;; amdgpu-corpus repo=ROCm/rocThrust kind=compiled arch=gfx90a opt=O3
	.text
	.amdgcn_target "amdgcn-amd-amdhsa--gfx90a"
	.amdhsa_code_object_version 6
	.protected	_Z19InclusiveScanKerneliPiS_ ; -- Begin function _Z19InclusiveScanKerneliPiS_
	.globl	_Z19InclusiveScanKerneliPiS_
	.p2align	8
	.type	_Z19InclusiveScanKerneliPiS_,@function
_Z19InclusiveScanKerneliPiS_:           ; @_Z19InclusiveScanKerneliPiS_
; %bb.0:
	v_cmp_eq_u32_e32 vcc, 0, v0
	s_and_saveexec_b64 s[0:1], vcc
	s_cbranch_execz .LBB0_5
; %bb.1:
	s_load_dword s8, s[4:5], 0x0
	s_waitcnt lgkmcnt(0)
	s_ashr_i32 s9, s8, 31
	s_lshl_b64 s[6:7], s[8:9], 2
	s_cmp_eq_u64 s[6:7], 0
	s_cbranch_scc1 .LBB0_5
; %bb.2:
	s_load_dwordx4 s[0:3], s[4:5], 0x8
	v_mov_b32_e32 v0, 0
	s_cmp_eq_u32 s8, 1
	s_waitcnt lgkmcnt(0)
	s_load_dword s9, s[0:1], 0x0
	s_waitcnt lgkmcnt(0)
	v_mov_b32_e32 v1, s9
	global_store_dword v0, v1, s[2:3]
	s_cbranch_scc1 .LBB0_5
; %bb.3:
	s_add_u32 s0, s0, 4
	s_addc_u32 s1, s1, 0
	s_add_u32 s2, s2, 4
	s_addc_u32 s3, s3, 0
	s_add_u32 s4, s6, -4
	s_addc_u32 s5, s7, -1
	v_mov_b32_e32 v1, s9
.LBB0_4:                                ; =>This Inner Loop Header: Depth=1
	global_load_dword v2, v0, s[0:1]
	s_add_u32 s0, s0, 4
	s_addc_u32 s1, s1, 0
	s_waitcnt vmcnt(0)
	v_add_u32_e32 v1, v2, v1
	global_store_dword v0, v1, s[2:3]
	s_add_u32 s2, s2, 4
	s_addc_u32 s3, s3, 0
	s_add_u32 s4, s4, -4
	s_addc_u32 s5, s5, -1
	s_cmp_lg_u64 s[4:5], 0
	s_cbranch_scc1 .LBB0_4
.LBB0_5:
	s_endpgm
	.section	.rodata,"a",@progbits
	.p2align	6, 0x0
	.amdhsa_kernel _Z19InclusiveScanKerneliPiS_
		.amdhsa_group_segment_fixed_size 0
		.amdhsa_private_segment_fixed_size 0
		.amdhsa_kernarg_size 24
		.amdhsa_user_sgpr_count 6
		.amdhsa_user_sgpr_private_segment_buffer 1
		.amdhsa_user_sgpr_dispatch_ptr 0
		.amdhsa_user_sgpr_queue_ptr 0
		.amdhsa_user_sgpr_kernarg_segment_ptr 1
		.amdhsa_user_sgpr_dispatch_id 0
		.amdhsa_user_sgpr_flat_scratch_init 0
		.amdhsa_user_sgpr_kernarg_preload_length 0
		.amdhsa_user_sgpr_kernarg_preload_offset 0
		.amdhsa_user_sgpr_private_segment_size 0
		.amdhsa_uses_dynamic_stack 0
		.amdhsa_system_sgpr_private_segment_wavefront_offset 0
		.amdhsa_system_sgpr_workgroup_id_x 1
		.amdhsa_system_sgpr_workgroup_id_y 0
		.amdhsa_system_sgpr_workgroup_id_z 0
		.amdhsa_system_sgpr_workgroup_info 0
		.amdhsa_system_vgpr_workitem_id 0
		.amdhsa_next_free_vgpr 3
		.amdhsa_next_free_sgpr 10
		.amdhsa_accum_offset 4
		.amdhsa_reserve_vcc 1
		.amdhsa_reserve_flat_scratch 0
		.amdhsa_float_round_mode_32 0
		.amdhsa_float_round_mode_16_64 0
		.amdhsa_float_denorm_mode_32 3
		.amdhsa_float_denorm_mode_16_64 3
		.amdhsa_dx10_clamp 1
		.amdhsa_ieee_mode 1
		.amdhsa_fp16_overflow 0
		.amdhsa_tg_split 0
		.amdhsa_exception_fp_ieee_invalid_op 0
		.amdhsa_exception_fp_denorm_src 0
		.amdhsa_exception_fp_ieee_div_zero 0
		.amdhsa_exception_fp_ieee_overflow 0
		.amdhsa_exception_fp_ieee_underflow 0
		.amdhsa_exception_fp_ieee_inexact 0
		.amdhsa_exception_int_div_zero 0
	.end_amdhsa_kernel
	.text
.Lfunc_end0:
	.size	_Z19InclusiveScanKerneliPiS_, .Lfunc_end0-_Z19InclusiveScanKerneliPiS_
                                        ; -- End function
	.section	.AMDGPU.csdata,"",@progbits
; Kernel info:
; codeLenInByte = 176
; NumSgprs: 14
; NumVgprs: 3
; NumAgprs: 0
; TotalNumVgprs: 3
; ScratchSize: 0
; MemoryBound: 0
; FloatMode: 240
; IeeeMode: 1
; LDSByteSize: 0 bytes/workgroup (compile time only)
; SGPRBlocks: 1
; VGPRBlocks: 0
; NumSGPRsForWavesPerEU: 14
; NumVGPRsForWavesPerEU: 3
; AccumOffset: 4
; Occupancy: 8
; WaveLimiterHint : 0
; COMPUTE_PGM_RSRC2:SCRATCH_EN: 0
; COMPUTE_PGM_RSRC2:USER_SGPR: 6
; COMPUTE_PGM_RSRC2:TRAP_HANDLER: 0
; COMPUTE_PGM_RSRC2:TGID_X_EN: 1
; COMPUTE_PGM_RSRC2:TGID_Y_EN: 0
; COMPUTE_PGM_RSRC2:TGID_Z_EN: 0
; COMPUTE_PGM_RSRC2:TIDIG_COMP_CNT: 0
; COMPUTE_PGM_RSRC3_GFX90A:ACCUM_OFFSET: 0
; COMPUTE_PGM_RSRC3_GFX90A:TG_SPLIT: 0
	.text
	.protected	_Z19ExclusiveScanKerneliPiS_ ; -- Begin function _Z19ExclusiveScanKerneliPiS_
	.globl	_Z19ExclusiveScanKerneliPiS_
	.p2align	8
	.type	_Z19ExclusiveScanKerneliPiS_,@function
_Z19ExclusiveScanKerneliPiS_:           ; @_Z19ExclusiveScanKerneliPiS_
; %bb.0:
	v_cmp_eq_u32_e32 vcc, 0, v0
	s_and_saveexec_b64 s[0:1], vcc
	s_cbranch_execz .LBB1_5
; %bb.1:
	s_load_dword s8, s[4:5], 0x0
	s_waitcnt lgkmcnt(0)
	s_ashr_i32 s9, s8, 31
	s_lshl_b64 s[6:7], s[8:9], 2
	s_cmp_eq_u64 s[6:7], 0
	s_cbranch_scc1 .LBB1_5
; %bb.2:
	s_load_dwordx4 s[0:3], s[4:5], 0x8
	v_mov_b32_e32 v0, 0
	s_cmp_eq_u32 s8, 1
	s_waitcnt lgkmcnt(0)
	s_load_dword s9, s[0:1], 0x0
	global_store_dword v0, v0, s[2:3]
	s_cbranch_scc1 .LBB1_5
; %bb.3:
	s_add_u32 s0, s0, 4
	s_addc_u32 s1, s1, 0
	s_add_u32 s2, s2, 4
	s_addc_u32 s3, s3, 0
	s_add_u32 s4, s6, -4
	s_addc_u32 s5, s7, -1
	s_waitcnt lgkmcnt(0)
	v_mov_b32_e32 v1, s9
.LBB1_4:                                ; =>This Inner Loop Header: Depth=1
	global_load_dword v2, v0, s[0:1]
	s_add_u32 s0, s0, 4
	s_addc_u32 s1, s1, 0
	global_store_dword v0, v1, s[2:3]
	s_add_u32 s2, s2, 4
	s_addc_u32 s3, s3, 0
	s_add_u32 s4, s4, -4
	s_addc_u32 s5, s5, -1
	s_cmp_lg_u64 s[4:5], 0
	s_waitcnt vmcnt(1)
	v_add_u32_e32 v1, v2, v1
	s_cbranch_scc1 .LBB1_4
.LBB1_5:
	s_endpgm
	.section	.rodata,"a",@progbits
	.p2align	6, 0x0
	.amdhsa_kernel _Z19ExclusiveScanKerneliPiS_
		.amdhsa_group_segment_fixed_size 0
		.amdhsa_private_segment_fixed_size 0
		.amdhsa_kernarg_size 24
		.amdhsa_user_sgpr_count 6
		.amdhsa_user_sgpr_private_segment_buffer 1
		.amdhsa_user_sgpr_dispatch_ptr 0
		.amdhsa_user_sgpr_queue_ptr 0
		.amdhsa_user_sgpr_kernarg_segment_ptr 1
		.amdhsa_user_sgpr_dispatch_id 0
		.amdhsa_user_sgpr_flat_scratch_init 0
		.amdhsa_user_sgpr_kernarg_preload_length 0
		.amdhsa_user_sgpr_kernarg_preload_offset 0
		.amdhsa_user_sgpr_private_segment_size 0
		.amdhsa_uses_dynamic_stack 0
		.amdhsa_system_sgpr_private_segment_wavefront_offset 0
		.amdhsa_system_sgpr_workgroup_id_x 1
		.amdhsa_system_sgpr_workgroup_id_y 0
		.amdhsa_system_sgpr_workgroup_id_z 0
		.amdhsa_system_sgpr_workgroup_info 0
		.amdhsa_system_vgpr_workitem_id 0
		.amdhsa_next_free_vgpr 3
		.amdhsa_next_free_sgpr 10
		.amdhsa_accum_offset 4
		.amdhsa_reserve_vcc 1
		.amdhsa_reserve_flat_scratch 0
		.amdhsa_float_round_mode_32 0
		.amdhsa_float_round_mode_16_64 0
		.amdhsa_float_denorm_mode_32 3
		.amdhsa_float_denorm_mode_16_64 3
		.amdhsa_dx10_clamp 1
		.amdhsa_ieee_mode 1
		.amdhsa_fp16_overflow 0
		.amdhsa_tg_split 0
		.amdhsa_exception_fp_ieee_invalid_op 0
		.amdhsa_exception_fp_denorm_src 0
		.amdhsa_exception_fp_ieee_div_zero 0
		.amdhsa_exception_fp_ieee_overflow 0
		.amdhsa_exception_fp_ieee_underflow 0
		.amdhsa_exception_fp_ieee_inexact 0
		.amdhsa_exception_int_div_zero 0
	.end_amdhsa_kernel
	.text
.Lfunc_end1:
	.size	_Z19ExclusiveScanKerneliPiS_, .Lfunc_end1-_Z19ExclusiveScanKerneliPiS_
                                        ; -- End function
	.section	.AMDGPU.csdata,"",@progbits
; Kernel info:
; codeLenInByte = 172
; NumSgprs: 14
; NumVgprs: 3
; NumAgprs: 0
; TotalNumVgprs: 3
; ScratchSize: 0
; MemoryBound: 0
; FloatMode: 240
; IeeeMode: 1
; LDSByteSize: 0 bytes/workgroup (compile time only)
; SGPRBlocks: 1
; VGPRBlocks: 0
; NumSGPRsForWavesPerEU: 14
; NumVGPRsForWavesPerEU: 3
; AccumOffset: 4
; Occupancy: 8
; WaveLimiterHint : 0
; COMPUTE_PGM_RSRC2:SCRATCH_EN: 0
; COMPUTE_PGM_RSRC2:USER_SGPR: 6
; COMPUTE_PGM_RSRC2:TRAP_HANDLER: 0
; COMPUTE_PGM_RSRC2:TGID_X_EN: 1
; COMPUTE_PGM_RSRC2:TGID_Y_EN: 0
; COMPUTE_PGM_RSRC2:TGID_Z_EN: 0
; COMPUTE_PGM_RSRC2:TIDIG_COMP_CNT: 0
; COMPUTE_PGM_RSRC3_GFX90A:ACCUM_OFFSET: 0
; COMPUTE_PGM_RSRC3_GFX90A:TG_SPLIT: 0
	.section	.text._ZN6thrust23THRUST_200600_302600_NS11hip_rocprim14__parallel_for6kernelILj256ENS1_20__uninitialized_fill7functorINS0_10device_ptrIxEExEEmLj1EEEvT0_T1_SA_,"axG",@progbits,_ZN6thrust23THRUST_200600_302600_NS11hip_rocprim14__parallel_for6kernelILj256ENS1_20__uninitialized_fill7functorINS0_10device_ptrIxEExEEmLj1EEEvT0_T1_SA_,comdat
	.protected	_ZN6thrust23THRUST_200600_302600_NS11hip_rocprim14__parallel_for6kernelILj256ENS1_20__uninitialized_fill7functorINS0_10device_ptrIxEExEEmLj1EEEvT0_T1_SA_ ; -- Begin function _ZN6thrust23THRUST_200600_302600_NS11hip_rocprim14__parallel_for6kernelILj256ENS1_20__uninitialized_fill7functorINS0_10device_ptrIxEExEEmLj1EEEvT0_T1_SA_
	.globl	_ZN6thrust23THRUST_200600_302600_NS11hip_rocprim14__parallel_for6kernelILj256ENS1_20__uninitialized_fill7functorINS0_10device_ptrIxEExEEmLj1EEEvT0_T1_SA_
	.p2align	8
	.type	_ZN6thrust23THRUST_200600_302600_NS11hip_rocprim14__parallel_for6kernelILj256ENS1_20__uninitialized_fill7functorINS0_10device_ptrIxEExEEmLj1EEEvT0_T1_SA_,@function
_ZN6thrust23THRUST_200600_302600_NS11hip_rocprim14__parallel_for6kernelILj256ENS1_20__uninitialized_fill7functorINS0_10device_ptrIxEExEEmLj1EEEvT0_T1_SA_: ; @_ZN6thrust23THRUST_200600_302600_NS11hip_rocprim14__parallel_for6kernelILj256ENS1_20__uninitialized_fill7functorINS0_10device_ptrIxEExEEmLj1EEEvT0_T1_SA_
; %bb.0:
	s_load_dwordx8 s[8:15], s[4:5], 0x0
	s_lshl_b32 s0, s6, 8
	v_mov_b32_e32 v2, 0x100
	v_mov_b32_e32 v3, 0
	s_waitcnt lgkmcnt(0)
	s_add_u32 s0, s0, s14
	s_addc_u32 s1, 0, s15
	s_sub_u32 s2, s12, s0
	s_subb_u32 s3, s13, s1
	v_cmp_lt_u64_e32 vcc, s[2:3], v[2:3]
	s_cbranch_vccz .LBB2_2
; %bb.1:
	v_cmp_gt_u32_e32 vcc, s2, v0
	s_and_b64 s[2:3], vcc, exec
	s_cbranch_execz .LBB2_3
	s_branch .LBB2_4
.LBB2_2:
	s_mov_b64 s[2:3], 0
.LBB2_3:
	s_or_b64 s[2:3], s[2:3], exec
.LBB2_4:
	s_and_saveexec_b64 s[4:5], s[2:3]
	s_cbranch_execnz .LBB2_6
; %bb.5:
	s_endpgm
.LBB2_6:
	s_lshl_b64 s[0:1], s[0:1], 3
	v_mov_b32_e32 v1, 0
	s_add_u32 s0, s8, s0
	s_addc_u32 s1, s9, s1
	v_lshlrev_b64 v[0:1], 3, v[0:1]
	v_mov_b32_e32 v4, s1
	v_add_co_u32_e32 v0, vcc, s0, v0
	v_mov_b32_e32 v2, s10
	v_mov_b32_e32 v3, s11
	v_addc_co_u32_e32 v1, vcc, v4, v1, vcc
	flat_store_dwordx2 v[0:1], v[2:3]
	s_endpgm
	.section	.rodata,"a",@progbits
	.p2align	6, 0x0
	.amdhsa_kernel _ZN6thrust23THRUST_200600_302600_NS11hip_rocprim14__parallel_for6kernelILj256ENS1_20__uninitialized_fill7functorINS0_10device_ptrIxEExEEmLj1EEEvT0_T1_SA_
		.amdhsa_group_segment_fixed_size 0
		.amdhsa_private_segment_fixed_size 0
		.amdhsa_kernarg_size 32
		.amdhsa_user_sgpr_count 6
		.amdhsa_user_sgpr_private_segment_buffer 1
		.amdhsa_user_sgpr_dispatch_ptr 0
		.amdhsa_user_sgpr_queue_ptr 0
		.amdhsa_user_sgpr_kernarg_segment_ptr 1
		.amdhsa_user_sgpr_dispatch_id 0
		.amdhsa_user_sgpr_flat_scratch_init 0
		.amdhsa_user_sgpr_kernarg_preload_length 0
		.amdhsa_user_sgpr_kernarg_preload_offset 0
		.amdhsa_user_sgpr_private_segment_size 0
		.amdhsa_uses_dynamic_stack 0
		.amdhsa_system_sgpr_private_segment_wavefront_offset 0
		.amdhsa_system_sgpr_workgroup_id_x 1
		.amdhsa_system_sgpr_workgroup_id_y 0
		.amdhsa_system_sgpr_workgroup_id_z 0
		.amdhsa_system_sgpr_workgroup_info 0
		.amdhsa_system_vgpr_workitem_id 0
		.amdhsa_next_free_vgpr 5
		.amdhsa_next_free_sgpr 16
		.amdhsa_accum_offset 8
		.amdhsa_reserve_vcc 1
		.amdhsa_reserve_flat_scratch 0
		.amdhsa_float_round_mode_32 0
		.amdhsa_float_round_mode_16_64 0
		.amdhsa_float_denorm_mode_32 3
		.amdhsa_float_denorm_mode_16_64 3
		.amdhsa_dx10_clamp 1
		.amdhsa_ieee_mode 1
		.amdhsa_fp16_overflow 0
		.amdhsa_tg_split 0
		.amdhsa_exception_fp_ieee_invalid_op 0
		.amdhsa_exception_fp_denorm_src 0
		.amdhsa_exception_fp_ieee_div_zero 0
		.amdhsa_exception_fp_ieee_overflow 0
		.amdhsa_exception_fp_ieee_underflow 0
		.amdhsa_exception_fp_ieee_inexact 0
		.amdhsa_exception_int_div_zero 0
	.end_amdhsa_kernel
	.section	.text._ZN6thrust23THRUST_200600_302600_NS11hip_rocprim14__parallel_for6kernelILj256ENS1_20__uninitialized_fill7functorINS0_10device_ptrIxEExEEmLj1EEEvT0_T1_SA_,"axG",@progbits,_ZN6thrust23THRUST_200600_302600_NS11hip_rocprim14__parallel_for6kernelILj256ENS1_20__uninitialized_fill7functorINS0_10device_ptrIxEExEEmLj1EEEvT0_T1_SA_,comdat
.Lfunc_end2:
	.size	_ZN6thrust23THRUST_200600_302600_NS11hip_rocprim14__parallel_for6kernelILj256ENS1_20__uninitialized_fill7functorINS0_10device_ptrIxEExEEmLj1EEEvT0_T1_SA_, .Lfunc_end2-_ZN6thrust23THRUST_200600_302600_NS11hip_rocprim14__parallel_for6kernelILj256ENS1_20__uninitialized_fill7functorINS0_10device_ptrIxEExEEmLj1EEEvT0_T1_SA_
                                        ; -- End function
	.section	.AMDGPU.csdata,"",@progbits
; Kernel info:
; codeLenInByte = 144
; NumSgprs: 20
; NumVgprs: 5
; NumAgprs: 0
; TotalNumVgprs: 5
; ScratchSize: 0
; MemoryBound: 0
; FloatMode: 240
; IeeeMode: 1
; LDSByteSize: 0 bytes/workgroup (compile time only)
; SGPRBlocks: 2
; VGPRBlocks: 0
; NumSGPRsForWavesPerEU: 20
; NumVGPRsForWavesPerEU: 5
; AccumOffset: 8
; Occupancy: 8
; WaveLimiterHint : 0
; COMPUTE_PGM_RSRC2:SCRATCH_EN: 0
; COMPUTE_PGM_RSRC2:USER_SGPR: 6
; COMPUTE_PGM_RSRC2:TRAP_HANDLER: 0
; COMPUTE_PGM_RSRC2:TGID_X_EN: 1
; COMPUTE_PGM_RSRC2:TGID_Y_EN: 0
; COMPUTE_PGM_RSRC2:TGID_Z_EN: 0
; COMPUTE_PGM_RSRC2:TIDIG_COMP_CNT: 0
; COMPUTE_PGM_RSRC3_GFX90A:ACCUM_OFFSET: 1
; COMPUTE_PGM_RSRC3_GFX90A:TG_SPLIT: 0
	.section	.text._ZN7rocprim17ROCPRIM_400000_NS6detail31init_lookback_scan_state_kernelINS1_19lookback_scan_stateIxLb0ELb1EEENS1_16block_id_wrapperIjLb0EEEEEvT_jT0_jPNS7_10value_typeE,"axG",@progbits,_ZN7rocprim17ROCPRIM_400000_NS6detail31init_lookback_scan_state_kernelINS1_19lookback_scan_stateIxLb0ELb1EEENS1_16block_id_wrapperIjLb0EEEEEvT_jT0_jPNS7_10value_typeE,comdat
	.protected	_ZN7rocprim17ROCPRIM_400000_NS6detail31init_lookback_scan_state_kernelINS1_19lookback_scan_stateIxLb0ELb1EEENS1_16block_id_wrapperIjLb0EEEEEvT_jT0_jPNS7_10value_typeE ; -- Begin function _ZN7rocprim17ROCPRIM_400000_NS6detail31init_lookback_scan_state_kernelINS1_19lookback_scan_stateIxLb0ELb1EEENS1_16block_id_wrapperIjLb0EEEEEvT_jT0_jPNS7_10value_typeE
	.globl	_ZN7rocprim17ROCPRIM_400000_NS6detail31init_lookback_scan_state_kernelINS1_19lookback_scan_stateIxLb0ELb1EEENS1_16block_id_wrapperIjLb0EEEEEvT_jT0_jPNS7_10value_typeE
	.p2align	8
	.type	_ZN7rocprim17ROCPRIM_400000_NS6detail31init_lookback_scan_state_kernelINS1_19lookback_scan_stateIxLb0ELb1EEENS1_16block_id_wrapperIjLb0EEEEEvT_jT0_jPNS7_10value_typeE,@function
_ZN7rocprim17ROCPRIM_400000_NS6detail31init_lookback_scan_state_kernelINS1_19lookback_scan_stateIxLb0ELb1EEENS1_16block_id_wrapperIjLb0EEEEEvT_jT0_jPNS7_10value_typeE: ; @_ZN7rocprim17ROCPRIM_400000_NS6detail31init_lookback_scan_state_kernelINS1_19lookback_scan_stateIxLb0ELb1EEENS1_16block_id_wrapperIjLb0EEEEEvT_jT0_jPNS7_10value_typeE
; %bb.0:
	s_load_dword s7, s[4:5], 0x2c
	s_load_dwordx2 s[2:3], s[4:5], 0x18
	s_load_dwordx2 s[0:1], s[4:5], 0x0
	s_load_dword s12, s[4:5], 0x8
	s_waitcnt lgkmcnt(0)
	s_and_b32 s7, s7, 0xffff
	s_mul_i32 s6, s6, s7
	s_cmp_eq_u64 s[2:3], 0
	v_add_u32_e32 v0, s6, v0
	s_cbranch_scc1 .LBB3_8
; %bb.1:
	s_load_dword s6, s[4:5], 0x10
	s_mov_b32 s7, 0
	s_waitcnt lgkmcnt(0)
	s_cmp_lt_u32 s6, s12
	s_cselect_b32 s4, s6, 0
	v_cmp_eq_u32_e32 vcc, s4, v0
	s_and_saveexec_b64 s[4:5], vcc
	s_cbranch_execz .LBB3_7
; %bb.2:
	s_add_i32 s6, s6, 64
	s_lshl_b64 s[6:7], s[6:7], 4
	s_add_u32 s10, s0, s6
	s_addc_u32 s11, s1, s7
	v_pk_mov_b32 v[2:3], s[10:11], s[10:11] op_sel:[0,1]
	;;#ASMSTART
	global_load_dwordx4 v[2:5], v[2:3] off glc	
s_waitcnt vmcnt(0)
	;;#ASMEND
	v_mov_b32_e32 v7, 0
	v_and_b32_e32 v6, 0xff, v4
	s_mov_b64 s[8:9], 0
	v_cmp_eq_u64_e32 vcc, 0, v[6:7]
	s_and_saveexec_b64 s[6:7], vcc
	s_cbranch_execz .LBB3_6
; %bb.3:
	v_pk_mov_b32 v[8:9], s[10:11], s[10:11] op_sel:[0,1]
.LBB3_4:                                ; =>This Inner Loop Header: Depth=1
	;;#ASMSTART
	global_load_dwordx4 v[2:5], v[8:9] off glc	
s_waitcnt vmcnt(0)
	;;#ASMEND
	v_and_b32_e32 v6, 0xff, v4
	v_cmp_ne_u64_e32 vcc, 0, v[6:7]
	s_or_b64 s[8:9], vcc, s[8:9]
	s_andn2_b64 exec, exec, s[8:9]
	s_cbranch_execnz .LBB3_4
; %bb.5:
	s_or_b64 exec, exec, s[8:9]
.LBB3_6:
	s_or_b64 exec, exec, s[6:7]
	v_mov_b32_e32 v1, 0
	global_store_dwordx2 v1, v[2:3], s[2:3]
.LBB3_7:
	s_or_b64 exec, exec, s[4:5]
.LBB3_8:
	v_cmp_gt_u32_e32 vcc, s12, v0
	s_and_saveexec_b64 s[2:3], vcc
	s_cbranch_execnz .LBB3_11
; %bb.9:
	s_or_b64 exec, exec, s[2:3]
	v_cmp_gt_u32_e32 vcc, 64, v0
	s_and_saveexec_b64 s[2:3], vcc
	s_cbranch_execnz .LBB3_12
.LBB3_10:
	s_endpgm
.LBB3_11:
	v_add_u32_e32 v2, 64, v0
	v_mov_b32_e32 v3, 0
	v_lshlrev_b64 v[4:5], 4, v[2:3]
	v_mov_b32_e32 v1, s1
	v_add_co_u32_e32 v6, vcc, s0, v4
	v_addc_co_u32_e32 v7, vcc, v1, v5, vcc
	v_mov_b32_e32 v2, v3
	v_mov_b32_e32 v4, v3
	;; [unrolled: 1-line block ×3, first 2 shown]
	global_store_dwordx4 v[6:7], v[2:5], off
	s_or_b64 exec, exec, s[2:3]
	v_cmp_gt_u32_e32 vcc, 64, v0
	s_and_saveexec_b64 s[2:3], vcc
	s_cbranch_execz .LBB3_10
.LBB3_12:
	v_mov_b32_e32 v1, 0
	v_lshlrev_b64 v[2:3], 4, v[0:1]
	v_mov_b32_e32 v0, s1
	v_add_co_u32_e32 v4, vcc, s0, v2
	v_addc_co_u32_e32 v5, vcc, v0, v3, vcc
	v_mov_b32_e32 v2, 0xff
	v_mov_b32_e32 v0, v1
	;; [unrolled: 1-line block ×3, first 2 shown]
	global_store_dwordx4 v[4:5], v[0:3], off
	s_endpgm
	.section	.rodata,"a",@progbits
	.p2align	6, 0x0
	.amdhsa_kernel _ZN7rocprim17ROCPRIM_400000_NS6detail31init_lookback_scan_state_kernelINS1_19lookback_scan_stateIxLb0ELb1EEENS1_16block_id_wrapperIjLb0EEEEEvT_jT0_jPNS7_10value_typeE
		.amdhsa_group_segment_fixed_size 0
		.amdhsa_private_segment_fixed_size 0
		.amdhsa_kernarg_size 288
		.amdhsa_user_sgpr_count 6
		.amdhsa_user_sgpr_private_segment_buffer 1
		.amdhsa_user_sgpr_dispatch_ptr 0
		.amdhsa_user_sgpr_queue_ptr 0
		.amdhsa_user_sgpr_kernarg_segment_ptr 1
		.amdhsa_user_sgpr_dispatch_id 0
		.amdhsa_user_sgpr_flat_scratch_init 0
		.amdhsa_user_sgpr_kernarg_preload_length 0
		.amdhsa_user_sgpr_kernarg_preload_offset 0
		.amdhsa_user_sgpr_private_segment_size 0
		.amdhsa_uses_dynamic_stack 0
		.amdhsa_system_sgpr_private_segment_wavefront_offset 0
		.amdhsa_system_sgpr_workgroup_id_x 1
		.amdhsa_system_sgpr_workgroup_id_y 0
		.amdhsa_system_sgpr_workgroup_id_z 0
		.amdhsa_system_sgpr_workgroup_info 0
		.amdhsa_system_vgpr_workitem_id 0
		.amdhsa_next_free_vgpr 10
		.amdhsa_next_free_sgpr 13
		.amdhsa_accum_offset 12
		.amdhsa_reserve_vcc 1
		.amdhsa_reserve_flat_scratch 0
		.amdhsa_float_round_mode_32 0
		.amdhsa_float_round_mode_16_64 0
		.amdhsa_float_denorm_mode_32 3
		.amdhsa_float_denorm_mode_16_64 3
		.amdhsa_dx10_clamp 1
		.amdhsa_ieee_mode 1
		.amdhsa_fp16_overflow 0
		.amdhsa_tg_split 0
		.amdhsa_exception_fp_ieee_invalid_op 0
		.amdhsa_exception_fp_denorm_src 0
		.amdhsa_exception_fp_ieee_div_zero 0
		.amdhsa_exception_fp_ieee_overflow 0
		.amdhsa_exception_fp_ieee_underflow 0
		.amdhsa_exception_fp_ieee_inexact 0
		.amdhsa_exception_int_div_zero 0
	.end_amdhsa_kernel
	.section	.text._ZN7rocprim17ROCPRIM_400000_NS6detail31init_lookback_scan_state_kernelINS1_19lookback_scan_stateIxLb0ELb1EEENS1_16block_id_wrapperIjLb0EEEEEvT_jT0_jPNS7_10value_typeE,"axG",@progbits,_ZN7rocprim17ROCPRIM_400000_NS6detail31init_lookback_scan_state_kernelINS1_19lookback_scan_stateIxLb0ELb1EEENS1_16block_id_wrapperIjLb0EEEEEvT_jT0_jPNS7_10value_typeE,comdat
.Lfunc_end3:
	.size	_ZN7rocprim17ROCPRIM_400000_NS6detail31init_lookback_scan_state_kernelINS1_19lookback_scan_stateIxLb0ELb1EEENS1_16block_id_wrapperIjLb0EEEEEvT_jT0_jPNS7_10value_typeE, .Lfunc_end3-_ZN7rocprim17ROCPRIM_400000_NS6detail31init_lookback_scan_state_kernelINS1_19lookback_scan_stateIxLb0ELb1EEENS1_16block_id_wrapperIjLb0EEEEEvT_jT0_jPNS7_10value_typeE
                                        ; -- End function
	.section	.AMDGPU.csdata,"",@progbits
; Kernel info:
; codeLenInByte = 384
; NumSgprs: 17
; NumVgprs: 10
; NumAgprs: 0
; TotalNumVgprs: 10
; ScratchSize: 0
; MemoryBound: 0
; FloatMode: 240
; IeeeMode: 1
; LDSByteSize: 0 bytes/workgroup (compile time only)
; SGPRBlocks: 2
; VGPRBlocks: 1
; NumSGPRsForWavesPerEU: 17
; NumVGPRsForWavesPerEU: 10
; AccumOffset: 12
; Occupancy: 8
; WaveLimiterHint : 0
; COMPUTE_PGM_RSRC2:SCRATCH_EN: 0
; COMPUTE_PGM_RSRC2:USER_SGPR: 6
; COMPUTE_PGM_RSRC2:TRAP_HANDLER: 0
; COMPUTE_PGM_RSRC2:TGID_X_EN: 1
; COMPUTE_PGM_RSRC2:TGID_Y_EN: 0
; COMPUTE_PGM_RSRC2:TGID_Z_EN: 0
; COMPUTE_PGM_RSRC2:TIDIG_COMP_CNT: 0
; COMPUTE_PGM_RSRC3_GFX90A:ACCUM_OFFSET: 2
; COMPUTE_PGM_RSRC3_GFX90A:TG_SPLIT: 0
	.section	.text._ZN7rocprim17ROCPRIM_400000_NS6detail17trampoline_kernelINS0_14default_configENS1_20scan_config_selectorIxEEZZNS1_9scan_implILNS1_25lookback_scan_determinismE0ELb0ELb0ES3_N6thrust23THRUST_200600_302600_NS6detail15normal_iteratorINS9_10device_ptrIxEEEESE_xNS9_4plusIvEExEEDaPvRmT3_T4_T5_mT6_P12ihipStream_tbENKUlT_T0_E_clISt17integral_constantIbLb0EESU_EEDaSP_SQ_EUlSP_E_NS1_11comp_targetILNS1_3genE0ELNS1_11target_archE4294967295ELNS1_3gpuE0ELNS1_3repE0EEENS1_30default_config_static_selectorELNS0_4arch9wavefront6targetE1EEEvT1_,"axG",@progbits,_ZN7rocprim17ROCPRIM_400000_NS6detail17trampoline_kernelINS0_14default_configENS1_20scan_config_selectorIxEEZZNS1_9scan_implILNS1_25lookback_scan_determinismE0ELb0ELb0ES3_N6thrust23THRUST_200600_302600_NS6detail15normal_iteratorINS9_10device_ptrIxEEEESE_xNS9_4plusIvEExEEDaPvRmT3_T4_T5_mT6_P12ihipStream_tbENKUlT_T0_E_clISt17integral_constantIbLb0EESU_EEDaSP_SQ_EUlSP_E_NS1_11comp_targetILNS1_3genE0ELNS1_11target_archE4294967295ELNS1_3gpuE0ELNS1_3repE0EEENS1_30default_config_static_selectorELNS0_4arch9wavefront6targetE1EEEvT1_,comdat
	.protected	_ZN7rocprim17ROCPRIM_400000_NS6detail17trampoline_kernelINS0_14default_configENS1_20scan_config_selectorIxEEZZNS1_9scan_implILNS1_25lookback_scan_determinismE0ELb0ELb0ES3_N6thrust23THRUST_200600_302600_NS6detail15normal_iteratorINS9_10device_ptrIxEEEESE_xNS9_4plusIvEExEEDaPvRmT3_T4_T5_mT6_P12ihipStream_tbENKUlT_T0_E_clISt17integral_constantIbLb0EESU_EEDaSP_SQ_EUlSP_E_NS1_11comp_targetILNS1_3genE0ELNS1_11target_archE4294967295ELNS1_3gpuE0ELNS1_3repE0EEENS1_30default_config_static_selectorELNS0_4arch9wavefront6targetE1EEEvT1_ ; -- Begin function _ZN7rocprim17ROCPRIM_400000_NS6detail17trampoline_kernelINS0_14default_configENS1_20scan_config_selectorIxEEZZNS1_9scan_implILNS1_25lookback_scan_determinismE0ELb0ELb0ES3_N6thrust23THRUST_200600_302600_NS6detail15normal_iteratorINS9_10device_ptrIxEEEESE_xNS9_4plusIvEExEEDaPvRmT3_T4_T5_mT6_P12ihipStream_tbENKUlT_T0_E_clISt17integral_constantIbLb0EESU_EEDaSP_SQ_EUlSP_E_NS1_11comp_targetILNS1_3genE0ELNS1_11target_archE4294967295ELNS1_3gpuE0ELNS1_3repE0EEENS1_30default_config_static_selectorELNS0_4arch9wavefront6targetE1EEEvT1_
	.globl	_ZN7rocprim17ROCPRIM_400000_NS6detail17trampoline_kernelINS0_14default_configENS1_20scan_config_selectorIxEEZZNS1_9scan_implILNS1_25lookback_scan_determinismE0ELb0ELb0ES3_N6thrust23THRUST_200600_302600_NS6detail15normal_iteratorINS9_10device_ptrIxEEEESE_xNS9_4plusIvEExEEDaPvRmT3_T4_T5_mT6_P12ihipStream_tbENKUlT_T0_E_clISt17integral_constantIbLb0EESU_EEDaSP_SQ_EUlSP_E_NS1_11comp_targetILNS1_3genE0ELNS1_11target_archE4294967295ELNS1_3gpuE0ELNS1_3repE0EEENS1_30default_config_static_selectorELNS0_4arch9wavefront6targetE1EEEvT1_
	.p2align	8
	.type	_ZN7rocprim17ROCPRIM_400000_NS6detail17trampoline_kernelINS0_14default_configENS1_20scan_config_selectorIxEEZZNS1_9scan_implILNS1_25lookback_scan_determinismE0ELb0ELb0ES3_N6thrust23THRUST_200600_302600_NS6detail15normal_iteratorINS9_10device_ptrIxEEEESE_xNS9_4plusIvEExEEDaPvRmT3_T4_T5_mT6_P12ihipStream_tbENKUlT_T0_E_clISt17integral_constantIbLb0EESU_EEDaSP_SQ_EUlSP_E_NS1_11comp_targetILNS1_3genE0ELNS1_11target_archE4294967295ELNS1_3gpuE0ELNS1_3repE0EEENS1_30default_config_static_selectorELNS0_4arch9wavefront6targetE1EEEvT1_,@function
_ZN7rocprim17ROCPRIM_400000_NS6detail17trampoline_kernelINS0_14default_configENS1_20scan_config_selectorIxEEZZNS1_9scan_implILNS1_25lookback_scan_determinismE0ELb0ELb0ES3_N6thrust23THRUST_200600_302600_NS6detail15normal_iteratorINS9_10device_ptrIxEEEESE_xNS9_4plusIvEExEEDaPvRmT3_T4_T5_mT6_P12ihipStream_tbENKUlT_T0_E_clISt17integral_constantIbLb0EESU_EEDaSP_SQ_EUlSP_E_NS1_11comp_targetILNS1_3genE0ELNS1_11target_archE4294967295ELNS1_3gpuE0ELNS1_3repE0EEENS1_30default_config_static_selectorELNS0_4arch9wavefront6targetE1EEEvT1_: ; @_ZN7rocprim17ROCPRIM_400000_NS6detail17trampoline_kernelINS0_14default_configENS1_20scan_config_selectorIxEEZZNS1_9scan_implILNS1_25lookback_scan_determinismE0ELb0ELb0ES3_N6thrust23THRUST_200600_302600_NS6detail15normal_iteratorINS9_10device_ptrIxEEEESE_xNS9_4plusIvEExEEDaPvRmT3_T4_T5_mT6_P12ihipStream_tbENKUlT_T0_E_clISt17integral_constantIbLb0EESU_EEDaSP_SQ_EUlSP_E_NS1_11comp_targetILNS1_3genE0ELNS1_11target_archE4294967295ELNS1_3gpuE0ELNS1_3repE0EEENS1_30default_config_static_selectorELNS0_4arch9wavefront6targetE1EEEvT1_
; %bb.0:
	.section	.rodata,"a",@progbits
	.p2align	6, 0x0
	.amdhsa_kernel _ZN7rocprim17ROCPRIM_400000_NS6detail17trampoline_kernelINS0_14default_configENS1_20scan_config_selectorIxEEZZNS1_9scan_implILNS1_25lookback_scan_determinismE0ELb0ELb0ES3_N6thrust23THRUST_200600_302600_NS6detail15normal_iteratorINS9_10device_ptrIxEEEESE_xNS9_4plusIvEExEEDaPvRmT3_T4_T5_mT6_P12ihipStream_tbENKUlT_T0_E_clISt17integral_constantIbLb0EESU_EEDaSP_SQ_EUlSP_E_NS1_11comp_targetILNS1_3genE0ELNS1_11target_archE4294967295ELNS1_3gpuE0ELNS1_3repE0EEENS1_30default_config_static_selectorELNS0_4arch9wavefront6targetE1EEEvT1_
		.amdhsa_group_segment_fixed_size 0
		.amdhsa_private_segment_fixed_size 0
		.amdhsa_kernarg_size 104
		.amdhsa_user_sgpr_count 6
		.amdhsa_user_sgpr_private_segment_buffer 1
		.amdhsa_user_sgpr_dispatch_ptr 0
		.amdhsa_user_sgpr_queue_ptr 0
		.amdhsa_user_sgpr_kernarg_segment_ptr 1
		.amdhsa_user_sgpr_dispatch_id 0
		.amdhsa_user_sgpr_flat_scratch_init 0
		.amdhsa_user_sgpr_kernarg_preload_length 0
		.amdhsa_user_sgpr_kernarg_preload_offset 0
		.amdhsa_user_sgpr_private_segment_size 0
		.amdhsa_uses_dynamic_stack 0
		.amdhsa_system_sgpr_private_segment_wavefront_offset 0
		.amdhsa_system_sgpr_workgroup_id_x 1
		.amdhsa_system_sgpr_workgroup_id_y 0
		.amdhsa_system_sgpr_workgroup_id_z 0
		.amdhsa_system_sgpr_workgroup_info 0
		.amdhsa_system_vgpr_workitem_id 0
		.amdhsa_next_free_vgpr 1
		.amdhsa_next_free_sgpr 0
		.amdhsa_accum_offset 4
		.amdhsa_reserve_vcc 0
		.amdhsa_reserve_flat_scratch 0
		.amdhsa_float_round_mode_32 0
		.amdhsa_float_round_mode_16_64 0
		.amdhsa_float_denorm_mode_32 3
		.amdhsa_float_denorm_mode_16_64 3
		.amdhsa_dx10_clamp 1
		.amdhsa_ieee_mode 1
		.amdhsa_fp16_overflow 0
		.amdhsa_tg_split 0
		.amdhsa_exception_fp_ieee_invalid_op 0
		.amdhsa_exception_fp_denorm_src 0
		.amdhsa_exception_fp_ieee_div_zero 0
		.amdhsa_exception_fp_ieee_overflow 0
		.amdhsa_exception_fp_ieee_underflow 0
		.amdhsa_exception_fp_ieee_inexact 0
		.amdhsa_exception_int_div_zero 0
	.end_amdhsa_kernel
	.section	.text._ZN7rocprim17ROCPRIM_400000_NS6detail17trampoline_kernelINS0_14default_configENS1_20scan_config_selectorIxEEZZNS1_9scan_implILNS1_25lookback_scan_determinismE0ELb0ELb0ES3_N6thrust23THRUST_200600_302600_NS6detail15normal_iteratorINS9_10device_ptrIxEEEESE_xNS9_4plusIvEExEEDaPvRmT3_T4_T5_mT6_P12ihipStream_tbENKUlT_T0_E_clISt17integral_constantIbLb0EESU_EEDaSP_SQ_EUlSP_E_NS1_11comp_targetILNS1_3genE0ELNS1_11target_archE4294967295ELNS1_3gpuE0ELNS1_3repE0EEENS1_30default_config_static_selectorELNS0_4arch9wavefront6targetE1EEEvT1_,"axG",@progbits,_ZN7rocprim17ROCPRIM_400000_NS6detail17trampoline_kernelINS0_14default_configENS1_20scan_config_selectorIxEEZZNS1_9scan_implILNS1_25lookback_scan_determinismE0ELb0ELb0ES3_N6thrust23THRUST_200600_302600_NS6detail15normal_iteratorINS9_10device_ptrIxEEEESE_xNS9_4plusIvEExEEDaPvRmT3_T4_T5_mT6_P12ihipStream_tbENKUlT_T0_E_clISt17integral_constantIbLb0EESU_EEDaSP_SQ_EUlSP_E_NS1_11comp_targetILNS1_3genE0ELNS1_11target_archE4294967295ELNS1_3gpuE0ELNS1_3repE0EEENS1_30default_config_static_selectorELNS0_4arch9wavefront6targetE1EEEvT1_,comdat
.Lfunc_end4:
	.size	_ZN7rocprim17ROCPRIM_400000_NS6detail17trampoline_kernelINS0_14default_configENS1_20scan_config_selectorIxEEZZNS1_9scan_implILNS1_25lookback_scan_determinismE0ELb0ELb0ES3_N6thrust23THRUST_200600_302600_NS6detail15normal_iteratorINS9_10device_ptrIxEEEESE_xNS9_4plusIvEExEEDaPvRmT3_T4_T5_mT6_P12ihipStream_tbENKUlT_T0_E_clISt17integral_constantIbLb0EESU_EEDaSP_SQ_EUlSP_E_NS1_11comp_targetILNS1_3genE0ELNS1_11target_archE4294967295ELNS1_3gpuE0ELNS1_3repE0EEENS1_30default_config_static_selectorELNS0_4arch9wavefront6targetE1EEEvT1_, .Lfunc_end4-_ZN7rocprim17ROCPRIM_400000_NS6detail17trampoline_kernelINS0_14default_configENS1_20scan_config_selectorIxEEZZNS1_9scan_implILNS1_25lookback_scan_determinismE0ELb0ELb0ES3_N6thrust23THRUST_200600_302600_NS6detail15normal_iteratorINS9_10device_ptrIxEEEESE_xNS9_4plusIvEExEEDaPvRmT3_T4_T5_mT6_P12ihipStream_tbENKUlT_T0_E_clISt17integral_constantIbLb0EESU_EEDaSP_SQ_EUlSP_E_NS1_11comp_targetILNS1_3genE0ELNS1_11target_archE4294967295ELNS1_3gpuE0ELNS1_3repE0EEENS1_30default_config_static_selectorELNS0_4arch9wavefront6targetE1EEEvT1_
                                        ; -- End function
	.section	.AMDGPU.csdata,"",@progbits
; Kernel info:
; codeLenInByte = 0
; NumSgprs: 4
; NumVgprs: 0
; NumAgprs: 0
; TotalNumVgprs: 0
; ScratchSize: 0
; MemoryBound: 0
; FloatMode: 240
; IeeeMode: 1
; LDSByteSize: 0 bytes/workgroup (compile time only)
; SGPRBlocks: 0
; VGPRBlocks: 0
; NumSGPRsForWavesPerEU: 4
; NumVGPRsForWavesPerEU: 1
; AccumOffset: 4
; Occupancy: 8
; WaveLimiterHint : 0
; COMPUTE_PGM_RSRC2:SCRATCH_EN: 0
; COMPUTE_PGM_RSRC2:USER_SGPR: 6
; COMPUTE_PGM_RSRC2:TRAP_HANDLER: 0
; COMPUTE_PGM_RSRC2:TGID_X_EN: 1
; COMPUTE_PGM_RSRC2:TGID_Y_EN: 0
; COMPUTE_PGM_RSRC2:TGID_Z_EN: 0
; COMPUTE_PGM_RSRC2:TIDIG_COMP_CNT: 0
; COMPUTE_PGM_RSRC3_GFX90A:ACCUM_OFFSET: 0
; COMPUTE_PGM_RSRC3_GFX90A:TG_SPLIT: 0
	.section	.text._ZN7rocprim17ROCPRIM_400000_NS6detail17trampoline_kernelINS0_14default_configENS1_20scan_config_selectorIxEEZZNS1_9scan_implILNS1_25lookback_scan_determinismE0ELb0ELb0ES3_N6thrust23THRUST_200600_302600_NS6detail15normal_iteratorINS9_10device_ptrIxEEEESE_xNS9_4plusIvEExEEDaPvRmT3_T4_T5_mT6_P12ihipStream_tbENKUlT_T0_E_clISt17integral_constantIbLb0EESU_EEDaSP_SQ_EUlSP_E_NS1_11comp_targetILNS1_3genE5ELNS1_11target_archE942ELNS1_3gpuE9ELNS1_3repE0EEENS1_30default_config_static_selectorELNS0_4arch9wavefront6targetE1EEEvT1_,"axG",@progbits,_ZN7rocprim17ROCPRIM_400000_NS6detail17trampoline_kernelINS0_14default_configENS1_20scan_config_selectorIxEEZZNS1_9scan_implILNS1_25lookback_scan_determinismE0ELb0ELb0ES3_N6thrust23THRUST_200600_302600_NS6detail15normal_iteratorINS9_10device_ptrIxEEEESE_xNS9_4plusIvEExEEDaPvRmT3_T4_T5_mT6_P12ihipStream_tbENKUlT_T0_E_clISt17integral_constantIbLb0EESU_EEDaSP_SQ_EUlSP_E_NS1_11comp_targetILNS1_3genE5ELNS1_11target_archE942ELNS1_3gpuE9ELNS1_3repE0EEENS1_30default_config_static_selectorELNS0_4arch9wavefront6targetE1EEEvT1_,comdat
	.protected	_ZN7rocprim17ROCPRIM_400000_NS6detail17trampoline_kernelINS0_14default_configENS1_20scan_config_selectorIxEEZZNS1_9scan_implILNS1_25lookback_scan_determinismE0ELb0ELb0ES3_N6thrust23THRUST_200600_302600_NS6detail15normal_iteratorINS9_10device_ptrIxEEEESE_xNS9_4plusIvEExEEDaPvRmT3_T4_T5_mT6_P12ihipStream_tbENKUlT_T0_E_clISt17integral_constantIbLb0EESU_EEDaSP_SQ_EUlSP_E_NS1_11comp_targetILNS1_3genE5ELNS1_11target_archE942ELNS1_3gpuE9ELNS1_3repE0EEENS1_30default_config_static_selectorELNS0_4arch9wavefront6targetE1EEEvT1_ ; -- Begin function _ZN7rocprim17ROCPRIM_400000_NS6detail17trampoline_kernelINS0_14default_configENS1_20scan_config_selectorIxEEZZNS1_9scan_implILNS1_25lookback_scan_determinismE0ELb0ELb0ES3_N6thrust23THRUST_200600_302600_NS6detail15normal_iteratorINS9_10device_ptrIxEEEESE_xNS9_4plusIvEExEEDaPvRmT3_T4_T5_mT6_P12ihipStream_tbENKUlT_T0_E_clISt17integral_constantIbLb0EESU_EEDaSP_SQ_EUlSP_E_NS1_11comp_targetILNS1_3genE5ELNS1_11target_archE942ELNS1_3gpuE9ELNS1_3repE0EEENS1_30default_config_static_selectorELNS0_4arch9wavefront6targetE1EEEvT1_
	.globl	_ZN7rocprim17ROCPRIM_400000_NS6detail17trampoline_kernelINS0_14default_configENS1_20scan_config_selectorIxEEZZNS1_9scan_implILNS1_25lookback_scan_determinismE0ELb0ELb0ES3_N6thrust23THRUST_200600_302600_NS6detail15normal_iteratorINS9_10device_ptrIxEEEESE_xNS9_4plusIvEExEEDaPvRmT3_T4_T5_mT6_P12ihipStream_tbENKUlT_T0_E_clISt17integral_constantIbLb0EESU_EEDaSP_SQ_EUlSP_E_NS1_11comp_targetILNS1_3genE5ELNS1_11target_archE942ELNS1_3gpuE9ELNS1_3repE0EEENS1_30default_config_static_selectorELNS0_4arch9wavefront6targetE1EEEvT1_
	.p2align	8
	.type	_ZN7rocprim17ROCPRIM_400000_NS6detail17trampoline_kernelINS0_14default_configENS1_20scan_config_selectorIxEEZZNS1_9scan_implILNS1_25lookback_scan_determinismE0ELb0ELb0ES3_N6thrust23THRUST_200600_302600_NS6detail15normal_iteratorINS9_10device_ptrIxEEEESE_xNS9_4plusIvEExEEDaPvRmT3_T4_T5_mT6_P12ihipStream_tbENKUlT_T0_E_clISt17integral_constantIbLb0EESU_EEDaSP_SQ_EUlSP_E_NS1_11comp_targetILNS1_3genE5ELNS1_11target_archE942ELNS1_3gpuE9ELNS1_3repE0EEENS1_30default_config_static_selectorELNS0_4arch9wavefront6targetE1EEEvT1_,@function
_ZN7rocprim17ROCPRIM_400000_NS6detail17trampoline_kernelINS0_14default_configENS1_20scan_config_selectorIxEEZZNS1_9scan_implILNS1_25lookback_scan_determinismE0ELb0ELb0ES3_N6thrust23THRUST_200600_302600_NS6detail15normal_iteratorINS9_10device_ptrIxEEEESE_xNS9_4plusIvEExEEDaPvRmT3_T4_T5_mT6_P12ihipStream_tbENKUlT_T0_E_clISt17integral_constantIbLb0EESU_EEDaSP_SQ_EUlSP_E_NS1_11comp_targetILNS1_3genE5ELNS1_11target_archE942ELNS1_3gpuE9ELNS1_3repE0EEENS1_30default_config_static_selectorELNS0_4arch9wavefront6targetE1EEEvT1_: ; @_ZN7rocprim17ROCPRIM_400000_NS6detail17trampoline_kernelINS0_14default_configENS1_20scan_config_selectorIxEEZZNS1_9scan_implILNS1_25lookback_scan_determinismE0ELb0ELb0ES3_N6thrust23THRUST_200600_302600_NS6detail15normal_iteratorINS9_10device_ptrIxEEEESE_xNS9_4plusIvEExEEDaPvRmT3_T4_T5_mT6_P12ihipStream_tbENKUlT_T0_E_clISt17integral_constantIbLb0EESU_EEDaSP_SQ_EUlSP_E_NS1_11comp_targetILNS1_3genE5ELNS1_11target_archE942ELNS1_3gpuE9ELNS1_3repE0EEENS1_30default_config_static_selectorELNS0_4arch9wavefront6targetE1EEEvT1_
; %bb.0:
	.section	.rodata,"a",@progbits
	.p2align	6, 0x0
	.amdhsa_kernel _ZN7rocprim17ROCPRIM_400000_NS6detail17trampoline_kernelINS0_14default_configENS1_20scan_config_selectorIxEEZZNS1_9scan_implILNS1_25lookback_scan_determinismE0ELb0ELb0ES3_N6thrust23THRUST_200600_302600_NS6detail15normal_iteratorINS9_10device_ptrIxEEEESE_xNS9_4plusIvEExEEDaPvRmT3_T4_T5_mT6_P12ihipStream_tbENKUlT_T0_E_clISt17integral_constantIbLb0EESU_EEDaSP_SQ_EUlSP_E_NS1_11comp_targetILNS1_3genE5ELNS1_11target_archE942ELNS1_3gpuE9ELNS1_3repE0EEENS1_30default_config_static_selectorELNS0_4arch9wavefront6targetE1EEEvT1_
		.amdhsa_group_segment_fixed_size 0
		.amdhsa_private_segment_fixed_size 0
		.amdhsa_kernarg_size 104
		.amdhsa_user_sgpr_count 6
		.amdhsa_user_sgpr_private_segment_buffer 1
		.amdhsa_user_sgpr_dispatch_ptr 0
		.amdhsa_user_sgpr_queue_ptr 0
		.amdhsa_user_sgpr_kernarg_segment_ptr 1
		.amdhsa_user_sgpr_dispatch_id 0
		.amdhsa_user_sgpr_flat_scratch_init 0
		.amdhsa_user_sgpr_kernarg_preload_length 0
		.amdhsa_user_sgpr_kernarg_preload_offset 0
		.amdhsa_user_sgpr_private_segment_size 0
		.amdhsa_uses_dynamic_stack 0
		.amdhsa_system_sgpr_private_segment_wavefront_offset 0
		.amdhsa_system_sgpr_workgroup_id_x 1
		.amdhsa_system_sgpr_workgroup_id_y 0
		.amdhsa_system_sgpr_workgroup_id_z 0
		.amdhsa_system_sgpr_workgroup_info 0
		.amdhsa_system_vgpr_workitem_id 0
		.amdhsa_next_free_vgpr 1
		.amdhsa_next_free_sgpr 0
		.amdhsa_accum_offset 4
		.amdhsa_reserve_vcc 0
		.amdhsa_reserve_flat_scratch 0
		.amdhsa_float_round_mode_32 0
		.amdhsa_float_round_mode_16_64 0
		.amdhsa_float_denorm_mode_32 3
		.amdhsa_float_denorm_mode_16_64 3
		.amdhsa_dx10_clamp 1
		.amdhsa_ieee_mode 1
		.amdhsa_fp16_overflow 0
		.amdhsa_tg_split 0
		.amdhsa_exception_fp_ieee_invalid_op 0
		.amdhsa_exception_fp_denorm_src 0
		.amdhsa_exception_fp_ieee_div_zero 0
		.amdhsa_exception_fp_ieee_overflow 0
		.amdhsa_exception_fp_ieee_underflow 0
		.amdhsa_exception_fp_ieee_inexact 0
		.amdhsa_exception_int_div_zero 0
	.end_amdhsa_kernel
	.section	.text._ZN7rocprim17ROCPRIM_400000_NS6detail17trampoline_kernelINS0_14default_configENS1_20scan_config_selectorIxEEZZNS1_9scan_implILNS1_25lookback_scan_determinismE0ELb0ELb0ES3_N6thrust23THRUST_200600_302600_NS6detail15normal_iteratorINS9_10device_ptrIxEEEESE_xNS9_4plusIvEExEEDaPvRmT3_T4_T5_mT6_P12ihipStream_tbENKUlT_T0_E_clISt17integral_constantIbLb0EESU_EEDaSP_SQ_EUlSP_E_NS1_11comp_targetILNS1_3genE5ELNS1_11target_archE942ELNS1_3gpuE9ELNS1_3repE0EEENS1_30default_config_static_selectorELNS0_4arch9wavefront6targetE1EEEvT1_,"axG",@progbits,_ZN7rocprim17ROCPRIM_400000_NS6detail17trampoline_kernelINS0_14default_configENS1_20scan_config_selectorIxEEZZNS1_9scan_implILNS1_25lookback_scan_determinismE0ELb0ELb0ES3_N6thrust23THRUST_200600_302600_NS6detail15normal_iteratorINS9_10device_ptrIxEEEESE_xNS9_4plusIvEExEEDaPvRmT3_T4_T5_mT6_P12ihipStream_tbENKUlT_T0_E_clISt17integral_constantIbLb0EESU_EEDaSP_SQ_EUlSP_E_NS1_11comp_targetILNS1_3genE5ELNS1_11target_archE942ELNS1_3gpuE9ELNS1_3repE0EEENS1_30default_config_static_selectorELNS0_4arch9wavefront6targetE1EEEvT1_,comdat
.Lfunc_end5:
	.size	_ZN7rocprim17ROCPRIM_400000_NS6detail17trampoline_kernelINS0_14default_configENS1_20scan_config_selectorIxEEZZNS1_9scan_implILNS1_25lookback_scan_determinismE0ELb0ELb0ES3_N6thrust23THRUST_200600_302600_NS6detail15normal_iteratorINS9_10device_ptrIxEEEESE_xNS9_4plusIvEExEEDaPvRmT3_T4_T5_mT6_P12ihipStream_tbENKUlT_T0_E_clISt17integral_constantIbLb0EESU_EEDaSP_SQ_EUlSP_E_NS1_11comp_targetILNS1_3genE5ELNS1_11target_archE942ELNS1_3gpuE9ELNS1_3repE0EEENS1_30default_config_static_selectorELNS0_4arch9wavefront6targetE1EEEvT1_, .Lfunc_end5-_ZN7rocprim17ROCPRIM_400000_NS6detail17trampoline_kernelINS0_14default_configENS1_20scan_config_selectorIxEEZZNS1_9scan_implILNS1_25lookback_scan_determinismE0ELb0ELb0ES3_N6thrust23THRUST_200600_302600_NS6detail15normal_iteratorINS9_10device_ptrIxEEEESE_xNS9_4plusIvEExEEDaPvRmT3_T4_T5_mT6_P12ihipStream_tbENKUlT_T0_E_clISt17integral_constantIbLb0EESU_EEDaSP_SQ_EUlSP_E_NS1_11comp_targetILNS1_3genE5ELNS1_11target_archE942ELNS1_3gpuE9ELNS1_3repE0EEENS1_30default_config_static_selectorELNS0_4arch9wavefront6targetE1EEEvT1_
                                        ; -- End function
	.section	.AMDGPU.csdata,"",@progbits
; Kernel info:
; codeLenInByte = 0
; NumSgprs: 4
; NumVgprs: 0
; NumAgprs: 0
; TotalNumVgprs: 0
; ScratchSize: 0
; MemoryBound: 0
; FloatMode: 240
; IeeeMode: 1
; LDSByteSize: 0 bytes/workgroup (compile time only)
; SGPRBlocks: 0
; VGPRBlocks: 0
; NumSGPRsForWavesPerEU: 4
; NumVGPRsForWavesPerEU: 1
; AccumOffset: 4
; Occupancy: 8
; WaveLimiterHint : 0
; COMPUTE_PGM_RSRC2:SCRATCH_EN: 0
; COMPUTE_PGM_RSRC2:USER_SGPR: 6
; COMPUTE_PGM_RSRC2:TRAP_HANDLER: 0
; COMPUTE_PGM_RSRC2:TGID_X_EN: 1
; COMPUTE_PGM_RSRC2:TGID_Y_EN: 0
; COMPUTE_PGM_RSRC2:TGID_Z_EN: 0
; COMPUTE_PGM_RSRC2:TIDIG_COMP_CNT: 0
; COMPUTE_PGM_RSRC3_GFX90A:ACCUM_OFFSET: 0
; COMPUTE_PGM_RSRC3_GFX90A:TG_SPLIT: 0
	.section	.text._ZN7rocprim17ROCPRIM_400000_NS6detail17trampoline_kernelINS0_14default_configENS1_20scan_config_selectorIxEEZZNS1_9scan_implILNS1_25lookback_scan_determinismE0ELb0ELb0ES3_N6thrust23THRUST_200600_302600_NS6detail15normal_iteratorINS9_10device_ptrIxEEEESE_xNS9_4plusIvEExEEDaPvRmT3_T4_T5_mT6_P12ihipStream_tbENKUlT_T0_E_clISt17integral_constantIbLb0EESU_EEDaSP_SQ_EUlSP_E_NS1_11comp_targetILNS1_3genE4ELNS1_11target_archE910ELNS1_3gpuE8ELNS1_3repE0EEENS1_30default_config_static_selectorELNS0_4arch9wavefront6targetE1EEEvT1_,"axG",@progbits,_ZN7rocprim17ROCPRIM_400000_NS6detail17trampoline_kernelINS0_14default_configENS1_20scan_config_selectorIxEEZZNS1_9scan_implILNS1_25lookback_scan_determinismE0ELb0ELb0ES3_N6thrust23THRUST_200600_302600_NS6detail15normal_iteratorINS9_10device_ptrIxEEEESE_xNS9_4plusIvEExEEDaPvRmT3_T4_T5_mT6_P12ihipStream_tbENKUlT_T0_E_clISt17integral_constantIbLb0EESU_EEDaSP_SQ_EUlSP_E_NS1_11comp_targetILNS1_3genE4ELNS1_11target_archE910ELNS1_3gpuE8ELNS1_3repE0EEENS1_30default_config_static_selectorELNS0_4arch9wavefront6targetE1EEEvT1_,comdat
	.protected	_ZN7rocprim17ROCPRIM_400000_NS6detail17trampoline_kernelINS0_14default_configENS1_20scan_config_selectorIxEEZZNS1_9scan_implILNS1_25lookback_scan_determinismE0ELb0ELb0ES3_N6thrust23THRUST_200600_302600_NS6detail15normal_iteratorINS9_10device_ptrIxEEEESE_xNS9_4plusIvEExEEDaPvRmT3_T4_T5_mT6_P12ihipStream_tbENKUlT_T0_E_clISt17integral_constantIbLb0EESU_EEDaSP_SQ_EUlSP_E_NS1_11comp_targetILNS1_3genE4ELNS1_11target_archE910ELNS1_3gpuE8ELNS1_3repE0EEENS1_30default_config_static_selectorELNS0_4arch9wavefront6targetE1EEEvT1_ ; -- Begin function _ZN7rocprim17ROCPRIM_400000_NS6detail17trampoline_kernelINS0_14default_configENS1_20scan_config_selectorIxEEZZNS1_9scan_implILNS1_25lookback_scan_determinismE0ELb0ELb0ES3_N6thrust23THRUST_200600_302600_NS6detail15normal_iteratorINS9_10device_ptrIxEEEESE_xNS9_4plusIvEExEEDaPvRmT3_T4_T5_mT6_P12ihipStream_tbENKUlT_T0_E_clISt17integral_constantIbLb0EESU_EEDaSP_SQ_EUlSP_E_NS1_11comp_targetILNS1_3genE4ELNS1_11target_archE910ELNS1_3gpuE8ELNS1_3repE0EEENS1_30default_config_static_selectorELNS0_4arch9wavefront6targetE1EEEvT1_
	.globl	_ZN7rocprim17ROCPRIM_400000_NS6detail17trampoline_kernelINS0_14default_configENS1_20scan_config_selectorIxEEZZNS1_9scan_implILNS1_25lookback_scan_determinismE0ELb0ELb0ES3_N6thrust23THRUST_200600_302600_NS6detail15normal_iteratorINS9_10device_ptrIxEEEESE_xNS9_4plusIvEExEEDaPvRmT3_T4_T5_mT6_P12ihipStream_tbENKUlT_T0_E_clISt17integral_constantIbLb0EESU_EEDaSP_SQ_EUlSP_E_NS1_11comp_targetILNS1_3genE4ELNS1_11target_archE910ELNS1_3gpuE8ELNS1_3repE0EEENS1_30default_config_static_selectorELNS0_4arch9wavefront6targetE1EEEvT1_
	.p2align	8
	.type	_ZN7rocprim17ROCPRIM_400000_NS6detail17trampoline_kernelINS0_14default_configENS1_20scan_config_selectorIxEEZZNS1_9scan_implILNS1_25lookback_scan_determinismE0ELb0ELb0ES3_N6thrust23THRUST_200600_302600_NS6detail15normal_iteratorINS9_10device_ptrIxEEEESE_xNS9_4plusIvEExEEDaPvRmT3_T4_T5_mT6_P12ihipStream_tbENKUlT_T0_E_clISt17integral_constantIbLb0EESU_EEDaSP_SQ_EUlSP_E_NS1_11comp_targetILNS1_3genE4ELNS1_11target_archE910ELNS1_3gpuE8ELNS1_3repE0EEENS1_30default_config_static_selectorELNS0_4arch9wavefront6targetE1EEEvT1_,@function
_ZN7rocprim17ROCPRIM_400000_NS6detail17trampoline_kernelINS0_14default_configENS1_20scan_config_selectorIxEEZZNS1_9scan_implILNS1_25lookback_scan_determinismE0ELb0ELb0ES3_N6thrust23THRUST_200600_302600_NS6detail15normal_iteratorINS9_10device_ptrIxEEEESE_xNS9_4plusIvEExEEDaPvRmT3_T4_T5_mT6_P12ihipStream_tbENKUlT_T0_E_clISt17integral_constantIbLb0EESU_EEDaSP_SQ_EUlSP_E_NS1_11comp_targetILNS1_3genE4ELNS1_11target_archE910ELNS1_3gpuE8ELNS1_3repE0EEENS1_30default_config_static_selectorELNS0_4arch9wavefront6targetE1EEEvT1_: ; @_ZN7rocprim17ROCPRIM_400000_NS6detail17trampoline_kernelINS0_14default_configENS1_20scan_config_selectorIxEEZZNS1_9scan_implILNS1_25lookback_scan_determinismE0ELb0ELb0ES3_N6thrust23THRUST_200600_302600_NS6detail15normal_iteratorINS9_10device_ptrIxEEEESE_xNS9_4plusIvEExEEDaPvRmT3_T4_T5_mT6_P12ihipStream_tbENKUlT_T0_E_clISt17integral_constantIbLb0EESU_EEDaSP_SQ_EUlSP_E_NS1_11comp_targetILNS1_3genE4ELNS1_11target_archE910ELNS1_3gpuE8ELNS1_3repE0EEENS1_30default_config_static_selectorELNS0_4arch9wavefront6targetE1EEEvT1_
; %bb.0:
	s_load_dwordx8 s[8:15], s[4:5], 0x0
	s_load_dword s1, s[4:5], 0x38
	s_mul_i32 s0, s6, 0x380
	v_lshlrev_b32_e32 v36, 3, v0
	s_waitcnt lgkmcnt(0)
	s_lshl_b64 s[16:17], s[10:11], 3
	s_add_u32 s2, s8, s16
	s_addc_u32 s3, s9, s17
	s_add_i32 s7, s1, -1
	s_mul_i32 s8, s7, 0x380
	s_sub_u32 s24, s14, s8
	s_subb_u32 s25, s15, 0
	s_mov_b32 s1, 0
	s_cmp_lg_u32 s6, s7
	s_cselect_b64 s[14:15], -1, 0
	s_lshl_b64 s[18:19], s[0:1], 3
	s_add_u32 s2, s2, s18
	s_addc_u32 s3, s3, s19
	s_mov_b64 s[0:1], -1
	s_and_b64 vcc, exec, s[14:15]
	s_cbranch_vccz .LBB6_2
; %bb.1:
	v_mov_b32_e32 v1, s3
	v_add_co_u32_e32 v2, vcc, s2, v36
	v_addc_co_u32_e32 v3, vcc, 0, v1, vcc
	flat_load_dwordx2 v[4:5], v[2:3]
	flat_load_dwordx2 v[6:7], v[2:3] offset:1024
	flat_load_dwordx2 v[8:9], v[2:3] offset:2048
	;; [unrolled: 1-line block ×3, first 2 shown]
	v_add_co_u32_e32 v2, vcc, 0x1000, v2
	v_addc_co_u32_e32 v3, vcc, 0, v3, vcc
	flat_load_dwordx2 v[12:13], v[2:3]
	flat_load_dwordx2 v[14:15], v[2:3] offset:1024
	flat_load_dwordx2 v[16:17], v[2:3] offset:2048
	s_mov_b64 s[0:1], 0
	s_waitcnt vmcnt(0) lgkmcnt(0)
	ds_write2st64_b64 v36, v[4:5], v[6:7] offset1:2
	ds_write2st64_b64 v36, v[8:9], v[10:11] offset0:4 offset1:6
	ds_write2st64_b64 v36, v[12:13], v[14:15] offset0:8 offset1:10
	ds_write_b64 v36, v[16:17] offset:6144
	s_waitcnt lgkmcnt(0)
	s_barrier
.LBB6_2:
	s_load_dwordx2 s[20:21], s[4:5], 0x30
	s_andn2_b64 vcc, exec, s[0:1]
	v_cmp_gt_u32_e64 s[0:1], s24, v0
	s_cbranch_vccnz .LBB6_18
; %bb.3:
	v_pk_mov_b32 v[2:3], s[2:3], s[2:3] op_sel:[0,1]
	flat_load_dwordx2 v[2:3], v[2:3]
	s_waitcnt vmcnt(0) lgkmcnt(0)
	v_mov_b32_e32 v4, v2
	v_mov_b32_e32 v5, v3
	;; [unrolled: 1-line block ×10, first 2 shown]
	v_pk_mov_b32 v[18:19], v[14:15], v[14:15] op_sel:[0,1]
	v_pk_mov_b32 v[16:17], v[12:13], v[12:13] op_sel:[0,1]
	;; [unrolled: 1-line block ×8, first 2 shown]
	s_and_saveexec_b64 s[8:9], s[0:1]
	s_cbranch_execz .LBB6_5
; %bb.4:
	v_mov_b32_e32 v1, s3
	v_add_co_u32_e32 v4, vcc, s2, v36
	v_addc_co_u32_e32 v5, vcc, 0, v1, vcc
	flat_load_dwordx2 v[20:21], v[4:5]
	v_mov_b32_e32 v4, v2
	v_mov_b32_e32 v5, v3
	v_mov_b32_e32 v6, v2
	v_mov_b32_e32 v7, v3
	v_mov_b32_e32 v8, v2
	v_mov_b32_e32 v9, v3
	v_mov_b32_e32 v10, v2
	v_mov_b32_e32 v11, v3
	v_mov_b32_e32 v12, v2
	v_mov_b32_e32 v13, v3
	v_pk_mov_b32 v[18:19], v[14:15], v[14:15] op_sel:[0,1]
	v_pk_mov_b32 v[16:17], v[12:13], v[12:13] op_sel:[0,1]
	;; [unrolled: 1-line block ×8, first 2 shown]
	s_waitcnt vmcnt(0) lgkmcnt(0)
	v_pk_mov_b32 v[2:3], v[20:21], v[20:21] op_sel:[0,1]
.LBB6_5:
	s_or_b64 exec, exec, s[8:9]
	v_or_b32_e32 v1, 0x80, v0
	v_cmp_gt_u32_e32 vcc, s24, v1
	s_and_saveexec_b64 s[0:1], vcc
	s_cbranch_execz .LBB6_7
; %bb.6:
	v_mov_b32_e32 v1, s3
	v_add_co_u32_e32 v4, vcc, s2, v36
	v_addc_co_u32_e32 v5, vcc, 0, v1, vcc
	flat_load_dwordx2 v[6:7], v[4:5] offset:1024
.LBB6_7:
	s_or_b64 exec, exec, s[0:1]
	v_or_b32_e32 v1, 0x100, v0
	v_cmp_gt_u32_e32 vcc, s24, v1
	s_and_saveexec_b64 s[0:1], vcc
	s_cbranch_execz .LBB6_9
; %bb.8:
	v_mov_b32_e32 v1, s3
	v_add_co_u32_e32 v4, vcc, s2, v36
	v_addc_co_u32_e32 v5, vcc, 0, v1, vcc
	flat_load_dwordx2 v[8:9], v[4:5] offset:2048
.LBB6_9:
	;; [unrolled: 11-line block ×3, first 2 shown]
	s_or_b64 exec, exec, s[0:1]
	v_or_b32_e32 v1, 0x200, v0
	v_cmp_gt_u32_e32 vcc, s24, v1
	s_and_saveexec_b64 s[0:1], vcc
	s_cbranch_execz .LBB6_13
; %bb.12:
	v_lshlrev_b32_e32 v1, 3, v1
	v_mov_b32_e32 v5, s3
	v_add_co_u32_e32 v4, vcc, s2, v1
	v_addc_co_u32_e32 v5, vcc, 0, v5, vcc
	flat_load_dwordx2 v[12:13], v[4:5]
.LBB6_13:
	s_or_b64 exec, exec, s[0:1]
	v_or_b32_e32 v1, 0x280, v0
	v_cmp_gt_u32_e32 vcc, s24, v1
	s_and_saveexec_b64 s[0:1], vcc
	s_cbranch_execz .LBB6_15
; %bb.14:
	v_lshlrev_b32_e32 v1, 3, v1
	v_mov_b32_e32 v5, s3
	v_add_co_u32_e32 v4, vcc, s2, v1
	v_addc_co_u32_e32 v5, vcc, 0, v5, vcc
	flat_load_dwordx2 v[14:15], v[4:5]
.LBB6_15:
	;; [unrolled: 12-line block ×3, first 2 shown]
	s_or_b64 exec, exec, s[0:1]
	s_waitcnt vmcnt(0) lgkmcnt(0)
	ds_write2st64_b64 v36, v[2:3], v[6:7] offset1:2
	ds_write2st64_b64 v36, v[8:9], v[10:11] offset0:4 offset1:6
	ds_write2st64_b64 v36, v[12:13], v[14:15] offset0:8 offset1:10
	ds_write_b64 v36, v[16:17] offset:6144
	s_waitcnt lgkmcnt(0)
	s_barrier
.LBB6_18:
	v_mul_u32_u24_e32 v37, 7, v0
	v_lshlrev_b32_e32 v1, 3, v37
	s_waitcnt lgkmcnt(0)
	ds_read2_b64 v[2:5], v1 offset1:1
	ds_read2_b64 v[10:13], v1 offset0:2 offset1:3
	ds_read2_b64 v[6:9], v1 offset0:4 offset1:5
	ds_read_b64 v[28:29], v1 offset:48
	s_cmp_lg_u32 s6, 0
	v_lshrrev_b32_e32 v38, 5, v0
	v_cmp_gt_u32_e32 vcc, 64, v0
	s_waitcnt lgkmcnt(0)
	s_barrier
	s_cbranch_scc0 .LBB6_45
; %bb.19:
	v_add_co_u32_e64 v1, s[0:1], v4, v2
	v_addc_co_u32_e64 v14, s[0:1], v5, v3, s[0:1]
	v_add_co_u32_e64 v1, s[0:1], v1, v10
	v_addc_co_u32_e64 v14, s[0:1], v14, v11, s[0:1]
	v_add_co_u32_e64 v1, s[0:1], v1, v12
	v_addc_co_u32_e64 v14, s[0:1], v14, v13, s[0:1]
	v_add_co_u32_e64 v1, s[0:1], v1, v6
	v_addc_co_u32_e64 v14, s[0:1], v14, v7, s[0:1]
	v_add_co_u32_e64 v1, s[0:1], v1, v8
	v_addc_co_u32_e64 v14, s[0:1], v14, v9, s[0:1]
	v_add_co_u32_e64 v18, s[0:1], v1, v28
	v_addc_co_u32_e64 v19, s[0:1], v14, v29, s[0:1]
	v_add_lshl_u32 v1, v38, v0, 3
	ds_write_b64 v1, v[18:19]
	s_waitcnt lgkmcnt(0)
	s_barrier
	s_and_saveexec_b64 s[8:9], vcc
	s_cbranch_execz .LBB6_23
; %bb.20:
	v_lshlrev_b32_e32 v1, 1, v0
	v_lshrrev_b32_e32 v14, 4, v0
	v_add_lshl_u32 v20, v14, v1, 3
	ds_read2_b64 v[14:17], v20 offset1:1
	v_mbcnt_lo_u32_b32 v1, -1, 0
	s_waitcnt lgkmcnt(0)
	v_add_co_u32_e64 v21, s[0:1], v16, v14
	v_addc_co_u32_e64 v22, s[0:1], v17, v15, s[0:1]
	s_nop 0
	v_mov_b32_dpp v16, v21 row_shr:1 row_mask:0xf bank_mask:0xf
	v_add_co_u32_e64 v16, s[0:1], v21, v16
	v_addc_co_u32_e64 v24, s[0:1], 0, v22, s[0:1]
	v_mbcnt_hi_u32_b32 v17, -1, v1
	v_mov_b32_dpp v23, v22 row_shr:1 row_mask:0xf bank_mask:0xf
	v_add_co_u32_e64 v25, s[0:1], 0, v16
	v_and_b32_e32 v1, 15, v17
	v_addc_co_u32_e64 v23, s[0:1], v23, v24, s[0:1]
	v_cmp_eq_u32_e64 s[0:1], 0, v1
	v_cndmask_b32_e64 v16, v16, v21, s[0:1]
	v_cndmask_b32_e64 v23, v23, v22, s[0:1]
	v_cndmask_b32_e64 v24, v25, v21, s[0:1]
	v_mov_b32_dpp v25, v16 row_shr:2 row_mask:0xf bank_mask:0xf
	v_mov_b32_dpp v26, v23 row_shr:2 row_mask:0xf bank_mask:0xf
	v_add_co_u32_e64 v25, s[0:1], v25, v24
	v_addc_co_u32_e64 v26, s[0:1], v26, v23, s[0:1]
	v_cmp_lt_u32_e64 s[0:1], 1, v1
	v_cndmask_b32_e64 v16, v16, v25, s[0:1]
	v_cndmask_b32_e64 v23, v23, v26, s[0:1]
	v_cndmask_b32_e64 v24, v24, v25, s[0:1]
	v_mov_b32_dpp v25, v16 row_shr:4 row_mask:0xf bank_mask:0xf
	v_mov_b32_dpp v26, v23 row_shr:4 row_mask:0xf bank_mask:0xf
	v_add_co_u32_e64 v25, s[0:1], v25, v24
	v_addc_co_u32_e64 v26, s[0:1], v26, v23, s[0:1]
	v_cmp_lt_u32_e64 s[0:1], 3, v1
	;; [unrolled: 8-line block ×3, first 2 shown]
	v_cndmask_b32_e64 v27, v16, v25, s[0:1]
	v_cndmask_b32_e64 v1, v23, v26, s[0:1]
	v_cndmask_b32_e64 v16, v24, v25, s[0:1]
	v_mov_b32_dpp v23, v27 row_bcast:15 row_mask:0xf bank_mask:0xf
	v_mov_b32_dpp v24, v1 row_bcast:15 row_mask:0xf bank_mask:0xf
	v_add_co_u32_e64 v23, s[0:1], v23, v16
	v_and_b32_e32 v26, 16, v17
	v_addc_co_u32_e64 v25, s[0:1], v24, v1, s[0:1]
	v_cmp_eq_u32_e64 s[0:1], 0, v26
	v_cndmask_b32_e64 v26, v25, v1, s[0:1]
	v_cndmask_b32_e64 v24, v23, v27, s[0:1]
	v_cmp_ne_u32_e64 s[2:3], 0, v17
	v_mov_b32_dpp v26, v26 row_bcast:31 row_mask:0xf bank_mask:0xf
	v_mov_b32_dpp v24, v24 row_bcast:31 row_mask:0xf bank_mask:0xf
	s_and_saveexec_b64 s[10:11], s[2:3]
; %bb.21:
	v_cndmask_b32_e64 v1, v25, v1, s[0:1]
	v_cndmask_b32_e64 v16, v23, v16, s[0:1]
	v_cmp_lt_u32_e64 s[0:1], 31, v17
	v_cndmask_b32_e64 v21, 0, v24, s[0:1]
	v_cndmask_b32_e64 v22, 0, v26, s[0:1]
	v_add_co_u32_e64 v21, s[0:1], v21, v16
	v_addc_co_u32_e64 v22, s[0:1], v22, v1, s[0:1]
; %bb.22:
	s_or_b64 exec, exec, s[10:11]
	v_add_u32_e32 v1, -1, v17
	v_and_b32_e32 v16, 64, v17
	v_cmp_lt_i32_e64 s[0:1], v1, v16
	v_cndmask_b32_e64 v1, v1, v17, s[0:1]
	v_lshlrev_b32_e32 v1, 2, v1
	ds_bpermute_b32 v16, v1, v21
	ds_bpermute_b32 v1, v1, v22
	; wave barrier
	s_waitcnt lgkmcnt(1)
	v_add_co_u32_e64 v14, s[0:1], v14, v16
	v_addc_co_u32_e64 v15, s[0:1], 0, v15, s[0:1]
	v_add_co_u32_e64 v14, s[0:1], 0, v14
	s_waitcnt lgkmcnt(0)
	v_addc_co_u32_e64 v1, s[0:1], v15, v1, s[0:1]
	v_cmp_eq_u32_e64 s[0:1], 0, v0
	v_cndmask_b32_e64 v15, v1, v19, s[0:1]
	v_cndmask_b32_e64 v14, v14, v18, s[0:1]
	ds_write_b64 v20, v[14:15]
	; wave barrier
	ds_read_b64 v[16:17], v20 offset:8
	s_waitcnt lgkmcnt(0)
	v_add_co_u32_e64 v14, s[0:1], v16, v14
	v_addc_co_u32_e64 v15, s[0:1], v17, v15, s[0:1]
	ds_write_b64 v20, v[14:15] offset:8
.LBB6_23:
	s_or_b64 exec, exec, s[8:9]
	v_cmp_eq_u32_e64 s[0:1], 0, v0
	v_cmp_ne_u32_e64 s[2:3], 0, v0
	v_pk_mov_b32 v[22:23], 0, 0
	s_waitcnt lgkmcnt(0)
	s_barrier
	s_and_saveexec_b64 s[8:9], s[2:3]
	s_cbranch_execz .LBB6_25
; %bb.24:
	v_add_u32_e32 v1, -1, v0
	v_lshrrev_b32_e32 v14, 5, v1
	v_add_lshl_u32 v1, v14, v1, 3
	ds_read_b64 v[22:23], v1
.LBB6_25:
	s_or_b64 exec, exec, s[8:9]
	s_and_saveexec_b64 s[22:23], vcc
	s_cbranch_execz .LBB6_44
; %bb.26:
	v_mov_b32_e32 v17, 0
	ds_read_b64 v[14:15], v17 offset:1040
	v_mbcnt_lo_u32_b32 v1, -1, 0
	v_mbcnt_hi_u32_b32 v30, -1, v1
	s_mov_b32 s11, 0
	v_cmp_eq_u32_e64 s[2:3], 0, v30
	s_and_saveexec_b64 s[8:9], s[2:3]
	s_cbranch_execz .LBB6_28
; %bb.27:
	s_add_i32 s10, s6, 64
	s_lshl_b64 s[10:11], s[10:11], 4
	s_add_u32 s10, s20, s10
	s_addc_u32 s11, s21, s11
	v_mov_b32_e32 v16, 1
	v_pk_mov_b32 v[18:19], s[10:11], s[10:11] op_sel:[0,1]
	s_waitcnt lgkmcnt(0)
	;;#ASMSTART
	global_store_dwordx4 v[18:19], v[14:17] off	
s_waitcnt vmcnt(0)
	;;#ASMEND
.LBB6_28:
	s_or_b64 exec, exec, s[8:9]
	v_xad_u32 v24, v30, -1, s6
	v_add_u32_e32 v16, 64, v24
	v_lshlrev_b64 v[18:19], 4, v[16:17]
	v_mov_b32_e32 v1, s21
	v_add_co_u32_e32 v26, vcc, s20, v18
	v_addc_co_u32_e32 v27, vcc, v1, v19, vcc
	;;#ASMSTART
	global_load_dwordx4 v[18:21], v[26:27] off glc	
s_waitcnt vmcnt(0)
	;;#ASMEND
	v_and_b32_e32 v1, 0xff, v19
	v_and_b32_e32 v16, 0xff00, v19
	v_or3_b32 v1, 0, v1, v16
	v_or3_b32 v16, v18, 0, 0
	v_and_b32_e32 v18, 0xff000000, v19
	v_and_b32_e32 v19, 0xff0000, v19
	v_or3_b32 v19, v1, v19, v18
	v_or3_b32 v18, v16, 0, 0
	v_cmp_eq_u16_sdwa s[10:11], v20, v17 src0_sel:BYTE_0 src1_sel:DWORD
	s_and_saveexec_b64 s[8:9], s[10:11]
	s_cbranch_execz .LBB6_32
; %bb.29:
	s_mov_b64 s[10:11], 0
	v_mov_b32_e32 v1, 0
.LBB6_30:                               ; =>This Inner Loop Header: Depth=1
	;;#ASMSTART
	global_load_dwordx4 v[18:21], v[26:27] off glc	
s_waitcnt vmcnt(0)
	;;#ASMEND
	v_cmp_ne_u16_sdwa s[26:27], v20, v1 src0_sel:BYTE_0 src1_sel:DWORD
	s_or_b64 s[10:11], s[26:27], s[10:11]
	s_andn2_b64 exec, exec, s[10:11]
	s_cbranch_execnz .LBB6_30
; %bb.31:
	s_or_b64 exec, exec, s[10:11]
.LBB6_32:
	s_or_b64 exec, exec, s[8:9]
	v_and_b32_e32 v32, 63, v30
	v_cmp_ne_u32_e32 vcc, 63, v32
	v_addc_co_u32_e32 v26, vcc, 0, v30, vcc
	v_lshlrev_b32_e32 v33, 2, v26
	ds_bpermute_b32 v26, v33, v18
	v_mov_b32_e32 v1, 2
	v_cmp_eq_u16_sdwa s[8:9], v20, v1 src0_sel:BYTE_0 src1_sel:DWORD
	v_lshlrev_b64 v[16:17], v30, -1
	ds_bpermute_b32 v27, v33, v19
	v_and_b32_e32 v21, s9, v17
	v_or_b32_e32 v21, 0x80000000, v21
	s_waitcnt lgkmcnt(1)
	v_add_co_u32_e32 v26, vcc, v18, v26
	v_and_b32_e32 v25, s8, v16
	v_ffbl_b32_e32 v21, v21
	v_addc_co_u32_e32 v31, vcc, 0, v19, vcc
	v_add_u32_e32 v21, 32, v21
	v_ffbl_b32_e32 v25, v25
	v_add_co_u32_e32 v35, vcc, 0, v26
	v_cmp_gt_u32_e64 s[8:9], 62, v32
	v_min_u32_e32 v21, v25, v21
	s_waitcnt lgkmcnt(0)
	v_addc_co_u32_e32 v27, vcc, v27, v31, vcc
	v_cndmask_b32_e64 v31, 0, 1, s[8:9]
	v_cmp_lt_u32_e32 vcc, v32, v21
	v_lshlrev_b32_e32 v31, 1, v31
	v_cndmask_b32_e32 v26, v18, v26, vcc
	v_add_lshl_u32 v34, v31, v30, 2
	v_cndmask_b32_e32 v27, v19, v27, vcc
	ds_bpermute_b32 v31, v34, v26
	ds_bpermute_b32 v39, v34, v27
	v_cndmask_b32_e32 v40, v18, v35, vcc
	v_add_u32_e32 v35, 2, v32
	v_cmp_gt_u32_e64 s[10:11], 60, v32
	s_waitcnt lgkmcnt(1)
	v_add_co_u32_e64 v31, s[8:9], v31, v40
	s_waitcnt lgkmcnt(0)
	v_addc_co_u32_e64 v39, s[8:9], v39, v27, s[8:9]
	v_cmp_gt_u32_e64 s[8:9], v35, v21
	v_cndmask_b32_e64 v27, v39, v27, s[8:9]
	v_cndmask_b32_e64 v39, 0, 1, s[10:11]
	v_lshlrev_b32_e32 v39, 2, v39
	v_cndmask_b32_e64 v26, v31, v26, s[8:9]
	v_add_lshl_u32 v39, v39, v30, 2
	ds_bpermute_b32 v41, v39, v26
	ds_bpermute_b32 v42, v39, v27
	v_cndmask_b32_e64 v31, v31, v40, s[8:9]
	v_add_u32_e32 v40, 4, v32
	v_cmp_gt_u32_e64 s[10:11], 56, v32
	s_waitcnt lgkmcnt(1)
	v_add_co_u32_e64 v43, s[8:9], v41, v31
	s_waitcnt lgkmcnt(0)
	v_addc_co_u32_e64 v41, s[8:9], v42, v27, s[8:9]
	v_cmp_gt_u32_e64 s[8:9], v40, v21
	v_cndmask_b32_e64 v27, v41, v27, s[8:9]
	v_cndmask_b32_e64 v41, 0, 1, s[10:11]
	v_lshlrev_b32_e32 v41, 3, v41
	v_cndmask_b32_e64 v26, v43, v26, s[8:9]
	v_add_lshl_u32 v41, v41, v30, 2
	ds_bpermute_b32 v44, v41, v26
	v_cndmask_b32_e64 v31, v43, v31, s[8:9]
	ds_bpermute_b32 v43, v41, v27
	v_add_u32_e32 v42, 8, v32
	v_cmp_gt_u32_e64 s[10:11], 48, v32
	s_waitcnt lgkmcnt(1)
	v_add_co_u32_e64 v44, s[8:9], v44, v31
	s_waitcnt lgkmcnt(0)
	v_addc_co_u32_e64 v43, s[8:9], v43, v27, s[8:9]
	v_cmp_gt_u32_e64 s[8:9], v42, v21
	v_cndmask_b32_e64 v27, v43, v27, s[8:9]
	v_cndmask_b32_e64 v43, 0, 1, s[10:11]
	v_lshlrev_b32_e32 v43, 4, v43
	v_cndmask_b32_e64 v26, v44, v26, s[8:9]
	v_add_lshl_u32 v43, v43, v30, 2
	ds_bpermute_b32 v45, v43, v26
	ds_bpermute_b32 v46, v43, v27
	v_cndmask_b32_e64 v31, v44, v31, s[8:9]
	v_cmp_gt_u32_e64 s[10:11], 32, v32
	v_add_u32_e32 v44, 16, v32
	s_waitcnt lgkmcnt(1)
	v_add_co_u32_e64 v47, s[8:9], v45, v31
	s_waitcnt lgkmcnt(0)
	v_addc_co_u32_e64 v46, s[8:9], v46, v27, s[8:9]
	v_cndmask_b32_e64 v45, 0, 1, s[10:11]
	v_cmp_gt_u32_e64 s[8:9], v44, v21
	v_lshlrev_b32_e32 v45, 5, v45
	v_cndmask_b32_e64 v26, v47, v26, s[8:9]
	v_add_lshl_u32 v45, v45, v30, 2
	v_cndmask_b32_e64 v27, v46, v27, s[8:9]
	ds_bpermute_b32 v26, v45, v26
	ds_bpermute_b32 v30, v45, v27
	v_add_u32_e32 v46, 32, v32
	v_cndmask_b32_e64 v31, v47, v31, s[8:9]
	v_cmp_le_u32_e64 s[8:9], v46, v21
	s_waitcnt lgkmcnt(1)
	v_cndmask_b32_e64 v26, 0, v26, s[8:9]
	s_waitcnt lgkmcnt(0)
	v_cndmask_b32_e64 v21, 0, v30, s[8:9]
	v_add_co_u32_e64 v26, s[8:9], v26, v31
	v_addc_co_u32_e64 v21, s[8:9], v21, v27, s[8:9]
	v_mov_b32_e32 v25, 0
	v_cndmask_b32_e32 v19, v19, v21, vcc
	v_cndmask_b32_e32 v18, v18, v26, vcc
	s_branch .LBB6_34
.LBB6_33:                               ;   in Loop: Header=BB6_34 Depth=1
	s_or_b64 exec, exec, s[8:9]
	v_cmp_eq_u16_sdwa s[8:9], v20, v1 src0_sel:BYTE_0 src1_sel:DWORD
	v_and_b32_e32 v21, s9, v17
	v_or_b32_e32 v21, 0x80000000, v21
	ds_bpermute_b32 v31, v33, v18
	v_and_b32_e32 v30, s8, v16
	v_ffbl_b32_e32 v21, v21
	v_add_u32_e32 v21, 32, v21
	v_ffbl_b32_e32 v30, v30
	v_min_u32_e32 v21, v30, v21
	ds_bpermute_b32 v30, v33, v19
	s_waitcnt lgkmcnt(1)
	v_add_co_u32_e32 v31, vcc, v18, v31
	v_addc_co_u32_e32 v47, vcc, 0, v19, vcc
	v_add_co_u32_e32 v48, vcc, 0, v31
	s_waitcnt lgkmcnt(0)
	v_addc_co_u32_e32 v30, vcc, v30, v47, vcc
	v_cmp_lt_u32_e32 vcc, v32, v21
	v_cndmask_b32_e32 v31, v18, v31, vcc
	ds_bpermute_b32 v47, v34, v31
	v_cndmask_b32_e32 v30, v19, v30, vcc
	ds_bpermute_b32 v49, v34, v30
	v_cndmask_b32_e32 v48, v18, v48, vcc
	v_subrev_u32_e32 v24, 64, v24
	s_waitcnt lgkmcnt(1)
	v_add_co_u32_e64 v47, s[8:9], v47, v48
	s_waitcnt lgkmcnt(0)
	v_addc_co_u32_e64 v49, s[8:9], v49, v30, s[8:9]
	v_cmp_gt_u32_e64 s[8:9], v35, v21
	v_cndmask_b32_e64 v31, v47, v31, s[8:9]
	ds_bpermute_b32 v50, v39, v31
	v_cndmask_b32_e64 v30, v49, v30, s[8:9]
	ds_bpermute_b32 v49, v39, v30
	v_cndmask_b32_e64 v47, v47, v48, s[8:9]
	s_waitcnt lgkmcnt(1)
	v_add_co_u32_e64 v48, s[8:9], v50, v47
	s_waitcnt lgkmcnt(0)
	v_addc_co_u32_e64 v49, s[8:9], v49, v30, s[8:9]
	v_cmp_gt_u32_e64 s[8:9], v40, v21
	v_cndmask_b32_e64 v31, v48, v31, s[8:9]
	ds_bpermute_b32 v50, v41, v31
	v_cndmask_b32_e64 v30, v49, v30, s[8:9]
	ds_bpermute_b32 v49, v41, v30
	v_cndmask_b32_e64 v47, v48, v47, s[8:9]
	;; [unrolled: 10-line block ×3, first 2 shown]
	s_waitcnt lgkmcnt(1)
	v_add_co_u32_e64 v48, s[8:9], v50, v47
	s_waitcnt lgkmcnt(0)
	v_addc_co_u32_e64 v49, s[8:9], v49, v30, s[8:9]
	v_cmp_gt_u32_e64 s[8:9], v44, v21
	v_cndmask_b32_e64 v31, v48, v31, s[8:9]
	v_cndmask_b32_e64 v30, v49, v30, s[8:9]
	ds_bpermute_b32 v31, v45, v31
	ds_bpermute_b32 v49, v45, v30
	v_cndmask_b32_e64 v47, v48, v47, s[8:9]
	v_cmp_le_u32_e64 s[8:9], v46, v21
	s_waitcnt lgkmcnt(1)
	v_cndmask_b32_e64 v31, 0, v31, s[8:9]
	s_waitcnt lgkmcnt(0)
	v_cndmask_b32_e64 v21, 0, v49, s[8:9]
	v_add_co_u32_e64 v31, s[8:9], v31, v47
	v_addc_co_u32_e64 v21, s[8:9], v21, v30, s[8:9]
	v_cndmask_b32_e32 v18, v18, v31, vcc
	v_cndmask_b32_e32 v19, v19, v21, vcc
	v_add_co_u32_e32 v18, vcc, v18, v26
	v_addc_co_u32_e32 v19, vcc, v19, v27, vcc
.LBB6_34:                               ; =>This Loop Header: Depth=1
                                        ;     Child Loop BB6_37 Depth 2
	v_cmp_ne_u16_sdwa s[8:9], v20, v1 src0_sel:BYTE_0 src1_sel:DWORD
	v_cndmask_b32_e64 v20, 0, 1, s[8:9]
	;;#ASMSTART
	;;#ASMEND
	v_cmp_ne_u32_e32 vcc, 0, v20
	s_cmp_lg_u64 vcc, exec
	v_pk_mov_b32 v[26:27], v[18:19], v[18:19] op_sel:[0,1]
	s_cbranch_scc1 .LBB6_39
; %bb.35:                               ;   in Loop: Header=BB6_34 Depth=1
	v_lshlrev_b64 v[18:19], 4, v[24:25]
	v_mov_b32_e32 v20, s21
	v_add_co_u32_e32 v30, vcc, s20, v18
	v_addc_co_u32_e32 v31, vcc, v20, v19, vcc
	;;#ASMSTART
	global_load_dwordx4 v[18:21], v[30:31] off glc	
s_waitcnt vmcnt(0)
	;;#ASMEND
	v_and_b32_e32 v21, 0xff, v19
	v_and_b32_e32 v47, 0xff00, v19
	v_or3_b32 v21, 0, v21, v47
	v_or3_b32 v18, v18, 0, 0
	v_and_b32_e32 v47, 0xff000000, v19
	v_and_b32_e32 v19, 0xff0000, v19
	v_or3_b32 v19, v21, v19, v47
	v_or3_b32 v18, v18, 0, 0
	v_cmp_eq_u16_sdwa s[10:11], v20, v25 src0_sel:BYTE_0 src1_sel:DWORD
	s_and_saveexec_b64 s[8:9], s[10:11]
	s_cbranch_execz .LBB6_33
; %bb.36:                               ;   in Loop: Header=BB6_34 Depth=1
	s_mov_b64 s[10:11], 0
.LBB6_37:                               ;   Parent Loop BB6_34 Depth=1
                                        ; =>  This Inner Loop Header: Depth=2
	;;#ASMSTART
	global_load_dwordx4 v[18:21], v[30:31] off glc	
s_waitcnt vmcnt(0)
	;;#ASMEND
	v_cmp_ne_u16_sdwa s[26:27], v20, v25 src0_sel:BYTE_0 src1_sel:DWORD
	s_or_b64 s[10:11], s[26:27], s[10:11]
	s_andn2_b64 exec, exec, s[10:11]
	s_cbranch_execnz .LBB6_37
; %bb.38:                               ;   in Loop: Header=BB6_34 Depth=1
	s_or_b64 exec, exec, s[10:11]
	s_branch .LBB6_33
.LBB6_39:                               ;   in Loop: Header=BB6_34 Depth=1
                                        ; implicit-def: $vgpr18_vgpr19
                                        ; implicit-def: $vgpr20
	s_cbranch_execz .LBB6_34
; %bb.40:
	s_and_saveexec_b64 s[8:9], s[2:3]
	s_cbranch_execz .LBB6_42
; %bb.41:
	s_add_i32 s2, s6, 64
	s_mov_b32 s3, 0
	s_lshl_b64 s[2:3], s[2:3], 4
	s_add_u32 s2, s20, s2
	v_add_co_u32_e32 v14, vcc, v26, v14
	s_addc_u32 s3, s21, s3
	v_addc_co_u32_e32 v15, vcc, v27, v15, vcc
	v_mov_b32_e32 v16, 2
	v_mov_b32_e32 v17, 0
	v_pk_mov_b32 v[18:19], s[2:3], s[2:3] op_sel:[0,1]
	;;#ASMSTART
	global_store_dwordx4 v[18:19], v[14:17] off	
s_waitcnt vmcnt(0)
	;;#ASMEND
.LBB6_42:
	s_or_b64 exec, exec, s[8:9]
	s_and_b64 exec, exec, s[0:1]
	s_cbranch_execz .LBB6_44
; %bb.43:
	v_mov_b32_e32 v1, 0
	ds_write_b64 v1, v[26:27]
.LBB6_44:
	s_or_b64 exec, exec, s[22:23]
	v_mov_b32_e32 v1, 0
	s_waitcnt lgkmcnt(0)
	s_barrier
	ds_read_b64 v[14:15], v1
	v_add_co_u32_e32 v1, vcc, v22, v2
	v_addc_co_u32_e32 v16, vcc, v23, v3, vcc
	s_waitcnt lgkmcnt(0)
	v_add_co_u32_e32 v24, vcc, v1, v14
	v_addc_co_u32_e32 v25, vcc, v16, v15, vcc
	v_add_co_u32_e32 v30, vcc, v24, v4
	v_addc_co_u32_e32 v31, vcc, v25, v5, vcc
	;; [unrolled: 2-line block ×7, first 2 shown]
	s_load_dwordx8 s[4:11], s[4:5], 0x40
	s_branch .LBB6_59
.LBB6_45:
                                        ; implicit-def: $vgpr22_vgpr23
                                        ; implicit-def: $vgpr34_vgpr35
                                        ; implicit-def: $vgpr32_vgpr33
                                        ; implicit-def: $vgpr30_vgpr31
                                        ; implicit-def: $vgpr18_vgpr19_vgpr20_vgpr21
                                        ; implicit-def: $vgpr14_vgpr15_vgpr16_vgpr17
                                        ; implicit-def: $vgpr24_vgpr25_vgpr26_vgpr27
	s_load_dwordx8 s[4:11], s[4:5], 0x40
	s_cbranch_execz .LBB6_59
; %bb.46:
	s_waitcnt lgkmcnt(0)
	s_cmp_lg_u64 s[8:9], 0
	s_cselect_b64 s[2:3], -1, 0
	v_cmp_eq_u32_e64 s[0:1], 0, v0
	v_cmp_ne_u32_e32 vcc, 0, v0
	s_and_b64 s[2:3], s[0:1], s[2:3]
	s_and_saveexec_b64 s[8:9], s[2:3]
	s_cbranch_execz .LBB6_48
; %bb.47:
	v_mov_b32_e32 v1, 0
	global_load_dwordx2 v[14:15], v1, s[4:5]
	s_waitcnt vmcnt(0)
	v_add_co_u32_e64 v2, s[2:3], v14, v2
	v_addc_co_u32_e64 v3, s[2:3], v15, v3, s[2:3]
.LBB6_48:
	s_or_b64 exec, exec, s[8:9]
	v_add_co_u32_e64 v30, s[2:3], v4, v2
	v_addc_co_u32_e64 v31, s[2:3], v5, v3, s[2:3]
	v_add_co_u32_e64 v14, s[2:3], v30, v10
	v_addc_co_u32_e64 v15, s[2:3], v31, v11, s[2:3]
	;; [unrolled: 2-line block ×6, first 2 shown]
	v_add_lshl_u32 v1, v38, v0, 3
	v_cmp_gt_u32_e64 s[2:3], 64, v0
	ds_write_b64 v1, v[22:23]
	s_waitcnt lgkmcnt(0)
	s_barrier
	s_and_saveexec_b64 s[8:9], s[2:3]
	s_cbranch_execz .LBB6_52
; %bb.49:
	v_lshlrev_b32_e32 v1, 1, v0
	v_lshrrev_b32_e32 v16, 4, v0
	v_add_lshl_u32 v17, v16, v1, 3
	ds_read2_b64 v[24:27], v17 offset1:1
	v_mbcnt_lo_u32_b32 v1, -1, 0
	v_mbcnt_hi_u32_b32 v20, -1, v1
	v_and_b32_e32 v1, 15, v20
	v_cmp_ne_u32_e64 s[4:5], 0, v20
	s_waitcnt lgkmcnt(0)
	v_add_co_u32_e64 v21, s[2:3], v26, v24
	v_addc_co_u32_e64 v26, s[2:3], v27, v25, s[2:3]
	s_nop 0
	v_mov_b32_dpp v16, v21 row_shr:1 row_mask:0xf bank_mask:0xf
	v_add_co_u32_e64 v16, s[2:3], v21, v16
	v_addc_co_u32_e64 v38, s[2:3], 0, v26, s[2:3]
	v_mov_b32_dpp v27, v26 row_shr:1 row_mask:0xf bank_mask:0xf
	v_add_co_u32_e64 v39, s[2:3], 0, v16
	v_addc_co_u32_e64 v27, s[2:3], v27, v38, s[2:3]
	v_cmp_eq_u32_e64 s[2:3], 0, v1
	v_cndmask_b32_e64 v16, v16, v21, s[2:3]
	v_cndmask_b32_e64 v27, v27, v26, s[2:3]
	v_cndmask_b32_e64 v38, v39, v21, s[2:3]
	v_mov_b32_dpp v39, v16 row_shr:2 row_mask:0xf bank_mask:0xf
	v_mov_b32_dpp v40, v27 row_shr:2 row_mask:0xf bank_mask:0xf
	v_add_co_u32_e64 v39, s[2:3], v39, v38
	v_addc_co_u32_e64 v40, s[2:3], v40, v27, s[2:3]
	v_cmp_lt_u32_e64 s[2:3], 1, v1
	v_cndmask_b32_e64 v16, v16, v39, s[2:3]
	v_cndmask_b32_e64 v27, v27, v40, s[2:3]
	v_cndmask_b32_e64 v38, v38, v39, s[2:3]
	v_mov_b32_dpp v39, v16 row_shr:4 row_mask:0xf bank_mask:0xf
	v_mov_b32_dpp v40, v27 row_shr:4 row_mask:0xf bank_mask:0xf
	v_add_co_u32_e64 v39, s[2:3], v39, v38
	v_addc_co_u32_e64 v40, s[2:3], v40, v27, s[2:3]
	v_cmp_lt_u32_e64 s[2:3], 3, v1
	;; [unrolled: 8-line block ×3, first 2 shown]
	v_cndmask_b32_e64 v41, v16, v39, s[2:3]
	v_cndmask_b32_e64 v1, v27, v40, s[2:3]
	;; [unrolled: 1-line block ×3, first 2 shown]
	v_mov_b32_dpp v27, v41 row_bcast:15 row_mask:0xf bank_mask:0xf
	v_mov_b32_dpp v38, v1 row_bcast:15 row_mask:0xf bank_mask:0xf
	v_add_co_u32_e64 v27, s[2:3], v27, v16
	v_and_b32_e32 v40, 16, v20
	v_addc_co_u32_e64 v39, s[2:3], v38, v1, s[2:3]
	v_cmp_eq_u32_e64 s[2:3], 0, v40
	v_cndmask_b32_e64 v40, v39, v1, s[2:3]
	v_cndmask_b32_e64 v38, v27, v41, s[2:3]
	s_nop 0
	v_mov_b32_dpp v40, v40 row_bcast:31 row_mask:0xf bank_mask:0xf
	v_mov_b32_dpp v38, v38 row_bcast:31 row_mask:0xf bank_mask:0xf
	s_and_saveexec_b64 s[22:23], s[4:5]
; %bb.50:
	v_cndmask_b32_e64 v1, v39, v1, s[2:3]
	v_cndmask_b32_e64 v16, v27, v16, s[2:3]
	v_cmp_lt_u32_e64 s[2:3], 31, v20
	v_cndmask_b32_e64 v21, 0, v38, s[2:3]
	v_cndmask_b32_e64 v26, 0, v40, s[2:3]
	v_add_co_u32_e64 v21, s[2:3], v21, v16
	v_addc_co_u32_e64 v26, s[2:3], v26, v1, s[2:3]
; %bb.51:
	s_or_b64 exec, exec, s[22:23]
	v_add_u32_e32 v1, -1, v20
	v_and_b32_e32 v16, 64, v20
	v_cmp_lt_i32_e64 s[2:3], v1, v16
	v_cndmask_b32_e64 v1, v1, v20, s[2:3]
	v_lshlrev_b32_e32 v1, 2, v1
	ds_bpermute_b32 v16, v1, v21
	ds_bpermute_b32 v1, v1, v26
	; wave barrier
	s_waitcnt lgkmcnt(1)
	v_add_co_u32_e64 v16, s[2:3], v24, v16
	v_addc_co_u32_e64 v20, s[2:3], 0, v25, s[2:3]
	v_add_co_u32_e64 v16, s[2:3], 0, v16
	s_waitcnt lgkmcnt(0)
	v_addc_co_u32_e64 v1, s[2:3], v20, v1, s[2:3]
	v_cndmask_b32_e64 v21, v1, v23, s[0:1]
	v_cndmask_b32_e64 v20, v16, v22, s[0:1]
	ds_write_b64 v17, v[20:21]
	; wave barrier
	ds_read_b64 v[24:25], v17 offset:8
	s_waitcnt lgkmcnt(0)
	v_add_co_u32_e64 v20, s[0:1], v24, v20
	v_addc_co_u32_e64 v21, s[0:1], v25, v21, s[0:1]
	ds_write_b64 v17, v[20:21] offset:8
.LBB6_52:
	s_or_b64 exec, exec, s[8:9]
	v_pk_mov_b32 v[16:17], v[22:23], v[22:23] op_sel:[0,1]
	s_waitcnt lgkmcnt(0)
	s_barrier
	s_and_saveexec_b64 s[0:1], vcc
	s_cbranch_execz .LBB6_54
; %bb.53:
	v_add_u32_e32 v1, -1, v0
	v_lshrrev_b32_e32 v16, 5, v1
	v_add_lshl_u32 v1, v16, v1, 3
	ds_read_b64 v[16:17], v1
.LBB6_54:
	s_or_b64 exec, exec, s[0:1]
	s_and_saveexec_b64 s[0:1], vcc
	s_cbranch_execz .LBB6_56
; %bb.55:
	s_waitcnt lgkmcnt(0)
	v_add_co_u32_e32 v2, vcc, v16, v2
	v_addc_co_u32_e32 v3, vcc, v17, v3, vcc
	v_add_co_u32_e32 v30, vcc, v2, v4
	v_addc_co_u32_e32 v31, vcc, v3, v5, vcc
	;; [unrolled: 2-line block ×7, first 2 shown]
	;;#ASMSTART
	;;#ASMEND
.LBB6_56:
	s_or_b64 exec, exec, s[0:1]
	s_movk_i32 s0, 0x7f
	v_cmp_eq_u32_e32 vcc, s0, v0
	s_and_saveexec_b64 s[0:1], vcc
	s_cbranch_execz .LBB6_58
; %bb.57:
	s_add_u32 s2, s20, 0x400
	s_addc_u32 s3, s21, 0
	v_mov_b32_e32 v24, 2
	v_mov_b32_e32 v25, 0
	v_pk_mov_b32 v[4:5], s[2:3], s[2:3] op_sel:[0,1]
	;;#ASMSTART
	global_store_dwordx4 v[4:5], v[22:25] off	
s_waitcnt vmcnt(0)
	;;#ASMEND
.LBB6_58:
	s_or_b64 exec, exec, s[0:1]
	v_pk_mov_b32 v[24:25], v[2:3], v[2:3] op_sel:[0,1]
.LBB6_59:
	s_add_u32 s0, s12, s16
	s_addc_u32 s1, s13, s17
	s_add_u32 s2, s0, s18
	s_addc_u32 s3, s1, s19
	s_mov_b64 s[0:1], -1
	s_and_b64 vcc, exec, s[14:15]
	v_mul_u32_u24_e32 v1, 56, v0
	s_waitcnt lgkmcnt(0)
	s_barrier
	s_cbranch_vccz .LBB6_61
; %bb.60:
	v_mul_i32_i24_e32 v2, 0xffffffd0, v0
	v_mad_u32_u24 v16, v0, 56, v2
	ds_write2_b64 v1, v[24:25], v[30:31] offset1:1
	ds_write2_b64 v1, v[14:15], v[32:33] offset0:2 offset1:3
	ds_write2_b64 v1, v[18:19], v[34:35] offset0:4 offset1:5
	ds_write_b64 v1, v[22:23] offset:48
	s_waitcnt lgkmcnt(0)
	s_barrier
	ds_read2st64_b64 v[2:5], v16 offset1:2
	ds_read2st64_b64 v[6:9], v16 offset0:4 offset1:6
	ds_read2st64_b64 v[10:13], v16 offset0:8 offset1:10
	ds_read_b64 v[16:17], v16 offset:6144
	v_mov_b32_e32 v21, s3
	v_add_co_u32_e32 v20, vcc, s2, v36
	v_addc_co_u32_e32 v21, vcc, 0, v21, vcc
	s_waitcnt lgkmcnt(3)
	flat_store_dwordx2 v[20:21], v[2:3]
	flat_store_dwordx2 v[20:21], v[4:5] offset:1024
	s_waitcnt lgkmcnt(0)
	flat_store_dwordx2 v[20:21], v[6:7] offset:2048
	flat_store_dwordx2 v[20:21], v[8:9] offset:3072
	v_add_co_u32_e32 v2, vcc, 0x1000, v20
	v_addc_co_u32_e32 v3, vcc, 0, v21, vcc
	flat_store_dwordx2 v[2:3], v[10:11]
	flat_store_dwordx2 v[2:3], v[12:13] offset:1024
	flat_store_dwordx2 v[2:3], v[16:17] offset:2048
	s_mov_b64 s[0:1], 0
.LBB6_61:
	s_andn2_b64 vcc, exec, s[0:1]
	s_cbranch_vccnz .LBB6_100
; %bb.62:
	v_mul_i32_i24_e32 v2, 0xffffffd0, v0
	ds_write2_b64 v1, v[24:25], v[30:31] offset1:1
	ds_write2_b64 v1, v[14:15], v[32:33] offset0:2 offset1:3
	ds_write2_b64 v1, v[18:19], v[34:35] offset0:4 offset1:5
	ds_write_b64 v1, v[22:23] offset:48
	v_mad_u32_u24 v14, v0, 56, v2
	s_waitcnt lgkmcnt(0)
	s_barrier
	ds_read2st64_b64 v[2:5], v14 offset1:2
	ds_read2st64_b64 v[6:9], v14 offset0:4 offset1:6
	ds_read2st64_b64 v[10:13], v14 offset0:8 offset1:10
	ds_read_b64 v[14:15], v14 offset:6144
	v_mov_b32_e32 v17, s3
	v_add_co_u32_e32 v16, vcc, s2, v36
	v_addc_co_u32_e32 v17, vcc, 0, v17, vcc
	v_mov_b32_e32 v1, 0
	v_cmp_gt_u32_e32 vcc, s24, v0
	s_and_saveexec_b64 s[0:1], vcc
	s_cbranch_execz .LBB6_64
; %bb.63:
	s_waitcnt lgkmcnt(0)
	flat_store_dwordx2 v[16:17], v[2:3]
.LBB6_64:
	s_or_b64 exec, exec, s[0:1]
	v_or_b32_e32 v18, 0x80, v0
	v_cmp_gt_u32_e32 vcc, s24, v18
	s_and_saveexec_b64 s[0:1], vcc
	s_cbranch_execz .LBB6_66
; %bb.65:
	s_waitcnt lgkmcnt(0)
	flat_store_dwordx2 v[16:17], v[4:5] offset:1024
.LBB6_66:
	s_or_b64 exec, exec, s[0:1]
	v_or_b32_e32 v18, 0x100, v0
	v_cmp_gt_u32_e32 vcc, s24, v18
	s_and_saveexec_b64 s[0:1], vcc
	s_cbranch_execz .LBB6_68
; %bb.67:
	s_waitcnt lgkmcnt(0)
	flat_store_dwordx2 v[16:17], v[6:7] offset:2048
.LBB6_68:
	;; [unrolled: 9-line block ×3, first 2 shown]
	s_or_b64 exec, exec, s[0:1]
	v_or_b32_e32 v18, 0x200, v0
	v_cmp_gt_u32_e32 vcc, s24, v18
	s_and_saveexec_b64 s[0:1], vcc
	s_cbranch_execz .LBB6_72
; %bb.71:
	v_add_co_u32_e32 v18, vcc, 0x1000, v16
	v_addc_co_u32_e32 v19, vcc, 0, v17, vcc
	s_waitcnt lgkmcnt(0)
	flat_store_dwordx2 v[18:19], v[10:11]
.LBB6_72:
	s_or_b64 exec, exec, s[0:1]
	v_or_b32_e32 v18, 0x280, v0
	v_cmp_gt_u32_e32 vcc, s24, v18
	s_and_saveexec_b64 s[0:1], vcc
	s_cbranch_execz .LBB6_74
; %bb.73:
	v_add_co_u32_e32 v18, vcc, 0x1000, v16
	v_addc_co_u32_e32 v19, vcc, 0, v17, vcc
	s_waitcnt lgkmcnt(0)
	flat_store_dwordx2 v[18:19], v[12:13] offset:1024
.LBB6_74:
	s_or_b64 exec, exec, s[0:1]
	v_or_b32_e32 v18, 0x300, v0
	v_cmp_gt_u32_e32 vcc, s24, v18
	s_and_saveexec_b64 s[0:1], vcc
	s_cbranch_execz .LBB6_76
; %bb.75:
	v_add_co_u32_e32 v16, vcc, 0x1000, v16
	v_addc_co_u32_e32 v17, vcc, 0, v17, vcc
	s_waitcnt lgkmcnt(0)
	flat_store_dwordx2 v[16:17], v[14:15] offset:2048
.LBB6_76:
	s_or_b64 exec, exec, s[0:1]
	v_cmp_lt_u64_e64 s[0:1], s[10:11], 2
	s_and_b64 vcc, exec, s[0:1]
	s_cbranch_vccnz .LBB6_100
; %bb.77:
	s_add_u32 s0, s24, -1
	s_addc_u32 s1, s25, -1
	s_add_u32 s2, 0, 0x92481000
	s_addc_u32 s3, 0, 0x64
	s_add_i32 s3, s3, 0x249248c0
	s_mul_hi_u32 s9, s2, -7
	s_sub_i32 s9, s9, s2
	s_mul_i32 s10, s3, -7
	s_mul_i32 s4, s2, -7
	s_add_i32 s9, s9, s10
	s_mul_hi_u32 s5, s3, s4
	s_mul_i32 s8, s3, s4
	s_mul_i32 s11, s2, s9
	s_mul_hi_u32 s4, s2, s4
	s_mul_hi_u32 s10, s2, s9
	s_add_u32 s4, s4, s11
	s_addc_u32 s10, 0, s10
	s_add_u32 s4, s4, s8
	s_mul_hi_u32 s11, s3, s9
	s_addc_u32 s4, s10, s5
	s_addc_u32 s5, s11, 0
	s_mul_i32 s8, s3, s9
	s_add_u32 s4, s4, s8
	v_mov_b32_e32 v16, s4
	s_addc_u32 s5, 0, s5
	v_add_co_u32_e32 v16, vcc, s2, v16
	s_cmp_lg_u64 vcc, 0
	s_addc_u32 s2, s3, s5
	v_readfirstlane_b32 s5, v16
	s_mul_i32 s4, s0, s2
	s_mul_hi_u32 s8, s0, s5
	s_mul_hi_u32 s3, s0, s2
	s_add_u32 s4, s8, s4
	s_addc_u32 s3, 0, s3
	s_mul_hi_u32 s9, s1, s5
	s_mul_i32 s5, s1, s5
	s_add_u32 s4, s4, s5
	s_mul_hi_u32 s8, s1, s2
	s_addc_u32 s3, s3, s9
	s_addc_u32 s4, s8, 0
	s_mul_i32 s2, s1, s2
	s_add_u32 s2, s3, s2
	s_addc_u32 s3, 0, s4
	s_add_u32 s4, s2, 1
	s_addc_u32 s5, s3, 0
	s_add_u32 s8, s2, 2
	s_mul_i32 s10, s3, 7
	s_mul_hi_u32 s11, s2, 7
	s_addc_u32 s9, s3, 0
	s_add_i32 s11, s11, s10
	s_mul_i32 s10, s2, 7
	v_mov_b32_e32 v16, s10
	v_sub_co_u32_e32 v16, vcc, s0, v16
	s_cmp_lg_u64 vcc, 0
	s_subb_u32 s10, s1, s11
	v_subrev_co_u32_e32 v17, vcc, 7, v16
	s_cmp_lg_u64 vcc, 0
	s_subb_u32 s11, s10, 0
	v_readfirstlane_b32 s12, v17
	s_cmp_gt_u32 s12, 6
	s_cselect_b32 s12, -1, 0
	s_cmp_eq_u32 s11, 0
	s_cselect_b32 s11, s12, -1
	s_cmp_lg_u32 s11, 0
	s_cselect_b32 s4, s8, s4
	v_readfirstlane_b32 s8, v16
	s_cselect_b32 s5, s9, s5
	s_cmp_gt_u32 s8, 6
	s_cselect_b32 s8, -1, 0
	s_cmp_eq_u32 s10, 0
	s_cselect_b32 s8, s8, -1
	s_cmp_lg_u32 s8, 0
	s_cselect_b32 s3, s5, s3
	s_cselect_b32 s2, s4, s2
	v_cmp_eq_u64_e32 vcc, s[2:3], v[0:1]
	s_and_saveexec_b64 s[2:3], vcc
	s_cbranch_execz .LBB6_100
; %bb.78:
	v_mul_hi_u32_u24_e32 v1, 7, v0
	v_mov_b32_e32 v16, s1
	v_sub_co_u32_e32 v0, vcc, s0, v37
	v_subb_co_u32_e32 v1, vcc, v16, v1, vcc
	v_cmp_lt_i64_e32 vcc, 3, v[0:1]
	s_and_saveexec_b64 s[0:1], vcc
	s_xor_b64 s[0:1], exec, s[0:1]
	s_cbranch_execz .LBB6_88
; %bb.79:
	v_cmp_lt_i64_e32 vcc, 4, v[0:1]
	s_and_saveexec_b64 s[2:3], vcc
	s_xor_b64 s[2:3], exec, s[2:3]
	s_cbranch_execz .LBB6_85
; %bb.80:
	;; [unrolled: 5-line block ×3, first 2 shown]
	v_mov_b32_e32 v0, 0
	s_waitcnt lgkmcnt(0)
	global_store_dwordx2 v0, v[14:15], s[6:7]
                                        ; implicit-def: $vgpr10_vgpr11_vgpr12_vgpr13
.LBB6_82:
	s_andn2_saveexec_b64 s[4:5], s[4:5]
	s_cbranch_execz .LBB6_84
; %bb.83:
	v_mov_b32_e32 v0, 0
	s_waitcnt lgkmcnt(0)
	global_store_dwordx2 v0, v[12:13], s[6:7]
.LBB6_84:
	s_or_b64 exec, exec, s[4:5]
                                        ; implicit-def: $vgpr10_vgpr11_vgpr12_vgpr13
.LBB6_85:
	s_andn2_saveexec_b64 s[2:3], s[2:3]
	s_cbranch_execz .LBB6_87
; %bb.86:
	v_mov_b32_e32 v0, 0
	s_waitcnt lgkmcnt(0)
	global_store_dwordx2 v0, v[10:11], s[6:7]
.LBB6_87:
	s_or_b64 exec, exec, s[2:3]
                                        ; implicit-def: $vgpr0_vgpr1
                                        ; implicit-def: $vgpr2_vgpr3_vgpr4_vgpr5
                                        ; implicit-def: $vgpr6_vgpr7_vgpr8_vgpr9
.LBB6_88:
	s_andn2_saveexec_b64 s[0:1], s[0:1]
	s_cbranch_execz .LBB6_100
; %bb.89:
	v_cmp_lt_i64_e32 vcc, 1, v[0:1]
	s_and_saveexec_b64 s[0:1], vcc
	s_xor_b64 s[0:1], exec, s[0:1]
	s_cbranch_execz .LBB6_95
; %bb.90:
	v_cmp_lt_i64_e32 vcc, 2, v[0:1]
	s_and_saveexec_b64 s[2:3], vcc
	s_xor_b64 s[2:3], exec, s[2:3]
	s_cbranch_execz .LBB6_92
; %bb.91:
	v_mov_b32_e32 v0, 0
	s_waitcnt lgkmcnt(0)
	global_store_dwordx2 v0, v[8:9], s[6:7]
                                        ; implicit-def: $vgpr6_vgpr7_vgpr8_vgpr9
.LBB6_92:
	s_andn2_saveexec_b64 s[2:3], s[2:3]
	s_cbranch_execz .LBB6_94
; %bb.93:
	v_mov_b32_e32 v0, 0
	s_waitcnt lgkmcnt(0)
	global_store_dwordx2 v0, v[6:7], s[6:7]
.LBB6_94:
	s_or_b64 exec, exec, s[2:3]
                                        ; implicit-def: $vgpr2_vgpr3_vgpr4_vgpr5
                                        ; implicit-def: $vgpr0_vgpr1
.LBB6_95:
	s_andn2_saveexec_b64 s[0:1], s[0:1]
	s_cbranch_execz .LBB6_100
; %bb.96:
	v_cmp_ne_u64_e32 vcc, 1, v[0:1]
	s_and_saveexec_b64 s[0:1], vcc
	s_xor_b64 s[0:1], exec, s[0:1]
	s_cbranch_execz .LBB6_98
; %bb.97:
	v_mov_b32_e32 v0, 0
	s_waitcnt lgkmcnt(0)
	global_store_dwordx2 v0, v[2:3], s[6:7]
                                        ; implicit-def: $vgpr2_vgpr3_vgpr4_vgpr5
.LBB6_98:
	s_andn2_saveexec_b64 s[0:1], s[0:1]
	s_cbranch_execz .LBB6_100
; %bb.99:
	v_mov_b32_e32 v0, 0
	s_waitcnt lgkmcnt(0)
	global_store_dwordx2 v0, v[4:5], s[6:7]
.LBB6_100:
	s_endpgm
	.section	.rodata,"a",@progbits
	.p2align	6, 0x0
	.amdhsa_kernel _ZN7rocprim17ROCPRIM_400000_NS6detail17trampoline_kernelINS0_14default_configENS1_20scan_config_selectorIxEEZZNS1_9scan_implILNS1_25lookback_scan_determinismE0ELb0ELb0ES3_N6thrust23THRUST_200600_302600_NS6detail15normal_iteratorINS9_10device_ptrIxEEEESE_xNS9_4plusIvEExEEDaPvRmT3_T4_T5_mT6_P12ihipStream_tbENKUlT_T0_E_clISt17integral_constantIbLb0EESU_EEDaSP_SQ_EUlSP_E_NS1_11comp_targetILNS1_3genE4ELNS1_11target_archE910ELNS1_3gpuE8ELNS1_3repE0EEENS1_30default_config_static_selectorELNS0_4arch9wavefront6targetE1EEEvT1_
		.amdhsa_group_segment_fixed_size 7168
		.amdhsa_private_segment_fixed_size 0
		.amdhsa_kernarg_size 104
		.amdhsa_user_sgpr_count 6
		.amdhsa_user_sgpr_private_segment_buffer 1
		.amdhsa_user_sgpr_dispatch_ptr 0
		.amdhsa_user_sgpr_queue_ptr 0
		.amdhsa_user_sgpr_kernarg_segment_ptr 1
		.amdhsa_user_sgpr_dispatch_id 0
		.amdhsa_user_sgpr_flat_scratch_init 0
		.amdhsa_user_sgpr_kernarg_preload_length 0
		.amdhsa_user_sgpr_kernarg_preload_offset 0
		.amdhsa_user_sgpr_private_segment_size 0
		.amdhsa_uses_dynamic_stack 0
		.amdhsa_system_sgpr_private_segment_wavefront_offset 0
		.amdhsa_system_sgpr_workgroup_id_x 1
		.amdhsa_system_sgpr_workgroup_id_y 0
		.amdhsa_system_sgpr_workgroup_id_z 0
		.amdhsa_system_sgpr_workgroup_info 0
		.amdhsa_system_vgpr_workitem_id 0
		.amdhsa_next_free_vgpr 51
		.amdhsa_next_free_sgpr 28
		.amdhsa_accum_offset 52
		.amdhsa_reserve_vcc 1
		.amdhsa_reserve_flat_scratch 0
		.amdhsa_float_round_mode_32 0
		.amdhsa_float_round_mode_16_64 0
		.amdhsa_float_denorm_mode_32 3
		.amdhsa_float_denorm_mode_16_64 3
		.amdhsa_dx10_clamp 1
		.amdhsa_ieee_mode 1
		.amdhsa_fp16_overflow 0
		.amdhsa_tg_split 0
		.amdhsa_exception_fp_ieee_invalid_op 0
		.amdhsa_exception_fp_denorm_src 0
		.amdhsa_exception_fp_ieee_div_zero 0
		.amdhsa_exception_fp_ieee_overflow 0
		.amdhsa_exception_fp_ieee_underflow 0
		.amdhsa_exception_fp_ieee_inexact 0
		.amdhsa_exception_int_div_zero 0
	.end_amdhsa_kernel
	.section	.text._ZN7rocprim17ROCPRIM_400000_NS6detail17trampoline_kernelINS0_14default_configENS1_20scan_config_selectorIxEEZZNS1_9scan_implILNS1_25lookback_scan_determinismE0ELb0ELb0ES3_N6thrust23THRUST_200600_302600_NS6detail15normal_iteratorINS9_10device_ptrIxEEEESE_xNS9_4plusIvEExEEDaPvRmT3_T4_T5_mT6_P12ihipStream_tbENKUlT_T0_E_clISt17integral_constantIbLb0EESU_EEDaSP_SQ_EUlSP_E_NS1_11comp_targetILNS1_3genE4ELNS1_11target_archE910ELNS1_3gpuE8ELNS1_3repE0EEENS1_30default_config_static_selectorELNS0_4arch9wavefront6targetE1EEEvT1_,"axG",@progbits,_ZN7rocprim17ROCPRIM_400000_NS6detail17trampoline_kernelINS0_14default_configENS1_20scan_config_selectorIxEEZZNS1_9scan_implILNS1_25lookback_scan_determinismE0ELb0ELb0ES3_N6thrust23THRUST_200600_302600_NS6detail15normal_iteratorINS9_10device_ptrIxEEEESE_xNS9_4plusIvEExEEDaPvRmT3_T4_T5_mT6_P12ihipStream_tbENKUlT_T0_E_clISt17integral_constantIbLb0EESU_EEDaSP_SQ_EUlSP_E_NS1_11comp_targetILNS1_3genE4ELNS1_11target_archE910ELNS1_3gpuE8ELNS1_3repE0EEENS1_30default_config_static_selectorELNS0_4arch9wavefront6targetE1EEEvT1_,comdat
.Lfunc_end6:
	.size	_ZN7rocprim17ROCPRIM_400000_NS6detail17trampoline_kernelINS0_14default_configENS1_20scan_config_selectorIxEEZZNS1_9scan_implILNS1_25lookback_scan_determinismE0ELb0ELb0ES3_N6thrust23THRUST_200600_302600_NS6detail15normal_iteratorINS9_10device_ptrIxEEEESE_xNS9_4plusIvEExEEDaPvRmT3_T4_T5_mT6_P12ihipStream_tbENKUlT_T0_E_clISt17integral_constantIbLb0EESU_EEDaSP_SQ_EUlSP_E_NS1_11comp_targetILNS1_3genE4ELNS1_11target_archE910ELNS1_3gpuE8ELNS1_3repE0EEENS1_30default_config_static_selectorELNS0_4arch9wavefront6targetE1EEEvT1_, .Lfunc_end6-_ZN7rocprim17ROCPRIM_400000_NS6detail17trampoline_kernelINS0_14default_configENS1_20scan_config_selectorIxEEZZNS1_9scan_implILNS1_25lookback_scan_determinismE0ELb0ELb0ES3_N6thrust23THRUST_200600_302600_NS6detail15normal_iteratorINS9_10device_ptrIxEEEESE_xNS9_4plusIvEExEEDaPvRmT3_T4_T5_mT6_P12ihipStream_tbENKUlT_T0_E_clISt17integral_constantIbLb0EESU_EEDaSP_SQ_EUlSP_E_NS1_11comp_targetILNS1_3genE4ELNS1_11target_archE910ELNS1_3gpuE8ELNS1_3repE0EEENS1_30default_config_static_selectorELNS0_4arch9wavefront6targetE1EEEvT1_
                                        ; -- End function
	.section	.AMDGPU.csdata,"",@progbits
; Kernel info:
; codeLenInByte = 5856
; NumSgprs: 32
; NumVgprs: 51
; NumAgprs: 0
; TotalNumVgprs: 51
; ScratchSize: 0
; MemoryBound: 0
; FloatMode: 240
; IeeeMode: 1
; LDSByteSize: 7168 bytes/workgroup (compile time only)
; SGPRBlocks: 3
; VGPRBlocks: 6
; NumSGPRsForWavesPerEU: 32
; NumVGPRsForWavesPerEU: 51
; AccumOffset: 52
; Occupancy: 5
; WaveLimiterHint : 1
; COMPUTE_PGM_RSRC2:SCRATCH_EN: 0
; COMPUTE_PGM_RSRC2:USER_SGPR: 6
; COMPUTE_PGM_RSRC2:TRAP_HANDLER: 0
; COMPUTE_PGM_RSRC2:TGID_X_EN: 1
; COMPUTE_PGM_RSRC2:TGID_Y_EN: 0
; COMPUTE_PGM_RSRC2:TGID_Z_EN: 0
; COMPUTE_PGM_RSRC2:TIDIG_COMP_CNT: 0
; COMPUTE_PGM_RSRC3_GFX90A:ACCUM_OFFSET: 12
; COMPUTE_PGM_RSRC3_GFX90A:TG_SPLIT: 0
	.section	.text._ZN7rocprim17ROCPRIM_400000_NS6detail17trampoline_kernelINS0_14default_configENS1_20scan_config_selectorIxEEZZNS1_9scan_implILNS1_25lookback_scan_determinismE0ELb0ELb0ES3_N6thrust23THRUST_200600_302600_NS6detail15normal_iteratorINS9_10device_ptrIxEEEESE_xNS9_4plusIvEExEEDaPvRmT3_T4_T5_mT6_P12ihipStream_tbENKUlT_T0_E_clISt17integral_constantIbLb0EESU_EEDaSP_SQ_EUlSP_E_NS1_11comp_targetILNS1_3genE3ELNS1_11target_archE908ELNS1_3gpuE7ELNS1_3repE0EEENS1_30default_config_static_selectorELNS0_4arch9wavefront6targetE1EEEvT1_,"axG",@progbits,_ZN7rocprim17ROCPRIM_400000_NS6detail17trampoline_kernelINS0_14default_configENS1_20scan_config_selectorIxEEZZNS1_9scan_implILNS1_25lookback_scan_determinismE0ELb0ELb0ES3_N6thrust23THRUST_200600_302600_NS6detail15normal_iteratorINS9_10device_ptrIxEEEESE_xNS9_4plusIvEExEEDaPvRmT3_T4_T5_mT6_P12ihipStream_tbENKUlT_T0_E_clISt17integral_constantIbLb0EESU_EEDaSP_SQ_EUlSP_E_NS1_11comp_targetILNS1_3genE3ELNS1_11target_archE908ELNS1_3gpuE7ELNS1_3repE0EEENS1_30default_config_static_selectorELNS0_4arch9wavefront6targetE1EEEvT1_,comdat
	.protected	_ZN7rocprim17ROCPRIM_400000_NS6detail17trampoline_kernelINS0_14default_configENS1_20scan_config_selectorIxEEZZNS1_9scan_implILNS1_25lookback_scan_determinismE0ELb0ELb0ES3_N6thrust23THRUST_200600_302600_NS6detail15normal_iteratorINS9_10device_ptrIxEEEESE_xNS9_4plusIvEExEEDaPvRmT3_T4_T5_mT6_P12ihipStream_tbENKUlT_T0_E_clISt17integral_constantIbLb0EESU_EEDaSP_SQ_EUlSP_E_NS1_11comp_targetILNS1_3genE3ELNS1_11target_archE908ELNS1_3gpuE7ELNS1_3repE0EEENS1_30default_config_static_selectorELNS0_4arch9wavefront6targetE1EEEvT1_ ; -- Begin function _ZN7rocprim17ROCPRIM_400000_NS6detail17trampoline_kernelINS0_14default_configENS1_20scan_config_selectorIxEEZZNS1_9scan_implILNS1_25lookback_scan_determinismE0ELb0ELb0ES3_N6thrust23THRUST_200600_302600_NS6detail15normal_iteratorINS9_10device_ptrIxEEEESE_xNS9_4plusIvEExEEDaPvRmT3_T4_T5_mT6_P12ihipStream_tbENKUlT_T0_E_clISt17integral_constantIbLb0EESU_EEDaSP_SQ_EUlSP_E_NS1_11comp_targetILNS1_3genE3ELNS1_11target_archE908ELNS1_3gpuE7ELNS1_3repE0EEENS1_30default_config_static_selectorELNS0_4arch9wavefront6targetE1EEEvT1_
	.globl	_ZN7rocprim17ROCPRIM_400000_NS6detail17trampoline_kernelINS0_14default_configENS1_20scan_config_selectorIxEEZZNS1_9scan_implILNS1_25lookback_scan_determinismE0ELb0ELb0ES3_N6thrust23THRUST_200600_302600_NS6detail15normal_iteratorINS9_10device_ptrIxEEEESE_xNS9_4plusIvEExEEDaPvRmT3_T4_T5_mT6_P12ihipStream_tbENKUlT_T0_E_clISt17integral_constantIbLb0EESU_EEDaSP_SQ_EUlSP_E_NS1_11comp_targetILNS1_3genE3ELNS1_11target_archE908ELNS1_3gpuE7ELNS1_3repE0EEENS1_30default_config_static_selectorELNS0_4arch9wavefront6targetE1EEEvT1_
	.p2align	8
	.type	_ZN7rocprim17ROCPRIM_400000_NS6detail17trampoline_kernelINS0_14default_configENS1_20scan_config_selectorIxEEZZNS1_9scan_implILNS1_25lookback_scan_determinismE0ELb0ELb0ES3_N6thrust23THRUST_200600_302600_NS6detail15normal_iteratorINS9_10device_ptrIxEEEESE_xNS9_4plusIvEExEEDaPvRmT3_T4_T5_mT6_P12ihipStream_tbENKUlT_T0_E_clISt17integral_constantIbLb0EESU_EEDaSP_SQ_EUlSP_E_NS1_11comp_targetILNS1_3genE3ELNS1_11target_archE908ELNS1_3gpuE7ELNS1_3repE0EEENS1_30default_config_static_selectorELNS0_4arch9wavefront6targetE1EEEvT1_,@function
_ZN7rocprim17ROCPRIM_400000_NS6detail17trampoline_kernelINS0_14default_configENS1_20scan_config_selectorIxEEZZNS1_9scan_implILNS1_25lookback_scan_determinismE0ELb0ELb0ES3_N6thrust23THRUST_200600_302600_NS6detail15normal_iteratorINS9_10device_ptrIxEEEESE_xNS9_4plusIvEExEEDaPvRmT3_T4_T5_mT6_P12ihipStream_tbENKUlT_T0_E_clISt17integral_constantIbLb0EESU_EEDaSP_SQ_EUlSP_E_NS1_11comp_targetILNS1_3genE3ELNS1_11target_archE908ELNS1_3gpuE7ELNS1_3repE0EEENS1_30default_config_static_selectorELNS0_4arch9wavefront6targetE1EEEvT1_: ; @_ZN7rocprim17ROCPRIM_400000_NS6detail17trampoline_kernelINS0_14default_configENS1_20scan_config_selectorIxEEZZNS1_9scan_implILNS1_25lookback_scan_determinismE0ELb0ELb0ES3_N6thrust23THRUST_200600_302600_NS6detail15normal_iteratorINS9_10device_ptrIxEEEESE_xNS9_4plusIvEExEEDaPvRmT3_T4_T5_mT6_P12ihipStream_tbENKUlT_T0_E_clISt17integral_constantIbLb0EESU_EEDaSP_SQ_EUlSP_E_NS1_11comp_targetILNS1_3genE3ELNS1_11target_archE908ELNS1_3gpuE7ELNS1_3repE0EEENS1_30default_config_static_selectorELNS0_4arch9wavefront6targetE1EEEvT1_
; %bb.0:
	.section	.rodata,"a",@progbits
	.p2align	6, 0x0
	.amdhsa_kernel _ZN7rocprim17ROCPRIM_400000_NS6detail17trampoline_kernelINS0_14default_configENS1_20scan_config_selectorIxEEZZNS1_9scan_implILNS1_25lookback_scan_determinismE0ELb0ELb0ES3_N6thrust23THRUST_200600_302600_NS6detail15normal_iteratorINS9_10device_ptrIxEEEESE_xNS9_4plusIvEExEEDaPvRmT3_T4_T5_mT6_P12ihipStream_tbENKUlT_T0_E_clISt17integral_constantIbLb0EESU_EEDaSP_SQ_EUlSP_E_NS1_11comp_targetILNS1_3genE3ELNS1_11target_archE908ELNS1_3gpuE7ELNS1_3repE0EEENS1_30default_config_static_selectorELNS0_4arch9wavefront6targetE1EEEvT1_
		.amdhsa_group_segment_fixed_size 0
		.amdhsa_private_segment_fixed_size 0
		.amdhsa_kernarg_size 104
		.amdhsa_user_sgpr_count 6
		.amdhsa_user_sgpr_private_segment_buffer 1
		.amdhsa_user_sgpr_dispatch_ptr 0
		.amdhsa_user_sgpr_queue_ptr 0
		.amdhsa_user_sgpr_kernarg_segment_ptr 1
		.amdhsa_user_sgpr_dispatch_id 0
		.amdhsa_user_sgpr_flat_scratch_init 0
		.amdhsa_user_sgpr_kernarg_preload_length 0
		.amdhsa_user_sgpr_kernarg_preload_offset 0
		.amdhsa_user_sgpr_private_segment_size 0
		.amdhsa_uses_dynamic_stack 0
		.amdhsa_system_sgpr_private_segment_wavefront_offset 0
		.amdhsa_system_sgpr_workgroup_id_x 1
		.amdhsa_system_sgpr_workgroup_id_y 0
		.amdhsa_system_sgpr_workgroup_id_z 0
		.amdhsa_system_sgpr_workgroup_info 0
		.amdhsa_system_vgpr_workitem_id 0
		.amdhsa_next_free_vgpr 1
		.amdhsa_next_free_sgpr 0
		.amdhsa_accum_offset 4
		.amdhsa_reserve_vcc 0
		.amdhsa_reserve_flat_scratch 0
		.amdhsa_float_round_mode_32 0
		.amdhsa_float_round_mode_16_64 0
		.amdhsa_float_denorm_mode_32 3
		.amdhsa_float_denorm_mode_16_64 3
		.amdhsa_dx10_clamp 1
		.amdhsa_ieee_mode 1
		.amdhsa_fp16_overflow 0
		.amdhsa_tg_split 0
		.amdhsa_exception_fp_ieee_invalid_op 0
		.amdhsa_exception_fp_denorm_src 0
		.amdhsa_exception_fp_ieee_div_zero 0
		.amdhsa_exception_fp_ieee_overflow 0
		.amdhsa_exception_fp_ieee_underflow 0
		.amdhsa_exception_fp_ieee_inexact 0
		.amdhsa_exception_int_div_zero 0
	.end_amdhsa_kernel
	.section	.text._ZN7rocprim17ROCPRIM_400000_NS6detail17trampoline_kernelINS0_14default_configENS1_20scan_config_selectorIxEEZZNS1_9scan_implILNS1_25lookback_scan_determinismE0ELb0ELb0ES3_N6thrust23THRUST_200600_302600_NS6detail15normal_iteratorINS9_10device_ptrIxEEEESE_xNS9_4plusIvEExEEDaPvRmT3_T4_T5_mT6_P12ihipStream_tbENKUlT_T0_E_clISt17integral_constantIbLb0EESU_EEDaSP_SQ_EUlSP_E_NS1_11comp_targetILNS1_3genE3ELNS1_11target_archE908ELNS1_3gpuE7ELNS1_3repE0EEENS1_30default_config_static_selectorELNS0_4arch9wavefront6targetE1EEEvT1_,"axG",@progbits,_ZN7rocprim17ROCPRIM_400000_NS6detail17trampoline_kernelINS0_14default_configENS1_20scan_config_selectorIxEEZZNS1_9scan_implILNS1_25lookback_scan_determinismE0ELb0ELb0ES3_N6thrust23THRUST_200600_302600_NS6detail15normal_iteratorINS9_10device_ptrIxEEEESE_xNS9_4plusIvEExEEDaPvRmT3_T4_T5_mT6_P12ihipStream_tbENKUlT_T0_E_clISt17integral_constantIbLb0EESU_EEDaSP_SQ_EUlSP_E_NS1_11comp_targetILNS1_3genE3ELNS1_11target_archE908ELNS1_3gpuE7ELNS1_3repE0EEENS1_30default_config_static_selectorELNS0_4arch9wavefront6targetE1EEEvT1_,comdat
.Lfunc_end7:
	.size	_ZN7rocprim17ROCPRIM_400000_NS6detail17trampoline_kernelINS0_14default_configENS1_20scan_config_selectorIxEEZZNS1_9scan_implILNS1_25lookback_scan_determinismE0ELb0ELb0ES3_N6thrust23THRUST_200600_302600_NS6detail15normal_iteratorINS9_10device_ptrIxEEEESE_xNS9_4plusIvEExEEDaPvRmT3_T4_T5_mT6_P12ihipStream_tbENKUlT_T0_E_clISt17integral_constantIbLb0EESU_EEDaSP_SQ_EUlSP_E_NS1_11comp_targetILNS1_3genE3ELNS1_11target_archE908ELNS1_3gpuE7ELNS1_3repE0EEENS1_30default_config_static_selectorELNS0_4arch9wavefront6targetE1EEEvT1_, .Lfunc_end7-_ZN7rocprim17ROCPRIM_400000_NS6detail17trampoline_kernelINS0_14default_configENS1_20scan_config_selectorIxEEZZNS1_9scan_implILNS1_25lookback_scan_determinismE0ELb0ELb0ES3_N6thrust23THRUST_200600_302600_NS6detail15normal_iteratorINS9_10device_ptrIxEEEESE_xNS9_4plusIvEExEEDaPvRmT3_T4_T5_mT6_P12ihipStream_tbENKUlT_T0_E_clISt17integral_constantIbLb0EESU_EEDaSP_SQ_EUlSP_E_NS1_11comp_targetILNS1_3genE3ELNS1_11target_archE908ELNS1_3gpuE7ELNS1_3repE0EEENS1_30default_config_static_selectorELNS0_4arch9wavefront6targetE1EEEvT1_
                                        ; -- End function
	.section	.AMDGPU.csdata,"",@progbits
; Kernel info:
; codeLenInByte = 0
; NumSgprs: 4
; NumVgprs: 0
; NumAgprs: 0
; TotalNumVgprs: 0
; ScratchSize: 0
; MemoryBound: 0
; FloatMode: 240
; IeeeMode: 1
; LDSByteSize: 0 bytes/workgroup (compile time only)
; SGPRBlocks: 0
; VGPRBlocks: 0
; NumSGPRsForWavesPerEU: 4
; NumVGPRsForWavesPerEU: 1
; AccumOffset: 4
; Occupancy: 8
; WaveLimiterHint : 0
; COMPUTE_PGM_RSRC2:SCRATCH_EN: 0
; COMPUTE_PGM_RSRC2:USER_SGPR: 6
; COMPUTE_PGM_RSRC2:TRAP_HANDLER: 0
; COMPUTE_PGM_RSRC2:TGID_X_EN: 1
; COMPUTE_PGM_RSRC2:TGID_Y_EN: 0
; COMPUTE_PGM_RSRC2:TGID_Z_EN: 0
; COMPUTE_PGM_RSRC2:TIDIG_COMP_CNT: 0
; COMPUTE_PGM_RSRC3_GFX90A:ACCUM_OFFSET: 0
; COMPUTE_PGM_RSRC3_GFX90A:TG_SPLIT: 0
	.section	.text._ZN7rocprim17ROCPRIM_400000_NS6detail17trampoline_kernelINS0_14default_configENS1_20scan_config_selectorIxEEZZNS1_9scan_implILNS1_25lookback_scan_determinismE0ELb0ELb0ES3_N6thrust23THRUST_200600_302600_NS6detail15normal_iteratorINS9_10device_ptrIxEEEESE_xNS9_4plusIvEExEEDaPvRmT3_T4_T5_mT6_P12ihipStream_tbENKUlT_T0_E_clISt17integral_constantIbLb0EESU_EEDaSP_SQ_EUlSP_E_NS1_11comp_targetILNS1_3genE2ELNS1_11target_archE906ELNS1_3gpuE6ELNS1_3repE0EEENS1_30default_config_static_selectorELNS0_4arch9wavefront6targetE1EEEvT1_,"axG",@progbits,_ZN7rocprim17ROCPRIM_400000_NS6detail17trampoline_kernelINS0_14default_configENS1_20scan_config_selectorIxEEZZNS1_9scan_implILNS1_25lookback_scan_determinismE0ELb0ELb0ES3_N6thrust23THRUST_200600_302600_NS6detail15normal_iteratorINS9_10device_ptrIxEEEESE_xNS9_4plusIvEExEEDaPvRmT3_T4_T5_mT6_P12ihipStream_tbENKUlT_T0_E_clISt17integral_constantIbLb0EESU_EEDaSP_SQ_EUlSP_E_NS1_11comp_targetILNS1_3genE2ELNS1_11target_archE906ELNS1_3gpuE6ELNS1_3repE0EEENS1_30default_config_static_selectorELNS0_4arch9wavefront6targetE1EEEvT1_,comdat
	.protected	_ZN7rocprim17ROCPRIM_400000_NS6detail17trampoline_kernelINS0_14default_configENS1_20scan_config_selectorIxEEZZNS1_9scan_implILNS1_25lookback_scan_determinismE0ELb0ELb0ES3_N6thrust23THRUST_200600_302600_NS6detail15normal_iteratorINS9_10device_ptrIxEEEESE_xNS9_4plusIvEExEEDaPvRmT3_T4_T5_mT6_P12ihipStream_tbENKUlT_T0_E_clISt17integral_constantIbLb0EESU_EEDaSP_SQ_EUlSP_E_NS1_11comp_targetILNS1_3genE2ELNS1_11target_archE906ELNS1_3gpuE6ELNS1_3repE0EEENS1_30default_config_static_selectorELNS0_4arch9wavefront6targetE1EEEvT1_ ; -- Begin function _ZN7rocprim17ROCPRIM_400000_NS6detail17trampoline_kernelINS0_14default_configENS1_20scan_config_selectorIxEEZZNS1_9scan_implILNS1_25lookback_scan_determinismE0ELb0ELb0ES3_N6thrust23THRUST_200600_302600_NS6detail15normal_iteratorINS9_10device_ptrIxEEEESE_xNS9_4plusIvEExEEDaPvRmT3_T4_T5_mT6_P12ihipStream_tbENKUlT_T0_E_clISt17integral_constantIbLb0EESU_EEDaSP_SQ_EUlSP_E_NS1_11comp_targetILNS1_3genE2ELNS1_11target_archE906ELNS1_3gpuE6ELNS1_3repE0EEENS1_30default_config_static_selectorELNS0_4arch9wavefront6targetE1EEEvT1_
	.globl	_ZN7rocprim17ROCPRIM_400000_NS6detail17trampoline_kernelINS0_14default_configENS1_20scan_config_selectorIxEEZZNS1_9scan_implILNS1_25lookback_scan_determinismE0ELb0ELb0ES3_N6thrust23THRUST_200600_302600_NS6detail15normal_iteratorINS9_10device_ptrIxEEEESE_xNS9_4plusIvEExEEDaPvRmT3_T4_T5_mT6_P12ihipStream_tbENKUlT_T0_E_clISt17integral_constantIbLb0EESU_EEDaSP_SQ_EUlSP_E_NS1_11comp_targetILNS1_3genE2ELNS1_11target_archE906ELNS1_3gpuE6ELNS1_3repE0EEENS1_30default_config_static_selectorELNS0_4arch9wavefront6targetE1EEEvT1_
	.p2align	8
	.type	_ZN7rocprim17ROCPRIM_400000_NS6detail17trampoline_kernelINS0_14default_configENS1_20scan_config_selectorIxEEZZNS1_9scan_implILNS1_25lookback_scan_determinismE0ELb0ELb0ES3_N6thrust23THRUST_200600_302600_NS6detail15normal_iteratorINS9_10device_ptrIxEEEESE_xNS9_4plusIvEExEEDaPvRmT3_T4_T5_mT6_P12ihipStream_tbENKUlT_T0_E_clISt17integral_constantIbLb0EESU_EEDaSP_SQ_EUlSP_E_NS1_11comp_targetILNS1_3genE2ELNS1_11target_archE906ELNS1_3gpuE6ELNS1_3repE0EEENS1_30default_config_static_selectorELNS0_4arch9wavefront6targetE1EEEvT1_,@function
_ZN7rocprim17ROCPRIM_400000_NS6detail17trampoline_kernelINS0_14default_configENS1_20scan_config_selectorIxEEZZNS1_9scan_implILNS1_25lookback_scan_determinismE0ELb0ELb0ES3_N6thrust23THRUST_200600_302600_NS6detail15normal_iteratorINS9_10device_ptrIxEEEESE_xNS9_4plusIvEExEEDaPvRmT3_T4_T5_mT6_P12ihipStream_tbENKUlT_T0_E_clISt17integral_constantIbLb0EESU_EEDaSP_SQ_EUlSP_E_NS1_11comp_targetILNS1_3genE2ELNS1_11target_archE906ELNS1_3gpuE6ELNS1_3repE0EEENS1_30default_config_static_selectorELNS0_4arch9wavefront6targetE1EEEvT1_: ; @_ZN7rocprim17ROCPRIM_400000_NS6detail17trampoline_kernelINS0_14default_configENS1_20scan_config_selectorIxEEZZNS1_9scan_implILNS1_25lookback_scan_determinismE0ELb0ELb0ES3_N6thrust23THRUST_200600_302600_NS6detail15normal_iteratorINS9_10device_ptrIxEEEESE_xNS9_4plusIvEExEEDaPvRmT3_T4_T5_mT6_P12ihipStream_tbENKUlT_T0_E_clISt17integral_constantIbLb0EESU_EEDaSP_SQ_EUlSP_E_NS1_11comp_targetILNS1_3genE2ELNS1_11target_archE906ELNS1_3gpuE6ELNS1_3repE0EEENS1_30default_config_static_selectorELNS0_4arch9wavefront6targetE1EEEvT1_
; %bb.0:
	.section	.rodata,"a",@progbits
	.p2align	6, 0x0
	.amdhsa_kernel _ZN7rocprim17ROCPRIM_400000_NS6detail17trampoline_kernelINS0_14default_configENS1_20scan_config_selectorIxEEZZNS1_9scan_implILNS1_25lookback_scan_determinismE0ELb0ELb0ES3_N6thrust23THRUST_200600_302600_NS6detail15normal_iteratorINS9_10device_ptrIxEEEESE_xNS9_4plusIvEExEEDaPvRmT3_T4_T5_mT6_P12ihipStream_tbENKUlT_T0_E_clISt17integral_constantIbLb0EESU_EEDaSP_SQ_EUlSP_E_NS1_11comp_targetILNS1_3genE2ELNS1_11target_archE906ELNS1_3gpuE6ELNS1_3repE0EEENS1_30default_config_static_selectorELNS0_4arch9wavefront6targetE1EEEvT1_
		.amdhsa_group_segment_fixed_size 0
		.amdhsa_private_segment_fixed_size 0
		.amdhsa_kernarg_size 104
		.amdhsa_user_sgpr_count 6
		.amdhsa_user_sgpr_private_segment_buffer 1
		.amdhsa_user_sgpr_dispatch_ptr 0
		.amdhsa_user_sgpr_queue_ptr 0
		.amdhsa_user_sgpr_kernarg_segment_ptr 1
		.amdhsa_user_sgpr_dispatch_id 0
		.amdhsa_user_sgpr_flat_scratch_init 0
		.amdhsa_user_sgpr_kernarg_preload_length 0
		.amdhsa_user_sgpr_kernarg_preload_offset 0
		.amdhsa_user_sgpr_private_segment_size 0
		.amdhsa_uses_dynamic_stack 0
		.amdhsa_system_sgpr_private_segment_wavefront_offset 0
		.amdhsa_system_sgpr_workgroup_id_x 1
		.amdhsa_system_sgpr_workgroup_id_y 0
		.amdhsa_system_sgpr_workgroup_id_z 0
		.amdhsa_system_sgpr_workgroup_info 0
		.amdhsa_system_vgpr_workitem_id 0
		.amdhsa_next_free_vgpr 1
		.amdhsa_next_free_sgpr 0
		.amdhsa_accum_offset 4
		.amdhsa_reserve_vcc 0
		.amdhsa_reserve_flat_scratch 0
		.amdhsa_float_round_mode_32 0
		.amdhsa_float_round_mode_16_64 0
		.amdhsa_float_denorm_mode_32 3
		.amdhsa_float_denorm_mode_16_64 3
		.amdhsa_dx10_clamp 1
		.amdhsa_ieee_mode 1
		.amdhsa_fp16_overflow 0
		.amdhsa_tg_split 0
		.amdhsa_exception_fp_ieee_invalid_op 0
		.amdhsa_exception_fp_denorm_src 0
		.amdhsa_exception_fp_ieee_div_zero 0
		.amdhsa_exception_fp_ieee_overflow 0
		.amdhsa_exception_fp_ieee_underflow 0
		.amdhsa_exception_fp_ieee_inexact 0
		.amdhsa_exception_int_div_zero 0
	.end_amdhsa_kernel
	.section	.text._ZN7rocprim17ROCPRIM_400000_NS6detail17trampoline_kernelINS0_14default_configENS1_20scan_config_selectorIxEEZZNS1_9scan_implILNS1_25lookback_scan_determinismE0ELb0ELb0ES3_N6thrust23THRUST_200600_302600_NS6detail15normal_iteratorINS9_10device_ptrIxEEEESE_xNS9_4plusIvEExEEDaPvRmT3_T4_T5_mT6_P12ihipStream_tbENKUlT_T0_E_clISt17integral_constantIbLb0EESU_EEDaSP_SQ_EUlSP_E_NS1_11comp_targetILNS1_3genE2ELNS1_11target_archE906ELNS1_3gpuE6ELNS1_3repE0EEENS1_30default_config_static_selectorELNS0_4arch9wavefront6targetE1EEEvT1_,"axG",@progbits,_ZN7rocprim17ROCPRIM_400000_NS6detail17trampoline_kernelINS0_14default_configENS1_20scan_config_selectorIxEEZZNS1_9scan_implILNS1_25lookback_scan_determinismE0ELb0ELb0ES3_N6thrust23THRUST_200600_302600_NS6detail15normal_iteratorINS9_10device_ptrIxEEEESE_xNS9_4plusIvEExEEDaPvRmT3_T4_T5_mT6_P12ihipStream_tbENKUlT_T0_E_clISt17integral_constantIbLb0EESU_EEDaSP_SQ_EUlSP_E_NS1_11comp_targetILNS1_3genE2ELNS1_11target_archE906ELNS1_3gpuE6ELNS1_3repE0EEENS1_30default_config_static_selectorELNS0_4arch9wavefront6targetE1EEEvT1_,comdat
.Lfunc_end8:
	.size	_ZN7rocprim17ROCPRIM_400000_NS6detail17trampoline_kernelINS0_14default_configENS1_20scan_config_selectorIxEEZZNS1_9scan_implILNS1_25lookback_scan_determinismE0ELb0ELb0ES3_N6thrust23THRUST_200600_302600_NS6detail15normal_iteratorINS9_10device_ptrIxEEEESE_xNS9_4plusIvEExEEDaPvRmT3_T4_T5_mT6_P12ihipStream_tbENKUlT_T0_E_clISt17integral_constantIbLb0EESU_EEDaSP_SQ_EUlSP_E_NS1_11comp_targetILNS1_3genE2ELNS1_11target_archE906ELNS1_3gpuE6ELNS1_3repE0EEENS1_30default_config_static_selectorELNS0_4arch9wavefront6targetE1EEEvT1_, .Lfunc_end8-_ZN7rocprim17ROCPRIM_400000_NS6detail17trampoline_kernelINS0_14default_configENS1_20scan_config_selectorIxEEZZNS1_9scan_implILNS1_25lookback_scan_determinismE0ELb0ELb0ES3_N6thrust23THRUST_200600_302600_NS6detail15normal_iteratorINS9_10device_ptrIxEEEESE_xNS9_4plusIvEExEEDaPvRmT3_T4_T5_mT6_P12ihipStream_tbENKUlT_T0_E_clISt17integral_constantIbLb0EESU_EEDaSP_SQ_EUlSP_E_NS1_11comp_targetILNS1_3genE2ELNS1_11target_archE906ELNS1_3gpuE6ELNS1_3repE0EEENS1_30default_config_static_selectorELNS0_4arch9wavefront6targetE1EEEvT1_
                                        ; -- End function
	.section	.AMDGPU.csdata,"",@progbits
; Kernel info:
; codeLenInByte = 0
; NumSgprs: 4
; NumVgprs: 0
; NumAgprs: 0
; TotalNumVgprs: 0
; ScratchSize: 0
; MemoryBound: 0
; FloatMode: 240
; IeeeMode: 1
; LDSByteSize: 0 bytes/workgroup (compile time only)
; SGPRBlocks: 0
; VGPRBlocks: 0
; NumSGPRsForWavesPerEU: 4
; NumVGPRsForWavesPerEU: 1
; AccumOffset: 4
; Occupancy: 8
; WaveLimiterHint : 0
; COMPUTE_PGM_RSRC2:SCRATCH_EN: 0
; COMPUTE_PGM_RSRC2:USER_SGPR: 6
; COMPUTE_PGM_RSRC2:TRAP_HANDLER: 0
; COMPUTE_PGM_RSRC2:TGID_X_EN: 1
; COMPUTE_PGM_RSRC2:TGID_Y_EN: 0
; COMPUTE_PGM_RSRC2:TGID_Z_EN: 0
; COMPUTE_PGM_RSRC2:TIDIG_COMP_CNT: 0
; COMPUTE_PGM_RSRC3_GFX90A:ACCUM_OFFSET: 0
; COMPUTE_PGM_RSRC3_GFX90A:TG_SPLIT: 0
	.section	.text._ZN7rocprim17ROCPRIM_400000_NS6detail17trampoline_kernelINS0_14default_configENS1_20scan_config_selectorIxEEZZNS1_9scan_implILNS1_25lookback_scan_determinismE0ELb0ELb0ES3_N6thrust23THRUST_200600_302600_NS6detail15normal_iteratorINS9_10device_ptrIxEEEESE_xNS9_4plusIvEExEEDaPvRmT3_T4_T5_mT6_P12ihipStream_tbENKUlT_T0_E_clISt17integral_constantIbLb0EESU_EEDaSP_SQ_EUlSP_E_NS1_11comp_targetILNS1_3genE10ELNS1_11target_archE1201ELNS1_3gpuE5ELNS1_3repE0EEENS1_30default_config_static_selectorELNS0_4arch9wavefront6targetE1EEEvT1_,"axG",@progbits,_ZN7rocprim17ROCPRIM_400000_NS6detail17trampoline_kernelINS0_14default_configENS1_20scan_config_selectorIxEEZZNS1_9scan_implILNS1_25lookback_scan_determinismE0ELb0ELb0ES3_N6thrust23THRUST_200600_302600_NS6detail15normal_iteratorINS9_10device_ptrIxEEEESE_xNS9_4plusIvEExEEDaPvRmT3_T4_T5_mT6_P12ihipStream_tbENKUlT_T0_E_clISt17integral_constantIbLb0EESU_EEDaSP_SQ_EUlSP_E_NS1_11comp_targetILNS1_3genE10ELNS1_11target_archE1201ELNS1_3gpuE5ELNS1_3repE0EEENS1_30default_config_static_selectorELNS0_4arch9wavefront6targetE1EEEvT1_,comdat
	.protected	_ZN7rocprim17ROCPRIM_400000_NS6detail17trampoline_kernelINS0_14default_configENS1_20scan_config_selectorIxEEZZNS1_9scan_implILNS1_25lookback_scan_determinismE0ELb0ELb0ES3_N6thrust23THRUST_200600_302600_NS6detail15normal_iteratorINS9_10device_ptrIxEEEESE_xNS9_4plusIvEExEEDaPvRmT3_T4_T5_mT6_P12ihipStream_tbENKUlT_T0_E_clISt17integral_constantIbLb0EESU_EEDaSP_SQ_EUlSP_E_NS1_11comp_targetILNS1_3genE10ELNS1_11target_archE1201ELNS1_3gpuE5ELNS1_3repE0EEENS1_30default_config_static_selectorELNS0_4arch9wavefront6targetE1EEEvT1_ ; -- Begin function _ZN7rocprim17ROCPRIM_400000_NS6detail17trampoline_kernelINS0_14default_configENS1_20scan_config_selectorIxEEZZNS1_9scan_implILNS1_25lookback_scan_determinismE0ELb0ELb0ES3_N6thrust23THRUST_200600_302600_NS6detail15normal_iteratorINS9_10device_ptrIxEEEESE_xNS9_4plusIvEExEEDaPvRmT3_T4_T5_mT6_P12ihipStream_tbENKUlT_T0_E_clISt17integral_constantIbLb0EESU_EEDaSP_SQ_EUlSP_E_NS1_11comp_targetILNS1_3genE10ELNS1_11target_archE1201ELNS1_3gpuE5ELNS1_3repE0EEENS1_30default_config_static_selectorELNS0_4arch9wavefront6targetE1EEEvT1_
	.globl	_ZN7rocprim17ROCPRIM_400000_NS6detail17trampoline_kernelINS0_14default_configENS1_20scan_config_selectorIxEEZZNS1_9scan_implILNS1_25lookback_scan_determinismE0ELb0ELb0ES3_N6thrust23THRUST_200600_302600_NS6detail15normal_iteratorINS9_10device_ptrIxEEEESE_xNS9_4plusIvEExEEDaPvRmT3_T4_T5_mT6_P12ihipStream_tbENKUlT_T0_E_clISt17integral_constantIbLb0EESU_EEDaSP_SQ_EUlSP_E_NS1_11comp_targetILNS1_3genE10ELNS1_11target_archE1201ELNS1_3gpuE5ELNS1_3repE0EEENS1_30default_config_static_selectorELNS0_4arch9wavefront6targetE1EEEvT1_
	.p2align	8
	.type	_ZN7rocprim17ROCPRIM_400000_NS6detail17trampoline_kernelINS0_14default_configENS1_20scan_config_selectorIxEEZZNS1_9scan_implILNS1_25lookback_scan_determinismE0ELb0ELb0ES3_N6thrust23THRUST_200600_302600_NS6detail15normal_iteratorINS9_10device_ptrIxEEEESE_xNS9_4plusIvEExEEDaPvRmT3_T4_T5_mT6_P12ihipStream_tbENKUlT_T0_E_clISt17integral_constantIbLb0EESU_EEDaSP_SQ_EUlSP_E_NS1_11comp_targetILNS1_3genE10ELNS1_11target_archE1201ELNS1_3gpuE5ELNS1_3repE0EEENS1_30default_config_static_selectorELNS0_4arch9wavefront6targetE1EEEvT1_,@function
_ZN7rocprim17ROCPRIM_400000_NS6detail17trampoline_kernelINS0_14default_configENS1_20scan_config_selectorIxEEZZNS1_9scan_implILNS1_25lookback_scan_determinismE0ELb0ELb0ES3_N6thrust23THRUST_200600_302600_NS6detail15normal_iteratorINS9_10device_ptrIxEEEESE_xNS9_4plusIvEExEEDaPvRmT3_T4_T5_mT6_P12ihipStream_tbENKUlT_T0_E_clISt17integral_constantIbLb0EESU_EEDaSP_SQ_EUlSP_E_NS1_11comp_targetILNS1_3genE10ELNS1_11target_archE1201ELNS1_3gpuE5ELNS1_3repE0EEENS1_30default_config_static_selectorELNS0_4arch9wavefront6targetE1EEEvT1_: ; @_ZN7rocprim17ROCPRIM_400000_NS6detail17trampoline_kernelINS0_14default_configENS1_20scan_config_selectorIxEEZZNS1_9scan_implILNS1_25lookback_scan_determinismE0ELb0ELb0ES3_N6thrust23THRUST_200600_302600_NS6detail15normal_iteratorINS9_10device_ptrIxEEEESE_xNS9_4plusIvEExEEDaPvRmT3_T4_T5_mT6_P12ihipStream_tbENKUlT_T0_E_clISt17integral_constantIbLb0EESU_EEDaSP_SQ_EUlSP_E_NS1_11comp_targetILNS1_3genE10ELNS1_11target_archE1201ELNS1_3gpuE5ELNS1_3repE0EEENS1_30default_config_static_selectorELNS0_4arch9wavefront6targetE1EEEvT1_
; %bb.0:
	.section	.rodata,"a",@progbits
	.p2align	6, 0x0
	.amdhsa_kernel _ZN7rocprim17ROCPRIM_400000_NS6detail17trampoline_kernelINS0_14default_configENS1_20scan_config_selectorIxEEZZNS1_9scan_implILNS1_25lookback_scan_determinismE0ELb0ELb0ES3_N6thrust23THRUST_200600_302600_NS6detail15normal_iteratorINS9_10device_ptrIxEEEESE_xNS9_4plusIvEExEEDaPvRmT3_T4_T5_mT6_P12ihipStream_tbENKUlT_T0_E_clISt17integral_constantIbLb0EESU_EEDaSP_SQ_EUlSP_E_NS1_11comp_targetILNS1_3genE10ELNS1_11target_archE1201ELNS1_3gpuE5ELNS1_3repE0EEENS1_30default_config_static_selectorELNS0_4arch9wavefront6targetE1EEEvT1_
		.amdhsa_group_segment_fixed_size 0
		.amdhsa_private_segment_fixed_size 0
		.amdhsa_kernarg_size 104
		.amdhsa_user_sgpr_count 6
		.amdhsa_user_sgpr_private_segment_buffer 1
		.amdhsa_user_sgpr_dispatch_ptr 0
		.amdhsa_user_sgpr_queue_ptr 0
		.amdhsa_user_sgpr_kernarg_segment_ptr 1
		.amdhsa_user_sgpr_dispatch_id 0
		.amdhsa_user_sgpr_flat_scratch_init 0
		.amdhsa_user_sgpr_kernarg_preload_length 0
		.amdhsa_user_sgpr_kernarg_preload_offset 0
		.amdhsa_user_sgpr_private_segment_size 0
		.amdhsa_uses_dynamic_stack 0
		.amdhsa_system_sgpr_private_segment_wavefront_offset 0
		.amdhsa_system_sgpr_workgroup_id_x 1
		.amdhsa_system_sgpr_workgroup_id_y 0
		.amdhsa_system_sgpr_workgroup_id_z 0
		.amdhsa_system_sgpr_workgroup_info 0
		.amdhsa_system_vgpr_workitem_id 0
		.amdhsa_next_free_vgpr 1
		.amdhsa_next_free_sgpr 0
		.amdhsa_accum_offset 4
		.amdhsa_reserve_vcc 0
		.amdhsa_reserve_flat_scratch 0
		.amdhsa_float_round_mode_32 0
		.amdhsa_float_round_mode_16_64 0
		.amdhsa_float_denorm_mode_32 3
		.amdhsa_float_denorm_mode_16_64 3
		.amdhsa_dx10_clamp 1
		.amdhsa_ieee_mode 1
		.amdhsa_fp16_overflow 0
		.amdhsa_tg_split 0
		.amdhsa_exception_fp_ieee_invalid_op 0
		.amdhsa_exception_fp_denorm_src 0
		.amdhsa_exception_fp_ieee_div_zero 0
		.amdhsa_exception_fp_ieee_overflow 0
		.amdhsa_exception_fp_ieee_underflow 0
		.amdhsa_exception_fp_ieee_inexact 0
		.amdhsa_exception_int_div_zero 0
	.end_amdhsa_kernel
	.section	.text._ZN7rocprim17ROCPRIM_400000_NS6detail17trampoline_kernelINS0_14default_configENS1_20scan_config_selectorIxEEZZNS1_9scan_implILNS1_25lookback_scan_determinismE0ELb0ELb0ES3_N6thrust23THRUST_200600_302600_NS6detail15normal_iteratorINS9_10device_ptrIxEEEESE_xNS9_4plusIvEExEEDaPvRmT3_T4_T5_mT6_P12ihipStream_tbENKUlT_T0_E_clISt17integral_constantIbLb0EESU_EEDaSP_SQ_EUlSP_E_NS1_11comp_targetILNS1_3genE10ELNS1_11target_archE1201ELNS1_3gpuE5ELNS1_3repE0EEENS1_30default_config_static_selectorELNS0_4arch9wavefront6targetE1EEEvT1_,"axG",@progbits,_ZN7rocprim17ROCPRIM_400000_NS6detail17trampoline_kernelINS0_14default_configENS1_20scan_config_selectorIxEEZZNS1_9scan_implILNS1_25lookback_scan_determinismE0ELb0ELb0ES3_N6thrust23THRUST_200600_302600_NS6detail15normal_iteratorINS9_10device_ptrIxEEEESE_xNS9_4plusIvEExEEDaPvRmT3_T4_T5_mT6_P12ihipStream_tbENKUlT_T0_E_clISt17integral_constantIbLb0EESU_EEDaSP_SQ_EUlSP_E_NS1_11comp_targetILNS1_3genE10ELNS1_11target_archE1201ELNS1_3gpuE5ELNS1_3repE0EEENS1_30default_config_static_selectorELNS0_4arch9wavefront6targetE1EEEvT1_,comdat
.Lfunc_end9:
	.size	_ZN7rocprim17ROCPRIM_400000_NS6detail17trampoline_kernelINS0_14default_configENS1_20scan_config_selectorIxEEZZNS1_9scan_implILNS1_25lookback_scan_determinismE0ELb0ELb0ES3_N6thrust23THRUST_200600_302600_NS6detail15normal_iteratorINS9_10device_ptrIxEEEESE_xNS9_4plusIvEExEEDaPvRmT3_T4_T5_mT6_P12ihipStream_tbENKUlT_T0_E_clISt17integral_constantIbLb0EESU_EEDaSP_SQ_EUlSP_E_NS1_11comp_targetILNS1_3genE10ELNS1_11target_archE1201ELNS1_3gpuE5ELNS1_3repE0EEENS1_30default_config_static_selectorELNS0_4arch9wavefront6targetE1EEEvT1_, .Lfunc_end9-_ZN7rocprim17ROCPRIM_400000_NS6detail17trampoline_kernelINS0_14default_configENS1_20scan_config_selectorIxEEZZNS1_9scan_implILNS1_25lookback_scan_determinismE0ELb0ELb0ES3_N6thrust23THRUST_200600_302600_NS6detail15normal_iteratorINS9_10device_ptrIxEEEESE_xNS9_4plusIvEExEEDaPvRmT3_T4_T5_mT6_P12ihipStream_tbENKUlT_T0_E_clISt17integral_constantIbLb0EESU_EEDaSP_SQ_EUlSP_E_NS1_11comp_targetILNS1_3genE10ELNS1_11target_archE1201ELNS1_3gpuE5ELNS1_3repE0EEENS1_30default_config_static_selectorELNS0_4arch9wavefront6targetE1EEEvT1_
                                        ; -- End function
	.section	.AMDGPU.csdata,"",@progbits
; Kernel info:
; codeLenInByte = 0
; NumSgprs: 4
; NumVgprs: 0
; NumAgprs: 0
; TotalNumVgprs: 0
; ScratchSize: 0
; MemoryBound: 0
; FloatMode: 240
; IeeeMode: 1
; LDSByteSize: 0 bytes/workgroup (compile time only)
; SGPRBlocks: 0
; VGPRBlocks: 0
; NumSGPRsForWavesPerEU: 4
; NumVGPRsForWavesPerEU: 1
; AccumOffset: 4
; Occupancy: 8
; WaveLimiterHint : 0
; COMPUTE_PGM_RSRC2:SCRATCH_EN: 0
; COMPUTE_PGM_RSRC2:USER_SGPR: 6
; COMPUTE_PGM_RSRC2:TRAP_HANDLER: 0
; COMPUTE_PGM_RSRC2:TGID_X_EN: 1
; COMPUTE_PGM_RSRC2:TGID_Y_EN: 0
; COMPUTE_PGM_RSRC2:TGID_Z_EN: 0
; COMPUTE_PGM_RSRC2:TIDIG_COMP_CNT: 0
; COMPUTE_PGM_RSRC3_GFX90A:ACCUM_OFFSET: 0
; COMPUTE_PGM_RSRC3_GFX90A:TG_SPLIT: 0
	.section	.text._ZN7rocprim17ROCPRIM_400000_NS6detail17trampoline_kernelINS0_14default_configENS1_20scan_config_selectorIxEEZZNS1_9scan_implILNS1_25lookback_scan_determinismE0ELb0ELb0ES3_N6thrust23THRUST_200600_302600_NS6detail15normal_iteratorINS9_10device_ptrIxEEEESE_xNS9_4plusIvEExEEDaPvRmT3_T4_T5_mT6_P12ihipStream_tbENKUlT_T0_E_clISt17integral_constantIbLb0EESU_EEDaSP_SQ_EUlSP_E_NS1_11comp_targetILNS1_3genE10ELNS1_11target_archE1200ELNS1_3gpuE4ELNS1_3repE0EEENS1_30default_config_static_selectorELNS0_4arch9wavefront6targetE1EEEvT1_,"axG",@progbits,_ZN7rocprim17ROCPRIM_400000_NS6detail17trampoline_kernelINS0_14default_configENS1_20scan_config_selectorIxEEZZNS1_9scan_implILNS1_25lookback_scan_determinismE0ELb0ELb0ES3_N6thrust23THRUST_200600_302600_NS6detail15normal_iteratorINS9_10device_ptrIxEEEESE_xNS9_4plusIvEExEEDaPvRmT3_T4_T5_mT6_P12ihipStream_tbENKUlT_T0_E_clISt17integral_constantIbLb0EESU_EEDaSP_SQ_EUlSP_E_NS1_11comp_targetILNS1_3genE10ELNS1_11target_archE1200ELNS1_3gpuE4ELNS1_3repE0EEENS1_30default_config_static_selectorELNS0_4arch9wavefront6targetE1EEEvT1_,comdat
	.protected	_ZN7rocprim17ROCPRIM_400000_NS6detail17trampoline_kernelINS0_14default_configENS1_20scan_config_selectorIxEEZZNS1_9scan_implILNS1_25lookback_scan_determinismE0ELb0ELb0ES3_N6thrust23THRUST_200600_302600_NS6detail15normal_iteratorINS9_10device_ptrIxEEEESE_xNS9_4plusIvEExEEDaPvRmT3_T4_T5_mT6_P12ihipStream_tbENKUlT_T0_E_clISt17integral_constantIbLb0EESU_EEDaSP_SQ_EUlSP_E_NS1_11comp_targetILNS1_3genE10ELNS1_11target_archE1200ELNS1_3gpuE4ELNS1_3repE0EEENS1_30default_config_static_selectorELNS0_4arch9wavefront6targetE1EEEvT1_ ; -- Begin function _ZN7rocprim17ROCPRIM_400000_NS6detail17trampoline_kernelINS0_14default_configENS1_20scan_config_selectorIxEEZZNS1_9scan_implILNS1_25lookback_scan_determinismE0ELb0ELb0ES3_N6thrust23THRUST_200600_302600_NS6detail15normal_iteratorINS9_10device_ptrIxEEEESE_xNS9_4plusIvEExEEDaPvRmT3_T4_T5_mT6_P12ihipStream_tbENKUlT_T0_E_clISt17integral_constantIbLb0EESU_EEDaSP_SQ_EUlSP_E_NS1_11comp_targetILNS1_3genE10ELNS1_11target_archE1200ELNS1_3gpuE4ELNS1_3repE0EEENS1_30default_config_static_selectorELNS0_4arch9wavefront6targetE1EEEvT1_
	.globl	_ZN7rocprim17ROCPRIM_400000_NS6detail17trampoline_kernelINS0_14default_configENS1_20scan_config_selectorIxEEZZNS1_9scan_implILNS1_25lookback_scan_determinismE0ELb0ELb0ES3_N6thrust23THRUST_200600_302600_NS6detail15normal_iteratorINS9_10device_ptrIxEEEESE_xNS9_4plusIvEExEEDaPvRmT3_T4_T5_mT6_P12ihipStream_tbENKUlT_T0_E_clISt17integral_constantIbLb0EESU_EEDaSP_SQ_EUlSP_E_NS1_11comp_targetILNS1_3genE10ELNS1_11target_archE1200ELNS1_3gpuE4ELNS1_3repE0EEENS1_30default_config_static_selectorELNS0_4arch9wavefront6targetE1EEEvT1_
	.p2align	8
	.type	_ZN7rocprim17ROCPRIM_400000_NS6detail17trampoline_kernelINS0_14default_configENS1_20scan_config_selectorIxEEZZNS1_9scan_implILNS1_25lookback_scan_determinismE0ELb0ELb0ES3_N6thrust23THRUST_200600_302600_NS6detail15normal_iteratorINS9_10device_ptrIxEEEESE_xNS9_4plusIvEExEEDaPvRmT3_T4_T5_mT6_P12ihipStream_tbENKUlT_T0_E_clISt17integral_constantIbLb0EESU_EEDaSP_SQ_EUlSP_E_NS1_11comp_targetILNS1_3genE10ELNS1_11target_archE1200ELNS1_3gpuE4ELNS1_3repE0EEENS1_30default_config_static_selectorELNS0_4arch9wavefront6targetE1EEEvT1_,@function
_ZN7rocprim17ROCPRIM_400000_NS6detail17trampoline_kernelINS0_14default_configENS1_20scan_config_selectorIxEEZZNS1_9scan_implILNS1_25lookback_scan_determinismE0ELb0ELb0ES3_N6thrust23THRUST_200600_302600_NS6detail15normal_iteratorINS9_10device_ptrIxEEEESE_xNS9_4plusIvEExEEDaPvRmT3_T4_T5_mT6_P12ihipStream_tbENKUlT_T0_E_clISt17integral_constantIbLb0EESU_EEDaSP_SQ_EUlSP_E_NS1_11comp_targetILNS1_3genE10ELNS1_11target_archE1200ELNS1_3gpuE4ELNS1_3repE0EEENS1_30default_config_static_selectorELNS0_4arch9wavefront6targetE1EEEvT1_: ; @_ZN7rocprim17ROCPRIM_400000_NS6detail17trampoline_kernelINS0_14default_configENS1_20scan_config_selectorIxEEZZNS1_9scan_implILNS1_25lookback_scan_determinismE0ELb0ELb0ES3_N6thrust23THRUST_200600_302600_NS6detail15normal_iteratorINS9_10device_ptrIxEEEESE_xNS9_4plusIvEExEEDaPvRmT3_T4_T5_mT6_P12ihipStream_tbENKUlT_T0_E_clISt17integral_constantIbLb0EESU_EEDaSP_SQ_EUlSP_E_NS1_11comp_targetILNS1_3genE10ELNS1_11target_archE1200ELNS1_3gpuE4ELNS1_3repE0EEENS1_30default_config_static_selectorELNS0_4arch9wavefront6targetE1EEEvT1_
; %bb.0:
	.section	.rodata,"a",@progbits
	.p2align	6, 0x0
	.amdhsa_kernel _ZN7rocprim17ROCPRIM_400000_NS6detail17trampoline_kernelINS0_14default_configENS1_20scan_config_selectorIxEEZZNS1_9scan_implILNS1_25lookback_scan_determinismE0ELb0ELb0ES3_N6thrust23THRUST_200600_302600_NS6detail15normal_iteratorINS9_10device_ptrIxEEEESE_xNS9_4plusIvEExEEDaPvRmT3_T4_T5_mT6_P12ihipStream_tbENKUlT_T0_E_clISt17integral_constantIbLb0EESU_EEDaSP_SQ_EUlSP_E_NS1_11comp_targetILNS1_3genE10ELNS1_11target_archE1200ELNS1_3gpuE4ELNS1_3repE0EEENS1_30default_config_static_selectorELNS0_4arch9wavefront6targetE1EEEvT1_
		.amdhsa_group_segment_fixed_size 0
		.amdhsa_private_segment_fixed_size 0
		.amdhsa_kernarg_size 104
		.amdhsa_user_sgpr_count 6
		.amdhsa_user_sgpr_private_segment_buffer 1
		.amdhsa_user_sgpr_dispatch_ptr 0
		.amdhsa_user_sgpr_queue_ptr 0
		.amdhsa_user_sgpr_kernarg_segment_ptr 1
		.amdhsa_user_sgpr_dispatch_id 0
		.amdhsa_user_sgpr_flat_scratch_init 0
		.amdhsa_user_sgpr_kernarg_preload_length 0
		.amdhsa_user_sgpr_kernarg_preload_offset 0
		.amdhsa_user_sgpr_private_segment_size 0
		.amdhsa_uses_dynamic_stack 0
		.amdhsa_system_sgpr_private_segment_wavefront_offset 0
		.amdhsa_system_sgpr_workgroup_id_x 1
		.amdhsa_system_sgpr_workgroup_id_y 0
		.amdhsa_system_sgpr_workgroup_id_z 0
		.amdhsa_system_sgpr_workgroup_info 0
		.amdhsa_system_vgpr_workitem_id 0
		.amdhsa_next_free_vgpr 1
		.amdhsa_next_free_sgpr 0
		.amdhsa_accum_offset 4
		.amdhsa_reserve_vcc 0
		.amdhsa_reserve_flat_scratch 0
		.amdhsa_float_round_mode_32 0
		.amdhsa_float_round_mode_16_64 0
		.amdhsa_float_denorm_mode_32 3
		.amdhsa_float_denorm_mode_16_64 3
		.amdhsa_dx10_clamp 1
		.amdhsa_ieee_mode 1
		.amdhsa_fp16_overflow 0
		.amdhsa_tg_split 0
		.amdhsa_exception_fp_ieee_invalid_op 0
		.amdhsa_exception_fp_denorm_src 0
		.amdhsa_exception_fp_ieee_div_zero 0
		.amdhsa_exception_fp_ieee_overflow 0
		.amdhsa_exception_fp_ieee_underflow 0
		.amdhsa_exception_fp_ieee_inexact 0
		.amdhsa_exception_int_div_zero 0
	.end_amdhsa_kernel
	.section	.text._ZN7rocprim17ROCPRIM_400000_NS6detail17trampoline_kernelINS0_14default_configENS1_20scan_config_selectorIxEEZZNS1_9scan_implILNS1_25lookback_scan_determinismE0ELb0ELb0ES3_N6thrust23THRUST_200600_302600_NS6detail15normal_iteratorINS9_10device_ptrIxEEEESE_xNS9_4plusIvEExEEDaPvRmT3_T4_T5_mT6_P12ihipStream_tbENKUlT_T0_E_clISt17integral_constantIbLb0EESU_EEDaSP_SQ_EUlSP_E_NS1_11comp_targetILNS1_3genE10ELNS1_11target_archE1200ELNS1_3gpuE4ELNS1_3repE0EEENS1_30default_config_static_selectorELNS0_4arch9wavefront6targetE1EEEvT1_,"axG",@progbits,_ZN7rocprim17ROCPRIM_400000_NS6detail17trampoline_kernelINS0_14default_configENS1_20scan_config_selectorIxEEZZNS1_9scan_implILNS1_25lookback_scan_determinismE0ELb0ELb0ES3_N6thrust23THRUST_200600_302600_NS6detail15normal_iteratorINS9_10device_ptrIxEEEESE_xNS9_4plusIvEExEEDaPvRmT3_T4_T5_mT6_P12ihipStream_tbENKUlT_T0_E_clISt17integral_constantIbLb0EESU_EEDaSP_SQ_EUlSP_E_NS1_11comp_targetILNS1_3genE10ELNS1_11target_archE1200ELNS1_3gpuE4ELNS1_3repE0EEENS1_30default_config_static_selectorELNS0_4arch9wavefront6targetE1EEEvT1_,comdat
.Lfunc_end10:
	.size	_ZN7rocprim17ROCPRIM_400000_NS6detail17trampoline_kernelINS0_14default_configENS1_20scan_config_selectorIxEEZZNS1_9scan_implILNS1_25lookback_scan_determinismE0ELb0ELb0ES3_N6thrust23THRUST_200600_302600_NS6detail15normal_iteratorINS9_10device_ptrIxEEEESE_xNS9_4plusIvEExEEDaPvRmT3_T4_T5_mT6_P12ihipStream_tbENKUlT_T0_E_clISt17integral_constantIbLb0EESU_EEDaSP_SQ_EUlSP_E_NS1_11comp_targetILNS1_3genE10ELNS1_11target_archE1200ELNS1_3gpuE4ELNS1_3repE0EEENS1_30default_config_static_selectorELNS0_4arch9wavefront6targetE1EEEvT1_, .Lfunc_end10-_ZN7rocprim17ROCPRIM_400000_NS6detail17trampoline_kernelINS0_14default_configENS1_20scan_config_selectorIxEEZZNS1_9scan_implILNS1_25lookback_scan_determinismE0ELb0ELb0ES3_N6thrust23THRUST_200600_302600_NS6detail15normal_iteratorINS9_10device_ptrIxEEEESE_xNS9_4plusIvEExEEDaPvRmT3_T4_T5_mT6_P12ihipStream_tbENKUlT_T0_E_clISt17integral_constantIbLb0EESU_EEDaSP_SQ_EUlSP_E_NS1_11comp_targetILNS1_3genE10ELNS1_11target_archE1200ELNS1_3gpuE4ELNS1_3repE0EEENS1_30default_config_static_selectorELNS0_4arch9wavefront6targetE1EEEvT1_
                                        ; -- End function
	.section	.AMDGPU.csdata,"",@progbits
; Kernel info:
; codeLenInByte = 0
; NumSgprs: 4
; NumVgprs: 0
; NumAgprs: 0
; TotalNumVgprs: 0
; ScratchSize: 0
; MemoryBound: 0
; FloatMode: 240
; IeeeMode: 1
; LDSByteSize: 0 bytes/workgroup (compile time only)
; SGPRBlocks: 0
; VGPRBlocks: 0
; NumSGPRsForWavesPerEU: 4
; NumVGPRsForWavesPerEU: 1
; AccumOffset: 4
; Occupancy: 8
; WaveLimiterHint : 0
; COMPUTE_PGM_RSRC2:SCRATCH_EN: 0
; COMPUTE_PGM_RSRC2:USER_SGPR: 6
; COMPUTE_PGM_RSRC2:TRAP_HANDLER: 0
; COMPUTE_PGM_RSRC2:TGID_X_EN: 1
; COMPUTE_PGM_RSRC2:TGID_Y_EN: 0
; COMPUTE_PGM_RSRC2:TGID_Z_EN: 0
; COMPUTE_PGM_RSRC2:TIDIG_COMP_CNT: 0
; COMPUTE_PGM_RSRC3_GFX90A:ACCUM_OFFSET: 0
; COMPUTE_PGM_RSRC3_GFX90A:TG_SPLIT: 0
	.section	.text._ZN7rocprim17ROCPRIM_400000_NS6detail17trampoline_kernelINS0_14default_configENS1_20scan_config_selectorIxEEZZNS1_9scan_implILNS1_25lookback_scan_determinismE0ELb0ELb0ES3_N6thrust23THRUST_200600_302600_NS6detail15normal_iteratorINS9_10device_ptrIxEEEESE_xNS9_4plusIvEExEEDaPvRmT3_T4_T5_mT6_P12ihipStream_tbENKUlT_T0_E_clISt17integral_constantIbLb0EESU_EEDaSP_SQ_EUlSP_E_NS1_11comp_targetILNS1_3genE9ELNS1_11target_archE1100ELNS1_3gpuE3ELNS1_3repE0EEENS1_30default_config_static_selectorELNS0_4arch9wavefront6targetE1EEEvT1_,"axG",@progbits,_ZN7rocprim17ROCPRIM_400000_NS6detail17trampoline_kernelINS0_14default_configENS1_20scan_config_selectorIxEEZZNS1_9scan_implILNS1_25lookback_scan_determinismE0ELb0ELb0ES3_N6thrust23THRUST_200600_302600_NS6detail15normal_iteratorINS9_10device_ptrIxEEEESE_xNS9_4plusIvEExEEDaPvRmT3_T4_T5_mT6_P12ihipStream_tbENKUlT_T0_E_clISt17integral_constantIbLb0EESU_EEDaSP_SQ_EUlSP_E_NS1_11comp_targetILNS1_3genE9ELNS1_11target_archE1100ELNS1_3gpuE3ELNS1_3repE0EEENS1_30default_config_static_selectorELNS0_4arch9wavefront6targetE1EEEvT1_,comdat
	.protected	_ZN7rocprim17ROCPRIM_400000_NS6detail17trampoline_kernelINS0_14default_configENS1_20scan_config_selectorIxEEZZNS1_9scan_implILNS1_25lookback_scan_determinismE0ELb0ELb0ES3_N6thrust23THRUST_200600_302600_NS6detail15normal_iteratorINS9_10device_ptrIxEEEESE_xNS9_4plusIvEExEEDaPvRmT3_T4_T5_mT6_P12ihipStream_tbENKUlT_T0_E_clISt17integral_constantIbLb0EESU_EEDaSP_SQ_EUlSP_E_NS1_11comp_targetILNS1_3genE9ELNS1_11target_archE1100ELNS1_3gpuE3ELNS1_3repE0EEENS1_30default_config_static_selectorELNS0_4arch9wavefront6targetE1EEEvT1_ ; -- Begin function _ZN7rocprim17ROCPRIM_400000_NS6detail17trampoline_kernelINS0_14default_configENS1_20scan_config_selectorIxEEZZNS1_9scan_implILNS1_25lookback_scan_determinismE0ELb0ELb0ES3_N6thrust23THRUST_200600_302600_NS6detail15normal_iteratorINS9_10device_ptrIxEEEESE_xNS9_4plusIvEExEEDaPvRmT3_T4_T5_mT6_P12ihipStream_tbENKUlT_T0_E_clISt17integral_constantIbLb0EESU_EEDaSP_SQ_EUlSP_E_NS1_11comp_targetILNS1_3genE9ELNS1_11target_archE1100ELNS1_3gpuE3ELNS1_3repE0EEENS1_30default_config_static_selectorELNS0_4arch9wavefront6targetE1EEEvT1_
	.globl	_ZN7rocprim17ROCPRIM_400000_NS6detail17trampoline_kernelINS0_14default_configENS1_20scan_config_selectorIxEEZZNS1_9scan_implILNS1_25lookback_scan_determinismE0ELb0ELb0ES3_N6thrust23THRUST_200600_302600_NS6detail15normal_iteratorINS9_10device_ptrIxEEEESE_xNS9_4plusIvEExEEDaPvRmT3_T4_T5_mT6_P12ihipStream_tbENKUlT_T0_E_clISt17integral_constantIbLb0EESU_EEDaSP_SQ_EUlSP_E_NS1_11comp_targetILNS1_3genE9ELNS1_11target_archE1100ELNS1_3gpuE3ELNS1_3repE0EEENS1_30default_config_static_selectorELNS0_4arch9wavefront6targetE1EEEvT1_
	.p2align	8
	.type	_ZN7rocprim17ROCPRIM_400000_NS6detail17trampoline_kernelINS0_14default_configENS1_20scan_config_selectorIxEEZZNS1_9scan_implILNS1_25lookback_scan_determinismE0ELb0ELb0ES3_N6thrust23THRUST_200600_302600_NS6detail15normal_iteratorINS9_10device_ptrIxEEEESE_xNS9_4plusIvEExEEDaPvRmT3_T4_T5_mT6_P12ihipStream_tbENKUlT_T0_E_clISt17integral_constantIbLb0EESU_EEDaSP_SQ_EUlSP_E_NS1_11comp_targetILNS1_3genE9ELNS1_11target_archE1100ELNS1_3gpuE3ELNS1_3repE0EEENS1_30default_config_static_selectorELNS0_4arch9wavefront6targetE1EEEvT1_,@function
_ZN7rocprim17ROCPRIM_400000_NS6detail17trampoline_kernelINS0_14default_configENS1_20scan_config_selectorIxEEZZNS1_9scan_implILNS1_25lookback_scan_determinismE0ELb0ELb0ES3_N6thrust23THRUST_200600_302600_NS6detail15normal_iteratorINS9_10device_ptrIxEEEESE_xNS9_4plusIvEExEEDaPvRmT3_T4_T5_mT6_P12ihipStream_tbENKUlT_T0_E_clISt17integral_constantIbLb0EESU_EEDaSP_SQ_EUlSP_E_NS1_11comp_targetILNS1_3genE9ELNS1_11target_archE1100ELNS1_3gpuE3ELNS1_3repE0EEENS1_30default_config_static_selectorELNS0_4arch9wavefront6targetE1EEEvT1_: ; @_ZN7rocprim17ROCPRIM_400000_NS6detail17trampoline_kernelINS0_14default_configENS1_20scan_config_selectorIxEEZZNS1_9scan_implILNS1_25lookback_scan_determinismE0ELb0ELb0ES3_N6thrust23THRUST_200600_302600_NS6detail15normal_iteratorINS9_10device_ptrIxEEEESE_xNS9_4plusIvEExEEDaPvRmT3_T4_T5_mT6_P12ihipStream_tbENKUlT_T0_E_clISt17integral_constantIbLb0EESU_EEDaSP_SQ_EUlSP_E_NS1_11comp_targetILNS1_3genE9ELNS1_11target_archE1100ELNS1_3gpuE3ELNS1_3repE0EEENS1_30default_config_static_selectorELNS0_4arch9wavefront6targetE1EEEvT1_
; %bb.0:
	.section	.rodata,"a",@progbits
	.p2align	6, 0x0
	.amdhsa_kernel _ZN7rocprim17ROCPRIM_400000_NS6detail17trampoline_kernelINS0_14default_configENS1_20scan_config_selectorIxEEZZNS1_9scan_implILNS1_25lookback_scan_determinismE0ELb0ELb0ES3_N6thrust23THRUST_200600_302600_NS6detail15normal_iteratorINS9_10device_ptrIxEEEESE_xNS9_4plusIvEExEEDaPvRmT3_T4_T5_mT6_P12ihipStream_tbENKUlT_T0_E_clISt17integral_constantIbLb0EESU_EEDaSP_SQ_EUlSP_E_NS1_11comp_targetILNS1_3genE9ELNS1_11target_archE1100ELNS1_3gpuE3ELNS1_3repE0EEENS1_30default_config_static_selectorELNS0_4arch9wavefront6targetE1EEEvT1_
		.amdhsa_group_segment_fixed_size 0
		.amdhsa_private_segment_fixed_size 0
		.amdhsa_kernarg_size 104
		.amdhsa_user_sgpr_count 6
		.amdhsa_user_sgpr_private_segment_buffer 1
		.amdhsa_user_sgpr_dispatch_ptr 0
		.amdhsa_user_sgpr_queue_ptr 0
		.amdhsa_user_sgpr_kernarg_segment_ptr 1
		.amdhsa_user_sgpr_dispatch_id 0
		.amdhsa_user_sgpr_flat_scratch_init 0
		.amdhsa_user_sgpr_kernarg_preload_length 0
		.amdhsa_user_sgpr_kernarg_preload_offset 0
		.amdhsa_user_sgpr_private_segment_size 0
		.amdhsa_uses_dynamic_stack 0
		.amdhsa_system_sgpr_private_segment_wavefront_offset 0
		.amdhsa_system_sgpr_workgroup_id_x 1
		.amdhsa_system_sgpr_workgroup_id_y 0
		.amdhsa_system_sgpr_workgroup_id_z 0
		.amdhsa_system_sgpr_workgroup_info 0
		.amdhsa_system_vgpr_workitem_id 0
		.amdhsa_next_free_vgpr 1
		.amdhsa_next_free_sgpr 0
		.amdhsa_accum_offset 4
		.amdhsa_reserve_vcc 0
		.amdhsa_reserve_flat_scratch 0
		.amdhsa_float_round_mode_32 0
		.amdhsa_float_round_mode_16_64 0
		.amdhsa_float_denorm_mode_32 3
		.amdhsa_float_denorm_mode_16_64 3
		.amdhsa_dx10_clamp 1
		.amdhsa_ieee_mode 1
		.amdhsa_fp16_overflow 0
		.amdhsa_tg_split 0
		.amdhsa_exception_fp_ieee_invalid_op 0
		.amdhsa_exception_fp_denorm_src 0
		.amdhsa_exception_fp_ieee_div_zero 0
		.amdhsa_exception_fp_ieee_overflow 0
		.amdhsa_exception_fp_ieee_underflow 0
		.amdhsa_exception_fp_ieee_inexact 0
		.amdhsa_exception_int_div_zero 0
	.end_amdhsa_kernel
	.section	.text._ZN7rocprim17ROCPRIM_400000_NS6detail17trampoline_kernelINS0_14default_configENS1_20scan_config_selectorIxEEZZNS1_9scan_implILNS1_25lookback_scan_determinismE0ELb0ELb0ES3_N6thrust23THRUST_200600_302600_NS6detail15normal_iteratorINS9_10device_ptrIxEEEESE_xNS9_4plusIvEExEEDaPvRmT3_T4_T5_mT6_P12ihipStream_tbENKUlT_T0_E_clISt17integral_constantIbLb0EESU_EEDaSP_SQ_EUlSP_E_NS1_11comp_targetILNS1_3genE9ELNS1_11target_archE1100ELNS1_3gpuE3ELNS1_3repE0EEENS1_30default_config_static_selectorELNS0_4arch9wavefront6targetE1EEEvT1_,"axG",@progbits,_ZN7rocprim17ROCPRIM_400000_NS6detail17trampoline_kernelINS0_14default_configENS1_20scan_config_selectorIxEEZZNS1_9scan_implILNS1_25lookback_scan_determinismE0ELb0ELb0ES3_N6thrust23THRUST_200600_302600_NS6detail15normal_iteratorINS9_10device_ptrIxEEEESE_xNS9_4plusIvEExEEDaPvRmT3_T4_T5_mT6_P12ihipStream_tbENKUlT_T0_E_clISt17integral_constantIbLb0EESU_EEDaSP_SQ_EUlSP_E_NS1_11comp_targetILNS1_3genE9ELNS1_11target_archE1100ELNS1_3gpuE3ELNS1_3repE0EEENS1_30default_config_static_selectorELNS0_4arch9wavefront6targetE1EEEvT1_,comdat
.Lfunc_end11:
	.size	_ZN7rocprim17ROCPRIM_400000_NS6detail17trampoline_kernelINS0_14default_configENS1_20scan_config_selectorIxEEZZNS1_9scan_implILNS1_25lookback_scan_determinismE0ELb0ELb0ES3_N6thrust23THRUST_200600_302600_NS6detail15normal_iteratorINS9_10device_ptrIxEEEESE_xNS9_4plusIvEExEEDaPvRmT3_T4_T5_mT6_P12ihipStream_tbENKUlT_T0_E_clISt17integral_constantIbLb0EESU_EEDaSP_SQ_EUlSP_E_NS1_11comp_targetILNS1_3genE9ELNS1_11target_archE1100ELNS1_3gpuE3ELNS1_3repE0EEENS1_30default_config_static_selectorELNS0_4arch9wavefront6targetE1EEEvT1_, .Lfunc_end11-_ZN7rocprim17ROCPRIM_400000_NS6detail17trampoline_kernelINS0_14default_configENS1_20scan_config_selectorIxEEZZNS1_9scan_implILNS1_25lookback_scan_determinismE0ELb0ELb0ES3_N6thrust23THRUST_200600_302600_NS6detail15normal_iteratorINS9_10device_ptrIxEEEESE_xNS9_4plusIvEExEEDaPvRmT3_T4_T5_mT6_P12ihipStream_tbENKUlT_T0_E_clISt17integral_constantIbLb0EESU_EEDaSP_SQ_EUlSP_E_NS1_11comp_targetILNS1_3genE9ELNS1_11target_archE1100ELNS1_3gpuE3ELNS1_3repE0EEENS1_30default_config_static_selectorELNS0_4arch9wavefront6targetE1EEEvT1_
                                        ; -- End function
	.section	.AMDGPU.csdata,"",@progbits
; Kernel info:
; codeLenInByte = 0
; NumSgprs: 4
; NumVgprs: 0
; NumAgprs: 0
; TotalNumVgprs: 0
; ScratchSize: 0
; MemoryBound: 0
; FloatMode: 240
; IeeeMode: 1
; LDSByteSize: 0 bytes/workgroup (compile time only)
; SGPRBlocks: 0
; VGPRBlocks: 0
; NumSGPRsForWavesPerEU: 4
; NumVGPRsForWavesPerEU: 1
; AccumOffset: 4
; Occupancy: 8
; WaveLimiterHint : 0
; COMPUTE_PGM_RSRC2:SCRATCH_EN: 0
; COMPUTE_PGM_RSRC2:USER_SGPR: 6
; COMPUTE_PGM_RSRC2:TRAP_HANDLER: 0
; COMPUTE_PGM_RSRC2:TGID_X_EN: 1
; COMPUTE_PGM_RSRC2:TGID_Y_EN: 0
; COMPUTE_PGM_RSRC2:TGID_Z_EN: 0
; COMPUTE_PGM_RSRC2:TIDIG_COMP_CNT: 0
; COMPUTE_PGM_RSRC3_GFX90A:ACCUM_OFFSET: 0
; COMPUTE_PGM_RSRC3_GFX90A:TG_SPLIT: 0
	.section	.text._ZN7rocprim17ROCPRIM_400000_NS6detail17trampoline_kernelINS0_14default_configENS1_20scan_config_selectorIxEEZZNS1_9scan_implILNS1_25lookback_scan_determinismE0ELb0ELb0ES3_N6thrust23THRUST_200600_302600_NS6detail15normal_iteratorINS9_10device_ptrIxEEEESE_xNS9_4plusIvEExEEDaPvRmT3_T4_T5_mT6_P12ihipStream_tbENKUlT_T0_E_clISt17integral_constantIbLb0EESU_EEDaSP_SQ_EUlSP_E_NS1_11comp_targetILNS1_3genE8ELNS1_11target_archE1030ELNS1_3gpuE2ELNS1_3repE0EEENS1_30default_config_static_selectorELNS0_4arch9wavefront6targetE1EEEvT1_,"axG",@progbits,_ZN7rocprim17ROCPRIM_400000_NS6detail17trampoline_kernelINS0_14default_configENS1_20scan_config_selectorIxEEZZNS1_9scan_implILNS1_25lookback_scan_determinismE0ELb0ELb0ES3_N6thrust23THRUST_200600_302600_NS6detail15normal_iteratorINS9_10device_ptrIxEEEESE_xNS9_4plusIvEExEEDaPvRmT3_T4_T5_mT6_P12ihipStream_tbENKUlT_T0_E_clISt17integral_constantIbLb0EESU_EEDaSP_SQ_EUlSP_E_NS1_11comp_targetILNS1_3genE8ELNS1_11target_archE1030ELNS1_3gpuE2ELNS1_3repE0EEENS1_30default_config_static_selectorELNS0_4arch9wavefront6targetE1EEEvT1_,comdat
	.protected	_ZN7rocprim17ROCPRIM_400000_NS6detail17trampoline_kernelINS0_14default_configENS1_20scan_config_selectorIxEEZZNS1_9scan_implILNS1_25lookback_scan_determinismE0ELb0ELb0ES3_N6thrust23THRUST_200600_302600_NS6detail15normal_iteratorINS9_10device_ptrIxEEEESE_xNS9_4plusIvEExEEDaPvRmT3_T4_T5_mT6_P12ihipStream_tbENKUlT_T0_E_clISt17integral_constantIbLb0EESU_EEDaSP_SQ_EUlSP_E_NS1_11comp_targetILNS1_3genE8ELNS1_11target_archE1030ELNS1_3gpuE2ELNS1_3repE0EEENS1_30default_config_static_selectorELNS0_4arch9wavefront6targetE1EEEvT1_ ; -- Begin function _ZN7rocprim17ROCPRIM_400000_NS6detail17trampoline_kernelINS0_14default_configENS1_20scan_config_selectorIxEEZZNS1_9scan_implILNS1_25lookback_scan_determinismE0ELb0ELb0ES3_N6thrust23THRUST_200600_302600_NS6detail15normal_iteratorINS9_10device_ptrIxEEEESE_xNS9_4plusIvEExEEDaPvRmT3_T4_T5_mT6_P12ihipStream_tbENKUlT_T0_E_clISt17integral_constantIbLb0EESU_EEDaSP_SQ_EUlSP_E_NS1_11comp_targetILNS1_3genE8ELNS1_11target_archE1030ELNS1_3gpuE2ELNS1_3repE0EEENS1_30default_config_static_selectorELNS0_4arch9wavefront6targetE1EEEvT1_
	.globl	_ZN7rocprim17ROCPRIM_400000_NS6detail17trampoline_kernelINS0_14default_configENS1_20scan_config_selectorIxEEZZNS1_9scan_implILNS1_25lookback_scan_determinismE0ELb0ELb0ES3_N6thrust23THRUST_200600_302600_NS6detail15normal_iteratorINS9_10device_ptrIxEEEESE_xNS9_4plusIvEExEEDaPvRmT3_T4_T5_mT6_P12ihipStream_tbENKUlT_T0_E_clISt17integral_constantIbLb0EESU_EEDaSP_SQ_EUlSP_E_NS1_11comp_targetILNS1_3genE8ELNS1_11target_archE1030ELNS1_3gpuE2ELNS1_3repE0EEENS1_30default_config_static_selectorELNS0_4arch9wavefront6targetE1EEEvT1_
	.p2align	8
	.type	_ZN7rocprim17ROCPRIM_400000_NS6detail17trampoline_kernelINS0_14default_configENS1_20scan_config_selectorIxEEZZNS1_9scan_implILNS1_25lookback_scan_determinismE0ELb0ELb0ES3_N6thrust23THRUST_200600_302600_NS6detail15normal_iteratorINS9_10device_ptrIxEEEESE_xNS9_4plusIvEExEEDaPvRmT3_T4_T5_mT6_P12ihipStream_tbENKUlT_T0_E_clISt17integral_constantIbLb0EESU_EEDaSP_SQ_EUlSP_E_NS1_11comp_targetILNS1_3genE8ELNS1_11target_archE1030ELNS1_3gpuE2ELNS1_3repE0EEENS1_30default_config_static_selectorELNS0_4arch9wavefront6targetE1EEEvT1_,@function
_ZN7rocprim17ROCPRIM_400000_NS6detail17trampoline_kernelINS0_14default_configENS1_20scan_config_selectorIxEEZZNS1_9scan_implILNS1_25lookback_scan_determinismE0ELb0ELb0ES3_N6thrust23THRUST_200600_302600_NS6detail15normal_iteratorINS9_10device_ptrIxEEEESE_xNS9_4plusIvEExEEDaPvRmT3_T4_T5_mT6_P12ihipStream_tbENKUlT_T0_E_clISt17integral_constantIbLb0EESU_EEDaSP_SQ_EUlSP_E_NS1_11comp_targetILNS1_3genE8ELNS1_11target_archE1030ELNS1_3gpuE2ELNS1_3repE0EEENS1_30default_config_static_selectorELNS0_4arch9wavefront6targetE1EEEvT1_: ; @_ZN7rocprim17ROCPRIM_400000_NS6detail17trampoline_kernelINS0_14default_configENS1_20scan_config_selectorIxEEZZNS1_9scan_implILNS1_25lookback_scan_determinismE0ELb0ELb0ES3_N6thrust23THRUST_200600_302600_NS6detail15normal_iteratorINS9_10device_ptrIxEEEESE_xNS9_4plusIvEExEEDaPvRmT3_T4_T5_mT6_P12ihipStream_tbENKUlT_T0_E_clISt17integral_constantIbLb0EESU_EEDaSP_SQ_EUlSP_E_NS1_11comp_targetILNS1_3genE8ELNS1_11target_archE1030ELNS1_3gpuE2ELNS1_3repE0EEENS1_30default_config_static_selectorELNS0_4arch9wavefront6targetE1EEEvT1_
; %bb.0:
	.section	.rodata,"a",@progbits
	.p2align	6, 0x0
	.amdhsa_kernel _ZN7rocprim17ROCPRIM_400000_NS6detail17trampoline_kernelINS0_14default_configENS1_20scan_config_selectorIxEEZZNS1_9scan_implILNS1_25lookback_scan_determinismE0ELb0ELb0ES3_N6thrust23THRUST_200600_302600_NS6detail15normal_iteratorINS9_10device_ptrIxEEEESE_xNS9_4plusIvEExEEDaPvRmT3_T4_T5_mT6_P12ihipStream_tbENKUlT_T0_E_clISt17integral_constantIbLb0EESU_EEDaSP_SQ_EUlSP_E_NS1_11comp_targetILNS1_3genE8ELNS1_11target_archE1030ELNS1_3gpuE2ELNS1_3repE0EEENS1_30default_config_static_selectorELNS0_4arch9wavefront6targetE1EEEvT1_
		.amdhsa_group_segment_fixed_size 0
		.amdhsa_private_segment_fixed_size 0
		.amdhsa_kernarg_size 104
		.amdhsa_user_sgpr_count 6
		.amdhsa_user_sgpr_private_segment_buffer 1
		.amdhsa_user_sgpr_dispatch_ptr 0
		.amdhsa_user_sgpr_queue_ptr 0
		.amdhsa_user_sgpr_kernarg_segment_ptr 1
		.amdhsa_user_sgpr_dispatch_id 0
		.amdhsa_user_sgpr_flat_scratch_init 0
		.amdhsa_user_sgpr_kernarg_preload_length 0
		.amdhsa_user_sgpr_kernarg_preload_offset 0
		.amdhsa_user_sgpr_private_segment_size 0
		.amdhsa_uses_dynamic_stack 0
		.amdhsa_system_sgpr_private_segment_wavefront_offset 0
		.amdhsa_system_sgpr_workgroup_id_x 1
		.amdhsa_system_sgpr_workgroup_id_y 0
		.amdhsa_system_sgpr_workgroup_id_z 0
		.amdhsa_system_sgpr_workgroup_info 0
		.amdhsa_system_vgpr_workitem_id 0
		.amdhsa_next_free_vgpr 1
		.amdhsa_next_free_sgpr 0
		.amdhsa_accum_offset 4
		.amdhsa_reserve_vcc 0
		.amdhsa_reserve_flat_scratch 0
		.amdhsa_float_round_mode_32 0
		.amdhsa_float_round_mode_16_64 0
		.amdhsa_float_denorm_mode_32 3
		.amdhsa_float_denorm_mode_16_64 3
		.amdhsa_dx10_clamp 1
		.amdhsa_ieee_mode 1
		.amdhsa_fp16_overflow 0
		.amdhsa_tg_split 0
		.amdhsa_exception_fp_ieee_invalid_op 0
		.amdhsa_exception_fp_denorm_src 0
		.amdhsa_exception_fp_ieee_div_zero 0
		.amdhsa_exception_fp_ieee_overflow 0
		.amdhsa_exception_fp_ieee_underflow 0
		.amdhsa_exception_fp_ieee_inexact 0
		.amdhsa_exception_int_div_zero 0
	.end_amdhsa_kernel
	.section	.text._ZN7rocprim17ROCPRIM_400000_NS6detail17trampoline_kernelINS0_14default_configENS1_20scan_config_selectorIxEEZZNS1_9scan_implILNS1_25lookback_scan_determinismE0ELb0ELb0ES3_N6thrust23THRUST_200600_302600_NS6detail15normal_iteratorINS9_10device_ptrIxEEEESE_xNS9_4plusIvEExEEDaPvRmT3_T4_T5_mT6_P12ihipStream_tbENKUlT_T0_E_clISt17integral_constantIbLb0EESU_EEDaSP_SQ_EUlSP_E_NS1_11comp_targetILNS1_3genE8ELNS1_11target_archE1030ELNS1_3gpuE2ELNS1_3repE0EEENS1_30default_config_static_selectorELNS0_4arch9wavefront6targetE1EEEvT1_,"axG",@progbits,_ZN7rocprim17ROCPRIM_400000_NS6detail17trampoline_kernelINS0_14default_configENS1_20scan_config_selectorIxEEZZNS1_9scan_implILNS1_25lookback_scan_determinismE0ELb0ELb0ES3_N6thrust23THRUST_200600_302600_NS6detail15normal_iteratorINS9_10device_ptrIxEEEESE_xNS9_4plusIvEExEEDaPvRmT3_T4_T5_mT6_P12ihipStream_tbENKUlT_T0_E_clISt17integral_constantIbLb0EESU_EEDaSP_SQ_EUlSP_E_NS1_11comp_targetILNS1_3genE8ELNS1_11target_archE1030ELNS1_3gpuE2ELNS1_3repE0EEENS1_30default_config_static_selectorELNS0_4arch9wavefront6targetE1EEEvT1_,comdat
.Lfunc_end12:
	.size	_ZN7rocprim17ROCPRIM_400000_NS6detail17trampoline_kernelINS0_14default_configENS1_20scan_config_selectorIxEEZZNS1_9scan_implILNS1_25lookback_scan_determinismE0ELb0ELb0ES3_N6thrust23THRUST_200600_302600_NS6detail15normal_iteratorINS9_10device_ptrIxEEEESE_xNS9_4plusIvEExEEDaPvRmT3_T4_T5_mT6_P12ihipStream_tbENKUlT_T0_E_clISt17integral_constantIbLb0EESU_EEDaSP_SQ_EUlSP_E_NS1_11comp_targetILNS1_3genE8ELNS1_11target_archE1030ELNS1_3gpuE2ELNS1_3repE0EEENS1_30default_config_static_selectorELNS0_4arch9wavefront6targetE1EEEvT1_, .Lfunc_end12-_ZN7rocprim17ROCPRIM_400000_NS6detail17trampoline_kernelINS0_14default_configENS1_20scan_config_selectorIxEEZZNS1_9scan_implILNS1_25lookback_scan_determinismE0ELb0ELb0ES3_N6thrust23THRUST_200600_302600_NS6detail15normal_iteratorINS9_10device_ptrIxEEEESE_xNS9_4plusIvEExEEDaPvRmT3_T4_T5_mT6_P12ihipStream_tbENKUlT_T0_E_clISt17integral_constantIbLb0EESU_EEDaSP_SQ_EUlSP_E_NS1_11comp_targetILNS1_3genE8ELNS1_11target_archE1030ELNS1_3gpuE2ELNS1_3repE0EEENS1_30default_config_static_selectorELNS0_4arch9wavefront6targetE1EEEvT1_
                                        ; -- End function
	.section	.AMDGPU.csdata,"",@progbits
; Kernel info:
; codeLenInByte = 0
; NumSgprs: 4
; NumVgprs: 0
; NumAgprs: 0
; TotalNumVgprs: 0
; ScratchSize: 0
; MemoryBound: 0
; FloatMode: 240
; IeeeMode: 1
; LDSByteSize: 0 bytes/workgroup (compile time only)
; SGPRBlocks: 0
; VGPRBlocks: 0
; NumSGPRsForWavesPerEU: 4
; NumVGPRsForWavesPerEU: 1
; AccumOffset: 4
; Occupancy: 8
; WaveLimiterHint : 0
; COMPUTE_PGM_RSRC2:SCRATCH_EN: 0
; COMPUTE_PGM_RSRC2:USER_SGPR: 6
; COMPUTE_PGM_RSRC2:TRAP_HANDLER: 0
; COMPUTE_PGM_RSRC2:TGID_X_EN: 1
; COMPUTE_PGM_RSRC2:TGID_Y_EN: 0
; COMPUTE_PGM_RSRC2:TGID_Z_EN: 0
; COMPUTE_PGM_RSRC2:TIDIG_COMP_CNT: 0
; COMPUTE_PGM_RSRC3_GFX90A:ACCUM_OFFSET: 0
; COMPUTE_PGM_RSRC3_GFX90A:TG_SPLIT: 0
	.section	.text._ZN7rocprim17ROCPRIM_400000_NS6detail17trampoline_kernelINS0_14default_configENS1_25transform_config_selectorIxLb1EEEZNS1_14transform_implILb1ES3_S5_PxS7_NS0_8identityIxEEEE10hipError_tT2_T3_mT4_P12ihipStream_tbEUlT_E_NS1_11comp_targetILNS1_3genE0ELNS1_11target_archE4294967295ELNS1_3gpuE0ELNS1_3repE0EEENS1_30default_config_static_selectorELNS0_4arch9wavefront6targetE1EEEvT1_,"axG",@progbits,_ZN7rocprim17ROCPRIM_400000_NS6detail17trampoline_kernelINS0_14default_configENS1_25transform_config_selectorIxLb1EEEZNS1_14transform_implILb1ES3_S5_PxS7_NS0_8identityIxEEEE10hipError_tT2_T3_mT4_P12ihipStream_tbEUlT_E_NS1_11comp_targetILNS1_3genE0ELNS1_11target_archE4294967295ELNS1_3gpuE0ELNS1_3repE0EEENS1_30default_config_static_selectorELNS0_4arch9wavefront6targetE1EEEvT1_,comdat
	.protected	_ZN7rocprim17ROCPRIM_400000_NS6detail17trampoline_kernelINS0_14default_configENS1_25transform_config_selectorIxLb1EEEZNS1_14transform_implILb1ES3_S5_PxS7_NS0_8identityIxEEEE10hipError_tT2_T3_mT4_P12ihipStream_tbEUlT_E_NS1_11comp_targetILNS1_3genE0ELNS1_11target_archE4294967295ELNS1_3gpuE0ELNS1_3repE0EEENS1_30default_config_static_selectorELNS0_4arch9wavefront6targetE1EEEvT1_ ; -- Begin function _ZN7rocprim17ROCPRIM_400000_NS6detail17trampoline_kernelINS0_14default_configENS1_25transform_config_selectorIxLb1EEEZNS1_14transform_implILb1ES3_S5_PxS7_NS0_8identityIxEEEE10hipError_tT2_T3_mT4_P12ihipStream_tbEUlT_E_NS1_11comp_targetILNS1_3genE0ELNS1_11target_archE4294967295ELNS1_3gpuE0ELNS1_3repE0EEENS1_30default_config_static_selectorELNS0_4arch9wavefront6targetE1EEEvT1_
	.globl	_ZN7rocprim17ROCPRIM_400000_NS6detail17trampoline_kernelINS0_14default_configENS1_25transform_config_selectorIxLb1EEEZNS1_14transform_implILb1ES3_S5_PxS7_NS0_8identityIxEEEE10hipError_tT2_T3_mT4_P12ihipStream_tbEUlT_E_NS1_11comp_targetILNS1_3genE0ELNS1_11target_archE4294967295ELNS1_3gpuE0ELNS1_3repE0EEENS1_30default_config_static_selectorELNS0_4arch9wavefront6targetE1EEEvT1_
	.p2align	8
	.type	_ZN7rocprim17ROCPRIM_400000_NS6detail17trampoline_kernelINS0_14default_configENS1_25transform_config_selectorIxLb1EEEZNS1_14transform_implILb1ES3_S5_PxS7_NS0_8identityIxEEEE10hipError_tT2_T3_mT4_P12ihipStream_tbEUlT_E_NS1_11comp_targetILNS1_3genE0ELNS1_11target_archE4294967295ELNS1_3gpuE0ELNS1_3repE0EEENS1_30default_config_static_selectorELNS0_4arch9wavefront6targetE1EEEvT1_,@function
_ZN7rocprim17ROCPRIM_400000_NS6detail17trampoline_kernelINS0_14default_configENS1_25transform_config_selectorIxLb1EEEZNS1_14transform_implILb1ES3_S5_PxS7_NS0_8identityIxEEEE10hipError_tT2_T3_mT4_P12ihipStream_tbEUlT_E_NS1_11comp_targetILNS1_3genE0ELNS1_11target_archE4294967295ELNS1_3gpuE0ELNS1_3repE0EEENS1_30default_config_static_selectorELNS0_4arch9wavefront6targetE1EEEvT1_: ; @_ZN7rocprim17ROCPRIM_400000_NS6detail17trampoline_kernelINS0_14default_configENS1_25transform_config_selectorIxLb1EEEZNS1_14transform_implILb1ES3_S5_PxS7_NS0_8identityIxEEEE10hipError_tT2_T3_mT4_P12ihipStream_tbEUlT_E_NS1_11comp_targetILNS1_3genE0ELNS1_11target_archE4294967295ELNS1_3gpuE0ELNS1_3repE0EEENS1_30default_config_static_selectorELNS0_4arch9wavefront6targetE1EEEvT1_
; %bb.0:
	.section	.rodata,"a",@progbits
	.p2align	6, 0x0
	.amdhsa_kernel _ZN7rocprim17ROCPRIM_400000_NS6detail17trampoline_kernelINS0_14default_configENS1_25transform_config_selectorIxLb1EEEZNS1_14transform_implILb1ES3_S5_PxS7_NS0_8identityIxEEEE10hipError_tT2_T3_mT4_P12ihipStream_tbEUlT_E_NS1_11comp_targetILNS1_3genE0ELNS1_11target_archE4294967295ELNS1_3gpuE0ELNS1_3repE0EEENS1_30default_config_static_selectorELNS0_4arch9wavefront6targetE1EEEvT1_
		.amdhsa_group_segment_fixed_size 0
		.amdhsa_private_segment_fixed_size 0
		.amdhsa_kernarg_size 40
		.amdhsa_user_sgpr_count 6
		.amdhsa_user_sgpr_private_segment_buffer 1
		.amdhsa_user_sgpr_dispatch_ptr 0
		.amdhsa_user_sgpr_queue_ptr 0
		.amdhsa_user_sgpr_kernarg_segment_ptr 1
		.amdhsa_user_sgpr_dispatch_id 0
		.amdhsa_user_sgpr_flat_scratch_init 0
		.amdhsa_user_sgpr_kernarg_preload_length 0
		.amdhsa_user_sgpr_kernarg_preload_offset 0
		.amdhsa_user_sgpr_private_segment_size 0
		.amdhsa_uses_dynamic_stack 0
		.amdhsa_system_sgpr_private_segment_wavefront_offset 0
		.amdhsa_system_sgpr_workgroup_id_x 1
		.amdhsa_system_sgpr_workgroup_id_y 0
		.amdhsa_system_sgpr_workgroup_id_z 0
		.amdhsa_system_sgpr_workgroup_info 0
		.amdhsa_system_vgpr_workitem_id 0
		.amdhsa_next_free_vgpr 1
		.amdhsa_next_free_sgpr 0
		.amdhsa_accum_offset 4
		.amdhsa_reserve_vcc 0
		.amdhsa_reserve_flat_scratch 0
		.amdhsa_float_round_mode_32 0
		.amdhsa_float_round_mode_16_64 0
		.amdhsa_float_denorm_mode_32 3
		.amdhsa_float_denorm_mode_16_64 3
		.amdhsa_dx10_clamp 1
		.amdhsa_ieee_mode 1
		.amdhsa_fp16_overflow 0
		.amdhsa_tg_split 0
		.amdhsa_exception_fp_ieee_invalid_op 0
		.amdhsa_exception_fp_denorm_src 0
		.amdhsa_exception_fp_ieee_div_zero 0
		.amdhsa_exception_fp_ieee_overflow 0
		.amdhsa_exception_fp_ieee_underflow 0
		.amdhsa_exception_fp_ieee_inexact 0
		.amdhsa_exception_int_div_zero 0
	.end_amdhsa_kernel
	.section	.text._ZN7rocprim17ROCPRIM_400000_NS6detail17trampoline_kernelINS0_14default_configENS1_25transform_config_selectorIxLb1EEEZNS1_14transform_implILb1ES3_S5_PxS7_NS0_8identityIxEEEE10hipError_tT2_T3_mT4_P12ihipStream_tbEUlT_E_NS1_11comp_targetILNS1_3genE0ELNS1_11target_archE4294967295ELNS1_3gpuE0ELNS1_3repE0EEENS1_30default_config_static_selectorELNS0_4arch9wavefront6targetE1EEEvT1_,"axG",@progbits,_ZN7rocprim17ROCPRIM_400000_NS6detail17trampoline_kernelINS0_14default_configENS1_25transform_config_selectorIxLb1EEEZNS1_14transform_implILb1ES3_S5_PxS7_NS0_8identityIxEEEE10hipError_tT2_T3_mT4_P12ihipStream_tbEUlT_E_NS1_11comp_targetILNS1_3genE0ELNS1_11target_archE4294967295ELNS1_3gpuE0ELNS1_3repE0EEENS1_30default_config_static_selectorELNS0_4arch9wavefront6targetE1EEEvT1_,comdat
.Lfunc_end13:
	.size	_ZN7rocprim17ROCPRIM_400000_NS6detail17trampoline_kernelINS0_14default_configENS1_25transform_config_selectorIxLb1EEEZNS1_14transform_implILb1ES3_S5_PxS7_NS0_8identityIxEEEE10hipError_tT2_T3_mT4_P12ihipStream_tbEUlT_E_NS1_11comp_targetILNS1_3genE0ELNS1_11target_archE4294967295ELNS1_3gpuE0ELNS1_3repE0EEENS1_30default_config_static_selectorELNS0_4arch9wavefront6targetE1EEEvT1_, .Lfunc_end13-_ZN7rocprim17ROCPRIM_400000_NS6detail17trampoline_kernelINS0_14default_configENS1_25transform_config_selectorIxLb1EEEZNS1_14transform_implILb1ES3_S5_PxS7_NS0_8identityIxEEEE10hipError_tT2_T3_mT4_P12ihipStream_tbEUlT_E_NS1_11comp_targetILNS1_3genE0ELNS1_11target_archE4294967295ELNS1_3gpuE0ELNS1_3repE0EEENS1_30default_config_static_selectorELNS0_4arch9wavefront6targetE1EEEvT1_
                                        ; -- End function
	.section	.AMDGPU.csdata,"",@progbits
; Kernel info:
; codeLenInByte = 0
; NumSgprs: 4
; NumVgprs: 0
; NumAgprs: 0
; TotalNumVgprs: 0
; ScratchSize: 0
; MemoryBound: 0
; FloatMode: 240
; IeeeMode: 1
; LDSByteSize: 0 bytes/workgroup (compile time only)
; SGPRBlocks: 0
; VGPRBlocks: 0
; NumSGPRsForWavesPerEU: 4
; NumVGPRsForWavesPerEU: 1
; AccumOffset: 4
; Occupancy: 8
; WaveLimiterHint : 0
; COMPUTE_PGM_RSRC2:SCRATCH_EN: 0
; COMPUTE_PGM_RSRC2:USER_SGPR: 6
; COMPUTE_PGM_RSRC2:TRAP_HANDLER: 0
; COMPUTE_PGM_RSRC2:TGID_X_EN: 1
; COMPUTE_PGM_RSRC2:TGID_Y_EN: 0
; COMPUTE_PGM_RSRC2:TGID_Z_EN: 0
; COMPUTE_PGM_RSRC2:TIDIG_COMP_CNT: 0
; COMPUTE_PGM_RSRC3_GFX90A:ACCUM_OFFSET: 0
; COMPUTE_PGM_RSRC3_GFX90A:TG_SPLIT: 0
	.section	.text._ZN7rocprim17ROCPRIM_400000_NS6detail17trampoline_kernelINS0_14default_configENS1_25transform_config_selectorIxLb1EEEZNS1_14transform_implILb1ES3_S5_PxS7_NS0_8identityIxEEEE10hipError_tT2_T3_mT4_P12ihipStream_tbEUlT_E_NS1_11comp_targetILNS1_3genE10ELNS1_11target_archE1201ELNS1_3gpuE5ELNS1_3repE0EEENS1_30default_config_static_selectorELNS0_4arch9wavefront6targetE1EEEvT1_,"axG",@progbits,_ZN7rocprim17ROCPRIM_400000_NS6detail17trampoline_kernelINS0_14default_configENS1_25transform_config_selectorIxLb1EEEZNS1_14transform_implILb1ES3_S5_PxS7_NS0_8identityIxEEEE10hipError_tT2_T3_mT4_P12ihipStream_tbEUlT_E_NS1_11comp_targetILNS1_3genE10ELNS1_11target_archE1201ELNS1_3gpuE5ELNS1_3repE0EEENS1_30default_config_static_selectorELNS0_4arch9wavefront6targetE1EEEvT1_,comdat
	.protected	_ZN7rocprim17ROCPRIM_400000_NS6detail17trampoline_kernelINS0_14default_configENS1_25transform_config_selectorIxLb1EEEZNS1_14transform_implILb1ES3_S5_PxS7_NS0_8identityIxEEEE10hipError_tT2_T3_mT4_P12ihipStream_tbEUlT_E_NS1_11comp_targetILNS1_3genE10ELNS1_11target_archE1201ELNS1_3gpuE5ELNS1_3repE0EEENS1_30default_config_static_selectorELNS0_4arch9wavefront6targetE1EEEvT1_ ; -- Begin function _ZN7rocprim17ROCPRIM_400000_NS6detail17trampoline_kernelINS0_14default_configENS1_25transform_config_selectorIxLb1EEEZNS1_14transform_implILb1ES3_S5_PxS7_NS0_8identityIxEEEE10hipError_tT2_T3_mT4_P12ihipStream_tbEUlT_E_NS1_11comp_targetILNS1_3genE10ELNS1_11target_archE1201ELNS1_3gpuE5ELNS1_3repE0EEENS1_30default_config_static_selectorELNS0_4arch9wavefront6targetE1EEEvT1_
	.globl	_ZN7rocprim17ROCPRIM_400000_NS6detail17trampoline_kernelINS0_14default_configENS1_25transform_config_selectorIxLb1EEEZNS1_14transform_implILb1ES3_S5_PxS7_NS0_8identityIxEEEE10hipError_tT2_T3_mT4_P12ihipStream_tbEUlT_E_NS1_11comp_targetILNS1_3genE10ELNS1_11target_archE1201ELNS1_3gpuE5ELNS1_3repE0EEENS1_30default_config_static_selectorELNS0_4arch9wavefront6targetE1EEEvT1_
	.p2align	8
	.type	_ZN7rocprim17ROCPRIM_400000_NS6detail17trampoline_kernelINS0_14default_configENS1_25transform_config_selectorIxLb1EEEZNS1_14transform_implILb1ES3_S5_PxS7_NS0_8identityIxEEEE10hipError_tT2_T3_mT4_P12ihipStream_tbEUlT_E_NS1_11comp_targetILNS1_3genE10ELNS1_11target_archE1201ELNS1_3gpuE5ELNS1_3repE0EEENS1_30default_config_static_selectorELNS0_4arch9wavefront6targetE1EEEvT1_,@function
_ZN7rocprim17ROCPRIM_400000_NS6detail17trampoline_kernelINS0_14default_configENS1_25transform_config_selectorIxLb1EEEZNS1_14transform_implILb1ES3_S5_PxS7_NS0_8identityIxEEEE10hipError_tT2_T3_mT4_P12ihipStream_tbEUlT_E_NS1_11comp_targetILNS1_3genE10ELNS1_11target_archE1201ELNS1_3gpuE5ELNS1_3repE0EEENS1_30default_config_static_selectorELNS0_4arch9wavefront6targetE1EEEvT1_: ; @_ZN7rocprim17ROCPRIM_400000_NS6detail17trampoline_kernelINS0_14default_configENS1_25transform_config_selectorIxLb1EEEZNS1_14transform_implILb1ES3_S5_PxS7_NS0_8identityIxEEEE10hipError_tT2_T3_mT4_P12ihipStream_tbEUlT_E_NS1_11comp_targetILNS1_3genE10ELNS1_11target_archE1201ELNS1_3gpuE5ELNS1_3repE0EEENS1_30default_config_static_selectorELNS0_4arch9wavefront6targetE1EEEvT1_
; %bb.0:
	.section	.rodata,"a",@progbits
	.p2align	6, 0x0
	.amdhsa_kernel _ZN7rocprim17ROCPRIM_400000_NS6detail17trampoline_kernelINS0_14default_configENS1_25transform_config_selectorIxLb1EEEZNS1_14transform_implILb1ES3_S5_PxS7_NS0_8identityIxEEEE10hipError_tT2_T3_mT4_P12ihipStream_tbEUlT_E_NS1_11comp_targetILNS1_3genE10ELNS1_11target_archE1201ELNS1_3gpuE5ELNS1_3repE0EEENS1_30default_config_static_selectorELNS0_4arch9wavefront6targetE1EEEvT1_
		.amdhsa_group_segment_fixed_size 0
		.amdhsa_private_segment_fixed_size 0
		.amdhsa_kernarg_size 40
		.amdhsa_user_sgpr_count 6
		.amdhsa_user_sgpr_private_segment_buffer 1
		.amdhsa_user_sgpr_dispatch_ptr 0
		.amdhsa_user_sgpr_queue_ptr 0
		.amdhsa_user_sgpr_kernarg_segment_ptr 1
		.amdhsa_user_sgpr_dispatch_id 0
		.amdhsa_user_sgpr_flat_scratch_init 0
		.amdhsa_user_sgpr_kernarg_preload_length 0
		.amdhsa_user_sgpr_kernarg_preload_offset 0
		.amdhsa_user_sgpr_private_segment_size 0
		.amdhsa_uses_dynamic_stack 0
		.amdhsa_system_sgpr_private_segment_wavefront_offset 0
		.amdhsa_system_sgpr_workgroup_id_x 1
		.amdhsa_system_sgpr_workgroup_id_y 0
		.amdhsa_system_sgpr_workgroup_id_z 0
		.amdhsa_system_sgpr_workgroup_info 0
		.amdhsa_system_vgpr_workitem_id 0
		.amdhsa_next_free_vgpr 1
		.amdhsa_next_free_sgpr 0
		.amdhsa_accum_offset 4
		.amdhsa_reserve_vcc 0
		.amdhsa_reserve_flat_scratch 0
		.amdhsa_float_round_mode_32 0
		.amdhsa_float_round_mode_16_64 0
		.amdhsa_float_denorm_mode_32 3
		.amdhsa_float_denorm_mode_16_64 3
		.amdhsa_dx10_clamp 1
		.amdhsa_ieee_mode 1
		.amdhsa_fp16_overflow 0
		.amdhsa_tg_split 0
		.amdhsa_exception_fp_ieee_invalid_op 0
		.amdhsa_exception_fp_denorm_src 0
		.amdhsa_exception_fp_ieee_div_zero 0
		.amdhsa_exception_fp_ieee_overflow 0
		.amdhsa_exception_fp_ieee_underflow 0
		.amdhsa_exception_fp_ieee_inexact 0
		.amdhsa_exception_int_div_zero 0
	.end_amdhsa_kernel
	.section	.text._ZN7rocprim17ROCPRIM_400000_NS6detail17trampoline_kernelINS0_14default_configENS1_25transform_config_selectorIxLb1EEEZNS1_14transform_implILb1ES3_S5_PxS7_NS0_8identityIxEEEE10hipError_tT2_T3_mT4_P12ihipStream_tbEUlT_E_NS1_11comp_targetILNS1_3genE10ELNS1_11target_archE1201ELNS1_3gpuE5ELNS1_3repE0EEENS1_30default_config_static_selectorELNS0_4arch9wavefront6targetE1EEEvT1_,"axG",@progbits,_ZN7rocprim17ROCPRIM_400000_NS6detail17trampoline_kernelINS0_14default_configENS1_25transform_config_selectorIxLb1EEEZNS1_14transform_implILb1ES3_S5_PxS7_NS0_8identityIxEEEE10hipError_tT2_T3_mT4_P12ihipStream_tbEUlT_E_NS1_11comp_targetILNS1_3genE10ELNS1_11target_archE1201ELNS1_3gpuE5ELNS1_3repE0EEENS1_30default_config_static_selectorELNS0_4arch9wavefront6targetE1EEEvT1_,comdat
.Lfunc_end14:
	.size	_ZN7rocprim17ROCPRIM_400000_NS6detail17trampoline_kernelINS0_14default_configENS1_25transform_config_selectorIxLb1EEEZNS1_14transform_implILb1ES3_S5_PxS7_NS0_8identityIxEEEE10hipError_tT2_T3_mT4_P12ihipStream_tbEUlT_E_NS1_11comp_targetILNS1_3genE10ELNS1_11target_archE1201ELNS1_3gpuE5ELNS1_3repE0EEENS1_30default_config_static_selectorELNS0_4arch9wavefront6targetE1EEEvT1_, .Lfunc_end14-_ZN7rocprim17ROCPRIM_400000_NS6detail17trampoline_kernelINS0_14default_configENS1_25transform_config_selectorIxLb1EEEZNS1_14transform_implILb1ES3_S5_PxS7_NS0_8identityIxEEEE10hipError_tT2_T3_mT4_P12ihipStream_tbEUlT_E_NS1_11comp_targetILNS1_3genE10ELNS1_11target_archE1201ELNS1_3gpuE5ELNS1_3repE0EEENS1_30default_config_static_selectorELNS0_4arch9wavefront6targetE1EEEvT1_
                                        ; -- End function
	.section	.AMDGPU.csdata,"",@progbits
; Kernel info:
; codeLenInByte = 0
; NumSgprs: 4
; NumVgprs: 0
; NumAgprs: 0
; TotalNumVgprs: 0
; ScratchSize: 0
; MemoryBound: 0
; FloatMode: 240
; IeeeMode: 1
; LDSByteSize: 0 bytes/workgroup (compile time only)
; SGPRBlocks: 0
; VGPRBlocks: 0
; NumSGPRsForWavesPerEU: 4
; NumVGPRsForWavesPerEU: 1
; AccumOffset: 4
; Occupancy: 8
; WaveLimiterHint : 0
; COMPUTE_PGM_RSRC2:SCRATCH_EN: 0
; COMPUTE_PGM_RSRC2:USER_SGPR: 6
; COMPUTE_PGM_RSRC2:TRAP_HANDLER: 0
; COMPUTE_PGM_RSRC2:TGID_X_EN: 1
; COMPUTE_PGM_RSRC2:TGID_Y_EN: 0
; COMPUTE_PGM_RSRC2:TGID_Z_EN: 0
; COMPUTE_PGM_RSRC2:TIDIG_COMP_CNT: 0
; COMPUTE_PGM_RSRC3_GFX90A:ACCUM_OFFSET: 0
; COMPUTE_PGM_RSRC3_GFX90A:TG_SPLIT: 0
	.section	.text._ZN7rocprim17ROCPRIM_400000_NS6detail17trampoline_kernelINS0_14default_configENS1_25transform_config_selectorIxLb1EEEZNS1_14transform_implILb1ES3_S5_PxS7_NS0_8identityIxEEEE10hipError_tT2_T3_mT4_P12ihipStream_tbEUlT_E_NS1_11comp_targetILNS1_3genE5ELNS1_11target_archE942ELNS1_3gpuE9ELNS1_3repE0EEENS1_30default_config_static_selectorELNS0_4arch9wavefront6targetE1EEEvT1_,"axG",@progbits,_ZN7rocprim17ROCPRIM_400000_NS6detail17trampoline_kernelINS0_14default_configENS1_25transform_config_selectorIxLb1EEEZNS1_14transform_implILb1ES3_S5_PxS7_NS0_8identityIxEEEE10hipError_tT2_T3_mT4_P12ihipStream_tbEUlT_E_NS1_11comp_targetILNS1_3genE5ELNS1_11target_archE942ELNS1_3gpuE9ELNS1_3repE0EEENS1_30default_config_static_selectorELNS0_4arch9wavefront6targetE1EEEvT1_,comdat
	.protected	_ZN7rocprim17ROCPRIM_400000_NS6detail17trampoline_kernelINS0_14default_configENS1_25transform_config_selectorIxLb1EEEZNS1_14transform_implILb1ES3_S5_PxS7_NS0_8identityIxEEEE10hipError_tT2_T3_mT4_P12ihipStream_tbEUlT_E_NS1_11comp_targetILNS1_3genE5ELNS1_11target_archE942ELNS1_3gpuE9ELNS1_3repE0EEENS1_30default_config_static_selectorELNS0_4arch9wavefront6targetE1EEEvT1_ ; -- Begin function _ZN7rocprim17ROCPRIM_400000_NS6detail17trampoline_kernelINS0_14default_configENS1_25transform_config_selectorIxLb1EEEZNS1_14transform_implILb1ES3_S5_PxS7_NS0_8identityIxEEEE10hipError_tT2_T3_mT4_P12ihipStream_tbEUlT_E_NS1_11comp_targetILNS1_3genE5ELNS1_11target_archE942ELNS1_3gpuE9ELNS1_3repE0EEENS1_30default_config_static_selectorELNS0_4arch9wavefront6targetE1EEEvT1_
	.globl	_ZN7rocprim17ROCPRIM_400000_NS6detail17trampoline_kernelINS0_14default_configENS1_25transform_config_selectorIxLb1EEEZNS1_14transform_implILb1ES3_S5_PxS7_NS0_8identityIxEEEE10hipError_tT2_T3_mT4_P12ihipStream_tbEUlT_E_NS1_11comp_targetILNS1_3genE5ELNS1_11target_archE942ELNS1_3gpuE9ELNS1_3repE0EEENS1_30default_config_static_selectorELNS0_4arch9wavefront6targetE1EEEvT1_
	.p2align	8
	.type	_ZN7rocprim17ROCPRIM_400000_NS6detail17trampoline_kernelINS0_14default_configENS1_25transform_config_selectorIxLb1EEEZNS1_14transform_implILb1ES3_S5_PxS7_NS0_8identityIxEEEE10hipError_tT2_T3_mT4_P12ihipStream_tbEUlT_E_NS1_11comp_targetILNS1_3genE5ELNS1_11target_archE942ELNS1_3gpuE9ELNS1_3repE0EEENS1_30default_config_static_selectorELNS0_4arch9wavefront6targetE1EEEvT1_,@function
_ZN7rocprim17ROCPRIM_400000_NS6detail17trampoline_kernelINS0_14default_configENS1_25transform_config_selectorIxLb1EEEZNS1_14transform_implILb1ES3_S5_PxS7_NS0_8identityIxEEEE10hipError_tT2_T3_mT4_P12ihipStream_tbEUlT_E_NS1_11comp_targetILNS1_3genE5ELNS1_11target_archE942ELNS1_3gpuE9ELNS1_3repE0EEENS1_30default_config_static_selectorELNS0_4arch9wavefront6targetE1EEEvT1_: ; @_ZN7rocprim17ROCPRIM_400000_NS6detail17trampoline_kernelINS0_14default_configENS1_25transform_config_selectorIxLb1EEEZNS1_14transform_implILb1ES3_S5_PxS7_NS0_8identityIxEEEE10hipError_tT2_T3_mT4_P12ihipStream_tbEUlT_E_NS1_11comp_targetILNS1_3genE5ELNS1_11target_archE942ELNS1_3gpuE9ELNS1_3repE0EEENS1_30default_config_static_selectorELNS0_4arch9wavefront6targetE1EEEvT1_
; %bb.0:
	.section	.rodata,"a",@progbits
	.p2align	6, 0x0
	.amdhsa_kernel _ZN7rocprim17ROCPRIM_400000_NS6detail17trampoline_kernelINS0_14default_configENS1_25transform_config_selectorIxLb1EEEZNS1_14transform_implILb1ES3_S5_PxS7_NS0_8identityIxEEEE10hipError_tT2_T3_mT4_P12ihipStream_tbEUlT_E_NS1_11comp_targetILNS1_3genE5ELNS1_11target_archE942ELNS1_3gpuE9ELNS1_3repE0EEENS1_30default_config_static_selectorELNS0_4arch9wavefront6targetE1EEEvT1_
		.amdhsa_group_segment_fixed_size 0
		.amdhsa_private_segment_fixed_size 0
		.amdhsa_kernarg_size 40
		.amdhsa_user_sgpr_count 6
		.amdhsa_user_sgpr_private_segment_buffer 1
		.amdhsa_user_sgpr_dispatch_ptr 0
		.amdhsa_user_sgpr_queue_ptr 0
		.amdhsa_user_sgpr_kernarg_segment_ptr 1
		.amdhsa_user_sgpr_dispatch_id 0
		.amdhsa_user_sgpr_flat_scratch_init 0
		.amdhsa_user_sgpr_kernarg_preload_length 0
		.amdhsa_user_sgpr_kernarg_preload_offset 0
		.amdhsa_user_sgpr_private_segment_size 0
		.amdhsa_uses_dynamic_stack 0
		.amdhsa_system_sgpr_private_segment_wavefront_offset 0
		.amdhsa_system_sgpr_workgroup_id_x 1
		.amdhsa_system_sgpr_workgroup_id_y 0
		.amdhsa_system_sgpr_workgroup_id_z 0
		.amdhsa_system_sgpr_workgroup_info 0
		.amdhsa_system_vgpr_workitem_id 0
		.amdhsa_next_free_vgpr 1
		.amdhsa_next_free_sgpr 0
		.amdhsa_accum_offset 4
		.amdhsa_reserve_vcc 0
		.amdhsa_reserve_flat_scratch 0
		.amdhsa_float_round_mode_32 0
		.amdhsa_float_round_mode_16_64 0
		.amdhsa_float_denorm_mode_32 3
		.amdhsa_float_denorm_mode_16_64 3
		.amdhsa_dx10_clamp 1
		.amdhsa_ieee_mode 1
		.amdhsa_fp16_overflow 0
		.amdhsa_tg_split 0
		.amdhsa_exception_fp_ieee_invalid_op 0
		.amdhsa_exception_fp_denorm_src 0
		.amdhsa_exception_fp_ieee_div_zero 0
		.amdhsa_exception_fp_ieee_overflow 0
		.amdhsa_exception_fp_ieee_underflow 0
		.amdhsa_exception_fp_ieee_inexact 0
		.amdhsa_exception_int_div_zero 0
	.end_amdhsa_kernel
	.section	.text._ZN7rocprim17ROCPRIM_400000_NS6detail17trampoline_kernelINS0_14default_configENS1_25transform_config_selectorIxLb1EEEZNS1_14transform_implILb1ES3_S5_PxS7_NS0_8identityIxEEEE10hipError_tT2_T3_mT4_P12ihipStream_tbEUlT_E_NS1_11comp_targetILNS1_3genE5ELNS1_11target_archE942ELNS1_3gpuE9ELNS1_3repE0EEENS1_30default_config_static_selectorELNS0_4arch9wavefront6targetE1EEEvT1_,"axG",@progbits,_ZN7rocprim17ROCPRIM_400000_NS6detail17trampoline_kernelINS0_14default_configENS1_25transform_config_selectorIxLb1EEEZNS1_14transform_implILb1ES3_S5_PxS7_NS0_8identityIxEEEE10hipError_tT2_T3_mT4_P12ihipStream_tbEUlT_E_NS1_11comp_targetILNS1_3genE5ELNS1_11target_archE942ELNS1_3gpuE9ELNS1_3repE0EEENS1_30default_config_static_selectorELNS0_4arch9wavefront6targetE1EEEvT1_,comdat
.Lfunc_end15:
	.size	_ZN7rocprim17ROCPRIM_400000_NS6detail17trampoline_kernelINS0_14default_configENS1_25transform_config_selectorIxLb1EEEZNS1_14transform_implILb1ES3_S5_PxS7_NS0_8identityIxEEEE10hipError_tT2_T3_mT4_P12ihipStream_tbEUlT_E_NS1_11comp_targetILNS1_3genE5ELNS1_11target_archE942ELNS1_3gpuE9ELNS1_3repE0EEENS1_30default_config_static_selectorELNS0_4arch9wavefront6targetE1EEEvT1_, .Lfunc_end15-_ZN7rocprim17ROCPRIM_400000_NS6detail17trampoline_kernelINS0_14default_configENS1_25transform_config_selectorIxLb1EEEZNS1_14transform_implILb1ES3_S5_PxS7_NS0_8identityIxEEEE10hipError_tT2_T3_mT4_P12ihipStream_tbEUlT_E_NS1_11comp_targetILNS1_3genE5ELNS1_11target_archE942ELNS1_3gpuE9ELNS1_3repE0EEENS1_30default_config_static_selectorELNS0_4arch9wavefront6targetE1EEEvT1_
                                        ; -- End function
	.section	.AMDGPU.csdata,"",@progbits
; Kernel info:
; codeLenInByte = 0
; NumSgprs: 4
; NumVgprs: 0
; NumAgprs: 0
; TotalNumVgprs: 0
; ScratchSize: 0
; MemoryBound: 0
; FloatMode: 240
; IeeeMode: 1
; LDSByteSize: 0 bytes/workgroup (compile time only)
; SGPRBlocks: 0
; VGPRBlocks: 0
; NumSGPRsForWavesPerEU: 4
; NumVGPRsForWavesPerEU: 1
; AccumOffset: 4
; Occupancy: 8
; WaveLimiterHint : 0
; COMPUTE_PGM_RSRC2:SCRATCH_EN: 0
; COMPUTE_PGM_RSRC2:USER_SGPR: 6
; COMPUTE_PGM_RSRC2:TRAP_HANDLER: 0
; COMPUTE_PGM_RSRC2:TGID_X_EN: 1
; COMPUTE_PGM_RSRC2:TGID_Y_EN: 0
; COMPUTE_PGM_RSRC2:TGID_Z_EN: 0
; COMPUTE_PGM_RSRC2:TIDIG_COMP_CNT: 0
; COMPUTE_PGM_RSRC3_GFX90A:ACCUM_OFFSET: 0
; COMPUTE_PGM_RSRC3_GFX90A:TG_SPLIT: 0
	.section	.text._ZN7rocprim17ROCPRIM_400000_NS6detail17trampoline_kernelINS0_14default_configENS1_25transform_config_selectorIxLb1EEEZNS1_14transform_implILb1ES3_S5_PxS7_NS0_8identityIxEEEE10hipError_tT2_T3_mT4_P12ihipStream_tbEUlT_E_NS1_11comp_targetILNS1_3genE4ELNS1_11target_archE910ELNS1_3gpuE8ELNS1_3repE0EEENS1_30default_config_static_selectorELNS0_4arch9wavefront6targetE1EEEvT1_,"axG",@progbits,_ZN7rocprim17ROCPRIM_400000_NS6detail17trampoline_kernelINS0_14default_configENS1_25transform_config_selectorIxLb1EEEZNS1_14transform_implILb1ES3_S5_PxS7_NS0_8identityIxEEEE10hipError_tT2_T3_mT4_P12ihipStream_tbEUlT_E_NS1_11comp_targetILNS1_3genE4ELNS1_11target_archE910ELNS1_3gpuE8ELNS1_3repE0EEENS1_30default_config_static_selectorELNS0_4arch9wavefront6targetE1EEEvT1_,comdat
	.protected	_ZN7rocprim17ROCPRIM_400000_NS6detail17trampoline_kernelINS0_14default_configENS1_25transform_config_selectorIxLb1EEEZNS1_14transform_implILb1ES3_S5_PxS7_NS0_8identityIxEEEE10hipError_tT2_T3_mT4_P12ihipStream_tbEUlT_E_NS1_11comp_targetILNS1_3genE4ELNS1_11target_archE910ELNS1_3gpuE8ELNS1_3repE0EEENS1_30default_config_static_selectorELNS0_4arch9wavefront6targetE1EEEvT1_ ; -- Begin function _ZN7rocprim17ROCPRIM_400000_NS6detail17trampoline_kernelINS0_14default_configENS1_25transform_config_selectorIxLb1EEEZNS1_14transform_implILb1ES3_S5_PxS7_NS0_8identityIxEEEE10hipError_tT2_T3_mT4_P12ihipStream_tbEUlT_E_NS1_11comp_targetILNS1_3genE4ELNS1_11target_archE910ELNS1_3gpuE8ELNS1_3repE0EEENS1_30default_config_static_selectorELNS0_4arch9wavefront6targetE1EEEvT1_
	.globl	_ZN7rocprim17ROCPRIM_400000_NS6detail17trampoline_kernelINS0_14default_configENS1_25transform_config_selectorIxLb1EEEZNS1_14transform_implILb1ES3_S5_PxS7_NS0_8identityIxEEEE10hipError_tT2_T3_mT4_P12ihipStream_tbEUlT_E_NS1_11comp_targetILNS1_3genE4ELNS1_11target_archE910ELNS1_3gpuE8ELNS1_3repE0EEENS1_30default_config_static_selectorELNS0_4arch9wavefront6targetE1EEEvT1_
	.p2align	8
	.type	_ZN7rocprim17ROCPRIM_400000_NS6detail17trampoline_kernelINS0_14default_configENS1_25transform_config_selectorIxLb1EEEZNS1_14transform_implILb1ES3_S5_PxS7_NS0_8identityIxEEEE10hipError_tT2_T3_mT4_P12ihipStream_tbEUlT_E_NS1_11comp_targetILNS1_3genE4ELNS1_11target_archE910ELNS1_3gpuE8ELNS1_3repE0EEENS1_30default_config_static_selectorELNS0_4arch9wavefront6targetE1EEEvT1_,@function
_ZN7rocprim17ROCPRIM_400000_NS6detail17trampoline_kernelINS0_14default_configENS1_25transform_config_selectorIxLb1EEEZNS1_14transform_implILb1ES3_S5_PxS7_NS0_8identityIxEEEE10hipError_tT2_T3_mT4_P12ihipStream_tbEUlT_E_NS1_11comp_targetILNS1_3genE4ELNS1_11target_archE910ELNS1_3gpuE8ELNS1_3repE0EEENS1_30default_config_static_selectorELNS0_4arch9wavefront6targetE1EEEvT1_: ; @_ZN7rocprim17ROCPRIM_400000_NS6detail17trampoline_kernelINS0_14default_configENS1_25transform_config_selectorIxLb1EEEZNS1_14transform_implILb1ES3_S5_PxS7_NS0_8identityIxEEEE10hipError_tT2_T3_mT4_P12ihipStream_tbEUlT_E_NS1_11comp_targetILNS1_3genE4ELNS1_11target_archE910ELNS1_3gpuE8ELNS1_3repE0EEENS1_30default_config_static_selectorELNS0_4arch9wavefront6targetE1EEEvT1_
; %bb.0:
	s_load_dwordx8 s[8:15], s[4:5], 0x0
	s_load_dword s2, s[4:5], 0x28
	s_waitcnt lgkmcnt(0)
	s_lshl_b64 s[0:1], s[10:11], 3
	s_add_u32 s4, s8, s0
	s_addc_u32 s5, s9, s1
	s_add_u32 s8, s14, s0
	s_addc_u32 s9, s15, s1
	s_lshl_b32 s0, s6, 11
	s_mov_b32 s1, 0
	s_add_i32 s7, s2, -1
	s_lshl_b64 s[2:3], s[0:1], 3
	s_add_u32 s4, s4, s2
	s_addc_u32 s5, s5, s3
	s_cmp_lg_u32 s6, s7
	s_mov_b64 s[6:7], -1
	s_cbranch_scc0 .LBB16_2
; %bb.1:
	v_lshlrev_b32_e32 v1, 4, v0
	global_load_dwordx4 v[2:5], v1, s[4:5]
	s_add_u32 s6, s8, s2
	s_addc_u32 s7, s9, s3
	s_waitcnt vmcnt(0)
	global_store_dwordx4 v1, v[2:5], s[6:7]
	s_mov_b64 s[6:7], 0
.LBB16_2:
	s_andn2_b64 vcc, exec, s[6:7]
	s_cbranch_vccnz .LBB16_11
; %bb.3:
	s_sub_i32 s6, s12, s0
	v_cmp_gt_u32_e32 vcc, s6, v0
	v_lshlrev_b32_e32 v1, 3, v0
                                        ; implicit-def: $vgpr2_vgpr3_vgpr4_vgpr5
	s_and_saveexec_b64 s[0:1], vcc
	s_cbranch_execz .LBB16_5
; %bb.4:
	global_load_dwordx2 v[2:3], v1, s[4:5]
.LBB16_5:
	s_or_b64 exec, exec, s[0:1]
	v_or_b32_e32 v0, 0x400, v0
	v_cmp_gt_u32_e64 s[0:1], s6, v0
	s_and_saveexec_b64 s[6:7], s[0:1]
	s_cbranch_execz .LBB16_7
; %bb.6:
	v_lshlrev_b32_e32 v0, 3, v0
	global_load_dwordx2 v[4:5], v0, s[4:5]
.LBB16_7:
	s_or_b64 exec, exec, s[6:7]
	s_add_u32 s2, s8, s2
	s_addc_u32 s3, s9, s3
	v_mov_b32_e32 v6, s3
	v_add_co_u32_e64 v0, s[2:3], s2, v1
	v_addc_co_u32_e64 v1, s[2:3], 0, v6, s[2:3]
	s_and_saveexec_b64 s[2:3], vcc
	s_cbranch_execz .LBB16_9
; %bb.8:
	s_waitcnt vmcnt(0)
	global_store_dwordx2 v[0:1], v[2:3], off
.LBB16_9:
	s_or_b64 exec, exec, s[2:3]
	s_and_saveexec_b64 s[2:3], s[0:1]
	s_cbranch_execz .LBB16_11
; %bb.10:
	v_add_co_u32_e32 v0, vcc, 0x2000, v0
	v_addc_co_u32_e32 v1, vcc, 0, v1, vcc
	s_waitcnt vmcnt(0)
	global_store_dwordx2 v[0:1], v[4:5], off
.LBB16_11:
	s_endpgm
	.section	.rodata,"a",@progbits
	.p2align	6, 0x0
	.amdhsa_kernel _ZN7rocprim17ROCPRIM_400000_NS6detail17trampoline_kernelINS0_14default_configENS1_25transform_config_selectorIxLb1EEEZNS1_14transform_implILb1ES3_S5_PxS7_NS0_8identityIxEEEE10hipError_tT2_T3_mT4_P12ihipStream_tbEUlT_E_NS1_11comp_targetILNS1_3genE4ELNS1_11target_archE910ELNS1_3gpuE8ELNS1_3repE0EEENS1_30default_config_static_selectorELNS0_4arch9wavefront6targetE1EEEvT1_
		.amdhsa_group_segment_fixed_size 0
		.amdhsa_private_segment_fixed_size 0
		.amdhsa_kernarg_size 296
		.amdhsa_user_sgpr_count 6
		.amdhsa_user_sgpr_private_segment_buffer 1
		.amdhsa_user_sgpr_dispatch_ptr 0
		.amdhsa_user_sgpr_queue_ptr 0
		.amdhsa_user_sgpr_kernarg_segment_ptr 1
		.amdhsa_user_sgpr_dispatch_id 0
		.amdhsa_user_sgpr_flat_scratch_init 0
		.amdhsa_user_sgpr_kernarg_preload_length 0
		.amdhsa_user_sgpr_kernarg_preload_offset 0
		.amdhsa_user_sgpr_private_segment_size 0
		.amdhsa_uses_dynamic_stack 0
		.amdhsa_system_sgpr_private_segment_wavefront_offset 0
		.amdhsa_system_sgpr_workgroup_id_x 1
		.amdhsa_system_sgpr_workgroup_id_y 0
		.amdhsa_system_sgpr_workgroup_id_z 0
		.amdhsa_system_sgpr_workgroup_info 0
		.amdhsa_system_vgpr_workitem_id 0
		.amdhsa_next_free_vgpr 7
		.amdhsa_next_free_sgpr 16
		.amdhsa_accum_offset 8
		.amdhsa_reserve_vcc 1
		.amdhsa_reserve_flat_scratch 0
		.amdhsa_float_round_mode_32 0
		.amdhsa_float_round_mode_16_64 0
		.amdhsa_float_denorm_mode_32 3
		.amdhsa_float_denorm_mode_16_64 3
		.amdhsa_dx10_clamp 1
		.amdhsa_ieee_mode 1
		.amdhsa_fp16_overflow 0
		.amdhsa_tg_split 0
		.amdhsa_exception_fp_ieee_invalid_op 0
		.amdhsa_exception_fp_denorm_src 0
		.amdhsa_exception_fp_ieee_div_zero 0
		.amdhsa_exception_fp_ieee_overflow 0
		.amdhsa_exception_fp_ieee_underflow 0
		.amdhsa_exception_fp_ieee_inexact 0
		.amdhsa_exception_int_div_zero 0
	.end_amdhsa_kernel
	.section	.text._ZN7rocprim17ROCPRIM_400000_NS6detail17trampoline_kernelINS0_14default_configENS1_25transform_config_selectorIxLb1EEEZNS1_14transform_implILb1ES3_S5_PxS7_NS0_8identityIxEEEE10hipError_tT2_T3_mT4_P12ihipStream_tbEUlT_E_NS1_11comp_targetILNS1_3genE4ELNS1_11target_archE910ELNS1_3gpuE8ELNS1_3repE0EEENS1_30default_config_static_selectorELNS0_4arch9wavefront6targetE1EEEvT1_,"axG",@progbits,_ZN7rocprim17ROCPRIM_400000_NS6detail17trampoline_kernelINS0_14default_configENS1_25transform_config_selectorIxLb1EEEZNS1_14transform_implILb1ES3_S5_PxS7_NS0_8identityIxEEEE10hipError_tT2_T3_mT4_P12ihipStream_tbEUlT_E_NS1_11comp_targetILNS1_3genE4ELNS1_11target_archE910ELNS1_3gpuE8ELNS1_3repE0EEENS1_30default_config_static_selectorELNS0_4arch9wavefront6targetE1EEEvT1_,comdat
.Lfunc_end16:
	.size	_ZN7rocprim17ROCPRIM_400000_NS6detail17trampoline_kernelINS0_14default_configENS1_25transform_config_selectorIxLb1EEEZNS1_14transform_implILb1ES3_S5_PxS7_NS0_8identityIxEEEE10hipError_tT2_T3_mT4_P12ihipStream_tbEUlT_E_NS1_11comp_targetILNS1_3genE4ELNS1_11target_archE910ELNS1_3gpuE8ELNS1_3repE0EEENS1_30default_config_static_selectorELNS0_4arch9wavefront6targetE1EEEvT1_, .Lfunc_end16-_ZN7rocprim17ROCPRIM_400000_NS6detail17trampoline_kernelINS0_14default_configENS1_25transform_config_selectorIxLb1EEEZNS1_14transform_implILb1ES3_S5_PxS7_NS0_8identityIxEEEE10hipError_tT2_T3_mT4_P12ihipStream_tbEUlT_E_NS1_11comp_targetILNS1_3genE4ELNS1_11target_archE910ELNS1_3gpuE8ELNS1_3repE0EEENS1_30default_config_static_selectorELNS0_4arch9wavefront6targetE1EEEvT1_
                                        ; -- End function
	.section	.AMDGPU.csdata,"",@progbits
; Kernel info:
; codeLenInByte = 280
; NumSgprs: 20
; NumVgprs: 7
; NumAgprs: 0
; TotalNumVgprs: 7
; ScratchSize: 0
; MemoryBound: 1
; FloatMode: 240
; IeeeMode: 1
; LDSByteSize: 0 bytes/workgroup (compile time only)
; SGPRBlocks: 2
; VGPRBlocks: 0
; NumSGPRsForWavesPerEU: 20
; NumVGPRsForWavesPerEU: 7
; AccumOffset: 8
; Occupancy: 8
; WaveLimiterHint : 0
; COMPUTE_PGM_RSRC2:SCRATCH_EN: 0
; COMPUTE_PGM_RSRC2:USER_SGPR: 6
; COMPUTE_PGM_RSRC2:TRAP_HANDLER: 0
; COMPUTE_PGM_RSRC2:TGID_X_EN: 1
; COMPUTE_PGM_RSRC2:TGID_Y_EN: 0
; COMPUTE_PGM_RSRC2:TGID_Z_EN: 0
; COMPUTE_PGM_RSRC2:TIDIG_COMP_CNT: 0
; COMPUTE_PGM_RSRC3_GFX90A:ACCUM_OFFSET: 1
; COMPUTE_PGM_RSRC3_GFX90A:TG_SPLIT: 0
	.section	.text._ZN7rocprim17ROCPRIM_400000_NS6detail17trampoline_kernelINS0_14default_configENS1_25transform_config_selectorIxLb1EEEZNS1_14transform_implILb1ES3_S5_PxS7_NS0_8identityIxEEEE10hipError_tT2_T3_mT4_P12ihipStream_tbEUlT_E_NS1_11comp_targetILNS1_3genE3ELNS1_11target_archE908ELNS1_3gpuE7ELNS1_3repE0EEENS1_30default_config_static_selectorELNS0_4arch9wavefront6targetE1EEEvT1_,"axG",@progbits,_ZN7rocprim17ROCPRIM_400000_NS6detail17trampoline_kernelINS0_14default_configENS1_25transform_config_selectorIxLb1EEEZNS1_14transform_implILb1ES3_S5_PxS7_NS0_8identityIxEEEE10hipError_tT2_T3_mT4_P12ihipStream_tbEUlT_E_NS1_11comp_targetILNS1_3genE3ELNS1_11target_archE908ELNS1_3gpuE7ELNS1_3repE0EEENS1_30default_config_static_selectorELNS0_4arch9wavefront6targetE1EEEvT1_,comdat
	.protected	_ZN7rocprim17ROCPRIM_400000_NS6detail17trampoline_kernelINS0_14default_configENS1_25transform_config_selectorIxLb1EEEZNS1_14transform_implILb1ES3_S5_PxS7_NS0_8identityIxEEEE10hipError_tT2_T3_mT4_P12ihipStream_tbEUlT_E_NS1_11comp_targetILNS1_3genE3ELNS1_11target_archE908ELNS1_3gpuE7ELNS1_3repE0EEENS1_30default_config_static_selectorELNS0_4arch9wavefront6targetE1EEEvT1_ ; -- Begin function _ZN7rocprim17ROCPRIM_400000_NS6detail17trampoline_kernelINS0_14default_configENS1_25transform_config_selectorIxLb1EEEZNS1_14transform_implILb1ES3_S5_PxS7_NS0_8identityIxEEEE10hipError_tT2_T3_mT4_P12ihipStream_tbEUlT_E_NS1_11comp_targetILNS1_3genE3ELNS1_11target_archE908ELNS1_3gpuE7ELNS1_3repE0EEENS1_30default_config_static_selectorELNS0_4arch9wavefront6targetE1EEEvT1_
	.globl	_ZN7rocprim17ROCPRIM_400000_NS6detail17trampoline_kernelINS0_14default_configENS1_25transform_config_selectorIxLb1EEEZNS1_14transform_implILb1ES3_S5_PxS7_NS0_8identityIxEEEE10hipError_tT2_T3_mT4_P12ihipStream_tbEUlT_E_NS1_11comp_targetILNS1_3genE3ELNS1_11target_archE908ELNS1_3gpuE7ELNS1_3repE0EEENS1_30default_config_static_selectorELNS0_4arch9wavefront6targetE1EEEvT1_
	.p2align	8
	.type	_ZN7rocprim17ROCPRIM_400000_NS6detail17trampoline_kernelINS0_14default_configENS1_25transform_config_selectorIxLb1EEEZNS1_14transform_implILb1ES3_S5_PxS7_NS0_8identityIxEEEE10hipError_tT2_T3_mT4_P12ihipStream_tbEUlT_E_NS1_11comp_targetILNS1_3genE3ELNS1_11target_archE908ELNS1_3gpuE7ELNS1_3repE0EEENS1_30default_config_static_selectorELNS0_4arch9wavefront6targetE1EEEvT1_,@function
_ZN7rocprim17ROCPRIM_400000_NS6detail17trampoline_kernelINS0_14default_configENS1_25transform_config_selectorIxLb1EEEZNS1_14transform_implILb1ES3_S5_PxS7_NS0_8identityIxEEEE10hipError_tT2_T3_mT4_P12ihipStream_tbEUlT_E_NS1_11comp_targetILNS1_3genE3ELNS1_11target_archE908ELNS1_3gpuE7ELNS1_3repE0EEENS1_30default_config_static_selectorELNS0_4arch9wavefront6targetE1EEEvT1_: ; @_ZN7rocprim17ROCPRIM_400000_NS6detail17trampoline_kernelINS0_14default_configENS1_25transform_config_selectorIxLb1EEEZNS1_14transform_implILb1ES3_S5_PxS7_NS0_8identityIxEEEE10hipError_tT2_T3_mT4_P12ihipStream_tbEUlT_E_NS1_11comp_targetILNS1_3genE3ELNS1_11target_archE908ELNS1_3gpuE7ELNS1_3repE0EEENS1_30default_config_static_selectorELNS0_4arch9wavefront6targetE1EEEvT1_
; %bb.0:
	.section	.rodata,"a",@progbits
	.p2align	6, 0x0
	.amdhsa_kernel _ZN7rocprim17ROCPRIM_400000_NS6detail17trampoline_kernelINS0_14default_configENS1_25transform_config_selectorIxLb1EEEZNS1_14transform_implILb1ES3_S5_PxS7_NS0_8identityIxEEEE10hipError_tT2_T3_mT4_P12ihipStream_tbEUlT_E_NS1_11comp_targetILNS1_3genE3ELNS1_11target_archE908ELNS1_3gpuE7ELNS1_3repE0EEENS1_30default_config_static_selectorELNS0_4arch9wavefront6targetE1EEEvT1_
		.amdhsa_group_segment_fixed_size 0
		.amdhsa_private_segment_fixed_size 0
		.amdhsa_kernarg_size 40
		.amdhsa_user_sgpr_count 6
		.amdhsa_user_sgpr_private_segment_buffer 1
		.amdhsa_user_sgpr_dispatch_ptr 0
		.amdhsa_user_sgpr_queue_ptr 0
		.amdhsa_user_sgpr_kernarg_segment_ptr 1
		.amdhsa_user_sgpr_dispatch_id 0
		.amdhsa_user_sgpr_flat_scratch_init 0
		.amdhsa_user_sgpr_kernarg_preload_length 0
		.amdhsa_user_sgpr_kernarg_preload_offset 0
		.amdhsa_user_sgpr_private_segment_size 0
		.amdhsa_uses_dynamic_stack 0
		.amdhsa_system_sgpr_private_segment_wavefront_offset 0
		.amdhsa_system_sgpr_workgroup_id_x 1
		.amdhsa_system_sgpr_workgroup_id_y 0
		.amdhsa_system_sgpr_workgroup_id_z 0
		.amdhsa_system_sgpr_workgroup_info 0
		.amdhsa_system_vgpr_workitem_id 0
		.amdhsa_next_free_vgpr 1
		.amdhsa_next_free_sgpr 0
		.amdhsa_accum_offset 4
		.amdhsa_reserve_vcc 0
		.amdhsa_reserve_flat_scratch 0
		.amdhsa_float_round_mode_32 0
		.amdhsa_float_round_mode_16_64 0
		.amdhsa_float_denorm_mode_32 3
		.amdhsa_float_denorm_mode_16_64 3
		.amdhsa_dx10_clamp 1
		.amdhsa_ieee_mode 1
		.amdhsa_fp16_overflow 0
		.amdhsa_tg_split 0
		.amdhsa_exception_fp_ieee_invalid_op 0
		.amdhsa_exception_fp_denorm_src 0
		.amdhsa_exception_fp_ieee_div_zero 0
		.amdhsa_exception_fp_ieee_overflow 0
		.amdhsa_exception_fp_ieee_underflow 0
		.amdhsa_exception_fp_ieee_inexact 0
		.amdhsa_exception_int_div_zero 0
	.end_amdhsa_kernel
	.section	.text._ZN7rocprim17ROCPRIM_400000_NS6detail17trampoline_kernelINS0_14default_configENS1_25transform_config_selectorIxLb1EEEZNS1_14transform_implILb1ES3_S5_PxS7_NS0_8identityIxEEEE10hipError_tT2_T3_mT4_P12ihipStream_tbEUlT_E_NS1_11comp_targetILNS1_3genE3ELNS1_11target_archE908ELNS1_3gpuE7ELNS1_3repE0EEENS1_30default_config_static_selectorELNS0_4arch9wavefront6targetE1EEEvT1_,"axG",@progbits,_ZN7rocprim17ROCPRIM_400000_NS6detail17trampoline_kernelINS0_14default_configENS1_25transform_config_selectorIxLb1EEEZNS1_14transform_implILb1ES3_S5_PxS7_NS0_8identityIxEEEE10hipError_tT2_T3_mT4_P12ihipStream_tbEUlT_E_NS1_11comp_targetILNS1_3genE3ELNS1_11target_archE908ELNS1_3gpuE7ELNS1_3repE0EEENS1_30default_config_static_selectorELNS0_4arch9wavefront6targetE1EEEvT1_,comdat
.Lfunc_end17:
	.size	_ZN7rocprim17ROCPRIM_400000_NS6detail17trampoline_kernelINS0_14default_configENS1_25transform_config_selectorIxLb1EEEZNS1_14transform_implILb1ES3_S5_PxS7_NS0_8identityIxEEEE10hipError_tT2_T3_mT4_P12ihipStream_tbEUlT_E_NS1_11comp_targetILNS1_3genE3ELNS1_11target_archE908ELNS1_3gpuE7ELNS1_3repE0EEENS1_30default_config_static_selectorELNS0_4arch9wavefront6targetE1EEEvT1_, .Lfunc_end17-_ZN7rocprim17ROCPRIM_400000_NS6detail17trampoline_kernelINS0_14default_configENS1_25transform_config_selectorIxLb1EEEZNS1_14transform_implILb1ES3_S5_PxS7_NS0_8identityIxEEEE10hipError_tT2_T3_mT4_P12ihipStream_tbEUlT_E_NS1_11comp_targetILNS1_3genE3ELNS1_11target_archE908ELNS1_3gpuE7ELNS1_3repE0EEENS1_30default_config_static_selectorELNS0_4arch9wavefront6targetE1EEEvT1_
                                        ; -- End function
	.section	.AMDGPU.csdata,"",@progbits
; Kernel info:
; codeLenInByte = 0
; NumSgprs: 4
; NumVgprs: 0
; NumAgprs: 0
; TotalNumVgprs: 0
; ScratchSize: 0
; MemoryBound: 0
; FloatMode: 240
; IeeeMode: 1
; LDSByteSize: 0 bytes/workgroup (compile time only)
; SGPRBlocks: 0
; VGPRBlocks: 0
; NumSGPRsForWavesPerEU: 4
; NumVGPRsForWavesPerEU: 1
; AccumOffset: 4
; Occupancy: 8
; WaveLimiterHint : 0
; COMPUTE_PGM_RSRC2:SCRATCH_EN: 0
; COMPUTE_PGM_RSRC2:USER_SGPR: 6
; COMPUTE_PGM_RSRC2:TRAP_HANDLER: 0
; COMPUTE_PGM_RSRC2:TGID_X_EN: 1
; COMPUTE_PGM_RSRC2:TGID_Y_EN: 0
; COMPUTE_PGM_RSRC2:TGID_Z_EN: 0
; COMPUTE_PGM_RSRC2:TIDIG_COMP_CNT: 0
; COMPUTE_PGM_RSRC3_GFX90A:ACCUM_OFFSET: 0
; COMPUTE_PGM_RSRC3_GFX90A:TG_SPLIT: 0
	.section	.text._ZN7rocprim17ROCPRIM_400000_NS6detail17trampoline_kernelINS0_14default_configENS1_25transform_config_selectorIxLb1EEEZNS1_14transform_implILb1ES3_S5_PxS7_NS0_8identityIxEEEE10hipError_tT2_T3_mT4_P12ihipStream_tbEUlT_E_NS1_11comp_targetILNS1_3genE2ELNS1_11target_archE906ELNS1_3gpuE6ELNS1_3repE0EEENS1_30default_config_static_selectorELNS0_4arch9wavefront6targetE1EEEvT1_,"axG",@progbits,_ZN7rocprim17ROCPRIM_400000_NS6detail17trampoline_kernelINS0_14default_configENS1_25transform_config_selectorIxLb1EEEZNS1_14transform_implILb1ES3_S5_PxS7_NS0_8identityIxEEEE10hipError_tT2_T3_mT4_P12ihipStream_tbEUlT_E_NS1_11comp_targetILNS1_3genE2ELNS1_11target_archE906ELNS1_3gpuE6ELNS1_3repE0EEENS1_30default_config_static_selectorELNS0_4arch9wavefront6targetE1EEEvT1_,comdat
	.protected	_ZN7rocprim17ROCPRIM_400000_NS6detail17trampoline_kernelINS0_14default_configENS1_25transform_config_selectorIxLb1EEEZNS1_14transform_implILb1ES3_S5_PxS7_NS0_8identityIxEEEE10hipError_tT2_T3_mT4_P12ihipStream_tbEUlT_E_NS1_11comp_targetILNS1_3genE2ELNS1_11target_archE906ELNS1_3gpuE6ELNS1_3repE0EEENS1_30default_config_static_selectorELNS0_4arch9wavefront6targetE1EEEvT1_ ; -- Begin function _ZN7rocprim17ROCPRIM_400000_NS6detail17trampoline_kernelINS0_14default_configENS1_25transform_config_selectorIxLb1EEEZNS1_14transform_implILb1ES3_S5_PxS7_NS0_8identityIxEEEE10hipError_tT2_T3_mT4_P12ihipStream_tbEUlT_E_NS1_11comp_targetILNS1_3genE2ELNS1_11target_archE906ELNS1_3gpuE6ELNS1_3repE0EEENS1_30default_config_static_selectorELNS0_4arch9wavefront6targetE1EEEvT1_
	.globl	_ZN7rocprim17ROCPRIM_400000_NS6detail17trampoline_kernelINS0_14default_configENS1_25transform_config_selectorIxLb1EEEZNS1_14transform_implILb1ES3_S5_PxS7_NS0_8identityIxEEEE10hipError_tT2_T3_mT4_P12ihipStream_tbEUlT_E_NS1_11comp_targetILNS1_3genE2ELNS1_11target_archE906ELNS1_3gpuE6ELNS1_3repE0EEENS1_30default_config_static_selectorELNS0_4arch9wavefront6targetE1EEEvT1_
	.p2align	8
	.type	_ZN7rocprim17ROCPRIM_400000_NS6detail17trampoline_kernelINS0_14default_configENS1_25transform_config_selectorIxLb1EEEZNS1_14transform_implILb1ES3_S5_PxS7_NS0_8identityIxEEEE10hipError_tT2_T3_mT4_P12ihipStream_tbEUlT_E_NS1_11comp_targetILNS1_3genE2ELNS1_11target_archE906ELNS1_3gpuE6ELNS1_3repE0EEENS1_30default_config_static_selectorELNS0_4arch9wavefront6targetE1EEEvT1_,@function
_ZN7rocprim17ROCPRIM_400000_NS6detail17trampoline_kernelINS0_14default_configENS1_25transform_config_selectorIxLb1EEEZNS1_14transform_implILb1ES3_S5_PxS7_NS0_8identityIxEEEE10hipError_tT2_T3_mT4_P12ihipStream_tbEUlT_E_NS1_11comp_targetILNS1_3genE2ELNS1_11target_archE906ELNS1_3gpuE6ELNS1_3repE0EEENS1_30default_config_static_selectorELNS0_4arch9wavefront6targetE1EEEvT1_: ; @_ZN7rocprim17ROCPRIM_400000_NS6detail17trampoline_kernelINS0_14default_configENS1_25transform_config_selectorIxLb1EEEZNS1_14transform_implILb1ES3_S5_PxS7_NS0_8identityIxEEEE10hipError_tT2_T3_mT4_P12ihipStream_tbEUlT_E_NS1_11comp_targetILNS1_3genE2ELNS1_11target_archE906ELNS1_3gpuE6ELNS1_3repE0EEENS1_30default_config_static_selectorELNS0_4arch9wavefront6targetE1EEEvT1_
; %bb.0:
	.section	.rodata,"a",@progbits
	.p2align	6, 0x0
	.amdhsa_kernel _ZN7rocprim17ROCPRIM_400000_NS6detail17trampoline_kernelINS0_14default_configENS1_25transform_config_selectorIxLb1EEEZNS1_14transform_implILb1ES3_S5_PxS7_NS0_8identityIxEEEE10hipError_tT2_T3_mT4_P12ihipStream_tbEUlT_E_NS1_11comp_targetILNS1_3genE2ELNS1_11target_archE906ELNS1_3gpuE6ELNS1_3repE0EEENS1_30default_config_static_selectorELNS0_4arch9wavefront6targetE1EEEvT1_
		.amdhsa_group_segment_fixed_size 0
		.amdhsa_private_segment_fixed_size 0
		.amdhsa_kernarg_size 40
		.amdhsa_user_sgpr_count 6
		.amdhsa_user_sgpr_private_segment_buffer 1
		.amdhsa_user_sgpr_dispatch_ptr 0
		.amdhsa_user_sgpr_queue_ptr 0
		.amdhsa_user_sgpr_kernarg_segment_ptr 1
		.amdhsa_user_sgpr_dispatch_id 0
		.amdhsa_user_sgpr_flat_scratch_init 0
		.amdhsa_user_sgpr_kernarg_preload_length 0
		.amdhsa_user_sgpr_kernarg_preload_offset 0
		.amdhsa_user_sgpr_private_segment_size 0
		.amdhsa_uses_dynamic_stack 0
		.amdhsa_system_sgpr_private_segment_wavefront_offset 0
		.amdhsa_system_sgpr_workgroup_id_x 1
		.amdhsa_system_sgpr_workgroup_id_y 0
		.amdhsa_system_sgpr_workgroup_id_z 0
		.amdhsa_system_sgpr_workgroup_info 0
		.amdhsa_system_vgpr_workitem_id 0
		.amdhsa_next_free_vgpr 1
		.amdhsa_next_free_sgpr 0
		.amdhsa_accum_offset 4
		.amdhsa_reserve_vcc 0
		.amdhsa_reserve_flat_scratch 0
		.amdhsa_float_round_mode_32 0
		.amdhsa_float_round_mode_16_64 0
		.amdhsa_float_denorm_mode_32 3
		.amdhsa_float_denorm_mode_16_64 3
		.amdhsa_dx10_clamp 1
		.amdhsa_ieee_mode 1
		.amdhsa_fp16_overflow 0
		.amdhsa_tg_split 0
		.amdhsa_exception_fp_ieee_invalid_op 0
		.amdhsa_exception_fp_denorm_src 0
		.amdhsa_exception_fp_ieee_div_zero 0
		.amdhsa_exception_fp_ieee_overflow 0
		.amdhsa_exception_fp_ieee_underflow 0
		.amdhsa_exception_fp_ieee_inexact 0
		.amdhsa_exception_int_div_zero 0
	.end_amdhsa_kernel
	.section	.text._ZN7rocprim17ROCPRIM_400000_NS6detail17trampoline_kernelINS0_14default_configENS1_25transform_config_selectorIxLb1EEEZNS1_14transform_implILb1ES3_S5_PxS7_NS0_8identityIxEEEE10hipError_tT2_T3_mT4_P12ihipStream_tbEUlT_E_NS1_11comp_targetILNS1_3genE2ELNS1_11target_archE906ELNS1_3gpuE6ELNS1_3repE0EEENS1_30default_config_static_selectorELNS0_4arch9wavefront6targetE1EEEvT1_,"axG",@progbits,_ZN7rocprim17ROCPRIM_400000_NS6detail17trampoline_kernelINS0_14default_configENS1_25transform_config_selectorIxLb1EEEZNS1_14transform_implILb1ES3_S5_PxS7_NS0_8identityIxEEEE10hipError_tT2_T3_mT4_P12ihipStream_tbEUlT_E_NS1_11comp_targetILNS1_3genE2ELNS1_11target_archE906ELNS1_3gpuE6ELNS1_3repE0EEENS1_30default_config_static_selectorELNS0_4arch9wavefront6targetE1EEEvT1_,comdat
.Lfunc_end18:
	.size	_ZN7rocprim17ROCPRIM_400000_NS6detail17trampoline_kernelINS0_14default_configENS1_25transform_config_selectorIxLb1EEEZNS1_14transform_implILb1ES3_S5_PxS7_NS0_8identityIxEEEE10hipError_tT2_T3_mT4_P12ihipStream_tbEUlT_E_NS1_11comp_targetILNS1_3genE2ELNS1_11target_archE906ELNS1_3gpuE6ELNS1_3repE0EEENS1_30default_config_static_selectorELNS0_4arch9wavefront6targetE1EEEvT1_, .Lfunc_end18-_ZN7rocprim17ROCPRIM_400000_NS6detail17trampoline_kernelINS0_14default_configENS1_25transform_config_selectorIxLb1EEEZNS1_14transform_implILb1ES3_S5_PxS7_NS0_8identityIxEEEE10hipError_tT2_T3_mT4_P12ihipStream_tbEUlT_E_NS1_11comp_targetILNS1_3genE2ELNS1_11target_archE906ELNS1_3gpuE6ELNS1_3repE0EEENS1_30default_config_static_selectorELNS0_4arch9wavefront6targetE1EEEvT1_
                                        ; -- End function
	.section	.AMDGPU.csdata,"",@progbits
; Kernel info:
; codeLenInByte = 0
; NumSgprs: 4
; NumVgprs: 0
; NumAgprs: 0
; TotalNumVgprs: 0
; ScratchSize: 0
; MemoryBound: 0
; FloatMode: 240
; IeeeMode: 1
; LDSByteSize: 0 bytes/workgroup (compile time only)
; SGPRBlocks: 0
; VGPRBlocks: 0
; NumSGPRsForWavesPerEU: 4
; NumVGPRsForWavesPerEU: 1
; AccumOffset: 4
; Occupancy: 8
; WaveLimiterHint : 0
; COMPUTE_PGM_RSRC2:SCRATCH_EN: 0
; COMPUTE_PGM_RSRC2:USER_SGPR: 6
; COMPUTE_PGM_RSRC2:TRAP_HANDLER: 0
; COMPUTE_PGM_RSRC2:TGID_X_EN: 1
; COMPUTE_PGM_RSRC2:TGID_Y_EN: 0
; COMPUTE_PGM_RSRC2:TGID_Z_EN: 0
; COMPUTE_PGM_RSRC2:TIDIG_COMP_CNT: 0
; COMPUTE_PGM_RSRC3_GFX90A:ACCUM_OFFSET: 0
; COMPUTE_PGM_RSRC3_GFX90A:TG_SPLIT: 0
	.section	.text._ZN7rocprim17ROCPRIM_400000_NS6detail17trampoline_kernelINS0_14default_configENS1_25transform_config_selectorIxLb1EEEZNS1_14transform_implILb1ES3_S5_PxS7_NS0_8identityIxEEEE10hipError_tT2_T3_mT4_P12ihipStream_tbEUlT_E_NS1_11comp_targetILNS1_3genE9ELNS1_11target_archE1100ELNS1_3gpuE3ELNS1_3repE0EEENS1_30default_config_static_selectorELNS0_4arch9wavefront6targetE1EEEvT1_,"axG",@progbits,_ZN7rocprim17ROCPRIM_400000_NS6detail17trampoline_kernelINS0_14default_configENS1_25transform_config_selectorIxLb1EEEZNS1_14transform_implILb1ES3_S5_PxS7_NS0_8identityIxEEEE10hipError_tT2_T3_mT4_P12ihipStream_tbEUlT_E_NS1_11comp_targetILNS1_3genE9ELNS1_11target_archE1100ELNS1_3gpuE3ELNS1_3repE0EEENS1_30default_config_static_selectorELNS0_4arch9wavefront6targetE1EEEvT1_,comdat
	.protected	_ZN7rocprim17ROCPRIM_400000_NS6detail17trampoline_kernelINS0_14default_configENS1_25transform_config_selectorIxLb1EEEZNS1_14transform_implILb1ES3_S5_PxS7_NS0_8identityIxEEEE10hipError_tT2_T3_mT4_P12ihipStream_tbEUlT_E_NS1_11comp_targetILNS1_3genE9ELNS1_11target_archE1100ELNS1_3gpuE3ELNS1_3repE0EEENS1_30default_config_static_selectorELNS0_4arch9wavefront6targetE1EEEvT1_ ; -- Begin function _ZN7rocprim17ROCPRIM_400000_NS6detail17trampoline_kernelINS0_14default_configENS1_25transform_config_selectorIxLb1EEEZNS1_14transform_implILb1ES3_S5_PxS7_NS0_8identityIxEEEE10hipError_tT2_T3_mT4_P12ihipStream_tbEUlT_E_NS1_11comp_targetILNS1_3genE9ELNS1_11target_archE1100ELNS1_3gpuE3ELNS1_3repE0EEENS1_30default_config_static_selectorELNS0_4arch9wavefront6targetE1EEEvT1_
	.globl	_ZN7rocprim17ROCPRIM_400000_NS6detail17trampoline_kernelINS0_14default_configENS1_25transform_config_selectorIxLb1EEEZNS1_14transform_implILb1ES3_S5_PxS7_NS0_8identityIxEEEE10hipError_tT2_T3_mT4_P12ihipStream_tbEUlT_E_NS1_11comp_targetILNS1_3genE9ELNS1_11target_archE1100ELNS1_3gpuE3ELNS1_3repE0EEENS1_30default_config_static_selectorELNS0_4arch9wavefront6targetE1EEEvT1_
	.p2align	8
	.type	_ZN7rocprim17ROCPRIM_400000_NS6detail17trampoline_kernelINS0_14default_configENS1_25transform_config_selectorIxLb1EEEZNS1_14transform_implILb1ES3_S5_PxS7_NS0_8identityIxEEEE10hipError_tT2_T3_mT4_P12ihipStream_tbEUlT_E_NS1_11comp_targetILNS1_3genE9ELNS1_11target_archE1100ELNS1_3gpuE3ELNS1_3repE0EEENS1_30default_config_static_selectorELNS0_4arch9wavefront6targetE1EEEvT1_,@function
_ZN7rocprim17ROCPRIM_400000_NS6detail17trampoline_kernelINS0_14default_configENS1_25transform_config_selectorIxLb1EEEZNS1_14transform_implILb1ES3_S5_PxS7_NS0_8identityIxEEEE10hipError_tT2_T3_mT4_P12ihipStream_tbEUlT_E_NS1_11comp_targetILNS1_3genE9ELNS1_11target_archE1100ELNS1_3gpuE3ELNS1_3repE0EEENS1_30default_config_static_selectorELNS0_4arch9wavefront6targetE1EEEvT1_: ; @_ZN7rocprim17ROCPRIM_400000_NS6detail17trampoline_kernelINS0_14default_configENS1_25transform_config_selectorIxLb1EEEZNS1_14transform_implILb1ES3_S5_PxS7_NS0_8identityIxEEEE10hipError_tT2_T3_mT4_P12ihipStream_tbEUlT_E_NS1_11comp_targetILNS1_3genE9ELNS1_11target_archE1100ELNS1_3gpuE3ELNS1_3repE0EEENS1_30default_config_static_selectorELNS0_4arch9wavefront6targetE1EEEvT1_
; %bb.0:
	.section	.rodata,"a",@progbits
	.p2align	6, 0x0
	.amdhsa_kernel _ZN7rocprim17ROCPRIM_400000_NS6detail17trampoline_kernelINS0_14default_configENS1_25transform_config_selectorIxLb1EEEZNS1_14transform_implILb1ES3_S5_PxS7_NS0_8identityIxEEEE10hipError_tT2_T3_mT4_P12ihipStream_tbEUlT_E_NS1_11comp_targetILNS1_3genE9ELNS1_11target_archE1100ELNS1_3gpuE3ELNS1_3repE0EEENS1_30default_config_static_selectorELNS0_4arch9wavefront6targetE1EEEvT1_
		.amdhsa_group_segment_fixed_size 0
		.amdhsa_private_segment_fixed_size 0
		.amdhsa_kernarg_size 40
		.amdhsa_user_sgpr_count 6
		.amdhsa_user_sgpr_private_segment_buffer 1
		.amdhsa_user_sgpr_dispatch_ptr 0
		.amdhsa_user_sgpr_queue_ptr 0
		.amdhsa_user_sgpr_kernarg_segment_ptr 1
		.amdhsa_user_sgpr_dispatch_id 0
		.amdhsa_user_sgpr_flat_scratch_init 0
		.amdhsa_user_sgpr_kernarg_preload_length 0
		.amdhsa_user_sgpr_kernarg_preload_offset 0
		.amdhsa_user_sgpr_private_segment_size 0
		.amdhsa_uses_dynamic_stack 0
		.amdhsa_system_sgpr_private_segment_wavefront_offset 0
		.amdhsa_system_sgpr_workgroup_id_x 1
		.amdhsa_system_sgpr_workgroup_id_y 0
		.amdhsa_system_sgpr_workgroup_id_z 0
		.amdhsa_system_sgpr_workgroup_info 0
		.amdhsa_system_vgpr_workitem_id 0
		.amdhsa_next_free_vgpr 1
		.amdhsa_next_free_sgpr 0
		.amdhsa_accum_offset 4
		.amdhsa_reserve_vcc 0
		.amdhsa_reserve_flat_scratch 0
		.amdhsa_float_round_mode_32 0
		.amdhsa_float_round_mode_16_64 0
		.amdhsa_float_denorm_mode_32 3
		.amdhsa_float_denorm_mode_16_64 3
		.amdhsa_dx10_clamp 1
		.amdhsa_ieee_mode 1
		.amdhsa_fp16_overflow 0
		.amdhsa_tg_split 0
		.amdhsa_exception_fp_ieee_invalid_op 0
		.amdhsa_exception_fp_denorm_src 0
		.amdhsa_exception_fp_ieee_div_zero 0
		.amdhsa_exception_fp_ieee_overflow 0
		.amdhsa_exception_fp_ieee_underflow 0
		.amdhsa_exception_fp_ieee_inexact 0
		.amdhsa_exception_int_div_zero 0
	.end_amdhsa_kernel
	.section	.text._ZN7rocprim17ROCPRIM_400000_NS6detail17trampoline_kernelINS0_14default_configENS1_25transform_config_selectorIxLb1EEEZNS1_14transform_implILb1ES3_S5_PxS7_NS0_8identityIxEEEE10hipError_tT2_T3_mT4_P12ihipStream_tbEUlT_E_NS1_11comp_targetILNS1_3genE9ELNS1_11target_archE1100ELNS1_3gpuE3ELNS1_3repE0EEENS1_30default_config_static_selectorELNS0_4arch9wavefront6targetE1EEEvT1_,"axG",@progbits,_ZN7rocprim17ROCPRIM_400000_NS6detail17trampoline_kernelINS0_14default_configENS1_25transform_config_selectorIxLb1EEEZNS1_14transform_implILb1ES3_S5_PxS7_NS0_8identityIxEEEE10hipError_tT2_T3_mT4_P12ihipStream_tbEUlT_E_NS1_11comp_targetILNS1_3genE9ELNS1_11target_archE1100ELNS1_3gpuE3ELNS1_3repE0EEENS1_30default_config_static_selectorELNS0_4arch9wavefront6targetE1EEEvT1_,comdat
.Lfunc_end19:
	.size	_ZN7rocprim17ROCPRIM_400000_NS6detail17trampoline_kernelINS0_14default_configENS1_25transform_config_selectorIxLb1EEEZNS1_14transform_implILb1ES3_S5_PxS7_NS0_8identityIxEEEE10hipError_tT2_T3_mT4_P12ihipStream_tbEUlT_E_NS1_11comp_targetILNS1_3genE9ELNS1_11target_archE1100ELNS1_3gpuE3ELNS1_3repE0EEENS1_30default_config_static_selectorELNS0_4arch9wavefront6targetE1EEEvT1_, .Lfunc_end19-_ZN7rocprim17ROCPRIM_400000_NS6detail17trampoline_kernelINS0_14default_configENS1_25transform_config_selectorIxLb1EEEZNS1_14transform_implILb1ES3_S5_PxS7_NS0_8identityIxEEEE10hipError_tT2_T3_mT4_P12ihipStream_tbEUlT_E_NS1_11comp_targetILNS1_3genE9ELNS1_11target_archE1100ELNS1_3gpuE3ELNS1_3repE0EEENS1_30default_config_static_selectorELNS0_4arch9wavefront6targetE1EEEvT1_
                                        ; -- End function
	.section	.AMDGPU.csdata,"",@progbits
; Kernel info:
; codeLenInByte = 0
; NumSgprs: 4
; NumVgprs: 0
; NumAgprs: 0
; TotalNumVgprs: 0
; ScratchSize: 0
; MemoryBound: 0
; FloatMode: 240
; IeeeMode: 1
; LDSByteSize: 0 bytes/workgroup (compile time only)
; SGPRBlocks: 0
; VGPRBlocks: 0
; NumSGPRsForWavesPerEU: 4
; NumVGPRsForWavesPerEU: 1
; AccumOffset: 4
; Occupancy: 8
; WaveLimiterHint : 0
; COMPUTE_PGM_RSRC2:SCRATCH_EN: 0
; COMPUTE_PGM_RSRC2:USER_SGPR: 6
; COMPUTE_PGM_RSRC2:TRAP_HANDLER: 0
; COMPUTE_PGM_RSRC2:TGID_X_EN: 1
; COMPUTE_PGM_RSRC2:TGID_Y_EN: 0
; COMPUTE_PGM_RSRC2:TGID_Z_EN: 0
; COMPUTE_PGM_RSRC2:TIDIG_COMP_CNT: 0
; COMPUTE_PGM_RSRC3_GFX90A:ACCUM_OFFSET: 0
; COMPUTE_PGM_RSRC3_GFX90A:TG_SPLIT: 0
	.section	.text._ZN7rocprim17ROCPRIM_400000_NS6detail17trampoline_kernelINS0_14default_configENS1_25transform_config_selectorIxLb1EEEZNS1_14transform_implILb1ES3_S5_PxS7_NS0_8identityIxEEEE10hipError_tT2_T3_mT4_P12ihipStream_tbEUlT_E_NS1_11comp_targetILNS1_3genE8ELNS1_11target_archE1030ELNS1_3gpuE2ELNS1_3repE0EEENS1_30default_config_static_selectorELNS0_4arch9wavefront6targetE1EEEvT1_,"axG",@progbits,_ZN7rocprim17ROCPRIM_400000_NS6detail17trampoline_kernelINS0_14default_configENS1_25transform_config_selectorIxLb1EEEZNS1_14transform_implILb1ES3_S5_PxS7_NS0_8identityIxEEEE10hipError_tT2_T3_mT4_P12ihipStream_tbEUlT_E_NS1_11comp_targetILNS1_3genE8ELNS1_11target_archE1030ELNS1_3gpuE2ELNS1_3repE0EEENS1_30default_config_static_selectorELNS0_4arch9wavefront6targetE1EEEvT1_,comdat
	.protected	_ZN7rocprim17ROCPRIM_400000_NS6detail17trampoline_kernelINS0_14default_configENS1_25transform_config_selectorIxLb1EEEZNS1_14transform_implILb1ES3_S5_PxS7_NS0_8identityIxEEEE10hipError_tT2_T3_mT4_P12ihipStream_tbEUlT_E_NS1_11comp_targetILNS1_3genE8ELNS1_11target_archE1030ELNS1_3gpuE2ELNS1_3repE0EEENS1_30default_config_static_selectorELNS0_4arch9wavefront6targetE1EEEvT1_ ; -- Begin function _ZN7rocprim17ROCPRIM_400000_NS6detail17trampoline_kernelINS0_14default_configENS1_25transform_config_selectorIxLb1EEEZNS1_14transform_implILb1ES3_S5_PxS7_NS0_8identityIxEEEE10hipError_tT2_T3_mT4_P12ihipStream_tbEUlT_E_NS1_11comp_targetILNS1_3genE8ELNS1_11target_archE1030ELNS1_3gpuE2ELNS1_3repE0EEENS1_30default_config_static_selectorELNS0_4arch9wavefront6targetE1EEEvT1_
	.globl	_ZN7rocprim17ROCPRIM_400000_NS6detail17trampoline_kernelINS0_14default_configENS1_25transform_config_selectorIxLb1EEEZNS1_14transform_implILb1ES3_S5_PxS7_NS0_8identityIxEEEE10hipError_tT2_T3_mT4_P12ihipStream_tbEUlT_E_NS1_11comp_targetILNS1_3genE8ELNS1_11target_archE1030ELNS1_3gpuE2ELNS1_3repE0EEENS1_30default_config_static_selectorELNS0_4arch9wavefront6targetE1EEEvT1_
	.p2align	8
	.type	_ZN7rocprim17ROCPRIM_400000_NS6detail17trampoline_kernelINS0_14default_configENS1_25transform_config_selectorIxLb1EEEZNS1_14transform_implILb1ES3_S5_PxS7_NS0_8identityIxEEEE10hipError_tT2_T3_mT4_P12ihipStream_tbEUlT_E_NS1_11comp_targetILNS1_3genE8ELNS1_11target_archE1030ELNS1_3gpuE2ELNS1_3repE0EEENS1_30default_config_static_selectorELNS0_4arch9wavefront6targetE1EEEvT1_,@function
_ZN7rocprim17ROCPRIM_400000_NS6detail17trampoline_kernelINS0_14default_configENS1_25transform_config_selectorIxLb1EEEZNS1_14transform_implILb1ES3_S5_PxS7_NS0_8identityIxEEEE10hipError_tT2_T3_mT4_P12ihipStream_tbEUlT_E_NS1_11comp_targetILNS1_3genE8ELNS1_11target_archE1030ELNS1_3gpuE2ELNS1_3repE0EEENS1_30default_config_static_selectorELNS0_4arch9wavefront6targetE1EEEvT1_: ; @_ZN7rocprim17ROCPRIM_400000_NS6detail17trampoline_kernelINS0_14default_configENS1_25transform_config_selectorIxLb1EEEZNS1_14transform_implILb1ES3_S5_PxS7_NS0_8identityIxEEEE10hipError_tT2_T3_mT4_P12ihipStream_tbEUlT_E_NS1_11comp_targetILNS1_3genE8ELNS1_11target_archE1030ELNS1_3gpuE2ELNS1_3repE0EEENS1_30default_config_static_selectorELNS0_4arch9wavefront6targetE1EEEvT1_
; %bb.0:
	.section	.rodata,"a",@progbits
	.p2align	6, 0x0
	.amdhsa_kernel _ZN7rocprim17ROCPRIM_400000_NS6detail17trampoline_kernelINS0_14default_configENS1_25transform_config_selectorIxLb1EEEZNS1_14transform_implILb1ES3_S5_PxS7_NS0_8identityIxEEEE10hipError_tT2_T3_mT4_P12ihipStream_tbEUlT_E_NS1_11comp_targetILNS1_3genE8ELNS1_11target_archE1030ELNS1_3gpuE2ELNS1_3repE0EEENS1_30default_config_static_selectorELNS0_4arch9wavefront6targetE1EEEvT1_
		.amdhsa_group_segment_fixed_size 0
		.amdhsa_private_segment_fixed_size 0
		.amdhsa_kernarg_size 40
		.amdhsa_user_sgpr_count 6
		.amdhsa_user_sgpr_private_segment_buffer 1
		.amdhsa_user_sgpr_dispatch_ptr 0
		.amdhsa_user_sgpr_queue_ptr 0
		.amdhsa_user_sgpr_kernarg_segment_ptr 1
		.amdhsa_user_sgpr_dispatch_id 0
		.amdhsa_user_sgpr_flat_scratch_init 0
		.amdhsa_user_sgpr_kernarg_preload_length 0
		.amdhsa_user_sgpr_kernarg_preload_offset 0
		.amdhsa_user_sgpr_private_segment_size 0
		.amdhsa_uses_dynamic_stack 0
		.amdhsa_system_sgpr_private_segment_wavefront_offset 0
		.amdhsa_system_sgpr_workgroup_id_x 1
		.amdhsa_system_sgpr_workgroup_id_y 0
		.amdhsa_system_sgpr_workgroup_id_z 0
		.amdhsa_system_sgpr_workgroup_info 0
		.amdhsa_system_vgpr_workitem_id 0
		.amdhsa_next_free_vgpr 1
		.amdhsa_next_free_sgpr 0
		.amdhsa_accum_offset 4
		.amdhsa_reserve_vcc 0
		.amdhsa_reserve_flat_scratch 0
		.amdhsa_float_round_mode_32 0
		.amdhsa_float_round_mode_16_64 0
		.amdhsa_float_denorm_mode_32 3
		.amdhsa_float_denorm_mode_16_64 3
		.amdhsa_dx10_clamp 1
		.amdhsa_ieee_mode 1
		.amdhsa_fp16_overflow 0
		.amdhsa_tg_split 0
		.amdhsa_exception_fp_ieee_invalid_op 0
		.amdhsa_exception_fp_denorm_src 0
		.amdhsa_exception_fp_ieee_div_zero 0
		.amdhsa_exception_fp_ieee_overflow 0
		.amdhsa_exception_fp_ieee_underflow 0
		.amdhsa_exception_fp_ieee_inexact 0
		.amdhsa_exception_int_div_zero 0
	.end_amdhsa_kernel
	.section	.text._ZN7rocprim17ROCPRIM_400000_NS6detail17trampoline_kernelINS0_14default_configENS1_25transform_config_selectorIxLb1EEEZNS1_14transform_implILb1ES3_S5_PxS7_NS0_8identityIxEEEE10hipError_tT2_T3_mT4_P12ihipStream_tbEUlT_E_NS1_11comp_targetILNS1_3genE8ELNS1_11target_archE1030ELNS1_3gpuE2ELNS1_3repE0EEENS1_30default_config_static_selectorELNS0_4arch9wavefront6targetE1EEEvT1_,"axG",@progbits,_ZN7rocprim17ROCPRIM_400000_NS6detail17trampoline_kernelINS0_14default_configENS1_25transform_config_selectorIxLb1EEEZNS1_14transform_implILb1ES3_S5_PxS7_NS0_8identityIxEEEE10hipError_tT2_T3_mT4_P12ihipStream_tbEUlT_E_NS1_11comp_targetILNS1_3genE8ELNS1_11target_archE1030ELNS1_3gpuE2ELNS1_3repE0EEENS1_30default_config_static_selectorELNS0_4arch9wavefront6targetE1EEEvT1_,comdat
.Lfunc_end20:
	.size	_ZN7rocprim17ROCPRIM_400000_NS6detail17trampoline_kernelINS0_14default_configENS1_25transform_config_selectorIxLb1EEEZNS1_14transform_implILb1ES3_S5_PxS7_NS0_8identityIxEEEE10hipError_tT2_T3_mT4_P12ihipStream_tbEUlT_E_NS1_11comp_targetILNS1_3genE8ELNS1_11target_archE1030ELNS1_3gpuE2ELNS1_3repE0EEENS1_30default_config_static_selectorELNS0_4arch9wavefront6targetE1EEEvT1_, .Lfunc_end20-_ZN7rocprim17ROCPRIM_400000_NS6detail17trampoline_kernelINS0_14default_configENS1_25transform_config_selectorIxLb1EEEZNS1_14transform_implILb1ES3_S5_PxS7_NS0_8identityIxEEEE10hipError_tT2_T3_mT4_P12ihipStream_tbEUlT_E_NS1_11comp_targetILNS1_3genE8ELNS1_11target_archE1030ELNS1_3gpuE2ELNS1_3repE0EEENS1_30default_config_static_selectorELNS0_4arch9wavefront6targetE1EEEvT1_
                                        ; -- End function
	.section	.AMDGPU.csdata,"",@progbits
; Kernel info:
; codeLenInByte = 0
; NumSgprs: 4
; NumVgprs: 0
; NumAgprs: 0
; TotalNumVgprs: 0
; ScratchSize: 0
; MemoryBound: 0
; FloatMode: 240
; IeeeMode: 1
; LDSByteSize: 0 bytes/workgroup (compile time only)
; SGPRBlocks: 0
; VGPRBlocks: 0
; NumSGPRsForWavesPerEU: 4
; NumVGPRsForWavesPerEU: 1
; AccumOffset: 4
; Occupancy: 8
; WaveLimiterHint : 0
; COMPUTE_PGM_RSRC2:SCRATCH_EN: 0
; COMPUTE_PGM_RSRC2:USER_SGPR: 6
; COMPUTE_PGM_RSRC2:TRAP_HANDLER: 0
; COMPUTE_PGM_RSRC2:TGID_X_EN: 1
; COMPUTE_PGM_RSRC2:TGID_Y_EN: 0
; COMPUTE_PGM_RSRC2:TGID_Z_EN: 0
; COMPUTE_PGM_RSRC2:TIDIG_COMP_CNT: 0
; COMPUTE_PGM_RSRC3_GFX90A:ACCUM_OFFSET: 0
; COMPUTE_PGM_RSRC3_GFX90A:TG_SPLIT: 0
	.section	.text._ZN7rocprim17ROCPRIM_400000_NS6detail17trampoline_kernelINS0_14default_configENS1_20scan_config_selectorIxEEZZNS1_9scan_implILNS1_25lookback_scan_determinismE0ELb0ELb0ES3_N6thrust23THRUST_200600_302600_NS6detail15normal_iteratorINS9_10device_ptrIxEEEESE_xNS9_4plusIvEExEEDaPvRmT3_T4_T5_mT6_P12ihipStream_tbENKUlT_T0_E_clISt17integral_constantIbLb0EESU_EEDaSP_SQ_EUlSP_E0_NS1_11comp_targetILNS1_3genE0ELNS1_11target_archE4294967295ELNS1_3gpuE0ELNS1_3repE0EEENS1_30default_config_static_selectorELNS0_4arch9wavefront6targetE1EEEvT1_,"axG",@progbits,_ZN7rocprim17ROCPRIM_400000_NS6detail17trampoline_kernelINS0_14default_configENS1_20scan_config_selectorIxEEZZNS1_9scan_implILNS1_25lookback_scan_determinismE0ELb0ELb0ES3_N6thrust23THRUST_200600_302600_NS6detail15normal_iteratorINS9_10device_ptrIxEEEESE_xNS9_4plusIvEExEEDaPvRmT3_T4_T5_mT6_P12ihipStream_tbENKUlT_T0_E_clISt17integral_constantIbLb0EESU_EEDaSP_SQ_EUlSP_E0_NS1_11comp_targetILNS1_3genE0ELNS1_11target_archE4294967295ELNS1_3gpuE0ELNS1_3repE0EEENS1_30default_config_static_selectorELNS0_4arch9wavefront6targetE1EEEvT1_,comdat
	.protected	_ZN7rocprim17ROCPRIM_400000_NS6detail17trampoline_kernelINS0_14default_configENS1_20scan_config_selectorIxEEZZNS1_9scan_implILNS1_25lookback_scan_determinismE0ELb0ELb0ES3_N6thrust23THRUST_200600_302600_NS6detail15normal_iteratorINS9_10device_ptrIxEEEESE_xNS9_4plusIvEExEEDaPvRmT3_T4_T5_mT6_P12ihipStream_tbENKUlT_T0_E_clISt17integral_constantIbLb0EESU_EEDaSP_SQ_EUlSP_E0_NS1_11comp_targetILNS1_3genE0ELNS1_11target_archE4294967295ELNS1_3gpuE0ELNS1_3repE0EEENS1_30default_config_static_selectorELNS0_4arch9wavefront6targetE1EEEvT1_ ; -- Begin function _ZN7rocprim17ROCPRIM_400000_NS6detail17trampoline_kernelINS0_14default_configENS1_20scan_config_selectorIxEEZZNS1_9scan_implILNS1_25lookback_scan_determinismE0ELb0ELb0ES3_N6thrust23THRUST_200600_302600_NS6detail15normal_iteratorINS9_10device_ptrIxEEEESE_xNS9_4plusIvEExEEDaPvRmT3_T4_T5_mT6_P12ihipStream_tbENKUlT_T0_E_clISt17integral_constantIbLb0EESU_EEDaSP_SQ_EUlSP_E0_NS1_11comp_targetILNS1_3genE0ELNS1_11target_archE4294967295ELNS1_3gpuE0ELNS1_3repE0EEENS1_30default_config_static_selectorELNS0_4arch9wavefront6targetE1EEEvT1_
	.globl	_ZN7rocprim17ROCPRIM_400000_NS6detail17trampoline_kernelINS0_14default_configENS1_20scan_config_selectorIxEEZZNS1_9scan_implILNS1_25lookback_scan_determinismE0ELb0ELb0ES3_N6thrust23THRUST_200600_302600_NS6detail15normal_iteratorINS9_10device_ptrIxEEEESE_xNS9_4plusIvEExEEDaPvRmT3_T4_T5_mT6_P12ihipStream_tbENKUlT_T0_E_clISt17integral_constantIbLb0EESU_EEDaSP_SQ_EUlSP_E0_NS1_11comp_targetILNS1_3genE0ELNS1_11target_archE4294967295ELNS1_3gpuE0ELNS1_3repE0EEENS1_30default_config_static_selectorELNS0_4arch9wavefront6targetE1EEEvT1_
	.p2align	8
	.type	_ZN7rocprim17ROCPRIM_400000_NS6detail17trampoline_kernelINS0_14default_configENS1_20scan_config_selectorIxEEZZNS1_9scan_implILNS1_25lookback_scan_determinismE0ELb0ELb0ES3_N6thrust23THRUST_200600_302600_NS6detail15normal_iteratorINS9_10device_ptrIxEEEESE_xNS9_4plusIvEExEEDaPvRmT3_T4_T5_mT6_P12ihipStream_tbENKUlT_T0_E_clISt17integral_constantIbLb0EESU_EEDaSP_SQ_EUlSP_E0_NS1_11comp_targetILNS1_3genE0ELNS1_11target_archE4294967295ELNS1_3gpuE0ELNS1_3repE0EEENS1_30default_config_static_selectorELNS0_4arch9wavefront6targetE1EEEvT1_,@function
_ZN7rocprim17ROCPRIM_400000_NS6detail17trampoline_kernelINS0_14default_configENS1_20scan_config_selectorIxEEZZNS1_9scan_implILNS1_25lookback_scan_determinismE0ELb0ELb0ES3_N6thrust23THRUST_200600_302600_NS6detail15normal_iteratorINS9_10device_ptrIxEEEESE_xNS9_4plusIvEExEEDaPvRmT3_T4_T5_mT6_P12ihipStream_tbENKUlT_T0_E_clISt17integral_constantIbLb0EESU_EEDaSP_SQ_EUlSP_E0_NS1_11comp_targetILNS1_3genE0ELNS1_11target_archE4294967295ELNS1_3gpuE0ELNS1_3repE0EEENS1_30default_config_static_selectorELNS0_4arch9wavefront6targetE1EEEvT1_: ; @_ZN7rocprim17ROCPRIM_400000_NS6detail17trampoline_kernelINS0_14default_configENS1_20scan_config_selectorIxEEZZNS1_9scan_implILNS1_25lookback_scan_determinismE0ELb0ELb0ES3_N6thrust23THRUST_200600_302600_NS6detail15normal_iteratorINS9_10device_ptrIxEEEESE_xNS9_4plusIvEExEEDaPvRmT3_T4_T5_mT6_P12ihipStream_tbENKUlT_T0_E_clISt17integral_constantIbLb0EESU_EEDaSP_SQ_EUlSP_E0_NS1_11comp_targetILNS1_3genE0ELNS1_11target_archE4294967295ELNS1_3gpuE0ELNS1_3repE0EEENS1_30default_config_static_selectorELNS0_4arch9wavefront6targetE1EEEvT1_
; %bb.0:
	.section	.rodata,"a",@progbits
	.p2align	6, 0x0
	.amdhsa_kernel _ZN7rocprim17ROCPRIM_400000_NS6detail17trampoline_kernelINS0_14default_configENS1_20scan_config_selectorIxEEZZNS1_9scan_implILNS1_25lookback_scan_determinismE0ELb0ELb0ES3_N6thrust23THRUST_200600_302600_NS6detail15normal_iteratorINS9_10device_ptrIxEEEESE_xNS9_4plusIvEExEEDaPvRmT3_T4_T5_mT6_P12ihipStream_tbENKUlT_T0_E_clISt17integral_constantIbLb0EESU_EEDaSP_SQ_EUlSP_E0_NS1_11comp_targetILNS1_3genE0ELNS1_11target_archE4294967295ELNS1_3gpuE0ELNS1_3repE0EEENS1_30default_config_static_selectorELNS0_4arch9wavefront6targetE1EEEvT1_
		.amdhsa_group_segment_fixed_size 0
		.amdhsa_private_segment_fixed_size 0
		.amdhsa_kernarg_size 40
		.amdhsa_user_sgpr_count 6
		.amdhsa_user_sgpr_private_segment_buffer 1
		.amdhsa_user_sgpr_dispatch_ptr 0
		.amdhsa_user_sgpr_queue_ptr 0
		.amdhsa_user_sgpr_kernarg_segment_ptr 1
		.amdhsa_user_sgpr_dispatch_id 0
		.amdhsa_user_sgpr_flat_scratch_init 0
		.amdhsa_user_sgpr_kernarg_preload_length 0
		.amdhsa_user_sgpr_kernarg_preload_offset 0
		.amdhsa_user_sgpr_private_segment_size 0
		.amdhsa_uses_dynamic_stack 0
		.amdhsa_system_sgpr_private_segment_wavefront_offset 0
		.amdhsa_system_sgpr_workgroup_id_x 1
		.amdhsa_system_sgpr_workgroup_id_y 0
		.amdhsa_system_sgpr_workgroup_id_z 0
		.amdhsa_system_sgpr_workgroup_info 0
		.amdhsa_system_vgpr_workitem_id 0
		.amdhsa_next_free_vgpr 1
		.amdhsa_next_free_sgpr 0
		.amdhsa_accum_offset 4
		.amdhsa_reserve_vcc 0
		.amdhsa_reserve_flat_scratch 0
		.amdhsa_float_round_mode_32 0
		.amdhsa_float_round_mode_16_64 0
		.amdhsa_float_denorm_mode_32 3
		.amdhsa_float_denorm_mode_16_64 3
		.amdhsa_dx10_clamp 1
		.amdhsa_ieee_mode 1
		.amdhsa_fp16_overflow 0
		.amdhsa_tg_split 0
		.amdhsa_exception_fp_ieee_invalid_op 0
		.amdhsa_exception_fp_denorm_src 0
		.amdhsa_exception_fp_ieee_div_zero 0
		.amdhsa_exception_fp_ieee_overflow 0
		.amdhsa_exception_fp_ieee_underflow 0
		.amdhsa_exception_fp_ieee_inexact 0
		.amdhsa_exception_int_div_zero 0
	.end_amdhsa_kernel
	.section	.text._ZN7rocprim17ROCPRIM_400000_NS6detail17trampoline_kernelINS0_14default_configENS1_20scan_config_selectorIxEEZZNS1_9scan_implILNS1_25lookback_scan_determinismE0ELb0ELb0ES3_N6thrust23THRUST_200600_302600_NS6detail15normal_iteratorINS9_10device_ptrIxEEEESE_xNS9_4plusIvEExEEDaPvRmT3_T4_T5_mT6_P12ihipStream_tbENKUlT_T0_E_clISt17integral_constantIbLb0EESU_EEDaSP_SQ_EUlSP_E0_NS1_11comp_targetILNS1_3genE0ELNS1_11target_archE4294967295ELNS1_3gpuE0ELNS1_3repE0EEENS1_30default_config_static_selectorELNS0_4arch9wavefront6targetE1EEEvT1_,"axG",@progbits,_ZN7rocprim17ROCPRIM_400000_NS6detail17trampoline_kernelINS0_14default_configENS1_20scan_config_selectorIxEEZZNS1_9scan_implILNS1_25lookback_scan_determinismE0ELb0ELb0ES3_N6thrust23THRUST_200600_302600_NS6detail15normal_iteratorINS9_10device_ptrIxEEEESE_xNS9_4plusIvEExEEDaPvRmT3_T4_T5_mT6_P12ihipStream_tbENKUlT_T0_E_clISt17integral_constantIbLb0EESU_EEDaSP_SQ_EUlSP_E0_NS1_11comp_targetILNS1_3genE0ELNS1_11target_archE4294967295ELNS1_3gpuE0ELNS1_3repE0EEENS1_30default_config_static_selectorELNS0_4arch9wavefront6targetE1EEEvT1_,comdat
.Lfunc_end21:
	.size	_ZN7rocprim17ROCPRIM_400000_NS6detail17trampoline_kernelINS0_14default_configENS1_20scan_config_selectorIxEEZZNS1_9scan_implILNS1_25lookback_scan_determinismE0ELb0ELb0ES3_N6thrust23THRUST_200600_302600_NS6detail15normal_iteratorINS9_10device_ptrIxEEEESE_xNS9_4plusIvEExEEDaPvRmT3_T4_T5_mT6_P12ihipStream_tbENKUlT_T0_E_clISt17integral_constantIbLb0EESU_EEDaSP_SQ_EUlSP_E0_NS1_11comp_targetILNS1_3genE0ELNS1_11target_archE4294967295ELNS1_3gpuE0ELNS1_3repE0EEENS1_30default_config_static_selectorELNS0_4arch9wavefront6targetE1EEEvT1_, .Lfunc_end21-_ZN7rocprim17ROCPRIM_400000_NS6detail17trampoline_kernelINS0_14default_configENS1_20scan_config_selectorIxEEZZNS1_9scan_implILNS1_25lookback_scan_determinismE0ELb0ELb0ES3_N6thrust23THRUST_200600_302600_NS6detail15normal_iteratorINS9_10device_ptrIxEEEESE_xNS9_4plusIvEExEEDaPvRmT3_T4_T5_mT6_P12ihipStream_tbENKUlT_T0_E_clISt17integral_constantIbLb0EESU_EEDaSP_SQ_EUlSP_E0_NS1_11comp_targetILNS1_3genE0ELNS1_11target_archE4294967295ELNS1_3gpuE0ELNS1_3repE0EEENS1_30default_config_static_selectorELNS0_4arch9wavefront6targetE1EEEvT1_
                                        ; -- End function
	.section	.AMDGPU.csdata,"",@progbits
; Kernel info:
; codeLenInByte = 0
; NumSgprs: 4
; NumVgprs: 0
; NumAgprs: 0
; TotalNumVgprs: 0
; ScratchSize: 0
; MemoryBound: 0
; FloatMode: 240
; IeeeMode: 1
; LDSByteSize: 0 bytes/workgroup (compile time only)
; SGPRBlocks: 0
; VGPRBlocks: 0
; NumSGPRsForWavesPerEU: 4
; NumVGPRsForWavesPerEU: 1
; AccumOffset: 4
; Occupancy: 8
; WaveLimiterHint : 0
; COMPUTE_PGM_RSRC2:SCRATCH_EN: 0
; COMPUTE_PGM_RSRC2:USER_SGPR: 6
; COMPUTE_PGM_RSRC2:TRAP_HANDLER: 0
; COMPUTE_PGM_RSRC2:TGID_X_EN: 1
; COMPUTE_PGM_RSRC2:TGID_Y_EN: 0
; COMPUTE_PGM_RSRC2:TGID_Z_EN: 0
; COMPUTE_PGM_RSRC2:TIDIG_COMP_CNT: 0
; COMPUTE_PGM_RSRC3_GFX90A:ACCUM_OFFSET: 0
; COMPUTE_PGM_RSRC3_GFX90A:TG_SPLIT: 0
	.section	.text._ZN7rocprim17ROCPRIM_400000_NS6detail17trampoline_kernelINS0_14default_configENS1_20scan_config_selectorIxEEZZNS1_9scan_implILNS1_25lookback_scan_determinismE0ELb0ELb0ES3_N6thrust23THRUST_200600_302600_NS6detail15normal_iteratorINS9_10device_ptrIxEEEESE_xNS9_4plusIvEExEEDaPvRmT3_T4_T5_mT6_P12ihipStream_tbENKUlT_T0_E_clISt17integral_constantIbLb0EESU_EEDaSP_SQ_EUlSP_E0_NS1_11comp_targetILNS1_3genE5ELNS1_11target_archE942ELNS1_3gpuE9ELNS1_3repE0EEENS1_30default_config_static_selectorELNS0_4arch9wavefront6targetE1EEEvT1_,"axG",@progbits,_ZN7rocprim17ROCPRIM_400000_NS6detail17trampoline_kernelINS0_14default_configENS1_20scan_config_selectorIxEEZZNS1_9scan_implILNS1_25lookback_scan_determinismE0ELb0ELb0ES3_N6thrust23THRUST_200600_302600_NS6detail15normal_iteratorINS9_10device_ptrIxEEEESE_xNS9_4plusIvEExEEDaPvRmT3_T4_T5_mT6_P12ihipStream_tbENKUlT_T0_E_clISt17integral_constantIbLb0EESU_EEDaSP_SQ_EUlSP_E0_NS1_11comp_targetILNS1_3genE5ELNS1_11target_archE942ELNS1_3gpuE9ELNS1_3repE0EEENS1_30default_config_static_selectorELNS0_4arch9wavefront6targetE1EEEvT1_,comdat
	.protected	_ZN7rocprim17ROCPRIM_400000_NS6detail17trampoline_kernelINS0_14default_configENS1_20scan_config_selectorIxEEZZNS1_9scan_implILNS1_25lookback_scan_determinismE0ELb0ELb0ES3_N6thrust23THRUST_200600_302600_NS6detail15normal_iteratorINS9_10device_ptrIxEEEESE_xNS9_4plusIvEExEEDaPvRmT3_T4_T5_mT6_P12ihipStream_tbENKUlT_T0_E_clISt17integral_constantIbLb0EESU_EEDaSP_SQ_EUlSP_E0_NS1_11comp_targetILNS1_3genE5ELNS1_11target_archE942ELNS1_3gpuE9ELNS1_3repE0EEENS1_30default_config_static_selectorELNS0_4arch9wavefront6targetE1EEEvT1_ ; -- Begin function _ZN7rocprim17ROCPRIM_400000_NS6detail17trampoline_kernelINS0_14default_configENS1_20scan_config_selectorIxEEZZNS1_9scan_implILNS1_25lookback_scan_determinismE0ELb0ELb0ES3_N6thrust23THRUST_200600_302600_NS6detail15normal_iteratorINS9_10device_ptrIxEEEESE_xNS9_4plusIvEExEEDaPvRmT3_T4_T5_mT6_P12ihipStream_tbENKUlT_T0_E_clISt17integral_constantIbLb0EESU_EEDaSP_SQ_EUlSP_E0_NS1_11comp_targetILNS1_3genE5ELNS1_11target_archE942ELNS1_3gpuE9ELNS1_3repE0EEENS1_30default_config_static_selectorELNS0_4arch9wavefront6targetE1EEEvT1_
	.globl	_ZN7rocprim17ROCPRIM_400000_NS6detail17trampoline_kernelINS0_14default_configENS1_20scan_config_selectorIxEEZZNS1_9scan_implILNS1_25lookback_scan_determinismE0ELb0ELb0ES3_N6thrust23THRUST_200600_302600_NS6detail15normal_iteratorINS9_10device_ptrIxEEEESE_xNS9_4plusIvEExEEDaPvRmT3_T4_T5_mT6_P12ihipStream_tbENKUlT_T0_E_clISt17integral_constantIbLb0EESU_EEDaSP_SQ_EUlSP_E0_NS1_11comp_targetILNS1_3genE5ELNS1_11target_archE942ELNS1_3gpuE9ELNS1_3repE0EEENS1_30default_config_static_selectorELNS0_4arch9wavefront6targetE1EEEvT1_
	.p2align	8
	.type	_ZN7rocprim17ROCPRIM_400000_NS6detail17trampoline_kernelINS0_14default_configENS1_20scan_config_selectorIxEEZZNS1_9scan_implILNS1_25lookback_scan_determinismE0ELb0ELb0ES3_N6thrust23THRUST_200600_302600_NS6detail15normal_iteratorINS9_10device_ptrIxEEEESE_xNS9_4plusIvEExEEDaPvRmT3_T4_T5_mT6_P12ihipStream_tbENKUlT_T0_E_clISt17integral_constantIbLb0EESU_EEDaSP_SQ_EUlSP_E0_NS1_11comp_targetILNS1_3genE5ELNS1_11target_archE942ELNS1_3gpuE9ELNS1_3repE0EEENS1_30default_config_static_selectorELNS0_4arch9wavefront6targetE1EEEvT1_,@function
_ZN7rocprim17ROCPRIM_400000_NS6detail17trampoline_kernelINS0_14default_configENS1_20scan_config_selectorIxEEZZNS1_9scan_implILNS1_25lookback_scan_determinismE0ELb0ELb0ES3_N6thrust23THRUST_200600_302600_NS6detail15normal_iteratorINS9_10device_ptrIxEEEESE_xNS9_4plusIvEExEEDaPvRmT3_T4_T5_mT6_P12ihipStream_tbENKUlT_T0_E_clISt17integral_constantIbLb0EESU_EEDaSP_SQ_EUlSP_E0_NS1_11comp_targetILNS1_3genE5ELNS1_11target_archE942ELNS1_3gpuE9ELNS1_3repE0EEENS1_30default_config_static_selectorELNS0_4arch9wavefront6targetE1EEEvT1_: ; @_ZN7rocprim17ROCPRIM_400000_NS6detail17trampoline_kernelINS0_14default_configENS1_20scan_config_selectorIxEEZZNS1_9scan_implILNS1_25lookback_scan_determinismE0ELb0ELb0ES3_N6thrust23THRUST_200600_302600_NS6detail15normal_iteratorINS9_10device_ptrIxEEEESE_xNS9_4plusIvEExEEDaPvRmT3_T4_T5_mT6_P12ihipStream_tbENKUlT_T0_E_clISt17integral_constantIbLb0EESU_EEDaSP_SQ_EUlSP_E0_NS1_11comp_targetILNS1_3genE5ELNS1_11target_archE942ELNS1_3gpuE9ELNS1_3repE0EEENS1_30default_config_static_selectorELNS0_4arch9wavefront6targetE1EEEvT1_
; %bb.0:
	.section	.rodata,"a",@progbits
	.p2align	6, 0x0
	.amdhsa_kernel _ZN7rocprim17ROCPRIM_400000_NS6detail17trampoline_kernelINS0_14default_configENS1_20scan_config_selectorIxEEZZNS1_9scan_implILNS1_25lookback_scan_determinismE0ELb0ELb0ES3_N6thrust23THRUST_200600_302600_NS6detail15normal_iteratorINS9_10device_ptrIxEEEESE_xNS9_4plusIvEExEEDaPvRmT3_T4_T5_mT6_P12ihipStream_tbENKUlT_T0_E_clISt17integral_constantIbLb0EESU_EEDaSP_SQ_EUlSP_E0_NS1_11comp_targetILNS1_3genE5ELNS1_11target_archE942ELNS1_3gpuE9ELNS1_3repE0EEENS1_30default_config_static_selectorELNS0_4arch9wavefront6targetE1EEEvT1_
		.amdhsa_group_segment_fixed_size 0
		.amdhsa_private_segment_fixed_size 0
		.amdhsa_kernarg_size 40
		.amdhsa_user_sgpr_count 6
		.amdhsa_user_sgpr_private_segment_buffer 1
		.amdhsa_user_sgpr_dispatch_ptr 0
		.amdhsa_user_sgpr_queue_ptr 0
		.amdhsa_user_sgpr_kernarg_segment_ptr 1
		.amdhsa_user_sgpr_dispatch_id 0
		.amdhsa_user_sgpr_flat_scratch_init 0
		.amdhsa_user_sgpr_kernarg_preload_length 0
		.amdhsa_user_sgpr_kernarg_preload_offset 0
		.amdhsa_user_sgpr_private_segment_size 0
		.amdhsa_uses_dynamic_stack 0
		.amdhsa_system_sgpr_private_segment_wavefront_offset 0
		.amdhsa_system_sgpr_workgroup_id_x 1
		.amdhsa_system_sgpr_workgroup_id_y 0
		.amdhsa_system_sgpr_workgroup_id_z 0
		.amdhsa_system_sgpr_workgroup_info 0
		.amdhsa_system_vgpr_workitem_id 0
		.amdhsa_next_free_vgpr 1
		.amdhsa_next_free_sgpr 0
		.amdhsa_accum_offset 4
		.amdhsa_reserve_vcc 0
		.amdhsa_reserve_flat_scratch 0
		.amdhsa_float_round_mode_32 0
		.amdhsa_float_round_mode_16_64 0
		.amdhsa_float_denorm_mode_32 3
		.amdhsa_float_denorm_mode_16_64 3
		.amdhsa_dx10_clamp 1
		.amdhsa_ieee_mode 1
		.amdhsa_fp16_overflow 0
		.amdhsa_tg_split 0
		.amdhsa_exception_fp_ieee_invalid_op 0
		.amdhsa_exception_fp_denorm_src 0
		.amdhsa_exception_fp_ieee_div_zero 0
		.amdhsa_exception_fp_ieee_overflow 0
		.amdhsa_exception_fp_ieee_underflow 0
		.amdhsa_exception_fp_ieee_inexact 0
		.amdhsa_exception_int_div_zero 0
	.end_amdhsa_kernel
	.section	.text._ZN7rocprim17ROCPRIM_400000_NS6detail17trampoline_kernelINS0_14default_configENS1_20scan_config_selectorIxEEZZNS1_9scan_implILNS1_25lookback_scan_determinismE0ELb0ELb0ES3_N6thrust23THRUST_200600_302600_NS6detail15normal_iteratorINS9_10device_ptrIxEEEESE_xNS9_4plusIvEExEEDaPvRmT3_T4_T5_mT6_P12ihipStream_tbENKUlT_T0_E_clISt17integral_constantIbLb0EESU_EEDaSP_SQ_EUlSP_E0_NS1_11comp_targetILNS1_3genE5ELNS1_11target_archE942ELNS1_3gpuE9ELNS1_3repE0EEENS1_30default_config_static_selectorELNS0_4arch9wavefront6targetE1EEEvT1_,"axG",@progbits,_ZN7rocprim17ROCPRIM_400000_NS6detail17trampoline_kernelINS0_14default_configENS1_20scan_config_selectorIxEEZZNS1_9scan_implILNS1_25lookback_scan_determinismE0ELb0ELb0ES3_N6thrust23THRUST_200600_302600_NS6detail15normal_iteratorINS9_10device_ptrIxEEEESE_xNS9_4plusIvEExEEDaPvRmT3_T4_T5_mT6_P12ihipStream_tbENKUlT_T0_E_clISt17integral_constantIbLb0EESU_EEDaSP_SQ_EUlSP_E0_NS1_11comp_targetILNS1_3genE5ELNS1_11target_archE942ELNS1_3gpuE9ELNS1_3repE0EEENS1_30default_config_static_selectorELNS0_4arch9wavefront6targetE1EEEvT1_,comdat
.Lfunc_end22:
	.size	_ZN7rocprim17ROCPRIM_400000_NS6detail17trampoline_kernelINS0_14default_configENS1_20scan_config_selectorIxEEZZNS1_9scan_implILNS1_25lookback_scan_determinismE0ELb0ELb0ES3_N6thrust23THRUST_200600_302600_NS6detail15normal_iteratorINS9_10device_ptrIxEEEESE_xNS9_4plusIvEExEEDaPvRmT3_T4_T5_mT6_P12ihipStream_tbENKUlT_T0_E_clISt17integral_constantIbLb0EESU_EEDaSP_SQ_EUlSP_E0_NS1_11comp_targetILNS1_3genE5ELNS1_11target_archE942ELNS1_3gpuE9ELNS1_3repE0EEENS1_30default_config_static_selectorELNS0_4arch9wavefront6targetE1EEEvT1_, .Lfunc_end22-_ZN7rocprim17ROCPRIM_400000_NS6detail17trampoline_kernelINS0_14default_configENS1_20scan_config_selectorIxEEZZNS1_9scan_implILNS1_25lookback_scan_determinismE0ELb0ELb0ES3_N6thrust23THRUST_200600_302600_NS6detail15normal_iteratorINS9_10device_ptrIxEEEESE_xNS9_4plusIvEExEEDaPvRmT3_T4_T5_mT6_P12ihipStream_tbENKUlT_T0_E_clISt17integral_constantIbLb0EESU_EEDaSP_SQ_EUlSP_E0_NS1_11comp_targetILNS1_3genE5ELNS1_11target_archE942ELNS1_3gpuE9ELNS1_3repE0EEENS1_30default_config_static_selectorELNS0_4arch9wavefront6targetE1EEEvT1_
                                        ; -- End function
	.section	.AMDGPU.csdata,"",@progbits
; Kernel info:
; codeLenInByte = 0
; NumSgprs: 4
; NumVgprs: 0
; NumAgprs: 0
; TotalNumVgprs: 0
; ScratchSize: 0
; MemoryBound: 0
; FloatMode: 240
; IeeeMode: 1
; LDSByteSize: 0 bytes/workgroup (compile time only)
; SGPRBlocks: 0
; VGPRBlocks: 0
; NumSGPRsForWavesPerEU: 4
; NumVGPRsForWavesPerEU: 1
; AccumOffset: 4
; Occupancy: 8
; WaveLimiterHint : 0
; COMPUTE_PGM_RSRC2:SCRATCH_EN: 0
; COMPUTE_PGM_RSRC2:USER_SGPR: 6
; COMPUTE_PGM_RSRC2:TRAP_HANDLER: 0
; COMPUTE_PGM_RSRC2:TGID_X_EN: 1
; COMPUTE_PGM_RSRC2:TGID_Y_EN: 0
; COMPUTE_PGM_RSRC2:TGID_Z_EN: 0
; COMPUTE_PGM_RSRC2:TIDIG_COMP_CNT: 0
; COMPUTE_PGM_RSRC3_GFX90A:ACCUM_OFFSET: 0
; COMPUTE_PGM_RSRC3_GFX90A:TG_SPLIT: 0
	.section	.text._ZN7rocprim17ROCPRIM_400000_NS6detail17trampoline_kernelINS0_14default_configENS1_20scan_config_selectorIxEEZZNS1_9scan_implILNS1_25lookback_scan_determinismE0ELb0ELb0ES3_N6thrust23THRUST_200600_302600_NS6detail15normal_iteratorINS9_10device_ptrIxEEEESE_xNS9_4plusIvEExEEDaPvRmT3_T4_T5_mT6_P12ihipStream_tbENKUlT_T0_E_clISt17integral_constantIbLb0EESU_EEDaSP_SQ_EUlSP_E0_NS1_11comp_targetILNS1_3genE4ELNS1_11target_archE910ELNS1_3gpuE8ELNS1_3repE0EEENS1_30default_config_static_selectorELNS0_4arch9wavefront6targetE1EEEvT1_,"axG",@progbits,_ZN7rocprim17ROCPRIM_400000_NS6detail17trampoline_kernelINS0_14default_configENS1_20scan_config_selectorIxEEZZNS1_9scan_implILNS1_25lookback_scan_determinismE0ELb0ELb0ES3_N6thrust23THRUST_200600_302600_NS6detail15normal_iteratorINS9_10device_ptrIxEEEESE_xNS9_4plusIvEExEEDaPvRmT3_T4_T5_mT6_P12ihipStream_tbENKUlT_T0_E_clISt17integral_constantIbLb0EESU_EEDaSP_SQ_EUlSP_E0_NS1_11comp_targetILNS1_3genE4ELNS1_11target_archE910ELNS1_3gpuE8ELNS1_3repE0EEENS1_30default_config_static_selectorELNS0_4arch9wavefront6targetE1EEEvT1_,comdat
	.protected	_ZN7rocprim17ROCPRIM_400000_NS6detail17trampoline_kernelINS0_14default_configENS1_20scan_config_selectorIxEEZZNS1_9scan_implILNS1_25lookback_scan_determinismE0ELb0ELb0ES3_N6thrust23THRUST_200600_302600_NS6detail15normal_iteratorINS9_10device_ptrIxEEEESE_xNS9_4plusIvEExEEDaPvRmT3_T4_T5_mT6_P12ihipStream_tbENKUlT_T0_E_clISt17integral_constantIbLb0EESU_EEDaSP_SQ_EUlSP_E0_NS1_11comp_targetILNS1_3genE4ELNS1_11target_archE910ELNS1_3gpuE8ELNS1_3repE0EEENS1_30default_config_static_selectorELNS0_4arch9wavefront6targetE1EEEvT1_ ; -- Begin function _ZN7rocprim17ROCPRIM_400000_NS6detail17trampoline_kernelINS0_14default_configENS1_20scan_config_selectorIxEEZZNS1_9scan_implILNS1_25lookback_scan_determinismE0ELb0ELb0ES3_N6thrust23THRUST_200600_302600_NS6detail15normal_iteratorINS9_10device_ptrIxEEEESE_xNS9_4plusIvEExEEDaPvRmT3_T4_T5_mT6_P12ihipStream_tbENKUlT_T0_E_clISt17integral_constantIbLb0EESU_EEDaSP_SQ_EUlSP_E0_NS1_11comp_targetILNS1_3genE4ELNS1_11target_archE910ELNS1_3gpuE8ELNS1_3repE0EEENS1_30default_config_static_selectorELNS0_4arch9wavefront6targetE1EEEvT1_
	.globl	_ZN7rocprim17ROCPRIM_400000_NS6detail17trampoline_kernelINS0_14default_configENS1_20scan_config_selectorIxEEZZNS1_9scan_implILNS1_25lookback_scan_determinismE0ELb0ELb0ES3_N6thrust23THRUST_200600_302600_NS6detail15normal_iteratorINS9_10device_ptrIxEEEESE_xNS9_4plusIvEExEEDaPvRmT3_T4_T5_mT6_P12ihipStream_tbENKUlT_T0_E_clISt17integral_constantIbLb0EESU_EEDaSP_SQ_EUlSP_E0_NS1_11comp_targetILNS1_3genE4ELNS1_11target_archE910ELNS1_3gpuE8ELNS1_3repE0EEENS1_30default_config_static_selectorELNS0_4arch9wavefront6targetE1EEEvT1_
	.p2align	8
	.type	_ZN7rocprim17ROCPRIM_400000_NS6detail17trampoline_kernelINS0_14default_configENS1_20scan_config_selectorIxEEZZNS1_9scan_implILNS1_25lookback_scan_determinismE0ELb0ELb0ES3_N6thrust23THRUST_200600_302600_NS6detail15normal_iteratorINS9_10device_ptrIxEEEESE_xNS9_4plusIvEExEEDaPvRmT3_T4_T5_mT6_P12ihipStream_tbENKUlT_T0_E_clISt17integral_constantIbLb0EESU_EEDaSP_SQ_EUlSP_E0_NS1_11comp_targetILNS1_3genE4ELNS1_11target_archE910ELNS1_3gpuE8ELNS1_3repE0EEENS1_30default_config_static_selectorELNS0_4arch9wavefront6targetE1EEEvT1_,@function
_ZN7rocprim17ROCPRIM_400000_NS6detail17trampoline_kernelINS0_14default_configENS1_20scan_config_selectorIxEEZZNS1_9scan_implILNS1_25lookback_scan_determinismE0ELb0ELb0ES3_N6thrust23THRUST_200600_302600_NS6detail15normal_iteratorINS9_10device_ptrIxEEEESE_xNS9_4plusIvEExEEDaPvRmT3_T4_T5_mT6_P12ihipStream_tbENKUlT_T0_E_clISt17integral_constantIbLb0EESU_EEDaSP_SQ_EUlSP_E0_NS1_11comp_targetILNS1_3genE4ELNS1_11target_archE910ELNS1_3gpuE8ELNS1_3repE0EEENS1_30default_config_static_selectorELNS0_4arch9wavefront6targetE1EEEvT1_: ; @_ZN7rocprim17ROCPRIM_400000_NS6detail17trampoline_kernelINS0_14default_configENS1_20scan_config_selectorIxEEZZNS1_9scan_implILNS1_25lookback_scan_determinismE0ELb0ELb0ES3_N6thrust23THRUST_200600_302600_NS6detail15normal_iteratorINS9_10device_ptrIxEEEESE_xNS9_4plusIvEExEEDaPvRmT3_T4_T5_mT6_P12ihipStream_tbENKUlT_T0_E_clISt17integral_constantIbLb0EESU_EEDaSP_SQ_EUlSP_E0_NS1_11comp_targetILNS1_3genE4ELNS1_11target_archE910ELNS1_3gpuE8ELNS1_3repE0EEENS1_30default_config_static_selectorELNS0_4arch9wavefront6targetE1EEEvT1_
; %bb.0:
	s_load_dwordx4 s[16:19], s[4:5], 0x0
	v_lshlrev_b32_e32 v21, 3, v0
	s_waitcnt lgkmcnt(0)
	s_load_dwordx2 s[14:15], s[16:17], 0x0
	v_cmp_gt_u32_e32 vcc, s18, v0
	s_waitcnt lgkmcnt(0)
	v_pk_mov_b32 v[2:3], s[14:15], s[14:15] op_sel:[0,1]
	s_and_saveexec_b64 s[0:1], vcc
	s_cbranch_execz .LBB23_2
; %bb.1:
	global_load_dwordx2 v[2:3], v21, s[16:17]
.LBB23_2:
	s_or_b64 exec, exec, s[0:1]
	v_or_b32_e32 v1, 0x80, v0
	v_cmp_gt_u32_e64 s[0:1], s18, v1
	v_pk_mov_b32 v[4:5], s[14:15], s[14:15] op_sel:[0,1]
	s_and_saveexec_b64 s[2:3], s[0:1]
	s_cbranch_execz .LBB23_4
; %bb.3:
	global_load_dwordx2 v[4:5], v21, s[16:17] offset:1024
.LBB23_4:
	s_or_b64 exec, exec, s[2:3]
	v_or_b32_e32 v1, 0x100, v0
	v_cmp_gt_u32_e64 s[2:3], s18, v1
	v_pk_mov_b32 v[6:7], s[14:15], s[14:15] op_sel:[0,1]
	s_and_saveexec_b64 s[6:7], s[2:3]
	s_cbranch_execz .LBB23_6
; %bb.5:
	global_load_dwordx2 v[6:7], v21, s[16:17] offset:2048
.LBB23_6:
	;; [unrolled: 9-line block ×3, first 2 shown]
	s_or_b64 exec, exec, s[6:7]
	v_or_b32_e32 v1, 0x200, v0
	v_cmp_gt_u32_e64 s[6:7], s18, v1
	v_pk_mov_b32 v[10:11], s[14:15], s[14:15] op_sel:[0,1]
	s_and_saveexec_b64 s[8:9], s[6:7]
	s_cbranch_execz .LBB23_10
; %bb.9:
	v_lshlrev_b32_e32 v1, 3, v1
	global_load_dwordx2 v[10:11], v1, s[16:17]
.LBB23_10:
	s_or_b64 exec, exec, s[8:9]
	v_or_b32_e32 v1, 0x280, v0
	v_cmp_gt_u32_e64 s[8:9], s18, v1
	v_pk_mov_b32 v[12:13], s[14:15], s[14:15] op_sel:[0,1]
	s_and_saveexec_b64 s[10:11], s[8:9]
	s_cbranch_execz .LBB23_12
; %bb.11:
	v_lshlrev_b32_e32 v1, 3, v1
	global_load_dwordx2 v[12:13], v1, s[16:17]
.LBB23_12:
	;; [unrolled: 10-line block ×3, first 2 shown]
	s_or_b64 exec, exec, s[14:15]
	v_mad_u32_u24 v1, v0, 48, v21
	s_waitcnt vmcnt(0)
	ds_write2st64_b64 v21, v[2:3], v[4:5] offset1:2
	ds_write2st64_b64 v21, v[6:7], v[8:9] offset0:4 offset1:6
	ds_write2st64_b64 v21, v[10:11], v[12:13] offset0:8 offset1:10
	ds_write_b64 v21, v[14:15] offset:6144
	s_waitcnt lgkmcnt(0)
	s_barrier
	ds_read2_b64 v[2:5], v1 offset1:1
	ds_read2_b64 v[6:9], v1 offset0:2 offset1:3
	ds_read2_b64 v[10:13], v1 offset0:4 offset1:5
	ds_read_b64 v[28:29], v1 offset:48
	s_load_dwordx2 s[16:17], s[4:5], 0x20
	s_waitcnt lgkmcnt(0)
	v_add_co_u32_e64 v20, s[4:5], v4, v2
	v_addc_co_u32_e64 v1, s[4:5], v5, v3, s[4:5]
	v_add_co_u32_e64 v18, s[4:5], v20, v6
	v_addc_co_u32_e64 v19, s[4:5], v1, v7, s[4:5]
	;; [unrolled: 2-line block ×5, first 2 shown]
	v_add_co_u32_e64 v30, s[4:5], v26, v28
	v_lshrrev_b32_e32 v14, 2, v0
	v_addc_co_u32_e64 v31, s[4:5], v27, v29, s[4:5]
	v_and_b32_e32 v14, 24, v14
	v_add_u32_e32 v14, v21, v14
	v_cmp_gt_u32_e64 s[4:5], 64, v0
	s_barrier
	ds_write_b64 v14, v[30:31]
	s_waitcnt lgkmcnt(0)
	s_barrier
	s_and_saveexec_b64 s[18:19], s[4:5]
	s_cbranch_execz .LBB23_18
; %bb.15:
	v_lshlrev_b32_e32 v14, 1, v0
	v_lshrrev_b32_e32 v15, 4, v0
	v_add_lshl_u32 v32, v15, v14, 3
	ds_read2_b64 v[14:17], v32 offset1:1
	s_waitcnt lgkmcnt(0)
	v_add_co_u32_e64 v34, s[4:5], v16, v14
	v_addc_co_u32_e64 v35, s[4:5], v17, v15, s[4:5]
	s_nop 0
	v_mov_b32_dpp v17, v34 row_shr:1 row_mask:0xf bank_mask:0xf
	v_add_co_u32_e64 v17, s[4:5], v34, v17
	v_mbcnt_lo_u32_b32 v16, -1, 0
	v_addc_co_u32_e64 v37, s[4:5], 0, v35, s[4:5]
	v_mbcnt_hi_u32_b32 v33, -1, v16
	v_mov_b32_dpp v36, v35 row_shr:1 row_mask:0xf bank_mask:0xf
	v_add_co_u32_e64 v38, s[4:5], 0, v17
	v_and_b32_e32 v16, 15, v33
	v_addc_co_u32_e64 v36, s[4:5], v36, v37, s[4:5]
	v_cmp_eq_u32_e64 s[4:5], 0, v16
	v_cndmask_b32_e64 v17, v17, v34, s[4:5]
	v_cndmask_b32_e64 v36, v36, v35, s[4:5]
	v_cndmask_b32_e64 v37, v38, v34, s[4:5]
	v_mov_b32_dpp v38, v17 row_shr:2 row_mask:0xf bank_mask:0xf
	v_mov_b32_dpp v39, v36 row_shr:2 row_mask:0xf bank_mask:0xf
	v_add_co_u32_e64 v38, s[4:5], v38, v37
	v_addc_co_u32_e64 v39, s[4:5], v39, v36, s[4:5]
	v_cmp_lt_u32_e64 s[4:5], 1, v16
	v_cndmask_b32_e64 v17, v17, v38, s[4:5]
	v_cndmask_b32_e64 v36, v36, v39, s[4:5]
	v_cndmask_b32_e64 v37, v37, v38, s[4:5]
	v_mov_b32_dpp v38, v17 row_shr:4 row_mask:0xf bank_mask:0xf
	v_mov_b32_dpp v39, v36 row_shr:4 row_mask:0xf bank_mask:0xf
	v_add_co_u32_e64 v38, s[4:5], v38, v37
	v_addc_co_u32_e64 v39, s[4:5], v39, v36, s[4:5]
	v_cmp_lt_u32_e64 s[4:5], 3, v16
	;; [unrolled: 8-line block ×3, first 2 shown]
	v_cndmask_b32_e64 v40, v17, v38, s[4:5]
	v_cndmask_b32_e64 v17, v36, v39, s[4:5]
	;; [unrolled: 1-line block ×3, first 2 shown]
	v_mov_b32_dpp v36, v40 row_bcast:15 row_mask:0xf bank_mask:0xf
	v_mov_b32_dpp v37, v17 row_bcast:15 row_mask:0xf bank_mask:0xf
	v_add_co_u32_e64 v36, s[4:5], v36, v16
	v_and_b32_e32 v39, 16, v33
	v_addc_co_u32_e64 v38, s[4:5], v37, v17, s[4:5]
	v_cmp_eq_u32_e64 s[4:5], 0, v39
	v_cndmask_b32_e64 v39, v38, v17, s[4:5]
	v_cndmask_b32_e64 v37, v36, v40, s[4:5]
	v_cmp_ne_u32_e64 s[14:15], 0, v33
	v_mov_b32_dpp v39, v39 row_bcast:31 row_mask:0xf bank_mask:0xf
	v_mov_b32_dpp v37, v37 row_bcast:31 row_mask:0xf bank_mask:0xf
	s_and_saveexec_b64 s[20:21], s[14:15]
; %bb.16:
	v_cndmask_b32_e64 v17, v38, v17, s[4:5]
	v_cndmask_b32_e64 v16, v36, v16, s[4:5]
	v_cmp_lt_u32_e64 s[4:5], 31, v33
	v_cndmask_b32_e64 v34, 0, v37, s[4:5]
	v_cndmask_b32_e64 v35, 0, v39, s[4:5]
	v_add_co_u32_e64 v34, s[4:5], v34, v16
	v_addc_co_u32_e64 v35, s[4:5], v35, v17, s[4:5]
; %bb.17:
	s_or_b64 exec, exec, s[20:21]
	v_add_u32_e32 v16, -1, v33
	v_and_b32_e32 v17, 64, v33
	v_cmp_lt_i32_e64 s[4:5], v16, v17
	v_cndmask_b32_e64 v16, v16, v33, s[4:5]
	v_lshlrev_b32_e32 v16, 2, v16
	ds_bpermute_b32 v17, v16, v34
	ds_bpermute_b32 v16, v16, v35
	; wave barrier
	s_waitcnt lgkmcnt(1)
	v_add_co_u32_e64 v14, s[4:5], v14, v17
	v_addc_co_u32_e64 v15, s[4:5], 0, v15, s[4:5]
	v_add_co_u32_e64 v14, s[4:5], 0, v14
	s_waitcnt lgkmcnt(0)
	v_addc_co_u32_e64 v15, s[4:5], v15, v16, s[4:5]
	v_cmp_eq_u32_e64 s[4:5], 0, v0
	v_cndmask_b32_e64 v15, v15, v31, s[4:5]
	v_cndmask_b32_e64 v14, v14, v30, s[4:5]
	ds_write_b64 v32, v[14:15]
	; wave barrier
	ds_read_b64 v[16:17], v32 offset:8
	s_waitcnt lgkmcnt(0)
	v_add_co_u32_e64 v14, s[4:5], v16, v14
	v_addc_co_u32_e64 v15, s[4:5], v17, v15, s[4:5]
	ds_write_b64 v32, v[14:15] offset:8
.LBB23_18:
	s_or_b64 exec, exec, s[18:19]
	v_mul_u32_u24_e32 v16, 48, v0
	v_cmp_ne_u32_e64 s[4:5], 0, v0
	v_pk_mov_b32 v[14:15], v[30:31], v[30:31] op_sel:[0,1]
	s_waitcnt lgkmcnt(0)
	s_barrier
	s_and_saveexec_b64 s[14:15], s[4:5]
	s_cbranch_execz .LBB23_20
; %bb.19:
	v_add_u32_e32 v0, -1, v0
	v_lshrrev_b32_e32 v14, 5, v0
	v_add_lshl_u32 v0, v14, v0, 3
	ds_read_b64 v[14:15], v0
.LBB23_20:
	s_or_b64 exec, exec, s[14:15]
	s_and_saveexec_b64 s[14:15], s[4:5]
	s_cbranch_execz .LBB23_22
; %bb.21:
	s_waitcnt lgkmcnt(0)
	v_add_co_u32_e64 v2, s[4:5], v14, v2
	v_addc_co_u32_e64 v3, s[4:5], v15, v3, s[4:5]
	v_add_co_u32_e64 v20, s[4:5], v2, v4
	v_addc_co_u32_e64 v1, s[4:5], v3, v5, s[4:5]
	;; [unrolled: 2-line block ×7, first 2 shown]
	;;#ASMSTART
	;;#ASMEND
.LBB23_22:
	s_or_b64 exec, exec, s[14:15]
	v_add_u32_e32 v4, v21, v16
	v_mov_b32_e32 v0, v20
	s_waitcnt lgkmcnt(0)
	s_barrier
	ds_write2_b64 v4, v[2:3], v[0:1] offset1:1
	ds_write2_b64 v4, v[18:19], v[24:25] offset0:2 offset1:3
	ds_write2_b64 v4, v[22:23], v[26:27] offset0:4 offset1:5
	ds_write_b64 v4, v[30:31] offset:48
	s_waitcnt lgkmcnt(0)
	s_barrier
	ds_read2st64_b64 v[8:11], v21 offset0:2 offset1:4
	ds_read2st64_b64 v[4:7], v21 offset0:6 offset1:8
	;; [unrolled: 1-line block ×3, first 2 shown]
	v_mov_b32_e32 v13, s17
	v_add_co_u32_e64 v12, s[4:5], s16, v21
	v_addc_co_u32_e64 v13, s[4:5], 0, v13, s[4:5]
	s_and_saveexec_b64 s[4:5], vcc
	s_cbranch_execnz .LBB23_30
; %bb.23:
	s_or_b64 exec, exec, s[4:5]
	s_and_saveexec_b64 s[4:5], s[0:1]
	s_cbranch_execnz .LBB23_31
.LBB23_24:
	s_or_b64 exec, exec, s[4:5]
	s_and_saveexec_b64 s[0:1], s[2:3]
	s_cbranch_execnz .LBB23_32
.LBB23_25:
	s_or_b64 exec, exec, s[0:1]
	s_and_saveexec_b64 s[0:1], s[12:13]
	s_cbranch_execnz .LBB23_33
.LBB23_26:
	s_or_b64 exec, exec, s[0:1]
	s_and_saveexec_b64 s[0:1], s[6:7]
	s_cbranch_execnz .LBB23_34
.LBB23_27:
	s_or_b64 exec, exec, s[0:1]
	s_and_saveexec_b64 s[0:1], s[8:9]
	s_cbranch_execnz .LBB23_35
.LBB23_28:
	s_or_b64 exec, exec, s[0:1]
	s_and_saveexec_b64 s[0:1], s[10:11]
	s_cbranch_execnz .LBB23_36
.LBB23_29:
	s_endpgm
.LBB23_30:
	ds_read_b64 v[14:15], v21
	s_waitcnt lgkmcnt(0)
	global_store_dwordx2 v[12:13], v[14:15], off
	s_or_b64 exec, exec, s[4:5]
	s_and_saveexec_b64 s[4:5], s[0:1]
	s_cbranch_execz .LBB23_24
.LBB23_31:
	s_waitcnt lgkmcnt(2)
	global_store_dwordx2 v[12:13], v[8:9], off offset:1024
	s_or_b64 exec, exec, s[4:5]
	s_and_saveexec_b64 s[0:1], s[2:3]
	s_cbranch_execz .LBB23_25
.LBB23_32:
	s_waitcnt lgkmcnt(2)
	global_store_dwordx2 v[12:13], v[10:11], off offset:2048
	s_or_b64 exec, exec, s[0:1]
	s_and_saveexec_b64 s[0:1], s[12:13]
	s_cbranch_execz .LBB23_26
.LBB23_33:
	s_waitcnt lgkmcnt(1)
	global_store_dwordx2 v[12:13], v[4:5], off offset:3072
	s_or_b64 exec, exec, s[0:1]
	s_and_saveexec_b64 s[0:1], s[6:7]
	s_cbranch_execz .LBB23_27
.LBB23_34:
	s_waitcnt lgkmcnt(1)
	v_add_co_u32_e32 v4, vcc, 0x1000, v12
	v_addc_co_u32_e32 v5, vcc, 0, v13, vcc
	global_store_dwordx2 v[4:5], v[6:7], off
	s_or_b64 exec, exec, s[0:1]
	s_and_saveexec_b64 s[0:1], s[8:9]
	s_cbranch_execz .LBB23_28
.LBB23_35:
	s_waitcnt lgkmcnt(1)
	v_add_co_u32_e32 v4, vcc, 0x1000, v12
	v_addc_co_u32_e32 v5, vcc, 0, v13, vcc
	s_waitcnt lgkmcnt(0)
	global_store_dwordx2 v[4:5], v[0:1], off offset:1024
	s_or_b64 exec, exec, s[0:1]
	s_and_saveexec_b64 s[0:1], s[10:11]
	s_cbranch_execz .LBB23_29
.LBB23_36:
	s_waitcnt lgkmcnt(0)
	v_add_co_u32_e32 v0, vcc, 0x1000, v12
	v_addc_co_u32_e32 v1, vcc, 0, v13, vcc
	global_store_dwordx2 v[0:1], v[2:3], off offset:2048
	s_endpgm
	.section	.rodata,"a",@progbits
	.p2align	6, 0x0
	.amdhsa_kernel _ZN7rocprim17ROCPRIM_400000_NS6detail17trampoline_kernelINS0_14default_configENS1_20scan_config_selectorIxEEZZNS1_9scan_implILNS1_25lookback_scan_determinismE0ELb0ELb0ES3_N6thrust23THRUST_200600_302600_NS6detail15normal_iteratorINS9_10device_ptrIxEEEESE_xNS9_4plusIvEExEEDaPvRmT3_T4_T5_mT6_P12ihipStream_tbENKUlT_T0_E_clISt17integral_constantIbLb0EESU_EEDaSP_SQ_EUlSP_E0_NS1_11comp_targetILNS1_3genE4ELNS1_11target_archE910ELNS1_3gpuE8ELNS1_3repE0EEENS1_30default_config_static_selectorELNS0_4arch9wavefront6targetE1EEEvT1_
		.amdhsa_group_segment_fixed_size 7168
		.amdhsa_private_segment_fixed_size 0
		.amdhsa_kernarg_size 40
		.amdhsa_user_sgpr_count 6
		.amdhsa_user_sgpr_private_segment_buffer 1
		.amdhsa_user_sgpr_dispatch_ptr 0
		.amdhsa_user_sgpr_queue_ptr 0
		.amdhsa_user_sgpr_kernarg_segment_ptr 1
		.amdhsa_user_sgpr_dispatch_id 0
		.amdhsa_user_sgpr_flat_scratch_init 0
		.amdhsa_user_sgpr_kernarg_preload_length 0
		.amdhsa_user_sgpr_kernarg_preload_offset 0
		.amdhsa_user_sgpr_private_segment_size 0
		.amdhsa_uses_dynamic_stack 0
		.amdhsa_system_sgpr_private_segment_wavefront_offset 0
		.amdhsa_system_sgpr_workgroup_id_x 1
		.amdhsa_system_sgpr_workgroup_id_y 0
		.amdhsa_system_sgpr_workgroup_id_z 0
		.amdhsa_system_sgpr_workgroup_info 0
		.amdhsa_system_vgpr_workitem_id 0
		.amdhsa_next_free_vgpr 41
		.amdhsa_next_free_sgpr 22
		.amdhsa_accum_offset 44
		.amdhsa_reserve_vcc 1
		.amdhsa_reserve_flat_scratch 0
		.amdhsa_float_round_mode_32 0
		.amdhsa_float_round_mode_16_64 0
		.amdhsa_float_denorm_mode_32 3
		.amdhsa_float_denorm_mode_16_64 3
		.amdhsa_dx10_clamp 1
		.amdhsa_ieee_mode 1
		.amdhsa_fp16_overflow 0
		.amdhsa_tg_split 0
		.amdhsa_exception_fp_ieee_invalid_op 0
		.amdhsa_exception_fp_denorm_src 0
		.amdhsa_exception_fp_ieee_div_zero 0
		.amdhsa_exception_fp_ieee_overflow 0
		.amdhsa_exception_fp_ieee_underflow 0
		.amdhsa_exception_fp_ieee_inexact 0
		.amdhsa_exception_int_div_zero 0
	.end_amdhsa_kernel
	.section	.text._ZN7rocprim17ROCPRIM_400000_NS6detail17trampoline_kernelINS0_14default_configENS1_20scan_config_selectorIxEEZZNS1_9scan_implILNS1_25lookback_scan_determinismE0ELb0ELb0ES3_N6thrust23THRUST_200600_302600_NS6detail15normal_iteratorINS9_10device_ptrIxEEEESE_xNS9_4plusIvEExEEDaPvRmT3_T4_T5_mT6_P12ihipStream_tbENKUlT_T0_E_clISt17integral_constantIbLb0EESU_EEDaSP_SQ_EUlSP_E0_NS1_11comp_targetILNS1_3genE4ELNS1_11target_archE910ELNS1_3gpuE8ELNS1_3repE0EEENS1_30default_config_static_selectorELNS0_4arch9wavefront6targetE1EEEvT1_,"axG",@progbits,_ZN7rocprim17ROCPRIM_400000_NS6detail17trampoline_kernelINS0_14default_configENS1_20scan_config_selectorIxEEZZNS1_9scan_implILNS1_25lookback_scan_determinismE0ELb0ELb0ES3_N6thrust23THRUST_200600_302600_NS6detail15normal_iteratorINS9_10device_ptrIxEEEESE_xNS9_4plusIvEExEEDaPvRmT3_T4_T5_mT6_P12ihipStream_tbENKUlT_T0_E_clISt17integral_constantIbLb0EESU_EEDaSP_SQ_EUlSP_E0_NS1_11comp_targetILNS1_3genE4ELNS1_11target_archE910ELNS1_3gpuE8ELNS1_3repE0EEENS1_30default_config_static_selectorELNS0_4arch9wavefront6targetE1EEEvT1_,comdat
.Lfunc_end23:
	.size	_ZN7rocprim17ROCPRIM_400000_NS6detail17trampoline_kernelINS0_14default_configENS1_20scan_config_selectorIxEEZZNS1_9scan_implILNS1_25lookback_scan_determinismE0ELb0ELb0ES3_N6thrust23THRUST_200600_302600_NS6detail15normal_iteratorINS9_10device_ptrIxEEEESE_xNS9_4plusIvEExEEDaPvRmT3_T4_T5_mT6_P12ihipStream_tbENKUlT_T0_E_clISt17integral_constantIbLb0EESU_EEDaSP_SQ_EUlSP_E0_NS1_11comp_targetILNS1_3genE4ELNS1_11target_archE910ELNS1_3gpuE8ELNS1_3repE0EEENS1_30default_config_static_selectorELNS0_4arch9wavefront6targetE1EEEvT1_, .Lfunc_end23-_ZN7rocprim17ROCPRIM_400000_NS6detail17trampoline_kernelINS0_14default_configENS1_20scan_config_selectorIxEEZZNS1_9scan_implILNS1_25lookback_scan_determinismE0ELb0ELb0ES3_N6thrust23THRUST_200600_302600_NS6detail15normal_iteratorINS9_10device_ptrIxEEEESE_xNS9_4plusIvEExEEDaPvRmT3_T4_T5_mT6_P12ihipStream_tbENKUlT_T0_E_clISt17integral_constantIbLb0EESU_EEDaSP_SQ_EUlSP_E0_NS1_11comp_targetILNS1_3genE4ELNS1_11target_archE910ELNS1_3gpuE8ELNS1_3repE0EEENS1_30default_config_static_selectorELNS0_4arch9wavefront6targetE1EEEvT1_
                                        ; -- End function
	.section	.AMDGPU.csdata,"",@progbits
; Kernel info:
; codeLenInByte = 1804
; NumSgprs: 26
; NumVgprs: 41
; NumAgprs: 0
; TotalNumVgprs: 41
; ScratchSize: 0
; MemoryBound: 0
; FloatMode: 240
; IeeeMode: 1
; LDSByteSize: 7168 bytes/workgroup (compile time only)
; SGPRBlocks: 3
; VGPRBlocks: 5
; NumSGPRsForWavesPerEU: 26
; NumVGPRsForWavesPerEU: 41
; AccumOffset: 44
; Occupancy: 5
; WaveLimiterHint : 0
; COMPUTE_PGM_RSRC2:SCRATCH_EN: 0
; COMPUTE_PGM_RSRC2:USER_SGPR: 6
; COMPUTE_PGM_RSRC2:TRAP_HANDLER: 0
; COMPUTE_PGM_RSRC2:TGID_X_EN: 1
; COMPUTE_PGM_RSRC2:TGID_Y_EN: 0
; COMPUTE_PGM_RSRC2:TGID_Z_EN: 0
; COMPUTE_PGM_RSRC2:TIDIG_COMP_CNT: 0
; COMPUTE_PGM_RSRC3_GFX90A:ACCUM_OFFSET: 10
; COMPUTE_PGM_RSRC3_GFX90A:TG_SPLIT: 0
	.section	.text._ZN7rocprim17ROCPRIM_400000_NS6detail17trampoline_kernelINS0_14default_configENS1_20scan_config_selectorIxEEZZNS1_9scan_implILNS1_25lookback_scan_determinismE0ELb0ELb0ES3_N6thrust23THRUST_200600_302600_NS6detail15normal_iteratorINS9_10device_ptrIxEEEESE_xNS9_4plusIvEExEEDaPvRmT3_T4_T5_mT6_P12ihipStream_tbENKUlT_T0_E_clISt17integral_constantIbLb0EESU_EEDaSP_SQ_EUlSP_E0_NS1_11comp_targetILNS1_3genE3ELNS1_11target_archE908ELNS1_3gpuE7ELNS1_3repE0EEENS1_30default_config_static_selectorELNS0_4arch9wavefront6targetE1EEEvT1_,"axG",@progbits,_ZN7rocprim17ROCPRIM_400000_NS6detail17trampoline_kernelINS0_14default_configENS1_20scan_config_selectorIxEEZZNS1_9scan_implILNS1_25lookback_scan_determinismE0ELb0ELb0ES3_N6thrust23THRUST_200600_302600_NS6detail15normal_iteratorINS9_10device_ptrIxEEEESE_xNS9_4plusIvEExEEDaPvRmT3_T4_T5_mT6_P12ihipStream_tbENKUlT_T0_E_clISt17integral_constantIbLb0EESU_EEDaSP_SQ_EUlSP_E0_NS1_11comp_targetILNS1_3genE3ELNS1_11target_archE908ELNS1_3gpuE7ELNS1_3repE0EEENS1_30default_config_static_selectorELNS0_4arch9wavefront6targetE1EEEvT1_,comdat
	.protected	_ZN7rocprim17ROCPRIM_400000_NS6detail17trampoline_kernelINS0_14default_configENS1_20scan_config_selectorIxEEZZNS1_9scan_implILNS1_25lookback_scan_determinismE0ELb0ELb0ES3_N6thrust23THRUST_200600_302600_NS6detail15normal_iteratorINS9_10device_ptrIxEEEESE_xNS9_4plusIvEExEEDaPvRmT3_T4_T5_mT6_P12ihipStream_tbENKUlT_T0_E_clISt17integral_constantIbLb0EESU_EEDaSP_SQ_EUlSP_E0_NS1_11comp_targetILNS1_3genE3ELNS1_11target_archE908ELNS1_3gpuE7ELNS1_3repE0EEENS1_30default_config_static_selectorELNS0_4arch9wavefront6targetE1EEEvT1_ ; -- Begin function _ZN7rocprim17ROCPRIM_400000_NS6detail17trampoline_kernelINS0_14default_configENS1_20scan_config_selectorIxEEZZNS1_9scan_implILNS1_25lookback_scan_determinismE0ELb0ELb0ES3_N6thrust23THRUST_200600_302600_NS6detail15normal_iteratorINS9_10device_ptrIxEEEESE_xNS9_4plusIvEExEEDaPvRmT3_T4_T5_mT6_P12ihipStream_tbENKUlT_T0_E_clISt17integral_constantIbLb0EESU_EEDaSP_SQ_EUlSP_E0_NS1_11comp_targetILNS1_3genE3ELNS1_11target_archE908ELNS1_3gpuE7ELNS1_3repE0EEENS1_30default_config_static_selectorELNS0_4arch9wavefront6targetE1EEEvT1_
	.globl	_ZN7rocprim17ROCPRIM_400000_NS6detail17trampoline_kernelINS0_14default_configENS1_20scan_config_selectorIxEEZZNS1_9scan_implILNS1_25lookback_scan_determinismE0ELb0ELb0ES3_N6thrust23THRUST_200600_302600_NS6detail15normal_iteratorINS9_10device_ptrIxEEEESE_xNS9_4plusIvEExEEDaPvRmT3_T4_T5_mT6_P12ihipStream_tbENKUlT_T0_E_clISt17integral_constantIbLb0EESU_EEDaSP_SQ_EUlSP_E0_NS1_11comp_targetILNS1_3genE3ELNS1_11target_archE908ELNS1_3gpuE7ELNS1_3repE0EEENS1_30default_config_static_selectorELNS0_4arch9wavefront6targetE1EEEvT1_
	.p2align	8
	.type	_ZN7rocprim17ROCPRIM_400000_NS6detail17trampoline_kernelINS0_14default_configENS1_20scan_config_selectorIxEEZZNS1_9scan_implILNS1_25lookback_scan_determinismE0ELb0ELb0ES3_N6thrust23THRUST_200600_302600_NS6detail15normal_iteratorINS9_10device_ptrIxEEEESE_xNS9_4plusIvEExEEDaPvRmT3_T4_T5_mT6_P12ihipStream_tbENKUlT_T0_E_clISt17integral_constantIbLb0EESU_EEDaSP_SQ_EUlSP_E0_NS1_11comp_targetILNS1_3genE3ELNS1_11target_archE908ELNS1_3gpuE7ELNS1_3repE0EEENS1_30default_config_static_selectorELNS0_4arch9wavefront6targetE1EEEvT1_,@function
_ZN7rocprim17ROCPRIM_400000_NS6detail17trampoline_kernelINS0_14default_configENS1_20scan_config_selectorIxEEZZNS1_9scan_implILNS1_25lookback_scan_determinismE0ELb0ELb0ES3_N6thrust23THRUST_200600_302600_NS6detail15normal_iteratorINS9_10device_ptrIxEEEESE_xNS9_4plusIvEExEEDaPvRmT3_T4_T5_mT6_P12ihipStream_tbENKUlT_T0_E_clISt17integral_constantIbLb0EESU_EEDaSP_SQ_EUlSP_E0_NS1_11comp_targetILNS1_3genE3ELNS1_11target_archE908ELNS1_3gpuE7ELNS1_3repE0EEENS1_30default_config_static_selectorELNS0_4arch9wavefront6targetE1EEEvT1_: ; @_ZN7rocprim17ROCPRIM_400000_NS6detail17trampoline_kernelINS0_14default_configENS1_20scan_config_selectorIxEEZZNS1_9scan_implILNS1_25lookback_scan_determinismE0ELb0ELb0ES3_N6thrust23THRUST_200600_302600_NS6detail15normal_iteratorINS9_10device_ptrIxEEEESE_xNS9_4plusIvEExEEDaPvRmT3_T4_T5_mT6_P12ihipStream_tbENKUlT_T0_E_clISt17integral_constantIbLb0EESU_EEDaSP_SQ_EUlSP_E0_NS1_11comp_targetILNS1_3genE3ELNS1_11target_archE908ELNS1_3gpuE7ELNS1_3repE0EEENS1_30default_config_static_selectorELNS0_4arch9wavefront6targetE1EEEvT1_
; %bb.0:
	.section	.rodata,"a",@progbits
	.p2align	6, 0x0
	.amdhsa_kernel _ZN7rocprim17ROCPRIM_400000_NS6detail17trampoline_kernelINS0_14default_configENS1_20scan_config_selectorIxEEZZNS1_9scan_implILNS1_25lookback_scan_determinismE0ELb0ELb0ES3_N6thrust23THRUST_200600_302600_NS6detail15normal_iteratorINS9_10device_ptrIxEEEESE_xNS9_4plusIvEExEEDaPvRmT3_T4_T5_mT6_P12ihipStream_tbENKUlT_T0_E_clISt17integral_constantIbLb0EESU_EEDaSP_SQ_EUlSP_E0_NS1_11comp_targetILNS1_3genE3ELNS1_11target_archE908ELNS1_3gpuE7ELNS1_3repE0EEENS1_30default_config_static_selectorELNS0_4arch9wavefront6targetE1EEEvT1_
		.amdhsa_group_segment_fixed_size 0
		.amdhsa_private_segment_fixed_size 0
		.amdhsa_kernarg_size 40
		.amdhsa_user_sgpr_count 6
		.amdhsa_user_sgpr_private_segment_buffer 1
		.amdhsa_user_sgpr_dispatch_ptr 0
		.amdhsa_user_sgpr_queue_ptr 0
		.amdhsa_user_sgpr_kernarg_segment_ptr 1
		.amdhsa_user_sgpr_dispatch_id 0
		.amdhsa_user_sgpr_flat_scratch_init 0
		.amdhsa_user_sgpr_kernarg_preload_length 0
		.amdhsa_user_sgpr_kernarg_preload_offset 0
		.amdhsa_user_sgpr_private_segment_size 0
		.amdhsa_uses_dynamic_stack 0
		.amdhsa_system_sgpr_private_segment_wavefront_offset 0
		.amdhsa_system_sgpr_workgroup_id_x 1
		.amdhsa_system_sgpr_workgroup_id_y 0
		.amdhsa_system_sgpr_workgroup_id_z 0
		.amdhsa_system_sgpr_workgroup_info 0
		.amdhsa_system_vgpr_workitem_id 0
		.amdhsa_next_free_vgpr 1
		.amdhsa_next_free_sgpr 0
		.amdhsa_accum_offset 4
		.amdhsa_reserve_vcc 0
		.amdhsa_reserve_flat_scratch 0
		.amdhsa_float_round_mode_32 0
		.amdhsa_float_round_mode_16_64 0
		.amdhsa_float_denorm_mode_32 3
		.amdhsa_float_denorm_mode_16_64 3
		.amdhsa_dx10_clamp 1
		.amdhsa_ieee_mode 1
		.amdhsa_fp16_overflow 0
		.amdhsa_tg_split 0
		.amdhsa_exception_fp_ieee_invalid_op 0
		.amdhsa_exception_fp_denorm_src 0
		.amdhsa_exception_fp_ieee_div_zero 0
		.amdhsa_exception_fp_ieee_overflow 0
		.amdhsa_exception_fp_ieee_underflow 0
		.amdhsa_exception_fp_ieee_inexact 0
		.amdhsa_exception_int_div_zero 0
	.end_amdhsa_kernel
	.section	.text._ZN7rocprim17ROCPRIM_400000_NS6detail17trampoline_kernelINS0_14default_configENS1_20scan_config_selectorIxEEZZNS1_9scan_implILNS1_25lookback_scan_determinismE0ELb0ELb0ES3_N6thrust23THRUST_200600_302600_NS6detail15normal_iteratorINS9_10device_ptrIxEEEESE_xNS9_4plusIvEExEEDaPvRmT3_T4_T5_mT6_P12ihipStream_tbENKUlT_T0_E_clISt17integral_constantIbLb0EESU_EEDaSP_SQ_EUlSP_E0_NS1_11comp_targetILNS1_3genE3ELNS1_11target_archE908ELNS1_3gpuE7ELNS1_3repE0EEENS1_30default_config_static_selectorELNS0_4arch9wavefront6targetE1EEEvT1_,"axG",@progbits,_ZN7rocprim17ROCPRIM_400000_NS6detail17trampoline_kernelINS0_14default_configENS1_20scan_config_selectorIxEEZZNS1_9scan_implILNS1_25lookback_scan_determinismE0ELb0ELb0ES3_N6thrust23THRUST_200600_302600_NS6detail15normal_iteratorINS9_10device_ptrIxEEEESE_xNS9_4plusIvEExEEDaPvRmT3_T4_T5_mT6_P12ihipStream_tbENKUlT_T0_E_clISt17integral_constantIbLb0EESU_EEDaSP_SQ_EUlSP_E0_NS1_11comp_targetILNS1_3genE3ELNS1_11target_archE908ELNS1_3gpuE7ELNS1_3repE0EEENS1_30default_config_static_selectorELNS0_4arch9wavefront6targetE1EEEvT1_,comdat
.Lfunc_end24:
	.size	_ZN7rocprim17ROCPRIM_400000_NS6detail17trampoline_kernelINS0_14default_configENS1_20scan_config_selectorIxEEZZNS1_9scan_implILNS1_25lookback_scan_determinismE0ELb0ELb0ES3_N6thrust23THRUST_200600_302600_NS6detail15normal_iteratorINS9_10device_ptrIxEEEESE_xNS9_4plusIvEExEEDaPvRmT3_T4_T5_mT6_P12ihipStream_tbENKUlT_T0_E_clISt17integral_constantIbLb0EESU_EEDaSP_SQ_EUlSP_E0_NS1_11comp_targetILNS1_3genE3ELNS1_11target_archE908ELNS1_3gpuE7ELNS1_3repE0EEENS1_30default_config_static_selectorELNS0_4arch9wavefront6targetE1EEEvT1_, .Lfunc_end24-_ZN7rocprim17ROCPRIM_400000_NS6detail17trampoline_kernelINS0_14default_configENS1_20scan_config_selectorIxEEZZNS1_9scan_implILNS1_25lookback_scan_determinismE0ELb0ELb0ES3_N6thrust23THRUST_200600_302600_NS6detail15normal_iteratorINS9_10device_ptrIxEEEESE_xNS9_4plusIvEExEEDaPvRmT3_T4_T5_mT6_P12ihipStream_tbENKUlT_T0_E_clISt17integral_constantIbLb0EESU_EEDaSP_SQ_EUlSP_E0_NS1_11comp_targetILNS1_3genE3ELNS1_11target_archE908ELNS1_3gpuE7ELNS1_3repE0EEENS1_30default_config_static_selectorELNS0_4arch9wavefront6targetE1EEEvT1_
                                        ; -- End function
	.section	.AMDGPU.csdata,"",@progbits
; Kernel info:
; codeLenInByte = 0
; NumSgprs: 4
; NumVgprs: 0
; NumAgprs: 0
; TotalNumVgprs: 0
; ScratchSize: 0
; MemoryBound: 0
; FloatMode: 240
; IeeeMode: 1
; LDSByteSize: 0 bytes/workgroup (compile time only)
; SGPRBlocks: 0
; VGPRBlocks: 0
; NumSGPRsForWavesPerEU: 4
; NumVGPRsForWavesPerEU: 1
; AccumOffset: 4
; Occupancy: 8
; WaveLimiterHint : 0
; COMPUTE_PGM_RSRC2:SCRATCH_EN: 0
; COMPUTE_PGM_RSRC2:USER_SGPR: 6
; COMPUTE_PGM_RSRC2:TRAP_HANDLER: 0
; COMPUTE_PGM_RSRC2:TGID_X_EN: 1
; COMPUTE_PGM_RSRC2:TGID_Y_EN: 0
; COMPUTE_PGM_RSRC2:TGID_Z_EN: 0
; COMPUTE_PGM_RSRC2:TIDIG_COMP_CNT: 0
; COMPUTE_PGM_RSRC3_GFX90A:ACCUM_OFFSET: 0
; COMPUTE_PGM_RSRC3_GFX90A:TG_SPLIT: 0
	.section	.text._ZN7rocprim17ROCPRIM_400000_NS6detail17trampoline_kernelINS0_14default_configENS1_20scan_config_selectorIxEEZZNS1_9scan_implILNS1_25lookback_scan_determinismE0ELb0ELb0ES3_N6thrust23THRUST_200600_302600_NS6detail15normal_iteratorINS9_10device_ptrIxEEEESE_xNS9_4plusIvEExEEDaPvRmT3_T4_T5_mT6_P12ihipStream_tbENKUlT_T0_E_clISt17integral_constantIbLb0EESU_EEDaSP_SQ_EUlSP_E0_NS1_11comp_targetILNS1_3genE2ELNS1_11target_archE906ELNS1_3gpuE6ELNS1_3repE0EEENS1_30default_config_static_selectorELNS0_4arch9wavefront6targetE1EEEvT1_,"axG",@progbits,_ZN7rocprim17ROCPRIM_400000_NS6detail17trampoline_kernelINS0_14default_configENS1_20scan_config_selectorIxEEZZNS1_9scan_implILNS1_25lookback_scan_determinismE0ELb0ELb0ES3_N6thrust23THRUST_200600_302600_NS6detail15normal_iteratorINS9_10device_ptrIxEEEESE_xNS9_4plusIvEExEEDaPvRmT3_T4_T5_mT6_P12ihipStream_tbENKUlT_T0_E_clISt17integral_constantIbLb0EESU_EEDaSP_SQ_EUlSP_E0_NS1_11comp_targetILNS1_3genE2ELNS1_11target_archE906ELNS1_3gpuE6ELNS1_3repE0EEENS1_30default_config_static_selectorELNS0_4arch9wavefront6targetE1EEEvT1_,comdat
	.protected	_ZN7rocprim17ROCPRIM_400000_NS6detail17trampoline_kernelINS0_14default_configENS1_20scan_config_selectorIxEEZZNS1_9scan_implILNS1_25lookback_scan_determinismE0ELb0ELb0ES3_N6thrust23THRUST_200600_302600_NS6detail15normal_iteratorINS9_10device_ptrIxEEEESE_xNS9_4plusIvEExEEDaPvRmT3_T4_T5_mT6_P12ihipStream_tbENKUlT_T0_E_clISt17integral_constantIbLb0EESU_EEDaSP_SQ_EUlSP_E0_NS1_11comp_targetILNS1_3genE2ELNS1_11target_archE906ELNS1_3gpuE6ELNS1_3repE0EEENS1_30default_config_static_selectorELNS0_4arch9wavefront6targetE1EEEvT1_ ; -- Begin function _ZN7rocprim17ROCPRIM_400000_NS6detail17trampoline_kernelINS0_14default_configENS1_20scan_config_selectorIxEEZZNS1_9scan_implILNS1_25lookback_scan_determinismE0ELb0ELb0ES3_N6thrust23THRUST_200600_302600_NS6detail15normal_iteratorINS9_10device_ptrIxEEEESE_xNS9_4plusIvEExEEDaPvRmT3_T4_T5_mT6_P12ihipStream_tbENKUlT_T0_E_clISt17integral_constantIbLb0EESU_EEDaSP_SQ_EUlSP_E0_NS1_11comp_targetILNS1_3genE2ELNS1_11target_archE906ELNS1_3gpuE6ELNS1_3repE0EEENS1_30default_config_static_selectorELNS0_4arch9wavefront6targetE1EEEvT1_
	.globl	_ZN7rocprim17ROCPRIM_400000_NS6detail17trampoline_kernelINS0_14default_configENS1_20scan_config_selectorIxEEZZNS1_9scan_implILNS1_25lookback_scan_determinismE0ELb0ELb0ES3_N6thrust23THRUST_200600_302600_NS6detail15normal_iteratorINS9_10device_ptrIxEEEESE_xNS9_4plusIvEExEEDaPvRmT3_T4_T5_mT6_P12ihipStream_tbENKUlT_T0_E_clISt17integral_constantIbLb0EESU_EEDaSP_SQ_EUlSP_E0_NS1_11comp_targetILNS1_3genE2ELNS1_11target_archE906ELNS1_3gpuE6ELNS1_3repE0EEENS1_30default_config_static_selectorELNS0_4arch9wavefront6targetE1EEEvT1_
	.p2align	8
	.type	_ZN7rocprim17ROCPRIM_400000_NS6detail17trampoline_kernelINS0_14default_configENS1_20scan_config_selectorIxEEZZNS1_9scan_implILNS1_25lookback_scan_determinismE0ELb0ELb0ES3_N6thrust23THRUST_200600_302600_NS6detail15normal_iteratorINS9_10device_ptrIxEEEESE_xNS9_4plusIvEExEEDaPvRmT3_T4_T5_mT6_P12ihipStream_tbENKUlT_T0_E_clISt17integral_constantIbLb0EESU_EEDaSP_SQ_EUlSP_E0_NS1_11comp_targetILNS1_3genE2ELNS1_11target_archE906ELNS1_3gpuE6ELNS1_3repE0EEENS1_30default_config_static_selectorELNS0_4arch9wavefront6targetE1EEEvT1_,@function
_ZN7rocprim17ROCPRIM_400000_NS6detail17trampoline_kernelINS0_14default_configENS1_20scan_config_selectorIxEEZZNS1_9scan_implILNS1_25lookback_scan_determinismE0ELb0ELb0ES3_N6thrust23THRUST_200600_302600_NS6detail15normal_iteratorINS9_10device_ptrIxEEEESE_xNS9_4plusIvEExEEDaPvRmT3_T4_T5_mT6_P12ihipStream_tbENKUlT_T0_E_clISt17integral_constantIbLb0EESU_EEDaSP_SQ_EUlSP_E0_NS1_11comp_targetILNS1_3genE2ELNS1_11target_archE906ELNS1_3gpuE6ELNS1_3repE0EEENS1_30default_config_static_selectorELNS0_4arch9wavefront6targetE1EEEvT1_: ; @_ZN7rocprim17ROCPRIM_400000_NS6detail17trampoline_kernelINS0_14default_configENS1_20scan_config_selectorIxEEZZNS1_9scan_implILNS1_25lookback_scan_determinismE0ELb0ELb0ES3_N6thrust23THRUST_200600_302600_NS6detail15normal_iteratorINS9_10device_ptrIxEEEESE_xNS9_4plusIvEExEEDaPvRmT3_T4_T5_mT6_P12ihipStream_tbENKUlT_T0_E_clISt17integral_constantIbLb0EESU_EEDaSP_SQ_EUlSP_E0_NS1_11comp_targetILNS1_3genE2ELNS1_11target_archE906ELNS1_3gpuE6ELNS1_3repE0EEENS1_30default_config_static_selectorELNS0_4arch9wavefront6targetE1EEEvT1_
; %bb.0:
	.section	.rodata,"a",@progbits
	.p2align	6, 0x0
	.amdhsa_kernel _ZN7rocprim17ROCPRIM_400000_NS6detail17trampoline_kernelINS0_14default_configENS1_20scan_config_selectorIxEEZZNS1_9scan_implILNS1_25lookback_scan_determinismE0ELb0ELb0ES3_N6thrust23THRUST_200600_302600_NS6detail15normal_iteratorINS9_10device_ptrIxEEEESE_xNS9_4plusIvEExEEDaPvRmT3_T4_T5_mT6_P12ihipStream_tbENKUlT_T0_E_clISt17integral_constantIbLb0EESU_EEDaSP_SQ_EUlSP_E0_NS1_11comp_targetILNS1_3genE2ELNS1_11target_archE906ELNS1_3gpuE6ELNS1_3repE0EEENS1_30default_config_static_selectorELNS0_4arch9wavefront6targetE1EEEvT1_
		.amdhsa_group_segment_fixed_size 0
		.amdhsa_private_segment_fixed_size 0
		.amdhsa_kernarg_size 40
		.amdhsa_user_sgpr_count 6
		.amdhsa_user_sgpr_private_segment_buffer 1
		.amdhsa_user_sgpr_dispatch_ptr 0
		.amdhsa_user_sgpr_queue_ptr 0
		.amdhsa_user_sgpr_kernarg_segment_ptr 1
		.amdhsa_user_sgpr_dispatch_id 0
		.amdhsa_user_sgpr_flat_scratch_init 0
		.amdhsa_user_sgpr_kernarg_preload_length 0
		.amdhsa_user_sgpr_kernarg_preload_offset 0
		.amdhsa_user_sgpr_private_segment_size 0
		.amdhsa_uses_dynamic_stack 0
		.amdhsa_system_sgpr_private_segment_wavefront_offset 0
		.amdhsa_system_sgpr_workgroup_id_x 1
		.amdhsa_system_sgpr_workgroup_id_y 0
		.amdhsa_system_sgpr_workgroup_id_z 0
		.amdhsa_system_sgpr_workgroup_info 0
		.amdhsa_system_vgpr_workitem_id 0
		.amdhsa_next_free_vgpr 1
		.amdhsa_next_free_sgpr 0
		.amdhsa_accum_offset 4
		.amdhsa_reserve_vcc 0
		.amdhsa_reserve_flat_scratch 0
		.amdhsa_float_round_mode_32 0
		.amdhsa_float_round_mode_16_64 0
		.amdhsa_float_denorm_mode_32 3
		.amdhsa_float_denorm_mode_16_64 3
		.amdhsa_dx10_clamp 1
		.amdhsa_ieee_mode 1
		.amdhsa_fp16_overflow 0
		.amdhsa_tg_split 0
		.amdhsa_exception_fp_ieee_invalid_op 0
		.amdhsa_exception_fp_denorm_src 0
		.amdhsa_exception_fp_ieee_div_zero 0
		.amdhsa_exception_fp_ieee_overflow 0
		.amdhsa_exception_fp_ieee_underflow 0
		.amdhsa_exception_fp_ieee_inexact 0
		.amdhsa_exception_int_div_zero 0
	.end_amdhsa_kernel
	.section	.text._ZN7rocprim17ROCPRIM_400000_NS6detail17trampoline_kernelINS0_14default_configENS1_20scan_config_selectorIxEEZZNS1_9scan_implILNS1_25lookback_scan_determinismE0ELb0ELb0ES3_N6thrust23THRUST_200600_302600_NS6detail15normal_iteratorINS9_10device_ptrIxEEEESE_xNS9_4plusIvEExEEDaPvRmT3_T4_T5_mT6_P12ihipStream_tbENKUlT_T0_E_clISt17integral_constantIbLb0EESU_EEDaSP_SQ_EUlSP_E0_NS1_11comp_targetILNS1_3genE2ELNS1_11target_archE906ELNS1_3gpuE6ELNS1_3repE0EEENS1_30default_config_static_selectorELNS0_4arch9wavefront6targetE1EEEvT1_,"axG",@progbits,_ZN7rocprim17ROCPRIM_400000_NS6detail17trampoline_kernelINS0_14default_configENS1_20scan_config_selectorIxEEZZNS1_9scan_implILNS1_25lookback_scan_determinismE0ELb0ELb0ES3_N6thrust23THRUST_200600_302600_NS6detail15normal_iteratorINS9_10device_ptrIxEEEESE_xNS9_4plusIvEExEEDaPvRmT3_T4_T5_mT6_P12ihipStream_tbENKUlT_T0_E_clISt17integral_constantIbLb0EESU_EEDaSP_SQ_EUlSP_E0_NS1_11comp_targetILNS1_3genE2ELNS1_11target_archE906ELNS1_3gpuE6ELNS1_3repE0EEENS1_30default_config_static_selectorELNS0_4arch9wavefront6targetE1EEEvT1_,comdat
.Lfunc_end25:
	.size	_ZN7rocprim17ROCPRIM_400000_NS6detail17trampoline_kernelINS0_14default_configENS1_20scan_config_selectorIxEEZZNS1_9scan_implILNS1_25lookback_scan_determinismE0ELb0ELb0ES3_N6thrust23THRUST_200600_302600_NS6detail15normal_iteratorINS9_10device_ptrIxEEEESE_xNS9_4plusIvEExEEDaPvRmT3_T4_T5_mT6_P12ihipStream_tbENKUlT_T0_E_clISt17integral_constantIbLb0EESU_EEDaSP_SQ_EUlSP_E0_NS1_11comp_targetILNS1_3genE2ELNS1_11target_archE906ELNS1_3gpuE6ELNS1_3repE0EEENS1_30default_config_static_selectorELNS0_4arch9wavefront6targetE1EEEvT1_, .Lfunc_end25-_ZN7rocprim17ROCPRIM_400000_NS6detail17trampoline_kernelINS0_14default_configENS1_20scan_config_selectorIxEEZZNS1_9scan_implILNS1_25lookback_scan_determinismE0ELb0ELb0ES3_N6thrust23THRUST_200600_302600_NS6detail15normal_iteratorINS9_10device_ptrIxEEEESE_xNS9_4plusIvEExEEDaPvRmT3_T4_T5_mT6_P12ihipStream_tbENKUlT_T0_E_clISt17integral_constantIbLb0EESU_EEDaSP_SQ_EUlSP_E0_NS1_11comp_targetILNS1_3genE2ELNS1_11target_archE906ELNS1_3gpuE6ELNS1_3repE0EEENS1_30default_config_static_selectorELNS0_4arch9wavefront6targetE1EEEvT1_
                                        ; -- End function
	.section	.AMDGPU.csdata,"",@progbits
; Kernel info:
; codeLenInByte = 0
; NumSgprs: 4
; NumVgprs: 0
; NumAgprs: 0
; TotalNumVgprs: 0
; ScratchSize: 0
; MemoryBound: 0
; FloatMode: 240
; IeeeMode: 1
; LDSByteSize: 0 bytes/workgroup (compile time only)
; SGPRBlocks: 0
; VGPRBlocks: 0
; NumSGPRsForWavesPerEU: 4
; NumVGPRsForWavesPerEU: 1
; AccumOffset: 4
; Occupancy: 8
; WaveLimiterHint : 0
; COMPUTE_PGM_RSRC2:SCRATCH_EN: 0
; COMPUTE_PGM_RSRC2:USER_SGPR: 6
; COMPUTE_PGM_RSRC2:TRAP_HANDLER: 0
; COMPUTE_PGM_RSRC2:TGID_X_EN: 1
; COMPUTE_PGM_RSRC2:TGID_Y_EN: 0
; COMPUTE_PGM_RSRC2:TGID_Z_EN: 0
; COMPUTE_PGM_RSRC2:TIDIG_COMP_CNT: 0
; COMPUTE_PGM_RSRC3_GFX90A:ACCUM_OFFSET: 0
; COMPUTE_PGM_RSRC3_GFX90A:TG_SPLIT: 0
	.section	.text._ZN7rocprim17ROCPRIM_400000_NS6detail17trampoline_kernelINS0_14default_configENS1_20scan_config_selectorIxEEZZNS1_9scan_implILNS1_25lookback_scan_determinismE0ELb0ELb0ES3_N6thrust23THRUST_200600_302600_NS6detail15normal_iteratorINS9_10device_ptrIxEEEESE_xNS9_4plusIvEExEEDaPvRmT3_T4_T5_mT6_P12ihipStream_tbENKUlT_T0_E_clISt17integral_constantIbLb0EESU_EEDaSP_SQ_EUlSP_E0_NS1_11comp_targetILNS1_3genE10ELNS1_11target_archE1201ELNS1_3gpuE5ELNS1_3repE0EEENS1_30default_config_static_selectorELNS0_4arch9wavefront6targetE1EEEvT1_,"axG",@progbits,_ZN7rocprim17ROCPRIM_400000_NS6detail17trampoline_kernelINS0_14default_configENS1_20scan_config_selectorIxEEZZNS1_9scan_implILNS1_25lookback_scan_determinismE0ELb0ELb0ES3_N6thrust23THRUST_200600_302600_NS6detail15normal_iteratorINS9_10device_ptrIxEEEESE_xNS9_4plusIvEExEEDaPvRmT3_T4_T5_mT6_P12ihipStream_tbENKUlT_T0_E_clISt17integral_constantIbLb0EESU_EEDaSP_SQ_EUlSP_E0_NS1_11comp_targetILNS1_3genE10ELNS1_11target_archE1201ELNS1_3gpuE5ELNS1_3repE0EEENS1_30default_config_static_selectorELNS0_4arch9wavefront6targetE1EEEvT1_,comdat
	.protected	_ZN7rocprim17ROCPRIM_400000_NS6detail17trampoline_kernelINS0_14default_configENS1_20scan_config_selectorIxEEZZNS1_9scan_implILNS1_25lookback_scan_determinismE0ELb0ELb0ES3_N6thrust23THRUST_200600_302600_NS6detail15normal_iteratorINS9_10device_ptrIxEEEESE_xNS9_4plusIvEExEEDaPvRmT3_T4_T5_mT6_P12ihipStream_tbENKUlT_T0_E_clISt17integral_constantIbLb0EESU_EEDaSP_SQ_EUlSP_E0_NS1_11comp_targetILNS1_3genE10ELNS1_11target_archE1201ELNS1_3gpuE5ELNS1_3repE0EEENS1_30default_config_static_selectorELNS0_4arch9wavefront6targetE1EEEvT1_ ; -- Begin function _ZN7rocprim17ROCPRIM_400000_NS6detail17trampoline_kernelINS0_14default_configENS1_20scan_config_selectorIxEEZZNS1_9scan_implILNS1_25lookback_scan_determinismE0ELb0ELb0ES3_N6thrust23THRUST_200600_302600_NS6detail15normal_iteratorINS9_10device_ptrIxEEEESE_xNS9_4plusIvEExEEDaPvRmT3_T4_T5_mT6_P12ihipStream_tbENKUlT_T0_E_clISt17integral_constantIbLb0EESU_EEDaSP_SQ_EUlSP_E0_NS1_11comp_targetILNS1_3genE10ELNS1_11target_archE1201ELNS1_3gpuE5ELNS1_3repE0EEENS1_30default_config_static_selectorELNS0_4arch9wavefront6targetE1EEEvT1_
	.globl	_ZN7rocprim17ROCPRIM_400000_NS6detail17trampoline_kernelINS0_14default_configENS1_20scan_config_selectorIxEEZZNS1_9scan_implILNS1_25lookback_scan_determinismE0ELb0ELb0ES3_N6thrust23THRUST_200600_302600_NS6detail15normal_iteratorINS9_10device_ptrIxEEEESE_xNS9_4plusIvEExEEDaPvRmT3_T4_T5_mT6_P12ihipStream_tbENKUlT_T0_E_clISt17integral_constantIbLb0EESU_EEDaSP_SQ_EUlSP_E0_NS1_11comp_targetILNS1_3genE10ELNS1_11target_archE1201ELNS1_3gpuE5ELNS1_3repE0EEENS1_30default_config_static_selectorELNS0_4arch9wavefront6targetE1EEEvT1_
	.p2align	8
	.type	_ZN7rocprim17ROCPRIM_400000_NS6detail17trampoline_kernelINS0_14default_configENS1_20scan_config_selectorIxEEZZNS1_9scan_implILNS1_25lookback_scan_determinismE0ELb0ELb0ES3_N6thrust23THRUST_200600_302600_NS6detail15normal_iteratorINS9_10device_ptrIxEEEESE_xNS9_4plusIvEExEEDaPvRmT3_T4_T5_mT6_P12ihipStream_tbENKUlT_T0_E_clISt17integral_constantIbLb0EESU_EEDaSP_SQ_EUlSP_E0_NS1_11comp_targetILNS1_3genE10ELNS1_11target_archE1201ELNS1_3gpuE5ELNS1_3repE0EEENS1_30default_config_static_selectorELNS0_4arch9wavefront6targetE1EEEvT1_,@function
_ZN7rocprim17ROCPRIM_400000_NS6detail17trampoline_kernelINS0_14default_configENS1_20scan_config_selectorIxEEZZNS1_9scan_implILNS1_25lookback_scan_determinismE0ELb0ELb0ES3_N6thrust23THRUST_200600_302600_NS6detail15normal_iteratorINS9_10device_ptrIxEEEESE_xNS9_4plusIvEExEEDaPvRmT3_T4_T5_mT6_P12ihipStream_tbENKUlT_T0_E_clISt17integral_constantIbLb0EESU_EEDaSP_SQ_EUlSP_E0_NS1_11comp_targetILNS1_3genE10ELNS1_11target_archE1201ELNS1_3gpuE5ELNS1_3repE0EEENS1_30default_config_static_selectorELNS0_4arch9wavefront6targetE1EEEvT1_: ; @_ZN7rocprim17ROCPRIM_400000_NS6detail17trampoline_kernelINS0_14default_configENS1_20scan_config_selectorIxEEZZNS1_9scan_implILNS1_25lookback_scan_determinismE0ELb0ELb0ES3_N6thrust23THRUST_200600_302600_NS6detail15normal_iteratorINS9_10device_ptrIxEEEESE_xNS9_4plusIvEExEEDaPvRmT3_T4_T5_mT6_P12ihipStream_tbENKUlT_T0_E_clISt17integral_constantIbLb0EESU_EEDaSP_SQ_EUlSP_E0_NS1_11comp_targetILNS1_3genE10ELNS1_11target_archE1201ELNS1_3gpuE5ELNS1_3repE0EEENS1_30default_config_static_selectorELNS0_4arch9wavefront6targetE1EEEvT1_
; %bb.0:
	.section	.rodata,"a",@progbits
	.p2align	6, 0x0
	.amdhsa_kernel _ZN7rocprim17ROCPRIM_400000_NS6detail17trampoline_kernelINS0_14default_configENS1_20scan_config_selectorIxEEZZNS1_9scan_implILNS1_25lookback_scan_determinismE0ELb0ELb0ES3_N6thrust23THRUST_200600_302600_NS6detail15normal_iteratorINS9_10device_ptrIxEEEESE_xNS9_4plusIvEExEEDaPvRmT3_T4_T5_mT6_P12ihipStream_tbENKUlT_T0_E_clISt17integral_constantIbLb0EESU_EEDaSP_SQ_EUlSP_E0_NS1_11comp_targetILNS1_3genE10ELNS1_11target_archE1201ELNS1_3gpuE5ELNS1_3repE0EEENS1_30default_config_static_selectorELNS0_4arch9wavefront6targetE1EEEvT1_
		.amdhsa_group_segment_fixed_size 0
		.amdhsa_private_segment_fixed_size 0
		.amdhsa_kernarg_size 40
		.amdhsa_user_sgpr_count 6
		.amdhsa_user_sgpr_private_segment_buffer 1
		.amdhsa_user_sgpr_dispatch_ptr 0
		.amdhsa_user_sgpr_queue_ptr 0
		.amdhsa_user_sgpr_kernarg_segment_ptr 1
		.amdhsa_user_sgpr_dispatch_id 0
		.amdhsa_user_sgpr_flat_scratch_init 0
		.amdhsa_user_sgpr_kernarg_preload_length 0
		.amdhsa_user_sgpr_kernarg_preload_offset 0
		.amdhsa_user_sgpr_private_segment_size 0
		.amdhsa_uses_dynamic_stack 0
		.amdhsa_system_sgpr_private_segment_wavefront_offset 0
		.amdhsa_system_sgpr_workgroup_id_x 1
		.amdhsa_system_sgpr_workgroup_id_y 0
		.amdhsa_system_sgpr_workgroup_id_z 0
		.amdhsa_system_sgpr_workgroup_info 0
		.amdhsa_system_vgpr_workitem_id 0
		.amdhsa_next_free_vgpr 1
		.amdhsa_next_free_sgpr 0
		.amdhsa_accum_offset 4
		.amdhsa_reserve_vcc 0
		.amdhsa_reserve_flat_scratch 0
		.amdhsa_float_round_mode_32 0
		.amdhsa_float_round_mode_16_64 0
		.amdhsa_float_denorm_mode_32 3
		.amdhsa_float_denorm_mode_16_64 3
		.amdhsa_dx10_clamp 1
		.amdhsa_ieee_mode 1
		.amdhsa_fp16_overflow 0
		.amdhsa_tg_split 0
		.amdhsa_exception_fp_ieee_invalid_op 0
		.amdhsa_exception_fp_denorm_src 0
		.amdhsa_exception_fp_ieee_div_zero 0
		.amdhsa_exception_fp_ieee_overflow 0
		.amdhsa_exception_fp_ieee_underflow 0
		.amdhsa_exception_fp_ieee_inexact 0
		.amdhsa_exception_int_div_zero 0
	.end_amdhsa_kernel
	.section	.text._ZN7rocprim17ROCPRIM_400000_NS6detail17trampoline_kernelINS0_14default_configENS1_20scan_config_selectorIxEEZZNS1_9scan_implILNS1_25lookback_scan_determinismE0ELb0ELb0ES3_N6thrust23THRUST_200600_302600_NS6detail15normal_iteratorINS9_10device_ptrIxEEEESE_xNS9_4plusIvEExEEDaPvRmT3_T4_T5_mT6_P12ihipStream_tbENKUlT_T0_E_clISt17integral_constantIbLb0EESU_EEDaSP_SQ_EUlSP_E0_NS1_11comp_targetILNS1_3genE10ELNS1_11target_archE1201ELNS1_3gpuE5ELNS1_3repE0EEENS1_30default_config_static_selectorELNS0_4arch9wavefront6targetE1EEEvT1_,"axG",@progbits,_ZN7rocprim17ROCPRIM_400000_NS6detail17trampoline_kernelINS0_14default_configENS1_20scan_config_selectorIxEEZZNS1_9scan_implILNS1_25lookback_scan_determinismE0ELb0ELb0ES3_N6thrust23THRUST_200600_302600_NS6detail15normal_iteratorINS9_10device_ptrIxEEEESE_xNS9_4plusIvEExEEDaPvRmT3_T4_T5_mT6_P12ihipStream_tbENKUlT_T0_E_clISt17integral_constantIbLb0EESU_EEDaSP_SQ_EUlSP_E0_NS1_11comp_targetILNS1_3genE10ELNS1_11target_archE1201ELNS1_3gpuE5ELNS1_3repE0EEENS1_30default_config_static_selectorELNS0_4arch9wavefront6targetE1EEEvT1_,comdat
.Lfunc_end26:
	.size	_ZN7rocprim17ROCPRIM_400000_NS6detail17trampoline_kernelINS0_14default_configENS1_20scan_config_selectorIxEEZZNS1_9scan_implILNS1_25lookback_scan_determinismE0ELb0ELb0ES3_N6thrust23THRUST_200600_302600_NS6detail15normal_iteratorINS9_10device_ptrIxEEEESE_xNS9_4plusIvEExEEDaPvRmT3_T4_T5_mT6_P12ihipStream_tbENKUlT_T0_E_clISt17integral_constantIbLb0EESU_EEDaSP_SQ_EUlSP_E0_NS1_11comp_targetILNS1_3genE10ELNS1_11target_archE1201ELNS1_3gpuE5ELNS1_3repE0EEENS1_30default_config_static_selectorELNS0_4arch9wavefront6targetE1EEEvT1_, .Lfunc_end26-_ZN7rocprim17ROCPRIM_400000_NS6detail17trampoline_kernelINS0_14default_configENS1_20scan_config_selectorIxEEZZNS1_9scan_implILNS1_25lookback_scan_determinismE0ELb0ELb0ES3_N6thrust23THRUST_200600_302600_NS6detail15normal_iteratorINS9_10device_ptrIxEEEESE_xNS9_4plusIvEExEEDaPvRmT3_T4_T5_mT6_P12ihipStream_tbENKUlT_T0_E_clISt17integral_constantIbLb0EESU_EEDaSP_SQ_EUlSP_E0_NS1_11comp_targetILNS1_3genE10ELNS1_11target_archE1201ELNS1_3gpuE5ELNS1_3repE0EEENS1_30default_config_static_selectorELNS0_4arch9wavefront6targetE1EEEvT1_
                                        ; -- End function
	.section	.AMDGPU.csdata,"",@progbits
; Kernel info:
; codeLenInByte = 0
; NumSgprs: 4
; NumVgprs: 0
; NumAgprs: 0
; TotalNumVgprs: 0
; ScratchSize: 0
; MemoryBound: 0
; FloatMode: 240
; IeeeMode: 1
; LDSByteSize: 0 bytes/workgroup (compile time only)
; SGPRBlocks: 0
; VGPRBlocks: 0
; NumSGPRsForWavesPerEU: 4
; NumVGPRsForWavesPerEU: 1
; AccumOffset: 4
; Occupancy: 8
; WaveLimiterHint : 0
; COMPUTE_PGM_RSRC2:SCRATCH_EN: 0
; COMPUTE_PGM_RSRC2:USER_SGPR: 6
; COMPUTE_PGM_RSRC2:TRAP_HANDLER: 0
; COMPUTE_PGM_RSRC2:TGID_X_EN: 1
; COMPUTE_PGM_RSRC2:TGID_Y_EN: 0
; COMPUTE_PGM_RSRC2:TGID_Z_EN: 0
; COMPUTE_PGM_RSRC2:TIDIG_COMP_CNT: 0
; COMPUTE_PGM_RSRC3_GFX90A:ACCUM_OFFSET: 0
; COMPUTE_PGM_RSRC3_GFX90A:TG_SPLIT: 0
	.section	.text._ZN7rocprim17ROCPRIM_400000_NS6detail17trampoline_kernelINS0_14default_configENS1_20scan_config_selectorIxEEZZNS1_9scan_implILNS1_25lookback_scan_determinismE0ELb0ELb0ES3_N6thrust23THRUST_200600_302600_NS6detail15normal_iteratorINS9_10device_ptrIxEEEESE_xNS9_4plusIvEExEEDaPvRmT3_T4_T5_mT6_P12ihipStream_tbENKUlT_T0_E_clISt17integral_constantIbLb0EESU_EEDaSP_SQ_EUlSP_E0_NS1_11comp_targetILNS1_3genE10ELNS1_11target_archE1200ELNS1_3gpuE4ELNS1_3repE0EEENS1_30default_config_static_selectorELNS0_4arch9wavefront6targetE1EEEvT1_,"axG",@progbits,_ZN7rocprim17ROCPRIM_400000_NS6detail17trampoline_kernelINS0_14default_configENS1_20scan_config_selectorIxEEZZNS1_9scan_implILNS1_25lookback_scan_determinismE0ELb0ELb0ES3_N6thrust23THRUST_200600_302600_NS6detail15normal_iteratorINS9_10device_ptrIxEEEESE_xNS9_4plusIvEExEEDaPvRmT3_T4_T5_mT6_P12ihipStream_tbENKUlT_T0_E_clISt17integral_constantIbLb0EESU_EEDaSP_SQ_EUlSP_E0_NS1_11comp_targetILNS1_3genE10ELNS1_11target_archE1200ELNS1_3gpuE4ELNS1_3repE0EEENS1_30default_config_static_selectorELNS0_4arch9wavefront6targetE1EEEvT1_,comdat
	.protected	_ZN7rocprim17ROCPRIM_400000_NS6detail17trampoline_kernelINS0_14default_configENS1_20scan_config_selectorIxEEZZNS1_9scan_implILNS1_25lookback_scan_determinismE0ELb0ELb0ES3_N6thrust23THRUST_200600_302600_NS6detail15normal_iteratorINS9_10device_ptrIxEEEESE_xNS9_4plusIvEExEEDaPvRmT3_T4_T5_mT6_P12ihipStream_tbENKUlT_T0_E_clISt17integral_constantIbLb0EESU_EEDaSP_SQ_EUlSP_E0_NS1_11comp_targetILNS1_3genE10ELNS1_11target_archE1200ELNS1_3gpuE4ELNS1_3repE0EEENS1_30default_config_static_selectorELNS0_4arch9wavefront6targetE1EEEvT1_ ; -- Begin function _ZN7rocprim17ROCPRIM_400000_NS6detail17trampoline_kernelINS0_14default_configENS1_20scan_config_selectorIxEEZZNS1_9scan_implILNS1_25lookback_scan_determinismE0ELb0ELb0ES3_N6thrust23THRUST_200600_302600_NS6detail15normal_iteratorINS9_10device_ptrIxEEEESE_xNS9_4plusIvEExEEDaPvRmT3_T4_T5_mT6_P12ihipStream_tbENKUlT_T0_E_clISt17integral_constantIbLb0EESU_EEDaSP_SQ_EUlSP_E0_NS1_11comp_targetILNS1_3genE10ELNS1_11target_archE1200ELNS1_3gpuE4ELNS1_3repE0EEENS1_30default_config_static_selectorELNS0_4arch9wavefront6targetE1EEEvT1_
	.globl	_ZN7rocprim17ROCPRIM_400000_NS6detail17trampoline_kernelINS0_14default_configENS1_20scan_config_selectorIxEEZZNS1_9scan_implILNS1_25lookback_scan_determinismE0ELb0ELb0ES3_N6thrust23THRUST_200600_302600_NS6detail15normal_iteratorINS9_10device_ptrIxEEEESE_xNS9_4plusIvEExEEDaPvRmT3_T4_T5_mT6_P12ihipStream_tbENKUlT_T0_E_clISt17integral_constantIbLb0EESU_EEDaSP_SQ_EUlSP_E0_NS1_11comp_targetILNS1_3genE10ELNS1_11target_archE1200ELNS1_3gpuE4ELNS1_3repE0EEENS1_30default_config_static_selectorELNS0_4arch9wavefront6targetE1EEEvT1_
	.p2align	8
	.type	_ZN7rocprim17ROCPRIM_400000_NS6detail17trampoline_kernelINS0_14default_configENS1_20scan_config_selectorIxEEZZNS1_9scan_implILNS1_25lookback_scan_determinismE0ELb0ELb0ES3_N6thrust23THRUST_200600_302600_NS6detail15normal_iteratorINS9_10device_ptrIxEEEESE_xNS9_4plusIvEExEEDaPvRmT3_T4_T5_mT6_P12ihipStream_tbENKUlT_T0_E_clISt17integral_constantIbLb0EESU_EEDaSP_SQ_EUlSP_E0_NS1_11comp_targetILNS1_3genE10ELNS1_11target_archE1200ELNS1_3gpuE4ELNS1_3repE0EEENS1_30default_config_static_selectorELNS0_4arch9wavefront6targetE1EEEvT1_,@function
_ZN7rocprim17ROCPRIM_400000_NS6detail17trampoline_kernelINS0_14default_configENS1_20scan_config_selectorIxEEZZNS1_9scan_implILNS1_25lookback_scan_determinismE0ELb0ELb0ES3_N6thrust23THRUST_200600_302600_NS6detail15normal_iteratorINS9_10device_ptrIxEEEESE_xNS9_4plusIvEExEEDaPvRmT3_T4_T5_mT6_P12ihipStream_tbENKUlT_T0_E_clISt17integral_constantIbLb0EESU_EEDaSP_SQ_EUlSP_E0_NS1_11comp_targetILNS1_3genE10ELNS1_11target_archE1200ELNS1_3gpuE4ELNS1_3repE0EEENS1_30default_config_static_selectorELNS0_4arch9wavefront6targetE1EEEvT1_: ; @_ZN7rocprim17ROCPRIM_400000_NS6detail17trampoline_kernelINS0_14default_configENS1_20scan_config_selectorIxEEZZNS1_9scan_implILNS1_25lookback_scan_determinismE0ELb0ELb0ES3_N6thrust23THRUST_200600_302600_NS6detail15normal_iteratorINS9_10device_ptrIxEEEESE_xNS9_4plusIvEExEEDaPvRmT3_T4_T5_mT6_P12ihipStream_tbENKUlT_T0_E_clISt17integral_constantIbLb0EESU_EEDaSP_SQ_EUlSP_E0_NS1_11comp_targetILNS1_3genE10ELNS1_11target_archE1200ELNS1_3gpuE4ELNS1_3repE0EEENS1_30default_config_static_selectorELNS0_4arch9wavefront6targetE1EEEvT1_
; %bb.0:
	.section	.rodata,"a",@progbits
	.p2align	6, 0x0
	.amdhsa_kernel _ZN7rocprim17ROCPRIM_400000_NS6detail17trampoline_kernelINS0_14default_configENS1_20scan_config_selectorIxEEZZNS1_9scan_implILNS1_25lookback_scan_determinismE0ELb0ELb0ES3_N6thrust23THRUST_200600_302600_NS6detail15normal_iteratorINS9_10device_ptrIxEEEESE_xNS9_4plusIvEExEEDaPvRmT3_T4_T5_mT6_P12ihipStream_tbENKUlT_T0_E_clISt17integral_constantIbLb0EESU_EEDaSP_SQ_EUlSP_E0_NS1_11comp_targetILNS1_3genE10ELNS1_11target_archE1200ELNS1_3gpuE4ELNS1_3repE0EEENS1_30default_config_static_selectorELNS0_4arch9wavefront6targetE1EEEvT1_
		.amdhsa_group_segment_fixed_size 0
		.amdhsa_private_segment_fixed_size 0
		.amdhsa_kernarg_size 40
		.amdhsa_user_sgpr_count 6
		.amdhsa_user_sgpr_private_segment_buffer 1
		.amdhsa_user_sgpr_dispatch_ptr 0
		.amdhsa_user_sgpr_queue_ptr 0
		.amdhsa_user_sgpr_kernarg_segment_ptr 1
		.amdhsa_user_sgpr_dispatch_id 0
		.amdhsa_user_sgpr_flat_scratch_init 0
		.amdhsa_user_sgpr_kernarg_preload_length 0
		.amdhsa_user_sgpr_kernarg_preload_offset 0
		.amdhsa_user_sgpr_private_segment_size 0
		.amdhsa_uses_dynamic_stack 0
		.amdhsa_system_sgpr_private_segment_wavefront_offset 0
		.amdhsa_system_sgpr_workgroup_id_x 1
		.amdhsa_system_sgpr_workgroup_id_y 0
		.amdhsa_system_sgpr_workgroup_id_z 0
		.amdhsa_system_sgpr_workgroup_info 0
		.amdhsa_system_vgpr_workitem_id 0
		.amdhsa_next_free_vgpr 1
		.amdhsa_next_free_sgpr 0
		.amdhsa_accum_offset 4
		.amdhsa_reserve_vcc 0
		.amdhsa_reserve_flat_scratch 0
		.amdhsa_float_round_mode_32 0
		.amdhsa_float_round_mode_16_64 0
		.amdhsa_float_denorm_mode_32 3
		.amdhsa_float_denorm_mode_16_64 3
		.amdhsa_dx10_clamp 1
		.amdhsa_ieee_mode 1
		.amdhsa_fp16_overflow 0
		.amdhsa_tg_split 0
		.amdhsa_exception_fp_ieee_invalid_op 0
		.amdhsa_exception_fp_denorm_src 0
		.amdhsa_exception_fp_ieee_div_zero 0
		.amdhsa_exception_fp_ieee_overflow 0
		.amdhsa_exception_fp_ieee_underflow 0
		.amdhsa_exception_fp_ieee_inexact 0
		.amdhsa_exception_int_div_zero 0
	.end_amdhsa_kernel
	.section	.text._ZN7rocprim17ROCPRIM_400000_NS6detail17trampoline_kernelINS0_14default_configENS1_20scan_config_selectorIxEEZZNS1_9scan_implILNS1_25lookback_scan_determinismE0ELb0ELb0ES3_N6thrust23THRUST_200600_302600_NS6detail15normal_iteratorINS9_10device_ptrIxEEEESE_xNS9_4plusIvEExEEDaPvRmT3_T4_T5_mT6_P12ihipStream_tbENKUlT_T0_E_clISt17integral_constantIbLb0EESU_EEDaSP_SQ_EUlSP_E0_NS1_11comp_targetILNS1_3genE10ELNS1_11target_archE1200ELNS1_3gpuE4ELNS1_3repE0EEENS1_30default_config_static_selectorELNS0_4arch9wavefront6targetE1EEEvT1_,"axG",@progbits,_ZN7rocprim17ROCPRIM_400000_NS6detail17trampoline_kernelINS0_14default_configENS1_20scan_config_selectorIxEEZZNS1_9scan_implILNS1_25lookback_scan_determinismE0ELb0ELb0ES3_N6thrust23THRUST_200600_302600_NS6detail15normal_iteratorINS9_10device_ptrIxEEEESE_xNS9_4plusIvEExEEDaPvRmT3_T4_T5_mT6_P12ihipStream_tbENKUlT_T0_E_clISt17integral_constantIbLb0EESU_EEDaSP_SQ_EUlSP_E0_NS1_11comp_targetILNS1_3genE10ELNS1_11target_archE1200ELNS1_3gpuE4ELNS1_3repE0EEENS1_30default_config_static_selectorELNS0_4arch9wavefront6targetE1EEEvT1_,comdat
.Lfunc_end27:
	.size	_ZN7rocprim17ROCPRIM_400000_NS6detail17trampoline_kernelINS0_14default_configENS1_20scan_config_selectorIxEEZZNS1_9scan_implILNS1_25lookback_scan_determinismE0ELb0ELb0ES3_N6thrust23THRUST_200600_302600_NS6detail15normal_iteratorINS9_10device_ptrIxEEEESE_xNS9_4plusIvEExEEDaPvRmT3_T4_T5_mT6_P12ihipStream_tbENKUlT_T0_E_clISt17integral_constantIbLb0EESU_EEDaSP_SQ_EUlSP_E0_NS1_11comp_targetILNS1_3genE10ELNS1_11target_archE1200ELNS1_3gpuE4ELNS1_3repE0EEENS1_30default_config_static_selectorELNS0_4arch9wavefront6targetE1EEEvT1_, .Lfunc_end27-_ZN7rocprim17ROCPRIM_400000_NS6detail17trampoline_kernelINS0_14default_configENS1_20scan_config_selectorIxEEZZNS1_9scan_implILNS1_25lookback_scan_determinismE0ELb0ELb0ES3_N6thrust23THRUST_200600_302600_NS6detail15normal_iteratorINS9_10device_ptrIxEEEESE_xNS9_4plusIvEExEEDaPvRmT3_T4_T5_mT6_P12ihipStream_tbENKUlT_T0_E_clISt17integral_constantIbLb0EESU_EEDaSP_SQ_EUlSP_E0_NS1_11comp_targetILNS1_3genE10ELNS1_11target_archE1200ELNS1_3gpuE4ELNS1_3repE0EEENS1_30default_config_static_selectorELNS0_4arch9wavefront6targetE1EEEvT1_
                                        ; -- End function
	.section	.AMDGPU.csdata,"",@progbits
; Kernel info:
; codeLenInByte = 0
; NumSgprs: 4
; NumVgprs: 0
; NumAgprs: 0
; TotalNumVgprs: 0
; ScratchSize: 0
; MemoryBound: 0
; FloatMode: 240
; IeeeMode: 1
; LDSByteSize: 0 bytes/workgroup (compile time only)
; SGPRBlocks: 0
; VGPRBlocks: 0
; NumSGPRsForWavesPerEU: 4
; NumVGPRsForWavesPerEU: 1
; AccumOffset: 4
; Occupancy: 8
; WaveLimiterHint : 0
; COMPUTE_PGM_RSRC2:SCRATCH_EN: 0
; COMPUTE_PGM_RSRC2:USER_SGPR: 6
; COMPUTE_PGM_RSRC2:TRAP_HANDLER: 0
; COMPUTE_PGM_RSRC2:TGID_X_EN: 1
; COMPUTE_PGM_RSRC2:TGID_Y_EN: 0
; COMPUTE_PGM_RSRC2:TGID_Z_EN: 0
; COMPUTE_PGM_RSRC2:TIDIG_COMP_CNT: 0
; COMPUTE_PGM_RSRC3_GFX90A:ACCUM_OFFSET: 0
; COMPUTE_PGM_RSRC3_GFX90A:TG_SPLIT: 0
	.section	.text._ZN7rocprim17ROCPRIM_400000_NS6detail17trampoline_kernelINS0_14default_configENS1_20scan_config_selectorIxEEZZNS1_9scan_implILNS1_25lookback_scan_determinismE0ELb0ELb0ES3_N6thrust23THRUST_200600_302600_NS6detail15normal_iteratorINS9_10device_ptrIxEEEESE_xNS9_4plusIvEExEEDaPvRmT3_T4_T5_mT6_P12ihipStream_tbENKUlT_T0_E_clISt17integral_constantIbLb0EESU_EEDaSP_SQ_EUlSP_E0_NS1_11comp_targetILNS1_3genE9ELNS1_11target_archE1100ELNS1_3gpuE3ELNS1_3repE0EEENS1_30default_config_static_selectorELNS0_4arch9wavefront6targetE1EEEvT1_,"axG",@progbits,_ZN7rocprim17ROCPRIM_400000_NS6detail17trampoline_kernelINS0_14default_configENS1_20scan_config_selectorIxEEZZNS1_9scan_implILNS1_25lookback_scan_determinismE0ELb0ELb0ES3_N6thrust23THRUST_200600_302600_NS6detail15normal_iteratorINS9_10device_ptrIxEEEESE_xNS9_4plusIvEExEEDaPvRmT3_T4_T5_mT6_P12ihipStream_tbENKUlT_T0_E_clISt17integral_constantIbLb0EESU_EEDaSP_SQ_EUlSP_E0_NS1_11comp_targetILNS1_3genE9ELNS1_11target_archE1100ELNS1_3gpuE3ELNS1_3repE0EEENS1_30default_config_static_selectorELNS0_4arch9wavefront6targetE1EEEvT1_,comdat
	.protected	_ZN7rocprim17ROCPRIM_400000_NS6detail17trampoline_kernelINS0_14default_configENS1_20scan_config_selectorIxEEZZNS1_9scan_implILNS1_25lookback_scan_determinismE0ELb0ELb0ES3_N6thrust23THRUST_200600_302600_NS6detail15normal_iteratorINS9_10device_ptrIxEEEESE_xNS9_4plusIvEExEEDaPvRmT3_T4_T5_mT6_P12ihipStream_tbENKUlT_T0_E_clISt17integral_constantIbLb0EESU_EEDaSP_SQ_EUlSP_E0_NS1_11comp_targetILNS1_3genE9ELNS1_11target_archE1100ELNS1_3gpuE3ELNS1_3repE0EEENS1_30default_config_static_selectorELNS0_4arch9wavefront6targetE1EEEvT1_ ; -- Begin function _ZN7rocprim17ROCPRIM_400000_NS6detail17trampoline_kernelINS0_14default_configENS1_20scan_config_selectorIxEEZZNS1_9scan_implILNS1_25lookback_scan_determinismE0ELb0ELb0ES3_N6thrust23THRUST_200600_302600_NS6detail15normal_iteratorINS9_10device_ptrIxEEEESE_xNS9_4plusIvEExEEDaPvRmT3_T4_T5_mT6_P12ihipStream_tbENKUlT_T0_E_clISt17integral_constantIbLb0EESU_EEDaSP_SQ_EUlSP_E0_NS1_11comp_targetILNS1_3genE9ELNS1_11target_archE1100ELNS1_3gpuE3ELNS1_3repE0EEENS1_30default_config_static_selectorELNS0_4arch9wavefront6targetE1EEEvT1_
	.globl	_ZN7rocprim17ROCPRIM_400000_NS6detail17trampoline_kernelINS0_14default_configENS1_20scan_config_selectorIxEEZZNS1_9scan_implILNS1_25lookback_scan_determinismE0ELb0ELb0ES3_N6thrust23THRUST_200600_302600_NS6detail15normal_iteratorINS9_10device_ptrIxEEEESE_xNS9_4plusIvEExEEDaPvRmT3_T4_T5_mT6_P12ihipStream_tbENKUlT_T0_E_clISt17integral_constantIbLb0EESU_EEDaSP_SQ_EUlSP_E0_NS1_11comp_targetILNS1_3genE9ELNS1_11target_archE1100ELNS1_3gpuE3ELNS1_3repE0EEENS1_30default_config_static_selectorELNS0_4arch9wavefront6targetE1EEEvT1_
	.p2align	8
	.type	_ZN7rocprim17ROCPRIM_400000_NS6detail17trampoline_kernelINS0_14default_configENS1_20scan_config_selectorIxEEZZNS1_9scan_implILNS1_25lookback_scan_determinismE0ELb0ELb0ES3_N6thrust23THRUST_200600_302600_NS6detail15normal_iteratorINS9_10device_ptrIxEEEESE_xNS9_4plusIvEExEEDaPvRmT3_T4_T5_mT6_P12ihipStream_tbENKUlT_T0_E_clISt17integral_constantIbLb0EESU_EEDaSP_SQ_EUlSP_E0_NS1_11comp_targetILNS1_3genE9ELNS1_11target_archE1100ELNS1_3gpuE3ELNS1_3repE0EEENS1_30default_config_static_selectorELNS0_4arch9wavefront6targetE1EEEvT1_,@function
_ZN7rocprim17ROCPRIM_400000_NS6detail17trampoline_kernelINS0_14default_configENS1_20scan_config_selectorIxEEZZNS1_9scan_implILNS1_25lookback_scan_determinismE0ELb0ELb0ES3_N6thrust23THRUST_200600_302600_NS6detail15normal_iteratorINS9_10device_ptrIxEEEESE_xNS9_4plusIvEExEEDaPvRmT3_T4_T5_mT6_P12ihipStream_tbENKUlT_T0_E_clISt17integral_constantIbLb0EESU_EEDaSP_SQ_EUlSP_E0_NS1_11comp_targetILNS1_3genE9ELNS1_11target_archE1100ELNS1_3gpuE3ELNS1_3repE0EEENS1_30default_config_static_selectorELNS0_4arch9wavefront6targetE1EEEvT1_: ; @_ZN7rocprim17ROCPRIM_400000_NS6detail17trampoline_kernelINS0_14default_configENS1_20scan_config_selectorIxEEZZNS1_9scan_implILNS1_25lookback_scan_determinismE0ELb0ELb0ES3_N6thrust23THRUST_200600_302600_NS6detail15normal_iteratorINS9_10device_ptrIxEEEESE_xNS9_4plusIvEExEEDaPvRmT3_T4_T5_mT6_P12ihipStream_tbENKUlT_T0_E_clISt17integral_constantIbLb0EESU_EEDaSP_SQ_EUlSP_E0_NS1_11comp_targetILNS1_3genE9ELNS1_11target_archE1100ELNS1_3gpuE3ELNS1_3repE0EEENS1_30default_config_static_selectorELNS0_4arch9wavefront6targetE1EEEvT1_
; %bb.0:
	.section	.rodata,"a",@progbits
	.p2align	6, 0x0
	.amdhsa_kernel _ZN7rocprim17ROCPRIM_400000_NS6detail17trampoline_kernelINS0_14default_configENS1_20scan_config_selectorIxEEZZNS1_9scan_implILNS1_25lookback_scan_determinismE0ELb0ELb0ES3_N6thrust23THRUST_200600_302600_NS6detail15normal_iteratorINS9_10device_ptrIxEEEESE_xNS9_4plusIvEExEEDaPvRmT3_T4_T5_mT6_P12ihipStream_tbENKUlT_T0_E_clISt17integral_constantIbLb0EESU_EEDaSP_SQ_EUlSP_E0_NS1_11comp_targetILNS1_3genE9ELNS1_11target_archE1100ELNS1_3gpuE3ELNS1_3repE0EEENS1_30default_config_static_selectorELNS0_4arch9wavefront6targetE1EEEvT1_
		.amdhsa_group_segment_fixed_size 0
		.amdhsa_private_segment_fixed_size 0
		.amdhsa_kernarg_size 40
		.amdhsa_user_sgpr_count 6
		.amdhsa_user_sgpr_private_segment_buffer 1
		.amdhsa_user_sgpr_dispatch_ptr 0
		.amdhsa_user_sgpr_queue_ptr 0
		.amdhsa_user_sgpr_kernarg_segment_ptr 1
		.amdhsa_user_sgpr_dispatch_id 0
		.amdhsa_user_sgpr_flat_scratch_init 0
		.amdhsa_user_sgpr_kernarg_preload_length 0
		.amdhsa_user_sgpr_kernarg_preload_offset 0
		.amdhsa_user_sgpr_private_segment_size 0
		.amdhsa_uses_dynamic_stack 0
		.amdhsa_system_sgpr_private_segment_wavefront_offset 0
		.amdhsa_system_sgpr_workgroup_id_x 1
		.amdhsa_system_sgpr_workgroup_id_y 0
		.amdhsa_system_sgpr_workgroup_id_z 0
		.amdhsa_system_sgpr_workgroup_info 0
		.amdhsa_system_vgpr_workitem_id 0
		.amdhsa_next_free_vgpr 1
		.amdhsa_next_free_sgpr 0
		.amdhsa_accum_offset 4
		.amdhsa_reserve_vcc 0
		.amdhsa_reserve_flat_scratch 0
		.amdhsa_float_round_mode_32 0
		.amdhsa_float_round_mode_16_64 0
		.amdhsa_float_denorm_mode_32 3
		.amdhsa_float_denorm_mode_16_64 3
		.amdhsa_dx10_clamp 1
		.amdhsa_ieee_mode 1
		.amdhsa_fp16_overflow 0
		.amdhsa_tg_split 0
		.amdhsa_exception_fp_ieee_invalid_op 0
		.amdhsa_exception_fp_denorm_src 0
		.amdhsa_exception_fp_ieee_div_zero 0
		.amdhsa_exception_fp_ieee_overflow 0
		.amdhsa_exception_fp_ieee_underflow 0
		.amdhsa_exception_fp_ieee_inexact 0
		.amdhsa_exception_int_div_zero 0
	.end_amdhsa_kernel
	.section	.text._ZN7rocprim17ROCPRIM_400000_NS6detail17trampoline_kernelINS0_14default_configENS1_20scan_config_selectorIxEEZZNS1_9scan_implILNS1_25lookback_scan_determinismE0ELb0ELb0ES3_N6thrust23THRUST_200600_302600_NS6detail15normal_iteratorINS9_10device_ptrIxEEEESE_xNS9_4plusIvEExEEDaPvRmT3_T4_T5_mT6_P12ihipStream_tbENKUlT_T0_E_clISt17integral_constantIbLb0EESU_EEDaSP_SQ_EUlSP_E0_NS1_11comp_targetILNS1_3genE9ELNS1_11target_archE1100ELNS1_3gpuE3ELNS1_3repE0EEENS1_30default_config_static_selectorELNS0_4arch9wavefront6targetE1EEEvT1_,"axG",@progbits,_ZN7rocprim17ROCPRIM_400000_NS6detail17trampoline_kernelINS0_14default_configENS1_20scan_config_selectorIxEEZZNS1_9scan_implILNS1_25lookback_scan_determinismE0ELb0ELb0ES3_N6thrust23THRUST_200600_302600_NS6detail15normal_iteratorINS9_10device_ptrIxEEEESE_xNS9_4plusIvEExEEDaPvRmT3_T4_T5_mT6_P12ihipStream_tbENKUlT_T0_E_clISt17integral_constantIbLb0EESU_EEDaSP_SQ_EUlSP_E0_NS1_11comp_targetILNS1_3genE9ELNS1_11target_archE1100ELNS1_3gpuE3ELNS1_3repE0EEENS1_30default_config_static_selectorELNS0_4arch9wavefront6targetE1EEEvT1_,comdat
.Lfunc_end28:
	.size	_ZN7rocprim17ROCPRIM_400000_NS6detail17trampoline_kernelINS0_14default_configENS1_20scan_config_selectorIxEEZZNS1_9scan_implILNS1_25lookback_scan_determinismE0ELb0ELb0ES3_N6thrust23THRUST_200600_302600_NS6detail15normal_iteratorINS9_10device_ptrIxEEEESE_xNS9_4plusIvEExEEDaPvRmT3_T4_T5_mT6_P12ihipStream_tbENKUlT_T0_E_clISt17integral_constantIbLb0EESU_EEDaSP_SQ_EUlSP_E0_NS1_11comp_targetILNS1_3genE9ELNS1_11target_archE1100ELNS1_3gpuE3ELNS1_3repE0EEENS1_30default_config_static_selectorELNS0_4arch9wavefront6targetE1EEEvT1_, .Lfunc_end28-_ZN7rocprim17ROCPRIM_400000_NS6detail17trampoline_kernelINS0_14default_configENS1_20scan_config_selectorIxEEZZNS1_9scan_implILNS1_25lookback_scan_determinismE0ELb0ELb0ES3_N6thrust23THRUST_200600_302600_NS6detail15normal_iteratorINS9_10device_ptrIxEEEESE_xNS9_4plusIvEExEEDaPvRmT3_T4_T5_mT6_P12ihipStream_tbENKUlT_T0_E_clISt17integral_constantIbLb0EESU_EEDaSP_SQ_EUlSP_E0_NS1_11comp_targetILNS1_3genE9ELNS1_11target_archE1100ELNS1_3gpuE3ELNS1_3repE0EEENS1_30default_config_static_selectorELNS0_4arch9wavefront6targetE1EEEvT1_
                                        ; -- End function
	.section	.AMDGPU.csdata,"",@progbits
; Kernel info:
; codeLenInByte = 0
; NumSgprs: 4
; NumVgprs: 0
; NumAgprs: 0
; TotalNumVgprs: 0
; ScratchSize: 0
; MemoryBound: 0
; FloatMode: 240
; IeeeMode: 1
; LDSByteSize: 0 bytes/workgroup (compile time only)
; SGPRBlocks: 0
; VGPRBlocks: 0
; NumSGPRsForWavesPerEU: 4
; NumVGPRsForWavesPerEU: 1
; AccumOffset: 4
; Occupancy: 8
; WaveLimiterHint : 0
; COMPUTE_PGM_RSRC2:SCRATCH_EN: 0
; COMPUTE_PGM_RSRC2:USER_SGPR: 6
; COMPUTE_PGM_RSRC2:TRAP_HANDLER: 0
; COMPUTE_PGM_RSRC2:TGID_X_EN: 1
; COMPUTE_PGM_RSRC2:TGID_Y_EN: 0
; COMPUTE_PGM_RSRC2:TGID_Z_EN: 0
; COMPUTE_PGM_RSRC2:TIDIG_COMP_CNT: 0
; COMPUTE_PGM_RSRC3_GFX90A:ACCUM_OFFSET: 0
; COMPUTE_PGM_RSRC3_GFX90A:TG_SPLIT: 0
	.section	.text._ZN7rocprim17ROCPRIM_400000_NS6detail17trampoline_kernelINS0_14default_configENS1_20scan_config_selectorIxEEZZNS1_9scan_implILNS1_25lookback_scan_determinismE0ELb0ELb0ES3_N6thrust23THRUST_200600_302600_NS6detail15normal_iteratorINS9_10device_ptrIxEEEESE_xNS9_4plusIvEExEEDaPvRmT3_T4_T5_mT6_P12ihipStream_tbENKUlT_T0_E_clISt17integral_constantIbLb0EESU_EEDaSP_SQ_EUlSP_E0_NS1_11comp_targetILNS1_3genE8ELNS1_11target_archE1030ELNS1_3gpuE2ELNS1_3repE0EEENS1_30default_config_static_selectorELNS0_4arch9wavefront6targetE1EEEvT1_,"axG",@progbits,_ZN7rocprim17ROCPRIM_400000_NS6detail17trampoline_kernelINS0_14default_configENS1_20scan_config_selectorIxEEZZNS1_9scan_implILNS1_25lookback_scan_determinismE0ELb0ELb0ES3_N6thrust23THRUST_200600_302600_NS6detail15normal_iteratorINS9_10device_ptrIxEEEESE_xNS9_4plusIvEExEEDaPvRmT3_T4_T5_mT6_P12ihipStream_tbENKUlT_T0_E_clISt17integral_constantIbLb0EESU_EEDaSP_SQ_EUlSP_E0_NS1_11comp_targetILNS1_3genE8ELNS1_11target_archE1030ELNS1_3gpuE2ELNS1_3repE0EEENS1_30default_config_static_selectorELNS0_4arch9wavefront6targetE1EEEvT1_,comdat
	.protected	_ZN7rocprim17ROCPRIM_400000_NS6detail17trampoline_kernelINS0_14default_configENS1_20scan_config_selectorIxEEZZNS1_9scan_implILNS1_25lookback_scan_determinismE0ELb0ELb0ES3_N6thrust23THRUST_200600_302600_NS6detail15normal_iteratorINS9_10device_ptrIxEEEESE_xNS9_4plusIvEExEEDaPvRmT3_T4_T5_mT6_P12ihipStream_tbENKUlT_T0_E_clISt17integral_constantIbLb0EESU_EEDaSP_SQ_EUlSP_E0_NS1_11comp_targetILNS1_3genE8ELNS1_11target_archE1030ELNS1_3gpuE2ELNS1_3repE0EEENS1_30default_config_static_selectorELNS0_4arch9wavefront6targetE1EEEvT1_ ; -- Begin function _ZN7rocprim17ROCPRIM_400000_NS6detail17trampoline_kernelINS0_14default_configENS1_20scan_config_selectorIxEEZZNS1_9scan_implILNS1_25lookback_scan_determinismE0ELb0ELb0ES3_N6thrust23THRUST_200600_302600_NS6detail15normal_iteratorINS9_10device_ptrIxEEEESE_xNS9_4plusIvEExEEDaPvRmT3_T4_T5_mT6_P12ihipStream_tbENKUlT_T0_E_clISt17integral_constantIbLb0EESU_EEDaSP_SQ_EUlSP_E0_NS1_11comp_targetILNS1_3genE8ELNS1_11target_archE1030ELNS1_3gpuE2ELNS1_3repE0EEENS1_30default_config_static_selectorELNS0_4arch9wavefront6targetE1EEEvT1_
	.globl	_ZN7rocprim17ROCPRIM_400000_NS6detail17trampoline_kernelINS0_14default_configENS1_20scan_config_selectorIxEEZZNS1_9scan_implILNS1_25lookback_scan_determinismE0ELb0ELb0ES3_N6thrust23THRUST_200600_302600_NS6detail15normal_iteratorINS9_10device_ptrIxEEEESE_xNS9_4plusIvEExEEDaPvRmT3_T4_T5_mT6_P12ihipStream_tbENKUlT_T0_E_clISt17integral_constantIbLb0EESU_EEDaSP_SQ_EUlSP_E0_NS1_11comp_targetILNS1_3genE8ELNS1_11target_archE1030ELNS1_3gpuE2ELNS1_3repE0EEENS1_30default_config_static_selectorELNS0_4arch9wavefront6targetE1EEEvT1_
	.p2align	8
	.type	_ZN7rocprim17ROCPRIM_400000_NS6detail17trampoline_kernelINS0_14default_configENS1_20scan_config_selectorIxEEZZNS1_9scan_implILNS1_25lookback_scan_determinismE0ELb0ELb0ES3_N6thrust23THRUST_200600_302600_NS6detail15normal_iteratorINS9_10device_ptrIxEEEESE_xNS9_4plusIvEExEEDaPvRmT3_T4_T5_mT6_P12ihipStream_tbENKUlT_T0_E_clISt17integral_constantIbLb0EESU_EEDaSP_SQ_EUlSP_E0_NS1_11comp_targetILNS1_3genE8ELNS1_11target_archE1030ELNS1_3gpuE2ELNS1_3repE0EEENS1_30default_config_static_selectorELNS0_4arch9wavefront6targetE1EEEvT1_,@function
_ZN7rocprim17ROCPRIM_400000_NS6detail17trampoline_kernelINS0_14default_configENS1_20scan_config_selectorIxEEZZNS1_9scan_implILNS1_25lookback_scan_determinismE0ELb0ELb0ES3_N6thrust23THRUST_200600_302600_NS6detail15normal_iteratorINS9_10device_ptrIxEEEESE_xNS9_4plusIvEExEEDaPvRmT3_T4_T5_mT6_P12ihipStream_tbENKUlT_T0_E_clISt17integral_constantIbLb0EESU_EEDaSP_SQ_EUlSP_E0_NS1_11comp_targetILNS1_3genE8ELNS1_11target_archE1030ELNS1_3gpuE2ELNS1_3repE0EEENS1_30default_config_static_selectorELNS0_4arch9wavefront6targetE1EEEvT1_: ; @_ZN7rocprim17ROCPRIM_400000_NS6detail17trampoline_kernelINS0_14default_configENS1_20scan_config_selectorIxEEZZNS1_9scan_implILNS1_25lookback_scan_determinismE0ELb0ELb0ES3_N6thrust23THRUST_200600_302600_NS6detail15normal_iteratorINS9_10device_ptrIxEEEESE_xNS9_4plusIvEExEEDaPvRmT3_T4_T5_mT6_P12ihipStream_tbENKUlT_T0_E_clISt17integral_constantIbLb0EESU_EEDaSP_SQ_EUlSP_E0_NS1_11comp_targetILNS1_3genE8ELNS1_11target_archE1030ELNS1_3gpuE2ELNS1_3repE0EEENS1_30default_config_static_selectorELNS0_4arch9wavefront6targetE1EEEvT1_
; %bb.0:
	.section	.rodata,"a",@progbits
	.p2align	6, 0x0
	.amdhsa_kernel _ZN7rocprim17ROCPRIM_400000_NS6detail17trampoline_kernelINS0_14default_configENS1_20scan_config_selectorIxEEZZNS1_9scan_implILNS1_25lookback_scan_determinismE0ELb0ELb0ES3_N6thrust23THRUST_200600_302600_NS6detail15normal_iteratorINS9_10device_ptrIxEEEESE_xNS9_4plusIvEExEEDaPvRmT3_T4_T5_mT6_P12ihipStream_tbENKUlT_T0_E_clISt17integral_constantIbLb0EESU_EEDaSP_SQ_EUlSP_E0_NS1_11comp_targetILNS1_3genE8ELNS1_11target_archE1030ELNS1_3gpuE2ELNS1_3repE0EEENS1_30default_config_static_selectorELNS0_4arch9wavefront6targetE1EEEvT1_
		.amdhsa_group_segment_fixed_size 0
		.amdhsa_private_segment_fixed_size 0
		.amdhsa_kernarg_size 40
		.amdhsa_user_sgpr_count 6
		.amdhsa_user_sgpr_private_segment_buffer 1
		.amdhsa_user_sgpr_dispatch_ptr 0
		.amdhsa_user_sgpr_queue_ptr 0
		.amdhsa_user_sgpr_kernarg_segment_ptr 1
		.amdhsa_user_sgpr_dispatch_id 0
		.amdhsa_user_sgpr_flat_scratch_init 0
		.amdhsa_user_sgpr_kernarg_preload_length 0
		.amdhsa_user_sgpr_kernarg_preload_offset 0
		.amdhsa_user_sgpr_private_segment_size 0
		.amdhsa_uses_dynamic_stack 0
		.amdhsa_system_sgpr_private_segment_wavefront_offset 0
		.amdhsa_system_sgpr_workgroup_id_x 1
		.amdhsa_system_sgpr_workgroup_id_y 0
		.amdhsa_system_sgpr_workgroup_id_z 0
		.amdhsa_system_sgpr_workgroup_info 0
		.amdhsa_system_vgpr_workitem_id 0
		.amdhsa_next_free_vgpr 1
		.amdhsa_next_free_sgpr 0
		.amdhsa_accum_offset 4
		.amdhsa_reserve_vcc 0
		.amdhsa_reserve_flat_scratch 0
		.amdhsa_float_round_mode_32 0
		.amdhsa_float_round_mode_16_64 0
		.amdhsa_float_denorm_mode_32 3
		.amdhsa_float_denorm_mode_16_64 3
		.amdhsa_dx10_clamp 1
		.amdhsa_ieee_mode 1
		.amdhsa_fp16_overflow 0
		.amdhsa_tg_split 0
		.amdhsa_exception_fp_ieee_invalid_op 0
		.amdhsa_exception_fp_denorm_src 0
		.amdhsa_exception_fp_ieee_div_zero 0
		.amdhsa_exception_fp_ieee_overflow 0
		.amdhsa_exception_fp_ieee_underflow 0
		.amdhsa_exception_fp_ieee_inexact 0
		.amdhsa_exception_int_div_zero 0
	.end_amdhsa_kernel
	.section	.text._ZN7rocprim17ROCPRIM_400000_NS6detail17trampoline_kernelINS0_14default_configENS1_20scan_config_selectorIxEEZZNS1_9scan_implILNS1_25lookback_scan_determinismE0ELb0ELb0ES3_N6thrust23THRUST_200600_302600_NS6detail15normal_iteratorINS9_10device_ptrIxEEEESE_xNS9_4plusIvEExEEDaPvRmT3_T4_T5_mT6_P12ihipStream_tbENKUlT_T0_E_clISt17integral_constantIbLb0EESU_EEDaSP_SQ_EUlSP_E0_NS1_11comp_targetILNS1_3genE8ELNS1_11target_archE1030ELNS1_3gpuE2ELNS1_3repE0EEENS1_30default_config_static_selectorELNS0_4arch9wavefront6targetE1EEEvT1_,"axG",@progbits,_ZN7rocprim17ROCPRIM_400000_NS6detail17trampoline_kernelINS0_14default_configENS1_20scan_config_selectorIxEEZZNS1_9scan_implILNS1_25lookback_scan_determinismE0ELb0ELb0ES3_N6thrust23THRUST_200600_302600_NS6detail15normal_iteratorINS9_10device_ptrIxEEEESE_xNS9_4plusIvEExEEDaPvRmT3_T4_T5_mT6_P12ihipStream_tbENKUlT_T0_E_clISt17integral_constantIbLb0EESU_EEDaSP_SQ_EUlSP_E0_NS1_11comp_targetILNS1_3genE8ELNS1_11target_archE1030ELNS1_3gpuE2ELNS1_3repE0EEENS1_30default_config_static_selectorELNS0_4arch9wavefront6targetE1EEEvT1_,comdat
.Lfunc_end29:
	.size	_ZN7rocprim17ROCPRIM_400000_NS6detail17trampoline_kernelINS0_14default_configENS1_20scan_config_selectorIxEEZZNS1_9scan_implILNS1_25lookback_scan_determinismE0ELb0ELb0ES3_N6thrust23THRUST_200600_302600_NS6detail15normal_iteratorINS9_10device_ptrIxEEEESE_xNS9_4plusIvEExEEDaPvRmT3_T4_T5_mT6_P12ihipStream_tbENKUlT_T0_E_clISt17integral_constantIbLb0EESU_EEDaSP_SQ_EUlSP_E0_NS1_11comp_targetILNS1_3genE8ELNS1_11target_archE1030ELNS1_3gpuE2ELNS1_3repE0EEENS1_30default_config_static_selectorELNS0_4arch9wavefront6targetE1EEEvT1_, .Lfunc_end29-_ZN7rocprim17ROCPRIM_400000_NS6detail17trampoline_kernelINS0_14default_configENS1_20scan_config_selectorIxEEZZNS1_9scan_implILNS1_25lookback_scan_determinismE0ELb0ELb0ES3_N6thrust23THRUST_200600_302600_NS6detail15normal_iteratorINS9_10device_ptrIxEEEESE_xNS9_4plusIvEExEEDaPvRmT3_T4_T5_mT6_P12ihipStream_tbENKUlT_T0_E_clISt17integral_constantIbLb0EESU_EEDaSP_SQ_EUlSP_E0_NS1_11comp_targetILNS1_3genE8ELNS1_11target_archE1030ELNS1_3gpuE2ELNS1_3repE0EEENS1_30default_config_static_selectorELNS0_4arch9wavefront6targetE1EEEvT1_
                                        ; -- End function
	.section	.AMDGPU.csdata,"",@progbits
; Kernel info:
; codeLenInByte = 0
; NumSgprs: 4
; NumVgprs: 0
; NumAgprs: 0
; TotalNumVgprs: 0
; ScratchSize: 0
; MemoryBound: 0
; FloatMode: 240
; IeeeMode: 1
; LDSByteSize: 0 bytes/workgroup (compile time only)
; SGPRBlocks: 0
; VGPRBlocks: 0
; NumSGPRsForWavesPerEU: 4
; NumVGPRsForWavesPerEU: 1
; AccumOffset: 4
; Occupancy: 8
; WaveLimiterHint : 0
; COMPUTE_PGM_RSRC2:SCRATCH_EN: 0
; COMPUTE_PGM_RSRC2:USER_SGPR: 6
; COMPUTE_PGM_RSRC2:TRAP_HANDLER: 0
; COMPUTE_PGM_RSRC2:TGID_X_EN: 1
; COMPUTE_PGM_RSRC2:TGID_Y_EN: 0
; COMPUTE_PGM_RSRC2:TGID_Z_EN: 0
; COMPUTE_PGM_RSRC2:TIDIG_COMP_CNT: 0
; COMPUTE_PGM_RSRC3_GFX90A:ACCUM_OFFSET: 0
; COMPUTE_PGM_RSRC3_GFX90A:TG_SPLIT: 0
	.section	.text._ZN7rocprim17ROCPRIM_400000_NS6detail31init_lookback_scan_state_kernelINS1_19lookback_scan_stateIxLb1ELb1EEENS1_16block_id_wrapperIjLb1EEEEEvT_jT0_jPNS7_10value_typeE,"axG",@progbits,_ZN7rocprim17ROCPRIM_400000_NS6detail31init_lookback_scan_state_kernelINS1_19lookback_scan_stateIxLb1ELb1EEENS1_16block_id_wrapperIjLb1EEEEEvT_jT0_jPNS7_10value_typeE,comdat
	.protected	_ZN7rocprim17ROCPRIM_400000_NS6detail31init_lookback_scan_state_kernelINS1_19lookback_scan_stateIxLb1ELb1EEENS1_16block_id_wrapperIjLb1EEEEEvT_jT0_jPNS7_10value_typeE ; -- Begin function _ZN7rocprim17ROCPRIM_400000_NS6detail31init_lookback_scan_state_kernelINS1_19lookback_scan_stateIxLb1ELb1EEENS1_16block_id_wrapperIjLb1EEEEEvT_jT0_jPNS7_10value_typeE
	.globl	_ZN7rocprim17ROCPRIM_400000_NS6detail31init_lookback_scan_state_kernelINS1_19lookback_scan_stateIxLb1ELb1EEENS1_16block_id_wrapperIjLb1EEEEEvT_jT0_jPNS7_10value_typeE
	.p2align	8
	.type	_ZN7rocprim17ROCPRIM_400000_NS6detail31init_lookback_scan_state_kernelINS1_19lookback_scan_stateIxLb1ELb1EEENS1_16block_id_wrapperIjLb1EEEEEvT_jT0_jPNS7_10value_typeE,@function
_ZN7rocprim17ROCPRIM_400000_NS6detail31init_lookback_scan_state_kernelINS1_19lookback_scan_stateIxLb1ELb1EEENS1_16block_id_wrapperIjLb1EEEEEvT_jT0_jPNS7_10value_typeE: ; @_ZN7rocprim17ROCPRIM_400000_NS6detail31init_lookback_scan_state_kernelINS1_19lookback_scan_stateIxLb1ELb1EEENS1_16block_id_wrapperIjLb1EEEEEvT_jT0_jPNS7_10value_typeE
; %bb.0:
	s_load_dword s7, s[4:5], 0x34
	s_load_dwordx2 s[2:3], s[4:5], 0x20
	s_load_dwordx2 s[0:1], s[4:5], 0x0
	s_load_dword s14, s[4:5], 0x8
	s_waitcnt lgkmcnt(0)
	s_and_b32 s7, s7, 0xffff
	s_mul_i32 s6, s6, s7
	s_cmp_eq_u64 s[2:3], 0
	v_add_u32_e32 v0, s6, v0
	s_cbranch_scc1 .LBB30_10
; %bb.1:
	s_load_dword s8, s[4:5], 0x18
	s_mov_b32 s9, 0
	s_waitcnt lgkmcnt(0)
	s_cmp_lt_u32 s8, s14
	s_cselect_b32 s6, s8, 0
	v_cmp_eq_u32_e32 vcc, s6, v0
	s_and_saveexec_b64 s[6:7], vcc
	s_cbranch_execz .LBB30_9
; %bb.2:
	s_add_i32 s8, s8, 64
	s_lshl_b64 s[8:9], s[8:9], 4
	s_add_u32 s12, s0, s8
	s_addc_u32 s13, s1, s9
	v_pk_mov_b32 v[2:3], s[12:13], s[12:13] op_sel:[0,1]
	;;#ASMSTART
	global_load_dwordx4 v[2:5], v[2:3] off glc	
s_waitcnt vmcnt(0)
	;;#ASMEND
	v_mov_b32_e32 v7, 0
	v_and_b32_e32 v6, 0xff, v4
	s_mov_b64 s[10:11], 0
	v_cmp_eq_u64_e32 vcc, 0, v[6:7]
	s_and_saveexec_b64 s[8:9], vcc
	s_cbranch_execz .LBB30_8
; %bb.3:
	s_mov_b32 s15, 1
	v_pk_mov_b32 v[8:9], s[12:13], s[12:13] op_sel:[0,1]
.LBB30_4:                               ; =>This Loop Header: Depth=1
                                        ;     Child Loop BB30_5 Depth 2
	s_max_u32 s12, s15, 1
.LBB30_5:                               ;   Parent Loop BB30_4 Depth=1
                                        ; =>  This Inner Loop Header: Depth=2
	s_add_i32 s12, s12, -1
	s_cmp_eq_u32 s12, 0
	s_sleep 1
	s_cbranch_scc0 .LBB30_5
; %bb.6:                                ;   in Loop: Header=BB30_4 Depth=1
	s_cmp_lt_u32 s15, 32
	s_cselect_b64 s[12:13], -1, 0
	s_cmp_lg_u64 s[12:13], 0
	;;#ASMSTART
	global_load_dwordx4 v[2:5], v[8:9] off glc	
s_waitcnt vmcnt(0)
	;;#ASMEND
	v_and_b32_e32 v6, 0xff, v4
	s_addc_u32 s15, s15, 0
	v_cmp_ne_u64_e32 vcc, 0, v[6:7]
	s_or_b64 s[10:11], vcc, s[10:11]
	s_andn2_b64 exec, exec, s[10:11]
	s_cbranch_execnz .LBB30_4
; %bb.7:
	s_or_b64 exec, exec, s[10:11]
.LBB30_8:
	s_or_b64 exec, exec, s[8:9]
	v_mov_b32_e32 v1, 0
	global_store_dwordx2 v1, v[2:3], s[2:3]
.LBB30_9:
	s_or_b64 exec, exec, s[6:7]
.LBB30_10:
	v_cmp_eq_u32_e32 vcc, 0, v0
	s_and_saveexec_b64 s[2:3], vcc
	s_cbranch_execnz .LBB30_14
; %bb.11:
	s_or_b64 exec, exec, s[2:3]
	v_cmp_gt_u32_e32 vcc, s14, v0
	s_and_saveexec_b64 s[2:3], vcc
	s_cbranch_execnz .LBB30_15
.LBB30_12:
	s_or_b64 exec, exec, s[2:3]
	v_cmp_gt_u32_e32 vcc, 64, v0
	s_and_saveexec_b64 s[2:3], vcc
	s_cbranch_execnz .LBB30_16
.LBB30_13:
	s_endpgm
.LBB30_14:
	s_load_dwordx2 s[4:5], s[4:5], 0x10
	v_mov_b32_e32 v1, 0
	s_waitcnt lgkmcnt(0)
	global_store_dword v1, v1, s[4:5]
	s_or_b64 exec, exec, s[2:3]
	v_cmp_gt_u32_e32 vcc, s14, v0
	s_and_saveexec_b64 s[2:3], vcc
	s_cbranch_execz .LBB30_12
.LBB30_15:
	v_add_u32_e32 v2, 64, v0
	v_mov_b32_e32 v3, 0
	v_lshlrev_b64 v[4:5], 4, v[2:3]
	v_mov_b32_e32 v1, s1
	v_add_co_u32_e32 v6, vcc, s0, v4
	v_addc_co_u32_e32 v7, vcc, v1, v5, vcc
	v_mov_b32_e32 v2, v3
	v_mov_b32_e32 v4, v3
	;; [unrolled: 1-line block ×3, first 2 shown]
	global_store_dwordx4 v[6:7], v[2:5], off
	s_or_b64 exec, exec, s[2:3]
	v_cmp_gt_u32_e32 vcc, 64, v0
	s_and_saveexec_b64 s[2:3], vcc
	s_cbranch_execz .LBB30_13
.LBB30_16:
	v_mov_b32_e32 v1, 0
	v_lshlrev_b64 v[2:3], 4, v[0:1]
	v_mov_b32_e32 v0, s1
	v_add_co_u32_e32 v4, vcc, s0, v2
	v_addc_co_u32_e32 v5, vcc, v0, v3, vcc
	v_mov_b32_e32 v2, 0xff
	v_mov_b32_e32 v0, v1
	;; [unrolled: 1-line block ×3, first 2 shown]
	global_store_dwordx4 v[4:5], v[0:3], off
	s_endpgm
	.section	.rodata,"a",@progbits
	.p2align	6, 0x0
	.amdhsa_kernel _ZN7rocprim17ROCPRIM_400000_NS6detail31init_lookback_scan_state_kernelINS1_19lookback_scan_stateIxLb1ELb1EEENS1_16block_id_wrapperIjLb1EEEEEvT_jT0_jPNS7_10value_typeE
		.amdhsa_group_segment_fixed_size 0
		.amdhsa_private_segment_fixed_size 0
		.amdhsa_kernarg_size 296
		.amdhsa_user_sgpr_count 6
		.amdhsa_user_sgpr_private_segment_buffer 1
		.amdhsa_user_sgpr_dispatch_ptr 0
		.amdhsa_user_sgpr_queue_ptr 0
		.amdhsa_user_sgpr_kernarg_segment_ptr 1
		.amdhsa_user_sgpr_dispatch_id 0
		.amdhsa_user_sgpr_flat_scratch_init 0
		.amdhsa_user_sgpr_kernarg_preload_length 0
		.amdhsa_user_sgpr_kernarg_preload_offset 0
		.amdhsa_user_sgpr_private_segment_size 0
		.amdhsa_uses_dynamic_stack 0
		.amdhsa_system_sgpr_private_segment_wavefront_offset 0
		.amdhsa_system_sgpr_workgroup_id_x 1
		.amdhsa_system_sgpr_workgroup_id_y 0
		.amdhsa_system_sgpr_workgroup_id_z 0
		.amdhsa_system_sgpr_workgroup_info 0
		.amdhsa_system_vgpr_workitem_id 0
		.amdhsa_next_free_vgpr 10
		.amdhsa_next_free_sgpr 16
		.amdhsa_accum_offset 12
		.amdhsa_reserve_vcc 1
		.amdhsa_reserve_flat_scratch 0
		.amdhsa_float_round_mode_32 0
		.amdhsa_float_round_mode_16_64 0
		.amdhsa_float_denorm_mode_32 3
		.amdhsa_float_denorm_mode_16_64 3
		.amdhsa_dx10_clamp 1
		.amdhsa_ieee_mode 1
		.amdhsa_fp16_overflow 0
		.amdhsa_tg_split 0
		.amdhsa_exception_fp_ieee_invalid_op 0
		.amdhsa_exception_fp_denorm_src 0
		.amdhsa_exception_fp_ieee_div_zero 0
		.amdhsa_exception_fp_ieee_overflow 0
		.amdhsa_exception_fp_ieee_underflow 0
		.amdhsa_exception_fp_ieee_inexact 0
		.amdhsa_exception_int_div_zero 0
	.end_amdhsa_kernel
	.section	.text._ZN7rocprim17ROCPRIM_400000_NS6detail31init_lookback_scan_state_kernelINS1_19lookback_scan_stateIxLb1ELb1EEENS1_16block_id_wrapperIjLb1EEEEEvT_jT0_jPNS7_10value_typeE,"axG",@progbits,_ZN7rocprim17ROCPRIM_400000_NS6detail31init_lookback_scan_state_kernelINS1_19lookback_scan_stateIxLb1ELb1EEENS1_16block_id_wrapperIjLb1EEEEEvT_jT0_jPNS7_10value_typeE,comdat
.Lfunc_end30:
	.size	_ZN7rocprim17ROCPRIM_400000_NS6detail31init_lookback_scan_state_kernelINS1_19lookback_scan_stateIxLb1ELb1EEENS1_16block_id_wrapperIjLb1EEEEEvT_jT0_jPNS7_10value_typeE, .Lfunc_end30-_ZN7rocprim17ROCPRIM_400000_NS6detail31init_lookback_scan_state_kernelINS1_19lookback_scan_stateIxLb1ELb1EEENS1_16block_id_wrapperIjLb1EEEEEvT_jT0_jPNS7_10value_typeE
                                        ; -- End function
	.section	.AMDGPU.csdata,"",@progbits
; Kernel info:
; codeLenInByte = 480
; NumSgprs: 20
; NumVgprs: 10
; NumAgprs: 0
; TotalNumVgprs: 10
; ScratchSize: 0
; MemoryBound: 0
; FloatMode: 240
; IeeeMode: 1
; LDSByteSize: 0 bytes/workgroup (compile time only)
; SGPRBlocks: 2
; VGPRBlocks: 1
; NumSGPRsForWavesPerEU: 20
; NumVGPRsForWavesPerEU: 10
; AccumOffset: 12
; Occupancy: 8
; WaveLimiterHint : 0
; COMPUTE_PGM_RSRC2:SCRATCH_EN: 0
; COMPUTE_PGM_RSRC2:USER_SGPR: 6
; COMPUTE_PGM_RSRC2:TRAP_HANDLER: 0
; COMPUTE_PGM_RSRC2:TGID_X_EN: 1
; COMPUTE_PGM_RSRC2:TGID_Y_EN: 0
; COMPUTE_PGM_RSRC2:TGID_Z_EN: 0
; COMPUTE_PGM_RSRC2:TIDIG_COMP_CNT: 0
; COMPUTE_PGM_RSRC3_GFX90A:ACCUM_OFFSET: 2
; COMPUTE_PGM_RSRC3_GFX90A:TG_SPLIT: 0
	.section	.text._ZN7rocprim17ROCPRIM_400000_NS6detail17trampoline_kernelINS0_14default_configENS1_20scan_config_selectorIxEEZZNS1_9scan_implILNS1_25lookback_scan_determinismE0ELb0ELb0ES3_N6thrust23THRUST_200600_302600_NS6detail15normal_iteratorINS9_10device_ptrIxEEEESE_xNS9_4plusIvEExEEDaPvRmT3_T4_T5_mT6_P12ihipStream_tbENKUlT_T0_E_clISt17integral_constantIbLb1EESU_EEDaSP_SQ_EUlSP_E_NS1_11comp_targetILNS1_3genE0ELNS1_11target_archE4294967295ELNS1_3gpuE0ELNS1_3repE0EEENS1_30default_config_static_selectorELNS0_4arch9wavefront6targetE1EEEvT1_,"axG",@progbits,_ZN7rocprim17ROCPRIM_400000_NS6detail17trampoline_kernelINS0_14default_configENS1_20scan_config_selectorIxEEZZNS1_9scan_implILNS1_25lookback_scan_determinismE0ELb0ELb0ES3_N6thrust23THRUST_200600_302600_NS6detail15normal_iteratorINS9_10device_ptrIxEEEESE_xNS9_4plusIvEExEEDaPvRmT3_T4_T5_mT6_P12ihipStream_tbENKUlT_T0_E_clISt17integral_constantIbLb1EESU_EEDaSP_SQ_EUlSP_E_NS1_11comp_targetILNS1_3genE0ELNS1_11target_archE4294967295ELNS1_3gpuE0ELNS1_3repE0EEENS1_30default_config_static_selectorELNS0_4arch9wavefront6targetE1EEEvT1_,comdat
	.protected	_ZN7rocprim17ROCPRIM_400000_NS6detail17trampoline_kernelINS0_14default_configENS1_20scan_config_selectorIxEEZZNS1_9scan_implILNS1_25lookback_scan_determinismE0ELb0ELb0ES3_N6thrust23THRUST_200600_302600_NS6detail15normal_iteratorINS9_10device_ptrIxEEEESE_xNS9_4plusIvEExEEDaPvRmT3_T4_T5_mT6_P12ihipStream_tbENKUlT_T0_E_clISt17integral_constantIbLb1EESU_EEDaSP_SQ_EUlSP_E_NS1_11comp_targetILNS1_3genE0ELNS1_11target_archE4294967295ELNS1_3gpuE0ELNS1_3repE0EEENS1_30default_config_static_selectorELNS0_4arch9wavefront6targetE1EEEvT1_ ; -- Begin function _ZN7rocprim17ROCPRIM_400000_NS6detail17trampoline_kernelINS0_14default_configENS1_20scan_config_selectorIxEEZZNS1_9scan_implILNS1_25lookback_scan_determinismE0ELb0ELb0ES3_N6thrust23THRUST_200600_302600_NS6detail15normal_iteratorINS9_10device_ptrIxEEEESE_xNS9_4plusIvEExEEDaPvRmT3_T4_T5_mT6_P12ihipStream_tbENKUlT_T0_E_clISt17integral_constantIbLb1EESU_EEDaSP_SQ_EUlSP_E_NS1_11comp_targetILNS1_3genE0ELNS1_11target_archE4294967295ELNS1_3gpuE0ELNS1_3repE0EEENS1_30default_config_static_selectorELNS0_4arch9wavefront6targetE1EEEvT1_
	.globl	_ZN7rocprim17ROCPRIM_400000_NS6detail17trampoline_kernelINS0_14default_configENS1_20scan_config_selectorIxEEZZNS1_9scan_implILNS1_25lookback_scan_determinismE0ELb0ELb0ES3_N6thrust23THRUST_200600_302600_NS6detail15normal_iteratorINS9_10device_ptrIxEEEESE_xNS9_4plusIvEExEEDaPvRmT3_T4_T5_mT6_P12ihipStream_tbENKUlT_T0_E_clISt17integral_constantIbLb1EESU_EEDaSP_SQ_EUlSP_E_NS1_11comp_targetILNS1_3genE0ELNS1_11target_archE4294967295ELNS1_3gpuE0ELNS1_3repE0EEENS1_30default_config_static_selectorELNS0_4arch9wavefront6targetE1EEEvT1_
	.p2align	8
	.type	_ZN7rocprim17ROCPRIM_400000_NS6detail17trampoline_kernelINS0_14default_configENS1_20scan_config_selectorIxEEZZNS1_9scan_implILNS1_25lookback_scan_determinismE0ELb0ELb0ES3_N6thrust23THRUST_200600_302600_NS6detail15normal_iteratorINS9_10device_ptrIxEEEESE_xNS9_4plusIvEExEEDaPvRmT3_T4_T5_mT6_P12ihipStream_tbENKUlT_T0_E_clISt17integral_constantIbLb1EESU_EEDaSP_SQ_EUlSP_E_NS1_11comp_targetILNS1_3genE0ELNS1_11target_archE4294967295ELNS1_3gpuE0ELNS1_3repE0EEENS1_30default_config_static_selectorELNS0_4arch9wavefront6targetE1EEEvT1_,@function
_ZN7rocprim17ROCPRIM_400000_NS6detail17trampoline_kernelINS0_14default_configENS1_20scan_config_selectorIxEEZZNS1_9scan_implILNS1_25lookback_scan_determinismE0ELb0ELb0ES3_N6thrust23THRUST_200600_302600_NS6detail15normal_iteratorINS9_10device_ptrIxEEEESE_xNS9_4plusIvEExEEDaPvRmT3_T4_T5_mT6_P12ihipStream_tbENKUlT_T0_E_clISt17integral_constantIbLb1EESU_EEDaSP_SQ_EUlSP_E_NS1_11comp_targetILNS1_3genE0ELNS1_11target_archE4294967295ELNS1_3gpuE0ELNS1_3repE0EEENS1_30default_config_static_selectorELNS0_4arch9wavefront6targetE1EEEvT1_: ; @_ZN7rocprim17ROCPRIM_400000_NS6detail17trampoline_kernelINS0_14default_configENS1_20scan_config_selectorIxEEZZNS1_9scan_implILNS1_25lookback_scan_determinismE0ELb0ELb0ES3_N6thrust23THRUST_200600_302600_NS6detail15normal_iteratorINS9_10device_ptrIxEEEESE_xNS9_4plusIvEExEEDaPvRmT3_T4_T5_mT6_P12ihipStream_tbENKUlT_T0_E_clISt17integral_constantIbLb1EESU_EEDaSP_SQ_EUlSP_E_NS1_11comp_targetILNS1_3genE0ELNS1_11target_archE4294967295ELNS1_3gpuE0ELNS1_3repE0EEENS1_30default_config_static_selectorELNS0_4arch9wavefront6targetE1EEEvT1_
; %bb.0:
	.section	.rodata,"a",@progbits
	.p2align	6, 0x0
	.amdhsa_kernel _ZN7rocprim17ROCPRIM_400000_NS6detail17trampoline_kernelINS0_14default_configENS1_20scan_config_selectorIxEEZZNS1_9scan_implILNS1_25lookback_scan_determinismE0ELb0ELb0ES3_N6thrust23THRUST_200600_302600_NS6detail15normal_iteratorINS9_10device_ptrIxEEEESE_xNS9_4plusIvEExEEDaPvRmT3_T4_T5_mT6_P12ihipStream_tbENKUlT_T0_E_clISt17integral_constantIbLb1EESU_EEDaSP_SQ_EUlSP_E_NS1_11comp_targetILNS1_3genE0ELNS1_11target_archE4294967295ELNS1_3gpuE0ELNS1_3repE0EEENS1_30default_config_static_selectorELNS0_4arch9wavefront6targetE1EEEvT1_
		.amdhsa_group_segment_fixed_size 0
		.amdhsa_private_segment_fixed_size 0
		.amdhsa_kernarg_size 104
		.amdhsa_user_sgpr_count 6
		.amdhsa_user_sgpr_private_segment_buffer 1
		.amdhsa_user_sgpr_dispatch_ptr 0
		.amdhsa_user_sgpr_queue_ptr 0
		.amdhsa_user_sgpr_kernarg_segment_ptr 1
		.amdhsa_user_sgpr_dispatch_id 0
		.amdhsa_user_sgpr_flat_scratch_init 0
		.amdhsa_user_sgpr_kernarg_preload_length 0
		.amdhsa_user_sgpr_kernarg_preload_offset 0
		.amdhsa_user_sgpr_private_segment_size 0
		.amdhsa_uses_dynamic_stack 0
		.amdhsa_system_sgpr_private_segment_wavefront_offset 0
		.amdhsa_system_sgpr_workgroup_id_x 1
		.amdhsa_system_sgpr_workgroup_id_y 0
		.amdhsa_system_sgpr_workgroup_id_z 0
		.amdhsa_system_sgpr_workgroup_info 0
		.amdhsa_system_vgpr_workitem_id 0
		.amdhsa_next_free_vgpr 1
		.amdhsa_next_free_sgpr 0
		.amdhsa_accum_offset 4
		.amdhsa_reserve_vcc 0
		.amdhsa_reserve_flat_scratch 0
		.amdhsa_float_round_mode_32 0
		.amdhsa_float_round_mode_16_64 0
		.amdhsa_float_denorm_mode_32 3
		.amdhsa_float_denorm_mode_16_64 3
		.amdhsa_dx10_clamp 1
		.amdhsa_ieee_mode 1
		.amdhsa_fp16_overflow 0
		.amdhsa_tg_split 0
		.amdhsa_exception_fp_ieee_invalid_op 0
		.amdhsa_exception_fp_denorm_src 0
		.amdhsa_exception_fp_ieee_div_zero 0
		.amdhsa_exception_fp_ieee_overflow 0
		.amdhsa_exception_fp_ieee_underflow 0
		.amdhsa_exception_fp_ieee_inexact 0
		.amdhsa_exception_int_div_zero 0
	.end_amdhsa_kernel
	.section	.text._ZN7rocprim17ROCPRIM_400000_NS6detail17trampoline_kernelINS0_14default_configENS1_20scan_config_selectorIxEEZZNS1_9scan_implILNS1_25lookback_scan_determinismE0ELb0ELb0ES3_N6thrust23THRUST_200600_302600_NS6detail15normal_iteratorINS9_10device_ptrIxEEEESE_xNS9_4plusIvEExEEDaPvRmT3_T4_T5_mT6_P12ihipStream_tbENKUlT_T0_E_clISt17integral_constantIbLb1EESU_EEDaSP_SQ_EUlSP_E_NS1_11comp_targetILNS1_3genE0ELNS1_11target_archE4294967295ELNS1_3gpuE0ELNS1_3repE0EEENS1_30default_config_static_selectorELNS0_4arch9wavefront6targetE1EEEvT1_,"axG",@progbits,_ZN7rocprim17ROCPRIM_400000_NS6detail17trampoline_kernelINS0_14default_configENS1_20scan_config_selectorIxEEZZNS1_9scan_implILNS1_25lookback_scan_determinismE0ELb0ELb0ES3_N6thrust23THRUST_200600_302600_NS6detail15normal_iteratorINS9_10device_ptrIxEEEESE_xNS9_4plusIvEExEEDaPvRmT3_T4_T5_mT6_P12ihipStream_tbENKUlT_T0_E_clISt17integral_constantIbLb1EESU_EEDaSP_SQ_EUlSP_E_NS1_11comp_targetILNS1_3genE0ELNS1_11target_archE4294967295ELNS1_3gpuE0ELNS1_3repE0EEENS1_30default_config_static_selectorELNS0_4arch9wavefront6targetE1EEEvT1_,comdat
.Lfunc_end31:
	.size	_ZN7rocprim17ROCPRIM_400000_NS6detail17trampoline_kernelINS0_14default_configENS1_20scan_config_selectorIxEEZZNS1_9scan_implILNS1_25lookback_scan_determinismE0ELb0ELb0ES3_N6thrust23THRUST_200600_302600_NS6detail15normal_iteratorINS9_10device_ptrIxEEEESE_xNS9_4plusIvEExEEDaPvRmT3_T4_T5_mT6_P12ihipStream_tbENKUlT_T0_E_clISt17integral_constantIbLb1EESU_EEDaSP_SQ_EUlSP_E_NS1_11comp_targetILNS1_3genE0ELNS1_11target_archE4294967295ELNS1_3gpuE0ELNS1_3repE0EEENS1_30default_config_static_selectorELNS0_4arch9wavefront6targetE1EEEvT1_, .Lfunc_end31-_ZN7rocprim17ROCPRIM_400000_NS6detail17trampoline_kernelINS0_14default_configENS1_20scan_config_selectorIxEEZZNS1_9scan_implILNS1_25lookback_scan_determinismE0ELb0ELb0ES3_N6thrust23THRUST_200600_302600_NS6detail15normal_iteratorINS9_10device_ptrIxEEEESE_xNS9_4plusIvEExEEDaPvRmT3_T4_T5_mT6_P12ihipStream_tbENKUlT_T0_E_clISt17integral_constantIbLb1EESU_EEDaSP_SQ_EUlSP_E_NS1_11comp_targetILNS1_3genE0ELNS1_11target_archE4294967295ELNS1_3gpuE0ELNS1_3repE0EEENS1_30default_config_static_selectorELNS0_4arch9wavefront6targetE1EEEvT1_
                                        ; -- End function
	.section	.AMDGPU.csdata,"",@progbits
; Kernel info:
; codeLenInByte = 0
; NumSgprs: 4
; NumVgprs: 0
; NumAgprs: 0
; TotalNumVgprs: 0
; ScratchSize: 0
; MemoryBound: 0
; FloatMode: 240
; IeeeMode: 1
; LDSByteSize: 0 bytes/workgroup (compile time only)
; SGPRBlocks: 0
; VGPRBlocks: 0
; NumSGPRsForWavesPerEU: 4
; NumVGPRsForWavesPerEU: 1
; AccumOffset: 4
; Occupancy: 8
; WaveLimiterHint : 0
; COMPUTE_PGM_RSRC2:SCRATCH_EN: 0
; COMPUTE_PGM_RSRC2:USER_SGPR: 6
; COMPUTE_PGM_RSRC2:TRAP_HANDLER: 0
; COMPUTE_PGM_RSRC2:TGID_X_EN: 1
; COMPUTE_PGM_RSRC2:TGID_Y_EN: 0
; COMPUTE_PGM_RSRC2:TGID_Z_EN: 0
; COMPUTE_PGM_RSRC2:TIDIG_COMP_CNT: 0
; COMPUTE_PGM_RSRC3_GFX90A:ACCUM_OFFSET: 0
; COMPUTE_PGM_RSRC3_GFX90A:TG_SPLIT: 0
	.section	.text._ZN7rocprim17ROCPRIM_400000_NS6detail17trampoline_kernelINS0_14default_configENS1_20scan_config_selectorIxEEZZNS1_9scan_implILNS1_25lookback_scan_determinismE0ELb0ELb0ES3_N6thrust23THRUST_200600_302600_NS6detail15normal_iteratorINS9_10device_ptrIxEEEESE_xNS9_4plusIvEExEEDaPvRmT3_T4_T5_mT6_P12ihipStream_tbENKUlT_T0_E_clISt17integral_constantIbLb1EESU_EEDaSP_SQ_EUlSP_E_NS1_11comp_targetILNS1_3genE5ELNS1_11target_archE942ELNS1_3gpuE9ELNS1_3repE0EEENS1_30default_config_static_selectorELNS0_4arch9wavefront6targetE1EEEvT1_,"axG",@progbits,_ZN7rocprim17ROCPRIM_400000_NS6detail17trampoline_kernelINS0_14default_configENS1_20scan_config_selectorIxEEZZNS1_9scan_implILNS1_25lookback_scan_determinismE0ELb0ELb0ES3_N6thrust23THRUST_200600_302600_NS6detail15normal_iteratorINS9_10device_ptrIxEEEESE_xNS9_4plusIvEExEEDaPvRmT3_T4_T5_mT6_P12ihipStream_tbENKUlT_T0_E_clISt17integral_constantIbLb1EESU_EEDaSP_SQ_EUlSP_E_NS1_11comp_targetILNS1_3genE5ELNS1_11target_archE942ELNS1_3gpuE9ELNS1_3repE0EEENS1_30default_config_static_selectorELNS0_4arch9wavefront6targetE1EEEvT1_,comdat
	.protected	_ZN7rocprim17ROCPRIM_400000_NS6detail17trampoline_kernelINS0_14default_configENS1_20scan_config_selectorIxEEZZNS1_9scan_implILNS1_25lookback_scan_determinismE0ELb0ELb0ES3_N6thrust23THRUST_200600_302600_NS6detail15normal_iteratorINS9_10device_ptrIxEEEESE_xNS9_4plusIvEExEEDaPvRmT3_T4_T5_mT6_P12ihipStream_tbENKUlT_T0_E_clISt17integral_constantIbLb1EESU_EEDaSP_SQ_EUlSP_E_NS1_11comp_targetILNS1_3genE5ELNS1_11target_archE942ELNS1_3gpuE9ELNS1_3repE0EEENS1_30default_config_static_selectorELNS0_4arch9wavefront6targetE1EEEvT1_ ; -- Begin function _ZN7rocprim17ROCPRIM_400000_NS6detail17trampoline_kernelINS0_14default_configENS1_20scan_config_selectorIxEEZZNS1_9scan_implILNS1_25lookback_scan_determinismE0ELb0ELb0ES3_N6thrust23THRUST_200600_302600_NS6detail15normal_iteratorINS9_10device_ptrIxEEEESE_xNS9_4plusIvEExEEDaPvRmT3_T4_T5_mT6_P12ihipStream_tbENKUlT_T0_E_clISt17integral_constantIbLb1EESU_EEDaSP_SQ_EUlSP_E_NS1_11comp_targetILNS1_3genE5ELNS1_11target_archE942ELNS1_3gpuE9ELNS1_3repE0EEENS1_30default_config_static_selectorELNS0_4arch9wavefront6targetE1EEEvT1_
	.globl	_ZN7rocprim17ROCPRIM_400000_NS6detail17trampoline_kernelINS0_14default_configENS1_20scan_config_selectorIxEEZZNS1_9scan_implILNS1_25lookback_scan_determinismE0ELb0ELb0ES3_N6thrust23THRUST_200600_302600_NS6detail15normal_iteratorINS9_10device_ptrIxEEEESE_xNS9_4plusIvEExEEDaPvRmT3_T4_T5_mT6_P12ihipStream_tbENKUlT_T0_E_clISt17integral_constantIbLb1EESU_EEDaSP_SQ_EUlSP_E_NS1_11comp_targetILNS1_3genE5ELNS1_11target_archE942ELNS1_3gpuE9ELNS1_3repE0EEENS1_30default_config_static_selectorELNS0_4arch9wavefront6targetE1EEEvT1_
	.p2align	8
	.type	_ZN7rocprim17ROCPRIM_400000_NS6detail17trampoline_kernelINS0_14default_configENS1_20scan_config_selectorIxEEZZNS1_9scan_implILNS1_25lookback_scan_determinismE0ELb0ELb0ES3_N6thrust23THRUST_200600_302600_NS6detail15normal_iteratorINS9_10device_ptrIxEEEESE_xNS9_4plusIvEExEEDaPvRmT3_T4_T5_mT6_P12ihipStream_tbENKUlT_T0_E_clISt17integral_constantIbLb1EESU_EEDaSP_SQ_EUlSP_E_NS1_11comp_targetILNS1_3genE5ELNS1_11target_archE942ELNS1_3gpuE9ELNS1_3repE0EEENS1_30default_config_static_selectorELNS0_4arch9wavefront6targetE1EEEvT1_,@function
_ZN7rocprim17ROCPRIM_400000_NS6detail17trampoline_kernelINS0_14default_configENS1_20scan_config_selectorIxEEZZNS1_9scan_implILNS1_25lookback_scan_determinismE0ELb0ELb0ES3_N6thrust23THRUST_200600_302600_NS6detail15normal_iteratorINS9_10device_ptrIxEEEESE_xNS9_4plusIvEExEEDaPvRmT3_T4_T5_mT6_P12ihipStream_tbENKUlT_T0_E_clISt17integral_constantIbLb1EESU_EEDaSP_SQ_EUlSP_E_NS1_11comp_targetILNS1_3genE5ELNS1_11target_archE942ELNS1_3gpuE9ELNS1_3repE0EEENS1_30default_config_static_selectorELNS0_4arch9wavefront6targetE1EEEvT1_: ; @_ZN7rocprim17ROCPRIM_400000_NS6detail17trampoline_kernelINS0_14default_configENS1_20scan_config_selectorIxEEZZNS1_9scan_implILNS1_25lookback_scan_determinismE0ELb0ELb0ES3_N6thrust23THRUST_200600_302600_NS6detail15normal_iteratorINS9_10device_ptrIxEEEESE_xNS9_4plusIvEExEEDaPvRmT3_T4_T5_mT6_P12ihipStream_tbENKUlT_T0_E_clISt17integral_constantIbLb1EESU_EEDaSP_SQ_EUlSP_E_NS1_11comp_targetILNS1_3genE5ELNS1_11target_archE942ELNS1_3gpuE9ELNS1_3repE0EEENS1_30default_config_static_selectorELNS0_4arch9wavefront6targetE1EEEvT1_
; %bb.0:
	.section	.rodata,"a",@progbits
	.p2align	6, 0x0
	.amdhsa_kernel _ZN7rocprim17ROCPRIM_400000_NS6detail17trampoline_kernelINS0_14default_configENS1_20scan_config_selectorIxEEZZNS1_9scan_implILNS1_25lookback_scan_determinismE0ELb0ELb0ES3_N6thrust23THRUST_200600_302600_NS6detail15normal_iteratorINS9_10device_ptrIxEEEESE_xNS9_4plusIvEExEEDaPvRmT3_T4_T5_mT6_P12ihipStream_tbENKUlT_T0_E_clISt17integral_constantIbLb1EESU_EEDaSP_SQ_EUlSP_E_NS1_11comp_targetILNS1_3genE5ELNS1_11target_archE942ELNS1_3gpuE9ELNS1_3repE0EEENS1_30default_config_static_selectorELNS0_4arch9wavefront6targetE1EEEvT1_
		.amdhsa_group_segment_fixed_size 0
		.amdhsa_private_segment_fixed_size 0
		.amdhsa_kernarg_size 104
		.amdhsa_user_sgpr_count 6
		.amdhsa_user_sgpr_private_segment_buffer 1
		.amdhsa_user_sgpr_dispatch_ptr 0
		.amdhsa_user_sgpr_queue_ptr 0
		.amdhsa_user_sgpr_kernarg_segment_ptr 1
		.amdhsa_user_sgpr_dispatch_id 0
		.amdhsa_user_sgpr_flat_scratch_init 0
		.amdhsa_user_sgpr_kernarg_preload_length 0
		.amdhsa_user_sgpr_kernarg_preload_offset 0
		.amdhsa_user_sgpr_private_segment_size 0
		.amdhsa_uses_dynamic_stack 0
		.amdhsa_system_sgpr_private_segment_wavefront_offset 0
		.amdhsa_system_sgpr_workgroup_id_x 1
		.amdhsa_system_sgpr_workgroup_id_y 0
		.amdhsa_system_sgpr_workgroup_id_z 0
		.amdhsa_system_sgpr_workgroup_info 0
		.amdhsa_system_vgpr_workitem_id 0
		.amdhsa_next_free_vgpr 1
		.amdhsa_next_free_sgpr 0
		.amdhsa_accum_offset 4
		.amdhsa_reserve_vcc 0
		.amdhsa_reserve_flat_scratch 0
		.amdhsa_float_round_mode_32 0
		.amdhsa_float_round_mode_16_64 0
		.amdhsa_float_denorm_mode_32 3
		.amdhsa_float_denorm_mode_16_64 3
		.amdhsa_dx10_clamp 1
		.amdhsa_ieee_mode 1
		.amdhsa_fp16_overflow 0
		.amdhsa_tg_split 0
		.amdhsa_exception_fp_ieee_invalid_op 0
		.amdhsa_exception_fp_denorm_src 0
		.amdhsa_exception_fp_ieee_div_zero 0
		.amdhsa_exception_fp_ieee_overflow 0
		.amdhsa_exception_fp_ieee_underflow 0
		.amdhsa_exception_fp_ieee_inexact 0
		.amdhsa_exception_int_div_zero 0
	.end_amdhsa_kernel
	.section	.text._ZN7rocprim17ROCPRIM_400000_NS6detail17trampoline_kernelINS0_14default_configENS1_20scan_config_selectorIxEEZZNS1_9scan_implILNS1_25lookback_scan_determinismE0ELb0ELb0ES3_N6thrust23THRUST_200600_302600_NS6detail15normal_iteratorINS9_10device_ptrIxEEEESE_xNS9_4plusIvEExEEDaPvRmT3_T4_T5_mT6_P12ihipStream_tbENKUlT_T0_E_clISt17integral_constantIbLb1EESU_EEDaSP_SQ_EUlSP_E_NS1_11comp_targetILNS1_3genE5ELNS1_11target_archE942ELNS1_3gpuE9ELNS1_3repE0EEENS1_30default_config_static_selectorELNS0_4arch9wavefront6targetE1EEEvT1_,"axG",@progbits,_ZN7rocprim17ROCPRIM_400000_NS6detail17trampoline_kernelINS0_14default_configENS1_20scan_config_selectorIxEEZZNS1_9scan_implILNS1_25lookback_scan_determinismE0ELb0ELb0ES3_N6thrust23THRUST_200600_302600_NS6detail15normal_iteratorINS9_10device_ptrIxEEEESE_xNS9_4plusIvEExEEDaPvRmT3_T4_T5_mT6_P12ihipStream_tbENKUlT_T0_E_clISt17integral_constantIbLb1EESU_EEDaSP_SQ_EUlSP_E_NS1_11comp_targetILNS1_3genE5ELNS1_11target_archE942ELNS1_3gpuE9ELNS1_3repE0EEENS1_30default_config_static_selectorELNS0_4arch9wavefront6targetE1EEEvT1_,comdat
.Lfunc_end32:
	.size	_ZN7rocprim17ROCPRIM_400000_NS6detail17trampoline_kernelINS0_14default_configENS1_20scan_config_selectorIxEEZZNS1_9scan_implILNS1_25lookback_scan_determinismE0ELb0ELb0ES3_N6thrust23THRUST_200600_302600_NS6detail15normal_iteratorINS9_10device_ptrIxEEEESE_xNS9_4plusIvEExEEDaPvRmT3_T4_T5_mT6_P12ihipStream_tbENKUlT_T0_E_clISt17integral_constantIbLb1EESU_EEDaSP_SQ_EUlSP_E_NS1_11comp_targetILNS1_3genE5ELNS1_11target_archE942ELNS1_3gpuE9ELNS1_3repE0EEENS1_30default_config_static_selectorELNS0_4arch9wavefront6targetE1EEEvT1_, .Lfunc_end32-_ZN7rocprim17ROCPRIM_400000_NS6detail17trampoline_kernelINS0_14default_configENS1_20scan_config_selectorIxEEZZNS1_9scan_implILNS1_25lookback_scan_determinismE0ELb0ELb0ES3_N6thrust23THRUST_200600_302600_NS6detail15normal_iteratorINS9_10device_ptrIxEEEESE_xNS9_4plusIvEExEEDaPvRmT3_T4_T5_mT6_P12ihipStream_tbENKUlT_T0_E_clISt17integral_constantIbLb1EESU_EEDaSP_SQ_EUlSP_E_NS1_11comp_targetILNS1_3genE5ELNS1_11target_archE942ELNS1_3gpuE9ELNS1_3repE0EEENS1_30default_config_static_selectorELNS0_4arch9wavefront6targetE1EEEvT1_
                                        ; -- End function
	.section	.AMDGPU.csdata,"",@progbits
; Kernel info:
; codeLenInByte = 0
; NumSgprs: 4
; NumVgprs: 0
; NumAgprs: 0
; TotalNumVgprs: 0
; ScratchSize: 0
; MemoryBound: 0
; FloatMode: 240
; IeeeMode: 1
; LDSByteSize: 0 bytes/workgroup (compile time only)
; SGPRBlocks: 0
; VGPRBlocks: 0
; NumSGPRsForWavesPerEU: 4
; NumVGPRsForWavesPerEU: 1
; AccumOffset: 4
; Occupancy: 8
; WaveLimiterHint : 0
; COMPUTE_PGM_RSRC2:SCRATCH_EN: 0
; COMPUTE_PGM_RSRC2:USER_SGPR: 6
; COMPUTE_PGM_RSRC2:TRAP_HANDLER: 0
; COMPUTE_PGM_RSRC2:TGID_X_EN: 1
; COMPUTE_PGM_RSRC2:TGID_Y_EN: 0
; COMPUTE_PGM_RSRC2:TGID_Z_EN: 0
; COMPUTE_PGM_RSRC2:TIDIG_COMP_CNT: 0
; COMPUTE_PGM_RSRC3_GFX90A:ACCUM_OFFSET: 0
; COMPUTE_PGM_RSRC3_GFX90A:TG_SPLIT: 0
	.section	.text._ZN7rocprim17ROCPRIM_400000_NS6detail17trampoline_kernelINS0_14default_configENS1_20scan_config_selectorIxEEZZNS1_9scan_implILNS1_25lookback_scan_determinismE0ELb0ELb0ES3_N6thrust23THRUST_200600_302600_NS6detail15normal_iteratorINS9_10device_ptrIxEEEESE_xNS9_4plusIvEExEEDaPvRmT3_T4_T5_mT6_P12ihipStream_tbENKUlT_T0_E_clISt17integral_constantIbLb1EESU_EEDaSP_SQ_EUlSP_E_NS1_11comp_targetILNS1_3genE4ELNS1_11target_archE910ELNS1_3gpuE8ELNS1_3repE0EEENS1_30default_config_static_selectorELNS0_4arch9wavefront6targetE1EEEvT1_,"axG",@progbits,_ZN7rocprim17ROCPRIM_400000_NS6detail17trampoline_kernelINS0_14default_configENS1_20scan_config_selectorIxEEZZNS1_9scan_implILNS1_25lookback_scan_determinismE0ELb0ELb0ES3_N6thrust23THRUST_200600_302600_NS6detail15normal_iteratorINS9_10device_ptrIxEEEESE_xNS9_4plusIvEExEEDaPvRmT3_T4_T5_mT6_P12ihipStream_tbENKUlT_T0_E_clISt17integral_constantIbLb1EESU_EEDaSP_SQ_EUlSP_E_NS1_11comp_targetILNS1_3genE4ELNS1_11target_archE910ELNS1_3gpuE8ELNS1_3repE0EEENS1_30default_config_static_selectorELNS0_4arch9wavefront6targetE1EEEvT1_,comdat
	.protected	_ZN7rocprim17ROCPRIM_400000_NS6detail17trampoline_kernelINS0_14default_configENS1_20scan_config_selectorIxEEZZNS1_9scan_implILNS1_25lookback_scan_determinismE0ELb0ELb0ES3_N6thrust23THRUST_200600_302600_NS6detail15normal_iteratorINS9_10device_ptrIxEEEESE_xNS9_4plusIvEExEEDaPvRmT3_T4_T5_mT6_P12ihipStream_tbENKUlT_T0_E_clISt17integral_constantIbLb1EESU_EEDaSP_SQ_EUlSP_E_NS1_11comp_targetILNS1_3genE4ELNS1_11target_archE910ELNS1_3gpuE8ELNS1_3repE0EEENS1_30default_config_static_selectorELNS0_4arch9wavefront6targetE1EEEvT1_ ; -- Begin function _ZN7rocprim17ROCPRIM_400000_NS6detail17trampoline_kernelINS0_14default_configENS1_20scan_config_selectorIxEEZZNS1_9scan_implILNS1_25lookback_scan_determinismE0ELb0ELb0ES3_N6thrust23THRUST_200600_302600_NS6detail15normal_iteratorINS9_10device_ptrIxEEEESE_xNS9_4plusIvEExEEDaPvRmT3_T4_T5_mT6_P12ihipStream_tbENKUlT_T0_E_clISt17integral_constantIbLb1EESU_EEDaSP_SQ_EUlSP_E_NS1_11comp_targetILNS1_3genE4ELNS1_11target_archE910ELNS1_3gpuE8ELNS1_3repE0EEENS1_30default_config_static_selectorELNS0_4arch9wavefront6targetE1EEEvT1_
	.globl	_ZN7rocprim17ROCPRIM_400000_NS6detail17trampoline_kernelINS0_14default_configENS1_20scan_config_selectorIxEEZZNS1_9scan_implILNS1_25lookback_scan_determinismE0ELb0ELb0ES3_N6thrust23THRUST_200600_302600_NS6detail15normal_iteratorINS9_10device_ptrIxEEEESE_xNS9_4plusIvEExEEDaPvRmT3_T4_T5_mT6_P12ihipStream_tbENKUlT_T0_E_clISt17integral_constantIbLb1EESU_EEDaSP_SQ_EUlSP_E_NS1_11comp_targetILNS1_3genE4ELNS1_11target_archE910ELNS1_3gpuE8ELNS1_3repE0EEENS1_30default_config_static_selectorELNS0_4arch9wavefront6targetE1EEEvT1_
	.p2align	8
	.type	_ZN7rocprim17ROCPRIM_400000_NS6detail17trampoline_kernelINS0_14default_configENS1_20scan_config_selectorIxEEZZNS1_9scan_implILNS1_25lookback_scan_determinismE0ELb0ELb0ES3_N6thrust23THRUST_200600_302600_NS6detail15normal_iteratorINS9_10device_ptrIxEEEESE_xNS9_4plusIvEExEEDaPvRmT3_T4_T5_mT6_P12ihipStream_tbENKUlT_T0_E_clISt17integral_constantIbLb1EESU_EEDaSP_SQ_EUlSP_E_NS1_11comp_targetILNS1_3genE4ELNS1_11target_archE910ELNS1_3gpuE8ELNS1_3repE0EEENS1_30default_config_static_selectorELNS0_4arch9wavefront6targetE1EEEvT1_,@function
_ZN7rocprim17ROCPRIM_400000_NS6detail17trampoline_kernelINS0_14default_configENS1_20scan_config_selectorIxEEZZNS1_9scan_implILNS1_25lookback_scan_determinismE0ELb0ELb0ES3_N6thrust23THRUST_200600_302600_NS6detail15normal_iteratorINS9_10device_ptrIxEEEESE_xNS9_4plusIvEExEEDaPvRmT3_T4_T5_mT6_P12ihipStream_tbENKUlT_T0_E_clISt17integral_constantIbLb1EESU_EEDaSP_SQ_EUlSP_E_NS1_11comp_targetILNS1_3genE4ELNS1_11target_archE910ELNS1_3gpuE8ELNS1_3repE0EEENS1_30default_config_static_selectorELNS0_4arch9wavefront6targetE1EEEvT1_: ; @_ZN7rocprim17ROCPRIM_400000_NS6detail17trampoline_kernelINS0_14default_configENS1_20scan_config_selectorIxEEZZNS1_9scan_implILNS1_25lookback_scan_determinismE0ELb0ELb0ES3_N6thrust23THRUST_200600_302600_NS6detail15normal_iteratorINS9_10device_ptrIxEEEESE_xNS9_4plusIvEExEEDaPvRmT3_T4_T5_mT6_P12ihipStream_tbENKUlT_T0_E_clISt17integral_constantIbLb1EESU_EEDaSP_SQ_EUlSP_E_NS1_11comp_targetILNS1_3genE4ELNS1_11target_archE910ELNS1_3gpuE8ELNS1_3repE0EEENS1_30default_config_static_selectorELNS0_4arch9wavefront6targetE1EEEvT1_
; %bb.0:
	s_load_dwordx2 s[10:11], s[4:5], 0x30
	v_cmp_ne_u32_e64 s[0:1], 0, v0
	v_cmp_eq_u32_e64 s[2:3], 0, v0
	s_and_saveexec_b64 s[6:7], s[2:3]
	s_cbranch_execz .LBB33_4
; %bb.1:
	s_mov_b64 s[12:13], exec
	v_mbcnt_lo_u32_b32 v1, s12, 0
	v_mbcnt_hi_u32_b32 v1, s13, v1
	v_cmp_eq_u32_e32 vcc, 0, v1
                                        ; implicit-def: $vgpr2
	s_and_saveexec_b64 s[8:9], vcc
	s_cbranch_execz .LBB33_3
; %bb.2:
	s_load_dwordx2 s[14:15], s[4:5], 0x60
	s_bcnt1_i32_b64 s12, s[12:13]
	v_mov_b32_e32 v2, 0
	v_mov_b32_e32 v3, s12
	s_waitcnt lgkmcnt(0)
	global_atomic_add v2, v2, v3, s[14:15] glc
.LBB33_3:
	s_or_b64 exec, exec, s[8:9]
	s_waitcnt vmcnt(0)
	v_readfirstlane_b32 s8, v2
	v_add_u32_e32 v1, s8, v1
	v_mov_b32_e32 v2, 0
	ds_write_b32 v2, v1
.LBB33_4:
	s_or_b64 exec, exec, s[6:7]
	s_load_dwordx8 s[20:27], s[4:5], 0x0
	s_load_dword s6, s[4:5], 0x38
	s_load_dwordx8 s[12:19], s[4:5], 0x40
	v_mov_b32_e32 v1, 0
	s_waitcnt lgkmcnt(0)
	s_barrier
	ds_read_b32 v1, v1
	s_lshl_b64 s[22:23], s[22:23], 3
	s_add_u32 s7, s20, s22
	s_addc_u32 s8, s21, s23
	s_add_i32 s6, s6, -1
	s_mul_i32 s9, s6, 0x380
	s_sub_u32 s30, s26, s9
	s_waitcnt lgkmcnt(0)
	v_readfirstlane_b32 s33, v1
	s_subb_u32 s31, s27, 0
	s_mul_i32 s4, s33, 0x380
	s_mov_b32 s5, 0
	s_cmp_lg_u32 s33, s6
	s_cselect_b64 s[20:21], -1, 0
	s_lshl_b64 s[26:27], s[4:5], 3
	s_add_u32 s6, s7, s26
	s_addc_u32 s7, s8, s27
	s_mov_b64 s[4:5], -1
	s_and_b64 vcc, exec, s[20:21]
	v_lshlrev_b32_e32 v36, 3, v0
	s_barrier
	s_cbranch_vccz .LBB33_6
; %bb.5:
	v_mov_b32_e32 v1, s7
	v_add_co_u32_e32 v2, vcc, s6, v36
	v_addc_co_u32_e32 v3, vcc, 0, v1, vcc
	flat_load_dwordx2 v[4:5], v[2:3]
	flat_load_dwordx2 v[6:7], v[2:3] offset:1024
	flat_load_dwordx2 v[8:9], v[2:3] offset:2048
	;; [unrolled: 1-line block ×3, first 2 shown]
	v_add_co_u32_e32 v2, vcc, 0x1000, v2
	v_addc_co_u32_e32 v3, vcc, 0, v3, vcc
	flat_load_dwordx2 v[12:13], v[2:3]
	flat_load_dwordx2 v[14:15], v[2:3] offset:1024
	flat_load_dwordx2 v[16:17], v[2:3] offset:2048
	s_mov_b64 s[4:5], 0
	s_waitcnt vmcnt(0) lgkmcnt(0)
	ds_write2st64_b64 v36, v[4:5], v[6:7] offset1:2
	ds_write2st64_b64 v36, v[8:9], v[10:11] offset0:4 offset1:6
	ds_write2st64_b64 v36, v[12:13], v[14:15] offset0:8 offset1:10
	ds_write_b64 v36, v[16:17] offset:6144
	s_waitcnt lgkmcnt(0)
	s_barrier
.LBB33_6:
	s_andn2_b64 vcc, exec, s[4:5]
	v_cmp_gt_u32_e64 s[4:5], s30, v0
	s_cbranch_vccnz .LBB33_22
; %bb.7:
	v_pk_mov_b32 v[2:3], s[6:7], s[6:7] op_sel:[0,1]
	flat_load_dwordx2 v[2:3], v[2:3]
	s_waitcnt vmcnt(0) lgkmcnt(0)
	v_mov_b32_e32 v4, v2
	v_mov_b32_e32 v5, v3
	;; [unrolled: 1-line block ×10, first 2 shown]
	v_pk_mov_b32 v[18:19], v[14:15], v[14:15] op_sel:[0,1]
	v_pk_mov_b32 v[16:17], v[12:13], v[12:13] op_sel:[0,1]
	;; [unrolled: 1-line block ×8, first 2 shown]
	s_and_saveexec_b64 s[8:9], s[4:5]
	s_cbranch_execz .LBB33_9
; %bb.8:
	v_mov_b32_e32 v1, s7
	v_add_co_u32_e32 v4, vcc, s6, v36
	v_addc_co_u32_e32 v5, vcc, 0, v1, vcc
	flat_load_dwordx2 v[20:21], v[4:5]
	v_mov_b32_e32 v4, v2
	v_mov_b32_e32 v5, v3
	v_mov_b32_e32 v6, v2
	v_mov_b32_e32 v7, v3
	v_mov_b32_e32 v8, v2
	v_mov_b32_e32 v9, v3
	v_mov_b32_e32 v10, v2
	v_mov_b32_e32 v11, v3
	v_mov_b32_e32 v12, v2
	v_mov_b32_e32 v13, v3
	v_pk_mov_b32 v[18:19], v[14:15], v[14:15] op_sel:[0,1]
	v_pk_mov_b32 v[16:17], v[12:13], v[12:13] op_sel:[0,1]
	;; [unrolled: 1-line block ×8, first 2 shown]
	s_waitcnt vmcnt(0) lgkmcnt(0)
	v_pk_mov_b32 v[2:3], v[20:21], v[20:21] op_sel:[0,1]
.LBB33_9:
	s_or_b64 exec, exec, s[8:9]
	v_or_b32_e32 v1, 0x80, v0
	v_cmp_gt_u32_e32 vcc, s30, v1
	s_and_saveexec_b64 s[4:5], vcc
	s_cbranch_execz .LBB33_11
; %bb.10:
	v_mov_b32_e32 v1, s7
	v_add_co_u32_e32 v4, vcc, s6, v36
	v_addc_co_u32_e32 v5, vcc, 0, v1, vcc
	flat_load_dwordx2 v[6:7], v[4:5] offset:1024
.LBB33_11:
	s_or_b64 exec, exec, s[4:5]
	v_or_b32_e32 v1, 0x100, v0
	v_cmp_gt_u32_e32 vcc, s30, v1
	s_and_saveexec_b64 s[4:5], vcc
	s_cbranch_execz .LBB33_13
; %bb.12:
	v_mov_b32_e32 v1, s7
	v_add_co_u32_e32 v4, vcc, s6, v36
	v_addc_co_u32_e32 v5, vcc, 0, v1, vcc
	flat_load_dwordx2 v[8:9], v[4:5] offset:2048
.LBB33_13:
	;; [unrolled: 11-line block ×3, first 2 shown]
	s_or_b64 exec, exec, s[4:5]
	v_or_b32_e32 v1, 0x200, v0
	v_cmp_gt_u32_e32 vcc, s30, v1
	s_and_saveexec_b64 s[4:5], vcc
	s_cbranch_execz .LBB33_17
; %bb.16:
	v_lshlrev_b32_e32 v1, 3, v1
	v_mov_b32_e32 v5, s7
	v_add_co_u32_e32 v4, vcc, s6, v1
	v_addc_co_u32_e32 v5, vcc, 0, v5, vcc
	flat_load_dwordx2 v[12:13], v[4:5]
.LBB33_17:
	s_or_b64 exec, exec, s[4:5]
	v_or_b32_e32 v1, 0x280, v0
	v_cmp_gt_u32_e32 vcc, s30, v1
	s_and_saveexec_b64 s[4:5], vcc
	s_cbranch_execz .LBB33_19
; %bb.18:
	v_lshlrev_b32_e32 v1, 3, v1
	v_mov_b32_e32 v5, s7
	v_add_co_u32_e32 v4, vcc, s6, v1
	v_addc_co_u32_e32 v5, vcc, 0, v5, vcc
	flat_load_dwordx2 v[14:15], v[4:5]
.LBB33_19:
	;; [unrolled: 12-line block ×3, first 2 shown]
	s_or_b64 exec, exec, s[4:5]
	s_waitcnt vmcnt(0) lgkmcnt(0)
	ds_write2st64_b64 v36, v[2:3], v[6:7] offset1:2
	ds_write2st64_b64 v36, v[8:9], v[10:11] offset0:4 offset1:6
	ds_write2st64_b64 v36, v[12:13], v[14:15] offset0:8 offset1:10
	ds_write_b64 v36, v[16:17] offset:6144
	s_waitcnt lgkmcnt(0)
	s_barrier
.LBB33_22:
	v_mul_u32_u24_e32 v37, 7, v0
	v_lshlrev_b32_e32 v1, 3, v37
	ds_read2_b64 v[2:5], v1 offset1:1
	ds_read2_b64 v[10:13], v1 offset0:2 offset1:3
	ds_read2_b64 v[6:9], v1 offset0:4 offset1:5
	ds_read_b64 v[28:29], v1 offset:48
	s_cmp_lg_u32 s33, 0
	v_lshrrev_b32_e32 v38, 5, v0
	v_cmp_gt_u32_e32 vcc, 64, v0
	s_waitcnt lgkmcnt(0)
	s_barrier
	s_cbranch_scc0 .LBB33_53
; %bb.23:
	v_add_co_u32_e64 v1, s[4:5], v4, v2
	v_addc_co_u32_e64 v14, s[4:5], v5, v3, s[4:5]
	v_add_co_u32_e64 v1, s[4:5], v1, v10
	v_addc_co_u32_e64 v14, s[4:5], v14, v11, s[4:5]
	v_add_co_u32_e64 v1, s[4:5], v1, v12
	v_addc_co_u32_e64 v14, s[4:5], v14, v13, s[4:5]
	v_add_co_u32_e64 v1, s[4:5], v1, v6
	v_addc_co_u32_e64 v14, s[4:5], v14, v7, s[4:5]
	v_add_co_u32_e64 v1, s[4:5], v1, v8
	v_addc_co_u32_e64 v14, s[4:5], v14, v9, s[4:5]
	v_add_co_u32_e64 v18, s[4:5], v1, v28
	v_addc_co_u32_e64 v19, s[4:5], v14, v29, s[4:5]
	v_add_lshl_u32 v1, v38, v0, 3
	ds_write_b64 v1, v[18:19]
	s_waitcnt lgkmcnt(0)
	s_barrier
	s_and_saveexec_b64 s[8:9], vcc
	s_cbranch_execz .LBB33_27
; %bb.24:
	v_lshlrev_b32_e32 v1, 1, v0
	v_lshrrev_b32_e32 v14, 4, v0
	v_add_lshl_u32 v20, v14, v1, 3
	ds_read2_b64 v[14:17], v20 offset1:1
	v_mbcnt_lo_u32_b32 v1, -1, 0
	s_waitcnt lgkmcnt(0)
	v_add_co_u32_e64 v21, s[4:5], v16, v14
	v_addc_co_u32_e64 v22, s[4:5], v17, v15, s[4:5]
	s_nop 0
	v_mov_b32_dpp v16, v21 row_shr:1 row_mask:0xf bank_mask:0xf
	v_add_co_u32_e64 v16, s[4:5], v21, v16
	v_addc_co_u32_e64 v24, s[4:5], 0, v22, s[4:5]
	v_mbcnt_hi_u32_b32 v17, -1, v1
	v_mov_b32_dpp v23, v22 row_shr:1 row_mask:0xf bank_mask:0xf
	v_add_co_u32_e64 v25, s[4:5], 0, v16
	v_and_b32_e32 v1, 15, v17
	v_addc_co_u32_e64 v23, s[4:5], v23, v24, s[4:5]
	v_cmp_eq_u32_e64 s[4:5], 0, v1
	v_cndmask_b32_e64 v16, v16, v21, s[4:5]
	v_cndmask_b32_e64 v23, v23, v22, s[4:5]
	v_cndmask_b32_e64 v24, v25, v21, s[4:5]
	v_mov_b32_dpp v25, v16 row_shr:2 row_mask:0xf bank_mask:0xf
	v_mov_b32_dpp v26, v23 row_shr:2 row_mask:0xf bank_mask:0xf
	v_add_co_u32_e64 v25, s[4:5], v25, v24
	v_addc_co_u32_e64 v26, s[4:5], v26, v23, s[4:5]
	v_cmp_lt_u32_e64 s[4:5], 1, v1
	v_cndmask_b32_e64 v16, v16, v25, s[4:5]
	v_cndmask_b32_e64 v23, v23, v26, s[4:5]
	v_cndmask_b32_e64 v24, v24, v25, s[4:5]
	v_mov_b32_dpp v25, v16 row_shr:4 row_mask:0xf bank_mask:0xf
	v_mov_b32_dpp v26, v23 row_shr:4 row_mask:0xf bank_mask:0xf
	v_add_co_u32_e64 v25, s[4:5], v25, v24
	v_addc_co_u32_e64 v26, s[4:5], v26, v23, s[4:5]
	v_cmp_lt_u32_e64 s[4:5], 3, v1
	;; [unrolled: 8-line block ×3, first 2 shown]
	v_cndmask_b32_e64 v27, v16, v25, s[4:5]
	v_cndmask_b32_e64 v1, v23, v26, s[4:5]
	;; [unrolled: 1-line block ×3, first 2 shown]
	v_mov_b32_dpp v23, v27 row_bcast:15 row_mask:0xf bank_mask:0xf
	v_mov_b32_dpp v24, v1 row_bcast:15 row_mask:0xf bank_mask:0xf
	v_add_co_u32_e64 v23, s[4:5], v23, v16
	v_and_b32_e32 v26, 16, v17
	v_addc_co_u32_e64 v25, s[4:5], v24, v1, s[4:5]
	v_cmp_eq_u32_e64 s[4:5], 0, v26
	v_cndmask_b32_e64 v26, v25, v1, s[4:5]
	v_cndmask_b32_e64 v24, v23, v27, s[4:5]
	v_cmp_ne_u32_e64 s[6:7], 0, v17
	v_mov_b32_dpp v26, v26 row_bcast:31 row_mask:0xf bank_mask:0xf
	v_mov_b32_dpp v24, v24 row_bcast:31 row_mask:0xf bank_mask:0xf
	s_and_saveexec_b64 s[28:29], s[6:7]
; %bb.25:
	v_cndmask_b32_e64 v1, v25, v1, s[4:5]
	v_cndmask_b32_e64 v16, v23, v16, s[4:5]
	v_cmp_lt_u32_e64 s[4:5], 31, v17
	v_cndmask_b32_e64 v21, 0, v24, s[4:5]
	v_cndmask_b32_e64 v22, 0, v26, s[4:5]
	v_add_co_u32_e64 v21, s[4:5], v21, v16
	v_addc_co_u32_e64 v22, s[4:5], v22, v1, s[4:5]
; %bb.26:
	s_or_b64 exec, exec, s[28:29]
	v_add_u32_e32 v1, -1, v17
	v_and_b32_e32 v16, 64, v17
	v_cmp_lt_i32_e64 s[4:5], v1, v16
	v_cndmask_b32_e64 v1, v1, v17, s[4:5]
	v_lshlrev_b32_e32 v1, 2, v1
	ds_bpermute_b32 v16, v1, v21
	ds_bpermute_b32 v1, v1, v22
	; wave barrier
	s_waitcnt lgkmcnt(1)
	v_add_co_u32_e64 v14, s[4:5], v14, v16
	v_addc_co_u32_e64 v15, s[4:5], 0, v15, s[4:5]
	v_add_co_u32_e64 v14, s[4:5], 0, v14
	s_waitcnt lgkmcnt(0)
	v_addc_co_u32_e64 v1, s[4:5], v15, v1, s[4:5]
	v_cndmask_b32_e64 v15, v1, v19, s[2:3]
	v_cndmask_b32_e64 v14, v14, v18, s[2:3]
	ds_write_b64 v20, v[14:15]
	; wave barrier
	ds_read_b64 v[16:17], v20 offset:8
	s_waitcnt lgkmcnt(0)
	v_add_co_u32_e64 v14, s[4:5], v16, v14
	v_addc_co_u32_e64 v15, s[4:5], v17, v15, s[4:5]
	ds_write_b64 v20, v[14:15] offset:8
.LBB33_27:
	s_or_b64 exec, exec, s[8:9]
	v_pk_mov_b32 v[22:23], 0, 0
	s_waitcnt lgkmcnt(0)
	s_barrier
	s_and_saveexec_b64 s[4:5], s[0:1]
	s_cbranch_execz .LBB33_29
; %bb.28:
	v_add_u32_e32 v1, -1, v0
	v_lshrrev_b32_e32 v14, 5, v1
	v_add_lshl_u32 v1, v14, v1, 3
	ds_read_b64 v[22:23], v1
.LBB33_29:
	s_or_b64 exec, exec, s[4:5]
	s_and_saveexec_b64 s[28:29], vcc
	s_cbranch_execz .LBB33_52
; %bb.30:
	v_mov_b32_e32 v17, 0
	ds_read_b64 v[14:15], v17 offset:1040
	v_mbcnt_lo_u32_b32 v1, -1, 0
	v_mbcnt_hi_u32_b32 v30, -1, v1
	s_mov_b32 s9, 0
	v_cmp_eq_u32_e64 s[4:5], 0, v30
	s_and_saveexec_b64 s[6:7], s[4:5]
	s_cbranch_execz .LBB33_32
; %bb.31:
	s_add_i32 s8, s33, 64
	s_lshl_b64 s[8:9], s[8:9], 4
	s_add_u32 s8, s10, s8
	s_addc_u32 s9, s11, s9
	v_mov_b32_e32 v16, 1
	v_pk_mov_b32 v[18:19], s[8:9], s[8:9] op_sel:[0,1]
	s_waitcnt lgkmcnt(0)
	;;#ASMSTART
	global_store_dwordx4 v[18:19], v[14:17] off	
s_waitcnt vmcnt(0)
	;;#ASMEND
.LBB33_32:
	s_or_b64 exec, exec, s[6:7]
	v_xad_u32 v24, v30, -1, s33
	v_add_u32_e32 v16, 64, v24
	v_lshlrev_b64 v[18:19], 4, v[16:17]
	v_mov_b32_e32 v1, s11
	v_add_co_u32_e32 v26, vcc, s10, v18
	v_addc_co_u32_e32 v27, vcc, v1, v19, vcc
	;;#ASMSTART
	global_load_dwordx4 v[18:21], v[26:27] off glc	
s_waitcnt vmcnt(0)
	;;#ASMEND
	v_and_b32_e32 v1, 0xff, v19
	v_and_b32_e32 v16, 0xff00, v19
	v_or3_b32 v1, 0, v1, v16
	v_or3_b32 v16, v18, 0, 0
	v_and_b32_e32 v18, 0xff000000, v19
	v_and_b32_e32 v19, 0xff0000, v19
	v_or3_b32 v19, v1, v19, v18
	v_or3_b32 v18, v16, 0, 0
	v_cmp_eq_u16_sdwa s[8:9], v20, v17 src0_sel:BYTE_0 src1_sel:DWORD
	s_and_saveexec_b64 s[6:7], s[8:9]
	s_cbranch_execz .LBB33_38
; %bb.33:
	s_mov_b32 s34, 1
	s_mov_b64 s[8:9], 0
	v_mov_b32_e32 v1, 0
.LBB33_34:                              ; =>This Loop Header: Depth=1
                                        ;     Child Loop BB33_35 Depth 2
	s_max_u32 s35, s34, 1
.LBB33_35:                              ;   Parent Loop BB33_34 Depth=1
                                        ; =>  This Inner Loop Header: Depth=2
	s_add_i32 s35, s35, -1
	s_cmp_eq_u32 s35, 0
	s_sleep 1
	s_cbranch_scc0 .LBB33_35
; %bb.36:                               ;   in Loop: Header=BB33_34 Depth=1
	s_cmp_lt_u32 s34, 32
	s_cselect_b64 s[36:37], -1, 0
	s_cmp_lg_u64 s[36:37], 0
	s_addc_u32 s34, s34, 0
	;;#ASMSTART
	global_load_dwordx4 v[18:21], v[26:27] off glc	
s_waitcnt vmcnt(0)
	;;#ASMEND
	v_cmp_ne_u16_sdwa s[36:37], v20, v1 src0_sel:BYTE_0 src1_sel:DWORD
	s_or_b64 s[8:9], s[36:37], s[8:9]
	s_andn2_b64 exec, exec, s[8:9]
	s_cbranch_execnz .LBB33_34
; %bb.37:
	s_or_b64 exec, exec, s[8:9]
.LBB33_38:
	s_or_b64 exec, exec, s[6:7]
	v_and_b32_e32 v32, 63, v30
	v_cmp_ne_u32_e32 vcc, 63, v32
	v_addc_co_u32_e32 v26, vcc, 0, v30, vcc
	v_lshlrev_b32_e32 v33, 2, v26
	ds_bpermute_b32 v26, v33, v18
	v_mov_b32_e32 v1, 2
	v_cmp_eq_u16_sdwa s[6:7], v20, v1 src0_sel:BYTE_0 src1_sel:DWORD
	v_lshlrev_b64 v[16:17], v30, -1
	ds_bpermute_b32 v27, v33, v19
	v_and_b32_e32 v21, s7, v17
	v_or_b32_e32 v21, 0x80000000, v21
	s_waitcnt lgkmcnt(1)
	v_add_co_u32_e32 v26, vcc, v18, v26
	v_and_b32_e32 v25, s6, v16
	v_ffbl_b32_e32 v21, v21
	v_addc_co_u32_e32 v31, vcc, 0, v19, vcc
	v_add_u32_e32 v21, 32, v21
	v_ffbl_b32_e32 v25, v25
	v_add_co_u32_e32 v35, vcc, 0, v26
	v_cmp_gt_u32_e64 s[6:7], 62, v32
	v_min_u32_e32 v21, v25, v21
	s_waitcnt lgkmcnt(0)
	v_addc_co_u32_e32 v27, vcc, v27, v31, vcc
	v_cndmask_b32_e64 v31, 0, 1, s[6:7]
	v_cmp_lt_u32_e32 vcc, v32, v21
	v_lshlrev_b32_e32 v31, 1, v31
	v_cndmask_b32_e32 v26, v18, v26, vcc
	v_add_lshl_u32 v34, v31, v30, 2
	v_cndmask_b32_e32 v27, v19, v27, vcc
	ds_bpermute_b32 v31, v34, v26
	ds_bpermute_b32 v39, v34, v27
	v_cndmask_b32_e32 v40, v18, v35, vcc
	v_add_u32_e32 v35, 2, v32
	v_cmp_gt_u32_e64 s[8:9], 60, v32
	s_waitcnt lgkmcnt(1)
	v_add_co_u32_e64 v31, s[6:7], v31, v40
	s_waitcnt lgkmcnt(0)
	v_addc_co_u32_e64 v39, s[6:7], v39, v27, s[6:7]
	v_cmp_gt_u32_e64 s[6:7], v35, v21
	v_cndmask_b32_e64 v27, v39, v27, s[6:7]
	v_cndmask_b32_e64 v39, 0, 1, s[8:9]
	v_lshlrev_b32_e32 v39, 2, v39
	v_cndmask_b32_e64 v26, v31, v26, s[6:7]
	v_add_lshl_u32 v39, v39, v30, 2
	ds_bpermute_b32 v41, v39, v26
	ds_bpermute_b32 v42, v39, v27
	v_cndmask_b32_e64 v31, v31, v40, s[6:7]
	v_add_u32_e32 v40, 4, v32
	v_cmp_gt_u32_e64 s[8:9], 56, v32
	s_waitcnt lgkmcnt(1)
	v_add_co_u32_e64 v43, s[6:7], v41, v31
	s_waitcnt lgkmcnt(0)
	v_addc_co_u32_e64 v41, s[6:7], v42, v27, s[6:7]
	v_cmp_gt_u32_e64 s[6:7], v40, v21
	v_cndmask_b32_e64 v27, v41, v27, s[6:7]
	v_cndmask_b32_e64 v41, 0, 1, s[8:9]
	v_lshlrev_b32_e32 v41, 3, v41
	v_cndmask_b32_e64 v26, v43, v26, s[6:7]
	v_add_lshl_u32 v41, v41, v30, 2
	ds_bpermute_b32 v44, v41, v26
	v_cndmask_b32_e64 v31, v43, v31, s[6:7]
	ds_bpermute_b32 v43, v41, v27
	v_add_u32_e32 v42, 8, v32
	v_cmp_gt_u32_e64 s[8:9], 48, v32
	s_waitcnt lgkmcnt(1)
	v_add_co_u32_e64 v44, s[6:7], v44, v31
	s_waitcnt lgkmcnt(0)
	v_addc_co_u32_e64 v43, s[6:7], v43, v27, s[6:7]
	v_cmp_gt_u32_e64 s[6:7], v42, v21
	v_cndmask_b32_e64 v27, v43, v27, s[6:7]
	v_cndmask_b32_e64 v43, 0, 1, s[8:9]
	v_lshlrev_b32_e32 v43, 4, v43
	v_cndmask_b32_e64 v26, v44, v26, s[6:7]
	v_add_lshl_u32 v43, v43, v30, 2
	ds_bpermute_b32 v45, v43, v26
	ds_bpermute_b32 v46, v43, v27
	v_cndmask_b32_e64 v31, v44, v31, s[6:7]
	v_cmp_gt_u32_e64 s[8:9], 32, v32
	v_add_u32_e32 v44, 16, v32
	s_waitcnt lgkmcnt(1)
	v_add_co_u32_e64 v47, s[6:7], v45, v31
	s_waitcnt lgkmcnt(0)
	v_addc_co_u32_e64 v46, s[6:7], v46, v27, s[6:7]
	v_cndmask_b32_e64 v45, 0, 1, s[8:9]
	v_cmp_gt_u32_e64 s[6:7], v44, v21
	v_lshlrev_b32_e32 v45, 5, v45
	v_cndmask_b32_e64 v26, v47, v26, s[6:7]
	v_add_lshl_u32 v45, v45, v30, 2
	v_cndmask_b32_e64 v27, v46, v27, s[6:7]
	ds_bpermute_b32 v26, v45, v26
	ds_bpermute_b32 v30, v45, v27
	v_add_u32_e32 v46, 32, v32
	v_cndmask_b32_e64 v31, v47, v31, s[6:7]
	v_cmp_le_u32_e64 s[6:7], v46, v21
	s_waitcnt lgkmcnt(1)
	v_cndmask_b32_e64 v26, 0, v26, s[6:7]
	s_waitcnt lgkmcnt(0)
	v_cndmask_b32_e64 v21, 0, v30, s[6:7]
	v_add_co_u32_e64 v26, s[6:7], v26, v31
	v_addc_co_u32_e64 v21, s[6:7], v21, v27, s[6:7]
	v_mov_b32_e32 v25, 0
	v_cndmask_b32_e32 v19, v19, v21, vcc
	v_cndmask_b32_e32 v18, v18, v26, vcc
	s_branch .LBB33_40
.LBB33_39:                              ;   in Loop: Header=BB33_40 Depth=1
	s_or_b64 exec, exec, s[6:7]
	v_cmp_eq_u16_sdwa s[6:7], v20, v1 src0_sel:BYTE_0 src1_sel:DWORD
	v_and_b32_e32 v21, s7, v17
	v_or_b32_e32 v21, 0x80000000, v21
	ds_bpermute_b32 v31, v33, v18
	v_and_b32_e32 v30, s6, v16
	v_ffbl_b32_e32 v21, v21
	v_add_u32_e32 v21, 32, v21
	v_ffbl_b32_e32 v30, v30
	v_min_u32_e32 v21, v30, v21
	ds_bpermute_b32 v30, v33, v19
	s_waitcnt lgkmcnt(1)
	v_add_co_u32_e32 v31, vcc, v18, v31
	v_addc_co_u32_e32 v47, vcc, 0, v19, vcc
	v_add_co_u32_e32 v48, vcc, 0, v31
	s_waitcnt lgkmcnt(0)
	v_addc_co_u32_e32 v30, vcc, v30, v47, vcc
	v_cmp_lt_u32_e32 vcc, v32, v21
	v_cndmask_b32_e32 v31, v18, v31, vcc
	ds_bpermute_b32 v47, v34, v31
	v_cndmask_b32_e32 v30, v19, v30, vcc
	ds_bpermute_b32 v49, v34, v30
	v_cndmask_b32_e32 v48, v18, v48, vcc
	v_subrev_u32_e32 v24, 64, v24
	s_waitcnt lgkmcnt(1)
	v_add_co_u32_e64 v47, s[6:7], v47, v48
	s_waitcnt lgkmcnt(0)
	v_addc_co_u32_e64 v49, s[6:7], v49, v30, s[6:7]
	v_cmp_gt_u32_e64 s[6:7], v35, v21
	v_cndmask_b32_e64 v31, v47, v31, s[6:7]
	ds_bpermute_b32 v50, v39, v31
	v_cndmask_b32_e64 v30, v49, v30, s[6:7]
	ds_bpermute_b32 v49, v39, v30
	v_cndmask_b32_e64 v47, v47, v48, s[6:7]
	s_waitcnt lgkmcnt(1)
	v_add_co_u32_e64 v48, s[6:7], v50, v47
	s_waitcnt lgkmcnt(0)
	v_addc_co_u32_e64 v49, s[6:7], v49, v30, s[6:7]
	v_cmp_gt_u32_e64 s[6:7], v40, v21
	v_cndmask_b32_e64 v31, v48, v31, s[6:7]
	ds_bpermute_b32 v50, v41, v31
	v_cndmask_b32_e64 v30, v49, v30, s[6:7]
	ds_bpermute_b32 v49, v41, v30
	v_cndmask_b32_e64 v47, v48, v47, s[6:7]
	;; [unrolled: 10-line block ×3, first 2 shown]
	s_waitcnt lgkmcnt(1)
	v_add_co_u32_e64 v48, s[6:7], v50, v47
	s_waitcnt lgkmcnt(0)
	v_addc_co_u32_e64 v49, s[6:7], v49, v30, s[6:7]
	v_cmp_gt_u32_e64 s[6:7], v44, v21
	v_cndmask_b32_e64 v31, v48, v31, s[6:7]
	v_cndmask_b32_e64 v30, v49, v30, s[6:7]
	ds_bpermute_b32 v31, v45, v31
	ds_bpermute_b32 v49, v45, v30
	v_cndmask_b32_e64 v47, v48, v47, s[6:7]
	v_cmp_le_u32_e64 s[6:7], v46, v21
	s_waitcnt lgkmcnt(1)
	v_cndmask_b32_e64 v31, 0, v31, s[6:7]
	s_waitcnt lgkmcnt(0)
	v_cndmask_b32_e64 v21, 0, v49, s[6:7]
	v_add_co_u32_e64 v31, s[6:7], v31, v47
	v_addc_co_u32_e64 v21, s[6:7], v21, v30, s[6:7]
	v_cndmask_b32_e32 v18, v18, v31, vcc
	v_cndmask_b32_e32 v19, v19, v21, vcc
	v_add_co_u32_e32 v18, vcc, v18, v26
	v_addc_co_u32_e32 v19, vcc, v19, v27, vcc
.LBB33_40:                              ; =>This Loop Header: Depth=1
                                        ;     Child Loop BB33_43 Depth 2
                                        ;       Child Loop BB33_44 Depth 3
	v_cmp_ne_u16_sdwa s[6:7], v20, v1 src0_sel:BYTE_0 src1_sel:DWORD
	v_cndmask_b32_e64 v20, 0, 1, s[6:7]
	;;#ASMSTART
	;;#ASMEND
	v_cmp_ne_u32_e32 vcc, 0, v20
	s_cmp_lg_u64 vcc, exec
	v_pk_mov_b32 v[26:27], v[18:19], v[18:19] op_sel:[0,1]
	s_cbranch_scc1 .LBB33_47
; %bb.41:                               ;   in Loop: Header=BB33_40 Depth=1
	v_lshlrev_b64 v[18:19], 4, v[24:25]
	v_mov_b32_e32 v20, s11
	v_add_co_u32_e32 v30, vcc, s10, v18
	v_addc_co_u32_e32 v31, vcc, v20, v19, vcc
	;;#ASMSTART
	global_load_dwordx4 v[18:21], v[30:31] off glc	
s_waitcnt vmcnt(0)
	;;#ASMEND
	v_and_b32_e32 v21, 0xff, v19
	v_and_b32_e32 v47, 0xff00, v19
	v_or3_b32 v21, 0, v21, v47
	v_or3_b32 v18, v18, 0, 0
	v_and_b32_e32 v47, 0xff000000, v19
	v_and_b32_e32 v19, 0xff0000, v19
	v_or3_b32 v19, v21, v19, v47
	v_or3_b32 v18, v18, 0, 0
	v_cmp_eq_u16_sdwa s[8:9], v20, v25 src0_sel:BYTE_0 src1_sel:DWORD
	s_and_saveexec_b64 s[6:7], s[8:9]
	s_cbranch_execz .LBB33_39
; %bb.42:                               ;   in Loop: Header=BB33_40 Depth=1
	s_mov_b32 s34, 1
	s_mov_b64 s[8:9], 0
.LBB33_43:                              ;   Parent Loop BB33_40 Depth=1
                                        ; =>  This Loop Header: Depth=2
                                        ;       Child Loop BB33_44 Depth 3
	s_max_u32 s35, s34, 1
.LBB33_44:                              ;   Parent Loop BB33_40 Depth=1
                                        ;     Parent Loop BB33_43 Depth=2
                                        ; =>    This Inner Loop Header: Depth=3
	s_add_i32 s35, s35, -1
	s_cmp_eq_u32 s35, 0
	s_sleep 1
	s_cbranch_scc0 .LBB33_44
; %bb.45:                               ;   in Loop: Header=BB33_43 Depth=2
	s_cmp_lt_u32 s34, 32
	s_cselect_b64 s[36:37], -1, 0
	s_cmp_lg_u64 s[36:37], 0
	s_addc_u32 s34, s34, 0
	;;#ASMSTART
	global_load_dwordx4 v[18:21], v[30:31] off glc	
s_waitcnt vmcnt(0)
	;;#ASMEND
	v_cmp_ne_u16_sdwa s[36:37], v20, v25 src0_sel:BYTE_0 src1_sel:DWORD
	s_or_b64 s[8:9], s[36:37], s[8:9]
	s_andn2_b64 exec, exec, s[8:9]
	s_cbranch_execnz .LBB33_43
; %bb.46:                               ;   in Loop: Header=BB33_40 Depth=1
	s_or_b64 exec, exec, s[8:9]
	s_branch .LBB33_39
.LBB33_47:                              ;   in Loop: Header=BB33_40 Depth=1
                                        ; implicit-def: $vgpr18_vgpr19
                                        ; implicit-def: $vgpr20
	s_cbranch_execz .LBB33_40
; %bb.48:
	s_and_saveexec_b64 s[6:7], s[4:5]
	s_cbranch_execz .LBB33_50
; %bb.49:
	s_add_i32 s4, s33, 64
	s_mov_b32 s5, 0
	s_lshl_b64 s[4:5], s[4:5], 4
	s_add_u32 s4, s10, s4
	v_add_co_u32_e32 v14, vcc, v26, v14
	s_addc_u32 s5, s11, s5
	v_addc_co_u32_e32 v15, vcc, v27, v15, vcc
	v_mov_b32_e32 v16, 2
	v_mov_b32_e32 v17, 0
	v_pk_mov_b32 v[18:19], s[4:5], s[4:5] op_sel:[0,1]
	;;#ASMSTART
	global_store_dwordx4 v[18:19], v[14:17] off	
s_waitcnt vmcnt(0)
	;;#ASMEND
.LBB33_50:
	s_or_b64 exec, exec, s[6:7]
	s_and_b64 exec, exec, s[2:3]
	s_cbranch_execz .LBB33_52
; %bb.51:
	v_mov_b32_e32 v1, 0
	ds_write_b64 v1, v[26:27]
.LBB33_52:
	s_or_b64 exec, exec, s[28:29]
	v_mov_b32_e32 v1, 0
	s_waitcnt lgkmcnt(0)
	s_barrier
	ds_read_b64 v[14:15], v1
	v_add_co_u32_e32 v1, vcc, v22, v2
	v_addc_co_u32_e32 v16, vcc, v23, v3, vcc
	s_waitcnt lgkmcnt(0)
	v_add_co_u32_e32 v24, vcc, v1, v14
	v_addc_co_u32_e32 v25, vcc, v16, v15, vcc
	v_add_co_u32_e32 v30, vcc, v24, v4
	v_addc_co_u32_e32 v31, vcc, v25, v5, vcc
	;; [unrolled: 2-line block ×7, first 2 shown]
	s_branch .LBB33_67
.LBB33_53:
                                        ; implicit-def: $vgpr22_vgpr23
                                        ; implicit-def: $vgpr34_vgpr35
                                        ; implicit-def: $vgpr32_vgpr33
                                        ; implicit-def: $vgpr30_vgpr31
                                        ; implicit-def: $vgpr18_vgpr19_vgpr20_vgpr21
                                        ; implicit-def: $vgpr14_vgpr15_vgpr16_vgpr17
                                        ; implicit-def: $vgpr24_vgpr25_vgpr26_vgpr27
	s_cbranch_execz .LBB33_67
; %bb.54:
	s_cmp_lg_u64 s[16:17], 0
	s_cselect_b64 s[4:5], -1, 0
	s_and_b64 s[6:7], s[2:3], s[4:5]
	s_and_saveexec_b64 s[4:5], s[6:7]
	s_cbranch_execz .LBB33_56
; %bb.55:
	v_mov_b32_e32 v1, 0
	global_load_dwordx2 v[14:15], v1, s[12:13]
	s_waitcnt vmcnt(0)
	v_add_co_u32_e32 v2, vcc, v14, v2
	v_addc_co_u32_e32 v3, vcc, v15, v3, vcc
.LBB33_56:
	s_or_b64 exec, exec, s[4:5]
	v_add_co_u32_e32 v30, vcc, v4, v2
	v_addc_co_u32_e32 v31, vcc, v5, v3, vcc
	v_add_co_u32_e32 v14, vcc, v30, v10
	v_addc_co_u32_e32 v15, vcc, v31, v11, vcc
	;; [unrolled: 2-line block ×6, first 2 shown]
	v_add_lshl_u32 v1, v38, v0, 3
	v_cmp_gt_u32_e32 vcc, 64, v0
	ds_write_b64 v1, v[22:23]
	s_waitcnt lgkmcnt(0)
	s_barrier
	s_and_saveexec_b64 s[6:7], vcc
	s_cbranch_execz .LBB33_60
; %bb.57:
	v_lshlrev_b32_e32 v1, 1, v0
	v_lshrrev_b32_e32 v16, 4, v0
	v_add_lshl_u32 v17, v16, v1, 3
	ds_read2_b64 v[24:27], v17 offset1:1
	v_mbcnt_lo_u32_b32 v1, -1, 0
	v_mbcnt_hi_u32_b32 v20, -1, v1
	v_and_b32_e32 v1, 15, v20
	v_cmp_ne_u32_e64 s[4:5], 0, v20
	s_waitcnt lgkmcnt(0)
	v_add_co_u32_e32 v21, vcc, v26, v24
	v_addc_co_u32_e32 v26, vcc, v27, v25, vcc
	s_nop 0
	v_mov_b32_dpp v16, v21 row_shr:1 row_mask:0xf bank_mask:0xf
	v_add_co_u32_e32 v16, vcc, v21, v16
	v_addc_co_u32_e32 v38, vcc, 0, v26, vcc
	v_mov_b32_dpp v27, v26 row_shr:1 row_mask:0xf bank_mask:0xf
	v_add_co_u32_e32 v39, vcc, 0, v16
	v_addc_co_u32_e32 v27, vcc, v27, v38, vcc
	v_cmp_eq_u32_e32 vcc, 0, v1
	v_cndmask_b32_e32 v16, v16, v21, vcc
	v_cndmask_b32_e32 v27, v27, v26, vcc
	v_cndmask_b32_e32 v38, v39, v21, vcc
	v_mov_b32_dpp v39, v16 row_shr:2 row_mask:0xf bank_mask:0xf
	v_mov_b32_dpp v40, v27 row_shr:2 row_mask:0xf bank_mask:0xf
	v_add_co_u32_e32 v39, vcc, v39, v38
	v_addc_co_u32_e32 v40, vcc, v40, v27, vcc
	v_cmp_lt_u32_e32 vcc, 1, v1
	v_cndmask_b32_e32 v16, v16, v39, vcc
	v_cndmask_b32_e32 v27, v27, v40, vcc
	v_cndmask_b32_e32 v38, v38, v39, vcc
	v_mov_b32_dpp v39, v16 row_shr:4 row_mask:0xf bank_mask:0xf
	v_mov_b32_dpp v40, v27 row_shr:4 row_mask:0xf bank_mask:0xf
	v_add_co_u32_e32 v39, vcc, v39, v38
	v_addc_co_u32_e32 v40, vcc, v40, v27, vcc
	v_cmp_lt_u32_e32 vcc, 3, v1
	;; [unrolled: 8-line block ×3, first 2 shown]
	v_cndmask_b32_e32 v41, v16, v39, vcc
	v_cndmask_b32_e32 v1, v27, v40, vcc
	;; [unrolled: 1-line block ×3, first 2 shown]
	v_mov_b32_dpp v27, v41 row_bcast:15 row_mask:0xf bank_mask:0xf
	v_mov_b32_dpp v38, v1 row_bcast:15 row_mask:0xf bank_mask:0xf
	v_add_co_u32_e32 v27, vcc, v27, v16
	v_and_b32_e32 v40, 16, v20
	v_addc_co_u32_e32 v39, vcc, v38, v1, vcc
	v_cmp_eq_u32_e32 vcc, 0, v40
	v_cndmask_b32_e32 v40, v39, v1, vcc
	v_cndmask_b32_e32 v38, v27, v41, vcc
	s_nop 0
	v_mov_b32_dpp v40, v40 row_bcast:31 row_mask:0xf bank_mask:0xf
	v_mov_b32_dpp v38, v38 row_bcast:31 row_mask:0xf bank_mask:0xf
	s_and_saveexec_b64 s[8:9], s[4:5]
; %bb.58:
	v_cndmask_b32_e32 v1, v39, v1, vcc
	v_cndmask_b32_e32 v16, v27, v16, vcc
	v_cmp_lt_u32_e32 vcc, 31, v20
	v_cndmask_b32_e32 v21, 0, v38, vcc
	v_cndmask_b32_e32 v26, 0, v40, vcc
	v_add_co_u32_e32 v21, vcc, v21, v16
	v_addc_co_u32_e32 v26, vcc, v26, v1, vcc
; %bb.59:
	s_or_b64 exec, exec, s[8:9]
	v_add_u32_e32 v1, -1, v20
	v_and_b32_e32 v16, 64, v20
	v_cmp_lt_i32_e32 vcc, v1, v16
	v_cndmask_b32_e32 v1, v1, v20, vcc
	v_lshlrev_b32_e32 v1, 2, v1
	ds_bpermute_b32 v16, v1, v21
	ds_bpermute_b32 v1, v1, v26
	; wave barrier
	s_waitcnt lgkmcnt(1)
	v_add_co_u32_e32 v16, vcc, v24, v16
	v_addc_co_u32_e32 v20, vcc, 0, v25, vcc
	v_add_co_u32_e32 v16, vcc, 0, v16
	s_waitcnt lgkmcnt(0)
	v_addc_co_u32_e32 v1, vcc, v20, v1, vcc
	v_cndmask_b32_e64 v21, v1, v23, s[2:3]
	v_cndmask_b32_e64 v20, v16, v22, s[2:3]
	ds_write_b64 v17, v[20:21]
	; wave barrier
	ds_read_b64 v[24:25], v17 offset:8
	s_waitcnt lgkmcnt(0)
	v_add_co_u32_e32 v20, vcc, v24, v20
	v_addc_co_u32_e32 v21, vcc, v25, v21, vcc
	ds_write_b64 v17, v[20:21] offset:8
.LBB33_60:
	s_or_b64 exec, exec, s[6:7]
	v_pk_mov_b32 v[16:17], v[22:23], v[22:23] op_sel:[0,1]
	s_waitcnt lgkmcnt(0)
	s_barrier
	s_and_saveexec_b64 s[2:3], s[0:1]
	s_cbranch_execz .LBB33_62
; %bb.61:
	v_add_u32_e32 v1, -1, v0
	v_lshrrev_b32_e32 v16, 5, v1
	v_add_lshl_u32 v1, v16, v1, 3
	ds_read_b64 v[16:17], v1
.LBB33_62:
	s_or_b64 exec, exec, s[2:3]
	s_and_saveexec_b64 s[2:3], s[0:1]
	s_cbranch_execz .LBB33_64
; %bb.63:
	s_waitcnt lgkmcnt(0)
	v_add_co_u32_e32 v2, vcc, v16, v2
	v_addc_co_u32_e32 v3, vcc, v17, v3, vcc
	v_add_co_u32_e32 v30, vcc, v2, v4
	v_addc_co_u32_e32 v31, vcc, v3, v5, vcc
	;; [unrolled: 2-line block ×7, first 2 shown]
	;;#ASMSTART
	;;#ASMEND
.LBB33_64:
	s_or_b64 exec, exec, s[2:3]
	s_movk_i32 s0, 0x7f
	v_cmp_eq_u32_e32 vcc, s0, v0
	s_and_saveexec_b64 s[0:1], vcc
	s_cbranch_execz .LBB33_66
; %bb.65:
	s_add_u32 s2, s10, 0x400
	s_addc_u32 s3, s11, 0
	v_mov_b32_e32 v24, 2
	v_mov_b32_e32 v25, 0
	v_pk_mov_b32 v[4:5], s[2:3], s[2:3] op_sel:[0,1]
	;;#ASMSTART
	global_store_dwordx4 v[4:5], v[22:25] off	
s_waitcnt vmcnt(0)
	;;#ASMEND
.LBB33_66:
	s_or_b64 exec, exec, s[0:1]
	v_pk_mov_b32 v[24:25], v[2:3], v[2:3] op_sel:[0,1]
.LBB33_67:
	s_add_u32 s0, s24, s22
	s_addc_u32 s1, s25, s23
	s_add_u32 s2, s0, s26
	s_addc_u32 s3, s1, s27
	s_mov_b64 s[0:1], -1
	s_and_b64 vcc, exec, s[20:21]
	v_mul_u32_u24_e32 v1, 56, v0
	s_waitcnt lgkmcnt(0)
	s_barrier
	s_cbranch_vccz .LBB33_69
; %bb.68:
	v_mul_i32_i24_e32 v2, 0xffffffd0, v0
	v_mad_u32_u24 v16, v0, 56, v2
	ds_write2_b64 v1, v[24:25], v[30:31] offset1:1
	ds_write2_b64 v1, v[14:15], v[32:33] offset0:2 offset1:3
	ds_write2_b64 v1, v[18:19], v[34:35] offset0:4 offset1:5
	ds_write_b64 v1, v[22:23] offset:48
	s_waitcnt lgkmcnt(0)
	s_barrier
	ds_read2st64_b64 v[2:5], v16 offset1:2
	ds_read2st64_b64 v[6:9], v16 offset0:4 offset1:6
	ds_read2st64_b64 v[10:13], v16 offset0:8 offset1:10
	ds_read_b64 v[16:17], v16 offset:6144
	v_mov_b32_e32 v21, s3
	v_add_co_u32_e32 v20, vcc, s2, v36
	v_addc_co_u32_e32 v21, vcc, 0, v21, vcc
	s_waitcnt lgkmcnt(3)
	flat_store_dwordx2 v[20:21], v[2:3]
	flat_store_dwordx2 v[20:21], v[4:5] offset:1024
	s_waitcnt lgkmcnt(0)
	flat_store_dwordx2 v[20:21], v[6:7] offset:2048
	flat_store_dwordx2 v[20:21], v[8:9] offset:3072
	v_add_co_u32_e32 v2, vcc, 0x1000, v20
	v_addc_co_u32_e32 v3, vcc, 0, v21, vcc
	flat_store_dwordx2 v[2:3], v[10:11]
	flat_store_dwordx2 v[2:3], v[12:13] offset:1024
	flat_store_dwordx2 v[2:3], v[16:17] offset:2048
	s_mov_b64 s[0:1], 0
.LBB33_69:
	s_andn2_b64 vcc, exec, s[0:1]
	s_cbranch_vccnz .LBB33_108
; %bb.70:
	v_mul_i32_i24_e32 v2, 0xffffffd0, v0
	ds_write2_b64 v1, v[24:25], v[30:31] offset1:1
	ds_write2_b64 v1, v[14:15], v[32:33] offset0:2 offset1:3
	ds_write2_b64 v1, v[18:19], v[34:35] offset0:4 offset1:5
	ds_write_b64 v1, v[22:23] offset:48
	v_mad_u32_u24 v14, v0, 56, v2
	s_waitcnt lgkmcnt(0)
	s_barrier
	ds_read2st64_b64 v[2:5], v14 offset1:2
	ds_read2st64_b64 v[6:9], v14 offset0:4 offset1:6
	ds_read2st64_b64 v[10:13], v14 offset0:8 offset1:10
	ds_read_b64 v[14:15], v14 offset:6144
	v_mov_b32_e32 v17, s3
	v_add_co_u32_e32 v16, vcc, s2, v36
	v_addc_co_u32_e32 v17, vcc, 0, v17, vcc
	v_mov_b32_e32 v1, 0
	v_cmp_gt_u32_e32 vcc, s30, v0
	s_and_saveexec_b64 s[0:1], vcc
	s_cbranch_execz .LBB33_72
; %bb.71:
	s_waitcnt lgkmcnt(0)
	flat_store_dwordx2 v[16:17], v[2:3]
.LBB33_72:
	s_or_b64 exec, exec, s[0:1]
	v_or_b32_e32 v18, 0x80, v0
	v_cmp_gt_u32_e32 vcc, s30, v18
	s_and_saveexec_b64 s[0:1], vcc
	s_cbranch_execz .LBB33_74
; %bb.73:
	s_waitcnt lgkmcnt(0)
	flat_store_dwordx2 v[16:17], v[4:5] offset:1024
.LBB33_74:
	s_or_b64 exec, exec, s[0:1]
	v_or_b32_e32 v18, 0x100, v0
	v_cmp_gt_u32_e32 vcc, s30, v18
	s_and_saveexec_b64 s[0:1], vcc
	s_cbranch_execz .LBB33_76
; %bb.75:
	s_waitcnt lgkmcnt(0)
	flat_store_dwordx2 v[16:17], v[6:7] offset:2048
.LBB33_76:
	;; [unrolled: 9-line block ×3, first 2 shown]
	s_or_b64 exec, exec, s[0:1]
	v_or_b32_e32 v18, 0x200, v0
	v_cmp_gt_u32_e32 vcc, s30, v18
	s_and_saveexec_b64 s[0:1], vcc
	s_cbranch_execz .LBB33_80
; %bb.79:
	v_add_co_u32_e32 v18, vcc, 0x1000, v16
	v_addc_co_u32_e32 v19, vcc, 0, v17, vcc
	s_waitcnt lgkmcnt(0)
	flat_store_dwordx2 v[18:19], v[10:11]
.LBB33_80:
	s_or_b64 exec, exec, s[0:1]
	v_or_b32_e32 v18, 0x280, v0
	v_cmp_gt_u32_e32 vcc, s30, v18
	s_and_saveexec_b64 s[0:1], vcc
	s_cbranch_execz .LBB33_82
; %bb.81:
	v_add_co_u32_e32 v18, vcc, 0x1000, v16
	v_addc_co_u32_e32 v19, vcc, 0, v17, vcc
	s_waitcnt lgkmcnt(0)
	flat_store_dwordx2 v[18:19], v[12:13] offset:1024
.LBB33_82:
	s_or_b64 exec, exec, s[0:1]
	v_or_b32_e32 v18, 0x300, v0
	v_cmp_gt_u32_e32 vcc, s30, v18
	s_and_saveexec_b64 s[0:1], vcc
	s_cbranch_execz .LBB33_84
; %bb.83:
	v_add_co_u32_e32 v16, vcc, 0x1000, v16
	v_addc_co_u32_e32 v17, vcc, 0, v17, vcc
	s_waitcnt lgkmcnt(0)
	flat_store_dwordx2 v[16:17], v[14:15] offset:2048
.LBB33_84:
	s_or_b64 exec, exec, s[0:1]
	v_cmp_lt_u64_e64 s[0:1], s[18:19], 2
	s_and_b64 vcc, exec, s[0:1]
	s_cbranch_vccnz .LBB33_108
; %bb.85:
	s_add_u32 s0, s30, -1
	s_addc_u32 s1, s31, -1
	s_add_u32 s2, 0, 0x92481000
	s_addc_u32 s3, 0, 0x64
	s_add_i32 s3, s3, 0x249248c0
	s_mul_hi_u32 s7, s2, -7
	s_sub_i32 s7, s7, s2
	s_mul_i32 s8, s3, -7
	s_mul_i32 s4, s2, -7
	s_add_i32 s7, s7, s8
	s_mul_hi_u32 s5, s3, s4
	s_mul_i32 s6, s3, s4
	s_mul_i32 s9, s2, s7
	s_mul_hi_u32 s4, s2, s4
	s_mul_hi_u32 s8, s2, s7
	s_add_u32 s4, s4, s9
	s_addc_u32 s8, 0, s8
	s_add_u32 s4, s4, s6
	s_mul_hi_u32 s9, s3, s7
	s_addc_u32 s4, s8, s5
	s_addc_u32 s5, s9, 0
	s_mul_i32 s6, s3, s7
	s_add_u32 s4, s4, s6
	v_mov_b32_e32 v16, s4
	s_addc_u32 s5, 0, s5
	v_add_co_u32_e32 v16, vcc, s2, v16
	s_cmp_lg_u64 vcc, 0
	s_addc_u32 s2, s3, s5
	v_readfirstlane_b32 s5, v16
	s_mul_i32 s4, s0, s2
	s_mul_hi_u32 s6, s0, s5
	s_mul_hi_u32 s3, s0, s2
	s_add_u32 s4, s6, s4
	s_addc_u32 s3, 0, s3
	s_mul_hi_u32 s7, s1, s5
	s_mul_i32 s5, s1, s5
	s_add_u32 s4, s4, s5
	s_mul_hi_u32 s6, s1, s2
	s_addc_u32 s3, s3, s7
	s_addc_u32 s4, s6, 0
	s_mul_i32 s2, s1, s2
	s_add_u32 s2, s3, s2
	s_addc_u32 s3, 0, s4
	s_add_u32 s4, s2, 1
	s_addc_u32 s5, s3, 0
	s_add_u32 s6, s2, 2
	s_mul_i32 s8, s3, 7
	s_mul_hi_u32 s9, s2, 7
	s_addc_u32 s7, s3, 0
	s_add_i32 s9, s9, s8
	s_mul_i32 s8, s2, 7
	v_mov_b32_e32 v16, s8
	v_sub_co_u32_e32 v16, vcc, s0, v16
	s_cmp_lg_u64 vcc, 0
	s_subb_u32 s8, s1, s9
	v_subrev_co_u32_e32 v17, vcc, 7, v16
	s_cmp_lg_u64 vcc, 0
	s_subb_u32 s9, s8, 0
	v_readfirstlane_b32 s10, v17
	s_cmp_gt_u32 s10, 6
	s_cselect_b32 s10, -1, 0
	s_cmp_eq_u32 s9, 0
	s_cselect_b32 s9, s10, -1
	s_cmp_lg_u32 s9, 0
	s_cselect_b32 s4, s6, s4
	v_readfirstlane_b32 s6, v16
	s_cselect_b32 s5, s7, s5
	s_cmp_gt_u32 s6, 6
	s_cselect_b32 s6, -1, 0
	s_cmp_eq_u32 s8, 0
	s_cselect_b32 s6, s6, -1
	s_cmp_lg_u32 s6, 0
	s_cselect_b32 s3, s5, s3
	s_cselect_b32 s2, s4, s2
	v_cmp_eq_u64_e32 vcc, s[2:3], v[0:1]
	s_and_saveexec_b64 s[2:3], vcc
	s_cbranch_execz .LBB33_108
; %bb.86:
	v_mul_hi_u32_u24_e32 v1, 7, v0
	v_mov_b32_e32 v16, s1
	v_sub_co_u32_e32 v0, vcc, s0, v37
	v_subb_co_u32_e32 v1, vcc, v16, v1, vcc
	v_cmp_lt_i64_e32 vcc, 3, v[0:1]
	s_and_saveexec_b64 s[0:1], vcc
	s_xor_b64 s[0:1], exec, s[0:1]
	s_cbranch_execz .LBB33_96
; %bb.87:
	v_cmp_lt_i64_e32 vcc, 4, v[0:1]
	s_and_saveexec_b64 s[2:3], vcc
	s_xor_b64 s[2:3], exec, s[2:3]
	s_cbranch_execz .LBB33_93
; %bb.88:
	;; [unrolled: 5-line block ×3, first 2 shown]
	v_mov_b32_e32 v0, 0
	s_waitcnt lgkmcnt(0)
	global_store_dwordx2 v0, v[14:15], s[14:15]
                                        ; implicit-def: $vgpr10_vgpr11_vgpr12_vgpr13
.LBB33_90:
	s_andn2_saveexec_b64 s[4:5], s[4:5]
	s_cbranch_execz .LBB33_92
; %bb.91:
	v_mov_b32_e32 v0, 0
	s_waitcnt lgkmcnt(0)
	global_store_dwordx2 v0, v[12:13], s[14:15]
.LBB33_92:
	s_or_b64 exec, exec, s[4:5]
                                        ; implicit-def: $vgpr10_vgpr11_vgpr12_vgpr13
.LBB33_93:
	s_andn2_saveexec_b64 s[2:3], s[2:3]
	s_cbranch_execz .LBB33_95
; %bb.94:
	v_mov_b32_e32 v0, 0
	s_waitcnt lgkmcnt(0)
	global_store_dwordx2 v0, v[10:11], s[14:15]
.LBB33_95:
	s_or_b64 exec, exec, s[2:3]
                                        ; implicit-def: $vgpr0_vgpr1
                                        ; implicit-def: $vgpr2_vgpr3_vgpr4_vgpr5
                                        ; implicit-def: $vgpr6_vgpr7_vgpr8_vgpr9
.LBB33_96:
	s_andn2_saveexec_b64 s[0:1], s[0:1]
	s_cbranch_execz .LBB33_108
; %bb.97:
	v_cmp_lt_i64_e32 vcc, 1, v[0:1]
	s_and_saveexec_b64 s[0:1], vcc
	s_xor_b64 s[0:1], exec, s[0:1]
	s_cbranch_execz .LBB33_103
; %bb.98:
	v_cmp_lt_i64_e32 vcc, 2, v[0:1]
	s_and_saveexec_b64 s[2:3], vcc
	s_xor_b64 s[2:3], exec, s[2:3]
	s_cbranch_execz .LBB33_100
; %bb.99:
	v_mov_b32_e32 v0, 0
	s_waitcnt lgkmcnt(0)
	global_store_dwordx2 v0, v[8:9], s[14:15]
                                        ; implicit-def: $vgpr6_vgpr7_vgpr8_vgpr9
.LBB33_100:
	s_andn2_saveexec_b64 s[2:3], s[2:3]
	s_cbranch_execz .LBB33_102
; %bb.101:
	v_mov_b32_e32 v0, 0
	s_waitcnt lgkmcnt(0)
	global_store_dwordx2 v0, v[6:7], s[14:15]
.LBB33_102:
	s_or_b64 exec, exec, s[2:3]
                                        ; implicit-def: $vgpr2_vgpr3_vgpr4_vgpr5
                                        ; implicit-def: $vgpr0_vgpr1
.LBB33_103:
	s_andn2_saveexec_b64 s[0:1], s[0:1]
	s_cbranch_execz .LBB33_108
; %bb.104:
	v_cmp_ne_u64_e32 vcc, 1, v[0:1]
	s_and_saveexec_b64 s[0:1], vcc
	s_xor_b64 s[0:1], exec, s[0:1]
	s_cbranch_execz .LBB33_106
; %bb.105:
	v_mov_b32_e32 v0, 0
	s_waitcnt lgkmcnt(0)
	global_store_dwordx2 v0, v[2:3], s[14:15]
                                        ; implicit-def: $vgpr2_vgpr3_vgpr4_vgpr5
.LBB33_106:
	s_andn2_saveexec_b64 s[0:1], s[0:1]
	s_cbranch_execz .LBB33_108
; %bb.107:
	v_mov_b32_e32 v0, 0
	s_waitcnt lgkmcnt(0)
	global_store_dwordx2 v0, v[4:5], s[14:15]
.LBB33_108:
	s_endpgm
	.section	.rodata,"a",@progbits
	.p2align	6, 0x0
	.amdhsa_kernel _ZN7rocprim17ROCPRIM_400000_NS6detail17trampoline_kernelINS0_14default_configENS1_20scan_config_selectorIxEEZZNS1_9scan_implILNS1_25lookback_scan_determinismE0ELb0ELb0ES3_N6thrust23THRUST_200600_302600_NS6detail15normal_iteratorINS9_10device_ptrIxEEEESE_xNS9_4plusIvEExEEDaPvRmT3_T4_T5_mT6_P12ihipStream_tbENKUlT_T0_E_clISt17integral_constantIbLb1EESU_EEDaSP_SQ_EUlSP_E_NS1_11comp_targetILNS1_3genE4ELNS1_11target_archE910ELNS1_3gpuE8ELNS1_3repE0EEENS1_30default_config_static_selectorELNS0_4arch9wavefront6targetE1EEEvT1_
		.amdhsa_group_segment_fixed_size 7168
		.amdhsa_private_segment_fixed_size 0
		.amdhsa_kernarg_size 104
		.amdhsa_user_sgpr_count 6
		.amdhsa_user_sgpr_private_segment_buffer 1
		.amdhsa_user_sgpr_dispatch_ptr 0
		.amdhsa_user_sgpr_queue_ptr 0
		.amdhsa_user_sgpr_kernarg_segment_ptr 1
		.amdhsa_user_sgpr_dispatch_id 0
		.amdhsa_user_sgpr_flat_scratch_init 0
		.amdhsa_user_sgpr_kernarg_preload_length 0
		.amdhsa_user_sgpr_kernarg_preload_offset 0
		.amdhsa_user_sgpr_private_segment_size 0
		.amdhsa_uses_dynamic_stack 0
		.amdhsa_system_sgpr_private_segment_wavefront_offset 0
		.amdhsa_system_sgpr_workgroup_id_x 1
		.amdhsa_system_sgpr_workgroup_id_y 0
		.amdhsa_system_sgpr_workgroup_id_z 0
		.amdhsa_system_sgpr_workgroup_info 0
		.amdhsa_system_vgpr_workitem_id 0
		.amdhsa_next_free_vgpr 51
		.amdhsa_next_free_sgpr 38
		.amdhsa_accum_offset 52
		.amdhsa_reserve_vcc 1
		.amdhsa_reserve_flat_scratch 0
		.amdhsa_float_round_mode_32 0
		.amdhsa_float_round_mode_16_64 0
		.amdhsa_float_denorm_mode_32 3
		.amdhsa_float_denorm_mode_16_64 3
		.amdhsa_dx10_clamp 1
		.amdhsa_ieee_mode 1
		.amdhsa_fp16_overflow 0
		.amdhsa_tg_split 0
		.amdhsa_exception_fp_ieee_invalid_op 0
		.amdhsa_exception_fp_denorm_src 0
		.amdhsa_exception_fp_ieee_div_zero 0
		.amdhsa_exception_fp_ieee_overflow 0
		.amdhsa_exception_fp_ieee_underflow 0
		.amdhsa_exception_fp_ieee_inexact 0
		.amdhsa_exception_int_div_zero 0
	.end_amdhsa_kernel
	.section	.text._ZN7rocprim17ROCPRIM_400000_NS6detail17trampoline_kernelINS0_14default_configENS1_20scan_config_selectorIxEEZZNS1_9scan_implILNS1_25lookback_scan_determinismE0ELb0ELb0ES3_N6thrust23THRUST_200600_302600_NS6detail15normal_iteratorINS9_10device_ptrIxEEEESE_xNS9_4plusIvEExEEDaPvRmT3_T4_T5_mT6_P12ihipStream_tbENKUlT_T0_E_clISt17integral_constantIbLb1EESU_EEDaSP_SQ_EUlSP_E_NS1_11comp_targetILNS1_3genE4ELNS1_11target_archE910ELNS1_3gpuE8ELNS1_3repE0EEENS1_30default_config_static_selectorELNS0_4arch9wavefront6targetE1EEEvT1_,"axG",@progbits,_ZN7rocprim17ROCPRIM_400000_NS6detail17trampoline_kernelINS0_14default_configENS1_20scan_config_selectorIxEEZZNS1_9scan_implILNS1_25lookback_scan_determinismE0ELb0ELb0ES3_N6thrust23THRUST_200600_302600_NS6detail15normal_iteratorINS9_10device_ptrIxEEEESE_xNS9_4plusIvEExEEDaPvRmT3_T4_T5_mT6_P12ihipStream_tbENKUlT_T0_E_clISt17integral_constantIbLb1EESU_EEDaSP_SQ_EUlSP_E_NS1_11comp_targetILNS1_3genE4ELNS1_11target_archE910ELNS1_3gpuE8ELNS1_3repE0EEENS1_30default_config_static_selectorELNS0_4arch9wavefront6targetE1EEEvT1_,comdat
.Lfunc_end33:
	.size	_ZN7rocprim17ROCPRIM_400000_NS6detail17trampoline_kernelINS0_14default_configENS1_20scan_config_selectorIxEEZZNS1_9scan_implILNS1_25lookback_scan_determinismE0ELb0ELb0ES3_N6thrust23THRUST_200600_302600_NS6detail15normal_iteratorINS9_10device_ptrIxEEEESE_xNS9_4plusIvEExEEDaPvRmT3_T4_T5_mT6_P12ihipStream_tbENKUlT_T0_E_clISt17integral_constantIbLb1EESU_EEDaSP_SQ_EUlSP_E_NS1_11comp_targetILNS1_3genE4ELNS1_11target_archE910ELNS1_3gpuE8ELNS1_3repE0EEENS1_30default_config_static_selectorELNS0_4arch9wavefront6targetE1EEEvT1_, .Lfunc_end33-_ZN7rocprim17ROCPRIM_400000_NS6detail17trampoline_kernelINS0_14default_configENS1_20scan_config_selectorIxEEZZNS1_9scan_implILNS1_25lookback_scan_determinismE0ELb0ELb0ES3_N6thrust23THRUST_200600_302600_NS6detail15normal_iteratorINS9_10device_ptrIxEEEESE_xNS9_4plusIvEExEEDaPvRmT3_T4_T5_mT6_P12ihipStream_tbENKUlT_T0_E_clISt17integral_constantIbLb1EESU_EEDaSP_SQ_EUlSP_E_NS1_11comp_targetILNS1_3genE4ELNS1_11target_archE910ELNS1_3gpuE8ELNS1_3repE0EEENS1_30default_config_static_selectorELNS0_4arch9wavefront6targetE1EEEvT1_
                                        ; -- End function
	.section	.AMDGPU.csdata,"",@progbits
; Kernel info:
; codeLenInByte = 5780
; NumSgprs: 42
; NumVgprs: 51
; NumAgprs: 0
; TotalNumVgprs: 51
; ScratchSize: 0
; MemoryBound: 0
; FloatMode: 240
; IeeeMode: 1
; LDSByteSize: 7168 bytes/workgroup (compile time only)
; SGPRBlocks: 5
; VGPRBlocks: 6
; NumSGPRsForWavesPerEU: 42
; NumVGPRsForWavesPerEU: 51
; AccumOffset: 52
; Occupancy: 5
; WaveLimiterHint : 1
; COMPUTE_PGM_RSRC2:SCRATCH_EN: 0
; COMPUTE_PGM_RSRC2:USER_SGPR: 6
; COMPUTE_PGM_RSRC2:TRAP_HANDLER: 0
; COMPUTE_PGM_RSRC2:TGID_X_EN: 1
; COMPUTE_PGM_RSRC2:TGID_Y_EN: 0
; COMPUTE_PGM_RSRC2:TGID_Z_EN: 0
; COMPUTE_PGM_RSRC2:TIDIG_COMP_CNT: 0
; COMPUTE_PGM_RSRC3_GFX90A:ACCUM_OFFSET: 12
; COMPUTE_PGM_RSRC3_GFX90A:TG_SPLIT: 0
	.section	.text._ZN7rocprim17ROCPRIM_400000_NS6detail17trampoline_kernelINS0_14default_configENS1_20scan_config_selectorIxEEZZNS1_9scan_implILNS1_25lookback_scan_determinismE0ELb0ELb0ES3_N6thrust23THRUST_200600_302600_NS6detail15normal_iteratorINS9_10device_ptrIxEEEESE_xNS9_4plusIvEExEEDaPvRmT3_T4_T5_mT6_P12ihipStream_tbENKUlT_T0_E_clISt17integral_constantIbLb1EESU_EEDaSP_SQ_EUlSP_E_NS1_11comp_targetILNS1_3genE3ELNS1_11target_archE908ELNS1_3gpuE7ELNS1_3repE0EEENS1_30default_config_static_selectorELNS0_4arch9wavefront6targetE1EEEvT1_,"axG",@progbits,_ZN7rocprim17ROCPRIM_400000_NS6detail17trampoline_kernelINS0_14default_configENS1_20scan_config_selectorIxEEZZNS1_9scan_implILNS1_25lookback_scan_determinismE0ELb0ELb0ES3_N6thrust23THRUST_200600_302600_NS6detail15normal_iteratorINS9_10device_ptrIxEEEESE_xNS9_4plusIvEExEEDaPvRmT3_T4_T5_mT6_P12ihipStream_tbENKUlT_T0_E_clISt17integral_constantIbLb1EESU_EEDaSP_SQ_EUlSP_E_NS1_11comp_targetILNS1_3genE3ELNS1_11target_archE908ELNS1_3gpuE7ELNS1_3repE0EEENS1_30default_config_static_selectorELNS0_4arch9wavefront6targetE1EEEvT1_,comdat
	.protected	_ZN7rocprim17ROCPRIM_400000_NS6detail17trampoline_kernelINS0_14default_configENS1_20scan_config_selectorIxEEZZNS1_9scan_implILNS1_25lookback_scan_determinismE0ELb0ELb0ES3_N6thrust23THRUST_200600_302600_NS6detail15normal_iteratorINS9_10device_ptrIxEEEESE_xNS9_4plusIvEExEEDaPvRmT3_T4_T5_mT6_P12ihipStream_tbENKUlT_T0_E_clISt17integral_constantIbLb1EESU_EEDaSP_SQ_EUlSP_E_NS1_11comp_targetILNS1_3genE3ELNS1_11target_archE908ELNS1_3gpuE7ELNS1_3repE0EEENS1_30default_config_static_selectorELNS0_4arch9wavefront6targetE1EEEvT1_ ; -- Begin function _ZN7rocprim17ROCPRIM_400000_NS6detail17trampoline_kernelINS0_14default_configENS1_20scan_config_selectorIxEEZZNS1_9scan_implILNS1_25lookback_scan_determinismE0ELb0ELb0ES3_N6thrust23THRUST_200600_302600_NS6detail15normal_iteratorINS9_10device_ptrIxEEEESE_xNS9_4plusIvEExEEDaPvRmT3_T4_T5_mT6_P12ihipStream_tbENKUlT_T0_E_clISt17integral_constantIbLb1EESU_EEDaSP_SQ_EUlSP_E_NS1_11comp_targetILNS1_3genE3ELNS1_11target_archE908ELNS1_3gpuE7ELNS1_3repE0EEENS1_30default_config_static_selectorELNS0_4arch9wavefront6targetE1EEEvT1_
	.globl	_ZN7rocprim17ROCPRIM_400000_NS6detail17trampoline_kernelINS0_14default_configENS1_20scan_config_selectorIxEEZZNS1_9scan_implILNS1_25lookback_scan_determinismE0ELb0ELb0ES3_N6thrust23THRUST_200600_302600_NS6detail15normal_iteratorINS9_10device_ptrIxEEEESE_xNS9_4plusIvEExEEDaPvRmT3_T4_T5_mT6_P12ihipStream_tbENKUlT_T0_E_clISt17integral_constantIbLb1EESU_EEDaSP_SQ_EUlSP_E_NS1_11comp_targetILNS1_3genE3ELNS1_11target_archE908ELNS1_3gpuE7ELNS1_3repE0EEENS1_30default_config_static_selectorELNS0_4arch9wavefront6targetE1EEEvT1_
	.p2align	8
	.type	_ZN7rocprim17ROCPRIM_400000_NS6detail17trampoline_kernelINS0_14default_configENS1_20scan_config_selectorIxEEZZNS1_9scan_implILNS1_25lookback_scan_determinismE0ELb0ELb0ES3_N6thrust23THRUST_200600_302600_NS6detail15normal_iteratorINS9_10device_ptrIxEEEESE_xNS9_4plusIvEExEEDaPvRmT3_T4_T5_mT6_P12ihipStream_tbENKUlT_T0_E_clISt17integral_constantIbLb1EESU_EEDaSP_SQ_EUlSP_E_NS1_11comp_targetILNS1_3genE3ELNS1_11target_archE908ELNS1_3gpuE7ELNS1_3repE0EEENS1_30default_config_static_selectorELNS0_4arch9wavefront6targetE1EEEvT1_,@function
_ZN7rocprim17ROCPRIM_400000_NS6detail17trampoline_kernelINS0_14default_configENS1_20scan_config_selectorIxEEZZNS1_9scan_implILNS1_25lookback_scan_determinismE0ELb0ELb0ES3_N6thrust23THRUST_200600_302600_NS6detail15normal_iteratorINS9_10device_ptrIxEEEESE_xNS9_4plusIvEExEEDaPvRmT3_T4_T5_mT6_P12ihipStream_tbENKUlT_T0_E_clISt17integral_constantIbLb1EESU_EEDaSP_SQ_EUlSP_E_NS1_11comp_targetILNS1_3genE3ELNS1_11target_archE908ELNS1_3gpuE7ELNS1_3repE0EEENS1_30default_config_static_selectorELNS0_4arch9wavefront6targetE1EEEvT1_: ; @_ZN7rocprim17ROCPRIM_400000_NS6detail17trampoline_kernelINS0_14default_configENS1_20scan_config_selectorIxEEZZNS1_9scan_implILNS1_25lookback_scan_determinismE0ELb0ELb0ES3_N6thrust23THRUST_200600_302600_NS6detail15normal_iteratorINS9_10device_ptrIxEEEESE_xNS9_4plusIvEExEEDaPvRmT3_T4_T5_mT6_P12ihipStream_tbENKUlT_T0_E_clISt17integral_constantIbLb1EESU_EEDaSP_SQ_EUlSP_E_NS1_11comp_targetILNS1_3genE3ELNS1_11target_archE908ELNS1_3gpuE7ELNS1_3repE0EEENS1_30default_config_static_selectorELNS0_4arch9wavefront6targetE1EEEvT1_
; %bb.0:
	.section	.rodata,"a",@progbits
	.p2align	6, 0x0
	.amdhsa_kernel _ZN7rocprim17ROCPRIM_400000_NS6detail17trampoline_kernelINS0_14default_configENS1_20scan_config_selectorIxEEZZNS1_9scan_implILNS1_25lookback_scan_determinismE0ELb0ELb0ES3_N6thrust23THRUST_200600_302600_NS6detail15normal_iteratorINS9_10device_ptrIxEEEESE_xNS9_4plusIvEExEEDaPvRmT3_T4_T5_mT6_P12ihipStream_tbENKUlT_T0_E_clISt17integral_constantIbLb1EESU_EEDaSP_SQ_EUlSP_E_NS1_11comp_targetILNS1_3genE3ELNS1_11target_archE908ELNS1_3gpuE7ELNS1_3repE0EEENS1_30default_config_static_selectorELNS0_4arch9wavefront6targetE1EEEvT1_
		.amdhsa_group_segment_fixed_size 0
		.amdhsa_private_segment_fixed_size 0
		.amdhsa_kernarg_size 104
		.amdhsa_user_sgpr_count 6
		.amdhsa_user_sgpr_private_segment_buffer 1
		.amdhsa_user_sgpr_dispatch_ptr 0
		.amdhsa_user_sgpr_queue_ptr 0
		.amdhsa_user_sgpr_kernarg_segment_ptr 1
		.amdhsa_user_sgpr_dispatch_id 0
		.amdhsa_user_sgpr_flat_scratch_init 0
		.amdhsa_user_sgpr_kernarg_preload_length 0
		.amdhsa_user_sgpr_kernarg_preload_offset 0
		.amdhsa_user_sgpr_private_segment_size 0
		.amdhsa_uses_dynamic_stack 0
		.amdhsa_system_sgpr_private_segment_wavefront_offset 0
		.amdhsa_system_sgpr_workgroup_id_x 1
		.amdhsa_system_sgpr_workgroup_id_y 0
		.amdhsa_system_sgpr_workgroup_id_z 0
		.amdhsa_system_sgpr_workgroup_info 0
		.amdhsa_system_vgpr_workitem_id 0
		.amdhsa_next_free_vgpr 1
		.amdhsa_next_free_sgpr 0
		.amdhsa_accum_offset 4
		.amdhsa_reserve_vcc 0
		.amdhsa_reserve_flat_scratch 0
		.amdhsa_float_round_mode_32 0
		.amdhsa_float_round_mode_16_64 0
		.amdhsa_float_denorm_mode_32 3
		.amdhsa_float_denorm_mode_16_64 3
		.amdhsa_dx10_clamp 1
		.amdhsa_ieee_mode 1
		.amdhsa_fp16_overflow 0
		.amdhsa_tg_split 0
		.amdhsa_exception_fp_ieee_invalid_op 0
		.amdhsa_exception_fp_denorm_src 0
		.amdhsa_exception_fp_ieee_div_zero 0
		.amdhsa_exception_fp_ieee_overflow 0
		.amdhsa_exception_fp_ieee_underflow 0
		.amdhsa_exception_fp_ieee_inexact 0
		.amdhsa_exception_int_div_zero 0
	.end_amdhsa_kernel
	.section	.text._ZN7rocprim17ROCPRIM_400000_NS6detail17trampoline_kernelINS0_14default_configENS1_20scan_config_selectorIxEEZZNS1_9scan_implILNS1_25lookback_scan_determinismE0ELb0ELb0ES3_N6thrust23THRUST_200600_302600_NS6detail15normal_iteratorINS9_10device_ptrIxEEEESE_xNS9_4plusIvEExEEDaPvRmT3_T4_T5_mT6_P12ihipStream_tbENKUlT_T0_E_clISt17integral_constantIbLb1EESU_EEDaSP_SQ_EUlSP_E_NS1_11comp_targetILNS1_3genE3ELNS1_11target_archE908ELNS1_3gpuE7ELNS1_3repE0EEENS1_30default_config_static_selectorELNS0_4arch9wavefront6targetE1EEEvT1_,"axG",@progbits,_ZN7rocprim17ROCPRIM_400000_NS6detail17trampoline_kernelINS0_14default_configENS1_20scan_config_selectorIxEEZZNS1_9scan_implILNS1_25lookback_scan_determinismE0ELb0ELb0ES3_N6thrust23THRUST_200600_302600_NS6detail15normal_iteratorINS9_10device_ptrIxEEEESE_xNS9_4plusIvEExEEDaPvRmT3_T4_T5_mT6_P12ihipStream_tbENKUlT_T0_E_clISt17integral_constantIbLb1EESU_EEDaSP_SQ_EUlSP_E_NS1_11comp_targetILNS1_3genE3ELNS1_11target_archE908ELNS1_3gpuE7ELNS1_3repE0EEENS1_30default_config_static_selectorELNS0_4arch9wavefront6targetE1EEEvT1_,comdat
.Lfunc_end34:
	.size	_ZN7rocprim17ROCPRIM_400000_NS6detail17trampoline_kernelINS0_14default_configENS1_20scan_config_selectorIxEEZZNS1_9scan_implILNS1_25lookback_scan_determinismE0ELb0ELb0ES3_N6thrust23THRUST_200600_302600_NS6detail15normal_iteratorINS9_10device_ptrIxEEEESE_xNS9_4plusIvEExEEDaPvRmT3_T4_T5_mT6_P12ihipStream_tbENKUlT_T0_E_clISt17integral_constantIbLb1EESU_EEDaSP_SQ_EUlSP_E_NS1_11comp_targetILNS1_3genE3ELNS1_11target_archE908ELNS1_3gpuE7ELNS1_3repE0EEENS1_30default_config_static_selectorELNS0_4arch9wavefront6targetE1EEEvT1_, .Lfunc_end34-_ZN7rocprim17ROCPRIM_400000_NS6detail17trampoline_kernelINS0_14default_configENS1_20scan_config_selectorIxEEZZNS1_9scan_implILNS1_25lookback_scan_determinismE0ELb0ELb0ES3_N6thrust23THRUST_200600_302600_NS6detail15normal_iteratorINS9_10device_ptrIxEEEESE_xNS9_4plusIvEExEEDaPvRmT3_T4_T5_mT6_P12ihipStream_tbENKUlT_T0_E_clISt17integral_constantIbLb1EESU_EEDaSP_SQ_EUlSP_E_NS1_11comp_targetILNS1_3genE3ELNS1_11target_archE908ELNS1_3gpuE7ELNS1_3repE0EEENS1_30default_config_static_selectorELNS0_4arch9wavefront6targetE1EEEvT1_
                                        ; -- End function
	.section	.AMDGPU.csdata,"",@progbits
; Kernel info:
; codeLenInByte = 0
; NumSgprs: 4
; NumVgprs: 0
; NumAgprs: 0
; TotalNumVgprs: 0
; ScratchSize: 0
; MemoryBound: 0
; FloatMode: 240
; IeeeMode: 1
; LDSByteSize: 0 bytes/workgroup (compile time only)
; SGPRBlocks: 0
; VGPRBlocks: 0
; NumSGPRsForWavesPerEU: 4
; NumVGPRsForWavesPerEU: 1
; AccumOffset: 4
; Occupancy: 8
; WaveLimiterHint : 0
; COMPUTE_PGM_RSRC2:SCRATCH_EN: 0
; COMPUTE_PGM_RSRC2:USER_SGPR: 6
; COMPUTE_PGM_RSRC2:TRAP_HANDLER: 0
; COMPUTE_PGM_RSRC2:TGID_X_EN: 1
; COMPUTE_PGM_RSRC2:TGID_Y_EN: 0
; COMPUTE_PGM_RSRC2:TGID_Z_EN: 0
; COMPUTE_PGM_RSRC2:TIDIG_COMP_CNT: 0
; COMPUTE_PGM_RSRC3_GFX90A:ACCUM_OFFSET: 0
; COMPUTE_PGM_RSRC3_GFX90A:TG_SPLIT: 0
	.section	.text._ZN7rocprim17ROCPRIM_400000_NS6detail17trampoline_kernelINS0_14default_configENS1_20scan_config_selectorIxEEZZNS1_9scan_implILNS1_25lookback_scan_determinismE0ELb0ELb0ES3_N6thrust23THRUST_200600_302600_NS6detail15normal_iteratorINS9_10device_ptrIxEEEESE_xNS9_4plusIvEExEEDaPvRmT3_T4_T5_mT6_P12ihipStream_tbENKUlT_T0_E_clISt17integral_constantIbLb1EESU_EEDaSP_SQ_EUlSP_E_NS1_11comp_targetILNS1_3genE2ELNS1_11target_archE906ELNS1_3gpuE6ELNS1_3repE0EEENS1_30default_config_static_selectorELNS0_4arch9wavefront6targetE1EEEvT1_,"axG",@progbits,_ZN7rocprim17ROCPRIM_400000_NS6detail17trampoline_kernelINS0_14default_configENS1_20scan_config_selectorIxEEZZNS1_9scan_implILNS1_25lookback_scan_determinismE0ELb0ELb0ES3_N6thrust23THRUST_200600_302600_NS6detail15normal_iteratorINS9_10device_ptrIxEEEESE_xNS9_4plusIvEExEEDaPvRmT3_T4_T5_mT6_P12ihipStream_tbENKUlT_T0_E_clISt17integral_constantIbLb1EESU_EEDaSP_SQ_EUlSP_E_NS1_11comp_targetILNS1_3genE2ELNS1_11target_archE906ELNS1_3gpuE6ELNS1_3repE0EEENS1_30default_config_static_selectorELNS0_4arch9wavefront6targetE1EEEvT1_,comdat
	.protected	_ZN7rocprim17ROCPRIM_400000_NS6detail17trampoline_kernelINS0_14default_configENS1_20scan_config_selectorIxEEZZNS1_9scan_implILNS1_25lookback_scan_determinismE0ELb0ELb0ES3_N6thrust23THRUST_200600_302600_NS6detail15normal_iteratorINS9_10device_ptrIxEEEESE_xNS9_4plusIvEExEEDaPvRmT3_T4_T5_mT6_P12ihipStream_tbENKUlT_T0_E_clISt17integral_constantIbLb1EESU_EEDaSP_SQ_EUlSP_E_NS1_11comp_targetILNS1_3genE2ELNS1_11target_archE906ELNS1_3gpuE6ELNS1_3repE0EEENS1_30default_config_static_selectorELNS0_4arch9wavefront6targetE1EEEvT1_ ; -- Begin function _ZN7rocprim17ROCPRIM_400000_NS6detail17trampoline_kernelINS0_14default_configENS1_20scan_config_selectorIxEEZZNS1_9scan_implILNS1_25lookback_scan_determinismE0ELb0ELb0ES3_N6thrust23THRUST_200600_302600_NS6detail15normal_iteratorINS9_10device_ptrIxEEEESE_xNS9_4plusIvEExEEDaPvRmT3_T4_T5_mT6_P12ihipStream_tbENKUlT_T0_E_clISt17integral_constantIbLb1EESU_EEDaSP_SQ_EUlSP_E_NS1_11comp_targetILNS1_3genE2ELNS1_11target_archE906ELNS1_3gpuE6ELNS1_3repE0EEENS1_30default_config_static_selectorELNS0_4arch9wavefront6targetE1EEEvT1_
	.globl	_ZN7rocprim17ROCPRIM_400000_NS6detail17trampoline_kernelINS0_14default_configENS1_20scan_config_selectorIxEEZZNS1_9scan_implILNS1_25lookback_scan_determinismE0ELb0ELb0ES3_N6thrust23THRUST_200600_302600_NS6detail15normal_iteratorINS9_10device_ptrIxEEEESE_xNS9_4plusIvEExEEDaPvRmT3_T4_T5_mT6_P12ihipStream_tbENKUlT_T0_E_clISt17integral_constantIbLb1EESU_EEDaSP_SQ_EUlSP_E_NS1_11comp_targetILNS1_3genE2ELNS1_11target_archE906ELNS1_3gpuE6ELNS1_3repE0EEENS1_30default_config_static_selectorELNS0_4arch9wavefront6targetE1EEEvT1_
	.p2align	8
	.type	_ZN7rocprim17ROCPRIM_400000_NS6detail17trampoline_kernelINS0_14default_configENS1_20scan_config_selectorIxEEZZNS1_9scan_implILNS1_25lookback_scan_determinismE0ELb0ELb0ES3_N6thrust23THRUST_200600_302600_NS6detail15normal_iteratorINS9_10device_ptrIxEEEESE_xNS9_4plusIvEExEEDaPvRmT3_T4_T5_mT6_P12ihipStream_tbENKUlT_T0_E_clISt17integral_constantIbLb1EESU_EEDaSP_SQ_EUlSP_E_NS1_11comp_targetILNS1_3genE2ELNS1_11target_archE906ELNS1_3gpuE6ELNS1_3repE0EEENS1_30default_config_static_selectorELNS0_4arch9wavefront6targetE1EEEvT1_,@function
_ZN7rocprim17ROCPRIM_400000_NS6detail17trampoline_kernelINS0_14default_configENS1_20scan_config_selectorIxEEZZNS1_9scan_implILNS1_25lookback_scan_determinismE0ELb0ELb0ES3_N6thrust23THRUST_200600_302600_NS6detail15normal_iteratorINS9_10device_ptrIxEEEESE_xNS9_4plusIvEExEEDaPvRmT3_T4_T5_mT6_P12ihipStream_tbENKUlT_T0_E_clISt17integral_constantIbLb1EESU_EEDaSP_SQ_EUlSP_E_NS1_11comp_targetILNS1_3genE2ELNS1_11target_archE906ELNS1_3gpuE6ELNS1_3repE0EEENS1_30default_config_static_selectorELNS0_4arch9wavefront6targetE1EEEvT1_: ; @_ZN7rocprim17ROCPRIM_400000_NS6detail17trampoline_kernelINS0_14default_configENS1_20scan_config_selectorIxEEZZNS1_9scan_implILNS1_25lookback_scan_determinismE0ELb0ELb0ES3_N6thrust23THRUST_200600_302600_NS6detail15normal_iteratorINS9_10device_ptrIxEEEESE_xNS9_4plusIvEExEEDaPvRmT3_T4_T5_mT6_P12ihipStream_tbENKUlT_T0_E_clISt17integral_constantIbLb1EESU_EEDaSP_SQ_EUlSP_E_NS1_11comp_targetILNS1_3genE2ELNS1_11target_archE906ELNS1_3gpuE6ELNS1_3repE0EEENS1_30default_config_static_selectorELNS0_4arch9wavefront6targetE1EEEvT1_
; %bb.0:
	.section	.rodata,"a",@progbits
	.p2align	6, 0x0
	.amdhsa_kernel _ZN7rocprim17ROCPRIM_400000_NS6detail17trampoline_kernelINS0_14default_configENS1_20scan_config_selectorIxEEZZNS1_9scan_implILNS1_25lookback_scan_determinismE0ELb0ELb0ES3_N6thrust23THRUST_200600_302600_NS6detail15normal_iteratorINS9_10device_ptrIxEEEESE_xNS9_4plusIvEExEEDaPvRmT3_T4_T5_mT6_P12ihipStream_tbENKUlT_T0_E_clISt17integral_constantIbLb1EESU_EEDaSP_SQ_EUlSP_E_NS1_11comp_targetILNS1_3genE2ELNS1_11target_archE906ELNS1_3gpuE6ELNS1_3repE0EEENS1_30default_config_static_selectorELNS0_4arch9wavefront6targetE1EEEvT1_
		.amdhsa_group_segment_fixed_size 0
		.amdhsa_private_segment_fixed_size 0
		.amdhsa_kernarg_size 104
		.amdhsa_user_sgpr_count 6
		.amdhsa_user_sgpr_private_segment_buffer 1
		.amdhsa_user_sgpr_dispatch_ptr 0
		.amdhsa_user_sgpr_queue_ptr 0
		.amdhsa_user_sgpr_kernarg_segment_ptr 1
		.amdhsa_user_sgpr_dispatch_id 0
		.amdhsa_user_sgpr_flat_scratch_init 0
		.amdhsa_user_sgpr_kernarg_preload_length 0
		.amdhsa_user_sgpr_kernarg_preload_offset 0
		.amdhsa_user_sgpr_private_segment_size 0
		.amdhsa_uses_dynamic_stack 0
		.amdhsa_system_sgpr_private_segment_wavefront_offset 0
		.amdhsa_system_sgpr_workgroup_id_x 1
		.amdhsa_system_sgpr_workgroup_id_y 0
		.amdhsa_system_sgpr_workgroup_id_z 0
		.amdhsa_system_sgpr_workgroup_info 0
		.amdhsa_system_vgpr_workitem_id 0
		.amdhsa_next_free_vgpr 1
		.amdhsa_next_free_sgpr 0
		.amdhsa_accum_offset 4
		.amdhsa_reserve_vcc 0
		.amdhsa_reserve_flat_scratch 0
		.amdhsa_float_round_mode_32 0
		.amdhsa_float_round_mode_16_64 0
		.amdhsa_float_denorm_mode_32 3
		.amdhsa_float_denorm_mode_16_64 3
		.amdhsa_dx10_clamp 1
		.amdhsa_ieee_mode 1
		.amdhsa_fp16_overflow 0
		.amdhsa_tg_split 0
		.amdhsa_exception_fp_ieee_invalid_op 0
		.amdhsa_exception_fp_denorm_src 0
		.amdhsa_exception_fp_ieee_div_zero 0
		.amdhsa_exception_fp_ieee_overflow 0
		.amdhsa_exception_fp_ieee_underflow 0
		.amdhsa_exception_fp_ieee_inexact 0
		.amdhsa_exception_int_div_zero 0
	.end_amdhsa_kernel
	.section	.text._ZN7rocprim17ROCPRIM_400000_NS6detail17trampoline_kernelINS0_14default_configENS1_20scan_config_selectorIxEEZZNS1_9scan_implILNS1_25lookback_scan_determinismE0ELb0ELb0ES3_N6thrust23THRUST_200600_302600_NS6detail15normal_iteratorINS9_10device_ptrIxEEEESE_xNS9_4plusIvEExEEDaPvRmT3_T4_T5_mT6_P12ihipStream_tbENKUlT_T0_E_clISt17integral_constantIbLb1EESU_EEDaSP_SQ_EUlSP_E_NS1_11comp_targetILNS1_3genE2ELNS1_11target_archE906ELNS1_3gpuE6ELNS1_3repE0EEENS1_30default_config_static_selectorELNS0_4arch9wavefront6targetE1EEEvT1_,"axG",@progbits,_ZN7rocprim17ROCPRIM_400000_NS6detail17trampoline_kernelINS0_14default_configENS1_20scan_config_selectorIxEEZZNS1_9scan_implILNS1_25lookback_scan_determinismE0ELb0ELb0ES3_N6thrust23THRUST_200600_302600_NS6detail15normal_iteratorINS9_10device_ptrIxEEEESE_xNS9_4plusIvEExEEDaPvRmT3_T4_T5_mT6_P12ihipStream_tbENKUlT_T0_E_clISt17integral_constantIbLb1EESU_EEDaSP_SQ_EUlSP_E_NS1_11comp_targetILNS1_3genE2ELNS1_11target_archE906ELNS1_3gpuE6ELNS1_3repE0EEENS1_30default_config_static_selectorELNS0_4arch9wavefront6targetE1EEEvT1_,comdat
.Lfunc_end35:
	.size	_ZN7rocprim17ROCPRIM_400000_NS6detail17trampoline_kernelINS0_14default_configENS1_20scan_config_selectorIxEEZZNS1_9scan_implILNS1_25lookback_scan_determinismE0ELb0ELb0ES3_N6thrust23THRUST_200600_302600_NS6detail15normal_iteratorINS9_10device_ptrIxEEEESE_xNS9_4plusIvEExEEDaPvRmT3_T4_T5_mT6_P12ihipStream_tbENKUlT_T0_E_clISt17integral_constantIbLb1EESU_EEDaSP_SQ_EUlSP_E_NS1_11comp_targetILNS1_3genE2ELNS1_11target_archE906ELNS1_3gpuE6ELNS1_3repE0EEENS1_30default_config_static_selectorELNS0_4arch9wavefront6targetE1EEEvT1_, .Lfunc_end35-_ZN7rocprim17ROCPRIM_400000_NS6detail17trampoline_kernelINS0_14default_configENS1_20scan_config_selectorIxEEZZNS1_9scan_implILNS1_25lookback_scan_determinismE0ELb0ELb0ES3_N6thrust23THRUST_200600_302600_NS6detail15normal_iteratorINS9_10device_ptrIxEEEESE_xNS9_4plusIvEExEEDaPvRmT3_T4_T5_mT6_P12ihipStream_tbENKUlT_T0_E_clISt17integral_constantIbLb1EESU_EEDaSP_SQ_EUlSP_E_NS1_11comp_targetILNS1_3genE2ELNS1_11target_archE906ELNS1_3gpuE6ELNS1_3repE0EEENS1_30default_config_static_selectorELNS0_4arch9wavefront6targetE1EEEvT1_
                                        ; -- End function
	.section	.AMDGPU.csdata,"",@progbits
; Kernel info:
; codeLenInByte = 0
; NumSgprs: 4
; NumVgprs: 0
; NumAgprs: 0
; TotalNumVgprs: 0
; ScratchSize: 0
; MemoryBound: 0
; FloatMode: 240
; IeeeMode: 1
; LDSByteSize: 0 bytes/workgroup (compile time only)
; SGPRBlocks: 0
; VGPRBlocks: 0
; NumSGPRsForWavesPerEU: 4
; NumVGPRsForWavesPerEU: 1
; AccumOffset: 4
; Occupancy: 8
; WaveLimiterHint : 0
; COMPUTE_PGM_RSRC2:SCRATCH_EN: 0
; COMPUTE_PGM_RSRC2:USER_SGPR: 6
; COMPUTE_PGM_RSRC2:TRAP_HANDLER: 0
; COMPUTE_PGM_RSRC2:TGID_X_EN: 1
; COMPUTE_PGM_RSRC2:TGID_Y_EN: 0
; COMPUTE_PGM_RSRC2:TGID_Z_EN: 0
; COMPUTE_PGM_RSRC2:TIDIG_COMP_CNT: 0
; COMPUTE_PGM_RSRC3_GFX90A:ACCUM_OFFSET: 0
; COMPUTE_PGM_RSRC3_GFX90A:TG_SPLIT: 0
	.section	.text._ZN7rocprim17ROCPRIM_400000_NS6detail17trampoline_kernelINS0_14default_configENS1_20scan_config_selectorIxEEZZNS1_9scan_implILNS1_25lookback_scan_determinismE0ELb0ELb0ES3_N6thrust23THRUST_200600_302600_NS6detail15normal_iteratorINS9_10device_ptrIxEEEESE_xNS9_4plusIvEExEEDaPvRmT3_T4_T5_mT6_P12ihipStream_tbENKUlT_T0_E_clISt17integral_constantIbLb1EESU_EEDaSP_SQ_EUlSP_E_NS1_11comp_targetILNS1_3genE10ELNS1_11target_archE1201ELNS1_3gpuE5ELNS1_3repE0EEENS1_30default_config_static_selectorELNS0_4arch9wavefront6targetE1EEEvT1_,"axG",@progbits,_ZN7rocprim17ROCPRIM_400000_NS6detail17trampoline_kernelINS0_14default_configENS1_20scan_config_selectorIxEEZZNS1_9scan_implILNS1_25lookback_scan_determinismE0ELb0ELb0ES3_N6thrust23THRUST_200600_302600_NS6detail15normal_iteratorINS9_10device_ptrIxEEEESE_xNS9_4plusIvEExEEDaPvRmT3_T4_T5_mT6_P12ihipStream_tbENKUlT_T0_E_clISt17integral_constantIbLb1EESU_EEDaSP_SQ_EUlSP_E_NS1_11comp_targetILNS1_3genE10ELNS1_11target_archE1201ELNS1_3gpuE5ELNS1_3repE0EEENS1_30default_config_static_selectorELNS0_4arch9wavefront6targetE1EEEvT1_,comdat
	.protected	_ZN7rocprim17ROCPRIM_400000_NS6detail17trampoline_kernelINS0_14default_configENS1_20scan_config_selectorIxEEZZNS1_9scan_implILNS1_25lookback_scan_determinismE0ELb0ELb0ES3_N6thrust23THRUST_200600_302600_NS6detail15normal_iteratorINS9_10device_ptrIxEEEESE_xNS9_4plusIvEExEEDaPvRmT3_T4_T5_mT6_P12ihipStream_tbENKUlT_T0_E_clISt17integral_constantIbLb1EESU_EEDaSP_SQ_EUlSP_E_NS1_11comp_targetILNS1_3genE10ELNS1_11target_archE1201ELNS1_3gpuE5ELNS1_3repE0EEENS1_30default_config_static_selectorELNS0_4arch9wavefront6targetE1EEEvT1_ ; -- Begin function _ZN7rocprim17ROCPRIM_400000_NS6detail17trampoline_kernelINS0_14default_configENS1_20scan_config_selectorIxEEZZNS1_9scan_implILNS1_25lookback_scan_determinismE0ELb0ELb0ES3_N6thrust23THRUST_200600_302600_NS6detail15normal_iteratorINS9_10device_ptrIxEEEESE_xNS9_4plusIvEExEEDaPvRmT3_T4_T5_mT6_P12ihipStream_tbENKUlT_T0_E_clISt17integral_constantIbLb1EESU_EEDaSP_SQ_EUlSP_E_NS1_11comp_targetILNS1_3genE10ELNS1_11target_archE1201ELNS1_3gpuE5ELNS1_3repE0EEENS1_30default_config_static_selectorELNS0_4arch9wavefront6targetE1EEEvT1_
	.globl	_ZN7rocprim17ROCPRIM_400000_NS6detail17trampoline_kernelINS0_14default_configENS1_20scan_config_selectorIxEEZZNS1_9scan_implILNS1_25lookback_scan_determinismE0ELb0ELb0ES3_N6thrust23THRUST_200600_302600_NS6detail15normal_iteratorINS9_10device_ptrIxEEEESE_xNS9_4plusIvEExEEDaPvRmT3_T4_T5_mT6_P12ihipStream_tbENKUlT_T0_E_clISt17integral_constantIbLb1EESU_EEDaSP_SQ_EUlSP_E_NS1_11comp_targetILNS1_3genE10ELNS1_11target_archE1201ELNS1_3gpuE5ELNS1_3repE0EEENS1_30default_config_static_selectorELNS0_4arch9wavefront6targetE1EEEvT1_
	.p2align	8
	.type	_ZN7rocprim17ROCPRIM_400000_NS6detail17trampoline_kernelINS0_14default_configENS1_20scan_config_selectorIxEEZZNS1_9scan_implILNS1_25lookback_scan_determinismE0ELb0ELb0ES3_N6thrust23THRUST_200600_302600_NS6detail15normal_iteratorINS9_10device_ptrIxEEEESE_xNS9_4plusIvEExEEDaPvRmT3_T4_T5_mT6_P12ihipStream_tbENKUlT_T0_E_clISt17integral_constantIbLb1EESU_EEDaSP_SQ_EUlSP_E_NS1_11comp_targetILNS1_3genE10ELNS1_11target_archE1201ELNS1_3gpuE5ELNS1_3repE0EEENS1_30default_config_static_selectorELNS0_4arch9wavefront6targetE1EEEvT1_,@function
_ZN7rocprim17ROCPRIM_400000_NS6detail17trampoline_kernelINS0_14default_configENS1_20scan_config_selectorIxEEZZNS1_9scan_implILNS1_25lookback_scan_determinismE0ELb0ELb0ES3_N6thrust23THRUST_200600_302600_NS6detail15normal_iteratorINS9_10device_ptrIxEEEESE_xNS9_4plusIvEExEEDaPvRmT3_T4_T5_mT6_P12ihipStream_tbENKUlT_T0_E_clISt17integral_constantIbLb1EESU_EEDaSP_SQ_EUlSP_E_NS1_11comp_targetILNS1_3genE10ELNS1_11target_archE1201ELNS1_3gpuE5ELNS1_3repE0EEENS1_30default_config_static_selectorELNS0_4arch9wavefront6targetE1EEEvT1_: ; @_ZN7rocprim17ROCPRIM_400000_NS6detail17trampoline_kernelINS0_14default_configENS1_20scan_config_selectorIxEEZZNS1_9scan_implILNS1_25lookback_scan_determinismE0ELb0ELb0ES3_N6thrust23THRUST_200600_302600_NS6detail15normal_iteratorINS9_10device_ptrIxEEEESE_xNS9_4plusIvEExEEDaPvRmT3_T4_T5_mT6_P12ihipStream_tbENKUlT_T0_E_clISt17integral_constantIbLb1EESU_EEDaSP_SQ_EUlSP_E_NS1_11comp_targetILNS1_3genE10ELNS1_11target_archE1201ELNS1_3gpuE5ELNS1_3repE0EEENS1_30default_config_static_selectorELNS0_4arch9wavefront6targetE1EEEvT1_
; %bb.0:
	.section	.rodata,"a",@progbits
	.p2align	6, 0x0
	.amdhsa_kernel _ZN7rocprim17ROCPRIM_400000_NS6detail17trampoline_kernelINS0_14default_configENS1_20scan_config_selectorIxEEZZNS1_9scan_implILNS1_25lookback_scan_determinismE0ELb0ELb0ES3_N6thrust23THRUST_200600_302600_NS6detail15normal_iteratorINS9_10device_ptrIxEEEESE_xNS9_4plusIvEExEEDaPvRmT3_T4_T5_mT6_P12ihipStream_tbENKUlT_T0_E_clISt17integral_constantIbLb1EESU_EEDaSP_SQ_EUlSP_E_NS1_11comp_targetILNS1_3genE10ELNS1_11target_archE1201ELNS1_3gpuE5ELNS1_3repE0EEENS1_30default_config_static_selectorELNS0_4arch9wavefront6targetE1EEEvT1_
		.amdhsa_group_segment_fixed_size 0
		.amdhsa_private_segment_fixed_size 0
		.amdhsa_kernarg_size 104
		.amdhsa_user_sgpr_count 6
		.amdhsa_user_sgpr_private_segment_buffer 1
		.amdhsa_user_sgpr_dispatch_ptr 0
		.amdhsa_user_sgpr_queue_ptr 0
		.amdhsa_user_sgpr_kernarg_segment_ptr 1
		.amdhsa_user_sgpr_dispatch_id 0
		.amdhsa_user_sgpr_flat_scratch_init 0
		.amdhsa_user_sgpr_kernarg_preload_length 0
		.amdhsa_user_sgpr_kernarg_preload_offset 0
		.amdhsa_user_sgpr_private_segment_size 0
		.amdhsa_uses_dynamic_stack 0
		.amdhsa_system_sgpr_private_segment_wavefront_offset 0
		.amdhsa_system_sgpr_workgroup_id_x 1
		.amdhsa_system_sgpr_workgroup_id_y 0
		.amdhsa_system_sgpr_workgroup_id_z 0
		.amdhsa_system_sgpr_workgroup_info 0
		.amdhsa_system_vgpr_workitem_id 0
		.amdhsa_next_free_vgpr 1
		.amdhsa_next_free_sgpr 0
		.amdhsa_accum_offset 4
		.amdhsa_reserve_vcc 0
		.amdhsa_reserve_flat_scratch 0
		.amdhsa_float_round_mode_32 0
		.amdhsa_float_round_mode_16_64 0
		.amdhsa_float_denorm_mode_32 3
		.amdhsa_float_denorm_mode_16_64 3
		.amdhsa_dx10_clamp 1
		.amdhsa_ieee_mode 1
		.amdhsa_fp16_overflow 0
		.amdhsa_tg_split 0
		.amdhsa_exception_fp_ieee_invalid_op 0
		.amdhsa_exception_fp_denorm_src 0
		.amdhsa_exception_fp_ieee_div_zero 0
		.amdhsa_exception_fp_ieee_overflow 0
		.amdhsa_exception_fp_ieee_underflow 0
		.amdhsa_exception_fp_ieee_inexact 0
		.amdhsa_exception_int_div_zero 0
	.end_amdhsa_kernel
	.section	.text._ZN7rocprim17ROCPRIM_400000_NS6detail17trampoline_kernelINS0_14default_configENS1_20scan_config_selectorIxEEZZNS1_9scan_implILNS1_25lookback_scan_determinismE0ELb0ELb0ES3_N6thrust23THRUST_200600_302600_NS6detail15normal_iteratorINS9_10device_ptrIxEEEESE_xNS9_4plusIvEExEEDaPvRmT3_T4_T5_mT6_P12ihipStream_tbENKUlT_T0_E_clISt17integral_constantIbLb1EESU_EEDaSP_SQ_EUlSP_E_NS1_11comp_targetILNS1_3genE10ELNS1_11target_archE1201ELNS1_3gpuE5ELNS1_3repE0EEENS1_30default_config_static_selectorELNS0_4arch9wavefront6targetE1EEEvT1_,"axG",@progbits,_ZN7rocprim17ROCPRIM_400000_NS6detail17trampoline_kernelINS0_14default_configENS1_20scan_config_selectorIxEEZZNS1_9scan_implILNS1_25lookback_scan_determinismE0ELb0ELb0ES3_N6thrust23THRUST_200600_302600_NS6detail15normal_iteratorINS9_10device_ptrIxEEEESE_xNS9_4plusIvEExEEDaPvRmT3_T4_T5_mT6_P12ihipStream_tbENKUlT_T0_E_clISt17integral_constantIbLb1EESU_EEDaSP_SQ_EUlSP_E_NS1_11comp_targetILNS1_3genE10ELNS1_11target_archE1201ELNS1_3gpuE5ELNS1_3repE0EEENS1_30default_config_static_selectorELNS0_4arch9wavefront6targetE1EEEvT1_,comdat
.Lfunc_end36:
	.size	_ZN7rocprim17ROCPRIM_400000_NS6detail17trampoline_kernelINS0_14default_configENS1_20scan_config_selectorIxEEZZNS1_9scan_implILNS1_25lookback_scan_determinismE0ELb0ELb0ES3_N6thrust23THRUST_200600_302600_NS6detail15normal_iteratorINS9_10device_ptrIxEEEESE_xNS9_4plusIvEExEEDaPvRmT3_T4_T5_mT6_P12ihipStream_tbENKUlT_T0_E_clISt17integral_constantIbLb1EESU_EEDaSP_SQ_EUlSP_E_NS1_11comp_targetILNS1_3genE10ELNS1_11target_archE1201ELNS1_3gpuE5ELNS1_3repE0EEENS1_30default_config_static_selectorELNS0_4arch9wavefront6targetE1EEEvT1_, .Lfunc_end36-_ZN7rocprim17ROCPRIM_400000_NS6detail17trampoline_kernelINS0_14default_configENS1_20scan_config_selectorIxEEZZNS1_9scan_implILNS1_25lookback_scan_determinismE0ELb0ELb0ES3_N6thrust23THRUST_200600_302600_NS6detail15normal_iteratorINS9_10device_ptrIxEEEESE_xNS9_4plusIvEExEEDaPvRmT3_T4_T5_mT6_P12ihipStream_tbENKUlT_T0_E_clISt17integral_constantIbLb1EESU_EEDaSP_SQ_EUlSP_E_NS1_11comp_targetILNS1_3genE10ELNS1_11target_archE1201ELNS1_3gpuE5ELNS1_3repE0EEENS1_30default_config_static_selectorELNS0_4arch9wavefront6targetE1EEEvT1_
                                        ; -- End function
	.section	.AMDGPU.csdata,"",@progbits
; Kernel info:
; codeLenInByte = 0
; NumSgprs: 4
; NumVgprs: 0
; NumAgprs: 0
; TotalNumVgprs: 0
; ScratchSize: 0
; MemoryBound: 0
; FloatMode: 240
; IeeeMode: 1
; LDSByteSize: 0 bytes/workgroup (compile time only)
; SGPRBlocks: 0
; VGPRBlocks: 0
; NumSGPRsForWavesPerEU: 4
; NumVGPRsForWavesPerEU: 1
; AccumOffset: 4
; Occupancy: 8
; WaveLimiterHint : 0
; COMPUTE_PGM_RSRC2:SCRATCH_EN: 0
; COMPUTE_PGM_RSRC2:USER_SGPR: 6
; COMPUTE_PGM_RSRC2:TRAP_HANDLER: 0
; COMPUTE_PGM_RSRC2:TGID_X_EN: 1
; COMPUTE_PGM_RSRC2:TGID_Y_EN: 0
; COMPUTE_PGM_RSRC2:TGID_Z_EN: 0
; COMPUTE_PGM_RSRC2:TIDIG_COMP_CNT: 0
; COMPUTE_PGM_RSRC3_GFX90A:ACCUM_OFFSET: 0
; COMPUTE_PGM_RSRC3_GFX90A:TG_SPLIT: 0
	.section	.text._ZN7rocprim17ROCPRIM_400000_NS6detail17trampoline_kernelINS0_14default_configENS1_20scan_config_selectorIxEEZZNS1_9scan_implILNS1_25lookback_scan_determinismE0ELb0ELb0ES3_N6thrust23THRUST_200600_302600_NS6detail15normal_iteratorINS9_10device_ptrIxEEEESE_xNS9_4plusIvEExEEDaPvRmT3_T4_T5_mT6_P12ihipStream_tbENKUlT_T0_E_clISt17integral_constantIbLb1EESU_EEDaSP_SQ_EUlSP_E_NS1_11comp_targetILNS1_3genE10ELNS1_11target_archE1200ELNS1_3gpuE4ELNS1_3repE0EEENS1_30default_config_static_selectorELNS0_4arch9wavefront6targetE1EEEvT1_,"axG",@progbits,_ZN7rocprim17ROCPRIM_400000_NS6detail17trampoline_kernelINS0_14default_configENS1_20scan_config_selectorIxEEZZNS1_9scan_implILNS1_25lookback_scan_determinismE0ELb0ELb0ES3_N6thrust23THRUST_200600_302600_NS6detail15normal_iteratorINS9_10device_ptrIxEEEESE_xNS9_4plusIvEExEEDaPvRmT3_T4_T5_mT6_P12ihipStream_tbENKUlT_T0_E_clISt17integral_constantIbLb1EESU_EEDaSP_SQ_EUlSP_E_NS1_11comp_targetILNS1_3genE10ELNS1_11target_archE1200ELNS1_3gpuE4ELNS1_3repE0EEENS1_30default_config_static_selectorELNS0_4arch9wavefront6targetE1EEEvT1_,comdat
	.protected	_ZN7rocprim17ROCPRIM_400000_NS6detail17trampoline_kernelINS0_14default_configENS1_20scan_config_selectorIxEEZZNS1_9scan_implILNS1_25lookback_scan_determinismE0ELb0ELb0ES3_N6thrust23THRUST_200600_302600_NS6detail15normal_iteratorINS9_10device_ptrIxEEEESE_xNS9_4plusIvEExEEDaPvRmT3_T4_T5_mT6_P12ihipStream_tbENKUlT_T0_E_clISt17integral_constantIbLb1EESU_EEDaSP_SQ_EUlSP_E_NS1_11comp_targetILNS1_3genE10ELNS1_11target_archE1200ELNS1_3gpuE4ELNS1_3repE0EEENS1_30default_config_static_selectorELNS0_4arch9wavefront6targetE1EEEvT1_ ; -- Begin function _ZN7rocprim17ROCPRIM_400000_NS6detail17trampoline_kernelINS0_14default_configENS1_20scan_config_selectorIxEEZZNS1_9scan_implILNS1_25lookback_scan_determinismE0ELb0ELb0ES3_N6thrust23THRUST_200600_302600_NS6detail15normal_iteratorINS9_10device_ptrIxEEEESE_xNS9_4plusIvEExEEDaPvRmT3_T4_T5_mT6_P12ihipStream_tbENKUlT_T0_E_clISt17integral_constantIbLb1EESU_EEDaSP_SQ_EUlSP_E_NS1_11comp_targetILNS1_3genE10ELNS1_11target_archE1200ELNS1_3gpuE4ELNS1_3repE0EEENS1_30default_config_static_selectorELNS0_4arch9wavefront6targetE1EEEvT1_
	.globl	_ZN7rocprim17ROCPRIM_400000_NS6detail17trampoline_kernelINS0_14default_configENS1_20scan_config_selectorIxEEZZNS1_9scan_implILNS1_25lookback_scan_determinismE0ELb0ELb0ES3_N6thrust23THRUST_200600_302600_NS6detail15normal_iteratorINS9_10device_ptrIxEEEESE_xNS9_4plusIvEExEEDaPvRmT3_T4_T5_mT6_P12ihipStream_tbENKUlT_T0_E_clISt17integral_constantIbLb1EESU_EEDaSP_SQ_EUlSP_E_NS1_11comp_targetILNS1_3genE10ELNS1_11target_archE1200ELNS1_3gpuE4ELNS1_3repE0EEENS1_30default_config_static_selectorELNS0_4arch9wavefront6targetE1EEEvT1_
	.p2align	8
	.type	_ZN7rocprim17ROCPRIM_400000_NS6detail17trampoline_kernelINS0_14default_configENS1_20scan_config_selectorIxEEZZNS1_9scan_implILNS1_25lookback_scan_determinismE0ELb0ELb0ES3_N6thrust23THRUST_200600_302600_NS6detail15normal_iteratorINS9_10device_ptrIxEEEESE_xNS9_4plusIvEExEEDaPvRmT3_T4_T5_mT6_P12ihipStream_tbENKUlT_T0_E_clISt17integral_constantIbLb1EESU_EEDaSP_SQ_EUlSP_E_NS1_11comp_targetILNS1_3genE10ELNS1_11target_archE1200ELNS1_3gpuE4ELNS1_3repE0EEENS1_30default_config_static_selectorELNS0_4arch9wavefront6targetE1EEEvT1_,@function
_ZN7rocprim17ROCPRIM_400000_NS6detail17trampoline_kernelINS0_14default_configENS1_20scan_config_selectorIxEEZZNS1_9scan_implILNS1_25lookback_scan_determinismE0ELb0ELb0ES3_N6thrust23THRUST_200600_302600_NS6detail15normal_iteratorINS9_10device_ptrIxEEEESE_xNS9_4plusIvEExEEDaPvRmT3_T4_T5_mT6_P12ihipStream_tbENKUlT_T0_E_clISt17integral_constantIbLb1EESU_EEDaSP_SQ_EUlSP_E_NS1_11comp_targetILNS1_3genE10ELNS1_11target_archE1200ELNS1_3gpuE4ELNS1_3repE0EEENS1_30default_config_static_selectorELNS0_4arch9wavefront6targetE1EEEvT1_: ; @_ZN7rocprim17ROCPRIM_400000_NS6detail17trampoline_kernelINS0_14default_configENS1_20scan_config_selectorIxEEZZNS1_9scan_implILNS1_25lookback_scan_determinismE0ELb0ELb0ES3_N6thrust23THRUST_200600_302600_NS6detail15normal_iteratorINS9_10device_ptrIxEEEESE_xNS9_4plusIvEExEEDaPvRmT3_T4_T5_mT6_P12ihipStream_tbENKUlT_T0_E_clISt17integral_constantIbLb1EESU_EEDaSP_SQ_EUlSP_E_NS1_11comp_targetILNS1_3genE10ELNS1_11target_archE1200ELNS1_3gpuE4ELNS1_3repE0EEENS1_30default_config_static_selectorELNS0_4arch9wavefront6targetE1EEEvT1_
; %bb.0:
	.section	.rodata,"a",@progbits
	.p2align	6, 0x0
	.amdhsa_kernel _ZN7rocprim17ROCPRIM_400000_NS6detail17trampoline_kernelINS0_14default_configENS1_20scan_config_selectorIxEEZZNS1_9scan_implILNS1_25lookback_scan_determinismE0ELb0ELb0ES3_N6thrust23THRUST_200600_302600_NS6detail15normal_iteratorINS9_10device_ptrIxEEEESE_xNS9_4plusIvEExEEDaPvRmT3_T4_T5_mT6_P12ihipStream_tbENKUlT_T0_E_clISt17integral_constantIbLb1EESU_EEDaSP_SQ_EUlSP_E_NS1_11comp_targetILNS1_3genE10ELNS1_11target_archE1200ELNS1_3gpuE4ELNS1_3repE0EEENS1_30default_config_static_selectorELNS0_4arch9wavefront6targetE1EEEvT1_
		.amdhsa_group_segment_fixed_size 0
		.amdhsa_private_segment_fixed_size 0
		.amdhsa_kernarg_size 104
		.amdhsa_user_sgpr_count 6
		.amdhsa_user_sgpr_private_segment_buffer 1
		.amdhsa_user_sgpr_dispatch_ptr 0
		.amdhsa_user_sgpr_queue_ptr 0
		.amdhsa_user_sgpr_kernarg_segment_ptr 1
		.amdhsa_user_sgpr_dispatch_id 0
		.amdhsa_user_sgpr_flat_scratch_init 0
		.amdhsa_user_sgpr_kernarg_preload_length 0
		.amdhsa_user_sgpr_kernarg_preload_offset 0
		.amdhsa_user_sgpr_private_segment_size 0
		.amdhsa_uses_dynamic_stack 0
		.amdhsa_system_sgpr_private_segment_wavefront_offset 0
		.amdhsa_system_sgpr_workgroup_id_x 1
		.amdhsa_system_sgpr_workgroup_id_y 0
		.amdhsa_system_sgpr_workgroup_id_z 0
		.amdhsa_system_sgpr_workgroup_info 0
		.amdhsa_system_vgpr_workitem_id 0
		.amdhsa_next_free_vgpr 1
		.amdhsa_next_free_sgpr 0
		.amdhsa_accum_offset 4
		.amdhsa_reserve_vcc 0
		.amdhsa_reserve_flat_scratch 0
		.amdhsa_float_round_mode_32 0
		.amdhsa_float_round_mode_16_64 0
		.amdhsa_float_denorm_mode_32 3
		.amdhsa_float_denorm_mode_16_64 3
		.amdhsa_dx10_clamp 1
		.amdhsa_ieee_mode 1
		.amdhsa_fp16_overflow 0
		.amdhsa_tg_split 0
		.amdhsa_exception_fp_ieee_invalid_op 0
		.amdhsa_exception_fp_denorm_src 0
		.amdhsa_exception_fp_ieee_div_zero 0
		.amdhsa_exception_fp_ieee_overflow 0
		.amdhsa_exception_fp_ieee_underflow 0
		.amdhsa_exception_fp_ieee_inexact 0
		.amdhsa_exception_int_div_zero 0
	.end_amdhsa_kernel
	.section	.text._ZN7rocprim17ROCPRIM_400000_NS6detail17trampoline_kernelINS0_14default_configENS1_20scan_config_selectorIxEEZZNS1_9scan_implILNS1_25lookback_scan_determinismE0ELb0ELb0ES3_N6thrust23THRUST_200600_302600_NS6detail15normal_iteratorINS9_10device_ptrIxEEEESE_xNS9_4plusIvEExEEDaPvRmT3_T4_T5_mT6_P12ihipStream_tbENKUlT_T0_E_clISt17integral_constantIbLb1EESU_EEDaSP_SQ_EUlSP_E_NS1_11comp_targetILNS1_3genE10ELNS1_11target_archE1200ELNS1_3gpuE4ELNS1_3repE0EEENS1_30default_config_static_selectorELNS0_4arch9wavefront6targetE1EEEvT1_,"axG",@progbits,_ZN7rocprim17ROCPRIM_400000_NS6detail17trampoline_kernelINS0_14default_configENS1_20scan_config_selectorIxEEZZNS1_9scan_implILNS1_25lookback_scan_determinismE0ELb0ELb0ES3_N6thrust23THRUST_200600_302600_NS6detail15normal_iteratorINS9_10device_ptrIxEEEESE_xNS9_4plusIvEExEEDaPvRmT3_T4_T5_mT6_P12ihipStream_tbENKUlT_T0_E_clISt17integral_constantIbLb1EESU_EEDaSP_SQ_EUlSP_E_NS1_11comp_targetILNS1_3genE10ELNS1_11target_archE1200ELNS1_3gpuE4ELNS1_3repE0EEENS1_30default_config_static_selectorELNS0_4arch9wavefront6targetE1EEEvT1_,comdat
.Lfunc_end37:
	.size	_ZN7rocprim17ROCPRIM_400000_NS6detail17trampoline_kernelINS0_14default_configENS1_20scan_config_selectorIxEEZZNS1_9scan_implILNS1_25lookback_scan_determinismE0ELb0ELb0ES3_N6thrust23THRUST_200600_302600_NS6detail15normal_iteratorINS9_10device_ptrIxEEEESE_xNS9_4plusIvEExEEDaPvRmT3_T4_T5_mT6_P12ihipStream_tbENKUlT_T0_E_clISt17integral_constantIbLb1EESU_EEDaSP_SQ_EUlSP_E_NS1_11comp_targetILNS1_3genE10ELNS1_11target_archE1200ELNS1_3gpuE4ELNS1_3repE0EEENS1_30default_config_static_selectorELNS0_4arch9wavefront6targetE1EEEvT1_, .Lfunc_end37-_ZN7rocprim17ROCPRIM_400000_NS6detail17trampoline_kernelINS0_14default_configENS1_20scan_config_selectorIxEEZZNS1_9scan_implILNS1_25lookback_scan_determinismE0ELb0ELb0ES3_N6thrust23THRUST_200600_302600_NS6detail15normal_iteratorINS9_10device_ptrIxEEEESE_xNS9_4plusIvEExEEDaPvRmT3_T4_T5_mT6_P12ihipStream_tbENKUlT_T0_E_clISt17integral_constantIbLb1EESU_EEDaSP_SQ_EUlSP_E_NS1_11comp_targetILNS1_3genE10ELNS1_11target_archE1200ELNS1_3gpuE4ELNS1_3repE0EEENS1_30default_config_static_selectorELNS0_4arch9wavefront6targetE1EEEvT1_
                                        ; -- End function
	.section	.AMDGPU.csdata,"",@progbits
; Kernel info:
; codeLenInByte = 0
; NumSgprs: 4
; NumVgprs: 0
; NumAgprs: 0
; TotalNumVgprs: 0
; ScratchSize: 0
; MemoryBound: 0
; FloatMode: 240
; IeeeMode: 1
; LDSByteSize: 0 bytes/workgroup (compile time only)
; SGPRBlocks: 0
; VGPRBlocks: 0
; NumSGPRsForWavesPerEU: 4
; NumVGPRsForWavesPerEU: 1
; AccumOffset: 4
; Occupancy: 8
; WaveLimiterHint : 0
; COMPUTE_PGM_RSRC2:SCRATCH_EN: 0
; COMPUTE_PGM_RSRC2:USER_SGPR: 6
; COMPUTE_PGM_RSRC2:TRAP_HANDLER: 0
; COMPUTE_PGM_RSRC2:TGID_X_EN: 1
; COMPUTE_PGM_RSRC2:TGID_Y_EN: 0
; COMPUTE_PGM_RSRC2:TGID_Z_EN: 0
; COMPUTE_PGM_RSRC2:TIDIG_COMP_CNT: 0
; COMPUTE_PGM_RSRC3_GFX90A:ACCUM_OFFSET: 0
; COMPUTE_PGM_RSRC3_GFX90A:TG_SPLIT: 0
	.section	.text._ZN7rocprim17ROCPRIM_400000_NS6detail17trampoline_kernelINS0_14default_configENS1_20scan_config_selectorIxEEZZNS1_9scan_implILNS1_25lookback_scan_determinismE0ELb0ELb0ES3_N6thrust23THRUST_200600_302600_NS6detail15normal_iteratorINS9_10device_ptrIxEEEESE_xNS9_4plusIvEExEEDaPvRmT3_T4_T5_mT6_P12ihipStream_tbENKUlT_T0_E_clISt17integral_constantIbLb1EESU_EEDaSP_SQ_EUlSP_E_NS1_11comp_targetILNS1_3genE9ELNS1_11target_archE1100ELNS1_3gpuE3ELNS1_3repE0EEENS1_30default_config_static_selectorELNS0_4arch9wavefront6targetE1EEEvT1_,"axG",@progbits,_ZN7rocprim17ROCPRIM_400000_NS6detail17trampoline_kernelINS0_14default_configENS1_20scan_config_selectorIxEEZZNS1_9scan_implILNS1_25lookback_scan_determinismE0ELb0ELb0ES3_N6thrust23THRUST_200600_302600_NS6detail15normal_iteratorINS9_10device_ptrIxEEEESE_xNS9_4plusIvEExEEDaPvRmT3_T4_T5_mT6_P12ihipStream_tbENKUlT_T0_E_clISt17integral_constantIbLb1EESU_EEDaSP_SQ_EUlSP_E_NS1_11comp_targetILNS1_3genE9ELNS1_11target_archE1100ELNS1_3gpuE3ELNS1_3repE0EEENS1_30default_config_static_selectorELNS0_4arch9wavefront6targetE1EEEvT1_,comdat
	.protected	_ZN7rocprim17ROCPRIM_400000_NS6detail17trampoline_kernelINS0_14default_configENS1_20scan_config_selectorIxEEZZNS1_9scan_implILNS1_25lookback_scan_determinismE0ELb0ELb0ES3_N6thrust23THRUST_200600_302600_NS6detail15normal_iteratorINS9_10device_ptrIxEEEESE_xNS9_4plusIvEExEEDaPvRmT3_T4_T5_mT6_P12ihipStream_tbENKUlT_T0_E_clISt17integral_constantIbLb1EESU_EEDaSP_SQ_EUlSP_E_NS1_11comp_targetILNS1_3genE9ELNS1_11target_archE1100ELNS1_3gpuE3ELNS1_3repE0EEENS1_30default_config_static_selectorELNS0_4arch9wavefront6targetE1EEEvT1_ ; -- Begin function _ZN7rocprim17ROCPRIM_400000_NS6detail17trampoline_kernelINS0_14default_configENS1_20scan_config_selectorIxEEZZNS1_9scan_implILNS1_25lookback_scan_determinismE0ELb0ELb0ES3_N6thrust23THRUST_200600_302600_NS6detail15normal_iteratorINS9_10device_ptrIxEEEESE_xNS9_4plusIvEExEEDaPvRmT3_T4_T5_mT6_P12ihipStream_tbENKUlT_T0_E_clISt17integral_constantIbLb1EESU_EEDaSP_SQ_EUlSP_E_NS1_11comp_targetILNS1_3genE9ELNS1_11target_archE1100ELNS1_3gpuE3ELNS1_3repE0EEENS1_30default_config_static_selectorELNS0_4arch9wavefront6targetE1EEEvT1_
	.globl	_ZN7rocprim17ROCPRIM_400000_NS6detail17trampoline_kernelINS0_14default_configENS1_20scan_config_selectorIxEEZZNS1_9scan_implILNS1_25lookback_scan_determinismE0ELb0ELb0ES3_N6thrust23THRUST_200600_302600_NS6detail15normal_iteratorINS9_10device_ptrIxEEEESE_xNS9_4plusIvEExEEDaPvRmT3_T4_T5_mT6_P12ihipStream_tbENKUlT_T0_E_clISt17integral_constantIbLb1EESU_EEDaSP_SQ_EUlSP_E_NS1_11comp_targetILNS1_3genE9ELNS1_11target_archE1100ELNS1_3gpuE3ELNS1_3repE0EEENS1_30default_config_static_selectorELNS0_4arch9wavefront6targetE1EEEvT1_
	.p2align	8
	.type	_ZN7rocprim17ROCPRIM_400000_NS6detail17trampoline_kernelINS0_14default_configENS1_20scan_config_selectorIxEEZZNS1_9scan_implILNS1_25lookback_scan_determinismE0ELb0ELb0ES3_N6thrust23THRUST_200600_302600_NS6detail15normal_iteratorINS9_10device_ptrIxEEEESE_xNS9_4plusIvEExEEDaPvRmT3_T4_T5_mT6_P12ihipStream_tbENKUlT_T0_E_clISt17integral_constantIbLb1EESU_EEDaSP_SQ_EUlSP_E_NS1_11comp_targetILNS1_3genE9ELNS1_11target_archE1100ELNS1_3gpuE3ELNS1_3repE0EEENS1_30default_config_static_selectorELNS0_4arch9wavefront6targetE1EEEvT1_,@function
_ZN7rocprim17ROCPRIM_400000_NS6detail17trampoline_kernelINS0_14default_configENS1_20scan_config_selectorIxEEZZNS1_9scan_implILNS1_25lookback_scan_determinismE0ELb0ELb0ES3_N6thrust23THRUST_200600_302600_NS6detail15normal_iteratorINS9_10device_ptrIxEEEESE_xNS9_4plusIvEExEEDaPvRmT3_T4_T5_mT6_P12ihipStream_tbENKUlT_T0_E_clISt17integral_constantIbLb1EESU_EEDaSP_SQ_EUlSP_E_NS1_11comp_targetILNS1_3genE9ELNS1_11target_archE1100ELNS1_3gpuE3ELNS1_3repE0EEENS1_30default_config_static_selectorELNS0_4arch9wavefront6targetE1EEEvT1_: ; @_ZN7rocprim17ROCPRIM_400000_NS6detail17trampoline_kernelINS0_14default_configENS1_20scan_config_selectorIxEEZZNS1_9scan_implILNS1_25lookback_scan_determinismE0ELb0ELb0ES3_N6thrust23THRUST_200600_302600_NS6detail15normal_iteratorINS9_10device_ptrIxEEEESE_xNS9_4plusIvEExEEDaPvRmT3_T4_T5_mT6_P12ihipStream_tbENKUlT_T0_E_clISt17integral_constantIbLb1EESU_EEDaSP_SQ_EUlSP_E_NS1_11comp_targetILNS1_3genE9ELNS1_11target_archE1100ELNS1_3gpuE3ELNS1_3repE0EEENS1_30default_config_static_selectorELNS0_4arch9wavefront6targetE1EEEvT1_
; %bb.0:
	.section	.rodata,"a",@progbits
	.p2align	6, 0x0
	.amdhsa_kernel _ZN7rocprim17ROCPRIM_400000_NS6detail17trampoline_kernelINS0_14default_configENS1_20scan_config_selectorIxEEZZNS1_9scan_implILNS1_25lookback_scan_determinismE0ELb0ELb0ES3_N6thrust23THRUST_200600_302600_NS6detail15normal_iteratorINS9_10device_ptrIxEEEESE_xNS9_4plusIvEExEEDaPvRmT3_T4_T5_mT6_P12ihipStream_tbENKUlT_T0_E_clISt17integral_constantIbLb1EESU_EEDaSP_SQ_EUlSP_E_NS1_11comp_targetILNS1_3genE9ELNS1_11target_archE1100ELNS1_3gpuE3ELNS1_3repE0EEENS1_30default_config_static_selectorELNS0_4arch9wavefront6targetE1EEEvT1_
		.amdhsa_group_segment_fixed_size 0
		.amdhsa_private_segment_fixed_size 0
		.amdhsa_kernarg_size 104
		.amdhsa_user_sgpr_count 6
		.amdhsa_user_sgpr_private_segment_buffer 1
		.amdhsa_user_sgpr_dispatch_ptr 0
		.amdhsa_user_sgpr_queue_ptr 0
		.amdhsa_user_sgpr_kernarg_segment_ptr 1
		.amdhsa_user_sgpr_dispatch_id 0
		.amdhsa_user_sgpr_flat_scratch_init 0
		.amdhsa_user_sgpr_kernarg_preload_length 0
		.amdhsa_user_sgpr_kernarg_preload_offset 0
		.amdhsa_user_sgpr_private_segment_size 0
		.amdhsa_uses_dynamic_stack 0
		.amdhsa_system_sgpr_private_segment_wavefront_offset 0
		.amdhsa_system_sgpr_workgroup_id_x 1
		.amdhsa_system_sgpr_workgroup_id_y 0
		.amdhsa_system_sgpr_workgroup_id_z 0
		.amdhsa_system_sgpr_workgroup_info 0
		.amdhsa_system_vgpr_workitem_id 0
		.amdhsa_next_free_vgpr 1
		.amdhsa_next_free_sgpr 0
		.amdhsa_accum_offset 4
		.amdhsa_reserve_vcc 0
		.amdhsa_reserve_flat_scratch 0
		.amdhsa_float_round_mode_32 0
		.amdhsa_float_round_mode_16_64 0
		.amdhsa_float_denorm_mode_32 3
		.amdhsa_float_denorm_mode_16_64 3
		.amdhsa_dx10_clamp 1
		.amdhsa_ieee_mode 1
		.amdhsa_fp16_overflow 0
		.amdhsa_tg_split 0
		.amdhsa_exception_fp_ieee_invalid_op 0
		.amdhsa_exception_fp_denorm_src 0
		.amdhsa_exception_fp_ieee_div_zero 0
		.amdhsa_exception_fp_ieee_overflow 0
		.amdhsa_exception_fp_ieee_underflow 0
		.amdhsa_exception_fp_ieee_inexact 0
		.amdhsa_exception_int_div_zero 0
	.end_amdhsa_kernel
	.section	.text._ZN7rocprim17ROCPRIM_400000_NS6detail17trampoline_kernelINS0_14default_configENS1_20scan_config_selectorIxEEZZNS1_9scan_implILNS1_25lookback_scan_determinismE0ELb0ELb0ES3_N6thrust23THRUST_200600_302600_NS6detail15normal_iteratorINS9_10device_ptrIxEEEESE_xNS9_4plusIvEExEEDaPvRmT3_T4_T5_mT6_P12ihipStream_tbENKUlT_T0_E_clISt17integral_constantIbLb1EESU_EEDaSP_SQ_EUlSP_E_NS1_11comp_targetILNS1_3genE9ELNS1_11target_archE1100ELNS1_3gpuE3ELNS1_3repE0EEENS1_30default_config_static_selectorELNS0_4arch9wavefront6targetE1EEEvT1_,"axG",@progbits,_ZN7rocprim17ROCPRIM_400000_NS6detail17trampoline_kernelINS0_14default_configENS1_20scan_config_selectorIxEEZZNS1_9scan_implILNS1_25lookback_scan_determinismE0ELb0ELb0ES3_N6thrust23THRUST_200600_302600_NS6detail15normal_iteratorINS9_10device_ptrIxEEEESE_xNS9_4plusIvEExEEDaPvRmT3_T4_T5_mT6_P12ihipStream_tbENKUlT_T0_E_clISt17integral_constantIbLb1EESU_EEDaSP_SQ_EUlSP_E_NS1_11comp_targetILNS1_3genE9ELNS1_11target_archE1100ELNS1_3gpuE3ELNS1_3repE0EEENS1_30default_config_static_selectorELNS0_4arch9wavefront6targetE1EEEvT1_,comdat
.Lfunc_end38:
	.size	_ZN7rocprim17ROCPRIM_400000_NS6detail17trampoline_kernelINS0_14default_configENS1_20scan_config_selectorIxEEZZNS1_9scan_implILNS1_25lookback_scan_determinismE0ELb0ELb0ES3_N6thrust23THRUST_200600_302600_NS6detail15normal_iteratorINS9_10device_ptrIxEEEESE_xNS9_4plusIvEExEEDaPvRmT3_T4_T5_mT6_P12ihipStream_tbENKUlT_T0_E_clISt17integral_constantIbLb1EESU_EEDaSP_SQ_EUlSP_E_NS1_11comp_targetILNS1_3genE9ELNS1_11target_archE1100ELNS1_3gpuE3ELNS1_3repE0EEENS1_30default_config_static_selectorELNS0_4arch9wavefront6targetE1EEEvT1_, .Lfunc_end38-_ZN7rocprim17ROCPRIM_400000_NS6detail17trampoline_kernelINS0_14default_configENS1_20scan_config_selectorIxEEZZNS1_9scan_implILNS1_25lookback_scan_determinismE0ELb0ELb0ES3_N6thrust23THRUST_200600_302600_NS6detail15normal_iteratorINS9_10device_ptrIxEEEESE_xNS9_4plusIvEExEEDaPvRmT3_T4_T5_mT6_P12ihipStream_tbENKUlT_T0_E_clISt17integral_constantIbLb1EESU_EEDaSP_SQ_EUlSP_E_NS1_11comp_targetILNS1_3genE9ELNS1_11target_archE1100ELNS1_3gpuE3ELNS1_3repE0EEENS1_30default_config_static_selectorELNS0_4arch9wavefront6targetE1EEEvT1_
                                        ; -- End function
	.section	.AMDGPU.csdata,"",@progbits
; Kernel info:
; codeLenInByte = 0
; NumSgprs: 4
; NumVgprs: 0
; NumAgprs: 0
; TotalNumVgprs: 0
; ScratchSize: 0
; MemoryBound: 0
; FloatMode: 240
; IeeeMode: 1
; LDSByteSize: 0 bytes/workgroup (compile time only)
; SGPRBlocks: 0
; VGPRBlocks: 0
; NumSGPRsForWavesPerEU: 4
; NumVGPRsForWavesPerEU: 1
; AccumOffset: 4
; Occupancy: 8
; WaveLimiterHint : 0
; COMPUTE_PGM_RSRC2:SCRATCH_EN: 0
; COMPUTE_PGM_RSRC2:USER_SGPR: 6
; COMPUTE_PGM_RSRC2:TRAP_HANDLER: 0
; COMPUTE_PGM_RSRC2:TGID_X_EN: 1
; COMPUTE_PGM_RSRC2:TGID_Y_EN: 0
; COMPUTE_PGM_RSRC2:TGID_Z_EN: 0
; COMPUTE_PGM_RSRC2:TIDIG_COMP_CNT: 0
; COMPUTE_PGM_RSRC3_GFX90A:ACCUM_OFFSET: 0
; COMPUTE_PGM_RSRC3_GFX90A:TG_SPLIT: 0
	.section	.text._ZN7rocprim17ROCPRIM_400000_NS6detail17trampoline_kernelINS0_14default_configENS1_20scan_config_selectorIxEEZZNS1_9scan_implILNS1_25lookback_scan_determinismE0ELb0ELb0ES3_N6thrust23THRUST_200600_302600_NS6detail15normal_iteratorINS9_10device_ptrIxEEEESE_xNS9_4plusIvEExEEDaPvRmT3_T4_T5_mT6_P12ihipStream_tbENKUlT_T0_E_clISt17integral_constantIbLb1EESU_EEDaSP_SQ_EUlSP_E_NS1_11comp_targetILNS1_3genE8ELNS1_11target_archE1030ELNS1_3gpuE2ELNS1_3repE0EEENS1_30default_config_static_selectorELNS0_4arch9wavefront6targetE1EEEvT1_,"axG",@progbits,_ZN7rocprim17ROCPRIM_400000_NS6detail17trampoline_kernelINS0_14default_configENS1_20scan_config_selectorIxEEZZNS1_9scan_implILNS1_25lookback_scan_determinismE0ELb0ELb0ES3_N6thrust23THRUST_200600_302600_NS6detail15normal_iteratorINS9_10device_ptrIxEEEESE_xNS9_4plusIvEExEEDaPvRmT3_T4_T5_mT6_P12ihipStream_tbENKUlT_T0_E_clISt17integral_constantIbLb1EESU_EEDaSP_SQ_EUlSP_E_NS1_11comp_targetILNS1_3genE8ELNS1_11target_archE1030ELNS1_3gpuE2ELNS1_3repE0EEENS1_30default_config_static_selectorELNS0_4arch9wavefront6targetE1EEEvT1_,comdat
	.protected	_ZN7rocprim17ROCPRIM_400000_NS6detail17trampoline_kernelINS0_14default_configENS1_20scan_config_selectorIxEEZZNS1_9scan_implILNS1_25lookback_scan_determinismE0ELb0ELb0ES3_N6thrust23THRUST_200600_302600_NS6detail15normal_iteratorINS9_10device_ptrIxEEEESE_xNS9_4plusIvEExEEDaPvRmT3_T4_T5_mT6_P12ihipStream_tbENKUlT_T0_E_clISt17integral_constantIbLb1EESU_EEDaSP_SQ_EUlSP_E_NS1_11comp_targetILNS1_3genE8ELNS1_11target_archE1030ELNS1_3gpuE2ELNS1_3repE0EEENS1_30default_config_static_selectorELNS0_4arch9wavefront6targetE1EEEvT1_ ; -- Begin function _ZN7rocprim17ROCPRIM_400000_NS6detail17trampoline_kernelINS0_14default_configENS1_20scan_config_selectorIxEEZZNS1_9scan_implILNS1_25lookback_scan_determinismE0ELb0ELb0ES3_N6thrust23THRUST_200600_302600_NS6detail15normal_iteratorINS9_10device_ptrIxEEEESE_xNS9_4plusIvEExEEDaPvRmT3_T4_T5_mT6_P12ihipStream_tbENKUlT_T0_E_clISt17integral_constantIbLb1EESU_EEDaSP_SQ_EUlSP_E_NS1_11comp_targetILNS1_3genE8ELNS1_11target_archE1030ELNS1_3gpuE2ELNS1_3repE0EEENS1_30default_config_static_selectorELNS0_4arch9wavefront6targetE1EEEvT1_
	.globl	_ZN7rocprim17ROCPRIM_400000_NS6detail17trampoline_kernelINS0_14default_configENS1_20scan_config_selectorIxEEZZNS1_9scan_implILNS1_25lookback_scan_determinismE0ELb0ELb0ES3_N6thrust23THRUST_200600_302600_NS6detail15normal_iteratorINS9_10device_ptrIxEEEESE_xNS9_4plusIvEExEEDaPvRmT3_T4_T5_mT6_P12ihipStream_tbENKUlT_T0_E_clISt17integral_constantIbLb1EESU_EEDaSP_SQ_EUlSP_E_NS1_11comp_targetILNS1_3genE8ELNS1_11target_archE1030ELNS1_3gpuE2ELNS1_3repE0EEENS1_30default_config_static_selectorELNS0_4arch9wavefront6targetE1EEEvT1_
	.p2align	8
	.type	_ZN7rocprim17ROCPRIM_400000_NS6detail17trampoline_kernelINS0_14default_configENS1_20scan_config_selectorIxEEZZNS1_9scan_implILNS1_25lookback_scan_determinismE0ELb0ELb0ES3_N6thrust23THRUST_200600_302600_NS6detail15normal_iteratorINS9_10device_ptrIxEEEESE_xNS9_4plusIvEExEEDaPvRmT3_T4_T5_mT6_P12ihipStream_tbENKUlT_T0_E_clISt17integral_constantIbLb1EESU_EEDaSP_SQ_EUlSP_E_NS1_11comp_targetILNS1_3genE8ELNS1_11target_archE1030ELNS1_3gpuE2ELNS1_3repE0EEENS1_30default_config_static_selectorELNS0_4arch9wavefront6targetE1EEEvT1_,@function
_ZN7rocprim17ROCPRIM_400000_NS6detail17trampoline_kernelINS0_14default_configENS1_20scan_config_selectorIxEEZZNS1_9scan_implILNS1_25lookback_scan_determinismE0ELb0ELb0ES3_N6thrust23THRUST_200600_302600_NS6detail15normal_iteratorINS9_10device_ptrIxEEEESE_xNS9_4plusIvEExEEDaPvRmT3_T4_T5_mT6_P12ihipStream_tbENKUlT_T0_E_clISt17integral_constantIbLb1EESU_EEDaSP_SQ_EUlSP_E_NS1_11comp_targetILNS1_3genE8ELNS1_11target_archE1030ELNS1_3gpuE2ELNS1_3repE0EEENS1_30default_config_static_selectorELNS0_4arch9wavefront6targetE1EEEvT1_: ; @_ZN7rocprim17ROCPRIM_400000_NS6detail17trampoline_kernelINS0_14default_configENS1_20scan_config_selectorIxEEZZNS1_9scan_implILNS1_25lookback_scan_determinismE0ELb0ELb0ES3_N6thrust23THRUST_200600_302600_NS6detail15normal_iteratorINS9_10device_ptrIxEEEESE_xNS9_4plusIvEExEEDaPvRmT3_T4_T5_mT6_P12ihipStream_tbENKUlT_T0_E_clISt17integral_constantIbLb1EESU_EEDaSP_SQ_EUlSP_E_NS1_11comp_targetILNS1_3genE8ELNS1_11target_archE1030ELNS1_3gpuE2ELNS1_3repE0EEENS1_30default_config_static_selectorELNS0_4arch9wavefront6targetE1EEEvT1_
; %bb.0:
	.section	.rodata,"a",@progbits
	.p2align	6, 0x0
	.amdhsa_kernel _ZN7rocprim17ROCPRIM_400000_NS6detail17trampoline_kernelINS0_14default_configENS1_20scan_config_selectorIxEEZZNS1_9scan_implILNS1_25lookback_scan_determinismE0ELb0ELb0ES3_N6thrust23THRUST_200600_302600_NS6detail15normal_iteratorINS9_10device_ptrIxEEEESE_xNS9_4plusIvEExEEDaPvRmT3_T4_T5_mT6_P12ihipStream_tbENKUlT_T0_E_clISt17integral_constantIbLb1EESU_EEDaSP_SQ_EUlSP_E_NS1_11comp_targetILNS1_3genE8ELNS1_11target_archE1030ELNS1_3gpuE2ELNS1_3repE0EEENS1_30default_config_static_selectorELNS0_4arch9wavefront6targetE1EEEvT1_
		.amdhsa_group_segment_fixed_size 0
		.amdhsa_private_segment_fixed_size 0
		.amdhsa_kernarg_size 104
		.amdhsa_user_sgpr_count 6
		.amdhsa_user_sgpr_private_segment_buffer 1
		.amdhsa_user_sgpr_dispatch_ptr 0
		.amdhsa_user_sgpr_queue_ptr 0
		.amdhsa_user_sgpr_kernarg_segment_ptr 1
		.amdhsa_user_sgpr_dispatch_id 0
		.amdhsa_user_sgpr_flat_scratch_init 0
		.amdhsa_user_sgpr_kernarg_preload_length 0
		.amdhsa_user_sgpr_kernarg_preload_offset 0
		.amdhsa_user_sgpr_private_segment_size 0
		.amdhsa_uses_dynamic_stack 0
		.amdhsa_system_sgpr_private_segment_wavefront_offset 0
		.amdhsa_system_sgpr_workgroup_id_x 1
		.amdhsa_system_sgpr_workgroup_id_y 0
		.amdhsa_system_sgpr_workgroup_id_z 0
		.amdhsa_system_sgpr_workgroup_info 0
		.amdhsa_system_vgpr_workitem_id 0
		.amdhsa_next_free_vgpr 1
		.amdhsa_next_free_sgpr 0
		.amdhsa_accum_offset 4
		.amdhsa_reserve_vcc 0
		.amdhsa_reserve_flat_scratch 0
		.amdhsa_float_round_mode_32 0
		.amdhsa_float_round_mode_16_64 0
		.amdhsa_float_denorm_mode_32 3
		.amdhsa_float_denorm_mode_16_64 3
		.amdhsa_dx10_clamp 1
		.amdhsa_ieee_mode 1
		.amdhsa_fp16_overflow 0
		.amdhsa_tg_split 0
		.amdhsa_exception_fp_ieee_invalid_op 0
		.amdhsa_exception_fp_denorm_src 0
		.amdhsa_exception_fp_ieee_div_zero 0
		.amdhsa_exception_fp_ieee_overflow 0
		.amdhsa_exception_fp_ieee_underflow 0
		.amdhsa_exception_fp_ieee_inexact 0
		.amdhsa_exception_int_div_zero 0
	.end_amdhsa_kernel
	.section	.text._ZN7rocprim17ROCPRIM_400000_NS6detail17trampoline_kernelINS0_14default_configENS1_20scan_config_selectorIxEEZZNS1_9scan_implILNS1_25lookback_scan_determinismE0ELb0ELb0ES3_N6thrust23THRUST_200600_302600_NS6detail15normal_iteratorINS9_10device_ptrIxEEEESE_xNS9_4plusIvEExEEDaPvRmT3_T4_T5_mT6_P12ihipStream_tbENKUlT_T0_E_clISt17integral_constantIbLb1EESU_EEDaSP_SQ_EUlSP_E_NS1_11comp_targetILNS1_3genE8ELNS1_11target_archE1030ELNS1_3gpuE2ELNS1_3repE0EEENS1_30default_config_static_selectorELNS0_4arch9wavefront6targetE1EEEvT1_,"axG",@progbits,_ZN7rocprim17ROCPRIM_400000_NS6detail17trampoline_kernelINS0_14default_configENS1_20scan_config_selectorIxEEZZNS1_9scan_implILNS1_25lookback_scan_determinismE0ELb0ELb0ES3_N6thrust23THRUST_200600_302600_NS6detail15normal_iteratorINS9_10device_ptrIxEEEESE_xNS9_4plusIvEExEEDaPvRmT3_T4_T5_mT6_P12ihipStream_tbENKUlT_T0_E_clISt17integral_constantIbLb1EESU_EEDaSP_SQ_EUlSP_E_NS1_11comp_targetILNS1_3genE8ELNS1_11target_archE1030ELNS1_3gpuE2ELNS1_3repE0EEENS1_30default_config_static_selectorELNS0_4arch9wavefront6targetE1EEEvT1_,comdat
.Lfunc_end39:
	.size	_ZN7rocprim17ROCPRIM_400000_NS6detail17trampoline_kernelINS0_14default_configENS1_20scan_config_selectorIxEEZZNS1_9scan_implILNS1_25lookback_scan_determinismE0ELb0ELb0ES3_N6thrust23THRUST_200600_302600_NS6detail15normal_iteratorINS9_10device_ptrIxEEEESE_xNS9_4plusIvEExEEDaPvRmT3_T4_T5_mT6_P12ihipStream_tbENKUlT_T0_E_clISt17integral_constantIbLb1EESU_EEDaSP_SQ_EUlSP_E_NS1_11comp_targetILNS1_3genE8ELNS1_11target_archE1030ELNS1_3gpuE2ELNS1_3repE0EEENS1_30default_config_static_selectorELNS0_4arch9wavefront6targetE1EEEvT1_, .Lfunc_end39-_ZN7rocprim17ROCPRIM_400000_NS6detail17trampoline_kernelINS0_14default_configENS1_20scan_config_selectorIxEEZZNS1_9scan_implILNS1_25lookback_scan_determinismE0ELb0ELb0ES3_N6thrust23THRUST_200600_302600_NS6detail15normal_iteratorINS9_10device_ptrIxEEEESE_xNS9_4plusIvEExEEDaPvRmT3_T4_T5_mT6_P12ihipStream_tbENKUlT_T0_E_clISt17integral_constantIbLb1EESU_EEDaSP_SQ_EUlSP_E_NS1_11comp_targetILNS1_3genE8ELNS1_11target_archE1030ELNS1_3gpuE2ELNS1_3repE0EEENS1_30default_config_static_selectorELNS0_4arch9wavefront6targetE1EEEvT1_
                                        ; -- End function
	.section	.AMDGPU.csdata,"",@progbits
; Kernel info:
; codeLenInByte = 0
; NumSgprs: 4
; NumVgprs: 0
; NumAgprs: 0
; TotalNumVgprs: 0
; ScratchSize: 0
; MemoryBound: 0
; FloatMode: 240
; IeeeMode: 1
; LDSByteSize: 0 bytes/workgroup (compile time only)
; SGPRBlocks: 0
; VGPRBlocks: 0
; NumSGPRsForWavesPerEU: 4
; NumVGPRsForWavesPerEU: 1
; AccumOffset: 4
; Occupancy: 8
; WaveLimiterHint : 0
; COMPUTE_PGM_RSRC2:SCRATCH_EN: 0
; COMPUTE_PGM_RSRC2:USER_SGPR: 6
; COMPUTE_PGM_RSRC2:TRAP_HANDLER: 0
; COMPUTE_PGM_RSRC2:TGID_X_EN: 1
; COMPUTE_PGM_RSRC2:TGID_Y_EN: 0
; COMPUTE_PGM_RSRC2:TGID_Z_EN: 0
; COMPUTE_PGM_RSRC2:TIDIG_COMP_CNT: 0
; COMPUTE_PGM_RSRC3_GFX90A:ACCUM_OFFSET: 0
; COMPUTE_PGM_RSRC3_GFX90A:TG_SPLIT: 0
	.section	.text._ZN7rocprim17ROCPRIM_400000_NS6detail17trampoline_kernelINS0_14default_configENS1_20scan_config_selectorIxEEZZNS1_9scan_implILNS1_25lookback_scan_determinismE0ELb0ELb0ES3_N6thrust23THRUST_200600_302600_NS6detail15normal_iteratorINS9_10device_ptrIxEEEESE_xNS9_4plusIvEExEEDaPvRmT3_T4_T5_mT6_P12ihipStream_tbENKUlT_T0_E_clISt17integral_constantIbLb1EESU_EEDaSP_SQ_EUlSP_E0_NS1_11comp_targetILNS1_3genE0ELNS1_11target_archE4294967295ELNS1_3gpuE0ELNS1_3repE0EEENS1_30default_config_static_selectorELNS0_4arch9wavefront6targetE1EEEvT1_,"axG",@progbits,_ZN7rocprim17ROCPRIM_400000_NS6detail17trampoline_kernelINS0_14default_configENS1_20scan_config_selectorIxEEZZNS1_9scan_implILNS1_25lookback_scan_determinismE0ELb0ELb0ES3_N6thrust23THRUST_200600_302600_NS6detail15normal_iteratorINS9_10device_ptrIxEEEESE_xNS9_4plusIvEExEEDaPvRmT3_T4_T5_mT6_P12ihipStream_tbENKUlT_T0_E_clISt17integral_constantIbLb1EESU_EEDaSP_SQ_EUlSP_E0_NS1_11comp_targetILNS1_3genE0ELNS1_11target_archE4294967295ELNS1_3gpuE0ELNS1_3repE0EEENS1_30default_config_static_selectorELNS0_4arch9wavefront6targetE1EEEvT1_,comdat
	.protected	_ZN7rocprim17ROCPRIM_400000_NS6detail17trampoline_kernelINS0_14default_configENS1_20scan_config_selectorIxEEZZNS1_9scan_implILNS1_25lookback_scan_determinismE0ELb0ELb0ES3_N6thrust23THRUST_200600_302600_NS6detail15normal_iteratorINS9_10device_ptrIxEEEESE_xNS9_4plusIvEExEEDaPvRmT3_T4_T5_mT6_P12ihipStream_tbENKUlT_T0_E_clISt17integral_constantIbLb1EESU_EEDaSP_SQ_EUlSP_E0_NS1_11comp_targetILNS1_3genE0ELNS1_11target_archE4294967295ELNS1_3gpuE0ELNS1_3repE0EEENS1_30default_config_static_selectorELNS0_4arch9wavefront6targetE1EEEvT1_ ; -- Begin function _ZN7rocprim17ROCPRIM_400000_NS6detail17trampoline_kernelINS0_14default_configENS1_20scan_config_selectorIxEEZZNS1_9scan_implILNS1_25lookback_scan_determinismE0ELb0ELb0ES3_N6thrust23THRUST_200600_302600_NS6detail15normal_iteratorINS9_10device_ptrIxEEEESE_xNS9_4plusIvEExEEDaPvRmT3_T4_T5_mT6_P12ihipStream_tbENKUlT_T0_E_clISt17integral_constantIbLb1EESU_EEDaSP_SQ_EUlSP_E0_NS1_11comp_targetILNS1_3genE0ELNS1_11target_archE4294967295ELNS1_3gpuE0ELNS1_3repE0EEENS1_30default_config_static_selectorELNS0_4arch9wavefront6targetE1EEEvT1_
	.globl	_ZN7rocprim17ROCPRIM_400000_NS6detail17trampoline_kernelINS0_14default_configENS1_20scan_config_selectorIxEEZZNS1_9scan_implILNS1_25lookback_scan_determinismE0ELb0ELb0ES3_N6thrust23THRUST_200600_302600_NS6detail15normal_iteratorINS9_10device_ptrIxEEEESE_xNS9_4plusIvEExEEDaPvRmT3_T4_T5_mT6_P12ihipStream_tbENKUlT_T0_E_clISt17integral_constantIbLb1EESU_EEDaSP_SQ_EUlSP_E0_NS1_11comp_targetILNS1_3genE0ELNS1_11target_archE4294967295ELNS1_3gpuE0ELNS1_3repE0EEENS1_30default_config_static_selectorELNS0_4arch9wavefront6targetE1EEEvT1_
	.p2align	8
	.type	_ZN7rocprim17ROCPRIM_400000_NS6detail17trampoline_kernelINS0_14default_configENS1_20scan_config_selectorIxEEZZNS1_9scan_implILNS1_25lookback_scan_determinismE0ELb0ELb0ES3_N6thrust23THRUST_200600_302600_NS6detail15normal_iteratorINS9_10device_ptrIxEEEESE_xNS9_4plusIvEExEEDaPvRmT3_T4_T5_mT6_P12ihipStream_tbENKUlT_T0_E_clISt17integral_constantIbLb1EESU_EEDaSP_SQ_EUlSP_E0_NS1_11comp_targetILNS1_3genE0ELNS1_11target_archE4294967295ELNS1_3gpuE0ELNS1_3repE0EEENS1_30default_config_static_selectorELNS0_4arch9wavefront6targetE1EEEvT1_,@function
_ZN7rocprim17ROCPRIM_400000_NS6detail17trampoline_kernelINS0_14default_configENS1_20scan_config_selectorIxEEZZNS1_9scan_implILNS1_25lookback_scan_determinismE0ELb0ELb0ES3_N6thrust23THRUST_200600_302600_NS6detail15normal_iteratorINS9_10device_ptrIxEEEESE_xNS9_4plusIvEExEEDaPvRmT3_T4_T5_mT6_P12ihipStream_tbENKUlT_T0_E_clISt17integral_constantIbLb1EESU_EEDaSP_SQ_EUlSP_E0_NS1_11comp_targetILNS1_3genE0ELNS1_11target_archE4294967295ELNS1_3gpuE0ELNS1_3repE0EEENS1_30default_config_static_selectorELNS0_4arch9wavefront6targetE1EEEvT1_: ; @_ZN7rocprim17ROCPRIM_400000_NS6detail17trampoline_kernelINS0_14default_configENS1_20scan_config_selectorIxEEZZNS1_9scan_implILNS1_25lookback_scan_determinismE0ELb0ELb0ES3_N6thrust23THRUST_200600_302600_NS6detail15normal_iteratorINS9_10device_ptrIxEEEESE_xNS9_4plusIvEExEEDaPvRmT3_T4_T5_mT6_P12ihipStream_tbENKUlT_T0_E_clISt17integral_constantIbLb1EESU_EEDaSP_SQ_EUlSP_E0_NS1_11comp_targetILNS1_3genE0ELNS1_11target_archE4294967295ELNS1_3gpuE0ELNS1_3repE0EEENS1_30default_config_static_selectorELNS0_4arch9wavefront6targetE1EEEvT1_
; %bb.0:
	.section	.rodata,"a",@progbits
	.p2align	6, 0x0
	.amdhsa_kernel _ZN7rocprim17ROCPRIM_400000_NS6detail17trampoline_kernelINS0_14default_configENS1_20scan_config_selectorIxEEZZNS1_9scan_implILNS1_25lookback_scan_determinismE0ELb0ELb0ES3_N6thrust23THRUST_200600_302600_NS6detail15normal_iteratorINS9_10device_ptrIxEEEESE_xNS9_4plusIvEExEEDaPvRmT3_T4_T5_mT6_P12ihipStream_tbENKUlT_T0_E_clISt17integral_constantIbLb1EESU_EEDaSP_SQ_EUlSP_E0_NS1_11comp_targetILNS1_3genE0ELNS1_11target_archE4294967295ELNS1_3gpuE0ELNS1_3repE0EEENS1_30default_config_static_selectorELNS0_4arch9wavefront6targetE1EEEvT1_
		.amdhsa_group_segment_fixed_size 0
		.amdhsa_private_segment_fixed_size 0
		.amdhsa_kernarg_size 40
		.amdhsa_user_sgpr_count 6
		.amdhsa_user_sgpr_private_segment_buffer 1
		.amdhsa_user_sgpr_dispatch_ptr 0
		.amdhsa_user_sgpr_queue_ptr 0
		.amdhsa_user_sgpr_kernarg_segment_ptr 1
		.amdhsa_user_sgpr_dispatch_id 0
		.amdhsa_user_sgpr_flat_scratch_init 0
		.amdhsa_user_sgpr_kernarg_preload_length 0
		.amdhsa_user_sgpr_kernarg_preload_offset 0
		.amdhsa_user_sgpr_private_segment_size 0
		.amdhsa_uses_dynamic_stack 0
		.amdhsa_system_sgpr_private_segment_wavefront_offset 0
		.amdhsa_system_sgpr_workgroup_id_x 1
		.amdhsa_system_sgpr_workgroup_id_y 0
		.amdhsa_system_sgpr_workgroup_id_z 0
		.amdhsa_system_sgpr_workgroup_info 0
		.amdhsa_system_vgpr_workitem_id 0
		.amdhsa_next_free_vgpr 1
		.amdhsa_next_free_sgpr 0
		.amdhsa_accum_offset 4
		.amdhsa_reserve_vcc 0
		.amdhsa_reserve_flat_scratch 0
		.amdhsa_float_round_mode_32 0
		.amdhsa_float_round_mode_16_64 0
		.amdhsa_float_denorm_mode_32 3
		.amdhsa_float_denorm_mode_16_64 3
		.amdhsa_dx10_clamp 1
		.amdhsa_ieee_mode 1
		.amdhsa_fp16_overflow 0
		.amdhsa_tg_split 0
		.amdhsa_exception_fp_ieee_invalid_op 0
		.amdhsa_exception_fp_denorm_src 0
		.amdhsa_exception_fp_ieee_div_zero 0
		.amdhsa_exception_fp_ieee_overflow 0
		.amdhsa_exception_fp_ieee_underflow 0
		.amdhsa_exception_fp_ieee_inexact 0
		.amdhsa_exception_int_div_zero 0
	.end_amdhsa_kernel
	.section	.text._ZN7rocprim17ROCPRIM_400000_NS6detail17trampoline_kernelINS0_14default_configENS1_20scan_config_selectorIxEEZZNS1_9scan_implILNS1_25lookback_scan_determinismE0ELb0ELb0ES3_N6thrust23THRUST_200600_302600_NS6detail15normal_iteratorINS9_10device_ptrIxEEEESE_xNS9_4plusIvEExEEDaPvRmT3_T4_T5_mT6_P12ihipStream_tbENKUlT_T0_E_clISt17integral_constantIbLb1EESU_EEDaSP_SQ_EUlSP_E0_NS1_11comp_targetILNS1_3genE0ELNS1_11target_archE4294967295ELNS1_3gpuE0ELNS1_3repE0EEENS1_30default_config_static_selectorELNS0_4arch9wavefront6targetE1EEEvT1_,"axG",@progbits,_ZN7rocprim17ROCPRIM_400000_NS6detail17trampoline_kernelINS0_14default_configENS1_20scan_config_selectorIxEEZZNS1_9scan_implILNS1_25lookback_scan_determinismE0ELb0ELb0ES3_N6thrust23THRUST_200600_302600_NS6detail15normal_iteratorINS9_10device_ptrIxEEEESE_xNS9_4plusIvEExEEDaPvRmT3_T4_T5_mT6_P12ihipStream_tbENKUlT_T0_E_clISt17integral_constantIbLb1EESU_EEDaSP_SQ_EUlSP_E0_NS1_11comp_targetILNS1_3genE0ELNS1_11target_archE4294967295ELNS1_3gpuE0ELNS1_3repE0EEENS1_30default_config_static_selectorELNS0_4arch9wavefront6targetE1EEEvT1_,comdat
.Lfunc_end40:
	.size	_ZN7rocprim17ROCPRIM_400000_NS6detail17trampoline_kernelINS0_14default_configENS1_20scan_config_selectorIxEEZZNS1_9scan_implILNS1_25lookback_scan_determinismE0ELb0ELb0ES3_N6thrust23THRUST_200600_302600_NS6detail15normal_iteratorINS9_10device_ptrIxEEEESE_xNS9_4plusIvEExEEDaPvRmT3_T4_T5_mT6_P12ihipStream_tbENKUlT_T0_E_clISt17integral_constantIbLb1EESU_EEDaSP_SQ_EUlSP_E0_NS1_11comp_targetILNS1_3genE0ELNS1_11target_archE4294967295ELNS1_3gpuE0ELNS1_3repE0EEENS1_30default_config_static_selectorELNS0_4arch9wavefront6targetE1EEEvT1_, .Lfunc_end40-_ZN7rocprim17ROCPRIM_400000_NS6detail17trampoline_kernelINS0_14default_configENS1_20scan_config_selectorIxEEZZNS1_9scan_implILNS1_25lookback_scan_determinismE0ELb0ELb0ES3_N6thrust23THRUST_200600_302600_NS6detail15normal_iteratorINS9_10device_ptrIxEEEESE_xNS9_4plusIvEExEEDaPvRmT3_T4_T5_mT6_P12ihipStream_tbENKUlT_T0_E_clISt17integral_constantIbLb1EESU_EEDaSP_SQ_EUlSP_E0_NS1_11comp_targetILNS1_3genE0ELNS1_11target_archE4294967295ELNS1_3gpuE0ELNS1_3repE0EEENS1_30default_config_static_selectorELNS0_4arch9wavefront6targetE1EEEvT1_
                                        ; -- End function
	.section	.AMDGPU.csdata,"",@progbits
; Kernel info:
; codeLenInByte = 0
; NumSgprs: 4
; NumVgprs: 0
; NumAgprs: 0
; TotalNumVgprs: 0
; ScratchSize: 0
; MemoryBound: 0
; FloatMode: 240
; IeeeMode: 1
; LDSByteSize: 0 bytes/workgroup (compile time only)
; SGPRBlocks: 0
; VGPRBlocks: 0
; NumSGPRsForWavesPerEU: 4
; NumVGPRsForWavesPerEU: 1
; AccumOffset: 4
; Occupancy: 8
; WaveLimiterHint : 0
; COMPUTE_PGM_RSRC2:SCRATCH_EN: 0
; COMPUTE_PGM_RSRC2:USER_SGPR: 6
; COMPUTE_PGM_RSRC2:TRAP_HANDLER: 0
; COMPUTE_PGM_RSRC2:TGID_X_EN: 1
; COMPUTE_PGM_RSRC2:TGID_Y_EN: 0
; COMPUTE_PGM_RSRC2:TGID_Z_EN: 0
; COMPUTE_PGM_RSRC2:TIDIG_COMP_CNT: 0
; COMPUTE_PGM_RSRC3_GFX90A:ACCUM_OFFSET: 0
; COMPUTE_PGM_RSRC3_GFX90A:TG_SPLIT: 0
	.section	.text._ZN7rocprim17ROCPRIM_400000_NS6detail17trampoline_kernelINS0_14default_configENS1_20scan_config_selectorIxEEZZNS1_9scan_implILNS1_25lookback_scan_determinismE0ELb0ELb0ES3_N6thrust23THRUST_200600_302600_NS6detail15normal_iteratorINS9_10device_ptrIxEEEESE_xNS9_4plusIvEExEEDaPvRmT3_T4_T5_mT6_P12ihipStream_tbENKUlT_T0_E_clISt17integral_constantIbLb1EESU_EEDaSP_SQ_EUlSP_E0_NS1_11comp_targetILNS1_3genE5ELNS1_11target_archE942ELNS1_3gpuE9ELNS1_3repE0EEENS1_30default_config_static_selectorELNS0_4arch9wavefront6targetE1EEEvT1_,"axG",@progbits,_ZN7rocprim17ROCPRIM_400000_NS6detail17trampoline_kernelINS0_14default_configENS1_20scan_config_selectorIxEEZZNS1_9scan_implILNS1_25lookback_scan_determinismE0ELb0ELb0ES3_N6thrust23THRUST_200600_302600_NS6detail15normal_iteratorINS9_10device_ptrIxEEEESE_xNS9_4plusIvEExEEDaPvRmT3_T4_T5_mT6_P12ihipStream_tbENKUlT_T0_E_clISt17integral_constantIbLb1EESU_EEDaSP_SQ_EUlSP_E0_NS1_11comp_targetILNS1_3genE5ELNS1_11target_archE942ELNS1_3gpuE9ELNS1_3repE0EEENS1_30default_config_static_selectorELNS0_4arch9wavefront6targetE1EEEvT1_,comdat
	.protected	_ZN7rocprim17ROCPRIM_400000_NS6detail17trampoline_kernelINS0_14default_configENS1_20scan_config_selectorIxEEZZNS1_9scan_implILNS1_25lookback_scan_determinismE0ELb0ELb0ES3_N6thrust23THRUST_200600_302600_NS6detail15normal_iteratorINS9_10device_ptrIxEEEESE_xNS9_4plusIvEExEEDaPvRmT3_T4_T5_mT6_P12ihipStream_tbENKUlT_T0_E_clISt17integral_constantIbLb1EESU_EEDaSP_SQ_EUlSP_E0_NS1_11comp_targetILNS1_3genE5ELNS1_11target_archE942ELNS1_3gpuE9ELNS1_3repE0EEENS1_30default_config_static_selectorELNS0_4arch9wavefront6targetE1EEEvT1_ ; -- Begin function _ZN7rocprim17ROCPRIM_400000_NS6detail17trampoline_kernelINS0_14default_configENS1_20scan_config_selectorIxEEZZNS1_9scan_implILNS1_25lookback_scan_determinismE0ELb0ELb0ES3_N6thrust23THRUST_200600_302600_NS6detail15normal_iteratorINS9_10device_ptrIxEEEESE_xNS9_4plusIvEExEEDaPvRmT3_T4_T5_mT6_P12ihipStream_tbENKUlT_T0_E_clISt17integral_constantIbLb1EESU_EEDaSP_SQ_EUlSP_E0_NS1_11comp_targetILNS1_3genE5ELNS1_11target_archE942ELNS1_3gpuE9ELNS1_3repE0EEENS1_30default_config_static_selectorELNS0_4arch9wavefront6targetE1EEEvT1_
	.globl	_ZN7rocprim17ROCPRIM_400000_NS6detail17trampoline_kernelINS0_14default_configENS1_20scan_config_selectorIxEEZZNS1_9scan_implILNS1_25lookback_scan_determinismE0ELb0ELb0ES3_N6thrust23THRUST_200600_302600_NS6detail15normal_iteratorINS9_10device_ptrIxEEEESE_xNS9_4plusIvEExEEDaPvRmT3_T4_T5_mT6_P12ihipStream_tbENKUlT_T0_E_clISt17integral_constantIbLb1EESU_EEDaSP_SQ_EUlSP_E0_NS1_11comp_targetILNS1_3genE5ELNS1_11target_archE942ELNS1_3gpuE9ELNS1_3repE0EEENS1_30default_config_static_selectorELNS0_4arch9wavefront6targetE1EEEvT1_
	.p2align	8
	.type	_ZN7rocprim17ROCPRIM_400000_NS6detail17trampoline_kernelINS0_14default_configENS1_20scan_config_selectorIxEEZZNS1_9scan_implILNS1_25lookback_scan_determinismE0ELb0ELb0ES3_N6thrust23THRUST_200600_302600_NS6detail15normal_iteratorINS9_10device_ptrIxEEEESE_xNS9_4plusIvEExEEDaPvRmT3_T4_T5_mT6_P12ihipStream_tbENKUlT_T0_E_clISt17integral_constantIbLb1EESU_EEDaSP_SQ_EUlSP_E0_NS1_11comp_targetILNS1_3genE5ELNS1_11target_archE942ELNS1_3gpuE9ELNS1_3repE0EEENS1_30default_config_static_selectorELNS0_4arch9wavefront6targetE1EEEvT1_,@function
_ZN7rocprim17ROCPRIM_400000_NS6detail17trampoline_kernelINS0_14default_configENS1_20scan_config_selectorIxEEZZNS1_9scan_implILNS1_25lookback_scan_determinismE0ELb0ELb0ES3_N6thrust23THRUST_200600_302600_NS6detail15normal_iteratorINS9_10device_ptrIxEEEESE_xNS9_4plusIvEExEEDaPvRmT3_T4_T5_mT6_P12ihipStream_tbENKUlT_T0_E_clISt17integral_constantIbLb1EESU_EEDaSP_SQ_EUlSP_E0_NS1_11comp_targetILNS1_3genE5ELNS1_11target_archE942ELNS1_3gpuE9ELNS1_3repE0EEENS1_30default_config_static_selectorELNS0_4arch9wavefront6targetE1EEEvT1_: ; @_ZN7rocprim17ROCPRIM_400000_NS6detail17trampoline_kernelINS0_14default_configENS1_20scan_config_selectorIxEEZZNS1_9scan_implILNS1_25lookback_scan_determinismE0ELb0ELb0ES3_N6thrust23THRUST_200600_302600_NS6detail15normal_iteratorINS9_10device_ptrIxEEEESE_xNS9_4plusIvEExEEDaPvRmT3_T4_T5_mT6_P12ihipStream_tbENKUlT_T0_E_clISt17integral_constantIbLb1EESU_EEDaSP_SQ_EUlSP_E0_NS1_11comp_targetILNS1_3genE5ELNS1_11target_archE942ELNS1_3gpuE9ELNS1_3repE0EEENS1_30default_config_static_selectorELNS0_4arch9wavefront6targetE1EEEvT1_
; %bb.0:
	.section	.rodata,"a",@progbits
	.p2align	6, 0x0
	.amdhsa_kernel _ZN7rocprim17ROCPRIM_400000_NS6detail17trampoline_kernelINS0_14default_configENS1_20scan_config_selectorIxEEZZNS1_9scan_implILNS1_25lookback_scan_determinismE0ELb0ELb0ES3_N6thrust23THRUST_200600_302600_NS6detail15normal_iteratorINS9_10device_ptrIxEEEESE_xNS9_4plusIvEExEEDaPvRmT3_T4_T5_mT6_P12ihipStream_tbENKUlT_T0_E_clISt17integral_constantIbLb1EESU_EEDaSP_SQ_EUlSP_E0_NS1_11comp_targetILNS1_3genE5ELNS1_11target_archE942ELNS1_3gpuE9ELNS1_3repE0EEENS1_30default_config_static_selectorELNS0_4arch9wavefront6targetE1EEEvT1_
		.amdhsa_group_segment_fixed_size 0
		.amdhsa_private_segment_fixed_size 0
		.amdhsa_kernarg_size 40
		.amdhsa_user_sgpr_count 6
		.amdhsa_user_sgpr_private_segment_buffer 1
		.amdhsa_user_sgpr_dispatch_ptr 0
		.amdhsa_user_sgpr_queue_ptr 0
		.amdhsa_user_sgpr_kernarg_segment_ptr 1
		.amdhsa_user_sgpr_dispatch_id 0
		.amdhsa_user_sgpr_flat_scratch_init 0
		.amdhsa_user_sgpr_kernarg_preload_length 0
		.amdhsa_user_sgpr_kernarg_preload_offset 0
		.amdhsa_user_sgpr_private_segment_size 0
		.amdhsa_uses_dynamic_stack 0
		.amdhsa_system_sgpr_private_segment_wavefront_offset 0
		.amdhsa_system_sgpr_workgroup_id_x 1
		.amdhsa_system_sgpr_workgroup_id_y 0
		.amdhsa_system_sgpr_workgroup_id_z 0
		.amdhsa_system_sgpr_workgroup_info 0
		.amdhsa_system_vgpr_workitem_id 0
		.amdhsa_next_free_vgpr 1
		.amdhsa_next_free_sgpr 0
		.amdhsa_accum_offset 4
		.amdhsa_reserve_vcc 0
		.amdhsa_reserve_flat_scratch 0
		.amdhsa_float_round_mode_32 0
		.amdhsa_float_round_mode_16_64 0
		.amdhsa_float_denorm_mode_32 3
		.amdhsa_float_denorm_mode_16_64 3
		.amdhsa_dx10_clamp 1
		.amdhsa_ieee_mode 1
		.amdhsa_fp16_overflow 0
		.amdhsa_tg_split 0
		.amdhsa_exception_fp_ieee_invalid_op 0
		.amdhsa_exception_fp_denorm_src 0
		.amdhsa_exception_fp_ieee_div_zero 0
		.amdhsa_exception_fp_ieee_overflow 0
		.amdhsa_exception_fp_ieee_underflow 0
		.amdhsa_exception_fp_ieee_inexact 0
		.amdhsa_exception_int_div_zero 0
	.end_amdhsa_kernel
	.section	.text._ZN7rocprim17ROCPRIM_400000_NS6detail17trampoline_kernelINS0_14default_configENS1_20scan_config_selectorIxEEZZNS1_9scan_implILNS1_25lookback_scan_determinismE0ELb0ELb0ES3_N6thrust23THRUST_200600_302600_NS6detail15normal_iteratorINS9_10device_ptrIxEEEESE_xNS9_4plusIvEExEEDaPvRmT3_T4_T5_mT6_P12ihipStream_tbENKUlT_T0_E_clISt17integral_constantIbLb1EESU_EEDaSP_SQ_EUlSP_E0_NS1_11comp_targetILNS1_3genE5ELNS1_11target_archE942ELNS1_3gpuE9ELNS1_3repE0EEENS1_30default_config_static_selectorELNS0_4arch9wavefront6targetE1EEEvT1_,"axG",@progbits,_ZN7rocprim17ROCPRIM_400000_NS6detail17trampoline_kernelINS0_14default_configENS1_20scan_config_selectorIxEEZZNS1_9scan_implILNS1_25lookback_scan_determinismE0ELb0ELb0ES3_N6thrust23THRUST_200600_302600_NS6detail15normal_iteratorINS9_10device_ptrIxEEEESE_xNS9_4plusIvEExEEDaPvRmT3_T4_T5_mT6_P12ihipStream_tbENKUlT_T0_E_clISt17integral_constantIbLb1EESU_EEDaSP_SQ_EUlSP_E0_NS1_11comp_targetILNS1_3genE5ELNS1_11target_archE942ELNS1_3gpuE9ELNS1_3repE0EEENS1_30default_config_static_selectorELNS0_4arch9wavefront6targetE1EEEvT1_,comdat
.Lfunc_end41:
	.size	_ZN7rocprim17ROCPRIM_400000_NS6detail17trampoline_kernelINS0_14default_configENS1_20scan_config_selectorIxEEZZNS1_9scan_implILNS1_25lookback_scan_determinismE0ELb0ELb0ES3_N6thrust23THRUST_200600_302600_NS6detail15normal_iteratorINS9_10device_ptrIxEEEESE_xNS9_4plusIvEExEEDaPvRmT3_T4_T5_mT6_P12ihipStream_tbENKUlT_T0_E_clISt17integral_constantIbLb1EESU_EEDaSP_SQ_EUlSP_E0_NS1_11comp_targetILNS1_3genE5ELNS1_11target_archE942ELNS1_3gpuE9ELNS1_3repE0EEENS1_30default_config_static_selectorELNS0_4arch9wavefront6targetE1EEEvT1_, .Lfunc_end41-_ZN7rocprim17ROCPRIM_400000_NS6detail17trampoline_kernelINS0_14default_configENS1_20scan_config_selectorIxEEZZNS1_9scan_implILNS1_25lookback_scan_determinismE0ELb0ELb0ES3_N6thrust23THRUST_200600_302600_NS6detail15normal_iteratorINS9_10device_ptrIxEEEESE_xNS9_4plusIvEExEEDaPvRmT3_T4_T5_mT6_P12ihipStream_tbENKUlT_T0_E_clISt17integral_constantIbLb1EESU_EEDaSP_SQ_EUlSP_E0_NS1_11comp_targetILNS1_3genE5ELNS1_11target_archE942ELNS1_3gpuE9ELNS1_3repE0EEENS1_30default_config_static_selectorELNS0_4arch9wavefront6targetE1EEEvT1_
                                        ; -- End function
	.section	.AMDGPU.csdata,"",@progbits
; Kernel info:
; codeLenInByte = 0
; NumSgprs: 4
; NumVgprs: 0
; NumAgprs: 0
; TotalNumVgprs: 0
; ScratchSize: 0
; MemoryBound: 0
; FloatMode: 240
; IeeeMode: 1
; LDSByteSize: 0 bytes/workgroup (compile time only)
; SGPRBlocks: 0
; VGPRBlocks: 0
; NumSGPRsForWavesPerEU: 4
; NumVGPRsForWavesPerEU: 1
; AccumOffset: 4
; Occupancy: 8
; WaveLimiterHint : 0
; COMPUTE_PGM_RSRC2:SCRATCH_EN: 0
; COMPUTE_PGM_RSRC2:USER_SGPR: 6
; COMPUTE_PGM_RSRC2:TRAP_HANDLER: 0
; COMPUTE_PGM_RSRC2:TGID_X_EN: 1
; COMPUTE_PGM_RSRC2:TGID_Y_EN: 0
; COMPUTE_PGM_RSRC2:TGID_Z_EN: 0
; COMPUTE_PGM_RSRC2:TIDIG_COMP_CNT: 0
; COMPUTE_PGM_RSRC3_GFX90A:ACCUM_OFFSET: 0
; COMPUTE_PGM_RSRC3_GFX90A:TG_SPLIT: 0
	.section	.text._ZN7rocprim17ROCPRIM_400000_NS6detail17trampoline_kernelINS0_14default_configENS1_20scan_config_selectorIxEEZZNS1_9scan_implILNS1_25lookback_scan_determinismE0ELb0ELb0ES3_N6thrust23THRUST_200600_302600_NS6detail15normal_iteratorINS9_10device_ptrIxEEEESE_xNS9_4plusIvEExEEDaPvRmT3_T4_T5_mT6_P12ihipStream_tbENKUlT_T0_E_clISt17integral_constantIbLb1EESU_EEDaSP_SQ_EUlSP_E0_NS1_11comp_targetILNS1_3genE4ELNS1_11target_archE910ELNS1_3gpuE8ELNS1_3repE0EEENS1_30default_config_static_selectorELNS0_4arch9wavefront6targetE1EEEvT1_,"axG",@progbits,_ZN7rocprim17ROCPRIM_400000_NS6detail17trampoline_kernelINS0_14default_configENS1_20scan_config_selectorIxEEZZNS1_9scan_implILNS1_25lookback_scan_determinismE0ELb0ELb0ES3_N6thrust23THRUST_200600_302600_NS6detail15normal_iteratorINS9_10device_ptrIxEEEESE_xNS9_4plusIvEExEEDaPvRmT3_T4_T5_mT6_P12ihipStream_tbENKUlT_T0_E_clISt17integral_constantIbLb1EESU_EEDaSP_SQ_EUlSP_E0_NS1_11comp_targetILNS1_3genE4ELNS1_11target_archE910ELNS1_3gpuE8ELNS1_3repE0EEENS1_30default_config_static_selectorELNS0_4arch9wavefront6targetE1EEEvT1_,comdat
	.protected	_ZN7rocprim17ROCPRIM_400000_NS6detail17trampoline_kernelINS0_14default_configENS1_20scan_config_selectorIxEEZZNS1_9scan_implILNS1_25lookback_scan_determinismE0ELb0ELb0ES3_N6thrust23THRUST_200600_302600_NS6detail15normal_iteratorINS9_10device_ptrIxEEEESE_xNS9_4plusIvEExEEDaPvRmT3_T4_T5_mT6_P12ihipStream_tbENKUlT_T0_E_clISt17integral_constantIbLb1EESU_EEDaSP_SQ_EUlSP_E0_NS1_11comp_targetILNS1_3genE4ELNS1_11target_archE910ELNS1_3gpuE8ELNS1_3repE0EEENS1_30default_config_static_selectorELNS0_4arch9wavefront6targetE1EEEvT1_ ; -- Begin function _ZN7rocprim17ROCPRIM_400000_NS6detail17trampoline_kernelINS0_14default_configENS1_20scan_config_selectorIxEEZZNS1_9scan_implILNS1_25lookback_scan_determinismE0ELb0ELb0ES3_N6thrust23THRUST_200600_302600_NS6detail15normal_iteratorINS9_10device_ptrIxEEEESE_xNS9_4plusIvEExEEDaPvRmT3_T4_T5_mT6_P12ihipStream_tbENKUlT_T0_E_clISt17integral_constantIbLb1EESU_EEDaSP_SQ_EUlSP_E0_NS1_11comp_targetILNS1_3genE4ELNS1_11target_archE910ELNS1_3gpuE8ELNS1_3repE0EEENS1_30default_config_static_selectorELNS0_4arch9wavefront6targetE1EEEvT1_
	.globl	_ZN7rocprim17ROCPRIM_400000_NS6detail17trampoline_kernelINS0_14default_configENS1_20scan_config_selectorIxEEZZNS1_9scan_implILNS1_25lookback_scan_determinismE0ELb0ELb0ES3_N6thrust23THRUST_200600_302600_NS6detail15normal_iteratorINS9_10device_ptrIxEEEESE_xNS9_4plusIvEExEEDaPvRmT3_T4_T5_mT6_P12ihipStream_tbENKUlT_T0_E_clISt17integral_constantIbLb1EESU_EEDaSP_SQ_EUlSP_E0_NS1_11comp_targetILNS1_3genE4ELNS1_11target_archE910ELNS1_3gpuE8ELNS1_3repE0EEENS1_30default_config_static_selectorELNS0_4arch9wavefront6targetE1EEEvT1_
	.p2align	8
	.type	_ZN7rocprim17ROCPRIM_400000_NS6detail17trampoline_kernelINS0_14default_configENS1_20scan_config_selectorIxEEZZNS1_9scan_implILNS1_25lookback_scan_determinismE0ELb0ELb0ES3_N6thrust23THRUST_200600_302600_NS6detail15normal_iteratorINS9_10device_ptrIxEEEESE_xNS9_4plusIvEExEEDaPvRmT3_T4_T5_mT6_P12ihipStream_tbENKUlT_T0_E_clISt17integral_constantIbLb1EESU_EEDaSP_SQ_EUlSP_E0_NS1_11comp_targetILNS1_3genE4ELNS1_11target_archE910ELNS1_3gpuE8ELNS1_3repE0EEENS1_30default_config_static_selectorELNS0_4arch9wavefront6targetE1EEEvT1_,@function
_ZN7rocprim17ROCPRIM_400000_NS6detail17trampoline_kernelINS0_14default_configENS1_20scan_config_selectorIxEEZZNS1_9scan_implILNS1_25lookback_scan_determinismE0ELb0ELb0ES3_N6thrust23THRUST_200600_302600_NS6detail15normal_iteratorINS9_10device_ptrIxEEEESE_xNS9_4plusIvEExEEDaPvRmT3_T4_T5_mT6_P12ihipStream_tbENKUlT_T0_E_clISt17integral_constantIbLb1EESU_EEDaSP_SQ_EUlSP_E0_NS1_11comp_targetILNS1_3genE4ELNS1_11target_archE910ELNS1_3gpuE8ELNS1_3repE0EEENS1_30default_config_static_selectorELNS0_4arch9wavefront6targetE1EEEvT1_: ; @_ZN7rocprim17ROCPRIM_400000_NS6detail17trampoline_kernelINS0_14default_configENS1_20scan_config_selectorIxEEZZNS1_9scan_implILNS1_25lookback_scan_determinismE0ELb0ELb0ES3_N6thrust23THRUST_200600_302600_NS6detail15normal_iteratorINS9_10device_ptrIxEEEESE_xNS9_4plusIvEExEEDaPvRmT3_T4_T5_mT6_P12ihipStream_tbENKUlT_T0_E_clISt17integral_constantIbLb1EESU_EEDaSP_SQ_EUlSP_E0_NS1_11comp_targetILNS1_3genE4ELNS1_11target_archE910ELNS1_3gpuE8ELNS1_3repE0EEENS1_30default_config_static_selectorELNS0_4arch9wavefront6targetE1EEEvT1_
; %bb.0:
	s_load_dwordx4 s[16:19], s[4:5], 0x0
	v_lshlrev_b32_e32 v21, 3, v0
	s_waitcnt lgkmcnt(0)
	s_load_dwordx2 s[14:15], s[16:17], 0x0
	v_cmp_gt_u32_e32 vcc, s18, v0
	s_waitcnt lgkmcnt(0)
	v_pk_mov_b32 v[2:3], s[14:15], s[14:15] op_sel:[0,1]
	s_and_saveexec_b64 s[0:1], vcc
	s_cbranch_execz .LBB42_2
; %bb.1:
	global_load_dwordx2 v[2:3], v21, s[16:17]
.LBB42_2:
	s_or_b64 exec, exec, s[0:1]
	v_or_b32_e32 v1, 0x80, v0
	v_cmp_gt_u32_e64 s[0:1], s18, v1
	v_pk_mov_b32 v[4:5], s[14:15], s[14:15] op_sel:[0,1]
	s_and_saveexec_b64 s[2:3], s[0:1]
	s_cbranch_execz .LBB42_4
; %bb.3:
	global_load_dwordx2 v[4:5], v21, s[16:17] offset:1024
.LBB42_4:
	s_or_b64 exec, exec, s[2:3]
	v_or_b32_e32 v1, 0x100, v0
	v_cmp_gt_u32_e64 s[2:3], s18, v1
	v_pk_mov_b32 v[6:7], s[14:15], s[14:15] op_sel:[0,1]
	s_and_saveexec_b64 s[6:7], s[2:3]
	s_cbranch_execz .LBB42_6
; %bb.5:
	global_load_dwordx2 v[6:7], v21, s[16:17] offset:2048
.LBB42_6:
	;; [unrolled: 9-line block ×3, first 2 shown]
	s_or_b64 exec, exec, s[6:7]
	v_or_b32_e32 v1, 0x200, v0
	v_cmp_gt_u32_e64 s[6:7], s18, v1
	v_pk_mov_b32 v[10:11], s[14:15], s[14:15] op_sel:[0,1]
	s_and_saveexec_b64 s[8:9], s[6:7]
	s_cbranch_execz .LBB42_10
; %bb.9:
	v_lshlrev_b32_e32 v1, 3, v1
	global_load_dwordx2 v[10:11], v1, s[16:17]
.LBB42_10:
	s_or_b64 exec, exec, s[8:9]
	v_or_b32_e32 v1, 0x280, v0
	v_cmp_gt_u32_e64 s[8:9], s18, v1
	v_pk_mov_b32 v[12:13], s[14:15], s[14:15] op_sel:[0,1]
	s_and_saveexec_b64 s[10:11], s[8:9]
	s_cbranch_execz .LBB42_12
; %bb.11:
	v_lshlrev_b32_e32 v1, 3, v1
	global_load_dwordx2 v[12:13], v1, s[16:17]
.LBB42_12:
	;; [unrolled: 10-line block ×3, first 2 shown]
	s_or_b64 exec, exec, s[14:15]
	v_mad_u32_u24 v1, v0, 48, v21
	s_waitcnt vmcnt(0)
	ds_write2st64_b64 v21, v[2:3], v[4:5] offset1:2
	ds_write2st64_b64 v21, v[6:7], v[8:9] offset0:4 offset1:6
	ds_write2st64_b64 v21, v[10:11], v[12:13] offset0:8 offset1:10
	ds_write_b64 v21, v[14:15] offset:6144
	s_waitcnt lgkmcnt(0)
	s_barrier
	ds_read2_b64 v[2:5], v1 offset1:1
	ds_read2_b64 v[6:9], v1 offset0:2 offset1:3
	ds_read2_b64 v[10:13], v1 offset0:4 offset1:5
	ds_read_b64 v[28:29], v1 offset:48
	s_load_dwordx2 s[16:17], s[4:5], 0x20
	s_waitcnt lgkmcnt(0)
	v_add_co_u32_e64 v20, s[4:5], v4, v2
	v_addc_co_u32_e64 v1, s[4:5], v5, v3, s[4:5]
	v_add_co_u32_e64 v18, s[4:5], v20, v6
	v_addc_co_u32_e64 v19, s[4:5], v1, v7, s[4:5]
	;; [unrolled: 2-line block ×5, first 2 shown]
	v_add_co_u32_e64 v30, s[4:5], v26, v28
	v_lshrrev_b32_e32 v14, 2, v0
	v_addc_co_u32_e64 v31, s[4:5], v27, v29, s[4:5]
	v_and_b32_e32 v14, 24, v14
	v_add_u32_e32 v14, v21, v14
	v_cmp_gt_u32_e64 s[4:5], 64, v0
	s_barrier
	ds_write_b64 v14, v[30:31]
	s_waitcnt lgkmcnt(0)
	s_barrier
	s_and_saveexec_b64 s[18:19], s[4:5]
	s_cbranch_execz .LBB42_18
; %bb.15:
	v_lshlrev_b32_e32 v14, 1, v0
	v_lshrrev_b32_e32 v15, 4, v0
	v_add_lshl_u32 v32, v15, v14, 3
	ds_read2_b64 v[14:17], v32 offset1:1
	s_waitcnt lgkmcnt(0)
	v_add_co_u32_e64 v34, s[4:5], v16, v14
	v_addc_co_u32_e64 v35, s[4:5], v17, v15, s[4:5]
	s_nop 0
	v_mov_b32_dpp v17, v34 row_shr:1 row_mask:0xf bank_mask:0xf
	v_add_co_u32_e64 v17, s[4:5], v34, v17
	v_mbcnt_lo_u32_b32 v16, -1, 0
	v_addc_co_u32_e64 v37, s[4:5], 0, v35, s[4:5]
	v_mbcnt_hi_u32_b32 v33, -1, v16
	v_mov_b32_dpp v36, v35 row_shr:1 row_mask:0xf bank_mask:0xf
	v_add_co_u32_e64 v38, s[4:5], 0, v17
	v_and_b32_e32 v16, 15, v33
	v_addc_co_u32_e64 v36, s[4:5], v36, v37, s[4:5]
	v_cmp_eq_u32_e64 s[4:5], 0, v16
	v_cndmask_b32_e64 v17, v17, v34, s[4:5]
	v_cndmask_b32_e64 v36, v36, v35, s[4:5]
	v_cndmask_b32_e64 v37, v38, v34, s[4:5]
	v_mov_b32_dpp v38, v17 row_shr:2 row_mask:0xf bank_mask:0xf
	v_mov_b32_dpp v39, v36 row_shr:2 row_mask:0xf bank_mask:0xf
	v_add_co_u32_e64 v38, s[4:5], v38, v37
	v_addc_co_u32_e64 v39, s[4:5], v39, v36, s[4:5]
	v_cmp_lt_u32_e64 s[4:5], 1, v16
	v_cndmask_b32_e64 v17, v17, v38, s[4:5]
	v_cndmask_b32_e64 v36, v36, v39, s[4:5]
	v_cndmask_b32_e64 v37, v37, v38, s[4:5]
	v_mov_b32_dpp v38, v17 row_shr:4 row_mask:0xf bank_mask:0xf
	v_mov_b32_dpp v39, v36 row_shr:4 row_mask:0xf bank_mask:0xf
	v_add_co_u32_e64 v38, s[4:5], v38, v37
	v_addc_co_u32_e64 v39, s[4:5], v39, v36, s[4:5]
	v_cmp_lt_u32_e64 s[4:5], 3, v16
	;; [unrolled: 8-line block ×3, first 2 shown]
	v_cndmask_b32_e64 v40, v17, v38, s[4:5]
	v_cndmask_b32_e64 v17, v36, v39, s[4:5]
	;; [unrolled: 1-line block ×3, first 2 shown]
	v_mov_b32_dpp v36, v40 row_bcast:15 row_mask:0xf bank_mask:0xf
	v_mov_b32_dpp v37, v17 row_bcast:15 row_mask:0xf bank_mask:0xf
	v_add_co_u32_e64 v36, s[4:5], v36, v16
	v_and_b32_e32 v39, 16, v33
	v_addc_co_u32_e64 v38, s[4:5], v37, v17, s[4:5]
	v_cmp_eq_u32_e64 s[4:5], 0, v39
	v_cndmask_b32_e64 v39, v38, v17, s[4:5]
	v_cndmask_b32_e64 v37, v36, v40, s[4:5]
	v_cmp_ne_u32_e64 s[14:15], 0, v33
	v_mov_b32_dpp v39, v39 row_bcast:31 row_mask:0xf bank_mask:0xf
	v_mov_b32_dpp v37, v37 row_bcast:31 row_mask:0xf bank_mask:0xf
	s_and_saveexec_b64 s[20:21], s[14:15]
; %bb.16:
	v_cndmask_b32_e64 v17, v38, v17, s[4:5]
	v_cndmask_b32_e64 v16, v36, v16, s[4:5]
	v_cmp_lt_u32_e64 s[4:5], 31, v33
	v_cndmask_b32_e64 v34, 0, v37, s[4:5]
	v_cndmask_b32_e64 v35, 0, v39, s[4:5]
	v_add_co_u32_e64 v34, s[4:5], v34, v16
	v_addc_co_u32_e64 v35, s[4:5], v35, v17, s[4:5]
; %bb.17:
	s_or_b64 exec, exec, s[20:21]
	v_add_u32_e32 v16, -1, v33
	v_and_b32_e32 v17, 64, v33
	v_cmp_lt_i32_e64 s[4:5], v16, v17
	v_cndmask_b32_e64 v16, v16, v33, s[4:5]
	v_lshlrev_b32_e32 v16, 2, v16
	ds_bpermute_b32 v17, v16, v34
	ds_bpermute_b32 v16, v16, v35
	; wave barrier
	s_waitcnt lgkmcnt(1)
	v_add_co_u32_e64 v14, s[4:5], v14, v17
	v_addc_co_u32_e64 v15, s[4:5], 0, v15, s[4:5]
	v_add_co_u32_e64 v14, s[4:5], 0, v14
	s_waitcnt lgkmcnt(0)
	v_addc_co_u32_e64 v15, s[4:5], v15, v16, s[4:5]
	v_cmp_eq_u32_e64 s[4:5], 0, v0
	v_cndmask_b32_e64 v15, v15, v31, s[4:5]
	v_cndmask_b32_e64 v14, v14, v30, s[4:5]
	ds_write_b64 v32, v[14:15]
	; wave barrier
	ds_read_b64 v[16:17], v32 offset:8
	s_waitcnt lgkmcnt(0)
	v_add_co_u32_e64 v14, s[4:5], v16, v14
	v_addc_co_u32_e64 v15, s[4:5], v17, v15, s[4:5]
	ds_write_b64 v32, v[14:15] offset:8
.LBB42_18:
	s_or_b64 exec, exec, s[18:19]
	v_mul_u32_u24_e32 v16, 48, v0
	v_cmp_ne_u32_e64 s[4:5], 0, v0
	v_pk_mov_b32 v[14:15], v[30:31], v[30:31] op_sel:[0,1]
	s_waitcnt lgkmcnt(0)
	s_barrier
	s_and_saveexec_b64 s[14:15], s[4:5]
	s_cbranch_execz .LBB42_20
; %bb.19:
	v_add_u32_e32 v0, -1, v0
	v_lshrrev_b32_e32 v14, 5, v0
	v_add_lshl_u32 v0, v14, v0, 3
	ds_read_b64 v[14:15], v0
.LBB42_20:
	s_or_b64 exec, exec, s[14:15]
	s_and_saveexec_b64 s[14:15], s[4:5]
	s_cbranch_execz .LBB42_22
; %bb.21:
	s_waitcnt lgkmcnt(0)
	v_add_co_u32_e64 v2, s[4:5], v14, v2
	v_addc_co_u32_e64 v3, s[4:5], v15, v3, s[4:5]
	v_add_co_u32_e64 v20, s[4:5], v2, v4
	v_addc_co_u32_e64 v1, s[4:5], v3, v5, s[4:5]
	;; [unrolled: 2-line block ×7, first 2 shown]
	;;#ASMSTART
	;;#ASMEND
.LBB42_22:
	s_or_b64 exec, exec, s[14:15]
	v_add_u32_e32 v4, v21, v16
	v_mov_b32_e32 v0, v20
	s_waitcnt lgkmcnt(0)
	s_barrier
	ds_write2_b64 v4, v[2:3], v[0:1] offset1:1
	ds_write2_b64 v4, v[18:19], v[24:25] offset0:2 offset1:3
	ds_write2_b64 v4, v[22:23], v[26:27] offset0:4 offset1:5
	ds_write_b64 v4, v[30:31] offset:48
	s_waitcnt lgkmcnt(0)
	s_barrier
	ds_read2st64_b64 v[8:11], v21 offset0:2 offset1:4
	ds_read2st64_b64 v[4:7], v21 offset0:6 offset1:8
	;; [unrolled: 1-line block ×3, first 2 shown]
	v_mov_b32_e32 v13, s17
	v_add_co_u32_e64 v12, s[4:5], s16, v21
	v_addc_co_u32_e64 v13, s[4:5], 0, v13, s[4:5]
	s_and_saveexec_b64 s[4:5], vcc
	s_cbranch_execnz .LBB42_30
; %bb.23:
	s_or_b64 exec, exec, s[4:5]
	s_and_saveexec_b64 s[4:5], s[0:1]
	s_cbranch_execnz .LBB42_31
.LBB42_24:
	s_or_b64 exec, exec, s[4:5]
	s_and_saveexec_b64 s[0:1], s[2:3]
	s_cbranch_execnz .LBB42_32
.LBB42_25:
	s_or_b64 exec, exec, s[0:1]
	s_and_saveexec_b64 s[0:1], s[12:13]
	s_cbranch_execnz .LBB42_33
.LBB42_26:
	s_or_b64 exec, exec, s[0:1]
	s_and_saveexec_b64 s[0:1], s[6:7]
	s_cbranch_execnz .LBB42_34
.LBB42_27:
	s_or_b64 exec, exec, s[0:1]
	s_and_saveexec_b64 s[0:1], s[8:9]
	s_cbranch_execnz .LBB42_35
.LBB42_28:
	s_or_b64 exec, exec, s[0:1]
	s_and_saveexec_b64 s[0:1], s[10:11]
	s_cbranch_execnz .LBB42_36
.LBB42_29:
	s_endpgm
.LBB42_30:
	ds_read_b64 v[14:15], v21
	s_waitcnt lgkmcnt(0)
	global_store_dwordx2 v[12:13], v[14:15], off
	s_or_b64 exec, exec, s[4:5]
	s_and_saveexec_b64 s[4:5], s[0:1]
	s_cbranch_execz .LBB42_24
.LBB42_31:
	s_waitcnt lgkmcnt(2)
	global_store_dwordx2 v[12:13], v[8:9], off offset:1024
	s_or_b64 exec, exec, s[4:5]
	s_and_saveexec_b64 s[0:1], s[2:3]
	s_cbranch_execz .LBB42_25
.LBB42_32:
	s_waitcnt lgkmcnt(2)
	global_store_dwordx2 v[12:13], v[10:11], off offset:2048
	s_or_b64 exec, exec, s[0:1]
	s_and_saveexec_b64 s[0:1], s[12:13]
	s_cbranch_execz .LBB42_26
.LBB42_33:
	s_waitcnt lgkmcnt(1)
	global_store_dwordx2 v[12:13], v[4:5], off offset:3072
	s_or_b64 exec, exec, s[0:1]
	s_and_saveexec_b64 s[0:1], s[6:7]
	s_cbranch_execz .LBB42_27
.LBB42_34:
	s_waitcnt lgkmcnt(1)
	v_add_co_u32_e32 v4, vcc, 0x1000, v12
	v_addc_co_u32_e32 v5, vcc, 0, v13, vcc
	global_store_dwordx2 v[4:5], v[6:7], off
	s_or_b64 exec, exec, s[0:1]
	s_and_saveexec_b64 s[0:1], s[8:9]
	s_cbranch_execz .LBB42_28
.LBB42_35:
	s_waitcnt lgkmcnt(1)
	v_add_co_u32_e32 v4, vcc, 0x1000, v12
	v_addc_co_u32_e32 v5, vcc, 0, v13, vcc
	s_waitcnt lgkmcnt(0)
	global_store_dwordx2 v[4:5], v[0:1], off offset:1024
	s_or_b64 exec, exec, s[0:1]
	s_and_saveexec_b64 s[0:1], s[10:11]
	s_cbranch_execz .LBB42_29
.LBB42_36:
	s_waitcnt lgkmcnt(0)
	v_add_co_u32_e32 v0, vcc, 0x1000, v12
	v_addc_co_u32_e32 v1, vcc, 0, v13, vcc
	global_store_dwordx2 v[0:1], v[2:3], off offset:2048
	s_endpgm
	.section	.rodata,"a",@progbits
	.p2align	6, 0x0
	.amdhsa_kernel _ZN7rocprim17ROCPRIM_400000_NS6detail17trampoline_kernelINS0_14default_configENS1_20scan_config_selectorIxEEZZNS1_9scan_implILNS1_25lookback_scan_determinismE0ELb0ELb0ES3_N6thrust23THRUST_200600_302600_NS6detail15normal_iteratorINS9_10device_ptrIxEEEESE_xNS9_4plusIvEExEEDaPvRmT3_T4_T5_mT6_P12ihipStream_tbENKUlT_T0_E_clISt17integral_constantIbLb1EESU_EEDaSP_SQ_EUlSP_E0_NS1_11comp_targetILNS1_3genE4ELNS1_11target_archE910ELNS1_3gpuE8ELNS1_3repE0EEENS1_30default_config_static_selectorELNS0_4arch9wavefront6targetE1EEEvT1_
		.amdhsa_group_segment_fixed_size 7168
		.amdhsa_private_segment_fixed_size 0
		.amdhsa_kernarg_size 40
		.amdhsa_user_sgpr_count 6
		.amdhsa_user_sgpr_private_segment_buffer 1
		.amdhsa_user_sgpr_dispatch_ptr 0
		.amdhsa_user_sgpr_queue_ptr 0
		.amdhsa_user_sgpr_kernarg_segment_ptr 1
		.amdhsa_user_sgpr_dispatch_id 0
		.amdhsa_user_sgpr_flat_scratch_init 0
		.amdhsa_user_sgpr_kernarg_preload_length 0
		.amdhsa_user_sgpr_kernarg_preload_offset 0
		.amdhsa_user_sgpr_private_segment_size 0
		.amdhsa_uses_dynamic_stack 0
		.amdhsa_system_sgpr_private_segment_wavefront_offset 0
		.amdhsa_system_sgpr_workgroup_id_x 1
		.amdhsa_system_sgpr_workgroup_id_y 0
		.amdhsa_system_sgpr_workgroup_id_z 0
		.amdhsa_system_sgpr_workgroup_info 0
		.amdhsa_system_vgpr_workitem_id 0
		.amdhsa_next_free_vgpr 41
		.amdhsa_next_free_sgpr 22
		.amdhsa_accum_offset 44
		.amdhsa_reserve_vcc 1
		.amdhsa_reserve_flat_scratch 0
		.amdhsa_float_round_mode_32 0
		.amdhsa_float_round_mode_16_64 0
		.amdhsa_float_denorm_mode_32 3
		.amdhsa_float_denorm_mode_16_64 3
		.amdhsa_dx10_clamp 1
		.amdhsa_ieee_mode 1
		.amdhsa_fp16_overflow 0
		.amdhsa_tg_split 0
		.amdhsa_exception_fp_ieee_invalid_op 0
		.amdhsa_exception_fp_denorm_src 0
		.amdhsa_exception_fp_ieee_div_zero 0
		.amdhsa_exception_fp_ieee_overflow 0
		.amdhsa_exception_fp_ieee_underflow 0
		.amdhsa_exception_fp_ieee_inexact 0
		.amdhsa_exception_int_div_zero 0
	.end_amdhsa_kernel
	.section	.text._ZN7rocprim17ROCPRIM_400000_NS6detail17trampoline_kernelINS0_14default_configENS1_20scan_config_selectorIxEEZZNS1_9scan_implILNS1_25lookback_scan_determinismE0ELb0ELb0ES3_N6thrust23THRUST_200600_302600_NS6detail15normal_iteratorINS9_10device_ptrIxEEEESE_xNS9_4plusIvEExEEDaPvRmT3_T4_T5_mT6_P12ihipStream_tbENKUlT_T0_E_clISt17integral_constantIbLb1EESU_EEDaSP_SQ_EUlSP_E0_NS1_11comp_targetILNS1_3genE4ELNS1_11target_archE910ELNS1_3gpuE8ELNS1_3repE0EEENS1_30default_config_static_selectorELNS0_4arch9wavefront6targetE1EEEvT1_,"axG",@progbits,_ZN7rocprim17ROCPRIM_400000_NS6detail17trampoline_kernelINS0_14default_configENS1_20scan_config_selectorIxEEZZNS1_9scan_implILNS1_25lookback_scan_determinismE0ELb0ELb0ES3_N6thrust23THRUST_200600_302600_NS6detail15normal_iteratorINS9_10device_ptrIxEEEESE_xNS9_4plusIvEExEEDaPvRmT3_T4_T5_mT6_P12ihipStream_tbENKUlT_T0_E_clISt17integral_constantIbLb1EESU_EEDaSP_SQ_EUlSP_E0_NS1_11comp_targetILNS1_3genE4ELNS1_11target_archE910ELNS1_3gpuE8ELNS1_3repE0EEENS1_30default_config_static_selectorELNS0_4arch9wavefront6targetE1EEEvT1_,comdat
.Lfunc_end42:
	.size	_ZN7rocprim17ROCPRIM_400000_NS6detail17trampoline_kernelINS0_14default_configENS1_20scan_config_selectorIxEEZZNS1_9scan_implILNS1_25lookback_scan_determinismE0ELb0ELb0ES3_N6thrust23THRUST_200600_302600_NS6detail15normal_iteratorINS9_10device_ptrIxEEEESE_xNS9_4plusIvEExEEDaPvRmT3_T4_T5_mT6_P12ihipStream_tbENKUlT_T0_E_clISt17integral_constantIbLb1EESU_EEDaSP_SQ_EUlSP_E0_NS1_11comp_targetILNS1_3genE4ELNS1_11target_archE910ELNS1_3gpuE8ELNS1_3repE0EEENS1_30default_config_static_selectorELNS0_4arch9wavefront6targetE1EEEvT1_, .Lfunc_end42-_ZN7rocprim17ROCPRIM_400000_NS6detail17trampoline_kernelINS0_14default_configENS1_20scan_config_selectorIxEEZZNS1_9scan_implILNS1_25lookback_scan_determinismE0ELb0ELb0ES3_N6thrust23THRUST_200600_302600_NS6detail15normal_iteratorINS9_10device_ptrIxEEEESE_xNS9_4plusIvEExEEDaPvRmT3_T4_T5_mT6_P12ihipStream_tbENKUlT_T0_E_clISt17integral_constantIbLb1EESU_EEDaSP_SQ_EUlSP_E0_NS1_11comp_targetILNS1_3genE4ELNS1_11target_archE910ELNS1_3gpuE8ELNS1_3repE0EEENS1_30default_config_static_selectorELNS0_4arch9wavefront6targetE1EEEvT1_
                                        ; -- End function
	.section	.AMDGPU.csdata,"",@progbits
; Kernel info:
; codeLenInByte = 1804
; NumSgprs: 26
; NumVgprs: 41
; NumAgprs: 0
; TotalNumVgprs: 41
; ScratchSize: 0
; MemoryBound: 0
; FloatMode: 240
; IeeeMode: 1
; LDSByteSize: 7168 bytes/workgroup (compile time only)
; SGPRBlocks: 3
; VGPRBlocks: 5
; NumSGPRsForWavesPerEU: 26
; NumVGPRsForWavesPerEU: 41
; AccumOffset: 44
; Occupancy: 5
; WaveLimiterHint : 0
; COMPUTE_PGM_RSRC2:SCRATCH_EN: 0
; COMPUTE_PGM_RSRC2:USER_SGPR: 6
; COMPUTE_PGM_RSRC2:TRAP_HANDLER: 0
; COMPUTE_PGM_RSRC2:TGID_X_EN: 1
; COMPUTE_PGM_RSRC2:TGID_Y_EN: 0
; COMPUTE_PGM_RSRC2:TGID_Z_EN: 0
; COMPUTE_PGM_RSRC2:TIDIG_COMP_CNT: 0
; COMPUTE_PGM_RSRC3_GFX90A:ACCUM_OFFSET: 10
; COMPUTE_PGM_RSRC3_GFX90A:TG_SPLIT: 0
	.section	.text._ZN7rocprim17ROCPRIM_400000_NS6detail17trampoline_kernelINS0_14default_configENS1_20scan_config_selectorIxEEZZNS1_9scan_implILNS1_25lookback_scan_determinismE0ELb0ELb0ES3_N6thrust23THRUST_200600_302600_NS6detail15normal_iteratorINS9_10device_ptrIxEEEESE_xNS9_4plusIvEExEEDaPvRmT3_T4_T5_mT6_P12ihipStream_tbENKUlT_T0_E_clISt17integral_constantIbLb1EESU_EEDaSP_SQ_EUlSP_E0_NS1_11comp_targetILNS1_3genE3ELNS1_11target_archE908ELNS1_3gpuE7ELNS1_3repE0EEENS1_30default_config_static_selectorELNS0_4arch9wavefront6targetE1EEEvT1_,"axG",@progbits,_ZN7rocprim17ROCPRIM_400000_NS6detail17trampoline_kernelINS0_14default_configENS1_20scan_config_selectorIxEEZZNS1_9scan_implILNS1_25lookback_scan_determinismE0ELb0ELb0ES3_N6thrust23THRUST_200600_302600_NS6detail15normal_iteratorINS9_10device_ptrIxEEEESE_xNS9_4plusIvEExEEDaPvRmT3_T4_T5_mT6_P12ihipStream_tbENKUlT_T0_E_clISt17integral_constantIbLb1EESU_EEDaSP_SQ_EUlSP_E0_NS1_11comp_targetILNS1_3genE3ELNS1_11target_archE908ELNS1_3gpuE7ELNS1_3repE0EEENS1_30default_config_static_selectorELNS0_4arch9wavefront6targetE1EEEvT1_,comdat
	.protected	_ZN7rocprim17ROCPRIM_400000_NS6detail17trampoline_kernelINS0_14default_configENS1_20scan_config_selectorIxEEZZNS1_9scan_implILNS1_25lookback_scan_determinismE0ELb0ELb0ES3_N6thrust23THRUST_200600_302600_NS6detail15normal_iteratorINS9_10device_ptrIxEEEESE_xNS9_4plusIvEExEEDaPvRmT3_T4_T5_mT6_P12ihipStream_tbENKUlT_T0_E_clISt17integral_constantIbLb1EESU_EEDaSP_SQ_EUlSP_E0_NS1_11comp_targetILNS1_3genE3ELNS1_11target_archE908ELNS1_3gpuE7ELNS1_3repE0EEENS1_30default_config_static_selectorELNS0_4arch9wavefront6targetE1EEEvT1_ ; -- Begin function _ZN7rocprim17ROCPRIM_400000_NS6detail17trampoline_kernelINS0_14default_configENS1_20scan_config_selectorIxEEZZNS1_9scan_implILNS1_25lookback_scan_determinismE0ELb0ELb0ES3_N6thrust23THRUST_200600_302600_NS6detail15normal_iteratorINS9_10device_ptrIxEEEESE_xNS9_4plusIvEExEEDaPvRmT3_T4_T5_mT6_P12ihipStream_tbENKUlT_T0_E_clISt17integral_constantIbLb1EESU_EEDaSP_SQ_EUlSP_E0_NS1_11comp_targetILNS1_3genE3ELNS1_11target_archE908ELNS1_3gpuE7ELNS1_3repE0EEENS1_30default_config_static_selectorELNS0_4arch9wavefront6targetE1EEEvT1_
	.globl	_ZN7rocprim17ROCPRIM_400000_NS6detail17trampoline_kernelINS0_14default_configENS1_20scan_config_selectorIxEEZZNS1_9scan_implILNS1_25lookback_scan_determinismE0ELb0ELb0ES3_N6thrust23THRUST_200600_302600_NS6detail15normal_iteratorINS9_10device_ptrIxEEEESE_xNS9_4plusIvEExEEDaPvRmT3_T4_T5_mT6_P12ihipStream_tbENKUlT_T0_E_clISt17integral_constantIbLb1EESU_EEDaSP_SQ_EUlSP_E0_NS1_11comp_targetILNS1_3genE3ELNS1_11target_archE908ELNS1_3gpuE7ELNS1_3repE0EEENS1_30default_config_static_selectorELNS0_4arch9wavefront6targetE1EEEvT1_
	.p2align	8
	.type	_ZN7rocprim17ROCPRIM_400000_NS6detail17trampoline_kernelINS0_14default_configENS1_20scan_config_selectorIxEEZZNS1_9scan_implILNS1_25lookback_scan_determinismE0ELb0ELb0ES3_N6thrust23THRUST_200600_302600_NS6detail15normal_iteratorINS9_10device_ptrIxEEEESE_xNS9_4plusIvEExEEDaPvRmT3_T4_T5_mT6_P12ihipStream_tbENKUlT_T0_E_clISt17integral_constantIbLb1EESU_EEDaSP_SQ_EUlSP_E0_NS1_11comp_targetILNS1_3genE3ELNS1_11target_archE908ELNS1_3gpuE7ELNS1_3repE0EEENS1_30default_config_static_selectorELNS0_4arch9wavefront6targetE1EEEvT1_,@function
_ZN7rocprim17ROCPRIM_400000_NS6detail17trampoline_kernelINS0_14default_configENS1_20scan_config_selectorIxEEZZNS1_9scan_implILNS1_25lookback_scan_determinismE0ELb0ELb0ES3_N6thrust23THRUST_200600_302600_NS6detail15normal_iteratorINS9_10device_ptrIxEEEESE_xNS9_4plusIvEExEEDaPvRmT3_T4_T5_mT6_P12ihipStream_tbENKUlT_T0_E_clISt17integral_constantIbLb1EESU_EEDaSP_SQ_EUlSP_E0_NS1_11comp_targetILNS1_3genE3ELNS1_11target_archE908ELNS1_3gpuE7ELNS1_3repE0EEENS1_30default_config_static_selectorELNS0_4arch9wavefront6targetE1EEEvT1_: ; @_ZN7rocprim17ROCPRIM_400000_NS6detail17trampoline_kernelINS0_14default_configENS1_20scan_config_selectorIxEEZZNS1_9scan_implILNS1_25lookback_scan_determinismE0ELb0ELb0ES3_N6thrust23THRUST_200600_302600_NS6detail15normal_iteratorINS9_10device_ptrIxEEEESE_xNS9_4plusIvEExEEDaPvRmT3_T4_T5_mT6_P12ihipStream_tbENKUlT_T0_E_clISt17integral_constantIbLb1EESU_EEDaSP_SQ_EUlSP_E0_NS1_11comp_targetILNS1_3genE3ELNS1_11target_archE908ELNS1_3gpuE7ELNS1_3repE0EEENS1_30default_config_static_selectorELNS0_4arch9wavefront6targetE1EEEvT1_
; %bb.0:
	.section	.rodata,"a",@progbits
	.p2align	6, 0x0
	.amdhsa_kernel _ZN7rocprim17ROCPRIM_400000_NS6detail17trampoline_kernelINS0_14default_configENS1_20scan_config_selectorIxEEZZNS1_9scan_implILNS1_25lookback_scan_determinismE0ELb0ELb0ES3_N6thrust23THRUST_200600_302600_NS6detail15normal_iteratorINS9_10device_ptrIxEEEESE_xNS9_4plusIvEExEEDaPvRmT3_T4_T5_mT6_P12ihipStream_tbENKUlT_T0_E_clISt17integral_constantIbLb1EESU_EEDaSP_SQ_EUlSP_E0_NS1_11comp_targetILNS1_3genE3ELNS1_11target_archE908ELNS1_3gpuE7ELNS1_3repE0EEENS1_30default_config_static_selectorELNS0_4arch9wavefront6targetE1EEEvT1_
		.amdhsa_group_segment_fixed_size 0
		.amdhsa_private_segment_fixed_size 0
		.amdhsa_kernarg_size 40
		.amdhsa_user_sgpr_count 6
		.amdhsa_user_sgpr_private_segment_buffer 1
		.amdhsa_user_sgpr_dispatch_ptr 0
		.amdhsa_user_sgpr_queue_ptr 0
		.amdhsa_user_sgpr_kernarg_segment_ptr 1
		.amdhsa_user_sgpr_dispatch_id 0
		.amdhsa_user_sgpr_flat_scratch_init 0
		.amdhsa_user_sgpr_kernarg_preload_length 0
		.amdhsa_user_sgpr_kernarg_preload_offset 0
		.amdhsa_user_sgpr_private_segment_size 0
		.amdhsa_uses_dynamic_stack 0
		.amdhsa_system_sgpr_private_segment_wavefront_offset 0
		.amdhsa_system_sgpr_workgroup_id_x 1
		.amdhsa_system_sgpr_workgroup_id_y 0
		.amdhsa_system_sgpr_workgroup_id_z 0
		.amdhsa_system_sgpr_workgroup_info 0
		.amdhsa_system_vgpr_workitem_id 0
		.amdhsa_next_free_vgpr 1
		.amdhsa_next_free_sgpr 0
		.amdhsa_accum_offset 4
		.amdhsa_reserve_vcc 0
		.amdhsa_reserve_flat_scratch 0
		.amdhsa_float_round_mode_32 0
		.amdhsa_float_round_mode_16_64 0
		.amdhsa_float_denorm_mode_32 3
		.amdhsa_float_denorm_mode_16_64 3
		.amdhsa_dx10_clamp 1
		.amdhsa_ieee_mode 1
		.amdhsa_fp16_overflow 0
		.amdhsa_tg_split 0
		.amdhsa_exception_fp_ieee_invalid_op 0
		.amdhsa_exception_fp_denorm_src 0
		.amdhsa_exception_fp_ieee_div_zero 0
		.amdhsa_exception_fp_ieee_overflow 0
		.amdhsa_exception_fp_ieee_underflow 0
		.amdhsa_exception_fp_ieee_inexact 0
		.amdhsa_exception_int_div_zero 0
	.end_amdhsa_kernel
	.section	.text._ZN7rocprim17ROCPRIM_400000_NS6detail17trampoline_kernelINS0_14default_configENS1_20scan_config_selectorIxEEZZNS1_9scan_implILNS1_25lookback_scan_determinismE0ELb0ELb0ES3_N6thrust23THRUST_200600_302600_NS6detail15normal_iteratorINS9_10device_ptrIxEEEESE_xNS9_4plusIvEExEEDaPvRmT3_T4_T5_mT6_P12ihipStream_tbENKUlT_T0_E_clISt17integral_constantIbLb1EESU_EEDaSP_SQ_EUlSP_E0_NS1_11comp_targetILNS1_3genE3ELNS1_11target_archE908ELNS1_3gpuE7ELNS1_3repE0EEENS1_30default_config_static_selectorELNS0_4arch9wavefront6targetE1EEEvT1_,"axG",@progbits,_ZN7rocprim17ROCPRIM_400000_NS6detail17trampoline_kernelINS0_14default_configENS1_20scan_config_selectorIxEEZZNS1_9scan_implILNS1_25lookback_scan_determinismE0ELb0ELb0ES3_N6thrust23THRUST_200600_302600_NS6detail15normal_iteratorINS9_10device_ptrIxEEEESE_xNS9_4plusIvEExEEDaPvRmT3_T4_T5_mT6_P12ihipStream_tbENKUlT_T0_E_clISt17integral_constantIbLb1EESU_EEDaSP_SQ_EUlSP_E0_NS1_11comp_targetILNS1_3genE3ELNS1_11target_archE908ELNS1_3gpuE7ELNS1_3repE0EEENS1_30default_config_static_selectorELNS0_4arch9wavefront6targetE1EEEvT1_,comdat
.Lfunc_end43:
	.size	_ZN7rocprim17ROCPRIM_400000_NS6detail17trampoline_kernelINS0_14default_configENS1_20scan_config_selectorIxEEZZNS1_9scan_implILNS1_25lookback_scan_determinismE0ELb0ELb0ES3_N6thrust23THRUST_200600_302600_NS6detail15normal_iteratorINS9_10device_ptrIxEEEESE_xNS9_4plusIvEExEEDaPvRmT3_T4_T5_mT6_P12ihipStream_tbENKUlT_T0_E_clISt17integral_constantIbLb1EESU_EEDaSP_SQ_EUlSP_E0_NS1_11comp_targetILNS1_3genE3ELNS1_11target_archE908ELNS1_3gpuE7ELNS1_3repE0EEENS1_30default_config_static_selectorELNS0_4arch9wavefront6targetE1EEEvT1_, .Lfunc_end43-_ZN7rocprim17ROCPRIM_400000_NS6detail17trampoline_kernelINS0_14default_configENS1_20scan_config_selectorIxEEZZNS1_9scan_implILNS1_25lookback_scan_determinismE0ELb0ELb0ES3_N6thrust23THRUST_200600_302600_NS6detail15normal_iteratorINS9_10device_ptrIxEEEESE_xNS9_4plusIvEExEEDaPvRmT3_T4_T5_mT6_P12ihipStream_tbENKUlT_T0_E_clISt17integral_constantIbLb1EESU_EEDaSP_SQ_EUlSP_E0_NS1_11comp_targetILNS1_3genE3ELNS1_11target_archE908ELNS1_3gpuE7ELNS1_3repE0EEENS1_30default_config_static_selectorELNS0_4arch9wavefront6targetE1EEEvT1_
                                        ; -- End function
	.section	.AMDGPU.csdata,"",@progbits
; Kernel info:
; codeLenInByte = 0
; NumSgprs: 4
; NumVgprs: 0
; NumAgprs: 0
; TotalNumVgprs: 0
; ScratchSize: 0
; MemoryBound: 0
; FloatMode: 240
; IeeeMode: 1
; LDSByteSize: 0 bytes/workgroup (compile time only)
; SGPRBlocks: 0
; VGPRBlocks: 0
; NumSGPRsForWavesPerEU: 4
; NumVGPRsForWavesPerEU: 1
; AccumOffset: 4
; Occupancy: 8
; WaveLimiterHint : 0
; COMPUTE_PGM_RSRC2:SCRATCH_EN: 0
; COMPUTE_PGM_RSRC2:USER_SGPR: 6
; COMPUTE_PGM_RSRC2:TRAP_HANDLER: 0
; COMPUTE_PGM_RSRC2:TGID_X_EN: 1
; COMPUTE_PGM_RSRC2:TGID_Y_EN: 0
; COMPUTE_PGM_RSRC2:TGID_Z_EN: 0
; COMPUTE_PGM_RSRC2:TIDIG_COMP_CNT: 0
; COMPUTE_PGM_RSRC3_GFX90A:ACCUM_OFFSET: 0
; COMPUTE_PGM_RSRC3_GFX90A:TG_SPLIT: 0
	.section	.text._ZN7rocprim17ROCPRIM_400000_NS6detail17trampoline_kernelINS0_14default_configENS1_20scan_config_selectorIxEEZZNS1_9scan_implILNS1_25lookback_scan_determinismE0ELb0ELb0ES3_N6thrust23THRUST_200600_302600_NS6detail15normal_iteratorINS9_10device_ptrIxEEEESE_xNS9_4plusIvEExEEDaPvRmT3_T4_T5_mT6_P12ihipStream_tbENKUlT_T0_E_clISt17integral_constantIbLb1EESU_EEDaSP_SQ_EUlSP_E0_NS1_11comp_targetILNS1_3genE2ELNS1_11target_archE906ELNS1_3gpuE6ELNS1_3repE0EEENS1_30default_config_static_selectorELNS0_4arch9wavefront6targetE1EEEvT1_,"axG",@progbits,_ZN7rocprim17ROCPRIM_400000_NS6detail17trampoline_kernelINS0_14default_configENS1_20scan_config_selectorIxEEZZNS1_9scan_implILNS1_25lookback_scan_determinismE0ELb0ELb0ES3_N6thrust23THRUST_200600_302600_NS6detail15normal_iteratorINS9_10device_ptrIxEEEESE_xNS9_4plusIvEExEEDaPvRmT3_T4_T5_mT6_P12ihipStream_tbENKUlT_T0_E_clISt17integral_constantIbLb1EESU_EEDaSP_SQ_EUlSP_E0_NS1_11comp_targetILNS1_3genE2ELNS1_11target_archE906ELNS1_3gpuE6ELNS1_3repE0EEENS1_30default_config_static_selectorELNS0_4arch9wavefront6targetE1EEEvT1_,comdat
	.protected	_ZN7rocprim17ROCPRIM_400000_NS6detail17trampoline_kernelINS0_14default_configENS1_20scan_config_selectorIxEEZZNS1_9scan_implILNS1_25lookback_scan_determinismE0ELb0ELb0ES3_N6thrust23THRUST_200600_302600_NS6detail15normal_iteratorINS9_10device_ptrIxEEEESE_xNS9_4plusIvEExEEDaPvRmT3_T4_T5_mT6_P12ihipStream_tbENKUlT_T0_E_clISt17integral_constantIbLb1EESU_EEDaSP_SQ_EUlSP_E0_NS1_11comp_targetILNS1_3genE2ELNS1_11target_archE906ELNS1_3gpuE6ELNS1_3repE0EEENS1_30default_config_static_selectorELNS0_4arch9wavefront6targetE1EEEvT1_ ; -- Begin function _ZN7rocprim17ROCPRIM_400000_NS6detail17trampoline_kernelINS0_14default_configENS1_20scan_config_selectorIxEEZZNS1_9scan_implILNS1_25lookback_scan_determinismE0ELb0ELb0ES3_N6thrust23THRUST_200600_302600_NS6detail15normal_iteratorINS9_10device_ptrIxEEEESE_xNS9_4plusIvEExEEDaPvRmT3_T4_T5_mT6_P12ihipStream_tbENKUlT_T0_E_clISt17integral_constantIbLb1EESU_EEDaSP_SQ_EUlSP_E0_NS1_11comp_targetILNS1_3genE2ELNS1_11target_archE906ELNS1_3gpuE6ELNS1_3repE0EEENS1_30default_config_static_selectorELNS0_4arch9wavefront6targetE1EEEvT1_
	.globl	_ZN7rocprim17ROCPRIM_400000_NS6detail17trampoline_kernelINS0_14default_configENS1_20scan_config_selectorIxEEZZNS1_9scan_implILNS1_25lookback_scan_determinismE0ELb0ELb0ES3_N6thrust23THRUST_200600_302600_NS6detail15normal_iteratorINS9_10device_ptrIxEEEESE_xNS9_4plusIvEExEEDaPvRmT3_T4_T5_mT6_P12ihipStream_tbENKUlT_T0_E_clISt17integral_constantIbLb1EESU_EEDaSP_SQ_EUlSP_E0_NS1_11comp_targetILNS1_3genE2ELNS1_11target_archE906ELNS1_3gpuE6ELNS1_3repE0EEENS1_30default_config_static_selectorELNS0_4arch9wavefront6targetE1EEEvT1_
	.p2align	8
	.type	_ZN7rocprim17ROCPRIM_400000_NS6detail17trampoline_kernelINS0_14default_configENS1_20scan_config_selectorIxEEZZNS1_9scan_implILNS1_25lookback_scan_determinismE0ELb0ELb0ES3_N6thrust23THRUST_200600_302600_NS6detail15normal_iteratorINS9_10device_ptrIxEEEESE_xNS9_4plusIvEExEEDaPvRmT3_T4_T5_mT6_P12ihipStream_tbENKUlT_T0_E_clISt17integral_constantIbLb1EESU_EEDaSP_SQ_EUlSP_E0_NS1_11comp_targetILNS1_3genE2ELNS1_11target_archE906ELNS1_3gpuE6ELNS1_3repE0EEENS1_30default_config_static_selectorELNS0_4arch9wavefront6targetE1EEEvT1_,@function
_ZN7rocprim17ROCPRIM_400000_NS6detail17trampoline_kernelINS0_14default_configENS1_20scan_config_selectorIxEEZZNS1_9scan_implILNS1_25lookback_scan_determinismE0ELb0ELb0ES3_N6thrust23THRUST_200600_302600_NS6detail15normal_iteratorINS9_10device_ptrIxEEEESE_xNS9_4plusIvEExEEDaPvRmT3_T4_T5_mT6_P12ihipStream_tbENKUlT_T0_E_clISt17integral_constantIbLb1EESU_EEDaSP_SQ_EUlSP_E0_NS1_11comp_targetILNS1_3genE2ELNS1_11target_archE906ELNS1_3gpuE6ELNS1_3repE0EEENS1_30default_config_static_selectorELNS0_4arch9wavefront6targetE1EEEvT1_: ; @_ZN7rocprim17ROCPRIM_400000_NS6detail17trampoline_kernelINS0_14default_configENS1_20scan_config_selectorIxEEZZNS1_9scan_implILNS1_25lookback_scan_determinismE0ELb0ELb0ES3_N6thrust23THRUST_200600_302600_NS6detail15normal_iteratorINS9_10device_ptrIxEEEESE_xNS9_4plusIvEExEEDaPvRmT3_T4_T5_mT6_P12ihipStream_tbENKUlT_T0_E_clISt17integral_constantIbLb1EESU_EEDaSP_SQ_EUlSP_E0_NS1_11comp_targetILNS1_3genE2ELNS1_11target_archE906ELNS1_3gpuE6ELNS1_3repE0EEENS1_30default_config_static_selectorELNS0_4arch9wavefront6targetE1EEEvT1_
; %bb.0:
	.section	.rodata,"a",@progbits
	.p2align	6, 0x0
	.amdhsa_kernel _ZN7rocprim17ROCPRIM_400000_NS6detail17trampoline_kernelINS0_14default_configENS1_20scan_config_selectorIxEEZZNS1_9scan_implILNS1_25lookback_scan_determinismE0ELb0ELb0ES3_N6thrust23THRUST_200600_302600_NS6detail15normal_iteratorINS9_10device_ptrIxEEEESE_xNS9_4plusIvEExEEDaPvRmT3_T4_T5_mT6_P12ihipStream_tbENKUlT_T0_E_clISt17integral_constantIbLb1EESU_EEDaSP_SQ_EUlSP_E0_NS1_11comp_targetILNS1_3genE2ELNS1_11target_archE906ELNS1_3gpuE6ELNS1_3repE0EEENS1_30default_config_static_selectorELNS0_4arch9wavefront6targetE1EEEvT1_
		.amdhsa_group_segment_fixed_size 0
		.amdhsa_private_segment_fixed_size 0
		.amdhsa_kernarg_size 40
		.amdhsa_user_sgpr_count 6
		.amdhsa_user_sgpr_private_segment_buffer 1
		.amdhsa_user_sgpr_dispatch_ptr 0
		.amdhsa_user_sgpr_queue_ptr 0
		.amdhsa_user_sgpr_kernarg_segment_ptr 1
		.amdhsa_user_sgpr_dispatch_id 0
		.amdhsa_user_sgpr_flat_scratch_init 0
		.amdhsa_user_sgpr_kernarg_preload_length 0
		.amdhsa_user_sgpr_kernarg_preload_offset 0
		.amdhsa_user_sgpr_private_segment_size 0
		.amdhsa_uses_dynamic_stack 0
		.amdhsa_system_sgpr_private_segment_wavefront_offset 0
		.amdhsa_system_sgpr_workgroup_id_x 1
		.amdhsa_system_sgpr_workgroup_id_y 0
		.amdhsa_system_sgpr_workgroup_id_z 0
		.amdhsa_system_sgpr_workgroup_info 0
		.amdhsa_system_vgpr_workitem_id 0
		.amdhsa_next_free_vgpr 1
		.amdhsa_next_free_sgpr 0
		.amdhsa_accum_offset 4
		.amdhsa_reserve_vcc 0
		.amdhsa_reserve_flat_scratch 0
		.amdhsa_float_round_mode_32 0
		.amdhsa_float_round_mode_16_64 0
		.amdhsa_float_denorm_mode_32 3
		.amdhsa_float_denorm_mode_16_64 3
		.amdhsa_dx10_clamp 1
		.amdhsa_ieee_mode 1
		.amdhsa_fp16_overflow 0
		.amdhsa_tg_split 0
		.amdhsa_exception_fp_ieee_invalid_op 0
		.amdhsa_exception_fp_denorm_src 0
		.amdhsa_exception_fp_ieee_div_zero 0
		.amdhsa_exception_fp_ieee_overflow 0
		.amdhsa_exception_fp_ieee_underflow 0
		.amdhsa_exception_fp_ieee_inexact 0
		.amdhsa_exception_int_div_zero 0
	.end_amdhsa_kernel
	.section	.text._ZN7rocprim17ROCPRIM_400000_NS6detail17trampoline_kernelINS0_14default_configENS1_20scan_config_selectorIxEEZZNS1_9scan_implILNS1_25lookback_scan_determinismE0ELb0ELb0ES3_N6thrust23THRUST_200600_302600_NS6detail15normal_iteratorINS9_10device_ptrIxEEEESE_xNS9_4plusIvEExEEDaPvRmT3_T4_T5_mT6_P12ihipStream_tbENKUlT_T0_E_clISt17integral_constantIbLb1EESU_EEDaSP_SQ_EUlSP_E0_NS1_11comp_targetILNS1_3genE2ELNS1_11target_archE906ELNS1_3gpuE6ELNS1_3repE0EEENS1_30default_config_static_selectorELNS0_4arch9wavefront6targetE1EEEvT1_,"axG",@progbits,_ZN7rocprim17ROCPRIM_400000_NS6detail17trampoline_kernelINS0_14default_configENS1_20scan_config_selectorIxEEZZNS1_9scan_implILNS1_25lookback_scan_determinismE0ELb0ELb0ES3_N6thrust23THRUST_200600_302600_NS6detail15normal_iteratorINS9_10device_ptrIxEEEESE_xNS9_4plusIvEExEEDaPvRmT3_T4_T5_mT6_P12ihipStream_tbENKUlT_T0_E_clISt17integral_constantIbLb1EESU_EEDaSP_SQ_EUlSP_E0_NS1_11comp_targetILNS1_3genE2ELNS1_11target_archE906ELNS1_3gpuE6ELNS1_3repE0EEENS1_30default_config_static_selectorELNS0_4arch9wavefront6targetE1EEEvT1_,comdat
.Lfunc_end44:
	.size	_ZN7rocprim17ROCPRIM_400000_NS6detail17trampoline_kernelINS0_14default_configENS1_20scan_config_selectorIxEEZZNS1_9scan_implILNS1_25lookback_scan_determinismE0ELb0ELb0ES3_N6thrust23THRUST_200600_302600_NS6detail15normal_iteratorINS9_10device_ptrIxEEEESE_xNS9_4plusIvEExEEDaPvRmT3_T4_T5_mT6_P12ihipStream_tbENKUlT_T0_E_clISt17integral_constantIbLb1EESU_EEDaSP_SQ_EUlSP_E0_NS1_11comp_targetILNS1_3genE2ELNS1_11target_archE906ELNS1_3gpuE6ELNS1_3repE0EEENS1_30default_config_static_selectorELNS0_4arch9wavefront6targetE1EEEvT1_, .Lfunc_end44-_ZN7rocprim17ROCPRIM_400000_NS6detail17trampoline_kernelINS0_14default_configENS1_20scan_config_selectorIxEEZZNS1_9scan_implILNS1_25lookback_scan_determinismE0ELb0ELb0ES3_N6thrust23THRUST_200600_302600_NS6detail15normal_iteratorINS9_10device_ptrIxEEEESE_xNS9_4plusIvEExEEDaPvRmT3_T4_T5_mT6_P12ihipStream_tbENKUlT_T0_E_clISt17integral_constantIbLb1EESU_EEDaSP_SQ_EUlSP_E0_NS1_11comp_targetILNS1_3genE2ELNS1_11target_archE906ELNS1_3gpuE6ELNS1_3repE0EEENS1_30default_config_static_selectorELNS0_4arch9wavefront6targetE1EEEvT1_
                                        ; -- End function
	.section	.AMDGPU.csdata,"",@progbits
; Kernel info:
; codeLenInByte = 0
; NumSgprs: 4
; NumVgprs: 0
; NumAgprs: 0
; TotalNumVgprs: 0
; ScratchSize: 0
; MemoryBound: 0
; FloatMode: 240
; IeeeMode: 1
; LDSByteSize: 0 bytes/workgroup (compile time only)
; SGPRBlocks: 0
; VGPRBlocks: 0
; NumSGPRsForWavesPerEU: 4
; NumVGPRsForWavesPerEU: 1
; AccumOffset: 4
; Occupancy: 8
; WaveLimiterHint : 0
; COMPUTE_PGM_RSRC2:SCRATCH_EN: 0
; COMPUTE_PGM_RSRC2:USER_SGPR: 6
; COMPUTE_PGM_RSRC2:TRAP_HANDLER: 0
; COMPUTE_PGM_RSRC2:TGID_X_EN: 1
; COMPUTE_PGM_RSRC2:TGID_Y_EN: 0
; COMPUTE_PGM_RSRC2:TGID_Z_EN: 0
; COMPUTE_PGM_RSRC2:TIDIG_COMP_CNT: 0
; COMPUTE_PGM_RSRC3_GFX90A:ACCUM_OFFSET: 0
; COMPUTE_PGM_RSRC3_GFX90A:TG_SPLIT: 0
	.section	.text._ZN7rocprim17ROCPRIM_400000_NS6detail17trampoline_kernelINS0_14default_configENS1_20scan_config_selectorIxEEZZNS1_9scan_implILNS1_25lookback_scan_determinismE0ELb0ELb0ES3_N6thrust23THRUST_200600_302600_NS6detail15normal_iteratorINS9_10device_ptrIxEEEESE_xNS9_4plusIvEExEEDaPvRmT3_T4_T5_mT6_P12ihipStream_tbENKUlT_T0_E_clISt17integral_constantIbLb1EESU_EEDaSP_SQ_EUlSP_E0_NS1_11comp_targetILNS1_3genE10ELNS1_11target_archE1201ELNS1_3gpuE5ELNS1_3repE0EEENS1_30default_config_static_selectorELNS0_4arch9wavefront6targetE1EEEvT1_,"axG",@progbits,_ZN7rocprim17ROCPRIM_400000_NS6detail17trampoline_kernelINS0_14default_configENS1_20scan_config_selectorIxEEZZNS1_9scan_implILNS1_25lookback_scan_determinismE0ELb0ELb0ES3_N6thrust23THRUST_200600_302600_NS6detail15normal_iteratorINS9_10device_ptrIxEEEESE_xNS9_4plusIvEExEEDaPvRmT3_T4_T5_mT6_P12ihipStream_tbENKUlT_T0_E_clISt17integral_constantIbLb1EESU_EEDaSP_SQ_EUlSP_E0_NS1_11comp_targetILNS1_3genE10ELNS1_11target_archE1201ELNS1_3gpuE5ELNS1_3repE0EEENS1_30default_config_static_selectorELNS0_4arch9wavefront6targetE1EEEvT1_,comdat
	.protected	_ZN7rocprim17ROCPRIM_400000_NS6detail17trampoline_kernelINS0_14default_configENS1_20scan_config_selectorIxEEZZNS1_9scan_implILNS1_25lookback_scan_determinismE0ELb0ELb0ES3_N6thrust23THRUST_200600_302600_NS6detail15normal_iteratorINS9_10device_ptrIxEEEESE_xNS9_4plusIvEExEEDaPvRmT3_T4_T5_mT6_P12ihipStream_tbENKUlT_T0_E_clISt17integral_constantIbLb1EESU_EEDaSP_SQ_EUlSP_E0_NS1_11comp_targetILNS1_3genE10ELNS1_11target_archE1201ELNS1_3gpuE5ELNS1_3repE0EEENS1_30default_config_static_selectorELNS0_4arch9wavefront6targetE1EEEvT1_ ; -- Begin function _ZN7rocprim17ROCPRIM_400000_NS6detail17trampoline_kernelINS0_14default_configENS1_20scan_config_selectorIxEEZZNS1_9scan_implILNS1_25lookback_scan_determinismE0ELb0ELb0ES3_N6thrust23THRUST_200600_302600_NS6detail15normal_iteratorINS9_10device_ptrIxEEEESE_xNS9_4plusIvEExEEDaPvRmT3_T4_T5_mT6_P12ihipStream_tbENKUlT_T0_E_clISt17integral_constantIbLb1EESU_EEDaSP_SQ_EUlSP_E0_NS1_11comp_targetILNS1_3genE10ELNS1_11target_archE1201ELNS1_3gpuE5ELNS1_3repE0EEENS1_30default_config_static_selectorELNS0_4arch9wavefront6targetE1EEEvT1_
	.globl	_ZN7rocprim17ROCPRIM_400000_NS6detail17trampoline_kernelINS0_14default_configENS1_20scan_config_selectorIxEEZZNS1_9scan_implILNS1_25lookback_scan_determinismE0ELb0ELb0ES3_N6thrust23THRUST_200600_302600_NS6detail15normal_iteratorINS9_10device_ptrIxEEEESE_xNS9_4plusIvEExEEDaPvRmT3_T4_T5_mT6_P12ihipStream_tbENKUlT_T0_E_clISt17integral_constantIbLb1EESU_EEDaSP_SQ_EUlSP_E0_NS1_11comp_targetILNS1_3genE10ELNS1_11target_archE1201ELNS1_3gpuE5ELNS1_3repE0EEENS1_30default_config_static_selectorELNS0_4arch9wavefront6targetE1EEEvT1_
	.p2align	8
	.type	_ZN7rocprim17ROCPRIM_400000_NS6detail17trampoline_kernelINS0_14default_configENS1_20scan_config_selectorIxEEZZNS1_9scan_implILNS1_25lookback_scan_determinismE0ELb0ELb0ES3_N6thrust23THRUST_200600_302600_NS6detail15normal_iteratorINS9_10device_ptrIxEEEESE_xNS9_4plusIvEExEEDaPvRmT3_T4_T5_mT6_P12ihipStream_tbENKUlT_T0_E_clISt17integral_constantIbLb1EESU_EEDaSP_SQ_EUlSP_E0_NS1_11comp_targetILNS1_3genE10ELNS1_11target_archE1201ELNS1_3gpuE5ELNS1_3repE0EEENS1_30default_config_static_selectorELNS0_4arch9wavefront6targetE1EEEvT1_,@function
_ZN7rocprim17ROCPRIM_400000_NS6detail17trampoline_kernelINS0_14default_configENS1_20scan_config_selectorIxEEZZNS1_9scan_implILNS1_25lookback_scan_determinismE0ELb0ELb0ES3_N6thrust23THRUST_200600_302600_NS6detail15normal_iteratorINS9_10device_ptrIxEEEESE_xNS9_4plusIvEExEEDaPvRmT3_T4_T5_mT6_P12ihipStream_tbENKUlT_T0_E_clISt17integral_constantIbLb1EESU_EEDaSP_SQ_EUlSP_E0_NS1_11comp_targetILNS1_3genE10ELNS1_11target_archE1201ELNS1_3gpuE5ELNS1_3repE0EEENS1_30default_config_static_selectorELNS0_4arch9wavefront6targetE1EEEvT1_: ; @_ZN7rocprim17ROCPRIM_400000_NS6detail17trampoline_kernelINS0_14default_configENS1_20scan_config_selectorIxEEZZNS1_9scan_implILNS1_25lookback_scan_determinismE0ELb0ELb0ES3_N6thrust23THRUST_200600_302600_NS6detail15normal_iteratorINS9_10device_ptrIxEEEESE_xNS9_4plusIvEExEEDaPvRmT3_T4_T5_mT6_P12ihipStream_tbENKUlT_T0_E_clISt17integral_constantIbLb1EESU_EEDaSP_SQ_EUlSP_E0_NS1_11comp_targetILNS1_3genE10ELNS1_11target_archE1201ELNS1_3gpuE5ELNS1_3repE0EEENS1_30default_config_static_selectorELNS0_4arch9wavefront6targetE1EEEvT1_
; %bb.0:
	.section	.rodata,"a",@progbits
	.p2align	6, 0x0
	.amdhsa_kernel _ZN7rocprim17ROCPRIM_400000_NS6detail17trampoline_kernelINS0_14default_configENS1_20scan_config_selectorIxEEZZNS1_9scan_implILNS1_25lookback_scan_determinismE0ELb0ELb0ES3_N6thrust23THRUST_200600_302600_NS6detail15normal_iteratorINS9_10device_ptrIxEEEESE_xNS9_4plusIvEExEEDaPvRmT3_T4_T5_mT6_P12ihipStream_tbENKUlT_T0_E_clISt17integral_constantIbLb1EESU_EEDaSP_SQ_EUlSP_E0_NS1_11comp_targetILNS1_3genE10ELNS1_11target_archE1201ELNS1_3gpuE5ELNS1_3repE0EEENS1_30default_config_static_selectorELNS0_4arch9wavefront6targetE1EEEvT1_
		.amdhsa_group_segment_fixed_size 0
		.amdhsa_private_segment_fixed_size 0
		.amdhsa_kernarg_size 40
		.amdhsa_user_sgpr_count 6
		.amdhsa_user_sgpr_private_segment_buffer 1
		.amdhsa_user_sgpr_dispatch_ptr 0
		.amdhsa_user_sgpr_queue_ptr 0
		.amdhsa_user_sgpr_kernarg_segment_ptr 1
		.amdhsa_user_sgpr_dispatch_id 0
		.amdhsa_user_sgpr_flat_scratch_init 0
		.amdhsa_user_sgpr_kernarg_preload_length 0
		.amdhsa_user_sgpr_kernarg_preload_offset 0
		.amdhsa_user_sgpr_private_segment_size 0
		.amdhsa_uses_dynamic_stack 0
		.amdhsa_system_sgpr_private_segment_wavefront_offset 0
		.amdhsa_system_sgpr_workgroup_id_x 1
		.amdhsa_system_sgpr_workgroup_id_y 0
		.amdhsa_system_sgpr_workgroup_id_z 0
		.amdhsa_system_sgpr_workgroup_info 0
		.amdhsa_system_vgpr_workitem_id 0
		.amdhsa_next_free_vgpr 1
		.amdhsa_next_free_sgpr 0
		.amdhsa_accum_offset 4
		.amdhsa_reserve_vcc 0
		.amdhsa_reserve_flat_scratch 0
		.amdhsa_float_round_mode_32 0
		.amdhsa_float_round_mode_16_64 0
		.amdhsa_float_denorm_mode_32 3
		.amdhsa_float_denorm_mode_16_64 3
		.amdhsa_dx10_clamp 1
		.amdhsa_ieee_mode 1
		.amdhsa_fp16_overflow 0
		.amdhsa_tg_split 0
		.amdhsa_exception_fp_ieee_invalid_op 0
		.amdhsa_exception_fp_denorm_src 0
		.amdhsa_exception_fp_ieee_div_zero 0
		.amdhsa_exception_fp_ieee_overflow 0
		.amdhsa_exception_fp_ieee_underflow 0
		.amdhsa_exception_fp_ieee_inexact 0
		.amdhsa_exception_int_div_zero 0
	.end_amdhsa_kernel
	.section	.text._ZN7rocprim17ROCPRIM_400000_NS6detail17trampoline_kernelINS0_14default_configENS1_20scan_config_selectorIxEEZZNS1_9scan_implILNS1_25lookback_scan_determinismE0ELb0ELb0ES3_N6thrust23THRUST_200600_302600_NS6detail15normal_iteratorINS9_10device_ptrIxEEEESE_xNS9_4plusIvEExEEDaPvRmT3_T4_T5_mT6_P12ihipStream_tbENKUlT_T0_E_clISt17integral_constantIbLb1EESU_EEDaSP_SQ_EUlSP_E0_NS1_11comp_targetILNS1_3genE10ELNS1_11target_archE1201ELNS1_3gpuE5ELNS1_3repE0EEENS1_30default_config_static_selectorELNS0_4arch9wavefront6targetE1EEEvT1_,"axG",@progbits,_ZN7rocprim17ROCPRIM_400000_NS6detail17trampoline_kernelINS0_14default_configENS1_20scan_config_selectorIxEEZZNS1_9scan_implILNS1_25lookback_scan_determinismE0ELb0ELb0ES3_N6thrust23THRUST_200600_302600_NS6detail15normal_iteratorINS9_10device_ptrIxEEEESE_xNS9_4plusIvEExEEDaPvRmT3_T4_T5_mT6_P12ihipStream_tbENKUlT_T0_E_clISt17integral_constantIbLb1EESU_EEDaSP_SQ_EUlSP_E0_NS1_11comp_targetILNS1_3genE10ELNS1_11target_archE1201ELNS1_3gpuE5ELNS1_3repE0EEENS1_30default_config_static_selectorELNS0_4arch9wavefront6targetE1EEEvT1_,comdat
.Lfunc_end45:
	.size	_ZN7rocprim17ROCPRIM_400000_NS6detail17trampoline_kernelINS0_14default_configENS1_20scan_config_selectorIxEEZZNS1_9scan_implILNS1_25lookback_scan_determinismE0ELb0ELb0ES3_N6thrust23THRUST_200600_302600_NS6detail15normal_iteratorINS9_10device_ptrIxEEEESE_xNS9_4plusIvEExEEDaPvRmT3_T4_T5_mT6_P12ihipStream_tbENKUlT_T0_E_clISt17integral_constantIbLb1EESU_EEDaSP_SQ_EUlSP_E0_NS1_11comp_targetILNS1_3genE10ELNS1_11target_archE1201ELNS1_3gpuE5ELNS1_3repE0EEENS1_30default_config_static_selectorELNS0_4arch9wavefront6targetE1EEEvT1_, .Lfunc_end45-_ZN7rocprim17ROCPRIM_400000_NS6detail17trampoline_kernelINS0_14default_configENS1_20scan_config_selectorIxEEZZNS1_9scan_implILNS1_25lookback_scan_determinismE0ELb0ELb0ES3_N6thrust23THRUST_200600_302600_NS6detail15normal_iteratorINS9_10device_ptrIxEEEESE_xNS9_4plusIvEExEEDaPvRmT3_T4_T5_mT6_P12ihipStream_tbENKUlT_T0_E_clISt17integral_constantIbLb1EESU_EEDaSP_SQ_EUlSP_E0_NS1_11comp_targetILNS1_3genE10ELNS1_11target_archE1201ELNS1_3gpuE5ELNS1_3repE0EEENS1_30default_config_static_selectorELNS0_4arch9wavefront6targetE1EEEvT1_
                                        ; -- End function
	.section	.AMDGPU.csdata,"",@progbits
; Kernel info:
; codeLenInByte = 0
; NumSgprs: 4
; NumVgprs: 0
; NumAgprs: 0
; TotalNumVgprs: 0
; ScratchSize: 0
; MemoryBound: 0
; FloatMode: 240
; IeeeMode: 1
; LDSByteSize: 0 bytes/workgroup (compile time only)
; SGPRBlocks: 0
; VGPRBlocks: 0
; NumSGPRsForWavesPerEU: 4
; NumVGPRsForWavesPerEU: 1
; AccumOffset: 4
; Occupancy: 8
; WaveLimiterHint : 0
; COMPUTE_PGM_RSRC2:SCRATCH_EN: 0
; COMPUTE_PGM_RSRC2:USER_SGPR: 6
; COMPUTE_PGM_RSRC2:TRAP_HANDLER: 0
; COMPUTE_PGM_RSRC2:TGID_X_EN: 1
; COMPUTE_PGM_RSRC2:TGID_Y_EN: 0
; COMPUTE_PGM_RSRC2:TGID_Z_EN: 0
; COMPUTE_PGM_RSRC2:TIDIG_COMP_CNT: 0
; COMPUTE_PGM_RSRC3_GFX90A:ACCUM_OFFSET: 0
; COMPUTE_PGM_RSRC3_GFX90A:TG_SPLIT: 0
	.section	.text._ZN7rocprim17ROCPRIM_400000_NS6detail17trampoline_kernelINS0_14default_configENS1_20scan_config_selectorIxEEZZNS1_9scan_implILNS1_25lookback_scan_determinismE0ELb0ELb0ES3_N6thrust23THRUST_200600_302600_NS6detail15normal_iteratorINS9_10device_ptrIxEEEESE_xNS9_4plusIvEExEEDaPvRmT3_T4_T5_mT6_P12ihipStream_tbENKUlT_T0_E_clISt17integral_constantIbLb1EESU_EEDaSP_SQ_EUlSP_E0_NS1_11comp_targetILNS1_3genE10ELNS1_11target_archE1200ELNS1_3gpuE4ELNS1_3repE0EEENS1_30default_config_static_selectorELNS0_4arch9wavefront6targetE1EEEvT1_,"axG",@progbits,_ZN7rocprim17ROCPRIM_400000_NS6detail17trampoline_kernelINS0_14default_configENS1_20scan_config_selectorIxEEZZNS1_9scan_implILNS1_25lookback_scan_determinismE0ELb0ELb0ES3_N6thrust23THRUST_200600_302600_NS6detail15normal_iteratorINS9_10device_ptrIxEEEESE_xNS9_4plusIvEExEEDaPvRmT3_T4_T5_mT6_P12ihipStream_tbENKUlT_T0_E_clISt17integral_constantIbLb1EESU_EEDaSP_SQ_EUlSP_E0_NS1_11comp_targetILNS1_3genE10ELNS1_11target_archE1200ELNS1_3gpuE4ELNS1_3repE0EEENS1_30default_config_static_selectorELNS0_4arch9wavefront6targetE1EEEvT1_,comdat
	.protected	_ZN7rocprim17ROCPRIM_400000_NS6detail17trampoline_kernelINS0_14default_configENS1_20scan_config_selectorIxEEZZNS1_9scan_implILNS1_25lookback_scan_determinismE0ELb0ELb0ES3_N6thrust23THRUST_200600_302600_NS6detail15normal_iteratorINS9_10device_ptrIxEEEESE_xNS9_4plusIvEExEEDaPvRmT3_T4_T5_mT6_P12ihipStream_tbENKUlT_T0_E_clISt17integral_constantIbLb1EESU_EEDaSP_SQ_EUlSP_E0_NS1_11comp_targetILNS1_3genE10ELNS1_11target_archE1200ELNS1_3gpuE4ELNS1_3repE0EEENS1_30default_config_static_selectorELNS0_4arch9wavefront6targetE1EEEvT1_ ; -- Begin function _ZN7rocprim17ROCPRIM_400000_NS6detail17trampoline_kernelINS0_14default_configENS1_20scan_config_selectorIxEEZZNS1_9scan_implILNS1_25lookback_scan_determinismE0ELb0ELb0ES3_N6thrust23THRUST_200600_302600_NS6detail15normal_iteratorINS9_10device_ptrIxEEEESE_xNS9_4plusIvEExEEDaPvRmT3_T4_T5_mT6_P12ihipStream_tbENKUlT_T0_E_clISt17integral_constantIbLb1EESU_EEDaSP_SQ_EUlSP_E0_NS1_11comp_targetILNS1_3genE10ELNS1_11target_archE1200ELNS1_3gpuE4ELNS1_3repE0EEENS1_30default_config_static_selectorELNS0_4arch9wavefront6targetE1EEEvT1_
	.globl	_ZN7rocprim17ROCPRIM_400000_NS6detail17trampoline_kernelINS0_14default_configENS1_20scan_config_selectorIxEEZZNS1_9scan_implILNS1_25lookback_scan_determinismE0ELb0ELb0ES3_N6thrust23THRUST_200600_302600_NS6detail15normal_iteratorINS9_10device_ptrIxEEEESE_xNS9_4plusIvEExEEDaPvRmT3_T4_T5_mT6_P12ihipStream_tbENKUlT_T0_E_clISt17integral_constantIbLb1EESU_EEDaSP_SQ_EUlSP_E0_NS1_11comp_targetILNS1_3genE10ELNS1_11target_archE1200ELNS1_3gpuE4ELNS1_3repE0EEENS1_30default_config_static_selectorELNS0_4arch9wavefront6targetE1EEEvT1_
	.p2align	8
	.type	_ZN7rocprim17ROCPRIM_400000_NS6detail17trampoline_kernelINS0_14default_configENS1_20scan_config_selectorIxEEZZNS1_9scan_implILNS1_25lookback_scan_determinismE0ELb0ELb0ES3_N6thrust23THRUST_200600_302600_NS6detail15normal_iteratorINS9_10device_ptrIxEEEESE_xNS9_4plusIvEExEEDaPvRmT3_T4_T5_mT6_P12ihipStream_tbENKUlT_T0_E_clISt17integral_constantIbLb1EESU_EEDaSP_SQ_EUlSP_E0_NS1_11comp_targetILNS1_3genE10ELNS1_11target_archE1200ELNS1_3gpuE4ELNS1_3repE0EEENS1_30default_config_static_selectorELNS0_4arch9wavefront6targetE1EEEvT1_,@function
_ZN7rocprim17ROCPRIM_400000_NS6detail17trampoline_kernelINS0_14default_configENS1_20scan_config_selectorIxEEZZNS1_9scan_implILNS1_25lookback_scan_determinismE0ELb0ELb0ES3_N6thrust23THRUST_200600_302600_NS6detail15normal_iteratorINS9_10device_ptrIxEEEESE_xNS9_4plusIvEExEEDaPvRmT3_T4_T5_mT6_P12ihipStream_tbENKUlT_T0_E_clISt17integral_constantIbLb1EESU_EEDaSP_SQ_EUlSP_E0_NS1_11comp_targetILNS1_3genE10ELNS1_11target_archE1200ELNS1_3gpuE4ELNS1_3repE0EEENS1_30default_config_static_selectorELNS0_4arch9wavefront6targetE1EEEvT1_: ; @_ZN7rocprim17ROCPRIM_400000_NS6detail17trampoline_kernelINS0_14default_configENS1_20scan_config_selectorIxEEZZNS1_9scan_implILNS1_25lookback_scan_determinismE0ELb0ELb0ES3_N6thrust23THRUST_200600_302600_NS6detail15normal_iteratorINS9_10device_ptrIxEEEESE_xNS9_4plusIvEExEEDaPvRmT3_T4_T5_mT6_P12ihipStream_tbENKUlT_T0_E_clISt17integral_constantIbLb1EESU_EEDaSP_SQ_EUlSP_E0_NS1_11comp_targetILNS1_3genE10ELNS1_11target_archE1200ELNS1_3gpuE4ELNS1_3repE0EEENS1_30default_config_static_selectorELNS0_4arch9wavefront6targetE1EEEvT1_
; %bb.0:
	.section	.rodata,"a",@progbits
	.p2align	6, 0x0
	.amdhsa_kernel _ZN7rocprim17ROCPRIM_400000_NS6detail17trampoline_kernelINS0_14default_configENS1_20scan_config_selectorIxEEZZNS1_9scan_implILNS1_25lookback_scan_determinismE0ELb0ELb0ES3_N6thrust23THRUST_200600_302600_NS6detail15normal_iteratorINS9_10device_ptrIxEEEESE_xNS9_4plusIvEExEEDaPvRmT3_T4_T5_mT6_P12ihipStream_tbENKUlT_T0_E_clISt17integral_constantIbLb1EESU_EEDaSP_SQ_EUlSP_E0_NS1_11comp_targetILNS1_3genE10ELNS1_11target_archE1200ELNS1_3gpuE4ELNS1_3repE0EEENS1_30default_config_static_selectorELNS0_4arch9wavefront6targetE1EEEvT1_
		.amdhsa_group_segment_fixed_size 0
		.amdhsa_private_segment_fixed_size 0
		.amdhsa_kernarg_size 40
		.amdhsa_user_sgpr_count 6
		.amdhsa_user_sgpr_private_segment_buffer 1
		.amdhsa_user_sgpr_dispatch_ptr 0
		.amdhsa_user_sgpr_queue_ptr 0
		.amdhsa_user_sgpr_kernarg_segment_ptr 1
		.amdhsa_user_sgpr_dispatch_id 0
		.amdhsa_user_sgpr_flat_scratch_init 0
		.amdhsa_user_sgpr_kernarg_preload_length 0
		.amdhsa_user_sgpr_kernarg_preload_offset 0
		.amdhsa_user_sgpr_private_segment_size 0
		.amdhsa_uses_dynamic_stack 0
		.amdhsa_system_sgpr_private_segment_wavefront_offset 0
		.amdhsa_system_sgpr_workgroup_id_x 1
		.amdhsa_system_sgpr_workgroup_id_y 0
		.amdhsa_system_sgpr_workgroup_id_z 0
		.amdhsa_system_sgpr_workgroup_info 0
		.amdhsa_system_vgpr_workitem_id 0
		.amdhsa_next_free_vgpr 1
		.amdhsa_next_free_sgpr 0
		.amdhsa_accum_offset 4
		.amdhsa_reserve_vcc 0
		.amdhsa_reserve_flat_scratch 0
		.amdhsa_float_round_mode_32 0
		.amdhsa_float_round_mode_16_64 0
		.amdhsa_float_denorm_mode_32 3
		.amdhsa_float_denorm_mode_16_64 3
		.amdhsa_dx10_clamp 1
		.amdhsa_ieee_mode 1
		.amdhsa_fp16_overflow 0
		.amdhsa_tg_split 0
		.amdhsa_exception_fp_ieee_invalid_op 0
		.amdhsa_exception_fp_denorm_src 0
		.amdhsa_exception_fp_ieee_div_zero 0
		.amdhsa_exception_fp_ieee_overflow 0
		.amdhsa_exception_fp_ieee_underflow 0
		.amdhsa_exception_fp_ieee_inexact 0
		.amdhsa_exception_int_div_zero 0
	.end_amdhsa_kernel
	.section	.text._ZN7rocprim17ROCPRIM_400000_NS6detail17trampoline_kernelINS0_14default_configENS1_20scan_config_selectorIxEEZZNS1_9scan_implILNS1_25lookback_scan_determinismE0ELb0ELb0ES3_N6thrust23THRUST_200600_302600_NS6detail15normal_iteratorINS9_10device_ptrIxEEEESE_xNS9_4plusIvEExEEDaPvRmT3_T4_T5_mT6_P12ihipStream_tbENKUlT_T0_E_clISt17integral_constantIbLb1EESU_EEDaSP_SQ_EUlSP_E0_NS1_11comp_targetILNS1_3genE10ELNS1_11target_archE1200ELNS1_3gpuE4ELNS1_3repE0EEENS1_30default_config_static_selectorELNS0_4arch9wavefront6targetE1EEEvT1_,"axG",@progbits,_ZN7rocprim17ROCPRIM_400000_NS6detail17trampoline_kernelINS0_14default_configENS1_20scan_config_selectorIxEEZZNS1_9scan_implILNS1_25lookback_scan_determinismE0ELb0ELb0ES3_N6thrust23THRUST_200600_302600_NS6detail15normal_iteratorINS9_10device_ptrIxEEEESE_xNS9_4plusIvEExEEDaPvRmT3_T4_T5_mT6_P12ihipStream_tbENKUlT_T0_E_clISt17integral_constantIbLb1EESU_EEDaSP_SQ_EUlSP_E0_NS1_11comp_targetILNS1_3genE10ELNS1_11target_archE1200ELNS1_3gpuE4ELNS1_3repE0EEENS1_30default_config_static_selectorELNS0_4arch9wavefront6targetE1EEEvT1_,comdat
.Lfunc_end46:
	.size	_ZN7rocprim17ROCPRIM_400000_NS6detail17trampoline_kernelINS0_14default_configENS1_20scan_config_selectorIxEEZZNS1_9scan_implILNS1_25lookback_scan_determinismE0ELb0ELb0ES3_N6thrust23THRUST_200600_302600_NS6detail15normal_iteratorINS9_10device_ptrIxEEEESE_xNS9_4plusIvEExEEDaPvRmT3_T4_T5_mT6_P12ihipStream_tbENKUlT_T0_E_clISt17integral_constantIbLb1EESU_EEDaSP_SQ_EUlSP_E0_NS1_11comp_targetILNS1_3genE10ELNS1_11target_archE1200ELNS1_3gpuE4ELNS1_3repE0EEENS1_30default_config_static_selectorELNS0_4arch9wavefront6targetE1EEEvT1_, .Lfunc_end46-_ZN7rocprim17ROCPRIM_400000_NS6detail17trampoline_kernelINS0_14default_configENS1_20scan_config_selectorIxEEZZNS1_9scan_implILNS1_25lookback_scan_determinismE0ELb0ELb0ES3_N6thrust23THRUST_200600_302600_NS6detail15normal_iteratorINS9_10device_ptrIxEEEESE_xNS9_4plusIvEExEEDaPvRmT3_T4_T5_mT6_P12ihipStream_tbENKUlT_T0_E_clISt17integral_constantIbLb1EESU_EEDaSP_SQ_EUlSP_E0_NS1_11comp_targetILNS1_3genE10ELNS1_11target_archE1200ELNS1_3gpuE4ELNS1_3repE0EEENS1_30default_config_static_selectorELNS0_4arch9wavefront6targetE1EEEvT1_
                                        ; -- End function
	.section	.AMDGPU.csdata,"",@progbits
; Kernel info:
; codeLenInByte = 0
; NumSgprs: 4
; NumVgprs: 0
; NumAgprs: 0
; TotalNumVgprs: 0
; ScratchSize: 0
; MemoryBound: 0
; FloatMode: 240
; IeeeMode: 1
; LDSByteSize: 0 bytes/workgroup (compile time only)
; SGPRBlocks: 0
; VGPRBlocks: 0
; NumSGPRsForWavesPerEU: 4
; NumVGPRsForWavesPerEU: 1
; AccumOffset: 4
; Occupancy: 8
; WaveLimiterHint : 0
; COMPUTE_PGM_RSRC2:SCRATCH_EN: 0
; COMPUTE_PGM_RSRC2:USER_SGPR: 6
; COMPUTE_PGM_RSRC2:TRAP_HANDLER: 0
; COMPUTE_PGM_RSRC2:TGID_X_EN: 1
; COMPUTE_PGM_RSRC2:TGID_Y_EN: 0
; COMPUTE_PGM_RSRC2:TGID_Z_EN: 0
; COMPUTE_PGM_RSRC2:TIDIG_COMP_CNT: 0
; COMPUTE_PGM_RSRC3_GFX90A:ACCUM_OFFSET: 0
; COMPUTE_PGM_RSRC3_GFX90A:TG_SPLIT: 0
	.section	.text._ZN7rocprim17ROCPRIM_400000_NS6detail17trampoline_kernelINS0_14default_configENS1_20scan_config_selectorIxEEZZNS1_9scan_implILNS1_25lookback_scan_determinismE0ELb0ELb0ES3_N6thrust23THRUST_200600_302600_NS6detail15normal_iteratorINS9_10device_ptrIxEEEESE_xNS9_4plusIvEExEEDaPvRmT3_T4_T5_mT6_P12ihipStream_tbENKUlT_T0_E_clISt17integral_constantIbLb1EESU_EEDaSP_SQ_EUlSP_E0_NS1_11comp_targetILNS1_3genE9ELNS1_11target_archE1100ELNS1_3gpuE3ELNS1_3repE0EEENS1_30default_config_static_selectorELNS0_4arch9wavefront6targetE1EEEvT1_,"axG",@progbits,_ZN7rocprim17ROCPRIM_400000_NS6detail17trampoline_kernelINS0_14default_configENS1_20scan_config_selectorIxEEZZNS1_9scan_implILNS1_25lookback_scan_determinismE0ELb0ELb0ES3_N6thrust23THRUST_200600_302600_NS6detail15normal_iteratorINS9_10device_ptrIxEEEESE_xNS9_4plusIvEExEEDaPvRmT3_T4_T5_mT6_P12ihipStream_tbENKUlT_T0_E_clISt17integral_constantIbLb1EESU_EEDaSP_SQ_EUlSP_E0_NS1_11comp_targetILNS1_3genE9ELNS1_11target_archE1100ELNS1_3gpuE3ELNS1_3repE0EEENS1_30default_config_static_selectorELNS0_4arch9wavefront6targetE1EEEvT1_,comdat
	.protected	_ZN7rocprim17ROCPRIM_400000_NS6detail17trampoline_kernelINS0_14default_configENS1_20scan_config_selectorIxEEZZNS1_9scan_implILNS1_25lookback_scan_determinismE0ELb0ELb0ES3_N6thrust23THRUST_200600_302600_NS6detail15normal_iteratorINS9_10device_ptrIxEEEESE_xNS9_4plusIvEExEEDaPvRmT3_T4_T5_mT6_P12ihipStream_tbENKUlT_T0_E_clISt17integral_constantIbLb1EESU_EEDaSP_SQ_EUlSP_E0_NS1_11comp_targetILNS1_3genE9ELNS1_11target_archE1100ELNS1_3gpuE3ELNS1_3repE0EEENS1_30default_config_static_selectorELNS0_4arch9wavefront6targetE1EEEvT1_ ; -- Begin function _ZN7rocprim17ROCPRIM_400000_NS6detail17trampoline_kernelINS0_14default_configENS1_20scan_config_selectorIxEEZZNS1_9scan_implILNS1_25lookback_scan_determinismE0ELb0ELb0ES3_N6thrust23THRUST_200600_302600_NS6detail15normal_iteratorINS9_10device_ptrIxEEEESE_xNS9_4plusIvEExEEDaPvRmT3_T4_T5_mT6_P12ihipStream_tbENKUlT_T0_E_clISt17integral_constantIbLb1EESU_EEDaSP_SQ_EUlSP_E0_NS1_11comp_targetILNS1_3genE9ELNS1_11target_archE1100ELNS1_3gpuE3ELNS1_3repE0EEENS1_30default_config_static_selectorELNS0_4arch9wavefront6targetE1EEEvT1_
	.globl	_ZN7rocprim17ROCPRIM_400000_NS6detail17trampoline_kernelINS0_14default_configENS1_20scan_config_selectorIxEEZZNS1_9scan_implILNS1_25lookback_scan_determinismE0ELb0ELb0ES3_N6thrust23THRUST_200600_302600_NS6detail15normal_iteratorINS9_10device_ptrIxEEEESE_xNS9_4plusIvEExEEDaPvRmT3_T4_T5_mT6_P12ihipStream_tbENKUlT_T0_E_clISt17integral_constantIbLb1EESU_EEDaSP_SQ_EUlSP_E0_NS1_11comp_targetILNS1_3genE9ELNS1_11target_archE1100ELNS1_3gpuE3ELNS1_3repE0EEENS1_30default_config_static_selectorELNS0_4arch9wavefront6targetE1EEEvT1_
	.p2align	8
	.type	_ZN7rocprim17ROCPRIM_400000_NS6detail17trampoline_kernelINS0_14default_configENS1_20scan_config_selectorIxEEZZNS1_9scan_implILNS1_25lookback_scan_determinismE0ELb0ELb0ES3_N6thrust23THRUST_200600_302600_NS6detail15normal_iteratorINS9_10device_ptrIxEEEESE_xNS9_4plusIvEExEEDaPvRmT3_T4_T5_mT6_P12ihipStream_tbENKUlT_T0_E_clISt17integral_constantIbLb1EESU_EEDaSP_SQ_EUlSP_E0_NS1_11comp_targetILNS1_3genE9ELNS1_11target_archE1100ELNS1_3gpuE3ELNS1_3repE0EEENS1_30default_config_static_selectorELNS0_4arch9wavefront6targetE1EEEvT1_,@function
_ZN7rocprim17ROCPRIM_400000_NS6detail17trampoline_kernelINS0_14default_configENS1_20scan_config_selectorIxEEZZNS1_9scan_implILNS1_25lookback_scan_determinismE0ELb0ELb0ES3_N6thrust23THRUST_200600_302600_NS6detail15normal_iteratorINS9_10device_ptrIxEEEESE_xNS9_4plusIvEExEEDaPvRmT3_T4_T5_mT6_P12ihipStream_tbENKUlT_T0_E_clISt17integral_constantIbLb1EESU_EEDaSP_SQ_EUlSP_E0_NS1_11comp_targetILNS1_3genE9ELNS1_11target_archE1100ELNS1_3gpuE3ELNS1_3repE0EEENS1_30default_config_static_selectorELNS0_4arch9wavefront6targetE1EEEvT1_: ; @_ZN7rocprim17ROCPRIM_400000_NS6detail17trampoline_kernelINS0_14default_configENS1_20scan_config_selectorIxEEZZNS1_9scan_implILNS1_25lookback_scan_determinismE0ELb0ELb0ES3_N6thrust23THRUST_200600_302600_NS6detail15normal_iteratorINS9_10device_ptrIxEEEESE_xNS9_4plusIvEExEEDaPvRmT3_T4_T5_mT6_P12ihipStream_tbENKUlT_T0_E_clISt17integral_constantIbLb1EESU_EEDaSP_SQ_EUlSP_E0_NS1_11comp_targetILNS1_3genE9ELNS1_11target_archE1100ELNS1_3gpuE3ELNS1_3repE0EEENS1_30default_config_static_selectorELNS0_4arch9wavefront6targetE1EEEvT1_
; %bb.0:
	.section	.rodata,"a",@progbits
	.p2align	6, 0x0
	.amdhsa_kernel _ZN7rocprim17ROCPRIM_400000_NS6detail17trampoline_kernelINS0_14default_configENS1_20scan_config_selectorIxEEZZNS1_9scan_implILNS1_25lookback_scan_determinismE0ELb0ELb0ES3_N6thrust23THRUST_200600_302600_NS6detail15normal_iteratorINS9_10device_ptrIxEEEESE_xNS9_4plusIvEExEEDaPvRmT3_T4_T5_mT6_P12ihipStream_tbENKUlT_T0_E_clISt17integral_constantIbLb1EESU_EEDaSP_SQ_EUlSP_E0_NS1_11comp_targetILNS1_3genE9ELNS1_11target_archE1100ELNS1_3gpuE3ELNS1_3repE0EEENS1_30default_config_static_selectorELNS0_4arch9wavefront6targetE1EEEvT1_
		.amdhsa_group_segment_fixed_size 0
		.amdhsa_private_segment_fixed_size 0
		.amdhsa_kernarg_size 40
		.amdhsa_user_sgpr_count 6
		.amdhsa_user_sgpr_private_segment_buffer 1
		.amdhsa_user_sgpr_dispatch_ptr 0
		.amdhsa_user_sgpr_queue_ptr 0
		.amdhsa_user_sgpr_kernarg_segment_ptr 1
		.amdhsa_user_sgpr_dispatch_id 0
		.amdhsa_user_sgpr_flat_scratch_init 0
		.amdhsa_user_sgpr_kernarg_preload_length 0
		.amdhsa_user_sgpr_kernarg_preload_offset 0
		.amdhsa_user_sgpr_private_segment_size 0
		.amdhsa_uses_dynamic_stack 0
		.amdhsa_system_sgpr_private_segment_wavefront_offset 0
		.amdhsa_system_sgpr_workgroup_id_x 1
		.amdhsa_system_sgpr_workgroup_id_y 0
		.amdhsa_system_sgpr_workgroup_id_z 0
		.amdhsa_system_sgpr_workgroup_info 0
		.amdhsa_system_vgpr_workitem_id 0
		.amdhsa_next_free_vgpr 1
		.amdhsa_next_free_sgpr 0
		.amdhsa_accum_offset 4
		.amdhsa_reserve_vcc 0
		.amdhsa_reserve_flat_scratch 0
		.amdhsa_float_round_mode_32 0
		.amdhsa_float_round_mode_16_64 0
		.amdhsa_float_denorm_mode_32 3
		.amdhsa_float_denorm_mode_16_64 3
		.amdhsa_dx10_clamp 1
		.amdhsa_ieee_mode 1
		.amdhsa_fp16_overflow 0
		.amdhsa_tg_split 0
		.amdhsa_exception_fp_ieee_invalid_op 0
		.amdhsa_exception_fp_denorm_src 0
		.amdhsa_exception_fp_ieee_div_zero 0
		.amdhsa_exception_fp_ieee_overflow 0
		.amdhsa_exception_fp_ieee_underflow 0
		.amdhsa_exception_fp_ieee_inexact 0
		.amdhsa_exception_int_div_zero 0
	.end_amdhsa_kernel
	.section	.text._ZN7rocprim17ROCPRIM_400000_NS6detail17trampoline_kernelINS0_14default_configENS1_20scan_config_selectorIxEEZZNS1_9scan_implILNS1_25lookback_scan_determinismE0ELb0ELb0ES3_N6thrust23THRUST_200600_302600_NS6detail15normal_iteratorINS9_10device_ptrIxEEEESE_xNS9_4plusIvEExEEDaPvRmT3_T4_T5_mT6_P12ihipStream_tbENKUlT_T0_E_clISt17integral_constantIbLb1EESU_EEDaSP_SQ_EUlSP_E0_NS1_11comp_targetILNS1_3genE9ELNS1_11target_archE1100ELNS1_3gpuE3ELNS1_3repE0EEENS1_30default_config_static_selectorELNS0_4arch9wavefront6targetE1EEEvT1_,"axG",@progbits,_ZN7rocprim17ROCPRIM_400000_NS6detail17trampoline_kernelINS0_14default_configENS1_20scan_config_selectorIxEEZZNS1_9scan_implILNS1_25lookback_scan_determinismE0ELb0ELb0ES3_N6thrust23THRUST_200600_302600_NS6detail15normal_iteratorINS9_10device_ptrIxEEEESE_xNS9_4plusIvEExEEDaPvRmT3_T4_T5_mT6_P12ihipStream_tbENKUlT_T0_E_clISt17integral_constantIbLb1EESU_EEDaSP_SQ_EUlSP_E0_NS1_11comp_targetILNS1_3genE9ELNS1_11target_archE1100ELNS1_3gpuE3ELNS1_3repE0EEENS1_30default_config_static_selectorELNS0_4arch9wavefront6targetE1EEEvT1_,comdat
.Lfunc_end47:
	.size	_ZN7rocprim17ROCPRIM_400000_NS6detail17trampoline_kernelINS0_14default_configENS1_20scan_config_selectorIxEEZZNS1_9scan_implILNS1_25lookback_scan_determinismE0ELb0ELb0ES3_N6thrust23THRUST_200600_302600_NS6detail15normal_iteratorINS9_10device_ptrIxEEEESE_xNS9_4plusIvEExEEDaPvRmT3_T4_T5_mT6_P12ihipStream_tbENKUlT_T0_E_clISt17integral_constantIbLb1EESU_EEDaSP_SQ_EUlSP_E0_NS1_11comp_targetILNS1_3genE9ELNS1_11target_archE1100ELNS1_3gpuE3ELNS1_3repE0EEENS1_30default_config_static_selectorELNS0_4arch9wavefront6targetE1EEEvT1_, .Lfunc_end47-_ZN7rocprim17ROCPRIM_400000_NS6detail17trampoline_kernelINS0_14default_configENS1_20scan_config_selectorIxEEZZNS1_9scan_implILNS1_25lookback_scan_determinismE0ELb0ELb0ES3_N6thrust23THRUST_200600_302600_NS6detail15normal_iteratorINS9_10device_ptrIxEEEESE_xNS9_4plusIvEExEEDaPvRmT3_T4_T5_mT6_P12ihipStream_tbENKUlT_T0_E_clISt17integral_constantIbLb1EESU_EEDaSP_SQ_EUlSP_E0_NS1_11comp_targetILNS1_3genE9ELNS1_11target_archE1100ELNS1_3gpuE3ELNS1_3repE0EEENS1_30default_config_static_selectorELNS0_4arch9wavefront6targetE1EEEvT1_
                                        ; -- End function
	.section	.AMDGPU.csdata,"",@progbits
; Kernel info:
; codeLenInByte = 0
; NumSgprs: 4
; NumVgprs: 0
; NumAgprs: 0
; TotalNumVgprs: 0
; ScratchSize: 0
; MemoryBound: 0
; FloatMode: 240
; IeeeMode: 1
; LDSByteSize: 0 bytes/workgroup (compile time only)
; SGPRBlocks: 0
; VGPRBlocks: 0
; NumSGPRsForWavesPerEU: 4
; NumVGPRsForWavesPerEU: 1
; AccumOffset: 4
; Occupancy: 8
; WaveLimiterHint : 0
; COMPUTE_PGM_RSRC2:SCRATCH_EN: 0
; COMPUTE_PGM_RSRC2:USER_SGPR: 6
; COMPUTE_PGM_RSRC2:TRAP_HANDLER: 0
; COMPUTE_PGM_RSRC2:TGID_X_EN: 1
; COMPUTE_PGM_RSRC2:TGID_Y_EN: 0
; COMPUTE_PGM_RSRC2:TGID_Z_EN: 0
; COMPUTE_PGM_RSRC2:TIDIG_COMP_CNT: 0
; COMPUTE_PGM_RSRC3_GFX90A:ACCUM_OFFSET: 0
; COMPUTE_PGM_RSRC3_GFX90A:TG_SPLIT: 0
	.section	.text._ZN7rocprim17ROCPRIM_400000_NS6detail17trampoline_kernelINS0_14default_configENS1_20scan_config_selectorIxEEZZNS1_9scan_implILNS1_25lookback_scan_determinismE0ELb0ELb0ES3_N6thrust23THRUST_200600_302600_NS6detail15normal_iteratorINS9_10device_ptrIxEEEESE_xNS9_4plusIvEExEEDaPvRmT3_T4_T5_mT6_P12ihipStream_tbENKUlT_T0_E_clISt17integral_constantIbLb1EESU_EEDaSP_SQ_EUlSP_E0_NS1_11comp_targetILNS1_3genE8ELNS1_11target_archE1030ELNS1_3gpuE2ELNS1_3repE0EEENS1_30default_config_static_selectorELNS0_4arch9wavefront6targetE1EEEvT1_,"axG",@progbits,_ZN7rocprim17ROCPRIM_400000_NS6detail17trampoline_kernelINS0_14default_configENS1_20scan_config_selectorIxEEZZNS1_9scan_implILNS1_25lookback_scan_determinismE0ELb0ELb0ES3_N6thrust23THRUST_200600_302600_NS6detail15normal_iteratorINS9_10device_ptrIxEEEESE_xNS9_4plusIvEExEEDaPvRmT3_T4_T5_mT6_P12ihipStream_tbENKUlT_T0_E_clISt17integral_constantIbLb1EESU_EEDaSP_SQ_EUlSP_E0_NS1_11comp_targetILNS1_3genE8ELNS1_11target_archE1030ELNS1_3gpuE2ELNS1_3repE0EEENS1_30default_config_static_selectorELNS0_4arch9wavefront6targetE1EEEvT1_,comdat
	.protected	_ZN7rocprim17ROCPRIM_400000_NS6detail17trampoline_kernelINS0_14default_configENS1_20scan_config_selectorIxEEZZNS1_9scan_implILNS1_25lookback_scan_determinismE0ELb0ELb0ES3_N6thrust23THRUST_200600_302600_NS6detail15normal_iteratorINS9_10device_ptrIxEEEESE_xNS9_4plusIvEExEEDaPvRmT3_T4_T5_mT6_P12ihipStream_tbENKUlT_T0_E_clISt17integral_constantIbLb1EESU_EEDaSP_SQ_EUlSP_E0_NS1_11comp_targetILNS1_3genE8ELNS1_11target_archE1030ELNS1_3gpuE2ELNS1_3repE0EEENS1_30default_config_static_selectorELNS0_4arch9wavefront6targetE1EEEvT1_ ; -- Begin function _ZN7rocprim17ROCPRIM_400000_NS6detail17trampoline_kernelINS0_14default_configENS1_20scan_config_selectorIxEEZZNS1_9scan_implILNS1_25lookback_scan_determinismE0ELb0ELb0ES3_N6thrust23THRUST_200600_302600_NS6detail15normal_iteratorINS9_10device_ptrIxEEEESE_xNS9_4plusIvEExEEDaPvRmT3_T4_T5_mT6_P12ihipStream_tbENKUlT_T0_E_clISt17integral_constantIbLb1EESU_EEDaSP_SQ_EUlSP_E0_NS1_11comp_targetILNS1_3genE8ELNS1_11target_archE1030ELNS1_3gpuE2ELNS1_3repE0EEENS1_30default_config_static_selectorELNS0_4arch9wavefront6targetE1EEEvT1_
	.globl	_ZN7rocprim17ROCPRIM_400000_NS6detail17trampoline_kernelINS0_14default_configENS1_20scan_config_selectorIxEEZZNS1_9scan_implILNS1_25lookback_scan_determinismE0ELb0ELb0ES3_N6thrust23THRUST_200600_302600_NS6detail15normal_iteratorINS9_10device_ptrIxEEEESE_xNS9_4plusIvEExEEDaPvRmT3_T4_T5_mT6_P12ihipStream_tbENKUlT_T0_E_clISt17integral_constantIbLb1EESU_EEDaSP_SQ_EUlSP_E0_NS1_11comp_targetILNS1_3genE8ELNS1_11target_archE1030ELNS1_3gpuE2ELNS1_3repE0EEENS1_30default_config_static_selectorELNS0_4arch9wavefront6targetE1EEEvT1_
	.p2align	8
	.type	_ZN7rocprim17ROCPRIM_400000_NS6detail17trampoline_kernelINS0_14default_configENS1_20scan_config_selectorIxEEZZNS1_9scan_implILNS1_25lookback_scan_determinismE0ELb0ELb0ES3_N6thrust23THRUST_200600_302600_NS6detail15normal_iteratorINS9_10device_ptrIxEEEESE_xNS9_4plusIvEExEEDaPvRmT3_T4_T5_mT6_P12ihipStream_tbENKUlT_T0_E_clISt17integral_constantIbLb1EESU_EEDaSP_SQ_EUlSP_E0_NS1_11comp_targetILNS1_3genE8ELNS1_11target_archE1030ELNS1_3gpuE2ELNS1_3repE0EEENS1_30default_config_static_selectorELNS0_4arch9wavefront6targetE1EEEvT1_,@function
_ZN7rocprim17ROCPRIM_400000_NS6detail17trampoline_kernelINS0_14default_configENS1_20scan_config_selectorIxEEZZNS1_9scan_implILNS1_25lookback_scan_determinismE0ELb0ELb0ES3_N6thrust23THRUST_200600_302600_NS6detail15normal_iteratorINS9_10device_ptrIxEEEESE_xNS9_4plusIvEExEEDaPvRmT3_T4_T5_mT6_P12ihipStream_tbENKUlT_T0_E_clISt17integral_constantIbLb1EESU_EEDaSP_SQ_EUlSP_E0_NS1_11comp_targetILNS1_3genE8ELNS1_11target_archE1030ELNS1_3gpuE2ELNS1_3repE0EEENS1_30default_config_static_selectorELNS0_4arch9wavefront6targetE1EEEvT1_: ; @_ZN7rocprim17ROCPRIM_400000_NS6detail17trampoline_kernelINS0_14default_configENS1_20scan_config_selectorIxEEZZNS1_9scan_implILNS1_25lookback_scan_determinismE0ELb0ELb0ES3_N6thrust23THRUST_200600_302600_NS6detail15normal_iteratorINS9_10device_ptrIxEEEESE_xNS9_4plusIvEExEEDaPvRmT3_T4_T5_mT6_P12ihipStream_tbENKUlT_T0_E_clISt17integral_constantIbLb1EESU_EEDaSP_SQ_EUlSP_E0_NS1_11comp_targetILNS1_3genE8ELNS1_11target_archE1030ELNS1_3gpuE2ELNS1_3repE0EEENS1_30default_config_static_selectorELNS0_4arch9wavefront6targetE1EEEvT1_
; %bb.0:
	.section	.rodata,"a",@progbits
	.p2align	6, 0x0
	.amdhsa_kernel _ZN7rocprim17ROCPRIM_400000_NS6detail17trampoline_kernelINS0_14default_configENS1_20scan_config_selectorIxEEZZNS1_9scan_implILNS1_25lookback_scan_determinismE0ELb0ELb0ES3_N6thrust23THRUST_200600_302600_NS6detail15normal_iteratorINS9_10device_ptrIxEEEESE_xNS9_4plusIvEExEEDaPvRmT3_T4_T5_mT6_P12ihipStream_tbENKUlT_T0_E_clISt17integral_constantIbLb1EESU_EEDaSP_SQ_EUlSP_E0_NS1_11comp_targetILNS1_3genE8ELNS1_11target_archE1030ELNS1_3gpuE2ELNS1_3repE0EEENS1_30default_config_static_selectorELNS0_4arch9wavefront6targetE1EEEvT1_
		.amdhsa_group_segment_fixed_size 0
		.amdhsa_private_segment_fixed_size 0
		.amdhsa_kernarg_size 40
		.amdhsa_user_sgpr_count 6
		.amdhsa_user_sgpr_private_segment_buffer 1
		.amdhsa_user_sgpr_dispatch_ptr 0
		.amdhsa_user_sgpr_queue_ptr 0
		.amdhsa_user_sgpr_kernarg_segment_ptr 1
		.amdhsa_user_sgpr_dispatch_id 0
		.amdhsa_user_sgpr_flat_scratch_init 0
		.amdhsa_user_sgpr_kernarg_preload_length 0
		.amdhsa_user_sgpr_kernarg_preload_offset 0
		.amdhsa_user_sgpr_private_segment_size 0
		.amdhsa_uses_dynamic_stack 0
		.amdhsa_system_sgpr_private_segment_wavefront_offset 0
		.amdhsa_system_sgpr_workgroup_id_x 1
		.amdhsa_system_sgpr_workgroup_id_y 0
		.amdhsa_system_sgpr_workgroup_id_z 0
		.amdhsa_system_sgpr_workgroup_info 0
		.amdhsa_system_vgpr_workitem_id 0
		.amdhsa_next_free_vgpr 1
		.amdhsa_next_free_sgpr 0
		.amdhsa_accum_offset 4
		.amdhsa_reserve_vcc 0
		.amdhsa_reserve_flat_scratch 0
		.amdhsa_float_round_mode_32 0
		.amdhsa_float_round_mode_16_64 0
		.amdhsa_float_denorm_mode_32 3
		.amdhsa_float_denorm_mode_16_64 3
		.amdhsa_dx10_clamp 1
		.amdhsa_ieee_mode 1
		.amdhsa_fp16_overflow 0
		.amdhsa_tg_split 0
		.amdhsa_exception_fp_ieee_invalid_op 0
		.amdhsa_exception_fp_denorm_src 0
		.amdhsa_exception_fp_ieee_div_zero 0
		.amdhsa_exception_fp_ieee_overflow 0
		.amdhsa_exception_fp_ieee_underflow 0
		.amdhsa_exception_fp_ieee_inexact 0
		.amdhsa_exception_int_div_zero 0
	.end_amdhsa_kernel
	.section	.text._ZN7rocprim17ROCPRIM_400000_NS6detail17trampoline_kernelINS0_14default_configENS1_20scan_config_selectorIxEEZZNS1_9scan_implILNS1_25lookback_scan_determinismE0ELb0ELb0ES3_N6thrust23THRUST_200600_302600_NS6detail15normal_iteratorINS9_10device_ptrIxEEEESE_xNS9_4plusIvEExEEDaPvRmT3_T4_T5_mT6_P12ihipStream_tbENKUlT_T0_E_clISt17integral_constantIbLb1EESU_EEDaSP_SQ_EUlSP_E0_NS1_11comp_targetILNS1_3genE8ELNS1_11target_archE1030ELNS1_3gpuE2ELNS1_3repE0EEENS1_30default_config_static_selectorELNS0_4arch9wavefront6targetE1EEEvT1_,"axG",@progbits,_ZN7rocprim17ROCPRIM_400000_NS6detail17trampoline_kernelINS0_14default_configENS1_20scan_config_selectorIxEEZZNS1_9scan_implILNS1_25lookback_scan_determinismE0ELb0ELb0ES3_N6thrust23THRUST_200600_302600_NS6detail15normal_iteratorINS9_10device_ptrIxEEEESE_xNS9_4plusIvEExEEDaPvRmT3_T4_T5_mT6_P12ihipStream_tbENKUlT_T0_E_clISt17integral_constantIbLb1EESU_EEDaSP_SQ_EUlSP_E0_NS1_11comp_targetILNS1_3genE8ELNS1_11target_archE1030ELNS1_3gpuE2ELNS1_3repE0EEENS1_30default_config_static_selectorELNS0_4arch9wavefront6targetE1EEEvT1_,comdat
.Lfunc_end48:
	.size	_ZN7rocprim17ROCPRIM_400000_NS6detail17trampoline_kernelINS0_14default_configENS1_20scan_config_selectorIxEEZZNS1_9scan_implILNS1_25lookback_scan_determinismE0ELb0ELb0ES3_N6thrust23THRUST_200600_302600_NS6detail15normal_iteratorINS9_10device_ptrIxEEEESE_xNS9_4plusIvEExEEDaPvRmT3_T4_T5_mT6_P12ihipStream_tbENKUlT_T0_E_clISt17integral_constantIbLb1EESU_EEDaSP_SQ_EUlSP_E0_NS1_11comp_targetILNS1_3genE8ELNS1_11target_archE1030ELNS1_3gpuE2ELNS1_3repE0EEENS1_30default_config_static_selectorELNS0_4arch9wavefront6targetE1EEEvT1_, .Lfunc_end48-_ZN7rocprim17ROCPRIM_400000_NS6detail17trampoline_kernelINS0_14default_configENS1_20scan_config_selectorIxEEZZNS1_9scan_implILNS1_25lookback_scan_determinismE0ELb0ELb0ES3_N6thrust23THRUST_200600_302600_NS6detail15normal_iteratorINS9_10device_ptrIxEEEESE_xNS9_4plusIvEExEEDaPvRmT3_T4_T5_mT6_P12ihipStream_tbENKUlT_T0_E_clISt17integral_constantIbLb1EESU_EEDaSP_SQ_EUlSP_E0_NS1_11comp_targetILNS1_3genE8ELNS1_11target_archE1030ELNS1_3gpuE2ELNS1_3repE0EEENS1_30default_config_static_selectorELNS0_4arch9wavefront6targetE1EEEvT1_
                                        ; -- End function
	.section	.AMDGPU.csdata,"",@progbits
; Kernel info:
; codeLenInByte = 0
; NumSgprs: 4
; NumVgprs: 0
; NumAgprs: 0
; TotalNumVgprs: 0
; ScratchSize: 0
; MemoryBound: 0
; FloatMode: 240
; IeeeMode: 1
; LDSByteSize: 0 bytes/workgroup (compile time only)
; SGPRBlocks: 0
; VGPRBlocks: 0
; NumSGPRsForWavesPerEU: 4
; NumVGPRsForWavesPerEU: 1
; AccumOffset: 4
; Occupancy: 8
; WaveLimiterHint : 0
; COMPUTE_PGM_RSRC2:SCRATCH_EN: 0
; COMPUTE_PGM_RSRC2:USER_SGPR: 6
; COMPUTE_PGM_RSRC2:TRAP_HANDLER: 0
; COMPUTE_PGM_RSRC2:TGID_X_EN: 1
; COMPUTE_PGM_RSRC2:TGID_Y_EN: 0
; COMPUTE_PGM_RSRC2:TGID_Z_EN: 0
; COMPUTE_PGM_RSRC2:TIDIG_COMP_CNT: 0
; COMPUTE_PGM_RSRC3_GFX90A:ACCUM_OFFSET: 0
; COMPUTE_PGM_RSRC3_GFX90A:TG_SPLIT: 0
	.section	.text._ZN7rocprim17ROCPRIM_400000_NS6detail31init_lookback_scan_state_kernelINS1_19lookback_scan_stateIxLb1ELb1EEENS1_16block_id_wrapperIjLb0EEEEEvT_jT0_jPNS7_10value_typeE,"axG",@progbits,_ZN7rocprim17ROCPRIM_400000_NS6detail31init_lookback_scan_state_kernelINS1_19lookback_scan_stateIxLb1ELb1EEENS1_16block_id_wrapperIjLb0EEEEEvT_jT0_jPNS7_10value_typeE,comdat
	.protected	_ZN7rocprim17ROCPRIM_400000_NS6detail31init_lookback_scan_state_kernelINS1_19lookback_scan_stateIxLb1ELb1EEENS1_16block_id_wrapperIjLb0EEEEEvT_jT0_jPNS7_10value_typeE ; -- Begin function _ZN7rocprim17ROCPRIM_400000_NS6detail31init_lookback_scan_state_kernelINS1_19lookback_scan_stateIxLb1ELb1EEENS1_16block_id_wrapperIjLb0EEEEEvT_jT0_jPNS7_10value_typeE
	.globl	_ZN7rocprim17ROCPRIM_400000_NS6detail31init_lookback_scan_state_kernelINS1_19lookback_scan_stateIxLb1ELb1EEENS1_16block_id_wrapperIjLb0EEEEEvT_jT0_jPNS7_10value_typeE
	.p2align	8
	.type	_ZN7rocprim17ROCPRIM_400000_NS6detail31init_lookback_scan_state_kernelINS1_19lookback_scan_stateIxLb1ELb1EEENS1_16block_id_wrapperIjLb0EEEEEvT_jT0_jPNS7_10value_typeE,@function
_ZN7rocprim17ROCPRIM_400000_NS6detail31init_lookback_scan_state_kernelINS1_19lookback_scan_stateIxLb1ELb1EEENS1_16block_id_wrapperIjLb0EEEEEvT_jT0_jPNS7_10value_typeE: ; @_ZN7rocprim17ROCPRIM_400000_NS6detail31init_lookback_scan_state_kernelINS1_19lookback_scan_stateIxLb1ELb1EEENS1_16block_id_wrapperIjLb0EEEEEvT_jT0_jPNS7_10value_typeE
; %bb.0:
	s_load_dword s7, s[4:5], 0x2c
	s_load_dwordx2 s[2:3], s[4:5], 0x18
	s_load_dwordx2 s[0:1], s[4:5], 0x0
	s_load_dword s12, s[4:5], 0x8
	s_waitcnt lgkmcnt(0)
	s_and_b32 s7, s7, 0xffff
	s_mul_i32 s6, s6, s7
	s_cmp_eq_u64 s[2:3], 0
	v_add_u32_e32 v0, s6, v0
	s_cbranch_scc1 .LBB49_10
; %bb.1:
	s_load_dword s6, s[4:5], 0x10
	s_mov_b32 s7, 0
	s_waitcnt lgkmcnt(0)
	s_cmp_lt_u32 s6, s12
	s_cselect_b32 s4, s6, 0
	v_cmp_eq_u32_e32 vcc, s4, v0
	s_and_saveexec_b64 s[4:5], vcc
	s_cbranch_execz .LBB49_9
; %bb.2:
	s_add_i32 s6, s6, 64
	s_lshl_b64 s[6:7], s[6:7], 4
	s_add_u32 s10, s0, s6
	s_addc_u32 s11, s1, s7
	v_pk_mov_b32 v[2:3], s[10:11], s[10:11] op_sel:[0,1]
	;;#ASMSTART
	global_load_dwordx4 v[2:5], v[2:3] off glc	
s_waitcnt vmcnt(0)
	;;#ASMEND
	v_mov_b32_e32 v7, 0
	v_and_b32_e32 v6, 0xff, v4
	s_mov_b64 s[8:9], 0
	v_cmp_eq_u64_e32 vcc, 0, v[6:7]
	s_and_saveexec_b64 s[6:7], vcc
	s_cbranch_execz .LBB49_8
; %bb.3:
	s_mov_b32 s13, 1
	v_pk_mov_b32 v[8:9], s[10:11], s[10:11] op_sel:[0,1]
.LBB49_4:                               ; =>This Loop Header: Depth=1
                                        ;     Child Loop BB49_5 Depth 2
	s_max_u32 s10, s13, 1
.LBB49_5:                               ;   Parent Loop BB49_4 Depth=1
                                        ; =>  This Inner Loop Header: Depth=2
	s_add_i32 s10, s10, -1
	s_cmp_eq_u32 s10, 0
	s_sleep 1
	s_cbranch_scc0 .LBB49_5
; %bb.6:                                ;   in Loop: Header=BB49_4 Depth=1
	s_cmp_lt_u32 s13, 32
	s_cselect_b64 s[10:11], -1, 0
	s_cmp_lg_u64 s[10:11], 0
	;;#ASMSTART
	global_load_dwordx4 v[2:5], v[8:9] off glc	
s_waitcnt vmcnt(0)
	;;#ASMEND
	v_and_b32_e32 v6, 0xff, v4
	s_addc_u32 s13, s13, 0
	v_cmp_ne_u64_e32 vcc, 0, v[6:7]
	s_or_b64 s[8:9], vcc, s[8:9]
	s_andn2_b64 exec, exec, s[8:9]
	s_cbranch_execnz .LBB49_4
; %bb.7:
	s_or_b64 exec, exec, s[8:9]
.LBB49_8:
	s_or_b64 exec, exec, s[6:7]
	v_mov_b32_e32 v1, 0
	global_store_dwordx2 v1, v[2:3], s[2:3]
.LBB49_9:
	s_or_b64 exec, exec, s[4:5]
.LBB49_10:
	v_cmp_gt_u32_e32 vcc, s12, v0
	s_and_saveexec_b64 s[2:3], vcc
	s_cbranch_execnz .LBB49_13
; %bb.11:
	s_or_b64 exec, exec, s[2:3]
	v_cmp_gt_u32_e32 vcc, 64, v0
	s_and_saveexec_b64 s[2:3], vcc
	s_cbranch_execnz .LBB49_14
.LBB49_12:
	s_endpgm
.LBB49_13:
	v_add_u32_e32 v2, 64, v0
	v_mov_b32_e32 v3, 0
	v_lshlrev_b64 v[4:5], 4, v[2:3]
	v_mov_b32_e32 v1, s1
	v_add_co_u32_e32 v6, vcc, s0, v4
	v_addc_co_u32_e32 v7, vcc, v1, v5, vcc
	v_mov_b32_e32 v2, v3
	v_mov_b32_e32 v4, v3
	;; [unrolled: 1-line block ×3, first 2 shown]
	global_store_dwordx4 v[6:7], v[2:5], off
	s_or_b64 exec, exec, s[2:3]
	v_cmp_gt_u32_e32 vcc, 64, v0
	s_and_saveexec_b64 s[2:3], vcc
	s_cbranch_execz .LBB49_12
.LBB49_14:
	v_mov_b32_e32 v1, 0
	v_lshlrev_b64 v[2:3], 4, v[0:1]
	v_mov_b32_e32 v0, s1
	v_add_co_u32_e32 v4, vcc, s0, v2
	v_addc_co_u32_e32 v5, vcc, v0, v3, vcc
	v_mov_b32_e32 v2, 0xff
	v_mov_b32_e32 v0, v1
	v_mov_b32_e32 v3, v1
	global_store_dwordx4 v[4:5], v[0:3], off
	s_endpgm
	.section	.rodata,"a",@progbits
	.p2align	6, 0x0
	.amdhsa_kernel _ZN7rocprim17ROCPRIM_400000_NS6detail31init_lookback_scan_state_kernelINS1_19lookback_scan_stateIxLb1ELb1EEENS1_16block_id_wrapperIjLb0EEEEEvT_jT0_jPNS7_10value_typeE
		.amdhsa_group_segment_fixed_size 0
		.amdhsa_private_segment_fixed_size 0
		.amdhsa_kernarg_size 288
		.amdhsa_user_sgpr_count 6
		.amdhsa_user_sgpr_private_segment_buffer 1
		.amdhsa_user_sgpr_dispatch_ptr 0
		.amdhsa_user_sgpr_queue_ptr 0
		.amdhsa_user_sgpr_kernarg_segment_ptr 1
		.amdhsa_user_sgpr_dispatch_id 0
		.amdhsa_user_sgpr_flat_scratch_init 0
		.amdhsa_user_sgpr_kernarg_preload_length 0
		.amdhsa_user_sgpr_kernarg_preload_offset 0
		.amdhsa_user_sgpr_private_segment_size 0
		.amdhsa_uses_dynamic_stack 0
		.amdhsa_system_sgpr_private_segment_wavefront_offset 0
		.amdhsa_system_sgpr_workgroup_id_x 1
		.amdhsa_system_sgpr_workgroup_id_y 0
		.amdhsa_system_sgpr_workgroup_id_z 0
		.amdhsa_system_sgpr_workgroup_info 0
		.amdhsa_system_vgpr_workitem_id 0
		.amdhsa_next_free_vgpr 10
		.amdhsa_next_free_sgpr 14
		.amdhsa_accum_offset 12
		.amdhsa_reserve_vcc 1
		.amdhsa_reserve_flat_scratch 0
		.amdhsa_float_round_mode_32 0
		.amdhsa_float_round_mode_16_64 0
		.amdhsa_float_denorm_mode_32 3
		.amdhsa_float_denorm_mode_16_64 3
		.amdhsa_dx10_clamp 1
		.amdhsa_ieee_mode 1
		.amdhsa_fp16_overflow 0
		.amdhsa_tg_split 0
		.amdhsa_exception_fp_ieee_invalid_op 0
		.amdhsa_exception_fp_denorm_src 0
		.amdhsa_exception_fp_ieee_div_zero 0
		.amdhsa_exception_fp_ieee_overflow 0
		.amdhsa_exception_fp_ieee_underflow 0
		.amdhsa_exception_fp_ieee_inexact 0
		.amdhsa_exception_int_div_zero 0
	.end_amdhsa_kernel
	.section	.text._ZN7rocprim17ROCPRIM_400000_NS6detail31init_lookback_scan_state_kernelINS1_19lookback_scan_stateIxLb1ELb1EEENS1_16block_id_wrapperIjLb0EEEEEvT_jT0_jPNS7_10value_typeE,"axG",@progbits,_ZN7rocprim17ROCPRIM_400000_NS6detail31init_lookback_scan_state_kernelINS1_19lookback_scan_stateIxLb1ELb1EEENS1_16block_id_wrapperIjLb0EEEEEvT_jT0_jPNS7_10value_typeE,comdat
.Lfunc_end49:
	.size	_ZN7rocprim17ROCPRIM_400000_NS6detail31init_lookback_scan_state_kernelINS1_19lookback_scan_stateIxLb1ELb1EEENS1_16block_id_wrapperIjLb0EEEEEvT_jT0_jPNS7_10value_typeE, .Lfunc_end49-_ZN7rocprim17ROCPRIM_400000_NS6detail31init_lookback_scan_state_kernelINS1_19lookback_scan_stateIxLb1ELb1EEENS1_16block_id_wrapperIjLb0EEEEEvT_jT0_jPNS7_10value_typeE
                                        ; -- End function
	.section	.AMDGPU.csdata,"",@progbits
; Kernel info:
; codeLenInByte = 424
; NumSgprs: 18
; NumVgprs: 10
; NumAgprs: 0
; TotalNumVgprs: 10
; ScratchSize: 0
; MemoryBound: 0
; FloatMode: 240
; IeeeMode: 1
; LDSByteSize: 0 bytes/workgroup (compile time only)
; SGPRBlocks: 2
; VGPRBlocks: 1
; NumSGPRsForWavesPerEU: 18
; NumVGPRsForWavesPerEU: 10
; AccumOffset: 12
; Occupancy: 8
; WaveLimiterHint : 0
; COMPUTE_PGM_RSRC2:SCRATCH_EN: 0
; COMPUTE_PGM_RSRC2:USER_SGPR: 6
; COMPUTE_PGM_RSRC2:TRAP_HANDLER: 0
; COMPUTE_PGM_RSRC2:TGID_X_EN: 1
; COMPUTE_PGM_RSRC2:TGID_Y_EN: 0
; COMPUTE_PGM_RSRC2:TGID_Z_EN: 0
; COMPUTE_PGM_RSRC2:TIDIG_COMP_CNT: 0
; COMPUTE_PGM_RSRC3_GFX90A:ACCUM_OFFSET: 2
; COMPUTE_PGM_RSRC3_GFX90A:TG_SPLIT: 0
	.section	.text._ZN7rocprim17ROCPRIM_400000_NS6detail17trampoline_kernelINS0_14default_configENS1_20scan_config_selectorIxEEZZNS1_9scan_implILNS1_25lookback_scan_determinismE0ELb0ELb0ES3_N6thrust23THRUST_200600_302600_NS6detail15normal_iteratorINS9_10device_ptrIxEEEESE_xNS9_4plusIvEExEEDaPvRmT3_T4_T5_mT6_P12ihipStream_tbENKUlT_T0_E_clISt17integral_constantIbLb1EEST_IbLb0EEEEDaSP_SQ_EUlSP_E_NS1_11comp_targetILNS1_3genE0ELNS1_11target_archE4294967295ELNS1_3gpuE0ELNS1_3repE0EEENS1_30default_config_static_selectorELNS0_4arch9wavefront6targetE1EEEvT1_,"axG",@progbits,_ZN7rocprim17ROCPRIM_400000_NS6detail17trampoline_kernelINS0_14default_configENS1_20scan_config_selectorIxEEZZNS1_9scan_implILNS1_25lookback_scan_determinismE0ELb0ELb0ES3_N6thrust23THRUST_200600_302600_NS6detail15normal_iteratorINS9_10device_ptrIxEEEESE_xNS9_4plusIvEExEEDaPvRmT3_T4_T5_mT6_P12ihipStream_tbENKUlT_T0_E_clISt17integral_constantIbLb1EEST_IbLb0EEEEDaSP_SQ_EUlSP_E_NS1_11comp_targetILNS1_3genE0ELNS1_11target_archE4294967295ELNS1_3gpuE0ELNS1_3repE0EEENS1_30default_config_static_selectorELNS0_4arch9wavefront6targetE1EEEvT1_,comdat
	.protected	_ZN7rocprim17ROCPRIM_400000_NS6detail17trampoline_kernelINS0_14default_configENS1_20scan_config_selectorIxEEZZNS1_9scan_implILNS1_25lookback_scan_determinismE0ELb0ELb0ES3_N6thrust23THRUST_200600_302600_NS6detail15normal_iteratorINS9_10device_ptrIxEEEESE_xNS9_4plusIvEExEEDaPvRmT3_T4_T5_mT6_P12ihipStream_tbENKUlT_T0_E_clISt17integral_constantIbLb1EEST_IbLb0EEEEDaSP_SQ_EUlSP_E_NS1_11comp_targetILNS1_3genE0ELNS1_11target_archE4294967295ELNS1_3gpuE0ELNS1_3repE0EEENS1_30default_config_static_selectorELNS0_4arch9wavefront6targetE1EEEvT1_ ; -- Begin function _ZN7rocprim17ROCPRIM_400000_NS6detail17trampoline_kernelINS0_14default_configENS1_20scan_config_selectorIxEEZZNS1_9scan_implILNS1_25lookback_scan_determinismE0ELb0ELb0ES3_N6thrust23THRUST_200600_302600_NS6detail15normal_iteratorINS9_10device_ptrIxEEEESE_xNS9_4plusIvEExEEDaPvRmT3_T4_T5_mT6_P12ihipStream_tbENKUlT_T0_E_clISt17integral_constantIbLb1EEST_IbLb0EEEEDaSP_SQ_EUlSP_E_NS1_11comp_targetILNS1_3genE0ELNS1_11target_archE4294967295ELNS1_3gpuE0ELNS1_3repE0EEENS1_30default_config_static_selectorELNS0_4arch9wavefront6targetE1EEEvT1_
	.globl	_ZN7rocprim17ROCPRIM_400000_NS6detail17trampoline_kernelINS0_14default_configENS1_20scan_config_selectorIxEEZZNS1_9scan_implILNS1_25lookback_scan_determinismE0ELb0ELb0ES3_N6thrust23THRUST_200600_302600_NS6detail15normal_iteratorINS9_10device_ptrIxEEEESE_xNS9_4plusIvEExEEDaPvRmT3_T4_T5_mT6_P12ihipStream_tbENKUlT_T0_E_clISt17integral_constantIbLb1EEST_IbLb0EEEEDaSP_SQ_EUlSP_E_NS1_11comp_targetILNS1_3genE0ELNS1_11target_archE4294967295ELNS1_3gpuE0ELNS1_3repE0EEENS1_30default_config_static_selectorELNS0_4arch9wavefront6targetE1EEEvT1_
	.p2align	8
	.type	_ZN7rocprim17ROCPRIM_400000_NS6detail17trampoline_kernelINS0_14default_configENS1_20scan_config_selectorIxEEZZNS1_9scan_implILNS1_25lookback_scan_determinismE0ELb0ELb0ES3_N6thrust23THRUST_200600_302600_NS6detail15normal_iteratorINS9_10device_ptrIxEEEESE_xNS9_4plusIvEExEEDaPvRmT3_T4_T5_mT6_P12ihipStream_tbENKUlT_T0_E_clISt17integral_constantIbLb1EEST_IbLb0EEEEDaSP_SQ_EUlSP_E_NS1_11comp_targetILNS1_3genE0ELNS1_11target_archE4294967295ELNS1_3gpuE0ELNS1_3repE0EEENS1_30default_config_static_selectorELNS0_4arch9wavefront6targetE1EEEvT1_,@function
_ZN7rocprim17ROCPRIM_400000_NS6detail17trampoline_kernelINS0_14default_configENS1_20scan_config_selectorIxEEZZNS1_9scan_implILNS1_25lookback_scan_determinismE0ELb0ELb0ES3_N6thrust23THRUST_200600_302600_NS6detail15normal_iteratorINS9_10device_ptrIxEEEESE_xNS9_4plusIvEExEEDaPvRmT3_T4_T5_mT6_P12ihipStream_tbENKUlT_T0_E_clISt17integral_constantIbLb1EEST_IbLb0EEEEDaSP_SQ_EUlSP_E_NS1_11comp_targetILNS1_3genE0ELNS1_11target_archE4294967295ELNS1_3gpuE0ELNS1_3repE0EEENS1_30default_config_static_selectorELNS0_4arch9wavefront6targetE1EEEvT1_: ; @_ZN7rocprim17ROCPRIM_400000_NS6detail17trampoline_kernelINS0_14default_configENS1_20scan_config_selectorIxEEZZNS1_9scan_implILNS1_25lookback_scan_determinismE0ELb0ELb0ES3_N6thrust23THRUST_200600_302600_NS6detail15normal_iteratorINS9_10device_ptrIxEEEESE_xNS9_4plusIvEExEEDaPvRmT3_T4_T5_mT6_P12ihipStream_tbENKUlT_T0_E_clISt17integral_constantIbLb1EEST_IbLb0EEEEDaSP_SQ_EUlSP_E_NS1_11comp_targetILNS1_3genE0ELNS1_11target_archE4294967295ELNS1_3gpuE0ELNS1_3repE0EEENS1_30default_config_static_selectorELNS0_4arch9wavefront6targetE1EEEvT1_
; %bb.0:
	.section	.rodata,"a",@progbits
	.p2align	6, 0x0
	.amdhsa_kernel _ZN7rocprim17ROCPRIM_400000_NS6detail17trampoline_kernelINS0_14default_configENS1_20scan_config_selectorIxEEZZNS1_9scan_implILNS1_25lookback_scan_determinismE0ELb0ELb0ES3_N6thrust23THRUST_200600_302600_NS6detail15normal_iteratorINS9_10device_ptrIxEEEESE_xNS9_4plusIvEExEEDaPvRmT3_T4_T5_mT6_P12ihipStream_tbENKUlT_T0_E_clISt17integral_constantIbLb1EEST_IbLb0EEEEDaSP_SQ_EUlSP_E_NS1_11comp_targetILNS1_3genE0ELNS1_11target_archE4294967295ELNS1_3gpuE0ELNS1_3repE0EEENS1_30default_config_static_selectorELNS0_4arch9wavefront6targetE1EEEvT1_
		.amdhsa_group_segment_fixed_size 0
		.amdhsa_private_segment_fixed_size 0
		.amdhsa_kernarg_size 104
		.amdhsa_user_sgpr_count 6
		.amdhsa_user_sgpr_private_segment_buffer 1
		.amdhsa_user_sgpr_dispatch_ptr 0
		.amdhsa_user_sgpr_queue_ptr 0
		.amdhsa_user_sgpr_kernarg_segment_ptr 1
		.amdhsa_user_sgpr_dispatch_id 0
		.amdhsa_user_sgpr_flat_scratch_init 0
		.amdhsa_user_sgpr_kernarg_preload_length 0
		.amdhsa_user_sgpr_kernarg_preload_offset 0
		.amdhsa_user_sgpr_private_segment_size 0
		.amdhsa_uses_dynamic_stack 0
		.amdhsa_system_sgpr_private_segment_wavefront_offset 0
		.amdhsa_system_sgpr_workgroup_id_x 1
		.amdhsa_system_sgpr_workgroup_id_y 0
		.amdhsa_system_sgpr_workgroup_id_z 0
		.amdhsa_system_sgpr_workgroup_info 0
		.amdhsa_system_vgpr_workitem_id 0
		.amdhsa_next_free_vgpr 1
		.amdhsa_next_free_sgpr 0
		.amdhsa_accum_offset 4
		.amdhsa_reserve_vcc 0
		.amdhsa_reserve_flat_scratch 0
		.amdhsa_float_round_mode_32 0
		.amdhsa_float_round_mode_16_64 0
		.amdhsa_float_denorm_mode_32 3
		.amdhsa_float_denorm_mode_16_64 3
		.amdhsa_dx10_clamp 1
		.amdhsa_ieee_mode 1
		.amdhsa_fp16_overflow 0
		.amdhsa_tg_split 0
		.amdhsa_exception_fp_ieee_invalid_op 0
		.amdhsa_exception_fp_denorm_src 0
		.amdhsa_exception_fp_ieee_div_zero 0
		.amdhsa_exception_fp_ieee_overflow 0
		.amdhsa_exception_fp_ieee_underflow 0
		.amdhsa_exception_fp_ieee_inexact 0
		.amdhsa_exception_int_div_zero 0
	.end_amdhsa_kernel
	.section	.text._ZN7rocprim17ROCPRIM_400000_NS6detail17trampoline_kernelINS0_14default_configENS1_20scan_config_selectorIxEEZZNS1_9scan_implILNS1_25lookback_scan_determinismE0ELb0ELb0ES3_N6thrust23THRUST_200600_302600_NS6detail15normal_iteratorINS9_10device_ptrIxEEEESE_xNS9_4plusIvEExEEDaPvRmT3_T4_T5_mT6_P12ihipStream_tbENKUlT_T0_E_clISt17integral_constantIbLb1EEST_IbLb0EEEEDaSP_SQ_EUlSP_E_NS1_11comp_targetILNS1_3genE0ELNS1_11target_archE4294967295ELNS1_3gpuE0ELNS1_3repE0EEENS1_30default_config_static_selectorELNS0_4arch9wavefront6targetE1EEEvT1_,"axG",@progbits,_ZN7rocprim17ROCPRIM_400000_NS6detail17trampoline_kernelINS0_14default_configENS1_20scan_config_selectorIxEEZZNS1_9scan_implILNS1_25lookback_scan_determinismE0ELb0ELb0ES3_N6thrust23THRUST_200600_302600_NS6detail15normal_iteratorINS9_10device_ptrIxEEEESE_xNS9_4plusIvEExEEDaPvRmT3_T4_T5_mT6_P12ihipStream_tbENKUlT_T0_E_clISt17integral_constantIbLb1EEST_IbLb0EEEEDaSP_SQ_EUlSP_E_NS1_11comp_targetILNS1_3genE0ELNS1_11target_archE4294967295ELNS1_3gpuE0ELNS1_3repE0EEENS1_30default_config_static_selectorELNS0_4arch9wavefront6targetE1EEEvT1_,comdat
.Lfunc_end50:
	.size	_ZN7rocprim17ROCPRIM_400000_NS6detail17trampoline_kernelINS0_14default_configENS1_20scan_config_selectorIxEEZZNS1_9scan_implILNS1_25lookback_scan_determinismE0ELb0ELb0ES3_N6thrust23THRUST_200600_302600_NS6detail15normal_iteratorINS9_10device_ptrIxEEEESE_xNS9_4plusIvEExEEDaPvRmT3_T4_T5_mT6_P12ihipStream_tbENKUlT_T0_E_clISt17integral_constantIbLb1EEST_IbLb0EEEEDaSP_SQ_EUlSP_E_NS1_11comp_targetILNS1_3genE0ELNS1_11target_archE4294967295ELNS1_3gpuE0ELNS1_3repE0EEENS1_30default_config_static_selectorELNS0_4arch9wavefront6targetE1EEEvT1_, .Lfunc_end50-_ZN7rocprim17ROCPRIM_400000_NS6detail17trampoline_kernelINS0_14default_configENS1_20scan_config_selectorIxEEZZNS1_9scan_implILNS1_25lookback_scan_determinismE0ELb0ELb0ES3_N6thrust23THRUST_200600_302600_NS6detail15normal_iteratorINS9_10device_ptrIxEEEESE_xNS9_4plusIvEExEEDaPvRmT3_T4_T5_mT6_P12ihipStream_tbENKUlT_T0_E_clISt17integral_constantIbLb1EEST_IbLb0EEEEDaSP_SQ_EUlSP_E_NS1_11comp_targetILNS1_3genE0ELNS1_11target_archE4294967295ELNS1_3gpuE0ELNS1_3repE0EEENS1_30default_config_static_selectorELNS0_4arch9wavefront6targetE1EEEvT1_
                                        ; -- End function
	.section	.AMDGPU.csdata,"",@progbits
; Kernel info:
; codeLenInByte = 0
; NumSgprs: 4
; NumVgprs: 0
; NumAgprs: 0
; TotalNumVgprs: 0
; ScratchSize: 0
; MemoryBound: 0
; FloatMode: 240
; IeeeMode: 1
; LDSByteSize: 0 bytes/workgroup (compile time only)
; SGPRBlocks: 0
; VGPRBlocks: 0
; NumSGPRsForWavesPerEU: 4
; NumVGPRsForWavesPerEU: 1
; AccumOffset: 4
; Occupancy: 8
; WaveLimiterHint : 0
; COMPUTE_PGM_RSRC2:SCRATCH_EN: 0
; COMPUTE_PGM_RSRC2:USER_SGPR: 6
; COMPUTE_PGM_RSRC2:TRAP_HANDLER: 0
; COMPUTE_PGM_RSRC2:TGID_X_EN: 1
; COMPUTE_PGM_RSRC2:TGID_Y_EN: 0
; COMPUTE_PGM_RSRC2:TGID_Z_EN: 0
; COMPUTE_PGM_RSRC2:TIDIG_COMP_CNT: 0
; COMPUTE_PGM_RSRC3_GFX90A:ACCUM_OFFSET: 0
; COMPUTE_PGM_RSRC3_GFX90A:TG_SPLIT: 0
	.section	.text._ZN7rocprim17ROCPRIM_400000_NS6detail17trampoline_kernelINS0_14default_configENS1_20scan_config_selectorIxEEZZNS1_9scan_implILNS1_25lookback_scan_determinismE0ELb0ELb0ES3_N6thrust23THRUST_200600_302600_NS6detail15normal_iteratorINS9_10device_ptrIxEEEESE_xNS9_4plusIvEExEEDaPvRmT3_T4_T5_mT6_P12ihipStream_tbENKUlT_T0_E_clISt17integral_constantIbLb1EEST_IbLb0EEEEDaSP_SQ_EUlSP_E_NS1_11comp_targetILNS1_3genE5ELNS1_11target_archE942ELNS1_3gpuE9ELNS1_3repE0EEENS1_30default_config_static_selectorELNS0_4arch9wavefront6targetE1EEEvT1_,"axG",@progbits,_ZN7rocprim17ROCPRIM_400000_NS6detail17trampoline_kernelINS0_14default_configENS1_20scan_config_selectorIxEEZZNS1_9scan_implILNS1_25lookback_scan_determinismE0ELb0ELb0ES3_N6thrust23THRUST_200600_302600_NS6detail15normal_iteratorINS9_10device_ptrIxEEEESE_xNS9_4plusIvEExEEDaPvRmT3_T4_T5_mT6_P12ihipStream_tbENKUlT_T0_E_clISt17integral_constantIbLb1EEST_IbLb0EEEEDaSP_SQ_EUlSP_E_NS1_11comp_targetILNS1_3genE5ELNS1_11target_archE942ELNS1_3gpuE9ELNS1_3repE0EEENS1_30default_config_static_selectorELNS0_4arch9wavefront6targetE1EEEvT1_,comdat
	.protected	_ZN7rocprim17ROCPRIM_400000_NS6detail17trampoline_kernelINS0_14default_configENS1_20scan_config_selectorIxEEZZNS1_9scan_implILNS1_25lookback_scan_determinismE0ELb0ELb0ES3_N6thrust23THRUST_200600_302600_NS6detail15normal_iteratorINS9_10device_ptrIxEEEESE_xNS9_4plusIvEExEEDaPvRmT3_T4_T5_mT6_P12ihipStream_tbENKUlT_T0_E_clISt17integral_constantIbLb1EEST_IbLb0EEEEDaSP_SQ_EUlSP_E_NS1_11comp_targetILNS1_3genE5ELNS1_11target_archE942ELNS1_3gpuE9ELNS1_3repE0EEENS1_30default_config_static_selectorELNS0_4arch9wavefront6targetE1EEEvT1_ ; -- Begin function _ZN7rocprim17ROCPRIM_400000_NS6detail17trampoline_kernelINS0_14default_configENS1_20scan_config_selectorIxEEZZNS1_9scan_implILNS1_25lookback_scan_determinismE0ELb0ELb0ES3_N6thrust23THRUST_200600_302600_NS6detail15normal_iteratorINS9_10device_ptrIxEEEESE_xNS9_4plusIvEExEEDaPvRmT3_T4_T5_mT6_P12ihipStream_tbENKUlT_T0_E_clISt17integral_constantIbLb1EEST_IbLb0EEEEDaSP_SQ_EUlSP_E_NS1_11comp_targetILNS1_3genE5ELNS1_11target_archE942ELNS1_3gpuE9ELNS1_3repE0EEENS1_30default_config_static_selectorELNS0_4arch9wavefront6targetE1EEEvT1_
	.globl	_ZN7rocprim17ROCPRIM_400000_NS6detail17trampoline_kernelINS0_14default_configENS1_20scan_config_selectorIxEEZZNS1_9scan_implILNS1_25lookback_scan_determinismE0ELb0ELb0ES3_N6thrust23THRUST_200600_302600_NS6detail15normal_iteratorINS9_10device_ptrIxEEEESE_xNS9_4plusIvEExEEDaPvRmT3_T4_T5_mT6_P12ihipStream_tbENKUlT_T0_E_clISt17integral_constantIbLb1EEST_IbLb0EEEEDaSP_SQ_EUlSP_E_NS1_11comp_targetILNS1_3genE5ELNS1_11target_archE942ELNS1_3gpuE9ELNS1_3repE0EEENS1_30default_config_static_selectorELNS0_4arch9wavefront6targetE1EEEvT1_
	.p2align	8
	.type	_ZN7rocprim17ROCPRIM_400000_NS6detail17trampoline_kernelINS0_14default_configENS1_20scan_config_selectorIxEEZZNS1_9scan_implILNS1_25lookback_scan_determinismE0ELb0ELb0ES3_N6thrust23THRUST_200600_302600_NS6detail15normal_iteratorINS9_10device_ptrIxEEEESE_xNS9_4plusIvEExEEDaPvRmT3_T4_T5_mT6_P12ihipStream_tbENKUlT_T0_E_clISt17integral_constantIbLb1EEST_IbLb0EEEEDaSP_SQ_EUlSP_E_NS1_11comp_targetILNS1_3genE5ELNS1_11target_archE942ELNS1_3gpuE9ELNS1_3repE0EEENS1_30default_config_static_selectorELNS0_4arch9wavefront6targetE1EEEvT1_,@function
_ZN7rocprim17ROCPRIM_400000_NS6detail17trampoline_kernelINS0_14default_configENS1_20scan_config_selectorIxEEZZNS1_9scan_implILNS1_25lookback_scan_determinismE0ELb0ELb0ES3_N6thrust23THRUST_200600_302600_NS6detail15normal_iteratorINS9_10device_ptrIxEEEESE_xNS9_4plusIvEExEEDaPvRmT3_T4_T5_mT6_P12ihipStream_tbENKUlT_T0_E_clISt17integral_constantIbLb1EEST_IbLb0EEEEDaSP_SQ_EUlSP_E_NS1_11comp_targetILNS1_3genE5ELNS1_11target_archE942ELNS1_3gpuE9ELNS1_3repE0EEENS1_30default_config_static_selectorELNS0_4arch9wavefront6targetE1EEEvT1_: ; @_ZN7rocprim17ROCPRIM_400000_NS6detail17trampoline_kernelINS0_14default_configENS1_20scan_config_selectorIxEEZZNS1_9scan_implILNS1_25lookback_scan_determinismE0ELb0ELb0ES3_N6thrust23THRUST_200600_302600_NS6detail15normal_iteratorINS9_10device_ptrIxEEEESE_xNS9_4plusIvEExEEDaPvRmT3_T4_T5_mT6_P12ihipStream_tbENKUlT_T0_E_clISt17integral_constantIbLb1EEST_IbLb0EEEEDaSP_SQ_EUlSP_E_NS1_11comp_targetILNS1_3genE5ELNS1_11target_archE942ELNS1_3gpuE9ELNS1_3repE0EEENS1_30default_config_static_selectorELNS0_4arch9wavefront6targetE1EEEvT1_
; %bb.0:
	.section	.rodata,"a",@progbits
	.p2align	6, 0x0
	.amdhsa_kernel _ZN7rocprim17ROCPRIM_400000_NS6detail17trampoline_kernelINS0_14default_configENS1_20scan_config_selectorIxEEZZNS1_9scan_implILNS1_25lookback_scan_determinismE0ELb0ELb0ES3_N6thrust23THRUST_200600_302600_NS6detail15normal_iteratorINS9_10device_ptrIxEEEESE_xNS9_4plusIvEExEEDaPvRmT3_T4_T5_mT6_P12ihipStream_tbENKUlT_T0_E_clISt17integral_constantIbLb1EEST_IbLb0EEEEDaSP_SQ_EUlSP_E_NS1_11comp_targetILNS1_3genE5ELNS1_11target_archE942ELNS1_3gpuE9ELNS1_3repE0EEENS1_30default_config_static_selectorELNS0_4arch9wavefront6targetE1EEEvT1_
		.amdhsa_group_segment_fixed_size 0
		.amdhsa_private_segment_fixed_size 0
		.amdhsa_kernarg_size 104
		.amdhsa_user_sgpr_count 6
		.amdhsa_user_sgpr_private_segment_buffer 1
		.amdhsa_user_sgpr_dispatch_ptr 0
		.amdhsa_user_sgpr_queue_ptr 0
		.amdhsa_user_sgpr_kernarg_segment_ptr 1
		.amdhsa_user_sgpr_dispatch_id 0
		.amdhsa_user_sgpr_flat_scratch_init 0
		.amdhsa_user_sgpr_kernarg_preload_length 0
		.amdhsa_user_sgpr_kernarg_preload_offset 0
		.amdhsa_user_sgpr_private_segment_size 0
		.amdhsa_uses_dynamic_stack 0
		.amdhsa_system_sgpr_private_segment_wavefront_offset 0
		.amdhsa_system_sgpr_workgroup_id_x 1
		.amdhsa_system_sgpr_workgroup_id_y 0
		.amdhsa_system_sgpr_workgroup_id_z 0
		.amdhsa_system_sgpr_workgroup_info 0
		.amdhsa_system_vgpr_workitem_id 0
		.amdhsa_next_free_vgpr 1
		.amdhsa_next_free_sgpr 0
		.amdhsa_accum_offset 4
		.amdhsa_reserve_vcc 0
		.amdhsa_reserve_flat_scratch 0
		.amdhsa_float_round_mode_32 0
		.amdhsa_float_round_mode_16_64 0
		.amdhsa_float_denorm_mode_32 3
		.amdhsa_float_denorm_mode_16_64 3
		.amdhsa_dx10_clamp 1
		.amdhsa_ieee_mode 1
		.amdhsa_fp16_overflow 0
		.amdhsa_tg_split 0
		.amdhsa_exception_fp_ieee_invalid_op 0
		.amdhsa_exception_fp_denorm_src 0
		.amdhsa_exception_fp_ieee_div_zero 0
		.amdhsa_exception_fp_ieee_overflow 0
		.amdhsa_exception_fp_ieee_underflow 0
		.amdhsa_exception_fp_ieee_inexact 0
		.amdhsa_exception_int_div_zero 0
	.end_amdhsa_kernel
	.section	.text._ZN7rocprim17ROCPRIM_400000_NS6detail17trampoline_kernelINS0_14default_configENS1_20scan_config_selectorIxEEZZNS1_9scan_implILNS1_25lookback_scan_determinismE0ELb0ELb0ES3_N6thrust23THRUST_200600_302600_NS6detail15normal_iteratorINS9_10device_ptrIxEEEESE_xNS9_4plusIvEExEEDaPvRmT3_T4_T5_mT6_P12ihipStream_tbENKUlT_T0_E_clISt17integral_constantIbLb1EEST_IbLb0EEEEDaSP_SQ_EUlSP_E_NS1_11comp_targetILNS1_3genE5ELNS1_11target_archE942ELNS1_3gpuE9ELNS1_3repE0EEENS1_30default_config_static_selectorELNS0_4arch9wavefront6targetE1EEEvT1_,"axG",@progbits,_ZN7rocprim17ROCPRIM_400000_NS6detail17trampoline_kernelINS0_14default_configENS1_20scan_config_selectorIxEEZZNS1_9scan_implILNS1_25lookback_scan_determinismE0ELb0ELb0ES3_N6thrust23THRUST_200600_302600_NS6detail15normal_iteratorINS9_10device_ptrIxEEEESE_xNS9_4plusIvEExEEDaPvRmT3_T4_T5_mT6_P12ihipStream_tbENKUlT_T0_E_clISt17integral_constantIbLb1EEST_IbLb0EEEEDaSP_SQ_EUlSP_E_NS1_11comp_targetILNS1_3genE5ELNS1_11target_archE942ELNS1_3gpuE9ELNS1_3repE0EEENS1_30default_config_static_selectorELNS0_4arch9wavefront6targetE1EEEvT1_,comdat
.Lfunc_end51:
	.size	_ZN7rocprim17ROCPRIM_400000_NS6detail17trampoline_kernelINS0_14default_configENS1_20scan_config_selectorIxEEZZNS1_9scan_implILNS1_25lookback_scan_determinismE0ELb0ELb0ES3_N6thrust23THRUST_200600_302600_NS6detail15normal_iteratorINS9_10device_ptrIxEEEESE_xNS9_4plusIvEExEEDaPvRmT3_T4_T5_mT6_P12ihipStream_tbENKUlT_T0_E_clISt17integral_constantIbLb1EEST_IbLb0EEEEDaSP_SQ_EUlSP_E_NS1_11comp_targetILNS1_3genE5ELNS1_11target_archE942ELNS1_3gpuE9ELNS1_3repE0EEENS1_30default_config_static_selectorELNS0_4arch9wavefront6targetE1EEEvT1_, .Lfunc_end51-_ZN7rocprim17ROCPRIM_400000_NS6detail17trampoline_kernelINS0_14default_configENS1_20scan_config_selectorIxEEZZNS1_9scan_implILNS1_25lookback_scan_determinismE0ELb0ELb0ES3_N6thrust23THRUST_200600_302600_NS6detail15normal_iteratorINS9_10device_ptrIxEEEESE_xNS9_4plusIvEExEEDaPvRmT3_T4_T5_mT6_P12ihipStream_tbENKUlT_T0_E_clISt17integral_constantIbLb1EEST_IbLb0EEEEDaSP_SQ_EUlSP_E_NS1_11comp_targetILNS1_3genE5ELNS1_11target_archE942ELNS1_3gpuE9ELNS1_3repE0EEENS1_30default_config_static_selectorELNS0_4arch9wavefront6targetE1EEEvT1_
                                        ; -- End function
	.section	.AMDGPU.csdata,"",@progbits
; Kernel info:
; codeLenInByte = 0
; NumSgprs: 4
; NumVgprs: 0
; NumAgprs: 0
; TotalNumVgprs: 0
; ScratchSize: 0
; MemoryBound: 0
; FloatMode: 240
; IeeeMode: 1
; LDSByteSize: 0 bytes/workgroup (compile time only)
; SGPRBlocks: 0
; VGPRBlocks: 0
; NumSGPRsForWavesPerEU: 4
; NumVGPRsForWavesPerEU: 1
; AccumOffset: 4
; Occupancy: 8
; WaveLimiterHint : 0
; COMPUTE_PGM_RSRC2:SCRATCH_EN: 0
; COMPUTE_PGM_RSRC2:USER_SGPR: 6
; COMPUTE_PGM_RSRC2:TRAP_HANDLER: 0
; COMPUTE_PGM_RSRC2:TGID_X_EN: 1
; COMPUTE_PGM_RSRC2:TGID_Y_EN: 0
; COMPUTE_PGM_RSRC2:TGID_Z_EN: 0
; COMPUTE_PGM_RSRC2:TIDIG_COMP_CNT: 0
; COMPUTE_PGM_RSRC3_GFX90A:ACCUM_OFFSET: 0
; COMPUTE_PGM_RSRC3_GFX90A:TG_SPLIT: 0
	.section	.text._ZN7rocprim17ROCPRIM_400000_NS6detail17trampoline_kernelINS0_14default_configENS1_20scan_config_selectorIxEEZZNS1_9scan_implILNS1_25lookback_scan_determinismE0ELb0ELb0ES3_N6thrust23THRUST_200600_302600_NS6detail15normal_iteratorINS9_10device_ptrIxEEEESE_xNS9_4plusIvEExEEDaPvRmT3_T4_T5_mT6_P12ihipStream_tbENKUlT_T0_E_clISt17integral_constantIbLb1EEST_IbLb0EEEEDaSP_SQ_EUlSP_E_NS1_11comp_targetILNS1_3genE4ELNS1_11target_archE910ELNS1_3gpuE8ELNS1_3repE0EEENS1_30default_config_static_selectorELNS0_4arch9wavefront6targetE1EEEvT1_,"axG",@progbits,_ZN7rocprim17ROCPRIM_400000_NS6detail17trampoline_kernelINS0_14default_configENS1_20scan_config_selectorIxEEZZNS1_9scan_implILNS1_25lookback_scan_determinismE0ELb0ELb0ES3_N6thrust23THRUST_200600_302600_NS6detail15normal_iteratorINS9_10device_ptrIxEEEESE_xNS9_4plusIvEExEEDaPvRmT3_T4_T5_mT6_P12ihipStream_tbENKUlT_T0_E_clISt17integral_constantIbLb1EEST_IbLb0EEEEDaSP_SQ_EUlSP_E_NS1_11comp_targetILNS1_3genE4ELNS1_11target_archE910ELNS1_3gpuE8ELNS1_3repE0EEENS1_30default_config_static_selectorELNS0_4arch9wavefront6targetE1EEEvT1_,comdat
	.protected	_ZN7rocprim17ROCPRIM_400000_NS6detail17trampoline_kernelINS0_14default_configENS1_20scan_config_selectorIxEEZZNS1_9scan_implILNS1_25lookback_scan_determinismE0ELb0ELb0ES3_N6thrust23THRUST_200600_302600_NS6detail15normal_iteratorINS9_10device_ptrIxEEEESE_xNS9_4plusIvEExEEDaPvRmT3_T4_T5_mT6_P12ihipStream_tbENKUlT_T0_E_clISt17integral_constantIbLb1EEST_IbLb0EEEEDaSP_SQ_EUlSP_E_NS1_11comp_targetILNS1_3genE4ELNS1_11target_archE910ELNS1_3gpuE8ELNS1_3repE0EEENS1_30default_config_static_selectorELNS0_4arch9wavefront6targetE1EEEvT1_ ; -- Begin function _ZN7rocprim17ROCPRIM_400000_NS6detail17trampoline_kernelINS0_14default_configENS1_20scan_config_selectorIxEEZZNS1_9scan_implILNS1_25lookback_scan_determinismE0ELb0ELb0ES3_N6thrust23THRUST_200600_302600_NS6detail15normal_iteratorINS9_10device_ptrIxEEEESE_xNS9_4plusIvEExEEDaPvRmT3_T4_T5_mT6_P12ihipStream_tbENKUlT_T0_E_clISt17integral_constantIbLb1EEST_IbLb0EEEEDaSP_SQ_EUlSP_E_NS1_11comp_targetILNS1_3genE4ELNS1_11target_archE910ELNS1_3gpuE8ELNS1_3repE0EEENS1_30default_config_static_selectorELNS0_4arch9wavefront6targetE1EEEvT1_
	.globl	_ZN7rocprim17ROCPRIM_400000_NS6detail17trampoline_kernelINS0_14default_configENS1_20scan_config_selectorIxEEZZNS1_9scan_implILNS1_25lookback_scan_determinismE0ELb0ELb0ES3_N6thrust23THRUST_200600_302600_NS6detail15normal_iteratorINS9_10device_ptrIxEEEESE_xNS9_4plusIvEExEEDaPvRmT3_T4_T5_mT6_P12ihipStream_tbENKUlT_T0_E_clISt17integral_constantIbLb1EEST_IbLb0EEEEDaSP_SQ_EUlSP_E_NS1_11comp_targetILNS1_3genE4ELNS1_11target_archE910ELNS1_3gpuE8ELNS1_3repE0EEENS1_30default_config_static_selectorELNS0_4arch9wavefront6targetE1EEEvT1_
	.p2align	8
	.type	_ZN7rocprim17ROCPRIM_400000_NS6detail17trampoline_kernelINS0_14default_configENS1_20scan_config_selectorIxEEZZNS1_9scan_implILNS1_25lookback_scan_determinismE0ELb0ELb0ES3_N6thrust23THRUST_200600_302600_NS6detail15normal_iteratorINS9_10device_ptrIxEEEESE_xNS9_4plusIvEExEEDaPvRmT3_T4_T5_mT6_P12ihipStream_tbENKUlT_T0_E_clISt17integral_constantIbLb1EEST_IbLb0EEEEDaSP_SQ_EUlSP_E_NS1_11comp_targetILNS1_3genE4ELNS1_11target_archE910ELNS1_3gpuE8ELNS1_3repE0EEENS1_30default_config_static_selectorELNS0_4arch9wavefront6targetE1EEEvT1_,@function
_ZN7rocprim17ROCPRIM_400000_NS6detail17trampoline_kernelINS0_14default_configENS1_20scan_config_selectorIxEEZZNS1_9scan_implILNS1_25lookback_scan_determinismE0ELb0ELb0ES3_N6thrust23THRUST_200600_302600_NS6detail15normal_iteratorINS9_10device_ptrIxEEEESE_xNS9_4plusIvEExEEDaPvRmT3_T4_T5_mT6_P12ihipStream_tbENKUlT_T0_E_clISt17integral_constantIbLb1EEST_IbLb0EEEEDaSP_SQ_EUlSP_E_NS1_11comp_targetILNS1_3genE4ELNS1_11target_archE910ELNS1_3gpuE8ELNS1_3repE0EEENS1_30default_config_static_selectorELNS0_4arch9wavefront6targetE1EEEvT1_: ; @_ZN7rocprim17ROCPRIM_400000_NS6detail17trampoline_kernelINS0_14default_configENS1_20scan_config_selectorIxEEZZNS1_9scan_implILNS1_25lookback_scan_determinismE0ELb0ELb0ES3_N6thrust23THRUST_200600_302600_NS6detail15normal_iteratorINS9_10device_ptrIxEEEESE_xNS9_4plusIvEExEEDaPvRmT3_T4_T5_mT6_P12ihipStream_tbENKUlT_T0_E_clISt17integral_constantIbLb1EEST_IbLb0EEEEDaSP_SQ_EUlSP_E_NS1_11comp_targetILNS1_3genE4ELNS1_11target_archE910ELNS1_3gpuE8ELNS1_3repE0EEENS1_30default_config_static_selectorELNS0_4arch9wavefront6targetE1EEEvT1_
; %bb.0:
	s_load_dwordx8 s[8:15], s[4:5], 0x0
	s_load_dword s1, s[4:5], 0x38
	s_mul_i32 s0, s6, 0x380
	v_lshlrev_b32_e32 v36, 3, v0
	s_waitcnt lgkmcnt(0)
	s_lshl_b64 s[16:17], s[10:11], 3
	s_add_u32 s2, s8, s16
	s_addc_u32 s3, s9, s17
	s_add_i32 s7, s1, -1
	s_mul_i32 s8, s7, 0x380
	s_sub_u32 s24, s14, s8
	s_subb_u32 s25, s15, 0
	s_mov_b32 s1, 0
	s_cmp_lg_u32 s6, s7
	s_cselect_b64 s[14:15], -1, 0
	s_lshl_b64 s[18:19], s[0:1], 3
	s_add_u32 s2, s2, s18
	s_addc_u32 s3, s3, s19
	s_mov_b64 s[0:1], -1
	s_and_b64 vcc, exec, s[14:15]
	s_cbranch_vccz .LBB52_2
; %bb.1:
	v_mov_b32_e32 v1, s3
	v_add_co_u32_e32 v2, vcc, s2, v36
	v_addc_co_u32_e32 v3, vcc, 0, v1, vcc
	flat_load_dwordx2 v[4:5], v[2:3]
	flat_load_dwordx2 v[6:7], v[2:3] offset:1024
	flat_load_dwordx2 v[8:9], v[2:3] offset:2048
	;; [unrolled: 1-line block ×3, first 2 shown]
	v_add_co_u32_e32 v2, vcc, 0x1000, v2
	v_addc_co_u32_e32 v3, vcc, 0, v3, vcc
	flat_load_dwordx2 v[12:13], v[2:3]
	flat_load_dwordx2 v[14:15], v[2:3] offset:1024
	flat_load_dwordx2 v[16:17], v[2:3] offset:2048
	s_mov_b64 s[0:1], 0
	s_waitcnt vmcnt(0) lgkmcnt(0)
	ds_write2st64_b64 v36, v[4:5], v[6:7] offset1:2
	ds_write2st64_b64 v36, v[8:9], v[10:11] offset0:4 offset1:6
	ds_write2st64_b64 v36, v[12:13], v[14:15] offset0:8 offset1:10
	ds_write_b64 v36, v[16:17] offset:6144
	s_waitcnt lgkmcnt(0)
	s_barrier
.LBB52_2:
	s_load_dwordx2 s[20:21], s[4:5], 0x30
	s_andn2_b64 vcc, exec, s[0:1]
	v_cmp_gt_u32_e64 s[0:1], s24, v0
	s_cbranch_vccnz .LBB52_18
; %bb.3:
	v_pk_mov_b32 v[2:3], s[2:3], s[2:3] op_sel:[0,1]
	flat_load_dwordx2 v[2:3], v[2:3]
	s_waitcnt vmcnt(0) lgkmcnt(0)
	v_mov_b32_e32 v4, v2
	v_mov_b32_e32 v5, v3
	;; [unrolled: 1-line block ×10, first 2 shown]
	v_pk_mov_b32 v[18:19], v[14:15], v[14:15] op_sel:[0,1]
	v_pk_mov_b32 v[16:17], v[12:13], v[12:13] op_sel:[0,1]
	;; [unrolled: 1-line block ×8, first 2 shown]
	s_and_saveexec_b64 s[8:9], s[0:1]
	s_cbranch_execz .LBB52_5
; %bb.4:
	v_mov_b32_e32 v1, s3
	v_add_co_u32_e32 v4, vcc, s2, v36
	v_addc_co_u32_e32 v5, vcc, 0, v1, vcc
	flat_load_dwordx2 v[20:21], v[4:5]
	v_mov_b32_e32 v4, v2
	v_mov_b32_e32 v5, v3
	;; [unrolled: 1-line block ×10, first 2 shown]
	v_pk_mov_b32 v[18:19], v[14:15], v[14:15] op_sel:[0,1]
	v_pk_mov_b32 v[16:17], v[12:13], v[12:13] op_sel:[0,1]
	;; [unrolled: 1-line block ×8, first 2 shown]
	s_waitcnt vmcnt(0) lgkmcnt(0)
	v_pk_mov_b32 v[2:3], v[20:21], v[20:21] op_sel:[0,1]
.LBB52_5:
	s_or_b64 exec, exec, s[8:9]
	v_or_b32_e32 v1, 0x80, v0
	v_cmp_gt_u32_e32 vcc, s24, v1
	s_and_saveexec_b64 s[0:1], vcc
	s_cbranch_execz .LBB52_7
; %bb.6:
	v_mov_b32_e32 v1, s3
	v_add_co_u32_e32 v4, vcc, s2, v36
	v_addc_co_u32_e32 v5, vcc, 0, v1, vcc
	flat_load_dwordx2 v[6:7], v[4:5] offset:1024
.LBB52_7:
	s_or_b64 exec, exec, s[0:1]
	v_or_b32_e32 v1, 0x100, v0
	v_cmp_gt_u32_e32 vcc, s24, v1
	s_and_saveexec_b64 s[0:1], vcc
	s_cbranch_execz .LBB52_9
; %bb.8:
	v_mov_b32_e32 v1, s3
	v_add_co_u32_e32 v4, vcc, s2, v36
	v_addc_co_u32_e32 v5, vcc, 0, v1, vcc
	flat_load_dwordx2 v[8:9], v[4:5] offset:2048
.LBB52_9:
	;; [unrolled: 11-line block ×3, first 2 shown]
	s_or_b64 exec, exec, s[0:1]
	v_or_b32_e32 v1, 0x200, v0
	v_cmp_gt_u32_e32 vcc, s24, v1
	s_and_saveexec_b64 s[0:1], vcc
	s_cbranch_execz .LBB52_13
; %bb.12:
	v_lshlrev_b32_e32 v1, 3, v1
	v_mov_b32_e32 v5, s3
	v_add_co_u32_e32 v4, vcc, s2, v1
	v_addc_co_u32_e32 v5, vcc, 0, v5, vcc
	flat_load_dwordx2 v[12:13], v[4:5]
.LBB52_13:
	s_or_b64 exec, exec, s[0:1]
	v_or_b32_e32 v1, 0x280, v0
	v_cmp_gt_u32_e32 vcc, s24, v1
	s_and_saveexec_b64 s[0:1], vcc
	s_cbranch_execz .LBB52_15
; %bb.14:
	v_lshlrev_b32_e32 v1, 3, v1
	v_mov_b32_e32 v5, s3
	v_add_co_u32_e32 v4, vcc, s2, v1
	v_addc_co_u32_e32 v5, vcc, 0, v5, vcc
	flat_load_dwordx2 v[14:15], v[4:5]
.LBB52_15:
	;; [unrolled: 12-line block ×3, first 2 shown]
	s_or_b64 exec, exec, s[0:1]
	s_waitcnt vmcnt(0) lgkmcnt(0)
	ds_write2st64_b64 v36, v[2:3], v[6:7] offset1:2
	ds_write2st64_b64 v36, v[8:9], v[10:11] offset0:4 offset1:6
	ds_write2st64_b64 v36, v[12:13], v[14:15] offset0:8 offset1:10
	ds_write_b64 v36, v[16:17] offset:6144
	s_waitcnt lgkmcnt(0)
	s_barrier
.LBB52_18:
	v_mul_u32_u24_e32 v37, 7, v0
	v_lshlrev_b32_e32 v1, 3, v37
	s_waitcnt lgkmcnt(0)
	ds_read2_b64 v[2:5], v1 offset1:1
	ds_read2_b64 v[10:13], v1 offset0:2 offset1:3
	ds_read2_b64 v[6:9], v1 offset0:4 offset1:5
	ds_read_b64 v[28:29], v1 offset:48
	s_cmp_lg_u32 s6, 0
	v_lshrrev_b32_e32 v38, 5, v0
	v_cmp_gt_u32_e32 vcc, 64, v0
	s_waitcnt lgkmcnt(0)
	s_barrier
	s_cbranch_scc0 .LBB52_49
; %bb.19:
	v_add_co_u32_e64 v1, s[0:1], v4, v2
	v_addc_co_u32_e64 v14, s[0:1], v5, v3, s[0:1]
	v_add_co_u32_e64 v1, s[0:1], v1, v10
	v_addc_co_u32_e64 v14, s[0:1], v14, v11, s[0:1]
	v_add_co_u32_e64 v1, s[0:1], v1, v12
	v_addc_co_u32_e64 v14, s[0:1], v14, v13, s[0:1]
	v_add_co_u32_e64 v1, s[0:1], v1, v6
	v_addc_co_u32_e64 v14, s[0:1], v14, v7, s[0:1]
	v_add_co_u32_e64 v1, s[0:1], v1, v8
	v_addc_co_u32_e64 v14, s[0:1], v14, v9, s[0:1]
	v_add_co_u32_e64 v18, s[0:1], v1, v28
	v_addc_co_u32_e64 v19, s[0:1], v14, v29, s[0:1]
	v_add_lshl_u32 v1, v38, v0, 3
	ds_write_b64 v1, v[18:19]
	s_waitcnt lgkmcnt(0)
	s_barrier
	s_and_saveexec_b64 s[8:9], vcc
	s_cbranch_execz .LBB52_23
; %bb.20:
	v_lshlrev_b32_e32 v1, 1, v0
	v_lshrrev_b32_e32 v14, 4, v0
	v_add_lshl_u32 v20, v14, v1, 3
	ds_read2_b64 v[14:17], v20 offset1:1
	v_mbcnt_lo_u32_b32 v1, -1, 0
	s_waitcnt lgkmcnt(0)
	v_add_co_u32_e64 v21, s[0:1], v16, v14
	v_addc_co_u32_e64 v22, s[0:1], v17, v15, s[0:1]
	s_nop 0
	v_mov_b32_dpp v16, v21 row_shr:1 row_mask:0xf bank_mask:0xf
	v_add_co_u32_e64 v16, s[0:1], v21, v16
	v_addc_co_u32_e64 v24, s[0:1], 0, v22, s[0:1]
	v_mbcnt_hi_u32_b32 v17, -1, v1
	v_mov_b32_dpp v23, v22 row_shr:1 row_mask:0xf bank_mask:0xf
	v_add_co_u32_e64 v25, s[0:1], 0, v16
	v_and_b32_e32 v1, 15, v17
	v_addc_co_u32_e64 v23, s[0:1], v23, v24, s[0:1]
	v_cmp_eq_u32_e64 s[0:1], 0, v1
	v_cndmask_b32_e64 v16, v16, v21, s[0:1]
	v_cndmask_b32_e64 v23, v23, v22, s[0:1]
	v_cndmask_b32_e64 v24, v25, v21, s[0:1]
	v_mov_b32_dpp v25, v16 row_shr:2 row_mask:0xf bank_mask:0xf
	v_mov_b32_dpp v26, v23 row_shr:2 row_mask:0xf bank_mask:0xf
	v_add_co_u32_e64 v25, s[0:1], v25, v24
	v_addc_co_u32_e64 v26, s[0:1], v26, v23, s[0:1]
	v_cmp_lt_u32_e64 s[0:1], 1, v1
	v_cndmask_b32_e64 v16, v16, v25, s[0:1]
	v_cndmask_b32_e64 v23, v23, v26, s[0:1]
	v_cndmask_b32_e64 v24, v24, v25, s[0:1]
	v_mov_b32_dpp v25, v16 row_shr:4 row_mask:0xf bank_mask:0xf
	v_mov_b32_dpp v26, v23 row_shr:4 row_mask:0xf bank_mask:0xf
	v_add_co_u32_e64 v25, s[0:1], v25, v24
	v_addc_co_u32_e64 v26, s[0:1], v26, v23, s[0:1]
	v_cmp_lt_u32_e64 s[0:1], 3, v1
	;; [unrolled: 8-line block ×3, first 2 shown]
	v_cndmask_b32_e64 v27, v16, v25, s[0:1]
	v_cndmask_b32_e64 v1, v23, v26, s[0:1]
	;; [unrolled: 1-line block ×3, first 2 shown]
	v_mov_b32_dpp v23, v27 row_bcast:15 row_mask:0xf bank_mask:0xf
	v_mov_b32_dpp v24, v1 row_bcast:15 row_mask:0xf bank_mask:0xf
	v_add_co_u32_e64 v23, s[0:1], v23, v16
	v_and_b32_e32 v26, 16, v17
	v_addc_co_u32_e64 v25, s[0:1], v24, v1, s[0:1]
	v_cmp_eq_u32_e64 s[0:1], 0, v26
	v_cndmask_b32_e64 v26, v25, v1, s[0:1]
	v_cndmask_b32_e64 v24, v23, v27, s[0:1]
	v_cmp_ne_u32_e64 s[2:3], 0, v17
	v_mov_b32_dpp v26, v26 row_bcast:31 row_mask:0xf bank_mask:0xf
	v_mov_b32_dpp v24, v24 row_bcast:31 row_mask:0xf bank_mask:0xf
	s_and_saveexec_b64 s[10:11], s[2:3]
; %bb.21:
	v_cndmask_b32_e64 v1, v25, v1, s[0:1]
	v_cndmask_b32_e64 v16, v23, v16, s[0:1]
	v_cmp_lt_u32_e64 s[0:1], 31, v17
	v_cndmask_b32_e64 v21, 0, v24, s[0:1]
	v_cndmask_b32_e64 v22, 0, v26, s[0:1]
	v_add_co_u32_e64 v21, s[0:1], v21, v16
	v_addc_co_u32_e64 v22, s[0:1], v22, v1, s[0:1]
; %bb.22:
	s_or_b64 exec, exec, s[10:11]
	v_add_u32_e32 v1, -1, v17
	v_and_b32_e32 v16, 64, v17
	v_cmp_lt_i32_e64 s[0:1], v1, v16
	v_cndmask_b32_e64 v1, v1, v17, s[0:1]
	v_lshlrev_b32_e32 v1, 2, v1
	ds_bpermute_b32 v16, v1, v21
	ds_bpermute_b32 v1, v1, v22
	; wave barrier
	s_waitcnt lgkmcnt(1)
	v_add_co_u32_e64 v14, s[0:1], v14, v16
	v_addc_co_u32_e64 v15, s[0:1], 0, v15, s[0:1]
	v_add_co_u32_e64 v14, s[0:1], 0, v14
	s_waitcnt lgkmcnt(0)
	v_addc_co_u32_e64 v1, s[0:1], v15, v1, s[0:1]
	v_cmp_eq_u32_e64 s[0:1], 0, v0
	v_cndmask_b32_e64 v15, v1, v19, s[0:1]
	v_cndmask_b32_e64 v14, v14, v18, s[0:1]
	ds_write_b64 v20, v[14:15]
	; wave barrier
	ds_read_b64 v[16:17], v20 offset:8
	s_waitcnt lgkmcnt(0)
	v_add_co_u32_e64 v14, s[0:1], v16, v14
	v_addc_co_u32_e64 v15, s[0:1], v17, v15, s[0:1]
	ds_write_b64 v20, v[14:15] offset:8
.LBB52_23:
	s_or_b64 exec, exec, s[8:9]
	v_cmp_eq_u32_e64 s[0:1], 0, v0
	v_cmp_ne_u32_e64 s[2:3], 0, v0
	v_pk_mov_b32 v[22:23], 0, 0
	s_waitcnt lgkmcnt(0)
	s_barrier
	s_and_saveexec_b64 s[8:9], s[2:3]
	s_cbranch_execz .LBB52_25
; %bb.24:
	v_add_u32_e32 v1, -1, v0
	v_lshrrev_b32_e32 v14, 5, v1
	v_add_lshl_u32 v1, v14, v1, 3
	ds_read_b64 v[22:23], v1
.LBB52_25:
	s_or_b64 exec, exec, s[8:9]
	s_and_saveexec_b64 s[22:23], vcc
	s_cbranch_execz .LBB52_48
; %bb.26:
	v_mov_b32_e32 v17, 0
	ds_read_b64 v[14:15], v17 offset:1040
	v_mbcnt_lo_u32_b32 v1, -1, 0
	v_mbcnt_hi_u32_b32 v30, -1, v1
	s_mov_b32 s11, 0
	v_cmp_eq_u32_e64 s[2:3], 0, v30
	s_and_saveexec_b64 s[8:9], s[2:3]
	s_cbranch_execz .LBB52_28
; %bb.27:
	s_add_i32 s10, s6, 64
	s_lshl_b64 s[10:11], s[10:11], 4
	s_add_u32 s10, s20, s10
	s_addc_u32 s11, s21, s11
	v_mov_b32_e32 v16, 1
	v_pk_mov_b32 v[18:19], s[10:11], s[10:11] op_sel:[0,1]
	s_waitcnt lgkmcnt(0)
	;;#ASMSTART
	global_store_dwordx4 v[18:19], v[14:17] off	
s_waitcnt vmcnt(0)
	;;#ASMEND
.LBB52_28:
	s_or_b64 exec, exec, s[8:9]
	v_xad_u32 v24, v30, -1, s6
	v_add_u32_e32 v16, 64, v24
	v_lshlrev_b64 v[18:19], 4, v[16:17]
	v_mov_b32_e32 v1, s21
	v_add_co_u32_e32 v26, vcc, s20, v18
	v_addc_co_u32_e32 v27, vcc, v1, v19, vcc
	;;#ASMSTART
	global_load_dwordx4 v[18:21], v[26:27] off glc	
s_waitcnt vmcnt(0)
	;;#ASMEND
	v_and_b32_e32 v1, 0xff, v19
	v_and_b32_e32 v16, 0xff00, v19
	v_or3_b32 v1, 0, v1, v16
	v_or3_b32 v16, v18, 0, 0
	v_and_b32_e32 v18, 0xff000000, v19
	v_and_b32_e32 v19, 0xff0000, v19
	v_or3_b32 v19, v1, v19, v18
	v_or3_b32 v18, v16, 0, 0
	v_cmp_eq_u16_sdwa s[10:11], v20, v17 src0_sel:BYTE_0 src1_sel:DWORD
	s_and_saveexec_b64 s[8:9], s[10:11]
	s_cbranch_execz .LBB52_34
; %bb.29:
	s_mov_b32 s7, 1
	s_mov_b64 s[10:11], 0
	v_mov_b32_e32 v1, 0
.LBB52_30:                              ; =>This Loop Header: Depth=1
                                        ;     Child Loop BB52_31 Depth 2
	s_max_u32 s26, s7, 1
.LBB52_31:                              ;   Parent Loop BB52_30 Depth=1
                                        ; =>  This Inner Loop Header: Depth=2
	s_add_i32 s26, s26, -1
	s_cmp_eq_u32 s26, 0
	s_sleep 1
	s_cbranch_scc0 .LBB52_31
; %bb.32:                               ;   in Loop: Header=BB52_30 Depth=1
	s_cmp_lt_u32 s7, 32
	s_cselect_b64 s[26:27], -1, 0
	s_cmp_lg_u64 s[26:27], 0
	s_addc_u32 s7, s7, 0
	;;#ASMSTART
	global_load_dwordx4 v[18:21], v[26:27] off glc	
s_waitcnt vmcnt(0)
	;;#ASMEND
	v_cmp_ne_u16_sdwa s[26:27], v20, v1 src0_sel:BYTE_0 src1_sel:DWORD
	s_or_b64 s[10:11], s[26:27], s[10:11]
	s_andn2_b64 exec, exec, s[10:11]
	s_cbranch_execnz .LBB52_30
; %bb.33:
	s_or_b64 exec, exec, s[10:11]
.LBB52_34:
	s_or_b64 exec, exec, s[8:9]
	v_and_b32_e32 v32, 63, v30
	v_cmp_ne_u32_e32 vcc, 63, v32
	v_addc_co_u32_e32 v26, vcc, 0, v30, vcc
	v_lshlrev_b32_e32 v33, 2, v26
	ds_bpermute_b32 v26, v33, v18
	v_mov_b32_e32 v1, 2
	v_cmp_eq_u16_sdwa s[8:9], v20, v1 src0_sel:BYTE_0 src1_sel:DWORD
	v_lshlrev_b64 v[16:17], v30, -1
	ds_bpermute_b32 v27, v33, v19
	v_and_b32_e32 v21, s9, v17
	v_or_b32_e32 v21, 0x80000000, v21
	s_waitcnt lgkmcnt(1)
	v_add_co_u32_e32 v26, vcc, v18, v26
	v_and_b32_e32 v25, s8, v16
	v_ffbl_b32_e32 v21, v21
	v_addc_co_u32_e32 v31, vcc, 0, v19, vcc
	v_add_u32_e32 v21, 32, v21
	v_ffbl_b32_e32 v25, v25
	v_add_co_u32_e32 v35, vcc, 0, v26
	v_cmp_gt_u32_e64 s[8:9], 62, v32
	v_min_u32_e32 v21, v25, v21
	s_waitcnt lgkmcnt(0)
	v_addc_co_u32_e32 v27, vcc, v27, v31, vcc
	v_cndmask_b32_e64 v31, 0, 1, s[8:9]
	v_cmp_lt_u32_e32 vcc, v32, v21
	v_lshlrev_b32_e32 v31, 1, v31
	v_cndmask_b32_e32 v26, v18, v26, vcc
	v_add_lshl_u32 v34, v31, v30, 2
	v_cndmask_b32_e32 v27, v19, v27, vcc
	ds_bpermute_b32 v31, v34, v26
	ds_bpermute_b32 v39, v34, v27
	v_cndmask_b32_e32 v40, v18, v35, vcc
	v_add_u32_e32 v35, 2, v32
	v_cmp_gt_u32_e64 s[10:11], 60, v32
	s_waitcnt lgkmcnt(1)
	v_add_co_u32_e64 v31, s[8:9], v31, v40
	s_waitcnt lgkmcnt(0)
	v_addc_co_u32_e64 v39, s[8:9], v39, v27, s[8:9]
	v_cmp_gt_u32_e64 s[8:9], v35, v21
	v_cndmask_b32_e64 v27, v39, v27, s[8:9]
	v_cndmask_b32_e64 v39, 0, 1, s[10:11]
	v_lshlrev_b32_e32 v39, 2, v39
	v_cndmask_b32_e64 v26, v31, v26, s[8:9]
	v_add_lshl_u32 v39, v39, v30, 2
	ds_bpermute_b32 v41, v39, v26
	ds_bpermute_b32 v42, v39, v27
	v_cndmask_b32_e64 v31, v31, v40, s[8:9]
	v_add_u32_e32 v40, 4, v32
	v_cmp_gt_u32_e64 s[10:11], 56, v32
	s_waitcnt lgkmcnt(1)
	v_add_co_u32_e64 v43, s[8:9], v41, v31
	s_waitcnt lgkmcnt(0)
	v_addc_co_u32_e64 v41, s[8:9], v42, v27, s[8:9]
	v_cmp_gt_u32_e64 s[8:9], v40, v21
	v_cndmask_b32_e64 v27, v41, v27, s[8:9]
	v_cndmask_b32_e64 v41, 0, 1, s[10:11]
	v_lshlrev_b32_e32 v41, 3, v41
	v_cndmask_b32_e64 v26, v43, v26, s[8:9]
	v_add_lshl_u32 v41, v41, v30, 2
	ds_bpermute_b32 v44, v41, v26
	v_cndmask_b32_e64 v31, v43, v31, s[8:9]
	ds_bpermute_b32 v43, v41, v27
	v_add_u32_e32 v42, 8, v32
	v_cmp_gt_u32_e64 s[10:11], 48, v32
	s_waitcnt lgkmcnt(1)
	v_add_co_u32_e64 v44, s[8:9], v44, v31
	s_waitcnt lgkmcnt(0)
	v_addc_co_u32_e64 v43, s[8:9], v43, v27, s[8:9]
	v_cmp_gt_u32_e64 s[8:9], v42, v21
	v_cndmask_b32_e64 v27, v43, v27, s[8:9]
	v_cndmask_b32_e64 v43, 0, 1, s[10:11]
	v_lshlrev_b32_e32 v43, 4, v43
	v_cndmask_b32_e64 v26, v44, v26, s[8:9]
	v_add_lshl_u32 v43, v43, v30, 2
	ds_bpermute_b32 v45, v43, v26
	ds_bpermute_b32 v46, v43, v27
	v_cndmask_b32_e64 v31, v44, v31, s[8:9]
	v_cmp_gt_u32_e64 s[10:11], 32, v32
	v_add_u32_e32 v44, 16, v32
	s_waitcnt lgkmcnt(1)
	v_add_co_u32_e64 v47, s[8:9], v45, v31
	s_waitcnt lgkmcnt(0)
	v_addc_co_u32_e64 v46, s[8:9], v46, v27, s[8:9]
	v_cndmask_b32_e64 v45, 0, 1, s[10:11]
	v_cmp_gt_u32_e64 s[8:9], v44, v21
	v_lshlrev_b32_e32 v45, 5, v45
	v_cndmask_b32_e64 v26, v47, v26, s[8:9]
	v_add_lshl_u32 v45, v45, v30, 2
	v_cndmask_b32_e64 v27, v46, v27, s[8:9]
	ds_bpermute_b32 v26, v45, v26
	ds_bpermute_b32 v30, v45, v27
	v_add_u32_e32 v46, 32, v32
	v_cndmask_b32_e64 v31, v47, v31, s[8:9]
	v_cmp_le_u32_e64 s[8:9], v46, v21
	s_waitcnt lgkmcnt(1)
	v_cndmask_b32_e64 v26, 0, v26, s[8:9]
	s_waitcnt lgkmcnt(0)
	v_cndmask_b32_e64 v21, 0, v30, s[8:9]
	v_add_co_u32_e64 v26, s[8:9], v26, v31
	v_addc_co_u32_e64 v21, s[8:9], v21, v27, s[8:9]
	v_mov_b32_e32 v25, 0
	v_cndmask_b32_e32 v19, v19, v21, vcc
	v_cndmask_b32_e32 v18, v18, v26, vcc
	s_branch .LBB52_36
.LBB52_35:                              ;   in Loop: Header=BB52_36 Depth=1
	s_or_b64 exec, exec, s[8:9]
	v_cmp_eq_u16_sdwa s[8:9], v20, v1 src0_sel:BYTE_0 src1_sel:DWORD
	v_and_b32_e32 v21, s9, v17
	v_or_b32_e32 v21, 0x80000000, v21
	ds_bpermute_b32 v31, v33, v18
	v_and_b32_e32 v30, s8, v16
	v_ffbl_b32_e32 v21, v21
	v_add_u32_e32 v21, 32, v21
	v_ffbl_b32_e32 v30, v30
	v_min_u32_e32 v21, v30, v21
	ds_bpermute_b32 v30, v33, v19
	s_waitcnt lgkmcnt(1)
	v_add_co_u32_e32 v31, vcc, v18, v31
	v_addc_co_u32_e32 v47, vcc, 0, v19, vcc
	v_add_co_u32_e32 v48, vcc, 0, v31
	s_waitcnt lgkmcnt(0)
	v_addc_co_u32_e32 v30, vcc, v30, v47, vcc
	v_cmp_lt_u32_e32 vcc, v32, v21
	v_cndmask_b32_e32 v31, v18, v31, vcc
	ds_bpermute_b32 v47, v34, v31
	v_cndmask_b32_e32 v30, v19, v30, vcc
	ds_bpermute_b32 v49, v34, v30
	v_cndmask_b32_e32 v48, v18, v48, vcc
	v_subrev_u32_e32 v24, 64, v24
	s_waitcnt lgkmcnt(1)
	v_add_co_u32_e64 v47, s[8:9], v47, v48
	s_waitcnt lgkmcnt(0)
	v_addc_co_u32_e64 v49, s[8:9], v49, v30, s[8:9]
	v_cmp_gt_u32_e64 s[8:9], v35, v21
	v_cndmask_b32_e64 v31, v47, v31, s[8:9]
	ds_bpermute_b32 v50, v39, v31
	v_cndmask_b32_e64 v30, v49, v30, s[8:9]
	ds_bpermute_b32 v49, v39, v30
	v_cndmask_b32_e64 v47, v47, v48, s[8:9]
	s_waitcnt lgkmcnt(1)
	v_add_co_u32_e64 v48, s[8:9], v50, v47
	s_waitcnt lgkmcnt(0)
	v_addc_co_u32_e64 v49, s[8:9], v49, v30, s[8:9]
	v_cmp_gt_u32_e64 s[8:9], v40, v21
	v_cndmask_b32_e64 v31, v48, v31, s[8:9]
	ds_bpermute_b32 v50, v41, v31
	v_cndmask_b32_e64 v30, v49, v30, s[8:9]
	ds_bpermute_b32 v49, v41, v30
	v_cndmask_b32_e64 v47, v48, v47, s[8:9]
	s_waitcnt lgkmcnt(1)
	v_add_co_u32_e64 v48, s[8:9], v50, v47
	s_waitcnt lgkmcnt(0)
	v_addc_co_u32_e64 v49, s[8:9], v49, v30, s[8:9]
	v_cmp_gt_u32_e64 s[8:9], v42, v21
	v_cndmask_b32_e64 v31, v48, v31, s[8:9]
	ds_bpermute_b32 v50, v43, v31
	v_cndmask_b32_e64 v30, v49, v30, s[8:9]
	ds_bpermute_b32 v49, v43, v30
	v_cndmask_b32_e64 v47, v48, v47, s[8:9]
	s_waitcnt lgkmcnt(1)
	v_add_co_u32_e64 v48, s[8:9], v50, v47
	s_waitcnt lgkmcnt(0)
	v_addc_co_u32_e64 v49, s[8:9], v49, v30, s[8:9]
	v_cmp_gt_u32_e64 s[8:9], v44, v21
	v_cndmask_b32_e64 v31, v48, v31, s[8:9]
	v_cndmask_b32_e64 v30, v49, v30, s[8:9]
	ds_bpermute_b32 v31, v45, v31
	ds_bpermute_b32 v49, v45, v30
	v_cndmask_b32_e64 v47, v48, v47, s[8:9]
	v_cmp_le_u32_e64 s[8:9], v46, v21
	s_waitcnt lgkmcnt(1)
	v_cndmask_b32_e64 v31, 0, v31, s[8:9]
	s_waitcnt lgkmcnt(0)
	v_cndmask_b32_e64 v21, 0, v49, s[8:9]
	v_add_co_u32_e64 v31, s[8:9], v31, v47
	v_addc_co_u32_e64 v21, s[8:9], v21, v30, s[8:9]
	v_cndmask_b32_e32 v18, v18, v31, vcc
	v_cndmask_b32_e32 v19, v19, v21, vcc
	v_add_co_u32_e32 v18, vcc, v18, v26
	v_addc_co_u32_e32 v19, vcc, v19, v27, vcc
.LBB52_36:                              ; =>This Loop Header: Depth=1
                                        ;     Child Loop BB52_39 Depth 2
                                        ;       Child Loop BB52_40 Depth 3
	v_cmp_ne_u16_sdwa s[8:9], v20, v1 src0_sel:BYTE_0 src1_sel:DWORD
	v_cndmask_b32_e64 v20, 0, 1, s[8:9]
	;;#ASMSTART
	;;#ASMEND
	v_cmp_ne_u32_e32 vcc, 0, v20
	s_cmp_lg_u64 vcc, exec
	v_pk_mov_b32 v[26:27], v[18:19], v[18:19] op_sel:[0,1]
	s_cbranch_scc1 .LBB52_43
; %bb.37:                               ;   in Loop: Header=BB52_36 Depth=1
	v_lshlrev_b64 v[18:19], 4, v[24:25]
	v_mov_b32_e32 v20, s21
	v_add_co_u32_e32 v30, vcc, s20, v18
	v_addc_co_u32_e32 v31, vcc, v20, v19, vcc
	;;#ASMSTART
	global_load_dwordx4 v[18:21], v[30:31] off glc	
s_waitcnt vmcnt(0)
	;;#ASMEND
	v_and_b32_e32 v21, 0xff, v19
	v_and_b32_e32 v47, 0xff00, v19
	v_or3_b32 v21, 0, v21, v47
	v_or3_b32 v18, v18, 0, 0
	v_and_b32_e32 v47, 0xff000000, v19
	v_and_b32_e32 v19, 0xff0000, v19
	v_or3_b32 v19, v21, v19, v47
	v_or3_b32 v18, v18, 0, 0
	v_cmp_eq_u16_sdwa s[10:11], v20, v25 src0_sel:BYTE_0 src1_sel:DWORD
	s_and_saveexec_b64 s[8:9], s[10:11]
	s_cbranch_execz .LBB52_35
; %bb.38:                               ;   in Loop: Header=BB52_36 Depth=1
	s_mov_b32 s7, 1
	s_mov_b64 s[10:11], 0
.LBB52_39:                              ;   Parent Loop BB52_36 Depth=1
                                        ; =>  This Loop Header: Depth=2
                                        ;       Child Loop BB52_40 Depth 3
	s_max_u32 s26, s7, 1
.LBB52_40:                              ;   Parent Loop BB52_36 Depth=1
                                        ;     Parent Loop BB52_39 Depth=2
                                        ; =>    This Inner Loop Header: Depth=3
	s_add_i32 s26, s26, -1
	s_cmp_eq_u32 s26, 0
	s_sleep 1
	s_cbranch_scc0 .LBB52_40
; %bb.41:                               ;   in Loop: Header=BB52_39 Depth=2
	s_cmp_lt_u32 s7, 32
	s_cselect_b64 s[26:27], -1, 0
	s_cmp_lg_u64 s[26:27], 0
	s_addc_u32 s7, s7, 0
	;;#ASMSTART
	global_load_dwordx4 v[18:21], v[30:31] off glc	
s_waitcnt vmcnt(0)
	;;#ASMEND
	v_cmp_ne_u16_sdwa s[26:27], v20, v25 src0_sel:BYTE_0 src1_sel:DWORD
	s_or_b64 s[10:11], s[26:27], s[10:11]
	s_andn2_b64 exec, exec, s[10:11]
	s_cbranch_execnz .LBB52_39
; %bb.42:                               ;   in Loop: Header=BB52_36 Depth=1
	s_or_b64 exec, exec, s[10:11]
	s_branch .LBB52_35
.LBB52_43:                              ;   in Loop: Header=BB52_36 Depth=1
                                        ; implicit-def: $vgpr18_vgpr19
                                        ; implicit-def: $vgpr20
	s_cbranch_execz .LBB52_36
; %bb.44:
	s_and_saveexec_b64 s[8:9], s[2:3]
	s_cbranch_execz .LBB52_46
; %bb.45:
	s_add_i32 s2, s6, 64
	s_mov_b32 s3, 0
	s_lshl_b64 s[2:3], s[2:3], 4
	s_add_u32 s2, s20, s2
	v_add_co_u32_e32 v14, vcc, v26, v14
	s_addc_u32 s3, s21, s3
	v_addc_co_u32_e32 v15, vcc, v27, v15, vcc
	v_mov_b32_e32 v16, 2
	v_mov_b32_e32 v17, 0
	v_pk_mov_b32 v[18:19], s[2:3], s[2:3] op_sel:[0,1]
	;;#ASMSTART
	global_store_dwordx4 v[18:19], v[14:17] off	
s_waitcnt vmcnt(0)
	;;#ASMEND
.LBB52_46:
	s_or_b64 exec, exec, s[8:9]
	s_and_b64 exec, exec, s[0:1]
	s_cbranch_execz .LBB52_48
; %bb.47:
	v_mov_b32_e32 v1, 0
	ds_write_b64 v1, v[26:27]
.LBB52_48:
	s_or_b64 exec, exec, s[22:23]
	v_mov_b32_e32 v1, 0
	s_waitcnt lgkmcnt(0)
	s_barrier
	ds_read_b64 v[14:15], v1
	v_add_co_u32_e32 v1, vcc, v22, v2
	v_addc_co_u32_e32 v16, vcc, v23, v3, vcc
	s_waitcnt lgkmcnt(0)
	v_add_co_u32_e32 v24, vcc, v1, v14
	v_addc_co_u32_e32 v25, vcc, v16, v15, vcc
	v_add_co_u32_e32 v30, vcc, v24, v4
	v_addc_co_u32_e32 v31, vcc, v25, v5, vcc
	;; [unrolled: 2-line block ×7, first 2 shown]
	s_load_dwordx8 s[4:11], s[4:5], 0x40
	s_branch .LBB52_63
.LBB52_49:
                                        ; implicit-def: $vgpr22_vgpr23
                                        ; implicit-def: $vgpr34_vgpr35
                                        ; implicit-def: $vgpr32_vgpr33
                                        ; implicit-def: $vgpr30_vgpr31
                                        ; implicit-def: $vgpr18_vgpr19_vgpr20_vgpr21
                                        ; implicit-def: $vgpr14_vgpr15_vgpr16_vgpr17
                                        ; implicit-def: $vgpr24_vgpr25_vgpr26_vgpr27
	s_load_dwordx8 s[4:11], s[4:5], 0x40
	s_cbranch_execz .LBB52_63
; %bb.50:
	s_waitcnt lgkmcnt(0)
	s_cmp_lg_u64 s[8:9], 0
	s_cselect_b64 s[2:3], -1, 0
	v_cmp_eq_u32_e64 s[0:1], 0, v0
	v_cmp_ne_u32_e32 vcc, 0, v0
	s_and_b64 s[2:3], s[0:1], s[2:3]
	s_and_saveexec_b64 s[8:9], s[2:3]
	s_cbranch_execz .LBB52_52
; %bb.51:
	v_mov_b32_e32 v1, 0
	global_load_dwordx2 v[14:15], v1, s[4:5]
	s_waitcnt vmcnt(0)
	v_add_co_u32_e64 v2, s[2:3], v14, v2
	v_addc_co_u32_e64 v3, s[2:3], v15, v3, s[2:3]
.LBB52_52:
	s_or_b64 exec, exec, s[8:9]
	v_add_co_u32_e64 v30, s[2:3], v4, v2
	v_addc_co_u32_e64 v31, s[2:3], v5, v3, s[2:3]
	v_add_co_u32_e64 v14, s[2:3], v30, v10
	v_addc_co_u32_e64 v15, s[2:3], v31, v11, s[2:3]
	;; [unrolled: 2-line block ×6, first 2 shown]
	v_add_lshl_u32 v1, v38, v0, 3
	v_cmp_gt_u32_e64 s[2:3], 64, v0
	ds_write_b64 v1, v[22:23]
	s_waitcnt lgkmcnt(0)
	s_barrier
	s_and_saveexec_b64 s[8:9], s[2:3]
	s_cbranch_execz .LBB52_56
; %bb.53:
	v_lshlrev_b32_e32 v1, 1, v0
	v_lshrrev_b32_e32 v16, 4, v0
	v_add_lshl_u32 v17, v16, v1, 3
	ds_read2_b64 v[24:27], v17 offset1:1
	v_mbcnt_lo_u32_b32 v1, -1, 0
	v_mbcnt_hi_u32_b32 v20, -1, v1
	v_and_b32_e32 v1, 15, v20
	v_cmp_ne_u32_e64 s[4:5], 0, v20
	s_waitcnt lgkmcnt(0)
	v_add_co_u32_e64 v21, s[2:3], v26, v24
	v_addc_co_u32_e64 v26, s[2:3], v27, v25, s[2:3]
	s_nop 0
	v_mov_b32_dpp v16, v21 row_shr:1 row_mask:0xf bank_mask:0xf
	v_add_co_u32_e64 v16, s[2:3], v21, v16
	v_addc_co_u32_e64 v38, s[2:3], 0, v26, s[2:3]
	v_mov_b32_dpp v27, v26 row_shr:1 row_mask:0xf bank_mask:0xf
	v_add_co_u32_e64 v39, s[2:3], 0, v16
	v_addc_co_u32_e64 v27, s[2:3], v27, v38, s[2:3]
	v_cmp_eq_u32_e64 s[2:3], 0, v1
	v_cndmask_b32_e64 v16, v16, v21, s[2:3]
	v_cndmask_b32_e64 v27, v27, v26, s[2:3]
	v_cndmask_b32_e64 v38, v39, v21, s[2:3]
	v_mov_b32_dpp v39, v16 row_shr:2 row_mask:0xf bank_mask:0xf
	v_mov_b32_dpp v40, v27 row_shr:2 row_mask:0xf bank_mask:0xf
	v_add_co_u32_e64 v39, s[2:3], v39, v38
	v_addc_co_u32_e64 v40, s[2:3], v40, v27, s[2:3]
	v_cmp_lt_u32_e64 s[2:3], 1, v1
	v_cndmask_b32_e64 v16, v16, v39, s[2:3]
	v_cndmask_b32_e64 v27, v27, v40, s[2:3]
	v_cndmask_b32_e64 v38, v38, v39, s[2:3]
	v_mov_b32_dpp v39, v16 row_shr:4 row_mask:0xf bank_mask:0xf
	v_mov_b32_dpp v40, v27 row_shr:4 row_mask:0xf bank_mask:0xf
	v_add_co_u32_e64 v39, s[2:3], v39, v38
	v_addc_co_u32_e64 v40, s[2:3], v40, v27, s[2:3]
	v_cmp_lt_u32_e64 s[2:3], 3, v1
	;; [unrolled: 8-line block ×3, first 2 shown]
	v_cndmask_b32_e64 v41, v16, v39, s[2:3]
	v_cndmask_b32_e64 v1, v27, v40, s[2:3]
	;; [unrolled: 1-line block ×3, first 2 shown]
	v_mov_b32_dpp v27, v41 row_bcast:15 row_mask:0xf bank_mask:0xf
	v_mov_b32_dpp v38, v1 row_bcast:15 row_mask:0xf bank_mask:0xf
	v_add_co_u32_e64 v27, s[2:3], v27, v16
	v_and_b32_e32 v40, 16, v20
	v_addc_co_u32_e64 v39, s[2:3], v38, v1, s[2:3]
	v_cmp_eq_u32_e64 s[2:3], 0, v40
	v_cndmask_b32_e64 v40, v39, v1, s[2:3]
	v_cndmask_b32_e64 v38, v27, v41, s[2:3]
	s_nop 0
	v_mov_b32_dpp v40, v40 row_bcast:31 row_mask:0xf bank_mask:0xf
	v_mov_b32_dpp v38, v38 row_bcast:31 row_mask:0xf bank_mask:0xf
	s_and_saveexec_b64 s[22:23], s[4:5]
; %bb.54:
	v_cndmask_b32_e64 v1, v39, v1, s[2:3]
	v_cndmask_b32_e64 v16, v27, v16, s[2:3]
	v_cmp_lt_u32_e64 s[2:3], 31, v20
	v_cndmask_b32_e64 v21, 0, v38, s[2:3]
	v_cndmask_b32_e64 v26, 0, v40, s[2:3]
	v_add_co_u32_e64 v21, s[2:3], v21, v16
	v_addc_co_u32_e64 v26, s[2:3], v26, v1, s[2:3]
; %bb.55:
	s_or_b64 exec, exec, s[22:23]
	v_add_u32_e32 v1, -1, v20
	v_and_b32_e32 v16, 64, v20
	v_cmp_lt_i32_e64 s[2:3], v1, v16
	v_cndmask_b32_e64 v1, v1, v20, s[2:3]
	v_lshlrev_b32_e32 v1, 2, v1
	ds_bpermute_b32 v16, v1, v21
	ds_bpermute_b32 v1, v1, v26
	; wave barrier
	s_waitcnt lgkmcnt(1)
	v_add_co_u32_e64 v16, s[2:3], v24, v16
	v_addc_co_u32_e64 v20, s[2:3], 0, v25, s[2:3]
	v_add_co_u32_e64 v16, s[2:3], 0, v16
	s_waitcnt lgkmcnt(0)
	v_addc_co_u32_e64 v1, s[2:3], v20, v1, s[2:3]
	v_cndmask_b32_e64 v21, v1, v23, s[0:1]
	v_cndmask_b32_e64 v20, v16, v22, s[0:1]
	ds_write_b64 v17, v[20:21]
	; wave barrier
	ds_read_b64 v[24:25], v17 offset:8
	s_waitcnt lgkmcnt(0)
	v_add_co_u32_e64 v20, s[0:1], v24, v20
	v_addc_co_u32_e64 v21, s[0:1], v25, v21, s[0:1]
	ds_write_b64 v17, v[20:21] offset:8
.LBB52_56:
	s_or_b64 exec, exec, s[8:9]
	v_pk_mov_b32 v[16:17], v[22:23], v[22:23] op_sel:[0,1]
	s_waitcnt lgkmcnt(0)
	s_barrier
	s_and_saveexec_b64 s[0:1], vcc
	s_cbranch_execz .LBB52_58
; %bb.57:
	v_add_u32_e32 v1, -1, v0
	v_lshrrev_b32_e32 v16, 5, v1
	v_add_lshl_u32 v1, v16, v1, 3
	ds_read_b64 v[16:17], v1
.LBB52_58:
	s_or_b64 exec, exec, s[0:1]
	s_and_saveexec_b64 s[0:1], vcc
	s_cbranch_execz .LBB52_60
; %bb.59:
	s_waitcnt lgkmcnt(0)
	v_add_co_u32_e32 v2, vcc, v16, v2
	v_addc_co_u32_e32 v3, vcc, v17, v3, vcc
	v_add_co_u32_e32 v30, vcc, v2, v4
	v_addc_co_u32_e32 v31, vcc, v3, v5, vcc
	;; [unrolled: 2-line block ×7, first 2 shown]
	;;#ASMSTART
	;;#ASMEND
.LBB52_60:
	s_or_b64 exec, exec, s[0:1]
	s_movk_i32 s0, 0x7f
	v_cmp_eq_u32_e32 vcc, s0, v0
	s_and_saveexec_b64 s[0:1], vcc
	s_cbranch_execz .LBB52_62
; %bb.61:
	s_add_u32 s2, s20, 0x400
	s_addc_u32 s3, s21, 0
	v_mov_b32_e32 v24, 2
	v_mov_b32_e32 v25, 0
	v_pk_mov_b32 v[4:5], s[2:3], s[2:3] op_sel:[0,1]
	;;#ASMSTART
	global_store_dwordx4 v[4:5], v[22:25] off	
s_waitcnt vmcnt(0)
	;;#ASMEND
.LBB52_62:
	s_or_b64 exec, exec, s[0:1]
	v_pk_mov_b32 v[24:25], v[2:3], v[2:3] op_sel:[0,1]
.LBB52_63:
	s_add_u32 s0, s12, s16
	s_addc_u32 s1, s13, s17
	s_add_u32 s2, s0, s18
	s_addc_u32 s3, s1, s19
	s_mov_b64 s[0:1], -1
	s_and_b64 vcc, exec, s[14:15]
	v_mul_u32_u24_e32 v1, 56, v0
	s_waitcnt lgkmcnt(0)
	s_barrier
	s_cbranch_vccz .LBB52_65
; %bb.64:
	v_mul_i32_i24_e32 v2, 0xffffffd0, v0
	v_mad_u32_u24 v16, v0, 56, v2
	ds_write2_b64 v1, v[24:25], v[30:31] offset1:1
	ds_write2_b64 v1, v[14:15], v[32:33] offset0:2 offset1:3
	ds_write2_b64 v1, v[18:19], v[34:35] offset0:4 offset1:5
	ds_write_b64 v1, v[22:23] offset:48
	s_waitcnt lgkmcnt(0)
	s_barrier
	ds_read2st64_b64 v[2:5], v16 offset1:2
	ds_read2st64_b64 v[6:9], v16 offset0:4 offset1:6
	ds_read2st64_b64 v[10:13], v16 offset0:8 offset1:10
	ds_read_b64 v[16:17], v16 offset:6144
	v_mov_b32_e32 v21, s3
	v_add_co_u32_e32 v20, vcc, s2, v36
	v_addc_co_u32_e32 v21, vcc, 0, v21, vcc
	s_waitcnt lgkmcnt(3)
	flat_store_dwordx2 v[20:21], v[2:3]
	flat_store_dwordx2 v[20:21], v[4:5] offset:1024
	s_waitcnt lgkmcnt(0)
	flat_store_dwordx2 v[20:21], v[6:7] offset:2048
	flat_store_dwordx2 v[20:21], v[8:9] offset:3072
	v_add_co_u32_e32 v2, vcc, 0x1000, v20
	v_addc_co_u32_e32 v3, vcc, 0, v21, vcc
	flat_store_dwordx2 v[2:3], v[10:11]
	flat_store_dwordx2 v[2:3], v[12:13] offset:1024
	flat_store_dwordx2 v[2:3], v[16:17] offset:2048
	s_mov_b64 s[0:1], 0
.LBB52_65:
	s_andn2_b64 vcc, exec, s[0:1]
	s_cbranch_vccnz .LBB52_104
; %bb.66:
	v_mul_i32_i24_e32 v2, 0xffffffd0, v0
	ds_write2_b64 v1, v[24:25], v[30:31] offset1:1
	ds_write2_b64 v1, v[14:15], v[32:33] offset0:2 offset1:3
	ds_write2_b64 v1, v[18:19], v[34:35] offset0:4 offset1:5
	ds_write_b64 v1, v[22:23] offset:48
	v_mad_u32_u24 v14, v0, 56, v2
	s_waitcnt lgkmcnt(0)
	s_barrier
	ds_read2st64_b64 v[2:5], v14 offset1:2
	ds_read2st64_b64 v[6:9], v14 offset0:4 offset1:6
	ds_read2st64_b64 v[10:13], v14 offset0:8 offset1:10
	ds_read_b64 v[14:15], v14 offset:6144
	v_mov_b32_e32 v17, s3
	v_add_co_u32_e32 v16, vcc, s2, v36
	v_addc_co_u32_e32 v17, vcc, 0, v17, vcc
	v_mov_b32_e32 v1, 0
	v_cmp_gt_u32_e32 vcc, s24, v0
	s_and_saveexec_b64 s[0:1], vcc
	s_cbranch_execz .LBB52_68
; %bb.67:
	s_waitcnt lgkmcnt(0)
	flat_store_dwordx2 v[16:17], v[2:3]
.LBB52_68:
	s_or_b64 exec, exec, s[0:1]
	v_or_b32_e32 v18, 0x80, v0
	v_cmp_gt_u32_e32 vcc, s24, v18
	s_and_saveexec_b64 s[0:1], vcc
	s_cbranch_execz .LBB52_70
; %bb.69:
	s_waitcnt lgkmcnt(0)
	flat_store_dwordx2 v[16:17], v[4:5] offset:1024
.LBB52_70:
	s_or_b64 exec, exec, s[0:1]
	v_or_b32_e32 v18, 0x100, v0
	v_cmp_gt_u32_e32 vcc, s24, v18
	s_and_saveexec_b64 s[0:1], vcc
	s_cbranch_execz .LBB52_72
; %bb.71:
	s_waitcnt lgkmcnt(0)
	flat_store_dwordx2 v[16:17], v[6:7] offset:2048
.LBB52_72:
	;; [unrolled: 9-line block ×3, first 2 shown]
	s_or_b64 exec, exec, s[0:1]
	v_or_b32_e32 v18, 0x200, v0
	v_cmp_gt_u32_e32 vcc, s24, v18
	s_and_saveexec_b64 s[0:1], vcc
	s_cbranch_execz .LBB52_76
; %bb.75:
	v_add_co_u32_e32 v18, vcc, 0x1000, v16
	v_addc_co_u32_e32 v19, vcc, 0, v17, vcc
	s_waitcnt lgkmcnt(0)
	flat_store_dwordx2 v[18:19], v[10:11]
.LBB52_76:
	s_or_b64 exec, exec, s[0:1]
	v_or_b32_e32 v18, 0x280, v0
	v_cmp_gt_u32_e32 vcc, s24, v18
	s_and_saveexec_b64 s[0:1], vcc
	s_cbranch_execz .LBB52_78
; %bb.77:
	v_add_co_u32_e32 v18, vcc, 0x1000, v16
	v_addc_co_u32_e32 v19, vcc, 0, v17, vcc
	s_waitcnt lgkmcnt(0)
	flat_store_dwordx2 v[18:19], v[12:13] offset:1024
.LBB52_78:
	s_or_b64 exec, exec, s[0:1]
	v_or_b32_e32 v18, 0x300, v0
	v_cmp_gt_u32_e32 vcc, s24, v18
	s_and_saveexec_b64 s[0:1], vcc
	s_cbranch_execz .LBB52_80
; %bb.79:
	v_add_co_u32_e32 v16, vcc, 0x1000, v16
	v_addc_co_u32_e32 v17, vcc, 0, v17, vcc
	s_waitcnt lgkmcnt(0)
	flat_store_dwordx2 v[16:17], v[14:15] offset:2048
.LBB52_80:
	s_or_b64 exec, exec, s[0:1]
	v_cmp_lt_u64_e64 s[0:1], s[10:11], 2
	s_and_b64 vcc, exec, s[0:1]
	s_cbranch_vccnz .LBB52_104
; %bb.81:
	s_add_u32 s0, s24, -1
	s_addc_u32 s1, s25, -1
	s_add_u32 s2, 0, 0x92481000
	s_addc_u32 s3, 0, 0x64
	s_add_i32 s3, s3, 0x249248c0
	s_mul_hi_u32 s9, s2, -7
	s_sub_i32 s9, s9, s2
	s_mul_i32 s10, s3, -7
	s_mul_i32 s4, s2, -7
	s_add_i32 s9, s9, s10
	s_mul_hi_u32 s5, s3, s4
	s_mul_i32 s8, s3, s4
	s_mul_i32 s11, s2, s9
	s_mul_hi_u32 s4, s2, s4
	s_mul_hi_u32 s10, s2, s9
	s_add_u32 s4, s4, s11
	s_addc_u32 s10, 0, s10
	s_add_u32 s4, s4, s8
	s_mul_hi_u32 s11, s3, s9
	s_addc_u32 s4, s10, s5
	s_addc_u32 s5, s11, 0
	s_mul_i32 s8, s3, s9
	s_add_u32 s4, s4, s8
	v_mov_b32_e32 v16, s4
	s_addc_u32 s5, 0, s5
	v_add_co_u32_e32 v16, vcc, s2, v16
	s_cmp_lg_u64 vcc, 0
	s_addc_u32 s2, s3, s5
	v_readfirstlane_b32 s5, v16
	s_mul_i32 s4, s0, s2
	s_mul_hi_u32 s8, s0, s5
	s_mul_hi_u32 s3, s0, s2
	s_add_u32 s4, s8, s4
	s_addc_u32 s3, 0, s3
	s_mul_hi_u32 s9, s1, s5
	s_mul_i32 s5, s1, s5
	s_add_u32 s4, s4, s5
	s_mul_hi_u32 s8, s1, s2
	s_addc_u32 s3, s3, s9
	s_addc_u32 s4, s8, 0
	s_mul_i32 s2, s1, s2
	s_add_u32 s2, s3, s2
	s_addc_u32 s3, 0, s4
	s_add_u32 s4, s2, 1
	s_addc_u32 s5, s3, 0
	s_add_u32 s8, s2, 2
	s_mul_i32 s10, s3, 7
	s_mul_hi_u32 s11, s2, 7
	s_addc_u32 s9, s3, 0
	s_add_i32 s11, s11, s10
	s_mul_i32 s10, s2, 7
	v_mov_b32_e32 v16, s10
	v_sub_co_u32_e32 v16, vcc, s0, v16
	s_cmp_lg_u64 vcc, 0
	s_subb_u32 s10, s1, s11
	v_subrev_co_u32_e32 v17, vcc, 7, v16
	s_cmp_lg_u64 vcc, 0
	s_subb_u32 s11, s10, 0
	v_readfirstlane_b32 s12, v17
	s_cmp_gt_u32 s12, 6
	s_cselect_b32 s12, -1, 0
	s_cmp_eq_u32 s11, 0
	s_cselect_b32 s11, s12, -1
	s_cmp_lg_u32 s11, 0
	s_cselect_b32 s4, s8, s4
	v_readfirstlane_b32 s8, v16
	s_cselect_b32 s5, s9, s5
	s_cmp_gt_u32 s8, 6
	s_cselect_b32 s8, -1, 0
	s_cmp_eq_u32 s10, 0
	s_cselect_b32 s8, s8, -1
	s_cmp_lg_u32 s8, 0
	s_cselect_b32 s3, s5, s3
	s_cselect_b32 s2, s4, s2
	v_cmp_eq_u64_e32 vcc, s[2:3], v[0:1]
	s_and_saveexec_b64 s[2:3], vcc
	s_cbranch_execz .LBB52_104
; %bb.82:
	v_mul_hi_u32_u24_e32 v1, 7, v0
	v_mov_b32_e32 v16, s1
	v_sub_co_u32_e32 v0, vcc, s0, v37
	v_subb_co_u32_e32 v1, vcc, v16, v1, vcc
	v_cmp_lt_i64_e32 vcc, 3, v[0:1]
	s_and_saveexec_b64 s[0:1], vcc
	s_xor_b64 s[0:1], exec, s[0:1]
	s_cbranch_execz .LBB52_92
; %bb.83:
	v_cmp_lt_i64_e32 vcc, 4, v[0:1]
	s_and_saveexec_b64 s[2:3], vcc
	s_xor_b64 s[2:3], exec, s[2:3]
	s_cbranch_execz .LBB52_89
; %bb.84:
	;; [unrolled: 5-line block ×3, first 2 shown]
	v_mov_b32_e32 v0, 0
	s_waitcnt lgkmcnt(0)
	global_store_dwordx2 v0, v[14:15], s[6:7]
                                        ; implicit-def: $vgpr10_vgpr11_vgpr12_vgpr13
.LBB52_86:
	s_andn2_saveexec_b64 s[4:5], s[4:5]
	s_cbranch_execz .LBB52_88
; %bb.87:
	v_mov_b32_e32 v0, 0
	s_waitcnt lgkmcnt(0)
	global_store_dwordx2 v0, v[12:13], s[6:7]
.LBB52_88:
	s_or_b64 exec, exec, s[4:5]
                                        ; implicit-def: $vgpr10_vgpr11_vgpr12_vgpr13
.LBB52_89:
	s_andn2_saveexec_b64 s[2:3], s[2:3]
	s_cbranch_execz .LBB52_91
; %bb.90:
	v_mov_b32_e32 v0, 0
	s_waitcnt lgkmcnt(0)
	global_store_dwordx2 v0, v[10:11], s[6:7]
.LBB52_91:
	s_or_b64 exec, exec, s[2:3]
                                        ; implicit-def: $vgpr0_vgpr1
                                        ; implicit-def: $vgpr2_vgpr3_vgpr4_vgpr5
                                        ; implicit-def: $vgpr6_vgpr7_vgpr8_vgpr9
.LBB52_92:
	s_andn2_saveexec_b64 s[0:1], s[0:1]
	s_cbranch_execz .LBB52_104
; %bb.93:
	v_cmp_lt_i64_e32 vcc, 1, v[0:1]
	s_and_saveexec_b64 s[0:1], vcc
	s_xor_b64 s[0:1], exec, s[0:1]
	s_cbranch_execz .LBB52_99
; %bb.94:
	v_cmp_lt_i64_e32 vcc, 2, v[0:1]
	s_and_saveexec_b64 s[2:3], vcc
	s_xor_b64 s[2:3], exec, s[2:3]
	s_cbranch_execz .LBB52_96
; %bb.95:
	v_mov_b32_e32 v0, 0
	s_waitcnt lgkmcnt(0)
	global_store_dwordx2 v0, v[8:9], s[6:7]
                                        ; implicit-def: $vgpr6_vgpr7_vgpr8_vgpr9
.LBB52_96:
	s_andn2_saveexec_b64 s[2:3], s[2:3]
	s_cbranch_execz .LBB52_98
; %bb.97:
	v_mov_b32_e32 v0, 0
	s_waitcnt lgkmcnt(0)
	global_store_dwordx2 v0, v[6:7], s[6:7]
.LBB52_98:
	s_or_b64 exec, exec, s[2:3]
                                        ; implicit-def: $vgpr2_vgpr3_vgpr4_vgpr5
                                        ; implicit-def: $vgpr0_vgpr1
.LBB52_99:
	s_andn2_saveexec_b64 s[0:1], s[0:1]
	s_cbranch_execz .LBB52_104
; %bb.100:
	v_cmp_ne_u64_e32 vcc, 1, v[0:1]
	s_and_saveexec_b64 s[0:1], vcc
	s_xor_b64 s[0:1], exec, s[0:1]
	s_cbranch_execz .LBB52_102
; %bb.101:
	v_mov_b32_e32 v0, 0
	s_waitcnt lgkmcnt(0)
	global_store_dwordx2 v0, v[2:3], s[6:7]
                                        ; implicit-def: $vgpr2_vgpr3_vgpr4_vgpr5
.LBB52_102:
	s_andn2_saveexec_b64 s[0:1], s[0:1]
	s_cbranch_execz .LBB52_104
; %bb.103:
	v_mov_b32_e32 v0, 0
	s_waitcnt lgkmcnt(0)
	global_store_dwordx2 v0, v[4:5], s[6:7]
.LBB52_104:
	s_endpgm
	.section	.rodata,"a",@progbits
	.p2align	6, 0x0
	.amdhsa_kernel _ZN7rocprim17ROCPRIM_400000_NS6detail17trampoline_kernelINS0_14default_configENS1_20scan_config_selectorIxEEZZNS1_9scan_implILNS1_25lookback_scan_determinismE0ELb0ELb0ES3_N6thrust23THRUST_200600_302600_NS6detail15normal_iteratorINS9_10device_ptrIxEEEESE_xNS9_4plusIvEExEEDaPvRmT3_T4_T5_mT6_P12ihipStream_tbENKUlT_T0_E_clISt17integral_constantIbLb1EEST_IbLb0EEEEDaSP_SQ_EUlSP_E_NS1_11comp_targetILNS1_3genE4ELNS1_11target_archE910ELNS1_3gpuE8ELNS1_3repE0EEENS1_30default_config_static_selectorELNS0_4arch9wavefront6targetE1EEEvT1_
		.amdhsa_group_segment_fixed_size 7168
		.amdhsa_private_segment_fixed_size 0
		.amdhsa_kernarg_size 104
		.amdhsa_user_sgpr_count 6
		.amdhsa_user_sgpr_private_segment_buffer 1
		.amdhsa_user_sgpr_dispatch_ptr 0
		.amdhsa_user_sgpr_queue_ptr 0
		.amdhsa_user_sgpr_kernarg_segment_ptr 1
		.amdhsa_user_sgpr_dispatch_id 0
		.amdhsa_user_sgpr_flat_scratch_init 0
		.amdhsa_user_sgpr_kernarg_preload_length 0
		.amdhsa_user_sgpr_kernarg_preload_offset 0
		.amdhsa_user_sgpr_private_segment_size 0
		.amdhsa_uses_dynamic_stack 0
		.amdhsa_system_sgpr_private_segment_wavefront_offset 0
		.amdhsa_system_sgpr_workgroup_id_x 1
		.amdhsa_system_sgpr_workgroup_id_y 0
		.amdhsa_system_sgpr_workgroup_id_z 0
		.amdhsa_system_sgpr_workgroup_info 0
		.amdhsa_system_vgpr_workitem_id 0
		.amdhsa_next_free_vgpr 51
		.amdhsa_next_free_sgpr 28
		.amdhsa_accum_offset 52
		.amdhsa_reserve_vcc 1
		.amdhsa_reserve_flat_scratch 0
		.amdhsa_float_round_mode_32 0
		.amdhsa_float_round_mode_16_64 0
		.amdhsa_float_denorm_mode_32 3
		.amdhsa_float_denorm_mode_16_64 3
		.amdhsa_dx10_clamp 1
		.amdhsa_ieee_mode 1
		.amdhsa_fp16_overflow 0
		.amdhsa_tg_split 0
		.amdhsa_exception_fp_ieee_invalid_op 0
		.amdhsa_exception_fp_denorm_src 0
		.amdhsa_exception_fp_ieee_div_zero 0
		.amdhsa_exception_fp_ieee_overflow 0
		.amdhsa_exception_fp_ieee_underflow 0
		.amdhsa_exception_fp_ieee_inexact 0
		.amdhsa_exception_int_div_zero 0
	.end_amdhsa_kernel
	.section	.text._ZN7rocprim17ROCPRIM_400000_NS6detail17trampoline_kernelINS0_14default_configENS1_20scan_config_selectorIxEEZZNS1_9scan_implILNS1_25lookback_scan_determinismE0ELb0ELb0ES3_N6thrust23THRUST_200600_302600_NS6detail15normal_iteratorINS9_10device_ptrIxEEEESE_xNS9_4plusIvEExEEDaPvRmT3_T4_T5_mT6_P12ihipStream_tbENKUlT_T0_E_clISt17integral_constantIbLb1EEST_IbLb0EEEEDaSP_SQ_EUlSP_E_NS1_11comp_targetILNS1_3genE4ELNS1_11target_archE910ELNS1_3gpuE8ELNS1_3repE0EEENS1_30default_config_static_selectorELNS0_4arch9wavefront6targetE1EEEvT1_,"axG",@progbits,_ZN7rocprim17ROCPRIM_400000_NS6detail17trampoline_kernelINS0_14default_configENS1_20scan_config_selectorIxEEZZNS1_9scan_implILNS1_25lookback_scan_determinismE0ELb0ELb0ES3_N6thrust23THRUST_200600_302600_NS6detail15normal_iteratorINS9_10device_ptrIxEEEESE_xNS9_4plusIvEExEEDaPvRmT3_T4_T5_mT6_P12ihipStream_tbENKUlT_T0_E_clISt17integral_constantIbLb1EEST_IbLb0EEEEDaSP_SQ_EUlSP_E_NS1_11comp_targetILNS1_3genE4ELNS1_11target_archE910ELNS1_3gpuE8ELNS1_3repE0EEENS1_30default_config_static_selectorELNS0_4arch9wavefront6targetE1EEEvT1_,comdat
.Lfunc_end52:
	.size	_ZN7rocprim17ROCPRIM_400000_NS6detail17trampoline_kernelINS0_14default_configENS1_20scan_config_selectorIxEEZZNS1_9scan_implILNS1_25lookback_scan_determinismE0ELb0ELb0ES3_N6thrust23THRUST_200600_302600_NS6detail15normal_iteratorINS9_10device_ptrIxEEEESE_xNS9_4plusIvEExEEDaPvRmT3_T4_T5_mT6_P12ihipStream_tbENKUlT_T0_E_clISt17integral_constantIbLb1EEST_IbLb0EEEEDaSP_SQ_EUlSP_E_NS1_11comp_targetILNS1_3genE4ELNS1_11target_archE910ELNS1_3gpuE8ELNS1_3repE0EEENS1_30default_config_static_selectorELNS0_4arch9wavefront6targetE1EEEvT1_, .Lfunc_end52-_ZN7rocprim17ROCPRIM_400000_NS6detail17trampoline_kernelINS0_14default_configENS1_20scan_config_selectorIxEEZZNS1_9scan_implILNS1_25lookback_scan_determinismE0ELb0ELb0ES3_N6thrust23THRUST_200600_302600_NS6detail15normal_iteratorINS9_10device_ptrIxEEEESE_xNS9_4plusIvEExEEDaPvRmT3_T4_T5_mT6_P12ihipStream_tbENKUlT_T0_E_clISt17integral_constantIbLb1EEST_IbLb0EEEEDaSP_SQ_EUlSP_E_NS1_11comp_targetILNS1_3genE4ELNS1_11target_archE910ELNS1_3gpuE8ELNS1_3repE0EEENS1_30default_config_static_selectorELNS0_4arch9wavefront6targetE1EEEvT1_
                                        ; -- End function
	.section	.AMDGPU.csdata,"",@progbits
; Kernel info:
; codeLenInByte = 5936
; NumSgprs: 32
; NumVgprs: 51
; NumAgprs: 0
; TotalNumVgprs: 51
; ScratchSize: 0
; MemoryBound: 0
; FloatMode: 240
; IeeeMode: 1
; LDSByteSize: 7168 bytes/workgroup (compile time only)
; SGPRBlocks: 3
; VGPRBlocks: 6
; NumSGPRsForWavesPerEU: 32
; NumVGPRsForWavesPerEU: 51
; AccumOffset: 52
; Occupancy: 5
; WaveLimiterHint : 1
; COMPUTE_PGM_RSRC2:SCRATCH_EN: 0
; COMPUTE_PGM_RSRC2:USER_SGPR: 6
; COMPUTE_PGM_RSRC2:TRAP_HANDLER: 0
; COMPUTE_PGM_RSRC2:TGID_X_EN: 1
; COMPUTE_PGM_RSRC2:TGID_Y_EN: 0
; COMPUTE_PGM_RSRC2:TGID_Z_EN: 0
; COMPUTE_PGM_RSRC2:TIDIG_COMP_CNT: 0
; COMPUTE_PGM_RSRC3_GFX90A:ACCUM_OFFSET: 12
; COMPUTE_PGM_RSRC3_GFX90A:TG_SPLIT: 0
	.section	.text._ZN7rocprim17ROCPRIM_400000_NS6detail17trampoline_kernelINS0_14default_configENS1_20scan_config_selectorIxEEZZNS1_9scan_implILNS1_25lookback_scan_determinismE0ELb0ELb0ES3_N6thrust23THRUST_200600_302600_NS6detail15normal_iteratorINS9_10device_ptrIxEEEESE_xNS9_4plusIvEExEEDaPvRmT3_T4_T5_mT6_P12ihipStream_tbENKUlT_T0_E_clISt17integral_constantIbLb1EEST_IbLb0EEEEDaSP_SQ_EUlSP_E_NS1_11comp_targetILNS1_3genE3ELNS1_11target_archE908ELNS1_3gpuE7ELNS1_3repE0EEENS1_30default_config_static_selectorELNS0_4arch9wavefront6targetE1EEEvT1_,"axG",@progbits,_ZN7rocprim17ROCPRIM_400000_NS6detail17trampoline_kernelINS0_14default_configENS1_20scan_config_selectorIxEEZZNS1_9scan_implILNS1_25lookback_scan_determinismE0ELb0ELb0ES3_N6thrust23THRUST_200600_302600_NS6detail15normal_iteratorINS9_10device_ptrIxEEEESE_xNS9_4plusIvEExEEDaPvRmT3_T4_T5_mT6_P12ihipStream_tbENKUlT_T0_E_clISt17integral_constantIbLb1EEST_IbLb0EEEEDaSP_SQ_EUlSP_E_NS1_11comp_targetILNS1_3genE3ELNS1_11target_archE908ELNS1_3gpuE7ELNS1_3repE0EEENS1_30default_config_static_selectorELNS0_4arch9wavefront6targetE1EEEvT1_,comdat
	.protected	_ZN7rocprim17ROCPRIM_400000_NS6detail17trampoline_kernelINS0_14default_configENS1_20scan_config_selectorIxEEZZNS1_9scan_implILNS1_25lookback_scan_determinismE0ELb0ELb0ES3_N6thrust23THRUST_200600_302600_NS6detail15normal_iteratorINS9_10device_ptrIxEEEESE_xNS9_4plusIvEExEEDaPvRmT3_T4_T5_mT6_P12ihipStream_tbENKUlT_T0_E_clISt17integral_constantIbLb1EEST_IbLb0EEEEDaSP_SQ_EUlSP_E_NS1_11comp_targetILNS1_3genE3ELNS1_11target_archE908ELNS1_3gpuE7ELNS1_3repE0EEENS1_30default_config_static_selectorELNS0_4arch9wavefront6targetE1EEEvT1_ ; -- Begin function _ZN7rocprim17ROCPRIM_400000_NS6detail17trampoline_kernelINS0_14default_configENS1_20scan_config_selectorIxEEZZNS1_9scan_implILNS1_25lookback_scan_determinismE0ELb0ELb0ES3_N6thrust23THRUST_200600_302600_NS6detail15normal_iteratorINS9_10device_ptrIxEEEESE_xNS9_4plusIvEExEEDaPvRmT3_T4_T5_mT6_P12ihipStream_tbENKUlT_T0_E_clISt17integral_constantIbLb1EEST_IbLb0EEEEDaSP_SQ_EUlSP_E_NS1_11comp_targetILNS1_3genE3ELNS1_11target_archE908ELNS1_3gpuE7ELNS1_3repE0EEENS1_30default_config_static_selectorELNS0_4arch9wavefront6targetE1EEEvT1_
	.globl	_ZN7rocprim17ROCPRIM_400000_NS6detail17trampoline_kernelINS0_14default_configENS1_20scan_config_selectorIxEEZZNS1_9scan_implILNS1_25lookback_scan_determinismE0ELb0ELb0ES3_N6thrust23THRUST_200600_302600_NS6detail15normal_iteratorINS9_10device_ptrIxEEEESE_xNS9_4plusIvEExEEDaPvRmT3_T4_T5_mT6_P12ihipStream_tbENKUlT_T0_E_clISt17integral_constantIbLb1EEST_IbLb0EEEEDaSP_SQ_EUlSP_E_NS1_11comp_targetILNS1_3genE3ELNS1_11target_archE908ELNS1_3gpuE7ELNS1_3repE0EEENS1_30default_config_static_selectorELNS0_4arch9wavefront6targetE1EEEvT1_
	.p2align	8
	.type	_ZN7rocprim17ROCPRIM_400000_NS6detail17trampoline_kernelINS0_14default_configENS1_20scan_config_selectorIxEEZZNS1_9scan_implILNS1_25lookback_scan_determinismE0ELb0ELb0ES3_N6thrust23THRUST_200600_302600_NS6detail15normal_iteratorINS9_10device_ptrIxEEEESE_xNS9_4plusIvEExEEDaPvRmT3_T4_T5_mT6_P12ihipStream_tbENKUlT_T0_E_clISt17integral_constantIbLb1EEST_IbLb0EEEEDaSP_SQ_EUlSP_E_NS1_11comp_targetILNS1_3genE3ELNS1_11target_archE908ELNS1_3gpuE7ELNS1_3repE0EEENS1_30default_config_static_selectorELNS0_4arch9wavefront6targetE1EEEvT1_,@function
_ZN7rocprim17ROCPRIM_400000_NS6detail17trampoline_kernelINS0_14default_configENS1_20scan_config_selectorIxEEZZNS1_9scan_implILNS1_25lookback_scan_determinismE0ELb0ELb0ES3_N6thrust23THRUST_200600_302600_NS6detail15normal_iteratorINS9_10device_ptrIxEEEESE_xNS9_4plusIvEExEEDaPvRmT3_T4_T5_mT6_P12ihipStream_tbENKUlT_T0_E_clISt17integral_constantIbLb1EEST_IbLb0EEEEDaSP_SQ_EUlSP_E_NS1_11comp_targetILNS1_3genE3ELNS1_11target_archE908ELNS1_3gpuE7ELNS1_3repE0EEENS1_30default_config_static_selectorELNS0_4arch9wavefront6targetE1EEEvT1_: ; @_ZN7rocprim17ROCPRIM_400000_NS6detail17trampoline_kernelINS0_14default_configENS1_20scan_config_selectorIxEEZZNS1_9scan_implILNS1_25lookback_scan_determinismE0ELb0ELb0ES3_N6thrust23THRUST_200600_302600_NS6detail15normal_iteratorINS9_10device_ptrIxEEEESE_xNS9_4plusIvEExEEDaPvRmT3_T4_T5_mT6_P12ihipStream_tbENKUlT_T0_E_clISt17integral_constantIbLb1EEST_IbLb0EEEEDaSP_SQ_EUlSP_E_NS1_11comp_targetILNS1_3genE3ELNS1_11target_archE908ELNS1_3gpuE7ELNS1_3repE0EEENS1_30default_config_static_selectorELNS0_4arch9wavefront6targetE1EEEvT1_
; %bb.0:
	.section	.rodata,"a",@progbits
	.p2align	6, 0x0
	.amdhsa_kernel _ZN7rocprim17ROCPRIM_400000_NS6detail17trampoline_kernelINS0_14default_configENS1_20scan_config_selectorIxEEZZNS1_9scan_implILNS1_25lookback_scan_determinismE0ELb0ELb0ES3_N6thrust23THRUST_200600_302600_NS6detail15normal_iteratorINS9_10device_ptrIxEEEESE_xNS9_4plusIvEExEEDaPvRmT3_T4_T5_mT6_P12ihipStream_tbENKUlT_T0_E_clISt17integral_constantIbLb1EEST_IbLb0EEEEDaSP_SQ_EUlSP_E_NS1_11comp_targetILNS1_3genE3ELNS1_11target_archE908ELNS1_3gpuE7ELNS1_3repE0EEENS1_30default_config_static_selectorELNS0_4arch9wavefront6targetE1EEEvT1_
		.amdhsa_group_segment_fixed_size 0
		.amdhsa_private_segment_fixed_size 0
		.amdhsa_kernarg_size 104
		.amdhsa_user_sgpr_count 6
		.amdhsa_user_sgpr_private_segment_buffer 1
		.amdhsa_user_sgpr_dispatch_ptr 0
		.amdhsa_user_sgpr_queue_ptr 0
		.amdhsa_user_sgpr_kernarg_segment_ptr 1
		.amdhsa_user_sgpr_dispatch_id 0
		.amdhsa_user_sgpr_flat_scratch_init 0
		.amdhsa_user_sgpr_kernarg_preload_length 0
		.amdhsa_user_sgpr_kernarg_preload_offset 0
		.amdhsa_user_sgpr_private_segment_size 0
		.amdhsa_uses_dynamic_stack 0
		.amdhsa_system_sgpr_private_segment_wavefront_offset 0
		.amdhsa_system_sgpr_workgroup_id_x 1
		.amdhsa_system_sgpr_workgroup_id_y 0
		.amdhsa_system_sgpr_workgroup_id_z 0
		.amdhsa_system_sgpr_workgroup_info 0
		.amdhsa_system_vgpr_workitem_id 0
		.amdhsa_next_free_vgpr 1
		.amdhsa_next_free_sgpr 0
		.amdhsa_accum_offset 4
		.amdhsa_reserve_vcc 0
		.amdhsa_reserve_flat_scratch 0
		.amdhsa_float_round_mode_32 0
		.amdhsa_float_round_mode_16_64 0
		.amdhsa_float_denorm_mode_32 3
		.amdhsa_float_denorm_mode_16_64 3
		.amdhsa_dx10_clamp 1
		.amdhsa_ieee_mode 1
		.amdhsa_fp16_overflow 0
		.amdhsa_tg_split 0
		.amdhsa_exception_fp_ieee_invalid_op 0
		.amdhsa_exception_fp_denorm_src 0
		.amdhsa_exception_fp_ieee_div_zero 0
		.amdhsa_exception_fp_ieee_overflow 0
		.amdhsa_exception_fp_ieee_underflow 0
		.amdhsa_exception_fp_ieee_inexact 0
		.amdhsa_exception_int_div_zero 0
	.end_amdhsa_kernel
	.section	.text._ZN7rocprim17ROCPRIM_400000_NS6detail17trampoline_kernelINS0_14default_configENS1_20scan_config_selectorIxEEZZNS1_9scan_implILNS1_25lookback_scan_determinismE0ELb0ELb0ES3_N6thrust23THRUST_200600_302600_NS6detail15normal_iteratorINS9_10device_ptrIxEEEESE_xNS9_4plusIvEExEEDaPvRmT3_T4_T5_mT6_P12ihipStream_tbENKUlT_T0_E_clISt17integral_constantIbLb1EEST_IbLb0EEEEDaSP_SQ_EUlSP_E_NS1_11comp_targetILNS1_3genE3ELNS1_11target_archE908ELNS1_3gpuE7ELNS1_3repE0EEENS1_30default_config_static_selectorELNS0_4arch9wavefront6targetE1EEEvT1_,"axG",@progbits,_ZN7rocprim17ROCPRIM_400000_NS6detail17trampoline_kernelINS0_14default_configENS1_20scan_config_selectorIxEEZZNS1_9scan_implILNS1_25lookback_scan_determinismE0ELb0ELb0ES3_N6thrust23THRUST_200600_302600_NS6detail15normal_iteratorINS9_10device_ptrIxEEEESE_xNS9_4plusIvEExEEDaPvRmT3_T4_T5_mT6_P12ihipStream_tbENKUlT_T0_E_clISt17integral_constantIbLb1EEST_IbLb0EEEEDaSP_SQ_EUlSP_E_NS1_11comp_targetILNS1_3genE3ELNS1_11target_archE908ELNS1_3gpuE7ELNS1_3repE0EEENS1_30default_config_static_selectorELNS0_4arch9wavefront6targetE1EEEvT1_,comdat
.Lfunc_end53:
	.size	_ZN7rocprim17ROCPRIM_400000_NS6detail17trampoline_kernelINS0_14default_configENS1_20scan_config_selectorIxEEZZNS1_9scan_implILNS1_25lookback_scan_determinismE0ELb0ELb0ES3_N6thrust23THRUST_200600_302600_NS6detail15normal_iteratorINS9_10device_ptrIxEEEESE_xNS9_4plusIvEExEEDaPvRmT3_T4_T5_mT6_P12ihipStream_tbENKUlT_T0_E_clISt17integral_constantIbLb1EEST_IbLb0EEEEDaSP_SQ_EUlSP_E_NS1_11comp_targetILNS1_3genE3ELNS1_11target_archE908ELNS1_3gpuE7ELNS1_3repE0EEENS1_30default_config_static_selectorELNS0_4arch9wavefront6targetE1EEEvT1_, .Lfunc_end53-_ZN7rocprim17ROCPRIM_400000_NS6detail17trampoline_kernelINS0_14default_configENS1_20scan_config_selectorIxEEZZNS1_9scan_implILNS1_25lookback_scan_determinismE0ELb0ELb0ES3_N6thrust23THRUST_200600_302600_NS6detail15normal_iteratorINS9_10device_ptrIxEEEESE_xNS9_4plusIvEExEEDaPvRmT3_T4_T5_mT6_P12ihipStream_tbENKUlT_T0_E_clISt17integral_constantIbLb1EEST_IbLb0EEEEDaSP_SQ_EUlSP_E_NS1_11comp_targetILNS1_3genE3ELNS1_11target_archE908ELNS1_3gpuE7ELNS1_3repE0EEENS1_30default_config_static_selectorELNS0_4arch9wavefront6targetE1EEEvT1_
                                        ; -- End function
	.section	.AMDGPU.csdata,"",@progbits
; Kernel info:
; codeLenInByte = 0
; NumSgprs: 4
; NumVgprs: 0
; NumAgprs: 0
; TotalNumVgprs: 0
; ScratchSize: 0
; MemoryBound: 0
; FloatMode: 240
; IeeeMode: 1
; LDSByteSize: 0 bytes/workgroup (compile time only)
; SGPRBlocks: 0
; VGPRBlocks: 0
; NumSGPRsForWavesPerEU: 4
; NumVGPRsForWavesPerEU: 1
; AccumOffset: 4
; Occupancy: 8
; WaveLimiterHint : 0
; COMPUTE_PGM_RSRC2:SCRATCH_EN: 0
; COMPUTE_PGM_RSRC2:USER_SGPR: 6
; COMPUTE_PGM_RSRC2:TRAP_HANDLER: 0
; COMPUTE_PGM_RSRC2:TGID_X_EN: 1
; COMPUTE_PGM_RSRC2:TGID_Y_EN: 0
; COMPUTE_PGM_RSRC2:TGID_Z_EN: 0
; COMPUTE_PGM_RSRC2:TIDIG_COMP_CNT: 0
; COMPUTE_PGM_RSRC3_GFX90A:ACCUM_OFFSET: 0
; COMPUTE_PGM_RSRC3_GFX90A:TG_SPLIT: 0
	.section	.text._ZN7rocprim17ROCPRIM_400000_NS6detail17trampoline_kernelINS0_14default_configENS1_20scan_config_selectorIxEEZZNS1_9scan_implILNS1_25lookback_scan_determinismE0ELb0ELb0ES3_N6thrust23THRUST_200600_302600_NS6detail15normal_iteratorINS9_10device_ptrIxEEEESE_xNS9_4plusIvEExEEDaPvRmT3_T4_T5_mT6_P12ihipStream_tbENKUlT_T0_E_clISt17integral_constantIbLb1EEST_IbLb0EEEEDaSP_SQ_EUlSP_E_NS1_11comp_targetILNS1_3genE2ELNS1_11target_archE906ELNS1_3gpuE6ELNS1_3repE0EEENS1_30default_config_static_selectorELNS0_4arch9wavefront6targetE1EEEvT1_,"axG",@progbits,_ZN7rocprim17ROCPRIM_400000_NS6detail17trampoline_kernelINS0_14default_configENS1_20scan_config_selectorIxEEZZNS1_9scan_implILNS1_25lookback_scan_determinismE0ELb0ELb0ES3_N6thrust23THRUST_200600_302600_NS6detail15normal_iteratorINS9_10device_ptrIxEEEESE_xNS9_4plusIvEExEEDaPvRmT3_T4_T5_mT6_P12ihipStream_tbENKUlT_T0_E_clISt17integral_constantIbLb1EEST_IbLb0EEEEDaSP_SQ_EUlSP_E_NS1_11comp_targetILNS1_3genE2ELNS1_11target_archE906ELNS1_3gpuE6ELNS1_3repE0EEENS1_30default_config_static_selectorELNS0_4arch9wavefront6targetE1EEEvT1_,comdat
	.protected	_ZN7rocprim17ROCPRIM_400000_NS6detail17trampoline_kernelINS0_14default_configENS1_20scan_config_selectorIxEEZZNS1_9scan_implILNS1_25lookback_scan_determinismE0ELb0ELb0ES3_N6thrust23THRUST_200600_302600_NS6detail15normal_iteratorINS9_10device_ptrIxEEEESE_xNS9_4plusIvEExEEDaPvRmT3_T4_T5_mT6_P12ihipStream_tbENKUlT_T0_E_clISt17integral_constantIbLb1EEST_IbLb0EEEEDaSP_SQ_EUlSP_E_NS1_11comp_targetILNS1_3genE2ELNS1_11target_archE906ELNS1_3gpuE6ELNS1_3repE0EEENS1_30default_config_static_selectorELNS0_4arch9wavefront6targetE1EEEvT1_ ; -- Begin function _ZN7rocprim17ROCPRIM_400000_NS6detail17trampoline_kernelINS0_14default_configENS1_20scan_config_selectorIxEEZZNS1_9scan_implILNS1_25lookback_scan_determinismE0ELb0ELb0ES3_N6thrust23THRUST_200600_302600_NS6detail15normal_iteratorINS9_10device_ptrIxEEEESE_xNS9_4plusIvEExEEDaPvRmT3_T4_T5_mT6_P12ihipStream_tbENKUlT_T0_E_clISt17integral_constantIbLb1EEST_IbLb0EEEEDaSP_SQ_EUlSP_E_NS1_11comp_targetILNS1_3genE2ELNS1_11target_archE906ELNS1_3gpuE6ELNS1_3repE0EEENS1_30default_config_static_selectorELNS0_4arch9wavefront6targetE1EEEvT1_
	.globl	_ZN7rocprim17ROCPRIM_400000_NS6detail17trampoline_kernelINS0_14default_configENS1_20scan_config_selectorIxEEZZNS1_9scan_implILNS1_25lookback_scan_determinismE0ELb0ELb0ES3_N6thrust23THRUST_200600_302600_NS6detail15normal_iteratorINS9_10device_ptrIxEEEESE_xNS9_4plusIvEExEEDaPvRmT3_T4_T5_mT6_P12ihipStream_tbENKUlT_T0_E_clISt17integral_constantIbLb1EEST_IbLb0EEEEDaSP_SQ_EUlSP_E_NS1_11comp_targetILNS1_3genE2ELNS1_11target_archE906ELNS1_3gpuE6ELNS1_3repE0EEENS1_30default_config_static_selectorELNS0_4arch9wavefront6targetE1EEEvT1_
	.p2align	8
	.type	_ZN7rocprim17ROCPRIM_400000_NS6detail17trampoline_kernelINS0_14default_configENS1_20scan_config_selectorIxEEZZNS1_9scan_implILNS1_25lookback_scan_determinismE0ELb0ELb0ES3_N6thrust23THRUST_200600_302600_NS6detail15normal_iteratorINS9_10device_ptrIxEEEESE_xNS9_4plusIvEExEEDaPvRmT3_T4_T5_mT6_P12ihipStream_tbENKUlT_T0_E_clISt17integral_constantIbLb1EEST_IbLb0EEEEDaSP_SQ_EUlSP_E_NS1_11comp_targetILNS1_3genE2ELNS1_11target_archE906ELNS1_3gpuE6ELNS1_3repE0EEENS1_30default_config_static_selectorELNS0_4arch9wavefront6targetE1EEEvT1_,@function
_ZN7rocprim17ROCPRIM_400000_NS6detail17trampoline_kernelINS0_14default_configENS1_20scan_config_selectorIxEEZZNS1_9scan_implILNS1_25lookback_scan_determinismE0ELb0ELb0ES3_N6thrust23THRUST_200600_302600_NS6detail15normal_iteratorINS9_10device_ptrIxEEEESE_xNS9_4plusIvEExEEDaPvRmT3_T4_T5_mT6_P12ihipStream_tbENKUlT_T0_E_clISt17integral_constantIbLb1EEST_IbLb0EEEEDaSP_SQ_EUlSP_E_NS1_11comp_targetILNS1_3genE2ELNS1_11target_archE906ELNS1_3gpuE6ELNS1_3repE0EEENS1_30default_config_static_selectorELNS0_4arch9wavefront6targetE1EEEvT1_: ; @_ZN7rocprim17ROCPRIM_400000_NS6detail17trampoline_kernelINS0_14default_configENS1_20scan_config_selectorIxEEZZNS1_9scan_implILNS1_25lookback_scan_determinismE0ELb0ELb0ES3_N6thrust23THRUST_200600_302600_NS6detail15normal_iteratorINS9_10device_ptrIxEEEESE_xNS9_4plusIvEExEEDaPvRmT3_T4_T5_mT6_P12ihipStream_tbENKUlT_T0_E_clISt17integral_constantIbLb1EEST_IbLb0EEEEDaSP_SQ_EUlSP_E_NS1_11comp_targetILNS1_3genE2ELNS1_11target_archE906ELNS1_3gpuE6ELNS1_3repE0EEENS1_30default_config_static_selectorELNS0_4arch9wavefront6targetE1EEEvT1_
; %bb.0:
	.section	.rodata,"a",@progbits
	.p2align	6, 0x0
	.amdhsa_kernel _ZN7rocprim17ROCPRIM_400000_NS6detail17trampoline_kernelINS0_14default_configENS1_20scan_config_selectorIxEEZZNS1_9scan_implILNS1_25lookback_scan_determinismE0ELb0ELb0ES3_N6thrust23THRUST_200600_302600_NS6detail15normal_iteratorINS9_10device_ptrIxEEEESE_xNS9_4plusIvEExEEDaPvRmT3_T4_T5_mT6_P12ihipStream_tbENKUlT_T0_E_clISt17integral_constantIbLb1EEST_IbLb0EEEEDaSP_SQ_EUlSP_E_NS1_11comp_targetILNS1_3genE2ELNS1_11target_archE906ELNS1_3gpuE6ELNS1_3repE0EEENS1_30default_config_static_selectorELNS0_4arch9wavefront6targetE1EEEvT1_
		.amdhsa_group_segment_fixed_size 0
		.amdhsa_private_segment_fixed_size 0
		.amdhsa_kernarg_size 104
		.amdhsa_user_sgpr_count 6
		.amdhsa_user_sgpr_private_segment_buffer 1
		.amdhsa_user_sgpr_dispatch_ptr 0
		.amdhsa_user_sgpr_queue_ptr 0
		.amdhsa_user_sgpr_kernarg_segment_ptr 1
		.amdhsa_user_sgpr_dispatch_id 0
		.amdhsa_user_sgpr_flat_scratch_init 0
		.amdhsa_user_sgpr_kernarg_preload_length 0
		.amdhsa_user_sgpr_kernarg_preload_offset 0
		.amdhsa_user_sgpr_private_segment_size 0
		.amdhsa_uses_dynamic_stack 0
		.amdhsa_system_sgpr_private_segment_wavefront_offset 0
		.amdhsa_system_sgpr_workgroup_id_x 1
		.amdhsa_system_sgpr_workgroup_id_y 0
		.amdhsa_system_sgpr_workgroup_id_z 0
		.amdhsa_system_sgpr_workgroup_info 0
		.amdhsa_system_vgpr_workitem_id 0
		.amdhsa_next_free_vgpr 1
		.amdhsa_next_free_sgpr 0
		.amdhsa_accum_offset 4
		.amdhsa_reserve_vcc 0
		.amdhsa_reserve_flat_scratch 0
		.amdhsa_float_round_mode_32 0
		.amdhsa_float_round_mode_16_64 0
		.amdhsa_float_denorm_mode_32 3
		.amdhsa_float_denorm_mode_16_64 3
		.amdhsa_dx10_clamp 1
		.amdhsa_ieee_mode 1
		.amdhsa_fp16_overflow 0
		.amdhsa_tg_split 0
		.amdhsa_exception_fp_ieee_invalid_op 0
		.amdhsa_exception_fp_denorm_src 0
		.amdhsa_exception_fp_ieee_div_zero 0
		.amdhsa_exception_fp_ieee_overflow 0
		.amdhsa_exception_fp_ieee_underflow 0
		.amdhsa_exception_fp_ieee_inexact 0
		.amdhsa_exception_int_div_zero 0
	.end_amdhsa_kernel
	.section	.text._ZN7rocprim17ROCPRIM_400000_NS6detail17trampoline_kernelINS0_14default_configENS1_20scan_config_selectorIxEEZZNS1_9scan_implILNS1_25lookback_scan_determinismE0ELb0ELb0ES3_N6thrust23THRUST_200600_302600_NS6detail15normal_iteratorINS9_10device_ptrIxEEEESE_xNS9_4plusIvEExEEDaPvRmT3_T4_T5_mT6_P12ihipStream_tbENKUlT_T0_E_clISt17integral_constantIbLb1EEST_IbLb0EEEEDaSP_SQ_EUlSP_E_NS1_11comp_targetILNS1_3genE2ELNS1_11target_archE906ELNS1_3gpuE6ELNS1_3repE0EEENS1_30default_config_static_selectorELNS0_4arch9wavefront6targetE1EEEvT1_,"axG",@progbits,_ZN7rocprim17ROCPRIM_400000_NS6detail17trampoline_kernelINS0_14default_configENS1_20scan_config_selectorIxEEZZNS1_9scan_implILNS1_25lookback_scan_determinismE0ELb0ELb0ES3_N6thrust23THRUST_200600_302600_NS6detail15normal_iteratorINS9_10device_ptrIxEEEESE_xNS9_4plusIvEExEEDaPvRmT3_T4_T5_mT6_P12ihipStream_tbENKUlT_T0_E_clISt17integral_constantIbLb1EEST_IbLb0EEEEDaSP_SQ_EUlSP_E_NS1_11comp_targetILNS1_3genE2ELNS1_11target_archE906ELNS1_3gpuE6ELNS1_3repE0EEENS1_30default_config_static_selectorELNS0_4arch9wavefront6targetE1EEEvT1_,comdat
.Lfunc_end54:
	.size	_ZN7rocprim17ROCPRIM_400000_NS6detail17trampoline_kernelINS0_14default_configENS1_20scan_config_selectorIxEEZZNS1_9scan_implILNS1_25lookback_scan_determinismE0ELb0ELb0ES3_N6thrust23THRUST_200600_302600_NS6detail15normal_iteratorINS9_10device_ptrIxEEEESE_xNS9_4plusIvEExEEDaPvRmT3_T4_T5_mT6_P12ihipStream_tbENKUlT_T0_E_clISt17integral_constantIbLb1EEST_IbLb0EEEEDaSP_SQ_EUlSP_E_NS1_11comp_targetILNS1_3genE2ELNS1_11target_archE906ELNS1_3gpuE6ELNS1_3repE0EEENS1_30default_config_static_selectorELNS0_4arch9wavefront6targetE1EEEvT1_, .Lfunc_end54-_ZN7rocprim17ROCPRIM_400000_NS6detail17trampoline_kernelINS0_14default_configENS1_20scan_config_selectorIxEEZZNS1_9scan_implILNS1_25lookback_scan_determinismE0ELb0ELb0ES3_N6thrust23THRUST_200600_302600_NS6detail15normal_iteratorINS9_10device_ptrIxEEEESE_xNS9_4plusIvEExEEDaPvRmT3_T4_T5_mT6_P12ihipStream_tbENKUlT_T0_E_clISt17integral_constantIbLb1EEST_IbLb0EEEEDaSP_SQ_EUlSP_E_NS1_11comp_targetILNS1_3genE2ELNS1_11target_archE906ELNS1_3gpuE6ELNS1_3repE0EEENS1_30default_config_static_selectorELNS0_4arch9wavefront6targetE1EEEvT1_
                                        ; -- End function
	.section	.AMDGPU.csdata,"",@progbits
; Kernel info:
; codeLenInByte = 0
; NumSgprs: 4
; NumVgprs: 0
; NumAgprs: 0
; TotalNumVgprs: 0
; ScratchSize: 0
; MemoryBound: 0
; FloatMode: 240
; IeeeMode: 1
; LDSByteSize: 0 bytes/workgroup (compile time only)
; SGPRBlocks: 0
; VGPRBlocks: 0
; NumSGPRsForWavesPerEU: 4
; NumVGPRsForWavesPerEU: 1
; AccumOffset: 4
; Occupancy: 8
; WaveLimiterHint : 0
; COMPUTE_PGM_RSRC2:SCRATCH_EN: 0
; COMPUTE_PGM_RSRC2:USER_SGPR: 6
; COMPUTE_PGM_RSRC2:TRAP_HANDLER: 0
; COMPUTE_PGM_RSRC2:TGID_X_EN: 1
; COMPUTE_PGM_RSRC2:TGID_Y_EN: 0
; COMPUTE_PGM_RSRC2:TGID_Z_EN: 0
; COMPUTE_PGM_RSRC2:TIDIG_COMP_CNT: 0
; COMPUTE_PGM_RSRC3_GFX90A:ACCUM_OFFSET: 0
; COMPUTE_PGM_RSRC3_GFX90A:TG_SPLIT: 0
	.section	.text._ZN7rocprim17ROCPRIM_400000_NS6detail17trampoline_kernelINS0_14default_configENS1_20scan_config_selectorIxEEZZNS1_9scan_implILNS1_25lookback_scan_determinismE0ELb0ELb0ES3_N6thrust23THRUST_200600_302600_NS6detail15normal_iteratorINS9_10device_ptrIxEEEESE_xNS9_4plusIvEExEEDaPvRmT3_T4_T5_mT6_P12ihipStream_tbENKUlT_T0_E_clISt17integral_constantIbLb1EEST_IbLb0EEEEDaSP_SQ_EUlSP_E_NS1_11comp_targetILNS1_3genE10ELNS1_11target_archE1201ELNS1_3gpuE5ELNS1_3repE0EEENS1_30default_config_static_selectorELNS0_4arch9wavefront6targetE1EEEvT1_,"axG",@progbits,_ZN7rocprim17ROCPRIM_400000_NS6detail17trampoline_kernelINS0_14default_configENS1_20scan_config_selectorIxEEZZNS1_9scan_implILNS1_25lookback_scan_determinismE0ELb0ELb0ES3_N6thrust23THRUST_200600_302600_NS6detail15normal_iteratorINS9_10device_ptrIxEEEESE_xNS9_4plusIvEExEEDaPvRmT3_T4_T5_mT6_P12ihipStream_tbENKUlT_T0_E_clISt17integral_constantIbLb1EEST_IbLb0EEEEDaSP_SQ_EUlSP_E_NS1_11comp_targetILNS1_3genE10ELNS1_11target_archE1201ELNS1_3gpuE5ELNS1_3repE0EEENS1_30default_config_static_selectorELNS0_4arch9wavefront6targetE1EEEvT1_,comdat
	.protected	_ZN7rocprim17ROCPRIM_400000_NS6detail17trampoline_kernelINS0_14default_configENS1_20scan_config_selectorIxEEZZNS1_9scan_implILNS1_25lookback_scan_determinismE0ELb0ELb0ES3_N6thrust23THRUST_200600_302600_NS6detail15normal_iteratorINS9_10device_ptrIxEEEESE_xNS9_4plusIvEExEEDaPvRmT3_T4_T5_mT6_P12ihipStream_tbENKUlT_T0_E_clISt17integral_constantIbLb1EEST_IbLb0EEEEDaSP_SQ_EUlSP_E_NS1_11comp_targetILNS1_3genE10ELNS1_11target_archE1201ELNS1_3gpuE5ELNS1_3repE0EEENS1_30default_config_static_selectorELNS0_4arch9wavefront6targetE1EEEvT1_ ; -- Begin function _ZN7rocprim17ROCPRIM_400000_NS6detail17trampoline_kernelINS0_14default_configENS1_20scan_config_selectorIxEEZZNS1_9scan_implILNS1_25lookback_scan_determinismE0ELb0ELb0ES3_N6thrust23THRUST_200600_302600_NS6detail15normal_iteratorINS9_10device_ptrIxEEEESE_xNS9_4plusIvEExEEDaPvRmT3_T4_T5_mT6_P12ihipStream_tbENKUlT_T0_E_clISt17integral_constantIbLb1EEST_IbLb0EEEEDaSP_SQ_EUlSP_E_NS1_11comp_targetILNS1_3genE10ELNS1_11target_archE1201ELNS1_3gpuE5ELNS1_3repE0EEENS1_30default_config_static_selectorELNS0_4arch9wavefront6targetE1EEEvT1_
	.globl	_ZN7rocprim17ROCPRIM_400000_NS6detail17trampoline_kernelINS0_14default_configENS1_20scan_config_selectorIxEEZZNS1_9scan_implILNS1_25lookback_scan_determinismE0ELb0ELb0ES3_N6thrust23THRUST_200600_302600_NS6detail15normal_iteratorINS9_10device_ptrIxEEEESE_xNS9_4plusIvEExEEDaPvRmT3_T4_T5_mT6_P12ihipStream_tbENKUlT_T0_E_clISt17integral_constantIbLb1EEST_IbLb0EEEEDaSP_SQ_EUlSP_E_NS1_11comp_targetILNS1_3genE10ELNS1_11target_archE1201ELNS1_3gpuE5ELNS1_3repE0EEENS1_30default_config_static_selectorELNS0_4arch9wavefront6targetE1EEEvT1_
	.p2align	8
	.type	_ZN7rocprim17ROCPRIM_400000_NS6detail17trampoline_kernelINS0_14default_configENS1_20scan_config_selectorIxEEZZNS1_9scan_implILNS1_25lookback_scan_determinismE0ELb0ELb0ES3_N6thrust23THRUST_200600_302600_NS6detail15normal_iteratorINS9_10device_ptrIxEEEESE_xNS9_4plusIvEExEEDaPvRmT3_T4_T5_mT6_P12ihipStream_tbENKUlT_T0_E_clISt17integral_constantIbLb1EEST_IbLb0EEEEDaSP_SQ_EUlSP_E_NS1_11comp_targetILNS1_3genE10ELNS1_11target_archE1201ELNS1_3gpuE5ELNS1_3repE0EEENS1_30default_config_static_selectorELNS0_4arch9wavefront6targetE1EEEvT1_,@function
_ZN7rocprim17ROCPRIM_400000_NS6detail17trampoline_kernelINS0_14default_configENS1_20scan_config_selectorIxEEZZNS1_9scan_implILNS1_25lookback_scan_determinismE0ELb0ELb0ES3_N6thrust23THRUST_200600_302600_NS6detail15normal_iteratorINS9_10device_ptrIxEEEESE_xNS9_4plusIvEExEEDaPvRmT3_T4_T5_mT6_P12ihipStream_tbENKUlT_T0_E_clISt17integral_constantIbLb1EEST_IbLb0EEEEDaSP_SQ_EUlSP_E_NS1_11comp_targetILNS1_3genE10ELNS1_11target_archE1201ELNS1_3gpuE5ELNS1_3repE0EEENS1_30default_config_static_selectorELNS0_4arch9wavefront6targetE1EEEvT1_: ; @_ZN7rocprim17ROCPRIM_400000_NS6detail17trampoline_kernelINS0_14default_configENS1_20scan_config_selectorIxEEZZNS1_9scan_implILNS1_25lookback_scan_determinismE0ELb0ELb0ES3_N6thrust23THRUST_200600_302600_NS6detail15normal_iteratorINS9_10device_ptrIxEEEESE_xNS9_4plusIvEExEEDaPvRmT3_T4_T5_mT6_P12ihipStream_tbENKUlT_T0_E_clISt17integral_constantIbLb1EEST_IbLb0EEEEDaSP_SQ_EUlSP_E_NS1_11comp_targetILNS1_3genE10ELNS1_11target_archE1201ELNS1_3gpuE5ELNS1_3repE0EEENS1_30default_config_static_selectorELNS0_4arch9wavefront6targetE1EEEvT1_
; %bb.0:
	.section	.rodata,"a",@progbits
	.p2align	6, 0x0
	.amdhsa_kernel _ZN7rocprim17ROCPRIM_400000_NS6detail17trampoline_kernelINS0_14default_configENS1_20scan_config_selectorIxEEZZNS1_9scan_implILNS1_25lookback_scan_determinismE0ELb0ELb0ES3_N6thrust23THRUST_200600_302600_NS6detail15normal_iteratorINS9_10device_ptrIxEEEESE_xNS9_4plusIvEExEEDaPvRmT3_T4_T5_mT6_P12ihipStream_tbENKUlT_T0_E_clISt17integral_constantIbLb1EEST_IbLb0EEEEDaSP_SQ_EUlSP_E_NS1_11comp_targetILNS1_3genE10ELNS1_11target_archE1201ELNS1_3gpuE5ELNS1_3repE0EEENS1_30default_config_static_selectorELNS0_4arch9wavefront6targetE1EEEvT1_
		.amdhsa_group_segment_fixed_size 0
		.amdhsa_private_segment_fixed_size 0
		.amdhsa_kernarg_size 104
		.amdhsa_user_sgpr_count 6
		.amdhsa_user_sgpr_private_segment_buffer 1
		.amdhsa_user_sgpr_dispatch_ptr 0
		.amdhsa_user_sgpr_queue_ptr 0
		.amdhsa_user_sgpr_kernarg_segment_ptr 1
		.amdhsa_user_sgpr_dispatch_id 0
		.amdhsa_user_sgpr_flat_scratch_init 0
		.amdhsa_user_sgpr_kernarg_preload_length 0
		.amdhsa_user_sgpr_kernarg_preload_offset 0
		.amdhsa_user_sgpr_private_segment_size 0
		.amdhsa_uses_dynamic_stack 0
		.amdhsa_system_sgpr_private_segment_wavefront_offset 0
		.amdhsa_system_sgpr_workgroup_id_x 1
		.amdhsa_system_sgpr_workgroup_id_y 0
		.amdhsa_system_sgpr_workgroup_id_z 0
		.amdhsa_system_sgpr_workgroup_info 0
		.amdhsa_system_vgpr_workitem_id 0
		.amdhsa_next_free_vgpr 1
		.amdhsa_next_free_sgpr 0
		.amdhsa_accum_offset 4
		.amdhsa_reserve_vcc 0
		.amdhsa_reserve_flat_scratch 0
		.amdhsa_float_round_mode_32 0
		.amdhsa_float_round_mode_16_64 0
		.amdhsa_float_denorm_mode_32 3
		.amdhsa_float_denorm_mode_16_64 3
		.amdhsa_dx10_clamp 1
		.amdhsa_ieee_mode 1
		.amdhsa_fp16_overflow 0
		.amdhsa_tg_split 0
		.amdhsa_exception_fp_ieee_invalid_op 0
		.amdhsa_exception_fp_denorm_src 0
		.amdhsa_exception_fp_ieee_div_zero 0
		.amdhsa_exception_fp_ieee_overflow 0
		.amdhsa_exception_fp_ieee_underflow 0
		.amdhsa_exception_fp_ieee_inexact 0
		.amdhsa_exception_int_div_zero 0
	.end_amdhsa_kernel
	.section	.text._ZN7rocprim17ROCPRIM_400000_NS6detail17trampoline_kernelINS0_14default_configENS1_20scan_config_selectorIxEEZZNS1_9scan_implILNS1_25lookback_scan_determinismE0ELb0ELb0ES3_N6thrust23THRUST_200600_302600_NS6detail15normal_iteratorINS9_10device_ptrIxEEEESE_xNS9_4plusIvEExEEDaPvRmT3_T4_T5_mT6_P12ihipStream_tbENKUlT_T0_E_clISt17integral_constantIbLb1EEST_IbLb0EEEEDaSP_SQ_EUlSP_E_NS1_11comp_targetILNS1_3genE10ELNS1_11target_archE1201ELNS1_3gpuE5ELNS1_3repE0EEENS1_30default_config_static_selectorELNS0_4arch9wavefront6targetE1EEEvT1_,"axG",@progbits,_ZN7rocprim17ROCPRIM_400000_NS6detail17trampoline_kernelINS0_14default_configENS1_20scan_config_selectorIxEEZZNS1_9scan_implILNS1_25lookback_scan_determinismE0ELb0ELb0ES3_N6thrust23THRUST_200600_302600_NS6detail15normal_iteratorINS9_10device_ptrIxEEEESE_xNS9_4plusIvEExEEDaPvRmT3_T4_T5_mT6_P12ihipStream_tbENKUlT_T0_E_clISt17integral_constantIbLb1EEST_IbLb0EEEEDaSP_SQ_EUlSP_E_NS1_11comp_targetILNS1_3genE10ELNS1_11target_archE1201ELNS1_3gpuE5ELNS1_3repE0EEENS1_30default_config_static_selectorELNS0_4arch9wavefront6targetE1EEEvT1_,comdat
.Lfunc_end55:
	.size	_ZN7rocprim17ROCPRIM_400000_NS6detail17trampoline_kernelINS0_14default_configENS1_20scan_config_selectorIxEEZZNS1_9scan_implILNS1_25lookback_scan_determinismE0ELb0ELb0ES3_N6thrust23THRUST_200600_302600_NS6detail15normal_iteratorINS9_10device_ptrIxEEEESE_xNS9_4plusIvEExEEDaPvRmT3_T4_T5_mT6_P12ihipStream_tbENKUlT_T0_E_clISt17integral_constantIbLb1EEST_IbLb0EEEEDaSP_SQ_EUlSP_E_NS1_11comp_targetILNS1_3genE10ELNS1_11target_archE1201ELNS1_3gpuE5ELNS1_3repE0EEENS1_30default_config_static_selectorELNS0_4arch9wavefront6targetE1EEEvT1_, .Lfunc_end55-_ZN7rocprim17ROCPRIM_400000_NS6detail17trampoline_kernelINS0_14default_configENS1_20scan_config_selectorIxEEZZNS1_9scan_implILNS1_25lookback_scan_determinismE0ELb0ELb0ES3_N6thrust23THRUST_200600_302600_NS6detail15normal_iteratorINS9_10device_ptrIxEEEESE_xNS9_4plusIvEExEEDaPvRmT3_T4_T5_mT6_P12ihipStream_tbENKUlT_T0_E_clISt17integral_constantIbLb1EEST_IbLb0EEEEDaSP_SQ_EUlSP_E_NS1_11comp_targetILNS1_3genE10ELNS1_11target_archE1201ELNS1_3gpuE5ELNS1_3repE0EEENS1_30default_config_static_selectorELNS0_4arch9wavefront6targetE1EEEvT1_
                                        ; -- End function
	.section	.AMDGPU.csdata,"",@progbits
; Kernel info:
; codeLenInByte = 0
; NumSgprs: 4
; NumVgprs: 0
; NumAgprs: 0
; TotalNumVgprs: 0
; ScratchSize: 0
; MemoryBound: 0
; FloatMode: 240
; IeeeMode: 1
; LDSByteSize: 0 bytes/workgroup (compile time only)
; SGPRBlocks: 0
; VGPRBlocks: 0
; NumSGPRsForWavesPerEU: 4
; NumVGPRsForWavesPerEU: 1
; AccumOffset: 4
; Occupancy: 8
; WaveLimiterHint : 0
; COMPUTE_PGM_RSRC2:SCRATCH_EN: 0
; COMPUTE_PGM_RSRC2:USER_SGPR: 6
; COMPUTE_PGM_RSRC2:TRAP_HANDLER: 0
; COMPUTE_PGM_RSRC2:TGID_X_EN: 1
; COMPUTE_PGM_RSRC2:TGID_Y_EN: 0
; COMPUTE_PGM_RSRC2:TGID_Z_EN: 0
; COMPUTE_PGM_RSRC2:TIDIG_COMP_CNT: 0
; COMPUTE_PGM_RSRC3_GFX90A:ACCUM_OFFSET: 0
; COMPUTE_PGM_RSRC3_GFX90A:TG_SPLIT: 0
	.section	.text._ZN7rocprim17ROCPRIM_400000_NS6detail17trampoline_kernelINS0_14default_configENS1_20scan_config_selectorIxEEZZNS1_9scan_implILNS1_25lookback_scan_determinismE0ELb0ELb0ES3_N6thrust23THRUST_200600_302600_NS6detail15normal_iteratorINS9_10device_ptrIxEEEESE_xNS9_4plusIvEExEEDaPvRmT3_T4_T5_mT6_P12ihipStream_tbENKUlT_T0_E_clISt17integral_constantIbLb1EEST_IbLb0EEEEDaSP_SQ_EUlSP_E_NS1_11comp_targetILNS1_3genE10ELNS1_11target_archE1200ELNS1_3gpuE4ELNS1_3repE0EEENS1_30default_config_static_selectorELNS0_4arch9wavefront6targetE1EEEvT1_,"axG",@progbits,_ZN7rocprim17ROCPRIM_400000_NS6detail17trampoline_kernelINS0_14default_configENS1_20scan_config_selectorIxEEZZNS1_9scan_implILNS1_25lookback_scan_determinismE0ELb0ELb0ES3_N6thrust23THRUST_200600_302600_NS6detail15normal_iteratorINS9_10device_ptrIxEEEESE_xNS9_4plusIvEExEEDaPvRmT3_T4_T5_mT6_P12ihipStream_tbENKUlT_T0_E_clISt17integral_constantIbLb1EEST_IbLb0EEEEDaSP_SQ_EUlSP_E_NS1_11comp_targetILNS1_3genE10ELNS1_11target_archE1200ELNS1_3gpuE4ELNS1_3repE0EEENS1_30default_config_static_selectorELNS0_4arch9wavefront6targetE1EEEvT1_,comdat
	.protected	_ZN7rocprim17ROCPRIM_400000_NS6detail17trampoline_kernelINS0_14default_configENS1_20scan_config_selectorIxEEZZNS1_9scan_implILNS1_25lookback_scan_determinismE0ELb0ELb0ES3_N6thrust23THRUST_200600_302600_NS6detail15normal_iteratorINS9_10device_ptrIxEEEESE_xNS9_4plusIvEExEEDaPvRmT3_T4_T5_mT6_P12ihipStream_tbENKUlT_T0_E_clISt17integral_constantIbLb1EEST_IbLb0EEEEDaSP_SQ_EUlSP_E_NS1_11comp_targetILNS1_3genE10ELNS1_11target_archE1200ELNS1_3gpuE4ELNS1_3repE0EEENS1_30default_config_static_selectorELNS0_4arch9wavefront6targetE1EEEvT1_ ; -- Begin function _ZN7rocprim17ROCPRIM_400000_NS6detail17trampoline_kernelINS0_14default_configENS1_20scan_config_selectorIxEEZZNS1_9scan_implILNS1_25lookback_scan_determinismE0ELb0ELb0ES3_N6thrust23THRUST_200600_302600_NS6detail15normal_iteratorINS9_10device_ptrIxEEEESE_xNS9_4plusIvEExEEDaPvRmT3_T4_T5_mT6_P12ihipStream_tbENKUlT_T0_E_clISt17integral_constantIbLb1EEST_IbLb0EEEEDaSP_SQ_EUlSP_E_NS1_11comp_targetILNS1_3genE10ELNS1_11target_archE1200ELNS1_3gpuE4ELNS1_3repE0EEENS1_30default_config_static_selectorELNS0_4arch9wavefront6targetE1EEEvT1_
	.globl	_ZN7rocprim17ROCPRIM_400000_NS6detail17trampoline_kernelINS0_14default_configENS1_20scan_config_selectorIxEEZZNS1_9scan_implILNS1_25lookback_scan_determinismE0ELb0ELb0ES3_N6thrust23THRUST_200600_302600_NS6detail15normal_iteratorINS9_10device_ptrIxEEEESE_xNS9_4plusIvEExEEDaPvRmT3_T4_T5_mT6_P12ihipStream_tbENKUlT_T0_E_clISt17integral_constantIbLb1EEST_IbLb0EEEEDaSP_SQ_EUlSP_E_NS1_11comp_targetILNS1_3genE10ELNS1_11target_archE1200ELNS1_3gpuE4ELNS1_3repE0EEENS1_30default_config_static_selectorELNS0_4arch9wavefront6targetE1EEEvT1_
	.p2align	8
	.type	_ZN7rocprim17ROCPRIM_400000_NS6detail17trampoline_kernelINS0_14default_configENS1_20scan_config_selectorIxEEZZNS1_9scan_implILNS1_25lookback_scan_determinismE0ELb0ELb0ES3_N6thrust23THRUST_200600_302600_NS6detail15normal_iteratorINS9_10device_ptrIxEEEESE_xNS9_4plusIvEExEEDaPvRmT3_T4_T5_mT6_P12ihipStream_tbENKUlT_T0_E_clISt17integral_constantIbLb1EEST_IbLb0EEEEDaSP_SQ_EUlSP_E_NS1_11comp_targetILNS1_3genE10ELNS1_11target_archE1200ELNS1_3gpuE4ELNS1_3repE0EEENS1_30default_config_static_selectorELNS0_4arch9wavefront6targetE1EEEvT1_,@function
_ZN7rocprim17ROCPRIM_400000_NS6detail17trampoline_kernelINS0_14default_configENS1_20scan_config_selectorIxEEZZNS1_9scan_implILNS1_25lookback_scan_determinismE0ELb0ELb0ES3_N6thrust23THRUST_200600_302600_NS6detail15normal_iteratorINS9_10device_ptrIxEEEESE_xNS9_4plusIvEExEEDaPvRmT3_T4_T5_mT6_P12ihipStream_tbENKUlT_T0_E_clISt17integral_constantIbLb1EEST_IbLb0EEEEDaSP_SQ_EUlSP_E_NS1_11comp_targetILNS1_3genE10ELNS1_11target_archE1200ELNS1_3gpuE4ELNS1_3repE0EEENS1_30default_config_static_selectorELNS0_4arch9wavefront6targetE1EEEvT1_: ; @_ZN7rocprim17ROCPRIM_400000_NS6detail17trampoline_kernelINS0_14default_configENS1_20scan_config_selectorIxEEZZNS1_9scan_implILNS1_25lookback_scan_determinismE0ELb0ELb0ES3_N6thrust23THRUST_200600_302600_NS6detail15normal_iteratorINS9_10device_ptrIxEEEESE_xNS9_4plusIvEExEEDaPvRmT3_T4_T5_mT6_P12ihipStream_tbENKUlT_T0_E_clISt17integral_constantIbLb1EEST_IbLb0EEEEDaSP_SQ_EUlSP_E_NS1_11comp_targetILNS1_3genE10ELNS1_11target_archE1200ELNS1_3gpuE4ELNS1_3repE0EEENS1_30default_config_static_selectorELNS0_4arch9wavefront6targetE1EEEvT1_
; %bb.0:
	.section	.rodata,"a",@progbits
	.p2align	6, 0x0
	.amdhsa_kernel _ZN7rocprim17ROCPRIM_400000_NS6detail17trampoline_kernelINS0_14default_configENS1_20scan_config_selectorIxEEZZNS1_9scan_implILNS1_25lookback_scan_determinismE0ELb0ELb0ES3_N6thrust23THRUST_200600_302600_NS6detail15normal_iteratorINS9_10device_ptrIxEEEESE_xNS9_4plusIvEExEEDaPvRmT3_T4_T5_mT6_P12ihipStream_tbENKUlT_T0_E_clISt17integral_constantIbLb1EEST_IbLb0EEEEDaSP_SQ_EUlSP_E_NS1_11comp_targetILNS1_3genE10ELNS1_11target_archE1200ELNS1_3gpuE4ELNS1_3repE0EEENS1_30default_config_static_selectorELNS0_4arch9wavefront6targetE1EEEvT1_
		.amdhsa_group_segment_fixed_size 0
		.amdhsa_private_segment_fixed_size 0
		.amdhsa_kernarg_size 104
		.amdhsa_user_sgpr_count 6
		.amdhsa_user_sgpr_private_segment_buffer 1
		.amdhsa_user_sgpr_dispatch_ptr 0
		.amdhsa_user_sgpr_queue_ptr 0
		.amdhsa_user_sgpr_kernarg_segment_ptr 1
		.amdhsa_user_sgpr_dispatch_id 0
		.amdhsa_user_sgpr_flat_scratch_init 0
		.amdhsa_user_sgpr_kernarg_preload_length 0
		.amdhsa_user_sgpr_kernarg_preload_offset 0
		.amdhsa_user_sgpr_private_segment_size 0
		.amdhsa_uses_dynamic_stack 0
		.amdhsa_system_sgpr_private_segment_wavefront_offset 0
		.amdhsa_system_sgpr_workgroup_id_x 1
		.amdhsa_system_sgpr_workgroup_id_y 0
		.amdhsa_system_sgpr_workgroup_id_z 0
		.amdhsa_system_sgpr_workgroup_info 0
		.amdhsa_system_vgpr_workitem_id 0
		.amdhsa_next_free_vgpr 1
		.amdhsa_next_free_sgpr 0
		.amdhsa_accum_offset 4
		.amdhsa_reserve_vcc 0
		.amdhsa_reserve_flat_scratch 0
		.amdhsa_float_round_mode_32 0
		.amdhsa_float_round_mode_16_64 0
		.amdhsa_float_denorm_mode_32 3
		.amdhsa_float_denorm_mode_16_64 3
		.amdhsa_dx10_clamp 1
		.amdhsa_ieee_mode 1
		.amdhsa_fp16_overflow 0
		.amdhsa_tg_split 0
		.amdhsa_exception_fp_ieee_invalid_op 0
		.amdhsa_exception_fp_denorm_src 0
		.amdhsa_exception_fp_ieee_div_zero 0
		.amdhsa_exception_fp_ieee_overflow 0
		.amdhsa_exception_fp_ieee_underflow 0
		.amdhsa_exception_fp_ieee_inexact 0
		.amdhsa_exception_int_div_zero 0
	.end_amdhsa_kernel
	.section	.text._ZN7rocprim17ROCPRIM_400000_NS6detail17trampoline_kernelINS0_14default_configENS1_20scan_config_selectorIxEEZZNS1_9scan_implILNS1_25lookback_scan_determinismE0ELb0ELb0ES3_N6thrust23THRUST_200600_302600_NS6detail15normal_iteratorINS9_10device_ptrIxEEEESE_xNS9_4plusIvEExEEDaPvRmT3_T4_T5_mT6_P12ihipStream_tbENKUlT_T0_E_clISt17integral_constantIbLb1EEST_IbLb0EEEEDaSP_SQ_EUlSP_E_NS1_11comp_targetILNS1_3genE10ELNS1_11target_archE1200ELNS1_3gpuE4ELNS1_3repE0EEENS1_30default_config_static_selectorELNS0_4arch9wavefront6targetE1EEEvT1_,"axG",@progbits,_ZN7rocprim17ROCPRIM_400000_NS6detail17trampoline_kernelINS0_14default_configENS1_20scan_config_selectorIxEEZZNS1_9scan_implILNS1_25lookback_scan_determinismE0ELb0ELb0ES3_N6thrust23THRUST_200600_302600_NS6detail15normal_iteratorINS9_10device_ptrIxEEEESE_xNS9_4plusIvEExEEDaPvRmT3_T4_T5_mT6_P12ihipStream_tbENKUlT_T0_E_clISt17integral_constantIbLb1EEST_IbLb0EEEEDaSP_SQ_EUlSP_E_NS1_11comp_targetILNS1_3genE10ELNS1_11target_archE1200ELNS1_3gpuE4ELNS1_3repE0EEENS1_30default_config_static_selectorELNS0_4arch9wavefront6targetE1EEEvT1_,comdat
.Lfunc_end56:
	.size	_ZN7rocprim17ROCPRIM_400000_NS6detail17trampoline_kernelINS0_14default_configENS1_20scan_config_selectorIxEEZZNS1_9scan_implILNS1_25lookback_scan_determinismE0ELb0ELb0ES3_N6thrust23THRUST_200600_302600_NS6detail15normal_iteratorINS9_10device_ptrIxEEEESE_xNS9_4plusIvEExEEDaPvRmT3_T4_T5_mT6_P12ihipStream_tbENKUlT_T0_E_clISt17integral_constantIbLb1EEST_IbLb0EEEEDaSP_SQ_EUlSP_E_NS1_11comp_targetILNS1_3genE10ELNS1_11target_archE1200ELNS1_3gpuE4ELNS1_3repE0EEENS1_30default_config_static_selectorELNS0_4arch9wavefront6targetE1EEEvT1_, .Lfunc_end56-_ZN7rocprim17ROCPRIM_400000_NS6detail17trampoline_kernelINS0_14default_configENS1_20scan_config_selectorIxEEZZNS1_9scan_implILNS1_25lookback_scan_determinismE0ELb0ELb0ES3_N6thrust23THRUST_200600_302600_NS6detail15normal_iteratorINS9_10device_ptrIxEEEESE_xNS9_4plusIvEExEEDaPvRmT3_T4_T5_mT6_P12ihipStream_tbENKUlT_T0_E_clISt17integral_constantIbLb1EEST_IbLb0EEEEDaSP_SQ_EUlSP_E_NS1_11comp_targetILNS1_3genE10ELNS1_11target_archE1200ELNS1_3gpuE4ELNS1_3repE0EEENS1_30default_config_static_selectorELNS0_4arch9wavefront6targetE1EEEvT1_
                                        ; -- End function
	.section	.AMDGPU.csdata,"",@progbits
; Kernel info:
; codeLenInByte = 0
; NumSgprs: 4
; NumVgprs: 0
; NumAgprs: 0
; TotalNumVgprs: 0
; ScratchSize: 0
; MemoryBound: 0
; FloatMode: 240
; IeeeMode: 1
; LDSByteSize: 0 bytes/workgroup (compile time only)
; SGPRBlocks: 0
; VGPRBlocks: 0
; NumSGPRsForWavesPerEU: 4
; NumVGPRsForWavesPerEU: 1
; AccumOffset: 4
; Occupancy: 8
; WaveLimiterHint : 0
; COMPUTE_PGM_RSRC2:SCRATCH_EN: 0
; COMPUTE_PGM_RSRC2:USER_SGPR: 6
; COMPUTE_PGM_RSRC2:TRAP_HANDLER: 0
; COMPUTE_PGM_RSRC2:TGID_X_EN: 1
; COMPUTE_PGM_RSRC2:TGID_Y_EN: 0
; COMPUTE_PGM_RSRC2:TGID_Z_EN: 0
; COMPUTE_PGM_RSRC2:TIDIG_COMP_CNT: 0
; COMPUTE_PGM_RSRC3_GFX90A:ACCUM_OFFSET: 0
; COMPUTE_PGM_RSRC3_GFX90A:TG_SPLIT: 0
	.section	.text._ZN7rocprim17ROCPRIM_400000_NS6detail17trampoline_kernelINS0_14default_configENS1_20scan_config_selectorIxEEZZNS1_9scan_implILNS1_25lookback_scan_determinismE0ELb0ELb0ES3_N6thrust23THRUST_200600_302600_NS6detail15normal_iteratorINS9_10device_ptrIxEEEESE_xNS9_4plusIvEExEEDaPvRmT3_T4_T5_mT6_P12ihipStream_tbENKUlT_T0_E_clISt17integral_constantIbLb1EEST_IbLb0EEEEDaSP_SQ_EUlSP_E_NS1_11comp_targetILNS1_3genE9ELNS1_11target_archE1100ELNS1_3gpuE3ELNS1_3repE0EEENS1_30default_config_static_selectorELNS0_4arch9wavefront6targetE1EEEvT1_,"axG",@progbits,_ZN7rocprim17ROCPRIM_400000_NS6detail17trampoline_kernelINS0_14default_configENS1_20scan_config_selectorIxEEZZNS1_9scan_implILNS1_25lookback_scan_determinismE0ELb0ELb0ES3_N6thrust23THRUST_200600_302600_NS6detail15normal_iteratorINS9_10device_ptrIxEEEESE_xNS9_4plusIvEExEEDaPvRmT3_T4_T5_mT6_P12ihipStream_tbENKUlT_T0_E_clISt17integral_constantIbLb1EEST_IbLb0EEEEDaSP_SQ_EUlSP_E_NS1_11comp_targetILNS1_3genE9ELNS1_11target_archE1100ELNS1_3gpuE3ELNS1_3repE0EEENS1_30default_config_static_selectorELNS0_4arch9wavefront6targetE1EEEvT1_,comdat
	.protected	_ZN7rocprim17ROCPRIM_400000_NS6detail17trampoline_kernelINS0_14default_configENS1_20scan_config_selectorIxEEZZNS1_9scan_implILNS1_25lookback_scan_determinismE0ELb0ELb0ES3_N6thrust23THRUST_200600_302600_NS6detail15normal_iteratorINS9_10device_ptrIxEEEESE_xNS9_4plusIvEExEEDaPvRmT3_T4_T5_mT6_P12ihipStream_tbENKUlT_T0_E_clISt17integral_constantIbLb1EEST_IbLb0EEEEDaSP_SQ_EUlSP_E_NS1_11comp_targetILNS1_3genE9ELNS1_11target_archE1100ELNS1_3gpuE3ELNS1_3repE0EEENS1_30default_config_static_selectorELNS0_4arch9wavefront6targetE1EEEvT1_ ; -- Begin function _ZN7rocprim17ROCPRIM_400000_NS6detail17trampoline_kernelINS0_14default_configENS1_20scan_config_selectorIxEEZZNS1_9scan_implILNS1_25lookback_scan_determinismE0ELb0ELb0ES3_N6thrust23THRUST_200600_302600_NS6detail15normal_iteratorINS9_10device_ptrIxEEEESE_xNS9_4plusIvEExEEDaPvRmT3_T4_T5_mT6_P12ihipStream_tbENKUlT_T0_E_clISt17integral_constantIbLb1EEST_IbLb0EEEEDaSP_SQ_EUlSP_E_NS1_11comp_targetILNS1_3genE9ELNS1_11target_archE1100ELNS1_3gpuE3ELNS1_3repE0EEENS1_30default_config_static_selectorELNS0_4arch9wavefront6targetE1EEEvT1_
	.globl	_ZN7rocprim17ROCPRIM_400000_NS6detail17trampoline_kernelINS0_14default_configENS1_20scan_config_selectorIxEEZZNS1_9scan_implILNS1_25lookback_scan_determinismE0ELb0ELb0ES3_N6thrust23THRUST_200600_302600_NS6detail15normal_iteratorINS9_10device_ptrIxEEEESE_xNS9_4plusIvEExEEDaPvRmT3_T4_T5_mT6_P12ihipStream_tbENKUlT_T0_E_clISt17integral_constantIbLb1EEST_IbLb0EEEEDaSP_SQ_EUlSP_E_NS1_11comp_targetILNS1_3genE9ELNS1_11target_archE1100ELNS1_3gpuE3ELNS1_3repE0EEENS1_30default_config_static_selectorELNS0_4arch9wavefront6targetE1EEEvT1_
	.p2align	8
	.type	_ZN7rocprim17ROCPRIM_400000_NS6detail17trampoline_kernelINS0_14default_configENS1_20scan_config_selectorIxEEZZNS1_9scan_implILNS1_25lookback_scan_determinismE0ELb0ELb0ES3_N6thrust23THRUST_200600_302600_NS6detail15normal_iteratorINS9_10device_ptrIxEEEESE_xNS9_4plusIvEExEEDaPvRmT3_T4_T5_mT6_P12ihipStream_tbENKUlT_T0_E_clISt17integral_constantIbLb1EEST_IbLb0EEEEDaSP_SQ_EUlSP_E_NS1_11comp_targetILNS1_3genE9ELNS1_11target_archE1100ELNS1_3gpuE3ELNS1_3repE0EEENS1_30default_config_static_selectorELNS0_4arch9wavefront6targetE1EEEvT1_,@function
_ZN7rocprim17ROCPRIM_400000_NS6detail17trampoline_kernelINS0_14default_configENS1_20scan_config_selectorIxEEZZNS1_9scan_implILNS1_25lookback_scan_determinismE0ELb0ELb0ES3_N6thrust23THRUST_200600_302600_NS6detail15normal_iteratorINS9_10device_ptrIxEEEESE_xNS9_4plusIvEExEEDaPvRmT3_T4_T5_mT6_P12ihipStream_tbENKUlT_T0_E_clISt17integral_constantIbLb1EEST_IbLb0EEEEDaSP_SQ_EUlSP_E_NS1_11comp_targetILNS1_3genE9ELNS1_11target_archE1100ELNS1_3gpuE3ELNS1_3repE0EEENS1_30default_config_static_selectorELNS0_4arch9wavefront6targetE1EEEvT1_: ; @_ZN7rocprim17ROCPRIM_400000_NS6detail17trampoline_kernelINS0_14default_configENS1_20scan_config_selectorIxEEZZNS1_9scan_implILNS1_25lookback_scan_determinismE0ELb0ELb0ES3_N6thrust23THRUST_200600_302600_NS6detail15normal_iteratorINS9_10device_ptrIxEEEESE_xNS9_4plusIvEExEEDaPvRmT3_T4_T5_mT6_P12ihipStream_tbENKUlT_T0_E_clISt17integral_constantIbLb1EEST_IbLb0EEEEDaSP_SQ_EUlSP_E_NS1_11comp_targetILNS1_3genE9ELNS1_11target_archE1100ELNS1_3gpuE3ELNS1_3repE0EEENS1_30default_config_static_selectorELNS0_4arch9wavefront6targetE1EEEvT1_
; %bb.0:
	.section	.rodata,"a",@progbits
	.p2align	6, 0x0
	.amdhsa_kernel _ZN7rocprim17ROCPRIM_400000_NS6detail17trampoline_kernelINS0_14default_configENS1_20scan_config_selectorIxEEZZNS1_9scan_implILNS1_25lookback_scan_determinismE0ELb0ELb0ES3_N6thrust23THRUST_200600_302600_NS6detail15normal_iteratorINS9_10device_ptrIxEEEESE_xNS9_4plusIvEExEEDaPvRmT3_T4_T5_mT6_P12ihipStream_tbENKUlT_T0_E_clISt17integral_constantIbLb1EEST_IbLb0EEEEDaSP_SQ_EUlSP_E_NS1_11comp_targetILNS1_3genE9ELNS1_11target_archE1100ELNS1_3gpuE3ELNS1_3repE0EEENS1_30default_config_static_selectorELNS0_4arch9wavefront6targetE1EEEvT1_
		.amdhsa_group_segment_fixed_size 0
		.amdhsa_private_segment_fixed_size 0
		.amdhsa_kernarg_size 104
		.amdhsa_user_sgpr_count 6
		.amdhsa_user_sgpr_private_segment_buffer 1
		.amdhsa_user_sgpr_dispatch_ptr 0
		.amdhsa_user_sgpr_queue_ptr 0
		.amdhsa_user_sgpr_kernarg_segment_ptr 1
		.amdhsa_user_sgpr_dispatch_id 0
		.amdhsa_user_sgpr_flat_scratch_init 0
		.amdhsa_user_sgpr_kernarg_preload_length 0
		.amdhsa_user_sgpr_kernarg_preload_offset 0
		.amdhsa_user_sgpr_private_segment_size 0
		.amdhsa_uses_dynamic_stack 0
		.amdhsa_system_sgpr_private_segment_wavefront_offset 0
		.amdhsa_system_sgpr_workgroup_id_x 1
		.amdhsa_system_sgpr_workgroup_id_y 0
		.amdhsa_system_sgpr_workgroup_id_z 0
		.amdhsa_system_sgpr_workgroup_info 0
		.amdhsa_system_vgpr_workitem_id 0
		.amdhsa_next_free_vgpr 1
		.amdhsa_next_free_sgpr 0
		.amdhsa_accum_offset 4
		.amdhsa_reserve_vcc 0
		.amdhsa_reserve_flat_scratch 0
		.amdhsa_float_round_mode_32 0
		.amdhsa_float_round_mode_16_64 0
		.amdhsa_float_denorm_mode_32 3
		.amdhsa_float_denorm_mode_16_64 3
		.amdhsa_dx10_clamp 1
		.amdhsa_ieee_mode 1
		.amdhsa_fp16_overflow 0
		.amdhsa_tg_split 0
		.amdhsa_exception_fp_ieee_invalid_op 0
		.amdhsa_exception_fp_denorm_src 0
		.amdhsa_exception_fp_ieee_div_zero 0
		.amdhsa_exception_fp_ieee_overflow 0
		.amdhsa_exception_fp_ieee_underflow 0
		.amdhsa_exception_fp_ieee_inexact 0
		.amdhsa_exception_int_div_zero 0
	.end_amdhsa_kernel
	.section	.text._ZN7rocprim17ROCPRIM_400000_NS6detail17trampoline_kernelINS0_14default_configENS1_20scan_config_selectorIxEEZZNS1_9scan_implILNS1_25lookback_scan_determinismE0ELb0ELb0ES3_N6thrust23THRUST_200600_302600_NS6detail15normal_iteratorINS9_10device_ptrIxEEEESE_xNS9_4plusIvEExEEDaPvRmT3_T4_T5_mT6_P12ihipStream_tbENKUlT_T0_E_clISt17integral_constantIbLb1EEST_IbLb0EEEEDaSP_SQ_EUlSP_E_NS1_11comp_targetILNS1_3genE9ELNS1_11target_archE1100ELNS1_3gpuE3ELNS1_3repE0EEENS1_30default_config_static_selectorELNS0_4arch9wavefront6targetE1EEEvT1_,"axG",@progbits,_ZN7rocprim17ROCPRIM_400000_NS6detail17trampoline_kernelINS0_14default_configENS1_20scan_config_selectorIxEEZZNS1_9scan_implILNS1_25lookback_scan_determinismE0ELb0ELb0ES3_N6thrust23THRUST_200600_302600_NS6detail15normal_iteratorINS9_10device_ptrIxEEEESE_xNS9_4plusIvEExEEDaPvRmT3_T4_T5_mT6_P12ihipStream_tbENKUlT_T0_E_clISt17integral_constantIbLb1EEST_IbLb0EEEEDaSP_SQ_EUlSP_E_NS1_11comp_targetILNS1_3genE9ELNS1_11target_archE1100ELNS1_3gpuE3ELNS1_3repE0EEENS1_30default_config_static_selectorELNS0_4arch9wavefront6targetE1EEEvT1_,comdat
.Lfunc_end57:
	.size	_ZN7rocprim17ROCPRIM_400000_NS6detail17trampoline_kernelINS0_14default_configENS1_20scan_config_selectorIxEEZZNS1_9scan_implILNS1_25lookback_scan_determinismE0ELb0ELb0ES3_N6thrust23THRUST_200600_302600_NS6detail15normal_iteratorINS9_10device_ptrIxEEEESE_xNS9_4plusIvEExEEDaPvRmT3_T4_T5_mT6_P12ihipStream_tbENKUlT_T0_E_clISt17integral_constantIbLb1EEST_IbLb0EEEEDaSP_SQ_EUlSP_E_NS1_11comp_targetILNS1_3genE9ELNS1_11target_archE1100ELNS1_3gpuE3ELNS1_3repE0EEENS1_30default_config_static_selectorELNS0_4arch9wavefront6targetE1EEEvT1_, .Lfunc_end57-_ZN7rocprim17ROCPRIM_400000_NS6detail17trampoline_kernelINS0_14default_configENS1_20scan_config_selectorIxEEZZNS1_9scan_implILNS1_25lookback_scan_determinismE0ELb0ELb0ES3_N6thrust23THRUST_200600_302600_NS6detail15normal_iteratorINS9_10device_ptrIxEEEESE_xNS9_4plusIvEExEEDaPvRmT3_T4_T5_mT6_P12ihipStream_tbENKUlT_T0_E_clISt17integral_constantIbLb1EEST_IbLb0EEEEDaSP_SQ_EUlSP_E_NS1_11comp_targetILNS1_3genE9ELNS1_11target_archE1100ELNS1_3gpuE3ELNS1_3repE0EEENS1_30default_config_static_selectorELNS0_4arch9wavefront6targetE1EEEvT1_
                                        ; -- End function
	.section	.AMDGPU.csdata,"",@progbits
; Kernel info:
; codeLenInByte = 0
; NumSgprs: 4
; NumVgprs: 0
; NumAgprs: 0
; TotalNumVgprs: 0
; ScratchSize: 0
; MemoryBound: 0
; FloatMode: 240
; IeeeMode: 1
; LDSByteSize: 0 bytes/workgroup (compile time only)
; SGPRBlocks: 0
; VGPRBlocks: 0
; NumSGPRsForWavesPerEU: 4
; NumVGPRsForWavesPerEU: 1
; AccumOffset: 4
; Occupancy: 8
; WaveLimiterHint : 0
; COMPUTE_PGM_RSRC2:SCRATCH_EN: 0
; COMPUTE_PGM_RSRC2:USER_SGPR: 6
; COMPUTE_PGM_RSRC2:TRAP_HANDLER: 0
; COMPUTE_PGM_RSRC2:TGID_X_EN: 1
; COMPUTE_PGM_RSRC2:TGID_Y_EN: 0
; COMPUTE_PGM_RSRC2:TGID_Z_EN: 0
; COMPUTE_PGM_RSRC2:TIDIG_COMP_CNT: 0
; COMPUTE_PGM_RSRC3_GFX90A:ACCUM_OFFSET: 0
; COMPUTE_PGM_RSRC3_GFX90A:TG_SPLIT: 0
	.section	.text._ZN7rocprim17ROCPRIM_400000_NS6detail17trampoline_kernelINS0_14default_configENS1_20scan_config_selectorIxEEZZNS1_9scan_implILNS1_25lookback_scan_determinismE0ELb0ELb0ES3_N6thrust23THRUST_200600_302600_NS6detail15normal_iteratorINS9_10device_ptrIxEEEESE_xNS9_4plusIvEExEEDaPvRmT3_T4_T5_mT6_P12ihipStream_tbENKUlT_T0_E_clISt17integral_constantIbLb1EEST_IbLb0EEEEDaSP_SQ_EUlSP_E_NS1_11comp_targetILNS1_3genE8ELNS1_11target_archE1030ELNS1_3gpuE2ELNS1_3repE0EEENS1_30default_config_static_selectorELNS0_4arch9wavefront6targetE1EEEvT1_,"axG",@progbits,_ZN7rocprim17ROCPRIM_400000_NS6detail17trampoline_kernelINS0_14default_configENS1_20scan_config_selectorIxEEZZNS1_9scan_implILNS1_25lookback_scan_determinismE0ELb0ELb0ES3_N6thrust23THRUST_200600_302600_NS6detail15normal_iteratorINS9_10device_ptrIxEEEESE_xNS9_4plusIvEExEEDaPvRmT3_T4_T5_mT6_P12ihipStream_tbENKUlT_T0_E_clISt17integral_constantIbLb1EEST_IbLb0EEEEDaSP_SQ_EUlSP_E_NS1_11comp_targetILNS1_3genE8ELNS1_11target_archE1030ELNS1_3gpuE2ELNS1_3repE0EEENS1_30default_config_static_selectorELNS0_4arch9wavefront6targetE1EEEvT1_,comdat
	.protected	_ZN7rocprim17ROCPRIM_400000_NS6detail17trampoline_kernelINS0_14default_configENS1_20scan_config_selectorIxEEZZNS1_9scan_implILNS1_25lookback_scan_determinismE0ELb0ELb0ES3_N6thrust23THRUST_200600_302600_NS6detail15normal_iteratorINS9_10device_ptrIxEEEESE_xNS9_4plusIvEExEEDaPvRmT3_T4_T5_mT6_P12ihipStream_tbENKUlT_T0_E_clISt17integral_constantIbLb1EEST_IbLb0EEEEDaSP_SQ_EUlSP_E_NS1_11comp_targetILNS1_3genE8ELNS1_11target_archE1030ELNS1_3gpuE2ELNS1_3repE0EEENS1_30default_config_static_selectorELNS0_4arch9wavefront6targetE1EEEvT1_ ; -- Begin function _ZN7rocprim17ROCPRIM_400000_NS6detail17trampoline_kernelINS0_14default_configENS1_20scan_config_selectorIxEEZZNS1_9scan_implILNS1_25lookback_scan_determinismE0ELb0ELb0ES3_N6thrust23THRUST_200600_302600_NS6detail15normal_iteratorINS9_10device_ptrIxEEEESE_xNS9_4plusIvEExEEDaPvRmT3_T4_T5_mT6_P12ihipStream_tbENKUlT_T0_E_clISt17integral_constantIbLb1EEST_IbLb0EEEEDaSP_SQ_EUlSP_E_NS1_11comp_targetILNS1_3genE8ELNS1_11target_archE1030ELNS1_3gpuE2ELNS1_3repE0EEENS1_30default_config_static_selectorELNS0_4arch9wavefront6targetE1EEEvT1_
	.globl	_ZN7rocprim17ROCPRIM_400000_NS6detail17trampoline_kernelINS0_14default_configENS1_20scan_config_selectorIxEEZZNS1_9scan_implILNS1_25lookback_scan_determinismE0ELb0ELb0ES3_N6thrust23THRUST_200600_302600_NS6detail15normal_iteratorINS9_10device_ptrIxEEEESE_xNS9_4plusIvEExEEDaPvRmT3_T4_T5_mT6_P12ihipStream_tbENKUlT_T0_E_clISt17integral_constantIbLb1EEST_IbLb0EEEEDaSP_SQ_EUlSP_E_NS1_11comp_targetILNS1_3genE8ELNS1_11target_archE1030ELNS1_3gpuE2ELNS1_3repE0EEENS1_30default_config_static_selectorELNS0_4arch9wavefront6targetE1EEEvT1_
	.p2align	8
	.type	_ZN7rocprim17ROCPRIM_400000_NS6detail17trampoline_kernelINS0_14default_configENS1_20scan_config_selectorIxEEZZNS1_9scan_implILNS1_25lookback_scan_determinismE0ELb0ELb0ES3_N6thrust23THRUST_200600_302600_NS6detail15normal_iteratorINS9_10device_ptrIxEEEESE_xNS9_4plusIvEExEEDaPvRmT3_T4_T5_mT6_P12ihipStream_tbENKUlT_T0_E_clISt17integral_constantIbLb1EEST_IbLb0EEEEDaSP_SQ_EUlSP_E_NS1_11comp_targetILNS1_3genE8ELNS1_11target_archE1030ELNS1_3gpuE2ELNS1_3repE0EEENS1_30default_config_static_selectorELNS0_4arch9wavefront6targetE1EEEvT1_,@function
_ZN7rocprim17ROCPRIM_400000_NS6detail17trampoline_kernelINS0_14default_configENS1_20scan_config_selectorIxEEZZNS1_9scan_implILNS1_25lookback_scan_determinismE0ELb0ELb0ES3_N6thrust23THRUST_200600_302600_NS6detail15normal_iteratorINS9_10device_ptrIxEEEESE_xNS9_4plusIvEExEEDaPvRmT3_T4_T5_mT6_P12ihipStream_tbENKUlT_T0_E_clISt17integral_constantIbLb1EEST_IbLb0EEEEDaSP_SQ_EUlSP_E_NS1_11comp_targetILNS1_3genE8ELNS1_11target_archE1030ELNS1_3gpuE2ELNS1_3repE0EEENS1_30default_config_static_selectorELNS0_4arch9wavefront6targetE1EEEvT1_: ; @_ZN7rocprim17ROCPRIM_400000_NS6detail17trampoline_kernelINS0_14default_configENS1_20scan_config_selectorIxEEZZNS1_9scan_implILNS1_25lookback_scan_determinismE0ELb0ELb0ES3_N6thrust23THRUST_200600_302600_NS6detail15normal_iteratorINS9_10device_ptrIxEEEESE_xNS9_4plusIvEExEEDaPvRmT3_T4_T5_mT6_P12ihipStream_tbENKUlT_T0_E_clISt17integral_constantIbLb1EEST_IbLb0EEEEDaSP_SQ_EUlSP_E_NS1_11comp_targetILNS1_3genE8ELNS1_11target_archE1030ELNS1_3gpuE2ELNS1_3repE0EEENS1_30default_config_static_selectorELNS0_4arch9wavefront6targetE1EEEvT1_
; %bb.0:
	.section	.rodata,"a",@progbits
	.p2align	6, 0x0
	.amdhsa_kernel _ZN7rocprim17ROCPRIM_400000_NS6detail17trampoline_kernelINS0_14default_configENS1_20scan_config_selectorIxEEZZNS1_9scan_implILNS1_25lookback_scan_determinismE0ELb0ELb0ES3_N6thrust23THRUST_200600_302600_NS6detail15normal_iteratorINS9_10device_ptrIxEEEESE_xNS9_4plusIvEExEEDaPvRmT3_T4_T5_mT6_P12ihipStream_tbENKUlT_T0_E_clISt17integral_constantIbLb1EEST_IbLb0EEEEDaSP_SQ_EUlSP_E_NS1_11comp_targetILNS1_3genE8ELNS1_11target_archE1030ELNS1_3gpuE2ELNS1_3repE0EEENS1_30default_config_static_selectorELNS0_4arch9wavefront6targetE1EEEvT1_
		.amdhsa_group_segment_fixed_size 0
		.amdhsa_private_segment_fixed_size 0
		.amdhsa_kernarg_size 104
		.amdhsa_user_sgpr_count 6
		.amdhsa_user_sgpr_private_segment_buffer 1
		.amdhsa_user_sgpr_dispatch_ptr 0
		.amdhsa_user_sgpr_queue_ptr 0
		.amdhsa_user_sgpr_kernarg_segment_ptr 1
		.amdhsa_user_sgpr_dispatch_id 0
		.amdhsa_user_sgpr_flat_scratch_init 0
		.amdhsa_user_sgpr_kernarg_preload_length 0
		.amdhsa_user_sgpr_kernarg_preload_offset 0
		.amdhsa_user_sgpr_private_segment_size 0
		.amdhsa_uses_dynamic_stack 0
		.amdhsa_system_sgpr_private_segment_wavefront_offset 0
		.amdhsa_system_sgpr_workgroup_id_x 1
		.amdhsa_system_sgpr_workgroup_id_y 0
		.amdhsa_system_sgpr_workgroup_id_z 0
		.amdhsa_system_sgpr_workgroup_info 0
		.amdhsa_system_vgpr_workitem_id 0
		.amdhsa_next_free_vgpr 1
		.amdhsa_next_free_sgpr 0
		.amdhsa_accum_offset 4
		.amdhsa_reserve_vcc 0
		.amdhsa_reserve_flat_scratch 0
		.amdhsa_float_round_mode_32 0
		.amdhsa_float_round_mode_16_64 0
		.amdhsa_float_denorm_mode_32 3
		.amdhsa_float_denorm_mode_16_64 3
		.amdhsa_dx10_clamp 1
		.amdhsa_ieee_mode 1
		.amdhsa_fp16_overflow 0
		.amdhsa_tg_split 0
		.amdhsa_exception_fp_ieee_invalid_op 0
		.amdhsa_exception_fp_denorm_src 0
		.amdhsa_exception_fp_ieee_div_zero 0
		.amdhsa_exception_fp_ieee_overflow 0
		.amdhsa_exception_fp_ieee_underflow 0
		.amdhsa_exception_fp_ieee_inexact 0
		.amdhsa_exception_int_div_zero 0
	.end_amdhsa_kernel
	.section	.text._ZN7rocprim17ROCPRIM_400000_NS6detail17trampoline_kernelINS0_14default_configENS1_20scan_config_selectorIxEEZZNS1_9scan_implILNS1_25lookback_scan_determinismE0ELb0ELb0ES3_N6thrust23THRUST_200600_302600_NS6detail15normal_iteratorINS9_10device_ptrIxEEEESE_xNS9_4plusIvEExEEDaPvRmT3_T4_T5_mT6_P12ihipStream_tbENKUlT_T0_E_clISt17integral_constantIbLb1EEST_IbLb0EEEEDaSP_SQ_EUlSP_E_NS1_11comp_targetILNS1_3genE8ELNS1_11target_archE1030ELNS1_3gpuE2ELNS1_3repE0EEENS1_30default_config_static_selectorELNS0_4arch9wavefront6targetE1EEEvT1_,"axG",@progbits,_ZN7rocprim17ROCPRIM_400000_NS6detail17trampoline_kernelINS0_14default_configENS1_20scan_config_selectorIxEEZZNS1_9scan_implILNS1_25lookback_scan_determinismE0ELb0ELb0ES3_N6thrust23THRUST_200600_302600_NS6detail15normal_iteratorINS9_10device_ptrIxEEEESE_xNS9_4plusIvEExEEDaPvRmT3_T4_T5_mT6_P12ihipStream_tbENKUlT_T0_E_clISt17integral_constantIbLb1EEST_IbLb0EEEEDaSP_SQ_EUlSP_E_NS1_11comp_targetILNS1_3genE8ELNS1_11target_archE1030ELNS1_3gpuE2ELNS1_3repE0EEENS1_30default_config_static_selectorELNS0_4arch9wavefront6targetE1EEEvT1_,comdat
.Lfunc_end58:
	.size	_ZN7rocprim17ROCPRIM_400000_NS6detail17trampoline_kernelINS0_14default_configENS1_20scan_config_selectorIxEEZZNS1_9scan_implILNS1_25lookback_scan_determinismE0ELb0ELb0ES3_N6thrust23THRUST_200600_302600_NS6detail15normal_iteratorINS9_10device_ptrIxEEEESE_xNS9_4plusIvEExEEDaPvRmT3_T4_T5_mT6_P12ihipStream_tbENKUlT_T0_E_clISt17integral_constantIbLb1EEST_IbLb0EEEEDaSP_SQ_EUlSP_E_NS1_11comp_targetILNS1_3genE8ELNS1_11target_archE1030ELNS1_3gpuE2ELNS1_3repE0EEENS1_30default_config_static_selectorELNS0_4arch9wavefront6targetE1EEEvT1_, .Lfunc_end58-_ZN7rocprim17ROCPRIM_400000_NS6detail17trampoline_kernelINS0_14default_configENS1_20scan_config_selectorIxEEZZNS1_9scan_implILNS1_25lookback_scan_determinismE0ELb0ELb0ES3_N6thrust23THRUST_200600_302600_NS6detail15normal_iteratorINS9_10device_ptrIxEEEESE_xNS9_4plusIvEExEEDaPvRmT3_T4_T5_mT6_P12ihipStream_tbENKUlT_T0_E_clISt17integral_constantIbLb1EEST_IbLb0EEEEDaSP_SQ_EUlSP_E_NS1_11comp_targetILNS1_3genE8ELNS1_11target_archE1030ELNS1_3gpuE2ELNS1_3repE0EEENS1_30default_config_static_selectorELNS0_4arch9wavefront6targetE1EEEvT1_
                                        ; -- End function
	.section	.AMDGPU.csdata,"",@progbits
; Kernel info:
; codeLenInByte = 0
; NumSgprs: 4
; NumVgprs: 0
; NumAgprs: 0
; TotalNumVgprs: 0
; ScratchSize: 0
; MemoryBound: 0
; FloatMode: 240
; IeeeMode: 1
; LDSByteSize: 0 bytes/workgroup (compile time only)
; SGPRBlocks: 0
; VGPRBlocks: 0
; NumSGPRsForWavesPerEU: 4
; NumVGPRsForWavesPerEU: 1
; AccumOffset: 4
; Occupancy: 8
; WaveLimiterHint : 0
; COMPUTE_PGM_RSRC2:SCRATCH_EN: 0
; COMPUTE_PGM_RSRC2:USER_SGPR: 6
; COMPUTE_PGM_RSRC2:TRAP_HANDLER: 0
; COMPUTE_PGM_RSRC2:TGID_X_EN: 1
; COMPUTE_PGM_RSRC2:TGID_Y_EN: 0
; COMPUTE_PGM_RSRC2:TGID_Z_EN: 0
; COMPUTE_PGM_RSRC2:TIDIG_COMP_CNT: 0
; COMPUTE_PGM_RSRC3_GFX90A:ACCUM_OFFSET: 0
; COMPUTE_PGM_RSRC3_GFX90A:TG_SPLIT: 0
	.section	.text._ZN7rocprim17ROCPRIM_400000_NS6detail17trampoline_kernelINS0_14default_configENS1_20scan_config_selectorIxEEZZNS1_9scan_implILNS1_25lookback_scan_determinismE0ELb0ELb0ES3_N6thrust23THRUST_200600_302600_NS6detail15normal_iteratorINS9_10device_ptrIxEEEESE_xNS9_4plusIvEExEEDaPvRmT3_T4_T5_mT6_P12ihipStream_tbENKUlT_T0_E_clISt17integral_constantIbLb1EEST_IbLb0EEEEDaSP_SQ_EUlSP_E0_NS1_11comp_targetILNS1_3genE0ELNS1_11target_archE4294967295ELNS1_3gpuE0ELNS1_3repE0EEENS1_30default_config_static_selectorELNS0_4arch9wavefront6targetE1EEEvT1_,"axG",@progbits,_ZN7rocprim17ROCPRIM_400000_NS6detail17trampoline_kernelINS0_14default_configENS1_20scan_config_selectorIxEEZZNS1_9scan_implILNS1_25lookback_scan_determinismE0ELb0ELb0ES3_N6thrust23THRUST_200600_302600_NS6detail15normal_iteratorINS9_10device_ptrIxEEEESE_xNS9_4plusIvEExEEDaPvRmT3_T4_T5_mT6_P12ihipStream_tbENKUlT_T0_E_clISt17integral_constantIbLb1EEST_IbLb0EEEEDaSP_SQ_EUlSP_E0_NS1_11comp_targetILNS1_3genE0ELNS1_11target_archE4294967295ELNS1_3gpuE0ELNS1_3repE0EEENS1_30default_config_static_selectorELNS0_4arch9wavefront6targetE1EEEvT1_,comdat
	.protected	_ZN7rocprim17ROCPRIM_400000_NS6detail17trampoline_kernelINS0_14default_configENS1_20scan_config_selectorIxEEZZNS1_9scan_implILNS1_25lookback_scan_determinismE0ELb0ELb0ES3_N6thrust23THRUST_200600_302600_NS6detail15normal_iteratorINS9_10device_ptrIxEEEESE_xNS9_4plusIvEExEEDaPvRmT3_T4_T5_mT6_P12ihipStream_tbENKUlT_T0_E_clISt17integral_constantIbLb1EEST_IbLb0EEEEDaSP_SQ_EUlSP_E0_NS1_11comp_targetILNS1_3genE0ELNS1_11target_archE4294967295ELNS1_3gpuE0ELNS1_3repE0EEENS1_30default_config_static_selectorELNS0_4arch9wavefront6targetE1EEEvT1_ ; -- Begin function _ZN7rocprim17ROCPRIM_400000_NS6detail17trampoline_kernelINS0_14default_configENS1_20scan_config_selectorIxEEZZNS1_9scan_implILNS1_25lookback_scan_determinismE0ELb0ELb0ES3_N6thrust23THRUST_200600_302600_NS6detail15normal_iteratorINS9_10device_ptrIxEEEESE_xNS9_4plusIvEExEEDaPvRmT3_T4_T5_mT6_P12ihipStream_tbENKUlT_T0_E_clISt17integral_constantIbLb1EEST_IbLb0EEEEDaSP_SQ_EUlSP_E0_NS1_11comp_targetILNS1_3genE0ELNS1_11target_archE4294967295ELNS1_3gpuE0ELNS1_3repE0EEENS1_30default_config_static_selectorELNS0_4arch9wavefront6targetE1EEEvT1_
	.globl	_ZN7rocprim17ROCPRIM_400000_NS6detail17trampoline_kernelINS0_14default_configENS1_20scan_config_selectorIxEEZZNS1_9scan_implILNS1_25lookback_scan_determinismE0ELb0ELb0ES3_N6thrust23THRUST_200600_302600_NS6detail15normal_iteratorINS9_10device_ptrIxEEEESE_xNS9_4plusIvEExEEDaPvRmT3_T4_T5_mT6_P12ihipStream_tbENKUlT_T0_E_clISt17integral_constantIbLb1EEST_IbLb0EEEEDaSP_SQ_EUlSP_E0_NS1_11comp_targetILNS1_3genE0ELNS1_11target_archE4294967295ELNS1_3gpuE0ELNS1_3repE0EEENS1_30default_config_static_selectorELNS0_4arch9wavefront6targetE1EEEvT1_
	.p2align	8
	.type	_ZN7rocprim17ROCPRIM_400000_NS6detail17trampoline_kernelINS0_14default_configENS1_20scan_config_selectorIxEEZZNS1_9scan_implILNS1_25lookback_scan_determinismE0ELb0ELb0ES3_N6thrust23THRUST_200600_302600_NS6detail15normal_iteratorINS9_10device_ptrIxEEEESE_xNS9_4plusIvEExEEDaPvRmT3_T4_T5_mT6_P12ihipStream_tbENKUlT_T0_E_clISt17integral_constantIbLb1EEST_IbLb0EEEEDaSP_SQ_EUlSP_E0_NS1_11comp_targetILNS1_3genE0ELNS1_11target_archE4294967295ELNS1_3gpuE0ELNS1_3repE0EEENS1_30default_config_static_selectorELNS0_4arch9wavefront6targetE1EEEvT1_,@function
_ZN7rocprim17ROCPRIM_400000_NS6detail17trampoline_kernelINS0_14default_configENS1_20scan_config_selectorIxEEZZNS1_9scan_implILNS1_25lookback_scan_determinismE0ELb0ELb0ES3_N6thrust23THRUST_200600_302600_NS6detail15normal_iteratorINS9_10device_ptrIxEEEESE_xNS9_4plusIvEExEEDaPvRmT3_T4_T5_mT6_P12ihipStream_tbENKUlT_T0_E_clISt17integral_constantIbLb1EEST_IbLb0EEEEDaSP_SQ_EUlSP_E0_NS1_11comp_targetILNS1_3genE0ELNS1_11target_archE4294967295ELNS1_3gpuE0ELNS1_3repE0EEENS1_30default_config_static_selectorELNS0_4arch9wavefront6targetE1EEEvT1_: ; @_ZN7rocprim17ROCPRIM_400000_NS6detail17trampoline_kernelINS0_14default_configENS1_20scan_config_selectorIxEEZZNS1_9scan_implILNS1_25lookback_scan_determinismE0ELb0ELb0ES3_N6thrust23THRUST_200600_302600_NS6detail15normal_iteratorINS9_10device_ptrIxEEEESE_xNS9_4plusIvEExEEDaPvRmT3_T4_T5_mT6_P12ihipStream_tbENKUlT_T0_E_clISt17integral_constantIbLb1EEST_IbLb0EEEEDaSP_SQ_EUlSP_E0_NS1_11comp_targetILNS1_3genE0ELNS1_11target_archE4294967295ELNS1_3gpuE0ELNS1_3repE0EEENS1_30default_config_static_selectorELNS0_4arch9wavefront6targetE1EEEvT1_
; %bb.0:
	.section	.rodata,"a",@progbits
	.p2align	6, 0x0
	.amdhsa_kernel _ZN7rocprim17ROCPRIM_400000_NS6detail17trampoline_kernelINS0_14default_configENS1_20scan_config_selectorIxEEZZNS1_9scan_implILNS1_25lookback_scan_determinismE0ELb0ELb0ES3_N6thrust23THRUST_200600_302600_NS6detail15normal_iteratorINS9_10device_ptrIxEEEESE_xNS9_4plusIvEExEEDaPvRmT3_T4_T5_mT6_P12ihipStream_tbENKUlT_T0_E_clISt17integral_constantIbLb1EEST_IbLb0EEEEDaSP_SQ_EUlSP_E0_NS1_11comp_targetILNS1_3genE0ELNS1_11target_archE4294967295ELNS1_3gpuE0ELNS1_3repE0EEENS1_30default_config_static_selectorELNS0_4arch9wavefront6targetE1EEEvT1_
		.amdhsa_group_segment_fixed_size 0
		.amdhsa_private_segment_fixed_size 0
		.amdhsa_kernarg_size 40
		.amdhsa_user_sgpr_count 6
		.amdhsa_user_sgpr_private_segment_buffer 1
		.amdhsa_user_sgpr_dispatch_ptr 0
		.amdhsa_user_sgpr_queue_ptr 0
		.amdhsa_user_sgpr_kernarg_segment_ptr 1
		.amdhsa_user_sgpr_dispatch_id 0
		.amdhsa_user_sgpr_flat_scratch_init 0
		.amdhsa_user_sgpr_kernarg_preload_length 0
		.amdhsa_user_sgpr_kernarg_preload_offset 0
		.amdhsa_user_sgpr_private_segment_size 0
		.amdhsa_uses_dynamic_stack 0
		.amdhsa_system_sgpr_private_segment_wavefront_offset 0
		.amdhsa_system_sgpr_workgroup_id_x 1
		.amdhsa_system_sgpr_workgroup_id_y 0
		.amdhsa_system_sgpr_workgroup_id_z 0
		.amdhsa_system_sgpr_workgroup_info 0
		.amdhsa_system_vgpr_workitem_id 0
		.amdhsa_next_free_vgpr 1
		.amdhsa_next_free_sgpr 0
		.amdhsa_accum_offset 4
		.amdhsa_reserve_vcc 0
		.amdhsa_reserve_flat_scratch 0
		.amdhsa_float_round_mode_32 0
		.amdhsa_float_round_mode_16_64 0
		.amdhsa_float_denorm_mode_32 3
		.amdhsa_float_denorm_mode_16_64 3
		.amdhsa_dx10_clamp 1
		.amdhsa_ieee_mode 1
		.amdhsa_fp16_overflow 0
		.amdhsa_tg_split 0
		.amdhsa_exception_fp_ieee_invalid_op 0
		.amdhsa_exception_fp_denorm_src 0
		.amdhsa_exception_fp_ieee_div_zero 0
		.amdhsa_exception_fp_ieee_overflow 0
		.amdhsa_exception_fp_ieee_underflow 0
		.amdhsa_exception_fp_ieee_inexact 0
		.amdhsa_exception_int_div_zero 0
	.end_amdhsa_kernel
	.section	.text._ZN7rocprim17ROCPRIM_400000_NS6detail17trampoline_kernelINS0_14default_configENS1_20scan_config_selectorIxEEZZNS1_9scan_implILNS1_25lookback_scan_determinismE0ELb0ELb0ES3_N6thrust23THRUST_200600_302600_NS6detail15normal_iteratorINS9_10device_ptrIxEEEESE_xNS9_4plusIvEExEEDaPvRmT3_T4_T5_mT6_P12ihipStream_tbENKUlT_T0_E_clISt17integral_constantIbLb1EEST_IbLb0EEEEDaSP_SQ_EUlSP_E0_NS1_11comp_targetILNS1_3genE0ELNS1_11target_archE4294967295ELNS1_3gpuE0ELNS1_3repE0EEENS1_30default_config_static_selectorELNS0_4arch9wavefront6targetE1EEEvT1_,"axG",@progbits,_ZN7rocprim17ROCPRIM_400000_NS6detail17trampoline_kernelINS0_14default_configENS1_20scan_config_selectorIxEEZZNS1_9scan_implILNS1_25lookback_scan_determinismE0ELb0ELb0ES3_N6thrust23THRUST_200600_302600_NS6detail15normal_iteratorINS9_10device_ptrIxEEEESE_xNS9_4plusIvEExEEDaPvRmT3_T4_T5_mT6_P12ihipStream_tbENKUlT_T0_E_clISt17integral_constantIbLb1EEST_IbLb0EEEEDaSP_SQ_EUlSP_E0_NS1_11comp_targetILNS1_3genE0ELNS1_11target_archE4294967295ELNS1_3gpuE0ELNS1_3repE0EEENS1_30default_config_static_selectorELNS0_4arch9wavefront6targetE1EEEvT1_,comdat
.Lfunc_end59:
	.size	_ZN7rocprim17ROCPRIM_400000_NS6detail17trampoline_kernelINS0_14default_configENS1_20scan_config_selectorIxEEZZNS1_9scan_implILNS1_25lookback_scan_determinismE0ELb0ELb0ES3_N6thrust23THRUST_200600_302600_NS6detail15normal_iteratorINS9_10device_ptrIxEEEESE_xNS9_4plusIvEExEEDaPvRmT3_T4_T5_mT6_P12ihipStream_tbENKUlT_T0_E_clISt17integral_constantIbLb1EEST_IbLb0EEEEDaSP_SQ_EUlSP_E0_NS1_11comp_targetILNS1_3genE0ELNS1_11target_archE4294967295ELNS1_3gpuE0ELNS1_3repE0EEENS1_30default_config_static_selectorELNS0_4arch9wavefront6targetE1EEEvT1_, .Lfunc_end59-_ZN7rocprim17ROCPRIM_400000_NS6detail17trampoline_kernelINS0_14default_configENS1_20scan_config_selectorIxEEZZNS1_9scan_implILNS1_25lookback_scan_determinismE0ELb0ELb0ES3_N6thrust23THRUST_200600_302600_NS6detail15normal_iteratorINS9_10device_ptrIxEEEESE_xNS9_4plusIvEExEEDaPvRmT3_T4_T5_mT6_P12ihipStream_tbENKUlT_T0_E_clISt17integral_constantIbLb1EEST_IbLb0EEEEDaSP_SQ_EUlSP_E0_NS1_11comp_targetILNS1_3genE0ELNS1_11target_archE4294967295ELNS1_3gpuE0ELNS1_3repE0EEENS1_30default_config_static_selectorELNS0_4arch9wavefront6targetE1EEEvT1_
                                        ; -- End function
	.section	.AMDGPU.csdata,"",@progbits
; Kernel info:
; codeLenInByte = 0
; NumSgprs: 4
; NumVgprs: 0
; NumAgprs: 0
; TotalNumVgprs: 0
; ScratchSize: 0
; MemoryBound: 0
; FloatMode: 240
; IeeeMode: 1
; LDSByteSize: 0 bytes/workgroup (compile time only)
; SGPRBlocks: 0
; VGPRBlocks: 0
; NumSGPRsForWavesPerEU: 4
; NumVGPRsForWavesPerEU: 1
; AccumOffset: 4
; Occupancy: 8
; WaveLimiterHint : 0
; COMPUTE_PGM_RSRC2:SCRATCH_EN: 0
; COMPUTE_PGM_RSRC2:USER_SGPR: 6
; COMPUTE_PGM_RSRC2:TRAP_HANDLER: 0
; COMPUTE_PGM_RSRC2:TGID_X_EN: 1
; COMPUTE_PGM_RSRC2:TGID_Y_EN: 0
; COMPUTE_PGM_RSRC2:TGID_Z_EN: 0
; COMPUTE_PGM_RSRC2:TIDIG_COMP_CNT: 0
; COMPUTE_PGM_RSRC3_GFX90A:ACCUM_OFFSET: 0
; COMPUTE_PGM_RSRC3_GFX90A:TG_SPLIT: 0
	.section	.text._ZN7rocprim17ROCPRIM_400000_NS6detail17trampoline_kernelINS0_14default_configENS1_20scan_config_selectorIxEEZZNS1_9scan_implILNS1_25lookback_scan_determinismE0ELb0ELb0ES3_N6thrust23THRUST_200600_302600_NS6detail15normal_iteratorINS9_10device_ptrIxEEEESE_xNS9_4plusIvEExEEDaPvRmT3_T4_T5_mT6_P12ihipStream_tbENKUlT_T0_E_clISt17integral_constantIbLb1EEST_IbLb0EEEEDaSP_SQ_EUlSP_E0_NS1_11comp_targetILNS1_3genE5ELNS1_11target_archE942ELNS1_3gpuE9ELNS1_3repE0EEENS1_30default_config_static_selectorELNS0_4arch9wavefront6targetE1EEEvT1_,"axG",@progbits,_ZN7rocprim17ROCPRIM_400000_NS6detail17trampoline_kernelINS0_14default_configENS1_20scan_config_selectorIxEEZZNS1_9scan_implILNS1_25lookback_scan_determinismE0ELb0ELb0ES3_N6thrust23THRUST_200600_302600_NS6detail15normal_iteratorINS9_10device_ptrIxEEEESE_xNS9_4plusIvEExEEDaPvRmT3_T4_T5_mT6_P12ihipStream_tbENKUlT_T0_E_clISt17integral_constantIbLb1EEST_IbLb0EEEEDaSP_SQ_EUlSP_E0_NS1_11comp_targetILNS1_3genE5ELNS1_11target_archE942ELNS1_3gpuE9ELNS1_3repE0EEENS1_30default_config_static_selectorELNS0_4arch9wavefront6targetE1EEEvT1_,comdat
	.protected	_ZN7rocprim17ROCPRIM_400000_NS6detail17trampoline_kernelINS0_14default_configENS1_20scan_config_selectorIxEEZZNS1_9scan_implILNS1_25lookback_scan_determinismE0ELb0ELb0ES3_N6thrust23THRUST_200600_302600_NS6detail15normal_iteratorINS9_10device_ptrIxEEEESE_xNS9_4plusIvEExEEDaPvRmT3_T4_T5_mT6_P12ihipStream_tbENKUlT_T0_E_clISt17integral_constantIbLb1EEST_IbLb0EEEEDaSP_SQ_EUlSP_E0_NS1_11comp_targetILNS1_3genE5ELNS1_11target_archE942ELNS1_3gpuE9ELNS1_3repE0EEENS1_30default_config_static_selectorELNS0_4arch9wavefront6targetE1EEEvT1_ ; -- Begin function _ZN7rocprim17ROCPRIM_400000_NS6detail17trampoline_kernelINS0_14default_configENS1_20scan_config_selectorIxEEZZNS1_9scan_implILNS1_25lookback_scan_determinismE0ELb0ELb0ES3_N6thrust23THRUST_200600_302600_NS6detail15normal_iteratorINS9_10device_ptrIxEEEESE_xNS9_4plusIvEExEEDaPvRmT3_T4_T5_mT6_P12ihipStream_tbENKUlT_T0_E_clISt17integral_constantIbLb1EEST_IbLb0EEEEDaSP_SQ_EUlSP_E0_NS1_11comp_targetILNS1_3genE5ELNS1_11target_archE942ELNS1_3gpuE9ELNS1_3repE0EEENS1_30default_config_static_selectorELNS0_4arch9wavefront6targetE1EEEvT1_
	.globl	_ZN7rocprim17ROCPRIM_400000_NS6detail17trampoline_kernelINS0_14default_configENS1_20scan_config_selectorIxEEZZNS1_9scan_implILNS1_25lookback_scan_determinismE0ELb0ELb0ES3_N6thrust23THRUST_200600_302600_NS6detail15normal_iteratorINS9_10device_ptrIxEEEESE_xNS9_4plusIvEExEEDaPvRmT3_T4_T5_mT6_P12ihipStream_tbENKUlT_T0_E_clISt17integral_constantIbLb1EEST_IbLb0EEEEDaSP_SQ_EUlSP_E0_NS1_11comp_targetILNS1_3genE5ELNS1_11target_archE942ELNS1_3gpuE9ELNS1_3repE0EEENS1_30default_config_static_selectorELNS0_4arch9wavefront6targetE1EEEvT1_
	.p2align	8
	.type	_ZN7rocprim17ROCPRIM_400000_NS6detail17trampoline_kernelINS0_14default_configENS1_20scan_config_selectorIxEEZZNS1_9scan_implILNS1_25lookback_scan_determinismE0ELb0ELb0ES3_N6thrust23THRUST_200600_302600_NS6detail15normal_iteratorINS9_10device_ptrIxEEEESE_xNS9_4plusIvEExEEDaPvRmT3_T4_T5_mT6_P12ihipStream_tbENKUlT_T0_E_clISt17integral_constantIbLb1EEST_IbLb0EEEEDaSP_SQ_EUlSP_E0_NS1_11comp_targetILNS1_3genE5ELNS1_11target_archE942ELNS1_3gpuE9ELNS1_3repE0EEENS1_30default_config_static_selectorELNS0_4arch9wavefront6targetE1EEEvT1_,@function
_ZN7rocprim17ROCPRIM_400000_NS6detail17trampoline_kernelINS0_14default_configENS1_20scan_config_selectorIxEEZZNS1_9scan_implILNS1_25lookback_scan_determinismE0ELb0ELb0ES3_N6thrust23THRUST_200600_302600_NS6detail15normal_iteratorINS9_10device_ptrIxEEEESE_xNS9_4plusIvEExEEDaPvRmT3_T4_T5_mT6_P12ihipStream_tbENKUlT_T0_E_clISt17integral_constantIbLb1EEST_IbLb0EEEEDaSP_SQ_EUlSP_E0_NS1_11comp_targetILNS1_3genE5ELNS1_11target_archE942ELNS1_3gpuE9ELNS1_3repE0EEENS1_30default_config_static_selectorELNS0_4arch9wavefront6targetE1EEEvT1_: ; @_ZN7rocprim17ROCPRIM_400000_NS6detail17trampoline_kernelINS0_14default_configENS1_20scan_config_selectorIxEEZZNS1_9scan_implILNS1_25lookback_scan_determinismE0ELb0ELb0ES3_N6thrust23THRUST_200600_302600_NS6detail15normal_iteratorINS9_10device_ptrIxEEEESE_xNS9_4plusIvEExEEDaPvRmT3_T4_T5_mT6_P12ihipStream_tbENKUlT_T0_E_clISt17integral_constantIbLb1EEST_IbLb0EEEEDaSP_SQ_EUlSP_E0_NS1_11comp_targetILNS1_3genE5ELNS1_11target_archE942ELNS1_3gpuE9ELNS1_3repE0EEENS1_30default_config_static_selectorELNS0_4arch9wavefront6targetE1EEEvT1_
; %bb.0:
	.section	.rodata,"a",@progbits
	.p2align	6, 0x0
	.amdhsa_kernel _ZN7rocprim17ROCPRIM_400000_NS6detail17trampoline_kernelINS0_14default_configENS1_20scan_config_selectorIxEEZZNS1_9scan_implILNS1_25lookback_scan_determinismE0ELb0ELb0ES3_N6thrust23THRUST_200600_302600_NS6detail15normal_iteratorINS9_10device_ptrIxEEEESE_xNS9_4plusIvEExEEDaPvRmT3_T4_T5_mT6_P12ihipStream_tbENKUlT_T0_E_clISt17integral_constantIbLb1EEST_IbLb0EEEEDaSP_SQ_EUlSP_E0_NS1_11comp_targetILNS1_3genE5ELNS1_11target_archE942ELNS1_3gpuE9ELNS1_3repE0EEENS1_30default_config_static_selectorELNS0_4arch9wavefront6targetE1EEEvT1_
		.amdhsa_group_segment_fixed_size 0
		.amdhsa_private_segment_fixed_size 0
		.amdhsa_kernarg_size 40
		.amdhsa_user_sgpr_count 6
		.amdhsa_user_sgpr_private_segment_buffer 1
		.amdhsa_user_sgpr_dispatch_ptr 0
		.amdhsa_user_sgpr_queue_ptr 0
		.amdhsa_user_sgpr_kernarg_segment_ptr 1
		.amdhsa_user_sgpr_dispatch_id 0
		.amdhsa_user_sgpr_flat_scratch_init 0
		.amdhsa_user_sgpr_kernarg_preload_length 0
		.amdhsa_user_sgpr_kernarg_preload_offset 0
		.amdhsa_user_sgpr_private_segment_size 0
		.amdhsa_uses_dynamic_stack 0
		.amdhsa_system_sgpr_private_segment_wavefront_offset 0
		.amdhsa_system_sgpr_workgroup_id_x 1
		.amdhsa_system_sgpr_workgroup_id_y 0
		.amdhsa_system_sgpr_workgroup_id_z 0
		.amdhsa_system_sgpr_workgroup_info 0
		.amdhsa_system_vgpr_workitem_id 0
		.amdhsa_next_free_vgpr 1
		.amdhsa_next_free_sgpr 0
		.amdhsa_accum_offset 4
		.amdhsa_reserve_vcc 0
		.amdhsa_reserve_flat_scratch 0
		.amdhsa_float_round_mode_32 0
		.amdhsa_float_round_mode_16_64 0
		.amdhsa_float_denorm_mode_32 3
		.amdhsa_float_denorm_mode_16_64 3
		.amdhsa_dx10_clamp 1
		.amdhsa_ieee_mode 1
		.amdhsa_fp16_overflow 0
		.amdhsa_tg_split 0
		.amdhsa_exception_fp_ieee_invalid_op 0
		.amdhsa_exception_fp_denorm_src 0
		.amdhsa_exception_fp_ieee_div_zero 0
		.amdhsa_exception_fp_ieee_overflow 0
		.amdhsa_exception_fp_ieee_underflow 0
		.amdhsa_exception_fp_ieee_inexact 0
		.amdhsa_exception_int_div_zero 0
	.end_amdhsa_kernel
	.section	.text._ZN7rocprim17ROCPRIM_400000_NS6detail17trampoline_kernelINS0_14default_configENS1_20scan_config_selectorIxEEZZNS1_9scan_implILNS1_25lookback_scan_determinismE0ELb0ELb0ES3_N6thrust23THRUST_200600_302600_NS6detail15normal_iteratorINS9_10device_ptrIxEEEESE_xNS9_4plusIvEExEEDaPvRmT3_T4_T5_mT6_P12ihipStream_tbENKUlT_T0_E_clISt17integral_constantIbLb1EEST_IbLb0EEEEDaSP_SQ_EUlSP_E0_NS1_11comp_targetILNS1_3genE5ELNS1_11target_archE942ELNS1_3gpuE9ELNS1_3repE0EEENS1_30default_config_static_selectorELNS0_4arch9wavefront6targetE1EEEvT1_,"axG",@progbits,_ZN7rocprim17ROCPRIM_400000_NS6detail17trampoline_kernelINS0_14default_configENS1_20scan_config_selectorIxEEZZNS1_9scan_implILNS1_25lookback_scan_determinismE0ELb0ELb0ES3_N6thrust23THRUST_200600_302600_NS6detail15normal_iteratorINS9_10device_ptrIxEEEESE_xNS9_4plusIvEExEEDaPvRmT3_T4_T5_mT6_P12ihipStream_tbENKUlT_T0_E_clISt17integral_constantIbLb1EEST_IbLb0EEEEDaSP_SQ_EUlSP_E0_NS1_11comp_targetILNS1_3genE5ELNS1_11target_archE942ELNS1_3gpuE9ELNS1_3repE0EEENS1_30default_config_static_selectorELNS0_4arch9wavefront6targetE1EEEvT1_,comdat
.Lfunc_end60:
	.size	_ZN7rocprim17ROCPRIM_400000_NS6detail17trampoline_kernelINS0_14default_configENS1_20scan_config_selectorIxEEZZNS1_9scan_implILNS1_25lookback_scan_determinismE0ELb0ELb0ES3_N6thrust23THRUST_200600_302600_NS6detail15normal_iteratorINS9_10device_ptrIxEEEESE_xNS9_4plusIvEExEEDaPvRmT3_T4_T5_mT6_P12ihipStream_tbENKUlT_T0_E_clISt17integral_constantIbLb1EEST_IbLb0EEEEDaSP_SQ_EUlSP_E0_NS1_11comp_targetILNS1_3genE5ELNS1_11target_archE942ELNS1_3gpuE9ELNS1_3repE0EEENS1_30default_config_static_selectorELNS0_4arch9wavefront6targetE1EEEvT1_, .Lfunc_end60-_ZN7rocprim17ROCPRIM_400000_NS6detail17trampoline_kernelINS0_14default_configENS1_20scan_config_selectorIxEEZZNS1_9scan_implILNS1_25lookback_scan_determinismE0ELb0ELb0ES3_N6thrust23THRUST_200600_302600_NS6detail15normal_iteratorINS9_10device_ptrIxEEEESE_xNS9_4plusIvEExEEDaPvRmT3_T4_T5_mT6_P12ihipStream_tbENKUlT_T0_E_clISt17integral_constantIbLb1EEST_IbLb0EEEEDaSP_SQ_EUlSP_E0_NS1_11comp_targetILNS1_3genE5ELNS1_11target_archE942ELNS1_3gpuE9ELNS1_3repE0EEENS1_30default_config_static_selectorELNS0_4arch9wavefront6targetE1EEEvT1_
                                        ; -- End function
	.section	.AMDGPU.csdata,"",@progbits
; Kernel info:
; codeLenInByte = 0
; NumSgprs: 4
; NumVgprs: 0
; NumAgprs: 0
; TotalNumVgprs: 0
; ScratchSize: 0
; MemoryBound: 0
; FloatMode: 240
; IeeeMode: 1
; LDSByteSize: 0 bytes/workgroup (compile time only)
; SGPRBlocks: 0
; VGPRBlocks: 0
; NumSGPRsForWavesPerEU: 4
; NumVGPRsForWavesPerEU: 1
; AccumOffset: 4
; Occupancy: 8
; WaveLimiterHint : 0
; COMPUTE_PGM_RSRC2:SCRATCH_EN: 0
; COMPUTE_PGM_RSRC2:USER_SGPR: 6
; COMPUTE_PGM_RSRC2:TRAP_HANDLER: 0
; COMPUTE_PGM_RSRC2:TGID_X_EN: 1
; COMPUTE_PGM_RSRC2:TGID_Y_EN: 0
; COMPUTE_PGM_RSRC2:TGID_Z_EN: 0
; COMPUTE_PGM_RSRC2:TIDIG_COMP_CNT: 0
; COMPUTE_PGM_RSRC3_GFX90A:ACCUM_OFFSET: 0
; COMPUTE_PGM_RSRC3_GFX90A:TG_SPLIT: 0
	.section	.text._ZN7rocprim17ROCPRIM_400000_NS6detail17trampoline_kernelINS0_14default_configENS1_20scan_config_selectorIxEEZZNS1_9scan_implILNS1_25lookback_scan_determinismE0ELb0ELb0ES3_N6thrust23THRUST_200600_302600_NS6detail15normal_iteratorINS9_10device_ptrIxEEEESE_xNS9_4plusIvEExEEDaPvRmT3_T4_T5_mT6_P12ihipStream_tbENKUlT_T0_E_clISt17integral_constantIbLb1EEST_IbLb0EEEEDaSP_SQ_EUlSP_E0_NS1_11comp_targetILNS1_3genE4ELNS1_11target_archE910ELNS1_3gpuE8ELNS1_3repE0EEENS1_30default_config_static_selectorELNS0_4arch9wavefront6targetE1EEEvT1_,"axG",@progbits,_ZN7rocprim17ROCPRIM_400000_NS6detail17trampoline_kernelINS0_14default_configENS1_20scan_config_selectorIxEEZZNS1_9scan_implILNS1_25lookback_scan_determinismE0ELb0ELb0ES3_N6thrust23THRUST_200600_302600_NS6detail15normal_iteratorINS9_10device_ptrIxEEEESE_xNS9_4plusIvEExEEDaPvRmT3_T4_T5_mT6_P12ihipStream_tbENKUlT_T0_E_clISt17integral_constantIbLb1EEST_IbLb0EEEEDaSP_SQ_EUlSP_E0_NS1_11comp_targetILNS1_3genE4ELNS1_11target_archE910ELNS1_3gpuE8ELNS1_3repE0EEENS1_30default_config_static_selectorELNS0_4arch9wavefront6targetE1EEEvT1_,comdat
	.protected	_ZN7rocprim17ROCPRIM_400000_NS6detail17trampoline_kernelINS0_14default_configENS1_20scan_config_selectorIxEEZZNS1_9scan_implILNS1_25lookback_scan_determinismE0ELb0ELb0ES3_N6thrust23THRUST_200600_302600_NS6detail15normal_iteratorINS9_10device_ptrIxEEEESE_xNS9_4plusIvEExEEDaPvRmT3_T4_T5_mT6_P12ihipStream_tbENKUlT_T0_E_clISt17integral_constantIbLb1EEST_IbLb0EEEEDaSP_SQ_EUlSP_E0_NS1_11comp_targetILNS1_3genE4ELNS1_11target_archE910ELNS1_3gpuE8ELNS1_3repE0EEENS1_30default_config_static_selectorELNS0_4arch9wavefront6targetE1EEEvT1_ ; -- Begin function _ZN7rocprim17ROCPRIM_400000_NS6detail17trampoline_kernelINS0_14default_configENS1_20scan_config_selectorIxEEZZNS1_9scan_implILNS1_25lookback_scan_determinismE0ELb0ELb0ES3_N6thrust23THRUST_200600_302600_NS6detail15normal_iteratorINS9_10device_ptrIxEEEESE_xNS9_4plusIvEExEEDaPvRmT3_T4_T5_mT6_P12ihipStream_tbENKUlT_T0_E_clISt17integral_constantIbLb1EEST_IbLb0EEEEDaSP_SQ_EUlSP_E0_NS1_11comp_targetILNS1_3genE4ELNS1_11target_archE910ELNS1_3gpuE8ELNS1_3repE0EEENS1_30default_config_static_selectorELNS0_4arch9wavefront6targetE1EEEvT1_
	.globl	_ZN7rocprim17ROCPRIM_400000_NS6detail17trampoline_kernelINS0_14default_configENS1_20scan_config_selectorIxEEZZNS1_9scan_implILNS1_25lookback_scan_determinismE0ELb0ELb0ES3_N6thrust23THRUST_200600_302600_NS6detail15normal_iteratorINS9_10device_ptrIxEEEESE_xNS9_4plusIvEExEEDaPvRmT3_T4_T5_mT6_P12ihipStream_tbENKUlT_T0_E_clISt17integral_constantIbLb1EEST_IbLb0EEEEDaSP_SQ_EUlSP_E0_NS1_11comp_targetILNS1_3genE4ELNS1_11target_archE910ELNS1_3gpuE8ELNS1_3repE0EEENS1_30default_config_static_selectorELNS0_4arch9wavefront6targetE1EEEvT1_
	.p2align	8
	.type	_ZN7rocprim17ROCPRIM_400000_NS6detail17trampoline_kernelINS0_14default_configENS1_20scan_config_selectorIxEEZZNS1_9scan_implILNS1_25lookback_scan_determinismE0ELb0ELb0ES3_N6thrust23THRUST_200600_302600_NS6detail15normal_iteratorINS9_10device_ptrIxEEEESE_xNS9_4plusIvEExEEDaPvRmT3_T4_T5_mT6_P12ihipStream_tbENKUlT_T0_E_clISt17integral_constantIbLb1EEST_IbLb0EEEEDaSP_SQ_EUlSP_E0_NS1_11comp_targetILNS1_3genE4ELNS1_11target_archE910ELNS1_3gpuE8ELNS1_3repE0EEENS1_30default_config_static_selectorELNS0_4arch9wavefront6targetE1EEEvT1_,@function
_ZN7rocprim17ROCPRIM_400000_NS6detail17trampoline_kernelINS0_14default_configENS1_20scan_config_selectorIxEEZZNS1_9scan_implILNS1_25lookback_scan_determinismE0ELb0ELb0ES3_N6thrust23THRUST_200600_302600_NS6detail15normal_iteratorINS9_10device_ptrIxEEEESE_xNS9_4plusIvEExEEDaPvRmT3_T4_T5_mT6_P12ihipStream_tbENKUlT_T0_E_clISt17integral_constantIbLb1EEST_IbLb0EEEEDaSP_SQ_EUlSP_E0_NS1_11comp_targetILNS1_3genE4ELNS1_11target_archE910ELNS1_3gpuE8ELNS1_3repE0EEENS1_30default_config_static_selectorELNS0_4arch9wavefront6targetE1EEEvT1_: ; @_ZN7rocprim17ROCPRIM_400000_NS6detail17trampoline_kernelINS0_14default_configENS1_20scan_config_selectorIxEEZZNS1_9scan_implILNS1_25lookback_scan_determinismE0ELb0ELb0ES3_N6thrust23THRUST_200600_302600_NS6detail15normal_iteratorINS9_10device_ptrIxEEEESE_xNS9_4plusIvEExEEDaPvRmT3_T4_T5_mT6_P12ihipStream_tbENKUlT_T0_E_clISt17integral_constantIbLb1EEST_IbLb0EEEEDaSP_SQ_EUlSP_E0_NS1_11comp_targetILNS1_3genE4ELNS1_11target_archE910ELNS1_3gpuE8ELNS1_3repE0EEENS1_30default_config_static_selectorELNS0_4arch9wavefront6targetE1EEEvT1_
; %bb.0:
	s_load_dwordx4 s[16:19], s[4:5], 0x0
	v_lshlrev_b32_e32 v21, 3, v0
	s_waitcnt lgkmcnt(0)
	s_load_dwordx2 s[14:15], s[16:17], 0x0
	v_cmp_gt_u32_e32 vcc, s18, v0
	s_waitcnt lgkmcnt(0)
	v_pk_mov_b32 v[2:3], s[14:15], s[14:15] op_sel:[0,1]
	s_and_saveexec_b64 s[0:1], vcc
	s_cbranch_execz .LBB61_2
; %bb.1:
	global_load_dwordx2 v[2:3], v21, s[16:17]
.LBB61_2:
	s_or_b64 exec, exec, s[0:1]
	v_or_b32_e32 v1, 0x80, v0
	v_cmp_gt_u32_e64 s[0:1], s18, v1
	v_pk_mov_b32 v[4:5], s[14:15], s[14:15] op_sel:[0,1]
	s_and_saveexec_b64 s[2:3], s[0:1]
	s_cbranch_execz .LBB61_4
; %bb.3:
	global_load_dwordx2 v[4:5], v21, s[16:17] offset:1024
.LBB61_4:
	s_or_b64 exec, exec, s[2:3]
	v_or_b32_e32 v1, 0x100, v0
	v_cmp_gt_u32_e64 s[2:3], s18, v1
	v_pk_mov_b32 v[6:7], s[14:15], s[14:15] op_sel:[0,1]
	s_and_saveexec_b64 s[6:7], s[2:3]
	s_cbranch_execz .LBB61_6
; %bb.5:
	global_load_dwordx2 v[6:7], v21, s[16:17] offset:2048
.LBB61_6:
	;; [unrolled: 9-line block ×3, first 2 shown]
	s_or_b64 exec, exec, s[6:7]
	v_or_b32_e32 v1, 0x200, v0
	v_cmp_gt_u32_e64 s[6:7], s18, v1
	v_pk_mov_b32 v[10:11], s[14:15], s[14:15] op_sel:[0,1]
	s_and_saveexec_b64 s[8:9], s[6:7]
	s_cbranch_execz .LBB61_10
; %bb.9:
	v_lshlrev_b32_e32 v1, 3, v1
	global_load_dwordx2 v[10:11], v1, s[16:17]
.LBB61_10:
	s_or_b64 exec, exec, s[8:9]
	v_or_b32_e32 v1, 0x280, v0
	v_cmp_gt_u32_e64 s[8:9], s18, v1
	v_pk_mov_b32 v[12:13], s[14:15], s[14:15] op_sel:[0,1]
	s_and_saveexec_b64 s[10:11], s[8:9]
	s_cbranch_execz .LBB61_12
; %bb.11:
	v_lshlrev_b32_e32 v1, 3, v1
	global_load_dwordx2 v[12:13], v1, s[16:17]
.LBB61_12:
	;; [unrolled: 10-line block ×3, first 2 shown]
	s_or_b64 exec, exec, s[14:15]
	v_mad_u32_u24 v1, v0, 48, v21
	s_waitcnt vmcnt(0)
	ds_write2st64_b64 v21, v[2:3], v[4:5] offset1:2
	ds_write2st64_b64 v21, v[6:7], v[8:9] offset0:4 offset1:6
	ds_write2st64_b64 v21, v[10:11], v[12:13] offset0:8 offset1:10
	ds_write_b64 v21, v[14:15] offset:6144
	s_waitcnt lgkmcnt(0)
	s_barrier
	ds_read2_b64 v[2:5], v1 offset1:1
	ds_read2_b64 v[6:9], v1 offset0:2 offset1:3
	ds_read2_b64 v[10:13], v1 offset0:4 offset1:5
	ds_read_b64 v[28:29], v1 offset:48
	s_load_dwordx2 s[16:17], s[4:5], 0x20
	s_waitcnt lgkmcnt(0)
	v_add_co_u32_e64 v20, s[4:5], v4, v2
	v_addc_co_u32_e64 v1, s[4:5], v5, v3, s[4:5]
	v_add_co_u32_e64 v18, s[4:5], v20, v6
	v_addc_co_u32_e64 v19, s[4:5], v1, v7, s[4:5]
	;; [unrolled: 2-line block ×5, first 2 shown]
	v_add_co_u32_e64 v30, s[4:5], v26, v28
	v_lshrrev_b32_e32 v14, 2, v0
	v_addc_co_u32_e64 v31, s[4:5], v27, v29, s[4:5]
	v_and_b32_e32 v14, 24, v14
	v_add_u32_e32 v14, v21, v14
	v_cmp_gt_u32_e64 s[4:5], 64, v0
	s_barrier
	ds_write_b64 v14, v[30:31]
	s_waitcnt lgkmcnt(0)
	s_barrier
	s_and_saveexec_b64 s[18:19], s[4:5]
	s_cbranch_execz .LBB61_18
; %bb.15:
	v_lshlrev_b32_e32 v14, 1, v0
	v_lshrrev_b32_e32 v15, 4, v0
	v_add_lshl_u32 v32, v15, v14, 3
	ds_read2_b64 v[14:17], v32 offset1:1
	s_waitcnt lgkmcnt(0)
	v_add_co_u32_e64 v34, s[4:5], v16, v14
	v_addc_co_u32_e64 v35, s[4:5], v17, v15, s[4:5]
	s_nop 0
	v_mov_b32_dpp v17, v34 row_shr:1 row_mask:0xf bank_mask:0xf
	v_add_co_u32_e64 v17, s[4:5], v34, v17
	v_mbcnt_lo_u32_b32 v16, -1, 0
	v_addc_co_u32_e64 v37, s[4:5], 0, v35, s[4:5]
	v_mbcnt_hi_u32_b32 v33, -1, v16
	v_mov_b32_dpp v36, v35 row_shr:1 row_mask:0xf bank_mask:0xf
	v_add_co_u32_e64 v38, s[4:5], 0, v17
	v_and_b32_e32 v16, 15, v33
	v_addc_co_u32_e64 v36, s[4:5], v36, v37, s[4:5]
	v_cmp_eq_u32_e64 s[4:5], 0, v16
	v_cndmask_b32_e64 v17, v17, v34, s[4:5]
	v_cndmask_b32_e64 v36, v36, v35, s[4:5]
	v_cndmask_b32_e64 v37, v38, v34, s[4:5]
	v_mov_b32_dpp v38, v17 row_shr:2 row_mask:0xf bank_mask:0xf
	v_mov_b32_dpp v39, v36 row_shr:2 row_mask:0xf bank_mask:0xf
	v_add_co_u32_e64 v38, s[4:5], v38, v37
	v_addc_co_u32_e64 v39, s[4:5], v39, v36, s[4:5]
	v_cmp_lt_u32_e64 s[4:5], 1, v16
	v_cndmask_b32_e64 v17, v17, v38, s[4:5]
	v_cndmask_b32_e64 v36, v36, v39, s[4:5]
	v_cndmask_b32_e64 v37, v37, v38, s[4:5]
	v_mov_b32_dpp v38, v17 row_shr:4 row_mask:0xf bank_mask:0xf
	v_mov_b32_dpp v39, v36 row_shr:4 row_mask:0xf bank_mask:0xf
	v_add_co_u32_e64 v38, s[4:5], v38, v37
	v_addc_co_u32_e64 v39, s[4:5], v39, v36, s[4:5]
	v_cmp_lt_u32_e64 s[4:5], 3, v16
	;; [unrolled: 8-line block ×3, first 2 shown]
	v_cndmask_b32_e64 v40, v17, v38, s[4:5]
	v_cndmask_b32_e64 v17, v36, v39, s[4:5]
	;; [unrolled: 1-line block ×3, first 2 shown]
	v_mov_b32_dpp v36, v40 row_bcast:15 row_mask:0xf bank_mask:0xf
	v_mov_b32_dpp v37, v17 row_bcast:15 row_mask:0xf bank_mask:0xf
	v_add_co_u32_e64 v36, s[4:5], v36, v16
	v_and_b32_e32 v39, 16, v33
	v_addc_co_u32_e64 v38, s[4:5], v37, v17, s[4:5]
	v_cmp_eq_u32_e64 s[4:5], 0, v39
	v_cndmask_b32_e64 v39, v38, v17, s[4:5]
	v_cndmask_b32_e64 v37, v36, v40, s[4:5]
	v_cmp_ne_u32_e64 s[14:15], 0, v33
	v_mov_b32_dpp v39, v39 row_bcast:31 row_mask:0xf bank_mask:0xf
	v_mov_b32_dpp v37, v37 row_bcast:31 row_mask:0xf bank_mask:0xf
	s_and_saveexec_b64 s[20:21], s[14:15]
; %bb.16:
	v_cndmask_b32_e64 v17, v38, v17, s[4:5]
	v_cndmask_b32_e64 v16, v36, v16, s[4:5]
	v_cmp_lt_u32_e64 s[4:5], 31, v33
	v_cndmask_b32_e64 v34, 0, v37, s[4:5]
	v_cndmask_b32_e64 v35, 0, v39, s[4:5]
	v_add_co_u32_e64 v34, s[4:5], v34, v16
	v_addc_co_u32_e64 v35, s[4:5], v35, v17, s[4:5]
; %bb.17:
	s_or_b64 exec, exec, s[20:21]
	v_add_u32_e32 v16, -1, v33
	v_and_b32_e32 v17, 64, v33
	v_cmp_lt_i32_e64 s[4:5], v16, v17
	v_cndmask_b32_e64 v16, v16, v33, s[4:5]
	v_lshlrev_b32_e32 v16, 2, v16
	ds_bpermute_b32 v17, v16, v34
	ds_bpermute_b32 v16, v16, v35
	; wave barrier
	s_waitcnt lgkmcnt(1)
	v_add_co_u32_e64 v14, s[4:5], v14, v17
	v_addc_co_u32_e64 v15, s[4:5], 0, v15, s[4:5]
	v_add_co_u32_e64 v14, s[4:5], 0, v14
	s_waitcnt lgkmcnt(0)
	v_addc_co_u32_e64 v15, s[4:5], v15, v16, s[4:5]
	v_cmp_eq_u32_e64 s[4:5], 0, v0
	v_cndmask_b32_e64 v15, v15, v31, s[4:5]
	v_cndmask_b32_e64 v14, v14, v30, s[4:5]
	ds_write_b64 v32, v[14:15]
	; wave barrier
	ds_read_b64 v[16:17], v32 offset:8
	s_waitcnt lgkmcnt(0)
	v_add_co_u32_e64 v14, s[4:5], v16, v14
	v_addc_co_u32_e64 v15, s[4:5], v17, v15, s[4:5]
	ds_write_b64 v32, v[14:15] offset:8
.LBB61_18:
	s_or_b64 exec, exec, s[18:19]
	v_mul_u32_u24_e32 v16, 48, v0
	v_cmp_ne_u32_e64 s[4:5], 0, v0
	v_pk_mov_b32 v[14:15], v[30:31], v[30:31] op_sel:[0,1]
	s_waitcnt lgkmcnt(0)
	s_barrier
	s_and_saveexec_b64 s[14:15], s[4:5]
	s_cbranch_execz .LBB61_20
; %bb.19:
	v_add_u32_e32 v0, -1, v0
	v_lshrrev_b32_e32 v14, 5, v0
	v_add_lshl_u32 v0, v14, v0, 3
	ds_read_b64 v[14:15], v0
.LBB61_20:
	s_or_b64 exec, exec, s[14:15]
	s_and_saveexec_b64 s[14:15], s[4:5]
	s_cbranch_execz .LBB61_22
; %bb.21:
	s_waitcnt lgkmcnt(0)
	v_add_co_u32_e64 v2, s[4:5], v14, v2
	v_addc_co_u32_e64 v3, s[4:5], v15, v3, s[4:5]
	v_add_co_u32_e64 v20, s[4:5], v2, v4
	v_addc_co_u32_e64 v1, s[4:5], v3, v5, s[4:5]
	;; [unrolled: 2-line block ×7, first 2 shown]
	;;#ASMSTART
	;;#ASMEND
.LBB61_22:
	s_or_b64 exec, exec, s[14:15]
	v_add_u32_e32 v4, v21, v16
	v_mov_b32_e32 v0, v20
	s_waitcnt lgkmcnt(0)
	s_barrier
	ds_write2_b64 v4, v[2:3], v[0:1] offset1:1
	ds_write2_b64 v4, v[18:19], v[24:25] offset0:2 offset1:3
	ds_write2_b64 v4, v[22:23], v[26:27] offset0:4 offset1:5
	ds_write_b64 v4, v[30:31] offset:48
	s_waitcnt lgkmcnt(0)
	s_barrier
	ds_read2st64_b64 v[8:11], v21 offset0:2 offset1:4
	ds_read2st64_b64 v[4:7], v21 offset0:6 offset1:8
	;; [unrolled: 1-line block ×3, first 2 shown]
	v_mov_b32_e32 v13, s17
	v_add_co_u32_e64 v12, s[4:5], s16, v21
	v_addc_co_u32_e64 v13, s[4:5], 0, v13, s[4:5]
	s_and_saveexec_b64 s[4:5], vcc
	s_cbranch_execnz .LBB61_30
; %bb.23:
	s_or_b64 exec, exec, s[4:5]
	s_and_saveexec_b64 s[4:5], s[0:1]
	s_cbranch_execnz .LBB61_31
.LBB61_24:
	s_or_b64 exec, exec, s[4:5]
	s_and_saveexec_b64 s[0:1], s[2:3]
	s_cbranch_execnz .LBB61_32
.LBB61_25:
	s_or_b64 exec, exec, s[0:1]
	s_and_saveexec_b64 s[0:1], s[12:13]
	s_cbranch_execnz .LBB61_33
.LBB61_26:
	s_or_b64 exec, exec, s[0:1]
	s_and_saveexec_b64 s[0:1], s[6:7]
	s_cbranch_execnz .LBB61_34
.LBB61_27:
	s_or_b64 exec, exec, s[0:1]
	s_and_saveexec_b64 s[0:1], s[8:9]
	s_cbranch_execnz .LBB61_35
.LBB61_28:
	s_or_b64 exec, exec, s[0:1]
	s_and_saveexec_b64 s[0:1], s[10:11]
	s_cbranch_execnz .LBB61_36
.LBB61_29:
	s_endpgm
.LBB61_30:
	ds_read_b64 v[14:15], v21
	s_waitcnt lgkmcnt(0)
	global_store_dwordx2 v[12:13], v[14:15], off
	s_or_b64 exec, exec, s[4:5]
	s_and_saveexec_b64 s[4:5], s[0:1]
	s_cbranch_execz .LBB61_24
.LBB61_31:
	s_waitcnt lgkmcnt(2)
	global_store_dwordx2 v[12:13], v[8:9], off offset:1024
	s_or_b64 exec, exec, s[4:5]
	s_and_saveexec_b64 s[0:1], s[2:3]
	s_cbranch_execz .LBB61_25
.LBB61_32:
	s_waitcnt lgkmcnt(2)
	global_store_dwordx2 v[12:13], v[10:11], off offset:2048
	s_or_b64 exec, exec, s[0:1]
	s_and_saveexec_b64 s[0:1], s[12:13]
	s_cbranch_execz .LBB61_26
.LBB61_33:
	s_waitcnt lgkmcnt(1)
	global_store_dwordx2 v[12:13], v[4:5], off offset:3072
	s_or_b64 exec, exec, s[0:1]
	s_and_saveexec_b64 s[0:1], s[6:7]
	s_cbranch_execz .LBB61_27
.LBB61_34:
	s_waitcnt lgkmcnt(1)
	v_add_co_u32_e32 v4, vcc, 0x1000, v12
	v_addc_co_u32_e32 v5, vcc, 0, v13, vcc
	global_store_dwordx2 v[4:5], v[6:7], off
	s_or_b64 exec, exec, s[0:1]
	s_and_saveexec_b64 s[0:1], s[8:9]
	s_cbranch_execz .LBB61_28
.LBB61_35:
	s_waitcnt lgkmcnt(1)
	v_add_co_u32_e32 v4, vcc, 0x1000, v12
	v_addc_co_u32_e32 v5, vcc, 0, v13, vcc
	s_waitcnt lgkmcnt(0)
	global_store_dwordx2 v[4:5], v[0:1], off offset:1024
	s_or_b64 exec, exec, s[0:1]
	s_and_saveexec_b64 s[0:1], s[10:11]
	s_cbranch_execz .LBB61_29
.LBB61_36:
	s_waitcnt lgkmcnt(0)
	v_add_co_u32_e32 v0, vcc, 0x1000, v12
	v_addc_co_u32_e32 v1, vcc, 0, v13, vcc
	global_store_dwordx2 v[0:1], v[2:3], off offset:2048
	s_endpgm
	.section	.rodata,"a",@progbits
	.p2align	6, 0x0
	.amdhsa_kernel _ZN7rocprim17ROCPRIM_400000_NS6detail17trampoline_kernelINS0_14default_configENS1_20scan_config_selectorIxEEZZNS1_9scan_implILNS1_25lookback_scan_determinismE0ELb0ELb0ES3_N6thrust23THRUST_200600_302600_NS6detail15normal_iteratorINS9_10device_ptrIxEEEESE_xNS9_4plusIvEExEEDaPvRmT3_T4_T5_mT6_P12ihipStream_tbENKUlT_T0_E_clISt17integral_constantIbLb1EEST_IbLb0EEEEDaSP_SQ_EUlSP_E0_NS1_11comp_targetILNS1_3genE4ELNS1_11target_archE910ELNS1_3gpuE8ELNS1_3repE0EEENS1_30default_config_static_selectorELNS0_4arch9wavefront6targetE1EEEvT1_
		.amdhsa_group_segment_fixed_size 7168
		.amdhsa_private_segment_fixed_size 0
		.amdhsa_kernarg_size 40
		.amdhsa_user_sgpr_count 6
		.amdhsa_user_sgpr_private_segment_buffer 1
		.amdhsa_user_sgpr_dispatch_ptr 0
		.amdhsa_user_sgpr_queue_ptr 0
		.amdhsa_user_sgpr_kernarg_segment_ptr 1
		.amdhsa_user_sgpr_dispatch_id 0
		.amdhsa_user_sgpr_flat_scratch_init 0
		.amdhsa_user_sgpr_kernarg_preload_length 0
		.amdhsa_user_sgpr_kernarg_preload_offset 0
		.amdhsa_user_sgpr_private_segment_size 0
		.amdhsa_uses_dynamic_stack 0
		.amdhsa_system_sgpr_private_segment_wavefront_offset 0
		.amdhsa_system_sgpr_workgroup_id_x 1
		.amdhsa_system_sgpr_workgroup_id_y 0
		.amdhsa_system_sgpr_workgroup_id_z 0
		.amdhsa_system_sgpr_workgroup_info 0
		.amdhsa_system_vgpr_workitem_id 0
		.amdhsa_next_free_vgpr 41
		.amdhsa_next_free_sgpr 22
		.amdhsa_accum_offset 44
		.amdhsa_reserve_vcc 1
		.amdhsa_reserve_flat_scratch 0
		.amdhsa_float_round_mode_32 0
		.amdhsa_float_round_mode_16_64 0
		.amdhsa_float_denorm_mode_32 3
		.amdhsa_float_denorm_mode_16_64 3
		.amdhsa_dx10_clamp 1
		.amdhsa_ieee_mode 1
		.amdhsa_fp16_overflow 0
		.amdhsa_tg_split 0
		.amdhsa_exception_fp_ieee_invalid_op 0
		.amdhsa_exception_fp_denorm_src 0
		.amdhsa_exception_fp_ieee_div_zero 0
		.amdhsa_exception_fp_ieee_overflow 0
		.amdhsa_exception_fp_ieee_underflow 0
		.amdhsa_exception_fp_ieee_inexact 0
		.amdhsa_exception_int_div_zero 0
	.end_amdhsa_kernel
	.section	.text._ZN7rocprim17ROCPRIM_400000_NS6detail17trampoline_kernelINS0_14default_configENS1_20scan_config_selectorIxEEZZNS1_9scan_implILNS1_25lookback_scan_determinismE0ELb0ELb0ES3_N6thrust23THRUST_200600_302600_NS6detail15normal_iteratorINS9_10device_ptrIxEEEESE_xNS9_4plusIvEExEEDaPvRmT3_T4_T5_mT6_P12ihipStream_tbENKUlT_T0_E_clISt17integral_constantIbLb1EEST_IbLb0EEEEDaSP_SQ_EUlSP_E0_NS1_11comp_targetILNS1_3genE4ELNS1_11target_archE910ELNS1_3gpuE8ELNS1_3repE0EEENS1_30default_config_static_selectorELNS0_4arch9wavefront6targetE1EEEvT1_,"axG",@progbits,_ZN7rocprim17ROCPRIM_400000_NS6detail17trampoline_kernelINS0_14default_configENS1_20scan_config_selectorIxEEZZNS1_9scan_implILNS1_25lookback_scan_determinismE0ELb0ELb0ES3_N6thrust23THRUST_200600_302600_NS6detail15normal_iteratorINS9_10device_ptrIxEEEESE_xNS9_4plusIvEExEEDaPvRmT3_T4_T5_mT6_P12ihipStream_tbENKUlT_T0_E_clISt17integral_constantIbLb1EEST_IbLb0EEEEDaSP_SQ_EUlSP_E0_NS1_11comp_targetILNS1_3genE4ELNS1_11target_archE910ELNS1_3gpuE8ELNS1_3repE0EEENS1_30default_config_static_selectorELNS0_4arch9wavefront6targetE1EEEvT1_,comdat
.Lfunc_end61:
	.size	_ZN7rocprim17ROCPRIM_400000_NS6detail17trampoline_kernelINS0_14default_configENS1_20scan_config_selectorIxEEZZNS1_9scan_implILNS1_25lookback_scan_determinismE0ELb0ELb0ES3_N6thrust23THRUST_200600_302600_NS6detail15normal_iteratorINS9_10device_ptrIxEEEESE_xNS9_4plusIvEExEEDaPvRmT3_T4_T5_mT6_P12ihipStream_tbENKUlT_T0_E_clISt17integral_constantIbLb1EEST_IbLb0EEEEDaSP_SQ_EUlSP_E0_NS1_11comp_targetILNS1_3genE4ELNS1_11target_archE910ELNS1_3gpuE8ELNS1_3repE0EEENS1_30default_config_static_selectorELNS0_4arch9wavefront6targetE1EEEvT1_, .Lfunc_end61-_ZN7rocprim17ROCPRIM_400000_NS6detail17trampoline_kernelINS0_14default_configENS1_20scan_config_selectorIxEEZZNS1_9scan_implILNS1_25lookback_scan_determinismE0ELb0ELb0ES3_N6thrust23THRUST_200600_302600_NS6detail15normal_iteratorINS9_10device_ptrIxEEEESE_xNS9_4plusIvEExEEDaPvRmT3_T4_T5_mT6_P12ihipStream_tbENKUlT_T0_E_clISt17integral_constantIbLb1EEST_IbLb0EEEEDaSP_SQ_EUlSP_E0_NS1_11comp_targetILNS1_3genE4ELNS1_11target_archE910ELNS1_3gpuE8ELNS1_3repE0EEENS1_30default_config_static_selectorELNS0_4arch9wavefront6targetE1EEEvT1_
                                        ; -- End function
	.section	.AMDGPU.csdata,"",@progbits
; Kernel info:
; codeLenInByte = 1804
; NumSgprs: 26
; NumVgprs: 41
; NumAgprs: 0
; TotalNumVgprs: 41
; ScratchSize: 0
; MemoryBound: 0
; FloatMode: 240
; IeeeMode: 1
; LDSByteSize: 7168 bytes/workgroup (compile time only)
; SGPRBlocks: 3
; VGPRBlocks: 5
; NumSGPRsForWavesPerEU: 26
; NumVGPRsForWavesPerEU: 41
; AccumOffset: 44
; Occupancy: 5
; WaveLimiterHint : 0
; COMPUTE_PGM_RSRC2:SCRATCH_EN: 0
; COMPUTE_PGM_RSRC2:USER_SGPR: 6
; COMPUTE_PGM_RSRC2:TRAP_HANDLER: 0
; COMPUTE_PGM_RSRC2:TGID_X_EN: 1
; COMPUTE_PGM_RSRC2:TGID_Y_EN: 0
; COMPUTE_PGM_RSRC2:TGID_Z_EN: 0
; COMPUTE_PGM_RSRC2:TIDIG_COMP_CNT: 0
; COMPUTE_PGM_RSRC3_GFX90A:ACCUM_OFFSET: 10
; COMPUTE_PGM_RSRC3_GFX90A:TG_SPLIT: 0
	.section	.text._ZN7rocprim17ROCPRIM_400000_NS6detail17trampoline_kernelINS0_14default_configENS1_20scan_config_selectorIxEEZZNS1_9scan_implILNS1_25lookback_scan_determinismE0ELb0ELb0ES3_N6thrust23THRUST_200600_302600_NS6detail15normal_iteratorINS9_10device_ptrIxEEEESE_xNS9_4plusIvEExEEDaPvRmT3_T4_T5_mT6_P12ihipStream_tbENKUlT_T0_E_clISt17integral_constantIbLb1EEST_IbLb0EEEEDaSP_SQ_EUlSP_E0_NS1_11comp_targetILNS1_3genE3ELNS1_11target_archE908ELNS1_3gpuE7ELNS1_3repE0EEENS1_30default_config_static_selectorELNS0_4arch9wavefront6targetE1EEEvT1_,"axG",@progbits,_ZN7rocprim17ROCPRIM_400000_NS6detail17trampoline_kernelINS0_14default_configENS1_20scan_config_selectorIxEEZZNS1_9scan_implILNS1_25lookback_scan_determinismE0ELb0ELb0ES3_N6thrust23THRUST_200600_302600_NS6detail15normal_iteratorINS9_10device_ptrIxEEEESE_xNS9_4plusIvEExEEDaPvRmT3_T4_T5_mT6_P12ihipStream_tbENKUlT_T0_E_clISt17integral_constantIbLb1EEST_IbLb0EEEEDaSP_SQ_EUlSP_E0_NS1_11comp_targetILNS1_3genE3ELNS1_11target_archE908ELNS1_3gpuE7ELNS1_3repE0EEENS1_30default_config_static_selectorELNS0_4arch9wavefront6targetE1EEEvT1_,comdat
	.protected	_ZN7rocprim17ROCPRIM_400000_NS6detail17trampoline_kernelINS0_14default_configENS1_20scan_config_selectorIxEEZZNS1_9scan_implILNS1_25lookback_scan_determinismE0ELb0ELb0ES3_N6thrust23THRUST_200600_302600_NS6detail15normal_iteratorINS9_10device_ptrIxEEEESE_xNS9_4plusIvEExEEDaPvRmT3_T4_T5_mT6_P12ihipStream_tbENKUlT_T0_E_clISt17integral_constantIbLb1EEST_IbLb0EEEEDaSP_SQ_EUlSP_E0_NS1_11comp_targetILNS1_3genE3ELNS1_11target_archE908ELNS1_3gpuE7ELNS1_3repE0EEENS1_30default_config_static_selectorELNS0_4arch9wavefront6targetE1EEEvT1_ ; -- Begin function _ZN7rocprim17ROCPRIM_400000_NS6detail17trampoline_kernelINS0_14default_configENS1_20scan_config_selectorIxEEZZNS1_9scan_implILNS1_25lookback_scan_determinismE0ELb0ELb0ES3_N6thrust23THRUST_200600_302600_NS6detail15normal_iteratorINS9_10device_ptrIxEEEESE_xNS9_4plusIvEExEEDaPvRmT3_T4_T5_mT6_P12ihipStream_tbENKUlT_T0_E_clISt17integral_constantIbLb1EEST_IbLb0EEEEDaSP_SQ_EUlSP_E0_NS1_11comp_targetILNS1_3genE3ELNS1_11target_archE908ELNS1_3gpuE7ELNS1_3repE0EEENS1_30default_config_static_selectorELNS0_4arch9wavefront6targetE1EEEvT1_
	.globl	_ZN7rocprim17ROCPRIM_400000_NS6detail17trampoline_kernelINS0_14default_configENS1_20scan_config_selectorIxEEZZNS1_9scan_implILNS1_25lookback_scan_determinismE0ELb0ELb0ES3_N6thrust23THRUST_200600_302600_NS6detail15normal_iteratorINS9_10device_ptrIxEEEESE_xNS9_4plusIvEExEEDaPvRmT3_T4_T5_mT6_P12ihipStream_tbENKUlT_T0_E_clISt17integral_constantIbLb1EEST_IbLb0EEEEDaSP_SQ_EUlSP_E0_NS1_11comp_targetILNS1_3genE3ELNS1_11target_archE908ELNS1_3gpuE7ELNS1_3repE0EEENS1_30default_config_static_selectorELNS0_4arch9wavefront6targetE1EEEvT1_
	.p2align	8
	.type	_ZN7rocprim17ROCPRIM_400000_NS6detail17trampoline_kernelINS0_14default_configENS1_20scan_config_selectorIxEEZZNS1_9scan_implILNS1_25lookback_scan_determinismE0ELb0ELb0ES3_N6thrust23THRUST_200600_302600_NS6detail15normal_iteratorINS9_10device_ptrIxEEEESE_xNS9_4plusIvEExEEDaPvRmT3_T4_T5_mT6_P12ihipStream_tbENKUlT_T0_E_clISt17integral_constantIbLb1EEST_IbLb0EEEEDaSP_SQ_EUlSP_E0_NS1_11comp_targetILNS1_3genE3ELNS1_11target_archE908ELNS1_3gpuE7ELNS1_3repE0EEENS1_30default_config_static_selectorELNS0_4arch9wavefront6targetE1EEEvT1_,@function
_ZN7rocprim17ROCPRIM_400000_NS6detail17trampoline_kernelINS0_14default_configENS1_20scan_config_selectorIxEEZZNS1_9scan_implILNS1_25lookback_scan_determinismE0ELb0ELb0ES3_N6thrust23THRUST_200600_302600_NS6detail15normal_iteratorINS9_10device_ptrIxEEEESE_xNS9_4plusIvEExEEDaPvRmT3_T4_T5_mT6_P12ihipStream_tbENKUlT_T0_E_clISt17integral_constantIbLb1EEST_IbLb0EEEEDaSP_SQ_EUlSP_E0_NS1_11comp_targetILNS1_3genE3ELNS1_11target_archE908ELNS1_3gpuE7ELNS1_3repE0EEENS1_30default_config_static_selectorELNS0_4arch9wavefront6targetE1EEEvT1_: ; @_ZN7rocprim17ROCPRIM_400000_NS6detail17trampoline_kernelINS0_14default_configENS1_20scan_config_selectorIxEEZZNS1_9scan_implILNS1_25lookback_scan_determinismE0ELb0ELb0ES3_N6thrust23THRUST_200600_302600_NS6detail15normal_iteratorINS9_10device_ptrIxEEEESE_xNS9_4plusIvEExEEDaPvRmT3_T4_T5_mT6_P12ihipStream_tbENKUlT_T0_E_clISt17integral_constantIbLb1EEST_IbLb0EEEEDaSP_SQ_EUlSP_E0_NS1_11comp_targetILNS1_3genE3ELNS1_11target_archE908ELNS1_3gpuE7ELNS1_3repE0EEENS1_30default_config_static_selectorELNS0_4arch9wavefront6targetE1EEEvT1_
; %bb.0:
	.section	.rodata,"a",@progbits
	.p2align	6, 0x0
	.amdhsa_kernel _ZN7rocprim17ROCPRIM_400000_NS6detail17trampoline_kernelINS0_14default_configENS1_20scan_config_selectorIxEEZZNS1_9scan_implILNS1_25lookback_scan_determinismE0ELb0ELb0ES3_N6thrust23THRUST_200600_302600_NS6detail15normal_iteratorINS9_10device_ptrIxEEEESE_xNS9_4plusIvEExEEDaPvRmT3_T4_T5_mT6_P12ihipStream_tbENKUlT_T0_E_clISt17integral_constantIbLb1EEST_IbLb0EEEEDaSP_SQ_EUlSP_E0_NS1_11comp_targetILNS1_3genE3ELNS1_11target_archE908ELNS1_3gpuE7ELNS1_3repE0EEENS1_30default_config_static_selectorELNS0_4arch9wavefront6targetE1EEEvT1_
		.amdhsa_group_segment_fixed_size 0
		.amdhsa_private_segment_fixed_size 0
		.amdhsa_kernarg_size 40
		.amdhsa_user_sgpr_count 6
		.amdhsa_user_sgpr_private_segment_buffer 1
		.amdhsa_user_sgpr_dispatch_ptr 0
		.amdhsa_user_sgpr_queue_ptr 0
		.amdhsa_user_sgpr_kernarg_segment_ptr 1
		.amdhsa_user_sgpr_dispatch_id 0
		.amdhsa_user_sgpr_flat_scratch_init 0
		.amdhsa_user_sgpr_kernarg_preload_length 0
		.amdhsa_user_sgpr_kernarg_preload_offset 0
		.amdhsa_user_sgpr_private_segment_size 0
		.amdhsa_uses_dynamic_stack 0
		.amdhsa_system_sgpr_private_segment_wavefront_offset 0
		.amdhsa_system_sgpr_workgroup_id_x 1
		.amdhsa_system_sgpr_workgroup_id_y 0
		.amdhsa_system_sgpr_workgroup_id_z 0
		.amdhsa_system_sgpr_workgroup_info 0
		.amdhsa_system_vgpr_workitem_id 0
		.amdhsa_next_free_vgpr 1
		.amdhsa_next_free_sgpr 0
		.amdhsa_accum_offset 4
		.amdhsa_reserve_vcc 0
		.amdhsa_reserve_flat_scratch 0
		.amdhsa_float_round_mode_32 0
		.amdhsa_float_round_mode_16_64 0
		.amdhsa_float_denorm_mode_32 3
		.amdhsa_float_denorm_mode_16_64 3
		.amdhsa_dx10_clamp 1
		.amdhsa_ieee_mode 1
		.amdhsa_fp16_overflow 0
		.amdhsa_tg_split 0
		.amdhsa_exception_fp_ieee_invalid_op 0
		.amdhsa_exception_fp_denorm_src 0
		.amdhsa_exception_fp_ieee_div_zero 0
		.amdhsa_exception_fp_ieee_overflow 0
		.amdhsa_exception_fp_ieee_underflow 0
		.amdhsa_exception_fp_ieee_inexact 0
		.amdhsa_exception_int_div_zero 0
	.end_amdhsa_kernel
	.section	.text._ZN7rocprim17ROCPRIM_400000_NS6detail17trampoline_kernelINS0_14default_configENS1_20scan_config_selectorIxEEZZNS1_9scan_implILNS1_25lookback_scan_determinismE0ELb0ELb0ES3_N6thrust23THRUST_200600_302600_NS6detail15normal_iteratorINS9_10device_ptrIxEEEESE_xNS9_4plusIvEExEEDaPvRmT3_T4_T5_mT6_P12ihipStream_tbENKUlT_T0_E_clISt17integral_constantIbLb1EEST_IbLb0EEEEDaSP_SQ_EUlSP_E0_NS1_11comp_targetILNS1_3genE3ELNS1_11target_archE908ELNS1_3gpuE7ELNS1_3repE0EEENS1_30default_config_static_selectorELNS0_4arch9wavefront6targetE1EEEvT1_,"axG",@progbits,_ZN7rocprim17ROCPRIM_400000_NS6detail17trampoline_kernelINS0_14default_configENS1_20scan_config_selectorIxEEZZNS1_9scan_implILNS1_25lookback_scan_determinismE0ELb0ELb0ES3_N6thrust23THRUST_200600_302600_NS6detail15normal_iteratorINS9_10device_ptrIxEEEESE_xNS9_4plusIvEExEEDaPvRmT3_T4_T5_mT6_P12ihipStream_tbENKUlT_T0_E_clISt17integral_constantIbLb1EEST_IbLb0EEEEDaSP_SQ_EUlSP_E0_NS1_11comp_targetILNS1_3genE3ELNS1_11target_archE908ELNS1_3gpuE7ELNS1_3repE0EEENS1_30default_config_static_selectorELNS0_4arch9wavefront6targetE1EEEvT1_,comdat
.Lfunc_end62:
	.size	_ZN7rocprim17ROCPRIM_400000_NS6detail17trampoline_kernelINS0_14default_configENS1_20scan_config_selectorIxEEZZNS1_9scan_implILNS1_25lookback_scan_determinismE0ELb0ELb0ES3_N6thrust23THRUST_200600_302600_NS6detail15normal_iteratorINS9_10device_ptrIxEEEESE_xNS9_4plusIvEExEEDaPvRmT3_T4_T5_mT6_P12ihipStream_tbENKUlT_T0_E_clISt17integral_constantIbLb1EEST_IbLb0EEEEDaSP_SQ_EUlSP_E0_NS1_11comp_targetILNS1_3genE3ELNS1_11target_archE908ELNS1_3gpuE7ELNS1_3repE0EEENS1_30default_config_static_selectorELNS0_4arch9wavefront6targetE1EEEvT1_, .Lfunc_end62-_ZN7rocprim17ROCPRIM_400000_NS6detail17trampoline_kernelINS0_14default_configENS1_20scan_config_selectorIxEEZZNS1_9scan_implILNS1_25lookback_scan_determinismE0ELb0ELb0ES3_N6thrust23THRUST_200600_302600_NS6detail15normal_iteratorINS9_10device_ptrIxEEEESE_xNS9_4plusIvEExEEDaPvRmT3_T4_T5_mT6_P12ihipStream_tbENKUlT_T0_E_clISt17integral_constantIbLb1EEST_IbLb0EEEEDaSP_SQ_EUlSP_E0_NS1_11comp_targetILNS1_3genE3ELNS1_11target_archE908ELNS1_3gpuE7ELNS1_3repE0EEENS1_30default_config_static_selectorELNS0_4arch9wavefront6targetE1EEEvT1_
                                        ; -- End function
	.section	.AMDGPU.csdata,"",@progbits
; Kernel info:
; codeLenInByte = 0
; NumSgprs: 4
; NumVgprs: 0
; NumAgprs: 0
; TotalNumVgprs: 0
; ScratchSize: 0
; MemoryBound: 0
; FloatMode: 240
; IeeeMode: 1
; LDSByteSize: 0 bytes/workgroup (compile time only)
; SGPRBlocks: 0
; VGPRBlocks: 0
; NumSGPRsForWavesPerEU: 4
; NumVGPRsForWavesPerEU: 1
; AccumOffset: 4
; Occupancy: 8
; WaveLimiterHint : 0
; COMPUTE_PGM_RSRC2:SCRATCH_EN: 0
; COMPUTE_PGM_RSRC2:USER_SGPR: 6
; COMPUTE_PGM_RSRC2:TRAP_HANDLER: 0
; COMPUTE_PGM_RSRC2:TGID_X_EN: 1
; COMPUTE_PGM_RSRC2:TGID_Y_EN: 0
; COMPUTE_PGM_RSRC2:TGID_Z_EN: 0
; COMPUTE_PGM_RSRC2:TIDIG_COMP_CNT: 0
; COMPUTE_PGM_RSRC3_GFX90A:ACCUM_OFFSET: 0
; COMPUTE_PGM_RSRC3_GFX90A:TG_SPLIT: 0
	.section	.text._ZN7rocprim17ROCPRIM_400000_NS6detail17trampoline_kernelINS0_14default_configENS1_20scan_config_selectorIxEEZZNS1_9scan_implILNS1_25lookback_scan_determinismE0ELb0ELb0ES3_N6thrust23THRUST_200600_302600_NS6detail15normal_iteratorINS9_10device_ptrIxEEEESE_xNS9_4plusIvEExEEDaPvRmT3_T4_T5_mT6_P12ihipStream_tbENKUlT_T0_E_clISt17integral_constantIbLb1EEST_IbLb0EEEEDaSP_SQ_EUlSP_E0_NS1_11comp_targetILNS1_3genE2ELNS1_11target_archE906ELNS1_3gpuE6ELNS1_3repE0EEENS1_30default_config_static_selectorELNS0_4arch9wavefront6targetE1EEEvT1_,"axG",@progbits,_ZN7rocprim17ROCPRIM_400000_NS6detail17trampoline_kernelINS0_14default_configENS1_20scan_config_selectorIxEEZZNS1_9scan_implILNS1_25lookback_scan_determinismE0ELb0ELb0ES3_N6thrust23THRUST_200600_302600_NS6detail15normal_iteratorINS9_10device_ptrIxEEEESE_xNS9_4plusIvEExEEDaPvRmT3_T4_T5_mT6_P12ihipStream_tbENKUlT_T0_E_clISt17integral_constantIbLb1EEST_IbLb0EEEEDaSP_SQ_EUlSP_E0_NS1_11comp_targetILNS1_3genE2ELNS1_11target_archE906ELNS1_3gpuE6ELNS1_3repE0EEENS1_30default_config_static_selectorELNS0_4arch9wavefront6targetE1EEEvT1_,comdat
	.protected	_ZN7rocprim17ROCPRIM_400000_NS6detail17trampoline_kernelINS0_14default_configENS1_20scan_config_selectorIxEEZZNS1_9scan_implILNS1_25lookback_scan_determinismE0ELb0ELb0ES3_N6thrust23THRUST_200600_302600_NS6detail15normal_iteratorINS9_10device_ptrIxEEEESE_xNS9_4plusIvEExEEDaPvRmT3_T4_T5_mT6_P12ihipStream_tbENKUlT_T0_E_clISt17integral_constantIbLb1EEST_IbLb0EEEEDaSP_SQ_EUlSP_E0_NS1_11comp_targetILNS1_3genE2ELNS1_11target_archE906ELNS1_3gpuE6ELNS1_3repE0EEENS1_30default_config_static_selectorELNS0_4arch9wavefront6targetE1EEEvT1_ ; -- Begin function _ZN7rocprim17ROCPRIM_400000_NS6detail17trampoline_kernelINS0_14default_configENS1_20scan_config_selectorIxEEZZNS1_9scan_implILNS1_25lookback_scan_determinismE0ELb0ELb0ES3_N6thrust23THRUST_200600_302600_NS6detail15normal_iteratorINS9_10device_ptrIxEEEESE_xNS9_4plusIvEExEEDaPvRmT3_T4_T5_mT6_P12ihipStream_tbENKUlT_T0_E_clISt17integral_constantIbLb1EEST_IbLb0EEEEDaSP_SQ_EUlSP_E0_NS1_11comp_targetILNS1_3genE2ELNS1_11target_archE906ELNS1_3gpuE6ELNS1_3repE0EEENS1_30default_config_static_selectorELNS0_4arch9wavefront6targetE1EEEvT1_
	.globl	_ZN7rocprim17ROCPRIM_400000_NS6detail17trampoline_kernelINS0_14default_configENS1_20scan_config_selectorIxEEZZNS1_9scan_implILNS1_25lookback_scan_determinismE0ELb0ELb0ES3_N6thrust23THRUST_200600_302600_NS6detail15normal_iteratorINS9_10device_ptrIxEEEESE_xNS9_4plusIvEExEEDaPvRmT3_T4_T5_mT6_P12ihipStream_tbENKUlT_T0_E_clISt17integral_constantIbLb1EEST_IbLb0EEEEDaSP_SQ_EUlSP_E0_NS1_11comp_targetILNS1_3genE2ELNS1_11target_archE906ELNS1_3gpuE6ELNS1_3repE0EEENS1_30default_config_static_selectorELNS0_4arch9wavefront6targetE1EEEvT1_
	.p2align	8
	.type	_ZN7rocprim17ROCPRIM_400000_NS6detail17trampoline_kernelINS0_14default_configENS1_20scan_config_selectorIxEEZZNS1_9scan_implILNS1_25lookback_scan_determinismE0ELb0ELb0ES3_N6thrust23THRUST_200600_302600_NS6detail15normal_iteratorINS9_10device_ptrIxEEEESE_xNS9_4plusIvEExEEDaPvRmT3_T4_T5_mT6_P12ihipStream_tbENKUlT_T0_E_clISt17integral_constantIbLb1EEST_IbLb0EEEEDaSP_SQ_EUlSP_E0_NS1_11comp_targetILNS1_3genE2ELNS1_11target_archE906ELNS1_3gpuE6ELNS1_3repE0EEENS1_30default_config_static_selectorELNS0_4arch9wavefront6targetE1EEEvT1_,@function
_ZN7rocprim17ROCPRIM_400000_NS6detail17trampoline_kernelINS0_14default_configENS1_20scan_config_selectorIxEEZZNS1_9scan_implILNS1_25lookback_scan_determinismE0ELb0ELb0ES3_N6thrust23THRUST_200600_302600_NS6detail15normal_iteratorINS9_10device_ptrIxEEEESE_xNS9_4plusIvEExEEDaPvRmT3_T4_T5_mT6_P12ihipStream_tbENKUlT_T0_E_clISt17integral_constantIbLb1EEST_IbLb0EEEEDaSP_SQ_EUlSP_E0_NS1_11comp_targetILNS1_3genE2ELNS1_11target_archE906ELNS1_3gpuE6ELNS1_3repE0EEENS1_30default_config_static_selectorELNS0_4arch9wavefront6targetE1EEEvT1_: ; @_ZN7rocprim17ROCPRIM_400000_NS6detail17trampoline_kernelINS0_14default_configENS1_20scan_config_selectorIxEEZZNS1_9scan_implILNS1_25lookback_scan_determinismE0ELb0ELb0ES3_N6thrust23THRUST_200600_302600_NS6detail15normal_iteratorINS9_10device_ptrIxEEEESE_xNS9_4plusIvEExEEDaPvRmT3_T4_T5_mT6_P12ihipStream_tbENKUlT_T0_E_clISt17integral_constantIbLb1EEST_IbLb0EEEEDaSP_SQ_EUlSP_E0_NS1_11comp_targetILNS1_3genE2ELNS1_11target_archE906ELNS1_3gpuE6ELNS1_3repE0EEENS1_30default_config_static_selectorELNS0_4arch9wavefront6targetE1EEEvT1_
; %bb.0:
	.section	.rodata,"a",@progbits
	.p2align	6, 0x0
	.amdhsa_kernel _ZN7rocprim17ROCPRIM_400000_NS6detail17trampoline_kernelINS0_14default_configENS1_20scan_config_selectorIxEEZZNS1_9scan_implILNS1_25lookback_scan_determinismE0ELb0ELb0ES3_N6thrust23THRUST_200600_302600_NS6detail15normal_iteratorINS9_10device_ptrIxEEEESE_xNS9_4plusIvEExEEDaPvRmT3_T4_T5_mT6_P12ihipStream_tbENKUlT_T0_E_clISt17integral_constantIbLb1EEST_IbLb0EEEEDaSP_SQ_EUlSP_E0_NS1_11comp_targetILNS1_3genE2ELNS1_11target_archE906ELNS1_3gpuE6ELNS1_3repE0EEENS1_30default_config_static_selectorELNS0_4arch9wavefront6targetE1EEEvT1_
		.amdhsa_group_segment_fixed_size 0
		.amdhsa_private_segment_fixed_size 0
		.amdhsa_kernarg_size 40
		.amdhsa_user_sgpr_count 6
		.amdhsa_user_sgpr_private_segment_buffer 1
		.amdhsa_user_sgpr_dispatch_ptr 0
		.amdhsa_user_sgpr_queue_ptr 0
		.amdhsa_user_sgpr_kernarg_segment_ptr 1
		.amdhsa_user_sgpr_dispatch_id 0
		.amdhsa_user_sgpr_flat_scratch_init 0
		.amdhsa_user_sgpr_kernarg_preload_length 0
		.amdhsa_user_sgpr_kernarg_preload_offset 0
		.amdhsa_user_sgpr_private_segment_size 0
		.amdhsa_uses_dynamic_stack 0
		.amdhsa_system_sgpr_private_segment_wavefront_offset 0
		.amdhsa_system_sgpr_workgroup_id_x 1
		.amdhsa_system_sgpr_workgroup_id_y 0
		.amdhsa_system_sgpr_workgroup_id_z 0
		.amdhsa_system_sgpr_workgroup_info 0
		.amdhsa_system_vgpr_workitem_id 0
		.amdhsa_next_free_vgpr 1
		.amdhsa_next_free_sgpr 0
		.amdhsa_accum_offset 4
		.amdhsa_reserve_vcc 0
		.amdhsa_reserve_flat_scratch 0
		.amdhsa_float_round_mode_32 0
		.amdhsa_float_round_mode_16_64 0
		.amdhsa_float_denorm_mode_32 3
		.amdhsa_float_denorm_mode_16_64 3
		.amdhsa_dx10_clamp 1
		.amdhsa_ieee_mode 1
		.amdhsa_fp16_overflow 0
		.amdhsa_tg_split 0
		.amdhsa_exception_fp_ieee_invalid_op 0
		.amdhsa_exception_fp_denorm_src 0
		.amdhsa_exception_fp_ieee_div_zero 0
		.amdhsa_exception_fp_ieee_overflow 0
		.amdhsa_exception_fp_ieee_underflow 0
		.amdhsa_exception_fp_ieee_inexact 0
		.amdhsa_exception_int_div_zero 0
	.end_amdhsa_kernel
	.section	.text._ZN7rocprim17ROCPRIM_400000_NS6detail17trampoline_kernelINS0_14default_configENS1_20scan_config_selectorIxEEZZNS1_9scan_implILNS1_25lookback_scan_determinismE0ELb0ELb0ES3_N6thrust23THRUST_200600_302600_NS6detail15normal_iteratorINS9_10device_ptrIxEEEESE_xNS9_4plusIvEExEEDaPvRmT3_T4_T5_mT6_P12ihipStream_tbENKUlT_T0_E_clISt17integral_constantIbLb1EEST_IbLb0EEEEDaSP_SQ_EUlSP_E0_NS1_11comp_targetILNS1_3genE2ELNS1_11target_archE906ELNS1_3gpuE6ELNS1_3repE0EEENS1_30default_config_static_selectorELNS0_4arch9wavefront6targetE1EEEvT1_,"axG",@progbits,_ZN7rocprim17ROCPRIM_400000_NS6detail17trampoline_kernelINS0_14default_configENS1_20scan_config_selectorIxEEZZNS1_9scan_implILNS1_25lookback_scan_determinismE0ELb0ELb0ES3_N6thrust23THRUST_200600_302600_NS6detail15normal_iteratorINS9_10device_ptrIxEEEESE_xNS9_4plusIvEExEEDaPvRmT3_T4_T5_mT6_P12ihipStream_tbENKUlT_T0_E_clISt17integral_constantIbLb1EEST_IbLb0EEEEDaSP_SQ_EUlSP_E0_NS1_11comp_targetILNS1_3genE2ELNS1_11target_archE906ELNS1_3gpuE6ELNS1_3repE0EEENS1_30default_config_static_selectorELNS0_4arch9wavefront6targetE1EEEvT1_,comdat
.Lfunc_end63:
	.size	_ZN7rocprim17ROCPRIM_400000_NS6detail17trampoline_kernelINS0_14default_configENS1_20scan_config_selectorIxEEZZNS1_9scan_implILNS1_25lookback_scan_determinismE0ELb0ELb0ES3_N6thrust23THRUST_200600_302600_NS6detail15normal_iteratorINS9_10device_ptrIxEEEESE_xNS9_4plusIvEExEEDaPvRmT3_T4_T5_mT6_P12ihipStream_tbENKUlT_T0_E_clISt17integral_constantIbLb1EEST_IbLb0EEEEDaSP_SQ_EUlSP_E0_NS1_11comp_targetILNS1_3genE2ELNS1_11target_archE906ELNS1_3gpuE6ELNS1_3repE0EEENS1_30default_config_static_selectorELNS0_4arch9wavefront6targetE1EEEvT1_, .Lfunc_end63-_ZN7rocprim17ROCPRIM_400000_NS6detail17trampoline_kernelINS0_14default_configENS1_20scan_config_selectorIxEEZZNS1_9scan_implILNS1_25lookback_scan_determinismE0ELb0ELb0ES3_N6thrust23THRUST_200600_302600_NS6detail15normal_iteratorINS9_10device_ptrIxEEEESE_xNS9_4plusIvEExEEDaPvRmT3_T4_T5_mT6_P12ihipStream_tbENKUlT_T0_E_clISt17integral_constantIbLb1EEST_IbLb0EEEEDaSP_SQ_EUlSP_E0_NS1_11comp_targetILNS1_3genE2ELNS1_11target_archE906ELNS1_3gpuE6ELNS1_3repE0EEENS1_30default_config_static_selectorELNS0_4arch9wavefront6targetE1EEEvT1_
                                        ; -- End function
	.section	.AMDGPU.csdata,"",@progbits
; Kernel info:
; codeLenInByte = 0
; NumSgprs: 4
; NumVgprs: 0
; NumAgprs: 0
; TotalNumVgprs: 0
; ScratchSize: 0
; MemoryBound: 0
; FloatMode: 240
; IeeeMode: 1
; LDSByteSize: 0 bytes/workgroup (compile time only)
; SGPRBlocks: 0
; VGPRBlocks: 0
; NumSGPRsForWavesPerEU: 4
; NumVGPRsForWavesPerEU: 1
; AccumOffset: 4
; Occupancy: 8
; WaveLimiterHint : 0
; COMPUTE_PGM_RSRC2:SCRATCH_EN: 0
; COMPUTE_PGM_RSRC2:USER_SGPR: 6
; COMPUTE_PGM_RSRC2:TRAP_HANDLER: 0
; COMPUTE_PGM_RSRC2:TGID_X_EN: 1
; COMPUTE_PGM_RSRC2:TGID_Y_EN: 0
; COMPUTE_PGM_RSRC2:TGID_Z_EN: 0
; COMPUTE_PGM_RSRC2:TIDIG_COMP_CNT: 0
; COMPUTE_PGM_RSRC3_GFX90A:ACCUM_OFFSET: 0
; COMPUTE_PGM_RSRC3_GFX90A:TG_SPLIT: 0
	.section	.text._ZN7rocprim17ROCPRIM_400000_NS6detail17trampoline_kernelINS0_14default_configENS1_20scan_config_selectorIxEEZZNS1_9scan_implILNS1_25lookback_scan_determinismE0ELb0ELb0ES3_N6thrust23THRUST_200600_302600_NS6detail15normal_iteratorINS9_10device_ptrIxEEEESE_xNS9_4plusIvEExEEDaPvRmT3_T4_T5_mT6_P12ihipStream_tbENKUlT_T0_E_clISt17integral_constantIbLb1EEST_IbLb0EEEEDaSP_SQ_EUlSP_E0_NS1_11comp_targetILNS1_3genE10ELNS1_11target_archE1201ELNS1_3gpuE5ELNS1_3repE0EEENS1_30default_config_static_selectorELNS0_4arch9wavefront6targetE1EEEvT1_,"axG",@progbits,_ZN7rocprim17ROCPRIM_400000_NS6detail17trampoline_kernelINS0_14default_configENS1_20scan_config_selectorIxEEZZNS1_9scan_implILNS1_25lookback_scan_determinismE0ELb0ELb0ES3_N6thrust23THRUST_200600_302600_NS6detail15normal_iteratorINS9_10device_ptrIxEEEESE_xNS9_4plusIvEExEEDaPvRmT3_T4_T5_mT6_P12ihipStream_tbENKUlT_T0_E_clISt17integral_constantIbLb1EEST_IbLb0EEEEDaSP_SQ_EUlSP_E0_NS1_11comp_targetILNS1_3genE10ELNS1_11target_archE1201ELNS1_3gpuE5ELNS1_3repE0EEENS1_30default_config_static_selectorELNS0_4arch9wavefront6targetE1EEEvT1_,comdat
	.protected	_ZN7rocprim17ROCPRIM_400000_NS6detail17trampoline_kernelINS0_14default_configENS1_20scan_config_selectorIxEEZZNS1_9scan_implILNS1_25lookback_scan_determinismE0ELb0ELb0ES3_N6thrust23THRUST_200600_302600_NS6detail15normal_iteratorINS9_10device_ptrIxEEEESE_xNS9_4plusIvEExEEDaPvRmT3_T4_T5_mT6_P12ihipStream_tbENKUlT_T0_E_clISt17integral_constantIbLb1EEST_IbLb0EEEEDaSP_SQ_EUlSP_E0_NS1_11comp_targetILNS1_3genE10ELNS1_11target_archE1201ELNS1_3gpuE5ELNS1_3repE0EEENS1_30default_config_static_selectorELNS0_4arch9wavefront6targetE1EEEvT1_ ; -- Begin function _ZN7rocprim17ROCPRIM_400000_NS6detail17trampoline_kernelINS0_14default_configENS1_20scan_config_selectorIxEEZZNS1_9scan_implILNS1_25lookback_scan_determinismE0ELb0ELb0ES3_N6thrust23THRUST_200600_302600_NS6detail15normal_iteratorINS9_10device_ptrIxEEEESE_xNS9_4plusIvEExEEDaPvRmT3_T4_T5_mT6_P12ihipStream_tbENKUlT_T0_E_clISt17integral_constantIbLb1EEST_IbLb0EEEEDaSP_SQ_EUlSP_E0_NS1_11comp_targetILNS1_3genE10ELNS1_11target_archE1201ELNS1_3gpuE5ELNS1_3repE0EEENS1_30default_config_static_selectorELNS0_4arch9wavefront6targetE1EEEvT1_
	.globl	_ZN7rocprim17ROCPRIM_400000_NS6detail17trampoline_kernelINS0_14default_configENS1_20scan_config_selectorIxEEZZNS1_9scan_implILNS1_25lookback_scan_determinismE0ELb0ELb0ES3_N6thrust23THRUST_200600_302600_NS6detail15normal_iteratorINS9_10device_ptrIxEEEESE_xNS9_4plusIvEExEEDaPvRmT3_T4_T5_mT6_P12ihipStream_tbENKUlT_T0_E_clISt17integral_constantIbLb1EEST_IbLb0EEEEDaSP_SQ_EUlSP_E0_NS1_11comp_targetILNS1_3genE10ELNS1_11target_archE1201ELNS1_3gpuE5ELNS1_3repE0EEENS1_30default_config_static_selectorELNS0_4arch9wavefront6targetE1EEEvT1_
	.p2align	8
	.type	_ZN7rocprim17ROCPRIM_400000_NS6detail17trampoline_kernelINS0_14default_configENS1_20scan_config_selectorIxEEZZNS1_9scan_implILNS1_25lookback_scan_determinismE0ELb0ELb0ES3_N6thrust23THRUST_200600_302600_NS6detail15normal_iteratorINS9_10device_ptrIxEEEESE_xNS9_4plusIvEExEEDaPvRmT3_T4_T5_mT6_P12ihipStream_tbENKUlT_T0_E_clISt17integral_constantIbLb1EEST_IbLb0EEEEDaSP_SQ_EUlSP_E0_NS1_11comp_targetILNS1_3genE10ELNS1_11target_archE1201ELNS1_3gpuE5ELNS1_3repE0EEENS1_30default_config_static_selectorELNS0_4arch9wavefront6targetE1EEEvT1_,@function
_ZN7rocprim17ROCPRIM_400000_NS6detail17trampoline_kernelINS0_14default_configENS1_20scan_config_selectorIxEEZZNS1_9scan_implILNS1_25lookback_scan_determinismE0ELb0ELb0ES3_N6thrust23THRUST_200600_302600_NS6detail15normal_iteratorINS9_10device_ptrIxEEEESE_xNS9_4plusIvEExEEDaPvRmT3_T4_T5_mT6_P12ihipStream_tbENKUlT_T0_E_clISt17integral_constantIbLb1EEST_IbLb0EEEEDaSP_SQ_EUlSP_E0_NS1_11comp_targetILNS1_3genE10ELNS1_11target_archE1201ELNS1_3gpuE5ELNS1_3repE0EEENS1_30default_config_static_selectorELNS0_4arch9wavefront6targetE1EEEvT1_: ; @_ZN7rocprim17ROCPRIM_400000_NS6detail17trampoline_kernelINS0_14default_configENS1_20scan_config_selectorIxEEZZNS1_9scan_implILNS1_25lookback_scan_determinismE0ELb0ELb0ES3_N6thrust23THRUST_200600_302600_NS6detail15normal_iteratorINS9_10device_ptrIxEEEESE_xNS9_4plusIvEExEEDaPvRmT3_T4_T5_mT6_P12ihipStream_tbENKUlT_T0_E_clISt17integral_constantIbLb1EEST_IbLb0EEEEDaSP_SQ_EUlSP_E0_NS1_11comp_targetILNS1_3genE10ELNS1_11target_archE1201ELNS1_3gpuE5ELNS1_3repE0EEENS1_30default_config_static_selectorELNS0_4arch9wavefront6targetE1EEEvT1_
; %bb.0:
	.section	.rodata,"a",@progbits
	.p2align	6, 0x0
	.amdhsa_kernel _ZN7rocprim17ROCPRIM_400000_NS6detail17trampoline_kernelINS0_14default_configENS1_20scan_config_selectorIxEEZZNS1_9scan_implILNS1_25lookback_scan_determinismE0ELb0ELb0ES3_N6thrust23THRUST_200600_302600_NS6detail15normal_iteratorINS9_10device_ptrIxEEEESE_xNS9_4plusIvEExEEDaPvRmT3_T4_T5_mT6_P12ihipStream_tbENKUlT_T0_E_clISt17integral_constantIbLb1EEST_IbLb0EEEEDaSP_SQ_EUlSP_E0_NS1_11comp_targetILNS1_3genE10ELNS1_11target_archE1201ELNS1_3gpuE5ELNS1_3repE0EEENS1_30default_config_static_selectorELNS0_4arch9wavefront6targetE1EEEvT1_
		.amdhsa_group_segment_fixed_size 0
		.amdhsa_private_segment_fixed_size 0
		.amdhsa_kernarg_size 40
		.amdhsa_user_sgpr_count 6
		.amdhsa_user_sgpr_private_segment_buffer 1
		.amdhsa_user_sgpr_dispatch_ptr 0
		.amdhsa_user_sgpr_queue_ptr 0
		.amdhsa_user_sgpr_kernarg_segment_ptr 1
		.amdhsa_user_sgpr_dispatch_id 0
		.amdhsa_user_sgpr_flat_scratch_init 0
		.amdhsa_user_sgpr_kernarg_preload_length 0
		.amdhsa_user_sgpr_kernarg_preload_offset 0
		.amdhsa_user_sgpr_private_segment_size 0
		.amdhsa_uses_dynamic_stack 0
		.amdhsa_system_sgpr_private_segment_wavefront_offset 0
		.amdhsa_system_sgpr_workgroup_id_x 1
		.amdhsa_system_sgpr_workgroup_id_y 0
		.amdhsa_system_sgpr_workgroup_id_z 0
		.amdhsa_system_sgpr_workgroup_info 0
		.amdhsa_system_vgpr_workitem_id 0
		.amdhsa_next_free_vgpr 1
		.amdhsa_next_free_sgpr 0
		.amdhsa_accum_offset 4
		.amdhsa_reserve_vcc 0
		.amdhsa_reserve_flat_scratch 0
		.amdhsa_float_round_mode_32 0
		.amdhsa_float_round_mode_16_64 0
		.amdhsa_float_denorm_mode_32 3
		.amdhsa_float_denorm_mode_16_64 3
		.amdhsa_dx10_clamp 1
		.amdhsa_ieee_mode 1
		.amdhsa_fp16_overflow 0
		.amdhsa_tg_split 0
		.amdhsa_exception_fp_ieee_invalid_op 0
		.amdhsa_exception_fp_denorm_src 0
		.amdhsa_exception_fp_ieee_div_zero 0
		.amdhsa_exception_fp_ieee_overflow 0
		.amdhsa_exception_fp_ieee_underflow 0
		.amdhsa_exception_fp_ieee_inexact 0
		.amdhsa_exception_int_div_zero 0
	.end_amdhsa_kernel
	.section	.text._ZN7rocprim17ROCPRIM_400000_NS6detail17trampoline_kernelINS0_14default_configENS1_20scan_config_selectorIxEEZZNS1_9scan_implILNS1_25lookback_scan_determinismE0ELb0ELb0ES3_N6thrust23THRUST_200600_302600_NS6detail15normal_iteratorINS9_10device_ptrIxEEEESE_xNS9_4plusIvEExEEDaPvRmT3_T4_T5_mT6_P12ihipStream_tbENKUlT_T0_E_clISt17integral_constantIbLb1EEST_IbLb0EEEEDaSP_SQ_EUlSP_E0_NS1_11comp_targetILNS1_3genE10ELNS1_11target_archE1201ELNS1_3gpuE5ELNS1_3repE0EEENS1_30default_config_static_selectorELNS0_4arch9wavefront6targetE1EEEvT1_,"axG",@progbits,_ZN7rocprim17ROCPRIM_400000_NS6detail17trampoline_kernelINS0_14default_configENS1_20scan_config_selectorIxEEZZNS1_9scan_implILNS1_25lookback_scan_determinismE0ELb0ELb0ES3_N6thrust23THRUST_200600_302600_NS6detail15normal_iteratorINS9_10device_ptrIxEEEESE_xNS9_4plusIvEExEEDaPvRmT3_T4_T5_mT6_P12ihipStream_tbENKUlT_T0_E_clISt17integral_constantIbLb1EEST_IbLb0EEEEDaSP_SQ_EUlSP_E0_NS1_11comp_targetILNS1_3genE10ELNS1_11target_archE1201ELNS1_3gpuE5ELNS1_3repE0EEENS1_30default_config_static_selectorELNS0_4arch9wavefront6targetE1EEEvT1_,comdat
.Lfunc_end64:
	.size	_ZN7rocprim17ROCPRIM_400000_NS6detail17trampoline_kernelINS0_14default_configENS1_20scan_config_selectorIxEEZZNS1_9scan_implILNS1_25lookback_scan_determinismE0ELb0ELb0ES3_N6thrust23THRUST_200600_302600_NS6detail15normal_iteratorINS9_10device_ptrIxEEEESE_xNS9_4plusIvEExEEDaPvRmT3_T4_T5_mT6_P12ihipStream_tbENKUlT_T0_E_clISt17integral_constantIbLb1EEST_IbLb0EEEEDaSP_SQ_EUlSP_E0_NS1_11comp_targetILNS1_3genE10ELNS1_11target_archE1201ELNS1_3gpuE5ELNS1_3repE0EEENS1_30default_config_static_selectorELNS0_4arch9wavefront6targetE1EEEvT1_, .Lfunc_end64-_ZN7rocprim17ROCPRIM_400000_NS6detail17trampoline_kernelINS0_14default_configENS1_20scan_config_selectorIxEEZZNS1_9scan_implILNS1_25lookback_scan_determinismE0ELb0ELb0ES3_N6thrust23THRUST_200600_302600_NS6detail15normal_iteratorINS9_10device_ptrIxEEEESE_xNS9_4plusIvEExEEDaPvRmT3_T4_T5_mT6_P12ihipStream_tbENKUlT_T0_E_clISt17integral_constantIbLb1EEST_IbLb0EEEEDaSP_SQ_EUlSP_E0_NS1_11comp_targetILNS1_3genE10ELNS1_11target_archE1201ELNS1_3gpuE5ELNS1_3repE0EEENS1_30default_config_static_selectorELNS0_4arch9wavefront6targetE1EEEvT1_
                                        ; -- End function
	.section	.AMDGPU.csdata,"",@progbits
; Kernel info:
; codeLenInByte = 0
; NumSgprs: 4
; NumVgprs: 0
; NumAgprs: 0
; TotalNumVgprs: 0
; ScratchSize: 0
; MemoryBound: 0
; FloatMode: 240
; IeeeMode: 1
; LDSByteSize: 0 bytes/workgroup (compile time only)
; SGPRBlocks: 0
; VGPRBlocks: 0
; NumSGPRsForWavesPerEU: 4
; NumVGPRsForWavesPerEU: 1
; AccumOffset: 4
; Occupancy: 8
; WaveLimiterHint : 0
; COMPUTE_PGM_RSRC2:SCRATCH_EN: 0
; COMPUTE_PGM_RSRC2:USER_SGPR: 6
; COMPUTE_PGM_RSRC2:TRAP_HANDLER: 0
; COMPUTE_PGM_RSRC2:TGID_X_EN: 1
; COMPUTE_PGM_RSRC2:TGID_Y_EN: 0
; COMPUTE_PGM_RSRC2:TGID_Z_EN: 0
; COMPUTE_PGM_RSRC2:TIDIG_COMP_CNT: 0
; COMPUTE_PGM_RSRC3_GFX90A:ACCUM_OFFSET: 0
; COMPUTE_PGM_RSRC3_GFX90A:TG_SPLIT: 0
	.section	.text._ZN7rocprim17ROCPRIM_400000_NS6detail17trampoline_kernelINS0_14default_configENS1_20scan_config_selectorIxEEZZNS1_9scan_implILNS1_25lookback_scan_determinismE0ELb0ELb0ES3_N6thrust23THRUST_200600_302600_NS6detail15normal_iteratorINS9_10device_ptrIxEEEESE_xNS9_4plusIvEExEEDaPvRmT3_T4_T5_mT6_P12ihipStream_tbENKUlT_T0_E_clISt17integral_constantIbLb1EEST_IbLb0EEEEDaSP_SQ_EUlSP_E0_NS1_11comp_targetILNS1_3genE10ELNS1_11target_archE1200ELNS1_3gpuE4ELNS1_3repE0EEENS1_30default_config_static_selectorELNS0_4arch9wavefront6targetE1EEEvT1_,"axG",@progbits,_ZN7rocprim17ROCPRIM_400000_NS6detail17trampoline_kernelINS0_14default_configENS1_20scan_config_selectorIxEEZZNS1_9scan_implILNS1_25lookback_scan_determinismE0ELb0ELb0ES3_N6thrust23THRUST_200600_302600_NS6detail15normal_iteratorINS9_10device_ptrIxEEEESE_xNS9_4plusIvEExEEDaPvRmT3_T4_T5_mT6_P12ihipStream_tbENKUlT_T0_E_clISt17integral_constantIbLb1EEST_IbLb0EEEEDaSP_SQ_EUlSP_E0_NS1_11comp_targetILNS1_3genE10ELNS1_11target_archE1200ELNS1_3gpuE4ELNS1_3repE0EEENS1_30default_config_static_selectorELNS0_4arch9wavefront6targetE1EEEvT1_,comdat
	.protected	_ZN7rocprim17ROCPRIM_400000_NS6detail17trampoline_kernelINS0_14default_configENS1_20scan_config_selectorIxEEZZNS1_9scan_implILNS1_25lookback_scan_determinismE0ELb0ELb0ES3_N6thrust23THRUST_200600_302600_NS6detail15normal_iteratorINS9_10device_ptrIxEEEESE_xNS9_4plusIvEExEEDaPvRmT3_T4_T5_mT6_P12ihipStream_tbENKUlT_T0_E_clISt17integral_constantIbLb1EEST_IbLb0EEEEDaSP_SQ_EUlSP_E0_NS1_11comp_targetILNS1_3genE10ELNS1_11target_archE1200ELNS1_3gpuE4ELNS1_3repE0EEENS1_30default_config_static_selectorELNS0_4arch9wavefront6targetE1EEEvT1_ ; -- Begin function _ZN7rocprim17ROCPRIM_400000_NS6detail17trampoline_kernelINS0_14default_configENS1_20scan_config_selectorIxEEZZNS1_9scan_implILNS1_25lookback_scan_determinismE0ELb0ELb0ES3_N6thrust23THRUST_200600_302600_NS6detail15normal_iteratorINS9_10device_ptrIxEEEESE_xNS9_4plusIvEExEEDaPvRmT3_T4_T5_mT6_P12ihipStream_tbENKUlT_T0_E_clISt17integral_constantIbLb1EEST_IbLb0EEEEDaSP_SQ_EUlSP_E0_NS1_11comp_targetILNS1_3genE10ELNS1_11target_archE1200ELNS1_3gpuE4ELNS1_3repE0EEENS1_30default_config_static_selectorELNS0_4arch9wavefront6targetE1EEEvT1_
	.globl	_ZN7rocprim17ROCPRIM_400000_NS6detail17trampoline_kernelINS0_14default_configENS1_20scan_config_selectorIxEEZZNS1_9scan_implILNS1_25lookback_scan_determinismE0ELb0ELb0ES3_N6thrust23THRUST_200600_302600_NS6detail15normal_iteratorINS9_10device_ptrIxEEEESE_xNS9_4plusIvEExEEDaPvRmT3_T4_T5_mT6_P12ihipStream_tbENKUlT_T0_E_clISt17integral_constantIbLb1EEST_IbLb0EEEEDaSP_SQ_EUlSP_E0_NS1_11comp_targetILNS1_3genE10ELNS1_11target_archE1200ELNS1_3gpuE4ELNS1_3repE0EEENS1_30default_config_static_selectorELNS0_4arch9wavefront6targetE1EEEvT1_
	.p2align	8
	.type	_ZN7rocprim17ROCPRIM_400000_NS6detail17trampoline_kernelINS0_14default_configENS1_20scan_config_selectorIxEEZZNS1_9scan_implILNS1_25lookback_scan_determinismE0ELb0ELb0ES3_N6thrust23THRUST_200600_302600_NS6detail15normal_iteratorINS9_10device_ptrIxEEEESE_xNS9_4plusIvEExEEDaPvRmT3_T4_T5_mT6_P12ihipStream_tbENKUlT_T0_E_clISt17integral_constantIbLb1EEST_IbLb0EEEEDaSP_SQ_EUlSP_E0_NS1_11comp_targetILNS1_3genE10ELNS1_11target_archE1200ELNS1_3gpuE4ELNS1_3repE0EEENS1_30default_config_static_selectorELNS0_4arch9wavefront6targetE1EEEvT1_,@function
_ZN7rocprim17ROCPRIM_400000_NS6detail17trampoline_kernelINS0_14default_configENS1_20scan_config_selectorIxEEZZNS1_9scan_implILNS1_25lookback_scan_determinismE0ELb0ELb0ES3_N6thrust23THRUST_200600_302600_NS6detail15normal_iteratorINS9_10device_ptrIxEEEESE_xNS9_4plusIvEExEEDaPvRmT3_T4_T5_mT6_P12ihipStream_tbENKUlT_T0_E_clISt17integral_constantIbLb1EEST_IbLb0EEEEDaSP_SQ_EUlSP_E0_NS1_11comp_targetILNS1_3genE10ELNS1_11target_archE1200ELNS1_3gpuE4ELNS1_3repE0EEENS1_30default_config_static_selectorELNS0_4arch9wavefront6targetE1EEEvT1_: ; @_ZN7rocprim17ROCPRIM_400000_NS6detail17trampoline_kernelINS0_14default_configENS1_20scan_config_selectorIxEEZZNS1_9scan_implILNS1_25lookback_scan_determinismE0ELb0ELb0ES3_N6thrust23THRUST_200600_302600_NS6detail15normal_iteratorINS9_10device_ptrIxEEEESE_xNS9_4plusIvEExEEDaPvRmT3_T4_T5_mT6_P12ihipStream_tbENKUlT_T0_E_clISt17integral_constantIbLb1EEST_IbLb0EEEEDaSP_SQ_EUlSP_E0_NS1_11comp_targetILNS1_3genE10ELNS1_11target_archE1200ELNS1_3gpuE4ELNS1_3repE0EEENS1_30default_config_static_selectorELNS0_4arch9wavefront6targetE1EEEvT1_
; %bb.0:
	.section	.rodata,"a",@progbits
	.p2align	6, 0x0
	.amdhsa_kernel _ZN7rocprim17ROCPRIM_400000_NS6detail17trampoline_kernelINS0_14default_configENS1_20scan_config_selectorIxEEZZNS1_9scan_implILNS1_25lookback_scan_determinismE0ELb0ELb0ES3_N6thrust23THRUST_200600_302600_NS6detail15normal_iteratorINS9_10device_ptrIxEEEESE_xNS9_4plusIvEExEEDaPvRmT3_T4_T5_mT6_P12ihipStream_tbENKUlT_T0_E_clISt17integral_constantIbLb1EEST_IbLb0EEEEDaSP_SQ_EUlSP_E0_NS1_11comp_targetILNS1_3genE10ELNS1_11target_archE1200ELNS1_3gpuE4ELNS1_3repE0EEENS1_30default_config_static_selectorELNS0_4arch9wavefront6targetE1EEEvT1_
		.amdhsa_group_segment_fixed_size 0
		.amdhsa_private_segment_fixed_size 0
		.amdhsa_kernarg_size 40
		.amdhsa_user_sgpr_count 6
		.amdhsa_user_sgpr_private_segment_buffer 1
		.amdhsa_user_sgpr_dispatch_ptr 0
		.amdhsa_user_sgpr_queue_ptr 0
		.amdhsa_user_sgpr_kernarg_segment_ptr 1
		.amdhsa_user_sgpr_dispatch_id 0
		.amdhsa_user_sgpr_flat_scratch_init 0
		.amdhsa_user_sgpr_kernarg_preload_length 0
		.amdhsa_user_sgpr_kernarg_preload_offset 0
		.amdhsa_user_sgpr_private_segment_size 0
		.amdhsa_uses_dynamic_stack 0
		.amdhsa_system_sgpr_private_segment_wavefront_offset 0
		.amdhsa_system_sgpr_workgroup_id_x 1
		.amdhsa_system_sgpr_workgroup_id_y 0
		.amdhsa_system_sgpr_workgroup_id_z 0
		.amdhsa_system_sgpr_workgroup_info 0
		.amdhsa_system_vgpr_workitem_id 0
		.amdhsa_next_free_vgpr 1
		.amdhsa_next_free_sgpr 0
		.amdhsa_accum_offset 4
		.amdhsa_reserve_vcc 0
		.amdhsa_reserve_flat_scratch 0
		.amdhsa_float_round_mode_32 0
		.amdhsa_float_round_mode_16_64 0
		.amdhsa_float_denorm_mode_32 3
		.amdhsa_float_denorm_mode_16_64 3
		.amdhsa_dx10_clamp 1
		.amdhsa_ieee_mode 1
		.amdhsa_fp16_overflow 0
		.amdhsa_tg_split 0
		.amdhsa_exception_fp_ieee_invalid_op 0
		.amdhsa_exception_fp_denorm_src 0
		.amdhsa_exception_fp_ieee_div_zero 0
		.amdhsa_exception_fp_ieee_overflow 0
		.amdhsa_exception_fp_ieee_underflow 0
		.amdhsa_exception_fp_ieee_inexact 0
		.amdhsa_exception_int_div_zero 0
	.end_amdhsa_kernel
	.section	.text._ZN7rocprim17ROCPRIM_400000_NS6detail17trampoline_kernelINS0_14default_configENS1_20scan_config_selectorIxEEZZNS1_9scan_implILNS1_25lookback_scan_determinismE0ELb0ELb0ES3_N6thrust23THRUST_200600_302600_NS6detail15normal_iteratorINS9_10device_ptrIxEEEESE_xNS9_4plusIvEExEEDaPvRmT3_T4_T5_mT6_P12ihipStream_tbENKUlT_T0_E_clISt17integral_constantIbLb1EEST_IbLb0EEEEDaSP_SQ_EUlSP_E0_NS1_11comp_targetILNS1_3genE10ELNS1_11target_archE1200ELNS1_3gpuE4ELNS1_3repE0EEENS1_30default_config_static_selectorELNS0_4arch9wavefront6targetE1EEEvT1_,"axG",@progbits,_ZN7rocprim17ROCPRIM_400000_NS6detail17trampoline_kernelINS0_14default_configENS1_20scan_config_selectorIxEEZZNS1_9scan_implILNS1_25lookback_scan_determinismE0ELb0ELb0ES3_N6thrust23THRUST_200600_302600_NS6detail15normal_iteratorINS9_10device_ptrIxEEEESE_xNS9_4plusIvEExEEDaPvRmT3_T4_T5_mT6_P12ihipStream_tbENKUlT_T0_E_clISt17integral_constantIbLb1EEST_IbLb0EEEEDaSP_SQ_EUlSP_E0_NS1_11comp_targetILNS1_3genE10ELNS1_11target_archE1200ELNS1_3gpuE4ELNS1_3repE0EEENS1_30default_config_static_selectorELNS0_4arch9wavefront6targetE1EEEvT1_,comdat
.Lfunc_end65:
	.size	_ZN7rocprim17ROCPRIM_400000_NS6detail17trampoline_kernelINS0_14default_configENS1_20scan_config_selectorIxEEZZNS1_9scan_implILNS1_25lookback_scan_determinismE0ELb0ELb0ES3_N6thrust23THRUST_200600_302600_NS6detail15normal_iteratorINS9_10device_ptrIxEEEESE_xNS9_4plusIvEExEEDaPvRmT3_T4_T5_mT6_P12ihipStream_tbENKUlT_T0_E_clISt17integral_constantIbLb1EEST_IbLb0EEEEDaSP_SQ_EUlSP_E0_NS1_11comp_targetILNS1_3genE10ELNS1_11target_archE1200ELNS1_3gpuE4ELNS1_3repE0EEENS1_30default_config_static_selectorELNS0_4arch9wavefront6targetE1EEEvT1_, .Lfunc_end65-_ZN7rocprim17ROCPRIM_400000_NS6detail17trampoline_kernelINS0_14default_configENS1_20scan_config_selectorIxEEZZNS1_9scan_implILNS1_25lookback_scan_determinismE0ELb0ELb0ES3_N6thrust23THRUST_200600_302600_NS6detail15normal_iteratorINS9_10device_ptrIxEEEESE_xNS9_4plusIvEExEEDaPvRmT3_T4_T5_mT6_P12ihipStream_tbENKUlT_T0_E_clISt17integral_constantIbLb1EEST_IbLb0EEEEDaSP_SQ_EUlSP_E0_NS1_11comp_targetILNS1_3genE10ELNS1_11target_archE1200ELNS1_3gpuE4ELNS1_3repE0EEENS1_30default_config_static_selectorELNS0_4arch9wavefront6targetE1EEEvT1_
                                        ; -- End function
	.section	.AMDGPU.csdata,"",@progbits
; Kernel info:
; codeLenInByte = 0
; NumSgprs: 4
; NumVgprs: 0
; NumAgprs: 0
; TotalNumVgprs: 0
; ScratchSize: 0
; MemoryBound: 0
; FloatMode: 240
; IeeeMode: 1
; LDSByteSize: 0 bytes/workgroup (compile time only)
; SGPRBlocks: 0
; VGPRBlocks: 0
; NumSGPRsForWavesPerEU: 4
; NumVGPRsForWavesPerEU: 1
; AccumOffset: 4
; Occupancy: 8
; WaveLimiterHint : 0
; COMPUTE_PGM_RSRC2:SCRATCH_EN: 0
; COMPUTE_PGM_RSRC2:USER_SGPR: 6
; COMPUTE_PGM_RSRC2:TRAP_HANDLER: 0
; COMPUTE_PGM_RSRC2:TGID_X_EN: 1
; COMPUTE_PGM_RSRC2:TGID_Y_EN: 0
; COMPUTE_PGM_RSRC2:TGID_Z_EN: 0
; COMPUTE_PGM_RSRC2:TIDIG_COMP_CNT: 0
; COMPUTE_PGM_RSRC3_GFX90A:ACCUM_OFFSET: 0
; COMPUTE_PGM_RSRC3_GFX90A:TG_SPLIT: 0
	.section	.text._ZN7rocprim17ROCPRIM_400000_NS6detail17trampoline_kernelINS0_14default_configENS1_20scan_config_selectorIxEEZZNS1_9scan_implILNS1_25lookback_scan_determinismE0ELb0ELb0ES3_N6thrust23THRUST_200600_302600_NS6detail15normal_iteratorINS9_10device_ptrIxEEEESE_xNS9_4plusIvEExEEDaPvRmT3_T4_T5_mT6_P12ihipStream_tbENKUlT_T0_E_clISt17integral_constantIbLb1EEST_IbLb0EEEEDaSP_SQ_EUlSP_E0_NS1_11comp_targetILNS1_3genE9ELNS1_11target_archE1100ELNS1_3gpuE3ELNS1_3repE0EEENS1_30default_config_static_selectorELNS0_4arch9wavefront6targetE1EEEvT1_,"axG",@progbits,_ZN7rocprim17ROCPRIM_400000_NS6detail17trampoline_kernelINS0_14default_configENS1_20scan_config_selectorIxEEZZNS1_9scan_implILNS1_25lookback_scan_determinismE0ELb0ELb0ES3_N6thrust23THRUST_200600_302600_NS6detail15normal_iteratorINS9_10device_ptrIxEEEESE_xNS9_4plusIvEExEEDaPvRmT3_T4_T5_mT6_P12ihipStream_tbENKUlT_T0_E_clISt17integral_constantIbLb1EEST_IbLb0EEEEDaSP_SQ_EUlSP_E0_NS1_11comp_targetILNS1_3genE9ELNS1_11target_archE1100ELNS1_3gpuE3ELNS1_3repE0EEENS1_30default_config_static_selectorELNS0_4arch9wavefront6targetE1EEEvT1_,comdat
	.protected	_ZN7rocprim17ROCPRIM_400000_NS6detail17trampoline_kernelINS0_14default_configENS1_20scan_config_selectorIxEEZZNS1_9scan_implILNS1_25lookback_scan_determinismE0ELb0ELb0ES3_N6thrust23THRUST_200600_302600_NS6detail15normal_iteratorINS9_10device_ptrIxEEEESE_xNS9_4plusIvEExEEDaPvRmT3_T4_T5_mT6_P12ihipStream_tbENKUlT_T0_E_clISt17integral_constantIbLb1EEST_IbLb0EEEEDaSP_SQ_EUlSP_E0_NS1_11comp_targetILNS1_3genE9ELNS1_11target_archE1100ELNS1_3gpuE3ELNS1_3repE0EEENS1_30default_config_static_selectorELNS0_4arch9wavefront6targetE1EEEvT1_ ; -- Begin function _ZN7rocprim17ROCPRIM_400000_NS6detail17trampoline_kernelINS0_14default_configENS1_20scan_config_selectorIxEEZZNS1_9scan_implILNS1_25lookback_scan_determinismE0ELb0ELb0ES3_N6thrust23THRUST_200600_302600_NS6detail15normal_iteratorINS9_10device_ptrIxEEEESE_xNS9_4plusIvEExEEDaPvRmT3_T4_T5_mT6_P12ihipStream_tbENKUlT_T0_E_clISt17integral_constantIbLb1EEST_IbLb0EEEEDaSP_SQ_EUlSP_E0_NS1_11comp_targetILNS1_3genE9ELNS1_11target_archE1100ELNS1_3gpuE3ELNS1_3repE0EEENS1_30default_config_static_selectorELNS0_4arch9wavefront6targetE1EEEvT1_
	.globl	_ZN7rocprim17ROCPRIM_400000_NS6detail17trampoline_kernelINS0_14default_configENS1_20scan_config_selectorIxEEZZNS1_9scan_implILNS1_25lookback_scan_determinismE0ELb0ELb0ES3_N6thrust23THRUST_200600_302600_NS6detail15normal_iteratorINS9_10device_ptrIxEEEESE_xNS9_4plusIvEExEEDaPvRmT3_T4_T5_mT6_P12ihipStream_tbENKUlT_T0_E_clISt17integral_constantIbLb1EEST_IbLb0EEEEDaSP_SQ_EUlSP_E0_NS1_11comp_targetILNS1_3genE9ELNS1_11target_archE1100ELNS1_3gpuE3ELNS1_3repE0EEENS1_30default_config_static_selectorELNS0_4arch9wavefront6targetE1EEEvT1_
	.p2align	8
	.type	_ZN7rocprim17ROCPRIM_400000_NS6detail17trampoline_kernelINS0_14default_configENS1_20scan_config_selectorIxEEZZNS1_9scan_implILNS1_25lookback_scan_determinismE0ELb0ELb0ES3_N6thrust23THRUST_200600_302600_NS6detail15normal_iteratorINS9_10device_ptrIxEEEESE_xNS9_4plusIvEExEEDaPvRmT3_T4_T5_mT6_P12ihipStream_tbENKUlT_T0_E_clISt17integral_constantIbLb1EEST_IbLb0EEEEDaSP_SQ_EUlSP_E0_NS1_11comp_targetILNS1_3genE9ELNS1_11target_archE1100ELNS1_3gpuE3ELNS1_3repE0EEENS1_30default_config_static_selectorELNS0_4arch9wavefront6targetE1EEEvT1_,@function
_ZN7rocprim17ROCPRIM_400000_NS6detail17trampoline_kernelINS0_14default_configENS1_20scan_config_selectorIxEEZZNS1_9scan_implILNS1_25lookback_scan_determinismE0ELb0ELb0ES3_N6thrust23THRUST_200600_302600_NS6detail15normal_iteratorINS9_10device_ptrIxEEEESE_xNS9_4plusIvEExEEDaPvRmT3_T4_T5_mT6_P12ihipStream_tbENKUlT_T0_E_clISt17integral_constantIbLb1EEST_IbLb0EEEEDaSP_SQ_EUlSP_E0_NS1_11comp_targetILNS1_3genE9ELNS1_11target_archE1100ELNS1_3gpuE3ELNS1_3repE0EEENS1_30default_config_static_selectorELNS0_4arch9wavefront6targetE1EEEvT1_: ; @_ZN7rocprim17ROCPRIM_400000_NS6detail17trampoline_kernelINS0_14default_configENS1_20scan_config_selectorIxEEZZNS1_9scan_implILNS1_25lookback_scan_determinismE0ELb0ELb0ES3_N6thrust23THRUST_200600_302600_NS6detail15normal_iteratorINS9_10device_ptrIxEEEESE_xNS9_4plusIvEExEEDaPvRmT3_T4_T5_mT6_P12ihipStream_tbENKUlT_T0_E_clISt17integral_constantIbLb1EEST_IbLb0EEEEDaSP_SQ_EUlSP_E0_NS1_11comp_targetILNS1_3genE9ELNS1_11target_archE1100ELNS1_3gpuE3ELNS1_3repE0EEENS1_30default_config_static_selectorELNS0_4arch9wavefront6targetE1EEEvT1_
; %bb.0:
	.section	.rodata,"a",@progbits
	.p2align	6, 0x0
	.amdhsa_kernel _ZN7rocprim17ROCPRIM_400000_NS6detail17trampoline_kernelINS0_14default_configENS1_20scan_config_selectorIxEEZZNS1_9scan_implILNS1_25lookback_scan_determinismE0ELb0ELb0ES3_N6thrust23THRUST_200600_302600_NS6detail15normal_iteratorINS9_10device_ptrIxEEEESE_xNS9_4plusIvEExEEDaPvRmT3_T4_T5_mT6_P12ihipStream_tbENKUlT_T0_E_clISt17integral_constantIbLb1EEST_IbLb0EEEEDaSP_SQ_EUlSP_E0_NS1_11comp_targetILNS1_3genE9ELNS1_11target_archE1100ELNS1_3gpuE3ELNS1_3repE0EEENS1_30default_config_static_selectorELNS0_4arch9wavefront6targetE1EEEvT1_
		.amdhsa_group_segment_fixed_size 0
		.amdhsa_private_segment_fixed_size 0
		.amdhsa_kernarg_size 40
		.amdhsa_user_sgpr_count 6
		.amdhsa_user_sgpr_private_segment_buffer 1
		.amdhsa_user_sgpr_dispatch_ptr 0
		.amdhsa_user_sgpr_queue_ptr 0
		.amdhsa_user_sgpr_kernarg_segment_ptr 1
		.amdhsa_user_sgpr_dispatch_id 0
		.amdhsa_user_sgpr_flat_scratch_init 0
		.amdhsa_user_sgpr_kernarg_preload_length 0
		.amdhsa_user_sgpr_kernarg_preload_offset 0
		.amdhsa_user_sgpr_private_segment_size 0
		.amdhsa_uses_dynamic_stack 0
		.amdhsa_system_sgpr_private_segment_wavefront_offset 0
		.amdhsa_system_sgpr_workgroup_id_x 1
		.amdhsa_system_sgpr_workgroup_id_y 0
		.amdhsa_system_sgpr_workgroup_id_z 0
		.amdhsa_system_sgpr_workgroup_info 0
		.amdhsa_system_vgpr_workitem_id 0
		.amdhsa_next_free_vgpr 1
		.amdhsa_next_free_sgpr 0
		.amdhsa_accum_offset 4
		.amdhsa_reserve_vcc 0
		.amdhsa_reserve_flat_scratch 0
		.amdhsa_float_round_mode_32 0
		.amdhsa_float_round_mode_16_64 0
		.amdhsa_float_denorm_mode_32 3
		.amdhsa_float_denorm_mode_16_64 3
		.amdhsa_dx10_clamp 1
		.amdhsa_ieee_mode 1
		.amdhsa_fp16_overflow 0
		.amdhsa_tg_split 0
		.amdhsa_exception_fp_ieee_invalid_op 0
		.amdhsa_exception_fp_denorm_src 0
		.amdhsa_exception_fp_ieee_div_zero 0
		.amdhsa_exception_fp_ieee_overflow 0
		.amdhsa_exception_fp_ieee_underflow 0
		.amdhsa_exception_fp_ieee_inexact 0
		.amdhsa_exception_int_div_zero 0
	.end_amdhsa_kernel
	.section	.text._ZN7rocprim17ROCPRIM_400000_NS6detail17trampoline_kernelINS0_14default_configENS1_20scan_config_selectorIxEEZZNS1_9scan_implILNS1_25lookback_scan_determinismE0ELb0ELb0ES3_N6thrust23THRUST_200600_302600_NS6detail15normal_iteratorINS9_10device_ptrIxEEEESE_xNS9_4plusIvEExEEDaPvRmT3_T4_T5_mT6_P12ihipStream_tbENKUlT_T0_E_clISt17integral_constantIbLb1EEST_IbLb0EEEEDaSP_SQ_EUlSP_E0_NS1_11comp_targetILNS1_3genE9ELNS1_11target_archE1100ELNS1_3gpuE3ELNS1_3repE0EEENS1_30default_config_static_selectorELNS0_4arch9wavefront6targetE1EEEvT1_,"axG",@progbits,_ZN7rocprim17ROCPRIM_400000_NS6detail17trampoline_kernelINS0_14default_configENS1_20scan_config_selectorIxEEZZNS1_9scan_implILNS1_25lookback_scan_determinismE0ELb0ELb0ES3_N6thrust23THRUST_200600_302600_NS6detail15normal_iteratorINS9_10device_ptrIxEEEESE_xNS9_4plusIvEExEEDaPvRmT3_T4_T5_mT6_P12ihipStream_tbENKUlT_T0_E_clISt17integral_constantIbLb1EEST_IbLb0EEEEDaSP_SQ_EUlSP_E0_NS1_11comp_targetILNS1_3genE9ELNS1_11target_archE1100ELNS1_3gpuE3ELNS1_3repE0EEENS1_30default_config_static_selectorELNS0_4arch9wavefront6targetE1EEEvT1_,comdat
.Lfunc_end66:
	.size	_ZN7rocprim17ROCPRIM_400000_NS6detail17trampoline_kernelINS0_14default_configENS1_20scan_config_selectorIxEEZZNS1_9scan_implILNS1_25lookback_scan_determinismE0ELb0ELb0ES3_N6thrust23THRUST_200600_302600_NS6detail15normal_iteratorINS9_10device_ptrIxEEEESE_xNS9_4plusIvEExEEDaPvRmT3_T4_T5_mT6_P12ihipStream_tbENKUlT_T0_E_clISt17integral_constantIbLb1EEST_IbLb0EEEEDaSP_SQ_EUlSP_E0_NS1_11comp_targetILNS1_3genE9ELNS1_11target_archE1100ELNS1_3gpuE3ELNS1_3repE0EEENS1_30default_config_static_selectorELNS0_4arch9wavefront6targetE1EEEvT1_, .Lfunc_end66-_ZN7rocprim17ROCPRIM_400000_NS6detail17trampoline_kernelINS0_14default_configENS1_20scan_config_selectorIxEEZZNS1_9scan_implILNS1_25lookback_scan_determinismE0ELb0ELb0ES3_N6thrust23THRUST_200600_302600_NS6detail15normal_iteratorINS9_10device_ptrIxEEEESE_xNS9_4plusIvEExEEDaPvRmT3_T4_T5_mT6_P12ihipStream_tbENKUlT_T0_E_clISt17integral_constantIbLb1EEST_IbLb0EEEEDaSP_SQ_EUlSP_E0_NS1_11comp_targetILNS1_3genE9ELNS1_11target_archE1100ELNS1_3gpuE3ELNS1_3repE0EEENS1_30default_config_static_selectorELNS0_4arch9wavefront6targetE1EEEvT1_
                                        ; -- End function
	.section	.AMDGPU.csdata,"",@progbits
; Kernel info:
; codeLenInByte = 0
; NumSgprs: 4
; NumVgprs: 0
; NumAgprs: 0
; TotalNumVgprs: 0
; ScratchSize: 0
; MemoryBound: 0
; FloatMode: 240
; IeeeMode: 1
; LDSByteSize: 0 bytes/workgroup (compile time only)
; SGPRBlocks: 0
; VGPRBlocks: 0
; NumSGPRsForWavesPerEU: 4
; NumVGPRsForWavesPerEU: 1
; AccumOffset: 4
; Occupancy: 8
; WaveLimiterHint : 0
; COMPUTE_PGM_RSRC2:SCRATCH_EN: 0
; COMPUTE_PGM_RSRC2:USER_SGPR: 6
; COMPUTE_PGM_RSRC2:TRAP_HANDLER: 0
; COMPUTE_PGM_RSRC2:TGID_X_EN: 1
; COMPUTE_PGM_RSRC2:TGID_Y_EN: 0
; COMPUTE_PGM_RSRC2:TGID_Z_EN: 0
; COMPUTE_PGM_RSRC2:TIDIG_COMP_CNT: 0
; COMPUTE_PGM_RSRC3_GFX90A:ACCUM_OFFSET: 0
; COMPUTE_PGM_RSRC3_GFX90A:TG_SPLIT: 0
	.section	.text._ZN7rocprim17ROCPRIM_400000_NS6detail17trampoline_kernelINS0_14default_configENS1_20scan_config_selectorIxEEZZNS1_9scan_implILNS1_25lookback_scan_determinismE0ELb0ELb0ES3_N6thrust23THRUST_200600_302600_NS6detail15normal_iteratorINS9_10device_ptrIxEEEESE_xNS9_4plusIvEExEEDaPvRmT3_T4_T5_mT6_P12ihipStream_tbENKUlT_T0_E_clISt17integral_constantIbLb1EEST_IbLb0EEEEDaSP_SQ_EUlSP_E0_NS1_11comp_targetILNS1_3genE8ELNS1_11target_archE1030ELNS1_3gpuE2ELNS1_3repE0EEENS1_30default_config_static_selectorELNS0_4arch9wavefront6targetE1EEEvT1_,"axG",@progbits,_ZN7rocprim17ROCPRIM_400000_NS6detail17trampoline_kernelINS0_14default_configENS1_20scan_config_selectorIxEEZZNS1_9scan_implILNS1_25lookback_scan_determinismE0ELb0ELb0ES3_N6thrust23THRUST_200600_302600_NS6detail15normal_iteratorINS9_10device_ptrIxEEEESE_xNS9_4plusIvEExEEDaPvRmT3_T4_T5_mT6_P12ihipStream_tbENKUlT_T0_E_clISt17integral_constantIbLb1EEST_IbLb0EEEEDaSP_SQ_EUlSP_E0_NS1_11comp_targetILNS1_3genE8ELNS1_11target_archE1030ELNS1_3gpuE2ELNS1_3repE0EEENS1_30default_config_static_selectorELNS0_4arch9wavefront6targetE1EEEvT1_,comdat
	.protected	_ZN7rocprim17ROCPRIM_400000_NS6detail17trampoline_kernelINS0_14default_configENS1_20scan_config_selectorIxEEZZNS1_9scan_implILNS1_25lookback_scan_determinismE0ELb0ELb0ES3_N6thrust23THRUST_200600_302600_NS6detail15normal_iteratorINS9_10device_ptrIxEEEESE_xNS9_4plusIvEExEEDaPvRmT3_T4_T5_mT6_P12ihipStream_tbENKUlT_T0_E_clISt17integral_constantIbLb1EEST_IbLb0EEEEDaSP_SQ_EUlSP_E0_NS1_11comp_targetILNS1_3genE8ELNS1_11target_archE1030ELNS1_3gpuE2ELNS1_3repE0EEENS1_30default_config_static_selectorELNS0_4arch9wavefront6targetE1EEEvT1_ ; -- Begin function _ZN7rocprim17ROCPRIM_400000_NS6detail17trampoline_kernelINS0_14default_configENS1_20scan_config_selectorIxEEZZNS1_9scan_implILNS1_25lookback_scan_determinismE0ELb0ELb0ES3_N6thrust23THRUST_200600_302600_NS6detail15normal_iteratorINS9_10device_ptrIxEEEESE_xNS9_4plusIvEExEEDaPvRmT3_T4_T5_mT6_P12ihipStream_tbENKUlT_T0_E_clISt17integral_constantIbLb1EEST_IbLb0EEEEDaSP_SQ_EUlSP_E0_NS1_11comp_targetILNS1_3genE8ELNS1_11target_archE1030ELNS1_3gpuE2ELNS1_3repE0EEENS1_30default_config_static_selectorELNS0_4arch9wavefront6targetE1EEEvT1_
	.globl	_ZN7rocprim17ROCPRIM_400000_NS6detail17trampoline_kernelINS0_14default_configENS1_20scan_config_selectorIxEEZZNS1_9scan_implILNS1_25lookback_scan_determinismE0ELb0ELb0ES3_N6thrust23THRUST_200600_302600_NS6detail15normal_iteratorINS9_10device_ptrIxEEEESE_xNS9_4plusIvEExEEDaPvRmT3_T4_T5_mT6_P12ihipStream_tbENKUlT_T0_E_clISt17integral_constantIbLb1EEST_IbLb0EEEEDaSP_SQ_EUlSP_E0_NS1_11comp_targetILNS1_3genE8ELNS1_11target_archE1030ELNS1_3gpuE2ELNS1_3repE0EEENS1_30default_config_static_selectorELNS0_4arch9wavefront6targetE1EEEvT1_
	.p2align	8
	.type	_ZN7rocprim17ROCPRIM_400000_NS6detail17trampoline_kernelINS0_14default_configENS1_20scan_config_selectorIxEEZZNS1_9scan_implILNS1_25lookback_scan_determinismE0ELb0ELb0ES3_N6thrust23THRUST_200600_302600_NS6detail15normal_iteratorINS9_10device_ptrIxEEEESE_xNS9_4plusIvEExEEDaPvRmT3_T4_T5_mT6_P12ihipStream_tbENKUlT_T0_E_clISt17integral_constantIbLb1EEST_IbLb0EEEEDaSP_SQ_EUlSP_E0_NS1_11comp_targetILNS1_3genE8ELNS1_11target_archE1030ELNS1_3gpuE2ELNS1_3repE0EEENS1_30default_config_static_selectorELNS0_4arch9wavefront6targetE1EEEvT1_,@function
_ZN7rocprim17ROCPRIM_400000_NS6detail17trampoline_kernelINS0_14default_configENS1_20scan_config_selectorIxEEZZNS1_9scan_implILNS1_25lookback_scan_determinismE0ELb0ELb0ES3_N6thrust23THRUST_200600_302600_NS6detail15normal_iteratorINS9_10device_ptrIxEEEESE_xNS9_4plusIvEExEEDaPvRmT3_T4_T5_mT6_P12ihipStream_tbENKUlT_T0_E_clISt17integral_constantIbLb1EEST_IbLb0EEEEDaSP_SQ_EUlSP_E0_NS1_11comp_targetILNS1_3genE8ELNS1_11target_archE1030ELNS1_3gpuE2ELNS1_3repE0EEENS1_30default_config_static_selectorELNS0_4arch9wavefront6targetE1EEEvT1_: ; @_ZN7rocprim17ROCPRIM_400000_NS6detail17trampoline_kernelINS0_14default_configENS1_20scan_config_selectorIxEEZZNS1_9scan_implILNS1_25lookback_scan_determinismE0ELb0ELb0ES3_N6thrust23THRUST_200600_302600_NS6detail15normal_iteratorINS9_10device_ptrIxEEEESE_xNS9_4plusIvEExEEDaPvRmT3_T4_T5_mT6_P12ihipStream_tbENKUlT_T0_E_clISt17integral_constantIbLb1EEST_IbLb0EEEEDaSP_SQ_EUlSP_E0_NS1_11comp_targetILNS1_3genE8ELNS1_11target_archE1030ELNS1_3gpuE2ELNS1_3repE0EEENS1_30default_config_static_selectorELNS0_4arch9wavefront6targetE1EEEvT1_
; %bb.0:
	.section	.rodata,"a",@progbits
	.p2align	6, 0x0
	.amdhsa_kernel _ZN7rocprim17ROCPRIM_400000_NS6detail17trampoline_kernelINS0_14default_configENS1_20scan_config_selectorIxEEZZNS1_9scan_implILNS1_25lookback_scan_determinismE0ELb0ELb0ES3_N6thrust23THRUST_200600_302600_NS6detail15normal_iteratorINS9_10device_ptrIxEEEESE_xNS9_4plusIvEExEEDaPvRmT3_T4_T5_mT6_P12ihipStream_tbENKUlT_T0_E_clISt17integral_constantIbLb1EEST_IbLb0EEEEDaSP_SQ_EUlSP_E0_NS1_11comp_targetILNS1_3genE8ELNS1_11target_archE1030ELNS1_3gpuE2ELNS1_3repE0EEENS1_30default_config_static_selectorELNS0_4arch9wavefront6targetE1EEEvT1_
		.amdhsa_group_segment_fixed_size 0
		.amdhsa_private_segment_fixed_size 0
		.amdhsa_kernarg_size 40
		.amdhsa_user_sgpr_count 6
		.amdhsa_user_sgpr_private_segment_buffer 1
		.amdhsa_user_sgpr_dispatch_ptr 0
		.amdhsa_user_sgpr_queue_ptr 0
		.amdhsa_user_sgpr_kernarg_segment_ptr 1
		.amdhsa_user_sgpr_dispatch_id 0
		.amdhsa_user_sgpr_flat_scratch_init 0
		.amdhsa_user_sgpr_kernarg_preload_length 0
		.amdhsa_user_sgpr_kernarg_preload_offset 0
		.amdhsa_user_sgpr_private_segment_size 0
		.amdhsa_uses_dynamic_stack 0
		.amdhsa_system_sgpr_private_segment_wavefront_offset 0
		.amdhsa_system_sgpr_workgroup_id_x 1
		.amdhsa_system_sgpr_workgroup_id_y 0
		.amdhsa_system_sgpr_workgroup_id_z 0
		.amdhsa_system_sgpr_workgroup_info 0
		.amdhsa_system_vgpr_workitem_id 0
		.amdhsa_next_free_vgpr 1
		.amdhsa_next_free_sgpr 0
		.amdhsa_accum_offset 4
		.amdhsa_reserve_vcc 0
		.amdhsa_reserve_flat_scratch 0
		.amdhsa_float_round_mode_32 0
		.amdhsa_float_round_mode_16_64 0
		.amdhsa_float_denorm_mode_32 3
		.amdhsa_float_denorm_mode_16_64 3
		.amdhsa_dx10_clamp 1
		.amdhsa_ieee_mode 1
		.amdhsa_fp16_overflow 0
		.amdhsa_tg_split 0
		.amdhsa_exception_fp_ieee_invalid_op 0
		.amdhsa_exception_fp_denorm_src 0
		.amdhsa_exception_fp_ieee_div_zero 0
		.amdhsa_exception_fp_ieee_overflow 0
		.amdhsa_exception_fp_ieee_underflow 0
		.amdhsa_exception_fp_ieee_inexact 0
		.amdhsa_exception_int_div_zero 0
	.end_amdhsa_kernel
	.section	.text._ZN7rocprim17ROCPRIM_400000_NS6detail17trampoline_kernelINS0_14default_configENS1_20scan_config_selectorIxEEZZNS1_9scan_implILNS1_25lookback_scan_determinismE0ELb0ELb0ES3_N6thrust23THRUST_200600_302600_NS6detail15normal_iteratorINS9_10device_ptrIxEEEESE_xNS9_4plusIvEExEEDaPvRmT3_T4_T5_mT6_P12ihipStream_tbENKUlT_T0_E_clISt17integral_constantIbLb1EEST_IbLb0EEEEDaSP_SQ_EUlSP_E0_NS1_11comp_targetILNS1_3genE8ELNS1_11target_archE1030ELNS1_3gpuE2ELNS1_3repE0EEENS1_30default_config_static_selectorELNS0_4arch9wavefront6targetE1EEEvT1_,"axG",@progbits,_ZN7rocprim17ROCPRIM_400000_NS6detail17trampoline_kernelINS0_14default_configENS1_20scan_config_selectorIxEEZZNS1_9scan_implILNS1_25lookback_scan_determinismE0ELb0ELb0ES3_N6thrust23THRUST_200600_302600_NS6detail15normal_iteratorINS9_10device_ptrIxEEEESE_xNS9_4plusIvEExEEDaPvRmT3_T4_T5_mT6_P12ihipStream_tbENKUlT_T0_E_clISt17integral_constantIbLb1EEST_IbLb0EEEEDaSP_SQ_EUlSP_E0_NS1_11comp_targetILNS1_3genE8ELNS1_11target_archE1030ELNS1_3gpuE2ELNS1_3repE0EEENS1_30default_config_static_selectorELNS0_4arch9wavefront6targetE1EEEvT1_,comdat
.Lfunc_end67:
	.size	_ZN7rocprim17ROCPRIM_400000_NS6detail17trampoline_kernelINS0_14default_configENS1_20scan_config_selectorIxEEZZNS1_9scan_implILNS1_25lookback_scan_determinismE0ELb0ELb0ES3_N6thrust23THRUST_200600_302600_NS6detail15normal_iteratorINS9_10device_ptrIxEEEESE_xNS9_4plusIvEExEEDaPvRmT3_T4_T5_mT6_P12ihipStream_tbENKUlT_T0_E_clISt17integral_constantIbLb1EEST_IbLb0EEEEDaSP_SQ_EUlSP_E0_NS1_11comp_targetILNS1_3genE8ELNS1_11target_archE1030ELNS1_3gpuE2ELNS1_3repE0EEENS1_30default_config_static_selectorELNS0_4arch9wavefront6targetE1EEEvT1_, .Lfunc_end67-_ZN7rocprim17ROCPRIM_400000_NS6detail17trampoline_kernelINS0_14default_configENS1_20scan_config_selectorIxEEZZNS1_9scan_implILNS1_25lookback_scan_determinismE0ELb0ELb0ES3_N6thrust23THRUST_200600_302600_NS6detail15normal_iteratorINS9_10device_ptrIxEEEESE_xNS9_4plusIvEExEEDaPvRmT3_T4_T5_mT6_P12ihipStream_tbENKUlT_T0_E_clISt17integral_constantIbLb1EEST_IbLb0EEEEDaSP_SQ_EUlSP_E0_NS1_11comp_targetILNS1_3genE8ELNS1_11target_archE1030ELNS1_3gpuE2ELNS1_3repE0EEENS1_30default_config_static_selectorELNS0_4arch9wavefront6targetE1EEEvT1_
                                        ; -- End function
	.section	.AMDGPU.csdata,"",@progbits
; Kernel info:
; codeLenInByte = 0
; NumSgprs: 4
; NumVgprs: 0
; NumAgprs: 0
; TotalNumVgprs: 0
; ScratchSize: 0
; MemoryBound: 0
; FloatMode: 240
; IeeeMode: 1
; LDSByteSize: 0 bytes/workgroup (compile time only)
; SGPRBlocks: 0
; VGPRBlocks: 0
; NumSGPRsForWavesPerEU: 4
; NumVGPRsForWavesPerEU: 1
; AccumOffset: 4
; Occupancy: 8
; WaveLimiterHint : 0
; COMPUTE_PGM_RSRC2:SCRATCH_EN: 0
; COMPUTE_PGM_RSRC2:USER_SGPR: 6
; COMPUTE_PGM_RSRC2:TRAP_HANDLER: 0
; COMPUTE_PGM_RSRC2:TGID_X_EN: 1
; COMPUTE_PGM_RSRC2:TGID_Y_EN: 0
; COMPUTE_PGM_RSRC2:TGID_Z_EN: 0
; COMPUTE_PGM_RSRC2:TIDIG_COMP_CNT: 0
; COMPUTE_PGM_RSRC3_GFX90A:ACCUM_OFFSET: 0
; COMPUTE_PGM_RSRC3_GFX90A:TG_SPLIT: 0
	.section	.text._ZN7rocprim17ROCPRIM_400000_NS6detail31init_lookback_scan_state_kernelINS1_19lookback_scan_stateIxLb0ELb1EEENS1_16block_id_wrapperIjLb1EEEEEvT_jT0_jPNS7_10value_typeE,"axG",@progbits,_ZN7rocprim17ROCPRIM_400000_NS6detail31init_lookback_scan_state_kernelINS1_19lookback_scan_stateIxLb0ELb1EEENS1_16block_id_wrapperIjLb1EEEEEvT_jT0_jPNS7_10value_typeE,comdat
	.protected	_ZN7rocprim17ROCPRIM_400000_NS6detail31init_lookback_scan_state_kernelINS1_19lookback_scan_stateIxLb0ELb1EEENS1_16block_id_wrapperIjLb1EEEEEvT_jT0_jPNS7_10value_typeE ; -- Begin function _ZN7rocprim17ROCPRIM_400000_NS6detail31init_lookback_scan_state_kernelINS1_19lookback_scan_stateIxLb0ELb1EEENS1_16block_id_wrapperIjLb1EEEEEvT_jT0_jPNS7_10value_typeE
	.globl	_ZN7rocprim17ROCPRIM_400000_NS6detail31init_lookback_scan_state_kernelINS1_19lookback_scan_stateIxLb0ELb1EEENS1_16block_id_wrapperIjLb1EEEEEvT_jT0_jPNS7_10value_typeE
	.p2align	8
	.type	_ZN7rocprim17ROCPRIM_400000_NS6detail31init_lookback_scan_state_kernelINS1_19lookback_scan_stateIxLb0ELb1EEENS1_16block_id_wrapperIjLb1EEEEEvT_jT0_jPNS7_10value_typeE,@function
_ZN7rocprim17ROCPRIM_400000_NS6detail31init_lookback_scan_state_kernelINS1_19lookback_scan_stateIxLb0ELb1EEENS1_16block_id_wrapperIjLb1EEEEEvT_jT0_jPNS7_10value_typeE: ; @_ZN7rocprim17ROCPRIM_400000_NS6detail31init_lookback_scan_state_kernelINS1_19lookback_scan_stateIxLb0ELb1EEENS1_16block_id_wrapperIjLb1EEEEEvT_jT0_jPNS7_10value_typeE
; %bb.0:
	s_load_dword s7, s[4:5], 0x34
	s_load_dwordx2 s[2:3], s[4:5], 0x20
	s_load_dwordx2 s[0:1], s[4:5], 0x0
	s_load_dword s14, s[4:5], 0x8
	s_waitcnt lgkmcnt(0)
	s_and_b32 s7, s7, 0xffff
	s_mul_i32 s6, s6, s7
	s_cmp_eq_u64 s[2:3], 0
	v_add_u32_e32 v0, s6, v0
	s_cbranch_scc1 .LBB68_8
; %bb.1:
	s_load_dword s8, s[4:5], 0x18
	s_mov_b32 s9, 0
	s_waitcnt lgkmcnt(0)
	s_cmp_lt_u32 s8, s14
	s_cselect_b32 s6, s8, 0
	v_cmp_eq_u32_e32 vcc, s6, v0
	s_and_saveexec_b64 s[6:7], vcc
	s_cbranch_execz .LBB68_7
; %bb.2:
	s_add_i32 s8, s8, 64
	s_lshl_b64 s[8:9], s[8:9], 4
	s_add_u32 s12, s0, s8
	s_addc_u32 s13, s1, s9
	v_pk_mov_b32 v[2:3], s[12:13], s[12:13] op_sel:[0,1]
	;;#ASMSTART
	global_load_dwordx4 v[2:5], v[2:3] off glc	
s_waitcnt vmcnt(0)
	;;#ASMEND
	v_mov_b32_e32 v7, 0
	v_and_b32_e32 v6, 0xff, v4
	s_mov_b64 s[10:11], 0
	v_cmp_eq_u64_e32 vcc, 0, v[6:7]
	s_and_saveexec_b64 s[8:9], vcc
	s_cbranch_execz .LBB68_6
; %bb.3:
	v_pk_mov_b32 v[8:9], s[12:13], s[12:13] op_sel:[0,1]
.LBB68_4:                               ; =>This Inner Loop Header: Depth=1
	;;#ASMSTART
	global_load_dwordx4 v[2:5], v[8:9] off glc	
s_waitcnt vmcnt(0)
	;;#ASMEND
	v_and_b32_e32 v6, 0xff, v4
	v_cmp_ne_u64_e32 vcc, 0, v[6:7]
	s_or_b64 s[10:11], vcc, s[10:11]
	s_andn2_b64 exec, exec, s[10:11]
	s_cbranch_execnz .LBB68_4
; %bb.5:
	s_or_b64 exec, exec, s[10:11]
.LBB68_6:
	s_or_b64 exec, exec, s[8:9]
	v_mov_b32_e32 v1, 0
	global_store_dwordx2 v1, v[2:3], s[2:3]
.LBB68_7:
	s_or_b64 exec, exec, s[6:7]
.LBB68_8:
	v_cmp_eq_u32_e32 vcc, 0, v0
	s_and_saveexec_b64 s[2:3], vcc
	s_cbranch_execnz .LBB68_12
; %bb.9:
	s_or_b64 exec, exec, s[2:3]
	v_cmp_gt_u32_e32 vcc, s14, v0
	s_and_saveexec_b64 s[2:3], vcc
	s_cbranch_execnz .LBB68_13
.LBB68_10:
	s_or_b64 exec, exec, s[2:3]
	v_cmp_gt_u32_e32 vcc, 64, v0
	s_and_saveexec_b64 s[2:3], vcc
	s_cbranch_execnz .LBB68_14
.LBB68_11:
	s_endpgm
.LBB68_12:
	s_load_dwordx2 s[4:5], s[4:5], 0x10
	v_mov_b32_e32 v1, 0
	s_waitcnt lgkmcnt(0)
	global_store_dword v1, v1, s[4:5]
	s_or_b64 exec, exec, s[2:3]
	v_cmp_gt_u32_e32 vcc, s14, v0
	s_and_saveexec_b64 s[2:3], vcc
	s_cbranch_execz .LBB68_10
.LBB68_13:
	v_add_u32_e32 v2, 64, v0
	v_mov_b32_e32 v3, 0
	v_lshlrev_b64 v[4:5], 4, v[2:3]
	v_mov_b32_e32 v1, s1
	v_add_co_u32_e32 v6, vcc, s0, v4
	v_addc_co_u32_e32 v7, vcc, v1, v5, vcc
	v_mov_b32_e32 v2, v3
	v_mov_b32_e32 v4, v3
	;; [unrolled: 1-line block ×3, first 2 shown]
	global_store_dwordx4 v[6:7], v[2:5], off
	s_or_b64 exec, exec, s[2:3]
	v_cmp_gt_u32_e32 vcc, 64, v0
	s_and_saveexec_b64 s[2:3], vcc
	s_cbranch_execz .LBB68_11
.LBB68_14:
	v_mov_b32_e32 v1, 0
	v_lshlrev_b64 v[2:3], 4, v[0:1]
	v_mov_b32_e32 v0, s1
	v_add_co_u32_e32 v4, vcc, s0, v2
	v_addc_co_u32_e32 v5, vcc, v0, v3, vcc
	v_mov_b32_e32 v2, 0xff
	v_mov_b32_e32 v0, v1
	;; [unrolled: 1-line block ×3, first 2 shown]
	global_store_dwordx4 v[4:5], v[0:3], off
	s_endpgm
	.section	.rodata,"a",@progbits
	.p2align	6, 0x0
	.amdhsa_kernel _ZN7rocprim17ROCPRIM_400000_NS6detail31init_lookback_scan_state_kernelINS1_19lookback_scan_stateIxLb0ELb1EEENS1_16block_id_wrapperIjLb1EEEEEvT_jT0_jPNS7_10value_typeE
		.amdhsa_group_segment_fixed_size 0
		.amdhsa_private_segment_fixed_size 0
		.amdhsa_kernarg_size 296
		.amdhsa_user_sgpr_count 6
		.amdhsa_user_sgpr_private_segment_buffer 1
		.amdhsa_user_sgpr_dispatch_ptr 0
		.amdhsa_user_sgpr_queue_ptr 0
		.amdhsa_user_sgpr_kernarg_segment_ptr 1
		.amdhsa_user_sgpr_dispatch_id 0
		.amdhsa_user_sgpr_flat_scratch_init 0
		.amdhsa_user_sgpr_kernarg_preload_length 0
		.amdhsa_user_sgpr_kernarg_preload_offset 0
		.amdhsa_user_sgpr_private_segment_size 0
		.amdhsa_uses_dynamic_stack 0
		.amdhsa_system_sgpr_private_segment_wavefront_offset 0
		.amdhsa_system_sgpr_workgroup_id_x 1
		.amdhsa_system_sgpr_workgroup_id_y 0
		.amdhsa_system_sgpr_workgroup_id_z 0
		.amdhsa_system_sgpr_workgroup_info 0
		.amdhsa_system_vgpr_workitem_id 0
		.amdhsa_next_free_vgpr 10
		.amdhsa_next_free_sgpr 15
		.amdhsa_accum_offset 12
		.amdhsa_reserve_vcc 1
		.amdhsa_reserve_flat_scratch 0
		.amdhsa_float_round_mode_32 0
		.amdhsa_float_round_mode_16_64 0
		.amdhsa_float_denorm_mode_32 3
		.amdhsa_float_denorm_mode_16_64 3
		.amdhsa_dx10_clamp 1
		.amdhsa_ieee_mode 1
		.amdhsa_fp16_overflow 0
		.amdhsa_tg_split 0
		.amdhsa_exception_fp_ieee_invalid_op 0
		.amdhsa_exception_fp_denorm_src 0
		.amdhsa_exception_fp_ieee_div_zero 0
		.amdhsa_exception_fp_ieee_overflow 0
		.amdhsa_exception_fp_ieee_underflow 0
		.amdhsa_exception_fp_ieee_inexact 0
		.amdhsa_exception_int_div_zero 0
	.end_amdhsa_kernel
	.section	.text._ZN7rocprim17ROCPRIM_400000_NS6detail31init_lookback_scan_state_kernelINS1_19lookback_scan_stateIxLb0ELb1EEENS1_16block_id_wrapperIjLb1EEEEEvT_jT0_jPNS7_10value_typeE,"axG",@progbits,_ZN7rocprim17ROCPRIM_400000_NS6detail31init_lookback_scan_state_kernelINS1_19lookback_scan_stateIxLb0ELb1EEENS1_16block_id_wrapperIjLb1EEEEEvT_jT0_jPNS7_10value_typeE,comdat
.Lfunc_end68:
	.size	_ZN7rocprim17ROCPRIM_400000_NS6detail31init_lookback_scan_state_kernelINS1_19lookback_scan_stateIxLb0ELb1EEENS1_16block_id_wrapperIjLb1EEEEEvT_jT0_jPNS7_10value_typeE, .Lfunc_end68-_ZN7rocprim17ROCPRIM_400000_NS6detail31init_lookback_scan_state_kernelINS1_19lookback_scan_stateIxLb0ELb1EEENS1_16block_id_wrapperIjLb1EEEEEvT_jT0_jPNS7_10value_typeE
                                        ; -- End function
	.section	.AMDGPU.csdata,"",@progbits
; Kernel info:
; codeLenInByte = 440
; NumSgprs: 19
; NumVgprs: 10
; NumAgprs: 0
; TotalNumVgprs: 10
; ScratchSize: 0
; MemoryBound: 0
; FloatMode: 240
; IeeeMode: 1
; LDSByteSize: 0 bytes/workgroup (compile time only)
; SGPRBlocks: 2
; VGPRBlocks: 1
; NumSGPRsForWavesPerEU: 19
; NumVGPRsForWavesPerEU: 10
; AccumOffset: 12
; Occupancy: 8
; WaveLimiterHint : 0
; COMPUTE_PGM_RSRC2:SCRATCH_EN: 0
; COMPUTE_PGM_RSRC2:USER_SGPR: 6
; COMPUTE_PGM_RSRC2:TRAP_HANDLER: 0
; COMPUTE_PGM_RSRC2:TGID_X_EN: 1
; COMPUTE_PGM_RSRC2:TGID_Y_EN: 0
; COMPUTE_PGM_RSRC2:TGID_Z_EN: 0
; COMPUTE_PGM_RSRC2:TIDIG_COMP_CNT: 0
; COMPUTE_PGM_RSRC3_GFX90A:ACCUM_OFFSET: 2
; COMPUTE_PGM_RSRC3_GFX90A:TG_SPLIT: 0
	.section	.text._ZN7rocprim17ROCPRIM_400000_NS6detail17trampoline_kernelINS0_14default_configENS1_20scan_config_selectorIxEEZZNS1_9scan_implILNS1_25lookback_scan_determinismE0ELb0ELb0ES3_N6thrust23THRUST_200600_302600_NS6detail15normal_iteratorINS9_10device_ptrIxEEEESE_xNS9_4plusIvEExEEDaPvRmT3_T4_T5_mT6_P12ihipStream_tbENKUlT_T0_E_clISt17integral_constantIbLb0EEST_IbLb1EEEEDaSP_SQ_EUlSP_E_NS1_11comp_targetILNS1_3genE0ELNS1_11target_archE4294967295ELNS1_3gpuE0ELNS1_3repE0EEENS1_30default_config_static_selectorELNS0_4arch9wavefront6targetE1EEEvT1_,"axG",@progbits,_ZN7rocprim17ROCPRIM_400000_NS6detail17trampoline_kernelINS0_14default_configENS1_20scan_config_selectorIxEEZZNS1_9scan_implILNS1_25lookback_scan_determinismE0ELb0ELb0ES3_N6thrust23THRUST_200600_302600_NS6detail15normal_iteratorINS9_10device_ptrIxEEEESE_xNS9_4plusIvEExEEDaPvRmT3_T4_T5_mT6_P12ihipStream_tbENKUlT_T0_E_clISt17integral_constantIbLb0EEST_IbLb1EEEEDaSP_SQ_EUlSP_E_NS1_11comp_targetILNS1_3genE0ELNS1_11target_archE4294967295ELNS1_3gpuE0ELNS1_3repE0EEENS1_30default_config_static_selectorELNS0_4arch9wavefront6targetE1EEEvT1_,comdat
	.protected	_ZN7rocprim17ROCPRIM_400000_NS6detail17trampoline_kernelINS0_14default_configENS1_20scan_config_selectorIxEEZZNS1_9scan_implILNS1_25lookback_scan_determinismE0ELb0ELb0ES3_N6thrust23THRUST_200600_302600_NS6detail15normal_iteratorINS9_10device_ptrIxEEEESE_xNS9_4plusIvEExEEDaPvRmT3_T4_T5_mT6_P12ihipStream_tbENKUlT_T0_E_clISt17integral_constantIbLb0EEST_IbLb1EEEEDaSP_SQ_EUlSP_E_NS1_11comp_targetILNS1_3genE0ELNS1_11target_archE4294967295ELNS1_3gpuE0ELNS1_3repE0EEENS1_30default_config_static_selectorELNS0_4arch9wavefront6targetE1EEEvT1_ ; -- Begin function _ZN7rocprim17ROCPRIM_400000_NS6detail17trampoline_kernelINS0_14default_configENS1_20scan_config_selectorIxEEZZNS1_9scan_implILNS1_25lookback_scan_determinismE0ELb0ELb0ES3_N6thrust23THRUST_200600_302600_NS6detail15normal_iteratorINS9_10device_ptrIxEEEESE_xNS9_4plusIvEExEEDaPvRmT3_T4_T5_mT6_P12ihipStream_tbENKUlT_T0_E_clISt17integral_constantIbLb0EEST_IbLb1EEEEDaSP_SQ_EUlSP_E_NS1_11comp_targetILNS1_3genE0ELNS1_11target_archE4294967295ELNS1_3gpuE0ELNS1_3repE0EEENS1_30default_config_static_selectorELNS0_4arch9wavefront6targetE1EEEvT1_
	.globl	_ZN7rocprim17ROCPRIM_400000_NS6detail17trampoline_kernelINS0_14default_configENS1_20scan_config_selectorIxEEZZNS1_9scan_implILNS1_25lookback_scan_determinismE0ELb0ELb0ES3_N6thrust23THRUST_200600_302600_NS6detail15normal_iteratorINS9_10device_ptrIxEEEESE_xNS9_4plusIvEExEEDaPvRmT3_T4_T5_mT6_P12ihipStream_tbENKUlT_T0_E_clISt17integral_constantIbLb0EEST_IbLb1EEEEDaSP_SQ_EUlSP_E_NS1_11comp_targetILNS1_3genE0ELNS1_11target_archE4294967295ELNS1_3gpuE0ELNS1_3repE0EEENS1_30default_config_static_selectorELNS0_4arch9wavefront6targetE1EEEvT1_
	.p2align	8
	.type	_ZN7rocprim17ROCPRIM_400000_NS6detail17trampoline_kernelINS0_14default_configENS1_20scan_config_selectorIxEEZZNS1_9scan_implILNS1_25lookback_scan_determinismE0ELb0ELb0ES3_N6thrust23THRUST_200600_302600_NS6detail15normal_iteratorINS9_10device_ptrIxEEEESE_xNS9_4plusIvEExEEDaPvRmT3_T4_T5_mT6_P12ihipStream_tbENKUlT_T0_E_clISt17integral_constantIbLb0EEST_IbLb1EEEEDaSP_SQ_EUlSP_E_NS1_11comp_targetILNS1_3genE0ELNS1_11target_archE4294967295ELNS1_3gpuE0ELNS1_3repE0EEENS1_30default_config_static_selectorELNS0_4arch9wavefront6targetE1EEEvT1_,@function
_ZN7rocprim17ROCPRIM_400000_NS6detail17trampoline_kernelINS0_14default_configENS1_20scan_config_selectorIxEEZZNS1_9scan_implILNS1_25lookback_scan_determinismE0ELb0ELb0ES3_N6thrust23THRUST_200600_302600_NS6detail15normal_iteratorINS9_10device_ptrIxEEEESE_xNS9_4plusIvEExEEDaPvRmT3_T4_T5_mT6_P12ihipStream_tbENKUlT_T0_E_clISt17integral_constantIbLb0EEST_IbLb1EEEEDaSP_SQ_EUlSP_E_NS1_11comp_targetILNS1_3genE0ELNS1_11target_archE4294967295ELNS1_3gpuE0ELNS1_3repE0EEENS1_30default_config_static_selectorELNS0_4arch9wavefront6targetE1EEEvT1_: ; @_ZN7rocprim17ROCPRIM_400000_NS6detail17trampoline_kernelINS0_14default_configENS1_20scan_config_selectorIxEEZZNS1_9scan_implILNS1_25lookback_scan_determinismE0ELb0ELb0ES3_N6thrust23THRUST_200600_302600_NS6detail15normal_iteratorINS9_10device_ptrIxEEEESE_xNS9_4plusIvEExEEDaPvRmT3_T4_T5_mT6_P12ihipStream_tbENKUlT_T0_E_clISt17integral_constantIbLb0EEST_IbLb1EEEEDaSP_SQ_EUlSP_E_NS1_11comp_targetILNS1_3genE0ELNS1_11target_archE4294967295ELNS1_3gpuE0ELNS1_3repE0EEENS1_30default_config_static_selectorELNS0_4arch9wavefront6targetE1EEEvT1_
; %bb.0:
	.section	.rodata,"a",@progbits
	.p2align	6, 0x0
	.amdhsa_kernel _ZN7rocprim17ROCPRIM_400000_NS6detail17trampoline_kernelINS0_14default_configENS1_20scan_config_selectorIxEEZZNS1_9scan_implILNS1_25lookback_scan_determinismE0ELb0ELb0ES3_N6thrust23THRUST_200600_302600_NS6detail15normal_iteratorINS9_10device_ptrIxEEEESE_xNS9_4plusIvEExEEDaPvRmT3_T4_T5_mT6_P12ihipStream_tbENKUlT_T0_E_clISt17integral_constantIbLb0EEST_IbLb1EEEEDaSP_SQ_EUlSP_E_NS1_11comp_targetILNS1_3genE0ELNS1_11target_archE4294967295ELNS1_3gpuE0ELNS1_3repE0EEENS1_30default_config_static_selectorELNS0_4arch9wavefront6targetE1EEEvT1_
		.amdhsa_group_segment_fixed_size 0
		.amdhsa_private_segment_fixed_size 0
		.amdhsa_kernarg_size 104
		.amdhsa_user_sgpr_count 6
		.amdhsa_user_sgpr_private_segment_buffer 1
		.amdhsa_user_sgpr_dispatch_ptr 0
		.amdhsa_user_sgpr_queue_ptr 0
		.amdhsa_user_sgpr_kernarg_segment_ptr 1
		.amdhsa_user_sgpr_dispatch_id 0
		.amdhsa_user_sgpr_flat_scratch_init 0
		.amdhsa_user_sgpr_kernarg_preload_length 0
		.amdhsa_user_sgpr_kernarg_preload_offset 0
		.amdhsa_user_sgpr_private_segment_size 0
		.amdhsa_uses_dynamic_stack 0
		.amdhsa_system_sgpr_private_segment_wavefront_offset 0
		.amdhsa_system_sgpr_workgroup_id_x 1
		.amdhsa_system_sgpr_workgroup_id_y 0
		.amdhsa_system_sgpr_workgroup_id_z 0
		.amdhsa_system_sgpr_workgroup_info 0
		.amdhsa_system_vgpr_workitem_id 0
		.amdhsa_next_free_vgpr 1
		.amdhsa_next_free_sgpr 0
		.amdhsa_accum_offset 4
		.amdhsa_reserve_vcc 0
		.amdhsa_reserve_flat_scratch 0
		.amdhsa_float_round_mode_32 0
		.amdhsa_float_round_mode_16_64 0
		.amdhsa_float_denorm_mode_32 3
		.amdhsa_float_denorm_mode_16_64 3
		.amdhsa_dx10_clamp 1
		.amdhsa_ieee_mode 1
		.amdhsa_fp16_overflow 0
		.amdhsa_tg_split 0
		.amdhsa_exception_fp_ieee_invalid_op 0
		.amdhsa_exception_fp_denorm_src 0
		.amdhsa_exception_fp_ieee_div_zero 0
		.amdhsa_exception_fp_ieee_overflow 0
		.amdhsa_exception_fp_ieee_underflow 0
		.amdhsa_exception_fp_ieee_inexact 0
		.amdhsa_exception_int_div_zero 0
	.end_amdhsa_kernel
	.section	.text._ZN7rocprim17ROCPRIM_400000_NS6detail17trampoline_kernelINS0_14default_configENS1_20scan_config_selectorIxEEZZNS1_9scan_implILNS1_25lookback_scan_determinismE0ELb0ELb0ES3_N6thrust23THRUST_200600_302600_NS6detail15normal_iteratorINS9_10device_ptrIxEEEESE_xNS9_4plusIvEExEEDaPvRmT3_T4_T5_mT6_P12ihipStream_tbENKUlT_T0_E_clISt17integral_constantIbLb0EEST_IbLb1EEEEDaSP_SQ_EUlSP_E_NS1_11comp_targetILNS1_3genE0ELNS1_11target_archE4294967295ELNS1_3gpuE0ELNS1_3repE0EEENS1_30default_config_static_selectorELNS0_4arch9wavefront6targetE1EEEvT1_,"axG",@progbits,_ZN7rocprim17ROCPRIM_400000_NS6detail17trampoline_kernelINS0_14default_configENS1_20scan_config_selectorIxEEZZNS1_9scan_implILNS1_25lookback_scan_determinismE0ELb0ELb0ES3_N6thrust23THRUST_200600_302600_NS6detail15normal_iteratorINS9_10device_ptrIxEEEESE_xNS9_4plusIvEExEEDaPvRmT3_T4_T5_mT6_P12ihipStream_tbENKUlT_T0_E_clISt17integral_constantIbLb0EEST_IbLb1EEEEDaSP_SQ_EUlSP_E_NS1_11comp_targetILNS1_3genE0ELNS1_11target_archE4294967295ELNS1_3gpuE0ELNS1_3repE0EEENS1_30default_config_static_selectorELNS0_4arch9wavefront6targetE1EEEvT1_,comdat
.Lfunc_end69:
	.size	_ZN7rocprim17ROCPRIM_400000_NS6detail17trampoline_kernelINS0_14default_configENS1_20scan_config_selectorIxEEZZNS1_9scan_implILNS1_25lookback_scan_determinismE0ELb0ELb0ES3_N6thrust23THRUST_200600_302600_NS6detail15normal_iteratorINS9_10device_ptrIxEEEESE_xNS9_4plusIvEExEEDaPvRmT3_T4_T5_mT6_P12ihipStream_tbENKUlT_T0_E_clISt17integral_constantIbLb0EEST_IbLb1EEEEDaSP_SQ_EUlSP_E_NS1_11comp_targetILNS1_3genE0ELNS1_11target_archE4294967295ELNS1_3gpuE0ELNS1_3repE0EEENS1_30default_config_static_selectorELNS0_4arch9wavefront6targetE1EEEvT1_, .Lfunc_end69-_ZN7rocprim17ROCPRIM_400000_NS6detail17trampoline_kernelINS0_14default_configENS1_20scan_config_selectorIxEEZZNS1_9scan_implILNS1_25lookback_scan_determinismE0ELb0ELb0ES3_N6thrust23THRUST_200600_302600_NS6detail15normal_iteratorINS9_10device_ptrIxEEEESE_xNS9_4plusIvEExEEDaPvRmT3_T4_T5_mT6_P12ihipStream_tbENKUlT_T0_E_clISt17integral_constantIbLb0EEST_IbLb1EEEEDaSP_SQ_EUlSP_E_NS1_11comp_targetILNS1_3genE0ELNS1_11target_archE4294967295ELNS1_3gpuE0ELNS1_3repE0EEENS1_30default_config_static_selectorELNS0_4arch9wavefront6targetE1EEEvT1_
                                        ; -- End function
	.section	.AMDGPU.csdata,"",@progbits
; Kernel info:
; codeLenInByte = 0
; NumSgprs: 4
; NumVgprs: 0
; NumAgprs: 0
; TotalNumVgprs: 0
; ScratchSize: 0
; MemoryBound: 0
; FloatMode: 240
; IeeeMode: 1
; LDSByteSize: 0 bytes/workgroup (compile time only)
; SGPRBlocks: 0
; VGPRBlocks: 0
; NumSGPRsForWavesPerEU: 4
; NumVGPRsForWavesPerEU: 1
; AccumOffset: 4
; Occupancy: 8
; WaveLimiterHint : 0
; COMPUTE_PGM_RSRC2:SCRATCH_EN: 0
; COMPUTE_PGM_RSRC2:USER_SGPR: 6
; COMPUTE_PGM_RSRC2:TRAP_HANDLER: 0
; COMPUTE_PGM_RSRC2:TGID_X_EN: 1
; COMPUTE_PGM_RSRC2:TGID_Y_EN: 0
; COMPUTE_PGM_RSRC2:TGID_Z_EN: 0
; COMPUTE_PGM_RSRC2:TIDIG_COMP_CNT: 0
; COMPUTE_PGM_RSRC3_GFX90A:ACCUM_OFFSET: 0
; COMPUTE_PGM_RSRC3_GFX90A:TG_SPLIT: 0
	.section	.text._ZN7rocprim17ROCPRIM_400000_NS6detail17trampoline_kernelINS0_14default_configENS1_20scan_config_selectorIxEEZZNS1_9scan_implILNS1_25lookback_scan_determinismE0ELb0ELb0ES3_N6thrust23THRUST_200600_302600_NS6detail15normal_iteratorINS9_10device_ptrIxEEEESE_xNS9_4plusIvEExEEDaPvRmT3_T4_T5_mT6_P12ihipStream_tbENKUlT_T0_E_clISt17integral_constantIbLb0EEST_IbLb1EEEEDaSP_SQ_EUlSP_E_NS1_11comp_targetILNS1_3genE5ELNS1_11target_archE942ELNS1_3gpuE9ELNS1_3repE0EEENS1_30default_config_static_selectorELNS0_4arch9wavefront6targetE1EEEvT1_,"axG",@progbits,_ZN7rocprim17ROCPRIM_400000_NS6detail17trampoline_kernelINS0_14default_configENS1_20scan_config_selectorIxEEZZNS1_9scan_implILNS1_25lookback_scan_determinismE0ELb0ELb0ES3_N6thrust23THRUST_200600_302600_NS6detail15normal_iteratorINS9_10device_ptrIxEEEESE_xNS9_4plusIvEExEEDaPvRmT3_T4_T5_mT6_P12ihipStream_tbENKUlT_T0_E_clISt17integral_constantIbLb0EEST_IbLb1EEEEDaSP_SQ_EUlSP_E_NS1_11comp_targetILNS1_3genE5ELNS1_11target_archE942ELNS1_3gpuE9ELNS1_3repE0EEENS1_30default_config_static_selectorELNS0_4arch9wavefront6targetE1EEEvT1_,comdat
	.protected	_ZN7rocprim17ROCPRIM_400000_NS6detail17trampoline_kernelINS0_14default_configENS1_20scan_config_selectorIxEEZZNS1_9scan_implILNS1_25lookback_scan_determinismE0ELb0ELb0ES3_N6thrust23THRUST_200600_302600_NS6detail15normal_iteratorINS9_10device_ptrIxEEEESE_xNS9_4plusIvEExEEDaPvRmT3_T4_T5_mT6_P12ihipStream_tbENKUlT_T0_E_clISt17integral_constantIbLb0EEST_IbLb1EEEEDaSP_SQ_EUlSP_E_NS1_11comp_targetILNS1_3genE5ELNS1_11target_archE942ELNS1_3gpuE9ELNS1_3repE0EEENS1_30default_config_static_selectorELNS0_4arch9wavefront6targetE1EEEvT1_ ; -- Begin function _ZN7rocprim17ROCPRIM_400000_NS6detail17trampoline_kernelINS0_14default_configENS1_20scan_config_selectorIxEEZZNS1_9scan_implILNS1_25lookback_scan_determinismE0ELb0ELb0ES3_N6thrust23THRUST_200600_302600_NS6detail15normal_iteratorINS9_10device_ptrIxEEEESE_xNS9_4plusIvEExEEDaPvRmT3_T4_T5_mT6_P12ihipStream_tbENKUlT_T0_E_clISt17integral_constantIbLb0EEST_IbLb1EEEEDaSP_SQ_EUlSP_E_NS1_11comp_targetILNS1_3genE5ELNS1_11target_archE942ELNS1_3gpuE9ELNS1_3repE0EEENS1_30default_config_static_selectorELNS0_4arch9wavefront6targetE1EEEvT1_
	.globl	_ZN7rocprim17ROCPRIM_400000_NS6detail17trampoline_kernelINS0_14default_configENS1_20scan_config_selectorIxEEZZNS1_9scan_implILNS1_25lookback_scan_determinismE0ELb0ELb0ES3_N6thrust23THRUST_200600_302600_NS6detail15normal_iteratorINS9_10device_ptrIxEEEESE_xNS9_4plusIvEExEEDaPvRmT3_T4_T5_mT6_P12ihipStream_tbENKUlT_T0_E_clISt17integral_constantIbLb0EEST_IbLb1EEEEDaSP_SQ_EUlSP_E_NS1_11comp_targetILNS1_3genE5ELNS1_11target_archE942ELNS1_3gpuE9ELNS1_3repE0EEENS1_30default_config_static_selectorELNS0_4arch9wavefront6targetE1EEEvT1_
	.p2align	8
	.type	_ZN7rocprim17ROCPRIM_400000_NS6detail17trampoline_kernelINS0_14default_configENS1_20scan_config_selectorIxEEZZNS1_9scan_implILNS1_25lookback_scan_determinismE0ELb0ELb0ES3_N6thrust23THRUST_200600_302600_NS6detail15normal_iteratorINS9_10device_ptrIxEEEESE_xNS9_4plusIvEExEEDaPvRmT3_T4_T5_mT6_P12ihipStream_tbENKUlT_T0_E_clISt17integral_constantIbLb0EEST_IbLb1EEEEDaSP_SQ_EUlSP_E_NS1_11comp_targetILNS1_3genE5ELNS1_11target_archE942ELNS1_3gpuE9ELNS1_3repE0EEENS1_30default_config_static_selectorELNS0_4arch9wavefront6targetE1EEEvT1_,@function
_ZN7rocprim17ROCPRIM_400000_NS6detail17trampoline_kernelINS0_14default_configENS1_20scan_config_selectorIxEEZZNS1_9scan_implILNS1_25lookback_scan_determinismE0ELb0ELb0ES3_N6thrust23THRUST_200600_302600_NS6detail15normal_iteratorINS9_10device_ptrIxEEEESE_xNS9_4plusIvEExEEDaPvRmT3_T4_T5_mT6_P12ihipStream_tbENKUlT_T0_E_clISt17integral_constantIbLb0EEST_IbLb1EEEEDaSP_SQ_EUlSP_E_NS1_11comp_targetILNS1_3genE5ELNS1_11target_archE942ELNS1_3gpuE9ELNS1_3repE0EEENS1_30default_config_static_selectorELNS0_4arch9wavefront6targetE1EEEvT1_: ; @_ZN7rocprim17ROCPRIM_400000_NS6detail17trampoline_kernelINS0_14default_configENS1_20scan_config_selectorIxEEZZNS1_9scan_implILNS1_25lookback_scan_determinismE0ELb0ELb0ES3_N6thrust23THRUST_200600_302600_NS6detail15normal_iteratorINS9_10device_ptrIxEEEESE_xNS9_4plusIvEExEEDaPvRmT3_T4_T5_mT6_P12ihipStream_tbENKUlT_T0_E_clISt17integral_constantIbLb0EEST_IbLb1EEEEDaSP_SQ_EUlSP_E_NS1_11comp_targetILNS1_3genE5ELNS1_11target_archE942ELNS1_3gpuE9ELNS1_3repE0EEENS1_30default_config_static_selectorELNS0_4arch9wavefront6targetE1EEEvT1_
; %bb.0:
	.section	.rodata,"a",@progbits
	.p2align	6, 0x0
	.amdhsa_kernel _ZN7rocprim17ROCPRIM_400000_NS6detail17trampoline_kernelINS0_14default_configENS1_20scan_config_selectorIxEEZZNS1_9scan_implILNS1_25lookback_scan_determinismE0ELb0ELb0ES3_N6thrust23THRUST_200600_302600_NS6detail15normal_iteratorINS9_10device_ptrIxEEEESE_xNS9_4plusIvEExEEDaPvRmT3_T4_T5_mT6_P12ihipStream_tbENKUlT_T0_E_clISt17integral_constantIbLb0EEST_IbLb1EEEEDaSP_SQ_EUlSP_E_NS1_11comp_targetILNS1_3genE5ELNS1_11target_archE942ELNS1_3gpuE9ELNS1_3repE0EEENS1_30default_config_static_selectorELNS0_4arch9wavefront6targetE1EEEvT1_
		.amdhsa_group_segment_fixed_size 0
		.amdhsa_private_segment_fixed_size 0
		.amdhsa_kernarg_size 104
		.amdhsa_user_sgpr_count 6
		.amdhsa_user_sgpr_private_segment_buffer 1
		.amdhsa_user_sgpr_dispatch_ptr 0
		.amdhsa_user_sgpr_queue_ptr 0
		.amdhsa_user_sgpr_kernarg_segment_ptr 1
		.amdhsa_user_sgpr_dispatch_id 0
		.amdhsa_user_sgpr_flat_scratch_init 0
		.amdhsa_user_sgpr_kernarg_preload_length 0
		.amdhsa_user_sgpr_kernarg_preload_offset 0
		.amdhsa_user_sgpr_private_segment_size 0
		.amdhsa_uses_dynamic_stack 0
		.amdhsa_system_sgpr_private_segment_wavefront_offset 0
		.amdhsa_system_sgpr_workgroup_id_x 1
		.amdhsa_system_sgpr_workgroup_id_y 0
		.amdhsa_system_sgpr_workgroup_id_z 0
		.amdhsa_system_sgpr_workgroup_info 0
		.amdhsa_system_vgpr_workitem_id 0
		.amdhsa_next_free_vgpr 1
		.amdhsa_next_free_sgpr 0
		.amdhsa_accum_offset 4
		.amdhsa_reserve_vcc 0
		.amdhsa_reserve_flat_scratch 0
		.amdhsa_float_round_mode_32 0
		.amdhsa_float_round_mode_16_64 0
		.amdhsa_float_denorm_mode_32 3
		.amdhsa_float_denorm_mode_16_64 3
		.amdhsa_dx10_clamp 1
		.amdhsa_ieee_mode 1
		.amdhsa_fp16_overflow 0
		.amdhsa_tg_split 0
		.amdhsa_exception_fp_ieee_invalid_op 0
		.amdhsa_exception_fp_denorm_src 0
		.amdhsa_exception_fp_ieee_div_zero 0
		.amdhsa_exception_fp_ieee_overflow 0
		.amdhsa_exception_fp_ieee_underflow 0
		.amdhsa_exception_fp_ieee_inexact 0
		.amdhsa_exception_int_div_zero 0
	.end_amdhsa_kernel
	.section	.text._ZN7rocprim17ROCPRIM_400000_NS6detail17trampoline_kernelINS0_14default_configENS1_20scan_config_selectorIxEEZZNS1_9scan_implILNS1_25lookback_scan_determinismE0ELb0ELb0ES3_N6thrust23THRUST_200600_302600_NS6detail15normal_iteratorINS9_10device_ptrIxEEEESE_xNS9_4plusIvEExEEDaPvRmT3_T4_T5_mT6_P12ihipStream_tbENKUlT_T0_E_clISt17integral_constantIbLb0EEST_IbLb1EEEEDaSP_SQ_EUlSP_E_NS1_11comp_targetILNS1_3genE5ELNS1_11target_archE942ELNS1_3gpuE9ELNS1_3repE0EEENS1_30default_config_static_selectorELNS0_4arch9wavefront6targetE1EEEvT1_,"axG",@progbits,_ZN7rocprim17ROCPRIM_400000_NS6detail17trampoline_kernelINS0_14default_configENS1_20scan_config_selectorIxEEZZNS1_9scan_implILNS1_25lookback_scan_determinismE0ELb0ELb0ES3_N6thrust23THRUST_200600_302600_NS6detail15normal_iteratorINS9_10device_ptrIxEEEESE_xNS9_4plusIvEExEEDaPvRmT3_T4_T5_mT6_P12ihipStream_tbENKUlT_T0_E_clISt17integral_constantIbLb0EEST_IbLb1EEEEDaSP_SQ_EUlSP_E_NS1_11comp_targetILNS1_3genE5ELNS1_11target_archE942ELNS1_3gpuE9ELNS1_3repE0EEENS1_30default_config_static_selectorELNS0_4arch9wavefront6targetE1EEEvT1_,comdat
.Lfunc_end70:
	.size	_ZN7rocprim17ROCPRIM_400000_NS6detail17trampoline_kernelINS0_14default_configENS1_20scan_config_selectorIxEEZZNS1_9scan_implILNS1_25lookback_scan_determinismE0ELb0ELb0ES3_N6thrust23THRUST_200600_302600_NS6detail15normal_iteratorINS9_10device_ptrIxEEEESE_xNS9_4plusIvEExEEDaPvRmT3_T4_T5_mT6_P12ihipStream_tbENKUlT_T0_E_clISt17integral_constantIbLb0EEST_IbLb1EEEEDaSP_SQ_EUlSP_E_NS1_11comp_targetILNS1_3genE5ELNS1_11target_archE942ELNS1_3gpuE9ELNS1_3repE0EEENS1_30default_config_static_selectorELNS0_4arch9wavefront6targetE1EEEvT1_, .Lfunc_end70-_ZN7rocprim17ROCPRIM_400000_NS6detail17trampoline_kernelINS0_14default_configENS1_20scan_config_selectorIxEEZZNS1_9scan_implILNS1_25lookback_scan_determinismE0ELb0ELb0ES3_N6thrust23THRUST_200600_302600_NS6detail15normal_iteratorINS9_10device_ptrIxEEEESE_xNS9_4plusIvEExEEDaPvRmT3_T4_T5_mT6_P12ihipStream_tbENKUlT_T0_E_clISt17integral_constantIbLb0EEST_IbLb1EEEEDaSP_SQ_EUlSP_E_NS1_11comp_targetILNS1_3genE5ELNS1_11target_archE942ELNS1_3gpuE9ELNS1_3repE0EEENS1_30default_config_static_selectorELNS0_4arch9wavefront6targetE1EEEvT1_
                                        ; -- End function
	.section	.AMDGPU.csdata,"",@progbits
; Kernel info:
; codeLenInByte = 0
; NumSgprs: 4
; NumVgprs: 0
; NumAgprs: 0
; TotalNumVgprs: 0
; ScratchSize: 0
; MemoryBound: 0
; FloatMode: 240
; IeeeMode: 1
; LDSByteSize: 0 bytes/workgroup (compile time only)
; SGPRBlocks: 0
; VGPRBlocks: 0
; NumSGPRsForWavesPerEU: 4
; NumVGPRsForWavesPerEU: 1
; AccumOffset: 4
; Occupancy: 8
; WaveLimiterHint : 0
; COMPUTE_PGM_RSRC2:SCRATCH_EN: 0
; COMPUTE_PGM_RSRC2:USER_SGPR: 6
; COMPUTE_PGM_RSRC2:TRAP_HANDLER: 0
; COMPUTE_PGM_RSRC2:TGID_X_EN: 1
; COMPUTE_PGM_RSRC2:TGID_Y_EN: 0
; COMPUTE_PGM_RSRC2:TGID_Z_EN: 0
; COMPUTE_PGM_RSRC2:TIDIG_COMP_CNT: 0
; COMPUTE_PGM_RSRC3_GFX90A:ACCUM_OFFSET: 0
; COMPUTE_PGM_RSRC3_GFX90A:TG_SPLIT: 0
	.section	.text._ZN7rocprim17ROCPRIM_400000_NS6detail17trampoline_kernelINS0_14default_configENS1_20scan_config_selectorIxEEZZNS1_9scan_implILNS1_25lookback_scan_determinismE0ELb0ELb0ES3_N6thrust23THRUST_200600_302600_NS6detail15normal_iteratorINS9_10device_ptrIxEEEESE_xNS9_4plusIvEExEEDaPvRmT3_T4_T5_mT6_P12ihipStream_tbENKUlT_T0_E_clISt17integral_constantIbLb0EEST_IbLb1EEEEDaSP_SQ_EUlSP_E_NS1_11comp_targetILNS1_3genE4ELNS1_11target_archE910ELNS1_3gpuE8ELNS1_3repE0EEENS1_30default_config_static_selectorELNS0_4arch9wavefront6targetE1EEEvT1_,"axG",@progbits,_ZN7rocprim17ROCPRIM_400000_NS6detail17trampoline_kernelINS0_14default_configENS1_20scan_config_selectorIxEEZZNS1_9scan_implILNS1_25lookback_scan_determinismE0ELb0ELb0ES3_N6thrust23THRUST_200600_302600_NS6detail15normal_iteratorINS9_10device_ptrIxEEEESE_xNS9_4plusIvEExEEDaPvRmT3_T4_T5_mT6_P12ihipStream_tbENKUlT_T0_E_clISt17integral_constantIbLb0EEST_IbLb1EEEEDaSP_SQ_EUlSP_E_NS1_11comp_targetILNS1_3genE4ELNS1_11target_archE910ELNS1_3gpuE8ELNS1_3repE0EEENS1_30default_config_static_selectorELNS0_4arch9wavefront6targetE1EEEvT1_,comdat
	.protected	_ZN7rocprim17ROCPRIM_400000_NS6detail17trampoline_kernelINS0_14default_configENS1_20scan_config_selectorIxEEZZNS1_9scan_implILNS1_25lookback_scan_determinismE0ELb0ELb0ES3_N6thrust23THRUST_200600_302600_NS6detail15normal_iteratorINS9_10device_ptrIxEEEESE_xNS9_4plusIvEExEEDaPvRmT3_T4_T5_mT6_P12ihipStream_tbENKUlT_T0_E_clISt17integral_constantIbLb0EEST_IbLb1EEEEDaSP_SQ_EUlSP_E_NS1_11comp_targetILNS1_3genE4ELNS1_11target_archE910ELNS1_3gpuE8ELNS1_3repE0EEENS1_30default_config_static_selectorELNS0_4arch9wavefront6targetE1EEEvT1_ ; -- Begin function _ZN7rocprim17ROCPRIM_400000_NS6detail17trampoline_kernelINS0_14default_configENS1_20scan_config_selectorIxEEZZNS1_9scan_implILNS1_25lookback_scan_determinismE0ELb0ELb0ES3_N6thrust23THRUST_200600_302600_NS6detail15normal_iteratorINS9_10device_ptrIxEEEESE_xNS9_4plusIvEExEEDaPvRmT3_T4_T5_mT6_P12ihipStream_tbENKUlT_T0_E_clISt17integral_constantIbLb0EEST_IbLb1EEEEDaSP_SQ_EUlSP_E_NS1_11comp_targetILNS1_3genE4ELNS1_11target_archE910ELNS1_3gpuE8ELNS1_3repE0EEENS1_30default_config_static_selectorELNS0_4arch9wavefront6targetE1EEEvT1_
	.globl	_ZN7rocprim17ROCPRIM_400000_NS6detail17trampoline_kernelINS0_14default_configENS1_20scan_config_selectorIxEEZZNS1_9scan_implILNS1_25lookback_scan_determinismE0ELb0ELb0ES3_N6thrust23THRUST_200600_302600_NS6detail15normal_iteratorINS9_10device_ptrIxEEEESE_xNS9_4plusIvEExEEDaPvRmT3_T4_T5_mT6_P12ihipStream_tbENKUlT_T0_E_clISt17integral_constantIbLb0EEST_IbLb1EEEEDaSP_SQ_EUlSP_E_NS1_11comp_targetILNS1_3genE4ELNS1_11target_archE910ELNS1_3gpuE8ELNS1_3repE0EEENS1_30default_config_static_selectorELNS0_4arch9wavefront6targetE1EEEvT1_
	.p2align	8
	.type	_ZN7rocprim17ROCPRIM_400000_NS6detail17trampoline_kernelINS0_14default_configENS1_20scan_config_selectorIxEEZZNS1_9scan_implILNS1_25lookback_scan_determinismE0ELb0ELb0ES3_N6thrust23THRUST_200600_302600_NS6detail15normal_iteratorINS9_10device_ptrIxEEEESE_xNS9_4plusIvEExEEDaPvRmT3_T4_T5_mT6_P12ihipStream_tbENKUlT_T0_E_clISt17integral_constantIbLb0EEST_IbLb1EEEEDaSP_SQ_EUlSP_E_NS1_11comp_targetILNS1_3genE4ELNS1_11target_archE910ELNS1_3gpuE8ELNS1_3repE0EEENS1_30default_config_static_selectorELNS0_4arch9wavefront6targetE1EEEvT1_,@function
_ZN7rocprim17ROCPRIM_400000_NS6detail17trampoline_kernelINS0_14default_configENS1_20scan_config_selectorIxEEZZNS1_9scan_implILNS1_25lookback_scan_determinismE0ELb0ELb0ES3_N6thrust23THRUST_200600_302600_NS6detail15normal_iteratorINS9_10device_ptrIxEEEESE_xNS9_4plusIvEExEEDaPvRmT3_T4_T5_mT6_P12ihipStream_tbENKUlT_T0_E_clISt17integral_constantIbLb0EEST_IbLb1EEEEDaSP_SQ_EUlSP_E_NS1_11comp_targetILNS1_3genE4ELNS1_11target_archE910ELNS1_3gpuE8ELNS1_3repE0EEENS1_30default_config_static_selectorELNS0_4arch9wavefront6targetE1EEEvT1_: ; @_ZN7rocprim17ROCPRIM_400000_NS6detail17trampoline_kernelINS0_14default_configENS1_20scan_config_selectorIxEEZZNS1_9scan_implILNS1_25lookback_scan_determinismE0ELb0ELb0ES3_N6thrust23THRUST_200600_302600_NS6detail15normal_iteratorINS9_10device_ptrIxEEEESE_xNS9_4plusIvEExEEDaPvRmT3_T4_T5_mT6_P12ihipStream_tbENKUlT_T0_E_clISt17integral_constantIbLb0EEST_IbLb1EEEEDaSP_SQ_EUlSP_E_NS1_11comp_targetILNS1_3genE4ELNS1_11target_archE910ELNS1_3gpuE8ELNS1_3repE0EEENS1_30default_config_static_selectorELNS0_4arch9wavefront6targetE1EEEvT1_
; %bb.0:
	s_load_dwordx2 s[10:11], s[4:5], 0x30
	v_cmp_ne_u32_e64 s[0:1], 0, v0
	v_cmp_eq_u32_e64 s[2:3], 0, v0
	s_and_saveexec_b64 s[6:7], s[2:3]
	s_cbranch_execz .LBB71_4
; %bb.1:
	s_mov_b64 s[12:13], exec
	v_mbcnt_lo_u32_b32 v1, s12, 0
	v_mbcnt_hi_u32_b32 v1, s13, v1
	v_cmp_eq_u32_e32 vcc, 0, v1
                                        ; implicit-def: $vgpr2
	s_and_saveexec_b64 s[8:9], vcc
	s_cbranch_execz .LBB71_3
; %bb.2:
	s_load_dwordx2 s[14:15], s[4:5], 0x60
	s_bcnt1_i32_b64 s12, s[12:13]
	v_mov_b32_e32 v2, 0
	v_mov_b32_e32 v3, s12
	s_waitcnt lgkmcnt(0)
	global_atomic_add v2, v2, v3, s[14:15] glc
.LBB71_3:
	s_or_b64 exec, exec, s[8:9]
	s_waitcnt vmcnt(0)
	v_readfirstlane_b32 s8, v2
	v_add_u32_e32 v1, s8, v1
	v_mov_b32_e32 v2, 0
	ds_write_b32 v2, v1
.LBB71_4:
	s_or_b64 exec, exec, s[6:7]
	s_load_dwordx8 s[20:27], s[4:5], 0x0
	s_load_dword s6, s[4:5], 0x38
	s_load_dwordx8 s[12:19], s[4:5], 0x40
	v_mov_b32_e32 v1, 0
	s_waitcnt lgkmcnt(0)
	s_barrier
	ds_read_b32 v1, v1
	s_lshl_b64 s[22:23], s[22:23], 3
	s_add_u32 s7, s20, s22
	s_addc_u32 s8, s21, s23
	s_add_i32 s6, s6, -1
	s_mul_i32 s9, s6, 0x380
	s_sub_u32 s30, s26, s9
	s_waitcnt lgkmcnt(0)
	v_readfirstlane_b32 s33, v1
	s_subb_u32 s31, s27, 0
	s_mul_i32 s4, s33, 0x380
	s_mov_b32 s5, 0
	s_cmp_lg_u32 s33, s6
	s_cselect_b64 s[20:21], -1, 0
	s_lshl_b64 s[26:27], s[4:5], 3
	s_add_u32 s6, s7, s26
	s_addc_u32 s7, s8, s27
	s_mov_b64 s[4:5], -1
	s_and_b64 vcc, exec, s[20:21]
	v_lshlrev_b32_e32 v36, 3, v0
	s_barrier
	s_cbranch_vccz .LBB71_6
; %bb.5:
	v_mov_b32_e32 v1, s7
	v_add_co_u32_e32 v2, vcc, s6, v36
	v_addc_co_u32_e32 v3, vcc, 0, v1, vcc
	flat_load_dwordx2 v[4:5], v[2:3]
	flat_load_dwordx2 v[6:7], v[2:3] offset:1024
	flat_load_dwordx2 v[8:9], v[2:3] offset:2048
	;; [unrolled: 1-line block ×3, first 2 shown]
	v_add_co_u32_e32 v2, vcc, 0x1000, v2
	v_addc_co_u32_e32 v3, vcc, 0, v3, vcc
	flat_load_dwordx2 v[12:13], v[2:3]
	flat_load_dwordx2 v[14:15], v[2:3] offset:1024
	flat_load_dwordx2 v[16:17], v[2:3] offset:2048
	s_mov_b64 s[4:5], 0
	s_waitcnt vmcnt(0) lgkmcnt(0)
	ds_write2st64_b64 v36, v[4:5], v[6:7] offset1:2
	ds_write2st64_b64 v36, v[8:9], v[10:11] offset0:4 offset1:6
	ds_write2st64_b64 v36, v[12:13], v[14:15] offset0:8 offset1:10
	ds_write_b64 v36, v[16:17] offset:6144
	s_waitcnt lgkmcnt(0)
	s_barrier
.LBB71_6:
	s_andn2_b64 vcc, exec, s[4:5]
	v_cmp_gt_u32_e64 s[4:5], s30, v0
	s_cbranch_vccnz .LBB71_22
; %bb.7:
	v_pk_mov_b32 v[2:3], s[6:7], s[6:7] op_sel:[0,1]
	flat_load_dwordx2 v[2:3], v[2:3]
	s_waitcnt vmcnt(0) lgkmcnt(0)
	v_mov_b32_e32 v4, v2
	v_mov_b32_e32 v5, v3
	;; [unrolled: 1-line block ×10, first 2 shown]
	v_pk_mov_b32 v[18:19], v[14:15], v[14:15] op_sel:[0,1]
	v_pk_mov_b32 v[16:17], v[12:13], v[12:13] op_sel:[0,1]
	;; [unrolled: 1-line block ×8, first 2 shown]
	s_and_saveexec_b64 s[8:9], s[4:5]
	s_cbranch_execz .LBB71_9
; %bb.8:
	v_mov_b32_e32 v1, s7
	v_add_co_u32_e32 v4, vcc, s6, v36
	v_addc_co_u32_e32 v5, vcc, 0, v1, vcc
	flat_load_dwordx2 v[20:21], v[4:5]
	v_mov_b32_e32 v4, v2
	v_mov_b32_e32 v5, v3
	;; [unrolled: 1-line block ×10, first 2 shown]
	v_pk_mov_b32 v[18:19], v[14:15], v[14:15] op_sel:[0,1]
	v_pk_mov_b32 v[16:17], v[12:13], v[12:13] op_sel:[0,1]
	;; [unrolled: 1-line block ×8, first 2 shown]
	s_waitcnt vmcnt(0) lgkmcnt(0)
	v_pk_mov_b32 v[2:3], v[20:21], v[20:21] op_sel:[0,1]
.LBB71_9:
	s_or_b64 exec, exec, s[8:9]
	v_or_b32_e32 v1, 0x80, v0
	v_cmp_gt_u32_e32 vcc, s30, v1
	s_and_saveexec_b64 s[4:5], vcc
	s_cbranch_execz .LBB71_11
; %bb.10:
	v_mov_b32_e32 v1, s7
	v_add_co_u32_e32 v4, vcc, s6, v36
	v_addc_co_u32_e32 v5, vcc, 0, v1, vcc
	flat_load_dwordx2 v[6:7], v[4:5] offset:1024
.LBB71_11:
	s_or_b64 exec, exec, s[4:5]
	v_or_b32_e32 v1, 0x100, v0
	v_cmp_gt_u32_e32 vcc, s30, v1
	s_and_saveexec_b64 s[4:5], vcc
	s_cbranch_execz .LBB71_13
; %bb.12:
	v_mov_b32_e32 v1, s7
	v_add_co_u32_e32 v4, vcc, s6, v36
	v_addc_co_u32_e32 v5, vcc, 0, v1, vcc
	flat_load_dwordx2 v[8:9], v[4:5] offset:2048
.LBB71_13:
	;; [unrolled: 11-line block ×3, first 2 shown]
	s_or_b64 exec, exec, s[4:5]
	v_or_b32_e32 v1, 0x200, v0
	v_cmp_gt_u32_e32 vcc, s30, v1
	s_and_saveexec_b64 s[4:5], vcc
	s_cbranch_execz .LBB71_17
; %bb.16:
	v_lshlrev_b32_e32 v1, 3, v1
	v_mov_b32_e32 v5, s7
	v_add_co_u32_e32 v4, vcc, s6, v1
	v_addc_co_u32_e32 v5, vcc, 0, v5, vcc
	flat_load_dwordx2 v[12:13], v[4:5]
.LBB71_17:
	s_or_b64 exec, exec, s[4:5]
	v_or_b32_e32 v1, 0x280, v0
	v_cmp_gt_u32_e32 vcc, s30, v1
	s_and_saveexec_b64 s[4:5], vcc
	s_cbranch_execz .LBB71_19
; %bb.18:
	v_lshlrev_b32_e32 v1, 3, v1
	v_mov_b32_e32 v5, s7
	v_add_co_u32_e32 v4, vcc, s6, v1
	v_addc_co_u32_e32 v5, vcc, 0, v5, vcc
	flat_load_dwordx2 v[14:15], v[4:5]
.LBB71_19:
	;; [unrolled: 12-line block ×3, first 2 shown]
	s_or_b64 exec, exec, s[4:5]
	s_waitcnt vmcnt(0) lgkmcnt(0)
	ds_write2st64_b64 v36, v[2:3], v[6:7] offset1:2
	ds_write2st64_b64 v36, v[8:9], v[10:11] offset0:4 offset1:6
	ds_write2st64_b64 v36, v[12:13], v[14:15] offset0:8 offset1:10
	ds_write_b64 v36, v[16:17] offset:6144
	s_waitcnt lgkmcnt(0)
	s_barrier
.LBB71_22:
	v_mul_u32_u24_e32 v37, 7, v0
	v_lshlrev_b32_e32 v1, 3, v37
	ds_read2_b64 v[2:5], v1 offset1:1
	ds_read2_b64 v[10:13], v1 offset0:2 offset1:3
	ds_read2_b64 v[6:9], v1 offset0:4 offset1:5
	ds_read_b64 v[28:29], v1 offset:48
	s_cmp_lg_u32 s33, 0
	v_lshrrev_b32_e32 v38, 5, v0
	v_cmp_gt_u32_e32 vcc, 64, v0
	s_waitcnt lgkmcnt(0)
	s_barrier
	s_cbranch_scc0 .LBB71_49
; %bb.23:
	v_add_co_u32_e64 v1, s[4:5], v4, v2
	v_addc_co_u32_e64 v14, s[4:5], v5, v3, s[4:5]
	v_add_co_u32_e64 v1, s[4:5], v1, v10
	v_addc_co_u32_e64 v14, s[4:5], v14, v11, s[4:5]
	v_add_co_u32_e64 v1, s[4:5], v1, v12
	v_addc_co_u32_e64 v14, s[4:5], v14, v13, s[4:5]
	v_add_co_u32_e64 v1, s[4:5], v1, v6
	v_addc_co_u32_e64 v14, s[4:5], v14, v7, s[4:5]
	v_add_co_u32_e64 v1, s[4:5], v1, v8
	v_addc_co_u32_e64 v14, s[4:5], v14, v9, s[4:5]
	v_add_co_u32_e64 v18, s[4:5], v1, v28
	v_addc_co_u32_e64 v19, s[4:5], v14, v29, s[4:5]
	v_add_lshl_u32 v1, v38, v0, 3
	ds_write_b64 v1, v[18:19]
	s_waitcnt lgkmcnt(0)
	s_barrier
	s_and_saveexec_b64 s[8:9], vcc
	s_cbranch_execz .LBB71_27
; %bb.24:
	v_lshlrev_b32_e32 v1, 1, v0
	v_lshrrev_b32_e32 v14, 4, v0
	v_add_lshl_u32 v20, v14, v1, 3
	ds_read2_b64 v[14:17], v20 offset1:1
	v_mbcnt_lo_u32_b32 v1, -1, 0
	s_waitcnt lgkmcnt(0)
	v_add_co_u32_e64 v21, s[4:5], v16, v14
	v_addc_co_u32_e64 v22, s[4:5], v17, v15, s[4:5]
	s_nop 0
	v_mov_b32_dpp v16, v21 row_shr:1 row_mask:0xf bank_mask:0xf
	v_add_co_u32_e64 v16, s[4:5], v21, v16
	v_addc_co_u32_e64 v24, s[4:5], 0, v22, s[4:5]
	v_mbcnt_hi_u32_b32 v17, -1, v1
	v_mov_b32_dpp v23, v22 row_shr:1 row_mask:0xf bank_mask:0xf
	v_add_co_u32_e64 v25, s[4:5], 0, v16
	v_and_b32_e32 v1, 15, v17
	v_addc_co_u32_e64 v23, s[4:5], v23, v24, s[4:5]
	v_cmp_eq_u32_e64 s[4:5], 0, v1
	v_cndmask_b32_e64 v16, v16, v21, s[4:5]
	v_cndmask_b32_e64 v23, v23, v22, s[4:5]
	v_cndmask_b32_e64 v24, v25, v21, s[4:5]
	v_mov_b32_dpp v25, v16 row_shr:2 row_mask:0xf bank_mask:0xf
	v_mov_b32_dpp v26, v23 row_shr:2 row_mask:0xf bank_mask:0xf
	v_add_co_u32_e64 v25, s[4:5], v25, v24
	v_addc_co_u32_e64 v26, s[4:5], v26, v23, s[4:5]
	v_cmp_lt_u32_e64 s[4:5], 1, v1
	v_cndmask_b32_e64 v16, v16, v25, s[4:5]
	v_cndmask_b32_e64 v23, v23, v26, s[4:5]
	v_cndmask_b32_e64 v24, v24, v25, s[4:5]
	v_mov_b32_dpp v25, v16 row_shr:4 row_mask:0xf bank_mask:0xf
	v_mov_b32_dpp v26, v23 row_shr:4 row_mask:0xf bank_mask:0xf
	v_add_co_u32_e64 v25, s[4:5], v25, v24
	v_addc_co_u32_e64 v26, s[4:5], v26, v23, s[4:5]
	v_cmp_lt_u32_e64 s[4:5], 3, v1
	;; [unrolled: 8-line block ×3, first 2 shown]
	v_cndmask_b32_e64 v27, v16, v25, s[4:5]
	v_cndmask_b32_e64 v1, v23, v26, s[4:5]
	;; [unrolled: 1-line block ×3, first 2 shown]
	v_mov_b32_dpp v23, v27 row_bcast:15 row_mask:0xf bank_mask:0xf
	v_mov_b32_dpp v24, v1 row_bcast:15 row_mask:0xf bank_mask:0xf
	v_add_co_u32_e64 v23, s[4:5], v23, v16
	v_and_b32_e32 v26, 16, v17
	v_addc_co_u32_e64 v25, s[4:5], v24, v1, s[4:5]
	v_cmp_eq_u32_e64 s[4:5], 0, v26
	v_cndmask_b32_e64 v26, v25, v1, s[4:5]
	v_cndmask_b32_e64 v24, v23, v27, s[4:5]
	v_cmp_ne_u32_e64 s[6:7], 0, v17
	v_mov_b32_dpp v26, v26 row_bcast:31 row_mask:0xf bank_mask:0xf
	v_mov_b32_dpp v24, v24 row_bcast:31 row_mask:0xf bank_mask:0xf
	s_and_saveexec_b64 s[28:29], s[6:7]
; %bb.25:
	v_cndmask_b32_e64 v1, v25, v1, s[4:5]
	v_cndmask_b32_e64 v16, v23, v16, s[4:5]
	v_cmp_lt_u32_e64 s[4:5], 31, v17
	v_cndmask_b32_e64 v21, 0, v24, s[4:5]
	v_cndmask_b32_e64 v22, 0, v26, s[4:5]
	v_add_co_u32_e64 v21, s[4:5], v21, v16
	v_addc_co_u32_e64 v22, s[4:5], v22, v1, s[4:5]
; %bb.26:
	s_or_b64 exec, exec, s[28:29]
	v_add_u32_e32 v1, -1, v17
	v_and_b32_e32 v16, 64, v17
	v_cmp_lt_i32_e64 s[4:5], v1, v16
	v_cndmask_b32_e64 v1, v1, v17, s[4:5]
	v_lshlrev_b32_e32 v1, 2, v1
	ds_bpermute_b32 v16, v1, v21
	ds_bpermute_b32 v1, v1, v22
	; wave barrier
	s_waitcnt lgkmcnt(1)
	v_add_co_u32_e64 v14, s[4:5], v14, v16
	v_addc_co_u32_e64 v15, s[4:5], 0, v15, s[4:5]
	v_add_co_u32_e64 v14, s[4:5], 0, v14
	s_waitcnt lgkmcnt(0)
	v_addc_co_u32_e64 v1, s[4:5], v15, v1, s[4:5]
	v_cndmask_b32_e64 v15, v1, v19, s[2:3]
	v_cndmask_b32_e64 v14, v14, v18, s[2:3]
	ds_write_b64 v20, v[14:15]
	; wave barrier
	ds_read_b64 v[16:17], v20 offset:8
	s_waitcnt lgkmcnt(0)
	v_add_co_u32_e64 v14, s[4:5], v16, v14
	v_addc_co_u32_e64 v15, s[4:5], v17, v15, s[4:5]
	ds_write_b64 v20, v[14:15] offset:8
.LBB71_27:
	s_or_b64 exec, exec, s[8:9]
	v_pk_mov_b32 v[22:23], 0, 0
	s_waitcnt lgkmcnt(0)
	s_barrier
	s_and_saveexec_b64 s[4:5], s[0:1]
	s_cbranch_execz .LBB71_29
; %bb.28:
	v_add_u32_e32 v1, -1, v0
	v_lshrrev_b32_e32 v14, 5, v1
	v_add_lshl_u32 v1, v14, v1, 3
	ds_read_b64 v[22:23], v1
.LBB71_29:
	s_or_b64 exec, exec, s[4:5]
	s_and_saveexec_b64 s[28:29], vcc
	s_cbranch_execz .LBB71_48
; %bb.30:
	v_mov_b32_e32 v17, 0
	ds_read_b64 v[14:15], v17 offset:1040
	v_mbcnt_lo_u32_b32 v1, -1, 0
	v_mbcnt_hi_u32_b32 v30, -1, v1
	s_mov_b32 s9, 0
	v_cmp_eq_u32_e64 s[4:5], 0, v30
	s_and_saveexec_b64 s[6:7], s[4:5]
	s_cbranch_execz .LBB71_32
; %bb.31:
	s_add_i32 s8, s33, 64
	s_lshl_b64 s[8:9], s[8:9], 4
	s_add_u32 s8, s10, s8
	s_addc_u32 s9, s11, s9
	v_mov_b32_e32 v16, 1
	v_pk_mov_b32 v[18:19], s[8:9], s[8:9] op_sel:[0,1]
	s_waitcnt lgkmcnt(0)
	;;#ASMSTART
	global_store_dwordx4 v[18:19], v[14:17] off	
s_waitcnt vmcnt(0)
	;;#ASMEND
.LBB71_32:
	s_or_b64 exec, exec, s[6:7]
	v_xad_u32 v24, v30, -1, s33
	v_add_u32_e32 v16, 64, v24
	v_lshlrev_b64 v[18:19], 4, v[16:17]
	v_mov_b32_e32 v1, s11
	v_add_co_u32_e32 v26, vcc, s10, v18
	v_addc_co_u32_e32 v27, vcc, v1, v19, vcc
	;;#ASMSTART
	global_load_dwordx4 v[18:21], v[26:27] off glc	
s_waitcnt vmcnt(0)
	;;#ASMEND
	v_and_b32_e32 v1, 0xff, v19
	v_and_b32_e32 v16, 0xff00, v19
	v_or3_b32 v1, 0, v1, v16
	v_or3_b32 v16, v18, 0, 0
	v_and_b32_e32 v18, 0xff000000, v19
	v_and_b32_e32 v19, 0xff0000, v19
	v_or3_b32 v19, v1, v19, v18
	v_or3_b32 v18, v16, 0, 0
	v_cmp_eq_u16_sdwa s[8:9], v20, v17 src0_sel:BYTE_0 src1_sel:DWORD
	s_and_saveexec_b64 s[6:7], s[8:9]
	s_cbranch_execz .LBB71_36
; %bb.33:
	s_mov_b64 s[8:9], 0
	v_mov_b32_e32 v1, 0
.LBB71_34:                              ; =>This Inner Loop Header: Depth=1
	;;#ASMSTART
	global_load_dwordx4 v[18:21], v[26:27] off glc	
s_waitcnt vmcnt(0)
	;;#ASMEND
	v_cmp_ne_u16_sdwa s[34:35], v20, v1 src0_sel:BYTE_0 src1_sel:DWORD
	s_or_b64 s[8:9], s[34:35], s[8:9]
	s_andn2_b64 exec, exec, s[8:9]
	s_cbranch_execnz .LBB71_34
; %bb.35:
	s_or_b64 exec, exec, s[8:9]
.LBB71_36:
	s_or_b64 exec, exec, s[6:7]
	v_and_b32_e32 v32, 63, v30
	v_cmp_ne_u32_e32 vcc, 63, v32
	v_addc_co_u32_e32 v26, vcc, 0, v30, vcc
	v_lshlrev_b32_e32 v33, 2, v26
	ds_bpermute_b32 v26, v33, v18
	v_mov_b32_e32 v1, 2
	v_cmp_eq_u16_sdwa s[6:7], v20, v1 src0_sel:BYTE_0 src1_sel:DWORD
	v_lshlrev_b64 v[16:17], v30, -1
	ds_bpermute_b32 v27, v33, v19
	v_and_b32_e32 v21, s7, v17
	v_or_b32_e32 v21, 0x80000000, v21
	s_waitcnt lgkmcnt(1)
	v_add_co_u32_e32 v26, vcc, v18, v26
	v_and_b32_e32 v25, s6, v16
	v_ffbl_b32_e32 v21, v21
	v_addc_co_u32_e32 v31, vcc, 0, v19, vcc
	v_add_u32_e32 v21, 32, v21
	v_ffbl_b32_e32 v25, v25
	v_add_co_u32_e32 v35, vcc, 0, v26
	v_cmp_gt_u32_e64 s[6:7], 62, v32
	v_min_u32_e32 v21, v25, v21
	s_waitcnt lgkmcnt(0)
	v_addc_co_u32_e32 v27, vcc, v27, v31, vcc
	v_cndmask_b32_e64 v31, 0, 1, s[6:7]
	v_cmp_lt_u32_e32 vcc, v32, v21
	v_lshlrev_b32_e32 v31, 1, v31
	v_cndmask_b32_e32 v26, v18, v26, vcc
	v_add_lshl_u32 v34, v31, v30, 2
	v_cndmask_b32_e32 v27, v19, v27, vcc
	ds_bpermute_b32 v31, v34, v26
	ds_bpermute_b32 v39, v34, v27
	v_cndmask_b32_e32 v40, v18, v35, vcc
	v_add_u32_e32 v35, 2, v32
	v_cmp_gt_u32_e64 s[8:9], 60, v32
	s_waitcnt lgkmcnt(1)
	v_add_co_u32_e64 v31, s[6:7], v31, v40
	s_waitcnt lgkmcnt(0)
	v_addc_co_u32_e64 v39, s[6:7], v39, v27, s[6:7]
	v_cmp_gt_u32_e64 s[6:7], v35, v21
	v_cndmask_b32_e64 v27, v39, v27, s[6:7]
	v_cndmask_b32_e64 v39, 0, 1, s[8:9]
	v_lshlrev_b32_e32 v39, 2, v39
	v_cndmask_b32_e64 v26, v31, v26, s[6:7]
	v_add_lshl_u32 v39, v39, v30, 2
	ds_bpermute_b32 v41, v39, v26
	ds_bpermute_b32 v42, v39, v27
	v_cndmask_b32_e64 v31, v31, v40, s[6:7]
	v_add_u32_e32 v40, 4, v32
	v_cmp_gt_u32_e64 s[8:9], 56, v32
	s_waitcnt lgkmcnt(1)
	v_add_co_u32_e64 v43, s[6:7], v41, v31
	s_waitcnt lgkmcnt(0)
	v_addc_co_u32_e64 v41, s[6:7], v42, v27, s[6:7]
	v_cmp_gt_u32_e64 s[6:7], v40, v21
	v_cndmask_b32_e64 v27, v41, v27, s[6:7]
	v_cndmask_b32_e64 v41, 0, 1, s[8:9]
	v_lshlrev_b32_e32 v41, 3, v41
	v_cndmask_b32_e64 v26, v43, v26, s[6:7]
	v_add_lshl_u32 v41, v41, v30, 2
	ds_bpermute_b32 v44, v41, v26
	v_cndmask_b32_e64 v31, v43, v31, s[6:7]
	ds_bpermute_b32 v43, v41, v27
	v_add_u32_e32 v42, 8, v32
	v_cmp_gt_u32_e64 s[8:9], 48, v32
	s_waitcnt lgkmcnt(1)
	v_add_co_u32_e64 v44, s[6:7], v44, v31
	s_waitcnt lgkmcnt(0)
	v_addc_co_u32_e64 v43, s[6:7], v43, v27, s[6:7]
	v_cmp_gt_u32_e64 s[6:7], v42, v21
	v_cndmask_b32_e64 v27, v43, v27, s[6:7]
	v_cndmask_b32_e64 v43, 0, 1, s[8:9]
	v_lshlrev_b32_e32 v43, 4, v43
	v_cndmask_b32_e64 v26, v44, v26, s[6:7]
	v_add_lshl_u32 v43, v43, v30, 2
	ds_bpermute_b32 v45, v43, v26
	ds_bpermute_b32 v46, v43, v27
	v_cndmask_b32_e64 v31, v44, v31, s[6:7]
	v_cmp_gt_u32_e64 s[8:9], 32, v32
	v_add_u32_e32 v44, 16, v32
	s_waitcnt lgkmcnt(1)
	v_add_co_u32_e64 v47, s[6:7], v45, v31
	s_waitcnt lgkmcnt(0)
	v_addc_co_u32_e64 v46, s[6:7], v46, v27, s[6:7]
	v_cndmask_b32_e64 v45, 0, 1, s[8:9]
	v_cmp_gt_u32_e64 s[6:7], v44, v21
	v_lshlrev_b32_e32 v45, 5, v45
	v_cndmask_b32_e64 v26, v47, v26, s[6:7]
	v_add_lshl_u32 v45, v45, v30, 2
	v_cndmask_b32_e64 v27, v46, v27, s[6:7]
	ds_bpermute_b32 v26, v45, v26
	ds_bpermute_b32 v30, v45, v27
	v_add_u32_e32 v46, 32, v32
	v_cndmask_b32_e64 v31, v47, v31, s[6:7]
	v_cmp_le_u32_e64 s[6:7], v46, v21
	s_waitcnt lgkmcnt(1)
	v_cndmask_b32_e64 v26, 0, v26, s[6:7]
	s_waitcnt lgkmcnt(0)
	v_cndmask_b32_e64 v21, 0, v30, s[6:7]
	v_add_co_u32_e64 v26, s[6:7], v26, v31
	v_addc_co_u32_e64 v21, s[6:7], v21, v27, s[6:7]
	v_mov_b32_e32 v25, 0
	v_cndmask_b32_e32 v19, v19, v21, vcc
	v_cndmask_b32_e32 v18, v18, v26, vcc
	s_branch .LBB71_38
.LBB71_37:                              ;   in Loop: Header=BB71_38 Depth=1
	s_or_b64 exec, exec, s[6:7]
	v_cmp_eq_u16_sdwa s[6:7], v20, v1 src0_sel:BYTE_0 src1_sel:DWORD
	v_and_b32_e32 v21, s7, v17
	v_or_b32_e32 v21, 0x80000000, v21
	ds_bpermute_b32 v31, v33, v18
	v_and_b32_e32 v30, s6, v16
	v_ffbl_b32_e32 v21, v21
	v_add_u32_e32 v21, 32, v21
	v_ffbl_b32_e32 v30, v30
	v_min_u32_e32 v21, v30, v21
	ds_bpermute_b32 v30, v33, v19
	s_waitcnt lgkmcnt(1)
	v_add_co_u32_e32 v31, vcc, v18, v31
	v_addc_co_u32_e32 v47, vcc, 0, v19, vcc
	v_add_co_u32_e32 v48, vcc, 0, v31
	s_waitcnt lgkmcnt(0)
	v_addc_co_u32_e32 v30, vcc, v30, v47, vcc
	v_cmp_lt_u32_e32 vcc, v32, v21
	v_cndmask_b32_e32 v31, v18, v31, vcc
	ds_bpermute_b32 v47, v34, v31
	v_cndmask_b32_e32 v30, v19, v30, vcc
	ds_bpermute_b32 v49, v34, v30
	v_cndmask_b32_e32 v48, v18, v48, vcc
	v_subrev_u32_e32 v24, 64, v24
	s_waitcnt lgkmcnt(1)
	v_add_co_u32_e64 v47, s[6:7], v47, v48
	s_waitcnt lgkmcnt(0)
	v_addc_co_u32_e64 v49, s[6:7], v49, v30, s[6:7]
	v_cmp_gt_u32_e64 s[6:7], v35, v21
	v_cndmask_b32_e64 v31, v47, v31, s[6:7]
	ds_bpermute_b32 v50, v39, v31
	v_cndmask_b32_e64 v30, v49, v30, s[6:7]
	ds_bpermute_b32 v49, v39, v30
	v_cndmask_b32_e64 v47, v47, v48, s[6:7]
	s_waitcnt lgkmcnt(1)
	v_add_co_u32_e64 v48, s[6:7], v50, v47
	s_waitcnt lgkmcnt(0)
	v_addc_co_u32_e64 v49, s[6:7], v49, v30, s[6:7]
	v_cmp_gt_u32_e64 s[6:7], v40, v21
	v_cndmask_b32_e64 v31, v48, v31, s[6:7]
	ds_bpermute_b32 v50, v41, v31
	v_cndmask_b32_e64 v30, v49, v30, s[6:7]
	ds_bpermute_b32 v49, v41, v30
	v_cndmask_b32_e64 v47, v48, v47, s[6:7]
	s_waitcnt lgkmcnt(1)
	v_add_co_u32_e64 v48, s[6:7], v50, v47
	s_waitcnt lgkmcnt(0)
	v_addc_co_u32_e64 v49, s[6:7], v49, v30, s[6:7]
	v_cmp_gt_u32_e64 s[6:7], v42, v21
	v_cndmask_b32_e64 v31, v48, v31, s[6:7]
	ds_bpermute_b32 v50, v43, v31
	v_cndmask_b32_e64 v30, v49, v30, s[6:7]
	ds_bpermute_b32 v49, v43, v30
	v_cndmask_b32_e64 v47, v48, v47, s[6:7]
	s_waitcnt lgkmcnt(1)
	v_add_co_u32_e64 v48, s[6:7], v50, v47
	s_waitcnt lgkmcnt(0)
	v_addc_co_u32_e64 v49, s[6:7], v49, v30, s[6:7]
	v_cmp_gt_u32_e64 s[6:7], v44, v21
	v_cndmask_b32_e64 v31, v48, v31, s[6:7]
	v_cndmask_b32_e64 v30, v49, v30, s[6:7]
	ds_bpermute_b32 v31, v45, v31
	ds_bpermute_b32 v49, v45, v30
	v_cndmask_b32_e64 v47, v48, v47, s[6:7]
	v_cmp_le_u32_e64 s[6:7], v46, v21
	s_waitcnt lgkmcnt(1)
	v_cndmask_b32_e64 v31, 0, v31, s[6:7]
	s_waitcnt lgkmcnt(0)
	v_cndmask_b32_e64 v21, 0, v49, s[6:7]
	v_add_co_u32_e64 v31, s[6:7], v31, v47
	v_addc_co_u32_e64 v21, s[6:7], v21, v30, s[6:7]
	v_cndmask_b32_e32 v18, v18, v31, vcc
	v_cndmask_b32_e32 v19, v19, v21, vcc
	v_add_co_u32_e32 v18, vcc, v18, v26
	v_addc_co_u32_e32 v19, vcc, v19, v27, vcc
.LBB71_38:                              ; =>This Loop Header: Depth=1
                                        ;     Child Loop BB71_41 Depth 2
	v_cmp_ne_u16_sdwa s[6:7], v20, v1 src0_sel:BYTE_0 src1_sel:DWORD
	v_cndmask_b32_e64 v20, 0, 1, s[6:7]
	;;#ASMSTART
	;;#ASMEND
	v_cmp_ne_u32_e32 vcc, 0, v20
	s_cmp_lg_u64 vcc, exec
	v_pk_mov_b32 v[26:27], v[18:19], v[18:19] op_sel:[0,1]
	s_cbranch_scc1 .LBB71_43
; %bb.39:                               ;   in Loop: Header=BB71_38 Depth=1
	v_lshlrev_b64 v[18:19], 4, v[24:25]
	v_mov_b32_e32 v20, s11
	v_add_co_u32_e32 v30, vcc, s10, v18
	v_addc_co_u32_e32 v31, vcc, v20, v19, vcc
	;;#ASMSTART
	global_load_dwordx4 v[18:21], v[30:31] off glc	
s_waitcnt vmcnt(0)
	;;#ASMEND
	v_and_b32_e32 v21, 0xff, v19
	v_and_b32_e32 v47, 0xff00, v19
	v_or3_b32 v21, 0, v21, v47
	v_or3_b32 v18, v18, 0, 0
	v_and_b32_e32 v47, 0xff000000, v19
	v_and_b32_e32 v19, 0xff0000, v19
	v_or3_b32 v19, v21, v19, v47
	v_or3_b32 v18, v18, 0, 0
	v_cmp_eq_u16_sdwa s[8:9], v20, v25 src0_sel:BYTE_0 src1_sel:DWORD
	s_and_saveexec_b64 s[6:7], s[8:9]
	s_cbranch_execz .LBB71_37
; %bb.40:                               ;   in Loop: Header=BB71_38 Depth=1
	s_mov_b64 s[8:9], 0
.LBB71_41:                              ;   Parent Loop BB71_38 Depth=1
                                        ; =>  This Inner Loop Header: Depth=2
	;;#ASMSTART
	global_load_dwordx4 v[18:21], v[30:31] off glc	
s_waitcnt vmcnt(0)
	;;#ASMEND
	v_cmp_ne_u16_sdwa s[34:35], v20, v25 src0_sel:BYTE_0 src1_sel:DWORD
	s_or_b64 s[8:9], s[34:35], s[8:9]
	s_andn2_b64 exec, exec, s[8:9]
	s_cbranch_execnz .LBB71_41
; %bb.42:                               ;   in Loop: Header=BB71_38 Depth=1
	s_or_b64 exec, exec, s[8:9]
	s_branch .LBB71_37
.LBB71_43:                              ;   in Loop: Header=BB71_38 Depth=1
                                        ; implicit-def: $vgpr18_vgpr19
                                        ; implicit-def: $vgpr20
	s_cbranch_execz .LBB71_38
; %bb.44:
	s_and_saveexec_b64 s[6:7], s[4:5]
	s_cbranch_execz .LBB71_46
; %bb.45:
	s_add_i32 s4, s33, 64
	s_mov_b32 s5, 0
	s_lshl_b64 s[4:5], s[4:5], 4
	s_add_u32 s4, s10, s4
	v_add_co_u32_e32 v14, vcc, v26, v14
	s_addc_u32 s5, s11, s5
	v_addc_co_u32_e32 v15, vcc, v27, v15, vcc
	v_mov_b32_e32 v16, 2
	v_mov_b32_e32 v17, 0
	v_pk_mov_b32 v[18:19], s[4:5], s[4:5] op_sel:[0,1]
	;;#ASMSTART
	global_store_dwordx4 v[18:19], v[14:17] off	
s_waitcnt vmcnt(0)
	;;#ASMEND
.LBB71_46:
	s_or_b64 exec, exec, s[6:7]
	s_and_b64 exec, exec, s[2:3]
	s_cbranch_execz .LBB71_48
; %bb.47:
	v_mov_b32_e32 v1, 0
	ds_write_b64 v1, v[26:27]
.LBB71_48:
	s_or_b64 exec, exec, s[28:29]
	v_mov_b32_e32 v1, 0
	s_waitcnt lgkmcnt(0)
	s_barrier
	ds_read_b64 v[14:15], v1
	v_add_co_u32_e32 v1, vcc, v22, v2
	v_addc_co_u32_e32 v16, vcc, v23, v3, vcc
	s_waitcnt lgkmcnt(0)
	v_add_co_u32_e32 v24, vcc, v1, v14
	v_addc_co_u32_e32 v25, vcc, v16, v15, vcc
	v_add_co_u32_e32 v30, vcc, v24, v4
	v_addc_co_u32_e32 v31, vcc, v25, v5, vcc
	;; [unrolled: 2-line block ×7, first 2 shown]
	s_branch .LBB71_63
.LBB71_49:
                                        ; implicit-def: $vgpr22_vgpr23
                                        ; implicit-def: $vgpr34_vgpr35
                                        ; implicit-def: $vgpr32_vgpr33
                                        ; implicit-def: $vgpr30_vgpr31
                                        ; implicit-def: $vgpr18_vgpr19_vgpr20_vgpr21
                                        ; implicit-def: $vgpr14_vgpr15_vgpr16_vgpr17
                                        ; implicit-def: $vgpr24_vgpr25_vgpr26_vgpr27
	s_cbranch_execz .LBB71_63
; %bb.50:
	s_cmp_lg_u64 s[16:17], 0
	s_cselect_b64 s[4:5], -1, 0
	s_and_b64 s[6:7], s[2:3], s[4:5]
	s_and_saveexec_b64 s[4:5], s[6:7]
	s_cbranch_execz .LBB71_52
; %bb.51:
	v_mov_b32_e32 v1, 0
	global_load_dwordx2 v[14:15], v1, s[12:13]
	s_waitcnt vmcnt(0)
	v_add_co_u32_e32 v2, vcc, v14, v2
	v_addc_co_u32_e32 v3, vcc, v15, v3, vcc
.LBB71_52:
	s_or_b64 exec, exec, s[4:5]
	v_add_co_u32_e32 v30, vcc, v4, v2
	v_addc_co_u32_e32 v31, vcc, v5, v3, vcc
	v_add_co_u32_e32 v14, vcc, v30, v10
	v_addc_co_u32_e32 v15, vcc, v31, v11, vcc
	;; [unrolled: 2-line block ×6, first 2 shown]
	v_add_lshl_u32 v1, v38, v0, 3
	v_cmp_gt_u32_e32 vcc, 64, v0
	ds_write_b64 v1, v[22:23]
	s_waitcnt lgkmcnt(0)
	s_barrier
	s_and_saveexec_b64 s[6:7], vcc
	s_cbranch_execz .LBB71_56
; %bb.53:
	v_lshlrev_b32_e32 v1, 1, v0
	v_lshrrev_b32_e32 v16, 4, v0
	v_add_lshl_u32 v17, v16, v1, 3
	ds_read2_b64 v[24:27], v17 offset1:1
	v_mbcnt_lo_u32_b32 v1, -1, 0
	v_mbcnt_hi_u32_b32 v20, -1, v1
	v_and_b32_e32 v1, 15, v20
	v_cmp_ne_u32_e64 s[4:5], 0, v20
	s_waitcnt lgkmcnt(0)
	v_add_co_u32_e32 v21, vcc, v26, v24
	v_addc_co_u32_e32 v26, vcc, v27, v25, vcc
	s_nop 0
	v_mov_b32_dpp v16, v21 row_shr:1 row_mask:0xf bank_mask:0xf
	v_add_co_u32_e32 v16, vcc, v21, v16
	v_addc_co_u32_e32 v38, vcc, 0, v26, vcc
	v_mov_b32_dpp v27, v26 row_shr:1 row_mask:0xf bank_mask:0xf
	v_add_co_u32_e32 v39, vcc, 0, v16
	v_addc_co_u32_e32 v27, vcc, v27, v38, vcc
	v_cmp_eq_u32_e32 vcc, 0, v1
	v_cndmask_b32_e32 v16, v16, v21, vcc
	v_cndmask_b32_e32 v27, v27, v26, vcc
	v_cndmask_b32_e32 v38, v39, v21, vcc
	v_mov_b32_dpp v39, v16 row_shr:2 row_mask:0xf bank_mask:0xf
	v_mov_b32_dpp v40, v27 row_shr:2 row_mask:0xf bank_mask:0xf
	v_add_co_u32_e32 v39, vcc, v39, v38
	v_addc_co_u32_e32 v40, vcc, v40, v27, vcc
	v_cmp_lt_u32_e32 vcc, 1, v1
	v_cndmask_b32_e32 v16, v16, v39, vcc
	v_cndmask_b32_e32 v27, v27, v40, vcc
	v_cndmask_b32_e32 v38, v38, v39, vcc
	v_mov_b32_dpp v39, v16 row_shr:4 row_mask:0xf bank_mask:0xf
	v_mov_b32_dpp v40, v27 row_shr:4 row_mask:0xf bank_mask:0xf
	v_add_co_u32_e32 v39, vcc, v39, v38
	v_addc_co_u32_e32 v40, vcc, v40, v27, vcc
	v_cmp_lt_u32_e32 vcc, 3, v1
	;; [unrolled: 8-line block ×3, first 2 shown]
	v_cndmask_b32_e32 v41, v16, v39, vcc
	v_cndmask_b32_e32 v1, v27, v40, vcc
	;; [unrolled: 1-line block ×3, first 2 shown]
	v_mov_b32_dpp v27, v41 row_bcast:15 row_mask:0xf bank_mask:0xf
	v_mov_b32_dpp v38, v1 row_bcast:15 row_mask:0xf bank_mask:0xf
	v_add_co_u32_e32 v27, vcc, v27, v16
	v_and_b32_e32 v40, 16, v20
	v_addc_co_u32_e32 v39, vcc, v38, v1, vcc
	v_cmp_eq_u32_e32 vcc, 0, v40
	v_cndmask_b32_e32 v40, v39, v1, vcc
	v_cndmask_b32_e32 v38, v27, v41, vcc
	s_nop 0
	v_mov_b32_dpp v40, v40 row_bcast:31 row_mask:0xf bank_mask:0xf
	v_mov_b32_dpp v38, v38 row_bcast:31 row_mask:0xf bank_mask:0xf
	s_and_saveexec_b64 s[8:9], s[4:5]
; %bb.54:
	v_cndmask_b32_e32 v1, v39, v1, vcc
	v_cndmask_b32_e32 v16, v27, v16, vcc
	v_cmp_lt_u32_e32 vcc, 31, v20
	v_cndmask_b32_e32 v21, 0, v38, vcc
	v_cndmask_b32_e32 v26, 0, v40, vcc
	v_add_co_u32_e32 v21, vcc, v21, v16
	v_addc_co_u32_e32 v26, vcc, v26, v1, vcc
; %bb.55:
	s_or_b64 exec, exec, s[8:9]
	v_add_u32_e32 v1, -1, v20
	v_and_b32_e32 v16, 64, v20
	v_cmp_lt_i32_e32 vcc, v1, v16
	v_cndmask_b32_e32 v1, v1, v20, vcc
	v_lshlrev_b32_e32 v1, 2, v1
	ds_bpermute_b32 v16, v1, v21
	ds_bpermute_b32 v1, v1, v26
	; wave barrier
	s_waitcnt lgkmcnt(1)
	v_add_co_u32_e32 v16, vcc, v24, v16
	v_addc_co_u32_e32 v20, vcc, 0, v25, vcc
	v_add_co_u32_e32 v16, vcc, 0, v16
	s_waitcnt lgkmcnt(0)
	v_addc_co_u32_e32 v1, vcc, v20, v1, vcc
	v_cndmask_b32_e64 v21, v1, v23, s[2:3]
	v_cndmask_b32_e64 v20, v16, v22, s[2:3]
	ds_write_b64 v17, v[20:21]
	; wave barrier
	ds_read_b64 v[24:25], v17 offset:8
	s_waitcnt lgkmcnt(0)
	v_add_co_u32_e32 v20, vcc, v24, v20
	v_addc_co_u32_e32 v21, vcc, v25, v21, vcc
	ds_write_b64 v17, v[20:21] offset:8
.LBB71_56:
	s_or_b64 exec, exec, s[6:7]
	v_pk_mov_b32 v[16:17], v[22:23], v[22:23] op_sel:[0,1]
	s_waitcnt lgkmcnt(0)
	s_barrier
	s_and_saveexec_b64 s[2:3], s[0:1]
	s_cbranch_execz .LBB71_58
; %bb.57:
	v_add_u32_e32 v1, -1, v0
	v_lshrrev_b32_e32 v16, 5, v1
	v_add_lshl_u32 v1, v16, v1, 3
	ds_read_b64 v[16:17], v1
.LBB71_58:
	s_or_b64 exec, exec, s[2:3]
	s_and_saveexec_b64 s[2:3], s[0:1]
	s_cbranch_execz .LBB71_60
; %bb.59:
	s_waitcnt lgkmcnt(0)
	v_add_co_u32_e32 v2, vcc, v16, v2
	v_addc_co_u32_e32 v3, vcc, v17, v3, vcc
	v_add_co_u32_e32 v30, vcc, v2, v4
	v_addc_co_u32_e32 v31, vcc, v3, v5, vcc
	;; [unrolled: 2-line block ×7, first 2 shown]
	;;#ASMSTART
	;;#ASMEND
.LBB71_60:
	s_or_b64 exec, exec, s[2:3]
	s_movk_i32 s0, 0x7f
	v_cmp_eq_u32_e32 vcc, s0, v0
	s_and_saveexec_b64 s[0:1], vcc
	s_cbranch_execz .LBB71_62
; %bb.61:
	s_add_u32 s2, s10, 0x400
	s_addc_u32 s3, s11, 0
	v_mov_b32_e32 v24, 2
	v_mov_b32_e32 v25, 0
	v_pk_mov_b32 v[4:5], s[2:3], s[2:3] op_sel:[0,1]
	;;#ASMSTART
	global_store_dwordx4 v[4:5], v[22:25] off	
s_waitcnt vmcnt(0)
	;;#ASMEND
.LBB71_62:
	s_or_b64 exec, exec, s[0:1]
	v_pk_mov_b32 v[24:25], v[2:3], v[2:3] op_sel:[0,1]
.LBB71_63:
	s_add_u32 s0, s24, s22
	s_addc_u32 s1, s25, s23
	s_add_u32 s2, s0, s26
	s_addc_u32 s3, s1, s27
	s_mov_b64 s[0:1], -1
	s_and_b64 vcc, exec, s[20:21]
	v_mul_u32_u24_e32 v1, 56, v0
	s_waitcnt lgkmcnt(0)
	s_barrier
	s_cbranch_vccz .LBB71_65
; %bb.64:
	v_mul_i32_i24_e32 v2, 0xffffffd0, v0
	v_mad_u32_u24 v16, v0, 56, v2
	ds_write2_b64 v1, v[24:25], v[30:31] offset1:1
	ds_write2_b64 v1, v[14:15], v[32:33] offset0:2 offset1:3
	ds_write2_b64 v1, v[18:19], v[34:35] offset0:4 offset1:5
	ds_write_b64 v1, v[22:23] offset:48
	s_waitcnt lgkmcnt(0)
	s_barrier
	ds_read2st64_b64 v[2:5], v16 offset1:2
	ds_read2st64_b64 v[6:9], v16 offset0:4 offset1:6
	ds_read2st64_b64 v[10:13], v16 offset0:8 offset1:10
	ds_read_b64 v[16:17], v16 offset:6144
	v_mov_b32_e32 v21, s3
	v_add_co_u32_e32 v20, vcc, s2, v36
	v_addc_co_u32_e32 v21, vcc, 0, v21, vcc
	s_waitcnt lgkmcnt(3)
	flat_store_dwordx2 v[20:21], v[2:3]
	flat_store_dwordx2 v[20:21], v[4:5] offset:1024
	s_waitcnt lgkmcnt(0)
	flat_store_dwordx2 v[20:21], v[6:7] offset:2048
	flat_store_dwordx2 v[20:21], v[8:9] offset:3072
	v_add_co_u32_e32 v2, vcc, 0x1000, v20
	v_addc_co_u32_e32 v3, vcc, 0, v21, vcc
	flat_store_dwordx2 v[2:3], v[10:11]
	flat_store_dwordx2 v[2:3], v[12:13] offset:1024
	flat_store_dwordx2 v[2:3], v[16:17] offset:2048
	s_mov_b64 s[0:1], 0
.LBB71_65:
	s_andn2_b64 vcc, exec, s[0:1]
	s_cbranch_vccnz .LBB71_104
; %bb.66:
	v_mul_i32_i24_e32 v2, 0xffffffd0, v0
	ds_write2_b64 v1, v[24:25], v[30:31] offset1:1
	ds_write2_b64 v1, v[14:15], v[32:33] offset0:2 offset1:3
	ds_write2_b64 v1, v[18:19], v[34:35] offset0:4 offset1:5
	ds_write_b64 v1, v[22:23] offset:48
	v_mad_u32_u24 v14, v0, 56, v2
	s_waitcnt lgkmcnt(0)
	s_barrier
	ds_read2st64_b64 v[2:5], v14 offset1:2
	ds_read2st64_b64 v[6:9], v14 offset0:4 offset1:6
	ds_read2st64_b64 v[10:13], v14 offset0:8 offset1:10
	ds_read_b64 v[14:15], v14 offset:6144
	v_mov_b32_e32 v17, s3
	v_add_co_u32_e32 v16, vcc, s2, v36
	v_addc_co_u32_e32 v17, vcc, 0, v17, vcc
	v_mov_b32_e32 v1, 0
	v_cmp_gt_u32_e32 vcc, s30, v0
	s_and_saveexec_b64 s[0:1], vcc
	s_cbranch_execz .LBB71_68
; %bb.67:
	s_waitcnt lgkmcnt(0)
	flat_store_dwordx2 v[16:17], v[2:3]
.LBB71_68:
	s_or_b64 exec, exec, s[0:1]
	v_or_b32_e32 v18, 0x80, v0
	v_cmp_gt_u32_e32 vcc, s30, v18
	s_and_saveexec_b64 s[0:1], vcc
	s_cbranch_execz .LBB71_70
; %bb.69:
	s_waitcnt lgkmcnt(0)
	flat_store_dwordx2 v[16:17], v[4:5] offset:1024
.LBB71_70:
	s_or_b64 exec, exec, s[0:1]
	v_or_b32_e32 v18, 0x100, v0
	v_cmp_gt_u32_e32 vcc, s30, v18
	s_and_saveexec_b64 s[0:1], vcc
	s_cbranch_execz .LBB71_72
; %bb.71:
	s_waitcnt lgkmcnt(0)
	flat_store_dwordx2 v[16:17], v[6:7] offset:2048
.LBB71_72:
	;; [unrolled: 9-line block ×3, first 2 shown]
	s_or_b64 exec, exec, s[0:1]
	v_or_b32_e32 v18, 0x200, v0
	v_cmp_gt_u32_e32 vcc, s30, v18
	s_and_saveexec_b64 s[0:1], vcc
	s_cbranch_execz .LBB71_76
; %bb.75:
	v_add_co_u32_e32 v18, vcc, 0x1000, v16
	v_addc_co_u32_e32 v19, vcc, 0, v17, vcc
	s_waitcnt lgkmcnt(0)
	flat_store_dwordx2 v[18:19], v[10:11]
.LBB71_76:
	s_or_b64 exec, exec, s[0:1]
	v_or_b32_e32 v18, 0x280, v0
	v_cmp_gt_u32_e32 vcc, s30, v18
	s_and_saveexec_b64 s[0:1], vcc
	s_cbranch_execz .LBB71_78
; %bb.77:
	v_add_co_u32_e32 v18, vcc, 0x1000, v16
	v_addc_co_u32_e32 v19, vcc, 0, v17, vcc
	s_waitcnt lgkmcnt(0)
	flat_store_dwordx2 v[18:19], v[12:13] offset:1024
.LBB71_78:
	s_or_b64 exec, exec, s[0:1]
	v_or_b32_e32 v18, 0x300, v0
	v_cmp_gt_u32_e32 vcc, s30, v18
	s_and_saveexec_b64 s[0:1], vcc
	s_cbranch_execz .LBB71_80
; %bb.79:
	v_add_co_u32_e32 v16, vcc, 0x1000, v16
	v_addc_co_u32_e32 v17, vcc, 0, v17, vcc
	s_waitcnt lgkmcnt(0)
	flat_store_dwordx2 v[16:17], v[14:15] offset:2048
.LBB71_80:
	s_or_b64 exec, exec, s[0:1]
	v_cmp_lt_u64_e64 s[0:1], s[18:19], 2
	s_and_b64 vcc, exec, s[0:1]
	s_cbranch_vccnz .LBB71_104
; %bb.81:
	s_add_u32 s0, s30, -1
	s_addc_u32 s1, s31, -1
	s_add_u32 s2, 0, 0x92481000
	s_addc_u32 s3, 0, 0x64
	s_add_i32 s3, s3, 0x249248c0
	s_mul_hi_u32 s7, s2, -7
	s_sub_i32 s7, s7, s2
	s_mul_i32 s8, s3, -7
	s_mul_i32 s4, s2, -7
	s_add_i32 s7, s7, s8
	s_mul_hi_u32 s5, s3, s4
	s_mul_i32 s6, s3, s4
	s_mul_i32 s9, s2, s7
	s_mul_hi_u32 s4, s2, s4
	s_mul_hi_u32 s8, s2, s7
	s_add_u32 s4, s4, s9
	s_addc_u32 s8, 0, s8
	s_add_u32 s4, s4, s6
	s_mul_hi_u32 s9, s3, s7
	s_addc_u32 s4, s8, s5
	s_addc_u32 s5, s9, 0
	s_mul_i32 s6, s3, s7
	s_add_u32 s4, s4, s6
	v_mov_b32_e32 v16, s4
	s_addc_u32 s5, 0, s5
	v_add_co_u32_e32 v16, vcc, s2, v16
	s_cmp_lg_u64 vcc, 0
	s_addc_u32 s2, s3, s5
	v_readfirstlane_b32 s5, v16
	s_mul_i32 s4, s0, s2
	s_mul_hi_u32 s6, s0, s5
	s_mul_hi_u32 s3, s0, s2
	s_add_u32 s4, s6, s4
	s_addc_u32 s3, 0, s3
	s_mul_hi_u32 s7, s1, s5
	s_mul_i32 s5, s1, s5
	s_add_u32 s4, s4, s5
	s_mul_hi_u32 s6, s1, s2
	s_addc_u32 s3, s3, s7
	s_addc_u32 s4, s6, 0
	s_mul_i32 s2, s1, s2
	s_add_u32 s2, s3, s2
	s_addc_u32 s3, 0, s4
	s_add_u32 s4, s2, 1
	s_addc_u32 s5, s3, 0
	s_add_u32 s6, s2, 2
	s_mul_i32 s8, s3, 7
	s_mul_hi_u32 s9, s2, 7
	s_addc_u32 s7, s3, 0
	s_add_i32 s9, s9, s8
	s_mul_i32 s8, s2, 7
	v_mov_b32_e32 v16, s8
	v_sub_co_u32_e32 v16, vcc, s0, v16
	s_cmp_lg_u64 vcc, 0
	s_subb_u32 s8, s1, s9
	v_subrev_co_u32_e32 v17, vcc, 7, v16
	s_cmp_lg_u64 vcc, 0
	s_subb_u32 s9, s8, 0
	v_readfirstlane_b32 s10, v17
	s_cmp_gt_u32 s10, 6
	s_cselect_b32 s10, -1, 0
	s_cmp_eq_u32 s9, 0
	s_cselect_b32 s9, s10, -1
	s_cmp_lg_u32 s9, 0
	s_cselect_b32 s4, s6, s4
	v_readfirstlane_b32 s6, v16
	s_cselect_b32 s5, s7, s5
	s_cmp_gt_u32 s6, 6
	s_cselect_b32 s6, -1, 0
	s_cmp_eq_u32 s8, 0
	s_cselect_b32 s6, s6, -1
	s_cmp_lg_u32 s6, 0
	s_cselect_b32 s3, s5, s3
	s_cselect_b32 s2, s4, s2
	v_cmp_eq_u64_e32 vcc, s[2:3], v[0:1]
	s_and_saveexec_b64 s[2:3], vcc
	s_cbranch_execz .LBB71_104
; %bb.82:
	v_mul_hi_u32_u24_e32 v1, 7, v0
	v_mov_b32_e32 v16, s1
	v_sub_co_u32_e32 v0, vcc, s0, v37
	v_subb_co_u32_e32 v1, vcc, v16, v1, vcc
	v_cmp_lt_i64_e32 vcc, 3, v[0:1]
	s_and_saveexec_b64 s[0:1], vcc
	s_xor_b64 s[0:1], exec, s[0:1]
	s_cbranch_execz .LBB71_92
; %bb.83:
	v_cmp_lt_i64_e32 vcc, 4, v[0:1]
	s_and_saveexec_b64 s[2:3], vcc
	s_xor_b64 s[2:3], exec, s[2:3]
	s_cbranch_execz .LBB71_89
; %bb.84:
	;; [unrolled: 5-line block ×3, first 2 shown]
	v_mov_b32_e32 v0, 0
	s_waitcnt lgkmcnt(0)
	global_store_dwordx2 v0, v[14:15], s[14:15]
                                        ; implicit-def: $vgpr10_vgpr11_vgpr12_vgpr13
.LBB71_86:
	s_andn2_saveexec_b64 s[4:5], s[4:5]
	s_cbranch_execz .LBB71_88
; %bb.87:
	v_mov_b32_e32 v0, 0
	s_waitcnt lgkmcnt(0)
	global_store_dwordx2 v0, v[12:13], s[14:15]
.LBB71_88:
	s_or_b64 exec, exec, s[4:5]
                                        ; implicit-def: $vgpr10_vgpr11_vgpr12_vgpr13
.LBB71_89:
	s_andn2_saveexec_b64 s[2:3], s[2:3]
	s_cbranch_execz .LBB71_91
; %bb.90:
	v_mov_b32_e32 v0, 0
	s_waitcnt lgkmcnt(0)
	global_store_dwordx2 v0, v[10:11], s[14:15]
.LBB71_91:
	s_or_b64 exec, exec, s[2:3]
                                        ; implicit-def: $vgpr0_vgpr1
                                        ; implicit-def: $vgpr2_vgpr3_vgpr4_vgpr5
                                        ; implicit-def: $vgpr6_vgpr7_vgpr8_vgpr9
.LBB71_92:
	s_andn2_saveexec_b64 s[0:1], s[0:1]
	s_cbranch_execz .LBB71_104
; %bb.93:
	v_cmp_lt_i64_e32 vcc, 1, v[0:1]
	s_and_saveexec_b64 s[0:1], vcc
	s_xor_b64 s[0:1], exec, s[0:1]
	s_cbranch_execz .LBB71_99
; %bb.94:
	v_cmp_lt_i64_e32 vcc, 2, v[0:1]
	s_and_saveexec_b64 s[2:3], vcc
	s_xor_b64 s[2:3], exec, s[2:3]
	s_cbranch_execz .LBB71_96
; %bb.95:
	v_mov_b32_e32 v0, 0
	s_waitcnt lgkmcnt(0)
	global_store_dwordx2 v0, v[8:9], s[14:15]
                                        ; implicit-def: $vgpr6_vgpr7_vgpr8_vgpr9
.LBB71_96:
	s_andn2_saveexec_b64 s[2:3], s[2:3]
	s_cbranch_execz .LBB71_98
; %bb.97:
	v_mov_b32_e32 v0, 0
	s_waitcnt lgkmcnt(0)
	global_store_dwordx2 v0, v[6:7], s[14:15]
.LBB71_98:
	s_or_b64 exec, exec, s[2:3]
                                        ; implicit-def: $vgpr2_vgpr3_vgpr4_vgpr5
                                        ; implicit-def: $vgpr0_vgpr1
.LBB71_99:
	s_andn2_saveexec_b64 s[0:1], s[0:1]
	s_cbranch_execz .LBB71_104
; %bb.100:
	v_cmp_ne_u64_e32 vcc, 1, v[0:1]
	s_and_saveexec_b64 s[0:1], vcc
	s_xor_b64 s[0:1], exec, s[0:1]
	s_cbranch_execz .LBB71_102
; %bb.101:
	v_mov_b32_e32 v0, 0
	s_waitcnt lgkmcnt(0)
	global_store_dwordx2 v0, v[2:3], s[14:15]
                                        ; implicit-def: $vgpr2_vgpr3_vgpr4_vgpr5
.LBB71_102:
	s_andn2_saveexec_b64 s[0:1], s[0:1]
	s_cbranch_execz .LBB71_104
; %bb.103:
	v_mov_b32_e32 v0, 0
	s_waitcnt lgkmcnt(0)
	global_store_dwordx2 v0, v[4:5], s[14:15]
.LBB71_104:
	s_endpgm
	.section	.rodata,"a",@progbits
	.p2align	6, 0x0
	.amdhsa_kernel _ZN7rocprim17ROCPRIM_400000_NS6detail17trampoline_kernelINS0_14default_configENS1_20scan_config_selectorIxEEZZNS1_9scan_implILNS1_25lookback_scan_determinismE0ELb0ELb0ES3_N6thrust23THRUST_200600_302600_NS6detail15normal_iteratorINS9_10device_ptrIxEEEESE_xNS9_4plusIvEExEEDaPvRmT3_T4_T5_mT6_P12ihipStream_tbENKUlT_T0_E_clISt17integral_constantIbLb0EEST_IbLb1EEEEDaSP_SQ_EUlSP_E_NS1_11comp_targetILNS1_3genE4ELNS1_11target_archE910ELNS1_3gpuE8ELNS1_3repE0EEENS1_30default_config_static_selectorELNS0_4arch9wavefront6targetE1EEEvT1_
		.amdhsa_group_segment_fixed_size 7168
		.amdhsa_private_segment_fixed_size 0
		.amdhsa_kernarg_size 104
		.amdhsa_user_sgpr_count 6
		.amdhsa_user_sgpr_private_segment_buffer 1
		.amdhsa_user_sgpr_dispatch_ptr 0
		.amdhsa_user_sgpr_queue_ptr 0
		.amdhsa_user_sgpr_kernarg_segment_ptr 1
		.amdhsa_user_sgpr_dispatch_id 0
		.amdhsa_user_sgpr_flat_scratch_init 0
		.amdhsa_user_sgpr_kernarg_preload_length 0
		.amdhsa_user_sgpr_kernarg_preload_offset 0
		.amdhsa_user_sgpr_private_segment_size 0
		.amdhsa_uses_dynamic_stack 0
		.amdhsa_system_sgpr_private_segment_wavefront_offset 0
		.amdhsa_system_sgpr_workgroup_id_x 1
		.amdhsa_system_sgpr_workgroup_id_y 0
		.amdhsa_system_sgpr_workgroup_id_z 0
		.amdhsa_system_sgpr_workgroup_info 0
		.amdhsa_system_vgpr_workitem_id 0
		.amdhsa_next_free_vgpr 51
		.amdhsa_next_free_sgpr 36
		.amdhsa_accum_offset 52
		.amdhsa_reserve_vcc 1
		.amdhsa_reserve_flat_scratch 0
		.amdhsa_float_round_mode_32 0
		.amdhsa_float_round_mode_16_64 0
		.amdhsa_float_denorm_mode_32 3
		.amdhsa_float_denorm_mode_16_64 3
		.amdhsa_dx10_clamp 1
		.amdhsa_ieee_mode 1
		.amdhsa_fp16_overflow 0
		.amdhsa_tg_split 0
		.amdhsa_exception_fp_ieee_invalid_op 0
		.amdhsa_exception_fp_denorm_src 0
		.amdhsa_exception_fp_ieee_div_zero 0
		.amdhsa_exception_fp_ieee_overflow 0
		.amdhsa_exception_fp_ieee_underflow 0
		.amdhsa_exception_fp_ieee_inexact 0
		.amdhsa_exception_int_div_zero 0
	.end_amdhsa_kernel
	.section	.text._ZN7rocprim17ROCPRIM_400000_NS6detail17trampoline_kernelINS0_14default_configENS1_20scan_config_selectorIxEEZZNS1_9scan_implILNS1_25lookback_scan_determinismE0ELb0ELb0ES3_N6thrust23THRUST_200600_302600_NS6detail15normal_iteratorINS9_10device_ptrIxEEEESE_xNS9_4plusIvEExEEDaPvRmT3_T4_T5_mT6_P12ihipStream_tbENKUlT_T0_E_clISt17integral_constantIbLb0EEST_IbLb1EEEEDaSP_SQ_EUlSP_E_NS1_11comp_targetILNS1_3genE4ELNS1_11target_archE910ELNS1_3gpuE8ELNS1_3repE0EEENS1_30default_config_static_selectorELNS0_4arch9wavefront6targetE1EEEvT1_,"axG",@progbits,_ZN7rocprim17ROCPRIM_400000_NS6detail17trampoline_kernelINS0_14default_configENS1_20scan_config_selectorIxEEZZNS1_9scan_implILNS1_25lookback_scan_determinismE0ELb0ELb0ES3_N6thrust23THRUST_200600_302600_NS6detail15normal_iteratorINS9_10device_ptrIxEEEESE_xNS9_4plusIvEExEEDaPvRmT3_T4_T5_mT6_P12ihipStream_tbENKUlT_T0_E_clISt17integral_constantIbLb0EEST_IbLb1EEEEDaSP_SQ_EUlSP_E_NS1_11comp_targetILNS1_3genE4ELNS1_11target_archE910ELNS1_3gpuE8ELNS1_3repE0EEENS1_30default_config_static_selectorELNS0_4arch9wavefront6targetE1EEEvT1_,comdat
.Lfunc_end71:
	.size	_ZN7rocprim17ROCPRIM_400000_NS6detail17trampoline_kernelINS0_14default_configENS1_20scan_config_selectorIxEEZZNS1_9scan_implILNS1_25lookback_scan_determinismE0ELb0ELb0ES3_N6thrust23THRUST_200600_302600_NS6detail15normal_iteratorINS9_10device_ptrIxEEEESE_xNS9_4plusIvEExEEDaPvRmT3_T4_T5_mT6_P12ihipStream_tbENKUlT_T0_E_clISt17integral_constantIbLb0EEST_IbLb1EEEEDaSP_SQ_EUlSP_E_NS1_11comp_targetILNS1_3genE4ELNS1_11target_archE910ELNS1_3gpuE8ELNS1_3repE0EEENS1_30default_config_static_selectorELNS0_4arch9wavefront6targetE1EEEvT1_, .Lfunc_end71-_ZN7rocprim17ROCPRIM_400000_NS6detail17trampoline_kernelINS0_14default_configENS1_20scan_config_selectorIxEEZZNS1_9scan_implILNS1_25lookback_scan_determinismE0ELb0ELb0ES3_N6thrust23THRUST_200600_302600_NS6detail15normal_iteratorINS9_10device_ptrIxEEEESE_xNS9_4plusIvEExEEDaPvRmT3_T4_T5_mT6_P12ihipStream_tbENKUlT_T0_E_clISt17integral_constantIbLb0EEST_IbLb1EEEEDaSP_SQ_EUlSP_E_NS1_11comp_targetILNS1_3genE4ELNS1_11target_archE910ELNS1_3gpuE8ELNS1_3repE0EEENS1_30default_config_static_selectorELNS0_4arch9wavefront6targetE1EEEvT1_
                                        ; -- End function
	.section	.AMDGPU.csdata,"",@progbits
; Kernel info:
; codeLenInByte = 5700
; NumSgprs: 40
; NumVgprs: 51
; NumAgprs: 0
; TotalNumVgprs: 51
; ScratchSize: 0
; MemoryBound: 0
; FloatMode: 240
; IeeeMode: 1
; LDSByteSize: 7168 bytes/workgroup (compile time only)
; SGPRBlocks: 4
; VGPRBlocks: 6
; NumSGPRsForWavesPerEU: 40
; NumVGPRsForWavesPerEU: 51
; AccumOffset: 52
; Occupancy: 5
; WaveLimiterHint : 1
; COMPUTE_PGM_RSRC2:SCRATCH_EN: 0
; COMPUTE_PGM_RSRC2:USER_SGPR: 6
; COMPUTE_PGM_RSRC2:TRAP_HANDLER: 0
; COMPUTE_PGM_RSRC2:TGID_X_EN: 1
; COMPUTE_PGM_RSRC2:TGID_Y_EN: 0
; COMPUTE_PGM_RSRC2:TGID_Z_EN: 0
; COMPUTE_PGM_RSRC2:TIDIG_COMP_CNT: 0
; COMPUTE_PGM_RSRC3_GFX90A:ACCUM_OFFSET: 12
; COMPUTE_PGM_RSRC3_GFX90A:TG_SPLIT: 0
	.section	.text._ZN7rocprim17ROCPRIM_400000_NS6detail17trampoline_kernelINS0_14default_configENS1_20scan_config_selectorIxEEZZNS1_9scan_implILNS1_25lookback_scan_determinismE0ELb0ELb0ES3_N6thrust23THRUST_200600_302600_NS6detail15normal_iteratorINS9_10device_ptrIxEEEESE_xNS9_4plusIvEExEEDaPvRmT3_T4_T5_mT6_P12ihipStream_tbENKUlT_T0_E_clISt17integral_constantIbLb0EEST_IbLb1EEEEDaSP_SQ_EUlSP_E_NS1_11comp_targetILNS1_3genE3ELNS1_11target_archE908ELNS1_3gpuE7ELNS1_3repE0EEENS1_30default_config_static_selectorELNS0_4arch9wavefront6targetE1EEEvT1_,"axG",@progbits,_ZN7rocprim17ROCPRIM_400000_NS6detail17trampoline_kernelINS0_14default_configENS1_20scan_config_selectorIxEEZZNS1_9scan_implILNS1_25lookback_scan_determinismE0ELb0ELb0ES3_N6thrust23THRUST_200600_302600_NS6detail15normal_iteratorINS9_10device_ptrIxEEEESE_xNS9_4plusIvEExEEDaPvRmT3_T4_T5_mT6_P12ihipStream_tbENKUlT_T0_E_clISt17integral_constantIbLb0EEST_IbLb1EEEEDaSP_SQ_EUlSP_E_NS1_11comp_targetILNS1_3genE3ELNS1_11target_archE908ELNS1_3gpuE7ELNS1_3repE0EEENS1_30default_config_static_selectorELNS0_4arch9wavefront6targetE1EEEvT1_,comdat
	.protected	_ZN7rocprim17ROCPRIM_400000_NS6detail17trampoline_kernelINS0_14default_configENS1_20scan_config_selectorIxEEZZNS1_9scan_implILNS1_25lookback_scan_determinismE0ELb0ELb0ES3_N6thrust23THRUST_200600_302600_NS6detail15normal_iteratorINS9_10device_ptrIxEEEESE_xNS9_4plusIvEExEEDaPvRmT3_T4_T5_mT6_P12ihipStream_tbENKUlT_T0_E_clISt17integral_constantIbLb0EEST_IbLb1EEEEDaSP_SQ_EUlSP_E_NS1_11comp_targetILNS1_3genE3ELNS1_11target_archE908ELNS1_3gpuE7ELNS1_3repE0EEENS1_30default_config_static_selectorELNS0_4arch9wavefront6targetE1EEEvT1_ ; -- Begin function _ZN7rocprim17ROCPRIM_400000_NS6detail17trampoline_kernelINS0_14default_configENS1_20scan_config_selectorIxEEZZNS1_9scan_implILNS1_25lookback_scan_determinismE0ELb0ELb0ES3_N6thrust23THRUST_200600_302600_NS6detail15normal_iteratorINS9_10device_ptrIxEEEESE_xNS9_4plusIvEExEEDaPvRmT3_T4_T5_mT6_P12ihipStream_tbENKUlT_T0_E_clISt17integral_constantIbLb0EEST_IbLb1EEEEDaSP_SQ_EUlSP_E_NS1_11comp_targetILNS1_3genE3ELNS1_11target_archE908ELNS1_3gpuE7ELNS1_3repE0EEENS1_30default_config_static_selectorELNS0_4arch9wavefront6targetE1EEEvT1_
	.globl	_ZN7rocprim17ROCPRIM_400000_NS6detail17trampoline_kernelINS0_14default_configENS1_20scan_config_selectorIxEEZZNS1_9scan_implILNS1_25lookback_scan_determinismE0ELb0ELb0ES3_N6thrust23THRUST_200600_302600_NS6detail15normal_iteratorINS9_10device_ptrIxEEEESE_xNS9_4plusIvEExEEDaPvRmT3_T4_T5_mT6_P12ihipStream_tbENKUlT_T0_E_clISt17integral_constantIbLb0EEST_IbLb1EEEEDaSP_SQ_EUlSP_E_NS1_11comp_targetILNS1_3genE3ELNS1_11target_archE908ELNS1_3gpuE7ELNS1_3repE0EEENS1_30default_config_static_selectorELNS0_4arch9wavefront6targetE1EEEvT1_
	.p2align	8
	.type	_ZN7rocprim17ROCPRIM_400000_NS6detail17trampoline_kernelINS0_14default_configENS1_20scan_config_selectorIxEEZZNS1_9scan_implILNS1_25lookback_scan_determinismE0ELb0ELb0ES3_N6thrust23THRUST_200600_302600_NS6detail15normal_iteratorINS9_10device_ptrIxEEEESE_xNS9_4plusIvEExEEDaPvRmT3_T4_T5_mT6_P12ihipStream_tbENKUlT_T0_E_clISt17integral_constantIbLb0EEST_IbLb1EEEEDaSP_SQ_EUlSP_E_NS1_11comp_targetILNS1_3genE3ELNS1_11target_archE908ELNS1_3gpuE7ELNS1_3repE0EEENS1_30default_config_static_selectorELNS0_4arch9wavefront6targetE1EEEvT1_,@function
_ZN7rocprim17ROCPRIM_400000_NS6detail17trampoline_kernelINS0_14default_configENS1_20scan_config_selectorIxEEZZNS1_9scan_implILNS1_25lookback_scan_determinismE0ELb0ELb0ES3_N6thrust23THRUST_200600_302600_NS6detail15normal_iteratorINS9_10device_ptrIxEEEESE_xNS9_4plusIvEExEEDaPvRmT3_T4_T5_mT6_P12ihipStream_tbENKUlT_T0_E_clISt17integral_constantIbLb0EEST_IbLb1EEEEDaSP_SQ_EUlSP_E_NS1_11comp_targetILNS1_3genE3ELNS1_11target_archE908ELNS1_3gpuE7ELNS1_3repE0EEENS1_30default_config_static_selectorELNS0_4arch9wavefront6targetE1EEEvT1_: ; @_ZN7rocprim17ROCPRIM_400000_NS6detail17trampoline_kernelINS0_14default_configENS1_20scan_config_selectorIxEEZZNS1_9scan_implILNS1_25lookback_scan_determinismE0ELb0ELb0ES3_N6thrust23THRUST_200600_302600_NS6detail15normal_iteratorINS9_10device_ptrIxEEEESE_xNS9_4plusIvEExEEDaPvRmT3_T4_T5_mT6_P12ihipStream_tbENKUlT_T0_E_clISt17integral_constantIbLb0EEST_IbLb1EEEEDaSP_SQ_EUlSP_E_NS1_11comp_targetILNS1_3genE3ELNS1_11target_archE908ELNS1_3gpuE7ELNS1_3repE0EEENS1_30default_config_static_selectorELNS0_4arch9wavefront6targetE1EEEvT1_
; %bb.0:
	.section	.rodata,"a",@progbits
	.p2align	6, 0x0
	.amdhsa_kernel _ZN7rocprim17ROCPRIM_400000_NS6detail17trampoline_kernelINS0_14default_configENS1_20scan_config_selectorIxEEZZNS1_9scan_implILNS1_25lookback_scan_determinismE0ELb0ELb0ES3_N6thrust23THRUST_200600_302600_NS6detail15normal_iteratorINS9_10device_ptrIxEEEESE_xNS9_4plusIvEExEEDaPvRmT3_T4_T5_mT6_P12ihipStream_tbENKUlT_T0_E_clISt17integral_constantIbLb0EEST_IbLb1EEEEDaSP_SQ_EUlSP_E_NS1_11comp_targetILNS1_3genE3ELNS1_11target_archE908ELNS1_3gpuE7ELNS1_3repE0EEENS1_30default_config_static_selectorELNS0_4arch9wavefront6targetE1EEEvT1_
		.amdhsa_group_segment_fixed_size 0
		.amdhsa_private_segment_fixed_size 0
		.amdhsa_kernarg_size 104
		.amdhsa_user_sgpr_count 6
		.amdhsa_user_sgpr_private_segment_buffer 1
		.amdhsa_user_sgpr_dispatch_ptr 0
		.amdhsa_user_sgpr_queue_ptr 0
		.amdhsa_user_sgpr_kernarg_segment_ptr 1
		.amdhsa_user_sgpr_dispatch_id 0
		.amdhsa_user_sgpr_flat_scratch_init 0
		.amdhsa_user_sgpr_kernarg_preload_length 0
		.amdhsa_user_sgpr_kernarg_preload_offset 0
		.amdhsa_user_sgpr_private_segment_size 0
		.amdhsa_uses_dynamic_stack 0
		.amdhsa_system_sgpr_private_segment_wavefront_offset 0
		.amdhsa_system_sgpr_workgroup_id_x 1
		.amdhsa_system_sgpr_workgroup_id_y 0
		.amdhsa_system_sgpr_workgroup_id_z 0
		.amdhsa_system_sgpr_workgroup_info 0
		.amdhsa_system_vgpr_workitem_id 0
		.amdhsa_next_free_vgpr 1
		.amdhsa_next_free_sgpr 0
		.amdhsa_accum_offset 4
		.amdhsa_reserve_vcc 0
		.amdhsa_reserve_flat_scratch 0
		.amdhsa_float_round_mode_32 0
		.amdhsa_float_round_mode_16_64 0
		.amdhsa_float_denorm_mode_32 3
		.amdhsa_float_denorm_mode_16_64 3
		.amdhsa_dx10_clamp 1
		.amdhsa_ieee_mode 1
		.amdhsa_fp16_overflow 0
		.amdhsa_tg_split 0
		.amdhsa_exception_fp_ieee_invalid_op 0
		.amdhsa_exception_fp_denorm_src 0
		.amdhsa_exception_fp_ieee_div_zero 0
		.amdhsa_exception_fp_ieee_overflow 0
		.amdhsa_exception_fp_ieee_underflow 0
		.amdhsa_exception_fp_ieee_inexact 0
		.amdhsa_exception_int_div_zero 0
	.end_amdhsa_kernel
	.section	.text._ZN7rocprim17ROCPRIM_400000_NS6detail17trampoline_kernelINS0_14default_configENS1_20scan_config_selectorIxEEZZNS1_9scan_implILNS1_25lookback_scan_determinismE0ELb0ELb0ES3_N6thrust23THRUST_200600_302600_NS6detail15normal_iteratorINS9_10device_ptrIxEEEESE_xNS9_4plusIvEExEEDaPvRmT3_T4_T5_mT6_P12ihipStream_tbENKUlT_T0_E_clISt17integral_constantIbLb0EEST_IbLb1EEEEDaSP_SQ_EUlSP_E_NS1_11comp_targetILNS1_3genE3ELNS1_11target_archE908ELNS1_3gpuE7ELNS1_3repE0EEENS1_30default_config_static_selectorELNS0_4arch9wavefront6targetE1EEEvT1_,"axG",@progbits,_ZN7rocprim17ROCPRIM_400000_NS6detail17trampoline_kernelINS0_14default_configENS1_20scan_config_selectorIxEEZZNS1_9scan_implILNS1_25lookback_scan_determinismE0ELb0ELb0ES3_N6thrust23THRUST_200600_302600_NS6detail15normal_iteratorINS9_10device_ptrIxEEEESE_xNS9_4plusIvEExEEDaPvRmT3_T4_T5_mT6_P12ihipStream_tbENKUlT_T0_E_clISt17integral_constantIbLb0EEST_IbLb1EEEEDaSP_SQ_EUlSP_E_NS1_11comp_targetILNS1_3genE3ELNS1_11target_archE908ELNS1_3gpuE7ELNS1_3repE0EEENS1_30default_config_static_selectorELNS0_4arch9wavefront6targetE1EEEvT1_,comdat
.Lfunc_end72:
	.size	_ZN7rocprim17ROCPRIM_400000_NS6detail17trampoline_kernelINS0_14default_configENS1_20scan_config_selectorIxEEZZNS1_9scan_implILNS1_25lookback_scan_determinismE0ELb0ELb0ES3_N6thrust23THRUST_200600_302600_NS6detail15normal_iteratorINS9_10device_ptrIxEEEESE_xNS9_4plusIvEExEEDaPvRmT3_T4_T5_mT6_P12ihipStream_tbENKUlT_T0_E_clISt17integral_constantIbLb0EEST_IbLb1EEEEDaSP_SQ_EUlSP_E_NS1_11comp_targetILNS1_3genE3ELNS1_11target_archE908ELNS1_3gpuE7ELNS1_3repE0EEENS1_30default_config_static_selectorELNS0_4arch9wavefront6targetE1EEEvT1_, .Lfunc_end72-_ZN7rocprim17ROCPRIM_400000_NS6detail17trampoline_kernelINS0_14default_configENS1_20scan_config_selectorIxEEZZNS1_9scan_implILNS1_25lookback_scan_determinismE0ELb0ELb0ES3_N6thrust23THRUST_200600_302600_NS6detail15normal_iteratorINS9_10device_ptrIxEEEESE_xNS9_4plusIvEExEEDaPvRmT3_T4_T5_mT6_P12ihipStream_tbENKUlT_T0_E_clISt17integral_constantIbLb0EEST_IbLb1EEEEDaSP_SQ_EUlSP_E_NS1_11comp_targetILNS1_3genE3ELNS1_11target_archE908ELNS1_3gpuE7ELNS1_3repE0EEENS1_30default_config_static_selectorELNS0_4arch9wavefront6targetE1EEEvT1_
                                        ; -- End function
	.section	.AMDGPU.csdata,"",@progbits
; Kernel info:
; codeLenInByte = 0
; NumSgprs: 4
; NumVgprs: 0
; NumAgprs: 0
; TotalNumVgprs: 0
; ScratchSize: 0
; MemoryBound: 0
; FloatMode: 240
; IeeeMode: 1
; LDSByteSize: 0 bytes/workgroup (compile time only)
; SGPRBlocks: 0
; VGPRBlocks: 0
; NumSGPRsForWavesPerEU: 4
; NumVGPRsForWavesPerEU: 1
; AccumOffset: 4
; Occupancy: 8
; WaveLimiterHint : 0
; COMPUTE_PGM_RSRC2:SCRATCH_EN: 0
; COMPUTE_PGM_RSRC2:USER_SGPR: 6
; COMPUTE_PGM_RSRC2:TRAP_HANDLER: 0
; COMPUTE_PGM_RSRC2:TGID_X_EN: 1
; COMPUTE_PGM_RSRC2:TGID_Y_EN: 0
; COMPUTE_PGM_RSRC2:TGID_Z_EN: 0
; COMPUTE_PGM_RSRC2:TIDIG_COMP_CNT: 0
; COMPUTE_PGM_RSRC3_GFX90A:ACCUM_OFFSET: 0
; COMPUTE_PGM_RSRC3_GFX90A:TG_SPLIT: 0
	.section	.text._ZN7rocprim17ROCPRIM_400000_NS6detail17trampoline_kernelINS0_14default_configENS1_20scan_config_selectorIxEEZZNS1_9scan_implILNS1_25lookback_scan_determinismE0ELb0ELb0ES3_N6thrust23THRUST_200600_302600_NS6detail15normal_iteratorINS9_10device_ptrIxEEEESE_xNS9_4plusIvEExEEDaPvRmT3_T4_T5_mT6_P12ihipStream_tbENKUlT_T0_E_clISt17integral_constantIbLb0EEST_IbLb1EEEEDaSP_SQ_EUlSP_E_NS1_11comp_targetILNS1_3genE2ELNS1_11target_archE906ELNS1_3gpuE6ELNS1_3repE0EEENS1_30default_config_static_selectorELNS0_4arch9wavefront6targetE1EEEvT1_,"axG",@progbits,_ZN7rocprim17ROCPRIM_400000_NS6detail17trampoline_kernelINS0_14default_configENS1_20scan_config_selectorIxEEZZNS1_9scan_implILNS1_25lookback_scan_determinismE0ELb0ELb0ES3_N6thrust23THRUST_200600_302600_NS6detail15normal_iteratorINS9_10device_ptrIxEEEESE_xNS9_4plusIvEExEEDaPvRmT3_T4_T5_mT6_P12ihipStream_tbENKUlT_T0_E_clISt17integral_constantIbLb0EEST_IbLb1EEEEDaSP_SQ_EUlSP_E_NS1_11comp_targetILNS1_3genE2ELNS1_11target_archE906ELNS1_3gpuE6ELNS1_3repE0EEENS1_30default_config_static_selectorELNS0_4arch9wavefront6targetE1EEEvT1_,comdat
	.protected	_ZN7rocprim17ROCPRIM_400000_NS6detail17trampoline_kernelINS0_14default_configENS1_20scan_config_selectorIxEEZZNS1_9scan_implILNS1_25lookback_scan_determinismE0ELb0ELb0ES3_N6thrust23THRUST_200600_302600_NS6detail15normal_iteratorINS9_10device_ptrIxEEEESE_xNS9_4plusIvEExEEDaPvRmT3_T4_T5_mT6_P12ihipStream_tbENKUlT_T0_E_clISt17integral_constantIbLb0EEST_IbLb1EEEEDaSP_SQ_EUlSP_E_NS1_11comp_targetILNS1_3genE2ELNS1_11target_archE906ELNS1_3gpuE6ELNS1_3repE0EEENS1_30default_config_static_selectorELNS0_4arch9wavefront6targetE1EEEvT1_ ; -- Begin function _ZN7rocprim17ROCPRIM_400000_NS6detail17trampoline_kernelINS0_14default_configENS1_20scan_config_selectorIxEEZZNS1_9scan_implILNS1_25lookback_scan_determinismE0ELb0ELb0ES3_N6thrust23THRUST_200600_302600_NS6detail15normal_iteratorINS9_10device_ptrIxEEEESE_xNS9_4plusIvEExEEDaPvRmT3_T4_T5_mT6_P12ihipStream_tbENKUlT_T0_E_clISt17integral_constantIbLb0EEST_IbLb1EEEEDaSP_SQ_EUlSP_E_NS1_11comp_targetILNS1_3genE2ELNS1_11target_archE906ELNS1_3gpuE6ELNS1_3repE0EEENS1_30default_config_static_selectorELNS0_4arch9wavefront6targetE1EEEvT1_
	.globl	_ZN7rocprim17ROCPRIM_400000_NS6detail17trampoline_kernelINS0_14default_configENS1_20scan_config_selectorIxEEZZNS1_9scan_implILNS1_25lookback_scan_determinismE0ELb0ELb0ES3_N6thrust23THRUST_200600_302600_NS6detail15normal_iteratorINS9_10device_ptrIxEEEESE_xNS9_4plusIvEExEEDaPvRmT3_T4_T5_mT6_P12ihipStream_tbENKUlT_T0_E_clISt17integral_constantIbLb0EEST_IbLb1EEEEDaSP_SQ_EUlSP_E_NS1_11comp_targetILNS1_3genE2ELNS1_11target_archE906ELNS1_3gpuE6ELNS1_3repE0EEENS1_30default_config_static_selectorELNS0_4arch9wavefront6targetE1EEEvT1_
	.p2align	8
	.type	_ZN7rocprim17ROCPRIM_400000_NS6detail17trampoline_kernelINS0_14default_configENS1_20scan_config_selectorIxEEZZNS1_9scan_implILNS1_25lookback_scan_determinismE0ELb0ELb0ES3_N6thrust23THRUST_200600_302600_NS6detail15normal_iteratorINS9_10device_ptrIxEEEESE_xNS9_4plusIvEExEEDaPvRmT3_T4_T5_mT6_P12ihipStream_tbENKUlT_T0_E_clISt17integral_constantIbLb0EEST_IbLb1EEEEDaSP_SQ_EUlSP_E_NS1_11comp_targetILNS1_3genE2ELNS1_11target_archE906ELNS1_3gpuE6ELNS1_3repE0EEENS1_30default_config_static_selectorELNS0_4arch9wavefront6targetE1EEEvT1_,@function
_ZN7rocprim17ROCPRIM_400000_NS6detail17trampoline_kernelINS0_14default_configENS1_20scan_config_selectorIxEEZZNS1_9scan_implILNS1_25lookback_scan_determinismE0ELb0ELb0ES3_N6thrust23THRUST_200600_302600_NS6detail15normal_iteratorINS9_10device_ptrIxEEEESE_xNS9_4plusIvEExEEDaPvRmT3_T4_T5_mT6_P12ihipStream_tbENKUlT_T0_E_clISt17integral_constantIbLb0EEST_IbLb1EEEEDaSP_SQ_EUlSP_E_NS1_11comp_targetILNS1_3genE2ELNS1_11target_archE906ELNS1_3gpuE6ELNS1_3repE0EEENS1_30default_config_static_selectorELNS0_4arch9wavefront6targetE1EEEvT1_: ; @_ZN7rocprim17ROCPRIM_400000_NS6detail17trampoline_kernelINS0_14default_configENS1_20scan_config_selectorIxEEZZNS1_9scan_implILNS1_25lookback_scan_determinismE0ELb0ELb0ES3_N6thrust23THRUST_200600_302600_NS6detail15normal_iteratorINS9_10device_ptrIxEEEESE_xNS9_4plusIvEExEEDaPvRmT3_T4_T5_mT6_P12ihipStream_tbENKUlT_T0_E_clISt17integral_constantIbLb0EEST_IbLb1EEEEDaSP_SQ_EUlSP_E_NS1_11comp_targetILNS1_3genE2ELNS1_11target_archE906ELNS1_3gpuE6ELNS1_3repE0EEENS1_30default_config_static_selectorELNS0_4arch9wavefront6targetE1EEEvT1_
; %bb.0:
	.section	.rodata,"a",@progbits
	.p2align	6, 0x0
	.amdhsa_kernel _ZN7rocprim17ROCPRIM_400000_NS6detail17trampoline_kernelINS0_14default_configENS1_20scan_config_selectorIxEEZZNS1_9scan_implILNS1_25lookback_scan_determinismE0ELb0ELb0ES3_N6thrust23THRUST_200600_302600_NS6detail15normal_iteratorINS9_10device_ptrIxEEEESE_xNS9_4plusIvEExEEDaPvRmT3_T4_T5_mT6_P12ihipStream_tbENKUlT_T0_E_clISt17integral_constantIbLb0EEST_IbLb1EEEEDaSP_SQ_EUlSP_E_NS1_11comp_targetILNS1_3genE2ELNS1_11target_archE906ELNS1_3gpuE6ELNS1_3repE0EEENS1_30default_config_static_selectorELNS0_4arch9wavefront6targetE1EEEvT1_
		.amdhsa_group_segment_fixed_size 0
		.amdhsa_private_segment_fixed_size 0
		.amdhsa_kernarg_size 104
		.amdhsa_user_sgpr_count 6
		.amdhsa_user_sgpr_private_segment_buffer 1
		.amdhsa_user_sgpr_dispatch_ptr 0
		.amdhsa_user_sgpr_queue_ptr 0
		.amdhsa_user_sgpr_kernarg_segment_ptr 1
		.amdhsa_user_sgpr_dispatch_id 0
		.amdhsa_user_sgpr_flat_scratch_init 0
		.amdhsa_user_sgpr_kernarg_preload_length 0
		.amdhsa_user_sgpr_kernarg_preload_offset 0
		.amdhsa_user_sgpr_private_segment_size 0
		.amdhsa_uses_dynamic_stack 0
		.amdhsa_system_sgpr_private_segment_wavefront_offset 0
		.amdhsa_system_sgpr_workgroup_id_x 1
		.amdhsa_system_sgpr_workgroup_id_y 0
		.amdhsa_system_sgpr_workgroup_id_z 0
		.amdhsa_system_sgpr_workgroup_info 0
		.amdhsa_system_vgpr_workitem_id 0
		.amdhsa_next_free_vgpr 1
		.amdhsa_next_free_sgpr 0
		.amdhsa_accum_offset 4
		.amdhsa_reserve_vcc 0
		.amdhsa_reserve_flat_scratch 0
		.amdhsa_float_round_mode_32 0
		.amdhsa_float_round_mode_16_64 0
		.amdhsa_float_denorm_mode_32 3
		.amdhsa_float_denorm_mode_16_64 3
		.amdhsa_dx10_clamp 1
		.amdhsa_ieee_mode 1
		.amdhsa_fp16_overflow 0
		.amdhsa_tg_split 0
		.amdhsa_exception_fp_ieee_invalid_op 0
		.amdhsa_exception_fp_denorm_src 0
		.amdhsa_exception_fp_ieee_div_zero 0
		.amdhsa_exception_fp_ieee_overflow 0
		.amdhsa_exception_fp_ieee_underflow 0
		.amdhsa_exception_fp_ieee_inexact 0
		.amdhsa_exception_int_div_zero 0
	.end_amdhsa_kernel
	.section	.text._ZN7rocprim17ROCPRIM_400000_NS6detail17trampoline_kernelINS0_14default_configENS1_20scan_config_selectorIxEEZZNS1_9scan_implILNS1_25lookback_scan_determinismE0ELb0ELb0ES3_N6thrust23THRUST_200600_302600_NS6detail15normal_iteratorINS9_10device_ptrIxEEEESE_xNS9_4plusIvEExEEDaPvRmT3_T4_T5_mT6_P12ihipStream_tbENKUlT_T0_E_clISt17integral_constantIbLb0EEST_IbLb1EEEEDaSP_SQ_EUlSP_E_NS1_11comp_targetILNS1_3genE2ELNS1_11target_archE906ELNS1_3gpuE6ELNS1_3repE0EEENS1_30default_config_static_selectorELNS0_4arch9wavefront6targetE1EEEvT1_,"axG",@progbits,_ZN7rocprim17ROCPRIM_400000_NS6detail17trampoline_kernelINS0_14default_configENS1_20scan_config_selectorIxEEZZNS1_9scan_implILNS1_25lookback_scan_determinismE0ELb0ELb0ES3_N6thrust23THRUST_200600_302600_NS6detail15normal_iteratorINS9_10device_ptrIxEEEESE_xNS9_4plusIvEExEEDaPvRmT3_T4_T5_mT6_P12ihipStream_tbENKUlT_T0_E_clISt17integral_constantIbLb0EEST_IbLb1EEEEDaSP_SQ_EUlSP_E_NS1_11comp_targetILNS1_3genE2ELNS1_11target_archE906ELNS1_3gpuE6ELNS1_3repE0EEENS1_30default_config_static_selectorELNS0_4arch9wavefront6targetE1EEEvT1_,comdat
.Lfunc_end73:
	.size	_ZN7rocprim17ROCPRIM_400000_NS6detail17trampoline_kernelINS0_14default_configENS1_20scan_config_selectorIxEEZZNS1_9scan_implILNS1_25lookback_scan_determinismE0ELb0ELb0ES3_N6thrust23THRUST_200600_302600_NS6detail15normal_iteratorINS9_10device_ptrIxEEEESE_xNS9_4plusIvEExEEDaPvRmT3_T4_T5_mT6_P12ihipStream_tbENKUlT_T0_E_clISt17integral_constantIbLb0EEST_IbLb1EEEEDaSP_SQ_EUlSP_E_NS1_11comp_targetILNS1_3genE2ELNS1_11target_archE906ELNS1_3gpuE6ELNS1_3repE0EEENS1_30default_config_static_selectorELNS0_4arch9wavefront6targetE1EEEvT1_, .Lfunc_end73-_ZN7rocprim17ROCPRIM_400000_NS6detail17trampoline_kernelINS0_14default_configENS1_20scan_config_selectorIxEEZZNS1_9scan_implILNS1_25lookback_scan_determinismE0ELb0ELb0ES3_N6thrust23THRUST_200600_302600_NS6detail15normal_iteratorINS9_10device_ptrIxEEEESE_xNS9_4plusIvEExEEDaPvRmT3_T4_T5_mT6_P12ihipStream_tbENKUlT_T0_E_clISt17integral_constantIbLb0EEST_IbLb1EEEEDaSP_SQ_EUlSP_E_NS1_11comp_targetILNS1_3genE2ELNS1_11target_archE906ELNS1_3gpuE6ELNS1_3repE0EEENS1_30default_config_static_selectorELNS0_4arch9wavefront6targetE1EEEvT1_
                                        ; -- End function
	.section	.AMDGPU.csdata,"",@progbits
; Kernel info:
; codeLenInByte = 0
; NumSgprs: 4
; NumVgprs: 0
; NumAgprs: 0
; TotalNumVgprs: 0
; ScratchSize: 0
; MemoryBound: 0
; FloatMode: 240
; IeeeMode: 1
; LDSByteSize: 0 bytes/workgroup (compile time only)
; SGPRBlocks: 0
; VGPRBlocks: 0
; NumSGPRsForWavesPerEU: 4
; NumVGPRsForWavesPerEU: 1
; AccumOffset: 4
; Occupancy: 8
; WaveLimiterHint : 0
; COMPUTE_PGM_RSRC2:SCRATCH_EN: 0
; COMPUTE_PGM_RSRC2:USER_SGPR: 6
; COMPUTE_PGM_RSRC2:TRAP_HANDLER: 0
; COMPUTE_PGM_RSRC2:TGID_X_EN: 1
; COMPUTE_PGM_RSRC2:TGID_Y_EN: 0
; COMPUTE_PGM_RSRC2:TGID_Z_EN: 0
; COMPUTE_PGM_RSRC2:TIDIG_COMP_CNT: 0
; COMPUTE_PGM_RSRC3_GFX90A:ACCUM_OFFSET: 0
; COMPUTE_PGM_RSRC3_GFX90A:TG_SPLIT: 0
	.section	.text._ZN7rocprim17ROCPRIM_400000_NS6detail17trampoline_kernelINS0_14default_configENS1_20scan_config_selectorIxEEZZNS1_9scan_implILNS1_25lookback_scan_determinismE0ELb0ELb0ES3_N6thrust23THRUST_200600_302600_NS6detail15normal_iteratorINS9_10device_ptrIxEEEESE_xNS9_4plusIvEExEEDaPvRmT3_T4_T5_mT6_P12ihipStream_tbENKUlT_T0_E_clISt17integral_constantIbLb0EEST_IbLb1EEEEDaSP_SQ_EUlSP_E_NS1_11comp_targetILNS1_3genE10ELNS1_11target_archE1201ELNS1_3gpuE5ELNS1_3repE0EEENS1_30default_config_static_selectorELNS0_4arch9wavefront6targetE1EEEvT1_,"axG",@progbits,_ZN7rocprim17ROCPRIM_400000_NS6detail17trampoline_kernelINS0_14default_configENS1_20scan_config_selectorIxEEZZNS1_9scan_implILNS1_25lookback_scan_determinismE0ELb0ELb0ES3_N6thrust23THRUST_200600_302600_NS6detail15normal_iteratorINS9_10device_ptrIxEEEESE_xNS9_4plusIvEExEEDaPvRmT3_T4_T5_mT6_P12ihipStream_tbENKUlT_T0_E_clISt17integral_constantIbLb0EEST_IbLb1EEEEDaSP_SQ_EUlSP_E_NS1_11comp_targetILNS1_3genE10ELNS1_11target_archE1201ELNS1_3gpuE5ELNS1_3repE0EEENS1_30default_config_static_selectorELNS0_4arch9wavefront6targetE1EEEvT1_,comdat
	.protected	_ZN7rocprim17ROCPRIM_400000_NS6detail17trampoline_kernelINS0_14default_configENS1_20scan_config_selectorIxEEZZNS1_9scan_implILNS1_25lookback_scan_determinismE0ELb0ELb0ES3_N6thrust23THRUST_200600_302600_NS6detail15normal_iteratorINS9_10device_ptrIxEEEESE_xNS9_4plusIvEExEEDaPvRmT3_T4_T5_mT6_P12ihipStream_tbENKUlT_T0_E_clISt17integral_constantIbLb0EEST_IbLb1EEEEDaSP_SQ_EUlSP_E_NS1_11comp_targetILNS1_3genE10ELNS1_11target_archE1201ELNS1_3gpuE5ELNS1_3repE0EEENS1_30default_config_static_selectorELNS0_4arch9wavefront6targetE1EEEvT1_ ; -- Begin function _ZN7rocprim17ROCPRIM_400000_NS6detail17trampoline_kernelINS0_14default_configENS1_20scan_config_selectorIxEEZZNS1_9scan_implILNS1_25lookback_scan_determinismE0ELb0ELb0ES3_N6thrust23THRUST_200600_302600_NS6detail15normal_iteratorINS9_10device_ptrIxEEEESE_xNS9_4plusIvEExEEDaPvRmT3_T4_T5_mT6_P12ihipStream_tbENKUlT_T0_E_clISt17integral_constantIbLb0EEST_IbLb1EEEEDaSP_SQ_EUlSP_E_NS1_11comp_targetILNS1_3genE10ELNS1_11target_archE1201ELNS1_3gpuE5ELNS1_3repE0EEENS1_30default_config_static_selectorELNS0_4arch9wavefront6targetE1EEEvT1_
	.globl	_ZN7rocprim17ROCPRIM_400000_NS6detail17trampoline_kernelINS0_14default_configENS1_20scan_config_selectorIxEEZZNS1_9scan_implILNS1_25lookback_scan_determinismE0ELb0ELb0ES3_N6thrust23THRUST_200600_302600_NS6detail15normal_iteratorINS9_10device_ptrIxEEEESE_xNS9_4plusIvEExEEDaPvRmT3_T4_T5_mT6_P12ihipStream_tbENKUlT_T0_E_clISt17integral_constantIbLb0EEST_IbLb1EEEEDaSP_SQ_EUlSP_E_NS1_11comp_targetILNS1_3genE10ELNS1_11target_archE1201ELNS1_3gpuE5ELNS1_3repE0EEENS1_30default_config_static_selectorELNS0_4arch9wavefront6targetE1EEEvT1_
	.p2align	8
	.type	_ZN7rocprim17ROCPRIM_400000_NS6detail17trampoline_kernelINS0_14default_configENS1_20scan_config_selectorIxEEZZNS1_9scan_implILNS1_25lookback_scan_determinismE0ELb0ELb0ES3_N6thrust23THRUST_200600_302600_NS6detail15normal_iteratorINS9_10device_ptrIxEEEESE_xNS9_4plusIvEExEEDaPvRmT3_T4_T5_mT6_P12ihipStream_tbENKUlT_T0_E_clISt17integral_constantIbLb0EEST_IbLb1EEEEDaSP_SQ_EUlSP_E_NS1_11comp_targetILNS1_3genE10ELNS1_11target_archE1201ELNS1_3gpuE5ELNS1_3repE0EEENS1_30default_config_static_selectorELNS0_4arch9wavefront6targetE1EEEvT1_,@function
_ZN7rocprim17ROCPRIM_400000_NS6detail17trampoline_kernelINS0_14default_configENS1_20scan_config_selectorIxEEZZNS1_9scan_implILNS1_25lookback_scan_determinismE0ELb0ELb0ES3_N6thrust23THRUST_200600_302600_NS6detail15normal_iteratorINS9_10device_ptrIxEEEESE_xNS9_4plusIvEExEEDaPvRmT3_T4_T5_mT6_P12ihipStream_tbENKUlT_T0_E_clISt17integral_constantIbLb0EEST_IbLb1EEEEDaSP_SQ_EUlSP_E_NS1_11comp_targetILNS1_3genE10ELNS1_11target_archE1201ELNS1_3gpuE5ELNS1_3repE0EEENS1_30default_config_static_selectorELNS0_4arch9wavefront6targetE1EEEvT1_: ; @_ZN7rocprim17ROCPRIM_400000_NS6detail17trampoline_kernelINS0_14default_configENS1_20scan_config_selectorIxEEZZNS1_9scan_implILNS1_25lookback_scan_determinismE0ELb0ELb0ES3_N6thrust23THRUST_200600_302600_NS6detail15normal_iteratorINS9_10device_ptrIxEEEESE_xNS9_4plusIvEExEEDaPvRmT3_T4_T5_mT6_P12ihipStream_tbENKUlT_T0_E_clISt17integral_constantIbLb0EEST_IbLb1EEEEDaSP_SQ_EUlSP_E_NS1_11comp_targetILNS1_3genE10ELNS1_11target_archE1201ELNS1_3gpuE5ELNS1_3repE0EEENS1_30default_config_static_selectorELNS0_4arch9wavefront6targetE1EEEvT1_
; %bb.0:
	.section	.rodata,"a",@progbits
	.p2align	6, 0x0
	.amdhsa_kernel _ZN7rocprim17ROCPRIM_400000_NS6detail17trampoline_kernelINS0_14default_configENS1_20scan_config_selectorIxEEZZNS1_9scan_implILNS1_25lookback_scan_determinismE0ELb0ELb0ES3_N6thrust23THRUST_200600_302600_NS6detail15normal_iteratorINS9_10device_ptrIxEEEESE_xNS9_4plusIvEExEEDaPvRmT3_T4_T5_mT6_P12ihipStream_tbENKUlT_T0_E_clISt17integral_constantIbLb0EEST_IbLb1EEEEDaSP_SQ_EUlSP_E_NS1_11comp_targetILNS1_3genE10ELNS1_11target_archE1201ELNS1_3gpuE5ELNS1_3repE0EEENS1_30default_config_static_selectorELNS0_4arch9wavefront6targetE1EEEvT1_
		.amdhsa_group_segment_fixed_size 0
		.amdhsa_private_segment_fixed_size 0
		.amdhsa_kernarg_size 104
		.amdhsa_user_sgpr_count 6
		.amdhsa_user_sgpr_private_segment_buffer 1
		.amdhsa_user_sgpr_dispatch_ptr 0
		.amdhsa_user_sgpr_queue_ptr 0
		.amdhsa_user_sgpr_kernarg_segment_ptr 1
		.amdhsa_user_sgpr_dispatch_id 0
		.amdhsa_user_sgpr_flat_scratch_init 0
		.amdhsa_user_sgpr_kernarg_preload_length 0
		.amdhsa_user_sgpr_kernarg_preload_offset 0
		.amdhsa_user_sgpr_private_segment_size 0
		.amdhsa_uses_dynamic_stack 0
		.amdhsa_system_sgpr_private_segment_wavefront_offset 0
		.amdhsa_system_sgpr_workgroup_id_x 1
		.amdhsa_system_sgpr_workgroup_id_y 0
		.amdhsa_system_sgpr_workgroup_id_z 0
		.amdhsa_system_sgpr_workgroup_info 0
		.amdhsa_system_vgpr_workitem_id 0
		.amdhsa_next_free_vgpr 1
		.amdhsa_next_free_sgpr 0
		.amdhsa_accum_offset 4
		.amdhsa_reserve_vcc 0
		.amdhsa_reserve_flat_scratch 0
		.amdhsa_float_round_mode_32 0
		.amdhsa_float_round_mode_16_64 0
		.amdhsa_float_denorm_mode_32 3
		.amdhsa_float_denorm_mode_16_64 3
		.amdhsa_dx10_clamp 1
		.amdhsa_ieee_mode 1
		.amdhsa_fp16_overflow 0
		.amdhsa_tg_split 0
		.amdhsa_exception_fp_ieee_invalid_op 0
		.amdhsa_exception_fp_denorm_src 0
		.amdhsa_exception_fp_ieee_div_zero 0
		.amdhsa_exception_fp_ieee_overflow 0
		.amdhsa_exception_fp_ieee_underflow 0
		.amdhsa_exception_fp_ieee_inexact 0
		.amdhsa_exception_int_div_zero 0
	.end_amdhsa_kernel
	.section	.text._ZN7rocprim17ROCPRIM_400000_NS6detail17trampoline_kernelINS0_14default_configENS1_20scan_config_selectorIxEEZZNS1_9scan_implILNS1_25lookback_scan_determinismE0ELb0ELb0ES3_N6thrust23THRUST_200600_302600_NS6detail15normal_iteratorINS9_10device_ptrIxEEEESE_xNS9_4plusIvEExEEDaPvRmT3_T4_T5_mT6_P12ihipStream_tbENKUlT_T0_E_clISt17integral_constantIbLb0EEST_IbLb1EEEEDaSP_SQ_EUlSP_E_NS1_11comp_targetILNS1_3genE10ELNS1_11target_archE1201ELNS1_3gpuE5ELNS1_3repE0EEENS1_30default_config_static_selectorELNS0_4arch9wavefront6targetE1EEEvT1_,"axG",@progbits,_ZN7rocprim17ROCPRIM_400000_NS6detail17trampoline_kernelINS0_14default_configENS1_20scan_config_selectorIxEEZZNS1_9scan_implILNS1_25lookback_scan_determinismE0ELb0ELb0ES3_N6thrust23THRUST_200600_302600_NS6detail15normal_iteratorINS9_10device_ptrIxEEEESE_xNS9_4plusIvEExEEDaPvRmT3_T4_T5_mT6_P12ihipStream_tbENKUlT_T0_E_clISt17integral_constantIbLb0EEST_IbLb1EEEEDaSP_SQ_EUlSP_E_NS1_11comp_targetILNS1_3genE10ELNS1_11target_archE1201ELNS1_3gpuE5ELNS1_3repE0EEENS1_30default_config_static_selectorELNS0_4arch9wavefront6targetE1EEEvT1_,comdat
.Lfunc_end74:
	.size	_ZN7rocprim17ROCPRIM_400000_NS6detail17trampoline_kernelINS0_14default_configENS1_20scan_config_selectorIxEEZZNS1_9scan_implILNS1_25lookback_scan_determinismE0ELb0ELb0ES3_N6thrust23THRUST_200600_302600_NS6detail15normal_iteratorINS9_10device_ptrIxEEEESE_xNS9_4plusIvEExEEDaPvRmT3_T4_T5_mT6_P12ihipStream_tbENKUlT_T0_E_clISt17integral_constantIbLb0EEST_IbLb1EEEEDaSP_SQ_EUlSP_E_NS1_11comp_targetILNS1_3genE10ELNS1_11target_archE1201ELNS1_3gpuE5ELNS1_3repE0EEENS1_30default_config_static_selectorELNS0_4arch9wavefront6targetE1EEEvT1_, .Lfunc_end74-_ZN7rocprim17ROCPRIM_400000_NS6detail17trampoline_kernelINS0_14default_configENS1_20scan_config_selectorIxEEZZNS1_9scan_implILNS1_25lookback_scan_determinismE0ELb0ELb0ES3_N6thrust23THRUST_200600_302600_NS6detail15normal_iteratorINS9_10device_ptrIxEEEESE_xNS9_4plusIvEExEEDaPvRmT3_T4_T5_mT6_P12ihipStream_tbENKUlT_T0_E_clISt17integral_constantIbLb0EEST_IbLb1EEEEDaSP_SQ_EUlSP_E_NS1_11comp_targetILNS1_3genE10ELNS1_11target_archE1201ELNS1_3gpuE5ELNS1_3repE0EEENS1_30default_config_static_selectorELNS0_4arch9wavefront6targetE1EEEvT1_
                                        ; -- End function
	.section	.AMDGPU.csdata,"",@progbits
; Kernel info:
; codeLenInByte = 0
; NumSgprs: 4
; NumVgprs: 0
; NumAgprs: 0
; TotalNumVgprs: 0
; ScratchSize: 0
; MemoryBound: 0
; FloatMode: 240
; IeeeMode: 1
; LDSByteSize: 0 bytes/workgroup (compile time only)
; SGPRBlocks: 0
; VGPRBlocks: 0
; NumSGPRsForWavesPerEU: 4
; NumVGPRsForWavesPerEU: 1
; AccumOffset: 4
; Occupancy: 8
; WaveLimiterHint : 0
; COMPUTE_PGM_RSRC2:SCRATCH_EN: 0
; COMPUTE_PGM_RSRC2:USER_SGPR: 6
; COMPUTE_PGM_RSRC2:TRAP_HANDLER: 0
; COMPUTE_PGM_RSRC2:TGID_X_EN: 1
; COMPUTE_PGM_RSRC2:TGID_Y_EN: 0
; COMPUTE_PGM_RSRC2:TGID_Z_EN: 0
; COMPUTE_PGM_RSRC2:TIDIG_COMP_CNT: 0
; COMPUTE_PGM_RSRC3_GFX90A:ACCUM_OFFSET: 0
; COMPUTE_PGM_RSRC3_GFX90A:TG_SPLIT: 0
	.section	.text._ZN7rocprim17ROCPRIM_400000_NS6detail17trampoline_kernelINS0_14default_configENS1_20scan_config_selectorIxEEZZNS1_9scan_implILNS1_25lookback_scan_determinismE0ELb0ELb0ES3_N6thrust23THRUST_200600_302600_NS6detail15normal_iteratorINS9_10device_ptrIxEEEESE_xNS9_4plusIvEExEEDaPvRmT3_T4_T5_mT6_P12ihipStream_tbENKUlT_T0_E_clISt17integral_constantIbLb0EEST_IbLb1EEEEDaSP_SQ_EUlSP_E_NS1_11comp_targetILNS1_3genE10ELNS1_11target_archE1200ELNS1_3gpuE4ELNS1_3repE0EEENS1_30default_config_static_selectorELNS0_4arch9wavefront6targetE1EEEvT1_,"axG",@progbits,_ZN7rocprim17ROCPRIM_400000_NS6detail17trampoline_kernelINS0_14default_configENS1_20scan_config_selectorIxEEZZNS1_9scan_implILNS1_25lookback_scan_determinismE0ELb0ELb0ES3_N6thrust23THRUST_200600_302600_NS6detail15normal_iteratorINS9_10device_ptrIxEEEESE_xNS9_4plusIvEExEEDaPvRmT3_T4_T5_mT6_P12ihipStream_tbENKUlT_T0_E_clISt17integral_constantIbLb0EEST_IbLb1EEEEDaSP_SQ_EUlSP_E_NS1_11comp_targetILNS1_3genE10ELNS1_11target_archE1200ELNS1_3gpuE4ELNS1_3repE0EEENS1_30default_config_static_selectorELNS0_4arch9wavefront6targetE1EEEvT1_,comdat
	.protected	_ZN7rocprim17ROCPRIM_400000_NS6detail17trampoline_kernelINS0_14default_configENS1_20scan_config_selectorIxEEZZNS1_9scan_implILNS1_25lookback_scan_determinismE0ELb0ELb0ES3_N6thrust23THRUST_200600_302600_NS6detail15normal_iteratorINS9_10device_ptrIxEEEESE_xNS9_4plusIvEExEEDaPvRmT3_T4_T5_mT6_P12ihipStream_tbENKUlT_T0_E_clISt17integral_constantIbLb0EEST_IbLb1EEEEDaSP_SQ_EUlSP_E_NS1_11comp_targetILNS1_3genE10ELNS1_11target_archE1200ELNS1_3gpuE4ELNS1_3repE0EEENS1_30default_config_static_selectorELNS0_4arch9wavefront6targetE1EEEvT1_ ; -- Begin function _ZN7rocprim17ROCPRIM_400000_NS6detail17trampoline_kernelINS0_14default_configENS1_20scan_config_selectorIxEEZZNS1_9scan_implILNS1_25lookback_scan_determinismE0ELb0ELb0ES3_N6thrust23THRUST_200600_302600_NS6detail15normal_iteratorINS9_10device_ptrIxEEEESE_xNS9_4plusIvEExEEDaPvRmT3_T4_T5_mT6_P12ihipStream_tbENKUlT_T0_E_clISt17integral_constantIbLb0EEST_IbLb1EEEEDaSP_SQ_EUlSP_E_NS1_11comp_targetILNS1_3genE10ELNS1_11target_archE1200ELNS1_3gpuE4ELNS1_3repE0EEENS1_30default_config_static_selectorELNS0_4arch9wavefront6targetE1EEEvT1_
	.globl	_ZN7rocprim17ROCPRIM_400000_NS6detail17trampoline_kernelINS0_14default_configENS1_20scan_config_selectorIxEEZZNS1_9scan_implILNS1_25lookback_scan_determinismE0ELb0ELb0ES3_N6thrust23THRUST_200600_302600_NS6detail15normal_iteratorINS9_10device_ptrIxEEEESE_xNS9_4plusIvEExEEDaPvRmT3_T4_T5_mT6_P12ihipStream_tbENKUlT_T0_E_clISt17integral_constantIbLb0EEST_IbLb1EEEEDaSP_SQ_EUlSP_E_NS1_11comp_targetILNS1_3genE10ELNS1_11target_archE1200ELNS1_3gpuE4ELNS1_3repE0EEENS1_30default_config_static_selectorELNS0_4arch9wavefront6targetE1EEEvT1_
	.p2align	8
	.type	_ZN7rocprim17ROCPRIM_400000_NS6detail17trampoline_kernelINS0_14default_configENS1_20scan_config_selectorIxEEZZNS1_9scan_implILNS1_25lookback_scan_determinismE0ELb0ELb0ES3_N6thrust23THRUST_200600_302600_NS6detail15normal_iteratorINS9_10device_ptrIxEEEESE_xNS9_4plusIvEExEEDaPvRmT3_T4_T5_mT6_P12ihipStream_tbENKUlT_T0_E_clISt17integral_constantIbLb0EEST_IbLb1EEEEDaSP_SQ_EUlSP_E_NS1_11comp_targetILNS1_3genE10ELNS1_11target_archE1200ELNS1_3gpuE4ELNS1_3repE0EEENS1_30default_config_static_selectorELNS0_4arch9wavefront6targetE1EEEvT1_,@function
_ZN7rocprim17ROCPRIM_400000_NS6detail17trampoline_kernelINS0_14default_configENS1_20scan_config_selectorIxEEZZNS1_9scan_implILNS1_25lookback_scan_determinismE0ELb0ELb0ES3_N6thrust23THRUST_200600_302600_NS6detail15normal_iteratorINS9_10device_ptrIxEEEESE_xNS9_4plusIvEExEEDaPvRmT3_T4_T5_mT6_P12ihipStream_tbENKUlT_T0_E_clISt17integral_constantIbLb0EEST_IbLb1EEEEDaSP_SQ_EUlSP_E_NS1_11comp_targetILNS1_3genE10ELNS1_11target_archE1200ELNS1_3gpuE4ELNS1_3repE0EEENS1_30default_config_static_selectorELNS0_4arch9wavefront6targetE1EEEvT1_: ; @_ZN7rocprim17ROCPRIM_400000_NS6detail17trampoline_kernelINS0_14default_configENS1_20scan_config_selectorIxEEZZNS1_9scan_implILNS1_25lookback_scan_determinismE0ELb0ELb0ES3_N6thrust23THRUST_200600_302600_NS6detail15normal_iteratorINS9_10device_ptrIxEEEESE_xNS9_4plusIvEExEEDaPvRmT3_T4_T5_mT6_P12ihipStream_tbENKUlT_T0_E_clISt17integral_constantIbLb0EEST_IbLb1EEEEDaSP_SQ_EUlSP_E_NS1_11comp_targetILNS1_3genE10ELNS1_11target_archE1200ELNS1_3gpuE4ELNS1_3repE0EEENS1_30default_config_static_selectorELNS0_4arch9wavefront6targetE1EEEvT1_
; %bb.0:
	.section	.rodata,"a",@progbits
	.p2align	6, 0x0
	.amdhsa_kernel _ZN7rocprim17ROCPRIM_400000_NS6detail17trampoline_kernelINS0_14default_configENS1_20scan_config_selectorIxEEZZNS1_9scan_implILNS1_25lookback_scan_determinismE0ELb0ELb0ES3_N6thrust23THRUST_200600_302600_NS6detail15normal_iteratorINS9_10device_ptrIxEEEESE_xNS9_4plusIvEExEEDaPvRmT3_T4_T5_mT6_P12ihipStream_tbENKUlT_T0_E_clISt17integral_constantIbLb0EEST_IbLb1EEEEDaSP_SQ_EUlSP_E_NS1_11comp_targetILNS1_3genE10ELNS1_11target_archE1200ELNS1_3gpuE4ELNS1_3repE0EEENS1_30default_config_static_selectorELNS0_4arch9wavefront6targetE1EEEvT1_
		.amdhsa_group_segment_fixed_size 0
		.amdhsa_private_segment_fixed_size 0
		.amdhsa_kernarg_size 104
		.amdhsa_user_sgpr_count 6
		.amdhsa_user_sgpr_private_segment_buffer 1
		.amdhsa_user_sgpr_dispatch_ptr 0
		.amdhsa_user_sgpr_queue_ptr 0
		.amdhsa_user_sgpr_kernarg_segment_ptr 1
		.amdhsa_user_sgpr_dispatch_id 0
		.amdhsa_user_sgpr_flat_scratch_init 0
		.amdhsa_user_sgpr_kernarg_preload_length 0
		.amdhsa_user_sgpr_kernarg_preload_offset 0
		.amdhsa_user_sgpr_private_segment_size 0
		.amdhsa_uses_dynamic_stack 0
		.amdhsa_system_sgpr_private_segment_wavefront_offset 0
		.amdhsa_system_sgpr_workgroup_id_x 1
		.amdhsa_system_sgpr_workgroup_id_y 0
		.amdhsa_system_sgpr_workgroup_id_z 0
		.amdhsa_system_sgpr_workgroup_info 0
		.amdhsa_system_vgpr_workitem_id 0
		.amdhsa_next_free_vgpr 1
		.amdhsa_next_free_sgpr 0
		.amdhsa_accum_offset 4
		.amdhsa_reserve_vcc 0
		.amdhsa_reserve_flat_scratch 0
		.amdhsa_float_round_mode_32 0
		.amdhsa_float_round_mode_16_64 0
		.amdhsa_float_denorm_mode_32 3
		.amdhsa_float_denorm_mode_16_64 3
		.amdhsa_dx10_clamp 1
		.amdhsa_ieee_mode 1
		.amdhsa_fp16_overflow 0
		.amdhsa_tg_split 0
		.amdhsa_exception_fp_ieee_invalid_op 0
		.amdhsa_exception_fp_denorm_src 0
		.amdhsa_exception_fp_ieee_div_zero 0
		.amdhsa_exception_fp_ieee_overflow 0
		.amdhsa_exception_fp_ieee_underflow 0
		.amdhsa_exception_fp_ieee_inexact 0
		.amdhsa_exception_int_div_zero 0
	.end_amdhsa_kernel
	.section	.text._ZN7rocprim17ROCPRIM_400000_NS6detail17trampoline_kernelINS0_14default_configENS1_20scan_config_selectorIxEEZZNS1_9scan_implILNS1_25lookback_scan_determinismE0ELb0ELb0ES3_N6thrust23THRUST_200600_302600_NS6detail15normal_iteratorINS9_10device_ptrIxEEEESE_xNS9_4plusIvEExEEDaPvRmT3_T4_T5_mT6_P12ihipStream_tbENKUlT_T0_E_clISt17integral_constantIbLb0EEST_IbLb1EEEEDaSP_SQ_EUlSP_E_NS1_11comp_targetILNS1_3genE10ELNS1_11target_archE1200ELNS1_3gpuE4ELNS1_3repE0EEENS1_30default_config_static_selectorELNS0_4arch9wavefront6targetE1EEEvT1_,"axG",@progbits,_ZN7rocprim17ROCPRIM_400000_NS6detail17trampoline_kernelINS0_14default_configENS1_20scan_config_selectorIxEEZZNS1_9scan_implILNS1_25lookback_scan_determinismE0ELb0ELb0ES3_N6thrust23THRUST_200600_302600_NS6detail15normal_iteratorINS9_10device_ptrIxEEEESE_xNS9_4plusIvEExEEDaPvRmT3_T4_T5_mT6_P12ihipStream_tbENKUlT_T0_E_clISt17integral_constantIbLb0EEST_IbLb1EEEEDaSP_SQ_EUlSP_E_NS1_11comp_targetILNS1_3genE10ELNS1_11target_archE1200ELNS1_3gpuE4ELNS1_3repE0EEENS1_30default_config_static_selectorELNS0_4arch9wavefront6targetE1EEEvT1_,comdat
.Lfunc_end75:
	.size	_ZN7rocprim17ROCPRIM_400000_NS6detail17trampoline_kernelINS0_14default_configENS1_20scan_config_selectorIxEEZZNS1_9scan_implILNS1_25lookback_scan_determinismE0ELb0ELb0ES3_N6thrust23THRUST_200600_302600_NS6detail15normal_iteratorINS9_10device_ptrIxEEEESE_xNS9_4plusIvEExEEDaPvRmT3_T4_T5_mT6_P12ihipStream_tbENKUlT_T0_E_clISt17integral_constantIbLb0EEST_IbLb1EEEEDaSP_SQ_EUlSP_E_NS1_11comp_targetILNS1_3genE10ELNS1_11target_archE1200ELNS1_3gpuE4ELNS1_3repE0EEENS1_30default_config_static_selectorELNS0_4arch9wavefront6targetE1EEEvT1_, .Lfunc_end75-_ZN7rocprim17ROCPRIM_400000_NS6detail17trampoline_kernelINS0_14default_configENS1_20scan_config_selectorIxEEZZNS1_9scan_implILNS1_25lookback_scan_determinismE0ELb0ELb0ES3_N6thrust23THRUST_200600_302600_NS6detail15normal_iteratorINS9_10device_ptrIxEEEESE_xNS9_4plusIvEExEEDaPvRmT3_T4_T5_mT6_P12ihipStream_tbENKUlT_T0_E_clISt17integral_constantIbLb0EEST_IbLb1EEEEDaSP_SQ_EUlSP_E_NS1_11comp_targetILNS1_3genE10ELNS1_11target_archE1200ELNS1_3gpuE4ELNS1_3repE0EEENS1_30default_config_static_selectorELNS0_4arch9wavefront6targetE1EEEvT1_
                                        ; -- End function
	.section	.AMDGPU.csdata,"",@progbits
; Kernel info:
; codeLenInByte = 0
; NumSgprs: 4
; NumVgprs: 0
; NumAgprs: 0
; TotalNumVgprs: 0
; ScratchSize: 0
; MemoryBound: 0
; FloatMode: 240
; IeeeMode: 1
; LDSByteSize: 0 bytes/workgroup (compile time only)
; SGPRBlocks: 0
; VGPRBlocks: 0
; NumSGPRsForWavesPerEU: 4
; NumVGPRsForWavesPerEU: 1
; AccumOffset: 4
; Occupancy: 8
; WaveLimiterHint : 0
; COMPUTE_PGM_RSRC2:SCRATCH_EN: 0
; COMPUTE_PGM_RSRC2:USER_SGPR: 6
; COMPUTE_PGM_RSRC2:TRAP_HANDLER: 0
; COMPUTE_PGM_RSRC2:TGID_X_EN: 1
; COMPUTE_PGM_RSRC2:TGID_Y_EN: 0
; COMPUTE_PGM_RSRC2:TGID_Z_EN: 0
; COMPUTE_PGM_RSRC2:TIDIG_COMP_CNT: 0
; COMPUTE_PGM_RSRC3_GFX90A:ACCUM_OFFSET: 0
; COMPUTE_PGM_RSRC3_GFX90A:TG_SPLIT: 0
	.section	.text._ZN7rocprim17ROCPRIM_400000_NS6detail17trampoline_kernelINS0_14default_configENS1_20scan_config_selectorIxEEZZNS1_9scan_implILNS1_25lookback_scan_determinismE0ELb0ELb0ES3_N6thrust23THRUST_200600_302600_NS6detail15normal_iteratorINS9_10device_ptrIxEEEESE_xNS9_4plusIvEExEEDaPvRmT3_T4_T5_mT6_P12ihipStream_tbENKUlT_T0_E_clISt17integral_constantIbLb0EEST_IbLb1EEEEDaSP_SQ_EUlSP_E_NS1_11comp_targetILNS1_3genE9ELNS1_11target_archE1100ELNS1_3gpuE3ELNS1_3repE0EEENS1_30default_config_static_selectorELNS0_4arch9wavefront6targetE1EEEvT1_,"axG",@progbits,_ZN7rocprim17ROCPRIM_400000_NS6detail17trampoline_kernelINS0_14default_configENS1_20scan_config_selectorIxEEZZNS1_9scan_implILNS1_25lookback_scan_determinismE0ELb0ELb0ES3_N6thrust23THRUST_200600_302600_NS6detail15normal_iteratorINS9_10device_ptrIxEEEESE_xNS9_4plusIvEExEEDaPvRmT3_T4_T5_mT6_P12ihipStream_tbENKUlT_T0_E_clISt17integral_constantIbLb0EEST_IbLb1EEEEDaSP_SQ_EUlSP_E_NS1_11comp_targetILNS1_3genE9ELNS1_11target_archE1100ELNS1_3gpuE3ELNS1_3repE0EEENS1_30default_config_static_selectorELNS0_4arch9wavefront6targetE1EEEvT1_,comdat
	.protected	_ZN7rocprim17ROCPRIM_400000_NS6detail17trampoline_kernelINS0_14default_configENS1_20scan_config_selectorIxEEZZNS1_9scan_implILNS1_25lookback_scan_determinismE0ELb0ELb0ES3_N6thrust23THRUST_200600_302600_NS6detail15normal_iteratorINS9_10device_ptrIxEEEESE_xNS9_4plusIvEExEEDaPvRmT3_T4_T5_mT6_P12ihipStream_tbENKUlT_T0_E_clISt17integral_constantIbLb0EEST_IbLb1EEEEDaSP_SQ_EUlSP_E_NS1_11comp_targetILNS1_3genE9ELNS1_11target_archE1100ELNS1_3gpuE3ELNS1_3repE0EEENS1_30default_config_static_selectorELNS0_4arch9wavefront6targetE1EEEvT1_ ; -- Begin function _ZN7rocprim17ROCPRIM_400000_NS6detail17trampoline_kernelINS0_14default_configENS1_20scan_config_selectorIxEEZZNS1_9scan_implILNS1_25lookback_scan_determinismE0ELb0ELb0ES3_N6thrust23THRUST_200600_302600_NS6detail15normal_iteratorINS9_10device_ptrIxEEEESE_xNS9_4plusIvEExEEDaPvRmT3_T4_T5_mT6_P12ihipStream_tbENKUlT_T0_E_clISt17integral_constantIbLb0EEST_IbLb1EEEEDaSP_SQ_EUlSP_E_NS1_11comp_targetILNS1_3genE9ELNS1_11target_archE1100ELNS1_3gpuE3ELNS1_3repE0EEENS1_30default_config_static_selectorELNS0_4arch9wavefront6targetE1EEEvT1_
	.globl	_ZN7rocprim17ROCPRIM_400000_NS6detail17trampoline_kernelINS0_14default_configENS1_20scan_config_selectorIxEEZZNS1_9scan_implILNS1_25lookback_scan_determinismE0ELb0ELb0ES3_N6thrust23THRUST_200600_302600_NS6detail15normal_iteratorINS9_10device_ptrIxEEEESE_xNS9_4plusIvEExEEDaPvRmT3_T4_T5_mT6_P12ihipStream_tbENKUlT_T0_E_clISt17integral_constantIbLb0EEST_IbLb1EEEEDaSP_SQ_EUlSP_E_NS1_11comp_targetILNS1_3genE9ELNS1_11target_archE1100ELNS1_3gpuE3ELNS1_3repE0EEENS1_30default_config_static_selectorELNS0_4arch9wavefront6targetE1EEEvT1_
	.p2align	8
	.type	_ZN7rocprim17ROCPRIM_400000_NS6detail17trampoline_kernelINS0_14default_configENS1_20scan_config_selectorIxEEZZNS1_9scan_implILNS1_25lookback_scan_determinismE0ELb0ELb0ES3_N6thrust23THRUST_200600_302600_NS6detail15normal_iteratorINS9_10device_ptrIxEEEESE_xNS9_4plusIvEExEEDaPvRmT3_T4_T5_mT6_P12ihipStream_tbENKUlT_T0_E_clISt17integral_constantIbLb0EEST_IbLb1EEEEDaSP_SQ_EUlSP_E_NS1_11comp_targetILNS1_3genE9ELNS1_11target_archE1100ELNS1_3gpuE3ELNS1_3repE0EEENS1_30default_config_static_selectorELNS0_4arch9wavefront6targetE1EEEvT1_,@function
_ZN7rocprim17ROCPRIM_400000_NS6detail17trampoline_kernelINS0_14default_configENS1_20scan_config_selectorIxEEZZNS1_9scan_implILNS1_25lookback_scan_determinismE0ELb0ELb0ES3_N6thrust23THRUST_200600_302600_NS6detail15normal_iteratorINS9_10device_ptrIxEEEESE_xNS9_4plusIvEExEEDaPvRmT3_T4_T5_mT6_P12ihipStream_tbENKUlT_T0_E_clISt17integral_constantIbLb0EEST_IbLb1EEEEDaSP_SQ_EUlSP_E_NS1_11comp_targetILNS1_3genE9ELNS1_11target_archE1100ELNS1_3gpuE3ELNS1_3repE0EEENS1_30default_config_static_selectorELNS0_4arch9wavefront6targetE1EEEvT1_: ; @_ZN7rocprim17ROCPRIM_400000_NS6detail17trampoline_kernelINS0_14default_configENS1_20scan_config_selectorIxEEZZNS1_9scan_implILNS1_25lookback_scan_determinismE0ELb0ELb0ES3_N6thrust23THRUST_200600_302600_NS6detail15normal_iteratorINS9_10device_ptrIxEEEESE_xNS9_4plusIvEExEEDaPvRmT3_T4_T5_mT6_P12ihipStream_tbENKUlT_T0_E_clISt17integral_constantIbLb0EEST_IbLb1EEEEDaSP_SQ_EUlSP_E_NS1_11comp_targetILNS1_3genE9ELNS1_11target_archE1100ELNS1_3gpuE3ELNS1_3repE0EEENS1_30default_config_static_selectorELNS0_4arch9wavefront6targetE1EEEvT1_
; %bb.0:
	.section	.rodata,"a",@progbits
	.p2align	6, 0x0
	.amdhsa_kernel _ZN7rocprim17ROCPRIM_400000_NS6detail17trampoline_kernelINS0_14default_configENS1_20scan_config_selectorIxEEZZNS1_9scan_implILNS1_25lookback_scan_determinismE0ELb0ELb0ES3_N6thrust23THRUST_200600_302600_NS6detail15normal_iteratorINS9_10device_ptrIxEEEESE_xNS9_4plusIvEExEEDaPvRmT3_T4_T5_mT6_P12ihipStream_tbENKUlT_T0_E_clISt17integral_constantIbLb0EEST_IbLb1EEEEDaSP_SQ_EUlSP_E_NS1_11comp_targetILNS1_3genE9ELNS1_11target_archE1100ELNS1_3gpuE3ELNS1_3repE0EEENS1_30default_config_static_selectorELNS0_4arch9wavefront6targetE1EEEvT1_
		.amdhsa_group_segment_fixed_size 0
		.amdhsa_private_segment_fixed_size 0
		.amdhsa_kernarg_size 104
		.amdhsa_user_sgpr_count 6
		.amdhsa_user_sgpr_private_segment_buffer 1
		.amdhsa_user_sgpr_dispatch_ptr 0
		.amdhsa_user_sgpr_queue_ptr 0
		.amdhsa_user_sgpr_kernarg_segment_ptr 1
		.amdhsa_user_sgpr_dispatch_id 0
		.amdhsa_user_sgpr_flat_scratch_init 0
		.amdhsa_user_sgpr_kernarg_preload_length 0
		.amdhsa_user_sgpr_kernarg_preload_offset 0
		.amdhsa_user_sgpr_private_segment_size 0
		.amdhsa_uses_dynamic_stack 0
		.amdhsa_system_sgpr_private_segment_wavefront_offset 0
		.amdhsa_system_sgpr_workgroup_id_x 1
		.amdhsa_system_sgpr_workgroup_id_y 0
		.amdhsa_system_sgpr_workgroup_id_z 0
		.amdhsa_system_sgpr_workgroup_info 0
		.amdhsa_system_vgpr_workitem_id 0
		.amdhsa_next_free_vgpr 1
		.amdhsa_next_free_sgpr 0
		.amdhsa_accum_offset 4
		.amdhsa_reserve_vcc 0
		.amdhsa_reserve_flat_scratch 0
		.amdhsa_float_round_mode_32 0
		.amdhsa_float_round_mode_16_64 0
		.amdhsa_float_denorm_mode_32 3
		.amdhsa_float_denorm_mode_16_64 3
		.amdhsa_dx10_clamp 1
		.amdhsa_ieee_mode 1
		.amdhsa_fp16_overflow 0
		.amdhsa_tg_split 0
		.amdhsa_exception_fp_ieee_invalid_op 0
		.amdhsa_exception_fp_denorm_src 0
		.amdhsa_exception_fp_ieee_div_zero 0
		.amdhsa_exception_fp_ieee_overflow 0
		.amdhsa_exception_fp_ieee_underflow 0
		.amdhsa_exception_fp_ieee_inexact 0
		.amdhsa_exception_int_div_zero 0
	.end_amdhsa_kernel
	.section	.text._ZN7rocprim17ROCPRIM_400000_NS6detail17trampoline_kernelINS0_14default_configENS1_20scan_config_selectorIxEEZZNS1_9scan_implILNS1_25lookback_scan_determinismE0ELb0ELb0ES3_N6thrust23THRUST_200600_302600_NS6detail15normal_iteratorINS9_10device_ptrIxEEEESE_xNS9_4plusIvEExEEDaPvRmT3_T4_T5_mT6_P12ihipStream_tbENKUlT_T0_E_clISt17integral_constantIbLb0EEST_IbLb1EEEEDaSP_SQ_EUlSP_E_NS1_11comp_targetILNS1_3genE9ELNS1_11target_archE1100ELNS1_3gpuE3ELNS1_3repE0EEENS1_30default_config_static_selectorELNS0_4arch9wavefront6targetE1EEEvT1_,"axG",@progbits,_ZN7rocprim17ROCPRIM_400000_NS6detail17trampoline_kernelINS0_14default_configENS1_20scan_config_selectorIxEEZZNS1_9scan_implILNS1_25lookback_scan_determinismE0ELb0ELb0ES3_N6thrust23THRUST_200600_302600_NS6detail15normal_iteratorINS9_10device_ptrIxEEEESE_xNS9_4plusIvEExEEDaPvRmT3_T4_T5_mT6_P12ihipStream_tbENKUlT_T0_E_clISt17integral_constantIbLb0EEST_IbLb1EEEEDaSP_SQ_EUlSP_E_NS1_11comp_targetILNS1_3genE9ELNS1_11target_archE1100ELNS1_3gpuE3ELNS1_3repE0EEENS1_30default_config_static_selectorELNS0_4arch9wavefront6targetE1EEEvT1_,comdat
.Lfunc_end76:
	.size	_ZN7rocprim17ROCPRIM_400000_NS6detail17trampoline_kernelINS0_14default_configENS1_20scan_config_selectorIxEEZZNS1_9scan_implILNS1_25lookback_scan_determinismE0ELb0ELb0ES3_N6thrust23THRUST_200600_302600_NS6detail15normal_iteratorINS9_10device_ptrIxEEEESE_xNS9_4plusIvEExEEDaPvRmT3_T4_T5_mT6_P12ihipStream_tbENKUlT_T0_E_clISt17integral_constantIbLb0EEST_IbLb1EEEEDaSP_SQ_EUlSP_E_NS1_11comp_targetILNS1_3genE9ELNS1_11target_archE1100ELNS1_3gpuE3ELNS1_3repE0EEENS1_30default_config_static_selectorELNS0_4arch9wavefront6targetE1EEEvT1_, .Lfunc_end76-_ZN7rocprim17ROCPRIM_400000_NS6detail17trampoline_kernelINS0_14default_configENS1_20scan_config_selectorIxEEZZNS1_9scan_implILNS1_25lookback_scan_determinismE0ELb0ELb0ES3_N6thrust23THRUST_200600_302600_NS6detail15normal_iteratorINS9_10device_ptrIxEEEESE_xNS9_4plusIvEExEEDaPvRmT3_T4_T5_mT6_P12ihipStream_tbENKUlT_T0_E_clISt17integral_constantIbLb0EEST_IbLb1EEEEDaSP_SQ_EUlSP_E_NS1_11comp_targetILNS1_3genE9ELNS1_11target_archE1100ELNS1_3gpuE3ELNS1_3repE0EEENS1_30default_config_static_selectorELNS0_4arch9wavefront6targetE1EEEvT1_
                                        ; -- End function
	.section	.AMDGPU.csdata,"",@progbits
; Kernel info:
; codeLenInByte = 0
; NumSgprs: 4
; NumVgprs: 0
; NumAgprs: 0
; TotalNumVgprs: 0
; ScratchSize: 0
; MemoryBound: 0
; FloatMode: 240
; IeeeMode: 1
; LDSByteSize: 0 bytes/workgroup (compile time only)
; SGPRBlocks: 0
; VGPRBlocks: 0
; NumSGPRsForWavesPerEU: 4
; NumVGPRsForWavesPerEU: 1
; AccumOffset: 4
; Occupancy: 8
; WaveLimiterHint : 0
; COMPUTE_PGM_RSRC2:SCRATCH_EN: 0
; COMPUTE_PGM_RSRC2:USER_SGPR: 6
; COMPUTE_PGM_RSRC2:TRAP_HANDLER: 0
; COMPUTE_PGM_RSRC2:TGID_X_EN: 1
; COMPUTE_PGM_RSRC2:TGID_Y_EN: 0
; COMPUTE_PGM_RSRC2:TGID_Z_EN: 0
; COMPUTE_PGM_RSRC2:TIDIG_COMP_CNT: 0
; COMPUTE_PGM_RSRC3_GFX90A:ACCUM_OFFSET: 0
; COMPUTE_PGM_RSRC3_GFX90A:TG_SPLIT: 0
	.section	.text._ZN7rocprim17ROCPRIM_400000_NS6detail17trampoline_kernelINS0_14default_configENS1_20scan_config_selectorIxEEZZNS1_9scan_implILNS1_25lookback_scan_determinismE0ELb0ELb0ES3_N6thrust23THRUST_200600_302600_NS6detail15normal_iteratorINS9_10device_ptrIxEEEESE_xNS9_4plusIvEExEEDaPvRmT3_T4_T5_mT6_P12ihipStream_tbENKUlT_T0_E_clISt17integral_constantIbLb0EEST_IbLb1EEEEDaSP_SQ_EUlSP_E_NS1_11comp_targetILNS1_3genE8ELNS1_11target_archE1030ELNS1_3gpuE2ELNS1_3repE0EEENS1_30default_config_static_selectorELNS0_4arch9wavefront6targetE1EEEvT1_,"axG",@progbits,_ZN7rocprim17ROCPRIM_400000_NS6detail17trampoline_kernelINS0_14default_configENS1_20scan_config_selectorIxEEZZNS1_9scan_implILNS1_25lookback_scan_determinismE0ELb0ELb0ES3_N6thrust23THRUST_200600_302600_NS6detail15normal_iteratorINS9_10device_ptrIxEEEESE_xNS9_4plusIvEExEEDaPvRmT3_T4_T5_mT6_P12ihipStream_tbENKUlT_T0_E_clISt17integral_constantIbLb0EEST_IbLb1EEEEDaSP_SQ_EUlSP_E_NS1_11comp_targetILNS1_3genE8ELNS1_11target_archE1030ELNS1_3gpuE2ELNS1_3repE0EEENS1_30default_config_static_selectorELNS0_4arch9wavefront6targetE1EEEvT1_,comdat
	.protected	_ZN7rocprim17ROCPRIM_400000_NS6detail17trampoline_kernelINS0_14default_configENS1_20scan_config_selectorIxEEZZNS1_9scan_implILNS1_25lookback_scan_determinismE0ELb0ELb0ES3_N6thrust23THRUST_200600_302600_NS6detail15normal_iteratorINS9_10device_ptrIxEEEESE_xNS9_4plusIvEExEEDaPvRmT3_T4_T5_mT6_P12ihipStream_tbENKUlT_T0_E_clISt17integral_constantIbLb0EEST_IbLb1EEEEDaSP_SQ_EUlSP_E_NS1_11comp_targetILNS1_3genE8ELNS1_11target_archE1030ELNS1_3gpuE2ELNS1_3repE0EEENS1_30default_config_static_selectorELNS0_4arch9wavefront6targetE1EEEvT1_ ; -- Begin function _ZN7rocprim17ROCPRIM_400000_NS6detail17trampoline_kernelINS0_14default_configENS1_20scan_config_selectorIxEEZZNS1_9scan_implILNS1_25lookback_scan_determinismE0ELb0ELb0ES3_N6thrust23THRUST_200600_302600_NS6detail15normal_iteratorINS9_10device_ptrIxEEEESE_xNS9_4plusIvEExEEDaPvRmT3_T4_T5_mT6_P12ihipStream_tbENKUlT_T0_E_clISt17integral_constantIbLb0EEST_IbLb1EEEEDaSP_SQ_EUlSP_E_NS1_11comp_targetILNS1_3genE8ELNS1_11target_archE1030ELNS1_3gpuE2ELNS1_3repE0EEENS1_30default_config_static_selectorELNS0_4arch9wavefront6targetE1EEEvT1_
	.globl	_ZN7rocprim17ROCPRIM_400000_NS6detail17trampoline_kernelINS0_14default_configENS1_20scan_config_selectorIxEEZZNS1_9scan_implILNS1_25lookback_scan_determinismE0ELb0ELb0ES3_N6thrust23THRUST_200600_302600_NS6detail15normal_iteratorINS9_10device_ptrIxEEEESE_xNS9_4plusIvEExEEDaPvRmT3_T4_T5_mT6_P12ihipStream_tbENKUlT_T0_E_clISt17integral_constantIbLb0EEST_IbLb1EEEEDaSP_SQ_EUlSP_E_NS1_11comp_targetILNS1_3genE8ELNS1_11target_archE1030ELNS1_3gpuE2ELNS1_3repE0EEENS1_30default_config_static_selectorELNS0_4arch9wavefront6targetE1EEEvT1_
	.p2align	8
	.type	_ZN7rocprim17ROCPRIM_400000_NS6detail17trampoline_kernelINS0_14default_configENS1_20scan_config_selectorIxEEZZNS1_9scan_implILNS1_25lookback_scan_determinismE0ELb0ELb0ES3_N6thrust23THRUST_200600_302600_NS6detail15normal_iteratorINS9_10device_ptrIxEEEESE_xNS9_4plusIvEExEEDaPvRmT3_T4_T5_mT6_P12ihipStream_tbENKUlT_T0_E_clISt17integral_constantIbLb0EEST_IbLb1EEEEDaSP_SQ_EUlSP_E_NS1_11comp_targetILNS1_3genE8ELNS1_11target_archE1030ELNS1_3gpuE2ELNS1_3repE0EEENS1_30default_config_static_selectorELNS0_4arch9wavefront6targetE1EEEvT1_,@function
_ZN7rocprim17ROCPRIM_400000_NS6detail17trampoline_kernelINS0_14default_configENS1_20scan_config_selectorIxEEZZNS1_9scan_implILNS1_25lookback_scan_determinismE0ELb0ELb0ES3_N6thrust23THRUST_200600_302600_NS6detail15normal_iteratorINS9_10device_ptrIxEEEESE_xNS9_4plusIvEExEEDaPvRmT3_T4_T5_mT6_P12ihipStream_tbENKUlT_T0_E_clISt17integral_constantIbLb0EEST_IbLb1EEEEDaSP_SQ_EUlSP_E_NS1_11comp_targetILNS1_3genE8ELNS1_11target_archE1030ELNS1_3gpuE2ELNS1_3repE0EEENS1_30default_config_static_selectorELNS0_4arch9wavefront6targetE1EEEvT1_: ; @_ZN7rocprim17ROCPRIM_400000_NS6detail17trampoline_kernelINS0_14default_configENS1_20scan_config_selectorIxEEZZNS1_9scan_implILNS1_25lookback_scan_determinismE0ELb0ELb0ES3_N6thrust23THRUST_200600_302600_NS6detail15normal_iteratorINS9_10device_ptrIxEEEESE_xNS9_4plusIvEExEEDaPvRmT3_T4_T5_mT6_P12ihipStream_tbENKUlT_T0_E_clISt17integral_constantIbLb0EEST_IbLb1EEEEDaSP_SQ_EUlSP_E_NS1_11comp_targetILNS1_3genE8ELNS1_11target_archE1030ELNS1_3gpuE2ELNS1_3repE0EEENS1_30default_config_static_selectorELNS0_4arch9wavefront6targetE1EEEvT1_
; %bb.0:
	.section	.rodata,"a",@progbits
	.p2align	6, 0x0
	.amdhsa_kernel _ZN7rocprim17ROCPRIM_400000_NS6detail17trampoline_kernelINS0_14default_configENS1_20scan_config_selectorIxEEZZNS1_9scan_implILNS1_25lookback_scan_determinismE0ELb0ELb0ES3_N6thrust23THRUST_200600_302600_NS6detail15normal_iteratorINS9_10device_ptrIxEEEESE_xNS9_4plusIvEExEEDaPvRmT3_T4_T5_mT6_P12ihipStream_tbENKUlT_T0_E_clISt17integral_constantIbLb0EEST_IbLb1EEEEDaSP_SQ_EUlSP_E_NS1_11comp_targetILNS1_3genE8ELNS1_11target_archE1030ELNS1_3gpuE2ELNS1_3repE0EEENS1_30default_config_static_selectorELNS0_4arch9wavefront6targetE1EEEvT1_
		.amdhsa_group_segment_fixed_size 0
		.amdhsa_private_segment_fixed_size 0
		.amdhsa_kernarg_size 104
		.amdhsa_user_sgpr_count 6
		.amdhsa_user_sgpr_private_segment_buffer 1
		.amdhsa_user_sgpr_dispatch_ptr 0
		.amdhsa_user_sgpr_queue_ptr 0
		.amdhsa_user_sgpr_kernarg_segment_ptr 1
		.amdhsa_user_sgpr_dispatch_id 0
		.amdhsa_user_sgpr_flat_scratch_init 0
		.amdhsa_user_sgpr_kernarg_preload_length 0
		.amdhsa_user_sgpr_kernarg_preload_offset 0
		.amdhsa_user_sgpr_private_segment_size 0
		.amdhsa_uses_dynamic_stack 0
		.amdhsa_system_sgpr_private_segment_wavefront_offset 0
		.amdhsa_system_sgpr_workgroup_id_x 1
		.amdhsa_system_sgpr_workgroup_id_y 0
		.amdhsa_system_sgpr_workgroup_id_z 0
		.amdhsa_system_sgpr_workgroup_info 0
		.amdhsa_system_vgpr_workitem_id 0
		.amdhsa_next_free_vgpr 1
		.amdhsa_next_free_sgpr 0
		.amdhsa_accum_offset 4
		.amdhsa_reserve_vcc 0
		.amdhsa_reserve_flat_scratch 0
		.amdhsa_float_round_mode_32 0
		.amdhsa_float_round_mode_16_64 0
		.amdhsa_float_denorm_mode_32 3
		.amdhsa_float_denorm_mode_16_64 3
		.amdhsa_dx10_clamp 1
		.amdhsa_ieee_mode 1
		.amdhsa_fp16_overflow 0
		.amdhsa_tg_split 0
		.amdhsa_exception_fp_ieee_invalid_op 0
		.amdhsa_exception_fp_denorm_src 0
		.amdhsa_exception_fp_ieee_div_zero 0
		.amdhsa_exception_fp_ieee_overflow 0
		.amdhsa_exception_fp_ieee_underflow 0
		.amdhsa_exception_fp_ieee_inexact 0
		.amdhsa_exception_int_div_zero 0
	.end_amdhsa_kernel
	.section	.text._ZN7rocprim17ROCPRIM_400000_NS6detail17trampoline_kernelINS0_14default_configENS1_20scan_config_selectorIxEEZZNS1_9scan_implILNS1_25lookback_scan_determinismE0ELb0ELb0ES3_N6thrust23THRUST_200600_302600_NS6detail15normal_iteratorINS9_10device_ptrIxEEEESE_xNS9_4plusIvEExEEDaPvRmT3_T4_T5_mT6_P12ihipStream_tbENKUlT_T0_E_clISt17integral_constantIbLb0EEST_IbLb1EEEEDaSP_SQ_EUlSP_E_NS1_11comp_targetILNS1_3genE8ELNS1_11target_archE1030ELNS1_3gpuE2ELNS1_3repE0EEENS1_30default_config_static_selectorELNS0_4arch9wavefront6targetE1EEEvT1_,"axG",@progbits,_ZN7rocprim17ROCPRIM_400000_NS6detail17trampoline_kernelINS0_14default_configENS1_20scan_config_selectorIxEEZZNS1_9scan_implILNS1_25lookback_scan_determinismE0ELb0ELb0ES3_N6thrust23THRUST_200600_302600_NS6detail15normal_iteratorINS9_10device_ptrIxEEEESE_xNS9_4plusIvEExEEDaPvRmT3_T4_T5_mT6_P12ihipStream_tbENKUlT_T0_E_clISt17integral_constantIbLb0EEST_IbLb1EEEEDaSP_SQ_EUlSP_E_NS1_11comp_targetILNS1_3genE8ELNS1_11target_archE1030ELNS1_3gpuE2ELNS1_3repE0EEENS1_30default_config_static_selectorELNS0_4arch9wavefront6targetE1EEEvT1_,comdat
.Lfunc_end77:
	.size	_ZN7rocprim17ROCPRIM_400000_NS6detail17trampoline_kernelINS0_14default_configENS1_20scan_config_selectorIxEEZZNS1_9scan_implILNS1_25lookback_scan_determinismE0ELb0ELb0ES3_N6thrust23THRUST_200600_302600_NS6detail15normal_iteratorINS9_10device_ptrIxEEEESE_xNS9_4plusIvEExEEDaPvRmT3_T4_T5_mT6_P12ihipStream_tbENKUlT_T0_E_clISt17integral_constantIbLb0EEST_IbLb1EEEEDaSP_SQ_EUlSP_E_NS1_11comp_targetILNS1_3genE8ELNS1_11target_archE1030ELNS1_3gpuE2ELNS1_3repE0EEENS1_30default_config_static_selectorELNS0_4arch9wavefront6targetE1EEEvT1_, .Lfunc_end77-_ZN7rocprim17ROCPRIM_400000_NS6detail17trampoline_kernelINS0_14default_configENS1_20scan_config_selectorIxEEZZNS1_9scan_implILNS1_25lookback_scan_determinismE0ELb0ELb0ES3_N6thrust23THRUST_200600_302600_NS6detail15normal_iteratorINS9_10device_ptrIxEEEESE_xNS9_4plusIvEExEEDaPvRmT3_T4_T5_mT6_P12ihipStream_tbENKUlT_T0_E_clISt17integral_constantIbLb0EEST_IbLb1EEEEDaSP_SQ_EUlSP_E_NS1_11comp_targetILNS1_3genE8ELNS1_11target_archE1030ELNS1_3gpuE2ELNS1_3repE0EEENS1_30default_config_static_selectorELNS0_4arch9wavefront6targetE1EEEvT1_
                                        ; -- End function
	.section	.AMDGPU.csdata,"",@progbits
; Kernel info:
; codeLenInByte = 0
; NumSgprs: 4
; NumVgprs: 0
; NumAgprs: 0
; TotalNumVgprs: 0
; ScratchSize: 0
; MemoryBound: 0
; FloatMode: 240
; IeeeMode: 1
; LDSByteSize: 0 bytes/workgroup (compile time only)
; SGPRBlocks: 0
; VGPRBlocks: 0
; NumSGPRsForWavesPerEU: 4
; NumVGPRsForWavesPerEU: 1
; AccumOffset: 4
; Occupancy: 8
; WaveLimiterHint : 0
; COMPUTE_PGM_RSRC2:SCRATCH_EN: 0
; COMPUTE_PGM_RSRC2:USER_SGPR: 6
; COMPUTE_PGM_RSRC2:TRAP_HANDLER: 0
; COMPUTE_PGM_RSRC2:TGID_X_EN: 1
; COMPUTE_PGM_RSRC2:TGID_Y_EN: 0
; COMPUTE_PGM_RSRC2:TGID_Z_EN: 0
; COMPUTE_PGM_RSRC2:TIDIG_COMP_CNT: 0
; COMPUTE_PGM_RSRC3_GFX90A:ACCUM_OFFSET: 0
; COMPUTE_PGM_RSRC3_GFX90A:TG_SPLIT: 0
	.section	.text._ZN7rocprim17ROCPRIM_400000_NS6detail17trampoline_kernelINS0_14default_configENS1_20scan_config_selectorIxEEZZNS1_9scan_implILNS1_25lookback_scan_determinismE0ELb0ELb0ES3_N6thrust23THRUST_200600_302600_NS6detail15normal_iteratorINS9_10device_ptrIxEEEESE_xNS9_4plusIvEExEEDaPvRmT3_T4_T5_mT6_P12ihipStream_tbENKUlT_T0_E_clISt17integral_constantIbLb0EEST_IbLb1EEEEDaSP_SQ_EUlSP_E0_NS1_11comp_targetILNS1_3genE0ELNS1_11target_archE4294967295ELNS1_3gpuE0ELNS1_3repE0EEENS1_30default_config_static_selectorELNS0_4arch9wavefront6targetE1EEEvT1_,"axG",@progbits,_ZN7rocprim17ROCPRIM_400000_NS6detail17trampoline_kernelINS0_14default_configENS1_20scan_config_selectorIxEEZZNS1_9scan_implILNS1_25lookback_scan_determinismE0ELb0ELb0ES3_N6thrust23THRUST_200600_302600_NS6detail15normal_iteratorINS9_10device_ptrIxEEEESE_xNS9_4plusIvEExEEDaPvRmT3_T4_T5_mT6_P12ihipStream_tbENKUlT_T0_E_clISt17integral_constantIbLb0EEST_IbLb1EEEEDaSP_SQ_EUlSP_E0_NS1_11comp_targetILNS1_3genE0ELNS1_11target_archE4294967295ELNS1_3gpuE0ELNS1_3repE0EEENS1_30default_config_static_selectorELNS0_4arch9wavefront6targetE1EEEvT1_,comdat
	.protected	_ZN7rocprim17ROCPRIM_400000_NS6detail17trampoline_kernelINS0_14default_configENS1_20scan_config_selectorIxEEZZNS1_9scan_implILNS1_25lookback_scan_determinismE0ELb0ELb0ES3_N6thrust23THRUST_200600_302600_NS6detail15normal_iteratorINS9_10device_ptrIxEEEESE_xNS9_4plusIvEExEEDaPvRmT3_T4_T5_mT6_P12ihipStream_tbENKUlT_T0_E_clISt17integral_constantIbLb0EEST_IbLb1EEEEDaSP_SQ_EUlSP_E0_NS1_11comp_targetILNS1_3genE0ELNS1_11target_archE4294967295ELNS1_3gpuE0ELNS1_3repE0EEENS1_30default_config_static_selectorELNS0_4arch9wavefront6targetE1EEEvT1_ ; -- Begin function _ZN7rocprim17ROCPRIM_400000_NS6detail17trampoline_kernelINS0_14default_configENS1_20scan_config_selectorIxEEZZNS1_9scan_implILNS1_25lookback_scan_determinismE0ELb0ELb0ES3_N6thrust23THRUST_200600_302600_NS6detail15normal_iteratorINS9_10device_ptrIxEEEESE_xNS9_4plusIvEExEEDaPvRmT3_T4_T5_mT6_P12ihipStream_tbENKUlT_T0_E_clISt17integral_constantIbLb0EEST_IbLb1EEEEDaSP_SQ_EUlSP_E0_NS1_11comp_targetILNS1_3genE0ELNS1_11target_archE4294967295ELNS1_3gpuE0ELNS1_3repE0EEENS1_30default_config_static_selectorELNS0_4arch9wavefront6targetE1EEEvT1_
	.globl	_ZN7rocprim17ROCPRIM_400000_NS6detail17trampoline_kernelINS0_14default_configENS1_20scan_config_selectorIxEEZZNS1_9scan_implILNS1_25lookback_scan_determinismE0ELb0ELb0ES3_N6thrust23THRUST_200600_302600_NS6detail15normal_iteratorINS9_10device_ptrIxEEEESE_xNS9_4plusIvEExEEDaPvRmT3_T4_T5_mT6_P12ihipStream_tbENKUlT_T0_E_clISt17integral_constantIbLb0EEST_IbLb1EEEEDaSP_SQ_EUlSP_E0_NS1_11comp_targetILNS1_3genE0ELNS1_11target_archE4294967295ELNS1_3gpuE0ELNS1_3repE0EEENS1_30default_config_static_selectorELNS0_4arch9wavefront6targetE1EEEvT1_
	.p2align	8
	.type	_ZN7rocprim17ROCPRIM_400000_NS6detail17trampoline_kernelINS0_14default_configENS1_20scan_config_selectorIxEEZZNS1_9scan_implILNS1_25lookback_scan_determinismE0ELb0ELb0ES3_N6thrust23THRUST_200600_302600_NS6detail15normal_iteratorINS9_10device_ptrIxEEEESE_xNS9_4plusIvEExEEDaPvRmT3_T4_T5_mT6_P12ihipStream_tbENKUlT_T0_E_clISt17integral_constantIbLb0EEST_IbLb1EEEEDaSP_SQ_EUlSP_E0_NS1_11comp_targetILNS1_3genE0ELNS1_11target_archE4294967295ELNS1_3gpuE0ELNS1_3repE0EEENS1_30default_config_static_selectorELNS0_4arch9wavefront6targetE1EEEvT1_,@function
_ZN7rocprim17ROCPRIM_400000_NS6detail17trampoline_kernelINS0_14default_configENS1_20scan_config_selectorIxEEZZNS1_9scan_implILNS1_25lookback_scan_determinismE0ELb0ELb0ES3_N6thrust23THRUST_200600_302600_NS6detail15normal_iteratorINS9_10device_ptrIxEEEESE_xNS9_4plusIvEExEEDaPvRmT3_T4_T5_mT6_P12ihipStream_tbENKUlT_T0_E_clISt17integral_constantIbLb0EEST_IbLb1EEEEDaSP_SQ_EUlSP_E0_NS1_11comp_targetILNS1_3genE0ELNS1_11target_archE4294967295ELNS1_3gpuE0ELNS1_3repE0EEENS1_30default_config_static_selectorELNS0_4arch9wavefront6targetE1EEEvT1_: ; @_ZN7rocprim17ROCPRIM_400000_NS6detail17trampoline_kernelINS0_14default_configENS1_20scan_config_selectorIxEEZZNS1_9scan_implILNS1_25lookback_scan_determinismE0ELb0ELb0ES3_N6thrust23THRUST_200600_302600_NS6detail15normal_iteratorINS9_10device_ptrIxEEEESE_xNS9_4plusIvEExEEDaPvRmT3_T4_T5_mT6_P12ihipStream_tbENKUlT_T0_E_clISt17integral_constantIbLb0EEST_IbLb1EEEEDaSP_SQ_EUlSP_E0_NS1_11comp_targetILNS1_3genE0ELNS1_11target_archE4294967295ELNS1_3gpuE0ELNS1_3repE0EEENS1_30default_config_static_selectorELNS0_4arch9wavefront6targetE1EEEvT1_
; %bb.0:
	.section	.rodata,"a",@progbits
	.p2align	6, 0x0
	.amdhsa_kernel _ZN7rocprim17ROCPRIM_400000_NS6detail17trampoline_kernelINS0_14default_configENS1_20scan_config_selectorIxEEZZNS1_9scan_implILNS1_25lookback_scan_determinismE0ELb0ELb0ES3_N6thrust23THRUST_200600_302600_NS6detail15normal_iteratorINS9_10device_ptrIxEEEESE_xNS9_4plusIvEExEEDaPvRmT3_T4_T5_mT6_P12ihipStream_tbENKUlT_T0_E_clISt17integral_constantIbLb0EEST_IbLb1EEEEDaSP_SQ_EUlSP_E0_NS1_11comp_targetILNS1_3genE0ELNS1_11target_archE4294967295ELNS1_3gpuE0ELNS1_3repE0EEENS1_30default_config_static_selectorELNS0_4arch9wavefront6targetE1EEEvT1_
		.amdhsa_group_segment_fixed_size 0
		.amdhsa_private_segment_fixed_size 0
		.amdhsa_kernarg_size 40
		.amdhsa_user_sgpr_count 6
		.amdhsa_user_sgpr_private_segment_buffer 1
		.amdhsa_user_sgpr_dispatch_ptr 0
		.amdhsa_user_sgpr_queue_ptr 0
		.amdhsa_user_sgpr_kernarg_segment_ptr 1
		.amdhsa_user_sgpr_dispatch_id 0
		.amdhsa_user_sgpr_flat_scratch_init 0
		.amdhsa_user_sgpr_kernarg_preload_length 0
		.amdhsa_user_sgpr_kernarg_preload_offset 0
		.amdhsa_user_sgpr_private_segment_size 0
		.amdhsa_uses_dynamic_stack 0
		.amdhsa_system_sgpr_private_segment_wavefront_offset 0
		.amdhsa_system_sgpr_workgroup_id_x 1
		.amdhsa_system_sgpr_workgroup_id_y 0
		.amdhsa_system_sgpr_workgroup_id_z 0
		.amdhsa_system_sgpr_workgroup_info 0
		.amdhsa_system_vgpr_workitem_id 0
		.amdhsa_next_free_vgpr 1
		.amdhsa_next_free_sgpr 0
		.amdhsa_accum_offset 4
		.amdhsa_reserve_vcc 0
		.amdhsa_reserve_flat_scratch 0
		.amdhsa_float_round_mode_32 0
		.amdhsa_float_round_mode_16_64 0
		.amdhsa_float_denorm_mode_32 3
		.amdhsa_float_denorm_mode_16_64 3
		.amdhsa_dx10_clamp 1
		.amdhsa_ieee_mode 1
		.amdhsa_fp16_overflow 0
		.amdhsa_tg_split 0
		.amdhsa_exception_fp_ieee_invalid_op 0
		.amdhsa_exception_fp_denorm_src 0
		.amdhsa_exception_fp_ieee_div_zero 0
		.amdhsa_exception_fp_ieee_overflow 0
		.amdhsa_exception_fp_ieee_underflow 0
		.amdhsa_exception_fp_ieee_inexact 0
		.amdhsa_exception_int_div_zero 0
	.end_amdhsa_kernel
	.section	.text._ZN7rocprim17ROCPRIM_400000_NS6detail17trampoline_kernelINS0_14default_configENS1_20scan_config_selectorIxEEZZNS1_9scan_implILNS1_25lookback_scan_determinismE0ELb0ELb0ES3_N6thrust23THRUST_200600_302600_NS6detail15normal_iteratorINS9_10device_ptrIxEEEESE_xNS9_4plusIvEExEEDaPvRmT3_T4_T5_mT6_P12ihipStream_tbENKUlT_T0_E_clISt17integral_constantIbLb0EEST_IbLb1EEEEDaSP_SQ_EUlSP_E0_NS1_11comp_targetILNS1_3genE0ELNS1_11target_archE4294967295ELNS1_3gpuE0ELNS1_3repE0EEENS1_30default_config_static_selectorELNS0_4arch9wavefront6targetE1EEEvT1_,"axG",@progbits,_ZN7rocprim17ROCPRIM_400000_NS6detail17trampoline_kernelINS0_14default_configENS1_20scan_config_selectorIxEEZZNS1_9scan_implILNS1_25lookback_scan_determinismE0ELb0ELb0ES3_N6thrust23THRUST_200600_302600_NS6detail15normal_iteratorINS9_10device_ptrIxEEEESE_xNS9_4plusIvEExEEDaPvRmT3_T4_T5_mT6_P12ihipStream_tbENKUlT_T0_E_clISt17integral_constantIbLb0EEST_IbLb1EEEEDaSP_SQ_EUlSP_E0_NS1_11comp_targetILNS1_3genE0ELNS1_11target_archE4294967295ELNS1_3gpuE0ELNS1_3repE0EEENS1_30default_config_static_selectorELNS0_4arch9wavefront6targetE1EEEvT1_,comdat
.Lfunc_end78:
	.size	_ZN7rocprim17ROCPRIM_400000_NS6detail17trampoline_kernelINS0_14default_configENS1_20scan_config_selectorIxEEZZNS1_9scan_implILNS1_25lookback_scan_determinismE0ELb0ELb0ES3_N6thrust23THRUST_200600_302600_NS6detail15normal_iteratorINS9_10device_ptrIxEEEESE_xNS9_4plusIvEExEEDaPvRmT3_T4_T5_mT6_P12ihipStream_tbENKUlT_T0_E_clISt17integral_constantIbLb0EEST_IbLb1EEEEDaSP_SQ_EUlSP_E0_NS1_11comp_targetILNS1_3genE0ELNS1_11target_archE4294967295ELNS1_3gpuE0ELNS1_3repE0EEENS1_30default_config_static_selectorELNS0_4arch9wavefront6targetE1EEEvT1_, .Lfunc_end78-_ZN7rocprim17ROCPRIM_400000_NS6detail17trampoline_kernelINS0_14default_configENS1_20scan_config_selectorIxEEZZNS1_9scan_implILNS1_25lookback_scan_determinismE0ELb0ELb0ES3_N6thrust23THRUST_200600_302600_NS6detail15normal_iteratorINS9_10device_ptrIxEEEESE_xNS9_4plusIvEExEEDaPvRmT3_T4_T5_mT6_P12ihipStream_tbENKUlT_T0_E_clISt17integral_constantIbLb0EEST_IbLb1EEEEDaSP_SQ_EUlSP_E0_NS1_11comp_targetILNS1_3genE0ELNS1_11target_archE4294967295ELNS1_3gpuE0ELNS1_3repE0EEENS1_30default_config_static_selectorELNS0_4arch9wavefront6targetE1EEEvT1_
                                        ; -- End function
	.section	.AMDGPU.csdata,"",@progbits
; Kernel info:
; codeLenInByte = 0
; NumSgprs: 4
; NumVgprs: 0
; NumAgprs: 0
; TotalNumVgprs: 0
; ScratchSize: 0
; MemoryBound: 0
; FloatMode: 240
; IeeeMode: 1
; LDSByteSize: 0 bytes/workgroup (compile time only)
; SGPRBlocks: 0
; VGPRBlocks: 0
; NumSGPRsForWavesPerEU: 4
; NumVGPRsForWavesPerEU: 1
; AccumOffset: 4
; Occupancy: 8
; WaveLimiterHint : 0
; COMPUTE_PGM_RSRC2:SCRATCH_EN: 0
; COMPUTE_PGM_RSRC2:USER_SGPR: 6
; COMPUTE_PGM_RSRC2:TRAP_HANDLER: 0
; COMPUTE_PGM_RSRC2:TGID_X_EN: 1
; COMPUTE_PGM_RSRC2:TGID_Y_EN: 0
; COMPUTE_PGM_RSRC2:TGID_Z_EN: 0
; COMPUTE_PGM_RSRC2:TIDIG_COMP_CNT: 0
; COMPUTE_PGM_RSRC3_GFX90A:ACCUM_OFFSET: 0
; COMPUTE_PGM_RSRC3_GFX90A:TG_SPLIT: 0
	.section	.text._ZN7rocprim17ROCPRIM_400000_NS6detail17trampoline_kernelINS0_14default_configENS1_20scan_config_selectorIxEEZZNS1_9scan_implILNS1_25lookback_scan_determinismE0ELb0ELb0ES3_N6thrust23THRUST_200600_302600_NS6detail15normal_iteratorINS9_10device_ptrIxEEEESE_xNS9_4plusIvEExEEDaPvRmT3_T4_T5_mT6_P12ihipStream_tbENKUlT_T0_E_clISt17integral_constantIbLb0EEST_IbLb1EEEEDaSP_SQ_EUlSP_E0_NS1_11comp_targetILNS1_3genE5ELNS1_11target_archE942ELNS1_3gpuE9ELNS1_3repE0EEENS1_30default_config_static_selectorELNS0_4arch9wavefront6targetE1EEEvT1_,"axG",@progbits,_ZN7rocprim17ROCPRIM_400000_NS6detail17trampoline_kernelINS0_14default_configENS1_20scan_config_selectorIxEEZZNS1_9scan_implILNS1_25lookback_scan_determinismE0ELb0ELb0ES3_N6thrust23THRUST_200600_302600_NS6detail15normal_iteratorINS9_10device_ptrIxEEEESE_xNS9_4plusIvEExEEDaPvRmT3_T4_T5_mT6_P12ihipStream_tbENKUlT_T0_E_clISt17integral_constantIbLb0EEST_IbLb1EEEEDaSP_SQ_EUlSP_E0_NS1_11comp_targetILNS1_3genE5ELNS1_11target_archE942ELNS1_3gpuE9ELNS1_3repE0EEENS1_30default_config_static_selectorELNS0_4arch9wavefront6targetE1EEEvT1_,comdat
	.protected	_ZN7rocprim17ROCPRIM_400000_NS6detail17trampoline_kernelINS0_14default_configENS1_20scan_config_selectorIxEEZZNS1_9scan_implILNS1_25lookback_scan_determinismE0ELb0ELb0ES3_N6thrust23THRUST_200600_302600_NS6detail15normal_iteratorINS9_10device_ptrIxEEEESE_xNS9_4plusIvEExEEDaPvRmT3_T4_T5_mT6_P12ihipStream_tbENKUlT_T0_E_clISt17integral_constantIbLb0EEST_IbLb1EEEEDaSP_SQ_EUlSP_E0_NS1_11comp_targetILNS1_3genE5ELNS1_11target_archE942ELNS1_3gpuE9ELNS1_3repE0EEENS1_30default_config_static_selectorELNS0_4arch9wavefront6targetE1EEEvT1_ ; -- Begin function _ZN7rocprim17ROCPRIM_400000_NS6detail17trampoline_kernelINS0_14default_configENS1_20scan_config_selectorIxEEZZNS1_9scan_implILNS1_25lookback_scan_determinismE0ELb0ELb0ES3_N6thrust23THRUST_200600_302600_NS6detail15normal_iteratorINS9_10device_ptrIxEEEESE_xNS9_4plusIvEExEEDaPvRmT3_T4_T5_mT6_P12ihipStream_tbENKUlT_T0_E_clISt17integral_constantIbLb0EEST_IbLb1EEEEDaSP_SQ_EUlSP_E0_NS1_11comp_targetILNS1_3genE5ELNS1_11target_archE942ELNS1_3gpuE9ELNS1_3repE0EEENS1_30default_config_static_selectorELNS0_4arch9wavefront6targetE1EEEvT1_
	.globl	_ZN7rocprim17ROCPRIM_400000_NS6detail17trampoline_kernelINS0_14default_configENS1_20scan_config_selectorIxEEZZNS1_9scan_implILNS1_25lookback_scan_determinismE0ELb0ELb0ES3_N6thrust23THRUST_200600_302600_NS6detail15normal_iteratorINS9_10device_ptrIxEEEESE_xNS9_4plusIvEExEEDaPvRmT3_T4_T5_mT6_P12ihipStream_tbENKUlT_T0_E_clISt17integral_constantIbLb0EEST_IbLb1EEEEDaSP_SQ_EUlSP_E0_NS1_11comp_targetILNS1_3genE5ELNS1_11target_archE942ELNS1_3gpuE9ELNS1_3repE0EEENS1_30default_config_static_selectorELNS0_4arch9wavefront6targetE1EEEvT1_
	.p2align	8
	.type	_ZN7rocprim17ROCPRIM_400000_NS6detail17trampoline_kernelINS0_14default_configENS1_20scan_config_selectorIxEEZZNS1_9scan_implILNS1_25lookback_scan_determinismE0ELb0ELb0ES3_N6thrust23THRUST_200600_302600_NS6detail15normal_iteratorINS9_10device_ptrIxEEEESE_xNS9_4plusIvEExEEDaPvRmT3_T4_T5_mT6_P12ihipStream_tbENKUlT_T0_E_clISt17integral_constantIbLb0EEST_IbLb1EEEEDaSP_SQ_EUlSP_E0_NS1_11comp_targetILNS1_3genE5ELNS1_11target_archE942ELNS1_3gpuE9ELNS1_3repE0EEENS1_30default_config_static_selectorELNS0_4arch9wavefront6targetE1EEEvT1_,@function
_ZN7rocprim17ROCPRIM_400000_NS6detail17trampoline_kernelINS0_14default_configENS1_20scan_config_selectorIxEEZZNS1_9scan_implILNS1_25lookback_scan_determinismE0ELb0ELb0ES3_N6thrust23THRUST_200600_302600_NS6detail15normal_iteratorINS9_10device_ptrIxEEEESE_xNS9_4plusIvEExEEDaPvRmT3_T4_T5_mT6_P12ihipStream_tbENKUlT_T0_E_clISt17integral_constantIbLb0EEST_IbLb1EEEEDaSP_SQ_EUlSP_E0_NS1_11comp_targetILNS1_3genE5ELNS1_11target_archE942ELNS1_3gpuE9ELNS1_3repE0EEENS1_30default_config_static_selectorELNS0_4arch9wavefront6targetE1EEEvT1_: ; @_ZN7rocprim17ROCPRIM_400000_NS6detail17trampoline_kernelINS0_14default_configENS1_20scan_config_selectorIxEEZZNS1_9scan_implILNS1_25lookback_scan_determinismE0ELb0ELb0ES3_N6thrust23THRUST_200600_302600_NS6detail15normal_iteratorINS9_10device_ptrIxEEEESE_xNS9_4plusIvEExEEDaPvRmT3_T4_T5_mT6_P12ihipStream_tbENKUlT_T0_E_clISt17integral_constantIbLb0EEST_IbLb1EEEEDaSP_SQ_EUlSP_E0_NS1_11comp_targetILNS1_3genE5ELNS1_11target_archE942ELNS1_3gpuE9ELNS1_3repE0EEENS1_30default_config_static_selectorELNS0_4arch9wavefront6targetE1EEEvT1_
; %bb.0:
	.section	.rodata,"a",@progbits
	.p2align	6, 0x0
	.amdhsa_kernel _ZN7rocprim17ROCPRIM_400000_NS6detail17trampoline_kernelINS0_14default_configENS1_20scan_config_selectorIxEEZZNS1_9scan_implILNS1_25lookback_scan_determinismE0ELb0ELb0ES3_N6thrust23THRUST_200600_302600_NS6detail15normal_iteratorINS9_10device_ptrIxEEEESE_xNS9_4plusIvEExEEDaPvRmT3_T4_T5_mT6_P12ihipStream_tbENKUlT_T0_E_clISt17integral_constantIbLb0EEST_IbLb1EEEEDaSP_SQ_EUlSP_E0_NS1_11comp_targetILNS1_3genE5ELNS1_11target_archE942ELNS1_3gpuE9ELNS1_3repE0EEENS1_30default_config_static_selectorELNS0_4arch9wavefront6targetE1EEEvT1_
		.amdhsa_group_segment_fixed_size 0
		.amdhsa_private_segment_fixed_size 0
		.amdhsa_kernarg_size 40
		.amdhsa_user_sgpr_count 6
		.amdhsa_user_sgpr_private_segment_buffer 1
		.amdhsa_user_sgpr_dispatch_ptr 0
		.amdhsa_user_sgpr_queue_ptr 0
		.amdhsa_user_sgpr_kernarg_segment_ptr 1
		.amdhsa_user_sgpr_dispatch_id 0
		.amdhsa_user_sgpr_flat_scratch_init 0
		.amdhsa_user_sgpr_kernarg_preload_length 0
		.amdhsa_user_sgpr_kernarg_preload_offset 0
		.amdhsa_user_sgpr_private_segment_size 0
		.amdhsa_uses_dynamic_stack 0
		.amdhsa_system_sgpr_private_segment_wavefront_offset 0
		.amdhsa_system_sgpr_workgroup_id_x 1
		.amdhsa_system_sgpr_workgroup_id_y 0
		.amdhsa_system_sgpr_workgroup_id_z 0
		.amdhsa_system_sgpr_workgroup_info 0
		.amdhsa_system_vgpr_workitem_id 0
		.amdhsa_next_free_vgpr 1
		.amdhsa_next_free_sgpr 0
		.amdhsa_accum_offset 4
		.amdhsa_reserve_vcc 0
		.amdhsa_reserve_flat_scratch 0
		.amdhsa_float_round_mode_32 0
		.amdhsa_float_round_mode_16_64 0
		.amdhsa_float_denorm_mode_32 3
		.amdhsa_float_denorm_mode_16_64 3
		.amdhsa_dx10_clamp 1
		.amdhsa_ieee_mode 1
		.amdhsa_fp16_overflow 0
		.amdhsa_tg_split 0
		.amdhsa_exception_fp_ieee_invalid_op 0
		.amdhsa_exception_fp_denorm_src 0
		.amdhsa_exception_fp_ieee_div_zero 0
		.amdhsa_exception_fp_ieee_overflow 0
		.amdhsa_exception_fp_ieee_underflow 0
		.amdhsa_exception_fp_ieee_inexact 0
		.amdhsa_exception_int_div_zero 0
	.end_amdhsa_kernel
	.section	.text._ZN7rocprim17ROCPRIM_400000_NS6detail17trampoline_kernelINS0_14default_configENS1_20scan_config_selectorIxEEZZNS1_9scan_implILNS1_25lookback_scan_determinismE0ELb0ELb0ES3_N6thrust23THRUST_200600_302600_NS6detail15normal_iteratorINS9_10device_ptrIxEEEESE_xNS9_4plusIvEExEEDaPvRmT3_T4_T5_mT6_P12ihipStream_tbENKUlT_T0_E_clISt17integral_constantIbLb0EEST_IbLb1EEEEDaSP_SQ_EUlSP_E0_NS1_11comp_targetILNS1_3genE5ELNS1_11target_archE942ELNS1_3gpuE9ELNS1_3repE0EEENS1_30default_config_static_selectorELNS0_4arch9wavefront6targetE1EEEvT1_,"axG",@progbits,_ZN7rocprim17ROCPRIM_400000_NS6detail17trampoline_kernelINS0_14default_configENS1_20scan_config_selectorIxEEZZNS1_9scan_implILNS1_25lookback_scan_determinismE0ELb0ELb0ES3_N6thrust23THRUST_200600_302600_NS6detail15normal_iteratorINS9_10device_ptrIxEEEESE_xNS9_4plusIvEExEEDaPvRmT3_T4_T5_mT6_P12ihipStream_tbENKUlT_T0_E_clISt17integral_constantIbLb0EEST_IbLb1EEEEDaSP_SQ_EUlSP_E0_NS1_11comp_targetILNS1_3genE5ELNS1_11target_archE942ELNS1_3gpuE9ELNS1_3repE0EEENS1_30default_config_static_selectorELNS0_4arch9wavefront6targetE1EEEvT1_,comdat
.Lfunc_end79:
	.size	_ZN7rocprim17ROCPRIM_400000_NS6detail17trampoline_kernelINS0_14default_configENS1_20scan_config_selectorIxEEZZNS1_9scan_implILNS1_25lookback_scan_determinismE0ELb0ELb0ES3_N6thrust23THRUST_200600_302600_NS6detail15normal_iteratorINS9_10device_ptrIxEEEESE_xNS9_4plusIvEExEEDaPvRmT3_T4_T5_mT6_P12ihipStream_tbENKUlT_T0_E_clISt17integral_constantIbLb0EEST_IbLb1EEEEDaSP_SQ_EUlSP_E0_NS1_11comp_targetILNS1_3genE5ELNS1_11target_archE942ELNS1_3gpuE9ELNS1_3repE0EEENS1_30default_config_static_selectorELNS0_4arch9wavefront6targetE1EEEvT1_, .Lfunc_end79-_ZN7rocprim17ROCPRIM_400000_NS6detail17trampoline_kernelINS0_14default_configENS1_20scan_config_selectorIxEEZZNS1_9scan_implILNS1_25lookback_scan_determinismE0ELb0ELb0ES3_N6thrust23THRUST_200600_302600_NS6detail15normal_iteratorINS9_10device_ptrIxEEEESE_xNS9_4plusIvEExEEDaPvRmT3_T4_T5_mT6_P12ihipStream_tbENKUlT_T0_E_clISt17integral_constantIbLb0EEST_IbLb1EEEEDaSP_SQ_EUlSP_E0_NS1_11comp_targetILNS1_3genE5ELNS1_11target_archE942ELNS1_3gpuE9ELNS1_3repE0EEENS1_30default_config_static_selectorELNS0_4arch9wavefront6targetE1EEEvT1_
                                        ; -- End function
	.section	.AMDGPU.csdata,"",@progbits
; Kernel info:
; codeLenInByte = 0
; NumSgprs: 4
; NumVgprs: 0
; NumAgprs: 0
; TotalNumVgprs: 0
; ScratchSize: 0
; MemoryBound: 0
; FloatMode: 240
; IeeeMode: 1
; LDSByteSize: 0 bytes/workgroup (compile time only)
; SGPRBlocks: 0
; VGPRBlocks: 0
; NumSGPRsForWavesPerEU: 4
; NumVGPRsForWavesPerEU: 1
; AccumOffset: 4
; Occupancy: 8
; WaveLimiterHint : 0
; COMPUTE_PGM_RSRC2:SCRATCH_EN: 0
; COMPUTE_PGM_RSRC2:USER_SGPR: 6
; COMPUTE_PGM_RSRC2:TRAP_HANDLER: 0
; COMPUTE_PGM_RSRC2:TGID_X_EN: 1
; COMPUTE_PGM_RSRC2:TGID_Y_EN: 0
; COMPUTE_PGM_RSRC2:TGID_Z_EN: 0
; COMPUTE_PGM_RSRC2:TIDIG_COMP_CNT: 0
; COMPUTE_PGM_RSRC3_GFX90A:ACCUM_OFFSET: 0
; COMPUTE_PGM_RSRC3_GFX90A:TG_SPLIT: 0
	.section	.text._ZN7rocprim17ROCPRIM_400000_NS6detail17trampoline_kernelINS0_14default_configENS1_20scan_config_selectorIxEEZZNS1_9scan_implILNS1_25lookback_scan_determinismE0ELb0ELb0ES3_N6thrust23THRUST_200600_302600_NS6detail15normal_iteratorINS9_10device_ptrIxEEEESE_xNS9_4plusIvEExEEDaPvRmT3_T4_T5_mT6_P12ihipStream_tbENKUlT_T0_E_clISt17integral_constantIbLb0EEST_IbLb1EEEEDaSP_SQ_EUlSP_E0_NS1_11comp_targetILNS1_3genE4ELNS1_11target_archE910ELNS1_3gpuE8ELNS1_3repE0EEENS1_30default_config_static_selectorELNS0_4arch9wavefront6targetE1EEEvT1_,"axG",@progbits,_ZN7rocprim17ROCPRIM_400000_NS6detail17trampoline_kernelINS0_14default_configENS1_20scan_config_selectorIxEEZZNS1_9scan_implILNS1_25lookback_scan_determinismE0ELb0ELb0ES3_N6thrust23THRUST_200600_302600_NS6detail15normal_iteratorINS9_10device_ptrIxEEEESE_xNS9_4plusIvEExEEDaPvRmT3_T4_T5_mT6_P12ihipStream_tbENKUlT_T0_E_clISt17integral_constantIbLb0EEST_IbLb1EEEEDaSP_SQ_EUlSP_E0_NS1_11comp_targetILNS1_3genE4ELNS1_11target_archE910ELNS1_3gpuE8ELNS1_3repE0EEENS1_30default_config_static_selectorELNS0_4arch9wavefront6targetE1EEEvT1_,comdat
	.protected	_ZN7rocprim17ROCPRIM_400000_NS6detail17trampoline_kernelINS0_14default_configENS1_20scan_config_selectorIxEEZZNS1_9scan_implILNS1_25lookback_scan_determinismE0ELb0ELb0ES3_N6thrust23THRUST_200600_302600_NS6detail15normal_iteratorINS9_10device_ptrIxEEEESE_xNS9_4plusIvEExEEDaPvRmT3_T4_T5_mT6_P12ihipStream_tbENKUlT_T0_E_clISt17integral_constantIbLb0EEST_IbLb1EEEEDaSP_SQ_EUlSP_E0_NS1_11comp_targetILNS1_3genE4ELNS1_11target_archE910ELNS1_3gpuE8ELNS1_3repE0EEENS1_30default_config_static_selectorELNS0_4arch9wavefront6targetE1EEEvT1_ ; -- Begin function _ZN7rocprim17ROCPRIM_400000_NS6detail17trampoline_kernelINS0_14default_configENS1_20scan_config_selectorIxEEZZNS1_9scan_implILNS1_25lookback_scan_determinismE0ELb0ELb0ES3_N6thrust23THRUST_200600_302600_NS6detail15normal_iteratorINS9_10device_ptrIxEEEESE_xNS9_4plusIvEExEEDaPvRmT3_T4_T5_mT6_P12ihipStream_tbENKUlT_T0_E_clISt17integral_constantIbLb0EEST_IbLb1EEEEDaSP_SQ_EUlSP_E0_NS1_11comp_targetILNS1_3genE4ELNS1_11target_archE910ELNS1_3gpuE8ELNS1_3repE0EEENS1_30default_config_static_selectorELNS0_4arch9wavefront6targetE1EEEvT1_
	.globl	_ZN7rocprim17ROCPRIM_400000_NS6detail17trampoline_kernelINS0_14default_configENS1_20scan_config_selectorIxEEZZNS1_9scan_implILNS1_25lookback_scan_determinismE0ELb0ELb0ES3_N6thrust23THRUST_200600_302600_NS6detail15normal_iteratorINS9_10device_ptrIxEEEESE_xNS9_4plusIvEExEEDaPvRmT3_T4_T5_mT6_P12ihipStream_tbENKUlT_T0_E_clISt17integral_constantIbLb0EEST_IbLb1EEEEDaSP_SQ_EUlSP_E0_NS1_11comp_targetILNS1_3genE4ELNS1_11target_archE910ELNS1_3gpuE8ELNS1_3repE0EEENS1_30default_config_static_selectorELNS0_4arch9wavefront6targetE1EEEvT1_
	.p2align	8
	.type	_ZN7rocprim17ROCPRIM_400000_NS6detail17trampoline_kernelINS0_14default_configENS1_20scan_config_selectorIxEEZZNS1_9scan_implILNS1_25lookback_scan_determinismE0ELb0ELb0ES3_N6thrust23THRUST_200600_302600_NS6detail15normal_iteratorINS9_10device_ptrIxEEEESE_xNS9_4plusIvEExEEDaPvRmT3_T4_T5_mT6_P12ihipStream_tbENKUlT_T0_E_clISt17integral_constantIbLb0EEST_IbLb1EEEEDaSP_SQ_EUlSP_E0_NS1_11comp_targetILNS1_3genE4ELNS1_11target_archE910ELNS1_3gpuE8ELNS1_3repE0EEENS1_30default_config_static_selectorELNS0_4arch9wavefront6targetE1EEEvT1_,@function
_ZN7rocprim17ROCPRIM_400000_NS6detail17trampoline_kernelINS0_14default_configENS1_20scan_config_selectorIxEEZZNS1_9scan_implILNS1_25lookback_scan_determinismE0ELb0ELb0ES3_N6thrust23THRUST_200600_302600_NS6detail15normal_iteratorINS9_10device_ptrIxEEEESE_xNS9_4plusIvEExEEDaPvRmT3_T4_T5_mT6_P12ihipStream_tbENKUlT_T0_E_clISt17integral_constantIbLb0EEST_IbLb1EEEEDaSP_SQ_EUlSP_E0_NS1_11comp_targetILNS1_3genE4ELNS1_11target_archE910ELNS1_3gpuE8ELNS1_3repE0EEENS1_30default_config_static_selectorELNS0_4arch9wavefront6targetE1EEEvT1_: ; @_ZN7rocprim17ROCPRIM_400000_NS6detail17trampoline_kernelINS0_14default_configENS1_20scan_config_selectorIxEEZZNS1_9scan_implILNS1_25lookback_scan_determinismE0ELb0ELb0ES3_N6thrust23THRUST_200600_302600_NS6detail15normal_iteratorINS9_10device_ptrIxEEEESE_xNS9_4plusIvEExEEDaPvRmT3_T4_T5_mT6_P12ihipStream_tbENKUlT_T0_E_clISt17integral_constantIbLb0EEST_IbLb1EEEEDaSP_SQ_EUlSP_E0_NS1_11comp_targetILNS1_3genE4ELNS1_11target_archE910ELNS1_3gpuE8ELNS1_3repE0EEENS1_30default_config_static_selectorELNS0_4arch9wavefront6targetE1EEEvT1_
; %bb.0:
	s_load_dwordx4 s[16:19], s[4:5], 0x0
	v_lshlrev_b32_e32 v21, 3, v0
	s_waitcnt lgkmcnt(0)
	s_load_dwordx2 s[14:15], s[16:17], 0x0
	v_cmp_gt_u32_e32 vcc, s18, v0
	s_waitcnt lgkmcnt(0)
	v_pk_mov_b32 v[2:3], s[14:15], s[14:15] op_sel:[0,1]
	s_and_saveexec_b64 s[0:1], vcc
	s_cbranch_execz .LBB80_2
; %bb.1:
	global_load_dwordx2 v[2:3], v21, s[16:17]
.LBB80_2:
	s_or_b64 exec, exec, s[0:1]
	v_or_b32_e32 v1, 0x80, v0
	v_cmp_gt_u32_e64 s[0:1], s18, v1
	v_pk_mov_b32 v[4:5], s[14:15], s[14:15] op_sel:[0,1]
	s_and_saveexec_b64 s[2:3], s[0:1]
	s_cbranch_execz .LBB80_4
; %bb.3:
	global_load_dwordx2 v[4:5], v21, s[16:17] offset:1024
.LBB80_4:
	s_or_b64 exec, exec, s[2:3]
	v_or_b32_e32 v1, 0x100, v0
	v_cmp_gt_u32_e64 s[2:3], s18, v1
	v_pk_mov_b32 v[6:7], s[14:15], s[14:15] op_sel:[0,1]
	s_and_saveexec_b64 s[6:7], s[2:3]
	s_cbranch_execz .LBB80_6
; %bb.5:
	global_load_dwordx2 v[6:7], v21, s[16:17] offset:2048
.LBB80_6:
	;; [unrolled: 9-line block ×3, first 2 shown]
	s_or_b64 exec, exec, s[6:7]
	v_or_b32_e32 v1, 0x200, v0
	v_cmp_gt_u32_e64 s[6:7], s18, v1
	v_pk_mov_b32 v[10:11], s[14:15], s[14:15] op_sel:[0,1]
	s_and_saveexec_b64 s[8:9], s[6:7]
	s_cbranch_execz .LBB80_10
; %bb.9:
	v_lshlrev_b32_e32 v1, 3, v1
	global_load_dwordx2 v[10:11], v1, s[16:17]
.LBB80_10:
	s_or_b64 exec, exec, s[8:9]
	v_or_b32_e32 v1, 0x280, v0
	v_cmp_gt_u32_e64 s[8:9], s18, v1
	v_pk_mov_b32 v[12:13], s[14:15], s[14:15] op_sel:[0,1]
	s_and_saveexec_b64 s[10:11], s[8:9]
	s_cbranch_execz .LBB80_12
; %bb.11:
	v_lshlrev_b32_e32 v1, 3, v1
	global_load_dwordx2 v[12:13], v1, s[16:17]
.LBB80_12:
	;; [unrolled: 10-line block ×3, first 2 shown]
	s_or_b64 exec, exec, s[14:15]
	v_mad_u32_u24 v1, v0, 48, v21
	s_waitcnt vmcnt(0)
	ds_write2st64_b64 v21, v[2:3], v[4:5] offset1:2
	ds_write2st64_b64 v21, v[6:7], v[8:9] offset0:4 offset1:6
	ds_write2st64_b64 v21, v[10:11], v[12:13] offset0:8 offset1:10
	ds_write_b64 v21, v[14:15] offset:6144
	s_waitcnt lgkmcnt(0)
	s_barrier
	ds_read2_b64 v[2:5], v1 offset1:1
	ds_read2_b64 v[6:9], v1 offset0:2 offset1:3
	ds_read2_b64 v[10:13], v1 offset0:4 offset1:5
	ds_read_b64 v[28:29], v1 offset:48
	s_load_dwordx2 s[16:17], s[4:5], 0x20
	s_waitcnt lgkmcnt(0)
	v_add_co_u32_e64 v20, s[4:5], v4, v2
	v_addc_co_u32_e64 v1, s[4:5], v5, v3, s[4:5]
	v_add_co_u32_e64 v18, s[4:5], v20, v6
	v_addc_co_u32_e64 v19, s[4:5], v1, v7, s[4:5]
	;; [unrolled: 2-line block ×5, first 2 shown]
	v_add_co_u32_e64 v30, s[4:5], v26, v28
	v_lshrrev_b32_e32 v14, 2, v0
	v_addc_co_u32_e64 v31, s[4:5], v27, v29, s[4:5]
	v_and_b32_e32 v14, 24, v14
	v_add_u32_e32 v14, v21, v14
	v_cmp_gt_u32_e64 s[4:5], 64, v0
	s_barrier
	ds_write_b64 v14, v[30:31]
	s_waitcnt lgkmcnt(0)
	s_barrier
	s_and_saveexec_b64 s[18:19], s[4:5]
	s_cbranch_execz .LBB80_18
; %bb.15:
	v_lshlrev_b32_e32 v14, 1, v0
	v_lshrrev_b32_e32 v15, 4, v0
	v_add_lshl_u32 v32, v15, v14, 3
	ds_read2_b64 v[14:17], v32 offset1:1
	s_waitcnt lgkmcnt(0)
	v_add_co_u32_e64 v34, s[4:5], v16, v14
	v_addc_co_u32_e64 v35, s[4:5], v17, v15, s[4:5]
	s_nop 0
	v_mov_b32_dpp v17, v34 row_shr:1 row_mask:0xf bank_mask:0xf
	v_add_co_u32_e64 v17, s[4:5], v34, v17
	v_mbcnt_lo_u32_b32 v16, -1, 0
	v_addc_co_u32_e64 v37, s[4:5], 0, v35, s[4:5]
	v_mbcnt_hi_u32_b32 v33, -1, v16
	v_mov_b32_dpp v36, v35 row_shr:1 row_mask:0xf bank_mask:0xf
	v_add_co_u32_e64 v38, s[4:5], 0, v17
	v_and_b32_e32 v16, 15, v33
	v_addc_co_u32_e64 v36, s[4:5], v36, v37, s[4:5]
	v_cmp_eq_u32_e64 s[4:5], 0, v16
	v_cndmask_b32_e64 v17, v17, v34, s[4:5]
	v_cndmask_b32_e64 v36, v36, v35, s[4:5]
	v_cndmask_b32_e64 v37, v38, v34, s[4:5]
	v_mov_b32_dpp v38, v17 row_shr:2 row_mask:0xf bank_mask:0xf
	v_mov_b32_dpp v39, v36 row_shr:2 row_mask:0xf bank_mask:0xf
	v_add_co_u32_e64 v38, s[4:5], v38, v37
	v_addc_co_u32_e64 v39, s[4:5], v39, v36, s[4:5]
	v_cmp_lt_u32_e64 s[4:5], 1, v16
	v_cndmask_b32_e64 v17, v17, v38, s[4:5]
	v_cndmask_b32_e64 v36, v36, v39, s[4:5]
	v_cndmask_b32_e64 v37, v37, v38, s[4:5]
	v_mov_b32_dpp v38, v17 row_shr:4 row_mask:0xf bank_mask:0xf
	v_mov_b32_dpp v39, v36 row_shr:4 row_mask:0xf bank_mask:0xf
	v_add_co_u32_e64 v38, s[4:5], v38, v37
	v_addc_co_u32_e64 v39, s[4:5], v39, v36, s[4:5]
	v_cmp_lt_u32_e64 s[4:5], 3, v16
	;; [unrolled: 8-line block ×3, first 2 shown]
	v_cndmask_b32_e64 v40, v17, v38, s[4:5]
	v_cndmask_b32_e64 v17, v36, v39, s[4:5]
	;; [unrolled: 1-line block ×3, first 2 shown]
	v_mov_b32_dpp v36, v40 row_bcast:15 row_mask:0xf bank_mask:0xf
	v_mov_b32_dpp v37, v17 row_bcast:15 row_mask:0xf bank_mask:0xf
	v_add_co_u32_e64 v36, s[4:5], v36, v16
	v_and_b32_e32 v39, 16, v33
	v_addc_co_u32_e64 v38, s[4:5], v37, v17, s[4:5]
	v_cmp_eq_u32_e64 s[4:5], 0, v39
	v_cndmask_b32_e64 v39, v38, v17, s[4:5]
	v_cndmask_b32_e64 v37, v36, v40, s[4:5]
	v_cmp_ne_u32_e64 s[14:15], 0, v33
	v_mov_b32_dpp v39, v39 row_bcast:31 row_mask:0xf bank_mask:0xf
	v_mov_b32_dpp v37, v37 row_bcast:31 row_mask:0xf bank_mask:0xf
	s_and_saveexec_b64 s[20:21], s[14:15]
; %bb.16:
	v_cndmask_b32_e64 v17, v38, v17, s[4:5]
	v_cndmask_b32_e64 v16, v36, v16, s[4:5]
	v_cmp_lt_u32_e64 s[4:5], 31, v33
	v_cndmask_b32_e64 v34, 0, v37, s[4:5]
	v_cndmask_b32_e64 v35, 0, v39, s[4:5]
	v_add_co_u32_e64 v34, s[4:5], v34, v16
	v_addc_co_u32_e64 v35, s[4:5], v35, v17, s[4:5]
; %bb.17:
	s_or_b64 exec, exec, s[20:21]
	v_add_u32_e32 v16, -1, v33
	v_and_b32_e32 v17, 64, v33
	v_cmp_lt_i32_e64 s[4:5], v16, v17
	v_cndmask_b32_e64 v16, v16, v33, s[4:5]
	v_lshlrev_b32_e32 v16, 2, v16
	ds_bpermute_b32 v17, v16, v34
	ds_bpermute_b32 v16, v16, v35
	; wave barrier
	s_waitcnt lgkmcnt(1)
	v_add_co_u32_e64 v14, s[4:5], v14, v17
	v_addc_co_u32_e64 v15, s[4:5], 0, v15, s[4:5]
	v_add_co_u32_e64 v14, s[4:5], 0, v14
	s_waitcnt lgkmcnt(0)
	v_addc_co_u32_e64 v15, s[4:5], v15, v16, s[4:5]
	v_cmp_eq_u32_e64 s[4:5], 0, v0
	v_cndmask_b32_e64 v15, v15, v31, s[4:5]
	v_cndmask_b32_e64 v14, v14, v30, s[4:5]
	ds_write_b64 v32, v[14:15]
	; wave barrier
	ds_read_b64 v[16:17], v32 offset:8
	s_waitcnt lgkmcnt(0)
	v_add_co_u32_e64 v14, s[4:5], v16, v14
	v_addc_co_u32_e64 v15, s[4:5], v17, v15, s[4:5]
	ds_write_b64 v32, v[14:15] offset:8
.LBB80_18:
	s_or_b64 exec, exec, s[18:19]
	v_mul_u32_u24_e32 v16, 48, v0
	v_cmp_ne_u32_e64 s[4:5], 0, v0
	v_pk_mov_b32 v[14:15], v[30:31], v[30:31] op_sel:[0,1]
	s_waitcnt lgkmcnt(0)
	s_barrier
	s_and_saveexec_b64 s[14:15], s[4:5]
	s_cbranch_execz .LBB80_20
; %bb.19:
	v_add_u32_e32 v0, -1, v0
	v_lshrrev_b32_e32 v14, 5, v0
	v_add_lshl_u32 v0, v14, v0, 3
	ds_read_b64 v[14:15], v0
.LBB80_20:
	s_or_b64 exec, exec, s[14:15]
	s_and_saveexec_b64 s[14:15], s[4:5]
	s_cbranch_execz .LBB80_22
; %bb.21:
	s_waitcnt lgkmcnt(0)
	v_add_co_u32_e64 v2, s[4:5], v14, v2
	v_addc_co_u32_e64 v3, s[4:5], v15, v3, s[4:5]
	v_add_co_u32_e64 v20, s[4:5], v2, v4
	v_addc_co_u32_e64 v1, s[4:5], v3, v5, s[4:5]
	;; [unrolled: 2-line block ×7, first 2 shown]
	;;#ASMSTART
	;;#ASMEND
.LBB80_22:
	s_or_b64 exec, exec, s[14:15]
	v_add_u32_e32 v4, v21, v16
	v_mov_b32_e32 v0, v20
	s_waitcnt lgkmcnt(0)
	s_barrier
	ds_write2_b64 v4, v[2:3], v[0:1] offset1:1
	ds_write2_b64 v4, v[18:19], v[24:25] offset0:2 offset1:3
	ds_write2_b64 v4, v[22:23], v[26:27] offset0:4 offset1:5
	ds_write_b64 v4, v[30:31] offset:48
	s_waitcnt lgkmcnt(0)
	s_barrier
	ds_read2st64_b64 v[8:11], v21 offset0:2 offset1:4
	ds_read2st64_b64 v[4:7], v21 offset0:6 offset1:8
	ds_read2st64_b64 v[0:3], v21 offset0:10 offset1:12
	v_mov_b32_e32 v13, s17
	v_add_co_u32_e64 v12, s[4:5], s16, v21
	v_addc_co_u32_e64 v13, s[4:5], 0, v13, s[4:5]
	s_and_saveexec_b64 s[4:5], vcc
	s_cbranch_execnz .LBB80_30
; %bb.23:
	s_or_b64 exec, exec, s[4:5]
	s_and_saveexec_b64 s[4:5], s[0:1]
	s_cbranch_execnz .LBB80_31
.LBB80_24:
	s_or_b64 exec, exec, s[4:5]
	s_and_saveexec_b64 s[0:1], s[2:3]
	s_cbranch_execnz .LBB80_32
.LBB80_25:
	s_or_b64 exec, exec, s[0:1]
	s_and_saveexec_b64 s[0:1], s[12:13]
	s_cbranch_execnz .LBB80_33
.LBB80_26:
	s_or_b64 exec, exec, s[0:1]
	s_and_saveexec_b64 s[0:1], s[6:7]
	s_cbranch_execnz .LBB80_34
.LBB80_27:
	s_or_b64 exec, exec, s[0:1]
	s_and_saveexec_b64 s[0:1], s[8:9]
	s_cbranch_execnz .LBB80_35
.LBB80_28:
	s_or_b64 exec, exec, s[0:1]
	s_and_saveexec_b64 s[0:1], s[10:11]
	s_cbranch_execnz .LBB80_36
.LBB80_29:
	s_endpgm
.LBB80_30:
	ds_read_b64 v[14:15], v21
	s_waitcnt lgkmcnt(0)
	global_store_dwordx2 v[12:13], v[14:15], off
	s_or_b64 exec, exec, s[4:5]
	s_and_saveexec_b64 s[4:5], s[0:1]
	s_cbranch_execz .LBB80_24
.LBB80_31:
	s_waitcnt lgkmcnt(2)
	global_store_dwordx2 v[12:13], v[8:9], off offset:1024
	s_or_b64 exec, exec, s[4:5]
	s_and_saveexec_b64 s[0:1], s[2:3]
	s_cbranch_execz .LBB80_25
.LBB80_32:
	s_waitcnt lgkmcnt(2)
	global_store_dwordx2 v[12:13], v[10:11], off offset:2048
	s_or_b64 exec, exec, s[0:1]
	s_and_saveexec_b64 s[0:1], s[12:13]
	s_cbranch_execz .LBB80_26
.LBB80_33:
	s_waitcnt lgkmcnt(1)
	global_store_dwordx2 v[12:13], v[4:5], off offset:3072
	s_or_b64 exec, exec, s[0:1]
	s_and_saveexec_b64 s[0:1], s[6:7]
	s_cbranch_execz .LBB80_27
.LBB80_34:
	s_waitcnt lgkmcnt(1)
	v_add_co_u32_e32 v4, vcc, 0x1000, v12
	v_addc_co_u32_e32 v5, vcc, 0, v13, vcc
	global_store_dwordx2 v[4:5], v[6:7], off
	s_or_b64 exec, exec, s[0:1]
	s_and_saveexec_b64 s[0:1], s[8:9]
	s_cbranch_execz .LBB80_28
.LBB80_35:
	s_waitcnt lgkmcnt(1)
	v_add_co_u32_e32 v4, vcc, 0x1000, v12
	v_addc_co_u32_e32 v5, vcc, 0, v13, vcc
	s_waitcnt lgkmcnt(0)
	global_store_dwordx2 v[4:5], v[0:1], off offset:1024
	s_or_b64 exec, exec, s[0:1]
	s_and_saveexec_b64 s[0:1], s[10:11]
	s_cbranch_execz .LBB80_29
.LBB80_36:
	s_waitcnt lgkmcnt(0)
	v_add_co_u32_e32 v0, vcc, 0x1000, v12
	v_addc_co_u32_e32 v1, vcc, 0, v13, vcc
	global_store_dwordx2 v[0:1], v[2:3], off offset:2048
	s_endpgm
	.section	.rodata,"a",@progbits
	.p2align	6, 0x0
	.amdhsa_kernel _ZN7rocprim17ROCPRIM_400000_NS6detail17trampoline_kernelINS0_14default_configENS1_20scan_config_selectorIxEEZZNS1_9scan_implILNS1_25lookback_scan_determinismE0ELb0ELb0ES3_N6thrust23THRUST_200600_302600_NS6detail15normal_iteratorINS9_10device_ptrIxEEEESE_xNS9_4plusIvEExEEDaPvRmT3_T4_T5_mT6_P12ihipStream_tbENKUlT_T0_E_clISt17integral_constantIbLb0EEST_IbLb1EEEEDaSP_SQ_EUlSP_E0_NS1_11comp_targetILNS1_3genE4ELNS1_11target_archE910ELNS1_3gpuE8ELNS1_3repE0EEENS1_30default_config_static_selectorELNS0_4arch9wavefront6targetE1EEEvT1_
		.amdhsa_group_segment_fixed_size 7168
		.amdhsa_private_segment_fixed_size 0
		.amdhsa_kernarg_size 40
		.amdhsa_user_sgpr_count 6
		.amdhsa_user_sgpr_private_segment_buffer 1
		.amdhsa_user_sgpr_dispatch_ptr 0
		.amdhsa_user_sgpr_queue_ptr 0
		.amdhsa_user_sgpr_kernarg_segment_ptr 1
		.amdhsa_user_sgpr_dispatch_id 0
		.amdhsa_user_sgpr_flat_scratch_init 0
		.amdhsa_user_sgpr_kernarg_preload_length 0
		.amdhsa_user_sgpr_kernarg_preload_offset 0
		.amdhsa_user_sgpr_private_segment_size 0
		.amdhsa_uses_dynamic_stack 0
		.amdhsa_system_sgpr_private_segment_wavefront_offset 0
		.amdhsa_system_sgpr_workgroup_id_x 1
		.amdhsa_system_sgpr_workgroup_id_y 0
		.amdhsa_system_sgpr_workgroup_id_z 0
		.amdhsa_system_sgpr_workgroup_info 0
		.amdhsa_system_vgpr_workitem_id 0
		.amdhsa_next_free_vgpr 41
		.amdhsa_next_free_sgpr 22
		.amdhsa_accum_offset 44
		.amdhsa_reserve_vcc 1
		.amdhsa_reserve_flat_scratch 0
		.amdhsa_float_round_mode_32 0
		.amdhsa_float_round_mode_16_64 0
		.amdhsa_float_denorm_mode_32 3
		.amdhsa_float_denorm_mode_16_64 3
		.amdhsa_dx10_clamp 1
		.amdhsa_ieee_mode 1
		.amdhsa_fp16_overflow 0
		.amdhsa_tg_split 0
		.amdhsa_exception_fp_ieee_invalid_op 0
		.amdhsa_exception_fp_denorm_src 0
		.amdhsa_exception_fp_ieee_div_zero 0
		.amdhsa_exception_fp_ieee_overflow 0
		.amdhsa_exception_fp_ieee_underflow 0
		.amdhsa_exception_fp_ieee_inexact 0
		.amdhsa_exception_int_div_zero 0
	.end_amdhsa_kernel
	.section	.text._ZN7rocprim17ROCPRIM_400000_NS6detail17trampoline_kernelINS0_14default_configENS1_20scan_config_selectorIxEEZZNS1_9scan_implILNS1_25lookback_scan_determinismE0ELb0ELb0ES3_N6thrust23THRUST_200600_302600_NS6detail15normal_iteratorINS9_10device_ptrIxEEEESE_xNS9_4plusIvEExEEDaPvRmT3_T4_T5_mT6_P12ihipStream_tbENKUlT_T0_E_clISt17integral_constantIbLb0EEST_IbLb1EEEEDaSP_SQ_EUlSP_E0_NS1_11comp_targetILNS1_3genE4ELNS1_11target_archE910ELNS1_3gpuE8ELNS1_3repE0EEENS1_30default_config_static_selectorELNS0_4arch9wavefront6targetE1EEEvT1_,"axG",@progbits,_ZN7rocprim17ROCPRIM_400000_NS6detail17trampoline_kernelINS0_14default_configENS1_20scan_config_selectorIxEEZZNS1_9scan_implILNS1_25lookback_scan_determinismE0ELb0ELb0ES3_N6thrust23THRUST_200600_302600_NS6detail15normal_iteratorINS9_10device_ptrIxEEEESE_xNS9_4plusIvEExEEDaPvRmT3_T4_T5_mT6_P12ihipStream_tbENKUlT_T0_E_clISt17integral_constantIbLb0EEST_IbLb1EEEEDaSP_SQ_EUlSP_E0_NS1_11comp_targetILNS1_3genE4ELNS1_11target_archE910ELNS1_3gpuE8ELNS1_3repE0EEENS1_30default_config_static_selectorELNS0_4arch9wavefront6targetE1EEEvT1_,comdat
.Lfunc_end80:
	.size	_ZN7rocprim17ROCPRIM_400000_NS6detail17trampoline_kernelINS0_14default_configENS1_20scan_config_selectorIxEEZZNS1_9scan_implILNS1_25lookback_scan_determinismE0ELb0ELb0ES3_N6thrust23THRUST_200600_302600_NS6detail15normal_iteratorINS9_10device_ptrIxEEEESE_xNS9_4plusIvEExEEDaPvRmT3_T4_T5_mT6_P12ihipStream_tbENKUlT_T0_E_clISt17integral_constantIbLb0EEST_IbLb1EEEEDaSP_SQ_EUlSP_E0_NS1_11comp_targetILNS1_3genE4ELNS1_11target_archE910ELNS1_3gpuE8ELNS1_3repE0EEENS1_30default_config_static_selectorELNS0_4arch9wavefront6targetE1EEEvT1_, .Lfunc_end80-_ZN7rocprim17ROCPRIM_400000_NS6detail17trampoline_kernelINS0_14default_configENS1_20scan_config_selectorIxEEZZNS1_9scan_implILNS1_25lookback_scan_determinismE0ELb0ELb0ES3_N6thrust23THRUST_200600_302600_NS6detail15normal_iteratorINS9_10device_ptrIxEEEESE_xNS9_4plusIvEExEEDaPvRmT3_T4_T5_mT6_P12ihipStream_tbENKUlT_T0_E_clISt17integral_constantIbLb0EEST_IbLb1EEEEDaSP_SQ_EUlSP_E0_NS1_11comp_targetILNS1_3genE4ELNS1_11target_archE910ELNS1_3gpuE8ELNS1_3repE0EEENS1_30default_config_static_selectorELNS0_4arch9wavefront6targetE1EEEvT1_
                                        ; -- End function
	.section	.AMDGPU.csdata,"",@progbits
; Kernel info:
; codeLenInByte = 1804
; NumSgprs: 26
; NumVgprs: 41
; NumAgprs: 0
; TotalNumVgprs: 41
; ScratchSize: 0
; MemoryBound: 0
; FloatMode: 240
; IeeeMode: 1
; LDSByteSize: 7168 bytes/workgroup (compile time only)
; SGPRBlocks: 3
; VGPRBlocks: 5
; NumSGPRsForWavesPerEU: 26
; NumVGPRsForWavesPerEU: 41
; AccumOffset: 44
; Occupancy: 5
; WaveLimiterHint : 0
; COMPUTE_PGM_RSRC2:SCRATCH_EN: 0
; COMPUTE_PGM_RSRC2:USER_SGPR: 6
; COMPUTE_PGM_RSRC2:TRAP_HANDLER: 0
; COMPUTE_PGM_RSRC2:TGID_X_EN: 1
; COMPUTE_PGM_RSRC2:TGID_Y_EN: 0
; COMPUTE_PGM_RSRC2:TGID_Z_EN: 0
; COMPUTE_PGM_RSRC2:TIDIG_COMP_CNT: 0
; COMPUTE_PGM_RSRC3_GFX90A:ACCUM_OFFSET: 10
; COMPUTE_PGM_RSRC3_GFX90A:TG_SPLIT: 0
	.section	.text._ZN7rocprim17ROCPRIM_400000_NS6detail17trampoline_kernelINS0_14default_configENS1_20scan_config_selectorIxEEZZNS1_9scan_implILNS1_25lookback_scan_determinismE0ELb0ELb0ES3_N6thrust23THRUST_200600_302600_NS6detail15normal_iteratorINS9_10device_ptrIxEEEESE_xNS9_4plusIvEExEEDaPvRmT3_T4_T5_mT6_P12ihipStream_tbENKUlT_T0_E_clISt17integral_constantIbLb0EEST_IbLb1EEEEDaSP_SQ_EUlSP_E0_NS1_11comp_targetILNS1_3genE3ELNS1_11target_archE908ELNS1_3gpuE7ELNS1_3repE0EEENS1_30default_config_static_selectorELNS0_4arch9wavefront6targetE1EEEvT1_,"axG",@progbits,_ZN7rocprim17ROCPRIM_400000_NS6detail17trampoline_kernelINS0_14default_configENS1_20scan_config_selectorIxEEZZNS1_9scan_implILNS1_25lookback_scan_determinismE0ELb0ELb0ES3_N6thrust23THRUST_200600_302600_NS6detail15normal_iteratorINS9_10device_ptrIxEEEESE_xNS9_4plusIvEExEEDaPvRmT3_T4_T5_mT6_P12ihipStream_tbENKUlT_T0_E_clISt17integral_constantIbLb0EEST_IbLb1EEEEDaSP_SQ_EUlSP_E0_NS1_11comp_targetILNS1_3genE3ELNS1_11target_archE908ELNS1_3gpuE7ELNS1_3repE0EEENS1_30default_config_static_selectorELNS0_4arch9wavefront6targetE1EEEvT1_,comdat
	.protected	_ZN7rocprim17ROCPRIM_400000_NS6detail17trampoline_kernelINS0_14default_configENS1_20scan_config_selectorIxEEZZNS1_9scan_implILNS1_25lookback_scan_determinismE0ELb0ELb0ES3_N6thrust23THRUST_200600_302600_NS6detail15normal_iteratorINS9_10device_ptrIxEEEESE_xNS9_4plusIvEExEEDaPvRmT3_T4_T5_mT6_P12ihipStream_tbENKUlT_T0_E_clISt17integral_constantIbLb0EEST_IbLb1EEEEDaSP_SQ_EUlSP_E0_NS1_11comp_targetILNS1_3genE3ELNS1_11target_archE908ELNS1_3gpuE7ELNS1_3repE0EEENS1_30default_config_static_selectorELNS0_4arch9wavefront6targetE1EEEvT1_ ; -- Begin function _ZN7rocprim17ROCPRIM_400000_NS6detail17trampoline_kernelINS0_14default_configENS1_20scan_config_selectorIxEEZZNS1_9scan_implILNS1_25lookback_scan_determinismE0ELb0ELb0ES3_N6thrust23THRUST_200600_302600_NS6detail15normal_iteratorINS9_10device_ptrIxEEEESE_xNS9_4plusIvEExEEDaPvRmT3_T4_T5_mT6_P12ihipStream_tbENKUlT_T0_E_clISt17integral_constantIbLb0EEST_IbLb1EEEEDaSP_SQ_EUlSP_E0_NS1_11comp_targetILNS1_3genE3ELNS1_11target_archE908ELNS1_3gpuE7ELNS1_3repE0EEENS1_30default_config_static_selectorELNS0_4arch9wavefront6targetE1EEEvT1_
	.globl	_ZN7rocprim17ROCPRIM_400000_NS6detail17trampoline_kernelINS0_14default_configENS1_20scan_config_selectorIxEEZZNS1_9scan_implILNS1_25lookback_scan_determinismE0ELb0ELb0ES3_N6thrust23THRUST_200600_302600_NS6detail15normal_iteratorINS9_10device_ptrIxEEEESE_xNS9_4plusIvEExEEDaPvRmT3_T4_T5_mT6_P12ihipStream_tbENKUlT_T0_E_clISt17integral_constantIbLb0EEST_IbLb1EEEEDaSP_SQ_EUlSP_E0_NS1_11comp_targetILNS1_3genE3ELNS1_11target_archE908ELNS1_3gpuE7ELNS1_3repE0EEENS1_30default_config_static_selectorELNS0_4arch9wavefront6targetE1EEEvT1_
	.p2align	8
	.type	_ZN7rocprim17ROCPRIM_400000_NS6detail17trampoline_kernelINS0_14default_configENS1_20scan_config_selectorIxEEZZNS1_9scan_implILNS1_25lookback_scan_determinismE0ELb0ELb0ES3_N6thrust23THRUST_200600_302600_NS6detail15normal_iteratorINS9_10device_ptrIxEEEESE_xNS9_4plusIvEExEEDaPvRmT3_T4_T5_mT6_P12ihipStream_tbENKUlT_T0_E_clISt17integral_constantIbLb0EEST_IbLb1EEEEDaSP_SQ_EUlSP_E0_NS1_11comp_targetILNS1_3genE3ELNS1_11target_archE908ELNS1_3gpuE7ELNS1_3repE0EEENS1_30default_config_static_selectorELNS0_4arch9wavefront6targetE1EEEvT1_,@function
_ZN7rocprim17ROCPRIM_400000_NS6detail17trampoline_kernelINS0_14default_configENS1_20scan_config_selectorIxEEZZNS1_9scan_implILNS1_25lookback_scan_determinismE0ELb0ELb0ES3_N6thrust23THRUST_200600_302600_NS6detail15normal_iteratorINS9_10device_ptrIxEEEESE_xNS9_4plusIvEExEEDaPvRmT3_T4_T5_mT6_P12ihipStream_tbENKUlT_T0_E_clISt17integral_constantIbLb0EEST_IbLb1EEEEDaSP_SQ_EUlSP_E0_NS1_11comp_targetILNS1_3genE3ELNS1_11target_archE908ELNS1_3gpuE7ELNS1_3repE0EEENS1_30default_config_static_selectorELNS0_4arch9wavefront6targetE1EEEvT1_: ; @_ZN7rocprim17ROCPRIM_400000_NS6detail17trampoline_kernelINS0_14default_configENS1_20scan_config_selectorIxEEZZNS1_9scan_implILNS1_25lookback_scan_determinismE0ELb0ELb0ES3_N6thrust23THRUST_200600_302600_NS6detail15normal_iteratorINS9_10device_ptrIxEEEESE_xNS9_4plusIvEExEEDaPvRmT3_T4_T5_mT6_P12ihipStream_tbENKUlT_T0_E_clISt17integral_constantIbLb0EEST_IbLb1EEEEDaSP_SQ_EUlSP_E0_NS1_11comp_targetILNS1_3genE3ELNS1_11target_archE908ELNS1_3gpuE7ELNS1_3repE0EEENS1_30default_config_static_selectorELNS0_4arch9wavefront6targetE1EEEvT1_
; %bb.0:
	.section	.rodata,"a",@progbits
	.p2align	6, 0x0
	.amdhsa_kernel _ZN7rocprim17ROCPRIM_400000_NS6detail17trampoline_kernelINS0_14default_configENS1_20scan_config_selectorIxEEZZNS1_9scan_implILNS1_25lookback_scan_determinismE0ELb0ELb0ES3_N6thrust23THRUST_200600_302600_NS6detail15normal_iteratorINS9_10device_ptrIxEEEESE_xNS9_4plusIvEExEEDaPvRmT3_T4_T5_mT6_P12ihipStream_tbENKUlT_T0_E_clISt17integral_constantIbLb0EEST_IbLb1EEEEDaSP_SQ_EUlSP_E0_NS1_11comp_targetILNS1_3genE3ELNS1_11target_archE908ELNS1_3gpuE7ELNS1_3repE0EEENS1_30default_config_static_selectorELNS0_4arch9wavefront6targetE1EEEvT1_
		.amdhsa_group_segment_fixed_size 0
		.amdhsa_private_segment_fixed_size 0
		.amdhsa_kernarg_size 40
		.amdhsa_user_sgpr_count 6
		.amdhsa_user_sgpr_private_segment_buffer 1
		.amdhsa_user_sgpr_dispatch_ptr 0
		.amdhsa_user_sgpr_queue_ptr 0
		.amdhsa_user_sgpr_kernarg_segment_ptr 1
		.amdhsa_user_sgpr_dispatch_id 0
		.amdhsa_user_sgpr_flat_scratch_init 0
		.amdhsa_user_sgpr_kernarg_preload_length 0
		.amdhsa_user_sgpr_kernarg_preload_offset 0
		.amdhsa_user_sgpr_private_segment_size 0
		.amdhsa_uses_dynamic_stack 0
		.amdhsa_system_sgpr_private_segment_wavefront_offset 0
		.amdhsa_system_sgpr_workgroup_id_x 1
		.amdhsa_system_sgpr_workgroup_id_y 0
		.amdhsa_system_sgpr_workgroup_id_z 0
		.amdhsa_system_sgpr_workgroup_info 0
		.amdhsa_system_vgpr_workitem_id 0
		.amdhsa_next_free_vgpr 1
		.amdhsa_next_free_sgpr 0
		.amdhsa_accum_offset 4
		.amdhsa_reserve_vcc 0
		.amdhsa_reserve_flat_scratch 0
		.amdhsa_float_round_mode_32 0
		.amdhsa_float_round_mode_16_64 0
		.amdhsa_float_denorm_mode_32 3
		.amdhsa_float_denorm_mode_16_64 3
		.amdhsa_dx10_clamp 1
		.amdhsa_ieee_mode 1
		.amdhsa_fp16_overflow 0
		.amdhsa_tg_split 0
		.amdhsa_exception_fp_ieee_invalid_op 0
		.amdhsa_exception_fp_denorm_src 0
		.amdhsa_exception_fp_ieee_div_zero 0
		.amdhsa_exception_fp_ieee_overflow 0
		.amdhsa_exception_fp_ieee_underflow 0
		.amdhsa_exception_fp_ieee_inexact 0
		.amdhsa_exception_int_div_zero 0
	.end_amdhsa_kernel
	.section	.text._ZN7rocprim17ROCPRIM_400000_NS6detail17trampoline_kernelINS0_14default_configENS1_20scan_config_selectorIxEEZZNS1_9scan_implILNS1_25lookback_scan_determinismE0ELb0ELb0ES3_N6thrust23THRUST_200600_302600_NS6detail15normal_iteratorINS9_10device_ptrIxEEEESE_xNS9_4plusIvEExEEDaPvRmT3_T4_T5_mT6_P12ihipStream_tbENKUlT_T0_E_clISt17integral_constantIbLb0EEST_IbLb1EEEEDaSP_SQ_EUlSP_E0_NS1_11comp_targetILNS1_3genE3ELNS1_11target_archE908ELNS1_3gpuE7ELNS1_3repE0EEENS1_30default_config_static_selectorELNS0_4arch9wavefront6targetE1EEEvT1_,"axG",@progbits,_ZN7rocprim17ROCPRIM_400000_NS6detail17trampoline_kernelINS0_14default_configENS1_20scan_config_selectorIxEEZZNS1_9scan_implILNS1_25lookback_scan_determinismE0ELb0ELb0ES3_N6thrust23THRUST_200600_302600_NS6detail15normal_iteratorINS9_10device_ptrIxEEEESE_xNS9_4plusIvEExEEDaPvRmT3_T4_T5_mT6_P12ihipStream_tbENKUlT_T0_E_clISt17integral_constantIbLb0EEST_IbLb1EEEEDaSP_SQ_EUlSP_E0_NS1_11comp_targetILNS1_3genE3ELNS1_11target_archE908ELNS1_3gpuE7ELNS1_3repE0EEENS1_30default_config_static_selectorELNS0_4arch9wavefront6targetE1EEEvT1_,comdat
.Lfunc_end81:
	.size	_ZN7rocprim17ROCPRIM_400000_NS6detail17trampoline_kernelINS0_14default_configENS1_20scan_config_selectorIxEEZZNS1_9scan_implILNS1_25lookback_scan_determinismE0ELb0ELb0ES3_N6thrust23THRUST_200600_302600_NS6detail15normal_iteratorINS9_10device_ptrIxEEEESE_xNS9_4plusIvEExEEDaPvRmT3_T4_T5_mT6_P12ihipStream_tbENKUlT_T0_E_clISt17integral_constantIbLb0EEST_IbLb1EEEEDaSP_SQ_EUlSP_E0_NS1_11comp_targetILNS1_3genE3ELNS1_11target_archE908ELNS1_3gpuE7ELNS1_3repE0EEENS1_30default_config_static_selectorELNS0_4arch9wavefront6targetE1EEEvT1_, .Lfunc_end81-_ZN7rocprim17ROCPRIM_400000_NS6detail17trampoline_kernelINS0_14default_configENS1_20scan_config_selectorIxEEZZNS1_9scan_implILNS1_25lookback_scan_determinismE0ELb0ELb0ES3_N6thrust23THRUST_200600_302600_NS6detail15normal_iteratorINS9_10device_ptrIxEEEESE_xNS9_4plusIvEExEEDaPvRmT3_T4_T5_mT6_P12ihipStream_tbENKUlT_T0_E_clISt17integral_constantIbLb0EEST_IbLb1EEEEDaSP_SQ_EUlSP_E0_NS1_11comp_targetILNS1_3genE3ELNS1_11target_archE908ELNS1_3gpuE7ELNS1_3repE0EEENS1_30default_config_static_selectorELNS0_4arch9wavefront6targetE1EEEvT1_
                                        ; -- End function
	.section	.AMDGPU.csdata,"",@progbits
; Kernel info:
; codeLenInByte = 0
; NumSgprs: 4
; NumVgprs: 0
; NumAgprs: 0
; TotalNumVgprs: 0
; ScratchSize: 0
; MemoryBound: 0
; FloatMode: 240
; IeeeMode: 1
; LDSByteSize: 0 bytes/workgroup (compile time only)
; SGPRBlocks: 0
; VGPRBlocks: 0
; NumSGPRsForWavesPerEU: 4
; NumVGPRsForWavesPerEU: 1
; AccumOffset: 4
; Occupancy: 8
; WaveLimiterHint : 0
; COMPUTE_PGM_RSRC2:SCRATCH_EN: 0
; COMPUTE_PGM_RSRC2:USER_SGPR: 6
; COMPUTE_PGM_RSRC2:TRAP_HANDLER: 0
; COMPUTE_PGM_RSRC2:TGID_X_EN: 1
; COMPUTE_PGM_RSRC2:TGID_Y_EN: 0
; COMPUTE_PGM_RSRC2:TGID_Z_EN: 0
; COMPUTE_PGM_RSRC2:TIDIG_COMP_CNT: 0
; COMPUTE_PGM_RSRC3_GFX90A:ACCUM_OFFSET: 0
; COMPUTE_PGM_RSRC3_GFX90A:TG_SPLIT: 0
	.section	.text._ZN7rocprim17ROCPRIM_400000_NS6detail17trampoline_kernelINS0_14default_configENS1_20scan_config_selectorIxEEZZNS1_9scan_implILNS1_25lookback_scan_determinismE0ELb0ELb0ES3_N6thrust23THRUST_200600_302600_NS6detail15normal_iteratorINS9_10device_ptrIxEEEESE_xNS9_4plusIvEExEEDaPvRmT3_T4_T5_mT6_P12ihipStream_tbENKUlT_T0_E_clISt17integral_constantIbLb0EEST_IbLb1EEEEDaSP_SQ_EUlSP_E0_NS1_11comp_targetILNS1_3genE2ELNS1_11target_archE906ELNS1_3gpuE6ELNS1_3repE0EEENS1_30default_config_static_selectorELNS0_4arch9wavefront6targetE1EEEvT1_,"axG",@progbits,_ZN7rocprim17ROCPRIM_400000_NS6detail17trampoline_kernelINS0_14default_configENS1_20scan_config_selectorIxEEZZNS1_9scan_implILNS1_25lookback_scan_determinismE0ELb0ELb0ES3_N6thrust23THRUST_200600_302600_NS6detail15normal_iteratorINS9_10device_ptrIxEEEESE_xNS9_4plusIvEExEEDaPvRmT3_T4_T5_mT6_P12ihipStream_tbENKUlT_T0_E_clISt17integral_constantIbLb0EEST_IbLb1EEEEDaSP_SQ_EUlSP_E0_NS1_11comp_targetILNS1_3genE2ELNS1_11target_archE906ELNS1_3gpuE6ELNS1_3repE0EEENS1_30default_config_static_selectorELNS0_4arch9wavefront6targetE1EEEvT1_,comdat
	.protected	_ZN7rocprim17ROCPRIM_400000_NS6detail17trampoline_kernelINS0_14default_configENS1_20scan_config_selectorIxEEZZNS1_9scan_implILNS1_25lookback_scan_determinismE0ELb0ELb0ES3_N6thrust23THRUST_200600_302600_NS6detail15normal_iteratorINS9_10device_ptrIxEEEESE_xNS9_4plusIvEExEEDaPvRmT3_T4_T5_mT6_P12ihipStream_tbENKUlT_T0_E_clISt17integral_constantIbLb0EEST_IbLb1EEEEDaSP_SQ_EUlSP_E0_NS1_11comp_targetILNS1_3genE2ELNS1_11target_archE906ELNS1_3gpuE6ELNS1_3repE0EEENS1_30default_config_static_selectorELNS0_4arch9wavefront6targetE1EEEvT1_ ; -- Begin function _ZN7rocprim17ROCPRIM_400000_NS6detail17trampoline_kernelINS0_14default_configENS1_20scan_config_selectorIxEEZZNS1_9scan_implILNS1_25lookback_scan_determinismE0ELb0ELb0ES3_N6thrust23THRUST_200600_302600_NS6detail15normal_iteratorINS9_10device_ptrIxEEEESE_xNS9_4plusIvEExEEDaPvRmT3_T4_T5_mT6_P12ihipStream_tbENKUlT_T0_E_clISt17integral_constantIbLb0EEST_IbLb1EEEEDaSP_SQ_EUlSP_E0_NS1_11comp_targetILNS1_3genE2ELNS1_11target_archE906ELNS1_3gpuE6ELNS1_3repE0EEENS1_30default_config_static_selectorELNS0_4arch9wavefront6targetE1EEEvT1_
	.globl	_ZN7rocprim17ROCPRIM_400000_NS6detail17trampoline_kernelINS0_14default_configENS1_20scan_config_selectorIxEEZZNS1_9scan_implILNS1_25lookback_scan_determinismE0ELb0ELb0ES3_N6thrust23THRUST_200600_302600_NS6detail15normal_iteratorINS9_10device_ptrIxEEEESE_xNS9_4plusIvEExEEDaPvRmT3_T4_T5_mT6_P12ihipStream_tbENKUlT_T0_E_clISt17integral_constantIbLb0EEST_IbLb1EEEEDaSP_SQ_EUlSP_E0_NS1_11comp_targetILNS1_3genE2ELNS1_11target_archE906ELNS1_3gpuE6ELNS1_3repE0EEENS1_30default_config_static_selectorELNS0_4arch9wavefront6targetE1EEEvT1_
	.p2align	8
	.type	_ZN7rocprim17ROCPRIM_400000_NS6detail17trampoline_kernelINS0_14default_configENS1_20scan_config_selectorIxEEZZNS1_9scan_implILNS1_25lookback_scan_determinismE0ELb0ELb0ES3_N6thrust23THRUST_200600_302600_NS6detail15normal_iteratorINS9_10device_ptrIxEEEESE_xNS9_4plusIvEExEEDaPvRmT3_T4_T5_mT6_P12ihipStream_tbENKUlT_T0_E_clISt17integral_constantIbLb0EEST_IbLb1EEEEDaSP_SQ_EUlSP_E0_NS1_11comp_targetILNS1_3genE2ELNS1_11target_archE906ELNS1_3gpuE6ELNS1_3repE0EEENS1_30default_config_static_selectorELNS0_4arch9wavefront6targetE1EEEvT1_,@function
_ZN7rocprim17ROCPRIM_400000_NS6detail17trampoline_kernelINS0_14default_configENS1_20scan_config_selectorIxEEZZNS1_9scan_implILNS1_25lookback_scan_determinismE0ELb0ELb0ES3_N6thrust23THRUST_200600_302600_NS6detail15normal_iteratorINS9_10device_ptrIxEEEESE_xNS9_4plusIvEExEEDaPvRmT3_T4_T5_mT6_P12ihipStream_tbENKUlT_T0_E_clISt17integral_constantIbLb0EEST_IbLb1EEEEDaSP_SQ_EUlSP_E0_NS1_11comp_targetILNS1_3genE2ELNS1_11target_archE906ELNS1_3gpuE6ELNS1_3repE0EEENS1_30default_config_static_selectorELNS0_4arch9wavefront6targetE1EEEvT1_: ; @_ZN7rocprim17ROCPRIM_400000_NS6detail17trampoline_kernelINS0_14default_configENS1_20scan_config_selectorIxEEZZNS1_9scan_implILNS1_25lookback_scan_determinismE0ELb0ELb0ES3_N6thrust23THRUST_200600_302600_NS6detail15normal_iteratorINS9_10device_ptrIxEEEESE_xNS9_4plusIvEExEEDaPvRmT3_T4_T5_mT6_P12ihipStream_tbENKUlT_T0_E_clISt17integral_constantIbLb0EEST_IbLb1EEEEDaSP_SQ_EUlSP_E0_NS1_11comp_targetILNS1_3genE2ELNS1_11target_archE906ELNS1_3gpuE6ELNS1_3repE0EEENS1_30default_config_static_selectorELNS0_4arch9wavefront6targetE1EEEvT1_
; %bb.0:
	.section	.rodata,"a",@progbits
	.p2align	6, 0x0
	.amdhsa_kernel _ZN7rocprim17ROCPRIM_400000_NS6detail17trampoline_kernelINS0_14default_configENS1_20scan_config_selectorIxEEZZNS1_9scan_implILNS1_25lookback_scan_determinismE0ELb0ELb0ES3_N6thrust23THRUST_200600_302600_NS6detail15normal_iteratorINS9_10device_ptrIxEEEESE_xNS9_4plusIvEExEEDaPvRmT3_T4_T5_mT6_P12ihipStream_tbENKUlT_T0_E_clISt17integral_constantIbLb0EEST_IbLb1EEEEDaSP_SQ_EUlSP_E0_NS1_11comp_targetILNS1_3genE2ELNS1_11target_archE906ELNS1_3gpuE6ELNS1_3repE0EEENS1_30default_config_static_selectorELNS0_4arch9wavefront6targetE1EEEvT1_
		.amdhsa_group_segment_fixed_size 0
		.amdhsa_private_segment_fixed_size 0
		.amdhsa_kernarg_size 40
		.amdhsa_user_sgpr_count 6
		.amdhsa_user_sgpr_private_segment_buffer 1
		.amdhsa_user_sgpr_dispatch_ptr 0
		.amdhsa_user_sgpr_queue_ptr 0
		.amdhsa_user_sgpr_kernarg_segment_ptr 1
		.amdhsa_user_sgpr_dispatch_id 0
		.amdhsa_user_sgpr_flat_scratch_init 0
		.amdhsa_user_sgpr_kernarg_preload_length 0
		.amdhsa_user_sgpr_kernarg_preload_offset 0
		.amdhsa_user_sgpr_private_segment_size 0
		.amdhsa_uses_dynamic_stack 0
		.amdhsa_system_sgpr_private_segment_wavefront_offset 0
		.amdhsa_system_sgpr_workgroup_id_x 1
		.amdhsa_system_sgpr_workgroup_id_y 0
		.amdhsa_system_sgpr_workgroup_id_z 0
		.amdhsa_system_sgpr_workgroup_info 0
		.amdhsa_system_vgpr_workitem_id 0
		.amdhsa_next_free_vgpr 1
		.amdhsa_next_free_sgpr 0
		.amdhsa_accum_offset 4
		.amdhsa_reserve_vcc 0
		.amdhsa_reserve_flat_scratch 0
		.amdhsa_float_round_mode_32 0
		.amdhsa_float_round_mode_16_64 0
		.amdhsa_float_denorm_mode_32 3
		.amdhsa_float_denorm_mode_16_64 3
		.amdhsa_dx10_clamp 1
		.amdhsa_ieee_mode 1
		.amdhsa_fp16_overflow 0
		.amdhsa_tg_split 0
		.amdhsa_exception_fp_ieee_invalid_op 0
		.amdhsa_exception_fp_denorm_src 0
		.amdhsa_exception_fp_ieee_div_zero 0
		.amdhsa_exception_fp_ieee_overflow 0
		.amdhsa_exception_fp_ieee_underflow 0
		.amdhsa_exception_fp_ieee_inexact 0
		.amdhsa_exception_int_div_zero 0
	.end_amdhsa_kernel
	.section	.text._ZN7rocprim17ROCPRIM_400000_NS6detail17trampoline_kernelINS0_14default_configENS1_20scan_config_selectorIxEEZZNS1_9scan_implILNS1_25lookback_scan_determinismE0ELb0ELb0ES3_N6thrust23THRUST_200600_302600_NS6detail15normal_iteratorINS9_10device_ptrIxEEEESE_xNS9_4plusIvEExEEDaPvRmT3_T4_T5_mT6_P12ihipStream_tbENKUlT_T0_E_clISt17integral_constantIbLb0EEST_IbLb1EEEEDaSP_SQ_EUlSP_E0_NS1_11comp_targetILNS1_3genE2ELNS1_11target_archE906ELNS1_3gpuE6ELNS1_3repE0EEENS1_30default_config_static_selectorELNS0_4arch9wavefront6targetE1EEEvT1_,"axG",@progbits,_ZN7rocprim17ROCPRIM_400000_NS6detail17trampoline_kernelINS0_14default_configENS1_20scan_config_selectorIxEEZZNS1_9scan_implILNS1_25lookback_scan_determinismE0ELb0ELb0ES3_N6thrust23THRUST_200600_302600_NS6detail15normal_iteratorINS9_10device_ptrIxEEEESE_xNS9_4plusIvEExEEDaPvRmT3_T4_T5_mT6_P12ihipStream_tbENKUlT_T0_E_clISt17integral_constantIbLb0EEST_IbLb1EEEEDaSP_SQ_EUlSP_E0_NS1_11comp_targetILNS1_3genE2ELNS1_11target_archE906ELNS1_3gpuE6ELNS1_3repE0EEENS1_30default_config_static_selectorELNS0_4arch9wavefront6targetE1EEEvT1_,comdat
.Lfunc_end82:
	.size	_ZN7rocprim17ROCPRIM_400000_NS6detail17trampoline_kernelINS0_14default_configENS1_20scan_config_selectorIxEEZZNS1_9scan_implILNS1_25lookback_scan_determinismE0ELb0ELb0ES3_N6thrust23THRUST_200600_302600_NS6detail15normal_iteratorINS9_10device_ptrIxEEEESE_xNS9_4plusIvEExEEDaPvRmT3_T4_T5_mT6_P12ihipStream_tbENKUlT_T0_E_clISt17integral_constantIbLb0EEST_IbLb1EEEEDaSP_SQ_EUlSP_E0_NS1_11comp_targetILNS1_3genE2ELNS1_11target_archE906ELNS1_3gpuE6ELNS1_3repE0EEENS1_30default_config_static_selectorELNS0_4arch9wavefront6targetE1EEEvT1_, .Lfunc_end82-_ZN7rocprim17ROCPRIM_400000_NS6detail17trampoline_kernelINS0_14default_configENS1_20scan_config_selectorIxEEZZNS1_9scan_implILNS1_25lookback_scan_determinismE0ELb0ELb0ES3_N6thrust23THRUST_200600_302600_NS6detail15normal_iteratorINS9_10device_ptrIxEEEESE_xNS9_4plusIvEExEEDaPvRmT3_T4_T5_mT6_P12ihipStream_tbENKUlT_T0_E_clISt17integral_constantIbLb0EEST_IbLb1EEEEDaSP_SQ_EUlSP_E0_NS1_11comp_targetILNS1_3genE2ELNS1_11target_archE906ELNS1_3gpuE6ELNS1_3repE0EEENS1_30default_config_static_selectorELNS0_4arch9wavefront6targetE1EEEvT1_
                                        ; -- End function
	.section	.AMDGPU.csdata,"",@progbits
; Kernel info:
; codeLenInByte = 0
; NumSgprs: 4
; NumVgprs: 0
; NumAgprs: 0
; TotalNumVgprs: 0
; ScratchSize: 0
; MemoryBound: 0
; FloatMode: 240
; IeeeMode: 1
; LDSByteSize: 0 bytes/workgroup (compile time only)
; SGPRBlocks: 0
; VGPRBlocks: 0
; NumSGPRsForWavesPerEU: 4
; NumVGPRsForWavesPerEU: 1
; AccumOffset: 4
; Occupancy: 8
; WaveLimiterHint : 0
; COMPUTE_PGM_RSRC2:SCRATCH_EN: 0
; COMPUTE_PGM_RSRC2:USER_SGPR: 6
; COMPUTE_PGM_RSRC2:TRAP_HANDLER: 0
; COMPUTE_PGM_RSRC2:TGID_X_EN: 1
; COMPUTE_PGM_RSRC2:TGID_Y_EN: 0
; COMPUTE_PGM_RSRC2:TGID_Z_EN: 0
; COMPUTE_PGM_RSRC2:TIDIG_COMP_CNT: 0
; COMPUTE_PGM_RSRC3_GFX90A:ACCUM_OFFSET: 0
; COMPUTE_PGM_RSRC3_GFX90A:TG_SPLIT: 0
	.section	.text._ZN7rocprim17ROCPRIM_400000_NS6detail17trampoline_kernelINS0_14default_configENS1_20scan_config_selectorIxEEZZNS1_9scan_implILNS1_25lookback_scan_determinismE0ELb0ELb0ES3_N6thrust23THRUST_200600_302600_NS6detail15normal_iteratorINS9_10device_ptrIxEEEESE_xNS9_4plusIvEExEEDaPvRmT3_T4_T5_mT6_P12ihipStream_tbENKUlT_T0_E_clISt17integral_constantIbLb0EEST_IbLb1EEEEDaSP_SQ_EUlSP_E0_NS1_11comp_targetILNS1_3genE10ELNS1_11target_archE1201ELNS1_3gpuE5ELNS1_3repE0EEENS1_30default_config_static_selectorELNS0_4arch9wavefront6targetE1EEEvT1_,"axG",@progbits,_ZN7rocprim17ROCPRIM_400000_NS6detail17trampoline_kernelINS0_14default_configENS1_20scan_config_selectorIxEEZZNS1_9scan_implILNS1_25lookback_scan_determinismE0ELb0ELb0ES3_N6thrust23THRUST_200600_302600_NS6detail15normal_iteratorINS9_10device_ptrIxEEEESE_xNS9_4plusIvEExEEDaPvRmT3_T4_T5_mT6_P12ihipStream_tbENKUlT_T0_E_clISt17integral_constantIbLb0EEST_IbLb1EEEEDaSP_SQ_EUlSP_E0_NS1_11comp_targetILNS1_3genE10ELNS1_11target_archE1201ELNS1_3gpuE5ELNS1_3repE0EEENS1_30default_config_static_selectorELNS0_4arch9wavefront6targetE1EEEvT1_,comdat
	.protected	_ZN7rocprim17ROCPRIM_400000_NS6detail17trampoline_kernelINS0_14default_configENS1_20scan_config_selectorIxEEZZNS1_9scan_implILNS1_25lookback_scan_determinismE0ELb0ELb0ES3_N6thrust23THRUST_200600_302600_NS6detail15normal_iteratorINS9_10device_ptrIxEEEESE_xNS9_4plusIvEExEEDaPvRmT3_T4_T5_mT6_P12ihipStream_tbENKUlT_T0_E_clISt17integral_constantIbLb0EEST_IbLb1EEEEDaSP_SQ_EUlSP_E0_NS1_11comp_targetILNS1_3genE10ELNS1_11target_archE1201ELNS1_3gpuE5ELNS1_3repE0EEENS1_30default_config_static_selectorELNS0_4arch9wavefront6targetE1EEEvT1_ ; -- Begin function _ZN7rocprim17ROCPRIM_400000_NS6detail17trampoline_kernelINS0_14default_configENS1_20scan_config_selectorIxEEZZNS1_9scan_implILNS1_25lookback_scan_determinismE0ELb0ELb0ES3_N6thrust23THRUST_200600_302600_NS6detail15normal_iteratorINS9_10device_ptrIxEEEESE_xNS9_4plusIvEExEEDaPvRmT3_T4_T5_mT6_P12ihipStream_tbENKUlT_T0_E_clISt17integral_constantIbLb0EEST_IbLb1EEEEDaSP_SQ_EUlSP_E0_NS1_11comp_targetILNS1_3genE10ELNS1_11target_archE1201ELNS1_3gpuE5ELNS1_3repE0EEENS1_30default_config_static_selectorELNS0_4arch9wavefront6targetE1EEEvT1_
	.globl	_ZN7rocprim17ROCPRIM_400000_NS6detail17trampoline_kernelINS0_14default_configENS1_20scan_config_selectorIxEEZZNS1_9scan_implILNS1_25lookback_scan_determinismE0ELb0ELb0ES3_N6thrust23THRUST_200600_302600_NS6detail15normal_iteratorINS9_10device_ptrIxEEEESE_xNS9_4plusIvEExEEDaPvRmT3_T4_T5_mT6_P12ihipStream_tbENKUlT_T0_E_clISt17integral_constantIbLb0EEST_IbLb1EEEEDaSP_SQ_EUlSP_E0_NS1_11comp_targetILNS1_3genE10ELNS1_11target_archE1201ELNS1_3gpuE5ELNS1_3repE0EEENS1_30default_config_static_selectorELNS0_4arch9wavefront6targetE1EEEvT1_
	.p2align	8
	.type	_ZN7rocprim17ROCPRIM_400000_NS6detail17trampoline_kernelINS0_14default_configENS1_20scan_config_selectorIxEEZZNS1_9scan_implILNS1_25lookback_scan_determinismE0ELb0ELb0ES3_N6thrust23THRUST_200600_302600_NS6detail15normal_iteratorINS9_10device_ptrIxEEEESE_xNS9_4plusIvEExEEDaPvRmT3_T4_T5_mT6_P12ihipStream_tbENKUlT_T0_E_clISt17integral_constantIbLb0EEST_IbLb1EEEEDaSP_SQ_EUlSP_E0_NS1_11comp_targetILNS1_3genE10ELNS1_11target_archE1201ELNS1_3gpuE5ELNS1_3repE0EEENS1_30default_config_static_selectorELNS0_4arch9wavefront6targetE1EEEvT1_,@function
_ZN7rocprim17ROCPRIM_400000_NS6detail17trampoline_kernelINS0_14default_configENS1_20scan_config_selectorIxEEZZNS1_9scan_implILNS1_25lookback_scan_determinismE0ELb0ELb0ES3_N6thrust23THRUST_200600_302600_NS6detail15normal_iteratorINS9_10device_ptrIxEEEESE_xNS9_4plusIvEExEEDaPvRmT3_T4_T5_mT6_P12ihipStream_tbENKUlT_T0_E_clISt17integral_constantIbLb0EEST_IbLb1EEEEDaSP_SQ_EUlSP_E0_NS1_11comp_targetILNS1_3genE10ELNS1_11target_archE1201ELNS1_3gpuE5ELNS1_3repE0EEENS1_30default_config_static_selectorELNS0_4arch9wavefront6targetE1EEEvT1_: ; @_ZN7rocprim17ROCPRIM_400000_NS6detail17trampoline_kernelINS0_14default_configENS1_20scan_config_selectorIxEEZZNS1_9scan_implILNS1_25lookback_scan_determinismE0ELb0ELb0ES3_N6thrust23THRUST_200600_302600_NS6detail15normal_iteratorINS9_10device_ptrIxEEEESE_xNS9_4plusIvEExEEDaPvRmT3_T4_T5_mT6_P12ihipStream_tbENKUlT_T0_E_clISt17integral_constantIbLb0EEST_IbLb1EEEEDaSP_SQ_EUlSP_E0_NS1_11comp_targetILNS1_3genE10ELNS1_11target_archE1201ELNS1_3gpuE5ELNS1_3repE0EEENS1_30default_config_static_selectorELNS0_4arch9wavefront6targetE1EEEvT1_
; %bb.0:
	.section	.rodata,"a",@progbits
	.p2align	6, 0x0
	.amdhsa_kernel _ZN7rocprim17ROCPRIM_400000_NS6detail17trampoline_kernelINS0_14default_configENS1_20scan_config_selectorIxEEZZNS1_9scan_implILNS1_25lookback_scan_determinismE0ELb0ELb0ES3_N6thrust23THRUST_200600_302600_NS6detail15normal_iteratorINS9_10device_ptrIxEEEESE_xNS9_4plusIvEExEEDaPvRmT3_T4_T5_mT6_P12ihipStream_tbENKUlT_T0_E_clISt17integral_constantIbLb0EEST_IbLb1EEEEDaSP_SQ_EUlSP_E0_NS1_11comp_targetILNS1_3genE10ELNS1_11target_archE1201ELNS1_3gpuE5ELNS1_3repE0EEENS1_30default_config_static_selectorELNS0_4arch9wavefront6targetE1EEEvT1_
		.amdhsa_group_segment_fixed_size 0
		.amdhsa_private_segment_fixed_size 0
		.amdhsa_kernarg_size 40
		.amdhsa_user_sgpr_count 6
		.amdhsa_user_sgpr_private_segment_buffer 1
		.amdhsa_user_sgpr_dispatch_ptr 0
		.amdhsa_user_sgpr_queue_ptr 0
		.amdhsa_user_sgpr_kernarg_segment_ptr 1
		.amdhsa_user_sgpr_dispatch_id 0
		.amdhsa_user_sgpr_flat_scratch_init 0
		.amdhsa_user_sgpr_kernarg_preload_length 0
		.amdhsa_user_sgpr_kernarg_preload_offset 0
		.amdhsa_user_sgpr_private_segment_size 0
		.amdhsa_uses_dynamic_stack 0
		.amdhsa_system_sgpr_private_segment_wavefront_offset 0
		.amdhsa_system_sgpr_workgroup_id_x 1
		.amdhsa_system_sgpr_workgroup_id_y 0
		.amdhsa_system_sgpr_workgroup_id_z 0
		.amdhsa_system_sgpr_workgroup_info 0
		.amdhsa_system_vgpr_workitem_id 0
		.amdhsa_next_free_vgpr 1
		.amdhsa_next_free_sgpr 0
		.amdhsa_accum_offset 4
		.amdhsa_reserve_vcc 0
		.amdhsa_reserve_flat_scratch 0
		.amdhsa_float_round_mode_32 0
		.amdhsa_float_round_mode_16_64 0
		.amdhsa_float_denorm_mode_32 3
		.amdhsa_float_denorm_mode_16_64 3
		.amdhsa_dx10_clamp 1
		.amdhsa_ieee_mode 1
		.amdhsa_fp16_overflow 0
		.amdhsa_tg_split 0
		.amdhsa_exception_fp_ieee_invalid_op 0
		.amdhsa_exception_fp_denorm_src 0
		.amdhsa_exception_fp_ieee_div_zero 0
		.amdhsa_exception_fp_ieee_overflow 0
		.amdhsa_exception_fp_ieee_underflow 0
		.amdhsa_exception_fp_ieee_inexact 0
		.amdhsa_exception_int_div_zero 0
	.end_amdhsa_kernel
	.section	.text._ZN7rocprim17ROCPRIM_400000_NS6detail17trampoline_kernelINS0_14default_configENS1_20scan_config_selectorIxEEZZNS1_9scan_implILNS1_25lookback_scan_determinismE0ELb0ELb0ES3_N6thrust23THRUST_200600_302600_NS6detail15normal_iteratorINS9_10device_ptrIxEEEESE_xNS9_4plusIvEExEEDaPvRmT3_T4_T5_mT6_P12ihipStream_tbENKUlT_T0_E_clISt17integral_constantIbLb0EEST_IbLb1EEEEDaSP_SQ_EUlSP_E0_NS1_11comp_targetILNS1_3genE10ELNS1_11target_archE1201ELNS1_3gpuE5ELNS1_3repE0EEENS1_30default_config_static_selectorELNS0_4arch9wavefront6targetE1EEEvT1_,"axG",@progbits,_ZN7rocprim17ROCPRIM_400000_NS6detail17trampoline_kernelINS0_14default_configENS1_20scan_config_selectorIxEEZZNS1_9scan_implILNS1_25lookback_scan_determinismE0ELb0ELb0ES3_N6thrust23THRUST_200600_302600_NS6detail15normal_iteratorINS9_10device_ptrIxEEEESE_xNS9_4plusIvEExEEDaPvRmT3_T4_T5_mT6_P12ihipStream_tbENKUlT_T0_E_clISt17integral_constantIbLb0EEST_IbLb1EEEEDaSP_SQ_EUlSP_E0_NS1_11comp_targetILNS1_3genE10ELNS1_11target_archE1201ELNS1_3gpuE5ELNS1_3repE0EEENS1_30default_config_static_selectorELNS0_4arch9wavefront6targetE1EEEvT1_,comdat
.Lfunc_end83:
	.size	_ZN7rocprim17ROCPRIM_400000_NS6detail17trampoline_kernelINS0_14default_configENS1_20scan_config_selectorIxEEZZNS1_9scan_implILNS1_25lookback_scan_determinismE0ELb0ELb0ES3_N6thrust23THRUST_200600_302600_NS6detail15normal_iteratorINS9_10device_ptrIxEEEESE_xNS9_4plusIvEExEEDaPvRmT3_T4_T5_mT6_P12ihipStream_tbENKUlT_T0_E_clISt17integral_constantIbLb0EEST_IbLb1EEEEDaSP_SQ_EUlSP_E0_NS1_11comp_targetILNS1_3genE10ELNS1_11target_archE1201ELNS1_3gpuE5ELNS1_3repE0EEENS1_30default_config_static_selectorELNS0_4arch9wavefront6targetE1EEEvT1_, .Lfunc_end83-_ZN7rocprim17ROCPRIM_400000_NS6detail17trampoline_kernelINS0_14default_configENS1_20scan_config_selectorIxEEZZNS1_9scan_implILNS1_25lookback_scan_determinismE0ELb0ELb0ES3_N6thrust23THRUST_200600_302600_NS6detail15normal_iteratorINS9_10device_ptrIxEEEESE_xNS9_4plusIvEExEEDaPvRmT3_T4_T5_mT6_P12ihipStream_tbENKUlT_T0_E_clISt17integral_constantIbLb0EEST_IbLb1EEEEDaSP_SQ_EUlSP_E0_NS1_11comp_targetILNS1_3genE10ELNS1_11target_archE1201ELNS1_3gpuE5ELNS1_3repE0EEENS1_30default_config_static_selectorELNS0_4arch9wavefront6targetE1EEEvT1_
                                        ; -- End function
	.section	.AMDGPU.csdata,"",@progbits
; Kernel info:
; codeLenInByte = 0
; NumSgprs: 4
; NumVgprs: 0
; NumAgprs: 0
; TotalNumVgprs: 0
; ScratchSize: 0
; MemoryBound: 0
; FloatMode: 240
; IeeeMode: 1
; LDSByteSize: 0 bytes/workgroup (compile time only)
; SGPRBlocks: 0
; VGPRBlocks: 0
; NumSGPRsForWavesPerEU: 4
; NumVGPRsForWavesPerEU: 1
; AccumOffset: 4
; Occupancy: 8
; WaveLimiterHint : 0
; COMPUTE_PGM_RSRC2:SCRATCH_EN: 0
; COMPUTE_PGM_RSRC2:USER_SGPR: 6
; COMPUTE_PGM_RSRC2:TRAP_HANDLER: 0
; COMPUTE_PGM_RSRC2:TGID_X_EN: 1
; COMPUTE_PGM_RSRC2:TGID_Y_EN: 0
; COMPUTE_PGM_RSRC2:TGID_Z_EN: 0
; COMPUTE_PGM_RSRC2:TIDIG_COMP_CNT: 0
; COMPUTE_PGM_RSRC3_GFX90A:ACCUM_OFFSET: 0
; COMPUTE_PGM_RSRC3_GFX90A:TG_SPLIT: 0
	.section	.text._ZN7rocprim17ROCPRIM_400000_NS6detail17trampoline_kernelINS0_14default_configENS1_20scan_config_selectorIxEEZZNS1_9scan_implILNS1_25lookback_scan_determinismE0ELb0ELb0ES3_N6thrust23THRUST_200600_302600_NS6detail15normal_iteratorINS9_10device_ptrIxEEEESE_xNS9_4plusIvEExEEDaPvRmT3_T4_T5_mT6_P12ihipStream_tbENKUlT_T0_E_clISt17integral_constantIbLb0EEST_IbLb1EEEEDaSP_SQ_EUlSP_E0_NS1_11comp_targetILNS1_3genE10ELNS1_11target_archE1200ELNS1_3gpuE4ELNS1_3repE0EEENS1_30default_config_static_selectorELNS0_4arch9wavefront6targetE1EEEvT1_,"axG",@progbits,_ZN7rocprim17ROCPRIM_400000_NS6detail17trampoline_kernelINS0_14default_configENS1_20scan_config_selectorIxEEZZNS1_9scan_implILNS1_25lookback_scan_determinismE0ELb0ELb0ES3_N6thrust23THRUST_200600_302600_NS6detail15normal_iteratorINS9_10device_ptrIxEEEESE_xNS9_4plusIvEExEEDaPvRmT3_T4_T5_mT6_P12ihipStream_tbENKUlT_T0_E_clISt17integral_constantIbLb0EEST_IbLb1EEEEDaSP_SQ_EUlSP_E0_NS1_11comp_targetILNS1_3genE10ELNS1_11target_archE1200ELNS1_3gpuE4ELNS1_3repE0EEENS1_30default_config_static_selectorELNS0_4arch9wavefront6targetE1EEEvT1_,comdat
	.protected	_ZN7rocprim17ROCPRIM_400000_NS6detail17trampoline_kernelINS0_14default_configENS1_20scan_config_selectorIxEEZZNS1_9scan_implILNS1_25lookback_scan_determinismE0ELb0ELb0ES3_N6thrust23THRUST_200600_302600_NS6detail15normal_iteratorINS9_10device_ptrIxEEEESE_xNS9_4plusIvEExEEDaPvRmT3_T4_T5_mT6_P12ihipStream_tbENKUlT_T0_E_clISt17integral_constantIbLb0EEST_IbLb1EEEEDaSP_SQ_EUlSP_E0_NS1_11comp_targetILNS1_3genE10ELNS1_11target_archE1200ELNS1_3gpuE4ELNS1_3repE0EEENS1_30default_config_static_selectorELNS0_4arch9wavefront6targetE1EEEvT1_ ; -- Begin function _ZN7rocprim17ROCPRIM_400000_NS6detail17trampoline_kernelINS0_14default_configENS1_20scan_config_selectorIxEEZZNS1_9scan_implILNS1_25lookback_scan_determinismE0ELb0ELb0ES3_N6thrust23THRUST_200600_302600_NS6detail15normal_iteratorINS9_10device_ptrIxEEEESE_xNS9_4plusIvEExEEDaPvRmT3_T4_T5_mT6_P12ihipStream_tbENKUlT_T0_E_clISt17integral_constantIbLb0EEST_IbLb1EEEEDaSP_SQ_EUlSP_E0_NS1_11comp_targetILNS1_3genE10ELNS1_11target_archE1200ELNS1_3gpuE4ELNS1_3repE0EEENS1_30default_config_static_selectorELNS0_4arch9wavefront6targetE1EEEvT1_
	.globl	_ZN7rocprim17ROCPRIM_400000_NS6detail17trampoline_kernelINS0_14default_configENS1_20scan_config_selectorIxEEZZNS1_9scan_implILNS1_25lookback_scan_determinismE0ELb0ELb0ES3_N6thrust23THRUST_200600_302600_NS6detail15normal_iteratorINS9_10device_ptrIxEEEESE_xNS9_4plusIvEExEEDaPvRmT3_T4_T5_mT6_P12ihipStream_tbENKUlT_T0_E_clISt17integral_constantIbLb0EEST_IbLb1EEEEDaSP_SQ_EUlSP_E0_NS1_11comp_targetILNS1_3genE10ELNS1_11target_archE1200ELNS1_3gpuE4ELNS1_3repE0EEENS1_30default_config_static_selectorELNS0_4arch9wavefront6targetE1EEEvT1_
	.p2align	8
	.type	_ZN7rocprim17ROCPRIM_400000_NS6detail17trampoline_kernelINS0_14default_configENS1_20scan_config_selectorIxEEZZNS1_9scan_implILNS1_25lookback_scan_determinismE0ELb0ELb0ES3_N6thrust23THRUST_200600_302600_NS6detail15normal_iteratorINS9_10device_ptrIxEEEESE_xNS9_4plusIvEExEEDaPvRmT3_T4_T5_mT6_P12ihipStream_tbENKUlT_T0_E_clISt17integral_constantIbLb0EEST_IbLb1EEEEDaSP_SQ_EUlSP_E0_NS1_11comp_targetILNS1_3genE10ELNS1_11target_archE1200ELNS1_3gpuE4ELNS1_3repE0EEENS1_30default_config_static_selectorELNS0_4arch9wavefront6targetE1EEEvT1_,@function
_ZN7rocprim17ROCPRIM_400000_NS6detail17trampoline_kernelINS0_14default_configENS1_20scan_config_selectorIxEEZZNS1_9scan_implILNS1_25lookback_scan_determinismE0ELb0ELb0ES3_N6thrust23THRUST_200600_302600_NS6detail15normal_iteratorINS9_10device_ptrIxEEEESE_xNS9_4plusIvEExEEDaPvRmT3_T4_T5_mT6_P12ihipStream_tbENKUlT_T0_E_clISt17integral_constantIbLb0EEST_IbLb1EEEEDaSP_SQ_EUlSP_E0_NS1_11comp_targetILNS1_3genE10ELNS1_11target_archE1200ELNS1_3gpuE4ELNS1_3repE0EEENS1_30default_config_static_selectorELNS0_4arch9wavefront6targetE1EEEvT1_: ; @_ZN7rocprim17ROCPRIM_400000_NS6detail17trampoline_kernelINS0_14default_configENS1_20scan_config_selectorIxEEZZNS1_9scan_implILNS1_25lookback_scan_determinismE0ELb0ELb0ES3_N6thrust23THRUST_200600_302600_NS6detail15normal_iteratorINS9_10device_ptrIxEEEESE_xNS9_4plusIvEExEEDaPvRmT3_T4_T5_mT6_P12ihipStream_tbENKUlT_T0_E_clISt17integral_constantIbLb0EEST_IbLb1EEEEDaSP_SQ_EUlSP_E0_NS1_11comp_targetILNS1_3genE10ELNS1_11target_archE1200ELNS1_3gpuE4ELNS1_3repE0EEENS1_30default_config_static_selectorELNS0_4arch9wavefront6targetE1EEEvT1_
; %bb.0:
	.section	.rodata,"a",@progbits
	.p2align	6, 0x0
	.amdhsa_kernel _ZN7rocprim17ROCPRIM_400000_NS6detail17trampoline_kernelINS0_14default_configENS1_20scan_config_selectorIxEEZZNS1_9scan_implILNS1_25lookback_scan_determinismE0ELb0ELb0ES3_N6thrust23THRUST_200600_302600_NS6detail15normal_iteratorINS9_10device_ptrIxEEEESE_xNS9_4plusIvEExEEDaPvRmT3_T4_T5_mT6_P12ihipStream_tbENKUlT_T0_E_clISt17integral_constantIbLb0EEST_IbLb1EEEEDaSP_SQ_EUlSP_E0_NS1_11comp_targetILNS1_3genE10ELNS1_11target_archE1200ELNS1_3gpuE4ELNS1_3repE0EEENS1_30default_config_static_selectorELNS0_4arch9wavefront6targetE1EEEvT1_
		.amdhsa_group_segment_fixed_size 0
		.amdhsa_private_segment_fixed_size 0
		.amdhsa_kernarg_size 40
		.amdhsa_user_sgpr_count 6
		.amdhsa_user_sgpr_private_segment_buffer 1
		.amdhsa_user_sgpr_dispatch_ptr 0
		.amdhsa_user_sgpr_queue_ptr 0
		.amdhsa_user_sgpr_kernarg_segment_ptr 1
		.amdhsa_user_sgpr_dispatch_id 0
		.amdhsa_user_sgpr_flat_scratch_init 0
		.amdhsa_user_sgpr_kernarg_preload_length 0
		.amdhsa_user_sgpr_kernarg_preload_offset 0
		.amdhsa_user_sgpr_private_segment_size 0
		.amdhsa_uses_dynamic_stack 0
		.amdhsa_system_sgpr_private_segment_wavefront_offset 0
		.amdhsa_system_sgpr_workgroup_id_x 1
		.amdhsa_system_sgpr_workgroup_id_y 0
		.amdhsa_system_sgpr_workgroup_id_z 0
		.amdhsa_system_sgpr_workgroup_info 0
		.amdhsa_system_vgpr_workitem_id 0
		.amdhsa_next_free_vgpr 1
		.amdhsa_next_free_sgpr 0
		.amdhsa_accum_offset 4
		.amdhsa_reserve_vcc 0
		.amdhsa_reserve_flat_scratch 0
		.amdhsa_float_round_mode_32 0
		.amdhsa_float_round_mode_16_64 0
		.amdhsa_float_denorm_mode_32 3
		.amdhsa_float_denorm_mode_16_64 3
		.amdhsa_dx10_clamp 1
		.amdhsa_ieee_mode 1
		.amdhsa_fp16_overflow 0
		.amdhsa_tg_split 0
		.amdhsa_exception_fp_ieee_invalid_op 0
		.amdhsa_exception_fp_denorm_src 0
		.amdhsa_exception_fp_ieee_div_zero 0
		.amdhsa_exception_fp_ieee_overflow 0
		.amdhsa_exception_fp_ieee_underflow 0
		.amdhsa_exception_fp_ieee_inexact 0
		.amdhsa_exception_int_div_zero 0
	.end_amdhsa_kernel
	.section	.text._ZN7rocprim17ROCPRIM_400000_NS6detail17trampoline_kernelINS0_14default_configENS1_20scan_config_selectorIxEEZZNS1_9scan_implILNS1_25lookback_scan_determinismE0ELb0ELb0ES3_N6thrust23THRUST_200600_302600_NS6detail15normal_iteratorINS9_10device_ptrIxEEEESE_xNS9_4plusIvEExEEDaPvRmT3_T4_T5_mT6_P12ihipStream_tbENKUlT_T0_E_clISt17integral_constantIbLb0EEST_IbLb1EEEEDaSP_SQ_EUlSP_E0_NS1_11comp_targetILNS1_3genE10ELNS1_11target_archE1200ELNS1_3gpuE4ELNS1_3repE0EEENS1_30default_config_static_selectorELNS0_4arch9wavefront6targetE1EEEvT1_,"axG",@progbits,_ZN7rocprim17ROCPRIM_400000_NS6detail17trampoline_kernelINS0_14default_configENS1_20scan_config_selectorIxEEZZNS1_9scan_implILNS1_25lookback_scan_determinismE0ELb0ELb0ES3_N6thrust23THRUST_200600_302600_NS6detail15normal_iteratorINS9_10device_ptrIxEEEESE_xNS9_4plusIvEExEEDaPvRmT3_T4_T5_mT6_P12ihipStream_tbENKUlT_T0_E_clISt17integral_constantIbLb0EEST_IbLb1EEEEDaSP_SQ_EUlSP_E0_NS1_11comp_targetILNS1_3genE10ELNS1_11target_archE1200ELNS1_3gpuE4ELNS1_3repE0EEENS1_30default_config_static_selectorELNS0_4arch9wavefront6targetE1EEEvT1_,comdat
.Lfunc_end84:
	.size	_ZN7rocprim17ROCPRIM_400000_NS6detail17trampoline_kernelINS0_14default_configENS1_20scan_config_selectorIxEEZZNS1_9scan_implILNS1_25lookback_scan_determinismE0ELb0ELb0ES3_N6thrust23THRUST_200600_302600_NS6detail15normal_iteratorINS9_10device_ptrIxEEEESE_xNS9_4plusIvEExEEDaPvRmT3_T4_T5_mT6_P12ihipStream_tbENKUlT_T0_E_clISt17integral_constantIbLb0EEST_IbLb1EEEEDaSP_SQ_EUlSP_E0_NS1_11comp_targetILNS1_3genE10ELNS1_11target_archE1200ELNS1_3gpuE4ELNS1_3repE0EEENS1_30default_config_static_selectorELNS0_4arch9wavefront6targetE1EEEvT1_, .Lfunc_end84-_ZN7rocprim17ROCPRIM_400000_NS6detail17trampoline_kernelINS0_14default_configENS1_20scan_config_selectorIxEEZZNS1_9scan_implILNS1_25lookback_scan_determinismE0ELb0ELb0ES3_N6thrust23THRUST_200600_302600_NS6detail15normal_iteratorINS9_10device_ptrIxEEEESE_xNS9_4plusIvEExEEDaPvRmT3_T4_T5_mT6_P12ihipStream_tbENKUlT_T0_E_clISt17integral_constantIbLb0EEST_IbLb1EEEEDaSP_SQ_EUlSP_E0_NS1_11comp_targetILNS1_3genE10ELNS1_11target_archE1200ELNS1_3gpuE4ELNS1_3repE0EEENS1_30default_config_static_selectorELNS0_4arch9wavefront6targetE1EEEvT1_
                                        ; -- End function
	.section	.AMDGPU.csdata,"",@progbits
; Kernel info:
; codeLenInByte = 0
; NumSgprs: 4
; NumVgprs: 0
; NumAgprs: 0
; TotalNumVgprs: 0
; ScratchSize: 0
; MemoryBound: 0
; FloatMode: 240
; IeeeMode: 1
; LDSByteSize: 0 bytes/workgroup (compile time only)
; SGPRBlocks: 0
; VGPRBlocks: 0
; NumSGPRsForWavesPerEU: 4
; NumVGPRsForWavesPerEU: 1
; AccumOffset: 4
; Occupancy: 8
; WaveLimiterHint : 0
; COMPUTE_PGM_RSRC2:SCRATCH_EN: 0
; COMPUTE_PGM_RSRC2:USER_SGPR: 6
; COMPUTE_PGM_RSRC2:TRAP_HANDLER: 0
; COMPUTE_PGM_RSRC2:TGID_X_EN: 1
; COMPUTE_PGM_RSRC2:TGID_Y_EN: 0
; COMPUTE_PGM_RSRC2:TGID_Z_EN: 0
; COMPUTE_PGM_RSRC2:TIDIG_COMP_CNT: 0
; COMPUTE_PGM_RSRC3_GFX90A:ACCUM_OFFSET: 0
; COMPUTE_PGM_RSRC3_GFX90A:TG_SPLIT: 0
	.section	.text._ZN7rocprim17ROCPRIM_400000_NS6detail17trampoline_kernelINS0_14default_configENS1_20scan_config_selectorIxEEZZNS1_9scan_implILNS1_25lookback_scan_determinismE0ELb0ELb0ES3_N6thrust23THRUST_200600_302600_NS6detail15normal_iteratorINS9_10device_ptrIxEEEESE_xNS9_4plusIvEExEEDaPvRmT3_T4_T5_mT6_P12ihipStream_tbENKUlT_T0_E_clISt17integral_constantIbLb0EEST_IbLb1EEEEDaSP_SQ_EUlSP_E0_NS1_11comp_targetILNS1_3genE9ELNS1_11target_archE1100ELNS1_3gpuE3ELNS1_3repE0EEENS1_30default_config_static_selectorELNS0_4arch9wavefront6targetE1EEEvT1_,"axG",@progbits,_ZN7rocprim17ROCPRIM_400000_NS6detail17trampoline_kernelINS0_14default_configENS1_20scan_config_selectorIxEEZZNS1_9scan_implILNS1_25lookback_scan_determinismE0ELb0ELb0ES3_N6thrust23THRUST_200600_302600_NS6detail15normal_iteratorINS9_10device_ptrIxEEEESE_xNS9_4plusIvEExEEDaPvRmT3_T4_T5_mT6_P12ihipStream_tbENKUlT_T0_E_clISt17integral_constantIbLb0EEST_IbLb1EEEEDaSP_SQ_EUlSP_E0_NS1_11comp_targetILNS1_3genE9ELNS1_11target_archE1100ELNS1_3gpuE3ELNS1_3repE0EEENS1_30default_config_static_selectorELNS0_4arch9wavefront6targetE1EEEvT1_,comdat
	.protected	_ZN7rocprim17ROCPRIM_400000_NS6detail17trampoline_kernelINS0_14default_configENS1_20scan_config_selectorIxEEZZNS1_9scan_implILNS1_25lookback_scan_determinismE0ELb0ELb0ES3_N6thrust23THRUST_200600_302600_NS6detail15normal_iteratorINS9_10device_ptrIxEEEESE_xNS9_4plusIvEExEEDaPvRmT3_T4_T5_mT6_P12ihipStream_tbENKUlT_T0_E_clISt17integral_constantIbLb0EEST_IbLb1EEEEDaSP_SQ_EUlSP_E0_NS1_11comp_targetILNS1_3genE9ELNS1_11target_archE1100ELNS1_3gpuE3ELNS1_3repE0EEENS1_30default_config_static_selectorELNS0_4arch9wavefront6targetE1EEEvT1_ ; -- Begin function _ZN7rocprim17ROCPRIM_400000_NS6detail17trampoline_kernelINS0_14default_configENS1_20scan_config_selectorIxEEZZNS1_9scan_implILNS1_25lookback_scan_determinismE0ELb0ELb0ES3_N6thrust23THRUST_200600_302600_NS6detail15normal_iteratorINS9_10device_ptrIxEEEESE_xNS9_4plusIvEExEEDaPvRmT3_T4_T5_mT6_P12ihipStream_tbENKUlT_T0_E_clISt17integral_constantIbLb0EEST_IbLb1EEEEDaSP_SQ_EUlSP_E0_NS1_11comp_targetILNS1_3genE9ELNS1_11target_archE1100ELNS1_3gpuE3ELNS1_3repE0EEENS1_30default_config_static_selectorELNS0_4arch9wavefront6targetE1EEEvT1_
	.globl	_ZN7rocprim17ROCPRIM_400000_NS6detail17trampoline_kernelINS0_14default_configENS1_20scan_config_selectorIxEEZZNS1_9scan_implILNS1_25lookback_scan_determinismE0ELb0ELb0ES3_N6thrust23THRUST_200600_302600_NS6detail15normal_iteratorINS9_10device_ptrIxEEEESE_xNS9_4plusIvEExEEDaPvRmT3_T4_T5_mT6_P12ihipStream_tbENKUlT_T0_E_clISt17integral_constantIbLb0EEST_IbLb1EEEEDaSP_SQ_EUlSP_E0_NS1_11comp_targetILNS1_3genE9ELNS1_11target_archE1100ELNS1_3gpuE3ELNS1_3repE0EEENS1_30default_config_static_selectorELNS0_4arch9wavefront6targetE1EEEvT1_
	.p2align	8
	.type	_ZN7rocprim17ROCPRIM_400000_NS6detail17trampoline_kernelINS0_14default_configENS1_20scan_config_selectorIxEEZZNS1_9scan_implILNS1_25lookback_scan_determinismE0ELb0ELb0ES3_N6thrust23THRUST_200600_302600_NS6detail15normal_iteratorINS9_10device_ptrIxEEEESE_xNS9_4plusIvEExEEDaPvRmT3_T4_T5_mT6_P12ihipStream_tbENKUlT_T0_E_clISt17integral_constantIbLb0EEST_IbLb1EEEEDaSP_SQ_EUlSP_E0_NS1_11comp_targetILNS1_3genE9ELNS1_11target_archE1100ELNS1_3gpuE3ELNS1_3repE0EEENS1_30default_config_static_selectorELNS0_4arch9wavefront6targetE1EEEvT1_,@function
_ZN7rocprim17ROCPRIM_400000_NS6detail17trampoline_kernelINS0_14default_configENS1_20scan_config_selectorIxEEZZNS1_9scan_implILNS1_25lookback_scan_determinismE0ELb0ELb0ES3_N6thrust23THRUST_200600_302600_NS6detail15normal_iteratorINS9_10device_ptrIxEEEESE_xNS9_4plusIvEExEEDaPvRmT3_T4_T5_mT6_P12ihipStream_tbENKUlT_T0_E_clISt17integral_constantIbLb0EEST_IbLb1EEEEDaSP_SQ_EUlSP_E0_NS1_11comp_targetILNS1_3genE9ELNS1_11target_archE1100ELNS1_3gpuE3ELNS1_3repE0EEENS1_30default_config_static_selectorELNS0_4arch9wavefront6targetE1EEEvT1_: ; @_ZN7rocprim17ROCPRIM_400000_NS6detail17trampoline_kernelINS0_14default_configENS1_20scan_config_selectorIxEEZZNS1_9scan_implILNS1_25lookback_scan_determinismE0ELb0ELb0ES3_N6thrust23THRUST_200600_302600_NS6detail15normal_iteratorINS9_10device_ptrIxEEEESE_xNS9_4plusIvEExEEDaPvRmT3_T4_T5_mT6_P12ihipStream_tbENKUlT_T0_E_clISt17integral_constantIbLb0EEST_IbLb1EEEEDaSP_SQ_EUlSP_E0_NS1_11comp_targetILNS1_3genE9ELNS1_11target_archE1100ELNS1_3gpuE3ELNS1_3repE0EEENS1_30default_config_static_selectorELNS0_4arch9wavefront6targetE1EEEvT1_
; %bb.0:
	.section	.rodata,"a",@progbits
	.p2align	6, 0x0
	.amdhsa_kernel _ZN7rocprim17ROCPRIM_400000_NS6detail17trampoline_kernelINS0_14default_configENS1_20scan_config_selectorIxEEZZNS1_9scan_implILNS1_25lookback_scan_determinismE0ELb0ELb0ES3_N6thrust23THRUST_200600_302600_NS6detail15normal_iteratorINS9_10device_ptrIxEEEESE_xNS9_4plusIvEExEEDaPvRmT3_T4_T5_mT6_P12ihipStream_tbENKUlT_T0_E_clISt17integral_constantIbLb0EEST_IbLb1EEEEDaSP_SQ_EUlSP_E0_NS1_11comp_targetILNS1_3genE9ELNS1_11target_archE1100ELNS1_3gpuE3ELNS1_3repE0EEENS1_30default_config_static_selectorELNS0_4arch9wavefront6targetE1EEEvT1_
		.amdhsa_group_segment_fixed_size 0
		.amdhsa_private_segment_fixed_size 0
		.amdhsa_kernarg_size 40
		.amdhsa_user_sgpr_count 6
		.amdhsa_user_sgpr_private_segment_buffer 1
		.amdhsa_user_sgpr_dispatch_ptr 0
		.amdhsa_user_sgpr_queue_ptr 0
		.amdhsa_user_sgpr_kernarg_segment_ptr 1
		.amdhsa_user_sgpr_dispatch_id 0
		.amdhsa_user_sgpr_flat_scratch_init 0
		.amdhsa_user_sgpr_kernarg_preload_length 0
		.amdhsa_user_sgpr_kernarg_preload_offset 0
		.amdhsa_user_sgpr_private_segment_size 0
		.amdhsa_uses_dynamic_stack 0
		.amdhsa_system_sgpr_private_segment_wavefront_offset 0
		.amdhsa_system_sgpr_workgroup_id_x 1
		.amdhsa_system_sgpr_workgroup_id_y 0
		.amdhsa_system_sgpr_workgroup_id_z 0
		.amdhsa_system_sgpr_workgroup_info 0
		.amdhsa_system_vgpr_workitem_id 0
		.amdhsa_next_free_vgpr 1
		.amdhsa_next_free_sgpr 0
		.amdhsa_accum_offset 4
		.amdhsa_reserve_vcc 0
		.amdhsa_reserve_flat_scratch 0
		.amdhsa_float_round_mode_32 0
		.amdhsa_float_round_mode_16_64 0
		.amdhsa_float_denorm_mode_32 3
		.amdhsa_float_denorm_mode_16_64 3
		.amdhsa_dx10_clamp 1
		.amdhsa_ieee_mode 1
		.amdhsa_fp16_overflow 0
		.amdhsa_tg_split 0
		.amdhsa_exception_fp_ieee_invalid_op 0
		.amdhsa_exception_fp_denorm_src 0
		.amdhsa_exception_fp_ieee_div_zero 0
		.amdhsa_exception_fp_ieee_overflow 0
		.amdhsa_exception_fp_ieee_underflow 0
		.amdhsa_exception_fp_ieee_inexact 0
		.amdhsa_exception_int_div_zero 0
	.end_amdhsa_kernel
	.section	.text._ZN7rocprim17ROCPRIM_400000_NS6detail17trampoline_kernelINS0_14default_configENS1_20scan_config_selectorIxEEZZNS1_9scan_implILNS1_25lookback_scan_determinismE0ELb0ELb0ES3_N6thrust23THRUST_200600_302600_NS6detail15normal_iteratorINS9_10device_ptrIxEEEESE_xNS9_4plusIvEExEEDaPvRmT3_T4_T5_mT6_P12ihipStream_tbENKUlT_T0_E_clISt17integral_constantIbLb0EEST_IbLb1EEEEDaSP_SQ_EUlSP_E0_NS1_11comp_targetILNS1_3genE9ELNS1_11target_archE1100ELNS1_3gpuE3ELNS1_3repE0EEENS1_30default_config_static_selectorELNS0_4arch9wavefront6targetE1EEEvT1_,"axG",@progbits,_ZN7rocprim17ROCPRIM_400000_NS6detail17trampoline_kernelINS0_14default_configENS1_20scan_config_selectorIxEEZZNS1_9scan_implILNS1_25lookback_scan_determinismE0ELb0ELb0ES3_N6thrust23THRUST_200600_302600_NS6detail15normal_iteratorINS9_10device_ptrIxEEEESE_xNS9_4plusIvEExEEDaPvRmT3_T4_T5_mT6_P12ihipStream_tbENKUlT_T0_E_clISt17integral_constantIbLb0EEST_IbLb1EEEEDaSP_SQ_EUlSP_E0_NS1_11comp_targetILNS1_3genE9ELNS1_11target_archE1100ELNS1_3gpuE3ELNS1_3repE0EEENS1_30default_config_static_selectorELNS0_4arch9wavefront6targetE1EEEvT1_,comdat
.Lfunc_end85:
	.size	_ZN7rocprim17ROCPRIM_400000_NS6detail17trampoline_kernelINS0_14default_configENS1_20scan_config_selectorIxEEZZNS1_9scan_implILNS1_25lookback_scan_determinismE0ELb0ELb0ES3_N6thrust23THRUST_200600_302600_NS6detail15normal_iteratorINS9_10device_ptrIxEEEESE_xNS9_4plusIvEExEEDaPvRmT3_T4_T5_mT6_P12ihipStream_tbENKUlT_T0_E_clISt17integral_constantIbLb0EEST_IbLb1EEEEDaSP_SQ_EUlSP_E0_NS1_11comp_targetILNS1_3genE9ELNS1_11target_archE1100ELNS1_3gpuE3ELNS1_3repE0EEENS1_30default_config_static_selectorELNS0_4arch9wavefront6targetE1EEEvT1_, .Lfunc_end85-_ZN7rocprim17ROCPRIM_400000_NS6detail17trampoline_kernelINS0_14default_configENS1_20scan_config_selectorIxEEZZNS1_9scan_implILNS1_25lookback_scan_determinismE0ELb0ELb0ES3_N6thrust23THRUST_200600_302600_NS6detail15normal_iteratorINS9_10device_ptrIxEEEESE_xNS9_4plusIvEExEEDaPvRmT3_T4_T5_mT6_P12ihipStream_tbENKUlT_T0_E_clISt17integral_constantIbLb0EEST_IbLb1EEEEDaSP_SQ_EUlSP_E0_NS1_11comp_targetILNS1_3genE9ELNS1_11target_archE1100ELNS1_3gpuE3ELNS1_3repE0EEENS1_30default_config_static_selectorELNS0_4arch9wavefront6targetE1EEEvT1_
                                        ; -- End function
	.section	.AMDGPU.csdata,"",@progbits
; Kernel info:
; codeLenInByte = 0
; NumSgprs: 4
; NumVgprs: 0
; NumAgprs: 0
; TotalNumVgprs: 0
; ScratchSize: 0
; MemoryBound: 0
; FloatMode: 240
; IeeeMode: 1
; LDSByteSize: 0 bytes/workgroup (compile time only)
; SGPRBlocks: 0
; VGPRBlocks: 0
; NumSGPRsForWavesPerEU: 4
; NumVGPRsForWavesPerEU: 1
; AccumOffset: 4
; Occupancy: 8
; WaveLimiterHint : 0
; COMPUTE_PGM_RSRC2:SCRATCH_EN: 0
; COMPUTE_PGM_RSRC2:USER_SGPR: 6
; COMPUTE_PGM_RSRC2:TRAP_HANDLER: 0
; COMPUTE_PGM_RSRC2:TGID_X_EN: 1
; COMPUTE_PGM_RSRC2:TGID_Y_EN: 0
; COMPUTE_PGM_RSRC2:TGID_Z_EN: 0
; COMPUTE_PGM_RSRC2:TIDIG_COMP_CNT: 0
; COMPUTE_PGM_RSRC3_GFX90A:ACCUM_OFFSET: 0
; COMPUTE_PGM_RSRC3_GFX90A:TG_SPLIT: 0
	.section	.text._ZN7rocprim17ROCPRIM_400000_NS6detail17trampoline_kernelINS0_14default_configENS1_20scan_config_selectorIxEEZZNS1_9scan_implILNS1_25lookback_scan_determinismE0ELb0ELb0ES3_N6thrust23THRUST_200600_302600_NS6detail15normal_iteratorINS9_10device_ptrIxEEEESE_xNS9_4plusIvEExEEDaPvRmT3_T4_T5_mT6_P12ihipStream_tbENKUlT_T0_E_clISt17integral_constantIbLb0EEST_IbLb1EEEEDaSP_SQ_EUlSP_E0_NS1_11comp_targetILNS1_3genE8ELNS1_11target_archE1030ELNS1_3gpuE2ELNS1_3repE0EEENS1_30default_config_static_selectorELNS0_4arch9wavefront6targetE1EEEvT1_,"axG",@progbits,_ZN7rocprim17ROCPRIM_400000_NS6detail17trampoline_kernelINS0_14default_configENS1_20scan_config_selectorIxEEZZNS1_9scan_implILNS1_25lookback_scan_determinismE0ELb0ELb0ES3_N6thrust23THRUST_200600_302600_NS6detail15normal_iteratorINS9_10device_ptrIxEEEESE_xNS9_4plusIvEExEEDaPvRmT3_T4_T5_mT6_P12ihipStream_tbENKUlT_T0_E_clISt17integral_constantIbLb0EEST_IbLb1EEEEDaSP_SQ_EUlSP_E0_NS1_11comp_targetILNS1_3genE8ELNS1_11target_archE1030ELNS1_3gpuE2ELNS1_3repE0EEENS1_30default_config_static_selectorELNS0_4arch9wavefront6targetE1EEEvT1_,comdat
	.protected	_ZN7rocprim17ROCPRIM_400000_NS6detail17trampoline_kernelINS0_14default_configENS1_20scan_config_selectorIxEEZZNS1_9scan_implILNS1_25lookback_scan_determinismE0ELb0ELb0ES3_N6thrust23THRUST_200600_302600_NS6detail15normal_iteratorINS9_10device_ptrIxEEEESE_xNS9_4plusIvEExEEDaPvRmT3_T4_T5_mT6_P12ihipStream_tbENKUlT_T0_E_clISt17integral_constantIbLb0EEST_IbLb1EEEEDaSP_SQ_EUlSP_E0_NS1_11comp_targetILNS1_3genE8ELNS1_11target_archE1030ELNS1_3gpuE2ELNS1_3repE0EEENS1_30default_config_static_selectorELNS0_4arch9wavefront6targetE1EEEvT1_ ; -- Begin function _ZN7rocprim17ROCPRIM_400000_NS6detail17trampoline_kernelINS0_14default_configENS1_20scan_config_selectorIxEEZZNS1_9scan_implILNS1_25lookback_scan_determinismE0ELb0ELb0ES3_N6thrust23THRUST_200600_302600_NS6detail15normal_iteratorINS9_10device_ptrIxEEEESE_xNS9_4plusIvEExEEDaPvRmT3_T4_T5_mT6_P12ihipStream_tbENKUlT_T0_E_clISt17integral_constantIbLb0EEST_IbLb1EEEEDaSP_SQ_EUlSP_E0_NS1_11comp_targetILNS1_3genE8ELNS1_11target_archE1030ELNS1_3gpuE2ELNS1_3repE0EEENS1_30default_config_static_selectorELNS0_4arch9wavefront6targetE1EEEvT1_
	.globl	_ZN7rocprim17ROCPRIM_400000_NS6detail17trampoline_kernelINS0_14default_configENS1_20scan_config_selectorIxEEZZNS1_9scan_implILNS1_25lookback_scan_determinismE0ELb0ELb0ES3_N6thrust23THRUST_200600_302600_NS6detail15normal_iteratorINS9_10device_ptrIxEEEESE_xNS9_4plusIvEExEEDaPvRmT3_T4_T5_mT6_P12ihipStream_tbENKUlT_T0_E_clISt17integral_constantIbLb0EEST_IbLb1EEEEDaSP_SQ_EUlSP_E0_NS1_11comp_targetILNS1_3genE8ELNS1_11target_archE1030ELNS1_3gpuE2ELNS1_3repE0EEENS1_30default_config_static_selectorELNS0_4arch9wavefront6targetE1EEEvT1_
	.p2align	8
	.type	_ZN7rocprim17ROCPRIM_400000_NS6detail17trampoline_kernelINS0_14default_configENS1_20scan_config_selectorIxEEZZNS1_9scan_implILNS1_25lookback_scan_determinismE0ELb0ELb0ES3_N6thrust23THRUST_200600_302600_NS6detail15normal_iteratorINS9_10device_ptrIxEEEESE_xNS9_4plusIvEExEEDaPvRmT3_T4_T5_mT6_P12ihipStream_tbENKUlT_T0_E_clISt17integral_constantIbLb0EEST_IbLb1EEEEDaSP_SQ_EUlSP_E0_NS1_11comp_targetILNS1_3genE8ELNS1_11target_archE1030ELNS1_3gpuE2ELNS1_3repE0EEENS1_30default_config_static_selectorELNS0_4arch9wavefront6targetE1EEEvT1_,@function
_ZN7rocprim17ROCPRIM_400000_NS6detail17trampoline_kernelINS0_14default_configENS1_20scan_config_selectorIxEEZZNS1_9scan_implILNS1_25lookback_scan_determinismE0ELb0ELb0ES3_N6thrust23THRUST_200600_302600_NS6detail15normal_iteratorINS9_10device_ptrIxEEEESE_xNS9_4plusIvEExEEDaPvRmT3_T4_T5_mT6_P12ihipStream_tbENKUlT_T0_E_clISt17integral_constantIbLb0EEST_IbLb1EEEEDaSP_SQ_EUlSP_E0_NS1_11comp_targetILNS1_3genE8ELNS1_11target_archE1030ELNS1_3gpuE2ELNS1_3repE0EEENS1_30default_config_static_selectorELNS0_4arch9wavefront6targetE1EEEvT1_: ; @_ZN7rocprim17ROCPRIM_400000_NS6detail17trampoline_kernelINS0_14default_configENS1_20scan_config_selectorIxEEZZNS1_9scan_implILNS1_25lookback_scan_determinismE0ELb0ELb0ES3_N6thrust23THRUST_200600_302600_NS6detail15normal_iteratorINS9_10device_ptrIxEEEESE_xNS9_4plusIvEExEEDaPvRmT3_T4_T5_mT6_P12ihipStream_tbENKUlT_T0_E_clISt17integral_constantIbLb0EEST_IbLb1EEEEDaSP_SQ_EUlSP_E0_NS1_11comp_targetILNS1_3genE8ELNS1_11target_archE1030ELNS1_3gpuE2ELNS1_3repE0EEENS1_30default_config_static_selectorELNS0_4arch9wavefront6targetE1EEEvT1_
; %bb.0:
	.section	.rodata,"a",@progbits
	.p2align	6, 0x0
	.amdhsa_kernel _ZN7rocprim17ROCPRIM_400000_NS6detail17trampoline_kernelINS0_14default_configENS1_20scan_config_selectorIxEEZZNS1_9scan_implILNS1_25lookback_scan_determinismE0ELb0ELb0ES3_N6thrust23THRUST_200600_302600_NS6detail15normal_iteratorINS9_10device_ptrIxEEEESE_xNS9_4plusIvEExEEDaPvRmT3_T4_T5_mT6_P12ihipStream_tbENKUlT_T0_E_clISt17integral_constantIbLb0EEST_IbLb1EEEEDaSP_SQ_EUlSP_E0_NS1_11comp_targetILNS1_3genE8ELNS1_11target_archE1030ELNS1_3gpuE2ELNS1_3repE0EEENS1_30default_config_static_selectorELNS0_4arch9wavefront6targetE1EEEvT1_
		.amdhsa_group_segment_fixed_size 0
		.amdhsa_private_segment_fixed_size 0
		.amdhsa_kernarg_size 40
		.amdhsa_user_sgpr_count 6
		.amdhsa_user_sgpr_private_segment_buffer 1
		.amdhsa_user_sgpr_dispatch_ptr 0
		.amdhsa_user_sgpr_queue_ptr 0
		.amdhsa_user_sgpr_kernarg_segment_ptr 1
		.amdhsa_user_sgpr_dispatch_id 0
		.amdhsa_user_sgpr_flat_scratch_init 0
		.amdhsa_user_sgpr_kernarg_preload_length 0
		.amdhsa_user_sgpr_kernarg_preload_offset 0
		.amdhsa_user_sgpr_private_segment_size 0
		.amdhsa_uses_dynamic_stack 0
		.amdhsa_system_sgpr_private_segment_wavefront_offset 0
		.amdhsa_system_sgpr_workgroup_id_x 1
		.amdhsa_system_sgpr_workgroup_id_y 0
		.amdhsa_system_sgpr_workgroup_id_z 0
		.amdhsa_system_sgpr_workgroup_info 0
		.amdhsa_system_vgpr_workitem_id 0
		.amdhsa_next_free_vgpr 1
		.amdhsa_next_free_sgpr 0
		.amdhsa_accum_offset 4
		.amdhsa_reserve_vcc 0
		.amdhsa_reserve_flat_scratch 0
		.amdhsa_float_round_mode_32 0
		.amdhsa_float_round_mode_16_64 0
		.amdhsa_float_denorm_mode_32 3
		.amdhsa_float_denorm_mode_16_64 3
		.amdhsa_dx10_clamp 1
		.amdhsa_ieee_mode 1
		.amdhsa_fp16_overflow 0
		.amdhsa_tg_split 0
		.amdhsa_exception_fp_ieee_invalid_op 0
		.amdhsa_exception_fp_denorm_src 0
		.amdhsa_exception_fp_ieee_div_zero 0
		.amdhsa_exception_fp_ieee_overflow 0
		.amdhsa_exception_fp_ieee_underflow 0
		.amdhsa_exception_fp_ieee_inexact 0
		.amdhsa_exception_int_div_zero 0
	.end_amdhsa_kernel
	.section	.text._ZN7rocprim17ROCPRIM_400000_NS6detail17trampoline_kernelINS0_14default_configENS1_20scan_config_selectorIxEEZZNS1_9scan_implILNS1_25lookback_scan_determinismE0ELb0ELb0ES3_N6thrust23THRUST_200600_302600_NS6detail15normal_iteratorINS9_10device_ptrIxEEEESE_xNS9_4plusIvEExEEDaPvRmT3_T4_T5_mT6_P12ihipStream_tbENKUlT_T0_E_clISt17integral_constantIbLb0EEST_IbLb1EEEEDaSP_SQ_EUlSP_E0_NS1_11comp_targetILNS1_3genE8ELNS1_11target_archE1030ELNS1_3gpuE2ELNS1_3repE0EEENS1_30default_config_static_selectorELNS0_4arch9wavefront6targetE1EEEvT1_,"axG",@progbits,_ZN7rocprim17ROCPRIM_400000_NS6detail17trampoline_kernelINS0_14default_configENS1_20scan_config_selectorIxEEZZNS1_9scan_implILNS1_25lookback_scan_determinismE0ELb0ELb0ES3_N6thrust23THRUST_200600_302600_NS6detail15normal_iteratorINS9_10device_ptrIxEEEESE_xNS9_4plusIvEExEEDaPvRmT3_T4_T5_mT6_P12ihipStream_tbENKUlT_T0_E_clISt17integral_constantIbLb0EEST_IbLb1EEEEDaSP_SQ_EUlSP_E0_NS1_11comp_targetILNS1_3genE8ELNS1_11target_archE1030ELNS1_3gpuE2ELNS1_3repE0EEENS1_30default_config_static_selectorELNS0_4arch9wavefront6targetE1EEEvT1_,comdat
.Lfunc_end86:
	.size	_ZN7rocprim17ROCPRIM_400000_NS6detail17trampoline_kernelINS0_14default_configENS1_20scan_config_selectorIxEEZZNS1_9scan_implILNS1_25lookback_scan_determinismE0ELb0ELb0ES3_N6thrust23THRUST_200600_302600_NS6detail15normal_iteratorINS9_10device_ptrIxEEEESE_xNS9_4plusIvEExEEDaPvRmT3_T4_T5_mT6_P12ihipStream_tbENKUlT_T0_E_clISt17integral_constantIbLb0EEST_IbLb1EEEEDaSP_SQ_EUlSP_E0_NS1_11comp_targetILNS1_3genE8ELNS1_11target_archE1030ELNS1_3gpuE2ELNS1_3repE0EEENS1_30default_config_static_selectorELNS0_4arch9wavefront6targetE1EEEvT1_, .Lfunc_end86-_ZN7rocprim17ROCPRIM_400000_NS6detail17trampoline_kernelINS0_14default_configENS1_20scan_config_selectorIxEEZZNS1_9scan_implILNS1_25lookback_scan_determinismE0ELb0ELb0ES3_N6thrust23THRUST_200600_302600_NS6detail15normal_iteratorINS9_10device_ptrIxEEEESE_xNS9_4plusIvEExEEDaPvRmT3_T4_T5_mT6_P12ihipStream_tbENKUlT_T0_E_clISt17integral_constantIbLb0EEST_IbLb1EEEEDaSP_SQ_EUlSP_E0_NS1_11comp_targetILNS1_3genE8ELNS1_11target_archE1030ELNS1_3gpuE2ELNS1_3repE0EEENS1_30default_config_static_selectorELNS0_4arch9wavefront6targetE1EEEvT1_
                                        ; -- End function
	.section	.AMDGPU.csdata,"",@progbits
; Kernel info:
; codeLenInByte = 0
; NumSgprs: 4
; NumVgprs: 0
; NumAgprs: 0
; TotalNumVgprs: 0
; ScratchSize: 0
; MemoryBound: 0
; FloatMode: 240
; IeeeMode: 1
; LDSByteSize: 0 bytes/workgroup (compile time only)
; SGPRBlocks: 0
; VGPRBlocks: 0
; NumSGPRsForWavesPerEU: 4
; NumVGPRsForWavesPerEU: 1
; AccumOffset: 4
; Occupancy: 8
; WaveLimiterHint : 0
; COMPUTE_PGM_RSRC2:SCRATCH_EN: 0
; COMPUTE_PGM_RSRC2:USER_SGPR: 6
; COMPUTE_PGM_RSRC2:TRAP_HANDLER: 0
; COMPUTE_PGM_RSRC2:TGID_X_EN: 1
; COMPUTE_PGM_RSRC2:TGID_Y_EN: 0
; COMPUTE_PGM_RSRC2:TGID_Z_EN: 0
; COMPUTE_PGM_RSRC2:TIDIG_COMP_CNT: 0
; COMPUTE_PGM_RSRC3_GFX90A:ACCUM_OFFSET: 0
; COMPUTE_PGM_RSRC3_GFX90A:TG_SPLIT: 0
	.section	.text._ZN7rocprim17ROCPRIM_400000_NS6detail17trampoline_kernelINS0_14default_configENS1_22reduce_config_selectorIN6thrust23THRUST_200600_302600_NS5tupleIblNS6_9null_typeES8_S8_S8_S8_S8_S8_S8_EEEEZNS1_11reduce_implILb1ES3_PS9_SC_S9_NS6_11hip_rocprim9__find_if7functorIS9_EEEE10hipError_tPvRmT1_T2_T3_mT4_P12ihipStream_tbEUlT_E0_NS1_11comp_targetILNS1_3genE0ELNS1_11target_archE4294967295ELNS1_3gpuE0ELNS1_3repE0EEENS1_30default_config_static_selectorELNS0_4arch9wavefront6targetE1EEEvSK_,"axG",@progbits,_ZN7rocprim17ROCPRIM_400000_NS6detail17trampoline_kernelINS0_14default_configENS1_22reduce_config_selectorIN6thrust23THRUST_200600_302600_NS5tupleIblNS6_9null_typeES8_S8_S8_S8_S8_S8_S8_EEEEZNS1_11reduce_implILb1ES3_PS9_SC_S9_NS6_11hip_rocprim9__find_if7functorIS9_EEEE10hipError_tPvRmT1_T2_T3_mT4_P12ihipStream_tbEUlT_E0_NS1_11comp_targetILNS1_3genE0ELNS1_11target_archE4294967295ELNS1_3gpuE0ELNS1_3repE0EEENS1_30default_config_static_selectorELNS0_4arch9wavefront6targetE1EEEvSK_,comdat
	.protected	_ZN7rocprim17ROCPRIM_400000_NS6detail17trampoline_kernelINS0_14default_configENS1_22reduce_config_selectorIN6thrust23THRUST_200600_302600_NS5tupleIblNS6_9null_typeES8_S8_S8_S8_S8_S8_S8_EEEEZNS1_11reduce_implILb1ES3_PS9_SC_S9_NS6_11hip_rocprim9__find_if7functorIS9_EEEE10hipError_tPvRmT1_T2_T3_mT4_P12ihipStream_tbEUlT_E0_NS1_11comp_targetILNS1_3genE0ELNS1_11target_archE4294967295ELNS1_3gpuE0ELNS1_3repE0EEENS1_30default_config_static_selectorELNS0_4arch9wavefront6targetE1EEEvSK_ ; -- Begin function _ZN7rocprim17ROCPRIM_400000_NS6detail17trampoline_kernelINS0_14default_configENS1_22reduce_config_selectorIN6thrust23THRUST_200600_302600_NS5tupleIblNS6_9null_typeES8_S8_S8_S8_S8_S8_S8_EEEEZNS1_11reduce_implILb1ES3_PS9_SC_S9_NS6_11hip_rocprim9__find_if7functorIS9_EEEE10hipError_tPvRmT1_T2_T3_mT4_P12ihipStream_tbEUlT_E0_NS1_11comp_targetILNS1_3genE0ELNS1_11target_archE4294967295ELNS1_3gpuE0ELNS1_3repE0EEENS1_30default_config_static_selectorELNS0_4arch9wavefront6targetE1EEEvSK_
	.globl	_ZN7rocprim17ROCPRIM_400000_NS6detail17trampoline_kernelINS0_14default_configENS1_22reduce_config_selectorIN6thrust23THRUST_200600_302600_NS5tupleIblNS6_9null_typeES8_S8_S8_S8_S8_S8_S8_EEEEZNS1_11reduce_implILb1ES3_PS9_SC_S9_NS6_11hip_rocprim9__find_if7functorIS9_EEEE10hipError_tPvRmT1_T2_T3_mT4_P12ihipStream_tbEUlT_E0_NS1_11comp_targetILNS1_3genE0ELNS1_11target_archE4294967295ELNS1_3gpuE0ELNS1_3repE0EEENS1_30default_config_static_selectorELNS0_4arch9wavefront6targetE1EEEvSK_
	.p2align	8
	.type	_ZN7rocprim17ROCPRIM_400000_NS6detail17trampoline_kernelINS0_14default_configENS1_22reduce_config_selectorIN6thrust23THRUST_200600_302600_NS5tupleIblNS6_9null_typeES8_S8_S8_S8_S8_S8_S8_EEEEZNS1_11reduce_implILb1ES3_PS9_SC_S9_NS6_11hip_rocprim9__find_if7functorIS9_EEEE10hipError_tPvRmT1_T2_T3_mT4_P12ihipStream_tbEUlT_E0_NS1_11comp_targetILNS1_3genE0ELNS1_11target_archE4294967295ELNS1_3gpuE0ELNS1_3repE0EEENS1_30default_config_static_selectorELNS0_4arch9wavefront6targetE1EEEvSK_,@function
_ZN7rocprim17ROCPRIM_400000_NS6detail17trampoline_kernelINS0_14default_configENS1_22reduce_config_selectorIN6thrust23THRUST_200600_302600_NS5tupleIblNS6_9null_typeES8_S8_S8_S8_S8_S8_S8_EEEEZNS1_11reduce_implILb1ES3_PS9_SC_S9_NS6_11hip_rocprim9__find_if7functorIS9_EEEE10hipError_tPvRmT1_T2_T3_mT4_P12ihipStream_tbEUlT_E0_NS1_11comp_targetILNS1_3genE0ELNS1_11target_archE4294967295ELNS1_3gpuE0ELNS1_3repE0EEENS1_30default_config_static_selectorELNS0_4arch9wavefront6targetE1EEEvSK_: ; @_ZN7rocprim17ROCPRIM_400000_NS6detail17trampoline_kernelINS0_14default_configENS1_22reduce_config_selectorIN6thrust23THRUST_200600_302600_NS5tupleIblNS6_9null_typeES8_S8_S8_S8_S8_S8_S8_EEEEZNS1_11reduce_implILb1ES3_PS9_SC_S9_NS6_11hip_rocprim9__find_if7functorIS9_EEEE10hipError_tPvRmT1_T2_T3_mT4_P12ihipStream_tbEUlT_E0_NS1_11comp_targetILNS1_3genE0ELNS1_11target_archE4294967295ELNS1_3gpuE0ELNS1_3repE0EEENS1_30default_config_static_selectorELNS0_4arch9wavefront6targetE1EEEvSK_
; %bb.0:
	.section	.rodata,"a",@progbits
	.p2align	6, 0x0
	.amdhsa_kernel _ZN7rocprim17ROCPRIM_400000_NS6detail17trampoline_kernelINS0_14default_configENS1_22reduce_config_selectorIN6thrust23THRUST_200600_302600_NS5tupleIblNS6_9null_typeES8_S8_S8_S8_S8_S8_S8_EEEEZNS1_11reduce_implILb1ES3_PS9_SC_S9_NS6_11hip_rocprim9__find_if7functorIS9_EEEE10hipError_tPvRmT1_T2_T3_mT4_P12ihipStream_tbEUlT_E0_NS1_11comp_targetILNS1_3genE0ELNS1_11target_archE4294967295ELNS1_3gpuE0ELNS1_3repE0EEENS1_30default_config_static_selectorELNS0_4arch9wavefront6targetE1EEEvSK_
		.amdhsa_group_segment_fixed_size 0
		.amdhsa_private_segment_fixed_size 0
		.amdhsa_kernarg_size 72
		.amdhsa_user_sgpr_count 6
		.amdhsa_user_sgpr_private_segment_buffer 1
		.amdhsa_user_sgpr_dispatch_ptr 0
		.amdhsa_user_sgpr_queue_ptr 0
		.amdhsa_user_sgpr_kernarg_segment_ptr 1
		.amdhsa_user_sgpr_dispatch_id 0
		.amdhsa_user_sgpr_flat_scratch_init 0
		.amdhsa_user_sgpr_kernarg_preload_length 0
		.amdhsa_user_sgpr_kernarg_preload_offset 0
		.amdhsa_user_sgpr_private_segment_size 0
		.amdhsa_uses_dynamic_stack 0
		.amdhsa_system_sgpr_private_segment_wavefront_offset 0
		.amdhsa_system_sgpr_workgroup_id_x 1
		.amdhsa_system_sgpr_workgroup_id_y 0
		.amdhsa_system_sgpr_workgroup_id_z 0
		.amdhsa_system_sgpr_workgroup_info 0
		.amdhsa_system_vgpr_workitem_id 0
		.amdhsa_next_free_vgpr 1
		.amdhsa_next_free_sgpr 0
		.amdhsa_accum_offset 4
		.amdhsa_reserve_vcc 0
		.amdhsa_reserve_flat_scratch 0
		.amdhsa_float_round_mode_32 0
		.amdhsa_float_round_mode_16_64 0
		.amdhsa_float_denorm_mode_32 3
		.amdhsa_float_denorm_mode_16_64 3
		.amdhsa_dx10_clamp 1
		.amdhsa_ieee_mode 1
		.amdhsa_fp16_overflow 0
		.amdhsa_tg_split 0
		.amdhsa_exception_fp_ieee_invalid_op 0
		.amdhsa_exception_fp_denorm_src 0
		.amdhsa_exception_fp_ieee_div_zero 0
		.amdhsa_exception_fp_ieee_overflow 0
		.amdhsa_exception_fp_ieee_underflow 0
		.amdhsa_exception_fp_ieee_inexact 0
		.amdhsa_exception_int_div_zero 0
	.end_amdhsa_kernel
	.section	.text._ZN7rocprim17ROCPRIM_400000_NS6detail17trampoline_kernelINS0_14default_configENS1_22reduce_config_selectorIN6thrust23THRUST_200600_302600_NS5tupleIblNS6_9null_typeES8_S8_S8_S8_S8_S8_S8_EEEEZNS1_11reduce_implILb1ES3_PS9_SC_S9_NS6_11hip_rocprim9__find_if7functorIS9_EEEE10hipError_tPvRmT1_T2_T3_mT4_P12ihipStream_tbEUlT_E0_NS1_11comp_targetILNS1_3genE0ELNS1_11target_archE4294967295ELNS1_3gpuE0ELNS1_3repE0EEENS1_30default_config_static_selectorELNS0_4arch9wavefront6targetE1EEEvSK_,"axG",@progbits,_ZN7rocprim17ROCPRIM_400000_NS6detail17trampoline_kernelINS0_14default_configENS1_22reduce_config_selectorIN6thrust23THRUST_200600_302600_NS5tupleIblNS6_9null_typeES8_S8_S8_S8_S8_S8_S8_EEEEZNS1_11reduce_implILb1ES3_PS9_SC_S9_NS6_11hip_rocprim9__find_if7functorIS9_EEEE10hipError_tPvRmT1_T2_T3_mT4_P12ihipStream_tbEUlT_E0_NS1_11comp_targetILNS1_3genE0ELNS1_11target_archE4294967295ELNS1_3gpuE0ELNS1_3repE0EEENS1_30default_config_static_selectorELNS0_4arch9wavefront6targetE1EEEvSK_,comdat
.Lfunc_end87:
	.size	_ZN7rocprim17ROCPRIM_400000_NS6detail17trampoline_kernelINS0_14default_configENS1_22reduce_config_selectorIN6thrust23THRUST_200600_302600_NS5tupleIblNS6_9null_typeES8_S8_S8_S8_S8_S8_S8_EEEEZNS1_11reduce_implILb1ES3_PS9_SC_S9_NS6_11hip_rocprim9__find_if7functorIS9_EEEE10hipError_tPvRmT1_T2_T3_mT4_P12ihipStream_tbEUlT_E0_NS1_11comp_targetILNS1_3genE0ELNS1_11target_archE4294967295ELNS1_3gpuE0ELNS1_3repE0EEENS1_30default_config_static_selectorELNS0_4arch9wavefront6targetE1EEEvSK_, .Lfunc_end87-_ZN7rocprim17ROCPRIM_400000_NS6detail17trampoline_kernelINS0_14default_configENS1_22reduce_config_selectorIN6thrust23THRUST_200600_302600_NS5tupleIblNS6_9null_typeES8_S8_S8_S8_S8_S8_S8_EEEEZNS1_11reduce_implILb1ES3_PS9_SC_S9_NS6_11hip_rocprim9__find_if7functorIS9_EEEE10hipError_tPvRmT1_T2_T3_mT4_P12ihipStream_tbEUlT_E0_NS1_11comp_targetILNS1_3genE0ELNS1_11target_archE4294967295ELNS1_3gpuE0ELNS1_3repE0EEENS1_30default_config_static_selectorELNS0_4arch9wavefront6targetE1EEEvSK_
                                        ; -- End function
	.section	.AMDGPU.csdata,"",@progbits
; Kernel info:
; codeLenInByte = 0
; NumSgprs: 4
; NumVgprs: 0
; NumAgprs: 0
; TotalNumVgprs: 0
; ScratchSize: 0
; MemoryBound: 0
; FloatMode: 240
; IeeeMode: 1
; LDSByteSize: 0 bytes/workgroup (compile time only)
; SGPRBlocks: 0
; VGPRBlocks: 0
; NumSGPRsForWavesPerEU: 4
; NumVGPRsForWavesPerEU: 1
; AccumOffset: 4
; Occupancy: 8
; WaveLimiterHint : 0
; COMPUTE_PGM_RSRC2:SCRATCH_EN: 0
; COMPUTE_PGM_RSRC2:USER_SGPR: 6
; COMPUTE_PGM_RSRC2:TRAP_HANDLER: 0
; COMPUTE_PGM_RSRC2:TGID_X_EN: 1
; COMPUTE_PGM_RSRC2:TGID_Y_EN: 0
; COMPUTE_PGM_RSRC2:TGID_Z_EN: 0
; COMPUTE_PGM_RSRC2:TIDIG_COMP_CNT: 0
; COMPUTE_PGM_RSRC3_GFX90A:ACCUM_OFFSET: 0
; COMPUTE_PGM_RSRC3_GFX90A:TG_SPLIT: 0
	.section	.text._ZN7rocprim17ROCPRIM_400000_NS6detail17trampoline_kernelINS0_14default_configENS1_22reduce_config_selectorIN6thrust23THRUST_200600_302600_NS5tupleIblNS6_9null_typeES8_S8_S8_S8_S8_S8_S8_EEEEZNS1_11reduce_implILb1ES3_PS9_SC_S9_NS6_11hip_rocprim9__find_if7functorIS9_EEEE10hipError_tPvRmT1_T2_T3_mT4_P12ihipStream_tbEUlT_E0_NS1_11comp_targetILNS1_3genE5ELNS1_11target_archE942ELNS1_3gpuE9ELNS1_3repE0EEENS1_30default_config_static_selectorELNS0_4arch9wavefront6targetE1EEEvSK_,"axG",@progbits,_ZN7rocprim17ROCPRIM_400000_NS6detail17trampoline_kernelINS0_14default_configENS1_22reduce_config_selectorIN6thrust23THRUST_200600_302600_NS5tupleIblNS6_9null_typeES8_S8_S8_S8_S8_S8_S8_EEEEZNS1_11reduce_implILb1ES3_PS9_SC_S9_NS6_11hip_rocprim9__find_if7functorIS9_EEEE10hipError_tPvRmT1_T2_T3_mT4_P12ihipStream_tbEUlT_E0_NS1_11comp_targetILNS1_3genE5ELNS1_11target_archE942ELNS1_3gpuE9ELNS1_3repE0EEENS1_30default_config_static_selectorELNS0_4arch9wavefront6targetE1EEEvSK_,comdat
	.protected	_ZN7rocprim17ROCPRIM_400000_NS6detail17trampoline_kernelINS0_14default_configENS1_22reduce_config_selectorIN6thrust23THRUST_200600_302600_NS5tupleIblNS6_9null_typeES8_S8_S8_S8_S8_S8_S8_EEEEZNS1_11reduce_implILb1ES3_PS9_SC_S9_NS6_11hip_rocprim9__find_if7functorIS9_EEEE10hipError_tPvRmT1_T2_T3_mT4_P12ihipStream_tbEUlT_E0_NS1_11comp_targetILNS1_3genE5ELNS1_11target_archE942ELNS1_3gpuE9ELNS1_3repE0EEENS1_30default_config_static_selectorELNS0_4arch9wavefront6targetE1EEEvSK_ ; -- Begin function _ZN7rocprim17ROCPRIM_400000_NS6detail17trampoline_kernelINS0_14default_configENS1_22reduce_config_selectorIN6thrust23THRUST_200600_302600_NS5tupleIblNS6_9null_typeES8_S8_S8_S8_S8_S8_S8_EEEEZNS1_11reduce_implILb1ES3_PS9_SC_S9_NS6_11hip_rocprim9__find_if7functorIS9_EEEE10hipError_tPvRmT1_T2_T3_mT4_P12ihipStream_tbEUlT_E0_NS1_11comp_targetILNS1_3genE5ELNS1_11target_archE942ELNS1_3gpuE9ELNS1_3repE0EEENS1_30default_config_static_selectorELNS0_4arch9wavefront6targetE1EEEvSK_
	.globl	_ZN7rocprim17ROCPRIM_400000_NS6detail17trampoline_kernelINS0_14default_configENS1_22reduce_config_selectorIN6thrust23THRUST_200600_302600_NS5tupleIblNS6_9null_typeES8_S8_S8_S8_S8_S8_S8_EEEEZNS1_11reduce_implILb1ES3_PS9_SC_S9_NS6_11hip_rocprim9__find_if7functorIS9_EEEE10hipError_tPvRmT1_T2_T3_mT4_P12ihipStream_tbEUlT_E0_NS1_11comp_targetILNS1_3genE5ELNS1_11target_archE942ELNS1_3gpuE9ELNS1_3repE0EEENS1_30default_config_static_selectorELNS0_4arch9wavefront6targetE1EEEvSK_
	.p2align	8
	.type	_ZN7rocprim17ROCPRIM_400000_NS6detail17trampoline_kernelINS0_14default_configENS1_22reduce_config_selectorIN6thrust23THRUST_200600_302600_NS5tupleIblNS6_9null_typeES8_S8_S8_S8_S8_S8_S8_EEEEZNS1_11reduce_implILb1ES3_PS9_SC_S9_NS6_11hip_rocprim9__find_if7functorIS9_EEEE10hipError_tPvRmT1_T2_T3_mT4_P12ihipStream_tbEUlT_E0_NS1_11comp_targetILNS1_3genE5ELNS1_11target_archE942ELNS1_3gpuE9ELNS1_3repE0EEENS1_30default_config_static_selectorELNS0_4arch9wavefront6targetE1EEEvSK_,@function
_ZN7rocprim17ROCPRIM_400000_NS6detail17trampoline_kernelINS0_14default_configENS1_22reduce_config_selectorIN6thrust23THRUST_200600_302600_NS5tupleIblNS6_9null_typeES8_S8_S8_S8_S8_S8_S8_EEEEZNS1_11reduce_implILb1ES3_PS9_SC_S9_NS6_11hip_rocprim9__find_if7functorIS9_EEEE10hipError_tPvRmT1_T2_T3_mT4_P12ihipStream_tbEUlT_E0_NS1_11comp_targetILNS1_3genE5ELNS1_11target_archE942ELNS1_3gpuE9ELNS1_3repE0EEENS1_30default_config_static_selectorELNS0_4arch9wavefront6targetE1EEEvSK_: ; @_ZN7rocprim17ROCPRIM_400000_NS6detail17trampoline_kernelINS0_14default_configENS1_22reduce_config_selectorIN6thrust23THRUST_200600_302600_NS5tupleIblNS6_9null_typeES8_S8_S8_S8_S8_S8_S8_EEEEZNS1_11reduce_implILb1ES3_PS9_SC_S9_NS6_11hip_rocprim9__find_if7functorIS9_EEEE10hipError_tPvRmT1_T2_T3_mT4_P12ihipStream_tbEUlT_E0_NS1_11comp_targetILNS1_3genE5ELNS1_11target_archE942ELNS1_3gpuE9ELNS1_3repE0EEENS1_30default_config_static_selectorELNS0_4arch9wavefront6targetE1EEEvSK_
; %bb.0:
	.section	.rodata,"a",@progbits
	.p2align	6, 0x0
	.amdhsa_kernel _ZN7rocprim17ROCPRIM_400000_NS6detail17trampoline_kernelINS0_14default_configENS1_22reduce_config_selectorIN6thrust23THRUST_200600_302600_NS5tupleIblNS6_9null_typeES8_S8_S8_S8_S8_S8_S8_EEEEZNS1_11reduce_implILb1ES3_PS9_SC_S9_NS6_11hip_rocprim9__find_if7functorIS9_EEEE10hipError_tPvRmT1_T2_T3_mT4_P12ihipStream_tbEUlT_E0_NS1_11comp_targetILNS1_3genE5ELNS1_11target_archE942ELNS1_3gpuE9ELNS1_3repE0EEENS1_30default_config_static_selectorELNS0_4arch9wavefront6targetE1EEEvSK_
		.amdhsa_group_segment_fixed_size 0
		.amdhsa_private_segment_fixed_size 0
		.amdhsa_kernarg_size 72
		.amdhsa_user_sgpr_count 6
		.amdhsa_user_sgpr_private_segment_buffer 1
		.amdhsa_user_sgpr_dispatch_ptr 0
		.amdhsa_user_sgpr_queue_ptr 0
		.amdhsa_user_sgpr_kernarg_segment_ptr 1
		.amdhsa_user_sgpr_dispatch_id 0
		.amdhsa_user_sgpr_flat_scratch_init 0
		.amdhsa_user_sgpr_kernarg_preload_length 0
		.amdhsa_user_sgpr_kernarg_preload_offset 0
		.amdhsa_user_sgpr_private_segment_size 0
		.amdhsa_uses_dynamic_stack 0
		.amdhsa_system_sgpr_private_segment_wavefront_offset 0
		.amdhsa_system_sgpr_workgroup_id_x 1
		.amdhsa_system_sgpr_workgroup_id_y 0
		.amdhsa_system_sgpr_workgroup_id_z 0
		.amdhsa_system_sgpr_workgroup_info 0
		.amdhsa_system_vgpr_workitem_id 0
		.amdhsa_next_free_vgpr 1
		.amdhsa_next_free_sgpr 0
		.amdhsa_accum_offset 4
		.amdhsa_reserve_vcc 0
		.amdhsa_reserve_flat_scratch 0
		.amdhsa_float_round_mode_32 0
		.amdhsa_float_round_mode_16_64 0
		.amdhsa_float_denorm_mode_32 3
		.amdhsa_float_denorm_mode_16_64 3
		.amdhsa_dx10_clamp 1
		.amdhsa_ieee_mode 1
		.amdhsa_fp16_overflow 0
		.amdhsa_tg_split 0
		.amdhsa_exception_fp_ieee_invalid_op 0
		.amdhsa_exception_fp_denorm_src 0
		.amdhsa_exception_fp_ieee_div_zero 0
		.amdhsa_exception_fp_ieee_overflow 0
		.amdhsa_exception_fp_ieee_underflow 0
		.amdhsa_exception_fp_ieee_inexact 0
		.amdhsa_exception_int_div_zero 0
	.end_amdhsa_kernel
	.section	.text._ZN7rocprim17ROCPRIM_400000_NS6detail17trampoline_kernelINS0_14default_configENS1_22reduce_config_selectorIN6thrust23THRUST_200600_302600_NS5tupleIblNS6_9null_typeES8_S8_S8_S8_S8_S8_S8_EEEEZNS1_11reduce_implILb1ES3_PS9_SC_S9_NS6_11hip_rocprim9__find_if7functorIS9_EEEE10hipError_tPvRmT1_T2_T3_mT4_P12ihipStream_tbEUlT_E0_NS1_11comp_targetILNS1_3genE5ELNS1_11target_archE942ELNS1_3gpuE9ELNS1_3repE0EEENS1_30default_config_static_selectorELNS0_4arch9wavefront6targetE1EEEvSK_,"axG",@progbits,_ZN7rocprim17ROCPRIM_400000_NS6detail17trampoline_kernelINS0_14default_configENS1_22reduce_config_selectorIN6thrust23THRUST_200600_302600_NS5tupleIblNS6_9null_typeES8_S8_S8_S8_S8_S8_S8_EEEEZNS1_11reduce_implILb1ES3_PS9_SC_S9_NS6_11hip_rocprim9__find_if7functorIS9_EEEE10hipError_tPvRmT1_T2_T3_mT4_P12ihipStream_tbEUlT_E0_NS1_11comp_targetILNS1_3genE5ELNS1_11target_archE942ELNS1_3gpuE9ELNS1_3repE0EEENS1_30default_config_static_selectorELNS0_4arch9wavefront6targetE1EEEvSK_,comdat
.Lfunc_end88:
	.size	_ZN7rocprim17ROCPRIM_400000_NS6detail17trampoline_kernelINS0_14default_configENS1_22reduce_config_selectorIN6thrust23THRUST_200600_302600_NS5tupleIblNS6_9null_typeES8_S8_S8_S8_S8_S8_S8_EEEEZNS1_11reduce_implILb1ES3_PS9_SC_S9_NS6_11hip_rocprim9__find_if7functorIS9_EEEE10hipError_tPvRmT1_T2_T3_mT4_P12ihipStream_tbEUlT_E0_NS1_11comp_targetILNS1_3genE5ELNS1_11target_archE942ELNS1_3gpuE9ELNS1_3repE0EEENS1_30default_config_static_selectorELNS0_4arch9wavefront6targetE1EEEvSK_, .Lfunc_end88-_ZN7rocprim17ROCPRIM_400000_NS6detail17trampoline_kernelINS0_14default_configENS1_22reduce_config_selectorIN6thrust23THRUST_200600_302600_NS5tupleIblNS6_9null_typeES8_S8_S8_S8_S8_S8_S8_EEEEZNS1_11reduce_implILb1ES3_PS9_SC_S9_NS6_11hip_rocprim9__find_if7functorIS9_EEEE10hipError_tPvRmT1_T2_T3_mT4_P12ihipStream_tbEUlT_E0_NS1_11comp_targetILNS1_3genE5ELNS1_11target_archE942ELNS1_3gpuE9ELNS1_3repE0EEENS1_30default_config_static_selectorELNS0_4arch9wavefront6targetE1EEEvSK_
                                        ; -- End function
	.section	.AMDGPU.csdata,"",@progbits
; Kernel info:
; codeLenInByte = 0
; NumSgprs: 4
; NumVgprs: 0
; NumAgprs: 0
; TotalNumVgprs: 0
; ScratchSize: 0
; MemoryBound: 0
; FloatMode: 240
; IeeeMode: 1
; LDSByteSize: 0 bytes/workgroup (compile time only)
; SGPRBlocks: 0
; VGPRBlocks: 0
; NumSGPRsForWavesPerEU: 4
; NumVGPRsForWavesPerEU: 1
; AccumOffset: 4
; Occupancy: 8
; WaveLimiterHint : 0
; COMPUTE_PGM_RSRC2:SCRATCH_EN: 0
; COMPUTE_PGM_RSRC2:USER_SGPR: 6
; COMPUTE_PGM_RSRC2:TRAP_HANDLER: 0
; COMPUTE_PGM_RSRC2:TGID_X_EN: 1
; COMPUTE_PGM_RSRC2:TGID_Y_EN: 0
; COMPUTE_PGM_RSRC2:TGID_Z_EN: 0
; COMPUTE_PGM_RSRC2:TIDIG_COMP_CNT: 0
; COMPUTE_PGM_RSRC3_GFX90A:ACCUM_OFFSET: 0
; COMPUTE_PGM_RSRC3_GFX90A:TG_SPLIT: 0
	.section	.text._ZN7rocprim17ROCPRIM_400000_NS6detail17trampoline_kernelINS0_14default_configENS1_22reduce_config_selectorIN6thrust23THRUST_200600_302600_NS5tupleIblNS6_9null_typeES8_S8_S8_S8_S8_S8_S8_EEEEZNS1_11reduce_implILb1ES3_PS9_SC_S9_NS6_11hip_rocprim9__find_if7functorIS9_EEEE10hipError_tPvRmT1_T2_T3_mT4_P12ihipStream_tbEUlT_E0_NS1_11comp_targetILNS1_3genE4ELNS1_11target_archE910ELNS1_3gpuE8ELNS1_3repE0EEENS1_30default_config_static_selectorELNS0_4arch9wavefront6targetE1EEEvSK_,"axG",@progbits,_ZN7rocprim17ROCPRIM_400000_NS6detail17trampoline_kernelINS0_14default_configENS1_22reduce_config_selectorIN6thrust23THRUST_200600_302600_NS5tupleIblNS6_9null_typeES8_S8_S8_S8_S8_S8_S8_EEEEZNS1_11reduce_implILb1ES3_PS9_SC_S9_NS6_11hip_rocprim9__find_if7functorIS9_EEEE10hipError_tPvRmT1_T2_T3_mT4_P12ihipStream_tbEUlT_E0_NS1_11comp_targetILNS1_3genE4ELNS1_11target_archE910ELNS1_3gpuE8ELNS1_3repE0EEENS1_30default_config_static_selectorELNS0_4arch9wavefront6targetE1EEEvSK_,comdat
	.protected	_ZN7rocprim17ROCPRIM_400000_NS6detail17trampoline_kernelINS0_14default_configENS1_22reduce_config_selectorIN6thrust23THRUST_200600_302600_NS5tupleIblNS6_9null_typeES8_S8_S8_S8_S8_S8_S8_EEEEZNS1_11reduce_implILb1ES3_PS9_SC_S9_NS6_11hip_rocprim9__find_if7functorIS9_EEEE10hipError_tPvRmT1_T2_T3_mT4_P12ihipStream_tbEUlT_E0_NS1_11comp_targetILNS1_3genE4ELNS1_11target_archE910ELNS1_3gpuE8ELNS1_3repE0EEENS1_30default_config_static_selectorELNS0_4arch9wavefront6targetE1EEEvSK_ ; -- Begin function _ZN7rocprim17ROCPRIM_400000_NS6detail17trampoline_kernelINS0_14default_configENS1_22reduce_config_selectorIN6thrust23THRUST_200600_302600_NS5tupleIblNS6_9null_typeES8_S8_S8_S8_S8_S8_S8_EEEEZNS1_11reduce_implILb1ES3_PS9_SC_S9_NS6_11hip_rocprim9__find_if7functorIS9_EEEE10hipError_tPvRmT1_T2_T3_mT4_P12ihipStream_tbEUlT_E0_NS1_11comp_targetILNS1_3genE4ELNS1_11target_archE910ELNS1_3gpuE8ELNS1_3repE0EEENS1_30default_config_static_selectorELNS0_4arch9wavefront6targetE1EEEvSK_
	.globl	_ZN7rocprim17ROCPRIM_400000_NS6detail17trampoline_kernelINS0_14default_configENS1_22reduce_config_selectorIN6thrust23THRUST_200600_302600_NS5tupleIblNS6_9null_typeES8_S8_S8_S8_S8_S8_S8_EEEEZNS1_11reduce_implILb1ES3_PS9_SC_S9_NS6_11hip_rocprim9__find_if7functorIS9_EEEE10hipError_tPvRmT1_T2_T3_mT4_P12ihipStream_tbEUlT_E0_NS1_11comp_targetILNS1_3genE4ELNS1_11target_archE910ELNS1_3gpuE8ELNS1_3repE0EEENS1_30default_config_static_selectorELNS0_4arch9wavefront6targetE1EEEvSK_
	.p2align	8
	.type	_ZN7rocprim17ROCPRIM_400000_NS6detail17trampoline_kernelINS0_14default_configENS1_22reduce_config_selectorIN6thrust23THRUST_200600_302600_NS5tupleIblNS6_9null_typeES8_S8_S8_S8_S8_S8_S8_EEEEZNS1_11reduce_implILb1ES3_PS9_SC_S9_NS6_11hip_rocprim9__find_if7functorIS9_EEEE10hipError_tPvRmT1_T2_T3_mT4_P12ihipStream_tbEUlT_E0_NS1_11comp_targetILNS1_3genE4ELNS1_11target_archE910ELNS1_3gpuE8ELNS1_3repE0EEENS1_30default_config_static_selectorELNS0_4arch9wavefront6targetE1EEEvSK_,@function
_ZN7rocprim17ROCPRIM_400000_NS6detail17trampoline_kernelINS0_14default_configENS1_22reduce_config_selectorIN6thrust23THRUST_200600_302600_NS5tupleIblNS6_9null_typeES8_S8_S8_S8_S8_S8_S8_EEEEZNS1_11reduce_implILb1ES3_PS9_SC_S9_NS6_11hip_rocprim9__find_if7functorIS9_EEEE10hipError_tPvRmT1_T2_T3_mT4_P12ihipStream_tbEUlT_E0_NS1_11comp_targetILNS1_3genE4ELNS1_11target_archE910ELNS1_3gpuE8ELNS1_3repE0EEENS1_30default_config_static_selectorELNS0_4arch9wavefront6targetE1EEEvSK_: ; @_ZN7rocprim17ROCPRIM_400000_NS6detail17trampoline_kernelINS0_14default_configENS1_22reduce_config_selectorIN6thrust23THRUST_200600_302600_NS5tupleIblNS6_9null_typeES8_S8_S8_S8_S8_S8_S8_EEEEZNS1_11reduce_implILb1ES3_PS9_SC_S9_NS6_11hip_rocprim9__find_if7functorIS9_EEEE10hipError_tPvRmT1_T2_T3_mT4_P12ihipStream_tbEUlT_E0_NS1_11comp_targetILNS1_3genE4ELNS1_11target_archE910ELNS1_3gpuE8ELNS1_3repE0EEENS1_30default_config_static_selectorELNS0_4arch9wavefront6targetE1EEEvSK_
; %bb.0:
	s_load_dwordx8 s[8:15], s[4:5], 0x0
	s_load_dwordx4 s[16:19], s[4:5], 0x20
	s_waitcnt lgkmcnt(0)
	s_lshl_b64 s[0:1], s[10:11], 4
	s_add_u32 s8, s8, s0
	s_addc_u32 s9, s9, s1
	s_lshl_b32 s10, s6, 9
	s_mov_b32 s11, 0
	s_lshr_b64 s[0:1], s[12:13], 9
	s_lshl_b64 s[2:3], s[10:11], 4
	s_add_u32 s8, s8, s2
	s_mov_b32 s7, s11
	s_addc_u32 s9, s9, s3
	s_cmp_lg_u64 s[0:1], s[6:7]
	s_cbranch_scc0 .LBB89_20
; %bb.1:
	v_lshlrev_b32_e32 v7, 4, v0
	v_mov_b32_e32 v1, s9
	v_add_co_u32_e32 v4, vcc, s8, v7
	v_addc_co_u32_e32 v5, vcc, 0, v1, vcc
	v_add_co_u32_e32 v8, vcc, 0x1000, v4
	v_addc_co_u32_e32 v9, vcc, 0, v5, vcc
	global_load_ubyte v1, v7, s[8:9]
	global_load_ubyte v6, v[8:9], off
	global_load_dwordx2 v[2:3], v[8:9], off offset:8
	s_waitcnt vmcnt(2)
	v_and_b32_e32 v7, 1, v1
	v_cmp_eq_u32_e32 vcc, 1, v7
	s_and_saveexec_b64 s[2:3], vcc
	s_cbranch_execz .LBB89_3
; %bb.2:
	global_load_dwordx2 v[4:5], v[4:5], off offset:8
	s_waitcnt vmcnt(2)
	v_and_b32_e32 v6, 1, v6
	v_cmp_eq_u32_e32 vcc, 1, v6
	v_cndmask_b32_e64 v6, v1, 1, vcc
	s_waitcnt vmcnt(0)
	v_cmp_lt_i64_e64 s[0:1], v[2:3], v[4:5]
	v_cndmask_b32_e64 v1, v5, v3, s[0:1]
	v_cndmask_b32_e32 v3, v5, v1, vcc
	s_and_b64 vcc, vcc, s[0:1]
	v_cndmask_b32_e32 v2, v4, v2, vcc
.LBB89_3:
	s_or_b64 exec, exec, s[2:3]
	s_waitcnt vmcnt(1)
	v_and_b32_e32 v1, 0xff, v6
	v_and_b32_e32 v6, 1, v6
	s_waitcnt vmcnt(0)
	v_mov_b32_dpp v4, v2 quad_perm:[1,0,3,2] row_mask:0xf bank_mask:0xf bound_ctrl:1
	v_mov_b32_dpp v7, v1 quad_perm:[1,0,3,2] row_mask:0xf bank_mask:0xf bound_ctrl:1
	v_and_b32_e32 v8, 1, v7
	v_mov_b32_dpp v5, v3 quad_perm:[1,0,3,2] row_mask:0xf bank_mask:0xf bound_ctrl:1
	v_cmp_eq_u32_e32 vcc, 1, v8
	v_cmp_eq_u32_e64 s[0:1], 1, v6
	s_and_saveexec_b64 s[2:3], vcc
; %bb.4:
	v_cmp_lt_i64_e32 vcc, v[2:3], v[4:5]
	v_cndmask_b32_e64 v6, v7, 1, s[0:1]
	s_and_b64 vcc, s[0:1], vcc
	v_cndmask_b32_e32 v2, v4, v2, vcc
	v_and_b32_e32 v4, 1, v6
	v_cndmask_b32_e32 v3, v5, v3, vcc
	v_cmp_eq_u32_e32 vcc, 1, v4
	s_andn2_b64 s[0:1], s[0:1], exec
	s_and_b64 s[20:21], vcc, exec
	v_and_b32_e32 v1, 0xff, v6
	s_or_b64 s[0:1], s[0:1], s[20:21]
; %bb.5:
	s_or_b64 exec, exec, s[2:3]
	v_mov_b32_dpp v6, v1 quad_perm:[2,3,0,1] row_mask:0xf bank_mask:0xf bound_ctrl:1
	v_and_b32_e32 v7, 1, v6
	v_mov_b32_dpp v4, v2 quad_perm:[2,3,0,1] row_mask:0xf bank_mask:0xf bound_ctrl:1
	v_mov_b32_dpp v5, v3 quad_perm:[2,3,0,1] row_mask:0xf bank_mask:0xf bound_ctrl:1
	v_cmp_eq_u32_e32 vcc, 1, v7
	s_and_saveexec_b64 s[2:3], vcc
; %bb.6:
	v_cmp_lt_i64_e32 vcc, v[2:3], v[4:5]
	v_cndmask_b32_e64 v6, v6, 1, s[0:1]
	s_and_b64 vcc, s[0:1], vcc
	v_cndmask_b32_e32 v2, v4, v2, vcc
	v_and_b32_e32 v4, 1, v6
	v_cndmask_b32_e32 v3, v5, v3, vcc
	v_cmp_eq_u32_e32 vcc, 1, v4
	s_andn2_b64 s[0:1], s[0:1], exec
	s_and_b64 s[20:21], vcc, exec
	v_and_b32_e32 v1, 0xff, v6
	s_or_b64 s[0:1], s[0:1], s[20:21]
; %bb.7:
	s_or_b64 exec, exec, s[2:3]
	v_mov_b32_dpp v6, v1 row_ror:4 row_mask:0xf bank_mask:0xf bound_ctrl:1
	v_and_b32_e32 v7, 1, v6
	v_mov_b32_dpp v4, v2 row_ror:4 row_mask:0xf bank_mask:0xf bound_ctrl:1
	v_mov_b32_dpp v5, v3 row_ror:4 row_mask:0xf bank_mask:0xf bound_ctrl:1
	v_cmp_eq_u32_e32 vcc, 1, v7
	s_and_saveexec_b64 s[2:3], vcc
; %bb.8:
	v_cmp_lt_i64_e32 vcc, v[2:3], v[4:5]
	v_cndmask_b32_e64 v6, v6, 1, s[0:1]
	s_and_b64 vcc, s[0:1], vcc
	v_cndmask_b32_e32 v2, v4, v2, vcc
	v_and_b32_e32 v4, 1, v6
	v_cndmask_b32_e32 v3, v5, v3, vcc
	v_cmp_eq_u32_e32 vcc, 1, v4
	s_andn2_b64 s[0:1], s[0:1], exec
	s_and_b64 s[20:21], vcc, exec
	v_and_b32_e32 v1, 0xff, v6
	s_or_b64 s[0:1], s[0:1], s[20:21]
; %bb.9:
	s_or_b64 exec, exec, s[2:3]
	v_mov_b32_dpp v6, v1 row_ror:8 row_mask:0xf bank_mask:0xf bound_ctrl:1
	v_and_b32_e32 v7, 1, v6
	v_mov_b32_dpp v4, v2 row_ror:8 row_mask:0xf bank_mask:0xf bound_ctrl:1
	v_mov_b32_dpp v5, v3 row_ror:8 row_mask:0xf bank_mask:0xf bound_ctrl:1
	v_cmp_eq_u32_e32 vcc, 1, v7
	s_and_saveexec_b64 s[2:3], vcc
; %bb.10:
	v_cmp_lt_i64_e32 vcc, v[2:3], v[4:5]
	v_cndmask_b32_e64 v6, v6, 1, s[0:1]
	s_and_b64 vcc, s[0:1], vcc
	v_cndmask_b32_e32 v2, v4, v2, vcc
	v_and_b32_e32 v4, 1, v6
	v_cndmask_b32_e32 v3, v5, v3, vcc
	v_cmp_eq_u32_e32 vcc, 1, v4
	s_andn2_b64 s[0:1], s[0:1], exec
	s_and_b64 s[20:21], vcc, exec
	v_and_b32_e32 v1, 0xff, v6
	s_or_b64 s[0:1], s[0:1], s[20:21]
; %bb.11:
	s_or_b64 exec, exec, s[2:3]
	v_mov_b32_dpp v6, v1 row_bcast:15 row_mask:0xf bank_mask:0xf bound_ctrl:1
	v_and_b32_e32 v7, 1, v6
	v_mov_b32_dpp v4, v2 row_bcast:15 row_mask:0xf bank_mask:0xf bound_ctrl:1
	v_mov_b32_dpp v5, v3 row_bcast:15 row_mask:0xf bank_mask:0xf bound_ctrl:1
	v_cmp_eq_u32_e32 vcc, 1, v7
	s_and_saveexec_b64 s[2:3], vcc
; %bb.12:
	v_cmp_lt_i64_e32 vcc, v[2:3], v[4:5]
	v_cndmask_b32_e64 v6, v6, 1, s[0:1]
	s_and_b64 vcc, s[0:1], vcc
	v_cndmask_b32_e32 v2, v4, v2, vcc
	v_and_b32_e32 v4, 1, v6
	v_cndmask_b32_e32 v3, v5, v3, vcc
	v_cmp_eq_u32_e32 vcc, 1, v4
	s_andn2_b64 s[0:1], s[0:1], exec
	s_and_b64 s[20:21], vcc, exec
	v_and_b32_e32 v1, 0xff, v6
	s_or_b64 s[0:1], s[0:1], s[20:21]
; %bb.13:
	s_or_b64 exec, exec, s[2:3]
	v_mov_b32_dpp v6, v1 row_bcast:31 row_mask:0xf bank_mask:0xf bound_ctrl:1
	v_and_b32_e32 v7, 1, v6
	v_mov_b32_dpp v4, v2 row_bcast:31 row_mask:0xf bank_mask:0xf bound_ctrl:1
	v_mov_b32_dpp v5, v3 row_bcast:31 row_mask:0xf bank_mask:0xf bound_ctrl:1
	v_cmp_eq_u32_e32 vcc, 1, v7
	s_and_saveexec_b64 s[2:3], vcc
; %bb.14:
	v_cmp_lt_i64_e32 vcc, v[2:3], v[4:5]
	v_and_b32_e32 v1, 0xff, v6
	s_and_b64 vcc, s[0:1], vcc
	v_cndmask_b32_e32 v2, v4, v2, vcc
	v_cndmask_b32_e32 v3, v5, v3, vcc
	v_cndmask_b32_e64 v1, v1, 1, s[0:1]
; %bb.15:
	s_or_b64 exec, exec, s[2:3]
	v_mbcnt_lo_u32_b32 v4, -1, 0
	v_mbcnt_hi_u32_b32 v4, -1, v4
	v_bfrev_b32_e32 v5, 0.5
	v_lshl_or_b32 v5, v4, 2, v5
	ds_bpermute_b32 v6, v5, v1
	ds_bpermute_b32 v2, v5, v2
	;; [unrolled: 1-line block ×3, first 2 shown]
	v_cmp_eq_u32_e32 vcc, 0, v4
	s_and_saveexec_b64 s[0:1], vcc
	s_cbranch_execz .LBB89_17
; %bb.16:
	v_lshrrev_b32_e32 v1, 2, v0
	v_and_b32_e32 v1, 48, v1
	s_waitcnt lgkmcnt(2)
	ds_write_b8 v1, v6
	s_waitcnt lgkmcnt(1)
	ds_write_b64 v1, v[2:3] offset:8
.LBB89_17:
	s_or_b64 exec, exec, s[0:1]
	v_cmp_gt_u32_e32 vcc, 64, v0
	s_waitcnt lgkmcnt(0)
	s_barrier
	s_and_saveexec_b64 s[2:3], vcc
	s_cbranch_execz .LBB89_19
; %bb.18:
	v_and_b32_e32 v1, 3, v4
	v_lshlrev_b32_e32 v2, 4, v1
	ds_read_u8 v5, v2
	ds_read_b64 v[2:3], v2 offset:8
	v_cmp_ne_u32_e32 vcc, 3, v1
	v_addc_co_u32_e32 v6, vcc, 0, v4, vcc
	s_waitcnt lgkmcnt(1)
	v_and_b32_e32 v7, 0xff, v5
	v_lshlrev_b32_e32 v8, 2, v6
	ds_bpermute_b32 v9, v8, v7
	s_waitcnt lgkmcnt(1)
	ds_bpermute_b32 v6, v8, v2
	ds_bpermute_b32 v7, v8, v3
	v_and_b32_e32 v8, 1, v5
	s_waitcnt lgkmcnt(2)
	v_and_b32_e32 v10, 1, v9
	v_cmp_eq_u32_e64 s[0:1], 1, v10
	s_waitcnt lgkmcnt(0)
	v_cmp_lt_i64_e32 vcc, v[6:7], v[2:3]
	s_and_b64 vcc, s[0:1], vcc
	v_cndmask_b32_e64 v5, v5, 1, s[0:1]
	v_cndmask_b32_e32 v2, v2, v6, vcc
	v_cndmask_b32_e32 v3, v3, v7, vcc
	v_cmp_eq_u32_e32 vcc, 1, v8
	v_cndmask_b32_e32 v8, v9, v5, vcc
	v_cndmask_b32_e32 v3, v7, v3, vcc
	;; [unrolled: 1-line block ×3, first 2 shown]
	v_cmp_gt_u32_e32 vcc, 2, v1
	v_cndmask_b32_e64 v1, 0, 1, vcc
	v_lshlrev_b32_e32 v1, 1, v1
	v_and_b32_e32 v5, 0xff, v8
	v_add_lshl_u32 v1, v1, v4, 2
	ds_bpermute_b32 v6, v1, v5
	ds_bpermute_b32 v4, v1, v2
	;; [unrolled: 1-line block ×3, first 2 shown]
	v_and_b32_e32 v1, 1, v8
	s_waitcnt lgkmcnt(2)
	v_and_b32_e32 v7, 1, v6
	v_cmp_eq_u32_e64 s[0:1], 1, v7
	s_waitcnt lgkmcnt(0)
	v_cmp_lt_i64_e32 vcc, v[4:5], v[2:3]
	s_and_b64 vcc, s[0:1], vcc
	v_cndmask_b32_e64 v7, v8, 1, s[0:1]
	v_cndmask_b32_e32 v2, v2, v4, vcc
	v_cndmask_b32_e32 v3, v3, v5, vcc
	v_cmp_eq_u32_e32 vcc, 1, v1
	v_cndmask_b32_e32 v1, v6, v7, vcc
	v_cndmask_b32_e32 v3, v5, v3, vcc
	;; [unrolled: 1-line block ×3, first 2 shown]
	v_and_b32_e32 v6, 0xff, v1
.LBB89_19:
	s_or_b64 exec, exec, s[2:3]
	s_load_dword s11, s[4:5], 0x30
	s_load_dwordx2 s[2:3], s[4:5], 0x38
	s_branch .LBB89_48
.LBB89_20:
                                        ; implicit-def: $vgpr2_vgpr3
                                        ; implicit-def: $vgpr6
	s_load_dword s11, s[4:5], 0x30
	s_load_dwordx2 s[2:3], s[4:5], 0x38
	s_cbranch_execz .LBB89_48
; %bb.21:
	s_sub_i32 s10, s12, s10
	v_pk_mov_b32 v[4:5], 0, 0
	v_cmp_gt_u32_e32 vcc, s10, v0
	v_mov_b32_e32 v1, 0
	v_pk_mov_b32 v[2:3], v[4:5], v[4:5] op_sel:[0,1]
	v_mov_b32_e32 v7, 0
	s_and_saveexec_b64 s[0:1], vcc
	s_cbranch_execz .LBB89_23
; %bb.22:
	v_lshlrev_b32_e32 v6, 4, v0
	global_load_ubyte v7, v6, s[8:9]
	global_load_dwordx2 v[2:3], v6, s[8:9] offset:8
.LBB89_23:
	s_or_b64 exec, exec, s[0:1]
	v_or_b32_e32 v6, 0x100, v0
	v_cmp_gt_u32_e32 vcc, s10, v6
	s_and_saveexec_b64 s[0:1], vcc
	s_cbranch_execz .LBB89_25
; %bb.24:
	v_lshlrev_b32_e32 v6, 4, v6
	global_load_ubyte v1, v6, s[8:9]
	global_load_dwordx2 v[4:5], v6, s[8:9] offset:8
.LBB89_25:
	s_or_b64 exec, exec, s[0:1]
	s_and_saveexec_b64 s[4:5], vcc
	s_cbranch_execz .LBB89_27
; %bb.26:
	s_waitcnt vmcnt(1)
	v_and_b32_e32 v8, 1, v1
	s_waitcnt vmcnt(0)
	v_cmp_lt_i64_e32 vcc, v[4:5], v[2:3]
	v_cmp_eq_u32_e64 s[0:1], 1, v8
	v_and_b32_e32 v6, 1, v7
	s_and_b64 vcc, s[0:1], vcc
	v_cndmask_b32_e64 v7, v7, 1, s[0:1]
	v_cndmask_b32_e32 v2, v2, v4, vcc
	v_cndmask_b32_e32 v3, v3, v5, vcc
	v_cmp_eq_u32_e32 vcc, 1, v6
	v_cndmask_b32_e32 v7, v1, v7, vcc
	v_cndmask_b32_e32 v3, v5, v3, vcc
	;; [unrolled: 1-line block ×3, first 2 shown]
.LBB89_27:
	s_or_b64 exec, exec, s[4:5]
	s_waitcnt vmcnt(1)
	v_mbcnt_lo_u32_b32 v1, -1, 0
	v_mbcnt_hi_u32_b32 v1, -1, v1
	v_and_b32_e32 v8, 63, v1
	v_cmp_ne_u32_e32 vcc, 63, v8
	s_waitcnt vmcnt(0)
	v_addc_co_u32_e32 v4, vcc, 0, v1, vcc
	v_and_b32_e32 v6, 0xff, v7
	v_lshlrev_b32_e32 v5, 2, v4
	ds_bpermute_b32 v10, v5, v6
	ds_bpermute_b32 v4, v5, v2
	;; [unrolled: 1-line block ×3, first 2 shown]
	s_min_u32 s8, s10, 0x100
	v_and_b32_e32 v9, 0xc0, v0
	v_sub_u32_e64 v9, s8, v9 clamp
	v_add_u32_e32 v11, 1, v8
	v_cmp_lt_u32_e32 vcc, v11, v9
	s_and_saveexec_b64 s[4:5], vcc
	s_cbranch_execz .LBB89_29
; %bb.28:
	s_waitcnt lgkmcnt(0)
	v_and_b32_e32 v11, 1, v10
	v_cmp_lt_i64_e32 vcc, v[4:5], v[2:3]
	v_cmp_eq_u32_e64 s[0:1], 1, v11
	v_and_b32_e32 v6, 1, v7
	s_and_b64 vcc, s[0:1], vcc
	v_cndmask_b32_e64 v7, v7, 1, s[0:1]
	v_cndmask_b32_e32 v2, v2, v4, vcc
	v_cndmask_b32_e32 v3, v3, v5, vcc
	v_cmp_eq_u32_e32 vcc, 1, v6
	v_cndmask_b32_e32 v7, v10, v7, vcc
	v_cndmask_b32_e32 v3, v5, v3, vcc
	;; [unrolled: 1-line block ×3, first 2 shown]
	v_and_b32_e32 v6, 0xff, v7
.LBB89_29:
	s_or_b64 exec, exec, s[4:5]
	v_cmp_gt_u32_e32 vcc, 62, v8
	s_waitcnt lgkmcnt(0)
	v_cndmask_b32_e64 v4, 0, 1, vcc
	v_lshlrev_b32_e32 v4, 1, v4
	v_add_lshl_u32 v5, v4, v1, 2
	ds_bpermute_b32 v10, v5, v6
	ds_bpermute_b32 v4, v5, v2
	ds_bpermute_b32 v5, v5, v3
	v_add_u32_e32 v11, 2, v8
	v_cmp_lt_u32_e32 vcc, v11, v9
	s_and_saveexec_b64 s[4:5], vcc
	s_cbranch_execz .LBB89_31
; %bb.30:
	s_waitcnt lgkmcnt(2)
	v_and_b32_e32 v11, 1, v10
	s_waitcnt lgkmcnt(0)
	v_cmp_lt_i64_e32 vcc, v[4:5], v[2:3]
	v_cmp_eq_u32_e64 s[0:1], 1, v11
	v_and_b32_e32 v6, 1, v7
	s_and_b64 vcc, s[0:1], vcc
	v_cndmask_b32_e64 v7, v7, 1, s[0:1]
	v_cndmask_b32_e32 v2, v2, v4, vcc
	v_cndmask_b32_e32 v3, v3, v5, vcc
	v_cmp_eq_u32_e32 vcc, 1, v6
	v_cndmask_b32_e32 v7, v10, v7, vcc
	v_cndmask_b32_e32 v3, v5, v3, vcc
	v_cndmask_b32_e32 v2, v4, v2, vcc
	v_and_b32_e32 v6, 0xff, v7
.LBB89_31:
	s_or_b64 exec, exec, s[4:5]
	v_cmp_gt_u32_e32 vcc, 60, v8
	s_waitcnt lgkmcnt(1)
	v_cndmask_b32_e64 v4, 0, 1, vcc
	v_lshlrev_b32_e32 v4, 2, v4
	s_waitcnt lgkmcnt(0)
	v_add_lshl_u32 v5, v4, v1, 2
	ds_bpermute_b32 v10, v5, v6
	ds_bpermute_b32 v4, v5, v2
	ds_bpermute_b32 v5, v5, v3
	v_add_u32_e32 v11, 4, v8
	v_cmp_lt_u32_e32 vcc, v11, v9
	s_and_saveexec_b64 s[4:5], vcc
	s_cbranch_execz .LBB89_33
; %bb.32:
	s_waitcnt lgkmcnt(2)
	v_and_b32_e32 v11, 1, v10
	s_waitcnt lgkmcnt(0)
	v_cmp_lt_i64_e32 vcc, v[4:5], v[2:3]
	v_cmp_eq_u32_e64 s[0:1], 1, v11
	v_and_b32_e32 v6, 1, v7
	s_and_b64 vcc, s[0:1], vcc
	v_cndmask_b32_e64 v7, v7, 1, s[0:1]
	v_cndmask_b32_e32 v2, v2, v4, vcc
	v_cndmask_b32_e32 v3, v3, v5, vcc
	v_cmp_eq_u32_e32 vcc, 1, v6
	v_cndmask_b32_e32 v7, v10, v7, vcc
	v_cndmask_b32_e32 v3, v5, v3, vcc
	v_cndmask_b32_e32 v2, v4, v2, vcc
	v_and_b32_e32 v6, 0xff, v7
.LBB89_33:
	s_or_b64 exec, exec, s[4:5]
	v_cmp_gt_u32_e32 vcc, 56, v8
	s_waitcnt lgkmcnt(1)
	v_cndmask_b32_e64 v4, 0, 1, vcc
	v_lshlrev_b32_e32 v4, 3, v4
	s_waitcnt lgkmcnt(0)
	;; [unrolled: 31-line block ×4, first 2 shown]
	v_add_lshl_u32 v5, v4, v1, 2
	ds_bpermute_b32 v10, v5, v6
	ds_bpermute_b32 v4, v5, v2
	;; [unrolled: 1-line block ×3, first 2 shown]
	v_add_u32_e32 v8, 32, v8
	v_cmp_lt_u32_e32 vcc, v8, v9
	s_and_saveexec_b64 s[4:5], vcc
	s_cbranch_execz .LBB89_39
; %bb.38:
	s_waitcnt lgkmcnt(2)
	v_and_b32_e32 v8, 1, v10
	s_waitcnt lgkmcnt(0)
	v_cmp_lt_i64_e32 vcc, v[4:5], v[2:3]
	v_cmp_eq_u32_e64 s[0:1], 1, v8
	v_and_b32_e32 v6, 1, v7
	s_and_b64 vcc, s[0:1], vcc
	v_cndmask_b32_e64 v7, v7, 1, s[0:1]
	v_cndmask_b32_e32 v2, v2, v4, vcc
	v_cndmask_b32_e32 v3, v3, v5, vcc
	v_cmp_eq_u32_e32 vcc, 1, v6
	v_cndmask_b32_e32 v7, v10, v7, vcc
	v_cndmask_b32_e32 v3, v5, v3, vcc
	;; [unrolled: 1-line block ×3, first 2 shown]
	v_and_b32_e32 v6, 0xff, v7
.LBB89_39:
	s_or_b64 exec, exec, s[4:5]
	v_cmp_eq_u32_e32 vcc, 0, v1
	s_and_saveexec_b64 s[0:1], vcc
	s_cbranch_execz .LBB89_41
; %bb.40:
	s_waitcnt lgkmcnt(1)
	v_lshrrev_b32_e32 v4, 2, v0
	v_and_b32_e32 v4, 48, v4
	ds_write_b8 v4, v7 offset:64
	ds_write_b64 v4, v[2:3] offset:72
.LBB89_41:
	s_or_b64 exec, exec, s[0:1]
	v_cmp_gt_u32_e32 vcc, 4, v0
	s_waitcnt lgkmcnt(0)
	s_barrier
	s_and_saveexec_b64 s[4:5], vcc
	s_cbranch_execz .LBB89_47
; %bb.42:
	v_lshlrev_b32_e32 v2, 4, v1
	ds_read_u8 v7, v2 offset:64
	ds_read_b64 v[2:3], v2 offset:72
	v_and_b32_e32 v8, 3, v1
	v_cmp_ne_u32_e32 vcc, 3, v8
	v_addc_co_u32_e32 v4, vcc, 0, v1, vcc
	s_waitcnt lgkmcnt(1)
	v_and_b32_e32 v6, 0xff, v7
	v_lshlrev_b32_e32 v5, 2, v4
	ds_bpermute_b32 v9, v5, v6
	s_waitcnt lgkmcnt(1)
	ds_bpermute_b32 v4, v5, v2
	ds_bpermute_b32 v5, v5, v3
	s_add_i32 s8, s8, 63
	s_lshr_b32 s10, s8, 6
	v_add_u32_e32 v10, 1, v8
	v_cmp_gt_u32_e32 vcc, s10, v10
	s_and_saveexec_b64 s[8:9], vcc
	s_cbranch_execz .LBB89_44
; %bb.43:
	s_waitcnt lgkmcnt(2)
	v_and_b32_e32 v10, 1, v9
	s_waitcnt lgkmcnt(0)
	v_cmp_lt_i64_e32 vcc, v[4:5], v[2:3]
	v_cmp_eq_u32_e64 s[0:1], 1, v10
	v_and_b32_e32 v6, 1, v7
	s_and_b64 vcc, s[0:1], vcc
	v_cndmask_b32_e64 v7, v7, 1, s[0:1]
	v_cndmask_b32_e32 v2, v2, v4, vcc
	v_cndmask_b32_e32 v3, v3, v5, vcc
	v_cmp_eq_u32_e32 vcc, 1, v6
	v_cndmask_b32_e32 v7, v9, v7, vcc
	v_cndmask_b32_e32 v3, v5, v3, vcc
	;; [unrolled: 1-line block ×3, first 2 shown]
	v_and_b32_e32 v6, 0xff, v7
.LBB89_44:
	s_or_b64 exec, exec, s[8:9]
	v_cmp_gt_u32_e32 vcc, 2, v8
	s_waitcnt lgkmcnt(1)
	v_cndmask_b32_e64 v4, 0, 1, vcc
	v_lshlrev_b32_e32 v4, 1, v4
	s_waitcnt lgkmcnt(0)
	v_add_lshl_u32 v5, v4, v1, 2
	ds_bpermute_b32 v1, v5, v6
	ds_bpermute_b32 v4, v5, v2
	;; [unrolled: 1-line block ×3, first 2 shown]
	v_add_u32_e32 v8, 2, v8
	v_cmp_gt_u32_e32 vcc, s10, v8
	s_and_saveexec_b64 s[8:9], vcc
	s_cbranch_execz .LBB89_46
; %bb.45:
	s_waitcnt lgkmcnt(2)
	v_and_b32_e32 v8, 1, v1
	s_waitcnt lgkmcnt(0)
	v_cmp_lt_i64_e32 vcc, v[4:5], v[2:3]
	v_cmp_eq_u32_e64 s[0:1], 1, v8
	v_and_b32_e32 v6, 1, v7
	s_and_b64 vcc, s[0:1], vcc
	v_cndmask_b32_e64 v7, v7, 1, s[0:1]
	v_cndmask_b32_e32 v2, v2, v4, vcc
	v_cndmask_b32_e32 v3, v3, v5, vcc
	v_cmp_eq_u32_e32 vcc, 1, v6
	v_cndmask_b32_e32 v1, v1, v7, vcc
	v_cndmask_b32_e32 v3, v5, v3, vcc
	;; [unrolled: 1-line block ×3, first 2 shown]
	v_and_b32_e32 v6, 0xff, v1
.LBB89_46:
	s_or_b64 exec, exec, s[8:9]
.LBB89_47:
	s_or_b64 exec, exec, s[4:5]
.LBB89_48:
	v_cmp_eq_u32_e32 vcc, 0, v0
	s_and_saveexec_b64 s[0:1], vcc
	s_cbranch_execnz .LBB89_50
; %bb.49:
	s_endpgm
.LBB89_50:
	s_mul_i32 s0, s18, s17
	s_mul_hi_u32 s1, s18, s16
	s_add_i32 s0, s1, s0
	s_mul_i32 s1, s19, s16
	s_add_i32 s1, s0, s1
	s_mul_i32 s0, s18, s16
	s_lshl_b64 s[0:1], s[0:1], 4
	s_add_u32 s4, s14, s0
	s_addc_u32 s5, s15, s1
	s_cmp_eq_u64 s[12:13], 0
	s_waitcnt lgkmcnt(0)
	v_mov_b32_e32 v0, s3
	s_cselect_b64 vcc, -1, 0
	v_cndmask_b32_e32 v1, v3, v0, vcc
	v_mov_b32_e32 v0, s2
	s_lshl_b64 s[0:1], s[6:7], 4
	v_cndmask_b32_e32 v0, v2, v0, vcc
	v_mov_b32_e32 v2, s11
	s_add_u32 s0, s4, s0
	v_cndmask_b32_e32 v2, v6, v2, vcc
	s_addc_u32 s1, s5, s1
	v_mov_b32_e32 v3, 0
	global_store_byte v3, v2, s[0:1]
	global_store_dwordx2 v3, v[0:1], s[0:1] offset:8
	s_endpgm
	.section	.rodata,"a",@progbits
	.p2align	6, 0x0
	.amdhsa_kernel _ZN7rocprim17ROCPRIM_400000_NS6detail17trampoline_kernelINS0_14default_configENS1_22reduce_config_selectorIN6thrust23THRUST_200600_302600_NS5tupleIblNS6_9null_typeES8_S8_S8_S8_S8_S8_S8_EEEEZNS1_11reduce_implILb1ES3_PS9_SC_S9_NS6_11hip_rocprim9__find_if7functorIS9_EEEE10hipError_tPvRmT1_T2_T3_mT4_P12ihipStream_tbEUlT_E0_NS1_11comp_targetILNS1_3genE4ELNS1_11target_archE910ELNS1_3gpuE8ELNS1_3repE0EEENS1_30default_config_static_selectorELNS0_4arch9wavefront6targetE1EEEvSK_
		.amdhsa_group_segment_fixed_size 128
		.amdhsa_private_segment_fixed_size 0
		.amdhsa_kernarg_size 72
		.amdhsa_user_sgpr_count 6
		.amdhsa_user_sgpr_private_segment_buffer 1
		.amdhsa_user_sgpr_dispatch_ptr 0
		.amdhsa_user_sgpr_queue_ptr 0
		.amdhsa_user_sgpr_kernarg_segment_ptr 1
		.amdhsa_user_sgpr_dispatch_id 0
		.amdhsa_user_sgpr_flat_scratch_init 0
		.amdhsa_user_sgpr_kernarg_preload_length 0
		.amdhsa_user_sgpr_kernarg_preload_offset 0
		.amdhsa_user_sgpr_private_segment_size 0
		.amdhsa_uses_dynamic_stack 0
		.amdhsa_system_sgpr_private_segment_wavefront_offset 0
		.amdhsa_system_sgpr_workgroup_id_x 1
		.amdhsa_system_sgpr_workgroup_id_y 0
		.amdhsa_system_sgpr_workgroup_id_z 0
		.amdhsa_system_sgpr_workgroup_info 0
		.amdhsa_system_vgpr_workitem_id 0
		.amdhsa_next_free_vgpr 12
		.amdhsa_next_free_sgpr 22
		.amdhsa_accum_offset 12
		.amdhsa_reserve_vcc 1
		.amdhsa_reserve_flat_scratch 0
		.amdhsa_float_round_mode_32 0
		.amdhsa_float_round_mode_16_64 0
		.amdhsa_float_denorm_mode_32 3
		.amdhsa_float_denorm_mode_16_64 3
		.amdhsa_dx10_clamp 1
		.amdhsa_ieee_mode 1
		.amdhsa_fp16_overflow 0
		.amdhsa_tg_split 0
		.amdhsa_exception_fp_ieee_invalid_op 0
		.amdhsa_exception_fp_denorm_src 0
		.amdhsa_exception_fp_ieee_div_zero 0
		.amdhsa_exception_fp_ieee_overflow 0
		.amdhsa_exception_fp_ieee_underflow 0
		.amdhsa_exception_fp_ieee_inexact 0
		.amdhsa_exception_int_div_zero 0
	.end_amdhsa_kernel
	.section	.text._ZN7rocprim17ROCPRIM_400000_NS6detail17trampoline_kernelINS0_14default_configENS1_22reduce_config_selectorIN6thrust23THRUST_200600_302600_NS5tupleIblNS6_9null_typeES8_S8_S8_S8_S8_S8_S8_EEEEZNS1_11reduce_implILb1ES3_PS9_SC_S9_NS6_11hip_rocprim9__find_if7functorIS9_EEEE10hipError_tPvRmT1_T2_T3_mT4_P12ihipStream_tbEUlT_E0_NS1_11comp_targetILNS1_3genE4ELNS1_11target_archE910ELNS1_3gpuE8ELNS1_3repE0EEENS1_30default_config_static_selectorELNS0_4arch9wavefront6targetE1EEEvSK_,"axG",@progbits,_ZN7rocprim17ROCPRIM_400000_NS6detail17trampoline_kernelINS0_14default_configENS1_22reduce_config_selectorIN6thrust23THRUST_200600_302600_NS5tupleIblNS6_9null_typeES8_S8_S8_S8_S8_S8_S8_EEEEZNS1_11reduce_implILb1ES3_PS9_SC_S9_NS6_11hip_rocprim9__find_if7functorIS9_EEEE10hipError_tPvRmT1_T2_T3_mT4_P12ihipStream_tbEUlT_E0_NS1_11comp_targetILNS1_3genE4ELNS1_11target_archE910ELNS1_3gpuE8ELNS1_3repE0EEENS1_30default_config_static_selectorELNS0_4arch9wavefront6targetE1EEEvSK_,comdat
.Lfunc_end89:
	.size	_ZN7rocprim17ROCPRIM_400000_NS6detail17trampoline_kernelINS0_14default_configENS1_22reduce_config_selectorIN6thrust23THRUST_200600_302600_NS5tupleIblNS6_9null_typeES8_S8_S8_S8_S8_S8_S8_EEEEZNS1_11reduce_implILb1ES3_PS9_SC_S9_NS6_11hip_rocprim9__find_if7functorIS9_EEEE10hipError_tPvRmT1_T2_T3_mT4_P12ihipStream_tbEUlT_E0_NS1_11comp_targetILNS1_3genE4ELNS1_11target_archE910ELNS1_3gpuE8ELNS1_3repE0EEENS1_30default_config_static_selectorELNS0_4arch9wavefront6targetE1EEEvSK_, .Lfunc_end89-_ZN7rocprim17ROCPRIM_400000_NS6detail17trampoline_kernelINS0_14default_configENS1_22reduce_config_selectorIN6thrust23THRUST_200600_302600_NS5tupleIblNS6_9null_typeES8_S8_S8_S8_S8_S8_S8_EEEEZNS1_11reduce_implILb1ES3_PS9_SC_S9_NS6_11hip_rocprim9__find_if7functorIS9_EEEE10hipError_tPvRmT1_T2_T3_mT4_P12ihipStream_tbEUlT_E0_NS1_11comp_targetILNS1_3genE4ELNS1_11target_archE910ELNS1_3gpuE8ELNS1_3repE0EEENS1_30default_config_static_selectorELNS0_4arch9wavefront6targetE1EEEvSK_
                                        ; -- End function
	.section	.AMDGPU.csdata,"",@progbits
; Kernel info:
; codeLenInByte = 2816
; NumSgprs: 26
; NumVgprs: 12
; NumAgprs: 0
; TotalNumVgprs: 12
; ScratchSize: 0
; MemoryBound: 0
; FloatMode: 240
; IeeeMode: 1
; LDSByteSize: 128 bytes/workgroup (compile time only)
; SGPRBlocks: 3
; VGPRBlocks: 1
; NumSGPRsForWavesPerEU: 26
; NumVGPRsForWavesPerEU: 12
; AccumOffset: 12
; Occupancy: 8
; WaveLimiterHint : 1
; COMPUTE_PGM_RSRC2:SCRATCH_EN: 0
; COMPUTE_PGM_RSRC2:USER_SGPR: 6
; COMPUTE_PGM_RSRC2:TRAP_HANDLER: 0
; COMPUTE_PGM_RSRC2:TGID_X_EN: 1
; COMPUTE_PGM_RSRC2:TGID_Y_EN: 0
; COMPUTE_PGM_RSRC2:TGID_Z_EN: 0
; COMPUTE_PGM_RSRC2:TIDIG_COMP_CNT: 0
; COMPUTE_PGM_RSRC3_GFX90A:ACCUM_OFFSET: 2
; COMPUTE_PGM_RSRC3_GFX90A:TG_SPLIT: 0
	.section	.text._ZN7rocprim17ROCPRIM_400000_NS6detail17trampoline_kernelINS0_14default_configENS1_22reduce_config_selectorIN6thrust23THRUST_200600_302600_NS5tupleIblNS6_9null_typeES8_S8_S8_S8_S8_S8_S8_EEEEZNS1_11reduce_implILb1ES3_PS9_SC_S9_NS6_11hip_rocprim9__find_if7functorIS9_EEEE10hipError_tPvRmT1_T2_T3_mT4_P12ihipStream_tbEUlT_E0_NS1_11comp_targetILNS1_3genE3ELNS1_11target_archE908ELNS1_3gpuE7ELNS1_3repE0EEENS1_30default_config_static_selectorELNS0_4arch9wavefront6targetE1EEEvSK_,"axG",@progbits,_ZN7rocprim17ROCPRIM_400000_NS6detail17trampoline_kernelINS0_14default_configENS1_22reduce_config_selectorIN6thrust23THRUST_200600_302600_NS5tupleIblNS6_9null_typeES8_S8_S8_S8_S8_S8_S8_EEEEZNS1_11reduce_implILb1ES3_PS9_SC_S9_NS6_11hip_rocprim9__find_if7functorIS9_EEEE10hipError_tPvRmT1_T2_T3_mT4_P12ihipStream_tbEUlT_E0_NS1_11comp_targetILNS1_3genE3ELNS1_11target_archE908ELNS1_3gpuE7ELNS1_3repE0EEENS1_30default_config_static_selectorELNS0_4arch9wavefront6targetE1EEEvSK_,comdat
	.protected	_ZN7rocprim17ROCPRIM_400000_NS6detail17trampoline_kernelINS0_14default_configENS1_22reduce_config_selectorIN6thrust23THRUST_200600_302600_NS5tupleIblNS6_9null_typeES8_S8_S8_S8_S8_S8_S8_EEEEZNS1_11reduce_implILb1ES3_PS9_SC_S9_NS6_11hip_rocprim9__find_if7functorIS9_EEEE10hipError_tPvRmT1_T2_T3_mT4_P12ihipStream_tbEUlT_E0_NS1_11comp_targetILNS1_3genE3ELNS1_11target_archE908ELNS1_3gpuE7ELNS1_3repE0EEENS1_30default_config_static_selectorELNS0_4arch9wavefront6targetE1EEEvSK_ ; -- Begin function _ZN7rocprim17ROCPRIM_400000_NS6detail17trampoline_kernelINS0_14default_configENS1_22reduce_config_selectorIN6thrust23THRUST_200600_302600_NS5tupleIblNS6_9null_typeES8_S8_S8_S8_S8_S8_S8_EEEEZNS1_11reduce_implILb1ES3_PS9_SC_S9_NS6_11hip_rocprim9__find_if7functorIS9_EEEE10hipError_tPvRmT1_T2_T3_mT4_P12ihipStream_tbEUlT_E0_NS1_11comp_targetILNS1_3genE3ELNS1_11target_archE908ELNS1_3gpuE7ELNS1_3repE0EEENS1_30default_config_static_selectorELNS0_4arch9wavefront6targetE1EEEvSK_
	.globl	_ZN7rocprim17ROCPRIM_400000_NS6detail17trampoline_kernelINS0_14default_configENS1_22reduce_config_selectorIN6thrust23THRUST_200600_302600_NS5tupleIblNS6_9null_typeES8_S8_S8_S8_S8_S8_S8_EEEEZNS1_11reduce_implILb1ES3_PS9_SC_S9_NS6_11hip_rocprim9__find_if7functorIS9_EEEE10hipError_tPvRmT1_T2_T3_mT4_P12ihipStream_tbEUlT_E0_NS1_11comp_targetILNS1_3genE3ELNS1_11target_archE908ELNS1_3gpuE7ELNS1_3repE0EEENS1_30default_config_static_selectorELNS0_4arch9wavefront6targetE1EEEvSK_
	.p2align	8
	.type	_ZN7rocprim17ROCPRIM_400000_NS6detail17trampoline_kernelINS0_14default_configENS1_22reduce_config_selectorIN6thrust23THRUST_200600_302600_NS5tupleIblNS6_9null_typeES8_S8_S8_S8_S8_S8_S8_EEEEZNS1_11reduce_implILb1ES3_PS9_SC_S9_NS6_11hip_rocprim9__find_if7functorIS9_EEEE10hipError_tPvRmT1_T2_T3_mT4_P12ihipStream_tbEUlT_E0_NS1_11comp_targetILNS1_3genE3ELNS1_11target_archE908ELNS1_3gpuE7ELNS1_3repE0EEENS1_30default_config_static_selectorELNS0_4arch9wavefront6targetE1EEEvSK_,@function
_ZN7rocprim17ROCPRIM_400000_NS6detail17trampoline_kernelINS0_14default_configENS1_22reduce_config_selectorIN6thrust23THRUST_200600_302600_NS5tupleIblNS6_9null_typeES8_S8_S8_S8_S8_S8_S8_EEEEZNS1_11reduce_implILb1ES3_PS9_SC_S9_NS6_11hip_rocprim9__find_if7functorIS9_EEEE10hipError_tPvRmT1_T2_T3_mT4_P12ihipStream_tbEUlT_E0_NS1_11comp_targetILNS1_3genE3ELNS1_11target_archE908ELNS1_3gpuE7ELNS1_3repE0EEENS1_30default_config_static_selectorELNS0_4arch9wavefront6targetE1EEEvSK_: ; @_ZN7rocprim17ROCPRIM_400000_NS6detail17trampoline_kernelINS0_14default_configENS1_22reduce_config_selectorIN6thrust23THRUST_200600_302600_NS5tupleIblNS6_9null_typeES8_S8_S8_S8_S8_S8_S8_EEEEZNS1_11reduce_implILb1ES3_PS9_SC_S9_NS6_11hip_rocprim9__find_if7functorIS9_EEEE10hipError_tPvRmT1_T2_T3_mT4_P12ihipStream_tbEUlT_E0_NS1_11comp_targetILNS1_3genE3ELNS1_11target_archE908ELNS1_3gpuE7ELNS1_3repE0EEENS1_30default_config_static_selectorELNS0_4arch9wavefront6targetE1EEEvSK_
; %bb.0:
	.section	.rodata,"a",@progbits
	.p2align	6, 0x0
	.amdhsa_kernel _ZN7rocprim17ROCPRIM_400000_NS6detail17trampoline_kernelINS0_14default_configENS1_22reduce_config_selectorIN6thrust23THRUST_200600_302600_NS5tupleIblNS6_9null_typeES8_S8_S8_S8_S8_S8_S8_EEEEZNS1_11reduce_implILb1ES3_PS9_SC_S9_NS6_11hip_rocprim9__find_if7functorIS9_EEEE10hipError_tPvRmT1_T2_T3_mT4_P12ihipStream_tbEUlT_E0_NS1_11comp_targetILNS1_3genE3ELNS1_11target_archE908ELNS1_3gpuE7ELNS1_3repE0EEENS1_30default_config_static_selectorELNS0_4arch9wavefront6targetE1EEEvSK_
		.amdhsa_group_segment_fixed_size 0
		.amdhsa_private_segment_fixed_size 0
		.amdhsa_kernarg_size 72
		.amdhsa_user_sgpr_count 6
		.amdhsa_user_sgpr_private_segment_buffer 1
		.amdhsa_user_sgpr_dispatch_ptr 0
		.amdhsa_user_sgpr_queue_ptr 0
		.amdhsa_user_sgpr_kernarg_segment_ptr 1
		.amdhsa_user_sgpr_dispatch_id 0
		.amdhsa_user_sgpr_flat_scratch_init 0
		.amdhsa_user_sgpr_kernarg_preload_length 0
		.amdhsa_user_sgpr_kernarg_preload_offset 0
		.amdhsa_user_sgpr_private_segment_size 0
		.amdhsa_uses_dynamic_stack 0
		.amdhsa_system_sgpr_private_segment_wavefront_offset 0
		.amdhsa_system_sgpr_workgroup_id_x 1
		.amdhsa_system_sgpr_workgroup_id_y 0
		.amdhsa_system_sgpr_workgroup_id_z 0
		.amdhsa_system_sgpr_workgroup_info 0
		.amdhsa_system_vgpr_workitem_id 0
		.amdhsa_next_free_vgpr 1
		.amdhsa_next_free_sgpr 0
		.amdhsa_accum_offset 4
		.amdhsa_reserve_vcc 0
		.amdhsa_reserve_flat_scratch 0
		.amdhsa_float_round_mode_32 0
		.amdhsa_float_round_mode_16_64 0
		.amdhsa_float_denorm_mode_32 3
		.amdhsa_float_denorm_mode_16_64 3
		.amdhsa_dx10_clamp 1
		.amdhsa_ieee_mode 1
		.amdhsa_fp16_overflow 0
		.amdhsa_tg_split 0
		.amdhsa_exception_fp_ieee_invalid_op 0
		.amdhsa_exception_fp_denorm_src 0
		.amdhsa_exception_fp_ieee_div_zero 0
		.amdhsa_exception_fp_ieee_overflow 0
		.amdhsa_exception_fp_ieee_underflow 0
		.amdhsa_exception_fp_ieee_inexact 0
		.amdhsa_exception_int_div_zero 0
	.end_amdhsa_kernel
	.section	.text._ZN7rocprim17ROCPRIM_400000_NS6detail17trampoline_kernelINS0_14default_configENS1_22reduce_config_selectorIN6thrust23THRUST_200600_302600_NS5tupleIblNS6_9null_typeES8_S8_S8_S8_S8_S8_S8_EEEEZNS1_11reduce_implILb1ES3_PS9_SC_S9_NS6_11hip_rocprim9__find_if7functorIS9_EEEE10hipError_tPvRmT1_T2_T3_mT4_P12ihipStream_tbEUlT_E0_NS1_11comp_targetILNS1_3genE3ELNS1_11target_archE908ELNS1_3gpuE7ELNS1_3repE0EEENS1_30default_config_static_selectorELNS0_4arch9wavefront6targetE1EEEvSK_,"axG",@progbits,_ZN7rocprim17ROCPRIM_400000_NS6detail17trampoline_kernelINS0_14default_configENS1_22reduce_config_selectorIN6thrust23THRUST_200600_302600_NS5tupleIblNS6_9null_typeES8_S8_S8_S8_S8_S8_S8_EEEEZNS1_11reduce_implILb1ES3_PS9_SC_S9_NS6_11hip_rocprim9__find_if7functorIS9_EEEE10hipError_tPvRmT1_T2_T3_mT4_P12ihipStream_tbEUlT_E0_NS1_11comp_targetILNS1_3genE3ELNS1_11target_archE908ELNS1_3gpuE7ELNS1_3repE0EEENS1_30default_config_static_selectorELNS0_4arch9wavefront6targetE1EEEvSK_,comdat
.Lfunc_end90:
	.size	_ZN7rocprim17ROCPRIM_400000_NS6detail17trampoline_kernelINS0_14default_configENS1_22reduce_config_selectorIN6thrust23THRUST_200600_302600_NS5tupleIblNS6_9null_typeES8_S8_S8_S8_S8_S8_S8_EEEEZNS1_11reduce_implILb1ES3_PS9_SC_S9_NS6_11hip_rocprim9__find_if7functorIS9_EEEE10hipError_tPvRmT1_T2_T3_mT4_P12ihipStream_tbEUlT_E0_NS1_11comp_targetILNS1_3genE3ELNS1_11target_archE908ELNS1_3gpuE7ELNS1_3repE0EEENS1_30default_config_static_selectorELNS0_4arch9wavefront6targetE1EEEvSK_, .Lfunc_end90-_ZN7rocprim17ROCPRIM_400000_NS6detail17trampoline_kernelINS0_14default_configENS1_22reduce_config_selectorIN6thrust23THRUST_200600_302600_NS5tupleIblNS6_9null_typeES8_S8_S8_S8_S8_S8_S8_EEEEZNS1_11reduce_implILb1ES3_PS9_SC_S9_NS6_11hip_rocprim9__find_if7functorIS9_EEEE10hipError_tPvRmT1_T2_T3_mT4_P12ihipStream_tbEUlT_E0_NS1_11comp_targetILNS1_3genE3ELNS1_11target_archE908ELNS1_3gpuE7ELNS1_3repE0EEENS1_30default_config_static_selectorELNS0_4arch9wavefront6targetE1EEEvSK_
                                        ; -- End function
	.section	.AMDGPU.csdata,"",@progbits
; Kernel info:
; codeLenInByte = 0
; NumSgprs: 4
; NumVgprs: 0
; NumAgprs: 0
; TotalNumVgprs: 0
; ScratchSize: 0
; MemoryBound: 0
; FloatMode: 240
; IeeeMode: 1
; LDSByteSize: 0 bytes/workgroup (compile time only)
; SGPRBlocks: 0
; VGPRBlocks: 0
; NumSGPRsForWavesPerEU: 4
; NumVGPRsForWavesPerEU: 1
; AccumOffset: 4
; Occupancy: 8
; WaveLimiterHint : 0
; COMPUTE_PGM_RSRC2:SCRATCH_EN: 0
; COMPUTE_PGM_RSRC2:USER_SGPR: 6
; COMPUTE_PGM_RSRC2:TRAP_HANDLER: 0
; COMPUTE_PGM_RSRC2:TGID_X_EN: 1
; COMPUTE_PGM_RSRC2:TGID_Y_EN: 0
; COMPUTE_PGM_RSRC2:TGID_Z_EN: 0
; COMPUTE_PGM_RSRC2:TIDIG_COMP_CNT: 0
; COMPUTE_PGM_RSRC3_GFX90A:ACCUM_OFFSET: 0
; COMPUTE_PGM_RSRC3_GFX90A:TG_SPLIT: 0
	.section	.text._ZN7rocprim17ROCPRIM_400000_NS6detail17trampoline_kernelINS0_14default_configENS1_22reduce_config_selectorIN6thrust23THRUST_200600_302600_NS5tupleIblNS6_9null_typeES8_S8_S8_S8_S8_S8_S8_EEEEZNS1_11reduce_implILb1ES3_PS9_SC_S9_NS6_11hip_rocprim9__find_if7functorIS9_EEEE10hipError_tPvRmT1_T2_T3_mT4_P12ihipStream_tbEUlT_E0_NS1_11comp_targetILNS1_3genE2ELNS1_11target_archE906ELNS1_3gpuE6ELNS1_3repE0EEENS1_30default_config_static_selectorELNS0_4arch9wavefront6targetE1EEEvSK_,"axG",@progbits,_ZN7rocprim17ROCPRIM_400000_NS6detail17trampoline_kernelINS0_14default_configENS1_22reduce_config_selectorIN6thrust23THRUST_200600_302600_NS5tupleIblNS6_9null_typeES8_S8_S8_S8_S8_S8_S8_EEEEZNS1_11reduce_implILb1ES3_PS9_SC_S9_NS6_11hip_rocprim9__find_if7functorIS9_EEEE10hipError_tPvRmT1_T2_T3_mT4_P12ihipStream_tbEUlT_E0_NS1_11comp_targetILNS1_3genE2ELNS1_11target_archE906ELNS1_3gpuE6ELNS1_3repE0EEENS1_30default_config_static_selectorELNS0_4arch9wavefront6targetE1EEEvSK_,comdat
	.protected	_ZN7rocprim17ROCPRIM_400000_NS6detail17trampoline_kernelINS0_14default_configENS1_22reduce_config_selectorIN6thrust23THRUST_200600_302600_NS5tupleIblNS6_9null_typeES8_S8_S8_S8_S8_S8_S8_EEEEZNS1_11reduce_implILb1ES3_PS9_SC_S9_NS6_11hip_rocprim9__find_if7functorIS9_EEEE10hipError_tPvRmT1_T2_T3_mT4_P12ihipStream_tbEUlT_E0_NS1_11comp_targetILNS1_3genE2ELNS1_11target_archE906ELNS1_3gpuE6ELNS1_3repE0EEENS1_30default_config_static_selectorELNS0_4arch9wavefront6targetE1EEEvSK_ ; -- Begin function _ZN7rocprim17ROCPRIM_400000_NS6detail17trampoline_kernelINS0_14default_configENS1_22reduce_config_selectorIN6thrust23THRUST_200600_302600_NS5tupleIblNS6_9null_typeES8_S8_S8_S8_S8_S8_S8_EEEEZNS1_11reduce_implILb1ES3_PS9_SC_S9_NS6_11hip_rocprim9__find_if7functorIS9_EEEE10hipError_tPvRmT1_T2_T3_mT4_P12ihipStream_tbEUlT_E0_NS1_11comp_targetILNS1_3genE2ELNS1_11target_archE906ELNS1_3gpuE6ELNS1_3repE0EEENS1_30default_config_static_selectorELNS0_4arch9wavefront6targetE1EEEvSK_
	.globl	_ZN7rocprim17ROCPRIM_400000_NS6detail17trampoline_kernelINS0_14default_configENS1_22reduce_config_selectorIN6thrust23THRUST_200600_302600_NS5tupleIblNS6_9null_typeES8_S8_S8_S8_S8_S8_S8_EEEEZNS1_11reduce_implILb1ES3_PS9_SC_S9_NS6_11hip_rocprim9__find_if7functorIS9_EEEE10hipError_tPvRmT1_T2_T3_mT4_P12ihipStream_tbEUlT_E0_NS1_11comp_targetILNS1_3genE2ELNS1_11target_archE906ELNS1_3gpuE6ELNS1_3repE0EEENS1_30default_config_static_selectorELNS0_4arch9wavefront6targetE1EEEvSK_
	.p2align	8
	.type	_ZN7rocprim17ROCPRIM_400000_NS6detail17trampoline_kernelINS0_14default_configENS1_22reduce_config_selectorIN6thrust23THRUST_200600_302600_NS5tupleIblNS6_9null_typeES8_S8_S8_S8_S8_S8_S8_EEEEZNS1_11reduce_implILb1ES3_PS9_SC_S9_NS6_11hip_rocprim9__find_if7functorIS9_EEEE10hipError_tPvRmT1_T2_T3_mT4_P12ihipStream_tbEUlT_E0_NS1_11comp_targetILNS1_3genE2ELNS1_11target_archE906ELNS1_3gpuE6ELNS1_3repE0EEENS1_30default_config_static_selectorELNS0_4arch9wavefront6targetE1EEEvSK_,@function
_ZN7rocprim17ROCPRIM_400000_NS6detail17trampoline_kernelINS0_14default_configENS1_22reduce_config_selectorIN6thrust23THRUST_200600_302600_NS5tupleIblNS6_9null_typeES8_S8_S8_S8_S8_S8_S8_EEEEZNS1_11reduce_implILb1ES3_PS9_SC_S9_NS6_11hip_rocprim9__find_if7functorIS9_EEEE10hipError_tPvRmT1_T2_T3_mT4_P12ihipStream_tbEUlT_E0_NS1_11comp_targetILNS1_3genE2ELNS1_11target_archE906ELNS1_3gpuE6ELNS1_3repE0EEENS1_30default_config_static_selectorELNS0_4arch9wavefront6targetE1EEEvSK_: ; @_ZN7rocprim17ROCPRIM_400000_NS6detail17trampoline_kernelINS0_14default_configENS1_22reduce_config_selectorIN6thrust23THRUST_200600_302600_NS5tupleIblNS6_9null_typeES8_S8_S8_S8_S8_S8_S8_EEEEZNS1_11reduce_implILb1ES3_PS9_SC_S9_NS6_11hip_rocprim9__find_if7functorIS9_EEEE10hipError_tPvRmT1_T2_T3_mT4_P12ihipStream_tbEUlT_E0_NS1_11comp_targetILNS1_3genE2ELNS1_11target_archE906ELNS1_3gpuE6ELNS1_3repE0EEENS1_30default_config_static_selectorELNS0_4arch9wavefront6targetE1EEEvSK_
; %bb.0:
	.section	.rodata,"a",@progbits
	.p2align	6, 0x0
	.amdhsa_kernel _ZN7rocprim17ROCPRIM_400000_NS6detail17trampoline_kernelINS0_14default_configENS1_22reduce_config_selectorIN6thrust23THRUST_200600_302600_NS5tupleIblNS6_9null_typeES8_S8_S8_S8_S8_S8_S8_EEEEZNS1_11reduce_implILb1ES3_PS9_SC_S9_NS6_11hip_rocprim9__find_if7functorIS9_EEEE10hipError_tPvRmT1_T2_T3_mT4_P12ihipStream_tbEUlT_E0_NS1_11comp_targetILNS1_3genE2ELNS1_11target_archE906ELNS1_3gpuE6ELNS1_3repE0EEENS1_30default_config_static_selectorELNS0_4arch9wavefront6targetE1EEEvSK_
		.amdhsa_group_segment_fixed_size 0
		.amdhsa_private_segment_fixed_size 0
		.amdhsa_kernarg_size 72
		.amdhsa_user_sgpr_count 6
		.amdhsa_user_sgpr_private_segment_buffer 1
		.amdhsa_user_sgpr_dispatch_ptr 0
		.amdhsa_user_sgpr_queue_ptr 0
		.amdhsa_user_sgpr_kernarg_segment_ptr 1
		.amdhsa_user_sgpr_dispatch_id 0
		.amdhsa_user_sgpr_flat_scratch_init 0
		.amdhsa_user_sgpr_kernarg_preload_length 0
		.amdhsa_user_sgpr_kernarg_preload_offset 0
		.amdhsa_user_sgpr_private_segment_size 0
		.amdhsa_uses_dynamic_stack 0
		.amdhsa_system_sgpr_private_segment_wavefront_offset 0
		.amdhsa_system_sgpr_workgroup_id_x 1
		.amdhsa_system_sgpr_workgroup_id_y 0
		.amdhsa_system_sgpr_workgroup_id_z 0
		.amdhsa_system_sgpr_workgroup_info 0
		.amdhsa_system_vgpr_workitem_id 0
		.amdhsa_next_free_vgpr 1
		.amdhsa_next_free_sgpr 0
		.amdhsa_accum_offset 4
		.amdhsa_reserve_vcc 0
		.amdhsa_reserve_flat_scratch 0
		.amdhsa_float_round_mode_32 0
		.amdhsa_float_round_mode_16_64 0
		.amdhsa_float_denorm_mode_32 3
		.amdhsa_float_denorm_mode_16_64 3
		.amdhsa_dx10_clamp 1
		.amdhsa_ieee_mode 1
		.amdhsa_fp16_overflow 0
		.amdhsa_tg_split 0
		.amdhsa_exception_fp_ieee_invalid_op 0
		.amdhsa_exception_fp_denorm_src 0
		.amdhsa_exception_fp_ieee_div_zero 0
		.amdhsa_exception_fp_ieee_overflow 0
		.amdhsa_exception_fp_ieee_underflow 0
		.amdhsa_exception_fp_ieee_inexact 0
		.amdhsa_exception_int_div_zero 0
	.end_amdhsa_kernel
	.section	.text._ZN7rocprim17ROCPRIM_400000_NS6detail17trampoline_kernelINS0_14default_configENS1_22reduce_config_selectorIN6thrust23THRUST_200600_302600_NS5tupleIblNS6_9null_typeES8_S8_S8_S8_S8_S8_S8_EEEEZNS1_11reduce_implILb1ES3_PS9_SC_S9_NS6_11hip_rocprim9__find_if7functorIS9_EEEE10hipError_tPvRmT1_T2_T3_mT4_P12ihipStream_tbEUlT_E0_NS1_11comp_targetILNS1_3genE2ELNS1_11target_archE906ELNS1_3gpuE6ELNS1_3repE0EEENS1_30default_config_static_selectorELNS0_4arch9wavefront6targetE1EEEvSK_,"axG",@progbits,_ZN7rocprim17ROCPRIM_400000_NS6detail17trampoline_kernelINS0_14default_configENS1_22reduce_config_selectorIN6thrust23THRUST_200600_302600_NS5tupleIblNS6_9null_typeES8_S8_S8_S8_S8_S8_S8_EEEEZNS1_11reduce_implILb1ES3_PS9_SC_S9_NS6_11hip_rocprim9__find_if7functorIS9_EEEE10hipError_tPvRmT1_T2_T3_mT4_P12ihipStream_tbEUlT_E0_NS1_11comp_targetILNS1_3genE2ELNS1_11target_archE906ELNS1_3gpuE6ELNS1_3repE0EEENS1_30default_config_static_selectorELNS0_4arch9wavefront6targetE1EEEvSK_,comdat
.Lfunc_end91:
	.size	_ZN7rocprim17ROCPRIM_400000_NS6detail17trampoline_kernelINS0_14default_configENS1_22reduce_config_selectorIN6thrust23THRUST_200600_302600_NS5tupleIblNS6_9null_typeES8_S8_S8_S8_S8_S8_S8_EEEEZNS1_11reduce_implILb1ES3_PS9_SC_S9_NS6_11hip_rocprim9__find_if7functorIS9_EEEE10hipError_tPvRmT1_T2_T3_mT4_P12ihipStream_tbEUlT_E0_NS1_11comp_targetILNS1_3genE2ELNS1_11target_archE906ELNS1_3gpuE6ELNS1_3repE0EEENS1_30default_config_static_selectorELNS0_4arch9wavefront6targetE1EEEvSK_, .Lfunc_end91-_ZN7rocprim17ROCPRIM_400000_NS6detail17trampoline_kernelINS0_14default_configENS1_22reduce_config_selectorIN6thrust23THRUST_200600_302600_NS5tupleIblNS6_9null_typeES8_S8_S8_S8_S8_S8_S8_EEEEZNS1_11reduce_implILb1ES3_PS9_SC_S9_NS6_11hip_rocprim9__find_if7functorIS9_EEEE10hipError_tPvRmT1_T2_T3_mT4_P12ihipStream_tbEUlT_E0_NS1_11comp_targetILNS1_3genE2ELNS1_11target_archE906ELNS1_3gpuE6ELNS1_3repE0EEENS1_30default_config_static_selectorELNS0_4arch9wavefront6targetE1EEEvSK_
                                        ; -- End function
	.section	.AMDGPU.csdata,"",@progbits
; Kernel info:
; codeLenInByte = 0
; NumSgprs: 4
; NumVgprs: 0
; NumAgprs: 0
; TotalNumVgprs: 0
; ScratchSize: 0
; MemoryBound: 0
; FloatMode: 240
; IeeeMode: 1
; LDSByteSize: 0 bytes/workgroup (compile time only)
; SGPRBlocks: 0
; VGPRBlocks: 0
; NumSGPRsForWavesPerEU: 4
; NumVGPRsForWavesPerEU: 1
; AccumOffset: 4
; Occupancy: 8
; WaveLimiterHint : 0
; COMPUTE_PGM_RSRC2:SCRATCH_EN: 0
; COMPUTE_PGM_RSRC2:USER_SGPR: 6
; COMPUTE_PGM_RSRC2:TRAP_HANDLER: 0
; COMPUTE_PGM_RSRC2:TGID_X_EN: 1
; COMPUTE_PGM_RSRC2:TGID_Y_EN: 0
; COMPUTE_PGM_RSRC2:TGID_Z_EN: 0
; COMPUTE_PGM_RSRC2:TIDIG_COMP_CNT: 0
; COMPUTE_PGM_RSRC3_GFX90A:ACCUM_OFFSET: 0
; COMPUTE_PGM_RSRC3_GFX90A:TG_SPLIT: 0
	.section	.text._ZN7rocprim17ROCPRIM_400000_NS6detail17trampoline_kernelINS0_14default_configENS1_22reduce_config_selectorIN6thrust23THRUST_200600_302600_NS5tupleIblNS6_9null_typeES8_S8_S8_S8_S8_S8_S8_EEEEZNS1_11reduce_implILb1ES3_PS9_SC_S9_NS6_11hip_rocprim9__find_if7functorIS9_EEEE10hipError_tPvRmT1_T2_T3_mT4_P12ihipStream_tbEUlT_E0_NS1_11comp_targetILNS1_3genE10ELNS1_11target_archE1201ELNS1_3gpuE5ELNS1_3repE0EEENS1_30default_config_static_selectorELNS0_4arch9wavefront6targetE1EEEvSK_,"axG",@progbits,_ZN7rocprim17ROCPRIM_400000_NS6detail17trampoline_kernelINS0_14default_configENS1_22reduce_config_selectorIN6thrust23THRUST_200600_302600_NS5tupleIblNS6_9null_typeES8_S8_S8_S8_S8_S8_S8_EEEEZNS1_11reduce_implILb1ES3_PS9_SC_S9_NS6_11hip_rocprim9__find_if7functorIS9_EEEE10hipError_tPvRmT1_T2_T3_mT4_P12ihipStream_tbEUlT_E0_NS1_11comp_targetILNS1_3genE10ELNS1_11target_archE1201ELNS1_3gpuE5ELNS1_3repE0EEENS1_30default_config_static_selectorELNS0_4arch9wavefront6targetE1EEEvSK_,comdat
	.protected	_ZN7rocprim17ROCPRIM_400000_NS6detail17trampoline_kernelINS0_14default_configENS1_22reduce_config_selectorIN6thrust23THRUST_200600_302600_NS5tupleIblNS6_9null_typeES8_S8_S8_S8_S8_S8_S8_EEEEZNS1_11reduce_implILb1ES3_PS9_SC_S9_NS6_11hip_rocprim9__find_if7functorIS9_EEEE10hipError_tPvRmT1_T2_T3_mT4_P12ihipStream_tbEUlT_E0_NS1_11comp_targetILNS1_3genE10ELNS1_11target_archE1201ELNS1_3gpuE5ELNS1_3repE0EEENS1_30default_config_static_selectorELNS0_4arch9wavefront6targetE1EEEvSK_ ; -- Begin function _ZN7rocprim17ROCPRIM_400000_NS6detail17trampoline_kernelINS0_14default_configENS1_22reduce_config_selectorIN6thrust23THRUST_200600_302600_NS5tupleIblNS6_9null_typeES8_S8_S8_S8_S8_S8_S8_EEEEZNS1_11reduce_implILb1ES3_PS9_SC_S9_NS6_11hip_rocprim9__find_if7functorIS9_EEEE10hipError_tPvRmT1_T2_T3_mT4_P12ihipStream_tbEUlT_E0_NS1_11comp_targetILNS1_3genE10ELNS1_11target_archE1201ELNS1_3gpuE5ELNS1_3repE0EEENS1_30default_config_static_selectorELNS0_4arch9wavefront6targetE1EEEvSK_
	.globl	_ZN7rocprim17ROCPRIM_400000_NS6detail17trampoline_kernelINS0_14default_configENS1_22reduce_config_selectorIN6thrust23THRUST_200600_302600_NS5tupleIblNS6_9null_typeES8_S8_S8_S8_S8_S8_S8_EEEEZNS1_11reduce_implILb1ES3_PS9_SC_S9_NS6_11hip_rocprim9__find_if7functorIS9_EEEE10hipError_tPvRmT1_T2_T3_mT4_P12ihipStream_tbEUlT_E0_NS1_11comp_targetILNS1_3genE10ELNS1_11target_archE1201ELNS1_3gpuE5ELNS1_3repE0EEENS1_30default_config_static_selectorELNS0_4arch9wavefront6targetE1EEEvSK_
	.p2align	8
	.type	_ZN7rocprim17ROCPRIM_400000_NS6detail17trampoline_kernelINS0_14default_configENS1_22reduce_config_selectorIN6thrust23THRUST_200600_302600_NS5tupleIblNS6_9null_typeES8_S8_S8_S8_S8_S8_S8_EEEEZNS1_11reduce_implILb1ES3_PS9_SC_S9_NS6_11hip_rocprim9__find_if7functorIS9_EEEE10hipError_tPvRmT1_T2_T3_mT4_P12ihipStream_tbEUlT_E0_NS1_11comp_targetILNS1_3genE10ELNS1_11target_archE1201ELNS1_3gpuE5ELNS1_3repE0EEENS1_30default_config_static_selectorELNS0_4arch9wavefront6targetE1EEEvSK_,@function
_ZN7rocprim17ROCPRIM_400000_NS6detail17trampoline_kernelINS0_14default_configENS1_22reduce_config_selectorIN6thrust23THRUST_200600_302600_NS5tupleIblNS6_9null_typeES8_S8_S8_S8_S8_S8_S8_EEEEZNS1_11reduce_implILb1ES3_PS9_SC_S9_NS6_11hip_rocprim9__find_if7functorIS9_EEEE10hipError_tPvRmT1_T2_T3_mT4_P12ihipStream_tbEUlT_E0_NS1_11comp_targetILNS1_3genE10ELNS1_11target_archE1201ELNS1_3gpuE5ELNS1_3repE0EEENS1_30default_config_static_selectorELNS0_4arch9wavefront6targetE1EEEvSK_: ; @_ZN7rocprim17ROCPRIM_400000_NS6detail17trampoline_kernelINS0_14default_configENS1_22reduce_config_selectorIN6thrust23THRUST_200600_302600_NS5tupleIblNS6_9null_typeES8_S8_S8_S8_S8_S8_S8_EEEEZNS1_11reduce_implILb1ES3_PS9_SC_S9_NS6_11hip_rocprim9__find_if7functorIS9_EEEE10hipError_tPvRmT1_T2_T3_mT4_P12ihipStream_tbEUlT_E0_NS1_11comp_targetILNS1_3genE10ELNS1_11target_archE1201ELNS1_3gpuE5ELNS1_3repE0EEENS1_30default_config_static_selectorELNS0_4arch9wavefront6targetE1EEEvSK_
; %bb.0:
	.section	.rodata,"a",@progbits
	.p2align	6, 0x0
	.amdhsa_kernel _ZN7rocprim17ROCPRIM_400000_NS6detail17trampoline_kernelINS0_14default_configENS1_22reduce_config_selectorIN6thrust23THRUST_200600_302600_NS5tupleIblNS6_9null_typeES8_S8_S8_S8_S8_S8_S8_EEEEZNS1_11reduce_implILb1ES3_PS9_SC_S9_NS6_11hip_rocprim9__find_if7functorIS9_EEEE10hipError_tPvRmT1_T2_T3_mT4_P12ihipStream_tbEUlT_E0_NS1_11comp_targetILNS1_3genE10ELNS1_11target_archE1201ELNS1_3gpuE5ELNS1_3repE0EEENS1_30default_config_static_selectorELNS0_4arch9wavefront6targetE1EEEvSK_
		.amdhsa_group_segment_fixed_size 0
		.amdhsa_private_segment_fixed_size 0
		.amdhsa_kernarg_size 72
		.amdhsa_user_sgpr_count 6
		.amdhsa_user_sgpr_private_segment_buffer 1
		.amdhsa_user_sgpr_dispatch_ptr 0
		.amdhsa_user_sgpr_queue_ptr 0
		.amdhsa_user_sgpr_kernarg_segment_ptr 1
		.amdhsa_user_sgpr_dispatch_id 0
		.amdhsa_user_sgpr_flat_scratch_init 0
		.amdhsa_user_sgpr_kernarg_preload_length 0
		.amdhsa_user_sgpr_kernarg_preload_offset 0
		.amdhsa_user_sgpr_private_segment_size 0
		.amdhsa_uses_dynamic_stack 0
		.amdhsa_system_sgpr_private_segment_wavefront_offset 0
		.amdhsa_system_sgpr_workgroup_id_x 1
		.amdhsa_system_sgpr_workgroup_id_y 0
		.amdhsa_system_sgpr_workgroup_id_z 0
		.amdhsa_system_sgpr_workgroup_info 0
		.amdhsa_system_vgpr_workitem_id 0
		.amdhsa_next_free_vgpr 1
		.amdhsa_next_free_sgpr 0
		.amdhsa_accum_offset 4
		.amdhsa_reserve_vcc 0
		.amdhsa_reserve_flat_scratch 0
		.amdhsa_float_round_mode_32 0
		.amdhsa_float_round_mode_16_64 0
		.amdhsa_float_denorm_mode_32 3
		.amdhsa_float_denorm_mode_16_64 3
		.amdhsa_dx10_clamp 1
		.amdhsa_ieee_mode 1
		.amdhsa_fp16_overflow 0
		.amdhsa_tg_split 0
		.amdhsa_exception_fp_ieee_invalid_op 0
		.amdhsa_exception_fp_denorm_src 0
		.amdhsa_exception_fp_ieee_div_zero 0
		.amdhsa_exception_fp_ieee_overflow 0
		.amdhsa_exception_fp_ieee_underflow 0
		.amdhsa_exception_fp_ieee_inexact 0
		.amdhsa_exception_int_div_zero 0
	.end_amdhsa_kernel
	.section	.text._ZN7rocprim17ROCPRIM_400000_NS6detail17trampoline_kernelINS0_14default_configENS1_22reduce_config_selectorIN6thrust23THRUST_200600_302600_NS5tupleIblNS6_9null_typeES8_S8_S8_S8_S8_S8_S8_EEEEZNS1_11reduce_implILb1ES3_PS9_SC_S9_NS6_11hip_rocprim9__find_if7functorIS9_EEEE10hipError_tPvRmT1_T2_T3_mT4_P12ihipStream_tbEUlT_E0_NS1_11comp_targetILNS1_3genE10ELNS1_11target_archE1201ELNS1_3gpuE5ELNS1_3repE0EEENS1_30default_config_static_selectorELNS0_4arch9wavefront6targetE1EEEvSK_,"axG",@progbits,_ZN7rocprim17ROCPRIM_400000_NS6detail17trampoline_kernelINS0_14default_configENS1_22reduce_config_selectorIN6thrust23THRUST_200600_302600_NS5tupleIblNS6_9null_typeES8_S8_S8_S8_S8_S8_S8_EEEEZNS1_11reduce_implILb1ES3_PS9_SC_S9_NS6_11hip_rocprim9__find_if7functorIS9_EEEE10hipError_tPvRmT1_T2_T3_mT4_P12ihipStream_tbEUlT_E0_NS1_11comp_targetILNS1_3genE10ELNS1_11target_archE1201ELNS1_3gpuE5ELNS1_3repE0EEENS1_30default_config_static_selectorELNS0_4arch9wavefront6targetE1EEEvSK_,comdat
.Lfunc_end92:
	.size	_ZN7rocprim17ROCPRIM_400000_NS6detail17trampoline_kernelINS0_14default_configENS1_22reduce_config_selectorIN6thrust23THRUST_200600_302600_NS5tupleIblNS6_9null_typeES8_S8_S8_S8_S8_S8_S8_EEEEZNS1_11reduce_implILb1ES3_PS9_SC_S9_NS6_11hip_rocprim9__find_if7functorIS9_EEEE10hipError_tPvRmT1_T2_T3_mT4_P12ihipStream_tbEUlT_E0_NS1_11comp_targetILNS1_3genE10ELNS1_11target_archE1201ELNS1_3gpuE5ELNS1_3repE0EEENS1_30default_config_static_selectorELNS0_4arch9wavefront6targetE1EEEvSK_, .Lfunc_end92-_ZN7rocprim17ROCPRIM_400000_NS6detail17trampoline_kernelINS0_14default_configENS1_22reduce_config_selectorIN6thrust23THRUST_200600_302600_NS5tupleIblNS6_9null_typeES8_S8_S8_S8_S8_S8_S8_EEEEZNS1_11reduce_implILb1ES3_PS9_SC_S9_NS6_11hip_rocprim9__find_if7functorIS9_EEEE10hipError_tPvRmT1_T2_T3_mT4_P12ihipStream_tbEUlT_E0_NS1_11comp_targetILNS1_3genE10ELNS1_11target_archE1201ELNS1_3gpuE5ELNS1_3repE0EEENS1_30default_config_static_selectorELNS0_4arch9wavefront6targetE1EEEvSK_
                                        ; -- End function
	.section	.AMDGPU.csdata,"",@progbits
; Kernel info:
; codeLenInByte = 0
; NumSgprs: 4
; NumVgprs: 0
; NumAgprs: 0
; TotalNumVgprs: 0
; ScratchSize: 0
; MemoryBound: 0
; FloatMode: 240
; IeeeMode: 1
; LDSByteSize: 0 bytes/workgroup (compile time only)
; SGPRBlocks: 0
; VGPRBlocks: 0
; NumSGPRsForWavesPerEU: 4
; NumVGPRsForWavesPerEU: 1
; AccumOffset: 4
; Occupancy: 8
; WaveLimiterHint : 0
; COMPUTE_PGM_RSRC2:SCRATCH_EN: 0
; COMPUTE_PGM_RSRC2:USER_SGPR: 6
; COMPUTE_PGM_RSRC2:TRAP_HANDLER: 0
; COMPUTE_PGM_RSRC2:TGID_X_EN: 1
; COMPUTE_PGM_RSRC2:TGID_Y_EN: 0
; COMPUTE_PGM_RSRC2:TGID_Z_EN: 0
; COMPUTE_PGM_RSRC2:TIDIG_COMP_CNT: 0
; COMPUTE_PGM_RSRC3_GFX90A:ACCUM_OFFSET: 0
; COMPUTE_PGM_RSRC3_GFX90A:TG_SPLIT: 0
	.section	.text._ZN7rocprim17ROCPRIM_400000_NS6detail17trampoline_kernelINS0_14default_configENS1_22reduce_config_selectorIN6thrust23THRUST_200600_302600_NS5tupleIblNS6_9null_typeES8_S8_S8_S8_S8_S8_S8_EEEEZNS1_11reduce_implILb1ES3_PS9_SC_S9_NS6_11hip_rocprim9__find_if7functorIS9_EEEE10hipError_tPvRmT1_T2_T3_mT4_P12ihipStream_tbEUlT_E0_NS1_11comp_targetILNS1_3genE10ELNS1_11target_archE1200ELNS1_3gpuE4ELNS1_3repE0EEENS1_30default_config_static_selectorELNS0_4arch9wavefront6targetE1EEEvSK_,"axG",@progbits,_ZN7rocprim17ROCPRIM_400000_NS6detail17trampoline_kernelINS0_14default_configENS1_22reduce_config_selectorIN6thrust23THRUST_200600_302600_NS5tupleIblNS6_9null_typeES8_S8_S8_S8_S8_S8_S8_EEEEZNS1_11reduce_implILb1ES3_PS9_SC_S9_NS6_11hip_rocprim9__find_if7functorIS9_EEEE10hipError_tPvRmT1_T2_T3_mT4_P12ihipStream_tbEUlT_E0_NS1_11comp_targetILNS1_3genE10ELNS1_11target_archE1200ELNS1_3gpuE4ELNS1_3repE0EEENS1_30default_config_static_selectorELNS0_4arch9wavefront6targetE1EEEvSK_,comdat
	.protected	_ZN7rocprim17ROCPRIM_400000_NS6detail17trampoline_kernelINS0_14default_configENS1_22reduce_config_selectorIN6thrust23THRUST_200600_302600_NS5tupleIblNS6_9null_typeES8_S8_S8_S8_S8_S8_S8_EEEEZNS1_11reduce_implILb1ES3_PS9_SC_S9_NS6_11hip_rocprim9__find_if7functorIS9_EEEE10hipError_tPvRmT1_T2_T3_mT4_P12ihipStream_tbEUlT_E0_NS1_11comp_targetILNS1_3genE10ELNS1_11target_archE1200ELNS1_3gpuE4ELNS1_3repE0EEENS1_30default_config_static_selectorELNS0_4arch9wavefront6targetE1EEEvSK_ ; -- Begin function _ZN7rocprim17ROCPRIM_400000_NS6detail17trampoline_kernelINS0_14default_configENS1_22reduce_config_selectorIN6thrust23THRUST_200600_302600_NS5tupleIblNS6_9null_typeES8_S8_S8_S8_S8_S8_S8_EEEEZNS1_11reduce_implILb1ES3_PS9_SC_S9_NS6_11hip_rocprim9__find_if7functorIS9_EEEE10hipError_tPvRmT1_T2_T3_mT4_P12ihipStream_tbEUlT_E0_NS1_11comp_targetILNS1_3genE10ELNS1_11target_archE1200ELNS1_3gpuE4ELNS1_3repE0EEENS1_30default_config_static_selectorELNS0_4arch9wavefront6targetE1EEEvSK_
	.globl	_ZN7rocprim17ROCPRIM_400000_NS6detail17trampoline_kernelINS0_14default_configENS1_22reduce_config_selectorIN6thrust23THRUST_200600_302600_NS5tupleIblNS6_9null_typeES8_S8_S8_S8_S8_S8_S8_EEEEZNS1_11reduce_implILb1ES3_PS9_SC_S9_NS6_11hip_rocprim9__find_if7functorIS9_EEEE10hipError_tPvRmT1_T2_T3_mT4_P12ihipStream_tbEUlT_E0_NS1_11comp_targetILNS1_3genE10ELNS1_11target_archE1200ELNS1_3gpuE4ELNS1_3repE0EEENS1_30default_config_static_selectorELNS0_4arch9wavefront6targetE1EEEvSK_
	.p2align	8
	.type	_ZN7rocprim17ROCPRIM_400000_NS6detail17trampoline_kernelINS0_14default_configENS1_22reduce_config_selectorIN6thrust23THRUST_200600_302600_NS5tupleIblNS6_9null_typeES8_S8_S8_S8_S8_S8_S8_EEEEZNS1_11reduce_implILb1ES3_PS9_SC_S9_NS6_11hip_rocprim9__find_if7functorIS9_EEEE10hipError_tPvRmT1_T2_T3_mT4_P12ihipStream_tbEUlT_E0_NS1_11comp_targetILNS1_3genE10ELNS1_11target_archE1200ELNS1_3gpuE4ELNS1_3repE0EEENS1_30default_config_static_selectorELNS0_4arch9wavefront6targetE1EEEvSK_,@function
_ZN7rocprim17ROCPRIM_400000_NS6detail17trampoline_kernelINS0_14default_configENS1_22reduce_config_selectorIN6thrust23THRUST_200600_302600_NS5tupleIblNS6_9null_typeES8_S8_S8_S8_S8_S8_S8_EEEEZNS1_11reduce_implILb1ES3_PS9_SC_S9_NS6_11hip_rocprim9__find_if7functorIS9_EEEE10hipError_tPvRmT1_T2_T3_mT4_P12ihipStream_tbEUlT_E0_NS1_11comp_targetILNS1_3genE10ELNS1_11target_archE1200ELNS1_3gpuE4ELNS1_3repE0EEENS1_30default_config_static_selectorELNS0_4arch9wavefront6targetE1EEEvSK_: ; @_ZN7rocprim17ROCPRIM_400000_NS6detail17trampoline_kernelINS0_14default_configENS1_22reduce_config_selectorIN6thrust23THRUST_200600_302600_NS5tupleIblNS6_9null_typeES8_S8_S8_S8_S8_S8_S8_EEEEZNS1_11reduce_implILb1ES3_PS9_SC_S9_NS6_11hip_rocprim9__find_if7functorIS9_EEEE10hipError_tPvRmT1_T2_T3_mT4_P12ihipStream_tbEUlT_E0_NS1_11comp_targetILNS1_3genE10ELNS1_11target_archE1200ELNS1_3gpuE4ELNS1_3repE0EEENS1_30default_config_static_selectorELNS0_4arch9wavefront6targetE1EEEvSK_
; %bb.0:
	.section	.rodata,"a",@progbits
	.p2align	6, 0x0
	.amdhsa_kernel _ZN7rocprim17ROCPRIM_400000_NS6detail17trampoline_kernelINS0_14default_configENS1_22reduce_config_selectorIN6thrust23THRUST_200600_302600_NS5tupleIblNS6_9null_typeES8_S8_S8_S8_S8_S8_S8_EEEEZNS1_11reduce_implILb1ES3_PS9_SC_S9_NS6_11hip_rocprim9__find_if7functorIS9_EEEE10hipError_tPvRmT1_T2_T3_mT4_P12ihipStream_tbEUlT_E0_NS1_11comp_targetILNS1_3genE10ELNS1_11target_archE1200ELNS1_3gpuE4ELNS1_3repE0EEENS1_30default_config_static_selectorELNS0_4arch9wavefront6targetE1EEEvSK_
		.amdhsa_group_segment_fixed_size 0
		.amdhsa_private_segment_fixed_size 0
		.amdhsa_kernarg_size 72
		.amdhsa_user_sgpr_count 6
		.amdhsa_user_sgpr_private_segment_buffer 1
		.amdhsa_user_sgpr_dispatch_ptr 0
		.amdhsa_user_sgpr_queue_ptr 0
		.amdhsa_user_sgpr_kernarg_segment_ptr 1
		.amdhsa_user_sgpr_dispatch_id 0
		.amdhsa_user_sgpr_flat_scratch_init 0
		.amdhsa_user_sgpr_kernarg_preload_length 0
		.amdhsa_user_sgpr_kernarg_preload_offset 0
		.amdhsa_user_sgpr_private_segment_size 0
		.amdhsa_uses_dynamic_stack 0
		.amdhsa_system_sgpr_private_segment_wavefront_offset 0
		.amdhsa_system_sgpr_workgroup_id_x 1
		.amdhsa_system_sgpr_workgroup_id_y 0
		.amdhsa_system_sgpr_workgroup_id_z 0
		.amdhsa_system_sgpr_workgroup_info 0
		.amdhsa_system_vgpr_workitem_id 0
		.amdhsa_next_free_vgpr 1
		.amdhsa_next_free_sgpr 0
		.amdhsa_accum_offset 4
		.amdhsa_reserve_vcc 0
		.amdhsa_reserve_flat_scratch 0
		.amdhsa_float_round_mode_32 0
		.amdhsa_float_round_mode_16_64 0
		.amdhsa_float_denorm_mode_32 3
		.amdhsa_float_denorm_mode_16_64 3
		.amdhsa_dx10_clamp 1
		.amdhsa_ieee_mode 1
		.amdhsa_fp16_overflow 0
		.amdhsa_tg_split 0
		.amdhsa_exception_fp_ieee_invalid_op 0
		.amdhsa_exception_fp_denorm_src 0
		.amdhsa_exception_fp_ieee_div_zero 0
		.amdhsa_exception_fp_ieee_overflow 0
		.amdhsa_exception_fp_ieee_underflow 0
		.amdhsa_exception_fp_ieee_inexact 0
		.amdhsa_exception_int_div_zero 0
	.end_amdhsa_kernel
	.section	.text._ZN7rocprim17ROCPRIM_400000_NS6detail17trampoline_kernelINS0_14default_configENS1_22reduce_config_selectorIN6thrust23THRUST_200600_302600_NS5tupleIblNS6_9null_typeES8_S8_S8_S8_S8_S8_S8_EEEEZNS1_11reduce_implILb1ES3_PS9_SC_S9_NS6_11hip_rocprim9__find_if7functorIS9_EEEE10hipError_tPvRmT1_T2_T3_mT4_P12ihipStream_tbEUlT_E0_NS1_11comp_targetILNS1_3genE10ELNS1_11target_archE1200ELNS1_3gpuE4ELNS1_3repE0EEENS1_30default_config_static_selectorELNS0_4arch9wavefront6targetE1EEEvSK_,"axG",@progbits,_ZN7rocprim17ROCPRIM_400000_NS6detail17trampoline_kernelINS0_14default_configENS1_22reduce_config_selectorIN6thrust23THRUST_200600_302600_NS5tupleIblNS6_9null_typeES8_S8_S8_S8_S8_S8_S8_EEEEZNS1_11reduce_implILb1ES3_PS9_SC_S9_NS6_11hip_rocprim9__find_if7functorIS9_EEEE10hipError_tPvRmT1_T2_T3_mT4_P12ihipStream_tbEUlT_E0_NS1_11comp_targetILNS1_3genE10ELNS1_11target_archE1200ELNS1_3gpuE4ELNS1_3repE0EEENS1_30default_config_static_selectorELNS0_4arch9wavefront6targetE1EEEvSK_,comdat
.Lfunc_end93:
	.size	_ZN7rocprim17ROCPRIM_400000_NS6detail17trampoline_kernelINS0_14default_configENS1_22reduce_config_selectorIN6thrust23THRUST_200600_302600_NS5tupleIblNS6_9null_typeES8_S8_S8_S8_S8_S8_S8_EEEEZNS1_11reduce_implILb1ES3_PS9_SC_S9_NS6_11hip_rocprim9__find_if7functorIS9_EEEE10hipError_tPvRmT1_T2_T3_mT4_P12ihipStream_tbEUlT_E0_NS1_11comp_targetILNS1_3genE10ELNS1_11target_archE1200ELNS1_3gpuE4ELNS1_3repE0EEENS1_30default_config_static_selectorELNS0_4arch9wavefront6targetE1EEEvSK_, .Lfunc_end93-_ZN7rocprim17ROCPRIM_400000_NS6detail17trampoline_kernelINS0_14default_configENS1_22reduce_config_selectorIN6thrust23THRUST_200600_302600_NS5tupleIblNS6_9null_typeES8_S8_S8_S8_S8_S8_S8_EEEEZNS1_11reduce_implILb1ES3_PS9_SC_S9_NS6_11hip_rocprim9__find_if7functorIS9_EEEE10hipError_tPvRmT1_T2_T3_mT4_P12ihipStream_tbEUlT_E0_NS1_11comp_targetILNS1_3genE10ELNS1_11target_archE1200ELNS1_3gpuE4ELNS1_3repE0EEENS1_30default_config_static_selectorELNS0_4arch9wavefront6targetE1EEEvSK_
                                        ; -- End function
	.section	.AMDGPU.csdata,"",@progbits
; Kernel info:
; codeLenInByte = 0
; NumSgprs: 4
; NumVgprs: 0
; NumAgprs: 0
; TotalNumVgprs: 0
; ScratchSize: 0
; MemoryBound: 0
; FloatMode: 240
; IeeeMode: 1
; LDSByteSize: 0 bytes/workgroup (compile time only)
; SGPRBlocks: 0
; VGPRBlocks: 0
; NumSGPRsForWavesPerEU: 4
; NumVGPRsForWavesPerEU: 1
; AccumOffset: 4
; Occupancy: 8
; WaveLimiterHint : 0
; COMPUTE_PGM_RSRC2:SCRATCH_EN: 0
; COMPUTE_PGM_RSRC2:USER_SGPR: 6
; COMPUTE_PGM_RSRC2:TRAP_HANDLER: 0
; COMPUTE_PGM_RSRC2:TGID_X_EN: 1
; COMPUTE_PGM_RSRC2:TGID_Y_EN: 0
; COMPUTE_PGM_RSRC2:TGID_Z_EN: 0
; COMPUTE_PGM_RSRC2:TIDIG_COMP_CNT: 0
; COMPUTE_PGM_RSRC3_GFX90A:ACCUM_OFFSET: 0
; COMPUTE_PGM_RSRC3_GFX90A:TG_SPLIT: 0
	.section	.text._ZN7rocprim17ROCPRIM_400000_NS6detail17trampoline_kernelINS0_14default_configENS1_22reduce_config_selectorIN6thrust23THRUST_200600_302600_NS5tupleIblNS6_9null_typeES8_S8_S8_S8_S8_S8_S8_EEEEZNS1_11reduce_implILb1ES3_PS9_SC_S9_NS6_11hip_rocprim9__find_if7functorIS9_EEEE10hipError_tPvRmT1_T2_T3_mT4_P12ihipStream_tbEUlT_E0_NS1_11comp_targetILNS1_3genE9ELNS1_11target_archE1100ELNS1_3gpuE3ELNS1_3repE0EEENS1_30default_config_static_selectorELNS0_4arch9wavefront6targetE1EEEvSK_,"axG",@progbits,_ZN7rocprim17ROCPRIM_400000_NS6detail17trampoline_kernelINS0_14default_configENS1_22reduce_config_selectorIN6thrust23THRUST_200600_302600_NS5tupleIblNS6_9null_typeES8_S8_S8_S8_S8_S8_S8_EEEEZNS1_11reduce_implILb1ES3_PS9_SC_S9_NS6_11hip_rocprim9__find_if7functorIS9_EEEE10hipError_tPvRmT1_T2_T3_mT4_P12ihipStream_tbEUlT_E0_NS1_11comp_targetILNS1_3genE9ELNS1_11target_archE1100ELNS1_3gpuE3ELNS1_3repE0EEENS1_30default_config_static_selectorELNS0_4arch9wavefront6targetE1EEEvSK_,comdat
	.protected	_ZN7rocprim17ROCPRIM_400000_NS6detail17trampoline_kernelINS0_14default_configENS1_22reduce_config_selectorIN6thrust23THRUST_200600_302600_NS5tupleIblNS6_9null_typeES8_S8_S8_S8_S8_S8_S8_EEEEZNS1_11reduce_implILb1ES3_PS9_SC_S9_NS6_11hip_rocprim9__find_if7functorIS9_EEEE10hipError_tPvRmT1_T2_T3_mT4_P12ihipStream_tbEUlT_E0_NS1_11comp_targetILNS1_3genE9ELNS1_11target_archE1100ELNS1_3gpuE3ELNS1_3repE0EEENS1_30default_config_static_selectorELNS0_4arch9wavefront6targetE1EEEvSK_ ; -- Begin function _ZN7rocprim17ROCPRIM_400000_NS6detail17trampoline_kernelINS0_14default_configENS1_22reduce_config_selectorIN6thrust23THRUST_200600_302600_NS5tupleIblNS6_9null_typeES8_S8_S8_S8_S8_S8_S8_EEEEZNS1_11reduce_implILb1ES3_PS9_SC_S9_NS6_11hip_rocprim9__find_if7functorIS9_EEEE10hipError_tPvRmT1_T2_T3_mT4_P12ihipStream_tbEUlT_E0_NS1_11comp_targetILNS1_3genE9ELNS1_11target_archE1100ELNS1_3gpuE3ELNS1_3repE0EEENS1_30default_config_static_selectorELNS0_4arch9wavefront6targetE1EEEvSK_
	.globl	_ZN7rocprim17ROCPRIM_400000_NS6detail17trampoline_kernelINS0_14default_configENS1_22reduce_config_selectorIN6thrust23THRUST_200600_302600_NS5tupleIblNS6_9null_typeES8_S8_S8_S8_S8_S8_S8_EEEEZNS1_11reduce_implILb1ES3_PS9_SC_S9_NS6_11hip_rocprim9__find_if7functorIS9_EEEE10hipError_tPvRmT1_T2_T3_mT4_P12ihipStream_tbEUlT_E0_NS1_11comp_targetILNS1_3genE9ELNS1_11target_archE1100ELNS1_3gpuE3ELNS1_3repE0EEENS1_30default_config_static_selectorELNS0_4arch9wavefront6targetE1EEEvSK_
	.p2align	8
	.type	_ZN7rocprim17ROCPRIM_400000_NS6detail17trampoline_kernelINS0_14default_configENS1_22reduce_config_selectorIN6thrust23THRUST_200600_302600_NS5tupleIblNS6_9null_typeES8_S8_S8_S8_S8_S8_S8_EEEEZNS1_11reduce_implILb1ES3_PS9_SC_S9_NS6_11hip_rocprim9__find_if7functorIS9_EEEE10hipError_tPvRmT1_T2_T3_mT4_P12ihipStream_tbEUlT_E0_NS1_11comp_targetILNS1_3genE9ELNS1_11target_archE1100ELNS1_3gpuE3ELNS1_3repE0EEENS1_30default_config_static_selectorELNS0_4arch9wavefront6targetE1EEEvSK_,@function
_ZN7rocprim17ROCPRIM_400000_NS6detail17trampoline_kernelINS0_14default_configENS1_22reduce_config_selectorIN6thrust23THRUST_200600_302600_NS5tupleIblNS6_9null_typeES8_S8_S8_S8_S8_S8_S8_EEEEZNS1_11reduce_implILb1ES3_PS9_SC_S9_NS6_11hip_rocprim9__find_if7functorIS9_EEEE10hipError_tPvRmT1_T2_T3_mT4_P12ihipStream_tbEUlT_E0_NS1_11comp_targetILNS1_3genE9ELNS1_11target_archE1100ELNS1_3gpuE3ELNS1_3repE0EEENS1_30default_config_static_selectorELNS0_4arch9wavefront6targetE1EEEvSK_: ; @_ZN7rocprim17ROCPRIM_400000_NS6detail17trampoline_kernelINS0_14default_configENS1_22reduce_config_selectorIN6thrust23THRUST_200600_302600_NS5tupleIblNS6_9null_typeES8_S8_S8_S8_S8_S8_S8_EEEEZNS1_11reduce_implILb1ES3_PS9_SC_S9_NS6_11hip_rocprim9__find_if7functorIS9_EEEE10hipError_tPvRmT1_T2_T3_mT4_P12ihipStream_tbEUlT_E0_NS1_11comp_targetILNS1_3genE9ELNS1_11target_archE1100ELNS1_3gpuE3ELNS1_3repE0EEENS1_30default_config_static_selectorELNS0_4arch9wavefront6targetE1EEEvSK_
; %bb.0:
	.section	.rodata,"a",@progbits
	.p2align	6, 0x0
	.amdhsa_kernel _ZN7rocprim17ROCPRIM_400000_NS6detail17trampoline_kernelINS0_14default_configENS1_22reduce_config_selectorIN6thrust23THRUST_200600_302600_NS5tupleIblNS6_9null_typeES8_S8_S8_S8_S8_S8_S8_EEEEZNS1_11reduce_implILb1ES3_PS9_SC_S9_NS6_11hip_rocprim9__find_if7functorIS9_EEEE10hipError_tPvRmT1_T2_T3_mT4_P12ihipStream_tbEUlT_E0_NS1_11comp_targetILNS1_3genE9ELNS1_11target_archE1100ELNS1_3gpuE3ELNS1_3repE0EEENS1_30default_config_static_selectorELNS0_4arch9wavefront6targetE1EEEvSK_
		.amdhsa_group_segment_fixed_size 0
		.amdhsa_private_segment_fixed_size 0
		.amdhsa_kernarg_size 72
		.amdhsa_user_sgpr_count 6
		.amdhsa_user_sgpr_private_segment_buffer 1
		.amdhsa_user_sgpr_dispatch_ptr 0
		.amdhsa_user_sgpr_queue_ptr 0
		.amdhsa_user_sgpr_kernarg_segment_ptr 1
		.amdhsa_user_sgpr_dispatch_id 0
		.amdhsa_user_sgpr_flat_scratch_init 0
		.amdhsa_user_sgpr_kernarg_preload_length 0
		.amdhsa_user_sgpr_kernarg_preload_offset 0
		.amdhsa_user_sgpr_private_segment_size 0
		.amdhsa_uses_dynamic_stack 0
		.amdhsa_system_sgpr_private_segment_wavefront_offset 0
		.amdhsa_system_sgpr_workgroup_id_x 1
		.amdhsa_system_sgpr_workgroup_id_y 0
		.amdhsa_system_sgpr_workgroup_id_z 0
		.amdhsa_system_sgpr_workgroup_info 0
		.amdhsa_system_vgpr_workitem_id 0
		.amdhsa_next_free_vgpr 1
		.amdhsa_next_free_sgpr 0
		.amdhsa_accum_offset 4
		.amdhsa_reserve_vcc 0
		.amdhsa_reserve_flat_scratch 0
		.amdhsa_float_round_mode_32 0
		.amdhsa_float_round_mode_16_64 0
		.amdhsa_float_denorm_mode_32 3
		.amdhsa_float_denorm_mode_16_64 3
		.amdhsa_dx10_clamp 1
		.amdhsa_ieee_mode 1
		.amdhsa_fp16_overflow 0
		.amdhsa_tg_split 0
		.amdhsa_exception_fp_ieee_invalid_op 0
		.amdhsa_exception_fp_denorm_src 0
		.amdhsa_exception_fp_ieee_div_zero 0
		.amdhsa_exception_fp_ieee_overflow 0
		.amdhsa_exception_fp_ieee_underflow 0
		.amdhsa_exception_fp_ieee_inexact 0
		.amdhsa_exception_int_div_zero 0
	.end_amdhsa_kernel
	.section	.text._ZN7rocprim17ROCPRIM_400000_NS6detail17trampoline_kernelINS0_14default_configENS1_22reduce_config_selectorIN6thrust23THRUST_200600_302600_NS5tupleIblNS6_9null_typeES8_S8_S8_S8_S8_S8_S8_EEEEZNS1_11reduce_implILb1ES3_PS9_SC_S9_NS6_11hip_rocprim9__find_if7functorIS9_EEEE10hipError_tPvRmT1_T2_T3_mT4_P12ihipStream_tbEUlT_E0_NS1_11comp_targetILNS1_3genE9ELNS1_11target_archE1100ELNS1_3gpuE3ELNS1_3repE0EEENS1_30default_config_static_selectorELNS0_4arch9wavefront6targetE1EEEvSK_,"axG",@progbits,_ZN7rocprim17ROCPRIM_400000_NS6detail17trampoline_kernelINS0_14default_configENS1_22reduce_config_selectorIN6thrust23THRUST_200600_302600_NS5tupleIblNS6_9null_typeES8_S8_S8_S8_S8_S8_S8_EEEEZNS1_11reduce_implILb1ES3_PS9_SC_S9_NS6_11hip_rocprim9__find_if7functorIS9_EEEE10hipError_tPvRmT1_T2_T3_mT4_P12ihipStream_tbEUlT_E0_NS1_11comp_targetILNS1_3genE9ELNS1_11target_archE1100ELNS1_3gpuE3ELNS1_3repE0EEENS1_30default_config_static_selectorELNS0_4arch9wavefront6targetE1EEEvSK_,comdat
.Lfunc_end94:
	.size	_ZN7rocprim17ROCPRIM_400000_NS6detail17trampoline_kernelINS0_14default_configENS1_22reduce_config_selectorIN6thrust23THRUST_200600_302600_NS5tupleIblNS6_9null_typeES8_S8_S8_S8_S8_S8_S8_EEEEZNS1_11reduce_implILb1ES3_PS9_SC_S9_NS6_11hip_rocprim9__find_if7functorIS9_EEEE10hipError_tPvRmT1_T2_T3_mT4_P12ihipStream_tbEUlT_E0_NS1_11comp_targetILNS1_3genE9ELNS1_11target_archE1100ELNS1_3gpuE3ELNS1_3repE0EEENS1_30default_config_static_selectorELNS0_4arch9wavefront6targetE1EEEvSK_, .Lfunc_end94-_ZN7rocprim17ROCPRIM_400000_NS6detail17trampoline_kernelINS0_14default_configENS1_22reduce_config_selectorIN6thrust23THRUST_200600_302600_NS5tupleIblNS6_9null_typeES8_S8_S8_S8_S8_S8_S8_EEEEZNS1_11reduce_implILb1ES3_PS9_SC_S9_NS6_11hip_rocprim9__find_if7functorIS9_EEEE10hipError_tPvRmT1_T2_T3_mT4_P12ihipStream_tbEUlT_E0_NS1_11comp_targetILNS1_3genE9ELNS1_11target_archE1100ELNS1_3gpuE3ELNS1_3repE0EEENS1_30default_config_static_selectorELNS0_4arch9wavefront6targetE1EEEvSK_
                                        ; -- End function
	.section	.AMDGPU.csdata,"",@progbits
; Kernel info:
; codeLenInByte = 0
; NumSgprs: 4
; NumVgprs: 0
; NumAgprs: 0
; TotalNumVgprs: 0
; ScratchSize: 0
; MemoryBound: 0
; FloatMode: 240
; IeeeMode: 1
; LDSByteSize: 0 bytes/workgroup (compile time only)
; SGPRBlocks: 0
; VGPRBlocks: 0
; NumSGPRsForWavesPerEU: 4
; NumVGPRsForWavesPerEU: 1
; AccumOffset: 4
; Occupancy: 8
; WaveLimiterHint : 0
; COMPUTE_PGM_RSRC2:SCRATCH_EN: 0
; COMPUTE_PGM_RSRC2:USER_SGPR: 6
; COMPUTE_PGM_RSRC2:TRAP_HANDLER: 0
; COMPUTE_PGM_RSRC2:TGID_X_EN: 1
; COMPUTE_PGM_RSRC2:TGID_Y_EN: 0
; COMPUTE_PGM_RSRC2:TGID_Z_EN: 0
; COMPUTE_PGM_RSRC2:TIDIG_COMP_CNT: 0
; COMPUTE_PGM_RSRC3_GFX90A:ACCUM_OFFSET: 0
; COMPUTE_PGM_RSRC3_GFX90A:TG_SPLIT: 0
	.section	.text._ZN7rocprim17ROCPRIM_400000_NS6detail17trampoline_kernelINS0_14default_configENS1_22reduce_config_selectorIN6thrust23THRUST_200600_302600_NS5tupleIblNS6_9null_typeES8_S8_S8_S8_S8_S8_S8_EEEEZNS1_11reduce_implILb1ES3_PS9_SC_S9_NS6_11hip_rocprim9__find_if7functorIS9_EEEE10hipError_tPvRmT1_T2_T3_mT4_P12ihipStream_tbEUlT_E0_NS1_11comp_targetILNS1_3genE8ELNS1_11target_archE1030ELNS1_3gpuE2ELNS1_3repE0EEENS1_30default_config_static_selectorELNS0_4arch9wavefront6targetE1EEEvSK_,"axG",@progbits,_ZN7rocprim17ROCPRIM_400000_NS6detail17trampoline_kernelINS0_14default_configENS1_22reduce_config_selectorIN6thrust23THRUST_200600_302600_NS5tupleIblNS6_9null_typeES8_S8_S8_S8_S8_S8_S8_EEEEZNS1_11reduce_implILb1ES3_PS9_SC_S9_NS6_11hip_rocprim9__find_if7functorIS9_EEEE10hipError_tPvRmT1_T2_T3_mT4_P12ihipStream_tbEUlT_E0_NS1_11comp_targetILNS1_3genE8ELNS1_11target_archE1030ELNS1_3gpuE2ELNS1_3repE0EEENS1_30default_config_static_selectorELNS0_4arch9wavefront6targetE1EEEvSK_,comdat
	.protected	_ZN7rocprim17ROCPRIM_400000_NS6detail17trampoline_kernelINS0_14default_configENS1_22reduce_config_selectorIN6thrust23THRUST_200600_302600_NS5tupleIblNS6_9null_typeES8_S8_S8_S8_S8_S8_S8_EEEEZNS1_11reduce_implILb1ES3_PS9_SC_S9_NS6_11hip_rocprim9__find_if7functorIS9_EEEE10hipError_tPvRmT1_T2_T3_mT4_P12ihipStream_tbEUlT_E0_NS1_11comp_targetILNS1_3genE8ELNS1_11target_archE1030ELNS1_3gpuE2ELNS1_3repE0EEENS1_30default_config_static_selectorELNS0_4arch9wavefront6targetE1EEEvSK_ ; -- Begin function _ZN7rocprim17ROCPRIM_400000_NS6detail17trampoline_kernelINS0_14default_configENS1_22reduce_config_selectorIN6thrust23THRUST_200600_302600_NS5tupleIblNS6_9null_typeES8_S8_S8_S8_S8_S8_S8_EEEEZNS1_11reduce_implILb1ES3_PS9_SC_S9_NS6_11hip_rocprim9__find_if7functorIS9_EEEE10hipError_tPvRmT1_T2_T3_mT4_P12ihipStream_tbEUlT_E0_NS1_11comp_targetILNS1_3genE8ELNS1_11target_archE1030ELNS1_3gpuE2ELNS1_3repE0EEENS1_30default_config_static_selectorELNS0_4arch9wavefront6targetE1EEEvSK_
	.globl	_ZN7rocprim17ROCPRIM_400000_NS6detail17trampoline_kernelINS0_14default_configENS1_22reduce_config_selectorIN6thrust23THRUST_200600_302600_NS5tupleIblNS6_9null_typeES8_S8_S8_S8_S8_S8_S8_EEEEZNS1_11reduce_implILb1ES3_PS9_SC_S9_NS6_11hip_rocprim9__find_if7functorIS9_EEEE10hipError_tPvRmT1_T2_T3_mT4_P12ihipStream_tbEUlT_E0_NS1_11comp_targetILNS1_3genE8ELNS1_11target_archE1030ELNS1_3gpuE2ELNS1_3repE0EEENS1_30default_config_static_selectorELNS0_4arch9wavefront6targetE1EEEvSK_
	.p2align	8
	.type	_ZN7rocprim17ROCPRIM_400000_NS6detail17trampoline_kernelINS0_14default_configENS1_22reduce_config_selectorIN6thrust23THRUST_200600_302600_NS5tupleIblNS6_9null_typeES8_S8_S8_S8_S8_S8_S8_EEEEZNS1_11reduce_implILb1ES3_PS9_SC_S9_NS6_11hip_rocprim9__find_if7functorIS9_EEEE10hipError_tPvRmT1_T2_T3_mT4_P12ihipStream_tbEUlT_E0_NS1_11comp_targetILNS1_3genE8ELNS1_11target_archE1030ELNS1_3gpuE2ELNS1_3repE0EEENS1_30default_config_static_selectorELNS0_4arch9wavefront6targetE1EEEvSK_,@function
_ZN7rocprim17ROCPRIM_400000_NS6detail17trampoline_kernelINS0_14default_configENS1_22reduce_config_selectorIN6thrust23THRUST_200600_302600_NS5tupleIblNS6_9null_typeES8_S8_S8_S8_S8_S8_S8_EEEEZNS1_11reduce_implILb1ES3_PS9_SC_S9_NS6_11hip_rocprim9__find_if7functorIS9_EEEE10hipError_tPvRmT1_T2_T3_mT4_P12ihipStream_tbEUlT_E0_NS1_11comp_targetILNS1_3genE8ELNS1_11target_archE1030ELNS1_3gpuE2ELNS1_3repE0EEENS1_30default_config_static_selectorELNS0_4arch9wavefront6targetE1EEEvSK_: ; @_ZN7rocprim17ROCPRIM_400000_NS6detail17trampoline_kernelINS0_14default_configENS1_22reduce_config_selectorIN6thrust23THRUST_200600_302600_NS5tupleIblNS6_9null_typeES8_S8_S8_S8_S8_S8_S8_EEEEZNS1_11reduce_implILb1ES3_PS9_SC_S9_NS6_11hip_rocprim9__find_if7functorIS9_EEEE10hipError_tPvRmT1_T2_T3_mT4_P12ihipStream_tbEUlT_E0_NS1_11comp_targetILNS1_3genE8ELNS1_11target_archE1030ELNS1_3gpuE2ELNS1_3repE0EEENS1_30default_config_static_selectorELNS0_4arch9wavefront6targetE1EEEvSK_
; %bb.0:
	.section	.rodata,"a",@progbits
	.p2align	6, 0x0
	.amdhsa_kernel _ZN7rocprim17ROCPRIM_400000_NS6detail17trampoline_kernelINS0_14default_configENS1_22reduce_config_selectorIN6thrust23THRUST_200600_302600_NS5tupleIblNS6_9null_typeES8_S8_S8_S8_S8_S8_S8_EEEEZNS1_11reduce_implILb1ES3_PS9_SC_S9_NS6_11hip_rocprim9__find_if7functorIS9_EEEE10hipError_tPvRmT1_T2_T3_mT4_P12ihipStream_tbEUlT_E0_NS1_11comp_targetILNS1_3genE8ELNS1_11target_archE1030ELNS1_3gpuE2ELNS1_3repE0EEENS1_30default_config_static_selectorELNS0_4arch9wavefront6targetE1EEEvSK_
		.amdhsa_group_segment_fixed_size 0
		.amdhsa_private_segment_fixed_size 0
		.amdhsa_kernarg_size 72
		.amdhsa_user_sgpr_count 6
		.amdhsa_user_sgpr_private_segment_buffer 1
		.amdhsa_user_sgpr_dispatch_ptr 0
		.amdhsa_user_sgpr_queue_ptr 0
		.amdhsa_user_sgpr_kernarg_segment_ptr 1
		.amdhsa_user_sgpr_dispatch_id 0
		.amdhsa_user_sgpr_flat_scratch_init 0
		.amdhsa_user_sgpr_kernarg_preload_length 0
		.amdhsa_user_sgpr_kernarg_preload_offset 0
		.amdhsa_user_sgpr_private_segment_size 0
		.amdhsa_uses_dynamic_stack 0
		.amdhsa_system_sgpr_private_segment_wavefront_offset 0
		.amdhsa_system_sgpr_workgroup_id_x 1
		.amdhsa_system_sgpr_workgroup_id_y 0
		.amdhsa_system_sgpr_workgroup_id_z 0
		.amdhsa_system_sgpr_workgroup_info 0
		.amdhsa_system_vgpr_workitem_id 0
		.amdhsa_next_free_vgpr 1
		.amdhsa_next_free_sgpr 0
		.amdhsa_accum_offset 4
		.amdhsa_reserve_vcc 0
		.amdhsa_reserve_flat_scratch 0
		.amdhsa_float_round_mode_32 0
		.amdhsa_float_round_mode_16_64 0
		.amdhsa_float_denorm_mode_32 3
		.amdhsa_float_denorm_mode_16_64 3
		.amdhsa_dx10_clamp 1
		.amdhsa_ieee_mode 1
		.amdhsa_fp16_overflow 0
		.amdhsa_tg_split 0
		.amdhsa_exception_fp_ieee_invalid_op 0
		.amdhsa_exception_fp_denorm_src 0
		.amdhsa_exception_fp_ieee_div_zero 0
		.amdhsa_exception_fp_ieee_overflow 0
		.amdhsa_exception_fp_ieee_underflow 0
		.amdhsa_exception_fp_ieee_inexact 0
		.amdhsa_exception_int_div_zero 0
	.end_amdhsa_kernel
	.section	.text._ZN7rocprim17ROCPRIM_400000_NS6detail17trampoline_kernelINS0_14default_configENS1_22reduce_config_selectorIN6thrust23THRUST_200600_302600_NS5tupleIblNS6_9null_typeES8_S8_S8_S8_S8_S8_S8_EEEEZNS1_11reduce_implILb1ES3_PS9_SC_S9_NS6_11hip_rocprim9__find_if7functorIS9_EEEE10hipError_tPvRmT1_T2_T3_mT4_P12ihipStream_tbEUlT_E0_NS1_11comp_targetILNS1_3genE8ELNS1_11target_archE1030ELNS1_3gpuE2ELNS1_3repE0EEENS1_30default_config_static_selectorELNS0_4arch9wavefront6targetE1EEEvSK_,"axG",@progbits,_ZN7rocprim17ROCPRIM_400000_NS6detail17trampoline_kernelINS0_14default_configENS1_22reduce_config_selectorIN6thrust23THRUST_200600_302600_NS5tupleIblNS6_9null_typeES8_S8_S8_S8_S8_S8_S8_EEEEZNS1_11reduce_implILb1ES3_PS9_SC_S9_NS6_11hip_rocprim9__find_if7functorIS9_EEEE10hipError_tPvRmT1_T2_T3_mT4_P12ihipStream_tbEUlT_E0_NS1_11comp_targetILNS1_3genE8ELNS1_11target_archE1030ELNS1_3gpuE2ELNS1_3repE0EEENS1_30default_config_static_selectorELNS0_4arch9wavefront6targetE1EEEvSK_,comdat
.Lfunc_end95:
	.size	_ZN7rocprim17ROCPRIM_400000_NS6detail17trampoline_kernelINS0_14default_configENS1_22reduce_config_selectorIN6thrust23THRUST_200600_302600_NS5tupleIblNS6_9null_typeES8_S8_S8_S8_S8_S8_S8_EEEEZNS1_11reduce_implILb1ES3_PS9_SC_S9_NS6_11hip_rocprim9__find_if7functorIS9_EEEE10hipError_tPvRmT1_T2_T3_mT4_P12ihipStream_tbEUlT_E0_NS1_11comp_targetILNS1_3genE8ELNS1_11target_archE1030ELNS1_3gpuE2ELNS1_3repE0EEENS1_30default_config_static_selectorELNS0_4arch9wavefront6targetE1EEEvSK_, .Lfunc_end95-_ZN7rocprim17ROCPRIM_400000_NS6detail17trampoline_kernelINS0_14default_configENS1_22reduce_config_selectorIN6thrust23THRUST_200600_302600_NS5tupleIblNS6_9null_typeES8_S8_S8_S8_S8_S8_S8_EEEEZNS1_11reduce_implILb1ES3_PS9_SC_S9_NS6_11hip_rocprim9__find_if7functorIS9_EEEE10hipError_tPvRmT1_T2_T3_mT4_P12ihipStream_tbEUlT_E0_NS1_11comp_targetILNS1_3genE8ELNS1_11target_archE1030ELNS1_3gpuE2ELNS1_3repE0EEENS1_30default_config_static_selectorELNS0_4arch9wavefront6targetE1EEEvSK_
                                        ; -- End function
	.section	.AMDGPU.csdata,"",@progbits
; Kernel info:
; codeLenInByte = 0
; NumSgprs: 4
; NumVgprs: 0
; NumAgprs: 0
; TotalNumVgprs: 0
; ScratchSize: 0
; MemoryBound: 0
; FloatMode: 240
; IeeeMode: 1
; LDSByteSize: 0 bytes/workgroup (compile time only)
; SGPRBlocks: 0
; VGPRBlocks: 0
; NumSGPRsForWavesPerEU: 4
; NumVGPRsForWavesPerEU: 1
; AccumOffset: 4
; Occupancy: 8
; WaveLimiterHint : 0
; COMPUTE_PGM_RSRC2:SCRATCH_EN: 0
; COMPUTE_PGM_RSRC2:USER_SGPR: 6
; COMPUTE_PGM_RSRC2:TRAP_HANDLER: 0
; COMPUTE_PGM_RSRC2:TGID_X_EN: 1
; COMPUTE_PGM_RSRC2:TGID_Y_EN: 0
; COMPUTE_PGM_RSRC2:TGID_Z_EN: 0
; COMPUTE_PGM_RSRC2:TIDIG_COMP_CNT: 0
; COMPUTE_PGM_RSRC3_GFX90A:ACCUM_OFFSET: 0
; COMPUTE_PGM_RSRC3_GFX90A:TG_SPLIT: 0
	.section	.text._ZN7rocprim17ROCPRIM_400000_NS6detail17trampoline_kernelINS0_14default_configENS1_22reduce_config_selectorIN6thrust23THRUST_200600_302600_NS5tupleIblNS6_9null_typeES8_S8_S8_S8_S8_S8_S8_EEEEZNS1_11reduce_implILb1ES3_PS9_SC_S9_NS6_11hip_rocprim9__find_if7functorIS9_EEEE10hipError_tPvRmT1_T2_T3_mT4_P12ihipStream_tbEUlT_E1_NS1_11comp_targetILNS1_3genE0ELNS1_11target_archE4294967295ELNS1_3gpuE0ELNS1_3repE0EEENS1_30default_config_static_selectorELNS0_4arch9wavefront6targetE1EEEvSK_,"axG",@progbits,_ZN7rocprim17ROCPRIM_400000_NS6detail17trampoline_kernelINS0_14default_configENS1_22reduce_config_selectorIN6thrust23THRUST_200600_302600_NS5tupleIblNS6_9null_typeES8_S8_S8_S8_S8_S8_S8_EEEEZNS1_11reduce_implILb1ES3_PS9_SC_S9_NS6_11hip_rocprim9__find_if7functorIS9_EEEE10hipError_tPvRmT1_T2_T3_mT4_P12ihipStream_tbEUlT_E1_NS1_11comp_targetILNS1_3genE0ELNS1_11target_archE4294967295ELNS1_3gpuE0ELNS1_3repE0EEENS1_30default_config_static_selectorELNS0_4arch9wavefront6targetE1EEEvSK_,comdat
	.protected	_ZN7rocprim17ROCPRIM_400000_NS6detail17trampoline_kernelINS0_14default_configENS1_22reduce_config_selectorIN6thrust23THRUST_200600_302600_NS5tupleIblNS6_9null_typeES8_S8_S8_S8_S8_S8_S8_EEEEZNS1_11reduce_implILb1ES3_PS9_SC_S9_NS6_11hip_rocprim9__find_if7functorIS9_EEEE10hipError_tPvRmT1_T2_T3_mT4_P12ihipStream_tbEUlT_E1_NS1_11comp_targetILNS1_3genE0ELNS1_11target_archE4294967295ELNS1_3gpuE0ELNS1_3repE0EEENS1_30default_config_static_selectorELNS0_4arch9wavefront6targetE1EEEvSK_ ; -- Begin function _ZN7rocprim17ROCPRIM_400000_NS6detail17trampoline_kernelINS0_14default_configENS1_22reduce_config_selectorIN6thrust23THRUST_200600_302600_NS5tupleIblNS6_9null_typeES8_S8_S8_S8_S8_S8_S8_EEEEZNS1_11reduce_implILb1ES3_PS9_SC_S9_NS6_11hip_rocprim9__find_if7functorIS9_EEEE10hipError_tPvRmT1_T2_T3_mT4_P12ihipStream_tbEUlT_E1_NS1_11comp_targetILNS1_3genE0ELNS1_11target_archE4294967295ELNS1_3gpuE0ELNS1_3repE0EEENS1_30default_config_static_selectorELNS0_4arch9wavefront6targetE1EEEvSK_
	.globl	_ZN7rocprim17ROCPRIM_400000_NS6detail17trampoline_kernelINS0_14default_configENS1_22reduce_config_selectorIN6thrust23THRUST_200600_302600_NS5tupleIblNS6_9null_typeES8_S8_S8_S8_S8_S8_S8_EEEEZNS1_11reduce_implILb1ES3_PS9_SC_S9_NS6_11hip_rocprim9__find_if7functorIS9_EEEE10hipError_tPvRmT1_T2_T3_mT4_P12ihipStream_tbEUlT_E1_NS1_11comp_targetILNS1_3genE0ELNS1_11target_archE4294967295ELNS1_3gpuE0ELNS1_3repE0EEENS1_30default_config_static_selectorELNS0_4arch9wavefront6targetE1EEEvSK_
	.p2align	8
	.type	_ZN7rocprim17ROCPRIM_400000_NS6detail17trampoline_kernelINS0_14default_configENS1_22reduce_config_selectorIN6thrust23THRUST_200600_302600_NS5tupleIblNS6_9null_typeES8_S8_S8_S8_S8_S8_S8_EEEEZNS1_11reduce_implILb1ES3_PS9_SC_S9_NS6_11hip_rocprim9__find_if7functorIS9_EEEE10hipError_tPvRmT1_T2_T3_mT4_P12ihipStream_tbEUlT_E1_NS1_11comp_targetILNS1_3genE0ELNS1_11target_archE4294967295ELNS1_3gpuE0ELNS1_3repE0EEENS1_30default_config_static_selectorELNS0_4arch9wavefront6targetE1EEEvSK_,@function
_ZN7rocprim17ROCPRIM_400000_NS6detail17trampoline_kernelINS0_14default_configENS1_22reduce_config_selectorIN6thrust23THRUST_200600_302600_NS5tupleIblNS6_9null_typeES8_S8_S8_S8_S8_S8_S8_EEEEZNS1_11reduce_implILb1ES3_PS9_SC_S9_NS6_11hip_rocprim9__find_if7functorIS9_EEEE10hipError_tPvRmT1_T2_T3_mT4_P12ihipStream_tbEUlT_E1_NS1_11comp_targetILNS1_3genE0ELNS1_11target_archE4294967295ELNS1_3gpuE0ELNS1_3repE0EEENS1_30default_config_static_selectorELNS0_4arch9wavefront6targetE1EEEvSK_: ; @_ZN7rocprim17ROCPRIM_400000_NS6detail17trampoline_kernelINS0_14default_configENS1_22reduce_config_selectorIN6thrust23THRUST_200600_302600_NS5tupleIblNS6_9null_typeES8_S8_S8_S8_S8_S8_S8_EEEEZNS1_11reduce_implILb1ES3_PS9_SC_S9_NS6_11hip_rocprim9__find_if7functorIS9_EEEE10hipError_tPvRmT1_T2_T3_mT4_P12ihipStream_tbEUlT_E1_NS1_11comp_targetILNS1_3genE0ELNS1_11target_archE4294967295ELNS1_3gpuE0ELNS1_3repE0EEENS1_30default_config_static_selectorELNS0_4arch9wavefront6targetE1EEEvSK_
; %bb.0:
	.section	.rodata,"a",@progbits
	.p2align	6, 0x0
	.amdhsa_kernel _ZN7rocprim17ROCPRIM_400000_NS6detail17trampoline_kernelINS0_14default_configENS1_22reduce_config_selectorIN6thrust23THRUST_200600_302600_NS5tupleIblNS6_9null_typeES8_S8_S8_S8_S8_S8_S8_EEEEZNS1_11reduce_implILb1ES3_PS9_SC_S9_NS6_11hip_rocprim9__find_if7functorIS9_EEEE10hipError_tPvRmT1_T2_T3_mT4_P12ihipStream_tbEUlT_E1_NS1_11comp_targetILNS1_3genE0ELNS1_11target_archE4294967295ELNS1_3gpuE0ELNS1_3repE0EEENS1_30default_config_static_selectorELNS0_4arch9wavefront6targetE1EEEvSK_
		.amdhsa_group_segment_fixed_size 0
		.amdhsa_private_segment_fixed_size 0
		.amdhsa_kernarg_size 56
		.amdhsa_user_sgpr_count 6
		.amdhsa_user_sgpr_private_segment_buffer 1
		.amdhsa_user_sgpr_dispatch_ptr 0
		.amdhsa_user_sgpr_queue_ptr 0
		.amdhsa_user_sgpr_kernarg_segment_ptr 1
		.amdhsa_user_sgpr_dispatch_id 0
		.amdhsa_user_sgpr_flat_scratch_init 0
		.amdhsa_user_sgpr_kernarg_preload_length 0
		.amdhsa_user_sgpr_kernarg_preload_offset 0
		.amdhsa_user_sgpr_private_segment_size 0
		.amdhsa_uses_dynamic_stack 0
		.amdhsa_system_sgpr_private_segment_wavefront_offset 0
		.amdhsa_system_sgpr_workgroup_id_x 1
		.amdhsa_system_sgpr_workgroup_id_y 0
		.amdhsa_system_sgpr_workgroup_id_z 0
		.amdhsa_system_sgpr_workgroup_info 0
		.amdhsa_system_vgpr_workitem_id 0
		.amdhsa_next_free_vgpr 1
		.amdhsa_next_free_sgpr 0
		.amdhsa_accum_offset 4
		.amdhsa_reserve_vcc 0
		.amdhsa_reserve_flat_scratch 0
		.amdhsa_float_round_mode_32 0
		.amdhsa_float_round_mode_16_64 0
		.amdhsa_float_denorm_mode_32 3
		.amdhsa_float_denorm_mode_16_64 3
		.amdhsa_dx10_clamp 1
		.amdhsa_ieee_mode 1
		.amdhsa_fp16_overflow 0
		.amdhsa_tg_split 0
		.amdhsa_exception_fp_ieee_invalid_op 0
		.amdhsa_exception_fp_denorm_src 0
		.amdhsa_exception_fp_ieee_div_zero 0
		.amdhsa_exception_fp_ieee_overflow 0
		.amdhsa_exception_fp_ieee_underflow 0
		.amdhsa_exception_fp_ieee_inexact 0
		.amdhsa_exception_int_div_zero 0
	.end_amdhsa_kernel
	.section	.text._ZN7rocprim17ROCPRIM_400000_NS6detail17trampoline_kernelINS0_14default_configENS1_22reduce_config_selectorIN6thrust23THRUST_200600_302600_NS5tupleIblNS6_9null_typeES8_S8_S8_S8_S8_S8_S8_EEEEZNS1_11reduce_implILb1ES3_PS9_SC_S9_NS6_11hip_rocprim9__find_if7functorIS9_EEEE10hipError_tPvRmT1_T2_T3_mT4_P12ihipStream_tbEUlT_E1_NS1_11comp_targetILNS1_3genE0ELNS1_11target_archE4294967295ELNS1_3gpuE0ELNS1_3repE0EEENS1_30default_config_static_selectorELNS0_4arch9wavefront6targetE1EEEvSK_,"axG",@progbits,_ZN7rocprim17ROCPRIM_400000_NS6detail17trampoline_kernelINS0_14default_configENS1_22reduce_config_selectorIN6thrust23THRUST_200600_302600_NS5tupleIblNS6_9null_typeES8_S8_S8_S8_S8_S8_S8_EEEEZNS1_11reduce_implILb1ES3_PS9_SC_S9_NS6_11hip_rocprim9__find_if7functorIS9_EEEE10hipError_tPvRmT1_T2_T3_mT4_P12ihipStream_tbEUlT_E1_NS1_11comp_targetILNS1_3genE0ELNS1_11target_archE4294967295ELNS1_3gpuE0ELNS1_3repE0EEENS1_30default_config_static_selectorELNS0_4arch9wavefront6targetE1EEEvSK_,comdat
.Lfunc_end96:
	.size	_ZN7rocprim17ROCPRIM_400000_NS6detail17trampoline_kernelINS0_14default_configENS1_22reduce_config_selectorIN6thrust23THRUST_200600_302600_NS5tupleIblNS6_9null_typeES8_S8_S8_S8_S8_S8_S8_EEEEZNS1_11reduce_implILb1ES3_PS9_SC_S9_NS6_11hip_rocprim9__find_if7functorIS9_EEEE10hipError_tPvRmT1_T2_T3_mT4_P12ihipStream_tbEUlT_E1_NS1_11comp_targetILNS1_3genE0ELNS1_11target_archE4294967295ELNS1_3gpuE0ELNS1_3repE0EEENS1_30default_config_static_selectorELNS0_4arch9wavefront6targetE1EEEvSK_, .Lfunc_end96-_ZN7rocprim17ROCPRIM_400000_NS6detail17trampoline_kernelINS0_14default_configENS1_22reduce_config_selectorIN6thrust23THRUST_200600_302600_NS5tupleIblNS6_9null_typeES8_S8_S8_S8_S8_S8_S8_EEEEZNS1_11reduce_implILb1ES3_PS9_SC_S9_NS6_11hip_rocprim9__find_if7functorIS9_EEEE10hipError_tPvRmT1_T2_T3_mT4_P12ihipStream_tbEUlT_E1_NS1_11comp_targetILNS1_3genE0ELNS1_11target_archE4294967295ELNS1_3gpuE0ELNS1_3repE0EEENS1_30default_config_static_selectorELNS0_4arch9wavefront6targetE1EEEvSK_
                                        ; -- End function
	.section	.AMDGPU.csdata,"",@progbits
; Kernel info:
; codeLenInByte = 0
; NumSgprs: 4
; NumVgprs: 0
; NumAgprs: 0
; TotalNumVgprs: 0
; ScratchSize: 0
; MemoryBound: 0
; FloatMode: 240
; IeeeMode: 1
; LDSByteSize: 0 bytes/workgroup (compile time only)
; SGPRBlocks: 0
; VGPRBlocks: 0
; NumSGPRsForWavesPerEU: 4
; NumVGPRsForWavesPerEU: 1
; AccumOffset: 4
; Occupancy: 8
; WaveLimiterHint : 0
; COMPUTE_PGM_RSRC2:SCRATCH_EN: 0
; COMPUTE_PGM_RSRC2:USER_SGPR: 6
; COMPUTE_PGM_RSRC2:TRAP_HANDLER: 0
; COMPUTE_PGM_RSRC2:TGID_X_EN: 1
; COMPUTE_PGM_RSRC2:TGID_Y_EN: 0
; COMPUTE_PGM_RSRC2:TGID_Z_EN: 0
; COMPUTE_PGM_RSRC2:TIDIG_COMP_CNT: 0
; COMPUTE_PGM_RSRC3_GFX90A:ACCUM_OFFSET: 0
; COMPUTE_PGM_RSRC3_GFX90A:TG_SPLIT: 0
	.section	.text._ZN7rocprim17ROCPRIM_400000_NS6detail17trampoline_kernelINS0_14default_configENS1_22reduce_config_selectorIN6thrust23THRUST_200600_302600_NS5tupleIblNS6_9null_typeES8_S8_S8_S8_S8_S8_S8_EEEEZNS1_11reduce_implILb1ES3_PS9_SC_S9_NS6_11hip_rocprim9__find_if7functorIS9_EEEE10hipError_tPvRmT1_T2_T3_mT4_P12ihipStream_tbEUlT_E1_NS1_11comp_targetILNS1_3genE5ELNS1_11target_archE942ELNS1_3gpuE9ELNS1_3repE0EEENS1_30default_config_static_selectorELNS0_4arch9wavefront6targetE1EEEvSK_,"axG",@progbits,_ZN7rocprim17ROCPRIM_400000_NS6detail17trampoline_kernelINS0_14default_configENS1_22reduce_config_selectorIN6thrust23THRUST_200600_302600_NS5tupleIblNS6_9null_typeES8_S8_S8_S8_S8_S8_S8_EEEEZNS1_11reduce_implILb1ES3_PS9_SC_S9_NS6_11hip_rocprim9__find_if7functorIS9_EEEE10hipError_tPvRmT1_T2_T3_mT4_P12ihipStream_tbEUlT_E1_NS1_11comp_targetILNS1_3genE5ELNS1_11target_archE942ELNS1_3gpuE9ELNS1_3repE0EEENS1_30default_config_static_selectorELNS0_4arch9wavefront6targetE1EEEvSK_,comdat
	.protected	_ZN7rocprim17ROCPRIM_400000_NS6detail17trampoline_kernelINS0_14default_configENS1_22reduce_config_selectorIN6thrust23THRUST_200600_302600_NS5tupleIblNS6_9null_typeES8_S8_S8_S8_S8_S8_S8_EEEEZNS1_11reduce_implILb1ES3_PS9_SC_S9_NS6_11hip_rocprim9__find_if7functorIS9_EEEE10hipError_tPvRmT1_T2_T3_mT4_P12ihipStream_tbEUlT_E1_NS1_11comp_targetILNS1_3genE5ELNS1_11target_archE942ELNS1_3gpuE9ELNS1_3repE0EEENS1_30default_config_static_selectorELNS0_4arch9wavefront6targetE1EEEvSK_ ; -- Begin function _ZN7rocprim17ROCPRIM_400000_NS6detail17trampoline_kernelINS0_14default_configENS1_22reduce_config_selectorIN6thrust23THRUST_200600_302600_NS5tupleIblNS6_9null_typeES8_S8_S8_S8_S8_S8_S8_EEEEZNS1_11reduce_implILb1ES3_PS9_SC_S9_NS6_11hip_rocprim9__find_if7functorIS9_EEEE10hipError_tPvRmT1_T2_T3_mT4_P12ihipStream_tbEUlT_E1_NS1_11comp_targetILNS1_3genE5ELNS1_11target_archE942ELNS1_3gpuE9ELNS1_3repE0EEENS1_30default_config_static_selectorELNS0_4arch9wavefront6targetE1EEEvSK_
	.globl	_ZN7rocprim17ROCPRIM_400000_NS6detail17trampoline_kernelINS0_14default_configENS1_22reduce_config_selectorIN6thrust23THRUST_200600_302600_NS5tupleIblNS6_9null_typeES8_S8_S8_S8_S8_S8_S8_EEEEZNS1_11reduce_implILb1ES3_PS9_SC_S9_NS6_11hip_rocprim9__find_if7functorIS9_EEEE10hipError_tPvRmT1_T2_T3_mT4_P12ihipStream_tbEUlT_E1_NS1_11comp_targetILNS1_3genE5ELNS1_11target_archE942ELNS1_3gpuE9ELNS1_3repE0EEENS1_30default_config_static_selectorELNS0_4arch9wavefront6targetE1EEEvSK_
	.p2align	8
	.type	_ZN7rocprim17ROCPRIM_400000_NS6detail17trampoline_kernelINS0_14default_configENS1_22reduce_config_selectorIN6thrust23THRUST_200600_302600_NS5tupleIblNS6_9null_typeES8_S8_S8_S8_S8_S8_S8_EEEEZNS1_11reduce_implILb1ES3_PS9_SC_S9_NS6_11hip_rocprim9__find_if7functorIS9_EEEE10hipError_tPvRmT1_T2_T3_mT4_P12ihipStream_tbEUlT_E1_NS1_11comp_targetILNS1_3genE5ELNS1_11target_archE942ELNS1_3gpuE9ELNS1_3repE0EEENS1_30default_config_static_selectorELNS0_4arch9wavefront6targetE1EEEvSK_,@function
_ZN7rocprim17ROCPRIM_400000_NS6detail17trampoline_kernelINS0_14default_configENS1_22reduce_config_selectorIN6thrust23THRUST_200600_302600_NS5tupleIblNS6_9null_typeES8_S8_S8_S8_S8_S8_S8_EEEEZNS1_11reduce_implILb1ES3_PS9_SC_S9_NS6_11hip_rocprim9__find_if7functorIS9_EEEE10hipError_tPvRmT1_T2_T3_mT4_P12ihipStream_tbEUlT_E1_NS1_11comp_targetILNS1_3genE5ELNS1_11target_archE942ELNS1_3gpuE9ELNS1_3repE0EEENS1_30default_config_static_selectorELNS0_4arch9wavefront6targetE1EEEvSK_: ; @_ZN7rocprim17ROCPRIM_400000_NS6detail17trampoline_kernelINS0_14default_configENS1_22reduce_config_selectorIN6thrust23THRUST_200600_302600_NS5tupleIblNS6_9null_typeES8_S8_S8_S8_S8_S8_S8_EEEEZNS1_11reduce_implILb1ES3_PS9_SC_S9_NS6_11hip_rocprim9__find_if7functorIS9_EEEE10hipError_tPvRmT1_T2_T3_mT4_P12ihipStream_tbEUlT_E1_NS1_11comp_targetILNS1_3genE5ELNS1_11target_archE942ELNS1_3gpuE9ELNS1_3repE0EEENS1_30default_config_static_selectorELNS0_4arch9wavefront6targetE1EEEvSK_
; %bb.0:
	.section	.rodata,"a",@progbits
	.p2align	6, 0x0
	.amdhsa_kernel _ZN7rocprim17ROCPRIM_400000_NS6detail17trampoline_kernelINS0_14default_configENS1_22reduce_config_selectorIN6thrust23THRUST_200600_302600_NS5tupleIblNS6_9null_typeES8_S8_S8_S8_S8_S8_S8_EEEEZNS1_11reduce_implILb1ES3_PS9_SC_S9_NS6_11hip_rocprim9__find_if7functorIS9_EEEE10hipError_tPvRmT1_T2_T3_mT4_P12ihipStream_tbEUlT_E1_NS1_11comp_targetILNS1_3genE5ELNS1_11target_archE942ELNS1_3gpuE9ELNS1_3repE0EEENS1_30default_config_static_selectorELNS0_4arch9wavefront6targetE1EEEvSK_
		.amdhsa_group_segment_fixed_size 0
		.amdhsa_private_segment_fixed_size 0
		.amdhsa_kernarg_size 56
		.amdhsa_user_sgpr_count 6
		.amdhsa_user_sgpr_private_segment_buffer 1
		.amdhsa_user_sgpr_dispatch_ptr 0
		.amdhsa_user_sgpr_queue_ptr 0
		.amdhsa_user_sgpr_kernarg_segment_ptr 1
		.amdhsa_user_sgpr_dispatch_id 0
		.amdhsa_user_sgpr_flat_scratch_init 0
		.amdhsa_user_sgpr_kernarg_preload_length 0
		.amdhsa_user_sgpr_kernarg_preload_offset 0
		.amdhsa_user_sgpr_private_segment_size 0
		.amdhsa_uses_dynamic_stack 0
		.amdhsa_system_sgpr_private_segment_wavefront_offset 0
		.amdhsa_system_sgpr_workgroup_id_x 1
		.amdhsa_system_sgpr_workgroup_id_y 0
		.amdhsa_system_sgpr_workgroup_id_z 0
		.amdhsa_system_sgpr_workgroup_info 0
		.amdhsa_system_vgpr_workitem_id 0
		.amdhsa_next_free_vgpr 1
		.amdhsa_next_free_sgpr 0
		.amdhsa_accum_offset 4
		.amdhsa_reserve_vcc 0
		.amdhsa_reserve_flat_scratch 0
		.amdhsa_float_round_mode_32 0
		.amdhsa_float_round_mode_16_64 0
		.amdhsa_float_denorm_mode_32 3
		.amdhsa_float_denorm_mode_16_64 3
		.amdhsa_dx10_clamp 1
		.amdhsa_ieee_mode 1
		.amdhsa_fp16_overflow 0
		.amdhsa_tg_split 0
		.amdhsa_exception_fp_ieee_invalid_op 0
		.amdhsa_exception_fp_denorm_src 0
		.amdhsa_exception_fp_ieee_div_zero 0
		.amdhsa_exception_fp_ieee_overflow 0
		.amdhsa_exception_fp_ieee_underflow 0
		.amdhsa_exception_fp_ieee_inexact 0
		.amdhsa_exception_int_div_zero 0
	.end_amdhsa_kernel
	.section	.text._ZN7rocprim17ROCPRIM_400000_NS6detail17trampoline_kernelINS0_14default_configENS1_22reduce_config_selectorIN6thrust23THRUST_200600_302600_NS5tupleIblNS6_9null_typeES8_S8_S8_S8_S8_S8_S8_EEEEZNS1_11reduce_implILb1ES3_PS9_SC_S9_NS6_11hip_rocprim9__find_if7functorIS9_EEEE10hipError_tPvRmT1_T2_T3_mT4_P12ihipStream_tbEUlT_E1_NS1_11comp_targetILNS1_3genE5ELNS1_11target_archE942ELNS1_3gpuE9ELNS1_3repE0EEENS1_30default_config_static_selectorELNS0_4arch9wavefront6targetE1EEEvSK_,"axG",@progbits,_ZN7rocprim17ROCPRIM_400000_NS6detail17trampoline_kernelINS0_14default_configENS1_22reduce_config_selectorIN6thrust23THRUST_200600_302600_NS5tupleIblNS6_9null_typeES8_S8_S8_S8_S8_S8_S8_EEEEZNS1_11reduce_implILb1ES3_PS9_SC_S9_NS6_11hip_rocprim9__find_if7functorIS9_EEEE10hipError_tPvRmT1_T2_T3_mT4_P12ihipStream_tbEUlT_E1_NS1_11comp_targetILNS1_3genE5ELNS1_11target_archE942ELNS1_3gpuE9ELNS1_3repE0EEENS1_30default_config_static_selectorELNS0_4arch9wavefront6targetE1EEEvSK_,comdat
.Lfunc_end97:
	.size	_ZN7rocprim17ROCPRIM_400000_NS6detail17trampoline_kernelINS0_14default_configENS1_22reduce_config_selectorIN6thrust23THRUST_200600_302600_NS5tupleIblNS6_9null_typeES8_S8_S8_S8_S8_S8_S8_EEEEZNS1_11reduce_implILb1ES3_PS9_SC_S9_NS6_11hip_rocprim9__find_if7functorIS9_EEEE10hipError_tPvRmT1_T2_T3_mT4_P12ihipStream_tbEUlT_E1_NS1_11comp_targetILNS1_3genE5ELNS1_11target_archE942ELNS1_3gpuE9ELNS1_3repE0EEENS1_30default_config_static_selectorELNS0_4arch9wavefront6targetE1EEEvSK_, .Lfunc_end97-_ZN7rocprim17ROCPRIM_400000_NS6detail17trampoline_kernelINS0_14default_configENS1_22reduce_config_selectorIN6thrust23THRUST_200600_302600_NS5tupleIblNS6_9null_typeES8_S8_S8_S8_S8_S8_S8_EEEEZNS1_11reduce_implILb1ES3_PS9_SC_S9_NS6_11hip_rocprim9__find_if7functorIS9_EEEE10hipError_tPvRmT1_T2_T3_mT4_P12ihipStream_tbEUlT_E1_NS1_11comp_targetILNS1_3genE5ELNS1_11target_archE942ELNS1_3gpuE9ELNS1_3repE0EEENS1_30default_config_static_selectorELNS0_4arch9wavefront6targetE1EEEvSK_
                                        ; -- End function
	.section	.AMDGPU.csdata,"",@progbits
; Kernel info:
; codeLenInByte = 0
; NumSgprs: 4
; NumVgprs: 0
; NumAgprs: 0
; TotalNumVgprs: 0
; ScratchSize: 0
; MemoryBound: 0
; FloatMode: 240
; IeeeMode: 1
; LDSByteSize: 0 bytes/workgroup (compile time only)
; SGPRBlocks: 0
; VGPRBlocks: 0
; NumSGPRsForWavesPerEU: 4
; NumVGPRsForWavesPerEU: 1
; AccumOffset: 4
; Occupancy: 8
; WaveLimiterHint : 0
; COMPUTE_PGM_RSRC2:SCRATCH_EN: 0
; COMPUTE_PGM_RSRC2:USER_SGPR: 6
; COMPUTE_PGM_RSRC2:TRAP_HANDLER: 0
; COMPUTE_PGM_RSRC2:TGID_X_EN: 1
; COMPUTE_PGM_RSRC2:TGID_Y_EN: 0
; COMPUTE_PGM_RSRC2:TGID_Z_EN: 0
; COMPUTE_PGM_RSRC2:TIDIG_COMP_CNT: 0
; COMPUTE_PGM_RSRC3_GFX90A:ACCUM_OFFSET: 0
; COMPUTE_PGM_RSRC3_GFX90A:TG_SPLIT: 0
	.section	.text._ZN7rocprim17ROCPRIM_400000_NS6detail17trampoline_kernelINS0_14default_configENS1_22reduce_config_selectorIN6thrust23THRUST_200600_302600_NS5tupleIblNS6_9null_typeES8_S8_S8_S8_S8_S8_S8_EEEEZNS1_11reduce_implILb1ES3_PS9_SC_S9_NS6_11hip_rocprim9__find_if7functorIS9_EEEE10hipError_tPvRmT1_T2_T3_mT4_P12ihipStream_tbEUlT_E1_NS1_11comp_targetILNS1_3genE4ELNS1_11target_archE910ELNS1_3gpuE8ELNS1_3repE0EEENS1_30default_config_static_selectorELNS0_4arch9wavefront6targetE1EEEvSK_,"axG",@progbits,_ZN7rocprim17ROCPRIM_400000_NS6detail17trampoline_kernelINS0_14default_configENS1_22reduce_config_selectorIN6thrust23THRUST_200600_302600_NS5tupleIblNS6_9null_typeES8_S8_S8_S8_S8_S8_S8_EEEEZNS1_11reduce_implILb1ES3_PS9_SC_S9_NS6_11hip_rocprim9__find_if7functorIS9_EEEE10hipError_tPvRmT1_T2_T3_mT4_P12ihipStream_tbEUlT_E1_NS1_11comp_targetILNS1_3genE4ELNS1_11target_archE910ELNS1_3gpuE8ELNS1_3repE0EEENS1_30default_config_static_selectorELNS0_4arch9wavefront6targetE1EEEvSK_,comdat
	.protected	_ZN7rocprim17ROCPRIM_400000_NS6detail17trampoline_kernelINS0_14default_configENS1_22reduce_config_selectorIN6thrust23THRUST_200600_302600_NS5tupleIblNS6_9null_typeES8_S8_S8_S8_S8_S8_S8_EEEEZNS1_11reduce_implILb1ES3_PS9_SC_S9_NS6_11hip_rocprim9__find_if7functorIS9_EEEE10hipError_tPvRmT1_T2_T3_mT4_P12ihipStream_tbEUlT_E1_NS1_11comp_targetILNS1_3genE4ELNS1_11target_archE910ELNS1_3gpuE8ELNS1_3repE0EEENS1_30default_config_static_selectorELNS0_4arch9wavefront6targetE1EEEvSK_ ; -- Begin function _ZN7rocprim17ROCPRIM_400000_NS6detail17trampoline_kernelINS0_14default_configENS1_22reduce_config_selectorIN6thrust23THRUST_200600_302600_NS5tupleIblNS6_9null_typeES8_S8_S8_S8_S8_S8_S8_EEEEZNS1_11reduce_implILb1ES3_PS9_SC_S9_NS6_11hip_rocprim9__find_if7functorIS9_EEEE10hipError_tPvRmT1_T2_T3_mT4_P12ihipStream_tbEUlT_E1_NS1_11comp_targetILNS1_3genE4ELNS1_11target_archE910ELNS1_3gpuE8ELNS1_3repE0EEENS1_30default_config_static_selectorELNS0_4arch9wavefront6targetE1EEEvSK_
	.globl	_ZN7rocprim17ROCPRIM_400000_NS6detail17trampoline_kernelINS0_14default_configENS1_22reduce_config_selectorIN6thrust23THRUST_200600_302600_NS5tupleIblNS6_9null_typeES8_S8_S8_S8_S8_S8_S8_EEEEZNS1_11reduce_implILb1ES3_PS9_SC_S9_NS6_11hip_rocprim9__find_if7functorIS9_EEEE10hipError_tPvRmT1_T2_T3_mT4_P12ihipStream_tbEUlT_E1_NS1_11comp_targetILNS1_3genE4ELNS1_11target_archE910ELNS1_3gpuE8ELNS1_3repE0EEENS1_30default_config_static_selectorELNS0_4arch9wavefront6targetE1EEEvSK_
	.p2align	8
	.type	_ZN7rocprim17ROCPRIM_400000_NS6detail17trampoline_kernelINS0_14default_configENS1_22reduce_config_selectorIN6thrust23THRUST_200600_302600_NS5tupleIblNS6_9null_typeES8_S8_S8_S8_S8_S8_S8_EEEEZNS1_11reduce_implILb1ES3_PS9_SC_S9_NS6_11hip_rocprim9__find_if7functorIS9_EEEE10hipError_tPvRmT1_T2_T3_mT4_P12ihipStream_tbEUlT_E1_NS1_11comp_targetILNS1_3genE4ELNS1_11target_archE910ELNS1_3gpuE8ELNS1_3repE0EEENS1_30default_config_static_selectorELNS0_4arch9wavefront6targetE1EEEvSK_,@function
_ZN7rocprim17ROCPRIM_400000_NS6detail17trampoline_kernelINS0_14default_configENS1_22reduce_config_selectorIN6thrust23THRUST_200600_302600_NS5tupleIblNS6_9null_typeES8_S8_S8_S8_S8_S8_S8_EEEEZNS1_11reduce_implILb1ES3_PS9_SC_S9_NS6_11hip_rocprim9__find_if7functorIS9_EEEE10hipError_tPvRmT1_T2_T3_mT4_P12ihipStream_tbEUlT_E1_NS1_11comp_targetILNS1_3genE4ELNS1_11target_archE910ELNS1_3gpuE8ELNS1_3repE0EEENS1_30default_config_static_selectorELNS0_4arch9wavefront6targetE1EEEvSK_: ; @_ZN7rocprim17ROCPRIM_400000_NS6detail17trampoline_kernelINS0_14default_configENS1_22reduce_config_selectorIN6thrust23THRUST_200600_302600_NS5tupleIblNS6_9null_typeES8_S8_S8_S8_S8_S8_S8_EEEEZNS1_11reduce_implILb1ES3_PS9_SC_S9_NS6_11hip_rocprim9__find_if7functorIS9_EEEE10hipError_tPvRmT1_T2_T3_mT4_P12ihipStream_tbEUlT_E1_NS1_11comp_targetILNS1_3genE4ELNS1_11target_archE910ELNS1_3gpuE8ELNS1_3repE0EEENS1_30default_config_static_selectorELNS0_4arch9wavefront6targetE1EEEvSK_
; %bb.0:
	s_load_dword s29, s[4:5], 0x4
	s_load_dwordx4 s[20:23], s[4:5], 0x8
	s_load_dword s28, s[4:5], 0x20
	s_load_dwordx2 s[18:19], s[4:5], 0x28
	s_waitcnt lgkmcnt(0)
	s_cmp_lt_i32 s29, 4
	s_cbranch_scc1 .LBB98_23
; %bb.1:
	s_cmp_gt_i32 s29, 7
	s_cbranch_scc0 .LBB98_24
; %bb.2:
	s_cmp_eq_u32 s29, 8
	s_mov_b64 s[24:25], 0
	s_cbranch_scc0 .LBB98_25
; %bb.3:
	s_mov_b32 s7, 0
	s_lshl_b32 s2, s6, 11
	s_mov_b32 s3, s7
	s_lshr_b64 s[0:1], s[22:23], 11
	s_lshl_b64 s[8:9], s[2:3], 4
	s_add_u32 s16, s20, s8
	s_addc_u32 s17, s21, s9
	s_cmp_lg_u64 s[0:1], s[6:7]
	s_cbranch_scc0 .LBB98_48
; %bb.4:
	v_lshlrev_b32_e32 v1, 4, v0
	v_mov_b32_e32 v2, s17
	v_add_co_u32_e32 v14, vcc, s16, v1
	v_addc_co_u32_e32 v15, vcc, 0, v2, vcc
	v_add_co_u32_e32 v2, vcc, 0x1000, v14
	v_addc_co_u32_e32 v3, vcc, 0, v15, vcc
	;; [unrolled: 2-line block ×3, first 2 shown]
	global_load_ubyte v24, v1, s[16:17]
	global_load_ubyte v23, v[2:3], off
	global_load_dwordx2 v[12:13], v[2:3], off offset:8
	global_load_ubyte v22, v[4:5], off
	v_add_co_u32_e32 v2, vcc, 0x3000, v14
	v_addc_co_u32_e32 v3, vcc, 0, v15, vcc
	v_add_co_u32_e32 v26, vcc, 0x4000, v14
	v_addc_co_u32_e32 v27, vcc, 0, v15, vcc
	global_load_dwordx2 v[16:17], v[4:5], off offset:8
	global_load_ubyte v21, v[2:3], off
	global_load_dwordx2 v[8:9], v[2:3], off offset:8
	global_load_ubyte v20, v[26:27], off
	v_add_co_u32_e32 v2, vcc, 0x5000, v14
	v_addc_co_u32_e32 v3, vcc, 0, v15, vcc
	v_add_co_u32_e32 v28, vcc, 0x6000, v14
	v_addc_co_u32_e32 v29, vcc, 0, v15, vcc
	global_load_dwordx2 v[10:11], v[26:27], off offset:8
	global_load_ubyte v19, v[2:3], off
	global_load_dwordx2 v[6:7], v[2:3], off offset:8
	global_load_ubyte v18, v[28:29], off
	v_add_co_u32_e32 v26, vcc, 0x7000, v14
	v_addc_co_u32_e32 v27, vcc, 0, v15, vcc
	global_load_dwordx2 v[4:5], v[28:29], off offset:8
	global_load_ubyte v1, v[26:27], off
	global_load_dwordx2 v[2:3], v[26:27], off offset:8
	s_waitcnt vmcnt(14)
	v_and_b32_e32 v25, 1, v24
	v_cmp_eq_u32_e32 vcc, 1, v25
	s_and_saveexec_b64 s[8:9], vcc
	s_cbranch_execz .LBB98_6
; %bb.5:
	global_load_dwordx2 v[14:15], v[14:15], off offset:8
	s_waitcnt vmcnt(14)
	v_and_b32_e32 v23, 1, v23
	v_cmp_eq_u32_e32 vcc, 1, v23
	v_cndmask_b32_e64 v23, v24, 1, vcc
	s_waitcnt vmcnt(0)
	v_cmp_lt_i64_e64 s[0:1], v[12:13], v[14:15]
	v_cndmask_b32_e64 v13, v15, v13, s[0:1]
	v_cndmask_b32_e32 v13, v15, v13, vcc
	s_and_b64 vcc, vcc, s[0:1]
	v_cndmask_b32_e32 v12, v14, v12, vcc
.LBB98_6:
	s_or_b64 exec, exec, s[8:9]
	s_waitcnt vmcnt(11)
	v_and_b32_e32 v15, 1, v22
	s_waitcnt vmcnt(10)
	v_cmp_lt_i64_e32 vcc, v[16:17], v[12:13]
	v_cmp_eq_u32_e64 s[0:1], 1, v15
	v_and_b32_e32 v14, 1, v23
	s_and_b64 vcc, s[0:1], vcc
	v_cndmask_b32_e32 v12, v12, v16, vcc
	v_cndmask_b32_e32 v13, v13, v17, vcc
	v_cmp_eq_u32_e32 vcc, 1, v14
	v_cndmask_b32_e64 v15, v23, 1, s[0:1]
	v_cndmask_b32_e32 v13, v17, v13, vcc
	v_cndmask_b32_e32 v12, v16, v12, vcc
	s_waitcnt vmcnt(9)
	v_and_b32_e32 v16, 1, v21
	v_cndmask_b32_e32 v14, v22, v15, vcc
	s_waitcnt vmcnt(8)
	v_cmp_lt_i64_e32 vcc, v[8:9], v[12:13]
	v_cmp_eq_u32_e64 s[0:1], 1, v16
	v_and_b32_e32 v15, 1, v14
	s_and_b64 vcc, s[0:1], vcc
	v_cndmask_b32_e32 v12, v12, v8, vcc
	v_cndmask_b32_e32 v13, v13, v9, vcc
	v_cmp_eq_u32_e32 vcc, 1, v15
	v_cndmask_b32_e64 v14, v14, 1, s[0:1]
	v_cndmask_b32_e32 v9, v9, v13, vcc
	v_cndmask_b32_e32 v8, v8, v12, vcc
	s_waitcnt vmcnt(7)
	v_and_b32_e32 v13, 1, v20
	v_cndmask_b32_e32 v14, v21, v14, vcc
	;; [unrolled: 14-line block ×5, first 2 shown]
	s_waitcnt vmcnt(0)
	v_cmp_lt_i64_e32 vcc, v[2:3], v[4:5]
	v_cmp_eq_u32_e64 s[0:1], 1, v7
	v_and_b32_e32 v6, 1, v8
	s_and_b64 vcc, s[0:1], vcc
	v_cndmask_b32_e64 v7, v8, 1, s[0:1]
	v_cndmask_b32_e32 v4, v4, v2, vcc
	v_cndmask_b32_e32 v5, v5, v3, vcc
	v_cmp_eq_u32_e32 vcc, 1, v6
	v_cndmask_b32_e32 v7, v1, v7, vcc
	v_and_b32_e32 v1, 0xff, v7
	v_cndmask_b32_e32 v3, v3, v5, vcc
	v_cndmask_b32_e32 v2, v2, v4, vcc
	v_mov_b32_dpp v6, v1 quad_perm:[1,0,3,2] row_mask:0xf bank_mask:0xf bound_ctrl:1
	v_and_b32_e32 v8, 1, v6
	v_and_b32_e32 v7, 1, v7
	v_mov_b32_dpp v4, v2 quad_perm:[1,0,3,2] row_mask:0xf bank_mask:0xf bound_ctrl:1
	v_mov_b32_dpp v5, v3 quad_perm:[1,0,3,2] row_mask:0xf bank_mask:0xf bound_ctrl:1
	v_cmp_eq_u32_e32 vcc, 1, v8
	v_cmp_eq_u32_e64 s[0:1], 1, v7
	s_and_saveexec_b64 s[8:9], vcc
	s_xor_b64 s[8:9], exec, s[8:9]
; %bb.7:
	v_cmp_lt_i64_e32 vcc, v[2:3], v[4:5]
	v_cndmask_b32_e64 v6, v6, 1, s[0:1]
	s_and_b64 vcc, s[0:1], vcc
	v_cndmask_b32_e32 v2, v4, v2, vcc
	v_and_b32_e32 v4, 1, v6
	v_cndmask_b32_e32 v3, v5, v3, vcc
	v_cmp_eq_u32_e32 vcc, 1, v4
	s_andn2_b64 s[0:1], s[0:1], exec
	s_and_b64 s[10:11], vcc, exec
	v_and_b32_e32 v1, 0xff, v6
	s_or_b64 s[0:1], s[0:1], s[10:11]
; %bb.8:
	s_or_b64 exec, exec, s[8:9]
	v_mov_b32_dpp v6, v1 quad_perm:[2,3,0,1] row_mask:0xf bank_mask:0xf bound_ctrl:1
	v_and_b32_e32 v7, 1, v6
	v_mov_b32_dpp v4, v2 quad_perm:[2,3,0,1] row_mask:0xf bank_mask:0xf bound_ctrl:1
	v_mov_b32_dpp v5, v3 quad_perm:[2,3,0,1] row_mask:0xf bank_mask:0xf bound_ctrl:1
	v_cmp_eq_u32_e32 vcc, 1, v7
	s_and_saveexec_b64 s[8:9], vcc
; %bb.9:
	v_cmp_lt_i64_e32 vcc, v[2:3], v[4:5]
	v_cndmask_b32_e64 v6, v6, 1, s[0:1]
	s_and_b64 vcc, s[0:1], vcc
	v_cndmask_b32_e32 v2, v4, v2, vcc
	v_and_b32_e32 v4, 1, v6
	v_cndmask_b32_e32 v3, v5, v3, vcc
	v_cmp_eq_u32_e32 vcc, 1, v4
	s_andn2_b64 s[0:1], s[0:1], exec
	s_and_b64 s[10:11], vcc, exec
	v_and_b32_e32 v1, 0xff, v6
	s_or_b64 s[0:1], s[0:1], s[10:11]
; %bb.10:
	s_or_b64 exec, exec, s[8:9]
	v_mov_b32_dpp v6, v1 row_ror:4 row_mask:0xf bank_mask:0xf bound_ctrl:1
	v_and_b32_e32 v7, 1, v6
	v_mov_b32_dpp v4, v2 row_ror:4 row_mask:0xf bank_mask:0xf bound_ctrl:1
	v_mov_b32_dpp v5, v3 row_ror:4 row_mask:0xf bank_mask:0xf bound_ctrl:1
	v_cmp_eq_u32_e32 vcc, 1, v7
	s_and_saveexec_b64 s[8:9], vcc
; %bb.11:
	v_cmp_lt_i64_e32 vcc, v[2:3], v[4:5]
	v_cndmask_b32_e64 v6, v6, 1, s[0:1]
	s_and_b64 vcc, s[0:1], vcc
	v_cndmask_b32_e32 v2, v4, v2, vcc
	v_and_b32_e32 v4, 1, v6
	v_cndmask_b32_e32 v3, v5, v3, vcc
	v_cmp_eq_u32_e32 vcc, 1, v4
	s_andn2_b64 s[0:1], s[0:1], exec
	s_and_b64 s[10:11], vcc, exec
	v_and_b32_e32 v1, 0xff, v6
	s_or_b64 s[0:1], s[0:1], s[10:11]
; %bb.12:
	s_or_b64 exec, exec, s[8:9]
	v_mov_b32_dpp v6, v1 row_ror:8 row_mask:0xf bank_mask:0xf bound_ctrl:1
	v_and_b32_e32 v7, 1, v6
	v_mov_b32_dpp v4, v2 row_ror:8 row_mask:0xf bank_mask:0xf bound_ctrl:1
	v_mov_b32_dpp v5, v3 row_ror:8 row_mask:0xf bank_mask:0xf bound_ctrl:1
	v_cmp_eq_u32_e32 vcc, 1, v7
	s_and_saveexec_b64 s[8:9], vcc
; %bb.13:
	v_cmp_lt_i64_e32 vcc, v[2:3], v[4:5]
	v_cndmask_b32_e64 v6, v6, 1, s[0:1]
	s_and_b64 vcc, s[0:1], vcc
	v_cndmask_b32_e32 v2, v4, v2, vcc
	v_and_b32_e32 v4, 1, v6
	v_cndmask_b32_e32 v3, v5, v3, vcc
	v_cmp_eq_u32_e32 vcc, 1, v4
	s_andn2_b64 s[0:1], s[0:1], exec
	s_and_b64 s[10:11], vcc, exec
	v_and_b32_e32 v1, 0xff, v6
	s_or_b64 s[0:1], s[0:1], s[10:11]
; %bb.14:
	s_or_b64 exec, exec, s[8:9]
	v_mov_b32_dpp v6, v1 row_bcast:15 row_mask:0xf bank_mask:0xf bound_ctrl:1
	v_and_b32_e32 v7, 1, v6
	v_mov_b32_dpp v4, v2 row_bcast:15 row_mask:0xf bank_mask:0xf bound_ctrl:1
	v_mov_b32_dpp v5, v3 row_bcast:15 row_mask:0xf bank_mask:0xf bound_ctrl:1
	v_cmp_eq_u32_e32 vcc, 1, v7
	s_and_saveexec_b64 s[8:9], vcc
; %bb.15:
	v_cmp_lt_i64_e32 vcc, v[2:3], v[4:5]
	v_cndmask_b32_e64 v6, v6, 1, s[0:1]
	s_and_b64 vcc, s[0:1], vcc
	v_cndmask_b32_e32 v2, v4, v2, vcc
	v_and_b32_e32 v4, 1, v6
	v_cndmask_b32_e32 v3, v5, v3, vcc
	v_cmp_eq_u32_e32 vcc, 1, v4
	s_andn2_b64 s[0:1], s[0:1], exec
	s_and_b64 s[10:11], vcc, exec
	v_and_b32_e32 v1, 0xff, v6
	s_or_b64 s[0:1], s[0:1], s[10:11]
; %bb.16:
	s_or_b64 exec, exec, s[8:9]
	v_mov_b32_dpp v6, v1 row_bcast:31 row_mask:0xf bank_mask:0xf bound_ctrl:1
	v_and_b32_e32 v7, 1, v6
	v_mov_b32_dpp v4, v2 row_bcast:31 row_mask:0xf bank_mask:0xf bound_ctrl:1
	v_mov_b32_dpp v5, v3 row_bcast:31 row_mask:0xf bank_mask:0xf bound_ctrl:1
	v_cmp_eq_u32_e32 vcc, 1, v7
	s_and_saveexec_b64 s[8:9], vcc
; %bb.17:
	v_cmp_lt_i64_e32 vcc, v[2:3], v[4:5]
	v_and_b32_e32 v1, 0xff, v6
	s_and_b64 vcc, s[0:1], vcc
	v_cndmask_b32_e32 v2, v4, v2, vcc
	v_cndmask_b32_e32 v3, v5, v3, vcc
	v_cndmask_b32_e64 v1, v1, 1, s[0:1]
; %bb.18:
	s_or_b64 exec, exec, s[8:9]
	v_mbcnt_lo_u32_b32 v4, -1, 0
	v_mbcnt_hi_u32_b32 v4, -1, v4
	v_bfrev_b32_e32 v5, 0.5
	v_lshl_or_b32 v5, v4, 2, v5
	ds_bpermute_b32 v6, v5, v1
	ds_bpermute_b32 v2, v5, v2
	;; [unrolled: 1-line block ×3, first 2 shown]
	v_cmp_eq_u32_e32 vcc, 0, v4
	s_and_saveexec_b64 s[0:1], vcc
	s_cbranch_execz .LBB98_20
; %bb.19:
	v_lshrrev_b32_e32 v1, 2, v0
	v_and_b32_e32 v1, 48, v1
	s_waitcnt lgkmcnt(2)
	ds_write_b8 v1, v6 offset:192
	s_waitcnt lgkmcnt(1)
	ds_write_b64 v1, v[2:3] offset:200
.LBB98_20:
	s_or_b64 exec, exec, s[0:1]
	v_cmp_gt_u32_e32 vcc, 64, v0
	s_waitcnt lgkmcnt(0)
	s_barrier
	s_and_saveexec_b64 s[8:9], vcc
	s_cbranch_execz .LBB98_22
; %bb.21:
	v_and_b32_e32 v1, 3, v4
	v_lshlrev_b32_e32 v2, 4, v1
	ds_read_u8 v5, v2 offset:192
	ds_read_b64 v[2:3], v2 offset:200
	v_cmp_ne_u32_e32 vcc, 3, v1
	v_addc_co_u32_e32 v6, vcc, 0, v4, vcc
	s_waitcnt lgkmcnt(1)
	v_and_b32_e32 v7, 0xff, v5
	v_lshlrev_b32_e32 v8, 2, v6
	ds_bpermute_b32 v9, v8, v7
	s_waitcnt lgkmcnt(1)
	ds_bpermute_b32 v6, v8, v2
	ds_bpermute_b32 v7, v8, v3
	v_and_b32_e32 v8, 1, v5
	s_waitcnt lgkmcnt(2)
	v_and_b32_e32 v10, 1, v9
	v_cmp_eq_u32_e64 s[0:1], 1, v10
	s_waitcnt lgkmcnt(0)
	v_cmp_lt_i64_e32 vcc, v[6:7], v[2:3]
	s_and_b64 vcc, s[0:1], vcc
	v_cndmask_b32_e64 v5, v5, 1, s[0:1]
	v_cndmask_b32_e32 v2, v2, v6, vcc
	v_cndmask_b32_e32 v3, v3, v7, vcc
	v_cmp_eq_u32_e32 vcc, 1, v8
	v_cndmask_b32_e32 v8, v9, v5, vcc
	v_cndmask_b32_e32 v3, v7, v3, vcc
	;; [unrolled: 1-line block ×3, first 2 shown]
	v_cmp_gt_u32_e32 vcc, 2, v1
	v_cndmask_b32_e64 v1, 0, 1, vcc
	v_lshlrev_b32_e32 v1, 1, v1
	v_and_b32_e32 v5, 0xff, v8
	v_add_lshl_u32 v1, v1, v4, 2
	ds_bpermute_b32 v6, v1, v5
	ds_bpermute_b32 v4, v1, v2
	;; [unrolled: 1-line block ×3, first 2 shown]
	v_and_b32_e32 v1, 1, v8
	s_waitcnt lgkmcnt(2)
	v_and_b32_e32 v7, 1, v6
	v_cmp_eq_u32_e64 s[0:1], 1, v7
	s_waitcnt lgkmcnt(0)
	v_cmp_lt_i64_e32 vcc, v[4:5], v[2:3]
	s_and_b64 vcc, s[0:1], vcc
	v_cndmask_b32_e64 v7, v8, 1, s[0:1]
	v_cndmask_b32_e32 v2, v2, v4, vcc
	v_cndmask_b32_e32 v3, v3, v5, vcc
	v_cmp_eq_u32_e32 vcc, 1, v1
	v_cndmask_b32_e32 v1, v6, v7, vcc
	v_cndmask_b32_e32 v3, v5, v3, vcc
	v_cndmask_b32_e32 v2, v4, v2, vcc
	v_and_b32_e32 v6, 0xff, v1
.LBB98_22:
	s_or_b64 exec, exec, s[8:9]
	s_branch .LBB98_93
.LBB98_23:
	s_mov_b64 s[10:11], 0
                                        ; implicit-def: $vgpr4_vgpr5
                                        ; implicit-def: $vgpr1
	s_cbranch_execnz .LBB98_137
	s_branch .LBB98_214
.LBB98_24:
	s_mov_b64 s[24:25], -1
.LBB98_25:
	s_mov_b64 s[10:11], 0
                                        ; implicit-def: $vgpr4_vgpr5
                                        ; implicit-def: $vgpr1
	s_and_b64 vcc, exec, s[24:25]
	s_cbranch_vccz .LBB98_98
.LBB98_26:
	s_cmp_eq_u32 s29, 4
	s_cbranch_scc0 .LBB98_47
; %bb.27:
	s_mov_b32 s7, 0
	s_lshl_b32 s2, s6, 10
	s_mov_b32 s3, s7
	s_lshr_b64 s[0:1], s[22:23], 10
	s_lshl_b64 s[8:9], s[2:3], 4
	s_add_u32 s8, s20, s8
	s_addc_u32 s9, s21, s9
	s_cmp_lg_u64 s[0:1], s[6:7]
	s_cbranch_scc0 .LBB98_99
; %bb.28:
	s_waitcnt lgkmcnt(2)
	v_lshlrev_b32_e32 v1, 4, v0
	v_mov_b32_e32 v2, s9
	v_add_co_u32_e32 v8, vcc, s8, v1
	v_addc_co_u32_e32 v9, vcc, 0, v2, vcc
	v_add_co_u32_e32 v2, vcc, 0x1000, v8
	v_addc_co_u32_e32 v3, vcc, 0, v9, vcc
	;; [unrolled: 2-line block ×3, first 2 shown]
	v_add_co_u32_e32 v16, vcc, 0x3000, v8
	global_load_ubyte v12, v1, s[8:9]
	global_load_ubyte v11, v[2:3], off
	s_waitcnt lgkmcnt(0)
	global_load_dwordx2 v[4:5], v[2:3], off offset:8
	global_load_ubyte v10, v[14:15], off
	v_addc_co_u32_e32 v17, vcc, 0, v9, vcc
	global_load_dwordx2 v[6:7], v[14:15], off offset:8
	global_load_ubyte v1, v[16:17], off
	global_load_dwordx2 v[2:3], v[16:17], off offset:8
	s_waitcnt vmcnt(6)
	v_and_b32_e32 v13, 1, v12
	v_cmp_eq_u32_e32 vcc, 1, v13
	s_and_saveexec_b64 s[12:13], vcc
	s_cbranch_execz .LBB98_30
; %bb.29:
	global_load_dwordx2 v[8:9], v[8:9], off offset:8
	s_waitcnt vmcnt(6)
	v_and_b32_e32 v11, 1, v11
	v_cmp_eq_u32_e32 vcc, 1, v11
	v_cndmask_b32_e64 v11, v12, 1, vcc
	s_waitcnt vmcnt(0)
	v_cmp_lt_i64_e64 s[0:1], v[4:5], v[8:9]
	v_cndmask_b32_e64 v5, v9, v5, s[0:1]
	v_cndmask_b32_e32 v5, v9, v5, vcc
	s_and_b64 vcc, vcc, s[0:1]
	v_cndmask_b32_e32 v4, v8, v4, vcc
.LBB98_30:
	s_or_b64 exec, exec, s[12:13]
	s_waitcnt vmcnt(3)
	v_and_b32_e32 v9, 1, v10
	s_waitcnt vmcnt(2)
	v_cmp_lt_i64_e32 vcc, v[6:7], v[4:5]
	v_cmp_eq_u32_e64 s[0:1], 1, v9
	v_and_b32_e32 v8, 1, v11
	s_and_b64 vcc, s[0:1], vcc
	v_cndmask_b32_e32 v4, v4, v6, vcc
	v_cndmask_b32_e32 v5, v5, v7, vcc
	v_cmp_eq_u32_e32 vcc, 1, v8
	v_cndmask_b32_e64 v9, v11, 1, s[0:1]
	v_cndmask_b32_e32 v5, v7, v5, vcc
	v_cndmask_b32_e32 v4, v6, v4, vcc
	s_waitcnt vmcnt(1)
	v_and_b32_e32 v7, 1, v1
	v_cndmask_b32_e32 v8, v10, v9, vcc
	s_waitcnt vmcnt(0)
	v_cmp_lt_i64_e32 vcc, v[2:3], v[4:5]
	v_cmp_eq_u32_e64 s[0:1], 1, v7
	v_and_b32_e32 v6, 1, v8
	s_and_b64 vcc, s[0:1], vcc
	v_cndmask_b32_e64 v7, v8, 1, s[0:1]
	v_cndmask_b32_e32 v4, v4, v2, vcc
	v_cndmask_b32_e32 v5, v5, v3, vcc
	v_cmp_eq_u32_e32 vcc, 1, v6
	v_cndmask_b32_e32 v7, v1, v7, vcc
	v_and_b32_e32 v1, 0xff, v7
	v_cndmask_b32_e32 v3, v3, v5, vcc
	v_cndmask_b32_e32 v2, v2, v4, vcc
	v_mov_b32_dpp v6, v1 quad_perm:[1,0,3,2] row_mask:0xf bank_mask:0xf bound_ctrl:1
	v_and_b32_e32 v8, 1, v6
	v_and_b32_e32 v7, 1, v7
	v_mov_b32_dpp v4, v2 quad_perm:[1,0,3,2] row_mask:0xf bank_mask:0xf bound_ctrl:1
	v_mov_b32_dpp v5, v3 quad_perm:[1,0,3,2] row_mask:0xf bank_mask:0xf bound_ctrl:1
	v_cmp_eq_u32_e32 vcc, 1, v8
	v_cmp_eq_u32_e64 s[0:1], 1, v7
	s_and_saveexec_b64 s[12:13], vcc
	s_xor_b64 s[12:13], exec, s[12:13]
; %bb.31:
	v_cmp_lt_i64_e32 vcc, v[2:3], v[4:5]
	v_cndmask_b32_e64 v6, v6, 1, s[0:1]
	s_and_b64 vcc, s[0:1], vcc
	v_cndmask_b32_e32 v2, v4, v2, vcc
	v_and_b32_e32 v4, 1, v6
	v_cndmask_b32_e32 v3, v5, v3, vcc
	v_cmp_eq_u32_e32 vcc, 1, v4
	s_andn2_b64 s[0:1], s[0:1], exec
	s_and_b64 s[14:15], vcc, exec
	v_and_b32_e32 v1, 0xff, v6
	s_or_b64 s[0:1], s[0:1], s[14:15]
; %bb.32:
	s_or_b64 exec, exec, s[12:13]
	v_mov_b32_dpp v6, v1 quad_perm:[2,3,0,1] row_mask:0xf bank_mask:0xf bound_ctrl:1
	v_and_b32_e32 v7, 1, v6
	v_mov_b32_dpp v4, v2 quad_perm:[2,3,0,1] row_mask:0xf bank_mask:0xf bound_ctrl:1
	v_mov_b32_dpp v5, v3 quad_perm:[2,3,0,1] row_mask:0xf bank_mask:0xf bound_ctrl:1
	v_cmp_eq_u32_e32 vcc, 1, v7
	s_and_saveexec_b64 s[12:13], vcc
; %bb.33:
	v_cmp_lt_i64_e32 vcc, v[2:3], v[4:5]
	v_cndmask_b32_e64 v6, v6, 1, s[0:1]
	s_and_b64 vcc, s[0:1], vcc
	v_cndmask_b32_e32 v2, v4, v2, vcc
	v_and_b32_e32 v4, 1, v6
	v_cndmask_b32_e32 v3, v5, v3, vcc
	v_cmp_eq_u32_e32 vcc, 1, v4
	s_andn2_b64 s[0:1], s[0:1], exec
	s_and_b64 s[14:15], vcc, exec
	v_and_b32_e32 v1, 0xff, v6
	s_or_b64 s[0:1], s[0:1], s[14:15]
; %bb.34:
	s_or_b64 exec, exec, s[12:13]
	v_mov_b32_dpp v6, v1 row_ror:4 row_mask:0xf bank_mask:0xf bound_ctrl:1
	v_and_b32_e32 v7, 1, v6
	v_mov_b32_dpp v4, v2 row_ror:4 row_mask:0xf bank_mask:0xf bound_ctrl:1
	v_mov_b32_dpp v5, v3 row_ror:4 row_mask:0xf bank_mask:0xf bound_ctrl:1
	v_cmp_eq_u32_e32 vcc, 1, v7
	s_and_saveexec_b64 s[12:13], vcc
; %bb.35:
	v_cmp_lt_i64_e32 vcc, v[2:3], v[4:5]
	v_cndmask_b32_e64 v6, v6, 1, s[0:1]
	s_and_b64 vcc, s[0:1], vcc
	v_cndmask_b32_e32 v2, v4, v2, vcc
	v_and_b32_e32 v4, 1, v6
	v_cndmask_b32_e32 v3, v5, v3, vcc
	v_cmp_eq_u32_e32 vcc, 1, v4
	s_andn2_b64 s[0:1], s[0:1], exec
	s_and_b64 s[14:15], vcc, exec
	v_and_b32_e32 v1, 0xff, v6
	s_or_b64 s[0:1], s[0:1], s[14:15]
; %bb.36:
	s_or_b64 exec, exec, s[12:13]
	v_mov_b32_dpp v6, v1 row_ror:8 row_mask:0xf bank_mask:0xf bound_ctrl:1
	v_and_b32_e32 v7, 1, v6
	v_mov_b32_dpp v4, v2 row_ror:8 row_mask:0xf bank_mask:0xf bound_ctrl:1
	v_mov_b32_dpp v5, v3 row_ror:8 row_mask:0xf bank_mask:0xf bound_ctrl:1
	v_cmp_eq_u32_e32 vcc, 1, v7
	s_and_saveexec_b64 s[12:13], vcc
; %bb.37:
	v_cmp_lt_i64_e32 vcc, v[2:3], v[4:5]
	v_cndmask_b32_e64 v6, v6, 1, s[0:1]
	s_and_b64 vcc, s[0:1], vcc
	v_cndmask_b32_e32 v2, v4, v2, vcc
	v_and_b32_e32 v4, 1, v6
	v_cndmask_b32_e32 v3, v5, v3, vcc
	v_cmp_eq_u32_e32 vcc, 1, v4
	s_andn2_b64 s[0:1], s[0:1], exec
	s_and_b64 s[14:15], vcc, exec
	v_and_b32_e32 v1, 0xff, v6
	s_or_b64 s[0:1], s[0:1], s[14:15]
; %bb.38:
	s_or_b64 exec, exec, s[12:13]
	v_mov_b32_dpp v6, v1 row_bcast:15 row_mask:0xf bank_mask:0xf bound_ctrl:1
	v_and_b32_e32 v7, 1, v6
	v_mov_b32_dpp v4, v2 row_bcast:15 row_mask:0xf bank_mask:0xf bound_ctrl:1
	v_mov_b32_dpp v5, v3 row_bcast:15 row_mask:0xf bank_mask:0xf bound_ctrl:1
	v_cmp_eq_u32_e32 vcc, 1, v7
	s_and_saveexec_b64 s[12:13], vcc
; %bb.39:
	v_cmp_lt_i64_e32 vcc, v[2:3], v[4:5]
	v_cndmask_b32_e64 v6, v6, 1, s[0:1]
	s_and_b64 vcc, s[0:1], vcc
	v_cndmask_b32_e32 v2, v4, v2, vcc
	v_and_b32_e32 v4, 1, v6
	v_cndmask_b32_e32 v3, v5, v3, vcc
	v_cmp_eq_u32_e32 vcc, 1, v4
	s_andn2_b64 s[0:1], s[0:1], exec
	s_and_b64 s[14:15], vcc, exec
	v_and_b32_e32 v1, 0xff, v6
	s_or_b64 s[0:1], s[0:1], s[14:15]
; %bb.40:
	s_or_b64 exec, exec, s[12:13]
	v_mov_b32_dpp v6, v1 row_bcast:31 row_mask:0xf bank_mask:0xf bound_ctrl:1
	v_and_b32_e32 v7, 1, v6
	v_mov_b32_dpp v4, v2 row_bcast:31 row_mask:0xf bank_mask:0xf bound_ctrl:1
	v_mov_b32_dpp v5, v3 row_bcast:31 row_mask:0xf bank_mask:0xf bound_ctrl:1
	v_cmp_eq_u32_e32 vcc, 1, v7
	s_and_saveexec_b64 s[12:13], vcc
; %bb.41:
	v_cmp_lt_i64_e32 vcc, v[2:3], v[4:5]
	v_and_b32_e32 v1, 0xff, v6
	s_and_b64 vcc, s[0:1], vcc
	v_cndmask_b32_e32 v2, v4, v2, vcc
	v_cndmask_b32_e32 v3, v5, v3, vcc
	v_cndmask_b32_e64 v1, v1, 1, s[0:1]
; %bb.42:
	s_or_b64 exec, exec, s[12:13]
	v_mbcnt_lo_u32_b32 v4, -1, 0
	v_mbcnt_hi_u32_b32 v4, -1, v4
	v_bfrev_b32_e32 v5, 0.5
	v_lshl_or_b32 v5, v4, 2, v5
	ds_bpermute_b32 v6, v5, v1
	ds_bpermute_b32 v2, v5, v2
	;; [unrolled: 1-line block ×3, first 2 shown]
	v_cmp_eq_u32_e32 vcc, 0, v4
	s_and_saveexec_b64 s[0:1], vcc
	s_cbranch_execz .LBB98_44
; %bb.43:
	v_lshrrev_b32_e32 v1, 2, v0
	v_and_b32_e32 v1, 48, v1
	s_waitcnt lgkmcnt(2)
	ds_write_b8 v1, v6 offset:128
	s_waitcnt lgkmcnt(1)
	ds_write_b64 v1, v[2:3] offset:136
.LBB98_44:
	s_or_b64 exec, exec, s[0:1]
	v_cmp_gt_u32_e32 vcc, 64, v0
	s_waitcnt lgkmcnt(0)
	s_barrier
	s_and_saveexec_b64 s[12:13], vcc
	s_cbranch_execz .LBB98_46
; %bb.45:
	v_and_b32_e32 v1, 3, v4
	v_lshlrev_b32_e32 v2, 4, v1
	ds_read_u8 v5, v2 offset:128
	ds_read_b64 v[2:3], v2 offset:136
	v_cmp_ne_u32_e32 vcc, 3, v1
	v_addc_co_u32_e32 v6, vcc, 0, v4, vcc
	s_waitcnt lgkmcnt(1)
	v_and_b32_e32 v7, 0xff, v5
	v_lshlrev_b32_e32 v8, 2, v6
	ds_bpermute_b32 v9, v8, v7
	s_waitcnt lgkmcnt(1)
	ds_bpermute_b32 v6, v8, v2
	ds_bpermute_b32 v7, v8, v3
	v_and_b32_e32 v8, 1, v5
	s_waitcnt lgkmcnt(2)
	v_and_b32_e32 v10, 1, v9
	v_cmp_eq_u32_e64 s[0:1], 1, v10
	s_waitcnt lgkmcnt(0)
	v_cmp_lt_i64_e32 vcc, v[6:7], v[2:3]
	s_and_b64 vcc, s[0:1], vcc
	v_cndmask_b32_e64 v5, v5, 1, s[0:1]
	v_cndmask_b32_e32 v2, v2, v6, vcc
	v_cndmask_b32_e32 v3, v3, v7, vcc
	v_cmp_eq_u32_e32 vcc, 1, v8
	v_cndmask_b32_e32 v8, v9, v5, vcc
	v_cndmask_b32_e32 v3, v7, v3, vcc
	;; [unrolled: 1-line block ×3, first 2 shown]
	v_cmp_gt_u32_e32 vcc, 2, v1
	v_cndmask_b32_e64 v1, 0, 1, vcc
	v_lshlrev_b32_e32 v1, 1, v1
	v_and_b32_e32 v5, 0xff, v8
	v_add_lshl_u32 v1, v1, v4, 2
	ds_bpermute_b32 v6, v1, v5
	ds_bpermute_b32 v4, v1, v2
	;; [unrolled: 1-line block ×3, first 2 shown]
	v_and_b32_e32 v1, 1, v8
	s_waitcnt lgkmcnt(2)
	v_and_b32_e32 v7, 1, v6
	v_cmp_eq_u32_e64 s[0:1], 1, v7
	s_waitcnt lgkmcnt(0)
	v_cmp_lt_i64_e32 vcc, v[4:5], v[2:3]
	s_and_b64 vcc, s[0:1], vcc
	v_cndmask_b32_e64 v7, v8, 1, s[0:1]
	v_cndmask_b32_e32 v2, v2, v4, vcc
	v_cndmask_b32_e32 v3, v3, v5, vcc
	v_cmp_eq_u32_e32 vcc, 1, v1
	v_cndmask_b32_e32 v1, v6, v7, vcc
	v_cndmask_b32_e32 v3, v5, v3, vcc
	;; [unrolled: 1-line block ×3, first 2 shown]
	v_and_b32_e32 v6, 0xff, v1
.LBB98_46:
	s_or_b64 exec, exec, s[12:13]
	s_branch .LBB98_132
.LBB98_47:
                                        ; implicit-def: $vgpr4_vgpr5
                                        ; implicit-def: $vgpr1
	s_branch .LBB98_214
.LBB98_48:
                                        ; implicit-def: $vgpr2_vgpr3
                                        ; implicit-def: $vgpr6
	s_cbranch_execz .LBB98_93
; %bb.49:
	s_sub_i32 s30, s22, s2
	v_pk_mov_b32 v[14:15], 0, 0
	v_cmp_gt_u32_e32 vcc, s30, v0
	v_mov_b32_e32 v23, 0
	v_pk_mov_b32 v[2:3], v[14:15], v[14:15] op_sel:[0,1]
	v_mov_b32_e32 v18, 0
	s_and_saveexec_b64 s[0:1], vcc
	s_cbranch_execz .LBB98_51
; %bb.50:
	v_lshlrev_b32_e32 v1, 4, v0
	global_load_ubyte v18, v1, s[16:17]
	global_load_dwordx2 v[2:3], v1, s[16:17] offset:8
.LBB98_51:
	s_or_b64 exec, exec, s[0:1]
	v_or_b32_e32 v1, 0x100, v0
	v_cmp_gt_u32_e64 s[14:15], s30, v1
	s_and_saveexec_b64 s[0:1], s[14:15]
	s_cbranch_execz .LBB98_53
; %bb.52:
	v_lshlrev_b32_e32 v1, 4, v1
	global_load_ubyte v23, v1, s[16:17]
	global_load_dwordx2 v[14:15], v1, s[16:17] offset:8
.LBB98_53:
	s_or_b64 exec, exec, s[0:1]
	v_or_b32_e32 v1, 0x200, v0
	v_pk_mov_b32 v[10:11], 0, 0
	v_cmp_gt_u32_e64 s[12:13], s30, v1
	v_mov_b32_e32 v21, 0
	v_pk_mov_b32 v[16:17], v[10:11], v[10:11] op_sel:[0,1]
	v_mov_b32_e32 v24, 0
	s_and_saveexec_b64 s[0:1], s[12:13]
	s_cbranch_execz .LBB98_55
; %bb.54:
	v_lshlrev_b32_e32 v1, 4, v1
	global_load_ubyte v24, v1, s[16:17]
	global_load_dwordx2 v[16:17], v1, s[16:17] offset:8
.LBB98_55:
	s_or_b64 exec, exec, s[0:1]
	v_or_b32_e32 v1, 0x300, v0
	v_cmp_gt_u32_e64 s[10:11], s30, v1
	s_and_saveexec_b64 s[0:1], s[10:11]
	s_cbranch_execz .LBB98_57
; %bb.56:
	v_lshlrev_b32_e32 v1, 4, v1
	global_load_ubyte v21, v1, s[16:17]
	global_load_dwordx2 v[10:11], v1, s[16:17] offset:8
.LBB98_57:
	s_or_b64 exec, exec, s[0:1]
	v_or_b32_e32 v1, 0x400, v0
	v_pk_mov_b32 v[6:7], 0, 0
	v_cmp_gt_u32_e64 s[8:9], s30, v1
	v_mov_b32_e32 v19, 0
	v_pk_mov_b32 v[12:13], v[6:7], v[6:7] op_sel:[0,1]
	v_mov_b32_e32 v22, 0
	s_and_saveexec_b64 s[0:1], s[8:9]
	s_cbranch_execz .LBB98_59
; %bb.58:
	v_lshlrev_b32_e32 v1, 4, v1
	global_load_ubyte v22, v1, s[16:17]
	global_load_dwordx2 v[12:13], v1, s[16:17] offset:8
.LBB98_59:
	s_or_b64 exec, exec, s[0:1]
	v_or_b32_e32 v1, 0x500, v0
	v_cmp_gt_u32_e64 s[2:3], s30, v1
	s_and_saveexec_b64 s[0:1], s[2:3]
	s_cbranch_execz .LBB98_61
; %bb.60:
	v_lshlrev_b32_e32 v1, 4, v1
	global_load_ubyte v19, v1, s[16:17]
	global_load_dwordx2 v[6:7], v1, s[16:17] offset:8
.LBB98_61:
	s_or_b64 exec, exec, s[0:1]
	v_or_b32_e32 v25, 0x600, v0
	v_pk_mov_b32 v[4:5], 0, 0
	v_cmp_gt_u32_e64 s[0:1], s30, v25
	v_mov_b32_e32 v1, 0
	v_mov_b32_e32 v20, 0
	v_pk_mov_b32 v[8:9], v[4:5], v[4:5] op_sel:[0,1]
	s_and_saveexec_b64 s[26:27], s[0:1]
	s_cbranch_execz .LBB98_63
; %bb.62:
	v_lshlrev_b32_e32 v25, 4, v25
	global_load_ubyte v20, v25, s[16:17]
	global_load_dwordx2 v[8:9], v25, s[16:17] offset:8
.LBB98_63:
	s_or_b64 exec, exec, s[26:27]
	v_or_b32_e32 v25, 0x700, v0
	v_cmp_gt_u32_e32 vcc, s30, v25
	s_and_saveexec_b64 s[26:27], vcc
	s_cbranch_execnz .LBB98_246
; %bb.64:
	s_or_b64 exec, exec, s[26:27]
	s_and_saveexec_b64 s[26:27], s[14:15]
	s_cbranch_execnz .LBB98_247
.LBB98_65:
	s_or_b64 exec, exec, s[26:27]
	s_and_saveexec_b64 s[16:17], s[12:13]
	s_cbranch_execnz .LBB98_248
.LBB98_66:
	s_or_b64 exec, exec, s[16:17]
	s_and_saveexec_b64 s[14:15], s[10:11]
	s_cbranch_execnz .LBB98_249
.LBB98_67:
	s_or_b64 exec, exec, s[14:15]
	s_and_saveexec_b64 s[12:13], s[8:9]
	s_cbranch_execnz .LBB98_250
.LBB98_68:
	s_or_b64 exec, exec, s[12:13]
	s_and_saveexec_b64 s[10:11], s[2:3]
	s_cbranch_execnz .LBB98_251
.LBB98_69:
	s_or_b64 exec, exec, s[10:11]
	s_and_saveexec_b64 s[8:9], s[0:1]
	s_cbranch_execnz .LBB98_252
.LBB98_70:
	s_or_b64 exec, exec, s[8:9]
	s_and_saveexec_b64 s[2:3], vcc
	s_cbranch_execz .LBB98_72
.LBB98_71:
	s_waitcnt vmcnt(0)
	v_and_b32_e32 v7, 1, v1
	v_cmp_lt_i64_e32 vcc, v[4:5], v[2:3]
	v_cmp_eq_u32_e64 s[0:1], 1, v7
	v_and_b32_e32 v6, 1, v18
	s_and_b64 vcc, s[0:1], vcc
	v_cndmask_b32_e64 v7, v18, 1, s[0:1]
	v_cndmask_b32_e32 v2, v2, v4, vcc
	v_cndmask_b32_e32 v3, v3, v5, vcc
	v_cmp_eq_u32_e32 vcc, 1, v6
	v_cndmask_b32_e32 v18, v1, v7, vcc
	v_cndmask_b32_e32 v3, v5, v3, vcc
	;; [unrolled: 1-line block ×3, first 2 shown]
.LBB98_72:
	s_or_b64 exec, exec, s[2:3]
	s_waitcnt vmcnt(1)
	v_mbcnt_lo_u32_b32 v1, -1, 0
	v_mbcnt_hi_u32_b32 v1, -1, v1
	s_waitcnt vmcnt(0)
	v_and_b32_e32 v7, 63, v1
	v_cmp_ne_u32_e32 vcc, 63, v7
	v_addc_co_u32_e32 v4, vcc, 0, v1, vcc
	v_and_b32_e32 v6, 0xff, v18
	v_lshlrev_b32_e32 v5, 2, v4
	ds_bpermute_b32 v10, v5, v6
	ds_bpermute_b32 v4, v5, v2
	;; [unrolled: 1-line block ×3, first 2 shown]
	s_min_u32 s8, s30, 0x100
	v_and_b32_e32 v8, 0xc0, v0
	v_sub_u32_e64 v9, s8, v8 clamp
	v_add_u32_e32 v8, 1, v7
	v_cmp_lt_u32_e32 vcc, v8, v9
	v_mov_b32_e32 v8, v6
	s_and_saveexec_b64 s[0:1], vcc
	s_xor_b64 s[2:3], exec, s[0:1]
	s_cbranch_execz .LBB98_74
; %bb.73:
	s_waitcnt lgkmcnt(2)
	v_and_b32_e32 v11, 1, v10
	s_waitcnt lgkmcnt(0)
	v_cmp_lt_i64_e32 vcc, v[4:5], v[2:3]
	v_cmp_eq_u32_e64 s[0:1], 1, v11
	v_and_b32_e32 v8, 1, v18
	s_and_b64 vcc, s[0:1], vcc
	v_cndmask_b32_e64 v6, v6, 1, s[0:1]
	v_cndmask_b32_e32 v2, v2, v4, vcc
	v_cndmask_b32_e32 v3, v3, v5, vcc
	v_cmp_eq_u32_e32 vcc, 1, v8
	v_cndmask_b32_e32 v8, v10, v6, vcc
	v_cndmask_b32_e32 v3, v5, v3, vcc
	v_cndmask_b32_e32 v2, v4, v2, vcc
	v_and_b32_e32 v6, 0xff, v8
.LBB98_74:
	s_or_b64 exec, exec, s[2:3]
	v_cmp_gt_u32_e32 vcc, 62, v7
	s_waitcnt lgkmcnt(1)
	v_cndmask_b32_e64 v4, 0, 1, vcc
	v_lshlrev_b32_e32 v4, 1, v4
	s_waitcnt lgkmcnt(0)
	v_add_lshl_u32 v5, v4, v1, 2
	ds_bpermute_b32 v10, v5, v6
	ds_bpermute_b32 v4, v5, v2
	ds_bpermute_b32 v5, v5, v3
	v_add_u32_e32 v11, 2, v7
	v_cmp_lt_u32_e32 vcc, v11, v9
	s_and_saveexec_b64 s[2:3], vcc
	s_cbranch_execz .LBB98_76
; %bb.75:
	s_waitcnt lgkmcnt(2)
	v_and_b32_e32 v11, 1, v10
	s_waitcnt lgkmcnt(0)
	v_cmp_lt_i64_e32 vcc, v[4:5], v[2:3]
	v_cmp_eq_u32_e64 s[0:1], 1, v11
	v_and_b32_e32 v6, 1, v8
	s_and_b64 vcc, s[0:1], vcc
	v_cndmask_b32_e64 v8, v8, 1, s[0:1]
	v_cndmask_b32_e32 v2, v2, v4, vcc
	v_cndmask_b32_e32 v3, v3, v5, vcc
	v_cmp_eq_u32_e32 vcc, 1, v6
	v_cndmask_b32_e32 v8, v10, v8, vcc
	v_cndmask_b32_e32 v3, v5, v3, vcc
	v_cndmask_b32_e32 v2, v4, v2, vcc
	v_and_b32_e32 v6, 0xff, v8
.LBB98_76:
	s_or_b64 exec, exec, s[2:3]
	v_cmp_gt_u32_e32 vcc, 60, v7
	s_waitcnt lgkmcnt(1)
	v_cndmask_b32_e64 v4, 0, 1, vcc
	v_lshlrev_b32_e32 v4, 2, v4
	s_waitcnt lgkmcnt(0)
	v_add_lshl_u32 v5, v4, v1, 2
	ds_bpermute_b32 v10, v5, v6
	ds_bpermute_b32 v4, v5, v2
	ds_bpermute_b32 v5, v5, v3
	v_add_u32_e32 v11, 4, v7
	v_cmp_lt_u32_e32 vcc, v11, v9
	s_and_saveexec_b64 s[2:3], vcc
	;; [unrolled: 31-line block ×5, first 2 shown]
	s_cbranch_execz .LBB98_84
; %bb.83:
	s_waitcnt lgkmcnt(2)
	v_and_b32_e32 v7, 1, v10
	s_waitcnt lgkmcnt(0)
	v_cmp_lt_i64_e32 vcc, v[4:5], v[2:3]
	v_cmp_eq_u32_e64 s[0:1], 1, v7
	v_and_b32_e32 v6, 1, v8
	s_and_b64 vcc, s[0:1], vcc
	v_cndmask_b32_e64 v7, v8, 1, s[0:1]
	v_cndmask_b32_e32 v2, v2, v4, vcc
	v_cndmask_b32_e32 v3, v3, v5, vcc
	v_cmp_eq_u32_e32 vcc, 1, v6
	v_cndmask_b32_e32 v8, v10, v7, vcc
	v_cndmask_b32_e32 v3, v5, v3, vcc
	;; [unrolled: 1-line block ×3, first 2 shown]
	v_and_b32_e32 v6, 0xff, v8
.LBB98_84:
	s_or_b64 exec, exec, s[2:3]
	v_cmp_eq_u32_e32 vcc, 0, v1
	s_and_saveexec_b64 s[0:1], vcc
	s_cbranch_execz .LBB98_86
; %bb.85:
	s_waitcnt lgkmcnt(1)
	v_lshrrev_b32_e32 v4, 2, v0
	v_and_b32_e32 v4, 48, v4
	ds_write_b8 v4, v8 offset:256
	ds_write_b64 v4, v[2:3] offset:264
.LBB98_86:
	s_or_b64 exec, exec, s[0:1]
	v_cmp_gt_u32_e32 vcc, 4, v0
	s_waitcnt lgkmcnt(0)
	s_barrier
	s_and_saveexec_b64 s[2:3], vcc
	s_cbranch_execz .LBB98_92
; %bb.87:
	v_lshlrev_b32_e32 v2, 4, v1
	ds_read_u8 v7, v2 offset:256
	ds_read_b64 v[2:3], v2 offset:264
	v_and_b32_e32 v8, 3, v1
	v_cmp_ne_u32_e32 vcc, 3, v8
	v_addc_co_u32_e32 v4, vcc, 0, v1, vcc
	s_waitcnt lgkmcnt(1)
	v_and_b32_e32 v6, 0xff, v7
	v_lshlrev_b32_e32 v5, 2, v4
	ds_bpermute_b32 v9, v5, v6
	s_waitcnt lgkmcnt(1)
	ds_bpermute_b32 v4, v5, v2
	ds_bpermute_b32 v5, v5, v3
	s_add_i32 s8, s8, 63
	s_lshr_b32 s10, s8, 6
	v_add_u32_e32 v10, 1, v8
	v_cmp_gt_u32_e32 vcc, s10, v10
	s_and_saveexec_b64 s[8:9], vcc
	s_cbranch_execz .LBB98_89
; %bb.88:
	s_waitcnt lgkmcnt(2)
	v_and_b32_e32 v10, 1, v9
	s_waitcnt lgkmcnt(0)
	v_cmp_lt_i64_e32 vcc, v[4:5], v[2:3]
	v_cmp_eq_u32_e64 s[0:1], 1, v10
	v_and_b32_e32 v6, 1, v7
	s_and_b64 vcc, s[0:1], vcc
	v_cndmask_b32_e64 v7, v7, 1, s[0:1]
	v_cndmask_b32_e32 v2, v2, v4, vcc
	v_cndmask_b32_e32 v3, v3, v5, vcc
	v_cmp_eq_u32_e32 vcc, 1, v6
	v_cndmask_b32_e32 v7, v9, v7, vcc
	v_cndmask_b32_e32 v3, v5, v3, vcc
	;; [unrolled: 1-line block ×3, first 2 shown]
	v_and_b32_e32 v6, 0xff, v7
.LBB98_89:
	s_or_b64 exec, exec, s[8:9]
	v_cmp_gt_u32_e32 vcc, 2, v8
	s_waitcnt lgkmcnt(1)
	v_cndmask_b32_e64 v4, 0, 1, vcc
	v_lshlrev_b32_e32 v4, 1, v4
	s_waitcnt lgkmcnt(0)
	v_add_lshl_u32 v5, v4, v1, 2
	ds_bpermute_b32 v1, v5, v6
	ds_bpermute_b32 v4, v5, v2
	;; [unrolled: 1-line block ×3, first 2 shown]
	v_add_u32_e32 v8, 2, v8
	v_cmp_gt_u32_e32 vcc, s10, v8
	s_and_saveexec_b64 s[8:9], vcc
	s_cbranch_execz .LBB98_91
; %bb.90:
	s_waitcnt lgkmcnt(2)
	v_and_b32_e32 v8, 1, v1
	s_waitcnt lgkmcnt(0)
	v_cmp_lt_i64_e32 vcc, v[4:5], v[2:3]
	v_cmp_eq_u32_e64 s[0:1], 1, v8
	v_and_b32_e32 v6, 1, v7
	s_and_b64 vcc, s[0:1], vcc
	v_cndmask_b32_e64 v7, v7, 1, s[0:1]
	v_cndmask_b32_e32 v2, v2, v4, vcc
	v_cndmask_b32_e32 v3, v3, v5, vcc
	v_cmp_eq_u32_e32 vcc, 1, v6
	v_cndmask_b32_e32 v1, v1, v7, vcc
	v_cndmask_b32_e32 v3, v5, v3, vcc
	;; [unrolled: 1-line block ×3, first 2 shown]
	v_and_b32_e32 v6, 0xff, v1
.LBB98_91:
	s_or_b64 exec, exec, s[8:9]
.LBB98_92:
	s_or_b64 exec, exec, s[2:3]
.LBB98_93:
	v_cmp_eq_u32_e32 vcc, 0, v0
	s_mov_b64 s[10:11], 0
                                        ; implicit-def: $vgpr4_vgpr5
                                        ; implicit-def: $vgpr1
	s_and_saveexec_b64 s[0:1], vcc
	s_xor_b64 s[8:9], exec, s[0:1]
	s_cbranch_execz .LBB98_97
; %bb.94:
	s_cmp_eq_u64 s[22:23], 0
	s_waitcnt lgkmcnt(0)
	v_pk_mov_b32 v[4:5], s[18:19], s[18:19] op_sel:[0,1]
	v_mov_b32_e32 v1, s28
	s_cbranch_scc1 .LBB98_96
; %bb.95:
	v_and_b32_e32 v1, 1, v6
	s_bitcmp1_b32 s28, 0
	v_mov_b32_e32 v4, s28
	v_cmp_eq_u32_e32 vcc, 1, v1
	v_cmp_gt_i64_e64 s[2:3], s[18:19], v[2:3]
	v_cndmask_b32_e64 v1, v4, 1, vcc
	s_cselect_b64 s[0:1], -1, 0
	v_mov_b32_e32 v4, s18
	s_and_b64 vcc, vcc, s[2:3]
	v_mov_b32_e32 v5, s19
	v_cndmask_b32_e32 v4, v4, v2, vcc
	v_cndmask_b32_e32 v5, v5, v3, vcc
	v_cndmask_b32_e64 v1, v6, v1, s[0:1]
	v_cndmask_b32_e64 v5, v3, v5, s[0:1]
	;; [unrolled: 1-line block ×3, first 2 shown]
.LBB98_96:
	s_mov_b64 s[10:11], exec
.LBB98_97:
	s_or_b64 exec, exec, s[8:9]
	s_and_b64 vcc, exec, s[24:25]
	s_cbranch_vccnz .LBB98_26
.LBB98_98:
	s_branch .LBB98_214
.LBB98_99:
                                        ; implicit-def: $vgpr2_vgpr3
                                        ; implicit-def: $vgpr6
	s_cbranch_execz .LBB98_132
; %bb.100:
	s_sub_i32 s14, s22, s2
	v_pk_mov_b32 v[6:7], 0, 0
	v_cmp_gt_u32_e32 vcc, s14, v0
	v_mov_b32_e32 v11, 0
	v_pk_mov_b32 v[2:3], v[6:7], v[6:7] op_sel:[0,1]
	v_mov_b32_e32 v10, 0
	s_and_saveexec_b64 s[0:1], vcc
	s_cbranch_execz .LBB98_102
; %bb.101:
	s_waitcnt lgkmcnt(2)
	v_lshlrev_b32_e32 v1, 4, v0
	global_load_ubyte v10, v1, s[8:9]
	global_load_dwordx2 v[2:3], v1, s[8:9] offset:8
.LBB98_102:
	s_or_b64 exec, exec, s[0:1]
	s_waitcnt lgkmcnt(2)
	v_or_b32_e32 v1, 0x100, v0
	v_cmp_gt_u32_e64 s[2:3], s14, v1
	s_and_saveexec_b64 s[0:1], s[2:3]
	s_cbranch_execz .LBB98_104
; %bb.103:
	v_lshlrev_b32_e32 v1, 4, v1
	global_load_ubyte v11, v1, s[8:9]
	global_load_dwordx2 v[6:7], v1, s[8:9] offset:8
.LBB98_104:
	s_or_b64 exec, exec, s[0:1]
	v_or_b32_e32 v13, 0x200, v0
	s_waitcnt lgkmcnt(0)
	v_pk_mov_b32 v[4:5], 0, 0
	v_cmp_gt_u32_e64 s[0:1], s14, v13
	v_mov_b32_e32 v1, 0
	v_pk_mov_b32 v[8:9], v[4:5], v[4:5] op_sel:[0,1]
	v_mov_b32_e32 v12, 0
	s_and_saveexec_b64 s[12:13], s[0:1]
	s_cbranch_execz .LBB98_106
; %bb.105:
	v_lshlrev_b32_e32 v13, 4, v13
	global_load_ubyte v12, v13, s[8:9]
	global_load_dwordx2 v[8:9], v13, s[8:9] offset:8
.LBB98_106:
	s_or_b64 exec, exec, s[12:13]
	v_or_b32_e32 v13, 0x300, v0
	v_cmp_gt_u32_e32 vcc, s14, v13
	s_and_saveexec_b64 s[12:13], vcc
	s_cbranch_execnz .LBB98_253
; %bb.107:
	s_or_b64 exec, exec, s[12:13]
	s_and_saveexec_b64 s[12:13], s[2:3]
	s_cbranch_execnz .LBB98_254
.LBB98_108:
	s_or_b64 exec, exec, s[12:13]
	s_and_saveexec_b64 s[8:9], s[0:1]
	s_cbranch_execnz .LBB98_255
.LBB98_109:
	s_or_b64 exec, exec, s[8:9]
	s_and_saveexec_b64 s[2:3], vcc
	s_cbranch_execz .LBB98_111
.LBB98_110:
	s_waitcnt vmcnt(0)
	v_and_b32_e32 v7, 1, v1
	v_cmp_lt_i64_e32 vcc, v[4:5], v[2:3]
	v_cmp_eq_u32_e64 s[0:1], 1, v7
	v_and_b32_e32 v6, 1, v10
	s_and_b64 vcc, s[0:1], vcc
	v_cndmask_b32_e64 v7, v10, 1, s[0:1]
	v_cndmask_b32_e32 v2, v2, v4, vcc
	v_cndmask_b32_e32 v3, v3, v5, vcc
	v_cmp_eq_u32_e32 vcc, 1, v6
	v_cndmask_b32_e32 v10, v1, v7, vcc
	v_cndmask_b32_e32 v3, v5, v3, vcc
	;; [unrolled: 1-line block ×3, first 2 shown]
.LBB98_111:
	s_or_b64 exec, exec, s[2:3]
	s_waitcnt vmcnt(1)
	v_mbcnt_lo_u32_b32 v1, -1, 0
	v_mbcnt_hi_u32_b32 v1, -1, v1
	s_waitcnt vmcnt(0)
	v_and_b32_e32 v7, 63, v1
	v_cmp_ne_u32_e32 vcc, 63, v7
	v_addc_co_u32_e32 v4, vcc, 0, v1, vcc
	v_and_b32_e32 v6, 0xff, v10
	v_lshlrev_b32_e32 v5, 2, v4
	ds_bpermute_b32 v11, v5, v6
	ds_bpermute_b32 v4, v5, v2
	;; [unrolled: 1-line block ×3, first 2 shown]
	s_min_u32 s8, s14, 0x100
	v_and_b32_e32 v8, 0xc0, v0
	v_sub_u32_e64 v9, s8, v8 clamp
	v_add_u32_e32 v8, 1, v7
	v_cmp_lt_u32_e32 vcc, v8, v9
	v_mov_b32_e32 v8, v6
	s_and_saveexec_b64 s[0:1], vcc
	s_xor_b64 s[2:3], exec, s[0:1]
	s_cbranch_execz .LBB98_113
; %bb.112:
	v_and_b32_e32 v8, 1, v10
	s_waitcnt lgkmcnt(2)
	v_and_b32_e32 v10, 1, v11
	s_waitcnt lgkmcnt(0)
	v_cmp_lt_i64_e32 vcc, v[4:5], v[2:3]
	v_cmp_eq_u32_e64 s[0:1], 1, v10
	s_and_b64 vcc, s[0:1], vcc
	v_cndmask_b32_e64 v6, v6, 1, s[0:1]
	v_cndmask_b32_e32 v2, v2, v4, vcc
	v_cndmask_b32_e32 v3, v3, v5, vcc
	v_cmp_eq_u32_e32 vcc, 1, v8
	v_cndmask_b32_e32 v8, v11, v6, vcc
	v_cndmask_b32_e32 v3, v5, v3, vcc
	;; [unrolled: 1-line block ×3, first 2 shown]
	v_and_b32_e32 v6, 0xff, v8
.LBB98_113:
	s_or_b64 exec, exec, s[2:3]
	v_cmp_gt_u32_e32 vcc, 62, v7
	s_waitcnt lgkmcnt(1)
	v_cndmask_b32_e64 v4, 0, 1, vcc
	v_lshlrev_b32_e32 v4, 1, v4
	s_waitcnt lgkmcnt(0)
	v_add_lshl_u32 v5, v4, v1, 2
	ds_bpermute_b32 v10, v5, v6
	ds_bpermute_b32 v4, v5, v2
	ds_bpermute_b32 v5, v5, v3
	v_add_u32_e32 v11, 2, v7
	v_cmp_lt_u32_e32 vcc, v11, v9
	s_and_saveexec_b64 s[2:3], vcc
	s_cbranch_execz .LBB98_115
; %bb.114:
	s_waitcnt lgkmcnt(2)
	v_and_b32_e32 v11, 1, v10
	s_waitcnt lgkmcnt(0)
	v_cmp_lt_i64_e32 vcc, v[4:5], v[2:3]
	v_cmp_eq_u32_e64 s[0:1], 1, v11
	v_and_b32_e32 v6, 1, v8
	s_and_b64 vcc, s[0:1], vcc
	v_cndmask_b32_e64 v8, v8, 1, s[0:1]
	v_cndmask_b32_e32 v2, v2, v4, vcc
	v_cndmask_b32_e32 v3, v3, v5, vcc
	v_cmp_eq_u32_e32 vcc, 1, v6
	v_cndmask_b32_e32 v8, v10, v8, vcc
	v_cndmask_b32_e32 v3, v5, v3, vcc
	v_cndmask_b32_e32 v2, v4, v2, vcc
	v_and_b32_e32 v6, 0xff, v8
.LBB98_115:
	s_or_b64 exec, exec, s[2:3]
	v_cmp_gt_u32_e32 vcc, 60, v7
	s_waitcnt lgkmcnt(1)
	v_cndmask_b32_e64 v4, 0, 1, vcc
	v_lshlrev_b32_e32 v4, 2, v4
	s_waitcnt lgkmcnt(0)
	v_add_lshl_u32 v5, v4, v1, 2
	ds_bpermute_b32 v10, v5, v6
	ds_bpermute_b32 v4, v5, v2
	ds_bpermute_b32 v5, v5, v3
	v_add_u32_e32 v11, 4, v7
	v_cmp_lt_u32_e32 vcc, v11, v9
	s_and_saveexec_b64 s[2:3], vcc
	s_cbranch_execz .LBB98_117
; %bb.116:
	s_waitcnt lgkmcnt(2)
	v_and_b32_e32 v11, 1, v10
	s_waitcnt lgkmcnt(0)
	v_cmp_lt_i64_e32 vcc, v[4:5], v[2:3]
	v_cmp_eq_u32_e64 s[0:1], 1, v11
	v_and_b32_e32 v6, 1, v8
	s_and_b64 vcc, s[0:1], vcc
	v_cndmask_b32_e64 v8, v8, 1, s[0:1]
	v_cndmask_b32_e32 v2, v2, v4, vcc
	v_cndmask_b32_e32 v3, v3, v5, vcc
	v_cmp_eq_u32_e32 vcc, 1, v6
	v_cndmask_b32_e32 v8, v10, v8, vcc
	v_cndmask_b32_e32 v3, v5, v3, vcc
	v_cndmask_b32_e32 v2, v4, v2, vcc
	v_and_b32_e32 v6, 0xff, v8
.LBB98_117:
	;; [unrolled: 31-line block ×5, first 2 shown]
	s_or_b64 exec, exec, s[2:3]
	v_cmp_eq_u32_e32 vcc, 0, v1
	s_and_saveexec_b64 s[0:1], vcc
	s_cbranch_execz .LBB98_125
; %bb.124:
	s_waitcnt lgkmcnt(1)
	v_lshrrev_b32_e32 v4, 2, v0
	v_and_b32_e32 v4, 48, v4
	ds_write_b8 v4, v8 offset:256
	ds_write_b64 v4, v[2:3] offset:264
.LBB98_125:
	s_or_b64 exec, exec, s[0:1]
	v_cmp_gt_u32_e32 vcc, 4, v0
	s_waitcnt lgkmcnt(0)
	s_barrier
	s_and_saveexec_b64 s[2:3], vcc
	s_cbranch_execz .LBB98_131
; %bb.126:
	v_lshlrev_b32_e32 v2, 4, v1
	ds_read_u8 v7, v2 offset:256
	ds_read_b64 v[2:3], v2 offset:264
	v_and_b32_e32 v8, 3, v1
	v_cmp_ne_u32_e32 vcc, 3, v8
	v_addc_co_u32_e32 v4, vcc, 0, v1, vcc
	s_waitcnt lgkmcnt(1)
	v_and_b32_e32 v6, 0xff, v7
	v_lshlrev_b32_e32 v5, 2, v4
	ds_bpermute_b32 v9, v5, v6
	s_waitcnt lgkmcnt(1)
	ds_bpermute_b32 v4, v5, v2
	ds_bpermute_b32 v5, v5, v3
	s_add_i32 s8, s8, 63
	s_lshr_b32 s12, s8, 6
	v_add_u32_e32 v10, 1, v8
	v_cmp_gt_u32_e32 vcc, s12, v10
	s_and_saveexec_b64 s[8:9], vcc
	s_cbranch_execz .LBB98_128
; %bb.127:
	s_waitcnt lgkmcnt(2)
	v_and_b32_e32 v10, 1, v9
	s_waitcnt lgkmcnt(0)
	v_cmp_lt_i64_e32 vcc, v[4:5], v[2:3]
	v_cmp_eq_u32_e64 s[0:1], 1, v10
	v_and_b32_e32 v6, 1, v7
	s_and_b64 vcc, s[0:1], vcc
	v_cndmask_b32_e64 v7, v7, 1, s[0:1]
	v_cndmask_b32_e32 v2, v2, v4, vcc
	v_cndmask_b32_e32 v3, v3, v5, vcc
	v_cmp_eq_u32_e32 vcc, 1, v6
	v_cndmask_b32_e32 v7, v9, v7, vcc
	v_cndmask_b32_e32 v3, v5, v3, vcc
	;; [unrolled: 1-line block ×3, first 2 shown]
	v_and_b32_e32 v6, 0xff, v7
.LBB98_128:
	s_or_b64 exec, exec, s[8:9]
	v_cmp_gt_u32_e32 vcc, 2, v8
	s_waitcnt lgkmcnt(1)
	v_cndmask_b32_e64 v4, 0, 1, vcc
	v_lshlrev_b32_e32 v4, 1, v4
	s_waitcnt lgkmcnt(0)
	v_add_lshl_u32 v5, v4, v1, 2
	ds_bpermute_b32 v1, v5, v6
	ds_bpermute_b32 v4, v5, v2
	;; [unrolled: 1-line block ×3, first 2 shown]
	v_add_u32_e32 v8, 2, v8
	v_cmp_gt_u32_e32 vcc, s12, v8
	s_and_saveexec_b64 s[8:9], vcc
	s_cbranch_execz .LBB98_130
; %bb.129:
	s_waitcnt lgkmcnt(2)
	v_and_b32_e32 v8, 1, v1
	s_waitcnt lgkmcnt(0)
	v_cmp_lt_i64_e32 vcc, v[4:5], v[2:3]
	v_cmp_eq_u32_e64 s[0:1], 1, v8
	v_and_b32_e32 v6, 1, v7
	s_and_b64 vcc, s[0:1], vcc
	v_cndmask_b32_e64 v7, v7, 1, s[0:1]
	v_cndmask_b32_e32 v2, v2, v4, vcc
	v_cndmask_b32_e32 v3, v3, v5, vcc
	v_cmp_eq_u32_e32 vcc, 1, v6
	v_cndmask_b32_e32 v1, v1, v7, vcc
	v_cndmask_b32_e32 v3, v5, v3, vcc
	;; [unrolled: 1-line block ×3, first 2 shown]
	v_and_b32_e32 v6, 0xff, v1
.LBB98_130:
	s_or_b64 exec, exec, s[8:9]
.LBB98_131:
	s_or_b64 exec, exec, s[2:3]
.LBB98_132:
	v_cmp_eq_u32_e32 vcc, 0, v0
                                        ; implicit-def: $vgpr4_vgpr5
                                        ; implicit-def: $vgpr1
	s_and_saveexec_b64 s[0:1], vcc
	s_xor_b64 s[8:9], exec, s[0:1]
	s_cbranch_execz .LBB98_136
; %bb.133:
	s_cmp_eq_u64 s[22:23], 0
	s_waitcnt lgkmcnt(0)
	v_pk_mov_b32 v[4:5], s[18:19], s[18:19] op_sel:[0,1]
	v_mov_b32_e32 v1, s28
	s_cbranch_scc1 .LBB98_135
; %bb.134:
	v_and_b32_e32 v1, 1, v6
	s_bitcmp1_b32 s28, 0
	v_mov_b32_e32 v4, s28
	v_cmp_eq_u32_e32 vcc, 1, v1
	v_cmp_gt_i64_e64 s[2:3], s[18:19], v[2:3]
	v_cndmask_b32_e64 v1, v4, 1, vcc
	s_cselect_b64 s[0:1], -1, 0
	v_mov_b32_e32 v4, s18
	s_and_b64 vcc, vcc, s[2:3]
	v_mov_b32_e32 v5, s19
	v_cndmask_b32_e32 v4, v4, v2, vcc
	v_cndmask_b32_e32 v5, v5, v3, vcc
	v_cndmask_b32_e64 v1, v6, v1, s[0:1]
	v_cndmask_b32_e64 v5, v3, v5, s[0:1]
	;; [unrolled: 1-line block ×3, first 2 shown]
.LBB98_135:
	s_or_b64 s[10:11], s[10:11], exec
.LBB98_136:
	s_or_b64 exec, exec, s[8:9]
	s_branch .LBB98_214
.LBB98_137:
	s_cmp_gt_i32 s29, 1
	s_cbranch_scc0 .LBB98_159
; %bb.138:
	s_cmp_eq_u32 s29, 2
	s_cbranch_scc0 .LBB98_160
; %bb.139:
	s_mov_b32 s7, 0
	s_lshl_b32 s8, s6, 9
	s_mov_b32 s9, s7
	s_lshr_b64 s[0:1], s[22:23], 9
	s_lshl_b64 s[2:3], s[8:9], 4
	s_add_u32 s2, s20, s2
	s_addc_u32 s3, s21, s3
	s_cmp_lg_u64 s[0:1], s[6:7]
	s_cbranch_scc0 .LBB98_161
; %bb.140:
	v_lshlrev_b32_e32 v7, 4, v0
	s_waitcnt lgkmcnt(2)
	v_mov_b32_e32 v1, s3
	s_waitcnt lgkmcnt(1)
	v_add_co_u32_e32 v4, vcc, s2, v7
	s_waitcnt lgkmcnt(0)
	v_addc_co_u32_e32 v5, vcc, 0, v1, vcc
	v_add_co_u32_e32 v8, vcc, 0x1000, v4
	v_addc_co_u32_e32 v9, vcc, 0, v5, vcc
	global_load_ubyte v1, v7, s[2:3]
	global_load_ubyte v6, v[8:9], off
	global_load_dwordx2 v[2:3], v[8:9], off offset:8
	s_waitcnt vmcnt(2)
	v_and_b32_e32 v7, 1, v1
	v_cmp_eq_u32_e32 vcc, 1, v7
	s_and_saveexec_b64 s[12:13], vcc
	s_cbranch_execz .LBB98_142
; %bb.141:
	global_load_dwordx2 v[4:5], v[4:5], off offset:8
	s_waitcnt vmcnt(2)
	v_and_b32_e32 v6, 1, v6
	v_cmp_eq_u32_e32 vcc, 1, v6
	v_cndmask_b32_e64 v6, v1, 1, vcc
	s_waitcnt vmcnt(0)
	v_cmp_lt_i64_e64 s[0:1], v[2:3], v[4:5]
	v_cndmask_b32_e64 v1, v5, v3, s[0:1]
	v_cndmask_b32_e32 v3, v5, v1, vcc
	s_and_b64 vcc, vcc, s[0:1]
	v_cndmask_b32_e32 v2, v4, v2, vcc
.LBB98_142:
	s_or_b64 exec, exec, s[12:13]
	s_waitcnt vmcnt(1)
	v_and_b32_e32 v1, 0xff, v6
	v_and_b32_e32 v6, 1, v6
	s_waitcnt vmcnt(0)
	v_mov_b32_dpp v4, v2 quad_perm:[1,0,3,2] row_mask:0xf bank_mask:0xf bound_ctrl:1
	v_mov_b32_dpp v7, v1 quad_perm:[1,0,3,2] row_mask:0xf bank_mask:0xf bound_ctrl:1
	v_and_b32_e32 v8, 1, v7
	v_mov_b32_dpp v5, v3 quad_perm:[1,0,3,2] row_mask:0xf bank_mask:0xf bound_ctrl:1
	v_cmp_eq_u32_e32 vcc, 1, v8
	v_cmp_eq_u32_e64 s[0:1], 1, v6
	s_and_saveexec_b64 s[12:13], vcc
; %bb.143:
	v_cmp_lt_i64_e32 vcc, v[2:3], v[4:5]
	v_cndmask_b32_e64 v6, v7, 1, s[0:1]
	s_and_b64 vcc, s[0:1], vcc
	v_cndmask_b32_e32 v2, v4, v2, vcc
	v_and_b32_e32 v4, 1, v6
	v_cndmask_b32_e32 v3, v5, v3, vcc
	v_cmp_eq_u32_e32 vcc, 1, v4
	s_andn2_b64 s[0:1], s[0:1], exec
	s_and_b64 s[14:15], vcc, exec
	v_and_b32_e32 v1, 0xff, v6
	s_or_b64 s[0:1], s[0:1], s[14:15]
; %bb.144:
	s_or_b64 exec, exec, s[12:13]
	v_mov_b32_dpp v6, v1 quad_perm:[2,3,0,1] row_mask:0xf bank_mask:0xf bound_ctrl:1
	v_and_b32_e32 v7, 1, v6
	v_mov_b32_dpp v4, v2 quad_perm:[2,3,0,1] row_mask:0xf bank_mask:0xf bound_ctrl:1
	v_mov_b32_dpp v5, v3 quad_perm:[2,3,0,1] row_mask:0xf bank_mask:0xf bound_ctrl:1
	v_cmp_eq_u32_e32 vcc, 1, v7
	s_and_saveexec_b64 s[12:13], vcc
; %bb.145:
	v_cmp_lt_i64_e32 vcc, v[2:3], v[4:5]
	v_cndmask_b32_e64 v6, v6, 1, s[0:1]
	s_and_b64 vcc, s[0:1], vcc
	v_cndmask_b32_e32 v2, v4, v2, vcc
	v_and_b32_e32 v4, 1, v6
	v_cndmask_b32_e32 v3, v5, v3, vcc
	v_cmp_eq_u32_e32 vcc, 1, v4
	s_andn2_b64 s[0:1], s[0:1], exec
	s_and_b64 s[14:15], vcc, exec
	v_and_b32_e32 v1, 0xff, v6
	s_or_b64 s[0:1], s[0:1], s[14:15]
; %bb.146:
	s_or_b64 exec, exec, s[12:13]
	v_mov_b32_dpp v6, v1 row_ror:4 row_mask:0xf bank_mask:0xf bound_ctrl:1
	v_and_b32_e32 v7, 1, v6
	v_mov_b32_dpp v4, v2 row_ror:4 row_mask:0xf bank_mask:0xf bound_ctrl:1
	v_mov_b32_dpp v5, v3 row_ror:4 row_mask:0xf bank_mask:0xf bound_ctrl:1
	v_cmp_eq_u32_e32 vcc, 1, v7
	s_and_saveexec_b64 s[12:13], vcc
; %bb.147:
	v_cmp_lt_i64_e32 vcc, v[2:3], v[4:5]
	v_cndmask_b32_e64 v6, v6, 1, s[0:1]
	s_and_b64 vcc, s[0:1], vcc
	v_cndmask_b32_e32 v2, v4, v2, vcc
	v_and_b32_e32 v4, 1, v6
	v_cndmask_b32_e32 v3, v5, v3, vcc
	v_cmp_eq_u32_e32 vcc, 1, v4
	s_andn2_b64 s[0:1], s[0:1], exec
	s_and_b64 s[14:15], vcc, exec
	v_and_b32_e32 v1, 0xff, v6
	s_or_b64 s[0:1], s[0:1], s[14:15]
; %bb.148:
	s_or_b64 exec, exec, s[12:13]
	v_mov_b32_dpp v6, v1 row_ror:8 row_mask:0xf bank_mask:0xf bound_ctrl:1
	v_and_b32_e32 v7, 1, v6
	v_mov_b32_dpp v4, v2 row_ror:8 row_mask:0xf bank_mask:0xf bound_ctrl:1
	v_mov_b32_dpp v5, v3 row_ror:8 row_mask:0xf bank_mask:0xf bound_ctrl:1
	v_cmp_eq_u32_e32 vcc, 1, v7
	s_and_saveexec_b64 s[12:13], vcc
; %bb.149:
	v_cmp_lt_i64_e32 vcc, v[2:3], v[4:5]
	v_cndmask_b32_e64 v6, v6, 1, s[0:1]
	s_and_b64 vcc, s[0:1], vcc
	v_cndmask_b32_e32 v2, v4, v2, vcc
	v_and_b32_e32 v4, 1, v6
	v_cndmask_b32_e32 v3, v5, v3, vcc
	v_cmp_eq_u32_e32 vcc, 1, v4
	s_andn2_b64 s[0:1], s[0:1], exec
	s_and_b64 s[14:15], vcc, exec
	v_and_b32_e32 v1, 0xff, v6
	s_or_b64 s[0:1], s[0:1], s[14:15]
; %bb.150:
	s_or_b64 exec, exec, s[12:13]
	v_mov_b32_dpp v6, v1 row_bcast:15 row_mask:0xf bank_mask:0xf bound_ctrl:1
	v_and_b32_e32 v7, 1, v6
	v_mov_b32_dpp v4, v2 row_bcast:15 row_mask:0xf bank_mask:0xf bound_ctrl:1
	v_mov_b32_dpp v5, v3 row_bcast:15 row_mask:0xf bank_mask:0xf bound_ctrl:1
	v_cmp_eq_u32_e32 vcc, 1, v7
	s_and_saveexec_b64 s[12:13], vcc
; %bb.151:
	v_cmp_lt_i64_e32 vcc, v[2:3], v[4:5]
	v_cndmask_b32_e64 v6, v6, 1, s[0:1]
	s_and_b64 vcc, s[0:1], vcc
	v_cndmask_b32_e32 v2, v4, v2, vcc
	v_and_b32_e32 v4, 1, v6
	v_cndmask_b32_e32 v3, v5, v3, vcc
	v_cmp_eq_u32_e32 vcc, 1, v4
	s_andn2_b64 s[0:1], s[0:1], exec
	s_and_b64 s[14:15], vcc, exec
	v_and_b32_e32 v1, 0xff, v6
	s_or_b64 s[0:1], s[0:1], s[14:15]
; %bb.152:
	s_or_b64 exec, exec, s[12:13]
	v_mov_b32_dpp v6, v1 row_bcast:31 row_mask:0xf bank_mask:0xf bound_ctrl:1
	v_and_b32_e32 v7, 1, v6
	v_mov_b32_dpp v4, v2 row_bcast:31 row_mask:0xf bank_mask:0xf bound_ctrl:1
	v_mov_b32_dpp v5, v3 row_bcast:31 row_mask:0xf bank_mask:0xf bound_ctrl:1
	v_cmp_eq_u32_e32 vcc, 1, v7
	s_and_saveexec_b64 s[12:13], vcc
; %bb.153:
	v_cmp_lt_i64_e32 vcc, v[2:3], v[4:5]
	v_and_b32_e32 v1, 0xff, v6
	s_and_b64 vcc, s[0:1], vcc
	v_cndmask_b32_e32 v2, v4, v2, vcc
	v_cndmask_b32_e32 v3, v5, v3, vcc
	v_cndmask_b32_e64 v1, v1, 1, s[0:1]
; %bb.154:
	s_or_b64 exec, exec, s[12:13]
	v_mbcnt_lo_u32_b32 v4, -1, 0
	v_mbcnt_hi_u32_b32 v4, -1, v4
	v_bfrev_b32_e32 v5, 0.5
	v_lshl_or_b32 v5, v4, 2, v5
	ds_bpermute_b32 v6, v5, v1
	ds_bpermute_b32 v2, v5, v2
	;; [unrolled: 1-line block ×3, first 2 shown]
	v_cmp_eq_u32_e32 vcc, 0, v4
	s_and_saveexec_b64 s[0:1], vcc
	s_cbranch_execz .LBB98_156
; %bb.155:
	v_lshrrev_b32_e32 v1, 2, v0
	v_and_b32_e32 v1, 48, v1
	s_waitcnt lgkmcnt(2)
	ds_write_b8 v1, v6 offset:64
	s_waitcnt lgkmcnt(1)
	ds_write_b64 v1, v[2:3] offset:72
.LBB98_156:
	s_or_b64 exec, exec, s[0:1]
	v_cmp_gt_u32_e32 vcc, 64, v0
	s_waitcnt lgkmcnt(0)
	s_barrier
	s_and_saveexec_b64 s[12:13], vcc
	s_cbranch_execz .LBB98_158
; %bb.157:
	v_and_b32_e32 v1, 3, v4
	v_lshlrev_b32_e32 v2, 4, v1
	ds_read_u8 v5, v2 offset:64
	ds_read_b64 v[2:3], v2 offset:72
	v_cmp_ne_u32_e32 vcc, 3, v1
	v_addc_co_u32_e32 v6, vcc, 0, v4, vcc
	s_waitcnt lgkmcnt(1)
	v_and_b32_e32 v7, 0xff, v5
	v_lshlrev_b32_e32 v8, 2, v6
	ds_bpermute_b32 v9, v8, v7
	s_waitcnt lgkmcnt(1)
	ds_bpermute_b32 v6, v8, v2
	ds_bpermute_b32 v7, v8, v3
	v_and_b32_e32 v8, 1, v5
	s_waitcnt lgkmcnt(2)
	v_and_b32_e32 v10, 1, v9
	v_cmp_eq_u32_e64 s[0:1], 1, v10
	s_waitcnt lgkmcnt(0)
	v_cmp_lt_i64_e32 vcc, v[6:7], v[2:3]
	s_and_b64 vcc, s[0:1], vcc
	v_cndmask_b32_e64 v5, v5, 1, s[0:1]
	v_cndmask_b32_e32 v2, v2, v6, vcc
	v_cndmask_b32_e32 v3, v3, v7, vcc
	v_cmp_eq_u32_e32 vcc, 1, v8
	v_cndmask_b32_e32 v8, v9, v5, vcc
	v_cndmask_b32_e32 v3, v7, v3, vcc
	;; [unrolled: 1-line block ×3, first 2 shown]
	v_cmp_gt_u32_e32 vcc, 2, v1
	v_cndmask_b32_e64 v1, 0, 1, vcc
	v_lshlrev_b32_e32 v1, 1, v1
	v_and_b32_e32 v5, 0xff, v8
	v_add_lshl_u32 v1, v1, v4, 2
	ds_bpermute_b32 v6, v1, v5
	ds_bpermute_b32 v4, v1, v2
	;; [unrolled: 1-line block ×3, first 2 shown]
	v_and_b32_e32 v1, 1, v8
	s_waitcnt lgkmcnt(2)
	v_and_b32_e32 v7, 1, v6
	v_cmp_eq_u32_e64 s[0:1], 1, v7
	s_waitcnt lgkmcnt(0)
	v_cmp_lt_i64_e32 vcc, v[4:5], v[2:3]
	s_and_b64 vcc, s[0:1], vcc
	v_cndmask_b32_e64 v7, v8, 1, s[0:1]
	v_cndmask_b32_e32 v2, v2, v4, vcc
	v_cndmask_b32_e32 v3, v3, v5, vcc
	v_cmp_eq_u32_e32 vcc, 1, v1
	v_cndmask_b32_e32 v1, v6, v7, vcc
	v_cndmask_b32_e32 v3, v5, v3, vcc
	;; [unrolled: 1-line block ×3, first 2 shown]
	v_and_b32_e32 v6, 0xff, v1
.LBB98_158:
	s_or_b64 exec, exec, s[12:13]
	s_branch .LBB98_189
.LBB98_159:
                                        ; implicit-def: $vgpr4_vgpr5
                                        ; implicit-def: $vgpr1
	s_cbranch_execnz .LBB98_194
	s_branch .LBB98_214
.LBB98_160:
                                        ; implicit-def: $vgpr4_vgpr5
                                        ; implicit-def: $vgpr1
	s_branch .LBB98_214
.LBB98_161:
                                        ; implicit-def: $vgpr2_vgpr3
                                        ; implicit-def: $vgpr6
	s_cbranch_execz .LBB98_189
; %bb.162:
	s_sub_i32 s8, s22, s8
	s_waitcnt lgkmcnt(0)
	v_pk_mov_b32 v[4:5], 0, 0
	v_cmp_gt_u32_e32 vcc, s8, v0
	v_mov_b32_e32 v1, 0
	v_pk_mov_b32 v[2:3], v[4:5], v[4:5] op_sel:[0,1]
	v_mov_b32_e32 v7, 0
	s_and_saveexec_b64 s[0:1], vcc
	s_cbranch_execz .LBB98_164
; %bb.163:
	v_lshlrev_b32_e32 v6, 4, v0
	global_load_ubyte v7, v6, s[2:3]
	global_load_dwordx2 v[2:3], v6, s[2:3] offset:8
.LBB98_164:
	s_or_b64 exec, exec, s[0:1]
	v_or_b32_e32 v6, 0x100, v0
	v_cmp_gt_u32_e32 vcc, s8, v6
	s_and_saveexec_b64 s[0:1], vcc
	s_cbranch_execz .LBB98_166
; %bb.165:
	v_lshlrev_b32_e32 v6, 4, v6
	global_load_ubyte v1, v6, s[2:3]
	global_load_dwordx2 v[4:5], v6, s[2:3] offset:8
.LBB98_166:
	s_or_b64 exec, exec, s[0:1]
	s_and_saveexec_b64 s[2:3], vcc
	s_cbranch_execz .LBB98_168
; %bb.167:
	s_waitcnt vmcnt(1)
	v_and_b32_e32 v8, 1, v1
	s_waitcnt vmcnt(0)
	v_cmp_lt_i64_e32 vcc, v[4:5], v[2:3]
	v_cmp_eq_u32_e64 s[0:1], 1, v8
	v_and_b32_e32 v6, 1, v7
	s_and_b64 vcc, s[0:1], vcc
	v_cndmask_b32_e64 v7, v7, 1, s[0:1]
	v_cndmask_b32_e32 v2, v2, v4, vcc
	v_cndmask_b32_e32 v3, v3, v5, vcc
	v_cmp_eq_u32_e32 vcc, 1, v6
	v_cndmask_b32_e32 v7, v1, v7, vcc
	v_cndmask_b32_e32 v3, v5, v3, vcc
	;; [unrolled: 1-line block ×3, first 2 shown]
.LBB98_168:
	s_or_b64 exec, exec, s[2:3]
	s_waitcnt vmcnt(1)
	v_mbcnt_lo_u32_b32 v1, -1, 0
	v_mbcnt_hi_u32_b32 v1, -1, v1
	v_and_b32_e32 v8, 63, v1
	v_cmp_ne_u32_e32 vcc, 63, v8
	s_waitcnt vmcnt(0)
	v_addc_co_u32_e32 v4, vcc, 0, v1, vcc
	v_and_b32_e32 v6, 0xff, v7
	v_lshlrev_b32_e32 v5, 2, v4
	ds_bpermute_b32 v10, v5, v6
	ds_bpermute_b32 v4, v5, v2
	ds_bpermute_b32 v5, v5, v3
	s_min_u32 s8, s8, 0x100
	v_and_b32_e32 v9, 0xc0, v0
	v_sub_u32_e64 v9, s8, v9 clamp
	v_add_u32_e32 v11, 1, v8
	v_cmp_lt_u32_e32 vcc, v11, v9
	s_and_saveexec_b64 s[2:3], vcc
	s_cbranch_execz .LBB98_170
; %bb.169:
	s_waitcnt lgkmcnt(2)
	v_and_b32_e32 v11, 1, v10
	s_waitcnt lgkmcnt(0)
	v_cmp_lt_i64_e32 vcc, v[4:5], v[2:3]
	v_cmp_eq_u32_e64 s[0:1], 1, v11
	v_and_b32_e32 v6, 1, v7
	s_and_b64 vcc, s[0:1], vcc
	v_cndmask_b32_e64 v7, v7, 1, s[0:1]
	v_cndmask_b32_e32 v2, v2, v4, vcc
	v_cndmask_b32_e32 v3, v3, v5, vcc
	v_cmp_eq_u32_e32 vcc, 1, v6
	v_cndmask_b32_e32 v7, v10, v7, vcc
	v_cndmask_b32_e32 v3, v5, v3, vcc
	v_cndmask_b32_e32 v2, v4, v2, vcc
	v_and_b32_e32 v6, 0xff, v7
.LBB98_170:
	s_or_b64 exec, exec, s[2:3]
	v_cmp_gt_u32_e32 vcc, 62, v8
	s_waitcnt lgkmcnt(1)
	v_cndmask_b32_e64 v4, 0, 1, vcc
	v_lshlrev_b32_e32 v4, 1, v4
	s_waitcnt lgkmcnt(0)
	v_add_lshl_u32 v5, v4, v1, 2
	ds_bpermute_b32 v10, v5, v6
	ds_bpermute_b32 v4, v5, v2
	ds_bpermute_b32 v5, v5, v3
	v_add_u32_e32 v11, 2, v8
	v_cmp_lt_u32_e32 vcc, v11, v9
	s_and_saveexec_b64 s[2:3], vcc
	s_cbranch_execz .LBB98_172
; %bb.171:
	s_waitcnt lgkmcnt(2)
	v_and_b32_e32 v11, 1, v10
	s_waitcnt lgkmcnt(0)
	v_cmp_lt_i64_e32 vcc, v[4:5], v[2:3]
	v_cmp_eq_u32_e64 s[0:1], 1, v11
	v_and_b32_e32 v6, 1, v7
	s_and_b64 vcc, s[0:1], vcc
	v_cndmask_b32_e64 v7, v7, 1, s[0:1]
	v_cndmask_b32_e32 v2, v2, v4, vcc
	v_cndmask_b32_e32 v3, v3, v5, vcc
	v_cmp_eq_u32_e32 vcc, 1, v6
	v_cndmask_b32_e32 v7, v10, v7, vcc
	v_cndmask_b32_e32 v3, v5, v3, vcc
	v_cndmask_b32_e32 v2, v4, v2, vcc
	v_and_b32_e32 v6, 0xff, v7
.LBB98_172:
	s_or_b64 exec, exec, s[2:3]
	v_cmp_gt_u32_e32 vcc, 60, v8
	s_waitcnt lgkmcnt(1)
	v_cndmask_b32_e64 v4, 0, 1, vcc
	v_lshlrev_b32_e32 v4, 2, v4
	s_waitcnt lgkmcnt(0)
	v_add_lshl_u32 v5, v4, v1, 2
	ds_bpermute_b32 v10, v5, v6
	ds_bpermute_b32 v4, v5, v2
	ds_bpermute_b32 v5, v5, v3
	;; [unrolled: 31-line block ×5, first 2 shown]
	v_add_u32_e32 v8, 32, v8
	v_cmp_lt_u32_e32 vcc, v8, v9
	s_and_saveexec_b64 s[2:3], vcc
	s_cbranch_execz .LBB98_180
; %bb.179:
	s_waitcnt lgkmcnt(2)
	v_and_b32_e32 v8, 1, v10
	s_waitcnt lgkmcnt(0)
	v_cmp_lt_i64_e32 vcc, v[4:5], v[2:3]
	v_cmp_eq_u32_e64 s[0:1], 1, v8
	v_and_b32_e32 v6, 1, v7
	s_and_b64 vcc, s[0:1], vcc
	v_cndmask_b32_e64 v7, v7, 1, s[0:1]
	v_cndmask_b32_e32 v2, v2, v4, vcc
	v_cndmask_b32_e32 v3, v3, v5, vcc
	v_cmp_eq_u32_e32 vcc, 1, v6
	v_cndmask_b32_e32 v7, v10, v7, vcc
	v_cndmask_b32_e32 v3, v5, v3, vcc
	v_cndmask_b32_e32 v2, v4, v2, vcc
	v_and_b32_e32 v6, 0xff, v7
.LBB98_180:
	s_or_b64 exec, exec, s[2:3]
	v_cmp_eq_u32_e32 vcc, 0, v1
	s_and_saveexec_b64 s[0:1], vcc
	s_cbranch_execz .LBB98_182
; %bb.181:
	s_waitcnt lgkmcnt(1)
	v_lshrrev_b32_e32 v4, 2, v0
	v_and_b32_e32 v4, 48, v4
	ds_write_b8 v4, v7 offset:256
	ds_write_b64 v4, v[2:3] offset:264
.LBB98_182:
	s_or_b64 exec, exec, s[0:1]
	v_cmp_gt_u32_e32 vcc, 4, v0
	s_waitcnt lgkmcnt(0)
	s_barrier
	s_and_saveexec_b64 s[2:3], vcc
	s_cbranch_execz .LBB98_188
; %bb.183:
	v_lshlrev_b32_e32 v2, 4, v1
	ds_read_u8 v7, v2 offset:256
	ds_read_b64 v[2:3], v2 offset:264
	v_and_b32_e32 v8, 3, v1
	v_cmp_ne_u32_e32 vcc, 3, v8
	v_addc_co_u32_e32 v4, vcc, 0, v1, vcc
	s_waitcnt lgkmcnt(1)
	v_and_b32_e32 v6, 0xff, v7
	v_lshlrev_b32_e32 v5, 2, v4
	ds_bpermute_b32 v9, v5, v6
	s_waitcnt lgkmcnt(1)
	ds_bpermute_b32 v4, v5, v2
	ds_bpermute_b32 v5, v5, v3
	s_add_i32 s8, s8, 63
	s_lshr_b32 s12, s8, 6
	v_add_u32_e32 v10, 1, v8
	v_cmp_gt_u32_e32 vcc, s12, v10
	s_and_saveexec_b64 s[8:9], vcc
	s_cbranch_execz .LBB98_185
; %bb.184:
	s_waitcnt lgkmcnt(2)
	v_and_b32_e32 v10, 1, v9
	s_waitcnt lgkmcnt(0)
	v_cmp_lt_i64_e32 vcc, v[4:5], v[2:3]
	v_cmp_eq_u32_e64 s[0:1], 1, v10
	v_and_b32_e32 v6, 1, v7
	s_and_b64 vcc, s[0:1], vcc
	v_cndmask_b32_e64 v7, v7, 1, s[0:1]
	v_cndmask_b32_e32 v2, v2, v4, vcc
	v_cndmask_b32_e32 v3, v3, v5, vcc
	v_cmp_eq_u32_e32 vcc, 1, v6
	v_cndmask_b32_e32 v7, v9, v7, vcc
	v_cndmask_b32_e32 v3, v5, v3, vcc
	;; [unrolled: 1-line block ×3, first 2 shown]
	v_and_b32_e32 v6, 0xff, v7
.LBB98_185:
	s_or_b64 exec, exec, s[8:9]
	v_cmp_gt_u32_e32 vcc, 2, v8
	s_waitcnt lgkmcnt(1)
	v_cndmask_b32_e64 v4, 0, 1, vcc
	v_lshlrev_b32_e32 v4, 1, v4
	s_waitcnt lgkmcnt(0)
	v_add_lshl_u32 v5, v4, v1, 2
	ds_bpermute_b32 v1, v5, v6
	ds_bpermute_b32 v4, v5, v2
	;; [unrolled: 1-line block ×3, first 2 shown]
	v_add_u32_e32 v8, 2, v8
	v_cmp_gt_u32_e32 vcc, s12, v8
	s_and_saveexec_b64 s[8:9], vcc
	s_cbranch_execz .LBB98_187
; %bb.186:
	s_waitcnt lgkmcnt(2)
	v_and_b32_e32 v8, 1, v1
	s_waitcnt lgkmcnt(0)
	v_cmp_lt_i64_e32 vcc, v[4:5], v[2:3]
	v_cmp_eq_u32_e64 s[0:1], 1, v8
	v_and_b32_e32 v6, 1, v7
	s_and_b64 vcc, s[0:1], vcc
	v_cndmask_b32_e64 v7, v7, 1, s[0:1]
	v_cndmask_b32_e32 v2, v2, v4, vcc
	v_cndmask_b32_e32 v3, v3, v5, vcc
	v_cmp_eq_u32_e32 vcc, 1, v6
	v_cndmask_b32_e32 v1, v1, v7, vcc
	v_cndmask_b32_e32 v3, v5, v3, vcc
	;; [unrolled: 1-line block ×3, first 2 shown]
	v_and_b32_e32 v6, 0xff, v1
.LBB98_187:
	s_or_b64 exec, exec, s[8:9]
.LBB98_188:
	s_or_b64 exec, exec, s[2:3]
.LBB98_189:
	v_cmp_eq_u32_e32 vcc, 0, v0
                                        ; implicit-def: $vgpr4_vgpr5
                                        ; implicit-def: $vgpr1
	s_and_saveexec_b64 s[0:1], vcc
	s_xor_b64 s[8:9], exec, s[0:1]
	s_cbranch_execz .LBB98_193
; %bb.190:
	s_cmp_eq_u64 s[22:23], 0
	s_waitcnt lgkmcnt(0)
	v_pk_mov_b32 v[4:5], s[18:19], s[18:19] op_sel:[0,1]
	v_mov_b32_e32 v1, s28
	s_cbranch_scc1 .LBB98_192
; %bb.191:
	v_and_b32_e32 v1, 1, v6
	s_bitcmp1_b32 s28, 0
	v_mov_b32_e32 v4, s28
	v_cmp_eq_u32_e32 vcc, 1, v1
	v_cmp_gt_i64_e64 s[2:3], s[18:19], v[2:3]
	v_cndmask_b32_e64 v1, v4, 1, vcc
	s_cselect_b64 s[0:1], -1, 0
	v_mov_b32_e32 v4, s18
	s_and_b64 vcc, vcc, s[2:3]
	v_mov_b32_e32 v5, s19
	v_cndmask_b32_e32 v4, v4, v2, vcc
	v_cndmask_b32_e32 v5, v5, v3, vcc
	v_cndmask_b32_e64 v1, v6, v1, s[0:1]
	v_cndmask_b32_e64 v5, v3, v5, s[0:1]
	;; [unrolled: 1-line block ×3, first 2 shown]
.LBB98_192:
	s_or_b64 s[10:11], s[10:11], exec
.LBB98_193:
	s_or_b64 exec, exec, s[8:9]
	s_branch .LBB98_214
.LBB98_194:
	s_cmp_eq_u32 s29, 1
	s_cbranch_scc0 .LBB98_213
; %bb.195:
	s_mov_b32 s3, 0
	s_lshl_b32 s2, s6, 8
	s_mov_b32 s7, s3
	s_lshr_b64 s[0:1], s[22:23], 8
	s_cmp_lg_u64 s[0:1], s[6:7]
	s_cbranch_scc0 .LBB98_217
; %bb.196:
	s_lshl_b64 s[0:1], s[2:3], 4
	s_add_u32 s0, s20, s0
	s_addc_u32 s1, s21, s1
	s_waitcnt lgkmcnt(2)
	v_lshlrev_b32_e32 v1, 4, v0
	s_waitcnt lgkmcnt(1)
	global_load_ubyte v4, v1, s[0:1]
	global_load_dwordx2 v[2:3], v1, s[0:1] offset:8
	s_waitcnt vmcnt(1)
	v_and_b32_e32 v1, 1, v4
	s_nop 1
	v_mov_b32_dpp v6, v1 quad_perm:[1,0,3,2] row_mask:0xf bank_mask:0xf bound_ctrl:1
	v_and_b32_e32 v7, 1, v6
	s_waitcnt vmcnt(0)
	v_mov_b32_dpp v4, v2 quad_perm:[1,0,3,2] row_mask:0xf bank_mask:0xf bound_ctrl:1
	s_waitcnt lgkmcnt(0)
	v_mov_b32_dpp v5, v3 quad_perm:[1,0,3,2] row_mask:0xf bank_mask:0xf bound_ctrl:1
	v_cmp_eq_u32_e32 vcc, 1, v7
	v_cmp_eq_u32_e64 s[0:1], 1, v1
	s_and_saveexec_b64 s[8:9], vcc
; %bb.197:
	v_cmp_lt_i64_e32 vcc, v[2:3], v[4:5]
	v_cndmask_b32_e64 v6, v6, 1, s[0:1]
	s_and_b64 vcc, s[0:1], vcc
	v_cndmask_b32_e32 v2, v4, v2, vcc
	v_and_b32_e32 v4, 1, v6
	v_cndmask_b32_e32 v3, v5, v3, vcc
	v_cmp_eq_u32_e32 vcc, 1, v4
	s_andn2_b64 s[0:1], s[0:1], exec
	s_and_b64 s[12:13], vcc, exec
	v_and_b32_e32 v1, 0xff, v6
	s_or_b64 s[0:1], s[0:1], s[12:13]
; %bb.198:
	s_or_b64 exec, exec, s[8:9]
	v_mov_b32_dpp v6, v1 quad_perm:[2,3,0,1] row_mask:0xf bank_mask:0xf bound_ctrl:1
	v_and_b32_e32 v7, 1, v6
	v_mov_b32_dpp v4, v2 quad_perm:[2,3,0,1] row_mask:0xf bank_mask:0xf bound_ctrl:1
	v_mov_b32_dpp v5, v3 quad_perm:[2,3,0,1] row_mask:0xf bank_mask:0xf bound_ctrl:1
	v_cmp_eq_u32_e32 vcc, 1, v7
	s_and_saveexec_b64 s[8:9], vcc
; %bb.199:
	v_cmp_lt_i64_e32 vcc, v[2:3], v[4:5]
	v_cndmask_b32_e64 v6, v6, 1, s[0:1]
	s_and_b64 vcc, s[0:1], vcc
	v_cndmask_b32_e32 v2, v4, v2, vcc
	v_and_b32_e32 v4, 1, v6
	v_cndmask_b32_e32 v3, v5, v3, vcc
	v_cmp_eq_u32_e32 vcc, 1, v4
	s_andn2_b64 s[0:1], s[0:1], exec
	s_and_b64 s[12:13], vcc, exec
	v_and_b32_e32 v1, 0xff, v6
	s_or_b64 s[0:1], s[0:1], s[12:13]
; %bb.200:
	s_or_b64 exec, exec, s[8:9]
	v_mov_b32_dpp v6, v1 row_ror:4 row_mask:0xf bank_mask:0xf bound_ctrl:1
	v_and_b32_e32 v7, 1, v6
	v_mov_b32_dpp v4, v2 row_ror:4 row_mask:0xf bank_mask:0xf bound_ctrl:1
	v_mov_b32_dpp v5, v3 row_ror:4 row_mask:0xf bank_mask:0xf bound_ctrl:1
	v_cmp_eq_u32_e32 vcc, 1, v7
	s_and_saveexec_b64 s[8:9], vcc
; %bb.201:
	v_cmp_lt_i64_e32 vcc, v[2:3], v[4:5]
	v_cndmask_b32_e64 v6, v6, 1, s[0:1]
	s_and_b64 vcc, s[0:1], vcc
	v_cndmask_b32_e32 v2, v4, v2, vcc
	v_and_b32_e32 v4, 1, v6
	v_cndmask_b32_e32 v3, v5, v3, vcc
	v_cmp_eq_u32_e32 vcc, 1, v4
	s_andn2_b64 s[0:1], s[0:1], exec
	s_and_b64 s[12:13], vcc, exec
	v_and_b32_e32 v1, 0xff, v6
	s_or_b64 s[0:1], s[0:1], s[12:13]
; %bb.202:
	s_or_b64 exec, exec, s[8:9]
	v_mov_b32_dpp v6, v1 row_ror:8 row_mask:0xf bank_mask:0xf bound_ctrl:1
	v_and_b32_e32 v7, 1, v6
	v_mov_b32_dpp v4, v2 row_ror:8 row_mask:0xf bank_mask:0xf bound_ctrl:1
	v_mov_b32_dpp v5, v3 row_ror:8 row_mask:0xf bank_mask:0xf bound_ctrl:1
	v_cmp_eq_u32_e32 vcc, 1, v7
	s_and_saveexec_b64 s[8:9], vcc
; %bb.203:
	v_cmp_lt_i64_e32 vcc, v[2:3], v[4:5]
	v_cndmask_b32_e64 v6, v6, 1, s[0:1]
	s_and_b64 vcc, s[0:1], vcc
	v_cndmask_b32_e32 v2, v4, v2, vcc
	v_and_b32_e32 v4, 1, v6
	v_cndmask_b32_e32 v3, v5, v3, vcc
	v_cmp_eq_u32_e32 vcc, 1, v4
	s_andn2_b64 s[0:1], s[0:1], exec
	s_and_b64 s[12:13], vcc, exec
	v_and_b32_e32 v1, 0xff, v6
	s_or_b64 s[0:1], s[0:1], s[12:13]
; %bb.204:
	s_or_b64 exec, exec, s[8:9]
	v_mov_b32_dpp v6, v1 row_bcast:15 row_mask:0xf bank_mask:0xf bound_ctrl:1
	v_and_b32_e32 v7, 1, v6
	v_mov_b32_dpp v4, v2 row_bcast:15 row_mask:0xf bank_mask:0xf bound_ctrl:1
	v_mov_b32_dpp v5, v3 row_bcast:15 row_mask:0xf bank_mask:0xf bound_ctrl:1
	v_cmp_eq_u32_e32 vcc, 1, v7
	s_and_saveexec_b64 s[8:9], vcc
; %bb.205:
	v_cmp_lt_i64_e32 vcc, v[2:3], v[4:5]
	v_cndmask_b32_e64 v6, v6, 1, s[0:1]
	s_and_b64 vcc, s[0:1], vcc
	v_cndmask_b32_e32 v2, v4, v2, vcc
	v_and_b32_e32 v4, 1, v6
	v_cndmask_b32_e32 v3, v5, v3, vcc
	v_cmp_eq_u32_e32 vcc, 1, v4
	s_andn2_b64 s[0:1], s[0:1], exec
	s_and_b64 s[12:13], vcc, exec
	v_and_b32_e32 v1, 0xff, v6
	s_or_b64 s[0:1], s[0:1], s[12:13]
; %bb.206:
	s_or_b64 exec, exec, s[8:9]
	v_mov_b32_dpp v6, v1 row_bcast:31 row_mask:0xf bank_mask:0xf bound_ctrl:1
	v_and_b32_e32 v7, 1, v6
	v_mov_b32_dpp v4, v2 row_bcast:31 row_mask:0xf bank_mask:0xf bound_ctrl:1
	v_mov_b32_dpp v5, v3 row_bcast:31 row_mask:0xf bank_mask:0xf bound_ctrl:1
	v_cmp_eq_u32_e32 vcc, 1, v7
	s_and_saveexec_b64 s[8:9], vcc
; %bb.207:
	v_cmp_lt_i64_e32 vcc, v[2:3], v[4:5]
	v_and_b32_e32 v1, 0xff, v6
	s_and_b64 vcc, s[0:1], vcc
	v_cndmask_b32_e32 v2, v4, v2, vcc
	v_cndmask_b32_e32 v3, v5, v3, vcc
	v_cndmask_b32_e64 v1, v1, 1, s[0:1]
; %bb.208:
	s_or_b64 exec, exec, s[8:9]
	v_mbcnt_lo_u32_b32 v4, -1, 0
	v_mbcnt_hi_u32_b32 v4, -1, v4
	v_bfrev_b32_e32 v5, 0.5
	v_lshl_or_b32 v5, v4, 2, v5
	ds_bpermute_b32 v6, v5, v1
	ds_bpermute_b32 v2, v5, v2
	ds_bpermute_b32 v3, v5, v3
	v_cmp_eq_u32_e32 vcc, 0, v4
	s_and_saveexec_b64 s[0:1], vcc
	s_cbranch_execz .LBB98_210
; %bb.209:
	v_lshrrev_b32_e32 v1, 2, v0
	v_and_b32_e32 v1, 48, v1
	s_waitcnt lgkmcnt(2)
	ds_write_b8 v1, v6
	s_waitcnt lgkmcnt(1)
	ds_write_b64 v1, v[2:3] offset:8
.LBB98_210:
	s_or_b64 exec, exec, s[0:1]
	v_cmp_gt_u32_e32 vcc, 64, v0
	s_waitcnt lgkmcnt(0)
	s_barrier
	s_and_saveexec_b64 s[8:9], vcc
	s_cbranch_execz .LBB98_212
; %bb.211:
	v_and_b32_e32 v1, 3, v4
	v_lshlrev_b32_e32 v2, 4, v1
	ds_read_u8 v5, v2
	ds_read_b64 v[2:3], v2 offset:8
	v_cmp_ne_u32_e32 vcc, 3, v1
	v_addc_co_u32_e32 v6, vcc, 0, v4, vcc
	s_waitcnt lgkmcnt(1)
	v_and_b32_e32 v7, 0xff, v5
	v_lshlrev_b32_e32 v8, 2, v6
	ds_bpermute_b32 v9, v8, v7
	s_waitcnt lgkmcnt(1)
	ds_bpermute_b32 v6, v8, v2
	ds_bpermute_b32 v7, v8, v3
	v_and_b32_e32 v8, 1, v5
	s_waitcnt lgkmcnt(2)
	v_and_b32_e32 v10, 1, v9
	v_cmp_eq_u32_e64 s[0:1], 1, v10
	s_waitcnt lgkmcnt(0)
	v_cmp_lt_i64_e32 vcc, v[6:7], v[2:3]
	s_and_b64 vcc, s[0:1], vcc
	v_cndmask_b32_e64 v5, v5, 1, s[0:1]
	v_cndmask_b32_e32 v2, v2, v6, vcc
	v_cndmask_b32_e32 v3, v3, v7, vcc
	v_cmp_eq_u32_e32 vcc, 1, v8
	v_cndmask_b32_e32 v8, v9, v5, vcc
	v_cndmask_b32_e32 v3, v7, v3, vcc
	;; [unrolled: 1-line block ×3, first 2 shown]
	v_cmp_gt_u32_e32 vcc, 2, v1
	v_cndmask_b32_e64 v1, 0, 1, vcc
	v_lshlrev_b32_e32 v1, 1, v1
	v_and_b32_e32 v5, 0xff, v8
	v_add_lshl_u32 v1, v1, v4, 2
	ds_bpermute_b32 v6, v1, v5
	ds_bpermute_b32 v4, v1, v2
	;; [unrolled: 1-line block ×3, first 2 shown]
	v_and_b32_e32 v1, 1, v8
	s_waitcnt lgkmcnt(2)
	v_and_b32_e32 v7, 1, v6
	v_cmp_eq_u32_e64 s[0:1], 1, v7
	s_waitcnt lgkmcnt(0)
	v_cmp_lt_i64_e32 vcc, v[4:5], v[2:3]
	s_and_b64 vcc, s[0:1], vcc
	v_cndmask_b32_e64 v7, v8, 1, s[0:1]
	v_cndmask_b32_e32 v2, v2, v4, vcc
	v_cndmask_b32_e32 v3, v3, v5, vcc
	v_cmp_eq_u32_e32 vcc, 1, v1
	v_cndmask_b32_e32 v1, v6, v7, vcc
	v_cndmask_b32_e32 v3, v5, v3, vcc
	;; [unrolled: 1-line block ×3, first 2 shown]
	v_and_b32_e32 v6, 0xff, v1
.LBB98_212:
	s_or_b64 exec, exec, s[8:9]
	s_branch .LBB98_241
.LBB98_213:
                                        ; implicit-def: $vgpr4_vgpr5
                                        ; implicit-def: $vgpr1
                                        ; implicit-def: $sgpr6_sgpr7
.LBB98_214:
	s_and_saveexec_b64 s[0:1], s[10:11]
	s_cbranch_execz .LBB98_216
.LBB98_215:
	s_load_dwordx2 s[0:1], s[4:5], 0x18
	s_lshl_b64 s[2:3], s[6:7], 4
	v_mov_b32_e32 v0, 0
	s_waitcnt lgkmcnt(0)
	s_add_u32 s0, s0, s2
	s_addc_u32 s1, s1, s3
	global_store_byte v0, v1, s[0:1]
	global_store_dwordx2 v0, v[4:5], s[0:1] offset:8
.LBB98_216:
	s_endpgm
.LBB98_217:
                                        ; implicit-def: $vgpr2_vgpr3
                                        ; implicit-def: $vgpr6
	s_cbranch_execz .LBB98_241
; %bb.218:
	s_sub_i32 s8, s22, s2
	v_cmp_gt_u32_e32 vcc, s8, v0
	v_pk_mov_b32 v[2:3], 0, 0
	v_mov_b32_e32 v7, 0
	s_and_saveexec_b64 s[0:1], vcc
	s_cbranch_execz .LBB98_220
; %bb.219:
	s_lshl_b64 s[2:3], s[2:3], 4
	s_add_u32 s2, s20, s2
	s_addc_u32 s3, s21, s3
	s_waitcnt lgkmcnt(2)
	v_lshlrev_b32_e32 v1, 4, v0
	global_load_ubyte v7, v1, s[2:3]
	global_load_dwordx2 v[2:3], v1, s[2:3] offset:8
.LBB98_220:
	s_or_b64 exec, exec, s[0:1]
	s_waitcnt lgkmcnt(2)
	v_mbcnt_lo_u32_b32 v1, -1, 0
	v_mbcnt_hi_u32_b32 v1, -1, v1
	v_and_b32_e32 v8, 63, v1
	v_cmp_ne_u32_e32 vcc, 63, v8
	s_waitcnt lgkmcnt(1)
	v_addc_co_u32_e32 v4, vcc, 0, v1, vcc
	s_waitcnt vmcnt(1)
	v_and_b32_e32 v6, 0xff, v7
	s_waitcnt lgkmcnt(0)
	v_lshlrev_b32_e32 v5, 2, v4
	ds_bpermute_b32 v10, v5, v6
	s_waitcnt vmcnt(0)
	ds_bpermute_b32 v4, v5, v2
	ds_bpermute_b32 v5, v5, v3
	s_min_u32 s8, s8, 0x100
	v_and_b32_e32 v9, 0xc0, v0
	v_sub_u32_e64 v9, s8, v9 clamp
	v_add_u32_e32 v11, 1, v8
	v_cmp_lt_u32_e32 vcc, v11, v9
	s_and_saveexec_b64 s[2:3], vcc
	s_cbranch_execz .LBB98_222
; %bb.221:
	s_waitcnt lgkmcnt(2)
	v_and_b32_e32 v11, 1, v10
	s_waitcnt lgkmcnt(0)
	v_cmp_lt_i64_e32 vcc, v[4:5], v[2:3]
	v_cmp_eq_u32_e64 s[0:1], 1, v11
	v_and_b32_e32 v6, 1, v7
	s_and_b64 vcc, s[0:1], vcc
	v_cndmask_b32_e64 v7, v7, 1, s[0:1]
	v_cndmask_b32_e32 v2, v2, v4, vcc
	v_cndmask_b32_e32 v3, v3, v5, vcc
	v_cmp_eq_u32_e32 vcc, 1, v6
	v_cndmask_b32_e32 v7, v10, v7, vcc
	v_cndmask_b32_e32 v3, v5, v3, vcc
	v_cndmask_b32_e32 v2, v4, v2, vcc
	v_and_b32_e32 v6, 0xff, v7
.LBB98_222:
	s_or_b64 exec, exec, s[2:3]
	v_cmp_gt_u32_e32 vcc, 62, v8
	s_waitcnt lgkmcnt(1)
	v_cndmask_b32_e64 v4, 0, 1, vcc
	v_lshlrev_b32_e32 v4, 1, v4
	s_waitcnt lgkmcnt(0)
	v_add_lshl_u32 v5, v4, v1, 2
	ds_bpermute_b32 v10, v5, v6
	ds_bpermute_b32 v4, v5, v2
	ds_bpermute_b32 v5, v5, v3
	v_add_u32_e32 v11, 2, v8
	v_cmp_lt_u32_e32 vcc, v11, v9
	s_and_saveexec_b64 s[2:3], vcc
	s_cbranch_execz .LBB98_224
; %bb.223:
	s_waitcnt lgkmcnt(2)
	v_and_b32_e32 v11, 1, v10
	s_waitcnt lgkmcnt(0)
	v_cmp_lt_i64_e32 vcc, v[4:5], v[2:3]
	v_cmp_eq_u32_e64 s[0:1], 1, v11
	v_and_b32_e32 v6, 1, v7
	s_and_b64 vcc, s[0:1], vcc
	v_cndmask_b32_e64 v7, v7, 1, s[0:1]
	v_cndmask_b32_e32 v2, v2, v4, vcc
	v_cndmask_b32_e32 v3, v3, v5, vcc
	v_cmp_eq_u32_e32 vcc, 1, v6
	v_cndmask_b32_e32 v7, v10, v7, vcc
	v_cndmask_b32_e32 v3, v5, v3, vcc
	v_cndmask_b32_e32 v2, v4, v2, vcc
	v_and_b32_e32 v6, 0xff, v7
.LBB98_224:
	s_or_b64 exec, exec, s[2:3]
	v_cmp_gt_u32_e32 vcc, 60, v8
	s_waitcnt lgkmcnt(1)
	v_cndmask_b32_e64 v4, 0, 1, vcc
	v_lshlrev_b32_e32 v4, 2, v4
	s_waitcnt lgkmcnt(0)
	v_add_lshl_u32 v5, v4, v1, 2
	ds_bpermute_b32 v10, v5, v6
	ds_bpermute_b32 v4, v5, v2
	ds_bpermute_b32 v5, v5, v3
	;; [unrolled: 31-line block ×5, first 2 shown]
	v_add_u32_e32 v8, 32, v8
	v_cmp_lt_u32_e32 vcc, v8, v9
	s_and_saveexec_b64 s[2:3], vcc
	s_cbranch_execz .LBB98_232
; %bb.231:
	s_waitcnt lgkmcnt(2)
	v_and_b32_e32 v8, 1, v10
	s_waitcnt lgkmcnt(0)
	v_cmp_lt_i64_e32 vcc, v[4:5], v[2:3]
	v_cmp_eq_u32_e64 s[0:1], 1, v8
	v_and_b32_e32 v6, 1, v7
	s_and_b64 vcc, s[0:1], vcc
	v_cndmask_b32_e64 v7, v7, 1, s[0:1]
	v_cndmask_b32_e32 v2, v2, v4, vcc
	v_cndmask_b32_e32 v3, v3, v5, vcc
	v_cmp_eq_u32_e32 vcc, 1, v6
	v_cndmask_b32_e32 v7, v10, v7, vcc
	v_cndmask_b32_e32 v3, v5, v3, vcc
	;; [unrolled: 1-line block ×3, first 2 shown]
	v_and_b32_e32 v6, 0xff, v7
.LBB98_232:
	s_or_b64 exec, exec, s[2:3]
	v_cmp_eq_u32_e32 vcc, 0, v1
	s_and_saveexec_b64 s[0:1], vcc
	s_cbranch_execz .LBB98_234
; %bb.233:
	s_waitcnt lgkmcnt(1)
	v_lshrrev_b32_e32 v4, 2, v0
	v_and_b32_e32 v4, 48, v4
	ds_write_b8 v4, v7 offset:256
	ds_write_b64 v4, v[2:3] offset:264
.LBB98_234:
	s_or_b64 exec, exec, s[0:1]
	v_cmp_gt_u32_e32 vcc, 4, v0
	s_waitcnt lgkmcnt(0)
	s_barrier
	s_and_saveexec_b64 s[2:3], vcc
	s_cbranch_execz .LBB98_240
; %bb.235:
	v_lshlrev_b32_e32 v2, 4, v1
	ds_read_u8 v7, v2 offset:256
	ds_read_b64 v[2:3], v2 offset:264
	v_and_b32_e32 v8, 3, v1
	v_cmp_ne_u32_e32 vcc, 3, v8
	v_addc_co_u32_e32 v4, vcc, 0, v1, vcc
	s_waitcnt lgkmcnt(1)
	v_and_b32_e32 v6, 0xff, v7
	v_lshlrev_b32_e32 v5, 2, v4
	ds_bpermute_b32 v9, v5, v6
	s_waitcnt lgkmcnt(1)
	ds_bpermute_b32 v4, v5, v2
	ds_bpermute_b32 v5, v5, v3
	s_add_i32 s8, s8, 63
	s_lshr_b32 s12, s8, 6
	v_add_u32_e32 v10, 1, v8
	v_cmp_gt_u32_e32 vcc, s12, v10
	s_and_saveexec_b64 s[8:9], vcc
	s_cbranch_execz .LBB98_237
; %bb.236:
	s_waitcnt lgkmcnt(2)
	v_and_b32_e32 v10, 1, v9
	s_waitcnt lgkmcnt(0)
	v_cmp_lt_i64_e32 vcc, v[4:5], v[2:3]
	v_cmp_eq_u32_e64 s[0:1], 1, v10
	v_and_b32_e32 v6, 1, v7
	s_and_b64 vcc, s[0:1], vcc
	v_cndmask_b32_e64 v7, v7, 1, s[0:1]
	v_cndmask_b32_e32 v2, v2, v4, vcc
	v_cndmask_b32_e32 v3, v3, v5, vcc
	v_cmp_eq_u32_e32 vcc, 1, v6
	v_cndmask_b32_e32 v7, v9, v7, vcc
	v_cndmask_b32_e32 v3, v5, v3, vcc
	;; [unrolled: 1-line block ×3, first 2 shown]
	v_and_b32_e32 v6, 0xff, v7
.LBB98_237:
	s_or_b64 exec, exec, s[8:9]
	v_cmp_gt_u32_e32 vcc, 2, v8
	s_waitcnt lgkmcnt(1)
	v_cndmask_b32_e64 v4, 0, 1, vcc
	v_lshlrev_b32_e32 v4, 1, v4
	s_waitcnt lgkmcnt(0)
	v_add_lshl_u32 v5, v4, v1, 2
	ds_bpermute_b32 v1, v5, v6
	ds_bpermute_b32 v4, v5, v2
	;; [unrolled: 1-line block ×3, first 2 shown]
	v_add_u32_e32 v8, 2, v8
	v_cmp_gt_u32_e32 vcc, s12, v8
	s_and_saveexec_b64 s[8:9], vcc
	s_cbranch_execz .LBB98_239
; %bb.238:
	s_waitcnt lgkmcnt(2)
	v_and_b32_e32 v8, 1, v1
	s_waitcnt lgkmcnt(0)
	v_cmp_lt_i64_e32 vcc, v[4:5], v[2:3]
	v_cmp_eq_u32_e64 s[0:1], 1, v8
	v_and_b32_e32 v6, 1, v7
	s_and_b64 vcc, s[0:1], vcc
	v_cndmask_b32_e64 v7, v7, 1, s[0:1]
	v_cndmask_b32_e32 v2, v2, v4, vcc
	v_cndmask_b32_e32 v3, v3, v5, vcc
	v_cmp_eq_u32_e32 vcc, 1, v6
	v_cndmask_b32_e32 v1, v1, v7, vcc
	v_cndmask_b32_e32 v3, v5, v3, vcc
	;; [unrolled: 1-line block ×3, first 2 shown]
	v_and_b32_e32 v6, 0xff, v1
.LBB98_239:
	s_or_b64 exec, exec, s[8:9]
.LBB98_240:
	s_or_b64 exec, exec, s[2:3]
.LBB98_241:
	v_cmp_eq_u32_e32 vcc, 0, v0
                                        ; implicit-def: $vgpr4_vgpr5
                                        ; implicit-def: $vgpr1
	s_and_saveexec_b64 s[8:9], vcc
	s_cbranch_execz .LBB98_245
; %bb.242:
	s_cmp_eq_u64 s[22:23], 0
	s_waitcnt lgkmcnt(0)
	v_pk_mov_b32 v[4:5], s[18:19], s[18:19] op_sel:[0,1]
	v_mov_b32_e32 v1, s28
	s_cbranch_scc1 .LBB98_244
; %bb.243:
	v_and_b32_e32 v0, 1, v6
	s_bitcmp1_b32 s28, 0
	v_mov_b32_e32 v1, s28
	v_cmp_eq_u32_e32 vcc, 1, v0
	v_cmp_gt_i64_e64 s[2:3], s[18:19], v[2:3]
	v_cndmask_b32_e64 v0, v1, 1, vcc
	s_cselect_b64 s[0:1], -1, 0
	v_mov_b32_e32 v1, s18
	s_and_b64 vcc, vcc, s[2:3]
	v_cndmask_b32_e32 v4, v1, v2, vcc
	v_mov_b32_e32 v1, s19
	v_cndmask_b32_e32 v5, v1, v3, vcc
	v_cndmask_b32_e64 v1, v6, v0, s[0:1]
	v_cndmask_b32_e64 v5, v3, v5, s[0:1]
	;; [unrolled: 1-line block ×3, first 2 shown]
.LBB98_244:
	s_or_b64 s[10:11], s[10:11], exec
.LBB98_245:
	s_or_b64 exec, exec, s[8:9]
	s_and_saveexec_b64 s[0:1], s[10:11]
	s_cbranch_execnz .LBB98_215
	s_branch .LBB98_216
.LBB98_246:
	v_lshlrev_b32_e32 v25, 4, v25
	global_load_ubyte v1, v25, s[16:17]
	global_load_dwordx2 v[4:5], v25, s[16:17] offset:8
	s_or_b64 exec, exec, s[26:27]
	s_and_saveexec_b64 s[26:27], s[14:15]
	s_cbranch_execz .LBB98_65
.LBB98_247:
	s_waitcnt vmcnt(1)
	v_and_b32_e32 v26, 1, v23
	s_waitcnt vmcnt(0)
	v_cmp_lt_i64_e64 s[14:15], v[14:15], v[2:3]
	v_cmp_eq_u32_e64 s[16:17], 1, v26
	v_and_b32_e32 v25, 1, v18
	s_and_b64 s[14:15], s[16:17], s[14:15]
	v_cndmask_b32_e64 v18, v18, 1, s[16:17]
	v_cndmask_b32_e64 v2, v2, v14, s[14:15]
	;; [unrolled: 1-line block ×3, first 2 shown]
	v_cmp_eq_u32_e64 s[14:15], 1, v25
	v_cndmask_b32_e64 v18, v23, v18, s[14:15]
	v_cndmask_b32_e64 v3, v15, v3, s[14:15]
	;; [unrolled: 1-line block ×3, first 2 shown]
	s_or_b64 exec, exec, s[26:27]
	s_and_saveexec_b64 s[16:17], s[12:13]
	s_cbranch_execz .LBB98_66
.LBB98_248:
	s_waitcnt vmcnt(0)
	v_and_b32_e32 v15, 1, v24
	v_cmp_lt_i64_e64 s[12:13], v[16:17], v[2:3]
	v_cmp_eq_u32_e64 s[14:15], 1, v15
	v_and_b32_e32 v14, 1, v18
	s_and_b64 s[12:13], s[14:15], s[12:13]
	v_cndmask_b32_e64 v15, v18, 1, s[14:15]
	v_cndmask_b32_e64 v2, v2, v16, s[12:13]
	;; [unrolled: 1-line block ×3, first 2 shown]
	v_cmp_eq_u32_e64 s[12:13], 1, v14
	v_cndmask_b32_e64 v18, v24, v15, s[12:13]
	v_cndmask_b32_e64 v3, v17, v3, s[12:13]
	;; [unrolled: 1-line block ×3, first 2 shown]
	s_or_b64 exec, exec, s[16:17]
	s_and_saveexec_b64 s[14:15], s[10:11]
	s_cbranch_execz .LBB98_67
.LBB98_249:
	s_waitcnt vmcnt(0)
	v_and_b32_e32 v15, 1, v21
	v_cmp_lt_i64_e64 s[10:11], v[10:11], v[2:3]
	v_cmp_eq_u32_e64 s[12:13], 1, v15
	v_and_b32_e32 v14, 1, v18
	s_and_b64 s[10:11], s[12:13], s[10:11]
	v_cndmask_b32_e64 v15, v18, 1, s[12:13]
	v_cndmask_b32_e64 v2, v2, v10, s[10:11]
	;; [unrolled: 1-line block ×3, first 2 shown]
	v_cmp_eq_u32_e64 s[10:11], 1, v14
	v_cndmask_b32_e64 v18, v21, v15, s[10:11]
	v_cndmask_b32_e64 v3, v11, v3, s[10:11]
	;; [unrolled: 1-line block ×3, first 2 shown]
	s_or_b64 exec, exec, s[14:15]
	s_and_saveexec_b64 s[12:13], s[8:9]
	s_cbranch_execz .LBB98_68
.LBB98_250:
	s_waitcnt vmcnt(0)
	v_and_b32_e32 v11, 1, v22
	v_cmp_lt_i64_e64 s[8:9], v[12:13], v[2:3]
	v_cmp_eq_u32_e64 s[10:11], 1, v11
	v_and_b32_e32 v10, 1, v18
	s_and_b64 s[8:9], s[10:11], s[8:9]
	v_cndmask_b32_e64 v11, v18, 1, s[10:11]
	v_cndmask_b32_e64 v2, v2, v12, s[8:9]
	;; [unrolled: 1-line block ×3, first 2 shown]
	v_cmp_eq_u32_e64 s[8:9], 1, v10
	v_cndmask_b32_e64 v18, v22, v11, s[8:9]
	v_cndmask_b32_e64 v3, v13, v3, s[8:9]
	;; [unrolled: 1-line block ×3, first 2 shown]
	s_or_b64 exec, exec, s[12:13]
	s_and_saveexec_b64 s[10:11], s[2:3]
	s_cbranch_execz .LBB98_69
.LBB98_251:
	s_waitcnt vmcnt(0)
	v_and_b32_e32 v11, 1, v19
	v_cmp_lt_i64_e64 s[2:3], v[6:7], v[2:3]
	v_cmp_eq_u32_e64 s[8:9], 1, v11
	v_and_b32_e32 v10, 1, v18
	s_and_b64 s[2:3], s[8:9], s[2:3]
	v_cndmask_b32_e64 v11, v18, 1, s[8:9]
	v_cndmask_b32_e64 v2, v2, v6, s[2:3]
	;; [unrolled: 1-line block ×3, first 2 shown]
	v_cmp_eq_u32_e64 s[2:3], 1, v10
	v_cndmask_b32_e64 v18, v19, v11, s[2:3]
	v_cndmask_b32_e64 v3, v7, v3, s[2:3]
	;; [unrolled: 1-line block ×3, first 2 shown]
	s_or_b64 exec, exec, s[10:11]
	s_and_saveexec_b64 s[8:9], s[0:1]
	s_cbranch_execz .LBB98_70
.LBB98_252:
	s_waitcnt vmcnt(0)
	v_and_b32_e32 v7, 1, v20
	v_cmp_lt_i64_e64 s[0:1], v[8:9], v[2:3]
	v_cmp_eq_u32_e64 s[2:3], 1, v7
	v_and_b32_e32 v6, 1, v18
	s_and_b64 s[0:1], s[2:3], s[0:1]
	v_cndmask_b32_e64 v7, v18, 1, s[2:3]
	v_cndmask_b32_e64 v2, v2, v8, s[0:1]
	;; [unrolled: 1-line block ×3, first 2 shown]
	v_cmp_eq_u32_e64 s[0:1], 1, v6
	v_cndmask_b32_e64 v18, v20, v7, s[0:1]
	v_cndmask_b32_e64 v3, v9, v3, s[0:1]
	;; [unrolled: 1-line block ×3, first 2 shown]
	s_or_b64 exec, exec, s[8:9]
	s_and_saveexec_b64 s[2:3], vcc
	s_cbranch_execnz .LBB98_71
	s_branch .LBB98_72
.LBB98_253:
	v_lshlrev_b32_e32 v13, 4, v13
	global_load_ubyte v1, v13, s[8:9]
	global_load_dwordx2 v[4:5], v13, s[8:9] offset:8
	s_or_b64 exec, exec, s[12:13]
	s_and_saveexec_b64 s[12:13], s[2:3]
	s_cbranch_execz .LBB98_108
.LBB98_254:
	s_waitcnt vmcnt(1)
	v_and_b32_e32 v14, 1, v11
	s_waitcnt vmcnt(0)
	v_cmp_lt_i64_e64 s[2:3], v[6:7], v[2:3]
	v_cmp_eq_u32_e64 s[8:9], 1, v14
	v_and_b32_e32 v13, 1, v10
	s_and_b64 s[2:3], s[8:9], s[2:3]
	v_cndmask_b32_e64 v10, v10, 1, s[8:9]
	v_cndmask_b32_e64 v2, v2, v6, s[2:3]
	;; [unrolled: 1-line block ×3, first 2 shown]
	v_cmp_eq_u32_e64 s[2:3], 1, v13
	v_cndmask_b32_e64 v10, v11, v10, s[2:3]
	v_cndmask_b32_e64 v3, v7, v3, s[2:3]
	;; [unrolled: 1-line block ×3, first 2 shown]
	s_or_b64 exec, exec, s[12:13]
	s_and_saveexec_b64 s[8:9], s[0:1]
	s_cbranch_execz .LBB98_109
.LBB98_255:
	s_waitcnt vmcnt(0)
	v_and_b32_e32 v7, 1, v12
	v_cmp_lt_i64_e64 s[0:1], v[8:9], v[2:3]
	v_cmp_eq_u32_e64 s[2:3], 1, v7
	v_and_b32_e32 v6, 1, v10
	s_and_b64 s[0:1], s[2:3], s[0:1]
	v_cndmask_b32_e64 v7, v10, 1, s[2:3]
	v_cndmask_b32_e64 v2, v2, v8, s[0:1]
	v_cndmask_b32_e64 v3, v3, v9, s[0:1]
	v_cmp_eq_u32_e64 s[0:1], 1, v6
	v_cndmask_b32_e64 v10, v12, v7, s[0:1]
	v_cndmask_b32_e64 v3, v9, v3, s[0:1]
	;; [unrolled: 1-line block ×3, first 2 shown]
	s_or_b64 exec, exec, s[8:9]
	s_and_saveexec_b64 s[2:3], vcc
	s_cbranch_execnz .LBB98_110
	s_branch .LBB98_111
	.section	.rodata,"a",@progbits
	.p2align	6, 0x0
	.amdhsa_kernel _ZN7rocprim17ROCPRIM_400000_NS6detail17trampoline_kernelINS0_14default_configENS1_22reduce_config_selectorIN6thrust23THRUST_200600_302600_NS5tupleIblNS6_9null_typeES8_S8_S8_S8_S8_S8_S8_EEEEZNS1_11reduce_implILb1ES3_PS9_SC_S9_NS6_11hip_rocprim9__find_if7functorIS9_EEEE10hipError_tPvRmT1_T2_T3_mT4_P12ihipStream_tbEUlT_E1_NS1_11comp_targetILNS1_3genE4ELNS1_11target_archE910ELNS1_3gpuE8ELNS1_3repE0EEENS1_30default_config_static_selectorELNS0_4arch9wavefront6targetE1EEEvSK_
		.amdhsa_group_segment_fixed_size 320
		.amdhsa_private_segment_fixed_size 0
		.amdhsa_kernarg_size 56
		.amdhsa_user_sgpr_count 6
		.amdhsa_user_sgpr_private_segment_buffer 1
		.amdhsa_user_sgpr_dispatch_ptr 0
		.amdhsa_user_sgpr_queue_ptr 0
		.amdhsa_user_sgpr_kernarg_segment_ptr 1
		.amdhsa_user_sgpr_dispatch_id 0
		.amdhsa_user_sgpr_flat_scratch_init 0
		.amdhsa_user_sgpr_kernarg_preload_length 0
		.amdhsa_user_sgpr_kernarg_preload_offset 0
		.amdhsa_user_sgpr_private_segment_size 0
		.amdhsa_uses_dynamic_stack 0
		.amdhsa_system_sgpr_private_segment_wavefront_offset 0
		.amdhsa_system_sgpr_workgroup_id_x 1
		.amdhsa_system_sgpr_workgroup_id_y 0
		.amdhsa_system_sgpr_workgroup_id_z 0
		.amdhsa_system_sgpr_workgroup_info 0
		.amdhsa_system_vgpr_workitem_id 0
		.amdhsa_next_free_vgpr 30
		.amdhsa_next_free_sgpr 31
		.amdhsa_accum_offset 32
		.amdhsa_reserve_vcc 1
		.amdhsa_reserve_flat_scratch 0
		.amdhsa_float_round_mode_32 0
		.amdhsa_float_round_mode_16_64 0
		.amdhsa_float_denorm_mode_32 3
		.amdhsa_float_denorm_mode_16_64 3
		.amdhsa_dx10_clamp 1
		.amdhsa_ieee_mode 1
		.amdhsa_fp16_overflow 0
		.amdhsa_tg_split 0
		.amdhsa_exception_fp_ieee_invalid_op 0
		.amdhsa_exception_fp_denorm_src 0
		.amdhsa_exception_fp_ieee_div_zero 0
		.amdhsa_exception_fp_ieee_overflow 0
		.amdhsa_exception_fp_ieee_underflow 0
		.amdhsa_exception_fp_ieee_inexact 0
		.amdhsa_exception_int_div_zero 0
	.end_amdhsa_kernel
	.section	.text._ZN7rocprim17ROCPRIM_400000_NS6detail17trampoline_kernelINS0_14default_configENS1_22reduce_config_selectorIN6thrust23THRUST_200600_302600_NS5tupleIblNS6_9null_typeES8_S8_S8_S8_S8_S8_S8_EEEEZNS1_11reduce_implILb1ES3_PS9_SC_S9_NS6_11hip_rocprim9__find_if7functorIS9_EEEE10hipError_tPvRmT1_T2_T3_mT4_P12ihipStream_tbEUlT_E1_NS1_11comp_targetILNS1_3genE4ELNS1_11target_archE910ELNS1_3gpuE8ELNS1_3repE0EEENS1_30default_config_static_selectorELNS0_4arch9wavefront6targetE1EEEvSK_,"axG",@progbits,_ZN7rocprim17ROCPRIM_400000_NS6detail17trampoline_kernelINS0_14default_configENS1_22reduce_config_selectorIN6thrust23THRUST_200600_302600_NS5tupleIblNS6_9null_typeES8_S8_S8_S8_S8_S8_S8_EEEEZNS1_11reduce_implILb1ES3_PS9_SC_S9_NS6_11hip_rocprim9__find_if7functorIS9_EEEE10hipError_tPvRmT1_T2_T3_mT4_P12ihipStream_tbEUlT_E1_NS1_11comp_targetILNS1_3genE4ELNS1_11target_archE910ELNS1_3gpuE8ELNS1_3repE0EEENS1_30default_config_static_selectorELNS0_4arch9wavefront6targetE1EEEvSK_,comdat
.Lfunc_end98:
	.size	_ZN7rocprim17ROCPRIM_400000_NS6detail17trampoline_kernelINS0_14default_configENS1_22reduce_config_selectorIN6thrust23THRUST_200600_302600_NS5tupleIblNS6_9null_typeES8_S8_S8_S8_S8_S8_S8_EEEEZNS1_11reduce_implILb1ES3_PS9_SC_S9_NS6_11hip_rocprim9__find_if7functorIS9_EEEE10hipError_tPvRmT1_T2_T3_mT4_P12ihipStream_tbEUlT_E1_NS1_11comp_targetILNS1_3genE4ELNS1_11target_archE910ELNS1_3gpuE8ELNS1_3repE0EEENS1_30default_config_static_selectorELNS0_4arch9wavefront6targetE1EEEvSK_, .Lfunc_end98-_ZN7rocprim17ROCPRIM_400000_NS6detail17trampoline_kernelINS0_14default_configENS1_22reduce_config_selectorIN6thrust23THRUST_200600_302600_NS5tupleIblNS6_9null_typeES8_S8_S8_S8_S8_S8_S8_EEEEZNS1_11reduce_implILb1ES3_PS9_SC_S9_NS6_11hip_rocprim9__find_if7functorIS9_EEEE10hipError_tPvRmT1_T2_T3_mT4_P12ihipStream_tbEUlT_E1_NS1_11comp_targetILNS1_3genE4ELNS1_11target_archE910ELNS1_3gpuE8ELNS1_3repE0EEENS1_30default_config_static_selectorELNS0_4arch9wavefront6targetE1EEEvSK_
                                        ; -- End function
	.section	.AMDGPU.csdata,"",@progbits
; Kernel info:
; codeLenInByte = 13260
; NumSgprs: 35
; NumVgprs: 30
; NumAgprs: 0
; TotalNumVgprs: 30
; ScratchSize: 0
; MemoryBound: 0
; FloatMode: 240
; IeeeMode: 1
; LDSByteSize: 320 bytes/workgroup (compile time only)
; SGPRBlocks: 4
; VGPRBlocks: 3
; NumSGPRsForWavesPerEU: 35
; NumVGPRsForWavesPerEU: 30
; AccumOffset: 32
; Occupancy: 8
; WaveLimiterHint : 1
; COMPUTE_PGM_RSRC2:SCRATCH_EN: 0
; COMPUTE_PGM_RSRC2:USER_SGPR: 6
; COMPUTE_PGM_RSRC2:TRAP_HANDLER: 0
; COMPUTE_PGM_RSRC2:TGID_X_EN: 1
; COMPUTE_PGM_RSRC2:TGID_Y_EN: 0
; COMPUTE_PGM_RSRC2:TGID_Z_EN: 0
; COMPUTE_PGM_RSRC2:TIDIG_COMP_CNT: 0
; COMPUTE_PGM_RSRC3_GFX90A:ACCUM_OFFSET: 7
; COMPUTE_PGM_RSRC3_GFX90A:TG_SPLIT: 0
	.section	.text._ZN7rocprim17ROCPRIM_400000_NS6detail17trampoline_kernelINS0_14default_configENS1_22reduce_config_selectorIN6thrust23THRUST_200600_302600_NS5tupleIblNS6_9null_typeES8_S8_S8_S8_S8_S8_S8_EEEEZNS1_11reduce_implILb1ES3_PS9_SC_S9_NS6_11hip_rocprim9__find_if7functorIS9_EEEE10hipError_tPvRmT1_T2_T3_mT4_P12ihipStream_tbEUlT_E1_NS1_11comp_targetILNS1_3genE3ELNS1_11target_archE908ELNS1_3gpuE7ELNS1_3repE0EEENS1_30default_config_static_selectorELNS0_4arch9wavefront6targetE1EEEvSK_,"axG",@progbits,_ZN7rocprim17ROCPRIM_400000_NS6detail17trampoline_kernelINS0_14default_configENS1_22reduce_config_selectorIN6thrust23THRUST_200600_302600_NS5tupleIblNS6_9null_typeES8_S8_S8_S8_S8_S8_S8_EEEEZNS1_11reduce_implILb1ES3_PS9_SC_S9_NS6_11hip_rocprim9__find_if7functorIS9_EEEE10hipError_tPvRmT1_T2_T3_mT4_P12ihipStream_tbEUlT_E1_NS1_11comp_targetILNS1_3genE3ELNS1_11target_archE908ELNS1_3gpuE7ELNS1_3repE0EEENS1_30default_config_static_selectorELNS0_4arch9wavefront6targetE1EEEvSK_,comdat
	.protected	_ZN7rocprim17ROCPRIM_400000_NS6detail17trampoline_kernelINS0_14default_configENS1_22reduce_config_selectorIN6thrust23THRUST_200600_302600_NS5tupleIblNS6_9null_typeES8_S8_S8_S8_S8_S8_S8_EEEEZNS1_11reduce_implILb1ES3_PS9_SC_S9_NS6_11hip_rocprim9__find_if7functorIS9_EEEE10hipError_tPvRmT1_T2_T3_mT4_P12ihipStream_tbEUlT_E1_NS1_11comp_targetILNS1_3genE3ELNS1_11target_archE908ELNS1_3gpuE7ELNS1_3repE0EEENS1_30default_config_static_selectorELNS0_4arch9wavefront6targetE1EEEvSK_ ; -- Begin function _ZN7rocprim17ROCPRIM_400000_NS6detail17trampoline_kernelINS0_14default_configENS1_22reduce_config_selectorIN6thrust23THRUST_200600_302600_NS5tupleIblNS6_9null_typeES8_S8_S8_S8_S8_S8_S8_EEEEZNS1_11reduce_implILb1ES3_PS9_SC_S9_NS6_11hip_rocprim9__find_if7functorIS9_EEEE10hipError_tPvRmT1_T2_T3_mT4_P12ihipStream_tbEUlT_E1_NS1_11comp_targetILNS1_3genE3ELNS1_11target_archE908ELNS1_3gpuE7ELNS1_3repE0EEENS1_30default_config_static_selectorELNS0_4arch9wavefront6targetE1EEEvSK_
	.globl	_ZN7rocprim17ROCPRIM_400000_NS6detail17trampoline_kernelINS0_14default_configENS1_22reduce_config_selectorIN6thrust23THRUST_200600_302600_NS5tupleIblNS6_9null_typeES8_S8_S8_S8_S8_S8_S8_EEEEZNS1_11reduce_implILb1ES3_PS9_SC_S9_NS6_11hip_rocprim9__find_if7functorIS9_EEEE10hipError_tPvRmT1_T2_T3_mT4_P12ihipStream_tbEUlT_E1_NS1_11comp_targetILNS1_3genE3ELNS1_11target_archE908ELNS1_3gpuE7ELNS1_3repE0EEENS1_30default_config_static_selectorELNS0_4arch9wavefront6targetE1EEEvSK_
	.p2align	8
	.type	_ZN7rocprim17ROCPRIM_400000_NS6detail17trampoline_kernelINS0_14default_configENS1_22reduce_config_selectorIN6thrust23THRUST_200600_302600_NS5tupleIblNS6_9null_typeES8_S8_S8_S8_S8_S8_S8_EEEEZNS1_11reduce_implILb1ES3_PS9_SC_S9_NS6_11hip_rocprim9__find_if7functorIS9_EEEE10hipError_tPvRmT1_T2_T3_mT4_P12ihipStream_tbEUlT_E1_NS1_11comp_targetILNS1_3genE3ELNS1_11target_archE908ELNS1_3gpuE7ELNS1_3repE0EEENS1_30default_config_static_selectorELNS0_4arch9wavefront6targetE1EEEvSK_,@function
_ZN7rocprim17ROCPRIM_400000_NS6detail17trampoline_kernelINS0_14default_configENS1_22reduce_config_selectorIN6thrust23THRUST_200600_302600_NS5tupleIblNS6_9null_typeES8_S8_S8_S8_S8_S8_S8_EEEEZNS1_11reduce_implILb1ES3_PS9_SC_S9_NS6_11hip_rocprim9__find_if7functorIS9_EEEE10hipError_tPvRmT1_T2_T3_mT4_P12ihipStream_tbEUlT_E1_NS1_11comp_targetILNS1_3genE3ELNS1_11target_archE908ELNS1_3gpuE7ELNS1_3repE0EEENS1_30default_config_static_selectorELNS0_4arch9wavefront6targetE1EEEvSK_: ; @_ZN7rocprim17ROCPRIM_400000_NS6detail17trampoline_kernelINS0_14default_configENS1_22reduce_config_selectorIN6thrust23THRUST_200600_302600_NS5tupleIblNS6_9null_typeES8_S8_S8_S8_S8_S8_S8_EEEEZNS1_11reduce_implILb1ES3_PS9_SC_S9_NS6_11hip_rocprim9__find_if7functorIS9_EEEE10hipError_tPvRmT1_T2_T3_mT4_P12ihipStream_tbEUlT_E1_NS1_11comp_targetILNS1_3genE3ELNS1_11target_archE908ELNS1_3gpuE7ELNS1_3repE0EEENS1_30default_config_static_selectorELNS0_4arch9wavefront6targetE1EEEvSK_
; %bb.0:
	.section	.rodata,"a",@progbits
	.p2align	6, 0x0
	.amdhsa_kernel _ZN7rocprim17ROCPRIM_400000_NS6detail17trampoline_kernelINS0_14default_configENS1_22reduce_config_selectorIN6thrust23THRUST_200600_302600_NS5tupleIblNS6_9null_typeES8_S8_S8_S8_S8_S8_S8_EEEEZNS1_11reduce_implILb1ES3_PS9_SC_S9_NS6_11hip_rocprim9__find_if7functorIS9_EEEE10hipError_tPvRmT1_T2_T3_mT4_P12ihipStream_tbEUlT_E1_NS1_11comp_targetILNS1_3genE3ELNS1_11target_archE908ELNS1_3gpuE7ELNS1_3repE0EEENS1_30default_config_static_selectorELNS0_4arch9wavefront6targetE1EEEvSK_
		.amdhsa_group_segment_fixed_size 0
		.amdhsa_private_segment_fixed_size 0
		.amdhsa_kernarg_size 56
		.amdhsa_user_sgpr_count 6
		.amdhsa_user_sgpr_private_segment_buffer 1
		.amdhsa_user_sgpr_dispatch_ptr 0
		.amdhsa_user_sgpr_queue_ptr 0
		.amdhsa_user_sgpr_kernarg_segment_ptr 1
		.amdhsa_user_sgpr_dispatch_id 0
		.amdhsa_user_sgpr_flat_scratch_init 0
		.amdhsa_user_sgpr_kernarg_preload_length 0
		.amdhsa_user_sgpr_kernarg_preload_offset 0
		.amdhsa_user_sgpr_private_segment_size 0
		.amdhsa_uses_dynamic_stack 0
		.amdhsa_system_sgpr_private_segment_wavefront_offset 0
		.amdhsa_system_sgpr_workgroup_id_x 1
		.amdhsa_system_sgpr_workgroup_id_y 0
		.amdhsa_system_sgpr_workgroup_id_z 0
		.amdhsa_system_sgpr_workgroup_info 0
		.amdhsa_system_vgpr_workitem_id 0
		.amdhsa_next_free_vgpr 1
		.amdhsa_next_free_sgpr 0
		.amdhsa_accum_offset 4
		.amdhsa_reserve_vcc 0
		.amdhsa_reserve_flat_scratch 0
		.amdhsa_float_round_mode_32 0
		.amdhsa_float_round_mode_16_64 0
		.amdhsa_float_denorm_mode_32 3
		.amdhsa_float_denorm_mode_16_64 3
		.amdhsa_dx10_clamp 1
		.amdhsa_ieee_mode 1
		.amdhsa_fp16_overflow 0
		.amdhsa_tg_split 0
		.amdhsa_exception_fp_ieee_invalid_op 0
		.amdhsa_exception_fp_denorm_src 0
		.amdhsa_exception_fp_ieee_div_zero 0
		.amdhsa_exception_fp_ieee_overflow 0
		.amdhsa_exception_fp_ieee_underflow 0
		.amdhsa_exception_fp_ieee_inexact 0
		.amdhsa_exception_int_div_zero 0
	.end_amdhsa_kernel
	.section	.text._ZN7rocprim17ROCPRIM_400000_NS6detail17trampoline_kernelINS0_14default_configENS1_22reduce_config_selectorIN6thrust23THRUST_200600_302600_NS5tupleIblNS6_9null_typeES8_S8_S8_S8_S8_S8_S8_EEEEZNS1_11reduce_implILb1ES3_PS9_SC_S9_NS6_11hip_rocprim9__find_if7functorIS9_EEEE10hipError_tPvRmT1_T2_T3_mT4_P12ihipStream_tbEUlT_E1_NS1_11comp_targetILNS1_3genE3ELNS1_11target_archE908ELNS1_3gpuE7ELNS1_3repE0EEENS1_30default_config_static_selectorELNS0_4arch9wavefront6targetE1EEEvSK_,"axG",@progbits,_ZN7rocprim17ROCPRIM_400000_NS6detail17trampoline_kernelINS0_14default_configENS1_22reduce_config_selectorIN6thrust23THRUST_200600_302600_NS5tupleIblNS6_9null_typeES8_S8_S8_S8_S8_S8_S8_EEEEZNS1_11reduce_implILb1ES3_PS9_SC_S9_NS6_11hip_rocprim9__find_if7functorIS9_EEEE10hipError_tPvRmT1_T2_T3_mT4_P12ihipStream_tbEUlT_E1_NS1_11comp_targetILNS1_3genE3ELNS1_11target_archE908ELNS1_3gpuE7ELNS1_3repE0EEENS1_30default_config_static_selectorELNS0_4arch9wavefront6targetE1EEEvSK_,comdat
.Lfunc_end99:
	.size	_ZN7rocprim17ROCPRIM_400000_NS6detail17trampoline_kernelINS0_14default_configENS1_22reduce_config_selectorIN6thrust23THRUST_200600_302600_NS5tupleIblNS6_9null_typeES8_S8_S8_S8_S8_S8_S8_EEEEZNS1_11reduce_implILb1ES3_PS9_SC_S9_NS6_11hip_rocprim9__find_if7functorIS9_EEEE10hipError_tPvRmT1_T2_T3_mT4_P12ihipStream_tbEUlT_E1_NS1_11comp_targetILNS1_3genE3ELNS1_11target_archE908ELNS1_3gpuE7ELNS1_3repE0EEENS1_30default_config_static_selectorELNS0_4arch9wavefront6targetE1EEEvSK_, .Lfunc_end99-_ZN7rocprim17ROCPRIM_400000_NS6detail17trampoline_kernelINS0_14default_configENS1_22reduce_config_selectorIN6thrust23THRUST_200600_302600_NS5tupleIblNS6_9null_typeES8_S8_S8_S8_S8_S8_S8_EEEEZNS1_11reduce_implILb1ES3_PS9_SC_S9_NS6_11hip_rocprim9__find_if7functorIS9_EEEE10hipError_tPvRmT1_T2_T3_mT4_P12ihipStream_tbEUlT_E1_NS1_11comp_targetILNS1_3genE3ELNS1_11target_archE908ELNS1_3gpuE7ELNS1_3repE0EEENS1_30default_config_static_selectorELNS0_4arch9wavefront6targetE1EEEvSK_
                                        ; -- End function
	.section	.AMDGPU.csdata,"",@progbits
; Kernel info:
; codeLenInByte = 0
; NumSgprs: 4
; NumVgprs: 0
; NumAgprs: 0
; TotalNumVgprs: 0
; ScratchSize: 0
; MemoryBound: 0
; FloatMode: 240
; IeeeMode: 1
; LDSByteSize: 0 bytes/workgroup (compile time only)
; SGPRBlocks: 0
; VGPRBlocks: 0
; NumSGPRsForWavesPerEU: 4
; NumVGPRsForWavesPerEU: 1
; AccumOffset: 4
; Occupancy: 8
; WaveLimiterHint : 0
; COMPUTE_PGM_RSRC2:SCRATCH_EN: 0
; COMPUTE_PGM_RSRC2:USER_SGPR: 6
; COMPUTE_PGM_RSRC2:TRAP_HANDLER: 0
; COMPUTE_PGM_RSRC2:TGID_X_EN: 1
; COMPUTE_PGM_RSRC2:TGID_Y_EN: 0
; COMPUTE_PGM_RSRC2:TGID_Z_EN: 0
; COMPUTE_PGM_RSRC2:TIDIG_COMP_CNT: 0
; COMPUTE_PGM_RSRC3_GFX90A:ACCUM_OFFSET: 0
; COMPUTE_PGM_RSRC3_GFX90A:TG_SPLIT: 0
	.section	.text._ZN7rocprim17ROCPRIM_400000_NS6detail17trampoline_kernelINS0_14default_configENS1_22reduce_config_selectorIN6thrust23THRUST_200600_302600_NS5tupleIblNS6_9null_typeES8_S8_S8_S8_S8_S8_S8_EEEEZNS1_11reduce_implILb1ES3_PS9_SC_S9_NS6_11hip_rocprim9__find_if7functorIS9_EEEE10hipError_tPvRmT1_T2_T3_mT4_P12ihipStream_tbEUlT_E1_NS1_11comp_targetILNS1_3genE2ELNS1_11target_archE906ELNS1_3gpuE6ELNS1_3repE0EEENS1_30default_config_static_selectorELNS0_4arch9wavefront6targetE1EEEvSK_,"axG",@progbits,_ZN7rocprim17ROCPRIM_400000_NS6detail17trampoline_kernelINS0_14default_configENS1_22reduce_config_selectorIN6thrust23THRUST_200600_302600_NS5tupleIblNS6_9null_typeES8_S8_S8_S8_S8_S8_S8_EEEEZNS1_11reduce_implILb1ES3_PS9_SC_S9_NS6_11hip_rocprim9__find_if7functorIS9_EEEE10hipError_tPvRmT1_T2_T3_mT4_P12ihipStream_tbEUlT_E1_NS1_11comp_targetILNS1_3genE2ELNS1_11target_archE906ELNS1_3gpuE6ELNS1_3repE0EEENS1_30default_config_static_selectorELNS0_4arch9wavefront6targetE1EEEvSK_,comdat
	.protected	_ZN7rocprim17ROCPRIM_400000_NS6detail17trampoline_kernelINS0_14default_configENS1_22reduce_config_selectorIN6thrust23THRUST_200600_302600_NS5tupleIblNS6_9null_typeES8_S8_S8_S8_S8_S8_S8_EEEEZNS1_11reduce_implILb1ES3_PS9_SC_S9_NS6_11hip_rocprim9__find_if7functorIS9_EEEE10hipError_tPvRmT1_T2_T3_mT4_P12ihipStream_tbEUlT_E1_NS1_11comp_targetILNS1_3genE2ELNS1_11target_archE906ELNS1_3gpuE6ELNS1_3repE0EEENS1_30default_config_static_selectorELNS0_4arch9wavefront6targetE1EEEvSK_ ; -- Begin function _ZN7rocprim17ROCPRIM_400000_NS6detail17trampoline_kernelINS0_14default_configENS1_22reduce_config_selectorIN6thrust23THRUST_200600_302600_NS5tupleIblNS6_9null_typeES8_S8_S8_S8_S8_S8_S8_EEEEZNS1_11reduce_implILb1ES3_PS9_SC_S9_NS6_11hip_rocprim9__find_if7functorIS9_EEEE10hipError_tPvRmT1_T2_T3_mT4_P12ihipStream_tbEUlT_E1_NS1_11comp_targetILNS1_3genE2ELNS1_11target_archE906ELNS1_3gpuE6ELNS1_3repE0EEENS1_30default_config_static_selectorELNS0_4arch9wavefront6targetE1EEEvSK_
	.globl	_ZN7rocprim17ROCPRIM_400000_NS6detail17trampoline_kernelINS0_14default_configENS1_22reduce_config_selectorIN6thrust23THRUST_200600_302600_NS5tupleIblNS6_9null_typeES8_S8_S8_S8_S8_S8_S8_EEEEZNS1_11reduce_implILb1ES3_PS9_SC_S9_NS6_11hip_rocprim9__find_if7functorIS9_EEEE10hipError_tPvRmT1_T2_T3_mT4_P12ihipStream_tbEUlT_E1_NS1_11comp_targetILNS1_3genE2ELNS1_11target_archE906ELNS1_3gpuE6ELNS1_3repE0EEENS1_30default_config_static_selectorELNS0_4arch9wavefront6targetE1EEEvSK_
	.p2align	8
	.type	_ZN7rocprim17ROCPRIM_400000_NS6detail17trampoline_kernelINS0_14default_configENS1_22reduce_config_selectorIN6thrust23THRUST_200600_302600_NS5tupleIblNS6_9null_typeES8_S8_S8_S8_S8_S8_S8_EEEEZNS1_11reduce_implILb1ES3_PS9_SC_S9_NS6_11hip_rocprim9__find_if7functorIS9_EEEE10hipError_tPvRmT1_T2_T3_mT4_P12ihipStream_tbEUlT_E1_NS1_11comp_targetILNS1_3genE2ELNS1_11target_archE906ELNS1_3gpuE6ELNS1_3repE0EEENS1_30default_config_static_selectorELNS0_4arch9wavefront6targetE1EEEvSK_,@function
_ZN7rocprim17ROCPRIM_400000_NS6detail17trampoline_kernelINS0_14default_configENS1_22reduce_config_selectorIN6thrust23THRUST_200600_302600_NS5tupleIblNS6_9null_typeES8_S8_S8_S8_S8_S8_S8_EEEEZNS1_11reduce_implILb1ES3_PS9_SC_S9_NS6_11hip_rocprim9__find_if7functorIS9_EEEE10hipError_tPvRmT1_T2_T3_mT4_P12ihipStream_tbEUlT_E1_NS1_11comp_targetILNS1_3genE2ELNS1_11target_archE906ELNS1_3gpuE6ELNS1_3repE0EEENS1_30default_config_static_selectorELNS0_4arch9wavefront6targetE1EEEvSK_: ; @_ZN7rocprim17ROCPRIM_400000_NS6detail17trampoline_kernelINS0_14default_configENS1_22reduce_config_selectorIN6thrust23THRUST_200600_302600_NS5tupleIblNS6_9null_typeES8_S8_S8_S8_S8_S8_S8_EEEEZNS1_11reduce_implILb1ES3_PS9_SC_S9_NS6_11hip_rocprim9__find_if7functorIS9_EEEE10hipError_tPvRmT1_T2_T3_mT4_P12ihipStream_tbEUlT_E1_NS1_11comp_targetILNS1_3genE2ELNS1_11target_archE906ELNS1_3gpuE6ELNS1_3repE0EEENS1_30default_config_static_selectorELNS0_4arch9wavefront6targetE1EEEvSK_
; %bb.0:
	.section	.rodata,"a",@progbits
	.p2align	6, 0x0
	.amdhsa_kernel _ZN7rocprim17ROCPRIM_400000_NS6detail17trampoline_kernelINS0_14default_configENS1_22reduce_config_selectorIN6thrust23THRUST_200600_302600_NS5tupleIblNS6_9null_typeES8_S8_S8_S8_S8_S8_S8_EEEEZNS1_11reduce_implILb1ES3_PS9_SC_S9_NS6_11hip_rocprim9__find_if7functorIS9_EEEE10hipError_tPvRmT1_T2_T3_mT4_P12ihipStream_tbEUlT_E1_NS1_11comp_targetILNS1_3genE2ELNS1_11target_archE906ELNS1_3gpuE6ELNS1_3repE0EEENS1_30default_config_static_selectorELNS0_4arch9wavefront6targetE1EEEvSK_
		.amdhsa_group_segment_fixed_size 0
		.amdhsa_private_segment_fixed_size 0
		.amdhsa_kernarg_size 56
		.amdhsa_user_sgpr_count 6
		.amdhsa_user_sgpr_private_segment_buffer 1
		.amdhsa_user_sgpr_dispatch_ptr 0
		.amdhsa_user_sgpr_queue_ptr 0
		.amdhsa_user_sgpr_kernarg_segment_ptr 1
		.amdhsa_user_sgpr_dispatch_id 0
		.amdhsa_user_sgpr_flat_scratch_init 0
		.amdhsa_user_sgpr_kernarg_preload_length 0
		.amdhsa_user_sgpr_kernarg_preload_offset 0
		.amdhsa_user_sgpr_private_segment_size 0
		.amdhsa_uses_dynamic_stack 0
		.amdhsa_system_sgpr_private_segment_wavefront_offset 0
		.amdhsa_system_sgpr_workgroup_id_x 1
		.amdhsa_system_sgpr_workgroup_id_y 0
		.amdhsa_system_sgpr_workgroup_id_z 0
		.amdhsa_system_sgpr_workgroup_info 0
		.amdhsa_system_vgpr_workitem_id 0
		.amdhsa_next_free_vgpr 1
		.amdhsa_next_free_sgpr 0
		.amdhsa_accum_offset 4
		.amdhsa_reserve_vcc 0
		.amdhsa_reserve_flat_scratch 0
		.amdhsa_float_round_mode_32 0
		.amdhsa_float_round_mode_16_64 0
		.amdhsa_float_denorm_mode_32 3
		.amdhsa_float_denorm_mode_16_64 3
		.amdhsa_dx10_clamp 1
		.amdhsa_ieee_mode 1
		.amdhsa_fp16_overflow 0
		.amdhsa_tg_split 0
		.amdhsa_exception_fp_ieee_invalid_op 0
		.amdhsa_exception_fp_denorm_src 0
		.amdhsa_exception_fp_ieee_div_zero 0
		.amdhsa_exception_fp_ieee_overflow 0
		.amdhsa_exception_fp_ieee_underflow 0
		.amdhsa_exception_fp_ieee_inexact 0
		.amdhsa_exception_int_div_zero 0
	.end_amdhsa_kernel
	.section	.text._ZN7rocprim17ROCPRIM_400000_NS6detail17trampoline_kernelINS0_14default_configENS1_22reduce_config_selectorIN6thrust23THRUST_200600_302600_NS5tupleIblNS6_9null_typeES8_S8_S8_S8_S8_S8_S8_EEEEZNS1_11reduce_implILb1ES3_PS9_SC_S9_NS6_11hip_rocprim9__find_if7functorIS9_EEEE10hipError_tPvRmT1_T2_T3_mT4_P12ihipStream_tbEUlT_E1_NS1_11comp_targetILNS1_3genE2ELNS1_11target_archE906ELNS1_3gpuE6ELNS1_3repE0EEENS1_30default_config_static_selectorELNS0_4arch9wavefront6targetE1EEEvSK_,"axG",@progbits,_ZN7rocprim17ROCPRIM_400000_NS6detail17trampoline_kernelINS0_14default_configENS1_22reduce_config_selectorIN6thrust23THRUST_200600_302600_NS5tupleIblNS6_9null_typeES8_S8_S8_S8_S8_S8_S8_EEEEZNS1_11reduce_implILb1ES3_PS9_SC_S9_NS6_11hip_rocprim9__find_if7functorIS9_EEEE10hipError_tPvRmT1_T2_T3_mT4_P12ihipStream_tbEUlT_E1_NS1_11comp_targetILNS1_3genE2ELNS1_11target_archE906ELNS1_3gpuE6ELNS1_3repE0EEENS1_30default_config_static_selectorELNS0_4arch9wavefront6targetE1EEEvSK_,comdat
.Lfunc_end100:
	.size	_ZN7rocprim17ROCPRIM_400000_NS6detail17trampoline_kernelINS0_14default_configENS1_22reduce_config_selectorIN6thrust23THRUST_200600_302600_NS5tupleIblNS6_9null_typeES8_S8_S8_S8_S8_S8_S8_EEEEZNS1_11reduce_implILb1ES3_PS9_SC_S9_NS6_11hip_rocprim9__find_if7functorIS9_EEEE10hipError_tPvRmT1_T2_T3_mT4_P12ihipStream_tbEUlT_E1_NS1_11comp_targetILNS1_3genE2ELNS1_11target_archE906ELNS1_3gpuE6ELNS1_3repE0EEENS1_30default_config_static_selectorELNS0_4arch9wavefront6targetE1EEEvSK_, .Lfunc_end100-_ZN7rocprim17ROCPRIM_400000_NS6detail17trampoline_kernelINS0_14default_configENS1_22reduce_config_selectorIN6thrust23THRUST_200600_302600_NS5tupleIblNS6_9null_typeES8_S8_S8_S8_S8_S8_S8_EEEEZNS1_11reduce_implILb1ES3_PS9_SC_S9_NS6_11hip_rocprim9__find_if7functorIS9_EEEE10hipError_tPvRmT1_T2_T3_mT4_P12ihipStream_tbEUlT_E1_NS1_11comp_targetILNS1_3genE2ELNS1_11target_archE906ELNS1_3gpuE6ELNS1_3repE0EEENS1_30default_config_static_selectorELNS0_4arch9wavefront6targetE1EEEvSK_
                                        ; -- End function
	.section	.AMDGPU.csdata,"",@progbits
; Kernel info:
; codeLenInByte = 0
; NumSgprs: 4
; NumVgprs: 0
; NumAgprs: 0
; TotalNumVgprs: 0
; ScratchSize: 0
; MemoryBound: 0
; FloatMode: 240
; IeeeMode: 1
; LDSByteSize: 0 bytes/workgroup (compile time only)
; SGPRBlocks: 0
; VGPRBlocks: 0
; NumSGPRsForWavesPerEU: 4
; NumVGPRsForWavesPerEU: 1
; AccumOffset: 4
; Occupancy: 8
; WaveLimiterHint : 0
; COMPUTE_PGM_RSRC2:SCRATCH_EN: 0
; COMPUTE_PGM_RSRC2:USER_SGPR: 6
; COMPUTE_PGM_RSRC2:TRAP_HANDLER: 0
; COMPUTE_PGM_RSRC2:TGID_X_EN: 1
; COMPUTE_PGM_RSRC2:TGID_Y_EN: 0
; COMPUTE_PGM_RSRC2:TGID_Z_EN: 0
; COMPUTE_PGM_RSRC2:TIDIG_COMP_CNT: 0
; COMPUTE_PGM_RSRC3_GFX90A:ACCUM_OFFSET: 0
; COMPUTE_PGM_RSRC3_GFX90A:TG_SPLIT: 0
	.section	.text._ZN7rocprim17ROCPRIM_400000_NS6detail17trampoline_kernelINS0_14default_configENS1_22reduce_config_selectorIN6thrust23THRUST_200600_302600_NS5tupleIblNS6_9null_typeES8_S8_S8_S8_S8_S8_S8_EEEEZNS1_11reduce_implILb1ES3_PS9_SC_S9_NS6_11hip_rocprim9__find_if7functorIS9_EEEE10hipError_tPvRmT1_T2_T3_mT4_P12ihipStream_tbEUlT_E1_NS1_11comp_targetILNS1_3genE10ELNS1_11target_archE1201ELNS1_3gpuE5ELNS1_3repE0EEENS1_30default_config_static_selectorELNS0_4arch9wavefront6targetE1EEEvSK_,"axG",@progbits,_ZN7rocprim17ROCPRIM_400000_NS6detail17trampoline_kernelINS0_14default_configENS1_22reduce_config_selectorIN6thrust23THRUST_200600_302600_NS5tupleIblNS6_9null_typeES8_S8_S8_S8_S8_S8_S8_EEEEZNS1_11reduce_implILb1ES3_PS9_SC_S9_NS6_11hip_rocprim9__find_if7functorIS9_EEEE10hipError_tPvRmT1_T2_T3_mT4_P12ihipStream_tbEUlT_E1_NS1_11comp_targetILNS1_3genE10ELNS1_11target_archE1201ELNS1_3gpuE5ELNS1_3repE0EEENS1_30default_config_static_selectorELNS0_4arch9wavefront6targetE1EEEvSK_,comdat
	.protected	_ZN7rocprim17ROCPRIM_400000_NS6detail17trampoline_kernelINS0_14default_configENS1_22reduce_config_selectorIN6thrust23THRUST_200600_302600_NS5tupleIblNS6_9null_typeES8_S8_S8_S8_S8_S8_S8_EEEEZNS1_11reduce_implILb1ES3_PS9_SC_S9_NS6_11hip_rocprim9__find_if7functorIS9_EEEE10hipError_tPvRmT1_T2_T3_mT4_P12ihipStream_tbEUlT_E1_NS1_11comp_targetILNS1_3genE10ELNS1_11target_archE1201ELNS1_3gpuE5ELNS1_3repE0EEENS1_30default_config_static_selectorELNS0_4arch9wavefront6targetE1EEEvSK_ ; -- Begin function _ZN7rocprim17ROCPRIM_400000_NS6detail17trampoline_kernelINS0_14default_configENS1_22reduce_config_selectorIN6thrust23THRUST_200600_302600_NS5tupleIblNS6_9null_typeES8_S8_S8_S8_S8_S8_S8_EEEEZNS1_11reduce_implILb1ES3_PS9_SC_S9_NS6_11hip_rocprim9__find_if7functorIS9_EEEE10hipError_tPvRmT1_T2_T3_mT4_P12ihipStream_tbEUlT_E1_NS1_11comp_targetILNS1_3genE10ELNS1_11target_archE1201ELNS1_3gpuE5ELNS1_3repE0EEENS1_30default_config_static_selectorELNS0_4arch9wavefront6targetE1EEEvSK_
	.globl	_ZN7rocprim17ROCPRIM_400000_NS6detail17trampoline_kernelINS0_14default_configENS1_22reduce_config_selectorIN6thrust23THRUST_200600_302600_NS5tupleIblNS6_9null_typeES8_S8_S8_S8_S8_S8_S8_EEEEZNS1_11reduce_implILb1ES3_PS9_SC_S9_NS6_11hip_rocprim9__find_if7functorIS9_EEEE10hipError_tPvRmT1_T2_T3_mT4_P12ihipStream_tbEUlT_E1_NS1_11comp_targetILNS1_3genE10ELNS1_11target_archE1201ELNS1_3gpuE5ELNS1_3repE0EEENS1_30default_config_static_selectorELNS0_4arch9wavefront6targetE1EEEvSK_
	.p2align	8
	.type	_ZN7rocprim17ROCPRIM_400000_NS6detail17trampoline_kernelINS0_14default_configENS1_22reduce_config_selectorIN6thrust23THRUST_200600_302600_NS5tupleIblNS6_9null_typeES8_S8_S8_S8_S8_S8_S8_EEEEZNS1_11reduce_implILb1ES3_PS9_SC_S9_NS6_11hip_rocprim9__find_if7functorIS9_EEEE10hipError_tPvRmT1_T2_T3_mT4_P12ihipStream_tbEUlT_E1_NS1_11comp_targetILNS1_3genE10ELNS1_11target_archE1201ELNS1_3gpuE5ELNS1_3repE0EEENS1_30default_config_static_selectorELNS0_4arch9wavefront6targetE1EEEvSK_,@function
_ZN7rocprim17ROCPRIM_400000_NS6detail17trampoline_kernelINS0_14default_configENS1_22reduce_config_selectorIN6thrust23THRUST_200600_302600_NS5tupleIblNS6_9null_typeES8_S8_S8_S8_S8_S8_S8_EEEEZNS1_11reduce_implILb1ES3_PS9_SC_S9_NS6_11hip_rocprim9__find_if7functorIS9_EEEE10hipError_tPvRmT1_T2_T3_mT4_P12ihipStream_tbEUlT_E1_NS1_11comp_targetILNS1_3genE10ELNS1_11target_archE1201ELNS1_3gpuE5ELNS1_3repE0EEENS1_30default_config_static_selectorELNS0_4arch9wavefront6targetE1EEEvSK_: ; @_ZN7rocprim17ROCPRIM_400000_NS6detail17trampoline_kernelINS0_14default_configENS1_22reduce_config_selectorIN6thrust23THRUST_200600_302600_NS5tupleIblNS6_9null_typeES8_S8_S8_S8_S8_S8_S8_EEEEZNS1_11reduce_implILb1ES3_PS9_SC_S9_NS6_11hip_rocprim9__find_if7functorIS9_EEEE10hipError_tPvRmT1_T2_T3_mT4_P12ihipStream_tbEUlT_E1_NS1_11comp_targetILNS1_3genE10ELNS1_11target_archE1201ELNS1_3gpuE5ELNS1_3repE0EEENS1_30default_config_static_selectorELNS0_4arch9wavefront6targetE1EEEvSK_
; %bb.0:
	.section	.rodata,"a",@progbits
	.p2align	6, 0x0
	.amdhsa_kernel _ZN7rocprim17ROCPRIM_400000_NS6detail17trampoline_kernelINS0_14default_configENS1_22reduce_config_selectorIN6thrust23THRUST_200600_302600_NS5tupleIblNS6_9null_typeES8_S8_S8_S8_S8_S8_S8_EEEEZNS1_11reduce_implILb1ES3_PS9_SC_S9_NS6_11hip_rocprim9__find_if7functorIS9_EEEE10hipError_tPvRmT1_T2_T3_mT4_P12ihipStream_tbEUlT_E1_NS1_11comp_targetILNS1_3genE10ELNS1_11target_archE1201ELNS1_3gpuE5ELNS1_3repE0EEENS1_30default_config_static_selectorELNS0_4arch9wavefront6targetE1EEEvSK_
		.amdhsa_group_segment_fixed_size 0
		.amdhsa_private_segment_fixed_size 0
		.amdhsa_kernarg_size 56
		.amdhsa_user_sgpr_count 6
		.amdhsa_user_sgpr_private_segment_buffer 1
		.amdhsa_user_sgpr_dispatch_ptr 0
		.amdhsa_user_sgpr_queue_ptr 0
		.amdhsa_user_sgpr_kernarg_segment_ptr 1
		.amdhsa_user_sgpr_dispatch_id 0
		.amdhsa_user_sgpr_flat_scratch_init 0
		.amdhsa_user_sgpr_kernarg_preload_length 0
		.amdhsa_user_sgpr_kernarg_preload_offset 0
		.amdhsa_user_sgpr_private_segment_size 0
		.amdhsa_uses_dynamic_stack 0
		.amdhsa_system_sgpr_private_segment_wavefront_offset 0
		.amdhsa_system_sgpr_workgroup_id_x 1
		.amdhsa_system_sgpr_workgroup_id_y 0
		.amdhsa_system_sgpr_workgroup_id_z 0
		.amdhsa_system_sgpr_workgroup_info 0
		.amdhsa_system_vgpr_workitem_id 0
		.amdhsa_next_free_vgpr 1
		.amdhsa_next_free_sgpr 0
		.amdhsa_accum_offset 4
		.amdhsa_reserve_vcc 0
		.amdhsa_reserve_flat_scratch 0
		.amdhsa_float_round_mode_32 0
		.amdhsa_float_round_mode_16_64 0
		.amdhsa_float_denorm_mode_32 3
		.amdhsa_float_denorm_mode_16_64 3
		.amdhsa_dx10_clamp 1
		.amdhsa_ieee_mode 1
		.amdhsa_fp16_overflow 0
		.amdhsa_tg_split 0
		.amdhsa_exception_fp_ieee_invalid_op 0
		.amdhsa_exception_fp_denorm_src 0
		.amdhsa_exception_fp_ieee_div_zero 0
		.amdhsa_exception_fp_ieee_overflow 0
		.amdhsa_exception_fp_ieee_underflow 0
		.amdhsa_exception_fp_ieee_inexact 0
		.amdhsa_exception_int_div_zero 0
	.end_amdhsa_kernel
	.section	.text._ZN7rocprim17ROCPRIM_400000_NS6detail17trampoline_kernelINS0_14default_configENS1_22reduce_config_selectorIN6thrust23THRUST_200600_302600_NS5tupleIblNS6_9null_typeES8_S8_S8_S8_S8_S8_S8_EEEEZNS1_11reduce_implILb1ES3_PS9_SC_S9_NS6_11hip_rocprim9__find_if7functorIS9_EEEE10hipError_tPvRmT1_T2_T3_mT4_P12ihipStream_tbEUlT_E1_NS1_11comp_targetILNS1_3genE10ELNS1_11target_archE1201ELNS1_3gpuE5ELNS1_3repE0EEENS1_30default_config_static_selectorELNS0_4arch9wavefront6targetE1EEEvSK_,"axG",@progbits,_ZN7rocprim17ROCPRIM_400000_NS6detail17trampoline_kernelINS0_14default_configENS1_22reduce_config_selectorIN6thrust23THRUST_200600_302600_NS5tupleIblNS6_9null_typeES8_S8_S8_S8_S8_S8_S8_EEEEZNS1_11reduce_implILb1ES3_PS9_SC_S9_NS6_11hip_rocprim9__find_if7functorIS9_EEEE10hipError_tPvRmT1_T2_T3_mT4_P12ihipStream_tbEUlT_E1_NS1_11comp_targetILNS1_3genE10ELNS1_11target_archE1201ELNS1_3gpuE5ELNS1_3repE0EEENS1_30default_config_static_selectorELNS0_4arch9wavefront6targetE1EEEvSK_,comdat
.Lfunc_end101:
	.size	_ZN7rocprim17ROCPRIM_400000_NS6detail17trampoline_kernelINS0_14default_configENS1_22reduce_config_selectorIN6thrust23THRUST_200600_302600_NS5tupleIblNS6_9null_typeES8_S8_S8_S8_S8_S8_S8_EEEEZNS1_11reduce_implILb1ES3_PS9_SC_S9_NS6_11hip_rocprim9__find_if7functorIS9_EEEE10hipError_tPvRmT1_T2_T3_mT4_P12ihipStream_tbEUlT_E1_NS1_11comp_targetILNS1_3genE10ELNS1_11target_archE1201ELNS1_3gpuE5ELNS1_3repE0EEENS1_30default_config_static_selectorELNS0_4arch9wavefront6targetE1EEEvSK_, .Lfunc_end101-_ZN7rocprim17ROCPRIM_400000_NS6detail17trampoline_kernelINS0_14default_configENS1_22reduce_config_selectorIN6thrust23THRUST_200600_302600_NS5tupleIblNS6_9null_typeES8_S8_S8_S8_S8_S8_S8_EEEEZNS1_11reduce_implILb1ES3_PS9_SC_S9_NS6_11hip_rocprim9__find_if7functorIS9_EEEE10hipError_tPvRmT1_T2_T3_mT4_P12ihipStream_tbEUlT_E1_NS1_11comp_targetILNS1_3genE10ELNS1_11target_archE1201ELNS1_3gpuE5ELNS1_3repE0EEENS1_30default_config_static_selectorELNS0_4arch9wavefront6targetE1EEEvSK_
                                        ; -- End function
	.section	.AMDGPU.csdata,"",@progbits
; Kernel info:
; codeLenInByte = 0
; NumSgprs: 4
; NumVgprs: 0
; NumAgprs: 0
; TotalNumVgprs: 0
; ScratchSize: 0
; MemoryBound: 0
; FloatMode: 240
; IeeeMode: 1
; LDSByteSize: 0 bytes/workgroup (compile time only)
; SGPRBlocks: 0
; VGPRBlocks: 0
; NumSGPRsForWavesPerEU: 4
; NumVGPRsForWavesPerEU: 1
; AccumOffset: 4
; Occupancy: 8
; WaveLimiterHint : 0
; COMPUTE_PGM_RSRC2:SCRATCH_EN: 0
; COMPUTE_PGM_RSRC2:USER_SGPR: 6
; COMPUTE_PGM_RSRC2:TRAP_HANDLER: 0
; COMPUTE_PGM_RSRC2:TGID_X_EN: 1
; COMPUTE_PGM_RSRC2:TGID_Y_EN: 0
; COMPUTE_PGM_RSRC2:TGID_Z_EN: 0
; COMPUTE_PGM_RSRC2:TIDIG_COMP_CNT: 0
; COMPUTE_PGM_RSRC3_GFX90A:ACCUM_OFFSET: 0
; COMPUTE_PGM_RSRC3_GFX90A:TG_SPLIT: 0
	.section	.text._ZN7rocprim17ROCPRIM_400000_NS6detail17trampoline_kernelINS0_14default_configENS1_22reduce_config_selectorIN6thrust23THRUST_200600_302600_NS5tupleIblNS6_9null_typeES8_S8_S8_S8_S8_S8_S8_EEEEZNS1_11reduce_implILb1ES3_PS9_SC_S9_NS6_11hip_rocprim9__find_if7functorIS9_EEEE10hipError_tPvRmT1_T2_T3_mT4_P12ihipStream_tbEUlT_E1_NS1_11comp_targetILNS1_3genE10ELNS1_11target_archE1200ELNS1_3gpuE4ELNS1_3repE0EEENS1_30default_config_static_selectorELNS0_4arch9wavefront6targetE1EEEvSK_,"axG",@progbits,_ZN7rocprim17ROCPRIM_400000_NS6detail17trampoline_kernelINS0_14default_configENS1_22reduce_config_selectorIN6thrust23THRUST_200600_302600_NS5tupleIblNS6_9null_typeES8_S8_S8_S8_S8_S8_S8_EEEEZNS1_11reduce_implILb1ES3_PS9_SC_S9_NS6_11hip_rocprim9__find_if7functorIS9_EEEE10hipError_tPvRmT1_T2_T3_mT4_P12ihipStream_tbEUlT_E1_NS1_11comp_targetILNS1_3genE10ELNS1_11target_archE1200ELNS1_3gpuE4ELNS1_3repE0EEENS1_30default_config_static_selectorELNS0_4arch9wavefront6targetE1EEEvSK_,comdat
	.protected	_ZN7rocprim17ROCPRIM_400000_NS6detail17trampoline_kernelINS0_14default_configENS1_22reduce_config_selectorIN6thrust23THRUST_200600_302600_NS5tupleIblNS6_9null_typeES8_S8_S8_S8_S8_S8_S8_EEEEZNS1_11reduce_implILb1ES3_PS9_SC_S9_NS6_11hip_rocprim9__find_if7functorIS9_EEEE10hipError_tPvRmT1_T2_T3_mT4_P12ihipStream_tbEUlT_E1_NS1_11comp_targetILNS1_3genE10ELNS1_11target_archE1200ELNS1_3gpuE4ELNS1_3repE0EEENS1_30default_config_static_selectorELNS0_4arch9wavefront6targetE1EEEvSK_ ; -- Begin function _ZN7rocprim17ROCPRIM_400000_NS6detail17trampoline_kernelINS0_14default_configENS1_22reduce_config_selectorIN6thrust23THRUST_200600_302600_NS5tupleIblNS6_9null_typeES8_S8_S8_S8_S8_S8_S8_EEEEZNS1_11reduce_implILb1ES3_PS9_SC_S9_NS6_11hip_rocprim9__find_if7functorIS9_EEEE10hipError_tPvRmT1_T2_T3_mT4_P12ihipStream_tbEUlT_E1_NS1_11comp_targetILNS1_3genE10ELNS1_11target_archE1200ELNS1_3gpuE4ELNS1_3repE0EEENS1_30default_config_static_selectorELNS0_4arch9wavefront6targetE1EEEvSK_
	.globl	_ZN7rocprim17ROCPRIM_400000_NS6detail17trampoline_kernelINS0_14default_configENS1_22reduce_config_selectorIN6thrust23THRUST_200600_302600_NS5tupleIblNS6_9null_typeES8_S8_S8_S8_S8_S8_S8_EEEEZNS1_11reduce_implILb1ES3_PS9_SC_S9_NS6_11hip_rocprim9__find_if7functorIS9_EEEE10hipError_tPvRmT1_T2_T3_mT4_P12ihipStream_tbEUlT_E1_NS1_11comp_targetILNS1_3genE10ELNS1_11target_archE1200ELNS1_3gpuE4ELNS1_3repE0EEENS1_30default_config_static_selectorELNS0_4arch9wavefront6targetE1EEEvSK_
	.p2align	8
	.type	_ZN7rocprim17ROCPRIM_400000_NS6detail17trampoline_kernelINS0_14default_configENS1_22reduce_config_selectorIN6thrust23THRUST_200600_302600_NS5tupleIblNS6_9null_typeES8_S8_S8_S8_S8_S8_S8_EEEEZNS1_11reduce_implILb1ES3_PS9_SC_S9_NS6_11hip_rocprim9__find_if7functorIS9_EEEE10hipError_tPvRmT1_T2_T3_mT4_P12ihipStream_tbEUlT_E1_NS1_11comp_targetILNS1_3genE10ELNS1_11target_archE1200ELNS1_3gpuE4ELNS1_3repE0EEENS1_30default_config_static_selectorELNS0_4arch9wavefront6targetE1EEEvSK_,@function
_ZN7rocprim17ROCPRIM_400000_NS6detail17trampoline_kernelINS0_14default_configENS1_22reduce_config_selectorIN6thrust23THRUST_200600_302600_NS5tupleIblNS6_9null_typeES8_S8_S8_S8_S8_S8_S8_EEEEZNS1_11reduce_implILb1ES3_PS9_SC_S9_NS6_11hip_rocprim9__find_if7functorIS9_EEEE10hipError_tPvRmT1_T2_T3_mT4_P12ihipStream_tbEUlT_E1_NS1_11comp_targetILNS1_3genE10ELNS1_11target_archE1200ELNS1_3gpuE4ELNS1_3repE0EEENS1_30default_config_static_selectorELNS0_4arch9wavefront6targetE1EEEvSK_: ; @_ZN7rocprim17ROCPRIM_400000_NS6detail17trampoline_kernelINS0_14default_configENS1_22reduce_config_selectorIN6thrust23THRUST_200600_302600_NS5tupleIblNS6_9null_typeES8_S8_S8_S8_S8_S8_S8_EEEEZNS1_11reduce_implILb1ES3_PS9_SC_S9_NS6_11hip_rocprim9__find_if7functorIS9_EEEE10hipError_tPvRmT1_T2_T3_mT4_P12ihipStream_tbEUlT_E1_NS1_11comp_targetILNS1_3genE10ELNS1_11target_archE1200ELNS1_3gpuE4ELNS1_3repE0EEENS1_30default_config_static_selectorELNS0_4arch9wavefront6targetE1EEEvSK_
; %bb.0:
	.section	.rodata,"a",@progbits
	.p2align	6, 0x0
	.amdhsa_kernel _ZN7rocprim17ROCPRIM_400000_NS6detail17trampoline_kernelINS0_14default_configENS1_22reduce_config_selectorIN6thrust23THRUST_200600_302600_NS5tupleIblNS6_9null_typeES8_S8_S8_S8_S8_S8_S8_EEEEZNS1_11reduce_implILb1ES3_PS9_SC_S9_NS6_11hip_rocprim9__find_if7functorIS9_EEEE10hipError_tPvRmT1_T2_T3_mT4_P12ihipStream_tbEUlT_E1_NS1_11comp_targetILNS1_3genE10ELNS1_11target_archE1200ELNS1_3gpuE4ELNS1_3repE0EEENS1_30default_config_static_selectorELNS0_4arch9wavefront6targetE1EEEvSK_
		.amdhsa_group_segment_fixed_size 0
		.amdhsa_private_segment_fixed_size 0
		.amdhsa_kernarg_size 56
		.amdhsa_user_sgpr_count 6
		.amdhsa_user_sgpr_private_segment_buffer 1
		.amdhsa_user_sgpr_dispatch_ptr 0
		.amdhsa_user_sgpr_queue_ptr 0
		.amdhsa_user_sgpr_kernarg_segment_ptr 1
		.amdhsa_user_sgpr_dispatch_id 0
		.amdhsa_user_sgpr_flat_scratch_init 0
		.amdhsa_user_sgpr_kernarg_preload_length 0
		.amdhsa_user_sgpr_kernarg_preload_offset 0
		.amdhsa_user_sgpr_private_segment_size 0
		.amdhsa_uses_dynamic_stack 0
		.amdhsa_system_sgpr_private_segment_wavefront_offset 0
		.amdhsa_system_sgpr_workgroup_id_x 1
		.amdhsa_system_sgpr_workgroup_id_y 0
		.amdhsa_system_sgpr_workgroup_id_z 0
		.amdhsa_system_sgpr_workgroup_info 0
		.amdhsa_system_vgpr_workitem_id 0
		.amdhsa_next_free_vgpr 1
		.amdhsa_next_free_sgpr 0
		.amdhsa_accum_offset 4
		.amdhsa_reserve_vcc 0
		.amdhsa_reserve_flat_scratch 0
		.amdhsa_float_round_mode_32 0
		.amdhsa_float_round_mode_16_64 0
		.amdhsa_float_denorm_mode_32 3
		.amdhsa_float_denorm_mode_16_64 3
		.amdhsa_dx10_clamp 1
		.amdhsa_ieee_mode 1
		.amdhsa_fp16_overflow 0
		.amdhsa_tg_split 0
		.amdhsa_exception_fp_ieee_invalid_op 0
		.amdhsa_exception_fp_denorm_src 0
		.amdhsa_exception_fp_ieee_div_zero 0
		.amdhsa_exception_fp_ieee_overflow 0
		.amdhsa_exception_fp_ieee_underflow 0
		.amdhsa_exception_fp_ieee_inexact 0
		.amdhsa_exception_int_div_zero 0
	.end_amdhsa_kernel
	.section	.text._ZN7rocprim17ROCPRIM_400000_NS6detail17trampoline_kernelINS0_14default_configENS1_22reduce_config_selectorIN6thrust23THRUST_200600_302600_NS5tupleIblNS6_9null_typeES8_S8_S8_S8_S8_S8_S8_EEEEZNS1_11reduce_implILb1ES3_PS9_SC_S9_NS6_11hip_rocprim9__find_if7functorIS9_EEEE10hipError_tPvRmT1_T2_T3_mT4_P12ihipStream_tbEUlT_E1_NS1_11comp_targetILNS1_3genE10ELNS1_11target_archE1200ELNS1_3gpuE4ELNS1_3repE0EEENS1_30default_config_static_selectorELNS0_4arch9wavefront6targetE1EEEvSK_,"axG",@progbits,_ZN7rocprim17ROCPRIM_400000_NS6detail17trampoline_kernelINS0_14default_configENS1_22reduce_config_selectorIN6thrust23THRUST_200600_302600_NS5tupleIblNS6_9null_typeES8_S8_S8_S8_S8_S8_S8_EEEEZNS1_11reduce_implILb1ES3_PS9_SC_S9_NS6_11hip_rocprim9__find_if7functorIS9_EEEE10hipError_tPvRmT1_T2_T3_mT4_P12ihipStream_tbEUlT_E1_NS1_11comp_targetILNS1_3genE10ELNS1_11target_archE1200ELNS1_3gpuE4ELNS1_3repE0EEENS1_30default_config_static_selectorELNS0_4arch9wavefront6targetE1EEEvSK_,comdat
.Lfunc_end102:
	.size	_ZN7rocprim17ROCPRIM_400000_NS6detail17trampoline_kernelINS0_14default_configENS1_22reduce_config_selectorIN6thrust23THRUST_200600_302600_NS5tupleIblNS6_9null_typeES8_S8_S8_S8_S8_S8_S8_EEEEZNS1_11reduce_implILb1ES3_PS9_SC_S9_NS6_11hip_rocprim9__find_if7functorIS9_EEEE10hipError_tPvRmT1_T2_T3_mT4_P12ihipStream_tbEUlT_E1_NS1_11comp_targetILNS1_3genE10ELNS1_11target_archE1200ELNS1_3gpuE4ELNS1_3repE0EEENS1_30default_config_static_selectorELNS0_4arch9wavefront6targetE1EEEvSK_, .Lfunc_end102-_ZN7rocprim17ROCPRIM_400000_NS6detail17trampoline_kernelINS0_14default_configENS1_22reduce_config_selectorIN6thrust23THRUST_200600_302600_NS5tupleIblNS6_9null_typeES8_S8_S8_S8_S8_S8_S8_EEEEZNS1_11reduce_implILb1ES3_PS9_SC_S9_NS6_11hip_rocprim9__find_if7functorIS9_EEEE10hipError_tPvRmT1_T2_T3_mT4_P12ihipStream_tbEUlT_E1_NS1_11comp_targetILNS1_3genE10ELNS1_11target_archE1200ELNS1_3gpuE4ELNS1_3repE0EEENS1_30default_config_static_selectorELNS0_4arch9wavefront6targetE1EEEvSK_
                                        ; -- End function
	.section	.AMDGPU.csdata,"",@progbits
; Kernel info:
; codeLenInByte = 0
; NumSgprs: 4
; NumVgprs: 0
; NumAgprs: 0
; TotalNumVgprs: 0
; ScratchSize: 0
; MemoryBound: 0
; FloatMode: 240
; IeeeMode: 1
; LDSByteSize: 0 bytes/workgroup (compile time only)
; SGPRBlocks: 0
; VGPRBlocks: 0
; NumSGPRsForWavesPerEU: 4
; NumVGPRsForWavesPerEU: 1
; AccumOffset: 4
; Occupancy: 8
; WaveLimiterHint : 0
; COMPUTE_PGM_RSRC2:SCRATCH_EN: 0
; COMPUTE_PGM_RSRC2:USER_SGPR: 6
; COMPUTE_PGM_RSRC2:TRAP_HANDLER: 0
; COMPUTE_PGM_RSRC2:TGID_X_EN: 1
; COMPUTE_PGM_RSRC2:TGID_Y_EN: 0
; COMPUTE_PGM_RSRC2:TGID_Z_EN: 0
; COMPUTE_PGM_RSRC2:TIDIG_COMP_CNT: 0
; COMPUTE_PGM_RSRC3_GFX90A:ACCUM_OFFSET: 0
; COMPUTE_PGM_RSRC3_GFX90A:TG_SPLIT: 0
	.section	.text._ZN7rocprim17ROCPRIM_400000_NS6detail17trampoline_kernelINS0_14default_configENS1_22reduce_config_selectorIN6thrust23THRUST_200600_302600_NS5tupleIblNS6_9null_typeES8_S8_S8_S8_S8_S8_S8_EEEEZNS1_11reduce_implILb1ES3_PS9_SC_S9_NS6_11hip_rocprim9__find_if7functorIS9_EEEE10hipError_tPvRmT1_T2_T3_mT4_P12ihipStream_tbEUlT_E1_NS1_11comp_targetILNS1_3genE9ELNS1_11target_archE1100ELNS1_3gpuE3ELNS1_3repE0EEENS1_30default_config_static_selectorELNS0_4arch9wavefront6targetE1EEEvSK_,"axG",@progbits,_ZN7rocprim17ROCPRIM_400000_NS6detail17trampoline_kernelINS0_14default_configENS1_22reduce_config_selectorIN6thrust23THRUST_200600_302600_NS5tupleIblNS6_9null_typeES8_S8_S8_S8_S8_S8_S8_EEEEZNS1_11reduce_implILb1ES3_PS9_SC_S9_NS6_11hip_rocprim9__find_if7functorIS9_EEEE10hipError_tPvRmT1_T2_T3_mT4_P12ihipStream_tbEUlT_E1_NS1_11comp_targetILNS1_3genE9ELNS1_11target_archE1100ELNS1_3gpuE3ELNS1_3repE0EEENS1_30default_config_static_selectorELNS0_4arch9wavefront6targetE1EEEvSK_,comdat
	.protected	_ZN7rocprim17ROCPRIM_400000_NS6detail17trampoline_kernelINS0_14default_configENS1_22reduce_config_selectorIN6thrust23THRUST_200600_302600_NS5tupleIblNS6_9null_typeES8_S8_S8_S8_S8_S8_S8_EEEEZNS1_11reduce_implILb1ES3_PS9_SC_S9_NS6_11hip_rocprim9__find_if7functorIS9_EEEE10hipError_tPvRmT1_T2_T3_mT4_P12ihipStream_tbEUlT_E1_NS1_11comp_targetILNS1_3genE9ELNS1_11target_archE1100ELNS1_3gpuE3ELNS1_3repE0EEENS1_30default_config_static_selectorELNS0_4arch9wavefront6targetE1EEEvSK_ ; -- Begin function _ZN7rocprim17ROCPRIM_400000_NS6detail17trampoline_kernelINS0_14default_configENS1_22reduce_config_selectorIN6thrust23THRUST_200600_302600_NS5tupleIblNS6_9null_typeES8_S8_S8_S8_S8_S8_S8_EEEEZNS1_11reduce_implILb1ES3_PS9_SC_S9_NS6_11hip_rocprim9__find_if7functorIS9_EEEE10hipError_tPvRmT1_T2_T3_mT4_P12ihipStream_tbEUlT_E1_NS1_11comp_targetILNS1_3genE9ELNS1_11target_archE1100ELNS1_3gpuE3ELNS1_3repE0EEENS1_30default_config_static_selectorELNS0_4arch9wavefront6targetE1EEEvSK_
	.globl	_ZN7rocprim17ROCPRIM_400000_NS6detail17trampoline_kernelINS0_14default_configENS1_22reduce_config_selectorIN6thrust23THRUST_200600_302600_NS5tupleIblNS6_9null_typeES8_S8_S8_S8_S8_S8_S8_EEEEZNS1_11reduce_implILb1ES3_PS9_SC_S9_NS6_11hip_rocprim9__find_if7functorIS9_EEEE10hipError_tPvRmT1_T2_T3_mT4_P12ihipStream_tbEUlT_E1_NS1_11comp_targetILNS1_3genE9ELNS1_11target_archE1100ELNS1_3gpuE3ELNS1_3repE0EEENS1_30default_config_static_selectorELNS0_4arch9wavefront6targetE1EEEvSK_
	.p2align	8
	.type	_ZN7rocprim17ROCPRIM_400000_NS6detail17trampoline_kernelINS0_14default_configENS1_22reduce_config_selectorIN6thrust23THRUST_200600_302600_NS5tupleIblNS6_9null_typeES8_S8_S8_S8_S8_S8_S8_EEEEZNS1_11reduce_implILb1ES3_PS9_SC_S9_NS6_11hip_rocprim9__find_if7functorIS9_EEEE10hipError_tPvRmT1_T2_T3_mT4_P12ihipStream_tbEUlT_E1_NS1_11comp_targetILNS1_3genE9ELNS1_11target_archE1100ELNS1_3gpuE3ELNS1_3repE0EEENS1_30default_config_static_selectorELNS0_4arch9wavefront6targetE1EEEvSK_,@function
_ZN7rocprim17ROCPRIM_400000_NS6detail17trampoline_kernelINS0_14default_configENS1_22reduce_config_selectorIN6thrust23THRUST_200600_302600_NS5tupleIblNS6_9null_typeES8_S8_S8_S8_S8_S8_S8_EEEEZNS1_11reduce_implILb1ES3_PS9_SC_S9_NS6_11hip_rocprim9__find_if7functorIS9_EEEE10hipError_tPvRmT1_T2_T3_mT4_P12ihipStream_tbEUlT_E1_NS1_11comp_targetILNS1_3genE9ELNS1_11target_archE1100ELNS1_3gpuE3ELNS1_3repE0EEENS1_30default_config_static_selectorELNS0_4arch9wavefront6targetE1EEEvSK_: ; @_ZN7rocprim17ROCPRIM_400000_NS6detail17trampoline_kernelINS0_14default_configENS1_22reduce_config_selectorIN6thrust23THRUST_200600_302600_NS5tupleIblNS6_9null_typeES8_S8_S8_S8_S8_S8_S8_EEEEZNS1_11reduce_implILb1ES3_PS9_SC_S9_NS6_11hip_rocprim9__find_if7functorIS9_EEEE10hipError_tPvRmT1_T2_T3_mT4_P12ihipStream_tbEUlT_E1_NS1_11comp_targetILNS1_3genE9ELNS1_11target_archE1100ELNS1_3gpuE3ELNS1_3repE0EEENS1_30default_config_static_selectorELNS0_4arch9wavefront6targetE1EEEvSK_
; %bb.0:
	.section	.rodata,"a",@progbits
	.p2align	6, 0x0
	.amdhsa_kernel _ZN7rocprim17ROCPRIM_400000_NS6detail17trampoline_kernelINS0_14default_configENS1_22reduce_config_selectorIN6thrust23THRUST_200600_302600_NS5tupleIblNS6_9null_typeES8_S8_S8_S8_S8_S8_S8_EEEEZNS1_11reduce_implILb1ES3_PS9_SC_S9_NS6_11hip_rocprim9__find_if7functorIS9_EEEE10hipError_tPvRmT1_T2_T3_mT4_P12ihipStream_tbEUlT_E1_NS1_11comp_targetILNS1_3genE9ELNS1_11target_archE1100ELNS1_3gpuE3ELNS1_3repE0EEENS1_30default_config_static_selectorELNS0_4arch9wavefront6targetE1EEEvSK_
		.amdhsa_group_segment_fixed_size 0
		.amdhsa_private_segment_fixed_size 0
		.amdhsa_kernarg_size 56
		.amdhsa_user_sgpr_count 6
		.amdhsa_user_sgpr_private_segment_buffer 1
		.amdhsa_user_sgpr_dispatch_ptr 0
		.amdhsa_user_sgpr_queue_ptr 0
		.amdhsa_user_sgpr_kernarg_segment_ptr 1
		.amdhsa_user_sgpr_dispatch_id 0
		.amdhsa_user_sgpr_flat_scratch_init 0
		.amdhsa_user_sgpr_kernarg_preload_length 0
		.amdhsa_user_sgpr_kernarg_preload_offset 0
		.amdhsa_user_sgpr_private_segment_size 0
		.amdhsa_uses_dynamic_stack 0
		.amdhsa_system_sgpr_private_segment_wavefront_offset 0
		.amdhsa_system_sgpr_workgroup_id_x 1
		.amdhsa_system_sgpr_workgroup_id_y 0
		.amdhsa_system_sgpr_workgroup_id_z 0
		.amdhsa_system_sgpr_workgroup_info 0
		.amdhsa_system_vgpr_workitem_id 0
		.amdhsa_next_free_vgpr 1
		.amdhsa_next_free_sgpr 0
		.amdhsa_accum_offset 4
		.amdhsa_reserve_vcc 0
		.amdhsa_reserve_flat_scratch 0
		.amdhsa_float_round_mode_32 0
		.amdhsa_float_round_mode_16_64 0
		.amdhsa_float_denorm_mode_32 3
		.amdhsa_float_denorm_mode_16_64 3
		.amdhsa_dx10_clamp 1
		.amdhsa_ieee_mode 1
		.amdhsa_fp16_overflow 0
		.amdhsa_tg_split 0
		.amdhsa_exception_fp_ieee_invalid_op 0
		.amdhsa_exception_fp_denorm_src 0
		.amdhsa_exception_fp_ieee_div_zero 0
		.amdhsa_exception_fp_ieee_overflow 0
		.amdhsa_exception_fp_ieee_underflow 0
		.amdhsa_exception_fp_ieee_inexact 0
		.amdhsa_exception_int_div_zero 0
	.end_amdhsa_kernel
	.section	.text._ZN7rocprim17ROCPRIM_400000_NS6detail17trampoline_kernelINS0_14default_configENS1_22reduce_config_selectorIN6thrust23THRUST_200600_302600_NS5tupleIblNS6_9null_typeES8_S8_S8_S8_S8_S8_S8_EEEEZNS1_11reduce_implILb1ES3_PS9_SC_S9_NS6_11hip_rocprim9__find_if7functorIS9_EEEE10hipError_tPvRmT1_T2_T3_mT4_P12ihipStream_tbEUlT_E1_NS1_11comp_targetILNS1_3genE9ELNS1_11target_archE1100ELNS1_3gpuE3ELNS1_3repE0EEENS1_30default_config_static_selectorELNS0_4arch9wavefront6targetE1EEEvSK_,"axG",@progbits,_ZN7rocprim17ROCPRIM_400000_NS6detail17trampoline_kernelINS0_14default_configENS1_22reduce_config_selectorIN6thrust23THRUST_200600_302600_NS5tupleIblNS6_9null_typeES8_S8_S8_S8_S8_S8_S8_EEEEZNS1_11reduce_implILb1ES3_PS9_SC_S9_NS6_11hip_rocprim9__find_if7functorIS9_EEEE10hipError_tPvRmT1_T2_T3_mT4_P12ihipStream_tbEUlT_E1_NS1_11comp_targetILNS1_3genE9ELNS1_11target_archE1100ELNS1_3gpuE3ELNS1_3repE0EEENS1_30default_config_static_selectorELNS0_4arch9wavefront6targetE1EEEvSK_,comdat
.Lfunc_end103:
	.size	_ZN7rocprim17ROCPRIM_400000_NS6detail17trampoline_kernelINS0_14default_configENS1_22reduce_config_selectorIN6thrust23THRUST_200600_302600_NS5tupleIblNS6_9null_typeES8_S8_S8_S8_S8_S8_S8_EEEEZNS1_11reduce_implILb1ES3_PS9_SC_S9_NS6_11hip_rocprim9__find_if7functorIS9_EEEE10hipError_tPvRmT1_T2_T3_mT4_P12ihipStream_tbEUlT_E1_NS1_11comp_targetILNS1_3genE9ELNS1_11target_archE1100ELNS1_3gpuE3ELNS1_3repE0EEENS1_30default_config_static_selectorELNS0_4arch9wavefront6targetE1EEEvSK_, .Lfunc_end103-_ZN7rocprim17ROCPRIM_400000_NS6detail17trampoline_kernelINS0_14default_configENS1_22reduce_config_selectorIN6thrust23THRUST_200600_302600_NS5tupleIblNS6_9null_typeES8_S8_S8_S8_S8_S8_S8_EEEEZNS1_11reduce_implILb1ES3_PS9_SC_S9_NS6_11hip_rocprim9__find_if7functorIS9_EEEE10hipError_tPvRmT1_T2_T3_mT4_P12ihipStream_tbEUlT_E1_NS1_11comp_targetILNS1_3genE9ELNS1_11target_archE1100ELNS1_3gpuE3ELNS1_3repE0EEENS1_30default_config_static_selectorELNS0_4arch9wavefront6targetE1EEEvSK_
                                        ; -- End function
	.section	.AMDGPU.csdata,"",@progbits
; Kernel info:
; codeLenInByte = 0
; NumSgprs: 4
; NumVgprs: 0
; NumAgprs: 0
; TotalNumVgprs: 0
; ScratchSize: 0
; MemoryBound: 0
; FloatMode: 240
; IeeeMode: 1
; LDSByteSize: 0 bytes/workgroup (compile time only)
; SGPRBlocks: 0
; VGPRBlocks: 0
; NumSGPRsForWavesPerEU: 4
; NumVGPRsForWavesPerEU: 1
; AccumOffset: 4
; Occupancy: 8
; WaveLimiterHint : 0
; COMPUTE_PGM_RSRC2:SCRATCH_EN: 0
; COMPUTE_PGM_RSRC2:USER_SGPR: 6
; COMPUTE_PGM_RSRC2:TRAP_HANDLER: 0
; COMPUTE_PGM_RSRC2:TGID_X_EN: 1
; COMPUTE_PGM_RSRC2:TGID_Y_EN: 0
; COMPUTE_PGM_RSRC2:TGID_Z_EN: 0
; COMPUTE_PGM_RSRC2:TIDIG_COMP_CNT: 0
; COMPUTE_PGM_RSRC3_GFX90A:ACCUM_OFFSET: 0
; COMPUTE_PGM_RSRC3_GFX90A:TG_SPLIT: 0
	.section	.text._ZN7rocprim17ROCPRIM_400000_NS6detail17trampoline_kernelINS0_14default_configENS1_22reduce_config_selectorIN6thrust23THRUST_200600_302600_NS5tupleIblNS6_9null_typeES8_S8_S8_S8_S8_S8_S8_EEEEZNS1_11reduce_implILb1ES3_PS9_SC_S9_NS6_11hip_rocprim9__find_if7functorIS9_EEEE10hipError_tPvRmT1_T2_T3_mT4_P12ihipStream_tbEUlT_E1_NS1_11comp_targetILNS1_3genE8ELNS1_11target_archE1030ELNS1_3gpuE2ELNS1_3repE0EEENS1_30default_config_static_selectorELNS0_4arch9wavefront6targetE1EEEvSK_,"axG",@progbits,_ZN7rocprim17ROCPRIM_400000_NS6detail17trampoline_kernelINS0_14default_configENS1_22reduce_config_selectorIN6thrust23THRUST_200600_302600_NS5tupleIblNS6_9null_typeES8_S8_S8_S8_S8_S8_S8_EEEEZNS1_11reduce_implILb1ES3_PS9_SC_S9_NS6_11hip_rocprim9__find_if7functorIS9_EEEE10hipError_tPvRmT1_T2_T3_mT4_P12ihipStream_tbEUlT_E1_NS1_11comp_targetILNS1_3genE8ELNS1_11target_archE1030ELNS1_3gpuE2ELNS1_3repE0EEENS1_30default_config_static_selectorELNS0_4arch9wavefront6targetE1EEEvSK_,comdat
	.protected	_ZN7rocprim17ROCPRIM_400000_NS6detail17trampoline_kernelINS0_14default_configENS1_22reduce_config_selectorIN6thrust23THRUST_200600_302600_NS5tupleIblNS6_9null_typeES8_S8_S8_S8_S8_S8_S8_EEEEZNS1_11reduce_implILb1ES3_PS9_SC_S9_NS6_11hip_rocprim9__find_if7functorIS9_EEEE10hipError_tPvRmT1_T2_T3_mT4_P12ihipStream_tbEUlT_E1_NS1_11comp_targetILNS1_3genE8ELNS1_11target_archE1030ELNS1_3gpuE2ELNS1_3repE0EEENS1_30default_config_static_selectorELNS0_4arch9wavefront6targetE1EEEvSK_ ; -- Begin function _ZN7rocprim17ROCPRIM_400000_NS6detail17trampoline_kernelINS0_14default_configENS1_22reduce_config_selectorIN6thrust23THRUST_200600_302600_NS5tupleIblNS6_9null_typeES8_S8_S8_S8_S8_S8_S8_EEEEZNS1_11reduce_implILb1ES3_PS9_SC_S9_NS6_11hip_rocprim9__find_if7functorIS9_EEEE10hipError_tPvRmT1_T2_T3_mT4_P12ihipStream_tbEUlT_E1_NS1_11comp_targetILNS1_3genE8ELNS1_11target_archE1030ELNS1_3gpuE2ELNS1_3repE0EEENS1_30default_config_static_selectorELNS0_4arch9wavefront6targetE1EEEvSK_
	.globl	_ZN7rocprim17ROCPRIM_400000_NS6detail17trampoline_kernelINS0_14default_configENS1_22reduce_config_selectorIN6thrust23THRUST_200600_302600_NS5tupleIblNS6_9null_typeES8_S8_S8_S8_S8_S8_S8_EEEEZNS1_11reduce_implILb1ES3_PS9_SC_S9_NS6_11hip_rocprim9__find_if7functorIS9_EEEE10hipError_tPvRmT1_T2_T3_mT4_P12ihipStream_tbEUlT_E1_NS1_11comp_targetILNS1_3genE8ELNS1_11target_archE1030ELNS1_3gpuE2ELNS1_3repE0EEENS1_30default_config_static_selectorELNS0_4arch9wavefront6targetE1EEEvSK_
	.p2align	8
	.type	_ZN7rocprim17ROCPRIM_400000_NS6detail17trampoline_kernelINS0_14default_configENS1_22reduce_config_selectorIN6thrust23THRUST_200600_302600_NS5tupleIblNS6_9null_typeES8_S8_S8_S8_S8_S8_S8_EEEEZNS1_11reduce_implILb1ES3_PS9_SC_S9_NS6_11hip_rocprim9__find_if7functorIS9_EEEE10hipError_tPvRmT1_T2_T3_mT4_P12ihipStream_tbEUlT_E1_NS1_11comp_targetILNS1_3genE8ELNS1_11target_archE1030ELNS1_3gpuE2ELNS1_3repE0EEENS1_30default_config_static_selectorELNS0_4arch9wavefront6targetE1EEEvSK_,@function
_ZN7rocprim17ROCPRIM_400000_NS6detail17trampoline_kernelINS0_14default_configENS1_22reduce_config_selectorIN6thrust23THRUST_200600_302600_NS5tupleIblNS6_9null_typeES8_S8_S8_S8_S8_S8_S8_EEEEZNS1_11reduce_implILb1ES3_PS9_SC_S9_NS6_11hip_rocprim9__find_if7functorIS9_EEEE10hipError_tPvRmT1_T2_T3_mT4_P12ihipStream_tbEUlT_E1_NS1_11comp_targetILNS1_3genE8ELNS1_11target_archE1030ELNS1_3gpuE2ELNS1_3repE0EEENS1_30default_config_static_selectorELNS0_4arch9wavefront6targetE1EEEvSK_: ; @_ZN7rocprim17ROCPRIM_400000_NS6detail17trampoline_kernelINS0_14default_configENS1_22reduce_config_selectorIN6thrust23THRUST_200600_302600_NS5tupleIblNS6_9null_typeES8_S8_S8_S8_S8_S8_S8_EEEEZNS1_11reduce_implILb1ES3_PS9_SC_S9_NS6_11hip_rocprim9__find_if7functorIS9_EEEE10hipError_tPvRmT1_T2_T3_mT4_P12ihipStream_tbEUlT_E1_NS1_11comp_targetILNS1_3genE8ELNS1_11target_archE1030ELNS1_3gpuE2ELNS1_3repE0EEENS1_30default_config_static_selectorELNS0_4arch9wavefront6targetE1EEEvSK_
; %bb.0:
	.section	.rodata,"a",@progbits
	.p2align	6, 0x0
	.amdhsa_kernel _ZN7rocprim17ROCPRIM_400000_NS6detail17trampoline_kernelINS0_14default_configENS1_22reduce_config_selectorIN6thrust23THRUST_200600_302600_NS5tupleIblNS6_9null_typeES8_S8_S8_S8_S8_S8_S8_EEEEZNS1_11reduce_implILb1ES3_PS9_SC_S9_NS6_11hip_rocprim9__find_if7functorIS9_EEEE10hipError_tPvRmT1_T2_T3_mT4_P12ihipStream_tbEUlT_E1_NS1_11comp_targetILNS1_3genE8ELNS1_11target_archE1030ELNS1_3gpuE2ELNS1_3repE0EEENS1_30default_config_static_selectorELNS0_4arch9wavefront6targetE1EEEvSK_
		.amdhsa_group_segment_fixed_size 0
		.amdhsa_private_segment_fixed_size 0
		.amdhsa_kernarg_size 56
		.amdhsa_user_sgpr_count 6
		.amdhsa_user_sgpr_private_segment_buffer 1
		.amdhsa_user_sgpr_dispatch_ptr 0
		.amdhsa_user_sgpr_queue_ptr 0
		.amdhsa_user_sgpr_kernarg_segment_ptr 1
		.amdhsa_user_sgpr_dispatch_id 0
		.amdhsa_user_sgpr_flat_scratch_init 0
		.amdhsa_user_sgpr_kernarg_preload_length 0
		.amdhsa_user_sgpr_kernarg_preload_offset 0
		.amdhsa_user_sgpr_private_segment_size 0
		.amdhsa_uses_dynamic_stack 0
		.amdhsa_system_sgpr_private_segment_wavefront_offset 0
		.amdhsa_system_sgpr_workgroup_id_x 1
		.amdhsa_system_sgpr_workgroup_id_y 0
		.amdhsa_system_sgpr_workgroup_id_z 0
		.amdhsa_system_sgpr_workgroup_info 0
		.amdhsa_system_vgpr_workitem_id 0
		.amdhsa_next_free_vgpr 1
		.amdhsa_next_free_sgpr 0
		.amdhsa_accum_offset 4
		.amdhsa_reserve_vcc 0
		.amdhsa_reserve_flat_scratch 0
		.amdhsa_float_round_mode_32 0
		.amdhsa_float_round_mode_16_64 0
		.amdhsa_float_denorm_mode_32 3
		.amdhsa_float_denorm_mode_16_64 3
		.amdhsa_dx10_clamp 1
		.amdhsa_ieee_mode 1
		.amdhsa_fp16_overflow 0
		.amdhsa_tg_split 0
		.amdhsa_exception_fp_ieee_invalid_op 0
		.amdhsa_exception_fp_denorm_src 0
		.amdhsa_exception_fp_ieee_div_zero 0
		.amdhsa_exception_fp_ieee_overflow 0
		.amdhsa_exception_fp_ieee_underflow 0
		.amdhsa_exception_fp_ieee_inexact 0
		.amdhsa_exception_int_div_zero 0
	.end_amdhsa_kernel
	.section	.text._ZN7rocprim17ROCPRIM_400000_NS6detail17trampoline_kernelINS0_14default_configENS1_22reduce_config_selectorIN6thrust23THRUST_200600_302600_NS5tupleIblNS6_9null_typeES8_S8_S8_S8_S8_S8_S8_EEEEZNS1_11reduce_implILb1ES3_PS9_SC_S9_NS6_11hip_rocprim9__find_if7functorIS9_EEEE10hipError_tPvRmT1_T2_T3_mT4_P12ihipStream_tbEUlT_E1_NS1_11comp_targetILNS1_3genE8ELNS1_11target_archE1030ELNS1_3gpuE2ELNS1_3repE0EEENS1_30default_config_static_selectorELNS0_4arch9wavefront6targetE1EEEvSK_,"axG",@progbits,_ZN7rocprim17ROCPRIM_400000_NS6detail17trampoline_kernelINS0_14default_configENS1_22reduce_config_selectorIN6thrust23THRUST_200600_302600_NS5tupleIblNS6_9null_typeES8_S8_S8_S8_S8_S8_S8_EEEEZNS1_11reduce_implILb1ES3_PS9_SC_S9_NS6_11hip_rocprim9__find_if7functorIS9_EEEE10hipError_tPvRmT1_T2_T3_mT4_P12ihipStream_tbEUlT_E1_NS1_11comp_targetILNS1_3genE8ELNS1_11target_archE1030ELNS1_3gpuE2ELNS1_3repE0EEENS1_30default_config_static_selectorELNS0_4arch9wavefront6targetE1EEEvSK_,comdat
.Lfunc_end104:
	.size	_ZN7rocprim17ROCPRIM_400000_NS6detail17trampoline_kernelINS0_14default_configENS1_22reduce_config_selectorIN6thrust23THRUST_200600_302600_NS5tupleIblNS6_9null_typeES8_S8_S8_S8_S8_S8_S8_EEEEZNS1_11reduce_implILb1ES3_PS9_SC_S9_NS6_11hip_rocprim9__find_if7functorIS9_EEEE10hipError_tPvRmT1_T2_T3_mT4_P12ihipStream_tbEUlT_E1_NS1_11comp_targetILNS1_3genE8ELNS1_11target_archE1030ELNS1_3gpuE2ELNS1_3repE0EEENS1_30default_config_static_selectorELNS0_4arch9wavefront6targetE1EEEvSK_, .Lfunc_end104-_ZN7rocprim17ROCPRIM_400000_NS6detail17trampoline_kernelINS0_14default_configENS1_22reduce_config_selectorIN6thrust23THRUST_200600_302600_NS5tupleIblNS6_9null_typeES8_S8_S8_S8_S8_S8_S8_EEEEZNS1_11reduce_implILb1ES3_PS9_SC_S9_NS6_11hip_rocprim9__find_if7functorIS9_EEEE10hipError_tPvRmT1_T2_T3_mT4_P12ihipStream_tbEUlT_E1_NS1_11comp_targetILNS1_3genE8ELNS1_11target_archE1030ELNS1_3gpuE2ELNS1_3repE0EEENS1_30default_config_static_selectorELNS0_4arch9wavefront6targetE1EEEvSK_
                                        ; -- End function
	.section	.AMDGPU.csdata,"",@progbits
; Kernel info:
; codeLenInByte = 0
; NumSgprs: 4
; NumVgprs: 0
; NumAgprs: 0
; TotalNumVgprs: 0
; ScratchSize: 0
; MemoryBound: 0
; FloatMode: 240
; IeeeMode: 1
; LDSByteSize: 0 bytes/workgroup (compile time only)
; SGPRBlocks: 0
; VGPRBlocks: 0
; NumSGPRsForWavesPerEU: 4
; NumVGPRsForWavesPerEU: 1
; AccumOffset: 4
; Occupancy: 8
; WaveLimiterHint : 0
; COMPUTE_PGM_RSRC2:SCRATCH_EN: 0
; COMPUTE_PGM_RSRC2:USER_SGPR: 6
; COMPUTE_PGM_RSRC2:TRAP_HANDLER: 0
; COMPUTE_PGM_RSRC2:TGID_X_EN: 1
; COMPUTE_PGM_RSRC2:TGID_Y_EN: 0
; COMPUTE_PGM_RSRC2:TGID_Z_EN: 0
; COMPUTE_PGM_RSRC2:TIDIG_COMP_CNT: 0
; COMPUTE_PGM_RSRC3_GFX90A:ACCUM_OFFSET: 0
; COMPUTE_PGM_RSRC3_GFX90A:TG_SPLIT: 0
	.section	.text._ZN7rocprim17ROCPRIM_400000_NS6detail17trampoline_kernelINS0_14default_configENS1_22reduce_config_selectorIN6thrust23THRUST_200600_302600_NS5tupleIblNS6_9null_typeES8_S8_S8_S8_S8_S8_S8_EEEEZNS1_11reduce_implILb1ES3_NS6_12zip_iteratorINS7_INS6_11hip_rocprim26transform_input_iterator_tIbNSD_35transform_pair_of_input_iterators_tIbNS6_6detail15normal_iteratorINS6_10device_ptrIKxEEEESL_NS6_8equal_toIxEEEENSG_9not_fun_tINSD_8identityEEEEENSD_19counting_iterator_tIlEES8_S8_S8_S8_S8_S8_S8_S8_EEEEPS9_S9_NSD_9__find_if7functorIS9_EEEE10hipError_tPvRmT1_T2_T3_mT4_P12ihipStream_tbEUlT_E0_NS1_11comp_targetILNS1_3genE0ELNS1_11target_archE4294967295ELNS1_3gpuE0ELNS1_3repE0EEENS1_30default_config_static_selectorELNS0_4arch9wavefront6targetE1EEEvS14_,"axG",@progbits,_ZN7rocprim17ROCPRIM_400000_NS6detail17trampoline_kernelINS0_14default_configENS1_22reduce_config_selectorIN6thrust23THRUST_200600_302600_NS5tupleIblNS6_9null_typeES8_S8_S8_S8_S8_S8_S8_EEEEZNS1_11reduce_implILb1ES3_NS6_12zip_iteratorINS7_INS6_11hip_rocprim26transform_input_iterator_tIbNSD_35transform_pair_of_input_iterators_tIbNS6_6detail15normal_iteratorINS6_10device_ptrIKxEEEESL_NS6_8equal_toIxEEEENSG_9not_fun_tINSD_8identityEEEEENSD_19counting_iterator_tIlEES8_S8_S8_S8_S8_S8_S8_S8_EEEEPS9_S9_NSD_9__find_if7functorIS9_EEEE10hipError_tPvRmT1_T2_T3_mT4_P12ihipStream_tbEUlT_E0_NS1_11comp_targetILNS1_3genE0ELNS1_11target_archE4294967295ELNS1_3gpuE0ELNS1_3repE0EEENS1_30default_config_static_selectorELNS0_4arch9wavefront6targetE1EEEvS14_,comdat
	.protected	_ZN7rocprim17ROCPRIM_400000_NS6detail17trampoline_kernelINS0_14default_configENS1_22reduce_config_selectorIN6thrust23THRUST_200600_302600_NS5tupleIblNS6_9null_typeES8_S8_S8_S8_S8_S8_S8_EEEEZNS1_11reduce_implILb1ES3_NS6_12zip_iteratorINS7_INS6_11hip_rocprim26transform_input_iterator_tIbNSD_35transform_pair_of_input_iterators_tIbNS6_6detail15normal_iteratorINS6_10device_ptrIKxEEEESL_NS6_8equal_toIxEEEENSG_9not_fun_tINSD_8identityEEEEENSD_19counting_iterator_tIlEES8_S8_S8_S8_S8_S8_S8_S8_EEEEPS9_S9_NSD_9__find_if7functorIS9_EEEE10hipError_tPvRmT1_T2_T3_mT4_P12ihipStream_tbEUlT_E0_NS1_11comp_targetILNS1_3genE0ELNS1_11target_archE4294967295ELNS1_3gpuE0ELNS1_3repE0EEENS1_30default_config_static_selectorELNS0_4arch9wavefront6targetE1EEEvS14_ ; -- Begin function _ZN7rocprim17ROCPRIM_400000_NS6detail17trampoline_kernelINS0_14default_configENS1_22reduce_config_selectorIN6thrust23THRUST_200600_302600_NS5tupleIblNS6_9null_typeES8_S8_S8_S8_S8_S8_S8_EEEEZNS1_11reduce_implILb1ES3_NS6_12zip_iteratorINS7_INS6_11hip_rocprim26transform_input_iterator_tIbNSD_35transform_pair_of_input_iterators_tIbNS6_6detail15normal_iteratorINS6_10device_ptrIKxEEEESL_NS6_8equal_toIxEEEENSG_9not_fun_tINSD_8identityEEEEENSD_19counting_iterator_tIlEES8_S8_S8_S8_S8_S8_S8_S8_EEEEPS9_S9_NSD_9__find_if7functorIS9_EEEE10hipError_tPvRmT1_T2_T3_mT4_P12ihipStream_tbEUlT_E0_NS1_11comp_targetILNS1_3genE0ELNS1_11target_archE4294967295ELNS1_3gpuE0ELNS1_3repE0EEENS1_30default_config_static_selectorELNS0_4arch9wavefront6targetE1EEEvS14_
	.globl	_ZN7rocprim17ROCPRIM_400000_NS6detail17trampoline_kernelINS0_14default_configENS1_22reduce_config_selectorIN6thrust23THRUST_200600_302600_NS5tupleIblNS6_9null_typeES8_S8_S8_S8_S8_S8_S8_EEEEZNS1_11reduce_implILb1ES3_NS6_12zip_iteratorINS7_INS6_11hip_rocprim26transform_input_iterator_tIbNSD_35transform_pair_of_input_iterators_tIbNS6_6detail15normal_iteratorINS6_10device_ptrIKxEEEESL_NS6_8equal_toIxEEEENSG_9not_fun_tINSD_8identityEEEEENSD_19counting_iterator_tIlEES8_S8_S8_S8_S8_S8_S8_S8_EEEEPS9_S9_NSD_9__find_if7functorIS9_EEEE10hipError_tPvRmT1_T2_T3_mT4_P12ihipStream_tbEUlT_E0_NS1_11comp_targetILNS1_3genE0ELNS1_11target_archE4294967295ELNS1_3gpuE0ELNS1_3repE0EEENS1_30default_config_static_selectorELNS0_4arch9wavefront6targetE1EEEvS14_
	.p2align	8
	.type	_ZN7rocprim17ROCPRIM_400000_NS6detail17trampoline_kernelINS0_14default_configENS1_22reduce_config_selectorIN6thrust23THRUST_200600_302600_NS5tupleIblNS6_9null_typeES8_S8_S8_S8_S8_S8_S8_EEEEZNS1_11reduce_implILb1ES3_NS6_12zip_iteratorINS7_INS6_11hip_rocprim26transform_input_iterator_tIbNSD_35transform_pair_of_input_iterators_tIbNS6_6detail15normal_iteratorINS6_10device_ptrIKxEEEESL_NS6_8equal_toIxEEEENSG_9not_fun_tINSD_8identityEEEEENSD_19counting_iterator_tIlEES8_S8_S8_S8_S8_S8_S8_S8_EEEEPS9_S9_NSD_9__find_if7functorIS9_EEEE10hipError_tPvRmT1_T2_T3_mT4_P12ihipStream_tbEUlT_E0_NS1_11comp_targetILNS1_3genE0ELNS1_11target_archE4294967295ELNS1_3gpuE0ELNS1_3repE0EEENS1_30default_config_static_selectorELNS0_4arch9wavefront6targetE1EEEvS14_,@function
_ZN7rocprim17ROCPRIM_400000_NS6detail17trampoline_kernelINS0_14default_configENS1_22reduce_config_selectorIN6thrust23THRUST_200600_302600_NS5tupleIblNS6_9null_typeES8_S8_S8_S8_S8_S8_S8_EEEEZNS1_11reduce_implILb1ES3_NS6_12zip_iteratorINS7_INS6_11hip_rocprim26transform_input_iterator_tIbNSD_35transform_pair_of_input_iterators_tIbNS6_6detail15normal_iteratorINS6_10device_ptrIKxEEEESL_NS6_8equal_toIxEEEENSG_9not_fun_tINSD_8identityEEEEENSD_19counting_iterator_tIlEES8_S8_S8_S8_S8_S8_S8_S8_EEEEPS9_S9_NSD_9__find_if7functorIS9_EEEE10hipError_tPvRmT1_T2_T3_mT4_P12ihipStream_tbEUlT_E0_NS1_11comp_targetILNS1_3genE0ELNS1_11target_archE4294967295ELNS1_3gpuE0ELNS1_3repE0EEENS1_30default_config_static_selectorELNS0_4arch9wavefront6targetE1EEEvS14_: ; @_ZN7rocprim17ROCPRIM_400000_NS6detail17trampoline_kernelINS0_14default_configENS1_22reduce_config_selectorIN6thrust23THRUST_200600_302600_NS5tupleIblNS6_9null_typeES8_S8_S8_S8_S8_S8_S8_EEEEZNS1_11reduce_implILb1ES3_NS6_12zip_iteratorINS7_INS6_11hip_rocprim26transform_input_iterator_tIbNSD_35transform_pair_of_input_iterators_tIbNS6_6detail15normal_iteratorINS6_10device_ptrIKxEEEESL_NS6_8equal_toIxEEEENSG_9not_fun_tINSD_8identityEEEEENSD_19counting_iterator_tIlEES8_S8_S8_S8_S8_S8_S8_S8_EEEEPS9_S9_NSD_9__find_if7functorIS9_EEEE10hipError_tPvRmT1_T2_T3_mT4_P12ihipStream_tbEUlT_E0_NS1_11comp_targetILNS1_3genE0ELNS1_11target_archE4294967295ELNS1_3gpuE0ELNS1_3repE0EEENS1_30default_config_static_selectorELNS0_4arch9wavefront6targetE1EEEvS14_
; %bb.0:
	.section	.rodata,"a",@progbits
	.p2align	6, 0x0
	.amdhsa_kernel _ZN7rocprim17ROCPRIM_400000_NS6detail17trampoline_kernelINS0_14default_configENS1_22reduce_config_selectorIN6thrust23THRUST_200600_302600_NS5tupleIblNS6_9null_typeES8_S8_S8_S8_S8_S8_S8_EEEEZNS1_11reduce_implILb1ES3_NS6_12zip_iteratorINS7_INS6_11hip_rocprim26transform_input_iterator_tIbNSD_35transform_pair_of_input_iterators_tIbNS6_6detail15normal_iteratorINS6_10device_ptrIKxEEEESL_NS6_8equal_toIxEEEENSG_9not_fun_tINSD_8identityEEEEENSD_19counting_iterator_tIlEES8_S8_S8_S8_S8_S8_S8_S8_EEEEPS9_S9_NSD_9__find_if7functorIS9_EEEE10hipError_tPvRmT1_T2_T3_mT4_P12ihipStream_tbEUlT_E0_NS1_11comp_targetILNS1_3genE0ELNS1_11target_archE4294967295ELNS1_3gpuE0ELNS1_3repE0EEENS1_30default_config_static_selectorELNS0_4arch9wavefront6targetE1EEEvS14_
		.amdhsa_group_segment_fixed_size 0
		.amdhsa_private_segment_fixed_size 0
		.amdhsa_kernarg_size 104
		.amdhsa_user_sgpr_count 6
		.amdhsa_user_sgpr_private_segment_buffer 1
		.amdhsa_user_sgpr_dispatch_ptr 0
		.amdhsa_user_sgpr_queue_ptr 0
		.amdhsa_user_sgpr_kernarg_segment_ptr 1
		.amdhsa_user_sgpr_dispatch_id 0
		.amdhsa_user_sgpr_flat_scratch_init 0
		.amdhsa_user_sgpr_kernarg_preload_length 0
		.amdhsa_user_sgpr_kernarg_preload_offset 0
		.amdhsa_user_sgpr_private_segment_size 0
		.amdhsa_uses_dynamic_stack 0
		.amdhsa_system_sgpr_private_segment_wavefront_offset 0
		.amdhsa_system_sgpr_workgroup_id_x 1
		.amdhsa_system_sgpr_workgroup_id_y 0
		.amdhsa_system_sgpr_workgroup_id_z 0
		.amdhsa_system_sgpr_workgroup_info 0
		.amdhsa_system_vgpr_workitem_id 0
		.amdhsa_next_free_vgpr 1
		.amdhsa_next_free_sgpr 0
		.amdhsa_accum_offset 4
		.amdhsa_reserve_vcc 0
		.amdhsa_reserve_flat_scratch 0
		.amdhsa_float_round_mode_32 0
		.amdhsa_float_round_mode_16_64 0
		.amdhsa_float_denorm_mode_32 3
		.amdhsa_float_denorm_mode_16_64 3
		.amdhsa_dx10_clamp 1
		.amdhsa_ieee_mode 1
		.amdhsa_fp16_overflow 0
		.amdhsa_tg_split 0
		.amdhsa_exception_fp_ieee_invalid_op 0
		.amdhsa_exception_fp_denorm_src 0
		.amdhsa_exception_fp_ieee_div_zero 0
		.amdhsa_exception_fp_ieee_overflow 0
		.amdhsa_exception_fp_ieee_underflow 0
		.amdhsa_exception_fp_ieee_inexact 0
		.amdhsa_exception_int_div_zero 0
	.end_amdhsa_kernel
	.section	.text._ZN7rocprim17ROCPRIM_400000_NS6detail17trampoline_kernelINS0_14default_configENS1_22reduce_config_selectorIN6thrust23THRUST_200600_302600_NS5tupleIblNS6_9null_typeES8_S8_S8_S8_S8_S8_S8_EEEEZNS1_11reduce_implILb1ES3_NS6_12zip_iteratorINS7_INS6_11hip_rocprim26transform_input_iterator_tIbNSD_35transform_pair_of_input_iterators_tIbNS6_6detail15normal_iteratorINS6_10device_ptrIKxEEEESL_NS6_8equal_toIxEEEENSG_9not_fun_tINSD_8identityEEEEENSD_19counting_iterator_tIlEES8_S8_S8_S8_S8_S8_S8_S8_EEEEPS9_S9_NSD_9__find_if7functorIS9_EEEE10hipError_tPvRmT1_T2_T3_mT4_P12ihipStream_tbEUlT_E0_NS1_11comp_targetILNS1_3genE0ELNS1_11target_archE4294967295ELNS1_3gpuE0ELNS1_3repE0EEENS1_30default_config_static_selectorELNS0_4arch9wavefront6targetE1EEEvS14_,"axG",@progbits,_ZN7rocprim17ROCPRIM_400000_NS6detail17trampoline_kernelINS0_14default_configENS1_22reduce_config_selectorIN6thrust23THRUST_200600_302600_NS5tupleIblNS6_9null_typeES8_S8_S8_S8_S8_S8_S8_EEEEZNS1_11reduce_implILb1ES3_NS6_12zip_iteratorINS7_INS6_11hip_rocprim26transform_input_iterator_tIbNSD_35transform_pair_of_input_iterators_tIbNS6_6detail15normal_iteratorINS6_10device_ptrIKxEEEESL_NS6_8equal_toIxEEEENSG_9not_fun_tINSD_8identityEEEEENSD_19counting_iterator_tIlEES8_S8_S8_S8_S8_S8_S8_S8_EEEEPS9_S9_NSD_9__find_if7functorIS9_EEEE10hipError_tPvRmT1_T2_T3_mT4_P12ihipStream_tbEUlT_E0_NS1_11comp_targetILNS1_3genE0ELNS1_11target_archE4294967295ELNS1_3gpuE0ELNS1_3repE0EEENS1_30default_config_static_selectorELNS0_4arch9wavefront6targetE1EEEvS14_,comdat
.Lfunc_end105:
	.size	_ZN7rocprim17ROCPRIM_400000_NS6detail17trampoline_kernelINS0_14default_configENS1_22reduce_config_selectorIN6thrust23THRUST_200600_302600_NS5tupleIblNS6_9null_typeES8_S8_S8_S8_S8_S8_S8_EEEEZNS1_11reduce_implILb1ES3_NS6_12zip_iteratorINS7_INS6_11hip_rocprim26transform_input_iterator_tIbNSD_35transform_pair_of_input_iterators_tIbNS6_6detail15normal_iteratorINS6_10device_ptrIKxEEEESL_NS6_8equal_toIxEEEENSG_9not_fun_tINSD_8identityEEEEENSD_19counting_iterator_tIlEES8_S8_S8_S8_S8_S8_S8_S8_EEEEPS9_S9_NSD_9__find_if7functorIS9_EEEE10hipError_tPvRmT1_T2_T3_mT4_P12ihipStream_tbEUlT_E0_NS1_11comp_targetILNS1_3genE0ELNS1_11target_archE4294967295ELNS1_3gpuE0ELNS1_3repE0EEENS1_30default_config_static_selectorELNS0_4arch9wavefront6targetE1EEEvS14_, .Lfunc_end105-_ZN7rocprim17ROCPRIM_400000_NS6detail17trampoline_kernelINS0_14default_configENS1_22reduce_config_selectorIN6thrust23THRUST_200600_302600_NS5tupleIblNS6_9null_typeES8_S8_S8_S8_S8_S8_S8_EEEEZNS1_11reduce_implILb1ES3_NS6_12zip_iteratorINS7_INS6_11hip_rocprim26transform_input_iterator_tIbNSD_35transform_pair_of_input_iterators_tIbNS6_6detail15normal_iteratorINS6_10device_ptrIKxEEEESL_NS6_8equal_toIxEEEENSG_9not_fun_tINSD_8identityEEEEENSD_19counting_iterator_tIlEES8_S8_S8_S8_S8_S8_S8_S8_EEEEPS9_S9_NSD_9__find_if7functorIS9_EEEE10hipError_tPvRmT1_T2_T3_mT4_P12ihipStream_tbEUlT_E0_NS1_11comp_targetILNS1_3genE0ELNS1_11target_archE4294967295ELNS1_3gpuE0ELNS1_3repE0EEENS1_30default_config_static_selectorELNS0_4arch9wavefront6targetE1EEEvS14_
                                        ; -- End function
	.section	.AMDGPU.csdata,"",@progbits
; Kernel info:
; codeLenInByte = 0
; NumSgprs: 4
; NumVgprs: 0
; NumAgprs: 0
; TotalNumVgprs: 0
; ScratchSize: 0
; MemoryBound: 0
; FloatMode: 240
; IeeeMode: 1
; LDSByteSize: 0 bytes/workgroup (compile time only)
; SGPRBlocks: 0
; VGPRBlocks: 0
; NumSGPRsForWavesPerEU: 4
; NumVGPRsForWavesPerEU: 1
; AccumOffset: 4
; Occupancy: 8
; WaveLimiterHint : 0
; COMPUTE_PGM_RSRC2:SCRATCH_EN: 0
; COMPUTE_PGM_RSRC2:USER_SGPR: 6
; COMPUTE_PGM_RSRC2:TRAP_HANDLER: 0
; COMPUTE_PGM_RSRC2:TGID_X_EN: 1
; COMPUTE_PGM_RSRC2:TGID_Y_EN: 0
; COMPUTE_PGM_RSRC2:TGID_Z_EN: 0
; COMPUTE_PGM_RSRC2:TIDIG_COMP_CNT: 0
; COMPUTE_PGM_RSRC3_GFX90A:ACCUM_OFFSET: 0
; COMPUTE_PGM_RSRC3_GFX90A:TG_SPLIT: 0
	.section	.text._ZN7rocprim17ROCPRIM_400000_NS6detail17trampoline_kernelINS0_14default_configENS1_22reduce_config_selectorIN6thrust23THRUST_200600_302600_NS5tupleIblNS6_9null_typeES8_S8_S8_S8_S8_S8_S8_EEEEZNS1_11reduce_implILb1ES3_NS6_12zip_iteratorINS7_INS6_11hip_rocprim26transform_input_iterator_tIbNSD_35transform_pair_of_input_iterators_tIbNS6_6detail15normal_iteratorINS6_10device_ptrIKxEEEESL_NS6_8equal_toIxEEEENSG_9not_fun_tINSD_8identityEEEEENSD_19counting_iterator_tIlEES8_S8_S8_S8_S8_S8_S8_S8_EEEEPS9_S9_NSD_9__find_if7functorIS9_EEEE10hipError_tPvRmT1_T2_T3_mT4_P12ihipStream_tbEUlT_E0_NS1_11comp_targetILNS1_3genE5ELNS1_11target_archE942ELNS1_3gpuE9ELNS1_3repE0EEENS1_30default_config_static_selectorELNS0_4arch9wavefront6targetE1EEEvS14_,"axG",@progbits,_ZN7rocprim17ROCPRIM_400000_NS6detail17trampoline_kernelINS0_14default_configENS1_22reduce_config_selectorIN6thrust23THRUST_200600_302600_NS5tupleIblNS6_9null_typeES8_S8_S8_S8_S8_S8_S8_EEEEZNS1_11reduce_implILb1ES3_NS6_12zip_iteratorINS7_INS6_11hip_rocprim26transform_input_iterator_tIbNSD_35transform_pair_of_input_iterators_tIbNS6_6detail15normal_iteratorINS6_10device_ptrIKxEEEESL_NS6_8equal_toIxEEEENSG_9not_fun_tINSD_8identityEEEEENSD_19counting_iterator_tIlEES8_S8_S8_S8_S8_S8_S8_S8_EEEEPS9_S9_NSD_9__find_if7functorIS9_EEEE10hipError_tPvRmT1_T2_T3_mT4_P12ihipStream_tbEUlT_E0_NS1_11comp_targetILNS1_3genE5ELNS1_11target_archE942ELNS1_3gpuE9ELNS1_3repE0EEENS1_30default_config_static_selectorELNS0_4arch9wavefront6targetE1EEEvS14_,comdat
	.protected	_ZN7rocprim17ROCPRIM_400000_NS6detail17trampoline_kernelINS0_14default_configENS1_22reduce_config_selectorIN6thrust23THRUST_200600_302600_NS5tupleIblNS6_9null_typeES8_S8_S8_S8_S8_S8_S8_EEEEZNS1_11reduce_implILb1ES3_NS6_12zip_iteratorINS7_INS6_11hip_rocprim26transform_input_iterator_tIbNSD_35transform_pair_of_input_iterators_tIbNS6_6detail15normal_iteratorINS6_10device_ptrIKxEEEESL_NS6_8equal_toIxEEEENSG_9not_fun_tINSD_8identityEEEEENSD_19counting_iterator_tIlEES8_S8_S8_S8_S8_S8_S8_S8_EEEEPS9_S9_NSD_9__find_if7functorIS9_EEEE10hipError_tPvRmT1_T2_T3_mT4_P12ihipStream_tbEUlT_E0_NS1_11comp_targetILNS1_3genE5ELNS1_11target_archE942ELNS1_3gpuE9ELNS1_3repE0EEENS1_30default_config_static_selectorELNS0_4arch9wavefront6targetE1EEEvS14_ ; -- Begin function _ZN7rocprim17ROCPRIM_400000_NS6detail17trampoline_kernelINS0_14default_configENS1_22reduce_config_selectorIN6thrust23THRUST_200600_302600_NS5tupleIblNS6_9null_typeES8_S8_S8_S8_S8_S8_S8_EEEEZNS1_11reduce_implILb1ES3_NS6_12zip_iteratorINS7_INS6_11hip_rocprim26transform_input_iterator_tIbNSD_35transform_pair_of_input_iterators_tIbNS6_6detail15normal_iteratorINS6_10device_ptrIKxEEEESL_NS6_8equal_toIxEEEENSG_9not_fun_tINSD_8identityEEEEENSD_19counting_iterator_tIlEES8_S8_S8_S8_S8_S8_S8_S8_EEEEPS9_S9_NSD_9__find_if7functorIS9_EEEE10hipError_tPvRmT1_T2_T3_mT4_P12ihipStream_tbEUlT_E0_NS1_11comp_targetILNS1_3genE5ELNS1_11target_archE942ELNS1_3gpuE9ELNS1_3repE0EEENS1_30default_config_static_selectorELNS0_4arch9wavefront6targetE1EEEvS14_
	.globl	_ZN7rocprim17ROCPRIM_400000_NS6detail17trampoline_kernelINS0_14default_configENS1_22reduce_config_selectorIN6thrust23THRUST_200600_302600_NS5tupleIblNS6_9null_typeES8_S8_S8_S8_S8_S8_S8_EEEEZNS1_11reduce_implILb1ES3_NS6_12zip_iteratorINS7_INS6_11hip_rocprim26transform_input_iterator_tIbNSD_35transform_pair_of_input_iterators_tIbNS6_6detail15normal_iteratorINS6_10device_ptrIKxEEEESL_NS6_8equal_toIxEEEENSG_9not_fun_tINSD_8identityEEEEENSD_19counting_iterator_tIlEES8_S8_S8_S8_S8_S8_S8_S8_EEEEPS9_S9_NSD_9__find_if7functorIS9_EEEE10hipError_tPvRmT1_T2_T3_mT4_P12ihipStream_tbEUlT_E0_NS1_11comp_targetILNS1_3genE5ELNS1_11target_archE942ELNS1_3gpuE9ELNS1_3repE0EEENS1_30default_config_static_selectorELNS0_4arch9wavefront6targetE1EEEvS14_
	.p2align	8
	.type	_ZN7rocprim17ROCPRIM_400000_NS6detail17trampoline_kernelINS0_14default_configENS1_22reduce_config_selectorIN6thrust23THRUST_200600_302600_NS5tupleIblNS6_9null_typeES8_S8_S8_S8_S8_S8_S8_EEEEZNS1_11reduce_implILb1ES3_NS6_12zip_iteratorINS7_INS6_11hip_rocprim26transform_input_iterator_tIbNSD_35transform_pair_of_input_iterators_tIbNS6_6detail15normal_iteratorINS6_10device_ptrIKxEEEESL_NS6_8equal_toIxEEEENSG_9not_fun_tINSD_8identityEEEEENSD_19counting_iterator_tIlEES8_S8_S8_S8_S8_S8_S8_S8_EEEEPS9_S9_NSD_9__find_if7functorIS9_EEEE10hipError_tPvRmT1_T2_T3_mT4_P12ihipStream_tbEUlT_E0_NS1_11comp_targetILNS1_3genE5ELNS1_11target_archE942ELNS1_3gpuE9ELNS1_3repE0EEENS1_30default_config_static_selectorELNS0_4arch9wavefront6targetE1EEEvS14_,@function
_ZN7rocprim17ROCPRIM_400000_NS6detail17trampoline_kernelINS0_14default_configENS1_22reduce_config_selectorIN6thrust23THRUST_200600_302600_NS5tupleIblNS6_9null_typeES8_S8_S8_S8_S8_S8_S8_EEEEZNS1_11reduce_implILb1ES3_NS6_12zip_iteratorINS7_INS6_11hip_rocprim26transform_input_iterator_tIbNSD_35transform_pair_of_input_iterators_tIbNS6_6detail15normal_iteratorINS6_10device_ptrIKxEEEESL_NS6_8equal_toIxEEEENSG_9not_fun_tINSD_8identityEEEEENSD_19counting_iterator_tIlEES8_S8_S8_S8_S8_S8_S8_S8_EEEEPS9_S9_NSD_9__find_if7functorIS9_EEEE10hipError_tPvRmT1_T2_T3_mT4_P12ihipStream_tbEUlT_E0_NS1_11comp_targetILNS1_3genE5ELNS1_11target_archE942ELNS1_3gpuE9ELNS1_3repE0EEENS1_30default_config_static_selectorELNS0_4arch9wavefront6targetE1EEEvS14_: ; @_ZN7rocprim17ROCPRIM_400000_NS6detail17trampoline_kernelINS0_14default_configENS1_22reduce_config_selectorIN6thrust23THRUST_200600_302600_NS5tupleIblNS6_9null_typeES8_S8_S8_S8_S8_S8_S8_EEEEZNS1_11reduce_implILb1ES3_NS6_12zip_iteratorINS7_INS6_11hip_rocprim26transform_input_iterator_tIbNSD_35transform_pair_of_input_iterators_tIbNS6_6detail15normal_iteratorINS6_10device_ptrIKxEEEESL_NS6_8equal_toIxEEEENSG_9not_fun_tINSD_8identityEEEEENSD_19counting_iterator_tIlEES8_S8_S8_S8_S8_S8_S8_S8_EEEEPS9_S9_NSD_9__find_if7functorIS9_EEEE10hipError_tPvRmT1_T2_T3_mT4_P12ihipStream_tbEUlT_E0_NS1_11comp_targetILNS1_3genE5ELNS1_11target_archE942ELNS1_3gpuE9ELNS1_3repE0EEENS1_30default_config_static_selectorELNS0_4arch9wavefront6targetE1EEEvS14_
; %bb.0:
	.section	.rodata,"a",@progbits
	.p2align	6, 0x0
	.amdhsa_kernel _ZN7rocprim17ROCPRIM_400000_NS6detail17trampoline_kernelINS0_14default_configENS1_22reduce_config_selectorIN6thrust23THRUST_200600_302600_NS5tupleIblNS6_9null_typeES8_S8_S8_S8_S8_S8_S8_EEEEZNS1_11reduce_implILb1ES3_NS6_12zip_iteratorINS7_INS6_11hip_rocprim26transform_input_iterator_tIbNSD_35transform_pair_of_input_iterators_tIbNS6_6detail15normal_iteratorINS6_10device_ptrIKxEEEESL_NS6_8equal_toIxEEEENSG_9not_fun_tINSD_8identityEEEEENSD_19counting_iterator_tIlEES8_S8_S8_S8_S8_S8_S8_S8_EEEEPS9_S9_NSD_9__find_if7functorIS9_EEEE10hipError_tPvRmT1_T2_T3_mT4_P12ihipStream_tbEUlT_E0_NS1_11comp_targetILNS1_3genE5ELNS1_11target_archE942ELNS1_3gpuE9ELNS1_3repE0EEENS1_30default_config_static_selectorELNS0_4arch9wavefront6targetE1EEEvS14_
		.amdhsa_group_segment_fixed_size 0
		.amdhsa_private_segment_fixed_size 0
		.amdhsa_kernarg_size 104
		.amdhsa_user_sgpr_count 6
		.amdhsa_user_sgpr_private_segment_buffer 1
		.amdhsa_user_sgpr_dispatch_ptr 0
		.amdhsa_user_sgpr_queue_ptr 0
		.amdhsa_user_sgpr_kernarg_segment_ptr 1
		.amdhsa_user_sgpr_dispatch_id 0
		.amdhsa_user_sgpr_flat_scratch_init 0
		.amdhsa_user_sgpr_kernarg_preload_length 0
		.amdhsa_user_sgpr_kernarg_preload_offset 0
		.amdhsa_user_sgpr_private_segment_size 0
		.amdhsa_uses_dynamic_stack 0
		.amdhsa_system_sgpr_private_segment_wavefront_offset 0
		.amdhsa_system_sgpr_workgroup_id_x 1
		.amdhsa_system_sgpr_workgroup_id_y 0
		.amdhsa_system_sgpr_workgroup_id_z 0
		.amdhsa_system_sgpr_workgroup_info 0
		.amdhsa_system_vgpr_workitem_id 0
		.amdhsa_next_free_vgpr 1
		.amdhsa_next_free_sgpr 0
		.amdhsa_accum_offset 4
		.amdhsa_reserve_vcc 0
		.amdhsa_reserve_flat_scratch 0
		.amdhsa_float_round_mode_32 0
		.amdhsa_float_round_mode_16_64 0
		.amdhsa_float_denorm_mode_32 3
		.amdhsa_float_denorm_mode_16_64 3
		.amdhsa_dx10_clamp 1
		.amdhsa_ieee_mode 1
		.amdhsa_fp16_overflow 0
		.amdhsa_tg_split 0
		.amdhsa_exception_fp_ieee_invalid_op 0
		.amdhsa_exception_fp_denorm_src 0
		.amdhsa_exception_fp_ieee_div_zero 0
		.amdhsa_exception_fp_ieee_overflow 0
		.amdhsa_exception_fp_ieee_underflow 0
		.amdhsa_exception_fp_ieee_inexact 0
		.amdhsa_exception_int_div_zero 0
	.end_amdhsa_kernel
	.section	.text._ZN7rocprim17ROCPRIM_400000_NS6detail17trampoline_kernelINS0_14default_configENS1_22reduce_config_selectorIN6thrust23THRUST_200600_302600_NS5tupleIblNS6_9null_typeES8_S8_S8_S8_S8_S8_S8_EEEEZNS1_11reduce_implILb1ES3_NS6_12zip_iteratorINS7_INS6_11hip_rocprim26transform_input_iterator_tIbNSD_35transform_pair_of_input_iterators_tIbNS6_6detail15normal_iteratorINS6_10device_ptrIKxEEEESL_NS6_8equal_toIxEEEENSG_9not_fun_tINSD_8identityEEEEENSD_19counting_iterator_tIlEES8_S8_S8_S8_S8_S8_S8_S8_EEEEPS9_S9_NSD_9__find_if7functorIS9_EEEE10hipError_tPvRmT1_T2_T3_mT4_P12ihipStream_tbEUlT_E0_NS1_11comp_targetILNS1_3genE5ELNS1_11target_archE942ELNS1_3gpuE9ELNS1_3repE0EEENS1_30default_config_static_selectorELNS0_4arch9wavefront6targetE1EEEvS14_,"axG",@progbits,_ZN7rocprim17ROCPRIM_400000_NS6detail17trampoline_kernelINS0_14default_configENS1_22reduce_config_selectorIN6thrust23THRUST_200600_302600_NS5tupleIblNS6_9null_typeES8_S8_S8_S8_S8_S8_S8_EEEEZNS1_11reduce_implILb1ES3_NS6_12zip_iteratorINS7_INS6_11hip_rocprim26transform_input_iterator_tIbNSD_35transform_pair_of_input_iterators_tIbNS6_6detail15normal_iteratorINS6_10device_ptrIKxEEEESL_NS6_8equal_toIxEEEENSG_9not_fun_tINSD_8identityEEEEENSD_19counting_iterator_tIlEES8_S8_S8_S8_S8_S8_S8_S8_EEEEPS9_S9_NSD_9__find_if7functorIS9_EEEE10hipError_tPvRmT1_T2_T3_mT4_P12ihipStream_tbEUlT_E0_NS1_11comp_targetILNS1_3genE5ELNS1_11target_archE942ELNS1_3gpuE9ELNS1_3repE0EEENS1_30default_config_static_selectorELNS0_4arch9wavefront6targetE1EEEvS14_,comdat
.Lfunc_end106:
	.size	_ZN7rocprim17ROCPRIM_400000_NS6detail17trampoline_kernelINS0_14default_configENS1_22reduce_config_selectorIN6thrust23THRUST_200600_302600_NS5tupleIblNS6_9null_typeES8_S8_S8_S8_S8_S8_S8_EEEEZNS1_11reduce_implILb1ES3_NS6_12zip_iteratorINS7_INS6_11hip_rocprim26transform_input_iterator_tIbNSD_35transform_pair_of_input_iterators_tIbNS6_6detail15normal_iteratorINS6_10device_ptrIKxEEEESL_NS6_8equal_toIxEEEENSG_9not_fun_tINSD_8identityEEEEENSD_19counting_iterator_tIlEES8_S8_S8_S8_S8_S8_S8_S8_EEEEPS9_S9_NSD_9__find_if7functorIS9_EEEE10hipError_tPvRmT1_T2_T3_mT4_P12ihipStream_tbEUlT_E0_NS1_11comp_targetILNS1_3genE5ELNS1_11target_archE942ELNS1_3gpuE9ELNS1_3repE0EEENS1_30default_config_static_selectorELNS0_4arch9wavefront6targetE1EEEvS14_, .Lfunc_end106-_ZN7rocprim17ROCPRIM_400000_NS6detail17trampoline_kernelINS0_14default_configENS1_22reduce_config_selectorIN6thrust23THRUST_200600_302600_NS5tupleIblNS6_9null_typeES8_S8_S8_S8_S8_S8_S8_EEEEZNS1_11reduce_implILb1ES3_NS6_12zip_iteratorINS7_INS6_11hip_rocprim26transform_input_iterator_tIbNSD_35transform_pair_of_input_iterators_tIbNS6_6detail15normal_iteratorINS6_10device_ptrIKxEEEESL_NS6_8equal_toIxEEEENSG_9not_fun_tINSD_8identityEEEEENSD_19counting_iterator_tIlEES8_S8_S8_S8_S8_S8_S8_S8_EEEEPS9_S9_NSD_9__find_if7functorIS9_EEEE10hipError_tPvRmT1_T2_T3_mT4_P12ihipStream_tbEUlT_E0_NS1_11comp_targetILNS1_3genE5ELNS1_11target_archE942ELNS1_3gpuE9ELNS1_3repE0EEENS1_30default_config_static_selectorELNS0_4arch9wavefront6targetE1EEEvS14_
                                        ; -- End function
	.section	.AMDGPU.csdata,"",@progbits
; Kernel info:
; codeLenInByte = 0
; NumSgprs: 4
; NumVgprs: 0
; NumAgprs: 0
; TotalNumVgprs: 0
; ScratchSize: 0
; MemoryBound: 0
; FloatMode: 240
; IeeeMode: 1
; LDSByteSize: 0 bytes/workgroup (compile time only)
; SGPRBlocks: 0
; VGPRBlocks: 0
; NumSGPRsForWavesPerEU: 4
; NumVGPRsForWavesPerEU: 1
; AccumOffset: 4
; Occupancy: 8
; WaveLimiterHint : 0
; COMPUTE_PGM_RSRC2:SCRATCH_EN: 0
; COMPUTE_PGM_RSRC2:USER_SGPR: 6
; COMPUTE_PGM_RSRC2:TRAP_HANDLER: 0
; COMPUTE_PGM_RSRC2:TGID_X_EN: 1
; COMPUTE_PGM_RSRC2:TGID_Y_EN: 0
; COMPUTE_PGM_RSRC2:TGID_Z_EN: 0
; COMPUTE_PGM_RSRC2:TIDIG_COMP_CNT: 0
; COMPUTE_PGM_RSRC3_GFX90A:ACCUM_OFFSET: 0
; COMPUTE_PGM_RSRC3_GFX90A:TG_SPLIT: 0
	.section	.text._ZN7rocprim17ROCPRIM_400000_NS6detail17trampoline_kernelINS0_14default_configENS1_22reduce_config_selectorIN6thrust23THRUST_200600_302600_NS5tupleIblNS6_9null_typeES8_S8_S8_S8_S8_S8_S8_EEEEZNS1_11reduce_implILb1ES3_NS6_12zip_iteratorINS7_INS6_11hip_rocprim26transform_input_iterator_tIbNSD_35transform_pair_of_input_iterators_tIbNS6_6detail15normal_iteratorINS6_10device_ptrIKxEEEESL_NS6_8equal_toIxEEEENSG_9not_fun_tINSD_8identityEEEEENSD_19counting_iterator_tIlEES8_S8_S8_S8_S8_S8_S8_S8_EEEEPS9_S9_NSD_9__find_if7functorIS9_EEEE10hipError_tPvRmT1_T2_T3_mT4_P12ihipStream_tbEUlT_E0_NS1_11comp_targetILNS1_3genE4ELNS1_11target_archE910ELNS1_3gpuE8ELNS1_3repE0EEENS1_30default_config_static_selectorELNS0_4arch9wavefront6targetE1EEEvS14_,"axG",@progbits,_ZN7rocprim17ROCPRIM_400000_NS6detail17trampoline_kernelINS0_14default_configENS1_22reduce_config_selectorIN6thrust23THRUST_200600_302600_NS5tupleIblNS6_9null_typeES8_S8_S8_S8_S8_S8_S8_EEEEZNS1_11reduce_implILb1ES3_NS6_12zip_iteratorINS7_INS6_11hip_rocprim26transform_input_iterator_tIbNSD_35transform_pair_of_input_iterators_tIbNS6_6detail15normal_iteratorINS6_10device_ptrIKxEEEESL_NS6_8equal_toIxEEEENSG_9not_fun_tINSD_8identityEEEEENSD_19counting_iterator_tIlEES8_S8_S8_S8_S8_S8_S8_S8_EEEEPS9_S9_NSD_9__find_if7functorIS9_EEEE10hipError_tPvRmT1_T2_T3_mT4_P12ihipStream_tbEUlT_E0_NS1_11comp_targetILNS1_3genE4ELNS1_11target_archE910ELNS1_3gpuE8ELNS1_3repE0EEENS1_30default_config_static_selectorELNS0_4arch9wavefront6targetE1EEEvS14_,comdat
	.protected	_ZN7rocprim17ROCPRIM_400000_NS6detail17trampoline_kernelINS0_14default_configENS1_22reduce_config_selectorIN6thrust23THRUST_200600_302600_NS5tupleIblNS6_9null_typeES8_S8_S8_S8_S8_S8_S8_EEEEZNS1_11reduce_implILb1ES3_NS6_12zip_iteratorINS7_INS6_11hip_rocprim26transform_input_iterator_tIbNSD_35transform_pair_of_input_iterators_tIbNS6_6detail15normal_iteratorINS6_10device_ptrIKxEEEESL_NS6_8equal_toIxEEEENSG_9not_fun_tINSD_8identityEEEEENSD_19counting_iterator_tIlEES8_S8_S8_S8_S8_S8_S8_S8_EEEEPS9_S9_NSD_9__find_if7functorIS9_EEEE10hipError_tPvRmT1_T2_T3_mT4_P12ihipStream_tbEUlT_E0_NS1_11comp_targetILNS1_3genE4ELNS1_11target_archE910ELNS1_3gpuE8ELNS1_3repE0EEENS1_30default_config_static_selectorELNS0_4arch9wavefront6targetE1EEEvS14_ ; -- Begin function _ZN7rocprim17ROCPRIM_400000_NS6detail17trampoline_kernelINS0_14default_configENS1_22reduce_config_selectorIN6thrust23THRUST_200600_302600_NS5tupleIblNS6_9null_typeES8_S8_S8_S8_S8_S8_S8_EEEEZNS1_11reduce_implILb1ES3_NS6_12zip_iteratorINS7_INS6_11hip_rocprim26transform_input_iterator_tIbNSD_35transform_pair_of_input_iterators_tIbNS6_6detail15normal_iteratorINS6_10device_ptrIKxEEEESL_NS6_8equal_toIxEEEENSG_9not_fun_tINSD_8identityEEEEENSD_19counting_iterator_tIlEES8_S8_S8_S8_S8_S8_S8_S8_EEEEPS9_S9_NSD_9__find_if7functorIS9_EEEE10hipError_tPvRmT1_T2_T3_mT4_P12ihipStream_tbEUlT_E0_NS1_11comp_targetILNS1_3genE4ELNS1_11target_archE910ELNS1_3gpuE8ELNS1_3repE0EEENS1_30default_config_static_selectorELNS0_4arch9wavefront6targetE1EEEvS14_
	.globl	_ZN7rocprim17ROCPRIM_400000_NS6detail17trampoline_kernelINS0_14default_configENS1_22reduce_config_selectorIN6thrust23THRUST_200600_302600_NS5tupleIblNS6_9null_typeES8_S8_S8_S8_S8_S8_S8_EEEEZNS1_11reduce_implILb1ES3_NS6_12zip_iteratorINS7_INS6_11hip_rocprim26transform_input_iterator_tIbNSD_35transform_pair_of_input_iterators_tIbNS6_6detail15normal_iteratorINS6_10device_ptrIKxEEEESL_NS6_8equal_toIxEEEENSG_9not_fun_tINSD_8identityEEEEENSD_19counting_iterator_tIlEES8_S8_S8_S8_S8_S8_S8_S8_EEEEPS9_S9_NSD_9__find_if7functorIS9_EEEE10hipError_tPvRmT1_T2_T3_mT4_P12ihipStream_tbEUlT_E0_NS1_11comp_targetILNS1_3genE4ELNS1_11target_archE910ELNS1_3gpuE8ELNS1_3repE0EEENS1_30default_config_static_selectorELNS0_4arch9wavefront6targetE1EEEvS14_
	.p2align	8
	.type	_ZN7rocprim17ROCPRIM_400000_NS6detail17trampoline_kernelINS0_14default_configENS1_22reduce_config_selectorIN6thrust23THRUST_200600_302600_NS5tupleIblNS6_9null_typeES8_S8_S8_S8_S8_S8_S8_EEEEZNS1_11reduce_implILb1ES3_NS6_12zip_iteratorINS7_INS6_11hip_rocprim26transform_input_iterator_tIbNSD_35transform_pair_of_input_iterators_tIbNS6_6detail15normal_iteratorINS6_10device_ptrIKxEEEESL_NS6_8equal_toIxEEEENSG_9not_fun_tINSD_8identityEEEEENSD_19counting_iterator_tIlEES8_S8_S8_S8_S8_S8_S8_S8_EEEEPS9_S9_NSD_9__find_if7functorIS9_EEEE10hipError_tPvRmT1_T2_T3_mT4_P12ihipStream_tbEUlT_E0_NS1_11comp_targetILNS1_3genE4ELNS1_11target_archE910ELNS1_3gpuE8ELNS1_3repE0EEENS1_30default_config_static_selectorELNS0_4arch9wavefront6targetE1EEEvS14_,@function
_ZN7rocprim17ROCPRIM_400000_NS6detail17trampoline_kernelINS0_14default_configENS1_22reduce_config_selectorIN6thrust23THRUST_200600_302600_NS5tupleIblNS6_9null_typeES8_S8_S8_S8_S8_S8_S8_EEEEZNS1_11reduce_implILb1ES3_NS6_12zip_iteratorINS7_INS6_11hip_rocprim26transform_input_iterator_tIbNSD_35transform_pair_of_input_iterators_tIbNS6_6detail15normal_iteratorINS6_10device_ptrIKxEEEESL_NS6_8equal_toIxEEEENSG_9not_fun_tINSD_8identityEEEEENSD_19counting_iterator_tIlEES8_S8_S8_S8_S8_S8_S8_S8_EEEEPS9_S9_NSD_9__find_if7functorIS9_EEEE10hipError_tPvRmT1_T2_T3_mT4_P12ihipStream_tbEUlT_E0_NS1_11comp_targetILNS1_3genE4ELNS1_11target_archE910ELNS1_3gpuE8ELNS1_3repE0EEENS1_30default_config_static_selectorELNS0_4arch9wavefront6targetE1EEEvS14_: ; @_ZN7rocprim17ROCPRIM_400000_NS6detail17trampoline_kernelINS0_14default_configENS1_22reduce_config_selectorIN6thrust23THRUST_200600_302600_NS5tupleIblNS6_9null_typeES8_S8_S8_S8_S8_S8_S8_EEEEZNS1_11reduce_implILb1ES3_NS6_12zip_iteratorINS7_INS6_11hip_rocprim26transform_input_iterator_tIbNSD_35transform_pair_of_input_iterators_tIbNS6_6detail15normal_iteratorINS6_10device_ptrIKxEEEESL_NS6_8equal_toIxEEEENSG_9not_fun_tINSD_8identityEEEEENSD_19counting_iterator_tIlEES8_S8_S8_S8_S8_S8_S8_S8_EEEEPS9_S9_NSD_9__find_if7functorIS9_EEEE10hipError_tPvRmT1_T2_T3_mT4_P12ihipStream_tbEUlT_E0_NS1_11comp_targetILNS1_3genE4ELNS1_11target_archE910ELNS1_3gpuE8ELNS1_3repE0EEENS1_30default_config_static_selectorELNS0_4arch9wavefront6targetE1EEEvS14_
; %bb.0:
	s_load_dwordx8 s[8:15], s[4:5], 0x20
	s_load_dwordx4 s[0:3], s[4:5], 0x0
	s_load_dwordx4 s[16:19], s[4:5], 0x40
	s_mov_b32 s25, 0
	s_mov_b32 s7, s25
	s_waitcnt lgkmcnt(0)
	s_lshl_b64 s[20:21], s[10:11], 3
	s_add_u32 s22, s0, s20
	s_addc_u32 s23, s1, s21
	s_add_u32 s26, s2, s20
	s_addc_u32 s27, s3, s21
	s_lshl_b32 s24, s6, 9
	s_lshr_b64 s[0:1], s[12:13], 9
	s_lshl_b64 s[2:3], s[24:25], 3
	s_add_u32 s20, s22, s2
	s_addc_u32 s21, s23, s3
	s_add_u32 s22, s26, s2
	s_addc_u32 s23, s27, s3
	;; [unrolled: 2-line block ×4, first 2 shown]
	s_cmp_lg_u64 s[0:1], s[6:7]
	v_lshlrev_b32_e32 v1, 3, v0
	s_cbranch_scc0 .LBB107_18
; %bb.1:
	global_load_dwordx2 v[2:3], v1, s[22:23] offset:2048
	global_load_dwordx2 v[4:5], v1, s[22:23]
	global_load_dwordx2 v[6:7], v1, s[20:21] offset:2048
	global_load_dwordx2 v[8:9], v1, s[20:21]
	v_mov_b32_e32 v10, s9
	v_add_co_u32_e32 v11, vcc, s8, v0
	v_addc_co_u32_e32 v10, vcc, 0, v10, vcc
	v_add_co_u32_e32 v12, vcc, 0x100, v11
	v_addc_co_u32_e32 v13, vcc, 0, v10, vcc
	s_waitcnt vmcnt(1)
	v_cmp_ne_u64_e32 vcc, v[6:7], v[2:3]
	s_waitcnt vmcnt(0)
	v_cmp_ne_u64_e64 s[0:1], v[8:9], v[4:5]
	v_cndmask_b32_e64 v3, v13, v10, s[0:1]
	v_cndmask_b32_e64 v2, v12, v11, s[0:1]
	s_or_b64 s[0:1], s[0:1], vcc
	v_cndmask_b32_e64 v6, 0, 1, s[0:1]
	v_mov_b32_dpp v4, v2 quad_perm:[1,0,3,2] row_mask:0xf bank_mask:0xf bound_ctrl:1
	v_mov_b32_dpp v5, v3 quad_perm:[1,0,3,2] row_mask:0xf bank_mask:0xf bound_ctrl:1
	v_mov_b32_dpp v7, v6 quad_perm:[1,0,3,2] row_mask:0xf bank_mask:0xf bound_ctrl:1
	v_and_b32_e32 v8, 1, v7
	v_cmp_eq_u32_e32 vcc, 1, v8
	s_and_saveexec_b64 s[2:3], vcc
; %bb.2:
	v_cmp_lt_i64_e32 vcc, v[2:3], v[4:5]
	v_cndmask_b32_e64 v7, v7, 1, s[0:1]
	s_and_b64 vcc, s[0:1], vcc
	v_cndmask_b32_e32 v2, v4, v2, vcc
	v_and_b32_e32 v4, 1, v7
	v_cndmask_b32_e32 v3, v5, v3, vcc
	v_cmp_eq_u32_e32 vcc, 1, v4
	s_andn2_b64 s[0:1], s[0:1], exec
	s_and_b64 s[10:11], vcc, exec
	v_and_b32_e32 v6, 0xff, v7
	s_or_b64 s[0:1], s[0:1], s[10:11]
; %bb.3:
	s_or_b64 exec, exec, s[2:3]
	v_mov_b32_dpp v7, v6 quad_perm:[2,3,0,1] row_mask:0xf bank_mask:0xf bound_ctrl:1
	v_and_b32_e32 v8, 1, v7
	v_mov_b32_dpp v4, v2 quad_perm:[2,3,0,1] row_mask:0xf bank_mask:0xf bound_ctrl:1
	v_mov_b32_dpp v5, v3 quad_perm:[2,3,0,1] row_mask:0xf bank_mask:0xf bound_ctrl:1
	v_cmp_eq_u32_e32 vcc, 1, v8
	s_and_saveexec_b64 s[2:3], vcc
; %bb.4:
	v_cmp_lt_i64_e32 vcc, v[2:3], v[4:5]
	v_cndmask_b32_e64 v7, v7, 1, s[0:1]
	s_and_b64 vcc, s[0:1], vcc
	v_cndmask_b32_e32 v2, v4, v2, vcc
	v_and_b32_e32 v4, 1, v7
	v_cndmask_b32_e32 v3, v5, v3, vcc
	v_cmp_eq_u32_e32 vcc, 1, v4
	s_andn2_b64 s[0:1], s[0:1], exec
	s_and_b64 s[10:11], vcc, exec
	v_and_b32_e32 v6, 0xff, v7
	s_or_b64 s[0:1], s[0:1], s[10:11]
; %bb.5:
	s_or_b64 exec, exec, s[2:3]
	v_mov_b32_dpp v7, v6 row_ror:4 row_mask:0xf bank_mask:0xf bound_ctrl:1
	v_and_b32_e32 v8, 1, v7
	v_mov_b32_dpp v4, v2 row_ror:4 row_mask:0xf bank_mask:0xf bound_ctrl:1
	v_mov_b32_dpp v5, v3 row_ror:4 row_mask:0xf bank_mask:0xf bound_ctrl:1
	v_cmp_eq_u32_e32 vcc, 1, v8
	s_and_saveexec_b64 s[2:3], vcc
; %bb.6:
	v_cmp_lt_i64_e32 vcc, v[2:3], v[4:5]
	v_cndmask_b32_e64 v7, v7, 1, s[0:1]
	s_and_b64 vcc, s[0:1], vcc
	v_cndmask_b32_e32 v2, v4, v2, vcc
	v_and_b32_e32 v4, 1, v7
	v_cndmask_b32_e32 v3, v5, v3, vcc
	v_cmp_eq_u32_e32 vcc, 1, v4
	s_andn2_b64 s[0:1], s[0:1], exec
	s_and_b64 s[10:11], vcc, exec
	v_and_b32_e32 v6, 0xff, v7
	s_or_b64 s[0:1], s[0:1], s[10:11]
; %bb.7:
	s_or_b64 exec, exec, s[2:3]
	v_mov_b32_dpp v7, v6 row_ror:8 row_mask:0xf bank_mask:0xf bound_ctrl:1
	v_and_b32_e32 v8, 1, v7
	v_mov_b32_dpp v4, v2 row_ror:8 row_mask:0xf bank_mask:0xf bound_ctrl:1
	v_mov_b32_dpp v5, v3 row_ror:8 row_mask:0xf bank_mask:0xf bound_ctrl:1
	v_cmp_eq_u32_e32 vcc, 1, v8
	s_and_saveexec_b64 s[2:3], vcc
; %bb.8:
	v_cmp_lt_i64_e32 vcc, v[2:3], v[4:5]
	v_cndmask_b32_e64 v7, v7, 1, s[0:1]
	s_and_b64 vcc, s[0:1], vcc
	v_cndmask_b32_e32 v2, v4, v2, vcc
	v_and_b32_e32 v4, 1, v7
	v_cndmask_b32_e32 v3, v5, v3, vcc
	v_cmp_eq_u32_e32 vcc, 1, v4
	s_andn2_b64 s[0:1], s[0:1], exec
	s_and_b64 s[10:11], vcc, exec
	v_and_b32_e32 v6, 0xff, v7
	s_or_b64 s[0:1], s[0:1], s[10:11]
; %bb.9:
	s_or_b64 exec, exec, s[2:3]
	v_mov_b32_dpp v7, v6 row_bcast:15 row_mask:0xf bank_mask:0xf bound_ctrl:1
	v_and_b32_e32 v8, 1, v7
	v_mov_b32_dpp v4, v2 row_bcast:15 row_mask:0xf bank_mask:0xf bound_ctrl:1
	v_mov_b32_dpp v5, v3 row_bcast:15 row_mask:0xf bank_mask:0xf bound_ctrl:1
	v_cmp_eq_u32_e32 vcc, 1, v8
	s_and_saveexec_b64 s[2:3], vcc
; %bb.10:
	v_cmp_lt_i64_e32 vcc, v[2:3], v[4:5]
	v_cndmask_b32_e64 v7, v7, 1, s[0:1]
	s_and_b64 vcc, s[0:1], vcc
	v_cndmask_b32_e32 v2, v4, v2, vcc
	v_and_b32_e32 v4, 1, v7
	v_cndmask_b32_e32 v3, v5, v3, vcc
	v_cmp_eq_u32_e32 vcc, 1, v4
	s_andn2_b64 s[0:1], s[0:1], exec
	s_and_b64 s[10:11], vcc, exec
	v_and_b32_e32 v6, 0xff, v7
	s_or_b64 s[0:1], s[0:1], s[10:11]
; %bb.11:
	s_or_b64 exec, exec, s[2:3]
	v_mov_b32_dpp v7, v6 row_bcast:31 row_mask:0xf bank_mask:0xf bound_ctrl:1
	v_and_b32_e32 v8, 1, v7
	v_mov_b32_dpp v4, v2 row_bcast:31 row_mask:0xf bank_mask:0xf bound_ctrl:1
	v_mov_b32_dpp v5, v3 row_bcast:31 row_mask:0xf bank_mask:0xf bound_ctrl:1
	v_cmp_eq_u32_e32 vcc, 1, v8
	s_and_saveexec_b64 s[2:3], vcc
; %bb.12:
	v_cmp_lt_i64_e32 vcc, v[2:3], v[4:5]
	v_and_b32_e32 v6, 0xff, v7
	s_and_b64 vcc, s[0:1], vcc
	v_cndmask_b32_e32 v2, v4, v2, vcc
	v_cndmask_b32_e32 v3, v5, v3, vcc
	v_cndmask_b32_e64 v6, v6, 1, s[0:1]
; %bb.13:
	s_or_b64 exec, exec, s[2:3]
	v_mbcnt_lo_u32_b32 v4, -1, 0
	v_mbcnt_hi_u32_b32 v4, -1, v4
	v_bfrev_b32_e32 v5, 0.5
	v_lshl_or_b32 v5, v4, 2, v5
	ds_bpermute_b32 v6, v5, v6
	ds_bpermute_b32 v2, v5, v2
	;; [unrolled: 1-line block ×3, first 2 shown]
	v_cmp_eq_u32_e32 vcc, 0, v4
	s_and_saveexec_b64 s[0:1], vcc
	s_cbranch_execz .LBB107_15
; %bb.14:
	v_lshrrev_b32_e32 v5, 2, v0
	v_and_b32_e32 v5, 48, v5
	s_waitcnt lgkmcnt(2)
	ds_write_b8 v5, v6
	s_waitcnt lgkmcnt(1)
	ds_write_b64 v5, v[2:3] offset:8
.LBB107_15:
	s_or_b64 exec, exec, s[0:1]
	v_cmp_gt_u32_e32 vcc, 64, v0
	s_waitcnt lgkmcnt(0)
	s_barrier
	s_and_saveexec_b64 s[2:3], vcc
	s_cbranch_execz .LBB107_17
; %bb.16:
	v_and_b32_e32 v5, 3, v4
	v_lshlrev_b32_e32 v2, 4, v5
	ds_read_u8 v8, v2
	ds_read_b64 v[2:3], v2 offset:8
	v_cmp_ne_u32_e32 vcc, 3, v5
	v_addc_co_u32_e32 v6, vcc, 0, v4, vcc
	s_waitcnt lgkmcnt(1)
	v_and_b32_e32 v7, 0xff, v8
	v_lshlrev_b32_e32 v9, 2, v6
	ds_bpermute_b32 v10, v9, v7
	s_waitcnt lgkmcnt(1)
	ds_bpermute_b32 v6, v9, v2
	ds_bpermute_b32 v7, v9, v3
	v_and_b32_e32 v9, 1, v8
	s_waitcnt lgkmcnt(2)
	v_and_b32_e32 v11, 1, v10
	v_cmp_eq_u32_e64 s[0:1], 1, v11
	s_waitcnt lgkmcnt(0)
	v_cmp_lt_i64_e32 vcc, v[6:7], v[2:3]
	s_and_b64 vcc, s[0:1], vcc
	v_cndmask_b32_e64 v8, v8, 1, s[0:1]
	v_cndmask_b32_e32 v2, v2, v6, vcc
	v_cndmask_b32_e32 v3, v3, v7, vcc
	v_cmp_eq_u32_e32 vcc, 1, v9
	v_cndmask_b32_e32 v8, v10, v8, vcc
	v_cndmask_b32_e32 v3, v7, v3, vcc
	;; [unrolled: 1-line block ×3, first 2 shown]
	v_cmp_gt_u32_e32 vcc, 2, v5
	v_cndmask_b32_e64 v5, 0, 1, vcc
	v_lshlrev_b32_e32 v5, 1, v5
	v_and_b32_e32 v6, 0xff, v8
	v_add_lshl_u32 v5, v5, v4, 2
	ds_bpermute_b32 v6, v5, v6
	ds_bpermute_b32 v4, v5, v2
	;; [unrolled: 1-line block ×3, first 2 shown]
	v_and_b32_e32 v7, 1, v8
	s_waitcnt lgkmcnt(2)
	v_and_b32_e32 v9, 1, v6
	v_cmp_eq_u32_e64 s[0:1], 1, v9
	s_waitcnt lgkmcnt(0)
	v_cmp_lt_i64_e32 vcc, v[4:5], v[2:3]
	s_and_b64 vcc, s[0:1], vcc
	v_cndmask_b32_e64 v8, v8, 1, s[0:1]
	v_cndmask_b32_e32 v2, v2, v4, vcc
	v_cndmask_b32_e32 v3, v3, v5, vcc
	v_cmp_eq_u32_e32 vcc, 1, v7
	v_cndmask_b32_e32 v6, v6, v8, vcc
	v_cndmask_b32_e32 v3, v5, v3, vcc
	;; [unrolled: 1-line block ×3, first 2 shown]
	v_and_b32_e32 v6, 0xff, v6
.LBB107_17:
	s_or_b64 exec, exec, s[2:3]
	s_load_dword s10, s[4:5], 0x50
	s_load_dwordx2 s[2:3], s[4:5], 0x58
	s_branch .LBB107_46
.LBB107_18:
                                        ; implicit-def: $vgpr2_vgpr3
                                        ; implicit-def: $vgpr6
	s_load_dword s10, s[4:5], 0x50
	s_load_dwordx2 s[2:3], s[4:5], 0x58
	s_cbranch_execz .LBB107_46
; %bb.19:
	s_sub_i32 s11, s12, s24
	v_pk_mov_b32 v[4:5], 0, 0
	v_cmp_gt_u32_e32 vcc, s11, v0
	v_mov_b32_e32 v6, 0
	v_pk_mov_b32 v[2:3], v[4:5], v[4:5] op_sel:[0,1]
	v_mov_b32_e32 v7, 0
	s_and_saveexec_b64 s[0:1], vcc
	s_cbranch_execz .LBB107_21
; %bb.20:
	global_load_dwordx2 v[8:9], v1, s[20:21]
	global_load_dwordx2 v[10:11], v1, s[22:23]
	v_mov_b32_e32 v3, s9
	v_add_co_u32_e32 v2, vcc, s8, v0
	v_addc_co_u32_e32 v3, vcc, 0, v3, vcc
	s_waitcnt vmcnt(0)
	v_cmp_ne_u64_e32 vcc, v[8:9], v[10:11]
	v_cndmask_b32_e64 v7, 0, 1, vcc
.LBB107_21:
	s_or_b64 exec, exec, s[0:1]
	v_or_b32_e32 v8, 0x100, v0
	v_cmp_gt_u32_e32 vcc, s11, v8
	s_and_saveexec_b64 s[4:5], vcc
	s_cbranch_execz .LBB107_23
; %bb.22:
	global_load_dwordx2 v[10:11], v1, s[20:21] offset:2048
	global_load_dwordx2 v[12:13], v1, s[22:23] offset:2048
	v_mov_b32_e32 v1, s9
	v_add_co_u32_e64 v4, s[0:1], s8, v8
	v_addc_co_u32_e64 v5, s[0:1], 0, v1, s[0:1]
	s_waitcnt vmcnt(0)
	v_cmp_ne_u64_e64 s[0:1], v[10:11], v[12:13]
	v_cndmask_b32_e64 v6, 0, 1, s[0:1]
.LBB107_23:
	s_or_b64 exec, exec, s[4:5]
	s_and_saveexec_b64 s[4:5], vcc
	s_cbranch_execz .LBB107_25
; %bb.24:
	v_and_b32_e32 v8, 1, v6
	v_cmp_lt_i64_e32 vcc, v[4:5], v[2:3]
	v_cmp_eq_u32_e64 s[0:1], 1, v8
	v_and_b32_e32 v1, 1, v7
	s_and_b64 vcc, s[0:1], vcc
	v_cndmask_b32_e64 v7, v7, 1, s[0:1]
	v_cndmask_b32_e32 v2, v2, v4, vcc
	v_cndmask_b32_e32 v3, v3, v5, vcc
	v_cmp_eq_u32_e32 vcc, 1, v1
	v_cndmask_b32_e32 v7, v6, v7, vcc
	v_cndmask_b32_e32 v3, v5, v3, vcc
	v_cndmask_b32_e32 v2, v4, v2, vcc
.LBB107_25:
	s_or_b64 exec, exec, s[4:5]
	v_mbcnt_lo_u32_b32 v1, -1, 0
	v_mbcnt_hi_u32_b32 v1, -1, v1
	v_and_b32_e32 v8, 63, v1
	v_cmp_ne_u32_e32 vcc, 63, v8
	v_addc_co_u32_e32 v4, vcc, 0, v1, vcc
	v_and_b32_e32 v6, 0xffff, v7
	v_lshlrev_b32_e32 v5, 2, v4
	ds_bpermute_b32 v10, v5, v6
	ds_bpermute_b32 v4, v5, v2
	;; [unrolled: 1-line block ×3, first 2 shown]
	s_min_u32 s8, s11, 0x100
	v_and_b32_e32 v9, 0xc0, v0
	v_sub_u32_e64 v9, s8, v9 clamp
	v_add_u32_e32 v11, 1, v8
	v_cmp_lt_u32_e32 vcc, v11, v9
	s_and_saveexec_b64 s[4:5], vcc
	s_cbranch_execz .LBB107_27
; %bb.26:
	s_waitcnt lgkmcnt(0)
	v_and_b32_e32 v11, 1, v10
	v_cmp_lt_i64_e32 vcc, v[4:5], v[2:3]
	v_cmp_eq_u32_e64 s[0:1], 1, v11
	v_and_b32_e32 v6, 1, v7
	s_and_b64 vcc, s[0:1], vcc
	v_cndmask_b32_e64 v7, v7, 1, s[0:1]
	v_cndmask_b32_e32 v2, v2, v4, vcc
	v_cndmask_b32_e32 v3, v3, v5, vcc
	v_cmp_eq_u32_e32 vcc, 1, v6
	v_cndmask_b32_e32 v7, v10, v7, vcc
	v_cndmask_b32_e32 v3, v5, v3, vcc
	;; [unrolled: 1-line block ×3, first 2 shown]
	v_and_b32_e32 v6, 0xff, v7
.LBB107_27:
	s_or_b64 exec, exec, s[4:5]
	v_cmp_gt_u32_e32 vcc, 62, v8
	s_waitcnt lgkmcnt(0)
	v_cndmask_b32_e64 v4, 0, 1, vcc
	v_lshlrev_b32_e32 v4, 1, v4
	v_add_lshl_u32 v5, v4, v1, 2
	ds_bpermute_b32 v10, v5, v6
	ds_bpermute_b32 v4, v5, v2
	ds_bpermute_b32 v5, v5, v3
	v_add_u32_e32 v11, 2, v8
	v_cmp_lt_u32_e32 vcc, v11, v9
	s_and_saveexec_b64 s[4:5], vcc
	s_cbranch_execz .LBB107_29
; %bb.28:
	s_waitcnt lgkmcnt(2)
	v_and_b32_e32 v11, 1, v10
	s_waitcnt lgkmcnt(0)
	v_cmp_lt_i64_e32 vcc, v[4:5], v[2:3]
	v_cmp_eq_u32_e64 s[0:1], 1, v11
	v_and_b32_e32 v6, 1, v7
	s_and_b64 vcc, s[0:1], vcc
	v_cndmask_b32_e64 v7, v7, 1, s[0:1]
	v_cndmask_b32_e32 v2, v2, v4, vcc
	v_cndmask_b32_e32 v3, v3, v5, vcc
	v_cmp_eq_u32_e32 vcc, 1, v6
	v_cndmask_b32_e32 v7, v10, v7, vcc
	v_cndmask_b32_e32 v3, v5, v3, vcc
	v_cndmask_b32_e32 v2, v4, v2, vcc
	v_and_b32_e32 v6, 0xff, v7
.LBB107_29:
	s_or_b64 exec, exec, s[4:5]
	v_cmp_gt_u32_e32 vcc, 60, v8
	s_waitcnt lgkmcnt(1)
	v_cndmask_b32_e64 v4, 0, 1, vcc
	v_lshlrev_b32_e32 v4, 2, v4
	s_waitcnt lgkmcnt(0)
	v_add_lshl_u32 v5, v4, v1, 2
	ds_bpermute_b32 v10, v5, v6
	ds_bpermute_b32 v4, v5, v2
	ds_bpermute_b32 v5, v5, v3
	v_add_u32_e32 v11, 4, v8
	v_cmp_lt_u32_e32 vcc, v11, v9
	s_and_saveexec_b64 s[4:5], vcc
	s_cbranch_execz .LBB107_31
; %bb.30:
	s_waitcnt lgkmcnt(2)
	v_and_b32_e32 v11, 1, v10
	s_waitcnt lgkmcnt(0)
	v_cmp_lt_i64_e32 vcc, v[4:5], v[2:3]
	v_cmp_eq_u32_e64 s[0:1], 1, v11
	v_and_b32_e32 v6, 1, v7
	s_and_b64 vcc, s[0:1], vcc
	v_cndmask_b32_e64 v7, v7, 1, s[0:1]
	v_cndmask_b32_e32 v2, v2, v4, vcc
	v_cndmask_b32_e32 v3, v3, v5, vcc
	v_cmp_eq_u32_e32 vcc, 1, v6
	v_cndmask_b32_e32 v7, v10, v7, vcc
	v_cndmask_b32_e32 v3, v5, v3, vcc
	v_cndmask_b32_e32 v2, v4, v2, vcc
	v_and_b32_e32 v6, 0xff, v7
.LBB107_31:
	s_or_b64 exec, exec, s[4:5]
	v_cmp_gt_u32_e32 vcc, 56, v8
	s_waitcnt lgkmcnt(1)
	v_cndmask_b32_e64 v4, 0, 1, vcc
	v_lshlrev_b32_e32 v4, 3, v4
	s_waitcnt lgkmcnt(0)
	;; [unrolled: 31-line block ×4, first 2 shown]
	v_add_lshl_u32 v5, v4, v1, 2
	ds_bpermute_b32 v10, v5, v6
	ds_bpermute_b32 v4, v5, v2
	;; [unrolled: 1-line block ×3, first 2 shown]
	v_add_u32_e32 v8, 32, v8
	v_cmp_lt_u32_e32 vcc, v8, v9
	s_and_saveexec_b64 s[4:5], vcc
	s_cbranch_execz .LBB107_37
; %bb.36:
	s_waitcnt lgkmcnt(2)
	v_and_b32_e32 v8, 1, v10
	s_waitcnt lgkmcnt(0)
	v_cmp_lt_i64_e32 vcc, v[4:5], v[2:3]
	v_cmp_eq_u32_e64 s[0:1], 1, v8
	v_and_b32_e32 v6, 1, v7
	s_and_b64 vcc, s[0:1], vcc
	v_cndmask_b32_e64 v7, v7, 1, s[0:1]
	v_cndmask_b32_e32 v2, v2, v4, vcc
	v_cndmask_b32_e32 v3, v3, v5, vcc
	v_cmp_eq_u32_e32 vcc, 1, v6
	v_cndmask_b32_e32 v7, v10, v7, vcc
	v_cndmask_b32_e32 v3, v5, v3, vcc
	;; [unrolled: 1-line block ×3, first 2 shown]
	v_and_b32_e32 v6, 0xff, v7
.LBB107_37:
	s_or_b64 exec, exec, s[4:5]
	v_cmp_eq_u32_e32 vcc, 0, v1
	s_and_saveexec_b64 s[0:1], vcc
	s_cbranch_execz .LBB107_39
; %bb.38:
	s_waitcnt lgkmcnt(1)
	v_lshrrev_b32_e32 v4, 2, v0
	v_and_b32_e32 v4, 48, v4
	ds_write_b8 v4, v7 offset:64
	ds_write_b64 v4, v[2:3] offset:72
.LBB107_39:
	s_or_b64 exec, exec, s[0:1]
	v_cmp_gt_u32_e32 vcc, 4, v0
	s_waitcnt lgkmcnt(0)
	s_barrier
	s_and_saveexec_b64 s[4:5], vcc
	s_cbranch_execz .LBB107_45
; %bb.40:
	v_lshlrev_b32_e32 v2, 4, v1
	ds_read_u8 v7, v2 offset:64
	ds_read_b64 v[2:3], v2 offset:72
	v_and_b32_e32 v8, 3, v1
	v_cmp_ne_u32_e32 vcc, 3, v8
	v_addc_co_u32_e32 v4, vcc, 0, v1, vcc
	s_waitcnt lgkmcnt(1)
	v_and_b32_e32 v6, 0xff, v7
	v_lshlrev_b32_e32 v5, 2, v4
	ds_bpermute_b32 v9, v5, v6
	s_waitcnt lgkmcnt(1)
	ds_bpermute_b32 v4, v5, v2
	ds_bpermute_b32 v5, v5, v3
	s_add_i32 s8, s8, 63
	s_lshr_b32 s11, s8, 6
	v_add_u32_e32 v10, 1, v8
	v_cmp_gt_u32_e32 vcc, s11, v10
	s_and_saveexec_b64 s[8:9], vcc
	s_cbranch_execz .LBB107_42
; %bb.41:
	s_waitcnt lgkmcnt(2)
	v_and_b32_e32 v10, 1, v9
	s_waitcnt lgkmcnt(0)
	v_cmp_lt_i64_e32 vcc, v[4:5], v[2:3]
	v_cmp_eq_u32_e64 s[0:1], 1, v10
	v_and_b32_e32 v6, 1, v7
	s_and_b64 vcc, s[0:1], vcc
	v_cndmask_b32_e64 v7, v7, 1, s[0:1]
	v_cndmask_b32_e32 v2, v2, v4, vcc
	v_cndmask_b32_e32 v3, v3, v5, vcc
	v_cmp_eq_u32_e32 vcc, 1, v6
	v_cndmask_b32_e32 v7, v9, v7, vcc
	v_cndmask_b32_e32 v3, v5, v3, vcc
	;; [unrolled: 1-line block ×3, first 2 shown]
	v_and_b32_e32 v6, 0xff, v7
.LBB107_42:
	s_or_b64 exec, exec, s[8:9]
	v_cmp_gt_u32_e32 vcc, 2, v8
	s_waitcnt lgkmcnt(1)
	v_cndmask_b32_e64 v4, 0, 1, vcc
	v_lshlrev_b32_e32 v4, 1, v4
	s_waitcnt lgkmcnt(0)
	v_add_lshl_u32 v5, v4, v1, 2
	ds_bpermute_b32 v1, v5, v6
	ds_bpermute_b32 v4, v5, v2
	;; [unrolled: 1-line block ×3, first 2 shown]
	v_add_u32_e32 v8, 2, v8
	v_cmp_gt_u32_e32 vcc, s11, v8
	s_and_saveexec_b64 s[8:9], vcc
	s_cbranch_execz .LBB107_44
; %bb.43:
	s_waitcnt lgkmcnt(2)
	v_and_b32_e32 v8, 1, v1
	s_waitcnt lgkmcnt(0)
	v_cmp_lt_i64_e32 vcc, v[4:5], v[2:3]
	v_cmp_eq_u32_e64 s[0:1], 1, v8
	v_and_b32_e32 v6, 1, v7
	s_and_b64 vcc, s[0:1], vcc
	v_cndmask_b32_e64 v7, v7, 1, s[0:1]
	v_cndmask_b32_e32 v2, v2, v4, vcc
	v_cndmask_b32_e32 v3, v3, v5, vcc
	v_cmp_eq_u32_e32 vcc, 1, v6
	v_cndmask_b32_e32 v1, v1, v7, vcc
	v_cndmask_b32_e32 v3, v5, v3, vcc
	;; [unrolled: 1-line block ×3, first 2 shown]
	v_and_b32_e32 v6, 0xff, v1
.LBB107_44:
	s_or_b64 exec, exec, s[8:9]
.LBB107_45:
	s_or_b64 exec, exec, s[4:5]
.LBB107_46:
	v_cmp_eq_u32_e32 vcc, 0, v0
	s_and_saveexec_b64 s[0:1], vcc
	s_cbranch_execnz .LBB107_48
; %bb.47:
	s_endpgm
.LBB107_48:
	s_mul_i32 s0, s18, s17
	s_mul_hi_u32 s1, s18, s16
	s_add_i32 s0, s1, s0
	s_mul_i32 s1, s19, s16
	s_add_i32 s1, s0, s1
	s_mul_i32 s0, s18, s16
	s_lshl_b64 s[0:1], s[0:1], 4
	s_add_u32 s4, s14, s0
	s_addc_u32 s5, s15, s1
	s_cmp_eq_u64 s[12:13], 0
	s_waitcnt lgkmcnt(0)
	v_mov_b32_e32 v0, s3
	s_cselect_b64 vcc, -1, 0
	v_cndmask_b32_e32 v1, v3, v0, vcc
	v_mov_b32_e32 v0, s2
	s_lshl_b64 s[0:1], s[6:7], 4
	v_cndmask_b32_e32 v0, v2, v0, vcc
	v_mov_b32_e32 v2, s10
	s_add_u32 s0, s4, s0
	v_cndmask_b32_e32 v2, v6, v2, vcc
	s_addc_u32 s1, s5, s1
	v_mov_b32_e32 v3, 0
	global_store_byte v3, v2, s[0:1]
	global_store_dwordx2 v3, v[0:1], s[0:1] offset:8
	s_endpgm
	.section	.rodata,"a",@progbits
	.p2align	6, 0x0
	.amdhsa_kernel _ZN7rocprim17ROCPRIM_400000_NS6detail17trampoline_kernelINS0_14default_configENS1_22reduce_config_selectorIN6thrust23THRUST_200600_302600_NS5tupleIblNS6_9null_typeES8_S8_S8_S8_S8_S8_S8_EEEEZNS1_11reduce_implILb1ES3_NS6_12zip_iteratorINS7_INS6_11hip_rocprim26transform_input_iterator_tIbNSD_35transform_pair_of_input_iterators_tIbNS6_6detail15normal_iteratorINS6_10device_ptrIKxEEEESL_NS6_8equal_toIxEEEENSG_9not_fun_tINSD_8identityEEEEENSD_19counting_iterator_tIlEES8_S8_S8_S8_S8_S8_S8_S8_EEEEPS9_S9_NSD_9__find_if7functorIS9_EEEE10hipError_tPvRmT1_T2_T3_mT4_P12ihipStream_tbEUlT_E0_NS1_11comp_targetILNS1_3genE4ELNS1_11target_archE910ELNS1_3gpuE8ELNS1_3repE0EEENS1_30default_config_static_selectorELNS0_4arch9wavefront6targetE1EEEvS14_
		.amdhsa_group_segment_fixed_size 128
		.amdhsa_private_segment_fixed_size 0
		.amdhsa_kernarg_size 104
		.amdhsa_user_sgpr_count 6
		.amdhsa_user_sgpr_private_segment_buffer 1
		.amdhsa_user_sgpr_dispatch_ptr 0
		.amdhsa_user_sgpr_queue_ptr 0
		.amdhsa_user_sgpr_kernarg_segment_ptr 1
		.amdhsa_user_sgpr_dispatch_id 0
		.amdhsa_user_sgpr_flat_scratch_init 0
		.amdhsa_user_sgpr_kernarg_preload_length 0
		.amdhsa_user_sgpr_kernarg_preload_offset 0
		.amdhsa_user_sgpr_private_segment_size 0
		.amdhsa_uses_dynamic_stack 0
		.amdhsa_system_sgpr_private_segment_wavefront_offset 0
		.amdhsa_system_sgpr_workgroup_id_x 1
		.amdhsa_system_sgpr_workgroup_id_y 0
		.amdhsa_system_sgpr_workgroup_id_z 0
		.amdhsa_system_sgpr_workgroup_info 0
		.amdhsa_system_vgpr_workitem_id 0
		.amdhsa_next_free_vgpr 14
		.amdhsa_next_free_sgpr 28
		.amdhsa_accum_offset 16
		.amdhsa_reserve_vcc 1
		.amdhsa_reserve_flat_scratch 0
		.amdhsa_float_round_mode_32 0
		.amdhsa_float_round_mode_16_64 0
		.amdhsa_float_denorm_mode_32 3
		.amdhsa_float_denorm_mode_16_64 3
		.amdhsa_dx10_clamp 1
		.amdhsa_ieee_mode 1
		.amdhsa_fp16_overflow 0
		.amdhsa_tg_split 0
		.amdhsa_exception_fp_ieee_invalid_op 0
		.amdhsa_exception_fp_denorm_src 0
		.amdhsa_exception_fp_ieee_div_zero 0
		.amdhsa_exception_fp_ieee_overflow 0
		.amdhsa_exception_fp_ieee_underflow 0
		.amdhsa_exception_fp_ieee_inexact 0
		.amdhsa_exception_int_div_zero 0
	.end_amdhsa_kernel
	.section	.text._ZN7rocprim17ROCPRIM_400000_NS6detail17trampoline_kernelINS0_14default_configENS1_22reduce_config_selectorIN6thrust23THRUST_200600_302600_NS5tupleIblNS6_9null_typeES8_S8_S8_S8_S8_S8_S8_EEEEZNS1_11reduce_implILb1ES3_NS6_12zip_iteratorINS7_INS6_11hip_rocprim26transform_input_iterator_tIbNSD_35transform_pair_of_input_iterators_tIbNS6_6detail15normal_iteratorINS6_10device_ptrIKxEEEESL_NS6_8equal_toIxEEEENSG_9not_fun_tINSD_8identityEEEEENSD_19counting_iterator_tIlEES8_S8_S8_S8_S8_S8_S8_S8_EEEEPS9_S9_NSD_9__find_if7functorIS9_EEEE10hipError_tPvRmT1_T2_T3_mT4_P12ihipStream_tbEUlT_E0_NS1_11comp_targetILNS1_3genE4ELNS1_11target_archE910ELNS1_3gpuE8ELNS1_3repE0EEENS1_30default_config_static_selectorELNS0_4arch9wavefront6targetE1EEEvS14_,"axG",@progbits,_ZN7rocprim17ROCPRIM_400000_NS6detail17trampoline_kernelINS0_14default_configENS1_22reduce_config_selectorIN6thrust23THRUST_200600_302600_NS5tupleIblNS6_9null_typeES8_S8_S8_S8_S8_S8_S8_EEEEZNS1_11reduce_implILb1ES3_NS6_12zip_iteratorINS7_INS6_11hip_rocprim26transform_input_iterator_tIbNSD_35transform_pair_of_input_iterators_tIbNS6_6detail15normal_iteratorINS6_10device_ptrIKxEEEESL_NS6_8equal_toIxEEEENSG_9not_fun_tINSD_8identityEEEEENSD_19counting_iterator_tIlEES8_S8_S8_S8_S8_S8_S8_S8_EEEEPS9_S9_NSD_9__find_if7functorIS9_EEEE10hipError_tPvRmT1_T2_T3_mT4_P12ihipStream_tbEUlT_E0_NS1_11comp_targetILNS1_3genE4ELNS1_11target_archE910ELNS1_3gpuE8ELNS1_3repE0EEENS1_30default_config_static_selectorELNS0_4arch9wavefront6targetE1EEEvS14_,comdat
.Lfunc_end107:
	.size	_ZN7rocprim17ROCPRIM_400000_NS6detail17trampoline_kernelINS0_14default_configENS1_22reduce_config_selectorIN6thrust23THRUST_200600_302600_NS5tupleIblNS6_9null_typeES8_S8_S8_S8_S8_S8_S8_EEEEZNS1_11reduce_implILb1ES3_NS6_12zip_iteratorINS7_INS6_11hip_rocprim26transform_input_iterator_tIbNSD_35transform_pair_of_input_iterators_tIbNS6_6detail15normal_iteratorINS6_10device_ptrIKxEEEESL_NS6_8equal_toIxEEEENSG_9not_fun_tINSD_8identityEEEEENSD_19counting_iterator_tIlEES8_S8_S8_S8_S8_S8_S8_S8_EEEEPS9_S9_NSD_9__find_if7functorIS9_EEEE10hipError_tPvRmT1_T2_T3_mT4_P12ihipStream_tbEUlT_E0_NS1_11comp_targetILNS1_3genE4ELNS1_11target_archE910ELNS1_3gpuE8ELNS1_3repE0EEENS1_30default_config_static_selectorELNS0_4arch9wavefront6targetE1EEEvS14_, .Lfunc_end107-_ZN7rocprim17ROCPRIM_400000_NS6detail17trampoline_kernelINS0_14default_configENS1_22reduce_config_selectorIN6thrust23THRUST_200600_302600_NS5tupleIblNS6_9null_typeES8_S8_S8_S8_S8_S8_S8_EEEEZNS1_11reduce_implILb1ES3_NS6_12zip_iteratorINS7_INS6_11hip_rocprim26transform_input_iterator_tIbNSD_35transform_pair_of_input_iterators_tIbNS6_6detail15normal_iteratorINS6_10device_ptrIKxEEEESL_NS6_8equal_toIxEEEENSG_9not_fun_tINSD_8identityEEEEENSD_19counting_iterator_tIlEES8_S8_S8_S8_S8_S8_S8_S8_EEEEPS9_S9_NSD_9__find_if7functorIS9_EEEE10hipError_tPvRmT1_T2_T3_mT4_P12ihipStream_tbEUlT_E0_NS1_11comp_targetILNS1_3genE4ELNS1_11target_archE910ELNS1_3gpuE8ELNS1_3repE0EEENS1_30default_config_static_selectorELNS0_4arch9wavefront6targetE1EEEvS14_
                                        ; -- End function
	.section	.AMDGPU.csdata,"",@progbits
; Kernel info:
; codeLenInByte = 2844
; NumSgprs: 32
; NumVgprs: 14
; NumAgprs: 0
; TotalNumVgprs: 14
; ScratchSize: 0
; MemoryBound: 0
; FloatMode: 240
; IeeeMode: 1
; LDSByteSize: 128 bytes/workgroup (compile time only)
; SGPRBlocks: 3
; VGPRBlocks: 1
; NumSGPRsForWavesPerEU: 32
; NumVGPRsForWavesPerEU: 14
; AccumOffset: 16
; Occupancy: 8
; WaveLimiterHint : 0
; COMPUTE_PGM_RSRC2:SCRATCH_EN: 0
; COMPUTE_PGM_RSRC2:USER_SGPR: 6
; COMPUTE_PGM_RSRC2:TRAP_HANDLER: 0
; COMPUTE_PGM_RSRC2:TGID_X_EN: 1
; COMPUTE_PGM_RSRC2:TGID_Y_EN: 0
; COMPUTE_PGM_RSRC2:TGID_Z_EN: 0
; COMPUTE_PGM_RSRC2:TIDIG_COMP_CNT: 0
; COMPUTE_PGM_RSRC3_GFX90A:ACCUM_OFFSET: 3
; COMPUTE_PGM_RSRC3_GFX90A:TG_SPLIT: 0
	.section	.text._ZN7rocprim17ROCPRIM_400000_NS6detail17trampoline_kernelINS0_14default_configENS1_22reduce_config_selectorIN6thrust23THRUST_200600_302600_NS5tupleIblNS6_9null_typeES8_S8_S8_S8_S8_S8_S8_EEEEZNS1_11reduce_implILb1ES3_NS6_12zip_iteratorINS7_INS6_11hip_rocprim26transform_input_iterator_tIbNSD_35transform_pair_of_input_iterators_tIbNS6_6detail15normal_iteratorINS6_10device_ptrIKxEEEESL_NS6_8equal_toIxEEEENSG_9not_fun_tINSD_8identityEEEEENSD_19counting_iterator_tIlEES8_S8_S8_S8_S8_S8_S8_S8_EEEEPS9_S9_NSD_9__find_if7functorIS9_EEEE10hipError_tPvRmT1_T2_T3_mT4_P12ihipStream_tbEUlT_E0_NS1_11comp_targetILNS1_3genE3ELNS1_11target_archE908ELNS1_3gpuE7ELNS1_3repE0EEENS1_30default_config_static_selectorELNS0_4arch9wavefront6targetE1EEEvS14_,"axG",@progbits,_ZN7rocprim17ROCPRIM_400000_NS6detail17trampoline_kernelINS0_14default_configENS1_22reduce_config_selectorIN6thrust23THRUST_200600_302600_NS5tupleIblNS6_9null_typeES8_S8_S8_S8_S8_S8_S8_EEEEZNS1_11reduce_implILb1ES3_NS6_12zip_iteratorINS7_INS6_11hip_rocprim26transform_input_iterator_tIbNSD_35transform_pair_of_input_iterators_tIbNS6_6detail15normal_iteratorINS6_10device_ptrIKxEEEESL_NS6_8equal_toIxEEEENSG_9not_fun_tINSD_8identityEEEEENSD_19counting_iterator_tIlEES8_S8_S8_S8_S8_S8_S8_S8_EEEEPS9_S9_NSD_9__find_if7functorIS9_EEEE10hipError_tPvRmT1_T2_T3_mT4_P12ihipStream_tbEUlT_E0_NS1_11comp_targetILNS1_3genE3ELNS1_11target_archE908ELNS1_3gpuE7ELNS1_3repE0EEENS1_30default_config_static_selectorELNS0_4arch9wavefront6targetE1EEEvS14_,comdat
	.protected	_ZN7rocprim17ROCPRIM_400000_NS6detail17trampoline_kernelINS0_14default_configENS1_22reduce_config_selectorIN6thrust23THRUST_200600_302600_NS5tupleIblNS6_9null_typeES8_S8_S8_S8_S8_S8_S8_EEEEZNS1_11reduce_implILb1ES3_NS6_12zip_iteratorINS7_INS6_11hip_rocprim26transform_input_iterator_tIbNSD_35transform_pair_of_input_iterators_tIbNS6_6detail15normal_iteratorINS6_10device_ptrIKxEEEESL_NS6_8equal_toIxEEEENSG_9not_fun_tINSD_8identityEEEEENSD_19counting_iterator_tIlEES8_S8_S8_S8_S8_S8_S8_S8_EEEEPS9_S9_NSD_9__find_if7functorIS9_EEEE10hipError_tPvRmT1_T2_T3_mT4_P12ihipStream_tbEUlT_E0_NS1_11comp_targetILNS1_3genE3ELNS1_11target_archE908ELNS1_3gpuE7ELNS1_3repE0EEENS1_30default_config_static_selectorELNS0_4arch9wavefront6targetE1EEEvS14_ ; -- Begin function _ZN7rocprim17ROCPRIM_400000_NS6detail17trampoline_kernelINS0_14default_configENS1_22reduce_config_selectorIN6thrust23THRUST_200600_302600_NS5tupleIblNS6_9null_typeES8_S8_S8_S8_S8_S8_S8_EEEEZNS1_11reduce_implILb1ES3_NS6_12zip_iteratorINS7_INS6_11hip_rocprim26transform_input_iterator_tIbNSD_35transform_pair_of_input_iterators_tIbNS6_6detail15normal_iteratorINS6_10device_ptrIKxEEEESL_NS6_8equal_toIxEEEENSG_9not_fun_tINSD_8identityEEEEENSD_19counting_iterator_tIlEES8_S8_S8_S8_S8_S8_S8_S8_EEEEPS9_S9_NSD_9__find_if7functorIS9_EEEE10hipError_tPvRmT1_T2_T3_mT4_P12ihipStream_tbEUlT_E0_NS1_11comp_targetILNS1_3genE3ELNS1_11target_archE908ELNS1_3gpuE7ELNS1_3repE0EEENS1_30default_config_static_selectorELNS0_4arch9wavefront6targetE1EEEvS14_
	.globl	_ZN7rocprim17ROCPRIM_400000_NS6detail17trampoline_kernelINS0_14default_configENS1_22reduce_config_selectorIN6thrust23THRUST_200600_302600_NS5tupleIblNS6_9null_typeES8_S8_S8_S8_S8_S8_S8_EEEEZNS1_11reduce_implILb1ES3_NS6_12zip_iteratorINS7_INS6_11hip_rocprim26transform_input_iterator_tIbNSD_35transform_pair_of_input_iterators_tIbNS6_6detail15normal_iteratorINS6_10device_ptrIKxEEEESL_NS6_8equal_toIxEEEENSG_9not_fun_tINSD_8identityEEEEENSD_19counting_iterator_tIlEES8_S8_S8_S8_S8_S8_S8_S8_EEEEPS9_S9_NSD_9__find_if7functorIS9_EEEE10hipError_tPvRmT1_T2_T3_mT4_P12ihipStream_tbEUlT_E0_NS1_11comp_targetILNS1_3genE3ELNS1_11target_archE908ELNS1_3gpuE7ELNS1_3repE0EEENS1_30default_config_static_selectorELNS0_4arch9wavefront6targetE1EEEvS14_
	.p2align	8
	.type	_ZN7rocprim17ROCPRIM_400000_NS6detail17trampoline_kernelINS0_14default_configENS1_22reduce_config_selectorIN6thrust23THRUST_200600_302600_NS5tupleIblNS6_9null_typeES8_S8_S8_S8_S8_S8_S8_EEEEZNS1_11reduce_implILb1ES3_NS6_12zip_iteratorINS7_INS6_11hip_rocprim26transform_input_iterator_tIbNSD_35transform_pair_of_input_iterators_tIbNS6_6detail15normal_iteratorINS6_10device_ptrIKxEEEESL_NS6_8equal_toIxEEEENSG_9not_fun_tINSD_8identityEEEEENSD_19counting_iterator_tIlEES8_S8_S8_S8_S8_S8_S8_S8_EEEEPS9_S9_NSD_9__find_if7functorIS9_EEEE10hipError_tPvRmT1_T2_T3_mT4_P12ihipStream_tbEUlT_E0_NS1_11comp_targetILNS1_3genE3ELNS1_11target_archE908ELNS1_3gpuE7ELNS1_3repE0EEENS1_30default_config_static_selectorELNS0_4arch9wavefront6targetE1EEEvS14_,@function
_ZN7rocprim17ROCPRIM_400000_NS6detail17trampoline_kernelINS0_14default_configENS1_22reduce_config_selectorIN6thrust23THRUST_200600_302600_NS5tupleIblNS6_9null_typeES8_S8_S8_S8_S8_S8_S8_EEEEZNS1_11reduce_implILb1ES3_NS6_12zip_iteratorINS7_INS6_11hip_rocprim26transform_input_iterator_tIbNSD_35transform_pair_of_input_iterators_tIbNS6_6detail15normal_iteratorINS6_10device_ptrIKxEEEESL_NS6_8equal_toIxEEEENSG_9not_fun_tINSD_8identityEEEEENSD_19counting_iterator_tIlEES8_S8_S8_S8_S8_S8_S8_S8_EEEEPS9_S9_NSD_9__find_if7functorIS9_EEEE10hipError_tPvRmT1_T2_T3_mT4_P12ihipStream_tbEUlT_E0_NS1_11comp_targetILNS1_3genE3ELNS1_11target_archE908ELNS1_3gpuE7ELNS1_3repE0EEENS1_30default_config_static_selectorELNS0_4arch9wavefront6targetE1EEEvS14_: ; @_ZN7rocprim17ROCPRIM_400000_NS6detail17trampoline_kernelINS0_14default_configENS1_22reduce_config_selectorIN6thrust23THRUST_200600_302600_NS5tupleIblNS6_9null_typeES8_S8_S8_S8_S8_S8_S8_EEEEZNS1_11reduce_implILb1ES3_NS6_12zip_iteratorINS7_INS6_11hip_rocprim26transform_input_iterator_tIbNSD_35transform_pair_of_input_iterators_tIbNS6_6detail15normal_iteratorINS6_10device_ptrIKxEEEESL_NS6_8equal_toIxEEEENSG_9not_fun_tINSD_8identityEEEEENSD_19counting_iterator_tIlEES8_S8_S8_S8_S8_S8_S8_S8_EEEEPS9_S9_NSD_9__find_if7functorIS9_EEEE10hipError_tPvRmT1_T2_T3_mT4_P12ihipStream_tbEUlT_E0_NS1_11comp_targetILNS1_3genE3ELNS1_11target_archE908ELNS1_3gpuE7ELNS1_3repE0EEENS1_30default_config_static_selectorELNS0_4arch9wavefront6targetE1EEEvS14_
; %bb.0:
	.section	.rodata,"a",@progbits
	.p2align	6, 0x0
	.amdhsa_kernel _ZN7rocprim17ROCPRIM_400000_NS6detail17trampoline_kernelINS0_14default_configENS1_22reduce_config_selectorIN6thrust23THRUST_200600_302600_NS5tupleIblNS6_9null_typeES8_S8_S8_S8_S8_S8_S8_EEEEZNS1_11reduce_implILb1ES3_NS6_12zip_iteratorINS7_INS6_11hip_rocprim26transform_input_iterator_tIbNSD_35transform_pair_of_input_iterators_tIbNS6_6detail15normal_iteratorINS6_10device_ptrIKxEEEESL_NS6_8equal_toIxEEEENSG_9not_fun_tINSD_8identityEEEEENSD_19counting_iterator_tIlEES8_S8_S8_S8_S8_S8_S8_S8_EEEEPS9_S9_NSD_9__find_if7functorIS9_EEEE10hipError_tPvRmT1_T2_T3_mT4_P12ihipStream_tbEUlT_E0_NS1_11comp_targetILNS1_3genE3ELNS1_11target_archE908ELNS1_3gpuE7ELNS1_3repE0EEENS1_30default_config_static_selectorELNS0_4arch9wavefront6targetE1EEEvS14_
		.amdhsa_group_segment_fixed_size 0
		.amdhsa_private_segment_fixed_size 0
		.amdhsa_kernarg_size 104
		.amdhsa_user_sgpr_count 6
		.amdhsa_user_sgpr_private_segment_buffer 1
		.amdhsa_user_sgpr_dispatch_ptr 0
		.amdhsa_user_sgpr_queue_ptr 0
		.amdhsa_user_sgpr_kernarg_segment_ptr 1
		.amdhsa_user_sgpr_dispatch_id 0
		.amdhsa_user_sgpr_flat_scratch_init 0
		.amdhsa_user_sgpr_kernarg_preload_length 0
		.amdhsa_user_sgpr_kernarg_preload_offset 0
		.amdhsa_user_sgpr_private_segment_size 0
		.amdhsa_uses_dynamic_stack 0
		.amdhsa_system_sgpr_private_segment_wavefront_offset 0
		.amdhsa_system_sgpr_workgroup_id_x 1
		.amdhsa_system_sgpr_workgroup_id_y 0
		.amdhsa_system_sgpr_workgroup_id_z 0
		.amdhsa_system_sgpr_workgroup_info 0
		.amdhsa_system_vgpr_workitem_id 0
		.amdhsa_next_free_vgpr 1
		.amdhsa_next_free_sgpr 0
		.amdhsa_accum_offset 4
		.amdhsa_reserve_vcc 0
		.amdhsa_reserve_flat_scratch 0
		.amdhsa_float_round_mode_32 0
		.amdhsa_float_round_mode_16_64 0
		.amdhsa_float_denorm_mode_32 3
		.amdhsa_float_denorm_mode_16_64 3
		.amdhsa_dx10_clamp 1
		.amdhsa_ieee_mode 1
		.amdhsa_fp16_overflow 0
		.amdhsa_tg_split 0
		.amdhsa_exception_fp_ieee_invalid_op 0
		.amdhsa_exception_fp_denorm_src 0
		.amdhsa_exception_fp_ieee_div_zero 0
		.amdhsa_exception_fp_ieee_overflow 0
		.amdhsa_exception_fp_ieee_underflow 0
		.amdhsa_exception_fp_ieee_inexact 0
		.amdhsa_exception_int_div_zero 0
	.end_amdhsa_kernel
	.section	.text._ZN7rocprim17ROCPRIM_400000_NS6detail17trampoline_kernelINS0_14default_configENS1_22reduce_config_selectorIN6thrust23THRUST_200600_302600_NS5tupleIblNS6_9null_typeES8_S8_S8_S8_S8_S8_S8_EEEEZNS1_11reduce_implILb1ES3_NS6_12zip_iteratorINS7_INS6_11hip_rocprim26transform_input_iterator_tIbNSD_35transform_pair_of_input_iterators_tIbNS6_6detail15normal_iteratorINS6_10device_ptrIKxEEEESL_NS6_8equal_toIxEEEENSG_9not_fun_tINSD_8identityEEEEENSD_19counting_iterator_tIlEES8_S8_S8_S8_S8_S8_S8_S8_EEEEPS9_S9_NSD_9__find_if7functorIS9_EEEE10hipError_tPvRmT1_T2_T3_mT4_P12ihipStream_tbEUlT_E0_NS1_11comp_targetILNS1_3genE3ELNS1_11target_archE908ELNS1_3gpuE7ELNS1_3repE0EEENS1_30default_config_static_selectorELNS0_4arch9wavefront6targetE1EEEvS14_,"axG",@progbits,_ZN7rocprim17ROCPRIM_400000_NS6detail17trampoline_kernelINS0_14default_configENS1_22reduce_config_selectorIN6thrust23THRUST_200600_302600_NS5tupleIblNS6_9null_typeES8_S8_S8_S8_S8_S8_S8_EEEEZNS1_11reduce_implILb1ES3_NS6_12zip_iteratorINS7_INS6_11hip_rocprim26transform_input_iterator_tIbNSD_35transform_pair_of_input_iterators_tIbNS6_6detail15normal_iteratorINS6_10device_ptrIKxEEEESL_NS6_8equal_toIxEEEENSG_9not_fun_tINSD_8identityEEEEENSD_19counting_iterator_tIlEES8_S8_S8_S8_S8_S8_S8_S8_EEEEPS9_S9_NSD_9__find_if7functorIS9_EEEE10hipError_tPvRmT1_T2_T3_mT4_P12ihipStream_tbEUlT_E0_NS1_11comp_targetILNS1_3genE3ELNS1_11target_archE908ELNS1_3gpuE7ELNS1_3repE0EEENS1_30default_config_static_selectorELNS0_4arch9wavefront6targetE1EEEvS14_,comdat
.Lfunc_end108:
	.size	_ZN7rocprim17ROCPRIM_400000_NS6detail17trampoline_kernelINS0_14default_configENS1_22reduce_config_selectorIN6thrust23THRUST_200600_302600_NS5tupleIblNS6_9null_typeES8_S8_S8_S8_S8_S8_S8_EEEEZNS1_11reduce_implILb1ES3_NS6_12zip_iteratorINS7_INS6_11hip_rocprim26transform_input_iterator_tIbNSD_35transform_pair_of_input_iterators_tIbNS6_6detail15normal_iteratorINS6_10device_ptrIKxEEEESL_NS6_8equal_toIxEEEENSG_9not_fun_tINSD_8identityEEEEENSD_19counting_iterator_tIlEES8_S8_S8_S8_S8_S8_S8_S8_EEEEPS9_S9_NSD_9__find_if7functorIS9_EEEE10hipError_tPvRmT1_T2_T3_mT4_P12ihipStream_tbEUlT_E0_NS1_11comp_targetILNS1_3genE3ELNS1_11target_archE908ELNS1_3gpuE7ELNS1_3repE0EEENS1_30default_config_static_selectorELNS0_4arch9wavefront6targetE1EEEvS14_, .Lfunc_end108-_ZN7rocprim17ROCPRIM_400000_NS6detail17trampoline_kernelINS0_14default_configENS1_22reduce_config_selectorIN6thrust23THRUST_200600_302600_NS5tupleIblNS6_9null_typeES8_S8_S8_S8_S8_S8_S8_EEEEZNS1_11reduce_implILb1ES3_NS6_12zip_iteratorINS7_INS6_11hip_rocprim26transform_input_iterator_tIbNSD_35transform_pair_of_input_iterators_tIbNS6_6detail15normal_iteratorINS6_10device_ptrIKxEEEESL_NS6_8equal_toIxEEEENSG_9not_fun_tINSD_8identityEEEEENSD_19counting_iterator_tIlEES8_S8_S8_S8_S8_S8_S8_S8_EEEEPS9_S9_NSD_9__find_if7functorIS9_EEEE10hipError_tPvRmT1_T2_T3_mT4_P12ihipStream_tbEUlT_E0_NS1_11comp_targetILNS1_3genE3ELNS1_11target_archE908ELNS1_3gpuE7ELNS1_3repE0EEENS1_30default_config_static_selectorELNS0_4arch9wavefront6targetE1EEEvS14_
                                        ; -- End function
	.section	.AMDGPU.csdata,"",@progbits
; Kernel info:
; codeLenInByte = 0
; NumSgprs: 4
; NumVgprs: 0
; NumAgprs: 0
; TotalNumVgprs: 0
; ScratchSize: 0
; MemoryBound: 0
; FloatMode: 240
; IeeeMode: 1
; LDSByteSize: 0 bytes/workgroup (compile time only)
; SGPRBlocks: 0
; VGPRBlocks: 0
; NumSGPRsForWavesPerEU: 4
; NumVGPRsForWavesPerEU: 1
; AccumOffset: 4
; Occupancy: 8
; WaveLimiterHint : 0
; COMPUTE_PGM_RSRC2:SCRATCH_EN: 0
; COMPUTE_PGM_RSRC2:USER_SGPR: 6
; COMPUTE_PGM_RSRC2:TRAP_HANDLER: 0
; COMPUTE_PGM_RSRC2:TGID_X_EN: 1
; COMPUTE_PGM_RSRC2:TGID_Y_EN: 0
; COMPUTE_PGM_RSRC2:TGID_Z_EN: 0
; COMPUTE_PGM_RSRC2:TIDIG_COMP_CNT: 0
; COMPUTE_PGM_RSRC3_GFX90A:ACCUM_OFFSET: 0
; COMPUTE_PGM_RSRC3_GFX90A:TG_SPLIT: 0
	.section	.text._ZN7rocprim17ROCPRIM_400000_NS6detail17trampoline_kernelINS0_14default_configENS1_22reduce_config_selectorIN6thrust23THRUST_200600_302600_NS5tupleIblNS6_9null_typeES8_S8_S8_S8_S8_S8_S8_EEEEZNS1_11reduce_implILb1ES3_NS6_12zip_iteratorINS7_INS6_11hip_rocprim26transform_input_iterator_tIbNSD_35transform_pair_of_input_iterators_tIbNS6_6detail15normal_iteratorINS6_10device_ptrIKxEEEESL_NS6_8equal_toIxEEEENSG_9not_fun_tINSD_8identityEEEEENSD_19counting_iterator_tIlEES8_S8_S8_S8_S8_S8_S8_S8_EEEEPS9_S9_NSD_9__find_if7functorIS9_EEEE10hipError_tPvRmT1_T2_T3_mT4_P12ihipStream_tbEUlT_E0_NS1_11comp_targetILNS1_3genE2ELNS1_11target_archE906ELNS1_3gpuE6ELNS1_3repE0EEENS1_30default_config_static_selectorELNS0_4arch9wavefront6targetE1EEEvS14_,"axG",@progbits,_ZN7rocprim17ROCPRIM_400000_NS6detail17trampoline_kernelINS0_14default_configENS1_22reduce_config_selectorIN6thrust23THRUST_200600_302600_NS5tupleIblNS6_9null_typeES8_S8_S8_S8_S8_S8_S8_EEEEZNS1_11reduce_implILb1ES3_NS6_12zip_iteratorINS7_INS6_11hip_rocprim26transform_input_iterator_tIbNSD_35transform_pair_of_input_iterators_tIbNS6_6detail15normal_iteratorINS6_10device_ptrIKxEEEESL_NS6_8equal_toIxEEEENSG_9not_fun_tINSD_8identityEEEEENSD_19counting_iterator_tIlEES8_S8_S8_S8_S8_S8_S8_S8_EEEEPS9_S9_NSD_9__find_if7functorIS9_EEEE10hipError_tPvRmT1_T2_T3_mT4_P12ihipStream_tbEUlT_E0_NS1_11comp_targetILNS1_3genE2ELNS1_11target_archE906ELNS1_3gpuE6ELNS1_3repE0EEENS1_30default_config_static_selectorELNS0_4arch9wavefront6targetE1EEEvS14_,comdat
	.protected	_ZN7rocprim17ROCPRIM_400000_NS6detail17trampoline_kernelINS0_14default_configENS1_22reduce_config_selectorIN6thrust23THRUST_200600_302600_NS5tupleIblNS6_9null_typeES8_S8_S8_S8_S8_S8_S8_EEEEZNS1_11reduce_implILb1ES3_NS6_12zip_iteratorINS7_INS6_11hip_rocprim26transform_input_iterator_tIbNSD_35transform_pair_of_input_iterators_tIbNS6_6detail15normal_iteratorINS6_10device_ptrIKxEEEESL_NS6_8equal_toIxEEEENSG_9not_fun_tINSD_8identityEEEEENSD_19counting_iterator_tIlEES8_S8_S8_S8_S8_S8_S8_S8_EEEEPS9_S9_NSD_9__find_if7functorIS9_EEEE10hipError_tPvRmT1_T2_T3_mT4_P12ihipStream_tbEUlT_E0_NS1_11comp_targetILNS1_3genE2ELNS1_11target_archE906ELNS1_3gpuE6ELNS1_3repE0EEENS1_30default_config_static_selectorELNS0_4arch9wavefront6targetE1EEEvS14_ ; -- Begin function _ZN7rocprim17ROCPRIM_400000_NS6detail17trampoline_kernelINS0_14default_configENS1_22reduce_config_selectorIN6thrust23THRUST_200600_302600_NS5tupleIblNS6_9null_typeES8_S8_S8_S8_S8_S8_S8_EEEEZNS1_11reduce_implILb1ES3_NS6_12zip_iteratorINS7_INS6_11hip_rocprim26transform_input_iterator_tIbNSD_35transform_pair_of_input_iterators_tIbNS6_6detail15normal_iteratorINS6_10device_ptrIKxEEEESL_NS6_8equal_toIxEEEENSG_9not_fun_tINSD_8identityEEEEENSD_19counting_iterator_tIlEES8_S8_S8_S8_S8_S8_S8_S8_EEEEPS9_S9_NSD_9__find_if7functorIS9_EEEE10hipError_tPvRmT1_T2_T3_mT4_P12ihipStream_tbEUlT_E0_NS1_11comp_targetILNS1_3genE2ELNS1_11target_archE906ELNS1_3gpuE6ELNS1_3repE0EEENS1_30default_config_static_selectorELNS0_4arch9wavefront6targetE1EEEvS14_
	.globl	_ZN7rocprim17ROCPRIM_400000_NS6detail17trampoline_kernelINS0_14default_configENS1_22reduce_config_selectorIN6thrust23THRUST_200600_302600_NS5tupleIblNS6_9null_typeES8_S8_S8_S8_S8_S8_S8_EEEEZNS1_11reduce_implILb1ES3_NS6_12zip_iteratorINS7_INS6_11hip_rocprim26transform_input_iterator_tIbNSD_35transform_pair_of_input_iterators_tIbNS6_6detail15normal_iteratorINS6_10device_ptrIKxEEEESL_NS6_8equal_toIxEEEENSG_9not_fun_tINSD_8identityEEEEENSD_19counting_iterator_tIlEES8_S8_S8_S8_S8_S8_S8_S8_EEEEPS9_S9_NSD_9__find_if7functorIS9_EEEE10hipError_tPvRmT1_T2_T3_mT4_P12ihipStream_tbEUlT_E0_NS1_11comp_targetILNS1_3genE2ELNS1_11target_archE906ELNS1_3gpuE6ELNS1_3repE0EEENS1_30default_config_static_selectorELNS0_4arch9wavefront6targetE1EEEvS14_
	.p2align	8
	.type	_ZN7rocprim17ROCPRIM_400000_NS6detail17trampoline_kernelINS0_14default_configENS1_22reduce_config_selectorIN6thrust23THRUST_200600_302600_NS5tupleIblNS6_9null_typeES8_S8_S8_S8_S8_S8_S8_EEEEZNS1_11reduce_implILb1ES3_NS6_12zip_iteratorINS7_INS6_11hip_rocprim26transform_input_iterator_tIbNSD_35transform_pair_of_input_iterators_tIbNS6_6detail15normal_iteratorINS6_10device_ptrIKxEEEESL_NS6_8equal_toIxEEEENSG_9not_fun_tINSD_8identityEEEEENSD_19counting_iterator_tIlEES8_S8_S8_S8_S8_S8_S8_S8_EEEEPS9_S9_NSD_9__find_if7functorIS9_EEEE10hipError_tPvRmT1_T2_T3_mT4_P12ihipStream_tbEUlT_E0_NS1_11comp_targetILNS1_3genE2ELNS1_11target_archE906ELNS1_3gpuE6ELNS1_3repE0EEENS1_30default_config_static_selectorELNS0_4arch9wavefront6targetE1EEEvS14_,@function
_ZN7rocprim17ROCPRIM_400000_NS6detail17trampoline_kernelINS0_14default_configENS1_22reduce_config_selectorIN6thrust23THRUST_200600_302600_NS5tupleIblNS6_9null_typeES8_S8_S8_S8_S8_S8_S8_EEEEZNS1_11reduce_implILb1ES3_NS6_12zip_iteratorINS7_INS6_11hip_rocprim26transform_input_iterator_tIbNSD_35transform_pair_of_input_iterators_tIbNS6_6detail15normal_iteratorINS6_10device_ptrIKxEEEESL_NS6_8equal_toIxEEEENSG_9not_fun_tINSD_8identityEEEEENSD_19counting_iterator_tIlEES8_S8_S8_S8_S8_S8_S8_S8_EEEEPS9_S9_NSD_9__find_if7functorIS9_EEEE10hipError_tPvRmT1_T2_T3_mT4_P12ihipStream_tbEUlT_E0_NS1_11comp_targetILNS1_3genE2ELNS1_11target_archE906ELNS1_3gpuE6ELNS1_3repE0EEENS1_30default_config_static_selectorELNS0_4arch9wavefront6targetE1EEEvS14_: ; @_ZN7rocprim17ROCPRIM_400000_NS6detail17trampoline_kernelINS0_14default_configENS1_22reduce_config_selectorIN6thrust23THRUST_200600_302600_NS5tupleIblNS6_9null_typeES8_S8_S8_S8_S8_S8_S8_EEEEZNS1_11reduce_implILb1ES3_NS6_12zip_iteratorINS7_INS6_11hip_rocprim26transform_input_iterator_tIbNSD_35transform_pair_of_input_iterators_tIbNS6_6detail15normal_iteratorINS6_10device_ptrIKxEEEESL_NS6_8equal_toIxEEEENSG_9not_fun_tINSD_8identityEEEEENSD_19counting_iterator_tIlEES8_S8_S8_S8_S8_S8_S8_S8_EEEEPS9_S9_NSD_9__find_if7functorIS9_EEEE10hipError_tPvRmT1_T2_T3_mT4_P12ihipStream_tbEUlT_E0_NS1_11comp_targetILNS1_3genE2ELNS1_11target_archE906ELNS1_3gpuE6ELNS1_3repE0EEENS1_30default_config_static_selectorELNS0_4arch9wavefront6targetE1EEEvS14_
; %bb.0:
	.section	.rodata,"a",@progbits
	.p2align	6, 0x0
	.amdhsa_kernel _ZN7rocprim17ROCPRIM_400000_NS6detail17trampoline_kernelINS0_14default_configENS1_22reduce_config_selectorIN6thrust23THRUST_200600_302600_NS5tupleIblNS6_9null_typeES8_S8_S8_S8_S8_S8_S8_EEEEZNS1_11reduce_implILb1ES3_NS6_12zip_iteratorINS7_INS6_11hip_rocprim26transform_input_iterator_tIbNSD_35transform_pair_of_input_iterators_tIbNS6_6detail15normal_iteratorINS6_10device_ptrIKxEEEESL_NS6_8equal_toIxEEEENSG_9not_fun_tINSD_8identityEEEEENSD_19counting_iterator_tIlEES8_S8_S8_S8_S8_S8_S8_S8_EEEEPS9_S9_NSD_9__find_if7functorIS9_EEEE10hipError_tPvRmT1_T2_T3_mT4_P12ihipStream_tbEUlT_E0_NS1_11comp_targetILNS1_3genE2ELNS1_11target_archE906ELNS1_3gpuE6ELNS1_3repE0EEENS1_30default_config_static_selectorELNS0_4arch9wavefront6targetE1EEEvS14_
		.amdhsa_group_segment_fixed_size 0
		.amdhsa_private_segment_fixed_size 0
		.amdhsa_kernarg_size 104
		.amdhsa_user_sgpr_count 6
		.amdhsa_user_sgpr_private_segment_buffer 1
		.amdhsa_user_sgpr_dispatch_ptr 0
		.amdhsa_user_sgpr_queue_ptr 0
		.amdhsa_user_sgpr_kernarg_segment_ptr 1
		.amdhsa_user_sgpr_dispatch_id 0
		.amdhsa_user_sgpr_flat_scratch_init 0
		.amdhsa_user_sgpr_kernarg_preload_length 0
		.amdhsa_user_sgpr_kernarg_preload_offset 0
		.amdhsa_user_sgpr_private_segment_size 0
		.amdhsa_uses_dynamic_stack 0
		.amdhsa_system_sgpr_private_segment_wavefront_offset 0
		.amdhsa_system_sgpr_workgroup_id_x 1
		.amdhsa_system_sgpr_workgroup_id_y 0
		.amdhsa_system_sgpr_workgroup_id_z 0
		.amdhsa_system_sgpr_workgroup_info 0
		.amdhsa_system_vgpr_workitem_id 0
		.amdhsa_next_free_vgpr 1
		.amdhsa_next_free_sgpr 0
		.amdhsa_accum_offset 4
		.amdhsa_reserve_vcc 0
		.amdhsa_reserve_flat_scratch 0
		.amdhsa_float_round_mode_32 0
		.amdhsa_float_round_mode_16_64 0
		.amdhsa_float_denorm_mode_32 3
		.amdhsa_float_denorm_mode_16_64 3
		.amdhsa_dx10_clamp 1
		.amdhsa_ieee_mode 1
		.amdhsa_fp16_overflow 0
		.amdhsa_tg_split 0
		.amdhsa_exception_fp_ieee_invalid_op 0
		.amdhsa_exception_fp_denorm_src 0
		.amdhsa_exception_fp_ieee_div_zero 0
		.amdhsa_exception_fp_ieee_overflow 0
		.amdhsa_exception_fp_ieee_underflow 0
		.amdhsa_exception_fp_ieee_inexact 0
		.amdhsa_exception_int_div_zero 0
	.end_amdhsa_kernel
	.section	.text._ZN7rocprim17ROCPRIM_400000_NS6detail17trampoline_kernelINS0_14default_configENS1_22reduce_config_selectorIN6thrust23THRUST_200600_302600_NS5tupleIblNS6_9null_typeES8_S8_S8_S8_S8_S8_S8_EEEEZNS1_11reduce_implILb1ES3_NS6_12zip_iteratorINS7_INS6_11hip_rocprim26transform_input_iterator_tIbNSD_35transform_pair_of_input_iterators_tIbNS6_6detail15normal_iteratorINS6_10device_ptrIKxEEEESL_NS6_8equal_toIxEEEENSG_9not_fun_tINSD_8identityEEEEENSD_19counting_iterator_tIlEES8_S8_S8_S8_S8_S8_S8_S8_EEEEPS9_S9_NSD_9__find_if7functorIS9_EEEE10hipError_tPvRmT1_T2_T3_mT4_P12ihipStream_tbEUlT_E0_NS1_11comp_targetILNS1_3genE2ELNS1_11target_archE906ELNS1_3gpuE6ELNS1_3repE0EEENS1_30default_config_static_selectorELNS0_4arch9wavefront6targetE1EEEvS14_,"axG",@progbits,_ZN7rocprim17ROCPRIM_400000_NS6detail17trampoline_kernelINS0_14default_configENS1_22reduce_config_selectorIN6thrust23THRUST_200600_302600_NS5tupleIblNS6_9null_typeES8_S8_S8_S8_S8_S8_S8_EEEEZNS1_11reduce_implILb1ES3_NS6_12zip_iteratorINS7_INS6_11hip_rocprim26transform_input_iterator_tIbNSD_35transform_pair_of_input_iterators_tIbNS6_6detail15normal_iteratorINS6_10device_ptrIKxEEEESL_NS6_8equal_toIxEEEENSG_9not_fun_tINSD_8identityEEEEENSD_19counting_iterator_tIlEES8_S8_S8_S8_S8_S8_S8_S8_EEEEPS9_S9_NSD_9__find_if7functorIS9_EEEE10hipError_tPvRmT1_T2_T3_mT4_P12ihipStream_tbEUlT_E0_NS1_11comp_targetILNS1_3genE2ELNS1_11target_archE906ELNS1_3gpuE6ELNS1_3repE0EEENS1_30default_config_static_selectorELNS0_4arch9wavefront6targetE1EEEvS14_,comdat
.Lfunc_end109:
	.size	_ZN7rocprim17ROCPRIM_400000_NS6detail17trampoline_kernelINS0_14default_configENS1_22reduce_config_selectorIN6thrust23THRUST_200600_302600_NS5tupleIblNS6_9null_typeES8_S8_S8_S8_S8_S8_S8_EEEEZNS1_11reduce_implILb1ES3_NS6_12zip_iteratorINS7_INS6_11hip_rocprim26transform_input_iterator_tIbNSD_35transform_pair_of_input_iterators_tIbNS6_6detail15normal_iteratorINS6_10device_ptrIKxEEEESL_NS6_8equal_toIxEEEENSG_9not_fun_tINSD_8identityEEEEENSD_19counting_iterator_tIlEES8_S8_S8_S8_S8_S8_S8_S8_EEEEPS9_S9_NSD_9__find_if7functorIS9_EEEE10hipError_tPvRmT1_T2_T3_mT4_P12ihipStream_tbEUlT_E0_NS1_11comp_targetILNS1_3genE2ELNS1_11target_archE906ELNS1_3gpuE6ELNS1_3repE0EEENS1_30default_config_static_selectorELNS0_4arch9wavefront6targetE1EEEvS14_, .Lfunc_end109-_ZN7rocprim17ROCPRIM_400000_NS6detail17trampoline_kernelINS0_14default_configENS1_22reduce_config_selectorIN6thrust23THRUST_200600_302600_NS5tupleIblNS6_9null_typeES8_S8_S8_S8_S8_S8_S8_EEEEZNS1_11reduce_implILb1ES3_NS6_12zip_iteratorINS7_INS6_11hip_rocprim26transform_input_iterator_tIbNSD_35transform_pair_of_input_iterators_tIbNS6_6detail15normal_iteratorINS6_10device_ptrIKxEEEESL_NS6_8equal_toIxEEEENSG_9not_fun_tINSD_8identityEEEEENSD_19counting_iterator_tIlEES8_S8_S8_S8_S8_S8_S8_S8_EEEEPS9_S9_NSD_9__find_if7functorIS9_EEEE10hipError_tPvRmT1_T2_T3_mT4_P12ihipStream_tbEUlT_E0_NS1_11comp_targetILNS1_3genE2ELNS1_11target_archE906ELNS1_3gpuE6ELNS1_3repE0EEENS1_30default_config_static_selectorELNS0_4arch9wavefront6targetE1EEEvS14_
                                        ; -- End function
	.section	.AMDGPU.csdata,"",@progbits
; Kernel info:
; codeLenInByte = 0
; NumSgprs: 4
; NumVgprs: 0
; NumAgprs: 0
; TotalNumVgprs: 0
; ScratchSize: 0
; MemoryBound: 0
; FloatMode: 240
; IeeeMode: 1
; LDSByteSize: 0 bytes/workgroup (compile time only)
; SGPRBlocks: 0
; VGPRBlocks: 0
; NumSGPRsForWavesPerEU: 4
; NumVGPRsForWavesPerEU: 1
; AccumOffset: 4
; Occupancy: 8
; WaveLimiterHint : 0
; COMPUTE_PGM_RSRC2:SCRATCH_EN: 0
; COMPUTE_PGM_RSRC2:USER_SGPR: 6
; COMPUTE_PGM_RSRC2:TRAP_HANDLER: 0
; COMPUTE_PGM_RSRC2:TGID_X_EN: 1
; COMPUTE_PGM_RSRC2:TGID_Y_EN: 0
; COMPUTE_PGM_RSRC2:TGID_Z_EN: 0
; COMPUTE_PGM_RSRC2:TIDIG_COMP_CNT: 0
; COMPUTE_PGM_RSRC3_GFX90A:ACCUM_OFFSET: 0
; COMPUTE_PGM_RSRC3_GFX90A:TG_SPLIT: 0
	.section	.text._ZN7rocprim17ROCPRIM_400000_NS6detail17trampoline_kernelINS0_14default_configENS1_22reduce_config_selectorIN6thrust23THRUST_200600_302600_NS5tupleIblNS6_9null_typeES8_S8_S8_S8_S8_S8_S8_EEEEZNS1_11reduce_implILb1ES3_NS6_12zip_iteratorINS7_INS6_11hip_rocprim26transform_input_iterator_tIbNSD_35transform_pair_of_input_iterators_tIbNS6_6detail15normal_iteratorINS6_10device_ptrIKxEEEESL_NS6_8equal_toIxEEEENSG_9not_fun_tINSD_8identityEEEEENSD_19counting_iterator_tIlEES8_S8_S8_S8_S8_S8_S8_S8_EEEEPS9_S9_NSD_9__find_if7functorIS9_EEEE10hipError_tPvRmT1_T2_T3_mT4_P12ihipStream_tbEUlT_E0_NS1_11comp_targetILNS1_3genE10ELNS1_11target_archE1201ELNS1_3gpuE5ELNS1_3repE0EEENS1_30default_config_static_selectorELNS0_4arch9wavefront6targetE1EEEvS14_,"axG",@progbits,_ZN7rocprim17ROCPRIM_400000_NS6detail17trampoline_kernelINS0_14default_configENS1_22reduce_config_selectorIN6thrust23THRUST_200600_302600_NS5tupleIblNS6_9null_typeES8_S8_S8_S8_S8_S8_S8_EEEEZNS1_11reduce_implILb1ES3_NS6_12zip_iteratorINS7_INS6_11hip_rocprim26transform_input_iterator_tIbNSD_35transform_pair_of_input_iterators_tIbNS6_6detail15normal_iteratorINS6_10device_ptrIKxEEEESL_NS6_8equal_toIxEEEENSG_9not_fun_tINSD_8identityEEEEENSD_19counting_iterator_tIlEES8_S8_S8_S8_S8_S8_S8_S8_EEEEPS9_S9_NSD_9__find_if7functorIS9_EEEE10hipError_tPvRmT1_T2_T3_mT4_P12ihipStream_tbEUlT_E0_NS1_11comp_targetILNS1_3genE10ELNS1_11target_archE1201ELNS1_3gpuE5ELNS1_3repE0EEENS1_30default_config_static_selectorELNS0_4arch9wavefront6targetE1EEEvS14_,comdat
	.protected	_ZN7rocprim17ROCPRIM_400000_NS6detail17trampoline_kernelINS0_14default_configENS1_22reduce_config_selectorIN6thrust23THRUST_200600_302600_NS5tupleIblNS6_9null_typeES8_S8_S8_S8_S8_S8_S8_EEEEZNS1_11reduce_implILb1ES3_NS6_12zip_iteratorINS7_INS6_11hip_rocprim26transform_input_iterator_tIbNSD_35transform_pair_of_input_iterators_tIbNS6_6detail15normal_iteratorINS6_10device_ptrIKxEEEESL_NS6_8equal_toIxEEEENSG_9not_fun_tINSD_8identityEEEEENSD_19counting_iterator_tIlEES8_S8_S8_S8_S8_S8_S8_S8_EEEEPS9_S9_NSD_9__find_if7functorIS9_EEEE10hipError_tPvRmT1_T2_T3_mT4_P12ihipStream_tbEUlT_E0_NS1_11comp_targetILNS1_3genE10ELNS1_11target_archE1201ELNS1_3gpuE5ELNS1_3repE0EEENS1_30default_config_static_selectorELNS0_4arch9wavefront6targetE1EEEvS14_ ; -- Begin function _ZN7rocprim17ROCPRIM_400000_NS6detail17trampoline_kernelINS0_14default_configENS1_22reduce_config_selectorIN6thrust23THRUST_200600_302600_NS5tupleIblNS6_9null_typeES8_S8_S8_S8_S8_S8_S8_EEEEZNS1_11reduce_implILb1ES3_NS6_12zip_iteratorINS7_INS6_11hip_rocprim26transform_input_iterator_tIbNSD_35transform_pair_of_input_iterators_tIbNS6_6detail15normal_iteratorINS6_10device_ptrIKxEEEESL_NS6_8equal_toIxEEEENSG_9not_fun_tINSD_8identityEEEEENSD_19counting_iterator_tIlEES8_S8_S8_S8_S8_S8_S8_S8_EEEEPS9_S9_NSD_9__find_if7functorIS9_EEEE10hipError_tPvRmT1_T2_T3_mT4_P12ihipStream_tbEUlT_E0_NS1_11comp_targetILNS1_3genE10ELNS1_11target_archE1201ELNS1_3gpuE5ELNS1_3repE0EEENS1_30default_config_static_selectorELNS0_4arch9wavefront6targetE1EEEvS14_
	.globl	_ZN7rocprim17ROCPRIM_400000_NS6detail17trampoline_kernelINS0_14default_configENS1_22reduce_config_selectorIN6thrust23THRUST_200600_302600_NS5tupleIblNS6_9null_typeES8_S8_S8_S8_S8_S8_S8_EEEEZNS1_11reduce_implILb1ES3_NS6_12zip_iteratorINS7_INS6_11hip_rocprim26transform_input_iterator_tIbNSD_35transform_pair_of_input_iterators_tIbNS6_6detail15normal_iteratorINS6_10device_ptrIKxEEEESL_NS6_8equal_toIxEEEENSG_9not_fun_tINSD_8identityEEEEENSD_19counting_iterator_tIlEES8_S8_S8_S8_S8_S8_S8_S8_EEEEPS9_S9_NSD_9__find_if7functorIS9_EEEE10hipError_tPvRmT1_T2_T3_mT4_P12ihipStream_tbEUlT_E0_NS1_11comp_targetILNS1_3genE10ELNS1_11target_archE1201ELNS1_3gpuE5ELNS1_3repE0EEENS1_30default_config_static_selectorELNS0_4arch9wavefront6targetE1EEEvS14_
	.p2align	8
	.type	_ZN7rocprim17ROCPRIM_400000_NS6detail17trampoline_kernelINS0_14default_configENS1_22reduce_config_selectorIN6thrust23THRUST_200600_302600_NS5tupleIblNS6_9null_typeES8_S8_S8_S8_S8_S8_S8_EEEEZNS1_11reduce_implILb1ES3_NS6_12zip_iteratorINS7_INS6_11hip_rocprim26transform_input_iterator_tIbNSD_35transform_pair_of_input_iterators_tIbNS6_6detail15normal_iteratorINS6_10device_ptrIKxEEEESL_NS6_8equal_toIxEEEENSG_9not_fun_tINSD_8identityEEEEENSD_19counting_iterator_tIlEES8_S8_S8_S8_S8_S8_S8_S8_EEEEPS9_S9_NSD_9__find_if7functorIS9_EEEE10hipError_tPvRmT1_T2_T3_mT4_P12ihipStream_tbEUlT_E0_NS1_11comp_targetILNS1_3genE10ELNS1_11target_archE1201ELNS1_3gpuE5ELNS1_3repE0EEENS1_30default_config_static_selectorELNS0_4arch9wavefront6targetE1EEEvS14_,@function
_ZN7rocprim17ROCPRIM_400000_NS6detail17trampoline_kernelINS0_14default_configENS1_22reduce_config_selectorIN6thrust23THRUST_200600_302600_NS5tupleIblNS6_9null_typeES8_S8_S8_S8_S8_S8_S8_EEEEZNS1_11reduce_implILb1ES3_NS6_12zip_iteratorINS7_INS6_11hip_rocprim26transform_input_iterator_tIbNSD_35transform_pair_of_input_iterators_tIbNS6_6detail15normal_iteratorINS6_10device_ptrIKxEEEESL_NS6_8equal_toIxEEEENSG_9not_fun_tINSD_8identityEEEEENSD_19counting_iterator_tIlEES8_S8_S8_S8_S8_S8_S8_S8_EEEEPS9_S9_NSD_9__find_if7functorIS9_EEEE10hipError_tPvRmT1_T2_T3_mT4_P12ihipStream_tbEUlT_E0_NS1_11comp_targetILNS1_3genE10ELNS1_11target_archE1201ELNS1_3gpuE5ELNS1_3repE0EEENS1_30default_config_static_selectorELNS0_4arch9wavefront6targetE1EEEvS14_: ; @_ZN7rocprim17ROCPRIM_400000_NS6detail17trampoline_kernelINS0_14default_configENS1_22reduce_config_selectorIN6thrust23THRUST_200600_302600_NS5tupleIblNS6_9null_typeES8_S8_S8_S8_S8_S8_S8_EEEEZNS1_11reduce_implILb1ES3_NS6_12zip_iteratorINS7_INS6_11hip_rocprim26transform_input_iterator_tIbNSD_35transform_pair_of_input_iterators_tIbNS6_6detail15normal_iteratorINS6_10device_ptrIKxEEEESL_NS6_8equal_toIxEEEENSG_9not_fun_tINSD_8identityEEEEENSD_19counting_iterator_tIlEES8_S8_S8_S8_S8_S8_S8_S8_EEEEPS9_S9_NSD_9__find_if7functorIS9_EEEE10hipError_tPvRmT1_T2_T3_mT4_P12ihipStream_tbEUlT_E0_NS1_11comp_targetILNS1_3genE10ELNS1_11target_archE1201ELNS1_3gpuE5ELNS1_3repE0EEENS1_30default_config_static_selectorELNS0_4arch9wavefront6targetE1EEEvS14_
; %bb.0:
	.section	.rodata,"a",@progbits
	.p2align	6, 0x0
	.amdhsa_kernel _ZN7rocprim17ROCPRIM_400000_NS6detail17trampoline_kernelINS0_14default_configENS1_22reduce_config_selectorIN6thrust23THRUST_200600_302600_NS5tupleIblNS6_9null_typeES8_S8_S8_S8_S8_S8_S8_EEEEZNS1_11reduce_implILb1ES3_NS6_12zip_iteratorINS7_INS6_11hip_rocprim26transform_input_iterator_tIbNSD_35transform_pair_of_input_iterators_tIbNS6_6detail15normal_iteratorINS6_10device_ptrIKxEEEESL_NS6_8equal_toIxEEEENSG_9not_fun_tINSD_8identityEEEEENSD_19counting_iterator_tIlEES8_S8_S8_S8_S8_S8_S8_S8_EEEEPS9_S9_NSD_9__find_if7functorIS9_EEEE10hipError_tPvRmT1_T2_T3_mT4_P12ihipStream_tbEUlT_E0_NS1_11comp_targetILNS1_3genE10ELNS1_11target_archE1201ELNS1_3gpuE5ELNS1_3repE0EEENS1_30default_config_static_selectorELNS0_4arch9wavefront6targetE1EEEvS14_
		.amdhsa_group_segment_fixed_size 0
		.amdhsa_private_segment_fixed_size 0
		.amdhsa_kernarg_size 104
		.amdhsa_user_sgpr_count 6
		.amdhsa_user_sgpr_private_segment_buffer 1
		.amdhsa_user_sgpr_dispatch_ptr 0
		.amdhsa_user_sgpr_queue_ptr 0
		.amdhsa_user_sgpr_kernarg_segment_ptr 1
		.amdhsa_user_sgpr_dispatch_id 0
		.amdhsa_user_sgpr_flat_scratch_init 0
		.amdhsa_user_sgpr_kernarg_preload_length 0
		.amdhsa_user_sgpr_kernarg_preload_offset 0
		.amdhsa_user_sgpr_private_segment_size 0
		.amdhsa_uses_dynamic_stack 0
		.amdhsa_system_sgpr_private_segment_wavefront_offset 0
		.amdhsa_system_sgpr_workgroup_id_x 1
		.amdhsa_system_sgpr_workgroup_id_y 0
		.amdhsa_system_sgpr_workgroup_id_z 0
		.amdhsa_system_sgpr_workgroup_info 0
		.amdhsa_system_vgpr_workitem_id 0
		.amdhsa_next_free_vgpr 1
		.amdhsa_next_free_sgpr 0
		.amdhsa_accum_offset 4
		.amdhsa_reserve_vcc 0
		.amdhsa_reserve_flat_scratch 0
		.amdhsa_float_round_mode_32 0
		.amdhsa_float_round_mode_16_64 0
		.amdhsa_float_denorm_mode_32 3
		.amdhsa_float_denorm_mode_16_64 3
		.amdhsa_dx10_clamp 1
		.amdhsa_ieee_mode 1
		.amdhsa_fp16_overflow 0
		.amdhsa_tg_split 0
		.amdhsa_exception_fp_ieee_invalid_op 0
		.amdhsa_exception_fp_denorm_src 0
		.amdhsa_exception_fp_ieee_div_zero 0
		.amdhsa_exception_fp_ieee_overflow 0
		.amdhsa_exception_fp_ieee_underflow 0
		.amdhsa_exception_fp_ieee_inexact 0
		.amdhsa_exception_int_div_zero 0
	.end_amdhsa_kernel
	.section	.text._ZN7rocprim17ROCPRIM_400000_NS6detail17trampoline_kernelINS0_14default_configENS1_22reduce_config_selectorIN6thrust23THRUST_200600_302600_NS5tupleIblNS6_9null_typeES8_S8_S8_S8_S8_S8_S8_EEEEZNS1_11reduce_implILb1ES3_NS6_12zip_iteratorINS7_INS6_11hip_rocprim26transform_input_iterator_tIbNSD_35transform_pair_of_input_iterators_tIbNS6_6detail15normal_iteratorINS6_10device_ptrIKxEEEESL_NS6_8equal_toIxEEEENSG_9not_fun_tINSD_8identityEEEEENSD_19counting_iterator_tIlEES8_S8_S8_S8_S8_S8_S8_S8_EEEEPS9_S9_NSD_9__find_if7functorIS9_EEEE10hipError_tPvRmT1_T2_T3_mT4_P12ihipStream_tbEUlT_E0_NS1_11comp_targetILNS1_3genE10ELNS1_11target_archE1201ELNS1_3gpuE5ELNS1_3repE0EEENS1_30default_config_static_selectorELNS0_4arch9wavefront6targetE1EEEvS14_,"axG",@progbits,_ZN7rocprim17ROCPRIM_400000_NS6detail17trampoline_kernelINS0_14default_configENS1_22reduce_config_selectorIN6thrust23THRUST_200600_302600_NS5tupleIblNS6_9null_typeES8_S8_S8_S8_S8_S8_S8_EEEEZNS1_11reduce_implILb1ES3_NS6_12zip_iteratorINS7_INS6_11hip_rocprim26transform_input_iterator_tIbNSD_35transform_pair_of_input_iterators_tIbNS6_6detail15normal_iteratorINS6_10device_ptrIKxEEEESL_NS6_8equal_toIxEEEENSG_9not_fun_tINSD_8identityEEEEENSD_19counting_iterator_tIlEES8_S8_S8_S8_S8_S8_S8_S8_EEEEPS9_S9_NSD_9__find_if7functorIS9_EEEE10hipError_tPvRmT1_T2_T3_mT4_P12ihipStream_tbEUlT_E0_NS1_11comp_targetILNS1_3genE10ELNS1_11target_archE1201ELNS1_3gpuE5ELNS1_3repE0EEENS1_30default_config_static_selectorELNS0_4arch9wavefront6targetE1EEEvS14_,comdat
.Lfunc_end110:
	.size	_ZN7rocprim17ROCPRIM_400000_NS6detail17trampoline_kernelINS0_14default_configENS1_22reduce_config_selectorIN6thrust23THRUST_200600_302600_NS5tupleIblNS6_9null_typeES8_S8_S8_S8_S8_S8_S8_EEEEZNS1_11reduce_implILb1ES3_NS6_12zip_iteratorINS7_INS6_11hip_rocprim26transform_input_iterator_tIbNSD_35transform_pair_of_input_iterators_tIbNS6_6detail15normal_iteratorINS6_10device_ptrIKxEEEESL_NS6_8equal_toIxEEEENSG_9not_fun_tINSD_8identityEEEEENSD_19counting_iterator_tIlEES8_S8_S8_S8_S8_S8_S8_S8_EEEEPS9_S9_NSD_9__find_if7functorIS9_EEEE10hipError_tPvRmT1_T2_T3_mT4_P12ihipStream_tbEUlT_E0_NS1_11comp_targetILNS1_3genE10ELNS1_11target_archE1201ELNS1_3gpuE5ELNS1_3repE0EEENS1_30default_config_static_selectorELNS0_4arch9wavefront6targetE1EEEvS14_, .Lfunc_end110-_ZN7rocprim17ROCPRIM_400000_NS6detail17trampoline_kernelINS0_14default_configENS1_22reduce_config_selectorIN6thrust23THRUST_200600_302600_NS5tupleIblNS6_9null_typeES8_S8_S8_S8_S8_S8_S8_EEEEZNS1_11reduce_implILb1ES3_NS6_12zip_iteratorINS7_INS6_11hip_rocprim26transform_input_iterator_tIbNSD_35transform_pair_of_input_iterators_tIbNS6_6detail15normal_iteratorINS6_10device_ptrIKxEEEESL_NS6_8equal_toIxEEEENSG_9not_fun_tINSD_8identityEEEEENSD_19counting_iterator_tIlEES8_S8_S8_S8_S8_S8_S8_S8_EEEEPS9_S9_NSD_9__find_if7functorIS9_EEEE10hipError_tPvRmT1_T2_T3_mT4_P12ihipStream_tbEUlT_E0_NS1_11comp_targetILNS1_3genE10ELNS1_11target_archE1201ELNS1_3gpuE5ELNS1_3repE0EEENS1_30default_config_static_selectorELNS0_4arch9wavefront6targetE1EEEvS14_
                                        ; -- End function
	.section	.AMDGPU.csdata,"",@progbits
; Kernel info:
; codeLenInByte = 0
; NumSgprs: 4
; NumVgprs: 0
; NumAgprs: 0
; TotalNumVgprs: 0
; ScratchSize: 0
; MemoryBound: 0
; FloatMode: 240
; IeeeMode: 1
; LDSByteSize: 0 bytes/workgroup (compile time only)
; SGPRBlocks: 0
; VGPRBlocks: 0
; NumSGPRsForWavesPerEU: 4
; NumVGPRsForWavesPerEU: 1
; AccumOffset: 4
; Occupancy: 8
; WaveLimiterHint : 0
; COMPUTE_PGM_RSRC2:SCRATCH_EN: 0
; COMPUTE_PGM_RSRC2:USER_SGPR: 6
; COMPUTE_PGM_RSRC2:TRAP_HANDLER: 0
; COMPUTE_PGM_RSRC2:TGID_X_EN: 1
; COMPUTE_PGM_RSRC2:TGID_Y_EN: 0
; COMPUTE_PGM_RSRC2:TGID_Z_EN: 0
; COMPUTE_PGM_RSRC2:TIDIG_COMP_CNT: 0
; COMPUTE_PGM_RSRC3_GFX90A:ACCUM_OFFSET: 0
; COMPUTE_PGM_RSRC3_GFX90A:TG_SPLIT: 0
	.section	.text._ZN7rocprim17ROCPRIM_400000_NS6detail17trampoline_kernelINS0_14default_configENS1_22reduce_config_selectorIN6thrust23THRUST_200600_302600_NS5tupleIblNS6_9null_typeES8_S8_S8_S8_S8_S8_S8_EEEEZNS1_11reduce_implILb1ES3_NS6_12zip_iteratorINS7_INS6_11hip_rocprim26transform_input_iterator_tIbNSD_35transform_pair_of_input_iterators_tIbNS6_6detail15normal_iteratorINS6_10device_ptrIKxEEEESL_NS6_8equal_toIxEEEENSG_9not_fun_tINSD_8identityEEEEENSD_19counting_iterator_tIlEES8_S8_S8_S8_S8_S8_S8_S8_EEEEPS9_S9_NSD_9__find_if7functorIS9_EEEE10hipError_tPvRmT1_T2_T3_mT4_P12ihipStream_tbEUlT_E0_NS1_11comp_targetILNS1_3genE10ELNS1_11target_archE1200ELNS1_3gpuE4ELNS1_3repE0EEENS1_30default_config_static_selectorELNS0_4arch9wavefront6targetE1EEEvS14_,"axG",@progbits,_ZN7rocprim17ROCPRIM_400000_NS6detail17trampoline_kernelINS0_14default_configENS1_22reduce_config_selectorIN6thrust23THRUST_200600_302600_NS5tupleIblNS6_9null_typeES8_S8_S8_S8_S8_S8_S8_EEEEZNS1_11reduce_implILb1ES3_NS6_12zip_iteratorINS7_INS6_11hip_rocprim26transform_input_iterator_tIbNSD_35transform_pair_of_input_iterators_tIbNS6_6detail15normal_iteratorINS6_10device_ptrIKxEEEESL_NS6_8equal_toIxEEEENSG_9not_fun_tINSD_8identityEEEEENSD_19counting_iterator_tIlEES8_S8_S8_S8_S8_S8_S8_S8_EEEEPS9_S9_NSD_9__find_if7functorIS9_EEEE10hipError_tPvRmT1_T2_T3_mT4_P12ihipStream_tbEUlT_E0_NS1_11comp_targetILNS1_3genE10ELNS1_11target_archE1200ELNS1_3gpuE4ELNS1_3repE0EEENS1_30default_config_static_selectorELNS0_4arch9wavefront6targetE1EEEvS14_,comdat
	.protected	_ZN7rocprim17ROCPRIM_400000_NS6detail17trampoline_kernelINS0_14default_configENS1_22reduce_config_selectorIN6thrust23THRUST_200600_302600_NS5tupleIblNS6_9null_typeES8_S8_S8_S8_S8_S8_S8_EEEEZNS1_11reduce_implILb1ES3_NS6_12zip_iteratorINS7_INS6_11hip_rocprim26transform_input_iterator_tIbNSD_35transform_pair_of_input_iterators_tIbNS6_6detail15normal_iteratorINS6_10device_ptrIKxEEEESL_NS6_8equal_toIxEEEENSG_9not_fun_tINSD_8identityEEEEENSD_19counting_iterator_tIlEES8_S8_S8_S8_S8_S8_S8_S8_EEEEPS9_S9_NSD_9__find_if7functorIS9_EEEE10hipError_tPvRmT1_T2_T3_mT4_P12ihipStream_tbEUlT_E0_NS1_11comp_targetILNS1_3genE10ELNS1_11target_archE1200ELNS1_3gpuE4ELNS1_3repE0EEENS1_30default_config_static_selectorELNS0_4arch9wavefront6targetE1EEEvS14_ ; -- Begin function _ZN7rocprim17ROCPRIM_400000_NS6detail17trampoline_kernelINS0_14default_configENS1_22reduce_config_selectorIN6thrust23THRUST_200600_302600_NS5tupleIblNS6_9null_typeES8_S8_S8_S8_S8_S8_S8_EEEEZNS1_11reduce_implILb1ES3_NS6_12zip_iteratorINS7_INS6_11hip_rocprim26transform_input_iterator_tIbNSD_35transform_pair_of_input_iterators_tIbNS6_6detail15normal_iteratorINS6_10device_ptrIKxEEEESL_NS6_8equal_toIxEEEENSG_9not_fun_tINSD_8identityEEEEENSD_19counting_iterator_tIlEES8_S8_S8_S8_S8_S8_S8_S8_EEEEPS9_S9_NSD_9__find_if7functorIS9_EEEE10hipError_tPvRmT1_T2_T3_mT4_P12ihipStream_tbEUlT_E0_NS1_11comp_targetILNS1_3genE10ELNS1_11target_archE1200ELNS1_3gpuE4ELNS1_3repE0EEENS1_30default_config_static_selectorELNS0_4arch9wavefront6targetE1EEEvS14_
	.globl	_ZN7rocprim17ROCPRIM_400000_NS6detail17trampoline_kernelINS0_14default_configENS1_22reduce_config_selectorIN6thrust23THRUST_200600_302600_NS5tupleIblNS6_9null_typeES8_S8_S8_S8_S8_S8_S8_EEEEZNS1_11reduce_implILb1ES3_NS6_12zip_iteratorINS7_INS6_11hip_rocprim26transform_input_iterator_tIbNSD_35transform_pair_of_input_iterators_tIbNS6_6detail15normal_iteratorINS6_10device_ptrIKxEEEESL_NS6_8equal_toIxEEEENSG_9not_fun_tINSD_8identityEEEEENSD_19counting_iterator_tIlEES8_S8_S8_S8_S8_S8_S8_S8_EEEEPS9_S9_NSD_9__find_if7functorIS9_EEEE10hipError_tPvRmT1_T2_T3_mT4_P12ihipStream_tbEUlT_E0_NS1_11comp_targetILNS1_3genE10ELNS1_11target_archE1200ELNS1_3gpuE4ELNS1_3repE0EEENS1_30default_config_static_selectorELNS0_4arch9wavefront6targetE1EEEvS14_
	.p2align	8
	.type	_ZN7rocprim17ROCPRIM_400000_NS6detail17trampoline_kernelINS0_14default_configENS1_22reduce_config_selectorIN6thrust23THRUST_200600_302600_NS5tupleIblNS6_9null_typeES8_S8_S8_S8_S8_S8_S8_EEEEZNS1_11reduce_implILb1ES3_NS6_12zip_iteratorINS7_INS6_11hip_rocprim26transform_input_iterator_tIbNSD_35transform_pair_of_input_iterators_tIbNS6_6detail15normal_iteratorINS6_10device_ptrIKxEEEESL_NS6_8equal_toIxEEEENSG_9not_fun_tINSD_8identityEEEEENSD_19counting_iterator_tIlEES8_S8_S8_S8_S8_S8_S8_S8_EEEEPS9_S9_NSD_9__find_if7functorIS9_EEEE10hipError_tPvRmT1_T2_T3_mT4_P12ihipStream_tbEUlT_E0_NS1_11comp_targetILNS1_3genE10ELNS1_11target_archE1200ELNS1_3gpuE4ELNS1_3repE0EEENS1_30default_config_static_selectorELNS0_4arch9wavefront6targetE1EEEvS14_,@function
_ZN7rocprim17ROCPRIM_400000_NS6detail17trampoline_kernelINS0_14default_configENS1_22reduce_config_selectorIN6thrust23THRUST_200600_302600_NS5tupleIblNS6_9null_typeES8_S8_S8_S8_S8_S8_S8_EEEEZNS1_11reduce_implILb1ES3_NS6_12zip_iteratorINS7_INS6_11hip_rocprim26transform_input_iterator_tIbNSD_35transform_pair_of_input_iterators_tIbNS6_6detail15normal_iteratorINS6_10device_ptrIKxEEEESL_NS6_8equal_toIxEEEENSG_9not_fun_tINSD_8identityEEEEENSD_19counting_iterator_tIlEES8_S8_S8_S8_S8_S8_S8_S8_EEEEPS9_S9_NSD_9__find_if7functorIS9_EEEE10hipError_tPvRmT1_T2_T3_mT4_P12ihipStream_tbEUlT_E0_NS1_11comp_targetILNS1_3genE10ELNS1_11target_archE1200ELNS1_3gpuE4ELNS1_3repE0EEENS1_30default_config_static_selectorELNS0_4arch9wavefront6targetE1EEEvS14_: ; @_ZN7rocprim17ROCPRIM_400000_NS6detail17trampoline_kernelINS0_14default_configENS1_22reduce_config_selectorIN6thrust23THRUST_200600_302600_NS5tupleIblNS6_9null_typeES8_S8_S8_S8_S8_S8_S8_EEEEZNS1_11reduce_implILb1ES3_NS6_12zip_iteratorINS7_INS6_11hip_rocprim26transform_input_iterator_tIbNSD_35transform_pair_of_input_iterators_tIbNS6_6detail15normal_iteratorINS6_10device_ptrIKxEEEESL_NS6_8equal_toIxEEEENSG_9not_fun_tINSD_8identityEEEEENSD_19counting_iterator_tIlEES8_S8_S8_S8_S8_S8_S8_S8_EEEEPS9_S9_NSD_9__find_if7functorIS9_EEEE10hipError_tPvRmT1_T2_T3_mT4_P12ihipStream_tbEUlT_E0_NS1_11comp_targetILNS1_3genE10ELNS1_11target_archE1200ELNS1_3gpuE4ELNS1_3repE0EEENS1_30default_config_static_selectorELNS0_4arch9wavefront6targetE1EEEvS14_
; %bb.0:
	.section	.rodata,"a",@progbits
	.p2align	6, 0x0
	.amdhsa_kernel _ZN7rocprim17ROCPRIM_400000_NS6detail17trampoline_kernelINS0_14default_configENS1_22reduce_config_selectorIN6thrust23THRUST_200600_302600_NS5tupleIblNS6_9null_typeES8_S8_S8_S8_S8_S8_S8_EEEEZNS1_11reduce_implILb1ES3_NS6_12zip_iteratorINS7_INS6_11hip_rocprim26transform_input_iterator_tIbNSD_35transform_pair_of_input_iterators_tIbNS6_6detail15normal_iteratorINS6_10device_ptrIKxEEEESL_NS6_8equal_toIxEEEENSG_9not_fun_tINSD_8identityEEEEENSD_19counting_iterator_tIlEES8_S8_S8_S8_S8_S8_S8_S8_EEEEPS9_S9_NSD_9__find_if7functorIS9_EEEE10hipError_tPvRmT1_T2_T3_mT4_P12ihipStream_tbEUlT_E0_NS1_11comp_targetILNS1_3genE10ELNS1_11target_archE1200ELNS1_3gpuE4ELNS1_3repE0EEENS1_30default_config_static_selectorELNS0_4arch9wavefront6targetE1EEEvS14_
		.amdhsa_group_segment_fixed_size 0
		.amdhsa_private_segment_fixed_size 0
		.amdhsa_kernarg_size 104
		.amdhsa_user_sgpr_count 6
		.amdhsa_user_sgpr_private_segment_buffer 1
		.amdhsa_user_sgpr_dispatch_ptr 0
		.amdhsa_user_sgpr_queue_ptr 0
		.amdhsa_user_sgpr_kernarg_segment_ptr 1
		.amdhsa_user_sgpr_dispatch_id 0
		.amdhsa_user_sgpr_flat_scratch_init 0
		.amdhsa_user_sgpr_kernarg_preload_length 0
		.amdhsa_user_sgpr_kernarg_preload_offset 0
		.amdhsa_user_sgpr_private_segment_size 0
		.amdhsa_uses_dynamic_stack 0
		.amdhsa_system_sgpr_private_segment_wavefront_offset 0
		.amdhsa_system_sgpr_workgroup_id_x 1
		.amdhsa_system_sgpr_workgroup_id_y 0
		.amdhsa_system_sgpr_workgroup_id_z 0
		.amdhsa_system_sgpr_workgroup_info 0
		.amdhsa_system_vgpr_workitem_id 0
		.amdhsa_next_free_vgpr 1
		.amdhsa_next_free_sgpr 0
		.amdhsa_accum_offset 4
		.amdhsa_reserve_vcc 0
		.amdhsa_reserve_flat_scratch 0
		.amdhsa_float_round_mode_32 0
		.amdhsa_float_round_mode_16_64 0
		.amdhsa_float_denorm_mode_32 3
		.amdhsa_float_denorm_mode_16_64 3
		.amdhsa_dx10_clamp 1
		.amdhsa_ieee_mode 1
		.amdhsa_fp16_overflow 0
		.amdhsa_tg_split 0
		.amdhsa_exception_fp_ieee_invalid_op 0
		.amdhsa_exception_fp_denorm_src 0
		.amdhsa_exception_fp_ieee_div_zero 0
		.amdhsa_exception_fp_ieee_overflow 0
		.amdhsa_exception_fp_ieee_underflow 0
		.amdhsa_exception_fp_ieee_inexact 0
		.amdhsa_exception_int_div_zero 0
	.end_amdhsa_kernel
	.section	.text._ZN7rocprim17ROCPRIM_400000_NS6detail17trampoline_kernelINS0_14default_configENS1_22reduce_config_selectorIN6thrust23THRUST_200600_302600_NS5tupleIblNS6_9null_typeES8_S8_S8_S8_S8_S8_S8_EEEEZNS1_11reduce_implILb1ES3_NS6_12zip_iteratorINS7_INS6_11hip_rocprim26transform_input_iterator_tIbNSD_35transform_pair_of_input_iterators_tIbNS6_6detail15normal_iteratorINS6_10device_ptrIKxEEEESL_NS6_8equal_toIxEEEENSG_9not_fun_tINSD_8identityEEEEENSD_19counting_iterator_tIlEES8_S8_S8_S8_S8_S8_S8_S8_EEEEPS9_S9_NSD_9__find_if7functorIS9_EEEE10hipError_tPvRmT1_T2_T3_mT4_P12ihipStream_tbEUlT_E0_NS1_11comp_targetILNS1_3genE10ELNS1_11target_archE1200ELNS1_3gpuE4ELNS1_3repE0EEENS1_30default_config_static_selectorELNS0_4arch9wavefront6targetE1EEEvS14_,"axG",@progbits,_ZN7rocprim17ROCPRIM_400000_NS6detail17trampoline_kernelINS0_14default_configENS1_22reduce_config_selectorIN6thrust23THRUST_200600_302600_NS5tupleIblNS6_9null_typeES8_S8_S8_S8_S8_S8_S8_EEEEZNS1_11reduce_implILb1ES3_NS6_12zip_iteratorINS7_INS6_11hip_rocprim26transform_input_iterator_tIbNSD_35transform_pair_of_input_iterators_tIbNS6_6detail15normal_iteratorINS6_10device_ptrIKxEEEESL_NS6_8equal_toIxEEEENSG_9not_fun_tINSD_8identityEEEEENSD_19counting_iterator_tIlEES8_S8_S8_S8_S8_S8_S8_S8_EEEEPS9_S9_NSD_9__find_if7functorIS9_EEEE10hipError_tPvRmT1_T2_T3_mT4_P12ihipStream_tbEUlT_E0_NS1_11comp_targetILNS1_3genE10ELNS1_11target_archE1200ELNS1_3gpuE4ELNS1_3repE0EEENS1_30default_config_static_selectorELNS0_4arch9wavefront6targetE1EEEvS14_,comdat
.Lfunc_end111:
	.size	_ZN7rocprim17ROCPRIM_400000_NS6detail17trampoline_kernelINS0_14default_configENS1_22reduce_config_selectorIN6thrust23THRUST_200600_302600_NS5tupleIblNS6_9null_typeES8_S8_S8_S8_S8_S8_S8_EEEEZNS1_11reduce_implILb1ES3_NS6_12zip_iteratorINS7_INS6_11hip_rocprim26transform_input_iterator_tIbNSD_35transform_pair_of_input_iterators_tIbNS6_6detail15normal_iteratorINS6_10device_ptrIKxEEEESL_NS6_8equal_toIxEEEENSG_9not_fun_tINSD_8identityEEEEENSD_19counting_iterator_tIlEES8_S8_S8_S8_S8_S8_S8_S8_EEEEPS9_S9_NSD_9__find_if7functorIS9_EEEE10hipError_tPvRmT1_T2_T3_mT4_P12ihipStream_tbEUlT_E0_NS1_11comp_targetILNS1_3genE10ELNS1_11target_archE1200ELNS1_3gpuE4ELNS1_3repE0EEENS1_30default_config_static_selectorELNS0_4arch9wavefront6targetE1EEEvS14_, .Lfunc_end111-_ZN7rocprim17ROCPRIM_400000_NS6detail17trampoline_kernelINS0_14default_configENS1_22reduce_config_selectorIN6thrust23THRUST_200600_302600_NS5tupleIblNS6_9null_typeES8_S8_S8_S8_S8_S8_S8_EEEEZNS1_11reduce_implILb1ES3_NS6_12zip_iteratorINS7_INS6_11hip_rocprim26transform_input_iterator_tIbNSD_35transform_pair_of_input_iterators_tIbNS6_6detail15normal_iteratorINS6_10device_ptrIKxEEEESL_NS6_8equal_toIxEEEENSG_9not_fun_tINSD_8identityEEEEENSD_19counting_iterator_tIlEES8_S8_S8_S8_S8_S8_S8_S8_EEEEPS9_S9_NSD_9__find_if7functorIS9_EEEE10hipError_tPvRmT1_T2_T3_mT4_P12ihipStream_tbEUlT_E0_NS1_11comp_targetILNS1_3genE10ELNS1_11target_archE1200ELNS1_3gpuE4ELNS1_3repE0EEENS1_30default_config_static_selectorELNS0_4arch9wavefront6targetE1EEEvS14_
                                        ; -- End function
	.section	.AMDGPU.csdata,"",@progbits
; Kernel info:
; codeLenInByte = 0
; NumSgprs: 4
; NumVgprs: 0
; NumAgprs: 0
; TotalNumVgprs: 0
; ScratchSize: 0
; MemoryBound: 0
; FloatMode: 240
; IeeeMode: 1
; LDSByteSize: 0 bytes/workgroup (compile time only)
; SGPRBlocks: 0
; VGPRBlocks: 0
; NumSGPRsForWavesPerEU: 4
; NumVGPRsForWavesPerEU: 1
; AccumOffset: 4
; Occupancy: 8
; WaveLimiterHint : 0
; COMPUTE_PGM_RSRC2:SCRATCH_EN: 0
; COMPUTE_PGM_RSRC2:USER_SGPR: 6
; COMPUTE_PGM_RSRC2:TRAP_HANDLER: 0
; COMPUTE_PGM_RSRC2:TGID_X_EN: 1
; COMPUTE_PGM_RSRC2:TGID_Y_EN: 0
; COMPUTE_PGM_RSRC2:TGID_Z_EN: 0
; COMPUTE_PGM_RSRC2:TIDIG_COMP_CNT: 0
; COMPUTE_PGM_RSRC3_GFX90A:ACCUM_OFFSET: 0
; COMPUTE_PGM_RSRC3_GFX90A:TG_SPLIT: 0
	.section	.text._ZN7rocprim17ROCPRIM_400000_NS6detail17trampoline_kernelINS0_14default_configENS1_22reduce_config_selectorIN6thrust23THRUST_200600_302600_NS5tupleIblNS6_9null_typeES8_S8_S8_S8_S8_S8_S8_EEEEZNS1_11reduce_implILb1ES3_NS6_12zip_iteratorINS7_INS6_11hip_rocprim26transform_input_iterator_tIbNSD_35transform_pair_of_input_iterators_tIbNS6_6detail15normal_iteratorINS6_10device_ptrIKxEEEESL_NS6_8equal_toIxEEEENSG_9not_fun_tINSD_8identityEEEEENSD_19counting_iterator_tIlEES8_S8_S8_S8_S8_S8_S8_S8_EEEEPS9_S9_NSD_9__find_if7functorIS9_EEEE10hipError_tPvRmT1_T2_T3_mT4_P12ihipStream_tbEUlT_E0_NS1_11comp_targetILNS1_3genE9ELNS1_11target_archE1100ELNS1_3gpuE3ELNS1_3repE0EEENS1_30default_config_static_selectorELNS0_4arch9wavefront6targetE1EEEvS14_,"axG",@progbits,_ZN7rocprim17ROCPRIM_400000_NS6detail17trampoline_kernelINS0_14default_configENS1_22reduce_config_selectorIN6thrust23THRUST_200600_302600_NS5tupleIblNS6_9null_typeES8_S8_S8_S8_S8_S8_S8_EEEEZNS1_11reduce_implILb1ES3_NS6_12zip_iteratorINS7_INS6_11hip_rocprim26transform_input_iterator_tIbNSD_35transform_pair_of_input_iterators_tIbNS6_6detail15normal_iteratorINS6_10device_ptrIKxEEEESL_NS6_8equal_toIxEEEENSG_9not_fun_tINSD_8identityEEEEENSD_19counting_iterator_tIlEES8_S8_S8_S8_S8_S8_S8_S8_EEEEPS9_S9_NSD_9__find_if7functorIS9_EEEE10hipError_tPvRmT1_T2_T3_mT4_P12ihipStream_tbEUlT_E0_NS1_11comp_targetILNS1_3genE9ELNS1_11target_archE1100ELNS1_3gpuE3ELNS1_3repE0EEENS1_30default_config_static_selectorELNS0_4arch9wavefront6targetE1EEEvS14_,comdat
	.protected	_ZN7rocprim17ROCPRIM_400000_NS6detail17trampoline_kernelINS0_14default_configENS1_22reduce_config_selectorIN6thrust23THRUST_200600_302600_NS5tupleIblNS6_9null_typeES8_S8_S8_S8_S8_S8_S8_EEEEZNS1_11reduce_implILb1ES3_NS6_12zip_iteratorINS7_INS6_11hip_rocprim26transform_input_iterator_tIbNSD_35transform_pair_of_input_iterators_tIbNS6_6detail15normal_iteratorINS6_10device_ptrIKxEEEESL_NS6_8equal_toIxEEEENSG_9not_fun_tINSD_8identityEEEEENSD_19counting_iterator_tIlEES8_S8_S8_S8_S8_S8_S8_S8_EEEEPS9_S9_NSD_9__find_if7functorIS9_EEEE10hipError_tPvRmT1_T2_T3_mT4_P12ihipStream_tbEUlT_E0_NS1_11comp_targetILNS1_3genE9ELNS1_11target_archE1100ELNS1_3gpuE3ELNS1_3repE0EEENS1_30default_config_static_selectorELNS0_4arch9wavefront6targetE1EEEvS14_ ; -- Begin function _ZN7rocprim17ROCPRIM_400000_NS6detail17trampoline_kernelINS0_14default_configENS1_22reduce_config_selectorIN6thrust23THRUST_200600_302600_NS5tupleIblNS6_9null_typeES8_S8_S8_S8_S8_S8_S8_EEEEZNS1_11reduce_implILb1ES3_NS6_12zip_iteratorINS7_INS6_11hip_rocprim26transform_input_iterator_tIbNSD_35transform_pair_of_input_iterators_tIbNS6_6detail15normal_iteratorINS6_10device_ptrIKxEEEESL_NS6_8equal_toIxEEEENSG_9not_fun_tINSD_8identityEEEEENSD_19counting_iterator_tIlEES8_S8_S8_S8_S8_S8_S8_S8_EEEEPS9_S9_NSD_9__find_if7functorIS9_EEEE10hipError_tPvRmT1_T2_T3_mT4_P12ihipStream_tbEUlT_E0_NS1_11comp_targetILNS1_3genE9ELNS1_11target_archE1100ELNS1_3gpuE3ELNS1_3repE0EEENS1_30default_config_static_selectorELNS0_4arch9wavefront6targetE1EEEvS14_
	.globl	_ZN7rocprim17ROCPRIM_400000_NS6detail17trampoline_kernelINS0_14default_configENS1_22reduce_config_selectorIN6thrust23THRUST_200600_302600_NS5tupleIblNS6_9null_typeES8_S8_S8_S8_S8_S8_S8_EEEEZNS1_11reduce_implILb1ES3_NS6_12zip_iteratorINS7_INS6_11hip_rocprim26transform_input_iterator_tIbNSD_35transform_pair_of_input_iterators_tIbNS6_6detail15normal_iteratorINS6_10device_ptrIKxEEEESL_NS6_8equal_toIxEEEENSG_9not_fun_tINSD_8identityEEEEENSD_19counting_iterator_tIlEES8_S8_S8_S8_S8_S8_S8_S8_EEEEPS9_S9_NSD_9__find_if7functorIS9_EEEE10hipError_tPvRmT1_T2_T3_mT4_P12ihipStream_tbEUlT_E0_NS1_11comp_targetILNS1_3genE9ELNS1_11target_archE1100ELNS1_3gpuE3ELNS1_3repE0EEENS1_30default_config_static_selectorELNS0_4arch9wavefront6targetE1EEEvS14_
	.p2align	8
	.type	_ZN7rocprim17ROCPRIM_400000_NS6detail17trampoline_kernelINS0_14default_configENS1_22reduce_config_selectorIN6thrust23THRUST_200600_302600_NS5tupleIblNS6_9null_typeES8_S8_S8_S8_S8_S8_S8_EEEEZNS1_11reduce_implILb1ES3_NS6_12zip_iteratorINS7_INS6_11hip_rocprim26transform_input_iterator_tIbNSD_35transform_pair_of_input_iterators_tIbNS6_6detail15normal_iteratorINS6_10device_ptrIKxEEEESL_NS6_8equal_toIxEEEENSG_9not_fun_tINSD_8identityEEEEENSD_19counting_iterator_tIlEES8_S8_S8_S8_S8_S8_S8_S8_EEEEPS9_S9_NSD_9__find_if7functorIS9_EEEE10hipError_tPvRmT1_T2_T3_mT4_P12ihipStream_tbEUlT_E0_NS1_11comp_targetILNS1_3genE9ELNS1_11target_archE1100ELNS1_3gpuE3ELNS1_3repE0EEENS1_30default_config_static_selectorELNS0_4arch9wavefront6targetE1EEEvS14_,@function
_ZN7rocprim17ROCPRIM_400000_NS6detail17trampoline_kernelINS0_14default_configENS1_22reduce_config_selectorIN6thrust23THRUST_200600_302600_NS5tupleIblNS6_9null_typeES8_S8_S8_S8_S8_S8_S8_EEEEZNS1_11reduce_implILb1ES3_NS6_12zip_iteratorINS7_INS6_11hip_rocprim26transform_input_iterator_tIbNSD_35transform_pair_of_input_iterators_tIbNS6_6detail15normal_iteratorINS6_10device_ptrIKxEEEESL_NS6_8equal_toIxEEEENSG_9not_fun_tINSD_8identityEEEEENSD_19counting_iterator_tIlEES8_S8_S8_S8_S8_S8_S8_S8_EEEEPS9_S9_NSD_9__find_if7functorIS9_EEEE10hipError_tPvRmT1_T2_T3_mT4_P12ihipStream_tbEUlT_E0_NS1_11comp_targetILNS1_3genE9ELNS1_11target_archE1100ELNS1_3gpuE3ELNS1_3repE0EEENS1_30default_config_static_selectorELNS0_4arch9wavefront6targetE1EEEvS14_: ; @_ZN7rocprim17ROCPRIM_400000_NS6detail17trampoline_kernelINS0_14default_configENS1_22reduce_config_selectorIN6thrust23THRUST_200600_302600_NS5tupleIblNS6_9null_typeES8_S8_S8_S8_S8_S8_S8_EEEEZNS1_11reduce_implILb1ES3_NS6_12zip_iteratorINS7_INS6_11hip_rocprim26transform_input_iterator_tIbNSD_35transform_pair_of_input_iterators_tIbNS6_6detail15normal_iteratorINS6_10device_ptrIKxEEEESL_NS6_8equal_toIxEEEENSG_9not_fun_tINSD_8identityEEEEENSD_19counting_iterator_tIlEES8_S8_S8_S8_S8_S8_S8_S8_EEEEPS9_S9_NSD_9__find_if7functorIS9_EEEE10hipError_tPvRmT1_T2_T3_mT4_P12ihipStream_tbEUlT_E0_NS1_11comp_targetILNS1_3genE9ELNS1_11target_archE1100ELNS1_3gpuE3ELNS1_3repE0EEENS1_30default_config_static_selectorELNS0_4arch9wavefront6targetE1EEEvS14_
; %bb.0:
	.section	.rodata,"a",@progbits
	.p2align	6, 0x0
	.amdhsa_kernel _ZN7rocprim17ROCPRIM_400000_NS6detail17trampoline_kernelINS0_14default_configENS1_22reduce_config_selectorIN6thrust23THRUST_200600_302600_NS5tupleIblNS6_9null_typeES8_S8_S8_S8_S8_S8_S8_EEEEZNS1_11reduce_implILb1ES3_NS6_12zip_iteratorINS7_INS6_11hip_rocprim26transform_input_iterator_tIbNSD_35transform_pair_of_input_iterators_tIbNS6_6detail15normal_iteratorINS6_10device_ptrIKxEEEESL_NS6_8equal_toIxEEEENSG_9not_fun_tINSD_8identityEEEEENSD_19counting_iterator_tIlEES8_S8_S8_S8_S8_S8_S8_S8_EEEEPS9_S9_NSD_9__find_if7functorIS9_EEEE10hipError_tPvRmT1_T2_T3_mT4_P12ihipStream_tbEUlT_E0_NS1_11comp_targetILNS1_3genE9ELNS1_11target_archE1100ELNS1_3gpuE3ELNS1_3repE0EEENS1_30default_config_static_selectorELNS0_4arch9wavefront6targetE1EEEvS14_
		.amdhsa_group_segment_fixed_size 0
		.amdhsa_private_segment_fixed_size 0
		.amdhsa_kernarg_size 104
		.amdhsa_user_sgpr_count 6
		.amdhsa_user_sgpr_private_segment_buffer 1
		.amdhsa_user_sgpr_dispatch_ptr 0
		.amdhsa_user_sgpr_queue_ptr 0
		.amdhsa_user_sgpr_kernarg_segment_ptr 1
		.amdhsa_user_sgpr_dispatch_id 0
		.amdhsa_user_sgpr_flat_scratch_init 0
		.amdhsa_user_sgpr_kernarg_preload_length 0
		.amdhsa_user_sgpr_kernarg_preload_offset 0
		.amdhsa_user_sgpr_private_segment_size 0
		.amdhsa_uses_dynamic_stack 0
		.amdhsa_system_sgpr_private_segment_wavefront_offset 0
		.amdhsa_system_sgpr_workgroup_id_x 1
		.amdhsa_system_sgpr_workgroup_id_y 0
		.amdhsa_system_sgpr_workgroup_id_z 0
		.amdhsa_system_sgpr_workgroup_info 0
		.amdhsa_system_vgpr_workitem_id 0
		.amdhsa_next_free_vgpr 1
		.amdhsa_next_free_sgpr 0
		.amdhsa_accum_offset 4
		.amdhsa_reserve_vcc 0
		.amdhsa_reserve_flat_scratch 0
		.amdhsa_float_round_mode_32 0
		.amdhsa_float_round_mode_16_64 0
		.amdhsa_float_denorm_mode_32 3
		.amdhsa_float_denorm_mode_16_64 3
		.amdhsa_dx10_clamp 1
		.amdhsa_ieee_mode 1
		.amdhsa_fp16_overflow 0
		.amdhsa_tg_split 0
		.amdhsa_exception_fp_ieee_invalid_op 0
		.amdhsa_exception_fp_denorm_src 0
		.amdhsa_exception_fp_ieee_div_zero 0
		.amdhsa_exception_fp_ieee_overflow 0
		.amdhsa_exception_fp_ieee_underflow 0
		.amdhsa_exception_fp_ieee_inexact 0
		.amdhsa_exception_int_div_zero 0
	.end_amdhsa_kernel
	.section	.text._ZN7rocprim17ROCPRIM_400000_NS6detail17trampoline_kernelINS0_14default_configENS1_22reduce_config_selectorIN6thrust23THRUST_200600_302600_NS5tupleIblNS6_9null_typeES8_S8_S8_S8_S8_S8_S8_EEEEZNS1_11reduce_implILb1ES3_NS6_12zip_iteratorINS7_INS6_11hip_rocprim26transform_input_iterator_tIbNSD_35transform_pair_of_input_iterators_tIbNS6_6detail15normal_iteratorINS6_10device_ptrIKxEEEESL_NS6_8equal_toIxEEEENSG_9not_fun_tINSD_8identityEEEEENSD_19counting_iterator_tIlEES8_S8_S8_S8_S8_S8_S8_S8_EEEEPS9_S9_NSD_9__find_if7functorIS9_EEEE10hipError_tPvRmT1_T2_T3_mT4_P12ihipStream_tbEUlT_E0_NS1_11comp_targetILNS1_3genE9ELNS1_11target_archE1100ELNS1_3gpuE3ELNS1_3repE0EEENS1_30default_config_static_selectorELNS0_4arch9wavefront6targetE1EEEvS14_,"axG",@progbits,_ZN7rocprim17ROCPRIM_400000_NS6detail17trampoline_kernelINS0_14default_configENS1_22reduce_config_selectorIN6thrust23THRUST_200600_302600_NS5tupleIblNS6_9null_typeES8_S8_S8_S8_S8_S8_S8_EEEEZNS1_11reduce_implILb1ES3_NS6_12zip_iteratorINS7_INS6_11hip_rocprim26transform_input_iterator_tIbNSD_35transform_pair_of_input_iterators_tIbNS6_6detail15normal_iteratorINS6_10device_ptrIKxEEEESL_NS6_8equal_toIxEEEENSG_9not_fun_tINSD_8identityEEEEENSD_19counting_iterator_tIlEES8_S8_S8_S8_S8_S8_S8_S8_EEEEPS9_S9_NSD_9__find_if7functorIS9_EEEE10hipError_tPvRmT1_T2_T3_mT4_P12ihipStream_tbEUlT_E0_NS1_11comp_targetILNS1_3genE9ELNS1_11target_archE1100ELNS1_3gpuE3ELNS1_3repE0EEENS1_30default_config_static_selectorELNS0_4arch9wavefront6targetE1EEEvS14_,comdat
.Lfunc_end112:
	.size	_ZN7rocprim17ROCPRIM_400000_NS6detail17trampoline_kernelINS0_14default_configENS1_22reduce_config_selectorIN6thrust23THRUST_200600_302600_NS5tupleIblNS6_9null_typeES8_S8_S8_S8_S8_S8_S8_EEEEZNS1_11reduce_implILb1ES3_NS6_12zip_iteratorINS7_INS6_11hip_rocprim26transform_input_iterator_tIbNSD_35transform_pair_of_input_iterators_tIbNS6_6detail15normal_iteratorINS6_10device_ptrIKxEEEESL_NS6_8equal_toIxEEEENSG_9not_fun_tINSD_8identityEEEEENSD_19counting_iterator_tIlEES8_S8_S8_S8_S8_S8_S8_S8_EEEEPS9_S9_NSD_9__find_if7functorIS9_EEEE10hipError_tPvRmT1_T2_T3_mT4_P12ihipStream_tbEUlT_E0_NS1_11comp_targetILNS1_3genE9ELNS1_11target_archE1100ELNS1_3gpuE3ELNS1_3repE0EEENS1_30default_config_static_selectorELNS0_4arch9wavefront6targetE1EEEvS14_, .Lfunc_end112-_ZN7rocprim17ROCPRIM_400000_NS6detail17trampoline_kernelINS0_14default_configENS1_22reduce_config_selectorIN6thrust23THRUST_200600_302600_NS5tupleIblNS6_9null_typeES8_S8_S8_S8_S8_S8_S8_EEEEZNS1_11reduce_implILb1ES3_NS6_12zip_iteratorINS7_INS6_11hip_rocprim26transform_input_iterator_tIbNSD_35transform_pair_of_input_iterators_tIbNS6_6detail15normal_iteratorINS6_10device_ptrIKxEEEESL_NS6_8equal_toIxEEEENSG_9not_fun_tINSD_8identityEEEEENSD_19counting_iterator_tIlEES8_S8_S8_S8_S8_S8_S8_S8_EEEEPS9_S9_NSD_9__find_if7functorIS9_EEEE10hipError_tPvRmT1_T2_T3_mT4_P12ihipStream_tbEUlT_E0_NS1_11comp_targetILNS1_3genE9ELNS1_11target_archE1100ELNS1_3gpuE3ELNS1_3repE0EEENS1_30default_config_static_selectorELNS0_4arch9wavefront6targetE1EEEvS14_
                                        ; -- End function
	.section	.AMDGPU.csdata,"",@progbits
; Kernel info:
; codeLenInByte = 0
; NumSgprs: 4
; NumVgprs: 0
; NumAgprs: 0
; TotalNumVgprs: 0
; ScratchSize: 0
; MemoryBound: 0
; FloatMode: 240
; IeeeMode: 1
; LDSByteSize: 0 bytes/workgroup (compile time only)
; SGPRBlocks: 0
; VGPRBlocks: 0
; NumSGPRsForWavesPerEU: 4
; NumVGPRsForWavesPerEU: 1
; AccumOffset: 4
; Occupancy: 8
; WaveLimiterHint : 0
; COMPUTE_PGM_RSRC2:SCRATCH_EN: 0
; COMPUTE_PGM_RSRC2:USER_SGPR: 6
; COMPUTE_PGM_RSRC2:TRAP_HANDLER: 0
; COMPUTE_PGM_RSRC2:TGID_X_EN: 1
; COMPUTE_PGM_RSRC2:TGID_Y_EN: 0
; COMPUTE_PGM_RSRC2:TGID_Z_EN: 0
; COMPUTE_PGM_RSRC2:TIDIG_COMP_CNT: 0
; COMPUTE_PGM_RSRC3_GFX90A:ACCUM_OFFSET: 0
; COMPUTE_PGM_RSRC3_GFX90A:TG_SPLIT: 0
	.section	.text._ZN7rocprim17ROCPRIM_400000_NS6detail17trampoline_kernelINS0_14default_configENS1_22reduce_config_selectorIN6thrust23THRUST_200600_302600_NS5tupleIblNS6_9null_typeES8_S8_S8_S8_S8_S8_S8_EEEEZNS1_11reduce_implILb1ES3_NS6_12zip_iteratorINS7_INS6_11hip_rocprim26transform_input_iterator_tIbNSD_35transform_pair_of_input_iterators_tIbNS6_6detail15normal_iteratorINS6_10device_ptrIKxEEEESL_NS6_8equal_toIxEEEENSG_9not_fun_tINSD_8identityEEEEENSD_19counting_iterator_tIlEES8_S8_S8_S8_S8_S8_S8_S8_EEEEPS9_S9_NSD_9__find_if7functorIS9_EEEE10hipError_tPvRmT1_T2_T3_mT4_P12ihipStream_tbEUlT_E0_NS1_11comp_targetILNS1_3genE8ELNS1_11target_archE1030ELNS1_3gpuE2ELNS1_3repE0EEENS1_30default_config_static_selectorELNS0_4arch9wavefront6targetE1EEEvS14_,"axG",@progbits,_ZN7rocprim17ROCPRIM_400000_NS6detail17trampoline_kernelINS0_14default_configENS1_22reduce_config_selectorIN6thrust23THRUST_200600_302600_NS5tupleIblNS6_9null_typeES8_S8_S8_S8_S8_S8_S8_EEEEZNS1_11reduce_implILb1ES3_NS6_12zip_iteratorINS7_INS6_11hip_rocprim26transform_input_iterator_tIbNSD_35transform_pair_of_input_iterators_tIbNS6_6detail15normal_iteratorINS6_10device_ptrIKxEEEESL_NS6_8equal_toIxEEEENSG_9not_fun_tINSD_8identityEEEEENSD_19counting_iterator_tIlEES8_S8_S8_S8_S8_S8_S8_S8_EEEEPS9_S9_NSD_9__find_if7functorIS9_EEEE10hipError_tPvRmT1_T2_T3_mT4_P12ihipStream_tbEUlT_E0_NS1_11comp_targetILNS1_3genE8ELNS1_11target_archE1030ELNS1_3gpuE2ELNS1_3repE0EEENS1_30default_config_static_selectorELNS0_4arch9wavefront6targetE1EEEvS14_,comdat
	.protected	_ZN7rocprim17ROCPRIM_400000_NS6detail17trampoline_kernelINS0_14default_configENS1_22reduce_config_selectorIN6thrust23THRUST_200600_302600_NS5tupleIblNS6_9null_typeES8_S8_S8_S8_S8_S8_S8_EEEEZNS1_11reduce_implILb1ES3_NS6_12zip_iteratorINS7_INS6_11hip_rocprim26transform_input_iterator_tIbNSD_35transform_pair_of_input_iterators_tIbNS6_6detail15normal_iteratorINS6_10device_ptrIKxEEEESL_NS6_8equal_toIxEEEENSG_9not_fun_tINSD_8identityEEEEENSD_19counting_iterator_tIlEES8_S8_S8_S8_S8_S8_S8_S8_EEEEPS9_S9_NSD_9__find_if7functorIS9_EEEE10hipError_tPvRmT1_T2_T3_mT4_P12ihipStream_tbEUlT_E0_NS1_11comp_targetILNS1_3genE8ELNS1_11target_archE1030ELNS1_3gpuE2ELNS1_3repE0EEENS1_30default_config_static_selectorELNS0_4arch9wavefront6targetE1EEEvS14_ ; -- Begin function _ZN7rocprim17ROCPRIM_400000_NS6detail17trampoline_kernelINS0_14default_configENS1_22reduce_config_selectorIN6thrust23THRUST_200600_302600_NS5tupleIblNS6_9null_typeES8_S8_S8_S8_S8_S8_S8_EEEEZNS1_11reduce_implILb1ES3_NS6_12zip_iteratorINS7_INS6_11hip_rocprim26transform_input_iterator_tIbNSD_35transform_pair_of_input_iterators_tIbNS6_6detail15normal_iteratorINS6_10device_ptrIKxEEEESL_NS6_8equal_toIxEEEENSG_9not_fun_tINSD_8identityEEEEENSD_19counting_iterator_tIlEES8_S8_S8_S8_S8_S8_S8_S8_EEEEPS9_S9_NSD_9__find_if7functorIS9_EEEE10hipError_tPvRmT1_T2_T3_mT4_P12ihipStream_tbEUlT_E0_NS1_11comp_targetILNS1_3genE8ELNS1_11target_archE1030ELNS1_3gpuE2ELNS1_3repE0EEENS1_30default_config_static_selectorELNS0_4arch9wavefront6targetE1EEEvS14_
	.globl	_ZN7rocprim17ROCPRIM_400000_NS6detail17trampoline_kernelINS0_14default_configENS1_22reduce_config_selectorIN6thrust23THRUST_200600_302600_NS5tupleIblNS6_9null_typeES8_S8_S8_S8_S8_S8_S8_EEEEZNS1_11reduce_implILb1ES3_NS6_12zip_iteratorINS7_INS6_11hip_rocprim26transform_input_iterator_tIbNSD_35transform_pair_of_input_iterators_tIbNS6_6detail15normal_iteratorINS6_10device_ptrIKxEEEESL_NS6_8equal_toIxEEEENSG_9not_fun_tINSD_8identityEEEEENSD_19counting_iterator_tIlEES8_S8_S8_S8_S8_S8_S8_S8_EEEEPS9_S9_NSD_9__find_if7functorIS9_EEEE10hipError_tPvRmT1_T2_T3_mT4_P12ihipStream_tbEUlT_E0_NS1_11comp_targetILNS1_3genE8ELNS1_11target_archE1030ELNS1_3gpuE2ELNS1_3repE0EEENS1_30default_config_static_selectorELNS0_4arch9wavefront6targetE1EEEvS14_
	.p2align	8
	.type	_ZN7rocprim17ROCPRIM_400000_NS6detail17trampoline_kernelINS0_14default_configENS1_22reduce_config_selectorIN6thrust23THRUST_200600_302600_NS5tupleIblNS6_9null_typeES8_S8_S8_S8_S8_S8_S8_EEEEZNS1_11reduce_implILb1ES3_NS6_12zip_iteratorINS7_INS6_11hip_rocprim26transform_input_iterator_tIbNSD_35transform_pair_of_input_iterators_tIbNS6_6detail15normal_iteratorINS6_10device_ptrIKxEEEESL_NS6_8equal_toIxEEEENSG_9not_fun_tINSD_8identityEEEEENSD_19counting_iterator_tIlEES8_S8_S8_S8_S8_S8_S8_S8_EEEEPS9_S9_NSD_9__find_if7functorIS9_EEEE10hipError_tPvRmT1_T2_T3_mT4_P12ihipStream_tbEUlT_E0_NS1_11comp_targetILNS1_3genE8ELNS1_11target_archE1030ELNS1_3gpuE2ELNS1_3repE0EEENS1_30default_config_static_selectorELNS0_4arch9wavefront6targetE1EEEvS14_,@function
_ZN7rocprim17ROCPRIM_400000_NS6detail17trampoline_kernelINS0_14default_configENS1_22reduce_config_selectorIN6thrust23THRUST_200600_302600_NS5tupleIblNS6_9null_typeES8_S8_S8_S8_S8_S8_S8_EEEEZNS1_11reduce_implILb1ES3_NS6_12zip_iteratorINS7_INS6_11hip_rocprim26transform_input_iterator_tIbNSD_35transform_pair_of_input_iterators_tIbNS6_6detail15normal_iteratorINS6_10device_ptrIKxEEEESL_NS6_8equal_toIxEEEENSG_9not_fun_tINSD_8identityEEEEENSD_19counting_iterator_tIlEES8_S8_S8_S8_S8_S8_S8_S8_EEEEPS9_S9_NSD_9__find_if7functorIS9_EEEE10hipError_tPvRmT1_T2_T3_mT4_P12ihipStream_tbEUlT_E0_NS1_11comp_targetILNS1_3genE8ELNS1_11target_archE1030ELNS1_3gpuE2ELNS1_3repE0EEENS1_30default_config_static_selectorELNS0_4arch9wavefront6targetE1EEEvS14_: ; @_ZN7rocprim17ROCPRIM_400000_NS6detail17trampoline_kernelINS0_14default_configENS1_22reduce_config_selectorIN6thrust23THRUST_200600_302600_NS5tupleIblNS6_9null_typeES8_S8_S8_S8_S8_S8_S8_EEEEZNS1_11reduce_implILb1ES3_NS6_12zip_iteratorINS7_INS6_11hip_rocprim26transform_input_iterator_tIbNSD_35transform_pair_of_input_iterators_tIbNS6_6detail15normal_iteratorINS6_10device_ptrIKxEEEESL_NS6_8equal_toIxEEEENSG_9not_fun_tINSD_8identityEEEEENSD_19counting_iterator_tIlEES8_S8_S8_S8_S8_S8_S8_S8_EEEEPS9_S9_NSD_9__find_if7functorIS9_EEEE10hipError_tPvRmT1_T2_T3_mT4_P12ihipStream_tbEUlT_E0_NS1_11comp_targetILNS1_3genE8ELNS1_11target_archE1030ELNS1_3gpuE2ELNS1_3repE0EEENS1_30default_config_static_selectorELNS0_4arch9wavefront6targetE1EEEvS14_
; %bb.0:
	.section	.rodata,"a",@progbits
	.p2align	6, 0x0
	.amdhsa_kernel _ZN7rocprim17ROCPRIM_400000_NS6detail17trampoline_kernelINS0_14default_configENS1_22reduce_config_selectorIN6thrust23THRUST_200600_302600_NS5tupleIblNS6_9null_typeES8_S8_S8_S8_S8_S8_S8_EEEEZNS1_11reduce_implILb1ES3_NS6_12zip_iteratorINS7_INS6_11hip_rocprim26transform_input_iterator_tIbNSD_35transform_pair_of_input_iterators_tIbNS6_6detail15normal_iteratorINS6_10device_ptrIKxEEEESL_NS6_8equal_toIxEEEENSG_9not_fun_tINSD_8identityEEEEENSD_19counting_iterator_tIlEES8_S8_S8_S8_S8_S8_S8_S8_EEEEPS9_S9_NSD_9__find_if7functorIS9_EEEE10hipError_tPvRmT1_T2_T3_mT4_P12ihipStream_tbEUlT_E0_NS1_11comp_targetILNS1_3genE8ELNS1_11target_archE1030ELNS1_3gpuE2ELNS1_3repE0EEENS1_30default_config_static_selectorELNS0_4arch9wavefront6targetE1EEEvS14_
		.amdhsa_group_segment_fixed_size 0
		.amdhsa_private_segment_fixed_size 0
		.amdhsa_kernarg_size 104
		.amdhsa_user_sgpr_count 6
		.amdhsa_user_sgpr_private_segment_buffer 1
		.amdhsa_user_sgpr_dispatch_ptr 0
		.amdhsa_user_sgpr_queue_ptr 0
		.amdhsa_user_sgpr_kernarg_segment_ptr 1
		.amdhsa_user_sgpr_dispatch_id 0
		.amdhsa_user_sgpr_flat_scratch_init 0
		.amdhsa_user_sgpr_kernarg_preload_length 0
		.amdhsa_user_sgpr_kernarg_preload_offset 0
		.amdhsa_user_sgpr_private_segment_size 0
		.amdhsa_uses_dynamic_stack 0
		.amdhsa_system_sgpr_private_segment_wavefront_offset 0
		.amdhsa_system_sgpr_workgroup_id_x 1
		.amdhsa_system_sgpr_workgroup_id_y 0
		.amdhsa_system_sgpr_workgroup_id_z 0
		.amdhsa_system_sgpr_workgroup_info 0
		.amdhsa_system_vgpr_workitem_id 0
		.amdhsa_next_free_vgpr 1
		.amdhsa_next_free_sgpr 0
		.amdhsa_accum_offset 4
		.amdhsa_reserve_vcc 0
		.amdhsa_reserve_flat_scratch 0
		.amdhsa_float_round_mode_32 0
		.amdhsa_float_round_mode_16_64 0
		.amdhsa_float_denorm_mode_32 3
		.amdhsa_float_denorm_mode_16_64 3
		.amdhsa_dx10_clamp 1
		.amdhsa_ieee_mode 1
		.amdhsa_fp16_overflow 0
		.amdhsa_tg_split 0
		.amdhsa_exception_fp_ieee_invalid_op 0
		.amdhsa_exception_fp_denorm_src 0
		.amdhsa_exception_fp_ieee_div_zero 0
		.amdhsa_exception_fp_ieee_overflow 0
		.amdhsa_exception_fp_ieee_underflow 0
		.amdhsa_exception_fp_ieee_inexact 0
		.amdhsa_exception_int_div_zero 0
	.end_amdhsa_kernel
	.section	.text._ZN7rocprim17ROCPRIM_400000_NS6detail17trampoline_kernelINS0_14default_configENS1_22reduce_config_selectorIN6thrust23THRUST_200600_302600_NS5tupleIblNS6_9null_typeES8_S8_S8_S8_S8_S8_S8_EEEEZNS1_11reduce_implILb1ES3_NS6_12zip_iteratorINS7_INS6_11hip_rocprim26transform_input_iterator_tIbNSD_35transform_pair_of_input_iterators_tIbNS6_6detail15normal_iteratorINS6_10device_ptrIKxEEEESL_NS6_8equal_toIxEEEENSG_9not_fun_tINSD_8identityEEEEENSD_19counting_iterator_tIlEES8_S8_S8_S8_S8_S8_S8_S8_EEEEPS9_S9_NSD_9__find_if7functorIS9_EEEE10hipError_tPvRmT1_T2_T3_mT4_P12ihipStream_tbEUlT_E0_NS1_11comp_targetILNS1_3genE8ELNS1_11target_archE1030ELNS1_3gpuE2ELNS1_3repE0EEENS1_30default_config_static_selectorELNS0_4arch9wavefront6targetE1EEEvS14_,"axG",@progbits,_ZN7rocprim17ROCPRIM_400000_NS6detail17trampoline_kernelINS0_14default_configENS1_22reduce_config_selectorIN6thrust23THRUST_200600_302600_NS5tupleIblNS6_9null_typeES8_S8_S8_S8_S8_S8_S8_EEEEZNS1_11reduce_implILb1ES3_NS6_12zip_iteratorINS7_INS6_11hip_rocprim26transform_input_iterator_tIbNSD_35transform_pair_of_input_iterators_tIbNS6_6detail15normal_iteratorINS6_10device_ptrIKxEEEESL_NS6_8equal_toIxEEEENSG_9not_fun_tINSD_8identityEEEEENSD_19counting_iterator_tIlEES8_S8_S8_S8_S8_S8_S8_S8_EEEEPS9_S9_NSD_9__find_if7functorIS9_EEEE10hipError_tPvRmT1_T2_T3_mT4_P12ihipStream_tbEUlT_E0_NS1_11comp_targetILNS1_3genE8ELNS1_11target_archE1030ELNS1_3gpuE2ELNS1_3repE0EEENS1_30default_config_static_selectorELNS0_4arch9wavefront6targetE1EEEvS14_,comdat
.Lfunc_end113:
	.size	_ZN7rocprim17ROCPRIM_400000_NS6detail17trampoline_kernelINS0_14default_configENS1_22reduce_config_selectorIN6thrust23THRUST_200600_302600_NS5tupleIblNS6_9null_typeES8_S8_S8_S8_S8_S8_S8_EEEEZNS1_11reduce_implILb1ES3_NS6_12zip_iteratorINS7_INS6_11hip_rocprim26transform_input_iterator_tIbNSD_35transform_pair_of_input_iterators_tIbNS6_6detail15normal_iteratorINS6_10device_ptrIKxEEEESL_NS6_8equal_toIxEEEENSG_9not_fun_tINSD_8identityEEEEENSD_19counting_iterator_tIlEES8_S8_S8_S8_S8_S8_S8_S8_EEEEPS9_S9_NSD_9__find_if7functorIS9_EEEE10hipError_tPvRmT1_T2_T3_mT4_P12ihipStream_tbEUlT_E0_NS1_11comp_targetILNS1_3genE8ELNS1_11target_archE1030ELNS1_3gpuE2ELNS1_3repE0EEENS1_30default_config_static_selectorELNS0_4arch9wavefront6targetE1EEEvS14_, .Lfunc_end113-_ZN7rocprim17ROCPRIM_400000_NS6detail17trampoline_kernelINS0_14default_configENS1_22reduce_config_selectorIN6thrust23THRUST_200600_302600_NS5tupleIblNS6_9null_typeES8_S8_S8_S8_S8_S8_S8_EEEEZNS1_11reduce_implILb1ES3_NS6_12zip_iteratorINS7_INS6_11hip_rocprim26transform_input_iterator_tIbNSD_35transform_pair_of_input_iterators_tIbNS6_6detail15normal_iteratorINS6_10device_ptrIKxEEEESL_NS6_8equal_toIxEEEENSG_9not_fun_tINSD_8identityEEEEENSD_19counting_iterator_tIlEES8_S8_S8_S8_S8_S8_S8_S8_EEEEPS9_S9_NSD_9__find_if7functorIS9_EEEE10hipError_tPvRmT1_T2_T3_mT4_P12ihipStream_tbEUlT_E0_NS1_11comp_targetILNS1_3genE8ELNS1_11target_archE1030ELNS1_3gpuE2ELNS1_3repE0EEENS1_30default_config_static_selectorELNS0_4arch9wavefront6targetE1EEEvS14_
                                        ; -- End function
	.section	.AMDGPU.csdata,"",@progbits
; Kernel info:
; codeLenInByte = 0
; NumSgprs: 4
; NumVgprs: 0
; NumAgprs: 0
; TotalNumVgprs: 0
; ScratchSize: 0
; MemoryBound: 0
; FloatMode: 240
; IeeeMode: 1
; LDSByteSize: 0 bytes/workgroup (compile time only)
; SGPRBlocks: 0
; VGPRBlocks: 0
; NumSGPRsForWavesPerEU: 4
; NumVGPRsForWavesPerEU: 1
; AccumOffset: 4
; Occupancy: 8
; WaveLimiterHint : 0
; COMPUTE_PGM_RSRC2:SCRATCH_EN: 0
; COMPUTE_PGM_RSRC2:USER_SGPR: 6
; COMPUTE_PGM_RSRC2:TRAP_HANDLER: 0
; COMPUTE_PGM_RSRC2:TGID_X_EN: 1
; COMPUTE_PGM_RSRC2:TGID_Y_EN: 0
; COMPUTE_PGM_RSRC2:TGID_Z_EN: 0
; COMPUTE_PGM_RSRC2:TIDIG_COMP_CNT: 0
; COMPUTE_PGM_RSRC3_GFX90A:ACCUM_OFFSET: 0
; COMPUTE_PGM_RSRC3_GFX90A:TG_SPLIT: 0
	.section	.text._ZN7rocprim17ROCPRIM_400000_NS6detail17trampoline_kernelINS0_14default_configENS1_22reduce_config_selectorIN6thrust23THRUST_200600_302600_NS5tupleIblNS6_9null_typeES8_S8_S8_S8_S8_S8_S8_EEEEZNS1_11reduce_implILb1ES3_NS6_12zip_iteratorINS7_INS6_11hip_rocprim26transform_input_iterator_tIbNSD_35transform_pair_of_input_iterators_tIbNS6_6detail15normal_iteratorINS6_10device_ptrIKxEEEESL_NS6_8equal_toIxEEEENSG_9not_fun_tINSD_8identityEEEEENSD_19counting_iterator_tIlEES8_S8_S8_S8_S8_S8_S8_S8_EEEEPS9_S9_NSD_9__find_if7functorIS9_EEEE10hipError_tPvRmT1_T2_T3_mT4_P12ihipStream_tbEUlT_E1_NS1_11comp_targetILNS1_3genE0ELNS1_11target_archE4294967295ELNS1_3gpuE0ELNS1_3repE0EEENS1_30default_config_static_selectorELNS0_4arch9wavefront6targetE1EEEvS14_,"axG",@progbits,_ZN7rocprim17ROCPRIM_400000_NS6detail17trampoline_kernelINS0_14default_configENS1_22reduce_config_selectorIN6thrust23THRUST_200600_302600_NS5tupleIblNS6_9null_typeES8_S8_S8_S8_S8_S8_S8_EEEEZNS1_11reduce_implILb1ES3_NS6_12zip_iteratorINS7_INS6_11hip_rocprim26transform_input_iterator_tIbNSD_35transform_pair_of_input_iterators_tIbNS6_6detail15normal_iteratorINS6_10device_ptrIKxEEEESL_NS6_8equal_toIxEEEENSG_9not_fun_tINSD_8identityEEEEENSD_19counting_iterator_tIlEES8_S8_S8_S8_S8_S8_S8_S8_EEEEPS9_S9_NSD_9__find_if7functorIS9_EEEE10hipError_tPvRmT1_T2_T3_mT4_P12ihipStream_tbEUlT_E1_NS1_11comp_targetILNS1_3genE0ELNS1_11target_archE4294967295ELNS1_3gpuE0ELNS1_3repE0EEENS1_30default_config_static_selectorELNS0_4arch9wavefront6targetE1EEEvS14_,comdat
	.protected	_ZN7rocprim17ROCPRIM_400000_NS6detail17trampoline_kernelINS0_14default_configENS1_22reduce_config_selectorIN6thrust23THRUST_200600_302600_NS5tupleIblNS6_9null_typeES8_S8_S8_S8_S8_S8_S8_EEEEZNS1_11reduce_implILb1ES3_NS6_12zip_iteratorINS7_INS6_11hip_rocprim26transform_input_iterator_tIbNSD_35transform_pair_of_input_iterators_tIbNS6_6detail15normal_iteratorINS6_10device_ptrIKxEEEESL_NS6_8equal_toIxEEEENSG_9not_fun_tINSD_8identityEEEEENSD_19counting_iterator_tIlEES8_S8_S8_S8_S8_S8_S8_S8_EEEEPS9_S9_NSD_9__find_if7functorIS9_EEEE10hipError_tPvRmT1_T2_T3_mT4_P12ihipStream_tbEUlT_E1_NS1_11comp_targetILNS1_3genE0ELNS1_11target_archE4294967295ELNS1_3gpuE0ELNS1_3repE0EEENS1_30default_config_static_selectorELNS0_4arch9wavefront6targetE1EEEvS14_ ; -- Begin function _ZN7rocprim17ROCPRIM_400000_NS6detail17trampoline_kernelINS0_14default_configENS1_22reduce_config_selectorIN6thrust23THRUST_200600_302600_NS5tupleIblNS6_9null_typeES8_S8_S8_S8_S8_S8_S8_EEEEZNS1_11reduce_implILb1ES3_NS6_12zip_iteratorINS7_INS6_11hip_rocprim26transform_input_iterator_tIbNSD_35transform_pair_of_input_iterators_tIbNS6_6detail15normal_iteratorINS6_10device_ptrIKxEEEESL_NS6_8equal_toIxEEEENSG_9not_fun_tINSD_8identityEEEEENSD_19counting_iterator_tIlEES8_S8_S8_S8_S8_S8_S8_S8_EEEEPS9_S9_NSD_9__find_if7functorIS9_EEEE10hipError_tPvRmT1_T2_T3_mT4_P12ihipStream_tbEUlT_E1_NS1_11comp_targetILNS1_3genE0ELNS1_11target_archE4294967295ELNS1_3gpuE0ELNS1_3repE0EEENS1_30default_config_static_selectorELNS0_4arch9wavefront6targetE1EEEvS14_
	.globl	_ZN7rocprim17ROCPRIM_400000_NS6detail17trampoline_kernelINS0_14default_configENS1_22reduce_config_selectorIN6thrust23THRUST_200600_302600_NS5tupleIblNS6_9null_typeES8_S8_S8_S8_S8_S8_S8_EEEEZNS1_11reduce_implILb1ES3_NS6_12zip_iteratorINS7_INS6_11hip_rocprim26transform_input_iterator_tIbNSD_35transform_pair_of_input_iterators_tIbNS6_6detail15normal_iteratorINS6_10device_ptrIKxEEEESL_NS6_8equal_toIxEEEENSG_9not_fun_tINSD_8identityEEEEENSD_19counting_iterator_tIlEES8_S8_S8_S8_S8_S8_S8_S8_EEEEPS9_S9_NSD_9__find_if7functorIS9_EEEE10hipError_tPvRmT1_T2_T3_mT4_P12ihipStream_tbEUlT_E1_NS1_11comp_targetILNS1_3genE0ELNS1_11target_archE4294967295ELNS1_3gpuE0ELNS1_3repE0EEENS1_30default_config_static_selectorELNS0_4arch9wavefront6targetE1EEEvS14_
	.p2align	8
	.type	_ZN7rocprim17ROCPRIM_400000_NS6detail17trampoline_kernelINS0_14default_configENS1_22reduce_config_selectorIN6thrust23THRUST_200600_302600_NS5tupleIblNS6_9null_typeES8_S8_S8_S8_S8_S8_S8_EEEEZNS1_11reduce_implILb1ES3_NS6_12zip_iteratorINS7_INS6_11hip_rocprim26transform_input_iterator_tIbNSD_35transform_pair_of_input_iterators_tIbNS6_6detail15normal_iteratorINS6_10device_ptrIKxEEEESL_NS6_8equal_toIxEEEENSG_9not_fun_tINSD_8identityEEEEENSD_19counting_iterator_tIlEES8_S8_S8_S8_S8_S8_S8_S8_EEEEPS9_S9_NSD_9__find_if7functorIS9_EEEE10hipError_tPvRmT1_T2_T3_mT4_P12ihipStream_tbEUlT_E1_NS1_11comp_targetILNS1_3genE0ELNS1_11target_archE4294967295ELNS1_3gpuE0ELNS1_3repE0EEENS1_30default_config_static_selectorELNS0_4arch9wavefront6targetE1EEEvS14_,@function
_ZN7rocprim17ROCPRIM_400000_NS6detail17trampoline_kernelINS0_14default_configENS1_22reduce_config_selectorIN6thrust23THRUST_200600_302600_NS5tupleIblNS6_9null_typeES8_S8_S8_S8_S8_S8_S8_EEEEZNS1_11reduce_implILb1ES3_NS6_12zip_iteratorINS7_INS6_11hip_rocprim26transform_input_iterator_tIbNSD_35transform_pair_of_input_iterators_tIbNS6_6detail15normal_iteratorINS6_10device_ptrIKxEEEESL_NS6_8equal_toIxEEEENSG_9not_fun_tINSD_8identityEEEEENSD_19counting_iterator_tIlEES8_S8_S8_S8_S8_S8_S8_S8_EEEEPS9_S9_NSD_9__find_if7functorIS9_EEEE10hipError_tPvRmT1_T2_T3_mT4_P12ihipStream_tbEUlT_E1_NS1_11comp_targetILNS1_3genE0ELNS1_11target_archE4294967295ELNS1_3gpuE0ELNS1_3repE0EEENS1_30default_config_static_selectorELNS0_4arch9wavefront6targetE1EEEvS14_: ; @_ZN7rocprim17ROCPRIM_400000_NS6detail17trampoline_kernelINS0_14default_configENS1_22reduce_config_selectorIN6thrust23THRUST_200600_302600_NS5tupleIblNS6_9null_typeES8_S8_S8_S8_S8_S8_S8_EEEEZNS1_11reduce_implILb1ES3_NS6_12zip_iteratorINS7_INS6_11hip_rocprim26transform_input_iterator_tIbNSD_35transform_pair_of_input_iterators_tIbNS6_6detail15normal_iteratorINS6_10device_ptrIKxEEEESL_NS6_8equal_toIxEEEENSG_9not_fun_tINSD_8identityEEEEENSD_19counting_iterator_tIlEES8_S8_S8_S8_S8_S8_S8_S8_EEEEPS9_S9_NSD_9__find_if7functorIS9_EEEE10hipError_tPvRmT1_T2_T3_mT4_P12ihipStream_tbEUlT_E1_NS1_11comp_targetILNS1_3genE0ELNS1_11target_archE4294967295ELNS1_3gpuE0ELNS1_3repE0EEENS1_30default_config_static_selectorELNS0_4arch9wavefront6targetE1EEEvS14_
; %bb.0:
	.section	.rodata,"a",@progbits
	.p2align	6, 0x0
	.amdhsa_kernel _ZN7rocprim17ROCPRIM_400000_NS6detail17trampoline_kernelINS0_14default_configENS1_22reduce_config_selectorIN6thrust23THRUST_200600_302600_NS5tupleIblNS6_9null_typeES8_S8_S8_S8_S8_S8_S8_EEEEZNS1_11reduce_implILb1ES3_NS6_12zip_iteratorINS7_INS6_11hip_rocprim26transform_input_iterator_tIbNSD_35transform_pair_of_input_iterators_tIbNS6_6detail15normal_iteratorINS6_10device_ptrIKxEEEESL_NS6_8equal_toIxEEEENSG_9not_fun_tINSD_8identityEEEEENSD_19counting_iterator_tIlEES8_S8_S8_S8_S8_S8_S8_S8_EEEEPS9_S9_NSD_9__find_if7functorIS9_EEEE10hipError_tPvRmT1_T2_T3_mT4_P12ihipStream_tbEUlT_E1_NS1_11comp_targetILNS1_3genE0ELNS1_11target_archE4294967295ELNS1_3gpuE0ELNS1_3repE0EEENS1_30default_config_static_selectorELNS0_4arch9wavefront6targetE1EEEvS14_
		.amdhsa_group_segment_fixed_size 0
		.amdhsa_private_segment_fixed_size 0
		.amdhsa_kernarg_size 88
		.amdhsa_user_sgpr_count 6
		.amdhsa_user_sgpr_private_segment_buffer 1
		.amdhsa_user_sgpr_dispatch_ptr 0
		.amdhsa_user_sgpr_queue_ptr 0
		.amdhsa_user_sgpr_kernarg_segment_ptr 1
		.amdhsa_user_sgpr_dispatch_id 0
		.amdhsa_user_sgpr_flat_scratch_init 0
		.amdhsa_user_sgpr_kernarg_preload_length 0
		.amdhsa_user_sgpr_kernarg_preload_offset 0
		.amdhsa_user_sgpr_private_segment_size 0
		.amdhsa_uses_dynamic_stack 0
		.amdhsa_system_sgpr_private_segment_wavefront_offset 0
		.amdhsa_system_sgpr_workgroup_id_x 1
		.amdhsa_system_sgpr_workgroup_id_y 0
		.amdhsa_system_sgpr_workgroup_id_z 0
		.amdhsa_system_sgpr_workgroup_info 0
		.amdhsa_system_vgpr_workitem_id 0
		.amdhsa_next_free_vgpr 1
		.amdhsa_next_free_sgpr 0
		.amdhsa_accum_offset 4
		.amdhsa_reserve_vcc 0
		.amdhsa_reserve_flat_scratch 0
		.amdhsa_float_round_mode_32 0
		.amdhsa_float_round_mode_16_64 0
		.amdhsa_float_denorm_mode_32 3
		.amdhsa_float_denorm_mode_16_64 3
		.amdhsa_dx10_clamp 1
		.amdhsa_ieee_mode 1
		.amdhsa_fp16_overflow 0
		.amdhsa_tg_split 0
		.amdhsa_exception_fp_ieee_invalid_op 0
		.amdhsa_exception_fp_denorm_src 0
		.amdhsa_exception_fp_ieee_div_zero 0
		.amdhsa_exception_fp_ieee_overflow 0
		.amdhsa_exception_fp_ieee_underflow 0
		.amdhsa_exception_fp_ieee_inexact 0
		.amdhsa_exception_int_div_zero 0
	.end_amdhsa_kernel
	.section	.text._ZN7rocprim17ROCPRIM_400000_NS6detail17trampoline_kernelINS0_14default_configENS1_22reduce_config_selectorIN6thrust23THRUST_200600_302600_NS5tupleIblNS6_9null_typeES8_S8_S8_S8_S8_S8_S8_EEEEZNS1_11reduce_implILb1ES3_NS6_12zip_iteratorINS7_INS6_11hip_rocprim26transform_input_iterator_tIbNSD_35transform_pair_of_input_iterators_tIbNS6_6detail15normal_iteratorINS6_10device_ptrIKxEEEESL_NS6_8equal_toIxEEEENSG_9not_fun_tINSD_8identityEEEEENSD_19counting_iterator_tIlEES8_S8_S8_S8_S8_S8_S8_S8_EEEEPS9_S9_NSD_9__find_if7functorIS9_EEEE10hipError_tPvRmT1_T2_T3_mT4_P12ihipStream_tbEUlT_E1_NS1_11comp_targetILNS1_3genE0ELNS1_11target_archE4294967295ELNS1_3gpuE0ELNS1_3repE0EEENS1_30default_config_static_selectorELNS0_4arch9wavefront6targetE1EEEvS14_,"axG",@progbits,_ZN7rocprim17ROCPRIM_400000_NS6detail17trampoline_kernelINS0_14default_configENS1_22reduce_config_selectorIN6thrust23THRUST_200600_302600_NS5tupleIblNS6_9null_typeES8_S8_S8_S8_S8_S8_S8_EEEEZNS1_11reduce_implILb1ES3_NS6_12zip_iteratorINS7_INS6_11hip_rocprim26transform_input_iterator_tIbNSD_35transform_pair_of_input_iterators_tIbNS6_6detail15normal_iteratorINS6_10device_ptrIKxEEEESL_NS6_8equal_toIxEEEENSG_9not_fun_tINSD_8identityEEEEENSD_19counting_iterator_tIlEES8_S8_S8_S8_S8_S8_S8_S8_EEEEPS9_S9_NSD_9__find_if7functorIS9_EEEE10hipError_tPvRmT1_T2_T3_mT4_P12ihipStream_tbEUlT_E1_NS1_11comp_targetILNS1_3genE0ELNS1_11target_archE4294967295ELNS1_3gpuE0ELNS1_3repE0EEENS1_30default_config_static_selectorELNS0_4arch9wavefront6targetE1EEEvS14_,comdat
.Lfunc_end114:
	.size	_ZN7rocprim17ROCPRIM_400000_NS6detail17trampoline_kernelINS0_14default_configENS1_22reduce_config_selectorIN6thrust23THRUST_200600_302600_NS5tupleIblNS6_9null_typeES8_S8_S8_S8_S8_S8_S8_EEEEZNS1_11reduce_implILb1ES3_NS6_12zip_iteratorINS7_INS6_11hip_rocprim26transform_input_iterator_tIbNSD_35transform_pair_of_input_iterators_tIbNS6_6detail15normal_iteratorINS6_10device_ptrIKxEEEESL_NS6_8equal_toIxEEEENSG_9not_fun_tINSD_8identityEEEEENSD_19counting_iterator_tIlEES8_S8_S8_S8_S8_S8_S8_S8_EEEEPS9_S9_NSD_9__find_if7functorIS9_EEEE10hipError_tPvRmT1_T2_T3_mT4_P12ihipStream_tbEUlT_E1_NS1_11comp_targetILNS1_3genE0ELNS1_11target_archE4294967295ELNS1_3gpuE0ELNS1_3repE0EEENS1_30default_config_static_selectorELNS0_4arch9wavefront6targetE1EEEvS14_, .Lfunc_end114-_ZN7rocprim17ROCPRIM_400000_NS6detail17trampoline_kernelINS0_14default_configENS1_22reduce_config_selectorIN6thrust23THRUST_200600_302600_NS5tupleIblNS6_9null_typeES8_S8_S8_S8_S8_S8_S8_EEEEZNS1_11reduce_implILb1ES3_NS6_12zip_iteratorINS7_INS6_11hip_rocprim26transform_input_iterator_tIbNSD_35transform_pair_of_input_iterators_tIbNS6_6detail15normal_iteratorINS6_10device_ptrIKxEEEESL_NS6_8equal_toIxEEEENSG_9not_fun_tINSD_8identityEEEEENSD_19counting_iterator_tIlEES8_S8_S8_S8_S8_S8_S8_S8_EEEEPS9_S9_NSD_9__find_if7functorIS9_EEEE10hipError_tPvRmT1_T2_T3_mT4_P12ihipStream_tbEUlT_E1_NS1_11comp_targetILNS1_3genE0ELNS1_11target_archE4294967295ELNS1_3gpuE0ELNS1_3repE0EEENS1_30default_config_static_selectorELNS0_4arch9wavefront6targetE1EEEvS14_
                                        ; -- End function
	.section	.AMDGPU.csdata,"",@progbits
; Kernel info:
; codeLenInByte = 0
; NumSgprs: 4
; NumVgprs: 0
; NumAgprs: 0
; TotalNumVgprs: 0
; ScratchSize: 0
; MemoryBound: 0
; FloatMode: 240
; IeeeMode: 1
; LDSByteSize: 0 bytes/workgroup (compile time only)
; SGPRBlocks: 0
; VGPRBlocks: 0
; NumSGPRsForWavesPerEU: 4
; NumVGPRsForWavesPerEU: 1
; AccumOffset: 4
; Occupancy: 8
; WaveLimiterHint : 0
; COMPUTE_PGM_RSRC2:SCRATCH_EN: 0
; COMPUTE_PGM_RSRC2:USER_SGPR: 6
; COMPUTE_PGM_RSRC2:TRAP_HANDLER: 0
; COMPUTE_PGM_RSRC2:TGID_X_EN: 1
; COMPUTE_PGM_RSRC2:TGID_Y_EN: 0
; COMPUTE_PGM_RSRC2:TGID_Z_EN: 0
; COMPUTE_PGM_RSRC2:TIDIG_COMP_CNT: 0
; COMPUTE_PGM_RSRC3_GFX90A:ACCUM_OFFSET: 0
; COMPUTE_PGM_RSRC3_GFX90A:TG_SPLIT: 0
	.section	.text._ZN7rocprim17ROCPRIM_400000_NS6detail17trampoline_kernelINS0_14default_configENS1_22reduce_config_selectorIN6thrust23THRUST_200600_302600_NS5tupleIblNS6_9null_typeES8_S8_S8_S8_S8_S8_S8_EEEEZNS1_11reduce_implILb1ES3_NS6_12zip_iteratorINS7_INS6_11hip_rocprim26transform_input_iterator_tIbNSD_35transform_pair_of_input_iterators_tIbNS6_6detail15normal_iteratorINS6_10device_ptrIKxEEEESL_NS6_8equal_toIxEEEENSG_9not_fun_tINSD_8identityEEEEENSD_19counting_iterator_tIlEES8_S8_S8_S8_S8_S8_S8_S8_EEEEPS9_S9_NSD_9__find_if7functorIS9_EEEE10hipError_tPvRmT1_T2_T3_mT4_P12ihipStream_tbEUlT_E1_NS1_11comp_targetILNS1_3genE5ELNS1_11target_archE942ELNS1_3gpuE9ELNS1_3repE0EEENS1_30default_config_static_selectorELNS0_4arch9wavefront6targetE1EEEvS14_,"axG",@progbits,_ZN7rocprim17ROCPRIM_400000_NS6detail17trampoline_kernelINS0_14default_configENS1_22reduce_config_selectorIN6thrust23THRUST_200600_302600_NS5tupleIblNS6_9null_typeES8_S8_S8_S8_S8_S8_S8_EEEEZNS1_11reduce_implILb1ES3_NS6_12zip_iteratorINS7_INS6_11hip_rocprim26transform_input_iterator_tIbNSD_35transform_pair_of_input_iterators_tIbNS6_6detail15normal_iteratorINS6_10device_ptrIKxEEEESL_NS6_8equal_toIxEEEENSG_9not_fun_tINSD_8identityEEEEENSD_19counting_iterator_tIlEES8_S8_S8_S8_S8_S8_S8_S8_EEEEPS9_S9_NSD_9__find_if7functorIS9_EEEE10hipError_tPvRmT1_T2_T3_mT4_P12ihipStream_tbEUlT_E1_NS1_11comp_targetILNS1_3genE5ELNS1_11target_archE942ELNS1_3gpuE9ELNS1_3repE0EEENS1_30default_config_static_selectorELNS0_4arch9wavefront6targetE1EEEvS14_,comdat
	.protected	_ZN7rocprim17ROCPRIM_400000_NS6detail17trampoline_kernelINS0_14default_configENS1_22reduce_config_selectorIN6thrust23THRUST_200600_302600_NS5tupleIblNS6_9null_typeES8_S8_S8_S8_S8_S8_S8_EEEEZNS1_11reduce_implILb1ES3_NS6_12zip_iteratorINS7_INS6_11hip_rocprim26transform_input_iterator_tIbNSD_35transform_pair_of_input_iterators_tIbNS6_6detail15normal_iteratorINS6_10device_ptrIKxEEEESL_NS6_8equal_toIxEEEENSG_9not_fun_tINSD_8identityEEEEENSD_19counting_iterator_tIlEES8_S8_S8_S8_S8_S8_S8_S8_EEEEPS9_S9_NSD_9__find_if7functorIS9_EEEE10hipError_tPvRmT1_T2_T3_mT4_P12ihipStream_tbEUlT_E1_NS1_11comp_targetILNS1_3genE5ELNS1_11target_archE942ELNS1_3gpuE9ELNS1_3repE0EEENS1_30default_config_static_selectorELNS0_4arch9wavefront6targetE1EEEvS14_ ; -- Begin function _ZN7rocprim17ROCPRIM_400000_NS6detail17trampoline_kernelINS0_14default_configENS1_22reduce_config_selectorIN6thrust23THRUST_200600_302600_NS5tupleIblNS6_9null_typeES8_S8_S8_S8_S8_S8_S8_EEEEZNS1_11reduce_implILb1ES3_NS6_12zip_iteratorINS7_INS6_11hip_rocprim26transform_input_iterator_tIbNSD_35transform_pair_of_input_iterators_tIbNS6_6detail15normal_iteratorINS6_10device_ptrIKxEEEESL_NS6_8equal_toIxEEEENSG_9not_fun_tINSD_8identityEEEEENSD_19counting_iterator_tIlEES8_S8_S8_S8_S8_S8_S8_S8_EEEEPS9_S9_NSD_9__find_if7functorIS9_EEEE10hipError_tPvRmT1_T2_T3_mT4_P12ihipStream_tbEUlT_E1_NS1_11comp_targetILNS1_3genE5ELNS1_11target_archE942ELNS1_3gpuE9ELNS1_3repE0EEENS1_30default_config_static_selectorELNS0_4arch9wavefront6targetE1EEEvS14_
	.globl	_ZN7rocprim17ROCPRIM_400000_NS6detail17trampoline_kernelINS0_14default_configENS1_22reduce_config_selectorIN6thrust23THRUST_200600_302600_NS5tupleIblNS6_9null_typeES8_S8_S8_S8_S8_S8_S8_EEEEZNS1_11reduce_implILb1ES3_NS6_12zip_iteratorINS7_INS6_11hip_rocprim26transform_input_iterator_tIbNSD_35transform_pair_of_input_iterators_tIbNS6_6detail15normal_iteratorINS6_10device_ptrIKxEEEESL_NS6_8equal_toIxEEEENSG_9not_fun_tINSD_8identityEEEEENSD_19counting_iterator_tIlEES8_S8_S8_S8_S8_S8_S8_S8_EEEEPS9_S9_NSD_9__find_if7functorIS9_EEEE10hipError_tPvRmT1_T2_T3_mT4_P12ihipStream_tbEUlT_E1_NS1_11comp_targetILNS1_3genE5ELNS1_11target_archE942ELNS1_3gpuE9ELNS1_3repE0EEENS1_30default_config_static_selectorELNS0_4arch9wavefront6targetE1EEEvS14_
	.p2align	8
	.type	_ZN7rocprim17ROCPRIM_400000_NS6detail17trampoline_kernelINS0_14default_configENS1_22reduce_config_selectorIN6thrust23THRUST_200600_302600_NS5tupleIblNS6_9null_typeES8_S8_S8_S8_S8_S8_S8_EEEEZNS1_11reduce_implILb1ES3_NS6_12zip_iteratorINS7_INS6_11hip_rocprim26transform_input_iterator_tIbNSD_35transform_pair_of_input_iterators_tIbNS6_6detail15normal_iteratorINS6_10device_ptrIKxEEEESL_NS6_8equal_toIxEEEENSG_9not_fun_tINSD_8identityEEEEENSD_19counting_iterator_tIlEES8_S8_S8_S8_S8_S8_S8_S8_EEEEPS9_S9_NSD_9__find_if7functorIS9_EEEE10hipError_tPvRmT1_T2_T3_mT4_P12ihipStream_tbEUlT_E1_NS1_11comp_targetILNS1_3genE5ELNS1_11target_archE942ELNS1_3gpuE9ELNS1_3repE0EEENS1_30default_config_static_selectorELNS0_4arch9wavefront6targetE1EEEvS14_,@function
_ZN7rocprim17ROCPRIM_400000_NS6detail17trampoline_kernelINS0_14default_configENS1_22reduce_config_selectorIN6thrust23THRUST_200600_302600_NS5tupleIblNS6_9null_typeES8_S8_S8_S8_S8_S8_S8_EEEEZNS1_11reduce_implILb1ES3_NS6_12zip_iteratorINS7_INS6_11hip_rocprim26transform_input_iterator_tIbNSD_35transform_pair_of_input_iterators_tIbNS6_6detail15normal_iteratorINS6_10device_ptrIKxEEEESL_NS6_8equal_toIxEEEENSG_9not_fun_tINSD_8identityEEEEENSD_19counting_iterator_tIlEES8_S8_S8_S8_S8_S8_S8_S8_EEEEPS9_S9_NSD_9__find_if7functorIS9_EEEE10hipError_tPvRmT1_T2_T3_mT4_P12ihipStream_tbEUlT_E1_NS1_11comp_targetILNS1_3genE5ELNS1_11target_archE942ELNS1_3gpuE9ELNS1_3repE0EEENS1_30default_config_static_selectorELNS0_4arch9wavefront6targetE1EEEvS14_: ; @_ZN7rocprim17ROCPRIM_400000_NS6detail17trampoline_kernelINS0_14default_configENS1_22reduce_config_selectorIN6thrust23THRUST_200600_302600_NS5tupleIblNS6_9null_typeES8_S8_S8_S8_S8_S8_S8_EEEEZNS1_11reduce_implILb1ES3_NS6_12zip_iteratorINS7_INS6_11hip_rocprim26transform_input_iterator_tIbNSD_35transform_pair_of_input_iterators_tIbNS6_6detail15normal_iteratorINS6_10device_ptrIKxEEEESL_NS6_8equal_toIxEEEENSG_9not_fun_tINSD_8identityEEEEENSD_19counting_iterator_tIlEES8_S8_S8_S8_S8_S8_S8_S8_EEEEPS9_S9_NSD_9__find_if7functorIS9_EEEE10hipError_tPvRmT1_T2_T3_mT4_P12ihipStream_tbEUlT_E1_NS1_11comp_targetILNS1_3genE5ELNS1_11target_archE942ELNS1_3gpuE9ELNS1_3repE0EEENS1_30default_config_static_selectorELNS0_4arch9wavefront6targetE1EEEvS14_
; %bb.0:
	.section	.rodata,"a",@progbits
	.p2align	6, 0x0
	.amdhsa_kernel _ZN7rocprim17ROCPRIM_400000_NS6detail17trampoline_kernelINS0_14default_configENS1_22reduce_config_selectorIN6thrust23THRUST_200600_302600_NS5tupleIblNS6_9null_typeES8_S8_S8_S8_S8_S8_S8_EEEEZNS1_11reduce_implILb1ES3_NS6_12zip_iteratorINS7_INS6_11hip_rocprim26transform_input_iterator_tIbNSD_35transform_pair_of_input_iterators_tIbNS6_6detail15normal_iteratorINS6_10device_ptrIKxEEEESL_NS6_8equal_toIxEEEENSG_9not_fun_tINSD_8identityEEEEENSD_19counting_iterator_tIlEES8_S8_S8_S8_S8_S8_S8_S8_EEEEPS9_S9_NSD_9__find_if7functorIS9_EEEE10hipError_tPvRmT1_T2_T3_mT4_P12ihipStream_tbEUlT_E1_NS1_11comp_targetILNS1_3genE5ELNS1_11target_archE942ELNS1_3gpuE9ELNS1_3repE0EEENS1_30default_config_static_selectorELNS0_4arch9wavefront6targetE1EEEvS14_
		.amdhsa_group_segment_fixed_size 0
		.amdhsa_private_segment_fixed_size 0
		.amdhsa_kernarg_size 88
		.amdhsa_user_sgpr_count 6
		.amdhsa_user_sgpr_private_segment_buffer 1
		.amdhsa_user_sgpr_dispatch_ptr 0
		.amdhsa_user_sgpr_queue_ptr 0
		.amdhsa_user_sgpr_kernarg_segment_ptr 1
		.amdhsa_user_sgpr_dispatch_id 0
		.amdhsa_user_sgpr_flat_scratch_init 0
		.amdhsa_user_sgpr_kernarg_preload_length 0
		.amdhsa_user_sgpr_kernarg_preload_offset 0
		.amdhsa_user_sgpr_private_segment_size 0
		.amdhsa_uses_dynamic_stack 0
		.amdhsa_system_sgpr_private_segment_wavefront_offset 0
		.amdhsa_system_sgpr_workgroup_id_x 1
		.amdhsa_system_sgpr_workgroup_id_y 0
		.amdhsa_system_sgpr_workgroup_id_z 0
		.amdhsa_system_sgpr_workgroup_info 0
		.amdhsa_system_vgpr_workitem_id 0
		.amdhsa_next_free_vgpr 1
		.amdhsa_next_free_sgpr 0
		.amdhsa_accum_offset 4
		.amdhsa_reserve_vcc 0
		.amdhsa_reserve_flat_scratch 0
		.amdhsa_float_round_mode_32 0
		.amdhsa_float_round_mode_16_64 0
		.amdhsa_float_denorm_mode_32 3
		.amdhsa_float_denorm_mode_16_64 3
		.amdhsa_dx10_clamp 1
		.amdhsa_ieee_mode 1
		.amdhsa_fp16_overflow 0
		.amdhsa_tg_split 0
		.amdhsa_exception_fp_ieee_invalid_op 0
		.amdhsa_exception_fp_denorm_src 0
		.amdhsa_exception_fp_ieee_div_zero 0
		.amdhsa_exception_fp_ieee_overflow 0
		.amdhsa_exception_fp_ieee_underflow 0
		.amdhsa_exception_fp_ieee_inexact 0
		.amdhsa_exception_int_div_zero 0
	.end_amdhsa_kernel
	.section	.text._ZN7rocprim17ROCPRIM_400000_NS6detail17trampoline_kernelINS0_14default_configENS1_22reduce_config_selectorIN6thrust23THRUST_200600_302600_NS5tupleIblNS6_9null_typeES8_S8_S8_S8_S8_S8_S8_EEEEZNS1_11reduce_implILb1ES3_NS6_12zip_iteratorINS7_INS6_11hip_rocprim26transform_input_iterator_tIbNSD_35transform_pair_of_input_iterators_tIbNS6_6detail15normal_iteratorINS6_10device_ptrIKxEEEESL_NS6_8equal_toIxEEEENSG_9not_fun_tINSD_8identityEEEEENSD_19counting_iterator_tIlEES8_S8_S8_S8_S8_S8_S8_S8_EEEEPS9_S9_NSD_9__find_if7functorIS9_EEEE10hipError_tPvRmT1_T2_T3_mT4_P12ihipStream_tbEUlT_E1_NS1_11comp_targetILNS1_3genE5ELNS1_11target_archE942ELNS1_3gpuE9ELNS1_3repE0EEENS1_30default_config_static_selectorELNS0_4arch9wavefront6targetE1EEEvS14_,"axG",@progbits,_ZN7rocprim17ROCPRIM_400000_NS6detail17trampoline_kernelINS0_14default_configENS1_22reduce_config_selectorIN6thrust23THRUST_200600_302600_NS5tupleIblNS6_9null_typeES8_S8_S8_S8_S8_S8_S8_EEEEZNS1_11reduce_implILb1ES3_NS6_12zip_iteratorINS7_INS6_11hip_rocprim26transform_input_iterator_tIbNSD_35transform_pair_of_input_iterators_tIbNS6_6detail15normal_iteratorINS6_10device_ptrIKxEEEESL_NS6_8equal_toIxEEEENSG_9not_fun_tINSD_8identityEEEEENSD_19counting_iterator_tIlEES8_S8_S8_S8_S8_S8_S8_S8_EEEEPS9_S9_NSD_9__find_if7functorIS9_EEEE10hipError_tPvRmT1_T2_T3_mT4_P12ihipStream_tbEUlT_E1_NS1_11comp_targetILNS1_3genE5ELNS1_11target_archE942ELNS1_3gpuE9ELNS1_3repE0EEENS1_30default_config_static_selectorELNS0_4arch9wavefront6targetE1EEEvS14_,comdat
.Lfunc_end115:
	.size	_ZN7rocprim17ROCPRIM_400000_NS6detail17trampoline_kernelINS0_14default_configENS1_22reduce_config_selectorIN6thrust23THRUST_200600_302600_NS5tupleIblNS6_9null_typeES8_S8_S8_S8_S8_S8_S8_EEEEZNS1_11reduce_implILb1ES3_NS6_12zip_iteratorINS7_INS6_11hip_rocprim26transform_input_iterator_tIbNSD_35transform_pair_of_input_iterators_tIbNS6_6detail15normal_iteratorINS6_10device_ptrIKxEEEESL_NS6_8equal_toIxEEEENSG_9not_fun_tINSD_8identityEEEEENSD_19counting_iterator_tIlEES8_S8_S8_S8_S8_S8_S8_S8_EEEEPS9_S9_NSD_9__find_if7functorIS9_EEEE10hipError_tPvRmT1_T2_T3_mT4_P12ihipStream_tbEUlT_E1_NS1_11comp_targetILNS1_3genE5ELNS1_11target_archE942ELNS1_3gpuE9ELNS1_3repE0EEENS1_30default_config_static_selectorELNS0_4arch9wavefront6targetE1EEEvS14_, .Lfunc_end115-_ZN7rocprim17ROCPRIM_400000_NS6detail17trampoline_kernelINS0_14default_configENS1_22reduce_config_selectorIN6thrust23THRUST_200600_302600_NS5tupleIblNS6_9null_typeES8_S8_S8_S8_S8_S8_S8_EEEEZNS1_11reduce_implILb1ES3_NS6_12zip_iteratorINS7_INS6_11hip_rocprim26transform_input_iterator_tIbNSD_35transform_pair_of_input_iterators_tIbNS6_6detail15normal_iteratorINS6_10device_ptrIKxEEEESL_NS6_8equal_toIxEEEENSG_9not_fun_tINSD_8identityEEEEENSD_19counting_iterator_tIlEES8_S8_S8_S8_S8_S8_S8_S8_EEEEPS9_S9_NSD_9__find_if7functorIS9_EEEE10hipError_tPvRmT1_T2_T3_mT4_P12ihipStream_tbEUlT_E1_NS1_11comp_targetILNS1_3genE5ELNS1_11target_archE942ELNS1_3gpuE9ELNS1_3repE0EEENS1_30default_config_static_selectorELNS0_4arch9wavefront6targetE1EEEvS14_
                                        ; -- End function
	.section	.AMDGPU.csdata,"",@progbits
; Kernel info:
; codeLenInByte = 0
; NumSgprs: 4
; NumVgprs: 0
; NumAgprs: 0
; TotalNumVgprs: 0
; ScratchSize: 0
; MemoryBound: 0
; FloatMode: 240
; IeeeMode: 1
; LDSByteSize: 0 bytes/workgroup (compile time only)
; SGPRBlocks: 0
; VGPRBlocks: 0
; NumSGPRsForWavesPerEU: 4
; NumVGPRsForWavesPerEU: 1
; AccumOffset: 4
; Occupancy: 8
; WaveLimiterHint : 0
; COMPUTE_PGM_RSRC2:SCRATCH_EN: 0
; COMPUTE_PGM_RSRC2:USER_SGPR: 6
; COMPUTE_PGM_RSRC2:TRAP_HANDLER: 0
; COMPUTE_PGM_RSRC2:TGID_X_EN: 1
; COMPUTE_PGM_RSRC2:TGID_Y_EN: 0
; COMPUTE_PGM_RSRC2:TGID_Z_EN: 0
; COMPUTE_PGM_RSRC2:TIDIG_COMP_CNT: 0
; COMPUTE_PGM_RSRC3_GFX90A:ACCUM_OFFSET: 0
; COMPUTE_PGM_RSRC3_GFX90A:TG_SPLIT: 0
	.section	.text._ZN7rocprim17ROCPRIM_400000_NS6detail17trampoline_kernelINS0_14default_configENS1_22reduce_config_selectorIN6thrust23THRUST_200600_302600_NS5tupleIblNS6_9null_typeES8_S8_S8_S8_S8_S8_S8_EEEEZNS1_11reduce_implILb1ES3_NS6_12zip_iteratorINS7_INS6_11hip_rocprim26transform_input_iterator_tIbNSD_35transform_pair_of_input_iterators_tIbNS6_6detail15normal_iteratorINS6_10device_ptrIKxEEEESL_NS6_8equal_toIxEEEENSG_9not_fun_tINSD_8identityEEEEENSD_19counting_iterator_tIlEES8_S8_S8_S8_S8_S8_S8_S8_EEEEPS9_S9_NSD_9__find_if7functorIS9_EEEE10hipError_tPvRmT1_T2_T3_mT4_P12ihipStream_tbEUlT_E1_NS1_11comp_targetILNS1_3genE4ELNS1_11target_archE910ELNS1_3gpuE8ELNS1_3repE0EEENS1_30default_config_static_selectorELNS0_4arch9wavefront6targetE1EEEvS14_,"axG",@progbits,_ZN7rocprim17ROCPRIM_400000_NS6detail17trampoline_kernelINS0_14default_configENS1_22reduce_config_selectorIN6thrust23THRUST_200600_302600_NS5tupleIblNS6_9null_typeES8_S8_S8_S8_S8_S8_S8_EEEEZNS1_11reduce_implILb1ES3_NS6_12zip_iteratorINS7_INS6_11hip_rocprim26transform_input_iterator_tIbNSD_35transform_pair_of_input_iterators_tIbNS6_6detail15normal_iteratorINS6_10device_ptrIKxEEEESL_NS6_8equal_toIxEEEENSG_9not_fun_tINSD_8identityEEEEENSD_19counting_iterator_tIlEES8_S8_S8_S8_S8_S8_S8_S8_EEEEPS9_S9_NSD_9__find_if7functorIS9_EEEE10hipError_tPvRmT1_T2_T3_mT4_P12ihipStream_tbEUlT_E1_NS1_11comp_targetILNS1_3genE4ELNS1_11target_archE910ELNS1_3gpuE8ELNS1_3repE0EEENS1_30default_config_static_selectorELNS0_4arch9wavefront6targetE1EEEvS14_,comdat
	.protected	_ZN7rocprim17ROCPRIM_400000_NS6detail17trampoline_kernelINS0_14default_configENS1_22reduce_config_selectorIN6thrust23THRUST_200600_302600_NS5tupleIblNS6_9null_typeES8_S8_S8_S8_S8_S8_S8_EEEEZNS1_11reduce_implILb1ES3_NS6_12zip_iteratorINS7_INS6_11hip_rocprim26transform_input_iterator_tIbNSD_35transform_pair_of_input_iterators_tIbNS6_6detail15normal_iteratorINS6_10device_ptrIKxEEEESL_NS6_8equal_toIxEEEENSG_9not_fun_tINSD_8identityEEEEENSD_19counting_iterator_tIlEES8_S8_S8_S8_S8_S8_S8_S8_EEEEPS9_S9_NSD_9__find_if7functorIS9_EEEE10hipError_tPvRmT1_T2_T3_mT4_P12ihipStream_tbEUlT_E1_NS1_11comp_targetILNS1_3genE4ELNS1_11target_archE910ELNS1_3gpuE8ELNS1_3repE0EEENS1_30default_config_static_selectorELNS0_4arch9wavefront6targetE1EEEvS14_ ; -- Begin function _ZN7rocprim17ROCPRIM_400000_NS6detail17trampoline_kernelINS0_14default_configENS1_22reduce_config_selectorIN6thrust23THRUST_200600_302600_NS5tupleIblNS6_9null_typeES8_S8_S8_S8_S8_S8_S8_EEEEZNS1_11reduce_implILb1ES3_NS6_12zip_iteratorINS7_INS6_11hip_rocprim26transform_input_iterator_tIbNSD_35transform_pair_of_input_iterators_tIbNS6_6detail15normal_iteratorINS6_10device_ptrIKxEEEESL_NS6_8equal_toIxEEEENSG_9not_fun_tINSD_8identityEEEEENSD_19counting_iterator_tIlEES8_S8_S8_S8_S8_S8_S8_S8_EEEEPS9_S9_NSD_9__find_if7functorIS9_EEEE10hipError_tPvRmT1_T2_T3_mT4_P12ihipStream_tbEUlT_E1_NS1_11comp_targetILNS1_3genE4ELNS1_11target_archE910ELNS1_3gpuE8ELNS1_3repE0EEENS1_30default_config_static_selectorELNS0_4arch9wavefront6targetE1EEEvS14_
	.globl	_ZN7rocprim17ROCPRIM_400000_NS6detail17trampoline_kernelINS0_14default_configENS1_22reduce_config_selectorIN6thrust23THRUST_200600_302600_NS5tupleIblNS6_9null_typeES8_S8_S8_S8_S8_S8_S8_EEEEZNS1_11reduce_implILb1ES3_NS6_12zip_iteratorINS7_INS6_11hip_rocprim26transform_input_iterator_tIbNSD_35transform_pair_of_input_iterators_tIbNS6_6detail15normal_iteratorINS6_10device_ptrIKxEEEESL_NS6_8equal_toIxEEEENSG_9not_fun_tINSD_8identityEEEEENSD_19counting_iterator_tIlEES8_S8_S8_S8_S8_S8_S8_S8_EEEEPS9_S9_NSD_9__find_if7functorIS9_EEEE10hipError_tPvRmT1_T2_T3_mT4_P12ihipStream_tbEUlT_E1_NS1_11comp_targetILNS1_3genE4ELNS1_11target_archE910ELNS1_3gpuE8ELNS1_3repE0EEENS1_30default_config_static_selectorELNS0_4arch9wavefront6targetE1EEEvS14_
	.p2align	8
	.type	_ZN7rocprim17ROCPRIM_400000_NS6detail17trampoline_kernelINS0_14default_configENS1_22reduce_config_selectorIN6thrust23THRUST_200600_302600_NS5tupleIblNS6_9null_typeES8_S8_S8_S8_S8_S8_S8_EEEEZNS1_11reduce_implILb1ES3_NS6_12zip_iteratorINS7_INS6_11hip_rocprim26transform_input_iterator_tIbNSD_35transform_pair_of_input_iterators_tIbNS6_6detail15normal_iteratorINS6_10device_ptrIKxEEEESL_NS6_8equal_toIxEEEENSG_9not_fun_tINSD_8identityEEEEENSD_19counting_iterator_tIlEES8_S8_S8_S8_S8_S8_S8_S8_EEEEPS9_S9_NSD_9__find_if7functorIS9_EEEE10hipError_tPvRmT1_T2_T3_mT4_P12ihipStream_tbEUlT_E1_NS1_11comp_targetILNS1_3genE4ELNS1_11target_archE910ELNS1_3gpuE8ELNS1_3repE0EEENS1_30default_config_static_selectorELNS0_4arch9wavefront6targetE1EEEvS14_,@function
_ZN7rocprim17ROCPRIM_400000_NS6detail17trampoline_kernelINS0_14default_configENS1_22reduce_config_selectorIN6thrust23THRUST_200600_302600_NS5tupleIblNS6_9null_typeES8_S8_S8_S8_S8_S8_S8_EEEEZNS1_11reduce_implILb1ES3_NS6_12zip_iteratorINS7_INS6_11hip_rocprim26transform_input_iterator_tIbNSD_35transform_pair_of_input_iterators_tIbNS6_6detail15normal_iteratorINS6_10device_ptrIKxEEEESL_NS6_8equal_toIxEEEENSG_9not_fun_tINSD_8identityEEEEENSD_19counting_iterator_tIlEES8_S8_S8_S8_S8_S8_S8_S8_EEEEPS9_S9_NSD_9__find_if7functorIS9_EEEE10hipError_tPvRmT1_T2_T3_mT4_P12ihipStream_tbEUlT_E1_NS1_11comp_targetILNS1_3genE4ELNS1_11target_archE910ELNS1_3gpuE8ELNS1_3repE0EEENS1_30default_config_static_selectorELNS0_4arch9wavefront6targetE1EEEvS14_: ; @_ZN7rocprim17ROCPRIM_400000_NS6detail17trampoline_kernelINS0_14default_configENS1_22reduce_config_selectorIN6thrust23THRUST_200600_302600_NS5tupleIblNS6_9null_typeES8_S8_S8_S8_S8_S8_S8_EEEEZNS1_11reduce_implILb1ES3_NS6_12zip_iteratorINS7_INS6_11hip_rocprim26transform_input_iterator_tIbNSD_35transform_pair_of_input_iterators_tIbNS6_6detail15normal_iteratorINS6_10device_ptrIKxEEEESL_NS6_8equal_toIxEEEENSG_9not_fun_tINSD_8identityEEEEENSD_19counting_iterator_tIlEES8_S8_S8_S8_S8_S8_S8_S8_EEEEPS9_S9_NSD_9__find_if7functorIS9_EEEE10hipError_tPvRmT1_T2_T3_mT4_P12ihipStream_tbEUlT_E1_NS1_11comp_targetILNS1_3genE4ELNS1_11target_archE910ELNS1_3gpuE8ELNS1_3repE0EEENS1_30default_config_static_selectorELNS0_4arch9wavefront6targetE1EEEvS14_
; %bb.0:
	s_load_dword s36, s[4:5], 0x4
	s_load_dwordx4 s[24:27], s[4:5], 0x8
	s_load_dwordx4 s[20:23], s[4:5], 0x28
	s_load_dword s33, s[4:5], 0x40
	s_load_dwordx2 s[18:19], s[4:5], 0x48
	s_waitcnt lgkmcnt(0)
	s_cmp_lt_i32 s36, 4
	s_cbranch_scc1 .LBB116_21
; %bb.1:
	s_cmp_gt_i32 s36, 7
	s_cbranch_scc0 .LBB116_22
; %bb.2:
	s_cmp_eq_u32 s36, 8
	s_mov_b64 s[28:29], 0
	s_cbranch_scc0 .LBB116_23
; %bb.3:
	s_mov_b32 s7, 0
	s_lshl_b32 s14, s6, 11
	s_mov_b32 s15, s7
	s_lshr_b64 s[0:1], s[22:23], 11
	s_lshl_b64 s[2:3], s[14:15], 3
	s_add_u32 s16, s24, s2
	s_addc_u32 s17, s25, s3
	s_add_u32 s30, s26, s2
	s_addc_u32 s31, s27, s3
	;; [unrolled: 2-line block ×3, first 2 shown]
	s_cmp_lg_u64 s[0:1], s[6:7]
	s_cbranch_scc0 .LBB116_44
; %bb.4:
	v_lshlrev_b32_e32 v1, 3, v0
	v_mov_b32_e32 v2, s17
	v_add_co_u32_e32 v28, vcc, s16, v1
	v_addc_co_u32_e32 v29, vcc, 0, v2, vcc
	v_mov_b32_e32 v2, s31
	v_add_co_u32_e32 v30, vcc, s30, v1
	v_addc_co_u32_e32 v31, vcc, 0, v2, vcc
	s_movk_i32 s0, 0x1000
	v_add_co_u32_e32 v10, vcc, s0, v28
	v_addc_co_u32_e32 v11, vcc, 0, v29, vcc
	s_movk_i32 s1, 0x2000
	v_add_co_u32_e32 v12, vcc, s1, v28
	v_addc_co_u32_e32 v13, vcc, 0, v29, vcc
	v_add_co_u32_e32 v14, vcc, s0, v30
	v_addc_co_u32_e32 v15, vcc, 0, v31, vcc
	v_add_co_u32_e32 v16, vcc, s1, v30
	global_load_dwordx2 v[2:3], v1, s[16:17]
	global_load_dwordx2 v[4:5], v1, s[30:31] offset:2048
	global_load_dwordx2 v[6:7], v1, s[30:31]
	global_load_dwordx2 v[8:9], v1, s[16:17] offset:2048
	v_addc_co_u32_e32 v17, vcc, 0, v31, vcc
	s_movk_i32 s0, 0x3000
	global_load_dwordx2 v[18:19], v[10:11], off offset:2048
	global_load_dwordx2 v[20:21], v[12:13], off offset:-4096
	global_load_dwordx2 v[22:23], v[12:13], off
	global_load_dwordx2 v[24:25], v[16:17], off offset:-4096
	global_load_dwordx2 v[26:27], v[16:17], off
	v_add_co_u32_e32 v10, vcc, s0, v28
	v_addc_co_u32_e32 v11, vcc, 0, v29, vcc
	v_add_co_u32_e32 v28, vcc, s0, v30
	v_addc_co_u32_e32 v29, vcc, 0, v31, vcc
	global_load_dwordx2 v[30:31], v[10:11], off
	global_load_dwordx2 v[32:33], v[10:11], off offset:2048
	global_load_dwordx2 v[34:35], v[28:29], off
	global_load_dwordx2 v[36:37], v[28:29], off offset:2048
	global_load_dwordx2 v[38:39], v[14:15], off offset:2048
	;; [unrolled: 1-line block ×4, first 2 shown]
	v_mov_b32_e32 v1, s38
	v_add_co_u32_e32 v17, vcc, s37, v0
	v_addc_co_u32_e32 v1, vcc, 0, v1, vcc
	v_mov_b32_e32 v10, 0x200
	v_mov_b32_e32 v11, 0x100
	;; [unrolled: 1-line block ×7, first 2 shown]
	s_waitcnt vmcnt(13)
	v_cmp_ne_u64_e64 s[0:1], v[2:3], v[6:7]
	s_waitcnt vmcnt(12)
	v_cmp_ne_u64_e32 vcc, v[8:9], v[4:5]
	v_cndmask_b32_e32 v4, v10, v11, vcc
	s_or_b64 s[34:35], s[0:1], vcc
	s_waitcnt vmcnt(8)
	v_cmp_ne_u64_e32 vcc, v[20:21], v[24:25]
	s_or_b64 vcc, s[34:35], vcc
	v_cndmask_b32_e64 v2, v4, 0, s[0:1]
	s_waitcnt vmcnt(7)
	v_cmp_ne_u64_e64 s[0:1], v[22:23], v[26:27]
	s_waitcnt vmcnt(4)
	v_cmp_ne_u64_e64 s[2:3], v[30:31], v[34:35]
	;; [unrolled: 2-line block ×4, first 2 shown]
	v_cndmask_b32_e64 v3, v12, v13, s[10:11]
	s_or_b64 s[10:11], vcc, s[10:11]
	s_waitcnt vmcnt(0)
	v_cmp_ne_u64_e64 s[12:13], v[40:41], v[42:43]
	v_cndmask_b32_e32 v2, v3, v2, vcc
	s_or_b64 vcc, s[10:11], s[0:1]
	v_cndmask_b32_e64 v4, v14, v15, s[12:13]
	s_or_b64 s[0:1], vcc, s[12:13]
	v_cndmask_b32_e32 v2, v4, v2, vcc
	s_or_b64 vcc, s[0:1], s[2:3]
	v_cndmask_b32_e32 v2, v16, v2, vcc
	v_add_co_u32_e64 v2, s[0:1], v17, v2
	v_addc_co_u32_e64 v3, s[0:1], 0, v1, s[0:1]
	s_or_b64 s[0:1], vcc, s[8:9]
	v_cndmask_b32_e64 v1, 0, 1, s[0:1]
	v_mov_b32_dpp v4, v2 quad_perm:[1,0,3,2] row_mask:0xf bank_mask:0xf bound_ctrl:1
	v_mov_b32_dpp v5, v3 quad_perm:[1,0,3,2] row_mask:0xf bank_mask:0xf bound_ctrl:1
	;; [unrolled: 1-line block ×3, first 2 shown]
	v_and_b32_e32 v7, 1, v6
	v_cmp_eq_u32_e32 vcc, 1, v7
	s_and_saveexec_b64 s[2:3], vcc
; %bb.5:
	v_cmp_lt_i64_e32 vcc, v[2:3], v[4:5]
	v_cndmask_b32_e64 v6, v6, 1, s[0:1]
	s_and_b64 vcc, s[0:1], vcc
	v_cndmask_b32_e32 v2, v4, v2, vcc
	v_and_b32_e32 v4, 1, v6
	v_cndmask_b32_e32 v3, v5, v3, vcc
	v_cmp_eq_u32_e32 vcc, 1, v4
	s_andn2_b64 s[0:1], s[0:1], exec
	s_and_b64 s[8:9], vcc, exec
	v_and_b32_e32 v1, 0xff, v6
	s_or_b64 s[0:1], s[0:1], s[8:9]
; %bb.6:
	s_or_b64 exec, exec, s[2:3]
	v_mov_b32_dpp v6, v1 quad_perm:[2,3,0,1] row_mask:0xf bank_mask:0xf bound_ctrl:1
	v_and_b32_e32 v7, 1, v6
	v_mov_b32_dpp v4, v2 quad_perm:[2,3,0,1] row_mask:0xf bank_mask:0xf bound_ctrl:1
	v_mov_b32_dpp v5, v3 quad_perm:[2,3,0,1] row_mask:0xf bank_mask:0xf bound_ctrl:1
	v_cmp_eq_u32_e32 vcc, 1, v7
	s_and_saveexec_b64 s[2:3], vcc
; %bb.7:
	v_cmp_lt_i64_e32 vcc, v[2:3], v[4:5]
	v_cndmask_b32_e64 v6, v6, 1, s[0:1]
	s_and_b64 vcc, s[0:1], vcc
	v_cndmask_b32_e32 v2, v4, v2, vcc
	v_and_b32_e32 v4, 1, v6
	v_cndmask_b32_e32 v3, v5, v3, vcc
	v_cmp_eq_u32_e32 vcc, 1, v4
	s_andn2_b64 s[0:1], s[0:1], exec
	s_and_b64 s[8:9], vcc, exec
	v_and_b32_e32 v1, 0xff, v6
	s_or_b64 s[0:1], s[0:1], s[8:9]
; %bb.8:
	s_or_b64 exec, exec, s[2:3]
	v_mov_b32_dpp v6, v1 row_ror:4 row_mask:0xf bank_mask:0xf bound_ctrl:1
	v_and_b32_e32 v7, 1, v6
	v_mov_b32_dpp v4, v2 row_ror:4 row_mask:0xf bank_mask:0xf bound_ctrl:1
	v_mov_b32_dpp v5, v3 row_ror:4 row_mask:0xf bank_mask:0xf bound_ctrl:1
	v_cmp_eq_u32_e32 vcc, 1, v7
	s_and_saveexec_b64 s[2:3], vcc
; %bb.9:
	v_cmp_lt_i64_e32 vcc, v[2:3], v[4:5]
	v_cndmask_b32_e64 v6, v6, 1, s[0:1]
	s_and_b64 vcc, s[0:1], vcc
	v_cndmask_b32_e32 v2, v4, v2, vcc
	v_and_b32_e32 v4, 1, v6
	v_cndmask_b32_e32 v3, v5, v3, vcc
	v_cmp_eq_u32_e32 vcc, 1, v4
	s_andn2_b64 s[0:1], s[0:1], exec
	s_and_b64 s[8:9], vcc, exec
	v_and_b32_e32 v1, 0xff, v6
	s_or_b64 s[0:1], s[0:1], s[8:9]
; %bb.10:
	s_or_b64 exec, exec, s[2:3]
	v_mov_b32_dpp v6, v1 row_ror:8 row_mask:0xf bank_mask:0xf bound_ctrl:1
	v_and_b32_e32 v7, 1, v6
	v_mov_b32_dpp v4, v2 row_ror:8 row_mask:0xf bank_mask:0xf bound_ctrl:1
	v_mov_b32_dpp v5, v3 row_ror:8 row_mask:0xf bank_mask:0xf bound_ctrl:1
	v_cmp_eq_u32_e32 vcc, 1, v7
	s_and_saveexec_b64 s[2:3], vcc
; %bb.11:
	v_cmp_lt_i64_e32 vcc, v[2:3], v[4:5]
	v_cndmask_b32_e64 v6, v6, 1, s[0:1]
	s_and_b64 vcc, s[0:1], vcc
	v_cndmask_b32_e32 v2, v4, v2, vcc
	v_and_b32_e32 v4, 1, v6
	v_cndmask_b32_e32 v3, v5, v3, vcc
	v_cmp_eq_u32_e32 vcc, 1, v4
	s_andn2_b64 s[0:1], s[0:1], exec
	s_and_b64 s[8:9], vcc, exec
	v_and_b32_e32 v1, 0xff, v6
	s_or_b64 s[0:1], s[0:1], s[8:9]
; %bb.12:
	s_or_b64 exec, exec, s[2:3]
	v_mov_b32_dpp v6, v1 row_bcast:15 row_mask:0xf bank_mask:0xf bound_ctrl:1
	v_and_b32_e32 v7, 1, v6
	v_mov_b32_dpp v4, v2 row_bcast:15 row_mask:0xf bank_mask:0xf bound_ctrl:1
	v_mov_b32_dpp v5, v3 row_bcast:15 row_mask:0xf bank_mask:0xf bound_ctrl:1
	v_cmp_eq_u32_e32 vcc, 1, v7
	s_and_saveexec_b64 s[2:3], vcc
; %bb.13:
	v_cmp_lt_i64_e32 vcc, v[2:3], v[4:5]
	v_cndmask_b32_e64 v6, v6, 1, s[0:1]
	s_and_b64 vcc, s[0:1], vcc
	v_cndmask_b32_e32 v2, v4, v2, vcc
	v_and_b32_e32 v4, 1, v6
	v_cndmask_b32_e32 v3, v5, v3, vcc
	v_cmp_eq_u32_e32 vcc, 1, v4
	s_andn2_b64 s[0:1], s[0:1], exec
	s_and_b64 s[8:9], vcc, exec
	v_and_b32_e32 v1, 0xff, v6
	s_or_b64 s[0:1], s[0:1], s[8:9]
; %bb.14:
	s_or_b64 exec, exec, s[2:3]
	v_mov_b32_dpp v6, v1 row_bcast:31 row_mask:0xf bank_mask:0xf bound_ctrl:1
	v_and_b32_e32 v7, 1, v6
	v_mov_b32_dpp v4, v2 row_bcast:31 row_mask:0xf bank_mask:0xf bound_ctrl:1
	v_mov_b32_dpp v5, v3 row_bcast:31 row_mask:0xf bank_mask:0xf bound_ctrl:1
	v_cmp_eq_u32_e32 vcc, 1, v7
	s_and_saveexec_b64 s[2:3], vcc
; %bb.15:
	v_cmp_lt_i64_e32 vcc, v[2:3], v[4:5]
	v_and_b32_e32 v1, 0xff, v6
	s_and_b64 vcc, s[0:1], vcc
	v_cndmask_b32_e32 v2, v4, v2, vcc
	v_cndmask_b32_e32 v3, v5, v3, vcc
	v_cndmask_b32_e64 v1, v1, 1, s[0:1]
; %bb.16:
	s_or_b64 exec, exec, s[2:3]
	v_mbcnt_lo_u32_b32 v4, -1, 0
	v_mbcnt_hi_u32_b32 v4, -1, v4
	v_bfrev_b32_e32 v5, 0.5
	v_lshl_or_b32 v5, v4, 2, v5
	ds_bpermute_b32 v7, v5, v1
	ds_bpermute_b32 v2, v5, v2
	;; [unrolled: 1-line block ×3, first 2 shown]
	v_cmp_eq_u32_e32 vcc, 0, v4
	s_and_saveexec_b64 s[0:1], vcc
	s_cbranch_execz .LBB116_18
; %bb.17:
	v_lshrrev_b32_e32 v1, 2, v0
	v_and_b32_e32 v1, 48, v1
	s_waitcnt lgkmcnt(2)
	ds_write_b8 v1, v7 offset:192
	s_waitcnt lgkmcnt(1)
	ds_write_b64 v1, v[2:3] offset:200
.LBB116_18:
	s_or_b64 exec, exec, s[0:1]
	v_cmp_gt_u32_e32 vcc, 64, v0
	s_waitcnt lgkmcnt(0)
	s_barrier
	s_and_saveexec_b64 s[2:3], vcc
	s_cbranch_execz .LBB116_20
; %bb.19:
	v_and_b32_e32 v1, 3, v4
	v_lshlrev_b32_e32 v2, 4, v1
	ds_read_u8 v5, v2 offset:192
	ds_read_b64 v[2:3], v2 offset:200
	v_cmp_ne_u32_e32 vcc, 3, v1
	v_addc_co_u32_e32 v6, vcc, 0, v4, vcc
	s_waitcnt lgkmcnt(1)
	v_and_b32_e32 v7, 0xff, v5
	v_lshlrev_b32_e32 v8, 2, v6
	ds_bpermute_b32 v9, v8, v7
	s_waitcnt lgkmcnt(1)
	ds_bpermute_b32 v6, v8, v2
	ds_bpermute_b32 v7, v8, v3
	v_and_b32_e32 v8, 1, v5
	s_waitcnt lgkmcnt(2)
	v_and_b32_e32 v10, 1, v9
	v_cmp_eq_u32_e64 s[0:1], 1, v10
	s_waitcnt lgkmcnt(0)
	v_cmp_lt_i64_e32 vcc, v[6:7], v[2:3]
	s_and_b64 vcc, s[0:1], vcc
	v_cndmask_b32_e64 v5, v5, 1, s[0:1]
	v_cndmask_b32_e32 v2, v2, v6, vcc
	v_cndmask_b32_e32 v3, v3, v7, vcc
	v_cmp_eq_u32_e32 vcc, 1, v8
	v_cndmask_b32_e32 v8, v9, v5, vcc
	v_cndmask_b32_e32 v3, v7, v3, vcc
	;; [unrolled: 1-line block ×3, first 2 shown]
	v_cmp_gt_u32_e32 vcc, 2, v1
	v_cndmask_b32_e64 v1, 0, 1, vcc
	v_lshlrev_b32_e32 v1, 1, v1
	v_and_b32_e32 v5, 0xff, v8
	v_add_lshl_u32 v1, v1, v4, 2
	ds_bpermute_b32 v6, v1, v5
	ds_bpermute_b32 v4, v1, v2
	;; [unrolled: 1-line block ×3, first 2 shown]
	v_and_b32_e32 v1, 1, v8
	s_waitcnt lgkmcnt(2)
	v_and_b32_e32 v7, 1, v6
	v_cmp_eq_u32_e64 s[0:1], 1, v7
	s_waitcnt lgkmcnt(0)
	v_cmp_lt_i64_e32 vcc, v[4:5], v[2:3]
	s_and_b64 vcc, s[0:1], vcc
	v_cndmask_b32_e64 v7, v8, 1, s[0:1]
	v_cndmask_b32_e32 v2, v2, v4, vcc
	v_cndmask_b32_e32 v3, v3, v5, vcc
	v_cmp_eq_u32_e32 vcc, 1, v1
	v_cndmask_b32_e32 v1, v6, v7, vcc
	v_cndmask_b32_e32 v3, v5, v3, vcc
	;; [unrolled: 1-line block ×3, first 2 shown]
	v_and_b32_e32 v7, 0xff, v1
.LBB116_20:
	s_or_b64 exec, exec, s[2:3]
	s_branch .LBB116_89
.LBB116_21:
	s_mov_b64 s[10:11], 0
                                        ; implicit-def: $vgpr4_vgpr5
                                        ; implicit-def: $vgpr1
	s_cbranch_execnz .LBB116_133
	s_branch .LBB116_208
.LBB116_22:
	s_mov_b64 s[28:29], -1
.LBB116_23:
	s_mov_b64 s[10:11], 0
                                        ; implicit-def: $vgpr4_vgpr5
                                        ; implicit-def: $vgpr1
	s_and_b64 vcc, exec, s[28:29]
	s_cbranch_vccz .LBB116_94
.LBB116_24:
	s_cmp_eq_u32 s36, 4
	s_cbranch_scc0 .LBB116_43
; %bb.25:
	s_mov_b32 s7, 0
	s_lshl_b32 s14, s6, 10
	s_mov_b32 s15, s7
	s_lshr_b64 s[0:1], s[22:23], 10
	s_lshl_b64 s[2:3], s[14:15], 3
	s_add_u32 s8, s24, s2
	s_addc_u32 s9, s25, s3
	s_add_u32 s12, s26, s2
	s_addc_u32 s13, s27, s3
	;; [unrolled: 2-line block ×3, first 2 shown]
	s_cmp_lg_u64 s[0:1], s[6:7]
	s_cbranch_scc0 .LBB116_95
; %bb.26:
	v_lshlrev_b32_e32 v1, 3, v0
	v_mov_b32_e32 v2, s9
	v_add_co_u32_e32 v10, vcc, s8, v1
	v_addc_co_u32_e32 v11, vcc, 0, v2, vcc
	v_mov_b32_e32 v2, s13
	v_add_co_u32_e32 v12, vcc, s12, v1
	v_addc_co_u32_e32 v13, vcc, 0, v2, vcc
	s_movk_i32 s0, 0x1000
	v_add_co_u32_e32 v10, vcc, s0, v10
	global_load_dwordx2 v[2:3], v1, s[8:9]
	s_waitcnt lgkmcnt(0)
	global_load_dwordx2 v[4:5], v1, s[12:13] offset:2048
	global_load_dwordx2 v[6:7], v1, s[12:13]
	global_load_dwordx2 v[8:9], v1, s[8:9] offset:2048
	v_addc_co_u32_e32 v11, vcc, 0, v11, vcc
	v_add_co_u32_e32 v12, vcc, s0, v12
	v_addc_co_u32_e32 v13, vcc, 0, v13, vcc
	global_load_dwordx2 v[14:15], v[10:11], off
	global_load_dwordx2 v[16:17], v[10:11], off offset:2048
	global_load_dwordx2 v[18:19], v[12:13], off
	global_load_dwordx2 v[20:21], v[12:13], off offset:2048
	v_mov_b32_e32 v1, s17
	v_add_co_u32_e32 v13, vcc, s16, v0
	v_addc_co_u32_e32 v1, vcc, 0, v1, vcc
	v_mov_b32_e32 v10, 0x200
	v_mov_b32_e32 v11, 0x100
	;; [unrolled: 1-line block ×3, first 2 shown]
	s_waitcnt vmcnt(5)
	v_cmp_ne_u64_e64 s[0:1], v[2:3], v[6:7]
	s_waitcnt vmcnt(4)
	v_cmp_ne_u64_e32 vcc, v[8:9], v[4:5]
	v_cndmask_b32_e32 v4, v10, v11, vcc
	s_or_b64 s[2:3], s[0:1], vcc
	v_cndmask_b32_e64 v2, v4, 0, s[0:1]
	s_waitcnt vmcnt(1)
	v_cmp_ne_u64_e32 vcc, v[14:15], v[18:19]
	s_or_b64 vcc, s[2:3], vcc
	s_waitcnt vmcnt(0)
	v_cmp_ne_u64_e64 s[0:1], v[16:17], v[20:21]
	v_cndmask_b32_e32 v2, v12, v2, vcc
	v_add_co_u32_e64 v2, s[2:3], v13, v2
	s_or_b64 s[0:1], vcc, s[0:1]
	v_addc_co_u32_e64 v3, s[2:3], 0, v1, s[2:3]
	v_cndmask_b32_e64 v1, 0, 1, s[0:1]
	v_mov_b32_dpp v4, v2 quad_perm:[1,0,3,2] row_mask:0xf bank_mask:0xf bound_ctrl:1
	v_mov_b32_dpp v5, v3 quad_perm:[1,0,3,2] row_mask:0xf bank_mask:0xf bound_ctrl:1
	;; [unrolled: 1-line block ×3, first 2 shown]
	v_and_b32_e32 v7, 1, v6
	v_cmp_eq_u32_e32 vcc, 1, v7
	s_and_saveexec_b64 s[2:3], vcc
; %bb.27:
	v_cmp_lt_i64_e32 vcc, v[2:3], v[4:5]
	v_cndmask_b32_e64 v6, v6, 1, s[0:1]
	s_and_b64 vcc, s[0:1], vcc
	v_cndmask_b32_e32 v2, v4, v2, vcc
	v_and_b32_e32 v4, 1, v6
	v_cndmask_b32_e32 v3, v5, v3, vcc
	v_cmp_eq_u32_e32 vcc, 1, v4
	s_andn2_b64 s[0:1], s[0:1], exec
	s_and_b64 s[28:29], vcc, exec
	v_and_b32_e32 v1, 0xff, v6
	s_or_b64 s[0:1], s[0:1], s[28:29]
; %bb.28:
	s_or_b64 exec, exec, s[2:3]
	v_mov_b32_dpp v6, v1 quad_perm:[2,3,0,1] row_mask:0xf bank_mask:0xf bound_ctrl:1
	v_and_b32_e32 v7, 1, v6
	v_mov_b32_dpp v4, v2 quad_perm:[2,3,0,1] row_mask:0xf bank_mask:0xf bound_ctrl:1
	v_mov_b32_dpp v5, v3 quad_perm:[2,3,0,1] row_mask:0xf bank_mask:0xf bound_ctrl:1
	v_cmp_eq_u32_e32 vcc, 1, v7
	s_and_saveexec_b64 s[2:3], vcc
; %bb.29:
	v_cmp_lt_i64_e32 vcc, v[2:3], v[4:5]
	v_cndmask_b32_e64 v6, v6, 1, s[0:1]
	s_and_b64 vcc, s[0:1], vcc
	v_cndmask_b32_e32 v2, v4, v2, vcc
	v_and_b32_e32 v4, 1, v6
	v_cndmask_b32_e32 v3, v5, v3, vcc
	v_cmp_eq_u32_e32 vcc, 1, v4
	s_andn2_b64 s[0:1], s[0:1], exec
	s_and_b64 s[28:29], vcc, exec
	v_and_b32_e32 v1, 0xff, v6
	s_or_b64 s[0:1], s[0:1], s[28:29]
; %bb.30:
	s_or_b64 exec, exec, s[2:3]
	v_mov_b32_dpp v6, v1 row_ror:4 row_mask:0xf bank_mask:0xf bound_ctrl:1
	v_and_b32_e32 v7, 1, v6
	v_mov_b32_dpp v4, v2 row_ror:4 row_mask:0xf bank_mask:0xf bound_ctrl:1
	v_mov_b32_dpp v5, v3 row_ror:4 row_mask:0xf bank_mask:0xf bound_ctrl:1
	v_cmp_eq_u32_e32 vcc, 1, v7
	s_and_saveexec_b64 s[2:3], vcc
; %bb.31:
	v_cmp_lt_i64_e32 vcc, v[2:3], v[4:5]
	v_cndmask_b32_e64 v6, v6, 1, s[0:1]
	s_and_b64 vcc, s[0:1], vcc
	v_cndmask_b32_e32 v2, v4, v2, vcc
	v_and_b32_e32 v4, 1, v6
	v_cndmask_b32_e32 v3, v5, v3, vcc
	v_cmp_eq_u32_e32 vcc, 1, v4
	s_andn2_b64 s[0:1], s[0:1], exec
	s_and_b64 s[28:29], vcc, exec
	v_and_b32_e32 v1, 0xff, v6
	s_or_b64 s[0:1], s[0:1], s[28:29]
; %bb.32:
	s_or_b64 exec, exec, s[2:3]
	v_mov_b32_dpp v6, v1 row_ror:8 row_mask:0xf bank_mask:0xf bound_ctrl:1
	v_and_b32_e32 v7, 1, v6
	v_mov_b32_dpp v4, v2 row_ror:8 row_mask:0xf bank_mask:0xf bound_ctrl:1
	v_mov_b32_dpp v5, v3 row_ror:8 row_mask:0xf bank_mask:0xf bound_ctrl:1
	v_cmp_eq_u32_e32 vcc, 1, v7
	s_and_saveexec_b64 s[2:3], vcc
; %bb.33:
	v_cmp_lt_i64_e32 vcc, v[2:3], v[4:5]
	v_cndmask_b32_e64 v6, v6, 1, s[0:1]
	s_and_b64 vcc, s[0:1], vcc
	v_cndmask_b32_e32 v2, v4, v2, vcc
	v_and_b32_e32 v4, 1, v6
	v_cndmask_b32_e32 v3, v5, v3, vcc
	v_cmp_eq_u32_e32 vcc, 1, v4
	s_andn2_b64 s[0:1], s[0:1], exec
	s_and_b64 s[28:29], vcc, exec
	v_and_b32_e32 v1, 0xff, v6
	s_or_b64 s[0:1], s[0:1], s[28:29]
; %bb.34:
	s_or_b64 exec, exec, s[2:3]
	v_mov_b32_dpp v6, v1 row_bcast:15 row_mask:0xf bank_mask:0xf bound_ctrl:1
	v_and_b32_e32 v7, 1, v6
	v_mov_b32_dpp v4, v2 row_bcast:15 row_mask:0xf bank_mask:0xf bound_ctrl:1
	v_mov_b32_dpp v5, v3 row_bcast:15 row_mask:0xf bank_mask:0xf bound_ctrl:1
	v_cmp_eq_u32_e32 vcc, 1, v7
	s_and_saveexec_b64 s[2:3], vcc
; %bb.35:
	v_cmp_lt_i64_e32 vcc, v[2:3], v[4:5]
	v_cndmask_b32_e64 v6, v6, 1, s[0:1]
	s_and_b64 vcc, s[0:1], vcc
	v_cndmask_b32_e32 v2, v4, v2, vcc
	v_and_b32_e32 v4, 1, v6
	v_cndmask_b32_e32 v3, v5, v3, vcc
	v_cmp_eq_u32_e32 vcc, 1, v4
	s_andn2_b64 s[0:1], s[0:1], exec
	s_and_b64 s[28:29], vcc, exec
	v_and_b32_e32 v1, 0xff, v6
	s_or_b64 s[0:1], s[0:1], s[28:29]
; %bb.36:
	s_or_b64 exec, exec, s[2:3]
	v_mov_b32_dpp v6, v1 row_bcast:31 row_mask:0xf bank_mask:0xf bound_ctrl:1
	v_and_b32_e32 v7, 1, v6
	v_mov_b32_dpp v4, v2 row_bcast:31 row_mask:0xf bank_mask:0xf bound_ctrl:1
	v_mov_b32_dpp v5, v3 row_bcast:31 row_mask:0xf bank_mask:0xf bound_ctrl:1
	v_cmp_eq_u32_e32 vcc, 1, v7
	s_and_saveexec_b64 s[2:3], vcc
; %bb.37:
	v_cmp_lt_i64_e32 vcc, v[2:3], v[4:5]
	v_and_b32_e32 v1, 0xff, v6
	s_and_b64 vcc, s[0:1], vcc
	v_cndmask_b32_e32 v2, v4, v2, vcc
	v_cndmask_b32_e32 v3, v5, v3, vcc
	v_cndmask_b32_e64 v1, v1, 1, s[0:1]
; %bb.38:
	s_or_b64 exec, exec, s[2:3]
	v_mbcnt_lo_u32_b32 v4, -1, 0
	v_mbcnt_hi_u32_b32 v4, -1, v4
	v_bfrev_b32_e32 v5, 0.5
	v_lshl_or_b32 v5, v4, 2, v5
	ds_bpermute_b32 v6, v5, v1
	ds_bpermute_b32 v2, v5, v2
	ds_bpermute_b32 v3, v5, v3
	v_cmp_eq_u32_e32 vcc, 0, v4
	s_and_saveexec_b64 s[0:1], vcc
	s_cbranch_execz .LBB116_40
; %bb.39:
	v_lshrrev_b32_e32 v1, 2, v0
	v_and_b32_e32 v1, 48, v1
	s_waitcnt lgkmcnt(2)
	ds_write_b8 v1, v6 offset:128
	s_waitcnt lgkmcnt(1)
	ds_write_b64 v1, v[2:3] offset:136
.LBB116_40:
	s_or_b64 exec, exec, s[0:1]
	v_cmp_gt_u32_e32 vcc, 64, v0
	s_waitcnt lgkmcnt(0)
	s_barrier
	s_and_saveexec_b64 s[2:3], vcc
	s_cbranch_execz .LBB116_42
; %bb.41:
	v_and_b32_e32 v1, 3, v4
	v_lshlrev_b32_e32 v2, 4, v1
	ds_read_u8 v5, v2 offset:128
	ds_read_b64 v[2:3], v2 offset:136
	v_cmp_ne_u32_e32 vcc, 3, v1
	v_addc_co_u32_e32 v6, vcc, 0, v4, vcc
	s_waitcnt lgkmcnt(1)
	v_and_b32_e32 v7, 0xff, v5
	v_lshlrev_b32_e32 v8, 2, v6
	ds_bpermute_b32 v9, v8, v7
	s_waitcnt lgkmcnt(1)
	ds_bpermute_b32 v6, v8, v2
	ds_bpermute_b32 v7, v8, v3
	v_and_b32_e32 v8, 1, v5
	s_waitcnt lgkmcnt(2)
	v_and_b32_e32 v10, 1, v9
	v_cmp_eq_u32_e64 s[0:1], 1, v10
	s_waitcnt lgkmcnt(0)
	v_cmp_lt_i64_e32 vcc, v[6:7], v[2:3]
	s_and_b64 vcc, s[0:1], vcc
	v_cndmask_b32_e64 v5, v5, 1, s[0:1]
	v_cndmask_b32_e32 v2, v2, v6, vcc
	v_cndmask_b32_e32 v3, v3, v7, vcc
	v_cmp_eq_u32_e32 vcc, 1, v8
	v_cndmask_b32_e32 v8, v9, v5, vcc
	v_cndmask_b32_e32 v3, v7, v3, vcc
	;; [unrolled: 1-line block ×3, first 2 shown]
	v_cmp_gt_u32_e32 vcc, 2, v1
	v_cndmask_b32_e64 v1, 0, 1, vcc
	v_lshlrev_b32_e32 v1, 1, v1
	v_and_b32_e32 v5, 0xff, v8
	v_add_lshl_u32 v1, v1, v4, 2
	ds_bpermute_b32 v6, v1, v5
	ds_bpermute_b32 v4, v1, v2
	;; [unrolled: 1-line block ×3, first 2 shown]
	v_and_b32_e32 v1, 1, v8
	s_waitcnt lgkmcnt(2)
	v_and_b32_e32 v7, 1, v6
	v_cmp_eq_u32_e64 s[0:1], 1, v7
	s_waitcnt lgkmcnt(0)
	v_cmp_lt_i64_e32 vcc, v[4:5], v[2:3]
	s_and_b64 vcc, s[0:1], vcc
	v_cndmask_b32_e64 v7, v8, 1, s[0:1]
	v_cndmask_b32_e32 v2, v2, v4, vcc
	v_cndmask_b32_e32 v3, v3, v5, vcc
	v_cmp_eq_u32_e32 vcc, 1, v1
	v_cndmask_b32_e32 v1, v6, v7, vcc
	v_cndmask_b32_e32 v3, v5, v3, vcc
	;; [unrolled: 1-line block ×3, first 2 shown]
	v_and_b32_e32 v6, 0xff, v1
.LBB116_42:
	s_or_b64 exec, exec, s[2:3]
	s_branch .LBB116_128
.LBB116_43:
                                        ; implicit-def: $vgpr4_vgpr5
                                        ; implicit-def: $vgpr1
	s_branch .LBB116_208
.LBB116_44:
                                        ; implicit-def: $vgpr2_vgpr3
                                        ; implicit-def: $vgpr7
	s_cbranch_execz .LBB116_89
; %bb.45:
	s_sub_i32 s39, s22, s14
	v_pk_mov_b32 v[4:5], 0, 0
	v_cmp_gt_u32_e32 vcc, s39, v0
	v_mov_b32_e32 v18, 0
	v_pk_mov_b32 v[2:3], v[4:5], v[4:5] op_sel:[0,1]
	v_mov_b32_e32 v1, 0
	s_and_saveexec_b64 s[0:1], vcc
	s_cbranch_execz .LBB116_47
; %bb.46:
	v_lshlrev_b32_e32 v1, 3, v0
	global_load_dwordx2 v[6:7], v1, s[16:17]
	global_load_dwordx2 v[8:9], v1, s[30:31]
	v_mov_b32_e32 v1, s38
	v_add_co_u32_e32 v2, vcc, s37, v0
	v_addc_co_u32_e32 v3, vcc, 0, v1, vcc
	s_waitcnt vmcnt(0)
	v_cmp_ne_u64_e32 vcc, v[6:7], v[8:9]
	v_cndmask_b32_e64 v1, 0, 1, vcc
.LBB116_47:
	s_or_b64 exec, exec, s[0:1]
	v_or_b32_e32 v6, 0x100, v0
	v_cmp_gt_u32_e64 s[8:9], s39, v6
	s_and_saveexec_b64 s[0:1], s[8:9]
	s_cbranch_execz .LBB116_49
; %bb.48:
	v_lshlrev_b32_e32 v4, 3, v0
	global_load_dwordx2 v[8:9], v4, s[16:17] offset:2048
	global_load_dwordx2 v[10:11], v4, s[30:31] offset:2048
	v_mov_b32_e32 v5, s38
	v_add_co_u32_e32 v4, vcc, s37, v6
	v_addc_co_u32_e32 v5, vcc, 0, v5, vcc
	s_waitcnt vmcnt(0)
	v_cmp_ne_u64_e32 vcc, v[8:9], v[10:11]
	v_cndmask_b32_e64 v18, 0, 1, vcc
.LBB116_49:
	s_or_b64 exec, exec, s[0:1]
	v_or_b32_e32 v8, 0x200, v0
	v_pk_mov_b32 v[6:7], 0, 0
	v_cmp_gt_u32_e32 vcc, s39, v8
	v_mov_b32_e32 v19, 0
	v_pk_mov_b32 v[12:13], v[6:7], v[6:7] op_sel:[0,1]
	v_mov_b32_e32 v23, 0
	s_and_saveexec_b64 s[2:3], vcc
	s_cbranch_execz .LBB116_51
; %bb.50:
	v_lshlrev_b32_e32 v9, 3, v8
	global_load_dwordx2 v[10:11], v9, s[16:17]
	global_load_dwordx2 v[14:15], v9, s[30:31]
	v_mov_b32_e32 v9, s38
	v_add_co_u32_e64 v12, s[0:1], s37, v8
	v_addc_co_u32_e64 v13, s[0:1], 0, v9, s[0:1]
	s_waitcnt vmcnt(0)
	v_cmp_ne_u64_e64 s[0:1], v[10:11], v[14:15]
	v_cndmask_b32_e64 v23, 0, 1, s[0:1]
.LBB116_51:
	s_or_b64 exec, exec, s[2:3]
	v_or_b32_e32 v8, 0x300, v0
	v_cmp_gt_u32_e64 s[10:11], s39, v8
	s_and_saveexec_b64 s[2:3], s[10:11]
	s_cbranch_execz .LBB116_53
; %bb.52:
	v_lshlrev_b32_e32 v6, 3, v8
	global_load_dwordx2 v[10:11], v6, s[16:17]
	global_load_dwordx2 v[14:15], v6, s[30:31]
	v_mov_b32_e32 v7, s38
	v_add_co_u32_e64 v6, s[0:1], s37, v8
	v_addc_co_u32_e64 v7, s[0:1], 0, v7, s[0:1]
	s_waitcnt vmcnt(0)
	v_cmp_ne_u64_e64 s[0:1], v[10:11], v[14:15]
	v_cndmask_b32_e64 v19, 0, 1, s[0:1]
.LBB116_53:
	s_or_b64 exec, exec, s[2:3]
	v_or_b32_e32 v10, 0x400, v0
	v_pk_mov_b32 v[8:9], 0, 0
	v_cmp_gt_u32_e64 s[0:1], s39, v10
	v_mov_b32_e32 v20, 0
	v_pk_mov_b32 v[14:15], v[8:9], v[8:9] op_sel:[0,1]
	v_mov_b32_e32 v24, 0
	s_and_saveexec_b64 s[12:13], s[0:1]
	s_cbranch_execz .LBB116_55
; %bb.54:
	v_lshlrev_b32_e32 v11, 3, v10
	global_load_dwordx2 v[16:17], v11, s[16:17]
	global_load_dwordx2 v[24:25], v11, s[30:31]
	v_mov_b32_e32 v11, s38
	v_add_co_u32_e64 v14, s[2:3], s37, v10
	v_addc_co_u32_e64 v15, s[2:3], 0, v11, s[2:3]
	s_waitcnt vmcnt(0)
	v_cmp_ne_u64_e64 s[2:3], v[16:17], v[24:25]
	v_cndmask_b32_e64 v24, 0, 1, s[2:3]
.LBB116_55:
	s_or_b64 exec, exec, s[12:13]
	v_or_b32_e32 v10, 0x500, v0
	v_cmp_gt_u32_e64 s[12:13], s39, v10
	s_and_saveexec_b64 s[14:15], s[12:13]
	s_cbranch_execz .LBB116_57
; %bb.56:
	v_lshlrev_b32_e32 v8, 3, v10
	global_load_dwordx2 v[16:17], v8, s[16:17]
	global_load_dwordx2 v[20:21], v8, s[30:31]
	v_mov_b32_e32 v9, s38
	v_add_co_u32_e64 v8, s[2:3], s37, v10
	v_addc_co_u32_e64 v9, s[2:3], 0, v9, s[2:3]
	s_waitcnt vmcnt(0)
	v_cmp_ne_u64_e64 s[2:3], v[16:17], v[20:21]
	v_cndmask_b32_e64 v20, 0, 1, s[2:3]
.LBB116_57:
	s_or_b64 exec, exec, s[14:15]
	v_or_b32_e32 v25, 0x600, v0
	v_pk_mov_b32 v[10:11], 0, 0
	v_cmp_gt_u32_e64 s[2:3], s39, v25
	v_mov_b32_e32 v21, 0
	v_mov_b32_e32 v22, 0
	v_pk_mov_b32 v[16:17], v[10:11], v[10:11] op_sel:[0,1]
	s_and_saveexec_b64 s[34:35], s[2:3]
	s_cbranch_execz .LBB116_59
; %bb.58:
	v_lshlrev_b32_e32 v16, 3, v25
	global_load_dwordx2 v[26:27], v16, s[16:17]
	global_load_dwordx2 v[28:29], v16, s[30:31]
	v_mov_b32_e32 v17, s38
	v_add_co_u32_e64 v16, s[14:15], s37, v25
	v_addc_co_u32_e64 v17, s[14:15], 0, v17, s[14:15]
	s_waitcnt vmcnt(0)
	v_cmp_ne_u64_e64 s[14:15], v[26:27], v[28:29]
	v_cndmask_b32_e64 v22, 0, 1, s[14:15]
.LBB116_59:
	s_or_b64 exec, exec, s[34:35]
	v_or_b32_e32 v25, 0x700, v0
	v_cmp_gt_u32_e64 s[14:15], s39, v25
	s_and_saveexec_b64 s[34:35], s[14:15]
	s_cbranch_execnz .LBB116_240
; %bb.60:
	s_or_b64 exec, exec, s[34:35]
	s_and_saveexec_b64 s[30:31], s[8:9]
	s_cbranch_execnz .LBB116_241
.LBB116_61:
	s_or_b64 exec, exec, s[30:31]
	s_and_saveexec_b64 s[16:17], vcc
	s_cbranch_execnz .LBB116_242
.LBB116_62:
	s_or_b64 exec, exec, s[16:17]
	s_and_saveexec_b64 s[16:17], s[10:11]
	s_cbranch_execnz .LBB116_243
.LBB116_63:
	s_or_b64 exec, exec, s[16:17]
	s_and_saveexec_b64 s[8:9], s[0:1]
	s_cbranch_execnz .LBB116_244
.LBB116_64:
	s_or_b64 exec, exec, s[8:9]
	s_and_saveexec_b64 s[8:9], s[12:13]
	s_cbranch_execnz .LBB116_245
.LBB116_65:
	s_or_b64 exec, exec, s[8:9]
	s_and_saveexec_b64 s[8:9], s[2:3]
	s_cbranch_execnz .LBB116_246
.LBB116_66:
	s_or_b64 exec, exec, s[8:9]
	s_and_saveexec_b64 s[2:3], s[14:15]
	s_cbranch_execz .LBB116_68
.LBB116_67:
	v_and_b32_e32 v5, 1, v21
	v_cmp_lt_i64_e32 vcc, v[10:11], v[2:3]
	v_cmp_eq_u32_e64 s[0:1], 1, v5
	v_and_b32_e32 v4, 1, v1
	s_and_b64 vcc, s[0:1], vcc
	v_cndmask_b32_e64 v1, v1, 1, s[0:1]
	v_cndmask_b32_e32 v2, v2, v10, vcc
	v_cndmask_b32_e32 v3, v3, v11, vcc
	v_cmp_eq_u32_e32 vcc, 1, v4
	v_cndmask_b32_e32 v1, v21, v1, vcc
	v_cndmask_b32_e32 v3, v11, v3, vcc
	;; [unrolled: 1-line block ×3, first 2 shown]
.LBB116_68:
	s_or_b64 exec, exec, s[2:3]
	v_mbcnt_lo_u32_b32 v4, -1, 0
	v_mbcnt_hi_u32_b32 v6, -1, v4
	v_and_b32_e32 v8, 63, v6
	v_cmp_ne_u32_e32 vcc, 63, v8
	v_addc_co_u32_e32 v4, vcc, 0, v6, vcc
	v_and_b32_e32 v7, 0xffff, v1
	v_lshlrev_b32_e32 v5, 2, v4
	ds_bpermute_b32 v11, v5, v7
	ds_bpermute_b32 v4, v5, v2
	;; [unrolled: 1-line block ×3, first 2 shown]
	s_min_u32 s8, s39, 0x100
	v_and_b32_e32 v9, 0xc0, v0
	v_sub_u32_e64 v10, s8, v9 clamp
	v_add_u32_e32 v9, 1, v8
	v_cmp_lt_u32_e32 vcc, v9, v10
	v_mov_b32_e32 v9, v7
	s_and_saveexec_b64 s[0:1], vcc
	s_xor_b64 s[2:3], exec, s[0:1]
	s_cbranch_execz .LBB116_70
; %bb.69:
	s_waitcnt lgkmcnt(2)
	v_and_b32_e32 v9, 1, v11
	s_waitcnt lgkmcnt(0)
	v_cmp_lt_i64_e32 vcc, v[4:5], v[2:3]
	v_cmp_eq_u32_e64 s[0:1], 1, v9
	v_and_b32_e32 v1, 1, v1
	s_and_b64 vcc, s[0:1], vcc
	v_cndmask_b32_e64 v7, v7, 1, s[0:1]
	v_cndmask_b32_e32 v2, v2, v4, vcc
	v_cndmask_b32_e32 v3, v3, v5, vcc
	v_cmp_eq_u32_e32 vcc, 1, v1
	v_cndmask_b32_e32 v9, v11, v7, vcc
	v_cndmask_b32_e32 v3, v5, v3, vcc
	;; [unrolled: 1-line block ×3, first 2 shown]
	v_and_b32_e32 v7, 0xff, v9
.LBB116_70:
	s_or_b64 exec, exec, s[2:3]
	v_cmp_gt_u32_e32 vcc, 62, v8
	v_cndmask_b32_e64 v1, 0, 1, vcc
	v_lshlrev_b32_e32 v1, 1, v1
	s_waitcnt lgkmcnt(0)
	v_add_lshl_u32 v5, v1, v6, 2
	ds_bpermute_b32 v1, v5, v7
	ds_bpermute_b32 v4, v5, v2
	ds_bpermute_b32 v5, v5, v3
	v_add_u32_e32 v11, 2, v8
	v_cmp_lt_u32_e32 vcc, v11, v10
	s_and_saveexec_b64 s[2:3], vcc
	s_cbranch_execz .LBB116_72
; %bb.71:
	s_waitcnt lgkmcnt(2)
	v_and_b32_e32 v11, 1, v1
	s_waitcnt lgkmcnt(0)
	v_cmp_lt_i64_e32 vcc, v[4:5], v[2:3]
	v_cmp_eq_u32_e64 s[0:1], 1, v11
	v_and_b32_e32 v7, 1, v9
	s_and_b64 vcc, s[0:1], vcc
	v_cndmask_b32_e64 v9, v9, 1, s[0:1]
	v_cndmask_b32_e32 v2, v2, v4, vcc
	v_cndmask_b32_e32 v3, v3, v5, vcc
	v_cmp_eq_u32_e32 vcc, 1, v7
	v_cndmask_b32_e32 v9, v1, v9, vcc
	v_cndmask_b32_e32 v3, v5, v3, vcc
	v_cndmask_b32_e32 v2, v4, v2, vcc
	v_and_b32_e32 v7, 0xff, v9
.LBB116_72:
	s_or_b64 exec, exec, s[2:3]
	v_cmp_gt_u32_e32 vcc, 60, v8
	s_waitcnt lgkmcnt(2)
	v_cndmask_b32_e64 v1, 0, 1, vcc
	v_lshlrev_b32_e32 v1, 2, v1
	s_waitcnt lgkmcnt(0)
	v_add_lshl_u32 v5, v1, v6, 2
	ds_bpermute_b32 v1, v5, v7
	ds_bpermute_b32 v4, v5, v2
	ds_bpermute_b32 v5, v5, v3
	v_add_u32_e32 v11, 4, v8
	v_cmp_lt_u32_e32 vcc, v11, v10
	s_and_saveexec_b64 s[2:3], vcc
	s_cbranch_execz .LBB116_74
; %bb.73:
	s_waitcnt lgkmcnt(2)
	v_and_b32_e32 v11, 1, v1
	s_waitcnt lgkmcnt(0)
	v_cmp_lt_i64_e32 vcc, v[4:5], v[2:3]
	v_cmp_eq_u32_e64 s[0:1], 1, v11
	v_and_b32_e32 v7, 1, v9
	s_and_b64 vcc, s[0:1], vcc
	v_cndmask_b32_e64 v9, v9, 1, s[0:1]
	v_cndmask_b32_e32 v2, v2, v4, vcc
	v_cndmask_b32_e32 v3, v3, v5, vcc
	v_cmp_eq_u32_e32 vcc, 1, v7
	v_cndmask_b32_e32 v9, v1, v9, vcc
	v_cndmask_b32_e32 v3, v5, v3, vcc
	v_cndmask_b32_e32 v2, v4, v2, vcc
	v_and_b32_e32 v7, 0xff, v9
.LBB116_74:
	s_or_b64 exec, exec, s[2:3]
	v_cmp_gt_u32_e32 vcc, 56, v8
	s_waitcnt lgkmcnt(2)
	;; [unrolled: 31-line block ×4, first 2 shown]
	v_cndmask_b32_e64 v1, 0, 1, vcc
	v_lshlrev_b32_e32 v1, 5, v1
	s_waitcnt lgkmcnt(0)
	v_add_lshl_u32 v5, v1, v6, 2
	ds_bpermute_b32 v1, v5, v7
	ds_bpermute_b32 v4, v5, v2
	;; [unrolled: 1-line block ×3, first 2 shown]
	v_add_u32_e32 v8, 32, v8
	v_cmp_lt_u32_e32 vcc, v8, v10
	s_and_saveexec_b64 s[2:3], vcc
	s_cbranch_execz .LBB116_80
; %bb.79:
	s_waitcnt lgkmcnt(2)
	v_and_b32_e32 v8, 1, v1
	s_waitcnt lgkmcnt(0)
	v_cmp_lt_i64_e32 vcc, v[4:5], v[2:3]
	v_cmp_eq_u32_e64 s[0:1], 1, v8
	v_and_b32_e32 v7, 1, v9
	s_and_b64 vcc, s[0:1], vcc
	v_cndmask_b32_e64 v8, v9, 1, s[0:1]
	v_cndmask_b32_e32 v2, v2, v4, vcc
	v_cndmask_b32_e32 v3, v3, v5, vcc
	v_cmp_eq_u32_e32 vcc, 1, v7
	v_cndmask_b32_e32 v9, v1, v8, vcc
	v_cndmask_b32_e32 v3, v5, v3, vcc
	;; [unrolled: 1-line block ×3, first 2 shown]
	v_and_b32_e32 v7, 0xff, v9
.LBB116_80:
	s_or_b64 exec, exec, s[2:3]
	v_cmp_eq_u32_e32 vcc, 0, v6
	s_and_saveexec_b64 s[0:1], vcc
	s_cbranch_execz .LBB116_82
; %bb.81:
	s_waitcnt lgkmcnt(2)
	v_lshrrev_b32_e32 v1, 2, v0
	v_and_b32_e32 v1, 48, v1
	ds_write_b8 v1, v9 offset:256
	ds_write_b64 v1, v[2:3] offset:264
.LBB116_82:
	s_or_b64 exec, exec, s[0:1]
	v_cmp_gt_u32_e32 vcc, 4, v0
	s_waitcnt lgkmcnt(0)
	s_barrier
	s_and_saveexec_b64 s[2:3], vcc
	s_cbranch_execz .LBB116_88
; %bb.83:
	v_lshlrev_b32_e32 v2, 4, v6
	ds_read_u8 v1, v2 offset:256
	ds_read_b64 v[2:3], v2 offset:264
	v_and_b32_e32 v8, 3, v6
	v_cmp_ne_u32_e32 vcc, 3, v8
	v_addc_co_u32_e32 v4, vcc, 0, v6, vcc
	s_waitcnt lgkmcnt(1)
	v_and_b32_e32 v7, 0xff, v1
	v_lshlrev_b32_e32 v5, 2, v4
	ds_bpermute_b32 v9, v5, v7
	s_waitcnt lgkmcnt(1)
	ds_bpermute_b32 v4, v5, v2
	ds_bpermute_b32 v5, v5, v3
	s_add_i32 s8, s8, 63
	s_lshr_b32 s10, s8, 6
	v_add_u32_e32 v10, 1, v8
	v_cmp_gt_u32_e32 vcc, s10, v10
	s_and_saveexec_b64 s[8:9], vcc
	s_cbranch_execz .LBB116_85
; %bb.84:
	s_waitcnt lgkmcnt(2)
	v_and_b32_e32 v10, 1, v9
	s_waitcnt lgkmcnt(0)
	v_cmp_lt_i64_e32 vcc, v[4:5], v[2:3]
	v_cmp_eq_u32_e64 s[0:1], 1, v10
	v_and_b32_e32 v7, 1, v1
	s_and_b64 vcc, s[0:1], vcc
	v_cndmask_b32_e64 v1, v1, 1, s[0:1]
	v_cndmask_b32_e32 v2, v2, v4, vcc
	v_cndmask_b32_e32 v3, v3, v5, vcc
	v_cmp_eq_u32_e32 vcc, 1, v7
	v_cndmask_b32_e32 v1, v9, v1, vcc
	v_cndmask_b32_e32 v3, v5, v3, vcc
	;; [unrolled: 1-line block ×3, first 2 shown]
	v_and_b32_e32 v7, 0xff, v1
.LBB116_85:
	s_or_b64 exec, exec, s[8:9]
	v_cmp_gt_u32_e32 vcc, 2, v8
	s_waitcnt lgkmcnt(1)
	v_cndmask_b32_e64 v4, 0, 1, vcc
	v_lshlrev_b32_e32 v4, 1, v4
	s_waitcnt lgkmcnt(0)
	v_add_lshl_u32 v5, v4, v6, 2
	ds_bpermute_b32 v6, v5, v7
	ds_bpermute_b32 v4, v5, v2
	;; [unrolled: 1-line block ×3, first 2 shown]
	v_add_u32_e32 v8, 2, v8
	v_cmp_gt_u32_e32 vcc, s10, v8
	s_and_saveexec_b64 s[8:9], vcc
	s_cbranch_execz .LBB116_87
; %bb.86:
	s_waitcnt lgkmcnt(2)
	v_and_b32_e32 v8, 1, v6
	s_waitcnt lgkmcnt(0)
	v_cmp_lt_i64_e32 vcc, v[4:5], v[2:3]
	v_cmp_eq_u32_e64 s[0:1], 1, v8
	v_and_b32_e32 v7, 1, v1
	s_and_b64 vcc, s[0:1], vcc
	v_cndmask_b32_e64 v1, v1, 1, s[0:1]
	v_cndmask_b32_e32 v2, v2, v4, vcc
	v_cndmask_b32_e32 v3, v3, v5, vcc
	v_cmp_eq_u32_e32 vcc, 1, v7
	v_cndmask_b32_e32 v1, v6, v1, vcc
	v_cndmask_b32_e32 v3, v5, v3, vcc
	;; [unrolled: 1-line block ×3, first 2 shown]
	v_and_b32_e32 v7, 0xff, v1
.LBB116_87:
	s_or_b64 exec, exec, s[8:9]
.LBB116_88:
	s_or_b64 exec, exec, s[2:3]
.LBB116_89:
	v_cmp_eq_u32_e32 vcc, 0, v0
	s_mov_b64 s[10:11], 0
                                        ; implicit-def: $vgpr4_vgpr5
                                        ; implicit-def: $vgpr1
	s_and_saveexec_b64 s[0:1], vcc
	s_xor_b64 s[8:9], exec, s[0:1]
	s_cbranch_execz .LBB116_93
; %bb.90:
	s_cmp_eq_u64 s[22:23], 0
	s_waitcnt lgkmcnt(0)
	v_pk_mov_b32 v[4:5], s[18:19], s[18:19] op_sel:[0,1]
	v_mov_b32_e32 v1, s33
	s_cbranch_scc1 .LBB116_92
; %bb.91:
	v_and_b32_e32 v1, 1, v7
	s_bitcmp1_b32 s33, 0
	v_mov_b32_e32 v4, s33
	v_cmp_eq_u32_e32 vcc, 1, v1
	v_cmp_gt_i64_e64 s[2:3], s[18:19], v[2:3]
	v_cndmask_b32_e64 v1, v4, 1, vcc
	s_cselect_b64 s[0:1], -1, 0
	v_mov_b32_e32 v4, s18
	s_and_b64 vcc, vcc, s[2:3]
	v_mov_b32_e32 v5, s19
	v_cndmask_b32_e32 v4, v4, v2, vcc
	v_cndmask_b32_e32 v5, v5, v3, vcc
	v_cndmask_b32_e64 v1, v7, v1, s[0:1]
	v_cndmask_b32_e64 v5, v3, v5, s[0:1]
	;; [unrolled: 1-line block ×3, first 2 shown]
.LBB116_92:
	s_mov_b64 s[10:11], exec
.LBB116_93:
	s_or_b64 exec, exec, s[8:9]
	s_and_b64 vcc, exec, s[28:29]
	s_cbranch_vccnz .LBB116_24
.LBB116_94:
	s_branch .LBB116_208
.LBB116_95:
                                        ; implicit-def: $vgpr2_vgpr3
                                        ; implicit-def: $vgpr6
	s_cbranch_execz .LBB116_128
; %bb.96:
	s_sub_i32 s28, s22, s14
	s_waitcnt lgkmcnt(0)
	v_pk_mov_b32 v[4:5], 0, 0
	v_cmp_gt_u32_e32 vcc, s28, v0
	v_mov_b32_e32 v1, 0
	v_pk_mov_b32 v[2:3], v[4:5], v[4:5] op_sel:[0,1]
	v_mov_b32_e32 v10, 0
	s_and_saveexec_b64 s[0:1], vcc
	s_cbranch_execz .LBB116_98
; %bb.97:
	v_lshlrev_b32_e32 v2, 3, v0
	global_load_dwordx2 v[6:7], v2, s[8:9]
	global_load_dwordx2 v[8:9], v2, s[12:13]
	v_mov_b32_e32 v3, s17
	v_add_co_u32_e32 v2, vcc, s16, v0
	v_addc_co_u32_e32 v3, vcc, 0, v3, vcc
	s_waitcnt vmcnt(0)
	v_cmp_ne_u64_e32 vcc, v[6:7], v[8:9]
	v_cndmask_b32_e64 v10, 0, 1, vcc
.LBB116_98:
	s_or_b64 exec, exec, s[0:1]
	v_or_b32_e32 v6, 0x100, v0
	v_cmp_gt_u32_e64 s[0:1], s28, v6
	s_and_saveexec_b64 s[2:3], s[0:1]
	s_cbranch_execz .LBB116_100
; %bb.99:
	v_lshlrev_b32_e32 v1, 3, v0
	global_load_dwordx2 v[8:9], v1, s[8:9] offset:2048
	global_load_dwordx2 v[12:13], v1, s[12:13] offset:2048
	v_mov_b32_e32 v1, s17
	v_add_co_u32_e32 v4, vcc, s16, v6
	v_addc_co_u32_e32 v5, vcc, 0, v1, vcc
	s_waitcnt vmcnt(0)
	v_cmp_ne_u64_e32 vcc, v[8:9], v[12:13]
	v_cndmask_b32_e64 v1, 0, 1, vcc
.LBB116_100:
	s_or_b64 exec, exec, s[2:3]
	v_or_b32_e32 v13, 0x200, v0
	v_pk_mov_b32 v[6:7], 0, 0
	v_cmp_gt_u32_e32 vcc, s28, v13
	v_mov_b32_e32 v11, 0
	v_pk_mov_b32 v[8:9], v[6:7], v[6:7] op_sel:[0,1]
	v_mov_b32_e32 v12, 0
	s_and_saveexec_b64 s[14:15], vcc
	s_cbranch_execz .LBB116_102
; %bb.101:
	v_lshlrev_b32_e32 v8, 3, v13
	global_load_dwordx2 v[14:15], v8, s[8:9]
	global_load_dwordx2 v[16:17], v8, s[12:13]
	v_mov_b32_e32 v9, s17
	v_add_co_u32_e64 v8, s[2:3], s16, v13
	v_addc_co_u32_e64 v9, s[2:3], 0, v9, s[2:3]
	s_waitcnt vmcnt(0)
	v_cmp_ne_u64_e64 s[2:3], v[14:15], v[16:17]
	v_cndmask_b32_e64 v12, 0, 1, s[2:3]
.LBB116_102:
	s_or_b64 exec, exec, s[14:15]
	v_or_b32_e32 v13, 0x300, v0
	v_cmp_gt_u32_e64 s[2:3], s28, v13
	s_and_saveexec_b64 s[14:15], s[2:3]
	s_cbranch_execnz .LBB116_247
; %bb.103:
	s_or_b64 exec, exec, s[14:15]
	s_and_saveexec_b64 s[12:13], s[0:1]
	s_cbranch_execnz .LBB116_248
.LBB116_104:
	s_or_b64 exec, exec, s[12:13]
	s_and_saveexec_b64 s[8:9], vcc
	s_cbranch_execnz .LBB116_249
.LBB116_105:
	s_or_b64 exec, exec, s[8:9]
	s_and_saveexec_b64 s[8:9], s[2:3]
	s_cbranch_execz .LBB116_107
.LBB116_106:
	v_and_b32_e32 v4, 1, v11
	v_cmp_lt_i64_e32 vcc, v[6:7], v[2:3]
	v_cmp_eq_u32_e64 s[0:1], 1, v4
	v_and_b32_e32 v1, 1, v10
	s_and_b64 vcc, s[0:1], vcc
	v_cndmask_b32_e64 v4, v10, 1, s[0:1]
	v_cndmask_b32_e32 v2, v2, v6, vcc
	v_cndmask_b32_e32 v3, v3, v7, vcc
	v_cmp_eq_u32_e32 vcc, 1, v1
	v_cndmask_b32_e32 v10, v11, v4, vcc
	v_cndmask_b32_e32 v3, v7, v3, vcc
	;; [unrolled: 1-line block ×3, first 2 shown]
.LBB116_107:
	s_or_b64 exec, exec, s[8:9]
	v_mbcnt_lo_u32_b32 v1, -1, 0
	v_mbcnt_hi_u32_b32 v1, -1, v1
	v_and_b32_e32 v7, 63, v1
	v_cmp_ne_u32_e32 vcc, 63, v7
	v_addc_co_u32_e32 v4, vcc, 0, v1, vcc
	v_and_b32_e32 v6, 0xffff, v10
	v_lshlrev_b32_e32 v5, 2, v4
	ds_bpermute_b32 v11, v5, v6
	ds_bpermute_b32 v4, v5, v2
	ds_bpermute_b32 v5, v5, v3
	s_min_u32 s8, s28, 0x100
	v_and_b32_e32 v8, 0xc0, v0
	v_sub_u32_e64 v9, s8, v8 clamp
	v_add_u32_e32 v8, 1, v7
	v_cmp_lt_u32_e32 vcc, v8, v9
	v_mov_b32_e32 v8, v6
	s_and_saveexec_b64 s[0:1], vcc
	s_xor_b64 s[2:3], exec, s[0:1]
	s_cbranch_execz .LBB116_109
; %bb.108:
	v_and_b32_e32 v8, 1, v10
	s_waitcnt lgkmcnt(2)
	v_and_b32_e32 v10, 1, v11
	s_waitcnt lgkmcnt(0)
	v_cmp_lt_i64_e32 vcc, v[4:5], v[2:3]
	v_cmp_eq_u32_e64 s[0:1], 1, v10
	s_and_b64 vcc, s[0:1], vcc
	v_cndmask_b32_e64 v6, v6, 1, s[0:1]
	v_cndmask_b32_e32 v2, v2, v4, vcc
	v_cndmask_b32_e32 v3, v3, v5, vcc
	v_cmp_eq_u32_e32 vcc, 1, v8
	v_cndmask_b32_e32 v8, v11, v6, vcc
	v_cndmask_b32_e32 v3, v5, v3, vcc
	;; [unrolled: 1-line block ×3, first 2 shown]
	v_and_b32_e32 v6, 0xff, v8
.LBB116_109:
	s_or_b64 exec, exec, s[2:3]
	v_cmp_gt_u32_e32 vcc, 62, v7
	s_waitcnt lgkmcnt(1)
	v_cndmask_b32_e64 v4, 0, 1, vcc
	v_lshlrev_b32_e32 v4, 1, v4
	s_waitcnt lgkmcnt(0)
	v_add_lshl_u32 v5, v4, v1, 2
	ds_bpermute_b32 v10, v5, v6
	ds_bpermute_b32 v4, v5, v2
	ds_bpermute_b32 v5, v5, v3
	v_add_u32_e32 v11, 2, v7
	v_cmp_lt_u32_e32 vcc, v11, v9
	s_and_saveexec_b64 s[2:3], vcc
	s_cbranch_execz .LBB116_111
; %bb.110:
	s_waitcnt lgkmcnt(2)
	v_and_b32_e32 v11, 1, v10
	s_waitcnt lgkmcnt(0)
	v_cmp_lt_i64_e32 vcc, v[4:5], v[2:3]
	v_cmp_eq_u32_e64 s[0:1], 1, v11
	v_and_b32_e32 v6, 1, v8
	s_and_b64 vcc, s[0:1], vcc
	v_cndmask_b32_e64 v8, v8, 1, s[0:1]
	v_cndmask_b32_e32 v2, v2, v4, vcc
	v_cndmask_b32_e32 v3, v3, v5, vcc
	v_cmp_eq_u32_e32 vcc, 1, v6
	v_cndmask_b32_e32 v8, v10, v8, vcc
	v_cndmask_b32_e32 v3, v5, v3, vcc
	v_cndmask_b32_e32 v2, v4, v2, vcc
	v_and_b32_e32 v6, 0xff, v8
.LBB116_111:
	s_or_b64 exec, exec, s[2:3]
	v_cmp_gt_u32_e32 vcc, 60, v7
	s_waitcnt lgkmcnt(1)
	v_cndmask_b32_e64 v4, 0, 1, vcc
	v_lshlrev_b32_e32 v4, 2, v4
	s_waitcnt lgkmcnt(0)
	v_add_lshl_u32 v5, v4, v1, 2
	ds_bpermute_b32 v10, v5, v6
	ds_bpermute_b32 v4, v5, v2
	ds_bpermute_b32 v5, v5, v3
	v_add_u32_e32 v11, 4, v7
	v_cmp_lt_u32_e32 vcc, v11, v9
	s_and_saveexec_b64 s[2:3], vcc
	s_cbranch_execz .LBB116_113
; %bb.112:
	s_waitcnt lgkmcnt(2)
	v_and_b32_e32 v11, 1, v10
	s_waitcnt lgkmcnt(0)
	v_cmp_lt_i64_e32 vcc, v[4:5], v[2:3]
	v_cmp_eq_u32_e64 s[0:1], 1, v11
	v_and_b32_e32 v6, 1, v8
	s_and_b64 vcc, s[0:1], vcc
	v_cndmask_b32_e64 v8, v8, 1, s[0:1]
	v_cndmask_b32_e32 v2, v2, v4, vcc
	v_cndmask_b32_e32 v3, v3, v5, vcc
	v_cmp_eq_u32_e32 vcc, 1, v6
	v_cndmask_b32_e32 v8, v10, v8, vcc
	v_cndmask_b32_e32 v3, v5, v3, vcc
	v_cndmask_b32_e32 v2, v4, v2, vcc
	v_and_b32_e32 v6, 0xff, v8
.LBB116_113:
	s_or_b64 exec, exec, s[2:3]
	v_cmp_gt_u32_e32 vcc, 56, v7
	s_waitcnt lgkmcnt(1)
	v_cndmask_b32_e64 v4, 0, 1, vcc
	v_lshlrev_b32_e32 v4, 3, v4
	s_waitcnt lgkmcnt(0)
	v_add_lshl_u32 v5, v4, v1, 2
	ds_bpermute_b32 v10, v5, v6
	ds_bpermute_b32 v4, v5, v2
	ds_bpermute_b32 v5, v5, v3
	v_add_u32_e32 v11, 8, v7
	v_cmp_lt_u32_e32 vcc, v11, v9
	s_and_saveexec_b64 s[2:3], vcc
	s_cbranch_execz .LBB116_115
; %bb.114:
	s_waitcnt lgkmcnt(2)
	v_and_b32_e32 v11, 1, v10
	s_waitcnt lgkmcnt(0)
	v_cmp_lt_i64_e32 vcc, v[4:5], v[2:3]
	v_cmp_eq_u32_e64 s[0:1], 1, v11
	v_and_b32_e32 v6, 1, v8
	s_and_b64 vcc, s[0:1], vcc
	v_cndmask_b32_e64 v8, v8, 1, s[0:1]
	v_cndmask_b32_e32 v2, v2, v4, vcc
	v_cndmask_b32_e32 v3, v3, v5, vcc
	v_cmp_eq_u32_e32 vcc, 1, v6
	v_cndmask_b32_e32 v8, v10, v8, vcc
	v_cndmask_b32_e32 v3, v5, v3, vcc
	v_cndmask_b32_e32 v2, v4, v2, vcc
	v_and_b32_e32 v6, 0xff, v8
.LBB116_115:
	s_or_b64 exec, exec, s[2:3]
	v_cmp_gt_u32_e32 vcc, 48, v7
	s_waitcnt lgkmcnt(1)
	v_cndmask_b32_e64 v4, 0, 1, vcc
	v_lshlrev_b32_e32 v4, 4, v4
	s_waitcnt lgkmcnt(0)
	v_add_lshl_u32 v5, v4, v1, 2
	ds_bpermute_b32 v10, v5, v6
	ds_bpermute_b32 v4, v5, v2
	ds_bpermute_b32 v5, v5, v3
	v_add_u32_e32 v11, 16, v7
	v_cmp_lt_u32_e32 vcc, v11, v9
	s_and_saveexec_b64 s[2:3], vcc
	s_cbranch_execz .LBB116_117
; %bb.116:
	s_waitcnt lgkmcnt(2)
	v_and_b32_e32 v11, 1, v10
	s_waitcnt lgkmcnt(0)
	v_cmp_lt_i64_e32 vcc, v[4:5], v[2:3]
	v_cmp_eq_u32_e64 s[0:1], 1, v11
	v_and_b32_e32 v6, 1, v8
	s_and_b64 vcc, s[0:1], vcc
	v_cndmask_b32_e64 v8, v8, 1, s[0:1]
	v_cndmask_b32_e32 v2, v2, v4, vcc
	v_cndmask_b32_e32 v3, v3, v5, vcc
	v_cmp_eq_u32_e32 vcc, 1, v6
	v_cndmask_b32_e32 v8, v10, v8, vcc
	v_cndmask_b32_e32 v3, v5, v3, vcc
	v_cndmask_b32_e32 v2, v4, v2, vcc
	v_and_b32_e32 v6, 0xff, v8
.LBB116_117:
	s_or_b64 exec, exec, s[2:3]
	v_cmp_gt_u32_e32 vcc, 32, v7
	s_waitcnt lgkmcnt(1)
	v_cndmask_b32_e64 v4, 0, 1, vcc
	v_lshlrev_b32_e32 v4, 5, v4
	s_waitcnt lgkmcnt(0)
	v_add_lshl_u32 v5, v4, v1, 2
	ds_bpermute_b32 v10, v5, v6
	ds_bpermute_b32 v4, v5, v2
	ds_bpermute_b32 v5, v5, v3
	v_add_u32_e32 v7, 32, v7
	v_cmp_lt_u32_e32 vcc, v7, v9
	s_and_saveexec_b64 s[2:3], vcc
	s_cbranch_execz .LBB116_119
; %bb.118:
	s_waitcnt lgkmcnt(2)
	v_and_b32_e32 v7, 1, v10
	s_waitcnt lgkmcnt(0)
	v_cmp_lt_i64_e32 vcc, v[4:5], v[2:3]
	v_cmp_eq_u32_e64 s[0:1], 1, v7
	v_and_b32_e32 v6, 1, v8
	s_and_b64 vcc, s[0:1], vcc
	v_cndmask_b32_e64 v7, v8, 1, s[0:1]
	v_cndmask_b32_e32 v2, v2, v4, vcc
	v_cndmask_b32_e32 v3, v3, v5, vcc
	v_cmp_eq_u32_e32 vcc, 1, v6
	v_cndmask_b32_e32 v8, v10, v7, vcc
	v_cndmask_b32_e32 v3, v5, v3, vcc
	v_cndmask_b32_e32 v2, v4, v2, vcc
	v_and_b32_e32 v6, 0xff, v8
.LBB116_119:
	s_or_b64 exec, exec, s[2:3]
	v_cmp_eq_u32_e32 vcc, 0, v1
	s_and_saveexec_b64 s[0:1], vcc
	s_cbranch_execz .LBB116_121
; %bb.120:
	s_waitcnt lgkmcnt(1)
	v_lshrrev_b32_e32 v4, 2, v0
	v_and_b32_e32 v4, 48, v4
	ds_write_b8 v4, v8 offset:256
	ds_write_b64 v4, v[2:3] offset:264
.LBB116_121:
	s_or_b64 exec, exec, s[0:1]
	v_cmp_gt_u32_e32 vcc, 4, v0
	s_waitcnt lgkmcnt(0)
	s_barrier
	s_and_saveexec_b64 s[2:3], vcc
	s_cbranch_execz .LBB116_127
; %bb.122:
	v_lshlrev_b32_e32 v2, 4, v1
	ds_read_u8 v7, v2 offset:256
	ds_read_b64 v[2:3], v2 offset:264
	v_and_b32_e32 v8, 3, v1
	v_cmp_ne_u32_e32 vcc, 3, v8
	v_addc_co_u32_e32 v4, vcc, 0, v1, vcc
	s_waitcnt lgkmcnt(1)
	v_and_b32_e32 v6, 0xff, v7
	v_lshlrev_b32_e32 v5, 2, v4
	ds_bpermute_b32 v9, v5, v6
	s_waitcnt lgkmcnt(1)
	ds_bpermute_b32 v4, v5, v2
	ds_bpermute_b32 v5, v5, v3
	s_add_i32 s8, s8, 63
	s_lshr_b32 s12, s8, 6
	v_add_u32_e32 v10, 1, v8
	v_cmp_gt_u32_e32 vcc, s12, v10
	s_and_saveexec_b64 s[8:9], vcc
	s_cbranch_execz .LBB116_124
; %bb.123:
	s_waitcnt lgkmcnt(2)
	v_and_b32_e32 v10, 1, v9
	s_waitcnt lgkmcnt(0)
	v_cmp_lt_i64_e32 vcc, v[4:5], v[2:3]
	v_cmp_eq_u32_e64 s[0:1], 1, v10
	v_and_b32_e32 v6, 1, v7
	s_and_b64 vcc, s[0:1], vcc
	v_cndmask_b32_e64 v7, v7, 1, s[0:1]
	v_cndmask_b32_e32 v2, v2, v4, vcc
	v_cndmask_b32_e32 v3, v3, v5, vcc
	v_cmp_eq_u32_e32 vcc, 1, v6
	v_cndmask_b32_e32 v7, v9, v7, vcc
	v_cndmask_b32_e32 v3, v5, v3, vcc
	;; [unrolled: 1-line block ×3, first 2 shown]
	v_and_b32_e32 v6, 0xff, v7
.LBB116_124:
	s_or_b64 exec, exec, s[8:9]
	v_cmp_gt_u32_e32 vcc, 2, v8
	s_waitcnt lgkmcnt(1)
	v_cndmask_b32_e64 v4, 0, 1, vcc
	v_lshlrev_b32_e32 v4, 1, v4
	s_waitcnt lgkmcnt(0)
	v_add_lshl_u32 v5, v4, v1, 2
	ds_bpermute_b32 v1, v5, v6
	ds_bpermute_b32 v4, v5, v2
	ds_bpermute_b32 v5, v5, v3
	v_add_u32_e32 v8, 2, v8
	v_cmp_gt_u32_e32 vcc, s12, v8
	s_and_saveexec_b64 s[8:9], vcc
	s_cbranch_execz .LBB116_126
; %bb.125:
	s_waitcnt lgkmcnt(2)
	v_and_b32_e32 v8, 1, v1
	s_waitcnt lgkmcnt(0)
	v_cmp_lt_i64_e32 vcc, v[4:5], v[2:3]
	v_cmp_eq_u32_e64 s[0:1], 1, v8
	v_and_b32_e32 v6, 1, v7
	s_and_b64 vcc, s[0:1], vcc
	v_cndmask_b32_e64 v7, v7, 1, s[0:1]
	v_cndmask_b32_e32 v2, v2, v4, vcc
	v_cndmask_b32_e32 v3, v3, v5, vcc
	v_cmp_eq_u32_e32 vcc, 1, v6
	v_cndmask_b32_e32 v1, v1, v7, vcc
	v_cndmask_b32_e32 v3, v5, v3, vcc
	;; [unrolled: 1-line block ×3, first 2 shown]
	v_and_b32_e32 v6, 0xff, v1
.LBB116_126:
	s_or_b64 exec, exec, s[8:9]
.LBB116_127:
	s_or_b64 exec, exec, s[2:3]
.LBB116_128:
	v_cmp_eq_u32_e32 vcc, 0, v0
                                        ; implicit-def: $vgpr4_vgpr5
                                        ; implicit-def: $vgpr1
	s_and_saveexec_b64 s[0:1], vcc
	s_xor_b64 s[8:9], exec, s[0:1]
	s_cbranch_execz .LBB116_132
; %bb.129:
	s_cmp_eq_u64 s[22:23], 0
	s_waitcnt lgkmcnt(0)
	v_pk_mov_b32 v[4:5], s[18:19], s[18:19] op_sel:[0,1]
	v_mov_b32_e32 v1, s33
	s_cbranch_scc1 .LBB116_131
; %bb.130:
	v_and_b32_e32 v1, 1, v6
	s_bitcmp1_b32 s33, 0
	v_mov_b32_e32 v4, s33
	v_cmp_eq_u32_e32 vcc, 1, v1
	v_cmp_gt_i64_e64 s[2:3], s[18:19], v[2:3]
	v_cndmask_b32_e64 v1, v4, 1, vcc
	s_cselect_b64 s[0:1], -1, 0
	v_mov_b32_e32 v4, s18
	s_and_b64 vcc, vcc, s[2:3]
	v_mov_b32_e32 v5, s19
	v_cndmask_b32_e32 v4, v4, v2, vcc
	v_cndmask_b32_e32 v5, v5, v3, vcc
	v_cndmask_b32_e64 v1, v6, v1, s[0:1]
	v_cndmask_b32_e64 v5, v3, v5, s[0:1]
	v_cndmask_b32_e64 v4, v2, v4, s[0:1]
.LBB116_131:
	s_or_b64 s[10:11], s[10:11], exec
.LBB116_132:
	s_or_b64 exec, exec, s[8:9]
	s_branch .LBB116_208
.LBB116_133:
	s_cmp_gt_i32 s36, 1
	s_cbranch_scc0 .LBB116_153
; %bb.134:
	s_cmp_eq_u32 s36, 2
	s_cbranch_scc0 .LBB116_154
; %bb.135:
	s_mov_b32 s7, 0
	s_lshl_b32 s12, s6, 9
	s_mov_b32 s13, s7
	s_lshr_b64 s[0:1], s[22:23], 9
	s_lshl_b64 s[8:9], s[12:13], 3
	s_add_u32 s2, s24, s8
	s_addc_u32 s3, s25, s9
	s_add_u32 s8, s26, s8
	s_addc_u32 s9, s27, s9
	;; [unrolled: 2-line block ×3, first 2 shown]
	s_cmp_lg_u64 s[0:1], s[6:7]
	s_cbranch_scc0 .LBB116_155
; %bb.136:
	s_waitcnt lgkmcnt(2)
	v_lshlrev_b32_e32 v1, 3, v0
	global_load_dwordx2 v[2:3], v1, s[8:9] offset:2048
	s_waitcnt lgkmcnt(0)
	global_load_dwordx2 v[4:5], v1, s[8:9]
	global_load_dwordx2 v[6:7], v1, s[2:3] offset:2048
	global_load_dwordx2 v[8:9], v1, s[2:3]
	v_mov_b32_e32 v1, s17
	v_add_co_u32_e32 v10, vcc, s16, v0
	v_addc_co_u32_e32 v1, vcc, 0, v1, vcc
	v_add_co_u32_e32 v11, vcc, 0x100, v10
	v_addc_co_u32_e32 v12, vcc, 0, v1, vcc
	s_waitcnt vmcnt(1)
	v_cmp_ne_u64_e32 vcc, v[6:7], v[2:3]
	s_waitcnt vmcnt(0)
	v_cmp_ne_u64_e64 s[0:1], v[8:9], v[4:5]
	v_cndmask_b32_e64 v3, v12, v1, s[0:1]
	v_cndmask_b32_e64 v2, v11, v10, s[0:1]
	s_or_b64 s[0:1], s[0:1], vcc
	v_cndmask_b32_e64 v1, 0, 1, s[0:1]
	v_mov_b32_dpp v4, v2 quad_perm:[1,0,3,2] row_mask:0xf bank_mask:0xf bound_ctrl:1
	v_mov_b32_dpp v5, v3 quad_perm:[1,0,3,2] row_mask:0xf bank_mask:0xf bound_ctrl:1
	;; [unrolled: 1-line block ×3, first 2 shown]
	v_and_b32_e32 v7, 1, v6
	v_cmp_eq_u32_e32 vcc, 1, v7
	s_and_saveexec_b64 s[14:15], vcc
; %bb.137:
	v_cmp_lt_i64_e32 vcc, v[2:3], v[4:5]
	v_cndmask_b32_e64 v6, v6, 1, s[0:1]
	s_and_b64 vcc, s[0:1], vcc
	v_cndmask_b32_e32 v2, v4, v2, vcc
	v_and_b32_e32 v4, 1, v6
	v_cndmask_b32_e32 v3, v5, v3, vcc
	v_cmp_eq_u32_e32 vcc, 1, v4
	s_andn2_b64 s[0:1], s[0:1], exec
	s_and_b64 s[28:29], vcc, exec
	v_and_b32_e32 v1, 0xff, v6
	s_or_b64 s[0:1], s[0:1], s[28:29]
; %bb.138:
	s_or_b64 exec, exec, s[14:15]
	v_mov_b32_dpp v6, v1 quad_perm:[2,3,0,1] row_mask:0xf bank_mask:0xf bound_ctrl:1
	v_and_b32_e32 v7, 1, v6
	v_mov_b32_dpp v4, v2 quad_perm:[2,3,0,1] row_mask:0xf bank_mask:0xf bound_ctrl:1
	v_mov_b32_dpp v5, v3 quad_perm:[2,3,0,1] row_mask:0xf bank_mask:0xf bound_ctrl:1
	v_cmp_eq_u32_e32 vcc, 1, v7
	s_and_saveexec_b64 s[14:15], vcc
; %bb.139:
	v_cmp_lt_i64_e32 vcc, v[2:3], v[4:5]
	v_cndmask_b32_e64 v6, v6, 1, s[0:1]
	s_and_b64 vcc, s[0:1], vcc
	v_cndmask_b32_e32 v2, v4, v2, vcc
	v_and_b32_e32 v4, 1, v6
	v_cndmask_b32_e32 v3, v5, v3, vcc
	v_cmp_eq_u32_e32 vcc, 1, v4
	s_andn2_b64 s[0:1], s[0:1], exec
	s_and_b64 s[28:29], vcc, exec
	v_and_b32_e32 v1, 0xff, v6
	s_or_b64 s[0:1], s[0:1], s[28:29]
; %bb.140:
	s_or_b64 exec, exec, s[14:15]
	v_mov_b32_dpp v6, v1 row_ror:4 row_mask:0xf bank_mask:0xf bound_ctrl:1
	v_and_b32_e32 v7, 1, v6
	v_mov_b32_dpp v4, v2 row_ror:4 row_mask:0xf bank_mask:0xf bound_ctrl:1
	v_mov_b32_dpp v5, v3 row_ror:4 row_mask:0xf bank_mask:0xf bound_ctrl:1
	v_cmp_eq_u32_e32 vcc, 1, v7
	s_and_saveexec_b64 s[14:15], vcc
; %bb.141:
	v_cmp_lt_i64_e32 vcc, v[2:3], v[4:5]
	v_cndmask_b32_e64 v6, v6, 1, s[0:1]
	s_and_b64 vcc, s[0:1], vcc
	v_cndmask_b32_e32 v2, v4, v2, vcc
	v_and_b32_e32 v4, 1, v6
	v_cndmask_b32_e32 v3, v5, v3, vcc
	v_cmp_eq_u32_e32 vcc, 1, v4
	s_andn2_b64 s[0:1], s[0:1], exec
	s_and_b64 s[28:29], vcc, exec
	v_and_b32_e32 v1, 0xff, v6
	s_or_b64 s[0:1], s[0:1], s[28:29]
; %bb.142:
	s_or_b64 exec, exec, s[14:15]
	v_mov_b32_dpp v6, v1 row_ror:8 row_mask:0xf bank_mask:0xf bound_ctrl:1
	v_and_b32_e32 v7, 1, v6
	v_mov_b32_dpp v4, v2 row_ror:8 row_mask:0xf bank_mask:0xf bound_ctrl:1
	v_mov_b32_dpp v5, v3 row_ror:8 row_mask:0xf bank_mask:0xf bound_ctrl:1
	v_cmp_eq_u32_e32 vcc, 1, v7
	s_and_saveexec_b64 s[14:15], vcc
; %bb.143:
	v_cmp_lt_i64_e32 vcc, v[2:3], v[4:5]
	v_cndmask_b32_e64 v6, v6, 1, s[0:1]
	s_and_b64 vcc, s[0:1], vcc
	v_cndmask_b32_e32 v2, v4, v2, vcc
	v_and_b32_e32 v4, 1, v6
	v_cndmask_b32_e32 v3, v5, v3, vcc
	v_cmp_eq_u32_e32 vcc, 1, v4
	s_andn2_b64 s[0:1], s[0:1], exec
	s_and_b64 s[28:29], vcc, exec
	v_and_b32_e32 v1, 0xff, v6
	s_or_b64 s[0:1], s[0:1], s[28:29]
; %bb.144:
	s_or_b64 exec, exec, s[14:15]
	v_mov_b32_dpp v6, v1 row_bcast:15 row_mask:0xf bank_mask:0xf bound_ctrl:1
	v_and_b32_e32 v7, 1, v6
	v_mov_b32_dpp v4, v2 row_bcast:15 row_mask:0xf bank_mask:0xf bound_ctrl:1
	v_mov_b32_dpp v5, v3 row_bcast:15 row_mask:0xf bank_mask:0xf bound_ctrl:1
	v_cmp_eq_u32_e32 vcc, 1, v7
	s_and_saveexec_b64 s[14:15], vcc
; %bb.145:
	v_cmp_lt_i64_e32 vcc, v[2:3], v[4:5]
	v_cndmask_b32_e64 v6, v6, 1, s[0:1]
	s_and_b64 vcc, s[0:1], vcc
	v_cndmask_b32_e32 v2, v4, v2, vcc
	v_and_b32_e32 v4, 1, v6
	v_cndmask_b32_e32 v3, v5, v3, vcc
	v_cmp_eq_u32_e32 vcc, 1, v4
	s_andn2_b64 s[0:1], s[0:1], exec
	s_and_b64 s[28:29], vcc, exec
	v_and_b32_e32 v1, 0xff, v6
	s_or_b64 s[0:1], s[0:1], s[28:29]
; %bb.146:
	s_or_b64 exec, exec, s[14:15]
	v_mov_b32_dpp v6, v1 row_bcast:31 row_mask:0xf bank_mask:0xf bound_ctrl:1
	v_and_b32_e32 v7, 1, v6
	v_mov_b32_dpp v4, v2 row_bcast:31 row_mask:0xf bank_mask:0xf bound_ctrl:1
	v_mov_b32_dpp v5, v3 row_bcast:31 row_mask:0xf bank_mask:0xf bound_ctrl:1
	v_cmp_eq_u32_e32 vcc, 1, v7
	s_and_saveexec_b64 s[14:15], vcc
; %bb.147:
	v_cmp_lt_i64_e32 vcc, v[2:3], v[4:5]
	v_and_b32_e32 v1, 0xff, v6
	s_and_b64 vcc, s[0:1], vcc
	v_cndmask_b32_e32 v2, v4, v2, vcc
	v_cndmask_b32_e32 v3, v5, v3, vcc
	v_cndmask_b32_e64 v1, v1, 1, s[0:1]
; %bb.148:
	s_or_b64 exec, exec, s[14:15]
	v_mbcnt_lo_u32_b32 v4, -1, 0
	v_mbcnt_hi_u32_b32 v4, -1, v4
	v_bfrev_b32_e32 v5, 0.5
	v_lshl_or_b32 v5, v4, 2, v5
	ds_bpermute_b32 v6, v5, v1
	ds_bpermute_b32 v2, v5, v2
	ds_bpermute_b32 v3, v5, v3
	v_cmp_eq_u32_e32 vcc, 0, v4
	s_and_saveexec_b64 s[0:1], vcc
	s_cbranch_execz .LBB116_150
; %bb.149:
	v_lshrrev_b32_e32 v1, 2, v0
	v_and_b32_e32 v1, 48, v1
	s_waitcnt lgkmcnt(2)
	ds_write_b8 v1, v6 offset:64
	s_waitcnt lgkmcnt(1)
	ds_write_b64 v1, v[2:3] offset:72
.LBB116_150:
	s_or_b64 exec, exec, s[0:1]
	v_cmp_gt_u32_e32 vcc, 64, v0
	s_waitcnt lgkmcnt(0)
	s_barrier
	s_and_saveexec_b64 s[14:15], vcc
	s_cbranch_execz .LBB116_152
; %bb.151:
	v_and_b32_e32 v1, 3, v4
	v_lshlrev_b32_e32 v2, 4, v1
	ds_read_u8 v5, v2 offset:64
	ds_read_b64 v[2:3], v2 offset:72
	v_cmp_ne_u32_e32 vcc, 3, v1
	v_addc_co_u32_e32 v6, vcc, 0, v4, vcc
	s_waitcnt lgkmcnt(1)
	v_and_b32_e32 v7, 0xff, v5
	v_lshlrev_b32_e32 v8, 2, v6
	ds_bpermute_b32 v9, v8, v7
	s_waitcnt lgkmcnt(1)
	ds_bpermute_b32 v6, v8, v2
	ds_bpermute_b32 v7, v8, v3
	v_and_b32_e32 v8, 1, v5
	s_waitcnt lgkmcnt(2)
	v_and_b32_e32 v10, 1, v9
	v_cmp_eq_u32_e64 s[0:1], 1, v10
	s_waitcnt lgkmcnt(0)
	v_cmp_lt_i64_e32 vcc, v[6:7], v[2:3]
	s_and_b64 vcc, s[0:1], vcc
	v_cndmask_b32_e64 v5, v5, 1, s[0:1]
	v_cndmask_b32_e32 v2, v2, v6, vcc
	v_cndmask_b32_e32 v3, v3, v7, vcc
	v_cmp_eq_u32_e32 vcc, 1, v8
	v_cndmask_b32_e32 v8, v9, v5, vcc
	v_cndmask_b32_e32 v3, v7, v3, vcc
	;; [unrolled: 1-line block ×3, first 2 shown]
	v_cmp_gt_u32_e32 vcc, 2, v1
	v_cndmask_b32_e64 v1, 0, 1, vcc
	v_lshlrev_b32_e32 v1, 1, v1
	v_and_b32_e32 v5, 0xff, v8
	v_add_lshl_u32 v1, v1, v4, 2
	ds_bpermute_b32 v6, v1, v5
	ds_bpermute_b32 v4, v1, v2
	;; [unrolled: 1-line block ×3, first 2 shown]
	v_and_b32_e32 v1, 1, v8
	s_waitcnt lgkmcnt(2)
	v_and_b32_e32 v7, 1, v6
	v_cmp_eq_u32_e64 s[0:1], 1, v7
	s_waitcnt lgkmcnt(0)
	v_cmp_lt_i64_e32 vcc, v[4:5], v[2:3]
	s_and_b64 vcc, s[0:1], vcc
	v_cndmask_b32_e64 v7, v8, 1, s[0:1]
	v_cndmask_b32_e32 v2, v2, v4, vcc
	v_cndmask_b32_e32 v3, v3, v5, vcc
	v_cmp_eq_u32_e32 vcc, 1, v1
	v_cndmask_b32_e32 v1, v6, v7, vcc
	v_cndmask_b32_e32 v3, v5, v3, vcc
	;; [unrolled: 1-line block ×3, first 2 shown]
	v_and_b32_e32 v6, 0xff, v1
.LBB116_152:
	s_or_b64 exec, exec, s[14:15]
	s_branch .LBB116_183
.LBB116_153:
                                        ; implicit-def: $vgpr4_vgpr5
                                        ; implicit-def: $vgpr1
	s_cbranch_execnz .LBB116_188
	s_branch .LBB116_208
.LBB116_154:
                                        ; implicit-def: $vgpr4_vgpr5
                                        ; implicit-def: $vgpr1
	s_branch .LBB116_208
.LBB116_155:
                                        ; implicit-def: $vgpr2_vgpr3
                                        ; implicit-def: $vgpr6
	s_cbranch_execz .LBB116_183
; %bb.156:
	s_sub_i32 s14, s22, s12
	s_waitcnt lgkmcnt(0)
	v_pk_mov_b32 v[4:5], 0, 0
	v_cmp_gt_u32_e32 vcc, s14, v0
	v_mov_b32_e32 v1, 0
	v_pk_mov_b32 v[2:3], v[4:5], v[4:5] op_sel:[0,1]
	v_mov_b32_e32 v7, 0
	s_and_saveexec_b64 s[0:1], vcc
	s_cbranch_execz .LBB116_158
; %bb.157:
	v_lshlrev_b32_e32 v2, 3, v0
	global_load_dwordx2 v[6:7], v2, s[2:3]
	global_load_dwordx2 v[8:9], v2, s[8:9]
	v_mov_b32_e32 v3, s17
	v_add_co_u32_e32 v2, vcc, s16, v0
	v_addc_co_u32_e32 v3, vcc, 0, v3, vcc
	s_waitcnt vmcnt(0)
	v_cmp_ne_u64_e32 vcc, v[6:7], v[8:9]
	v_cndmask_b32_e64 v7, 0, 1, vcc
.LBB116_158:
	s_or_b64 exec, exec, s[0:1]
	v_or_b32_e32 v6, 0x100, v0
	v_cmp_gt_u32_e32 vcc, s14, v6
	s_and_saveexec_b64 s[12:13], vcc
	s_cbranch_execz .LBB116_160
; %bb.159:
	v_lshlrev_b32_e32 v1, 3, v0
	global_load_dwordx2 v[8:9], v1, s[2:3] offset:2048
	global_load_dwordx2 v[10:11], v1, s[8:9] offset:2048
	v_mov_b32_e32 v1, s17
	v_add_co_u32_e64 v4, s[0:1], s16, v6
	v_addc_co_u32_e64 v5, s[0:1], 0, v1, s[0:1]
	s_waitcnt vmcnt(0)
	v_cmp_ne_u64_e64 s[0:1], v[8:9], v[10:11]
	v_cndmask_b32_e64 v1, 0, 1, s[0:1]
.LBB116_160:
	s_or_b64 exec, exec, s[12:13]
	s_and_saveexec_b64 s[2:3], vcc
	s_cbranch_execz .LBB116_162
; %bb.161:
	v_and_b32_e32 v8, 1, v1
	v_cmp_lt_i64_e32 vcc, v[4:5], v[2:3]
	v_cmp_eq_u32_e64 s[0:1], 1, v8
	v_and_b32_e32 v6, 1, v7
	s_and_b64 vcc, s[0:1], vcc
	v_cndmask_b32_e64 v7, v7, 1, s[0:1]
	v_cndmask_b32_e32 v2, v2, v4, vcc
	v_cndmask_b32_e32 v3, v3, v5, vcc
	v_cmp_eq_u32_e32 vcc, 1, v6
	v_cndmask_b32_e32 v7, v1, v7, vcc
	v_cndmask_b32_e32 v3, v5, v3, vcc
	;; [unrolled: 1-line block ×3, first 2 shown]
.LBB116_162:
	s_or_b64 exec, exec, s[2:3]
	v_mbcnt_lo_u32_b32 v1, -1, 0
	v_mbcnt_hi_u32_b32 v1, -1, v1
	v_and_b32_e32 v8, 63, v1
	v_cmp_ne_u32_e32 vcc, 63, v8
	v_addc_co_u32_e32 v4, vcc, 0, v1, vcc
	v_and_b32_e32 v6, 0xffff, v7
	v_lshlrev_b32_e32 v5, 2, v4
	ds_bpermute_b32 v10, v5, v6
	ds_bpermute_b32 v4, v5, v2
	;; [unrolled: 1-line block ×3, first 2 shown]
	s_min_u32 s8, s14, 0x100
	v_and_b32_e32 v9, 0xc0, v0
	v_sub_u32_e64 v9, s8, v9 clamp
	v_add_u32_e32 v11, 1, v8
	v_cmp_lt_u32_e32 vcc, v11, v9
	s_and_saveexec_b64 s[2:3], vcc
	s_cbranch_execz .LBB116_164
; %bb.163:
	s_waitcnt lgkmcnt(2)
	v_and_b32_e32 v11, 1, v10
	s_waitcnt lgkmcnt(0)
	v_cmp_lt_i64_e32 vcc, v[4:5], v[2:3]
	v_cmp_eq_u32_e64 s[0:1], 1, v11
	v_and_b32_e32 v6, 1, v7
	s_and_b64 vcc, s[0:1], vcc
	v_cndmask_b32_e64 v7, v7, 1, s[0:1]
	v_cndmask_b32_e32 v2, v2, v4, vcc
	v_cndmask_b32_e32 v3, v3, v5, vcc
	v_cmp_eq_u32_e32 vcc, 1, v6
	v_cndmask_b32_e32 v7, v10, v7, vcc
	v_cndmask_b32_e32 v3, v5, v3, vcc
	v_cndmask_b32_e32 v2, v4, v2, vcc
	v_and_b32_e32 v6, 0xff, v7
.LBB116_164:
	s_or_b64 exec, exec, s[2:3]
	v_cmp_gt_u32_e32 vcc, 62, v8
	s_waitcnt lgkmcnt(1)
	v_cndmask_b32_e64 v4, 0, 1, vcc
	v_lshlrev_b32_e32 v4, 1, v4
	s_waitcnt lgkmcnt(0)
	v_add_lshl_u32 v5, v4, v1, 2
	ds_bpermute_b32 v10, v5, v6
	ds_bpermute_b32 v4, v5, v2
	ds_bpermute_b32 v5, v5, v3
	v_add_u32_e32 v11, 2, v8
	v_cmp_lt_u32_e32 vcc, v11, v9
	s_and_saveexec_b64 s[2:3], vcc
	s_cbranch_execz .LBB116_166
; %bb.165:
	s_waitcnt lgkmcnt(2)
	v_and_b32_e32 v11, 1, v10
	s_waitcnt lgkmcnt(0)
	v_cmp_lt_i64_e32 vcc, v[4:5], v[2:3]
	v_cmp_eq_u32_e64 s[0:1], 1, v11
	v_and_b32_e32 v6, 1, v7
	s_and_b64 vcc, s[0:1], vcc
	v_cndmask_b32_e64 v7, v7, 1, s[0:1]
	v_cndmask_b32_e32 v2, v2, v4, vcc
	v_cndmask_b32_e32 v3, v3, v5, vcc
	v_cmp_eq_u32_e32 vcc, 1, v6
	v_cndmask_b32_e32 v7, v10, v7, vcc
	v_cndmask_b32_e32 v3, v5, v3, vcc
	v_cndmask_b32_e32 v2, v4, v2, vcc
	v_and_b32_e32 v6, 0xff, v7
.LBB116_166:
	s_or_b64 exec, exec, s[2:3]
	v_cmp_gt_u32_e32 vcc, 60, v8
	s_waitcnt lgkmcnt(1)
	v_cndmask_b32_e64 v4, 0, 1, vcc
	v_lshlrev_b32_e32 v4, 2, v4
	s_waitcnt lgkmcnt(0)
	v_add_lshl_u32 v5, v4, v1, 2
	ds_bpermute_b32 v10, v5, v6
	ds_bpermute_b32 v4, v5, v2
	ds_bpermute_b32 v5, v5, v3
	;; [unrolled: 31-line block ×5, first 2 shown]
	v_add_u32_e32 v8, 32, v8
	v_cmp_lt_u32_e32 vcc, v8, v9
	s_and_saveexec_b64 s[2:3], vcc
	s_cbranch_execz .LBB116_174
; %bb.173:
	s_waitcnt lgkmcnt(2)
	v_and_b32_e32 v8, 1, v10
	s_waitcnt lgkmcnt(0)
	v_cmp_lt_i64_e32 vcc, v[4:5], v[2:3]
	v_cmp_eq_u32_e64 s[0:1], 1, v8
	v_and_b32_e32 v6, 1, v7
	s_and_b64 vcc, s[0:1], vcc
	v_cndmask_b32_e64 v7, v7, 1, s[0:1]
	v_cndmask_b32_e32 v2, v2, v4, vcc
	v_cndmask_b32_e32 v3, v3, v5, vcc
	v_cmp_eq_u32_e32 vcc, 1, v6
	v_cndmask_b32_e32 v7, v10, v7, vcc
	v_cndmask_b32_e32 v3, v5, v3, vcc
	;; [unrolled: 1-line block ×3, first 2 shown]
	v_and_b32_e32 v6, 0xff, v7
.LBB116_174:
	s_or_b64 exec, exec, s[2:3]
	v_cmp_eq_u32_e32 vcc, 0, v1
	s_and_saveexec_b64 s[0:1], vcc
	s_cbranch_execz .LBB116_176
; %bb.175:
	s_waitcnt lgkmcnt(1)
	v_lshrrev_b32_e32 v4, 2, v0
	v_and_b32_e32 v4, 48, v4
	ds_write_b8 v4, v7 offset:256
	ds_write_b64 v4, v[2:3] offset:264
.LBB116_176:
	s_or_b64 exec, exec, s[0:1]
	v_cmp_gt_u32_e32 vcc, 4, v0
	s_waitcnt lgkmcnt(0)
	s_barrier
	s_and_saveexec_b64 s[2:3], vcc
	s_cbranch_execz .LBB116_182
; %bb.177:
	v_lshlrev_b32_e32 v2, 4, v1
	ds_read_u8 v7, v2 offset:256
	ds_read_b64 v[2:3], v2 offset:264
	v_and_b32_e32 v8, 3, v1
	v_cmp_ne_u32_e32 vcc, 3, v8
	v_addc_co_u32_e32 v4, vcc, 0, v1, vcc
	s_waitcnt lgkmcnt(1)
	v_and_b32_e32 v6, 0xff, v7
	v_lshlrev_b32_e32 v5, 2, v4
	ds_bpermute_b32 v9, v5, v6
	s_waitcnt lgkmcnt(1)
	ds_bpermute_b32 v4, v5, v2
	ds_bpermute_b32 v5, v5, v3
	s_add_i32 s8, s8, 63
	s_lshr_b32 s12, s8, 6
	v_add_u32_e32 v10, 1, v8
	v_cmp_gt_u32_e32 vcc, s12, v10
	s_and_saveexec_b64 s[8:9], vcc
	s_cbranch_execz .LBB116_179
; %bb.178:
	s_waitcnt lgkmcnt(2)
	v_and_b32_e32 v10, 1, v9
	s_waitcnt lgkmcnt(0)
	v_cmp_lt_i64_e32 vcc, v[4:5], v[2:3]
	v_cmp_eq_u32_e64 s[0:1], 1, v10
	v_and_b32_e32 v6, 1, v7
	s_and_b64 vcc, s[0:1], vcc
	v_cndmask_b32_e64 v7, v7, 1, s[0:1]
	v_cndmask_b32_e32 v2, v2, v4, vcc
	v_cndmask_b32_e32 v3, v3, v5, vcc
	v_cmp_eq_u32_e32 vcc, 1, v6
	v_cndmask_b32_e32 v7, v9, v7, vcc
	v_cndmask_b32_e32 v3, v5, v3, vcc
	;; [unrolled: 1-line block ×3, first 2 shown]
	v_and_b32_e32 v6, 0xff, v7
.LBB116_179:
	s_or_b64 exec, exec, s[8:9]
	v_cmp_gt_u32_e32 vcc, 2, v8
	s_waitcnt lgkmcnt(1)
	v_cndmask_b32_e64 v4, 0, 1, vcc
	v_lshlrev_b32_e32 v4, 1, v4
	s_waitcnt lgkmcnt(0)
	v_add_lshl_u32 v5, v4, v1, 2
	ds_bpermute_b32 v1, v5, v6
	ds_bpermute_b32 v4, v5, v2
	;; [unrolled: 1-line block ×3, first 2 shown]
	v_add_u32_e32 v8, 2, v8
	v_cmp_gt_u32_e32 vcc, s12, v8
	s_and_saveexec_b64 s[8:9], vcc
	s_cbranch_execz .LBB116_181
; %bb.180:
	s_waitcnt lgkmcnt(2)
	v_and_b32_e32 v8, 1, v1
	s_waitcnt lgkmcnt(0)
	v_cmp_lt_i64_e32 vcc, v[4:5], v[2:3]
	v_cmp_eq_u32_e64 s[0:1], 1, v8
	v_and_b32_e32 v6, 1, v7
	s_and_b64 vcc, s[0:1], vcc
	v_cndmask_b32_e64 v7, v7, 1, s[0:1]
	v_cndmask_b32_e32 v2, v2, v4, vcc
	v_cndmask_b32_e32 v3, v3, v5, vcc
	v_cmp_eq_u32_e32 vcc, 1, v6
	v_cndmask_b32_e32 v1, v1, v7, vcc
	v_cndmask_b32_e32 v3, v5, v3, vcc
	;; [unrolled: 1-line block ×3, first 2 shown]
	v_and_b32_e32 v6, 0xff, v1
.LBB116_181:
	s_or_b64 exec, exec, s[8:9]
.LBB116_182:
	s_or_b64 exec, exec, s[2:3]
.LBB116_183:
	v_cmp_eq_u32_e32 vcc, 0, v0
                                        ; implicit-def: $vgpr4_vgpr5
                                        ; implicit-def: $vgpr1
	s_and_saveexec_b64 s[0:1], vcc
	s_xor_b64 s[8:9], exec, s[0:1]
	s_cbranch_execz .LBB116_187
; %bb.184:
	s_cmp_eq_u64 s[22:23], 0
	s_waitcnt lgkmcnt(0)
	v_pk_mov_b32 v[4:5], s[18:19], s[18:19] op_sel:[0,1]
	v_mov_b32_e32 v1, s33
	s_cbranch_scc1 .LBB116_186
; %bb.185:
	v_and_b32_e32 v1, 1, v6
	s_bitcmp1_b32 s33, 0
	v_mov_b32_e32 v4, s33
	v_cmp_eq_u32_e32 vcc, 1, v1
	v_cmp_gt_i64_e64 s[2:3], s[18:19], v[2:3]
	v_cndmask_b32_e64 v1, v4, 1, vcc
	s_cselect_b64 s[0:1], -1, 0
	v_mov_b32_e32 v4, s18
	s_and_b64 vcc, vcc, s[2:3]
	v_mov_b32_e32 v5, s19
	v_cndmask_b32_e32 v4, v4, v2, vcc
	v_cndmask_b32_e32 v5, v5, v3, vcc
	v_cndmask_b32_e64 v1, v6, v1, s[0:1]
	v_cndmask_b32_e64 v5, v3, v5, s[0:1]
	;; [unrolled: 1-line block ×3, first 2 shown]
.LBB116_186:
	s_or_b64 s[10:11], s[10:11], exec
.LBB116_187:
	s_or_b64 exec, exec, s[8:9]
	s_branch .LBB116_208
.LBB116_188:
	s_cmp_eq_u32 s36, 1
	s_cbranch_scc0 .LBB116_207
; %bb.189:
	s_mov_b32 s3, 0
	s_lshl_b32 s2, s6, 8
	s_mov_b32 s7, s3
	s_lshr_b64 s[0:1], s[22:23], 8
	s_cmp_lg_u64 s[0:1], s[6:7]
	s_cbranch_scc0 .LBB116_211
; %bb.190:
	s_lshl_b64 s[0:1], s[2:3], 3
	s_add_u32 s8, s24, s0
	s_addc_u32 s9, s25, s1
	s_add_u32 s0, s26, s0
	s_waitcnt lgkmcnt(2)
	v_lshlrev_b32_e32 v1, 3, v0
	s_addc_u32 s1, s27, s1
	global_load_dwordx2 v[6:7], v1, s[8:9]
	global_load_dwordx2 v[8:9], v1, s[0:1]
	s_add_u32 s0, s20, s2
	s_addc_u32 s1, s21, 0
	v_mov_b32_e32 v1, s1
	v_add_co_u32_e32 v2, vcc, s0, v0
	v_addc_co_u32_e32 v3, vcc, 0, v1, vcc
	s_waitcnt lgkmcnt(1)
	v_mov_b32_dpp v4, v2 quad_perm:[1,0,3,2] row_mask:0xf bank_mask:0xf bound_ctrl:1
	s_waitcnt lgkmcnt(0)
	v_mov_b32_dpp v5, v3 quad_perm:[1,0,3,2] row_mask:0xf bank_mask:0xf bound_ctrl:1
	s_waitcnt vmcnt(0)
	v_cmp_ne_u64_e32 vcc, v[6:7], v[8:9]
	v_cndmask_b32_e64 v1, 0, 1, vcc
	v_cndmask_b32_e64 v6, 0, 1, vcc
	s_nop 0
	v_mov_b32_dpp v1, v1 quad_perm:[1,0,3,2] row_mask:0xf bank_mask:0xf bound_ctrl:1
	v_and_b32_e32 v7, 1, v1
	v_cmp_eq_u32_e64 s[0:1], 1, v7
	s_and_saveexec_b64 s[8:9], s[0:1]
; %bb.191:
	v_cmp_lt_i64_e64 s[0:1], v[2:3], v[4:5]
	v_cndmask_b32_e64 v6, v1, 1, vcc
	s_and_b64 vcc, vcc, s[0:1]
	v_cndmask_b32_e32 v3, v5, v3, vcc
	v_cndmask_b32_e32 v2, v4, v2, vcc
; %bb.192:
	s_or_b64 exec, exec, s[8:9]
	v_and_b32_e32 v1, 0xff, v6
	v_and_b32_e32 v6, 1, v6
	v_mov_b32_dpp v4, v2 quad_perm:[2,3,0,1] row_mask:0xf bank_mask:0xf bound_ctrl:1
	v_mov_b32_dpp v7, v1 quad_perm:[2,3,0,1] row_mask:0xf bank_mask:0xf bound_ctrl:1
	v_and_b32_e32 v8, 1, v7
	v_mov_b32_dpp v5, v3 quad_perm:[2,3,0,1] row_mask:0xf bank_mask:0xf bound_ctrl:1
	v_cmp_eq_u32_e32 vcc, 1, v8
	v_cmp_eq_u32_e64 s[0:1], 1, v6
	s_and_saveexec_b64 s[8:9], vcc
; %bb.193:
	v_cmp_lt_i64_e32 vcc, v[2:3], v[4:5]
	v_cndmask_b32_e64 v6, v7, 1, s[0:1]
	s_and_b64 vcc, s[0:1], vcc
	v_cndmask_b32_e32 v2, v4, v2, vcc
	v_and_b32_e32 v4, 1, v6
	v_cndmask_b32_e32 v3, v5, v3, vcc
	v_cmp_eq_u32_e32 vcc, 1, v4
	s_andn2_b64 s[0:1], s[0:1], exec
	s_and_b64 s[12:13], vcc, exec
	v_and_b32_e32 v1, 0xff, v6
	s_or_b64 s[0:1], s[0:1], s[12:13]
; %bb.194:
	s_or_b64 exec, exec, s[8:9]
	v_mov_b32_dpp v6, v1 row_ror:4 row_mask:0xf bank_mask:0xf bound_ctrl:1
	v_and_b32_e32 v7, 1, v6
	v_mov_b32_dpp v4, v2 row_ror:4 row_mask:0xf bank_mask:0xf bound_ctrl:1
	v_mov_b32_dpp v5, v3 row_ror:4 row_mask:0xf bank_mask:0xf bound_ctrl:1
	v_cmp_eq_u32_e32 vcc, 1, v7
	s_and_saveexec_b64 s[8:9], vcc
; %bb.195:
	v_cmp_lt_i64_e32 vcc, v[2:3], v[4:5]
	v_cndmask_b32_e64 v6, v6, 1, s[0:1]
	s_and_b64 vcc, s[0:1], vcc
	v_cndmask_b32_e32 v2, v4, v2, vcc
	v_and_b32_e32 v4, 1, v6
	v_cndmask_b32_e32 v3, v5, v3, vcc
	v_cmp_eq_u32_e32 vcc, 1, v4
	s_andn2_b64 s[0:1], s[0:1], exec
	s_and_b64 s[12:13], vcc, exec
	v_and_b32_e32 v1, 0xff, v6
	s_or_b64 s[0:1], s[0:1], s[12:13]
; %bb.196:
	s_or_b64 exec, exec, s[8:9]
	v_mov_b32_dpp v6, v1 row_ror:8 row_mask:0xf bank_mask:0xf bound_ctrl:1
	v_and_b32_e32 v7, 1, v6
	v_mov_b32_dpp v4, v2 row_ror:8 row_mask:0xf bank_mask:0xf bound_ctrl:1
	v_mov_b32_dpp v5, v3 row_ror:8 row_mask:0xf bank_mask:0xf bound_ctrl:1
	v_cmp_eq_u32_e32 vcc, 1, v7
	s_and_saveexec_b64 s[8:9], vcc
; %bb.197:
	v_cmp_lt_i64_e32 vcc, v[2:3], v[4:5]
	v_cndmask_b32_e64 v6, v6, 1, s[0:1]
	s_and_b64 vcc, s[0:1], vcc
	v_cndmask_b32_e32 v2, v4, v2, vcc
	v_and_b32_e32 v4, 1, v6
	v_cndmask_b32_e32 v3, v5, v3, vcc
	v_cmp_eq_u32_e32 vcc, 1, v4
	s_andn2_b64 s[0:1], s[0:1], exec
	s_and_b64 s[12:13], vcc, exec
	v_and_b32_e32 v1, 0xff, v6
	s_or_b64 s[0:1], s[0:1], s[12:13]
; %bb.198:
	s_or_b64 exec, exec, s[8:9]
	v_mov_b32_dpp v6, v1 row_bcast:15 row_mask:0xf bank_mask:0xf bound_ctrl:1
	v_and_b32_e32 v7, 1, v6
	v_mov_b32_dpp v4, v2 row_bcast:15 row_mask:0xf bank_mask:0xf bound_ctrl:1
	v_mov_b32_dpp v5, v3 row_bcast:15 row_mask:0xf bank_mask:0xf bound_ctrl:1
	v_cmp_eq_u32_e32 vcc, 1, v7
	s_and_saveexec_b64 s[8:9], vcc
; %bb.199:
	v_cmp_lt_i64_e32 vcc, v[2:3], v[4:5]
	v_cndmask_b32_e64 v6, v6, 1, s[0:1]
	s_and_b64 vcc, s[0:1], vcc
	v_cndmask_b32_e32 v2, v4, v2, vcc
	v_and_b32_e32 v4, 1, v6
	v_cndmask_b32_e32 v3, v5, v3, vcc
	v_cmp_eq_u32_e32 vcc, 1, v4
	s_andn2_b64 s[0:1], s[0:1], exec
	s_and_b64 s[12:13], vcc, exec
	v_and_b32_e32 v1, 0xff, v6
	s_or_b64 s[0:1], s[0:1], s[12:13]
; %bb.200:
	s_or_b64 exec, exec, s[8:9]
	v_mov_b32_dpp v6, v1 row_bcast:31 row_mask:0xf bank_mask:0xf bound_ctrl:1
	v_and_b32_e32 v7, 1, v6
	v_mov_b32_dpp v4, v2 row_bcast:31 row_mask:0xf bank_mask:0xf bound_ctrl:1
	v_mov_b32_dpp v5, v3 row_bcast:31 row_mask:0xf bank_mask:0xf bound_ctrl:1
	v_cmp_eq_u32_e32 vcc, 1, v7
	s_and_saveexec_b64 s[8:9], vcc
; %bb.201:
	v_cmp_lt_i64_e32 vcc, v[2:3], v[4:5]
	v_and_b32_e32 v1, 0xff, v6
	s_and_b64 vcc, s[0:1], vcc
	v_cndmask_b32_e32 v2, v4, v2, vcc
	v_cndmask_b32_e32 v3, v5, v3, vcc
	v_cndmask_b32_e64 v1, v1, 1, s[0:1]
; %bb.202:
	s_or_b64 exec, exec, s[8:9]
	v_mbcnt_lo_u32_b32 v4, -1, 0
	v_mbcnt_hi_u32_b32 v4, -1, v4
	v_bfrev_b32_e32 v5, 0.5
	v_lshl_or_b32 v5, v4, 2, v5
	ds_bpermute_b32 v6, v5, v1
	ds_bpermute_b32 v2, v5, v2
	;; [unrolled: 1-line block ×3, first 2 shown]
	v_cmp_eq_u32_e32 vcc, 0, v4
	s_and_saveexec_b64 s[0:1], vcc
	s_cbranch_execz .LBB116_204
; %bb.203:
	v_lshrrev_b32_e32 v1, 2, v0
	v_and_b32_e32 v1, 48, v1
	s_waitcnt lgkmcnt(2)
	ds_write_b8 v1, v6
	s_waitcnt lgkmcnt(1)
	ds_write_b64 v1, v[2:3] offset:8
.LBB116_204:
	s_or_b64 exec, exec, s[0:1]
	v_cmp_gt_u32_e32 vcc, 64, v0
	s_waitcnt lgkmcnt(0)
	s_barrier
	s_and_saveexec_b64 s[8:9], vcc
	s_cbranch_execz .LBB116_206
; %bb.205:
	v_and_b32_e32 v1, 3, v4
	v_lshlrev_b32_e32 v2, 4, v1
	ds_read_u8 v5, v2
	ds_read_b64 v[2:3], v2 offset:8
	v_cmp_ne_u32_e32 vcc, 3, v1
	v_addc_co_u32_e32 v6, vcc, 0, v4, vcc
	s_waitcnt lgkmcnt(1)
	v_and_b32_e32 v7, 0xff, v5
	v_lshlrev_b32_e32 v8, 2, v6
	ds_bpermute_b32 v9, v8, v7
	s_waitcnt lgkmcnt(1)
	ds_bpermute_b32 v6, v8, v2
	ds_bpermute_b32 v7, v8, v3
	v_and_b32_e32 v8, 1, v5
	s_waitcnt lgkmcnt(2)
	v_and_b32_e32 v10, 1, v9
	v_cmp_eq_u32_e64 s[0:1], 1, v10
	s_waitcnt lgkmcnt(0)
	v_cmp_lt_i64_e32 vcc, v[6:7], v[2:3]
	s_and_b64 vcc, s[0:1], vcc
	v_cndmask_b32_e64 v5, v5, 1, s[0:1]
	v_cndmask_b32_e32 v2, v2, v6, vcc
	v_cndmask_b32_e32 v3, v3, v7, vcc
	v_cmp_eq_u32_e32 vcc, 1, v8
	v_cndmask_b32_e32 v8, v9, v5, vcc
	v_cndmask_b32_e32 v3, v7, v3, vcc
	;; [unrolled: 1-line block ×3, first 2 shown]
	v_cmp_gt_u32_e32 vcc, 2, v1
	v_cndmask_b32_e64 v1, 0, 1, vcc
	v_lshlrev_b32_e32 v1, 1, v1
	v_and_b32_e32 v5, 0xff, v8
	v_add_lshl_u32 v1, v1, v4, 2
	ds_bpermute_b32 v6, v1, v5
	ds_bpermute_b32 v4, v1, v2
	;; [unrolled: 1-line block ×3, first 2 shown]
	v_and_b32_e32 v1, 1, v8
	s_waitcnt lgkmcnt(2)
	v_and_b32_e32 v7, 1, v6
	v_cmp_eq_u32_e64 s[0:1], 1, v7
	s_waitcnt lgkmcnt(0)
	v_cmp_lt_i64_e32 vcc, v[4:5], v[2:3]
	s_and_b64 vcc, s[0:1], vcc
	v_cndmask_b32_e64 v7, v8, 1, s[0:1]
	v_cndmask_b32_e32 v2, v2, v4, vcc
	v_cndmask_b32_e32 v3, v3, v5, vcc
	v_cmp_eq_u32_e32 vcc, 1, v1
	v_cndmask_b32_e32 v1, v6, v7, vcc
	v_cndmask_b32_e32 v3, v5, v3, vcc
	v_cndmask_b32_e32 v2, v4, v2, vcc
	v_and_b32_e32 v6, 0xff, v1
.LBB116_206:
	s_or_b64 exec, exec, s[8:9]
	s_branch .LBB116_235
.LBB116_207:
                                        ; implicit-def: $vgpr4_vgpr5
                                        ; implicit-def: $vgpr1
                                        ; implicit-def: $sgpr6_sgpr7
.LBB116_208:
	s_and_saveexec_b64 s[0:1], s[10:11]
	s_cbranch_execz .LBB116_210
.LBB116_209:
	s_load_dwordx2 s[0:1], s[4:5], 0x38
	s_lshl_b64 s[2:3], s[6:7], 4
	v_mov_b32_e32 v0, 0
	s_waitcnt lgkmcnt(0)
	s_add_u32 s0, s0, s2
	s_addc_u32 s1, s1, s3
	global_store_byte v0, v1, s[0:1]
	global_store_dwordx2 v0, v[4:5], s[0:1] offset:8
.LBB116_210:
	s_endpgm
.LBB116_211:
                                        ; implicit-def: $vgpr2_vgpr3
                                        ; implicit-def: $vgpr6
	s_cbranch_execz .LBB116_235
; %bb.212:
	s_sub_i32 s8, s22, s2
	v_cmp_gt_u32_e32 vcc, s8, v0
	v_pk_mov_b32 v[2:3], 0, 0
	v_mov_b32_e32 v7, 0
	s_and_saveexec_b64 s[0:1], vcc
	s_cbranch_execz .LBB116_214
; %bb.213:
	s_lshl_b64 s[12:13], s[2:3], 3
	s_add_u32 s14, s26, s12
	s_addc_u32 s15, s27, s13
	s_add_u32 s12, s24, s12
	s_addc_u32 s13, s25, s13
	s_waitcnt lgkmcnt(2)
	v_lshlrev_b32_e32 v1, 3, v0
	s_waitcnt lgkmcnt(0)
	global_load_dwordx2 v[4:5], v1, s[12:13]
	global_load_dwordx2 v[6:7], v1, s[14:15]
	s_add_u32 s2, s20, s2
	s_addc_u32 s3, s21, 0
	v_mov_b32_e32 v1, s3
	v_add_co_u32_e32 v2, vcc, s2, v0
	v_addc_co_u32_e32 v3, vcc, 0, v1, vcc
	s_waitcnt vmcnt(0)
	v_cmp_ne_u64_e32 vcc, v[4:5], v[6:7]
	v_cndmask_b32_e64 v7, 0, 1, vcc
.LBB116_214:
	s_or_b64 exec, exec, s[0:1]
	s_waitcnt lgkmcnt(2)
	v_mbcnt_lo_u32_b32 v1, -1, 0
	v_mbcnt_hi_u32_b32 v1, -1, v1
	v_and_b32_e32 v8, 63, v1
	v_cmp_ne_u32_e32 vcc, 63, v8
	s_waitcnt lgkmcnt(1)
	v_addc_co_u32_e32 v4, vcc, 0, v1, vcc
	v_and_b32_e32 v6, 0xffff, v7
	s_waitcnt lgkmcnt(0)
	v_lshlrev_b32_e32 v5, 2, v4
	ds_bpermute_b32 v10, v5, v6
	ds_bpermute_b32 v4, v5, v2
	;; [unrolled: 1-line block ×3, first 2 shown]
	s_min_u32 s8, s8, 0x100
	v_and_b32_e32 v9, 0xc0, v0
	v_sub_u32_e64 v9, s8, v9 clamp
	v_add_u32_e32 v11, 1, v8
	v_cmp_lt_u32_e32 vcc, v11, v9
	s_and_saveexec_b64 s[2:3], vcc
	s_cbranch_execz .LBB116_216
; %bb.215:
	s_waitcnt lgkmcnt(2)
	v_and_b32_e32 v11, 1, v10
	s_waitcnt lgkmcnt(0)
	v_cmp_lt_i64_e32 vcc, v[4:5], v[2:3]
	v_cmp_eq_u32_e64 s[0:1], 1, v11
	v_and_b32_e32 v6, 1, v7
	s_and_b64 vcc, s[0:1], vcc
	v_cndmask_b32_e64 v7, v7, 1, s[0:1]
	v_cndmask_b32_e32 v2, v2, v4, vcc
	v_cndmask_b32_e32 v3, v3, v5, vcc
	v_cmp_eq_u32_e32 vcc, 1, v6
	v_cndmask_b32_e32 v7, v10, v7, vcc
	v_cndmask_b32_e32 v3, v5, v3, vcc
	v_cndmask_b32_e32 v2, v4, v2, vcc
	v_and_b32_e32 v6, 0xff, v7
.LBB116_216:
	s_or_b64 exec, exec, s[2:3]
	v_cmp_gt_u32_e32 vcc, 62, v8
	s_waitcnt lgkmcnt(1)
	v_cndmask_b32_e64 v4, 0, 1, vcc
	v_lshlrev_b32_e32 v4, 1, v4
	s_waitcnt lgkmcnt(0)
	v_add_lshl_u32 v5, v4, v1, 2
	ds_bpermute_b32 v10, v5, v6
	ds_bpermute_b32 v4, v5, v2
	ds_bpermute_b32 v5, v5, v3
	v_add_u32_e32 v11, 2, v8
	v_cmp_lt_u32_e32 vcc, v11, v9
	s_and_saveexec_b64 s[2:3], vcc
	s_cbranch_execz .LBB116_218
; %bb.217:
	s_waitcnt lgkmcnt(2)
	v_and_b32_e32 v11, 1, v10
	s_waitcnt lgkmcnt(0)
	v_cmp_lt_i64_e32 vcc, v[4:5], v[2:3]
	v_cmp_eq_u32_e64 s[0:1], 1, v11
	v_and_b32_e32 v6, 1, v7
	s_and_b64 vcc, s[0:1], vcc
	v_cndmask_b32_e64 v7, v7, 1, s[0:1]
	v_cndmask_b32_e32 v2, v2, v4, vcc
	v_cndmask_b32_e32 v3, v3, v5, vcc
	v_cmp_eq_u32_e32 vcc, 1, v6
	v_cndmask_b32_e32 v7, v10, v7, vcc
	v_cndmask_b32_e32 v3, v5, v3, vcc
	v_cndmask_b32_e32 v2, v4, v2, vcc
	v_and_b32_e32 v6, 0xff, v7
.LBB116_218:
	s_or_b64 exec, exec, s[2:3]
	v_cmp_gt_u32_e32 vcc, 60, v8
	s_waitcnt lgkmcnt(1)
	v_cndmask_b32_e64 v4, 0, 1, vcc
	v_lshlrev_b32_e32 v4, 2, v4
	s_waitcnt lgkmcnt(0)
	v_add_lshl_u32 v5, v4, v1, 2
	ds_bpermute_b32 v10, v5, v6
	ds_bpermute_b32 v4, v5, v2
	ds_bpermute_b32 v5, v5, v3
	;; [unrolled: 31-line block ×5, first 2 shown]
	v_add_u32_e32 v8, 32, v8
	v_cmp_lt_u32_e32 vcc, v8, v9
	s_and_saveexec_b64 s[2:3], vcc
	s_cbranch_execz .LBB116_226
; %bb.225:
	s_waitcnt lgkmcnt(2)
	v_and_b32_e32 v8, 1, v10
	s_waitcnt lgkmcnt(0)
	v_cmp_lt_i64_e32 vcc, v[4:5], v[2:3]
	v_cmp_eq_u32_e64 s[0:1], 1, v8
	v_and_b32_e32 v6, 1, v7
	s_and_b64 vcc, s[0:1], vcc
	v_cndmask_b32_e64 v7, v7, 1, s[0:1]
	v_cndmask_b32_e32 v2, v2, v4, vcc
	v_cndmask_b32_e32 v3, v3, v5, vcc
	v_cmp_eq_u32_e32 vcc, 1, v6
	v_cndmask_b32_e32 v7, v10, v7, vcc
	v_cndmask_b32_e32 v3, v5, v3, vcc
	;; [unrolled: 1-line block ×3, first 2 shown]
	v_and_b32_e32 v6, 0xff, v7
.LBB116_226:
	s_or_b64 exec, exec, s[2:3]
	v_cmp_eq_u32_e32 vcc, 0, v1
	s_and_saveexec_b64 s[0:1], vcc
	s_cbranch_execz .LBB116_228
; %bb.227:
	s_waitcnt lgkmcnt(1)
	v_lshrrev_b32_e32 v4, 2, v0
	v_and_b32_e32 v4, 48, v4
	ds_write_b8 v4, v7 offset:256
	ds_write_b64 v4, v[2:3] offset:264
.LBB116_228:
	s_or_b64 exec, exec, s[0:1]
	v_cmp_gt_u32_e32 vcc, 4, v0
	s_waitcnt lgkmcnt(0)
	s_barrier
	s_and_saveexec_b64 s[2:3], vcc
	s_cbranch_execz .LBB116_234
; %bb.229:
	v_lshlrev_b32_e32 v2, 4, v1
	ds_read_u8 v7, v2 offset:256
	ds_read_b64 v[2:3], v2 offset:264
	v_and_b32_e32 v8, 3, v1
	v_cmp_ne_u32_e32 vcc, 3, v8
	v_addc_co_u32_e32 v4, vcc, 0, v1, vcc
	s_waitcnt lgkmcnt(1)
	v_and_b32_e32 v6, 0xff, v7
	v_lshlrev_b32_e32 v5, 2, v4
	ds_bpermute_b32 v9, v5, v6
	s_waitcnt lgkmcnt(1)
	ds_bpermute_b32 v4, v5, v2
	ds_bpermute_b32 v5, v5, v3
	s_add_i32 s8, s8, 63
	s_lshr_b32 s12, s8, 6
	v_add_u32_e32 v10, 1, v8
	v_cmp_gt_u32_e32 vcc, s12, v10
	s_and_saveexec_b64 s[8:9], vcc
	s_cbranch_execz .LBB116_231
; %bb.230:
	s_waitcnt lgkmcnt(2)
	v_and_b32_e32 v10, 1, v9
	s_waitcnt lgkmcnt(0)
	v_cmp_lt_i64_e32 vcc, v[4:5], v[2:3]
	v_cmp_eq_u32_e64 s[0:1], 1, v10
	v_and_b32_e32 v6, 1, v7
	s_and_b64 vcc, s[0:1], vcc
	v_cndmask_b32_e64 v7, v7, 1, s[0:1]
	v_cndmask_b32_e32 v2, v2, v4, vcc
	v_cndmask_b32_e32 v3, v3, v5, vcc
	v_cmp_eq_u32_e32 vcc, 1, v6
	v_cndmask_b32_e32 v7, v9, v7, vcc
	v_cndmask_b32_e32 v3, v5, v3, vcc
	;; [unrolled: 1-line block ×3, first 2 shown]
	v_and_b32_e32 v6, 0xff, v7
.LBB116_231:
	s_or_b64 exec, exec, s[8:9]
	v_cmp_gt_u32_e32 vcc, 2, v8
	s_waitcnt lgkmcnt(1)
	v_cndmask_b32_e64 v4, 0, 1, vcc
	v_lshlrev_b32_e32 v4, 1, v4
	s_waitcnt lgkmcnt(0)
	v_add_lshl_u32 v5, v4, v1, 2
	ds_bpermute_b32 v1, v5, v6
	ds_bpermute_b32 v4, v5, v2
	ds_bpermute_b32 v5, v5, v3
	v_add_u32_e32 v8, 2, v8
	v_cmp_gt_u32_e32 vcc, s12, v8
	s_and_saveexec_b64 s[8:9], vcc
	s_cbranch_execz .LBB116_233
; %bb.232:
	s_waitcnt lgkmcnt(2)
	v_and_b32_e32 v8, 1, v1
	s_waitcnt lgkmcnt(0)
	v_cmp_lt_i64_e32 vcc, v[4:5], v[2:3]
	v_cmp_eq_u32_e64 s[0:1], 1, v8
	v_and_b32_e32 v6, 1, v7
	s_and_b64 vcc, s[0:1], vcc
	v_cndmask_b32_e64 v7, v7, 1, s[0:1]
	v_cndmask_b32_e32 v2, v2, v4, vcc
	v_cndmask_b32_e32 v3, v3, v5, vcc
	v_cmp_eq_u32_e32 vcc, 1, v6
	v_cndmask_b32_e32 v1, v1, v7, vcc
	v_cndmask_b32_e32 v3, v5, v3, vcc
	;; [unrolled: 1-line block ×3, first 2 shown]
	v_and_b32_e32 v6, 0xff, v1
.LBB116_233:
	s_or_b64 exec, exec, s[8:9]
.LBB116_234:
	s_or_b64 exec, exec, s[2:3]
.LBB116_235:
	v_cmp_eq_u32_e32 vcc, 0, v0
                                        ; implicit-def: $vgpr4_vgpr5
                                        ; implicit-def: $vgpr1
	s_and_saveexec_b64 s[8:9], vcc
	s_cbranch_execz .LBB116_239
; %bb.236:
	s_cmp_eq_u64 s[22:23], 0
	s_waitcnt lgkmcnt(0)
	v_pk_mov_b32 v[4:5], s[18:19], s[18:19] op_sel:[0,1]
	v_mov_b32_e32 v1, s33
	s_cbranch_scc1 .LBB116_238
; %bb.237:
	v_and_b32_e32 v0, 1, v6
	s_bitcmp1_b32 s33, 0
	v_mov_b32_e32 v1, s33
	v_cmp_eq_u32_e32 vcc, 1, v0
	v_cmp_gt_i64_e64 s[2:3], s[18:19], v[2:3]
	v_cndmask_b32_e64 v0, v1, 1, vcc
	s_cselect_b64 s[0:1], -1, 0
	v_mov_b32_e32 v1, s18
	s_and_b64 vcc, vcc, s[2:3]
	v_cndmask_b32_e32 v4, v1, v2, vcc
	v_mov_b32_e32 v1, s19
	v_cndmask_b32_e32 v5, v1, v3, vcc
	v_cndmask_b32_e64 v1, v6, v0, s[0:1]
	v_cndmask_b32_e64 v5, v3, v5, s[0:1]
	;; [unrolled: 1-line block ×3, first 2 shown]
.LBB116_238:
	s_or_b64 s[10:11], s[10:11], exec
.LBB116_239:
	s_or_b64 exec, exec, s[8:9]
	s_and_saveexec_b64 s[0:1], s[10:11]
	s_cbranch_execnz .LBB116_209
	s_branch .LBB116_210
.LBB116_240:
	v_lshlrev_b32_e32 v10, 3, v25
	global_load_dwordx2 v[26:27], v10, s[16:17]
	global_load_dwordx2 v[28:29], v10, s[30:31]
	v_mov_b32_e32 v11, s38
	v_add_co_u32_e64 v10, s[16:17], s37, v25
	v_addc_co_u32_e64 v11, s[16:17], 0, v11, s[16:17]
	s_waitcnt vmcnt(0)
	v_cmp_ne_u64_e64 s[16:17], v[26:27], v[28:29]
	v_cndmask_b32_e64 v21, 0, 1, s[16:17]
	s_or_b64 exec, exec, s[34:35]
	s_and_saveexec_b64 s[30:31], s[8:9]
	s_cbranch_execz .LBB116_61
.LBB116_241:
	v_and_b32_e32 v26, 1, v18
	v_cmp_lt_i64_e64 s[8:9], v[4:5], v[2:3]
	v_cmp_eq_u32_e64 s[16:17], 1, v26
	v_and_b32_e32 v25, 1, v1
	s_and_b64 s[8:9], s[16:17], s[8:9]
	v_cndmask_b32_e64 v1, v1, 1, s[16:17]
	v_cndmask_b32_e64 v2, v2, v4, s[8:9]
	;; [unrolled: 1-line block ×3, first 2 shown]
	v_cmp_eq_u32_e64 s[8:9], 1, v25
	v_cndmask_b32_e64 v1, v18, v1, s[8:9]
	v_cndmask_b32_e64 v3, v5, v3, s[8:9]
	;; [unrolled: 1-line block ×3, first 2 shown]
	s_or_b64 exec, exec, s[30:31]
	s_and_saveexec_b64 s[16:17], vcc
	s_cbranch_execz .LBB116_62
.LBB116_242:
	v_and_b32_e32 v5, 1, v23
	v_cmp_lt_i64_e32 vcc, v[12:13], v[2:3]
	v_cmp_eq_u32_e64 s[8:9], 1, v5
	v_and_b32_e32 v4, 1, v1
	s_and_b64 vcc, s[8:9], vcc
	v_cndmask_b32_e64 v1, v1, 1, s[8:9]
	v_cndmask_b32_e32 v2, v2, v12, vcc
	v_cndmask_b32_e32 v3, v3, v13, vcc
	v_cmp_eq_u32_e32 vcc, 1, v4
	v_cndmask_b32_e32 v1, v23, v1, vcc
	v_cndmask_b32_e32 v3, v13, v3, vcc
	;; [unrolled: 1-line block ×3, first 2 shown]
	s_or_b64 exec, exec, s[16:17]
	s_and_saveexec_b64 s[16:17], s[10:11]
	s_cbranch_execz .LBB116_63
.LBB116_243:
	v_and_b32_e32 v5, 1, v19
	v_cmp_lt_i64_e32 vcc, v[6:7], v[2:3]
	v_cmp_eq_u32_e64 s[8:9], 1, v5
	v_and_b32_e32 v4, 1, v1
	s_and_b64 vcc, s[8:9], vcc
	v_cndmask_b32_e64 v1, v1, 1, s[8:9]
	v_cndmask_b32_e32 v2, v2, v6, vcc
	v_cndmask_b32_e32 v3, v3, v7, vcc
	v_cmp_eq_u32_e32 vcc, 1, v4
	v_cndmask_b32_e32 v1, v19, v1, vcc
	v_cndmask_b32_e32 v3, v7, v3, vcc
	;; [unrolled: 1-line block ×3, first 2 shown]
	s_or_b64 exec, exec, s[16:17]
	s_and_saveexec_b64 s[8:9], s[0:1]
	s_cbranch_execz .LBB116_64
.LBB116_244:
	v_and_b32_e32 v5, 1, v24
	v_cmp_lt_i64_e32 vcc, v[14:15], v[2:3]
	v_cmp_eq_u32_e64 s[0:1], 1, v5
	v_and_b32_e32 v4, 1, v1
	s_and_b64 vcc, s[0:1], vcc
	v_cndmask_b32_e64 v1, v1, 1, s[0:1]
	v_cndmask_b32_e32 v2, v2, v14, vcc
	v_cndmask_b32_e32 v3, v3, v15, vcc
	v_cmp_eq_u32_e32 vcc, 1, v4
	v_cndmask_b32_e32 v1, v24, v1, vcc
	v_cndmask_b32_e32 v3, v15, v3, vcc
	;; [unrolled: 1-line block ×3, first 2 shown]
	s_or_b64 exec, exec, s[8:9]
	s_and_saveexec_b64 s[8:9], s[12:13]
	s_cbranch_execz .LBB116_65
.LBB116_245:
	v_and_b32_e32 v5, 1, v20
	v_cmp_lt_i64_e32 vcc, v[8:9], v[2:3]
	v_cmp_eq_u32_e64 s[0:1], 1, v5
	v_and_b32_e32 v4, 1, v1
	s_and_b64 vcc, s[0:1], vcc
	v_cndmask_b32_e64 v1, v1, 1, s[0:1]
	v_cndmask_b32_e32 v2, v2, v8, vcc
	v_cndmask_b32_e32 v3, v3, v9, vcc
	v_cmp_eq_u32_e32 vcc, 1, v4
	v_cndmask_b32_e32 v1, v20, v1, vcc
	v_cndmask_b32_e32 v3, v9, v3, vcc
	;; [unrolled: 1-line block ×3, first 2 shown]
	s_or_b64 exec, exec, s[8:9]
	s_and_saveexec_b64 s[8:9], s[2:3]
	s_cbranch_execz .LBB116_66
.LBB116_246:
	v_and_b32_e32 v5, 1, v22
	v_cmp_lt_i64_e32 vcc, v[16:17], v[2:3]
	v_cmp_eq_u32_e64 s[0:1], 1, v5
	v_and_b32_e32 v4, 1, v1
	s_and_b64 vcc, s[0:1], vcc
	v_cndmask_b32_e64 v1, v1, 1, s[0:1]
	v_cndmask_b32_e32 v2, v2, v16, vcc
	v_cndmask_b32_e32 v3, v3, v17, vcc
	v_cmp_eq_u32_e32 vcc, 1, v4
	v_cndmask_b32_e32 v1, v22, v1, vcc
	v_cndmask_b32_e32 v3, v17, v3, vcc
	;; [unrolled: 1-line block ×3, first 2 shown]
	s_or_b64 exec, exec, s[8:9]
	s_and_saveexec_b64 s[2:3], s[14:15]
	s_cbranch_execnz .LBB116_67
	s_branch .LBB116_68
.LBB116_247:
	v_lshlrev_b32_e32 v6, 3, v13
	global_load_dwordx2 v[14:15], v6, s[8:9]
	global_load_dwordx2 v[16:17], v6, s[12:13]
	v_mov_b32_e32 v7, s17
	v_add_co_u32_e64 v6, s[8:9], s16, v13
	v_addc_co_u32_e64 v7, s[8:9], 0, v7, s[8:9]
	s_waitcnt vmcnt(0)
	v_cmp_ne_u64_e64 s[8:9], v[14:15], v[16:17]
	v_cndmask_b32_e64 v11, 0, 1, s[8:9]
	s_or_b64 exec, exec, s[14:15]
	s_and_saveexec_b64 s[12:13], s[0:1]
	s_cbranch_execz .LBB116_104
.LBB116_248:
	v_and_b32_e32 v14, 1, v1
	v_cmp_lt_i64_e64 s[0:1], v[4:5], v[2:3]
	v_cmp_eq_u32_e64 s[8:9], 1, v14
	v_and_b32_e32 v13, 1, v10
	s_and_b64 s[0:1], s[8:9], s[0:1]
	v_cndmask_b32_e64 v10, v10, 1, s[8:9]
	v_cndmask_b32_e64 v2, v2, v4, s[0:1]
	v_cndmask_b32_e64 v3, v3, v5, s[0:1]
	v_cmp_eq_u32_e64 s[0:1], 1, v13
	v_cndmask_b32_e64 v10, v1, v10, s[0:1]
	v_cndmask_b32_e64 v3, v5, v3, s[0:1]
	;; [unrolled: 1-line block ×3, first 2 shown]
	s_or_b64 exec, exec, s[12:13]
	s_and_saveexec_b64 s[8:9], vcc
	s_cbranch_execz .LBB116_105
.LBB116_249:
	v_and_b32_e32 v4, 1, v12
	v_cmp_lt_i64_e32 vcc, v[8:9], v[2:3]
	v_cmp_eq_u32_e64 s[0:1], 1, v4
	v_and_b32_e32 v1, 1, v10
	s_and_b64 vcc, s[0:1], vcc
	v_cndmask_b32_e64 v4, v10, 1, s[0:1]
	v_cndmask_b32_e32 v2, v2, v8, vcc
	v_cndmask_b32_e32 v3, v3, v9, vcc
	v_cmp_eq_u32_e32 vcc, 1, v1
	v_cndmask_b32_e32 v10, v12, v4, vcc
	v_cndmask_b32_e32 v3, v9, v3, vcc
	;; [unrolled: 1-line block ×3, first 2 shown]
	s_or_b64 exec, exec, s[8:9]
	s_and_saveexec_b64 s[8:9], s[2:3]
	s_cbranch_execnz .LBB116_106
	s_branch .LBB116_107
	.section	.rodata,"a",@progbits
	.p2align	6, 0x0
	.amdhsa_kernel _ZN7rocprim17ROCPRIM_400000_NS6detail17trampoline_kernelINS0_14default_configENS1_22reduce_config_selectorIN6thrust23THRUST_200600_302600_NS5tupleIblNS6_9null_typeES8_S8_S8_S8_S8_S8_S8_EEEEZNS1_11reduce_implILb1ES3_NS6_12zip_iteratorINS7_INS6_11hip_rocprim26transform_input_iterator_tIbNSD_35transform_pair_of_input_iterators_tIbNS6_6detail15normal_iteratorINS6_10device_ptrIKxEEEESL_NS6_8equal_toIxEEEENSG_9not_fun_tINSD_8identityEEEEENSD_19counting_iterator_tIlEES8_S8_S8_S8_S8_S8_S8_S8_EEEEPS9_S9_NSD_9__find_if7functorIS9_EEEE10hipError_tPvRmT1_T2_T3_mT4_P12ihipStream_tbEUlT_E1_NS1_11comp_targetILNS1_3genE4ELNS1_11target_archE910ELNS1_3gpuE8ELNS1_3repE0EEENS1_30default_config_static_selectorELNS0_4arch9wavefront6targetE1EEEvS14_
		.amdhsa_group_segment_fixed_size 320
		.amdhsa_private_segment_fixed_size 0
		.amdhsa_kernarg_size 88
		.amdhsa_user_sgpr_count 6
		.amdhsa_user_sgpr_private_segment_buffer 1
		.amdhsa_user_sgpr_dispatch_ptr 0
		.amdhsa_user_sgpr_queue_ptr 0
		.amdhsa_user_sgpr_kernarg_segment_ptr 1
		.amdhsa_user_sgpr_dispatch_id 0
		.amdhsa_user_sgpr_flat_scratch_init 0
		.amdhsa_user_sgpr_kernarg_preload_length 0
		.amdhsa_user_sgpr_kernarg_preload_offset 0
		.amdhsa_user_sgpr_private_segment_size 0
		.amdhsa_uses_dynamic_stack 0
		.amdhsa_system_sgpr_private_segment_wavefront_offset 0
		.amdhsa_system_sgpr_workgroup_id_x 1
		.amdhsa_system_sgpr_workgroup_id_y 0
		.amdhsa_system_sgpr_workgroup_id_z 0
		.amdhsa_system_sgpr_workgroup_info 0
		.amdhsa_system_vgpr_workitem_id 0
		.amdhsa_next_free_vgpr 44
		.amdhsa_next_free_sgpr 40
		.amdhsa_accum_offset 44
		.amdhsa_reserve_vcc 1
		.amdhsa_reserve_flat_scratch 0
		.amdhsa_float_round_mode_32 0
		.amdhsa_float_round_mode_16_64 0
		.amdhsa_float_denorm_mode_32 3
		.amdhsa_float_denorm_mode_16_64 3
		.amdhsa_dx10_clamp 1
		.amdhsa_ieee_mode 1
		.amdhsa_fp16_overflow 0
		.amdhsa_tg_split 0
		.amdhsa_exception_fp_ieee_invalid_op 0
		.amdhsa_exception_fp_denorm_src 0
		.amdhsa_exception_fp_ieee_div_zero 0
		.amdhsa_exception_fp_ieee_overflow 0
		.amdhsa_exception_fp_ieee_underflow 0
		.amdhsa_exception_fp_ieee_inexact 0
		.amdhsa_exception_int_div_zero 0
	.end_amdhsa_kernel
	.section	.text._ZN7rocprim17ROCPRIM_400000_NS6detail17trampoline_kernelINS0_14default_configENS1_22reduce_config_selectorIN6thrust23THRUST_200600_302600_NS5tupleIblNS6_9null_typeES8_S8_S8_S8_S8_S8_S8_EEEEZNS1_11reduce_implILb1ES3_NS6_12zip_iteratorINS7_INS6_11hip_rocprim26transform_input_iterator_tIbNSD_35transform_pair_of_input_iterators_tIbNS6_6detail15normal_iteratorINS6_10device_ptrIKxEEEESL_NS6_8equal_toIxEEEENSG_9not_fun_tINSD_8identityEEEEENSD_19counting_iterator_tIlEES8_S8_S8_S8_S8_S8_S8_S8_EEEEPS9_S9_NSD_9__find_if7functorIS9_EEEE10hipError_tPvRmT1_T2_T3_mT4_P12ihipStream_tbEUlT_E1_NS1_11comp_targetILNS1_3genE4ELNS1_11target_archE910ELNS1_3gpuE8ELNS1_3repE0EEENS1_30default_config_static_selectorELNS0_4arch9wavefront6targetE1EEEvS14_,"axG",@progbits,_ZN7rocprim17ROCPRIM_400000_NS6detail17trampoline_kernelINS0_14default_configENS1_22reduce_config_selectorIN6thrust23THRUST_200600_302600_NS5tupleIblNS6_9null_typeES8_S8_S8_S8_S8_S8_S8_EEEEZNS1_11reduce_implILb1ES3_NS6_12zip_iteratorINS7_INS6_11hip_rocprim26transform_input_iterator_tIbNSD_35transform_pair_of_input_iterators_tIbNS6_6detail15normal_iteratorINS6_10device_ptrIKxEEEESL_NS6_8equal_toIxEEEENSG_9not_fun_tINSD_8identityEEEEENSD_19counting_iterator_tIlEES8_S8_S8_S8_S8_S8_S8_S8_EEEEPS9_S9_NSD_9__find_if7functorIS9_EEEE10hipError_tPvRmT1_T2_T3_mT4_P12ihipStream_tbEUlT_E1_NS1_11comp_targetILNS1_3genE4ELNS1_11target_archE910ELNS1_3gpuE8ELNS1_3repE0EEENS1_30default_config_static_selectorELNS0_4arch9wavefront6targetE1EEEvS14_,comdat
.Lfunc_end116:
	.size	_ZN7rocprim17ROCPRIM_400000_NS6detail17trampoline_kernelINS0_14default_configENS1_22reduce_config_selectorIN6thrust23THRUST_200600_302600_NS5tupleIblNS6_9null_typeES8_S8_S8_S8_S8_S8_S8_EEEEZNS1_11reduce_implILb1ES3_NS6_12zip_iteratorINS7_INS6_11hip_rocprim26transform_input_iterator_tIbNSD_35transform_pair_of_input_iterators_tIbNS6_6detail15normal_iteratorINS6_10device_ptrIKxEEEESL_NS6_8equal_toIxEEEENSG_9not_fun_tINSD_8identityEEEEENSD_19counting_iterator_tIlEES8_S8_S8_S8_S8_S8_S8_S8_EEEEPS9_S9_NSD_9__find_if7functorIS9_EEEE10hipError_tPvRmT1_T2_T3_mT4_P12ihipStream_tbEUlT_E1_NS1_11comp_targetILNS1_3genE4ELNS1_11target_archE910ELNS1_3gpuE8ELNS1_3repE0EEENS1_30default_config_static_selectorELNS0_4arch9wavefront6targetE1EEEvS14_, .Lfunc_end116-_ZN7rocprim17ROCPRIM_400000_NS6detail17trampoline_kernelINS0_14default_configENS1_22reduce_config_selectorIN6thrust23THRUST_200600_302600_NS5tupleIblNS6_9null_typeES8_S8_S8_S8_S8_S8_S8_EEEEZNS1_11reduce_implILb1ES3_NS6_12zip_iteratorINS7_INS6_11hip_rocprim26transform_input_iterator_tIbNSD_35transform_pair_of_input_iterators_tIbNS6_6detail15normal_iteratorINS6_10device_ptrIKxEEEESL_NS6_8equal_toIxEEEENSG_9not_fun_tINSD_8identityEEEEENSD_19counting_iterator_tIlEES8_S8_S8_S8_S8_S8_S8_S8_EEEEPS9_S9_NSD_9__find_if7functorIS9_EEEE10hipError_tPvRmT1_T2_T3_mT4_P12ihipStream_tbEUlT_E1_NS1_11comp_targetILNS1_3genE4ELNS1_11target_archE910ELNS1_3gpuE8ELNS1_3repE0EEENS1_30default_config_static_selectorELNS0_4arch9wavefront6targetE1EEEvS14_
                                        ; -- End function
	.section	.AMDGPU.csdata,"",@progbits
; Kernel info:
; codeLenInByte = 13212
; NumSgprs: 44
; NumVgprs: 44
; NumAgprs: 0
; TotalNumVgprs: 44
; ScratchSize: 0
; MemoryBound: 0
; FloatMode: 240
; IeeeMode: 1
; LDSByteSize: 320 bytes/workgroup (compile time only)
; SGPRBlocks: 5
; VGPRBlocks: 5
; NumSGPRsForWavesPerEU: 44
; NumVGPRsForWavesPerEU: 44
; AccumOffset: 44
; Occupancy: 8
; WaveLimiterHint : 0
; COMPUTE_PGM_RSRC2:SCRATCH_EN: 0
; COMPUTE_PGM_RSRC2:USER_SGPR: 6
; COMPUTE_PGM_RSRC2:TRAP_HANDLER: 0
; COMPUTE_PGM_RSRC2:TGID_X_EN: 1
; COMPUTE_PGM_RSRC2:TGID_Y_EN: 0
; COMPUTE_PGM_RSRC2:TGID_Z_EN: 0
; COMPUTE_PGM_RSRC2:TIDIG_COMP_CNT: 0
; COMPUTE_PGM_RSRC3_GFX90A:ACCUM_OFFSET: 10
; COMPUTE_PGM_RSRC3_GFX90A:TG_SPLIT: 0
	.section	.text._ZN7rocprim17ROCPRIM_400000_NS6detail17trampoline_kernelINS0_14default_configENS1_22reduce_config_selectorIN6thrust23THRUST_200600_302600_NS5tupleIblNS6_9null_typeES8_S8_S8_S8_S8_S8_S8_EEEEZNS1_11reduce_implILb1ES3_NS6_12zip_iteratorINS7_INS6_11hip_rocprim26transform_input_iterator_tIbNSD_35transform_pair_of_input_iterators_tIbNS6_6detail15normal_iteratorINS6_10device_ptrIKxEEEESL_NS6_8equal_toIxEEEENSG_9not_fun_tINSD_8identityEEEEENSD_19counting_iterator_tIlEES8_S8_S8_S8_S8_S8_S8_S8_EEEEPS9_S9_NSD_9__find_if7functorIS9_EEEE10hipError_tPvRmT1_T2_T3_mT4_P12ihipStream_tbEUlT_E1_NS1_11comp_targetILNS1_3genE3ELNS1_11target_archE908ELNS1_3gpuE7ELNS1_3repE0EEENS1_30default_config_static_selectorELNS0_4arch9wavefront6targetE1EEEvS14_,"axG",@progbits,_ZN7rocprim17ROCPRIM_400000_NS6detail17trampoline_kernelINS0_14default_configENS1_22reduce_config_selectorIN6thrust23THRUST_200600_302600_NS5tupleIblNS6_9null_typeES8_S8_S8_S8_S8_S8_S8_EEEEZNS1_11reduce_implILb1ES3_NS6_12zip_iteratorINS7_INS6_11hip_rocprim26transform_input_iterator_tIbNSD_35transform_pair_of_input_iterators_tIbNS6_6detail15normal_iteratorINS6_10device_ptrIKxEEEESL_NS6_8equal_toIxEEEENSG_9not_fun_tINSD_8identityEEEEENSD_19counting_iterator_tIlEES8_S8_S8_S8_S8_S8_S8_S8_EEEEPS9_S9_NSD_9__find_if7functorIS9_EEEE10hipError_tPvRmT1_T2_T3_mT4_P12ihipStream_tbEUlT_E1_NS1_11comp_targetILNS1_3genE3ELNS1_11target_archE908ELNS1_3gpuE7ELNS1_3repE0EEENS1_30default_config_static_selectorELNS0_4arch9wavefront6targetE1EEEvS14_,comdat
	.protected	_ZN7rocprim17ROCPRIM_400000_NS6detail17trampoline_kernelINS0_14default_configENS1_22reduce_config_selectorIN6thrust23THRUST_200600_302600_NS5tupleIblNS6_9null_typeES8_S8_S8_S8_S8_S8_S8_EEEEZNS1_11reduce_implILb1ES3_NS6_12zip_iteratorINS7_INS6_11hip_rocprim26transform_input_iterator_tIbNSD_35transform_pair_of_input_iterators_tIbNS6_6detail15normal_iteratorINS6_10device_ptrIKxEEEESL_NS6_8equal_toIxEEEENSG_9not_fun_tINSD_8identityEEEEENSD_19counting_iterator_tIlEES8_S8_S8_S8_S8_S8_S8_S8_EEEEPS9_S9_NSD_9__find_if7functorIS9_EEEE10hipError_tPvRmT1_T2_T3_mT4_P12ihipStream_tbEUlT_E1_NS1_11comp_targetILNS1_3genE3ELNS1_11target_archE908ELNS1_3gpuE7ELNS1_3repE0EEENS1_30default_config_static_selectorELNS0_4arch9wavefront6targetE1EEEvS14_ ; -- Begin function _ZN7rocprim17ROCPRIM_400000_NS6detail17trampoline_kernelINS0_14default_configENS1_22reduce_config_selectorIN6thrust23THRUST_200600_302600_NS5tupleIblNS6_9null_typeES8_S8_S8_S8_S8_S8_S8_EEEEZNS1_11reduce_implILb1ES3_NS6_12zip_iteratorINS7_INS6_11hip_rocprim26transform_input_iterator_tIbNSD_35transform_pair_of_input_iterators_tIbNS6_6detail15normal_iteratorINS6_10device_ptrIKxEEEESL_NS6_8equal_toIxEEEENSG_9not_fun_tINSD_8identityEEEEENSD_19counting_iterator_tIlEES8_S8_S8_S8_S8_S8_S8_S8_EEEEPS9_S9_NSD_9__find_if7functorIS9_EEEE10hipError_tPvRmT1_T2_T3_mT4_P12ihipStream_tbEUlT_E1_NS1_11comp_targetILNS1_3genE3ELNS1_11target_archE908ELNS1_3gpuE7ELNS1_3repE0EEENS1_30default_config_static_selectorELNS0_4arch9wavefront6targetE1EEEvS14_
	.globl	_ZN7rocprim17ROCPRIM_400000_NS6detail17trampoline_kernelINS0_14default_configENS1_22reduce_config_selectorIN6thrust23THRUST_200600_302600_NS5tupleIblNS6_9null_typeES8_S8_S8_S8_S8_S8_S8_EEEEZNS1_11reduce_implILb1ES3_NS6_12zip_iteratorINS7_INS6_11hip_rocprim26transform_input_iterator_tIbNSD_35transform_pair_of_input_iterators_tIbNS6_6detail15normal_iteratorINS6_10device_ptrIKxEEEESL_NS6_8equal_toIxEEEENSG_9not_fun_tINSD_8identityEEEEENSD_19counting_iterator_tIlEES8_S8_S8_S8_S8_S8_S8_S8_EEEEPS9_S9_NSD_9__find_if7functorIS9_EEEE10hipError_tPvRmT1_T2_T3_mT4_P12ihipStream_tbEUlT_E1_NS1_11comp_targetILNS1_3genE3ELNS1_11target_archE908ELNS1_3gpuE7ELNS1_3repE0EEENS1_30default_config_static_selectorELNS0_4arch9wavefront6targetE1EEEvS14_
	.p2align	8
	.type	_ZN7rocprim17ROCPRIM_400000_NS6detail17trampoline_kernelINS0_14default_configENS1_22reduce_config_selectorIN6thrust23THRUST_200600_302600_NS5tupleIblNS6_9null_typeES8_S8_S8_S8_S8_S8_S8_EEEEZNS1_11reduce_implILb1ES3_NS6_12zip_iteratorINS7_INS6_11hip_rocprim26transform_input_iterator_tIbNSD_35transform_pair_of_input_iterators_tIbNS6_6detail15normal_iteratorINS6_10device_ptrIKxEEEESL_NS6_8equal_toIxEEEENSG_9not_fun_tINSD_8identityEEEEENSD_19counting_iterator_tIlEES8_S8_S8_S8_S8_S8_S8_S8_EEEEPS9_S9_NSD_9__find_if7functorIS9_EEEE10hipError_tPvRmT1_T2_T3_mT4_P12ihipStream_tbEUlT_E1_NS1_11comp_targetILNS1_3genE3ELNS1_11target_archE908ELNS1_3gpuE7ELNS1_3repE0EEENS1_30default_config_static_selectorELNS0_4arch9wavefront6targetE1EEEvS14_,@function
_ZN7rocprim17ROCPRIM_400000_NS6detail17trampoline_kernelINS0_14default_configENS1_22reduce_config_selectorIN6thrust23THRUST_200600_302600_NS5tupleIblNS6_9null_typeES8_S8_S8_S8_S8_S8_S8_EEEEZNS1_11reduce_implILb1ES3_NS6_12zip_iteratorINS7_INS6_11hip_rocprim26transform_input_iterator_tIbNSD_35transform_pair_of_input_iterators_tIbNS6_6detail15normal_iteratorINS6_10device_ptrIKxEEEESL_NS6_8equal_toIxEEEENSG_9not_fun_tINSD_8identityEEEEENSD_19counting_iterator_tIlEES8_S8_S8_S8_S8_S8_S8_S8_EEEEPS9_S9_NSD_9__find_if7functorIS9_EEEE10hipError_tPvRmT1_T2_T3_mT4_P12ihipStream_tbEUlT_E1_NS1_11comp_targetILNS1_3genE3ELNS1_11target_archE908ELNS1_3gpuE7ELNS1_3repE0EEENS1_30default_config_static_selectorELNS0_4arch9wavefront6targetE1EEEvS14_: ; @_ZN7rocprim17ROCPRIM_400000_NS6detail17trampoline_kernelINS0_14default_configENS1_22reduce_config_selectorIN6thrust23THRUST_200600_302600_NS5tupleIblNS6_9null_typeES8_S8_S8_S8_S8_S8_S8_EEEEZNS1_11reduce_implILb1ES3_NS6_12zip_iteratorINS7_INS6_11hip_rocprim26transform_input_iterator_tIbNSD_35transform_pair_of_input_iterators_tIbNS6_6detail15normal_iteratorINS6_10device_ptrIKxEEEESL_NS6_8equal_toIxEEEENSG_9not_fun_tINSD_8identityEEEEENSD_19counting_iterator_tIlEES8_S8_S8_S8_S8_S8_S8_S8_EEEEPS9_S9_NSD_9__find_if7functorIS9_EEEE10hipError_tPvRmT1_T2_T3_mT4_P12ihipStream_tbEUlT_E1_NS1_11comp_targetILNS1_3genE3ELNS1_11target_archE908ELNS1_3gpuE7ELNS1_3repE0EEENS1_30default_config_static_selectorELNS0_4arch9wavefront6targetE1EEEvS14_
; %bb.0:
	.section	.rodata,"a",@progbits
	.p2align	6, 0x0
	.amdhsa_kernel _ZN7rocprim17ROCPRIM_400000_NS6detail17trampoline_kernelINS0_14default_configENS1_22reduce_config_selectorIN6thrust23THRUST_200600_302600_NS5tupleIblNS6_9null_typeES8_S8_S8_S8_S8_S8_S8_EEEEZNS1_11reduce_implILb1ES3_NS6_12zip_iteratorINS7_INS6_11hip_rocprim26transform_input_iterator_tIbNSD_35transform_pair_of_input_iterators_tIbNS6_6detail15normal_iteratorINS6_10device_ptrIKxEEEESL_NS6_8equal_toIxEEEENSG_9not_fun_tINSD_8identityEEEEENSD_19counting_iterator_tIlEES8_S8_S8_S8_S8_S8_S8_S8_EEEEPS9_S9_NSD_9__find_if7functorIS9_EEEE10hipError_tPvRmT1_T2_T3_mT4_P12ihipStream_tbEUlT_E1_NS1_11comp_targetILNS1_3genE3ELNS1_11target_archE908ELNS1_3gpuE7ELNS1_3repE0EEENS1_30default_config_static_selectorELNS0_4arch9wavefront6targetE1EEEvS14_
		.amdhsa_group_segment_fixed_size 0
		.amdhsa_private_segment_fixed_size 0
		.amdhsa_kernarg_size 88
		.amdhsa_user_sgpr_count 6
		.amdhsa_user_sgpr_private_segment_buffer 1
		.amdhsa_user_sgpr_dispatch_ptr 0
		.amdhsa_user_sgpr_queue_ptr 0
		.amdhsa_user_sgpr_kernarg_segment_ptr 1
		.amdhsa_user_sgpr_dispatch_id 0
		.amdhsa_user_sgpr_flat_scratch_init 0
		.amdhsa_user_sgpr_kernarg_preload_length 0
		.amdhsa_user_sgpr_kernarg_preload_offset 0
		.amdhsa_user_sgpr_private_segment_size 0
		.amdhsa_uses_dynamic_stack 0
		.amdhsa_system_sgpr_private_segment_wavefront_offset 0
		.amdhsa_system_sgpr_workgroup_id_x 1
		.amdhsa_system_sgpr_workgroup_id_y 0
		.amdhsa_system_sgpr_workgroup_id_z 0
		.amdhsa_system_sgpr_workgroup_info 0
		.amdhsa_system_vgpr_workitem_id 0
		.amdhsa_next_free_vgpr 1
		.amdhsa_next_free_sgpr 0
		.amdhsa_accum_offset 4
		.amdhsa_reserve_vcc 0
		.amdhsa_reserve_flat_scratch 0
		.amdhsa_float_round_mode_32 0
		.amdhsa_float_round_mode_16_64 0
		.amdhsa_float_denorm_mode_32 3
		.amdhsa_float_denorm_mode_16_64 3
		.amdhsa_dx10_clamp 1
		.amdhsa_ieee_mode 1
		.amdhsa_fp16_overflow 0
		.amdhsa_tg_split 0
		.amdhsa_exception_fp_ieee_invalid_op 0
		.amdhsa_exception_fp_denorm_src 0
		.amdhsa_exception_fp_ieee_div_zero 0
		.amdhsa_exception_fp_ieee_overflow 0
		.amdhsa_exception_fp_ieee_underflow 0
		.amdhsa_exception_fp_ieee_inexact 0
		.amdhsa_exception_int_div_zero 0
	.end_amdhsa_kernel
	.section	.text._ZN7rocprim17ROCPRIM_400000_NS6detail17trampoline_kernelINS0_14default_configENS1_22reduce_config_selectorIN6thrust23THRUST_200600_302600_NS5tupleIblNS6_9null_typeES8_S8_S8_S8_S8_S8_S8_EEEEZNS1_11reduce_implILb1ES3_NS6_12zip_iteratorINS7_INS6_11hip_rocprim26transform_input_iterator_tIbNSD_35transform_pair_of_input_iterators_tIbNS6_6detail15normal_iteratorINS6_10device_ptrIKxEEEESL_NS6_8equal_toIxEEEENSG_9not_fun_tINSD_8identityEEEEENSD_19counting_iterator_tIlEES8_S8_S8_S8_S8_S8_S8_S8_EEEEPS9_S9_NSD_9__find_if7functorIS9_EEEE10hipError_tPvRmT1_T2_T3_mT4_P12ihipStream_tbEUlT_E1_NS1_11comp_targetILNS1_3genE3ELNS1_11target_archE908ELNS1_3gpuE7ELNS1_3repE0EEENS1_30default_config_static_selectorELNS0_4arch9wavefront6targetE1EEEvS14_,"axG",@progbits,_ZN7rocprim17ROCPRIM_400000_NS6detail17trampoline_kernelINS0_14default_configENS1_22reduce_config_selectorIN6thrust23THRUST_200600_302600_NS5tupleIblNS6_9null_typeES8_S8_S8_S8_S8_S8_S8_EEEEZNS1_11reduce_implILb1ES3_NS6_12zip_iteratorINS7_INS6_11hip_rocprim26transform_input_iterator_tIbNSD_35transform_pair_of_input_iterators_tIbNS6_6detail15normal_iteratorINS6_10device_ptrIKxEEEESL_NS6_8equal_toIxEEEENSG_9not_fun_tINSD_8identityEEEEENSD_19counting_iterator_tIlEES8_S8_S8_S8_S8_S8_S8_S8_EEEEPS9_S9_NSD_9__find_if7functorIS9_EEEE10hipError_tPvRmT1_T2_T3_mT4_P12ihipStream_tbEUlT_E1_NS1_11comp_targetILNS1_3genE3ELNS1_11target_archE908ELNS1_3gpuE7ELNS1_3repE0EEENS1_30default_config_static_selectorELNS0_4arch9wavefront6targetE1EEEvS14_,comdat
.Lfunc_end117:
	.size	_ZN7rocprim17ROCPRIM_400000_NS6detail17trampoline_kernelINS0_14default_configENS1_22reduce_config_selectorIN6thrust23THRUST_200600_302600_NS5tupleIblNS6_9null_typeES8_S8_S8_S8_S8_S8_S8_EEEEZNS1_11reduce_implILb1ES3_NS6_12zip_iteratorINS7_INS6_11hip_rocprim26transform_input_iterator_tIbNSD_35transform_pair_of_input_iterators_tIbNS6_6detail15normal_iteratorINS6_10device_ptrIKxEEEESL_NS6_8equal_toIxEEEENSG_9not_fun_tINSD_8identityEEEEENSD_19counting_iterator_tIlEES8_S8_S8_S8_S8_S8_S8_S8_EEEEPS9_S9_NSD_9__find_if7functorIS9_EEEE10hipError_tPvRmT1_T2_T3_mT4_P12ihipStream_tbEUlT_E1_NS1_11comp_targetILNS1_3genE3ELNS1_11target_archE908ELNS1_3gpuE7ELNS1_3repE0EEENS1_30default_config_static_selectorELNS0_4arch9wavefront6targetE1EEEvS14_, .Lfunc_end117-_ZN7rocprim17ROCPRIM_400000_NS6detail17trampoline_kernelINS0_14default_configENS1_22reduce_config_selectorIN6thrust23THRUST_200600_302600_NS5tupleIblNS6_9null_typeES8_S8_S8_S8_S8_S8_S8_EEEEZNS1_11reduce_implILb1ES3_NS6_12zip_iteratorINS7_INS6_11hip_rocprim26transform_input_iterator_tIbNSD_35transform_pair_of_input_iterators_tIbNS6_6detail15normal_iteratorINS6_10device_ptrIKxEEEESL_NS6_8equal_toIxEEEENSG_9not_fun_tINSD_8identityEEEEENSD_19counting_iterator_tIlEES8_S8_S8_S8_S8_S8_S8_S8_EEEEPS9_S9_NSD_9__find_if7functorIS9_EEEE10hipError_tPvRmT1_T2_T3_mT4_P12ihipStream_tbEUlT_E1_NS1_11comp_targetILNS1_3genE3ELNS1_11target_archE908ELNS1_3gpuE7ELNS1_3repE0EEENS1_30default_config_static_selectorELNS0_4arch9wavefront6targetE1EEEvS14_
                                        ; -- End function
	.section	.AMDGPU.csdata,"",@progbits
; Kernel info:
; codeLenInByte = 0
; NumSgprs: 4
; NumVgprs: 0
; NumAgprs: 0
; TotalNumVgprs: 0
; ScratchSize: 0
; MemoryBound: 0
; FloatMode: 240
; IeeeMode: 1
; LDSByteSize: 0 bytes/workgroup (compile time only)
; SGPRBlocks: 0
; VGPRBlocks: 0
; NumSGPRsForWavesPerEU: 4
; NumVGPRsForWavesPerEU: 1
; AccumOffset: 4
; Occupancy: 8
; WaveLimiterHint : 0
; COMPUTE_PGM_RSRC2:SCRATCH_EN: 0
; COMPUTE_PGM_RSRC2:USER_SGPR: 6
; COMPUTE_PGM_RSRC2:TRAP_HANDLER: 0
; COMPUTE_PGM_RSRC2:TGID_X_EN: 1
; COMPUTE_PGM_RSRC2:TGID_Y_EN: 0
; COMPUTE_PGM_RSRC2:TGID_Z_EN: 0
; COMPUTE_PGM_RSRC2:TIDIG_COMP_CNT: 0
; COMPUTE_PGM_RSRC3_GFX90A:ACCUM_OFFSET: 0
; COMPUTE_PGM_RSRC3_GFX90A:TG_SPLIT: 0
	.section	.text._ZN7rocprim17ROCPRIM_400000_NS6detail17trampoline_kernelINS0_14default_configENS1_22reduce_config_selectorIN6thrust23THRUST_200600_302600_NS5tupleIblNS6_9null_typeES8_S8_S8_S8_S8_S8_S8_EEEEZNS1_11reduce_implILb1ES3_NS6_12zip_iteratorINS7_INS6_11hip_rocprim26transform_input_iterator_tIbNSD_35transform_pair_of_input_iterators_tIbNS6_6detail15normal_iteratorINS6_10device_ptrIKxEEEESL_NS6_8equal_toIxEEEENSG_9not_fun_tINSD_8identityEEEEENSD_19counting_iterator_tIlEES8_S8_S8_S8_S8_S8_S8_S8_EEEEPS9_S9_NSD_9__find_if7functorIS9_EEEE10hipError_tPvRmT1_T2_T3_mT4_P12ihipStream_tbEUlT_E1_NS1_11comp_targetILNS1_3genE2ELNS1_11target_archE906ELNS1_3gpuE6ELNS1_3repE0EEENS1_30default_config_static_selectorELNS0_4arch9wavefront6targetE1EEEvS14_,"axG",@progbits,_ZN7rocprim17ROCPRIM_400000_NS6detail17trampoline_kernelINS0_14default_configENS1_22reduce_config_selectorIN6thrust23THRUST_200600_302600_NS5tupleIblNS6_9null_typeES8_S8_S8_S8_S8_S8_S8_EEEEZNS1_11reduce_implILb1ES3_NS6_12zip_iteratorINS7_INS6_11hip_rocprim26transform_input_iterator_tIbNSD_35transform_pair_of_input_iterators_tIbNS6_6detail15normal_iteratorINS6_10device_ptrIKxEEEESL_NS6_8equal_toIxEEEENSG_9not_fun_tINSD_8identityEEEEENSD_19counting_iterator_tIlEES8_S8_S8_S8_S8_S8_S8_S8_EEEEPS9_S9_NSD_9__find_if7functorIS9_EEEE10hipError_tPvRmT1_T2_T3_mT4_P12ihipStream_tbEUlT_E1_NS1_11comp_targetILNS1_3genE2ELNS1_11target_archE906ELNS1_3gpuE6ELNS1_3repE0EEENS1_30default_config_static_selectorELNS0_4arch9wavefront6targetE1EEEvS14_,comdat
	.protected	_ZN7rocprim17ROCPRIM_400000_NS6detail17trampoline_kernelINS0_14default_configENS1_22reduce_config_selectorIN6thrust23THRUST_200600_302600_NS5tupleIblNS6_9null_typeES8_S8_S8_S8_S8_S8_S8_EEEEZNS1_11reduce_implILb1ES3_NS6_12zip_iteratorINS7_INS6_11hip_rocprim26transform_input_iterator_tIbNSD_35transform_pair_of_input_iterators_tIbNS6_6detail15normal_iteratorINS6_10device_ptrIKxEEEESL_NS6_8equal_toIxEEEENSG_9not_fun_tINSD_8identityEEEEENSD_19counting_iterator_tIlEES8_S8_S8_S8_S8_S8_S8_S8_EEEEPS9_S9_NSD_9__find_if7functorIS9_EEEE10hipError_tPvRmT1_T2_T3_mT4_P12ihipStream_tbEUlT_E1_NS1_11comp_targetILNS1_3genE2ELNS1_11target_archE906ELNS1_3gpuE6ELNS1_3repE0EEENS1_30default_config_static_selectorELNS0_4arch9wavefront6targetE1EEEvS14_ ; -- Begin function _ZN7rocprim17ROCPRIM_400000_NS6detail17trampoline_kernelINS0_14default_configENS1_22reduce_config_selectorIN6thrust23THRUST_200600_302600_NS5tupleIblNS6_9null_typeES8_S8_S8_S8_S8_S8_S8_EEEEZNS1_11reduce_implILb1ES3_NS6_12zip_iteratorINS7_INS6_11hip_rocprim26transform_input_iterator_tIbNSD_35transform_pair_of_input_iterators_tIbNS6_6detail15normal_iteratorINS6_10device_ptrIKxEEEESL_NS6_8equal_toIxEEEENSG_9not_fun_tINSD_8identityEEEEENSD_19counting_iterator_tIlEES8_S8_S8_S8_S8_S8_S8_S8_EEEEPS9_S9_NSD_9__find_if7functorIS9_EEEE10hipError_tPvRmT1_T2_T3_mT4_P12ihipStream_tbEUlT_E1_NS1_11comp_targetILNS1_3genE2ELNS1_11target_archE906ELNS1_3gpuE6ELNS1_3repE0EEENS1_30default_config_static_selectorELNS0_4arch9wavefront6targetE1EEEvS14_
	.globl	_ZN7rocprim17ROCPRIM_400000_NS6detail17trampoline_kernelINS0_14default_configENS1_22reduce_config_selectorIN6thrust23THRUST_200600_302600_NS5tupleIblNS6_9null_typeES8_S8_S8_S8_S8_S8_S8_EEEEZNS1_11reduce_implILb1ES3_NS6_12zip_iteratorINS7_INS6_11hip_rocprim26transform_input_iterator_tIbNSD_35transform_pair_of_input_iterators_tIbNS6_6detail15normal_iteratorINS6_10device_ptrIKxEEEESL_NS6_8equal_toIxEEEENSG_9not_fun_tINSD_8identityEEEEENSD_19counting_iterator_tIlEES8_S8_S8_S8_S8_S8_S8_S8_EEEEPS9_S9_NSD_9__find_if7functorIS9_EEEE10hipError_tPvRmT1_T2_T3_mT4_P12ihipStream_tbEUlT_E1_NS1_11comp_targetILNS1_3genE2ELNS1_11target_archE906ELNS1_3gpuE6ELNS1_3repE0EEENS1_30default_config_static_selectorELNS0_4arch9wavefront6targetE1EEEvS14_
	.p2align	8
	.type	_ZN7rocprim17ROCPRIM_400000_NS6detail17trampoline_kernelINS0_14default_configENS1_22reduce_config_selectorIN6thrust23THRUST_200600_302600_NS5tupleIblNS6_9null_typeES8_S8_S8_S8_S8_S8_S8_EEEEZNS1_11reduce_implILb1ES3_NS6_12zip_iteratorINS7_INS6_11hip_rocprim26transform_input_iterator_tIbNSD_35transform_pair_of_input_iterators_tIbNS6_6detail15normal_iteratorINS6_10device_ptrIKxEEEESL_NS6_8equal_toIxEEEENSG_9not_fun_tINSD_8identityEEEEENSD_19counting_iterator_tIlEES8_S8_S8_S8_S8_S8_S8_S8_EEEEPS9_S9_NSD_9__find_if7functorIS9_EEEE10hipError_tPvRmT1_T2_T3_mT4_P12ihipStream_tbEUlT_E1_NS1_11comp_targetILNS1_3genE2ELNS1_11target_archE906ELNS1_3gpuE6ELNS1_3repE0EEENS1_30default_config_static_selectorELNS0_4arch9wavefront6targetE1EEEvS14_,@function
_ZN7rocprim17ROCPRIM_400000_NS6detail17trampoline_kernelINS0_14default_configENS1_22reduce_config_selectorIN6thrust23THRUST_200600_302600_NS5tupleIblNS6_9null_typeES8_S8_S8_S8_S8_S8_S8_EEEEZNS1_11reduce_implILb1ES3_NS6_12zip_iteratorINS7_INS6_11hip_rocprim26transform_input_iterator_tIbNSD_35transform_pair_of_input_iterators_tIbNS6_6detail15normal_iteratorINS6_10device_ptrIKxEEEESL_NS6_8equal_toIxEEEENSG_9not_fun_tINSD_8identityEEEEENSD_19counting_iterator_tIlEES8_S8_S8_S8_S8_S8_S8_S8_EEEEPS9_S9_NSD_9__find_if7functorIS9_EEEE10hipError_tPvRmT1_T2_T3_mT4_P12ihipStream_tbEUlT_E1_NS1_11comp_targetILNS1_3genE2ELNS1_11target_archE906ELNS1_3gpuE6ELNS1_3repE0EEENS1_30default_config_static_selectorELNS0_4arch9wavefront6targetE1EEEvS14_: ; @_ZN7rocprim17ROCPRIM_400000_NS6detail17trampoline_kernelINS0_14default_configENS1_22reduce_config_selectorIN6thrust23THRUST_200600_302600_NS5tupleIblNS6_9null_typeES8_S8_S8_S8_S8_S8_S8_EEEEZNS1_11reduce_implILb1ES3_NS6_12zip_iteratorINS7_INS6_11hip_rocprim26transform_input_iterator_tIbNSD_35transform_pair_of_input_iterators_tIbNS6_6detail15normal_iteratorINS6_10device_ptrIKxEEEESL_NS6_8equal_toIxEEEENSG_9not_fun_tINSD_8identityEEEEENSD_19counting_iterator_tIlEES8_S8_S8_S8_S8_S8_S8_S8_EEEEPS9_S9_NSD_9__find_if7functorIS9_EEEE10hipError_tPvRmT1_T2_T3_mT4_P12ihipStream_tbEUlT_E1_NS1_11comp_targetILNS1_3genE2ELNS1_11target_archE906ELNS1_3gpuE6ELNS1_3repE0EEENS1_30default_config_static_selectorELNS0_4arch9wavefront6targetE1EEEvS14_
; %bb.0:
	.section	.rodata,"a",@progbits
	.p2align	6, 0x0
	.amdhsa_kernel _ZN7rocprim17ROCPRIM_400000_NS6detail17trampoline_kernelINS0_14default_configENS1_22reduce_config_selectorIN6thrust23THRUST_200600_302600_NS5tupleIblNS6_9null_typeES8_S8_S8_S8_S8_S8_S8_EEEEZNS1_11reduce_implILb1ES3_NS6_12zip_iteratorINS7_INS6_11hip_rocprim26transform_input_iterator_tIbNSD_35transform_pair_of_input_iterators_tIbNS6_6detail15normal_iteratorINS6_10device_ptrIKxEEEESL_NS6_8equal_toIxEEEENSG_9not_fun_tINSD_8identityEEEEENSD_19counting_iterator_tIlEES8_S8_S8_S8_S8_S8_S8_S8_EEEEPS9_S9_NSD_9__find_if7functorIS9_EEEE10hipError_tPvRmT1_T2_T3_mT4_P12ihipStream_tbEUlT_E1_NS1_11comp_targetILNS1_3genE2ELNS1_11target_archE906ELNS1_3gpuE6ELNS1_3repE0EEENS1_30default_config_static_selectorELNS0_4arch9wavefront6targetE1EEEvS14_
		.amdhsa_group_segment_fixed_size 0
		.amdhsa_private_segment_fixed_size 0
		.amdhsa_kernarg_size 88
		.amdhsa_user_sgpr_count 6
		.amdhsa_user_sgpr_private_segment_buffer 1
		.amdhsa_user_sgpr_dispatch_ptr 0
		.amdhsa_user_sgpr_queue_ptr 0
		.amdhsa_user_sgpr_kernarg_segment_ptr 1
		.amdhsa_user_sgpr_dispatch_id 0
		.amdhsa_user_sgpr_flat_scratch_init 0
		.amdhsa_user_sgpr_kernarg_preload_length 0
		.amdhsa_user_sgpr_kernarg_preload_offset 0
		.amdhsa_user_sgpr_private_segment_size 0
		.amdhsa_uses_dynamic_stack 0
		.amdhsa_system_sgpr_private_segment_wavefront_offset 0
		.amdhsa_system_sgpr_workgroup_id_x 1
		.amdhsa_system_sgpr_workgroup_id_y 0
		.amdhsa_system_sgpr_workgroup_id_z 0
		.amdhsa_system_sgpr_workgroup_info 0
		.amdhsa_system_vgpr_workitem_id 0
		.amdhsa_next_free_vgpr 1
		.amdhsa_next_free_sgpr 0
		.amdhsa_accum_offset 4
		.amdhsa_reserve_vcc 0
		.amdhsa_reserve_flat_scratch 0
		.amdhsa_float_round_mode_32 0
		.amdhsa_float_round_mode_16_64 0
		.amdhsa_float_denorm_mode_32 3
		.amdhsa_float_denorm_mode_16_64 3
		.amdhsa_dx10_clamp 1
		.amdhsa_ieee_mode 1
		.amdhsa_fp16_overflow 0
		.amdhsa_tg_split 0
		.amdhsa_exception_fp_ieee_invalid_op 0
		.amdhsa_exception_fp_denorm_src 0
		.amdhsa_exception_fp_ieee_div_zero 0
		.amdhsa_exception_fp_ieee_overflow 0
		.amdhsa_exception_fp_ieee_underflow 0
		.amdhsa_exception_fp_ieee_inexact 0
		.amdhsa_exception_int_div_zero 0
	.end_amdhsa_kernel
	.section	.text._ZN7rocprim17ROCPRIM_400000_NS6detail17trampoline_kernelINS0_14default_configENS1_22reduce_config_selectorIN6thrust23THRUST_200600_302600_NS5tupleIblNS6_9null_typeES8_S8_S8_S8_S8_S8_S8_EEEEZNS1_11reduce_implILb1ES3_NS6_12zip_iteratorINS7_INS6_11hip_rocprim26transform_input_iterator_tIbNSD_35transform_pair_of_input_iterators_tIbNS6_6detail15normal_iteratorINS6_10device_ptrIKxEEEESL_NS6_8equal_toIxEEEENSG_9not_fun_tINSD_8identityEEEEENSD_19counting_iterator_tIlEES8_S8_S8_S8_S8_S8_S8_S8_EEEEPS9_S9_NSD_9__find_if7functorIS9_EEEE10hipError_tPvRmT1_T2_T3_mT4_P12ihipStream_tbEUlT_E1_NS1_11comp_targetILNS1_3genE2ELNS1_11target_archE906ELNS1_3gpuE6ELNS1_3repE0EEENS1_30default_config_static_selectorELNS0_4arch9wavefront6targetE1EEEvS14_,"axG",@progbits,_ZN7rocprim17ROCPRIM_400000_NS6detail17trampoline_kernelINS0_14default_configENS1_22reduce_config_selectorIN6thrust23THRUST_200600_302600_NS5tupleIblNS6_9null_typeES8_S8_S8_S8_S8_S8_S8_EEEEZNS1_11reduce_implILb1ES3_NS6_12zip_iteratorINS7_INS6_11hip_rocprim26transform_input_iterator_tIbNSD_35transform_pair_of_input_iterators_tIbNS6_6detail15normal_iteratorINS6_10device_ptrIKxEEEESL_NS6_8equal_toIxEEEENSG_9not_fun_tINSD_8identityEEEEENSD_19counting_iterator_tIlEES8_S8_S8_S8_S8_S8_S8_S8_EEEEPS9_S9_NSD_9__find_if7functorIS9_EEEE10hipError_tPvRmT1_T2_T3_mT4_P12ihipStream_tbEUlT_E1_NS1_11comp_targetILNS1_3genE2ELNS1_11target_archE906ELNS1_3gpuE6ELNS1_3repE0EEENS1_30default_config_static_selectorELNS0_4arch9wavefront6targetE1EEEvS14_,comdat
.Lfunc_end118:
	.size	_ZN7rocprim17ROCPRIM_400000_NS6detail17trampoline_kernelINS0_14default_configENS1_22reduce_config_selectorIN6thrust23THRUST_200600_302600_NS5tupleIblNS6_9null_typeES8_S8_S8_S8_S8_S8_S8_EEEEZNS1_11reduce_implILb1ES3_NS6_12zip_iteratorINS7_INS6_11hip_rocprim26transform_input_iterator_tIbNSD_35transform_pair_of_input_iterators_tIbNS6_6detail15normal_iteratorINS6_10device_ptrIKxEEEESL_NS6_8equal_toIxEEEENSG_9not_fun_tINSD_8identityEEEEENSD_19counting_iterator_tIlEES8_S8_S8_S8_S8_S8_S8_S8_EEEEPS9_S9_NSD_9__find_if7functorIS9_EEEE10hipError_tPvRmT1_T2_T3_mT4_P12ihipStream_tbEUlT_E1_NS1_11comp_targetILNS1_3genE2ELNS1_11target_archE906ELNS1_3gpuE6ELNS1_3repE0EEENS1_30default_config_static_selectorELNS0_4arch9wavefront6targetE1EEEvS14_, .Lfunc_end118-_ZN7rocprim17ROCPRIM_400000_NS6detail17trampoline_kernelINS0_14default_configENS1_22reduce_config_selectorIN6thrust23THRUST_200600_302600_NS5tupleIblNS6_9null_typeES8_S8_S8_S8_S8_S8_S8_EEEEZNS1_11reduce_implILb1ES3_NS6_12zip_iteratorINS7_INS6_11hip_rocprim26transform_input_iterator_tIbNSD_35transform_pair_of_input_iterators_tIbNS6_6detail15normal_iteratorINS6_10device_ptrIKxEEEESL_NS6_8equal_toIxEEEENSG_9not_fun_tINSD_8identityEEEEENSD_19counting_iterator_tIlEES8_S8_S8_S8_S8_S8_S8_S8_EEEEPS9_S9_NSD_9__find_if7functorIS9_EEEE10hipError_tPvRmT1_T2_T3_mT4_P12ihipStream_tbEUlT_E1_NS1_11comp_targetILNS1_3genE2ELNS1_11target_archE906ELNS1_3gpuE6ELNS1_3repE0EEENS1_30default_config_static_selectorELNS0_4arch9wavefront6targetE1EEEvS14_
                                        ; -- End function
	.section	.AMDGPU.csdata,"",@progbits
; Kernel info:
; codeLenInByte = 0
; NumSgprs: 4
; NumVgprs: 0
; NumAgprs: 0
; TotalNumVgprs: 0
; ScratchSize: 0
; MemoryBound: 0
; FloatMode: 240
; IeeeMode: 1
; LDSByteSize: 0 bytes/workgroup (compile time only)
; SGPRBlocks: 0
; VGPRBlocks: 0
; NumSGPRsForWavesPerEU: 4
; NumVGPRsForWavesPerEU: 1
; AccumOffset: 4
; Occupancy: 8
; WaveLimiterHint : 0
; COMPUTE_PGM_RSRC2:SCRATCH_EN: 0
; COMPUTE_PGM_RSRC2:USER_SGPR: 6
; COMPUTE_PGM_RSRC2:TRAP_HANDLER: 0
; COMPUTE_PGM_RSRC2:TGID_X_EN: 1
; COMPUTE_PGM_RSRC2:TGID_Y_EN: 0
; COMPUTE_PGM_RSRC2:TGID_Z_EN: 0
; COMPUTE_PGM_RSRC2:TIDIG_COMP_CNT: 0
; COMPUTE_PGM_RSRC3_GFX90A:ACCUM_OFFSET: 0
; COMPUTE_PGM_RSRC3_GFX90A:TG_SPLIT: 0
	.section	.text._ZN7rocprim17ROCPRIM_400000_NS6detail17trampoline_kernelINS0_14default_configENS1_22reduce_config_selectorIN6thrust23THRUST_200600_302600_NS5tupleIblNS6_9null_typeES8_S8_S8_S8_S8_S8_S8_EEEEZNS1_11reduce_implILb1ES3_NS6_12zip_iteratorINS7_INS6_11hip_rocprim26transform_input_iterator_tIbNSD_35transform_pair_of_input_iterators_tIbNS6_6detail15normal_iteratorINS6_10device_ptrIKxEEEESL_NS6_8equal_toIxEEEENSG_9not_fun_tINSD_8identityEEEEENSD_19counting_iterator_tIlEES8_S8_S8_S8_S8_S8_S8_S8_EEEEPS9_S9_NSD_9__find_if7functorIS9_EEEE10hipError_tPvRmT1_T2_T3_mT4_P12ihipStream_tbEUlT_E1_NS1_11comp_targetILNS1_3genE10ELNS1_11target_archE1201ELNS1_3gpuE5ELNS1_3repE0EEENS1_30default_config_static_selectorELNS0_4arch9wavefront6targetE1EEEvS14_,"axG",@progbits,_ZN7rocprim17ROCPRIM_400000_NS6detail17trampoline_kernelINS0_14default_configENS1_22reduce_config_selectorIN6thrust23THRUST_200600_302600_NS5tupleIblNS6_9null_typeES8_S8_S8_S8_S8_S8_S8_EEEEZNS1_11reduce_implILb1ES3_NS6_12zip_iteratorINS7_INS6_11hip_rocprim26transform_input_iterator_tIbNSD_35transform_pair_of_input_iterators_tIbNS6_6detail15normal_iteratorINS6_10device_ptrIKxEEEESL_NS6_8equal_toIxEEEENSG_9not_fun_tINSD_8identityEEEEENSD_19counting_iterator_tIlEES8_S8_S8_S8_S8_S8_S8_S8_EEEEPS9_S9_NSD_9__find_if7functorIS9_EEEE10hipError_tPvRmT1_T2_T3_mT4_P12ihipStream_tbEUlT_E1_NS1_11comp_targetILNS1_3genE10ELNS1_11target_archE1201ELNS1_3gpuE5ELNS1_3repE0EEENS1_30default_config_static_selectorELNS0_4arch9wavefront6targetE1EEEvS14_,comdat
	.protected	_ZN7rocprim17ROCPRIM_400000_NS6detail17trampoline_kernelINS0_14default_configENS1_22reduce_config_selectorIN6thrust23THRUST_200600_302600_NS5tupleIblNS6_9null_typeES8_S8_S8_S8_S8_S8_S8_EEEEZNS1_11reduce_implILb1ES3_NS6_12zip_iteratorINS7_INS6_11hip_rocprim26transform_input_iterator_tIbNSD_35transform_pair_of_input_iterators_tIbNS6_6detail15normal_iteratorINS6_10device_ptrIKxEEEESL_NS6_8equal_toIxEEEENSG_9not_fun_tINSD_8identityEEEEENSD_19counting_iterator_tIlEES8_S8_S8_S8_S8_S8_S8_S8_EEEEPS9_S9_NSD_9__find_if7functorIS9_EEEE10hipError_tPvRmT1_T2_T3_mT4_P12ihipStream_tbEUlT_E1_NS1_11comp_targetILNS1_3genE10ELNS1_11target_archE1201ELNS1_3gpuE5ELNS1_3repE0EEENS1_30default_config_static_selectorELNS0_4arch9wavefront6targetE1EEEvS14_ ; -- Begin function _ZN7rocprim17ROCPRIM_400000_NS6detail17trampoline_kernelINS0_14default_configENS1_22reduce_config_selectorIN6thrust23THRUST_200600_302600_NS5tupleIblNS6_9null_typeES8_S8_S8_S8_S8_S8_S8_EEEEZNS1_11reduce_implILb1ES3_NS6_12zip_iteratorINS7_INS6_11hip_rocprim26transform_input_iterator_tIbNSD_35transform_pair_of_input_iterators_tIbNS6_6detail15normal_iteratorINS6_10device_ptrIKxEEEESL_NS6_8equal_toIxEEEENSG_9not_fun_tINSD_8identityEEEEENSD_19counting_iterator_tIlEES8_S8_S8_S8_S8_S8_S8_S8_EEEEPS9_S9_NSD_9__find_if7functorIS9_EEEE10hipError_tPvRmT1_T2_T3_mT4_P12ihipStream_tbEUlT_E1_NS1_11comp_targetILNS1_3genE10ELNS1_11target_archE1201ELNS1_3gpuE5ELNS1_3repE0EEENS1_30default_config_static_selectorELNS0_4arch9wavefront6targetE1EEEvS14_
	.globl	_ZN7rocprim17ROCPRIM_400000_NS6detail17trampoline_kernelINS0_14default_configENS1_22reduce_config_selectorIN6thrust23THRUST_200600_302600_NS5tupleIblNS6_9null_typeES8_S8_S8_S8_S8_S8_S8_EEEEZNS1_11reduce_implILb1ES3_NS6_12zip_iteratorINS7_INS6_11hip_rocprim26transform_input_iterator_tIbNSD_35transform_pair_of_input_iterators_tIbNS6_6detail15normal_iteratorINS6_10device_ptrIKxEEEESL_NS6_8equal_toIxEEEENSG_9not_fun_tINSD_8identityEEEEENSD_19counting_iterator_tIlEES8_S8_S8_S8_S8_S8_S8_S8_EEEEPS9_S9_NSD_9__find_if7functorIS9_EEEE10hipError_tPvRmT1_T2_T3_mT4_P12ihipStream_tbEUlT_E1_NS1_11comp_targetILNS1_3genE10ELNS1_11target_archE1201ELNS1_3gpuE5ELNS1_3repE0EEENS1_30default_config_static_selectorELNS0_4arch9wavefront6targetE1EEEvS14_
	.p2align	8
	.type	_ZN7rocprim17ROCPRIM_400000_NS6detail17trampoline_kernelINS0_14default_configENS1_22reduce_config_selectorIN6thrust23THRUST_200600_302600_NS5tupleIblNS6_9null_typeES8_S8_S8_S8_S8_S8_S8_EEEEZNS1_11reduce_implILb1ES3_NS6_12zip_iteratorINS7_INS6_11hip_rocprim26transform_input_iterator_tIbNSD_35transform_pair_of_input_iterators_tIbNS6_6detail15normal_iteratorINS6_10device_ptrIKxEEEESL_NS6_8equal_toIxEEEENSG_9not_fun_tINSD_8identityEEEEENSD_19counting_iterator_tIlEES8_S8_S8_S8_S8_S8_S8_S8_EEEEPS9_S9_NSD_9__find_if7functorIS9_EEEE10hipError_tPvRmT1_T2_T3_mT4_P12ihipStream_tbEUlT_E1_NS1_11comp_targetILNS1_3genE10ELNS1_11target_archE1201ELNS1_3gpuE5ELNS1_3repE0EEENS1_30default_config_static_selectorELNS0_4arch9wavefront6targetE1EEEvS14_,@function
_ZN7rocprim17ROCPRIM_400000_NS6detail17trampoline_kernelINS0_14default_configENS1_22reduce_config_selectorIN6thrust23THRUST_200600_302600_NS5tupleIblNS6_9null_typeES8_S8_S8_S8_S8_S8_S8_EEEEZNS1_11reduce_implILb1ES3_NS6_12zip_iteratorINS7_INS6_11hip_rocprim26transform_input_iterator_tIbNSD_35transform_pair_of_input_iterators_tIbNS6_6detail15normal_iteratorINS6_10device_ptrIKxEEEESL_NS6_8equal_toIxEEEENSG_9not_fun_tINSD_8identityEEEEENSD_19counting_iterator_tIlEES8_S8_S8_S8_S8_S8_S8_S8_EEEEPS9_S9_NSD_9__find_if7functorIS9_EEEE10hipError_tPvRmT1_T2_T3_mT4_P12ihipStream_tbEUlT_E1_NS1_11comp_targetILNS1_3genE10ELNS1_11target_archE1201ELNS1_3gpuE5ELNS1_3repE0EEENS1_30default_config_static_selectorELNS0_4arch9wavefront6targetE1EEEvS14_: ; @_ZN7rocprim17ROCPRIM_400000_NS6detail17trampoline_kernelINS0_14default_configENS1_22reduce_config_selectorIN6thrust23THRUST_200600_302600_NS5tupleIblNS6_9null_typeES8_S8_S8_S8_S8_S8_S8_EEEEZNS1_11reduce_implILb1ES3_NS6_12zip_iteratorINS7_INS6_11hip_rocprim26transform_input_iterator_tIbNSD_35transform_pair_of_input_iterators_tIbNS6_6detail15normal_iteratorINS6_10device_ptrIKxEEEESL_NS6_8equal_toIxEEEENSG_9not_fun_tINSD_8identityEEEEENSD_19counting_iterator_tIlEES8_S8_S8_S8_S8_S8_S8_S8_EEEEPS9_S9_NSD_9__find_if7functorIS9_EEEE10hipError_tPvRmT1_T2_T3_mT4_P12ihipStream_tbEUlT_E1_NS1_11comp_targetILNS1_3genE10ELNS1_11target_archE1201ELNS1_3gpuE5ELNS1_3repE0EEENS1_30default_config_static_selectorELNS0_4arch9wavefront6targetE1EEEvS14_
; %bb.0:
	.section	.rodata,"a",@progbits
	.p2align	6, 0x0
	.amdhsa_kernel _ZN7rocprim17ROCPRIM_400000_NS6detail17trampoline_kernelINS0_14default_configENS1_22reduce_config_selectorIN6thrust23THRUST_200600_302600_NS5tupleIblNS6_9null_typeES8_S8_S8_S8_S8_S8_S8_EEEEZNS1_11reduce_implILb1ES3_NS6_12zip_iteratorINS7_INS6_11hip_rocprim26transform_input_iterator_tIbNSD_35transform_pair_of_input_iterators_tIbNS6_6detail15normal_iteratorINS6_10device_ptrIKxEEEESL_NS6_8equal_toIxEEEENSG_9not_fun_tINSD_8identityEEEEENSD_19counting_iterator_tIlEES8_S8_S8_S8_S8_S8_S8_S8_EEEEPS9_S9_NSD_9__find_if7functorIS9_EEEE10hipError_tPvRmT1_T2_T3_mT4_P12ihipStream_tbEUlT_E1_NS1_11comp_targetILNS1_3genE10ELNS1_11target_archE1201ELNS1_3gpuE5ELNS1_3repE0EEENS1_30default_config_static_selectorELNS0_4arch9wavefront6targetE1EEEvS14_
		.amdhsa_group_segment_fixed_size 0
		.amdhsa_private_segment_fixed_size 0
		.amdhsa_kernarg_size 88
		.amdhsa_user_sgpr_count 6
		.amdhsa_user_sgpr_private_segment_buffer 1
		.amdhsa_user_sgpr_dispatch_ptr 0
		.amdhsa_user_sgpr_queue_ptr 0
		.amdhsa_user_sgpr_kernarg_segment_ptr 1
		.amdhsa_user_sgpr_dispatch_id 0
		.amdhsa_user_sgpr_flat_scratch_init 0
		.amdhsa_user_sgpr_kernarg_preload_length 0
		.amdhsa_user_sgpr_kernarg_preload_offset 0
		.amdhsa_user_sgpr_private_segment_size 0
		.amdhsa_uses_dynamic_stack 0
		.amdhsa_system_sgpr_private_segment_wavefront_offset 0
		.amdhsa_system_sgpr_workgroup_id_x 1
		.amdhsa_system_sgpr_workgroup_id_y 0
		.amdhsa_system_sgpr_workgroup_id_z 0
		.amdhsa_system_sgpr_workgroup_info 0
		.amdhsa_system_vgpr_workitem_id 0
		.amdhsa_next_free_vgpr 1
		.amdhsa_next_free_sgpr 0
		.amdhsa_accum_offset 4
		.amdhsa_reserve_vcc 0
		.amdhsa_reserve_flat_scratch 0
		.amdhsa_float_round_mode_32 0
		.amdhsa_float_round_mode_16_64 0
		.amdhsa_float_denorm_mode_32 3
		.amdhsa_float_denorm_mode_16_64 3
		.amdhsa_dx10_clamp 1
		.amdhsa_ieee_mode 1
		.amdhsa_fp16_overflow 0
		.amdhsa_tg_split 0
		.amdhsa_exception_fp_ieee_invalid_op 0
		.amdhsa_exception_fp_denorm_src 0
		.amdhsa_exception_fp_ieee_div_zero 0
		.amdhsa_exception_fp_ieee_overflow 0
		.amdhsa_exception_fp_ieee_underflow 0
		.amdhsa_exception_fp_ieee_inexact 0
		.amdhsa_exception_int_div_zero 0
	.end_amdhsa_kernel
	.section	.text._ZN7rocprim17ROCPRIM_400000_NS6detail17trampoline_kernelINS0_14default_configENS1_22reduce_config_selectorIN6thrust23THRUST_200600_302600_NS5tupleIblNS6_9null_typeES8_S8_S8_S8_S8_S8_S8_EEEEZNS1_11reduce_implILb1ES3_NS6_12zip_iteratorINS7_INS6_11hip_rocprim26transform_input_iterator_tIbNSD_35transform_pair_of_input_iterators_tIbNS6_6detail15normal_iteratorINS6_10device_ptrIKxEEEESL_NS6_8equal_toIxEEEENSG_9not_fun_tINSD_8identityEEEEENSD_19counting_iterator_tIlEES8_S8_S8_S8_S8_S8_S8_S8_EEEEPS9_S9_NSD_9__find_if7functorIS9_EEEE10hipError_tPvRmT1_T2_T3_mT4_P12ihipStream_tbEUlT_E1_NS1_11comp_targetILNS1_3genE10ELNS1_11target_archE1201ELNS1_3gpuE5ELNS1_3repE0EEENS1_30default_config_static_selectorELNS0_4arch9wavefront6targetE1EEEvS14_,"axG",@progbits,_ZN7rocprim17ROCPRIM_400000_NS6detail17trampoline_kernelINS0_14default_configENS1_22reduce_config_selectorIN6thrust23THRUST_200600_302600_NS5tupleIblNS6_9null_typeES8_S8_S8_S8_S8_S8_S8_EEEEZNS1_11reduce_implILb1ES3_NS6_12zip_iteratorINS7_INS6_11hip_rocprim26transform_input_iterator_tIbNSD_35transform_pair_of_input_iterators_tIbNS6_6detail15normal_iteratorINS6_10device_ptrIKxEEEESL_NS6_8equal_toIxEEEENSG_9not_fun_tINSD_8identityEEEEENSD_19counting_iterator_tIlEES8_S8_S8_S8_S8_S8_S8_S8_EEEEPS9_S9_NSD_9__find_if7functorIS9_EEEE10hipError_tPvRmT1_T2_T3_mT4_P12ihipStream_tbEUlT_E1_NS1_11comp_targetILNS1_3genE10ELNS1_11target_archE1201ELNS1_3gpuE5ELNS1_3repE0EEENS1_30default_config_static_selectorELNS0_4arch9wavefront6targetE1EEEvS14_,comdat
.Lfunc_end119:
	.size	_ZN7rocprim17ROCPRIM_400000_NS6detail17trampoline_kernelINS0_14default_configENS1_22reduce_config_selectorIN6thrust23THRUST_200600_302600_NS5tupleIblNS6_9null_typeES8_S8_S8_S8_S8_S8_S8_EEEEZNS1_11reduce_implILb1ES3_NS6_12zip_iteratorINS7_INS6_11hip_rocprim26transform_input_iterator_tIbNSD_35transform_pair_of_input_iterators_tIbNS6_6detail15normal_iteratorINS6_10device_ptrIKxEEEESL_NS6_8equal_toIxEEEENSG_9not_fun_tINSD_8identityEEEEENSD_19counting_iterator_tIlEES8_S8_S8_S8_S8_S8_S8_S8_EEEEPS9_S9_NSD_9__find_if7functorIS9_EEEE10hipError_tPvRmT1_T2_T3_mT4_P12ihipStream_tbEUlT_E1_NS1_11comp_targetILNS1_3genE10ELNS1_11target_archE1201ELNS1_3gpuE5ELNS1_3repE0EEENS1_30default_config_static_selectorELNS0_4arch9wavefront6targetE1EEEvS14_, .Lfunc_end119-_ZN7rocprim17ROCPRIM_400000_NS6detail17trampoline_kernelINS0_14default_configENS1_22reduce_config_selectorIN6thrust23THRUST_200600_302600_NS5tupleIblNS6_9null_typeES8_S8_S8_S8_S8_S8_S8_EEEEZNS1_11reduce_implILb1ES3_NS6_12zip_iteratorINS7_INS6_11hip_rocprim26transform_input_iterator_tIbNSD_35transform_pair_of_input_iterators_tIbNS6_6detail15normal_iteratorINS6_10device_ptrIKxEEEESL_NS6_8equal_toIxEEEENSG_9not_fun_tINSD_8identityEEEEENSD_19counting_iterator_tIlEES8_S8_S8_S8_S8_S8_S8_S8_EEEEPS9_S9_NSD_9__find_if7functorIS9_EEEE10hipError_tPvRmT1_T2_T3_mT4_P12ihipStream_tbEUlT_E1_NS1_11comp_targetILNS1_3genE10ELNS1_11target_archE1201ELNS1_3gpuE5ELNS1_3repE0EEENS1_30default_config_static_selectorELNS0_4arch9wavefront6targetE1EEEvS14_
                                        ; -- End function
	.section	.AMDGPU.csdata,"",@progbits
; Kernel info:
; codeLenInByte = 0
; NumSgprs: 4
; NumVgprs: 0
; NumAgprs: 0
; TotalNumVgprs: 0
; ScratchSize: 0
; MemoryBound: 0
; FloatMode: 240
; IeeeMode: 1
; LDSByteSize: 0 bytes/workgroup (compile time only)
; SGPRBlocks: 0
; VGPRBlocks: 0
; NumSGPRsForWavesPerEU: 4
; NumVGPRsForWavesPerEU: 1
; AccumOffset: 4
; Occupancy: 8
; WaveLimiterHint : 0
; COMPUTE_PGM_RSRC2:SCRATCH_EN: 0
; COMPUTE_PGM_RSRC2:USER_SGPR: 6
; COMPUTE_PGM_RSRC2:TRAP_HANDLER: 0
; COMPUTE_PGM_RSRC2:TGID_X_EN: 1
; COMPUTE_PGM_RSRC2:TGID_Y_EN: 0
; COMPUTE_PGM_RSRC2:TGID_Z_EN: 0
; COMPUTE_PGM_RSRC2:TIDIG_COMP_CNT: 0
; COMPUTE_PGM_RSRC3_GFX90A:ACCUM_OFFSET: 0
; COMPUTE_PGM_RSRC3_GFX90A:TG_SPLIT: 0
	.section	.text._ZN7rocprim17ROCPRIM_400000_NS6detail17trampoline_kernelINS0_14default_configENS1_22reduce_config_selectorIN6thrust23THRUST_200600_302600_NS5tupleIblNS6_9null_typeES8_S8_S8_S8_S8_S8_S8_EEEEZNS1_11reduce_implILb1ES3_NS6_12zip_iteratorINS7_INS6_11hip_rocprim26transform_input_iterator_tIbNSD_35transform_pair_of_input_iterators_tIbNS6_6detail15normal_iteratorINS6_10device_ptrIKxEEEESL_NS6_8equal_toIxEEEENSG_9not_fun_tINSD_8identityEEEEENSD_19counting_iterator_tIlEES8_S8_S8_S8_S8_S8_S8_S8_EEEEPS9_S9_NSD_9__find_if7functorIS9_EEEE10hipError_tPvRmT1_T2_T3_mT4_P12ihipStream_tbEUlT_E1_NS1_11comp_targetILNS1_3genE10ELNS1_11target_archE1200ELNS1_3gpuE4ELNS1_3repE0EEENS1_30default_config_static_selectorELNS0_4arch9wavefront6targetE1EEEvS14_,"axG",@progbits,_ZN7rocprim17ROCPRIM_400000_NS6detail17trampoline_kernelINS0_14default_configENS1_22reduce_config_selectorIN6thrust23THRUST_200600_302600_NS5tupleIblNS6_9null_typeES8_S8_S8_S8_S8_S8_S8_EEEEZNS1_11reduce_implILb1ES3_NS6_12zip_iteratorINS7_INS6_11hip_rocprim26transform_input_iterator_tIbNSD_35transform_pair_of_input_iterators_tIbNS6_6detail15normal_iteratorINS6_10device_ptrIKxEEEESL_NS6_8equal_toIxEEEENSG_9not_fun_tINSD_8identityEEEEENSD_19counting_iterator_tIlEES8_S8_S8_S8_S8_S8_S8_S8_EEEEPS9_S9_NSD_9__find_if7functorIS9_EEEE10hipError_tPvRmT1_T2_T3_mT4_P12ihipStream_tbEUlT_E1_NS1_11comp_targetILNS1_3genE10ELNS1_11target_archE1200ELNS1_3gpuE4ELNS1_3repE0EEENS1_30default_config_static_selectorELNS0_4arch9wavefront6targetE1EEEvS14_,comdat
	.protected	_ZN7rocprim17ROCPRIM_400000_NS6detail17trampoline_kernelINS0_14default_configENS1_22reduce_config_selectorIN6thrust23THRUST_200600_302600_NS5tupleIblNS6_9null_typeES8_S8_S8_S8_S8_S8_S8_EEEEZNS1_11reduce_implILb1ES3_NS6_12zip_iteratorINS7_INS6_11hip_rocprim26transform_input_iterator_tIbNSD_35transform_pair_of_input_iterators_tIbNS6_6detail15normal_iteratorINS6_10device_ptrIKxEEEESL_NS6_8equal_toIxEEEENSG_9not_fun_tINSD_8identityEEEEENSD_19counting_iterator_tIlEES8_S8_S8_S8_S8_S8_S8_S8_EEEEPS9_S9_NSD_9__find_if7functorIS9_EEEE10hipError_tPvRmT1_T2_T3_mT4_P12ihipStream_tbEUlT_E1_NS1_11comp_targetILNS1_3genE10ELNS1_11target_archE1200ELNS1_3gpuE4ELNS1_3repE0EEENS1_30default_config_static_selectorELNS0_4arch9wavefront6targetE1EEEvS14_ ; -- Begin function _ZN7rocprim17ROCPRIM_400000_NS6detail17trampoline_kernelINS0_14default_configENS1_22reduce_config_selectorIN6thrust23THRUST_200600_302600_NS5tupleIblNS6_9null_typeES8_S8_S8_S8_S8_S8_S8_EEEEZNS1_11reduce_implILb1ES3_NS6_12zip_iteratorINS7_INS6_11hip_rocprim26transform_input_iterator_tIbNSD_35transform_pair_of_input_iterators_tIbNS6_6detail15normal_iteratorINS6_10device_ptrIKxEEEESL_NS6_8equal_toIxEEEENSG_9not_fun_tINSD_8identityEEEEENSD_19counting_iterator_tIlEES8_S8_S8_S8_S8_S8_S8_S8_EEEEPS9_S9_NSD_9__find_if7functorIS9_EEEE10hipError_tPvRmT1_T2_T3_mT4_P12ihipStream_tbEUlT_E1_NS1_11comp_targetILNS1_3genE10ELNS1_11target_archE1200ELNS1_3gpuE4ELNS1_3repE0EEENS1_30default_config_static_selectorELNS0_4arch9wavefront6targetE1EEEvS14_
	.globl	_ZN7rocprim17ROCPRIM_400000_NS6detail17trampoline_kernelINS0_14default_configENS1_22reduce_config_selectorIN6thrust23THRUST_200600_302600_NS5tupleIblNS6_9null_typeES8_S8_S8_S8_S8_S8_S8_EEEEZNS1_11reduce_implILb1ES3_NS6_12zip_iteratorINS7_INS6_11hip_rocprim26transform_input_iterator_tIbNSD_35transform_pair_of_input_iterators_tIbNS6_6detail15normal_iteratorINS6_10device_ptrIKxEEEESL_NS6_8equal_toIxEEEENSG_9not_fun_tINSD_8identityEEEEENSD_19counting_iterator_tIlEES8_S8_S8_S8_S8_S8_S8_S8_EEEEPS9_S9_NSD_9__find_if7functorIS9_EEEE10hipError_tPvRmT1_T2_T3_mT4_P12ihipStream_tbEUlT_E1_NS1_11comp_targetILNS1_3genE10ELNS1_11target_archE1200ELNS1_3gpuE4ELNS1_3repE0EEENS1_30default_config_static_selectorELNS0_4arch9wavefront6targetE1EEEvS14_
	.p2align	8
	.type	_ZN7rocprim17ROCPRIM_400000_NS6detail17trampoline_kernelINS0_14default_configENS1_22reduce_config_selectorIN6thrust23THRUST_200600_302600_NS5tupleIblNS6_9null_typeES8_S8_S8_S8_S8_S8_S8_EEEEZNS1_11reduce_implILb1ES3_NS6_12zip_iteratorINS7_INS6_11hip_rocprim26transform_input_iterator_tIbNSD_35transform_pair_of_input_iterators_tIbNS6_6detail15normal_iteratorINS6_10device_ptrIKxEEEESL_NS6_8equal_toIxEEEENSG_9not_fun_tINSD_8identityEEEEENSD_19counting_iterator_tIlEES8_S8_S8_S8_S8_S8_S8_S8_EEEEPS9_S9_NSD_9__find_if7functorIS9_EEEE10hipError_tPvRmT1_T2_T3_mT4_P12ihipStream_tbEUlT_E1_NS1_11comp_targetILNS1_3genE10ELNS1_11target_archE1200ELNS1_3gpuE4ELNS1_3repE0EEENS1_30default_config_static_selectorELNS0_4arch9wavefront6targetE1EEEvS14_,@function
_ZN7rocprim17ROCPRIM_400000_NS6detail17trampoline_kernelINS0_14default_configENS1_22reduce_config_selectorIN6thrust23THRUST_200600_302600_NS5tupleIblNS6_9null_typeES8_S8_S8_S8_S8_S8_S8_EEEEZNS1_11reduce_implILb1ES3_NS6_12zip_iteratorINS7_INS6_11hip_rocprim26transform_input_iterator_tIbNSD_35transform_pair_of_input_iterators_tIbNS6_6detail15normal_iteratorINS6_10device_ptrIKxEEEESL_NS6_8equal_toIxEEEENSG_9not_fun_tINSD_8identityEEEEENSD_19counting_iterator_tIlEES8_S8_S8_S8_S8_S8_S8_S8_EEEEPS9_S9_NSD_9__find_if7functorIS9_EEEE10hipError_tPvRmT1_T2_T3_mT4_P12ihipStream_tbEUlT_E1_NS1_11comp_targetILNS1_3genE10ELNS1_11target_archE1200ELNS1_3gpuE4ELNS1_3repE0EEENS1_30default_config_static_selectorELNS0_4arch9wavefront6targetE1EEEvS14_: ; @_ZN7rocprim17ROCPRIM_400000_NS6detail17trampoline_kernelINS0_14default_configENS1_22reduce_config_selectorIN6thrust23THRUST_200600_302600_NS5tupleIblNS6_9null_typeES8_S8_S8_S8_S8_S8_S8_EEEEZNS1_11reduce_implILb1ES3_NS6_12zip_iteratorINS7_INS6_11hip_rocprim26transform_input_iterator_tIbNSD_35transform_pair_of_input_iterators_tIbNS6_6detail15normal_iteratorINS6_10device_ptrIKxEEEESL_NS6_8equal_toIxEEEENSG_9not_fun_tINSD_8identityEEEEENSD_19counting_iterator_tIlEES8_S8_S8_S8_S8_S8_S8_S8_EEEEPS9_S9_NSD_9__find_if7functorIS9_EEEE10hipError_tPvRmT1_T2_T3_mT4_P12ihipStream_tbEUlT_E1_NS1_11comp_targetILNS1_3genE10ELNS1_11target_archE1200ELNS1_3gpuE4ELNS1_3repE0EEENS1_30default_config_static_selectorELNS0_4arch9wavefront6targetE1EEEvS14_
; %bb.0:
	.section	.rodata,"a",@progbits
	.p2align	6, 0x0
	.amdhsa_kernel _ZN7rocprim17ROCPRIM_400000_NS6detail17trampoline_kernelINS0_14default_configENS1_22reduce_config_selectorIN6thrust23THRUST_200600_302600_NS5tupleIblNS6_9null_typeES8_S8_S8_S8_S8_S8_S8_EEEEZNS1_11reduce_implILb1ES3_NS6_12zip_iteratorINS7_INS6_11hip_rocprim26transform_input_iterator_tIbNSD_35transform_pair_of_input_iterators_tIbNS6_6detail15normal_iteratorINS6_10device_ptrIKxEEEESL_NS6_8equal_toIxEEEENSG_9not_fun_tINSD_8identityEEEEENSD_19counting_iterator_tIlEES8_S8_S8_S8_S8_S8_S8_S8_EEEEPS9_S9_NSD_9__find_if7functorIS9_EEEE10hipError_tPvRmT1_T2_T3_mT4_P12ihipStream_tbEUlT_E1_NS1_11comp_targetILNS1_3genE10ELNS1_11target_archE1200ELNS1_3gpuE4ELNS1_3repE0EEENS1_30default_config_static_selectorELNS0_4arch9wavefront6targetE1EEEvS14_
		.amdhsa_group_segment_fixed_size 0
		.amdhsa_private_segment_fixed_size 0
		.amdhsa_kernarg_size 88
		.amdhsa_user_sgpr_count 6
		.amdhsa_user_sgpr_private_segment_buffer 1
		.amdhsa_user_sgpr_dispatch_ptr 0
		.amdhsa_user_sgpr_queue_ptr 0
		.amdhsa_user_sgpr_kernarg_segment_ptr 1
		.amdhsa_user_sgpr_dispatch_id 0
		.amdhsa_user_sgpr_flat_scratch_init 0
		.amdhsa_user_sgpr_kernarg_preload_length 0
		.amdhsa_user_sgpr_kernarg_preload_offset 0
		.amdhsa_user_sgpr_private_segment_size 0
		.amdhsa_uses_dynamic_stack 0
		.amdhsa_system_sgpr_private_segment_wavefront_offset 0
		.amdhsa_system_sgpr_workgroup_id_x 1
		.amdhsa_system_sgpr_workgroup_id_y 0
		.amdhsa_system_sgpr_workgroup_id_z 0
		.amdhsa_system_sgpr_workgroup_info 0
		.amdhsa_system_vgpr_workitem_id 0
		.amdhsa_next_free_vgpr 1
		.amdhsa_next_free_sgpr 0
		.amdhsa_accum_offset 4
		.amdhsa_reserve_vcc 0
		.amdhsa_reserve_flat_scratch 0
		.amdhsa_float_round_mode_32 0
		.amdhsa_float_round_mode_16_64 0
		.amdhsa_float_denorm_mode_32 3
		.amdhsa_float_denorm_mode_16_64 3
		.amdhsa_dx10_clamp 1
		.amdhsa_ieee_mode 1
		.amdhsa_fp16_overflow 0
		.amdhsa_tg_split 0
		.amdhsa_exception_fp_ieee_invalid_op 0
		.amdhsa_exception_fp_denorm_src 0
		.amdhsa_exception_fp_ieee_div_zero 0
		.amdhsa_exception_fp_ieee_overflow 0
		.amdhsa_exception_fp_ieee_underflow 0
		.amdhsa_exception_fp_ieee_inexact 0
		.amdhsa_exception_int_div_zero 0
	.end_amdhsa_kernel
	.section	.text._ZN7rocprim17ROCPRIM_400000_NS6detail17trampoline_kernelINS0_14default_configENS1_22reduce_config_selectorIN6thrust23THRUST_200600_302600_NS5tupleIblNS6_9null_typeES8_S8_S8_S8_S8_S8_S8_EEEEZNS1_11reduce_implILb1ES3_NS6_12zip_iteratorINS7_INS6_11hip_rocprim26transform_input_iterator_tIbNSD_35transform_pair_of_input_iterators_tIbNS6_6detail15normal_iteratorINS6_10device_ptrIKxEEEESL_NS6_8equal_toIxEEEENSG_9not_fun_tINSD_8identityEEEEENSD_19counting_iterator_tIlEES8_S8_S8_S8_S8_S8_S8_S8_EEEEPS9_S9_NSD_9__find_if7functorIS9_EEEE10hipError_tPvRmT1_T2_T3_mT4_P12ihipStream_tbEUlT_E1_NS1_11comp_targetILNS1_3genE10ELNS1_11target_archE1200ELNS1_3gpuE4ELNS1_3repE0EEENS1_30default_config_static_selectorELNS0_4arch9wavefront6targetE1EEEvS14_,"axG",@progbits,_ZN7rocprim17ROCPRIM_400000_NS6detail17trampoline_kernelINS0_14default_configENS1_22reduce_config_selectorIN6thrust23THRUST_200600_302600_NS5tupleIblNS6_9null_typeES8_S8_S8_S8_S8_S8_S8_EEEEZNS1_11reduce_implILb1ES3_NS6_12zip_iteratorINS7_INS6_11hip_rocprim26transform_input_iterator_tIbNSD_35transform_pair_of_input_iterators_tIbNS6_6detail15normal_iteratorINS6_10device_ptrIKxEEEESL_NS6_8equal_toIxEEEENSG_9not_fun_tINSD_8identityEEEEENSD_19counting_iterator_tIlEES8_S8_S8_S8_S8_S8_S8_S8_EEEEPS9_S9_NSD_9__find_if7functorIS9_EEEE10hipError_tPvRmT1_T2_T3_mT4_P12ihipStream_tbEUlT_E1_NS1_11comp_targetILNS1_3genE10ELNS1_11target_archE1200ELNS1_3gpuE4ELNS1_3repE0EEENS1_30default_config_static_selectorELNS0_4arch9wavefront6targetE1EEEvS14_,comdat
.Lfunc_end120:
	.size	_ZN7rocprim17ROCPRIM_400000_NS6detail17trampoline_kernelINS0_14default_configENS1_22reduce_config_selectorIN6thrust23THRUST_200600_302600_NS5tupleIblNS6_9null_typeES8_S8_S8_S8_S8_S8_S8_EEEEZNS1_11reduce_implILb1ES3_NS6_12zip_iteratorINS7_INS6_11hip_rocprim26transform_input_iterator_tIbNSD_35transform_pair_of_input_iterators_tIbNS6_6detail15normal_iteratorINS6_10device_ptrIKxEEEESL_NS6_8equal_toIxEEEENSG_9not_fun_tINSD_8identityEEEEENSD_19counting_iterator_tIlEES8_S8_S8_S8_S8_S8_S8_S8_EEEEPS9_S9_NSD_9__find_if7functorIS9_EEEE10hipError_tPvRmT1_T2_T3_mT4_P12ihipStream_tbEUlT_E1_NS1_11comp_targetILNS1_3genE10ELNS1_11target_archE1200ELNS1_3gpuE4ELNS1_3repE0EEENS1_30default_config_static_selectorELNS0_4arch9wavefront6targetE1EEEvS14_, .Lfunc_end120-_ZN7rocprim17ROCPRIM_400000_NS6detail17trampoline_kernelINS0_14default_configENS1_22reduce_config_selectorIN6thrust23THRUST_200600_302600_NS5tupleIblNS6_9null_typeES8_S8_S8_S8_S8_S8_S8_EEEEZNS1_11reduce_implILb1ES3_NS6_12zip_iteratorINS7_INS6_11hip_rocprim26transform_input_iterator_tIbNSD_35transform_pair_of_input_iterators_tIbNS6_6detail15normal_iteratorINS6_10device_ptrIKxEEEESL_NS6_8equal_toIxEEEENSG_9not_fun_tINSD_8identityEEEEENSD_19counting_iterator_tIlEES8_S8_S8_S8_S8_S8_S8_S8_EEEEPS9_S9_NSD_9__find_if7functorIS9_EEEE10hipError_tPvRmT1_T2_T3_mT4_P12ihipStream_tbEUlT_E1_NS1_11comp_targetILNS1_3genE10ELNS1_11target_archE1200ELNS1_3gpuE4ELNS1_3repE0EEENS1_30default_config_static_selectorELNS0_4arch9wavefront6targetE1EEEvS14_
                                        ; -- End function
	.section	.AMDGPU.csdata,"",@progbits
; Kernel info:
; codeLenInByte = 0
; NumSgprs: 4
; NumVgprs: 0
; NumAgprs: 0
; TotalNumVgprs: 0
; ScratchSize: 0
; MemoryBound: 0
; FloatMode: 240
; IeeeMode: 1
; LDSByteSize: 0 bytes/workgroup (compile time only)
; SGPRBlocks: 0
; VGPRBlocks: 0
; NumSGPRsForWavesPerEU: 4
; NumVGPRsForWavesPerEU: 1
; AccumOffset: 4
; Occupancy: 8
; WaveLimiterHint : 0
; COMPUTE_PGM_RSRC2:SCRATCH_EN: 0
; COMPUTE_PGM_RSRC2:USER_SGPR: 6
; COMPUTE_PGM_RSRC2:TRAP_HANDLER: 0
; COMPUTE_PGM_RSRC2:TGID_X_EN: 1
; COMPUTE_PGM_RSRC2:TGID_Y_EN: 0
; COMPUTE_PGM_RSRC2:TGID_Z_EN: 0
; COMPUTE_PGM_RSRC2:TIDIG_COMP_CNT: 0
; COMPUTE_PGM_RSRC3_GFX90A:ACCUM_OFFSET: 0
; COMPUTE_PGM_RSRC3_GFX90A:TG_SPLIT: 0
	.section	.text._ZN7rocprim17ROCPRIM_400000_NS6detail17trampoline_kernelINS0_14default_configENS1_22reduce_config_selectorIN6thrust23THRUST_200600_302600_NS5tupleIblNS6_9null_typeES8_S8_S8_S8_S8_S8_S8_EEEEZNS1_11reduce_implILb1ES3_NS6_12zip_iteratorINS7_INS6_11hip_rocprim26transform_input_iterator_tIbNSD_35transform_pair_of_input_iterators_tIbNS6_6detail15normal_iteratorINS6_10device_ptrIKxEEEESL_NS6_8equal_toIxEEEENSG_9not_fun_tINSD_8identityEEEEENSD_19counting_iterator_tIlEES8_S8_S8_S8_S8_S8_S8_S8_EEEEPS9_S9_NSD_9__find_if7functorIS9_EEEE10hipError_tPvRmT1_T2_T3_mT4_P12ihipStream_tbEUlT_E1_NS1_11comp_targetILNS1_3genE9ELNS1_11target_archE1100ELNS1_3gpuE3ELNS1_3repE0EEENS1_30default_config_static_selectorELNS0_4arch9wavefront6targetE1EEEvS14_,"axG",@progbits,_ZN7rocprim17ROCPRIM_400000_NS6detail17trampoline_kernelINS0_14default_configENS1_22reduce_config_selectorIN6thrust23THRUST_200600_302600_NS5tupleIblNS6_9null_typeES8_S8_S8_S8_S8_S8_S8_EEEEZNS1_11reduce_implILb1ES3_NS6_12zip_iteratorINS7_INS6_11hip_rocprim26transform_input_iterator_tIbNSD_35transform_pair_of_input_iterators_tIbNS6_6detail15normal_iteratorINS6_10device_ptrIKxEEEESL_NS6_8equal_toIxEEEENSG_9not_fun_tINSD_8identityEEEEENSD_19counting_iterator_tIlEES8_S8_S8_S8_S8_S8_S8_S8_EEEEPS9_S9_NSD_9__find_if7functorIS9_EEEE10hipError_tPvRmT1_T2_T3_mT4_P12ihipStream_tbEUlT_E1_NS1_11comp_targetILNS1_3genE9ELNS1_11target_archE1100ELNS1_3gpuE3ELNS1_3repE0EEENS1_30default_config_static_selectorELNS0_4arch9wavefront6targetE1EEEvS14_,comdat
	.protected	_ZN7rocprim17ROCPRIM_400000_NS6detail17trampoline_kernelINS0_14default_configENS1_22reduce_config_selectorIN6thrust23THRUST_200600_302600_NS5tupleIblNS6_9null_typeES8_S8_S8_S8_S8_S8_S8_EEEEZNS1_11reduce_implILb1ES3_NS6_12zip_iteratorINS7_INS6_11hip_rocprim26transform_input_iterator_tIbNSD_35transform_pair_of_input_iterators_tIbNS6_6detail15normal_iteratorINS6_10device_ptrIKxEEEESL_NS6_8equal_toIxEEEENSG_9not_fun_tINSD_8identityEEEEENSD_19counting_iterator_tIlEES8_S8_S8_S8_S8_S8_S8_S8_EEEEPS9_S9_NSD_9__find_if7functorIS9_EEEE10hipError_tPvRmT1_T2_T3_mT4_P12ihipStream_tbEUlT_E1_NS1_11comp_targetILNS1_3genE9ELNS1_11target_archE1100ELNS1_3gpuE3ELNS1_3repE0EEENS1_30default_config_static_selectorELNS0_4arch9wavefront6targetE1EEEvS14_ ; -- Begin function _ZN7rocprim17ROCPRIM_400000_NS6detail17trampoline_kernelINS0_14default_configENS1_22reduce_config_selectorIN6thrust23THRUST_200600_302600_NS5tupleIblNS6_9null_typeES8_S8_S8_S8_S8_S8_S8_EEEEZNS1_11reduce_implILb1ES3_NS6_12zip_iteratorINS7_INS6_11hip_rocprim26transform_input_iterator_tIbNSD_35transform_pair_of_input_iterators_tIbNS6_6detail15normal_iteratorINS6_10device_ptrIKxEEEESL_NS6_8equal_toIxEEEENSG_9not_fun_tINSD_8identityEEEEENSD_19counting_iterator_tIlEES8_S8_S8_S8_S8_S8_S8_S8_EEEEPS9_S9_NSD_9__find_if7functorIS9_EEEE10hipError_tPvRmT1_T2_T3_mT4_P12ihipStream_tbEUlT_E1_NS1_11comp_targetILNS1_3genE9ELNS1_11target_archE1100ELNS1_3gpuE3ELNS1_3repE0EEENS1_30default_config_static_selectorELNS0_4arch9wavefront6targetE1EEEvS14_
	.globl	_ZN7rocprim17ROCPRIM_400000_NS6detail17trampoline_kernelINS0_14default_configENS1_22reduce_config_selectorIN6thrust23THRUST_200600_302600_NS5tupleIblNS6_9null_typeES8_S8_S8_S8_S8_S8_S8_EEEEZNS1_11reduce_implILb1ES3_NS6_12zip_iteratorINS7_INS6_11hip_rocprim26transform_input_iterator_tIbNSD_35transform_pair_of_input_iterators_tIbNS6_6detail15normal_iteratorINS6_10device_ptrIKxEEEESL_NS6_8equal_toIxEEEENSG_9not_fun_tINSD_8identityEEEEENSD_19counting_iterator_tIlEES8_S8_S8_S8_S8_S8_S8_S8_EEEEPS9_S9_NSD_9__find_if7functorIS9_EEEE10hipError_tPvRmT1_T2_T3_mT4_P12ihipStream_tbEUlT_E1_NS1_11comp_targetILNS1_3genE9ELNS1_11target_archE1100ELNS1_3gpuE3ELNS1_3repE0EEENS1_30default_config_static_selectorELNS0_4arch9wavefront6targetE1EEEvS14_
	.p2align	8
	.type	_ZN7rocprim17ROCPRIM_400000_NS6detail17trampoline_kernelINS0_14default_configENS1_22reduce_config_selectorIN6thrust23THRUST_200600_302600_NS5tupleIblNS6_9null_typeES8_S8_S8_S8_S8_S8_S8_EEEEZNS1_11reduce_implILb1ES3_NS6_12zip_iteratorINS7_INS6_11hip_rocprim26transform_input_iterator_tIbNSD_35transform_pair_of_input_iterators_tIbNS6_6detail15normal_iteratorINS6_10device_ptrIKxEEEESL_NS6_8equal_toIxEEEENSG_9not_fun_tINSD_8identityEEEEENSD_19counting_iterator_tIlEES8_S8_S8_S8_S8_S8_S8_S8_EEEEPS9_S9_NSD_9__find_if7functorIS9_EEEE10hipError_tPvRmT1_T2_T3_mT4_P12ihipStream_tbEUlT_E1_NS1_11comp_targetILNS1_3genE9ELNS1_11target_archE1100ELNS1_3gpuE3ELNS1_3repE0EEENS1_30default_config_static_selectorELNS0_4arch9wavefront6targetE1EEEvS14_,@function
_ZN7rocprim17ROCPRIM_400000_NS6detail17trampoline_kernelINS0_14default_configENS1_22reduce_config_selectorIN6thrust23THRUST_200600_302600_NS5tupleIblNS6_9null_typeES8_S8_S8_S8_S8_S8_S8_EEEEZNS1_11reduce_implILb1ES3_NS6_12zip_iteratorINS7_INS6_11hip_rocprim26transform_input_iterator_tIbNSD_35transform_pair_of_input_iterators_tIbNS6_6detail15normal_iteratorINS6_10device_ptrIKxEEEESL_NS6_8equal_toIxEEEENSG_9not_fun_tINSD_8identityEEEEENSD_19counting_iterator_tIlEES8_S8_S8_S8_S8_S8_S8_S8_EEEEPS9_S9_NSD_9__find_if7functorIS9_EEEE10hipError_tPvRmT1_T2_T3_mT4_P12ihipStream_tbEUlT_E1_NS1_11comp_targetILNS1_3genE9ELNS1_11target_archE1100ELNS1_3gpuE3ELNS1_3repE0EEENS1_30default_config_static_selectorELNS0_4arch9wavefront6targetE1EEEvS14_: ; @_ZN7rocprim17ROCPRIM_400000_NS6detail17trampoline_kernelINS0_14default_configENS1_22reduce_config_selectorIN6thrust23THRUST_200600_302600_NS5tupleIblNS6_9null_typeES8_S8_S8_S8_S8_S8_S8_EEEEZNS1_11reduce_implILb1ES3_NS6_12zip_iteratorINS7_INS6_11hip_rocprim26transform_input_iterator_tIbNSD_35transform_pair_of_input_iterators_tIbNS6_6detail15normal_iteratorINS6_10device_ptrIKxEEEESL_NS6_8equal_toIxEEEENSG_9not_fun_tINSD_8identityEEEEENSD_19counting_iterator_tIlEES8_S8_S8_S8_S8_S8_S8_S8_EEEEPS9_S9_NSD_9__find_if7functorIS9_EEEE10hipError_tPvRmT1_T2_T3_mT4_P12ihipStream_tbEUlT_E1_NS1_11comp_targetILNS1_3genE9ELNS1_11target_archE1100ELNS1_3gpuE3ELNS1_3repE0EEENS1_30default_config_static_selectorELNS0_4arch9wavefront6targetE1EEEvS14_
; %bb.0:
	.section	.rodata,"a",@progbits
	.p2align	6, 0x0
	.amdhsa_kernel _ZN7rocprim17ROCPRIM_400000_NS6detail17trampoline_kernelINS0_14default_configENS1_22reduce_config_selectorIN6thrust23THRUST_200600_302600_NS5tupleIblNS6_9null_typeES8_S8_S8_S8_S8_S8_S8_EEEEZNS1_11reduce_implILb1ES3_NS6_12zip_iteratorINS7_INS6_11hip_rocprim26transform_input_iterator_tIbNSD_35transform_pair_of_input_iterators_tIbNS6_6detail15normal_iteratorINS6_10device_ptrIKxEEEESL_NS6_8equal_toIxEEEENSG_9not_fun_tINSD_8identityEEEEENSD_19counting_iterator_tIlEES8_S8_S8_S8_S8_S8_S8_S8_EEEEPS9_S9_NSD_9__find_if7functorIS9_EEEE10hipError_tPvRmT1_T2_T3_mT4_P12ihipStream_tbEUlT_E1_NS1_11comp_targetILNS1_3genE9ELNS1_11target_archE1100ELNS1_3gpuE3ELNS1_3repE0EEENS1_30default_config_static_selectorELNS0_4arch9wavefront6targetE1EEEvS14_
		.amdhsa_group_segment_fixed_size 0
		.amdhsa_private_segment_fixed_size 0
		.amdhsa_kernarg_size 88
		.amdhsa_user_sgpr_count 6
		.amdhsa_user_sgpr_private_segment_buffer 1
		.amdhsa_user_sgpr_dispatch_ptr 0
		.amdhsa_user_sgpr_queue_ptr 0
		.amdhsa_user_sgpr_kernarg_segment_ptr 1
		.amdhsa_user_sgpr_dispatch_id 0
		.amdhsa_user_sgpr_flat_scratch_init 0
		.amdhsa_user_sgpr_kernarg_preload_length 0
		.amdhsa_user_sgpr_kernarg_preload_offset 0
		.amdhsa_user_sgpr_private_segment_size 0
		.amdhsa_uses_dynamic_stack 0
		.amdhsa_system_sgpr_private_segment_wavefront_offset 0
		.amdhsa_system_sgpr_workgroup_id_x 1
		.amdhsa_system_sgpr_workgroup_id_y 0
		.amdhsa_system_sgpr_workgroup_id_z 0
		.amdhsa_system_sgpr_workgroup_info 0
		.amdhsa_system_vgpr_workitem_id 0
		.amdhsa_next_free_vgpr 1
		.amdhsa_next_free_sgpr 0
		.amdhsa_accum_offset 4
		.amdhsa_reserve_vcc 0
		.amdhsa_reserve_flat_scratch 0
		.amdhsa_float_round_mode_32 0
		.amdhsa_float_round_mode_16_64 0
		.amdhsa_float_denorm_mode_32 3
		.amdhsa_float_denorm_mode_16_64 3
		.amdhsa_dx10_clamp 1
		.amdhsa_ieee_mode 1
		.amdhsa_fp16_overflow 0
		.amdhsa_tg_split 0
		.amdhsa_exception_fp_ieee_invalid_op 0
		.amdhsa_exception_fp_denorm_src 0
		.amdhsa_exception_fp_ieee_div_zero 0
		.amdhsa_exception_fp_ieee_overflow 0
		.amdhsa_exception_fp_ieee_underflow 0
		.amdhsa_exception_fp_ieee_inexact 0
		.amdhsa_exception_int_div_zero 0
	.end_amdhsa_kernel
	.section	.text._ZN7rocprim17ROCPRIM_400000_NS6detail17trampoline_kernelINS0_14default_configENS1_22reduce_config_selectorIN6thrust23THRUST_200600_302600_NS5tupleIblNS6_9null_typeES8_S8_S8_S8_S8_S8_S8_EEEEZNS1_11reduce_implILb1ES3_NS6_12zip_iteratorINS7_INS6_11hip_rocprim26transform_input_iterator_tIbNSD_35transform_pair_of_input_iterators_tIbNS6_6detail15normal_iteratorINS6_10device_ptrIKxEEEESL_NS6_8equal_toIxEEEENSG_9not_fun_tINSD_8identityEEEEENSD_19counting_iterator_tIlEES8_S8_S8_S8_S8_S8_S8_S8_EEEEPS9_S9_NSD_9__find_if7functorIS9_EEEE10hipError_tPvRmT1_T2_T3_mT4_P12ihipStream_tbEUlT_E1_NS1_11comp_targetILNS1_3genE9ELNS1_11target_archE1100ELNS1_3gpuE3ELNS1_3repE0EEENS1_30default_config_static_selectorELNS0_4arch9wavefront6targetE1EEEvS14_,"axG",@progbits,_ZN7rocprim17ROCPRIM_400000_NS6detail17trampoline_kernelINS0_14default_configENS1_22reduce_config_selectorIN6thrust23THRUST_200600_302600_NS5tupleIblNS6_9null_typeES8_S8_S8_S8_S8_S8_S8_EEEEZNS1_11reduce_implILb1ES3_NS6_12zip_iteratorINS7_INS6_11hip_rocprim26transform_input_iterator_tIbNSD_35transform_pair_of_input_iterators_tIbNS6_6detail15normal_iteratorINS6_10device_ptrIKxEEEESL_NS6_8equal_toIxEEEENSG_9not_fun_tINSD_8identityEEEEENSD_19counting_iterator_tIlEES8_S8_S8_S8_S8_S8_S8_S8_EEEEPS9_S9_NSD_9__find_if7functorIS9_EEEE10hipError_tPvRmT1_T2_T3_mT4_P12ihipStream_tbEUlT_E1_NS1_11comp_targetILNS1_3genE9ELNS1_11target_archE1100ELNS1_3gpuE3ELNS1_3repE0EEENS1_30default_config_static_selectorELNS0_4arch9wavefront6targetE1EEEvS14_,comdat
.Lfunc_end121:
	.size	_ZN7rocprim17ROCPRIM_400000_NS6detail17trampoline_kernelINS0_14default_configENS1_22reduce_config_selectorIN6thrust23THRUST_200600_302600_NS5tupleIblNS6_9null_typeES8_S8_S8_S8_S8_S8_S8_EEEEZNS1_11reduce_implILb1ES3_NS6_12zip_iteratorINS7_INS6_11hip_rocprim26transform_input_iterator_tIbNSD_35transform_pair_of_input_iterators_tIbNS6_6detail15normal_iteratorINS6_10device_ptrIKxEEEESL_NS6_8equal_toIxEEEENSG_9not_fun_tINSD_8identityEEEEENSD_19counting_iterator_tIlEES8_S8_S8_S8_S8_S8_S8_S8_EEEEPS9_S9_NSD_9__find_if7functorIS9_EEEE10hipError_tPvRmT1_T2_T3_mT4_P12ihipStream_tbEUlT_E1_NS1_11comp_targetILNS1_3genE9ELNS1_11target_archE1100ELNS1_3gpuE3ELNS1_3repE0EEENS1_30default_config_static_selectorELNS0_4arch9wavefront6targetE1EEEvS14_, .Lfunc_end121-_ZN7rocprim17ROCPRIM_400000_NS6detail17trampoline_kernelINS0_14default_configENS1_22reduce_config_selectorIN6thrust23THRUST_200600_302600_NS5tupleIblNS6_9null_typeES8_S8_S8_S8_S8_S8_S8_EEEEZNS1_11reduce_implILb1ES3_NS6_12zip_iteratorINS7_INS6_11hip_rocprim26transform_input_iterator_tIbNSD_35transform_pair_of_input_iterators_tIbNS6_6detail15normal_iteratorINS6_10device_ptrIKxEEEESL_NS6_8equal_toIxEEEENSG_9not_fun_tINSD_8identityEEEEENSD_19counting_iterator_tIlEES8_S8_S8_S8_S8_S8_S8_S8_EEEEPS9_S9_NSD_9__find_if7functorIS9_EEEE10hipError_tPvRmT1_T2_T3_mT4_P12ihipStream_tbEUlT_E1_NS1_11comp_targetILNS1_3genE9ELNS1_11target_archE1100ELNS1_3gpuE3ELNS1_3repE0EEENS1_30default_config_static_selectorELNS0_4arch9wavefront6targetE1EEEvS14_
                                        ; -- End function
	.section	.AMDGPU.csdata,"",@progbits
; Kernel info:
; codeLenInByte = 0
; NumSgprs: 4
; NumVgprs: 0
; NumAgprs: 0
; TotalNumVgprs: 0
; ScratchSize: 0
; MemoryBound: 0
; FloatMode: 240
; IeeeMode: 1
; LDSByteSize: 0 bytes/workgroup (compile time only)
; SGPRBlocks: 0
; VGPRBlocks: 0
; NumSGPRsForWavesPerEU: 4
; NumVGPRsForWavesPerEU: 1
; AccumOffset: 4
; Occupancy: 8
; WaveLimiterHint : 0
; COMPUTE_PGM_RSRC2:SCRATCH_EN: 0
; COMPUTE_PGM_RSRC2:USER_SGPR: 6
; COMPUTE_PGM_RSRC2:TRAP_HANDLER: 0
; COMPUTE_PGM_RSRC2:TGID_X_EN: 1
; COMPUTE_PGM_RSRC2:TGID_Y_EN: 0
; COMPUTE_PGM_RSRC2:TGID_Z_EN: 0
; COMPUTE_PGM_RSRC2:TIDIG_COMP_CNT: 0
; COMPUTE_PGM_RSRC3_GFX90A:ACCUM_OFFSET: 0
; COMPUTE_PGM_RSRC3_GFX90A:TG_SPLIT: 0
	.section	.text._ZN7rocprim17ROCPRIM_400000_NS6detail17trampoline_kernelINS0_14default_configENS1_22reduce_config_selectorIN6thrust23THRUST_200600_302600_NS5tupleIblNS6_9null_typeES8_S8_S8_S8_S8_S8_S8_EEEEZNS1_11reduce_implILb1ES3_NS6_12zip_iteratorINS7_INS6_11hip_rocprim26transform_input_iterator_tIbNSD_35transform_pair_of_input_iterators_tIbNS6_6detail15normal_iteratorINS6_10device_ptrIKxEEEESL_NS6_8equal_toIxEEEENSG_9not_fun_tINSD_8identityEEEEENSD_19counting_iterator_tIlEES8_S8_S8_S8_S8_S8_S8_S8_EEEEPS9_S9_NSD_9__find_if7functorIS9_EEEE10hipError_tPvRmT1_T2_T3_mT4_P12ihipStream_tbEUlT_E1_NS1_11comp_targetILNS1_3genE8ELNS1_11target_archE1030ELNS1_3gpuE2ELNS1_3repE0EEENS1_30default_config_static_selectorELNS0_4arch9wavefront6targetE1EEEvS14_,"axG",@progbits,_ZN7rocprim17ROCPRIM_400000_NS6detail17trampoline_kernelINS0_14default_configENS1_22reduce_config_selectorIN6thrust23THRUST_200600_302600_NS5tupleIblNS6_9null_typeES8_S8_S8_S8_S8_S8_S8_EEEEZNS1_11reduce_implILb1ES3_NS6_12zip_iteratorINS7_INS6_11hip_rocprim26transform_input_iterator_tIbNSD_35transform_pair_of_input_iterators_tIbNS6_6detail15normal_iteratorINS6_10device_ptrIKxEEEESL_NS6_8equal_toIxEEEENSG_9not_fun_tINSD_8identityEEEEENSD_19counting_iterator_tIlEES8_S8_S8_S8_S8_S8_S8_S8_EEEEPS9_S9_NSD_9__find_if7functorIS9_EEEE10hipError_tPvRmT1_T2_T3_mT4_P12ihipStream_tbEUlT_E1_NS1_11comp_targetILNS1_3genE8ELNS1_11target_archE1030ELNS1_3gpuE2ELNS1_3repE0EEENS1_30default_config_static_selectorELNS0_4arch9wavefront6targetE1EEEvS14_,comdat
	.protected	_ZN7rocprim17ROCPRIM_400000_NS6detail17trampoline_kernelINS0_14default_configENS1_22reduce_config_selectorIN6thrust23THRUST_200600_302600_NS5tupleIblNS6_9null_typeES8_S8_S8_S8_S8_S8_S8_EEEEZNS1_11reduce_implILb1ES3_NS6_12zip_iteratorINS7_INS6_11hip_rocprim26transform_input_iterator_tIbNSD_35transform_pair_of_input_iterators_tIbNS6_6detail15normal_iteratorINS6_10device_ptrIKxEEEESL_NS6_8equal_toIxEEEENSG_9not_fun_tINSD_8identityEEEEENSD_19counting_iterator_tIlEES8_S8_S8_S8_S8_S8_S8_S8_EEEEPS9_S9_NSD_9__find_if7functorIS9_EEEE10hipError_tPvRmT1_T2_T3_mT4_P12ihipStream_tbEUlT_E1_NS1_11comp_targetILNS1_3genE8ELNS1_11target_archE1030ELNS1_3gpuE2ELNS1_3repE0EEENS1_30default_config_static_selectorELNS0_4arch9wavefront6targetE1EEEvS14_ ; -- Begin function _ZN7rocprim17ROCPRIM_400000_NS6detail17trampoline_kernelINS0_14default_configENS1_22reduce_config_selectorIN6thrust23THRUST_200600_302600_NS5tupleIblNS6_9null_typeES8_S8_S8_S8_S8_S8_S8_EEEEZNS1_11reduce_implILb1ES3_NS6_12zip_iteratorINS7_INS6_11hip_rocprim26transform_input_iterator_tIbNSD_35transform_pair_of_input_iterators_tIbNS6_6detail15normal_iteratorINS6_10device_ptrIKxEEEESL_NS6_8equal_toIxEEEENSG_9not_fun_tINSD_8identityEEEEENSD_19counting_iterator_tIlEES8_S8_S8_S8_S8_S8_S8_S8_EEEEPS9_S9_NSD_9__find_if7functorIS9_EEEE10hipError_tPvRmT1_T2_T3_mT4_P12ihipStream_tbEUlT_E1_NS1_11comp_targetILNS1_3genE8ELNS1_11target_archE1030ELNS1_3gpuE2ELNS1_3repE0EEENS1_30default_config_static_selectorELNS0_4arch9wavefront6targetE1EEEvS14_
	.globl	_ZN7rocprim17ROCPRIM_400000_NS6detail17trampoline_kernelINS0_14default_configENS1_22reduce_config_selectorIN6thrust23THRUST_200600_302600_NS5tupleIblNS6_9null_typeES8_S8_S8_S8_S8_S8_S8_EEEEZNS1_11reduce_implILb1ES3_NS6_12zip_iteratorINS7_INS6_11hip_rocprim26transform_input_iterator_tIbNSD_35transform_pair_of_input_iterators_tIbNS6_6detail15normal_iteratorINS6_10device_ptrIKxEEEESL_NS6_8equal_toIxEEEENSG_9not_fun_tINSD_8identityEEEEENSD_19counting_iterator_tIlEES8_S8_S8_S8_S8_S8_S8_S8_EEEEPS9_S9_NSD_9__find_if7functorIS9_EEEE10hipError_tPvRmT1_T2_T3_mT4_P12ihipStream_tbEUlT_E1_NS1_11comp_targetILNS1_3genE8ELNS1_11target_archE1030ELNS1_3gpuE2ELNS1_3repE0EEENS1_30default_config_static_selectorELNS0_4arch9wavefront6targetE1EEEvS14_
	.p2align	8
	.type	_ZN7rocprim17ROCPRIM_400000_NS6detail17trampoline_kernelINS0_14default_configENS1_22reduce_config_selectorIN6thrust23THRUST_200600_302600_NS5tupleIblNS6_9null_typeES8_S8_S8_S8_S8_S8_S8_EEEEZNS1_11reduce_implILb1ES3_NS6_12zip_iteratorINS7_INS6_11hip_rocprim26transform_input_iterator_tIbNSD_35transform_pair_of_input_iterators_tIbNS6_6detail15normal_iteratorINS6_10device_ptrIKxEEEESL_NS6_8equal_toIxEEEENSG_9not_fun_tINSD_8identityEEEEENSD_19counting_iterator_tIlEES8_S8_S8_S8_S8_S8_S8_S8_EEEEPS9_S9_NSD_9__find_if7functorIS9_EEEE10hipError_tPvRmT1_T2_T3_mT4_P12ihipStream_tbEUlT_E1_NS1_11comp_targetILNS1_3genE8ELNS1_11target_archE1030ELNS1_3gpuE2ELNS1_3repE0EEENS1_30default_config_static_selectorELNS0_4arch9wavefront6targetE1EEEvS14_,@function
_ZN7rocprim17ROCPRIM_400000_NS6detail17trampoline_kernelINS0_14default_configENS1_22reduce_config_selectorIN6thrust23THRUST_200600_302600_NS5tupleIblNS6_9null_typeES8_S8_S8_S8_S8_S8_S8_EEEEZNS1_11reduce_implILb1ES3_NS6_12zip_iteratorINS7_INS6_11hip_rocprim26transform_input_iterator_tIbNSD_35transform_pair_of_input_iterators_tIbNS6_6detail15normal_iteratorINS6_10device_ptrIKxEEEESL_NS6_8equal_toIxEEEENSG_9not_fun_tINSD_8identityEEEEENSD_19counting_iterator_tIlEES8_S8_S8_S8_S8_S8_S8_S8_EEEEPS9_S9_NSD_9__find_if7functorIS9_EEEE10hipError_tPvRmT1_T2_T3_mT4_P12ihipStream_tbEUlT_E1_NS1_11comp_targetILNS1_3genE8ELNS1_11target_archE1030ELNS1_3gpuE2ELNS1_3repE0EEENS1_30default_config_static_selectorELNS0_4arch9wavefront6targetE1EEEvS14_: ; @_ZN7rocprim17ROCPRIM_400000_NS6detail17trampoline_kernelINS0_14default_configENS1_22reduce_config_selectorIN6thrust23THRUST_200600_302600_NS5tupleIblNS6_9null_typeES8_S8_S8_S8_S8_S8_S8_EEEEZNS1_11reduce_implILb1ES3_NS6_12zip_iteratorINS7_INS6_11hip_rocprim26transform_input_iterator_tIbNSD_35transform_pair_of_input_iterators_tIbNS6_6detail15normal_iteratorINS6_10device_ptrIKxEEEESL_NS6_8equal_toIxEEEENSG_9not_fun_tINSD_8identityEEEEENSD_19counting_iterator_tIlEES8_S8_S8_S8_S8_S8_S8_S8_EEEEPS9_S9_NSD_9__find_if7functorIS9_EEEE10hipError_tPvRmT1_T2_T3_mT4_P12ihipStream_tbEUlT_E1_NS1_11comp_targetILNS1_3genE8ELNS1_11target_archE1030ELNS1_3gpuE2ELNS1_3repE0EEENS1_30default_config_static_selectorELNS0_4arch9wavefront6targetE1EEEvS14_
; %bb.0:
	.section	.rodata,"a",@progbits
	.p2align	6, 0x0
	.amdhsa_kernel _ZN7rocprim17ROCPRIM_400000_NS6detail17trampoline_kernelINS0_14default_configENS1_22reduce_config_selectorIN6thrust23THRUST_200600_302600_NS5tupleIblNS6_9null_typeES8_S8_S8_S8_S8_S8_S8_EEEEZNS1_11reduce_implILb1ES3_NS6_12zip_iteratorINS7_INS6_11hip_rocprim26transform_input_iterator_tIbNSD_35transform_pair_of_input_iterators_tIbNS6_6detail15normal_iteratorINS6_10device_ptrIKxEEEESL_NS6_8equal_toIxEEEENSG_9not_fun_tINSD_8identityEEEEENSD_19counting_iterator_tIlEES8_S8_S8_S8_S8_S8_S8_S8_EEEEPS9_S9_NSD_9__find_if7functorIS9_EEEE10hipError_tPvRmT1_T2_T3_mT4_P12ihipStream_tbEUlT_E1_NS1_11comp_targetILNS1_3genE8ELNS1_11target_archE1030ELNS1_3gpuE2ELNS1_3repE0EEENS1_30default_config_static_selectorELNS0_4arch9wavefront6targetE1EEEvS14_
		.amdhsa_group_segment_fixed_size 0
		.amdhsa_private_segment_fixed_size 0
		.amdhsa_kernarg_size 88
		.amdhsa_user_sgpr_count 6
		.amdhsa_user_sgpr_private_segment_buffer 1
		.amdhsa_user_sgpr_dispatch_ptr 0
		.amdhsa_user_sgpr_queue_ptr 0
		.amdhsa_user_sgpr_kernarg_segment_ptr 1
		.amdhsa_user_sgpr_dispatch_id 0
		.amdhsa_user_sgpr_flat_scratch_init 0
		.amdhsa_user_sgpr_kernarg_preload_length 0
		.amdhsa_user_sgpr_kernarg_preload_offset 0
		.amdhsa_user_sgpr_private_segment_size 0
		.amdhsa_uses_dynamic_stack 0
		.amdhsa_system_sgpr_private_segment_wavefront_offset 0
		.amdhsa_system_sgpr_workgroup_id_x 1
		.amdhsa_system_sgpr_workgroup_id_y 0
		.amdhsa_system_sgpr_workgroup_id_z 0
		.amdhsa_system_sgpr_workgroup_info 0
		.amdhsa_system_vgpr_workitem_id 0
		.amdhsa_next_free_vgpr 1
		.amdhsa_next_free_sgpr 0
		.amdhsa_accum_offset 4
		.amdhsa_reserve_vcc 0
		.amdhsa_reserve_flat_scratch 0
		.amdhsa_float_round_mode_32 0
		.amdhsa_float_round_mode_16_64 0
		.amdhsa_float_denorm_mode_32 3
		.amdhsa_float_denorm_mode_16_64 3
		.amdhsa_dx10_clamp 1
		.amdhsa_ieee_mode 1
		.amdhsa_fp16_overflow 0
		.amdhsa_tg_split 0
		.amdhsa_exception_fp_ieee_invalid_op 0
		.amdhsa_exception_fp_denorm_src 0
		.amdhsa_exception_fp_ieee_div_zero 0
		.amdhsa_exception_fp_ieee_overflow 0
		.amdhsa_exception_fp_ieee_underflow 0
		.amdhsa_exception_fp_ieee_inexact 0
		.amdhsa_exception_int_div_zero 0
	.end_amdhsa_kernel
	.section	.text._ZN7rocprim17ROCPRIM_400000_NS6detail17trampoline_kernelINS0_14default_configENS1_22reduce_config_selectorIN6thrust23THRUST_200600_302600_NS5tupleIblNS6_9null_typeES8_S8_S8_S8_S8_S8_S8_EEEEZNS1_11reduce_implILb1ES3_NS6_12zip_iteratorINS7_INS6_11hip_rocprim26transform_input_iterator_tIbNSD_35transform_pair_of_input_iterators_tIbNS6_6detail15normal_iteratorINS6_10device_ptrIKxEEEESL_NS6_8equal_toIxEEEENSG_9not_fun_tINSD_8identityEEEEENSD_19counting_iterator_tIlEES8_S8_S8_S8_S8_S8_S8_S8_EEEEPS9_S9_NSD_9__find_if7functorIS9_EEEE10hipError_tPvRmT1_T2_T3_mT4_P12ihipStream_tbEUlT_E1_NS1_11comp_targetILNS1_3genE8ELNS1_11target_archE1030ELNS1_3gpuE2ELNS1_3repE0EEENS1_30default_config_static_selectorELNS0_4arch9wavefront6targetE1EEEvS14_,"axG",@progbits,_ZN7rocprim17ROCPRIM_400000_NS6detail17trampoline_kernelINS0_14default_configENS1_22reduce_config_selectorIN6thrust23THRUST_200600_302600_NS5tupleIblNS6_9null_typeES8_S8_S8_S8_S8_S8_S8_EEEEZNS1_11reduce_implILb1ES3_NS6_12zip_iteratorINS7_INS6_11hip_rocprim26transform_input_iterator_tIbNSD_35transform_pair_of_input_iterators_tIbNS6_6detail15normal_iteratorINS6_10device_ptrIKxEEEESL_NS6_8equal_toIxEEEENSG_9not_fun_tINSD_8identityEEEEENSD_19counting_iterator_tIlEES8_S8_S8_S8_S8_S8_S8_S8_EEEEPS9_S9_NSD_9__find_if7functorIS9_EEEE10hipError_tPvRmT1_T2_T3_mT4_P12ihipStream_tbEUlT_E1_NS1_11comp_targetILNS1_3genE8ELNS1_11target_archE1030ELNS1_3gpuE2ELNS1_3repE0EEENS1_30default_config_static_selectorELNS0_4arch9wavefront6targetE1EEEvS14_,comdat
.Lfunc_end122:
	.size	_ZN7rocprim17ROCPRIM_400000_NS6detail17trampoline_kernelINS0_14default_configENS1_22reduce_config_selectorIN6thrust23THRUST_200600_302600_NS5tupleIblNS6_9null_typeES8_S8_S8_S8_S8_S8_S8_EEEEZNS1_11reduce_implILb1ES3_NS6_12zip_iteratorINS7_INS6_11hip_rocprim26transform_input_iterator_tIbNSD_35transform_pair_of_input_iterators_tIbNS6_6detail15normal_iteratorINS6_10device_ptrIKxEEEESL_NS6_8equal_toIxEEEENSG_9not_fun_tINSD_8identityEEEEENSD_19counting_iterator_tIlEES8_S8_S8_S8_S8_S8_S8_S8_EEEEPS9_S9_NSD_9__find_if7functorIS9_EEEE10hipError_tPvRmT1_T2_T3_mT4_P12ihipStream_tbEUlT_E1_NS1_11comp_targetILNS1_3genE8ELNS1_11target_archE1030ELNS1_3gpuE2ELNS1_3repE0EEENS1_30default_config_static_selectorELNS0_4arch9wavefront6targetE1EEEvS14_, .Lfunc_end122-_ZN7rocprim17ROCPRIM_400000_NS6detail17trampoline_kernelINS0_14default_configENS1_22reduce_config_selectorIN6thrust23THRUST_200600_302600_NS5tupleIblNS6_9null_typeES8_S8_S8_S8_S8_S8_S8_EEEEZNS1_11reduce_implILb1ES3_NS6_12zip_iteratorINS7_INS6_11hip_rocprim26transform_input_iterator_tIbNSD_35transform_pair_of_input_iterators_tIbNS6_6detail15normal_iteratorINS6_10device_ptrIKxEEEESL_NS6_8equal_toIxEEEENSG_9not_fun_tINSD_8identityEEEEENSD_19counting_iterator_tIlEES8_S8_S8_S8_S8_S8_S8_S8_EEEEPS9_S9_NSD_9__find_if7functorIS9_EEEE10hipError_tPvRmT1_T2_T3_mT4_P12ihipStream_tbEUlT_E1_NS1_11comp_targetILNS1_3genE8ELNS1_11target_archE1030ELNS1_3gpuE2ELNS1_3repE0EEENS1_30default_config_static_selectorELNS0_4arch9wavefront6targetE1EEEvS14_
                                        ; -- End function
	.section	.AMDGPU.csdata,"",@progbits
; Kernel info:
; codeLenInByte = 0
; NumSgprs: 4
; NumVgprs: 0
; NumAgprs: 0
; TotalNumVgprs: 0
; ScratchSize: 0
; MemoryBound: 0
; FloatMode: 240
; IeeeMode: 1
; LDSByteSize: 0 bytes/workgroup (compile time only)
; SGPRBlocks: 0
; VGPRBlocks: 0
; NumSGPRsForWavesPerEU: 4
; NumVGPRsForWavesPerEU: 1
; AccumOffset: 4
; Occupancy: 8
; WaveLimiterHint : 0
; COMPUTE_PGM_RSRC2:SCRATCH_EN: 0
; COMPUTE_PGM_RSRC2:USER_SGPR: 6
; COMPUTE_PGM_RSRC2:TRAP_HANDLER: 0
; COMPUTE_PGM_RSRC2:TGID_X_EN: 1
; COMPUTE_PGM_RSRC2:TGID_Y_EN: 0
; COMPUTE_PGM_RSRC2:TGID_Z_EN: 0
; COMPUTE_PGM_RSRC2:TIDIG_COMP_CNT: 0
; COMPUTE_PGM_RSRC3_GFX90A:ACCUM_OFFSET: 0
; COMPUTE_PGM_RSRC3_GFX90A:TG_SPLIT: 0
	.section	.text._ZN6thrust23THRUST_200600_302600_NS11hip_rocprim14__parallel_for6kernelILj256ENS1_10for_each_fINS0_7pointerINS0_5tupleIblNS0_9null_typeES7_S7_S7_S7_S7_S7_S7_EENS1_3tagENS0_11use_defaultESA_EENS0_6detail16wrapped_functionINSC_23allocator_traits_detail24construct1_via_allocatorINSC_18no_throw_allocatorINSC_19temporary_allocatorIS8_S9_EEEEEEvEEEEmLj1EEEvT0_T1_SO_,"axG",@progbits,_ZN6thrust23THRUST_200600_302600_NS11hip_rocprim14__parallel_for6kernelILj256ENS1_10for_each_fINS0_7pointerINS0_5tupleIblNS0_9null_typeES7_S7_S7_S7_S7_S7_S7_EENS1_3tagENS0_11use_defaultESA_EENS0_6detail16wrapped_functionINSC_23allocator_traits_detail24construct1_via_allocatorINSC_18no_throw_allocatorINSC_19temporary_allocatorIS8_S9_EEEEEEvEEEEmLj1EEEvT0_T1_SO_,comdat
	.protected	_ZN6thrust23THRUST_200600_302600_NS11hip_rocprim14__parallel_for6kernelILj256ENS1_10for_each_fINS0_7pointerINS0_5tupleIblNS0_9null_typeES7_S7_S7_S7_S7_S7_S7_EENS1_3tagENS0_11use_defaultESA_EENS0_6detail16wrapped_functionINSC_23allocator_traits_detail24construct1_via_allocatorINSC_18no_throw_allocatorINSC_19temporary_allocatorIS8_S9_EEEEEEvEEEEmLj1EEEvT0_T1_SO_ ; -- Begin function _ZN6thrust23THRUST_200600_302600_NS11hip_rocprim14__parallel_for6kernelILj256ENS1_10for_each_fINS0_7pointerINS0_5tupleIblNS0_9null_typeES7_S7_S7_S7_S7_S7_S7_EENS1_3tagENS0_11use_defaultESA_EENS0_6detail16wrapped_functionINSC_23allocator_traits_detail24construct1_via_allocatorINSC_18no_throw_allocatorINSC_19temporary_allocatorIS8_S9_EEEEEEvEEEEmLj1EEEvT0_T1_SO_
	.globl	_ZN6thrust23THRUST_200600_302600_NS11hip_rocprim14__parallel_for6kernelILj256ENS1_10for_each_fINS0_7pointerINS0_5tupleIblNS0_9null_typeES7_S7_S7_S7_S7_S7_S7_EENS1_3tagENS0_11use_defaultESA_EENS0_6detail16wrapped_functionINSC_23allocator_traits_detail24construct1_via_allocatorINSC_18no_throw_allocatorINSC_19temporary_allocatorIS8_S9_EEEEEEvEEEEmLj1EEEvT0_T1_SO_
	.p2align	8
	.type	_ZN6thrust23THRUST_200600_302600_NS11hip_rocprim14__parallel_for6kernelILj256ENS1_10for_each_fINS0_7pointerINS0_5tupleIblNS0_9null_typeES7_S7_S7_S7_S7_S7_S7_EENS1_3tagENS0_11use_defaultESA_EENS0_6detail16wrapped_functionINSC_23allocator_traits_detail24construct1_via_allocatorINSC_18no_throw_allocatorINSC_19temporary_allocatorIS8_S9_EEEEEEvEEEEmLj1EEEvT0_T1_SO_,@function
_ZN6thrust23THRUST_200600_302600_NS11hip_rocprim14__parallel_for6kernelILj256ENS1_10for_each_fINS0_7pointerINS0_5tupleIblNS0_9null_typeES7_S7_S7_S7_S7_S7_S7_EENS1_3tagENS0_11use_defaultESA_EENS0_6detail16wrapped_functionINSC_23allocator_traits_detail24construct1_via_allocatorINSC_18no_throw_allocatorINSC_19temporary_allocatorIS8_S9_EEEEEEvEEEEmLj1EEEvT0_T1_SO_: ; @_ZN6thrust23THRUST_200600_302600_NS11hip_rocprim14__parallel_for6kernelILj256ENS1_10for_each_fINS0_7pointerINS0_5tupleIblNS0_9null_typeES7_S7_S7_S7_S7_S7_S7_EENS1_3tagENS0_11use_defaultESA_EENS0_6detail16wrapped_functionINSC_23allocator_traits_detail24construct1_via_allocatorINSC_18no_throw_allocatorINSC_19temporary_allocatorIS8_S9_EEEEEEvEEEEmLj1EEEvT0_T1_SO_
; %bb.0:
	s_load_dwordx4 s[8:11], s[4:5], 0x10
	s_load_dwordx2 s[0:1], s[4:5], 0x0
	s_lshl_b32 s2, s6, 8
	v_mov_b32_e32 v2, 0x100
	v_mov_b32_e32 v3, 0
	s_waitcnt lgkmcnt(0)
	s_add_u32 s4, s2, s10
	s_addc_u32 s5, 0, s11
	s_sub_u32 s2, s8, s4
	s_subb_u32 s3, s9, s5
	v_cmp_lt_u64_e32 vcc, s[2:3], v[2:3]
	s_cbranch_vccz .LBB123_4
; %bb.1:
	v_cmp_gt_u32_e32 vcc, s2, v0
	s_mov_b64 s[6:7], 0
	s_mov_b64 s[2:3], 0
                                        ; implicit-def: $vgpr2_vgpr3
	s_and_saveexec_b64 s[8:9], vcc
	s_xor_b64 s[8:9], exec, s[8:9]
; %bb.2:
	s_lshl_b64 s[10:11], s[4:5], 4
	s_add_u32 s10, s0, s10
	s_addc_u32 s11, s1, s11
	v_lshlrev_b32_e32 v1, 4, v0
	v_mov_b32_e32 v3, s11
	v_add_co_u32_e32 v2, vcc, s10, v1
	s_mov_b64 s[2:3], exec
	v_addc_co_u32_e32 v3, vcc, 0, v3, vcc
; %bb.3:
	s_or_b64 exec, exec, s[8:9]
	s_and_b64 vcc, exec, s[6:7]
	s_cbranch_vccnz .LBB123_5
	s_branch .LBB123_6
.LBB123_4:
	s_mov_b64 s[2:3], 0
                                        ; implicit-def: $vgpr2_vgpr3
	s_cbranch_execz .LBB123_6
.LBB123_5:
	s_lshl_b64 s[4:5], s[4:5], 4
	s_add_u32 s0, s0, s4
	s_addc_u32 s1, s1, s5
	v_lshlrev_b32_e32 v0, 4, v0
	v_mov_b32_e32 v1, s1
	v_add_co_u32_e32 v2, vcc, s0, v0
	v_addc_co_u32_e32 v3, vcc, 0, v1, vcc
	s_or_b64 s[2:3], s[2:3], exec
.LBB123_6:
	s_and_saveexec_b64 s[0:1], s[2:3]
	s_cbranch_execnz .LBB123_8
; %bb.7:
	s_endpgm
.LBB123_8:
	v_mov_b32_e32 v0, 0
	v_mov_b32_e32 v1, v0
	flat_store_byte v[2:3], v0
	flat_store_dwordx2 v[2:3], v[0:1] offset:8
	s_endpgm
	.section	.rodata,"a",@progbits
	.p2align	6, 0x0
	.amdhsa_kernel _ZN6thrust23THRUST_200600_302600_NS11hip_rocprim14__parallel_for6kernelILj256ENS1_10for_each_fINS0_7pointerINS0_5tupleIblNS0_9null_typeES7_S7_S7_S7_S7_S7_S7_EENS1_3tagENS0_11use_defaultESA_EENS0_6detail16wrapped_functionINSC_23allocator_traits_detail24construct1_via_allocatorINSC_18no_throw_allocatorINSC_19temporary_allocatorIS8_S9_EEEEEEvEEEEmLj1EEEvT0_T1_SO_
		.amdhsa_group_segment_fixed_size 0
		.amdhsa_private_segment_fixed_size 0
		.amdhsa_kernarg_size 32
		.amdhsa_user_sgpr_count 6
		.amdhsa_user_sgpr_private_segment_buffer 1
		.amdhsa_user_sgpr_dispatch_ptr 0
		.amdhsa_user_sgpr_queue_ptr 0
		.amdhsa_user_sgpr_kernarg_segment_ptr 1
		.amdhsa_user_sgpr_dispatch_id 0
		.amdhsa_user_sgpr_flat_scratch_init 0
		.amdhsa_user_sgpr_kernarg_preload_length 0
		.amdhsa_user_sgpr_kernarg_preload_offset 0
		.amdhsa_user_sgpr_private_segment_size 0
		.amdhsa_uses_dynamic_stack 0
		.amdhsa_system_sgpr_private_segment_wavefront_offset 0
		.amdhsa_system_sgpr_workgroup_id_x 1
		.amdhsa_system_sgpr_workgroup_id_y 0
		.amdhsa_system_sgpr_workgroup_id_z 0
		.amdhsa_system_sgpr_workgroup_info 0
		.amdhsa_system_vgpr_workitem_id 0
		.amdhsa_next_free_vgpr 4
		.amdhsa_next_free_sgpr 12
		.amdhsa_accum_offset 4
		.amdhsa_reserve_vcc 1
		.amdhsa_reserve_flat_scratch 0
		.amdhsa_float_round_mode_32 0
		.amdhsa_float_round_mode_16_64 0
		.amdhsa_float_denorm_mode_32 3
		.amdhsa_float_denorm_mode_16_64 3
		.amdhsa_dx10_clamp 1
		.amdhsa_ieee_mode 1
		.amdhsa_fp16_overflow 0
		.amdhsa_tg_split 0
		.amdhsa_exception_fp_ieee_invalid_op 0
		.amdhsa_exception_fp_denorm_src 0
		.amdhsa_exception_fp_ieee_div_zero 0
		.amdhsa_exception_fp_ieee_overflow 0
		.amdhsa_exception_fp_ieee_underflow 0
		.amdhsa_exception_fp_ieee_inexact 0
		.amdhsa_exception_int_div_zero 0
	.end_amdhsa_kernel
	.section	.text._ZN6thrust23THRUST_200600_302600_NS11hip_rocprim14__parallel_for6kernelILj256ENS1_10for_each_fINS0_7pointerINS0_5tupleIblNS0_9null_typeES7_S7_S7_S7_S7_S7_S7_EENS1_3tagENS0_11use_defaultESA_EENS0_6detail16wrapped_functionINSC_23allocator_traits_detail24construct1_via_allocatorINSC_18no_throw_allocatorINSC_19temporary_allocatorIS8_S9_EEEEEEvEEEEmLj1EEEvT0_T1_SO_,"axG",@progbits,_ZN6thrust23THRUST_200600_302600_NS11hip_rocprim14__parallel_for6kernelILj256ENS1_10for_each_fINS0_7pointerINS0_5tupleIblNS0_9null_typeES7_S7_S7_S7_S7_S7_S7_EENS1_3tagENS0_11use_defaultESA_EENS0_6detail16wrapped_functionINSC_23allocator_traits_detail24construct1_via_allocatorINSC_18no_throw_allocatorINSC_19temporary_allocatorIS8_S9_EEEEEEvEEEEmLj1EEEvT0_T1_SO_,comdat
.Lfunc_end123:
	.size	_ZN6thrust23THRUST_200600_302600_NS11hip_rocprim14__parallel_for6kernelILj256ENS1_10for_each_fINS0_7pointerINS0_5tupleIblNS0_9null_typeES7_S7_S7_S7_S7_S7_S7_EENS1_3tagENS0_11use_defaultESA_EENS0_6detail16wrapped_functionINSC_23allocator_traits_detail24construct1_via_allocatorINSC_18no_throw_allocatorINSC_19temporary_allocatorIS8_S9_EEEEEEvEEEEmLj1EEEvT0_T1_SO_, .Lfunc_end123-_ZN6thrust23THRUST_200600_302600_NS11hip_rocprim14__parallel_for6kernelILj256ENS1_10for_each_fINS0_7pointerINS0_5tupleIblNS0_9null_typeES7_S7_S7_S7_S7_S7_S7_EENS1_3tagENS0_11use_defaultESA_EENS0_6detail16wrapped_functionINSC_23allocator_traits_detail24construct1_via_allocatorINSC_18no_throw_allocatorINSC_19temporary_allocatorIS8_S9_EEEEEEvEEEEmLj1EEEvT0_T1_SO_
                                        ; -- End function
	.section	.AMDGPU.csdata,"",@progbits
; Kernel info:
; codeLenInByte = 208
; NumSgprs: 16
; NumVgprs: 4
; NumAgprs: 0
; TotalNumVgprs: 4
; ScratchSize: 0
; MemoryBound: 0
; FloatMode: 240
; IeeeMode: 1
; LDSByteSize: 0 bytes/workgroup (compile time only)
; SGPRBlocks: 1
; VGPRBlocks: 0
; NumSGPRsForWavesPerEU: 16
; NumVGPRsForWavesPerEU: 4
; AccumOffset: 4
; Occupancy: 8
; WaveLimiterHint : 0
; COMPUTE_PGM_RSRC2:SCRATCH_EN: 0
; COMPUTE_PGM_RSRC2:USER_SGPR: 6
; COMPUTE_PGM_RSRC2:TRAP_HANDLER: 0
; COMPUTE_PGM_RSRC2:TGID_X_EN: 1
; COMPUTE_PGM_RSRC2:TGID_Y_EN: 0
; COMPUTE_PGM_RSRC2:TGID_Z_EN: 0
; COMPUTE_PGM_RSRC2:TIDIG_COMP_CNT: 0
; COMPUTE_PGM_RSRC3_GFX90A:ACCUM_OFFSET: 0
; COMPUTE_PGM_RSRC3_GFX90A:TG_SPLIT: 0
	.section	.text._ZN6thrust23THRUST_200600_302600_NS11hip_rocprim14__parallel_for6kernelILj256ENS1_10for_each_fINS0_7pointerINS0_5tupleIblNS0_9null_typeES7_S7_S7_S7_S7_S7_S7_EENS1_3tagENS0_11use_defaultESA_EENS0_6detail16wrapped_functionINSC_23allocator_traits_detail5gozerEvEEEElLj1EEEvT0_T1_SJ_,"axG",@progbits,_ZN6thrust23THRUST_200600_302600_NS11hip_rocprim14__parallel_for6kernelILj256ENS1_10for_each_fINS0_7pointerINS0_5tupleIblNS0_9null_typeES7_S7_S7_S7_S7_S7_S7_EENS1_3tagENS0_11use_defaultESA_EENS0_6detail16wrapped_functionINSC_23allocator_traits_detail5gozerEvEEEElLj1EEEvT0_T1_SJ_,comdat
	.protected	_ZN6thrust23THRUST_200600_302600_NS11hip_rocprim14__parallel_for6kernelILj256ENS1_10for_each_fINS0_7pointerINS0_5tupleIblNS0_9null_typeES7_S7_S7_S7_S7_S7_S7_EENS1_3tagENS0_11use_defaultESA_EENS0_6detail16wrapped_functionINSC_23allocator_traits_detail5gozerEvEEEElLj1EEEvT0_T1_SJ_ ; -- Begin function _ZN6thrust23THRUST_200600_302600_NS11hip_rocprim14__parallel_for6kernelILj256ENS1_10for_each_fINS0_7pointerINS0_5tupleIblNS0_9null_typeES7_S7_S7_S7_S7_S7_S7_EENS1_3tagENS0_11use_defaultESA_EENS0_6detail16wrapped_functionINSC_23allocator_traits_detail5gozerEvEEEElLj1EEEvT0_T1_SJ_
	.globl	_ZN6thrust23THRUST_200600_302600_NS11hip_rocprim14__parallel_for6kernelILj256ENS1_10for_each_fINS0_7pointerINS0_5tupleIblNS0_9null_typeES7_S7_S7_S7_S7_S7_S7_EENS1_3tagENS0_11use_defaultESA_EENS0_6detail16wrapped_functionINSC_23allocator_traits_detail5gozerEvEEEElLj1EEEvT0_T1_SJ_
	.p2align	8
	.type	_ZN6thrust23THRUST_200600_302600_NS11hip_rocprim14__parallel_for6kernelILj256ENS1_10for_each_fINS0_7pointerINS0_5tupleIblNS0_9null_typeES7_S7_S7_S7_S7_S7_S7_EENS1_3tagENS0_11use_defaultESA_EENS0_6detail16wrapped_functionINSC_23allocator_traits_detail5gozerEvEEEElLj1EEEvT0_T1_SJ_,@function
_ZN6thrust23THRUST_200600_302600_NS11hip_rocprim14__parallel_for6kernelILj256ENS1_10for_each_fINS0_7pointerINS0_5tupleIblNS0_9null_typeES7_S7_S7_S7_S7_S7_S7_EENS1_3tagENS0_11use_defaultESA_EENS0_6detail16wrapped_functionINSC_23allocator_traits_detail5gozerEvEEEElLj1EEEvT0_T1_SJ_: ; @_ZN6thrust23THRUST_200600_302600_NS11hip_rocprim14__parallel_for6kernelILj256ENS1_10for_each_fINS0_7pointerINS0_5tupleIblNS0_9null_typeES7_S7_S7_S7_S7_S7_S7_EENS1_3tagENS0_11use_defaultESA_EENS0_6detail16wrapped_functionINSC_23allocator_traits_detail5gozerEvEEEElLj1EEEvT0_T1_SJ_
; %bb.0:
	s_endpgm
	.section	.rodata,"a",@progbits
	.p2align	6, 0x0
	.amdhsa_kernel _ZN6thrust23THRUST_200600_302600_NS11hip_rocprim14__parallel_for6kernelILj256ENS1_10for_each_fINS0_7pointerINS0_5tupleIblNS0_9null_typeES7_S7_S7_S7_S7_S7_S7_EENS1_3tagENS0_11use_defaultESA_EENS0_6detail16wrapped_functionINSC_23allocator_traits_detail5gozerEvEEEElLj1EEEvT0_T1_SJ_
		.amdhsa_group_segment_fixed_size 0
		.amdhsa_private_segment_fixed_size 0
		.amdhsa_kernarg_size 32
		.amdhsa_user_sgpr_count 6
		.amdhsa_user_sgpr_private_segment_buffer 1
		.amdhsa_user_sgpr_dispatch_ptr 0
		.amdhsa_user_sgpr_queue_ptr 0
		.amdhsa_user_sgpr_kernarg_segment_ptr 1
		.amdhsa_user_sgpr_dispatch_id 0
		.amdhsa_user_sgpr_flat_scratch_init 0
		.amdhsa_user_sgpr_kernarg_preload_length 0
		.amdhsa_user_sgpr_kernarg_preload_offset 0
		.amdhsa_user_sgpr_private_segment_size 0
		.amdhsa_uses_dynamic_stack 0
		.amdhsa_system_sgpr_private_segment_wavefront_offset 0
		.amdhsa_system_sgpr_workgroup_id_x 1
		.amdhsa_system_sgpr_workgroup_id_y 0
		.amdhsa_system_sgpr_workgroup_id_z 0
		.amdhsa_system_sgpr_workgroup_info 0
		.amdhsa_system_vgpr_workitem_id 0
		.amdhsa_next_free_vgpr 1
		.amdhsa_next_free_sgpr 0
		.amdhsa_accum_offset 4
		.amdhsa_reserve_vcc 0
		.amdhsa_reserve_flat_scratch 0
		.amdhsa_float_round_mode_32 0
		.amdhsa_float_round_mode_16_64 0
		.amdhsa_float_denorm_mode_32 3
		.amdhsa_float_denorm_mode_16_64 3
		.amdhsa_dx10_clamp 1
		.amdhsa_ieee_mode 1
		.amdhsa_fp16_overflow 0
		.amdhsa_tg_split 0
		.amdhsa_exception_fp_ieee_invalid_op 0
		.amdhsa_exception_fp_denorm_src 0
		.amdhsa_exception_fp_ieee_div_zero 0
		.amdhsa_exception_fp_ieee_overflow 0
		.amdhsa_exception_fp_ieee_underflow 0
		.amdhsa_exception_fp_ieee_inexact 0
		.amdhsa_exception_int_div_zero 0
	.end_amdhsa_kernel
	.section	.text._ZN6thrust23THRUST_200600_302600_NS11hip_rocprim14__parallel_for6kernelILj256ENS1_10for_each_fINS0_7pointerINS0_5tupleIblNS0_9null_typeES7_S7_S7_S7_S7_S7_S7_EENS1_3tagENS0_11use_defaultESA_EENS0_6detail16wrapped_functionINSC_23allocator_traits_detail5gozerEvEEEElLj1EEEvT0_T1_SJ_,"axG",@progbits,_ZN6thrust23THRUST_200600_302600_NS11hip_rocprim14__parallel_for6kernelILj256ENS1_10for_each_fINS0_7pointerINS0_5tupleIblNS0_9null_typeES7_S7_S7_S7_S7_S7_S7_EENS1_3tagENS0_11use_defaultESA_EENS0_6detail16wrapped_functionINSC_23allocator_traits_detail5gozerEvEEEElLj1EEEvT0_T1_SJ_,comdat
.Lfunc_end124:
	.size	_ZN6thrust23THRUST_200600_302600_NS11hip_rocprim14__parallel_for6kernelILj256ENS1_10for_each_fINS0_7pointerINS0_5tupleIblNS0_9null_typeES7_S7_S7_S7_S7_S7_S7_EENS1_3tagENS0_11use_defaultESA_EENS0_6detail16wrapped_functionINSC_23allocator_traits_detail5gozerEvEEEElLj1EEEvT0_T1_SJ_, .Lfunc_end124-_ZN6thrust23THRUST_200600_302600_NS11hip_rocprim14__parallel_for6kernelILj256ENS1_10for_each_fINS0_7pointerINS0_5tupleIblNS0_9null_typeES7_S7_S7_S7_S7_S7_S7_EENS1_3tagENS0_11use_defaultESA_EENS0_6detail16wrapped_functionINSC_23allocator_traits_detail5gozerEvEEEElLj1EEEvT0_T1_SJ_
                                        ; -- End function
	.section	.AMDGPU.csdata,"",@progbits
; Kernel info:
; codeLenInByte = 4
; NumSgprs: 4
; NumVgprs: 0
; NumAgprs: 0
; TotalNumVgprs: 0
; ScratchSize: 0
; MemoryBound: 0
; FloatMode: 240
; IeeeMode: 1
; LDSByteSize: 0 bytes/workgroup (compile time only)
; SGPRBlocks: 0
; VGPRBlocks: 0
; NumSGPRsForWavesPerEU: 4
; NumVGPRsForWavesPerEU: 1
; AccumOffset: 4
; Occupancy: 8
; WaveLimiterHint : 0
; COMPUTE_PGM_RSRC2:SCRATCH_EN: 0
; COMPUTE_PGM_RSRC2:USER_SGPR: 6
; COMPUTE_PGM_RSRC2:TRAP_HANDLER: 0
; COMPUTE_PGM_RSRC2:TGID_X_EN: 1
; COMPUTE_PGM_RSRC2:TGID_Y_EN: 0
; COMPUTE_PGM_RSRC2:TGID_Z_EN: 0
; COMPUTE_PGM_RSRC2:TIDIG_COMP_CNT: 0
; COMPUTE_PGM_RSRC3_GFX90A:ACCUM_OFFSET: 0
; COMPUTE_PGM_RSRC3_GFX90A:TG_SPLIT: 0
	.section	.text._ZN6thrust23THRUST_200600_302600_NS11hip_rocprim14__parallel_for6kernelILj256ENS1_20__uninitialized_copy7functorIPNS0_5tupleIblNS0_9null_typeES7_S7_S7_S7_S7_S7_S7_EENS0_7pointerIS8_NS1_3tagENS0_11use_defaultESC_EEEEmLj1EEEvT0_T1_SG_,"axG",@progbits,_ZN6thrust23THRUST_200600_302600_NS11hip_rocprim14__parallel_for6kernelILj256ENS1_20__uninitialized_copy7functorIPNS0_5tupleIblNS0_9null_typeES7_S7_S7_S7_S7_S7_S7_EENS0_7pointerIS8_NS1_3tagENS0_11use_defaultESC_EEEEmLj1EEEvT0_T1_SG_,comdat
	.protected	_ZN6thrust23THRUST_200600_302600_NS11hip_rocprim14__parallel_for6kernelILj256ENS1_20__uninitialized_copy7functorIPNS0_5tupleIblNS0_9null_typeES7_S7_S7_S7_S7_S7_S7_EENS0_7pointerIS8_NS1_3tagENS0_11use_defaultESC_EEEEmLj1EEEvT0_T1_SG_ ; -- Begin function _ZN6thrust23THRUST_200600_302600_NS11hip_rocprim14__parallel_for6kernelILj256ENS1_20__uninitialized_copy7functorIPNS0_5tupleIblNS0_9null_typeES7_S7_S7_S7_S7_S7_S7_EENS0_7pointerIS8_NS1_3tagENS0_11use_defaultESC_EEEEmLj1EEEvT0_T1_SG_
	.globl	_ZN6thrust23THRUST_200600_302600_NS11hip_rocprim14__parallel_for6kernelILj256ENS1_20__uninitialized_copy7functorIPNS0_5tupleIblNS0_9null_typeES7_S7_S7_S7_S7_S7_S7_EENS0_7pointerIS8_NS1_3tagENS0_11use_defaultESC_EEEEmLj1EEEvT0_T1_SG_
	.p2align	8
	.type	_ZN6thrust23THRUST_200600_302600_NS11hip_rocprim14__parallel_for6kernelILj256ENS1_20__uninitialized_copy7functorIPNS0_5tupleIblNS0_9null_typeES7_S7_S7_S7_S7_S7_S7_EENS0_7pointerIS8_NS1_3tagENS0_11use_defaultESC_EEEEmLj1EEEvT0_T1_SG_,@function
_ZN6thrust23THRUST_200600_302600_NS11hip_rocprim14__parallel_for6kernelILj256ENS1_20__uninitialized_copy7functorIPNS0_5tupleIblNS0_9null_typeES7_S7_S7_S7_S7_S7_S7_EENS0_7pointerIS8_NS1_3tagENS0_11use_defaultESC_EEEEmLj1EEEvT0_T1_SG_: ; @_ZN6thrust23THRUST_200600_302600_NS11hip_rocprim14__parallel_for6kernelILj256ENS1_20__uninitialized_copy7functorIPNS0_5tupleIblNS0_9null_typeES7_S7_S7_S7_S7_S7_S7_EENS0_7pointerIS8_NS1_3tagENS0_11use_defaultESC_EEEEmLj1EEEvT0_T1_SG_
; %bb.0:
	s_load_dwordx8 s[8:15], s[4:5], 0x0
	s_lshl_b32 s0, s6, 8
	v_mov_b32_e32 v2, 0x100
	v_mov_b32_e32 v3, 0
	s_waitcnt lgkmcnt(0)
	s_add_u32 s4, s0, s14
	s_addc_u32 s5, 0, s15
	s_sub_u32 s2, s12, s4
	s_subb_u32 s3, s13, s5
	v_cmp_lt_u64_e32 vcc, s[2:3], v[2:3]
	s_mov_b64 s[0:1], -1
	s_cbranch_vccnz .LBB125_3
; %bb.1:
	s_andn2_b64 vcc, exec, s[0:1]
	s_cbranch_vccz .LBB125_6
.LBB125_2:
	s_endpgm
.LBB125_3:
	v_cmp_gt_u32_e32 vcc, s2, v0
	s_and_saveexec_b64 s[0:1], vcc
	s_cbranch_execz .LBB125_5
; %bb.4:
	v_mov_b32_e32 v1, s5
	v_add_co_u32_e32 v2, vcc, s4, v0
	v_addc_co_u32_e32 v3, vcc, 0, v1, vcc
	v_lshlrev_b64 v[6:7], 4, v[2:3]
	v_mov_b32_e32 v1, s9
	v_add_co_u32_e32 v2, vcc, s8, v6
	v_addc_co_u32_e32 v3, vcc, v1, v7, vcc
	global_load_dwordx4 v[2:5], v[2:3], off
	v_mov_b32_e32 v1, s11
	v_add_co_u32_e32 v6, vcc, s10, v6
	v_addc_co_u32_e32 v7, vcc, v1, v7, vcc
	s_waitcnt vmcnt(0)
	flat_store_dwordx4 v[6:7], v[2:5]
.LBB125_5:
	s_or_b64 exec, exec, s[0:1]
	s_cbranch_execnz .LBB125_2
.LBB125_6:
	v_mov_b32_e32 v1, s5
	v_add_co_u32_e32 v0, vcc, s4, v0
	v_addc_co_u32_e32 v1, vcc, 0, v1, vcc
	v_lshlrev_b64 v[4:5], 4, v[0:1]
	v_mov_b32_e32 v1, s9
	v_add_co_u32_e32 v0, vcc, s8, v4
	v_addc_co_u32_e32 v1, vcc, v1, v5, vcc
	global_load_dwordx4 v[0:3], v[0:1], off
	v_mov_b32_e32 v6, s11
	v_add_co_u32_e32 v4, vcc, s10, v4
	v_addc_co_u32_e32 v5, vcc, v6, v5, vcc
	s_waitcnt vmcnt(0)
	flat_store_dwordx4 v[4:5], v[0:3]
	s_endpgm
	.section	.rodata,"a",@progbits
	.p2align	6, 0x0
	.amdhsa_kernel _ZN6thrust23THRUST_200600_302600_NS11hip_rocprim14__parallel_for6kernelILj256ENS1_20__uninitialized_copy7functorIPNS0_5tupleIblNS0_9null_typeES7_S7_S7_S7_S7_S7_S7_EENS0_7pointerIS8_NS1_3tagENS0_11use_defaultESC_EEEEmLj1EEEvT0_T1_SG_
		.amdhsa_group_segment_fixed_size 0
		.amdhsa_private_segment_fixed_size 0
		.amdhsa_kernarg_size 32
		.amdhsa_user_sgpr_count 6
		.amdhsa_user_sgpr_private_segment_buffer 1
		.amdhsa_user_sgpr_dispatch_ptr 0
		.amdhsa_user_sgpr_queue_ptr 0
		.amdhsa_user_sgpr_kernarg_segment_ptr 1
		.amdhsa_user_sgpr_dispatch_id 0
		.amdhsa_user_sgpr_flat_scratch_init 0
		.amdhsa_user_sgpr_kernarg_preload_length 0
		.amdhsa_user_sgpr_kernarg_preload_offset 0
		.amdhsa_user_sgpr_private_segment_size 0
		.amdhsa_uses_dynamic_stack 0
		.amdhsa_system_sgpr_private_segment_wavefront_offset 0
		.amdhsa_system_sgpr_workgroup_id_x 1
		.amdhsa_system_sgpr_workgroup_id_y 0
		.amdhsa_system_sgpr_workgroup_id_z 0
		.amdhsa_system_sgpr_workgroup_info 0
		.amdhsa_system_vgpr_workitem_id 0
		.amdhsa_next_free_vgpr 8
		.amdhsa_next_free_sgpr 16
		.amdhsa_accum_offset 8
		.amdhsa_reserve_vcc 1
		.amdhsa_reserve_flat_scratch 0
		.amdhsa_float_round_mode_32 0
		.amdhsa_float_round_mode_16_64 0
		.amdhsa_float_denorm_mode_32 3
		.amdhsa_float_denorm_mode_16_64 3
		.amdhsa_dx10_clamp 1
		.amdhsa_ieee_mode 1
		.amdhsa_fp16_overflow 0
		.amdhsa_tg_split 0
		.amdhsa_exception_fp_ieee_invalid_op 0
		.amdhsa_exception_fp_denorm_src 0
		.amdhsa_exception_fp_ieee_div_zero 0
		.amdhsa_exception_fp_ieee_overflow 0
		.amdhsa_exception_fp_ieee_underflow 0
		.amdhsa_exception_fp_ieee_inexact 0
		.amdhsa_exception_int_div_zero 0
	.end_amdhsa_kernel
	.section	.text._ZN6thrust23THRUST_200600_302600_NS11hip_rocprim14__parallel_for6kernelILj256ENS1_20__uninitialized_copy7functorIPNS0_5tupleIblNS0_9null_typeES7_S7_S7_S7_S7_S7_S7_EENS0_7pointerIS8_NS1_3tagENS0_11use_defaultESC_EEEEmLj1EEEvT0_T1_SG_,"axG",@progbits,_ZN6thrust23THRUST_200600_302600_NS11hip_rocprim14__parallel_for6kernelILj256ENS1_20__uninitialized_copy7functorIPNS0_5tupleIblNS0_9null_typeES7_S7_S7_S7_S7_S7_S7_EENS0_7pointerIS8_NS1_3tagENS0_11use_defaultESC_EEEEmLj1EEEvT0_T1_SG_,comdat
.Lfunc_end125:
	.size	_ZN6thrust23THRUST_200600_302600_NS11hip_rocprim14__parallel_for6kernelILj256ENS1_20__uninitialized_copy7functorIPNS0_5tupleIblNS0_9null_typeES7_S7_S7_S7_S7_S7_S7_EENS0_7pointerIS8_NS1_3tagENS0_11use_defaultESC_EEEEmLj1EEEvT0_T1_SG_, .Lfunc_end125-_ZN6thrust23THRUST_200600_302600_NS11hip_rocprim14__parallel_for6kernelILj256ENS1_20__uninitialized_copy7functorIPNS0_5tupleIblNS0_9null_typeES7_S7_S7_S7_S7_S7_S7_EENS0_7pointerIS8_NS1_3tagENS0_11use_defaultESC_EEEEmLj1EEEvT0_T1_SG_
                                        ; -- End function
	.section	.AMDGPU.csdata,"",@progbits
; Kernel info:
; codeLenInByte = 220
; NumSgprs: 20
; NumVgprs: 8
; NumAgprs: 0
; TotalNumVgprs: 8
; ScratchSize: 0
; MemoryBound: 0
; FloatMode: 240
; IeeeMode: 1
; LDSByteSize: 0 bytes/workgroup (compile time only)
; SGPRBlocks: 2
; VGPRBlocks: 0
; NumSGPRsForWavesPerEU: 20
; NumVGPRsForWavesPerEU: 8
; AccumOffset: 8
; Occupancy: 8
; WaveLimiterHint : 0
; COMPUTE_PGM_RSRC2:SCRATCH_EN: 0
; COMPUTE_PGM_RSRC2:USER_SGPR: 6
; COMPUTE_PGM_RSRC2:TRAP_HANDLER: 0
; COMPUTE_PGM_RSRC2:TGID_X_EN: 1
; COMPUTE_PGM_RSRC2:TGID_Y_EN: 0
; COMPUTE_PGM_RSRC2:TGID_Z_EN: 0
; COMPUTE_PGM_RSRC2:TIDIG_COMP_CNT: 0
; COMPUTE_PGM_RSRC3_GFX90A:ACCUM_OFFSET: 1
; COMPUTE_PGM_RSRC3_GFX90A:TG_SPLIT: 0
	.section	.text._ZN7rocprim17ROCPRIM_400000_NS6detail17trampoline_kernelINS0_14default_configENS1_20scan_config_selectorIxEEZZNS1_9scan_implILNS1_25lookback_scan_determinismE0ELb1ELb1ES3_N6thrust23THRUST_200600_302600_NS6detail15normal_iteratorINS9_10device_ptrIxEEEESE_xNS9_4plusIvEExEEDaPvRmT3_T4_T5_mT6_P12ihipStream_tbENKUlT_T0_E_clISt17integral_constantIbLb0EESU_EEDaSP_SQ_EUlSP_E_NS1_11comp_targetILNS1_3genE0ELNS1_11target_archE4294967295ELNS1_3gpuE0ELNS1_3repE0EEENS1_30default_config_static_selectorELNS0_4arch9wavefront6targetE1EEEvT1_,"axG",@progbits,_ZN7rocprim17ROCPRIM_400000_NS6detail17trampoline_kernelINS0_14default_configENS1_20scan_config_selectorIxEEZZNS1_9scan_implILNS1_25lookback_scan_determinismE0ELb1ELb1ES3_N6thrust23THRUST_200600_302600_NS6detail15normal_iteratorINS9_10device_ptrIxEEEESE_xNS9_4plusIvEExEEDaPvRmT3_T4_T5_mT6_P12ihipStream_tbENKUlT_T0_E_clISt17integral_constantIbLb0EESU_EEDaSP_SQ_EUlSP_E_NS1_11comp_targetILNS1_3genE0ELNS1_11target_archE4294967295ELNS1_3gpuE0ELNS1_3repE0EEENS1_30default_config_static_selectorELNS0_4arch9wavefront6targetE1EEEvT1_,comdat
	.protected	_ZN7rocprim17ROCPRIM_400000_NS6detail17trampoline_kernelINS0_14default_configENS1_20scan_config_selectorIxEEZZNS1_9scan_implILNS1_25lookback_scan_determinismE0ELb1ELb1ES3_N6thrust23THRUST_200600_302600_NS6detail15normal_iteratorINS9_10device_ptrIxEEEESE_xNS9_4plusIvEExEEDaPvRmT3_T4_T5_mT6_P12ihipStream_tbENKUlT_T0_E_clISt17integral_constantIbLb0EESU_EEDaSP_SQ_EUlSP_E_NS1_11comp_targetILNS1_3genE0ELNS1_11target_archE4294967295ELNS1_3gpuE0ELNS1_3repE0EEENS1_30default_config_static_selectorELNS0_4arch9wavefront6targetE1EEEvT1_ ; -- Begin function _ZN7rocprim17ROCPRIM_400000_NS6detail17trampoline_kernelINS0_14default_configENS1_20scan_config_selectorIxEEZZNS1_9scan_implILNS1_25lookback_scan_determinismE0ELb1ELb1ES3_N6thrust23THRUST_200600_302600_NS6detail15normal_iteratorINS9_10device_ptrIxEEEESE_xNS9_4plusIvEExEEDaPvRmT3_T4_T5_mT6_P12ihipStream_tbENKUlT_T0_E_clISt17integral_constantIbLb0EESU_EEDaSP_SQ_EUlSP_E_NS1_11comp_targetILNS1_3genE0ELNS1_11target_archE4294967295ELNS1_3gpuE0ELNS1_3repE0EEENS1_30default_config_static_selectorELNS0_4arch9wavefront6targetE1EEEvT1_
	.globl	_ZN7rocprim17ROCPRIM_400000_NS6detail17trampoline_kernelINS0_14default_configENS1_20scan_config_selectorIxEEZZNS1_9scan_implILNS1_25lookback_scan_determinismE0ELb1ELb1ES3_N6thrust23THRUST_200600_302600_NS6detail15normal_iteratorINS9_10device_ptrIxEEEESE_xNS9_4plusIvEExEEDaPvRmT3_T4_T5_mT6_P12ihipStream_tbENKUlT_T0_E_clISt17integral_constantIbLb0EESU_EEDaSP_SQ_EUlSP_E_NS1_11comp_targetILNS1_3genE0ELNS1_11target_archE4294967295ELNS1_3gpuE0ELNS1_3repE0EEENS1_30default_config_static_selectorELNS0_4arch9wavefront6targetE1EEEvT1_
	.p2align	8
	.type	_ZN7rocprim17ROCPRIM_400000_NS6detail17trampoline_kernelINS0_14default_configENS1_20scan_config_selectorIxEEZZNS1_9scan_implILNS1_25lookback_scan_determinismE0ELb1ELb1ES3_N6thrust23THRUST_200600_302600_NS6detail15normal_iteratorINS9_10device_ptrIxEEEESE_xNS9_4plusIvEExEEDaPvRmT3_T4_T5_mT6_P12ihipStream_tbENKUlT_T0_E_clISt17integral_constantIbLb0EESU_EEDaSP_SQ_EUlSP_E_NS1_11comp_targetILNS1_3genE0ELNS1_11target_archE4294967295ELNS1_3gpuE0ELNS1_3repE0EEENS1_30default_config_static_selectorELNS0_4arch9wavefront6targetE1EEEvT1_,@function
_ZN7rocprim17ROCPRIM_400000_NS6detail17trampoline_kernelINS0_14default_configENS1_20scan_config_selectorIxEEZZNS1_9scan_implILNS1_25lookback_scan_determinismE0ELb1ELb1ES3_N6thrust23THRUST_200600_302600_NS6detail15normal_iteratorINS9_10device_ptrIxEEEESE_xNS9_4plusIvEExEEDaPvRmT3_T4_T5_mT6_P12ihipStream_tbENKUlT_T0_E_clISt17integral_constantIbLb0EESU_EEDaSP_SQ_EUlSP_E_NS1_11comp_targetILNS1_3genE0ELNS1_11target_archE4294967295ELNS1_3gpuE0ELNS1_3repE0EEENS1_30default_config_static_selectorELNS0_4arch9wavefront6targetE1EEEvT1_: ; @_ZN7rocprim17ROCPRIM_400000_NS6detail17trampoline_kernelINS0_14default_configENS1_20scan_config_selectorIxEEZZNS1_9scan_implILNS1_25lookback_scan_determinismE0ELb1ELb1ES3_N6thrust23THRUST_200600_302600_NS6detail15normal_iteratorINS9_10device_ptrIxEEEESE_xNS9_4plusIvEExEEDaPvRmT3_T4_T5_mT6_P12ihipStream_tbENKUlT_T0_E_clISt17integral_constantIbLb0EESU_EEDaSP_SQ_EUlSP_E_NS1_11comp_targetILNS1_3genE0ELNS1_11target_archE4294967295ELNS1_3gpuE0ELNS1_3repE0EEENS1_30default_config_static_selectorELNS0_4arch9wavefront6targetE1EEEvT1_
; %bb.0:
	.section	.rodata,"a",@progbits
	.p2align	6, 0x0
	.amdhsa_kernel _ZN7rocprim17ROCPRIM_400000_NS6detail17trampoline_kernelINS0_14default_configENS1_20scan_config_selectorIxEEZZNS1_9scan_implILNS1_25lookback_scan_determinismE0ELb1ELb1ES3_N6thrust23THRUST_200600_302600_NS6detail15normal_iteratorINS9_10device_ptrIxEEEESE_xNS9_4plusIvEExEEDaPvRmT3_T4_T5_mT6_P12ihipStream_tbENKUlT_T0_E_clISt17integral_constantIbLb0EESU_EEDaSP_SQ_EUlSP_E_NS1_11comp_targetILNS1_3genE0ELNS1_11target_archE4294967295ELNS1_3gpuE0ELNS1_3repE0EEENS1_30default_config_static_selectorELNS0_4arch9wavefront6targetE1EEEvT1_
		.amdhsa_group_segment_fixed_size 0
		.amdhsa_private_segment_fixed_size 0
		.amdhsa_kernarg_size 104
		.amdhsa_user_sgpr_count 6
		.amdhsa_user_sgpr_private_segment_buffer 1
		.amdhsa_user_sgpr_dispatch_ptr 0
		.amdhsa_user_sgpr_queue_ptr 0
		.amdhsa_user_sgpr_kernarg_segment_ptr 1
		.amdhsa_user_sgpr_dispatch_id 0
		.amdhsa_user_sgpr_flat_scratch_init 0
		.amdhsa_user_sgpr_kernarg_preload_length 0
		.amdhsa_user_sgpr_kernarg_preload_offset 0
		.amdhsa_user_sgpr_private_segment_size 0
		.amdhsa_uses_dynamic_stack 0
		.amdhsa_system_sgpr_private_segment_wavefront_offset 0
		.amdhsa_system_sgpr_workgroup_id_x 1
		.amdhsa_system_sgpr_workgroup_id_y 0
		.amdhsa_system_sgpr_workgroup_id_z 0
		.amdhsa_system_sgpr_workgroup_info 0
		.amdhsa_system_vgpr_workitem_id 0
		.amdhsa_next_free_vgpr 1
		.amdhsa_next_free_sgpr 0
		.amdhsa_accum_offset 4
		.amdhsa_reserve_vcc 0
		.amdhsa_reserve_flat_scratch 0
		.amdhsa_float_round_mode_32 0
		.amdhsa_float_round_mode_16_64 0
		.amdhsa_float_denorm_mode_32 3
		.amdhsa_float_denorm_mode_16_64 3
		.amdhsa_dx10_clamp 1
		.amdhsa_ieee_mode 1
		.amdhsa_fp16_overflow 0
		.amdhsa_tg_split 0
		.amdhsa_exception_fp_ieee_invalid_op 0
		.amdhsa_exception_fp_denorm_src 0
		.amdhsa_exception_fp_ieee_div_zero 0
		.amdhsa_exception_fp_ieee_overflow 0
		.amdhsa_exception_fp_ieee_underflow 0
		.amdhsa_exception_fp_ieee_inexact 0
		.amdhsa_exception_int_div_zero 0
	.end_amdhsa_kernel
	.section	.text._ZN7rocprim17ROCPRIM_400000_NS6detail17trampoline_kernelINS0_14default_configENS1_20scan_config_selectorIxEEZZNS1_9scan_implILNS1_25lookback_scan_determinismE0ELb1ELb1ES3_N6thrust23THRUST_200600_302600_NS6detail15normal_iteratorINS9_10device_ptrIxEEEESE_xNS9_4plusIvEExEEDaPvRmT3_T4_T5_mT6_P12ihipStream_tbENKUlT_T0_E_clISt17integral_constantIbLb0EESU_EEDaSP_SQ_EUlSP_E_NS1_11comp_targetILNS1_3genE0ELNS1_11target_archE4294967295ELNS1_3gpuE0ELNS1_3repE0EEENS1_30default_config_static_selectorELNS0_4arch9wavefront6targetE1EEEvT1_,"axG",@progbits,_ZN7rocprim17ROCPRIM_400000_NS6detail17trampoline_kernelINS0_14default_configENS1_20scan_config_selectorIxEEZZNS1_9scan_implILNS1_25lookback_scan_determinismE0ELb1ELb1ES3_N6thrust23THRUST_200600_302600_NS6detail15normal_iteratorINS9_10device_ptrIxEEEESE_xNS9_4plusIvEExEEDaPvRmT3_T4_T5_mT6_P12ihipStream_tbENKUlT_T0_E_clISt17integral_constantIbLb0EESU_EEDaSP_SQ_EUlSP_E_NS1_11comp_targetILNS1_3genE0ELNS1_11target_archE4294967295ELNS1_3gpuE0ELNS1_3repE0EEENS1_30default_config_static_selectorELNS0_4arch9wavefront6targetE1EEEvT1_,comdat
.Lfunc_end126:
	.size	_ZN7rocprim17ROCPRIM_400000_NS6detail17trampoline_kernelINS0_14default_configENS1_20scan_config_selectorIxEEZZNS1_9scan_implILNS1_25lookback_scan_determinismE0ELb1ELb1ES3_N6thrust23THRUST_200600_302600_NS6detail15normal_iteratorINS9_10device_ptrIxEEEESE_xNS9_4plusIvEExEEDaPvRmT3_T4_T5_mT6_P12ihipStream_tbENKUlT_T0_E_clISt17integral_constantIbLb0EESU_EEDaSP_SQ_EUlSP_E_NS1_11comp_targetILNS1_3genE0ELNS1_11target_archE4294967295ELNS1_3gpuE0ELNS1_3repE0EEENS1_30default_config_static_selectorELNS0_4arch9wavefront6targetE1EEEvT1_, .Lfunc_end126-_ZN7rocprim17ROCPRIM_400000_NS6detail17trampoline_kernelINS0_14default_configENS1_20scan_config_selectorIxEEZZNS1_9scan_implILNS1_25lookback_scan_determinismE0ELb1ELb1ES3_N6thrust23THRUST_200600_302600_NS6detail15normal_iteratorINS9_10device_ptrIxEEEESE_xNS9_4plusIvEExEEDaPvRmT3_T4_T5_mT6_P12ihipStream_tbENKUlT_T0_E_clISt17integral_constantIbLb0EESU_EEDaSP_SQ_EUlSP_E_NS1_11comp_targetILNS1_3genE0ELNS1_11target_archE4294967295ELNS1_3gpuE0ELNS1_3repE0EEENS1_30default_config_static_selectorELNS0_4arch9wavefront6targetE1EEEvT1_
                                        ; -- End function
	.section	.AMDGPU.csdata,"",@progbits
; Kernel info:
; codeLenInByte = 0
; NumSgprs: 4
; NumVgprs: 0
; NumAgprs: 0
; TotalNumVgprs: 0
; ScratchSize: 0
; MemoryBound: 0
; FloatMode: 240
; IeeeMode: 1
; LDSByteSize: 0 bytes/workgroup (compile time only)
; SGPRBlocks: 0
; VGPRBlocks: 0
; NumSGPRsForWavesPerEU: 4
; NumVGPRsForWavesPerEU: 1
; AccumOffset: 4
; Occupancy: 8
; WaveLimiterHint : 0
; COMPUTE_PGM_RSRC2:SCRATCH_EN: 0
; COMPUTE_PGM_RSRC2:USER_SGPR: 6
; COMPUTE_PGM_RSRC2:TRAP_HANDLER: 0
; COMPUTE_PGM_RSRC2:TGID_X_EN: 1
; COMPUTE_PGM_RSRC2:TGID_Y_EN: 0
; COMPUTE_PGM_RSRC2:TGID_Z_EN: 0
; COMPUTE_PGM_RSRC2:TIDIG_COMP_CNT: 0
; COMPUTE_PGM_RSRC3_GFX90A:ACCUM_OFFSET: 0
; COMPUTE_PGM_RSRC3_GFX90A:TG_SPLIT: 0
	.section	.text._ZN7rocprim17ROCPRIM_400000_NS6detail17trampoline_kernelINS0_14default_configENS1_20scan_config_selectorIxEEZZNS1_9scan_implILNS1_25lookback_scan_determinismE0ELb1ELb1ES3_N6thrust23THRUST_200600_302600_NS6detail15normal_iteratorINS9_10device_ptrIxEEEESE_xNS9_4plusIvEExEEDaPvRmT3_T4_T5_mT6_P12ihipStream_tbENKUlT_T0_E_clISt17integral_constantIbLb0EESU_EEDaSP_SQ_EUlSP_E_NS1_11comp_targetILNS1_3genE5ELNS1_11target_archE942ELNS1_3gpuE9ELNS1_3repE0EEENS1_30default_config_static_selectorELNS0_4arch9wavefront6targetE1EEEvT1_,"axG",@progbits,_ZN7rocprim17ROCPRIM_400000_NS6detail17trampoline_kernelINS0_14default_configENS1_20scan_config_selectorIxEEZZNS1_9scan_implILNS1_25lookback_scan_determinismE0ELb1ELb1ES3_N6thrust23THRUST_200600_302600_NS6detail15normal_iteratorINS9_10device_ptrIxEEEESE_xNS9_4plusIvEExEEDaPvRmT3_T4_T5_mT6_P12ihipStream_tbENKUlT_T0_E_clISt17integral_constantIbLb0EESU_EEDaSP_SQ_EUlSP_E_NS1_11comp_targetILNS1_3genE5ELNS1_11target_archE942ELNS1_3gpuE9ELNS1_3repE0EEENS1_30default_config_static_selectorELNS0_4arch9wavefront6targetE1EEEvT1_,comdat
	.protected	_ZN7rocprim17ROCPRIM_400000_NS6detail17trampoline_kernelINS0_14default_configENS1_20scan_config_selectorIxEEZZNS1_9scan_implILNS1_25lookback_scan_determinismE0ELb1ELb1ES3_N6thrust23THRUST_200600_302600_NS6detail15normal_iteratorINS9_10device_ptrIxEEEESE_xNS9_4plusIvEExEEDaPvRmT3_T4_T5_mT6_P12ihipStream_tbENKUlT_T0_E_clISt17integral_constantIbLb0EESU_EEDaSP_SQ_EUlSP_E_NS1_11comp_targetILNS1_3genE5ELNS1_11target_archE942ELNS1_3gpuE9ELNS1_3repE0EEENS1_30default_config_static_selectorELNS0_4arch9wavefront6targetE1EEEvT1_ ; -- Begin function _ZN7rocprim17ROCPRIM_400000_NS6detail17trampoline_kernelINS0_14default_configENS1_20scan_config_selectorIxEEZZNS1_9scan_implILNS1_25lookback_scan_determinismE0ELb1ELb1ES3_N6thrust23THRUST_200600_302600_NS6detail15normal_iteratorINS9_10device_ptrIxEEEESE_xNS9_4plusIvEExEEDaPvRmT3_T4_T5_mT6_P12ihipStream_tbENKUlT_T0_E_clISt17integral_constantIbLb0EESU_EEDaSP_SQ_EUlSP_E_NS1_11comp_targetILNS1_3genE5ELNS1_11target_archE942ELNS1_3gpuE9ELNS1_3repE0EEENS1_30default_config_static_selectorELNS0_4arch9wavefront6targetE1EEEvT1_
	.globl	_ZN7rocprim17ROCPRIM_400000_NS6detail17trampoline_kernelINS0_14default_configENS1_20scan_config_selectorIxEEZZNS1_9scan_implILNS1_25lookback_scan_determinismE0ELb1ELb1ES3_N6thrust23THRUST_200600_302600_NS6detail15normal_iteratorINS9_10device_ptrIxEEEESE_xNS9_4plusIvEExEEDaPvRmT3_T4_T5_mT6_P12ihipStream_tbENKUlT_T0_E_clISt17integral_constantIbLb0EESU_EEDaSP_SQ_EUlSP_E_NS1_11comp_targetILNS1_3genE5ELNS1_11target_archE942ELNS1_3gpuE9ELNS1_3repE0EEENS1_30default_config_static_selectorELNS0_4arch9wavefront6targetE1EEEvT1_
	.p2align	8
	.type	_ZN7rocprim17ROCPRIM_400000_NS6detail17trampoline_kernelINS0_14default_configENS1_20scan_config_selectorIxEEZZNS1_9scan_implILNS1_25lookback_scan_determinismE0ELb1ELb1ES3_N6thrust23THRUST_200600_302600_NS6detail15normal_iteratorINS9_10device_ptrIxEEEESE_xNS9_4plusIvEExEEDaPvRmT3_T4_T5_mT6_P12ihipStream_tbENKUlT_T0_E_clISt17integral_constantIbLb0EESU_EEDaSP_SQ_EUlSP_E_NS1_11comp_targetILNS1_3genE5ELNS1_11target_archE942ELNS1_3gpuE9ELNS1_3repE0EEENS1_30default_config_static_selectorELNS0_4arch9wavefront6targetE1EEEvT1_,@function
_ZN7rocprim17ROCPRIM_400000_NS6detail17trampoline_kernelINS0_14default_configENS1_20scan_config_selectorIxEEZZNS1_9scan_implILNS1_25lookback_scan_determinismE0ELb1ELb1ES3_N6thrust23THRUST_200600_302600_NS6detail15normal_iteratorINS9_10device_ptrIxEEEESE_xNS9_4plusIvEExEEDaPvRmT3_T4_T5_mT6_P12ihipStream_tbENKUlT_T0_E_clISt17integral_constantIbLb0EESU_EEDaSP_SQ_EUlSP_E_NS1_11comp_targetILNS1_3genE5ELNS1_11target_archE942ELNS1_3gpuE9ELNS1_3repE0EEENS1_30default_config_static_selectorELNS0_4arch9wavefront6targetE1EEEvT1_: ; @_ZN7rocprim17ROCPRIM_400000_NS6detail17trampoline_kernelINS0_14default_configENS1_20scan_config_selectorIxEEZZNS1_9scan_implILNS1_25lookback_scan_determinismE0ELb1ELb1ES3_N6thrust23THRUST_200600_302600_NS6detail15normal_iteratorINS9_10device_ptrIxEEEESE_xNS9_4plusIvEExEEDaPvRmT3_T4_T5_mT6_P12ihipStream_tbENKUlT_T0_E_clISt17integral_constantIbLb0EESU_EEDaSP_SQ_EUlSP_E_NS1_11comp_targetILNS1_3genE5ELNS1_11target_archE942ELNS1_3gpuE9ELNS1_3repE0EEENS1_30default_config_static_selectorELNS0_4arch9wavefront6targetE1EEEvT1_
; %bb.0:
	.section	.rodata,"a",@progbits
	.p2align	6, 0x0
	.amdhsa_kernel _ZN7rocprim17ROCPRIM_400000_NS6detail17trampoline_kernelINS0_14default_configENS1_20scan_config_selectorIxEEZZNS1_9scan_implILNS1_25lookback_scan_determinismE0ELb1ELb1ES3_N6thrust23THRUST_200600_302600_NS6detail15normal_iteratorINS9_10device_ptrIxEEEESE_xNS9_4plusIvEExEEDaPvRmT3_T4_T5_mT6_P12ihipStream_tbENKUlT_T0_E_clISt17integral_constantIbLb0EESU_EEDaSP_SQ_EUlSP_E_NS1_11comp_targetILNS1_3genE5ELNS1_11target_archE942ELNS1_3gpuE9ELNS1_3repE0EEENS1_30default_config_static_selectorELNS0_4arch9wavefront6targetE1EEEvT1_
		.amdhsa_group_segment_fixed_size 0
		.amdhsa_private_segment_fixed_size 0
		.amdhsa_kernarg_size 104
		.amdhsa_user_sgpr_count 6
		.amdhsa_user_sgpr_private_segment_buffer 1
		.amdhsa_user_sgpr_dispatch_ptr 0
		.amdhsa_user_sgpr_queue_ptr 0
		.amdhsa_user_sgpr_kernarg_segment_ptr 1
		.amdhsa_user_sgpr_dispatch_id 0
		.amdhsa_user_sgpr_flat_scratch_init 0
		.amdhsa_user_sgpr_kernarg_preload_length 0
		.amdhsa_user_sgpr_kernarg_preload_offset 0
		.amdhsa_user_sgpr_private_segment_size 0
		.amdhsa_uses_dynamic_stack 0
		.amdhsa_system_sgpr_private_segment_wavefront_offset 0
		.amdhsa_system_sgpr_workgroup_id_x 1
		.amdhsa_system_sgpr_workgroup_id_y 0
		.amdhsa_system_sgpr_workgroup_id_z 0
		.amdhsa_system_sgpr_workgroup_info 0
		.amdhsa_system_vgpr_workitem_id 0
		.amdhsa_next_free_vgpr 1
		.amdhsa_next_free_sgpr 0
		.amdhsa_accum_offset 4
		.amdhsa_reserve_vcc 0
		.amdhsa_reserve_flat_scratch 0
		.amdhsa_float_round_mode_32 0
		.amdhsa_float_round_mode_16_64 0
		.amdhsa_float_denorm_mode_32 3
		.amdhsa_float_denorm_mode_16_64 3
		.amdhsa_dx10_clamp 1
		.amdhsa_ieee_mode 1
		.amdhsa_fp16_overflow 0
		.amdhsa_tg_split 0
		.amdhsa_exception_fp_ieee_invalid_op 0
		.amdhsa_exception_fp_denorm_src 0
		.amdhsa_exception_fp_ieee_div_zero 0
		.amdhsa_exception_fp_ieee_overflow 0
		.amdhsa_exception_fp_ieee_underflow 0
		.amdhsa_exception_fp_ieee_inexact 0
		.amdhsa_exception_int_div_zero 0
	.end_amdhsa_kernel
	.section	.text._ZN7rocprim17ROCPRIM_400000_NS6detail17trampoline_kernelINS0_14default_configENS1_20scan_config_selectorIxEEZZNS1_9scan_implILNS1_25lookback_scan_determinismE0ELb1ELb1ES3_N6thrust23THRUST_200600_302600_NS6detail15normal_iteratorINS9_10device_ptrIxEEEESE_xNS9_4plusIvEExEEDaPvRmT3_T4_T5_mT6_P12ihipStream_tbENKUlT_T0_E_clISt17integral_constantIbLb0EESU_EEDaSP_SQ_EUlSP_E_NS1_11comp_targetILNS1_3genE5ELNS1_11target_archE942ELNS1_3gpuE9ELNS1_3repE0EEENS1_30default_config_static_selectorELNS0_4arch9wavefront6targetE1EEEvT1_,"axG",@progbits,_ZN7rocprim17ROCPRIM_400000_NS6detail17trampoline_kernelINS0_14default_configENS1_20scan_config_selectorIxEEZZNS1_9scan_implILNS1_25lookback_scan_determinismE0ELb1ELb1ES3_N6thrust23THRUST_200600_302600_NS6detail15normal_iteratorINS9_10device_ptrIxEEEESE_xNS9_4plusIvEExEEDaPvRmT3_T4_T5_mT6_P12ihipStream_tbENKUlT_T0_E_clISt17integral_constantIbLb0EESU_EEDaSP_SQ_EUlSP_E_NS1_11comp_targetILNS1_3genE5ELNS1_11target_archE942ELNS1_3gpuE9ELNS1_3repE0EEENS1_30default_config_static_selectorELNS0_4arch9wavefront6targetE1EEEvT1_,comdat
.Lfunc_end127:
	.size	_ZN7rocprim17ROCPRIM_400000_NS6detail17trampoline_kernelINS0_14default_configENS1_20scan_config_selectorIxEEZZNS1_9scan_implILNS1_25lookback_scan_determinismE0ELb1ELb1ES3_N6thrust23THRUST_200600_302600_NS6detail15normal_iteratorINS9_10device_ptrIxEEEESE_xNS9_4plusIvEExEEDaPvRmT3_T4_T5_mT6_P12ihipStream_tbENKUlT_T0_E_clISt17integral_constantIbLb0EESU_EEDaSP_SQ_EUlSP_E_NS1_11comp_targetILNS1_3genE5ELNS1_11target_archE942ELNS1_3gpuE9ELNS1_3repE0EEENS1_30default_config_static_selectorELNS0_4arch9wavefront6targetE1EEEvT1_, .Lfunc_end127-_ZN7rocprim17ROCPRIM_400000_NS6detail17trampoline_kernelINS0_14default_configENS1_20scan_config_selectorIxEEZZNS1_9scan_implILNS1_25lookback_scan_determinismE0ELb1ELb1ES3_N6thrust23THRUST_200600_302600_NS6detail15normal_iteratorINS9_10device_ptrIxEEEESE_xNS9_4plusIvEExEEDaPvRmT3_T4_T5_mT6_P12ihipStream_tbENKUlT_T0_E_clISt17integral_constantIbLb0EESU_EEDaSP_SQ_EUlSP_E_NS1_11comp_targetILNS1_3genE5ELNS1_11target_archE942ELNS1_3gpuE9ELNS1_3repE0EEENS1_30default_config_static_selectorELNS0_4arch9wavefront6targetE1EEEvT1_
                                        ; -- End function
	.section	.AMDGPU.csdata,"",@progbits
; Kernel info:
; codeLenInByte = 0
; NumSgprs: 4
; NumVgprs: 0
; NumAgprs: 0
; TotalNumVgprs: 0
; ScratchSize: 0
; MemoryBound: 0
; FloatMode: 240
; IeeeMode: 1
; LDSByteSize: 0 bytes/workgroup (compile time only)
; SGPRBlocks: 0
; VGPRBlocks: 0
; NumSGPRsForWavesPerEU: 4
; NumVGPRsForWavesPerEU: 1
; AccumOffset: 4
; Occupancy: 8
; WaveLimiterHint : 0
; COMPUTE_PGM_RSRC2:SCRATCH_EN: 0
; COMPUTE_PGM_RSRC2:USER_SGPR: 6
; COMPUTE_PGM_RSRC2:TRAP_HANDLER: 0
; COMPUTE_PGM_RSRC2:TGID_X_EN: 1
; COMPUTE_PGM_RSRC2:TGID_Y_EN: 0
; COMPUTE_PGM_RSRC2:TGID_Z_EN: 0
; COMPUTE_PGM_RSRC2:TIDIG_COMP_CNT: 0
; COMPUTE_PGM_RSRC3_GFX90A:ACCUM_OFFSET: 0
; COMPUTE_PGM_RSRC3_GFX90A:TG_SPLIT: 0
	.section	.text._ZN7rocprim17ROCPRIM_400000_NS6detail17trampoline_kernelINS0_14default_configENS1_20scan_config_selectorIxEEZZNS1_9scan_implILNS1_25lookback_scan_determinismE0ELb1ELb1ES3_N6thrust23THRUST_200600_302600_NS6detail15normal_iteratorINS9_10device_ptrIxEEEESE_xNS9_4plusIvEExEEDaPvRmT3_T4_T5_mT6_P12ihipStream_tbENKUlT_T0_E_clISt17integral_constantIbLb0EESU_EEDaSP_SQ_EUlSP_E_NS1_11comp_targetILNS1_3genE4ELNS1_11target_archE910ELNS1_3gpuE8ELNS1_3repE0EEENS1_30default_config_static_selectorELNS0_4arch9wavefront6targetE1EEEvT1_,"axG",@progbits,_ZN7rocprim17ROCPRIM_400000_NS6detail17trampoline_kernelINS0_14default_configENS1_20scan_config_selectorIxEEZZNS1_9scan_implILNS1_25lookback_scan_determinismE0ELb1ELb1ES3_N6thrust23THRUST_200600_302600_NS6detail15normal_iteratorINS9_10device_ptrIxEEEESE_xNS9_4plusIvEExEEDaPvRmT3_T4_T5_mT6_P12ihipStream_tbENKUlT_T0_E_clISt17integral_constantIbLb0EESU_EEDaSP_SQ_EUlSP_E_NS1_11comp_targetILNS1_3genE4ELNS1_11target_archE910ELNS1_3gpuE8ELNS1_3repE0EEENS1_30default_config_static_selectorELNS0_4arch9wavefront6targetE1EEEvT1_,comdat
	.protected	_ZN7rocprim17ROCPRIM_400000_NS6detail17trampoline_kernelINS0_14default_configENS1_20scan_config_selectorIxEEZZNS1_9scan_implILNS1_25lookback_scan_determinismE0ELb1ELb1ES3_N6thrust23THRUST_200600_302600_NS6detail15normal_iteratorINS9_10device_ptrIxEEEESE_xNS9_4plusIvEExEEDaPvRmT3_T4_T5_mT6_P12ihipStream_tbENKUlT_T0_E_clISt17integral_constantIbLb0EESU_EEDaSP_SQ_EUlSP_E_NS1_11comp_targetILNS1_3genE4ELNS1_11target_archE910ELNS1_3gpuE8ELNS1_3repE0EEENS1_30default_config_static_selectorELNS0_4arch9wavefront6targetE1EEEvT1_ ; -- Begin function _ZN7rocprim17ROCPRIM_400000_NS6detail17trampoline_kernelINS0_14default_configENS1_20scan_config_selectorIxEEZZNS1_9scan_implILNS1_25lookback_scan_determinismE0ELb1ELb1ES3_N6thrust23THRUST_200600_302600_NS6detail15normal_iteratorINS9_10device_ptrIxEEEESE_xNS9_4plusIvEExEEDaPvRmT3_T4_T5_mT6_P12ihipStream_tbENKUlT_T0_E_clISt17integral_constantIbLb0EESU_EEDaSP_SQ_EUlSP_E_NS1_11comp_targetILNS1_3genE4ELNS1_11target_archE910ELNS1_3gpuE8ELNS1_3repE0EEENS1_30default_config_static_selectorELNS0_4arch9wavefront6targetE1EEEvT1_
	.globl	_ZN7rocprim17ROCPRIM_400000_NS6detail17trampoline_kernelINS0_14default_configENS1_20scan_config_selectorIxEEZZNS1_9scan_implILNS1_25lookback_scan_determinismE0ELb1ELb1ES3_N6thrust23THRUST_200600_302600_NS6detail15normal_iteratorINS9_10device_ptrIxEEEESE_xNS9_4plusIvEExEEDaPvRmT3_T4_T5_mT6_P12ihipStream_tbENKUlT_T0_E_clISt17integral_constantIbLb0EESU_EEDaSP_SQ_EUlSP_E_NS1_11comp_targetILNS1_3genE4ELNS1_11target_archE910ELNS1_3gpuE8ELNS1_3repE0EEENS1_30default_config_static_selectorELNS0_4arch9wavefront6targetE1EEEvT1_
	.p2align	8
	.type	_ZN7rocprim17ROCPRIM_400000_NS6detail17trampoline_kernelINS0_14default_configENS1_20scan_config_selectorIxEEZZNS1_9scan_implILNS1_25lookback_scan_determinismE0ELb1ELb1ES3_N6thrust23THRUST_200600_302600_NS6detail15normal_iteratorINS9_10device_ptrIxEEEESE_xNS9_4plusIvEExEEDaPvRmT3_T4_T5_mT6_P12ihipStream_tbENKUlT_T0_E_clISt17integral_constantIbLb0EESU_EEDaSP_SQ_EUlSP_E_NS1_11comp_targetILNS1_3genE4ELNS1_11target_archE910ELNS1_3gpuE8ELNS1_3repE0EEENS1_30default_config_static_selectorELNS0_4arch9wavefront6targetE1EEEvT1_,@function
_ZN7rocprim17ROCPRIM_400000_NS6detail17trampoline_kernelINS0_14default_configENS1_20scan_config_selectorIxEEZZNS1_9scan_implILNS1_25lookback_scan_determinismE0ELb1ELb1ES3_N6thrust23THRUST_200600_302600_NS6detail15normal_iteratorINS9_10device_ptrIxEEEESE_xNS9_4plusIvEExEEDaPvRmT3_T4_T5_mT6_P12ihipStream_tbENKUlT_T0_E_clISt17integral_constantIbLb0EESU_EEDaSP_SQ_EUlSP_E_NS1_11comp_targetILNS1_3genE4ELNS1_11target_archE910ELNS1_3gpuE8ELNS1_3repE0EEENS1_30default_config_static_selectorELNS0_4arch9wavefront6targetE1EEEvT1_: ; @_ZN7rocprim17ROCPRIM_400000_NS6detail17trampoline_kernelINS0_14default_configENS1_20scan_config_selectorIxEEZZNS1_9scan_implILNS1_25lookback_scan_determinismE0ELb1ELb1ES3_N6thrust23THRUST_200600_302600_NS6detail15normal_iteratorINS9_10device_ptrIxEEEESE_xNS9_4plusIvEExEEDaPvRmT3_T4_T5_mT6_P12ihipStream_tbENKUlT_T0_E_clISt17integral_constantIbLb0EESU_EEDaSP_SQ_EUlSP_E_NS1_11comp_targetILNS1_3genE4ELNS1_11target_archE910ELNS1_3gpuE8ELNS1_3repE0EEENS1_30default_config_static_selectorELNS0_4arch9wavefront6targetE1EEEvT1_
; %bb.0:
	s_load_dwordx8 s[8:15], s[4:5], 0x0
	s_load_dword s1, s[4:5], 0x38
	s_mul_i32 s0, s6, 0x380
	v_lshlrev_b32_e32 v36, 3, v0
	s_waitcnt lgkmcnt(0)
	s_lshl_b64 s[16:17], s[10:11], 3
	s_add_u32 s28, s8, s16
	s_addc_u32 s29, s9, s17
	s_add_i32 s2, s1, -1
	s_mul_i32 s3, s2, 0x380
	s_sub_u32 s26, s14, s3
	s_subb_u32 s27, s15, 0
	s_mov_b32 s1, 0
	s_cmp_lg_u32 s6, s2
	s_cselect_b64 s[14:15], -1, 0
	s_lshl_b64 s[18:19], s[0:1], 3
	s_add_u32 s2, s28, s18
	s_addc_u32 s3, s29, s19
	s_mov_b64 s[0:1], -1
	s_and_b64 vcc, exec, s[14:15]
	s_cbranch_vccz .LBB128_2
; %bb.1:
	v_mov_b32_e32 v1, s3
	v_add_co_u32_e32 v2, vcc, s2, v36
	v_addc_co_u32_e32 v3, vcc, 0, v1, vcc
	flat_load_dwordx2 v[4:5], v[2:3]
	flat_load_dwordx2 v[6:7], v[2:3] offset:1024
	flat_load_dwordx2 v[8:9], v[2:3] offset:2048
	;; [unrolled: 1-line block ×3, first 2 shown]
	v_add_co_u32_e32 v2, vcc, 0x1000, v2
	v_addc_co_u32_e32 v3, vcc, 0, v3, vcc
	flat_load_dwordx2 v[12:13], v[2:3]
	flat_load_dwordx2 v[14:15], v[2:3] offset:1024
	flat_load_dwordx2 v[16:17], v[2:3] offset:2048
	s_mov_b64 s[0:1], 0
	s_waitcnt vmcnt(0) lgkmcnt(0)
	ds_write2st64_b64 v36, v[4:5], v[6:7] offset1:2
	ds_write2st64_b64 v36, v[8:9], v[10:11] offset0:4 offset1:6
	ds_write2st64_b64 v36, v[12:13], v[14:15] offset0:8 offset1:10
	ds_write_b64 v36, v[16:17] offset:6144
	s_waitcnt lgkmcnt(0)
	s_barrier
.LBB128_2:
	s_load_dwordx2 s[22:23], s[4:5], 0x20
	s_load_dwordx2 s[20:21], s[4:5], 0x30
	s_andn2_b64 vcc, exec, s[0:1]
	v_cmp_gt_u32_e64 s[0:1], s26, v0
	s_cbranch_vccnz .LBB128_18
; %bb.3:
	v_pk_mov_b32 v[2:3], s[2:3], s[2:3] op_sel:[0,1]
	flat_load_dwordx2 v[2:3], v[2:3]
	s_waitcnt vmcnt(0) lgkmcnt(0)
	v_mov_b32_e32 v4, v2
	v_mov_b32_e32 v5, v3
	;; [unrolled: 1-line block ×10, first 2 shown]
	v_pk_mov_b32 v[18:19], v[14:15], v[14:15] op_sel:[0,1]
	v_pk_mov_b32 v[16:17], v[12:13], v[12:13] op_sel:[0,1]
	v_pk_mov_b32 v[14:15], v[10:11], v[10:11] op_sel:[0,1]
	v_pk_mov_b32 v[12:13], v[8:9], v[8:9] op_sel:[0,1]
	v_pk_mov_b32 v[10:11], v[6:7], v[6:7] op_sel:[0,1]
	v_pk_mov_b32 v[8:9], v[4:5], v[4:5] op_sel:[0,1]
	v_pk_mov_b32 v[6:7], v[2:3], v[2:3] op_sel:[0,1]
	v_pk_mov_b32 v[4:5], v[0:1], v[0:1] op_sel:[0,1]
	s_and_saveexec_b64 s[8:9], s[0:1]
	s_cbranch_execz .LBB128_5
; %bb.4:
	v_mov_b32_e32 v1, s3
	v_add_co_u32_e32 v4, vcc, s2, v36
	v_addc_co_u32_e32 v5, vcc, 0, v1, vcc
	flat_load_dwordx2 v[20:21], v[4:5]
	v_mov_b32_e32 v4, v2
	v_mov_b32_e32 v5, v3
	;; [unrolled: 1-line block ×10, first 2 shown]
	v_pk_mov_b32 v[18:19], v[14:15], v[14:15] op_sel:[0,1]
	v_pk_mov_b32 v[16:17], v[12:13], v[12:13] op_sel:[0,1]
	;; [unrolled: 1-line block ×8, first 2 shown]
	s_waitcnt vmcnt(0) lgkmcnt(0)
	v_pk_mov_b32 v[2:3], v[20:21], v[20:21] op_sel:[0,1]
.LBB128_5:
	s_or_b64 exec, exec, s[8:9]
	v_or_b32_e32 v1, 0x80, v0
	v_cmp_gt_u32_e32 vcc, s26, v1
	s_and_saveexec_b64 s[0:1], vcc
	s_cbranch_execz .LBB128_7
; %bb.6:
	v_mov_b32_e32 v1, s3
	v_add_co_u32_e32 v4, vcc, s2, v36
	v_addc_co_u32_e32 v5, vcc, 0, v1, vcc
	flat_load_dwordx2 v[6:7], v[4:5] offset:1024
.LBB128_7:
	s_or_b64 exec, exec, s[0:1]
	v_or_b32_e32 v1, 0x100, v0
	v_cmp_gt_u32_e32 vcc, s26, v1
	s_and_saveexec_b64 s[0:1], vcc
	s_cbranch_execz .LBB128_9
; %bb.8:
	v_mov_b32_e32 v1, s3
	v_add_co_u32_e32 v4, vcc, s2, v36
	v_addc_co_u32_e32 v5, vcc, 0, v1, vcc
	flat_load_dwordx2 v[8:9], v[4:5] offset:2048
.LBB128_9:
	s_or_b64 exec, exec, s[0:1]
	v_or_b32_e32 v1, 0x180, v0
	v_cmp_gt_u32_e32 vcc, s26, v1
	s_and_saveexec_b64 s[0:1], vcc
	s_cbranch_execz .LBB128_11
; %bb.10:
	v_mov_b32_e32 v1, s3
	v_add_co_u32_e32 v4, vcc, s2, v36
	v_addc_co_u32_e32 v5, vcc, 0, v1, vcc
	flat_load_dwordx2 v[10:11], v[4:5] offset:3072
.LBB128_11:
	s_or_b64 exec, exec, s[0:1]
	v_or_b32_e32 v1, 0x200, v0
	v_cmp_gt_u32_e32 vcc, s26, v1
	s_and_saveexec_b64 s[0:1], vcc
	s_cbranch_execz .LBB128_13
; %bb.12:
	v_lshlrev_b32_e32 v1, 3, v1
	v_mov_b32_e32 v5, s3
	v_add_co_u32_e32 v4, vcc, s2, v1
	v_addc_co_u32_e32 v5, vcc, 0, v5, vcc
	flat_load_dwordx2 v[12:13], v[4:5]
.LBB128_13:
	s_or_b64 exec, exec, s[0:1]
	v_or_b32_e32 v1, 0x280, v0
	v_cmp_gt_u32_e32 vcc, s26, v1
	s_and_saveexec_b64 s[0:1], vcc
	s_cbranch_execz .LBB128_15
; %bb.14:
	v_lshlrev_b32_e32 v1, 3, v1
	v_mov_b32_e32 v5, s3
	v_add_co_u32_e32 v4, vcc, s2, v1
	v_addc_co_u32_e32 v5, vcc, 0, v5, vcc
	flat_load_dwordx2 v[14:15], v[4:5]
.LBB128_15:
	;; [unrolled: 12-line block ×3, first 2 shown]
	s_or_b64 exec, exec, s[0:1]
	s_waitcnt vmcnt(0) lgkmcnt(0)
	ds_write2st64_b64 v36, v[2:3], v[6:7] offset1:2
	ds_write2st64_b64 v36, v[8:9], v[10:11] offset0:4 offset1:6
	ds_write2st64_b64 v36, v[12:13], v[14:15] offset0:8 offset1:10
	ds_write_b64 v36, v[16:17] offset:6144
	s_waitcnt lgkmcnt(0)
	s_barrier
.LBB128_18:
	v_mul_u32_u24_e32 v37, 7, v0
	v_lshlrev_b32_e32 v1, 3, v37
	s_waitcnt lgkmcnt(0)
	ds_read2_b64 v[10:13], v1 offset1:1
	ds_read2_b64 v[6:9], v1 offset0:2 offset1:3
	ds_read2_b64 v[2:5], v1 offset0:4 offset1:5
	ds_read_b64 v[26:27], v1 offset:48
	s_cmp_lg_u32 s6, 0
	v_lshrrev_b32_e32 v38, 5, v0
	v_cmp_gt_u32_e32 vcc, 64, v0
	s_waitcnt lgkmcnt(0)
	s_barrier
	s_cbranch_scc0 .LBB128_45
; %bb.19:
	v_add_co_u32_e64 v1, s[0:1], v12, v10
	v_addc_co_u32_e64 v14, s[0:1], v13, v11, s[0:1]
	v_add_co_u32_e64 v1, s[0:1], v1, v6
	v_addc_co_u32_e64 v14, s[0:1], v14, v7, s[0:1]
	;; [unrolled: 2-line block ×6, first 2 shown]
	v_add_lshl_u32 v1, v38, v0, 3
	ds_write_b64 v1, v[18:19]
	s_waitcnt lgkmcnt(0)
	s_barrier
	s_and_saveexec_b64 s[8:9], vcc
	s_cbranch_execz .LBB128_23
; %bb.20:
	v_lshlrev_b32_e32 v1, 1, v0
	v_lshrrev_b32_e32 v14, 4, v0
	v_add_lshl_u32 v20, v14, v1, 3
	ds_read2_b64 v[14:17], v20 offset1:1
	v_mbcnt_lo_u32_b32 v1, -1, 0
	s_waitcnt lgkmcnt(0)
	v_add_co_u32_e64 v21, s[0:1], v16, v14
	v_addc_co_u32_e64 v22, s[0:1], v17, v15, s[0:1]
	s_nop 0
	v_mov_b32_dpp v16, v21 row_shr:1 row_mask:0xf bank_mask:0xf
	v_add_co_u32_e64 v16, s[0:1], v21, v16
	v_addc_co_u32_e64 v24, s[0:1], 0, v22, s[0:1]
	v_mbcnt_hi_u32_b32 v17, -1, v1
	v_mov_b32_dpp v23, v22 row_shr:1 row_mask:0xf bank_mask:0xf
	v_add_co_u32_e64 v25, s[0:1], 0, v16
	v_and_b32_e32 v1, 15, v17
	v_addc_co_u32_e64 v23, s[0:1], v23, v24, s[0:1]
	v_cmp_eq_u32_e64 s[0:1], 0, v1
	v_cndmask_b32_e64 v16, v16, v21, s[0:1]
	v_cndmask_b32_e64 v23, v23, v22, s[0:1]
	v_cndmask_b32_e64 v24, v25, v21, s[0:1]
	v_mov_b32_dpp v25, v16 row_shr:2 row_mask:0xf bank_mask:0xf
	v_mov_b32_dpp v28, v23 row_shr:2 row_mask:0xf bank_mask:0xf
	v_add_co_u32_e64 v25, s[0:1], v25, v24
	v_addc_co_u32_e64 v28, s[0:1], v28, v23, s[0:1]
	v_cmp_lt_u32_e64 s[0:1], 1, v1
	v_cndmask_b32_e64 v16, v16, v25, s[0:1]
	v_cndmask_b32_e64 v23, v23, v28, s[0:1]
	v_cndmask_b32_e64 v24, v24, v25, s[0:1]
	v_mov_b32_dpp v25, v16 row_shr:4 row_mask:0xf bank_mask:0xf
	v_mov_b32_dpp v28, v23 row_shr:4 row_mask:0xf bank_mask:0xf
	v_add_co_u32_e64 v25, s[0:1], v25, v24
	v_addc_co_u32_e64 v28, s[0:1], v28, v23, s[0:1]
	v_cmp_lt_u32_e64 s[0:1], 3, v1
	v_cndmask_b32_e64 v16, v16, v25, s[0:1]
	v_cndmask_b32_e64 v23, v23, v28, s[0:1]
	v_cndmask_b32_e64 v24, v24, v25, s[0:1]
	v_mov_b32_dpp v25, v16 row_shr:8 row_mask:0xf bank_mask:0xf
	v_mov_b32_dpp v28, v23 row_shr:8 row_mask:0xf bank_mask:0xf
	v_add_co_u32_e64 v25, s[0:1], v25, v24
	v_addc_co_u32_e64 v28, s[0:1], v28, v23, s[0:1]
	v_cmp_lt_u32_e64 s[0:1], 7, v1
	v_cndmask_b32_e64 v29, v16, v25, s[0:1]
	v_cndmask_b32_e64 v1, v23, v28, s[0:1]
	;; [unrolled: 1-line block ×3, first 2 shown]
	v_mov_b32_dpp v23, v29 row_bcast:15 row_mask:0xf bank_mask:0xf
	v_mov_b32_dpp v24, v1 row_bcast:15 row_mask:0xf bank_mask:0xf
	v_add_co_u32_e64 v23, s[0:1], v23, v16
	v_and_b32_e32 v28, 16, v17
	v_addc_co_u32_e64 v25, s[0:1], v24, v1, s[0:1]
	v_cmp_eq_u32_e64 s[0:1], 0, v28
	v_cndmask_b32_e64 v28, v25, v1, s[0:1]
	v_cndmask_b32_e64 v24, v23, v29, s[0:1]
	v_cmp_ne_u32_e64 s[2:3], 0, v17
	v_mov_b32_dpp v28, v28 row_bcast:31 row_mask:0xf bank_mask:0xf
	v_mov_b32_dpp v24, v24 row_bcast:31 row_mask:0xf bank_mask:0xf
	s_and_saveexec_b64 s[10:11], s[2:3]
; %bb.21:
	v_cndmask_b32_e64 v1, v25, v1, s[0:1]
	v_cndmask_b32_e64 v16, v23, v16, s[0:1]
	v_cmp_lt_u32_e64 s[0:1], 31, v17
	v_cndmask_b32_e64 v21, 0, v24, s[0:1]
	v_cndmask_b32_e64 v22, 0, v28, s[0:1]
	v_add_co_u32_e64 v21, s[0:1], v21, v16
	v_addc_co_u32_e64 v22, s[0:1], v22, v1, s[0:1]
; %bb.22:
	s_or_b64 exec, exec, s[10:11]
	v_add_u32_e32 v1, -1, v17
	v_and_b32_e32 v16, 64, v17
	v_cmp_lt_i32_e64 s[0:1], v1, v16
	v_cndmask_b32_e64 v1, v1, v17, s[0:1]
	v_lshlrev_b32_e32 v1, 2, v1
	ds_bpermute_b32 v16, v1, v21
	ds_bpermute_b32 v1, v1, v22
	; wave barrier
	s_waitcnt lgkmcnt(1)
	v_add_co_u32_e64 v14, s[0:1], v14, v16
	v_addc_co_u32_e64 v15, s[0:1], 0, v15, s[0:1]
	v_add_co_u32_e64 v14, s[0:1], 0, v14
	s_waitcnt lgkmcnt(0)
	v_addc_co_u32_e64 v1, s[0:1], v15, v1, s[0:1]
	v_cmp_eq_u32_e64 s[0:1], 0, v0
	v_cndmask_b32_e64 v15, v1, v19, s[0:1]
	v_cndmask_b32_e64 v14, v14, v18, s[0:1]
	ds_write_b64 v20, v[14:15]
	; wave barrier
	ds_read_b64 v[16:17], v20 offset:8
	s_waitcnt lgkmcnt(0)
	v_add_co_u32_e64 v14, s[0:1], v16, v14
	v_addc_co_u32_e64 v15, s[0:1], v17, v15, s[0:1]
	ds_write_b64 v20, v[14:15] offset:8
.LBB128_23:
	s_or_b64 exec, exec, s[8:9]
	v_cmp_eq_u32_e64 s[0:1], 0, v0
	v_cmp_ne_u32_e64 s[2:3], 0, v0
	v_pk_mov_b32 v[22:23], 0, 0
	s_waitcnt lgkmcnt(0)
	s_barrier
	s_and_saveexec_b64 s[8:9], s[2:3]
	s_cbranch_execz .LBB128_25
; %bb.24:
	v_add_u32_e32 v1, -1, v0
	v_lshrrev_b32_e32 v14, 5, v1
	v_add_lshl_u32 v1, v14, v1, 3
	ds_read_b64 v[22:23], v1
.LBB128_25:
	s_or_b64 exec, exec, s[8:9]
	s_and_saveexec_b64 s[24:25], vcc
	s_cbranch_execz .LBB128_44
; %bb.26:
	v_mov_b32_e32 v17, 0
	ds_read_b64 v[14:15], v17 offset:1040
	v_mbcnt_lo_u32_b32 v1, -1, 0
	v_mbcnt_hi_u32_b32 v30, -1, v1
	s_mov_b32 s11, 0
	v_cmp_eq_u32_e64 s[2:3], 0, v30
	s_and_saveexec_b64 s[8:9], s[2:3]
	s_cbranch_execz .LBB128_28
; %bb.27:
	s_add_i32 s10, s6, 64
	s_lshl_b64 s[10:11], s[10:11], 4
	s_add_u32 s10, s20, s10
	s_addc_u32 s11, s21, s11
	v_mov_b32_e32 v16, 1
	v_pk_mov_b32 v[18:19], s[10:11], s[10:11] op_sel:[0,1]
	s_waitcnt lgkmcnt(0)
	;;#ASMSTART
	global_store_dwordx4 v[18:19], v[14:17] off	
s_waitcnt vmcnt(0)
	;;#ASMEND
.LBB128_28:
	s_or_b64 exec, exec, s[8:9]
	v_xad_u32 v24, v30, -1, s6
	v_add_u32_e32 v16, 64, v24
	v_lshlrev_b64 v[18:19], 4, v[16:17]
	v_mov_b32_e32 v1, s21
	v_add_co_u32_e32 v28, vcc, s20, v18
	v_addc_co_u32_e32 v29, vcc, v1, v19, vcc
	;;#ASMSTART
	global_load_dwordx4 v[18:21], v[28:29] off glc	
s_waitcnt vmcnt(0)
	;;#ASMEND
	v_and_b32_e32 v1, 0xff, v19
	v_and_b32_e32 v16, 0xff00, v19
	v_or3_b32 v1, 0, v1, v16
	v_or3_b32 v16, v18, 0, 0
	v_and_b32_e32 v18, 0xff000000, v19
	v_and_b32_e32 v19, 0xff0000, v19
	v_or3_b32 v19, v1, v19, v18
	v_or3_b32 v18, v16, 0, 0
	v_cmp_eq_u16_sdwa s[10:11], v20, v17 src0_sel:BYTE_0 src1_sel:DWORD
	s_and_saveexec_b64 s[8:9], s[10:11]
	s_cbranch_execz .LBB128_32
; %bb.29:
	s_mov_b64 s[10:11], 0
	v_mov_b32_e32 v1, 0
.LBB128_30:                             ; =>This Inner Loop Header: Depth=1
	;;#ASMSTART
	global_load_dwordx4 v[18:21], v[28:29] off glc	
s_waitcnt vmcnt(0)
	;;#ASMEND
	v_cmp_ne_u16_sdwa s[30:31], v20, v1 src0_sel:BYTE_0 src1_sel:DWORD
	s_or_b64 s[10:11], s[30:31], s[10:11]
	s_andn2_b64 exec, exec, s[10:11]
	s_cbranch_execnz .LBB128_30
; %bb.31:
	s_or_b64 exec, exec, s[10:11]
.LBB128_32:
	s_or_b64 exec, exec, s[8:9]
	v_and_b32_e32 v32, 63, v30
	v_cmp_ne_u32_e32 vcc, 63, v32
	v_addc_co_u32_e32 v28, vcc, 0, v30, vcc
	v_lshlrev_b32_e32 v33, 2, v28
	ds_bpermute_b32 v28, v33, v18
	v_mov_b32_e32 v1, 2
	v_cmp_eq_u16_sdwa s[8:9], v20, v1 src0_sel:BYTE_0 src1_sel:DWORD
	v_lshlrev_b64 v[16:17], v30, -1
	ds_bpermute_b32 v29, v33, v19
	v_and_b32_e32 v21, s9, v17
	v_or_b32_e32 v21, 0x80000000, v21
	s_waitcnt lgkmcnt(1)
	v_add_co_u32_e32 v28, vcc, v18, v28
	v_and_b32_e32 v25, s8, v16
	v_ffbl_b32_e32 v21, v21
	v_addc_co_u32_e32 v31, vcc, 0, v19, vcc
	v_add_u32_e32 v21, 32, v21
	v_ffbl_b32_e32 v25, v25
	v_add_co_u32_e32 v35, vcc, 0, v28
	v_cmp_gt_u32_e64 s[8:9], 62, v32
	v_min_u32_e32 v21, v25, v21
	s_waitcnt lgkmcnt(0)
	v_addc_co_u32_e32 v29, vcc, v29, v31, vcc
	v_cndmask_b32_e64 v31, 0, 1, s[8:9]
	v_cmp_lt_u32_e32 vcc, v32, v21
	v_lshlrev_b32_e32 v31, 1, v31
	v_cndmask_b32_e32 v28, v18, v28, vcc
	v_add_lshl_u32 v34, v31, v30, 2
	v_cndmask_b32_e32 v29, v19, v29, vcc
	ds_bpermute_b32 v31, v34, v28
	ds_bpermute_b32 v39, v34, v29
	v_cndmask_b32_e32 v40, v18, v35, vcc
	v_add_u32_e32 v35, 2, v32
	v_cmp_gt_u32_e64 s[10:11], 60, v32
	s_waitcnt lgkmcnt(1)
	v_add_co_u32_e64 v31, s[8:9], v31, v40
	s_waitcnt lgkmcnt(0)
	v_addc_co_u32_e64 v39, s[8:9], v39, v29, s[8:9]
	v_cmp_gt_u32_e64 s[8:9], v35, v21
	v_cndmask_b32_e64 v29, v39, v29, s[8:9]
	v_cndmask_b32_e64 v39, 0, 1, s[10:11]
	v_lshlrev_b32_e32 v39, 2, v39
	v_cndmask_b32_e64 v28, v31, v28, s[8:9]
	v_add_lshl_u32 v39, v39, v30, 2
	ds_bpermute_b32 v41, v39, v28
	ds_bpermute_b32 v42, v39, v29
	v_cndmask_b32_e64 v31, v31, v40, s[8:9]
	v_add_u32_e32 v40, 4, v32
	v_cmp_gt_u32_e64 s[10:11], 56, v32
	s_waitcnt lgkmcnt(1)
	v_add_co_u32_e64 v43, s[8:9], v41, v31
	s_waitcnt lgkmcnt(0)
	v_addc_co_u32_e64 v41, s[8:9], v42, v29, s[8:9]
	v_cmp_gt_u32_e64 s[8:9], v40, v21
	v_cndmask_b32_e64 v29, v41, v29, s[8:9]
	v_cndmask_b32_e64 v41, 0, 1, s[10:11]
	v_lshlrev_b32_e32 v41, 3, v41
	v_cndmask_b32_e64 v28, v43, v28, s[8:9]
	v_add_lshl_u32 v41, v41, v30, 2
	ds_bpermute_b32 v44, v41, v28
	v_cndmask_b32_e64 v31, v43, v31, s[8:9]
	ds_bpermute_b32 v43, v41, v29
	v_add_u32_e32 v42, 8, v32
	v_cmp_gt_u32_e64 s[10:11], 48, v32
	s_waitcnt lgkmcnt(1)
	v_add_co_u32_e64 v44, s[8:9], v44, v31
	s_waitcnt lgkmcnt(0)
	v_addc_co_u32_e64 v43, s[8:9], v43, v29, s[8:9]
	v_cmp_gt_u32_e64 s[8:9], v42, v21
	v_cndmask_b32_e64 v29, v43, v29, s[8:9]
	v_cndmask_b32_e64 v43, 0, 1, s[10:11]
	v_lshlrev_b32_e32 v43, 4, v43
	v_cndmask_b32_e64 v28, v44, v28, s[8:9]
	v_add_lshl_u32 v43, v43, v30, 2
	ds_bpermute_b32 v45, v43, v28
	ds_bpermute_b32 v46, v43, v29
	v_cndmask_b32_e64 v31, v44, v31, s[8:9]
	v_cmp_gt_u32_e64 s[10:11], 32, v32
	v_add_u32_e32 v44, 16, v32
	s_waitcnt lgkmcnt(1)
	v_add_co_u32_e64 v47, s[8:9], v45, v31
	s_waitcnt lgkmcnt(0)
	v_addc_co_u32_e64 v46, s[8:9], v46, v29, s[8:9]
	v_cndmask_b32_e64 v45, 0, 1, s[10:11]
	v_cmp_gt_u32_e64 s[8:9], v44, v21
	v_lshlrev_b32_e32 v45, 5, v45
	v_cndmask_b32_e64 v28, v47, v28, s[8:9]
	v_add_lshl_u32 v45, v45, v30, 2
	v_cndmask_b32_e64 v29, v46, v29, s[8:9]
	ds_bpermute_b32 v28, v45, v28
	ds_bpermute_b32 v30, v45, v29
	v_add_u32_e32 v46, 32, v32
	v_cndmask_b32_e64 v31, v47, v31, s[8:9]
	v_cmp_le_u32_e64 s[8:9], v46, v21
	s_waitcnt lgkmcnt(1)
	v_cndmask_b32_e64 v28, 0, v28, s[8:9]
	s_waitcnt lgkmcnt(0)
	v_cndmask_b32_e64 v21, 0, v30, s[8:9]
	v_add_co_u32_e64 v28, s[8:9], v28, v31
	v_addc_co_u32_e64 v21, s[8:9], v21, v29, s[8:9]
	v_mov_b32_e32 v25, 0
	v_cndmask_b32_e32 v19, v19, v21, vcc
	v_cndmask_b32_e32 v18, v18, v28, vcc
	s_branch .LBB128_34
.LBB128_33:                             ;   in Loop: Header=BB128_34 Depth=1
	s_or_b64 exec, exec, s[8:9]
	v_cmp_eq_u16_sdwa s[8:9], v20, v1 src0_sel:BYTE_0 src1_sel:DWORD
	v_and_b32_e32 v21, s9, v17
	v_or_b32_e32 v21, 0x80000000, v21
	ds_bpermute_b32 v31, v33, v18
	v_and_b32_e32 v30, s8, v16
	v_ffbl_b32_e32 v21, v21
	v_add_u32_e32 v21, 32, v21
	v_ffbl_b32_e32 v30, v30
	v_min_u32_e32 v21, v30, v21
	ds_bpermute_b32 v30, v33, v19
	s_waitcnt lgkmcnt(1)
	v_add_co_u32_e32 v31, vcc, v18, v31
	v_addc_co_u32_e32 v47, vcc, 0, v19, vcc
	v_add_co_u32_e32 v48, vcc, 0, v31
	s_waitcnt lgkmcnt(0)
	v_addc_co_u32_e32 v30, vcc, v30, v47, vcc
	v_cmp_lt_u32_e32 vcc, v32, v21
	v_cndmask_b32_e32 v31, v18, v31, vcc
	ds_bpermute_b32 v47, v34, v31
	v_cndmask_b32_e32 v30, v19, v30, vcc
	ds_bpermute_b32 v49, v34, v30
	v_cndmask_b32_e32 v48, v18, v48, vcc
	v_subrev_u32_e32 v24, 64, v24
	s_waitcnt lgkmcnt(1)
	v_add_co_u32_e64 v47, s[8:9], v47, v48
	s_waitcnt lgkmcnt(0)
	v_addc_co_u32_e64 v49, s[8:9], v49, v30, s[8:9]
	v_cmp_gt_u32_e64 s[8:9], v35, v21
	v_cndmask_b32_e64 v31, v47, v31, s[8:9]
	ds_bpermute_b32 v50, v39, v31
	v_cndmask_b32_e64 v30, v49, v30, s[8:9]
	ds_bpermute_b32 v49, v39, v30
	v_cndmask_b32_e64 v47, v47, v48, s[8:9]
	s_waitcnt lgkmcnt(1)
	v_add_co_u32_e64 v48, s[8:9], v50, v47
	s_waitcnt lgkmcnt(0)
	v_addc_co_u32_e64 v49, s[8:9], v49, v30, s[8:9]
	v_cmp_gt_u32_e64 s[8:9], v40, v21
	v_cndmask_b32_e64 v31, v48, v31, s[8:9]
	ds_bpermute_b32 v50, v41, v31
	v_cndmask_b32_e64 v30, v49, v30, s[8:9]
	ds_bpermute_b32 v49, v41, v30
	v_cndmask_b32_e64 v47, v48, v47, s[8:9]
	;; [unrolled: 10-line block ×3, first 2 shown]
	s_waitcnt lgkmcnt(1)
	v_add_co_u32_e64 v48, s[8:9], v50, v47
	s_waitcnt lgkmcnt(0)
	v_addc_co_u32_e64 v49, s[8:9], v49, v30, s[8:9]
	v_cmp_gt_u32_e64 s[8:9], v44, v21
	v_cndmask_b32_e64 v31, v48, v31, s[8:9]
	v_cndmask_b32_e64 v30, v49, v30, s[8:9]
	ds_bpermute_b32 v31, v45, v31
	ds_bpermute_b32 v49, v45, v30
	v_cndmask_b32_e64 v47, v48, v47, s[8:9]
	v_cmp_le_u32_e64 s[8:9], v46, v21
	s_waitcnt lgkmcnt(1)
	v_cndmask_b32_e64 v31, 0, v31, s[8:9]
	s_waitcnt lgkmcnt(0)
	v_cndmask_b32_e64 v21, 0, v49, s[8:9]
	v_add_co_u32_e64 v31, s[8:9], v31, v47
	v_addc_co_u32_e64 v21, s[8:9], v21, v30, s[8:9]
	v_cndmask_b32_e32 v18, v18, v31, vcc
	v_cndmask_b32_e32 v19, v19, v21, vcc
	v_add_co_u32_e32 v18, vcc, v18, v28
	v_addc_co_u32_e32 v19, vcc, v19, v29, vcc
.LBB128_34:                             ; =>This Loop Header: Depth=1
                                        ;     Child Loop BB128_37 Depth 2
	v_cmp_ne_u16_sdwa s[8:9], v20, v1 src0_sel:BYTE_0 src1_sel:DWORD
	v_cndmask_b32_e64 v20, 0, 1, s[8:9]
	;;#ASMSTART
	;;#ASMEND
	v_cmp_ne_u32_e32 vcc, 0, v20
	s_cmp_lg_u64 vcc, exec
	v_pk_mov_b32 v[28:29], v[18:19], v[18:19] op_sel:[0,1]
	s_cbranch_scc1 .LBB128_39
; %bb.35:                               ;   in Loop: Header=BB128_34 Depth=1
	v_lshlrev_b64 v[18:19], 4, v[24:25]
	v_mov_b32_e32 v20, s21
	v_add_co_u32_e32 v30, vcc, s20, v18
	v_addc_co_u32_e32 v31, vcc, v20, v19, vcc
	;;#ASMSTART
	global_load_dwordx4 v[18:21], v[30:31] off glc	
s_waitcnt vmcnt(0)
	;;#ASMEND
	v_and_b32_e32 v21, 0xff, v19
	v_and_b32_e32 v47, 0xff00, v19
	v_or3_b32 v21, 0, v21, v47
	v_or3_b32 v18, v18, 0, 0
	v_and_b32_e32 v47, 0xff000000, v19
	v_and_b32_e32 v19, 0xff0000, v19
	v_or3_b32 v19, v21, v19, v47
	v_or3_b32 v18, v18, 0, 0
	v_cmp_eq_u16_sdwa s[10:11], v20, v25 src0_sel:BYTE_0 src1_sel:DWORD
	s_and_saveexec_b64 s[8:9], s[10:11]
	s_cbranch_execz .LBB128_33
; %bb.36:                               ;   in Loop: Header=BB128_34 Depth=1
	s_mov_b64 s[10:11], 0
.LBB128_37:                             ;   Parent Loop BB128_34 Depth=1
                                        ; =>  This Inner Loop Header: Depth=2
	;;#ASMSTART
	global_load_dwordx4 v[18:21], v[30:31] off glc	
s_waitcnt vmcnt(0)
	;;#ASMEND
	v_cmp_ne_u16_sdwa s[30:31], v20, v25 src0_sel:BYTE_0 src1_sel:DWORD
	s_or_b64 s[10:11], s[30:31], s[10:11]
	s_andn2_b64 exec, exec, s[10:11]
	s_cbranch_execnz .LBB128_37
; %bb.38:                               ;   in Loop: Header=BB128_34 Depth=1
	s_or_b64 exec, exec, s[10:11]
	s_branch .LBB128_33
.LBB128_39:                             ;   in Loop: Header=BB128_34 Depth=1
                                        ; implicit-def: $vgpr18_vgpr19
                                        ; implicit-def: $vgpr20
	s_cbranch_execz .LBB128_34
; %bb.40:
	s_and_saveexec_b64 s[8:9], s[2:3]
	s_cbranch_execz .LBB128_42
; %bb.41:
	s_add_i32 s2, s6, 64
	s_mov_b32 s3, 0
	s_lshl_b64 s[2:3], s[2:3], 4
	s_add_u32 s2, s20, s2
	v_add_co_u32_e32 v14, vcc, v28, v14
	s_addc_u32 s3, s21, s3
	v_addc_co_u32_e32 v15, vcc, v29, v15, vcc
	v_mov_b32_e32 v16, 2
	v_mov_b32_e32 v17, 0
	v_pk_mov_b32 v[18:19], s[2:3], s[2:3] op_sel:[0,1]
	;;#ASMSTART
	global_store_dwordx4 v[18:19], v[14:17] off	
s_waitcnt vmcnt(0)
	;;#ASMEND
.LBB128_42:
	s_or_b64 exec, exec, s[8:9]
	s_and_b64 exec, exec, s[0:1]
	s_cbranch_execz .LBB128_44
; %bb.43:
	v_mov_b32_e32 v1, 0
	ds_write_b64 v1, v[28:29]
.LBB128_44:
	s_or_b64 exec, exec, s[24:25]
	v_mov_b32_e32 v1, 0
	s_waitcnt lgkmcnt(0)
	s_barrier
	ds_read_b64 v[14:15], v1
	s_waitcnt lgkmcnt(0)
	v_add_co_u32_e32 v14, vcc, v14, v22
	v_addc_co_u32_e32 v15, vcc, v15, v23, vcc
	v_add_co_u32_e32 v28, vcc, v14, v10
	v_addc_co_u32_e32 v29, vcc, v15, v11, vcc
	;; [unrolled: 2-line block ×7, first 2 shown]
	s_load_dwordx8 s[0:7], s[4:5], 0x40
	s_branch .LBB128_57
.LBB128_45:
                                        ; implicit-def: $vgpr34_vgpr35
                                        ; implicit-def: $vgpr32_vgpr33
                                        ; implicit-def: $vgpr30_vgpr31
                                        ; implicit-def: $vgpr28_vgpr29
                                        ; implicit-def: $vgpr22_vgpr23_vgpr24_vgpr25
                                        ; implicit-def: $vgpr18_vgpr19_vgpr20_vgpr21
                                        ; implicit-def: $vgpr14_vgpr15_vgpr16_vgpr17
	s_load_dwordx8 s[0:7], s[4:5], 0x40
	s_cbranch_execz .LBB128_57
; %bb.46:
	s_waitcnt lgkmcnt(0)
	s_cmp_eq_u64 s[4:5], 0
	v_pk_mov_b32 v[20:21], s[22:23], s[22:23] op_sel:[0,1]
	s_cbranch_scc1 .LBB128_48
; %bb.47:
	v_mov_b32_e32 v1, 0
	v_mov_b32_e32 v15, s29
	v_add_co_u32_e64 v14, vcc, -8, s28
	v_addc_co_u32_e32 v15, vcc, -1, v15, vcc
	global_load_dwordx2 v[16:17], v1, s[0:1]
	flat_load_dwordx2 v[18:19], v[14:15]
	s_waitcnt vmcnt(0) lgkmcnt(0)
	v_add_co_u32_e32 v20, vcc, v16, v18
	v_addc_co_u32_e32 v21, vcc, v17, v19, vcc
.LBB128_48:
	v_add_co_u32_e32 v1, vcc, v12, v10
	v_addc_co_u32_e32 v14, vcc, v13, v11, vcc
	v_add_co_u32_e32 v1, vcc, v1, v6
	v_addc_co_u32_e32 v14, vcc, v14, v7, vcc
	;; [unrolled: 2-line block ×6, first 2 shown]
	v_add_lshl_u32 v1, v38, v0, 3
	v_cmp_gt_u32_e32 vcc, 64, v0
	ds_write_b64 v1, v[18:19]
	s_waitcnt lgkmcnt(0)
	s_barrier
	s_and_saveexec_b64 s[4:5], vcc
	s_cbranch_execz .LBB128_52
; %bb.49:
	v_lshlrev_b32_e32 v1, 1, v0
	v_lshrrev_b32_e32 v14, 4, v0
	v_add_lshl_u32 v22, v14, v1, 3
	ds_read2_b64 v[14:17], v22 offset1:1
	v_mbcnt_lo_u32_b32 v1, -1, 0
	s_waitcnt lgkmcnt(0)
	v_add_co_u32_e32 v23, vcc, v16, v14
	v_addc_co_u32_e32 v24, vcc, v17, v15, vcc
	s_nop 0
	v_mov_b32_dpp v16, v23 row_shr:1 row_mask:0xf bank_mask:0xf
	v_add_co_u32_e32 v16, vcc, v23, v16
	v_addc_co_u32_e32 v26, vcc, 0, v24, vcc
	v_mbcnt_hi_u32_b32 v17, -1, v1
	v_mov_b32_dpp v25, v24 row_shr:1 row_mask:0xf bank_mask:0xf
	v_add_co_u32_e32 v27, vcc, 0, v16
	v_and_b32_e32 v1, 15, v17
	v_addc_co_u32_e32 v25, vcc, v25, v26, vcc
	v_cmp_eq_u32_e32 vcc, 0, v1
	v_cndmask_b32_e32 v16, v16, v23, vcc
	v_cndmask_b32_e32 v25, v25, v24, vcc
	v_cndmask_b32_e32 v26, v27, v23, vcc
	v_mov_b32_dpp v27, v16 row_shr:2 row_mask:0xf bank_mask:0xf
	v_mov_b32_dpp v28, v25 row_shr:2 row_mask:0xf bank_mask:0xf
	v_add_co_u32_e32 v27, vcc, v27, v26
	v_addc_co_u32_e32 v28, vcc, v28, v25, vcc
	v_cmp_lt_u32_e32 vcc, 1, v1
	v_cndmask_b32_e32 v16, v16, v27, vcc
	v_cndmask_b32_e32 v25, v25, v28, vcc
	v_cndmask_b32_e32 v26, v26, v27, vcc
	v_mov_b32_dpp v27, v16 row_shr:4 row_mask:0xf bank_mask:0xf
	v_mov_b32_dpp v28, v25 row_shr:4 row_mask:0xf bank_mask:0xf
	v_add_co_u32_e32 v27, vcc, v27, v26
	v_addc_co_u32_e32 v28, vcc, v28, v25, vcc
	v_cmp_lt_u32_e32 vcc, 3, v1
	;; [unrolled: 8-line block ×3, first 2 shown]
	v_cndmask_b32_e32 v29, v16, v27, vcc
	v_cndmask_b32_e32 v1, v25, v28, vcc
	;; [unrolled: 1-line block ×3, first 2 shown]
	v_mov_b32_dpp v25, v29 row_bcast:15 row_mask:0xf bank_mask:0xf
	v_mov_b32_dpp v26, v1 row_bcast:15 row_mask:0xf bank_mask:0xf
	v_add_co_u32_e32 v25, vcc, v25, v16
	v_and_b32_e32 v28, 16, v17
	v_addc_co_u32_e32 v27, vcc, v26, v1, vcc
	v_cmp_eq_u32_e32 vcc, 0, v28
	v_cndmask_b32_e32 v28, v27, v1, vcc
	v_cndmask_b32_e32 v26, v25, v29, vcc
	v_cmp_ne_u32_e64 s[0:1], 0, v17
	v_mov_b32_dpp v28, v28 row_bcast:31 row_mask:0xf bank_mask:0xf
	v_mov_b32_dpp v26, v26 row_bcast:31 row_mask:0xf bank_mask:0xf
	s_and_saveexec_b64 s[8:9], s[0:1]
; %bb.50:
	v_cndmask_b32_e32 v1, v27, v1, vcc
	v_cndmask_b32_e32 v16, v25, v16, vcc
	v_cmp_lt_u32_e32 vcc, 31, v17
	v_cndmask_b32_e32 v23, 0, v26, vcc
	v_cndmask_b32_e32 v24, 0, v28, vcc
	v_add_co_u32_e32 v23, vcc, v23, v16
	v_addc_co_u32_e32 v24, vcc, v24, v1, vcc
; %bb.51:
	s_or_b64 exec, exec, s[8:9]
	v_add_u32_e32 v1, -1, v17
	v_and_b32_e32 v16, 64, v17
	v_cmp_lt_i32_e32 vcc, v1, v16
	v_cndmask_b32_e32 v1, v1, v17, vcc
	v_lshlrev_b32_e32 v1, 2, v1
	ds_bpermute_b32 v16, v1, v23
	ds_bpermute_b32 v1, v1, v24
	; wave barrier
	s_waitcnt lgkmcnt(1)
	v_add_co_u32_e32 v14, vcc, v14, v16
	v_addc_co_u32_e32 v15, vcc, 0, v15, vcc
	v_add_co_u32_e32 v14, vcc, 0, v14
	s_waitcnt lgkmcnt(0)
	v_addc_co_u32_e32 v1, vcc, v15, v1, vcc
	v_cmp_eq_u32_e32 vcc, 0, v0
	v_cndmask_b32_e32 v15, v1, v19, vcc
	v_cndmask_b32_e32 v14, v14, v18, vcc
	ds_write_b64 v22, v[14:15]
	; wave barrier
	ds_read_b64 v[16:17], v22 offset:8
	s_waitcnt lgkmcnt(0)
	v_add_co_u32_e32 v14, vcc, v16, v14
	v_addc_co_u32_e32 v15, vcc, v17, v15, vcc
	ds_write_b64 v22, v[14:15] offset:8
.LBB128_52:
	s_or_b64 exec, exec, s[4:5]
	v_cmp_eq_u32_e32 vcc, 0, v0
	v_cmp_ne_u32_e64 s[0:1], 0, v0
	v_pk_mov_b32 v[14:15], v[20:21], v[20:21] op_sel:[0,1]
	s_waitcnt lgkmcnt(0)
	s_barrier
	s_and_saveexec_b64 s[4:5], s[0:1]
	s_cbranch_execz .LBB128_54
; %bb.53:
	v_add_u32_e32 v1, -1, v0
	v_lshrrev_b32_e32 v14, 5, v1
	v_add_lshl_u32 v1, v14, v1, 3
	ds_read_b64 v[14:15], v1
	s_waitcnt lgkmcnt(0)
	v_add_co_u32_e64 v14, s[0:1], v14, v20
	v_addc_co_u32_e64 v15, s[0:1], v15, v21, s[0:1]
.LBB128_54:
	s_or_b64 exec, exec, s[4:5]
	v_add_co_u32_e64 v28, s[0:1], v14, v10
	v_addc_co_u32_e64 v29, s[0:1], v15, v11, s[0:1]
	v_add_co_u32_e64 v18, s[0:1], v28, v12
	v_addc_co_u32_e64 v19, s[0:1], v29, v13, s[0:1]
	;; [unrolled: 2-line block ×6, first 2 shown]
	s_and_saveexec_b64 s[0:1], vcc
	s_cbranch_execz .LBB128_56
; %bb.55:
	v_mov_b32_e32 v5, 0
	ds_read_b64 v[2:3], v5 offset:1040
	s_add_u32 s4, s20, 0x400
	s_addc_u32 s5, s21, 0
	v_mov_b32_e32 v4, 2
	v_pk_mov_b32 v[6:7], s[4:5], s[4:5] op_sel:[0,1]
	s_waitcnt lgkmcnt(0)
	v_add_co_u32_e32 v2, vcc, v2, v20
	v_addc_co_u32_e32 v3, vcc, v3, v21, vcc
	;;#ASMSTART
	global_store_dwordx4 v[6:7], v[2:5] off	
s_waitcnt vmcnt(0)
	;;#ASMEND
.LBB128_56:
	s_or_b64 exec, exec, s[0:1]
.LBB128_57:
	s_waitcnt lgkmcnt(0)
	s_add_u32 s0, s12, s16
	s_addc_u32 s1, s13, s17
	s_add_u32 s4, s0, s18
	s_addc_u32 s5, s1, s19
	s_mov_b64 s[0:1], -1
	s_and_b64 vcc, exec, s[14:15]
	v_mul_u32_u24_e32 v1, 56, v0
	s_barrier
	s_cbranch_vccz .LBB128_59
; %bb.58:
	v_mul_i32_i24_e32 v2, 0xffffffd0, v0
	v_mad_u32_u24 v16, v0, 56, v2
	ds_write2_b64 v1, v[14:15], v[28:29] offset1:1
	ds_write2_b64 v1, v[18:19], v[30:31] offset0:2 offset1:3
	ds_write2_b64 v1, v[22:23], v[32:33] offset0:4 offset1:5
	ds_write_b64 v1, v[34:35] offset:48
	s_waitcnt lgkmcnt(0)
	s_barrier
	ds_read2st64_b64 v[2:5], v16 offset1:2
	ds_read2st64_b64 v[6:9], v16 offset0:4 offset1:6
	ds_read2st64_b64 v[10:13], v16 offset0:8 offset1:10
	ds_read_b64 v[16:17], v16 offset:6144
	v_mov_b32_e32 v21, s5
	v_add_co_u32_e32 v20, vcc, s4, v36
	v_addc_co_u32_e32 v21, vcc, 0, v21, vcc
	s_waitcnt lgkmcnt(3)
	flat_store_dwordx2 v[20:21], v[2:3]
	flat_store_dwordx2 v[20:21], v[4:5] offset:1024
	s_waitcnt lgkmcnt(0)
	flat_store_dwordx2 v[20:21], v[6:7] offset:2048
	flat_store_dwordx2 v[20:21], v[8:9] offset:3072
	v_add_co_u32_e32 v2, vcc, 0x1000, v20
	v_addc_co_u32_e32 v3, vcc, 0, v21, vcc
	flat_store_dwordx2 v[2:3], v[10:11]
	flat_store_dwordx2 v[2:3], v[12:13] offset:1024
	flat_store_dwordx2 v[2:3], v[16:17] offset:2048
	s_mov_b64 s[0:1], 0
.LBB128_59:
	s_andn2_b64 vcc, exec, s[0:1]
	s_cbranch_vccnz .LBB128_98
; %bb.60:
	v_mul_i32_i24_e32 v2, 0xffffffd0, v0
	ds_write2_b64 v1, v[14:15], v[28:29] offset1:1
	ds_write2_b64 v1, v[18:19], v[30:31] offset0:2 offset1:3
	ds_write2_b64 v1, v[22:23], v[32:33] offset0:4 offset1:5
	ds_write_b64 v1, v[34:35] offset:48
	v_mad_u32_u24 v14, v0, 56, v2
	s_waitcnt lgkmcnt(0)
	s_barrier
	ds_read2st64_b64 v[2:5], v14 offset1:2
	ds_read2st64_b64 v[6:9], v14 offset0:4 offset1:6
	ds_read2st64_b64 v[10:13], v14 offset0:8 offset1:10
	ds_read_b64 v[14:15], v14 offset:6144
	v_mov_b32_e32 v17, s5
	v_add_co_u32_e32 v16, vcc, s4, v36
	v_addc_co_u32_e32 v17, vcc, 0, v17, vcc
	v_mov_b32_e32 v1, 0
	v_cmp_gt_u32_e32 vcc, s26, v0
	s_and_saveexec_b64 s[0:1], vcc
	s_cbranch_execz .LBB128_62
; %bb.61:
	s_waitcnt lgkmcnt(0)
	flat_store_dwordx2 v[16:17], v[2:3]
.LBB128_62:
	s_or_b64 exec, exec, s[0:1]
	v_or_b32_e32 v18, 0x80, v0
	v_cmp_gt_u32_e32 vcc, s26, v18
	s_and_saveexec_b64 s[0:1], vcc
	s_cbranch_execz .LBB128_64
; %bb.63:
	s_waitcnt lgkmcnt(0)
	flat_store_dwordx2 v[16:17], v[4:5] offset:1024
.LBB128_64:
	s_or_b64 exec, exec, s[0:1]
	v_or_b32_e32 v18, 0x100, v0
	v_cmp_gt_u32_e32 vcc, s26, v18
	s_and_saveexec_b64 s[0:1], vcc
	s_cbranch_execz .LBB128_66
; %bb.65:
	s_waitcnt lgkmcnt(0)
	flat_store_dwordx2 v[16:17], v[6:7] offset:2048
.LBB128_66:
	;; [unrolled: 9-line block ×3, first 2 shown]
	s_or_b64 exec, exec, s[0:1]
	v_or_b32_e32 v18, 0x200, v0
	v_cmp_gt_u32_e32 vcc, s26, v18
	s_and_saveexec_b64 s[0:1], vcc
	s_cbranch_execz .LBB128_70
; %bb.69:
	v_add_co_u32_e32 v18, vcc, 0x1000, v16
	v_addc_co_u32_e32 v19, vcc, 0, v17, vcc
	s_waitcnt lgkmcnt(0)
	flat_store_dwordx2 v[18:19], v[10:11]
.LBB128_70:
	s_or_b64 exec, exec, s[0:1]
	v_or_b32_e32 v18, 0x280, v0
	v_cmp_gt_u32_e32 vcc, s26, v18
	s_and_saveexec_b64 s[0:1], vcc
	s_cbranch_execz .LBB128_72
; %bb.71:
	v_add_co_u32_e32 v18, vcc, 0x1000, v16
	v_addc_co_u32_e32 v19, vcc, 0, v17, vcc
	s_waitcnt lgkmcnt(0)
	flat_store_dwordx2 v[18:19], v[12:13] offset:1024
.LBB128_72:
	s_or_b64 exec, exec, s[0:1]
	v_or_b32_e32 v18, 0x300, v0
	v_cmp_gt_u32_e32 vcc, s26, v18
	s_and_saveexec_b64 s[0:1], vcc
	s_cbranch_execz .LBB128_74
; %bb.73:
	v_add_co_u32_e32 v16, vcc, 0x1000, v16
	v_addc_co_u32_e32 v17, vcc, 0, v17, vcc
	s_waitcnt lgkmcnt(0)
	flat_store_dwordx2 v[16:17], v[14:15] offset:2048
.LBB128_74:
	s_or_b64 exec, exec, s[0:1]
	v_cmp_lt_u64_e64 s[0:1], s[6:7], 2
	s_and_b64 vcc, exec, s[0:1]
	s_cbranch_vccnz .LBB128_98
; %bb.75:
	s_add_u32 s0, s26, -1
	s_addc_u32 s1, s27, -1
	s_add_u32 s4, 0, 0x92481000
	s_addc_u32 s5, 0, 0x64
	s_add_i32 s5, s5, 0x249248c0
	s_mul_hi_u32 s9, s4, -7
	s_sub_i32 s9, s9, s4
	s_mul_i32 s10, s5, -7
	s_mul_i32 s6, s4, -7
	s_add_i32 s9, s9, s10
	s_mul_hi_u32 s7, s5, s6
	s_mul_i32 s8, s5, s6
	s_mul_i32 s11, s4, s9
	s_mul_hi_u32 s6, s4, s6
	s_mul_hi_u32 s10, s4, s9
	s_add_u32 s6, s6, s11
	s_addc_u32 s10, 0, s10
	s_add_u32 s6, s6, s8
	s_mul_hi_u32 s11, s5, s9
	s_addc_u32 s6, s10, s7
	s_addc_u32 s7, s11, 0
	s_mul_i32 s8, s5, s9
	s_add_u32 s6, s6, s8
	v_mov_b32_e32 v16, s6
	s_addc_u32 s7, 0, s7
	v_add_co_u32_e32 v16, vcc, s4, v16
	s_cmp_lg_u64 vcc, 0
	s_addc_u32 s4, s5, s7
	v_readfirstlane_b32 s7, v16
	s_mul_i32 s6, s0, s4
	s_mul_hi_u32 s8, s0, s7
	s_mul_hi_u32 s5, s0, s4
	s_add_u32 s6, s8, s6
	s_addc_u32 s5, 0, s5
	s_mul_hi_u32 s9, s1, s7
	s_mul_i32 s7, s1, s7
	s_add_u32 s6, s6, s7
	s_mul_hi_u32 s8, s1, s4
	s_addc_u32 s5, s5, s9
	s_addc_u32 s6, s8, 0
	s_mul_i32 s4, s1, s4
	s_add_u32 s4, s5, s4
	s_addc_u32 s5, 0, s6
	s_add_u32 s6, s4, 1
	s_addc_u32 s7, s5, 0
	s_add_u32 s8, s4, 2
	s_mul_i32 s10, s5, 7
	s_mul_hi_u32 s11, s4, 7
	s_addc_u32 s9, s5, 0
	s_add_i32 s11, s11, s10
	s_mul_i32 s10, s4, 7
	v_mov_b32_e32 v16, s10
	v_sub_co_u32_e32 v16, vcc, s0, v16
	s_cmp_lg_u64 vcc, 0
	s_subb_u32 s10, s1, s11
	v_subrev_co_u32_e32 v17, vcc, 7, v16
	s_cmp_lg_u64 vcc, 0
	s_subb_u32 s11, s10, 0
	v_readfirstlane_b32 s12, v17
	s_cmp_gt_u32 s12, 6
	s_cselect_b32 s12, -1, 0
	s_cmp_eq_u32 s11, 0
	s_cselect_b32 s11, s12, -1
	s_cmp_lg_u32 s11, 0
	s_cselect_b32 s6, s8, s6
	v_readfirstlane_b32 s8, v16
	s_cselect_b32 s7, s9, s7
	s_cmp_gt_u32 s8, 6
	s_cselect_b32 s8, -1, 0
	s_cmp_eq_u32 s10, 0
	s_cselect_b32 s8, s8, -1
	s_cmp_lg_u32 s8, 0
	s_cselect_b32 s5, s7, s5
	s_cselect_b32 s4, s6, s4
	v_cmp_eq_u64_e32 vcc, s[4:5], v[0:1]
	s_and_saveexec_b64 s[4:5], vcc
	s_cbranch_execz .LBB128_98
; %bb.76:
	v_mul_hi_u32_u24_e32 v1, 7, v0
	v_mov_b32_e32 v16, s1
	v_sub_co_u32_e32 v0, vcc, s0, v37
	v_subb_co_u32_e32 v1, vcc, v16, v1, vcc
	v_cmp_lt_i64_e32 vcc, 3, v[0:1]
	s_and_saveexec_b64 s[0:1], vcc
	s_xor_b64 s[0:1], exec, s[0:1]
	s_cbranch_execz .LBB128_86
; %bb.77:
	v_cmp_lt_i64_e32 vcc, 4, v[0:1]
	s_and_saveexec_b64 s[4:5], vcc
	s_xor_b64 s[4:5], exec, s[4:5]
	s_cbranch_execz .LBB128_83
; %bb.78:
	;; [unrolled: 5-line block ×3, first 2 shown]
	v_mov_b32_e32 v0, 0
	s_waitcnt lgkmcnt(0)
	global_store_dwordx2 v0, v[14:15], s[2:3]
                                        ; implicit-def: $vgpr10_vgpr11_vgpr12_vgpr13
.LBB128_80:
	s_andn2_saveexec_b64 s[6:7], s[6:7]
	s_cbranch_execz .LBB128_82
; %bb.81:
	v_mov_b32_e32 v0, 0
	s_waitcnt lgkmcnt(0)
	global_store_dwordx2 v0, v[12:13], s[2:3]
.LBB128_82:
	s_or_b64 exec, exec, s[6:7]
                                        ; implicit-def: $vgpr10_vgpr11_vgpr12_vgpr13
.LBB128_83:
	s_andn2_saveexec_b64 s[4:5], s[4:5]
	s_cbranch_execz .LBB128_85
; %bb.84:
	v_mov_b32_e32 v0, 0
	s_waitcnt lgkmcnt(0)
	global_store_dwordx2 v0, v[10:11], s[2:3]
.LBB128_85:
	s_or_b64 exec, exec, s[4:5]
                                        ; implicit-def: $vgpr0_vgpr1
                                        ; implicit-def: $vgpr2_vgpr3_vgpr4_vgpr5
                                        ; implicit-def: $vgpr6_vgpr7_vgpr8_vgpr9
.LBB128_86:
	s_andn2_saveexec_b64 s[0:1], s[0:1]
	s_cbranch_execz .LBB128_98
; %bb.87:
	v_cmp_lt_i64_e32 vcc, 1, v[0:1]
	s_and_saveexec_b64 s[0:1], vcc
	s_xor_b64 s[0:1], exec, s[0:1]
	s_cbranch_execz .LBB128_93
; %bb.88:
	v_cmp_lt_i64_e32 vcc, 2, v[0:1]
	s_and_saveexec_b64 s[4:5], vcc
	s_xor_b64 s[4:5], exec, s[4:5]
	s_cbranch_execz .LBB128_90
; %bb.89:
	v_mov_b32_e32 v0, 0
	s_waitcnt lgkmcnt(0)
	global_store_dwordx2 v0, v[8:9], s[2:3]
                                        ; implicit-def: $vgpr6_vgpr7_vgpr8_vgpr9
.LBB128_90:
	s_andn2_saveexec_b64 s[4:5], s[4:5]
	s_cbranch_execz .LBB128_92
; %bb.91:
	v_mov_b32_e32 v0, 0
	s_waitcnt lgkmcnt(0)
	global_store_dwordx2 v0, v[6:7], s[2:3]
.LBB128_92:
	s_or_b64 exec, exec, s[4:5]
                                        ; implicit-def: $vgpr2_vgpr3_vgpr4_vgpr5
                                        ; implicit-def: $vgpr0_vgpr1
.LBB128_93:
	s_andn2_saveexec_b64 s[0:1], s[0:1]
	s_cbranch_execz .LBB128_98
; %bb.94:
	v_cmp_ne_u64_e32 vcc, 1, v[0:1]
	s_and_saveexec_b64 s[0:1], vcc
	s_xor_b64 s[0:1], exec, s[0:1]
	s_cbranch_execz .LBB128_96
; %bb.95:
	v_mov_b32_e32 v0, 0
	s_waitcnt lgkmcnt(0)
	global_store_dwordx2 v0, v[2:3], s[2:3]
                                        ; implicit-def: $vgpr2_vgpr3_vgpr4_vgpr5
.LBB128_96:
	s_andn2_saveexec_b64 s[0:1], s[0:1]
	s_cbranch_execz .LBB128_98
; %bb.97:
	v_mov_b32_e32 v0, 0
	s_waitcnt lgkmcnt(0)
	global_store_dwordx2 v0, v[4:5], s[2:3]
.LBB128_98:
	s_endpgm
	.section	.rodata,"a",@progbits
	.p2align	6, 0x0
	.amdhsa_kernel _ZN7rocprim17ROCPRIM_400000_NS6detail17trampoline_kernelINS0_14default_configENS1_20scan_config_selectorIxEEZZNS1_9scan_implILNS1_25lookback_scan_determinismE0ELb1ELb1ES3_N6thrust23THRUST_200600_302600_NS6detail15normal_iteratorINS9_10device_ptrIxEEEESE_xNS9_4plusIvEExEEDaPvRmT3_T4_T5_mT6_P12ihipStream_tbENKUlT_T0_E_clISt17integral_constantIbLb0EESU_EEDaSP_SQ_EUlSP_E_NS1_11comp_targetILNS1_3genE4ELNS1_11target_archE910ELNS1_3gpuE8ELNS1_3repE0EEENS1_30default_config_static_selectorELNS0_4arch9wavefront6targetE1EEEvT1_
		.amdhsa_group_segment_fixed_size 7168
		.amdhsa_private_segment_fixed_size 0
		.amdhsa_kernarg_size 104
		.amdhsa_user_sgpr_count 6
		.amdhsa_user_sgpr_private_segment_buffer 1
		.amdhsa_user_sgpr_dispatch_ptr 0
		.amdhsa_user_sgpr_queue_ptr 0
		.amdhsa_user_sgpr_kernarg_segment_ptr 1
		.amdhsa_user_sgpr_dispatch_id 0
		.amdhsa_user_sgpr_flat_scratch_init 0
		.amdhsa_user_sgpr_kernarg_preload_length 0
		.amdhsa_user_sgpr_kernarg_preload_offset 0
		.amdhsa_user_sgpr_private_segment_size 0
		.amdhsa_uses_dynamic_stack 0
		.amdhsa_system_sgpr_private_segment_wavefront_offset 0
		.amdhsa_system_sgpr_workgroup_id_x 1
		.amdhsa_system_sgpr_workgroup_id_y 0
		.amdhsa_system_sgpr_workgroup_id_z 0
		.amdhsa_system_sgpr_workgroup_info 0
		.amdhsa_system_vgpr_workitem_id 0
		.amdhsa_next_free_vgpr 51
		.amdhsa_next_free_sgpr 32
		.amdhsa_accum_offset 52
		.amdhsa_reserve_vcc 1
		.amdhsa_reserve_flat_scratch 0
		.amdhsa_float_round_mode_32 0
		.amdhsa_float_round_mode_16_64 0
		.amdhsa_float_denorm_mode_32 3
		.amdhsa_float_denorm_mode_16_64 3
		.amdhsa_dx10_clamp 1
		.amdhsa_ieee_mode 1
		.amdhsa_fp16_overflow 0
		.amdhsa_tg_split 0
		.amdhsa_exception_fp_ieee_invalid_op 0
		.amdhsa_exception_fp_denorm_src 0
		.amdhsa_exception_fp_ieee_div_zero 0
		.amdhsa_exception_fp_ieee_overflow 0
		.amdhsa_exception_fp_ieee_underflow 0
		.amdhsa_exception_fp_ieee_inexact 0
		.amdhsa_exception_int_div_zero 0
	.end_amdhsa_kernel
	.section	.text._ZN7rocprim17ROCPRIM_400000_NS6detail17trampoline_kernelINS0_14default_configENS1_20scan_config_selectorIxEEZZNS1_9scan_implILNS1_25lookback_scan_determinismE0ELb1ELb1ES3_N6thrust23THRUST_200600_302600_NS6detail15normal_iteratorINS9_10device_ptrIxEEEESE_xNS9_4plusIvEExEEDaPvRmT3_T4_T5_mT6_P12ihipStream_tbENKUlT_T0_E_clISt17integral_constantIbLb0EESU_EEDaSP_SQ_EUlSP_E_NS1_11comp_targetILNS1_3genE4ELNS1_11target_archE910ELNS1_3gpuE8ELNS1_3repE0EEENS1_30default_config_static_selectorELNS0_4arch9wavefront6targetE1EEEvT1_,"axG",@progbits,_ZN7rocprim17ROCPRIM_400000_NS6detail17trampoline_kernelINS0_14default_configENS1_20scan_config_selectorIxEEZZNS1_9scan_implILNS1_25lookback_scan_determinismE0ELb1ELb1ES3_N6thrust23THRUST_200600_302600_NS6detail15normal_iteratorINS9_10device_ptrIxEEEESE_xNS9_4plusIvEExEEDaPvRmT3_T4_T5_mT6_P12ihipStream_tbENKUlT_T0_E_clISt17integral_constantIbLb0EESU_EEDaSP_SQ_EUlSP_E_NS1_11comp_targetILNS1_3genE4ELNS1_11target_archE910ELNS1_3gpuE8ELNS1_3repE0EEENS1_30default_config_static_selectorELNS0_4arch9wavefront6targetE1EEEvT1_,comdat
.Lfunc_end128:
	.size	_ZN7rocprim17ROCPRIM_400000_NS6detail17trampoline_kernelINS0_14default_configENS1_20scan_config_selectorIxEEZZNS1_9scan_implILNS1_25lookback_scan_determinismE0ELb1ELb1ES3_N6thrust23THRUST_200600_302600_NS6detail15normal_iteratorINS9_10device_ptrIxEEEESE_xNS9_4plusIvEExEEDaPvRmT3_T4_T5_mT6_P12ihipStream_tbENKUlT_T0_E_clISt17integral_constantIbLb0EESU_EEDaSP_SQ_EUlSP_E_NS1_11comp_targetILNS1_3genE4ELNS1_11target_archE910ELNS1_3gpuE8ELNS1_3repE0EEENS1_30default_config_static_selectorELNS0_4arch9wavefront6targetE1EEEvT1_, .Lfunc_end128-_ZN7rocprim17ROCPRIM_400000_NS6detail17trampoline_kernelINS0_14default_configENS1_20scan_config_selectorIxEEZZNS1_9scan_implILNS1_25lookback_scan_determinismE0ELb1ELb1ES3_N6thrust23THRUST_200600_302600_NS6detail15normal_iteratorINS9_10device_ptrIxEEEESE_xNS9_4plusIvEExEEDaPvRmT3_T4_T5_mT6_P12ihipStream_tbENKUlT_T0_E_clISt17integral_constantIbLb0EESU_EEDaSP_SQ_EUlSP_E_NS1_11comp_targetILNS1_3genE4ELNS1_11target_archE910ELNS1_3gpuE8ELNS1_3repE0EEENS1_30default_config_static_selectorELNS0_4arch9wavefront6targetE1EEEvT1_
                                        ; -- End function
	.section	.AMDGPU.csdata,"",@progbits
; Kernel info:
; codeLenInByte = 5660
; NumSgprs: 36
; NumVgprs: 51
; NumAgprs: 0
; TotalNumVgprs: 51
; ScratchSize: 0
; MemoryBound: 0
; FloatMode: 240
; IeeeMode: 1
; LDSByteSize: 7168 bytes/workgroup (compile time only)
; SGPRBlocks: 4
; VGPRBlocks: 6
; NumSGPRsForWavesPerEU: 36
; NumVGPRsForWavesPerEU: 51
; AccumOffset: 52
; Occupancy: 5
; WaveLimiterHint : 1
; COMPUTE_PGM_RSRC2:SCRATCH_EN: 0
; COMPUTE_PGM_RSRC2:USER_SGPR: 6
; COMPUTE_PGM_RSRC2:TRAP_HANDLER: 0
; COMPUTE_PGM_RSRC2:TGID_X_EN: 1
; COMPUTE_PGM_RSRC2:TGID_Y_EN: 0
; COMPUTE_PGM_RSRC2:TGID_Z_EN: 0
; COMPUTE_PGM_RSRC2:TIDIG_COMP_CNT: 0
; COMPUTE_PGM_RSRC3_GFX90A:ACCUM_OFFSET: 12
; COMPUTE_PGM_RSRC3_GFX90A:TG_SPLIT: 0
	.section	.text._ZN7rocprim17ROCPRIM_400000_NS6detail17trampoline_kernelINS0_14default_configENS1_20scan_config_selectorIxEEZZNS1_9scan_implILNS1_25lookback_scan_determinismE0ELb1ELb1ES3_N6thrust23THRUST_200600_302600_NS6detail15normal_iteratorINS9_10device_ptrIxEEEESE_xNS9_4plusIvEExEEDaPvRmT3_T4_T5_mT6_P12ihipStream_tbENKUlT_T0_E_clISt17integral_constantIbLb0EESU_EEDaSP_SQ_EUlSP_E_NS1_11comp_targetILNS1_3genE3ELNS1_11target_archE908ELNS1_3gpuE7ELNS1_3repE0EEENS1_30default_config_static_selectorELNS0_4arch9wavefront6targetE1EEEvT1_,"axG",@progbits,_ZN7rocprim17ROCPRIM_400000_NS6detail17trampoline_kernelINS0_14default_configENS1_20scan_config_selectorIxEEZZNS1_9scan_implILNS1_25lookback_scan_determinismE0ELb1ELb1ES3_N6thrust23THRUST_200600_302600_NS6detail15normal_iteratorINS9_10device_ptrIxEEEESE_xNS9_4plusIvEExEEDaPvRmT3_T4_T5_mT6_P12ihipStream_tbENKUlT_T0_E_clISt17integral_constantIbLb0EESU_EEDaSP_SQ_EUlSP_E_NS1_11comp_targetILNS1_3genE3ELNS1_11target_archE908ELNS1_3gpuE7ELNS1_3repE0EEENS1_30default_config_static_selectorELNS0_4arch9wavefront6targetE1EEEvT1_,comdat
	.protected	_ZN7rocprim17ROCPRIM_400000_NS6detail17trampoline_kernelINS0_14default_configENS1_20scan_config_selectorIxEEZZNS1_9scan_implILNS1_25lookback_scan_determinismE0ELb1ELb1ES3_N6thrust23THRUST_200600_302600_NS6detail15normal_iteratorINS9_10device_ptrIxEEEESE_xNS9_4plusIvEExEEDaPvRmT3_T4_T5_mT6_P12ihipStream_tbENKUlT_T0_E_clISt17integral_constantIbLb0EESU_EEDaSP_SQ_EUlSP_E_NS1_11comp_targetILNS1_3genE3ELNS1_11target_archE908ELNS1_3gpuE7ELNS1_3repE0EEENS1_30default_config_static_selectorELNS0_4arch9wavefront6targetE1EEEvT1_ ; -- Begin function _ZN7rocprim17ROCPRIM_400000_NS6detail17trampoline_kernelINS0_14default_configENS1_20scan_config_selectorIxEEZZNS1_9scan_implILNS1_25lookback_scan_determinismE0ELb1ELb1ES3_N6thrust23THRUST_200600_302600_NS6detail15normal_iteratorINS9_10device_ptrIxEEEESE_xNS9_4plusIvEExEEDaPvRmT3_T4_T5_mT6_P12ihipStream_tbENKUlT_T0_E_clISt17integral_constantIbLb0EESU_EEDaSP_SQ_EUlSP_E_NS1_11comp_targetILNS1_3genE3ELNS1_11target_archE908ELNS1_3gpuE7ELNS1_3repE0EEENS1_30default_config_static_selectorELNS0_4arch9wavefront6targetE1EEEvT1_
	.globl	_ZN7rocprim17ROCPRIM_400000_NS6detail17trampoline_kernelINS0_14default_configENS1_20scan_config_selectorIxEEZZNS1_9scan_implILNS1_25lookback_scan_determinismE0ELb1ELb1ES3_N6thrust23THRUST_200600_302600_NS6detail15normal_iteratorINS9_10device_ptrIxEEEESE_xNS9_4plusIvEExEEDaPvRmT3_T4_T5_mT6_P12ihipStream_tbENKUlT_T0_E_clISt17integral_constantIbLb0EESU_EEDaSP_SQ_EUlSP_E_NS1_11comp_targetILNS1_3genE3ELNS1_11target_archE908ELNS1_3gpuE7ELNS1_3repE0EEENS1_30default_config_static_selectorELNS0_4arch9wavefront6targetE1EEEvT1_
	.p2align	8
	.type	_ZN7rocprim17ROCPRIM_400000_NS6detail17trampoline_kernelINS0_14default_configENS1_20scan_config_selectorIxEEZZNS1_9scan_implILNS1_25lookback_scan_determinismE0ELb1ELb1ES3_N6thrust23THRUST_200600_302600_NS6detail15normal_iteratorINS9_10device_ptrIxEEEESE_xNS9_4plusIvEExEEDaPvRmT3_T4_T5_mT6_P12ihipStream_tbENKUlT_T0_E_clISt17integral_constantIbLb0EESU_EEDaSP_SQ_EUlSP_E_NS1_11comp_targetILNS1_3genE3ELNS1_11target_archE908ELNS1_3gpuE7ELNS1_3repE0EEENS1_30default_config_static_selectorELNS0_4arch9wavefront6targetE1EEEvT1_,@function
_ZN7rocprim17ROCPRIM_400000_NS6detail17trampoline_kernelINS0_14default_configENS1_20scan_config_selectorIxEEZZNS1_9scan_implILNS1_25lookback_scan_determinismE0ELb1ELb1ES3_N6thrust23THRUST_200600_302600_NS6detail15normal_iteratorINS9_10device_ptrIxEEEESE_xNS9_4plusIvEExEEDaPvRmT3_T4_T5_mT6_P12ihipStream_tbENKUlT_T0_E_clISt17integral_constantIbLb0EESU_EEDaSP_SQ_EUlSP_E_NS1_11comp_targetILNS1_3genE3ELNS1_11target_archE908ELNS1_3gpuE7ELNS1_3repE0EEENS1_30default_config_static_selectorELNS0_4arch9wavefront6targetE1EEEvT1_: ; @_ZN7rocprim17ROCPRIM_400000_NS6detail17trampoline_kernelINS0_14default_configENS1_20scan_config_selectorIxEEZZNS1_9scan_implILNS1_25lookback_scan_determinismE0ELb1ELb1ES3_N6thrust23THRUST_200600_302600_NS6detail15normal_iteratorINS9_10device_ptrIxEEEESE_xNS9_4plusIvEExEEDaPvRmT3_T4_T5_mT6_P12ihipStream_tbENKUlT_T0_E_clISt17integral_constantIbLb0EESU_EEDaSP_SQ_EUlSP_E_NS1_11comp_targetILNS1_3genE3ELNS1_11target_archE908ELNS1_3gpuE7ELNS1_3repE0EEENS1_30default_config_static_selectorELNS0_4arch9wavefront6targetE1EEEvT1_
; %bb.0:
	.section	.rodata,"a",@progbits
	.p2align	6, 0x0
	.amdhsa_kernel _ZN7rocprim17ROCPRIM_400000_NS6detail17trampoline_kernelINS0_14default_configENS1_20scan_config_selectorIxEEZZNS1_9scan_implILNS1_25lookback_scan_determinismE0ELb1ELb1ES3_N6thrust23THRUST_200600_302600_NS6detail15normal_iteratorINS9_10device_ptrIxEEEESE_xNS9_4plusIvEExEEDaPvRmT3_T4_T5_mT6_P12ihipStream_tbENKUlT_T0_E_clISt17integral_constantIbLb0EESU_EEDaSP_SQ_EUlSP_E_NS1_11comp_targetILNS1_3genE3ELNS1_11target_archE908ELNS1_3gpuE7ELNS1_3repE0EEENS1_30default_config_static_selectorELNS0_4arch9wavefront6targetE1EEEvT1_
		.amdhsa_group_segment_fixed_size 0
		.amdhsa_private_segment_fixed_size 0
		.amdhsa_kernarg_size 104
		.amdhsa_user_sgpr_count 6
		.amdhsa_user_sgpr_private_segment_buffer 1
		.amdhsa_user_sgpr_dispatch_ptr 0
		.amdhsa_user_sgpr_queue_ptr 0
		.amdhsa_user_sgpr_kernarg_segment_ptr 1
		.amdhsa_user_sgpr_dispatch_id 0
		.amdhsa_user_sgpr_flat_scratch_init 0
		.amdhsa_user_sgpr_kernarg_preload_length 0
		.amdhsa_user_sgpr_kernarg_preload_offset 0
		.amdhsa_user_sgpr_private_segment_size 0
		.amdhsa_uses_dynamic_stack 0
		.amdhsa_system_sgpr_private_segment_wavefront_offset 0
		.amdhsa_system_sgpr_workgroup_id_x 1
		.amdhsa_system_sgpr_workgroup_id_y 0
		.amdhsa_system_sgpr_workgroup_id_z 0
		.amdhsa_system_sgpr_workgroup_info 0
		.amdhsa_system_vgpr_workitem_id 0
		.amdhsa_next_free_vgpr 1
		.amdhsa_next_free_sgpr 0
		.amdhsa_accum_offset 4
		.amdhsa_reserve_vcc 0
		.amdhsa_reserve_flat_scratch 0
		.amdhsa_float_round_mode_32 0
		.amdhsa_float_round_mode_16_64 0
		.amdhsa_float_denorm_mode_32 3
		.amdhsa_float_denorm_mode_16_64 3
		.amdhsa_dx10_clamp 1
		.amdhsa_ieee_mode 1
		.amdhsa_fp16_overflow 0
		.amdhsa_tg_split 0
		.amdhsa_exception_fp_ieee_invalid_op 0
		.amdhsa_exception_fp_denorm_src 0
		.amdhsa_exception_fp_ieee_div_zero 0
		.amdhsa_exception_fp_ieee_overflow 0
		.amdhsa_exception_fp_ieee_underflow 0
		.amdhsa_exception_fp_ieee_inexact 0
		.amdhsa_exception_int_div_zero 0
	.end_amdhsa_kernel
	.section	.text._ZN7rocprim17ROCPRIM_400000_NS6detail17trampoline_kernelINS0_14default_configENS1_20scan_config_selectorIxEEZZNS1_9scan_implILNS1_25lookback_scan_determinismE0ELb1ELb1ES3_N6thrust23THRUST_200600_302600_NS6detail15normal_iteratorINS9_10device_ptrIxEEEESE_xNS9_4plusIvEExEEDaPvRmT3_T4_T5_mT6_P12ihipStream_tbENKUlT_T0_E_clISt17integral_constantIbLb0EESU_EEDaSP_SQ_EUlSP_E_NS1_11comp_targetILNS1_3genE3ELNS1_11target_archE908ELNS1_3gpuE7ELNS1_3repE0EEENS1_30default_config_static_selectorELNS0_4arch9wavefront6targetE1EEEvT1_,"axG",@progbits,_ZN7rocprim17ROCPRIM_400000_NS6detail17trampoline_kernelINS0_14default_configENS1_20scan_config_selectorIxEEZZNS1_9scan_implILNS1_25lookback_scan_determinismE0ELb1ELb1ES3_N6thrust23THRUST_200600_302600_NS6detail15normal_iteratorINS9_10device_ptrIxEEEESE_xNS9_4plusIvEExEEDaPvRmT3_T4_T5_mT6_P12ihipStream_tbENKUlT_T0_E_clISt17integral_constantIbLb0EESU_EEDaSP_SQ_EUlSP_E_NS1_11comp_targetILNS1_3genE3ELNS1_11target_archE908ELNS1_3gpuE7ELNS1_3repE0EEENS1_30default_config_static_selectorELNS0_4arch9wavefront6targetE1EEEvT1_,comdat
.Lfunc_end129:
	.size	_ZN7rocprim17ROCPRIM_400000_NS6detail17trampoline_kernelINS0_14default_configENS1_20scan_config_selectorIxEEZZNS1_9scan_implILNS1_25lookback_scan_determinismE0ELb1ELb1ES3_N6thrust23THRUST_200600_302600_NS6detail15normal_iteratorINS9_10device_ptrIxEEEESE_xNS9_4plusIvEExEEDaPvRmT3_T4_T5_mT6_P12ihipStream_tbENKUlT_T0_E_clISt17integral_constantIbLb0EESU_EEDaSP_SQ_EUlSP_E_NS1_11comp_targetILNS1_3genE3ELNS1_11target_archE908ELNS1_3gpuE7ELNS1_3repE0EEENS1_30default_config_static_selectorELNS0_4arch9wavefront6targetE1EEEvT1_, .Lfunc_end129-_ZN7rocprim17ROCPRIM_400000_NS6detail17trampoline_kernelINS0_14default_configENS1_20scan_config_selectorIxEEZZNS1_9scan_implILNS1_25lookback_scan_determinismE0ELb1ELb1ES3_N6thrust23THRUST_200600_302600_NS6detail15normal_iteratorINS9_10device_ptrIxEEEESE_xNS9_4plusIvEExEEDaPvRmT3_T4_T5_mT6_P12ihipStream_tbENKUlT_T0_E_clISt17integral_constantIbLb0EESU_EEDaSP_SQ_EUlSP_E_NS1_11comp_targetILNS1_3genE3ELNS1_11target_archE908ELNS1_3gpuE7ELNS1_3repE0EEENS1_30default_config_static_selectorELNS0_4arch9wavefront6targetE1EEEvT1_
                                        ; -- End function
	.section	.AMDGPU.csdata,"",@progbits
; Kernel info:
; codeLenInByte = 0
; NumSgprs: 4
; NumVgprs: 0
; NumAgprs: 0
; TotalNumVgprs: 0
; ScratchSize: 0
; MemoryBound: 0
; FloatMode: 240
; IeeeMode: 1
; LDSByteSize: 0 bytes/workgroup (compile time only)
; SGPRBlocks: 0
; VGPRBlocks: 0
; NumSGPRsForWavesPerEU: 4
; NumVGPRsForWavesPerEU: 1
; AccumOffset: 4
; Occupancy: 8
; WaveLimiterHint : 0
; COMPUTE_PGM_RSRC2:SCRATCH_EN: 0
; COMPUTE_PGM_RSRC2:USER_SGPR: 6
; COMPUTE_PGM_RSRC2:TRAP_HANDLER: 0
; COMPUTE_PGM_RSRC2:TGID_X_EN: 1
; COMPUTE_PGM_RSRC2:TGID_Y_EN: 0
; COMPUTE_PGM_RSRC2:TGID_Z_EN: 0
; COMPUTE_PGM_RSRC2:TIDIG_COMP_CNT: 0
; COMPUTE_PGM_RSRC3_GFX90A:ACCUM_OFFSET: 0
; COMPUTE_PGM_RSRC3_GFX90A:TG_SPLIT: 0
	.section	.text._ZN7rocprim17ROCPRIM_400000_NS6detail17trampoline_kernelINS0_14default_configENS1_20scan_config_selectorIxEEZZNS1_9scan_implILNS1_25lookback_scan_determinismE0ELb1ELb1ES3_N6thrust23THRUST_200600_302600_NS6detail15normal_iteratorINS9_10device_ptrIxEEEESE_xNS9_4plusIvEExEEDaPvRmT3_T4_T5_mT6_P12ihipStream_tbENKUlT_T0_E_clISt17integral_constantIbLb0EESU_EEDaSP_SQ_EUlSP_E_NS1_11comp_targetILNS1_3genE2ELNS1_11target_archE906ELNS1_3gpuE6ELNS1_3repE0EEENS1_30default_config_static_selectorELNS0_4arch9wavefront6targetE1EEEvT1_,"axG",@progbits,_ZN7rocprim17ROCPRIM_400000_NS6detail17trampoline_kernelINS0_14default_configENS1_20scan_config_selectorIxEEZZNS1_9scan_implILNS1_25lookback_scan_determinismE0ELb1ELb1ES3_N6thrust23THRUST_200600_302600_NS6detail15normal_iteratorINS9_10device_ptrIxEEEESE_xNS9_4plusIvEExEEDaPvRmT3_T4_T5_mT6_P12ihipStream_tbENKUlT_T0_E_clISt17integral_constantIbLb0EESU_EEDaSP_SQ_EUlSP_E_NS1_11comp_targetILNS1_3genE2ELNS1_11target_archE906ELNS1_3gpuE6ELNS1_3repE0EEENS1_30default_config_static_selectorELNS0_4arch9wavefront6targetE1EEEvT1_,comdat
	.protected	_ZN7rocprim17ROCPRIM_400000_NS6detail17trampoline_kernelINS0_14default_configENS1_20scan_config_selectorIxEEZZNS1_9scan_implILNS1_25lookback_scan_determinismE0ELb1ELb1ES3_N6thrust23THRUST_200600_302600_NS6detail15normal_iteratorINS9_10device_ptrIxEEEESE_xNS9_4plusIvEExEEDaPvRmT3_T4_T5_mT6_P12ihipStream_tbENKUlT_T0_E_clISt17integral_constantIbLb0EESU_EEDaSP_SQ_EUlSP_E_NS1_11comp_targetILNS1_3genE2ELNS1_11target_archE906ELNS1_3gpuE6ELNS1_3repE0EEENS1_30default_config_static_selectorELNS0_4arch9wavefront6targetE1EEEvT1_ ; -- Begin function _ZN7rocprim17ROCPRIM_400000_NS6detail17trampoline_kernelINS0_14default_configENS1_20scan_config_selectorIxEEZZNS1_9scan_implILNS1_25lookback_scan_determinismE0ELb1ELb1ES3_N6thrust23THRUST_200600_302600_NS6detail15normal_iteratorINS9_10device_ptrIxEEEESE_xNS9_4plusIvEExEEDaPvRmT3_T4_T5_mT6_P12ihipStream_tbENKUlT_T0_E_clISt17integral_constantIbLb0EESU_EEDaSP_SQ_EUlSP_E_NS1_11comp_targetILNS1_3genE2ELNS1_11target_archE906ELNS1_3gpuE6ELNS1_3repE0EEENS1_30default_config_static_selectorELNS0_4arch9wavefront6targetE1EEEvT1_
	.globl	_ZN7rocprim17ROCPRIM_400000_NS6detail17trampoline_kernelINS0_14default_configENS1_20scan_config_selectorIxEEZZNS1_9scan_implILNS1_25lookback_scan_determinismE0ELb1ELb1ES3_N6thrust23THRUST_200600_302600_NS6detail15normal_iteratorINS9_10device_ptrIxEEEESE_xNS9_4plusIvEExEEDaPvRmT3_T4_T5_mT6_P12ihipStream_tbENKUlT_T0_E_clISt17integral_constantIbLb0EESU_EEDaSP_SQ_EUlSP_E_NS1_11comp_targetILNS1_3genE2ELNS1_11target_archE906ELNS1_3gpuE6ELNS1_3repE0EEENS1_30default_config_static_selectorELNS0_4arch9wavefront6targetE1EEEvT1_
	.p2align	8
	.type	_ZN7rocprim17ROCPRIM_400000_NS6detail17trampoline_kernelINS0_14default_configENS1_20scan_config_selectorIxEEZZNS1_9scan_implILNS1_25lookback_scan_determinismE0ELb1ELb1ES3_N6thrust23THRUST_200600_302600_NS6detail15normal_iteratorINS9_10device_ptrIxEEEESE_xNS9_4plusIvEExEEDaPvRmT3_T4_T5_mT6_P12ihipStream_tbENKUlT_T0_E_clISt17integral_constantIbLb0EESU_EEDaSP_SQ_EUlSP_E_NS1_11comp_targetILNS1_3genE2ELNS1_11target_archE906ELNS1_3gpuE6ELNS1_3repE0EEENS1_30default_config_static_selectorELNS0_4arch9wavefront6targetE1EEEvT1_,@function
_ZN7rocprim17ROCPRIM_400000_NS6detail17trampoline_kernelINS0_14default_configENS1_20scan_config_selectorIxEEZZNS1_9scan_implILNS1_25lookback_scan_determinismE0ELb1ELb1ES3_N6thrust23THRUST_200600_302600_NS6detail15normal_iteratorINS9_10device_ptrIxEEEESE_xNS9_4plusIvEExEEDaPvRmT3_T4_T5_mT6_P12ihipStream_tbENKUlT_T0_E_clISt17integral_constantIbLb0EESU_EEDaSP_SQ_EUlSP_E_NS1_11comp_targetILNS1_3genE2ELNS1_11target_archE906ELNS1_3gpuE6ELNS1_3repE0EEENS1_30default_config_static_selectorELNS0_4arch9wavefront6targetE1EEEvT1_: ; @_ZN7rocprim17ROCPRIM_400000_NS6detail17trampoline_kernelINS0_14default_configENS1_20scan_config_selectorIxEEZZNS1_9scan_implILNS1_25lookback_scan_determinismE0ELb1ELb1ES3_N6thrust23THRUST_200600_302600_NS6detail15normal_iteratorINS9_10device_ptrIxEEEESE_xNS9_4plusIvEExEEDaPvRmT3_T4_T5_mT6_P12ihipStream_tbENKUlT_T0_E_clISt17integral_constantIbLb0EESU_EEDaSP_SQ_EUlSP_E_NS1_11comp_targetILNS1_3genE2ELNS1_11target_archE906ELNS1_3gpuE6ELNS1_3repE0EEENS1_30default_config_static_selectorELNS0_4arch9wavefront6targetE1EEEvT1_
; %bb.0:
	.section	.rodata,"a",@progbits
	.p2align	6, 0x0
	.amdhsa_kernel _ZN7rocprim17ROCPRIM_400000_NS6detail17trampoline_kernelINS0_14default_configENS1_20scan_config_selectorIxEEZZNS1_9scan_implILNS1_25lookback_scan_determinismE0ELb1ELb1ES3_N6thrust23THRUST_200600_302600_NS6detail15normal_iteratorINS9_10device_ptrIxEEEESE_xNS9_4plusIvEExEEDaPvRmT3_T4_T5_mT6_P12ihipStream_tbENKUlT_T0_E_clISt17integral_constantIbLb0EESU_EEDaSP_SQ_EUlSP_E_NS1_11comp_targetILNS1_3genE2ELNS1_11target_archE906ELNS1_3gpuE6ELNS1_3repE0EEENS1_30default_config_static_selectorELNS0_4arch9wavefront6targetE1EEEvT1_
		.amdhsa_group_segment_fixed_size 0
		.amdhsa_private_segment_fixed_size 0
		.amdhsa_kernarg_size 104
		.amdhsa_user_sgpr_count 6
		.amdhsa_user_sgpr_private_segment_buffer 1
		.amdhsa_user_sgpr_dispatch_ptr 0
		.amdhsa_user_sgpr_queue_ptr 0
		.amdhsa_user_sgpr_kernarg_segment_ptr 1
		.amdhsa_user_sgpr_dispatch_id 0
		.amdhsa_user_sgpr_flat_scratch_init 0
		.amdhsa_user_sgpr_kernarg_preload_length 0
		.amdhsa_user_sgpr_kernarg_preload_offset 0
		.amdhsa_user_sgpr_private_segment_size 0
		.amdhsa_uses_dynamic_stack 0
		.amdhsa_system_sgpr_private_segment_wavefront_offset 0
		.amdhsa_system_sgpr_workgroup_id_x 1
		.amdhsa_system_sgpr_workgroup_id_y 0
		.amdhsa_system_sgpr_workgroup_id_z 0
		.amdhsa_system_sgpr_workgroup_info 0
		.amdhsa_system_vgpr_workitem_id 0
		.amdhsa_next_free_vgpr 1
		.amdhsa_next_free_sgpr 0
		.amdhsa_accum_offset 4
		.amdhsa_reserve_vcc 0
		.amdhsa_reserve_flat_scratch 0
		.amdhsa_float_round_mode_32 0
		.amdhsa_float_round_mode_16_64 0
		.amdhsa_float_denorm_mode_32 3
		.amdhsa_float_denorm_mode_16_64 3
		.amdhsa_dx10_clamp 1
		.amdhsa_ieee_mode 1
		.amdhsa_fp16_overflow 0
		.amdhsa_tg_split 0
		.amdhsa_exception_fp_ieee_invalid_op 0
		.amdhsa_exception_fp_denorm_src 0
		.amdhsa_exception_fp_ieee_div_zero 0
		.amdhsa_exception_fp_ieee_overflow 0
		.amdhsa_exception_fp_ieee_underflow 0
		.amdhsa_exception_fp_ieee_inexact 0
		.amdhsa_exception_int_div_zero 0
	.end_amdhsa_kernel
	.section	.text._ZN7rocprim17ROCPRIM_400000_NS6detail17trampoline_kernelINS0_14default_configENS1_20scan_config_selectorIxEEZZNS1_9scan_implILNS1_25lookback_scan_determinismE0ELb1ELb1ES3_N6thrust23THRUST_200600_302600_NS6detail15normal_iteratorINS9_10device_ptrIxEEEESE_xNS9_4plusIvEExEEDaPvRmT3_T4_T5_mT6_P12ihipStream_tbENKUlT_T0_E_clISt17integral_constantIbLb0EESU_EEDaSP_SQ_EUlSP_E_NS1_11comp_targetILNS1_3genE2ELNS1_11target_archE906ELNS1_3gpuE6ELNS1_3repE0EEENS1_30default_config_static_selectorELNS0_4arch9wavefront6targetE1EEEvT1_,"axG",@progbits,_ZN7rocprim17ROCPRIM_400000_NS6detail17trampoline_kernelINS0_14default_configENS1_20scan_config_selectorIxEEZZNS1_9scan_implILNS1_25lookback_scan_determinismE0ELb1ELb1ES3_N6thrust23THRUST_200600_302600_NS6detail15normal_iteratorINS9_10device_ptrIxEEEESE_xNS9_4plusIvEExEEDaPvRmT3_T4_T5_mT6_P12ihipStream_tbENKUlT_T0_E_clISt17integral_constantIbLb0EESU_EEDaSP_SQ_EUlSP_E_NS1_11comp_targetILNS1_3genE2ELNS1_11target_archE906ELNS1_3gpuE6ELNS1_3repE0EEENS1_30default_config_static_selectorELNS0_4arch9wavefront6targetE1EEEvT1_,comdat
.Lfunc_end130:
	.size	_ZN7rocprim17ROCPRIM_400000_NS6detail17trampoline_kernelINS0_14default_configENS1_20scan_config_selectorIxEEZZNS1_9scan_implILNS1_25lookback_scan_determinismE0ELb1ELb1ES3_N6thrust23THRUST_200600_302600_NS6detail15normal_iteratorINS9_10device_ptrIxEEEESE_xNS9_4plusIvEExEEDaPvRmT3_T4_T5_mT6_P12ihipStream_tbENKUlT_T0_E_clISt17integral_constantIbLb0EESU_EEDaSP_SQ_EUlSP_E_NS1_11comp_targetILNS1_3genE2ELNS1_11target_archE906ELNS1_3gpuE6ELNS1_3repE0EEENS1_30default_config_static_selectorELNS0_4arch9wavefront6targetE1EEEvT1_, .Lfunc_end130-_ZN7rocprim17ROCPRIM_400000_NS6detail17trampoline_kernelINS0_14default_configENS1_20scan_config_selectorIxEEZZNS1_9scan_implILNS1_25lookback_scan_determinismE0ELb1ELb1ES3_N6thrust23THRUST_200600_302600_NS6detail15normal_iteratorINS9_10device_ptrIxEEEESE_xNS9_4plusIvEExEEDaPvRmT3_T4_T5_mT6_P12ihipStream_tbENKUlT_T0_E_clISt17integral_constantIbLb0EESU_EEDaSP_SQ_EUlSP_E_NS1_11comp_targetILNS1_3genE2ELNS1_11target_archE906ELNS1_3gpuE6ELNS1_3repE0EEENS1_30default_config_static_selectorELNS0_4arch9wavefront6targetE1EEEvT1_
                                        ; -- End function
	.section	.AMDGPU.csdata,"",@progbits
; Kernel info:
; codeLenInByte = 0
; NumSgprs: 4
; NumVgprs: 0
; NumAgprs: 0
; TotalNumVgprs: 0
; ScratchSize: 0
; MemoryBound: 0
; FloatMode: 240
; IeeeMode: 1
; LDSByteSize: 0 bytes/workgroup (compile time only)
; SGPRBlocks: 0
; VGPRBlocks: 0
; NumSGPRsForWavesPerEU: 4
; NumVGPRsForWavesPerEU: 1
; AccumOffset: 4
; Occupancy: 8
; WaveLimiterHint : 0
; COMPUTE_PGM_RSRC2:SCRATCH_EN: 0
; COMPUTE_PGM_RSRC2:USER_SGPR: 6
; COMPUTE_PGM_RSRC2:TRAP_HANDLER: 0
; COMPUTE_PGM_RSRC2:TGID_X_EN: 1
; COMPUTE_PGM_RSRC2:TGID_Y_EN: 0
; COMPUTE_PGM_RSRC2:TGID_Z_EN: 0
; COMPUTE_PGM_RSRC2:TIDIG_COMP_CNT: 0
; COMPUTE_PGM_RSRC3_GFX90A:ACCUM_OFFSET: 0
; COMPUTE_PGM_RSRC3_GFX90A:TG_SPLIT: 0
	.section	.text._ZN7rocprim17ROCPRIM_400000_NS6detail17trampoline_kernelINS0_14default_configENS1_20scan_config_selectorIxEEZZNS1_9scan_implILNS1_25lookback_scan_determinismE0ELb1ELb1ES3_N6thrust23THRUST_200600_302600_NS6detail15normal_iteratorINS9_10device_ptrIxEEEESE_xNS9_4plusIvEExEEDaPvRmT3_T4_T5_mT6_P12ihipStream_tbENKUlT_T0_E_clISt17integral_constantIbLb0EESU_EEDaSP_SQ_EUlSP_E_NS1_11comp_targetILNS1_3genE10ELNS1_11target_archE1201ELNS1_3gpuE5ELNS1_3repE0EEENS1_30default_config_static_selectorELNS0_4arch9wavefront6targetE1EEEvT1_,"axG",@progbits,_ZN7rocprim17ROCPRIM_400000_NS6detail17trampoline_kernelINS0_14default_configENS1_20scan_config_selectorIxEEZZNS1_9scan_implILNS1_25lookback_scan_determinismE0ELb1ELb1ES3_N6thrust23THRUST_200600_302600_NS6detail15normal_iteratorINS9_10device_ptrIxEEEESE_xNS9_4plusIvEExEEDaPvRmT3_T4_T5_mT6_P12ihipStream_tbENKUlT_T0_E_clISt17integral_constantIbLb0EESU_EEDaSP_SQ_EUlSP_E_NS1_11comp_targetILNS1_3genE10ELNS1_11target_archE1201ELNS1_3gpuE5ELNS1_3repE0EEENS1_30default_config_static_selectorELNS0_4arch9wavefront6targetE1EEEvT1_,comdat
	.protected	_ZN7rocprim17ROCPRIM_400000_NS6detail17trampoline_kernelINS0_14default_configENS1_20scan_config_selectorIxEEZZNS1_9scan_implILNS1_25lookback_scan_determinismE0ELb1ELb1ES3_N6thrust23THRUST_200600_302600_NS6detail15normal_iteratorINS9_10device_ptrIxEEEESE_xNS9_4plusIvEExEEDaPvRmT3_T4_T5_mT6_P12ihipStream_tbENKUlT_T0_E_clISt17integral_constantIbLb0EESU_EEDaSP_SQ_EUlSP_E_NS1_11comp_targetILNS1_3genE10ELNS1_11target_archE1201ELNS1_3gpuE5ELNS1_3repE0EEENS1_30default_config_static_selectorELNS0_4arch9wavefront6targetE1EEEvT1_ ; -- Begin function _ZN7rocprim17ROCPRIM_400000_NS6detail17trampoline_kernelINS0_14default_configENS1_20scan_config_selectorIxEEZZNS1_9scan_implILNS1_25lookback_scan_determinismE0ELb1ELb1ES3_N6thrust23THRUST_200600_302600_NS6detail15normal_iteratorINS9_10device_ptrIxEEEESE_xNS9_4plusIvEExEEDaPvRmT3_T4_T5_mT6_P12ihipStream_tbENKUlT_T0_E_clISt17integral_constantIbLb0EESU_EEDaSP_SQ_EUlSP_E_NS1_11comp_targetILNS1_3genE10ELNS1_11target_archE1201ELNS1_3gpuE5ELNS1_3repE0EEENS1_30default_config_static_selectorELNS0_4arch9wavefront6targetE1EEEvT1_
	.globl	_ZN7rocprim17ROCPRIM_400000_NS6detail17trampoline_kernelINS0_14default_configENS1_20scan_config_selectorIxEEZZNS1_9scan_implILNS1_25lookback_scan_determinismE0ELb1ELb1ES3_N6thrust23THRUST_200600_302600_NS6detail15normal_iteratorINS9_10device_ptrIxEEEESE_xNS9_4plusIvEExEEDaPvRmT3_T4_T5_mT6_P12ihipStream_tbENKUlT_T0_E_clISt17integral_constantIbLb0EESU_EEDaSP_SQ_EUlSP_E_NS1_11comp_targetILNS1_3genE10ELNS1_11target_archE1201ELNS1_3gpuE5ELNS1_3repE0EEENS1_30default_config_static_selectorELNS0_4arch9wavefront6targetE1EEEvT1_
	.p2align	8
	.type	_ZN7rocprim17ROCPRIM_400000_NS6detail17trampoline_kernelINS0_14default_configENS1_20scan_config_selectorIxEEZZNS1_9scan_implILNS1_25lookback_scan_determinismE0ELb1ELb1ES3_N6thrust23THRUST_200600_302600_NS6detail15normal_iteratorINS9_10device_ptrIxEEEESE_xNS9_4plusIvEExEEDaPvRmT3_T4_T5_mT6_P12ihipStream_tbENKUlT_T0_E_clISt17integral_constantIbLb0EESU_EEDaSP_SQ_EUlSP_E_NS1_11comp_targetILNS1_3genE10ELNS1_11target_archE1201ELNS1_3gpuE5ELNS1_3repE0EEENS1_30default_config_static_selectorELNS0_4arch9wavefront6targetE1EEEvT1_,@function
_ZN7rocprim17ROCPRIM_400000_NS6detail17trampoline_kernelINS0_14default_configENS1_20scan_config_selectorIxEEZZNS1_9scan_implILNS1_25lookback_scan_determinismE0ELb1ELb1ES3_N6thrust23THRUST_200600_302600_NS6detail15normal_iteratorINS9_10device_ptrIxEEEESE_xNS9_4plusIvEExEEDaPvRmT3_T4_T5_mT6_P12ihipStream_tbENKUlT_T0_E_clISt17integral_constantIbLb0EESU_EEDaSP_SQ_EUlSP_E_NS1_11comp_targetILNS1_3genE10ELNS1_11target_archE1201ELNS1_3gpuE5ELNS1_3repE0EEENS1_30default_config_static_selectorELNS0_4arch9wavefront6targetE1EEEvT1_: ; @_ZN7rocprim17ROCPRIM_400000_NS6detail17trampoline_kernelINS0_14default_configENS1_20scan_config_selectorIxEEZZNS1_9scan_implILNS1_25lookback_scan_determinismE0ELb1ELb1ES3_N6thrust23THRUST_200600_302600_NS6detail15normal_iteratorINS9_10device_ptrIxEEEESE_xNS9_4plusIvEExEEDaPvRmT3_T4_T5_mT6_P12ihipStream_tbENKUlT_T0_E_clISt17integral_constantIbLb0EESU_EEDaSP_SQ_EUlSP_E_NS1_11comp_targetILNS1_3genE10ELNS1_11target_archE1201ELNS1_3gpuE5ELNS1_3repE0EEENS1_30default_config_static_selectorELNS0_4arch9wavefront6targetE1EEEvT1_
; %bb.0:
	.section	.rodata,"a",@progbits
	.p2align	6, 0x0
	.amdhsa_kernel _ZN7rocprim17ROCPRIM_400000_NS6detail17trampoline_kernelINS0_14default_configENS1_20scan_config_selectorIxEEZZNS1_9scan_implILNS1_25lookback_scan_determinismE0ELb1ELb1ES3_N6thrust23THRUST_200600_302600_NS6detail15normal_iteratorINS9_10device_ptrIxEEEESE_xNS9_4plusIvEExEEDaPvRmT3_T4_T5_mT6_P12ihipStream_tbENKUlT_T0_E_clISt17integral_constantIbLb0EESU_EEDaSP_SQ_EUlSP_E_NS1_11comp_targetILNS1_3genE10ELNS1_11target_archE1201ELNS1_3gpuE5ELNS1_3repE0EEENS1_30default_config_static_selectorELNS0_4arch9wavefront6targetE1EEEvT1_
		.amdhsa_group_segment_fixed_size 0
		.amdhsa_private_segment_fixed_size 0
		.amdhsa_kernarg_size 104
		.amdhsa_user_sgpr_count 6
		.amdhsa_user_sgpr_private_segment_buffer 1
		.amdhsa_user_sgpr_dispatch_ptr 0
		.amdhsa_user_sgpr_queue_ptr 0
		.amdhsa_user_sgpr_kernarg_segment_ptr 1
		.amdhsa_user_sgpr_dispatch_id 0
		.amdhsa_user_sgpr_flat_scratch_init 0
		.amdhsa_user_sgpr_kernarg_preload_length 0
		.amdhsa_user_sgpr_kernarg_preload_offset 0
		.amdhsa_user_sgpr_private_segment_size 0
		.amdhsa_uses_dynamic_stack 0
		.amdhsa_system_sgpr_private_segment_wavefront_offset 0
		.amdhsa_system_sgpr_workgroup_id_x 1
		.amdhsa_system_sgpr_workgroup_id_y 0
		.amdhsa_system_sgpr_workgroup_id_z 0
		.amdhsa_system_sgpr_workgroup_info 0
		.amdhsa_system_vgpr_workitem_id 0
		.amdhsa_next_free_vgpr 1
		.amdhsa_next_free_sgpr 0
		.amdhsa_accum_offset 4
		.amdhsa_reserve_vcc 0
		.amdhsa_reserve_flat_scratch 0
		.amdhsa_float_round_mode_32 0
		.amdhsa_float_round_mode_16_64 0
		.amdhsa_float_denorm_mode_32 3
		.amdhsa_float_denorm_mode_16_64 3
		.amdhsa_dx10_clamp 1
		.amdhsa_ieee_mode 1
		.amdhsa_fp16_overflow 0
		.amdhsa_tg_split 0
		.amdhsa_exception_fp_ieee_invalid_op 0
		.amdhsa_exception_fp_denorm_src 0
		.amdhsa_exception_fp_ieee_div_zero 0
		.amdhsa_exception_fp_ieee_overflow 0
		.amdhsa_exception_fp_ieee_underflow 0
		.amdhsa_exception_fp_ieee_inexact 0
		.amdhsa_exception_int_div_zero 0
	.end_amdhsa_kernel
	.section	.text._ZN7rocprim17ROCPRIM_400000_NS6detail17trampoline_kernelINS0_14default_configENS1_20scan_config_selectorIxEEZZNS1_9scan_implILNS1_25lookback_scan_determinismE0ELb1ELb1ES3_N6thrust23THRUST_200600_302600_NS6detail15normal_iteratorINS9_10device_ptrIxEEEESE_xNS9_4plusIvEExEEDaPvRmT3_T4_T5_mT6_P12ihipStream_tbENKUlT_T0_E_clISt17integral_constantIbLb0EESU_EEDaSP_SQ_EUlSP_E_NS1_11comp_targetILNS1_3genE10ELNS1_11target_archE1201ELNS1_3gpuE5ELNS1_3repE0EEENS1_30default_config_static_selectorELNS0_4arch9wavefront6targetE1EEEvT1_,"axG",@progbits,_ZN7rocprim17ROCPRIM_400000_NS6detail17trampoline_kernelINS0_14default_configENS1_20scan_config_selectorIxEEZZNS1_9scan_implILNS1_25lookback_scan_determinismE0ELb1ELb1ES3_N6thrust23THRUST_200600_302600_NS6detail15normal_iteratorINS9_10device_ptrIxEEEESE_xNS9_4plusIvEExEEDaPvRmT3_T4_T5_mT6_P12ihipStream_tbENKUlT_T0_E_clISt17integral_constantIbLb0EESU_EEDaSP_SQ_EUlSP_E_NS1_11comp_targetILNS1_3genE10ELNS1_11target_archE1201ELNS1_3gpuE5ELNS1_3repE0EEENS1_30default_config_static_selectorELNS0_4arch9wavefront6targetE1EEEvT1_,comdat
.Lfunc_end131:
	.size	_ZN7rocprim17ROCPRIM_400000_NS6detail17trampoline_kernelINS0_14default_configENS1_20scan_config_selectorIxEEZZNS1_9scan_implILNS1_25lookback_scan_determinismE0ELb1ELb1ES3_N6thrust23THRUST_200600_302600_NS6detail15normal_iteratorINS9_10device_ptrIxEEEESE_xNS9_4plusIvEExEEDaPvRmT3_T4_T5_mT6_P12ihipStream_tbENKUlT_T0_E_clISt17integral_constantIbLb0EESU_EEDaSP_SQ_EUlSP_E_NS1_11comp_targetILNS1_3genE10ELNS1_11target_archE1201ELNS1_3gpuE5ELNS1_3repE0EEENS1_30default_config_static_selectorELNS0_4arch9wavefront6targetE1EEEvT1_, .Lfunc_end131-_ZN7rocprim17ROCPRIM_400000_NS6detail17trampoline_kernelINS0_14default_configENS1_20scan_config_selectorIxEEZZNS1_9scan_implILNS1_25lookback_scan_determinismE0ELb1ELb1ES3_N6thrust23THRUST_200600_302600_NS6detail15normal_iteratorINS9_10device_ptrIxEEEESE_xNS9_4plusIvEExEEDaPvRmT3_T4_T5_mT6_P12ihipStream_tbENKUlT_T0_E_clISt17integral_constantIbLb0EESU_EEDaSP_SQ_EUlSP_E_NS1_11comp_targetILNS1_3genE10ELNS1_11target_archE1201ELNS1_3gpuE5ELNS1_3repE0EEENS1_30default_config_static_selectorELNS0_4arch9wavefront6targetE1EEEvT1_
                                        ; -- End function
	.section	.AMDGPU.csdata,"",@progbits
; Kernel info:
; codeLenInByte = 0
; NumSgprs: 4
; NumVgprs: 0
; NumAgprs: 0
; TotalNumVgprs: 0
; ScratchSize: 0
; MemoryBound: 0
; FloatMode: 240
; IeeeMode: 1
; LDSByteSize: 0 bytes/workgroup (compile time only)
; SGPRBlocks: 0
; VGPRBlocks: 0
; NumSGPRsForWavesPerEU: 4
; NumVGPRsForWavesPerEU: 1
; AccumOffset: 4
; Occupancy: 8
; WaveLimiterHint : 0
; COMPUTE_PGM_RSRC2:SCRATCH_EN: 0
; COMPUTE_PGM_RSRC2:USER_SGPR: 6
; COMPUTE_PGM_RSRC2:TRAP_HANDLER: 0
; COMPUTE_PGM_RSRC2:TGID_X_EN: 1
; COMPUTE_PGM_RSRC2:TGID_Y_EN: 0
; COMPUTE_PGM_RSRC2:TGID_Z_EN: 0
; COMPUTE_PGM_RSRC2:TIDIG_COMP_CNT: 0
; COMPUTE_PGM_RSRC3_GFX90A:ACCUM_OFFSET: 0
; COMPUTE_PGM_RSRC3_GFX90A:TG_SPLIT: 0
	.section	.text._ZN7rocprim17ROCPRIM_400000_NS6detail17trampoline_kernelINS0_14default_configENS1_20scan_config_selectorIxEEZZNS1_9scan_implILNS1_25lookback_scan_determinismE0ELb1ELb1ES3_N6thrust23THRUST_200600_302600_NS6detail15normal_iteratorINS9_10device_ptrIxEEEESE_xNS9_4plusIvEExEEDaPvRmT3_T4_T5_mT6_P12ihipStream_tbENKUlT_T0_E_clISt17integral_constantIbLb0EESU_EEDaSP_SQ_EUlSP_E_NS1_11comp_targetILNS1_3genE10ELNS1_11target_archE1200ELNS1_3gpuE4ELNS1_3repE0EEENS1_30default_config_static_selectorELNS0_4arch9wavefront6targetE1EEEvT1_,"axG",@progbits,_ZN7rocprim17ROCPRIM_400000_NS6detail17trampoline_kernelINS0_14default_configENS1_20scan_config_selectorIxEEZZNS1_9scan_implILNS1_25lookback_scan_determinismE0ELb1ELb1ES3_N6thrust23THRUST_200600_302600_NS6detail15normal_iteratorINS9_10device_ptrIxEEEESE_xNS9_4plusIvEExEEDaPvRmT3_T4_T5_mT6_P12ihipStream_tbENKUlT_T0_E_clISt17integral_constantIbLb0EESU_EEDaSP_SQ_EUlSP_E_NS1_11comp_targetILNS1_3genE10ELNS1_11target_archE1200ELNS1_3gpuE4ELNS1_3repE0EEENS1_30default_config_static_selectorELNS0_4arch9wavefront6targetE1EEEvT1_,comdat
	.protected	_ZN7rocprim17ROCPRIM_400000_NS6detail17trampoline_kernelINS0_14default_configENS1_20scan_config_selectorIxEEZZNS1_9scan_implILNS1_25lookback_scan_determinismE0ELb1ELb1ES3_N6thrust23THRUST_200600_302600_NS6detail15normal_iteratorINS9_10device_ptrIxEEEESE_xNS9_4plusIvEExEEDaPvRmT3_T4_T5_mT6_P12ihipStream_tbENKUlT_T0_E_clISt17integral_constantIbLb0EESU_EEDaSP_SQ_EUlSP_E_NS1_11comp_targetILNS1_3genE10ELNS1_11target_archE1200ELNS1_3gpuE4ELNS1_3repE0EEENS1_30default_config_static_selectorELNS0_4arch9wavefront6targetE1EEEvT1_ ; -- Begin function _ZN7rocprim17ROCPRIM_400000_NS6detail17trampoline_kernelINS0_14default_configENS1_20scan_config_selectorIxEEZZNS1_9scan_implILNS1_25lookback_scan_determinismE0ELb1ELb1ES3_N6thrust23THRUST_200600_302600_NS6detail15normal_iteratorINS9_10device_ptrIxEEEESE_xNS9_4plusIvEExEEDaPvRmT3_T4_T5_mT6_P12ihipStream_tbENKUlT_T0_E_clISt17integral_constantIbLb0EESU_EEDaSP_SQ_EUlSP_E_NS1_11comp_targetILNS1_3genE10ELNS1_11target_archE1200ELNS1_3gpuE4ELNS1_3repE0EEENS1_30default_config_static_selectorELNS0_4arch9wavefront6targetE1EEEvT1_
	.globl	_ZN7rocprim17ROCPRIM_400000_NS6detail17trampoline_kernelINS0_14default_configENS1_20scan_config_selectorIxEEZZNS1_9scan_implILNS1_25lookback_scan_determinismE0ELb1ELb1ES3_N6thrust23THRUST_200600_302600_NS6detail15normal_iteratorINS9_10device_ptrIxEEEESE_xNS9_4plusIvEExEEDaPvRmT3_T4_T5_mT6_P12ihipStream_tbENKUlT_T0_E_clISt17integral_constantIbLb0EESU_EEDaSP_SQ_EUlSP_E_NS1_11comp_targetILNS1_3genE10ELNS1_11target_archE1200ELNS1_3gpuE4ELNS1_3repE0EEENS1_30default_config_static_selectorELNS0_4arch9wavefront6targetE1EEEvT1_
	.p2align	8
	.type	_ZN7rocprim17ROCPRIM_400000_NS6detail17trampoline_kernelINS0_14default_configENS1_20scan_config_selectorIxEEZZNS1_9scan_implILNS1_25lookback_scan_determinismE0ELb1ELb1ES3_N6thrust23THRUST_200600_302600_NS6detail15normal_iteratorINS9_10device_ptrIxEEEESE_xNS9_4plusIvEExEEDaPvRmT3_T4_T5_mT6_P12ihipStream_tbENKUlT_T0_E_clISt17integral_constantIbLb0EESU_EEDaSP_SQ_EUlSP_E_NS1_11comp_targetILNS1_3genE10ELNS1_11target_archE1200ELNS1_3gpuE4ELNS1_3repE0EEENS1_30default_config_static_selectorELNS0_4arch9wavefront6targetE1EEEvT1_,@function
_ZN7rocprim17ROCPRIM_400000_NS6detail17trampoline_kernelINS0_14default_configENS1_20scan_config_selectorIxEEZZNS1_9scan_implILNS1_25lookback_scan_determinismE0ELb1ELb1ES3_N6thrust23THRUST_200600_302600_NS6detail15normal_iteratorINS9_10device_ptrIxEEEESE_xNS9_4plusIvEExEEDaPvRmT3_T4_T5_mT6_P12ihipStream_tbENKUlT_T0_E_clISt17integral_constantIbLb0EESU_EEDaSP_SQ_EUlSP_E_NS1_11comp_targetILNS1_3genE10ELNS1_11target_archE1200ELNS1_3gpuE4ELNS1_3repE0EEENS1_30default_config_static_selectorELNS0_4arch9wavefront6targetE1EEEvT1_: ; @_ZN7rocprim17ROCPRIM_400000_NS6detail17trampoline_kernelINS0_14default_configENS1_20scan_config_selectorIxEEZZNS1_9scan_implILNS1_25lookback_scan_determinismE0ELb1ELb1ES3_N6thrust23THRUST_200600_302600_NS6detail15normal_iteratorINS9_10device_ptrIxEEEESE_xNS9_4plusIvEExEEDaPvRmT3_T4_T5_mT6_P12ihipStream_tbENKUlT_T0_E_clISt17integral_constantIbLb0EESU_EEDaSP_SQ_EUlSP_E_NS1_11comp_targetILNS1_3genE10ELNS1_11target_archE1200ELNS1_3gpuE4ELNS1_3repE0EEENS1_30default_config_static_selectorELNS0_4arch9wavefront6targetE1EEEvT1_
; %bb.0:
	.section	.rodata,"a",@progbits
	.p2align	6, 0x0
	.amdhsa_kernel _ZN7rocprim17ROCPRIM_400000_NS6detail17trampoline_kernelINS0_14default_configENS1_20scan_config_selectorIxEEZZNS1_9scan_implILNS1_25lookback_scan_determinismE0ELb1ELb1ES3_N6thrust23THRUST_200600_302600_NS6detail15normal_iteratorINS9_10device_ptrIxEEEESE_xNS9_4plusIvEExEEDaPvRmT3_T4_T5_mT6_P12ihipStream_tbENKUlT_T0_E_clISt17integral_constantIbLb0EESU_EEDaSP_SQ_EUlSP_E_NS1_11comp_targetILNS1_3genE10ELNS1_11target_archE1200ELNS1_3gpuE4ELNS1_3repE0EEENS1_30default_config_static_selectorELNS0_4arch9wavefront6targetE1EEEvT1_
		.amdhsa_group_segment_fixed_size 0
		.amdhsa_private_segment_fixed_size 0
		.amdhsa_kernarg_size 104
		.amdhsa_user_sgpr_count 6
		.amdhsa_user_sgpr_private_segment_buffer 1
		.amdhsa_user_sgpr_dispatch_ptr 0
		.amdhsa_user_sgpr_queue_ptr 0
		.amdhsa_user_sgpr_kernarg_segment_ptr 1
		.amdhsa_user_sgpr_dispatch_id 0
		.amdhsa_user_sgpr_flat_scratch_init 0
		.amdhsa_user_sgpr_kernarg_preload_length 0
		.amdhsa_user_sgpr_kernarg_preload_offset 0
		.amdhsa_user_sgpr_private_segment_size 0
		.amdhsa_uses_dynamic_stack 0
		.amdhsa_system_sgpr_private_segment_wavefront_offset 0
		.amdhsa_system_sgpr_workgroup_id_x 1
		.amdhsa_system_sgpr_workgroup_id_y 0
		.amdhsa_system_sgpr_workgroup_id_z 0
		.amdhsa_system_sgpr_workgroup_info 0
		.amdhsa_system_vgpr_workitem_id 0
		.amdhsa_next_free_vgpr 1
		.amdhsa_next_free_sgpr 0
		.amdhsa_accum_offset 4
		.amdhsa_reserve_vcc 0
		.amdhsa_reserve_flat_scratch 0
		.amdhsa_float_round_mode_32 0
		.amdhsa_float_round_mode_16_64 0
		.amdhsa_float_denorm_mode_32 3
		.amdhsa_float_denorm_mode_16_64 3
		.amdhsa_dx10_clamp 1
		.amdhsa_ieee_mode 1
		.amdhsa_fp16_overflow 0
		.amdhsa_tg_split 0
		.amdhsa_exception_fp_ieee_invalid_op 0
		.amdhsa_exception_fp_denorm_src 0
		.amdhsa_exception_fp_ieee_div_zero 0
		.amdhsa_exception_fp_ieee_overflow 0
		.amdhsa_exception_fp_ieee_underflow 0
		.amdhsa_exception_fp_ieee_inexact 0
		.amdhsa_exception_int_div_zero 0
	.end_amdhsa_kernel
	.section	.text._ZN7rocprim17ROCPRIM_400000_NS6detail17trampoline_kernelINS0_14default_configENS1_20scan_config_selectorIxEEZZNS1_9scan_implILNS1_25lookback_scan_determinismE0ELb1ELb1ES3_N6thrust23THRUST_200600_302600_NS6detail15normal_iteratorINS9_10device_ptrIxEEEESE_xNS9_4plusIvEExEEDaPvRmT3_T4_T5_mT6_P12ihipStream_tbENKUlT_T0_E_clISt17integral_constantIbLb0EESU_EEDaSP_SQ_EUlSP_E_NS1_11comp_targetILNS1_3genE10ELNS1_11target_archE1200ELNS1_3gpuE4ELNS1_3repE0EEENS1_30default_config_static_selectorELNS0_4arch9wavefront6targetE1EEEvT1_,"axG",@progbits,_ZN7rocprim17ROCPRIM_400000_NS6detail17trampoline_kernelINS0_14default_configENS1_20scan_config_selectorIxEEZZNS1_9scan_implILNS1_25lookback_scan_determinismE0ELb1ELb1ES3_N6thrust23THRUST_200600_302600_NS6detail15normal_iteratorINS9_10device_ptrIxEEEESE_xNS9_4plusIvEExEEDaPvRmT3_T4_T5_mT6_P12ihipStream_tbENKUlT_T0_E_clISt17integral_constantIbLb0EESU_EEDaSP_SQ_EUlSP_E_NS1_11comp_targetILNS1_3genE10ELNS1_11target_archE1200ELNS1_3gpuE4ELNS1_3repE0EEENS1_30default_config_static_selectorELNS0_4arch9wavefront6targetE1EEEvT1_,comdat
.Lfunc_end132:
	.size	_ZN7rocprim17ROCPRIM_400000_NS6detail17trampoline_kernelINS0_14default_configENS1_20scan_config_selectorIxEEZZNS1_9scan_implILNS1_25lookback_scan_determinismE0ELb1ELb1ES3_N6thrust23THRUST_200600_302600_NS6detail15normal_iteratorINS9_10device_ptrIxEEEESE_xNS9_4plusIvEExEEDaPvRmT3_T4_T5_mT6_P12ihipStream_tbENKUlT_T0_E_clISt17integral_constantIbLb0EESU_EEDaSP_SQ_EUlSP_E_NS1_11comp_targetILNS1_3genE10ELNS1_11target_archE1200ELNS1_3gpuE4ELNS1_3repE0EEENS1_30default_config_static_selectorELNS0_4arch9wavefront6targetE1EEEvT1_, .Lfunc_end132-_ZN7rocprim17ROCPRIM_400000_NS6detail17trampoline_kernelINS0_14default_configENS1_20scan_config_selectorIxEEZZNS1_9scan_implILNS1_25lookback_scan_determinismE0ELb1ELb1ES3_N6thrust23THRUST_200600_302600_NS6detail15normal_iteratorINS9_10device_ptrIxEEEESE_xNS9_4plusIvEExEEDaPvRmT3_T4_T5_mT6_P12ihipStream_tbENKUlT_T0_E_clISt17integral_constantIbLb0EESU_EEDaSP_SQ_EUlSP_E_NS1_11comp_targetILNS1_3genE10ELNS1_11target_archE1200ELNS1_3gpuE4ELNS1_3repE0EEENS1_30default_config_static_selectorELNS0_4arch9wavefront6targetE1EEEvT1_
                                        ; -- End function
	.section	.AMDGPU.csdata,"",@progbits
; Kernel info:
; codeLenInByte = 0
; NumSgprs: 4
; NumVgprs: 0
; NumAgprs: 0
; TotalNumVgprs: 0
; ScratchSize: 0
; MemoryBound: 0
; FloatMode: 240
; IeeeMode: 1
; LDSByteSize: 0 bytes/workgroup (compile time only)
; SGPRBlocks: 0
; VGPRBlocks: 0
; NumSGPRsForWavesPerEU: 4
; NumVGPRsForWavesPerEU: 1
; AccumOffset: 4
; Occupancy: 8
; WaveLimiterHint : 0
; COMPUTE_PGM_RSRC2:SCRATCH_EN: 0
; COMPUTE_PGM_RSRC2:USER_SGPR: 6
; COMPUTE_PGM_RSRC2:TRAP_HANDLER: 0
; COMPUTE_PGM_RSRC2:TGID_X_EN: 1
; COMPUTE_PGM_RSRC2:TGID_Y_EN: 0
; COMPUTE_PGM_RSRC2:TGID_Z_EN: 0
; COMPUTE_PGM_RSRC2:TIDIG_COMP_CNT: 0
; COMPUTE_PGM_RSRC3_GFX90A:ACCUM_OFFSET: 0
; COMPUTE_PGM_RSRC3_GFX90A:TG_SPLIT: 0
	.section	.text._ZN7rocprim17ROCPRIM_400000_NS6detail17trampoline_kernelINS0_14default_configENS1_20scan_config_selectorIxEEZZNS1_9scan_implILNS1_25lookback_scan_determinismE0ELb1ELb1ES3_N6thrust23THRUST_200600_302600_NS6detail15normal_iteratorINS9_10device_ptrIxEEEESE_xNS9_4plusIvEExEEDaPvRmT3_T4_T5_mT6_P12ihipStream_tbENKUlT_T0_E_clISt17integral_constantIbLb0EESU_EEDaSP_SQ_EUlSP_E_NS1_11comp_targetILNS1_3genE9ELNS1_11target_archE1100ELNS1_3gpuE3ELNS1_3repE0EEENS1_30default_config_static_selectorELNS0_4arch9wavefront6targetE1EEEvT1_,"axG",@progbits,_ZN7rocprim17ROCPRIM_400000_NS6detail17trampoline_kernelINS0_14default_configENS1_20scan_config_selectorIxEEZZNS1_9scan_implILNS1_25lookback_scan_determinismE0ELb1ELb1ES3_N6thrust23THRUST_200600_302600_NS6detail15normal_iteratorINS9_10device_ptrIxEEEESE_xNS9_4plusIvEExEEDaPvRmT3_T4_T5_mT6_P12ihipStream_tbENKUlT_T0_E_clISt17integral_constantIbLb0EESU_EEDaSP_SQ_EUlSP_E_NS1_11comp_targetILNS1_3genE9ELNS1_11target_archE1100ELNS1_3gpuE3ELNS1_3repE0EEENS1_30default_config_static_selectorELNS0_4arch9wavefront6targetE1EEEvT1_,comdat
	.protected	_ZN7rocprim17ROCPRIM_400000_NS6detail17trampoline_kernelINS0_14default_configENS1_20scan_config_selectorIxEEZZNS1_9scan_implILNS1_25lookback_scan_determinismE0ELb1ELb1ES3_N6thrust23THRUST_200600_302600_NS6detail15normal_iteratorINS9_10device_ptrIxEEEESE_xNS9_4plusIvEExEEDaPvRmT3_T4_T5_mT6_P12ihipStream_tbENKUlT_T0_E_clISt17integral_constantIbLb0EESU_EEDaSP_SQ_EUlSP_E_NS1_11comp_targetILNS1_3genE9ELNS1_11target_archE1100ELNS1_3gpuE3ELNS1_3repE0EEENS1_30default_config_static_selectorELNS0_4arch9wavefront6targetE1EEEvT1_ ; -- Begin function _ZN7rocprim17ROCPRIM_400000_NS6detail17trampoline_kernelINS0_14default_configENS1_20scan_config_selectorIxEEZZNS1_9scan_implILNS1_25lookback_scan_determinismE0ELb1ELb1ES3_N6thrust23THRUST_200600_302600_NS6detail15normal_iteratorINS9_10device_ptrIxEEEESE_xNS9_4plusIvEExEEDaPvRmT3_T4_T5_mT6_P12ihipStream_tbENKUlT_T0_E_clISt17integral_constantIbLb0EESU_EEDaSP_SQ_EUlSP_E_NS1_11comp_targetILNS1_3genE9ELNS1_11target_archE1100ELNS1_3gpuE3ELNS1_3repE0EEENS1_30default_config_static_selectorELNS0_4arch9wavefront6targetE1EEEvT1_
	.globl	_ZN7rocprim17ROCPRIM_400000_NS6detail17trampoline_kernelINS0_14default_configENS1_20scan_config_selectorIxEEZZNS1_9scan_implILNS1_25lookback_scan_determinismE0ELb1ELb1ES3_N6thrust23THRUST_200600_302600_NS6detail15normal_iteratorINS9_10device_ptrIxEEEESE_xNS9_4plusIvEExEEDaPvRmT3_T4_T5_mT6_P12ihipStream_tbENKUlT_T0_E_clISt17integral_constantIbLb0EESU_EEDaSP_SQ_EUlSP_E_NS1_11comp_targetILNS1_3genE9ELNS1_11target_archE1100ELNS1_3gpuE3ELNS1_3repE0EEENS1_30default_config_static_selectorELNS0_4arch9wavefront6targetE1EEEvT1_
	.p2align	8
	.type	_ZN7rocprim17ROCPRIM_400000_NS6detail17trampoline_kernelINS0_14default_configENS1_20scan_config_selectorIxEEZZNS1_9scan_implILNS1_25lookback_scan_determinismE0ELb1ELb1ES3_N6thrust23THRUST_200600_302600_NS6detail15normal_iteratorINS9_10device_ptrIxEEEESE_xNS9_4plusIvEExEEDaPvRmT3_T4_T5_mT6_P12ihipStream_tbENKUlT_T0_E_clISt17integral_constantIbLb0EESU_EEDaSP_SQ_EUlSP_E_NS1_11comp_targetILNS1_3genE9ELNS1_11target_archE1100ELNS1_3gpuE3ELNS1_3repE0EEENS1_30default_config_static_selectorELNS0_4arch9wavefront6targetE1EEEvT1_,@function
_ZN7rocprim17ROCPRIM_400000_NS6detail17trampoline_kernelINS0_14default_configENS1_20scan_config_selectorIxEEZZNS1_9scan_implILNS1_25lookback_scan_determinismE0ELb1ELb1ES3_N6thrust23THRUST_200600_302600_NS6detail15normal_iteratorINS9_10device_ptrIxEEEESE_xNS9_4plusIvEExEEDaPvRmT3_T4_T5_mT6_P12ihipStream_tbENKUlT_T0_E_clISt17integral_constantIbLb0EESU_EEDaSP_SQ_EUlSP_E_NS1_11comp_targetILNS1_3genE9ELNS1_11target_archE1100ELNS1_3gpuE3ELNS1_3repE0EEENS1_30default_config_static_selectorELNS0_4arch9wavefront6targetE1EEEvT1_: ; @_ZN7rocprim17ROCPRIM_400000_NS6detail17trampoline_kernelINS0_14default_configENS1_20scan_config_selectorIxEEZZNS1_9scan_implILNS1_25lookback_scan_determinismE0ELb1ELb1ES3_N6thrust23THRUST_200600_302600_NS6detail15normal_iteratorINS9_10device_ptrIxEEEESE_xNS9_4plusIvEExEEDaPvRmT3_T4_T5_mT6_P12ihipStream_tbENKUlT_T0_E_clISt17integral_constantIbLb0EESU_EEDaSP_SQ_EUlSP_E_NS1_11comp_targetILNS1_3genE9ELNS1_11target_archE1100ELNS1_3gpuE3ELNS1_3repE0EEENS1_30default_config_static_selectorELNS0_4arch9wavefront6targetE1EEEvT1_
; %bb.0:
	.section	.rodata,"a",@progbits
	.p2align	6, 0x0
	.amdhsa_kernel _ZN7rocprim17ROCPRIM_400000_NS6detail17trampoline_kernelINS0_14default_configENS1_20scan_config_selectorIxEEZZNS1_9scan_implILNS1_25lookback_scan_determinismE0ELb1ELb1ES3_N6thrust23THRUST_200600_302600_NS6detail15normal_iteratorINS9_10device_ptrIxEEEESE_xNS9_4plusIvEExEEDaPvRmT3_T4_T5_mT6_P12ihipStream_tbENKUlT_T0_E_clISt17integral_constantIbLb0EESU_EEDaSP_SQ_EUlSP_E_NS1_11comp_targetILNS1_3genE9ELNS1_11target_archE1100ELNS1_3gpuE3ELNS1_3repE0EEENS1_30default_config_static_selectorELNS0_4arch9wavefront6targetE1EEEvT1_
		.amdhsa_group_segment_fixed_size 0
		.amdhsa_private_segment_fixed_size 0
		.amdhsa_kernarg_size 104
		.amdhsa_user_sgpr_count 6
		.amdhsa_user_sgpr_private_segment_buffer 1
		.amdhsa_user_sgpr_dispatch_ptr 0
		.amdhsa_user_sgpr_queue_ptr 0
		.amdhsa_user_sgpr_kernarg_segment_ptr 1
		.amdhsa_user_sgpr_dispatch_id 0
		.amdhsa_user_sgpr_flat_scratch_init 0
		.amdhsa_user_sgpr_kernarg_preload_length 0
		.amdhsa_user_sgpr_kernarg_preload_offset 0
		.amdhsa_user_sgpr_private_segment_size 0
		.amdhsa_uses_dynamic_stack 0
		.amdhsa_system_sgpr_private_segment_wavefront_offset 0
		.amdhsa_system_sgpr_workgroup_id_x 1
		.amdhsa_system_sgpr_workgroup_id_y 0
		.amdhsa_system_sgpr_workgroup_id_z 0
		.amdhsa_system_sgpr_workgroup_info 0
		.amdhsa_system_vgpr_workitem_id 0
		.amdhsa_next_free_vgpr 1
		.amdhsa_next_free_sgpr 0
		.amdhsa_accum_offset 4
		.amdhsa_reserve_vcc 0
		.amdhsa_reserve_flat_scratch 0
		.amdhsa_float_round_mode_32 0
		.amdhsa_float_round_mode_16_64 0
		.amdhsa_float_denorm_mode_32 3
		.amdhsa_float_denorm_mode_16_64 3
		.amdhsa_dx10_clamp 1
		.amdhsa_ieee_mode 1
		.amdhsa_fp16_overflow 0
		.amdhsa_tg_split 0
		.amdhsa_exception_fp_ieee_invalid_op 0
		.amdhsa_exception_fp_denorm_src 0
		.amdhsa_exception_fp_ieee_div_zero 0
		.amdhsa_exception_fp_ieee_overflow 0
		.amdhsa_exception_fp_ieee_underflow 0
		.amdhsa_exception_fp_ieee_inexact 0
		.amdhsa_exception_int_div_zero 0
	.end_amdhsa_kernel
	.section	.text._ZN7rocprim17ROCPRIM_400000_NS6detail17trampoline_kernelINS0_14default_configENS1_20scan_config_selectorIxEEZZNS1_9scan_implILNS1_25lookback_scan_determinismE0ELb1ELb1ES3_N6thrust23THRUST_200600_302600_NS6detail15normal_iteratorINS9_10device_ptrIxEEEESE_xNS9_4plusIvEExEEDaPvRmT3_T4_T5_mT6_P12ihipStream_tbENKUlT_T0_E_clISt17integral_constantIbLb0EESU_EEDaSP_SQ_EUlSP_E_NS1_11comp_targetILNS1_3genE9ELNS1_11target_archE1100ELNS1_3gpuE3ELNS1_3repE0EEENS1_30default_config_static_selectorELNS0_4arch9wavefront6targetE1EEEvT1_,"axG",@progbits,_ZN7rocprim17ROCPRIM_400000_NS6detail17trampoline_kernelINS0_14default_configENS1_20scan_config_selectorIxEEZZNS1_9scan_implILNS1_25lookback_scan_determinismE0ELb1ELb1ES3_N6thrust23THRUST_200600_302600_NS6detail15normal_iteratorINS9_10device_ptrIxEEEESE_xNS9_4plusIvEExEEDaPvRmT3_T4_T5_mT6_P12ihipStream_tbENKUlT_T0_E_clISt17integral_constantIbLb0EESU_EEDaSP_SQ_EUlSP_E_NS1_11comp_targetILNS1_3genE9ELNS1_11target_archE1100ELNS1_3gpuE3ELNS1_3repE0EEENS1_30default_config_static_selectorELNS0_4arch9wavefront6targetE1EEEvT1_,comdat
.Lfunc_end133:
	.size	_ZN7rocprim17ROCPRIM_400000_NS6detail17trampoline_kernelINS0_14default_configENS1_20scan_config_selectorIxEEZZNS1_9scan_implILNS1_25lookback_scan_determinismE0ELb1ELb1ES3_N6thrust23THRUST_200600_302600_NS6detail15normal_iteratorINS9_10device_ptrIxEEEESE_xNS9_4plusIvEExEEDaPvRmT3_T4_T5_mT6_P12ihipStream_tbENKUlT_T0_E_clISt17integral_constantIbLb0EESU_EEDaSP_SQ_EUlSP_E_NS1_11comp_targetILNS1_3genE9ELNS1_11target_archE1100ELNS1_3gpuE3ELNS1_3repE0EEENS1_30default_config_static_selectorELNS0_4arch9wavefront6targetE1EEEvT1_, .Lfunc_end133-_ZN7rocprim17ROCPRIM_400000_NS6detail17trampoline_kernelINS0_14default_configENS1_20scan_config_selectorIxEEZZNS1_9scan_implILNS1_25lookback_scan_determinismE0ELb1ELb1ES3_N6thrust23THRUST_200600_302600_NS6detail15normal_iteratorINS9_10device_ptrIxEEEESE_xNS9_4plusIvEExEEDaPvRmT3_T4_T5_mT6_P12ihipStream_tbENKUlT_T0_E_clISt17integral_constantIbLb0EESU_EEDaSP_SQ_EUlSP_E_NS1_11comp_targetILNS1_3genE9ELNS1_11target_archE1100ELNS1_3gpuE3ELNS1_3repE0EEENS1_30default_config_static_selectorELNS0_4arch9wavefront6targetE1EEEvT1_
                                        ; -- End function
	.section	.AMDGPU.csdata,"",@progbits
; Kernel info:
; codeLenInByte = 0
; NumSgprs: 4
; NumVgprs: 0
; NumAgprs: 0
; TotalNumVgprs: 0
; ScratchSize: 0
; MemoryBound: 0
; FloatMode: 240
; IeeeMode: 1
; LDSByteSize: 0 bytes/workgroup (compile time only)
; SGPRBlocks: 0
; VGPRBlocks: 0
; NumSGPRsForWavesPerEU: 4
; NumVGPRsForWavesPerEU: 1
; AccumOffset: 4
; Occupancy: 8
; WaveLimiterHint : 0
; COMPUTE_PGM_RSRC2:SCRATCH_EN: 0
; COMPUTE_PGM_RSRC2:USER_SGPR: 6
; COMPUTE_PGM_RSRC2:TRAP_HANDLER: 0
; COMPUTE_PGM_RSRC2:TGID_X_EN: 1
; COMPUTE_PGM_RSRC2:TGID_Y_EN: 0
; COMPUTE_PGM_RSRC2:TGID_Z_EN: 0
; COMPUTE_PGM_RSRC2:TIDIG_COMP_CNT: 0
; COMPUTE_PGM_RSRC3_GFX90A:ACCUM_OFFSET: 0
; COMPUTE_PGM_RSRC3_GFX90A:TG_SPLIT: 0
	.section	.text._ZN7rocprim17ROCPRIM_400000_NS6detail17trampoline_kernelINS0_14default_configENS1_20scan_config_selectorIxEEZZNS1_9scan_implILNS1_25lookback_scan_determinismE0ELb1ELb1ES3_N6thrust23THRUST_200600_302600_NS6detail15normal_iteratorINS9_10device_ptrIxEEEESE_xNS9_4plusIvEExEEDaPvRmT3_T4_T5_mT6_P12ihipStream_tbENKUlT_T0_E_clISt17integral_constantIbLb0EESU_EEDaSP_SQ_EUlSP_E_NS1_11comp_targetILNS1_3genE8ELNS1_11target_archE1030ELNS1_3gpuE2ELNS1_3repE0EEENS1_30default_config_static_selectorELNS0_4arch9wavefront6targetE1EEEvT1_,"axG",@progbits,_ZN7rocprim17ROCPRIM_400000_NS6detail17trampoline_kernelINS0_14default_configENS1_20scan_config_selectorIxEEZZNS1_9scan_implILNS1_25lookback_scan_determinismE0ELb1ELb1ES3_N6thrust23THRUST_200600_302600_NS6detail15normal_iteratorINS9_10device_ptrIxEEEESE_xNS9_4plusIvEExEEDaPvRmT3_T4_T5_mT6_P12ihipStream_tbENKUlT_T0_E_clISt17integral_constantIbLb0EESU_EEDaSP_SQ_EUlSP_E_NS1_11comp_targetILNS1_3genE8ELNS1_11target_archE1030ELNS1_3gpuE2ELNS1_3repE0EEENS1_30default_config_static_selectorELNS0_4arch9wavefront6targetE1EEEvT1_,comdat
	.protected	_ZN7rocprim17ROCPRIM_400000_NS6detail17trampoline_kernelINS0_14default_configENS1_20scan_config_selectorIxEEZZNS1_9scan_implILNS1_25lookback_scan_determinismE0ELb1ELb1ES3_N6thrust23THRUST_200600_302600_NS6detail15normal_iteratorINS9_10device_ptrIxEEEESE_xNS9_4plusIvEExEEDaPvRmT3_T4_T5_mT6_P12ihipStream_tbENKUlT_T0_E_clISt17integral_constantIbLb0EESU_EEDaSP_SQ_EUlSP_E_NS1_11comp_targetILNS1_3genE8ELNS1_11target_archE1030ELNS1_3gpuE2ELNS1_3repE0EEENS1_30default_config_static_selectorELNS0_4arch9wavefront6targetE1EEEvT1_ ; -- Begin function _ZN7rocprim17ROCPRIM_400000_NS6detail17trampoline_kernelINS0_14default_configENS1_20scan_config_selectorIxEEZZNS1_9scan_implILNS1_25lookback_scan_determinismE0ELb1ELb1ES3_N6thrust23THRUST_200600_302600_NS6detail15normal_iteratorINS9_10device_ptrIxEEEESE_xNS9_4plusIvEExEEDaPvRmT3_T4_T5_mT6_P12ihipStream_tbENKUlT_T0_E_clISt17integral_constantIbLb0EESU_EEDaSP_SQ_EUlSP_E_NS1_11comp_targetILNS1_3genE8ELNS1_11target_archE1030ELNS1_3gpuE2ELNS1_3repE0EEENS1_30default_config_static_selectorELNS0_4arch9wavefront6targetE1EEEvT1_
	.globl	_ZN7rocprim17ROCPRIM_400000_NS6detail17trampoline_kernelINS0_14default_configENS1_20scan_config_selectorIxEEZZNS1_9scan_implILNS1_25lookback_scan_determinismE0ELb1ELb1ES3_N6thrust23THRUST_200600_302600_NS6detail15normal_iteratorINS9_10device_ptrIxEEEESE_xNS9_4plusIvEExEEDaPvRmT3_T4_T5_mT6_P12ihipStream_tbENKUlT_T0_E_clISt17integral_constantIbLb0EESU_EEDaSP_SQ_EUlSP_E_NS1_11comp_targetILNS1_3genE8ELNS1_11target_archE1030ELNS1_3gpuE2ELNS1_3repE0EEENS1_30default_config_static_selectorELNS0_4arch9wavefront6targetE1EEEvT1_
	.p2align	8
	.type	_ZN7rocprim17ROCPRIM_400000_NS6detail17trampoline_kernelINS0_14default_configENS1_20scan_config_selectorIxEEZZNS1_9scan_implILNS1_25lookback_scan_determinismE0ELb1ELb1ES3_N6thrust23THRUST_200600_302600_NS6detail15normal_iteratorINS9_10device_ptrIxEEEESE_xNS9_4plusIvEExEEDaPvRmT3_T4_T5_mT6_P12ihipStream_tbENKUlT_T0_E_clISt17integral_constantIbLb0EESU_EEDaSP_SQ_EUlSP_E_NS1_11comp_targetILNS1_3genE8ELNS1_11target_archE1030ELNS1_3gpuE2ELNS1_3repE0EEENS1_30default_config_static_selectorELNS0_4arch9wavefront6targetE1EEEvT1_,@function
_ZN7rocprim17ROCPRIM_400000_NS6detail17trampoline_kernelINS0_14default_configENS1_20scan_config_selectorIxEEZZNS1_9scan_implILNS1_25lookback_scan_determinismE0ELb1ELb1ES3_N6thrust23THRUST_200600_302600_NS6detail15normal_iteratorINS9_10device_ptrIxEEEESE_xNS9_4plusIvEExEEDaPvRmT3_T4_T5_mT6_P12ihipStream_tbENKUlT_T0_E_clISt17integral_constantIbLb0EESU_EEDaSP_SQ_EUlSP_E_NS1_11comp_targetILNS1_3genE8ELNS1_11target_archE1030ELNS1_3gpuE2ELNS1_3repE0EEENS1_30default_config_static_selectorELNS0_4arch9wavefront6targetE1EEEvT1_: ; @_ZN7rocprim17ROCPRIM_400000_NS6detail17trampoline_kernelINS0_14default_configENS1_20scan_config_selectorIxEEZZNS1_9scan_implILNS1_25lookback_scan_determinismE0ELb1ELb1ES3_N6thrust23THRUST_200600_302600_NS6detail15normal_iteratorINS9_10device_ptrIxEEEESE_xNS9_4plusIvEExEEDaPvRmT3_T4_T5_mT6_P12ihipStream_tbENKUlT_T0_E_clISt17integral_constantIbLb0EESU_EEDaSP_SQ_EUlSP_E_NS1_11comp_targetILNS1_3genE8ELNS1_11target_archE1030ELNS1_3gpuE2ELNS1_3repE0EEENS1_30default_config_static_selectorELNS0_4arch9wavefront6targetE1EEEvT1_
; %bb.0:
	.section	.rodata,"a",@progbits
	.p2align	6, 0x0
	.amdhsa_kernel _ZN7rocprim17ROCPRIM_400000_NS6detail17trampoline_kernelINS0_14default_configENS1_20scan_config_selectorIxEEZZNS1_9scan_implILNS1_25lookback_scan_determinismE0ELb1ELb1ES3_N6thrust23THRUST_200600_302600_NS6detail15normal_iteratorINS9_10device_ptrIxEEEESE_xNS9_4plusIvEExEEDaPvRmT3_T4_T5_mT6_P12ihipStream_tbENKUlT_T0_E_clISt17integral_constantIbLb0EESU_EEDaSP_SQ_EUlSP_E_NS1_11comp_targetILNS1_3genE8ELNS1_11target_archE1030ELNS1_3gpuE2ELNS1_3repE0EEENS1_30default_config_static_selectorELNS0_4arch9wavefront6targetE1EEEvT1_
		.amdhsa_group_segment_fixed_size 0
		.amdhsa_private_segment_fixed_size 0
		.amdhsa_kernarg_size 104
		.amdhsa_user_sgpr_count 6
		.amdhsa_user_sgpr_private_segment_buffer 1
		.amdhsa_user_sgpr_dispatch_ptr 0
		.amdhsa_user_sgpr_queue_ptr 0
		.amdhsa_user_sgpr_kernarg_segment_ptr 1
		.amdhsa_user_sgpr_dispatch_id 0
		.amdhsa_user_sgpr_flat_scratch_init 0
		.amdhsa_user_sgpr_kernarg_preload_length 0
		.amdhsa_user_sgpr_kernarg_preload_offset 0
		.amdhsa_user_sgpr_private_segment_size 0
		.amdhsa_uses_dynamic_stack 0
		.amdhsa_system_sgpr_private_segment_wavefront_offset 0
		.amdhsa_system_sgpr_workgroup_id_x 1
		.amdhsa_system_sgpr_workgroup_id_y 0
		.amdhsa_system_sgpr_workgroup_id_z 0
		.amdhsa_system_sgpr_workgroup_info 0
		.amdhsa_system_vgpr_workitem_id 0
		.amdhsa_next_free_vgpr 1
		.amdhsa_next_free_sgpr 0
		.amdhsa_accum_offset 4
		.amdhsa_reserve_vcc 0
		.amdhsa_reserve_flat_scratch 0
		.amdhsa_float_round_mode_32 0
		.amdhsa_float_round_mode_16_64 0
		.amdhsa_float_denorm_mode_32 3
		.amdhsa_float_denorm_mode_16_64 3
		.amdhsa_dx10_clamp 1
		.amdhsa_ieee_mode 1
		.amdhsa_fp16_overflow 0
		.amdhsa_tg_split 0
		.amdhsa_exception_fp_ieee_invalid_op 0
		.amdhsa_exception_fp_denorm_src 0
		.amdhsa_exception_fp_ieee_div_zero 0
		.amdhsa_exception_fp_ieee_overflow 0
		.amdhsa_exception_fp_ieee_underflow 0
		.amdhsa_exception_fp_ieee_inexact 0
		.amdhsa_exception_int_div_zero 0
	.end_amdhsa_kernel
	.section	.text._ZN7rocprim17ROCPRIM_400000_NS6detail17trampoline_kernelINS0_14default_configENS1_20scan_config_selectorIxEEZZNS1_9scan_implILNS1_25lookback_scan_determinismE0ELb1ELb1ES3_N6thrust23THRUST_200600_302600_NS6detail15normal_iteratorINS9_10device_ptrIxEEEESE_xNS9_4plusIvEExEEDaPvRmT3_T4_T5_mT6_P12ihipStream_tbENKUlT_T0_E_clISt17integral_constantIbLb0EESU_EEDaSP_SQ_EUlSP_E_NS1_11comp_targetILNS1_3genE8ELNS1_11target_archE1030ELNS1_3gpuE2ELNS1_3repE0EEENS1_30default_config_static_selectorELNS0_4arch9wavefront6targetE1EEEvT1_,"axG",@progbits,_ZN7rocprim17ROCPRIM_400000_NS6detail17trampoline_kernelINS0_14default_configENS1_20scan_config_selectorIxEEZZNS1_9scan_implILNS1_25lookback_scan_determinismE0ELb1ELb1ES3_N6thrust23THRUST_200600_302600_NS6detail15normal_iteratorINS9_10device_ptrIxEEEESE_xNS9_4plusIvEExEEDaPvRmT3_T4_T5_mT6_P12ihipStream_tbENKUlT_T0_E_clISt17integral_constantIbLb0EESU_EEDaSP_SQ_EUlSP_E_NS1_11comp_targetILNS1_3genE8ELNS1_11target_archE1030ELNS1_3gpuE2ELNS1_3repE0EEENS1_30default_config_static_selectorELNS0_4arch9wavefront6targetE1EEEvT1_,comdat
.Lfunc_end134:
	.size	_ZN7rocprim17ROCPRIM_400000_NS6detail17trampoline_kernelINS0_14default_configENS1_20scan_config_selectorIxEEZZNS1_9scan_implILNS1_25lookback_scan_determinismE0ELb1ELb1ES3_N6thrust23THRUST_200600_302600_NS6detail15normal_iteratorINS9_10device_ptrIxEEEESE_xNS9_4plusIvEExEEDaPvRmT3_T4_T5_mT6_P12ihipStream_tbENKUlT_T0_E_clISt17integral_constantIbLb0EESU_EEDaSP_SQ_EUlSP_E_NS1_11comp_targetILNS1_3genE8ELNS1_11target_archE1030ELNS1_3gpuE2ELNS1_3repE0EEENS1_30default_config_static_selectorELNS0_4arch9wavefront6targetE1EEEvT1_, .Lfunc_end134-_ZN7rocprim17ROCPRIM_400000_NS6detail17trampoline_kernelINS0_14default_configENS1_20scan_config_selectorIxEEZZNS1_9scan_implILNS1_25lookback_scan_determinismE0ELb1ELb1ES3_N6thrust23THRUST_200600_302600_NS6detail15normal_iteratorINS9_10device_ptrIxEEEESE_xNS9_4plusIvEExEEDaPvRmT3_T4_T5_mT6_P12ihipStream_tbENKUlT_T0_E_clISt17integral_constantIbLb0EESU_EEDaSP_SQ_EUlSP_E_NS1_11comp_targetILNS1_3genE8ELNS1_11target_archE1030ELNS1_3gpuE2ELNS1_3repE0EEENS1_30default_config_static_selectorELNS0_4arch9wavefront6targetE1EEEvT1_
                                        ; -- End function
	.section	.AMDGPU.csdata,"",@progbits
; Kernel info:
; codeLenInByte = 0
; NumSgprs: 4
; NumVgprs: 0
; NumAgprs: 0
; TotalNumVgprs: 0
; ScratchSize: 0
; MemoryBound: 0
; FloatMode: 240
; IeeeMode: 1
; LDSByteSize: 0 bytes/workgroup (compile time only)
; SGPRBlocks: 0
; VGPRBlocks: 0
; NumSGPRsForWavesPerEU: 4
; NumVGPRsForWavesPerEU: 1
; AccumOffset: 4
; Occupancy: 8
; WaveLimiterHint : 0
; COMPUTE_PGM_RSRC2:SCRATCH_EN: 0
; COMPUTE_PGM_RSRC2:USER_SGPR: 6
; COMPUTE_PGM_RSRC2:TRAP_HANDLER: 0
; COMPUTE_PGM_RSRC2:TGID_X_EN: 1
; COMPUTE_PGM_RSRC2:TGID_Y_EN: 0
; COMPUTE_PGM_RSRC2:TGID_Z_EN: 0
; COMPUTE_PGM_RSRC2:TIDIG_COMP_CNT: 0
; COMPUTE_PGM_RSRC3_GFX90A:ACCUM_OFFSET: 0
; COMPUTE_PGM_RSRC3_GFX90A:TG_SPLIT: 0
	.section	.text._ZN7rocprim17ROCPRIM_400000_NS6detail17trampoline_kernelINS0_14default_configENS1_20scan_config_selectorIxEEZZNS1_9scan_implILNS1_25lookback_scan_determinismE0ELb1ELb1ES3_N6thrust23THRUST_200600_302600_NS6detail15normal_iteratorINS9_10device_ptrIxEEEESE_xNS9_4plusIvEExEEDaPvRmT3_T4_T5_mT6_P12ihipStream_tbENKUlT_T0_E_clISt17integral_constantIbLb0EESU_EEDaSP_SQ_EUlSP_E0_NS1_11comp_targetILNS1_3genE0ELNS1_11target_archE4294967295ELNS1_3gpuE0ELNS1_3repE0EEENS1_30default_config_static_selectorELNS0_4arch9wavefront6targetE1EEEvT1_,"axG",@progbits,_ZN7rocprim17ROCPRIM_400000_NS6detail17trampoline_kernelINS0_14default_configENS1_20scan_config_selectorIxEEZZNS1_9scan_implILNS1_25lookback_scan_determinismE0ELb1ELb1ES3_N6thrust23THRUST_200600_302600_NS6detail15normal_iteratorINS9_10device_ptrIxEEEESE_xNS9_4plusIvEExEEDaPvRmT3_T4_T5_mT6_P12ihipStream_tbENKUlT_T0_E_clISt17integral_constantIbLb0EESU_EEDaSP_SQ_EUlSP_E0_NS1_11comp_targetILNS1_3genE0ELNS1_11target_archE4294967295ELNS1_3gpuE0ELNS1_3repE0EEENS1_30default_config_static_selectorELNS0_4arch9wavefront6targetE1EEEvT1_,comdat
	.protected	_ZN7rocprim17ROCPRIM_400000_NS6detail17trampoline_kernelINS0_14default_configENS1_20scan_config_selectorIxEEZZNS1_9scan_implILNS1_25lookback_scan_determinismE0ELb1ELb1ES3_N6thrust23THRUST_200600_302600_NS6detail15normal_iteratorINS9_10device_ptrIxEEEESE_xNS9_4plusIvEExEEDaPvRmT3_T4_T5_mT6_P12ihipStream_tbENKUlT_T0_E_clISt17integral_constantIbLb0EESU_EEDaSP_SQ_EUlSP_E0_NS1_11comp_targetILNS1_3genE0ELNS1_11target_archE4294967295ELNS1_3gpuE0ELNS1_3repE0EEENS1_30default_config_static_selectorELNS0_4arch9wavefront6targetE1EEEvT1_ ; -- Begin function _ZN7rocprim17ROCPRIM_400000_NS6detail17trampoline_kernelINS0_14default_configENS1_20scan_config_selectorIxEEZZNS1_9scan_implILNS1_25lookback_scan_determinismE0ELb1ELb1ES3_N6thrust23THRUST_200600_302600_NS6detail15normal_iteratorINS9_10device_ptrIxEEEESE_xNS9_4plusIvEExEEDaPvRmT3_T4_T5_mT6_P12ihipStream_tbENKUlT_T0_E_clISt17integral_constantIbLb0EESU_EEDaSP_SQ_EUlSP_E0_NS1_11comp_targetILNS1_3genE0ELNS1_11target_archE4294967295ELNS1_3gpuE0ELNS1_3repE0EEENS1_30default_config_static_selectorELNS0_4arch9wavefront6targetE1EEEvT1_
	.globl	_ZN7rocprim17ROCPRIM_400000_NS6detail17trampoline_kernelINS0_14default_configENS1_20scan_config_selectorIxEEZZNS1_9scan_implILNS1_25lookback_scan_determinismE0ELb1ELb1ES3_N6thrust23THRUST_200600_302600_NS6detail15normal_iteratorINS9_10device_ptrIxEEEESE_xNS9_4plusIvEExEEDaPvRmT3_T4_T5_mT6_P12ihipStream_tbENKUlT_T0_E_clISt17integral_constantIbLb0EESU_EEDaSP_SQ_EUlSP_E0_NS1_11comp_targetILNS1_3genE0ELNS1_11target_archE4294967295ELNS1_3gpuE0ELNS1_3repE0EEENS1_30default_config_static_selectorELNS0_4arch9wavefront6targetE1EEEvT1_
	.p2align	8
	.type	_ZN7rocprim17ROCPRIM_400000_NS6detail17trampoline_kernelINS0_14default_configENS1_20scan_config_selectorIxEEZZNS1_9scan_implILNS1_25lookback_scan_determinismE0ELb1ELb1ES3_N6thrust23THRUST_200600_302600_NS6detail15normal_iteratorINS9_10device_ptrIxEEEESE_xNS9_4plusIvEExEEDaPvRmT3_T4_T5_mT6_P12ihipStream_tbENKUlT_T0_E_clISt17integral_constantIbLb0EESU_EEDaSP_SQ_EUlSP_E0_NS1_11comp_targetILNS1_3genE0ELNS1_11target_archE4294967295ELNS1_3gpuE0ELNS1_3repE0EEENS1_30default_config_static_selectorELNS0_4arch9wavefront6targetE1EEEvT1_,@function
_ZN7rocprim17ROCPRIM_400000_NS6detail17trampoline_kernelINS0_14default_configENS1_20scan_config_selectorIxEEZZNS1_9scan_implILNS1_25lookback_scan_determinismE0ELb1ELb1ES3_N6thrust23THRUST_200600_302600_NS6detail15normal_iteratorINS9_10device_ptrIxEEEESE_xNS9_4plusIvEExEEDaPvRmT3_T4_T5_mT6_P12ihipStream_tbENKUlT_T0_E_clISt17integral_constantIbLb0EESU_EEDaSP_SQ_EUlSP_E0_NS1_11comp_targetILNS1_3genE0ELNS1_11target_archE4294967295ELNS1_3gpuE0ELNS1_3repE0EEENS1_30default_config_static_selectorELNS0_4arch9wavefront6targetE1EEEvT1_: ; @_ZN7rocprim17ROCPRIM_400000_NS6detail17trampoline_kernelINS0_14default_configENS1_20scan_config_selectorIxEEZZNS1_9scan_implILNS1_25lookback_scan_determinismE0ELb1ELb1ES3_N6thrust23THRUST_200600_302600_NS6detail15normal_iteratorINS9_10device_ptrIxEEEESE_xNS9_4plusIvEExEEDaPvRmT3_T4_T5_mT6_P12ihipStream_tbENKUlT_T0_E_clISt17integral_constantIbLb0EESU_EEDaSP_SQ_EUlSP_E0_NS1_11comp_targetILNS1_3genE0ELNS1_11target_archE4294967295ELNS1_3gpuE0ELNS1_3repE0EEENS1_30default_config_static_selectorELNS0_4arch9wavefront6targetE1EEEvT1_
; %bb.0:
	.section	.rodata,"a",@progbits
	.p2align	6, 0x0
	.amdhsa_kernel _ZN7rocprim17ROCPRIM_400000_NS6detail17trampoline_kernelINS0_14default_configENS1_20scan_config_selectorIxEEZZNS1_9scan_implILNS1_25lookback_scan_determinismE0ELb1ELb1ES3_N6thrust23THRUST_200600_302600_NS6detail15normal_iteratorINS9_10device_ptrIxEEEESE_xNS9_4plusIvEExEEDaPvRmT3_T4_T5_mT6_P12ihipStream_tbENKUlT_T0_E_clISt17integral_constantIbLb0EESU_EEDaSP_SQ_EUlSP_E0_NS1_11comp_targetILNS1_3genE0ELNS1_11target_archE4294967295ELNS1_3gpuE0ELNS1_3repE0EEENS1_30default_config_static_selectorELNS0_4arch9wavefront6targetE1EEEvT1_
		.amdhsa_group_segment_fixed_size 0
		.amdhsa_private_segment_fixed_size 0
		.amdhsa_kernarg_size 40
		.amdhsa_user_sgpr_count 6
		.amdhsa_user_sgpr_private_segment_buffer 1
		.amdhsa_user_sgpr_dispatch_ptr 0
		.amdhsa_user_sgpr_queue_ptr 0
		.amdhsa_user_sgpr_kernarg_segment_ptr 1
		.amdhsa_user_sgpr_dispatch_id 0
		.amdhsa_user_sgpr_flat_scratch_init 0
		.amdhsa_user_sgpr_kernarg_preload_length 0
		.amdhsa_user_sgpr_kernarg_preload_offset 0
		.amdhsa_user_sgpr_private_segment_size 0
		.amdhsa_uses_dynamic_stack 0
		.amdhsa_system_sgpr_private_segment_wavefront_offset 0
		.amdhsa_system_sgpr_workgroup_id_x 1
		.amdhsa_system_sgpr_workgroup_id_y 0
		.amdhsa_system_sgpr_workgroup_id_z 0
		.amdhsa_system_sgpr_workgroup_info 0
		.amdhsa_system_vgpr_workitem_id 0
		.amdhsa_next_free_vgpr 1
		.amdhsa_next_free_sgpr 0
		.amdhsa_accum_offset 4
		.amdhsa_reserve_vcc 0
		.amdhsa_reserve_flat_scratch 0
		.amdhsa_float_round_mode_32 0
		.amdhsa_float_round_mode_16_64 0
		.amdhsa_float_denorm_mode_32 3
		.amdhsa_float_denorm_mode_16_64 3
		.amdhsa_dx10_clamp 1
		.amdhsa_ieee_mode 1
		.amdhsa_fp16_overflow 0
		.amdhsa_tg_split 0
		.amdhsa_exception_fp_ieee_invalid_op 0
		.amdhsa_exception_fp_denorm_src 0
		.amdhsa_exception_fp_ieee_div_zero 0
		.amdhsa_exception_fp_ieee_overflow 0
		.amdhsa_exception_fp_ieee_underflow 0
		.amdhsa_exception_fp_ieee_inexact 0
		.amdhsa_exception_int_div_zero 0
	.end_amdhsa_kernel
	.section	.text._ZN7rocprim17ROCPRIM_400000_NS6detail17trampoline_kernelINS0_14default_configENS1_20scan_config_selectorIxEEZZNS1_9scan_implILNS1_25lookback_scan_determinismE0ELb1ELb1ES3_N6thrust23THRUST_200600_302600_NS6detail15normal_iteratorINS9_10device_ptrIxEEEESE_xNS9_4plusIvEExEEDaPvRmT3_T4_T5_mT6_P12ihipStream_tbENKUlT_T0_E_clISt17integral_constantIbLb0EESU_EEDaSP_SQ_EUlSP_E0_NS1_11comp_targetILNS1_3genE0ELNS1_11target_archE4294967295ELNS1_3gpuE0ELNS1_3repE0EEENS1_30default_config_static_selectorELNS0_4arch9wavefront6targetE1EEEvT1_,"axG",@progbits,_ZN7rocprim17ROCPRIM_400000_NS6detail17trampoline_kernelINS0_14default_configENS1_20scan_config_selectorIxEEZZNS1_9scan_implILNS1_25lookback_scan_determinismE0ELb1ELb1ES3_N6thrust23THRUST_200600_302600_NS6detail15normal_iteratorINS9_10device_ptrIxEEEESE_xNS9_4plusIvEExEEDaPvRmT3_T4_T5_mT6_P12ihipStream_tbENKUlT_T0_E_clISt17integral_constantIbLb0EESU_EEDaSP_SQ_EUlSP_E0_NS1_11comp_targetILNS1_3genE0ELNS1_11target_archE4294967295ELNS1_3gpuE0ELNS1_3repE0EEENS1_30default_config_static_selectorELNS0_4arch9wavefront6targetE1EEEvT1_,comdat
.Lfunc_end135:
	.size	_ZN7rocprim17ROCPRIM_400000_NS6detail17trampoline_kernelINS0_14default_configENS1_20scan_config_selectorIxEEZZNS1_9scan_implILNS1_25lookback_scan_determinismE0ELb1ELb1ES3_N6thrust23THRUST_200600_302600_NS6detail15normal_iteratorINS9_10device_ptrIxEEEESE_xNS9_4plusIvEExEEDaPvRmT3_T4_T5_mT6_P12ihipStream_tbENKUlT_T0_E_clISt17integral_constantIbLb0EESU_EEDaSP_SQ_EUlSP_E0_NS1_11comp_targetILNS1_3genE0ELNS1_11target_archE4294967295ELNS1_3gpuE0ELNS1_3repE0EEENS1_30default_config_static_selectorELNS0_4arch9wavefront6targetE1EEEvT1_, .Lfunc_end135-_ZN7rocprim17ROCPRIM_400000_NS6detail17trampoline_kernelINS0_14default_configENS1_20scan_config_selectorIxEEZZNS1_9scan_implILNS1_25lookback_scan_determinismE0ELb1ELb1ES3_N6thrust23THRUST_200600_302600_NS6detail15normal_iteratorINS9_10device_ptrIxEEEESE_xNS9_4plusIvEExEEDaPvRmT3_T4_T5_mT6_P12ihipStream_tbENKUlT_T0_E_clISt17integral_constantIbLb0EESU_EEDaSP_SQ_EUlSP_E0_NS1_11comp_targetILNS1_3genE0ELNS1_11target_archE4294967295ELNS1_3gpuE0ELNS1_3repE0EEENS1_30default_config_static_selectorELNS0_4arch9wavefront6targetE1EEEvT1_
                                        ; -- End function
	.section	.AMDGPU.csdata,"",@progbits
; Kernel info:
; codeLenInByte = 0
; NumSgprs: 4
; NumVgprs: 0
; NumAgprs: 0
; TotalNumVgprs: 0
; ScratchSize: 0
; MemoryBound: 0
; FloatMode: 240
; IeeeMode: 1
; LDSByteSize: 0 bytes/workgroup (compile time only)
; SGPRBlocks: 0
; VGPRBlocks: 0
; NumSGPRsForWavesPerEU: 4
; NumVGPRsForWavesPerEU: 1
; AccumOffset: 4
; Occupancy: 8
; WaveLimiterHint : 0
; COMPUTE_PGM_RSRC2:SCRATCH_EN: 0
; COMPUTE_PGM_RSRC2:USER_SGPR: 6
; COMPUTE_PGM_RSRC2:TRAP_HANDLER: 0
; COMPUTE_PGM_RSRC2:TGID_X_EN: 1
; COMPUTE_PGM_RSRC2:TGID_Y_EN: 0
; COMPUTE_PGM_RSRC2:TGID_Z_EN: 0
; COMPUTE_PGM_RSRC2:TIDIG_COMP_CNT: 0
; COMPUTE_PGM_RSRC3_GFX90A:ACCUM_OFFSET: 0
; COMPUTE_PGM_RSRC3_GFX90A:TG_SPLIT: 0
	.section	.text._ZN7rocprim17ROCPRIM_400000_NS6detail17trampoline_kernelINS0_14default_configENS1_20scan_config_selectorIxEEZZNS1_9scan_implILNS1_25lookback_scan_determinismE0ELb1ELb1ES3_N6thrust23THRUST_200600_302600_NS6detail15normal_iteratorINS9_10device_ptrIxEEEESE_xNS9_4plusIvEExEEDaPvRmT3_T4_T5_mT6_P12ihipStream_tbENKUlT_T0_E_clISt17integral_constantIbLb0EESU_EEDaSP_SQ_EUlSP_E0_NS1_11comp_targetILNS1_3genE5ELNS1_11target_archE942ELNS1_3gpuE9ELNS1_3repE0EEENS1_30default_config_static_selectorELNS0_4arch9wavefront6targetE1EEEvT1_,"axG",@progbits,_ZN7rocprim17ROCPRIM_400000_NS6detail17trampoline_kernelINS0_14default_configENS1_20scan_config_selectorIxEEZZNS1_9scan_implILNS1_25lookback_scan_determinismE0ELb1ELb1ES3_N6thrust23THRUST_200600_302600_NS6detail15normal_iteratorINS9_10device_ptrIxEEEESE_xNS9_4plusIvEExEEDaPvRmT3_T4_T5_mT6_P12ihipStream_tbENKUlT_T0_E_clISt17integral_constantIbLb0EESU_EEDaSP_SQ_EUlSP_E0_NS1_11comp_targetILNS1_3genE5ELNS1_11target_archE942ELNS1_3gpuE9ELNS1_3repE0EEENS1_30default_config_static_selectorELNS0_4arch9wavefront6targetE1EEEvT1_,comdat
	.protected	_ZN7rocprim17ROCPRIM_400000_NS6detail17trampoline_kernelINS0_14default_configENS1_20scan_config_selectorIxEEZZNS1_9scan_implILNS1_25lookback_scan_determinismE0ELb1ELb1ES3_N6thrust23THRUST_200600_302600_NS6detail15normal_iteratorINS9_10device_ptrIxEEEESE_xNS9_4plusIvEExEEDaPvRmT3_T4_T5_mT6_P12ihipStream_tbENKUlT_T0_E_clISt17integral_constantIbLb0EESU_EEDaSP_SQ_EUlSP_E0_NS1_11comp_targetILNS1_3genE5ELNS1_11target_archE942ELNS1_3gpuE9ELNS1_3repE0EEENS1_30default_config_static_selectorELNS0_4arch9wavefront6targetE1EEEvT1_ ; -- Begin function _ZN7rocprim17ROCPRIM_400000_NS6detail17trampoline_kernelINS0_14default_configENS1_20scan_config_selectorIxEEZZNS1_9scan_implILNS1_25lookback_scan_determinismE0ELb1ELb1ES3_N6thrust23THRUST_200600_302600_NS6detail15normal_iteratorINS9_10device_ptrIxEEEESE_xNS9_4plusIvEExEEDaPvRmT3_T4_T5_mT6_P12ihipStream_tbENKUlT_T0_E_clISt17integral_constantIbLb0EESU_EEDaSP_SQ_EUlSP_E0_NS1_11comp_targetILNS1_3genE5ELNS1_11target_archE942ELNS1_3gpuE9ELNS1_3repE0EEENS1_30default_config_static_selectorELNS0_4arch9wavefront6targetE1EEEvT1_
	.globl	_ZN7rocprim17ROCPRIM_400000_NS6detail17trampoline_kernelINS0_14default_configENS1_20scan_config_selectorIxEEZZNS1_9scan_implILNS1_25lookback_scan_determinismE0ELb1ELb1ES3_N6thrust23THRUST_200600_302600_NS6detail15normal_iteratorINS9_10device_ptrIxEEEESE_xNS9_4plusIvEExEEDaPvRmT3_T4_T5_mT6_P12ihipStream_tbENKUlT_T0_E_clISt17integral_constantIbLb0EESU_EEDaSP_SQ_EUlSP_E0_NS1_11comp_targetILNS1_3genE5ELNS1_11target_archE942ELNS1_3gpuE9ELNS1_3repE0EEENS1_30default_config_static_selectorELNS0_4arch9wavefront6targetE1EEEvT1_
	.p2align	8
	.type	_ZN7rocprim17ROCPRIM_400000_NS6detail17trampoline_kernelINS0_14default_configENS1_20scan_config_selectorIxEEZZNS1_9scan_implILNS1_25lookback_scan_determinismE0ELb1ELb1ES3_N6thrust23THRUST_200600_302600_NS6detail15normal_iteratorINS9_10device_ptrIxEEEESE_xNS9_4plusIvEExEEDaPvRmT3_T4_T5_mT6_P12ihipStream_tbENKUlT_T0_E_clISt17integral_constantIbLb0EESU_EEDaSP_SQ_EUlSP_E0_NS1_11comp_targetILNS1_3genE5ELNS1_11target_archE942ELNS1_3gpuE9ELNS1_3repE0EEENS1_30default_config_static_selectorELNS0_4arch9wavefront6targetE1EEEvT1_,@function
_ZN7rocprim17ROCPRIM_400000_NS6detail17trampoline_kernelINS0_14default_configENS1_20scan_config_selectorIxEEZZNS1_9scan_implILNS1_25lookback_scan_determinismE0ELb1ELb1ES3_N6thrust23THRUST_200600_302600_NS6detail15normal_iteratorINS9_10device_ptrIxEEEESE_xNS9_4plusIvEExEEDaPvRmT3_T4_T5_mT6_P12ihipStream_tbENKUlT_T0_E_clISt17integral_constantIbLb0EESU_EEDaSP_SQ_EUlSP_E0_NS1_11comp_targetILNS1_3genE5ELNS1_11target_archE942ELNS1_3gpuE9ELNS1_3repE0EEENS1_30default_config_static_selectorELNS0_4arch9wavefront6targetE1EEEvT1_: ; @_ZN7rocprim17ROCPRIM_400000_NS6detail17trampoline_kernelINS0_14default_configENS1_20scan_config_selectorIxEEZZNS1_9scan_implILNS1_25lookback_scan_determinismE0ELb1ELb1ES3_N6thrust23THRUST_200600_302600_NS6detail15normal_iteratorINS9_10device_ptrIxEEEESE_xNS9_4plusIvEExEEDaPvRmT3_T4_T5_mT6_P12ihipStream_tbENKUlT_T0_E_clISt17integral_constantIbLb0EESU_EEDaSP_SQ_EUlSP_E0_NS1_11comp_targetILNS1_3genE5ELNS1_11target_archE942ELNS1_3gpuE9ELNS1_3repE0EEENS1_30default_config_static_selectorELNS0_4arch9wavefront6targetE1EEEvT1_
; %bb.0:
	.section	.rodata,"a",@progbits
	.p2align	6, 0x0
	.amdhsa_kernel _ZN7rocprim17ROCPRIM_400000_NS6detail17trampoline_kernelINS0_14default_configENS1_20scan_config_selectorIxEEZZNS1_9scan_implILNS1_25lookback_scan_determinismE0ELb1ELb1ES3_N6thrust23THRUST_200600_302600_NS6detail15normal_iteratorINS9_10device_ptrIxEEEESE_xNS9_4plusIvEExEEDaPvRmT3_T4_T5_mT6_P12ihipStream_tbENKUlT_T0_E_clISt17integral_constantIbLb0EESU_EEDaSP_SQ_EUlSP_E0_NS1_11comp_targetILNS1_3genE5ELNS1_11target_archE942ELNS1_3gpuE9ELNS1_3repE0EEENS1_30default_config_static_selectorELNS0_4arch9wavefront6targetE1EEEvT1_
		.amdhsa_group_segment_fixed_size 0
		.amdhsa_private_segment_fixed_size 0
		.amdhsa_kernarg_size 40
		.amdhsa_user_sgpr_count 6
		.amdhsa_user_sgpr_private_segment_buffer 1
		.amdhsa_user_sgpr_dispatch_ptr 0
		.amdhsa_user_sgpr_queue_ptr 0
		.amdhsa_user_sgpr_kernarg_segment_ptr 1
		.amdhsa_user_sgpr_dispatch_id 0
		.amdhsa_user_sgpr_flat_scratch_init 0
		.amdhsa_user_sgpr_kernarg_preload_length 0
		.amdhsa_user_sgpr_kernarg_preload_offset 0
		.amdhsa_user_sgpr_private_segment_size 0
		.amdhsa_uses_dynamic_stack 0
		.amdhsa_system_sgpr_private_segment_wavefront_offset 0
		.amdhsa_system_sgpr_workgroup_id_x 1
		.amdhsa_system_sgpr_workgroup_id_y 0
		.amdhsa_system_sgpr_workgroup_id_z 0
		.amdhsa_system_sgpr_workgroup_info 0
		.amdhsa_system_vgpr_workitem_id 0
		.amdhsa_next_free_vgpr 1
		.amdhsa_next_free_sgpr 0
		.amdhsa_accum_offset 4
		.amdhsa_reserve_vcc 0
		.amdhsa_reserve_flat_scratch 0
		.amdhsa_float_round_mode_32 0
		.amdhsa_float_round_mode_16_64 0
		.amdhsa_float_denorm_mode_32 3
		.amdhsa_float_denorm_mode_16_64 3
		.amdhsa_dx10_clamp 1
		.amdhsa_ieee_mode 1
		.amdhsa_fp16_overflow 0
		.amdhsa_tg_split 0
		.amdhsa_exception_fp_ieee_invalid_op 0
		.amdhsa_exception_fp_denorm_src 0
		.amdhsa_exception_fp_ieee_div_zero 0
		.amdhsa_exception_fp_ieee_overflow 0
		.amdhsa_exception_fp_ieee_underflow 0
		.amdhsa_exception_fp_ieee_inexact 0
		.amdhsa_exception_int_div_zero 0
	.end_amdhsa_kernel
	.section	.text._ZN7rocprim17ROCPRIM_400000_NS6detail17trampoline_kernelINS0_14default_configENS1_20scan_config_selectorIxEEZZNS1_9scan_implILNS1_25lookback_scan_determinismE0ELb1ELb1ES3_N6thrust23THRUST_200600_302600_NS6detail15normal_iteratorINS9_10device_ptrIxEEEESE_xNS9_4plusIvEExEEDaPvRmT3_T4_T5_mT6_P12ihipStream_tbENKUlT_T0_E_clISt17integral_constantIbLb0EESU_EEDaSP_SQ_EUlSP_E0_NS1_11comp_targetILNS1_3genE5ELNS1_11target_archE942ELNS1_3gpuE9ELNS1_3repE0EEENS1_30default_config_static_selectorELNS0_4arch9wavefront6targetE1EEEvT1_,"axG",@progbits,_ZN7rocprim17ROCPRIM_400000_NS6detail17trampoline_kernelINS0_14default_configENS1_20scan_config_selectorIxEEZZNS1_9scan_implILNS1_25lookback_scan_determinismE0ELb1ELb1ES3_N6thrust23THRUST_200600_302600_NS6detail15normal_iteratorINS9_10device_ptrIxEEEESE_xNS9_4plusIvEExEEDaPvRmT3_T4_T5_mT6_P12ihipStream_tbENKUlT_T0_E_clISt17integral_constantIbLb0EESU_EEDaSP_SQ_EUlSP_E0_NS1_11comp_targetILNS1_3genE5ELNS1_11target_archE942ELNS1_3gpuE9ELNS1_3repE0EEENS1_30default_config_static_selectorELNS0_4arch9wavefront6targetE1EEEvT1_,comdat
.Lfunc_end136:
	.size	_ZN7rocprim17ROCPRIM_400000_NS6detail17trampoline_kernelINS0_14default_configENS1_20scan_config_selectorIxEEZZNS1_9scan_implILNS1_25lookback_scan_determinismE0ELb1ELb1ES3_N6thrust23THRUST_200600_302600_NS6detail15normal_iteratorINS9_10device_ptrIxEEEESE_xNS9_4plusIvEExEEDaPvRmT3_T4_T5_mT6_P12ihipStream_tbENKUlT_T0_E_clISt17integral_constantIbLb0EESU_EEDaSP_SQ_EUlSP_E0_NS1_11comp_targetILNS1_3genE5ELNS1_11target_archE942ELNS1_3gpuE9ELNS1_3repE0EEENS1_30default_config_static_selectorELNS0_4arch9wavefront6targetE1EEEvT1_, .Lfunc_end136-_ZN7rocprim17ROCPRIM_400000_NS6detail17trampoline_kernelINS0_14default_configENS1_20scan_config_selectorIxEEZZNS1_9scan_implILNS1_25lookback_scan_determinismE0ELb1ELb1ES3_N6thrust23THRUST_200600_302600_NS6detail15normal_iteratorINS9_10device_ptrIxEEEESE_xNS9_4plusIvEExEEDaPvRmT3_T4_T5_mT6_P12ihipStream_tbENKUlT_T0_E_clISt17integral_constantIbLb0EESU_EEDaSP_SQ_EUlSP_E0_NS1_11comp_targetILNS1_3genE5ELNS1_11target_archE942ELNS1_3gpuE9ELNS1_3repE0EEENS1_30default_config_static_selectorELNS0_4arch9wavefront6targetE1EEEvT1_
                                        ; -- End function
	.section	.AMDGPU.csdata,"",@progbits
; Kernel info:
; codeLenInByte = 0
; NumSgprs: 4
; NumVgprs: 0
; NumAgprs: 0
; TotalNumVgprs: 0
; ScratchSize: 0
; MemoryBound: 0
; FloatMode: 240
; IeeeMode: 1
; LDSByteSize: 0 bytes/workgroup (compile time only)
; SGPRBlocks: 0
; VGPRBlocks: 0
; NumSGPRsForWavesPerEU: 4
; NumVGPRsForWavesPerEU: 1
; AccumOffset: 4
; Occupancy: 8
; WaveLimiterHint : 0
; COMPUTE_PGM_RSRC2:SCRATCH_EN: 0
; COMPUTE_PGM_RSRC2:USER_SGPR: 6
; COMPUTE_PGM_RSRC2:TRAP_HANDLER: 0
; COMPUTE_PGM_RSRC2:TGID_X_EN: 1
; COMPUTE_PGM_RSRC2:TGID_Y_EN: 0
; COMPUTE_PGM_RSRC2:TGID_Z_EN: 0
; COMPUTE_PGM_RSRC2:TIDIG_COMP_CNT: 0
; COMPUTE_PGM_RSRC3_GFX90A:ACCUM_OFFSET: 0
; COMPUTE_PGM_RSRC3_GFX90A:TG_SPLIT: 0
	.section	.text._ZN7rocprim17ROCPRIM_400000_NS6detail17trampoline_kernelINS0_14default_configENS1_20scan_config_selectorIxEEZZNS1_9scan_implILNS1_25lookback_scan_determinismE0ELb1ELb1ES3_N6thrust23THRUST_200600_302600_NS6detail15normal_iteratorINS9_10device_ptrIxEEEESE_xNS9_4plusIvEExEEDaPvRmT3_T4_T5_mT6_P12ihipStream_tbENKUlT_T0_E_clISt17integral_constantIbLb0EESU_EEDaSP_SQ_EUlSP_E0_NS1_11comp_targetILNS1_3genE4ELNS1_11target_archE910ELNS1_3gpuE8ELNS1_3repE0EEENS1_30default_config_static_selectorELNS0_4arch9wavefront6targetE1EEEvT1_,"axG",@progbits,_ZN7rocprim17ROCPRIM_400000_NS6detail17trampoline_kernelINS0_14default_configENS1_20scan_config_selectorIxEEZZNS1_9scan_implILNS1_25lookback_scan_determinismE0ELb1ELb1ES3_N6thrust23THRUST_200600_302600_NS6detail15normal_iteratorINS9_10device_ptrIxEEEESE_xNS9_4plusIvEExEEDaPvRmT3_T4_T5_mT6_P12ihipStream_tbENKUlT_T0_E_clISt17integral_constantIbLb0EESU_EEDaSP_SQ_EUlSP_E0_NS1_11comp_targetILNS1_3genE4ELNS1_11target_archE910ELNS1_3gpuE8ELNS1_3repE0EEENS1_30default_config_static_selectorELNS0_4arch9wavefront6targetE1EEEvT1_,comdat
	.protected	_ZN7rocprim17ROCPRIM_400000_NS6detail17trampoline_kernelINS0_14default_configENS1_20scan_config_selectorIxEEZZNS1_9scan_implILNS1_25lookback_scan_determinismE0ELb1ELb1ES3_N6thrust23THRUST_200600_302600_NS6detail15normal_iteratorINS9_10device_ptrIxEEEESE_xNS9_4plusIvEExEEDaPvRmT3_T4_T5_mT6_P12ihipStream_tbENKUlT_T0_E_clISt17integral_constantIbLb0EESU_EEDaSP_SQ_EUlSP_E0_NS1_11comp_targetILNS1_3genE4ELNS1_11target_archE910ELNS1_3gpuE8ELNS1_3repE0EEENS1_30default_config_static_selectorELNS0_4arch9wavefront6targetE1EEEvT1_ ; -- Begin function _ZN7rocprim17ROCPRIM_400000_NS6detail17trampoline_kernelINS0_14default_configENS1_20scan_config_selectorIxEEZZNS1_9scan_implILNS1_25lookback_scan_determinismE0ELb1ELb1ES3_N6thrust23THRUST_200600_302600_NS6detail15normal_iteratorINS9_10device_ptrIxEEEESE_xNS9_4plusIvEExEEDaPvRmT3_T4_T5_mT6_P12ihipStream_tbENKUlT_T0_E_clISt17integral_constantIbLb0EESU_EEDaSP_SQ_EUlSP_E0_NS1_11comp_targetILNS1_3genE4ELNS1_11target_archE910ELNS1_3gpuE8ELNS1_3repE0EEENS1_30default_config_static_selectorELNS0_4arch9wavefront6targetE1EEEvT1_
	.globl	_ZN7rocprim17ROCPRIM_400000_NS6detail17trampoline_kernelINS0_14default_configENS1_20scan_config_selectorIxEEZZNS1_9scan_implILNS1_25lookback_scan_determinismE0ELb1ELb1ES3_N6thrust23THRUST_200600_302600_NS6detail15normal_iteratorINS9_10device_ptrIxEEEESE_xNS9_4plusIvEExEEDaPvRmT3_T4_T5_mT6_P12ihipStream_tbENKUlT_T0_E_clISt17integral_constantIbLb0EESU_EEDaSP_SQ_EUlSP_E0_NS1_11comp_targetILNS1_3genE4ELNS1_11target_archE910ELNS1_3gpuE8ELNS1_3repE0EEENS1_30default_config_static_selectorELNS0_4arch9wavefront6targetE1EEEvT1_
	.p2align	8
	.type	_ZN7rocprim17ROCPRIM_400000_NS6detail17trampoline_kernelINS0_14default_configENS1_20scan_config_selectorIxEEZZNS1_9scan_implILNS1_25lookback_scan_determinismE0ELb1ELb1ES3_N6thrust23THRUST_200600_302600_NS6detail15normal_iteratorINS9_10device_ptrIxEEEESE_xNS9_4plusIvEExEEDaPvRmT3_T4_T5_mT6_P12ihipStream_tbENKUlT_T0_E_clISt17integral_constantIbLb0EESU_EEDaSP_SQ_EUlSP_E0_NS1_11comp_targetILNS1_3genE4ELNS1_11target_archE910ELNS1_3gpuE8ELNS1_3repE0EEENS1_30default_config_static_selectorELNS0_4arch9wavefront6targetE1EEEvT1_,@function
_ZN7rocprim17ROCPRIM_400000_NS6detail17trampoline_kernelINS0_14default_configENS1_20scan_config_selectorIxEEZZNS1_9scan_implILNS1_25lookback_scan_determinismE0ELb1ELb1ES3_N6thrust23THRUST_200600_302600_NS6detail15normal_iteratorINS9_10device_ptrIxEEEESE_xNS9_4plusIvEExEEDaPvRmT3_T4_T5_mT6_P12ihipStream_tbENKUlT_T0_E_clISt17integral_constantIbLb0EESU_EEDaSP_SQ_EUlSP_E0_NS1_11comp_targetILNS1_3genE4ELNS1_11target_archE910ELNS1_3gpuE8ELNS1_3repE0EEENS1_30default_config_static_selectorELNS0_4arch9wavefront6targetE1EEEvT1_: ; @_ZN7rocprim17ROCPRIM_400000_NS6detail17trampoline_kernelINS0_14default_configENS1_20scan_config_selectorIxEEZZNS1_9scan_implILNS1_25lookback_scan_determinismE0ELb1ELb1ES3_N6thrust23THRUST_200600_302600_NS6detail15normal_iteratorINS9_10device_ptrIxEEEESE_xNS9_4plusIvEExEEDaPvRmT3_T4_T5_mT6_P12ihipStream_tbENKUlT_T0_E_clISt17integral_constantIbLb0EESU_EEDaSP_SQ_EUlSP_E0_NS1_11comp_targetILNS1_3genE4ELNS1_11target_archE910ELNS1_3gpuE8ELNS1_3repE0EEENS1_30default_config_static_selectorELNS0_4arch9wavefront6targetE1EEEvT1_
; %bb.0:
	s_load_dwordx4 s[16:19], s[4:5], 0x0
	v_lshlrev_b32_e32 v20, 3, v0
	s_waitcnt lgkmcnt(0)
	s_load_dwordx2 s[14:15], s[16:17], 0x0
	v_cmp_gt_u32_e32 vcc, s18, v0
	s_waitcnt lgkmcnt(0)
	v_pk_mov_b32 v[2:3], s[14:15], s[14:15] op_sel:[0,1]
	s_and_saveexec_b64 s[0:1], vcc
	s_cbranch_execz .LBB137_2
; %bb.1:
	global_load_dwordx2 v[2:3], v20, s[16:17]
.LBB137_2:
	s_or_b64 exec, exec, s[0:1]
	v_or_b32_e32 v1, 0x80, v0
	v_cmp_gt_u32_e64 s[0:1], s18, v1
	v_pk_mov_b32 v[4:5], s[14:15], s[14:15] op_sel:[0,1]
	s_and_saveexec_b64 s[2:3], s[0:1]
	s_cbranch_execz .LBB137_4
; %bb.3:
	global_load_dwordx2 v[4:5], v20, s[16:17] offset:1024
.LBB137_4:
	s_or_b64 exec, exec, s[2:3]
	v_or_b32_e32 v1, 0x100, v0
	v_cmp_gt_u32_e64 s[2:3], s18, v1
	v_pk_mov_b32 v[6:7], s[14:15], s[14:15] op_sel:[0,1]
	s_and_saveexec_b64 s[6:7], s[2:3]
	s_cbranch_execz .LBB137_6
; %bb.5:
	global_load_dwordx2 v[6:7], v20, s[16:17] offset:2048
.LBB137_6:
	;; [unrolled: 9-line block ×3, first 2 shown]
	s_or_b64 exec, exec, s[6:7]
	v_or_b32_e32 v1, 0x200, v0
	v_cmp_gt_u32_e64 s[6:7], s18, v1
	v_pk_mov_b32 v[10:11], s[14:15], s[14:15] op_sel:[0,1]
	s_and_saveexec_b64 s[8:9], s[6:7]
	s_cbranch_execz .LBB137_10
; %bb.9:
	v_lshlrev_b32_e32 v1, 3, v1
	global_load_dwordx2 v[10:11], v1, s[16:17]
.LBB137_10:
	s_or_b64 exec, exec, s[8:9]
	v_or_b32_e32 v1, 0x280, v0
	v_cmp_gt_u32_e64 s[8:9], s18, v1
	v_pk_mov_b32 v[12:13], s[14:15], s[14:15] op_sel:[0,1]
	s_and_saveexec_b64 s[10:11], s[8:9]
	s_cbranch_execz .LBB137_12
; %bb.11:
	v_lshlrev_b32_e32 v1, 3, v1
	global_load_dwordx2 v[12:13], v1, s[16:17]
.LBB137_12:
	s_or_b64 exec, exec, s[10:11]
	s_load_dwordx2 s[20:21], s[4:5], 0x10
	v_or_b32_e32 v1, 0x300, v0
	v_cmp_gt_u32_e64 s[10:11], s18, v1
	v_pk_mov_b32 v[14:15], s[14:15], s[14:15] op_sel:[0,1]
	s_and_saveexec_b64 s[14:15], s[10:11]
	s_cbranch_execz .LBB137_14
; %bb.13:
	v_lshlrev_b32_e32 v1, 3, v1
	global_load_dwordx2 v[14:15], v1, s[16:17]
.LBB137_14:
	s_or_b64 exec, exec, s[14:15]
	v_mad_u32_u24 v1, v0, 48, v20
	s_waitcnt vmcnt(0)
	ds_write2st64_b64 v20, v[2:3], v[4:5] offset1:2
	ds_write2st64_b64 v20, v[6:7], v[8:9] offset0:4 offset1:6
	ds_write2st64_b64 v20, v[10:11], v[12:13] offset0:8 offset1:10
	ds_write_b64 v20, v[14:15] offset:6144
	s_waitcnt lgkmcnt(0)
	s_barrier
	ds_read2_b64 v[2:5], v1 offset1:1
	ds_read2_b64 v[6:9], v1 offset0:2 offset1:3
	ds_read2_b64 v[10:13], v1 offset0:4 offset1:5
	ds_read_b64 v[14:15], v1 offset:48
	s_load_dwordx2 s[16:17], s[4:5], 0x20
	s_waitcnt lgkmcnt(0)
	v_add_co_u32_e64 v1, s[4:5], v4, v2
	v_addc_co_u32_e64 v16, s[4:5], v5, v3, s[4:5]
	v_add_co_u32_e64 v1, s[4:5], v1, v6
	v_addc_co_u32_e64 v16, s[4:5], v16, v7, s[4:5]
	;; [unrolled: 2-line block ×5, first 2 shown]
	v_add_co_u32_e64 v18, s[4:5], v1, v14
	v_lshrrev_b32_e32 v1, 2, v0
	v_addc_co_u32_e64 v19, s[4:5], v16, v15, s[4:5]
	v_and_b32_e32 v1, 24, v1
	v_add_u32_e32 v1, v20, v1
	v_cmp_gt_u32_e64 s[4:5], 64, v0
	s_barrier
	ds_write_b64 v1, v[18:19]
	s_waitcnt lgkmcnt(0)
	s_barrier
	s_and_saveexec_b64 s[18:19], s[4:5]
	s_cbranch_execz .LBB137_18
; %bb.15:
	v_lshlrev_b32_e32 v1, 1, v0
	v_lshrrev_b32_e32 v14, 4, v0
	v_add_lshl_u32 v21, v14, v1, 3
	ds_read2_b64 v[14:17], v21 offset1:1
	v_mbcnt_lo_u32_b32 v1, -1, 0
	s_waitcnt lgkmcnt(0)
	v_add_co_u32_e64 v22, s[4:5], v16, v14
	v_addc_co_u32_e64 v23, s[4:5], v17, v15, s[4:5]
	s_nop 0
	v_mov_b32_dpp v16, v22 row_shr:1 row_mask:0xf bank_mask:0xf
	v_add_co_u32_e64 v16, s[4:5], v22, v16
	v_addc_co_u32_e64 v25, s[4:5], 0, v23, s[4:5]
	v_mbcnt_hi_u32_b32 v17, -1, v1
	v_mov_b32_dpp v24, v23 row_shr:1 row_mask:0xf bank_mask:0xf
	v_add_co_u32_e64 v26, s[4:5], 0, v16
	v_and_b32_e32 v1, 15, v17
	v_addc_co_u32_e64 v24, s[4:5], v24, v25, s[4:5]
	v_cmp_eq_u32_e64 s[4:5], 0, v1
	v_cndmask_b32_e64 v16, v16, v22, s[4:5]
	v_cndmask_b32_e64 v24, v24, v23, s[4:5]
	v_cndmask_b32_e64 v25, v26, v22, s[4:5]
	v_mov_b32_dpp v26, v16 row_shr:2 row_mask:0xf bank_mask:0xf
	v_mov_b32_dpp v27, v24 row_shr:2 row_mask:0xf bank_mask:0xf
	v_add_co_u32_e64 v26, s[4:5], v26, v25
	v_addc_co_u32_e64 v27, s[4:5], v27, v24, s[4:5]
	v_cmp_lt_u32_e64 s[4:5], 1, v1
	v_cndmask_b32_e64 v16, v16, v26, s[4:5]
	v_cndmask_b32_e64 v24, v24, v27, s[4:5]
	v_cndmask_b32_e64 v25, v25, v26, s[4:5]
	v_mov_b32_dpp v26, v16 row_shr:4 row_mask:0xf bank_mask:0xf
	v_mov_b32_dpp v27, v24 row_shr:4 row_mask:0xf bank_mask:0xf
	v_add_co_u32_e64 v26, s[4:5], v26, v25
	v_addc_co_u32_e64 v27, s[4:5], v27, v24, s[4:5]
	v_cmp_lt_u32_e64 s[4:5], 3, v1
	;; [unrolled: 8-line block ×3, first 2 shown]
	v_cndmask_b32_e64 v28, v16, v26, s[4:5]
	v_cndmask_b32_e64 v1, v24, v27, s[4:5]
	;; [unrolled: 1-line block ×3, first 2 shown]
	v_mov_b32_dpp v24, v28 row_bcast:15 row_mask:0xf bank_mask:0xf
	v_mov_b32_dpp v25, v1 row_bcast:15 row_mask:0xf bank_mask:0xf
	v_add_co_u32_e64 v24, s[4:5], v24, v16
	v_and_b32_e32 v27, 16, v17
	v_addc_co_u32_e64 v26, s[4:5], v25, v1, s[4:5]
	v_cmp_eq_u32_e64 s[4:5], 0, v27
	v_cndmask_b32_e64 v27, v26, v1, s[4:5]
	v_cndmask_b32_e64 v25, v24, v28, s[4:5]
	v_cmp_ne_u32_e64 s[14:15], 0, v17
	v_mov_b32_dpp v27, v27 row_bcast:31 row_mask:0xf bank_mask:0xf
	v_mov_b32_dpp v25, v25 row_bcast:31 row_mask:0xf bank_mask:0xf
	s_and_saveexec_b64 s[22:23], s[14:15]
; %bb.16:
	v_cndmask_b32_e64 v1, v26, v1, s[4:5]
	v_cndmask_b32_e64 v16, v24, v16, s[4:5]
	v_cmp_lt_u32_e64 s[4:5], 31, v17
	v_cndmask_b32_e64 v22, 0, v25, s[4:5]
	v_cndmask_b32_e64 v23, 0, v27, s[4:5]
	v_add_co_u32_e64 v22, s[4:5], v22, v16
	v_addc_co_u32_e64 v23, s[4:5], v23, v1, s[4:5]
; %bb.17:
	s_or_b64 exec, exec, s[22:23]
	v_add_u32_e32 v1, -1, v17
	v_and_b32_e32 v16, 64, v17
	v_cmp_lt_i32_e64 s[4:5], v1, v16
	v_cndmask_b32_e64 v1, v1, v17, s[4:5]
	v_lshlrev_b32_e32 v1, 2, v1
	ds_bpermute_b32 v16, v1, v22
	ds_bpermute_b32 v1, v1, v23
	; wave barrier
	s_waitcnt lgkmcnt(1)
	v_add_co_u32_e64 v14, s[4:5], v14, v16
	v_addc_co_u32_e64 v15, s[4:5], 0, v15, s[4:5]
	v_add_co_u32_e64 v14, s[4:5], 0, v14
	s_waitcnt lgkmcnt(0)
	v_addc_co_u32_e64 v1, s[4:5], v15, v1, s[4:5]
	v_cmp_eq_u32_e64 s[4:5], 0, v0
	v_cndmask_b32_e64 v15, v1, v19, s[4:5]
	v_cndmask_b32_e64 v14, v14, v18, s[4:5]
	ds_write_b64 v21, v[14:15]
	; wave barrier
	ds_read_b64 v[16:17], v21 offset:8
	s_waitcnt lgkmcnt(0)
	v_add_co_u32_e64 v14, s[4:5], v16, v14
	v_addc_co_u32_e64 v15, s[4:5], v17, v15, s[4:5]
	ds_write_b64 v21, v[14:15] offset:8
.LBB137_18:
	s_or_b64 exec, exec, s[18:19]
	v_mul_u32_u24_e32 v1, 48, v0
	v_cmp_ne_u32_e64 s[4:5], 0, v0
	v_pk_mov_b32 v[14:15], s[20:21], s[20:21] op_sel:[0,1]
	s_waitcnt lgkmcnt(0)
	s_barrier
	s_and_saveexec_b64 s[14:15], s[4:5]
	s_cbranch_execz .LBB137_20
; %bb.19:
	v_add_u32_e32 v0, -1, v0
	v_lshrrev_b32_e32 v14, 5, v0
	v_add_lshl_u32 v0, v14, v0, 3
	ds_read_b64 v[14:15], v0
	v_mov_b32_e32 v0, s21
	s_waitcnt lgkmcnt(0)
	v_add_co_u32_e64 v14, s[4:5], s20, v14
	v_addc_co_u32_e64 v15, s[4:5], v15, v0, s[4:5]
.LBB137_20:
	s_or_b64 exec, exec, s[14:15]
	v_add_co_u32_e64 v2, s[4:5], v14, v2
	v_addc_co_u32_e64 v3, s[4:5], v15, v3, s[4:5]
	v_add_co_u32_e64 v4, s[4:5], v2, v4
	v_addc_co_u32_e64 v5, s[4:5], v3, v5, s[4:5]
	;; [unrolled: 2-line block ×5, first 2 shown]
	v_add_co_u32_e64 v12, s[4:5], v10, v12
	v_add_u32_e32 v0, v20, v1
	v_addc_co_u32_e64 v13, s[4:5], v11, v13, s[4:5]
	s_barrier
	ds_write2_b64 v0, v[14:15], v[2:3] offset1:1
	ds_write2_b64 v0, v[4:5], v[6:7] offset0:2 offset1:3
	ds_write2_b64 v0, v[8:9], v[10:11] offset0:4 offset1:5
	ds_write_b64 v0, v[12:13] offset:48
	s_waitcnt lgkmcnt(0)
	s_barrier
	ds_read2st64_b64 v[8:11], v20 offset0:2 offset1:4
	ds_read2st64_b64 v[4:7], v20 offset0:6 offset1:8
	;; [unrolled: 1-line block ×3, first 2 shown]
	v_mov_b32_e32 v13, s17
	v_add_co_u32_e64 v12, s[4:5], s16, v20
	v_addc_co_u32_e64 v13, s[4:5], 0, v13, s[4:5]
	s_and_saveexec_b64 s[4:5], vcc
	s_cbranch_execnz .LBB137_28
; %bb.21:
	s_or_b64 exec, exec, s[4:5]
	s_and_saveexec_b64 s[4:5], s[0:1]
	s_cbranch_execnz .LBB137_29
.LBB137_22:
	s_or_b64 exec, exec, s[4:5]
	s_and_saveexec_b64 s[0:1], s[2:3]
	s_cbranch_execnz .LBB137_30
.LBB137_23:
	s_or_b64 exec, exec, s[0:1]
	s_and_saveexec_b64 s[0:1], s[12:13]
	s_cbranch_execnz .LBB137_31
.LBB137_24:
	s_or_b64 exec, exec, s[0:1]
	s_and_saveexec_b64 s[0:1], s[6:7]
	s_cbranch_execnz .LBB137_32
.LBB137_25:
	s_or_b64 exec, exec, s[0:1]
	s_and_saveexec_b64 s[0:1], s[8:9]
	s_cbranch_execnz .LBB137_33
.LBB137_26:
	s_or_b64 exec, exec, s[0:1]
	s_and_saveexec_b64 s[0:1], s[10:11]
	s_cbranch_execnz .LBB137_34
.LBB137_27:
	s_endpgm
.LBB137_28:
	ds_read_b64 v[14:15], v20
	s_waitcnt lgkmcnt(0)
	global_store_dwordx2 v[12:13], v[14:15], off
	s_or_b64 exec, exec, s[4:5]
	s_and_saveexec_b64 s[4:5], s[0:1]
	s_cbranch_execz .LBB137_22
.LBB137_29:
	s_waitcnt lgkmcnt(2)
	global_store_dwordx2 v[12:13], v[8:9], off offset:1024
	s_or_b64 exec, exec, s[4:5]
	s_and_saveexec_b64 s[0:1], s[2:3]
	s_cbranch_execz .LBB137_23
.LBB137_30:
	s_waitcnt lgkmcnt(2)
	global_store_dwordx2 v[12:13], v[10:11], off offset:2048
	s_or_b64 exec, exec, s[0:1]
	s_and_saveexec_b64 s[0:1], s[12:13]
	s_cbranch_execz .LBB137_24
.LBB137_31:
	s_waitcnt lgkmcnt(1)
	global_store_dwordx2 v[12:13], v[4:5], off offset:3072
	s_or_b64 exec, exec, s[0:1]
	s_and_saveexec_b64 s[0:1], s[6:7]
	s_cbranch_execz .LBB137_25
.LBB137_32:
	s_waitcnt lgkmcnt(1)
	v_add_co_u32_e32 v4, vcc, 0x1000, v12
	v_addc_co_u32_e32 v5, vcc, 0, v13, vcc
	global_store_dwordx2 v[4:5], v[6:7], off
	s_or_b64 exec, exec, s[0:1]
	s_and_saveexec_b64 s[0:1], s[8:9]
	s_cbranch_execz .LBB137_26
.LBB137_33:
	s_waitcnt lgkmcnt(1)
	v_add_co_u32_e32 v4, vcc, 0x1000, v12
	v_addc_co_u32_e32 v5, vcc, 0, v13, vcc
	s_waitcnt lgkmcnt(0)
	global_store_dwordx2 v[4:5], v[0:1], off offset:1024
	s_or_b64 exec, exec, s[0:1]
	s_and_saveexec_b64 s[0:1], s[10:11]
	s_cbranch_execz .LBB137_27
.LBB137_34:
	s_waitcnt lgkmcnt(0)
	v_add_co_u32_e32 v0, vcc, 0x1000, v12
	v_addc_co_u32_e32 v1, vcc, 0, v13, vcc
	global_store_dwordx2 v[0:1], v[2:3], off offset:2048
	s_endpgm
	.section	.rodata,"a",@progbits
	.p2align	6, 0x0
	.amdhsa_kernel _ZN7rocprim17ROCPRIM_400000_NS6detail17trampoline_kernelINS0_14default_configENS1_20scan_config_selectorIxEEZZNS1_9scan_implILNS1_25lookback_scan_determinismE0ELb1ELb1ES3_N6thrust23THRUST_200600_302600_NS6detail15normal_iteratorINS9_10device_ptrIxEEEESE_xNS9_4plusIvEExEEDaPvRmT3_T4_T5_mT6_P12ihipStream_tbENKUlT_T0_E_clISt17integral_constantIbLb0EESU_EEDaSP_SQ_EUlSP_E0_NS1_11comp_targetILNS1_3genE4ELNS1_11target_archE910ELNS1_3gpuE8ELNS1_3repE0EEENS1_30default_config_static_selectorELNS0_4arch9wavefront6targetE1EEEvT1_
		.amdhsa_group_segment_fixed_size 7168
		.amdhsa_private_segment_fixed_size 0
		.amdhsa_kernarg_size 40
		.amdhsa_user_sgpr_count 6
		.amdhsa_user_sgpr_private_segment_buffer 1
		.amdhsa_user_sgpr_dispatch_ptr 0
		.amdhsa_user_sgpr_queue_ptr 0
		.amdhsa_user_sgpr_kernarg_segment_ptr 1
		.amdhsa_user_sgpr_dispatch_id 0
		.amdhsa_user_sgpr_flat_scratch_init 0
		.amdhsa_user_sgpr_kernarg_preload_length 0
		.amdhsa_user_sgpr_kernarg_preload_offset 0
		.amdhsa_user_sgpr_private_segment_size 0
		.amdhsa_uses_dynamic_stack 0
		.amdhsa_system_sgpr_private_segment_wavefront_offset 0
		.amdhsa_system_sgpr_workgroup_id_x 1
		.amdhsa_system_sgpr_workgroup_id_y 0
		.amdhsa_system_sgpr_workgroup_id_z 0
		.amdhsa_system_sgpr_workgroup_info 0
		.amdhsa_system_vgpr_workitem_id 0
		.amdhsa_next_free_vgpr 29
		.amdhsa_next_free_sgpr 24
		.amdhsa_accum_offset 32
		.amdhsa_reserve_vcc 1
		.amdhsa_reserve_flat_scratch 0
		.amdhsa_float_round_mode_32 0
		.amdhsa_float_round_mode_16_64 0
		.amdhsa_float_denorm_mode_32 3
		.amdhsa_float_denorm_mode_16_64 3
		.amdhsa_dx10_clamp 1
		.amdhsa_ieee_mode 1
		.amdhsa_fp16_overflow 0
		.amdhsa_tg_split 0
		.amdhsa_exception_fp_ieee_invalid_op 0
		.amdhsa_exception_fp_denorm_src 0
		.amdhsa_exception_fp_ieee_div_zero 0
		.amdhsa_exception_fp_ieee_overflow 0
		.amdhsa_exception_fp_ieee_underflow 0
		.amdhsa_exception_fp_ieee_inexact 0
		.amdhsa_exception_int_div_zero 0
	.end_amdhsa_kernel
	.section	.text._ZN7rocprim17ROCPRIM_400000_NS6detail17trampoline_kernelINS0_14default_configENS1_20scan_config_selectorIxEEZZNS1_9scan_implILNS1_25lookback_scan_determinismE0ELb1ELb1ES3_N6thrust23THRUST_200600_302600_NS6detail15normal_iteratorINS9_10device_ptrIxEEEESE_xNS9_4plusIvEExEEDaPvRmT3_T4_T5_mT6_P12ihipStream_tbENKUlT_T0_E_clISt17integral_constantIbLb0EESU_EEDaSP_SQ_EUlSP_E0_NS1_11comp_targetILNS1_3genE4ELNS1_11target_archE910ELNS1_3gpuE8ELNS1_3repE0EEENS1_30default_config_static_selectorELNS0_4arch9wavefront6targetE1EEEvT1_,"axG",@progbits,_ZN7rocprim17ROCPRIM_400000_NS6detail17trampoline_kernelINS0_14default_configENS1_20scan_config_selectorIxEEZZNS1_9scan_implILNS1_25lookback_scan_determinismE0ELb1ELb1ES3_N6thrust23THRUST_200600_302600_NS6detail15normal_iteratorINS9_10device_ptrIxEEEESE_xNS9_4plusIvEExEEDaPvRmT3_T4_T5_mT6_P12ihipStream_tbENKUlT_T0_E_clISt17integral_constantIbLb0EESU_EEDaSP_SQ_EUlSP_E0_NS1_11comp_targetILNS1_3genE4ELNS1_11target_archE910ELNS1_3gpuE8ELNS1_3repE0EEENS1_30default_config_static_selectorELNS0_4arch9wavefront6targetE1EEEvT1_,comdat
.Lfunc_end137:
	.size	_ZN7rocprim17ROCPRIM_400000_NS6detail17trampoline_kernelINS0_14default_configENS1_20scan_config_selectorIxEEZZNS1_9scan_implILNS1_25lookback_scan_determinismE0ELb1ELb1ES3_N6thrust23THRUST_200600_302600_NS6detail15normal_iteratorINS9_10device_ptrIxEEEESE_xNS9_4plusIvEExEEDaPvRmT3_T4_T5_mT6_P12ihipStream_tbENKUlT_T0_E_clISt17integral_constantIbLb0EESU_EEDaSP_SQ_EUlSP_E0_NS1_11comp_targetILNS1_3genE4ELNS1_11target_archE910ELNS1_3gpuE8ELNS1_3repE0EEENS1_30default_config_static_selectorELNS0_4arch9wavefront6targetE1EEEvT1_, .Lfunc_end137-_ZN7rocprim17ROCPRIM_400000_NS6detail17trampoline_kernelINS0_14default_configENS1_20scan_config_selectorIxEEZZNS1_9scan_implILNS1_25lookback_scan_determinismE0ELb1ELb1ES3_N6thrust23THRUST_200600_302600_NS6detail15normal_iteratorINS9_10device_ptrIxEEEESE_xNS9_4plusIvEExEEDaPvRmT3_T4_T5_mT6_P12ihipStream_tbENKUlT_T0_E_clISt17integral_constantIbLb0EESU_EEDaSP_SQ_EUlSP_E0_NS1_11comp_targetILNS1_3genE4ELNS1_11target_archE910ELNS1_3gpuE8ELNS1_3repE0EEENS1_30default_config_static_selectorELNS0_4arch9wavefront6targetE1EEEvT1_
                                        ; -- End function
	.section	.AMDGPU.csdata,"",@progbits
; Kernel info:
; codeLenInByte = 1796
; NumSgprs: 28
; NumVgprs: 29
; NumAgprs: 0
; TotalNumVgprs: 29
; ScratchSize: 0
; MemoryBound: 0
; FloatMode: 240
; IeeeMode: 1
; LDSByteSize: 7168 bytes/workgroup (compile time only)
; SGPRBlocks: 3
; VGPRBlocks: 3
; NumSGPRsForWavesPerEU: 28
; NumVGPRsForWavesPerEU: 29
; AccumOffset: 32
; Occupancy: 5
; WaveLimiterHint : 0
; COMPUTE_PGM_RSRC2:SCRATCH_EN: 0
; COMPUTE_PGM_RSRC2:USER_SGPR: 6
; COMPUTE_PGM_RSRC2:TRAP_HANDLER: 0
; COMPUTE_PGM_RSRC2:TGID_X_EN: 1
; COMPUTE_PGM_RSRC2:TGID_Y_EN: 0
; COMPUTE_PGM_RSRC2:TGID_Z_EN: 0
; COMPUTE_PGM_RSRC2:TIDIG_COMP_CNT: 0
; COMPUTE_PGM_RSRC3_GFX90A:ACCUM_OFFSET: 7
; COMPUTE_PGM_RSRC3_GFX90A:TG_SPLIT: 0
	.section	.text._ZN7rocprim17ROCPRIM_400000_NS6detail17trampoline_kernelINS0_14default_configENS1_20scan_config_selectorIxEEZZNS1_9scan_implILNS1_25lookback_scan_determinismE0ELb1ELb1ES3_N6thrust23THRUST_200600_302600_NS6detail15normal_iteratorINS9_10device_ptrIxEEEESE_xNS9_4plusIvEExEEDaPvRmT3_T4_T5_mT6_P12ihipStream_tbENKUlT_T0_E_clISt17integral_constantIbLb0EESU_EEDaSP_SQ_EUlSP_E0_NS1_11comp_targetILNS1_3genE3ELNS1_11target_archE908ELNS1_3gpuE7ELNS1_3repE0EEENS1_30default_config_static_selectorELNS0_4arch9wavefront6targetE1EEEvT1_,"axG",@progbits,_ZN7rocprim17ROCPRIM_400000_NS6detail17trampoline_kernelINS0_14default_configENS1_20scan_config_selectorIxEEZZNS1_9scan_implILNS1_25lookback_scan_determinismE0ELb1ELb1ES3_N6thrust23THRUST_200600_302600_NS6detail15normal_iteratorINS9_10device_ptrIxEEEESE_xNS9_4plusIvEExEEDaPvRmT3_T4_T5_mT6_P12ihipStream_tbENKUlT_T0_E_clISt17integral_constantIbLb0EESU_EEDaSP_SQ_EUlSP_E0_NS1_11comp_targetILNS1_3genE3ELNS1_11target_archE908ELNS1_3gpuE7ELNS1_3repE0EEENS1_30default_config_static_selectorELNS0_4arch9wavefront6targetE1EEEvT1_,comdat
	.protected	_ZN7rocprim17ROCPRIM_400000_NS6detail17trampoline_kernelINS0_14default_configENS1_20scan_config_selectorIxEEZZNS1_9scan_implILNS1_25lookback_scan_determinismE0ELb1ELb1ES3_N6thrust23THRUST_200600_302600_NS6detail15normal_iteratorINS9_10device_ptrIxEEEESE_xNS9_4plusIvEExEEDaPvRmT3_T4_T5_mT6_P12ihipStream_tbENKUlT_T0_E_clISt17integral_constantIbLb0EESU_EEDaSP_SQ_EUlSP_E0_NS1_11comp_targetILNS1_3genE3ELNS1_11target_archE908ELNS1_3gpuE7ELNS1_3repE0EEENS1_30default_config_static_selectorELNS0_4arch9wavefront6targetE1EEEvT1_ ; -- Begin function _ZN7rocprim17ROCPRIM_400000_NS6detail17trampoline_kernelINS0_14default_configENS1_20scan_config_selectorIxEEZZNS1_9scan_implILNS1_25lookback_scan_determinismE0ELb1ELb1ES3_N6thrust23THRUST_200600_302600_NS6detail15normal_iteratorINS9_10device_ptrIxEEEESE_xNS9_4plusIvEExEEDaPvRmT3_T4_T5_mT6_P12ihipStream_tbENKUlT_T0_E_clISt17integral_constantIbLb0EESU_EEDaSP_SQ_EUlSP_E0_NS1_11comp_targetILNS1_3genE3ELNS1_11target_archE908ELNS1_3gpuE7ELNS1_3repE0EEENS1_30default_config_static_selectorELNS0_4arch9wavefront6targetE1EEEvT1_
	.globl	_ZN7rocprim17ROCPRIM_400000_NS6detail17trampoline_kernelINS0_14default_configENS1_20scan_config_selectorIxEEZZNS1_9scan_implILNS1_25lookback_scan_determinismE0ELb1ELb1ES3_N6thrust23THRUST_200600_302600_NS6detail15normal_iteratorINS9_10device_ptrIxEEEESE_xNS9_4plusIvEExEEDaPvRmT3_T4_T5_mT6_P12ihipStream_tbENKUlT_T0_E_clISt17integral_constantIbLb0EESU_EEDaSP_SQ_EUlSP_E0_NS1_11comp_targetILNS1_3genE3ELNS1_11target_archE908ELNS1_3gpuE7ELNS1_3repE0EEENS1_30default_config_static_selectorELNS0_4arch9wavefront6targetE1EEEvT1_
	.p2align	8
	.type	_ZN7rocprim17ROCPRIM_400000_NS6detail17trampoline_kernelINS0_14default_configENS1_20scan_config_selectorIxEEZZNS1_9scan_implILNS1_25lookback_scan_determinismE0ELb1ELb1ES3_N6thrust23THRUST_200600_302600_NS6detail15normal_iteratorINS9_10device_ptrIxEEEESE_xNS9_4plusIvEExEEDaPvRmT3_T4_T5_mT6_P12ihipStream_tbENKUlT_T0_E_clISt17integral_constantIbLb0EESU_EEDaSP_SQ_EUlSP_E0_NS1_11comp_targetILNS1_3genE3ELNS1_11target_archE908ELNS1_3gpuE7ELNS1_3repE0EEENS1_30default_config_static_selectorELNS0_4arch9wavefront6targetE1EEEvT1_,@function
_ZN7rocprim17ROCPRIM_400000_NS6detail17trampoline_kernelINS0_14default_configENS1_20scan_config_selectorIxEEZZNS1_9scan_implILNS1_25lookback_scan_determinismE0ELb1ELb1ES3_N6thrust23THRUST_200600_302600_NS6detail15normal_iteratorINS9_10device_ptrIxEEEESE_xNS9_4plusIvEExEEDaPvRmT3_T4_T5_mT6_P12ihipStream_tbENKUlT_T0_E_clISt17integral_constantIbLb0EESU_EEDaSP_SQ_EUlSP_E0_NS1_11comp_targetILNS1_3genE3ELNS1_11target_archE908ELNS1_3gpuE7ELNS1_3repE0EEENS1_30default_config_static_selectorELNS0_4arch9wavefront6targetE1EEEvT1_: ; @_ZN7rocprim17ROCPRIM_400000_NS6detail17trampoline_kernelINS0_14default_configENS1_20scan_config_selectorIxEEZZNS1_9scan_implILNS1_25lookback_scan_determinismE0ELb1ELb1ES3_N6thrust23THRUST_200600_302600_NS6detail15normal_iteratorINS9_10device_ptrIxEEEESE_xNS9_4plusIvEExEEDaPvRmT3_T4_T5_mT6_P12ihipStream_tbENKUlT_T0_E_clISt17integral_constantIbLb0EESU_EEDaSP_SQ_EUlSP_E0_NS1_11comp_targetILNS1_3genE3ELNS1_11target_archE908ELNS1_3gpuE7ELNS1_3repE0EEENS1_30default_config_static_selectorELNS0_4arch9wavefront6targetE1EEEvT1_
; %bb.0:
	.section	.rodata,"a",@progbits
	.p2align	6, 0x0
	.amdhsa_kernel _ZN7rocprim17ROCPRIM_400000_NS6detail17trampoline_kernelINS0_14default_configENS1_20scan_config_selectorIxEEZZNS1_9scan_implILNS1_25lookback_scan_determinismE0ELb1ELb1ES3_N6thrust23THRUST_200600_302600_NS6detail15normal_iteratorINS9_10device_ptrIxEEEESE_xNS9_4plusIvEExEEDaPvRmT3_T4_T5_mT6_P12ihipStream_tbENKUlT_T0_E_clISt17integral_constantIbLb0EESU_EEDaSP_SQ_EUlSP_E0_NS1_11comp_targetILNS1_3genE3ELNS1_11target_archE908ELNS1_3gpuE7ELNS1_3repE0EEENS1_30default_config_static_selectorELNS0_4arch9wavefront6targetE1EEEvT1_
		.amdhsa_group_segment_fixed_size 0
		.amdhsa_private_segment_fixed_size 0
		.amdhsa_kernarg_size 40
		.amdhsa_user_sgpr_count 6
		.amdhsa_user_sgpr_private_segment_buffer 1
		.amdhsa_user_sgpr_dispatch_ptr 0
		.amdhsa_user_sgpr_queue_ptr 0
		.amdhsa_user_sgpr_kernarg_segment_ptr 1
		.amdhsa_user_sgpr_dispatch_id 0
		.amdhsa_user_sgpr_flat_scratch_init 0
		.amdhsa_user_sgpr_kernarg_preload_length 0
		.amdhsa_user_sgpr_kernarg_preload_offset 0
		.amdhsa_user_sgpr_private_segment_size 0
		.amdhsa_uses_dynamic_stack 0
		.amdhsa_system_sgpr_private_segment_wavefront_offset 0
		.amdhsa_system_sgpr_workgroup_id_x 1
		.amdhsa_system_sgpr_workgroup_id_y 0
		.amdhsa_system_sgpr_workgroup_id_z 0
		.amdhsa_system_sgpr_workgroup_info 0
		.amdhsa_system_vgpr_workitem_id 0
		.amdhsa_next_free_vgpr 1
		.amdhsa_next_free_sgpr 0
		.amdhsa_accum_offset 4
		.amdhsa_reserve_vcc 0
		.amdhsa_reserve_flat_scratch 0
		.amdhsa_float_round_mode_32 0
		.amdhsa_float_round_mode_16_64 0
		.amdhsa_float_denorm_mode_32 3
		.amdhsa_float_denorm_mode_16_64 3
		.amdhsa_dx10_clamp 1
		.amdhsa_ieee_mode 1
		.amdhsa_fp16_overflow 0
		.amdhsa_tg_split 0
		.amdhsa_exception_fp_ieee_invalid_op 0
		.amdhsa_exception_fp_denorm_src 0
		.amdhsa_exception_fp_ieee_div_zero 0
		.amdhsa_exception_fp_ieee_overflow 0
		.amdhsa_exception_fp_ieee_underflow 0
		.amdhsa_exception_fp_ieee_inexact 0
		.amdhsa_exception_int_div_zero 0
	.end_amdhsa_kernel
	.section	.text._ZN7rocprim17ROCPRIM_400000_NS6detail17trampoline_kernelINS0_14default_configENS1_20scan_config_selectorIxEEZZNS1_9scan_implILNS1_25lookback_scan_determinismE0ELb1ELb1ES3_N6thrust23THRUST_200600_302600_NS6detail15normal_iteratorINS9_10device_ptrIxEEEESE_xNS9_4plusIvEExEEDaPvRmT3_T4_T5_mT6_P12ihipStream_tbENKUlT_T0_E_clISt17integral_constantIbLb0EESU_EEDaSP_SQ_EUlSP_E0_NS1_11comp_targetILNS1_3genE3ELNS1_11target_archE908ELNS1_3gpuE7ELNS1_3repE0EEENS1_30default_config_static_selectorELNS0_4arch9wavefront6targetE1EEEvT1_,"axG",@progbits,_ZN7rocprim17ROCPRIM_400000_NS6detail17trampoline_kernelINS0_14default_configENS1_20scan_config_selectorIxEEZZNS1_9scan_implILNS1_25lookback_scan_determinismE0ELb1ELb1ES3_N6thrust23THRUST_200600_302600_NS6detail15normal_iteratorINS9_10device_ptrIxEEEESE_xNS9_4plusIvEExEEDaPvRmT3_T4_T5_mT6_P12ihipStream_tbENKUlT_T0_E_clISt17integral_constantIbLb0EESU_EEDaSP_SQ_EUlSP_E0_NS1_11comp_targetILNS1_3genE3ELNS1_11target_archE908ELNS1_3gpuE7ELNS1_3repE0EEENS1_30default_config_static_selectorELNS0_4arch9wavefront6targetE1EEEvT1_,comdat
.Lfunc_end138:
	.size	_ZN7rocprim17ROCPRIM_400000_NS6detail17trampoline_kernelINS0_14default_configENS1_20scan_config_selectorIxEEZZNS1_9scan_implILNS1_25lookback_scan_determinismE0ELb1ELb1ES3_N6thrust23THRUST_200600_302600_NS6detail15normal_iteratorINS9_10device_ptrIxEEEESE_xNS9_4plusIvEExEEDaPvRmT3_T4_T5_mT6_P12ihipStream_tbENKUlT_T0_E_clISt17integral_constantIbLb0EESU_EEDaSP_SQ_EUlSP_E0_NS1_11comp_targetILNS1_3genE3ELNS1_11target_archE908ELNS1_3gpuE7ELNS1_3repE0EEENS1_30default_config_static_selectorELNS0_4arch9wavefront6targetE1EEEvT1_, .Lfunc_end138-_ZN7rocprim17ROCPRIM_400000_NS6detail17trampoline_kernelINS0_14default_configENS1_20scan_config_selectorIxEEZZNS1_9scan_implILNS1_25lookback_scan_determinismE0ELb1ELb1ES3_N6thrust23THRUST_200600_302600_NS6detail15normal_iteratorINS9_10device_ptrIxEEEESE_xNS9_4plusIvEExEEDaPvRmT3_T4_T5_mT6_P12ihipStream_tbENKUlT_T0_E_clISt17integral_constantIbLb0EESU_EEDaSP_SQ_EUlSP_E0_NS1_11comp_targetILNS1_3genE3ELNS1_11target_archE908ELNS1_3gpuE7ELNS1_3repE0EEENS1_30default_config_static_selectorELNS0_4arch9wavefront6targetE1EEEvT1_
                                        ; -- End function
	.section	.AMDGPU.csdata,"",@progbits
; Kernel info:
; codeLenInByte = 0
; NumSgprs: 4
; NumVgprs: 0
; NumAgprs: 0
; TotalNumVgprs: 0
; ScratchSize: 0
; MemoryBound: 0
; FloatMode: 240
; IeeeMode: 1
; LDSByteSize: 0 bytes/workgroup (compile time only)
; SGPRBlocks: 0
; VGPRBlocks: 0
; NumSGPRsForWavesPerEU: 4
; NumVGPRsForWavesPerEU: 1
; AccumOffset: 4
; Occupancy: 8
; WaveLimiterHint : 0
; COMPUTE_PGM_RSRC2:SCRATCH_EN: 0
; COMPUTE_PGM_RSRC2:USER_SGPR: 6
; COMPUTE_PGM_RSRC2:TRAP_HANDLER: 0
; COMPUTE_PGM_RSRC2:TGID_X_EN: 1
; COMPUTE_PGM_RSRC2:TGID_Y_EN: 0
; COMPUTE_PGM_RSRC2:TGID_Z_EN: 0
; COMPUTE_PGM_RSRC2:TIDIG_COMP_CNT: 0
; COMPUTE_PGM_RSRC3_GFX90A:ACCUM_OFFSET: 0
; COMPUTE_PGM_RSRC3_GFX90A:TG_SPLIT: 0
	.section	.text._ZN7rocprim17ROCPRIM_400000_NS6detail17trampoline_kernelINS0_14default_configENS1_20scan_config_selectorIxEEZZNS1_9scan_implILNS1_25lookback_scan_determinismE0ELb1ELb1ES3_N6thrust23THRUST_200600_302600_NS6detail15normal_iteratorINS9_10device_ptrIxEEEESE_xNS9_4plusIvEExEEDaPvRmT3_T4_T5_mT6_P12ihipStream_tbENKUlT_T0_E_clISt17integral_constantIbLb0EESU_EEDaSP_SQ_EUlSP_E0_NS1_11comp_targetILNS1_3genE2ELNS1_11target_archE906ELNS1_3gpuE6ELNS1_3repE0EEENS1_30default_config_static_selectorELNS0_4arch9wavefront6targetE1EEEvT1_,"axG",@progbits,_ZN7rocprim17ROCPRIM_400000_NS6detail17trampoline_kernelINS0_14default_configENS1_20scan_config_selectorIxEEZZNS1_9scan_implILNS1_25lookback_scan_determinismE0ELb1ELb1ES3_N6thrust23THRUST_200600_302600_NS6detail15normal_iteratorINS9_10device_ptrIxEEEESE_xNS9_4plusIvEExEEDaPvRmT3_T4_T5_mT6_P12ihipStream_tbENKUlT_T0_E_clISt17integral_constantIbLb0EESU_EEDaSP_SQ_EUlSP_E0_NS1_11comp_targetILNS1_3genE2ELNS1_11target_archE906ELNS1_3gpuE6ELNS1_3repE0EEENS1_30default_config_static_selectorELNS0_4arch9wavefront6targetE1EEEvT1_,comdat
	.protected	_ZN7rocprim17ROCPRIM_400000_NS6detail17trampoline_kernelINS0_14default_configENS1_20scan_config_selectorIxEEZZNS1_9scan_implILNS1_25lookback_scan_determinismE0ELb1ELb1ES3_N6thrust23THRUST_200600_302600_NS6detail15normal_iteratorINS9_10device_ptrIxEEEESE_xNS9_4plusIvEExEEDaPvRmT3_T4_T5_mT6_P12ihipStream_tbENKUlT_T0_E_clISt17integral_constantIbLb0EESU_EEDaSP_SQ_EUlSP_E0_NS1_11comp_targetILNS1_3genE2ELNS1_11target_archE906ELNS1_3gpuE6ELNS1_3repE0EEENS1_30default_config_static_selectorELNS0_4arch9wavefront6targetE1EEEvT1_ ; -- Begin function _ZN7rocprim17ROCPRIM_400000_NS6detail17trampoline_kernelINS0_14default_configENS1_20scan_config_selectorIxEEZZNS1_9scan_implILNS1_25lookback_scan_determinismE0ELb1ELb1ES3_N6thrust23THRUST_200600_302600_NS6detail15normal_iteratorINS9_10device_ptrIxEEEESE_xNS9_4plusIvEExEEDaPvRmT3_T4_T5_mT6_P12ihipStream_tbENKUlT_T0_E_clISt17integral_constantIbLb0EESU_EEDaSP_SQ_EUlSP_E0_NS1_11comp_targetILNS1_3genE2ELNS1_11target_archE906ELNS1_3gpuE6ELNS1_3repE0EEENS1_30default_config_static_selectorELNS0_4arch9wavefront6targetE1EEEvT1_
	.globl	_ZN7rocprim17ROCPRIM_400000_NS6detail17trampoline_kernelINS0_14default_configENS1_20scan_config_selectorIxEEZZNS1_9scan_implILNS1_25lookback_scan_determinismE0ELb1ELb1ES3_N6thrust23THRUST_200600_302600_NS6detail15normal_iteratorINS9_10device_ptrIxEEEESE_xNS9_4plusIvEExEEDaPvRmT3_T4_T5_mT6_P12ihipStream_tbENKUlT_T0_E_clISt17integral_constantIbLb0EESU_EEDaSP_SQ_EUlSP_E0_NS1_11comp_targetILNS1_3genE2ELNS1_11target_archE906ELNS1_3gpuE6ELNS1_3repE0EEENS1_30default_config_static_selectorELNS0_4arch9wavefront6targetE1EEEvT1_
	.p2align	8
	.type	_ZN7rocprim17ROCPRIM_400000_NS6detail17trampoline_kernelINS0_14default_configENS1_20scan_config_selectorIxEEZZNS1_9scan_implILNS1_25lookback_scan_determinismE0ELb1ELb1ES3_N6thrust23THRUST_200600_302600_NS6detail15normal_iteratorINS9_10device_ptrIxEEEESE_xNS9_4plusIvEExEEDaPvRmT3_T4_T5_mT6_P12ihipStream_tbENKUlT_T0_E_clISt17integral_constantIbLb0EESU_EEDaSP_SQ_EUlSP_E0_NS1_11comp_targetILNS1_3genE2ELNS1_11target_archE906ELNS1_3gpuE6ELNS1_3repE0EEENS1_30default_config_static_selectorELNS0_4arch9wavefront6targetE1EEEvT1_,@function
_ZN7rocprim17ROCPRIM_400000_NS6detail17trampoline_kernelINS0_14default_configENS1_20scan_config_selectorIxEEZZNS1_9scan_implILNS1_25lookback_scan_determinismE0ELb1ELb1ES3_N6thrust23THRUST_200600_302600_NS6detail15normal_iteratorINS9_10device_ptrIxEEEESE_xNS9_4plusIvEExEEDaPvRmT3_T4_T5_mT6_P12ihipStream_tbENKUlT_T0_E_clISt17integral_constantIbLb0EESU_EEDaSP_SQ_EUlSP_E0_NS1_11comp_targetILNS1_3genE2ELNS1_11target_archE906ELNS1_3gpuE6ELNS1_3repE0EEENS1_30default_config_static_selectorELNS0_4arch9wavefront6targetE1EEEvT1_: ; @_ZN7rocprim17ROCPRIM_400000_NS6detail17trampoline_kernelINS0_14default_configENS1_20scan_config_selectorIxEEZZNS1_9scan_implILNS1_25lookback_scan_determinismE0ELb1ELb1ES3_N6thrust23THRUST_200600_302600_NS6detail15normal_iteratorINS9_10device_ptrIxEEEESE_xNS9_4plusIvEExEEDaPvRmT3_T4_T5_mT6_P12ihipStream_tbENKUlT_T0_E_clISt17integral_constantIbLb0EESU_EEDaSP_SQ_EUlSP_E0_NS1_11comp_targetILNS1_3genE2ELNS1_11target_archE906ELNS1_3gpuE6ELNS1_3repE0EEENS1_30default_config_static_selectorELNS0_4arch9wavefront6targetE1EEEvT1_
; %bb.0:
	.section	.rodata,"a",@progbits
	.p2align	6, 0x0
	.amdhsa_kernel _ZN7rocprim17ROCPRIM_400000_NS6detail17trampoline_kernelINS0_14default_configENS1_20scan_config_selectorIxEEZZNS1_9scan_implILNS1_25lookback_scan_determinismE0ELb1ELb1ES3_N6thrust23THRUST_200600_302600_NS6detail15normal_iteratorINS9_10device_ptrIxEEEESE_xNS9_4plusIvEExEEDaPvRmT3_T4_T5_mT6_P12ihipStream_tbENKUlT_T0_E_clISt17integral_constantIbLb0EESU_EEDaSP_SQ_EUlSP_E0_NS1_11comp_targetILNS1_3genE2ELNS1_11target_archE906ELNS1_3gpuE6ELNS1_3repE0EEENS1_30default_config_static_selectorELNS0_4arch9wavefront6targetE1EEEvT1_
		.amdhsa_group_segment_fixed_size 0
		.amdhsa_private_segment_fixed_size 0
		.amdhsa_kernarg_size 40
		.amdhsa_user_sgpr_count 6
		.amdhsa_user_sgpr_private_segment_buffer 1
		.amdhsa_user_sgpr_dispatch_ptr 0
		.amdhsa_user_sgpr_queue_ptr 0
		.amdhsa_user_sgpr_kernarg_segment_ptr 1
		.amdhsa_user_sgpr_dispatch_id 0
		.amdhsa_user_sgpr_flat_scratch_init 0
		.amdhsa_user_sgpr_kernarg_preload_length 0
		.amdhsa_user_sgpr_kernarg_preload_offset 0
		.amdhsa_user_sgpr_private_segment_size 0
		.amdhsa_uses_dynamic_stack 0
		.amdhsa_system_sgpr_private_segment_wavefront_offset 0
		.amdhsa_system_sgpr_workgroup_id_x 1
		.amdhsa_system_sgpr_workgroup_id_y 0
		.amdhsa_system_sgpr_workgroup_id_z 0
		.amdhsa_system_sgpr_workgroup_info 0
		.amdhsa_system_vgpr_workitem_id 0
		.amdhsa_next_free_vgpr 1
		.amdhsa_next_free_sgpr 0
		.amdhsa_accum_offset 4
		.amdhsa_reserve_vcc 0
		.amdhsa_reserve_flat_scratch 0
		.amdhsa_float_round_mode_32 0
		.amdhsa_float_round_mode_16_64 0
		.amdhsa_float_denorm_mode_32 3
		.amdhsa_float_denorm_mode_16_64 3
		.amdhsa_dx10_clamp 1
		.amdhsa_ieee_mode 1
		.amdhsa_fp16_overflow 0
		.amdhsa_tg_split 0
		.amdhsa_exception_fp_ieee_invalid_op 0
		.amdhsa_exception_fp_denorm_src 0
		.amdhsa_exception_fp_ieee_div_zero 0
		.amdhsa_exception_fp_ieee_overflow 0
		.amdhsa_exception_fp_ieee_underflow 0
		.amdhsa_exception_fp_ieee_inexact 0
		.amdhsa_exception_int_div_zero 0
	.end_amdhsa_kernel
	.section	.text._ZN7rocprim17ROCPRIM_400000_NS6detail17trampoline_kernelINS0_14default_configENS1_20scan_config_selectorIxEEZZNS1_9scan_implILNS1_25lookback_scan_determinismE0ELb1ELb1ES3_N6thrust23THRUST_200600_302600_NS6detail15normal_iteratorINS9_10device_ptrIxEEEESE_xNS9_4plusIvEExEEDaPvRmT3_T4_T5_mT6_P12ihipStream_tbENKUlT_T0_E_clISt17integral_constantIbLb0EESU_EEDaSP_SQ_EUlSP_E0_NS1_11comp_targetILNS1_3genE2ELNS1_11target_archE906ELNS1_3gpuE6ELNS1_3repE0EEENS1_30default_config_static_selectorELNS0_4arch9wavefront6targetE1EEEvT1_,"axG",@progbits,_ZN7rocprim17ROCPRIM_400000_NS6detail17trampoline_kernelINS0_14default_configENS1_20scan_config_selectorIxEEZZNS1_9scan_implILNS1_25lookback_scan_determinismE0ELb1ELb1ES3_N6thrust23THRUST_200600_302600_NS6detail15normal_iteratorINS9_10device_ptrIxEEEESE_xNS9_4plusIvEExEEDaPvRmT3_T4_T5_mT6_P12ihipStream_tbENKUlT_T0_E_clISt17integral_constantIbLb0EESU_EEDaSP_SQ_EUlSP_E0_NS1_11comp_targetILNS1_3genE2ELNS1_11target_archE906ELNS1_3gpuE6ELNS1_3repE0EEENS1_30default_config_static_selectorELNS0_4arch9wavefront6targetE1EEEvT1_,comdat
.Lfunc_end139:
	.size	_ZN7rocprim17ROCPRIM_400000_NS6detail17trampoline_kernelINS0_14default_configENS1_20scan_config_selectorIxEEZZNS1_9scan_implILNS1_25lookback_scan_determinismE0ELb1ELb1ES3_N6thrust23THRUST_200600_302600_NS6detail15normal_iteratorINS9_10device_ptrIxEEEESE_xNS9_4plusIvEExEEDaPvRmT3_T4_T5_mT6_P12ihipStream_tbENKUlT_T0_E_clISt17integral_constantIbLb0EESU_EEDaSP_SQ_EUlSP_E0_NS1_11comp_targetILNS1_3genE2ELNS1_11target_archE906ELNS1_3gpuE6ELNS1_3repE0EEENS1_30default_config_static_selectorELNS0_4arch9wavefront6targetE1EEEvT1_, .Lfunc_end139-_ZN7rocprim17ROCPRIM_400000_NS6detail17trampoline_kernelINS0_14default_configENS1_20scan_config_selectorIxEEZZNS1_9scan_implILNS1_25lookback_scan_determinismE0ELb1ELb1ES3_N6thrust23THRUST_200600_302600_NS6detail15normal_iteratorINS9_10device_ptrIxEEEESE_xNS9_4plusIvEExEEDaPvRmT3_T4_T5_mT6_P12ihipStream_tbENKUlT_T0_E_clISt17integral_constantIbLb0EESU_EEDaSP_SQ_EUlSP_E0_NS1_11comp_targetILNS1_3genE2ELNS1_11target_archE906ELNS1_3gpuE6ELNS1_3repE0EEENS1_30default_config_static_selectorELNS0_4arch9wavefront6targetE1EEEvT1_
                                        ; -- End function
	.section	.AMDGPU.csdata,"",@progbits
; Kernel info:
; codeLenInByte = 0
; NumSgprs: 4
; NumVgprs: 0
; NumAgprs: 0
; TotalNumVgprs: 0
; ScratchSize: 0
; MemoryBound: 0
; FloatMode: 240
; IeeeMode: 1
; LDSByteSize: 0 bytes/workgroup (compile time only)
; SGPRBlocks: 0
; VGPRBlocks: 0
; NumSGPRsForWavesPerEU: 4
; NumVGPRsForWavesPerEU: 1
; AccumOffset: 4
; Occupancy: 8
; WaveLimiterHint : 0
; COMPUTE_PGM_RSRC2:SCRATCH_EN: 0
; COMPUTE_PGM_RSRC2:USER_SGPR: 6
; COMPUTE_PGM_RSRC2:TRAP_HANDLER: 0
; COMPUTE_PGM_RSRC2:TGID_X_EN: 1
; COMPUTE_PGM_RSRC2:TGID_Y_EN: 0
; COMPUTE_PGM_RSRC2:TGID_Z_EN: 0
; COMPUTE_PGM_RSRC2:TIDIG_COMP_CNT: 0
; COMPUTE_PGM_RSRC3_GFX90A:ACCUM_OFFSET: 0
; COMPUTE_PGM_RSRC3_GFX90A:TG_SPLIT: 0
	.section	.text._ZN7rocprim17ROCPRIM_400000_NS6detail17trampoline_kernelINS0_14default_configENS1_20scan_config_selectorIxEEZZNS1_9scan_implILNS1_25lookback_scan_determinismE0ELb1ELb1ES3_N6thrust23THRUST_200600_302600_NS6detail15normal_iteratorINS9_10device_ptrIxEEEESE_xNS9_4plusIvEExEEDaPvRmT3_T4_T5_mT6_P12ihipStream_tbENKUlT_T0_E_clISt17integral_constantIbLb0EESU_EEDaSP_SQ_EUlSP_E0_NS1_11comp_targetILNS1_3genE10ELNS1_11target_archE1201ELNS1_3gpuE5ELNS1_3repE0EEENS1_30default_config_static_selectorELNS0_4arch9wavefront6targetE1EEEvT1_,"axG",@progbits,_ZN7rocprim17ROCPRIM_400000_NS6detail17trampoline_kernelINS0_14default_configENS1_20scan_config_selectorIxEEZZNS1_9scan_implILNS1_25lookback_scan_determinismE0ELb1ELb1ES3_N6thrust23THRUST_200600_302600_NS6detail15normal_iteratorINS9_10device_ptrIxEEEESE_xNS9_4plusIvEExEEDaPvRmT3_T4_T5_mT6_P12ihipStream_tbENKUlT_T0_E_clISt17integral_constantIbLb0EESU_EEDaSP_SQ_EUlSP_E0_NS1_11comp_targetILNS1_3genE10ELNS1_11target_archE1201ELNS1_3gpuE5ELNS1_3repE0EEENS1_30default_config_static_selectorELNS0_4arch9wavefront6targetE1EEEvT1_,comdat
	.protected	_ZN7rocprim17ROCPRIM_400000_NS6detail17trampoline_kernelINS0_14default_configENS1_20scan_config_selectorIxEEZZNS1_9scan_implILNS1_25lookback_scan_determinismE0ELb1ELb1ES3_N6thrust23THRUST_200600_302600_NS6detail15normal_iteratorINS9_10device_ptrIxEEEESE_xNS9_4plusIvEExEEDaPvRmT3_T4_T5_mT6_P12ihipStream_tbENKUlT_T0_E_clISt17integral_constantIbLb0EESU_EEDaSP_SQ_EUlSP_E0_NS1_11comp_targetILNS1_3genE10ELNS1_11target_archE1201ELNS1_3gpuE5ELNS1_3repE0EEENS1_30default_config_static_selectorELNS0_4arch9wavefront6targetE1EEEvT1_ ; -- Begin function _ZN7rocprim17ROCPRIM_400000_NS6detail17trampoline_kernelINS0_14default_configENS1_20scan_config_selectorIxEEZZNS1_9scan_implILNS1_25lookback_scan_determinismE0ELb1ELb1ES3_N6thrust23THRUST_200600_302600_NS6detail15normal_iteratorINS9_10device_ptrIxEEEESE_xNS9_4plusIvEExEEDaPvRmT3_T4_T5_mT6_P12ihipStream_tbENKUlT_T0_E_clISt17integral_constantIbLb0EESU_EEDaSP_SQ_EUlSP_E0_NS1_11comp_targetILNS1_3genE10ELNS1_11target_archE1201ELNS1_3gpuE5ELNS1_3repE0EEENS1_30default_config_static_selectorELNS0_4arch9wavefront6targetE1EEEvT1_
	.globl	_ZN7rocprim17ROCPRIM_400000_NS6detail17trampoline_kernelINS0_14default_configENS1_20scan_config_selectorIxEEZZNS1_9scan_implILNS1_25lookback_scan_determinismE0ELb1ELb1ES3_N6thrust23THRUST_200600_302600_NS6detail15normal_iteratorINS9_10device_ptrIxEEEESE_xNS9_4plusIvEExEEDaPvRmT3_T4_T5_mT6_P12ihipStream_tbENKUlT_T0_E_clISt17integral_constantIbLb0EESU_EEDaSP_SQ_EUlSP_E0_NS1_11comp_targetILNS1_3genE10ELNS1_11target_archE1201ELNS1_3gpuE5ELNS1_3repE0EEENS1_30default_config_static_selectorELNS0_4arch9wavefront6targetE1EEEvT1_
	.p2align	8
	.type	_ZN7rocprim17ROCPRIM_400000_NS6detail17trampoline_kernelINS0_14default_configENS1_20scan_config_selectorIxEEZZNS1_9scan_implILNS1_25lookback_scan_determinismE0ELb1ELb1ES3_N6thrust23THRUST_200600_302600_NS6detail15normal_iteratorINS9_10device_ptrIxEEEESE_xNS9_4plusIvEExEEDaPvRmT3_T4_T5_mT6_P12ihipStream_tbENKUlT_T0_E_clISt17integral_constantIbLb0EESU_EEDaSP_SQ_EUlSP_E0_NS1_11comp_targetILNS1_3genE10ELNS1_11target_archE1201ELNS1_3gpuE5ELNS1_3repE0EEENS1_30default_config_static_selectorELNS0_4arch9wavefront6targetE1EEEvT1_,@function
_ZN7rocprim17ROCPRIM_400000_NS6detail17trampoline_kernelINS0_14default_configENS1_20scan_config_selectorIxEEZZNS1_9scan_implILNS1_25lookback_scan_determinismE0ELb1ELb1ES3_N6thrust23THRUST_200600_302600_NS6detail15normal_iteratorINS9_10device_ptrIxEEEESE_xNS9_4plusIvEExEEDaPvRmT3_T4_T5_mT6_P12ihipStream_tbENKUlT_T0_E_clISt17integral_constantIbLb0EESU_EEDaSP_SQ_EUlSP_E0_NS1_11comp_targetILNS1_3genE10ELNS1_11target_archE1201ELNS1_3gpuE5ELNS1_3repE0EEENS1_30default_config_static_selectorELNS0_4arch9wavefront6targetE1EEEvT1_: ; @_ZN7rocprim17ROCPRIM_400000_NS6detail17trampoline_kernelINS0_14default_configENS1_20scan_config_selectorIxEEZZNS1_9scan_implILNS1_25lookback_scan_determinismE0ELb1ELb1ES3_N6thrust23THRUST_200600_302600_NS6detail15normal_iteratorINS9_10device_ptrIxEEEESE_xNS9_4plusIvEExEEDaPvRmT3_T4_T5_mT6_P12ihipStream_tbENKUlT_T0_E_clISt17integral_constantIbLb0EESU_EEDaSP_SQ_EUlSP_E0_NS1_11comp_targetILNS1_3genE10ELNS1_11target_archE1201ELNS1_3gpuE5ELNS1_3repE0EEENS1_30default_config_static_selectorELNS0_4arch9wavefront6targetE1EEEvT1_
; %bb.0:
	.section	.rodata,"a",@progbits
	.p2align	6, 0x0
	.amdhsa_kernel _ZN7rocprim17ROCPRIM_400000_NS6detail17trampoline_kernelINS0_14default_configENS1_20scan_config_selectorIxEEZZNS1_9scan_implILNS1_25lookback_scan_determinismE0ELb1ELb1ES3_N6thrust23THRUST_200600_302600_NS6detail15normal_iteratorINS9_10device_ptrIxEEEESE_xNS9_4plusIvEExEEDaPvRmT3_T4_T5_mT6_P12ihipStream_tbENKUlT_T0_E_clISt17integral_constantIbLb0EESU_EEDaSP_SQ_EUlSP_E0_NS1_11comp_targetILNS1_3genE10ELNS1_11target_archE1201ELNS1_3gpuE5ELNS1_3repE0EEENS1_30default_config_static_selectorELNS0_4arch9wavefront6targetE1EEEvT1_
		.amdhsa_group_segment_fixed_size 0
		.amdhsa_private_segment_fixed_size 0
		.amdhsa_kernarg_size 40
		.amdhsa_user_sgpr_count 6
		.amdhsa_user_sgpr_private_segment_buffer 1
		.amdhsa_user_sgpr_dispatch_ptr 0
		.amdhsa_user_sgpr_queue_ptr 0
		.amdhsa_user_sgpr_kernarg_segment_ptr 1
		.amdhsa_user_sgpr_dispatch_id 0
		.amdhsa_user_sgpr_flat_scratch_init 0
		.amdhsa_user_sgpr_kernarg_preload_length 0
		.amdhsa_user_sgpr_kernarg_preload_offset 0
		.amdhsa_user_sgpr_private_segment_size 0
		.amdhsa_uses_dynamic_stack 0
		.amdhsa_system_sgpr_private_segment_wavefront_offset 0
		.amdhsa_system_sgpr_workgroup_id_x 1
		.amdhsa_system_sgpr_workgroup_id_y 0
		.amdhsa_system_sgpr_workgroup_id_z 0
		.amdhsa_system_sgpr_workgroup_info 0
		.amdhsa_system_vgpr_workitem_id 0
		.amdhsa_next_free_vgpr 1
		.amdhsa_next_free_sgpr 0
		.amdhsa_accum_offset 4
		.amdhsa_reserve_vcc 0
		.amdhsa_reserve_flat_scratch 0
		.amdhsa_float_round_mode_32 0
		.amdhsa_float_round_mode_16_64 0
		.amdhsa_float_denorm_mode_32 3
		.amdhsa_float_denorm_mode_16_64 3
		.amdhsa_dx10_clamp 1
		.amdhsa_ieee_mode 1
		.amdhsa_fp16_overflow 0
		.amdhsa_tg_split 0
		.amdhsa_exception_fp_ieee_invalid_op 0
		.amdhsa_exception_fp_denorm_src 0
		.amdhsa_exception_fp_ieee_div_zero 0
		.amdhsa_exception_fp_ieee_overflow 0
		.amdhsa_exception_fp_ieee_underflow 0
		.amdhsa_exception_fp_ieee_inexact 0
		.amdhsa_exception_int_div_zero 0
	.end_amdhsa_kernel
	.section	.text._ZN7rocprim17ROCPRIM_400000_NS6detail17trampoline_kernelINS0_14default_configENS1_20scan_config_selectorIxEEZZNS1_9scan_implILNS1_25lookback_scan_determinismE0ELb1ELb1ES3_N6thrust23THRUST_200600_302600_NS6detail15normal_iteratorINS9_10device_ptrIxEEEESE_xNS9_4plusIvEExEEDaPvRmT3_T4_T5_mT6_P12ihipStream_tbENKUlT_T0_E_clISt17integral_constantIbLb0EESU_EEDaSP_SQ_EUlSP_E0_NS1_11comp_targetILNS1_3genE10ELNS1_11target_archE1201ELNS1_3gpuE5ELNS1_3repE0EEENS1_30default_config_static_selectorELNS0_4arch9wavefront6targetE1EEEvT1_,"axG",@progbits,_ZN7rocprim17ROCPRIM_400000_NS6detail17trampoline_kernelINS0_14default_configENS1_20scan_config_selectorIxEEZZNS1_9scan_implILNS1_25lookback_scan_determinismE0ELb1ELb1ES3_N6thrust23THRUST_200600_302600_NS6detail15normal_iteratorINS9_10device_ptrIxEEEESE_xNS9_4plusIvEExEEDaPvRmT3_T4_T5_mT6_P12ihipStream_tbENKUlT_T0_E_clISt17integral_constantIbLb0EESU_EEDaSP_SQ_EUlSP_E0_NS1_11comp_targetILNS1_3genE10ELNS1_11target_archE1201ELNS1_3gpuE5ELNS1_3repE0EEENS1_30default_config_static_selectorELNS0_4arch9wavefront6targetE1EEEvT1_,comdat
.Lfunc_end140:
	.size	_ZN7rocprim17ROCPRIM_400000_NS6detail17trampoline_kernelINS0_14default_configENS1_20scan_config_selectorIxEEZZNS1_9scan_implILNS1_25lookback_scan_determinismE0ELb1ELb1ES3_N6thrust23THRUST_200600_302600_NS6detail15normal_iteratorINS9_10device_ptrIxEEEESE_xNS9_4plusIvEExEEDaPvRmT3_T4_T5_mT6_P12ihipStream_tbENKUlT_T0_E_clISt17integral_constantIbLb0EESU_EEDaSP_SQ_EUlSP_E0_NS1_11comp_targetILNS1_3genE10ELNS1_11target_archE1201ELNS1_3gpuE5ELNS1_3repE0EEENS1_30default_config_static_selectorELNS0_4arch9wavefront6targetE1EEEvT1_, .Lfunc_end140-_ZN7rocprim17ROCPRIM_400000_NS6detail17trampoline_kernelINS0_14default_configENS1_20scan_config_selectorIxEEZZNS1_9scan_implILNS1_25lookback_scan_determinismE0ELb1ELb1ES3_N6thrust23THRUST_200600_302600_NS6detail15normal_iteratorINS9_10device_ptrIxEEEESE_xNS9_4plusIvEExEEDaPvRmT3_T4_T5_mT6_P12ihipStream_tbENKUlT_T0_E_clISt17integral_constantIbLb0EESU_EEDaSP_SQ_EUlSP_E0_NS1_11comp_targetILNS1_3genE10ELNS1_11target_archE1201ELNS1_3gpuE5ELNS1_3repE0EEENS1_30default_config_static_selectorELNS0_4arch9wavefront6targetE1EEEvT1_
                                        ; -- End function
	.section	.AMDGPU.csdata,"",@progbits
; Kernel info:
; codeLenInByte = 0
; NumSgprs: 4
; NumVgprs: 0
; NumAgprs: 0
; TotalNumVgprs: 0
; ScratchSize: 0
; MemoryBound: 0
; FloatMode: 240
; IeeeMode: 1
; LDSByteSize: 0 bytes/workgroup (compile time only)
; SGPRBlocks: 0
; VGPRBlocks: 0
; NumSGPRsForWavesPerEU: 4
; NumVGPRsForWavesPerEU: 1
; AccumOffset: 4
; Occupancy: 8
; WaveLimiterHint : 0
; COMPUTE_PGM_RSRC2:SCRATCH_EN: 0
; COMPUTE_PGM_RSRC2:USER_SGPR: 6
; COMPUTE_PGM_RSRC2:TRAP_HANDLER: 0
; COMPUTE_PGM_RSRC2:TGID_X_EN: 1
; COMPUTE_PGM_RSRC2:TGID_Y_EN: 0
; COMPUTE_PGM_RSRC2:TGID_Z_EN: 0
; COMPUTE_PGM_RSRC2:TIDIG_COMP_CNT: 0
; COMPUTE_PGM_RSRC3_GFX90A:ACCUM_OFFSET: 0
; COMPUTE_PGM_RSRC3_GFX90A:TG_SPLIT: 0
	.section	.text._ZN7rocprim17ROCPRIM_400000_NS6detail17trampoline_kernelINS0_14default_configENS1_20scan_config_selectorIxEEZZNS1_9scan_implILNS1_25lookback_scan_determinismE0ELb1ELb1ES3_N6thrust23THRUST_200600_302600_NS6detail15normal_iteratorINS9_10device_ptrIxEEEESE_xNS9_4plusIvEExEEDaPvRmT3_T4_T5_mT6_P12ihipStream_tbENKUlT_T0_E_clISt17integral_constantIbLb0EESU_EEDaSP_SQ_EUlSP_E0_NS1_11comp_targetILNS1_3genE10ELNS1_11target_archE1200ELNS1_3gpuE4ELNS1_3repE0EEENS1_30default_config_static_selectorELNS0_4arch9wavefront6targetE1EEEvT1_,"axG",@progbits,_ZN7rocprim17ROCPRIM_400000_NS6detail17trampoline_kernelINS0_14default_configENS1_20scan_config_selectorIxEEZZNS1_9scan_implILNS1_25lookback_scan_determinismE0ELb1ELb1ES3_N6thrust23THRUST_200600_302600_NS6detail15normal_iteratorINS9_10device_ptrIxEEEESE_xNS9_4plusIvEExEEDaPvRmT3_T4_T5_mT6_P12ihipStream_tbENKUlT_T0_E_clISt17integral_constantIbLb0EESU_EEDaSP_SQ_EUlSP_E0_NS1_11comp_targetILNS1_3genE10ELNS1_11target_archE1200ELNS1_3gpuE4ELNS1_3repE0EEENS1_30default_config_static_selectorELNS0_4arch9wavefront6targetE1EEEvT1_,comdat
	.protected	_ZN7rocprim17ROCPRIM_400000_NS6detail17trampoline_kernelINS0_14default_configENS1_20scan_config_selectorIxEEZZNS1_9scan_implILNS1_25lookback_scan_determinismE0ELb1ELb1ES3_N6thrust23THRUST_200600_302600_NS6detail15normal_iteratorINS9_10device_ptrIxEEEESE_xNS9_4plusIvEExEEDaPvRmT3_T4_T5_mT6_P12ihipStream_tbENKUlT_T0_E_clISt17integral_constantIbLb0EESU_EEDaSP_SQ_EUlSP_E0_NS1_11comp_targetILNS1_3genE10ELNS1_11target_archE1200ELNS1_3gpuE4ELNS1_3repE0EEENS1_30default_config_static_selectorELNS0_4arch9wavefront6targetE1EEEvT1_ ; -- Begin function _ZN7rocprim17ROCPRIM_400000_NS6detail17trampoline_kernelINS0_14default_configENS1_20scan_config_selectorIxEEZZNS1_9scan_implILNS1_25lookback_scan_determinismE0ELb1ELb1ES3_N6thrust23THRUST_200600_302600_NS6detail15normal_iteratorINS9_10device_ptrIxEEEESE_xNS9_4plusIvEExEEDaPvRmT3_T4_T5_mT6_P12ihipStream_tbENKUlT_T0_E_clISt17integral_constantIbLb0EESU_EEDaSP_SQ_EUlSP_E0_NS1_11comp_targetILNS1_3genE10ELNS1_11target_archE1200ELNS1_3gpuE4ELNS1_3repE0EEENS1_30default_config_static_selectorELNS0_4arch9wavefront6targetE1EEEvT1_
	.globl	_ZN7rocprim17ROCPRIM_400000_NS6detail17trampoline_kernelINS0_14default_configENS1_20scan_config_selectorIxEEZZNS1_9scan_implILNS1_25lookback_scan_determinismE0ELb1ELb1ES3_N6thrust23THRUST_200600_302600_NS6detail15normal_iteratorINS9_10device_ptrIxEEEESE_xNS9_4plusIvEExEEDaPvRmT3_T4_T5_mT6_P12ihipStream_tbENKUlT_T0_E_clISt17integral_constantIbLb0EESU_EEDaSP_SQ_EUlSP_E0_NS1_11comp_targetILNS1_3genE10ELNS1_11target_archE1200ELNS1_3gpuE4ELNS1_3repE0EEENS1_30default_config_static_selectorELNS0_4arch9wavefront6targetE1EEEvT1_
	.p2align	8
	.type	_ZN7rocprim17ROCPRIM_400000_NS6detail17trampoline_kernelINS0_14default_configENS1_20scan_config_selectorIxEEZZNS1_9scan_implILNS1_25lookback_scan_determinismE0ELb1ELb1ES3_N6thrust23THRUST_200600_302600_NS6detail15normal_iteratorINS9_10device_ptrIxEEEESE_xNS9_4plusIvEExEEDaPvRmT3_T4_T5_mT6_P12ihipStream_tbENKUlT_T0_E_clISt17integral_constantIbLb0EESU_EEDaSP_SQ_EUlSP_E0_NS1_11comp_targetILNS1_3genE10ELNS1_11target_archE1200ELNS1_3gpuE4ELNS1_3repE0EEENS1_30default_config_static_selectorELNS0_4arch9wavefront6targetE1EEEvT1_,@function
_ZN7rocprim17ROCPRIM_400000_NS6detail17trampoline_kernelINS0_14default_configENS1_20scan_config_selectorIxEEZZNS1_9scan_implILNS1_25lookback_scan_determinismE0ELb1ELb1ES3_N6thrust23THRUST_200600_302600_NS6detail15normal_iteratorINS9_10device_ptrIxEEEESE_xNS9_4plusIvEExEEDaPvRmT3_T4_T5_mT6_P12ihipStream_tbENKUlT_T0_E_clISt17integral_constantIbLb0EESU_EEDaSP_SQ_EUlSP_E0_NS1_11comp_targetILNS1_3genE10ELNS1_11target_archE1200ELNS1_3gpuE4ELNS1_3repE0EEENS1_30default_config_static_selectorELNS0_4arch9wavefront6targetE1EEEvT1_: ; @_ZN7rocprim17ROCPRIM_400000_NS6detail17trampoline_kernelINS0_14default_configENS1_20scan_config_selectorIxEEZZNS1_9scan_implILNS1_25lookback_scan_determinismE0ELb1ELb1ES3_N6thrust23THRUST_200600_302600_NS6detail15normal_iteratorINS9_10device_ptrIxEEEESE_xNS9_4plusIvEExEEDaPvRmT3_T4_T5_mT6_P12ihipStream_tbENKUlT_T0_E_clISt17integral_constantIbLb0EESU_EEDaSP_SQ_EUlSP_E0_NS1_11comp_targetILNS1_3genE10ELNS1_11target_archE1200ELNS1_3gpuE4ELNS1_3repE0EEENS1_30default_config_static_selectorELNS0_4arch9wavefront6targetE1EEEvT1_
; %bb.0:
	.section	.rodata,"a",@progbits
	.p2align	6, 0x0
	.amdhsa_kernel _ZN7rocprim17ROCPRIM_400000_NS6detail17trampoline_kernelINS0_14default_configENS1_20scan_config_selectorIxEEZZNS1_9scan_implILNS1_25lookback_scan_determinismE0ELb1ELb1ES3_N6thrust23THRUST_200600_302600_NS6detail15normal_iteratorINS9_10device_ptrIxEEEESE_xNS9_4plusIvEExEEDaPvRmT3_T4_T5_mT6_P12ihipStream_tbENKUlT_T0_E_clISt17integral_constantIbLb0EESU_EEDaSP_SQ_EUlSP_E0_NS1_11comp_targetILNS1_3genE10ELNS1_11target_archE1200ELNS1_3gpuE4ELNS1_3repE0EEENS1_30default_config_static_selectorELNS0_4arch9wavefront6targetE1EEEvT1_
		.amdhsa_group_segment_fixed_size 0
		.amdhsa_private_segment_fixed_size 0
		.amdhsa_kernarg_size 40
		.amdhsa_user_sgpr_count 6
		.amdhsa_user_sgpr_private_segment_buffer 1
		.amdhsa_user_sgpr_dispatch_ptr 0
		.amdhsa_user_sgpr_queue_ptr 0
		.amdhsa_user_sgpr_kernarg_segment_ptr 1
		.amdhsa_user_sgpr_dispatch_id 0
		.amdhsa_user_sgpr_flat_scratch_init 0
		.amdhsa_user_sgpr_kernarg_preload_length 0
		.amdhsa_user_sgpr_kernarg_preload_offset 0
		.amdhsa_user_sgpr_private_segment_size 0
		.amdhsa_uses_dynamic_stack 0
		.amdhsa_system_sgpr_private_segment_wavefront_offset 0
		.amdhsa_system_sgpr_workgroup_id_x 1
		.amdhsa_system_sgpr_workgroup_id_y 0
		.amdhsa_system_sgpr_workgroup_id_z 0
		.amdhsa_system_sgpr_workgroup_info 0
		.amdhsa_system_vgpr_workitem_id 0
		.amdhsa_next_free_vgpr 1
		.amdhsa_next_free_sgpr 0
		.amdhsa_accum_offset 4
		.amdhsa_reserve_vcc 0
		.amdhsa_reserve_flat_scratch 0
		.amdhsa_float_round_mode_32 0
		.amdhsa_float_round_mode_16_64 0
		.amdhsa_float_denorm_mode_32 3
		.amdhsa_float_denorm_mode_16_64 3
		.amdhsa_dx10_clamp 1
		.amdhsa_ieee_mode 1
		.amdhsa_fp16_overflow 0
		.amdhsa_tg_split 0
		.amdhsa_exception_fp_ieee_invalid_op 0
		.amdhsa_exception_fp_denorm_src 0
		.amdhsa_exception_fp_ieee_div_zero 0
		.amdhsa_exception_fp_ieee_overflow 0
		.amdhsa_exception_fp_ieee_underflow 0
		.amdhsa_exception_fp_ieee_inexact 0
		.amdhsa_exception_int_div_zero 0
	.end_amdhsa_kernel
	.section	.text._ZN7rocprim17ROCPRIM_400000_NS6detail17trampoline_kernelINS0_14default_configENS1_20scan_config_selectorIxEEZZNS1_9scan_implILNS1_25lookback_scan_determinismE0ELb1ELb1ES3_N6thrust23THRUST_200600_302600_NS6detail15normal_iteratorINS9_10device_ptrIxEEEESE_xNS9_4plusIvEExEEDaPvRmT3_T4_T5_mT6_P12ihipStream_tbENKUlT_T0_E_clISt17integral_constantIbLb0EESU_EEDaSP_SQ_EUlSP_E0_NS1_11comp_targetILNS1_3genE10ELNS1_11target_archE1200ELNS1_3gpuE4ELNS1_3repE0EEENS1_30default_config_static_selectorELNS0_4arch9wavefront6targetE1EEEvT1_,"axG",@progbits,_ZN7rocprim17ROCPRIM_400000_NS6detail17trampoline_kernelINS0_14default_configENS1_20scan_config_selectorIxEEZZNS1_9scan_implILNS1_25lookback_scan_determinismE0ELb1ELb1ES3_N6thrust23THRUST_200600_302600_NS6detail15normal_iteratorINS9_10device_ptrIxEEEESE_xNS9_4plusIvEExEEDaPvRmT3_T4_T5_mT6_P12ihipStream_tbENKUlT_T0_E_clISt17integral_constantIbLb0EESU_EEDaSP_SQ_EUlSP_E0_NS1_11comp_targetILNS1_3genE10ELNS1_11target_archE1200ELNS1_3gpuE4ELNS1_3repE0EEENS1_30default_config_static_selectorELNS0_4arch9wavefront6targetE1EEEvT1_,comdat
.Lfunc_end141:
	.size	_ZN7rocprim17ROCPRIM_400000_NS6detail17trampoline_kernelINS0_14default_configENS1_20scan_config_selectorIxEEZZNS1_9scan_implILNS1_25lookback_scan_determinismE0ELb1ELb1ES3_N6thrust23THRUST_200600_302600_NS6detail15normal_iteratorINS9_10device_ptrIxEEEESE_xNS9_4plusIvEExEEDaPvRmT3_T4_T5_mT6_P12ihipStream_tbENKUlT_T0_E_clISt17integral_constantIbLb0EESU_EEDaSP_SQ_EUlSP_E0_NS1_11comp_targetILNS1_3genE10ELNS1_11target_archE1200ELNS1_3gpuE4ELNS1_3repE0EEENS1_30default_config_static_selectorELNS0_4arch9wavefront6targetE1EEEvT1_, .Lfunc_end141-_ZN7rocprim17ROCPRIM_400000_NS6detail17trampoline_kernelINS0_14default_configENS1_20scan_config_selectorIxEEZZNS1_9scan_implILNS1_25lookback_scan_determinismE0ELb1ELb1ES3_N6thrust23THRUST_200600_302600_NS6detail15normal_iteratorINS9_10device_ptrIxEEEESE_xNS9_4plusIvEExEEDaPvRmT3_T4_T5_mT6_P12ihipStream_tbENKUlT_T0_E_clISt17integral_constantIbLb0EESU_EEDaSP_SQ_EUlSP_E0_NS1_11comp_targetILNS1_3genE10ELNS1_11target_archE1200ELNS1_3gpuE4ELNS1_3repE0EEENS1_30default_config_static_selectorELNS0_4arch9wavefront6targetE1EEEvT1_
                                        ; -- End function
	.section	.AMDGPU.csdata,"",@progbits
; Kernel info:
; codeLenInByte = 0
; NumSgprs: 4
; NumVgprs: 0
; NumAgprs: 0
; TotalNumVgprs: 0
; ScratchSize: 0
; MemoryBound: 0
; FloatMode: 240
; IeeeMode: 1
; LDSByteSize: 0 bytes/workgroup (compile time only)
; SGPRBlocks: 0
; VGPRBlocks: 0
; NumSGPRsForWavesPerEU: 4
; NumVGPRsForWavesPerEU: 1
; AccumOffset: 4
; Occupancy: 8
; WaveLimiterHint : 0
; COMPUTE_PGM_RSRC2:SCRATCH_EN: 0
; COMPUTE_PGM_RSRC2:USER_SGPR: 6
; COMPUTE_PGM_RSRC2:TRAP_HANDLER: 0
; COMPUTE_PGM_RSRC2:TGID_X_EN: 1
; COMPUTE_PGM_RSRC2:TGID_Y_EN: 0
; COMPUTE_PGM_RSRC2:TGID_Z_EN: 0
; COMPUTE_PGM_RSRC2:TIDIG_COMP_CNT: 0
; COMPUTE_PGM_RSRC3_GFX90A:ACCUM_OFFSET: 0
; COMPUTE_PGM_RSRC3_GFX90A:TG_SPLIT: 0
	.section	.text._ZN7rocprim17ROCPRIM_400000_NS6detail17trampoline_kernelINS0_14default_configENS1_20scan_config_selectorIxEEZZNS1_9scan_implILNS1_25lookback_scan_determinismE0ELb1ELb1ES3_N6thrust23THRUST_200600_302600_NS6detail15normal_iteratorINS9_10device_ptrIxEEEESE_xNS9_4plusIvEExEEDaPvRmT3_T4_T5_mT6_P12ihipStream_tbENKUlT_T0_E_clISt17integral_constantIbLb0EESU_EEDaSP_SQ_EUlSP_E0_NS1_11comp_targetILNS1_3genE9ELNS1_11target_archE1100ELNS1_3gpuE3ELNS1_3repE0EEENS1_30default_config_static_selectorELNS0_4arch9wavefront6targetE1EEEvT1_,"axG",@progbits,_ZN7rocprim17ROCPRIM_400000_NS6detail17trampoline_kernelINS0_14default_configENS1_20scan_config_selectorIxEEZZNS1_9scan_implILNS1_25lookback_scan_determinismE0ELb1ELb1ES3_N6thrust23THRUST_200600_302600_NS6detail15normal_iteratorINS9_10device_ptrIxEEEESE_xNS9_4plusIvEExEEDaPvRmT3_T4_T5_mT6_P12ihipStream_tbENKUlT_T0_E_clISt17integral_constantIbLb0EESU_EEDaSP_SQ_EUlSP_E0_NS1_11comp_targetILNS1_3genE9ELNS1_11target_archE1100ELNS1_3gpuE3ELNS1_3repE0EEENS1_30default_config_static_selectorELNS0_4arch9wavefront6targetE1EEEvT1_,comdat
	.protected	_ZN7rocprim17ROCPRIM_400000_NS6detail17trampoline_kernelINS0_14default_configENS1_20scan_config_selectorIxEEZZNS1_9scan_implILNS1_25lookback_scan_determinismE0ELb1ELb1ES3_N6thrust23THRUST_200600_302600_NS6detail15normal_iteratorINS9_10device_ptrIxEEEESE_xNS9_4plusIvEExEEDaPvRmT3_T4_T5_mT6_P12ihipStream_tbENKUlT_T0_E_clISt17integral_constantIbLb0EESU_EEDaSP_SQ_EUlSP_E0_NS1_11comp_targetILNS1_3genE9ELNS1_11target_archE1100ELNS1_3gpuE3ELNS1_3repE0EEENS1_30default_config_static_selectorELNS0_4arch9wavefront6targetE1EEEvT1_ ; -- Begin function _ZN7rocprim17ROCPRIM_400000_NS6detail17trampoline_kernelINS0_14default_configENS1_20scan_config_selectorIxEEZZNS1_9scan_implILNS1_25lookback_scan_determinismE0ELb1ELb1ES3_N6thrust23THRUST_200600_302600_NS6detail15normal_iteratorINS9_10device_ptrIxEEEESE_xNS9_4plusIvEExEEDaPvRmT3_T4_T5_mT6_P12ihipStream_tbENKUlT_T0_E_clISt17integral_constantIbLb0EESU_EEDaSP_SQ_EUlSP_E0_NS1_11comp_targetILNS1_3genE9ELNS1_11target_archE1100ELNS1_3gpuE3ELNS1_3repE0EEENS1_30default_config_static_selectorELNS0_4arch9wavefront6targetE1EEEvT1_
	.globl	_ZN7rocprim17ROCPRIM_400000_NS6detail17trampoline_kernelINS0_14default_configENS1_20scan_config_selectorIxEEZZNS1_9scan_implILNS1_25lookback_scan_determinismE0ELb1ELb1ES3_N6thrust23THRUST_200600_302600_NS6detail15normal_iteratorINS9_10device_ptrIxEEEESE_xNS9_4plusIvEExEEDaPvRmT3_T4_T5_mT6_P12ihipStream_tbENKUlT_T0_E_clISt17integral_constantIbLb0EESU_EEDaSP_SQ_EUlSP_E0_NS1_11comp_targetILNS1_3genE9ELNS1_11target_archE1100ELNS1_3gpuE3ELNS1_3repE0EEENS1_30default_config_static_selectorELNS0_4arch9wavefront6targetE1EEEvT1_
	.p2align	8
	.type	_ZN7rocprim17ROCPRIM_400000_NS6detail17trampoline_kernelINS0_14default_configENS1_20scan_config_selectorIxEEZZNS1_9scan_implILNS1_25lookback_scan_determinismE0ELb1ELb1ES3_N6thrust23THRUST_200600_302600_NS6detail15normal_iteratorINS9_10device_ptrIxEEEESE_xNS9_4plusIvEExEEDaPvRmT3_T4_T5_mT6_P12ihipStream_tbENKUlT_T0_E_clISt17integral_constantIbLb0EESU_EEDaSP_SQ_EUlSP_E0_NS1_11comp_targetILNS1_3genE9ELNS1_11target_archE1100ELNS1_3gpuE3ELNS1_3repE0EEENS1_30default_config_static_selectorELNS0_4arch9wavefront6targetE1EEEvT1_,@function
_ZN7rocprim17ROCPRIM_400000_NS6detail17trampoline_kernelINS0_14default_configENS1_20scan_config_selectorIxEEZZNS1_9scan_implILNS1_25lookback_scan_determinismE0ELb1ELb1ES3_N6thrust23THRUST_200600_302600_NS6detail15normal_iteratorINS9_10device_ptrIxEEEESE_xNS9_4plusIvEExEEDaPvRmT3_T4_T5_mT6_P12ihipStream_tbENKUlT_T0_E_clISt17integral_constantIbLb0EESU_EEDaSP_SQ_EUlSP_E0_NS1_11comp_targetILNS1_3genE9ELNS1_11target_archE1100ELNS1_3gpuE3ELNS1_3repE0EEENS1_30default_config_static_selectorELNS0_4arch9wavefront6targetE1EEEvT1_: ; @_ZN7rocprim17ROCPRIM_400000_NS6detail17trampoline_kernelINS0_14default_configENS1_20scan_config_selectorIxEEZZNS1_9scan_implILNS1_25lookback_scan_determinismE0ELb1ELb1ES3_N6thrust23THRUST_200600_302600_NS6detail15normal_iteratorINS9_10device_ptrIxEEEESE_xNS9_4plusIvEExEEDaPvRmT3_T4_T5_mT6_P12ihipStream_tbENKUlT_T0_E_clISt17integral_constantIbLb0EESU_EEDaSP_SQ_EUlSP_E0_NS1_11comp_targetILNS1_3genE9ELNS1_11target_archE1100ELNS1_3gpuE3ELNS1_3repE0EEENS1_30default_config_static_selectorELNS0_4arch9wavefront6targetE1EEEvT1_
; %bb.0:
	.section	.rodata,"a",@progbits
	.p2align	6, 0x0
	.amdhsa_kernel _ZN7rocprim17ROCPRIM_400000_NS6detail17trampoline_kernelINS0_14default_configENS1_20scan_config_selectorIxEEZZNS1_9scan_implILNS1_25lookback_scan_determinismE0ELb1ELb1ES3_N6thrust23THRUST_200600_302600_NS6detail15normal_iteratorINS9_10device_ptrIxEEEESE_xNS9_4plusIvEExEEDaPvRmT3_T4_T5_mT6_P12ihipStream_tbENKUlT_T0_E_clISt17integral_constantIbLb0EESU_EEDaSP_SQ_EUlSP_E0_NS1_11comp_targetILNS1_3genE9ELNS1_11target_archE1100ELNS1_3gpuE3ELNS1_3repE0EEENS1_30default_config_static_selectorELNS0_4arch9wavefront6targetE1EEEvT1_
		.amdhsa_group_segment_fixed_size 0
		.amdhsa_private_segment_fixed_size 0
		.amdhsa_kernarg_size 40
		.amdhsa_user_sgpr_count 6
		.amdhsa_user_sgpr_private_segment_buffer 1
		.amdhsa_user_sgpr_dispatch_ptr 0
		.amdhsa_user_sgpr_queue_ptr 0
		.amdhsa_user_sgpr_kernarg_segment_ptr 1
		.amdhsa_user_sgpr_dispatch_id 0
		.amdhsa_user_sgpr_flat_scratch_init 0
		.amdhsa_user_sgpr_kernarg_preload_length 0
		.amdhsa_user_sgpr_kernarg_preload_offset 0
		.amdhsa_user_sgpr_private_segment_size 0
		.amdhsa_uses_dynamic_stack 0
		.amdhsa_system_sgpr_private_segment_wavefront_offset 0
		.amdhsa_system_sgpr_workgroup_id_x 1
		.amdhsa_system_sgpr_workgroup_id_y 0
		.amdhsa_system_sgpr_workgroup_id_z 0
		.amdhsa_system_sgpr_workgroup_info 0
		.amdhsa_system_vgpr_workitem_id 0
		.amdhsa_next_free_vgpr 1
		.amdhsa_next_free_sgpr 0
		.amdhsa_accum_offset 4
		.amdhsa_reserve_vcc 0
		.amdhsa_reserve_flat_scratch 0
		.amdhsa_float_round_mode_32 0
		.amdhsa_float_round_mode_16_64 0
		.amdhsa_float_denorm_mode_32 3
		.amdhsa_float_denorm_mode_16_64 3
		.amdhsa_dx10_clamp 1
		.amdhsa_ieee_mode 1
		.amdhsa_fp16_overflow 0
		.amdhsa_tg_split 0
		.amdhsa_exception_fp_ieee_invalid_op 0
		.amdhsa_exception_fp_denorm_src 0
		.amdhsa_exception_fp_ieee_div_zero 0
		.amdhsa_exception_fp_ieee_overflow 0
		.amdhsa_exception_fp_ieee_underflow 0
		.amdhsa_exception_fp_ieee_inexact 0
		.amdhsa_exception_int_div_zero 0
	.end_amdhsa_kernel
	.section	.text._ZN7rocprim17ROCPRIM_400000_NS6detail17trampoline_kernelINS0_14default_configENS1_20scan_config_selectorIxEEZZNS1_9scan_implILNS1_25lookback_scan_determinismE0ELb1ELb1ES3_N6thrust23THRUST_200600_302600_NS6detail15normal_iteratorINS9_10device_ptrIxEEEESE_xNS9_4plusIvEExEEDaPvRmT3_T4_T5_mT6_P12ihipStream_tbENKUlT_T0_E_clISt17integral_constantIbLb0EESU_EEDaSP_SQ_EUlSP_E0_NS1_11comp_targetILNS1_3genE9ELNS1_11target_archE1100ELNS1_3gpuE3ELNS1_3repE0EEENS1_30default_config_static_selectorELNS0_4arch9wavefront6targetE1EEEvT1_,"axG",@progbits,_ZN7rocprim17ROCPRIM_400000_NS6detail17trampoline_kernelINS0_14default_configENS1_20scan_config_selectorIxEEZZNS1_9scan_implILNS1_25lookback_scan_determinismE0ELb1ELb1ES3_N6thrust23THRUST_200600_302600_NS6detail15normal_iteratorINS9_10device_ptrIxEEEESE_xNS9_4plusIvEExEEDaPvRmT3_T4_T5_mT6_P12ihipStream_tbENKUlT_T0_E_clISt17integral_constantIbLb0EESU_EEDaSP_SQ_EUlSP_E0_NS1_11comp_targetILNS1_3genE9ELNS1_11target_archE1100ELNS1_3gpuE3ELNS1_3repE0EEENS1_30default_config_static_selectorELNS0_4arch9wavefront6targetE1EEEvT1_,comdat
.Lfunc_end142:
	.size	_ZN7rocprim17ROCPRIM_400000_NS6detail17trampoline_kernelINS0_14default_configENS1_20scan_config_selectorIxEEZZNS1_9scan_implILNS1_25lookback_scan_determinismE0ELb1ELb1ES3_N6thrust23THRUST_200600_302600_NS6detail15normal_iteratorINS9_10device_ptrIxEEEESE_xNS9_4plusIvEExEEDaPvRmT3_T4_T5_mT6_P12ihipStream_tbENKUlT_T0_E_clISt17integral_constantIbLb0EESU_EEDaSP_SQ_EUlSP_E0_NS1_11comp_targetILNS1_3genE9ELNS1_11target_archE1100ELNS1_3gpuE3ELNS1_3repE0EEENS1_30default_config_static_selectorELNS0_4arch9wavefront6targetE1EEEvT1_, .Lfunc_end142-_ZN7rocprim17ROCPRIM_400000_NS6detail17trampoline_kernelINS0_14default_configENS1_20scan_config_selectorIxEEZZNS1_9scan_implILNS1_25lookback_scan_determinismE0ELb1ELb1ES3_N6thrust23THRUST_200600_302600_NS6detail15normal_iteratorINS9_10device_ptrIxEEEESE_xNS9_4plusIvEExEEDaPvRmT3_T4_T5_mT6_P12ihipStream_tbENKUlT_T0_E_clISt17integral_constantIbLb0EESU_EEDaSP_SQ_EUlSP_E0_NS1_11comp_targetILNS1_3genE9ELNS1_11target_archE1100ELNS1_3gpuE3ELNS1_3repE0EEENS1_30default_config_static_selectorELNS0_4arch9wavefront6targetE1EEEvT1_
                                        ; -- End function
	.section	.AMDGPU.csdata,"",@progbits
; Kernel info:
; codeLenInByte = 0
; NumSgprs: 4
; NumVgprs: 0
; NumAgprs: 0
; TotalNumVgprs: 0
; ScratchSize: 0
; MemoryBound: 0
; FloatMode: 240
; IeeeMode: 1
; LDSByteSize: 0 bytes/workgroup (compile time only)
; SGPRBlocks: 0
; VGPRBlocks: 0
; NumSGPRsForWavesPerEU: 4
; NumVGPRsForWavesPerEU: 1
; AccumOffset: 4
; Occupancy: 8
; WaveLimiterHint : 0
; COMPUTE_PGM_RSRC2:SCRATCH_EN: 0
; COMPUTE_PGM_RSRC2:USER_SGPR: 6
; COMPUTE_PGM_RSRC2:TRAP_HANDLER: 0
; COMPUTE_PGM_RSRC2:TGID_X_EN: 1
; COMPUTE_PGM_RSRC2:TGID_Y_EN: 0
; COMPUTE_PGM_RSRC2:TGID_Z_EN: 0
; COMPUTE_PGM_RSRC2:TIDIG_COMP_CNT: 0
; COMPUTE_PGM_RSRC3_GFX90A:ACCUM_OFFSET: 0
; COMPUTE_PGM_RSRC3_GFX90A:TG_SPLIT: 0
	.section	.text._ZN7rocprim17ROCPRIM_400000_NS6detail17trampoline_kernelINS0_14default_configENS1_20scan_config_selectorIxEEZZNS1_9scan_implILNS1_25lookback_scan_determinismE0ELb1ELb1ES3_N6thrust23THRUST_200600_302600_NS6detail15normal_iteratorINS9_10device_ptrIxEEEESE_xNS9_4plusIvEExEEDaPvRmT3_T4_T5_mT6_P12ihipStream_tbENKUlT_T0_E_clISt17integral_constantIbLb0EESU_EEDaSP_SQ_EUlSP_E0_NS1_11comp_targetILNS1_3genE8ELNS1_11target_archE1030ELNS1_3gpuE2ELNS1_3repE0EEENS1_30default_config_static_selectorELNS0_4arch9wavefront6targetE1EEEvT1_,"axG",@progbits,_ZN7rocprim17ROCPRIM_400000_NS6detail17trampoline_kernelINS0_14default_configENS1_20scan_config_selectorIxEEZZNS1_9scan_implILNS1_25lookback_scan_determinismE0ELb1ELb1ES3_N6thrust23THRUST_200600_302600_NS6detail15normal_iteratorINS9_10device_ptrIxEEEESE_xNS9_4plusIvEExEEDaPvRmT3_T4_T5_mT6_P12ihipStream_tbENKUlT_T0_E_clISt17integral_constantIbLb0EESU_EEDaSP_SQ_EUlSP_E0_NS1_11comp_targetILNS1_3genE8ELNS1_11target_archE1030ELNS1_3gpuE2ELNS1_3repE0EEENS1_30default_config_static_selectorELNS0_4arch9wavefront6targetE1EEEvT1_,comdat
	.protected	_ZN7rocprim17ROCPRIM_400000_NS6detail17trampoline_kernelINS0_14default_configENS1_20scan_config_selectorIxEEZZNS1_9scan_implILNS1_25lookback_scan_determinismE0ELb1ELb1ES3_N6thrust23THRUST_200600_302600_NS6detail15normal_iteratorINS9_10device_ptrIxEEEESE_xNS9_4plusIvEExEEDaPvRmT3_T4_T5_mT6_P12ihipStream_tbENKUlT_T0_E_clISt17integral_constantIbLb0EESU_EEDaSP_SQ_EUlSP_E0_NS1_11comp_targetILNS1_3genE8ELNS1_11target_archE1030ELNS1_3gpuE2ELNS1_3repE0EEENS1_30default_config_static_selectorELNS0_4arch9wavefront6targetE1EEEvT1_ ; -- Begin function _ZN7rocprim17ROCPRIM_400000_NS6detail17trampoline_kernelINS0_14default_configENS1_20scan_config_selectorIxEEZZNS1_9scan_implILNS1_25lookback_scan_determinismE0ELb1ELb1ES3_N6thrust23THRUST_200600_302600_NS6detail15normal_iteratorINS9_10device_ptrIxEEEESE_xNS9_4plusIvEExEEDaPvRmT3_T4_T5_mT6_P12ihipStream_tbENKUlT_T0_E_clISt17integral_constantIbLb0EESU_EEDaSP_SQ_EUlSP_E0_NS1_11comp_targetILNS1_3genE8ELNS1_11target_archE1030ELNS1_3gpuE2ELNS1_3repE0EEENS1_30default_config_static_selectorELNS0_4arch9wavefront6targetE1EEEvT1_
	.globl	_ZN7rocprim17ROCPRIM_400000_NS6detail17trampoline_kernelINS0_14default_configENS1_20scan_config_selectorIxEEZZNS1_9scan_implILNS1_25lookback_scan_determinismE0ELb1ELb1ES3_N6thrust23THRUST_200600_302600_NS6detail15normal_iteratorINS9_10device_ptrIxEEEESE_xNS9_4plusIvEExEEDaPvRmT3_T4_T5_mT6_P12ihipStream_tbENKUlT_T0_E_clISt17integral_constantIbLb0EESU_EEDaSP_SQ_EUlSP_E0_NS1_11comp_targetILNS1_3genE8ELNS1_11target_archE1030ELNS1_3gpuE2ELNS1_3repE0EEENS1_30default_config_static_selectorELNS0_4arch9wavefront6targetE1EEEvT1_
	.p2align	8
	.type	_ZN7rocprim17ROCPRIM_400000_NS6detail17trampoline_kernelINS0_14default_configENS1_20scan_config_selectorIxEEZZNS1_9scan_implILNS1_25lookback_scan_determinismE0ELb1ELb1ES3_N6thrust23THRUST_200600_302600_NS6detail15normal_iteratorINS9_10device_ptrIxEEEESE_xNS9_4plusIvEExEEDaPvRmT3_T4_T5_mT6_P12ihipStream_tbENKUlT_T0_E_clISt17integral_constantIbLb0EESU_EEDaSP_SQ_EUlSP_E0_NS1_11comp_targetILNS1_3genE8ELNS1_11target_archE1030ELNS1_3gpuE2ELNS1_3repE0EEENS1_30default_config_static_selectorELNS0_4arch9wavefront6targetE1EEEvT1_,@function
_ZN7rocprim17ROCPRIM_400000_NS6detail17trampoline_kernelINS0_14default_configENS1_20scan_config_selectorIxEEZZNS1_9scan_implILNS1_25lookback_scan_determinismE0ELb1ELb1ES3_N6thrust23THRUST_200600_302600_NS6detail15normal_iteratorINS9_10device_ptrIxEEEESE_xNS9_4plusIvEExEEDaPvRmT3_T4_T5_mT6_P12ihipStream_tbENKUlT_T0_E_clISt17integral_constantIbLb0EESU_EEDaSP_SQ_EUlSP_E0_NS1_11comp_targetILNS1_3genE8ELNS1_11target_archE1030ELNS1_3gpuE2ELNS1_3repE0EEENS1_30default_config_static_selectorELNS0_4arch9wavefront6targetE1EEEvT1_: ; @_ZN7rocprim17ROCPRIM_400000_NS6detail17trampoline_kernelINS0_14default_configENS1_20scan_config_selectorIxEEZZNS1_9scan_implILNS1_25lookback_scan_determinismE0ELb1ELb1ES3_N6thrust23THRUST_200600_302600_NS6detail15normal_iteratorINS9_10device_ptrIxEEEESE_xNS9_4plusIvEExEEDaPvRmT3_T4_T5_mT6_P12ihipStream_tbENKUlT_T0_E_clISt17integral_constantIbLb0EESU_EEDaSP_SQ_EUlSP_E0_NS1_11comp_targetILNS1_3genE8ELNS1_11target_archE1030ELNS1_3gpuE2ELNS1_3repE0EEENS1_30default_config_static_selectorELNS0_4arch9wavefront6targetE1EEEvT1_
; %bb.0:
	.section	.rodata,"a",@progbits
	.p2align	6, 0x0
	.amdhsa_kernel _ZN7rocprim17ROCPRIM_400000_NS6detail17trampoline_kernelINS0_14default_configENS1_20scan_config_selectorIxEEZZNS1_9scan_implILNS1_25lookback_scan_determinismE0ELb1ELb1ES3_N6thrust23THRUST_200600_302600_NS6detail15normal_iteratorINS9_10device_ptrIxEEEESE_xNS9_4plusIvEExEEDaPvRmT3_T4_T5_mT6_P12ihipStream_tbENKUlT_T0_E_clISt17integral_constantIbLb0EESU_EEDaSP_SQ_EUlSP_E0_NS1_11comp_targetILNS1_3genE8ELNS1_11target_archE1030ELNS1_3gpuE2ELNS1_3repE0EEENS1_30default_config_static_selectorELNS0_4arch9wavefront6targetE1EEEvT1_
		.amdhsa_group_segment_fixed_size 0
		.amdhsa_private_segment_fixed_size 0
		.amdhsa_kernarg_size 40
		.amdhsa_user_sgpr_count 6
		.amdhsa_user_sgpr_private_segment_buffer 1
		.amdhsa_user_sgpr_dispatch_ptr 0
		.amdhsa_user_sgpr_queue_ptr 0
		.amdhsa_user_sgpr_kernarg_segment_ptr 1
		.amdhsa_user_sgpr_dispatch_id 0
		.amdhsa_user_sgpr_flat_scratch_init 0
		.amdhsa_user_sgpr_kernarg_preload_length 0
		.amdhsa_user_sgpr_kernarg_preload_offset 0
		.amdhsa_user_sgpr_private_segment_size 0
		.amdhsa_uses_dynamic_stack 0
		.amdhsa_system_sgpr_private_segment_wavefront_offset 0
		.amdhsa_system_sgpr_workgroup_id_x 1
		.amdhsa_system_sgpr_workgroup_id_y 0
		.amdhsa_system_sgpr_workgroup_id_z 0
		.amdhsa_system_sgpr_workgroup_info 0
		.amdhsa_system_vgpr_workitem_id 0
		.amdhsa_next_free_vgpr 1
		.amdhsa_next_free_sgpr 0
		.amdhsa_accum_offset 4
		.amdhsa_reserve_vcc 0
		.amdhsa_reserve_flat_scratch 0
		.amdhsa_float_round_mode_32 0
		.amdhsa_float_round_mode_16_64 0
		.amdhsa_float_denorm_mode_32 3
		.amdhsa_float_denorm_mode_16_64 3
		.amdhsa_dx10_clamp 1
		.amdhsa_ieee_mode 1
		.amdhsa_fp16_overflow 0
		.amdhsa_tg_split 0
		.amdhsa_exception_fp_ieee_invalid_op 0
		.amdhsa_exception_fp_denorm_src 0
		.amdhsa_exception_fp_ieee_div_zero 0
		.amdhsa_exception_fp_ieee_overflow 0
		.amdhsa_exception_fp_ieee_underflow 0
		.amdhsa_exception_fp_ieee_inexact 0
		.amdhsa_exception_int_div_zero 0
	.end_amdhsa_kernel
	.section	.text._ZN7rocprim17ROCPRIM_400000_NS6detail17trampoline_kernelINS0_14default_configENS1_20scan_config_selectorIxEEZZNS1_9scan_implILNS1_25lookback_scan_determinismE0ELb1ELb1ES3_N6thrust23THRUST_200600_302600_NS6detail15normal_iteratorINS9_10device_ptrIxEEEESE_xNS9_4plusIvEExEEDaPvRmT3_T4_T5_mT6_P12ihipStream_tbENKUlT_T0_E_clISt17integral_constantIbLb0EESU_EEDaSP_SQ_EUlSP_E0_NS1_11comp_targetILNS1_3genE8ELNS1_11target_archE1030ELNS1_3gpuE2ELNS1_3repE0EEENS1_30default_config_static_selectorELNS0_4arch9wavefront6targetE1EEEvT1_,"axG",@progbits,_ZN7rocprim17ROCPRIM_400000_NS6detail17trampoline_kernelINS0_14default_configENS1_20scan_config_selectorIxEEZZNS1_9scan_implILNS1_25lookback_scan_determinismE0ELb1ELb1ES3_N6thrust23THRUST_200600_302600_NS6detail15normal_iteratorINS9_10device_ptrIxEEEESE_xNS9_4plusIvEExEEDaPvRmT3_T4_T5_mT6_P12ihipStream_tbENKUlT_T0_E_clISt17integral_constantIbLb0EESU_EEDaSP_SQ_EUlSP_E0_NS1_11comp_targetILNS1_3genE8ELNS1_11target_archE1030ELNS1_3gpuE2ELNS1_3repE0EEENS1_30default_config_static_selectorELNS0_4arch9wavefront6targetE1EEEvT1_,comdat
.Lfunc_end143:
	.size	_ZN7rocprim17ROCPRIM_400000_NS6detail17trampoline_kernelINS0_14default_configENS1_20scan_config_selectorIxEEZZNS1_9scan_implILNS1_25lookback_scan_determinismE0ELb1ELb1ES3_N6thrust23THRUST_200600_302600_NS6detail15normal_iteratorINS9_10device_ptrIxEEEESE_xNS9_4plusIvEExEEDaPvRmT3_T4_T5_mT6_P12ihipStream_tbENKUlT_T0_E_clISt17integral_constantIbLb0EESU_EEDaSP_SQ_EUlSP_E0_NS1_11comp_targetILNS1_3genE8ELNS1_11target_archE1030ELNS1_3gpuE2ELNS1_3repE0EEENS1_30default_config_static_selectorELNS0_4arch9wavefront6targetE1EEEvT1_, .Lfunc_end143-_ZN7rocprim17ROCPRIM_400000_NS6detail17trampoline_kernelINS0_14default_configENS1_20scan_config_selectorIxEEZZNS1_9scan_implILNS1_25lookback_scan_determinismE0ELb1ELb1ES3_N6thrust23THRUST_200600_302600_NS6detail15normal_iteratorINS9_10device_ptrIxEEEESE_xNS9_4plusIvEExEEDaPvRmT3_T4_T5_mT6_P12ihipStream_tbENKUlT_T0_E_clISt17integral_constantIbLb0EESU_EEDaSP_SQ_EUlSP_E0_NS1_11comp_targetILNS1_3genE8ELNS1_11target_archE1030ELNS1_3gpuE2ELNS1_3repE0EEENS1_30default_config_static_selectorELNS0_4arch9wavefront6targetE1EEEvT1_
                                        ; -- End function
	.section	.AMDGPU.csdata,"",@progbits
; Kernel info:
; codeLenInByte = 0
; NumSgprs: 4
; NumVgprs: 0
; NumAgprs: 0
; TotalNumVgprs: 0
; ScratchSize: 0
; MemoryBound: 0
; FloatMode: 240
; IeeeMode: 1
; LDSByteSize: 0 bytes/workgroup (compile time only)
; SGPRBlocks: 0
; VGPRBlocks: 0
; NumSGPRsForWavesPerEU: 4
; NumVGPRsForWavesPerEU: 1
; AccumOffset: 4
; Occupancy: 8
; WaveLimiterHint : 0
; COMPUTE_PGM_RSRC2:SCRATCH_EN: 0
; COMPUTE_PGM_RSRC2:USER_SGPR: 6
; COMPUTE_PGM_RSRC2:TRAP_HANDLER: 0
; COMPUTE_PGM_RSRC2:TGID_X_EN: 1
; COMPUTE_PGM_RSRC2:TGID_Y_EN: 0
; COMPUTE_PGM_RSRC2:TGID_Z_EN: 0
; COMPUTE_PGM_RSRC2:TIDIG_COMP_CNT: 0
; COMPUTE_PGM_RSRC3_GFX90A:ACCUM_OFFSET: 0
; COMPUTE_PGM_RSRC3_GFX90A:TG_SPLIT: 0
	.section	.text._ZN7rocprim17ROCPRIM_400000_NS6detail17trampoline_kernelINS0_14default_configENS1_20scan_config_selectorIxEEZZNS1_9scan_implILNS1_25lookback_scan_determinismE0ELb1ELb1ES3_N6thrust23THRUST_200600_302600_NS6detail15normal_iteratorINS9_10device_ptrIxEEEESE_xNS9_4plusIvEExEEDaPvRmT3_T4_T5_mT6_P12ihipStream_tbENKUlT_T0_E_clISt17integral_constantIbLb1EESU_EEDaSP_SQ_EUlSP_E_NS1_11comp_targetILNS1_3genE0ELNS1_11target_archE4294967295ELNS1_3gpuE0ELNS1_3repE0EEENS1_30default_config_static_selectorELNS0_4arch9wavefront6targetE1EEEvT1_,"axG",@progbits,_ZN7rocprim17ROCPRIM_400000_NS6detail17trampoline_kernelINS0_14default_configENS1_20scan_config_selectorIxEEZZNS1_9scan_implILNS1_25lookback_scan_determinismE0ELb1ELb1ES3_N6thrust23THRUST_200600_302600_NS6detail15normal_iteratorINS9_10device_ptrIxEEEESE_xNS9_4plusIvEExEEDaPvRmT3_T4_T5_mT6_P12ihipStream_tbENKUlT_T0_E_clISt17integral_constantIbLb1EESU_EEDaSP_SQ_EUlSP_E_NS1_11comp_targetILNS1_3genE0ELNS1_11target_archE4294967295ELNS1_3gpuE0ELNS1_3repE0EEENS1_30default_config_static_selectorELNS0_4arch9wavefront6targetE1EEEvT1_,comdat
	.protected	_ZN7rocprim17ROCPRIM_400000_NS6detail17trampoline_kernelINS0_14default_configENS1_20scan_config_selectorIxEEZZNS1_9scan_implILNS1_25lookback_scan_determinismE0ELb1ELb1ES3_N6thrust23THRUST_200600_302600_NS6detail15normal_iteratorINS9_10device_ptrIxEEEESE_xNS9_4plusIvEExEEDaPvRmT3_T4_T5_mT6_P12ihipStream_tbENKUlT_T0_E_clISt17integral_constantIbLb1EESU_EEDaSP_SQ_EUlSP_E_NS1_11comp_targetILNS1_3genE0ELNS1_11target_archE4294967295ELNS1_3gpuE0ELNS1_3repE0EEENS1_30default_config_static_selectorELNS0_4arch9wavefront6targetE1EEEvT1_ ; -- Begin function _ZN7rocprim17ROCPRIM_400000_NS6detail17trampoline_kernelINS0_14default_configENS1_20scan_config_selectorIxEEZZNS1_9scan_implILNS1_25lookback_scan_determinismE0ELb1ELb1ES3_N6thrust23THRUST_200600_302600_NS6detail15normal_iteratorINS9_10device_ptrIxEEEESE_xNS9_4plusIvEExEEDaPvRmT3_T4_T5_mT6_P12ihipStream_tbENKUlT_T0_E_clISt17integral_constantIbLb1EESU_EEDaSP_SQ_EUlSP_E_NS1_11comp_targetILNS1_3genE0ELNS1_11target_archE4294967295ELNS1_3gpuE0ELNS1_3repE0EEENS1_30default_config_static_selectorELNS0_4arch9wavefront6targetE1EEEvT1_
	.globl	_ZN7rocprim17ROCPRIM_400000_NS6detail17trampoline_kernelINS0_14default_configENS1_20scan_config_selectorIxEEZZNS1_9scan_implILNS1_25lookback_scan_determinismE0ELb1ELb1ES3_N6thrust23THRUST_200600_302600_NS6detail15normal_iteratorINS9_10device_ptrIxEEEESE_xNS9_4plusIvEExEEDaPvRmT3_T4_T5_mT6_P12ihipStream_tbENKUlT_T0_E_clISt17integral_constantIbLb1EESU_EEDaSP_SQ_EUlSP_E_NS1_11comp_targetILNS1_3genE0ELNS1_11target_archE4294967295ELNS1_3gpuE0ELNS1_3repE0EEENS1_30default_config_static_selectorELNS0_4arch9wavefront6targetE1EEEvT1_
	.p2align	8
	.type	_ZN7rocprim17ROCPRIM_400000_NS6detail17trampoline_kernelINS0_14default_configENS1_20scan_config_selectorIxEEZZNS1_9scan_implILNS1_25lookback_scan_determinismE0ELb1ELb1ES3_N6thrust23THRUST_200600_302600_NS6detail15normal_iteratorINS9_10device_ptrIxEEEESE_xNS9_4plusIvEExEEDaPvRmT3_T4_T5_mT6_P12ihipStream_tbENKUlT_T0_E_clISt17integral_constantIbLb1EESU_EEDaSP_SQ_EUlSP_E_NS1_11comp_targetILNS1_3genE0ELNS1_11target_archE4294967295ELNS1_3gpuE0ELNS1_3repE0EEENS1_30default_config_static_selectorELNS0_4arch9wavefront6targetE1EEEvT1_,@function
_ZN7rocprim17ROCPRIM_400000_NS6detail17trampoline_kernelINS0_14default_configENS1_20scan_config_selectorIxEEZZNS1_9scan_implILNS1_25lookback_scan_determinismE0ELb1ELb1ES3_N6thrust23THRUST_200600_302600_NS6detail15normal_iteratorINS9_10device_ptrIxEEEESE_xNS9_4plusIvEExEEDaPvRmT3_T4_T5_mT6_P12ihipStream_tbENKUlT_T0_E_clISt17integral_constantIbLb1EESU_EEDaSP_SQ_EUlSP_E_NS1_11comp_targetILNS1_3genE0ELNS1_11target_archE4294967295ELNS1_3gpuE0ELNS1_3repE0EEENS1_30default_config_static_selectorELNS0_4arch9wavefront6targetE1EEEvT1_: ; @_ZN7rocprim17ROCPRIM_400000_NS6detail17trampoline_kernelINS0_14default_configENS1_20scan_config_selectorIxEEZZNS1_9scan_implILNS1_25lookback_scan_determinismE0ELb1ELb1ES3_N6thrust23THRUST_200600_302600_NS6detail15normal_iteratorINS9_10device_ptrIxEEEESE_xNS9_4plusIvEExEEDaPvRmT3_T4_T5_mT6_P12ihipStream_tbENKUlT_T0_E_clISt17integral_constantIbLb1EESU_EEDaSP_SQ_EUlSP_E_NS1_11comp_targetILNS1_3genE0ELNS1_11target_archE4294967295ELNS1_3gpuE0ELNS1_3repE0EEENS1_30default_config_static_selectorELNS0_4arch9wavefront6targetE1EEEvT1_
; %bb.0:
	.section	.rodata,"a",@progbits
	.p2align	6, 0x0
	.amdhsa_kernel _ZN7rocprim17ROCPRIM_400000_NS6detail17trampoline_kernelINS0_14default_configENS1_20scan_config_selectorIxEEZZNS1_9scan_implILNS1_25lookback_scan_determinismE0ELb1ELb1ES3_N6thrust23THRUST_200600_302600_NS6detail15normal_iteratorINS9_10device_ptrIxEEEESE_xNS9_4plusIvEExEEDaPvRmT3_T4_T5_mT6_P12ihipStream_tbENKUlT_T0_E_clISt17integral_constantIbLb1EESU_EEDaSP_SQ_EUlSP_E_NS1_11comp_targetILNS1_3genE0ELNS1_11target_archE4294967295ELNS1_3gpuE0ELNS1_3repE0EEENS1_30default_config_static_selectorELNS0_4arch9wavefront6targetE1EEEvT1_
		.amdhsa_group_segment_fixed_size 0
		.amdhsa_private_segment_fixed_size 0
		.amdhsa_kernarg_size 104
		.amdhsa_user_sgpr_count 6
		.amdhsa_user_sgpr_private_segment_buffer 1
		.amdhsa_user_sgpr_dispatch_ptr 0
		.amdhsa_user_sgpr_queue_ptr 0
		.amdhsa_user_sgpr_kernarg_segment_ptr 1
		.amdhsa_user_sgpr_dispatch_id 0
		.amdhsa_user_sgpr_flat_scratch_init 0
		.amdhsa_user_sgpr_kernarg_preload_length 0
		.amdhsa_user_sgpr_kernarg_preload_offset 0
		.amdhsa_user_sgpr_private_segment_size 0
		.amdhsa_uses_dynamic_stack 0
		.amdhsa_system_sgpr_private_segment_wavefront_offset 0
		.amdhsa_system_sgpr_workgroup_id_x 1
		.amdhsa_system_sgpr_workgroup_id_y 0
		.amdhsa_system_sgpr_workgroup_id_z 0
		.amdhsa_system_sgpr_workgroup_info 0
		.amdhsa_system_vgpr_workitem_id 0
		.amdhsa_next_free_vgpr 1
		.amdhsa_next_free_sgpr 0
		.amdhsa_accum_offset 4
		.amdhsa_reserve_vcc 0
		.amdhsa_reserve_flat_scratch 0
		.amdhsa_float_round_mode_32 0
		.amdhsa_float_round_mode_16_64 0
		.amdhsa_float_denorm_mode_32 3
		.amdhsa_float_denorm_mode_16_64 3
		.amdhsa_dx10_clamp 1
		.amdhsa_ieee_mode 1
		.amdhsa_fp16_overflow 0
		.amdhsa_tg_split 0
		.amdhsa_exception_fp_ieee_invalid_op 0
		.amdhsa_exception_fp_denorm_src 0
		.amdhsa_exception_fp_ieee_div_zero 0
		.amdhsa_exception_fp_ieee_overflow 0
		.amdhsa_exception_fp_ieee_underflow 0
		.amdhsa_exception_fp_ieee_inexact 0
		.amdhsa_exception_int_div_zero 0
	.end_amdhsa_kernel
	.section	.text._ZN7rocprim17ROCPRIM_400000_NS6detail17trampoline_kernelINS0_14default_configENS1_20scan_config_selectorIxEEZZNS1_9scan_implILNS1_25lookback_scan_determinismE0ELb1ELb1ES3_N6thrust23THRUST_200600_302600_NS6detail15normal_iteratorINS9_10device_ptrIxEEEESE_xNS9_4plusIvEExEEDaPvRmT3_T4_T5_mT6_P12ihipStream_tbENKUlT_T0_E_clISt17integral_constantIbLb1EESU_EEDaSP_SQ_EUlSP_E_NS1_11comp_targetILNS1_3genE0ELNS1_11target_archE4294967295ELNS1_3gpuE0ELNS1_3repE0EEENS1_30default_config_static_selectorELNS0_4arch9wavefront6targetE1EEEvT1_,"axG",@progbits,_ZN7rocprim17ROCPRIM_400000_NS6detail17trampoline_kernelINS0_14default_configENS1_20scan_config_selectorIxEEZZNS1_9scan_implILNS1_25lookback_scan_determinismE0ELb1ELb1ES3_N6thrust23THRUST_200600_302600_NS6detail15normal_iteratorINS9_10device_ptrIxEEEESE_xNS9_4plusIvEExEEDaPvRmT3_T4_T5_mT6_P12ihipStream_tbENKUlT_T0_E_clISt17integral_constantIbLb1EESU_EEDaSP_SQ_EUlSP_E_NS1_11comp_targetILNS1_3genE0ELNS1_11target_archE4294967295ELNS1_3gpuE0ELNS1_3repE0EEENS1_30default_config_static_selectorELNS0_4arch9wavefront6targetE1EEEvT1_,comdat
.Lfunc_end144:
	.size	_ZN7rocprim17ROCPRIM_400000_NS6detail17trampoline_kernelINS0_14default_configENS1_20scan_config_selectorIxEEZZNS1_9scan_implILNS1_25lookback_scan_determinismE0ELb1ELb1ES3_N6thrust23THRUST_200600_302600_NS6detail15normal_iteratorINS9_10device_ptrIxEEEESE_xNS9_4plusIvEExEEDaPvRmT3_T4_T5_mT6_P12ihipStream_tbENKUlT_T0_E_clISt17integral_constantIbLb1EESU_EEDaSP_SQ_EUlSP_E_NS1_11comp_targetILNS1_3genE0ELNS1_11target_archE4294967295ELNS1_3gpuE0ELNS1_3repE0EEENS1_30default_config_static_selectorELNS0_4arch9wavefront6targetE1EEEvT1_, .Lfunc_end144-_ZN7rocprim17ROCPRIM_400000_NS6detail17trampoline_kernelINS0_14default_configENS1_20scan_config_selectorIxEEZZNS1_9scan_implILNS1_25lookback_scan_determinismE0ELb1ELb1ES3_N6thrust23THRUST_200600_302600_NS6detail15normal_iteratorINS9_10device_ptrIxEEEESE_xNS9_4plusIvEExEEDaPvRmT3_T4_T5_mT6_P12ihipStream_tbENKUlT_T0_E_clISt17integral_constantIbLb1EESU_EEDaSP_SQ_EUlSP_E_NS1_11comp_targetILNS1_3genE0ELNS1_11target_archE4294967295ELNS1_3gpuE0ELNS1_3repE0EEENS1_30default_config_static_selectorELNS0_4arch9wavefront6targetE1EEEvT1_
                                        ; -- End function
	.section	.AMDGPU.csdata,"",@progbits
; Kernel info:
; codeLenInByte = 0
; NumSgprs: 4
; NumVgprs: 0
; NumAgprs: 0
; TotalNumVgprs: 0
; ScratchSize: 0
; MemoryBound: 0
; FloatMode: 240
; IeeeMode: 1
; LDSByteSize: 0 bytes/workgroup (compile time only)
; SGPRBlocks: 0
; VGPRBlocks: 0
; NumSGPRsForWavesPerEU: 4
; NumVGPRsForWavesPerEU: 1
; AccumOffset: 4
; Occupancy: 8
; WaveLimiterHint : 0
; COMPUTE_PGM_RSRC2:SCRATCH_EN: 0
; COMPUTE_PGM_RSRC2:USER_SGPR: 6
; COMPUTE_PGM_RSRC2:TRAP_HANDLER: 0
; COMPUTE_PGM_RSRC2:TGID_X_EN: 1
; COMPUTE_PGM_RSRC2:TGID_Y_EN: 0
; COMPUTE_PGM_RSRC2:TGID_Z_EN: 0
; COMPUTE_PGM_RSRC2:TIDIG_COMP_CNT: 0
; COMPUTE_PGM_RSRC3_GFX90A:ACCUM_OFFSET: 0
; COMPUTE_PGM_RSRC3_GFX90A:TG_SPLIT: 0
	.section	.text._ZN7rocprim17ROCPRIM_400000_NS6detail17trampoline_kernelINS0_14default_configENS1_20scan_config_selectorIxEEZZNS1_9scan_implILNS1_25lookback_scan_determinismE0ELb1ELb1ES3_N6thrust23THRUST_200600_302600_NS6detail15normal_iteratorINS9_10device_ptrIxEEEESE_xNS9_4plusIvEExEEDaPvRmT3_T4_T5_mT6_P12ihipStream_tbENKUlT_T0_E_clISt17integral_constantIbLb1EESU_EEDaSP_SQ_EUlSP_E_NS1_11comp_targetILNS1_3genE5ELNS1_11target_archE942ELNS1_3gpuE9ELNS1_3repE0EEENS1_30default_config_static_selectorELNS0_4arch9wavefront6targetE1EEEvT1_,"axG",@progbits,_ZN7rocprim17ROCPRIM_400000_NS6detail17trampoline_kernelINS0_14default_configENS1_20scan_config_selectorIxEEZZNS1_9scan_implILNS1_25lookback_scan_determinismE0ELb1ELb1ES3_N6thrust23THRUST_200600_302600_NS6detail15normal_iteratorINS9_10device_ptrIxEEEESE_xNS9_4plusIvEExEEDaPvRmT3_T4_T5_mT6_P12ihipStream_tbENKUlT_T0_E_clISt17integral_constantIbLb1EESU_EEDaSP_SQ_EUlSP_E_NS1_11comp_targetILNS1_3genE5ELNS1_11target_archE942ELNS1_3gpuE9ELNS1_3repE0EEENS1_30default_config_static_selectorELNS0_4arch9wavefront6targetE1EEEvT1_,comdat
	.protected	_ZN7rocprim17ROCPRIM_400000_NS6detail17trampoline_kernelINS0_14default_configENS1_20scan_config_selectorIxEEZZNS1_9scan_implILNS1_25lookback_scan_determinismE0ELb1ELb1ES3_N6thrust23THRUST_200600_302600_NS6detail15normal_iteratorINS9_10device_ptrIxEEEESE_xNS9_4plusIvEExEEDaPvRmT3_T4_T5_mT6_P12ihipStream_tbENKUlT_T0_E_clISt17integral_constantIbLb1EESU_EEDaSP_SQ_EUlSP_E_NS1_11comp_targetILNS1_3genE5ELNS1_11target_archE942ELNS1_3gpuE9ELNS1_3repE0EEENS1_30default_config_static_selectorELNS0_4arch9wavefront6targetE1EEEvT1_ ; -- Begin function _ZN7rocprim17ROCPRIM_400000_NS6detail17trampoline_kernelINS0_14default_configENS1_20scan_config_selectorIxEEZZNS1_9scan_implILNS1_25lookback_scan_determinismE0ELb1ELb1ES3_N6thrust23THRUST_200600_302600_NS6detail15normal_iteratorINS9_10device_ptrIxEEEESE_xNS9_4plusIvEExEEDaPvRmT3_T4_T5_mT6_P12ihipStream_tbENKUlT_T0_E_clISt17integral_constantIbLb1EESU_EEDaSP_SQ_EUlSP_E_NS1_11comp_targetILNS1_3genE5ELNS1_11target_archE942ELNS1_3gpuE9ELNS1_3repE0EEENS1_30default_config_static_selectorELNS0_4arch9wavefront6targetE1EEEvT1_
	.globl	_ZN7rocprim17ROCPRIM_400000_NS6detail17trampoline_kernelINS0_14default_configENS1_20scan_config_selectorIxEEZZNS1_9scan_implILNS1_25lookback_scan_determinismE0ELb1ELb1ES3_N6thrust23THRUST_200600_302600_NS6detail15normal_iteratorINS9_10device_ptrIxEEEESE_xNS9_4plusIvEExEEDaPvRmT3_T4_T5_mT6_P12ihipStream_tbENKUlT_T0_E_clISt17integral_constantIbLb1EESU_EEDaSP_SQ_EUlSP_E_NS1_11comp_targetILNS1_3genE5ELNS1_11target_archE942ELNS1_3gpuE9ELNS1_3repE0EEENS1_30default_config_static_selectorELNS0_4arch9wavefront6targetE1EEEvT1_
	.p2align	8
	.type	_ZN7rocprim17ROCPRIM_400000_NS6detail17trampoline_kernelINS0_14default_configENS1_20scan_config_selectorIxEEZZNS1_9scan_implILNS1_25lookback_scan_determinismE0ELb1ELb1ES3_N6thrust23THRUST_200600_302600_NS6detail15normal_iteratorINS9_10device_ptrIxEEEESE_xNS9_4plusIvEExEEDaPvRmT3_T4_T5_mT6_P12ihipStream_tbENKUlT_T0_E_clISt17integral_constantIbLb1EESU_EEDaSP_SQ_EUlSP_E_NS1_11comp_targetILNS1_3genE5ELNS1_11target_archE942ELNS1_3gpuE9ELNS1_3repE0EEENS1_30default_config_static_selectorELNS0_4arch9wavefront6targetE1EEEvT1_,@function
_ZN7rocprim17ROCPRIM_400000_NS6detail17trampoline_kernelINS0_14default_configENS1_20scan_config_selectorIxEEZZNS1_9scan_implILNS1_25lookback_scan_determinismE0ELb1ELb1ES3_N6thrust23THRUST_200600_302600_NS6detail15normal_iteratorINS9_10device_ptrIxEEEESE_xNS9_4plusIvEExEEDaPvRmT3_T4_T5_mT6_P12ihipStream_tbENKUlT_T0_E_clISt17integral_constantIbLb1EESU_EEDaSP_SQ_EUlSP_E_NS1_11comp_targetILNS1_3genE5ELNS1_11target_archE942ELNS1_3gpuE9ELNS1_3repE0EEENS1_30default_config_static_selectorELNS0_4arch9wavefront6targetE1EEEvT1_: ; @_ZN7rocprim17ROCPRIM_400000_NS6detail17trampoline_kernelINS0_14default_configENS1_20scan_config_selectorIxEEZZNS1_9scan_implILNS1_25lookback_scan_determinismE0ELb1ELb1ES3_N6thrust23THRUST_200600_302600_NS6detail15normal_iteratorINS9_10device_ptrIxEEEESE_xNS9_4plusIvEExEEDaPvRmT3_T4_T5_mT6_P12ihipStream_tbENKUlT_T0_E_clISt17integral_constantIbLb1EESU_EEDaSP_SQ_EUlSP_E_NS1_11comp_targetILNS1_3genE5ELNS1_11target_archE942ELNS1_3gpuE9ELNS1_3repE0EEENS1_30default_config_static_selectorELNS0_4arch9wavefront6targetE1EEEvT1_
; %bb.0:
	.section	.rodata,"a",@progbits
	.p2align	6, 0x0
	.amdhsa_kernel _ZN7rocprim17ROCPRIM_400000_NS6detail17trampoline_kernelINS0_14default_configENS1_20scan_config_selectorIxEEZZNS1_9scan_implILNS1_25lookback_scan_determinismE0ELb1ELb1ES3_N6thrust23THRUST_200600_302600_NS6detail15normal_iteratorINS9_10device_ptrIxEEEESE_xNS9_4plusIvEExEEDaPvRmT3_T4_T5_mT6_P12ihipStream_tbENKUlT_T0_E_clISt17integral_constantIbLb1EESU_EEDaSP_SQ_EUlSP_E_NS1_11comp_targetILNS1_3genE5ELNS1_11target_archE942ELNS1_3gpuE9ELNS1_3repE0EEENS1_30default_config_static_selectorELNS0_4arch9wavefront6targetE1EEEvT1_
		.amdhsa_group_segment_fixed_size 0
		.amdhsa_private_segment_fixed_size 0
		.amdhsa_kernarg_size 104
		.amdhsa_user_sgpr_count 6
		.amdhsa_user_sgpr_private_segment_buffer 1
		.amdhsa_user_sgpr_dispatch_ptr 0
		.amdhsa_user_sgpr_queue_ptr 0
		.amdhsa_user_sgpr_kernarg_segment_ptr 1
		.amdhsa_user_sgpr_dispatch_id 0
		.amdhsa_user_sgpr_flat_scratch_init 0
		.amdhsa_user_sgpr_kernarg_preload_length 0
		.amdhsa_user_sgpr_kernarg_preload_offset 0
		.amdhsa_user_sgpr_private_segment_size 0
		.amdhsa_uses_dynamic_stack 0
		.amdhsa_system_sgpr_private_segment_wavefront_offset 0
		.amdhsa_system_sgpr_workgroup_id_x 1
		.amdhsa_system_sgpr_workgroup_id_y 0
		.amdhsa_system_sgpr_workgroup_id_z 0
		.amdhsa_system_sgpr_workgroup_info 0
		.amdhsa_system_vgpr_workitem_id 0
		.amdhsa_next_free_vgpr 1
		.amdhsa_next_free_sgpr 0
		.amdhsa_accum_offset 4
		.amdhsa_reserve_vcc 0
		.amdhsa_reserve_flat_scratch 0
		.amdhsa_float_round_mode_32 0
		.amdhsa_float_round_mode_16_64 0
		.amdhsa_float_denorm_mode_32 3
		.amdhsa_float_denorm_mode_16_64 3
		.amdhsa_dx10_clamp 1
		.amdhsa_ieee_mode 1
		.amdhsa_fp16_overflow 0
		.amdhsa_tg_split 0
		.amdhsa_exception_fp_ieee_invalid_op 0
		.amdhsa_exception_fp_denorm_src 0
		.amdhsa_exception_fp_ieee_div_zero 0
		.amdhsa_exception_fp_ieee_overflow 0
		.amdhsa_exception_fp_ieee_underflow 0
		.amdhsa_exception_fp_ieee_inexact 0
		.amdhsa_exception_int_div_zero 0
	.end_amdhsa_kernel
	.section	.text._ZN7rocprim17ROCPRIM_400000_NS6detail17trampoline_kernelINS0_14default_configENS1_20scan_config_selectorIxEEZZNS1_9scan_implILNS1_25lookback_scan_determinismE0ELb1ELb1ES3_N6thrust23THRUST_200600_302600_NS6detail15normal_iteratorINS9_10device_ptrIxEEEESE_xNS9_4plusIvEExEEDaPvRmT3_T4_T5_mT6_P12ihipStream_tbENKUlT_T0_E_clISt17integral_constantIbLb1EESU_EEDaSP_SQ_EUlSP_E_NS1_11comp_targetILNS1_3genE5ELNS1_11target_archE942ELNS1_3gpuE9ELNS1_3repE0EEENS1_30default_config_static_selectorELNS0_4arch9wavefront6targetE1EEEvT1_,"axG",@progbits,_ZN7rocprim17ROCPRIM_400000_NS6detail17trampoline_kernelINS0_14default_configENS1_20scan_config_selectorIxEEZZNS1_9scan_implILNS1_25lookback_scan_determinismE0ELb1ELb1ES3_N6thrust23THRUST_200600_302600_NS6detail15normal_iteratorINS9_10device_ptrIxEEEESE_xNS9_4plusIvEExEEDaPvRmT3_T4_T5_mT6_P12ihipStream_tbENKUlT_T0_E_clISt17integral_constantIbLb1EESU_EEDaSP_SQ_EUlSP_E_NS1_11comp_targetILNS1_3genE5ELNS1_11target_archE942ELNS1_3gpuE9ELNS1_3repE0EEENS1_30default_config_static_selectorELNS0_4arch9wavefront6targetE1EEEvT1_,comdat
.Lfunc_end145:
	.size	_ZN7rocprim17ROCPRIM_400000_NS6detail17trampoline_kernelINS0_14default_configENS1_20scan_config_selectorIxEEZZNS1_9scan_implILNS1_25lookback_scan_determinismE0ELb1ELb1ES3_N6thrust23THRUST_200600_302600_NS6detail15normal_iteratorINS9_10device_ptrIxEEEESE_xNS9_4plusIvEExEEDaPvRmT3_T4_T5_mT6_P12ihipStream_tbENKUlT_T0_E_clISt17integral_constantIbLb1EESU_EEDaSP_SQ_EUlSP_E_NS1_11comp_targetILNS1_3genE5ELNS1_11target_archE942ELNS1_3gpuE9ELNS1_3repE0EEENS1_30default_config_static_selectorELNS0_4arch9wavefront6targetE1EEEvT1_, .Lfunc_end145-_ZN7rocprim17ROCPRIM_400000_NS6detail17trampoline_kernelINS0_14default_configENS1_20scan_config_selectorIxEEZZNS1_9scan_implILNS1_25lookback_scan_determinismE0ELb1ELb1ES3_N6thrust23THRUST_200600_302600_NS6detail15normal_iteratorINS9_10device_ptrIxEEEESE_xNS9_4plusIvEExEEDaPvRmT3_T4_T5_mT6_P12ihipStream_tbENKUlT_T0_E_clISt17integral_constantIbLb1EESU_EEDaSP_SQ_EUlSP_E_NS1_11comp_targetILNS1_3genE5ELNS1_11target_archE942ELNS1_3gpuE9ELNS1_3repE0EEENS1_30default_config_static_selectorELNS0_4arch9wavefront6targetE1EEEvT1_
                                        ; -- End function
	.section	.AMDGPU.csdata,"",@progbits
; Kernel info:
; codeLenInByte = 0
; NumSgprs: 4
; NumVgprs: 0
; NumAgprs: 0
; TotalNumVgprs: 0
; ScratchSize: 0
; MemoryBound: 0
; FloatMode: 240
; IeeeMode: 1
; LDSByteSize: 0 bytes/workgroup (compile time only)
; SGPRBlocks: 0
; VGPRBlocks: 0
; NumSGPRsForWavesPerEU: 4
; NumVGPRsForWavesPerEU: 1
; AccumOffset: 4
; Occupancy: 8
; WaveLimiterHint : 0
; COMPUTE_PGM_RSRC2:SCRATCH_EN: 0
; COMPUTE_PGM_RSRC2:USER_SGPR: 6
; COMPUTE_PGM_RSRC2:TRAP_HANDLER: 0
; COMPUTE_PGM_RSRC2:TGID_X_EN: 1
; COMPUTE_PGM_RSRC2:TGID_Y_EN: 0
; COMPUTE_PGM_RSRC2:TGID_Z_EN: 0
; COMPUTE_PGM_RSRC2:TIDIG_COMP_CNT: 0
; COMPUTE_PGM_RSRC3_GFX90A:ACCUM_OFFSET: 0
; COMPUTE_PGM_RSRC3_GFX90A:TG_SPLIT: 0
	.section	.text._ZN7rocprim17ROCPRIM_400000_NS6detail17trampoline_kernelINS0_14default_configENS1_20scan_config_selectorIxEEZZNS1_9scan_implILNS1_25lookback_scan_determinismE0ELb1ELb1ES3_N6thrust23THRUST_200600_302600_NS6detail15normal_iteratorINS9_10device_ptrIxEEEESE_xNS9_4plusIvEExEEDaPvRmT3_T4_T5_mT6_P12ihipStream_tbENKUlT_T0_E_clISt17integral_constantIbLb1EESU_EEDaSP_SQ_EUlSP_E_NS1_11comp_targetILNS1_3genE4ELNS1_11target_archE910ELNS1_3gpuE8ELNS1_3repE0EEENS1_30default_config_static_selectorELNS0_4arch9wavefront6targetE1EEEvT1_,"axG",@progbits,_ZN7rocprim17ROCPRIM_400000_NS6detail17trampoline_kernelINS0_14default_configENS1_20scan_config_selectorIxEEZZNS1_9scan_implILNS1_25lookback_scan_determinismE0ELb1ELb1ES3_N6thrust23THRUST_200600_302600_NS6detail15normal_iteratorINS9_10device_ptrIxEEEESE_xNS9_4plusIvEExEEDaPvRmT3_T4_T5_mT6_P12ihipStream_tbENKUlT_T0_E_clISt17integral_constantIbLb1EESU_EEDaSP_SQ_EUlSP_E_NS1_11comp_targetILNS1_3genE4ELNS1_11target_archE910ELNS1_3gpuE8ELNS1_3repE0EEENS1_30default_config_static_selectorELNS0_4arch9wavefront6targetE1EEEvT1_,comdat
	.protected	_ZN7rocprim17ROCPRIM_400000_NS6detail17trampoline_kernelINS0_14default_configENS1_20scan_config_selectorIxEEZZNS1_9scan_implILNS1_25lookback_scan_determinismE0ELb1ELb1ES3_N6thrust23THRUST_200600_302600_NS6detail15normal_iteratorINS9_10device_ptrIxEEEESE_xNS9_4plusIvEExEEDaPvRmT3_T4_T5_mT6_P12ihipStream_tbENKUlT_T0_E_clISt17integral_constantIbLb1EESU_EEDaSP_SQ_EUlSP_E_NS1_11comp_targetILNS1_3genE4ELNS1_11target_archE910ELNS1_3gpuE8ELNS1_3repE0EEENS1_30default_config_static_selectorELNS0_4arch9wavefront6targetE1EEEvT1_ ; -- Begin function _ZN7rocprim17ROCPRIM_400000_NS6detail17trampoline_kernelINS0_14default_configENS1_20scan_config_selectorIxEEZZNS1_9scan_implILNS1_25lookback_scan_determinismE0ELb1ELb1ES3_N6thrust23THRUST_200600_302600_NS6detail15normal_iteratorINS9_10device_ptrIxEEEESE_xNS9_4plusIvEExEEDaPvRmT3_T4_T5_mT6_P12ihipStream_tbENKUlT_T0_E_clISt17integral_constantIbLb1EESU_EEDaSP_SQ_EUlSP_E_NS1_11comp_targetILNS1_3genE4ELNS1_11target_archE910ELNS1_3gpuE8ELNS1_3repE0EEENS1_30default_config_static_selectorELNS0_4arch9wavefront6targetE1EEEvT1_
	.globl	_ZN7rocprim17ROCPRIM_400000_NS6detail17trampoline_kernelINS0_14default_configENS1_20scan_config_selectorIxEEZZNS1_9scan_implILNS1_25lookback_scan_determinismE0ELb1ELb1ES3_N6thrust23THRUST_200600_302600_NS6detail15normal_iteratorINS9_10device_ptrIxEEEESE_xNS9_4plusIvEExEEDaPvRmT3_T4_T5_mT6_P12ihipStream_tbENKUlT_T0_E_clISt17integral_constantIbLb1EESU_EEDaSP_SQ_EUlSP_E_NS1_11comp_targetILNS1_3genE4ELNS1_11target_archE910ELNS1_3gpuE8ELNS1_3repE0EEENS1_30default_config_static_selectorELNS0_4arch9wavefront6targetE1EEEvT1_
	.p2align	8
	.type	_ZN7rocprim17ROCPRIM_400000_NS6detail17trampoline_kernelINS0_14default_configENS1_20scan_config_selectorIxEEZZNS1_9scan_implILNS1_25lookback_scan_determinismE0ELb1ELb1ES3_N6thrust23THRUST_200600_302600_NS6detail15normal_iteratorINS9_10device_ptrIxEEEESE_xNS9_4plusIvEExEEDaPvRmT3_T4_T5_mT6_P12ihipStream_tbENKUlT_T0_E_clISt17integral_constantIbLb1EESU_EEDaSP_SQ_EUlSP_E_NS1_11comp_targetILNS1_3genE4ELNS1_11target_archE910ELNS1_3gpuE8ELNS1_3repE0EEENS1_30default_config_static_selectorELNS0_4arch9wavefront6targetE1EEEvT1_,@function
_ZN7rocprim17ROCPRIM_400000_NS6detail17trampoline_kernelINS0_14default_configENS1_20scan_config_selectorIxEEZZNS1_9scan_implILNS1_25lookback_scan_determinismE0ELb1ELb1ES3_N6thrust23THRUST_200600_302600_NS6detail15normal_iteratorINS9_10device_ptrIxEEEESE_xNS9_4plusIvEExEEDaPvRmT3_T4_T5_mT6_P12ihipStream_tbENKUlT_T0_E_clISt17integral_constantIbLb1EESU_EEDaSP_SQ_EUlSP_E_NS1_11comp_targetILNS1_3genE4ELNS1_11target_archE910ELNS1_3gpuE8ELNS1_3repE0EEENS1_30default_config_static_selectorELNS0_4arch9wavefront6targetE1EEEvT1_: ; @_ZN7rocprim17ROCPRIM_400000_NS6detail17trampoline_kernelINS0_14default_configENS1_20scan_config_selectorIxEEZZNS1_9scan_implILNS1_25lookback_scan_determinismE0ELb1ELb1ES3_N6thrust23THRUST_200600_302600_NS6detail15normal_iteratorINS9_10device_ptrIxEEEESE_xNS9_4plusIvEExEEDaPvRmT3_T4_T5_mT6_P12ihipStream_tbENKUlT_T0_E_clISt17integral_constantIbLb1EESU_EEDaSP_SQ_EUlSP_E_NS1_11comp_targetILNS1_3genE4ELNS1_11target_archE910ELNS1_3gpuE8ELNS1_3repE0EEENS1_30default_config_static_selectorELNS0_4arch9wavefront6targetE1EEEvT1_
; %bb.0:
	s_load_dwordx8 s[20:27], s[4:5], 0x0
	s_load_dwordx2 s[28:29], s[4:5], 0x20
	s_load_dwordx2 s[10:11], s[4:5], 0x30
	v_cmp_ne_u32_e64 s[2:3], 0, v0
	v_cmp_eq_u32_e64 s[0:1], 0, v0
	s_and_saveexec_b64 s[6:7], s[0:1]
	s_cbranch_execz .LBB146_4
; %bb.1:
	s_mov_b64 s[12:13], exec
	v_mbcnt_lo_u32_b32 v1, s12, 0
	v_mbcnt_hi_u32_b32 v1, s13, v1
	v_cmp_eq_u32_e32 vcc, 0, v1
                                        ; implicit-def: $vgpr2
	s_and_saveexec_b64 s[8:9], vcc
	s_cbranch_execz .LBB146_3
; %bb.2:
	s_load_dwordx2 s[14:15], s[4:5], 0x60
	s_bcnt1_i32_b64 s12, s[12:13]
	v_mov_b32_e32 v2, 0
	v_mov_b32_e32 v3, s12
	s_waitcnt lgkmcnt(0)
	global_atomic_add v2, v2, v3, s[14:15] glc
.LBB146_3:
	s_or_b64 exec, exec, s[8:9]
	s_waitcnt vmcnt(0)
	v_readfirstlane_b32 s8, v2
	v_add_u32_e32 v1, s8, v1
	v_mov_b32_e32 v2, 0
	ds_write_b32 v2, v1
.LBB146_4:
	s_or_b64 exec, exec, s[6:7]
	s_load_dword s6, s[4:5], 0x38
	s_load_dwordx8 s[12:19], s[4:5], 0x40
	v_mov_b32_e32 v1, 0
	s_waitcnt lgkmcnt(0)
	s_barrier
	ds_read_b32 v1, v1
	s_lshl_b64 s[22:23], s[22:23], 3
	s_add_u32 s35, s20, s22
	s_addc_u32 s36, s21, s23
	s_add_i32 s6, s6, -1
	s_mul_i32 s7, s6, 0x380
	s_sub_u32 s33, s26, s7
	s_waitcnt lgkmcnt(0)
	v_readfirstlane_b32 s37, v1
	s_subb_u32 s34, s27, 0
	s_mul_i32 s4, s37, 0x380
	s_mov_b32 s5, 0
	s_cmp_lg_u32 s37, s6
	s_cselect_b64 s[20:21], -1, 0
	s_lshl_b64 s[26:27], s[4:5], 3
	s_add_u32 s6, s35, s26
	s_addc_u32 s7, s36, s27
	s_mov_b64 s[4:5], -1
	s_and_b64 vcc, exec, s[20:21]
	v_lshlrev_b32_e32 v36, 3, v0
	s_barrier
	s_cbranch_vccz .LBB146_6
; %bb.5:
	v_mov_b32_e32 v1, s7
	v_add_co_u32_e32 v2, vcc, s6, v36
	v_addc_co_u32_e32 v3, vcc, 0, v1, vcc
	flat_load_dwordx2 v[4:5], v[2:3]
	flat_load_dwordx2 v[6:7], v[2:3] offset:1024
	flat_load_dwordx2 v[8:9], v[2:3] offset:2048
	;; [unrolled: 1-line block ×3, first 2 shown]
	v_add_co_u32_e32 v2, vcc, 0x1000, v2
	v_addc_co_u32_e32 v3, vcc, 0, v3, vcc
	flat_load_dwordx2 v[12:13], v[2:3]
	flat_load_dwordx2 v[14:15], v[2:3] offset:1024
	flat_load_dwordx2 v[16:17], v[2:3] offset:2048
	s_mov_b64 s[4:5], 0
	s_waitcnt vmcnt(0) lgkmcnt(0)
	ds_write2st64_b64 v36, v[4:5], v[6:7] offset1:2
	ds_write2st64_b64 v36, v[8:9], v[10:11] offset0:4 offset1:6
	ds_write2st64_b64 v36, v[12:13], v[14:15] offset0:8 offset1:10
	ds_write_b64 v36, v[16:17] offset:6144
	s_waitcnt lgkmcnt(0)
	s_barrier
.LBB146_6:
	s_andn2_b64 vcc, exec, s[4:5]
	v_cmp_gt_u32_e64 s[4:5], s33, v0
	s_cbranch_vccnz .LBB146_22
; %bb.7:
	v_pk_mov_b32 v[2:3], s[6:7], s[6:7] op_sel:[0,1]
	flat_load_dwordx2 v[2:3], v[2:3]
	s_waitcnt vmcnt(0) lgkmcnt(0)
	v_mov_b32_e32 v4, v2
	v_mov_b32_e32 v5, v3
	;; [unrolled: 1-line block ×10, first 2 shown]
	v_pk_mov_b32 v[18:19], v[14:15], v[14:15] op_sel:[0,1]
	v_pk_mov_b32 v[16:17], v[12:13], v[12:13] op_sel:[0,1]
	;; [unrolled: 1-line block ×8, first 2 shown]
	s_and_saveexec_b64 s[8:9], s[4:5]
	s_cbranch_execz .LBB146_9
; %bb.8:
	v_mov_b32_e32 v1, s7
	v_add_co_u32_e32 v4, vcc, s6, v36
	v_addc_co_u32_e32 v5, vcc, 0, v1, vcc
	flat_load_dwordx2 v[20:21], v[4:5]
	v_mov_b32_e32 v4, v2
	v_mov_b32_e32 v5, v3
	;; [unrolled: 1-line block ×10, first 2 shown]
	v_pk_mov_b32 v[18:19], v[14:15], v[14:15] op_sel:[0,1]
	v_pk_mov_b32 v[16:17], v[12:13], v[12:13] op_sel:[0,1]
	;; [unrolled: 1-line block ×8, first 2 shown]
	s_waitcnt vmcnt(0) lgkmcnt(0)
	v_pk_mov_b32 v[2:3], v[20:21], v[20:21] op_sel:[0,1]
.LBB146_9:
	s_or_b64 exec, exec, s[8:9]
	v_or_b32_e32 v1, 0x80, v0
	v_cmp_gt_u32_e32 vcc, s33, v1
	s_and_saveexec_b64 s[4:5], vcc
	s_cbranch_execz .LBB146_11
; %bb.10:
	v_mov_b32_e32 v1, s7
	v_add_co_u32_e32 v4, vcc, s6, v36
	v_addc_co_u32_e32 v5, vcc, 0, v1, vcc
	flat_load_dwordx2 v[6:7], v[4:5] offset:1024
.LBB146_11:
	s_or_b64 exec, exec, s[4:5]
	v_or_b32_e32 v1, 0x100, v0
	v_cmp_gt_u32_e32 vcc, s33, v1
	s_and_saveexec_b64 s[4:5], vcc
	s_cbranch_execz .LBB146_13
; %bb.12:
	v_mov_b32_e32 v1, s7
	v_add_co_u32_e32 v4, vcc, s6, v36
	v_addc_co_u32_e32 v5, vcc, 0, v1, vcc
	flat_load_dwordx2 v[8:9], v[4:5] offset:2048
.LBB146_13:
	s_or_b64 exec, exec, s[4:5]
	v_or_b32_e32 v1, 0x180, v0
	v_cmp_gt_u32_e32 vcc, s33, v1
	s_and_saveexec_b64 s[4:5], vcc
	s_cbranch_execz .LBB146_15
; %bb.14:
	v_mov_b32_e32 v1, s7
	v_add_co_u32_e32 v4, vcc, s6, v36
	v_addc_co_u32_e32 v5, vcc, 0, v1, vcc
	flat_load_dwordx2 v[10:11], v[4:5] offset:3072
.LBB146_15:
	s_or_b64 exec, exec, s[4:5]
	v_or_b32_e32 v1, 0x200, v0
	v_cmp_gt_u32_e32 vcc, s33, v1
	s_and_saveexec_b64 s[4:5], vcc
	s_cbranch_execz .LBB146_17
; %bb.16:
	v_lshlrev_b32_e32 v1, 3, v1
	v_mov_b32_e32 v5, s7
	v_add_co_u32_e32 v4, vcc, s6, v1
	v_addc_co_u32_e32 v5, vcc, 0, v5, vcc
	flat_load_dwordx2 v[12:13], v[4:5]
.LBB146_17:
	s_or_b64 exec, exec, s[4:5]
	v_or_b32_e32 v1, 0x280, v0
	v_cmp_gt_u32_e32 vcc, s33, v1
	s_and_saveexec_b64 s[4:5], vcc
	s_cbranch_execz .LBB146_19
; %bb.18:
	v_lshlrev_b32_e32 v1, 3, v1
	v_mov_b32_e32 v5, s7
	v_add_co_u32_e32 v4, vcc, s6, v1
	v_addc_co_u32_e32 v5, vcc, 0, v5, vcc
	flat_load_dwordx2 v[14:15], v[4:5]
.LBB146_19:
	;; [unrolled: 12-line block ×3, first 2 shown]
	s_or_b64 exec, exec, s[4:5]
	s_waitcnt vmcnt(0) lgkmcnt(0)
	ds_write2st64_b64 v36, v[2:3], v[6:7] offset1:2
	ds_write2st64_b64 v36, v[8:9], v[10:11] offset0:4 offset1:6
	ds_write2st64_b64 v36, v[12:13], v[14:15] offset0:8 offset1:10
	ds_write_b64 v36, v[16:17] offset:6144
	s_waitcnt lgkmcnt(0)
	s_barrier
.LBB146_22:
	v_mul_u32_u24_e32 v37, 7, v0
	v_lshlrev_b32_e32 v1, 3, v37
	ds_read2_b64 v[10:13], v1 offset1:1
	ds_read2_b64 v[6:9], v1 offset0:2 offset1:3
	ds_read2_b64 v[2:5], v1 offset0:4 offset1:5
	ds_read_b64 v[26:27], v1 offset:48
	s_cmp_lg_u32 s37, 0
	v_lshrrev_b32_e32 v38, 5, v0
	v_cmp_gt_u32_e32 vcc, 64, v0
	s_waitcnt lgkmcnt(0)
	s_barrier
	s_cbranch_scc0 .LBB146_53
; %bb.23:
	v_add_co_u32_e64 v1, s[4:5], v12, v10
	v_addc_co_u32_e64 v14, s[4:5], v13, v11, s[4:5]
	v_add_co_u32_e64 v1, s[4:5], v1, v6
	v_addc_co_u32_e64 v14, s[4:5], v14, v7, s[4:5]
	;; [unrolled: 2-line block ×6, first 2 shown]
	v_add_lshl_u32 v1, v38, v0, 3
	ds_write_b64 v1, v[18:19]
	s_waitcnt lgkmcnt(0)
	s_barrier
	s_and_saveexec_b64 s[8:9], vcc
	s_cbranch_execz .LBB146_27
; %bb.24:
	v_lshlrev_b32_e32 v1, 1, v0
	v_lshrrev_b32_e32 v14, 4, v0
	v_add_lshl_u32 v20, v14, v1, 3
	ds_read2_b64 v[14:17], v20 offset1:1
	v_mbcnt_lo_u32_b32 v1, -1, 0
	s_waitcnt lgkmcnt(0)
	v_add_co_u32_e64 v21, s[4:5], v16, v14
	v_addc_co_u32_e64 v22, s[4:5], v17, v15, s[4:5]
	s_nop 0
	v_mov_b32_dpp v16, v21 row_shr:1 row_mask:0xf bank_mask:0xf
	v_add_co_u32_e64 v16, s[4:5], v21, v16
	v_addc_co_u32_e64 v24, s[4:5], 0, v22, s[4:5]
	v_mbcnt_hi_u32_b32 v17, -1, v1
	v_mov_b32_dpp v23, v22 row_shr:1 row_mask:0xf bank_mask:0xf
	v_add_co_u32_e64 v25, s[4:5], 0, v16
	v_and_b32_e32 v1, 15, v17
	v_addc_co_u32_e64 v23, s[4:5], v23, v24, s[4:5]
	v_cmp_eq_u32_e64 s[4:5], 0, v1
	v_cndmask_b32_e64 v16, v16, v21, s[4:5]
	v_cndmask_b32_e64 v23, v23, v22, s[4:5]
	v_cndmask_b32_e64 v24, v25, v21, s[4:5]
	v_mov_b32_dpp v25, v16 row_shr:2 row_mask:0xf bank_mask:0xf
	v_mov_b32_dpp v28, v23 row_shr:2 row_mask:0xf bank_mask:0xf
	v_add_co_u32_e64 v25, s[4:5], v25, v24
	v_addc_co_u32_e64 v28, s[4:5], v28, v23, s[4:5]
	v_cmp_lt_u32_e64 s[4:5], 1, v1
	v_cndmask_b32_e64 v16, v16, v25, s[4:5]
	v_cndmask_b32_e64 v23, v23, v28, s[4:5]
	v_cndmask_b32_e64 v24, v24, v25, s[4:5]
	v_mov_b32_dpp v25, v16 row_shr:4 row_mask:0xf bank_mask:0xf
	v_mov_b32_dpp v28, v23 row_shr:4 row_mask:0xf bank_mask:0xf
	v_add_co_u32_e64 v25, s[4:5], v25, v24
	v_addc_co_u32_e64 v28, s[4:5], v28, v23, s[4:5]
	v_cmp_lt_u32_e64 s[4:5], 3, v1
	;; [unrolled: 8-line block ×3, first 2 shown]
	v_cndmask_b32_e64 v29, v16, v25, s[4:5]
	v_cndmask_b32_e64 v1, v23, v28, s[4:5]
	;; [unrolled: 1-line block ×3, first 2 shown]
	v_mov_b32_dpp v23, v29 row_bcast:15 row_mask:0xf bank_mask:0xf
	v_mov_b32_dpp v24, v1 row_bcast:15 row_mask:0xf bank_mask:0xf
	v_add_co_u32_e64 v23, s[4:5], v23, v16
	v_and_b32_e32 v28, 16, v17
	v_addc_co_u32_e64 v25, s[4:5], v24, v1, s[4:5]
	v_cmp_eq_u32_e64 s[4:5], 0, v28
	v_cndmask_b32_e64 v28, v25, v1, s[4:5]
	v_cndmask_b32_e64 v24, v23, v29, s[4:5]
	v_cmp_ne_u32_e64 s[6:7], 0, v17
	v_mov_b32_dpp v28, v28 row_bcast:31 row_mask:0xf bank_mask:0xf
	v_mov_b32_dpp v24, v24 row_bcast:31 row_mask:0xf bank_mask:0xf
	s_and_saveexec_b64 s[30:31], s[6:7]
; %bb.25:
	v_cndmask_b32_e64 v1, v25, v1, s[4:5]
	v_cndmask_b32_e64 v16, v23, v16, s[4:5]
	v_cmp_lt_u32_e64 s[4:5], 31, v17
	v_cndmask_b32_e64 v21, 0, v24, s[4:5]
	v_cndmask_b32_e64 v22, 0, v28, s[4:5]
	v_add_co_u32_e64 v21, s[4:5], v21, v16
	v_addc_co_u32_e64 v22, s[4:5], v22, v1, s[4:5]
; %bb.26:
	s_or_b64 exec, exec, s[30:31]
	v_add_u32_e32 v1, -1, v17
	v_and_b32_e32 v16, 64, v17
	v_cmp_lt_i32_e64 s[4:5], v1, v16
	v_cndmask_b32_e64 v1, v1, v17, s[4:5]
	v_lshlrev_b32_e32 v1, 2, v1
	ds_bpermute_b32 v16, v1, v21
	ds_bpermute_b32 v1, v1, v22
	; wave barrier
	s_waitcnt lgkmcnt(1)
	v_add_co_u32_e64 v14, s[4:5], v14, v16
	v_addc_co_u32_e64 v15, s[4:5], 0, v15, s[4:5]
	v_add_co_u32_e64 v14, s[4:5], 0, v14
	s_waitcnt lgkmcnt(0)
	v_addc_co_u32_e64 v1, s[4:5], v15, v1, s[4:5]
	v_cndmask_b32_e64 v15, v1, v19, s[0:1]
	v_cndmask_b32_e64 v14, v14, v18, s[0:1]
	ds_write_b64 v20, v[14:15]
	; wave barrier
	ds_read_b64 v[16:17], v20 offset:8
	s_waitcnt lgkmcnt(0)
	v_add_co_u32_e64 v14, s[4:5], v16, v14
	v_addc_co_u32_e64 v15, s[4:5], v17, v15, s[4:5]
	ds_write_b64 v20, v[14:15] offset:8
.LBB146_27:
	s_or_b64 exec, exec, s[8:9]
	v_pk_mov_b32 v[22:23], 0, 0
	s_waitcnt lgkmcnt(0)
	s_barrier
	s_and_saveexec_b64 s[4:5], s[2:3]
	s_cbranch_execz .LBB146_29
; %bb.28:
	v_add_u32_e32 v1, -1, v0
	v_lshrrev_b32_e32 v14, 5, v1
	v_add_lshl_u32 v1, v14, v1, 3
	ds_read_b64 v[22:23], v1
.LBB146_29:
	s_or_b64 exec, exec, s[4:5]
	s_and_saveexec_b64 s[30:31], vcc
	s_cbranch_execz .LBB146_52
; %bb.30:
	v_mov_b32_e32 v17, 0
	ds_read_b64 v[14:15], v17 offset:1040
	v_mbcnt_lo_u32_b32 v1, -1, 0
	v_mbcnt_hi_u32_b32 v30, -1, v1
	s_mov_b32 s9, 0
	v_cmp_eq_u32_e64 s[4:5], 0, v30
	s_and_saveexec_b64 s[6:7], s[4:5]
	s_cbranch_execz .LBB146_32
; %bb.31:
	s_add_i32 s8, s37, 64
	s_lshl_b64 s[8:9], s[8:9], 4
	s_add_u32 s8, s10, s8
	s_addc_u32 s9, s11, s9
	v_mov_b32_e32 v16, 1
	v_pk_mov_b32 v[18:19], s[8:9], s[8:9] op_sel:[0,1]
	s_waitcnt lgkmcnt(0)
	;;#ASMSTART
	global_store_dwordx4 v[18:19], v[14:17] off	
s_waitcnt vmcnt(0)
	;;#ASMEND
.LBB146_32:
	s_or_b64 exec, exec, s[6:7]
	v_xad_u32 v24, v30, -1, s37
	v_add_u32_e32 v16, 64, v24
	v_lshlrev_b64 v[18:19], 4, v[16:17]
	v_mov_b32_e32 v1, s11
	v_add_co_u32_e32 v28, vcc, s10, v18
	v_addc_co_u32_e32 v29, vcc, v1, v19, vcc
	;;#ASMSTART
	global_load_dwordx4 v[18:21], v[28:29] off glc	
s_waitcnt vmcnt(0)
	;;#ASMEND
	v_and_b32_e32 v1, 0xff, v19
	v_and_b32_e32 v16, 0xff00, v19
	v_or3_b32 v1, 0, v1, v16
	v_or3_b32 v16, v18, 0, 0
	v_and_b32_e32 v18, 0xff000000, v19
	v_and_b32_e32 v19, 0xff0000, v19
	v_or3_b32 v19, v1, v19, v18
	v_or3_b32 v18, v16, 0, 0
	v_cmp_eq_u16_sdwa s[8:9], v20, v17 src0_sel:BYTE_0 src1_sel:DWORD
	s_and_saveexec_b64 s[6:7], s[8:9]
	s_cbranch_execz .LBB146_38
; %bb.33:
	s_mov_b32 s38, 1
	s_mov_b64 s[8:9], 0
	v_mov_b32_e32 v1, 0
.LBB146_34:                             ; =>This Loop Header: Depth=1
                                        ;     Child Loop BB146_35 Depth 2
	s_max_u32 s39, s38, 1
.LBB146_35:                             ;   Parent Loop BB146_34 Depth=1
                                        ; =>  This Inner Loop Header: Depth=2
	s_add_i32 s39, s39, -1
	s_cmp_eq_u32 s39, 0
	s_sleep 1
	s_cbranch_scc0 .LBB146_35
; %bb.36:                               ;   in Loop: Header=BB146_34 Depth=1
	s_cmp_lt_u32 s38, 32
	s_cselect_b64 s[40:41], -1, 0
	s_cmp_lg_u64 s[40:41], 0
	s_addc_u32 s38, s38, 0
	;;#ASMSTART
	global_load_dwordx4 v[18:21], v[28:29] off glc	
s_waitcnt vmcnt(0)
	;;#ASMEND
	v_cmp_ne_u16_sdwa s[40:41], v20, v1 src0_sel:BYTE_0 src1_sel:DWORD
	s_or_b64 s[8:9], s[40:41], s[8:9]
	s_andn2_b64 exec, exec, s[8:9]
	s_cbranch_execnz .LBB146_34
; %bb.37:
	s_or_b64 exec, exec, s[8:9]
.LBB146_38:
	s_or_b64 exec, exec, s[6:7]
	v_and_b32_e32 v32, 63, v30
	v_cmp_ne_u32_e32 vcc, 63, v32
	v_addc_co_u32_e32 v28, vcc, 0, v30, vcc
	v_lshlrev_b32_e32 v33, 2, v28
	ds_bpermute_b32 v28, v33, v18
	v_mov_b32_e32 v1, 2
	v_cmp_eq_u16_sdwa s[6:7], v20, v1 src0_sel:BYTE_0 src1_sel:DWORD
	v_lshlrev_b64 v[16:17], v30, -1
	ds_bpermute_b32 v29, v33, v19
	v_and_b32_e32 v21, s7, v17
	v_or_b32_e32 v21, 0x80000000, v21
	s_waitcnt lgkmcnt(1)
	v_add_co_u32_e32 v28, vcc, v18, v28
	v_and_b32_e32 v25, s6, v16
	v_ffbl_b32_e32 v21, v21
	v_addc_co_u32_e32 v31, vcc, 0, v19, vcc
	v_add_u32_e32 v21, 32, v21
	v_ffbl_b32_e32 v25, v25
	v_add_co_u32_e32 v35, vcc, 0, v28
	v_cmp_gt_u32_e64 s[6:7], 62, v32
	v_min_u32_e32 v21, v25, v21
	s_waitcnt lgkmcnt(0)
	v_addc_co_u32_e32 v29, vcc, v29, v31, vcc
	v_cndmask_b32_e64 v31, 0, 1, s[6:7]
	v_cmp_lt_u32_e32 vcc, v32, v21
	v_lshlrev_b32_e32 v31, 1, v31
	v_cndmask_b32_e32 v28, v18, v28, vcc
	v_add_lshl_u32 v34, v31, v30, 2
	v_cndmask_b32_e32 v29, v19, v29, vcc
	ds_bpermute_b32 v31, v34, v28
	ds_bpermute_b32 v39, v34, v29
	v_cndmask_b32_e32 v40, v18, v35, vcc
	v_add_u32_e32 v35, 2, v32
	v_cmp_gt_u32_e64 s[8:9], 60, v32
	s_waitcnt lgkmcnt(1)
	v_add_co_u32_e64 v31, s[6:7], v31, v40
	s_waitcnt lgkmcnt(0)
	v_addc_co_u32_e64 v39, s[6:7], v39, v29, s[6:7]
	v_cmp_gt_u32_e64 s[6:7], v35, v21
	v_cndmask_b32_e64 v29, v39, v29, s[6:7]
	v_cndmask_b32_e64 v39, 0, 1, s[8:9]
	v_lshlrev_b32_e32 v39, 2, v39
	v_cndmask_b32_e64 v28, v31, v28, s[6:7]
	v_add_lshl_u32 v39, v39, v30, 2
	ds_bpermute_b32 v41, v39, v28
	ds_bpermute_b32 v42, v39, v29
	v_cndmask_b32_e64 v31, v31, v40, s[6:7]
	v_add_u32_e32 v40, 4, v32
	v_cmp_gt_u32_e64 s[8:9], 56, v32
	s_waitcnt lgkmcnt(1)
	v_add_co_u32_e64 v43, s[6:7], v41, v31
	s_waitcnt lgkmcnt(0)
	v_addc_co_u32_e64 v41, s[6:7], v42, v29, s[6:7]
	v_cmp_gt_u32_e64 s[6:7], v40, v21
	v_cndmask_b32_e64 v29, v41, v29, s[6:7]
	v_cndmask_b32_e64 v41, 0, 1, s[8:9]
	v_lshlrev_b32_e32 v41, 3, v41
	v_cndmask_b32_e64 v28, v43, v28, s[6:7]
	v_add_lshl_u32 v41, v41, v30, 2
	ds_bpermute_b32 v44, v41, v28
	v_cndmask_b32_e64 v31, v43, v31, s[6:7]
	ds_bpermute_b32 v43, v41, v29
	v_add_u32_e32 v42, 8, v32
	v_cmp_gt_u32_e64 s[8:9], 48, v32
	s_waitcnt lgkmcnt(1)
	v_add_co_u32_e64 v44, s[6:7], v44, v31
	s_waitcnt lgkmcnt(0)
	v_addc_co_u32_e64 v43, s[6:7], v43, v29, s[6:7]
	v_cmp_gt_u32_e64 s[6:7], v42, v21
	v_cndmask_b32_e64 v29, v43, v29, s[6:7]
	v_cndmask_b32_e64 v43, 0, 1, s[8:9]
	v_lshlrev_b32_e32 v43, 4, v43
	v_cndmask_b32_e64 v28, v44, v28, s[6:7]
	v_add_lshl_u32 v43, v43, v30, 2
	ds_bpermute_b32 v45, v43, v28
	ds_bpermute_b32 v46, v43, v29
	v_cndmask_b32_e64 v31, v44, v31, s[6:7]
	v_cmp_gt_u32_e64 s[8:9], 32, v32
	v_add_u32_e32 v44, 16, v32
	s_waitcnt lgkmcnt(1)
	v_add_co_u32_e64 v47, s[6:7], v45, v31
	s_waitcnt lgkmcnt(0)
	v_addc_co_u32_e64 v46, s[6:7], v46, v29, s[6:7]
	v_cndmask_b32_e64 v45, 0, 1, s[8:9]
	v_cmp_gt_u32_e64 s[6:7], v44, v21
	v_lshlrev_b32_e32 v45, 5, v45
	v_cndmask_b32_e64 v28, v47, v28, s[6:7]
	v_add_lshl_u32 v45, v45, v30, 2
	v_cndmask_b32_e64 v29, v46, v29, s[6:7]
	ds_bpermute_b32 v28, v45, v28
	ds_bpermute_b32 v30, v45, v29
	v_add_u32_e32 v46, 32, v32
	v_cndmask_b32_e64 v31, v47, v31, s[6:7]
	v_cmp_le_u32_e64 s[6:7], v46, v21
	s_waitcnt lgkmcnt(1)
	v_cndmask_b32_e64 v28, 0, v28, s[6:7]
	s_waitcnt lgkmcnt(0)
	v_cndmask_b32_e64 v21, 0, v30, s[6:7]
	v_add_co_u32_e64 v28, s[6:7], v28, v31
	v_addc_co_u32_e64 v21, s[6:7], v21, v29, s[6:7]
	v_mov_b32_e32 v25, 0
	v_cndmask_b32_e32 v19, v19, v21, vcc
	v_cndmask_b32_e32 v18, v18, v28, vcc
	s_branch .LBB146_40
.LBB146_39:                             ;   in Loop: Header=BB146_40 Depth=1
	s_or_b64 exec, exec, s[6:7]
	v_cmp_eq_u16_sdwa s[6:7], v20, v1 src0_sel:BYTE_0 src1_sel:DWORD
	v_and_b32_e32 v21, s7, v17
	v_or_b32_e32 v21, 0x80000000, v21
	ds_bpermute_b32 v31, v33, v18
	v_and_b32_e32 v30, s6, v16
	v_ffbl_b32_e32 v21, v21
	v_add_u32_e32 v21, 32, v21
	v_ffbl_b32_e32 v30, v30
	v_min_u32_e32 v21, v30, v21
	ds_bpermute_b32 v30, v33, v19
	s_waitcnt lgkmcnt(1)
	v_add_co_u32_e32 v31, vcc, v18, v31
	v_addc_co_u32_e32 v47, vcc, 0, v19, vcc
	v_add_co_u32_e32 v48, vcc, 0, v31
	s_waitcnt lgkmcnt(0)
	v_addc_co_u32_e32 v30, vcc, v30, v47, vcc
	v_cmp_lt_u32_e32 vcc, v32, v21
	v_cndmask_b32_e32 v31, v18, v31, vcc
	ds_bpermute_b32 v47, v34, v31
	v_cndmask_b32_e32 v30, v19, v30, vcc
	ds_bpermute_b32 v49, v34, v30
	v_cndmask_b32_e32 v48, v18, v48, vcc
	v_subrev_u32_e32 v24, 64, v24
	s_waitcnt lgkmcnt(1)
	v_add_co_u32_e64 v47, s[6:7], v47, v48
	s_waitcnt lgkmcnt(0)
	v_addc_co_u32_e64 v49, s[6:7], v49, v30, s[6:7]
	v_cmp_gt_u32_e64 s[6:7], v35, v21
	v_cndmask_b32_e64 v31, v47, v31, s[6:7]
	ds_bpermute_b32 v50, v39, v31
	v_cndmask_b32_e64 v30, v49, v30, s[6:7]
	ds_bpermute_b32 v49, v39, v30
	v_cndmask_b32_e64 v47, v47, v48, s[6:7]
	s_waitcnt lgkmcnt(1)
	v_add_co_u32_e64 v48, s[6:7], v50, v47
	s_waitcnt lgkmcnt(0)
	v_addc_co_u32_e64 v49, s[6:7], v49, v30, s[6:7]
	v_cmp_gt_u32_e64 s[6:7], v40, v21
	v_cndmask_b32_e64 v31, v48, v31, s[6:7]
	ds_bpermute_b32 v50, v41, v31
	v_cndmask_b32_e64 v30, v49, v30, s[6:7]
	ds_bpermute_b32 v49, v41, v30
	v_cndmask_b32_e64 v47, v48, v47, s[6:7]
	;; [unrolled: 10-line block ×3, first 2 shown]
	s_waitcnt lgkmcnt(1)
	v_add_co_u32_e64 v48, s[6:7], v50, v47
	s_waitcnt lgkmcnt(0)
	v_addc_co_u32_e64 v49, s[6:7], v49, v30, s[6:7]
	v_cmp_gt_u32_e64 s[6:7], v44, v21
	v_cndmask_b32_e64 v31, v48, v31, s[6:7]
	v_cndmask_b32_e64 v30, v49, v30, s[6:7]
	ds_bpermute_b32 v31, v45, v31
	ds_bpermute_b32 v49, v45, v30
	v_cndmask_b32_e64 v47, v48, v47, s[6:7]
	v_cmp_le_u32_e64 s[6:7], v46, v21
	s_waitcnt lgkmcnt(1)
	v_cndmask_b32_e64 v31, 0, v31, s[6:7]
	s_waitcnt lgkmcnt(0)
	v_cndmask_b32_e64 v21, 0, v49, s[6:7]
	v_add_co_u32_e64 v31, s[6:7], v31, v47
	v_addc_co_u32_e64 v21, s[6:7], v21, v30, s[6:7]
	v_cndmask_b32_e32 v18, v18, v31, vcc
	v_cndmask_b32_e32 v19, v19, v21, vcc
	v_add_co_u32_e32 v18, vcc, v18, v28
	v_addc_co_u32_e32 v19, vcc, v19, v29, vcc
.LBB146_40:                             ; =>This Loop Header: Depth=1
                                        ;     Child Loop BB146_43 Depth 2
                                        ;       Child Loop BB146_44 Depth 3
	v_cmp_ne_u16_sdwa s[6:7], v20, v1 src0_sel:BYTE_0 src1_sel:DWORD
	v_cndmask_b32_e64 v20, 0, 1, s[6:7]
	;;#ASMSTART
	;;#ASMEND
	v_cmp_ne_u32_e32 vcc, 0, v20
	s_cmp_lg_u64 vcc, exec
	v_pk_mov_b32 v[28:29], v[18:19], v[18:19] op_sel:[0,1]
	s_cbranch_scc1 .LBB146_47
; %bb.41:                               ;   in Loop: Header=BB146_40 Depth=1
	v_lshlrev_b64 v[18:19], 4, v[24:25]
	v_mov_b32_e32 v20, s11
	v_add_co_u32_e32 v30, vcc, s10, v18
	v_addc_co_u32_e32 v31, vcc, v20, v19, vcc
	;;#ASMSTART
	global_load_dwordx4 v[18:21], v[30:31] off glc	
s_waitcnt vmcnt(0)
	;;#ASMEND
	v_and_b32_e32 v21, 0xff, v19
	v_and_b32_e32 v47, 0xff00, v19
	v_or3_b32 v21, 0, v21, v47
	v_or3_b32 v18, v18, 0, 0
	v_and_b32_e32 v47, 0xff000000, v19
	v_and_b32_e32 v19, 0xff0000, v19
	v_or3_b32 v19, v21, v19, v47
	v_or3_b32 v18, v18, 0, 0
	v_cmp_eq_u16_sdwa s[8:9], v20, v25 src0_sel:BYTE_0 src1_sel:DWORD
	s_and_saveexec_b64 s[6:7], s[8:9]
	s_cbranch_execz .LBB146_39
; %bb.42:                               ;   in Loop: Header=BB146_40 Depth=1
	s_mov_b32 s38, 1
	s_mov_b64 s[8:9], 0
.LBB146_43:                             ;   Parent Loop BB146_40 Depth=1
                                        ; =>  This Loop Header: Depth=2
                                        ;       Child Loop BB146_44 Depth 3
	s_max_u32 s39, s38, 1
.LBB146_44:                             ;   Parent Loop BB146_40 Depth=1
                                        ;     Parent Loop BB146_43 Depth=2
                                        ; =>    This Inner Loop Header: Depth=3
	s_add_i32 s39, s39, -1
	s_cmp_eq_u32 s39, 0
	s_sleep 1
	s_cbranch_scc0 .LBB146_44
; %bb.45:                               ;   in Loop: Header=BB146_43 Depth=2
	s_cmp_lt_u32 s38, 32
	s_cselect_b64 s[40:41], -1, 0
	s_cmp_lg_u64 s[40:41], 0
	s_addc_u32 s38, s38, 0
	;;#ASMSTART
	global_load_dwordx4 v[18:21], v[30:31] off glc	
s_waitcnt vmcnt(0)
	;;#ASMEND
	v_cmp_ne_u16_sdwa s[40:41], v20, v25 src0_sel:BYTE_0 src1_sel:DWORD
	s_or_b64 s[8:9], s[40:41], s[8:9]
	s_andn2_b64 exec, exec, s[8:9]
	s_cbranch_execnz .LBB146_43
; %bb.46:                               ;   in Loop: Header=BB146_40 Depth=1
	s_or_b64 exec, exec, s[8:9]
	s_branch .LBB146_39
.LBB146_47:                             ;   in Loop: Header=BB146_40 Depth=1
                                        ; implicit-def: $vgpr18_vgpr19
                                        ; implicit-def: $vgpr20
	s_cbranch_execz .LBB146_40
; %bb.48:
	s_and_saveexec_b64 s[6:7], s[4:5]
	s_cbranch_execz .LBB146_50
; %bb.49:
	s_add_i32 s4, s37, 64
	s_mov_b32 s5, 0
	s_lshl_b64 s[4:5], s[4:5], 4
	s_add_u32 s4, s10, s4
	v_add_co_u32_e32 v14, vcc, v28, v14
	s_addc_u32 s5, s11, s5
	v_addc_co_u32_e32 v15, vcc, v29, v15, vcc
	v_mov_b32_e32 v16, 2
	v_mov_b32_e32 v17, 0
	v_pk_mov_b32 v[18:19], s[4:5], s[4:5] op_sel:[0,1]
	;;#ASMSTART
	global_store_dwordx4 v[18:19], v[14:17] off	
s_waitcnt vmcnt(0)
	;;#ASMEND
.LBB146_50:
	s_or_b64 exec, exec, s[6:7]
	s_and_b64 exec, exec, s[0:1]
	s_cbranch_execz .LBB146_52
; %bb.51:
	v_mov_b32_e32 v1, 0
	ds_write_b64 v1, v[28:29]
.LBB146_52:
	s_or_b64 exec, exec, s[30:31]
	v_mov_b32_e32 v1, 0
	s_waitcnt lgkmcnt(0)
	s_barrier
	ds_read_b64 v[14:15], v1
	s_waitcnt lgkmcnt(0)
	v_add_co_u32_e32 v14, vcc, v14, v22
	v_addc_co_u32_e32 v15, vcc, v15, v23, vcc
	v_add_co_u32_e32 v28, vcc, v14, v10
	v_addc_co_u32_e32 v29, vcc, v15, v11, vcc
	;; [unrolled: 2-line block ×7, first 2 shown]
	s_branch .LBB146_65
.LBB146_53:
                                        ; implicit-def: $vgpr34_vgpr35
                                        ; implicit-def: $vgpr32_vgpr33
                                        ; implicit-def: $vgpr30_vgpr31
                                        ; implicit-def: $vgpr28_vgpr29
                                        ; implicit-def: $vgpr22_vgpr23_vgpr24_vgpr25
                                        ; implicit-def: $vgpr18_vgpr19_vgpr20_vgpr21
                                        ; implicit-def: $vgpr14_vgpr15_vgpr16_vgpr17
	s_cbranch_execz .LBB146_65
; %bb.54:
	s_cmp_eq_u64 s[16:17], 0
	v_pk_mov_b32 v[20:21], s[28:29], s[28:29] op_sel:[0,1]
	s_cbranch_scc1 .LBB146_56
; %bb.55:
	v_mov_b32_e32 v1, 0
	v_mov_b32_e32 v15, s36
	v_add_co_u32_e64 v14, vcc, -8, s35
	v_addc_co_u32_e32 v15, vcc, -1, v15, vcc
	global_load_dwordx2 v[16:17], v1, s[12:13]
	flat_load_dwordx2 v[18:19], v[14:15]
	s_waitcnt vmcnt(0) lgkmcnt(0)
	v_add_co_u32_e32 v20, vcc, v16, v18
	v_addc_co_u32_e32 v21, vcc, v17, v19, vcc
.LBB146_56:
	v_add_co_u32_e32 v1, vcc, v12, v10
	v_addc_co_u32_e32 v14, vcc, v13, v11, vcc
	v_add_co_u32_e32 v1, vcc, v1, v6
	v_addc_co_u32_e32 v14, vcc, v14, v7, vcc
	;; [unrolled: 2-line block ×6, first 2 shown]
	v_add_lshl_u32 v1, v38, v0, 3
	v_cmp_gt_u32_e32 vcc, 64, v0
	ds_write_b64 v1, v[18:19]
	s_waitcnt lgkmcnt(0)
	s_barrier
	s_and_saveexec_b64 s[6:7], vcc
	s_cbranch_execz .LBB146_60
; %bb.57:
	v_lshlrev_b32_e32 v1, 1, v0
	v_lshrrev_b32_e32 v14, 4, v0
	v_add_lshl_u32 v22, v14, v1, 3
	ds_read2_b64 v[14:17], v22 offset1:1
	v_mbcnt_lo_u32_b32 v1, -1, 0
	s_waitcnt lgkmcnt(0)
	v_add_co_u32_e32 v23, vcc, v16, v14
	v_addc_co_u32_e32 v24, vcc, v17, v15, vcc
	s_nop 0
	v_mov_b32_dpp v16, v23 row_shr:1 row_mask:0xf bank_mask:0xf
	v_add_co_u32_e32 v16, vcc, v23, v16
	v_addc_co_u32_e32 v26, vcc, 0, v24, vcc
	v_mbcnt_hi_u32_b32 v17, -1, v1
	v_mov_b32_dpp v25, v24 row_shr:1 row_mask:0xf bank_mask:0xf
	v_add_co_u32_e32 v27, vcc, 0, v16
	v_and_b32_e32 v1, 15, v17
	v_addc_co_u32_e32 v25, vcc, v25, v26, vcc
	v_cmp_eq_u32_e32 vcc, 0, v1
	v_cndmask_b32_e32 v16, v16, v23, vcc
	v_cndmask_b32_e32 v25, v25, v24, vcc
	v_cndmask_b32_e32 v26, v27, v23, vcc
	v_mov_b32_dpp v27, v16 row_shr:2 row_mask:0xf bank_mask:0xf
	v_mov_b32_dpp v28, v25 row_shr:2 row_mask:0xf bank_mask:0xf
	v_add_co_u32_e32 v27, vcc, v27, v26
	v_addc_co_u32_e32 v28, vcc, v28, v25, vcc
	v_cmp_lt_u32_e32 vcc, 1, v1
	v_cndmask_b32_e32 v16, v16, v27, vcc
	v_cndmask_b32_e32 v25, v25, v28, vcc
	v_cndmask_b32_e32 v26, v26, v27, vcc
	v_mov_b32_dpp v27, v16 row_shr:4 row_mask:0xf bank_mask:0xf
	v_mov_b32_dpp v28, v25 row_shr:4 row_mask:0xf bank_mask:0xf
	v_add_co_u32_e32 v27, vcc, v27, v26
	v_addc_co_u32_e32 v28, vcc, v28, v25, vcc
	v_cmp_lt_u32_e32 vcc, 3, v1
	;; [unrolled: 8-line block ×3, first 2 shown]
	v_cndmask_b32_e32 v29, v16, v27, vcc
	v_cndmask_b32_e32 v1, v25, v28, vcc
	;; [unrolled: 1-line block ×3, first 2 shown]
	v_mov_b32_dpp v25, v29 row_bcast:15 row_mask:0xf bank_mask:0xf
	v_mov_b32_dpp v26, v1 row_bcast:15 row_mask:0xf bank_mask:0xf
	v_add_co_u32_e32 v25, vcc, v25, v16
	v_and_b32_e32 v28, 16, v17
	v_addc_co_u32_e32 v27, vcc, v26, v1, vcc
	v_cmp_eq_u32_e32 vcc, 0, v28
	v_cndmask_b32_e32 v28, v27, v1, vcc
	v_cndmask_b32_e32 v26, v25, v29, vcc
	v_cmp_ne_u32_e64 s[4:5], 0, v17
	v_mov_b32_dpp v28, v28 row_bcast:31 row_mask:0xf bank_mask:0xf
	v_mov_b32_dpp v26, v26 row_bcast:31 row_mask:0xf bank_mask:0xf
	s_and_saveexec_b64 s[8:9], s[4:5]
; %bb.58:
	v_cndmask_b32_e32 v1, v27, v1, vcc
	v_cndmask_b32_e32 v16, v25, v16, vcc
	v_cmp_lt_u32_e32 vcc, 31, v17
	v_cndmask_b32_e32 v23, 0, v26, vcc
	v_cndmask_b32_e32 v24, 0, v28, vcc
	v_add_co_u32_e32 v23, vcc, v23, v16
	v_addc_co_u32_e32 v24, vcc, v24, v1, vcc
; %bb.59:
	s_or_b64 exec, exec, s[8:9]
	v_add_u32_e32 v1, -1, v17
	v_and_b32_e32 v16, 64, v17
	v_cmp_lt_i32_e32 vcc, v1, v16
	v_cndmask_b32_e32 v1, v1, v17, vcc
	v_lshlrev_b32_e32 v1, 2, v1
	ds_bpermute_b32 v16, v1, v23
	ds_bpermute_b32 v1, v1, v24
	; wave barrier
	s_waitcnt lgkmcnt(1)
	v_add_co_u32_e32 v14, vcc, v14, v16
	v_addc_co_u32_e32 v15, vcc, 0, v15, vcc
	v_add_co_u32_e32 v14, vcc, 0, v14
	s_waitcnt lgkmcnt(0)
	v_addc_co_u32_e32 v1, vcc, v15, v1, vcc
	v_cndmask_b32_e64 v15, v1, v19, s[0:1]
	v_cndmask_b32_e64 v14, v14, v18, s[0:1]
	ds_write_b64 v22, v[14:15]
	; wave barrier
	ds_read_b64 v[16:17], v22 offset:8
	s_waitcnt lgkmcnt(0)
	v_add_co_u32_e32 v14, vcc, v16, v14
	v_addc_co_u32_e32 v15, vcc, v17, v15, vcc
	ds_write_b64 v22, v[14:15] offset:8
.LBB146_60:
	s_or_b64 exec, exec, s[6:7]
	v_pk_mov_b32 v[14:15], v[20:21], v[20:21] op_sel:[0,1]
	s_waitcnt lgkmcnt(0)
	s_barrier
	s_and_saveexec_b64 s[4:5], s[2:3]
	s_cbranch_execz .LBB146_62
; %bb.61:
	v_add_u32_e32 v1, -1, v0
	v_lshrrev_b32_e32 v14, 5, v1
	v_add_lshl_u32 v1, v14, v1, 3
	ds_read_b64 v[14:15], v1
	s_waitcnt lgkmcnt(0)
	v_add_co_u32_e32 v14, vcc, v14, v20
	v_addc_co_u32_e32 v15, vcc, v15, v21, vcc
.LBB146_62:
	s_or_b64 exec, exec, s[4:5]
	v_add_co_u32_e32 v28, vcc, v14, v10
	v_addc_co_u32_e32 v29, vcc, v15, v11, vcc
	v_add_co_u32_e32 v18, vcc, v28, v12
	v_addc_co_u32_e32 v19, vcc, v29, v13, vcc
	v_add_co_u32_e32 v30, vcc, v18, v6
	v_addc_co_u32_e32 v31, vcc, v19, v7, vcc
	v_add_co_u32_e32 v22, vcc, v30, v8
	v_addc_co_u32_e32 v23, vcc, v31, v9, vcc
	v_add_co_u32_e32 v32, vcc, v22, v2
	v_addc_co_u32_e32 v33, vcc, v23, v3, vcc
	v_add_co_u32_e32 v34, vcc, v32, v4
	v_addc_co_u32_e32 v35, vcc, v33, v5, vcc
	s_and_saveexec_b64 s[2:3], s[0:1]
	s_cbranch_execz .LBB146_64
; %bb.63:
	v_mov_b32_e32 v5, 0
	ds_read_b64 v[2:3], v5 offset:1040
	s_add_u32 s0, s10, 0x400
	s_addc_u32 s1, s11, 0
	v_mov_b32_e32 v4, 2
	v_pk_mov_b32 v[6:7], s[0:1], s[0:1] op_sel:[0,1]
	s_waitcnt lgkmcnt(0)
	v_add_co_u32_e32 v2, vcc, v2, v20
	v_addc_co_u32_e32 v3, vcc, v3, v21, vcc
	;;#ASMSTART
	global_store_dwordx4 v[6:7], v[2:5] off	
s_waitcnt vmcnt(0)
	;;#ASMEND
.LBB146_64:
	s_or_b64 exec, exec, s[2:3]
.LBB146_65:
	s_add_u32 s0, s24, s22
	s_addc_u32 s1, s25, s23
	s_add_u32 s2, s0, s26
	s_addc_u32 s3, s1, s27
	s_mov_b64 s[0:1], -1
	s_and_b64 vcc, exec, s[20:21]
	v_mul_u32_u24_e32 v1, 56, v0
	s_barrier
	s_cbranch_vccz .LBB146_67
; %bb.66:
	v_mul_i32_i24_e32 v2, 0xffffffd0, v0
	v_mad_u32_u24 v16, v0, 56, v2
	ds_write2_b64 v1, v[14:15], v[28:29] offset1:1
	ds_write2_b64 v1, v[18:19], v[30:31] offset0:2 offset1:3
	ds_write2_b64 v1, v[22:23], v[32:33] offset0:4 offset1:5
	ds_write_b64 v1, v[34:35] offset:48
	s_waitcnt lgkmcnt(0)
	s_barrier
	ds_read2st64_b64 v[2:5], v16 offset1:2
	ds_read2st64_b64 v[6:9], v16 offset0:4 offset1:6
	ds_read2st64_b64 v[10:13], v16 offset0:8 offset1:10
	ds_read_b64 v[16:17], v16 offset:6144
	v_mov_b32_e32 v21, s3
	v_add_co_u32_e32 v20, vcc, s2, v36
	v_addc_co_u32_e32 v21, vcc, 0, v21, vcc
	s_waitcnt lgkmcnt(3)
	flat_store_dwordx2 v[20:21], v[2:3]
	flat_store_dwordx2 v[20:21], v[4:5] offset:1024
	s_waitcnt lgkmcnt(0)
	flat_store_dwordx2 v[20:21], v[6:7] offset:2048
	flat_store_dwordx2 v[20:21], v[8:9] offset:3072
	v_add_co_u32_e32 v2, vcc, 0x1000, v20
	v_addc_co_u32_e32 v3, vcc, 0, v21, vcc
	flat_store_dwordx2 v[2:3], v[10:11]
	flat_store_dwordx2 v[2:3], v[12:13] offset:1024
	flat_store_dwordx2 v[2:3], v[16:17] offset:2048
	s_mov_b64 s[0:1], 0
.LBB146_67:
	s_andn2_b64 vcc, exec, s[0:1]
	s_cbranch_vccnz .LBB146_106
; %bb.68:
	v_mul_i32_i24_e32 v2, 0xffffffd0, v0
	ds_write2_b64 v1, v[14:15], v[28:29] offset1:1
	ds_write2_b64 v1, v[18:19], v[30:31] offset0:2 offset1:3
	ds_write2_b64 v1, v[22:23], v[32:33] offset0:4 offset1:5
	ds_write_b64 v1, v[34:35] offset:48
	v_mad_u32_u24 v14, v0, 56, v2
	s_waitcnt lgkmcnt(0)
	s_barrier
	ds_read2st64_b64 v[2:5], v14 offset1:2
	ds_read2st64_b64 v[6:9], v14 offset0:4 offset1:6
	ds_read2st64_b64 v[10:13], v14 offset0:8 offset1:10
	ds_read_b64 v[14:15], v14 offset:6144
	v_mov_b32_e32 v17, s3
	v_add_co_u32_e32 v16, vcc, s2, v36
	v_addc_co_u32_e32 v17, vcc, 0, v17, vcc
	v_mov_b32_e32 v1, 0
	v_cmp_gt_u32_e32 vcc, s33, v0
	s_and_saveexec_b64 s[0:1], vcc
	s_cbranch_execz .LBB146_70
; %bb.69:
	s_waitcnt lgkmcnt(0)
	flat_store_dwordx2 v[16:17], v[2:3]
.LBB146_70:
	s_or_b64 exec, exec, s[0:1]
	v_or_b32_e32 v18, 0x80, v0
	v_cmp_gt_u32_e32 vcc, s33, v18
	s_and_saveexec_b64 s[0:1], vcc
	s_cbranch_execz .LBB146_72
; %bb.71:
	s_waitcnt lgkmcnt(0)
	flat_store_dwordx2 v[16:17], v[4:5] offset:1024
.LBB146_72:
	s_or_b64 exec, exec, s[0:1]
	v_or_b32_e32 v18, 0x100, v0
	v_cmp_gt_u32_e32 vcc, s33, v18
	s_and_saveexec_b64 s[0:1], vcc
	s_cbranch_execz .LBB146_74
; %bb.73:
	s_waitcnt lgkmcnt(0)
	flat_store_dwordx2 v[16:17], v[6:7] offset:2048
.LBB146_74:
	;; [unrolled: 9-line block ×3, first 2 shown]
	s_or_b64 exec, exec, s[0:1]
	v_or_b32_e32 v18, 0x200, v0
	v_cmp_gt_u32_e32 vcc, s33, v18
	s_and_saveexec_b64 s[0:1], vcc
	s_cbranch_execz .LBB146_78
; %bb.77:
	v_add_co_u32_e32 v18, vcc, 0x1000, v16
	v_addc_co_u32_e32 v19, vcc, 0, v17, vcc
	s_waitcnt lgkmcnt(0)
	flat_store_dwordx2 v[18:19], v[10:11]
.LBB146_78:
	s_or_b64 exec, exec, s[0:1]
	v_or_b32_e32 v18, 0x280, v0
	v_cmp_gt_u32_e32 vcc, s33, v18
	s_and_saveexec_b64 s[0:1], vcc
	s_cbranch_execz .LBB146_80
; %bb.79:
	v_add_co_u32_e32 v18, vcc, 0x1000, v16
	v_addc_co_u32_e32 v19, vcc, 0, v17, vcc
	s_waitcnt lgkmcnt(0)
	flat_store_dwordx2 v[18:19], v[12:13] offset:1024
.LBB146_80:
	s_or_b64 exec, exec, s[0:1]
	v_or_b32_e32 v18, 0x300, v0
	v_cmp_gt_u32_e32 vcc, s33, v18
	s_and_saveexec_b64 s[0:1], vcc
	s_cbranch_execz .LBB146_82
; %bb.81:
	v_add_co_u32_e32 v16, vcc, 0x1000, v16
	v_addc_co_u32_e32 v17, vcc, 0, v17, vcc
	s_waitcnt lgkmcnt(0)
	flat_store_dwordx2 v[16:17], v[14:15] offset:2048
.LBB146_82:
	s_or_b64 exec, exec, s[0:1]
	v_cmp_lt_u64_e64 s[0:1], s[18:19], 2
	s_and_b64 vcc, exec, s[0:1]
	s_cbranch_vccnz .LBB146_106
; %bb.83:
	s_add_u32 s0, s33, -1
	s_addc_u32 s1, s34, -1
	s_add_u32 s2, 0, 0x92481000
	s_addc_u32 s3, 0, 0x64
	s_add_i32 s3, s3, 0x249248c0
	s_mul_hi_u32 s7, s2, -7
	s_sub_i32 s7, s7, s2
	s_mul_i32 s8, s3, -7
	s_mul_i32 s4, s2, -7
	s_add_i32 s7, s7, s8
	s_mul_hi_u32 s5, s3, s4
	s_mul_i32 s6, s3, s4
	s_mul_i32 s9, s2, s7
	s_mul_hi_u32 s4, s2, s4
	s_mul_hi_u32 s8, s2, s7
	s_add_u32 s4, s4, s9
	s_addc_u32 s8, 0, s8
	s_add_u32 s4, s4, s6
	s_mul_hi_u32 s9, s3, s7
	s_addc_u32 s4, s8, s5
	s_addc_u32 s5, s9, 0
	s_mul_i32 s6, s3, s7
	s_add_u32 s4, s4, s6
	v_mov_b32_e32 v16, s4
	s_addc_u32 s5, 0, s5
	v_add_co_u32_e32 v16, vcc, s2, v16
	s_cmp_lg_u64 vcc, 0
	s_addc_u32 s2, s3, s5
	v_readfirstlane_b32 s5, v16
	s_mul_i32 s4, s0, s2
	s_mul_hi_u32 s6, s0, s5
	s_mul_hi_u32 s3, s0, s2
	s_add_u32 s4, s6, s4
	s_addc_u32 s3, 0, s3
	s_mul_hi_u32 s7, s1, s5
	s_mul_i32 s5, s1, s5
	s_add_u32 s4, s4, s5
	s_mul_hi_u32 s6, s1, s2
	s_addc_u32 s3, s3, s7
	s_addc_u32 s4, s6, 0
	s_mul_i32 s2, s1, s2
	s_add_u32 s2, s3, s2
	s_addc_u32 s3, 0, s4
	s_add_u32 s4, s2, 1
	s_addc_u32 s5, s3, 0
	s_add_u32 s6, s2, 2
	s_mul_i32 s8, s3, 7
	s_mul_hi_u32 s9, s2, 7
	s_addc_u32 s7, s3, 0
	s_add_i32 s9, s9, s8
	s_mul_i32 s8, s2, 7
	v_mov_b32_e32 v16, s8
	v_sub_co_u32_e32 v16, vcc, s0, v16
	s_cmp_lg_u64 vcc, 0
	s_subb_u32 s8, s1, s9
	v_subrev_co_u32_e32 v17, vcc, 7, v16
	s_cmp_lg_u64 vcc, 0
	s_subb_u32 s9, s8, 0
	v_readfirstlane_b32 s10, v17
	s_cmp_gt_u32 s10, 6
	s_cselect_b32 s10, -1, 0
	s_cmp_eq_u32 s9, 0
	s_cselect_b32 s9, s10, -1
	s_cmp_lg_u32 s9, 0
	s_cselect_b32 s4, s6, s4
	v_readfirstlane_b32 s6, v16
	s_cselect_b32 s5, s7, s5
	s_cmp_gt_u32 s6, 6
	s_cselect_b32 s6, -1, 0
	s_cmp_eq_u32 s8, 0
	s_cselect_b32 s6, s6, -1
	s_cmp_lg_u32 s6, 0
	s_cselect_b32 s3, s5, s3
	s_cselect_b32 s2, s4, s2
	v_cmp_eq_u64_e32 vcc, s[2:3], v[0:1]
	s_and_saveexec_b64 s[2:3], vcc
	s_cbranch_execz .LBB146_106
; %bb.84:
	v_mul_hi_u32_u24_e32 v1, 7, v0
	v_mov_b32_e32 v16, s1
	v_sub_co_u32_e32 v0, vcc, s0, v37
	v_subb_co_u32_e32 v1, vcc, v16, v1, vcc
	v_cmp_lt_i64_e32 vcc, 3, v[0:1]
	s_and_saveexec_b64 s[0:1], vcc
	s_xor_b64 s[0:1], exec, s[0:1]
	s_cbranch_execz .LBB146_94
; %bb.85:
	v_cmp_lt_i64_e32 vcc, 4, v[0:1]
	s_and_saveexec_b64 s[2:3], vcc
	s_xor_b64 s[2:3], exec, s[2:3]
	s_cbranch_execz .LBB146_91
; %bb.86:
	v_cmp_lt_i64_e32 vcc, 5, v[0:1]
	s_and_saveexec_b64 s[4:5], vcc
	s_xor_b64 s[4:5], exec, s[4:5]
	s_cbranch_execz .LBB146_88
; %bb.87:
	v_mov_b32_e32 v0, 0
	s_waitcnt lgkmcnt(0)
	global_store_dwordx2 v0, v[14:15], s[14:15]
                                        ; implicit-def: $vgpr10_vgpr11_vgpr12_vgpr13
.LBB146_88:
	s_andn2_saveexec_b64 s[4:5], s[4:5]
	s_cbranch_execz .LBB146_90
; %bb.89:
	v_mov_b32_e32 v0, 0
	s_waitcnt lgkmcnt(0)
	global_store_dwordx2 v0, v[12:13], s[14:15]
.LBB146_90:
	s_or_b64 exec, exec, s[4:5]
                                        ; implicit-def: $vgpr10_vgpr11_vgpr12_vgpr13
.LBB146_91:
	s_andn2_saveexec_b64 s[2:3], s[2:3]
	s_cbranch_execz .LBB146_93
; %bb.92:
	v_mov_b32_e32 v0, 0
	s_waitcnt lgkmcnt(0)
	global_store_dwordx2 v0, v[10:11], s[14:15]
.LBB146_93:
	s_or_b64 exec, exec, s[2:3]
                                        ; implicit-def: $vgpr0_vgpr1
                                        ; implicit-def: $vgpr2_vgpr3_vgpr4_vgpr5
                                        ; implicit-def: $vgpr6_vgpr7_vgpr8_vgpr9
.LBB146_94:
	s_andn2_saveexec_b64 s[0:1], s[0:1]
	s_cbranch_execz .LBB146_106
; %bb.95:
	v_cmp_lt_i64_e32 vcc, 1, v[0:1]
	s_and_saveexec_b64 s[0:1], vcc
	s_xor_b64 s[0:1], exec, s[0:1]
	s_cbranch_execz .LBB146_101
; %bb.96:
	v_cmp_lt_i64_e32 vcc, 2, v[0:1]
	s_and_saveexec_b64 s[2:3], vcc
	s_xor_b64 s[2:3], exec, s[2:3]
	s_cbranch_execz .LBB146_98
; %bb.97:
	v_mov_b32_e32 v0, 0
	s_waitcnt lgkmcnt(0)
	global_store_dwordx2 v0, v[8:9], s[14:15]
                                        ; implicit-def: $vgpr6_vgpr7_vgpr8_vgpr9
.LBB146_98:
	s_andn2_saveexec_b64 s[2:3], s[2:3]
	s_cbranch_execz .LBB146_100
; %bb.99:
	v_mov_b32_e32 v0, 0
	s_waitcnt lgkmcnt(0)
	global_store_dwordx2 v0, v[6:7], s[14:15]
.LBB146_100:
	s_or_b64 exec, exec, s[2:3]
                                        ; implicit-def: $vgpr2_vgpr3_vgpr4_vgpr5
                                        ; implicit-def: $vgpr0_vgpr1
.LBB146_101:
	s_andn2_saveexec_b64 s[0:1], s[0:1]
	s_cbranch_execz .LBB146_106
; %bb.102:
	v_cmp_ne_u64_e32 vcc, 1, v[0:1]
	s_and_saveexec_b64 s[0:1], vcc
	s_xor_b64 s[0:1], exec, s[0:1]
	s_cbranch_execz .LBB146_104
; %bb.103:
	v_mov_b32_e32 v0, 0
	s_waitcnt lgkmcnt(0)
	global_store_dwordx2 v0, v[2:3], s[14:15]
                                        ; implicit-def: $vgpr2_vgpr3_vgpr4_vgpr5
.LBB146_104:
	s_andn2_saveexec_b64 s[0:1], s[0:1]
	s_cbranch_execz .LBB146_106
; %bb.105:
	v_mov_b32_e32 v0, 0
	s_waitcnt lgkmcnt(0)
	global_store_dwordx2 v0, v[4:5], s[14:15]
.LBB146_106:
	s_endpgm
	.section	.rodata,"a",@progbits
	.p2align	6, 0x0
	.amdhsa_kernel _ZN7rocprim17ROCPRIM_400000_NS6detail17trampoline_kernelINS0_14default_configENS1_20scan_config_selectorIxEEZZNS1_9scan_implILNS1_25lookback_scan_determinismE0ELb1ELb1ES3_N6thrust23THRUST_200600_302600_NS6detail15normal_iteratorINS9_10device_ptrIxEEEESE_xNS9_4plusIvEExEEDaPvRmT3_T4_T5_mT6_P12ihipStream_tbENKUlT_T0_E_clISt17integral_constantIbLb1EESU_EEDaSP_SQ_EUlSP_E_NS1_11comp_targetILNS1_3genE4ELNS1_11target_archE910ELNS1_3gpuE8ELNS1_3repE0EEENS1_30default_config_static_selectorELNS0_4arch9wavefront6targetE1EEEvT1_
		.amdhsa_group_segment_fixed_size 7168
		.amdhsa_private_segment_fixed_size 0
		.amdhsa_kernarg_size 104
		.amdhsa_user_sgpr_count 6
		.amdhsa_user_sgpr_private_segment_buffer 1
		.amdhsa_user_sgpr_dispatch_ptr 0
		.amdhsa_user_sgpr_queue_ptr 0
		.amdhsa_user_sgpr_kernarg_segment_ptr 1
		.amdhsa_user_sgpr_dispatch_id 0
		.amdhsa_user_sgpr_flat_scratch_init 0
		.amdhsa_user_sgpr_kernarg_preload_length 0
		.amdhsa_user_sgpr_kernarg_preload_offset 0
		.amdhsa_user_sgpr_private_segment_size 0
		.amdhsa_uses_dynamic_stack 0
		.amdhsa_system_sgpr_private_segment_wavefront_offset 0
		.amdhsa_system_sgpr_workgroup_id_x 1
		.amdhsa_system_sgpr_workgroup_id_y 0
		.amdhsa_system_sgpr_workgroup_id_z 0
		.amdhsa_system_sgpr_workgroup_info 0
		.amdhsa_system_vgpr_workitem_id 0
		.amdhsa_next_free_vgpr 51
		.amdhsa_next_free_sgpr 42
		.amdhsa_accum_offset 52
		.amdhsa_reserve_vcc 1
		.amdhsa_reserve_flat_scratch 0
		.amdhsa_float_round_mode_32 0
		.amdhsa_float_round_mode_16_64 0
		.amdhsa_float_denorm_mode_32 3
		.amdhsa_float_denorm_mode_16_64 3
		.amdhsa_dx10_clamp 1
		.amdhsa_ieee_mode 1
		.amdhsa_fp16_overflow 0
		.amdhsa_tg_split 0
		.amdhsa_exception_fp_ieee_invalid_op 0
		.amdhsa_exception_fp_denorm_src 0
		.amdhsa_exception_fp_ieee_div_zero 0
		.amdhsa_exception_fp_ieee_overflow 0
		.amdhsa_exception_fp_ieee_underflow 0
		.amdhsa_exception_fp_ieee_inexact 0
		.amdhsa_exception_int_div_zero 0
	.end_amdhsa_kernel
	.section	.text._ZN7rocprim17ROCPRIM_400000_NS6detail17trampoline_kernelINS0_14default_configENS1_20scan_config_selectorIxEEZZNS1_9scan_implILNS1_25lookback_scan_determinismE0ELb1ELb1ES3_N6thrust23THRUST_200600_302600_NS6detail15normal_iteratorINS9_10device_ptrIxEEEESE_xNS9_4plusIvEExEEDaPvRmT3_T4_T5_mT6_P12ihipStream_tbENKUlT_T0_E_clISt17integral_constantIbLb1EESU_EEDaSP_SQ_EUlSP_E_NS1_11comp_targetILNS1_3genE4ELNS1_11target_archE910ELNS1_3gpuE8ELNS1_3repE0EEENS1_30default_config_static_selectorELNS0_4arch9wavefront6targetE1EEEvT1_,"axG",@progbits,_ZN7rocprim17ROCPRIM_400000_NS6detail17trampoline_kernelINS0_14default_configENS1_20scan_config_selectorIxEEZZNS1_9scan_implILNS1_25lookback_scan_determinismE0ELb1ELb1ES3_N6thrust23THRUST_200600_302600_NS6detail15normal_iteratorINS9_10device_ptrIxEEEESE_xNS9_4plusIvEExEEDaPvRmT3_T4_T5_mT6_P12ihipStream_tbENKUlT_T0_E_clISt17integral_constantIbLb1EESU_EEDaSP_SQ_EUlSP_E_NS1_11comp_targetILNS1_3genE4ELNS1_11target_archE910ELNS1_3gpuE8ELNS1_3repE0EEENS1_30default_config_static_selectorELNS0_4arch9wavefront6targetE1EEEvT1_,comdat
.Lfunc_end146:
	.size	_ZN7rocprim17ROCPRIM_400000_NS6detail17trampoline_kernelINS0_14default_configENS1_20scan_config_selectorIxEEZZNS1_9scan_implILNS1_25lookback_scan_determinismE0ELb1ELb1ES3_N6thrust23THRUST_200600_302600_NS6detail15normal_iteratorINS9_10device_ptrIxEEEESE_xNS9_4plusIvEExEEDaPvRmT3_T4_T5_mT6_P12ihipStream_tbENKUlT_T0_E_clISt17integral_constantIbLb1EESU_EEDaSP_SQ_EUlSP_E_NS1_11comp_targetILNS1_3genE4ELNS1_11target_archE910ELNS1_3gpuE8ELNS1_3repE0EEENS1_30default_config_static_selectorELNS0_4arch9wavefront6targetE1EEEvT1_, .Lfunc_end146-_ZN7rocprim17ROCPRIM_400000_NS6detail17trampoline_kernelINS0_14default_configENS1_20scan_config_selectorIxEEZZNS1_9scan_implILNS1_25lookback_scan_determinismE0ELb1ELb1ES3_N6thrust23THRUST_200600_302600_NS6detail15normal_iteratorINS9_10device_ptrIxEEEESE_xNS9_4plusIvEExEEDaPvRmT3_T4_T5_mT6_P12ihipStream_tbENKUlT_T0_E_clISt17integral_constantIbLb1EESU_EEDaSP_SQ_EUlSP_E_NS1_11comp_targetILNS1_3genE4ELNS1_11target_archE910ELNS1_3gpuE8ELNS1_3repE0EEENS1_30default_config_static_selectorELNS0_4arch9wavefront6targetE1EEEvT1_
                                        ; -- End function
	.section	.AMDGPU.csdata,"",@progbits
; Kernel info:
; codeLenInByte = 5780
; NumSgprs: 46
; NumVgprs: 51
; NumAgprs: 0
; TotalNumVgprs: 51
; ScratchSize: 0
; MemoryBound: 0
; FloatMode: 240
; IeeeMode: 1
; LDSByteSize: 7168 bytes/workgroup (compile time only)
; SGPRBlocks: 5
; VGPRBlocks: 6
; NumSGPRsForWavesPerEU: 46
; NumVGPRsForWavesPerEU: 51
; AccumOffset: 52
; Occupancy: 5
; WaveLimiterHint : 1
; COMPUTE_PGM_RSRC2:SCRATCH_EN: 0
; COMPUTE_PGM_RSRC2:USER_SGPR: 6
; COMPUTE_PGM_RSRC2:TRAP_HANDLER: 0
; COMPUTE_PGM_RSRC2:TGID_X_EN: 1
; COMPUTE_PGM_RSRC2:TGID_Y_EN: 0
; COMPUTE_PGM_RSRC2:TGID_Z_EN: 0
; COMPUTE_PGM_RSRC2:TIDIG_COMP_CNT: 0
; COMPUTE_PGM_RSRC3_GFX90A:ACCUM_OFFSET: 12
; COMPUTE_PGM_RSRC3_GFX90A:TG_SPLIT: 0
	.section	.text._ZN7rocprim17ROCPRIM_400000_NS6detail17trampoline_kernelINS0_14default_configENS1_20scan_config_selectorIxEEZZNS1_9scan_implILNS1_25lookback_scan_determinismE0ELb1ELb1ES3_N6thrust23THRUST_200600_302600_NS6detail15normal_iteratorINS9_10device_ptrIxEEEESE_xNS9_4plusIvEExEEDaPvRmT3_T4_T5_mT6_P12ihipStream_tbENKUlT_T0_E_clISt17integral_constantIbLb1EESU_EEDaSP_SQ_EUlSP_E_NS1_11comp_targetILNS1_3genE3ELNS1_11target_archE908ELNS1_3gpuE7ELNS1_3repE0EEENS1_30default_config_static_selectorELNS0_4arch9wavefront6targetE1EEEvT1_,"axG",@progbits,_ZN7rocprim17ROCPRIM_400000_NS6detail17trampoline_kernelINS0_14default_configENS1_20scan_config_selectorIxEEZZNS1_9scan_implILNS1_25lookback_scan_determinismE0ELb1ELb1ES3_N6thrust23THRUST_200600_302600_NS6detail15normal_iteratorINS9_10device_ptrIxEEEESE_xNS9_4plusIvEExEEDaPvRmT3_T4_T5_mT6_P12ihipStream_tbENKUlT_T0_E_clISt17integral_constantIbLb1EESU_EEDaSP_SQ_EUlSP_E_NS1_11comp_targetILNS1_3genE3ELNS1_11target_archE908ELNS1_3gpuE7ELNS1_3repE0EEENS1_30default_config_static_selectorELNS0_4arch9wavefront6targetE1EEEvT1_,comdat
	.protected	_ZN7rocprim17ROCPRIM_400000_NS6detail17trampoline_kernelINS0_14default_configENS1_20scan_config_selectorIxEEZZNS1_9scan_implILNS1_25lookback_scan_determinismE0ELb1ELb1ES3_N6thrust23THRUST_200600_302600_NS6detail15normal_iteratorINS9_10device_ptrIxEEEESE_xNS9_4plusIvEExEEDaPvRmT3_T4_T5_mT6_P12ihipStream_tbENKUlT_T0_E_clISt17integral_constantIbLb1EESU_EEDaSP_SQ_EUlSP_E_NS1_11comp_targetILNS1_3genE3ELNS1_11target_archE908ELNS1_3gpuE7ELNS1_3repE0EEENS1_30default_config_static_selectorELNS0_4arch9wavefront6targetE1EEEvT1_ ; -- Begin function _ZN7rocprim17ROCPRIM_400000_NS6detail17trampoline_kernelINS0_14default_configENS1_20scan_config_selectorIxEEZZNS1_9scan_implILNS1_25lookback_scan_determinismE0ELb1ELb1ES3_N6thrust23THRUST_200600_302600_NS6detail15normal_iteratorINS9_10device_ptrIxEEEESE_xNS9_4plusIvEExEEDaPvRmT3_T4_T5_mT6_P12ihipStream_tbENKUlT_T0_E_clISt17integral_constantIbLb1EESU_EEDaSP_SQ_EUlSP_E_NS1_11comp_targetILNS1_3genE3ELNS1_11target_archE908ELNS1_3gpuE7ELNS1_3repE0EEENS1_30default_config_static_selectorELNS0_4arch9wavefront6targetE1EEEvT1_
	.globl	_ZN7rocprim17ROCPRIM_400000_NS6detail17trampoline_kernelINS0_14default_configENS1_20scan_config_selectorIxEEZZNS1_9scan_implILNS1_25lookback_scan_determinismE0ELb1ELb1ES3_N6thrust23THRUST_200600_302600_NS6detail15normal_iteratorINS9_10device_ptrIxEEEESE_xNS9_4plusIvEExEEDaPvRmT3_T4_T5_mT6_P12ihipStream_tbENKUlT_T0_E_clISt17integral_constantIbLb1EESU_EEDaSP_SQ_EUlSP_E_NS1_11comp_targetILNS1_3genE3ELNS1_11target_archE908ELNS1_3gpuE7ELNS1_3repE0EEENS1_30default_config_static_selectorELNS0_4arch9wavefront6targetE1EEEvT1_
	.p2align	8
	.type	_ZN7rocprim17ROCPRIM_400000_NS6detail17trampoline_kernelINS0_14default_configENS1_20scan_config_selectorIxEEZZNS1_9scan_implILNS1_25lookback_scan_determinismE0ELb1ELb1ES3_N6thrust23THRUST_200600_302600_NS6detail15normal_iteratorINS9_10device_ptrIxEEEESE_xNS9_4plusIvEExEEDaPvRmT3_T4_T5_mT6_P12ihipStream_tbENKUlT_T0_E_clISt17integral_constantIbLb1EESU_EEDaSP_SQ_EUlSP_E_NS1_11comp_targetILNS1_3genE3ELNS1_11target_archE908ELNS1_3gpuE7ELNS1_3repE0EEENS1_30default_config_static_selectorELNS0_4arch9wavefront6targetE1EEEvT1_,@function
_ZN7rocprim17ROCPRIM_400000_NS6detail17trampoline_kernelINS0_14default_configENS1_20scan_config_selectorIxEEZZNS1_9scan_implILNS1_25lookback_scan_determinismE0ELb1ELb1ES3_N6thrust23THRUST_200600_302600_NS6detail15normal_iteratorINS9_10device_ptrIxEEEESE_xNS9_4plusIvEExEEDaPvRmT3_T4_T5_mT6_P12ihipStream_tbENKUlT_T0_E_clISt17integral_constantIbLb1EESU_EEDaSP_SQ_EUlSP_E_NS1_11comp_targetILNS1_3genE3ELNS1_11target_archE908ELNS1_3gpuE7ELNS1_3repE0EEENS1_30default_config_static_selectorELNS0_4arch9wavefront6targetE1EEEvT1_: ; @_ZN7rocprim17ROCPRIM_400000_NS6detail17trampoline_kernelINS0_14default_configENS1_20scan_config_selectorIxEEZZNS1_9scan_implILNS1_25lookback_scan_determinismE0ELb1ELb1ES3_N6thrust23THRUST_200600_302600_NS6detail15normal_iteratorINS9_10device_ptrIxEEEESE_xNS9_4plusIvEExEEDaPvRmT3_T4_T5_mT6_P12ihipStream_tbENKUlT_T0_E_clISt17integral_constantIbLb1EESU_EEDaSP_SQ_EUlSP_E_NS1_11comp_targetILNS1_3genE3ELNS1_11target_archE908ELNS1_3gpuE7ELNS1_3repE0EEENS1_30default_config_static_selectorELNS0_4arch9wavefront6targetE1EEEvT1_
; %bb.0:
	.section	.rodata,"a",@progbits
	.p2align	6, 0x0
	.amdhsa_kernel _ZN7rocprim17ROCPRIM_400000_NS6detail17trampoline_kernelINS0_14default_configENS1_20scan_config_selectorIxEEZZNS1_9scan_implILNS1_25lookback_scan_determinismE0ELb1ELb1ES3_N6thrust23THRUST_200600_302600_NS6detail15normal_iteratorINS9_10device_ptrIxEEEESE_xNS9_4plusIvEExEEDaPvRmT3_T4_T5_mT6_P12ihipStream_tbENKUlT_T0_E_clISt17integral_constantIbLb1EESU_EEDaSP_SQ_EUlSP_E_NS1_11comp_targetILNS1_3genE3ELNS1_11target_archE908ELNS1_3gpuE7ELNS1_3repE0EEENS1_30default_config_static_selectorELNS0_4arch9wavefront6targetE1EEEvT1_
		.amdhsa_group_segment_fixed_size 0
		.amdhsa_private_segment_fixed_size 0
		.amdhsa_kernarg_size 104
		.amdhsa_user_sgpr_count 6
		.amdhsa_user_sgpr_private_segment_buffer 1
		.amdhsa_user_sgpr_dispatch_ptr 0
		.amdhsa_user_sgpr_queue_ptr 0
		.amdhsa_user_sgpr_kernarg_segment_ptr 1
		.amdhsa_user_sgpr_dispatch_id 0
		.amdhsa_user_sgpr_flat_scratch_init 0
		.amdhsa_user_sgpr_kernarg_preload_length 0
		.amdhsa_user_sgpr_kernarg_preload_offset 0
		.amdhsa_user_sgpr_private_segment_size 0
		.amdhsa_uses_dynamic_stack 0
		.amdhsa_system_sgpr_private_segment_wavefront_offset 0
		.amdhsa_system_sgpr_workgroup_id_x 1
		.amdhsa_system_sgpr_workgroup_id_y 0
		.amdhsa_system_sgpr_workgroup_id_z 0
		.amdhsa_system_sgpr_workgroup_info 0
		.amdhsa_system_vgpr_workitem_id 0
		.amdhsa_next_free_vgpr 1
		.amdhsa_next_free_sgpr 0
		.amdhsa_accum_offset 4
		.amdhsa_reserve_vcc 0
		.amdhsa_reserve_flat_scratch 0
		.amdhsa_float_round_mode_32 0
		.amdhsa_float_round_mode_16_64 0
		.amdhsa_float_denorm_mode_32 3
		.amdhsa_float_denorm_mode_16_64 3
		.amdhsa_dx10_clamp 1
		.amdhsa_ieee_mode 1
		.amdhsa_fp16_overflow 0
		.amdhsa_tg_split 0
		.amdhsa_exception_fp_ieee_invalid_op 0
		.amdhsa_exception_fp_denorm_src 0
		.amdhsa_exception_fp_ieee_div_zero 0
		.amdhsa_exception_fp_ieee_overflow 0
		.amdhsa_exception_fp_ieee_underflow 0
		.amdhsa_exception_fp_ieee_inexact 0
		.amdhsa_exception_int_div_zero 0
	.end_amdhsa_kernel
	.section	.text._ZN7rocprim17ROCPRIM_400000_NS6detail17trampoline_kernelINS0_14default_configENS1_20scan_config_selectorIxEEZZNS1_9scan_implILNS1_25lookback_scan_determinismE0ELb1ELb1ES3_N6thrust23THRUST_200600_302600_NS6detail15normal_iteratorINS9_10device_ptrIxEEEESE_xNS9_4plusIvEExEEDaPvRmT3_T4_T5_mT6_P12ihipStream_tbENKUlT_T0_E_clISt17integral_constantIbLb1EESU_EEDaSP_SQ_EUlSP_E_NS1_11comp_targetILNS1_3genE3ELNS1_11target_archE908ELNS1_3gpuE7ELNS1_3repE0EEENS1_30default_config_static_selectorELNS0_4arch9wavefront6targetE1EEEvT1_,"axG",@progbits,_ZN7rocprim17ROCPRIM_400000_NS6detail17trampoline_kernelINS0_14default_configENS1_20scan_config_selectorIxEEZZNS1_9scan_implILNS1_25lookback_scan_determinismE0ELb1ELb1ES3_N6thrust23THRUST_200600_302600_NS6detail15normal_iteratorINS9_10device_ptrIxEEEESE_xNS9_4plusIvEExEEDaPvRmT3_T4_T5_mT6_P12ihipStream_tbENKUlT_T0_E_clISt17integral_constantIbLb1EESU_EEDaSP_SQ_EUlSP_E_NS1_11comp_targetILNS1_3genE3ELNS1_11target_archE908ELNS1_3gpuE7ELNS1_3repE0EEENS1_30default_config_static_selectorELNS0_4arch9wavefront6targetE1EEEvT1_,comdat
.Lfunc_end147:
	.size	_ZN7rocprim17ROCPRIM_400000_NS6detail17trampoline_kernelINS0_14default_configENS1_20scan_config_selectorIxEEZZNS1_9scan_implILNS1_25lookback_scan_determinismE0ELb1ELb1ES3_N6thrust23THRUST_200600_302600_NS6detail15normal_iteratorINS9_10device_ptrIxEEEESE_xNS9_4plusIvEExEEDaPvRmT3_T4_T5_mT6_P12ihipStream_tbENKUlT_T0_E_clISt17integral_constantIbLb1EESU_EEDaSP_SQ_EUlSP_E_NS1_11comp_targetILNS1_3genE3ELNS1_11target_archE908ELNS1_3gpuE7ELNS1_3repE0EEENS1_30default_config_static_selectorELNS0_4arch9wavefront6targetE1EEEvT1_, .Lfunc_end147-_ZN7rocprim17ROCPRIM_400000_NS6detail17trampoline_kernelINS0_14default_configENS1_20scan_config_selectorIxEEZZNS1_9scan_implILNS1_25lookback_scan_determinismE0ELb1ELb1ES3_N6thrust23THRUST_200600_302600_NS6detail15normal_iteratorINS9_10device_ptrIxEEEESE_xNS9_4plusIvEExEEDaPvRmT3_T4_T5_mT6_P12ihipStream_tbENKUlT_T0_E_clISt17integral_constantIbLb1EESU_EEDaSP_SQ_EUlSP_E_NS1_11comp_targetILNS1_3genE3ELNS1_11target_archE908ELNS1_3gpuE7ELNS1_3repE0EEENS1_30default_config_static_selectorELNS0_4arch9wavefront6targetE1EEEvT1_
                                        ; -- End function
	.section	.AMDGPU.csdata,"",@progbits
; Kernel info:
; codeLenInByte = 0
; NumSgprs: 4
; NumVgprs: 0
; NumAgprs: 0
; TotalNumVgprs: 0
; ScratchSize: 0
; MemoryBound: 0
; FloatMode: 240
; IeeeMode: 1
; LDSByteSize: 0 bytes/workgroup (compile time only)
; SGPRBlocks: 0
; VGPRBlocks: 0
; NumSGPRsForWavesPerEU: 4
; NumVGPRsForWavesPerEU: 1
; AccumOffset: 4
; Occupancy: 8
; WaveLimiterHint : 0
; COMPUTE_PGM_RSRC2:SCRATCH_EN: 0
; COMPUTE_PGM_RSRC2:USER_SGPR: 6
; COMPUTE_PGM_RSRC2:TRAP_HANDLER: 0
; COMPUTE_PGM_RSRC2:TGID_X_EN: 1
; COMPUTE_PGM_RSRC2:TGID_Y_EN: 0
; COMPUTE_PGM_RSRC2:TGID_Z_EN: 0
; COMPUTE_PGM_RSRC2:TIDIG_COMP_CNT: 0
; COMPUTE_PGM_RSRC3_GFX90A:ACCUM_OFFSET: 0
; COMPUTE_PGM_RSRC3_GFX90A:TG_SPLIT: 0
	.section	.text._ZN7rocprim17ROCPRIM_400000_NS6detail17trampoline_kernelINS0_14default_configENS1_20scan_config_selectorIxEEZZNS1_9scan_implILNS1_25lookback_scan_determinismE0ELb1ELb1ES3_N6thrust23THRUST_200600_302600_NS6detail15normal_iteratorINS9_10device_ptrIxEEEESE_xNS9_4plusIvEExEEDaPvRmT3_T4_T5_mT6_P12ihipStream_tbENKUlT_T0_E_clISt17integral_constantIbLb1EESU_EEDaSP_SQ_EUlSP_E_NS1_11comp_targetILNS1_3genE2ELNS1_11target_archE906ELNS1_3gpuE6ELNS1_3repE0EEENS1_30default_config_static_selectorELNS0_4arch9wavefront6targetE1EEEvT1_,"axG",@progbits,_ZN7rocprim17ROCPRIM_400000_NS6detail17trampoline_kernelINS0_14default_configENS1_20scan_config_selectorIxEEZZNS1_9scan_implILNS1_25lookback_scan_determinismE0ELb1ELb1ES3_N6thrust23THRUST_200600_302600_NS6detail15normal_iteratorINS9_10device_ptrIxEEEESE_xNS9_4plusIvEExEEDaPvRmT3_T4_T5_mT6_P12ihipStream_tbENKUlT_T0_E_clISt17integral_constantIbLb1EESU_EEDaSP_SQ_EUlSP_E_NS1_11comp_targetILNS1_3genE2ELNS1_11target_archE906ELNS1_3gpuE6ELNS1_3repE0EEENS1_30default_config_static_selectorELNS0_4arch9wavefront6targetE1EEEvT1_,comdat
	.protected	_ZN7rocprim17ROCPRIM_400000_NS6detail17trampoline_kernelINS0_14default_configENS1_20scan_config_selectorIxEEZZNS1_9scan_implILNS1_25lookback_scan_determinismE0ELb1ELb1ES3_N6thrust23THRUST_200600_302600_NS6detail15normal_iteratorINS9_10device_ptrIxEEEESE_xNS9_4plusIvEExEEDaPvRmT3_T4_T5_mT6_P12ihipStream_tbENKUlT_T0_E_clISt17integral_constantIbLb1EESU_EEDaSP_SQ_EUlSP_E_NS1_11comp_targetILNS1_3genE2ELNS1_11target_archE906ELNS1_3gpuE6ELNS1_3repE0EEENS1_30default_config_static_selectorELNS0_4arch9wavefront6targetE1EEEvT1_ ; -- Begin function _ZN7rocprim17ROCPRIM_400000_NS6detail17trampoline_kernelINS0_14default_configENS1_20scan_config_selectorIxEEZZNS1_9scan_implILNS1_25lookback_scan_determinismE0ELb1ELb1ES3_N6thrust23THRUST_200600_302600_NS6detail15normal_iteratorINS9_10device_ptrIxEEEESE_xNS9_4plusIvEExEEDaPvRmT3_T4_T5_mT6_P12ihipStream_tbENKUlT_T0_E_clISt17integral_constantIbLb1EESU_EEDaSP_SQ_EUlSP_E_NS1_11comp_targetILNS1_3genE2ELNS1_11target_archE906ELNS1_3gpuE6ELNS1_3repE0EEENS1_30default_config_static_selectorELNS0_4arch9wavefront6targetE1EEEvT1_
	.globl	_ZN7rocprim17ROCPRIM_400000_NS6detail17trampoline_kernelINS0_14default_configENS1_20scan_config_selectorIxEEZZNS1_9scan_implILNS1_25lookback_scan_determinismE0ELb1ELb1ES3_N6thrust23THRUST_200600_302600_NS6detail15normal_iteratorINS9_10device_ptrIxEEEESE_xNS9_4plusIvEExEEDaPvRmT3_T4_T5_mT6_P12ihipStream_tbENKUlT_T0_E_clISt17integral_constantIbLb1EESU_EEDaSP_SQ_EUlSP_E_NS1_11comp_targetILNS1_3genE2ELNS1_11target_archE906ELNS1_3gpuE6ELNS1_3repE0EEENS1_30default_config_static_selectorELNS0_4arch9wavefront6targetE1EEEvT1_
	.p2align	8
	.type	_ZN7rocprim17ROCPRIM_400000_NS6detail17trampoline_kernelINS0_14default_configENS1_20scan_config_selectorIxEEZZNS1_9scan_implILNS1_25lookback_scan_determinismE0ELb1ELb1ES3_N6thrust23THRUST_200600_302600_NS6detail15normal_iteratorINS9_10device_ptrIxEEEESE_xNS9_4plusIvEExEEDaPvRmT3_T4_T5_mT6_P12ihipStream_tbENKUlT_T0_E_clISt17integral_constantIbLb1EESU_EEDaSP_SQ_EUlSP_E_NS1_11comp_targetILNS1_3genE2ELNS1_11target_archE906ELNS1_3gpuE6ELNS1_3repE0EEENS1_30default_config_static_selectorELNS0_4arch9wavefront6targetE1EEEvT1_,@function
_ZN7rocprim17ROCPRIM_400000_NS6detail17trampoline_kernelINS0_14default_configENS1_20scan_config_selectorIxEEZZNS1_9scan_implILNS1_25lookback_scan_determinismE0ELb1ELb1ES3_N6thrust23THRUST_200600_302600_NS6detail15normal_iteratorINS9_10device_ptrIxEEEESE_xNS9_4plusIvEExEEDaPvRmT3_T4_T5_mT6_P12ihipStream_tbENKUlT_T0_E_clISt17integral_constantIbLb1EESU_EEDaSP_SQ_EUlSP_E_NS1_11comp_targetILNS1_3genE2ELNS1_11target_archE906ELNS1_3gpuE6ELNS1_3repE0EEENS1_30default_config_static_selectorELNS0_4arch9wavefront6targetE1EEEvT1_: ; @_ZN7rocprim17ROCPRIM_400000_NS6detail17trampoline_kernelINS0_14default_configENS1_20scan_config_selectorIxEEZZNS1_9scan_implILNS1_25lookback_scan_determinismE0ELb1ELb1ES3_N6thrust23THRUST_200600_302600_NS6detail15normal_iteratorINS9_10device_ptrIxEEEESE_xNS9_4plusIvEExEEDaPvRmT3_T4_T5_mT6_P12ihipStream_tbENKUlT_T0_E_clISt17integral_constantIbLb1EESU_EEDaSP_SQ_EUlSP_E_NS1_11comp_targetILNS1_3genE2ELNS1_11target_archE906ELNS1_3gpuE6ELNS1_3repE0EEENS1_30default_config_static_selectorELNS0_4arch9wavefront6targetE1EEEvT1_
; %bb.0:
	.section	.rodata,"a",@progbits
	.p2align	6, 0x0
	.amdhsa_kernel _ZN7rocprim17ROCPRIM_400000_NS6detail17trampoline_kernelINS0_14default_configENS1_20scan_config_selectorIxEEZZNS1_9scan_implILNS1_25lookback_scan_determinismE0ELb1ELb1ES3_N6thrust23THRUST_200600_302600_NS6detail15normal_iteratorINS9_10device_ptrIxEEEESE_xNS9_4plusIvEExEEDaPvRmT3_T4_T5_mT6_P12ihipStream_tbENKUlT_T0_E_clISt17integral_constantIbLb1EESU_EEDaSP_SQ_EUlSP_E_NS1_11comp_targetILNS1_3genE2ELNS1_11target_archE906ELNS1_3gpuE6ELNS1_3repE0EEENS1_30default_config_static_selectorELNS0_4arch9wavefront6targetE1EEEvT1_
		.amdhsa_group_segment_fixed_size 0
		.amdhsa_private_segment_fixed_size 0
		.amdhsa_kernarg_size 104
		.amdhsa_user_sgpr_count 6
		.amdhsa_user_sgpr_private_segment_buffer 1
		.amdhsa_user_sgpr_dispatch_ptr 0
		.amdhsa_user_sgpr_queue_ptr 0
		.amdhsa_user_sgpr_kernarg_segment_ptr 1
		.amdhsa_user_sgpr_dispatch_id 0
		.amdhsa_user_sgpr_flat_scratch_init 0
		.amdhsa_user_sgpr_kernarg_preload_length 0
		.amdhsa_user_sgpr_kernarg_preload_offset 0
		.amdhsa_user_sgpr_private_segment_size 0
		.amdhsa_uses_dynamic_stack 0
		.amdhsa_system_sgpr_private_segment_wavefront_offset 0
		.amdhsa_system_sgpr_workgroup_id_x 1
		.amdhsa_system_sgpr_workgroup_id_y 0
		.amdhsa_system_sgpr_workgroup_id_z 0
		.amdhsa_system_sgpr_workgroup_info 0
		.amdhsa_system_vgpr_workitem_id 0
		.amdhsa_next_free_vgpr 1
		.amdhsa_next_free_sgpr 0
		.amdhsa_accum_offset 4
		.amdhsa_reserve_vcc 0
		.amdhsa_reserve_flat_scratch 0
		.amdhsa_float_round_mode_32 0
		.amdhsa_float_round_mode_16_64 0
		.amdhsa_float_denorm_mode_32 3
		.amdhsa_float_denorm_mode_16_64 3
		.amdhsa_dx10_clamp 1
		.amdhsa_ieee_mode 1
		.amdhsa_fp16_overflow 0
		.amdhsa_tg_split 0
		.amdhsa_exception_fp_ieee_invalid_op 0
		.amdhsa_exception_fp_denorm_src 0
		.amdhsa_exception_fp_ieee_div_zero 0
		.amdhsa_exception_fp_ieee_overflow 0
		.amdhsa_exception_fp_ieee_underflow 0
		.amdhsa_exception_fp_ieee_inexact 0
		.amdhsa_exception_int_div_zero 0
	.end_amdhsa_kernel
	.section	.text._ZN7rocprim17ROCPRIM_400000_NS6detail17trampoline_kernelINS0_14default_configENS1_20scan_config_selectorIxEEZZNS1_9scan_implILNS1_25lookback_scan_determinismE0ELb1ELb1ES3_N6thrust23THRUST_200600_302600_NS6detail15normal_iteratorINS9_10device_ptrIxEEEESE_xNS9_4plusIvEExEEDaPvRmT3_T4_T5_mT6_P12ihipStream_tbENKUlT_T0_E_clISt17integral_constantIbLb1EESU_EEDaSP_SQ_EUlSP_E_NS1_11comp_targetILNS1_3genE2ELNS1_11target_archE906ELNS1_3gpuE6ELNS1_3repE0EEENS1_30default_config_static_selectorELNS0_4arch9wavefront6targetE1EEEvT1_,"axG",@progbits,_ZN7rocprim17ROCPRIM_400000_NS6detail17trampoline_kernelINS0_14default_configENS1_20scan_config_selectorIxEEZZNS1_9scan_implILNS1_25lookback_scan_determinismE0ELb1ELb1ES3_N6thrust23THRUST_200600_302600_NS6detail15normal_iteratorINS9_10device_ptrIxEEEESE_xNS9_4plusIvEExEEDaPvRmT3_T4_T5_mT6_P12ihipStream_tbENKUlT_T0_E_clISt17integral_constantIbLb1EESU_EEDaSP_SQ_EUlSP_E_NS1_11comp_targetILNS1_3genE2ELNS1_11target_archE906ELNS1_3gpuE6ELNS1_3repE0EEENS1_30default_config_static_selectorELNS0_4arch9wavefront6targetE1EEEvT1_,comdat
.Lfunc_end148:
	.size	_ZN7rocprim17ROCPRIM_400000_NS6detail17trampoline_kernelINS0_14default_configENS1_20scan_config_selectorIxEEZZNS1_9scan_implILNS1_25lookback_scan_determinismE0ELb1ELb1ES3_N6thrust23THRUST_200600_302600_NS6detail15normal_iteratorINS9_10device_ptrIxEEEESE_xNS9_4plusIvEExEEDaPvRmT3_T4_T5_mT6_P12ihipStream_tbENKUlT_T0_E_clISt17integral_constantIbLb1EESU_EEDaSP_SQ_EUlSP_E_NS1_11comp_targetILNS1_3genE2ELNS1_11target_archE906ELNS1_3gpuE6ELNS1_3repE0EEENS1_30default_config_static_selectorELNS0_4arch9wavefront6targetE1EEEvT1_, .Lfunc_end148-_ZN7rocprim17ROCPRIM_400000_NS6detail17trampoline_kernelINS0_14default_configENS1_20scan_config_selectorIxEEZZNS1_9scan_implILNS1_25lookback_scan_determinismE0ELb1ELb1ES3_N6thrust23THRUST_200600_302600_NS6detail15normal_iteratorINS9_10device_ptrIxEEEESE_xNS9_4plusIvEExEEDaPvRmT3_T4_T5_mT6_P12ihipStream_tbENKUlT_T0_E_clISt17integral_constantIbLb1EESU_EEDaSP_SQ_EUlSP_E_NS1_11comp_targetILNS1_3genE2ELNS1_11target_archE906ELNS1_3gpuE6ELNS1_3repE0EEENS1_30default_config_static_selectorELNS0_4arch9wavefront6targetE1EEEvT1_
                                        ; -- End function
	.section	.AMDGPU.csdata,"",@progbits
; Kernel info:
; codeLenInByte = 0
; NumSgprs: 4
; NumVgprs: 0
; NumAgprs: 0
; TotalNumVgprs: 0
; ScratchSize: 0
; MemoryBound: 0
; FloatMode: 240
; IeeeMode: 1
; LDSByteSize: 0 bytes/workgroup (compile time only)
; SGPRBlocks: 0
; VGPRBlocks: 0
; NumSGPRsForWavesPerEU: 4
; NumVGPRsForWavesPerEU: 1
; AccumOffset: 4
; Occupancy: 8
; WaveLimiterHint : 0
; COMPUTE_PGM_RSRC2:SCRATCH_EN: 0
; COMPUTE_PGM_RSRC2:USER_SGPR: 6
; COMPUTE_PGM_RSRC2:TRAP_HANDLER: 0
; COMPUTE_PGM_RSRC2:TGID_X_EN: 1
; COMPUTE_PGM_RSRC2:TGID_Y_EN: 0
; COMPUTE_PGM_RSRC2:TGID_Z_EN: 0
; COMPUTE_PGM_RSRC2:TIDIG_COMP_CNT: 0
; COMPUTE_PGM_RSRC3_GFX90A:ACCUM_OFFSET: 0
; COMPUTE_PGM_RSRC3_GFX90A:TG_SPLIT: 0
	.section	.text._ZN7rocprim17ROCPRIM_400000_NS6detail17trampoline_kernelINS0_14default_configENS1_20scan_config_selectorIxEEZZNS1_9scan_implILNS1_25lookback_scan_determinismE0ELb1ELb1ES3_N6thrust23THRUST_200600_302600_NS6detail15normal_iteratorINS9_10device_ptrIxEEEESE_xNS9_4plusIvEExEEDaPvRmT3_T4_T5_mT6_P12ihipStream_tbENKUlT_T0_E_clISt17integral_constantIbLb1EESU_EEDaSP_SQ_EUlSP_E_NS1_11comp_targetILNS1_3genE10ELNS1_11target_archE1201ELNS1_3gpuE5ELNS1_3repE0EEENS1_30default_config_static_selectorELNS0_4arch9wavefront6targetE1EEEvT1_,"axG",@progbits,_ZN7rocprim17ROCPRIM_400000_NS6detail17trampoline_kernelINS0_14default_configENS1_20scan_config_selectorIxEEZZNS1_9scan_implILNS1_25lookback_scan_determinismE0ELb1ELb1ES3_N6thrust23THRUST_200600_302600_NS6detail15normal_iteratorINS9_10device_ptrIxEEEESE_xNS9_4plusIvEExEEDaPvRmT3_T4_T5_mT6_P12ihipStream_tbENKUlT_T0_E_clISt17integral_constantIbLb1EESU_EEDaSP_SQ_EUlSP_E_NS1_11comp_targetILNS1_3genE10ELNS1_11target_archE1201ELNS1_3gpuE5ELNS1_3repE0EEENS1_30default_config_static_selectorELNS0_4arch9wavefront6targetE1EEEvT1_,comdat
	.protected	_ZN7rocprim17ROCPRIM_400000_NS6detail17trampoline_kernelINS0_14default_configENS1_20scan_config_selectorIxEEZZNS1_9scan_implILNS1_25lookback_scan_determinismE0ELb1ELb1ES3_N6thrust23THRUST_200600_302600_NS6detail15normal_iteratorINS9_10device_ptrIxEEEESE_xNS9_4plusIvEExEEDaPvRmT3_T4_T5_mT6_P12ihipStream_tbENKUlT_T0_E_clISt17integral_constantIbLb1EESU_EEDaSP_SQ_EUlSP_E_NS1_11comp_targetILNS1_3genE10ELNS1_11target_archE1201ELNS1_3gpuE5ELNS1_3repE0EEENS1_30default_config_static_selectorELNS0_4arch9wavefront6targetE1EEEvT1_ ; -- Begin function _ZN7rocprim17ROCPRIM_400000_NS6detail17trampoline_kernelINS0_14default_configENS1_20scan_config_selectorIxEEZZNS1_9scan_implILNS1_25lookback_scan_determinismE0ELb1ELb1ES3_N6thrust23THRUST_200600_302600_NS6detail15normal_iteratorINS9_10device_ptrIxEEEESE_xNS9_4plusIvEExEEDaPvRmT3_T4_T5_mT6_P12ihipStream_tbENKUlT_T0_E_clISt17integral_constantIbLb1EESU_EEDaSP_SQ_EUlSP_E_NS1_11comp_targetILNS1_3genE10ELNS1_11target_archE1201ELNS1_3gpuE5ELNS1_3repE0EEENS1_30default_config_static_selectorELNS0_4arch9wavefront6targetE1EEEvT1_
	.globl	_ZN7rocprim17ROCPRIM_400000_NS6detail17trampoline_kernelINS0_14default_configENS1_20scan_config_selectorIxEEZZNS1_9scan_implILNS1_25lookback_scan_determinismE0ELb1ELb1ES3_N6thrust23THRUST_200600_302600_NS6detail15normal_iteratorINS9_10device_ptrIxEEEESE_xNS9_4plusIvEExEEDaPvRmT3_T4_T5_mT6_P12ihipStream_tbENKUlT_T0_E_clISt17integral_constantIbLb1EESU_EEDaSP_SQ_EUlSP_E_NS1_11comp_targetILNS1_3genE10ELNS1_11target_archE1201ELNS1_3gpuE5ELNS1_3repE0EEENS1_30default_config_static_selectorELNS0_4arch9wavefront6targetE1EEEvT1_
	.p2align	8
	.type	_ZN7rocprim17ROCPRIM_400000_NS6detail17trampoline_kernelINS0_14default_configENS1_20scan_config_selectorIxEEZZNS1_9scan_implILNS1_25lookback_scan_determinismE0ELb1ELb1ES3_N6thrust23THRUST_200600_302600_NS6detail15normal_iteratorINS9_10device_ptrIxEEEESE_xNS9_4plusIvEExEEDaPvRmT3_T4_T5_mT6_P12ihipStream_tbENKUlT_T0_E_clISt17integral_constantIbLb1EESU_EEDaSP_SQ_EUlSP_E_NS1_11comp_targetILNS1_3genE10ELNS1_11target_archE1201ELNS1_3gpuE5ELNS1_3repE0EEENS1_30default_config_static_selectorELNS0_4arch9wavefront6targetE1EEEvT1_,@function
_ZN7rocprim17ROCPRIM_400000_NS6detail17trampoline_kernelINS0_14default_configENS1_20scan_config_selectorIxEEZZNS1_9scan_implILNS1_25lookback_scan_determinismE0ELb1ELb1ES3_N6thrust23THRUST_200600_302600_NS6detail15normal_iteratorINS9_10device_ptrIxEEEESE_xNS9_4plusIvEExEEDaPvRmT3_T4_T5_mT6_P12ihipStream_tbENKUlT_T0_E_clISt17integral_constantIbLb1EESU_EEDaSP_SQ_EUlSP_E_NS1_11comp_targetILNS1_3genE10ELNS1_11target_archE1201ELNS1_3gpuE5ELNS1_3repE0EEENS1_30default_config_static_selectorELNS0_4arch9wavefront6targetE1EEEvT1_: ; @_ZN7rocprim17ROCPRIM_400000_NS6detail17trampoline_kernelINS0_14default_configENS1_20scan_config_selectorIxEEZZNS1_9scan_implILNS1_25lookback_scan_determinismE0ELb1ELb1ES3_N6thrust23THRUST_200600_302600_NS6detail15normal_iteratorINS9_10device_ptrIxEEEESE_xNS9_4plusIvEExEEDaPvRmT3_T4_T5_mT6_P12ihipStream_tbENKUlT_T0_E_clISt17integral_constantIbLb1EESU_EEDaSP_SQ_EUlSP_E_NS1_11comp_targetILNS1_3genE10ELNS1_11target_archE1201ELNS1_3gpuE5ELNS1_3repE0EEENS1_30default_config_static_selectorELNS0_4arch9wavefront6targetE1EEEvT1_
; %bb.0:
	.section	.rodata,"a",@progbits
	.p2align	6, 0x0
	.amdhsa_kernel _ZN7rocprim17ROCPRIM_400000_NS6detail17trampoline_kernelINS0_14default_configENS1_20scan_config_selectorIxEEZZNS1_9scan_implILNS1_25lookback_scan_determinismE0ELb1ELb1ES3_N6thrust23THRUST_200600_302600_NS6detail15normal_iteratorINS9_10device_ptrIxEEEESE_xNS9_4plusIvEExEEDaPvRmT3_T4_T5_mT6_P12ihipStream_tbENKUlT_T0_E_clISt17integral_constantIbLb1EESU_EEDaSP_SQ_EUlSP_E_NS1_11comp_targetILNS1_3genE10ELNS1_11target_archE1201ELNS1_3gpuE5ELNS1_3repE0EEENS1_30default_config_static_selectorELNS0_4arch9wavefront6targetE1EEEvT1_
		.amdhsa_group_segment_fixed_size 0
		.amdhsa_private_segment_fixed_size 0
		.amdhsa_kernarg_size 104
		.amdhsa_user_sgpr_count 6
		.amdhsa_user_sgpr_private_segment_buffer 1
		.amdhsa_user_sgpr_dispatch_ptr 0
		.amdhsa_user_sgpr_queue_ptr 0
		.amdhsa_user_sgpr_kernarg_segment_ptr 1
		.amdhsa_user_sgpr_dispatch_id 0
		.amdhsa_user_sgpr_flat_scratch_init 0
		.amdhsa_user_sgpr_kernarg_preload_length 0
		.amdhsa_user_sgpr_kernarg_preload_offset 0
		.amdhsa_user_sgpr_private_segment_size 0
		.amdhsa_uses_dynamic_stack 0
		.amdhsa_system_sgpr_private_segment_wavefront_offset 0
		.amdhsa_system_sgpr_workgroup_id_x 1
		.amdhsa_system_sgpr_workgroup_id_y 0
		.amdhsa_system_sgpr_workgroup_id_z 0
		.amdhsa_system_sgpr_workgroup_info 0
		.amdhsa_system_vgpr_workitem_id 0
		.amdhsa_next_free_vgpr 1
		.amdhsa_next_free_sgpr 0
		.amdhsa_accum_offset 4
		.amdhsa_reserve_vcc 0
		.amdhsa_reserve_flat_scratch 0
		.amdhsa_float_round_mode_32 0
		.amdhsa_float_round_mode_16_64 0
		.amdhsa_float_denorm_mode_32 3
		.amdhsa_float_denorm_mode_16_64 3
		.amdhsa_dx10_clamp 1
		.amdhsa_ieee_mode 1
		.amdhsa_fp16_overflow 0
		.amdhsa_tg_split 0
		.amdhsa_exception_fp_ieee_invalid_op 0
		.amdhsa_exception_fp_denorm_src 0
		.amdhsa_exception_fp_ieee_div_zero 0
		.amdhsa_exception_fp_ieee_overflow 0
		.amdhsa_exception_fp_ieee_underflow 0
		.amdhsa_exception_fp_ieee_inexact 0
		.amdhsa_exception_int_div_zero 0
	.end_amdhsa_kernel
	.section	.text._ZN7rocprim17ROCPRIM_400000_NS6detail17trampoline_kernelINS0_14default_configENS1_20scan_config_selectorIxEEZZNS1_9scan_implILNS1_25lookback_scan_determinismE0ELb1ELb1ES3_N6thrust23THRUST_200600_302600_NS6detail15normal_iteratorINS9_10device_ptrIxEEEESE_xNS9_4plusIvEExEEDaPvRmT3_T4_T5_mT6_P12ihipStream_tbENKUlT_T0_E_clISt17integral_constantIbLb1EESU_EEDaSP_SQ_EUlSP_E_NS1_11comp_targetILNS1_3genE10ELNS1_11target_archE1201ELNS1_3gpuE5ELNS1_3repE0EEENS1_30default_config_static_selectorELNS0_4arch9wavefront6targetE1EEEvT1_,"axG",@progbits,_ZN7rocprim17ROCPRIM_400000_NS6detail17trampoline_kernelINS0_14default_configENS1_20scan_config_selectorIxEEZZNS1_9scan_implILNS1_25lookback_scan_determinismE0ELb1ELb1ES3_N6thrust23THRUST_200600_302600_NS6detail15normal_iteratorINS9_10device_ptrIxEEEESE_xNS9_4plusIvEExEEDaPvRmT3_T4_T5_mT6_P12ihipStream_tbENKUlT_T0_E_clISt17integral_constantIbLb1EESU_EEDaSP_SQ_EUlSP_E_NS1_11comp_targetILNS1_3genE10ELNS1_11target_archE1201ELNS1_3gpuE5ELNS1_3repE0EEENS1_30default_config_static_selectorELNS0_4arch9wavefront6targetE1EEEvT1_,comdat
.Lfunc_end149:
	.size	_ZN7rocprim17ROCPRIM_400000_NS6detail17trampoline_kernelINS0_14default_configENS1_20scan_config_selectorIxEEZZNS1_9scan_implILNS1_25lookback_scan_determinismE0ELb1ELb1ES3_N6thrust23THRUST_200600_302600_NS6detail15normal_iteratorINS9_10device_ptrIxEEEESE_xNS9_4plusIvEExEEDaPvRmT3_T4_T5_mT6_P12ihipStream_tbENKUlT_T0_E_clISt17integral_constantIbLb1EESU_EEDaSP_SQ_EUlSP_E_NS1_11comp_targetILNS1_3genE10ELNS1_11target_archE1201ELNS1_3gpuE5ELNS1_3repE0EEENS1_30default_config_static_selectorELNS0_4arch9wavefront6targetE1EEEvT1_, .Lfunc_end149-_ZN7rocprim17ROCPRIM_400000_NS6detail17trampoline_kernelINS0_14default_configENS1_20scan_config_selectorIxEEZZNS1_9scan_implILNS1_25lookback_scan_determinismE0ELb1ELb1ES3_N6thrust23THRUST_200600_302600_NS6detail15normal_iteratorINS9_10device_ptrIxEEEESE_xNS9_4plusIvEExEEDaPvRmT3_T4_T5_mT6_P12ihipStream_tbENKUlT_T0_E_clISt17integral_constantIbLb1EESU_EEDaSP_SQ_EUlSP_E_NS1_11comp_targetILNS1_3genE10ELNS1_11target_archE1201ELNS1_3gpuE5ELNS1_3repE0EEENS1_30default_config_static_selectorELNS0_4arch9wavefront6targetE1EEEvT1_
                                        ; -- End function
	.section	.AMDGPU.csdata,"",@progbits
; Kernel info:
; codeLenInByte = 0
; NumSgprs: 4
; NumVgprs: 0
; NumAgprs: 0
; TotalNumVgprs: 0
; ScratchSize: 0
; MemoryBound: 0
; FloatMode: 240
; IeeeMode: 1
; LDSByteSize: 0 bytes/workgroup (compile time only)
; SGPRBlocks: 0
; VGPRBlocks: 0
; NumSGPRsForWavesPerEU: 4
; NumVGPRsForWavesPerEU: 1
; AccumOffset: 4
; Occupancy: 8
; WaveLimiterHint : 0
; COMPUTE_PGM_RSRC2:SCRATCH_EN: 0
; COMPUTE_PGM_RSRC2:USER_SGPR: 6
; COMPUTE_PGM_RSRC2:TRAP_HANDLER: 0
; COMPUTE_PGM_RSRC2:TGID_X_EN: 1
; COMPUTE_PGM_RSRC2:TGID_Y_EN: 0
; COMPUTE_PGM_RSRC2:TGID_Z_EN: 0
; COMPUTE_PGM_RSRC2:TIDIG_COMP_CNT: 0
; COMPUTE_PGM_RSRC3_GFX90A:ACCUM_OFFSET: 0
; COMPUTE_PGM_RSRC3_GFX90A:TG_SPLIT: 0
	.section	.text._ZN7rocprim17ROCPRIM_400000_NS6detail17trampoline_kernelINS0_14default_configENS1_20scan_config_selectorIxEEZZNS1_9scan_implILNS1_25lookback_scan_determinismE0ELb1ELb1ES3_N6thrust23THRUST_200600_302600_NS6detail15normal_iteratorINS9_10device_ptrIxEEEESE_xNS9_4plusIvEExEEDaPvRmT3_T4_T5_mT6_P12ihipStream_tbENKUlT_T0_E_clISt17integral_constantIbLb1EESU_EEDaSP_SQ_EUlSP_E_NS1_11comp_targetILNS1_3genE10ELNS1_11target_archE1200ELNS1_3gpuE4ELNS1_3repE0EEENS1_30default_config_static_selectorELNS0_4arch9wavefront6targetE1EEEvT1_,"axG",@progbits,_ZN7rocprim17ROCPRIM_400000_NS6detail17trampoline_kernelINS0_14default_configENS1_20scan_config_selectorIxEEZZNS1_9scan_implILNS1_25lookback_scan_determinismE0ELb1ELb1ES3_N6thrust23THRUST_200600_302600_NS6detail15normal_iteratorINS9_10device_ptrIxEEEESE_xNS9_4plusIvEExEEDaPvRmT3_T4_T5_mT6_P12ihipStream_tbENKUlT_T0_E_clISt17integral_constantIbLb1EESU_EEDaSP_SQ_EUlSP_E_NS1_11comp_targetILNS1_3genE10ELNS1_11target_archE1200ELNS1_3gpuE4ELNS1_3repE0EEENS1_30default_config_static_selectorELNS0_4arch9wavefront6targetE1EEEvT1_,comdat
	.protected	_ZN7rocprim17ROCPRIM_400000_NS6detail17trampoline_kernelINS0_14default_configENS1_20scan_config_selectorIxEEZZNS1_9scan_implILNS1_25lookback_scan_determinismE0ELb1ELb1ES3_N6thrust23THRUST_200600_302600_NS6detail15normal_iteratorINS9_10device_ptrIxEEEESE_xNS9_4plusIvEExEEDaPvRmT3_T4_T5_mT6_P12ihipStream_tbENKUlT_T0_E_clISt17integral_constantIbLb1EESU_EEDaSP_SQ_EUlSP_E_NS1_11comp_targetILNS1_3genE10ELNS1_11target_archE1200ELNS1_3gpuE4ELNS1_3repE0EEENS1_30default_config_static_selectorELNS0_4arch9wavefront6targetE1EEEvT1_ ; -- Begin function _ZN7rocprim17ROCPRIM_400000_NS6detail17trampoline_kernelINS0_14default_configENS1_20scan_config_selectorIxEEZZNS1_9scan_implILNS1_25lookback_scan_determinismE0ELb1ELb1ES3_N6thrust23THRUST_200600_302600_NS6detail15normal_iteratorINS9_10device_ptrIxEEEESE_xNS9_4plusIvEExEEDaPvRmT3_T4_T5_mT6_P12ihipStream_tbENKUlT_T0_E_clISt17integral_constantIbLb1EESU_EEDaSP_SQ_EUlSP_E_NS1_11comp_targetILNS1_3genE10ELNS1_11target_archE1200ELNS1_3gpuE4ELNS1_3repE0EEENS1_30default_config_static_selectorELNS0_4arch9wavefront6targetE1EEEvT1_
	.globl	_ZN7rocprim17ROCPRIM_400000_NS6detail17trampoline_kernelINS0_14default_configENS1_20scan_config_selectorIxEEZZNS1_9scan_implILNS1_25lookback_scan_determinismE0ELb1ELb1ES3_N6thrust23THRUST_200600_302600_NS6detail15normal_iteratorINS9_10device_ptrIxEEEESE_xNS9_4plusIvEExEEDaPvRmT3_T4_T5_mT6_P12ihipStream_tbENKUlT_T0_E_clISt17integral_constantIbLb1EESU_EEDaSP_SQ_EUlSP_E_NS1_11comp_targetILNS1_3genE10ELNS1_11target_archE1200ELNS1_3gpuE4ELNS1_3repE0EEENS1_30default_config_static_selectorELNS0_4arch9wavefront6targetE1EEEvT1_
	.p2align	8
	.type	_ZN7rocprim17ROCPRIM_400000_NS6detail17trampoline_kernelINS0_14default_configENS1_20scan_config_selectorIxEEZZNS1_9scan_implILNS1_25lookback_scan_determinismE0ELb1ELb1ES3_N6thrust23THRUST_200600_302600_NS6detail15normal_iteratorINS9_10device_ptrIxEEEESE_xNS9_4plusIvEExEEDaPvRmT3_T4_T5_mT6_P12ihipStream_tbENKUlT_T0_E_clISt17integral_constantIbLb1EESU_EEDaSP_SQ_EUlSP_E_NS1_11comp_targetILNS1_3genE10ELNS1_11target_archE1200ELNS1_3gpuE4ELNS1_3repE0EEENS1_30default_config_static_selectorELNS0_4arch9wavefront6targetE1EEEvT1_,@function
_ZN7rocprim17ROCPRIM_400000_NS6detail17trampoline_kernelINS0_14default_configENS1_20scan_config_selectorIxEEZZNS1_9scan_implILNS1_25lookback_scan_determinismE0ELb1ELb1ES3_N6thrust23THRUST_200600_302600_NS6detail15normal_iteratorINS9_10device_ptrIxEEEESE_xNS9_4plusIvEExEEDaPvRmT3_T4_T5_mT6_P12ihipStream_tbENKUlT_T0_E_clISt17integral_constantIbLb1EESU_EEDaSP_SQ_EUlSP_E_NS1_11comp_targetILNS1_3genE10ELNS1_11target_archE1200ELNS1_3gpuE4ELNS1_3repE0EEENS1_30default_config_static_selectorELNS0_4arch9wavefront6targetE1EEEvT1_: ; @_ZN7rocprim17ROCPRIM_400000_NS6detail17trampoline_kernelINS0_14default_configENS1_20scan_config_selectorIxEEZZNS1_9scan_implILNS1_25lookback_scan_determinismE0ELb1ELb1ES3_N6thrust23THRUST_200600_302600_NS6detail15normal_iteratorINS9_10device_ptrIxEEEESE_xNS9_4plusIvEExEEDaPvRmT3_T4_T5_mT6_P12ihipStream_tbENKUlT_T0_E_clISt17integral_constantIbLb1EESU_EEDaSP_SQ_EUlSP_E_NS1_11comp_targetILNS1_3genE10ELNS1_11target_archE1200ELNS1_3gpuE4ELNS1_3repE0EEENS1_30default_config_static_selectorELNS0_4arch9wavefront6targetE1EEEvT1_
; %bb.0:
	.section	.rodata,"a",@progbits
	.p2align	6, 0x0
	.amdhsa_kernel _ZN7rocprim17ROCPRIM_400000_NS6detail17trampoline_kernelINS0_14default_configENS1_20scan_config_selectorIxEEZZNS1_9scan_implILNS1_25lookback_scan_determinismE0ELb1ELb1ES3_N6thrust23THRUST_200600_302600_NS6detail15normal_iteratorINS9_10device_ptrIxEEEESE_xNS9_4plusIvEExEEDaPvRmT3_T4_T5_mT6_P12ihipStream_tbENKUlT_T0_E_clISt17integral_constantIbLb1EESU_EEDaSP_SQ_EUlSP_E_NS1_11comp_targetILNS1_3genE10ELNS1_11target_archE1200ELNS1_3gpuE4ELNS1_3repE0EEENS1_30default_config_static_selectorELNS0_4arch9wavefront6targetE1EEEvT1_
		.amdhsa_group_segment_fixed_size 0
		.amdhsa_private_segment_fixed_size 0
		.amdhsa_kernarg_size 104
		.amdhsa_user_sgpr_count 6
		.amdhsa_user_sgpr_private_segment_buffer 1
		.amdhsa_user_sgpr_dispatch_ptr 0
		.amdhsa_user_sgpr_queue_ptr 0
		.amdhsa_user_sgpr_kernarg_segment_ptr 1
		.amdhsa_user_sgpr_dispatch_id 0
		.amdhsa_user_sgpr_flat_scratch_init 0
		.amdhsa_user_sgpr_kernarg_preload_length 0
		.amdhsa_user_sgpr_kernarg_preload_offset 0
		.amdhsa_user_sgpr_private_segment_size 0
		.amdhsa_uses_dynamic_stack 0
		.amdhsa_system_sgpr_private_segment_wavefront_offset 0
		.amdhsa_system_sgpr_workgroup_id_x 1
		.amdhsa_system_sgpr_workgroup_id_y 0
		.amdhsa_system_sgpr_workgroup_id_z 0
		.amdhsa_system_sgpr_workgroup_info 0
		.amdhsa_system_vgpr_workitem_id 0
		.amdhsa_next_free_vgpr 1
		.amdhsa_next_free_sgpr 0
		.amdhsa_accum_offset 4
		.amdhsa_reserve_vcc 0
		.amdhsa_reserve_flat_scratch 0
		.amdhsa_float_round_mode_32 0
		.amdhsa_float_round_mode_16_64 0
		.amdhsa_float_denorm_mode_32 3
		.amdhsa_float_denorm_mode_16_64 3
		.amdhsa_dx10_clamp 1
		.amdhsa_ieee_mode 1
		.amdhsa_fp16_overflow 0
		.amdhsa_tg_split 0
		.amdhsa_exception_fp_ieee_invalid_op 0
		.amdhsa_exception_fp_denorm_src 0
		.amdhsa_exception_fp_ieee_div_zero 0
		.amdhsa_exception_fp_ieee_overflow 0
		.amdhsa_exception_fp_ieee_underflow 0
		.amdhsa_exception_fp_ieee_inexact 0
		.amdhsa_exception_int_div_zero 0
	.end_amdhsa_kernel
	.section	.text._ZN7rocprim17ROCPRIM_400000_NS6detail17trampoline_kernelINS0_14default_configENS1_20scan_config_selectorIxEEZZNS1_9scan_implILNS1_25lookback_scan_determinismE0ELb1ELb1ES3_N6thrust23THRUST_200600_302600_NS6detail15normal_iteratorINS9_10device_ptrIxEEEESE_xNS9_4plusIvEExEEDaPvRmT3_T4_T5_mT6_P12ihipStream_tbENKUlT_T0_E_clISt17integral_constantIbLb1EESU_EEDaSP_SQ_EUlSP_E_NS1_11comp_targetILNS1_3genE10ELNS1_11target_archE1200ELNS1_3gpuE4ELNS1_3repE0EEENS1_30default_config_static_selectorELNS0_4arch9wavefront6targetE1EEEvT1_,"axG",@progbits,_ZN7rocprim17ROCPRIM_400000_NS6detail17trampoline_kernelINS0_14default_configENS1_20scan_config_selectorIxEEZZNS1_9scan_implILNS1_25lookback_scan_determinismE0ELb1ELb1ES3_N6thrust23THRUST_200600_302600_NS6detail15normal_iteratorINS9_10device_ptrIxEEEESE_xNS9_4plusIvEExEEDaPvRmT3_T4_T5_mT6_P12ihipStream_tbENKUlT_T0_E_clISt17integral_constantIbLb1EESU_EEDaSP_SQ_EUlSP_E_NS1_11comp_targetILNS1_3genE10ELNS1_11target_archE1200ELNS1_3gpuE4ELNS1_3repE0EEENS1_30default_config_static_selectorELNS0_4arch9wavefront6targetE1EEEvT1_,comdat
.Lfunc_end150:
	.size	_ZN7rocprim17ROCPRIM_400000_NS6detail17trampoline_kernelINS0_14default_configENS1_20scan_config_selectorIxEEZZNS1_9scan_implILNS1_25lookback_scan_determinismE0ELb1ELb1ES3_N6thrust23THRUST_200600_302600_NS6detail15normal_iteratorINS9_10device_ptrIxEEEESE_xNS9_4plusIvEExEEDaPvRmT3_T4_T5_mT6_P12ihipStream_tbENKUlT_T0_E_clISt17integral_constantIbLb1EESU_EEDaSP_SQ_EUlSP_E_NS1_11comp_targetILNS1_3genE10ELNS1_11target_archE1200ELNS1_3gpuE4ELNS1_3repE0EEENS1_30default_config_static_selectorELNS0_4arch9wavefront6targetE1EEEvT1_, .Lfunc_end150-_ZN7rocprim17ROCPRIM_400000_NS6detail17trampoline_kernelINS0_14default_configENS1_20scan_config_selectorIxEEZZNS1_9scan_implILNS1_25lookback_scan_determinismE0ELb1ELb1ES3_N6thrust23THRUST_200600_302600_NS6detail15normal_iteratorINS9_10device_ptrIxEEEESE_xNS9_4plusIvEExEEDaPvRmT3_T4_T5_mT6_P12ihipStream_tbENKUlT_T0_E_clISt17integral_constantIbLb1EESU_EEDaSP_SQ_EUlSP_E_NS1_11comp_targetILNS1_3genE10ELNS1_11target_archE1200ELNS1_3gpuE4ELNS1_3repE0EEENS1_30default_config_static_selectorELNS0_4arch9wavefront6targetE1EEEvT1_
                                        ; -- End function
	.section	.AMDGPU.csdata,"",@progbits
; Kernel info:
; codeLenInByte = 0
; NumSgprs: 4
; NumVgprs: 0
; NumAgprs: 0
; TotalNumVgprs: 0
; ScratchSize: 0
; MemoryBound: 0
; FloatMode: 240
; IeeeMode: 1
; LDSByteSize: 0 bytes/workgroup (compile time only)
; SGPRBlocks: 0
; VGPRBlocks: 0
; NumSGPRsForWavesPerEU: 4
; NumVGPRsForWavesPerEU: 1
; AccumOffset: 4
; Occupancy: 8
; WaveLimiterHint : 0
; COMPUTE_PGM_RSRC2:SCRATCH_EN: 0
; COMPUTE_PGM_RSRC2:USER_SGPR: 6
; COMPUTE_PGM_RSRC2:TRAP_HANDLER: 0
; COMPUTE_PGM_RSRC2:TGID_X_EN: 1
; COMPUTE_PGM_RSRC2:TGID_Y_EN: 0
; COMPUTE_PGM_RSRC2:TGID_Z_EN: 0
; COMPUTE_PGM_RSRC2:TIDIG_COMP_CNT: 0
; COMPUTE_PGM_RSRC3_GFX90A:ACCUM_OFFSET: 0
; COMPUTE_PGM_RSRC3_GFX90A:TG_SPLIT: 0
	.section	.text._ZN7rocprim17ROCPRIM_400000_NS6detail17trampoline_kernelINS0_14default_configENS1_20scan_config_selectorIxEEZZNS1_9scan_implILNS1_25lookback_scan_determinismE0ELb1ELb1ES3_N6thrust23THRUST_200600_302600_NS6detail15normal_iteratorINS9_10device_ptrIxEEEESE_xNS9_4plusIvEExEEDaPvRmT3_T4_T5_mT6_P12ihipStream_tbENKUlT_T0_E_clISt17integral_constantIbLb1EESU_EEDaSP_SQ_EUlSP_E_NS1_11comp_targetILNS1_3genE9ELNS1_11target_archE1100ELNS1_3gpuE3ELNS1_3repE0EEENS1_30default_config_static_selectorELNS0_4arch9wavefront6targetE1EEEvT1_,"axG",@progbits,_ZN7rocprim17ROCPRIM_400000_NS6detail17trampoline_kernelINS0_14default_configENS1_20scan_config_selectorIxEEZZNS1_9scan_implILNS1_25lookback_scan_determinismE0ELb1ELb1ES3_N6thrust23THRUST_200600_302600_NS6detail15normal_iteratorINS9_10device_ptrIxEEEESE_xNS9_4plusIvEExEEDaPvRmT3_T4_T5_mT6_P12ihipStream_tbENKUlT_T0_E_clISt17integral_constantIbLb1EESU_EEDaSP_SQ_EUlSP_E_NS1_11comp_targetILNS1_3genE9ELNS1_11target_archE1100ELNS1_3gpuE3ELNS1_3repE0EEENS1_30default_config_static_selectorELNS0_4arch9wavefront6targetE1EEEvT1_,comdat
	.protected	_ZN7rocprim17ROCPRIM_400000_NS6detail17trampoline_kernelINS0_14default_configENS1_20scan_config_selectorIxEEZZNS1_9scan_implILNS1_25lookback_scan_determinismE0ELb1ELb1ES3_N6thrust23THRUST_200600_302600_NS6detail15normal_iteratorINS9_10device_ptrIxEEEESE_xNS9_4plusIvEExEEDaPvRmT3_T4_T5_mT6_P12ihipStream_tbENKUlT_T0_E_clISt17integral_constantIbLb1EESU_EEDaSP_SQ_EUlSP_E_NS1_11comp_targetILNS1_3genE9ELNS1_11target_archE1100ELNS1_3gpuE3ELNS1_3repE0EEENS1_30default_config_static_selectorELNS0_4arch9wavefront6targetE1EEEvT1_ ; -- Begin function _ZN7rocprim17ROCPRIM_400000_NS6detail17trampoline_kernelINS0_14default_configENS1_20scan_config_selectorIxEEZZNS1_9scan_implILNS1_25lookback_scan_determinismE0ELb1ELb1ES3_N6thrust23THRUST_200600_302600_NS6detail15normal_iteratorINS9_10device_ptrIxEEEESE_xNS9_4plusIvEExEEDaPvRmT3_T4_T5_mT6_P12ihipStream_tbENKUlT_T0_E_clISt17integral_constantIbLb1EESU_EEDaSP_SQ_EUlSP_E_NS1_11comp_targetILNS1_3genE9ELNS1_11target_archE1100ELNS1_3gpuE3ELNS1_3repE0EEENS1_30default_config_static_selectorELNS0_4arch9wavefront6targetE1EEEvT1_
	.globl	_ZN7rocprim17ROCPRIM_400000_NS6detail17trampoline_kernelINS0_14default_configENS1_20scan_config_selectorIxEEZZNS1_9scan_implILNS1_25lookback_scan_determinismE0ELb1ELb1ES3_N6thrust23THRUST_200600_302600_NS6detail15normal_iteratorINS9_10device_ptrIxEEEESE_xNS9_4plusIvEExEEDaPvRmT3_T4_T5_mT6_P12ihipStream_tbENKUlT_T0_E_clISt17integral_constantIbLb1EESU_EEDaSP_SQ_EUlSP_E_NS1_11comp_targetILNS1_3genE9ELNS1_11target_archE1100ELNS1_3gpuE3ELNS1_3repE0EEENS1_30default_config_static_selectorELNS0_4arch9wavefront6targetE1EEEvT1_
	.p2align	8
	.type	_ZN7rocprim17ROCPRIM_400000_NS6detail17trampoline_kernelINS0_14default_configENS1_20scan_config_selectorIxEEZZNS1_9scan_implILNS1_25lookback_scan_determinismE0ELb1ELb1ES3_N6thrust23THRUST_200600_302600_NS6detail15normal_iteratorINS9_10device_ptrIxEEEESE_xNS9_4plusIvEExEEDaPvRmT3_T4_T5_mT6_P12ihipStream_tbENKUlT_T0_E_clISt17integral_constantIbLb1EESU_EEDaSP_SQ_EUlSP_E_NS1_11comp_targetILNS1_3genE9ELNS1_11target_archE1100ELNS1_3gpuE3ELNS1_3repE0EEENS1_30default_config_static_selectorELNS0_4arch9wavefront6targetE1EEEvT1_,@function
_ZN7rocprim17ROCPRIM_400000_NS6detail17trampoline_kernelINS0_14default_configENS1_20scan_config_selectorIxEEZZNS1_9scan_implILNS1_25lookback_scan_determinismE0ELb1ELb1ES3_N6thrust23THRUST_200600_302600_NS6detail15normal_iteratorINS9_10device_ptrIxEEEESE_xNS9_4plusIvEExEEDaPvRmT3_T4_T5_mT6_P12ihipStream_tbENKUlT_T0_E_clISt17integral_constantIbLb1EESU_EEDaSP_SQ_EUlSP_E_NS1_11comp_targetILNS1_3genE9ELNS1_11target_archE1100ELNS1_3gpuE3ELNS1_3repE0EEENS1_30default_config_static_selectorELNS0_4arch9wavefront6targetE1EEEvT1_: ; @_ZN7rocprim17ROCPRIM_400000_NS6detail17trampoline_kernelINS0_14default_configENS1_20scan_config_selectorIxEEZZNS1_9scan_implILNS1_25lookback_scan_determinismE0ELb1ELb1ES3_N6thrust23THRUST_200600_302600_NS6detail15normal_iteratorINS9_10device_ptrIxEEEESE_xNS9_4plusIvEExEEDaPvRmT3_T4_T5_mT6_P12ihipStream_tbENKUlT_T0_E_clISt17integral_constantIbLb1EESU_EEDaSP_SQ_EUlSP_E_NS1_11comp_targetILNS1_3genE9ELNS1_11target_archE1100ELNS1_3gpuE3ELNS1_3repE0EEENS1_30default_config_static_selectorELNS0_4arch9wavefront6targetE1EEEvT1_
; %bb.0:
	.section	.rodata,"a",@progbits
	.p2align	6, 0x0
	.amdhsa_kernel _ZN7rocprim17ROCPRIM_400000_NS6detail17trampoline_kernelINS0_14default_configENS1_20scan_config_selectorIxEEZZNS1_9scan_implILNS1_25lookback_scan_determinismE0ELb1ELb1ES3_N6thrust23THRUST_200600_302600_NS6detail15normal_iteratorINS9_10device_ptrIxEEEESE_xNS9_4plusIvEExEEDaPvRmT3_T4_T5_mT6_P12ihipStream_tbENKUlT_T0_E_clISt17integral_constantIbLb1EESU_EEDaSP_SQ_EUlSP_E_NS1_11comp_targetILNS1_3genE9ELNS1_11target_archE1100ELNS1_3gpuE3ELNS1_3repE0EEENS1_30default_config_static_selectorELNS0_4arch9wavefront6targetE1EEEvT1_
		.amdhsa_group_segment_fixed_size 0
		.amdhsa_private_segment_fixed_size 0
		.amdhsa_kernarg_size 104
		.amdhsa_user_sgpr_count 6
		.amdhsa_user_sgpr_private_segment_buffer 1
		.amdhsa_user_sgpr_dispatch_ptr 0
		.amdhsa_user_sgpr_queue_ptr 0
		.amdhsa_user_sgpr_kernarg_segment_ptr 1
		.amdhsa_user_sgpr_dispatch_id 0
		.amdhsa_user_sgpr_flat_scratch_init 0
		.amdhsa_user_sgpr_kernarg_preload_length 0
		.amdhsa_user_sgpr_kernarg_preload_offset 0
		.amdhsa_user_sgpr_private_segment_size 0
		.amdhsa_uses_dynamic_stack 0
		.amdhsa_system_sgpr_private_segment_wavefront_offset 0
		.amdhsa_system_sgpr_workgroup_id_x 1
		.amdhsa_system_sgpr_workgroup_id_y 0
		.amdhsa_system_sgpr_workgroup_id_z 0
		.amdhsa_system_sgpr_workgroup_info 0
		.amdhsa_system_vgpr_workitem_id 0
		.amdhsa_next_free_vgpr 1
		.amdhsa_next_free_sgpr 0
		.amdhsa_accum_offset 4
		.amdhsa_reserve_vcc 0
		.amdhsa_reserve_flat_scratch 0
		.amdhsa_float_round_mode_32 0
		.amdhsa_float_round_mode_16_64 0
		.amdhsa_float_denorm_mode_32 3
		.amdhsa_float_denorm_mode_16_64 3
		.amdhsa_dx10_clamp 1
		.amdhsa_ieee_mode 1
		.amdhsa_fp16_overflow 0
		.amdhsa_tg_split 0
		.amdhsa_exception_fp_ieee_invalid_op 0
		.amdhsa_exception_fp_denorm_src 0
		.amdhsa_exception_fp_ieee_div_zero 0
		.amdhsa_exception_fp_ieee_overflow 0
		.amdhsa_exception_fp_ieee_underflow 0
		.amdhsa_exception_fp_ieee_inexact 0
		.amdhsa_exception_int_div_zero 0
	.end_amdhsa_kernel
	.section	.text._ZN7rocprim17ROCPRIM_400000_NS6detail17trampoline_kernelINS0_14default_configENS1_20scan_config_selectorIxEEZZNS1_9scan_implILNS1_25lookback_scan_determinismE0ELb1ELb1ES3_N6thrust23THRUST_200600_302600_NS6detail15normal_iteratorINS9_10device_ptrIxEEEESE_xNS9_4plusIvEExEEDaPvRmT3_T4_T5_mT6_P12ihipStream_tbENKUlT_T0_E_clISt17integral_constantIbLb1EESU_EEDaSP_SQ_EUlSP_E_NS1_11comp_targetILNS1_3genE9ELNS1_11target_archE1100ELNS1_3gpuE3ELNS1_3repE0EEENS1_30default_config_static_selectorELNS0_4arch9wavefront6targetE1EEEvT1_,"axG",@progbits,_ZN7rocprim17ROCPRIM_400000_NS6detail17trampoline_kernelINS0_14default_configENS1_20scan_config_selectorIxEEZZNS1_9scan_implILNS1_25lookback_scan_determinismE0ELb1ELb1ES3_N6thrust23THRUST_200600_302600_NS6detail15normal_iteratorINS9_10device_ptrIxEEEESE_xNS9_4plusIvEExEEDaPvRmT3_T4_T5_mT6_P12ihipStream_tbENKUlT_T0_E_clISt17integral_constantIbLb1EESU_EEDaSP_SQ_EUlSP_E_NS1_11comp_targetILNS1_3genE9ELNS1_11target_archE1100ELNS1_3gpuE3ELNS1_3repE0EEENS1_30default_config_static_selectorELNS0_4arch9wavefront6targetE1EEEvT1_,comdat
.Lfunc_end151:
	.size	_ZN7rocprim17ROCPRIM_400000_NS6detail17trampoline_kernelINS0_14default_configENS1_20scan_config_selectorIxEEZZNS1_9scan_implILNS1_25lookback_scan_determinismE0ELb1ELb1ES3_N6thrust23THRUST_200600_302600_NS6detail15normal_iteratorINS9_10device_ptrIxEEEESE_xNS9_4plusIvEExEEDaPvRmT3_T4_T5_mT6_P12ihipStream_tbENKUlT_T0_E_clISt17integral_constantIbLb1EESU_EEDaSP_SQ_EUlSP_E_NS1_11comp_targetILNS1_3genE9ELNS1_11target_archE1100ELNS1_3gpuE3ELNS1_3repE0EEENS1_30default_config_static_selectorELNS0_4arch9wavefront6targetE1EEEvT1_, .Lfunc_end151-_ZN7rocprim17ROCPRIM_400000_NS6detail17trampoline_kernelINS0_14default_configENS1_20scan_config_selectorIxEEZZNS1_9scan_implILNS1_25lookback_scan_determinismE0ELb1ELb1ES3_N6thrust23THRUST_200600_302600_NS6detail15normal_iteratorINS9_10device_ptrIxEEEESE_xNS9_4plusIvEExEEDaPvRmT3_T4_T5_mT6_P12ihipStream_tbENKUlT_T0_E_clISt17integral_constantIbLb1EESU_EEDaSP_SQ_EUlSP_E_NS1_11comp_targetILNS1_3genE9ELNS1_11target_archE1100ELNS1_3gpuE3ELNS1_3repE0EEENS1_30default_config_static_selectorELNS0_4arch9wavefront6targetE1EEEvT1_
                                        ; -- End function
	.section	.AMDGPU.csdata,"",@progbits
; Kernel info:
; codeLenInByte = 0
; NumSgprs: 4
; NumVgprs: 0
; NumAgprs: 0
; TotalNumVgprs: 0
; ScratchSize: 0
; MemoryBound: 0
; FloatMode: 240
; IeeeMode: 1
; LDSByteSize: 0 bytes/workgroup (compile time only)
; SGPRBlocks: 0
; VGPRBlocks: 0
; NumSGPRsForWavesPerEU: 4
; NumVGPRsForWavesPerEU: 1
; AccumOffset: 4
; Occupancy: 8
; WaveLimiterHint : 0
; COMPUTE_PGM_RSRC2:SCRATCH_EN: 0
; COMPUTE_PGM_RSRC2:USER_SGPR: 6
; COMPUTE_PGM_RSRC2:TRAP_HANDLER: 0
; COMPUTE_PGM_RSRC2:TGID_X_EN: 1
; COMPUTE_PGM_RSRC2:TGID_Y_EN: 0
; COMPUTE_PGM_RSRC2:TGID_Z_EN: 0
; COMPUTE_PGM_RSRC2:TIDIG_COMP_CNT: 0
; COMPUTE_PGM_RSRC3_GFX90A:ACCUM_OFFSET: 0
; COMPUTE_PGM_RSRC3_GFX90A:TG_SPLIT: 0
	.section	.text._ZN7rocprim17ROCPRIM_400000_NS6detail17trampoline_kernelINS0_14default_configENS1_20scan_config_selectorIxEEZZNS1_9scan_implILNS1_25lookback_scan_determinismE0ELb1ELb1ES3_N6thrust23THRUST_200600_302600_NS6detail15normal_iteratorINS9_10device_ptrIxEEEESE_xNS9_4plusIvEExEEDaPvRmT3_T4_T5_mT6_P12ihipStream_tbENKUlT_T0_E_clISt17integral_constantIbLb1EESU_EEDaSP_SQ_EUlSP_E_NS1_11comp_targetILNS1_3genE8ELNS1_11target_archE1030ELNS1_3gpuE2ELNS1_3repE0EEENS1_30default_config_static_selectorELNS0_4arch9wavefront6targetE1EEEvT1_,"axG",@progbits,_ZN7rocprim17ROCPRIM_400000_NS6detail17trampoline_kernelINS0_14default_configENS1_20scan_config_selectorIxEEZZNS1_9scan_implILNS1_25lookback_scan_determinismE0ELb1ELb1ES3_N6thrust23THRUST_200600_302600_NS6detail15normal_iteratorINS9_10device_ptrIxEEEESE_xNS9_4plusIvEExEEDaPvRmT3_T4_T5_mT6_P12ihipStream_tbENKUlT_T0_E_clISt17integral_constantIbLb1EESU_EEDaSP_SQ_EUlSP_E_NS1_11comp_targetILNS1_3genE8ELNS1_11target_archE1030ELNS1_3gpuE2ELNS1_3repE0EEENS1_30default_config_static_selectorELNS0_4arch9wavefront6targetE1EEEvT1_,comdat
	.protected	_ZN7rocprim17ROCPRIM_400000_NS6detail17trampoline_kernelINS0_14default_configENS1_20scan_config_selectorIxEEZZNS1_9scan_implILNS1_25lookback_scan_determinismE0ELb1ELb1ES3_N6thrust23THRUST_200600_302600_NS6detail15normal_iteratorINS9_10device_ptrIxEEEESE_xNS9_4plusIvEExEEDaPvRmT3_T4_T5_mT6_P12ihipStream_tbENKUlT_T0_E_clISt17integral_constantIbLb1EESU_EEDaSP_SQ_EUlSP_E_NS1_11comp_targetILNS1_3genE8ELNS1_11target_archE1030ELNS1_3gpuE2ELNS1_3repE0EEENS1_30default_config_static_selectorELNS0_4arch9wavefront6targetE1EEEvT1_ ; -- Begin function _ZN7rocprim17ROCPRIM_400000_NS6detail17trampoline_kernelINS0_14default_configENS1_20scan_config_selectorIxEEZZNS1_9scan_implILNS1_25lookback_scan_determinismE0ELb1ELb1ES3_N6thrust23THRUST_200600_302600_NS6detail15normal_iteratorINS9_10device_ptrIxEEEESE_xNS9_4plusIvEExEEDaPvRmT3_T4_T5_mT6_P12ihipStream_tbENKUlT_T0_E_clISt17integral_constantIbLb1EESU_EEDaSP_SQ_EUlSP_E_NS1_11comp_targetILNS1_3genE8ELNS1_11target_archE1030ELNS1_3gpuE2ELNS1_3repE0EEENS1_30default_config_static_selectorELNS0_4arch9wavefront6targetE1EEEvT1_
	.globl	_ZN7rocprim17ROCPRIM_400000_NS6detail17trampoline_kernelINS0_14default_configENS1_20scan_config_selectorIxEEZZNS1_9scan_implILNS1_25lookback_scan_determinismE0ELb1ELb1ES3_N6thrust23THRUST_200600_302600_NS6detail15normal_iteratorINS9_10device_ptrIxEEEESE_xNS9_4plusIvEExEEDaPvRmT3_T4_T5_mT6_P12ihipStream_tbENKUlT_T0_E_clISt17integral_constantIbLb1EESU_EEDaSP_SQ_EUlSP_E_NS1_11comp_targetILNS1_3genE8ELNS1_11target_archE1030ELNS1_3gpuE2ELNS1_3repE0EEENS1_30default_config_static_selectorELNS0_4arch9wavefront6targetE1EEEvT1_
	.p2align	8
	.type	_ZN7rocprim17ROCPRIM_400000_NS6detail17trampoline_kernelINS0_14default_configENS1_20scan_config_selectorIxEEZZNS1_9scan_implILNS1_25lookback_scan_determinismE0ELb1ELb1ES3_N6thrust23THRUST_200600_302600_NS6detail15normal_iteratorINS9_10device_ptrIxEEEESE_xNS9_4plusIvEExEEDaPvRmT3_T4_T5_mT6_P12ihipStream_tbENKUlT_T0_E_clISt17integral_constantIbLb1EESU_EEDaSP_SQ_EUlSP_E_NS1_11comp_targetILNS1_3genE8ELNS1_11target_archE1030ELNS1_3gpuE2ELNS1_3repE0EEENS1_30default_config_static_selectorELNS0_4arch9wavefront6targetE1EEEvT1_,@function
_ZN7rocprim17ROCPRIM_400000_NS6detail17trampoline_kernelINS0_14default_configENS1_20scan_config_selectorIxEEZZNS1_9scan_implILNS1_25lookback_scan_determinismE0ELb1ELb1ES3_N6thrust23THRUST_200600_302600_NS6detail15normal_iteratorINS9_10device_ptrIxEEEESE_xNS9_4plusIvEExEEDaPvRmT3_T4_T5_mT6_P12ihipStream_tbENKUlT_T0_E_clISt17integral_constantIbLb1EESU_EEDaSP_SQ_EUlSP_E_NS1_11comp_targetILNS1_3genE8ELNS1_11target_archE1030ELNS1_3gpuE2ELNS1_3repE0EEENS1_30default_config_static_selectorELNS0_4arch9wavefront6targetE1EEEvT1_: ; @_ZN7rocprim17ROCPRIM_400000_NS6detail17trampoline_kernelINS0_14default_configENS1_20scan_config_selectorIxEEZZNS1_9scan_implILNS1_25lookback_scan_determinismE0ELb1ELb1ES3_N6thrust23THRUST_200600_302600_NS6detail15normal_iteratorINS9_10device_ptrIxEEEESE_xNS9_4plusIvEExEEDaPvRmT3_T4_T5_mT6_P12ihipStream_tbENKUlT_T0_E_clISt17integral_constantIbLb1EESU_EEDaSP_SQ_EUlSP_E_NS1_11comp_targetILNS1_3genE8ELNS1_11target_archE1030ELNS1_3gpuE2ELNS1_3repE0EEENS1_30default_config_static_selectorELNS0_4arch9wavefront6targetE1EEEvT1_
; %bb.0:
	.section	.rodata,"a",@progbits
	.p2align	6, 0x0
	.amdhsa_kernel _ZN7rocprim17ROCPRIM_400000_NS6detail17trampoline_kernelINS0_14default_configENS1_20scan_config_selectorIxEEZZNS1_9scan_implILNS1_25lookback_scan_determinismE0ELb1ELb1ES3_N6thrust23THRUST_200600_302600_NS6detail15normal_iteratorINS9_10device_ptrIxEEEESE_xNS9_4plusIvEExEEDaPvRmT3_T4_T5_mT6_P12ihipStream_tbENKUlT_T0_E_clISt17integral_constantIbLb1EESU_EEDaSP_SQ_EUlSP_E_NS1_11comp_targetILNS1_3genE8ELNS1_11target_archE1030ELNS1_3gpuE2ELNS1_3repE0EEENS1_30default_config_static_selectorELNS0_4arch9wavefront6targetE1EEEvT1_
		.amdhsa_group_segment_fixed_size 0
		.amdhsa_private_segment_fixed_size 0
		.amdhsa_kernarg_size 104
		.amdhsa_user_sgpr_count 6
		.amdhsa_user_sgpr_private_segment_buffer 1
		.amdhsa_user_sgpr_dispatch_ptr 0
		.amdhsa_user_sgpr_queue_ptr 0
		.amdhsa_user_sgpr_kernarg_segment_ptr 1
		.amdhsa_user_sgpr_dispatch_id 0
		.amdhsa_user_sgpr_flat_scratch_init 0
		.amdhsa_user_sgpr_kernarg_preload_length 0
		.amdhsa_user_sgpr_kernarg_preload_offset 0
		.amdhsa_user_sgpr_private_segment_size 0
		.amdhsa_uses_dynamic_stack 0
		.amdhsa_system_sgpr_private_segment_wavefront_offset 0
		.amdhsa_system_sgpr_workgroup_id_x 1
		.amdhsa_system_sgpr_workgroup_id_y 0
		.amdhsa_system_sgpr_workgroup_id_z 0
		.amdhsa_system_sgpr_workgroup_info 0
		.amdhsa_system_vgpr_workitem_id 0
		.amdhsa_next_free_vgpr 1
		.amdhsa_next_free_sgpr 0
		.amdhsa_accum_offset 4
		.amdhsa_reserve_vcc 0
		.amdhsa_reserve_flat_scratch 0
		.amdhsa_float_round_mode_32 0
		.amdhsa_float_round_mode_16_64 0
		.amdhsa_float_denorm_mode_32 3
		.amdhsa_float_denorm_mode_16_64 3
		.amdhsa_dx10_clamp 1
		.amdhsa_ieee_mode 1
		.amdhsa_fp16_overflow 0
		.amdhsa_tg_split 0
		.amdhsa_exception_fp_ieee_invalid_op 0
		.amdhsa_exception_fp_denorm_src 0
		.amdhsa_exception_fp_ieee_div_zero 0
		.amdhsa_exception_fp_ieee_overflow 0
		.amdhsa_exception_fp_ieee_underflow 0
		.amdhsa_exception_fp_ieee_inexact 0
		.amdhsa_exception_int_div_zero 0
	.end_amdhsa_kernel
	.section	.text._ZN7rocprim17ROCPRIM_400000_NS6detail17trampoline_kernelINS0_14default_configENS1_20scan_config_selectorIxEEZZNS1_9scan_implILNS1_25lookback_scan_determinismE0ELb1ELb1ES3_N6thrust23THRUST_200600_302600_NS6detail15normal_iteratorINS9_10device_ptrIxEEEESE_xNS9_4plusIvEExEEDaPvRmT3_T4_T5_mT6_P12ihipStream_tbENKUlT_T0_E_clISt17integral_constantIbLb1EESU_EEDaSP_SQ_EUlSP_E_NS1_11comp_targetILNS1_3genE8ELNS1_11target_archE1030ELNS1_3gpuE2ELNS1_3repE0EEENS1_30default_config_static_selectorELNS0_4arch9wavefront6targetE1EEEvT1_,"axG",@progbits,_ZN7rocprim17ROCPRIM_400000_NS6detail17trampoline_kernelINS0_14default_configENS1_20scan_config_selectorIxEEZZNS1_9scan_implILNS1_25lookback_scan_determinismE0ELb1ELb1ES3_N6thrust23THRUST_200600_302600_NS6detail15normal_iteratorINS9_10device_ptrIxEEEESE_xNS9_4plusIvEExEEDaPvRmT3_T4_T5_mT6_P12ihipStream_tbENKUlT_T0_E_clISt17integral_constantIbLb1EESU_EEDaSP_SQ_EUlSP_E_NS1_11comp_targetILNS1_3genE8ELNS1_11target_archE1030ELNS1_3gpuE2ELNS1_3repE0EEENS1_30default_config_static_selectorELNS0_4arch9wavefront6targetE1EEEvT1_,comdat
.Lfunc_end152:
	.size	_ZN7rocprim17ROCPRIM_400000_NS6detail17trampoline_kernelINS0_14default_configENS1_20scan_config_selectorIxEEZZNS1_9scan_implILNS1_25lookback_scan_determinismE0ELb1ELb1ES3_N6thrust23THRUST_200600_302600_NS6detail15normal_iteratorINS9_10device_ptrIxEEEESE_xNS9_4plusIvEExEEDaPvRmT3_T4_T5_mT6_P12ihipStream_tbENKUlT_T0_E_clISt17integral_constantIbLb1EESU_EEDaSP_SQ_EUlSP_E_NS1_11comp_targetILNS1_3genE8ELNS1_11target_archE1030ELNS1_3gpuE2ELNS1_3repE0EEENS1_30default_config_static_selectorELNS0_4arch9wavefront6targetE1EEEvT1_, .Lfunc_end152-_ZN7rocprim17ROCPRIM_400000_NS6detail17trampoline_kernelINS0_14default_configENS1_20scan_config_selectorIxEEZZNS1_9scan_implILNS1_25lookback_scan_determinismE0ELb1ELb1ES3_N6thrust23THRUST_200600_302600_NS6detail15normal_iteratorINS9_10device_ptrIxEEEESE_xNS9_4plusIvEExEEDaPvRmT3_T4_T5_mT6_P12ihipStream_tbENKUlT_T0_E_clISt17integral_constantIbLb1EESU_EEDaSP_SQ_EUlSP_E_NS1_11comp_targetILNS1_3genE8ELNS1_11target_archE1030ELNS1_3gpuE2ELNS1_3repE0EEENS1_30default_config_static_selectorELNS0_4arch9wavefront6targetE1EEEvT1_
                                        ; -- End function
	.section	.AMDGPU.csdata,"",@progbits
; Kernel info:
; codeLenInByte = 0
; NumSgprs: 4
; NumVgprs: 0
; NumAgprs: 0
; TotalNumVgprs: 0
; ScratchSize: 0
; MemoryBound: 0
; FloatMode: 240
; IeeeMode: 1
; LDSByteSize: 0 bytes/workgroup (compile time only)
; SGPRBlocks: 0
; VGPRBlocks: 0
; NumSGPRsForWavesPerEU: 4
; NumVGPRsForWavesPerEU: 1
; AccumOffset: 4
; Occupancy: 8
; WaveLimiterHint : 0
; COMPUTE_PGM_RSRC2:SCRATCH_EN: 0
; COMPUTE_PGM_RSRC2:USER_SGPR: 6
; COMPUTE_PGM_RSRC2:TRAP_HANDLER: 0
; COMPUTE_PGM_RSRC2:TGID_X_EN: 1
; COMPUTE_PGM_RSRC2:TGID_Y_EN: 0
; COMPUTE_PGM_RSRC2:TGID_Z_EN: 0
; COMPUTE_PGM_RSRC2:TIDIG_COMP_CNT: 0
; COMPUTE_PGM_RSRC3_GFX90A:ACCUM_OFFSET: 0
; COMPUTE_PGM_RSRC3_GFX90A:TG_SPLIT: 0
	.section	.text._ZN7rocprim17ROCPRIM_400000_NS6detail17trampoline_kernelINS0_14default_configENS1_20scan_config_selectorIxEEZZNS1_9scan_implILNS1_25lookback_scan_determinismE0ELb1ELb1ES3_N6thrust23THRUST_200600_302600_NS6detail15normal_iteratorINS9_10device_ptrIxEEEESE_xNS9_4plusIvEExEEDaPvRmT3_T4_T5_mT6_P12ihipStream_tbENKUlT_T0_E_clISt17integral_constantIbLb1EESU_EEDaSP_SQ_EUlSP_E0_NS1_11comp_targetILNS1_3genE0ELNS1_11target_archE4294967295ELNS1_3gpuE0ELNS1_3repE0EEENS1_30default_config_static_selectorELNS0_4arch9wavefront6targetE1EEEvT1_,"axG",@progbits,_ZN7rocprim17ROCPRIM_400000_NS6detail17trampoline_kernelINS0_14default_configENS1_20scan_config_selectorIxEEZZNS1_9scan_implILNS1_25lookback_scan_determinismE0ELb1ELb1ES3_N6thrust23THRUST_200600_302600_NS6detail15normal_iteratorINS9_10device_ptrIxEEEESE_xNS9_4plusIvEExEEDaPvRmT3_T4_T5_mT6_P12ihipStream_tbENKUlT_T0_E_clISt17integral_constantIbLb1EESU_EEDaSP_SQ_EUlSP_E0_NS1_11comp_targetILNS1_3genE0ELNS1_11target_archE4294967295ELNS1_3gpuE0ELNS1_3repE0EEENS1_30default_config_static_selectorELNS0_4arch9wavefront6targetE1EEEvT1_,comdat
	.protected	_ZN7rocprim17ROCPRIM_400000_NS6detail17trampoline_kernelINS0_14default_configENS1_20scan_config_selectorIxEEZZNS1_9scan_implILNS1_25lookback_scan_determinismE0ELb1ELb1ES3_N6thrust23THRUST_200600_302600_NS6detail15normal_iteratorINS9_10device_ptrIxEEEESE_xNS9_4plusIvEExEEDaPvRmT3_T4_T5_mT6_P12ihipStream_tbENKUlT_T0_E_clISt17integral_constantIbLb1EESU_EEDaSP_SQ_EUlSP_E0_NS1_11comp_targetILNS1_3genE0ELNS1_11target_archE4294967295ELNS1_3gpuE0ELNS1_3repE0EEENS1_30default_config_static_selectorELNS0_4arch9wavefront6targetE1EEEvT1_ ; -- Begin function _ZN7rocprim17ROCPRIM_400000_NS6detail17trampoline_kernelINS0_14default_configENS1_20scan_config_selectorIxEEZZNS1_9scan_implILNS1_25lookback_scan_determinismE0ELb1ELb1ES3_N6thrust23THRUST_200600_302600_NS6detail15normal_iteratorINS9_10device_ptrIxEEEESE_xNS9_4plusIvEExEEDaPvRmT3_T4_T5_mT6_P12ihipStream_tbENKUlT_T0_E_clISt17integral_constantIbLb1EESU_EEDaSP_SQ_EUlSP_E0_NS1_11comp_targetILNS1_3genE0ELNS1_11target_archE4294967295ELNS1_3gpuE0ELNS1_3repE0EEENS1_30default_config_static_selectorELNS0_4arch9wavefront6targetE1EEEvT1_
	.globl	_ZN7rocprim17ROCPRIM_400000_NS6detail17trampoline_kernelINS0_14default_configENS1_20scan_config_selectorIxEEZZNS1_9scan_implILNS1_25lookback_scan_determinismE0ELb1ELb1ES3_N6thrust23THRUST_200600_302600_NS6detail15normal_iteratorINS9_10device_ptrIxEEEESE_xNS9_4plusIvEExEEDaPvRmT3_T4_T5_mT6_P12ihipStream_tbENKUlT_T0_E_clISt17integral_constantIbLb1EESU_EEDaSP_SQ_EUlSP_E0_NS1_11comp_targetILNS1_3genE0ELNS1_11target_archE4294967295ELNS1_3gpuE0ELNS1_3repE0EEENS1_30default_config_static_selectorELNS0_4arch9wavefront6targetE1EEEvT1_
	.p2align	8
	.type	_ZN7rocprim17ROCPRIM_400000_NS6detail17trampoline_kernelINS0_14default_configENS1_20scan_config_selectorIxEEZZNS1_9scan_implILNS1_25lookback_scan_determinismE0ELb1ELb1ES3_N6thrust23THRUST_200600_302600_NS6detail15normal_iteratorINS9_10device_ptrIxEEEESE_xNS9_4plusIvEExEEDaPvRmT3_T4_T5_mT6_P12ihipStream_tbENKUlT_T0_E_clISt17integral_constantIbLb1EESU_EEDaSP_SQ_EUlSP_E0_NS1_11comp_targetILNS1_3genE0ELNS1_11target_archE4294967295ELNS1_3gpuE0ELNS1_3repE0EEENS1_30default_config_static_selectorELNS0_4arch9wavefront6targetE1EEEvT1_,@function
_ZN7rocprim17ROCPRIM_400000_NS6detail17trampoline_kernelINS0_14default_configENS1_20scan_config_selectorIxEEZZNS1_9scan_implILNS1_25lookback_scan_determinismE0ELb1ELb1ES3_N6thrust23THRUST_200600_302600_NS6detail15normal_iteratorINS9_10device_ptrIxEEEESE_xNS9_4plusIvEExEEDaPvRmT3_T4_T5_mT6_P12ihipStream_tbENKUlT_T0_E_clISt17integral_constantIbLb1EESU_EEDaSP_SQ_EUlSP_E0_NS1_11comp_targetILNS1_3genE0ELNS1_11target_archE4294967295ELNS1_3gpuE0ELNS1_3repE0EEENS1_30default_config_static_selectorELNS0_4arch9wavefront6targetE1EEEvT1_: ; @_ZN7rocprim17ROCPRIM_400000_NS6detail17trampoline_kernelINS0_14default_configENS1_20scan_config_selectorIxEEZZNS1_9scan_implILNS1_25lookback_scan_determinismE0ELb1ELb1ES3_N6thrust23THRUST_200600_302600_NS6detail15normal_iteratorINS9_10device_ptrIxEEEESE_xNS9_4plusIvEExEEDaPvRmT3_T4_T5_mT6_P12ihipStream_tbENKUlT_T0_E_clISt17integral_constantIbLb1EESU_EEDaSP_SQ_EUlSP_E0_NS1_11comp_targetILNS1_3genE0ELNS1_11target_archE4294967295ELNS1_3gpuE0ELNS1_3repE0EEENS1_30default_config_static_selectorELNS0_4arch9wavefront6targetE1EEEvT1_
; %bb.0:
	.section	.rodata,"a",@progbits
	.p2align	6, 0x0
	.amdhsa_kernel _ZN7rocprim17ROCPRIM_400000_NS6detail17trampoline_kernelINS0_14default_configENS1_20scan_config_selectorIxEEZZNS1_9scan_implILNS1_25lookback_scan_determinismE0ELb1ELb1ES3_N6thrust23THRUST_200600_302600_NS6detail15normal_iteratorINS9_10device_ptrIxEEEESE_xNS9_4plusIvEExEEDaPvRmT3_T4_T5_mT6_P12ihipStream_tbENKUlT_T0_E_clISt17integral_constantIbLb1EESU_EEDaSP_SQ_EUlSP_E0_NS1_11comp_targetILNS1_3genE0ELNS1_11target_archE4294967295ELNS1_3gpuE0ELNS1_3repE0EEENS1_30default_config_static_selectorELNS0_4arch9wavefront6targetE1EEEvT1_
		.amdhsa_group_segment_fixed_size 0
		.amdhsa_private_segment_fixed_size 0
		.amdhsa_kernarg_size 40
		.amdhsa_user_sgpr_count 6
		.amdhsa_user_sgpr_private_segment_buffer 1
		.amdhsa_user_sgpr_dispatch_ptr 0
		.amdhsa_user_sgpr_queue_ptr 0
		.amdhsa_user_sgpr_kernarg_segment_ptr 1
		.amdhsa_user_sgpr_dispatch_id 0
		.amdhsa_user_sgpr_flat_scratch_init 0
		.amdhsa_user_sgpr_kernarg_preload_length 0
		.amdhsa_user_sgpr_kernarg_preload_offset 0
		.amdhsa_user_sgpr_private_segment_size 0
		.amdhsa_uses_dynamic_stack 0
		.amdhsa_system_sgpr_private_segment_wavefront_offset 0
		.amdhsa_system_sgpr_workgroup_id_x 1
		.amdhsa_system_sgpr_workgroup_id_y 0
		.amdhsa_system_sgpr_workgroup_id_z 0
		.amdhsa_system_sgpr_workgroup_info 0
		.amdhsa_system_vgpr_workitem_id 0
		.amdhsa_next_free_vgpr 1
		.amdhsa_next_free_sgpr 0
		.amdhsa_accum_offset 4
		.amdhsa_reserve_vcc 0
		.amdhsa_reserve_flat_scratch 0
		.amdhsa_float_round_mode_32 0
		.amdhsa_float_round_mode_16_64 0
		.amdhsa_float_denorm_mode_32 3
		.amdhsa_float_denorm_mode_16_64 3
		.amdhsa_dx10_clamp 1
		.amdhsa_ieee_mode 1
		.amdhsa_fp16_overflow 0
		.amdhsa_tg_split 0
		.amdhsa_exception_fp_ieee_invalid_op 0
		.amdhsa_exception_fp_denorm_src 0
		.amdhsa_exception_fp_ieee_div_zero 0
		.amdhsa_exception_fp_ieee_overflow 0
		.amdhsa_exception_fp_ieee_underflow 0
		.amdhsa_exception_fp_ieee_inexact 0
		.amdhsa_exception_int_div_zero 0
	.end_amdhsa_kernel
	.section	.text._ZN7rocprim17ROCPRIM_400000_NS6detail17trampoline_kernelINS0_14default_configENS1_20scan_config_selectorIxEEZZNS1_9scan_implILNS1_25lookback_scan_determinismE0ELb1ELb1ES3_N6thrust23THRUST_200600_302600_NS6detail15normal_iteratorINS9_10device_ptrIxEEEESE_xNS9_4plusIvEExEEDaPvRmT3_T4_T5_mT6_P12ihipStream_tbENKUlT_T0_E_clISt17integral_constantIbLb1EESU_EEDaSP_SQ_EUlSP_E0_NS1_11comp_targetILNS1_3genE0ELNS1_11target_archE4294967295ELNS1_3gpuE0ELNS1_3repE0EEENS1_30default_config_static_selectorELNS0_4arch9wavefront6targetE1EEEvT1_,"axG",@progbits,_ZN7rocprim17ROCPRIM_400000_NS6detail17trampoline_kernelINS0_14default_configENS1_20scan_config_selectorIxEEZZNS1_9scan_implILNS1_25lookback_scan_determinismE0ELb1ELb1ES3_N6thrust23THRUST_200600_302600_NS6detail15normal_iteratorINS9_10device_ptrIxEEEESE_xNS9_4plusIvEExEEDaPvRmT3_T4_T5_mT6_P12ihipStream_tbENKUlT_T0_E_clISt17integral_constantIbLb1EESU_EEDaSP_SQ_EUlSP_E0_NS1_11comp_targetILNS1_3genE0ELNS1_11target_archE4294967295ELNS1_3gpuE0ELNS1_3repE0EEENS1_30default_config_static_selectorELNS0_4arch9wavefront6targetE1EEEvT1_,comdat
.Lfunc_end153:
	.size	_ZN7rocprim17ROCPRIM_400000_NS6detail17trampoline_kernelINS0_14default_configENS1_20scan_config_selectorIxEEZZNS1_9scan_implILNS1_25lookback_scan_determinismE0ELb1ELb1ES3_N6thrust23THRUST_200600_302600_NS6detail15normal_iteratorINS9_10device_ptrIxEEEESE_xNS9_4plusIvEExEEDaPvRmT3_T4_T5_mT6_P12ihipStream_tbENKUlT_T0_E_clISt17integral_constantIbLb1EESU_EEDaSP_SQ_EUlSP_E0_NS1_11comp_targetILNS1_3genE0ELNS1_11target_archE4294967295ELNS1_3gpuE0ELNS1_3repE0EEENS1_30default_config_static_selectorELNS0_4arch9wavefront6targetE1EEEvT1_, .Lfunc_end153-_ZN7rocprim17ROCPRIM_400000_NS6detail17trampoline_kernelINS0_14default_configENS1_20scan_config_selectorIxEEZZNS1_9scan_implILNS1_25lookback_scan_determinismE0ELb1ELb1ES3_N6thrust23THRUST_200600_302600_NS6detail15normal_iteratorINS9_10device_ptrIxEEEESE_xNS9_4plusIvEExEEDaPvRmT3_T4_T5_mT6_P12ihipStream_tbENKUlT_T0_E_clISt17integral_constantIbLb1EESU_EEDaSP_SQ_EUlSP_E0_NS1_11comp_targetILNS1_3genE0ELNS1_11target_archE4294967295ELNS1_3gpuE0ELNS1_3repE0EEENS1_30default_config_static_selectorELNS0_4arch9wavefront6targetE1EEEvT1_
                                        ; -- End function
	.section	.AMDGPU.csdata,"",@progbits
; Kernel info:
; codeLenInByte = 0
; NumSgprs: 4
; NumVgprs: 0
; NumAgprs: 0
; TotalNumVgprs: 0
; ScratchSize: 0
; MemoryBound: 0
; FloatMode: 240
; IeeeMode: 1
; LDSByteSize: 0 bytes/workgroup (compile time only)
; SGPRBlocks: 0
; VGPRBlocks: 0
; NumSGPRsForWavesPerEU: 4
; NumVGPRsForWavesPerEU: 1
; AccumOffset: 4
; Occupancy: 8
; WaveLimiterHint : 0
; COMPUTE_PGM_RSRC2:SCRATCH_EN: 0
; COMPUTE_PGM_RSRC2:USER_SGPR: 6
; COMPUTE_PGM_RSRC2:TRAP_HANDLER: 0
; COMPUTE_PGM_RSRC2:TGID_X_EN: 1
; COMPUTE_PGM_RSRC2:TGID_Y_EN: 0
; COMPUTE_PGM_RSRC2:TGID_Z_EN: 0
; COMPUTE_PGM_RSRC2:TIDIG_COMP_CNT: 0
; COMPUTE_PGM_RSRC3_GFX90A:ACCUM_OFFSET: 0
; COMPUTE_PGM_RSRC3_GFX90A:TG_SPLIT: 0
	.section	.text._ZN7rocprim17ROCPRIM_400000_NS6detail17trampoline_kernelINS0_14default_configENS1_20scan_config_selectorIxEEZZNS1_9scan_implILNS1_25lookback_scan_determinismE0ELb1ELb1ES3_N6thrust23THRUST_200600_302600_NS6detail15normal_iteratorINS9_10device_ptrIxEEEESE_xNS9_4plusIvEExEEDaPvRmT3_T4_T5_mT6_P12ihipStream_tbENKUlT_T0_E_clISt17integral_constantIbLb1EESU_EEDaSP_SQ_EUlSP_E0_NS1_11comp_targetILNS1_3genE5ELNS1_11target_archE942ELNS1_3gpuE9ELNS1_3repE0EEENS1_30default_config_static_selectorELNS0_4arch9wavefront6targetE1EEEvT1_,"axG",@progbits,_ZN7rocprim17ROCPRIM_400000_NS6detail17trampoline_kernelINS0_14default_configENS1_20scan_config_selectorIxEEZZNS1_9scan_implILNS1_25lookback_scan_determinismE0ELb1ELb1ES3_N6thrust23THRUST_200600_302600_NS6detail15normal_iteratorINS9_10device_ptrIxEEEESE_xNS9_4plusIvEExEEDaPvRmT3_T4_T5_mT6_P12ihipStream_tbENKUlT_T0_E_clISt17integral_constantIbLb1EESU_EEDaSP_SQ_EUlSP_E0_NS1_11comp_targetILNS1_3genE5ELNS1_11target_archE942ELNS1_3gpuE9ELNS1_3repE0EEENS1_30default_config_static_selectorELNS0_4arch9wavefront6targetE1EEEvT1_,comdat
	.protected	_ZN7rocprim17ROCPRIM_400000_NS6detail17trampoline_kernelINS0_14default_configENS1_20scan_config_selectorIxEEZZNS1_9scan_implILNS1_25lookback_scan_determinismE0ELb1ELb1ES3_N6thrust23THRUST_200600_302600_NS6detail15normal_iteratorINS9_10device_ptrIxEEEESE_xNS9_4plusIvEExEEDaPvRmT3_T4_T5_mT6_P12ihipStream_tbENKUlT_T0_E_clISt17integral_constantIbLb1EESU_EEDaSP_SQ_EUlSP_E0_NS1_11comp_targetILNS1_3genE5ELNS1_11target_archE942ELNS1_3gpuE9ELNS1_3repE0EEENS1_30default_config_static_selectorELNS0_4arch9wavefront6targetE1EEEvT1_ ; -- Begin function _ZN7rocprim17ROCPRIM_400000_NS6detail17trampoline_kernelINS0_14default_configENS1_20scan_config_selectorIxEEZZNS1_9scan_implILNS1_25lookback_scan_determinismE0ELb1ELb1ES3_N6thrust23THRUST_200600_302600_NS6detail15normal_iteratorINS9_10device_ptrIxEEEESE_xNS9_4plusIvEExEEDaPvRmT3_T4_T5_mT6_P12ihipStream_tbENKUlT_T0_E_clISt17integral_constantIbLb1EESU_EEDaSP_SQ_EUlSP_E0_NS1_11comp_targetILNS1_3genE5ELNS1_11target_archE942ELNS1_3gpuE9ELNS1_3repE0EEENS1_30default_config_static_selectorELNS0_4arch9wavefront6targetE1EEEvT1_
	.globl	_ZN7rocprim17ROCPRIM_400000_NS6detail17trampoline_kernelINS0_14default_configENS1_20scan_config_selectorIxEEZZNS1_9scan_implILNS1_25lookback_scan_determinismE0ELb1ELb1ES3_N6thrust23THRUST_200600_302600_NS6detail15normal_iteratorINS9_10device_ptrIxEEEESE_xNS9_4plusIvEExEEDaPvRmT3_T4_T5_mT6_P12ihipStream_tbENKUlT_T0_E_clISt17integral_constantIbLb1EESU_EEDaSP_SQ_EUlSP_E0_NS1_11comp_targetILNS1_3genE5ELNS1_11target_archE942ELNS1_3gpuE9ELNS1_3repE0EEENS1_30default_config_static_selectorELNS0_4arch9wavefront6targetE1EEEvT1_
	.p2align	8
	.type	_ZN7rocprim17ROCPRIM_400000_NS6detail17trampoline_kernelINS0_14default_configENS1_20scan_config_selectorIxEEZZNS1_9scan_implILNS1_25lookback_scan_determinismE0ELb1ELb1ES3_N6thrust23THRUST_200600_302600_NS6detail15normal_iteratorINS9_10device_ptrIxEEEESE_xNS9_4plusIvEExEEDaPvRmT3_T4_T5_mT6_P12ihipStream_tbENKUlT_T0_E_clISt17integral_constantIbLb1EESU_EEDaSP_SQ_EUlSP_E0_NS1_11comp_targetILNS1_3genE5ELNS1_11target_archE942ELNS1_3gpuE9ELNS1_3repE0EEENS1_30default_config_static_selectorELNS0_4arch9wavefront6targetE1EEEvT1_,@function
_ZN7rocprim17ROCPRIM_400000_NS6detail17trampoline_kernelINS0_14default_configENS1_20scan_config_selectorIxEEZZNS1_9scan_implILNS1_25lookback_scan_determinismE0ELb1ELb1ES3_N6thrust23THRUST_200600_302600_NS6detail15normal_iteratorINS9_10device_ptrIxEEEESE_xNS9_4plusIvEExEEDaPvRmT3_T4_T5_mT6_P12ihipStream_tbENKUlT_T0_E_clISt17integral_constantIbLb1EESU_EEDaSP_SQ_EUlSP_E0_NS1_11comp_targetILNS1_3genE5ELNS1_11target_archE942ELNS1_3gpuE9ELNS1_3repE0EEENS1_30default_config_static_selectorELNS0_4arch9wavefront6targetE1EEEvT1_: ; @_ZN7rocprim17ROCPRIM_400000_NS6detail17trampoline_kernelINS0_14default_configENS1_20scan_config_selectorIxEEZZNS1_9scan_implILNS1_25lookback_scan_determinismE0ELb1ELb1ES3_N6thrust23THRUST_200600_302600_NS6detail15normal_iteratorINS9_10device_ptrIxEEEESE_xNS9_4plusIvEExEEDaPvRmT3_T4_T5_mT6_P12ihipStream_tbENKUlT_T0_E_clISt17integral_constantIbLb1EESU_EEDaSP_SQ_EUlSP_E0_NS1_11comp_targetILNS1_3genE5ELNS1_11target_archE942ELNS1_3gpuE9ELNS1_3repE0EEENS1_30default_config_static_selectorELNS0_4arch9wavefront6targetE1EEEvT1_
; %bb.0:
	.section	.rodata,"a",@progbits
	.p2align	6, 0x0
	.amdhsa_kernel _ZN7rocprim17ROCPRIM_400000_NS6detail17trampoline_kernelINS0_14default_configENS1_20scan_config_selectorIxEEZZNS1_9scan_implILNS1_25lookback_scan_determinismE0ELb1ELb1ES3_N6thrust23THRUST_200600_302600_NS6detail15normal_iteratorINS9_10device_ptrIxEEEESE_xNS9_4plusIvEExEEDaPvRmT3_T4_T5_mT6_P12ihipStream_tbENKUlT_T0_E_clISt17integral_constantIbLb1EESU_EEDaSP_SQ_EUlSP_E0_NS1_11comp_targetILNS1_3genE5ELNS1_11target_archE942ELNS1_3gpuE9ELNS1_3repE0EEENS1_30default_config_static_selectorELNS0_4arch9wavefront6targetE1EEEvT1_
		.amdhsa_group_segment_fixed_size 0
		.amdhsa_private_segment_fixed_size 0
		.amdhsa_kernarg_size 40
		.amdhsa_user_sgpr_count 6
		.amdhsa_user_sgpr_private_segment_buffer 1
		.amdhsa_user_sgpr_dispatch_ptr 0
		.amdhsa_user_sgpr_queue_ptr 0
		.amdhsa_user_sgpr_kernarg_segment_ptr 1
		.amdhsa_user_sgpr_dispatch_id 0
		.amdhsa_user_sgpr_flat_scratch_init 0
		.amdhsa_user_sgpr_kernarg_preload_length 0
		.amdhsa_user_sgpr_kernarg_preload_offset 0
		.amdhsa_user_sgpr_private_segment_size 0
		.amdhsa_uses_dynamic_stack 0
		.amdhsa_system_sgpr_private_segment_wavefront_offset 0
		.amdhsa_system_sgpr_workgroup_id_x 1
		.amdhsa_system_sgpr_workgroup_id_y 0
		.amdhsa_system_sgpr_workgroup_id_z 0
		.amdhsa_system_sgpr_workgroup_info 0
		.amdhsa_system_vgpr_workitem_id 0
		.amdhsa_next_free_vgpr 1
		.amdhsa_next_free_sgpr 0
		.amdhsa_accum_offset 4
		.amdhsa_reserve_vcc 0
		.amdhsa_reserve_flat_scratch 0
		.amdhsa_float_round_mode_32 0
		.amdhsa_float_round_mode_16_64 0
		.amdhsa_float_denorm_mode_32 3
		.amdhsa_float_denorm_mode_16_64 3
		.amdhsa_dx10_clamp 1
		.amdhsa_ieee_mode 1
		.amdhsa_fp16_overflow 0
		.amdhsa_tg_split 0
		.amdhsa_exception_fp_ieee_invalid_op 0
		.amdhsa_exception_fp_denorm_src 0
		.amdhsa_exception_fp_ieee_div_zero 0
		.amdhsa_exception_fp_ieee_overflow 0
		.amdhsa_exception_fp_ieee_underflow 0
		.amdhsa_exception_fp_ieee_inexact 0
		.amdhsa_exception_int_div_zero 0
	.end_amdhsa_kernel
	.section	.text._ZN7rocprim17ROCPRIM_400000_NS6detail17trampoline_kernelINS0_14default_configENS1_20scan_config_selectorIxEEZZNS1_9scan_implILNS1_25lookback_scan_determinismE0ELb1ELb1ES3_N6thrust23THRUST_200600_302600_NS6detail15normal_iteratorINS9_10device_ptrIxEEEESE_xNS9_4plusIvEExEEDaPvRmT3_T4_T5_mT6_P12ihipStream_tbENKUlT_T0_E_clISt17integral_constantIbLb1EESU_EEDaSP_SQ_EUlSP_E0_NS1_11comp_targetILNS1_3genE5ELNS1_11target_archE942ELNS1_3gpuE9ELNS1_3repE0EEENS1_30default_config_static_selectorELNS0_4arch9wavefront6targetE1EEEvT1_,"axG",@progbits,_ZN7rocprim17ROCPRIM_400000_NS6detail17trampoline_kernelINS0_14default_configENS1_20scan_config_selectorIxEEZZNS1_9scan_implILNS1_25lookback_scan_determinismE0ELb1ELb1ES3_N6thrust23THRUST_200600_302600_NS6detail15normal_iteratorINS9_10device_ptrIxEEEESE_xNS9_4plusIvEExEEDaPvRmT3_T4_T5_mT6_P12ihipStream_tbENKUlT_T0_E_clISt17integral_constantIbLb1EESU_EEDaSP_SQ_EUlSP_E0_NS1_11comp_targetILNS1_3genE5ELNS1_11target_archE942ELNS1_3gpuE9ELNS1_3repE0EEENS1_30default_config_static_selectorELNS0_4arch9wavefront6targetE1EEEvT1_,comdat
.Lfunc_end154:
	.size	_ZN7rocprim17ROCPRIM_400000_NS6detail17trampoline_kernelINS0_14default_configENS1_20scan_config_selectorIxEEZZNS1_9scan_implILNS1_25lookback_scan_determinismE0ELb1ELb1ES3_N6thrust23THRUST_200600_302600_NS6detail15normal_iteratorINS9_10device_ptrIxEEEESE_xNS9_4plusIvEExEEDaPvRmT3_T4_T5_mT6_P12ihipStream_tbENKUlT_T0_E_clISt17integral_constantIbLb1EESU_EEDaSP_SQ_EUlSP_E0_NS1_11comp_targetILNS1_3genE5ELNS1_11target_archE942ELNS1_3gpuE9ELNS1_3repE0EEENS1_30default_config_static_selectorELNS0_4arch9wavefront6targetE1EEEvT1_, .Lfunc_end154-_ZN7rocprim17ROCPRIM_400000_NS6detail17trampoline_kernelINS0_14default_configENS1_20scan_config_selectorIxEEZZNS1_9scan_implILNS1_25lookback_scan_determinismE0ELb1ELb1ES3_N6thrust23THRUST_200600_302600_NS6detail15normal_iteratorINS9_10device_ptrIxEEEESE_xNS9_4plusIvEExEEDaPvRmT3_T4_T5_mT6_P12ihipStream_tbENKUlT_T0_E_clISt17integral_constantIbLb1EESU_EEDaSP_SQ_EUlSP_E0_NS1_11comp_targetILNS1_3genE5ELNS1_11target_archE942ELNS1_3gpuE9ELNS1_3repE0EEENS1_30default_config_static_selectorELNS0_4arch9wavefront6targetE1EEEvT1_
                                        ; -- End function
	.section	.AMDGPU.csdata,"",@progbits
; Kernel info:
; codeLenInByte = 0
; NumSgprs: 4
; NumVgprs: 0
; NumAgprs: 0
; TotalNumVgprs: 0
; ScratchSize: 0
; MemoryBound: 0
; FloatMode: 240
; IeeeMode: 1
; LDSByteSize: 0 bytes/workgroup (compile time only)
; SGPRBlocks: 0
; VGPRBlocks: 0
; NumSGPRsForWavesPerEU: 4
; NumVGPRsForWavesPerEU: 1
; AccumOffset: 4
; Occupancy: 8
; WaveLimiterHint : 0
; COMPUTE_PGM_RSRC2:SCRATCH_EN: 0
; COMPUTE_PGM_RSRC2:USER_SGPR: 6
; COMPUTE_PGM_RSRC2:TRAP_HANDLER: 0
; COMPUTE_PGM_RSRC2:TGID_X_EN: 1
; COMPUTE_PGM_RSRC2:TGID_Y_EN: 0
; COMPUTE_PGM_RSRC2:TGID_Z_EN: 0
; COMPUTE_PGM_RSRC2:TIDIG_COMP_CNT: 0
; COMPUTE_PGM_RSRC3_GFX90A:ACCUM_OFFSET: 0
; COMPUTE_PGM_RSRC3_GFX90A:TG_SPLIT: 0
	.section	.text._ZN7rocprim17ROCPRIM_400000_NS6detail17trampoline_kernelINS0_14default_configENS1_20scan_config_selectorIxEEZZNS1_9scan_implILNS1_25lookback_scan_determinismE0ELb1ELb1ES3_N6thrust23THRUST_200600_302600_NS6detail15normal_iteratorINS9_10device_ptrIxEEEESE_xNS9_4plusIvEExEEDaPvRmT3_T4_T5_mT6_P12ihipStream_tbENKUlT_T0_E_clISt17integral_constantIbLb1EESU_EEDaSP_SQ_EUlSP_E0_NS1_11comp_targetILNS1_3genE4ELNS1_11target_archE910ELNS1_3gpuE8ELNS1_3repE0EEENS1_30default_config_static_selectorELNS0_4arch9wavefront6targetE1EEEvT1_,"axG",@progbits,_ZN7rocprim17ROCPRIM_400000_NS6detail17trampoline_kernelINS0_14default_configENS1_20scan_config_selectorIxEEZZNS1_9scan_implILNS1_25lookback_scan_determinismE0ELb1ELb1ES3_N6thrust23THRUST_200600_302600_NS6detail15normal_iteratorINS9_10device_ptrIxEEEESE_xNS9_4plusIvEExEEDaPvRmT3_T4_T5_mT6_P12ihipStream_tbENKUlT_T0_E_clISt17integral_constantIbLb1EESU_EEDaSP_SQ_EUlSP_E0_NS1_11comp_targetILNS1_3genE4ELNS1_11target_archE910ELNS1_3gpuE8ELNS1_3repE0EEENS1_30default_config_static_selectorELNS0_4arch9wavefront6targetE1EEEvT1_,comdat
	.protected	_ZN7rocprim17ROCPRIM_400000_NS6detail17trampoline_kernelINS0_14default_configENS1_20scan_config_selectorIxEEZZNS1_9scan_implILNS1_25lookback_scan_determinismE0ELb1ELb1ES3_N6thrust23THRUST_200600_302600_NS6detail15normal_iteratorINS9_10device_ptrIxEEEESE_xNS9_4plusIvEExEEDaPvRmT3_T4_T5_mT6_P12ihipStream_tbENKUlT_T0_E_clISt17integral_constantIbLb1EESU_EEDaSP_SQ_EUlSP_E0_NS1_11comp_targetILNS1_3genE4ELNS1_11target_archE910ELNS1_3gpuE8ELNS1_3repE0EEENS1_30default_config_static_selectorELNS0_4arch9wavefront6targetE1EEEvT1_ ; -- Begin function _ZN7rocprim17ROCPRIM_400000_NS6detail17trampoline_kernelINS0_14default_configENS1_20scan_config_selectorIxEEZZNS1_9scan_implILNS1_25lookback_scan_determinismE0ELb1ELb1ES3_N6thrust23THRUST_200600_302600_NS6detail15normal_iteratorINS9_10device_ptrIxEEEESE_xNS9_4plusIvEExEEDaPvRmT3_T4_T5_mT6_P12ihipStream_tbENKUlT_T0_E_clISt17integral_constantIbLb1EESU_EEDaSP_SQ_EUlSP_E0_NS1_11comp_targetILNS1_3genE4ELNS1_11target_archE910ELNS1_3gpuE8ELNS1_3repE0EEENS1_30default_config_static_selectorELNS0_4arch9wavefront6targetE1EEEvT1_
	.globl	_ZN7rocprim17ROCPRIM_400000_NS6detail17trampoline_kernelINS0_14default_configENS1_20scan_config_selectorIxEEZZNS1_9scan_implILNS1_25lookback_scan_determinismE0ELb1ELb1ES3_N6thrust23THRUST_200600_302600_NS6detail15normal_iteratorINS9_10device_ptrIxEEEESE_xNS9_4plusIvEExEEDaPvRmT3_T4_T5_mT6_P12ihipStream_tbENKUlT_T0_E_clISt17integral_constantIbLb1EESU_EEDaSP_SQ_EUlSP_E0_NS1_11comp_targetILNS1_3genE4ELNS1_11target_archE910ELNS1_3gpuE8ELNS1_3repE0EEENS1_30default_config_static_selectorELNS0_4arch9wavefront6targetE1EEEvT1_
	.p2align	8
	.type	_ZN7rocprim17ROCPRIM_400000_NS6detail17trampoline_kernelINS0_14default_configENS1_20scan_config_selectorIxEEZZNS1_9scan_implILNS1_25lookback_scan_determinismE0ELb1ELb1ES3_N6thrust23THRUST_200600_302600_NS6detail15normal_iteratorINS9_10device_ptrIxEEEESE_xNS9_4plusIvEExEEDaPvRmT3_T4_T5_mT6_P12ihipStream_tbENKUlT_T0_E_clISt17integral_constantIbLb1EESU_EEDaSP_SQ_EUlSP_E0_NS1_11comp_targetILNS1_3genE4ELNS1_11target_archE910ELNS1_3gpuE8ELNS1_3repE0EEENS1_30default_config_static_selectorELNS0_4arch9wavefront6targetE1EEEvT1_,@function
_ZN7rocprim17ROCPRIM_400000_NS6detail17trampoline_kernelINS0_14default_configENS1_20scan_config_selectorIxEEZZNS1_9scan_implILNS1_25lookback_scan_determinismE0ELb1ELb1ES3_N6thrust23THRUST_200600_302600_NS6detail15normal_iteratorINS9_10device_ptrIxEEEESE_xNS9_4plusIvEExEEDaPvRmT3_T4_T5_mT6_P12ihipStream_tbENKUlT_T0_E_clISt17integral_constantIbLb1EESU_EEDaSP_SQ_EUlSP_E0_NS1_11comp_targetILNS1_3genE4ELNS1_11target_archE910ELNS1_3gpuE8ELNS1_3repE0EEENS1_30default_config_static_selectorELNS0_4arch9wavefront6targetE1EEEvT1_: ; @_ZN7rocprim17ROCPRIM_400000_NS6detail17trampoline_kernelINS0_14default_configENS1_20scan_config_selectorIxEEZZNS1_9scan_implILNS1_25lookback_scan_determinismE0ELb1ELb1ES3_N6thrust23THRUST_200600_302600_NS6detail15normal_iteratorINS9_10device_ptrIxEEEESE_xNS9_4plusIvEExEEDaPvRmT3_T4_T5_mT6_P12ihipStream_tbENKUlT_T0_E_clISt17integral_constantIbLb1EESU_EEDaSP_SQ_EUlSP_E0_NS1_11comp_targetILNS1_3genE4ELNS1_11target_archE910ELNS1_3gpuE8ELNS1_3repE0EEENS1_30default_config_static_selectorELNS0_4arch9wavefront6targetE1EEEvT1_
; %bb.0:
	s_load_dwordx4 s[16:19], s[4:5], 0x0
	v_lshlrev_b32_e32 v20, 3, v0
	s_waitcnt lgkmcnt(0)
	s_load_dwordx2 s[14:15], s[16:17], 0x0
	v_cmp_gt_u32_e32 vcc, s18, v0
	s_waitcnt lgkmcnt(0)
	v_pk_mov_b32 v[2:3], s[14:15], s[14:15] op_sel:[0,1]
	s_and_saveexec_b64 s[0:1], vcc
	s_cbranch_execz .LBB155_2
; %bb.1:
	global_load_dwordx2 v[2:3], v20, s[16:17]
.LBB155_2:
	s_or_b64 exec, exec, s[0:1]
	v_or_b32_e32 v1, 0x80, v0
	v_cmp_gt_u32_e64 s[0:1], s18, v1
	v_pk_mov_b32 v[4:5], s[14:15], s[14:15] op_sel:[0,1]
	s_and_saveexec_b64 s[2:3], s[0:1]
	s_cbranch_execz .LBB155_4
; %bb.3:
	global_load_dwordx2 v[4:5], v20, s[16:17] offset:1024
.LBB155_4:
	s_or_b64 exec, exec, s[2:3]
	v_or_b32_e32 v1, 0x100, v0
	v_cmp_gt_u32_e64 s[2:3], s18, v1
	v_pk_mov_b32 v[6:7], s[14:15], s[14:15] op_sel:[0,1]
	s_and_saveexec_b64 s[6:7], s[2:3]
	s_cbranch_execz .LBB155_6
; %bb.5:
	global_load_dwordx2 v[6:7], v20, s[16:17] offset:2048
.LBB155_6:
	;; [unrolled: 9-line block ×3, first 2 shown]
	s_or_b64 exec, exec, s[6:7]
	v_or_b32_e32 v1, 0x200, v0
	v_cmp_gt_u32_e64 s[6:7], s18, v1
	v_pk_mov_b32 v[10:11], s[14:15], s[14:15] op_sel:[0,1]
	s_and_saveexec_b64 s[8:9], s[6:7]
	s_cbranch_execz .LBB155_10
; %bb.9:
	v_lshlrev_b32_e32 v1, 3, v1
	global_load_dwordx2 v[10:11], v1, s[16:17]
.LBB155_10:
	s_or_b64 exec, exec, s[8:9]
	v_or_b32_e32 v1, 0x280, v0
	v_cmp_gt_u32_e64 s[8:9], s18, v1
	v_pk_mov_b32 v[12:13], s[14:15], s[14:15] op_sel:[0,1]
	s_and_saveexec_b64 s[10:11], s[8:9]
	s_cbranch_execz .LBB155_12
; %bb.11:
	v_lshlrev_b32_e32 v1, 3, v1
	global_load_dwordx2 v[12:13], v1, s[16:17]
.LBB155_12:
	s_or_b64 exec, exec, s[10:11]
	s_load_dwordx2 s[20:21], s[4:5], 0x10
	v_or_b32_e32 v1, 0x300, v0
	v_cmp_gt_u32_e64 s[10:11], s18, v1
	v_pk_mov_b32 v[14:15], s[14:15], s[14:15] op_sel:[0,1]
	s_and_saveexec_b64 s[14:15], s[10:11]
	s_cbranch_execz .LBB155_14
; %bb.13:
	v_lshlrev_b32_e32 v1, 3, v1
	global_load_dwordx2 v[14:15], v1, s[16:17]
.LBB155_14:
	s_or_b64 exec, exec, s[14:15]
	v_mad_u32_u24 v1, v0, 48, v20
	s_waitcnt vmcnt(0)
	ds_write2st64_b64 v20, v[2:3], v[4:5] offset1:2
	ds_write2st64_b64 v20, v[6:7], v[8:9] offset0:4 offset1:6
	ds_write2st64_b64 v20, v[10:11], v[12:13] offset0:8 offset1:10
	ds_write_b64 v20, v[14:15] offset:6144
	s_waitcnt lgkmcnt(0)
	s_barrier
	ds_read2_b64 v[2:5], v1 offset1:1
	ds_read2_b64 v[6:9], v1 offset0:2 offset1:3
	ds_read2_b64 v[10:13], v1 offset0:4 offset1:5
	ds_read_b64 v[14:15], v1 offset:48
	s_load_dwordx2 s[16:17], s[4:5], 0x20
	s_waitcnt lgkmcnt(0)
	v_add_co_u32_e64 v1, s[4:5], v4, v2
	v_addc_co_u32_e64 v16, s[4:5], v5, v3, s[4:5]
	v_add_co_u32_e64 v1, s[4:5], v1, v6
	v_addc_co_u32_e64 v16, s[4:5], v16, v7, s[4:5]
	;; [unrolled: 2-line block ×5, first 2 shown]
	v_add_co_u32_e64 v18, s[4:5], v1, v14
	v_lshrrev_b32_e32 v1, 2, v0
	v_addc_co_u32_e64 v19, s[4:5], v16, v15, s[4:5]
	v_and_b32_e32 v1, 24, v1
	v_add_u32_e32 v1, v20, v1
	v_cmp_gt_u32_e64 s[4:5], 64, v0
	s_barrier
	ds_write_b64 v1, v[18:19]
	s_waitcnt lgkmcnt(0)
	s_barrier
	s_and_saveexec_b64 s[18:19], s[4:5]
	s_cbranch_execz .LBB155_18
; %bb.15:
	v_lshlrev_b32_e32 v1, 1, v0
	v_lshrrev_b32_e32 v14, 4, v0
	v_add_lshl_u32 v21, v14, v1, 3
	ds_read2_b64 v[14:17], v21 offset1:1
	v_mbcnt_lo_u32_b32 v1, -1, 0
	s_waitcnt lgkmcnt(0)
	v_add_co_u32_e64 v22, s[4:5], v16, v14
	v_addc_co_u32_e64 v23, s[4:5], v17, v15, s[4:5]
	s_nop 0
	v_mov_b32_dpp v16, v22 row_shr:1 row_mask:0xf bank_mask:0xf
	v_add_co_u32_e64 v16, s[4:5], v22, v16
	v_addc_co_u32_e64 v25, s[4:5], 0, v23, s[4:5]
	v_mbcnt_hi_u32_b32 v17, -1, v1
	v_mov_b32_dpp v24, v23 row_shr:1 row_mask:0xf bank_mask:0xf
	v_add_co_u32_e64 v26, s[4:5], 0, v16
	v_and_b32_e32 v1, 15, v17
	v_addc_co_u32_e64 v24, s[4:5], v24, v25, s[4:5]
	v_cmp_eq_u32_e64 s[4:5], 0, v1
	v_cndmask_b32_e64 v16, v16, v22, s[4:5]
	v_cndmask_b32_e64 v24, v24, v23, s[4:5]
	v_cndmask_b32_e64 v25, v26, v22, s[4:5]
	v_mov_b32_dpp v26, v16 row_shr:2 row_mask:0xf bank_mask:0xf
	v_mov_b32_dpp v27, v24 row_shr:2 row_mask:0xf bank_mask:0xf
	v_add_co_u32_e64 v26, s[4:5], v26, v25
	v_addc_co_u32_e64 v27, s[4:5], v27, v24, s[4:5]
	v_cmp_lt_u32_e64 s[4:5], 1, v1
	v_cndmask_b32_e64 v16, v16, v26, s[4:5]
	v_cndmask_b32_e64 v24, v24, v27, s[4:5]
	v_cndmask_b32_e64 v25, v25, v26, s[4:5]
	v_mov_b32_dpp v26, v16 row_shr:4 row_mask:0xf bank_mask:0xf
	v_mov_b32_dpp v27, v24 row_shr:4 row_mask:0xf bank_mask:0xf
	v_add_co_u32_e64 v26, s[4:5], v26, v25
	v_addc_co_u32_e64 v27, s[4:5], v27, v24, s[4:5]
	v_cmp_lt_u32_e64 s[4:5], 3, v1
	;; [unrolled: 8-line block ×3, first 2 shown]
	v_cndmask_b32_e64 v28, v16, v26, s[4:5]
	v_cndmask_b32_e64 v1, v24, v27, s[4:5]
	;; [unrolled: 1-line block ×3, first 2 shown]
	v_mov_b32_dpp v24, v28 row_bcast:15 row_mask:0xf bank_mask:0xf
	v_mov_b32_dpp v25, v1 row_bcast:15 row_mask:0xf bank_mask:0xf
	v_add_co_u32_e64 v24, s[4:5], v24, v16
	v_and_b32_e32 v27, 16, v17
	v_addc_co_u32_e64 v26, s[4:5], v25, v1, s[4:5]
	v_cmp_eq_u32_e64 s[4:5], 0, v27
	v_cndmask_b32_e64 v27, v26, v1, s[4:5]
	v_cndmask_b32_e64 v25, v24, v28, s[4:5]
	v_cmp_ne_u32_e64 s[14:15], 0, v17
	v_mov_b32_dpp v27, v27 row_bcast:31 row_mask:0xf bank_mask:0xf
	v_mov_b32_dpp v25, v25 row_bcast:31 row_mask:0xf bank_mask:0xf
	s_and_saveexec_b64 s[22:23], s[14:15]
; %bb.16:
	v_cndmask_b32_e64 v1, v26, v1, s[4:5]
	v_cndmask_b32_e64 v16, v24, v16, s[4:5]
	v_cmp_lt_u32_e64 s[4:5], 31, v17
	v_cndmask_b32_e64 v22, 0, v25, s[4:5]
	v_cndmask_b32_e64 v23, 0, v27, s[4:5]
	v_add_co_u32_e64 v22, s[4:5], v22, v16
	v_addc_co_u32_e64 v23, s[4:5], v23, v1, s[4:5]
; %bb.17:
	s_or_b64 exec, exec, s[22:23]
	v_add_u32_e32 v1, -1, v17
	v_and_b32_e32 v16, 64, v17
	v_cmp_lt_i32_e64 s[4:5], v1, v16
	v_cndmask_b32_e64 v1, v1, v17, s[4:5]
	v_lshlrev_b32_e32 v1, 2, v1
	ds_bpermute_b32 v16, v1, v22
	ds_bpermute_b32 v1, v1, v23
	; wave barrier
	s_waitcnt lgkmcnt(1)
	v_add_co_u32_e64 v14, s[4:5], v14, v16
	v_addc_co_u32_e64 v15, s[4:5], 0, v15, s[4:5]
	v_add_co_u32_e64 v14, s[4:5], 0, v14
	s_waitcnt lgkmcnt(0)
	v_addc_co_u32_e64 v1, s[4:5], v15, v1, s[4:5]
	v_cmp_eq_u32_e64 s[4:5], 0, v0
	v_cndmask_b32_e64 v15, v1, v19, s[4:5]
	v_cndmask_b32_e64 v14, v14, v18, s[4:5]
	ds_write_b64 v21, v[14:15]
	; wave barrier
	ds_read_b64 v[16:17], v21 offset:8
	s_waitcnt lgkmcnt(0)
	v_add_co_u32_e64 v14, s[4:5], v16, v14
	v_addc_co_u32_e64 v15, s[4:5], v17, v15, s[4:5]
	ds_write_b64 v21, v[14:15] offset:8
.LBB155_18:
	s_or_b64 exec, exec, s[18:19]
	v_mul_u32_u24_e32 v1, 48, v0
	v_cmp_ne_u32_e64 s[4:5], 0, v0
	v_pk_mov_b32 v[14:15], s[20:21], s[20:21] op_sel:[0,1]
	s_waitcnt lgkmcnt(0)
	s_barrier
	s_and_saveexec_b64 s[14:15], s[4:5]
	s_cbranch_execz .LBB155_20
; %bb.19:
	v_add_u32_e32 v0, -1, v0
	v_lshrrev_b32_e32 v14, 5, v0
	v_add_lshl_u32 v0, v14, v0, 3
	ds_read_b64 v[14:15], v0
	v_mov_b32_e32 v0, s21
	s_waitcnt lgkmcnt(0)
	v_add_co_u32_e64 v14, s[4:5], s20, v14
	v_addc_co_u32_e64 v15, s[4:5], v15, v0, s[4:5]
.LBB155_20:
	s_or_b64 exec, exec, s[14:15]
	v_add_co_u32_e64 v2, s[4:5], v14, v2
	v_addc_co_u32_e64 v3, s[4:5], v15, v3, s[4:5]
	v_add_co_u32_e64 v4, s[4:5], v2, v4
	v_addc_co_u32_e64 v5, s[4:5], v3, v5, s[4:5]
	v_add_co_u32_e64 v6, s[4:5], v4, v6
	v_addc_co_u32_e64 v7, s[4:5], v5, v7, s[4:5]
	v_add_co_u32_e64 v8, s[4:5], v6, v8
	v_addc_co_u32_e64 v9, s[4:5], v7, v9, s[4:5]
	v_add_co_u32_e64 v10, s[4:5], v8, v10
	v_addc_co_u32_e64 v11, s[4:5], v9, v11, s[4:5]
	v_add_co_u32_e64 v12, s[4:5], v10, v12
	v_add_u32_e32 v0, v20, v1
	v_addc_co_u32_e64 v13, s[4:5], v11, v13, s[4:5]
	s_barrier
	ds_write2_b64 v0, v[14:15], v[2:3] offset1:1
	ds_write2_b64 v0, v[4:5], v[6:7] offset0:2 offset1:3
	ds_write2_b64 v0, v[8:9], v[10:11] offset0:4 offset1:5
	ds_write_b64 v0, v[12:13] offset:48
	s_waitcnt lgkmcnt(0)
	s_barrier
	ds_read2st64_b64 v[8:11], v20 offset0:2 offset1:4
	ds_read2st64_b64 v[4:7], v20 offset0:6 offset1:8
	;; [unrolled: 1-line block ×3, first 2 shown]
	v_mov_b32_e32 v13, s17
	v_add_co_u32_e64 v12, s[4:5], s16, v20
	v_addc_co_u32_e64 v13, s[4:5], 0, v13, s[4:5]
	s_and_saveexec_b64 s[4:5], vcc
	s_cbranch_execnz .LBB155_28
; %bb.21:
	s_or_b64 exec, exec, s[4:5]
	s_and_saveexec_b64 s[4:5], s[0:1]
	s_cbranch_execnz .LBB155_29
.LBB155_22:
	s_or_b64 exec, exec, s[4:5]
	s_and_saveexec_b64 s[0:1], s[2:3]
	s_cbranch_execnz .LBB155_30
.LBB155_23:
	s_or_b64 exec, exec, s[0:1]
	s_and_saveexec_b64 s[0:1], s[12:13]
	s_cbranch_execnz .LBB155_31
.LBB155_24:
	s_or_b64 exec, exec, s[0:1]
	s_and_saveexec_b64 s[0:1], s[6:7]
	s_cbranch_execnz .LBB155_32
.LBB155_25:
	s_or_b64 exec, exec, s[0:1]
	s_and_saveexec_b64 s[0:1], s[8:9]
	s_cbranch_execnz .LBB155_33
.LBB155_26:
	s_or_b64 exec, exec, s[0:1]
	s_and_saveexec_b64 s[0:1], s[10:11]
	s_cbranch_execnz .LBB155_34
.LBB155_27:
	s_endpgm
.LBB155_28:
	ds_read_b64 v[14:15], v20
	s_waitcnt lgkmcnt(0)
	global_store_dwordx2 v[12:13], v[14:15], off
	s_or_b64 exec, exec, s[4:5]
	s_and_saveexec_b64 s[4:5], s[0:1]
	s_cbranch_execz .LBB155_22
.LBB155_29:
	s_waitcnt lgkmcnt(2)
	global_store_dwordx2 v[12:13], v[8:9], off offset:1024
	s_or_b64 exec, exec, s[4:5]
	s_and_saveexec_b64 s[0:1], s[2:3]
	s_cbranch_execz .LBB155_23
.LBB155_30:
	s_waitcnt lgkmcnt(2)
	global_store_dwordx2 v[12:13], v[10:11], off offset:2048
	s_or_b64 exec, exec, s[0:1]
	s_and_saveexec_b64 s[0:1], s[12:13]
	s_cbranch_execz .LBB155_24
.LBB155_31:
	s_waitcnt lgkmcnt(1)
	global_store_dwordx2 v[12:13], v[4:5], off offset:3072
	s_or_b64 exec, exec, s[0:1]
	s_and_saveexec_b64 s[0:1], s[6:7]
	s_cbranch_execz .LBB155_25
.LBB155_32:
	s_waitcnt lgkmcnt(1)
	v_add_co_u32_e32 v4, vcc, 0x1000, v12
	v_addc_co_u32_e32 v5, vcc, 0, v13, vcc
	global_store_dwordx2 v[4:5], v[6:7], off
	s_or_b64 exec, exec, s[0:1]
	s_and_saveexec_b64 s[0:1], s[8:9]
	s_cbranch_execz .LBB155_26
.LBB155_33:
	s_waitcnt lgkmcnt(1)
	v_add_co_u32_e32 v4, vcc, 0x1000, v12
	v_addc_co_u32_e32 v5, vcc, 0, v13, vcc
	s_waitcnt lgkmcnt(0)
	global_store_dwordx2 v[4:5], v[0:1], off offset:1024
	s_or_b64 exec, exec, s[0:1]
	s_and_saveexec_b64 s[0:1], s[10:11]
	s_cbranch_execz .LBB155_27
.LBB155_34:
	s_waitcnt lgkmcnt(0)
	v_add_co_u32_e32 v0, vcc, 0x1000, v12
	v_addc_co_u32_e32 v1, vcc, 0, v13, vcc
	global_store_dwordx2 v[0:1], v[2:3], off offset:2048
	s_endpgm
	.section	.rodata,"a",@progbits
	.p2align	6, 0x0
	.amdhsa_kernel _ZN7rocprim17ROCPRIM_400000_NS6detail17trampoline_kernelINS0_14default_configENS1_20scan_config_selectorIxEEZZNS1_9scan_implILNS1_25lookback_scan_determinismE0ELb1ELb1ES3_N6thrust23THRUST_200600_302600_NS6detail15normal_iteratorINS9_10device_ptrIxEEEESE_xNS9_4plusIvEExEEDaPvRmT3_T4_T5_mT6_P12ihipStream_tbENKUlT_T0_E_clISt17integral_constantIbLb1EESU_EEDaSP_SQ_EUlSP_E0_NS1_11comp_targetILNS1_3genE4ELNS1_11target_archE910ELNS1_3gpuE8ELNS1_3repE0EEENS1_30default_config_static_selectorELNS0_4arch9wavefront6targetE1EEEvT1_
		.amdhsa_group_segment_fixed_size 7168
		.amdhsa_private_segment_fixed_size 0
		.amdhsa_kernarg_size 40
		.amdhsa_user_sgpr_count 6
		.amdhsa_user_sgpr_private_segment_buffer 1
		.amdhsa_user_sgpr_dispatch_ptr 0
		.amdhsa_user_sgpr_queue_ptr 0
		.amdhsa_user_sgpr_kernarg_segment_ptr 1
		.amdhsa_user_sgpr_dispatch_id 0
		.amdhsa_user_sgpr_flat_scratch_init 0
		.amdhsa_user_sgpr_kernarg_preload_length 0
		.amdhsa_user_sgpr_kernarg_preload_offset 0
		.amdhsa_user_sgpr_private_segment_size 0
		.amdhsa_uses_dynamic_stack 0
		.amdhsa_system_sgpr_private_segment_wavefront_offset 0
		.amdhsa_system_sgpr_workgroup_id_x 1
		.amdhsa_system_sgpr_workgroup_id_y 0
		.amdhsa_system_sgpr_workgroup_id_z 0
		.amdhsa_system_sgpr_workgroup_info 0
		.amdhsa_system_vgpr_workitem_id 0
		.amdhsa_next_free_vgpr 29
		.amdhsa_next_free_sgpr 24
		.amdhsa_accum_offset 32
		.amdhsa_reserve_vcc 1
		.amdhsa_reserve_flat_scratch 0
		.amdhsa_float_round_mode_32 0
		.amdhsa_float_round_mode_16_64 0
		.amdhsa_float_denorm_mode_32 3
		.amdhsa_float_denorm_mode_16_64 3
		.amdhsa_dx10_clamp 1
		.amdhsa_ieee_mode 1
		.amdhsa_fp16_overflow 0
		.amdhsa_tg_split 0
		.amdhsa_exception_fp_ieee_invalid_op 0
		.amdhsa_exception_fp_denorm_src 0
		.amdhsa_exception_fp_ieee_div_zero 0
		.amdhsa_exception_fp_ieee_overflow 0
		.amdhsa_exception_fp_ieee_underflow 0
		.amdhsa_exception_fp_ieee_inexact 0
		.amdhsa_exception_int_div_zero 0
	.end_amdhsa_kernel
	.section	.text._ZN7rocprim17ROCPRIM_400000_NS6detail17trampoline_kernelINS0_14default_configENS1_20scan_config_selectorIxEEZZNS1_9scan_implILNS1_25lookback_scan_determinismE0ELb1ELb1ES3_N6thrust23THRUST_200600_302600_NS6detail15normal_iteratorINS9_10device_ptrIxEEEESE_xNS9_4plusIvEExEEDaPvRmT3_T4_T5_mT6_P12ihipStream_tbENKUlT_T0_E_clISt17integral_constantIbLb1EESU_EEDaSP_SQ_EUlSP_E0_NS1_11comp_targetILNS1_3genE4ELNS1_11target_archE910ELNS1_3gpuE8ELNS1_3repE0EEENS1_30default_config_static_selectorELNS0_4arch9wavefront6targetE1EEEvT1_,"axG",@progbits,_ZN7rocprim17ROCPRIM_400000_NS6detail17trampoline_kernelINS0_14default_configENS1_20scan_config_selectorIxEEZZNS1_9scan_implILNS1_25lookback_scan_determinismE0ELb1ELb1ES3_N6thrust23THRUST_200600_302600_NS6detail15normal_iteratorINS9_10device_ptrIxEEEESE_xNS9_4plusIvEExEEDaPvRmT3_T4_T5_mT6_P12ihipStream_tbENKUlT_T0_E_clISt17integral_constantIbLb1EESU_EEDaSP_SQ_EUlSP_E0_NS1_11comp_targetILNS1_3genE4ELNS1_11target_archE910ELNS1_3gpuE8ELNS1_3repE0EEENS1_30default_config_static_selectorELNS0_4arch9wavefront6targetE1EEEvT1_,comdat
.Lfunc_end155:
	.size	_ZN7rocprim17ROCPRIM_400000_NS6detail17trampoline_kernelINS0_14default_configENS1_20scan_config_selectorIxEEZZNS1_9scan_implILNS1_25lookback_scan_determinismE0ELb1ELb1ES3_N6thrust23THRUST_200600_302600_NS6detail15normal_iteratorINS9_10device_ptrIxEEEESE_xNS9_4plusIvEExEEDaPvRmT3_T4_T5_mT6_P12ihipStream_tbENKUlT_T0_E_clISt17integral_constantIbLb1EESU_EEDaSP_SQ_EUlSP_E0_NS1_11comp_targetILNS1_3genE4ELNS1_11target_archE910ELNS1_3gpuE8ELNS1_3repE0EEENS1_30default_config_static_selectorELNS0_4arch9wavefront6targetE1EEEvT1_, .Lfunc_end155-_ZN7rocprim17ROCPRIM_400000_NS6detail17trampoline_kernelINS0_14default_configENS1_20scan_config_selectorIxEEZZNS1_9scan_implILNS1_25lookback_scan_determinismE0ELb1ELb1ES3_N6thrust23THRUST_200600_302600_NS6detail15normal_iteratorINS9_10device_ptrIxEEEESE_xNS9_4plusIvEExEEDaPvRmT3_T4_T5_mT6_P12ihipStream_tbENKUlT_T0_E_clISt17integral_constantIbLb1EESU_EEDaSP_SQ_EUlSP_E0_NS1_11comp_targetILNS1_3genE4ELNS1_11target_archE910ELNS1_3gpuE8ELNS1_3repE0EEENS1_30default_config_static_selectorELNS0_4arch9wavefront6targetE1EEEvT1_
                                        ; -- End function
	.section	.AMDGPU.csdata,"",@progbits
; Kernel info:
; codeLenInByte = 1796
; NumSgprs: 28
; NumVgprs: 29
; NumAgprs: 0
; TotalNumVgprs: 29
; ScratchSize: 0
; MemoryBound: 0
; FloatMode: 240
; IeeeMode: 1
; LDSByteSize: 7168 bytes/workgroup (compile time only)
; SGPRBlocks: 3
; VGPRBlocks: 3
; NumSGPRsForWavesPerEU: 28
; NumVGPRsForWavesPerEU: 29
; AccumOffset: 32
; Occupancy: 5
; WaveLimiterHint : 0
; COMPUTE_PGM_RSRC2:SCRATCH_EN: 0
; COMPUTE_PGM_RSRC2:USER_SGPR: 6
; COMPUTE_PGM_RSRC2:TRAP_HANDLER: 0
; COMPUTE_PGM_RSRC2:TGID_X_EN: 1
; COMPUTE_PGM_RSRC2:TGID_Y_EN: 0
; COMPUTE_PGM_RSRC2:TGID_Z_EN: 0
; COMPUTE_PGM_RSRC2:TIDIG_COMP_CNT: 0
; COMPUTE_PGM_RSRC3_GFX90A:ACCUM_OFFSET: 7
; COMPUTE_PGM_RSRC3_GFX90A:TG_SPLIT: 0
	.section	.text._ZN7rocprim17ROCPRIM_400000_NS6detail17trampoline_kernelINS0_14default_configENS1_20scan_config_selectorIxEEZZNS1_9scan_implILNS1_25lookback_scan_determinismE0ELb1ELb1ES3_N6thrust23THRUST_200600_302600_NS6detail15normal_iteratorINS9_10device_ptrIxEEEESE_xNS9_4plusIvEExEEDaPvRmT3_T4_T5_mT6_P12ihipStream_tbENKUlT_T0_E_clISt17integral_constantIbLb1EESU_EEDaSP_SQ_EUlSP_E0_NS1_11comp_targetILNS1_3genE3ELNS1_11target_archE908ELNS1_3gpuE7ELNS1_3repE0EEENS1_30default_config_static_selectorELNS0_4arch9wavefront6targetE1EEEvT1_,"axG",@progbits,_ZN7rocprim17ROCPRIM_400000_NS6detail17trampoline_kernelINS0_14default_configENS1_20scan_config_selectorIxEEZZNS1_9scan_implILNS1_25lookback_scan_determinismE0ELb1ELb1ES3_N6thrust23THRUST_200600_302600_NS6detail15normal_iteratorINS9_10device_ptrIxEEEESE_xNS9_4plusIvEExEEDaPvRmT3_T4_T5_mT6_P12ihipStream_tbENKUlT_T0_E_clISt17integral_constantIbLb1EESU_EEDaSP_SQ_EUlSP_E0_NS1_11comp_targetILNS1_3genE3ELNS1_11target_archE908ELNS1_3gpuE7ELNS1_3repE0EEENS1_30default_config_static_selectorELNS0_4arch9wavefront6targetE1EEEvT1_,comdat
	.protected	_ZN7rocprim17ROCPRIM_400000_NS6detail17trampoline_kernelINS0_14default_configENS1_20scan_config_selectorIxEEZZNS1_9scan_implILNS1_25lookback_scan_determinismE0ELb1ELb1ES3_N6thrust23THRUST_200600_302600_NS6detail15normal_iteratorINS9_10device_ptrIxEEEESE_xNS9_4plusIvEExEEDaPvRmT3_T4_T5_mT6_P12ihipStream_tbENKUlT_T0_E_clISt17integral_constantIbLb1EESU_EEDaSP_SQ_EUlSP_E0_NS1_11comp_targetILNS1_3genE3ELNS1_11target_archE908ELNS1_3gpuE7ELNS1_3repE0EEENS1_30default_config_static_selectorELNS0_4arch9wavefront6targetE1EEEvT1_ ; -- Begin function _ZN7rocprim17ROCPRIM_400000_NS6detail17trampoline_kernelINS0_14default_configENS1_20scan_config_selectorIxEEZZNS1_9scan_implILNS1_25lookback_scan_determinismE0ELb1ELb1ES3_N6thrust23THRUST_200600_302600_NS6detail15normal_iteratorINS9_10device_ptrIxEEEESE_xNS9_4plusIvEExEEDaPvRmT3_T4_T5_mT6_P12ihipStream_tbENKUlT_T0_E_clISt17integral_constantIbLb1EESU_EEDaSP_SQ_EUlSP_E0_NS1_11comp_targetILNS1_3genE3ELNS1_11target_archE908ELNS1_3gpuE7ELNS1_3repE0EEENS1_30default_config_static_selectorELNS0_4arch9wavefront6targetE1EEEvT1_
	.globl	_ZN7rocprim17ROCPRIM_400000_NS6detail17trampoline_kernelINS0_14default_configENS1_20scan_config_selectorIxEEZZNS1_9scan_implILNS1_25lookback_scan_determinismE0ELb1ELb1ES3_N6thrust23THRUST_200600_302600_NS6detail15normal_iteratorINS9_10device_ptrIxEEEESE_xNS9_4plusIvEExEEDaPvRmT3_T4_T5_mT6_P12ihipStream_tbENKUlT_T0_E_clISt17integral_constantIbLb1EESU_EEDaSP_SQ_EUlSP_E0_NS1_11comp_targetILNS1_3genE3ELNS1_11target_archE908ELNS1_3gpuE7ELNS1_3repE0EEENS1_30default_config_static_selectorELNS0_4arch9wavefront6targetE1EEEvT1_
	.p2align	8
	.type	_ZN7rocprim17ROCPRIM_400000_NS6detail17trampoline_kernelINS0_14default_configENS1_20scan_config_selectorIxEEZZNS1_9scan_implILNS1_25lookback_scan_determinismE0ELb1ELb1ES3_N6thrust23THRUST_200600_302600_NS6detail15normal_iteratorINS9_10device_ptrIxEEEESE_xNS9_4plusIvEExEEDaPvRmT3_T4_T5_mT6_P12ihipStream_tbENKUlT_T0_E_clISt17integral_constantIbLb1EESU_EEDaSP_SQ_EUlSP_E0_NS1_11comp_targetILNS1_3genE3ELNS1_11target_archE908ELNS1_3gpuE7ELNS1_3repE0EEENS1_30default_config_static_selectorELNS0_4arch9wavefront6targetE1EEEvT1_,@function
_ZN7rocprim17ROCPRIM_400000_NS6detail17trampoline_kernelINS0_14default_configENS1_20scan_config_selectorIxEEZZNS1_9scan_implILNS1_25lookback_scan_determinismE0ELb1ELb1ES3_N6thrust23THRUST_200600_302600_NS6detail15normal_iteratorINS9_10device_ptrIxEEEESE_xNS9_4plusIvEExEEDaPvRmT3_T4_T5_mT6_P12ihipStream_tbENKUlT_T0_E_clISt17integral_constantIbLb1EESU_EEDaSP_SQ_EUlSP_E0_NS1_11comp_targetILNS1_3genE3ELNS1_11target_archE908ELNS1_3gpuE7ELNS1_3repE0EEENS1_30default_config_static_selectorELNS0_4arch9wavefront6targetE1EEEvT1_: ; @_ZN7rocprim17ROCPRIM_400000_NS6detail17trampoline_kernelINS0_14default_configENS1_20scan_config_selectorIxEEZZNS1_9scan_implILNS1_25lookback_scan_determinismE0ELb1ELb1ES3_N6thrust23THRUST_200600_302600_NS6detail15normal_iteratorINS9_10device_ptrIxEEEESE_xNS9_4plusIvEExEEDaPvRmT3_T4_T5_mT6_P12ihipStream_tbENKUlT_T0_E_clISt17integral_constantIbLb1EESU_EEDaSP_SQ_EUlSP_E0_NS1_11comp_targetILNS1_3genE3ELNS1_11target_archE908ELNS1_3gpuE7ELNS1_3repE0EEENS1_30default_config_static_selectorELNS0_4arch9wavefront6targetE1EEEvT1_
; %bb.0:
	.section	.rodata,"a",@progbits
	.p2align	6, 0x0
	.amdhsa_kernel _ZN7rocprim17ROCPRIM_400000_NS6detail17trampoline_kernelINS0_14default_configENS1_20scan_config_selectorIxEEZZNS1_9scan_implILNS1_25lookback_scan_determinismE0ELb1ELb1ES3_N6thrust23THRUST_200600_302600_NS6detail15normal_iteratorINS9_10device_ptrIxEEEESE_xNS9_4plusIvEExEEDaPvRmT3_T4_T5_mT6_P12ihipStream_tbENKUlT_T0_E_clISt17integral_constantIbLb1EESU_EEDaSP_SQ_EUlSP_E0_NS1_11comp_targetILNS1_3genE3ELNS1_11target_archE908ELNS1_3gpuE7ELNS1_3repE0EEENS1_30default_config_static_selectorELNS0_4arch9wavefront6targetE1EEEvT1_
		.amdhsa_group_segment_fixed_size 0
		.amdhsa_private_segment_fixed_size 0
		.amdhsa_kernarg_size 40
		.amdhsa_user_sgpr_count 6
		.amdhsa_user_sgpr_private_segment_buffer 1
		.amdhsa_user_sgpr_dispatch_ptr 0
		.amdhsa_user_sgpr_queue_ptr 0
		.amdhsa_user_sgpr_kernarg_segment_ptr 1
		.amdhsa_user_sgpr_dispatch_id 0
		.amdhsa_user_sgpr_flat_scratch_init 0
		.amdhsa_user_sgpr_kernarg_preload_length 0
		.amdhsa_user_sgpr_kernarg_preload_offset 0
		.amdhsa_user_sgpr_private_segment_size 0
		.amdhsa_uses_dynamic_stack 0
		.amdhsa_system_sgpr_private_segment_wavefront_offset 0
		.amdhsa_system_sgpr_workgroup_id_x 1
		.amdhsa_system_sgpr_workgroup_id_y 0
		.amdhsa_system_sgpr_workgroup_id_z 0
		.amdhsa_system_sgpr_workgroup_info 0
		.amdhsa_system_vgpr_workitem_id 0
		.amdhsa_next_free_vgpr 1
		.amdhsa_next_free_sgpr 0
		.amdhsa_accum_offset 4
		.amdhsa_reserve_vcc 0
		.amdhsa_reserve_flat_scratch 0
		.amdhsa_float_round_mode_32 0
		.amdhsa_float_round_mode_16_64 0
		.amdhsa_float_denorm_mode_32 3
		.amdhsa_float_denorm_mode_16_64 3
		.amdhsa_dx10_clamp 1
		.amdhsa_ieee_mode 1
		.amdhsa_fp16_overflow 0
		.amdhsa_tg_split 0
		.amdhsa_exception_fp_ieee_invalid_op 0
		.amdhsa_exception_fp_denorm_src 0
		.amdhsa_exception_fp_ieee_div_zero 0
		.amdhsa_exception_fp_ieee_overflow 0
		.amdhsa_exception_fp_ieee_underflow 0
		.amdhsa_exception_fp_ieee_inexact 0
		.amdhsa_exception_int_div_zero 0
	.end_amdhsa_kernel
	.section	.text._ZN7rocprim17ROCPRIM_400000_NS6detail17trampoline_kernelINS0_14default_configENS1_20scan_config_selectorIxEEZZNS1_9scan_implILNS1_25lookback_scan_determinismE0ELb1ELb1ES3_N6thrust23THRUST_200600_302600_NS6detail15normal_iteratorINS9_10device_ptrIxEEEESE_xNS9_4plusIvEExEEDaPvRmT3_T4_T5_mT6_P12ihipStream_tbENKUlT_T0_E_clISt17integral_constantIbLb1EESU_EEDaSP_SQ_EUlSP_E0_NS1_11comp_targetILNS1_3genE3ELNS1_11target_archE908ELNS1_3gpuE7ELNS1_3repE0EEENS1_30default_config_static_selectorELNS0_4arch9wavefront6targetE1EEEvT1_,"axG",@progbits,_ZN7rocprim17ROCPRIM_400000_NS6detail17trampoline_kernelINS0_14default_configENS1_20scan_config_selectorIxEEZZNS1_9scan_implILNS1_25lookback_scan_determinismE0ELb1ELb1ES3_N6thrust23THRUST_200600_302600_NS6detail15normal_iteratorINS9_10device_ptrIxEEEESE_xNS9_4plusIvEExEEDaPvRmT3_T4_T5_mT6_P12ihipStream_tbENKUlT_T0_E_clISt17integral_constantIbLb1EESU_EEDaSP_SQ_EUlSP_E0_NS1_11comp_targetILNS1_3genE3ELNS1_11target_archE908ELNS1_3gpuE7ELNS1_3repE0EEENS1_30default_config_static_selectorELNS0_4arch9wavefront6targetE1EEEvT1_,comdat
.Lfunc_end156:
	.size	_ZN7rocprim17ROCPRIM_400000_NS6detail17trampoline_kernelINS0_14default_configENS1_20scan_config_selectorIxEEZZNS1_9scan_implILNS1_25lookback_scan_determinismE0ELb1ELb1ES3_N6thrust23THRUST_200600_302600_NS6detail15normal_iteratorINS9_10device_ptrIxEEEESE_xNS9_4plusIvEExEEDaPvRmT3_T4_T5_mT6_P12ihipStream_tbENKUlT_T0_E_clISt17integral_constantIbLb1EESU_EEDaSP_SQ_EUlSP_E0_NS1_11comp_targetILNS1_3genE3ELNS1_11target_archE908ELNS1_3gpuE7ELNS1_3repE0EEENS1_30default_config_static_selectorELNS0_4arch9wavefront6targetE1EEEvT1_, .Lfunc_end156-_ZN7rocprim17ROCPRIM_400000_NS6detail17trampoline_kernelINS0_14default_configENS1_20scan_config_selectorIxEEZZNS1_9scan_implILNS1_25lookback_scan_determinismE0ELb1ELb1ES3_N6thrust23THRUST_200600_302600_NS6detail15normal_iteratorINS9_10device_ptrIxEEEESE_xNS9_4plusIvEExEEDaPvRmT3_T4_T5_mT6_P12ihipStream_tbENKUlT_T0_E_clISt17integral_constantIbLb1EESU_EEDaSP_SQ_EUlSP_E0_NS1_11comp_targetILNS1_3genE3ELNS1_11target_archE908ELNS1_3gpuE7ELNS1_3repE0EEENS1_30default_config_static_selectorELNS0_4arch9wavefront6targetE1EEEvT1_
                                        ; -- End function
	.section	.AMDGPU.csdata,"",@progbits
; Kernel info:
; codeLenInByte = 0
; NumSgprs: 4
; NumVgprs: 0
; NumAgprs: 0
; TotalNumVgprs: 0
; ScratchSize: 0
; MemoryBound: 0
; FloatMode: 240
; IeeeMode: 1
; LDSByteSize: 0 bytes/workgroup (compile time only)
; SGPRBlocks: 0
; VGPRBlocks: 0
; NumSGPRsForWavesPerEU: 4
; NumVGPRsForWavesPerEU: 1
; AccumOffset: 4
; Occupancy: 8
; WaveLimiterHint : 0
; COMPUTE_PGM_RSRC2:SCRATCH_EN: 0
; COMPUTE_PGM_RSRC2:USER_SGPR: 6
; COMPUTE_PGM_RSRC2:TRAP_HANDLER: 0
; COMPUTE_PGM_RSRC2:TGID_X_EN: 1
; COMPUTE_PGM_RSRC2:TGID_Y_EN: 0
; COMPUTE_PGM_RSRC2:TGID_Z_EN: 0
; COMPUTE_PGM_RSRC2:TIDIG_COMP_CNT: 0
; COMPUTE_PGM_RSRC3_GFX90A:ACCUM_OFFSET: 0
; COMPUTE_PGM_RSRC3_GFX90A:TG_SPLIT: 0
	.section	.text._ZN7rocprim17ROCPRIM_400000_NS6detail17trampoline_kernelINS0_14default_configENS1_20scan_config_selectorIxEEZZNS1_9scan_implILNS1_25lookback_scan_determinismE0ELb1ELb1ES3_N6thrust23THRUST_200600_302600_NS6detail15normal_iteratorINS9_10device_ptrIxEEEESE_xNS9_4plusIvEExEEDaPvRmT3_T4_T5_mT6_P12ihipStream_tbENKUlT_T0_E_clISt17integral_constantIbLb1EESU_EEDaSP_SQ_EUlSP_E0_NS1_11comp_targetILNS1_3genE2ELNS1_11target_archE906ELNS1_3gpuE6ELNS1_3repE0EEENS1_30default_config_static_selectorELNS0_4arch9wavefront6targetE1EEEvT1_,"axG",@progbits,_ZN7rocprim17ROCPRIM_400000_NS6detail17trampoline_kernelINS0_14default_configENS1_20scan_config_selectorIxEEZZNS1_9scan_implILNS1_25lookback_scan_determinismE0ELb1ELb1ES3_N6thrust23THRUST_200600_302600_NS6detail15normal_iteratorINS9_10device_ptrIxEEEESE_xNS9_4plusIvEExEEDaPvRmT3_T4_T5_mT6_P12ihipStream_tbENKUlT_T0_E_clISt17integral_constantIbLb1EESU_EEDaSP_SQ_EUlSP_E0_NS1_11comp_targetILNS1_3genE2ELNS1_11target_archE906ELNS1_3gpuE6ELNS1_3repE0EEENS1_30default_config_static_selectorELNS0_4arch9wavefront6targetE1EEEvT1_,comdat
	.protected	_ZN7rocprim17ROCPRIM_400000_NS6detail17trampoline_kernelINS0_14default_configENS1_20scan_config_selectorIxEEZZNS1_9scan_implILNS1_25lookback_scan_determinismE0ELb1ELb1ES3_N6thrust23THRUST_200600_302600_NS6detail15normal_iteratorINS9_10device_ptrIxEEEESE_xNS9_4plusIvEExEEDaPvRmT3_T4_T5_mT6_P12ihipStream_tbENKUlT_T0_E_clISt17integral_constantIbLb1EESU_EEDaSP_SQ_EUlSP_E0_NS1_11comp_targetILNS1_3genE2ELNS1_11target_archE906ELNS1_3gpuE6ELNS1_3repE0EEENS1_30default_config_static_selectorELNS0_4arch9wavefront6targetE1EEEvT1_ ; -- Begin function _ZN7rocprim17ROCPRIM_400000_NS6detail17trampoline_kernelINS0_14default_configENS1_20scan_config_selectorIxEEZZNS1_9scan_implILNS1_25lookback_scan_determinismE0ELb1ELb1ES3_N6thrust23THRUST_200600_302600_NS6detail15normal_iteratorINS9_10device_ptrIxEEEESE_xNS9_4plusIvEExEEDaPvRmT3_T4_T5_mT6_P12ihipStream_tbENKUlT_T0_E_clISt17integral_constantIbLb1EESU_EEDaSP_SQ_EUlSP_E0_NS1_11comp_targetILNS1_3genE2ELNS1_11target_archE906ELNS1_3gpuE6ELNS1_3repE0EEENS1_30default_config_static_selectorELNS0_4arch9wavefront6targetE1EEEvT1_
	.globl	_ZN7rocprim17ROCPRIM_400000_NS6detail17trampoline_kernelINS0_14default_configENS1_20scan_config_selectorIxEEZZNS1_9scan_implILNS1_25lookback_scan_determinismE0ELb1ELb1ES3_N6thrust23THRUST_200600_302600_NS6detail15normal_iteratorINS9_10device_ptrIxEEEESE_xNS9_4plusIvEExEEDaPvRmT3_T4_T5_mT6_P12ihipStream_tbENKUlT_T0_E_clISt17integral_constantIbLb1EESU_EEDaSP_SQ_EUlSP_E0_NS1_11comp_targetILNS1_3genE2ELNS1_11target_archE906ELNS1_3gpuE6ELNS1_3repE0EEENS1_30default_config_static_selectorELNS0_4arch9wavefront6targetE1EEEvT1_
	.p2align	8
	.type	_ZN7rocprim17ROCPRIM_400000_NS6detail17trampoline_kernelINS0_14default_configENS1_20scan_config_selectorIxEEZZNS1_9scan_implILNS1_25lookback_scan_determinismE0ELb1ELb1ES3_N6thrust23THRUST_200600_302600_NS6detail15normal_iteratorINS9_10device_ptrIxEEEESE_xNS9_4plusIvEExEEDaPvRmT3_T4_T5_mT6_P12ihipStream_tbENKUlT_T0_E_clISt17integral_constantIbLb1EESU_EEDaSP_SQ_EUlSP_E0_NS1_11comp_targetILNS1_3genE2ELNS1_11target_archE906ELNS1_3gpuE6ELNS1_3repE0EEENS1_30default_config_static_selectorELNS0_4arch9wavefront6targetE1EEEvT1_,@function
_ZN7rocprim17ROCPRIM_400000_NS6detail17trampoline_kernelINS0_14default_configENS1_20scan_config_selectorIxEEZZNS1_9scan_implILNS1_25lookback_scan_determinismE0ELb1ELb1ES3_N6thrust23THRUST_200600_302600_NS6detail15normal_iteratorINS9_10device_ptrIxEEEESE_xNS9_4plusIvEExEEDaPvRmT3_T4_T5_mT6_P12ihipStream_tbENKUlT_T0_E_clISt17integral_constantIbLb1EESU_EEDaSP_SQ_EUlSP_E0_NS1_11comp_targetILNS1_3genE2ELNS1_11target_archE906ELNS1_3gpuE6ELNS1_3repE0EEENS1_30default_config_static_selectorELNS0_4arch9wavefront6targetE1EEEvT1_: ; @_ZN7rocprim17ROCPRIM_400000_NS6detail17trampoline_kernelINS0_14default_configENS1_20scan_config_selectorIxEEZZNS1_9scan_implILNS1_25lookback_scan_determinismE0ELb1ELb1ES3_N6thrust23THRUST_200600_302600_NS6detail15normal_iteratorINS9_10device_ptrIxEEEESE_xNS9_4plusIvEExEEDaPvRmT3_T4_T5_mT6_P12ihipStream_tbENKUlT_T0_E_clISt17integral_constantIbLb1EESU_EEDaSP_SQ_EUlSP_E0_NS1_11comp_targetILNS1_3genE2ELNS1_11target_archE906ELNS1_3gpuE6ELNS1_3repE0EEENS1_30default_config_static_selectorELNS0_4arch9wavefront6targetE1EEEvT1_
; %bb.0:
	.section	.rodata,"a",@progbits
	.p2align	6, 0x0
	.amdhsa_kernel _ZN7rocprim17ROCPRIM_400000_NS6detail17trampoline_kernelINS0_14default_configENS1_20scan_config_selectorIxEEZZNS1_9scan_implILNS1_25lookback_scan_determinismE0ELb1ELb1ES3_N6thrust23THRUST_200600_302600_NS6detail15normal_iteratorINS9_10device_ptrIxEEEESE_xNS9_4plusIvEExEEDaPvRmT3_T4_T5_mT6_P12ihipStream_tbENKUlT_T0_E_clISt17integral_constantIbLb1EESU_EEDaSP_SQ_EUlSP_E0_NS1_11comp_targetILNS1_3genE2ELNS1_11target_archE906ELNS1_3gpuE6ELNS1_3repE0EEENS1_30default_config_static_selectorELNS0_4arch9wavefront6targetE1EEEvT1_
		.amdhsa_group_segment_fixed_size 0
		.amdhsa_private_segment_fixed_size 0
		.amdhsa_kernarg_size 40
		.amdhsa_user_sgpr_count 6
		.amdhsa_user_sgpr_private_segment_buffer 1
		.amdhsa_user_sgpr_dispatch_ptr 0
		.amdhsa_user_sgpr_queue_ptr 0
		.amdhsa_user_sgpr_kernarg_segment_ptr 1
		.amdhsa_user_sgpr_dispatch_id 0
		.amdhsa_user_sgpr_flat_scratch_init 0
		.amdhsa_user_sgpr_kernarg_preload_length 0
		.amdhsa_user_sgpr_kernarg_preload_offset 0
		.amdhsa_user_sgpr_private_segment_size 0
		.amdhsa_uses_dynamic_stack 0
		.amdhsa_system_sgpr_private_segment_wavefront_offset 0
		.amdhsa_system_sgpr_workgroup_id_x 1
		.amdhsa_system_sgpr_workgroup_id_y 0
		.amdhsa_system_sgpr_workgroup_id_z 0
		.amdhsa_system_sgpr_workgroup_info 0
		.amdhsa_system_vgpr_workitem_id 0
		.amdhsa_next_free_vgpr 1
		.amdhsa_next_free_sgpr 0
		.amdhsa_accum_offset 4
		.amdhsa_reserve_vcc 0
		.amdhsa_reserve_flat_scratch 0
		.amdhsa_float_round_mode_32 0
		.amdhsa_float_round_mode_16_64 0
		.amdhsa_float_denorm_mode_32 3
		.amdhsa_float_denorm_mode_16_64 3
		.amdhsa_dx10_clamp 1
		.amdhsa_ieee_mode 1
		.amdhsa_fp16_overflow 0
		.amdhsa_tg_split 0
		.amdhsa_exception_fp_ieee_invalid_op 0
		.amdhsa_exception_fp_denorm_src 0
		.amdhsa_exception_fp_ieee_div_zero 0
		.amdhsa_exception_fp_ieee_overflow 0
		.amdhsa_exception_fp_ieee_underflow 0
		.amdhsa_exception_fp_ieee_inexact 0
		.amdhsa_exception_int_div_zero 0
	.end_amdhsa_kernel
	.section	.text._ZN7rocprim17ROCPRIM_400000_NS6detail17trampoline_kernelINS0_14default_configENS1_20scan_config_selectorIxEEZZNS1_9scan_implILNS1_25lookback_scan_determinismE0ELb1ELb1ES3_N6thrust23THRUST_200600_302600_NS6detail15normal_iteratorINS9_10device_ptrIxEEEESE_xNS9_4plusIvEExEEDaPvRmT3_T4_T5_mT6_P12ihipStream_tbENKUlT_T0_E_clISt17integral_constantIbLb1EESU_EEDaSP_SQ_EUlSP_E0_NS1_11comp_targetILNS1_3genE2ELNS1_11target_archE906ELNS1_3gpuE6ELNS1_3repE0EEENS1_30default_config_static_selectorELNS0_4arch9wavefront6targetE1EEEvT1_,"axG",@progbits,_ZN7rocprim17ROCPRIM_400000_NS6detail17trampoline_kernelINS0_14default_configENS1_20scan_config_selectorIxEEZZNS1_9scan_implILNS1_25lookback_scan_determinismE0ELb1ELb1ES3_N6thrust23THRUST_200600_302600_NS6detail15normal_iteratorINS9_10device_ptrIxEEEESE_xNS9_4plusIvEExEEDaPvRmT3_T4_T5_mT6_P12ihipStream_tbENKUlT_T0_E_clISt17integral_constantIbLb1EESU_EEDaSP_SQ_EUlSP_E0_NS1_11comp_targetILNS1_3genE2ELNS1_11target_archE906ELNS1_3gpuE6ELNS1_3repE0EEENS1_30default_config_static_selectorELNS0_4arch9wavefront6targetE1EEEvT1_,comdat
.Lfunc_end157:
	.size	_ZN7rocprim17ROCPRIM_400000_NS6detail17trampoline_kernelINS0_14default_configENS1_20scan_config_selectorIxEEZZNS1_9scan_implILNS1_25lookback_scan_determinismE0ELb1ELb1ES3_N6thrust23THRUST_200600_302600_NS6detail15normal_iteratorINS9_10device_ptrIxEEEESE_xNS9_4plusIvEExEEDaPvRmT3_T4_T5_mT6_P12ihipStream_tbENKUlT_T0_E_clISt17integral_constantIbLb1EESU_EEDaSP_SQ_EUlSP_E0_NS1_11comp_targetILNS1_3genE2ELNS1_11target_archE906ELNS1_3gpuE6ELNS1_3repE0EEENS1_30default_config_static_selectorELNS0_4arch9wavefront6targetE1EEEvT1_, .Lfunc_end157-_ZN7rocprim17ROCPRIM_400000_NS6detail17trampoline_kernelINS0_14default_configENS1_20scan_config_selectorIxEEZZNS1_9scan_implILNS1_25lookback_scan_determinismE0ELb1ELb1ES3_N6thrust23THRUST_200600_302600_NS6detail15normal_iteratorINS9_10device_ptrIxEEEESE_xNS9_4plusIvEExEEDaPvRmT3_T4_T5_mT6_P12ihipStream_tbENKUlT_T0_E_clISt17integral_constantIbLb1EESU_EEDaSP_SQ_EUlSP_E0_NS1_11comp_targetILNS1_3genE2ELNS1_11target_archE906ELNS1_3gpuE6ELNS1_3repE0EEENS1_30default_config_static_selectorELNS0_4arch9wavefront6targetE1EEEvT1_
                                        ; -- End function
	.section	.AMDGPU.csdata,"",@progbits
; Kernel info:
; codeLenInByte = 0
; NumSgprs: 4
; NumVgprs: 0
; NumAgprs: 0
; TotalNumVgprs: 0
; ScratchSize: 0
; MemoryBound: 0
; FloatMode: 240
; IeeeMode: 1
; LDSByteSize: 0 bytes/workgroup (compile time only)
; SGPRBlocks: 0
; VGPRBlocks: 0
; NumSGPRsForWavesPerEU: 4
; NumVGPRsForWavesPerEU: 1
; AccumOffset: 4
; Occupancy: 8
; WaveLimiterHint : 0
; COMPUTE_PGM_RSRC2:SCRATCH_EN: 0
; COMPUTE_PGM_RSRC2:USER_SGPR: 6
; COMPUTE_PGM_RSRC2:TRAP_HANDLER: 0
; COMPUTE_PGM_RSRC2:TGID_X_EN: 1
; COMPUTE_PGM_RSRC2:TGID_Y_EN: 0
; COMPUTE_PGM_RSRC2:TGID_Z_EN: 0
; COMPUTE_PGM_RSRC2:TIDIG_COMP_CNT: 0
; COMPUTE_PGM_RSRC3_GFX90A:ACCUM_OFFSET: 0
; COMPUTE_PGM_RSRC3_GFX90A:TG_SPLIT: 0
	.section	.text._ZN7rocprim17ROCPRIM_400000_NS6detail17trampoline_kernelINS0_14default_configENS1_20scan_config_selectorIxEEZZNS1_9scan_implILNS1_25lookback_scan_determinismE0ELb1ELb1ES3_N6thrust23THRUST_200600_302600_NS6detail15normal_iteratorINS9_10device_ptrIxEEEESE_xNS9_4plusIvEExEEDaPvRmT3_T4_T5_mT6_P12ihipStream_tbENKUlT_T0_E_clISt17integral_constantIbLb1EESU_EEDaSP_SQ_EUlSP_E0_NS1_11comp_targetILNS1_3genE10ELNS1_11target_archE1201ELNS1_3gpuE5ELNS1_3repE0EEENS1_30default_config_static_selectorELNS0_4arch9wavefront6targetE1EEEvT1_,"axG",@progbits,_ZN7rocprim17ROCPRIM_400000_NS6detail17trampoline_kernelINS0_14default_configENS1_20scan_config_selectorIxEEZZNS1_9scan_implILNS1_25lookback_scan_determinismE0ELb1ELb1ES3_N6thrust23THRUST_200600_302600_NS6detail15normal_iteratorINS9_10device_ptrIxEEEESE_xNS9_4plusIvEExEEDaPvRmT3_T4_T5_mT6_P12ihipStream_tbENKUlT_T0_E_clISt17integral_constantIbLb1EESU_EEDaSP_SQ_EUlSP_E0_NS1_11comp_targetILNS1_3genE10ELNS1_11target_archE1201ELNS1_3gpuE5ELNS1_3repE0EEENS1_30default_config_static_selectorELNS0_4arch9wavefront6targetE1EEEvT1_,comdat
	.protected	_ZN7rocprim17ROCPRIM_400000_NS6detail17trampoline_kernelINS0_14default_configENS1_20scan_config_selectorIxEEZZNS1_9scan_implILNS1_25lookback_scan_determinismE0ELb1ELb1ES3_N6thrust23THRUST_200600_302600_NS6detail15normal_iteratorINS9_10device_ptrIxEEEESE_xNS9_4plusIvEExEEDaPvRmT3_T4_T5_mT6_P12ihipStream_tbENKUlT_T0_E_clISt17integral_constantIbLb1EESU_EEDaSP_SQ_EUlSP_E0_NS1_11comp_targetILNS1_3genE10ELNS1_11target_archE1201ELNS1_3gpuE5ELNS1_3repE0EEENS1_30default_config_static_selectorELNS0_4arch9wavefront6targetE1EEEvT1_ ; -- Begin function _ZN7rocprim17ROCPRIM_400000_NS6detail17trampoline_kernelINS0_14default_configENS1_20scan_config_selectorIxEEZZNS1_9scan_implILNS1_25lookback_scan_determinismE0ELb1ELb1ES3_N6thrust23THRUST_200600_302600_NS6detail15normal_iteratorINS9_10device_ptrIxEEEESE_xNS9_4plusIvEExEEDaPvRmT3_T4_T5_mT6_P12ihipStream_tbENKUlT_T0_E_clISt17integral_constantIbLb1EESU_EEDaSP_SQ_EUlSP_E0_NS1_11comp_targetILNS1_3genE10ELNS1_11target_archE1201ELNS1_3gpuE5ELNS1_3repE0EEENS1_30default_config_static_selectorELNS0_4arch9wavefront6targetE1EEEvT1_
	.globl	_ZN7rocprim17ROCPRIM_400000_NS6detail17trampoline_kernelINS0_14default_configENS1_20scan_config_selectorIxEEZZNS1_9scan_implILNS1_25lookback_scan_determinismE0ELb1ELb1ES3_N6thrust23THRUST_200600_302600_NS6detail15normal_iteratorINS9_10device_ptrIxEEEESE_xNS9_4plusIvEExEEDaPvRmT3_T4_T5_mT6_P12ihipStream_tbENKUlT_T0_E_clISt17integral_constantIbLb1EESU_EEDaSP_SQ_EUlSP_E0_NS1_11comp_targetILNS1_3genE10ELNS1_11target_archE1201ELNS1_3gpuE5ELNS1_3repE0EEENS1_30default_config_static_selectorELNS0_4arch9wavefront6targetE1EEEvT1_
	.p2align	8
	.type	_ZN7rocprim17ROCPRIM_400000_NS6detail17trampoline_kernelINS0_14default_configENS1_20scan_config_selectorIxEEZZNS1_9scan_implILNS1_25lookback_scan_determinismE0ELb1ELb1ES3_N6thrust23THRUST_200600_302600_NS6detail15normal_iteratorINS9_10device_ptrIxEEEESE_xNS9_4plusIvEExEEDaPvRmT3_T4_T5_mT6_P12ihipStream_tbENKUlT_T0_E_clISt17integral_constantIbLb1EESU_EEDaSP_SQ_EUlSP_E0_NS1_11comp_targetILNS1_3genE10ELNS1_11target_archE1201ELNS1_3gpuE5ELNS1_3repE0EEENS1_30default_config_static_selectorELNS0_4arch9wavefront6targetE1EEEvT1_,@function
_ZN7rocprim17ROCPRIM_400000_NS6detail17trampoline_kernelINS0_14default_configENS1_20scan_config_selectorIxEEZZNS1_9scan_implILNS1_25lookback_scan_determinismE0ELb1ELb1ES3_N6thrust23THRUST_200600_302600_NS6detail15normal_iteratorINS9_10device_ptrIxEEEESE_xNS9_4plusIvEExEEDaPvRmT3_T4_T5_mT6_P12ihipStream_tbENKUlT_T0_E_clISt17integral_constantIbLb1EESU_EEDaSP_SQ_EUlSP_E0_NS1_11comp_targetILNS1_3genE10ELNS1_11target_archE1201ELNS1_3gpuE5ELNS1_3repE0EEENS1_30default_config_static_selectorELNS0_4arch9wavefront6targetE1EEEvT1_: ; @_ZN7rocprim17ROCPRIM_400000_NS6detail17trampoline_kernelINS0_14default_configENS1_20scan_config_selectorIxEEZZNS1_9scan_implILNS1_25lookback_scan_determinismE0ELb1ELb1ES3_N6thrust23THRUST_200600_302600_NS6detail15normal_iteratorINS9_10device_ptrIxEEEESE_xNS9_4plusIvEExEEDaPvRmT3_T4_T5_mT6_P12ihipStream_tbENKUlT_T0_E_clISt17integral_constantIbLb1EESU_EEDaSP_SQ_EUlSP_E0_NS1_11comp_targetILNS1_3genE10ELNS1_11target_archE1201ELNS1_3gpuE5ELNS1_3repE0EEENS1_30default_config_static_selectorELNS0_4arch9wavefront6targetE1EEEvT1_
; %bb.0:
	.section	.rodata,"a",@progbits
	.p2align	6, 0x0
	.amdhsa_kernel _ZN7rocprim17ROCPRIM_400000_NS6detail17trampoline_kernelINS0_14default_configENS1_20scan_config_selectorIxEEZZNS1_9scan_implILNS1_25lookback_scan_determinismE0ELb1ELb1ES3_N6thrust23THRUST_200600_302600_NS6detail15normal_iteratorINS9_10device_ptrIxEEEESE_xNS9_4plusIvEExEEDaPvRmT3_T4_T5_mT6_P12ihipStream_tbENKUlT_T0_E_clISt17integral_constantIbLb1EESU_EEDaSP_SQ_EUlSP_E0_NS1_11comp_targetILNS1_3genE10ELNS1_11target_archE1201ELNS1_3gpuE5ELNS1_3repE0EEENS1_30default_config_static_selectorELNS0_4arch9wavefront6targetE1EEEvT1_
		.amdhsa_group_segment_fixed_size 0
		.amdhsa_private_segment_fixed_size 0
		.amdhsa_kernarg_size 40
		.amdhsa_user_sgpr_count 6
		.amdhsa_user_sgpr_private_segment_buffer 1
		.amdhsa_user_sgpr_dispatch_ptr 0
		.amdhsa_user_sgpr_queue_ptr 0
		.amdhsa_user_sgpr_kernarg_segment_ptr 1
		.amdhsa_user_sgpr_dispatch_id 0
		.amdhsa_user_sgpr_flat_scratch_init 0
		.amdhsa_user_sgpr_kernarg_preload_length 0
		.amdhsa_user_sgpr_kernarg_preload_offset 0
		.amdhsa_user_sgpr_private_segment_size 0
		.amdhsa_uses_dynamic_stack 0
		.amdhsa_system_sgpr_private_segment_wavefront_offset 0
		.amdhsa_system_sgpr_workgroup_id_x 1
		.amdhsa_system_sgpr_workgroup_id_y 0
		.amdhsa_system_sgpr_workgroup_id_z 0
		.amdhsa_system_sgpr_workgroup_info 0
		.amdhsa_system_vgpr_workitem_id 0
		.amdhsa_next_free_vgpr 1
		.amdhsa_next_free_sgpr 0
		.amdhsa_accum_offset 4
		.amdhsa_reserve_vcc 0
		.amdhsa_reserve_flat_scratch 0
		.amdhsa_float_round_mode_32 0
		.amdhsa_float_round_mode_16_64 0
		.amdhsa_float_denorm_mode_32 3
		.amdhsa_float_denorm_mode_16_64 3
		.amdhsa_dx10_clamp 1
		.amdhsa_ieee_mode 1
		.amdhsa_fp16_overflow 0
		.amdhsa_tg_split 0
		.amdhsa_exception_fp_ieee_invalid_op 0
		.amdhsa_exception_fp_denorm_src 0
		.amdhsa_exception_fp_ieee_div_zero 0
		.amdhsa_exception_fp_ieee_overflow 0
		.amdhsa_exception_fp_ieee_underflow 0
		.amdhsa_exception_fp_ieee_inexact 0
		.amdhsa_exception_int_div_zero 0
	.end_amdhsa_kernel
	.section	.text._ZN7rocprim17ROCPRIM_400000_NS6detail17trampoline_kernelINS0_14default_configENS1_20scan_config_selectorIxEEZZNS1_9scan_implILNS1_25lookback_scan_determinismE0ELb1ELb1ES3_N6thrust23THRUST_200600_302600_NS6detail15normal_iteratorINS9_10device_ptrIxEEEESE_xNS9_4plusIvEExEEDaPvRmT3_T4_T5_mT6_P12ihipStream_tbENKUlT_T0_E_clISt17integral_constantIbLb1EESU_EEDaSP_SQ_EUlSP_E0_NS1_11comp_targetILNS1_3genE10ELNS1_11target_archE1201ELNS1_3gpuE5ELNS1_3repE0EEENS1_30default_config_static_selectorELNS0_4arch9wavefront6targetE1EEEvT1_,"axG",@progbits,_ZN7rocprim17ROCPRIM_400000_NS6detail17trampoline_kernelINS0_14default_configENS1_20scan_config_selectorIxEEZZNS1_9scan_implILNS1_25lookback_scan_determinismE0ELb1ELb1ES3_N6thrust23THRUST_200600_302600_NS6detail15normal_iteratorINS9_10device_ptrIxEEEESE_xNS9_4plusIvEExEEDaPvRmT3_T4_T5_mT6_P12ihipStream_tbENKUlT_T0_E_clISt17integral_constantIbLb1EESU_EEDaSP_SQ_EUlSP_E0_NS1_11comp_targetILNS1_3genE10ELNS1_11target_archE1201ELNS1_3gpuE5ELNS1_3repE0EEENS1_30default_config_static_selectorELNS0_4arch9wavefront6targetE1EEEvT1_,comdat
.Lfunc_end158:
	.size	_ZN7rocprim17ROCPRIM_400000_NS6detail17trampoline_kernelINS0_14default_configENS1_20scan_config_selectorIxEEZZNS1_9scan_implILNS1_25lookback_scan_determinismE0ELb1ELb1ES3_N6thrust23THRUST_200600_302600_NS6detail15normal_iteratorINS9_10device_ptrIxEEEESE_xNS9_4plusIvEExEEDaPvRmT3_T4_T5_mT6_P12ihipStream_tbENKUlT_T0_E_clISt17integral_constantIbLb1EESU_EEDaSP_SQ_EUlSP_E0_NS1_11comp_targetILNS1_3genE10ELNS1_11target_archE1201ELNS1_3gpuE5ELNS1_3repE0EEENS1_30default_config_static_selectorELNS0_4arch9wavefront6targetE1EEEvT1_, .Lfunc_end158-_ZN7rocprim17ROCPRIM_400000_NS6detail17trampoline_kernelINS0_14default_configENS1_20scan_config_selectorIxEEZZNS1_9scan_implILNS1_25lookback_scan_determinismE0ELb1ELb1ES3_N6thrust23THRUST_200600_302600_NS6detail15normal_iteratorINS9_10device_ptrIxEEEESE_xNS9_4plusIvEExEEDaPvRmT3_T4_T5_mT6_P12ihipStream_tbENKUlT_T0_E_clISt17integral_constantIbLb1EESU_EEDaSP_SQ_EUlSP_E0_NS1_11comp_targetILNS1_3genE10ELNS1_11target_archE1201ELNS1_3gpuE5ELNS1_3repE0EEENS1_30default_config_static_selectorELNS0_4arch9wavefront6targetE1EEEvT1_
                                        ; -- End function
	.section	.AMDGPU.csdata,"",@progbits
; Kernel info:
; codeLenInByte = 0
; NumSgprs: 4
; NumVgprs: 0
; NumAgprs: 0
; TotalNumVgprs: 0
; ScratchSize: 0
; MemoryBound: 0
; FloatMode: 240
; IeeeMode: 1
; LDSByteSize: 0 bytes/workgroup (compile time only)
; SGPRBlocks: 0
; VGPRBlocks: 0
; NumSGPRsForWavesPerEU: 4
; NumVGPRsForWavesPerEU: 1
; AccumOffset: 4
; Occupancy: 8
; WaveLimiterHint : 0
; COMPUTE_PGM_RSRC2:SCRATCH_EN: 0
; COMPUTE_PGM_RSRC2:USER_SGPR: 6
; COMPUTE_PGM_RSRC2:TRAP_HANDLER: 0
; COMPUTE_PGM_RSRC2:TGID_X_EN: 1
; COMPUTE_PGM_RSRC2:TGID_Y_EN: 0
; COMPUTE_PGM_RSRC2:TGID_Z_EN: 0
; COMPUTE_PGM_RSRC2:TIDIG_COMP_CNT: 0
; COMPUTE_PGM_RSRC3_GFX90A:ACCUM_OFFSET: 0
; COMPUTE_PGM_RSRC3_GFX90A:TG_SPLIT: 0
	.section	.text._ZN7rocprim17ROCPRIM_400000_NS6detail17trampoline_kernelINS0_14default_configENS1_20scan_config_selectorIxEEZZNS1_9scan_implILNS1_25lookback_scan_determinismE0ELb1ELb1ES3_N6thrust23THRUST_200600_302600_NS6detail15normal_iteratorINS9_10device_ptrIxEEEESE_xNS9_4plusIvEExEEDaPvRmT3_T4_T5_mT6_P12ihipStream_tbENKUlT_T0_E_clISt17integral_constantIbLb1EESU_EEDaSP_SQ_EUlSP_E0_NS1_11comp_targetILNS1_3genE10ELNS1_11target_archE1200ELNS1_3gpuE4ELNS1_3repE0EEENS1_30default_config_static_selectorELNS0_4arch9wavefront6targetE1EEEvT1_,"axG",@progbits,_ZN7rocprim17ROCPRIM_400000_NS6detail17trampoline_kernelINS0_14default_configENS1_20scan_config_selectorIxEEZZNS1_9scan_implILNS1_25lookback_scan_determinismE0ELb1ELb1ES3_N6thrust23THRUST_200600_302600_NS6detail15normal_iteratorINS9_10device_ptrIxEEEESE_xNS9_4plusIvEExEEDaPvRmT3_T4_T5_mT6_P12ihipStream_tbENKUlT_T0_E_clISt17integral_constantIbLb1EESU_EEDaSP_SQ_EUlSP_E0_NS1_11comp_targetILNS1_3genE10ELNS1_11target_archE1200ELNS1_3gpuE4ELNS1_3repE0EEENS1_30default_config_static_selectorELNS0_4arch9wavefront6targetE1EEEvT1_,comdat
	.protected	_ZN7rocprim17ROCPRIM_400000_NS6detail17trampoline_kernelINS0_14default_configENS1_20scan_config_selectorIxEEZZNS1_9scan_implILNS1_25lookback_scan_determinismE0ELb1ELb1ES3_N6thrust23THRUST_200600_302600_NS6detail15normal_iteratorINS9_10device_ptrIxEEEESE_xNS9_4plusIvEExEEDaPvRmT3_T4_T5_mT6_P12ihipStream_tbENKUlT_T0_E_clISt17integral_constantIbLb1EESU_EEDaSP_SQ_EUlSP_E0_NS1_11comp_targetILNS1_3genE10ELNS1_11target_archE1200ELNS1_3gpuE4ELNS1_3repE0EEENS1_30default_config_static_selectorELNS0_4arch9wavefront6targetE1EEEvT1_ ; -- Begin function _ZN7rocprim17ROCPRIM_400000_NS6detail17trampoline_kernelINS0_14default_configENS1_20scan_config_selectorIxEEZZNS1_9scan_implILNS1_25lookback_scan_determinismE0ELb1ELb1ES3_N6thrust23THRUST_200600_302600_NS6detail15normal_iteratorINS9_10device_ptrIxEEEESE_xNS9_4plusIvEExEEDaPvRmT3_T4_T5_mT6_P12ihipStream_tbENKUlT_T0_E_clISt17integral_constantIbLb1EESU_EEDaSP_SQ_EUlSP_E0_NS1_11comp_targetILNS1_3genE10ELNS1_11target_archE1200ELNS1_3gpuE4ELNS1_3repE0EEENS1_30default_config_static_selectorELNS0_4arch9wavefront6targetE1EEEvT1_
	.globl	_ZN7rocprim17ROCPRIM_400000_NS6detail17trampoline_kernelINS0_14default_configENS1_20scan_config_selectorIxEEZZNS1_9scan_implILNS1_25lookback_scan_determinismE0ELb1ELb1ES3_N6thrust23THRUST_200600_302600_NS6detail15normal_iteratorINS9_10device_ptrIxEEEESE_xNS9_4plusIvEExEEDaPvRmT3_T4_T5_mT6_P12ihipStream_tbENKUlT_T0_E_clISt17integral_constantIbLb1EESU_EEDaSP_SQ_EUlSP_E0_NS1_11comp_targetILNS1_3genE10ELNS1_11target_archE1200ELNS1_3gpuE4ELNS1_3repE0EEENS1_30default_config_static_selectorELNS0_4arch9wavefront6targetE1EEEvT1_
	.p2align	8
	.type	_ZN7rocprim17ROCPRIM_400000_NS6detail17trampoline_kernelINS0_14default_configENS1_20scan_config_selectorIxEEZZNS1_9scan_implILNS1_25lookback_scan_determinismE0ELb1ELb1ES3_N6thrust23THRUST_200600_302600_NS6detail15normal_iteratorINS9_10device_ptrIxEEEESE_xNS9_4plusIvEExEEDaPvRmT3_T4_T5_mT6_P12ihipStream_tbENKUlT_T0_E_clISt17integral_constantIbLb1EESU_EEDaSP_SQ_EUlSP_E0_NS1_11comp_targetILNS1_3genE10ELNS1_11target_archE1200ELNS1_3gpuE4ELNS1_3repE0EEENS1_30default_config_static_selectorELNS0_4arch9wavefront6targetE1EEEvT1_,@function
_ZN7rocprim17ROCPRIM_400000_NS6detail17trampoline_kernelINS0_14default_configENS1_20scan_config_selectorIxEEZZNS1_9scan_implILNS1_25lookback_scan_determinismE0ELb1ELb1ES3_N6thrust23THRUST_200600_302600_NS6detail15normal_iteratorINS9_10device_ptrIxEEEESE_xNS9_4plusIvEExEEDaPvRmT3_T4_T5_mT6_P12ihipStream_tbENKUlT_T0_E_clISt17integral_constantIbLb1EESU_EEDaSP_SQ_EUlSP_E0_NS1_11comp_targetILNS1_3genE10ELNS1_11target_archE1200ELNS1_3gpuE4ELNS1_3repE0EEENS1_30default_config_static_selectorELNS0_4arch9wavefront6targetE1EEEvT1_: ; @_ZN7rocprim17ROCPRIM_400000_NS6detail17trampoline_kernelINS0_14default_configENS1_20scan_config_selectorIxEEZZNS1_9scan_implILNS1_25lookback_scan_determinismE0ELb1ELb1ES3_N6thrust23THRUST_200600_302600_NS6detail15normal_iteratorINS9_10device_ptrIxEEEESE_xNS9_4plusIvEExEEDaPvRmT3_T4_T5_mT6_P12ihipStream_tbENKUlT_T0_E_clISt17integral_constantIbLb1EESU_EEDaSP_SQ_EUlSP_E0_NS1_11comp_targetILNS1_3genE10ELNS1_11target_archE1200ELNS1_3gpuE4ELNS1_3repE0EEENS1_30default_config_static_selectorELNS0_4arch9wavefront6targetE1EEEvT1_
; %bb.0:
	.section	.rodata,"a",@progbits
	.p2align	6, 0x0
	.amdhsa_kernel _ZN7rocprim17ROCPRIM_400000_NS6detail17trampoline_kernelINS0_14default_configENS1_20scan_config_selectorIxEEZZNS1_9scan_implILNS1_25lookback_scan_determinismE0ELb1ELb1ES3_N6thrust23THRUST_200600_302600_NS6detail15normal_iteratorINS9_10device_ptrIxEEEESE_xNS9_4plusIvEExEEDaPvRmT3_T4_T5_mT6_P12ihipStream_tbENKUlT_T0_E_clISt17integral_constantIbLb1EESU_EEDaSP_SQ_EUlSP_E0_NS1_11comp_targetILNS1_3genE10ELNS1_11target_archE1200ELNS1_3gpuE4ELNS1_3repE0EEENS1_30default_config_static_selectorELNS0_4arch9wavefront6targetE1EEEvT1_
		.amdhsa_group_segment_fixed_size 0
		.amdhsa_private_segment_fixed_size 0
		.amdhsa_kernarg_size 40
		.amdhsa_user_sgpr_count 6
		.amdhsa_user_sgpr_private_segment_buffer 1
		.amdhsa_user_sgpr_dispatch_ptr 0
		.amdhsa_user_sgpr_queue_ptr 0
		.amdhsa_user_sgpr_kernarg_segment_ptr 1
		.amdhsa_user_sgpr_dispatch_id 0
		.amdhsa_user_sgpr_flat_scratch_init 0
		.amdhsa_user_sgpr_kernarg_preload_length 0
		.amdhsa_user_sgpr_kernarg_preload_offset 0
		.amdhsa_user_sgpr_private_segment_size 0
		.amdhsa_uses_dynamic_stack 0
		.amdhsa_system_sgpr_private_segment_wavefront_offset 0
		.amdhsa_system_sgpr_workgroup_id_x 1
		.amdhsa_system_sgpr_workgroup_id_y 0
		.amdhsa_system_sgpr_workgroup_id_z 0
		.amdhsa_system_sgpr_workgroup_info 0
		.amdhsa_system_vgpr_workitem_id 0
		.amdhsa_next_free_vgpr 1
		.amdhsa_next_free_sgpr 0
		.amdhsa_accum_offset 4
		.amdhsa_reserve_vcc 0
		.amdhsa_reserve_flat_scratch 0
		.amdhsa_float_round_mode_32 0
		.amdhsa_float_round_mode_16_64 0
		.amdhsa_float_denorm_mode_32 3
		.amdhsa_float_denorm_mode_16_64 3
		.amdhsa_dx10_clamp 1
		.amdhsa_ieee_mode 1
		.amdhsa_fp16_overflow 0
		.amdhsa_tg_split 0
		.amdhsa_exception_fp_ieee_invalid_op 0
		.amdhsa_exception_fp_denorm_src 0
		.amdhsa_exception_fp_ieee_div_zero 0
		.amdhsa_exception_fp_ieee_overflow 0
		.amdhsa_exception_fp_ieee_underflow 0
		.amdhsa_exception_fp_ieee_inexact 0
		.amdhsa_exception_int_div_zero 0
	.end_amdhsa_kernel
	.section	.text._ZN7rocprim17ROCPRIM_400000_NS6detail17trampoline_kernelINS0_14default_configENS1_20scan_config_selectorIxEEZZNS1_9scan_implILNS1_25lookback_scan_determinismE0ELb1ELb1ES3_N6thrust23THRUST_200600_302600_NS6detail15normal_iteratorINS9_10device_ptrIxEEEESE_xNS9_4plusIvEExEEDaPvRmT3_T4_T5_mT6_P12ihipStream_tbENKUlT_T0_E_clISt17integral_constantIbLb1EESU_EEDaSP_SQ_EUlSP_E0_NS1_11comp_targetILNS1_3genE10ELNS1_11target_archE1200ELNS1_3gpuE4ELNS1_3repE0EEENS1_30default_config_static_selectorELNS0_4arch9wavefront6targetE1EEEvT1_,"axG",@progbits,_ZN7rocprim17ROCPRIM_400000_NS6detail17trampoline_kernelINS0_14default_configENS1_20scan_config_selectorIxEEZZNS1_9scan_implILNS1_25lookback_scan_determinismE0ELb1ELb1ES3_N6thrust23THRUST_200600_302600_NS6detail15normal_iteratorINS9_10device_ptrIxEEEESE_xNS9_4plusIvEExEEDaPvRmT3_T4_T5_mT6_P12ihipStream_tbENKUlT_T0_E_clISt17integral_constantIbLb1EESU_EEDaSP_SQ_EUlSP_E0_NS1_11comp_targetILNS1_3genE10ELNS1_11target_archE1200ELNS1_3gpuE4ELNS1_3repE0EEENS1_30default_config_static_selectorELNS0_4arch9wavefront6targetE1EEEvT1_,comdat
.Lfunc_end159:
	.size	_ZN7rocprim17ROCPRIM_400000_NS6detail17trampoline_kernelINS0_14default_configENS1_20scan_config_selectorIxEEZZNS1_9scan_implILNS1_25lookback_scan_determinismE0ELb1ELb1ES3_N6thrust23THRUST_200600_302600_NS6detail15normal_iteratorINS9_10device_ptrIxEEEESE_xNS9_4plusIvEExEEDaPvRmT3_T4_T5_mT6_P12ihipStream_tbENKUlT_T0_E_clISt17integral_constantIbLb1EESU_EEDaSP_SQ_EUlSP_E0_NS1_11comp_targetILNS1_3genE10ELNS1_11target_archE1200ELNS1_3gpuE4ELNS1_3repE0EEENS1_30default_config_static_selectorELNS0_4arch9wavefront6targetE1EEEvT1_, .Lfunc_end159-_ZN7rocprim17ROCPRIM_400000_NS6detail17trampoline_kernelINS0_14default_configENS1_20scan_config_selectorIxEEZZNS1_9scan_implILNS1_25lookback_scan_determinismE0ELb1ELb1ES3_N6thrust23THRUST_200600_302600_NS6detail15normal_iteratorINS9_10device_ptrIxEEEESE_xNS9_4plusIvEExEEDaPvRmT3_T4_T5_mT6_P12ihipStream_tbENKUlT_T0_E_clISt17integral_constantIbLb1EESU_EEDaSP_SQ_EUlSP_E0_NS1_11comp_targetILNS1_3genE10ELNS1_11target_archE1200ELNS1_3gpuE4ELNS1_3repE0EEENS1_30default_config_static_selectorELNS0_4arch9wavefront6targetE1EEEvT1_
                                        ; -- End function
	.section	.AMDGPU.csdata,"",@progbits
; Kernel info:
; codeLenInByte = 0
; NumSgprs: 4
; NumVgprs: 0
; NumAgprs: 0
; TotalNumVgprs: 0
; ScratchSize: 0
; MemoryBound: 0
; FloatMode: 240
; IeeeMode: 1
; LDSByteSize: 0 bytes/workgroup (compile time only)
; SGPRBlocks: 0
; VGPRBlocks: 0
; NumSGPRsForWavesPerEU: 4
; NumVGPRsForWavesPerEU: 1
; AccumOffset: 4
; Occupancy: 8
; WaveLimiterHint : 0
; COMPUTE_PGM_RSRC2:SCRATCH_EN: 0
; COMPUTE_PGM_RSRC2:USER_SGPR: 6
; COMPUTE_PGM_RSRC2:TRAP_HANDLER: 0
; COMPUTE_PGM_RSRC2:TGID_X_EN: 1
; COMPUTE_PGM_RSRC2:TGID_Y_EN: 0
; COMPUTE_PGM_RSRC2:TGID_Z_EN: 0
; COMPUTE_PGM_RSRC2:TIDIG_COMP_CNT: 0
; COMPUTE_PGM_RSRC3_GFX90A:ACCUM_OFFSET: 0
; COMPUTE_PGM_RSRC3_GFX90A:TG_SPLIT: 0
	.section	.text._ZN7rocprim17ROCPRIM_400000_NS6detail17trampoline_kernelINS0_14default_configENS1_20scan_config_selectorIxEEZZNS1_9scan_implILNS1_25lookback_scan_determinismE0ELb1ELb1ES3_N6thrust23THRUST_200600_302600_NS6detail15normal_iteratorINS9_10device_ptrIxEEEESE_xNS9_4plusIvEExEEDaPvRmT3_T4_T5_mT6_P12ihipStream_tbENKUlT_T0_E_clISt17integral_constantIbLb1EESU_EEDaSP_SQ_EUlSP_E0_NS1_11comp_targetILNS1_3genE9ELNS1_11target_archE1100ELNS1_3gpuE3ELNS1_3repE0EEENS1_30default_config_static_selectorELNS0_4arch9wavefront6targetE1EEEvT1_,"axG",@progbits,_ZN7rocprim17ROCPRIM_400000_NS6detail17trampoline_kernelINS0_14default_configENS1_20scan_config_selectorIxEEZZNS1_9scan_implILNS1_25lookback_scan_determinismE0ELb1ELb1ES3_N6thrust23THRUST_200600_302600_NS6detail15normal_iteratorINS9_10device_ptrIxEEEESE_xNS9_4plusIvEExEEDaPvRmT3_T4_T5_mT6_P12ihipStream_tbENKUlT_T0_E_clISt17integral_constantIbLb1EESU_EEDaSP_SQ_EUlSP_E0_NS1_11comp_targetILNS1_3genE9ELNS1_11target_archE1100ELNS1_3gpuE3ELNS1_3repE0EEENS1_30default_config_static_selectorELNS0_4arch9wavefront6targetE1EEEvT1_,comdat
	.protected	_ZN7rocprim17ROCPRIM_400000_NS6detail17trampoline_kernelINS0_14default_configENS1_20scan_config_selectorIxEEZZNS1_9scan_implILNS1_25lookback_scan_determinismE0ELb1ELb1ES3_N6thrust23THRUST_200600_302600_NS6detail15normal_iteratorINS9_10device_ptrIxEEEESE_xNS9_4plusIvEExEEDaPvRmT3_T4_T5_mT6_P12ihipStream_tbENKUlT_T0_E_clISt17integral_constantIbLb1EESU_EEDaSP_SQ_EUlSP_E0_NS1_11comp_targetILNS1_3genE9ELNS1_11target_archE1100ELNS1_3gpuE3ELNS1_3repE0EEENS1_30default_config_static_selectorELNS0_4arch9wavefront6targetE1EEEvT1_ ; -- Begin function _ZN7rocprim17ROCPRIM_400000_NS6detail17trampoline_kernelINS0_14default_configENS1_20scan_config_selectorIxEEZZNS1_9scan_implILNS1_25lookback_scan_determinismE0ELb1ELb1ES3_N6thrust23THRUST_200600_302600_NS6detail15normal_iteratorINS9_10device_ptrIxEEEESE_xNS9_4plusIvEExEEDaPvRmT3_T4_T5_mT6_P12ihipStream_tbENKUlT_T0_E_clISt17integral_constantIbLb1EESU_EEDaSP_SQ_EUlSP_E0_NS1_11comp_targetILNS1_3genE9ELNS1_11target_archE1100ELNS1_3gpuE3ELNS1_3repE0EEENS1_30default_config_static_selectorELNS0_4arch9wavefront6targetE1EEEvT1_
	.globl	_ZN7rocprim17ROCPRIM_400000_NS6detail17trampoline_kernelINS0_14default_configENS1_20scan_config_selectorIxEEZZNS1_9scan_implILNS1_25lookback_scan_determinismE0ELb1ELb1ES3_N6thrust23THRUST_200600_302600_NS6detail15normal_iteratorINS9_10device_ptrIxEEEESE_xNS9_4plusIvEExEEDaPvRmT3_T4_T5_mT6_P12ihipStream_tbENKUlT_T0_E_clISt17integral_constantIbLb1EESU_EEDaSP_SQ_EUlSP_E0_NS1_11comp_targetILNS1_3genE9ELNS1_11target_archE1100ELNS1_3gpuE3ELNS1_3repE0EEENS1_30default_config_static_selectorELNS0_4arch9wavefront6targetE1EEEvT1_
	.p2align	8
	.type	_ZN7rocprim17ROCPRIM_400000_NS6detail17trampoline_kernelINS0_14default_configENS1_20scan_config_selectorIxEEZZNS1_9scan_implILNS1_25lookback_scan_determinismE0ELb1ELb1ES3_N6thrust23THRUST_200600_302600_NS6detail15normal_iteratorINS9_10device_ptrIxEEEESE_xNS9_4plusIvEExEEDaPvRmT3_T4_T5_mT6_P12ihipStream_tbENKUlT_T0_E_clISt17integral_constantIbLb1EESU_EEDaSP_SQ_EUlSP_E0_NS1_11comp_targetILNS1_3genE9ELNS1_11target_archE1100ELNS1_3gpuE3ELNS1_3repE0EEENS1_30default_config_static_selectorELNS0_4arch9wavefront6targetE1EEEvT1_,@function
_ZN7rocprim17ROCPRIM_400000_NS6detail17trampoline_kernelINS0_14default_configENS1_20scan_config_selectorIxEEZZNS1_9scan_implILNS1_25lookback_scan_determinismE0ELb1ELb1ES3_N6thrust23THRUST_200600_302600_NS6detail15normal_iteratorINS9_10device_ptrIxEEEESE_xNS9_4plusIvEExEEDaPvRmT3_T4_T5_mT6_P12ihipStream_tbENKUlT_T0_E_clISt17integral_constantIbLb1EESU_EEDaSP_SQ_EUlSP_E0_NS1_11comp_targetILNS1_3genE9ELNS1_11target_archE1100ELNS1_3gpuE3ELNS1_3repE0EEENS1_30default_config_static_selectorELNS0_4arch9wavefront6targetE1EEEvT1_: ; @_ZN7rocprim17ROCPRIM_400000_NS6detail17trampoline_kernelINS0_14default_configENS1_20scan_config_selectorIxEEZZNS1_9scan_implILNS1_25lookback_scan_determinismE0ELb1ELb1ES3_N6thrust23THRUST_200600_302600_NS6detail15normal_iteratorINS9_10device_ptrIxEEEESE_xNS9_4plusIvEExEEDaPvRmT3_T4_T5_mT6_P12ihipStream_tbENKUlT_T0_E_clISt17integral_constantIbLb1EESU_EEDaSP_SQ_EUlSP_E0_NS1_11comp_targetILNS1_3genE9ELNS1_11target_archE1100ELNS1_3gpuE3ELNS1_3repE0EEENS1_30default_config_static_selectorELNS0_4arch9wavefront6targetE1EEEvT1_
; %bb.0:
	.section	.rodata,"a",@progbits
	.p2align	6, 0x0
	.amdhsa_kernel _ZN7rocprim17ROCPRIM_400000_NS6detail17trampoline_kernelINS0_14default_configENS1_20scan_config_selectorIxEEZZNS1_9scan_implILNS1_25lookback_scan_determinismE0ELb1ELb1ES3_N6thrust23THRUST_200600_302600_NS6detail15normal_iteratorINS9_10device_ptrIxEEEESE_xNS9_4plusIvEExEEDaPvRmT3_T4_T5_mT6_P12ihipStream_tbENKUlT_T0_E_clISt17integral_constantIbLb1EESU_EEDaSP_SQ_EUlSP_E0_NS1_11comp_targetILNS1_3genE9ELNS1_11target_archE1100ELNS1_3gpuE3ELNS1_3repE0EEENS1_30default_config_static_selectorELNS0_4arch9wavefront6targetE1EEEvT1_
		.amdhsa_group_segment_fixed_size 0
		.amdhsa_private_segment_fixed_size 0
		.amdhsa_kernarg_size 40
		.amdhsa_user_sgpr_count 6
		.amdhsa_user_sgpr_private_segment_buffer 1
		.amdhsa_user_sgpr_dispatch_ptr 0
		.amdhsa_user_sgpr_queue_ptr 0
		.amdhsa_user_sgpr_kernarg_segment_ptr 1
		.amdhsa_user_sgpr_dispatch_id 0
		.amdhsa_user_sgpr_flat_scratch_init 0
		.amdhsa_user_sgpr_kernarg_preload_length 0
		.amdhsa_user_sgpr_kernarg_preload_offset 0
		.amdhsa_user_sgpr_private_segment_size 0
		.amdhsa_uses_dynamic_stack 0
		.amdhsa_system_sgpr_private_segment_wavefront_offset 0
		.amdhsa_system_sgpr_workgroup_id_x 1
		.amdhsa_system_sgpr_workgroup_id_y 0
		.amdhsa_system_sgpr_workgroup_id_z 0
		.amdhsa_system_sgpr_workgroup_info 0
		.amdhsa_system_vgpr_workitem_id 0
		.amdhsa_next_free_vgpr 1
		.amdhsa_next_free_sgpr 0
		.amdhsa_accum_offset 4
		.amdhsa_reserve_vcc 0
		.amdhsa_reserve_flat_scratch 0
		.amdhsa_float_round_mode_32 0
		.amdhsa_float_round_mode_16_64 0
		.amdhsa_float_denorm_mode_32 3
		.amdhsa_float_denorm_mode_16_64 3
		.amdhsa_dx10_clamp 1
		.amdhsa_ieee_mode 1
		.amdhsa_fp16_overflow 0
		.amdhsa_tg_split 0
		.amdhsa_exception_fp_ieee_invalid_op 0
		.amdhsa_exception_fp_denorm_src 0
		.amdhsa_exception_fp_ieee_div_zero 0
		.amdhsa_exception_fp_ieee_overflow 0
		.amdhsa_exception_fp_ieee_underflow 0
		.amdhsa_exception_fp_ieee_inexact 0
		.amdhsa_exception_int_div_zero 0
	.end_amdhsa_kernel
	.section	.text._ZN7rocprim17ROCPRIM_400000_NS6detail17trampoline_kernelINS0_14default_configENS1_20scan_config_selectorIxEEZZNS1_9scan_implILNS1_25lookback_scan_determinismE0ELb1ELb1ES3_N6thrust23THRUST_200600_302600_NS6detail15normal_iteratorINS9_10device_ptrIxEEEESE_xNS9_4plusIvEExEEDaPvRmT3_T4_T5_mT6_P12ihipStream_tbENKUlT_T0_E_clISt17integral_constantIbLb1EESU_EEDaSP_SQ_EUlSP_E0_NS1_11comp_targetILNS1_3genE9ELNS1_11target_archE1100ELNS1_3gpuE3ELNS1_3repE0EEENS1_30default_config_static_selectorELNS0_4arch9wavefront6targetE1EEEvT1_,"axG",@progbits,_ZN7rocprim17ROCPRIM_400000_NS6detail17trampoline_kernelINS0_14default_configENS1_20scan_config_selectorIxEEZZNS1_9scan_implILNS1_25lookback_scan_determinismE0ELb1ELb1ES3_N6thrust23THRUST_200600_302600_NS6detail15normal_iteratorINS9_10device_ptrIxEEEESE_xNS9_4plusIvEExEEDaPvRmT3_T4_T5_mT6_P12ihipStream_tbENKUlT_T0_E_clISt17integral_constantIbLb1EESU_EEDaSP_SQ_EUlSP_E0_NS1_11comp_targetILNS1_3genE9ELNS1_11target_archE1100ELNS1_3gpuE3ELNS1_3repE0EEENS1_30default_config_static_selectorELNS0_4arch9wavefront6targetE1EEEvT1_,comdat
.Lfunc_end160:
	.size	_ZN7rocprim17ROCPRIM_400000_NS6detail17trampoline_kernelINS0_14default_configENS1_20scan_config_selectorIxEEZZNS1_9scan_implILNS1_25lookback_scan_determinismE0ELb1ELb1ES3_N6thrust23THRUST_200600_302600_NS6detail15normal_iteratorINS9_10device_ptrIxEEEESE_xNS9_4plusIvEExEEDaPvRmT3_T4_T5_mT6_P12ihipStream_tbENKUlT_T0_E_clISt17integral_constantIbLb1EESU_EEDaSP_SQ_EUlSP_E0_NS1_11comp_targetILNS1_3genE9ELNS1_11target_archE1100ELNS1_3gpuE3ELNS1_3repE0EEENS1_30default_config_static_selectorELNS0_4arch9wavefront6targetE1EEEvT1_, .Lfunc_end160-_ZN7rocprim17ROCPRIM_400000_NS6detail17trampoline_kernelINS0_14default_configENS1_20scan_config_selectorIxEEZZNS1_9scan_implILNS1_25lookback_scan_determinismE0ELb1ELb1ES3_N6thrust23THRUST_200600_302600_NS6detail15normal_iteratorINS9_10device_ptrIxEEEESE_xNS9_4plusIvEExEEDaPvRmT3_T4_T5_mT6_P12ihipStream_tbENKUlT_T0_E_clISt17integral_constantIbLb1EESU_EEDaSP_SQ_EUlSP_E0_NS1_11comp_targetILNS1_3genE9ELNS1_11target_archE1100ELNS1_3gpuE3ELNS1_3repE0EEENS1_30default_config_static_selectorELNS0_4arch9wavefront6targetE1EEEvT1_
                                        ; -- End function
	.section	.AMDGPU.csdata,"",@progbits
; Kernel info:
; codeLenInByte = 0
; NumSgprs: 4
; NumVgprs: 0
; NumAgprs: 0
; TotalNumVgprs: 0
; ScratchSize: 0
; MemoryBound: 0
; FloatMode: 240
; IeeeMode: 1
; LDSByteSize: 0 bytes/workgroup (compile time only)
; SGPRBlocks: 0
; VGPRBlocks: 0
; NumSGPRsForWavesPerEU: 4
; NumVGPRsForWavesPerEU: 1
; AccumOffset: 4
; Occupancy: 8
; WaveLimiterHint : 0
; COMPUTE_PGM_RSRC2:SCRATCH_EN: 0
; COMPUTE_PGM_RSRC2:USER_SGPR: 6
; COMPUTE_PGM_RSRC2:TRAP_HANDLER: 0
; COMPUTE_PGM_RSRC2:TGID_X_EN: 1
; COMPUTE_PGM_RSRC2:TGID_Y_EN: 0
; COMPUTE_PGM_RSRC2:TGID_Z_EN: 0
; COMPUTE_PGM_RSRC2:TIDIG_COMP_CNT: 0
; COMPUTE_PGM_RSRC3_GFX90A:ACCUM_OFFSET: 0
; COMPUTE_PGM_RSRC3_GFX90A:TG_SPLIT: 0
	.section	.text._ZN7rocprim17ROCPRIM_400000_NS6detail17trampoline_kernelINS0_14default_configENS1_20scan_config_selectorIxEEZZNS1_9scan_implILNS1_25lookback_scan_determinismE0ELb1ELb1ES3_N6thrust23THRUST_200600_302600_NS6detail15normal_iteratorINS9_10device_ptrIxEEEESE_xNS9_4plusIvEExEEDaPvRmT3_T4_T5_mT6_P12ihipStream_tbENKUlT_T0_E_clISt17integral_constantIbLb1EESU_EEDaSP_SQ_EUlSP_E0_NS1_11comp_targetILNS1_3genE8ELNS1_11target_archE1030ELNS1_3gpuE2ELNS1_3repE0EEENS1_30default_config_static_selectorELNS0_4arch9wavefront6targetE1EEEvT1_,"axG",@progbits,_ZN7rocprim17ROCPRIM_400000_NS6detail17trampoline_kernelINS0_14default_configENS1_20scan_config_selectorIxEEZZNS1_9scan_implILNS1_25lookback_scan_determinismE0ELb1ELb1ES3_N6thrust23THRUST_200600_302600_NS6detail15normal_iteratorINS9_10device_ptrIxEEEESE_xNS9_4plusIvEExEEDaPvRmT3_T4_T5_mT6_P12ihipStream_tbENKUlT_T0_E_clISt17integral_constantIbLb1EESU_EEDaSP_SQ_EUlSP_E0_NS1_11comp_targetILNS1_3genE8ELNS1_11target_archE1030ELNS1_3gpuE2ELNS1_3repE0EEENS1_30default_config_static_selectorELNS0_4arch9wavefront6targetE1EEEvT1_,comdat
	.protected	_ZN7rocprim17ROCPRIM_400000_NS6detail17trampoline_kernelINS0_14default_configENS1_20scan_config_selectorIxEEZZNS1_9scan_implILNS1_25lookback_scan_determinismE0ELb1ELb1ES3_N6thrust23THRUST_200600_302600_NS6detail15normal_iteratorINS9_10device_ptrIxEEEESE_xNS9_4plusIvEExEEDaPvRmT3_T4_T5_mT6_P12ihipStream_tbENKUlT_T0_E_clISt17integral_constantIbLb1EESU_EEDaSP_SQ_EUlSP_E0_NS1_11comp_targetILNS1_3genE8ELNS1_11target_archE1030ELNS1_3gpuE2ELNS1_3repE0EEENS1_30default_config_static_selectorELNS0_4arch9wavefront6targetE1EEEvT1_ ; -- Begin function _ZN7rocprim17ROCPRIM_400000_NS6detail17trampoline_kernelINS0_14default_configENS1_20scan_config_selectorIxEEZZNS1_9scan_implILNS1_25lookback_scan_determinismE0ELb1ELb1ES3_N6thrust23THRUST_200600_302600_NS6detail15normal_iteratorINS9_10device_ptrIxEEEESE_xNS9_4plusIvEExEEDaPvRmT3_T4_T5_mT6_P12ihipStream_tbENKUlT_T0_E_clISt17integral_constantIbLb1EESU_EEDaSP_SQ_EUlSP_E0_NS1_11comp_targetILNS1_3genE8ELNS1_11target_archE1030ELNS1_3gpuE2ELNS1_3repE0EEENS1_30default_config_static_selectorELNS0_4arch9wavefront6targetE1EEEvT1_
	.globl	_ZN7rocprim17ROCPRIM_400000_NS6detail17trampoline_kernelINS0_14default_configENS1_20scan_config_selectorIxEEZZNS1_9scan_implILNS1_25lookback_scan_determinismE0ELb1ELb1ES3_N6thrust23THRUST_200600_302600_NS6detail15normal_iteratorINS9_10device_ptrIxEEEESE_xNS9_4plusIvEExEEDaPvRmT3_T4_T5_mT6_P12ihipStream_tbENKUlT_T0_E_clISt17integral_constantIbLb1EESU_EEDaSP_SQ_EUlSP_E0_NS1_11comp_targetILNS1_3genE8ELNS1_11target_archE1030ELNS1_3gpuE2ELNS1_3repE0EEENS1_30default_config_static_selectorELNS0_4arch9wavefront6targetE1EEEvT1_
	.p2align	8
	.type	_ZN7rocprim17ROCPRIM_400000_NS6detail17trampoline_kernelINS0_14default_configENS1_20scan_config_selectorIxEEZZNS1_9scan_implILNS1_25lookback_scan_determinismE0ELb1ELb1ES3_N6thrust23THRUST_200600_302600_NS6detail15normal_iteratorINS9_10device_ptrIxEEEESE_xNS9_4plusIvEExEEDaPvRmT3_T4_T5_mT6_P12ihipStream_tbENKUlT_T0_E_clISt17integral_constantIbLb1EESU_EEDaSP_SQ_EUlSP_E0_NS1_11comp_targetILNS1_3genE8ELNS1_11target_archE1030ELNS1_3gpuE2ELNS1_3repE0EEENS1_30default_config_static_selectorELNS0_4arch9wavefront6targetE1EEEvT1_,@function
_ZN7rocprim17ROCPRIM_400000_NS6detail17trampoline_kernelINS0_14default_configENS1_20scan_config_selectorIxEEZZNS1_9scan_implILNS1_25lookback_scan_determinismE0ELb1ELb1ES3_N6thrust23THRUST_200600_302600_NS6detail15normal_iteratorINS9_10device_ptrIxEEEESE_xNS9_4plusIvEExEEDaPvRmT3_T4_T5_mT6_P12ihipStream_tbENKUlT_T0_E_clISt17integral_constantIbLb1EESU_EEDaSP_SQ_EUlSP_E0_NS1_11comp_targetILNS1_3genE8ELNS1_11target_archE1030ELNS1_3gpuE2ELNS1_3repE0EEENS1_30default_config_static_selectorELNS0_4arch9wavefront6targetE1EEEvT1_: ; @_ZN7rocprim17ROCPRIM_400000_NS6detail17trampoline_kernelINS0_14default_configENS1_20scan_config_selectorIxEEZZNS1_9scan_implILNS1_25lookback_scan_determinismE0ELb1ELb1ES3_N6thrust23THRUST_200600_302600_NS6detail15normal_iteratorINS9_10device_ptrIxEEEESE_xNS9_4plusIvEExEEDaPvRmT3_T4_T5_mT6_P12ihipStream_tbENKUlT_T0_E_clISt17integral_constantIbLb1EESU_EEDaSP_SQ_EUlSP_E0_NS1_11comp_targetILNS1_3genE8ELNS1_11target_archE1030ELNS1_3gpuE2ELNS1_3repE0EEENS1_30default_config_static_selectorELNS0_4arch9wavefront6targetE1EEEvT1_
; %bb.0:
	.section	.rodata,"a",@progbits
	.p2align	6, 0x0
	.amdhsa_kernel _ZN7rocprim17ROCPRIM_400000_NS6detail17trampoline_kernelINS0_14default_configENS1_20scan_config_selectorIxEEZZNS1_9scan_implILNS1_25lookback_scan_determinismE0ELb1ELb1ES3_N6thrust23THRUST_200600_302600_NS6detail15normal_iteratorINS9_10device_ptrIxEEEESE_xNS9_4plusIvEExEEDaPvRmT3_T4_T5_mT6_P12ihipStream_tbENKUlT_T0_E_clISt17integral_constantIbLb1EESU_EEDaSP_SQ_EUlSP_E0_NS1_11comp_targetILNS1_3genE8ELNS1_11target_archE1030ELNS1_3gpuE2ELNS1_3repE0EEENS1_30default_config_static_selectorELNS0_4arch9wavefront6targetE1EEEvT1_
		.amdhsa_group_segment_fixed_size 0
		.amdhsa_private_segment_fixed_size 0
		.amdhsa_kernarg_size 40
		.amdhsa_user_sgpr_count 6
		.amdhsa_user_sgpr_private_segment_buffer 1
		.amdhsa_user_sgpr_dispatch_ptr 0
		.amdhsa_user_sgpr_queue_ptr 0
		.amdhsa_user_sgpr_kernarg_segment_ptr 1
		.amdhsa_user_sgpr_dispatch_id 0
		.amdhsa_user_sgpr_flat_scratch_init 0
		.amdhsa_user_sgpr_kernarg_preload_length 0
		.amdhsa_user_sgpr_kernarg_preload_offset 0
		.amdhsa_user_sgpr_private_segment_size 0
		.amdhsa_uses_dynamic_stack 0
		.amdhsa_system_sgpr_private_segment_wavefront_offset 0
		.amdhsa_system_sgpr_workgroup_id_x 1
		.amdhsa_system_sgpr_workgroup_id_y 0
		.amdhsa_system_sgpr_workgroup_id_z 0
		.amdhsa_system_sgpr_workgroup_info 0
		.amdhsa_system_vgpr_workitem_id 0
		.amdhsa_next_free_vgpr 1
		.amdhsa_next_free_sgpr 0
		.amdhsa_accum_offset 4
		.amdhsa_reserve_vcc 0
		.amdhsa_reserve_flat_scratch 0
		.amdhsa_float_round_mode_32 0
		.amdhsa_float_round_mode_16_64 0
		.amdhsa_float_denorm_mode_32 3
		.amdhsa_float_denorm_mode_16_64 3
		.amdhsa_dx10_clamp 1
		.amdhsa_ieee_mode 1
		.amdhsa_fp16_overflow 0
		.amdhsa_tg_split 0
		.amdhsa_exception_fp_ieee_invalid_op 0
		.amdhsa_exception_fp_denorm_src 0
		.amdhsa_exception_fp_ieee_div_zero 0
		.amdhsa_exception_fp_ieee_overflow 0
		.amdhsa_exception_fp_ieee_underflow 0
		.amdhsa_exception_fp_ieee_inexact 0
		.amdhsa_exception_int_div_zero 0
	.end_amdhsa_kernel
	.section	.text._ZN7rocprim17ROCPRIM_400000_NS6detail17trampoline_kernelINS0_14default_configENS1_20scan_config_selectorIxEEZZNS1_9scan_implILNS1_25lookback_scan_determinismE0ELb1ELb1ES3_N6thrust23THRUST_200600_302600_NS6detail15normal_iteratorINS9_10device_ptrIxEEEESE_xNS9_4plusIvEExEEDaPvRmT3_T4_T5_mT6_P12ihipStream_tbENKUlT_T0_E_clISt17integral_constantIbLb1EESU_EEDaSP_SQ_EUlSP_E0_NS1_11comp_targetILNS1_3genE8ELNS1_11target_archE1030ELNS1_3gpuE2ELNS1_3repE0EEENS1_30default_config_static_selectorELNS0_4arch9wavefront6targetE1EEEvT1_,"axG",@progbits,_ZN7rocprim17ROCPRIM_400000_NS6detail17trampoline_kernelINS0_14default_configENS1_20scan_config_selectorIxEEZZNS1_9scan_implILNS1_25lookback_scan_determinismE0ELb1ELb1ES3_N6thrust23THRUST_200600_302600_NS6detail15normal_iteratorINS9_10device_ptrIxEEEESE_xNS9_4plusIvEExEEDaPvRmT3_T4_T5_mT6_P12ihipStream_tbENKUlT_T0_E_clISt17integral_constantIbLb1EESU_EEDaSP_SQ_EUlSP_E0_NS1_11comp_targetILNS1_3genE8ELNS1_11target_archE1030ELNS1_3gpuE2ELNS1_3repE0EEENS1_30default_config_static_selectorELNS0_4arch9wavefront6targetE1EEEvT1_,comdat
.Lfunc_end161:
	.size	_ZN7rocprim17ROCPRIM_400000_NS6detail17trampoline_kernelINS0_14default_configENS1_20scan_config_selectorIxEEZZNS1_9scan_implILNS1_25lookback_scan_determinismE0ELb1ELb1ES3_N6thrust23THRUST_200600_302600_NS6detail15normal_iteratorINS9_10device_ptrIxEEEESE_xNS9_4plusIvEExEEDaPvRmT3_T4_T5_mT6_P12ihipStream_tbENKUlT_T0_E_clISt17integral_constantIbLb1EESU_EEDaSP_SQ_EUlSP_E0_NS1_11comp_targetILNS1_3genE8ELNS1_11target_archE1030ELNS1_3gpuE2ELNS1_3repE0EEENS1_30default_config_static_selectorELNS0_4arch9wavefront6targetE1EEEvT1_, .Lfunc_end161-_ZN7rocprim17ROCPRIM_400000_NS6detail17trampoline_kernelINS0_14default_configENS1_20scan_config_selectorIxEEZZNS1_9scan_implILNS1_25lookback_scan_determinismE0ELb1ELb1ES3_N6thrust23THRUST_200600_302600_NS6detail15normal_iteratorINS9_10device_ptrIxEEEESE_xNS9_4plusIvEExEEDaPvRmT3_T4_T5_mT6_P12ihipStream_tbENKUlT_T0_E_clISt17integral_constantIbLb1EESU_EEDaSP_SQ_EUlSP_E0_NS1_11comp_targetILNS1_3genE8ELNS1_11target_archE1030ELNS1_3gpuE2ELNS1_3repE0EEENS1_30default_config_static_selectorELNS0_4arch9wavefront6targetE1EEEvT1_
                                        ; -- End function
	.section	.AMDGPU.csdata,"",@progbits
; Kernel info:
; codeLenInByte = 0
; NumSgprs: 4
; NumVgprs: 0
; NumAgprs: 0
; TotalNumVgprs: 0
; ScratchSize: 0
; MemoryBound: 0
; FloatMode: 240
; IeeeMode: 1
; LDSByteSize: 0 bytes/workgroup (compile time only)
; SGPRBlocks: 0
; VGPRBlocks: 0
; NumSGPRsForWavesPerEU: 4
; NumVGPRsForWavesPerEU: 1
; AccumOffset: 4
; Occupancy: 8
; WaveLimiterHint : 0
; COMPUTE_PGM_RSRC2:SCRATCH_EN: 0
; COMPUTE_PGM_RSRC2:USER_SGPR: 6
; COMPUTE_PGM_RSRC2:TRAP_HANDLER: 0
; COMPUTE_PGM_RSRC2:TGID_X_EN: 1
; COMPUTE_PGM_RSRC2:TGID_Y_EN: 0
; COMPUTE_PGM_RSRC2:TGID_Z_EN: 0
; COMPUTE_PGM_RSRC2:TIDIG_COMP_CNT: 0
; COMPUTE_PGM_RSRC3_GFX90A:ACCUM_OFFSET: 0
; COMPUTE_PGM_RSRC3_GFX90A:TG_SPLIT: 0
	.section	.text._ZN7rocprim17ROCPRIM_400000_NS6detail17trampoline_kernelINS0_14default_configENS1_20scan_config_selectorIxEEZZNS1_9scan_implILNS1_25lookback_scan_determinismE0ELb1ELb1ES3_N6thrust23THRUST_200600_302600_NS6detail15normal_iteratorINS9_10device_ptrIxEEEESE_xNS9_4plusIvEExEEDaPvRmT3_T4_T5_mT6_P12ihipStream_tbENKUlT_T0_E_clISt17integral_constantIbLb1EEST_IbLb0EEEEDaSP_SQ_EUlSP_E_NS1_11comp_targetILNS1_3genE0ELNS1_11target_archE4294967295ELNS1_3gpuE0ELNS1_3repE0EEENS1_30default_config_static_selectorELNS0_4arch9wavefront6targetE1EEEvT1_,"axG",@progbits,_ZN7rocprim17ROCPRIM_400000_NS6detail17trampoline_kernelINS0_14default_configENS1_20scan_config_selectorIxEEZZNS1_9scan_implILNS1_25lookback_scan_determinismE0ELb1ELb1ES3_N6thrust23THRUST_200600_302600_NS6detail15normal_iteratorINS9_10device_ptrIxEEEESE_xNS9_4plusIvEExEEDaPvRmT3_T4_T5_mT6_P12ihipStream_tbENKUlT_T0_E_clISt17integral_constantIbLb1EEST_IbLb0EEEEDaSP_SQ_EUlSP_E_NS1_11comp_targetILNS1_3genE0ELNS1_11target_archE4294967295ELNS1_3gpuE0ELNS1_3repE0EEENS1_30default_config_static_selectorELNS0_4arch9wavefront6targetE1EEEvT1_,comdat
	.protected	_ZN7rocprim17ROCPRIM_400000_NS6detail17trampoline_kernelINS0_14default_configENS1_20scan_config_selectorIxEEZZNS1_9scan_implILNS1_25lookback_scan_determinismE0ELb1ELb1ES3_N6thrust23THRUST_200600_302600_NS6detail15normal_iteratorINS9_10device_ptrIxEEEESE_xNS9_4plusIvEExEEDaPvRmT3_T4_T5_mT6_P12ihipStream_tbENKUlT_T0_E_clISt17integral_constantIbLb1EEST_IbLb0EEEEDaSP_SQ_EUlSP_E_NS1_11comp_targetILNS1_3genE0ELNS1_11target_archE4294967295ELNS1_3gpuE0ELNS1_3repE0EEENS1_30default_config_static_selectorELNS0_4arch9wavefront6targetE1EEEvT1_ ; -- Begin function _ZN7rocprim17ROCPRIM_400000_NS6detail17trampoline_kernelINS0_14default_configENS1_20scan_config_selectorIxEEZZNS1_9scan_implILNS1_25lookback_scan_determinismE0ELb1ELb1ES3_N6thrust23THRUST_200600_302600_NS6detail15normal_iteratorINS9_10device_ptrIxEEEESE_xNS9_4plusIvEExEEDaPvRmT3_T4_T5_mT6_P12ihipStream_tbENKUlT_T0_E_clISt17integral_constantIbLb1EEST_IbLb0EEEEDaSP_SQ_EUlSP_E_NS1_11comp_targetILNS1_3genE0ELNS1_11target_archE4294967295ELNS1_3gpuE0ELNS1_3repE0EEENS1_30default_config_static_selectorELNS0_4arch9wavefront6targetE1EEEvT1_
	.globl	_ZN7rocprim17ROCPRIM_400000_NS6detail17trampoline_kernelINS0_14default_configENS1_20scan_config_selectorIxEEZZNS1_9scan_implILNS1_25lookback_scan_determinismE0ELb1ELb1ES3_N6thrust23THRUST_200600_302600_NS6detail15normal_iteratorINS9_10device_ptrIxEEEESE_xNS9_4plusIvEExEEDaPvRmT3_T4_T5_mT6_P12ihipStream_tbENKUlT_T0_E_clISt17integral_constantIbLb1EEST_IbLb0EEEEDaSP_SQ_EUlSP_E_NS1_11comp_targetILNS1_3genE0ELNS1_11target_archE4294967295ELNS1_3gpuE0ELNS1_3repE0EEENS1_30default_config_static_selectorELNS0_4arch9wavefront6targetE1EEEvT1_
	.p2align	8
	.type	_ZN7rocprim17ROCPRIM_400000_NS6detail17trampoline_kernelINS0_14default_configENS1_20scan_config_selectorIxEEZZNS1_9scan_implILNS1_25lookback_scan_determinismE0ELb1ELb1ES3_N6thrust23THRUST_200600_302600_NS6detail15normal_iteratorINS9_10device_ptrIxEEEESE_xNS9_4plusIvEExEEDaPvRmT3_T4_T5_mT6_P12ihipStream_tbENKUlT_T0_E_clISt17integral_constantIbLb1EEST_IbLb0EEEEDaSP_SQ_EUlSP_E_NS1_11comp_targetILNS1_3genE0ELNS1_11target_archE4294967295ELNS1_3gpuE0ELNS1_3repE0EEENS1_30default_config_static_selectorELNS0_4arch9wavefront6targetE1EEEvT1_,@function
_ZN7rocprim17ROCPRIM_400000_NS6detail17trampoline_kernelINS0_14default_configENS1_20scan_config_selectorIxEEZZNS1_9scan_implILNS1_25lookback_scan_determinismE0ELb1ELb1ES3_N6thrust23THRUST_200600_302600_NS6detail15normal_iteratorINS9_10device_ptrIxEEEESE_xNS9_4plusIvEExEEDaPvRmT3_T4_T5_mT6_P12ihipStream_tbENKUlT_T0_E_clISt17integral_constantIbLb1EEST_IbLb0EEEEDaSP_SQ_EUlSP_E_NS1_11comp_targetILNS1_3genE0ELNS1_11target_archE4294967295ELNS1_3gpuE0ELNS1_3repE0EEENS1_30default_config_static_selectorELNS0_4arch9wavefront6targetE1EEEvT1_: ; @_ZN7rocprim17ROCPRIM_400000_NS6detail17trampoline_kernelINS0_14default_configENS1_20scan_config_selectorIxEEZZNS1_9scan_implILNS1_25lookback_scan_determinismE0ELb1ELb1ES3_N6thrust23THRUST_200600_302600_NS6detail15normal_iteratorINS9_10device_ptrIxEEEESE_xNS9_4plusIvEExEEDaPvRmT3_T4_T5_mT6_P12ihipStream_tbENKUlT_T0_E_clISt17integral_constantIbLb1EEST_IbLb0EEEEDaSP_SQ_EUlSP_E_NS1_11comp_targetILNS1_3genE0ELNS1_11target_archE4294967295ELNS1_3gpuE0ELNS1_3repE0EEENS1_30default_config_static_selectorELNS0_4arch9wavefront6targetE1EEEvT1_
; %bb.0:
	.section	.rodata,"a",@progbits
	.p2align	6, 0x0
	.amdhsa_kernel _ZN7rocprim17ROCPRIM_400000_NS6detail17trampoline_kernelINS0_14default_configENS1_20scan_config_selectorIxEEZZNS1_9scan_implILNS1_25lookback_scan_determinismE0ELb1ELb1ES3_N6thrust23THRUST_200600_302600_NS6detail15normal_iteratorINS9_10device_ptrIxEEEESE_xNS9_4plusIvEExEEDaPvRmT3_T4_T5_mT6_P12ihipStream_tbENKUlT_T0_E_clISt17integral_constantIbLb1EEST_IbLb0EEEEDaSP_SQ_EUlSP_E_NS1_11comp_targetILNS1_3genE0ELNS1_11target_archE4294967295ELNS1_3gpuE0ELNS1_3repE0EEENS1_30default_config_static_selectorELNS0_4arch9wavefront6targetE1EEEvT1_
		.amdhsa_group_segment_fixed_size 0
		.amdhsa_private_segment_fixed_size 0
		.amdhsa_kernarg_size 104
		.amdhsa_user_sgpr_count 6
		.amdhsa_user_sgpr_private_segment_buffer 1
		.amdhsa_user_sgpr_dispatch_ptr 0
		.amdhsa_user_sgpr_queue_ptr 0
		.amdhsa_user_sgpr_kernarg_segment_ptr 1
		.amdhsa_user_sgpr_dispatch_id 0
		.amdhsa_user_sgpr_flat_scratch_init 0
		.amdhsa_user_sgpr_kernarg_preload_length 0
		.amdhsa_user_sgpr_kernarg_preload_offset 0
		.amdhsa_user_sgpr_private_segment_size 0
		.amdhsa_uses_dynamic_stack 0
		.amdhsa_system_sgpr_private_segment_wavefront_offset 0
		.amdhsa_system_sgpr_workgroup_id_x 1
		.amdhsa_system_sgpr_workgroup_id_y 0
		.amdhsa_system_sgpr_workgroup_id_z 0
		.amdhsa_system_sgpr_workgroup_info 0
		.amdhsa_system_vgpr_workitem_id 0
		.amdhsa_next_free_vgpr 1
		.amdhsa_next_free_sgpr 0
		.amdhsa_accum_offset 4
		.amdhsa_reserve_vcc 0
		.amdhsa_reserve_flat_scratch 0
		.amdhsa_float_round_mode_32 0
		.amdhsa_float_round_mode_16_64 0
		.amdhsa_float_denorm_mode_32 3
		.amdhsa_float_denorm_mode_16_64 3
		.amdhsa_dx10_clamp 1
		.amdhsa_ieee_mode 1
		.amdhsa_fp16_overflow 0
		.amdhsa_tg_split 0
		.amdhsa_exception_fp_ieee_invalid_op 0
		.amdhsa_exception_fp_denorm_src 0
		.amdhsa_exception_fp_ieee_div_zero 0
		.amdhsa_exception_fp_ieee_overflow 0
		.amdhsa_exception_fp_ieee_underflow 0
		.amdhsa_exception_fp_ieee_inexact 0
		.amdhsa_exception_int_div_zero 0
	.end_amdhsa_kernel
	.section	.text._ZN7rocprim17ROCPRIM_400000_NS6detail17trampoline_kernelINS0_14default_configENS1_20scan_config_selectorIxEEZZNS1_9scan_implILNS1_25lookback_scan_determinismE0ELb1ELb1ES3_N6thrust23THRUST_200600_302600_NS6detail15normal_iteratorINS9_10device_ptrIxEEEESE_xNS9_4plusIvEExEEDaPvRmT3_T4_T5_mT6_P12ihipStream_tbENKUlT_T0_E_clISt17integral_constantIbLb1EEST_IbLb0EEEEDaSP_SQ_EUlSP_E_NS1_11comp_targetILNS1_3genE0ELNS1_11target_archE4294967295ELNS1_3gpuE0ELNS1_3repE0EEENS1_30default_config_static_selectorELNS0_4arch9wavefront6targetE1EEEvT1_,"axG",@progbits,_ZN7rocprim17ROCPRIM_400000_NS6detail17trampoline_kernelINS0_14default_configENS1_20scan_config_selectorIxEEZZNS1_9scan_implILNS1_25lookback_scan_determinismE0ELb1ELb1ES3_N6thrust23THRUST_200600_302600_NS6detail15normal_iteratorINS9_10device_ptrIxEEEESE_xNS9_4plusIvEExEEDaPvRmT3_T4_T5_mT6_P12ihipStream_tbENKUlT_T0_E_clISt17integral_constantIbLb1EEST_IbLb0EEEEDaSP_SQ_EUlSP_E_NS1_11comp_targetILNS1_3genE0ELNS1_11target_archE4294967295ELNS1_3gpuE0ELNS1_3repE0EEENS1_30default_config_static_selectorELNS0_4arch9wavefront6targetE1EEEvT1_,comdat
.Lfunc_end162:
	.size	_ZN7rocprim17ROCPRIM_400000_NS6detail17trampoline_kernelINS0_14default_configENS1_20scan_config_selectorIxEEZZNS1_9scan_implILNS1_25lookback_scan_determinismE0ELb1ELb1ES3_N6thrust23THRUST_200600_302600_NS6detail15normal_iteratorINS9_10device_ptrIxEEEESE_xNS9_4plusIvEExEEDaPvRmT3_T4_T5_mT6_P12ihipStream_tbENKUlT_T0_E_clISt17integral_constantIbLb1EEST_IbLb0EEEEDaSP_SQ_EUlSP_E_NS1_11comp_targetILNS1_3genE0ELNS1_11target_archE4294967295ELNS1_3gpuE0ELNS1_3repE0EEENS1_30default_config_static_selectorELNS0_4arch9wavefront6targetE1EEEvT1_, .Lfunc_end162-_ZN7rocprim17ROCPRIM_400000_NS6detail17trampoline_kernelINS0_14default_configENS1_20scan_config_selectorIxEEZZNS1_9scan_implILNS1_25lookback_scan_determinismE0ELb1ELb1ES3_N6thrust23THRUST_200600_302600_NS6detail15normal_iteratorINS9_10device_ptrIxEEEESE_xNS9_4plusIvEExEEDaPvRmT3_T4_T5_mT6_P12ihipStream_tbENKUlT_T0_E_clISt17integral_constantIbLb1EEST_IbLb0EEEEDaSP_SQ_EUlSP_E_NS1_11comp_targetILNS1_3genE0ELNS1_11target_archE4294967295ELNS1_3gpuE0ELNS1_3repE0EEENS1_30default_config_static_selectorELNS0_4arch9wavefront6targetE1EEEvT1_
                                        ; -- End function
	.section	.AMDGPU.csdata,"",@progbits
; Kernel info:
; codeLenInByte = 0
; NumSgprs: 4
; NumVgprs: 0
; NumAgprs: 0
; TotalNumVgprs: 0
; ScratchSize: 0
; MemoryBound: 0
; FloatMode: 240
; IeeeMode: 1
; LDSByteSize: 0 bytes/workgroup (compile time only)
; SGPRBlocks: 0
; VGPRBlocks: 0
; NumSGPRsForWavesPerEU: 4
; NumVGPRsForWavesPerEU: 1
; AccumOffset: 4
; Occupancy: 8
; WaveLimiterHint : 0
; COMPUTE_PGM_RSRC2:SCRATCH_EN: 0
; COMPUTE_PGM_RSRC2:USER_SGPR: 6
; COMPUTE_PGM_RSRC2:TRAP_HANDLER: 0
; COMPUTE_PGM_RSRC2:TGID_X_EN: 1
; COMPUTE_PGM_RSRC2:TGID_Y_EN: 0
; COMPUTE_PGM_RSRC2:TGID_Z_EN: 0
; COMPUTE_PGM_RSRC2:TIDIG_COMP_CNT: 0
; COMPUTE_PGM_RSRC3_GFX90A:ACCUM_OFFSET: 0
; COMPUTE_PGM_RSRC3_GFX90A:TG_SPLIT: 0
	.section	.text._ZN7rocprim17ROCPRIM_400000_NS6detail17trampoline_kernelINS0_14default_configENS1_20scan_config_selectorIxEEZZNS1_9scan_implILNS1_25lookback_scan_determinismE0ELb1ELb1ES3_N6thrust23THRUST_200600_302600_NS6detail15normal_iteratorINS9_10device_ptrIxEEEESE_xNS9_4plusIvEExEEDaPvRmT3_T4_T5_mT6_P12ihipStream_tbENKUlT_T0_E_clISt17integral_constantIbLb1EEST_IbLb0EEEEDaSP_SQ_EUlSP_E_NS1_11comp_targetILNS1_3genE5ELNS1_11target_archE942ELNS1_3gpuE9ELNS1_3repE0EEENS1_30default_config_static_selectorELNS0_4arch9wavefront6targetE1EEEvT1_,"axG",@progbits,_ZN7rocprim17ROCPRIM_400000_NS6detail17trampoline_kernelINS0_14default_configENS1_20scan_config_selectorIxEEZZNS1_9scan_implILNS1_25lookback_scan_determinismE0ELb1ELb1ES3_N6thrust23THRUST_200600_302600_NS6detail15normal_iteratorINS9_10device_ptrIxEEEESE_xNS9_4plusIvEExEEDaPvRmT3_T4_T5_mT6_P12ihipStream_tbENKUlT_T0_E_clISt17integral_constantIbLb1EEST_IbLb0EEEEDaSP_SQ_EUlSP_E_NS1_11comp_targetILNS1_3genE5ELNS1_11target_archE942ELNS1_3gpuE9ELNS1_3repE0EEENS1_30default_config_static_selectorELNS0_4arch9wavefront6targetE1EEEvT1_,comdat
	.protected	_ZN7rocprim17ROCPRIM_400000_NS6detail17trampoline_kernelINS0_14default_configENS1_20scan_config_selectorIxEEZZNS1_9scan_implILNS1_25lookback_scan_determinismE0ELb1ELb1ES3_N6thrust23THRUST_200600_302600_NS6detail15normal_iteratorINS9_10device_ptrIxEEEESE_xNS9_4plusIvEExEEDaPvRmT3_T4_T5_mT6_P12ihipStream_tbENKUlT_T0_E_clISt17integral_constantIbLb1EEST_IbLb0EEEEDaSP_SQ_EUlSP_E_NS1_11comp_targetILNS1_3genE5ELNS1_11target_archE942ELNS1_3gpuE9ELNS1_3repE0EEENS1_30default_config_static_selectorELNS0_4arch9wavefront6targetE1EEEvT1_ ; -- Begin function _ZN7rocprim17ROCPRIM_400000_NS6detail17trampoline_kernelINS0_14default_configENS1_20scan_config_selectorIxEEZZNS1_9scan_implILNS1_25lookback_scan_determinismE0ELb1ELb1ES3_N6thrust23THRUST_200600_302600_NS6detail15normal_iteratorINS9_10device_ptrIxEEEESE_xNS9_4plusIvEExEEDaPvRmT3_T4_T5_mT6_P12ihipStream_tbENKUlT_T0_E_clISt17integral_constantIbLb1EEST_IbLb0EEEEDaSP_SQ_EUlSP_E_NS1_11comp_targetILNS1_3genE5ELNS1_11target_archE942ELNS1_3gpuE9ELNS1_3repE0EEENS1_30default_config_static_selectorELNS0_4arch9wavefront6targetE1EEEvT1_
	.globl	_ZN7rocprim17ROCPRIM_400000_NS6detail17trampoline_kernelINS0_14default_configENS1_20scan_config_selectorIxEEZZNS1_9scan_implILNS1_25lookback_scan_determinismE0ELb1ELb1ES3_N6thrust23THRUST_200600_302600_NS6detail15normal_iteratorINS9_10device_ptrIxEEEESE_xNS9_4plusIvEExEEDaPvRmT3_T4_T5_mT6_P12ihipStream_tbENKUlT_T0_E_clISt17integral_constantIbLb1EEST_IbLb0EEEEDaSP_SQ_EUlSP_E_NS1_11comp_targetILNS1_3genE5ELNS1_11target_archE942ELNS1_3gpuE9ELNS1_3repE0EEENS1_30default_config_static_selectorELNS0_4arch9wavefront6targetE1EEEvT1_
	.p2align	8
	.type	_ZN7rocprim17ROCPRIM_400000_NS6detail17trampoline_kernelINS0_14default_configENS1_20scan_config_selectorIxEEZZNS1_9scan_implILNS1_25lookback_scan_determinismE0ELb1ELb1ES3_N6thrust23THRUST_200600_302600_NS6detail15normal_iteratorINS9_10device_ptrIxEEEESE_xNS9_4plusIvEExEEDaPvRmT3_T4_T5_mT6_P12ihipStream_tbENKUlT_T0_E_clISt17integral_constantIbLb1EEST_IbLb0EEEEDaSP_SQ_EUlSP_E_NS1_11comp_targetILNS1_3genE5ELNS1_11target_archE942ELNS1_3gpuE9ELNS1_3repE0EEENS1_30default_config_static_selectorELNS0_4arch9wavefront6targetE1EEEvT1_,@function
_ZN7rocprim17ROCPRIM_400000_NS6detail17trampoline_kernelINS0_14default_configENS1_20scan_config_selectorIxEEZZNS1_9scan_implILNS1_25lookback_scan_determinismE0ELb1ELb1ES3_N6thrust23THRUST_200600_302600_NS6detail15normal_iteratorINS9_10device_ptrIxEEEESE_xNS9_4plusIvEExEEDaPvRmT3_T4_T5_mT6_P12ihipStream_tbENKUlT_T0_E_clISt17integral_constantIbLb1EEST_IbLb0EEEEDaSP_SQ_EUlSP_E_NS1_11comp_targetILNS1_3genE5ELNS1_11target_archE942ELNS1_3gpuE9ELNS1_3repE0EEENS1_30default_config_static_selectorELNS0_4arch9wavefront6targetE1EEEvT1_: ; @_ZN7rocprim17ROCPRIM_400000_NS6detail17trampoline_kernelINS0_14default_configENS1_20scan_config_selectorIxEEZZNS1_9scan_implILNS1_25lookback_scan_determinismE0ELb1ELb1ES3_N6thrust23THRUST_200600_302600_NS6detail15normal_iteratorINS9_10device_ptrIxEEEESE_xNS9_4plusIvEExEEDaPvRmT3_T4_T5_mT6_P12ihipStream_tbENKUlT_T0_E_clISt17integral_constantIbLb1EEST_IbLb0EEEEDaSP_SQ_EUlSP_E_NS1_11comp_targetILNS1_3genE5ELNS1_11target_archE942ELNS1_3gpuE9ELNS1_3repE0EEENS1_30default_config_static_selectorELNS0_4arch9wavefront6targetE1EEEvT1_
; %bb.0:
	.section	.rodata,"a",@progbits
	.p2align	6, 0x0
	.amdhsa_kernel _ZN7rocprim17ROCPRIM_400000_NS6detail17trampoline_kernelINS0_14default_configENS1_20scan_config_selectorIxEEZZNS1_9scan_implILNS1_25lookback_scan_determinismE0ELb1ELb1ES3_N6thrust23THRUST_200600_302600_NS6detail15normal_iteratorINS9_10device_ptrIxEEEESE_xNS9_4plusIvEExEEDaPvRmT3_T4_T5_mT6_P12ihipStream_tbENKUlT_T0_E_clISt17integral_constantIbLb1EEST_IbLb0EEEEDaSP_SQ_EUlSP_E_NS1_11comp_targetILNS1_3genE5ELNS1_11target_archE942ELNS1_3gpuE9ELNS1_3repE0EEENS1_30default_config_static_selectorELNS0_4arch9wavefront6targetE1EEEvT1_
		.amdhsa_group_segment_fixed_size 0
		.amdhsa_private_segment_fixed_size 0
		.amdhsa_kernarg_size 104
		.amdhsa_user_sgpr_count 6
		.amdhsa_user_sgpr_private_segment_buffer 1
		.amdhsa_user_sgpr_dispatch_ptr 0
		.amdhsa_user_sgpr_queue_ptr 0
		.amdhsa_user_sgpr_kernarg_segment_ptr 1
		.amdhsa_user_sgpr_dispatch_id 0
		.amdhsa_user_sgpr_flat_scratch_init 0
		.amdhsa_user_sgpr_kernarg_preload_length 0
		.amdhsa_user_sgpr_kernarg_preload_offset 0
		.amdhsa_user_sgpr_private_segment_size 0
		.amdhsa_uses_dynamic_stack 0
		.amdhsa_system_sgpr_private_segment_wavefront_offset 0
		.amdhsa_system_sgpr_workgroup_id_x 1
		.amdhsa_system_sgpr_workgroup_id_y 0
		.amdhsa_system_sgpr_workgroup_id_z 0
		.amdhsa_system_sgpr_workgroup_info 0
		.amdhsa_system_vgpr_workitem_id 0
		.amdhsa_next_free_vgpr 1
		.amdhsa_next_free_sgpr 0
		.amdhsa_accum_offset 4
		.amdhsa_reserve_vcc 0
		.amdhsa_reserve_flat_scratch 0
		.amdhsa_float_round_mode_32 0
		.amdhsa_float_round_mode_16_64 0
		.amdhsa_float_denorm_mode_32 3
		.amdhsa_float_denorm_mode_16_64 3
		.amdhsa_dx10_clamp 1
		.amdhsa_ieee_mode 1
		.amdhsa_fp16_overflow 0
		.amdhsa_tg_split 0
		.amdhsa_exception_fp_ieee_invalid_op 0
		.amdhsa_exception_fp_denorm_src 0
		.amdhsa_exception_fp_ieee_div_zero 0
		.amdhsa_exception_fp_ieee_overflow 0
		.amdhsa_exception_fp_ieee_underflow 0
		.amdhsa_exception_fp_ieee_inexact 0
		.amdhsa_exception_int_div_zero 0
	.end_amdhsa_kernel
	.section	.text._ZN7rocprim17ROCPRIM_400000_NS6detail17trampoline_kernelINS0_14default_configENS1_20scan_config_selectorIxEEZZNS1_9scan_implILNS1_25lookback_scan_determinismE0ELb1ELb1ES3_N6thrust23THRUST_200600_302600_NS6detail15normal_iteratorINS9_10device_ptrIxEEEESE_xNS9_4plusIvEExEEDaPvRmT3_T4_T5_mT6_P12ihipStream_tbENKUlT_T0_E_clISt17integral_constantIbLb1EEST_IbLb0EEEEDaSP_SQ_EUlSP_E_NS1_11comp_targetILNS1_3genE5ELNS1_11target_archE942ELNS1_3gpuE9ELNS1_3repE0EEENS1_30default_config_static_selectorELNS0_4arch9wavefront6targetE1EEEvT1_,"axG",@progbits,_ZN7rocprim17ROCPRIM_400000_NS6detail17trampoline_kernelINS0_14default_configENS1_20scan_config_selectorIxEEZZNS1_9scan_implILNS1_25lookback_scan_determinismE0ELb1ELb1ES3_N6thrust23THRUST_200600_302600_NS6detail15normal_iteratorINS9_10device_ptrIxEEEESE_xNS9_4plusIvEExEEDaPvRmT3_T4_T5_mT6_P12ihipStream_tbENKUlT_T0_E_clISt17integral_constantIbLb1EEST_IbLb0EEEEDaSP_SQ_EUlSP_E_NS1_11comp_targetILNS1_3genE5ELNS1_11target_archE942ELNS1_3gpuE9ELNS1_3repE0EEENS1_30default_config_static_selectorELNS0_4arch9wavefront6targetE1EEEvT1_,comdat
.Lfunc_end163:
	.size	_ZN7rocprim17ROCPRIM_400000_NS6detail17trampoline_kernelINS0_14default_configENS1_20scan_config_selectorIxEEZZNS1_9scan_implILNS1_25lookback_scan_determinismE0ELb1ELb1ES3_N6thrust23THRUST_200600_302600_NS6detail15normal_iteratorINS9_10device_ptrIxEEEESE_xNS9_4plusIvEExEEDaPvRmT3_T4_T5_mT6_P12ihipStream_tbENKUlT_T0_E_clISt17integral_constantIbLb1EEST_IbLb0EEEEDaSP_SQ_EUlSP_E_NS1_11comp_targetILNS1_3genE5ELNS1_11target_archE942ELNS1_3gpuE9ELNS1_3repE0EEENS1_30default_config_static_selectorELNS0_4arch9wavefront6targetE1EEEvT1_, .Lfunc_end163-_ZN7rocprim17ROCPRIM_400000_NS6detail17trampoline_kernelINS0_14default_configENS1_20scan_config_selectorIxEEZZNS1_9scan_implILNS1_25lookback_scan_determinismE0ELb1ELb1ES3_N6thrust23THRUST_200600_302600_NS6detail15normal_iteratorINS9_10device_ptrIxEEEESE_xNS9_4plusIvEExEEDaPvRmT3_T4_T5_mT6_P12ihipStream_tbENKUlT_T0_E_clISt17integral_constantIbLb1EEST_IbLb0EEEEDaSP_SQ_EUlSP_E_NS1_11comp_targetILNS1_3genE5ELNS1_11target_archE942ELNS1_3gpuE9ELNS1_3repE0EEENS1_30default_config_static_selectorELNS0_4arch9wavefront6targetE1EEEvT1_
                                        ; -- End function
	.section	.AMDGPU.csdata,"",@progbits
; Kernel info:
; codeLenInByte = 0
; NumSgprs: 4
; NumVgprs: 0
; NumAgprs: 0
; TotalNumVgprs: 0
; ScratchSize: 0
; MemoryBound: 0
; FloatMode: 240
; IeeeMode: 1
; LDSByteSize: 0 bytes/workgroup (compile time only)
; SGPRBlocks: 0
; VGPRBlocks: 0
; NumSGPRsForWavesPerEU: 4
; NumVGPRsForWavesPerEU: 1
; AccumOffset: 4
; Occupancy: 8
; WaveLimiterHint : 0
; COMPUTE_PGM_RSRC2:SCRATCH_EN: 0
; COMPUTE_PGM_RSRC2:USER_SGPR: 6
; COMPUTE_PGM_RSRC2:TRAP_HANDLER: 0
; COMPUTE_PGM_RSRC2:TGID_X_EN: 1
; COMPUTE_PGM_RSRC2:TGID_Y_EN: 0
; COMPUTE_PGM_RSRC2:TGID_Z_EN: 0
; COMPUTE_PGM_RSRC2:TIDIG_COMP_CNT: 0
; COMPUTE_PGM_RSRC3_GFX90A:ACCUM_OFFSET: 0
; COMPUTE_PGM_RSRC3_GFX90A:TG_SPLIT: 0
	.section	.text._ZN7rocprim17ROCPRIM_400000_NS6detail17trampoline_kernelINS0_14default_configENS1_20scan_config_selectorIxEEZZNS1_9scan_implILNS1_25lookback_scan_determinismE0ELb1ELb1ES3_N6thrust23THRUST_200600_302600_NS6detail15normal_iteratorINS9_10device_ptrIxEEEESE_xNS9_4plusIvEExEEDaPvRmT3_T4_T5_mT6_P12ihipStream_tbENKUlT_T0_E_clISt17integral_constantIbLb1EEST_IbLb0EEEEDaSP_SQ_EUlSP_E_NS1_11comp_targetILNS1_3genE4ELNS1_11target_archE910ELNS1_3gpuE8ELNS1_3repE0EEENS1_30default_config_static_selectorELNS0_4arch9wavefront6targetE1EEEvT1_,"axG",@progbits,_ZN7rocprim17ROCPRIM_400000_NS6detail17trampoline_kernelINS0_14default_configENS1_20scan_config_selectorIxEEZZNS1_9scan_implILNS1_25lookback_scan_determinismE0ELb1ELb1ES3_N6thrust23THRUST_200600_302600_NS6detail15normal_iteratorINS9_10device_ptrIxEEEESE_xNS9_4plusIvEExEEDaPvRmT3_T4_T5_mT6_P12ihipStream_tbENKUlT_T0_E_clISt17integral_constantIbLb1EEST_IbLb0EEEEDaSP_SQ_EUlSP_E_NS1_11comp_targetILNS1_3genE4ELNS1_11target_archE910ELNS1_3gpuE8ELNS1_3repE0EEENS1_30default_config_static_selectorELNS0_4arch9wavefront6targetE1EEEvT1_,comdat
	.protected	_ZN7rocprim17ROCPRIM_400000_NS6detail17trampoline_kernelINS0_14default_configENS1_20scan_config_selectorIxEEZZNS1_9scan_implILNS1_25lookback_scan_determinismE0ELb1ELb1ES3_N6thrust23THRUST_200600_302600_NS6detail15normal_iteratorINS9_10device_ptrIxEEEESE_xNS9_4plusIvEExEEDaPvRmT3_T4_T5_mT6_P12ihipStream_tbENKUlT_T0_E_clISt17integral_constantIbLb1EEST_IbLb0EEEEDaSP_SQ_EUlSP_E_NS1_11comp_targetILNS1_3genE4ELNS1_11target_archE910ELNS1_3gpuE8ELNS1_3repE0EEENS1_30default_config_static_selectorELNS0_4arch9wavefront6targetE1EEEvT1_ ; -- Begin function _ZN7rocprim17ROCPRIM_400000_NS6detail17trampoline_kernelINS0_14default_configENS1_20scan_config_selectorIxEEZZNS1_9scan_implILNS1_25lookback_scan_determinismE0ELb1ELb1ES3_N6thrust23THRUST_200600_302600_NS6detail15normal_iteratorINS9_10device_ptrIxEEEESE_xNS9_4plusIvEExEEDaPvRmT3_T4_T5_mT6_P12ihipStream_tbENKUlT_T0_E_clISt17integral_constantIbLb1EEST_IbLb0EEEEDaSP_SQ_EUlSP_E_NS1_11comp_targetILNS1_3genE4ELNS1_11target_archE910ELNS1_3gpuE8ELNS1_3repE0EEENS1_30default_config_static_selectorELNS0_4arch9wavefront6targetE1EEEvT1_
	.globl	_ZN7rocprim17ROCPRIM_400000_NS6detail17trampoline_kernelINS0_14default_configENS1_20scan_config_selectorIxEEZZNS1_9scan_implILNS1_25lookback_scan_determinismE0ELb1ELb1ES3_N6thrust23THRUST_200600_302600_NS6detail15normal_iteratorINS9_10device_ptrIxEEEESE_xNS9_4plusIvEExEEDaPvRmT3_T4_T5_mT6_P12ihipStream_tbENKUlT_T0_E_clISt17integral_constantIbLb1EEST_IbLb0EEEEDaSP_SQ_EUlSP_E_NS1_11comp_targetILNS1_3genE4ELNS1_11target_archE910ELNS1_3gpuE8ELNS1_3repE0EEENS1_30default_config_static_selectorELNS0_4arch9wavefront6targetE1EEEvT1_
	.p2align	8
	.type	_ZN7rocprim17ROCPRIM_400000_NS6detail17trampoline_kernelINS0_14default_configENS1_20scan_config_selectorIxEEZZNS1_9scan_implILNS1_25lookback_scan_determinismE0ELb1ELb1ES3_N6thrust23THRUST_200600_302600_NS6detail15normal_iteratorINS9_10device_ptrIxEEEESE_xNS9_4plusIvEExEEDaPvRmT3_T4_T5_mT6_P12ihipStream_tbENKUlT_T0_E_clISt17integral_constantIbLb1EEST_IbLb0EEEEDaSP_SQ_EUlSP_E_NS1_11comp_targetILNS1_3genE4ELNS1_11target_archE910ELNS1_3gpuE8ELNS1_3repE0EEENS1_30default_config_static_selectorELNS0_4arch9wavefront6targetE1EEEvT1_,@function
_ZN7rocprim17ROCPRIM_400000_NS6detail17trampoline_kernelINS0_14default_configENS1_20scan_config_selectorIxEEZZNS1_9scan_implILNS1_25lookback_scan_determinismE0ELb1ELb1ES3_N6thrust23THRUST_200600_302600_NS6detail15normal_iteratorINS9_10device_ptrIxEEEESE_xNS9_4plusIvEExEEDaPvRmT3_T4_T5_mT6_P12ihipStream_tbENKUlT_T0_E_clISt17integral_constantIbLb1EEST_IbLb0EEEEDaSP_SQ_EUlSP_E_NS1_11comp_targetILNS1_3genE4ELNS1_11target_archE910ELNS1_3gpuE8ELNS1_3repE0EEENS1_30default_config_static_selectorELNS0_4arch9wavefront6targetE1EEEvT1_: ; @_ZN7rocprim17ROCPRIM_400000_NS6detail17trampoline_kernelINS0_14default_configENS1_20scan_config_selectorIxEEZZNS1_9scan_implILNS1_25lookback_scan_determinismE0ELb1ELb1ES3_N6thrust23THRUST_200600_302600_NS6detail15normal_iteratorINS9_10device_ptrIxEEEESE_xNS9_4plusIvEExEEDaPvRmT3_T4_T5_mT6_P12ihipStream_tbENKUlT_T0_E_clISt17integral_constantIbLb1EEST_IbLb0EEEEDaSP_SQ_EUlSP_E_NS1_11comp_targetILNS1_3genE4ELNS1_11target_archE910ELNS1_3gpuE8ELNS1_3repE0EEENS1_30default_config_static_selectorELNS0_4arch9wavefront6targetE1EEEvT1_
; %bb.0:
	s_load_dwordx8 s[8:15], s[4:5], 0x0
	s_load_dword s1, s[4:5], 0x38
	s_mul_i32 s0, s6, 0x380
	v_lshlrev_b32_e32 v36, 3, v0
	s_waitcnt lgkmcnt(0)
	s_lshl_b64 s[16:17], s[10:11], 3
	s_add_u32 s28, s8, s16
	s_addc_u32 s29, s9, s17
	s_add_i32 s2, s1, -1
	s_mul_i32 s3, s2, 0x380
	s_sub_u32 s26, s14, s3
	s_subb_u32 s27, s15, 0
	s_mov_b32 s1, 0
	s_cmp_lg_u32 s6, s2
	s_cselect_b64 s[14:15], -1, 0
	s_lshl_b64 s[18:19], s[0:1], 3
	s_add_u32 s2, s28, s18
	s_addc_u32 s3, s29, s19
	s_mov_b64 s[0:1], -1
	s_and_b64 vcc, exec, s[14:15]
	s_cbranch_vccz .LBB164_2
; %bb.1:
	v_mov_b32_e32 v1, s3
	v_add_co_u32_e32 v2, vcc, s2, v36
	v_addc_co_u32_e32 v3, vcc, 0, v1, vcc
	flat_load_dwordx2 v[4:5], v[2:3]
	flat_load_dwordx2 v[6:7], v[2:3] offset:1024
	flat_load_dwordx2 v[8:9], v[2:3] offset:2048
	flat_load_dwordx2 v[10:11], v[2:3] offset:3072
	v_add_co_u32_e32 v2, vcc, 0x1000, v2
	v_addc_co_u32_e32 v3, vcc, 0, v3, vcc
	flat_load_dwordx2 v[12:13], v[2:3]
	flat_load_dwordx2 v[14:15], v[2:3] offset:1024
	flat_load_dwordx2 v[16:17], v[2:3] offset:2048
	s_mov_b64 s[0:1], 0
	s_waitcnt vmcnt(0) lgkmcnt(0)
	ds_write2st64_b64 v36, v[4:5], v[6:7] offset1:2
	ds_write2st64_b64 v36, v[8:9], v[10:11] offset0:4 offset1:6
	ds_write2st64_b64 v36, v[12:13], v[14:15] offset0:8 offset1:10
	ds_write_b64 v36, v[16:17] offset:6144
	s_waitcnt lgkmcnt(0)
	s_barrier
.LBB164_2:
	s_load_dwordx2 s[22:23], s[4:5], 0x20
	s_load_dwordx2 s[20:21], s[4:5], 0x30
	s_andn2_b64 vcc, exec, s[0:1]
	v_cmp_gt_u32_e64 s[0:1], s26, v0
	s_cbranch_vccnz .LBB164_18
; %bb.3:
	v_pk_mov_b32 v[2:3], s[2:3], s[2:3] op_sel:[0,1]
	flat_load_dwordx2 v[2:3], v[2:3]
	s_waitcnt vmcnt(0) lgkmcnt(0)
	v_mov_b32_e32 v4, v2
	v_mov_b32_e32 v5, v3
	;; [unrolled: 1-line block ×10, first 2 shown]
	v_pk_mov_b32 v[18:19], v[14:15], v[14:15] op_sel:[0,1]
	v_pk_mov_b32 v[16:17], v[12:13], v[12:13] op_sel:[0,1]
	;; [unrolled: 1-line block ×8, first 2 shown]
	s_and_saveexec_b64 s[8:9], s[0:1]
	s_cbranch_execz .LBB164_5
; %bb.4:
	v_mov_b32_e32 v1, s3
	v_add_co_u32_e32 v4, vcc, s2, v36
	v_addc_co_u32_e32 v5, vcc, 0, v1, vcc
	flat_load_dwordx2 v[20:21], v[4:5]
	v_mov_b32_e32 v4, v2
	v_mov_b32_e32 v5, v3
	v_mov_b32_e32 v6, v2
	v_mov_b32_e32 v7, v3
	v_mov_b32_e32 v8, v2
	v_mov_b32_e32 v9, v3
	v_mov_b32_e32 v10, v2
	v_mov_b32_e32 v11, v3
	v_mov_b32_e32 v12, v2
	v_mov_b32_e32 v13, v3
	v_pk_mov_b32 v[18:19], v[14:15], v[14:15] op_sel:[0,1]
	v_pk_mov_b32 v[16:17], v[12:13], v[12:13] op_sel:[0,1]
	;; [unrolled: 1-line block ×8, first 2 shown]
	s_waitcnt vmcnt(0) lgkmcnt(0)
	v_pk_mov_b32 v[2:3], v[20:21], v[20:21] op_sel:[0,1]
.LBB164_5:
	s_or_b64 exec, exec, s[8:9]
	v_or_b32_e32 v1, 0x80, v0
	v_cmp_gt_u32_e32 vcc, s26, v1
	s_and_saveexec_b64 s[0:1], vcc
	s_cbranch_execz .LBB164_7
; %bb.6:
	v_mov_b32_e32 v1, s3
	v_add_co_u32_e32 v4, vcc, s2, v36
	v_addc_co_u32_e32 v5, vcc, 0, v1, vcc
	flat_load_dwordx2 v[6:7], v[4:5] offset:1024
.LBB164_7:
	s_or_b64 exec, exec, s[0:1]
	v_or_b32_e32 v1, 0x100, v0
	v_cmp_gt_u32_e32 vcc, s26, v1
	s_and_saveexec_b64 s[0:1], vcc
	s_cbranch_execz .LBB164_9
; %bb.8:
	v_mov_b32_e32 v1, s3
	v_add_co_u32_e32 v4, vcc, s2, v36
	v_addc_co_u32_e32 v5, vcc, 0, v1, vcc
	flat_load_dwordx2 v[8:9], v[4:5] offset:2048
.LBB164_9:
	;; [unrolled: 11-line block ×3, first 2 shown]
	s_or_b64 exec, exec, s[0:1]
	v_or_b32_e32 v1, 0x200, v0
	v_cmp_gt_u32_e32 vcc, s26, v1
	s_and_saveexec_b64 s[0:1], vcc
	s_cbranch_execz .LBB164_13
; %bb.12:
	v_lshlrev_b32_e32 v1, 3, v1
	v_mov_b32_e32 v5, s3
	v_add_co_u32_e32 v4, vcc, s2, v1
	v_addc_co_u32_e32 v5, vcc, 0, v5, vcc
	flat_load_dwordx2 v[12:13], v[4:5]
.LBB164_13:
	s_or_b64 exec, exec, s[0:1]
	v_or_b32_e32 v1, 0x280, v0
	v_cmp_gt_u32_e32 vcc, s26, v1
	s_and_saveexec_b64 s[0:1], vcc
	s_cbranch_execz .LBB164_15
; %bb.14:
	v_lshlrev_b32_e32 v1, 3, v1
	v_mov_b32_e32 v5, s3
	v_add_co_u32_e32 v4, vcc, s2, v1
	v_addc_co_u32_e32 v5, vcc, 0, v5, vcc
	flat_load_dwordx2 v[14:15], v[4:5]
.LBB164_15:
	;; [unrolled: 12-line block ×3, first 2 shown]
	s_or_b64 exec, exec, s[0:1]
	s_waitcnt vmcnt(0) lgkmcnt(0)
	ds_write2st64_b64 v36, v[2:3], v[6:7] offset1:2
	ds_write2st64_b64 v36, v[8:9], v[10:11] offset0:4 offset1:6
	ds_write2st64_b64 v36, v[12:13], v[14:15] offset0:8 offset1:10
	ds_write_b64 v36, v[16:17] offset:6144
	s_waitcnt lgkmcnt(0)
	s_barrier
.LBB164_18:
	v_mul_u32_u24_e32 v37, 7, v0
	v_lshlrev_b32_e32 v1, 3, v37
	s_waitcnt lgkmcnt(0)
	ds_read2_b64 v[10:13], v1 offset1:1
	ds_read2_b64 v[6:9], v1 offset0:2 offset1:3
	ds_read2_b64 v[2:5], v1 offset0:4 offset1:5
	ds_read_b64 v[26:27], v1 offset:48
	s_cmp_lg_u32 s6, 0
	v_lshrrev_b32_e32 v38, 5, v0
	v_cmp_gt_u32_e32 vcc, 64, v0
	s_waitcnt lgkmcnt(0)
	s_barrier
	s_cbranch_scc0 .LBB164_49
; %bb.19:
	v_add_co_u32_e64 v1, s[0:1], v12, v10
	v_addc_co_u32_e64 v14, s[0:1], v13, v11, s[0:1]
	v_add_co_u32_e64 v1, s[0:1], v1, v6
	v_addc_co_u32_e64 v14, s[0:1], v14, v7, s[0:1]
	v_add_co_u32_e64 v1, s[0:1], v1, v8
	v_addc_co_u32_e64 v14, s[0:1], v14, v9, s[0:1]
	v_add_co_u32_e64 v1, s[0:1], v1, v2
	v_addc_co_u32_e64 v14, s[0:1], v14, v3, s[0:1]
	v_add_co_u32_e64 v1, s[0:1], v1, v4
	v_addc_co_u32_e64 v14, s[0:1], v14, v5, s[0:1]
	v_add_co_u32_e64 v18, s[0:1], v1, v26
	v_addc_co_u32_e64 v19, s[0:1], v14, v27, s[0:1]
	v_add_lshl_u32 v1, v38, v0, 3
	ds_write_b64 v1, v[18:19]
	s_waitcnt lgkmcnt(0)
	s_barrier
	s_and_saveexec_b64 s[8:9], vcc
	s_cbranch_execz .LBB164_23
; %bb.20:
	v_lshlrev_b32_e32 v1, 1, v0
	v_lshrrev_b32_e32 v14, 4, v0
	v_add_lshl_u32 v20, v14, v1, 3
	ds_read2_b64 v[14:17], v20 offset1:1
	v_mbcnt_lo_u32_b32 v1, -1, 0
	s_waitcnt lgkmcnt(0)
	v_add_co_u32_e64 v21, s[0:1], v16, v14
	v_addc_co_u32_e64 v22, s[0:1], v17, v15, s[0:1]
	s_nop 0
	v_mov_b32_dpp v16, v21 row_shr:1 row_mask:0xf bank_mask:0xf
	v_add_co_u32_e64 v16, s[0:1], v21, v16
	v_addc_co_u32_e64 v24, s[0:1], 0, v22, s[0:1]
	v_mbcnt_hi_u32_b32 v17, -1, v1
	v_mov_b32_dpp v23, v22 row_shr:1 row_mask:0xf bank_mask:0xf
	v_add_co_u32_e64 v25, s[0:1], 0, v16
	v_and_b32_e32 v1, 15, v17
	v_addc_co_u32_e64 v23, s[0:1], v23, v24, s[0:1]
	v_cmp_eq_u32_e64 s[0:1], 0, v1
	v_cndmask_b32_e64 v16, v16, v21, s[0:1]
	v_cndmask_b32_e64 v23, v23, v22, s[0:1]
	v_cndmask_b32_e64 v24, v25, v21, s[0:1]
	v_mov_b32_dpp v25, v16 row_shr:2 row_mask:0xf bank_mask:0xf
	v_mov_b32_dpp v28, v23 row_shr:2 row_mask:0xf bank_mask:0xf
	v_add_co_u32_e64 v25, s[0:1], v25, v24
	v_addc_co_u32_e64 v28, s[0:1], v28, v23, s[0:1]
	v_cmp_lt_u32_e64 s[0:1], 1, v1
	v_cndmask_b32_e64 v16, v16, v25, s[0:1]
	v_cndmask_b32_e64 v23, v23, v28, s[0:1]
	v_cndmask_b32_e64 v24, v24, v25, s[0:1]
	v_mov_b32_dpp v25, v16 row_shr:4 row_mask:0xf bank_mask:0xf
	v_mov_b32_dpp v28, v23 row_shr:4 row_mask:0xf bank_mask:0xf
	v_add_co_u32_e64 v25, s[0:1], v25, v24
	v_addc_co_u32_e64 v28, s[0:1], v28, v23, s[0:1]
	v_cmp_lt_u32_e64 s[0:1], 3, v1
	;; [unrolled: 8-line block ×3, first 2 shown]
	v_cndmask_b32_e64 v29, v16, v25, s[0:1]
	v_cndmask_b32_e64 v1, v23, v28, s[0:1]
	;; [unrolled: 1-line block ×3, first 2 shown]
	v_mov_b32_dpp v23, v29 row_bcast:15 row_mask:0xf bank_mask:0xf
	v_mov_b32_dpp v24, v1 row_bcast:15 row_mask:0xf bank_mask:0xf
	v_add_co_u32_e64 v23, s[0:1], v23, v16
	v_and_b32_e32 v28, 16, v17
	v_addc_co_u32_e64 v25, s[0:1], v24, v1, s[0:1]
	v_cmp_eq_u32_e64 s[0:1], 0, v28
	v_cndmask_b32_e64 v28, v25, v1, s[0:1]
	v_cndmask_b32_e64 v24, v23, v29, s[0:1]
	v_cmp_ne_u32_e64 s[2:3], 0, v17
	v_mov_b32_dpp v28, v28 row_bcast:31 row_mask:0xf bank_mask:0xf
	v_mov_b32_dpp v24, v24 row_bcast:31 row_mask:0xf bank_mask:0xf
	s_and_saveexec_b64 s[10:11], s[2:3]
; %bb.21:
	v_cndmask_b32_e64 v1, v25, v1, s[0:1]
	v_cndmask_b32_e64 v16, v23, v16, s[0:1]
	v_cmp_lt_u32_e64 s[0:1], 31, v17
	v_cndmask_b32_e64 v21, 0, v24, s[0:1]
	v_cndmask_b32_e64 v22, 0, v28, s[0:1]
	v_add_co_u32_e64 v21, s[0:1], v21, v16
	v_addc_co_u32_e64 v22, s[0:1], v22, v1, s[0:1]
; %bb.22:
	s_or_b64 exec, exec, s[10:11]
	v_add_u32_e32 v1, -1, v17
	v_and_b32_e32 v16, 64, v17
	v_cmp_lt_i32_e64 s[0:1], v1, v16
	v_cndmask_b32_e64 v1, v1, v17, s[0:1]
	v_lshlrev_b32_e32 v1, 2, v1
	ds_bpermute_b32 v16, v1, v21
	ds_bpermute_b32 v1, v1, v22
	; wave barrier
	s_waitcnt lgkmcnt(1)
	v_add_co_u32_e64 v14, s[0:1], v14, v16
	v_addc_co_u32_e64 v15, s[0:1], 0, v15, s[0:1]
	v_add_co_u32_e64 v14, s[0:1], 0, v14
	s_waitcnt lgkmcnt(0)
	v_addc_co_u32_e64 v1, s[0:1], v15, v1, s[0:1]
	v_cmp_eq_u32_e64 s[0:1], 0, v0
	v_cndmask_b32_e64 v15, v1, v19, s[0:1]
	v_cndmask_b32_e64 v14, v14, v18, s[0:1]
	ds_write_b64 v20, v[14:15]
	; wave barrier
	ds_read_b64 v[16:17], v20 offset:8
	s_waitcnt lgkmcnt(0)
	v_add_co_u32_e64 v14, s[0:1], v16, v14
	v_addc_co_u32_e64 v15, s[0:1], v17, v15, s[0:1]
	ds_write_b64 v20, v[14:15] offset:8
.LBB164_23:
	s_or_b64 exec, exec, s[8:9]
	v_cmp_eq_u32_e64 s[0:1], 0, v0
	v_cmp_ne_u32_e64 s[2:3], 0, v0
	v_pk_mov_b32 v[22:23], 0, 0
	s_waitcnt lgkmcnt(0)
	s_barrier
	s_and_saveexec_b64 s[8:9], s[2:3]
	s_cbranch_execz .LBB164_25
; %bb.24:
	v_add_u32_e32 v1, -1, v0
	v_lshrrev_b32_e32 v14, 5, v1
	v_add_lshl_u32 v1, v14, v1, 3
	ds_read_b64 v[22:23], v1
.LBB164_25:
	s_or_b64 exec, exec, s[8:9]
	s_and_saveexec_b64 s[24:25], vcc
	s_cbranch_execz .LBB164_48
; %bb.26:
	v_mov_b32_e32 v17, 0
	ds_read_b64 v[14:15], v17 offset:1040
	v_mbcnt_lo_u32_b32 v1, -1, 0
	v_mbcnt_hi_u32_b32 v30, -1, v1
	s_mov_b32 s11, 0
	v_cmp_eq_u32_e64 s[2:3], 0, v30
	s_and_saveexec_b64 s[8:9], s[2:3]
	s_cbranch_execz .LBB164_28
; %bb.27:
	s_add_i32 s10, s6, 64
	s_lshl_b64 s[10:11], s[10:11], 4
	s_add_u32 s10, s20, s10
	s_addc_u32 s11, s21, s11
	v_mov_b32_e32 v16, 1
	v_pk_mov_b32 v[18:19], s[10:11], s[10:11] op_sel:[0,1]
	s_waitcnt lgkmcnt(0)
	;;#ASMSTART
	global_store_dwordx4 v[18:19], v[14:17] off	
s_waitcnt vmcnt(0)
	;;#ASMEND
.LBB164_28:
	s_or_b64 exec, exec, s[8:9]
	v_xad_u32 v24, v30, -1, s6
	v_add_u32_e32 v16, 64, v24
	v_lshlrev_b64 v[18:19], 4, v[16:17]
	v_mov_b32_e32 v1, s21
	v_add_co_u32_e32 v28, vcc, s20, v18
	v_addc_co_u32_e32 v29, vcc, v1, v19, vcc
	;;#ASMSTART
	global_load_dwordx4 v[18:21], v[28:29] off glc	
s_waitcnt vmcnt(0)
	;;#ASMEND
	v_and_b32_e32 v1, 0xff, v19
	v_and_b32_e32 v16, 0xff00, v19
	v_or3_b32 v1, 0, v1, v16
	v_or3_b32 v16, v18, 0, 0
	v_and_b32_e32 v18, 0xff000000, v19
	v_and_b32_e32 v19, 0xff0000, v19
	v_or3_b32 v19, v1, v19, v18
	v_or3_b32 v18, v16, 0, 0
	v_cmp_eq_u16_sdwa s[10:11], v20, v17 src0_sel:BYTE_0 src1_sel:DWORD
	s_and_saveexec_b64 s[8:9], s[10:11]
	s_cbranch_execz .LBB164_34
; %bb.29:
	s_mov_b32 s7, 1
	s_mov_b64 s[10:11], 0
	v_mov_b32_e32 v1, 0
.LBB164_30:                             ; =>This Loop Header: Depth=1
                                        ;     Child Loop BB164_31 Depth 2
	s_max_u32 s30, s7, 1
.LBB164_31:                             ;   Parent Loop BB164_30 Depth=1
                                        ; =>  This Inner Loop Header: Depth=2
	s_add_i32 s30, s30, -1
	s_cmp_eq_u32 s30, 0
	s_sleep 1
	s_cbranch_scc0 .LBB164_31
; %bb.32:                               ;   in Loop: Header=BB164_30 Depth=1
	s_cmp_lt_u32 s7, 32
	s_cselect_b64 s[30:31], -1, 0
	s_cmp_lg_u64 s[30:31], 0
	s_addc_u32 s7, s7, 0
	;;#ASMSTART
	global_load_dwordx4 v[18:21], v[28:29] off glc	
s_waitcnt vmcnt(0)
	;;#ASMEND
	v_cmp_ne_u16_sdwa s[30:31], v20, v1 src0_sel:BYTE_0 src1_sel:DWORD
	s_or_b64 s[10:11], s[30:31], s[10:11]
	s_andn2_b64 exec, exec, s[10:11]
	s_cbranch_execnz .LBB164_30
; %bb.33:
	s_or_b64 exec, exec, s[10:11]
.LBB164_34:
	s_or_b64 exec, exec, s[8:9]
	v_and_b32_e32 v32, 63, v30
	v_cmp_ne_u32_e32 vcc, 63, v32
	v_addc_co_u32_e32 v28, vcc, 0, v30, vcc
	v_lshlrev_b32_e32 v33, 2, v28
	ds_bpermute_b32 v28, v33, v18
	v_mov_b32_e32 v1, 2
	v_cmp_eq_u16_sdwa s[8:9], v20, v1 src0_sel:BYTE_0 src1_sel:DWORD
	v_lshlrev_b64 v[16:17], v30, -1
	ds_bpermute_b32 v29, v33, v19
	v_and_b32_e32 v21, s9, v17
	v_or_b32_e32 v21, 0x80000000, v21
	s_waitcnt lgkmcnt(1)
	v_add_co_u32_e32 v28, vcc, v18, v28
	v_and_b32_e32 v25, s8, v16
	v_ffbl_b32_e32 v21, v21
	v_addc_co_u32_e32 v31, vcc, 0, v19, vcc
	v_add_u32_e32 v21, 32, v21
	v_ffbl_b32_e32 v25, v25
	v_add_co_u32_e32 v35, vcc, 0, v28
	v_cmp_gt_u32_e64 s[8:9], 62, v32
	v_min_u32_e32 v21, v25, v21
	s_waitcnt lgkmcnt(0)
	v_addc_co_u32_e32 v29, vcc, v29, v31, vcc
	v_cndmask_b32_e64 v31, 0, 1, s[8:9]
	v_cmp_lt_u32_e32 vcc, v32, v21
	v_lshlrev_b32_e32 v31, 1, v31
	v_cndmask_b32_e32 v28, v18, v28, vcc
	v_add_lshl_u32 v34, v31, v30, 2
	v_cndmask_b32_e32 v29, v19, v29, vcc
	ds_bpermute_b32 v31, v34, v28
	ds_bpermute_b32 v39, v34, v29
	v_cndmask_b32_e32 v40, v18, v35, vcc
	v_add_u32_e32 v35, 2, v32
	v_cmp_gt_u32_e64 s[10:11], 60, v32
	s_waitcnt lgkmcnt(1)
	v_add_co_u32_e64 v31, s[8:9], v31, v40
	s_waitcnt lgkmcnt(0)
	v_addc_co_u32_e64 v39, s[8:9], v39, v29, s[8:9]
	v_cmp_gt_u32_e64 s[8:9], v35, v21
	v_cndmask_b32_e64 v29, v39, v29, s[8:9]
	v_cndmask_b32_e64 v39, 0, 1, s[10:11]
	v_lshlrev_b32_e32 v39, 2, v39
	v_cndmask_b32_e64 v28, v31, v28, s[8:9]
	v_add_lshl_u32 v39, v39, v30, 2
	ds_bpermute_b32 v41, v39, v28
	ds_bpermute_b32 v42, v39, v29
	v_cndmask_b32_e64 v31, v31, v40, s[8:9]
	v_add_u32_e32 v40, 4, v32
	v_cmp_gt_u32_e64 s[10:11], 56, v32
	s_waitcnt lgkmcnt(1)
	v_add_co_u32_e64 v43, s[8:9], v41, v31
	s_waitcnt lgkmcnt(0)
	v_addc_co_u32_e64 v41, s[8:9], v42, v29, s[8:9]
	v_cmp_gt_u32_e64 s[8:9], v40, v21
	v_cndmask_b32_e64 v29, v41, v29, s[8:9]
	v_cndmask_b32_e64 v41, 0, 1, s[10:11]
	v_lshlrev_b32_e32 v41, 3, v41
	v_cndmask_b32_e64 v28, v43, v28, s[8:9]
	v_add_lshl_u32 v41, v41, v30, 2
	ds_bpermute_b32 v44, v41, v28
	v_cndmask_b32_e64 v31, v43, v31, s[8:9]
	ds_bpermute_b32 v43, v41, v29
	v_add_u32_e32 v42, 8, v32
	v_cmp_gt_u32_e64 s[10:11], 48, v32
	s_waitcnt lgkmcnt(1)
	v_add_co_u32_e64 v44, s[8:9], v44, v31
	s_waitcnt lgkmcnt(0)
	v_addc_co_u32_e64 v43, s[8:9], v43, v29, s[8:9]
	v_cmp_gt_u32_e64 s[8:9], v42, v21
	v_cndmask_b32_e64 v29, v43, v29, s[8:9]
	v_cndmask_b32_e64 v43, 0, 1, s[10:11]
	v_lshlrev_b32_e32 v43, 4, v43
	v_cndmask_b32_e64 v28, v44, v28, s[8:9]
	v_add_lshl_u32 v43, v43, v30, 2
	ds_bpermute_b32 v45, v43, v28
	ds_bpermute_b32 v46, v43, v29
	v_cndmask_b32_e64 v31, v44, v31, s[8:9]
	v_cmp_gt_u32_e64 s[10:11], 32, v32
	v_add_u32_e32 v44, 16, v32
	s_waitcnt lgkmcnt(1)
	v_add_co_u32_e64 v47, s[8:9], v45, v31
	s_waitcnt lgkmcnt(0)
	v_addc_co_u32_e64 v46, s[8:9], v46, v29, s[8:9]
	v_cndmask_b32_e64 v45, 0, 1, s[10:11]
	v_cmp_gt_u32_e64 s[8:9], v44, v21
	v_lshlrev_b32_e32 v45, 5, v45
	v_cndmask_b32_e64 v28, v47, v28, s[8:9]
	v_add_lshl_u32 v45, v45, v30, 2
	v_cndmask_b32_e64 v29, v46, v29, s[8:9]
	ds_bpermute_b32 v28, v45, v28
	ds_bpermute_b32 v30, v45, v29
	v_add_u32_e32 v46, 32, v32
	v_cndmask_b32_e64 v31, v47, v31, s[8:9]
	v_cmp_le_u32_e64 s[8:9], v46, v21
	s_waitcnt lgkmcnt(1)
	v_cndmask_b32_e64 v28, 0, v28, s[8:9]
	s_waitcnt lgkmcnt(0)
	v_cndmask_b32_e64 v21, 0, v30, s[8:9]
	v_add_co_u32_e64 v28, s[8:9], v28, v31
	v_addc_co_u32_e64 v21, s[8:9], v21, v29, s[8:9]
	v_mov_b32_e32 v25, 0
	v_cndmask_b32_e32 v19, v19, v21, vcc
	v_cndmask_b32_e32 v18, v18, v28, vcc
	s_branch .LBB164_36
.LBB164_35:                             ;   in Loop: Header=BB164_36 Depth=1
	s_or_b64 exec, exec, s[8:9]
	v_cmp_eq_u16_sdwa s[8:9], v20, v1 src0_sel:BYTE_0 src1_sel:DWORD
	v_and_b32_e32 v21, s9, v17
	v_or_b32_e32 v21, 0x80000000, v21
	ds_bpermute_b32 v31, v33, v18
	v_and_b32_e32 v30, s8, v16
	v_ffbl_b32_e32 v21, v21
	v_add_u32_e32 v21, 32, v21
	v_ffbl_b32_e32 v30, v30
	v_min_u32_e32 v21, v30, v21
	ds_bpermute_b32 v30, v33, v19
	s_waitcnt lgkmcnt(1)
	v_add_co_u32_e32 v31, vcc, v18, v31
	v_addc_co_u32_e32 v47, vcc, 0, v19, vcc
	v_add_co_u32_e32 v48, vcc, 0, v31
	s_waitcnt lgkmcnt(0)
	v_addc_co_u32_e32 v30, vcc, v30, v47, vcc
	v_cmp_lt_u32_e32 vcc, v32, v21
	v_cndmask_b32_e32 v31, v18, v31, vcc
	ds_bpermute_b32 v47, v34, v31
	v_cndmask_b32_e32 v30, v19, v30, vcc
	ds_bpermute_b32 v49, v34, v30
	v_cndmask_b32_e32 v48, v18, v48, vcc
	v_subrev_u32_e32 v24, 64, v24
	s_waitcnt lgkmcnt(1)
	v_add_co_u32_e64 v47, s[8:9], v47, v48
	s_waitcnt lgkmcnt(0)
	v_addc_co_u32_e64 v49, s[8:9], v49, v30, s[8:9]
	v_cmp_gt_u32_e64 s[8:9], v35, v21
	v_cndmask_b32_e64 v31, v47, v31, s[8:9]
	ds_bpermute_b32 v50, v39, v31
	v_cndmask_b32_e64 v30, v49, v30, s[8:9]
	ds_bpermute_b32 v49, v39, v30
	v_cndmask_b32_e64 v47, v47, v48, s[8:9]
	s_waitcnt lgkmcnt(1)
	v_add_co_u32_e64 v48, s[8:9], v50, v47
	s_waitcnt lgkmcnt(0)
	v_addc_co_u32_e64 v49, s[8:9], v49, v30, s[8:9]
	v_cmp_gt_u32_e64 s[8:9], v40, v21
	v_cndmask_b32_e64 v31, v48, v31, s[8:9]
	ds_bpermute_b32 v50, v41, v31
	v_cndmask_b32_e64 v30, v49, v30, s[8:9]
	ds_bpermute_b32 v49, v41, v30
	v_cndmask_b32_e64 v47, v48, v47, s[8:9]
	;; [unrolled: 10-line block ×3, first 2 shown]
	s_waitcnt lgkmcnt(1)
	v_add_co_u32_e64 v48, s[8:9], v50, v47
	s_waitcnt lgkmcnt(0)
	v_addc_co_u32_e64 v49, s[8:9], v49, v30, s[8:9]
	v_cmp_gt_u32_e64 s[8:9], v44, v21
	v_cndmask_b32_e64 v31, v48, v31, s[8:9]
	v_cndmask_b32_e64 v30, v49, v30, s[8:9]
	ds_bpermute_b32 v31, v45, v31
	ds_bpermute_b32 v49, v45, v30
	v_cndmask_b32_e64 v47, v48, v47, s[8:9]
	v_cmp_le_u32_e64 s[8:9], v46, v21
	s_waitcnt lgkmcnt(1)
	v_cndmask_b32_e64 v31, 0, v31, s[8:9]
	s_waitcnt lgkmcnt(0)
	v_cndmask_b32_e64 v21, 0, v49, s[8:9]
	v_add_co_u32_e64 v31, s[8:9], v31, v47
	v_addc_co_u32_e64 v21, s[8:9], v21, v30, s[8:9]
	v_cndmask_b32_e32 v18, v18, v31, vcc
	v_cndmask_b32_e32 v19, v19, v21, vcc
	v_add_co_u32_e32 v18, vcc, v18, v28
	v_addc_co_u32_e32 v19, vcc, v19, v29, vcc
.LBB164_36:                             ; =>This Loop Header: Depth=1
                                        ;     Child Loop BB164_39 Depth 2
                                        ;       Child Loop BB164_40 Depth 3
	v_cmp_ne_u16_sdwa s[8:9], v20, v1 src0_sel:BYTE_0 src1_sel:DWORD
	v_cndmask_b32_e64 v20, 0, 1, s[8:9]
	;;#ASMSTART
	;;#ASMEND
	v_cmp_ne_u32_e32 vcc, 0, v20
	s_cmp_lg_u64 vcc, exec
	v_pk_mov_b32 v[28:29], v[18:19], v[18:19] op_sel:[0,1]
	s_cbranch_scc1 .LBB164_43
; %bb.37:                               ;   in Loop: Header=BB164_36 Depth=1
	v_lshlrev_b64 v[18:19], 4, v[24:25]
	v_mov_b32_e32 v20, s21
	v_add_co_u32_e32 v30, vcc, s20, v18
	v_addc_co_u32_e32 v31, vcc, v20, v19, vcc
	;;#ASMSTART
	global_load_dwordx4 v[18:21], v[30:31] off glc	
s_waitcnt vmcnt(0)
	;;#ASMEND
	v_and_b32_e32 v21, 0xff, v19
	v_and_b32_e32 v47, 0xff00, v19
	v_or3_b32 v21, 0, v21, v47
	v_or3_b32 v18, v18, 0, 0
	v_and_b32_e32 v47, 0xff000000, v19
	v_and_b32_e32 v19, 0xff0000, v19
	v_or3_b32 v19, v21, v19, v47
	v_or3_b32 v18, v18, 0, 0
	v_cmp_eq_u16_sdwa s[10:11], v20, v25 src0_sel:BYTE_0 src1_sel:DWORD
	s_and_saveexec_b64 s[8:9], s[10:11]
	s_cbranch_execz .LBB164_35
; %bb.38:                               ;   in Loop: Header=BB164_36 Depth=1
	s_mov_b32 s7, 1
	s_mov_b64 s[10:11], 0
.LBB164_39:                             ;   Parent Loop BB164_36 Depth=1
                                        ; =>  This Loop Header: Depth=2
                                        ;       Child Loop BB164_40 Depth 3
	s_max_u32 s30, s7, 1
.LBB164_40:                             ;   Parent Loop BB164_36 Depth=1
                                        ;     Parent Loop BB164_39 Depth=2
                                        ; =>    This Inner Loop Header: Depth=3
	s_add_i32 s30, s30, -1
	s_cmp_eq_u32 s30, 0
	s_sleep 1
	s_cbranch_scc0 .LBB164_40
; %bb.41:                               ;   in Loop: Header=BB164_39 Depth=2
	s_cmp_lt_u32 s7, 32
	s_cselect_b64 s[30:31], -1, 0
	s_cmp_lg_u64 s[30:31], 0
	s_addc_u32 s7, s7, 0
	;;#ASMSTART
	global_load_dwordx4 v[18:21], v[30:31] off glc	
s_waitcnt vmcnt(0)
	;;#ASMEND
	v_cmp_ne_u16_sdwa s[30:31], v20, v25 src0_sel:BYTE_0 src1_sel:DWORD
	s_or_b64 s[10:11], s[30:31], s[10:11]
	s_andn2_b64 exec, exec, s[10:11]
	s_cbranch_execnz .LBB164_39
; %bb.42:                               ;   in Loop: Header=BB164_36 Depth=1
	s_or_b64 exec, exec, s[10:11]
	s_branch .LBB164_35
.LBB164_43:                             ;   in Loop: Header=BB164_36 Depth=1
                                        ; implicit-def: $vgpr18_vgpr19
                                        ; implicit-def: $vgpr20
	s_cbranch_execz .LBB164_36
; %bb.44:
	s_and_saveexec_b64 s[8:9], s[2:3]
	s_cbranch_execz .LBB164_46
; %bb.45:
	s_add_i32 s2, s6, 64
	s_mov_b32 s3, 0
	s_lshl_b64 s[2:3], s[2:3], 4
	s_add_u32 s2, s20, s2
	v_add_co_u32_e32 v14, vcc, v28, v14
	s_addc_u32 s3, s21, s3
	v_addc_co_u32_e32 v15, vcc, v29, v15, vcc
	v_mov_b32_e32 v16, 2
	v_mov_b32_e32 v17, 0
	v_pk_mov_b32 v[18:19], s[2:3], s[2:3] op_sel:[0,1]
	;;#ASMSTART
	global_store_dwordx4 v[18:19], v[14:17] off	
s_waitcnt vmcnt(0)
	;;#ASMEND
.LBB164_46:
	s_or_b64 exec, exec, s[8:9]
	s_and_b64 exec, exec, s[0:1]
	s_cbranch_execz .LBB164_48
; %bb.47:
	v_mov_b32_e32 v1, 0
	ds_write_b64 v1, v[28:29]
.LBB164_48:
	s_or_b64 exec, exec, s[24:25]
	v_mov_b32_e32 v1, 0
	s_waitcnt lgkmcnt(0)
	s_barrier
	ds_read_b64 v[14:15], v1
	s_waitcnt lgkmcnt(0)
	v_add_co_u32_e32 v14, vcc, v14, v22
	v_addc_co_u32_e32 v15, vcc, v15, v23, vcc
	v_add_co_u32_e32 v28, vcc, v14, v10
	v_addc_co_u32_e32 v29, vcc, v15, v11, vcc
	;; [unrolled: 2-line block ×7, first 2 shown]
	s_load_dwordx8 s[0:7], s[4:5], 0x40
	s_branch .LBB164_61
.LBB164_49:
                                        ; implicit-def: $vgpr34_vgpr35
                                        ; implicit-def: $vgpr32_vgpr33
                                        ; implicit-def: $vgpr30_vgpr31
                                        ; implicit-def: $vgpr28_vgpr29
                                        ; implicit-def: $vgpr22_vgpr23_vgpr24_vgpr25
                                        ; implicit-def: $vgpr18_vgpr19_vgpr20_vgpr21
                                        ; implicit-def: $vgpr14_vgpr15_vgpr16_vgpr17
	s_load_dwordx8 s[0:7], s[4:5], 0x40
	s_cbranch_execz .LBB164_61
; %bb.50:
	s_waitcnt lgkmcnt(0)
	s_cmp_eq_u64 s[4:5], 0
	v_pk_mov_b32 v[20:21], s[22:23], s[22:23] op_sel:[0,1]
	s_cbranch_scc1 .LBB164_52
; %bb.51:
	v_mov_b32_e32 v1, 0
	v_mov_b32_e32 v15, s29
	v_add_co_u32_e64 v14, vcc, -8, s28
	v_addc_co_u32_e32 v15, vcc, -1, v15, vcc
	global_load_dwordx2 v[16:17], v1, s[0:1]
	flat_load_dwordx2 v[18:19], v[14:15]
	s_waitcnt vmcnt(0) lgkmcnt(0)
	v_add_co_u32_e32 v20, vcc, v16, v18
	v_addc_co_u32_e32 v21, vcc, v17, v19, vcc
.LBB164_52:
	v_add_co_u32_e32 v1, vcc, v12, v10
	v_addc_co_u32_e32 v14, vcc, v13, v11, vcc
	v_add_co_u32_e32 v1, vcc, v1, v6
	v_addc_co_u32_e32 v14, vcc, v14, v7, vcc
	;; [unrolled: 2-line block ×6, first 2 shown]
	v_add_lshl_u32 v1, v38, v0, 3
	v_cmp_gt_u32_e32 vcc, 64, v0
	ds_write_b64 v1, v[18:19]
	s_waitcnt lgkmcnt(0)
	s_barrier
	s_and_saveexec_b64 s[4:5], vcc
	s_cbranch_execz .LBB164_56
; %bb.53:
	v_lshlrev_b32_e32 v1, 1, v0
	v_lshrrev_b32_e32 v14, 4, v0
	v_add_lshl_u32 v22, v14, v1, 3
	ds_read2_b64 v[14:17], v22 offset1:1
	v_mbcnt_lo_u32_b32 v1, -1, 0
	s_waitcnt lgkmcnt(0)
	v_add_co_u32_e32 v23, vcc, v16, v14
	v_addc_co_u32_e32 v24, vcc, v17, v15, vcc
	s_nop 0
	v_mov_b32_dpp v16, v23 row_shr:1 row_mask:0xf bank_mask:0xf
	v_add_co_u32_e32 v16, vcc, v23, v16
	v_addc_co_u32_e32 v26, vcc, 0, v24, vcc
	v_mbcnt_hi_u32_b32 v17, -1, v1
	v_mov_b32_dpp v25, v24 row_shr:1 row_mask:0xf bank_mask:0xf
	v_add_co_u32_e32 v27, vcc, 0, v16
	v_and_b32_e32 v1, 15, v17
	v_addc_co_u32_e32 v25, vcc, v25, v26, vcc
	v_cmp_eq_u32_e32 vcc, 0, v1
	v_cndmask_b32_e32 v16, v16, v23, vcc
	v_cndmask_b32_e32 v25, v25, v24, vcc
	v_cndmask_b32_e32 v26, v27, v23, vcc
	v_mov_b32_dpp v27, v16 row_shr:2 row_mask:0xf bank_mask:0xf
	v_mov_b32_dpp v28, v25 row_shr:2 row_mask:0xf bank_mask:0xf
	v_add_co_u32_e32 v27, vcc, v27, v26
	v_addc_co_u32_e32 v28, vcc, v28, v25, vcc
	v_cmp_lt_u32_e32 vcc, 1, v1
	v_cndmask_b32_e32 v16, v16, v27, vcc
	v_cndmask_b32_e32 v25, v25, v28, vcc
	v_cndmask_b32_e32 v26, v26, v27, vcc
	v_mov_b32_dpp v27, v16 row_shr:4 row_mask:0xf bank_mask:0xf
	v_mov_b32_dpp v28, v25 row_shr:4 row_mask:0xf bank_mask:0xf
	v_add_co_u32_e32 v27, vcc, v27, v26
	v_addc_co_u32_e32 v28, vcc, v28, v25, vcc
	v_cmp_lt_u32_e32 vcc, 3, v1
	;; [unrolled: 8-line block ×3, first 2 shown]
	v_cndmask_b32_e32 v29, v16, v27, vcc
	v_cndmask_b32_e32 v1, v25, v28, vcc
	;; [unrolled: 1-line block ×3, first 2 shown]
	v_mov_b32_dpp v25, v29 row_bcast:15 row_mask:0xf bank_mask:0xf
	v_mov_b32_dpp v26, v1 row_bcast:15 row_mask:0xf bank_mask:0xf
	v_add_co_u32_e32 v25, vcc, v25, v16
	v_and_b32_e32 v28, 16, v17
	v_addc_co_u32_e32 v27, vcc, v26, v1, vcc
	v_cmp_eq_u32_e32 vcc, 0, v28
	v_cndmask_b32_e32 v28, v27, v1, vcc
	v_cndmask_b32_e32 v26, v25, v29, vcc
	v_cmp_ne_u32_e64 s[0:1], 0, v17
	v_mov_b32_dpp v28, v28 row_bcast:31 row_mask:0xf bank_mask:0xf
	v_mov_b32_dpp v26, v26 row_bcast:31 row_mask:0xf bank_mask:0xf
	s_and_saveexec_b64 s[8:9], s[0:1]
; %bb.54:
	v_cndmask_b32_e32 v1, v27, v1, vcc
	v_cndmask_b32_e32 v16, v25, v16, vcc
	v_cmp_lt_u32_e32 vcc, 31, v17
	v_cndmask_b32_e32 v23, 0, v26, vcc
	v_cndmask_b32_e32 v24, 0, v28, vcc
	v_add_co_u32_e32 v23, vcc, v23, v16
	v_addc_co_u32_e32 v24, vcc, v24, v1, vcc
; %bb.55:
	s_or_b64 exec, exec, s[8:9]
	v_add_u32_e32 v1, -1, v17
	v_and_b32_e32 v16, 64, v17
	v_cmp_lt_i32_e32 vcc, v1, v16
	v_cndmask_b32_e32 v1, v1, v17, vcc
	v_lshlrev_b32_e32 v1, 2, v1
	ds_bpermute_b32 v16, v1, v23
	ds_bpermute_b32 v1, v1, v24
	; wave barrier
	s_waitcnt lgkmcnt(1)
	v_add_co_u32_e32 v14, vcc, v14, v16
	v_addc_co_u32_e32 v15, vcc, 0, v15, vcc
	v_add_co_u32_e32 v14, vcc, 0, v14
	s_waitcnt lgkmcnt(0)
	v_addc_co_u32_e32 v1, vcc, v15, v1, vcc
	v_cmp_eq_u32_e32 vcc, 0, v0
	v_cndmask_b32_e32 v15, v1, v19, vcc
	v_cndmask_b32_e32 v14, v14, v18, vcc
	ds_write_b64 v22, v[14:15]
	; wave barrier
	ds_read_b64 v[16:17], v22 offset:8
	s_waitcnt lgkmcnt(0)
	v_add_co_u32_e32 v14, vcc, v16, v14
	v_addc_co_u32_e32 v15, vcc, v17, v15, vcc
	ds_write_b64 v22, v[14:15] offset:8
.LBB164_56:
	s_or_b64 exec, exec, s[4:5]
	v_cmp_eq_u32_e32 vcc, 0, v0
	v_cmp_ne_u32_e64 s[0:1], 0, v0
	v_pk_mov_b32 v[14:15], v[20:21], v[20:21] op_sel:[0,1]
	s_waitcnt lgkmcnt(0)
	s_barrier
	s_and_saveexec_b64 s[4:5], s[0:1]
	s_cbranch_execz .LBB164_58
; %bb.57:
	v_add_u32_e32 v1, -1, v0
	v_lshrrev_b32_e32 v14, 5, v1
	v_add_lshl_u32 v1, v14, v1, 3
	ds_read_b64 v[14:15], v1
	s_waitcnt lgkmcnt(0)
	v_add_co_u32_e64 v14, s[0:1], v14, v20
	v_addc_co_u32_e64 v15, s[0:1], v15, v21, s[0:1]
.LBB164_58:
	s_or_b64 exec, exec, s[4:5]
	v_add_co_u32_e64 v28, s[0:1], v14, v10
	v_addc_co_u32_e64 v29, s[0:1], v15, v11, s[0:1]
	v_add_co_u32_e64 v18, s[0:1], v28, v12
	v_addc_co_u32_e64 v19, s[0:1], v29, v13, s[0:1]
	;; [unrolled: 2-line block ×6, first 2 shown]
	s_and_saveexec_b64 s[0:1], vcc
	s_cbranch_execz .LBB164_60
; %bb.59:
	v_mov_b32_e32 v5, 0
	ds_read_b64 v[2:3], v5 offset:1040
	s_add_u32 s4, s20, 0x400
	s_addc_u32 s5, s21, 0
	v_mov_b32_e32 v4, 2
	v_pk_mov_b32 v[6:7], s[4:5], s[4:5] op_sel:[0,1]
	s_waitcnt lgkmcnt(0)
	v_add_co_u32_e32 v2, vcc, v2, v20
	v_addc_co_u32_e32 v3, vcc, v3, v21, vcc
	;;#ASMSTART
	global_store_dwordx4 v[6:7], v[2:5] off	
s_waitcnt vmcnt(0)
	;;#ASMEND
.LBB164_60:
	s_or_b64 exec, exec, s[0:1]
.LBB164_61:
	s_waitcnt lgkmcnt(0)
	s_add_u32 s0, s12, s16
	s_addc_u32 s1, s13, s17
	s_add_u32 s4, s0, s18
	s_addc_u32 s5, s1, s19
	s_mov_b64 s[0:1], -1
	s_and_b64 vcc, exec, s[14:15]
	v_mul_u32_u24_e32 v1, 56, v0
	s_barrier
	s_cbranch_vccz .LBB164_63
; %bb.62:
	v_mul_i32_i24_e32 v2, 0xffffffd0, v0
	v_mad_u32_u24 v16, v0, 56, v2
	ds_write2_b64 v1, v[14:15], v[28:29] offset1:1
	ds_write2_b64 v1, v[18:19], v[30:31] offset0:2 offset1:3
	ds_write2_b64 v1, v[22:23], v[32:33] offset0:4 offset1:5
	ds_write_b64 v1, v[34:35] offset:48
	s_waitcnt lgkmcnt(0)
	s_barrier
	ds_read2st64_b64 v[2:5], v16 offset1:2
	ds_read2st64_b64 v[6:9], v16 offset0:4 offset1:6
	ds_read2st64_b64 v[10:13], v16 offset0:8 offset1:10
	ds_read_b64 v[16:17], v16 offset:6144
	v_mov_b32_e32 v21, s5
	v_add_co_u32_e32 v20, vcc, s4, v36
	v_addc_co_u32_e32 v21, vcc, 0, v21, vcc
	s_waitcnt lgkmcnt(3)
	flat_store_dwordx2 v[20:21], v[2:3]
	flat_store_dwordx2 v[20:21], v[4:5] offset:1024
	s_waitcnt lgkmcnt(0)
	flat_store_dwordx2 v[20:21], v[6:7] offset:2048
	flat_store_dwordx2 v[20:21], v[8:9] offset:3072
	v_add_co_u32_e32 v2, vcc, 0x1000, v20
	v_addc_co_u32_e32 v3, vcc, 0, v21, vcc
	flat_store_dwordx2 v[2:3], v[10:11]
	flat_store_dwordx2 v[2:3], v[12:13] offset:1024
	flat_store_dwordx2 v[2:3], v[16:17] offset:2048
	s_mov_b64 s[0:1], 0
.LBB164_63:
	s_andn2_b64 vcc, exec, s[0:1]
	s_cbranch_vccnz .LBB164_102
; %bb.64:
	v_mul_i32_i24_e32 v2, 0xffffffd0, v0
	ds_write2_b64 v1, v[14:15], v[28:29] offset1:1
	ds_write2_b64 v1, v[18:19], v[30:31] offset0:2 offset1:3
	ds_write2_b64 v1, v[22:23], v[32:33] offset0:4 offset1:5
	ds_write_b64 v1, v[34:35] offset:48
	v_mad_u32_u24 v14, v0, 56, v2
	s_waitcnt lgkmcnt(0)
	s_barrier
	ds_read2st64_b64 v[2:5], v14 offset1:2
	ds_read2st64_b64 v[6:9], v14 offset0:4 offset1:6
	ds_read2st64_b64 v[10:13], v14 offset0:8 offset1:10
	ds_read_b64 v[14:15], v14 offset:6144
	v_mov_b32_e32 v17, s5
	v_add_co_u32_e32 v16, vcc, s4, v36
	v_addc_co_u32_e32 v17, vcc, 0, v17, vcc
	v_mov_b32_e32 v1, 0
	v_cmp_gt_u32_e32 vcc, s26, v0
	s_and_saveexec_b64 s[0:1], vcc
	s_cbranch_execz .LBB164_66
; %bb.65:
	s_waitcnt lgkmcnt(0)
	flat_store_dwordx2 v[16:17], v[2:3]
.LBB164_66:
	s_or_b64 exec, exec, s[0:1]
	v_or_b32_e32 v18, 0x80, v0
	v_cmp_gt_u32_e32 vcc, s26, v18
	s_and_saveexec_b64 s[0:1], vcc
	s_cbranch_execz .LBB164_68
; %bb.67:
	s_waitcnt lgkmcnt(0)
	flat_store_dwordx2 v[16:17], v[4:5] offset:1024
.LBB164_68:
	s_or_b64 exec, exec, s[0:1]
	v_or_b32_e32 v18, 0x100, v0
	v_cmp_gt_u32_e32 vcc, s26, v18
	s_and_saveexec_b64 s[0:1], vcc
	s_cbranch_execz .LBB164_70
; %bb.69:
	s_waitcnt lgkmcnt(0)
	flat_store_dwordx2 v[16:17], v[6:7] offset:2048
.LBB164_70:
	;; [unrolled: 9-line block ×3, first 2 shown]
	s_or_b64 exec, exec, s[0:1]
	v_or_b32_e32 v18, 0x200, v0
	v_cmp_gt_u32_e32 vcc, s26, v18
	s_and_saveexec_b64 s[0:1], vcc
	s_cbranch_execz .LBB164_74
; %bb.73:
	v_add_co_u32_e32 v18, vcc, 0x1000, v16
	v_addc_co_u32_e32 v19, vcc, 0, v17, vcc
	s_waitcnt lgkmcnt(0)
	flat_store_dwordx2 v[18:19], v[10:11]
.LBB164_74:
	s_or_b64 exec, exec, s[0:1]
	v_or_b32_e32 v18, 0x280, v0
	v_cmp_gt_u32_e32 vcc, s26, v18
	s_and_saveexec_b64 s[0:1], vcc
	s_cbranch_execz .LBB164_76
; %bb.75:
	v_add_co_u32_e32 v18, vcc, 0x1000, v16
	v_addc_co_u32_e32 v19, vcc, 0, v17, vcc
	s_waitcnt lgkmcnt(0)
	flat_store_dwordx2 v[18:19], v[12:13] offset:1024
.LBB164_76:
	s_or_b64 exec, exec, s[0:1]
	v_or_b32_e32 v18, 0x300, v0
	v_cmp_gt_u32_e32 vcc, s26, v18
	s_and_saveexec_b64 s[0:1], vcc
	s_cbranch_execz .LBB164_78
; %bb.77:
	v_add_co_u32_e32 v16, vcc, 0x1000, v16
	v_addc_co_u32_e32 v17, vcc, 0, v17, vcc
	s_waitcnt lgkmcnt(0)
	flat_store_dwordx2 v[16:17], v[14:15] offset:2048
.LBB164_78:
	s_or_b64 exec, exec, s[0:1]
	v_cmp_lt_u64_e64 s[0:1], s[6:7], 2
	s_and_b64 vcc, exec, s[0:1]
	s_cbranch_vccnz .LBB164_102
; %bb.79:
	s_add_u32 s0, s26, -1
	s_addc_u32 s1, s27, -1
	s_add_u32 s4, 0, 0x92481000
	s_addc_u32 s5, 0, 0x64
	s_add_i32 s5, s5, 0x249248c0
	s_mul_hi_u32 s9, s4, -7
	s_sub_i32 s9, s9, s4
	s_mul_i32 s10, s5, -7
	s_mul_i32 s6, s4, -7
	s_add_i32 s9, s9, s10
	s_mul_hi_u32 s7, s5, s6
	s_mul_i32 s8, s5, s6
	s_mul_i32 s11, s4, s9
	s_mul_hi_u32 s6, s4, s6
	s_mul_hi_u32 s10, s4, s9
	s_add_u32 s6, s6, s11
	s_addc_u32 s10, 0, s10
	s_add_u32 s6, s6, s8
	s_mul_hi_u32 s11, s5, s9
	s_addc_u32 s6, s10, s7
	s_addc_u32 s7, s11, 0
	s_mul_i32 s8, s5, s9
	s_add_u32 s6, s6, s8
	v_mov_b32_e32 v16, s6
	s_addc_u32 s7, 0, s7
	v_add_co_u32_e32 v16, vcc, s4, v16
	s_cmp_lg_u64 vcc, 0
	s_addc_u32 s4, s5, s7
	v_readfirstlane_b32 s7, v16
	s_mul_i32 s6, s0, s4
	s_mul_hi_u32 s8, s0, s7
	s_mul_hi_u32 s5, s0, s4
	s_add_u32 s6, s8, s6
	s_addc_u32 s5, 0, s5
	s_mul_hi_u32 s9, s1, s7
	s_mul_i32 s7, s1, s7
	s_add_u32 s6, s6, s7
	s_mul_hi_u32 s8, s1, s4
	s_addc_u32 s5, s5, s9
	s_addc_u32 s6, s8, 0
	s_mul_i32 s4, s1, s4
	s_add_u32 s4, s5, s4
	s_addc_u32 s5, 0, s6
	s_add_u32 s6, s4, 1
	s_addc_u32 s7, s5, 0
	s_add_u32 s8, s4, 2
	s_mul_i32 s10, s5, 7
	s_mul_hi_u32 s11, s4, 7
	s_addc_u32 s9, s5, 0
	s_add_i32 s11, s11, s10
	s_mul_i32 s10, s4, 7
	v_mov_b32_e32 v16, s10
	v_sub_co_u32_e32 v16, vcc, s0, v16
	s_cmp_lg_u64 vcc, 0
	s_subb_u32 s10, s1, s11
	v_subrev_co_u32_e32 v17, vcc, 7, v16
	s_cmp_lg_u64 vcc, 0
	s_subb_u32 s11, s10, 0
	v_readfirstlane_b32 s12, v17
	s_cmp_gt_u32 s12, 6
	s_cselect_b32 s12, -1, 0
	s_cmp_eq_u32 s11, 0
	s_cselect_b32 s11, s12, -1
	s_cmp_lg_u32 s11, 0
	s_cselect_b32 s6, s8, s6
	v_readfirstlane_b32 s8, v16
	s_cselect_b32 s7, s9, s7
	s_cmp_gt_u32 s8, 6
	s_cselect_b32 s8, -1, 0
	s_cmp_eq_u32 s10, 0
	s_cselect_b32 s8, s8, -1
	s_cmp_lg_u32 s8, 0
	s_cselect_b32 s5, s7, s5
	s_cselect_b32 s4, s6, s4
	v_cmp_eq_u64_e32 vcc, s[4:5], v[0:1]
	s_and_saveexec_b64 s[4:5], vcc
	s_cbranch_execz .LBB164_102
; %bb.80:
	v_mul_hi_u32_u24_e32 v1, 7, v0
	v_mov_b32_e32 v16, s1
	v_sub_co_u32_e32 v0, vcc, s0, v37
	v_subb_co_u32_e32 v1, vcc, v16, v1, vcc
	v_cmp_lt_i64_e32 vcc, 3, v[0:1]
	s_and_saveexec_b64 s[0:1], vcc
	s_xor_b64 s[0:1], exec, s[0:1]
	s_cbranch_execz .LBB164_90
; %bb.81:
	v_cmp_lt_i64_e32 vcc, 4, v[0:1]
	s_and_saveexec_b64 s[4:5], vcc
	s_xor_b64 s[4:5], exec, s[4:5]
	s_cbranch_execz .LBB164_87
; %bb.82:
	;; [unrolled: 5-line block ×3, first 2 shown]
	v_mov_b32_e32 v0, 0
	s_waitcnt lgkmcnt(0)
	global_store_dwordx2 v0, v[14:15], s[2:3]
                                        ; implicit-def: $vgpr10_vgpr11_vgpr12_vgpr13
.LBB164_84:
	s_andn2_saveexec_b64 s[6:7], s[6:7]
	s_cbranch_execz .LBB164_86
; %bb.85:
	v_mov_b32_e32 v0, 0
	s_waitcnt lgkmcnt(0)
	global_store_dwordx2 v0, v[12:13], s[2:3]
.LBB164_86:
	s_or_b64 exec, exec, s[6:7]
                                        ; implicit-def: $vgpr10_vgpr11_vgpr12_vgpr13
.LBB164_87:
	s_andn2_saveexec_b64 s[4:5], s[4:5]
	s_cbranch_execz .LBB164_89
; %bb.88:
	v_mov_b32_e32 v0, 0
	s_waitcnt lgkmcnt(0)
	global_store_dwordx2 v0, v[10:11], s[2:3]
.LBB164_89:
	s_or_b64 exec, exec, s[4:5]
                                        ; implicit-def: $vgpr0_vgpr1
                                        ; implicit-def: $vgpr2_vgpr3_vgpr4_vgpr5
                                        ; implicit-def: $vgpr6_vgpr7_vgpr8_vgpr9
.LBB164_90:
	s_andn2_saveexec_b64 s[0:1], s[0:1]
	s_cbranch_execz .LBB164_102
; %bb.91:
	v_cmp_lt_i64_e32 vcc, 1, v[0:1]
	s_and_saveexec_b64 s[0:1], vcc
	s_xor_b64 s[0:1], exec, s[0:1]
	s_cbranch_execz .LBB164_97
; %bb.92:
	v_cmp_lt_i64_e32 vcc, 2, v[0:1]
	s_and_saveexec_b64 s[4:5], vcc
	s_xor_b64 s[4:5], exec, s[4:5]
	s_cbranch_execz .LBB164_94
; %bb.93:
	v_mov_b32_e32 v0, 0
	s_waitcnt lgkmcnt(0)
	global_store_dwordx2 v0, v[8:9], s[2:3]
                                        ; implicit-def: $vgpr6_vgpr7_vgpr8_vgpr9
.LBB164_94:
	s_andn2_saveexec_b64 s[4:5], s[4:5]
	s_cbranch_execz .LBB164_96
; %bb.95:
	v_mov_b32_e32 v0, 0
	s_waitcnt lgkmcnt(0)
	global_store_dwordx2 v0, v[6:7], s[2:3]
.LBB164_96:
	s_or_b64 exec, exec, s[4:5]
                                        ; implicit-def: $vgpr2_vgpr3_vgpr4_vgpr5
                                        ; implicit-def: $vgpr0_vgpr1
.LBB164_97:
	s_andn2_saveexec_b64 s[0:1], s[0:1]
	s_cbranch_execz .LBB164_102
; %bb.98:
	v_cmp_ne_u64_e32 vcc, 1, v[0:1]
	s_and_saveexec_b64 s[0:1], vcc
	s_xor_b64 s[0:1], exec, s[0:1]
	s_cbranch_execz .LBB164_100
; %bb.99:
	v_mov_b32_e32 v0, 0
	s_waitcnt lgkmcnt(0)
	global_store_dwordx2 v0, v[2:3], s[2:3]
                                        ; implicit-def: $vgpr2_vgpr3_vgpr4_vgpr5
.LBB164_100:
	s_andn2_saveexec_b64 s[0:1], s[0:1]
	s_cbranch_execz .LBB164_102
; %bb.101:
	v_mov_b32_e32 v0, 0
	s_waitcnt lgkmcnt(0)
	global_store_dwordx2 v0, v[4:5], s[2:3]
.LBB164_102:
	s_endpgm
	.section	.rodata,"a",@progbits
	.p2align	6, 0x0
	.amdhsa_kernel _ZN7rocprim17ROCPRIM_400000_NS6detail17trampoline_kernelINS0_14default_configENS1_20scan_config_selectorIxEEZZNS1_9scan_implILNS1_25lookback_scan_determinismE0ELb1ELb1ES3_N6thrust23THRUST_200600_302600_NS6detail15normal_iteratorINS9_10device_ptrIxEEEESE_xNS9_4plusIvEExEEDaPvRmT3_T4_T5_mT6_P12ihipStream_tbENKUlT_T0_E_clISt17integral_constantIbLb1EEST_IbLb0EEEEDaSP_SQ_EUlSP_E_NS1_11comp_targetILNS1_3genE4ELNS1_11target_archE910ELNS1_3gpuE8ELNS1_3repE0EEENS1_30default_config_static_selectorELNS0_4arch9wavefront6targetE1EEEvT1_
		.amdhsa_group_segment_fixed_size 7168
		.amdhsa_private_segment_fixed_size 0
		.amdhsa_kernarg_size 104
		.amdhsa_user_sgpr_count 6
		.amdhsa_user_sgpr_private_segment_buffer 1
		.amdhsa_user_sgpr_dispatch_ptr 0
		.amdhsa_user_sgpr_queue_ptr 0
		.amdhsa_user_sgpr_kernarg_segment_ptr 1
		.amdhsa_user_sgpr_dispatch_id 0
		.amdhsa_user_sgpr_flat_scratch_init 0
		.amdhsa_user_sgpr_kernarg_preload_length 0
		.amdhsa_user_sgpr_kernarg_preload_offset 0
		.amdhsa_user_sgpr_private_segment_size 0
		.amdhsa_uses_dynamic_stack 0
		.amdhsa_system_sgpr_private_segment_wavefront_offset 0
		.amdhsa_system_sgpr_workgroup_id_x 1
		.amdhsa_system_sgpr_workgroup_id_y 0
		.amdhsa_system_sgpr_workgroup_id_z 0
		.amdhsa_system_sgpr_workgroup_info 0
		.amdhsa_system_vgpr_workitem_id 0
		.amdhsa_next_free_vgpr 51
		.amdhsa_next_free_sgpr 32
		.amdhsa_accum_offset 52
		.amdhsa_reserve_vcc 1
		.amdhsa_reserve_flat_scratch 0
		.amdhsa_float_round_mode_32 0
		.amdhsa_float_round_mode_16_64 0
		.amdhsa_float_denorm_mode_32 3
		.amdhsa_float_denorm_mode_16_64 3
		.amdhsa_dx10_clamp 1
		.amdhsa_ieee_mode 1
		.amdhsa_fp16_overflow 0
		.amdhsa_tg_split 0
		.amdhsa_exception_fp_ieee_invalid_op 0
		.amdhsa_exception_fp_denorm_src 0
		.amdhsa_exception_fp_ieee_div_zero 0
		.amdhsa_exception_fp_ieee_overflow 0
		.amdhsa_exception_fp_ieee_underflow 0
		.amdhsa_exception_fp_ieee_inexact 0
		.amdhsa_exception_int_div_zero 0
	.end_amdhsa_kernel
	.section	.text._ZN7rocprim17ROCPRIM_400000_NS6detail17trampoline_kernelINS0_14default_configENS1_20scan_config_selectorIxEEZZNS1_9scan_implILNS1_25lookback_scan_determinismE0ELb1ELb1ES3_N6thrust23THRUST_200600_302600_NS6detail15normal_iteratorINS9_10device_ptrIxEEEESE_xNS9_4plusIvEExEEDaPvRmT3_T4_T5_mT6_P12ihipStream_tbENKUlT_T0_E_clISt17integral_constantIbLb1EEST_IbLb0EEEEDaSP_SQ_EUlSP_E_NS1_11comp_targetILNS1_3genE4ELNS1_11target_archE910ELNS1_3gpuE8ELNS1_3repE0EEENS1_30default_config_static_selectorELNS0_4arch9wavefront6targetE1EEEvT1_,"axG",@progbits,_ZN7rocprim17ROCPRIM_400000_NS6detail17trampoline_kernelINS0_14default_configENS1_20scan_config_selectorIxEEZZNS1_9scan_implILNS1_25lookback_scan_determinismE0ELb1ELb1ES3_N6thrust23THRUST_200600_302600_NS6detail15normal_iteratorINS9_10device_ptrIxEEEESE_xNS9_4plusIvEExEEDaPvRmT3_T4_T5_mT6_P12ihipStream_tbENKUlT_T0_E_clISt17integral_constantIbLb1EEST_IbLb0EEEEDaSP_SQ_EUlSP_E_NS1_11comp_targetILNS1_3genE4ELNS1_11target_archE910ELNS1_3gpuE8ELNS1_3repE0EEENS1_30default_config_static_selectorELNS0_4arch9wavefront6targetE1EEEvT1_,comdat
.Lfunc_end164:
	.size	_ZN7rocprim17ROCPRIM_400000_NS6detail17trampoline_kernelINS0_14default_configENS1_20scan_config_selectorIxEEZZNS1_9scan_implILNS1_25lookback_scan_determinismE0ELb1ELb1ES3_N6thrust23THRUST_200600_302600_NS6detail15normal_iteratorINS9_10device_ptrIxEEEESE_xNS9_4plusIvEExEEDaPvRmT3_T4_T5_mT6_P12ihipStream_tbENKUlT_T0_E_clISt17integral_constantIbLb1EEST_IbLb0EEEEDaSP_SQ_EUlSP_E_NS1_11comp_targetILNS1_3genE4ELNS1_11target_archE910ELNS1_3gpuE8ELNS1_3repE0EEENS1_30default_config_static_selectorELNS0_4arch9wavefront6targetE1EEEvT1_, .Lfunc_end164-_ZN7rocprim17ROCPRIM_400000_NS6detail17trampoline_kernelINS0_14default_configENS1_20scan_config_selectorIxEEZZNS1_9scan_implILNS1_25lookback_scan_determinismE0ELb1ELb1ES3_N6thrust23THRUST_200600_302600_NS6detail15normal_iteratorINS9_10device_ptrIxEEEESE_xNS9_4plusIvEExEEDaPvRmT3_T4_T5_mT6_P12ihipStream_tbENKUlT_T0_E_clISt17integral_constantIbLb1EEST_IbLb0EEEEDaSP_SQ_EUlSP_E_NS1_11comp_targetILNS1_3genE4ELNS1_11target_archE910ELNS1_3gpuE8ELNS1_3repE0EEENS1_30default_config_static_selectorELNS0_4arch9wavefront6targetE1EEEvT1_
                                        ; -- End function
	.section	.AMDGPU.csdata,"",@progbits
; Kernel info:
; codeLenInByte = 5740
; NumSgprs: 36
; NumVgprs: 51
; NumAgprs: 0
; TotalNumVgprs: 51
; ScratchSize: 0
; MemoryBound: 0
; FloatMode: 240
; IeeeMode: 1
; LDSByteSize: 7168 bytes/workgroup (compile time only)
; SGPRBlocks: 4
; VGPRBlocks: 6
; NumSGPRsForWavesPerEU: 36
; NumVGPRsForWavesPerEU: 51
; AccumOffset: 52
; Occupancy: 5
; WaveLimiterHint : 1
; COMPUTE_PGM_RSRC2:SCRATCH_EN: 0
; COMPUTE_PGM_RSRC2:USER_SGPR: 6
; COMPUTE_PGM_RSRC2:TRAP_HANDLER: 0
; COMPUTE_PGM_RSRC2:TGID_X_EN: 1
; COMPUTE_PGM_RSRC2:TGID_Y_EN: 0
; COMPUTE_PGM_RSRC2:TGID_Z_EN: 0
; COMPUTE_PGM_RSRC2:TIDIG_COMP_CNT: 0
; COMPUTE_PGM_RSRC3_GFX90A:ACCUM_OFFSET: 12
; COMPUTE_PGM_RSRC3_GFX90A:TG_SPLIT: 0
	.section	.text._ZN7rocprim17ROCPRIM_400000_NS6detail17trampoline_kernelINS0_14default_configENS1_20scan_config_selectorIxEEZZNS1_9scan_implILNS1_25lookback_scan_determinismE0ELb1ELb1ES3_N6thrust23THRUST_200600_302600_NS6detail15normal_iteratorINS9_10device_ptrIxEEEESE_xNS9_4plusIvEExEEDaPvRmT3_T4_T5_mT6_P12ihipStream_tbENKUlT_T0_E_clISt17integral_constantIbLb1EEST_IbLb0EEEEDaSP_SQ_EUlSP_E_NS1_11comp_targetILNS1_3genE3ELNS1_11target_archE908ELNS1_3gpuE7ELNS1_3repE0EEENS1_30default_config_static_selectorELNS0_4arch9wavefront6targetE1EEEvT1_,"axG",@progbits,_ZN7rocprim17ROCPRIM_400000_NS6detail17trampoline_kernelINS0_14default_configENS1_20scan_config_selectorIxEEZZNS1_9scan_implILNS1_25lookback_scan_determinismE0ELb1ELb1ES3_N6thrust23THRUST_200600_302600_NS6detail15normal_iteratorINS9_10device_ptrIxEEEESE_xNS9_4plusIvEExEEDaPvRmT3_T4_T5_mT6_P12ihipStream_tbENKUlT_T0_E_clISt17integral_constantIbLb1EEST_IbLb0EEEEDaSP_SQ_EUlSP_E_NS1_11comp_targetILNS1_3genE3ELNS1_11target_archE908ELNS1_3gpuE7ELNS1_3repE0EEENS1_30default_config_static_selectorELNS0_4arch9wavefront6targetE1EEEvT1_,comdat
	.protected	_ZN7rocprim17ROCPRIM_400000_NS6detail17trampoline_kernelINS0_14default_configENS1_20scan_config_selectorIxEEZZNS1_9scan_implILNS1_25lookback_scan_determinismE0ELb1ELb1ES3_N6thrust23THRUST_200600_302600_NS6detail15normal_iteratorINS9_10device_ptrIxEEEESE_xNS9_4plusIvEExEEDaPvRmT3_T4_T5_mT6_P12ihipStream_tbENKUlT_T0_E_clISt17integral_constantIbLb1EEST_IbLb0EEEEDaSP_SQ_EUlSP_E_NS1_11comp_targetILNS1_3genE3ELNS1_11target_archE908ELNS1_3gpuE7ELNS1_3repE0EEENS1_30default_config_static_selectorELNS0_4arch9wavefront6targetE1EEEvT1_ ; -- Begin function _ZN7rocprim17ROCPRIM_400000_NS6detail17trampoline_kernelINS0_14default_configENS1_20scan_config_selectorIxEEZZNS1_9scan_implILNS1_25lookback_scan_determinismE0ELb1ELb1ES3_N6thrust23THRUST_200600_302600_NS6detail15normal_iteratorINS9_10device_ptrIxEEEESE_xNS9_4plusIvEExEEDaPvRmT3_T4_T5_mT6_P12ihipStream_tbENKUlT_T0_E_clISt17integral_constantIbLb1EEST_IbLb0EEEEDaSP_SQ_EUlSP_E_NS1_11comp_targetILNS1_3genE3ELNS1_11target_archE908ELNS1_3gpuE7ELNS1_3repE0EEENS1_30default_config_static_selectorELNS0_4arch9wavefront6targetE1EEEvT1_
	.globl	_ZN7rocprim17ROCPRIM_400000_NS6detail17trampoline_kernelINS0_14default_configENS1_20scan_config_selectorIxEEZZNS1_9scan_implILNS1_25lookback_scan_determinismE0ELb1ELb1ES3_N6thrust23THRUST_200600_302600_NS6detail15normal_iteratorINS9_10device_ptrIxEEEESE_xNS9_4plusIvEExEEDaPvRmT3_T4_T5_mT6_P12ihipStream_tbENKUlT_T0_E_clISt17integral_constantIbLb1EEST_IbLb0EEEEDaSP_SQ_EUlSP_E_NS1_11comp_targetILNS1_3genE3ELNS1_11target_archE908ELNS1_3gpuE7ELNS1_3repE0EEENS1_30default_config_static_selectorELNS0_4arch9wavefront6targetE1EEEvT1_
	.p2align	8
	.type	_ZN7rocprim17ROCPRIM_400000_NS6detail17trampoline_kernelINS0_14default_configENS1_20scan_config_selectorIxEEZZNS1_9scan_implILNS1_25lookback_scan_determinismE0ELb1ELb1ES3_N6thrust23THRUST_200600_302600_NS6detail15normal_iteratorINS9_10device_ptrIxEEEESE_xNS9_4plusIvEExEEDaPvRmT3_T4_T5_mT6_P12ihipStream_tbENKUlT_T0_E_clISt17integral_constantIbLb1EEST_IbLb0EEEEDaSP_SQ_EUlSP_E_NS1_11comp_targetILNS1_3genE3ELNS1_11target_archE908ELNS1_3gpuE7ELNS1_3repE0EEENS1_30default_config_static_selectorELNS0_4arch9wavefront6targetE1EEEvT1_,@function
_ZN7rocprim17ROCPRIM_400000_NS6detail17trampoline_kernelINS0_14default_configENS1_20scan_config_selectorIxEEZZNS1_9scan_implILNS1_25lookback_scan_determinismE0ELb1ELb1ES3_N6thrust23THRUST_200600_302600_NS6detail15normal_iteratorINS9_10device_ptrIxEEEESE_xNS9_4plusIvEExEEDaPvRmT3_T4_T5_mT6_P12ihipStream_tbENKUlT_T0_E_clISt17integral_constantIbLb1EEST_IbLb0EEEEDaSP_SQ_EUlSP_E_NS1_11comp_targetILNS1_3genE3ELNS1_11target_archE908ELNS1_3gpuE7ELNS1_3repE0EEENS1_30default_config_static_selectorELNS0_4arch9wavefront6targetE1EEEvT1_: ; @_ZN7rocprim17ROCPRIM_400000_NS6detail17trampoline_kernelINS0_14default_configENS1_20scan_config_selectorIxEEZZNS1_9scan_implILNS1_25lookback_scan_determinismE0ELb1ELb1ES3_N6thrust23THRUST_200600_302600_NS6detail15normal_iteratorINS9_10device_ptrIxEEEESE_xNS9_4plusIvEExEEDaPvRmT3_T4_T5_mT6_P12ihipStream_tbENKUlT_T0_E_clISt17integral_constantIbLb1EEST_IbLb0EEEEDaSP_SQ_EUlSP_E_NS1_11comp_targetILNS1_3genE3ELNS1_11target_archE908ELNS1_3gpuE7ELNS1_3repE0EEENS1_30default_config_static_selectorELNS0_4arch9wavefront6targetE1EEEvT1_
; %bb.0:
	.section	.rodata,"a",@progbits
	.p2align	6, 0x0
	.amdhsa_kernel _ZN7rocprim17ROCPRIM_400000_NS6detail17trampoline_kernelINS0_14default_configENS1_20scan_config_selectorIxEEZZNS1_9scan_implILNS1_25lookback_scan_determinismE0ELb1ELb1ES3_N6thrust23THRUST_200600_302600_NS6detail15normal_iteratorINS9_10device_ptrIxEEEESE_xNS9_4plusIvEExEEDaPvRmT3_T4_T5_mT6_P12ihipStream_tbENKUlT_T0_E_clISt17integral_constantIbLb1EEST_IbLb0EEEEDaSP_SQ_EUlSP_E_NS1_11comp_targetILNS1_3genE3ELNS1_11target_archE908ELNS1_3gpuE7ELNS1_3repE0EEENS1_30default_config_static_selectorELNS0_4arch9wavefront6targetE1EEEvT1_
		.amdhsa_group_segment_fixed_size 0
		.amdhsa_private_segment_fixed_size 0
		.amdhsa_kernarg_size 104
		.amdhsa_user_sgpr_count 6
		.amdhsa_user_sgpr_private_segment_buffer 1
		.amdhsa_user_sgpr_dispatch_ptr 0
		.amdhsa_user_sgpr_queue_ptr 0
		.amdhsa_user_sgpr_kernarg_segment_ptr 1
		.amdhsa_user_sgpr_dispatch_id 0
		.amdhsa_user_sgpr_flat_scratch_init 0
		.amdhsa_user_sgpr_kernarg_preload_length 0
		.amdhsa_user_sgpr_kernarg_preload_offset 0
		.amdhsa_user_sgpr_private_segment_size 0
		.amdhsa_uses_dynamic_stack 0
		.amdhsa_system_sgpr_private_segment_wavefront_offset 0
		.amdhsa_system_sgpr_workgroup_id_x 1
		.amdhsa_system_sgpr_workgroup_id_y 0
		.amdhsa_system_sgpr_workgroup_id_z 0
		.amdhsa_system_sgpr_workgroup_info 0
		.amdhsa_system_vgpr_workitem_id 0
		.amdhsa_next_free_vgpr 1
		.amdhsa_next_free_sgpr 0
		.amdhsa_accum_offset 4
		.amdhsa_reserve_vcc 0
		.amdhsa_reserve_flat_scratch 0
		.amdhsa_float_round_mode_32 0
		.amdhsa_float_round_mode_16_64 0
		.amdhsa_float_denorm_mode_32 3
		.amdhsa_float_denorm_mode_16_64 3
		.amdhsa_dx10_clamp 1
		.amdhsa_ieee_mode 1
		.amdhsa_fp16_overflow 0
		.amdhsa_tg_split 0
		.amdhsa_exception_fp_ieee_invalid_op 0
		.amdhsa_exception_fp_denorm_src 0
		.amdhsa_exception_fp_ieee_div_zero 0
		.amdhsa_exception_fp_ieee_overflow 0
		.amdhsa_exception_fp_ieee_underflow 0
		.amdhsa_exception_fp_ieee_inexact 0
		.amdhsa_exception_int_div_zero 0
	.end_amdhsa_kernel
	.section	.text._ZN7rocprim17ROCPRIM_400000_NS6detail17trampoline_kernelINS0_14default_configENS1_20scan_config_selectorIxEEZZNS1_9scan_implILNS1_25lookback_scan_determinismE0ELb1ELb1ES3_N6thrust23THRUST_200600_302600_NS6detail15normal_iteratorINS9_10device_ptrIxEEEESE_xNS9_4plusIvEExEEDaPvRmT3_T4_T5_mT6_P12ihipStream_tbENKUlT_T0_E_clISt17integral_constantIbLb1EEST_IbLb0EEEEDaSP_SQ_EUlSP_E_NS1_11comp_targetILNS1_3genE3ELNS1_11target_archE908ELNS1_3gpuE7ELNS1_3repE0EEENS1_30default_config_static_selectorELNS0_4arch9wavefront6targetE1EEEvT1_,"axG",@progbits,_ZN7rocprim17ROCPRIM_400000_NS6detail17trampoline_kernelINS0_14default_configENS1_20scan_config_selectorIxEEZZNS1_9scan_implILNS1_25lookback_scan_determinismE0ELb1ELb1ES3_N6thrust23THRUST_200600_302600_NS6detail15normal_iteratorINS9_10device_ptrIxEEEESE_xNS9_4plusIvEExEEDaPvRmT3_T4_T5_mT6_P12ihipStream_tbENKUlT_T0_E_clISt17integral_constantIbLb1EEST_IbLb0EEEEDaSP_SQ_EUlSP_E_NS1_11comp_targetILNS1_3genE3ELNS1_11target_archE908ELNS1_3gpuE7ELNS1_3repE0EEENS1_30default_config_static_selectorELNS0_4arch9wavefront6targetE1EEEvT1_,comdat
.Lfunc_end165:
	.size	_ZN7rocprim17ROCPRIM_400000_NS6detail17trampoline_kernelINS0_14default_configENS1_20scan_config_selectorIxEEZZNS1_9scan_implILNS1_25lookback_scan_determinismE0ELb1ELb1ES3_N6thrust23THRUST_200600_302600_NS6detail15normal_iteratorINS9_10device_ptrIxEEEESE_xNS9_4plusIvEExEEDaPvRmT3_T4_T5_mT6_P12ihipStream_tbENKUlT_T0_E_clISt17integral_constantIbLb1EEST_IbLb0EEEEDaSP_SQ_EUlSP_E_NS1_11comp_targetILNS1_3genE3ELNS1_11target_archE908ELNS1_3gpuE7ELNS1_3repE0EEENS1_30default_config_static_selectorELNS0_4arch9wavefront6targetE1EEEvT1_, .Lfunc_end165-_ZN7rocprim17ROCPRIM_400000_NS6detail17trampoline_kernelINS0_14default_configENS1_20scan_config_selectorIxEEZZNS1_9scan_implILNS1_25lookback_scan_determinismE0ELb1ELb1ES3_N6thrust23THRUST_200600_302600_NS6detail15normal_iteratorINS9_10device_ptrIxEEEESE_xNS9_4plusIvEExEEDaPvRmT3_T4_T5_mT6_P12ihipStream_tbENKUlT_T0_E_clISt17integral_constantIbLb1EEST_IbLb0EEEEDaSP_SQ_EUlSP_E_NS1_11comp_targetILNS1_3genE3ELNS1_11target_archE908ELNS1_3gpuE7ELNS1_3repE0EEENS1_30default_config_static_selectorELNS0_4arch9wavefront6targetE1EEEvT1_
                                        ; -- End function
	.section	.AMDGPU.csdata,"",@progbits
; Kernel info:
; codeLenInByte = 0
; NumSgprs: 4
; NumVgprs: 0
; NumAgprs: 0
; TotalNumVgprs: 0
; ScratchSize: 0
; MemoryBound: 0
; FloatMode: 240
; IeeeMode: 1
; LDSByteSize: 0 bytes/workgroup (compile time only)
; SGPRBlocks: 0
; VGPRBlocks: 0
; NumSGPRsForWavesPerEU: 4
; NumVGPRsForWavesPerEU: 1
; AccumOffset: 4
; Occupancy: 8
; WaveLimiterHint : 0
; COMPUTE_PGM_RSRC2:SCRATCH_EN: 0
; COMPUTE_PGM_RSRC2:USER_SGPR: 6
; COMPUTE_PGM_RSRC2:TRAP_HANDLER: 0
; COMPUTE_PGM_RSRC2:TGID_X_EN: 1
; COMPUTE_PGM_RSRC2:TGID_Y_EN: 0
; COMPUTE_PGM_RSRC2:TGID_Z_EN: 0
; COMPUTE_PGM_RSRC2:TIDIG_COMP_CNT: 0
; COMPUTE_PGM_RSRC3_GFX90A:ACCUM_OFFSET: 0
; COMPUTE_PGM_RSRC3_GFX90A:TG_SPLIT: 0
	.section	.text._ZN7rocprim17ROCPRIM_400000_NS6detail17trampoline_kernelINS0_14default_configENS1_20scan_config_selectorIxEEZZNS1_9scan_implILNS1_25lookback_scan_determinismE0ELb1ELb1ES3_N6thrust23THRUST_200600_302600_NS6detail15normal_iteratorINS9_10device_ptrIxEEEESE_xNS9_4plusIvEExEEDaPvRmT3_T4_T5_mT6_P12ihipStream_tbENKUlT_T0_E_clISt17integral_constantIbLb1EEST_IbLb0EEEEDaSP_SQ_EUlSP_E_NS1_11comp_targetILNS1_3genE2ELNS1_11target_archE906ELNS1_3gpuE6ELNS1_3repE0EEENS1_30default_config_static_selectorELNS0_4arch9wavefront6targetE1EEEvT1_,"axG",@progbits,_ZN7rocprim17ROCPRIM_400000_NS6detail17trampoline_kernelINS0_14default_configENS1_20scan_config_selectorIxEEZZNS1_9scan_implILNS1_25lookback_scan_determinismE0ELb1ELb1ES3_N6thrust23THRUST_200600_302600_NS6detail15normal_iteratorINS9_10device_ptrIxEEEESE_xNS9_4plusIvEExEEDaPvRmT3_T4_T5_mT6_P12ihipStream_tbENKUlT_T0_E_clISt17integral_constantIbLb1EEST_IbLb0EEEEDaSP_SQ_EUlSP_E_NS1_11comp_targetILNS1_3genE2ELNS1_11target_archE906ELNS1_3gpuE6ELNS1_3repE0EEENS1_30default_config_static_selectorELNS0_4arch9wavefront6targetE1EEEvT1_,comdat
	.protected	_ZN7rocprim17ROCPRIM_400000_NS6detail17trampoline_kernelINS0_14default_configENS1_20scan_config_selectorIxEEZZNS1_9scan_implILNS1_25lookback_scan_determinismE0ELb1ELb1ES3_N6thrust23THRUST_200600_302600_NS6detail15normal_iteratorINS9_10device_ptrIxEEEESE_xNS9_4plusIvEExEEDaPvRmT3_T4_T5_mT6_P12ihipStream_tbENKUlT_T0_E_clISt17integral_constantIbLb1EEST_IbLb0EEEEDaSP_SQ_EUlSP_E_NS1_11comp_targetILNS1_3genE2ELNS1_11target_archE906ELNS1_3gpuE6ELNS1_3repE0EEENS1_30default_config_static_selectorELNS0_4arch9wavefront6targetE1EEEvT1_ ; -- Begin function _ZN7rocprim17ROCPRIM_400000_NS6detail17trampoline_kernelINS0_14default_configENS1_20scan_config_selectorIxEEZZNS1_9scan_implILNS1_25lookback_scan_determinismE0ELb1ELb1ES3_N6thrust23THRUST_200600_302600_NS6detail15normal_iteratorINS9_10device_ptrIxEEEESE_xNS9_4plusIvEExEEDaPvRmT3_T4_T5_mT6_P12ihipStream_tbENKUlT_T0_E_clISt17integral_constantIbLb1EEST_IbLb0EEEEDaSP_SQ_EUlSP_E_NS1_11comp_targetILNS1_3genE2ELNS1_11target_archE906ELNS1_3gpuE6ELNS1_3repE0EEENS1_30default_config_static_selectorELNS0_4arch9wavefront6targetE1EEEvT1_
	.globl	_ZN7rocprim17ROCPRIM_400000_NS6detail17trampoline_kernelINS0_14default_configENS1_20scan_config_selectorIxEEZZNS1_9scan_implILNS1_25lookback_scan_determinismE0ELb1ELb1ES3_N6thrust23THRUST_200600_302600_NS6detail15normal_iteratorINS9_10device_ptrIxEEEESE_xNS9_4plusIvEExEEDaPvRmT3_T4_T5_mT6_P12ihipStream_tbENKUlT_T0_E_clISt17integral_constantIbLb1EEST_IbLb0EEEEDaSP_SQ_EUlSP_E_NS1_11comp_targetILNS1_3genE2ELNS1_11target_archE906ELNS1_3gpuE6ELNS1_3repE0EEENS1_30default_config_static_selectorELNS0_4arch9wavefront6targetE1EEEvT1_
	.p2align	8
	.type	_ZN7rocprim17ROCPRIM_400000_NS6detail17trampoline_kernelINS0_14default_configENS1_20scan_config_selectorIxEEZZNS1_9scan_implILNS1_25lookback_scan_determinismE0ELb1ELb1ES3_N6thrust23THRUST_200600_302600_NS6detail15normal_iteratorINS9_10device_ptrIxEEEESE_xNS9_4plusIvEExEEDaPvRmT3_T4_T5_mT6_P12ihipStream_tbENKUlT_T0_E_clISt17integral_constantIbLb1EEST_IbLb0EEEEDaSP_SQ_EUlSP_E_NS1_11comp_targetILNS1_3genE2ELNS1_11target_archE906ELNS1_3gpuE6ELNS1_3repE0EEENS1_30default_config_static_selectorELNS0_4arch9wavefront6targetE1EEEvT1_,@function
_ZN7rocprim17ROCPRIM_400000_NS6detail17trampoline_kernelINS0_14default_configENS1_20scan_config_selectorIxEEZZNS1_9scan_implILNS1_25lookback_scan_determinismE0ELb1ELb1ES3_N6thrust23THRUST_200600_302600_NS6detail15normal_iteratorINS9_10device_ptrIxEEEESE_xNS9_4plusIvEExEEDaPvRmT3_T4_T5_mT6_P12ihipStream_tbENKUlT_T0_E_clISt17integral_constantIbLb1EEST_IbLb0EEEEDaSP_SQ_EUlSP_E_NS1_11comp_targetILNS1_3genE2ELNS1_11target_archE906ELNS1_3gpuE6ELNS1_3repE0EEENS1_30default_config_static_selectorELNS0_4arch9wavefront6targetE1EEEvT1_: ; @_ZN7rocprim17ROCPRIM_400000_NS6detail17trampoline_kernelINS0_14default_configENS1_20scan_config_selectorIxEEZZNS1_9scan_implILNS1_25lookback_scan_determinismE0ELb1ELb1ES3_N6thrust23THRUST_200600_302600_NS6detail15normal_iteratorINS9_10device_ptrIxEEEESE_xNS9_4plusIvEExEEDaPvRmT3_T4_T5_mT6_P12ihipStream_tbENKUlT_T0_E_clISt17integral_constantIbLb1EEST_IbLb0EEEEDaSP_SQ_EUlSP_E_NS1_11comp_targetILNS1_3genE2ELNS1_11target_archE906ELNS1_3gpuE6ELNS1_3repE0EEENS1_30default_config_static_selectorELNS0_4arch9wavefront6targetE1EEEvT1_
; %bb.0:
	.section	.rodata,"a",@progbits
	.p2align	6, 0x0
	.amdhsa_kernel _ZN7rocprim17ROCPRIM_400000_NS6detail17trampoline_kernelINS0_14default_configENS1_20scan_config_selectorIxEEZZNS1_9scan_implILNS1_25lookback_scan_determinismE0ELb1ELb1ES3_N6thrust23THRUST_200600_302600_NS6detail15normal_iteratorINS9_10device_ptrIxEEEESE_xNS9_4plusIvEExEEDaPvRmT3_T4_T5_mT6_P12ihipStream_tbENKUlT_T0_E_clISt17integral_constantIbLb1EEST_IbLb0EEEEDaSP_SQ_EUlSP_E_NS1_11comp_targetILNS1_3genE2ELNS1_11target_archE906ELNS1_3gpuE6ELNS1_3repE0EEENS1_30default_config_static_selectorELNS0_4arch9wavefront6targetE1EEEvT1_
		.amdhsa_group_segment_fixed_size 0
		.amdhsa_private_segment_fixed_size 0
		.amdhsa_kernarg_size 104
		.amdhsa_user_sgpr_count 6
		.amdhsa_user_sgpr_private_segment_buffer 1
		.amdhsa_user_sgpr_dispatch_ptr 0
		.amdhsa_user_sgpr_queue_ptr 0
		.amdhsa_user_sgpr_kernarg_segment_ptr 1
		.amdhsa_user_sgpr_dispatch_id 0
		.amdhsa_user_sgpr_flat_scratch_init 0
		.amdhsa_user_sgpr_kernarg_preload_length 0
		.amdhsa_user_sgpr_kernarg_preload_offset 0
		.amdhsa_user_sgpr_private_segment_size 0
		.amdhsa_uses_dynamic_stack 0
		.amdhsa_system_sgpr_private_segment_wavefront_offset 0
		.amdhsa_system_sgpr_workgroup_id_x 1
		.amdhsa_system_sgpr_workgroup_id_y 0
		.amdhsa_system_sgpr_workgroup_id_z 0
		.amdhsa_system_sgpr_workgroup_info 0
		.amdhsa_system_vgpr_workitem_id 0
		.amdhsa_next_free_vgpr 1
		.amdhsa_next_free_sgpr 0
		.amdhsa_accum_offset 4
		.amdhsa_reserve_vcc 0
		.amdhsa_reserve_flat_scratch 0
		.amdhsa_float_round_mode_32 0
		.amdhsa_float_round_mode_16_64 0
		.amdhsa_float_denorm_mode_32 3
		.amdhsa_float_denorm_mode_16_64 3
		.amdhsa_dx10_clamp 1
		.amdhsa_ieee_mode 1
		.amdhsa_fp16_overflow 0
		.amdhsa_tg_split 0
		.amdhsa_exception_fp_ieee_invalid_op 0
		.amdhsa_exception_fp_denorm_src 0
		.amdhsa_exception_fp_ieee_div_zero 0
		.amdhsa_exception_fp_ieee_overflow 0
		.amdhsa_exception_fp_ieee_underflow 0
		.amdhsa_exception_fp_ieee_inexact 0
		.amdhsa_exception_int_div_zero 0
	.end_amdhsa_kernel
	.section	.text._ZN7rocprim17ROCPRIM_400000_NS6detail17trampoline_kernelINS0_14default_configENS1_20scan_config_selectorIxEEZZNS1_9scan_implILNS1_25lookback_scan_determinismE0ELb1ELb1ES3_N6thrust23THRUST_200600_302600_NS6detail15normal_iteratorINS9_10device_ptrIxEEEESE_xNS9_4plusIvEExEEDaPvRmT3_T4_T5_mT6_P12ihipStream_tbENKUlT_T0_E_clISt17integral_constantIbLb1EEST_IbLb0EEEEDaSP_SQ_EUlSP_E_NS1_11comp_targetILNS1_3genE2ELNS1_11target_archE906ELNS1_3gpuE6ELNS1_3repE0EEENS1_30default_config_static_selectorELNS0_4arch9wavefront6targetE1EEEvT1_,"axG",@progbits,_ZN7rocprim17ROCPRIM_400000_NS6detail17trampoline_kernelINS0_14default_configENS1_20scan_config_selectorIxEEZZNS1_9scan_implILNS1_25lookback_scan_determinismE0ELb1ELb1ES3_N6thrust23THRUST_200600_302600_NS6detail15normal_iteratorINS9_10device_ptrIxEEEESE_xNS9_4plusIvEExEEDaPvRmT3_T4_T5_mT6_P12ihipStream_tbENKUlT_T0_E_clISt17integral_constantIbLb1EEST_IbLb0EEEEDaSP_SQ_EUlSP_E_NS1_11comp_targetILNS1_3genE2ELNS1_11target_archE906ELNS1_3gpuE6ELNS1_3repE0EEENS1_30default_config_static_selectorELNS0_4arch9wavefront6targetE1EEEvT1_,comdat
.Lfunc_end166:
	.size	_ZN7rocprim17ROCPRIM_400000_NS6detail17trampoline_kernelINS0_14default_configENS1_20scan_config_selectorIxEEZZNS1_9scan_implILNS1_25lookback_scan_determinismE0ELb1ELb1ES3_N6thrust23THRUST_200600_302600_NS6detail15normal_iteratorINS9_10device_ptrIxEEEESE_xNS9_4plusIvEExEEDaPvRmT3_T4_T5_mT6_P12ihipStream_tbENKUlT_T0_E_clISt17integral_constantIbLb1EEST_IbLb0EEEEDaSP_SQ_EUlSP_E_NS1_11comp_targetILNS1_3genE2ELNS1_11target_archE906ELNS1_3gpuE6ELNS1_3repE0EEENS1_30default_config_static_selectorELNS0_4arch9wavefront6targetE1EEEvT1_, .Lfunc_end166-_ZN7rocprim17ROCPRIM_400000_NS6detail17trampoline_kernelINS0_14default_configENS1_20scan_config_selectorIxEEZZNS1_9scan_implILNS1_25lookback_scan_determinismE0ELb1ELb1ES3_N6thrust23THRUST_200600_302600_NS6detail15normal_iteratorINS9_10device_ptrIxEEEESE_xNS9_4plusIvEExEEDaPvRmT3_T4_T5_mT6_P12ihipStream_tbENKUlT_T0_E_clISt17integral_constantIbLb1EEST_IbLb0EEEEDaSP_SQ_EUlSP_E_NS1_11comp_targetILNS1_3genE2ELNS1_11target_archE906ELNS1_3gpuE6ELNS1_3repE0EEENS1_30default_config_static_selectorELNS0_4arch9wavefront6targetE1EEEvT1_
                                        ; -- End function
	.section	.AMDGPU.csdata,"",@progbits
; Kernel info:
; codeLenInByte = 0
; NumSgprs: 4
; NumVgprs: 0
; NumAgprs: 0
; TotalNumVgprs: 0
; ScratchSize: 0
; MemoryBound: 0
; FloatMode: 240
; IeeeMode: 1
; LDSByteSize: 0 bytes/workgroup (compile time only)
; SGPRBlocks: 0
; VGPRBlocks: 0
; NumSGPRsForWavesPerEU: 4
; NumVGPRsForWavesPerEU: 1
; AccumOffset: 4
; Occupancy: 8
; WaveLimiterHint : 0
; COMPUTE_PGM_RSRC2:SCRATCH_EN: 0
; COMPUTE_PGM_RSRC2:USER_SGPR: 6
; COMPUTE_PGM_RSRC2:TRAP_HANDLER: 0
; COMPUTE_PGM_RSRC2:TGID_X_EN: 1
; COMPUTE_PGM_RSRC2:TGID_Y_EN: 0
; COMPUTE_PGM_RSRC2:TGID_Z_EN: 0
; COMPUTE_PGM_RSRC2:TIDIG_COMP_CNT: 0
; COMPUTE_PGM_RSRC3_GFX90A:ACCUM_OFFSET: 0
; COMPUTE_PGM_RSRC3_GFX90A:TG_SPLIT: 0
	.section	.text._ZN7rocprim17ROCPRIM_400000_NS6detail17trampoline_kernelINS0_14default_configENS1_20scan_config_selectorIxEEZZNS1_9scan_implILNS1_25lookback_scan_determinismE0ELb1ELb1ES3_N6thrust23THRUST_200600_302600_NS6detail15normal_iteratorINS9_10device_ptrIxEEEESE_xNS9_4plusIvEExEEDaPvRmT3_T4_T5_mT6_P12ihipStream_tbENKUlT_T0_E_clISt17integral_constantIbLb1EEST_IbLb0EEEEDaSP_SQ_EUlSP_E_NS1_11comp_targetILNS1_3genE10ELNS1_11target_archE1201ELNS1_3gpuE5ELNS1_3repE0EEENS1_30default_config_static_selectorELNS0_4arch9wavefront6targetE1EEEvT1_,"axG",@progbits,_ZN7rocprim17ROCPRIM_400000_NS6detail17trampoline_kernelINS0_14default_configENS1_20scan_config_selectorIxEEZZNS1_9scan_implILNS1_25lookback_scan_determinismE0ELb1ELb1ES3_N6thrust23THRUST_200600_302600_NS6detail15normal_iteratorINS9_10device_ptrIxEEEESE_xNS9_4plusIvEExEEDaPvRmT3_T4_T5_mT6_P12ihipStream_tbENKUlT_T0_E_clISt17integral_constantIbLb1EEST_IbLb0EEEEDaSP_SQ_EUlSP_E_NS1_11comp_targetILNS1_3genE10ELNS1_11target_archE1201ELNS1_3gpuE5ELNS1_3repE0EEENS1_30default_config_static_selectorELNS0_4arch9wavefront6targetE1EEEvT1_,comdat
	.protected	_ZN7rocprim17ROCPRIM_400000_NS6detail17trampoline_kernelINS0_14default_configENS1_20scan_config_selectorIxEEZZNS1_9scan_implILNS1_25lookback_scan_determinismE0ELb1ELb1ES3_N6thrust23THRUST_200600_302600_NS6detail15normal_iteratorINS9_10device_ptrIxEEEESE_xNS9_4plusIvEExEEDaPvRmT3_T4_T5_mT6_P12ihipStream_tbENKUlT_T0_E_clISt17integral_constantIbLb1EEST_IbLb0EEEEDaSP_SQ_EUlSP_E_NS1_11comp_targetILNS1_3genE10ELNS1_11target_archE1201ELNS1_3gpuE5ELNS1_3repE0EEENS1_30default_config_static_selectorELNS0_4arch9wavefront6targetE1EEEvT1_ ; -- Begin function _ZN7rocprim17ROCPRIM_400000_NS6detail17trampoline_kernelINS0_14default_configENS1_20scan_config_selectorIxEEZZNS1_9scan_implILNS1_25lookback_scan_determinismE0ELb1ELb1ES3_N6thrust23THRUST_200600_302600_NS6detail15normal_iteratorINS9_10device_ptrIxEEEESE_xNS9_4plusIvEExEEDaPvRmT3_T4_T5_mT6_P12ihipStream_tbENKUlT_T0_E_clISt17integral_constantIbLb1EEST_IbLb0EEEEDaSP_SQ_EUlSP_E_NS1_11comp_targetILNS1_3genE10ELNS1_11target_archE1201ELNS1_3gpuE5ELNS1_3repE0EEENS1_30default_config_static_selectorELNS0_4arch9wavefront6targetE1EEEvT1_
	.globl	_ZN7rocprim17ROCPRIM_400000_NS6detail17trampoline_kernelINS0_14default_configENS1_20scan_config_selectorIxEEZZNS1_9scan_implILNS1_25lookback_scan_determinismE0ELb1ELb1ES3_N6thrust23THRUST_200600_302600_NS6detail15normal_iteratorINS9_10device_ptrIxEEEESE_xNS9_4plusIvEExEEDaPvRmT3_T4_T5_mT6_P12ihipStream_tbENKUlT_T0_E_clISt17integral_constantIbLb1EEST_IbLb0EEEEDaSP_SQ_EUlSP_E_NS1_11comp_targetILNS1_3genE10ELNS1_11target_archE1201ELNS1_3gpuE5ELNS1_3repE0EEENS1_30default_config_static_selectorELNS0_4arch9wavefront6targetE1EEEvT1_
	.p2align	8
	.type	_ZN7rocprim17ROCPRIM_400000_NS6detail17trampoline_kernelINS0_14default_configENS1_20scan_config_selectorIxEEZZNS1_9scan_implILNS1_25lookback_scan_determinismE0ELb1ELb1ES3_N6thrust23THRUST_200600_302600_NS6detail15normal_iteratorINS9_10device_ptrIxEEEESE_xNS9_4plusIvEExEEDaPvRmT3_T4_T5_mT6_P12ihipStream_tbENKUlT_T0_E_clISt17integral_constantIbLb1EEST_IbLb0EEEEDaSP_SQ_EUlSP_E_NS1_11comp_targetILNS1_3genE10ELNS1_11target_archE1201ELNS1_3gpuE5ELNS1_3repE0EEENS1_30default_config_static_selectorELNS0_4arch9wavefront6targetE1EEEvT1_,@function
_ZN7rocprim17ROCPRIM_400000_NS6detail17trampoline_kernelINS0_14default_configENS1_20scan_config_selectorIxEEZZNS1_9scan_implILNS1_25lookback_scan_determinismE0ELb1ELb1ES3_N6thrust23THRUST_200600_302600_NS6detail15normal_iteratorINS9_10device_ptrIxEEEESE_xNS9_4plusIvEExEEDaPvRmT3_T4_T5_mT6_P12ihipStream_tbENKUlT_T0_E_clISt17integral_constantIbLb1EEST_IbLb0EEEEDaSP_SQ_EUlSP_E_NS1_11comp_targetILNS1_3genE10ELNS1_11target_archE1201ELNS1_3gpuE5ELNS1_3repE0EEENS1_30default_config_static_selectorELNS0_4arch9wavefront6targetE1EEEvT1_: ; @_ZN7rocprim17ROCPRIM_400000_NS6detail17trampoline_kernelINS0_14default_configENS1_20scan_config_selectorIxEEZZNS1_9scan_implILNS1_25lookback_scan_determinismE0ELb1ELb1ES3_N6thrust23THRUST_200600_302600_NS6detail15normal_iteratorINS9_10device_ptrIxEEEESE_xNS9_4plusIvEExEEDaPvRmT3_T4_T5_mT6_P12ihipStream_tbENKUlT_T0_E_clISt17integral_constantIbLb1EEST_IbLb0EEEEDaSP_SQ_EUlSP_E_NS1_11comp_targetILNS1_3genE10ELNS1_11target_archE1201ELNS1_3gpuE5ELNS1_3repE0EEENS1_30default_config_static_selectorELNS0_4arch9wavefront6targetE1EEEvT1_
; %bb.0:
	.section	.rodata,"a",@progbits
	.p2align	6, 0x0
	.amdhsa_kernel _ZN7rocprim17ROCPRIM_400000_NS6detail17trampoline_kernelINS0_14default_configENS1_20scan_config_selectorIxEEZZNS1_9scan_implILNS1_25lookback_scan_determinismE0ELb1ELb1ES3_N6thrust23THRUST_200600_302600_NS6detail15normal_iteratorINS9_10device_ptrIxEEEESE_xNS9_4plusIvEExEEDaPvRmT3_T4_T5_mT6_P12ihipStream_tbENKUlT_T0_E_clISt17integral_constantIbLb1EEST_IbLb0EEEEDaSP_SQ_EUlSP_E_NS1_11comp_targetILNS1_3genE10ELNS1_11target_archE1201ELNS1_3gpuE5ELNS1_3repE0EEENS1_30default_config_static_selectorELNS0_4arch9wavefront6targetE1EEEvT1_
		.amdhsa_group_segment_fixed_size 0
		.amdhsa_private_segment_fixed_size 0
		.amdhsa_kernarg_size 104
		.amdhsa_user_sgpr_count 6
		.amdhsa_user_sgpr_private_segment_buffer 1
		.amdhsa_user_sgpr_dispatch_ptr 0
		.amdhsa_user_sgpr_queue_ptr 0
		.amdhsa_user_sgpr_kernarg_segment_ptr 1
		.amdhsa_user_sgpr_dispatch_id 0
		.amdhsa_user_sgpr_flat_scratch_init 0
		.amdhsa_user_sgpr_kernarg_preload_length 0
		.amdhsa_user_sgpr_kernarg_preload_offset 0
		.amdhsa_user_sgpr_private_segment_size 0
		.amdhsa_uses_dynamic_stack 0
		.amdhsa_system_sgpr_private_segment_wavefront_offset 0
		.amdhsa_system_sgpr_workgroup_id_x 1
		.amdhsa_system_sgpr_workgroup_id_y 0
		.amdhsa_system_sgpr_workgroup_id_z 0
		.amdhsa_system_sgpr_workgroup_info 0
		.amdhsa_system_vgpr_workitem_id 0
		.amdhsa_next_free_vgpr 1
		.amdhsa_next_free_sgpr 0
		.amdhsa_accum_offset 4
		.amdhsa_reserve_vcc 0
		.amdhsa_reserve_flat_scratch 0
		.amdhsa_float_round_mode_32 0
		.amdhsa_float_round_mode_16_64 0
		.amdhsa_float_denorm_mode_32 3
		.amdhsa_float_denorm_mode_16_64 3
		.amdhsa_dx10_clamp 1
		.amdhsa_ieee_mode 1
		.amdhsa_fp16_overflow 0
		.amdhsa_tg_split 0
		.amdhsa_exception_fp_ieee_invalid_op 0
		.amdhsa_exception_fp_denorm_src 0
		.amdhsa_exception_fp_ieee_div_zero 0
		.amdhsa_exception_fp_ieee_overflow 0
		.amdhsa_exception_fp_ieee_underflow 0
		.amdhsa_exception_fp_ieee_inexact 0
		.amdhsa_exception_int_div_zero 0
	.end_amdhsa_kernel
	.section	.text._ZN7rocprim17ROCPRIM_400000_NS6detail17trampoline_kernelINS0_14default_configENS1_20scan_config_selectorIxEEZZNS1_9scan_implILNS1_25lookback_scan_determinismE0ELb1ELb1ES3_N6thrust23THRUST_200600_302600_NS6detail15normal_iteratorINS9_10device_ptrIxEEEESE_xNS9_4plusIvEExEEDaPvRmT3_T4_T5_mT6_P12ihipStream_tbENKUlT_T0_E_clISt17integral_constantIbLb1EEST_IbLb0EEEEDaSP_SQ_EUlSP_E_NS1_11comp_targetILNS1_3genE10ELNS1_11target_archE1201ELNS1_3gpuE5ELNS1_3repE0EEENS1_30default_config_static_selectorELNS0_4arch9wavefront6targetE1EEEvT1_,"axG",@progbits,_ZN7rocprim17ROCPRIM_400000_NS6detail17trampoline_kernelINS0_14default_configENS1_20scan_config_selectorIxEEZZNS1_9scan_implILNS1_25lookback_scan_determinismE0ELb1ELb1ES3_N6thrust23THRUST_200600_302600_NS6detail15normal_iteratorINS9_10device_ptrIxEEEESE_xNS9_4plusIvEExEEDaPvRmT3_T4_T5_mT6_P12ihipStream_tbENKUlT_T0_E_clISt17integral_constantIbLb1EEST_IbLb0EEEEDaSP_SQ_EUlSP_E_NS1_11comp_targetILNS1_3genE10ELNS1_11target_archE1201ELNS1_3gpuE5ELNS1_3repE0EEENS1_30default_config_static_selectorELNS0_4arch9wavefront6targetE1EEEvT1_,comdat
.Lfunc_end167:
	.size	_ZN7rocprim17ROCPRIM_400000_NS6detail17trampoline_kernelINS0_14default_configENS1_20scan_config_selectorIxEEZZNS1_9scan_implILNS1_25lookback_scan_determinismE0ELb1ELb1ES3_N6thrust23THRUST_200600_302600_NS6detail15normal_iteratorINS9_10device_ptrIxEEEESE_xNS9_4plusIvEExEEDaPvRmT3_T4_T5_mT6_P12ihipStream_tbENKUlT_T0_E_clISt17integral_constantIbLb1EEST_IbLb0EEEEDaSP_SQ_EUlSP_E_NS1_11comp_targetILNS1_3genE10ELNS1_11target_archE1201ELNS1_3gpuE5ELNS1_3repE0EEENS1_30default_config_static_selectorELNS0_4arch9wavefront6targetE1EEEvT1_, .Lfunc_end167-_ZN7rocprim17ROCPRIM_400000_NS6detail17trampoline_kernelINS0_14default_configENS1_20scan_config_selectorIxEEZZNS1_9scan_implILNS1_25lookback_scan_determinismE0ELb1ELb1ES3_N6thrust23THRUST_200600_302600_NS6detail15normal_iteratorINS9_10device_ptrIxEEEESE_xNS9_4plusIvEExEEDaPvRmT3_T4_T5_mT6_P12ihipStream_tbENKUlT_T0_E_clISt17integral_constantIbLb1EEST_IbLb0EEEEDaSP_SQ_EUlSP_E_NS1_11comp_targetILNS1_3genE10ELNS1_11target_archE1201ELNS1_3gpuE5ELNS1_3repE0EEENS1_30default_config_static_selectorELNS0_4arch9wavefront6targetE1EEEvT1_
                                        ; -- End function
	.section	.AMDGPU.csdata,"",@progbits
; Kernel info:
; codeLenInByte = 0
; NumSgprs: 4
; NumVgprs: 0
; NumAgprs: 0
; TotalNumVgprs: 0
; ScratchSize: 0
; MemoryBound: 0
; FloatMode: 240
; IeeeMode: 1
; LDSByteSize: 0 bytes/workgroup (compile time only)
; SGPRBlocks: 0
; VGPRBlocks: 0
; NumSGPRsForWavesPerEU: 4
; NumVGPRsForWavesPerEU: 1
; AccumOffset: 4
; Occupancy: 8
; WaveLimiterHint : 0
; COMPUTE_PGM_RSRC2:SCRATCH_EN: 0
; COMPUTE_PGM_RSRC2:USER_SGPR: 6
; COMPUTE_PGM_RSRC2:TRAP_HANDLER: 0
; COMPUTE_PGM_RSRC2:TGID_X_EN: 1
; COMPUTE_PGM_RSRC2:TGID_Y_EN: 0
; COMPUTE_PGM_RSRC2:TGID_Z_EN: 0
; COMPUTE_PGM_RSRC2:TIDIG_COMP_CNT: 0
; COMPUTE_PGM_RSRC3_GFX90A:ACCUM_OFFSET: 0
; COMPUTE_PGM_RSRC3_GFX90A:TG_SPLIT: 0
	.section	.text._ZN7rocprim17ROCPRIM_400000_NS6detail17trampoline_kernelINS0_14default_configENS1_20scan_config_selectorIxEEZZNS1_9scan_implILNS1_25lookback_scan_determinismE0ELb1ELb1ES3_N6thrust23THRUST_200600_302600_NS6detail15normal_iteratorINS9_10device_ptrIxEEEESE_xNS9_4plusIvEExEEDaPvRmT3_T4_T5_mT6_P12ihipStream_tbENKUlT_T0_E_clISt17integral_constantIbLb1EEST_IbLb0EEEEDaSP_SQ_EUlSP_E_NS1_11comp_targetILNS1_3genE10ELNS1_11target_archE1200ELNS1_3gpuE4ELNS1_3repE0EEENS1_30default_config_static_selectorELNS0_4arch9wavefront6targetE1EEEvT1_,"axG",@progbits,_ZN7rocprim17ROCPRIM_400000_NS6detail17trampoline_kernelINS0_14default_configENS1_20scan_config_selectorIxEEZZNS1_9scan_implILNS1_25lookback_scan_determinismE0ELb1ELb1ES3_N6thrust23THRUST_200600_302600_NS6detail15normal_iteratorINS9_10device_ptrIxEEEESE_xNS9_4plusIvEExEEDaPvRmT3_T4_T5_mT6_P12ihipStream_tbENKUlT_T0_E_clISt17integral_constantIbLb1EEST_IbLb0EEEEDaSP_SQ_EUlSP_E_NS1_11comp_targetILNS1_3genE10ELNS1_11target_archE1200ELNS1_3gpuE4ELNS1_3repE0EEENS1_30default_config_static_selectorELNS0_4arch9wavefront6targetE1EEEvT1_,comdat
	.protected	_ZN7rocprim17ROCPRIM_400000_NS6detail17trampoline_kernelINS0_14default_configENS1_20scan_config_selectorIxEEZZNS1_9scan_implILNS1_25lookback_scan_determinismE0ELb1ELb1ES3_N6thrust23THRUST_200600_302600_NS6detail15normal_iteratorINS9_10device_ptrIxEEEESE_xNS9_4plusIvEExEEDaPvRmT3_T4_T5_mT6_P12ihipStream_tbENKUlT_T0_E_clISt17integral_constantIbLb1EEST_IbLb0EEEEDaSP_SQ_EUlSP_E_NS1_11comp_targetILNS1_3genE10ELNS1_11target_archE1200ELNS1_3gpuE4ELNS1_3repE0EEENS1_30default_config_static_selectorELNS0_4arch9wavefront6targetE1EEEvT1_ ; -- Begin function _ZN7rocprim17ROCPRIM_400000_NS6detail17trampoline_kernelINS0_14default_configENS1_20scan_config_selectorIxEEZZNS1_9scan_implILNS1_25lookback_scan_determinismE0ELb1ELb1ES3_N6thrust23THRUST_200600_302600_NS6detail15normal_iteratorINS9_10device_ptrIxEEEESE_xNS9_4plusIvEExEEDaPvRmT3_T4_T5_mT6_P12ihipStream_tbENKUlT_T0_E_clISt17integral_constantIbLb1EEST_IbLb0EEEEDaSP_SQ_EUlSP_E_NS1_11comp_targetILNS1_3genE10ELNS1_11target_archE1200ELNS1_3gpuE4ELNS1_3repE0EEENS1_30default_config_static_selectorELNS0_4arch9wavefront6targetE1EEEvT1_
	.globl	_ZN7rocprim17ROCPRIM_400000_NS6detail17trampoline_kernelINS0_14default_configENS1_20scan_config_selectorIxEEZZNS1_9scan_implILNS1_25lookback_scan_determinismE0ELb1ELb1ES3_N6thrust23THRUST_200600_302600_NS6detail15normal_iteratorINS9_10device_ptrIxEEEESE_xNS9_4plusIvEExEEDaPvRmT3_T4_T5_mT6_P12ihipStream_tbENKUlT_T0_E_clISt17integral_constantIbLb1EEST_IbLb0EEEEDaSP_SQ_EUlSP_E_NS1_11comp_targetILNS1_3genE10ELNS1_11target_archE1200ELNS1_3gpuE4ELNS1_3repE0EEENS1_30default_config_static_selectorELNS0_4arch9wavefront6targetE1EEEvT1_
	.p2align	8
	.type	_ZN7rocprim17ROCPRIM_400000_NS6detail17trampoline_kernelINS0_14default_configENS1_20scan_config_selectorIxEEZZNS1_9scan_implILNS1_25lookback_scan_determinismE0ELb1ELb1ES3_N6thrust23THRUST_200600_302600_NS6detail15normal_iteratorINS9_10device_ptrIxEEEESE_xNS9_4plusIvEExEEDaPvRmT3_T4_T5_mT6_P12ihipStream_tbENKUlT_T0_E_clISt17integral_constantIbLb1EEST_IbLb0EEEEDaSP_SQ_EUlSP_E_NS1_11comp_targetILNS1_3genE10ELNS1_11target_archE1200ELNS1_3gpuE4ELNS1_3repE0EEENS1_30default_config_static_selectorELNS0_4arch9wavefront6targetE1EEEvT1_,@function
_ZN7rocprim17ROCPRIM_400000_NS6detail17trampoline_kernelINS0_14default_configENS1_20scan_config_selectorIxEEZZNS1_9scan_implILNS1_25lookback_scan_determinismE0ELb1ELb1ES3_N6thrust23THRUST_200600_302600_NS6detail15normal_iteratorINS9_10device_ptrIxEEEESE_xNS9_4plusIvEExEEDaPvRmT3_T4_T5_mT6_P12ihipStream_tbENKUlT_T0_E_clISt17integral_constantIbLb1EEST_IbLb0EEEEDaSP_SQ_EUlSP_E_NS1_11comp_targetILNS1_3genE10ELNS1_11target_archE1200ELNS1_3gpuE4ELNS1_3repE0EEENS1_30default_config_static_selectorELNS0_4arch9wavefront6targetE1EEEvT1_: ; @_ZN7rocprim17ROCPRIM_400000_NS6detail17trampoline_kernelINS0_14default_configENS1_20scan_config_selectorIxEEZZNS1_9scan_implILNS1_25lookback_scan_determinismE0ELb1ELb1ES3_N6thrust23THRUST_200600_302600_NS6detail15normal_iteratorINS9_10device_ptrIxEEEESE_xNS9_4plusIvEExEEDaPvRmT3_T4_T5_mT6_P12ihipStream_tbENKUlT_T0_E_clISt17integral_constantIbLb1EEST_IbLb0EEEEDaSP_SQ_EUlSP_E_NS1_11comp_targetILNS1_3genE10ELNS1_11target_archE1200ELNS1_3gpuE4ELNS1_3repE0EEENS1_30default_config_static_selectorELNS0_4arch9wavefront6targetE1EEEvT1_
; %bb.0:
	.section	.rodata,"a",@progbits
	.p2align	6, 0x0
	.amdhsa_kernel _ZN7rocprim17ROCPRIM_400000_NS6detail17trampoline_kernelINS0_14default_configENS1_20scan_config_selectorIxEEZZNS1_9scan_implILNS1_25lookback_scan_determinismE0ELb1ELb1ES3_N6thrust23THRUST_200600_302600_NS6detail15normal_iteratorINS9_10device_ptrIxEEEESE_xNS9_4plusIvEExEEDaPvRmT3_T4_T5_mT6_P12ihipStream_tbENKUlT_T0_E_clISt17integral_constantIbLb1EEST_IbLb0EEEEDaSP_SQ_EUlSP_E_NS1_11comp_targetILNS1_3genE10ELNS1_11target_archE1200ELNS1_3gpuE4ELNS1_3repE0EEENS1_30default_config_static_selectorELNS0_4arch9wavefront6targetE1EEEvT1_
		.amdhsa_group_segment_fixed_size 0
		.amdhsa_private_segment_fixed_size 0
		.amdhsa_kernarg_size 104
		.amdhsa_user_sgpr_count 6
		.amdhsa_user_sgpr_private_segment_buffer 1
		.amdhsa_user_sgpr_dispatch_ptr 0
		.amdhsa_user_sgpr_queue_ptr 0
		.amdhsa_user_sgpr_kernarg_segment_ptr 1
		.amdhsa_user_sgpr_dispatch_id 0
		.amdhsa_user_sgpr_flat_scratch_init 0
		.amdhsa_user_sgpr_kernarg_preload_length 0
		.amdhsa_user_sgpr_kernarg_preload_offset 0
		.amdhsa_user_sgpr_private_segment_size 0
		.amdhsa_uses_dynamic_stack 0
		.amdhsa_system_sgpr_private_segment_wavefront_offset 0
		.amdhsa_system_sgpr_workgroup_id_x 1
		.amdhsa_system_sgpr_workgroup_id_y 0
		.amdhsa_system_sgpr_workgroup_id_z 0
		.amdhsa_system_sgpr_workgroup_info 0
		.amdhsa_system_vgpr_workitem_id 0
		.amdhsa_next_free_vgpr 1
		.amdhsa_next_free_sgpr 0
		.amdhsa_accum_offset 4
		.amdhsa_reserve_vcc 0
		.amdhsa_reserve_flat_scratch 0
		.amdhsa_float_round_mode_32 0
		.amdhsa_float_round_mode_16_64 0
		.amdhsa_float_denorm_mode_32 3
		.amdhsa_float_denorm_mode_16_64 3
		.amdhsa_dx10_clamp 1
		.amdhsa_ieee_mode 1
		.amdhsa_fp16_overflow 0
		.amdhsa_tg_split 0
		.amdhsa_exception_fp_ieee_invalid_op 0
		.amdhsa_exception_fp_denorm_src 0
		.amdhsa_exception_fp_ieee_div_zero 0
		.amdhsa_exception_fp_ieee_overflow 0
		.amdhsa_exception_fp_ieee_underflow 0
		.amdhsa_exception_fp_ieee_inexact 0
		.amdhsa_exception_int_div_zero 0
	.end_amdhsa_kernel
	.section	.text._ZN7rocprim17ROCPRIM_400000_NS6detail17trampoline_kernelINS0_14default_configENS1_20scan_config_selectorIxEEZZNS1_9scan_implILNS1_25lookback_scan_determinismE0ELb1ELb1ES3_N6thrust23THRUST_200600_302600_NS6detail15normal_iteratorINS9_10device_ptrIxEEEESE_xNS9_4plusIvEExEEDaPvRmT3_T4_T5_mT6_P12ihipStream_tbENKUlT_T0_E_clISt17integral_constantIbLb1EEST_IbLb0EEEEDaSP_SQ_EUlSP_E_NS1_11comp_targetILNS1_3genE10ELNS1_11target_archE1200ELNS1_3gpuE4ELNS1_3repE0EEENS1_30default_config_static_selectorELNS0_4arch9wavefront6targetE1EEEvT1_,"axG",@progbits,_ZN7rocprim17ROCPRIM_400000_NS6detail17trampoline_kernelINS0_14default_configENS1_20scan_config_selectorIxEEZZNS1_9scan_implILNS1_25lookback_scan_determinismE0ELb1ELb1ES3_N6thrust23THRUST_200600_302600_NS6detail15normal_iteratorINS9_10device_ptrIxEEEESE_xNS9_4plusIvEExEEDaPvRmT3_T4_T5_mT6_P12ihipStream_tbENKUlT_T0_E_clISt17integral_constantIbLb1EEST_IbLb0EEEEDaSP_SQ_EUlSP_E_NS1_11comp_targetILNS1_3genE10ELNS1_11target_archE1200ELNS1_3gpuE4ELNS1_3repE0EEENS1_30default_config_static_selectorELNS0_4arch9wavefront6targetE1EEEvT1_,comdat
.Lfunc_end168:
	.size	_ZN7rocprim17ROCPRIM_400000_NS6detail17trampoline_kernelINS0_14default_configENS1_20scan_config_selectorIxEEZZNS1_9scan_implILNS1_25lookback_scan_determinismE0ELb1ELb1ES3_N6thrust23THRUST_200600_302600_NS6detail15normal_iteratorINS9_10device_ptrIxEEEESE_xNS9_4plusIvEExEEDaPvRmT3_T4_T5_mT6_P12ihipStream_tbENKUlT_T0_E_clISt17integral_constantIbLb1EEST_IbLb0EEEEDaSP_SQ_EUlSP_E_NS1_11comp_targetILNS1_3genE10ELNS1_11target_archE1200ELNS1_3gpuE4ELNS1_3repE0EEENS1_30default_config_static_selectorELNS0_4arch9wavefront6targetE1EEEvT1_, .Lfunc_end168-_ZN7rocprim17ROCPRIM_400000_NS6detail17trampoline_kernelINS0_14default_configENS1_20scan_config_selectorIxEEZZNS1_9scan_implILNS1_25lookback_scan_determinismE0ELb1ELb1ES3_N6thrust23THRUST_200600_302600_NS6detail15normal_iteratorINS9_10device_ptrIxEEEESE_xNS9_4plusIvEExEEDaPvRmT3_T4_T5_mT6_P12ihipStream_tbENKUlT_T0_E_clISt17integral_constantIbLb1EEST_IbLb0EEEEDaSP_SQ_EUlSP_E_NS1_11comp_targetILNS1_3genE10ELNS1_11target_archE1200ELNS1_3gpuE4ELNS1_3repE0EEENS1_30default_config_static_selectorELNS0_4arch9wavefront6targetE1EEEvT1_
                                        ; -- End function
	.section	.AMDGPU.csdata,"",@progbits
; Kernel info:
; codeLenInByte = 0
; NumSgprs: 4
; NumVgprs: 0
; NumAgprs: 0
; TotalNumVgprs: 0
; ScratchSize: 0
; MemoryBound: 0
; FloatMode: 240
; IeeeMode: 1
; LDSByteSize: 0 bytes/workgroup (compile time only)
; SGPRBlocks: 0
; VGPRBlocks: 0
; NumSGPRsForWavesPerEU: 4
; NumVGPRsForWavesPerEU: 1
; AccumOffset: 4
; Occupancy: 8
; WaveLimiterHint : 0
; COMPUTE_PGM_RSRC2:SCRATCH_EN: 0
; COMPUTE_PGM_RSRC2:USER_SGPR: 6
; COMPUTE_PGM_RSRC2:TRAP_HANDLER: 0
; COMPUTE_PGM_RSRC2:TGID_X_EN: 1
; COMPUTE_PGM_RSRC2:TGID_Y_EN: 0
; COMPUTE_PGM_RSRC2:TGID_Z_EN: 0
; COMPUTE_PGM_RSRC2:TIDIG_COMP_CNT: 0
; COMPUTE_PGM_RSRC3_GFX90A:ACCUM_OFFSET: 0
; COMPUTE_PGM_RSRC3_GFX90A:TG_SPLIT: 0
	.section	.text._ZN7rocprim17ROCPRIM_400000_NS6detail17trampoline_kernelINS0_14default_configENS1_20scan_config_selectorIxEEZZNS1_9scan_implILNS1_25lookback_scan_determinismE0ELb1ELb1ES3_N6thrust23THRUST_200600_302600_NS6detail15normal_iteratorINS9_10device_ptrIxEEEESE_xNS9_4plusIvEExEEDaPvRmT3_T4_T5_mT6_P12ihipStream_tbENKUlT_T0_E_clISt17integral_constantIbLb1EEST_IbLb0EEEEDaSP_SQ_EUlSP_E_NS1_11comp_targetILNS1_3genE9ELNS1_11target_archE1100ELNS1_3gpuE3ELNS1_3repE0EEENS1_30default_config_static_selectorELNS0_4arch9wavefront6targetE1EEEvT1_,"axG",@progbits,_ZN7rocprim17ROCPRIM_400000_NS6detail17trampoline_kernelINS0_14default_configENS1_20scan_config_selectorIxEEZZNS1_9scan_implILNS1_25lookback_scan_determinismE0ELb1ELb1ES3_N6thrust23THRUST_200600_302600_NS6detail15normal_iteratorINS9_10device_ptrIxEEEESE_xNS9_4plusIvEExEEDaPvRmT3_T4_T5_mT6_P12ihipStream_tbENKUlT_T0_E_clISt17integral_constantIbLb1EEST_IbLb0EEEEDaSP_SQ_EUlSP_E_NS1_11comp_targetILNS1_3genE9ELNS1_11target_archE1100ELNS1_3gpuE3ELNS1_3repE0EEENS1_30default_config_static_selectorELNS0_4arch9wavefront6targetE1EEEvT1_,comdat
	.protected	_ZN7rocprim17ROCPRIM_400000_NS6detail17trampoline_kernelINS0_14default_configENS1_20scan_config_selectorIxEEZZNS1_9scan_implILNS1_25lookback_scan_determinismE0ELb1ELb1ES3_N6thrust23THRUST_200600_302600_NS6detail15normal_iteratorINS9_10device_ptrIxEEEESE_xNS9_4plusIvEExEEDaPvRmT3_T4_T5_mT6_P12ihipStream_tbENKUlT_T0_E_clISt17integral_constantIbLb1EEST_IbLb0EEEEDaSP_SQ_EUlSP_E_NS1_11comp_targetILNS1_3genE9ELNS1_11target_archE1100ELNS1_3gpuE3ELNS1_3repE0EEENS1_30default_config_static_selectorELNS0_4arch9wavefront6targetE1EEEvT1_ ; -- Begin function _ZN7rocprim17ROCPRIM_400000_NS6detail17trampoline_kernelINS0_14default_configENS1_20scan_config_selectorIxEEZZNS1_9scan_implILNS1_25lookback_scan_determinismE0ELb1ELb1ES3_N6thrust23THRUST_200600_302600_NS6detail15normal_iteratorINS9_10device_ptrIxEEEESE_xNS9_4plusIvEExEEDaPvRmT3_T4_T5_mT6_P12ihipStream_tbENKUlT_T0_E_clISt17integral_constantIbLb1EEST_IbLb0EEEEDaSP_SQ_EUlSP_E_NS1_11comp_targetILNS1_3genE9ELNS1_11target_archE1100ELNS1_3gpuE3ELNS1_3repE0EEENS1_30default_config_static_selectorELNS0_4arch9wavefront6targetE1EEEvT1_
	.globl	_ZN7rocprim17ROCPRIM_400000_NS6detail17trampoline_kernelINS0_14default_configENS1_20scan_config_selectorIxEEZZNS1_9scan_implILNS1_25lookback_scan_determinismE0ELb1ELb1ES3_N6thrust23THRUST_200600_302600_NS6detail15normal_iteratorINS9_10device_ptrIxEEEESE_xNS9_4plusIvEExEEDaPvRmT3_T4_T5_mT6_P12ihipStream_tbENKUlT_T0_E_clISt17integral_constantIbLb1EEST_IbLb0EEEEDaSP_SQ_EUlSP_E_NS1_11comp_targetILNS1_3genE9ELNS1_11target_archE1100ELNS1_3gpuE3ELNS1_3repE0EEENS1_30default_config_static_selectorELNS0_4arch9wavefront6targetE1EEEvT1_
	.p2align	8
	.type	_ZN7rocprim17ROCPRIM_400000_NS6detail17trampoline_kernelINS0_14default_configENS1_20scan_config_selectorIxEEZZNS1_9scan_implILNS1_25lookback_scan_determinismE0ELb1ELb1ES3_N6thrust23THRUST_200600_302600_NS6detail15normal_iteratorINS9_10device_ptrIxEEEESE_xNS9_4plusIvEExEEDaPvRmT3_T4_T5_mT6_P12ihipStream_tbENKUlT_T0_E_clISt17integral_constantIbLb1EEST_IbLb0EEEEDaSP_SQ_EUlSP_E_NS1_11comp_targetILNS1_3genE9ELNS1_11target_archE1100ELNS1_3gpuE3ELNS1_3repE0EEENS1_30default_config_static_selectorELNS0_4arch9wavefront6targetE1EEEvT1_,@function
_ZN7rocprim17ROCPRIM_400000_NS6detail17trampoline_kernelINS0_14default_configENS1_20scan_config_selectorIxEEZZNS1_9scan_implILNS1_25lookback_scan_determinismE0ELb1ELb1ES3_N6thrust23THRUST_200600_302600_NS6detail15normal_iteratorINS9_10device_ptrIxEEEESE_xNS9_4plusIvEExEEDaPvRmT3_T4_T5_mT6_P12ihipStream_tbENKUlT_T0_E_clISt17integral_constantIbLb1EEST_IbLb0EEEEDaSP_SQ_EUlSP_E_NS1_11comp_targetILNS1_3genE9ELNS1_11target_archE1100ELNS1_3gpuE3ELNS1_3repE0EEENS1_30default_config_static_selectorELNS0_4arch9wavefront6targetE1EEEvT1_: ; @_ZN7rocprim17ROCPRIM_400000_NS6detail17trampoline_kernelINS0_14default_configENS1_20scan_config_selectorIxEEZZNS1_9scan_implILNS1_25lookback_scan_determinismE0ELb1ELb1ES3_N6thrust23THRUST_200600_302600_NS6detail15normal_iteratorINS9_10device_ptrIxEEEESE_xNS9_4plusIvEExEEDaPvRmT3_T4_T5_mT6_P12ihipStream_tbENKUlT_T0_E_clISt17integral_constantIbLb1EEST_IbLb0EEEEDaSP_SQ_EUlSP_E_NS1_11comp_targetILNS1_3genE9ELNS1_11target_archE1100ELNS1_3gpuE3ELNS1_3repE0EEENS1_30default_config_static_selectorELNS0_4arch9wavefront6targetE1EEEvT1_
; %bb.0:
	.section	.rodata,"a",@progbits
	.p2align	6, 0x0
	.amdhsa_kernel _ZN7rocprim17ROCPRIM_400000_NS6detail17trampoline_kernelINS0_14default_configENS1_20scan_config_selectorIxEEZZNS1_9scan_implILNS1_25lookback_scan_determinismE0ELb1ELb1ES3_N6thrust23THRUST_200600_302600_NS6detail15normal_iteratorINS9_10device_ptrIxEEEESE_xNS9_4plusIvEExEEDaPvRmT3_T4_T5_mT6_P12ihipStream_tbENKUlT_T0_E_clISt17integral_constantIbLb1EEST_IbLb0EEEEDaSP_SQ_EUlSP_E_NS1_11comp_targetILNS1_3genE9ELNS1_11target_archE1100ELNS1_3gpuE3ELNS1_3repE0EEENS1_30default_config_static_selectorELNS0_4arch9wavefront6targetE1EEEvT1_
		.amdhsa_group_segment_fixed_size 0
		.amdhsa_private_segment_fixed_size 0
		.amdhsa_kernarg_size 104
		.amdhsa_user_sgpr_count 6
		.amdhsa_user_sgpr_private_segment_buffer 1
		.amdhsa_user_sgpr_dispatch_ptr 0
		.amdhsa_user_sgpr_queue_ptr 0
		.amdhsa_user_sgpr_kernarg_segment_ptr 1
		.amdhsa_user_sgpr_dispatch_id 0
		.amdhsa_user_sgpr_flat_scratch_init 0
		.amdhsa_user_sgpr_kernarg_preload_length 0
		.amdhsa_user_sgpr_kernarg_preload_offset 0
		.amdhsa_user_sgpr_private_segment_size 0
		.amdhsa_uses_dynamic_stack 0
		.amdhsa_system_sgpr_private_segment_wavefront_offset 0
		.amdhsa_system_sgpr_workgroup_id_x 1
		.amdhsa_system_sgpr_workgroup_id_y 0
		.amdhsa_system_sgpr_workgroup_id_z 0
		.amdhsa_system_sgpr_workgroup_info 0
		.amdhsa_system_vgpr_workitem_id 0
		.amdhsa_next_free_vgpr 1
		.amdhsa_next_free_sgpr 0
		.amdhsa_accum_offset 4
		.amdhsa_reserve_vcc 0
		.amdhsa_reserve_flat_scratch 0
		.amdhsa_float_round_mode_32 0
		.amdhsa_float_round_mode_16_64 0
		.amdhsa_float_denorm_mode_32 3
		.amdhsa_float_denorm_mode_16_64 3
		.amdhsa_dx10_clamp 1
		.amdhsa_ieee_mode 1
		.amdhsa_fp16_overflow 0
		.amdhsa_tg_split 0
		.amdhsa_exception_fp_ieee_invalid_op 0
		.amdhsa_exception_fp_denorm_src 0
		.amdhsa_exception_fp_ieee_div_zero 0
		.amdhsa_exception_fp_ieee_overflow 0
		.amdhsa_exception_fp_ieee_underflow 0
		.amdhsa_exception_fp_ieee_inexact 0
		.amdhsa_exception_int_div_zero 0
	.end_amdhsa_kernel
	.section	.text._ZN7rocprim17ROCPRIM_400000_NS6detail17trampoline_kernelINS0_14default_configENS1_20scan_config_selectorIxEEZZNS1_9scan_implILNS1_25lookback_scan_determinismE0ELb1ELb1ES3_N6thrust23THRUST_200600_302600_NS6detail15normal_iteratorINS9_10device_ptrIxEEEESE_xNS9_4plusIvEExEEDaPvRmT3_T4_T5_mT6_P12ihipStream_tbENKUlT_T0_E_clISt17integral_constantIbLb1EEST_IbLb0EEEEDaSP_SQ_EUlSP_E_NS1_11comp_targetILNS1_3genE9ELNS1_11target_archE1100ELNS1_3gpuE3ELNS1_3repE0EEENS1_30default_config_static_selectorELNS0_4arch9wavefront6targetE1EEEvT1_,"axG",@progbits,_ZN7rocprim17ROCPRIM_400000_NS6detail17trampoline_kernelINS0_14default_configENS1_20scan_config_selectorIxEEZZNS1_9scan_implILNS1_25lookback_scan_determinismE0ELb1ELb1ES3_N6thrust23THRUST_200600_302600_NS6detail15normal_iteratorINS9_10device_ptrIxEEEESE_xNS9_4plusIvEExEEDaPvRmT3_T4_T5_mT6_P12ihipStream_tbENKUlT_T0_E_clISt17integral_constantIbLb1EEST_IbLb0EEEEDaSP_SQ_EUlSP_E_NS1_11comp_targetILNS1_3genE9ELNS1_11target_archE1100ELNS1_3gpuE3ELNS1_3repE0EEENS1_30default_config_static_selectorELNS0_4arch9wavefront6targetE1EEEvT1_,comdat
.Lfunc_end169:
	.size	_ZN7rocprim17ROCPRIM_400000_NS6detail17trampoline_kernelINS0_14default_configENS1_20scan_config_selectorIxEEZZNS1_9scan_implILNS1_25lookback_scan_determinismE0ELb1ELb1ES3_N6thrust23THRUST_200600_302600_NS6detail15normal_iteratorINS9_10device_ptrIxEEEESE_xNS9_4plusIvEExEEDaPvRmT3_T4_T5_mT6_P12ihipStream_tbENKUlT_T0_E_clISt17integral_constantIbLb1EEST_IbLb0EEEEDaSP_SQ_EUlSP_E_NS1_11comp_targetILNS1_3genE9ELNS1_11target_archE1100ELNS1_3gpuE3ELNS1_3repE0EEENS1_30default_config_static_selectorELNS0_4arch9wavefront6targetE1EEEvT1_, .Lfunc_end169-_ZN7rocprim17ROCPRIM_400000_NS6detail17trampoline_kernelINS0_14default_configENS1_20scan_config_selectorIxEEZZNS1_9scan_implILNS1_25lookback_scan_determinismE0ELb1ELb1ES3_N6thrust23THRUST_200600_302600_NS6detail15normal_iteratorINS9_10device_ptrIxEEEESE_xNS9_4plusIvEExEEDaPvRmT3_T4_T5_mT6_P12ihipStream_tbENKUlT_T0_E_clISt17integral_constantIbLb1EEST_IbLb0EEEEDaSP_SQ_EUlSP_E_NS1_11comp_targetILNS1_3genE9ELNS1_11target_archE1100ELNS1_3gpuE3ELNS1_3repE0EEENS1_30default_config_static_selectorELNS0_4arch9wavefront6targetE1EEEvT1_
                                        ; -- End function
	.section	.AMDGPU.csdata,"",@progbits
; Kernel info:
; codeLenInByte = 0
; NumSgprs: 4
; NumVgprs: 0
; NumAgprs: 0
; TotalNumVgprs: 0
; ScratchSize: 0
; MemoryBound: 0
; FloatMode: 240
; IeeeMode: 1
; LDSByteSize: 0 bytes/workgroup (compile time only)
; SGPRBlocks: 0
; VGPRBlocks: 0
; NumSGPRsForWavesPerEU: 4
; NumVGPRsForWavesPerEU: 1
; AccumOffset: 4
; Occupancy: 8
; WaveLimiterHint : 0
; COMPUTE_PGM_RSRC2:SCRATCH_EN: 0
; COMPUTE_PGM_RSRC2:USER_SGPR: 6
; COMPUTE_PGM_RSRC2:TRAP_HANDLER: 0
; COMPUTE_PGM_RSRC2:TGID_X_EN: 1
; COMPUTE_PGM_RSRC2:TGID_Y_EN: 0
; COMPUTE_PGM_RSRC2:TGID_Z_EN: 0
; COMPUTE_PGM_RSRC2:TIDIG_COMP_CNT: 0
; COMPUTE_PGM_RSRC3_GFX90A:ACCUM_OFFSET: 0
; COMPUTE_PGM_RSRC3_GFX90A:TG_SPLIT: 0
	.section	.text._ZN7rocprim17ROCPRIM_400000_NS6detail17trampoline_kernelINS0_14default_configENS1_20scan_config_selectorIxEEZZNS1_9scan_implILNS1_25lookback_scan_determinismE0ELb1ELb1ES3_N6thrust23THRUST_200600_302600_NS6detail15normal_iteratorINS9_10device_ptrIxEEEESE_xNS9_4plusIvEExEEDaPvRmT3_T4_T5_mT6_P12ihipStream_tbENKUlT_T0_E_clISt17integral_constantIbLb1EEST_IbLb0EEEEDaSP_SQ_EUlSP_E_NS1_11comp_targetILNS1_3genE8ELNS1_11target_archE1030ELNS1_3gpuE2ELNS1_3repE0EEENS1_30default_config_static_selectorELNS0_4arch9wavefront6targetE1EEEvT1_,"axG",@progbits,_ZN7rocprim17ROCPRIM_400000_NS6detail17trampoline_kernelINS0_14default_configENS1_20scan_config_selectorIxEEZZNS1_9scan_implILNS1_25lookback_scan_determinismE0ELb1ELb1ES3_N6thrust23THRUST_200600_302600_NS6detail15normal_iteratorINS9_10device_ptrIxEEEESE_xNS9_4plusIvEExEEDaPvRmT3_T4_T5_mT6_P12ihipStream_tbENKUlT_T0_E_clISt17integral_constantIbLb1EEST_IbLb0EEEEDaSP_SQ_EUlSP_E_NS1_11comp_targetILNS1_3genE8ELNS1_11target_archE1030ELNS1_3gpuE2ELNS1_3repE0EEENS1_30default_config_static_selectorELNS0_4arch9wavefront6targetE1EEEvT1_,comdat
	.protected	_ZN7rocprim17ROCPRIM_400000_NS6detail17trampoline_kernelINS0_14default_configENS1_20scan_config_selectorIxEEZZNS1_9scan_implILNS1_25lookback_scan_determinismE0ELb1ELb1ES3_N6thrust23THRUST_200600_302600_NS6detail15normal_iteratorINS9_10device_ptrIxEEEESE_xNS9_4plusIvEExEEDaPvRmT3_T4_T5_mT6_P12ihipStream_tbENKUlT_T0_E_clISt17integral_constantIbLb1EEST_IbLb0EEEEDaSP_SQ_EUlSP_E_NS1_11comp_targetILNS1_3genE8ELNS1_11target_archE1030ELNS1_3gpuE2ELNS1_3repE0EEENS1_30default_config_static_selectorELNS0_4arch9wavefront6targetE1EEEvT1_ ; -- Begin function _ZN7rocprim17ROCPRIM_400000_NS6detail17trampoline_kernelINS0_14default_configENS1_20scan_config_selectorIxEEZZNS1_9scan_implILNS1_25lookback_scan_determinismE0ELb1ELb1ES3_N6thrust23THRUST_200600_302600_NS6detail15normal_iteratorINS9_10device_ptrIxEEEESE_xNS9_4plusIvEExEEDaPvRmT3_T4_T5_mT6_P12ihipStream_tbENKUlT_T0_E_clISt17integral_constantIbLb1EEST_IbLb0EEEEDaSP_SQ_EUlSP_E_NS1_11comp_targetILNS1_3genE8ELNS1_11target_archE1030ELNS1_3gpuE2ELNS1_3repE0EEENS1_30default_config_static_selectorELNS0_4arch9wavefront6targetE1EEEvT1_
	.globl	_ZN7rocprim17ROCPRIM_400000_NS6detail17trampoline_kernelINS0_14default_configENS1_20scan_config_selectorIxEEZZNS1_9scan_implILNS1_25lookback_scan_determinismE0ELb1ELb1ES3_N6thrust23THRUST_200600_302600_NS6detail15normal_iteratorINS9_10device_ptrIxEEEESE_xNS9_4plusIvEExEEDaPvRmT3_T4_T5_mT6_P12ihipStream_tbENKUlT_T0_E_clISt17integral_constantIbLb1EEST_IbLb0EEEEDaSP_SQ_EUlSP_E_NS1_11comp_targetILNS1_3genE8ELNS1_11target_archE1030ELNS1_3gpuE2ELNS1_3repE0EEENS1_30default_config_static_selectorELNS0_4arch9wavefront6targetE1EEEvT1_
	.p2align	8
	.type	_ZN7rocprim17ROCPRIM_400000_NS6detail17trampoline_kernelINS0_14default_configENS1_20scan_config_selectorIxEEZZNS1_9scan_implILNS1_25lookback_scan_determinismE0ELb1ELb1ES3_N6thrust23THRUST_200600_302600_NS6detail15normal_iteratorINS9_10device_ptrIxEEEESE_xNS9_4plusIvEExEEDaPvRmT3_T4_T5_mT6_P12ihipStream_tbENKUlT_T0_E_clISt17integral_constantIbLb1EEST_IbLb0EEEEDaSP_SQ_EUlSP_E_NS1_11comp_targetILNS1_3genE8ELNS1_11target_archE1030ELNS1_3gpuE2ELNS1_3repE0EEENS1_30default_config_static_selectorELNS0_4arch9wavefront6targetE1EEEvT1_,@function
_ZN7rocprim17ROCPRIM_400000_NS6detail17trampoline_kernelINS0_14default_configENS1_20scan_config_selectorIxEEZZNS1_9scan_implILNS1_25lookback_scan_determinismE0ELb1ELb1ES3_N6thrust23THRUST_200600_302600_NS6detail15normal_iteratorINS9_10device_ptrIxEEEESE_xNS9_4plusIvEExEEDaPvRmT3_T4_T5_mT6_P12ihipStream_tbENKUlT_T0_E_clISt17integral_constantIbLb1EEST_IbLb0EEEEDaSP_SQ_EUlSP_E_NS1_11comp_targetILNS1_3genE8ELNS1_11target_archE1030ELNS1_3gpuE2ELNS1_3repE0EEENS1_30default_config_static_selectorELNS0_4arch9wavefront6targetE1EEEvT1_: ; @_ZN7rocprim17ROCPRIM_400000_NS6detail17trampoline_kernelINS0_14default_configENS1_20scan_config_selectorIxEEZZNS1_9scan_implILNS1_25lookback_scan_determinismE0ELb1ELb1ES3_N6thrust23THRUST_200600_302600_NS6detail15normal_iteratorINS9_10device_ptrIxEEEESE_xNS9_4plusIvEExEEDaPvRmT3_T4_T5_mT6_P12ihipStream_tbENKUlT_T0_E_clISt17integral_constantIbLb1EEST_IbLb0EEEEDaSP_SQ_EUlSP_E_NS1_11comp_targetILNS1_3genE8ELNS1_11target_archE1030ELNS1_3gpuE2ELNS1_3repE0EEENS1_30default_config_static_selectorELNS0_4arch9wavefront6targetE1EEEvT1_
; %bb.0:
	.section	.rodata,"a",@progbits
	.p2align	6, 0x0
	.amdhsa_kernel _ZN7rocprim17ROCPRIM_400000_NS6detail17trampoline_kernelINS0_14default_configENS1_20scan_config_selectorIxEEZZNS1_9scan_implILNS1_25lookback_scan_determinismE0ELb1ELb1ES3_N6thrust23THRUST_200600_302600_NS6detail15normal_iteratorINS9_10device_ptrIxEEEESE_xNS9_4plusIvEExEEDaPvRmT3_T4_T5_mT6_P12ihipStream_tbENKUlT_T0_E_clISt17integral_constantIbLb1EEST_IbLb0EEEEDaSP_SQ_EUlSP_E_NS1_11comp_targetILNS1_3genE8ELNS1_11target_archE1030ELNS1_3gpuE2ELNS1_3repE0EEENS1_30default_config_static_selectorELNS0_4arch9wavefront6targetE1EEEvT1_
		.amdhsa_group_segment_fixed_size 0
		.amdhsa_private_segment_fixed_size 0
		.amdhsa_kernarg_size 104
		.amdhsa_user_sgpr_count 6
		.amdhsa_user_sgpr_private_segment_buffer 1
		.amdhsa_user_sgpr_dispatch_ptr 0
		.amdhsa_user_sgpr_queue_ptr 0
		.amdhsa_user_sgpr_kernarg_segment_ptr 1
		.amdhsa_user_sgpr_dispatch_id 0
		.amdhsa_user_sgpr_flat_scratch_init 0
		.amdhsa_user_sgpr_kernarg_preload_length 0
		.amdhsa_user_sgpr_kernarg_preload_offset 0
		.amdhsa_user_sgpr_private_segment_size 0
		.amdhsa_uses_dynamic_stack 0
		.amdhsa_system_sgpr_private_segment_wavefront_offset 0
		.amdhsa_system_sgpr_workgroup_id_x 1
		.amdhsa_system_sgpr_workgroup_id_y 0
		.amdhsa_system_sgpr_workgroup_id_z 0
		.amdhsa_system_sgpr_workgroup_info 0
		.amdhsa_system_vgpr_workitem_id 0
		.amdhsa_next_free_vgpr 1
		.amdhsa_next_free_sgpr 0
		.amdhsa_accum_offset 4
		.amdhsa_reserve_vcc 0
		.amdhsa_reserve_flat_scratch 0
		.amdhsa_float_round_mode_32 0
		.amdhsa_float_round_mode_16_64 0
		.amdhsa_float_denorm_mode_32 3
		.amdhsa_float_denorm_mode_16_64 3
		.amdhsa_dx10_clamp 1
		.amdhsa_ieee_mode 1
		.amdhsa_fp16_overflow 0
		.amdhsa_tg_split 0
		.amdhsa_exception_fp_ieee_invalid_op 0
		.amdhsa_exception_fp_denorm_src 0
		.amdhsa_exception_fp_ieee_div_zero 0
		.amdhsa_exception_fp_ieee_overflow 0
		.amdhsa_exception_fp_ieee_underflow 0
		.amdhsa_exception_fp_ieee_inexact 0
		.amdhsa_exception_int_div_zero 0
	.end_amdhsa_kernel
	.section	.text._ZN7rocprim17ROCPRIM_400000_NS6detail17trampoline_kernelINS0_14default_configENS1_20scan_config_selectorIxEEZZNS1_9scan_implILNS1_25lookback_scan_determinismE0ELb1ELb1ES3_N6thrust23THRUST_200600_302600_NS6detail15normal_iteratorINS9_10device_ptrIxEEEESE_xNS9_4plusIvEExEEDaPvRmT3_T4_T5_mT6_P12ihipStream_tbENKUlT_T0_E_clISt17integral_constantIbLb1EEST_IbLb0EEEEDaSP_SQ_EUlSP_E_NS1_11comp_targetILNS1_3genE8ELNS1_11target_archE1030ELNS1_3gpuE2ELNS1_3repE0EEENS1_30default_config_static_selectorELNS0_4arch9wavefront6targetE1EEEvT1_,"axG",@progbits,_ZN7rocprim17ROCPRIM_400000_NS6detail17trampoline_kernelINS0_14default_configENS1_20scan_config_selectorIxEEZZNS1_9scan_implILNS1_25lookback_scan_determinismE0ELb1ELb1ES3_N6thrust23THRUST_200600_302600_NS6detail15normal_iteratorINS9_10device_ptrIxEEEESE_xNS9_4plusIvEExEEDaPvRmT3_T4_T5_mT6_P12ihipStream_tbENKUlT_T0_E_clISt17integral_constantIbLb1EEST_IbLb0EEEEDaSP_SQ_EUlSP_E_NS1_11comp_targetILNS1_3genE8ELNS1_11target_archE1030ELNS1_3gpuE2ELNS1_3repE0EEENS1_30default_config_static_selectorELNS0_4arch9wavefront6targetE1EEEvT1_,comdat
.Lfunc_end170:
	.size	_ZN7rocprim17ROCPRIM_400000_NS6detail17trampoline_kernelINS0_14default_configENS1_20scan_config_selectorIxEEZZNS1_9scan_implILNS1_25lookback_scan_determinismE0ELb1ELb1ES3_N6thrust23THRUST_200600_302600_NS6detail15normal_iteratorINS9_10device_ptrIxEEEESE_xNS9_4plusIvEExEEDaPvRmT3_T4_T5_mT6_P12ihipStream_tbENKUlT_T0_E_clISt17integral_constantIbLb1EEST_IbLb0EEEEDaSP_SQ_EUlSP_E_NS1_11comp_targetILNS1_3genE8ELNS1_11target_archE1030ELNS1_3gpuE2ELNS1_3repE0EEENS1_30default_config_static_selectorELNS0_4arch9wavefront6targetE1EEEvT1_, .Lfunc_end170-_ZN7rocprim17ROCPRIM_400000_NS6detail17trampoline_kernelINS0_14default_configENS1_20scan_config_selectorIxEEZZNS1_9scan_implILNS1_25lookback_scan_determinismE0ELb1ELb1ES3_N6thrust23THRUST_200600_302600_NS6detail15normal_iteratorINS9_10device_ptrIxEEEESE_xNS9_4plusIvEExEEDaPvRmT3_T4_T5_mT6_P12ihipStream_tbENKUlT_T0_E_clISt17integral_constantIbLb1EEST_IbLb0EEEEDaSP_SQ_EUlSP_E_NS1_11comp_targetILNS1_3genE8ELNS1_11target_archE1030ELNS1_3gpuE2ELNS1_3repE0EEENS1_30default_config_static_selectorELNS0_4arch9wavefront6targetE1EEEvT1_
                                        ; -- End function
	.section	.AMDGPU.csdata,"",@progbits
; Kernel info:
; codeLenInByte = 0
; NumSgprs: 4
; NumVgprs: 0
; NumAgprs: 0
; TotalNumVgprs: 0
; ScratchSize: 0
; MemoryBound: 0
; FloatMode: 240
; IeeeMode: 1
; LDSByteSize: 0 bytes/workgroup (compile time only)
; SGPRBlocks: 0
; VGPRBlocks: 0
; NumSGPRsForWavesPerEU: 4
; NumVGPRsForWavesPerEU: 1
; AccumOffset: 4
; Occupancy: 8
; WaveLimiterHint : 0
; COMPUTE_PGM_RSRC2:SCRATCH_EN: 0
; COMPUTE_PGM_RSRC2:USER_SGPR: 6
; COMPUTE_PGM_RSRC2:TRAP_HANDLER: 0
; COMPUTE_PGM_RSRC2:TGID_X_EN: 1
; COMPUTE_PGM_RSRC2:TGID_Y_EN: 0
; COMPUTE_PGM_RSRC2:TGID_Z_EN: 0
; COMPUTE_PGM_RSRC2:TIDIG_COMP_CNT: 0
; COMPUTE_PGM_RSRC3_GFX90A:ACCUM_OFFSET: 0
; COMPUTE_PGM_RSRC3_GFX90A:TG_SPLIT: 0
	.section	.text._ZN7rocprim17ROCPRIM_400000_NS6detail17trampoline_kernelINS0_14default_configENS1_20scan_config_selectorIxEEZZNS1_9scan_implILNS1_25lookback_scan_determinismE0ELb1ELb1ES3_N6thrust23THRUST_200600_302600_NS6detail15normal_iteratorINS9_10device_ptrIxEEEESE_xNS9_4plusIvEExEEDaPvRmT3_T4_T5_mT6_P12ihipStream_tbENKUlT_T0_E_clISt17integral_constantIbLb1EEST_IbLb0EEEEDaSP_SQ_EUlSP_E0_NS1_11comp_targetILNS1_3genE0ELNS1_11target_archE4294967295ELNS1_3gpuE0ELNS1_3repE0EEENS1_30default_config_static_selectorELNS0_4arch9wavefront6targetE1EEEvT1_,"axG",@progbits,_ZN7rocprim17ROCPRIM_400000_NS6detail17trampoline_kernelINS0_14default_configENS1_20scan_config_selectorIxEEZZNS1_9scan_implILNS1_25lookback_scan_determinismE0ELb1ELb1ES3_N6thrust23THRUST_200600_302600_NS6detail15normal_iteratorINS9_10device_ptrIxEEEESE_xNS9_4plusIvEExEEDaPvRmT3_T4_T5_mT6_P12ihipStream_tbENKUlT_T0_E_clISt17integral_constantIbLb1EEST_IbLb0EEEEDaSP_SQ_EUlSP_E0_NS1_11comp_targetILNS1_3genE0ELNS1_11target_archE4294967295ELNS1_3gpuE0ELNS1_3repE0EEENS1_30default_config_static_selectorELNS0_4arch9wavefront6targetE1EEEvT1_,comdat
	.protected	_ZN7rocprim17ROCPRIM_400000_NS6detail17trampoline_kernelINS0_14default_configENS1_20scan_config_selectorIxEEZZNS1_9scan_implILNS1_25lookback_scan_determinismE0ELb1ELb1ES3_N6thrust23THRUST_200600_302600_NS6detail15normal_iteratorINS9_10device_ptrIxEEEESE_xNS9_4plusIvEExEEDaPvRmT3_T4_T5_mT6_P12ihipStream_tbENKUlT_T0_E_clISt17integral_constantIbLb1EEST_IbLb0EEEEDaSP_SQ_EUlSP_E0_NS1_11comp_targetILNS1_3genE0ELNS1_11target_archE4294967295ELNS1_3gpuE0ELNS1_3repE0EEENS1_30default_config_static_selectorELNS0_4arch9wavefront6targetE1EEEvT1_ ; -- Begin function _ZN7rocprim17ROCPRIM_400000_NS6detail17trampoline_kernelINS0_14default_configENS1_20scan_config_selectorIxEEZZNS1_9scan_implILNS1_25lookback_scan_determinismE0ELb1ELb1ES3_N6thrust23THRUST_200600_302600_NS6detail15normal_iteratorINS9_10device_ptrIxEEEESE_xNS9_4plusIvEExEEDaPvRmT3_T4_T5_mT6_P12ihipStream_tbENKUlT_T0_E_clISt17integral_constantIbLb1EEST_IbLb0EEEEDaSP_SQ_EUlSP_E0_NS1_11comp_targetILNS1_3genE0ELNS1_11target_archE4294967295ELNS1_3gpuE0ELNS1_3repE0EEENS1_30default_config_static_selectorELNS0_4arch9wavefront6targetE1EEEvT1_
	.globl	_ZN7rocprim17ROCPRIM_400000_NS6detail17trampoline_kernelINS0_14default_configENS1_20scan_config_selectorIxEEZZNS1_9scan_implILNS1_25lookback_scan_determinismE0ELb1ELb1ES3_N6thrust23THRUST_200600_302600_NS6detail15normal_iteratorINS9_10device_ptrIxEEEESE_xNS9_4plusIvEExEEDaPvRmT3_T4_T5_mT6_P12ihipStream_tbENKUlT_T0_E_clISt17integral_constantIbLb1EEST_IbLb0EEEEDaSP_SQ_EUlSP_E0_NS1_11comp_targetILNS1_3genE0ELNS1_11target_archE4294967295ELNS1_3gpuE0ELNS1_3repE0EEENS1_30default_config_static_selectorELNS0_4arch9wavefront6targetE1EEEvT1_
	.p2align	8
	.type	_ZN7rocprim17ROCPRIM_400000_NS6detail17trampoline_kernelINS0_14default_configENS1_20scan_config_selectorIxEEZZNS1_9scan_implILNS1_25lookback_scan_determinismE0ELb1ELb1ES3_N6thrust23THRUST_200600_302600_NS6detail15normal_iteratorINS9_10device_ptrIxEEEESE_xNS9_4plusIvEExEEDaPvRmT3_T4_T5_mT6_P12ihipStream_tbENKUlT_T0_E_clISt17integral_constantIbLb1EEST_IbLb0EEEEDaSP_SQ_EUlSP_E0_NS1_11comp_targetILNS1_3genE0ELNS1_11target_archE4294967295ELNS1_3gpuE0ELNS1_3repE0EEENS1_30default_config_static_selectorELNS0_4arch9wavefront6targetE1EEEvT1_,@function
_ZN7rocprim17ROCPRIM_400000_NS6detail17trampoline_kernelINS0_14default_configENS1_20scan_config_selectorIxEEZZNS1_9scan_implILNS1_25lookback_scan_determinismE0ELb1ELb1ES3_N6thrust23THRUST_200600_302600_NS6detail15normal_iteratorINS9_10device_ptrIxEEEESE_xNS9_4plusIvEExEEDaPvRmT3_T4_T5_mT6_P12ihipStream_tbENKUlT_T0_E_clISt17integral_constantIbLb1EEST_IbLb0EEEEDaSP_SQ_EUlSP_E0_NS1_11comp_targetILNS1_3genE0ELNS1_11target_archE4294967295ELNS1_3gpuE0ELNS1_3repE0EEENS1_30default_config_static_selectorELNS0_4arch9wavefront6targetE1EEEvT1_: ; @_ZN7rocprim17ROCPRIM_400000_NS6detail17trampoline_kernelINS0_14default_configENS1_20scan_config_selectorIxEEZZNS1_9scan_implILNS1_25lookback_scan_determinismE0ELb1ELb1ES3_N6thrust23THRUST_200600_302600_NS6detail15normal_iteratorINS9_10device_ptrIxEEEESE_xNS9_4plusIvEExEEDaPvRmT3_T4_T5_mT6_P12ihipStream_tbENKUlT_T0_E_clISt17integral_constantIbLb1EEST_IbLb0EEEEDaSP_SQ_EUlSP_E0_NS1_11comp_targetILNS1_3genE0ELNS1_11target_archE4294967295ELNS1_3gpuE0ELNS1_3repE0EEENS1_30default_config_static_selectorELNS0_4arch9wavefront6targetE1EEEvT1_
; %bb.0:
	.section	.rodata,"a",@progbits
	.p2align	6, 0x0
	.amdhsa_kernel _ZN7rocprim17ROCPRIM_400000_NS6detail17trampoline_kernelINS0_14default_configENS1_20scan_config_selectorIxEEZZNS1_9scan_implILNS1_25lookback_scan_determinismE0ELb1ELb1ES3_N6thrust23THRUST_200600_302600_NS6detail15normal_iteratorINS9_10device_ptrIxEEEESE_xNS9_4plusIvEExEEDaPvRmT3_T4_T5_mT6_P12ihipStream_tbENKUlT_T0_E_clISt17integral_constantIbLb1EEST_IbLb0EEEEDaSP_SQ_EUlSP_E0_NS1_11comp_targetILNS1_3genE0ELNS1_11target_archE4294967295ELNS1_3gpuE0ELNS1_3repE0EEENS1_30default_config_static_selectorELNS0_4arch9wavefront6targetE1EEEvT1_
		.amdhsa_group_segment_fixed_size 0
		.amdhsa_private_segment_fixed_size 0
		.amdhsa_kernarg_size 40
		.amdhsa_user_sgpr_count 6
		.amdhsa_user_sgpr_private_segment_buffer 1
		.amdhsa_user_sgpr_dispatch_ptr 0
		.amdhsa_user_sgpr_queue_ptr 0
		.amdhsa_user_sgpr_kernarg_segment_ptr 1
		.amdhsa_user_sgpr_dispatch_id 0
		.amdhsa_user_sgpr_flat_scratch_init 0
		.amdhsa_user_sgpr_kernarg_preload_length 0
		.amdhsa_user_sgpr_kernarg_preload_offset 0
		.amdhsa_user_sgpr_private_segment_size 0
		.amdhsa_uses_dynamic_stack 0
		.amdhsa_system_sgpr_private_segment_wavefront_offset 0
		.amdhsa_system_sgpr_workgroup_id_x 1
		.amdhsa_system_sgpr_workgroup_id_y 0
		.amdhsa_system_sgpr_workgroup_id_z 0
		.amdhsa_system_sgpr_workgroup_info 0
		.amdhsa_system_vgpr_workitem_id 0
		.amdhsa_next_free_vgpr 1
		.amdhsa_next_free_sgpr 0
		.amdhsa_accum_offset 4
		.amdhsa_reserve_vcc 0
		.amdhsa_reserve_flat_scratch 0
		.amdhsa_float_round_mode_32 0
		.amdhsa_float_round_mode_16_64 0
		.amdhsa_float_denorm_mode_32 3
		.amdhsa_float_denorm_mode_16_64 3
		.amdhsa_dx10_clamp 1
		.amdhsa_ieee_mode 1
		.amdhsa_fp16_overflow 0
		.amdhsa_tg_split 0
		.amdhsa_exception_fp_ieee_invalid_op 0
		.amdhsa_exception_fp_denorm_src 0
		.amdhsa_exception_fp_ieee_div_zero 0
		.amdhsa_exception_fp_ieee_overflow 0
		.amdhsa_exception_fp_ieee_underflow 0
		.amdhsa_exception_fp_ieee_inexact 0
		.amdhsa_exception_int_div_zero 0
	.end_amdhsa_kernel
	.section	.text._ZN7rocprim17ROCPRIM_400000_NS6detail17trampoline_kernelINS0_14default_configENS1_20scan_config_selectorIxEEZZNS1_9scan_implILNS1_25lookback_scan_determinismE0ELb1ELb1ES3_N6thrust23THRUST_200600_302600_NS6detail15normal_iteratorINS9_10device_ptrIxEEEESE_xNS9_4plusIvEExEEDaPvRmT3_T4_T5_mT6_P12ihipStream_tbENKUlT_T0_E_clISt17integral_constantIbLb1EEST_IbLb0EEEEDaSP_SQ_EUlSP_E0_NS1_11comp_targetILNS1_3genE0ELNS1_11target_archE4294967295ELNS1_3gpuE0ELNS1_3repE0EEENS1_30default_config_static_selectorELNS0_4arch9wavefront6targetE1EEEvT1_,"axG",@progbits,_ZN7rocprim17ROCPRIM_400000_NS6detail17trampoline_kernelINS0_14default_configENS1_20scan_config_selectorIxEEZZNS1_9scan_implILNS1_25lookback_scan_determinismE0ELb1ELb1ES3_N6thrust23THRUST_200600_302600_NS6detail15normal_iteratorINS9_10device_ptrIxEEEESE_xNS9_4plusIvEExEEDaPvRmT3_T4_T5_mT6_P12ihipStream_tbENKUlT_T0_E_clISt17integral_constantIbLb1EEST_IbLb0EEEEDaSP_SQ_EUlSP_E0_NS1_11comp_targetILNS1_3genE0ELNS1_11target_archE4294967295ELNS1_3gpuE0ELNS1_3repE0EEENS1_30default_config_static_selectorELNS0_4arch9wavefront6targetE1EEEvT1_,comdat
.Lfunc_end171:
	.size	_ZN7rocprim17ROCPRIM_400000_NS6detail17trampoline_kernelINS0_14default_configENS1_20scan_config_selectorIxEEZZNS1_9scan_implILNS1_25lookback_scan_determinismE0ELb1ELb1ES3_N6thrust23THRUST_200600_302600_NS6detail15normal_iteratorINS9_10device_ptrIxEEEESE_xNS9_4plusIvEExEEDaPvRmT3_T4_T5_mT6_P12ihipStream_tbENKUlT_T0_E_clISt17integral_constantIbLb1EEST_IbLb0EEEEDaSP_SQ_EUlSP_E0_NS1_11comp_targetILNS1_3genE0ELNS1_11target_archE4294967295ELNS1_3gpuE0ELNS1_3repE0EEENS1_30default_config_static_selectorELNS0_4arch9wavefront6targetE1EEEvT1_, .Lfunc_end171-_ZN7rocprim17ROCPRIM_400000_NS6detail17trampoline_kernelINS0_14default_configENS1_20scan_config_selectorIxEEZZNS1_9scan_implILNS1_25lookback_scan_determinismE0ELb1ELb1ES3_N6thrust23THRUST_200600_302600_NS6detail15normal_iteratorINS9_10device_ptrIxEEEESE_xNS9_4plusIvEExEEDaPvRmT3_T4_T5_mT6_P12ihipStream_tbENKUlT_T0_E_clISt17integral_constantIbLb1EEST_IbLb0EEEEDaSP_SQ_EUlSP_E0_NS1_11comp_targetILNS1_3genE0ELNS1_11target_archE4294967295ELNS1_3gpuE0ELNS1_3repE0EEENS1_30default_config_static_selectorELNS0_4arch9wavefront6targetE1EEEvT1_
                                        ; -- End function
	.section	.AMDGPU.csdata,"",@progbits
; Kernel info:
; codeLenInByte = 0
; NumSgprs: 4
; NumVgprs: 0
; NumAgprs: 0
; TotalNumVgprs: 0
; ScratchSize: 0
; MemoryBound: 0
; FloatMode: 240
; IeeeMode: 1
; LDSByteSize: 0 bytes/workgroup (compile time only)
; SGPRBlocks: 0
; VGPRBlocks: 0
; NumSGPRsForWavesPerEU: 4
; NumVGPRsForWavesPerEU: 1
; AccumOffset: 4
; Occupancy: 8
; WaveLimiterHint : 0
; COMPUTE_PGM_RSRC2:SCRATCH_EN: 0
; COMPUTE_PGM_RSRC2:USER_SGPR: 6
; COMPUTE_PGM_RSRC2:TRAP_HANDLER: 0
; COMPUTE_PGM_RSRC2:TGID_X_EN: 1
; COMPUTE_PGM_RSRC2:TGID_Y_EN: 0
; COMPUTE_PGM_RSRC2:TGID_Z_EN: 0
; COMPUTE_PGM_RSRC2:TIDIG_COMP_CNT: 0
; COMPUTE_PGM_RSRC3_GFX90A:ACCUM_OFFSET: 0
; COMPUTE_PGM_RSRC3_GFX90A:TG_SPLIT: 0
	.section	.text._ZN7rocprim17ROCPRIM_400000_NS6detail17trampoline_kernelINS0_14default_configENS1_20scan_config_selectorIxEEZZNS1_9scan_implILNS1_25lookback_scan_determinismE0ELb1ELb1ES3_N6thrust23THRUST_200600_302600_NS6detail15normal_iteratorINS9_10device_ptrIxEEEESE_xNS9_4plusIvEExEEDaPvRmT3_T4_T5_mT6_P12ihipStream_tbENKUlT_T0_E_clISt17integral_constantIbLb1EEST_IbLb0EEEEDaSP_SQ_EUlSP_E0_NS1_11comp_targetILNS1_3genE5ELNS1_11target_archE942ELNS1_3gpuE9ELNS1_3repE0EEENS1_30default_config_static_selectorELNS0_4arch9wavefront6targetE1EEEvT1_,"axG",@progbits,_ZN7rocprim17ROCPRIM_400000_NS6detail17trampoline_kernelINS0_14default_configENS1_20scan_config_selectorIxEEZZNS1_9scan_implILNS1_25lookback_scan_determinismE0ELb1ELb1ES3_N6thrust23THRUST_200600_302600_NS6detail15normal_iteratorINS9_10device_ptrIxEEEESE_xNS9_4plusIvEExEEDaPvRmT3_T4_T5_mT6_P12ihipStream_tbENKUlT_T0_E_clISt17integral_constantIbLb1EEST_IbLb0EEEEDaSP_SQ_EUlSP_E0_NS1_11comp_targetILNS1_3genE5ELNS1_11target_archE942ELNS1_3gpuE9ELNS1_3repE0EEENS1_30default_config_static_selectorELNS0_4arch9wavefront6targetE1EEEvT1_,comdat
	.protected	_ZN7rocprim17ROCPRIM_400000_NS6detail17trampoline_kernelINS0_14default_configENS1_20scan_config_selectorIxEEZZNS1_9scan_implILNS1_25lookback_scan_determinismE0ELb1ELb1ES3_N6thrust23THRUST_200600_302600_NS6detail15normal_iteratorINS9_10device_ptrIxEEEESE_xNS9_4plusIvEExEEDaPvRmT3_T4_T5_mT6_P12ihipStream_tbENKUlT_T0_E_clISt17integral_constantIbLb1EEST_IbLb0EEEEDaSP_SQ_EUlSP_E0_NS1_11comp_targetILNS1_3genE5ELNS1_11target_archE942ELNS1_3gpuE9ELNS1_3repE0EEENS1_30default_config_static_selectorELNS0_4arch9wavefront6targetE1EEEvT1_ ; -- Begin function _ZN7rocprim17ROCPRIM_400000_NS6detail17trampoline_kernelINS0_14default_configENS1_20scan_config_selectorIxEEZZNS1_9scan_implILNS1_25lookback_scan_determinismE0ELb1ELb1ES3_N6thrust23THRUST_200600_302600_NS6detail15normal_iteratorINS9_10device_ptrIxEEEESE_xNS9_4plusIvEExEEDaPvRmT3_T4_T5_mT6_P12ihipStream_tbENKUlT_T0_E_clISt17integral_constantIbLb1EEST_IbLb0EEEEDaSP_SQ_EUlSP_E0_NS1_11comp_targetILNS1_3genE5ELNS1_11target_archE942ELNS1_3gpuE9ELNS1_3repE0EEENS1_30default_config_static_selectorELNS0_4arch9wavefront6targetE1EEEvT1_
	.globl	_ZN7rocprim17ROCPRIM_400000_NS6detail17trampoline_kernelINS0_14default_configENS1_20scan_config_selectorIxEEZZNS1_9scan_implILNS1_25lookback_scan_determinismE0ELb1ELb1ES3_N6thrust23THRUST_200600_302600_NS6detail15normal_iteratorINS9_10device_ptrIxEEEESE_xNS9_4plusIvEExEEDaPvRmT3_T4_T5_mT6_P12ihipStream_tbENKUlT_T0_E_clISt17integral_constantIbLb1EEST_IbLb0EEEEDaSP_SQ_EUlSP_E0_NS1_11comp_targetILNS1_3genE5ELNS1_11target_archE942ELNS1_3gpuE9ELNS1_3repE0EEENS1_30default_config_static_selectorELNS0_4arch9wavefront6targetE1EEEvT1_
	.p2align	8
	.type	_ZN7rocprim17ROCPRIM_400000_NS6detail17trampoline_kernelINS0_14default_configENS1_20scan_config_selectorIxEEZZNS1_9scan_implILNS1_25lookback_scan_determinismE0ELb1ELb1ES3_N6thrust23THRUST_200600_302600_NS6detail15normal_iteratorINS9_10device_ptrIxEEEESE_xNS9_4plusIvEExEEDaPvRmT3_T4_T5_mT6_P12ihipStream_tbENKUlT_T0_E_clISt17integral_constantIbLb1EEST_IbLb0EEEEDaSP_SQ_EUlSP_E0_NS1_11comp_targetILNS1_3genE5ELNS1_11target_archE942ELNS1_3gpuE9ELNS1_3repE0EEENS1_30default_config_static_selectorELNS0_4arch9wavefront6targetE1EEEvT1_,@function
_ZN7rocprim17ROCPRIM_400000_NS6detail17trampoline_kernelINS0_14default_configENS1_20scan_config_selectorIxEEZZNS1_9scan_implILNS1_25lookback_scan_determinismE0ELb1ELb1ES3_N6thrust23THRUST_200600_302600_NS6detail15normal_iteratorINS9_10device_ptrIxEEEESE_xNS9_4plusIvEExEEDaPvRmT3_T4_T5_mT6_P12ihipStream_tbENKUlT_T0_E_clISt17integral_constantIbLb1EEST_IbLb0EEEEDaSP_SQ_EUlSP_E0_NS1_11comp_targetILNS1_3genE5ELNS1_11target_archE942ELNS1_3gpuE9ELNS1_3repE0EEENS1_30default_config_static_selectorELNS0_4arch9wavefront6targetE1EEEvT1_: ; @_ZN7rocprim17ROCPRIM_400000_NS6detail17trampoline_kernelINS0_14default_configENS1_20scan_config_selectorIxEEZZNS1_9scan_implILNS1_25lookback_scan_determinismE0ELb1ELb1ES3_N6thrust23THRUST_200600_302600_NS6detail15normal_iteratorINS9_10device_ptrIxEEEESE_xNS9_4plusIvEExEEDaPvRmT3_T4_T5_mT6_P12ihipStream_tbENKUlT_T0_E_clISt17integral_constantIbLb1EEST_IbLb0EEEEDaSP_SQ_EUlSP_E0_NS1_11comp_targetILNS1_3genE5ELNS1_11target_archE942ELNS1_3gpuE9ELNS1_3repE0EEENS1_30default_config_static_selectorELNS0_4arch9wavefront6targetE1EEEvT1_
; %bb.0:
	.section	.rodata,"a",@progbits
	.p2align	6, 0x0
	.amdhsa_kernel _ZN7rocprim17ROCPRIM_400000_NS6detail17trampoline_kernelINS0_14default_configENS1_20scan_config_selectorIxEEZZNS1_9scan_implILNS1_25lookback_scan_determinismE0ELb1ELb1ES3_N6thrust23THRUST_200600_302600_NS6detail15normal_iteratorINS9_10device_ptrIxEEEESE_xNS9_4plusIvEExEEDaPvRmT3_T4_T5_mT6_P12ihipStream_tbENKUlT_T0_E_clISt17integral_constantIbLb1EEST_IbLb0EEEEDaSP_SQ_EUlSP_E0_NS1_11comp_targetILNS1_3genE5ELNS1_11target_archE942ELNS1_3gpuE9ELNS1_3repE0EEENS1_30default_config_static_selectorELNS0_4arch9wavefront6targetE1EEEvT1_
		.amdhsa_group_segment_fixed_size 0
		.amdhsa_private_segment_fixed_size 0
		.amdhsa_kernarg_size 40
		.amdhsa_user_sgpr_count 6
		.amdhsa_user_sgpr_private_segment_buffer 1
		.amdhsa_user_sgpr_dispatch_ptr 0
		.amdhsa_user_sgpr_queue_ptr 0
		.amdhsa_user_sgpr_kernarg_segment_ptr 1
		.amdhsa_user_sgpr_dispatch_id 0
		.amdhsa_user_sgpr_flat_scratch_init 0
		.amdhsa_user_sgpr_kernarg_preload_length 0
		.amdhsa_user_sgpr_kernarg_preload_offset 0
		.amdhsa_user_sgpr_private_segment_size 0
		.amdhsa_uses_dynamic_stack 0
		.amdhsa_system_sgpr_private_segment_wavefront_offset 0
		.amdhsa_system_sgpr_workgroup_id_x 1
		.amdhsa_system_sgpr_workgroup_id_y 0
		.amdhsa_system_sgpr_workgroup_id_z 0
		.amdhsa_system_sgpr_workgroup_info 0
		.amdhsa_system_vgpr_workitem_id 0
		.amdhsa_next_free_vgpr 1
		.amdhsa_next_free_sgpr 0
		.amdhsa_accum_offset 4
		.amdhsa_reserve_vcc 0
		.amdhsa_reserve_flat_scratch 0
		.amdhsa_float_round_mode_32 0
		.amdhsa_float_round_mode_16_64 0
		.amdhsa_float_denorm_mode_32 3
		.amdhsa_float_denorm_mode_16_64 3
		.amdhsa_dx10_clamp 1
		.amdhsa_ieee_mode 1
		.amdhsa_fp16_overflow 0
		.amdhsa_tg_split 0
		.amdhsa_exception_fp_ieee_invalid_op 0
		.amdhsa_exception_fp_denorm_src 0
		.amdhsa_exception_fp_ieee_div_zero 0
		.amdhsa_exception_fp_ieee_overflow 0
		.amdhsa_exception_fp_ieee_underflow 0
		.amdhsa_exception_fp_ieee_inexact 0
		.amdhsa_exception_int_div_zero 0
	.end_amdhsa_kernel
	.section	.text._ZN7rocprim17ROCPRIM_400000_NS6detail17trampoline_kernelINS0_14default_configENS1_20scan_config_selectorIxEEZZNS1_9scan_implILNS1_25lookback_scan_determinismE0ELb1ELb1ES3_N6thrust23THRUST_200600_302600_NS6detail15normal_iteratorINS9_10device_ptrIxEEEESE_xNS9_4plusIvEExEEDaPvRmT3_T4_T5_mT6_P12ihipStream_tbENKUlT_T0_E_clISt17integral_constantIbLb1EEST_IbLb0EEEEDaSP_SQ_EUlSP_E0_NS1_11comp_targetILNS1_3genE5ELNS1_11target_archE942ELNS1_3gpuE9ELNS1_3repE0EEENS1_30default_config_static_selectorELNS0_4arch9wavefront6targetE1EEEvT1_,"axG",@progbits,_ZN7rocprim17ROCPRIM_400000_NS6detail17trampoline_kernelINS0_14default_configENS1_20scan_config_selectorIxEEZZNS1_9scan_implILNS1_25lookback_scan_determinismE0ELb1ELb1ES3_N6thrust23THRUST_200600_302600_NS6detail15normal_iteratorINS9_10device_ptrIxEEEESE_xNS9_4plusIvEExEEDaPvRmT3_T4_T5_mT6_P12ihipStream_tbENKUlT_T0_E_clISt17integral_constantIbLb1EEST_IbLb0EEEEDaSP_SQ_EUlSP_E0_NS1_11comp_targetILNS1_3genE5ELNS1_11target_archE942ELNS1_3gpuE9ELNS1_3repE0EEENS1_30default_config_static_selectorELNS0_4arch9wavefront6targetE1EEEvT1_,comdat
.Lfunc_end172:
	.size	_ZN7rocprim17ROCPRIM_400000_NS6detail17trampoline_kernelINS0_14default_configENS1_20scan_config_selectorIxEEZZNS1_9scan_implILNS1_25lookback_scan_determinismE0ELb1ELb1ES3_N6thrust23THRUST_200600_302600_NS6detail15normal_iteratorINS9_10device_ptrIxEEEESE_xNS9_4plusIvEExEEDaPvRmT3_T4_T5_mT6_P12ihipStream_tbENKUlT_T0_E_clISt17integral_constantIbLb1EEST_IbLb0EEEEDaSP_SQ_EUlSP_E0_NS1_11comp_targetILNS1_3genE5ELNS1_11target_archE942ELNS1_3gpuE9ELNS1_3repE0EEENS1_30default_config_static_selectorELNS0_4arch9wavefront6targetE1EEEvT1_, .Lfunc_end172-_ZN7rocprim17ROCPRIM_400000_NS6detail17trampoline_kernelINS0_14default_configENS1_20scan_config_selectorIxEEZZNS1_9scan_implILNS1_25lookback_scan_determinismE0ELb1ELb1ES3_N6thrust23THRUST_200600_302600_NS6detail15normal_iteratorINS9_10device_ptrIxEEEESE_xNS9_4plusIvEExEEDaPvRmT3_T4_T5_mT6_P12ihipStream_tbENKUlT_T0_E_clISt17integral_constantIbLb1EEST_IbLb0EEEEDaSP_SQ_EUlSP_E0_NS1_11comp_targetILNS1_3genE5ELNS1_11target_archE942ELNS1_3gpuE9ELNS1_3repE0EEENS1_30default_config_static_selectorELNS0_4arch9wavefront6targetE1EEEvT1_
                                        ; -- End function
	.section	.AMDGPU.csdata,"",@progbits
; Kernel info:
; codeLenInByte = 0
; NumSgprs: 4
; NumVgprs: 0
; NumAgprs: 0
; TotalNumVgprs: 0
; ScratchSize: 0
; MemoryBound: 0
; FloatMode: 240
; IeeeMode: 1
; LDSByteSize: 0 bytes/workgroup (compile time only)
; SGPRBlocks: 0
; VGPRBlocks: 0
; NumSGPRsForWavesPerEU: 4
; NumVGPRsForWavesPerEU: 1
; AccumOffset: 4
; Occupancy: 8
; WaveLimiterHint : 0
; COMPUTE_PGM_RSRC2:SCRATCH_EN: 0
; COMPUTE_PGM_RSRC2:USER_SGPR: 6
; COMPUTE_PGM_RSRC2:TRAP_HANDLER: 0
; COMPUTE_PGM_RSRC2:TGID_X_EN: 1
; COMPUTE_PGM_RSRC2:TGID_Y_EN: 0
; COMPUTE_PGM_RSRC2:TGID_Z_EN: 0
; COMPUTE_PGM_RSRC2:TIDIG_COMP_CNT: 0
; COMPUTE_PGM_RSRC3_GFX90A:ACCUM_OFFSET: 0
; COMPUTE_PGM_RSRC3_GFX90A:TG_SPLIT: 0
	.section	.text._ZN7rocprim17ROCPRIM_400000_NS6detail17trampoline_kernelINS0_14default_configENS1_20scan_config_selectorIxEEZZNS1_9scan_implILNS1_25lookback_scan_determinismE0ELb1ELb1ES3_N6thrust23THRUST_200600_302600_NS6detail15normal_iteratorINS9_10device_ptrIxEEEESE_xNS9_4plusIvEExEEDaPvRmT3_T4_T5_mT6_P12ihipStream_tbENKUlT_T0_E_clISt17integral_constantIbLb1EEST_IbLb0EEEEDaSP_SQ_EUlSP_E0_NS1_11comp_targetILNS1_3genE4ELNS1_11target_archE910ELNS1_3gpuE8ELNS1_3repE0EEENS1_30default_config_static_selectorELNS0_4arch9wavefront6targetE1EEEvT1_,"axG",@progbits,_ZN7rocprim17ROCPRIM_400000_NS6detail17trampoline_kernelINS0_14default_configENS1_20scan_config_selectorIxEEZZNS1_9scan_implILNS1_25lookback_scan_determinismE0ELb1ELb1ES3_N6thrust23THRUST_200600_302600_NS6detail15normal_iteratorINS9_10device_ptrIxEEEESE_xNS9_4plusIvEExEEDaPvRmT3_T4_T5_mT6_P12ihipStream_tbENKUlT_T0_E_clISt17integral_constantIbLb1EEST_IbLb0EEEEDaSP_SQ_EUlSP_E0_NS1_11comp_targetILNS1_3genE4ELNS1_11target_archE910ELNS1_3gpuE8ELNS1_3repE0EEENS1_30default_config_static_selectorELNS0_4arch9wavefront6targetE1EEEvT1_,comdat
	.protected	_ZN7rocprim17ROCPRIM_400000_NS6detail17trampoline_kernelINS0_14default_configENS1_20scan_config_selectorIxEEZZNS1_9scan_implILNS1_25lookback_scan_determinismE0ELb1ELb1ES3_N6thrust23THRUST_200600_302600_NS6detail15normal_iteratorINS9_10device_ptrIxEEEESE_xNS9_4plusIvEExEEDaPvRmT3_T4_T5_mT6_P12ihipStream_tbENKUlT_T0_E_clISt17integral_constantIbLb1EEST_IbLb0EEEEDaSP_SQ_EUlSP_E0_NS1_11comp_targetILNS1_3genE4ELNS1_11target_archE910ELNS1_3gpuE8ELNS1_3repE0EEENS1_30default_config_static_selectorELNS0_4arch9wavefront6targetE1EEEvT1_ ; -- Begin function _ZN7rocprim17ROCPRIM_400000_NS6detail17trampoline_kernelINS0_14default_configENS1_20scan_config_selectorIxEEZZNS1_9scan_implILNS1_25lookback_scan_determinismE0ELb1ELb1ES3_N6thrust23THRUST_200600_302600_NS6detail15normal_iteratorINS9_10device_ptrIxEEEESE_xNS9_4plusIvEExEEDaPvRmT3_T4_T5_mT6_P12ihipStream_tbENKUlT_T0_E_clISt17integral_constantIbLb1EEST_IbLb0EEEEDaSP_SQ_EUlSP_E0_NS1_11comp_targetILNS1_3genE4ELNS1_11target_archE910ELNS1_3gpuE8ELNS1_3repE0EEENS1_30default_config_static_selectorELNS0_4arch9wavefront6targetE1EEEvT1_
	.globl	_ZN7rocprim17ROCPRIM_400000_NS6detail17trampoline_kernelINS0_14default_configENS1_20scan_config_selectorIxEEZZNS1_9scan_implILNS1_25lookback_scan_determinismE0ELb1ELb1ES3_N6thrust23THRUST_200600_302600_NS6detail15normal_iteratorINS9_10device_ptrIxEEEESE_xNS9_4plusIvEExEEDaPvRmT3_T4_T5_mT6_P12ihipStream_tbENKUlT_T0_E_clISt17integral_constantIbLb1EEST_IbLb0EEEEDaSP_SQ_EUlSP_E0_NS1_11comp_targetILNS1_3genE4ELNS1_11target_archE910ELNS1_3gpuE8ELNS1_3repE0EEENS1_30default_config_static_selectorELNS0_4arch9wavefront6targetE1EEEvT1_
	.p2align	8
	.type	_ZN7rocprim17ROCPRIM_400000_NS6detail17trampoline_kernelINS0_14default_configENS1_20scan_config_selectorIxEEZZNS1_9scan_implILNS1_25lookback_scan_determinismE0ELb1ELb1ES3_N6thrust23THRUST_200600_302600_NS6detail15normal_iteratorINS9_10device_ptrIxEEEESE_xNS9_4plusIvEExEEDaPvRmT3_T4_T5_mT6_P12ihipStream_tbENKUlT_T0_E_clISt17integral_constantIbLb1EEST_IbLb0EEEEDaSP_SQ_EUlSP_E0_NS1_11comp_targetILNS1_3genE4ELNS1_11target_archE910ELNS1_3gpuE8ELNS1_3repE0EEENS1_30default_config_static_selectorELNS0_4arch9wavefront6targetE1EEEvT1_,@function
_ZN7rocprim17ROCPRIM_400000_NS6detail17trampoline_kernelINS0_14default_configENS1_20scan_config_selectorIxEEZZNS1_9scan_implILNS1_25lookback_scan_determinismE0ELb1ELb1ES3_N6thrust23THRUST_200600_302600_NS6detail15normal_iteratorINS9_10device_ptrIxEEEESE_xNS9_4plusIvEExEEDaPvRmT3_T4_T5_mT6_P12ihipStream_tbENKUlT_T0_E_clISt17integral_constantIbLb1EEST_IbLb0EEEEDaSP_SQ_EUlSP_E0_NS1_11comp_targetILNS1_3genE4ELNS1_11target_archE910ELNS1_3gpuE8ELNS1_3repE0EEENS1_30default_config_static_selectorELNS0_4arch9wavefront6targetE1EEEvT1_: ; @_ZN7rocprim17ROCPRIM_400000_NS6detail17trampoline_kernelINS0_14default_configENS1_20scan_config_selectorIxEEZZNS1_9scan_implILNS1_25lookback_scan_determinismE0ELb1ELb1ES3_N6thrust23THRUST_200600_302600_NS6detail15normal_iteratorINS9_10device_ptrIxEEEESE_xNS9_4plusIvEExEEDaPvRmT3_T4_T5_mT6_P12ihipStream_tbENKUlT_T0_E_clISt17integral_constantIbLb1EEST_IbLb0EEEEDaSP_SQ_EUlSP_E0_NS1_11comp_targetILNS1_3genE4ELNS1_11target_archE910ELNS1_3gpuE8ELNS1_3repE0EEENS1_30default_config_static_selectorELNS0_4arch9wavefront6targetE1EEEvT1_
; %bb.0:
	s_load_dwordx4 s[16:19], s[4:5], 0x0
	v_lshlrev_b32_e32 v20, 3, v0
	s_waitcnt lgkmcnt(0)
	s_load_dwordx2 s[14:15], s[16:17], 0x0
	v_cmp_gt_u32_e32 vcc, s18, v0
	s_waitcnt lgkmcnt(0)
	v_pk_mov_b32 v[2:3], s[14:15], s[14:15] op_sel:[0,1]
	s_and_saveexec_b64 s[0:1], vcc
	s_cbranch_execz .LBB173_2
; %bb.1:
	global_load_dwordx2 v[2:3], v20, s[16:17]
.LBB173_2:
	s_or_b64 exec, exec, s[0:1]
	v_or_b32_e32 v1, 0x80, v0
	v_cmp_gt_u32_e64 s[0:1], s18, v1
	v_pk_mov_b32 v[4:5], s[14:15], s[14:15] op_sel:[0,1]
	s_and_saveexec_b64 s[2:3], s[0:1]
	s_cbranch_execz .LBB173_4
; %bb.3:
	global_load_dwordx2 v[4:5], v20, s[16:17] offset:1024
.LBB173_4:
	s_or_b64 exec, exec, s[2:3]
	v_or_b32_e32 v1, 0x100, v0
	v_cmp_gt_u32_e64 s[2:3], s18, v1
	v_pk_mov_b32 v[6:7], s[14:15], s[14:15] op_sel:[0,1]
	s_and_saveexec_b64 s[6:7], s[2:3]
	s_cbranch_execz .LBB173_6
; %bb.5:
	global_load_dwordx2 v[6:7], v20, s[16:17] offset:2048
.LBB173_6:
	;; [unrolled: 9-line block ×3, first 2 shown]
	s_or_b64 exec, exec, s[6:7]
	v_or_b32_e32 v1, 0x200, v0
	v_cmp_gt_u32_e64 s[6:7], s18, v1
	v_pk_mov_b32 v[10:11], s[14:15], s[14:15] op_sel:[0,1]
	s_and_saveexec_b64 s[8:9], s[6:7]
	s_cbranch_execz .LBB173_10
; %bb.9:
	v_lshlrev_b32_e32 v1, 3, v1
	global_load_dwordx2 v[10:11], v1, s[16:17]
.LBB173_10:
	s_or_b64 exec, exec, s[8:9]
	v_or_b32_e32 v1, 0x280, v0
	v_cmp_gt_u32_e64 s[8:9], s18, v1
	v_pk_mov_b32 v[12:13], s[14:15], s[14:15] op_sel:[0,1]
	s_and_saveexec_b64 s[10:11], s[8:9]
	s_cbranch_execz .LBB173_12
; %bb.11:
	v_lshlrev_b32_e32 v1, 3, v1
	global_load_dwordx2 v[12:13], v1, s[16:17]
.LBB173_12:
	s_or_b64 exec, exec, s[10:11]
	s_load_dwordx2 s[20:21], s[4:5], 0x10
	v_or_b32_e32 v1, 0x300, v0
	v_cmp_gt_u32_e64 s[10:11], s18, v1
	v_pk_mov_b32 v[14:15], s[14:15], s[14:15] op_sel:[0,1]
	s_and_saveexec_b64 s[14:15], s[10:11]
	s_cbranch_execz .LBB173_14
; %bb.13:
	v_lshlrev_b32_e32 v1, 3, v1
	global_load_dwordx2 v[14:15], v1, s[16:17]
.LBB173_14:
	s_or_b64 exec, exec, s[14:15]
	v_mad_u32_u24 v1, v0, 48, v20
	s_waitcnt vmcnt(0)
	ds_write2st64_b64 v20, v[2:3], v[4:5] offset1:2
	ds_write2st64_b64 v20, v[6:7], v[8:9] offset0:4 offset1:6
	ds_write2st64_b64 v20, v[10:11], v[12:13] offset0:8 offset1:10
	ds_write_b64 v20, v[14:15] offset:6144
	s_waitcnt lgkmcnt(0)
	s_barrier
	ds_read2_b64 v[2:5], v1 offset1:1
	ds_read2_b64 v[6:9], v1 offset0:2 offset1:3
	ds_read2_b64 v[10:13], v1 offset0:4 offset1:5
	ds_read_b64 v[14:15], v1 offset:48
	s_load_dwordx2 s[16:17], s[4:5], 0x20
	s_waitcnt lgkmcnt(0)
	v_add_co_u32_e64 v1, s[4:5], v4, v2
	v_addc_co_u32_e64 v16, s[4:5], v5, v3, s[4:5]
	v_add_co_u32_e64 v1, s[4:5], v1, v6
	v_addc_co_u32_e64 v16, s[4:5], v16, v7, s[4:5]
	;; [unrolled: 2-line block ×5, first 2 shown]
	v_add_co_u32_e64 v18, s[4:5], v1, v14
	v_lshrrev_b32_e32 v1, 2, v0
	v_addc_co_u32_e64 v19, s[4:5], v16, v15, s[4:5]
	v_and_b32_e32 v1, 24, v1
	v_add_u32_e32 v1, v20, v1
	v_cmp_gt_u32_e64 s[4:5], 64, v0
	s_barrier
	ds_write_b64 v1, v[18:19]
	s_waitcnt lgkmcnt(0)
	s_barrier
	s_and_saveexec_b64 s[18:19], s[4:5]
	s_cbranch_execz .LBB173_18
; %bb.15:
	v_lshlrev_b32_e32 v1, 1, v0
	v_lshrrev_b32_e32 v14, 4, v0
	v_add_lshl_u32 v21, v14, v1, 3
	ds_read2_b64 v[14:17], v21 offset1:1
	v_mbcnt_lo_u32_b32 v1, -1, 0
	s_waitcnt lgkmcnt(0)
	v_add_co_u32_e64 v22, s[4:5], v16, v14
	v_addc_co_u32_e64 v23, s[4:5], v17, v15, s[4:5]
	s_nop 0
	v_mov_b32_dpp v16, v22 row_shr:1 row_mask:0xf bank_mask:0xf
	v_add_co_u32_e64 v16, s[4:5], v22, v16
	v_addc_co_u32_e64 v25, s[4:5], 0, v23, s[4:5]
	v_mbcnt_hi_u32_b32 v17, -1, v1
	v_mov_b32_dpp v24, v23 row_shr:1 row_mask:0xf bank_mask:0xf
	v_add_co_u32_e64 v26, s[4:5], 0, v16
	v_and_b32_e32 v1, 15, v17
	v_addc_co_u32_e64 v24, s[4:5], v24, v25, s[4:5]
	v_cmp_eq_u32_e64 s[4:5], 0, v1
	v_cndmask_b32_e64 v16, v16, v22, s[4:5]
	v_cndmask_b32_e64 v24, v24, v23, s[4:5]
	v_cndmask_b32_e64 v25, v26, v22, s[4:5]
	v_mov_b32_dpp v26, v16 row_shr:2 row_mask:0xf bank_mask:0xf
	v_mov_b32_dpp v27, v24 row_shr:2 row_mask:0xf bank_mask:0xf
	v_add_co_u32_e64 v26, s[4:5], v26, v25
	v_addc_co_u32_e64 v27, s[4:5], v27, v24, s[4:5]
	v_cmp_lt_u32_e64 s[4:5], 1, v1
	v_cndmask_b32_e64 v16, v16, v26, s[4:5]
	v_cndmask_b32_e64 v24, v24, v27, s[4:5]
	v_cndmask_b32_e64 v25, v25, v26, s[4:5]
	v_mov_b32_dpp v26, v16 row_shr:4 row_mask:0xf bank_mask:0xf
	v_mov_b32_dpp v27, v24 row_shr:4 row_mask:0xf bank_mask:0xf
	v_add_co_u32_e64 v26, s[4:5], v26, v25
	v_addc_co_u32_e64 v27, s[4:5], v27, v24, s[4:5]
	v_cmp_lt_u32_e64 s[4:5], 3, v1
	;; [unrolled: 8-line block ×3, first 2 shown]
	v_cndmask_b32_e64 v28, v16, v26, s[4:5]
	v_cndmask_b32_e64 v1, v24, v27, s[4:5]
	;; [unrolled: 1-line block ×3, first 2 shown]
	v_mov_b32_dpp v24, v28 row_bcast:15 row_mask:0xf bank_mask:0xf
	v_mov_b32_dpp v25, v1 row_bcast:15 row_mask:0xf bank_mask:0xf
	v_add_co_u32_e64 v24, s[4:5], v24, v16
	v_and_b32_e32 v27, 16, v17
	v_addc_co_u32_e64 v26, s[4:5], v25, v1, s[4:5]
	v_cmp_eq_u32_e64 s[4:5], 0, v27
	v_cndmask_b32_e64 v27, v26, v1, s[4:5]
	v_cndmask_b32_e64 v25, v24, v28, s[4:5]
	v_cmp_ne_u32_e64 s[14:15], 0, v17
	v_mov_b32_dpp v27, v27 row_bcast:31 row_mask:0xf bank_mask:0xf
	v_mov_b32_dpp v25, v25 row_bcast:31 row_mask:0xf bank_mask:0xf
	s_and_saveexec_b64 s[22:23], s[14:15]
; %bb.16:
	v_cndmask_b32_e64 v1, v26, v1, s[4:5]
	v_cndmask_b32_e64 v16, v24, v16, s[4:5]
	v_cmp_lt_u32_e64 s[4:5], 31, v17
	v_cndmask_b32_e64 v22, 0, v25, s[4:5]
	v_cndmask_b32_e64 v23, 0, v27, s[4:5]
	v_add_co_u32_e64 v22, s[4:5], v22, v16
	v_addc_co_u32_e64 v23, s[4:5], v23, v1, s[4:5]
; %bb.17:
	s_or_b64 exec, exec, s[22:23]
	v_add_u32_e32 v1, -1, v17
	v_and_b32_e32 v16, 64, v17
	v_cmp_lt_i32_e64 s[4:5], v1, v16
	v_cndmask_b32_e64 v1, v1, v17, s[4:5]
	v_lshlrev_b32_e32 v1, 2, v1
	ds_bpermute_b32 v16, v1, v22
	ds_bpermute_b32 v1, v1, v23
	; wave barrier
	s_waitcnt lgkmcnt(1)
	v_add_co_u32_e64 v14, s[4:5], v14, v16
	v_addc_co_u32_e64 v15, s[4:5], 0, v15, s[4:5]
	v_add_co_u32_e64 v14, s[4:5], 0, v14
	s_waitcnt lgkmcnt(0)
	v_addc_co_u32_e64 v1, s[4:5], v15, v1, s[4:5]
	v_cmp_eq_u32_e64 s[4:5], 0, v0
	v_cndmask_b32_e64 v15, v1, v19, s[4:5]
	v_cndmask_b32_e64 v14, v14, v18, s[4:5]
	ds_write_b64 v21, v[14:15]
	; wave barrier
	ds_read_b64 v[16:17], v21 offset:8
	s_waitcnt lgkmcnt(0)
	v_add_co_u32_e64 v14, s[4:5], v16, v14
	v_addc_co_u32_e64 v15, s[4:5], v17, v15, s[4:5]
	ds_write_b64 v21, v[14:15] offset:8
.LBB173_18:
	s_or_b64 exec, exec, s[18:19]
	v_mul_u32_u24_e32 v1, 48, v0
	v_cmp_ne_u32_e64 s[4:5], 0, v0
	v_pk_mov_b32 v[14:15], s[20:21], s[20:21] op_sel:[0,1]
	s_waitcnt lgkmcnt(0)
	s_barrier
	s_and_saveexec_b64 s[14:15], s[4:5]
	s_cbranch_execz .LBB173_20
; %bb.19:
	v_add_u32_e32 v0, -1, v0
	v_lshrrev_b32_e32 v14, 5, v0
	v_add_lshl_u32 v0, v14, v0, 3
	ds_read_b64 v[14:15], v0
	v_mov_b32_e32 v0, s21
	s_waitcnt lgkmcnt(0)
	v_add_co_u32_e64 v14, s[4:5], s20, v14
	v_addc_co_u32_e64 v15, s[4:5], v15, v0, s[4:5]
.LBB173_20:
	s_or_b64 exec, exec, s[14:15]
	v_add_co_u32_e64 v2, s[4:5], v14, v2
	v_addc_co_u32_e64 v3, s[4:5], v15, v3, s[4:5]
	v_add_co_u32_e64 v4, s[4:5], v2, v4
	v_addc_co_u32_e64 v5, s[4:5], v3, v5, s[4:5]
	;; [unrolled: 2-line block ×5, first 2 shown]
	v_add_co_u32_e64 v12, s[4:5], v10, v12
	v_add_u32_e32 v0, v20, v1
	v_addc_co_u32_e64 v13, s[4:5], v11, v13, s[4:5]
	s_barrier
	ds_write2_b64 v0, v[14:15], v[2:3] offset1:1
	ds_write2_b64 v0, v[4:5], v[6:7] offset0:2 offset1:3
	ds_write2_b64 v0, v[8:9], v[10:11] offset0:4 offset1:5
	ds_write_b64 v0, v[12:13] offset:48
	s_waitcnt lgkmcnt(0)
	s_barrier
	ds_read2st64_b64 v[8:11], v20 offset0:2 offset1:4
	ds_read2st64_b64 v[4:7], v20 offset0:6 offset1:8
	;; [unrolled: 1-line block ×3, first 2 shown]
	v_mov_b32_e32 v13, s17
	v_add_co_u32_e64 v12, s[4:5], s16, v20
	v_addc_co_u32_e64 v13, s[4:5], 0, v13, s[4:5]
	s_and_saveexec_b64 s[4:5], vcc
	s_cbranch_execnz .LBB173_28
; %bb.21:
	s_or_b64 exec, exec, s[4:5]
	s_and_saveexec_b64 s[4:5], s[0:1]
	s_cbranch_execnz .LBB173_29
.LBB173_22:
	s_or_b64 exec, exec, s[4:5]
	s_and_saveexec_b64 s[0:1], s[2:3]
	s_cbranch_execnz .LBB173_30
.LBB173_23:
	s_or_b64 exec, exec, s[0:1]
	s_and_saveexec_b64 s[0:1], s[12:13]
	s_cbranch_execnz .LBB173_31
.LBB173_24:
	s_or_b64 exec, exec, s[0:1]
	s_and_saveexec_b64 s[0:1], s[6:7]
	s_cbranch_execnz .LBB173_32
.LBB173_25:
	s_or_b64 exec, exec, s[0:1]
	s_and_saveexec_b64 s[0:1], s[8:9]
	s_cbranch_execnz .LBB173_33
.LBB173_26:
	s_or_b64 exec, exec, s[0:1]
	s_and_saveexec_b64 s[0:1], s[10:11]
	s_cbranch_execnz .LBB173_34
.LBB173_27:
	s_endpgm
.LBB173_28:
	ds_read_b64 v[14:15], v20
	s_waitcnt lgkmcnt(0)
	global_store_dwordx2 v[12:13], v[14:15], off
	s_or_b64 exec, exec, s[4:5]
	s_and_saveexec_b64 s[4:5], s[0:1]
	s_cbranch_execz .LBB173_22
.LBB173_29:
	s_waitcnt lgkmcnt(2)
	global_store_dwordx2 v[12:13], v[8:9], off offset:1024
	s_or_b64 exec, exec, s[4:5]
	s_and_saveexec_b64 s[0:1], s[2:3]
	s_cbranch_execz .LBB173_23
.LBB173_30:
	s_waitcnt lgkmcnt(2)
	global_store_dwordx2 v[12:13], v[10:11], off offset:2048
	s_or_b64 exec, exec, s[0:1]
	s_and_saveexec_b64 s[0:1], s[12:13]
	s_cbranch_execz .LBB173_24
.LBB173_31:
	s_waitcnt lgkmcnt(1)
	global_store_dwordx2 v[12:13], v[4:5], off offset:3072
	s_or_b64 exec, exec, s[0:1]
	s_and_saveexec_b64 s[0:1], s[6:7]
	s_cbranch_execz .LBB173_25
.LBB173_32:
	s_waitcnt lgkmcnt(1)
	v_add_co_u32_e32 v4, vcc, 0x1000, v12
	v_addc_co_u32_e32 v5, vcc, 0, v13, vcc
	global_store_dwordx2 v[4:5], v[6:7], off
	s_or_b64 exec, exec, s[0:1]
	s_and_saveexec_b64 s[0:1], s[8:9]
	s_cbranch_execz .LBB173_26
.LBB173_33:
	s_waitcnt lgkmcnt(1)
	v_add_co_u32_e32 v4, vcc, 0x1000, v12
	v_addc_co_u32_e32 v5, vcc, 0, v13, vcc
	s_waitcnt lgkmcnt(0)
	global_store_dwordx2 v[4:5], v[0:1], off offset:1024
	s_or_b64 exec, exec, s[0:1]
	s_and_saveexec_b64 s[0:1], s[10:11]
	s_cbranch_execz .LBB173_27
.LBB173_34:
	s_waitcnt lgkmcnt(0)
	v_add_co_u32_e32 v0, vcc, 0x1000, v12
	v_addc_co_u32_e32 v1, vcc, 0, v13, vcc
	global_store_dwordx2 v[0:1], v[2:3], off offset:2048
	s_endpgm
	.section	.rodata,"a",@progbits
	.p2align	6, 0x0
	.amdhsa_kernel _ZN7rocprim17ROCPRIM_400000_NS6detail17trampoline_kernelINS0_14default_configENS1_20scan_config_selectorIxEEZZNS1_9scan_implILNS1_25lookback_scan_determinismE0ELb1ELb1ES3_N6thrust23THRUST_200600_302600_NS6detail15normal_iteratorINS9_10device_ptrIxEEEESE_xNS9_4plusIvEExEEDaPvRmT3_T4_T5_mT6_P12ihipStream_tbENKUlT_T0_E_clISt17integral_constantIbLb1EEST_IbLb0EEEEDaSP_SQ_EUlSP_E0_NS1_11comp_targetILNS1_3genE4ELNS1_11target_archE910ELNS1_3gpuE8ELNS1_3repE0EEENS1_30default_config_static_selectorELNS0_4arch9wavefront6targetE1EEEvT1_
		.amdhsa_group_segment_fixed_size 7168
		.amdhsa_private_segment_fixed_size 0
		.amdhsa_kernarg_size 40
		.amdhsa_user_sgpr_count 6
		.amdhsa_user_sgpr_private_segment_buffer 1
		.amdhsa_user_sgpr_dispatch_ptr 0
		.amdhsa_user_sgpr_queue_ptr 0
		.amdhsa_user_sgpr_kernarg_segment_ptr 1
		.amdhsa_user_sgpr_dispatch_id 0
		.amdhsa_user_sgpr_flat_scratch_init 0
		.amdhsa_user_sgpr_kernarg_preload_length 0
		.amdhsa_user_sgpr_kernarg_preload_offset 0
		.amdhsa_user_sgpr_private_segment_size 0
		.amdhsa_uses_dynamic_stack 0
		.amdhsa_system_sgpr_private_segment_wavefront_offset 0
		.amdhsa_system_sgpr_workgroup_id_x 1
		.amdhsa_system_sgpr_workgroup_id_y 0
		.amdhsa_system_sgpr_workgroup_id_z 0
		.amdhsa_system_sgpr_workgroup_info 0
		.amdhsa_system_vgpr_workitem_id 0
		.amdhsa_next_free_vgpr 29
		.amdhsa_next_free_sgpr 24
		.amdhsa_accum_offset 32
		.amdhsa_reserve_vcc 1
		.amdhsa_reserve_flat_scratch 0
		.amdhsa_float_round_mode_32 0
		.amdhsa_float_round_mode_16_64 0
		.amdhsa_float_denorm_mode_32 3
		.amdhsa_float_denorm_mode_16_64 3
		.amdhsa_dx10_clamp 1
		.amdhsa_ieee_mode 1
		.amdhsa_fp16_overflow 0
		.amdhsa_tg_split 0
		.amdhsa_exception_fp_ieee_invalid_op 0
		.amdhsa_exception_fp_denorm_src 0
		.amdhsa_exception_fp_ieee_div_zero 0
		.amdhsa_exception_fp_ieee_overflow 0
		.amdhsa_exception_fp_ieee_underflow 0
		.amdhsa_exception_fp_ieee_inexact 0
		.amdhsa_exception_int_div_zero 0
	.end_amdhsa_kernel
	.section	.text._ZN7rocprim17ROCPRIM_400000_NS6detail17trampoline_kernelINS0_14default_configENS1_20scan_config_selectorIxEEZZNS1_9scan_implILNS1_25lookback_scan_determinismE0ELb1ELb1ES3_N6thrust23THRUST_200600_302600_NS6detail15normal_iteratorINS9_10device_ptrIxEEEESE_xNS9_4plusIvEExEEDaPvRmT3_T4_T5_mT6_P12ihipStream_tbENKUlT_T0_E_clISt17integral_constantIbLb1EEST_IbLb0EEEEDaSP_SQ_EUlSP_E0_NS1_11comp_targetILNS1_3genE4ELNS1_11target_archE910ELNS1_3gpuE8ELNS1_3repE0EEENS1_30default_config_static_selectorELNS0_4arch9wavefront6targetE1EEEvT1_,"axG",@progbits,_ZN7rocprim17ROCPRIM_400000_NS6detail17trampoline_kernelINS0_14default_configENS1_20scan_config_selectorIxEEZZNS1_9scan_implILNS1_25lookback_scan_determinismE0ELb1ELb1ES3_N6thrust23THRUST_200600_302600_NS6detail15normal_iteratorINS9_10device_ptrIxEEEESE_xNS9_4plusIvEExEEDaPvRmT3_T4_T5_mT6_P12ihipStream_tbENKUlT_T0_E_clISt17integral_constantIbLb1EEST_IbLb0EEEEDaSP_SQ_EUlSP_E0_NS1_11comp_targetILNS1_3genE4ELNS1_11target_archE910ELNS1_3gpuE8ELNS1_3repE0EEENS1_30default_config_static_selectorELNS0_4arch9wavefront6targetE1EEEvT1_,comdat
.Lfunc_end173:
	.size	_ZN7rocprim17ROCPRIM_400000_NS6detail17trampoline_kernelINS0_14default_configENS1_20scan_config_selectorIxEEZZNS1_9scan_implILNS1_25lookback_scan_determinismE0ELb1ELb1ES3_N6thrust23THRUST_200600_302600_NS6detail15normal_iteratorINS9_10device_ptrIxEEEESE_xNS9_4plusIvEExEEDaPvRmT3_T4_T5_mT6_P12ihipStream_tbENKUlT_T0_E_clISt17integral_constantIbLb1EEST_IbLb0EEEEDaSP_SQ_EUlSP_E0_NS1_11comp_targetILNS1_3genE4ELNS1_11target_archE910ELNS1_3gpuE8ELNS1_3repE0EEENS1_30default_config_static_selectorELNS0_4arch9wavefront6targetE1EEEvT1_, .Lfunc_end173-_ZN7rocprim17ROCPRIM_400000_NS6detail17trampoline_kernelINS0_14default_configENS1_20scan_config_selectorIxEEZZNS1_9scan_implILNS1_25lookback_scan_determinismE0ELb1ELb1ES3_N6thrust23THRUST_200600_302600_NS6detail15normal_iteratorINS9_10device_ptrIxEEEESE_xNS9_4plusIvEExEEDaPvRmT3_T4_T5_mT6_P12ihipStream_tbENKUlT_T0_E_clISt17integral_constantIbLb1EEST_IbLb0EEEEDaSP_SQ_EUlSP_E0_NS1_11comp_targetILNS1_3genE4ELNS1_11target_archE910ELNS1_3gpuE8ELNS1_3repE0EEENS1_30default_config_static_selectorELNS0_4arch9wavefront6targetE1EEEvT1_
                                        ; -- End function
	.section	.AMDGPU.csdata,"",@progbits
; Kernel info:
; codeLenInByte = 1796
; NumSgprs: 28
; NumVgprs: 29
; NumAgprs: 0
; TotalNumVgprs: 29
; ScratchSize: 0
; MemoryBound: 0
; FloatMode: 240
; IeeeMode: 1
; LDSByteSize: 7168 bytes/workgroup (compile time only)
; SGPRBlocks: 3
; VGPRBlocks: 3
; NumSGPRsForWavesPerEU: 28
; NumVGPRsForWavesPerEU: 29
; AccumOffset: 32
; Occupancy: 5
; WaveLimiterHint : 0
; COMPUTE_PGM_RSRC2:SCRATCH_EN: 0
; COMPUTE_PGM_RSRC2:USER_SGPR: 6
; COMPUTE_PGM_RSRC2:TRAP_HANDLER: 0
; COMPUTE_PGM_RSRC2:TGID_X_EN: 1
; COMPUTE_PGM_RSRC2:TGID_Y_EN: 0
; COMPUTE_PGM_RSRC2:TGID_Z_EN: 0
; COMPUTE_PGM_RSRC2:TIDIG_COMP_CNT: 0
; COMPUTE_PGM_RSRC3_GFX90A:ACCUM_OFFSET: 7
; COMPUTE_PGM_RSRC3_GFX90A:TG_SPLIT: 0
	.section	.text._ZN7rocprim17ROCPRIM_400000_NS6detail17trampoline_kernelINS0_14default_configENS1_20scan_config_selectorIxEEZZNS1_9scan_implILNS1_25lookback_scan_determinismE0ELb1ELb1ES3_N6thrust23THRUST_200600_302600_NS6detail15normal_iteratorINS9_10device_ptrIxEEEESE_xNS9_4plusIvEExEEDaPvRmT3_T4_T5_mT6_P12ihipStream_tbENKUlT_T0_E_clISt17integral_constantIbLb1EEST_IbLb0EEEEDaSP_SQ_EUlSP_E0_NS1_11comp_targetILNS1_3genE3ELNS1_11target_archE908ELNS1_3gpuE7ELNS1_3repE0EEENS1_30default_config_static_selectorELNS0_4arch9wavefront6targetE1EEEvT1_,"axG",@progbits,_ZN7rocprim17ROCPRIM_400000_NS6detail17trampoline_kernelINS0_14default_configENS1_20scan_config_selectorIxEEZZNS1_9scan_implILNS1_25lookback_scan_determinismE0ELb1ELb1ES3_N6thrust23THRUST_200600_302600_NS6detail15normal_iteratorINS9_10device_ptrIxEEEESE_xNS9_4plusIvEExEEDaPvRmT3_T4_T5_mT6_P12ihipStream_tbENKUlT_T0_E_clISt17integral_constantIbLb1EEST_IbLb0EEEEDaSP_SQ_EUlSP_E0_NS1_11comp_targetILNS1_3genE3ELNS1_11target_archE908ELNS1_3gpuE7ELNS1_3repE0EEENS1_30default_config_static_selectorELNS0_4arch9wavefront6targetE1EEEvT1_,comdat
	.protected	_ZN7rocprim17ROCPRIM_400000_NS6detail17trampoline_kernelINS0_14default_configENS1_20scan_config_selectorIxEEZZNS1_9scan_implILNS1_25lookback_scan_determinismE0ELb1ELb1ES3_N6thrust23THRUST_200600_302600_NS6detail15normal_iteratorINS9_10device_ptrIxEEEESE_xNS9_4plusIvEExEEDaPvRmT3_T4_T5_mT6_P12ihipStream_tbENKUlT_T0_E_clISt17integral_constantIbLb1EEST_IbLb0EEEEDaSP_SQ_EUlSP_E0_NS1_11comp_targetILNS1_3genE3ELNS1_11target_archE908ELNS1_3gpuE7ELNS1_3repE0EEENS1_30default_config_static_selectorELNS0_4arch9wavefront6targetE1EEEvT1_ ; -- Begin function _ZN7rocprim17ROCPRIM_400000_NS6detail17trampoline_kernelINS0_14default_configENS1_20scan_config_selectorIxEEZZNS1_9scan_implILNS1_25lookback_scan_determinismE0ELb1ELb1ES3_N6thrust23THRUST_200600_302600_NS6detail15normal_iteratorINS9_10device_ptrIxEEEESE_xNS9_4plusIvEExEEDaPvRmT3_T4_T5_mT6_P12ihipStream_tbENKUlT_T0_E_clISt17integral_constantIbLb1EEST_IbLb0EEEEDaSP_SQ_EUlSP_E0_NS1_11comp_targetILNS1_3genE3ELNS1_11target_archE908ELNS1_3gpuE7ELNS1_3repE0EEENS1_30default_config_static_selectorELNS0_4arch9wavefront6targetE1EEEvT1_
	.globl	_ZN7rocprim17ROCPRIM_400000_NS6detail17trampoline_kernelINS0_14default_configENS1_20scan_config_selectorIxEEZZNS1_9scan_implILNS1_25lookback_scan_determinismE0ELb1ELb1ES3_N6thrust23THRUST_200600_302600_NS6detail15normal_iteratorINS9_10device_ptrIxEEEESE_xNS9_4plusIvEExEEDaPvRmT3_T4_T5_mT6_P12ihipStream_tbENKUlT_T0_E_clISt17integral_constantIbLb1EEST_IbLb0EEEEDaSP_SQ_EUlSP_E0_NS1_11comp_targetILNS1_3genE3ELNS1_11target_archE908ELNS1_3gpuE7ELNS1_3repE0EEENS1_30default_config_static_selectorELNS0_4arch9wavefront6targetE1EEEvT1_
	.p2align	8
	.type	_ZN7rocprim17ROCPRIM_400000_NS6detail17trampoline_kernelINS0_14default_configENS1_20scan_config_selectorIxEEZZNS1_9scan_implILNS1_25lookback_scan_determinismE0ELb1ELb1ES3_N6thrust23THRUST_200600_302600_NS6detail15normal_iteratorINS9_10device_ptrIxEEEESE_xNS9_4plusIvEExEEDaPvRmT3_T4_T5_mT6_P12ihipStream_tbENKUlT_T0_E_clISt17integral_constantIbLb1EEST_IbLb0EEEEDaSP_SQ_EUlSP_E0_NS1_11comp_targetILNS1_3genE3ELNS1_11target_archE908ELNS1_3gpuE7ELNS1_3repE0EEENS1_30default_config_static_selectorELNS0_4arch9wavefront6targetE1EEEvT1_,@function
_ZN7rocprim17ROCPRIM_400000_NS6detail17trampoline_kernelINS0_14default_configENS1_20scan_config_selectorIxEEZZNS1_9scan_implILNS1_25lookback_scan_determinismE0ELb1ELb1ES3_N6thrust23THRUST_200600_302600_NS6detail15normal_iteratorINS9_10device_ptrIxEEEESE_xNS9_4plusIvEExEEDaPvRmT3_T4_T5_mT6_P12ihipStream_tbENKUlT_T0_E_clISt17integral_constantIbLb1EEST_IbLb0EEEEDaSP_SQ_EUlSP_E0_NS1_11comp_targetILNS1_3genE3ELNS1_11target_archE908ELNS1_3gpuE7ELNS1_3repE0EEENS1_30default_config_static_selectorELNS0_4arch9wavefront6targetE1EEEvT1_: ; @_ZN7rocprim17ROCPRIM_400000_NS6detail17trampoline_kernelINS0_14default_configENS1_20scan_config_selectorIxEEZZNS1_9scan_implILNS1_25lookback_scan_determinismE0ELb1ELb1ES3_N6thrust23THRUST_200600_302600_NS6detail15normal_iteratorINS9_10device_ptrIxEEEESE_xNS9_4plusIvEExEEDaPvRmT3_T4_T5_mT6_P12ihipStream_tbENKUlT_T0_E_clISt17integral_constantIbLb1EEST_IbLb0EEEEDaSP_SQ_EUlSP_E0_NS1_11comp_targetILNS1_3genE3ELNS1_11target_archE908ELNS1_3gpuE7ELNS1_3repE0EEENS1_30default_config_static_selectorELNS0_4arch9wavefront6targetE1EEEvT1_
; %bb.0:
	.section	.rodata,"a",@progbits
	.p2align	6, 0x0
	.amdhsa_kernel _ZN7rocprim17ROCPRIM_400000_NS6detail17trampoline_kernelINS0_14default_configENS1_20scan_config_selectorIxEEZZNS1_9scan_implILNS1_25lookback_scan_determinismE0ELb1ELb1ES3_N6thrust23THRUST_200600_302600_NS6detail15normal_iteratorINS9_10device_ptrIxEEEESE_xNS9_4plusIvEExEEDaPvRmT3_T4_T5_mT6_P12ihipStream_tbENKUlT_T0_E_clISt17integral_constantIbLb1EEST_IbLb0EEEEDaSP_SQ_EUlSP_E0_NS1_11comp_targetILNS1_3genE3ELNS1_11target_archE908ELNS1_3gpuE7ELNS1_3repE0EEENS1_30default_config_static_selectorELNS0_4arch9wavefront6targetE1EEEvT1_
		.amdhsa_group_segment_fixed_size 0
		.amdhsa_private_segment_fixed_size 0
		.amdhsa_kernarg_size 40
		.amdhsa_user_sgpr_count 6
		.amdhsa_user_sgpr_private_segment_buffer 1
		.amdhsa_user_sgpr_dispatch_ptr 0
		.amdhsa_user_sgpr_queue_ptr 0
		.amdhsa_user_sgpr_kernarg_segment_ptr 1
		.amdhsa_user_sgpr_dispatch_id 0
		.amdhsa_user_sgpr_flat_scratch_init 0
		.amdhsa_user_sgpr_kernarg_preload_length 0
		.amdhsa_user_sgpr_kernarg_preload_offset 0
		.amdhsa_user_sgpr_private_segment_size 0
		.amdhsa_uses_dynamic_stack 0
		.amdhsa_system_sgpr_private_segment_wavefront_offset 0
		.amdhsa_system_sgpr_workgroup_id_x 1
		.amdhsa_system_sgpr_workgroup_id_y 0
		.amdhsa_system_sgpr_workgroup_id_z 0
		.amdhsa_system_sgpr_workgroup_info 0
		.amdhsa_system_vgpr_workitem_id 0
		.amdhsa_next_free_vgpr 1
		.amdhsa_next_free_sgpr 0
		.amdhsa_accum_offset 4
		.amdhsa_reserve_vcc 0
		.amdhsa_reserve_flat_scratch 0
		.amdhsa_float_round_mode_32 0
		.amdhsa_float_round_mode_16_64 0
		.amdhsa_float_denorm_mode_32 3
		.amdhsa_float_denorm_mode_16_64 3
		.amdhsa_dx10_clamp 1
		.amdhsa_ieee_mode 1
		.amdhsa_fp16_overflow 0
		.amdhsa_tg_split 0
		.amdhsa_exception_fp_ieee_invalid_op 0
		.amdhsa_exception_fp_denorm_src 0
		.amdhsa_exception_fp_ieee_div_zero 0
		.amdhsa_exception_fp_ieee_overflow 0
		.amdhsa_exception_fp_ieee_underflow 0
		.amdhsa_exception_fp_ieee_inexact 0
		.amdhsa_exception_int_div_zero 0
	.end_amdhsa_kernel
	.section	.text._ZN7rocprim17ROCPRIM_400000_NS6detail17trampoline_kernelINS0_14default_configENS1_20scan_config_selectorIxEEZZNS1_9scan_implILNS1_25lookback_scan_determinismE0ELb1ELb1ES3_N6thrust23THRUST_200600_302600_NS6detail15normal_iteratorINS9_10device_ptrIxEEEESE_xNS9_4plusIvEExEEDaPvRmT3_T4_T5_mT6_P12ihipStream_tbENKUlT_T0_E_clISt17integral_constantIbLb1EEST_IbLb0EEEEDaSP_SQ_EUlSP_E0_NS1_11comp_targetILNS1_3genE3ELNS1_11target_archE908ELNS1_3gpuE7ELNS1_3repE0EEENS1_30default_config_static_selectorELNS0_4arch9wavefront6targetE1EEEvT1_,"axG",@progbits,_ZN7rocprim17ROCPRIM_400000_NS6detail17trampoline_kernelINS0_14default_configENS1_20scan_config_selectorIxEEZZNS1_9scan_implILNS1_25lookback_scan_determinismE0ELb1ELb1ES3_N6thrust23THRUST_200600_302600_NS6detail15normal_iteratorINS9_10device_ptrIxEEEESE_xNS9_4plusIvEExEEDaPvRmT3_T4_T5_mT6_P12ihipStream_tbENKUlT_T0_E_clISt17integral_constantIbLb1EEST_IbLb0EEEEDaSP_SQ_EUlSP_E0_NS1_11comp_targetILNS1_3genE3ELNS1_11target_archE908ELNS1_3gpuE7ELNS1_3repE0EEENS1_30default_config_static_selectorELNS0_4arch9wavefront6targetE1EEEvT1_,comdat
.Lfunc_end174:
	.size	_ZN7rocprim17ROCPRIM_400000_NS6detail17trampoline_kernelINS0_14default_configENS1_20scan_config_selectorIxEEZZNS1_9scan_implILNS1_25lookback_scan_determinismE0ELb1ELb1ES3_N6thrust23THRUST_200600_302600_NS6detail15normal_iteratorINS9_10device_ptrIxEEEESE_xNS9_4plusIvEExEEDaPvRmT3_T4_T5_mT6_P12ihipStream_tbENKUlT_T0_E_clISt17integral_constantIbLb1EEST_IbLb0EEEEDaSP_SQ_EUlSP_E0_NS1_11comp_targetILNS1_3genE3ELNS1_11target_archE908ELNS1_3gpuE7ELNS1_3repE0EEENS1_30default_config_static_selectorELNS0_4arch9wavefront6targetE1EEEvT1_, .Lfunc_end174-_ZN7rocprim17ROCPRIM_400000_NS6detail17trampoline_kernelINS0_14default_configENS1_20scan_config_selectorIxEEZZNS1_9scan_implILNS1_25lookback_scan_determinismE0ELb1ELb1ES3_N6thrust23THRUST_200600_302600_NS6detail15normal_iteratorINS9_10device_ptrIxEEEESE_xNS9_4plusIvEExEEDaPvRmT3_T4_T5_mT6_P12ihipStream_tbENKUlT_T0_E_clISt17integral_constantIbLb1EEST_IbLb0EEEEDaSP_SQ_EUlSP_E0_NS1_11comp_targetILNS1_3genE3ELNS1_11target_archE908ELNS1_3gpuE7ELNS1_3repE0EEENS1_30default_config_static_selectorELNS0_4arch9wavefront6targetE1EEEvT1_
                                        ; -- End function
	.section	.AMDGPU.csdata,"",@progbits
; Kernel info:
; codeLenInByte = 0
; NumSgprs: 4
; NumVgprs: 0
; NumAgprs: 0
; TotalNumVgprs: 0
; ScratchSize: 0
; MemoryBound: 0
; FloatMode: 240
; IeeeMode: 1
; LDSByteSize: 0 bytes/workgroup (compile time only)
; SGPRBlocks: 0
; VGPRBlocks: 0
; NumSGPRsForWavesPerEU: 4
; NumVGPRsForWavesPerEU: 1
; AccumOffset: 4
; Occupancy: 8
; WaveLimiterHint : 0
; COMPUTE_PGM_RSRC2:SCRATCH_EN: 0
; COMPUTE_PGM_RSRC2:USER_SGPR: 6
; COMPUTE_PGM_RSRC2:TRAP_HANDLER: 0
; COMPUTE_PGM_RSRC2:TGID_X_EN: 1
; COMPUTE_PGM_RSRC2:TGID_Y_EN: 0
; COMPUTE_PGM_RSRC2:TGID_Z_EN: 0
; COMPUTE_PGM_RSRC2:TIDIG_COMP_CNT: 0
; COMPUTE_PGM_RSRC3_GFX90A:ACCUM_OFFSET: 0
; COMPUTE_PGM_RSRC3_GFX90A:TG_SPLIT: 0
	.section	.text._ZN7rocprim17ROCPRIM_400000_NS6detail17trampoline_kernelINS0_14default_configENS1_20scan_config_selectorIxEEZZNS1_9scan_implILNS1_25lookback_scan_determinismE0ELb1ELb1ES3_N6thrust23THRUST_200600_302600_NS6detail15normal_iteratorINS9_10device_ptrIxEEEESE_xNS9_4plusIvEExEEDaPvRmT3_T4_T5_mT6_P12ihipStream_tbENKUlT_T0_E_clISt17integral_constantIbLb1EEST_IbLb0EEEEDaSP_SQ_EUlSP_E0_NS1_11comp_targetILNS1_3genE2ELNS1_11target_archE906ELNS1_3gpuE6ELNS1_3repE0EEENS1_30default_config_static_selectorELNS0_4arch9wavefront6targetE1EEEvT1_,"axG",@progbits,_ZN7rocprim17ROCPRIM_400000_NS6detail17trampoline_kernelINS0_14default_configENS1_20scan_config_selectorIxEEZZNS1_9scan_implILNS1_25lookback_scan_determinismE0ELb1ELb1ES3_N6thrust23THRUST_200600_302600_NS6detail15normal_iteratorINS9_10device_ptrIxEEEESE_xNS9_4plusIvEExEEDaPvRmT3_T4_T5_mT6_P12ihipStream_tbENKUlT_T0_E_clISt17integral_constantIbLb1EEST_IbLb0EEEEDaSP_SQ_EUlSP_E0_NS1_11comp_targetILNS1_3genE2ELNS1_11target_archE906ELNS1_3gpuE6ELNS1_3repE0EEENS1_30default_config_static_selectorELNS0_4arch9wavefront6targetE1EEEvT1_,comdat
	.protected	_ZN7rocprim17ROCPRIM_400000_NS6detail17trampoline_kernelINS0_14default_configENS1_20scan_config_selectorIxEEZZNS1_9scan_implILNS1_25lookback_scan_determinismE0ELb1ELb1ES3_N6thrust23THRUST_200600_302600_NS6detail15normal_iteratorINS9_10device_ptrIxEEEESE_xNS9_4plusIvEExEEDaPvRmT3_T4_T5_mT6_P12ihipStream_tbENKUlT_T0_E_clISt17integral_constantIbLb1EEST_IbLb0EEEEDaSP_SQ_EUlSP_E0_NS1_11comp_targetILNS1_3genE2ELNS1_11target_archE906ELNS1_3gpuE6ELNS1_3repE0EEENS1_30default_config_static_selectorELNS0_4arch9wavefront6targetE1EEEvT1_ ; -- Begin function _ZN7rocprim17ROCPRIM_400000_NS6detail17trampoline_kernelINS0_14default_configENS1_20scan_config_selectorIxEEZZNS1_9scan_implILNS1_25lookback_scan_determinismE0ELb1ELb1ES3_N6thrust23THRUST_200600_302600_NS6detail15normal_iteratorINS9_10device_ptrIxEEEESE_xNS9_4plusIvEExEEDaPvRmT3_T4_T5_mT6_P12ihipStream_tbENKUlT_T0_E_clISt17integral_constantIbLb1EEST_IbLb0EEEEDaSP_SQ_EUlSP_E0_NS1_11comp_targetILNS1_3genE2ELNS1_11target_archE906ELNS1_3gpuE6ELNS1_3repE0EEENS1_30default_config_static_selectorELNS0_4arch9wavefront6targetE1EEEvT1_
	.globl	_ZN7rocprim17ROCPRIM_400000_NS6detail17trampoline_kernelINS0_14default_configENS1_20scan_config_selectorIxEEZZNS1_9scan_implILNS1_25lookback_scan_determinismE0ELb1ELb1ES3_N6thrust23THRUST_200600_302600_NS6detail15normal_iteratorINS9_10device_ptrIxEEEESE_xNS9_4plusIvEExEEDaPvRmT3_T4_T5_mT6_P12ihipStream_tbENKUlT_T0_E_clISt17integral_constantIbLb1EEST_IbLb0EEEEDaSP_SQ_EUlSP_E0_NS1_11comp_targetILNS1_3genE2ELNS1_11target_archE906ELNS1_3gpuE6ELNS1_3repE0EEENS1_30default_config_static_selectorELNS0_4arch9wavefront6targetE1EEEvT1_
	.p2align	8
	.type	_ZN7rocprim17ROCPRIM_400000_NS6detail17trampoline_kernelINS0_14default_configENS1_20scan_config_selectorIxEEZZNS1_9scan_implILNS1_25lookback_scan_determinismE0ELb1ELb1ES3_N6thrust23THRUST_200600_302600_NS6detail15normal_iteratorINS9_10device_ptrIxEEEESE_xNS9_4plusIvEExEEDaPvRmT3_T4_T5_mT6_P12ihipStream_tbENKUlT_T0_E_clISt17integral_constantIbLb1EEST_IbLb0EEEEDaSP_SQ_EUlSP_E0_NS1_11comp_targetILNS1_3genE2ELNS1_11target_archE906ELNS1_3gpuE6ELNS1_3repE0EEENS1_30default_config_static_selectorELNS0_4arch9wavefront6targetE1EEEvT1_,@function
_ZN7rocprim17ROCPRIM_400000_NS6detail17trampoline_kernelINS0_14default_configENS1_20scan_config_selectorIxEEZZNS1_9scan_implILNS1_25lookback_scan_determinismE0ELb1ELb1ES3_N6thrust23THRUST_200600_302600_NS6detail15normal_iteratorINS9_10device_ptrIxEEEESE_xNS9_4plusIvEExEEDaPvRmT3_T4_T5_mT6_P12ihipStream_tbENKUlT_T0_E_clISt17integral_constantIbLb1EEST_IbLb0EEEEDaSP_SQ_EUlSP_E0_NS1_11comp_targetILNS1_3genE2ELNS1_11target_archE906ELNS1_3gpuE6ELNS1_3repE0EEENS1_30default_config_static_selectorELNS0_4arch9wavefront6targetE1EEEvT1_: ; @_ZN7rocprim17ROCPRIM_400000_NS6detail17trampoline_kernelINS0_14default_configENS1_20scan_config_selectorIxEEZZNS1_9scan_implILNS1_25lookback_scan_determinismE0ELb1ELb1ES3_N6thrust23THRUST_200600_302600_NS6detail15normal_iteratorINS9_10device_ptrIxEEEESE_xNS9_4plusIvEExEEDaPvRmT3_T4_T5_mT6_P12ihipStream_tbENKUlT_T0_E_clISt17integral_constantIbLb1EEST_IbLb0EEEEDaSP_SQ_EUlSP_E0_NS1_11comp_targetILNS1_3genE2ELNS1_11target_archE906ELNS1_3gpuE6ELNS1_3repE0EEENS1_30default_config_static_selectorELNS0_4arch9wavefront6targetE1EEEvT1_
; %bb.0:
	.section	.rodata,"a",@progbits
	.p2align	6, 0x0
	.amdhsa_kernel _ZN7rocprim17ROCPRIM_400000_NS6detail17trampoline_kernelINS0_14default_configENS1_20scan_config_selectorIxEEZZNS1_9scan_implILNS1_25lookback_scan_determinismE0ELb1ELb1ES3_N6thrust23THRUST_200600_302600_NS6detail15normal_iteratorINS9_10device_ptrIxEEEESE_xNS9_4plusIvEExEEDaPvRmT3_T4_T5_mT6_P12ihipStream_tbENKUlT_T0_E_clISt17integral_constantIbLb1EEST_IbLb0EEEEDaSP_SQ_EUlSP_E0_NS1_11comp_targetILNS1_3genE2ELNS1_11target_archE906ELNS1_3gpuE6ELNS1_3repE0EEENS1_30default_config_static_selectorELNS0_4arch9wavefront6targetE1EEEvT1_
		.amdhsa_group_segment_fixed_size 0
		.amdhsa_private_segment_fixed_size 0
		.amdhsa_kernarg_size 40
		.amdhsa_user_sgpr_count 6
		.amdhsa_user_sgpr_private_segment_buffer 1
		.amdhsa_user_sgpr_dispatch_ptr 0
		.amdhsa_user_sgpr_queue_ptr 0
		.amdhsa_user_sgpr_kernarg_segment_ptr 1
		.amdhsa_user_sgpr_dispatch_id 0
		.amdhsa_user_sgpr_flat_scratch_init 0
		.amdhsa_user_sgpr_kernarg_preload_length 0
		.amdhsa_user_sgpr_kernarg_preload_offset 0
		.amdhsa_user_sgpr_private_segment_size 0
		.amdhsa_uses_dynamic_stack 0
		.amdhsa_system_sgpr_private_segment_wavefront_offset 0
		.amdhsa_system_sgpr_workgroup_id_x 1
		.amdhsa_system_sgpr_workgroup_id_y 0
		.amdhsa_system_sgpr_workgroup_id_z 0
		.amdhsa_system_sgpr_workgroup_info 0
		.amdhsa_system_vgpr_workitem_id 0
		.amdhsa_next_free_vgpr 1
		.amdhsa_next_free_sgpr 0
		.amdhsa_accum_offset 4
		.amdhsa_reserve_vcc 0
		.amdhsa_reserve_flat_scratch 0
		.amdhsa_float_round_mode_32 0
		.amdhsa_float_round_mode_16_64 0
		.amdhsa_float_denorm_mode_32 3
		.amdhsa_float_denorm_mode_16_64 3
		.amdhsa_dx10_clamp 1
		.amdhsa_ieee_mode 1
		.amdhsa_fp16_overflow 0
		.amdhsa_tg_split 0
		.amdhsa_exception_fp_ieee_invalid_op 0
		.amdhsa_exception_fp_denorm_src 0
		.amdhsa_exception_fp_ieee_div_zero 0
		.amdhsa_exception_fp_ieee_overflow 0
		.amdhsa_exception_fp_ieee_underflow 0
		.amdhsa_exception_fp_ieee_inexact 0
		.amdhsa_exception_int_div_zero 0
	.end_amdhsa_kernel
	.section	.text._ZN7rocprim17ROCPRIM_400000_NS6detail17trampoline_kernelINS0_14default_configENS1_20scan_config_selectorIxEEZZNS1_9scan_implILNS1_25lookback_scan_determinismE0ELb1ELb1ES3_N6thrust23THRUST_200600_302600_NS6detail15normal_iteratorINS9_10device_ptrIxEEEESE_xNS9_4plusIvEExEEDaPvRmT3_T4_T5_mT6_P12ihipStream_tbENKUlT_T0_E_clISt17integral_constantIbLb1EEST_IbLb0EEEEDaSP_SQ_EUlSP_E0_NS1_11comp_targetILNS1_3genE2ELNS1_11target_archE906ELNS1_3gpuE6ELNS1_3repE0EEENS1_30default_config_static_selectorELNS0_4arch9wavefront6targetE1EEEvT1_,"axG",@progbits,_ZN7rocprim17ROCPRIM_400000_NS6detail17trampoline_kernelINS0_14default_configENS1_20scan_config_selectorIxEEZZNS1_9scan_implILNS1_25lookback_scan_determinismE0ELb1ELb1ES3_N6thrust23THRUST_200600_302600_NS6detail15normal_iteratorINS9_10device_ptrIxEEEESE_xNS9_4plusIvEExEEDaPvRmT3_T4_T5_mT6_P12ihipStream_tbENKUlT_T0_E_clISt17integral_constantIbLb1EEST_IbLb0EEEEDaSP_SQ_EUlSP_E0_NS1_11comp_targetILNS1_3genE2ELNS1_11target_archE906ELNS1_3gpuE6ELNS1_3repE0EEENS1_30default_config_static_selectorELNS0_4arch9wavefront6targetE1EEEvT1_,comdat
.Lfunc_end175:
	.size	_ZN7rocprim17ROCPRIM_400000_NS6detail17trampoline_kernelINS0_14default_configENS1_20scan_config_selectorIxEEZZNS1_9scan_implILNS1_25lookback_scan_determinismE0ELb1ELb1ES3_N6thrust23THRUST_200600_302600_NS6detail15normal_iteratorINS9_10device_ptrIxEEEESE_xNS9_4plusIvEExEEDaPvRmT3_T4_T5_mT6_P12ihipStream_tbENKUlT_T0_E_clISt17integral_constantIbLb1EEST_IbLb0EEEEDaSP_SQ_EUlSP_E0_NS1_11comp_targetILNS1_3genE2ELNS1_11target_archE906ELNS1_3gpuE6ELNS1_3repE0EEENS1_30default_config_static_selectorELNS0_4arch9wavefront6targetE1EEEvT1_, .Lfunc_end175-_ZN7rocprim17ROCPRIM_400000_NS6detail17trampoline_kernelINS0_14default_configENS1_20scan_config_selectorIxEEZZNS1_9scan_implILNS1_25lookback_scan_determinismE0ELb1ELb1ES3_N6thrust23THRUST_200600_302600_NS6detail15normal_iteratorINS9_10device_ptrIxEEEESE_xNS9_4plusIvEExEEDaPvRmT3_T4_T5_mT6_P12ihipStream_tbENKUlT_T0_E_clISt17integral_constantIbLb1EEST_IbLb0EEEEDaSP_SQ_EUlSP_E0_NS1_11comp_targetILNS1_3genE2ELNS1_11target_archE906ELNS1_3gpuE6ELNS1_3repE0EEENS1_30default_config_static_selectorELNS0_4arch9wavefront6targetE1EEEvT1_
                                        ; -- End function
	.section	.AMDGPU.csdata,"",@progbits
; Kernel info:
; codeLenInByte = 0
; NumSgprs: 4
; NumVgprs: 0
; NumAgprs: 0
; TotalNumVgprs: 0
; ScratchSize: 0
; MemoryBound: 0
; FloatMode: 240
; IeeeMode: 1
; LDSByteSize: 0 bytes/workgroup (compile time only)
; SGPRBlocks: 0
; VGPRBlocks: 0
; NumSGPRsForWavesPerEU: 4
; NumVGPRsForWavesPerEU: 1
; AccumOffset: 4
; Occupancy: 8
; WaveLimiterHint : 0
; COMPUTE_PGM_RSRC2:SCRATCH_EN: 0
; COMPUTE_PGM_RSRC2:USER_SGPR: 6
; COMPUTE_PGM_RSRC2:TRAP_HANDLER: 0
; COMPUTE_PGM_RSRC2:TGID_X_EN: 1
; COMPUTE_PGM_RSRC2:TGID_Y_EN: 0
; COMPUTE_PGM_RSRC2:TGID_Z_EN: 0
; COMPUTE_PGM_RSRC2:TIDIG_COMP_CNT: 0
; COMPUTE_PGM_RSRC3_GFX90A:ACCUM_OFFSET: 0
; COMPUTE_PGM_RSRC3_GFX90A:TG_SPLIT: 0
	.section	.text._ZN7rocprim17ROCPRIM_400000_NS6detail17trampoline_kernelINS0_14default_configENS1_20scan_config_selectorIxEEZZNS1_9scan_implILNS1_25lookback_scan_determinismE0ELb1ELb1ES3_N6thrust23THRUST_200600_302600_NS6detail15normal_iteratorINS9_10device_ptrIxEEEESE_xNS9_4plusIvEExEEDaPvRmT3_T4_T5_mT6_P12ihipStream_tbENKUlT_T0_E_clISt17integral_constantIbLb1EEST_IbLb0EEEEDaSP_SQ_EUlSP_E0_NS1_11comp_targetILNS1_3genE10ELNS1_11target_archE1201ELNS1_3gpuE5ELNS1_3repE0EEENS1_30default_config_static_selectorELNS0_4arch9wavefront6targetE1EEEvT1_,"axG",@progbits,_ZN7rocprim17ROCPRIM_400000_NS6detail17trampoline_kernelINS0_14default_configENS1_20scan_config_selectorIxEEZZNS1_9scan_implILNS1_25lookback_scan_determinismE0ELb1ELb1ES3_N6thrust23THRUST_200600_302600_NS6detail15normal_iteratorINS9_10device_ptrIxEEEESE_xNS9_4plusIvEExEEDaPvRmT3_T4_T5_mT6_P12ihipStream_tbENKUlT_T0_E_clISt17integral_constantIbLb1EEST_IbLb0EEEEDaSP_SQ_EUlSP_E0_NS1_11comp_targetILNS1_3genE10ELNS1_11target_archE1201ELNS1_3gpuE5ELNS1_3repE0EEENS1_30default_config_static_selectorELNS0_4arch9wavefront6targetE1EEEvT1_,comdat
	.protected	_ZN7rocprim17ROCPRIM_400000_NS6detail17trampoline_kernelINS0_14default_configENS1_20scan_config_selectorIxEEZZNS1_9scan_implILNS1_25lookback_scan_determinismE0ELb1ELb1ES3_N6thrust23THRUST_200600_302600_NS6detail15normal_iteratorINS9_10device_ptrIxEEEESE_xNS9_4plusIvEExEEDaPvRmT3_T4_T5_mT6_P12ihipStream_tbENKUlT_T0_E_clISt17integral_constantIbLb1EEST_IbLb0EEEEDaSP_SQ_EUlSP_E0_NS1_11comp_targetILNS1_3genE10ELNS1_11target_archE1201ELNS1_3gpuE5ELNS1_3repE0EEENS1_30default_config_static_selectorELNS0_4arch9wavefront6targetE1EEEvT1_ ; -- Begin function _ZN7rocprim17ROCPRIM_400000_NS6detail17trampoline_kernelINS0_14default_configENS1_20scan_config_selectorIxEEZZNS1_9scan_implILNS1_25lookback_scan_determinismE0ELb1ELb1ES3_N6thrust23THRUST_200600_302600_NS6detail15normal_iteratorINS9_10device_ptrIxEEEESE_xNS9_4plusIvEExEEDaPvRmT3_T4_T5_mT6_P12ihipStream_tbENKUlT_T0_E_clISt17integral_constantIbLb1EEST_IbLb0EEEEDaSP_SQ_EUlSP_E0_NS1_11comp_targetILNS1_3genE10ELNS1_11target_archE1201ELNS1_3gpuE5ELNS1_3repE0EEENS1_30default_config_static_selectorELNS0_4arch9wavefront6targetE1EEEvT1_
	.globl	_ZN7rocprim17ROCPRIM_400000_NS6detail17trampoline_kernelINS0_14default_configENS1_20scan_config_selectorIxEEZZNS1_9scan_implILNS1_25lookback_scan_determinismE0ELb1ELb1ES3_N6thrust23THRUST_200600_302600_NS6detail15normal_iteratorINS9_10device_ptrIxEEEESE_xNS9_4plusIvEExEEDaPvRmT3_T4_T5_mT6_P12ihipStream_tbENKUlT_T0_E_clISt17integral_constantIbLb1EEST_IbLb0EEEEDaSP_SQ_EUlSP_E0_NS1_11comp_targetILNS1_3genE10ELNS1_11target_archE1201ELNS1_3gpuE5ELNS1_3repE0EEENS1_30default_config_static_selectorELNS0_4arch9wavefront6targetE1EEEvT1_
	.p2align	8
	.type	_ZN7rocprim17ROCPRIM_400000_NS6detail17trampoline_kernelINS0_14default_configENS1_20scan_config_selectorIxEEZZNS1_9scan_implILNS1_25lookback_scan_determinismE0ELb1ELb1ES3_N6thrust23THRUST_200600_302600_NS6detail15normal_iteratorINS9_10device_ptrIxEEEESE_xNS9_4plusIvEExEEDaPvRmT3_T4_T5_mT6_P12ihipStream_tbENKUlT_T0_E_clISt17integral_constantIbLb1EEST_IbLb0EEEEDaSP_SQ_EUlSP_E0_NS1_11comp_targetILNS1_3genE10ELNS1_11target_archE1201ELNS1_3gpuE5ELNS1_3repE0EEENS1_30default_config_static_selectorELNS0_4arch9wavefront6targetE1EEEvT1_,@function
_ZN7rocprim17ROCPRIM_400000_NS6detail17trampoline_kernelINS0_14default_configENS1_20scan_config_selectorIxEEZZNS1_9scan_implILNS1_25lookback_scan_determinismE0ELb1ELb1ES3_N6thrust23THRUST_200600_302600_NS6detail15normal_iteratorINS9_10device_ptrIxEEEESE_xNS9_4plusIvEExEEDaPvRmT3_T4_T5_mT6_P12ihipStream_tbENKUlT_T0_E_clISt17integral_constantIbLb1EEST_IbLb0EEEEDaSP_SQ_EUlSP_E0_NS1_11comp_targetILNS1_3genE10ELNS1_11target_archE1201ELNS1_3gpuE5ELNS1_3repE0EEENS1_30default_config_static_selectorELNS0_4arch9wavefront6targetE1EEEvT1_: ; @_ZN7rocprim17ROCPRIM_400000_NS6detail17trampoline_kernelINS0_14default_configENS1_20scan_config_selectorIxEEZZNS1_9scan_implILNS1_25lookback_scan_determinismE0ELb1ELb1ES3_N6thrust23THRUST_200600_302600_NS6detail15normal_iteratorINS9_10device_ptrIxEEEESE_xNS9_4plusIvEExEEDaPvRmT3_T4_T5_mT6_P12ihipStream_tbENKUlT_T0_E_clISt17integral_constantIbLb1EEST_IbLb0EEEEDaSP_SQ_EUlSP_E0_NS1_11comp_targetILNS1_3genE10ELNS1_11target_archE1201ELNS1_3gpuE5ELNS1_3repE0EEENS1_30default_config_static_selectorELNS0_4arch9wavefront6targetE1EEEvT1_
; %bb.0:
	.section	.rodata,"a",@progbits
	.p2align	6, 0x0
	.amdhsa_kernel _ZN7rocprim17ROCPRIM_400000_NS6detail17trampoline_kernelINS0_14default_configENS1_20scan_config_selectorIxEEZZNS1_9scan_implILNS1_25lookback_scan_determinismE0ELb1ELb1ES3_N6thrust23THRUST_200600_302600_NS6detail15normal_iteratorINS9_10device_ptrIxEEEESE_xNS9_4plusIvEExEEDaPvRmT3_T4_T5_mT6_P12ihipStream_tbENKUlT_T0_E_clISt17integral_constantIbLb1EEST_IbLb0EEEEDaSP_SQ_EUlSP_E0_NS1_11comp_targetILNS1_3genE10ELNS1_11target_archE1201ELNS1_3gpuE5ELNS1_3repE0EEENS1_30default_config_static_selectorELNS0_4arch9wavefront6targetE1EEEvT1_
		.amdhsa_group_segment_fixed_size 0
		.amdhsa_private_segment_fixed_size 0
		.amdhsa_kernarg_size 40
		.amdhsa_user_sgpr_count 6
		.amdhsa_user_sgpr_private_segment_buffer 1
		.amdhsa_user_sgpr_dispatch_ptr 0
		.amdhsa_user_sgpr_queue_ptr 0
		.amdhsa_user_sgpr_kernarg_segment_ptr 1
		.amdhsa_user_sgpr_dispatch_id 0
		.amdhsa_user_sgpr_flat_scratch_init 0
		.amdhsa_user_sgpr_kernarg_preload_length 0
		.amdhsa_user_sgpr_kernarg_preload_offset 0
		.amdhsa_user_sgpr_private_segment_size 0
		.amdhsa_uses_dynamic_stack 0
		.amdhsa_system_sgpr_private_segment_wavefront_offset 0
		.amdhsa_system_sgpr_workgroup_id_x 1
		.amdhsa_system_sgpr_workgroup_id_y 0
		.amdhsa_system_sgpr_workgroup_id_z 0
		.amdhsa_system_sgpr_workgroup_info 0
		.amdhsa_system_vgpr_workitem_id 0
		.amdhsa_next_free_vgpr 1
		.amdhsa_next_free_sgpr 0
		.amdhsa_accum_offset 4
		.amdhsa_reserve_vcc 0
		.amdhsa_reserve_flat_scratch 0
		.amdhsa_float_round_mode_32 0
		.amdhsa_float_round_mode_16_64 0
		.amdhsa_float_denorm_mode_32 3
		.amdhsa_float_denorm_mode_16_64 3
		.amdhsa_dx10_clamp 1
		.amdhsa_ieee_mode 1
		.amdhsa_fp16_overflow 0
		.amdhsa_tg_split 0
		.amdhsa_exception_fp_ieee_invalid_op 0
		.amdhsa_exception_fp_denorm_src 0
		.amdhsa_exception_fp_ieee_div_zero 0
		.amdhsa_exception_fp_ieee_overflow 0
		.amdhsa_exception_fp_ieee_underflow 0
		.amdhsa_exception_fp_ieee_inexact 0
		.amdhsa_exception_int_div_zero 0
	.end_amdhsa_kernel
	.section	.text._ZN7rocprim17ROCPRIM_400000_NS6detail17trampoline_kernelINS0_14default_configENS1_20scan_config_selectorIxEEZZNS1_9scan_implILNS1_25lookback_scan_determinismE0ELb1ELb1ES3_N6thrust23THRUST_200600_302600_NS6detail15normal_iteratorINS9_10device_ptrIxEEEESE_xNS9_4plusIvEExEEDaPvRmT3_T4_T5_mT6_P12ihipStream_tbENKUlT_T0_E_clISt17integral_constantIbLb1EEST_IbLb0EEEEDaSP_SQ_EUlSP_E0_NS1_11comp_targetILNS1_3genE10ELNS1_11target_archE1201ELNS1_3gpuE5ELNS1_3repE0EEENS1_30default_config_static_selectorELNS0_4arch9wavefront6targetE1EEEvT1_,"axG",@progbits,_ZN7rocprim17ROCPRIM_400000_NS6detail17trampoline_kernelINS0_14default_configENS1_20scan_config_selectorIxEEZZNS1_9scan_implILNS1_25lookback_scan_determinismE0ELb1ELb1ES3_N6thrust23THRUST_200600_302600_NS6detail15normal_iteratorINS9_10device_ptrIxEEEESE_xNS9_4plusIvEExEEDaPvRmT3_T4_T5_mT6_P12ihipStream_tbENKUlT_T0_E_clISt17integral_constantIbLb1EEST_IbLb0EEEEDaSP_SQ_EUlSP_E0_NS1_11comp_targetILNS1_3genE10ELNS1_11target_archE1201ELNS1_3gpuE5ELNS1_3repE0EEENS1_30default_config_static_selectorELNS0_4arch9wavefront6targetE1EEEvT1_,comdat
.Lfunc_end176:
	.size	_ZN7rocprim17ROCPRIM_400000_NS6detail17trampoline_kernelINS0_14default_configENS1_20scan_config_selectorIxEEZZNS1_9scan_implILNS1_25lookback_scan_determinismE0ELb1ELb1ES3_N6thrust23THRUST_200600_302600_NS6detail15normal_iteratorINS9_10device_ptrIxEEEESE_xNS9_4plusIvEExEEDaPvRmT3_T4_T5_mT6_P12ihipStream_tbENKUlT_T0_E_clISt17integral_constantIbLb1EEST_IbLb0EEEEDaSP_SQ_EUlSP_E0_NS1_11comp_targetILNS1_3genE10ELNS1_11target_archE1201ELNS1_3gpuE5ELNS1_3repE0EEENS1_30default_config_static_selectorELNS0_4arch9wavefront6targetE1EEEvT1_, .Lfunc_end176-_ZN7rocprim17ROCPRIM_400000_NS6detail17trampoline_kernelINS0_14default_configENS1_20scan_config_selectorIxEEZZNS1_9scan_implILNS1_25lookback_scan_determinismE0ELb1ELb1ES3_N6thrust23THRUST_200600_302600_NS6detail15normal_iteratorINS9_10device_ptrIxEEEESE_xNS9_4plusIvEExEEDaPvRmT3_T4_T5_mT6_P12ihipStream_tbENKUlT_T0_E_clISt17integral_constantIbLb1EEST_IbLb0EEEEDaSP_SQ_EUlSP_E0_NS1_11comp_targetILNS1_3genE10ELNS1_11target_archE1201ELNS1_3gpuE5ELNS1_3repE0EEENS1_30default_config_static_selectorELNS0_4arch9wavefront6targetE1EEEvT1_
                                        ; -- End function
	.section	.AMDGPU.csdata,"",@progbits
; Kernel info:
; codeLenInByte = 0
; NumSgprs: 4
; NumVgprs: 0
; NumAgprs: 0
; TotalNumVgprs: 0
; ScratchSize: 0
; MemoryBound: 0
; FloatMode: 240
; IeeeMode: 1
; LDSByteSize: 0 bytes/workgroup (compile time only)
; SGPRBlocks: 0
; VGPRBlocks: 0
; NumSGPRsForWavesPerEU: 4
; NumVGPRsForWavesPerEU: 1
; AccumOffset: 4
; Occupancy: 8
; WaveLimiterHint : 0
; COMPUTE_PGM_RSRC2:SCRATCH_EN: 0
; COMPUTE_PGM_RSRC2:USER_SGPR: 6
; COMPUTE_PGM_RSRC2:TRAP_HANDLER: 0
; COMPUTE_PGM_RSRC2:TGID_X_EN: 1
; COMPUTE_PGM_RSRC2:TGID_Y_EN: 0
; COMPUTE_PGM_RSRC2:TGID_Z_EN: 0
; COMPUTE_PGM_RSRC2:TIDIG_COMP_CNT: 0
; COMPUTE_PGM_RSRC3_GFX90A:ACCUM_OFFSET: 0
; COMPUTE_PGM_RSRC3_GFX90A:TG_SPLIT: 0
	.section	.text._ZN7rocprim17ROCPRIM_400000_NS6detail17trampoline_kernelINS0_14default_configENS1_20scan_config_selectorIxEEZZNS1_9scan_implILNS1_25lookback_scan_determinismE0ELb1ELb1ES3_N6thrust23THRUST_200600_302600_NS6detail15normal_iteratorINS9_10device_ptrIxEEEESE_xNS9_4plusIvEExEEDaPvRmT3_T4_T5_mT6_P12ihipStream_tbENKUlT_T0_E_clISt17integral_constantIbLb1EEST_IbLb0EEEEDaSP_SQ_EUlSP_E0_NS1_11comp_targetILNS1_3genE10ELNS1_11target_archE1200ELNS1_3gpuE4ELNS1_3repE0EEENS1_30default_config_static_selectorELNS0_4arch9wavefront6targetE1EEEvT1_,"axG",@progbits,_ZN7rocprim17ROCPRIM_400000_NS6detail17trampoline_kernelINS0_14default_configENS1_20scan_config_selectorIxEEZZNS1_9scan_implILNS1_25lookback_scan_determinismE0ELb1ELb1ES3_N6thrust23THRUST_200600_302600_NS6detail15normal_iteratorINS9_10device_ptrIxEEEESE_xNS9_4plusIvEExEEDaPvRmT3_T4_T5_mT6_P12ihipStream_tbENKUlT_T0_E_clISt17integral_constantIbLb1EEST_IbLb0EEEEDaSP_SQ_EUlSP_E0_NS1_11comp_targetILNS1_3genE10ELNS1_11target_archE1200ELNS1_3gpuE4ELNS1_3repE0EEENS1_30default_config_static_selectorELNS0_4arch9wavefront6targetE1EEEvT1_,comdat
	.protected	_ZN7rocprim17ROCPRIM_400000_NS6detail17trampoline_kernelINS0_14default_configENS1_20scan_config_selectorIxEEZZNS1_9scan_implILNS1_25lookback_scan_determinismE0ELb1ELb1ES3_N6thrust23THRUST_200600_302600_NS6detail15normal_iteratorINS9_10device_ptrIxEEEESE_xNS9_4plusIvEExEEDaPvRmT3_T4_T5_mT6_P12ihipStream_tbENKUlT_T0_E_clISt17integral_constantIbLb1EEST_IbLb0EEEEDaSP_SQ_EUlSP_E0_NS1_11comp_targetILNS1_3genE10ELNS1_11target_archE1200ELNS1_3gpuE4ELNS1_3repE0EEENS1_30default_config_static_selectorELNS0_4arch9wavefront6targetE1EEEvT1_ ; -- Begin function _ZN7rocprim17ROCPRIM_400000_NS6detail17trampoline_kernelINS0_14default_configENS1_20scan_config_selectorIxEEZZNS1_9scan_implILNS1_25lookback_scan_determinismE0ELb1ELb1ES3_N6thrust23THRUST_200600_302600_NS6detail15normal_iteratorINS9_10device_ptrIxEEEESE_xNS9_4plusIvEExEEDaPvRmT3_T4_T5_mT6_P12ihipStream_tbENKUlT_T0_E_clISt17integral_constantIbLb1EEST_IbLb0EEEEDaSP_SQ_EUlSP_E0_NS1_11comp_targetILNS1_3genE10ELNS1_11target_archE1200ELNS1_3gpuE4ELNS1_3repE0EEENS1_30default_config_static_selectorELNS0_4arch9wavefront6targetE1EEEvT1_
	.globl	_ZN7rocprim17ROCPRIM_400000_NS6detail17trampoline_kernelINS0_14default_configENS1_20scan_config_selectorIxEEZZNS1_9scan_implILNS1_25lookback_scan_determinismE0ELb1ELb1ES3_N6thrust23THRUST_200600_302600_NS6detail15normal_iteratorINS9_10device_ptrIxEEEESE_xNS9_4plusIvEExEEDaPvRmT3_T4_T5_mT6_P12ihipStream_tbENKUlT_T0_E_clISt17integral_constantIbLb1EEST_IbLb0EEEEDaSP_SQ_EUlSP_E0_NS1_11comp_targetILNS1_3genE10ELNS1_11target_archE1200ELNS1_3gpuE4ELNS1_3repE0EEENS1_30default_config_static_selectorELNS0_4arch9wavefront6targetE1EEEvT1_
	.p2align	8
	.type	_ZN7rocprim17ROCPRIM_400000_NS6detail17trampoline_kernelINS0_14default_configENS1_20scan_config_selectorIxEEZZNS1_9scan_implILNS1_25lookback_scan_determinismE0ELb1ELb1ES3_N6thrust23THRUST_200600_302600_NS6detail15normal_iteratorINS9_10device_ptrIxEEEESE_xNS9_4plusIvEExEEDaPvRmT3_T4_T5_mT6_P12ihipStream_tbENKUlT_T0_E_clISt17integral_constantIbLb1EEST_IbLb0EEEEDaSP_SQ_EUlSP_E0_NS1_11comp_targetILNS1_3genE10ELNS1_11target_archE1200ELNS1_3gpuE4ELNS1_3repE0EEENS1_30default_config_static_selectorELNS0_4arch9wavefront6targetE1EEEvT1_,@function
_ZN7rocprim17ROCPRIM_400000_NS6detail17trampoline_kernelINS0_14default_configENS1_20scan_config_selectorIxEEZZNS1_9scan_implILNS1_25lookback_scan_determinismE0ELb1ELb1ES3_N6thrust23THRUST_200600_302600_NS6detail15normal_iteratorINS9_10device_ptrIxEEEESE_xNS9_4plusIvEExEEDaPvRmT3_T4_T5_mT6_P12ihipStream_tbENKUlT_T0_E_clISt17integral_constantIbLb1EEST_IbLb0EEEEDaSP_SQ_EUlSP_E0_NS1_11comp_targetILNS1_3genE10ELNS1_11target_archE1200ELNS1_3gpuE4ELNS1_3repE0EEENS1_30default_config_static_selectorELNS0_4arch9wavefront6targetE1EEEvT1_: ; @_ZN7rocprim17ROCPRIM_400000_NS6detail17trampoline_kernelINS0_14default_configENS1_20scan_config_selectorIxEEZZNS1_9scan_implILNS1_25lookback_scan_determinismE0ELb1ELb1ES3_N6thrust23THRUST_200600_302600_NS6detail15normal_iteratorINS9_10device_ptrIxEEEESE_xNS9_4plusIvEExEEDaPvRmT3_T4_T5_mT6_P12ihipStream_tbENKUlT_T0_E_clISt17integral_constantIbLb1EEST_IbLb0EEEEDaSP_SQ_EUlSP_E0_NS1_11comp_targetILNS1_3genE10ELNS1_11target_archE1200ELNS1_3gpuE4ELNS1_3repE0EEENS1_30default_config_static_selectorELNS0_4arch9wavefront6targetE1EEEvT1_
; %bb.0:
	.section	.rodata,"a",@progbits
	.p2align	6, 0x0
	.amdhsa_kernel _ZN7rocprim17ROCPRIM_400000_NS6detail17trampoline_kernelINS0_14default_configENS1_20scan_config_selectorIxEEZZNS1_9scan_implILNS1_25lookback_scan_determinismE0ELb1ELb1ES3_N6thrust23THRUST_200600_302600_NS6detail15normal_iteratorINS9_10device_ptrIxEEEESE_xNS9_4plusIvEExEEDaPvRmT3_T4_T5_mT6_P12ihipStream_tbENKUlT_T0_E_clISt17integral_constantIbLb1EEST_IbLb0EEEEDaSP_SQ_EUlSP_E0_NS1_11comp_targetILNS1_3genE10ELNS1_11target_archE1200ELNS1_3gpuE4ELNS1_3repE0EEENS1_30default_config_static_selectorELNS0_4arch9wavefront6targetE1EEEvT1_
		.amdhsa_group_segment_fixed_size 0
		.amdhsa_private_segment_fixed_size 0
		.amdhsa_kernarg_size 40
		.amdhsa_user_sgpr_count 6
		.amdhsa_user_sgpr_private_segment_buffer 1
		.amdhsa_user_sgpr_dispatch_ptr 0
		.amdhsa_user_sgpr_queue_ptr 0
		.amdhsa_user_sgpr_kernarg_segment_ptr 1
		.amdhsa_user_sgpr_dispatch_id 0
		.amdhsa_user_sgpr_flat_scratch_init 0
		.amdhsa_user_sgpr_kernarg_preload_length 0
		.amdhsa_user_sgpr_kernarg_preload_offset 0
		.amdhsa_user_sgpr_private_segment_size 0
		.amdhsa_uses_dynamic_stack 0
		.amdhsa_system_sgpr_private_segment_wavefront_offset 0
		.amdhsa_system_sgpr_workgroup_id_x 1
		.amdhsa_system_sgpr_workgroup_id_y 0
		.amdhsa_system_sgpr_workgroup_id_z 0
		.amdhsa_system_sgpr_workgroup_info 0
		.amdhsa_system_vgpr_workitem_id 0
		.amdhsa_next_free_vgpr 1
		.amdhsa_next_free_sgpr 0
		.amdhsa_accum_offset 4
		.amdhsa_reserve_vcc 0
		.amdhsa_reserve_flat_scratch 0
		.amdhsa_float_round_mode_32 0
		.amdhsa_float_round_mode_16_64 0
		.amdhsa_float_denorm_mode_32 3
		.amdhsa_float_denorm_mode_16_64 3
		.amdhsa_dx10_clamp 1
		.amdhsa_ieee_mode 1
		.amdhsa_fp16_overflow 0
		.amdhsa_tg_split 0
		.amdhsa_exception_fp_ieee_invalid_op 0
		.amdhsa_exception_fp_denorm_src 0
		.amdhsa_exception_fp_ieee_div_zero 0
		.amdhsa_exception_fp_ieee_overflow 0
		.amdhsa_exception_fp_ieee_underflow 0
		.amdhsa_exception_fp_ieee_inexact 0
		.amdhsa_exception_int_div_zero 0
	.end_amdhsa_kernel
	.section	.text._ZN7rocprim17ROCPRIM_400000_NS6detail17trampoline_kernelINS0_14default_configENS1_20scan_config_selectorIxEEZZNS1_9scan_implILNS1_25lookback_scan_determinismE0ELb1ELb1ES3_N6thrust23THRUST_200600_302600_NS6detail15normal_iteratorINS9_10device_ptrIxEEEESE_xNS9_4plusIvEExEEDaPvRmT3_T4_T5_mT6_P12ihipStream_tbENKUlT_T0_E_clISt17integral_constantIbLb1EEST_IbLb0EEEEDaSP_SQ_EUlSP_E0_NS1_11comp_targetILNS1_3genE10ELNS1_11target_archE1200ELNS1_3gpuE4ELNS1_3repE0EEENS1_30default_config_static_selectorELNS0_4arch9wavefront6targetE1EEEvT1_,"axG",@progbits,_ZN7rocprim17ROCPRIM_400000_NS6detail17trampoline_kernelINS0_14default_configENS1_20scan_config_selectorIxEEZZNS1_9scan_implILNS1_25lookback_scan_determinismE0ELb1ELb1ES3_N6thrust23THRUST_200600_302600_NS6detail15normal_iteratorINS9_10device_ptrIxEEEESE_xNS9_4plusIvEExEEDaPvRmT3_T4_T5_mT6_P12ihipStream_tbENKUlT_T0_E_clISt17integral_constantIbLb1EEST_IbLb0EEEEDaSP_SQ_EUlSP_E0_NS1_11comp_targetILNS1_3genE10ELNS1_11target_archE1200ELNS1_3gpuE4ELNS1_3repE0EEENS1_30default_config_static_selectorELNS0_4arch9wavefront6targetE1EEEvT1_,comdat
.Lfunc_end177:
	.size	_ZN7rocprim17ROCPRIM_400000_NS6detail17trampoline_kernelINS0_14default_configENS1_20scan_config_selectorIxEEZZNS1_9scan_implILNS1_25lookback_scan_determinismE0ELb1ELb1ES3_N6thrust23THRUST_200600_302600_NS6detail15normal_iteratorINS9_10device_ptrIxEEEESE_xNS9_4plusIvEExEEDaPvRmT3_T4_T5_mT6_P12ihipStream_tbENKUlT_T0_E_clISt17integral_constantIbLb1EEST_IbLb0EEEEDaSP_SQ_EUlSP_E0_NS1_11comp_targetILNS1_3genE10ELNS1_11target_archE1200ELNS1_3gpuE4ELNS1_3repE0EEENS1_30default_config_static_selectorELNS0_4arch9wavefront6targetE1EEEvT1_, .Lfunc_end177-_ZN7rocprim17ROCPRIM_400000_NS6detail17trampoline_kernelINS0_14default_configENS1_20scan_config_selectorIxEEZZNS1_9scan_implILNS1_25lookback_scan_determinismE0ELb1ELb1ES3_N6thrust23THRUST_200600_302600_NS6detail15normal_iteratorINS9_10device_ptrIxEEEESE_xNS9_4plusIvEExEEDaPvRmT3_T4_T5_mT6_P12ihipStream_tbENKUlT_T0_E_clISt17integral_constantIbLb1EEST_IbLb0EEEEDaSP_SQ_EUlSP_E0_NS1_11comp_targetILNS1_3genE10ELNS1_11target_archE1200ELNS1_3gpuE4ELNS1_3repE0EEENS1_30default_config_static_selectorELNS0_4arch9wavefront6targetE1EEEvT1_
                                        ; -- End function
	.section	.AMDGPU.csdata,"",@progbits
; Kernel info:
; codeLenInByte = 0
; NumSgprs: 4
; NumVgprs: 0
; NumAgprs: 0
; TotalNumVgprs: 0
; ScratchSize: 0
; MemoryBound: 0
; FloatMode: 240
; IeeeMode: 1
; LDSByteSize: 0 bytes/workgroup (compile time only)
; SGPRBlocks: 0
; VGPRBlocks: 0
; NumSGPRsForWavesPerEU: 4
; NumVGPRsForWavesPerEU: 1
; AccumOffset: 4
; Occupancy: 8
; WaveLimiterHint : 0
; COMPUTE_PGM_RSRC2:SCRATCH_EN: 0
; COMPUTE_PGM_RSRC2:USER_SGPR: 6
; COMPUTE_PGM_RSRC2:TRAP_HANDLER: 0
; COMPUTE_PGM_RSRC2:TGID_X_EN: 1
; COMPUTE_PGM_RSRC2:TGID_Y_EN: 0
; COMPUTE_PGM_RSRC2:TGID_Z_EN: 0
; COMPUTE_PGM_RSRC2:TIDIG_COMP_CNT: 0
; COMPUTE_PGM_RSRC3_GFX90A:ACCUM_OFFSET: 0
; COMPUTE_PGM_RSRC3_GFX90A:TG_SPLIT: 0
	.section	.text._ZN7rocprim17ROCPRIM_400000_NS6detail17trampoline_kernelINS0_14default_configENS1_20scan_config_selectorIxEEZZNS1_9scan_implILNS1_25lookback_scan_determinismE0ELb1ELb1ES3_N6thrust23THRUST_200600_302600_NS6detail15normal_iteratorINS9_10device_ptrIxEEEESE_xNS9_4plusIvEExEEDaPvRmT3_T4_T5_mT6_P12ihipStream_tbENKUlT_T0_E_clISt17integral_constantIbLb1EEST_IbLb0EEEEDaSP_SQ_EUlSP_E0_NS1_11comp_targetILNS1_3genE9ELNS1_11target_archE1100ELNS1_3gpuE3ELNS1_3repE0EEENS1_30default_config_static_selectorELNS0_4arch9wavefront6targetE1EEEvT1_,"axG",@progbits,_ZN7rocprim17ROCPRIM_400000_NS6detail17trampoline_kernelINS0_14default_configENS1_20scan_config_selectorIxEEZZNS1_9scan_implILNS1_25lookback_scan_determinismE0ELb1ELb1ES3_N6thrust23THRUST_200600_302600_NS6detail15normal_iteratorINS9_10device_ptrIxEEEESE_xNS9_4plusIvEExEEDaPvRmT3_T4_T5_mT6_P12ihipStream_tbENKUlT_T0_E_clISt17integral_constantIbLb1EEST_IbLb0EEEEDaSP_SQ_EUlSP_E0_NS1_11comp_targetILNS1_3genE9ELNS1_11target_archE1100ELNS1_3gpuE3ELNS1_3repE0EEENS1_30default_config_static_selectorELNS0_4arch9wavefront6targetE1EEEvT1_,comdat
	.protected	_ZN7rocprim17ROCPRIM_400000_NS6detail17trampoline_kernelINS0_14default_configENS1_20scan_config_selectorIxEEZZNS1_9scan_implILNS1_25lookback_scan_determinismE0ELb1ELb1ES3_N6thrust23THRUST_200600_302600_NS6detail15normal_iteratorINS9_10device_ptrIxEEEESE_xNS9_4plusIvEExEEDaPvRmT3_T4_T5_mT6_P12ihipStream_tbENKUlT_T0_E_clISt17integral_constantIbLb1EEST_IbLb0EEEEDaSP_SQ_EUlSP_E0_NS1_11comp_targetILNS1_3genE9ELNS1_11target_archE1100ELNS1_3gpuE3ELNS1_3repE0EEENS1_30default_config_static_selectorELNS0_4arch9wavefront6targetE1EEEvT1_ ; -- Begin function _ZN7rocprim17ROCPRIM_400000_NS6detail17trampoline_kernelINS0_14default_configENS1_20scan_config_selectorIxEEZZNS1_9scan_implILNS1_25lookback_scan_determinismE0ELb1ELb1ES3_N6thrust23THRUST_200600_302600_NS6detail15normal_iteratorINS9_10device_ptrIxEEEESE_xNS9_4plusIvEExEEDaPvRmT3_T4_T5_mT6_P12ihipStream_tbENKUlT_T0_E_clISt17integral_constantIbLb1EEST_IbLb0EEEEDaSP_SQ_EUlSP_E0_NS1_11comp_targetILNS1_3genE9ELNS1_11target_archE1100ELNS1_3gpuE3ELNS1_3repE0EEENS1_30default_config_static_selectorELNS0_4arch9wavefront6targetE1EEEvT1_
	.globl	_ZN7rocprim17ROCPRIM_400000_NS6detail17trampoline_kernelINS0_14default_configENS1_20scan_config_selectorIxEEZZNS1_9scan_implILNS1_25lookback_scan_determinismE0ELb1ELb1ES3_N6thrust23THRUST_200600_302600_NS6detail15normal_iteratorINS9_10device_ptrIxEEEESE_xNS9_4plusIvEExEEDaPvRmT3_T4_T5_mT6_P12ihipStream_tbENKUlT_T0_E_clISt17integral_constantIbLb1EEST_IbLb0EEEEDaSP_SQ_EUlSP_E0_NS1_11comp_targetILNS1_3genE9ELNS1_11target_archE1100ELNS1_3gpuE3ELNS1_3repE0EEENS1_30default_config_static_selectorELNS0_4arch9wavefront6targetE1EEEvT1_
	.p2align	8
	.type	_ZN7rocprim17ROCPRIM_400000_NS6detail17trampoline_kernelINS0_14default_configENS1_20scan_config_selectorIxEEZZNS1_9scan_implILNS1_25lookback_scan_determinismE0ELb1ELb1ES3_N6thrust23THRUST_200600_302600_NS6detail15normal_iteratorINS9_10device_ptrIxEEEESE_xNS9_4plusIvEExEEDaPvRmT3_T4_T5_mT6_P12ihipStream_tbENKUlT_T0_E_clISt17integral_constantIbLb1EEST_IbLb0EEEEDaSP_SQ_EUlSP_E0_NS1_11comp_targetILNS1_3genE9ELNS1_11target_archE1100ELNS1_3gpuE3ELNS1_3repE0EEENS1_30default_config_static_selectorELNS0_4arch9wavefront6targetE1EEEvT1_,@function
_ZN7rocprim17ROCPRIM_400000_NS6detail17trampoline_kernelINS0_14default_configENS1_20scan_config_selectorIxEEZZNS1_9scan_implILNS1_25lookback_scan_determinismE0ELb1ELb1ES3_N6thrust23THRUST_200600_302600_NS6detail15normal_iteratorINS9_10device_ptrIxEEEESE_xNS9_4plusIvEExEEDaPvRmT3_T4_T5_mT6_P12ihipStream_tbENKUlT_T0_E_clISt17integral_constantIbLb1EEST_IbLb0EEEEDaSP_SQ_EUlSP_E0_NS1_11comp_targetILNS1_3genE9ELNS1_11target_archE1100ELNS1_3gpuE3ELNS1_3repE0EEENS1_30default_config_static_selectorELNS0_4arch9wavefront6targetE1EEEvT1_: ; @_ZN7rocprim17ROCPRIM_400000_NS6detail17trampoline_kernelINS0_14default_configENS1_20scan_config_selectorIxEEZZNS1_9scan_implILNS1_25lookback_scan_determinismE0ELb1ELb1ES3_N6thrust23THRUST_200600_302600_NS6detail15normal_iteratorINS9_10device_ptrIxEEEESE_xNS9_4plusIvEExEEDaPvRmT3_T4_T5_mT6_P12ihipStream_tbENKUlT_T0_E_clISt17integral_constantIbLb1EEST_IbLb0EEEEDaSP_SQ_EUlSP_E0_NS1_11comp_targetILNS1_3genE9ELNS1_11target_archE1100ELNS1_3gpuE3ELNS1_3repE0EEENS1_30default_config_static_selectorELNS0_4arch9wavefront6targetE1EEEvT1_
; %bb.0:
	.section	.rodata,"a",@progbits
	.p2align	6, 0x0
	.amdhsa_kernel _ZN7rocprim17ROCPRIM_400000_NS6detail17trampoline_kernelINS0_14default_configENS1_20scan_config_selectorIxEEZZNS1_9scan_implILNS1_25lookback_scan_determinismE0ELb1ELb1ES3_N6thrust23THRUST_200600_302600_NS6detail15normal_iteratorINS9_10device_ptrIxEEEESE_xNS9_4plusIvEExEEDaPvRmT3_T4_T5_mT6_P12ihipStream_tbENKUlT_T0_E_clISt17integral_constantIbLb1EEST_IbLb0EEEEDaSP_SQ_EUlSP_E0_NS1_11comp_targetILNS1_3genE9ELNS1_11target_archE1100ELNS1_3gpuE3ELNS1_3repE0EEENS1_30default_config_static_selectorELNS0_4arch9wavefront6targetE1EEEvT1_
		.amdhsa_group_segment_fixed_size 0
		.amdhsa_private_segment_fixed_size 0
		.amdhsa_kernarg_size 40
		.amdhsa_user_sgpr_count 6
		.amdhsa_user_sgpr_private_segment_buffer 1
		.amdhsa_user_sgpr_dispatch_ptr 0
		.amdhsa_user_sgpr_queue_ptr 0
		.amdhsa_user_sgpr_kernarg_segment_ptr 1
		.amdhsa_user_sgpr_dispatch_id 0
		.amdhsa_user_sgpr_flat_scratch_init 0
		.amdhsa_user_sgpr_kernarg_preload_length 0
		.amdhsa_user_sgpr_kernarg_preload_offset 0
		.amdhsa_user_sgpr_private_segment_size 0
		.amdhsa_uses_dynamic_stack 0
		.amdhsa_system_sgpr_private_segment_wavefront_offset 0
		.amdhsa_system_sgpr_workgroup_id_x 1
		.amdhsa_system_sgpr_workgroup_id_y 0
		.amdhsa_system_sgpr_workgroup_id_z 0
		.amdhsa_system_sgpr_workgroup_info 0
		.amdhsa_system_vgpr_workitem_id 0
		.amdhsa_next_free_vgpr 1
		.amdhsa_next_free_sgpr 0
		.amdhsa_accum_offset 4
		.amdhsa_reserve_vcc 0
		.amdhsa_reserve_flat_scratch 0
		.amdhsa_float_round_mode_32 0
		.amdhsa_float_round_mode_16_64 0
		.amdhsa_float_denorm_mode_32 3
		.amdhsa_float_denorm_mode_16_64 3
		.amdhsa_dx10_clamp 1
		.amdhsa_ieee_mode 1
		.amdhsa_fp16_overflow 0
		.amdhsa_tg_split 0
		.amdhsa_exception_fp_ieee_invalid_op 0
		.amdhsa_exception_fp_denorm_src 0
		.amdhsa_exception_fp_ieee_div_zero 0
		.amdhsa_exception_fp_ieee_overflow 0
		.amdhsa_exception_fp_ieee_underflow 0
		.amdhsa_exception_fp_ieee_inexact 0
		.amdhsa_exception_int_div_zero 0
	.end_amdhsa_kernel
	.section	.text._ZN7rocprim17ROCPRIM_400000_NS6detail17trampoline_kernelINS0_14default_configENS1_20scan_config_selectorIxEEZZNS1_9scan_implILNS1_25lookback_scan_determinismE0ELb1ELb1ES3_N6thrust23THRUST_200600_302600_NS6detail15normal_iteratorINS9_10device_ptrIxEEEESE_xNS9_4plusIvEExEEDaPvRmT3_T4_T5_mT6_P12ihipStream_tbENKUlT_T0_E_clISt17integral_constantIbLb1EEST_IbLb0EEEEDaSP_SQ_EUlSP_E0_NS1_11comp_targetILNS1_3genE9ELNS1_11target_archE1100ELNS1_3gpuE3ELNS1_3repE0EEENS1_30default_config_static_selectorELNS0_4arch9wavefront6targetE1EEEvT1_,"axG",@progbits,_ZN7rocprim17ROCPRIM_400000_NS6detail17trampoline_kernelINS0_14default_configENS1_20scan_config_selectorIxEEZZNS1_9scan_implILNS1_25lookback_scan_determinismE0ELb1ELb1ES3_N6thrust23THRUST_200600_302600_NS6detail15normal_iteratorINS9_10device_ptrIxEEEESE_xNS9_4plusIvEExEEDaPvRmT3_T4_T5_mT6_P12ihipStream_tbENKUlT_T0_E_clISt17integral_constantIbLb1EEST_IbLb0EEEEDaSP_SQ_EUlSP_E0_NS1_11comp_targetILNS1_3genE9ELNS1_11target_archE1100ELNS1_3gpuE3ELNS1_3repE0EEENS1_30default_config_static_selectorELNS0_4arch9wavefront6targetE1EEEvT1_,comdat
.Lfunc_end178:
	.size	_ZN7rocprim17ROCPRIM_400000_NS6detail17trampoline_kernelINS0_14default_configENS1_20scan_config_selectorIxEEZZNS1_9scan_implILNS1_25lookback_scan_determinismE0ELb1ELb1ES3_N6thrust23THRUST_200600_302600_NS6detail15normal_iteratorINS9_10device_ptrIxEEEESE_xNS9_4plusIvEExEEDaPvRmT3_T4_T5_mT6_P12ihipStream_tbENKUlT_T0_E_clISt17integral_constantIbLb1EEST_IbLb0EEEEDaSP_SQ_EUlSP_E0_NS1_11comp_targetILNS1_3genE9ELNS1_11target_archE1100ELNS1_3gpuE3ELNS1_3repE0EEENS1_30default_config_static_selectorELNS0_4arch9wavefront6targetE1EEEvT1_, .Lfunc_end178-_ZN7rocprim17ROCPRIM_400000_NS6detail17trampoline_kernelINS0_14default_configENS1_20scan_config_selectorIxEEZZNS1_9scan_implILNS1_25lookback_scan_determinismE0ELb1ELb1ES3_N6thrust23THRUST_200600_302600_NS6detail15normal_iteratorINS9_10device_ptrIxEEEESE_xNS9_4plusIvEExEEDaPvRmT3_T4_T5_mT6_P12ihipStream_tbENKUlT_T0_E_clISt17integral_constantIbLb1EEST_IbLb0EEEEDaSP_SQ_EUlSP_E0_NS1_11comp_targetILNS1_3genE9ELNS1_11target_archE1100ELNS1_3gpuE3ELNS1_3repE0EEENS1_30default_config_static_selectorELNS0_4arch9wavefront6targetE1EEEvT1_
                                        ; -- End function
	.section	.AMDGPU.csdata,"",@progbits
; Kernel info:
; codeLenInByte = 0
; NumSgprs: 4
; NumVgprs: 0
; NumAgprs: 0
; TotalNumVgprs: 0
; ScratchSize: 0
; MemoryBound: 0
; FloatMode: 240
; IeeeMode: 1
; LDSByteSize: 0 bytes/workgroup (compile time only)
; SGPRBlocks: 0
; VGPRBlocks: 0
; NumSGPRsForWavesPerEU: 4
; NumVGPRsForWavesPerEU: 1
; AccumOffset: 4
; Occupancy: 8
; WaveLimiterHint : 0
; COMPUTE_PGM_RSRC2:SCRATCH_EN: 0
; COMPUTE_PGM_RSRC2:USER_SGPR: 6
; COMPUTE_PGM_RSRC2:TRAP_HANDLER: 0
; COMPUTE_PGM_RSRC2:TGID_X_EN: 1
; COMPUTE_PGM_RSRC2:TGID_Y_EN: 0
; COMPUTE_PGM_RSRC2:TGID_Z_EN: 0
; COMPUTE_PGM_RSRC2:TIDIG_COMP_CNT: 0
; COMPUTE_PGM_RSRC3_GFX90A:ACCUM_OFFSET: 0
; COMPUTE_PGM_RSRC3_GFX90A:TG_SPLIT: 0
	.section	.text._ZN7rocprim17ROCPRIM_400000_NS6detail17trampoline_kernelINS0_14default_configENS1_20scan_config_selectorIxEEZZNS1_9scan_implILNS1_25lookback_scan_determinismE0ELb1ELb1ES3_N6thrust23THRUST_200600_302600_NS6detail15normal_iteratorINS9_10device_ptrIxEEEESE_xNS9_4plusIvEExEEDaPvRmT3_T4_T5_mT6_P12ihipStream_tbENKUlT_T0_E_clISt17integral_constantIbLb1EEST_IbLb0EEEEDaSP_SQ_EUlSP_E0_NS1_11comp_targetILNS1_3genE8ELNS1_11target_archE1030ELNS1_3gpuE2ELNS1_3repE0EEENS1_30default_config_static_selectorELNS0_4arch9wavefront6targetE1EEEvT1_,"axG",@progbits,_ZN7rocprim17ROCPRIM_400000_NS6detail17trampoline_kernelINS0_14default_configENS1_20scan_config_selectorIxEEZZNS1_9scan_implILNS1_25lookback_scan_determinismE0ELb1ELb1ES3_N6thrust23THRUST_200600_302600_NS6detail15normal_iteratorINS9_10device_ptrIxEEEESE_xNS9_4plusIvEExEEDaPvRmT3_T4_T5_mT6_P12ihipStream_tbENKUlT_T0_E_clISt17integral_constantIbLb1EEST_IbLb0EEEEDaSP_SQ_EUlSP_E0_NS1_11comp_targetILNS1_3genE8ELNS1_11target_archE1030ELNS1_3gpuE2ELNS1_3repE0EEENS1_30default_config_static_selectorELNS0_4arch9wavefront6targetE1EEEvT1_,comdat
	.protected	_ZN7rocprim17ROCPRIM_400000_NS6detail17trampoline_kernelINS0_14default_configENS1_20scan_config_selectorIxEEZZNS1_9scan_implILNS1_25lookback_scan_determinismE0ELb1ELb1ES3_N6thrust23THRUST_200600_302600_NS6detail15normal_iteratorINS9_10device_ptrIxEEEESE_xNS9_4plusIvEExEEDaPvRmT3_T4_T5_mT6_P12ihipStream_tbENKUlT_T0_E_clISt17integral_constantIbLb1EEST_IbLb0EEEEDaSP_SQ_EUlSP_E0_NS1_11comp_targetILNS1_3genE8ELNS1_11target_archE1030ELNS1_3gpuE2ELNS1_3repE0EEENS1_30default_config_static_selectorELNS0_4arch9wavefront6targetE1EEEvT1_ ; -- Begin function _ZN7rocprim17ROCPRIM_400000_NS6detail17trampoline_kernelINS0_14default_configENS1_20scan_config_selectorIxEEZZNS1_9scan_implILNS1_25lookback_scan_determinismE0ELb1ELb1ES3_N6thrust23THRUST_200600_302600_NS6detail15normal_iteratorINS9_10device_ptrIxEEEESE_xNS9_4plusIvEExEEDaPvRmT3_T4_T5_mT6_P12ihipStream_tbENKUlT_T0_E_clISt17integral_constantIbLb1EEST_IbLb0EEEEDaSP_SQ_EUlSP_E0_NS1_11comp_targetILNS1_3genE8ELNS1_11target_archE1030ELNS1_3gpuE2ELNS1_3repE0EEENS1_30default_config_static_selectorELNS0_4arch9wavefront6targetE1EEEvT1_
	.globl	_ZN7rocprim17ROCPRIM_400000_NS6detail17trampoline_kernelINS0_14default_configENS1_20scan_config_selectorIxEEZZNS1_9scan_implILNS1_25lookback_scan_determinismE0ELb1ELb1ES3_N6thrust23THRUST_200600_302600_NS6detail15normal_iteratorINS9_10device_ptrIxEEEESE_xNS9_4plusIvEExEEDaPvRmT3_T4_T5_mT6_P12ihipStream_tbENKUlT_T0_E_clISt17integral_constantIbLb1EEST_IbLb0EEEEDaSP_SQ_EUlSP_E0_NS1_11comp_targetILNS1_3genE8ELNS1_11target_archE1030ELNS1_3gpuE2ELNS1_3repE0EEENS1_30default_config_static_selectorELNS0_4arch9wavefront6targetE1EEEvT1_
	.p2align	8
	.type	_ZN7rocprim17ROCPRIM_400000_NS6detail17trampoline_kernelINS0_14default_configENS1_20scan_config_selectorIxEEZZNS1_9scan_implILNS1_25lookback_scan_determinismE0ELb1ELb1ES3_N6thrust23THRUST_200600_302600_NS6detail15normal_iteratorINS9_10device_ptrIxEEEESE_xNS9_4plusIvEExEEDaPvRmT3_T4_T5_mT6_P12ihipStream_tbENKUlT_T0_E_clISt17integral_constantIbLb1EEST_IbLb0EEEEDaSP_SQ_EUlSP_E0_NS1_11comp_targetILNS1_3genE8ELNS1_11target_archE1030ELNS1_3gpuE2ELNS1_3repE0EEENS1_30default_config_static_selectorELNS0_4arch9wavefront6targetE1EEEvT1_,@function
_ZN7rocprim17ROCPRIM_400000_NS6detail17trampoline_kernelINS0_14default_configENS1_20scan_config_selectorIxEEZZNS1_9scan_implILNS1_25lookback_scan_determinismE0ELb1ELb1ES3_N6thrust23THRUST_200600_302600_NS6detail15normal_iteratorINS9_10device_ptrIxEEEESE_xNS9_4plusIvEExEEDaPvRmT3_T4_T5_mT6_P12ihipStream_tbENKUlT_T0_E_clISt17integral_constantIbLb1EEST_IbLb0EEEEDaSP_SQ_EUlSP_E0_NS1_11comp_targetILNS1_3genE8ELNS1_11target_archE1030ELNS1_3gpuE2ELNS1_3repE0EEENS1_30default_config_static_selectorELNS0_4arch9wavefront6targetE1EEEvT1_: ; @_ZN7rocprim17ROCPRIM_400000_NS6detail17trampoline_kernelINS0_14default_configENS1_20scan_config_selectorIxEEZZNS1_9scan_implILNS1_25lookback_scan_determinismE0ELb1ELb1ES3_N6thrust23THRUST_200600_302600_NS6detail15normal_iteratorINS9_10device_ptrIxEEEESE_xNS9_4plusIvEExEEDaPvRmT3_T4_T5_mT6_P12ihipStream_tbENKUlT_T0_E_clISt17integral_constantIbLb1EEST_IbLb0EEEEDaSP_SQ_EUlSP_E0_NS1_11comp_targetILNS1_3genE8ELNS1_11target_archE1030ELNS1_3gpuE2ELNS1_3repE0EEENS1_30default_config_static_selectorELNS0_4arch9wavefront6targetE1EEEvT1_
; %bb.0:
	.section	.rodata,"a",@progbits
	.p2align	6, 0x0
	.amdhsa_kernel _ZN7rocprim17ROCPRIM_400000_NS6detail17trampoline_kernelINS0_14default_configENS1_20scan_config_selectorIxEEZZNS1_9scan_implILNS1_25lookback_scan_determinismE0ELb1ELb1ES3_N6thrust23THRUST_200600_302600_NS6detail15normal_iteratorINS9_10device_ptrIxEEEESE_xNS9_4plusIvEExEEDaPvRmT3_T4_T5_mT6_P12ihipStream_tbENKUlT_T0_E_clISt17integral_constantIbLb1EEST_IbLb0EEEEDaSP_SQ_EUlSP_E0_NS1_11comp_targetILNS1_3genE8ELNS1_11target_archE1030ELNS1_3gpuE2ELNS1_3repE0EEENS1_30default_config_static_selectorELNS0_4arch9wavefront6targetE1EEEvT1_
		.amdhsa_group_segment_fixed_size 0
		.amdhsa_private_segment_fixed_size 0
		.amdhsa_kernarg_size 40
		.amdhsa_user_sgpr_count 6
		.amdhsa_user_sgpr_private_segment_buffer 1
		.amdhsa_user_sgpr_dispatch_ptr 0
		.amdhsa_user_sgpr_queue_ptr 0
		.amdhsa_user_sgpr_kernarg_segment_ptr 1
		.amdhsa_user_sgpr_dispatch_id 0
		.amdhsa_user_sgpr_flat_scratch_init 0
		.amdhsa_user_sgpr_kernarg_preload_length 0
		.amdhsa_user_sgpr_kernarg_preload_offset 0
		.amdhsa_user_sgpr_private_segment_size 0
		.amdhsa_uses_dynamic_stack 0
		.amdhsa_system_sgpr_private_segment_wavefront_offset 0
		.amdhsa_system_sgpr_workgroup_id_x 1
		.amdhsa_system_sgpr_workgroup_id_y 0
		.amdhsa_system_sgpr_workgroup_id_z 0
		.amdhsa_system_sgpr_workgroup_info 0
		.amdhsa_system_vgpr_workitem_id 0
		.amdhsa_next_free_vgpr 1
		.amdhsa_next_free_sgpr 0
		.amdhsa_accum_offset 4
		.amdhsa_reserve_vcc 0
		.amdhsa_reserve_flat_scratch 0
		.amdhsa_float_round_mode_32 0
		.amdhsa_float_round_mode_16_64 0
		.amdhsa_float_denorm_mode_32 3
		.amdhsa_float_denorm_mode_16_64 3
		.amdhsa_dx10_clamp 1
		.amdhsa_ieee_mode 1
		.amdhsa_fp16_overflow 0
		.amdhsa_tg_split 0
		.amdhsa_exception_fp_ieee_invalid_op 0
		.amdhsa_exception_fp_denorm_src 0
		.amdhsa_exception_fp_ieee_div_zero 0
		.amdhsa_exception_fp_ieee_overflow 0
		.amdhsa_exception_fp_ieee_underflow 0
		.amdhsa_exception_fp_ieee_inexact 0
		.amdhsa_exception_int_div_zero 0
	.end_amdhsa_kernel
	.section	.text._ZN7rocprim17ROCPRIM_400000_NS6detail17trampoline_kernelINS0_14default_configENS1_20scan_config_selectorIxEEZZNS1_9scan_implILNS1_25lookback_scan_determinismE0ELb1ELb1ES3_N6thrust23THRUST_200600_302600_NS6detail15normal_iteratorINS9_10device_ptrIxEEEESE_xNS9_4plusIvEExEEDaPvRmT3_T4_T5_mT6_P12ihipStream_tbENKUlT_T0_E_clISt17integral_constantIbLb1EEST_IbLb0EEEEDaSP_SQ_EUlSP_E0_NS1_11comp_targetILNS1_3genE8ELNS1_11target_archE1030ELNS1_3gpuE2ELNS1_3repE0EEENS1_30default_config_static_selectorELNS0_4arch9wavefront6targetE1EEEvT1_,"axG",@progbits,_ZN7rocprim17ROCPRIM_400000_NS6detail17trampoline_kernelINS0_14default_configENS1_20scan_config_selectorIxEEZZNS1_9scan_implILNS1_25lookback_scan_determinismE0ELb1ELb1ES3_N6thrust23THRUST_200600_302600_NS6detail15normal_iteratorINS9_10device_ptrIxEEEESE_xNS9_4plusIvEExEEDaPvRmT3_T4_T5_mT6_P12ihipStream_tbENKUlT_T0_E_clISt17integral_constantIbLb1EEST_IbLb0EEEEDaSP_SQ_EUlSP_E0_NS1_11comp_targetILNS1_3genE8ELNS1_11target_archE1030ELNS1_3gpuE2ELNS1_3repE0EEENS1_30default_config_static_selectorELNS0_4arch9wavefront6targetE1EEEvT1_,comdat
.Lfunc_end179:
	.size	_ZN7rocprim17ROCPRIM_400000_NS6detail17trampoline_kernelINS0_14default_configENS1_20scan_config_selectorIxEEZZNS1_9scan_implILNS1_25lookback_scan_determinismE0ELb1ELb1ES3_N6thrust23THRUST_200600_302600_NS6detail15normal_iteratorINS9_10device_ptrIxEEEESE_xNS9_4plusIvEExEEDaPvRmT3_T4_T5_mT6_P12ihipStream_tbENKUlT_T0_E_clISt17integral_constantIbLb1EEST_IbLb0EEEEDaSP_SQ_EUlSP_E0_NS1_11comp_targetILNS1_3genE8ELNS1_11target_archE1030ELNS1_3gpuE2ELNS1_3repE0EEENS1_30default_config_static_selectorELNS0_4arch9wavefront6targetE1EEEvT1_, .Lfunc_end179-_ZN7rocprim17ROCPRIM_400000_NS6detail17trampoline_kernelINS0_14default_configENS1_20scan_config_selectorIxEEZZNS1_9scan_implILNS1_25lookback_scan_determinismE0ELb1ELb1ES3_N6thrust23THRUST_200600_302600_NS6detail15normal_iteratorINS9_10device_ptrIxEEEESE_xNS9_4plusIvEExEEDaPvRmT3_T4_T5_mT6_P12ihipStream_tbENKUlT_T0_E_clISt17integral_constantIbLb1EEST_IbLb0EEEEDaSP_SQ_EUlSP_E0_NS1_11comp_targetILNS1_3genE8ELNS1_11target_archE1030ELNS1_3gpuE2ELNS1_3repE0EEENS1_30default_config_static_selectorELNS0_4arch9wavefront6targetE1EEEvT1_
                                        ; -- End function
	.section	.AMDGPU.csdata,"",@progbits
; Kernel info:
; codeLenInByte = 0
; NumSgprs: 4
; NumVgprs: 0
; NumAgprs: 0
; TotalNumVgprs: 0
; ScratchSize: 0
; MemoryBound: 0
; FloatMode: 240
; IeeeMode: 1
; LDSByteSize: 0 bytes/workgroup (compile time only)
; SGPRBlocks: 0
; VGPRBlocks: 0
; NumSGPRsForWavesPerEU: 4
; NumVGPRsForWavesPerEU: 1
; AccumOffset: 4
; Occupancy: 8
; WaveLimiterHint : 0
; COMPUTE_PGM_RSRC2:SCRATCH_EN: 0
; COMPUTE_PGM_RSRC2:USER_SGPR: 6
; COMPUTE_PGM_RSRC2:TRAP_HANDLER: 0
; COMPUTE_PGM_RSRC2:TGID_X_EN: 1
; COMPUTE_PGM_RSRC2:TGID_Y_EN: 0
; COMPUTE_PGM_RSRC2:TGID_Z_EN: 0
; COMPUTE_PGM_RSRC2:TIDIG_COMP_CNT: 0
; COMPUTE_PGM_RSRC3_GFX90A:ACCUM_OFFSET: 0
; COMPUTE_PGM_RSRC3_GFX90A:TG_SPLIT: 0
	.section	.text._ZN7rocprim17ROCPRIM_400000_NS6detail17trampoline_kernelINS0_14default_configENS1_20scan_config_selectorIxEEZZNS1_9scan_implILNS1_25lookback_scan_determinismE0ELb1ELb1ES3_N6thrust23THRUST_200600_302600_NS6detail15normal_iteratorINS9_10device_ptrIxEEEESE_xNS9_4plusIvEExEEDaPvRmT3_T4_T5_mT6_P12ihipStream_tbENKUlT_T0_E_clISt17integral_constantIbLb0EEST_IbLb1EEEEDaSP_SQ_EUlSP_E_NS1_11comp_targetILNS1_3genE0ELNS1_11target_archE4294967295ELNS1_3gpuE0ELNS1_3repE0EEENS1_30default_config_static_selectorELNS0_4arch9wavefront6targetE1EEEvT1_,"axG",@progbits,_ZN7rocprim17ROCPRIM_400000_NS6detail17trampoline_kernelINS0_14default_configENS1_20scan_config_selectorIxEEZZNS1_9scan_implILNS1_25lookback_scan_determinismE0ELb1ELb1ES3_N6thrust23THRUST_200600_302600_NS6detail15normal_iteratorINS9_10device_ptrIxEEEESE_xNS9_4plusIvEExEEDaPvRmT3_T4_T5_mT6_P12ihipStream_tbENKUlT_T0_E_clISt17integral_constantIbLb0EEST_IbLb1EEEEDaSP_SQ_EUlSP_E_NS1_11comp_targetILNS1_3genE0ELNS1_11target_archE4294967295ELNS1_3gpuE0ELNS1_3repE0EEENS1_30default_config_static_selectorELNS0_4arch9wavefront6targetE1EEEvT1_,comdat
	.protected	_ZN7rocprim17ROCPRIM_400000_NS6detail17trampoline_kernelINS0_14default_configENS1_20scan_config_selectorIxEEZZNS1_9scan_implILNS1_25lookback_scan_determinismE0ELb1ELb1ES3_N6thrust23THRUST_200600_302600_NS6detail15normal_iteratorINS9_10device_ptrIxEEEESE_xNS9_4plusIvEExEEDaPvRmT3_T4_T5_mT6_P12ihipStream_tbENKUlT_T0_E_clISt17integral_constantIbLb0EEST_IbLb1EEEEDaSP_SQ_EUlSP_E_NS1_11comp_targetILNS1_3genE0ELNS1_11target_archE4294967295ELNS1_3gpuE0ELNS1_3repE0EEENS1_30default_config_static_selectorELNS0_4arch9wavefront6targetE1EEEvT1_ ; -- Begin function _ZN7rocprim17ROCPRIM_400000_NS6detail17trampoline_kernelINS0_14default_configENS1_20scan_config_selectorIxEEZZNS1_9scan_implILNS1_25lookback_scan_determinismE0ELb1ELb1ES3_N6thrust23THRUST_200600_302600_NS6detail15normal_iteratorINS9_10device_ptrIxEEEESE_xNS9_4plusIvEExEEDaPvRmT3_T4_T5_mT6_P12ihipStream_tbENKUlT_T0_E_clISt17integral_constantIbLb0EEST_IbLb1EEEEDaSP_SQ_EUlSP_E_NS1_11comp_targetILNS1_3genE0ELNS1_11target_archE4294967295ELNS1_3gpuE0ELNS1_3repE0EEENS1_30default_config_static_selectorELNS0_4arch9wavefront6targetE1EEEvT1_
	.globl	_ZN7rocprim17ROCPRIM_400000_NS6detail17trampoline_kernelINS0_14default_configENS1_20scan_config_selectorIxEEZZNS1_9scan_implILNS1_25lookback_scan_determinismE0ELb1ELb1ES3_N6thrust23THRUST_200600_302600_NS6detail15normal_iteratorINS9_10device_ptrIxEEEESE_xNS9_4plusIvEExEEDaPvRmT3_T4_T5_mT6_P12ihipStream_tbENKUlT_T0_E_clISt17integral_constantIbLb0EEST_IbLb1EEEEDaSP_SQ_EUlSP_E_NS1_11comp_targetILNS1_3genE0ELNS1_11target_archE4294967295ELNS1_3gpuE0ELNS1_3repE0EEENS1_30default_config_static_selectorELNS0_4arch9wavefront6targetE1EEEvT1_
	.p2align	8
	.type	_ZN7rocprim17ROCPRIM_400000_NS6detail17trampoline_kernelINS0_14default_configENS1_20scan_config_selectorIxEEZZNS1_9scan_implILNS1_25lookback_scan_determinismE0ELb1ELb1ES3_N6thrust23THRUST_200600_302600_NS6detail15normal_iteratorINS9_10device_ptrIxEEEESE_xNS9_4plusIvEExEEDaPvRmT3_T4_T5_mT6_P12ihipStream_tbENKUlT_T0_E_clISt17integral_constantIbLb0EEST_IbLb1EEEEDaSP_SQ_EUlSP_E_NS1_11comp_targetILNS1_3genE0ELNS1_11target_archE4294967295ELNS1_3gpuE0ELNS1_3repE0EEENS1_30default_config_static_selectorELNS0_4arch9wavefront6targetE1EEEvT1_,@function
_ZN7rocprim17ROCPRIM_400000_NS6detail17trampoline_kernelINS0_14default_configENS1_20scan_config_selectorIxEEZZNS1_9scan_implILNS1_25lookback_scan_determinismE0ELb1ELb1ES3_N6thrust23THRUST_200600_302600_NS6detail15normal_iteratorINS9_10device_ptrIxEEEESE_xNS9_4plusIvEExEEDaPvRmT3_T4_T5_mT6_P12ihipStream_tbENKUlT_T0_E_clISt17integral_constantIbLb0EEST_IbLb1EEEEDaSP_SQ_EUlSP_E_NS1_11comp_targetILNS1_3genE0ELNS1_11target_archE4294967295ELNS1_3gpuE0ELNS1_3repE0EEENS1_30default_config_static_selectorELNS0_4arch9wavefront6targetE1EEEvT1_: ; @_ZN7rocprim17ROCPRIM_400000_NS6detail17trampoline_kernelINS0_14default_configENS1_20scan_config_selectorIxEEZZNS1_9scan_implILNS1_25lookback_scan_determinismE0ELb1ELb1ES3_N6thrust23THRUST_200600_302600_NS6detail15normal_iteratorINS9_10device_ptrIxEEEESE_xNS9_4plusIvEExEEDaPvRmT3_T4_T5_mT6_P12ihipStream_tbENKUlT_T0_E_clISt17integral_constantIbLb0EEST_IbLb1EEEEDaSP_SQ_EUlSP_E_NS1_11comp_targetILNS1_3genE0ELNS1_11target_archE4294967295ELNS1_3gpuE0ELNS1_3repE0EEENS1_30default_config_static_selectorELNS0_4arch9wavefront6targetE1EEEvT1_
; %bb.0:
	.section	.rodata,"a",@progbits
	.p2align	6, 0x0
	.amdhsa_kernel _ZN7rocprim17ROCPRIM_400000_NS6detail17trampoline_kernelINS0_14default_configENS1_20scan_config_selectorIxEEZZNS1_9scan_implILNS1_25lookback_scan_determinismE0ELb1ELb1ES3_N6thrust23THRUST_200600_302600_NS6detail15normal_iteratorINS9_10device_ptrIxEEEESE_xNS9_4plusIvEExEEDaPvRmT3_T4_T5_mT6_P12ihipStream_tbENKUlT_T0_E_clISt17integral_constantIbLb0EEST_IbLb1EEEEDaSP_SQ_EUlSP_E_NS1_11comp_targetILNS1_3genE0ELNS1_11target_archE4294967295ELNS1_3gpuE0ELNS1_3repE0EEENS1_30default_config_static_selectorELNS0_4arch9wavefront6targetE1EEEvT1_
		.amdhsa_group_segment_fixed_size 0
		.amdhsa_private_segment_fixed_size 0
		.amdhsa_kernarg_size 104
		.amdhsa_user_sgpr_count 6
		.amdhsa_user_sgpr_private_segment_buffer 1
		.amdhsa_user_sgpr_dispatch_ptr 0
		.amdhsa_user_sgpr_queue_ptr 0
		.amdhsa_user_sgpr_kernarg_segment_ptr 1
		.amdhsa_user_sgpr_dispatch_id 0
		.amdhsa_user_sgpr_flat_scratch_init 0
		.amdhsa_user_sgpr_kernarg_preload_length 0
		.amdhsa_user_sgpr_kernarg_preload_offset 0
		.amdhsa_user_sgpr_private_segment_size 0
		.amdhsa_uses_dynamic_stack 0
		.amdhsa_system_sgpr_private_segment_wavefront_offset 0
		.amdhsa_system_sgpr_workgroup_id_x 1
		.amdhsa_system_sgpr_workgroup_id_y 0
		.amdhsa_system_sgpr_workgroup_id_z 0
		.amdhsa_system_sgpr_workgroup_info 0
		.amdhsa_system_vgpr_workitem_id 0
		.amdhsa_next_free_vgpr 1
		.amdhsa_next_free_sgpr 0
		.amdhsa_accum_offset 4
		.amdhsa_reserve_vcc 0
		.amdhsa_reserve_flat_scratch 0
		.amdhsa_float_round_mode_32 0
		.amdhsa_float_round_mode_16_64 0
		.amdhsa_float_denorm_mode_32 3
		.amdhsa_float_denorm_mode_16_64 3
		.amdhsa_dx10_clamp 1
		.amdhsa_ieee_mode 1
		.amdhsa_fp16_overflow 0
		.amdhsa_tg_split 0
		.amdhsa_exception_fp_ieee_invalid_op 0
		.amdhsa_exception_fp_denorm_src 0
		.amdhsa_exception_fp_ieee_div_zero 0
		.amdhsa_exception_fp_ieee_overflow 0
		.amdhsa_exception_fp_ieee_underflow 0
		.amdhsa_exception_fp_ieee_inexact 0
		.amdhsa_exception_int_div_zero 0
	.end_amdhsa_kernel
	.section	.text._ZN7rocprim17ROCPRIM_400000_NS6detail17trampoline_kernelINS0_14default_configENS1_20scan_config_selectorIxEEZZNS1_9scan_implILNS1_25lookback_scan_determinismE0ELb1ELb1ES3_N6thrust23THRUST_200600_302600_NS6detail15normal_iteratorINS9_10device_ptrIxEEEESE_xNS9_4plusIvEExEEDaPvRmT3_T4_T5_mT6_P12ihipStream_tbENKUlT_T0_E_clISt17integral_constantIbLb0EEST_IbLb1EEEEDaSP_SQ_EUlSP_E_NS1_11comp_targetILNS1_3genE0ELNS1_11target_archE4294967295ELNS1_3gpuE0ELNS1_3repE0EEENS1_30default_config_static_selectorELNS0_4arch9wavefront6targetE1EEEvT1_,"axG",@progbits,_ZN7rocprim17ROCPRIM_400000_NS6detail17trampoline_kernelINS0_14default_configENS1_20scan_config_selectorIxEEZZNS1_9scan_implILNS1_25lookback_scan_determinismE0ELb1ELb1ES3_N6thrust23THRUST_200600_302600_NS6detail15normal_iteratorINS9_10device_ptrIxEEEESE_xNS9_4plusIvEExEEDaPvRmT3_T4_T5_mT6_P12ihipStream_tbENKUlT_T0_E_clISt17integral_constantIbLb0EEST_IbLb1EEEEDaSP_SQ_EUlSP_E_NS1_11comp_targetILNS1_3genE0ELNS1_11target_archE4294967295ELNS1_3gpuE0ELNS1_3repE0EEENS1_30default_config_static_selectorELNS0_4arch9wavefront6targetE1EEEvT1_,comdat
.Lfunc_end180:
	.size	_ZN7rocprim17ROCPRIM_400000_NS6detail17trampoline_kernelINS0_14default_configENS1_20scan_config_selectorIxEEZZNS1_9scan_implILNS1_25lookback_scan_determinismE0ELb1ELb1ES3_N6thrust23THRUST_200600_302600_NS6detail15normal_iteratorINS9_10device_ptrIxEEEESE_xNS9_4plusIvEExEEDaPvRmT3_T4_T5_mT6_P12ihipStream_tbENKUlT_T0_E_clISt17integral_constantIbLb0EEST_IbLb1EEEEDaSP_SQ_EUlSP_E_NS1_11comp_targetILNS1_3genE0ELNS1_11target_archE4294967295ELNS1_3gpuE0ELNS1_3repE0EEENS1_30default_config_static_selectorELNS0_4arch9wavefront6targetE1EEEvT1_, .Lfunc_end180-_ZN7rocprim17ROCPRIM_400000_NS6detail17trampoline_kernelINS0_14default_configENS1_20scan_config_selectorIxEEZZNS1_9scan_implILNS1_25lookback_scan_determinismE0ELb1ELb1ES3_N6thrust23THRUST_200600_302600_NS6detail15normal_iteratorINS9_10device_ptrIxEEEESE_xNS9_4plusIvEExEEDaPvRmT3_T4_T5_mT6_P12ihipStream_tbENKUlT_T0_E_clISt17integral_constantIbLb0EEST_IbLb1EEEEDaSP_SQ_EUlSP_E_NS1_11comp_targetILNS1_3genE0ELNS1_11target_archE4294967295ELNS1_3gpuE0ELNS1_3repE0EEENS1_30default_config_static_selectorELNS0_4arch9wavefront6targetE1EEEvT1_
                                        ; -- End function
	.section	.AMDGPU.csdata,"",@progbits
; Kernel info:
; codeLenInByte = 0
; NumSgprs: 4
; NumVgprs: 0
; NumAgprs: 0
; TotalNumVgprs: 0
; ScratchSize: 0
; MemoryBound: 0
; FloatMode: 240
; IeeeMode: 1
; LDSByteSize: 0 bytes/workgroup (compile time only)
; SGPRBlocks: 0
; VGPRBlocks: 0
; NumSGPRsForWavesPerEU: 4
; NumVGPRsForWavesPerEU: 1
; AccumOffset: 4
; Occupancy: 8
; WaveLimiterHint : 0
; COMPUTE_PGM_RSRC2:SCRATCH_EN: 0
; COMPUTE_PGM_RSRC2:USER_SGPR: 6
; COMPUTE_PGM_RSRC2:TRAP_HANDLER: 0
; COMPUTE_PGM_RSRC2:TGID_X_EN: 1
; COMPUTE_PGM_RSRC2:TGID_Y_EN: 0
; COMPUTE_PGM_RSRC2:TGID_Z_EN: 0
; COMPUTE_PGM_RSRC2:TIDIG_COMP_CNT: 0
; COMPUTE_PGM_RSRC3_GFX90A:ACCUM_OFFSET: 0
; COMPUTE_PGM_RSRC3_GFX90A:TG_SPLIT: 0
	.section	.text._ZN7rocprim17ROCPRIM_400000_NS6detail17trampoline_kernelINS0_14default_configENS1_20scan_config_selectorIxEEZZNS1_9scan_implILNS1_25lookback_scan_determinismE0ELb1ELb1ES3_N6thrust23THRUST_200600_302600_NS6detail15normal_iteratorINS9_10device_ptrIxEEEESE_xNS9_4plusIvEExEEDaPvRmT3_T4_T5_mT6_P12ihipStream_tbENKUlT_T0_E_clISt17integral_constantIbLb0EEST_IbLb1EEEEDaSP_SQ_EUlSP_E_NS1_11comp_targetILNS1_3genE5ELNS1_11target_archE942ELNS1_3gpuE9ELNS1_3repE0EEENS1_30default_config_static_selectorELNS0_4arch9wavefront6targetE1EEEvT1_,"axG",@progbits,_ZN7rocprim17ROCPRIM_400000_NS6detail17trampoline_kernelINS0_14default_configENS1_20scan_config_selectorIxEEZZNS1_9scan_implILNS1_25lookback_scan_determinismE0ELb1ELb1ES3_N6thrust23THRUST_200600_302600_NS6detail15normal_iteratorINS9_10device_ptrIxEEEESE_xNS9_4plusIvEExEEDaPvRmT3_T4_T5_mT6_P12ihipStream_tbENKUlT_T0_E_clISt17integral_constantIbLb0EEST_IbLb1EEEEDaSP_SQ_EUlSP_E_NS1_11comp_targetILNS1_3genE5ELNS1_11target_archE942ELNS1_3gpuE9ELNS1_3repE0EEENS1_30default_config_static_selectorELNS0_4arch9wavefront6targetE1EEEvT1_,comdat
	.protected	_ZN7rocprim17ROCPRIM_400000_NS6detail17trampoline_kernelINS0_14default_configENS1_20scan_config_selectorIxEEZZNS1_9scan_implILNS1_25lookback_scan_determinismE0ELb1ELb1ES3_N6thrust23THRUST_200600_302600_NS6detail15normal_iteratorINS9_10device_ptrIxEEEESE_xNS9_4plusIvEExEEDaPvRmT3_T4_T5_mT6_P12ihipStream_tbENKUlT_T0_E_clISt17integral_constantIbLb0EEST_IbLb1EEEEDaSP_SQ_EUlSP_E_NS1_11comp_targetILNS1_3genE5ELNS1_11target_archE942ELNS1_3gpuE9ELNS1_3repE0EEENS1_30default_config_static_selectorELNS0_4arch9wavefront6targetE1EEEvT1_ ; -- Begin function _ZN7rocprim17ROCPRIM_400000_NS6detail17trampoline_kernelINS0_14default_configENS1_20scan_config_selectorIxEEZZNS1_9scan_implILNS1_25lookback_scan_determinismE0ELb1ELb1ES3_N6thrust23THRUST_200600_302600_NS6detail15normal_iteratorINS9_10device_ptrIxEEEESE_xNS9_4plusIvEExEEDaPvRmT3_T4_T5_mT6_P12ihipStream_tbENKUlT_T0_E_clISt17integral_constantIbLb0EEST_IbLb1EEEEDaSP_SQ_EUlSP_E_NS1_11comp_targetILNS1_3genE5ELNS1_11target_archE942ELNS1_3gpuE9ELNS1_3repE0EEENS1_30default_config_static_selectorELNS0_4arch9wavefront6targetE1EEEvT1_
	.globl	_ZN7rocprim17ROCPRIM_400000_NS6detail17trampoline_kernelINS0_14default_configENS1_20scan_config_selectorIxEEZZNS1_9scan_implILNS1_25lookback_scan_determinismE0ELb1ELb1ES3_N6thrust23THRUST_200600_302600_NS6detail15normal_iteratorINS9_10device_ptrIxEEEESE_xNS9_4plusIvEExEEDaPvRmT3_T4_T5_mT6_P12ihipStream_tbENKUlT_T0_E_clISt17integral_constantIbLb0EEST_IbLb1EEEEDaSP_SQ_EUlSP_E_NS1_11comp_targetILNS1_3genE5ELNS1_11target_archE942ELNS1_3gpuE9ELNS1_3repE0EEENS1_30default_config_static_selectorELNS0_4arch9wavefront6targetE1EEEvT1_
	.p2align	8
	.type	_ZN7rocprim17ROCPRIM_400000_NS6detail17trampoline_kernelINS0_14default_configENS1_20scan_config_selectorIxEEZZNS1_9scan_implILNS1_25lookback_scan_determinismE0ELb1ELb1ES3_N6thrust23THRUST_200600_302600_NS6detail15normal_iteratorINS9_10device_ptrIxEEEESE_xNS9_4plusIvEExEEDaPvRmT3_T4_T5_mT6_P12ihipStream_tbENKUlT_T0_E_clISt17integral_constantIbLb0EEST_IbLb1EEEEDaSP_SQ_EUlSP_E_NS1_11comp_targetILNS1_3genE5ELNS1_11target_archE942ELNS1_3gpuE9ELNS1_3repE0EEENS1_30default_config_static_selectorELNS0_4arch9wavefront6targetE1EEEvT1_,@function
_ZN7rocprim17ROCPRIM_400000_NS6detail17trampoline_kernelINS0_14default_configENS1_20scan_config_selectorIxEEZZNS1_9scan_implILNS1_25lookback_scan_determinismE0ELb1ELb1ES3_N6thrust23THRUST_200600_302600_NS6detail15normal_iteratorINS9_10device_ptrIxEEEESE_xNS9_4plusIvEExEEDaPvRmT3_T4_T5_mT6_P12ihipStream_tbENKUlT_T0_E_clISt17integral_constantIbLb0EEST_IbLb1EEEEDaSP_SQ_EUlSP_E_NS1_11comp_targetILNS1_3genE5ELNS1_11target_archE942ELNS1_3gpuE9ELNS1_3repE0EEENS1_30default_config_static_selectorELNS0_4arch9wavefront6targetE1EEEvT1_: ; @_ZN7rocprim17ROCPRIM_400000_NS6detail17trampoline_kernelINS0_14default_configENS1_20scan_config_selectorIxEEZZNS1_9scan_implILNS1_25lookback_scan_determinismE0ELb1ELb1ES3_N6thrust23THRUST_200600_302600_NS6detail15normal_iteratorINS9_10device_ptrIxEEEESE_xNS9_4plusIvEExEEDaPvRmT3_T4_T5_mT6_P12ihipStream_tbENKUlT_T0_E_clISt17integral_constantIbLb0EEST_IbLb1EEEEDaSP_SQ_EUlSP_E_NS1_11comp_targetILNS1_3genE5ELNS1_11target_archE942ELNS1_3gpuE9ELNS1_3repE0EEENS1_30default_config_static_selectorELNS0_4arch9wavefront6targetE1EEEvT1_
; %bb.0:
	.section	.rodata,"a",@progbits
	.p2align	6, 0x0
	.amdhsa_kernel _ZN7rocprim17ROCPRIM_400000_NS6detail17trampoline_kernelINS0_14default_configENS1_20scan_config_selectorIxEEZZNS1_9scan_implILNS1_25lookback_scan_determinismE0ELb1ELb1ES3_N6thrust23THRUST_200600_302600_NS6detail15normal_iteratorINS9_10device_ptrIxEEEESE_xNS9_4plusIvEExEEDaPvRmT3_T4_T5_mT6_P12ihipStream_tbENKUlT_T0_E_clISt17integral_constantIbLb0EEST_IbLb1EEEEDaSP_SQ_EUlSP_E_NS1_11comp_targetILNS1_3genE5ELNS1_11target_archE942ELNS1_3gpuE9ELNS1_3repE0EEENS1_30default_config_static_selectorELNS0_4arch9wavefront6targetE1EEEvT1_
		.amdhsa_group_segment_fixed_size 0
		.amdhsa_private_segment_fixed_size 0
		.amdhsa_kernarg_size 104
		.amdhsa_user_sgpr_count 6
		.amdhsa_user_sgpr_private_segment_buffer 1
		.amdhsa_user_sgpr_dispatch_ptr 0
		.amdhsa_user_sgpr_queue_ptr 0
		.amdhsa_user_sgpr_kernarg_segment_ptr 1
		.amdhsa_user_sgpr_dispatch_id 0
		.amdhsa_user_sgpr_flat_scratch_init 0
		.amdhsa_user_sgpr_kernarg_preload_length 0
		.amdhsa_user_sgpr_kernarg_preload_offset 0
		.amdhsa_user_sgpr_private_segment_size 0
		.amdhsa_uses_dynamic_stack 0
		.amdhsa_system_sgpr_private_segment_wavefront_offset 0
		.amdhsa_system_sgpr_workgroup_id_x 1
		.amdhsa_system_sgpr_workgroup_id_y 0
		.amdhsa_system_sgpr_workgroup_id_z 0
		.amdhsa_system_sgpr_workgroup_info 0
		.amdhsa_system_vgpr_workitem_id 0
		.amdhsa_next_free_vgpr 1
		.amdhsa_next_free_sgpr 0
		.amdhsa_accum_offset 4
		.amdhsa_reserve_vcc 0
		.amdhsa_reserve_flat_scratch 0
		.amdhsa_float_round_mode_32 0
		.amdhsa_float_round_mode_16_64 0
		.amdhsa_float_denorm_mode_32 3
		.amdhsa_float_denorm_mode_16_64 3
		.amdhsa_dx10_clamp 1
		.amdhsa_ieee_mode 1
		.amdhsa_fp16_overflow 0
		.amdhsa_tg_split 0
		.amdhsa_exception_fp_ieee_invalid_op 0
		.amdhsa_exception_fp_denorm_src 0
		.amdhsa_exception_fp_ieee_div_zero 0
		.amdhsa_exception_fp_ieee_overflow 0
		.amdhsa_exception_fp_ieee_underflow 0
		.amdhsa_exception_fp_ieee_inexact 0
		.amdhsa_exception_int_div_zero 0
	.end_amdhsa_kernel
	.section	.text._ZN7rocprim17ROCPRIM_400000_NS6detail17trampoline_kernelINS0_14default_configENS1_20scan_config_selectorIxEEZZNS1_9scan_implILNS1_25lookback_scan_determinismE0ELb1ELb1ES3_N6thrust23THRUST_200600_302600_NS6detail15normal_iteratorINS9_10device_ptrIxEEEESE_xNS9_4plusIvEExEEDaPvRmT3_T4_T5_mT6_P12ihipStream_tbENKUlT_T0_E_clISt17integral_constantIbLb0EEST_IbLb1EEEEDaSP_SQ_EUlSP_E_NS1_11comp_targetILNS1_3genE5ELNS1_11target_archE942ELNS1_3gpuE9ELNS1_3repE0EEENS1_30default_config_static_selectorELNS0_4arch9wavefront6targetE1EEEvT1_,"axG",@progbits,_ZN7rocprim17ROCPRIM_400000_NS6detail17trampoline_kernelINS0_14default_configENS1_20scan_config_selectorIxEEZZNS1_9scan_implILNS1_25lookback_scan_determinismE0ELb1ELb1ES3_N6thrust23THRUST_200600_302600_NS6detail15normal_iteratorINS9_10device_ptrIxEEEESE_xNS9_4plusIvEExEEDaPvRmT3_T4_T5_mT6_P12ihipStream_tbENKUlT_T0_E_clISt17integral_constantIbLb0EEST_IbLb1EEEEDaSP_SQ_EUlSP_E_NS1_11comp_targetILNS1_3genE5ELNS1_11target_archE942ELNS1_3gpuE9ELNS1_3repE0EEENS1_30default_config_static_selectorELNS0_4arch9wavefront6targetE1EEEvT1_,comdat
.Lfunc_end181:
	.size	_ZN7rocprim17ROCPRIM_400000_NS6detail17trampoline_kernelINS0_14default_configENS1_20scan_config_selectorIxEEZZNS1_9scan_implILNS1_25lookback_scan_determinismE0ELb1ELb1ES3_N6thrust23THRUST_200600_302600_NS6detail15normal_iteratorINS9_10device_ptrIxEEEESE_xNS9_4plusIvEExEEDaPvRmT3_T4_T5_mT6_P12ihipStream_tbENKUlT_T0_E_clISt17integral_constantIbLb0EEST_IbLb1EEEEDaSP_SQ_EUlSP_E_NS1_11comp_targetILNS1_3genE5ELNS1_11target_archE942ELNS1_3gpuE9ELNS1_3repE0EEENS1_30default_config_static_selectorELNS0_4arch9wavefront6targetE1EEEvT1_, .Lfunc_end181-_ZN7rocprim17ROCPRIM_400000_NS6detail17trampoline_kernelINS0_14default_configENS1_20scan_config_selectorIxEEZZNS1_9scan_implILNS1_25lookback_scan_determinismE0ELb1ELb1ES3_N6thrust23THRUST_200600_302600_NS6detail15normal_iteratorINS9_10device_ptrIxEEEESE_xNS9_4plusIvEExEEDaPvRmT3_T4_T5_mT6_P12ihipStream_tbENKUlT_T0_E_clISt17integral_constantIbLb0EEST_IbLb1EEEEDaSP_SQ_EUlSP_E_NS1_11comp_targetILNS1_3genE5ELNS1_11target_archE942ELNS1_3gpuE9ELNS1_3repE0EEENS1_30default_config_static_selectorELNS0_4arch9wavefront6targetE1EEEvT1_
                                        ; -- End function
	.section	.AMDGPU.csdata,"",@progbits
; Kernel info:
; codeLenInByte = 0
; NumSgprs: 4
; NumVgprs: 0
; NumAgprs: 0
; TotalNumVgprs: 0
; ScratchSize: 0
; MemoryBound: 0
; FloatMode: 240
; IeeeMode: 1
; LDSByteSize: 0 bytes/workgroup (compile time only)
; SGPRBlocks: 0
; VGPRBlocks: 0
; NumSGPRsForWavesPerEU: 4
; NumVGPRsForWavesPerEU: 1
; AccumOffset: 4
; Occupancy: 8
; WaveLimiterHint : 0
; COMPUTE_PGM_RSRC2:SCRATCH_EN: 0
; COMPUTE_PGM_RSRC2:USER_SGPR: 6
; COMPUTE_PGM_RSRC2:TRAP_HANDLER: 0
; COMPUTE_PGM_RSRC2:TGID_X_EN: 1
; COMPUTE_PGM_RSRC2:TGID_Y_EN: 0
; COMPUTE_PGM_RSRC2:TGID_Z_EN: 0
; COMPUTE_PGM_RSRC2:TIDIG_COMP_CNT: 0
; COMPUTE_PGM_RSRC3_GFX90A:ACCUM_OFFSET: 0
; COMPUTE_PGM_RSRC3_GFX90A:TG_SPLIT: 0
	.section	.text._ZN7rocprim17ROCPRIM_400000_NS6detail17trampoline_kernelINS0_14default_configENS1_20scan_config_selectorIxEEZZNS1_9scan_implILNS1_25lookback_scan_determinismE0ELb1ELb1ES3_N6thrust23THRUST_200600_302600_NS6detail15normal_iteratorINS9_10device_ptrIxEEEESE_xNS9_4plusIvEExEEDaPvRmT3_T4_T5_mT6_P12ihipStream_tbENKUlT_T0_E_clISt17integral_constantIbLb0EEST_IbLb1EEEEDaSP_SQ_EUlSP_E_NS1_11comp_targetILNS1_3genE4ELNS1_11target_archE910ELNS1_3gpuE8ELNS1_3repE0EEENS1_30default_config_static_selectorELNS0_4arch9wavefront6targetE1EEEvT1_,"axG",@progbits,_ZN7rocprim17ROCPRIM_400000_NS6detail17trampoline_kernelINS0_14default_configENS1_20scan_config_selectorIxEEZZNS1_9scan_implILNS1_25lookback_scan_determinismE0ELb1ELb1ES3_N6thrust23THRUST_200600_302600_NS6detail15normal_iteratorINS9_10device_ptrIxEEEESE_xNS9_4plusIvEExEEDaPvRmT3_T4_T5_mT6_P12ihipStream_tbENKUlT_T0_E_clISt17integral_constantIbLb0EEST_IbLb1EEEEDaSP_SQ_EUlSP_E_NS1_11comp_targetILNS1_3genE4ELNS1_11target_archE910ELNS1_3gpuE8ELNS1_3repE0EEENS1_30default_config_static_selectorELNS0_4arch9wavefront6targetE1EEEvT1_,comdat
	.protected	_ZN7rocprim17ROCPRIM_400000_NS6detail17trampoline_kernelINS0_14default_configENS1_20scan_config_selectorIxEEZZNS1_9scan_implILNS1_25lookback_scan_determinismE0ELb1ELb1ES3_N6thrust23THRUST_200600_302600_NS6detail15normal_iteratorINS9_10device_ptrIxEEEESE_xNS9_4plusIvEExEEDaPvRmT3_T4_T5_mT6_P12ihipStream_tbENKUlT_T0_E_clISt17integral_constantIbLb0EEST_IbLb1EEEEDaSP_SQ_EUlSP_E_NS1_11comp_targetILNS1_3genE4ELNS1_11target_archE910ELNS1_3gpuE8ELNS1_3repE0EEENS1_30default_config_static_selectorELNS0_4arch9wavefront6targetE1EEEvT1_ ; -- Begin function _ZN7rocprim17ROCPRIM_400000_NS6detail17trampoline_kernelINS0_14default_configENS1_20scan_config_selectorIxEEZZNS1_9scan_implILNS1_25lookback_scan_determinismE0ELb1ELb1ES3_N6thrust23THRUST_200600_302600_NS6detail15normal_iteratorINS9_10device_ptrIxEEEESE_xNS9_4plusIvEExEEDaPvRmT3_T4_T5_mT6_P12ihipStream_tbENKUlT_T0_E_clISt17integral_constantIbLb0EEST_IbLb1EEEEDaSP_SQ_EUlSP_E_NS1_11comp_targetILNS1_3genE4ELNS1_11target_archE910ELNS1_3gpuE8ELNS1_3repE0EEENS1_30default_config_static_selectorELNS0_4arch9wavefront6targetE1EEEvT1_
	.globl	_ZN7rocprim17ROCPRIM_400000_NS6detail17trampoline_kernelINS0_14default_configENS1_20scan_config_selectorIxEEZZNS1_9scan_implILNS1_25lookback_scan_determinismE0ELb1ELb1ES3_N6thrust23THRUST_200600_302600_NS6detail15normal_iteratorINS9_10device_ptrIxEEEESE_xNS9_4plusIvEExEEDaPvRmT3_T4_T5_mT6_P12ihipStream_tbENKUlT_T0_E_clISt17integral_constantIbLb0EEST_IbLb1EEEEDaSP_SQ_EUlSP_E_NS1_11comp_targetILNS1_3genE4ELNS1_11target_archE910ELNS1_3gpuE8ELNS1_3repE0EEENS1_30default_config_static_selectorELNS0_4arch9wavefront6targetE1EEEvT1_
	.p2align	8
	.type	_ZN7rocprim17ROCPRIM_400000_NS6detail17trampoline_kernelINS0_14default_configENS1_20scan_config_selectorIxEEZZNS1_9scan_implILNS1_25lookback_scan_determinismE0ELb1ELb1ES3_N6thrust23THRUST_200600_302600_NS6detail15normal_iteratorINS9_10device_ptrIxEEEESE_xNS9_4plusIvEExEEDaPvRmT3_T4_T5_mT6_P12ihipStream_tbENKUlT_T0_E_clISt17integral_constantIbLb0EEST_IbLb1EEEEDaSP_SQ_EUlSP_E_NS1_11comp_targetILNS1_3genE4ELNS1_11target_archE910ELNS1_3gpuE8ELNS1_3repE0EEENS1_30default_config_static_selectorELNS0_4arch9wavefront6targetE1EEEvT1_,@function
_ZN7rocprim17ROCPRIM_400000_NS6detail17trampoline_kernelINS0_14default_configENS1_20scan_config_selectorIxEEZZNS1_9scan_implILNS1_25lookback_scan_determinismE0ELb1ELb1ES3_N6thrust23THRUST_200600_302600_NS6detail15normal_iteratorINS9_10device_ptrIxEEEESE_xNS9_4plusIvEExEEDaPvRmT3_T4_T5_mT6_P12ihipStream_tbENKUlT_T0_E_clISt17integral_constantIbLb0EEST_IbLb1EEEEDaSP_SQ_EUlSP_E_NS1_11comp_targetILNS1_3genE4ELNS1_11target_archE910ELNS1_3gpuE8ELNS1_3repE0EEENS1_30default_config_static_selectorELNS0_4arch9wavefront6targetE1EEEvT1_: ; @_ZN7rocprim17ROCPRIM_400000_NS6detail17trampoline_kernelINS0_14default_configENS1_20scan_config_selectorIxEEZZNS1_9scan_implILNS1_25lookback_scan_determinismE0ELb1ELb1ES3_N6thrust23THRUST_200600_302600_NS6detail15normal_iteratorINS9_10device_ptrIxEEEESE_xNS9_4plusIvEExEEDaPvRmT3_T4_T5_mT6_P12ihipStream_tbENKUlT_T0_E_clISt17integral_constantIbLb0EEST_IbLb1EEEEDaSP_SQ_EUlSP_E_NS1_11comp_targetILNS1_3genE4ELNS1_11target_archE910ELNS1_3gpuE8ELNS1_3repE0EEENS1_30default_config_static_selectorELNS0_4arch9wavefront6targetE1EEEvT1_
; %bb.0:
	s_load_dwordx8 s[20:27], s[4:5], 0x0
	s_load_dwordx2 s[28:29], s[4:5], 0x20
	s_load_dwordx2 s[10:11], s[4:5], 0x30
	v_cmp_ne_u32_e64 s[2:3], 0, v0
	v_cmp_eq_u32_e64 s[0:1], 0, v0
	s_and_saveexec_b64 s[6:7], s[0:1]
	s_cbranch_execz .LBB182_4
; %bb.1:
	s_mov_b64 s[12:13], exec
	v_mbcnt_lo_u32_b32 v1, s12, 0
	v_mbcnt_hi_u32_b32 v1, s13, v1
	v_cmp_eq_u32_e32 vcc, 0, v1
                                        ; implicit-def: $vgpr2
	s_and_saveexec_b64 s[8:9], vcc
	s_cbranch_execz .LBB182_3
; %bb.2:
	s_load_dwordx2 s[14:15], s[4:5], 0x60
	s_bcnt1_i32_b64 s12, s[12:13]
	v_mov_b32_e32 v2, 0
	v_mov_b32_e32 v3, s12
	s_waitcnt lgkmcnt(0)
	global_atomic_add v2, v2, v3, s[14:15] glc
.LBB182_3:
	s_or_b64 exec, exec, s[8:9]
	s_waitcnt vmcnt(0)
	v_readfirstlane_b32 s8, v2
	v_add_u32_e32 v1, s8, v1
	v_mov_b32_e32 v2, 0
	ds_write_b32 v2, v1
.LBB182_4:
	s_or_b64 exec, exec, s[6:7]
	s_load_dword s6, s[4:5], 0x38
	s_load_dwordx8 s[12:19], s[4:5], 0x40
	v_mov_b32_e32 v1, 0
	s_waitcnt lgkmcnt(0)
	s_barrier
	ds_read_b32 v1, v1
	s_lshl_b64 s[22:23], s[22:23], 3
	s_add_u32 s35, s20, s22
	s_addc_u32 s36, s21, s23
	s_add_i32 s6, s6, -1
	s_mul_i32 s7, s6, 0x380
	s_sub_u32 s33, s26, s7
	s_waitcnt lgkmcnt(0)
	v_readfirstlane_b32 s37, v1
	s_subb_u32 s34, s27, 0
	s_mul_i32 s4, s37, 0x380
	s_mov_b32 s5, 0
	s_cmp_lg_u32 s37, s6
	s_cselect_b64 s[20:21], -1, 0
	s_lshl_b64 s[26:27], s[4:5], 3
	s_add_u32 s6, s35, s26
	s_addc_u32 s7, s36, s27
	s_mov_b64 s[4:5], -1
	s_and_b64 vcc, exec, s[20:21]
	v_lshlrev_b32_e32 v36, 3, v0
	s_barrier
	s_cbranch_vccz .LBB182_6
; %bb.5:
	v_mov_b32_e32 v1, s7
	v_add_co_u32_e32 v2, vcc, s6, v36
	v_addc_co_u32_e32 v3, vcc, 0, v1, vcc
	flat_load_dwordx2 v[4:5], v[2:3]
	flat_load_dwordx2 v[6:7], v[2:3] offset:1024
	flat_load_dwordx2 v[8:9], v[2:3] offset:2048
	;; [unrolled: 1-line block ×3, first 2 shown]
	v_add_co_u32_e32 v2, vcc, 0x1000, v2
	v_addc_co_u32_e32 v3, vcc, 0, v3, vcc
	flat_load_dwordx2 v[12:13], v[2:3]
	flat_load_dwordx2 v[14:15], v[2:3] offset:1024
	flat_load_dwordx2 v[16:17], v[2:3] offset:2048
	s_mov_b64 s[4:5], 0
	s_waitcnt vmcnt(0) lgkmcnt(0)
	ds_write2st64_b64 v36, v[4:5], v[6:7] offset1:2
	ds_write2st64_b64 v36, v[8:9], v[10:11] offset0:4 offset1:6
	ds_write2st64_b64 v36, v[12:13], v[14:15] offset0:8 offset1:10
	ds_write_b64 v36, v[16:17] offset:6144
	s_waitcnt lgkmcnt(0)
	s_barrier
.LBB182_6:
	s_andn2_b64 vcc, exec, s[4:5]
	v_cmp_gt_u32_e64 s[4:5], s33, v0
	s_cbranch_vccnz .LBB182_22
; %bb.7:
	v_pk_mov_b32 v[2:3], s[6:7], s[6:7] op_sel:[0,1]
	flat_load_dwordx2 v[2:3], v[2:3]
	s_waitcnt vmcnt(0) lgkmcnt(0)
	v_mov_b32_e32 v4, v2
	v_mov_b32_e32 v5, v3
	;; [unrolled: 1-line block ×10, first 2 shown]
	v_pk_mov_b32 v[18:19], v[14:15], v[14:15] op_sel:[0,1]
	v_pk_mov_b32 v[16:17], v[12:13], v[12:13] op_sel:[0,1]
	;; [unrolled: 1-line block ×8, first 2 shown]
	s_and_saveexec_b64 s[8:9], s[4:5]
	s_cbranch_execz .LBB182_9
; %bb.8:
	v_mov_b32_e32 v1, s7
	v_add_co_u32_e32 v4, vcc, s6, v36
	v_addc_co_u32_e32 v5, vcc, 0, v1, vcc
	flat_load_dwordx2 v[20:21], v[4:5]
	v_mov_b32_e32 v4, v2
	v_mov_b32_e32 v5, v3
	;; [unrolled: 1-line block ×10, first 2 shown]
	v_pk_mov_b32 v[18:19], v[14:15], v[14:15] op_sel:[0,1]
	v_pk_mov_b32 v[16:17], v[12:13], v[12:13] op_sel:[0,1]
	;; [unrolled: 1-line block ×8, first 2 shown]
	s_waitcnt vmcnt(0) lgkmcnt(0)
	v_pk_mov_b32 v[2:3], v[20:21], v[20:21] op_sel:[0,1]
.LBB182_9:
	s_or_b64 exec, exec, s[8:9]
	v_or_b32_e32 v1, 0x80, v0
	v_cmp_gt_u32_e32 vcc, s33, v1
	s_and_saveexec_b64 s[4:5], vcc
	s_cbranch_execz .LBB182_11
; %bb.10:
	v_mov_b32_e32 v1, s7
	v_add_co_u32_e32 v4, vcc, s6, v36
	v_addc_co_u32_e32 v5, vcc, 0, v1, vcc
	flat_load_dwordx2 v[6:7], v[4:5] offset:1024
.LBB182_11:
	s_or_b64 exec, exec, s[4:5]
	v_or_b32_e32 v1, 0x100, v0
	v_cmp_gt_u32_e32 vcc, s33, v1
	s_and_saveexec_b64 s[4:5], vcc
	s_cbranch_execz .LBB182_13
; %bb.12:
	v_mov_b32_e32 v1, s7
	v_add_co_u32_e32 v4, vcc, s6, v36
	v_addc_co_u32_e32 v5, vcc, 0, v1, vcc
	flat_load_dwordx2 v[8:9], v[4:5] offset:2048
.LBB182_13:
	;; [unrolled: 11-line block ×3, first 2 shown]
	s_or_b64 exec, exec, s[4:5]
	v_or_b32_e32 v1, 0x200, v0
	v_cmp_gt_u32_e32 vcc, s33, v1
	s_and_saveexec_b64 s[4:5], vcc
	s_cbranch_execz .LBB182_17
; %bb.16:
	v_lshlrev_b32_e32 v1, 3, v1
	v_mov_b32_e32 v5, s7
	v_add_co_u32_e32 v4, vcc, s6, v1
	v_addc_co_u32_e32 v5, vcc, 0, v5, vcc
	flat_load_dwordx2 v[12:13], v[4:5]
.LBB182_17:
	s_or_b64 exec, exec, s[4:5]
	v_or_b32_e32 v1, 0x280, v0
	v_cmp_gt_u32_e32 vcc, s33, v1
	s_and_saveexec_b64 s[4:5], vcc
	s_cbranch_execz .LBB182_19
; %bb.18:
	v_lshlrev_b32_e32 v1, 3, v1
	v_mov_b32_e32 v5, s7
	v_add_co_u32_e32 v4, vcc, s6, v1
	v_addc_co_u32_e32 v5, vcc, 0, v5, vcc
	flat_load_dwordx2 v[14:15], v[4:5]
.LBB182_19:
	;; [unrolled: 12-line block ×3, first 2 shown]
	s_or_b64 exec, exec, s[4:5]
	s_waitcnt vmcnt(0) lgkmcnt(0)
	ds_write2st64_b64 v36, v[2:3], v[6:7] offset1:2
	ds_write2st64_b64 v36, v[8:9], v[10:11] offset0:4 offset1:6
	ds_write2st64_b64 v36, v[12:13], v[14:15] offset0:8 offset1:10
	ds_write_b64 v36, v[16:17] offset:6144
	s_waitcnt lgkmcnt(0)
	s_barrier
.LBB182_22:
	v_mul_u32_u24_e32 v37, 7, v0
	v_lshlrev_b32_e32 v1, 3, v37
	ds_read2_b64 v[10:13], v1 offset1:1
	ds_read2_b64 v[6:9], v1 offset0:2 offset1:3
	ds_read2_b64 v[2:5], v1 offset0:4 offset1:5
	ds_read_b64 v[26:27], v1 offset:48
	s_cmp_lg_u32 s37, 0
	v_lshrrev_b32_e32 v38, 5, v0
	v_cmp_gt_u32_e32 vcc, 64, v0
	s_waitcnt lgkmcnt(0)
	s_barrier
	s_cbranch_scc0 .LBB182_49
; %bb.23:
	v_add_co_u32_e64 v1, s[4:5], v12, v10
	v_addc_co_u32_e64 v14, s[4:5], v13, v11, s[4:5]
	v_add_co_u32_e64 v1, s[4:5], v1, v6
	v_addc_co_u32_e64 v14, s[4:5], v14, v7, s[4:5]
	;; [unrolled: 2-line block ×6, first 2 shown]
	v_add_lshl_u32 v1, v38, v0, 3
	ds_write_b64 v1, v[18:19]
	s_waitcnt lgkmcnt(0)
	s_barrier
	s_and_saveexec_b64 s[8:9], vcc
	s_cbranch_execz .LBB182_27
; %bb.24:
	v_lshlrev_b32_e32 v1, 1, v0
	v_lshrrev_b32_e32 v14, 4, v0
	v_add_lshl_u32 v20, v14, v1, 3
	ds_read2_b64 v[14:17], v20 offset1:1
	v_mbcnt_lo_u32_b32 v1, -1, 0
	s_waitcnt lgkmcnt(0)
	v_add_co_u32_e64 v21, s[4:5], v16, v14
	v_addc_co_u32_e64 v22, s[4:5], v17, v15, s[4:5]
	s_nop 0
	v_mov_b32_dpp v16, v21 row_shr:1 row_mask:0xf bank_mask:0xf
	v_add_co_u32_e64 v16, s[4:5], v21, v16
	v_addc_co_u32_e64 v24, s[4:5], 0, v22, s[4:5]
	v_mbcnt_hi_u32_b32 v17, -1, v1
	v_mov_b32_dpp v23, v22 row_shr:1 row_mask:0xf bank_mask:0xf
	v_add_co_u32_e64 v25, s[4:5], 0, v16
	v_and_b32_e32 v1, 15, v17
	v_addc_co_u32_e64 v23, s[4:5], v23, v24, s[4:5]
	v_cmp_eq_u32_e64 s[4:5], 0, v1
	v_cndmask_b32_e64 v16, v16, v21, s[4:5]
	v_cndmask_b32_e64 v23, v23, v22, s[4:5]
	v_cndmask_b32_e64 v24, v25, v21, s[4:5]
	v_mov_b32_dpp v25, v16 row_shr:2 row_mask:0xf bank_mask:0xf
	v_mov_b32_dpp v28, v23 row_shr:2 row_mask:0xf bank_mask:0xf
	v_add_co_u32_e64 v25, s[4:5], v25, v24
	v_addc_co_u32_e64 v28, s[4:5], v28, v23, s[4:5]
	v_cmp_lt_u32_e64 s[4:5], 1, v1
	v_cndmask_b32_e64 v16, v16, v25, s[4:5]
	v_cndmask_b32_e64 v23, v23, v28, s[4:5]
	v_cndmask_b32_e64 v24, v24, v25, s[4:5]
	v_mov_b32_dpp v25, v16 row_shr:4 row_mask:0xf bank_mask:0xf
	v_mov_b32_dpp v28, v23 row_shr:4 row_mask:0xf bank_mask:0xf
	v_add_co_u32_e64 v25, s[4:5], v25, v24
	v_addc_co_u32_e64 v28, s[4:5], v28, v23, s[4:5]
	v_cmp_lt_u32_e64 s[4:5], 3, v1
	;; [unrolled: 8-line block ×3, first 2 shown]
	v_cndmask_b32_e64 v29, v16, v25, s[4:5]
	v_cndmask_b32_e64 v1, v23, v28, s[4:5]
	;; [unrolled: 1-line block ×3, first 2 shown]
	v_mov_b32_dpp v23, v29 row_bcast:15 row_mask:0xf bank_mask:0xf
	v_mov_b32_dpp v24, v1 row_bcast:15 row_mask:0xf bank_mask:0xf
	v_add_co_u32_e64 v23, s[4:5], v23, v16
	v_and_b32_e32 v28, 16, v17
	v_addc_co_u32_e64 v25, s[4:5], v24, v1, s[4:5]
	v_cmp_eq_u32_e64 s[4:5], 0, v28
	v_cndmask_b32_e64 v28, v25, v1, s[4:5]
	v_cndmask_b32_e64 v24, v23, v29, s[4:5]
	v_cmp_ne_u32_e64 s[6:7], 0, v17
	v_mov_b32_dpp v28, v28 row_bcast:31 row_mask:0xf bank_mask:0xf
	v_mov_b32_dpp v24, v24 row_bcast:31 row_mask:0xf bank_mask:0xf
	s_and_saveexec_b64 s[30:31], s[6:7]
; %bb.25:
	v_cndmask_b32_e64 v1, v25, v1, s[4:5]
	v_cndmask_b32_e64 v16, v23, v16, s[4:5]
	v_cmp_lt_u32_e64 s[4:5], 31, v17
	v_cndmask_b32_e64 v21, 0, v24, s[4:5]
	v_cndmask_b32_e64 v22, 0, v28, s[4:5]
	v_add_co_u32_e64 v21, s[4:5], v21, v16
	v_addc_co_u32_e64 v22, s[4:5], v22, v1, s[4:5]
; %bb.26:
	s_or_b64 exec, exec, s[30:31]
	v_add_u32_e32 v1, -1, v17
	v_and_b32_e32 v16, 64, v17
	v_cmp_lt_i32_e64 s[4:5], v1, v16
	v_cndmask_b32_e64 v1, v1, v17, s[4:5]
	v_lshlrev_b32_e32 v1, 2, v1
	ds_bpermute_b32 v16, v1, v21
	ds_bpermute_b32 v1, v1, v22
	; wave barrier
	s_waitcnt lgkmcnt(1)
	v_add_co_u32_e64 v14, s[4:5], v14, v16
	v_addc_co_u32_e64 v15, s[4:5], 0, v15, s[4:5]
	v_add_co_u32_e64 v14, s[4:5], 0, v14
	s_waitcnt lgkmcnt(0)
	v_addc_co_u32_e64 v1, s[4:5], v15, v1, s[4:5]
	v_cndmask_b32_e64 v15, v1, v19, s[0:1]
	v_cndmask_b32_e64 v14, v14, v18, s[0:1]
	ds_write_b64 v20, v[14:15]
	; wave barrier
	ds_read_b64 v[16:17], v20 offset:8
	s_waitcnt lgkmcnt(0)
	v_add_co_u32_e64 v14, s[4:5], v16, v14
	v_addc_co_u32_e64 v15, s[4:5], v17, v15, s[4:5]
	ds_write_b64 v20, v[14:15] offset:8
.LBB182_27:
	s_or_b64 exec, exec, s[8:9]
	v_pk_mov_b32 v[22:23], 0, 0
	s_waitcnt lgkmcnt(0)
	s_barrier
	s_and_saveexec_b64 s[4:5], s[2:3]
	s_cbranch_execz .LBB182_29
; %bb.28:
	v_add_u32_e32 v1, -1, v0
	v_lshrrev_b32_e32 v14, 5, v1
	v_add_lshl_u32 v1, v14, v1, 3
	ds_read_b64 v[22:23], v1
.LBB182_29:
	s_or_b64 exec, exec, s[4:5]
	s_and_saveexec_b64 s[30:31], vcc
	s_cbranch_execz .LBB182_48
; %bb.30:
	v_mov_b32_e32 v17, 0
	ds_read_b64 v[14:15], v17 offset:1040
	v_mbcnt_lo_u32_b32 v1, -1, 0
	v_mbcnt_hi_u32_b32 v30, -1, v1
	s_mov_b32 s9, 0
	v_cmp_eq_u32_e64 s[4:5], 0, v30
	s_and_saveexec_b64 s[6:7], s[4:5]
	s_cbranch_execz .LBB182_32
; %bb.31:
	s_add_i32 s8, s37, 64
	s_lshl_b64 s[8:9], s[8:9], 4
	s_add_u32 s8, s10, s8
	s_addc_u32 s9, s11, s9
	v_mov_b32_e32 v16, 1
	v_pk_mov_b32 v[18:19], s[8:9], s[8:9] op_sel:[0,1]
	s_waitcnt lgkmcnt(0)
	;;#ASMSTART
	global_store_dwordx4 v[18:19], v[14:17] off	
s_waitcnt vmcnt(0)
	;;#ASMEND
.LBB182_32:
	s_or_b64 exec, exec, s[6:7]
	v_xad_u32 v24, v30, -1, s37
	v_add_u32_e32 v16, 64, v24
	v_lshlrev_b64 v[18:19], 4, v[16:17]
	v_mov_b32_e32 v1, s11
	v_add_co_u32_e32 v28, vcc, s10, v18
	v_addc_co_u32_e32 v29, vcc, v1, v19, vcc
	;;#ASMSTART
	global_load_dwordx4 v[18:21], v[28:29] off glc	
s_waitcnt vmcnt(0)
	;;#ASMEND
	v_and_b32_e32 v1, 0xff, v19
	v_and_b32_e32 v16, 0xff00, v19
	v_or3_b32 v1, 0, v1, v16
	v_or3_b32 v16, v18, 0, 0
	v_and_b32_e32 v18, 0xff000000, v19
	v_and_b32_e32 v19, 0xff0000, v19
	v_or3_b32 v19, v1, v19, v18
	v_or3_b32 v18, v16, 0, 0
	v_cmp_eq_u16_sdwa s[8:9], v20, v17 src0_sel:BYTE_0 src1_sel:DWORD
	s_and_saveexec_b64 s[6:7], s[8:9]
	s_cbranch_execz .LBB182_36
; %bb.33:
	s_mov_b64 s[8:9], 0
	v_mov_b32_e32 v1, 0
.LBB182_34:                             ; =>This Inner Loop Header: Depth=1
	;;#ASMSTART
	global_load_dwordx4 v[18:21], v[28:29] off glc	
s_waitcnt vmcnt(0)
	;;#ASMEND
	v_cmp_ne_u16_sdwa s[38:39], v20, v1 src0_sel:BYTE_0 src1_sel:DWORD
	s_or_b64 s[8:9], s[38:39], s[8:9]
	s_andn2_b64 exec, exec, s[8:9]
	s_cbranch_execnz .LBB182_34
; %bb.35:
	s_or_b64 exec, exec, s[8:9]
.LBB182_36:
	s_or_b64 exec, exec, s[6:7]
	v_and_b32_e32 v32, 63, v30
	v_cmp_ne_u32_e32 vcc, 63, v32
	v_addc_co_u32_e32 v28, vcc, 0, v30, vcc
	v_lshlrev_b32_e32 v33, 2, v28
	ds_bpermute_b32 v28, v33, v18
	v_mov_b32_e32 v1, 2
	v_cmp_eq_u16_sdwa s[6:7], v20, v1 src0_sel:BYTE_0 src1_sel:DWORD
	v_lshlrev_b64 v[16:17], v30, -1
	ds_bpermute_b32 v29, v33, v19
	v_and_b32_e32 v21, s7, v17
	v_or_b32_e32 v21, 0x80000000, v21
	s_waitcnt lgkmcnt(1)
	v_add_co_u32_e32 v28, vcc, v18, v28
	v_and_b32_e32 v25, s6, v16
	v_ffbl_b32_e32 v21, v21
	v_addc_co_u32_e32 v31, vcc, 0, v19, vcc
	v_add_u32_e32 v21, 32, v21
	v_ffbl_b32_e32 v25, v25
	v_add_co_u32_e32 v35, vcc, 0, v28
	v_cmp_gt_u32_e64 s[6:7], 62, v32
	v_min_u32_e32 v21, v25, v21
	s_waitcnt lgkmcnt(0)
	v_addc_co_u32_e32 v29, vcc, v29, v31, vcc
	v_cndmask_b32_e64 v31, 0, 1, s[6:7]
	v_cmp_lt_u32_e32 vcc, v32, v21
	v_lshlrev_b32_e32 v31, 1, v31
	v_cndmask_b32_e32 v28, v18, v28, vcc
	v_add_lshl_u32 v34, v31, v30, 2
	v_cndmask_b32_e32 v29, v19, v29, vcc
	ds_bpermute_b32 v31, v34, v28
	ds_bpermute_b32 v39, v34, v29
	v_cndmask_b32_e32 v40, v18, v35, vcc
	v_add_u32_e32 v35, 2, v32
	v_cmp_gt_u32_e64 s[8:9], 60, v32
	s_waitcnt lgkmcnt(1)
	v_add_co_u32_e64 v31, s[6:7], v31, v40
	s_waitcnt lgkmcnt(0)
	v_addc_co_u32_e64 v39, s[6:7], v39, v29, s[6:7]
	v_cmp_gt_u32_e64 s[6:7], v35, v21
	v_cndmask_b32_e64 v29, v39, v29, s[6:7]
	v_cndmask_b32_e64 v39, 0, 1, s[8:9]
	v_lshlrev_b32_e32 v39, 2, v39
	v_cndmask_b32_e64 v28, v31, v28, s[6:7]
	v_add_lshl_u32 v39, v39, v30, 2
	ds_bpermute_b32 v41, v39, v28
	ds_bpermute_b32 v42, v39, v29
	v_cndmask_b32_e64 v31, v31, v40, s[6:7]
	v_add_u32_e32 v40, 4, v32
	v_cmp_gt_u32_e64 s[8:9], 56, v32
	s_waitcnt lgkmcnt(1)
	v_add_co_u32_e64 v43, s[6:7], v41, v31
	s_waitcnt lgkmcnt(0)
	v_addc_co_u32_e64 v41, s[6:7], v42, v29, s[6:7]
	v_cmp_gt_u32_e64 s[6:7], v40, v21
	v_cndmask_b32_e64 v29, v41, v29, s[6:7]
	v_cndmask_b32_e64 v41, 0, 1, s[8:9]
	v_lshlrev_b32_e32 v41, 3, v41
	v_cndmask_b32_e64 v28, v43, v28, s[6:7]
	v_add_lshl_u32 v41, v41, v30, 2
	ds_bpermute_b32 v44, v41, v28
	v_cndmask_b32_e64 v31, v43, v31, s[6:7]
	ds_bpermute_b32 v43, v41, v29
	v_add_u32_e32 v42, 8, v32
	v_cmp_gt_u32_e64 s[8:9], 48, v32
	s_waitcnt lgkmcnt(1)
	v_add_co_u32_e64 v44, s[6:7], v44, v31
	s_waitcnt lgkmcnt(0)
	v_addc_co_u32_e64 v43, s[6:7], v43, v29, s[6:7]
	v_cmp_gt_u32_e64 s[6:7], v42, v21
	v_cndmask_b32_e64 v29, v43, v29, s[6:7]
	v_cndmask_b32_e64 v43, 0, 1, s[8:9]
	v_lshlrev_b32_e32 v43, 4, v43
	v_cndmask_b32_e64 v28, v44, v28, s[6:7]
	v_add_lshl_u32 v43, v43, v30, 2
	ds_bpermute_b32 v45, v43, v28
	ds_bpermute_b32 v46, v43, v29
	v_cndmask_b32_e64 v31, v44, v31, s[6:7]
	v_cmp_gt_u32_e64 s[8:9], 32, v32
	v_add_u32_e32 v44, 16, v32
	s_waitcnt lgkmcnt(1)
	v_add_co_u32_e64 v47, s[6:7], v45, v31
	s_waitcnt lgkmcnt(0)
	v_addc_co_u32_e64 v46, s[6:7], v46, v29, s[6:7]
	v_cndmask_b32_e64 v45, 0, 1, s[8:9]
	v_cmp_gt_u32_e64 s[6:7], v44, v21
	v_lshlrev_b32_e32 v45, 5, v45
	v_cndmask_b32_e64 v28, v47, v28, s[6:7]
	v_add_lshl_u32 v45, v45, v30, 2
	v_cndmask_b32_e64 v29, v46, v29, s[6:7]
	ds_bpermute_b32 v28, v45, v28
	ds_bpermute_b32 v30, v45, v29
	v_add_u32_e32 v46, 32, v32
	v_cndmask_b32_e64 v31, v47, v31, s[6:7]
	v_cmp_le_u32_e64 s[6:7], v46, v21
	s_waitcnt lgkmcnt(1)
	v_cndmask_b32_e64 v28, 0, v28, s[6:7]
	s_waitcnt lgkmcnt(0)
	v_cndmask_b32_e64 v21, 0, v30, s[6:7]
	v_add_co_u32_e64 v28, s[6:7], v28, v31
	v_addc_co_u32_e64 v21, s[6:7], v21, v29, s[6:7]
	v_mov_b32_e32 v25, 0
	v_cndmask_b32_e32 v19, v19, v21, vcc
	v_cndmask_b32_e32 v18, v18, v28, vcc
	s_branch .LBB182_38
.LBB182_37:                             ;   in Loop: Header=BB182_38 Depth=1
	s_or_b64 exec, exec, s[6:7]
	v_cmp_eq_u16_sdwa s[6:7], v20, v1 src0_sel:BYTE_0 src1_sel:DWORD
	v_and_b32_e32 v21, s7, v17
	v_or_b32_e32 v21, 0x80000000, v21
	ds_bpermute_b32 v31, v33, v18
	v_and_b32_e32 v30, s6, v16
	v_ffbl_b32_e32 v21, v21
	v_add_u32_e32 v21, 32, v21
	v_ffbl_b32_e32 v30, v30
	v_min_u32_e32 v21, v30, v21
	ds_bpermute_b32 v30, v33, v19
	s_waitcnt lgkmcnt(1)
	v_add_co_u32_e32 v31, vcc, v18, v31
	v_addc_co_u32_e32 v47, vcc, 0, v19, vcc
	v_add_co_u32_e32 v48, vcc, 0, v31
	s_waitcnt lgkmcnt(0)
	v_addc_co_u32_e32 v30, vcc, v30, v47, vcc
	v_cmp_lt_u32_e32 vcc, v32, v21
	v_cndmask_b32_e32 v31, v18, v31, vcc
	ds_bpermute_b32 v47, v34, v31
	v_cndmask_b32_e32 v30, v19, v30, vcc
	ds_bpermute_b32 v49, v34, v30
	v_cndmask_b32_e32 v48, v18, v48, vcc
	v_subrev_u32_e32 v24, 64, v24
	s_waitcnt lgkmcnt(1)
	v_add_co_u32_e64 v47, s[6:7], v47, v48
	s_waitcnt lgkmcnt(0)
	v_addc_co_u32_e64 v49, s[6:7], v49, v30, s[6:7]
	v_cmp_gt_u32_e64 s[6:7], v35, v21
	v_cndmask_b32_e64 v31, v47, v31, s[6:7]
	ds_bpermute_b32 v50, v39, v31
	v_cndmask_b32_e64 v30, v49, v30, s[6:7]
	ds_bpermute_b32 v49, v39, v30
	v_cndmask_b32_e64 v47, v47, v48, s[6:7]
	s_waitcnt lgkmcnt(1)
	v_add_co_u32_e64 v48, s[6:7], v50, v47
	s_waitcnt lgkmcnt(0)
	v_addc_co_u32_e64 v49, s[6:7], v49, v30, s[6:7]
	v_cmp_gt_u32_e64 s[6:7], v40, v21
	v_cndmask_b32_e64 v31, v48, v31, s[6:7]
	ds_bpermute_b32 v50, v41, v31
	v_cndmask_b32_e64 v30, v49, v30, s[6:7]
	ds_bpermute_b32 v49, v41, v30
	v_cndmask_b32_e64 v47, v48, v47, s[6:7]
	;; [unrolled: 10-line block ×3, first 2 shown]
	s_waitcnt lgkmcnt(1)
	v_add_co_u32_e64 v48, s[6:7], v50, v47
	s_waitcnt lgkmcnt(0)
	v_addc_co_u32_e64 v49, s[6:7], v49, v30, s[6:7]
	v_cmp_gt_u32_e64 s[6:7], v44, v21
	v_cndmask_b32_e64 v31, v48, v31, s[6:7]
	v_cndmask_b32_e64 v30, v49, v30, s[6:7]
	ds_bpermute_b32 v31, v45, v31
	ds_bpermute_b32 v49, v45, v30
	v_cndmask_b32_e64 v47, v48, v47, s[6:7]
	v_cmp_le_u32_e64 s[6:7], v46, v21
	s_waitcnt lgkmcnt(1)
	v_cndmask_b32_e64 v31, 0, v31, s[6:7]
	s_waitcnt lgkmcnt(0)
	v_cndmask_b32_e64 v21, 0, v49, s[6:7]
	v_add_co_u32_e64 v31, s[6:7], v31, v47
	v_addc_co_u32_e64 v21, s[6:7], v21, v30, s[6:7]
	v_cndmask_b32_e32 v18, v18, v31, vcc
	v_cndmask_b32_e32 v19, v19, v21, vcc
	v_add_co_u32_e32 v18, vcc, v18, v28
	v_addc_co_u32_e32 v19, vcc, v19, v29, vcc
.LBB182_38:                             ; =>This Loop Header: Depth=1
                                        ;     Child Loop BB182_41 Depth 2
	v_cmp_ne_u16_sdwa s[6:7], v20, v1 src0_sel:BYTE_0 src1_sel:DWORD
	v_cndmask_b32_e64 v20, 0, 1, s[6:7]
	;;#ASMSTART
	;;#ASMEND
	v_cmp_ne_u32_e32 vcc, 0, v20
	s_cmp_lg_u64 vcc, exec
	v_pk_mov_b32 v[28:29], v[18:19], v[18:19] op_sel:[0,1]
	s_cbranch_scc1 .LBB182_43
; %bb.39:                               ;   in Loop: Header=BB182_38 Depth=1
	v_lshlrev_b64 v[18:19], 4, v[24:25]
	v_mov_b32_e32 v20, s11
	v_add_co_u32_e32 v30, vcc, s10, v18
	v_addc_co_u32_e32 v31, vcc, v20, v19, vcc
	;;#ASMSTART
	global_load_dwordx4 v[18:21], v[30:31] off glc	
s_waitcnt vmcnt(0)
	;;#ASMEND
	v_and_b32_e32 v21, 0xff, v19
	v_and_b32_e32 v47, 0xff00, v19
	v_or3_b32 v21, 0, v21, v47
	v_or3_b32 v18, v18, 0, 0
	v_and_b32_e32 v47, 0xff000000, v19
	v_and_b32_e32 v19, 0xff0000, v19
	v_or3_b32 v19, v21, v19, v47
	v_or3_b32 v18, v18, 0, 0
	v_cmp_eq_u16_sdwa s[8:9], v20, v25 src0_sel:BYTE_0 src1_sel:DWORD
	s_and_saveexec_b64 s[6:7], s[8:9]
	s_cbranch_execz .LBB182_37
; %bb.40:                               ;   in Loop: Header=BB182_38 Depth=1
	s_mov_b64 s[8:9], 0
.LBB182_41:                             ;   Parent Loop BB182_38 Depth=1
                                        ; =>  This Inner Loop Header: Depth=2
	;;#ASMSTART
	global_load_dwordx4 v[18:21], v[30:31] off glc	
s_waitcnt vmcnt(0)
	;;#ASMEND
	v_cmp_ne_u16_sdwa s[38:39], v20, v25 src0_sel:BYTE_0 src1_sel:DWORD
	s_or_b64 s[8:9], s[38:39], s[8:9]
	s_andn2_b64 exec, exec, s[8:9]
	s_cbranch_execnz .LBB182_41
; %bb.42:                               ;   in Loop: Header=BB182_38 Depth=1
	s_or_b64 exec, exec, s[8:9]
	s_branch .LBB182_37
.LBB182_43:                             ;   in Loop: Header=BB182_38 Depth=1
                                        ; implicit-def: $vgpr18_vgpr19
                                        ; implicit-def: $vgpr20
	s_cbranch_execz .LBB182_38
; %bb.44:
	s_and_saveexec_b64 s[6:7], s[4:5]
	s_cbranch_execz .LBB182_46
; %bb.45:
	s_add_i32 s4, s37, 64
	s_mov_b32 s5, 0
	s_lshl_b64 s[4:5], s[4:5], 4
	s_add_u32 s4, s10, s4
	v_add_co_u32_e32 v14, vcc, v28, v14
	s_addc_u32 s5, s11, s5
	v_addc_co_u32_e32 v15, vcc, v29, v15, vcc
	v_mov_b32_e32 v16, 2
	v_mov_b32_e32 v17, 0
	v_pk_mov_b32 v[18:19], s[4:5], s[4:5] op_sel:[0,1]
	;;#ASMSTART
	global_store_dwordx4 v[18:19], v[14:17] off	
s_waitcnt vmcnt(0)
	;;#ASMEND
.LBB182_46:
	s_or_b64 exec, exec, s[6:7]
	s_and_b64 exec, exec, s[0:1]
	s_cbranch_execz .LBB182_48
; %bb.47:
	v_mov_b32_e32 v1, 0
	ds_write_b64 v1, v[28:29]
.LBB182_48:
	s_or_b64 exec, exec, s[30:31]
	v_mov_b32_e32 v1, 0
	s_waitcnt lgkmcnt(0)
	s_barrier
	ds_read_b64 v[14:15], v1
	s_waitcnt lgkmcnt(0)
	v_add_co_u32_e32 v14, vcc, v14, v22
	v_addc_co_u32_e32 v15, vcc, v15, v23, vcc
	v_add_co_u32_e32 v28, vcc, v14, v10
	v_addc_co_u32_e32 v29, vcc, v15, v11, vcc
	;; [unrolled: 2-line block ×7, first 2 shown]
	s_branch .LBB182_61
.LBB182_49:
                                        ; implicit-def: $vgpr34_vgpr35
                                        ; implicit-def: $vgpr32_vgpr33
                                        ; implicit-def: $vgpr30_vgpr31
                                        ; implicit-def: $vgpr28_vgpr29
                                        ; implicit-def: $vgpr22_vgpr23_vgpr24_vgpr25
                                        ; implicit-def: $vgpr18_vgpr19_vgpr20_vgpr21
                                        ; implicit-def: $vgpr14_vgpr15_vgpr16_vgpr17
	s_cbranch_execz .LBB182_61
; %bb.50:
	s_cmp_eq_u64 s[16:17], 0
	v_pk_mov_b32 v[20:21], s[28:29], s[28:29] op_sel:[0,1]
	s_cbranch_scc1 .LBB182_52
; %bb.51:
	v_mov_b32_e32 v1, 0
	v_mov_b32_e32 v15, s36
	v_add_co_u32_e64 v14, vcc, -8, s35
	v_addc_co_u32_e32 v15, vcc, -1, v15, vcc
	global_load_dwordx2 v[16:17], v1, s[12:13]
	flat_load_dwordx2 v[18:19], v[14:15]
	s_waitcnt vmcnt(0) lgkmcnt(0)
	v_add_co_u32_e32 v20, vcc, v16, v18
	v_addc_co_u32_e32 v21, vcc, v17, v19, vcc
.LBB182_52:
	v_add_co_u32_e32 v1, vcc, v12, v10
	v_addc_co_u32_e32 v14, vcc, v13, v11, vcc
	v_add_co_u32_e32 v1, vcc, v1, v6
	v_addc_co_u32_e32 v14, vcc, v14, v7, vcc
	;; [unrolled: 2-line block ×6, first 2 shown]
	v_add_lshl_u32 v1, v38, v0, 3
	v_cmp_gt_u32_e32 vcc, 64, v0
	ds_write_b64 v1, v[18:19]
	s_waitcnt lgkmcnt(0)
	s_barrier
	s_and_saveexec_b64 s[6:7], vcc
	s_cbranch_execz .LBB182_56
; %bb.53:
	v_lshlrev_b32_e32 v1, 1, v0
	v_lshrrev_b32_e32 v14, 4, v0
	v_add_lshl_u32 v22, v14, v1, 3
	ds_read2_b64 v[14:17], v22 offset1:1
	v_mbcnt_lo_u32_b32 v1, -1, 0
	s_waitcnt lgkmcnt(0)
	v_add_co_u32_e32 v23, vcc, v16, v14
	v_addc_co_u32_e32 v24, vcc, v17, v15, vcc
	s_nop 0
	v_mov_b32_dpp v16, v23 row_shr:1 row_mask:0xf bank_mask:0xf
	v_add_co_u32_e32 v16, vcc, v23, v16
	v_addc_co_u32_e32 v26, vcc, 0, v24, vcc
	v_mbcnt_hi_u32_b32 v17, -1, v1
	v_mov_b32_dpp v25, v24 row_shr:1 row_mask:0xf bank_mask:0xf
	v_add_co_u32_e32 v27, vcc, 0, v16
	v_and_b32_e32 v1, 15, v17
	v_addc_co_u32_e32 v25, vcc, v25, v26, vcc
	v_cmp_eq_u32_e32 vcc, 0, v1
	v_cndmask_b32_e32 v16, v16, v23, vcc
	v_cndmask_b32_e32 v25, v25, v24, vcc
	v_cndmask_b32_e32 v26, v27, v23, vcc
	v_mov_b32_dpp v27, v16 row_shr:2 row_mask:0xf bank_mask:0xf
	v_mov_b32_dpp v28, v25 row_shr:2 row_mask:0xf bank_mask:0xf
	v_add_co_u32_e32 v27, vcc, v27, v26
	v_addc_co_u32_e32 v28, vcc, v28, v25, vcc
	v_cmp_lt_u32_e32 vcc, 1, v1
	v_cndmask_b32_e32 v16, v16, v27, vcc
	v_cndmask_b32_e32 v25, v25, v28, vcc
	v_cndmask_b32_e32 v26, v26, v27, vcc
	v_mov_b32_dpp v27, v16 row_shr:4 row_mask:0xf bank_mask:0xf
	v_mov_b32_dpp v28, v25 row_shr:4 row_mask:0xf bank_mask:0xf
	v_add_co_u32_e32 v27, vcc, v27, v26
	v_addc_co_u32_e32 v28, vcc, v28, v25, vcc
	v_cmp_lt_u32_e32 vcc, 3, v1
	;; [unrolled: 8-line block ×3, first 2 shown]
	v_cndmask_b32_e32 v29, v16, v27, vcc
	v_cndmask_b32_e32 v1, v25, v28, vcc
	;; [unrolled: 1-line block ×3, first 2 shown]
	v_mov_b32_dpp v25, v29 row_bcast:15 row_mask:0xf bank_mask:0xf
	v_mov_b32_dpp v26, v1 row_bcast:15 row_mask:0xf bank_mask:0xf
	v_add_co_u32_e32 v25, vcc, v25, v16
	v_and_b32_e32 v28, 16, v17
	v_addc_co_u32_e32 v27, vcc, v26, v1, vcc
	v_cmp_eq_u32_e32 vcc, 0, v28
	v_cndmask_b32_e32 v28, v27, v1, vcc
	v_cndmask_b32_e32 v26, v25, v29, vcc
	v_cmp_ne_u32_e64 s[4:5], 0, v17
	v_mov_b32_dpp v28, v28 row_bcast:31 row_mask:0xf bank_mask:0xf
	v_mov_b32_dpp v26, v26 row_bcast:31 row_mask:0xf bank_mask:0xf
	s_and_saveexec_b64 s[8:9], s[4:5]
; %bb.54:
	v_cndmask_b32_e32 v1, v27, v1, vcc
	v_cndmask_b32_e32 v16, v25, v16, vcc
	v_cmp_lt_u32_e32 vcc, 31, v17
	v_cndmask_b32_e32 v23, 0, v26, vcc
	v_cndmask_b32_e32 v24, 0, v28, vcc
	v_add_co_u32_e32 v23, vcc, v23, v16
	v_addc_co_u32_e32 v24, vcc, v24, v1, vcc
; %bb.55:
	s_or_b64 exec, exec, s[8:9]
	v_add_u32_e32 v1, -1, v17
	v_and_b32_e32 v16, 64, v17
	v_cmp_lt_i32_e32 vcc, v1, v16
	v_cndmask_b32_e32 v1, v1, v17, vcc
	v_lshlrev_b32_e32 v1, 2, v1
	ds_bpermute_b32 v16, v1, v23
	ds_bpermute_b32 v1, v1, v24
	; wave barrier
	s_waitcnt lgkmcnt(1)
	v_add_co_u32_e32 v14, vcc, v14, v16
	v_addc_co_u32_e32 v15, vcc, 0, v15, vcc
	v_add_co_u32_e32 v14, vcc, 0, v14
	s_waitcnt lgkmcnt(0)
	v_addc_co_u32_e32 v1, vcc, v15, v1, vcc
	v_cndmask_b32_e64 v15, v1, v19, s[0:1]
	v_cndmask_b32_e64 v14, v14, v18, s[0:1]
	ds_write_b64 v22, v[14:15]
	; wave barrier
	ds_read_b64 v[16:17], v22 offset:8
	s_waitcnt lgkmcnt(0)
	v_add_co_u32_e32 v14, vcc, v16, v14
	v_addc_co_u32_e32 v15, vcc, v17, v15, vcc
	ds_write_b64 v22, v[14:15] offset:8
.LBB182_56:
	s_or_b64 exec, exec, s[6:7]
	v_pk_mov_b32 v[14:15], v[20:21], v[20:21] op_sel:[0,1]
	s_waitcnt lgkmcnt(0)
	s_barrier
	s_and_saveexec_b64 s[4:5], s[2:3]
	s_cbranch_execz .LBB182_58
; %bb.57:
	v_add_u32_e32 v1, -1, v0
	v_lshrrev_b32_e32 v14, 5, v1
	v_add_lshl_u32 v1, v14, v1, 3
	ds_read_b64 v[14:15], v1
	s_waitcnt lgkmcnt(0)
	v_add_co_u32_e32 v14, vcc, v14, v20
	v_addc_co_u32_e32 v15, vcc, v15, v21, vcc
.LBB182_58:
	s_or_b64 exec, exec, s[4:5]
	v_add_co_u32_e32 v28, vcc, v14, v10
	v_addc_co_u32_e32 v29, vcc, v15, v11, vcc
	v_add_co_u32_e32 v18, vcc, v28, v12
	v_addc_co_u32_e32 v19, vcc, v29, v13, vcc
	;; [unrolled: 2-line block ×6, first 2 shown]
	s_and_saveexec_b64 s[2:3], s[0:1]
	s_cbranch_execz .LBB182_60
; %bb.59:
	v_mov_b32_e32 v5, 0
	ds_read_b64 v[2:3], v5 offset:1040
	s_add_u32 s0, s10, 0x400
	s_addc_u32 s1, s11, 0
	v_mov_b32_e32 v4, 2
	v_pk_mov_b32 v[6:7], s[0:1], s[0:1] op_sel:[0,1]
	s_waitcnt lgkmcnt(0)
	v_add_co_u32_e32 v2, vcc, v2, v20
	v_addc_co_u32_e32 v3, vcc, v3, v21, vcc
	;;#ASMSTART
	global_store_dwordx4 v[6:7], v[2:5] off	
s_waitcnt vmcnt(0)
	;;#ASMEND
.LBB182_60:
	s_or_b64 exec, exec, s[2:3]
.LBB182_61:
	s_add_u32 s0, s24, s22
	s_addc_u32 s1, s25, s23
	s_add_u32 s2, s0, s26
	s_addc_u32 s3, s1, s27
	s_mov_b64 s[0:1], -1
	s_and_b64 vcc, exec, s[20:21]
	v_mul_u32_u24_e32 v1, 56, v0
	s_barrier
	s_cbranch_vccz .LBB182_63
; %bb.62:
	v_mul_i32_i24_e32 v2, 0xffffffd0, v0
	v_mad_u32_u24 v16, v0, 56, v2
	ds_write2_b64 v1, v[14:15], v[28:29] offset1:1
	ds_write2_b64 v1, v[18:19], v[30:31] offset0:2 offset1:3
	ds_write2_b64 v1, v[22:23], v[32:33] offset0:4 offset1:5
	ds_write_b64 v1, v[34:35] offset:48
	s_waitcnt lgkmcnt(0)
	s_barrier
	ds_read2st64_b64 v[2:5], v16 offset1:2
	ds_read2st64_b64 v[6:9], v16 offset0:4 offset1:6
	ds_read2st64_b64 v[10:13], v16 offset0:8 offset1:10
	ds_read_b64 v[16:17], v16 offset:6144
	v_mov_b32_e32 v21, s3
	v_add_co_u32_e32 v20, vcc, s2, v36
	v_addc_co_u32_e32 v21, vcc, 0, v21, vcc
	s_waitcnt lgkmcnt(3)
	flat_store_dwordx2 v[20:21], v[2:3]
	flat_store_dwordx2 v[20:21], v[4:5] offset:1024
	s_waitcnt lgkmcnt(0)
	flat_store_dwordx2 v[20:21], v[6:7] offset:2048
	flat_store_dwordx2 v[20:21], v[8:9] offset:3072
	v_add_co_u32_e32 v2, vcc, 0x1000, v20
	v_addc_co_u32_e32 v3, vcc, 0, v21, vcc
	flat_store_dwordx2 v[2:3], v[10:11]
	flat_store_dwordx2 v[2:3], v[12:13] offset:1024
	flat_store_dwordx2 v[2:3], v[16:17] offset:2048
	s_mov_b64 s[0:1], 0
.LBB182_63:
	s_andn2_b64 vcc, exec, s[0:1]
	s_cbranch_vccnz .LBB182_102
; %bb.64:
	v_mul_i32_i24_e32 v2, 0xffffffd0, v0
	ds_write2_b64 v1, v[14:15], v[28:29] offset1:1
	ds_write2_b64 v1, v[18:19], v[30:31] offset0:2 offset1:3
	ds_write2_b64 v1, v[22:23], v[32:33] offset0:4 offset1:5
	ds_write_b64 v1, v[34:35] offset:48
	v_mad_u32_u24 v14, v0, 56, v2
	s_waitcnt lgkmcnt(0)
	s_barrier
	ds_read2st64_b64 v[2:5], v14 offset1:2
	ds_read2st64_b64 v[6:9], v14 offset0:4 offset1:6
	ds_read2st64_b64 v[10:13], v14 offset0:8 offset1:10
	ds_read_b64 v[14:15], v14 offset:6144
	v_mov_b32_e32 v17, s3
	v_add_co_u32_e32 v16, vcc, s2, v36
	v_addc_co_u32_e32 v17, vcc, 0, v17, vcc
	v_mov_b32_e32 v1, 0
	v_cmp_gt_u32_e32 vcc, s33, v0
	s_and_saveexec_b64 s[0:1], vcc
	s_cbranch_execz .LBB182_66
; %bb.65:
	s_waitcnt lgkmcnt(0)
	flat_store_dwordx2 v[16:17], v[2:3]
.LBB182_66:
	s_or_b64 exec, exec, s[0:1]
	v_or_b32_e32 v18, 0x80, v0
	v_cmp_gt_u32_e32 vcc, s33, v18
	s_and_saveexec_b64 s[0:1], vcc
	s_cbranch_execz .LBB182_68
; %bb.67:
	s_waitcnt lgkmcnt(0)
	flat_store_dwordx2 v[16:17], v[4:5] offset:1024
.LBB182_68:
	s_or_b64 exec, exec, s[0:1]
	v_or_b32_e32 v18, 0x100, v0
	v_cmp_gt_u32_e32 vcc, s33, v18
	s_and_saveexec_b64 s[0:1], vcc
	s_cbranch_execz .LBB182_70
; %bb.69:
	s_waitcnt lgkmcnt(0)
	flat_store_dwordx2 v[16:17], v[6:7] offset:2048
.LBB182_70:
	;; [unrolled: 9-line block ×3, first 2 shown]
	s_or_b64 exec, exec, s[0:1]
	v_or_b32_e32 v18, 0x200, v0
	v_cmp_gt_u32_e32 vcc, s33, v18
	s_and_saveexec_b64 s[0:1], vcc
	s_cbranch_execz .LBB182_74
; %bb.73:
	v_add_co_u32_e32 v18, vcc, 0x1000, v16
	v_addc_co_u32_e32 v19, vcc, 0, v17, vcc
	s_waitcnt lgkmcnt(0)
	flat_store_dwordx2 v[18:19], v[10:11]
.LBB182_74:
	s_or_b64 exec, exec, s[0:1]
	v_or_b32_e32 v18, 0x280, v0
	v_cmp_gt_u32_e32 vcc, s33, v18
	s_and_saveexec_b64 s[0:1], vcc
	s_cbranch_execz .LBB182_76
; %bb.75:
	v_add_co_u32_e32 v18, vcc, 0x1000, v16
	v_addc_co_u32_e32 v19, vcc, 0, v17, vcc
	s_waitcnt lgkmcnt(0)
	flat_store_dwordx2 v[18:19], v[12:13] offset:1024
.LBB182_76:
	s_or_b64 exec, exec, s[0:1]
	v_or_b32_e32 v18, 0x300, v0
	v_cmp_gt_u32_e32 vcc, s33, v18
	s_and_saveexec_b64 s[0:1], vcc
	s_cbranch_execz .LBB182_78
; %bb.77:
	v_add_co_u32_e32 v16, vcc, 0x1000, v16
	v_addc_co_u32_e32 v17, vcc, 0, v17, vcc
	s_waitcnt lgkmcnt(0)
	flat_store_dwordx2 v[16:17], v[14:15] offset:2048
.LBB182_78:
	s_or_b64 exec, exec, s[0:1]
	v_cmp_lt_u64_e64 s[0:1], s[18:19], 2
	s_and_b64 vcc, exec, s[0:1]
	s_cbranch_vccnz .LBB182_102
; %bb.79:
	s_add_u32 s0, s33, -1
	s_addc_u32 s1, s34, -1
	s_add_u32 s2, 0, 0x92481000
	s_addc_u32 s3, 0, 0x64
	s_add_i32 s3, s3, 0x249248c0
	s_mul_hi_u32 s7, s2, -7
	s_sub_i32 s7, s7, s2
	s_mul_i32 s8, s3, -7
	s_mul_i32 s4, s2, -7
	s_add_i32 s7, s7, s8
	s_mul_hi_u32 s5, s3, s4
	s_mul_i32 s6, s3, s4
	s_mul_i32 s9, s2, s7
	s_mul_hi_u32 s4, s2, s4
	s_mul_hi_u32 s8, s2, s7
	s_add_u32 s4, s4, s9
	s_addc_u32 s8, 0, s8
	s_add_u32 s4, s4, s6
	s_mul_hi_u32 s9, s3, s7
	s_addc_u32 s4, s8, s5
	s_addc_u32 s5, s9, 0
	s_mul_i32 s6, s3, s7
	s_add_u32 s4, s4, s6
	v_mov_b32_e32 v16, s4
	s_addc_u32 s5, 0, s5
	v_add_co_u32_e32 v16, vcc, s2, v16
	s_cmp_lg_u64 vcc, 0
	s_addc_u32 s2, s3, s5
	v_readfirstlane_b32 s5, v16
	s_mul_i32 s4, s0, s2
	s_mul_hi_u32 s6, s0, s5
	s_mul_hi_u32 s3, s0, s2
	s_add_u32 s4, s6, s4
	s_addc_u32 s3, 0, s3
	s_mul_hi_u32 s7, s1, s5
	s_mul_i32 s5, s1, s5
	s_add_u32 s4, s4, s5
	s_mul_hi_u32 s6, s1, s2
	s_addc_u32 s3, s3, s7
	s_addc_u32 s4, s6, 0
	s_mul_i32 s2, s1, s2
	s_add_u32 s2, s3, s2
	s_addc_u32 s3, 0, s4
	s_add_u32 s4, s2, 1
	s_addc_u32 s5, s3, 0
	s_add_u32 s6, s2, 2
	s_mul_i32 s8, s3, 7
	s_mul_hi_u32 s9, s2, 7
	s_addc_u32 s7, s3, 0
	s_add_i32 s9, s9, s8
	s_mul_i32 s8, s2, 7
	v_mov_b32_e32 v16, s8
	v_sub_co_u32_e32 v16, vcc, s0, v16
	s_cmp_lg_u64 vcc, 0
	s_subb_u32 s8, s1, s9
	v_subrev_co_u32_e32 v17, vcc, 7, v16
	s_cmp_lg_u64 vcc, 0
	s_subb_u32 s9, s8, 0
	v_readfirstlane_b32 s10, v17
	s_cmp_gt_u32 s10, 6
	s_cselect_b32 s10, -1, 0
	s_cmp_eq_u32 s9, 0
	s_cselect_b32 s9, s10, -1
	s_cmp_lg_u32 s9, 0
	s_cselect_b32 s4, s6, s4
	v_readfirstlane_b32 s6, v16
	s_cselect_b32 s5, s7, s5
	s_cmp_gt_u32 s6, 6
	s_cselect_b32 s6, -1, 0
	s_cmp_eq_u32 s8, 0
	s_cselect_b32 s6, s6, -1
	s_cmp_lg_u32 s6, 0
	s_cselect_b32 s3, s5, s3
	s_cselect_b32 s2, s4, s2
	v_cmp_eq_u64_e32 vcc, s[2:3], v[0:1]
	s_and_saveexec_b64 s[2:3], vcc
	s_cbranch_execz .LBB182_102
; %bb.80:
	v_mul_hi_u32_u24_e32 v1, 7, v0
	v_mov_b32_e32 v16, s1
	v_sub_co_u32_e32 v0, vcc, s0, v37
	v_subb_co_u32_e32 v1, vcc, v16, v1, vcc
	v_cmp_lt_i64_e32 vcc, 3, v[0:1]
	s_and_saveexec_b64 s[0:1], vcc
	s_xor_b64 s[0:1], exec, s[0:1]
	s_cbranch_execz .LBB182_90
; %bb.81:
	v_cmp_lt_i64_e32 vcc, 4, v[0:1]
	s_and_saveexec_b64 s[2:3], vcc
	s_xor_b64 s[2:3], exec, s[2:3]
	s_cbranch_execz .LBB182_87
; %bb.82:
	;; [unrolled: 5-line block ×3, first 2 shown]
	v_mov_b32_e32 v0, 0
	s_waitcnt lgkmcnt(0)
	global_store_dwordx2 v0, v[14:15], s[14:15]
                                        ; implicit-def: $vgpr10_vgpr11_vgpr12_vgpr13
.LBB182_84:
	s_andn2_saveexec_b64 s[4:5], s[4:5]
	s_cbranch_execz .LBB182_86
; %bb.85:
	v_mov_b32_e32 v0, 0
	s_waitcnt lgkmcnt(0)
	global_store_dwordx2 v0, v[12:13], s[14:15]
.LBB182_86:
	s_or_b64 exec, exec, s[4:5]
                                        ; implicit-def: $vgpr10_vgpr11_vgpr12_vgpr13
.LBB182_87:
	s_andn2_saveexec_b64 s[2:3], s[2:3]
	s_cbranch_execz .LBB182_89
; %bb.88:
	v_mov_b32_e32 v0, 0
	s_waitcnt lgkmcnt(0)
	global_store_dwordx2 v0, v[10:11], s[14:15]
.LBB182_89:
	s_or_b64 exec, exec, s[2:3]
                                        ; implicit-def: $vgpr0_vgpr1
                                        ; implicit-def: $vgpr2_vgpr3_vgpr4_vgpr5
                                        ; implicit-def: $vgpr6_vgpr7_vgpr8_vgpr9
.LBB182_90:
	s_andn2_saveexec_b64 s[0:1], s[0:1]
	s_cbranch_execz .LBB182_102
; %bb.91:
	v_cmp_lt_i64_e32 vcc, 1, v[0:1]
	s_and_saveexec_b64 s[0:1], vcc
	s_xor_b64 s[0:1], exec, s[0:1]
	s_cbranch_execz .LBB182_97
; %bb.92:
	v_cmp_lt_i64_e32 vcc, 2, v[0:1]
	s_and_saveexec_b64 s[2:3], vcc
	s_xor_b64 s[2:3], exec, s[2:3]
	s_cbranch_execz .LBB182_94
; %bb.93:
	v_mov_b32_e32 v0, 0
	s_waitcnt lgkmcnt(0)
	global_store_dwordx2 v0, v[8:9], s[14:15]
                                        ; implicit-def: $vgpr6_vgpr7_vgpr8_vgpr9
.LBB182_94:
	s_andn2_saveexec_b64 s[2:3], s[2:3]
	s_cbranch_execz .LBB182_96
; %bb.95:
	v_mov_b32_e32 v0, 0
	s_waitcnt lgkmcnt(0)
	global_store_dwordx2 v0, v[6:7], s[14:15]
.LBB182_96:
	s_or_b64 exec, exec, s[2:3]
                                        ; implicit-def: $vgpr2_vgpr3_vgpr4_vgpr5
                                        ; implicit-def: $vgpr0_vgpr1
.LBB182_97:
	s_andn2_saveexec_b64 s[0:1], s[0:1]
	s_cbranch_execz .LBB182_102
; %bb.98:
	v_cmp_ne_u64_e32 vcc, 1, v[0:1]
	s_and_saveexec_b64 s[0:1], vcc
	s_xor_b64 s[0:1], exec, s[0:1]
	s_cbranch_execz .LBB182_100
; %bb.99:
	v_mov_b32_e32 v0, 0
	s_waitcnt lgkmcnt(0)
	global_store_dwordx2 v0, v[2:3], s[14:15]
                                        ; implicit-def: $vgpr2_vgpr3_vgpr4_vgpr5
.LBB182_100:
	s_andn2_saveexec_b64 s[0:1], s[0:1]
	s_cbranch_execz .LBB182_102
; %bb.101:
	v_mov_b32_e32 v0, 0
	s_waitcnt lgkmcnt(0)
	global_store_dwordx2 v0, v[4:5], s[14:15]
.LBB182_102:
	s_endpgm
	.section	.rodata,"a",@progbits
	.p2align	6, 0x0
	.amdhsa_kernel _ZN7rocprim17ROCPRIM_400000_NS6detail17trampoline_kernelINS0_14default_configENS1_20scan_config_selectorIxEEZZNS1_9scan_implILNS1_25lookback_scan_determinismE0ELb1ELb1ES3_N6thrust23THRUST_200600_302600_NS6detail15normal_iteratorINS9_10device_ptrIxEEEESE_xNS9_4plusIvEExEEDaPvRmT3_T4_T5_mT6_P12ihipStream_tbENKUlT_T0_E_clISt17integral_constantIbLb0EEST_IbLb1EEEEDaSP_SQ_EUlSP_E_NS1_11comp_targetILNS1_3genE4ELNS1_11target_archE910ELNS1_3gpuE8ELNS1_3repE0EEENS1_30default_config_static_selectorELNS0_4arch9wavefront6targetE1EEEvT1_
		.amdhsa_group_segment_fixed_size 7168
		.amdhsa_private_segment_fixed_size 0
		.amdhsa_kernarg_size 104
		.amdhsa_user_sgpr_count 6
		.amdhsa_user_sgpr_private_segment_buffer 1
		.amdhsa_user_sgpr_dispatch_ptr 0
		.amdhsa_user_sgpr_queue_ptr 0
		.amdhsa_user_sgpr_kernarg_segment_ptr 1
		.amdhsa_user_sgpr_dispatch_id 0
		.amdhsa_user_sgpr_flat_scratch_init 0
		.amdhsa_user_sgpr_kernarg_preload_length 0
		.amdhsa_user_sgpr_kernarg_preload_offset 0
		.amdhsa_user_sgpr_private_segment_size 0
		.amdhsa_uses_dynamic_stack 0
		.amdhsa_system_sgpr_private_segment_wavefront_offset 0
		.amdhsa_system_sgpr_workgroup_id_x 1
		.amdhsa_system_sgpr_workgroup_id_y 0
		.amdhsa_system_sgpr_workgroup_id_z 0
		.amdhsa_system_sgpr_workgroup_info 0
		.amdhsa_system_vgpr_workitem_id 0
		.amdhsa_next_free_vgpr 51
		.amdhsa_next_free_sgpr 40
		.amdhsa_accum_offset 52
		.amdhsa_reserve_vcc 1
		.amdhsa_reserve_flat_scratch 0
		.amdhsa_float_round_mode_32 0
		.amdhsa_float_round_mode_16_64 0
		.amdhsa_float_denorm_mode_32 3
		.amdhsa_float_denorm_mode_16_64 3
		.amdhsa_dx10_clamp 1
		.amdhsa_ieee_mode 1
		.amdhsa_fp16_overflow 0
		.amdhsa_tg_split 0
		.amdhsa_exception_fp_ieee_invalid_op 0
		.amdhsa_exception_fp_denorm_src 0
		.amdhsa_exception_fp_ieee_div_zero 0
		.amdhsa_exception_fp_ieee_overflow 0
		.amdhsa_exception_fp_ieee_underflow 0
		.amdhsa_exception_fp_ieee_inexact 0
		.amdhsa_exception_int_div_zero 0
	.end_amdhsa_kernel
	.section	.text._ZN7rocprim17ROCPRIM_400000_NS6detail17trampoline_kernelINS0_14default_configENS1_20scan_config_selectorIxEEZZNS1_9scan_implILNS1_25lookback_scan_determinismE0ELb1ELb1ES3_N6thrust23THRUST_200600_302600_NS6detail15normal_iteratorINS9_10device_ptrIxEEEESE_xNS9_4plusIvEExEEDaPvRmT3_T4_T5_mT6_P12ihipStream_tbENKUlT_T0_E_clISt17integral_constantIbLb0EEST_IbLb1EEEEDaSP_SQ_EUlSP_E_NS1_11comp_targetILNS1_3genE4ELNS1_11target_archE910ELNS1_3gpuE8ELNS1_3repE0EEENS1_30default_config_static_selectorELNS0_4arch9wavefront6targetE1EEEvT1_,"axG",@progbits,_ZN7rocprim17ROCPRIM_400000_NS6detail17trampoline_kernelINS0_14default_configENS1_20scan_config_selectorIxEEZZNS1_9scan_implILNS1_25lookback_scan_determinismE0ELb1ELb1ES3_N6thrust23THRUST_200600_302600_NS6detail15normal_iteratorINS9_10device_ptrIxEEEESE_xNS9_4plusIvEExEEDaPvRmT3_T4_T5_mT6_P12ihipStream_tbENKUlT_T0_E_clISt17integral_constantIbLb0EEST_IbLb1EEEEDaSP_SQ_EUlSP_E_NS1_11comp_targetILNS1_3genE4ELNS1_11target_archE910ELNS1_3gpuE8ELNS1_3repE0EEENS1_30default_config_static_selectorELNS0_4arch9wavefront6targetE1EEEvT1_,comdat
.Lfunc_end182:
	.size	_ZN7rocprim17ROCPRIM_400000_NS6detail17trampoline_kernelINS0_14default_configENS1_20scan_config_selectorIxEEZZNS1_9scan_implILNS1_25lookback_scan_determinismE0ELb1ELb1ES3_N6thrust23THRUST_200600_302600_NS6detail15normal_iteratorINS9_10device_ptrIxEEEESE_xNS9_4plusIvEExEEDaPvRmT3_T4_T5_mT6_P12ihipStream_tbENKUlT_T0_E_clISt17integral_constantIbLb0EEST_IbLb1EEEEDaSP_SQ_EUlSP_E_NS1_11comp_targetILNS1_3genE4ELNS1_11target_archE910ELNS1_3gpuE8ELNS1_3repE0EEENS1_30default_config_static_selectorELNS0_4arch9wavefront6targetE1EEEvT1_, .Lfunc_end182-_ZN7rocprim17ROCPRIM_400000_NS6detail17trampoline_kernelINS0_14default_configENS1_20scan_config_selectorIxEEZZNS1_9scan_implILNS1_25lookback_scan_determinismE0ELb1ELb1ES3_N6thrust23THRUST_200600_302600_NS6detail15normal_iteratorINS9_10device_ptrIxEEEESE_xNS9_4plusIvEExEEDaPvRmT3_T4_T5_mT6_P12ihipStream_tbENKUlT_T0_E_clISt17integral_constantIbLb0EEST_IbLb1EEEEDaSP_SQ_EUlSP_E_NS1_11comp_targetILNS1_3genE4ELNS1_11target_archE910ELNS1_3gpuE8ELNS1_3repE0EEENS1_30default_config_static_selectorELNS0_4arch9wavefront6targetE1EEEvT1_
                                        ; -- End function
	.section	.AMDGPU.csdata,"",@progbits
; Kernel info:
; codeLenInByte = 5700
; NumSgprs: 44
; NumVgprs: 51
; NumAgprs: 0
; TotalNumVgprs: 51
; ScratchSize: 0
; MemoryBound: 0
; FloatMode: 240
; IeeeMode: 1
; LDSByteSize: 7168 bytes/workgroup (compile time only)
; SGPRBlocks: 5
; VGPRBlocks: 6
; NumSGPRsForWavesPerEU: 44
; NumVGPRsForWavesPerEU: 51
; AccumOffset: 52
; Occupancy: 5
; WaveLimiterHint : 1
; COMPUTE_PGM_RSRC2:SCRATCH_EN: 0
; COMPUTE_PGM_RSRC2:USER_SGPR: 6
; COMPUTE_PGM_RSRC2:TRAP_HANDLER: 0
; COMPUTE_PGM_RSRC2:TGID_X_EN: 1
; COMPUTE_PGM_RSRC2:TGID_Y_EN: 0
; COMPUTE_PGM_RSRC2:TGID_Z_EN: 0
; COMPUTE_PGM_RSRC2:TIDIG_COMP_CNT: 0
; COMPUTE_PGM_RSRC3_GFX90A:ACCUM_OFFSET: 12
; COMPUTE_PGM_RSRC3_GFX90A:TG_SPLIT: 0
	.section	.text._ZN7rocprim17ROCPRIM_400000_NS6detail17trampoline_kernelINS0_14default_configENS1_20scan_config_selectorIxEEZZNS1_9scan_implILNS1_25lookback_scan_determinismE0ELb1ELb1ES3_N6thrust23THRUST_200600_302600_NS6detail15normal_iteratorINS9_10device_ptrIxEEEESE_xNS9_4plusIvEExEEDaPvRmT3_T4_T5_mT6_P12ihipStream_tbENKUlT_T0_E_clISt17integral_constantIbLb0EEST_IbLb1EEEEDaSP_SQ_EUlSP_E_NS1_11comp_targetILNS1_3genE3ELNS1_11target_archE908ELNS1_3gpuE7ELNS1_3repE0EEENS1_30default_config_static_selectorELNS0_4arch9wavefront6targetE1EEEvT1_,"axG",@progbits,_ZN7rocprim17ROCPRIM_400000_NS6detail17trampoline_kernelINS0_14default_configENS1_20scan_config_selectorIxEEZZNS1_9scan_implILNS1_25lookback_scan_determinismE0ELb1ELb1ES3_N6thrust23THRUST_200600_302600_NS6detail15normal_iteratorINS9_10device_ptrIxEEEESE_xNS9_4plusIvEExEEDaPvRmT3_T4_T5_mT6_P12ihipStream_tbENKUlT_T0_E_clISt17integral_constantIbLb0EEST_IbLb1EEEEDaSP_SQ_EUlSP_E_NS1_11comp_targetILNS1_3genE3ELNS1_11target_archE908ELNS1_3gpuE7ELNS1_3repE0EEENS1_30default_config_static_selectorELNS0_4arch9wavefront6targetE1EEEvT1_,comdat
	.protected	_ZN7rocprim17ROCPRIM_400000_NS6detail17trampoline_kernelINS0_14default_configENS1_20scan_config_selectorIxEEZZNS1_9scan_implILNS1_25lookback_scan_determinismE0ELb1ELb1ES3_N6thrust23THRUST_200600_302600_NS6detail15normal_iteratorINS9_10device_ptrIxEEEESE_xNS9_4plusIvEExEEDaPvRmT3_T4_T5_mT6_P12ihipStream_tbENKUlT_T0_E_clISt17integral_constantIbLb0EEST_IbLb1EEEEDaSP_SQ_EUlSP_E_NS1_11comp_targetILNS1_3genE3ELNS1_11target_archE908ELNS1_3gpuE7ELNS1_3repE0EEENS1_30default_config_static_selectorELNS0_4arch9wavefront6targetE1EEEvT1_ ; -- Begin function _ZN7rocprim17ROCPRIM_400000_NS6detail17trampoline_kernelINS0_14default_configENS1_20scan_config_selectorIxEEZZNS1_9scan_implILNS1_25lookback_scan_determinismE0ELb1ELb1ES3_N6thrust23THRUST_200600_302600_NS6detail15normal_iteratorINS9_10device_ptrIxEEEESE_xNS9_4plusIvEExEEDaPvRmT3_T4_T5_mT6_P12ihipStream_tbENKUlT_T0_E_clISt17integral_constantIbLb0EEST_IbLb1EEEEDaSP_SQ_EUlSP_E_NS1_11comp_targetILNS1_3genE3ELNS1_11target_archE908ELNS1_3gpuE7ELNS1_3repE0EEENS1_30default_config_static_selectorELNS0_4arch9wavefront6targetE1EEEvT1_
	.globl	_ZN7rocprim17ROCPRIM_400000_NS6detail17trampoline_kernelINS0_14default_configENS1_20scan_config_selectorIxEEZZNS1_9scan_implILNS1_25lookback_scan_determinismE0ELb1ELb1ES3_N6thrust23THRUST_200600_302600_NS6detail15normal_iteratorINS9_10device_ptrIxEEEESE_xNS9_4plusIvEExEEDaPvRmT3_T4_T5_mT6_P12ihipStream_tbENKUlT_T0_E_clISt17integral_constantIbLb0EEST_IbLb1EEEEDaSP_SQ_EUlSP_E_NS1_11comp_targetILNS1_3genE3ELNS1_11target_archE908ELNS1_3gpuE7ELNS1_3repE0EEENS1_30default_config_static_selectorELNS0_4arch9wavefront6targetE1EEEvT1_
	.p2align	8
	.type	_ZN7rocprim17ROCPRIM_400000_NS6detail17trampoline_kernelINS0_14default_configENS1_20scan_config_selectorIxEEZZNS1_9scan_implILNS1_25lookback_scan_determinismE0ELb1ELb1ES3_N6thrust23THRUST_200600_302600_NS6detail15normal_iteratorINS9_10device_ptrIxEEEESE_xNS9_4plusIvEExEEDaPvRmT3_T4_T5_mT6_P12ihipStream_tbENKUlT_T0_E_clISt17integral_constantIbLb0EEST_IbLb1EEEEDaSP_SQ_EUlSP_E_NS1_11comp_targetILNS1_3genE3ELNS1_11target_archE908ELNS1_3gpuE7ELNS1_3repE0EEENS1_30default_config_static_selectorELNS0_4arch9wavefront6targetE1EEEvT1_,@function
_ZN7rocprim17ROCPRIM_400000_NS6detail17trampoline_kernelINS0_14default_configENS1_20scan_config_selectorIxEEZZNS1_9scan_implILNS1_25lookback_scan_determinismE0ELb1ELb1ES3_N6thrust23THRUST_200600_302600_NS6detail15normal_iteratorINS9_10device_ptrIxEEEESE_xNS9_4plusIvEExEEDaPvRmT3_T4_T5_mT6_P12ihipStream_tbENKUlT_T0_E_clISt17integral_constantIbLb0EEST_IbLb1EEEEDaSP_SQ_EUlSP_E_NS1_11comp_targetILNS1_3genE3ELNS1_11target_archE908ELNS1_3gpuE7ELNS1_3repE0EEENS1_30default_config_static_selectorELNS0_4arch9wavefront6targetE1EEEvT1_: ; @_ZN7rocprim17ROCPRIM_400000_NS6detail17trampoline_kernelINS0_14default_configENS1_20scan_config_selectorIxEEZZNS1_9scan_implILNS1_25lookback_scan_determinismE0ELb1ELb1ES3_N6thrust23THRUST_200600_302600_NS6detail15normal_iteratorINS9_10device_ptrIxEEEESE_xNS9_4plusIvEExEEDaPvRmT3_T4_T5_mT6_P12ihipStream_tbENKUlT_T0_E_clISt17integral_constantIbLb0EEST_IbLb1EEEEDaSP_SQ_EUlSP_E_NS1_11comp_targetILNS1_3genE3ELNS1_11target_archE908ELNS1_3gpuE7ELNS1_3repE0EEENS1_30default_config_static_selectorELNS0_4arch9wavefront6targetE1EEEvT1_
; %bb.0:
	.section	.rodata,"a",@progbits
	.p2align	6, 0x0
	.amdhsa_kernel _ZN7rocprim17ROCPRIM_400000_NS6detail17trampoline_kernelINS0_14default_configENS1_20scan_config_selectorIxEEZZNS1_9scan_implILNS1_25lookback_scan_determinismE0ELb1ELb1ES3_N6thrust23THRUST_200600_302600_NS6detail15normal_iteratorINS9_10device_ptrIxEEEESE_xNS9_4plusIvEExEEDaPvRmT3_T4_T5_mT6_P12ihipStream_tbENKUlT_T0_E_clISt17integral_constantIbLb0EEST_IbLb1EEEEDaSP_SQ_EUlSP_E_NS1_11comp_targetILNS1_3genE3ELNS1_11target_archE908ELNS1_3gpuE7ELNS1_3repE0EEENS1_30default_config_static_selectorELNS0_4arch9wavefront6targetE1EEEvT1_
		.amdhsa_group_segment_fixed_size 0
		.amdhsa_private_segment_fixed_size 0
		.amdhsa_kernarg_size 104
		.amdhsa_user_sgpr_count 6
		.amdhsa_user_sgpr_private_segment_buffer 1
		.amdhsa_user_sgpr_dispatch_ptr 0
		.amdhsa_user_sgpr_queue_ptr 0
		.amdhsa_user_sgpr_kernarg_segment_ptr 1
		.amdhsa_user_sgpr_dispatch_id 0
		.amdhsa_user_sgpr_flat_scratch_init 0
		.amdhsa_user_sgpr_kernarg_preload_length 0
		.amdhsa_user_sgpr_kernarg_preload_offset 0
		.amdhsa_user_sgpr_private_segment_size 0
		.amdhsa_uses_dynamic_stack 0
		.amdhsa_system_sgpr_private_segment_wavefront_offset 0
		.amdhsa_system_sgpr_workgroup_id_x 1
		.amdhsa_system_sgpr_workgroup_id_y 0
		.amdhsa_system_sgpr_workgroup_id_z 0
		.amdhsa_system_sgpr_workgroup_info 0
		.amdhsa_system_vgpr_workitem_id 0
		.amdhsa_next_free_vgpr 1
		.amdhsa_next_free_sgpr 0
		.amdhsa_accum_offset 4
		.amdhsa_reserve_vcc 0
		.amdhsa_reserve_flat_scratch 0
		.amdhsa_float_round_mode_32 0
		.amdhsa_float_round_mode_16_64 0
		.amdhsa_float_denorm_mode_32 3
		.amdhsa_float_denorm_mode_16_64 3
		.amdhsa_dx10_clamp 1
		.amdhsa_ieee_mode 1
		.amdhsa_fp16_overflow 0
		.amdhsa_tg_split 0
		.amdhsa_exception_fp_ieee_invalid_op 0
		.amdhsa_exception_fp_denorm_src 0
		.amdhsa_exception_fp_ieee_div_zero 0
		.amdhsa_exception_fp_ieee_overflow 0
		.amdhsa_exception_fp_ieee_underflow 0
		.amdhsa_exception_fp_ieee_inexact 0
		.amdhsa_exception_int_div_zero 0
	.end_amdhsa_kernel
	.section	.text._ZN7rocprim17ROCPRIM_400000_NS6detail17trampoline_kernelINS0_14default_configENS1_20scan_config_selectorIxEEZZNS1_9scan_implILNS1_25lookback_scan_determinismE0ELb1ELb1ES3_N6thrust23THRUST_200600_302600_NS6detail15normal_iteratorINS9_10device_ptrIxEEEESE_xNS9_4plusIvEExEEDaPvRmT3_T4_T5_mT6_P12ihipStream_tbENKUlT_T0_E_clISt17integral_constantIbLb0EEST_IbLb1EEEEDaSP_SQ_EUlSP_E_NS1_11comp_targetILNS1_3genE3ELNS1_11target_archE908ELNS1_3gpuE7ELNS1_3repE0EEENS1_30default_config_static_selectorELNS0_4arch9wavefront6targetE1EEEvT1_,"axG",@progbits,_ZN7rocprim17ROCPRIM_400000_NS6detail17trampoline_kernelINS0_14default_configENS1_20scan_config_selectorIxEEZZNS1_9scan_implILNS1_25lookback_scan_determinismE0ELb1ELb1ES3_N6thrust23THRUST_200600_302600_NS6detail15normal_iteratorINS9_10device_ptrIxEEEESE_xNS9_4plusIvEExEEDaPvRmT3_T4_T5_mT6_P12ihipStream_tbENKUlT_T0_E_clISt17integral_constantIbLb0EEST_IbLb1EEEEDaSP_SQ_EUlSP_E_NS1_11comp_targetILNS1_3genE3ELNS1_11target_archE908ELNS1_3gpuE7ELNS1_3repE0EEENS1_30default_config_static_selectorELNS0_4arch9wavefront6targetE1EEEvT1_,comdat
.Lfunc_end183:
	.size	_ZN7rocprim17ROCPRIM_400000_NS6detail17trampoline_kernelINS0_14default_configENS1_20scan_config_selectorIxEEZZNS1_9scan_implILNS1_25lookback_scan_determinismE0ELb1ELb1ES3_N6thrust23THRUST_200600_302600_NS6detail15normal_iteratorINS9_10device_ptrIxEEEESE_xNS9_4plusIvEExEEDaPvRmT3_T4_T5_mT6_P12ihipStream_tbENKUlT_T0_E_clISt17integral_constantIbLb0EEST_IbLb1EEEEDaSP_SQ_EUlSP_E_NS1_11comp_targetILNS1_3genE3ELNS1_11target_archE908ELNS1_3gpuE7ELNS1_3repE0EEENS1_30default_config_static_selectorELNS0_4arch9wavefront6targetE1EEEvT1_, .Lfunc_end183-_ZN7rocprim17ROCPRIM_400000_NS6detail17trampoline_kernelINS0_14default_configENS1_20scan_config_selectorIxEEZZNS1_9scan_implILNS1_25lookback_scan_determinismE0ELb1ELb1ES3_N6thrust23THRUST_200600_302600_NS6detail15normal_iteratorINS9_10device_ptrIxEEEESE_xNS9_4plusIvEExEEDaPvRmT3_T4_T5_mT6_P12ihipStream_tbENKUlT_T0_E_clISt17integral_constantIbLb0EEST_IbLb1EEEEDaSP_SQ_EUlSP_E_NS1_11comp_targetILNS1_3genE3ELNS1_11target_archE908ELNS1_3gpuE7ELNS1_3repE0EEENS1_30default_config_static_selectorELNS0_4arch9wavefront6targetE1EEEvT1_
                                        ; -- End function
	.section	.AMDGPU.csdata,"",@progbits
; Kernel info:
; codeLenInByte = 0
; NumSgprs: 4
; NumVgprs: 0
; NumAgprs: 0
; TotalNumVgprs: 0
; ScratchSize: 0
; MemoryBound: 0
; FloatMode: 240
; IeeeMode: 1
; LDSByteSize: 0 bytes/workgroup (compile time only)
; SGPRBlocks: 0
; VGPRBlocks: 0
; NumSGPRsForWavesPerEU: 4
; NumVGPRsForWavesPerEU: 1
; AccumOffset: 4
; Occupancy: 8
; WaveLimiterHint : 0
; COMPUTE_PGM_RSRC2:SCRATCH_EN: 0
; COMPUTE_PGM_RSRC2:USER_SGPR: 6
; COMPUTE_PGM_RSRC2:TRAP_HANDLER: 0
; COMPUTE_PGM_RSRC2:TGID_X_EN: 1
; COMPUTE_PGM_RSRC2:TGID_Y_EN: 0
; COMPUTE_PGM_RSRC2:TGID_Z_EN: 0
; COMPUTE_PGM_RSRC2:TIDIG_COMP_CNT: 0
; COMPUTE_PGM_RSRC3_GFX90A:ACCUM_OFFSET: 0
; COMPUTE_PGM_RSRC3_GFX90A:TG_SPLIT: 0
	.section	.text._ZN7rocprim17ROCPRIM_400000_NS6detail17trampoline_kernelINS0_14default_configENS1_20scan_config_selectorIxEEZZNS1_9scan_implILNS1_25lookback_scan_determinismE0ELb1ELb1ES3_N6thrust23THRUST_200600_302600_NS6detail15normal_iteratorINS9_10device_ptrIxEEEESE_xNS9_4plusIvEExEEDaPvRmT3_T4_T5_mT6_P12ihipStream_tbENKUlT_T0_E_clISt17integral_constantIbLb0EEST_IbLb1EEEEDaSP_SQ_EUlSP_E_NS1_11comp_targetILNS1_3genE2ELNS1_11target_archE906ELNS1_3gpuE6ELNS1_3repE0EEENS1_30default_config_static_selectorELNS0_4arch9wavefront6targetE1EEEvT1_,"axG",@progbits,_ZN7rocprim17ROCPRIM_400000_NS6detail17trampoline_kernelINS0_14default_configENS1_20scan_config_selectorIxEEZZNS1_9scan_implILNS1_25lookback_scan_determinismE0ELb1ELb1ES3_N6thrust23THRUST_200600_302600_NS6detail15normal_iteratorINS9_10device_ptrIxEEEESE_xNS9_4plusIvEExEEDaPvRmT3_T4_T5_mT6_P12ihipStream_tbENKUlT_T0_E_clISt17integral_constantIbLb0EEST_IbLb1EEEEDaSP_SQ_EUlSP_E_NS1_11comp_targetILNS1_3genE2ELNS1_11target_archE906ELNS1_3gpuE6ELNS1_3repE0EEENS1_30default_config_static_selectorELNS0_4arch9wavefront6targetE1EEEvT1_,comdat
	.protected	_ZN7rocprim17ROCPRIM_400000_NS6detail17trampoline_kernelINS0_14default_configENS1_20scan_config_selectorIxEEZZNS1_9scan_implILNS1_25lookback_scan_determinismE0ELb1ELb1ES3_N6thrust23THRUST_200600_302600_NS6detail15normal_iteratorINS9_10device_ptrIxEEEESE_xNS9_4plusIvEExEEDaPvRmT3_T4_T5_mT6_P12ihipStream_tbENKUlT_T0_E_clISt17integral_constantIbLb0EEST_IbLb1EEEEDaSP_SQ_EUlSP_E_NS1_11comp_targetILNS1_3genE2ELNS1_11target_archE906ELNS1_3gpuE6ELNS1_3repE0EEENS1_30default_config_static_selectorELNS0_4arch9wavefront6targetE1EEEvT1_ ; -- Begin function _ZN7rocprim17ROCPRIM_400000_NS6detail17trampoline_kernelINS0_14default_configENS1_20scan_config_selectorIxEEZZNS1_9scan_implILNS1_25lookback_scan_determinismE0ELb1ELb1ES3_N6thrust23THRUST_200600_302600_NS6detail15normal_iteratorINS9_10device_ptrIxEEEESE_xNS9_4plusIvEExEEDaPvRmT3_T4_T5_mT6_P12ihipStream_tbENKUlT_T0_E_clISt17integral_constantIbLb0EEST_IbLb1EEEEDaSP_SQ_EUlSP_E_NS1_11comp_targetILNS1_3genE2ELNS1_11target_archE906ELNS1_3gpuE6ELNS1_3repE0EEENS1_30default_config_static_selectorELNS0_4arch9wavefront6targetE1EEEvT1_
	.globl	_ZN7rocprim17ROCPRIM_400000_NS6detail17trampoline_kernelINS0_14default_configENS1_20scan_config_selectorIxEEZZNS1_9scan_implILNS1_25lookback_scan_determinismE0ELb1ELb1ES3_N6thrust23THRUST_200600_302600_NS6detail15normal_iteratorINS9_10device_ptrIxEEEESE_xNS9_4plusIvEExEEDaPvRmT3_T4_T5_mT6_P12ihipStream_tbENKUlT_T0_E_clISt17integral_constantIbLb0EEST_IbLb1EEEEDaSP_SQ_EUlSP_E_NS1_11comp_targetILNS1_3genE2ELNS1_11target_archE906ELNS1_3gpuE6ELNS1_3repE0EEENS1_30default_config_static_selectorELNS0_4arch9wavefront6targetE1EEEvT1_
	.p2align	8
	.type	_ZN7rocprim17ROCPRIM_400000_NS6detail17trampoline_kernelINS0_14default_configENS1_20scan_config_selectorIxEEZZNS1_9scan_implILNS1_25lookback_scan_determinismE0ELb1ELb1ES3_N6thrust23THRUST_200600_302600_NS6detail15normal_iteratorINS9_10device_ptrIxEEEESE_xNS9_4plusIvEExEEDaPvRmT3_T4_T5_mT6_P12ihipStream_tbENKUlT_T0_E_clISt17integral_constantIbLb0EEST_IbLb1EEEEDaSP_SQ_EUlSP_E_NS1_11comp_targetILNS1_3genE2ELNS1_11target_archE906ELNS1_3gpuE6ELNS1_3repE0EEENS1_30default_config_static_selectorELNS0_4arch9wavefront6targetE1EEEvT1_,@function
_ZN7rocprim17ROCPRIM_400000_NS6detail17trampoline_kernelINS0_14default_configENS1_20scan_config_selectorIxEEZZNS1_9scan_implILNS1_25lookback_scan_determinismE0ELb1ELb1ES3_N6thrust23THRUST_200600_302600_NS6detail15normal_iteratorINS9_10device_ptrIxEEEESE_xNS9_4plusIvEExEEDaPvRmT3_T4_T5_mT6_P12ihipStream_tbENKUlT_T0_E_clISt17integral_constantIbLb0EEST_IbLb1EEEEDaSP_SQ_EUlSP_E_NS1_11comp_targetILNS1_3genE2ELNS1_11target_archE906ELNS1_3gpuE6ELNS1_3repE0EEENS1_30default_config_static_selectorELNS0_4arch9wavefront6targetE1EEEvT1_: ; @_ZN7rocprim17ROCPRIM_400000_NS6detail17trampoline_kernelINS0_14default_configENS1_20scan_config_selectorIxEEZZNS1_9scan_implILNS1_25lookback_scan_determinismE0ELb1ELb1ES3_N6thrust23THRUST_200600_302600_NS6detail15normal_iteratorINS9_10device_ptrIxEEEESE_xNS9_4plusIvEExEEDaPvRmT3_T4_T5_mT6_P12ihipStream_tbENKUlT_T0_E_clISt17integral_constantIbLb0EEST_IbLb1EEEEDaSP_SQ_EUlSP_E_NS1_11comp_targetILNS1_3genE2ELNS1_11target_archE906ELNS1_3gpuE6ELNS1_3repE0EEENS1_30default_config_static_selectorELNS0_4arch9wavefront6targetE1EEEvT1_
; %bb.0:
	.section	.rodata,"a",@progbits
	.p2align	6, 0x0
	.amdhsa_kernel _ZN7rocprim17ROCPRIM_400000_NS6detail17trampoline_kernelINS0_14default_configENS1_20scan_config_selectorIxEEZZNS1_9scan_implILNS1_25lookback_scan_determinismE0ELb1ELb1ES3_N6thrust23THRUST_200600_302600_NS6detail15normal_iteratorINS9_10device_ptrIxEEEESE_xNS9_4plusIvEExEEDaPvRmT3_T4_T5_mT6_P12ihipStream_tbENKUlT_T0_E_clISt17integral_constantIbLb0EEST_IbLb1EEEEDaSP_SQ_EUlSP_E_NS1_11comp_targetILNS1_3genE2ELNS1_11target_archE906ELNS1_3gpuE6ELNS1_3repE0EEENS1_30default_config_static_selectorELNS0_4arch9wavefront6targetE1EEEvT1_
		.amdhsa_group_segment_fixed_size 0
		.amdhsa_private_segment_fixed_size 0
		.amdhsa_kernarg_size 104
		.amdhsa_user_sgpr_count 6
		.amdhsa_user_sgpr_private_segment_buffer 1
		.amdhsa_user_sgpr_dispatch_ptr 0
		.amdhsa_user_sgpr_queue_ptr 0
		.amdhsa_user_sgpr_kernarg_segment_ptr 1
		.amdhsa_user_sgpr_dispatch_id 0
		.amdhsa_user_sgpr_flat_scratch_init 0
		.amdhsa_user_sgpr_kernarg_preload_length 0
		.amdhsa_user_sgpr_kernarg_preload_offset 0
		.amdhsa_user_sgpr_private_segment_size 0
		.amdhsa_uses_dynamic_stack 0
		.amdhsa_system_sgpr_private_segment_wavefront_offset 0
		.amdhsa_system_sgpr_workgroup_id_x 1
		.amdhsa_system_sgpr_workgroup_id_y 0
		.amdhsa_system_sgpr_workgroup_id_z 0
		.amdhsa_system_sgpr_workgroup_info 0
		.amdhsa_system_vgpr_workitem_id 0
		.amdhsa_next_free_vgpr 1
		.amdhsa_next_free_sgpr 0
		.amdhsa_accum_offset 4
		.amdhsa_reserve_vcc 0
		.amdhsa_reserve_flat_scratch 0
		.amdhsa_float_round_mode_32 0
		.amdhsa_float_round_mode_16_64 0
		.amdhsa_float_denorm_mode_32 3
		.amdhsa_float_denorm_mode_16_64 3
		.amdhsa_dx10_clamp 1
		.amdhsa_ieee_mode 1
		.amdhsa_fp16_overflow 0
		.amdhsa_tg_split 0
		.amdhsa_exception_fp_ieee_invalid_op 0
		.amdhsa_exception_fp_denorm_src 0
		.amdhsa_exception_fp_ieee_div_zero 0
		.amdhsa_exception_fp_ieee_overflow 0
		.amdhsa_exception_fp_ieee_underflow 0
		.amdhsa_exception_fp_ieee_inexact 0
		.amdhsa_exception_int_div_zero 0
	.end_amdhsa_kernel
	.section	.text._ZN7rocprim17ROCPRIM_400000_NS6detail17trampoline_kernelINS0_14default_configENS1_20scan_config_selectorIxEEZZNS1_9scan_implILNS1_25lookback_scan_determinismE0ELb1ELb1ES3_N6thrust23THRUST_200600_302600_NS6detail15normal_iteratorINS9_10device_ptrIxEEEESE_xNS9_4plusIvEExEEDaPvRmT3_T4_T5_mT6_P12ihipStream_tbENKUlT_T0_E_clISt17integral_constantIbLb0EEST_IbLb1EEEEDaSP_SQ_EUlSP_E_NS1_11comp_targetILNS1_3genE2ELNS1_11target_archE906ELNS1_3gpuE6ELNS1_3repE0EEENS1_30default_config_static_selectorELNS0_4arch9wavefront6targetE1EEEvT1_,"axG",@progbits,_ZN7rocprim17ROCPRIM_400000_NS6detail17trampoline_kernelINS0_14default_configENS1_20scan_config_selectorIxEEZZNS1_9scan_implILNS1_25lookback_scan_determinismE0ELb1ELb1ES3_N6thrust23THRUST_200600_302600_NS6detail15normal_iteratorINS9_10device_ptrIxEEEESE_xNS9_4plusIvEExEEDaPvRmT3_T4_T5_mT6_P12ihipStream_tbENKUlT_T0_E_clISt17integral_constantIbLb0EEST_IbLb1EEEEDaSP_SQ_EUlSP_E_NS1_11comp_targetILNS1_3genE2ELNS1_11target_archE906ELNS1_3gpuE6ELNS1_3repE0EEENS1_30default_config_static_selectorELNS0_4arch9wavefront6targetE1EEEvT1_,comdat
.Lfunc_end184:
	.size	_ZN7rocprim17ROCPRIM_400000_NS6detail17trampoline_kernelINS0_14default_configENS1_20scan_config_selectorIxEEZZNS1_9scan_implILNS1_25lookback_scan_determinismE0ELb1ELb1ES3_N6thrust23THRUST_200600_302600_NS6detail15normal_iteratorINS9_10device_ptrIxEEEESE_xNS9_4plusIvEExEEDaPvRmT3_T4_T5_mT6_P12ihipStream_tbENKUlT_T0_E_clISt17integral_constantIbLb0EEST_IbLb1EEEEDaSP_SQ_EUlSP_E_NS1_11comp_targetILNS1_3genE2ELNS1_11target_archE906ELNS1_3gpuE6ELNS1_3repE0EEENS1_30default_config_static_selectorELNS0_4arch9wavefront6targetE1EEEvT1_, .Lfunc_end184-_ZN7rocprim17ROCPRIM_400000_NS6detail17trampoline_kernelINS0_14default_configENS1_20scan_config_selectorIxEEZZNS1_9scan_implILNS1_25lookback_scan_determinismE0ELb1ELb1ES3_N6thrust23THRUST_200600_302600_NS6detail15normal_iteratorINS9_10device_ptrIxEEEESE_xNS9_4plusIvEExEEDaPvRmT3_T4_T5_mT6_P12ihipStream_tbENKUlT_T0_E_clISt17integral_constantIbLb0EEST_IbLb1EEEEDaSP_SQ_EUlSP_E_NS1_11comp_targetILNS1_3genE2ELNS1_11target_archE906ELNS1_3gpuE6ELNS1_3repE0EEENS1_30default_config_static_selectorELNS0_4arch9wavefront6targetE1EEEvT1_
                                        ; -- End function
	.section	.AMDGPU.csdata,"",@progbits
; Kernel info:
; codeLenInByte = 0
; NumSgprs: 4
; NumVgprs: 0
; NumAgprs: 0
; TotalNumVgprs: 0
; ScratchSize: 0
; MemoryBound: 0
; FloatMode: 240
; IeeeMode: 1
; LDSByteSize: 0 bytes/workgroup (compile time only)
; SGPRBlocks: 0
; VGPRBlocks: 0
; NumSGPRsForWavesPerEU: 4
; NumVGPRsForWavesPerEU: 1
; AccumOffset: 4
; Occupancy: 8
; WaveLimiterHint : 0
; COMPUTE_PGM_RSRC2:SCRATCH_EN: 0
; COMPUTE_PGM_RSRC2:USER_SGPR: 6
; COMPUTE_PGM_RSRC2:TRAP_HANDLER: 0
; COMPUTE_PGM_RSRC2:TGID_X_EN: 1
; COMPUTE_PGM_RSRC2:TGID_Y_EN: 0
; COMPUTE_PGM_RSRC2:TGID_Z_EN: 0
; COMPUTE_PGM_RSRC2:TIDIG_COMP_CNT: 0
; COMPUTE_PGM_RSRC3_GFX90A:ACCUM_OFFSET: 0
; COMPUTE_PGM_RSRC3_GFX90A:TG_SPLIT: 0
	.section	.text._ZN7rocprim17ROCPRIM_400000_NS6detail17trampoline_kernelINS0_14default_configENS1_20scan_config_selectorIxEEZZNS1_9scan_implILNS1_25lookback_scan_determinismE0ELb1ELb1ES3_N6thrust23THRUST_200600_302600_NS6detail15normal_iteratorINS9_10device_ptrIxEEEESE_xNS9_4plusIvEExEEDaPvRmT3_T4_T5_mT6_P12ihipStream_tbENKUlT_T0_E_clISt17integral_constantIbLb0EEST_IbLb1EEEEDaSP_SQ_EUlSP_E_NS1_11comp_targetILNS1_3genE10ELNS1_11target_archE1201ELNS1_3gpuE5ELNS1_3repE0EEENS1_30default_config_static_selectorELNS0_4arch9wavefront6targetE1EEEvT1_,"axG",@progbits,_ZN7rocprim17ROCPRIM_400000_NS6detail17trampoline_kernelINS0_14default_configENS1_20scan_config_selectorIxEEZZNS1_9scan_implILNS1_25lookback_scan_determinismE0ELb1ELb1ES3_N6thrust23THRUST_200600_302600_NS6detail15normal_iteratorINS9_10device_ptrIxEEEESE_xNS9_4plusIvEExEEDaPvRmT3_T4_T5_mT6_P12ihipStream_tbENKUlT_T0_E_clISt17integral_constantIbLb0EEST_IbLb1EEEEDaSP_SQ_EUlSP_E_NS1_11comp_targetILNS1_3genE10ELNS1_11target_archE1201ELNS1_3gpuE5ELNS1_3repE0EEENS1_30default_config_static_selectorELNS0_4arch9wavefront6targetE1EEEvT1_,comdat
	.protected	_ZN7rocprim17ROCPRIM_400000_NS6detail17trampoline_kernelINS0_14default_configENS1_20scan_config_selectorIxEEZZNS1_9scan_implILNS1_25lookback_scan_determinismE0ELb1ELb1ES3_N6thrust23THRUST_200600_302600_NS6detail15normal_iteratorINS9_10device_ptrIxEEEESE_xNS9_4plusIvEExEEDaPvRmT3_T4_T5_mT6_P12ihipStream_tbENKUlT_T0_E_clISt17integral_constantIbLb0EEST_IbLb1EEEEDaSP_SQ_EUlSP_E_NS1_11comp_targetILNS1_3genE10ELNS1_11target_archE1201ELNS1_3gpuE5ELNS1_3repE0EEENS1_30default_config_static_selectorELNS0_4arch9wavefront6targetE1EEEvT1_ ; -- Begin function _ZN7rocprim17ROCPRIM_400000_NS6detail17trampoline_kernelINS0_14default_configENS1_20scan_config_selectorIxEEZZNS1_9scan_implILNS1_25lookback_scan_determinismE0ELb1ELb1ES3_N6thrust23THRUST_200600_302600_NS6detail15normal_iteratorINS9_10device_ptrIxEEEESE_xNS9_4plusIvEExEEDaPvRmT3_T4_T5_mT6_P12ihipStream_tbENKUlT_T0_E_clISt17integral_constantIbLb0EEST_IbLb1EEEEDaSP_SQ_EUlSP_E_NS1_11comp_targetILNS1_3genE10ELNS1_11target_archE1201ELNS1_3gpuE5ELNS1_3repE0EEENS1_30default_config_static_selectorELNS0_4arch9wavefront6targetE1EEEvT1_
	.globl	_ZN7rocprim17ROCPRIM_400000_NS6detail17trampoline_kernelINS0_14default_configENS1_20scan_config_selectorIxEEZZNS1_9scan_implILNS1_25lookback_scan_determinismE0ELb1ELb1ES3_N6thrust23THRUST_200600_302600_NS6detail15normal_iteratorINS9_10device_ptrIxEEEESE_xNS9_4plusIvEExEEDaPvRmT3_T4_T5_mT6_P12ihipStream_tbENKUlT_T0_E_clISt17integral_constantIbLb0EEST_IbLb1EEEEDaSP_SQ_EUlSP_E_NS1_11comp_targetILNS1_3genE10ELNS1_11target_archE1201ELNS1_3gpuE5ELNS1_3repE0EEENS1_30default_config_static_selectorELNS0_4arch9wavefront6targetE1EEEvT1_
	.p2align	8
	.type	_ZN7rocprim17ROCPRIM_400000_NS6detail17trampoline_kernelINS0_14default_configENS1_20scan_config_selectorIxEEZZNS1_9scan_implILNS1_25lookback_scan_determinismE0ELb1ELb1ES3_N6thrust23THRUST_200600_302600_NS6detail15normal_iteratorINS9_10device_ptrIxEEEESE_xNS9_4plusIvEExEEDaPvRmT3_T4_T5_mT6_P12ihipStream_tbENKUlT_T0_E_clISt17integral_constantIbLb0EEST_IbLb1EEEEDaSP_SQ_EUlSP_E_NS1_11comp_targetILNS1_3genE10ELNS1_11target_archE1201ELNS1_3gpuE5ELNS1_3repE0EEENS1_30default_config_static_selectorELNS0_4arch9wavefront6targetE1EEEvT1_,@function
_ZN7rocprim17ROCPRIM_400000_NS6detail17trampoline_kernelINS0_14default_configENS1_20scan_config_selectorIxEEZZNS1_9scan_implILNS1_25lookback_scan_determinismE0ELb1ELb1ES3_N6thrust23THRUST_200600_302600_NS6detail15normal_iteratorINS9_10device_ptrIxEEEESE_xNS9_4plusIvEExEEDaPvRmT3_T4_T5_mT6_P12ihipStream_tbENKUlT_T0_E_clISt17integral_constantIbLb0EEST_IbLb1EEEEDaSP_SQ_EUlSP_E_NS1_11comp_targetILNS1_3genE10ELNS1_11target_archE1201ELNS1_3gpuE5ELNS1_3repE0EEENS1_30default_config_static_selectorELNS0_4arch9wavefront6targetE1EEEvT1_: ; @_ZN7rocprim17ROCPRIM_400000_NS6detail17trampoline_kernelINS0_14default_configENS1_20scan_config_selectorIxEEZZNS1_9scan_implILNS1_25lookback_scan_determinismE0ELb1ELb1ES3_N6thrust23THRUST_200600_302600_NS6detail15normal_iteratorINS9_10device_ptrIxEEEESE_xNS9_4plusIvEExEEDaPvRmT3_T4_T5_mT6_P12ihipStream_tbENKUlT_T0_E_clISt17integral_constantIbLb0EEST_IbLb1EEEEDaSP_SQ_EUlSP_E_NS1_11comp_targetILNS1_3genE10ELNS1_11target_archE1201ELNS1_3gpuE5ELNS1_3repE0EEENS1_30default_config_static_selectorELNS0_4arch9wavefront6targetE1EEEvT1_
; %bb.0:
	.section	.rodata,"a",@progbits
	.p2align	6, 0x0
	.amdhsa_kernel _ZN7rocprim17ROCPRIM_400000_NS6detail17trampoline_kernelINS0_14default_configENS1_20scan_config_selectorIxEEZZNS1_9scan_implILNS1_25lookback_scan_determinismE0ELb1ELb1ES3_N6thrust23THRUST_200600_302600_NS6detail15normal_iteratorINS9_10device_ptrIxEEEESE_xNS9_4plusIvEExEEDaPvRmT3_T4_T5_mT6_P12ihipStream_tbENKUlT_T0_E_clISt17integral_constantIbLb0EEST_IbLb1EEEEDaSP_SQ_EUlSP_E_NS1_11comp_targetILNS1_3genE10ELNS1_11target_archE1201ELNS1_3gpuE5ELNS1_3repE0EEENS1_30default_config_static_selectorELNS0_4arch9wavefront6targetE1EEEvT1_
		.amdhsa_group_segment_fixed_size 0
		.amdhsa_private_segment_fixed_size 0
		.amdhsa_kernarg_size 104
		.amdhsa_user_sgpr_count 6
		.amdhsa_user_sgpr_private_segment_buffer 1
		.amdhsa_user_sgpr_dispatch_ptr 0
		.amdhsa_user_sgpr_queue_ptr 0
		.amdhsa_user_sgpr_kernarg_segment_ptr 1
		.amdhsa_user_sgpr_dispatch_id 0
		.amdhsa_user_sgpr_flat_scratch_init 0
		.amdhsa_user_sgpr_kernarg_preload_length 0
		.amdhsa_user_sgpr_kernarg_preload_offset 0
		.amdhsa_user_sgpr_private_segment_size 0
		.amdhsa_uses_dynamic_stack 0
		.amdhsa_system_sgpr_private_segment_wavefront_offset 0
		.amdhsa_system_sgpr_workgroup_id_x 1
		.amdhsa_system_sgpr_workgroup_id_y 0
		.amdhsa_system_sgpr_workgroup_id_z 0
		.amdhsa_system_sgpr_workgroup_info 0
		.amdhsa_system_vgpr_workitem_id 0
		.amdhsa_next_free_vgpr 1
		.amdhsa_next_free_sgpr 0
		.amdhsa_accum_offset 4
		.amdhsa_reserve_vcc 0
		.amdhsa_reserve_flat_scratch 0
		.amdhsa_float_round_mode_32 0
		.amdhsa_float_round_mode_16_64 0
		.amdhsa_float_denorm_mode_32 3
		.amdhsa_float_denorm_mode_16_64 3
		.amdhsa_dx10_clamp 1
		.amdhsa_ieee_mode 1
		.amdhsa_fp16_overflow 0
		.amdhsa_tg_split 0
		.amdhsa_exception_fp_ieee_invalid_op 0
		.amdhsa_exception_fp_denorm_src 0
		.amdhsa_exception_fp_ieee_div_zero 0
		.amdhsa_exception_fp_ieee_overflow 0
		.amdhsa_exception_fp_ieee_underflow 0
		.amdhsa_exception_fp_ieee_inexact 0
		.amdhsa_exception_int_div_zero 0
	.end_amdhsa_kernel
	.section	.text._ZN7rocprim17ROCPRIM_400000_NS6detail17trampoline_kernelINS0_14default_configENS1_20scan_config_selectorIxEEZZNS1_9scan_implILNS1_25lookback_scan_determinismE0ELb1ELb1ES3_N6thrust23THRUST_200600_302600_NS6detail15normal_iteratorINS9_10device_ptrIxEEEESE_xNS9_4plusIvEExEEDaPvRmT3_T4_T5_mT6_P12ihipStream_tbENKUlT_T0_E_clISt17integral_constantIbLb0EEST_IbLb1EEEEDaSP_SQ_EUlSP_E_NS1_11comp_targetILNS1_3genE10ELNS1_11target_archE1201ELNS1_3gpuE5ELNS1_3repE0EEENS1_30default_config_static_selectorELNS0_4arch9wavefront6targetE1EEEvT1_,"axG",@progbits,_ZN7rocprim17ROCPRIM_400000_NS6detail17trampoline_kernelINS0_14default_configENS1_20scan_config_selectorIxEEZZNS1_9scan_implILNS1_25lookback_scan_determinismE0ELb1ELb1ES3_N6thrust23THRUST_200600_302600_NS6detail15normal_iteratorINS9_10device_ptrIxEEEESE_xNS9_4plusIvEExEEDaPvRmT3_T4_T5_mT6_P12ihipStream_tbENKUlT_T0_E_clISt17integral_constantIbLb0EEST_IbLb1EEEEDaSP_SQ_EUlSP_E_NS1_11comp_targetILNS1_3genE10ELNS1_11target_archE1201ELNS1_3gpuE5ELNS1_3repE0EEENS1_30default_config_static_selectorELNS0_4arch9wavefront6targetE1EEEvT1_,comdat
.Lfunc_end185:
	.size	_ZN7rocprim17ROCPRIM_400000_NS6detail17trampoline_kernelINS0_14default_configENS1_20scan_config_selectorIxEEZZNS1_9scan_implILNS1_25lookback_scan_determinismE0ELb1ELb1ES3_N6thrust23THRUST_200600_302600_NS6detail15normal_iteratorINS9_10device_ptrIxEEEESE_xNS9_4plusIvEExEEDaPvRmT3_T4_T5_mT6_P12ihipStream_tbENKUlT_T0_E_clISt17integral_constantIbLb0EEST_IbLb1EEEEDaSP_SQ_EUlSP_E_NS1_11comp_targetILNS1_3genE10ELNS1_11target_archE1201ELNS1_3gpuE5ELNS1_3repE0EEENS1_30default_config_static_selectorELNS0_4arch9wavefront6targetE1EEEvT1_, .Lfunc_end185-_ZN7rocprim17ROCPRIM_400000_NS6detail17trampoline_kernelINS0_14default_configENS1_20scan_config_selectorIxEEZZNS1_9scan_implILNS1_25lookback_scan_determinismE0ELb1ELb1ES3_N6thrust23THRUST_200600_302600_NS6detail15normal_iteratorINS9_10device_ptrIxEEEESE_xNS9_4plusIvEExEEDaPvRmT3_T4_T5_mT6_P12ihipStream_tbENKUlT_T0_E_clISt17integral_constantIbLb0EEST_IbLb1EEEEDaSP_SQ_EUlSP_E_NS1_11comp_targetILNS1_3genE10ELNS1_11target_archE1201ELNS1_3gpuE5ELNS1_3repE0EEENS1_30default_config_static_selectorELNS0_4arch9wavefront6targetE1EEEvT1_
                                        ; -- End function
	.section	.AMDGPU.csdata,"",@progbits
; Kernel info:
; codeLenInByte = 0
; NumSgprs: 4
; NumVgprs: 0
; NumAgprs: 0
; TotalNumVgprs: 0
; ScratchSize: 0
; MemoryBound: 0
; FloatMode: 240
; IeeeMode: 1
; LDSByteSize: 0 bytes/workgroup (compile time only)
; SGPRBlocks: 0
; VGPRBlocks: 0
; NumSGPRsForWavesPerEU: 4
; NumVGPRsForWavesPerEU: 1
; AccumOffset: 4
; Occupancy: 8
; WaveLimiterHint : 0
; COMPUTE_PGM_RSRC2:SCRATCH_EN: 0
; COMPUTE_PGM_RSRC2:USER_SGPR: 6
; COMPUTE_PGM_RSRC2:TRAP_HANDLER: 0
; COMPUTE_PGM_RSRC2:TGID_X_EN: 1
; COMPUTE_PGM_RSRC2:TGID_Y_EN: 0
; COMPUTE_PGM_RSRC2:TGID_Z_EN: 0
; COMPUTE_PGM_RSRC2:TIDIG_COMP_CNT: 0
; COMPUTE_PGM_RSRC3_GFX90A:ACCUM_OFFSET: 0
; COMPUTE_PGM_RSRC3_GFX90A:TG_SPLIT: 0
	.section	.text._ZN7rocprim17ROCPRIM_400000_NS6detail17trampoline_kernelINS0_14default_configENS1_20scan_config_selectorIxEEZZNS1_9scan_implILNS1_25lookback_scan_determinismE0ELb1ELb1ES3_N6thrust23THRUST_200600_302600_NS6detail15normal_iteratorINS9_10device_ptrIxEEEESE_xNS9_4plusIvEExEEDaPvRmT3_T4_T5_mT6_P12ihipStream_tbENKUlT_T0_E_clISt17integral_constantIbLb0EEST_IbLb1EEEEDaSP_SQ_EUlSP_E_NS1_11comp_targetILNS1_3genE10ELNS1_11target_archE1200ELNS1_3gpuE4ELNS1_3repE0EEENS1_30default_config_static_selectorELNS0_4arch9wavefront6targetE1EEEvT1_,"axG",@progbits,_ZN7rocprim17ROCPRIM_400000_NS6detail17trampoline_kernelINS0_14default_configENS1_20scan_config_selectorIxEEZZNS1_9scan_implILNS1_25lookback_scan_determinismE0ELb1ELb1ES3_N6thrust23THRUST_200600_302600_NS6detail15normal_iteratorINS9_10device_ptrIxEEEESE_xNS9_4plusIvEExEEDaPvRmT3_T4_T5_mT6_P12ihipStream_tbENKUlT_T0_E_clISt17integral_constantIbLb0EEST_IbLb1EEEEDaSP_SQ_EUlSP_E_NS1_11comp_targetILNS1_3genE10ELNS1_11target_archE1200ELNS1_3gpuE4ELNS1_3repE0EEENS1_30default_config_static_selectorELNS0_4arch9wavefront6targetE1EEEvT1_,comdat
	.protected	_ZN7rocprim17ROCPRIM_400000_NS6detail17trampoline_kernelINS0_14default_configENS1_20scan_config_selectorIxEEZZNS1_9scan_implILNS1_25lookback_scan_determinismE0ELb1ELb1ES3_N6thrust23THRUST_200600_302600_NS6detail15normal_iteratorINS9_10device_ptrIxEEEESE_xNS9_4plusIvEExEEDaPvRmT3_T4_T5_mT6_P12ihipStream_tbENKUlT_T0_E_clISt17integral_constantIbLb0EEST_IbLb1EEEEDaSP_SQ_EUlSP_E_NS1_11comp_targetILNS1_3genE10ELNS1_11target_archE1200ELNS1_3gpuE4ELNS1_3repE0EEENS1_30default_config_static_selectorELNS0_4arch9wavefront6targetE1EEEvT1_ ; -- Begin function _ZN7rocprim17ROCPRIM_400000_NS6detail17trampoline_kernelINS0_14default_configENS1_20scan_config_selectorIxEEZZNS1_9scan_implILNS1_25lookback_scan_determinismE0ELb1ELb1ES3_N6thrust23THRUST_200600_302600_NS6detail15normal_iteratorINS9_10device_ptrIxEEEESE_xNS9_4plusIvEExEEDaPvRmT3_T4_T5_mT6_P12ihipStream_tbENKUlT_T0_E_clISt17integral_constantIbLb0EEST_IbLb1EEEEDaSP_SQ_EUlSP_E_NS1_11comp_targetILNS1_3genE10ELNS1_11target_archE1200ELNS1_3gpuE4ELNS1_3repE0EEENS1_30default_config_static_selectorELNS0_4arch9wavefront6targetE1EEEvT1_
	.globl	_ZN7rocprim17ROCPRIM_400000_NS6detail17trampoline_kernelINS0_14default_configENS1_20scan_config_selectorIxEEZZNS1_9scan_implILNS1_25lookback_scan_determinismE0ELb1ELb1ES3_N6thrust23THRUST_200600_302600_NS6detail15normal_iteratorINS9_10device_ptrIxEEEESE_xNS9_4plusIvEExEEDaPvRmT3_T4_T5_mT6_P12ihipStream_tbENKUlT_T0_E_clISt17integral_constantIbLb0EEST_IbLb1EEEEDaSP_SQ_EUlSP_E_NS1_11comp_targetILNS1_3genE10ELNS1_11target_archE1200ELNS1_3gpuE4ELNS1_3repE0EEENS1_30default_config_static_selectorELNS0_4arch9wavefront6targetE1EEEvT1_
	.p2align	8
	.type	_ZN7rocprim17ROCPRIM_400000_NS6detail17trampoline_kernelINS0_14default_configENS1_20scan_config_selectorIxEEZZNS1_9scan_implILNS1_25lookback_scan_determinismE0ELb1ELb1ES3_N6thrust23THRUST_200600_302600_NS6detail15normal_iteratorINS9_10device_ptrIxEEEESE_xNS9_4plusIvEExEEDaPvRmT3_T4_T5_mT6_P12ihipStream_tbENKUlT_T0_E_clISt17integral_constantIbLb0EEST_IbLb1EEEEDaSP_SQ_EUlSP_E_NS1_11comp_targetILNS1_3genE10ELNS1_11target_archE1200ELNS1_3gpuE4ELNS1_3repE0EEENS1_30default_config_static_selectorELNS0_4arch9wavefront6targetE1EEEvT1_,@function
_ZN7rocprim17ROCPRIM_400000_NS6detail17trampoline_kernelINS0_14default_configENS1_20scan_config_selectorIxEEZZNS1_9scan_implILNS1_25lookback_scan_determinismE0ELb1ELb1ES3_N6thrust23THRUST_200600_302600_NS6detail15normal_iteratorINS9_10device_ptrIxEEEESE_xNS9_4plusIvEExEEDaPvRmT3_T4_T5_mT6_P12ihipStream_tbENKUlT_T0_E_clISt17integral_constantIbLb0EEST_IbLb1EEEEDaSP_SQ_EUlSP_E_NS1_11comp_targetILNS1_3genE10ELNS1_11target_archE1200ELNS1_3gpuE4ELNS1_3repE0EEENS1_30default_config_static_selectorELNS0_4arch9wavefront6targetE1EEEvT1_: ; @_ZN7rocprim17ROCPRIM_400000_NS6detail17trampoline_kernelINS0_14default_configENS1_20scan_config_selectorIxEEZZNS1_9scan_implILNS1_25lookback_scan_determinismE0ELb1ELb1ES3_N6thrust23THRUST_200600_302600_NS6detail15normal_iteratorINS9_10device_ptrIxEEEESE_xNS9_4plusIvEExEEDaPvRmT3_T4_T5_mT6_P12ihipStream_tbENKUlT_T0_E_clISt17integral_constantIbLb0EEST_IbLb1EEEEDaSP_SQ_EUlSP_E_NS1_11comp_targetILNS1_3genE10ELNS1_11target_archE1200ELNS1_3gpuE4ELNS1_3repE0EEENS1_30default_config_static_selectorELNS0_4arch9wavefront6targetE1EEEvT1_
; %bb.0:
	.section	.rodata,"a",@progbits
	.p2align	6, 0x0
	.amdhsa_kernel _ZN7rocprim17ROCPRIM_400000_NS6detail17trampoline_kernelINS0_14default_configENS1_20scan_config_selectorIxEEZZNS1_9scan_implILNS1_25lookback_scan_determinismE0ELb1ELb1ES3_N6thrust23THRUST_200600_302600_NS6detail15normal_iteratorINS9_10device_ptrIxEEEESE_xNS9_4plusIvEExEEDaPvRmT3_T4_T5_mT6_P12ihipStream_tbENKUlT_T0_E_clISt17integral_constantIbLb0EEST_IbLb1EEEEDaSP_SQ_EUlSP_E_NS1_11comp_targetILNS1_3genE10ELNS1_11target_archE1200ELNS1_3gpuE4ELNS1_3repE0EEENS1_30default_config_static_selectorELNS0_4arch9wavefront6targetE1EEEvT1_
		.amdhsa_group_segment_fixed_size 0
		.amdhsa_private_segment_fixed_size 0
		.amdhsa_kernarg_size 104
		.amdhsa_user_sgpr_count 6
		.amdhsa_user_sgpr_private_segment_buffer 1
		.amdhsa_user_sgpr_dispatch_ptr 0
		.amdhsa_user_sgpr_queue_ptr 0
		.amdhsa_user_sgpr_kernarg_segment_ptr 1
		.amdhsa_user_sgpr_dispatch_id 0
		.amdhsa_user_sgpr_flat_scratch_init 0
		.amdhsa_user_sgpr_kernarg_preload_length 0
		.amdhsa_user_sgpr_kernarg_preload_offset 0
		.amdhsa_user_sgpr_private_segment_size 0
		.amdhsa_uses_dynamic_stack 0
		.amdhsa_system_sgpr_private_segment_wavefront_offset 0
		.amdhsa_system_sgpr_workgroup_id_x 1
		.amdhsa_system_sgpr_workgroup_id_y 0
		.amdhsa_system_sgpr_workgroup_id_z 0
		.amdhsa_system_sgpr_workgroup_info 0
		.amdhsa_system_vgpr_workitem_id 0
		.amdhsa_next_free_vgpr 1
		.amdhsa_next_free_sgpr 0
		.amdhsa_accum_offset 4
		.amdhsa_reserve_vcc 0
		.amdhsa_reserve_flat_scratch 0
		.amdhsa_float_round_mode_32 0
		.amdhsa_float_round_mode_16_64 0
		.amdhsa_float_denorm_mode_32 3
		.amdhsa_float_denorm_mode_16_64 3
		.amdhsa_dx10_clamp 1
		.amdhsa_ieee_mode 1
		.amdhsa_fp16_overflow 0
		.amdhsa_tg_split 0
		.amdhsa_exception_fp_ieee_invalid_op 0
		.amdhsa_exception_fp_denorm_src 0
		.amdhsa_exception_fp_ieee_div_zero 0
		.amdhsa_exception_fp_ieee_overflow 0
		.amdhsa_exception_fp_ieee_underflow 0
		.amdhsa_exception_fp_ieee_inexact 0
		.amdhsa_exception_int_div_zero 0
	.end_amdhsa_kernel
	.section	.text._ZN7rocprim17ROCPRIM_400000_NS6detail17trampoline_kernelINS0_14default_configENS1_20scan_config_selectorIxEEZZNS1_9scan_implILNS1_25lookback_scan_determinismE0ELb1ELb1ES3_N6thrust23THRUST_200600_302600_NS6detail15normal_iteratorINS9_10device_ptrIxEEEESE_xNS9_4plusIvEExEEDaPvRmT3_T4_T5_mT6_P12ihipStream_tbENKUlT_T0_E_clISt17integral_constantIbLb0EEST_IbLb1EEEEDaSP_SQ_EUlSP_E_NS1_11comp_targetILNS1_3genE10ELNS1_11target_archE1200ELNS1_3gpuE4ELNS1_3repE0EEENS1_30default_config_static_selectorELNS0_4arch9wavefront6targetE1EEEvT1_,"axG",@progbits,_ZN7rocprim17ROCPRIM_400000_NS6detail17trampoline_kernelINS0_14default_configENS1_20scan_config_selectorIxEEZZNS1_9scan_implILNS1_25lookback_scan_determinismE0ELb1ELb1ES3_N6thrust23THRUST_200600_302600_NS6detail15normal_iteratorINS9_10device_ptrIxEEEESE_xNS9_4plusIvEExEEDaPvRmT3_T4_T5_mT6_P12ihipStream_tbENKUlT_T0_E_clISt17integral_constantIbLb0EEST_IbLb1EEEEDaSP_SQ_EUlSP_E_NS1_11comp_targetILNS1_3genE10ELNS1_11target_archE1200ELNS1_3gpuE4ELNS1_3repE0EEENS1_30default_config_static_selectorELNS0_4arch9wavefront6targetE1EEEvT1_,comdat
.Lfunc_end186:
	.size	_ZN7rocprim17ROCPRIM_400000_NS6detail17trampoline_kernelINS0_14default_configENS1_20scan_config_selectorIxEEZZNS1_9scan_implILNS1_25lookback_scan_determinismE0ELb1ELb1ES3_N6thrust23THRUST_200600_302600_NS6detail15normal_iteratorINS9_10device_ptrIxEEEESE_xNS9_4plusIvEExEEDaPvRmT3_T4_T5_mT6_P12ihipStream_tbENKUlT_T0_E_clISt17integral_constantIbLb0EEST_IbLb1EEEEDaSP_SQ_EUlSP_E_NS1_11comp_targetILNS1_3genE10ELNS1_11target_archE1200ELNS1_3gpuE4ELNS1_3repE0EEENS1_30default_config_static_selectorELNS0_4arch9wavefront6targetE1EEEvT1_, .Lfunc_end186-_ZN7rocprim17ROCPRIM_400000_NS6detail17trampoline_kernelINS0_14default_configENS1_20scan_config_selectorIxEEZZNS1_9scan_implILNS1_25lookback_scan_determinismE0ELb1ELb1ES3_N6thrust23THRUST_200600_302600_NS6detail15normal_iteratorINS9_10device_ptrIxEEEESE_xNS9_4plusIvEExEEDaPvRmT3_T4_T5_mT6_P12ihipStream_tbENKUlT_T0_E_clISt17integral_constantIbLb0EEST_IbLb1EEEEDaSP_SQ_EUlSP_E_NS1_11comp_targetILNS1_3genE10ELNS1_11target_archE1200ELNS1_3gpuE4ELNS1_3repE0EEENS1_30default_config_static_selectorELNS0_4arch9wavefront6targetE1EEEvT1_
                                        ; -- End function
	.section	.AMDGPU.csdata,"",@progbits
; Kernel info:
; codeLenInByte = 0
; NumSgprs: 4
; NumVgprs: 0
; NumAgprs: 0
; TotalNumVgprs: 0
; ScratchSize: 0
; MemoryBound: 0
; FloatMode: 240
; IeeeMode: 1
; LDSByteSize: 0 bytes/workgroup (compile time only)
; SGPRBlocks: 0
; VGPRBlocks: 0
; NumSGPRsForWavesPerEU: 4
; NumVGPRsForWavesPerEU: 1
; AccumOffset: 4
; Occupancy: 8
; WaveLimiterHint : 0
; COMPUTE_PGM_RSRC2:SCRATCH_EN: 0
; COMPUTE_PGM_RSRC2:USER_SGPR: 6
; COMPUTE_PGM_RSRC2:TRAP_HANDLER: 0
; COMPUTE_PGM_RSRC2:TGID_X_EN: 1
; COMPUTE_PGM_RSRC2:TGID_Y_EN: 0
; COMPUTE_PGM_RSRC2:TGID_Z_EN: 0
; COMPUTE_PGM_RSRC2:TIDIG_COMP_CNT: 0
; COMPUTE_PGM_RSRC3_GFX90A:ACCUM_OFFSET: 0
; COMPUTE_PGM_RSRC3_GFX90A:TG_SPLIT: 0
	.section	.text._ZN7rocprim17ROCPRIM_400000_NS6detail17trampoline_kernelINS0_14default_configENS1_20scan_config_selectorIxEEZZNS1_9scan_implILNS1_25lookback_scan_determinismE0ELb1ELb1ES3_N6thrust23THRUST_200600_302600_NS6detail15normal_iteratorINS9_10device_ptrIxEEEESE_xNS9_4plusIvEExEEDaPvRmT3_T4_T5_mT6_P12ihipStream_tbENKUlT_T0_E_clISt17integral_constantIbLb0EEST_IbLb1EEEEDaSP_SQ_EUlSP_E_NS1_11comp_targetILNS1_3genE9ELNS1_11target_archE1100ELNS1_3gpuE3ELNS1_3repE0EEENS1_30default_config_static_selectorELNS0_4arch9wavefront6targetE1EEEvT1_,"axG",@progbits,_ZN7rocprim17ROCPRIM_400000_NS6detail17trampoline_kernelINS0_14default_configENS1_20scan_config_selectorIxEEZZNS1_9scan_implILNS1_25lookback_scan_determinismE0ELb1ELb1ES3_N6thrust23THRUST_200600_302600_NS6detail15normal_iteratorINS9_10device_ptrIxEEEESE_xNS9_4plusIvEExEEDaPvRmT3_T4_T5_mT6_P12ihipStream_tbENKUlT_T0_E_clISt17integral_constantIbLb0EEST_IbLb1EEEEDaSP_SQ_EUlSP_E_NS1_11comp_targetILNS1_3genE9ELNS1_11target_archE1100ELNS1_3gpuE3ELNS1_3repE0EEENS1_30default_config_static_selectorELNS0_4arch9wavefront6targetE1EEEvT1_,comdat
	.protected	_ZN7rocprim17ROCPRIM_400000_NS6detail17trampoline_kernelINS0_14default_configENS1_20scan_config_selectorIxEEZZNS1_9scan_implILNS1_25lookback_scan_determinismE0ELb1ELb1ES3_N6thrust23THRUST_200600_302600_NS6detail15normal_iteratorINS9_10device_ptrIxEEEESE_xNS9_4plusIvEExEEDaPvRmT3_T4_T5_mT6_P12ihipStream_tbENKUlT_T0_E_clISt17integral_constantIbLb0EEST_IbLb1EEEEDaSP_SQ_EUlSP_E_NS1_11comp_targetILNS1_3genE9ELNS1_11target_archE1100ELNS1_3gpuE3ELNS1_3repE0EEENS1_30default_config_static_selectorELNS0_4arch9wavefront6targetE1EEEvT1_ ; -- Begin function _ZN7rocprim17ROCPRIM_400000_NS6detail17trampoline_kernelINS0_14default_configENS1_20scan_config_selectorIxEEZZNS1_9scan_implILNS1_25lookback_scan_determinismE0ELb1ELb1ES3_N6thrust23THRUST_200600_302600_NS6detail15normal_iteratorINS9_10device_ptrIxEEEESE_xNS9_4plusIvEExEEDaPvRmT3_T4_T5_mT6_P12ihipStream_tbENKUlT_T0_E_clISt17integral_constantIbLb0EEST_IbLb1EEEEDaSP_SQ_EUlSP_E_NS1_11comp_targetILNS1_3genE9ELNS1_11target_archE1100ELNS1_3gpuE3ELNS1_3repE0EEENS1_30default_config_static_selectorELNS0_4arch9wavefront6targetE1EEEvT1_
	.globl	_ZN7rocprim17ROCPRIM_400000_NS6detail17trampoline_kernelINS0_14default_configENS1_20scan_config_selectorIxEEZZNS1_9scan_implILNS1_25lookback_scan_determinismE0ELb1ELb1ES3_N6thrust23THRUST_200600_302600_NS6detail15normal_iteratorINS9_10device_ptrIxEEEESE_xNS9_4plusIvEExEEDaPvRmT3_T4_T5_mT6_P12ihipStream_tbENKUlT_T0_E_clISt17integral_constantIbLb0EEST_IbLb1EEEEDaSP_SQ_EUlSP_E_NS1_11comp_targetILNS1_3genE9ELNS1_11target_archE1100ELNS1_3gpuE3ELNS1_3repE0EEENS1_30default_config_static_selectorELNS0_4arch9wavefront6targetE1EEEvT1_
	.p2align	8
	.type	_ZN7rocprim17ROCPRIM_400000_NS6detail17trampoline_kernelINS0_14default_configENS1_20scan_config_selectorIxEEZZNS1_9scan_implILNS1_25lookback_scan_determinismE0ELb1ELb1ES3_N6thrust23THRUST_200600_302600_NS6detail15normal_iteratorINS9_10device_ptrIxEEEESE_xNS9_4plusIvEExEEDaPvRmT3_T4_T5_mT6_P12ihipStream_tbENKUlT_T0_E_clISt17integral_constantIbLb0EEST_IbLb1EEEEDaSP_SQ_EUlSP_E_NS1_11comp_targetILNS1_3genE9ELNS1_11target_archE1100ELNS1_3gpuE3ELNS1_3repE0EEENS1_30default_config_static_selectorELNS0_4arch9wavefront6targetE1EEEvT1_,@function
_ZN7rocprim17ROCPRIM_400000_NS6detail17trampoline_kernelINS0_14default_configENS1_20scan_config_selectorIxEEZZNS1_9scan_implILNS1_25lookback_scan_determinismE0ELb1ELb1ES3_N6thrust23THRUST_200600_302600_NS6detail15normal_iteratorINS9_10device_ptrIxEEEESE_xNS9_4plusIvEExEEDaPvRmT3_T4_T5_mT6_P12ihipStream_tbENKUlT_T0_E_clISt17integral_constantIbLb0EEST_IbLb1EEEEDaSP_SQ_EUlSP_E_NS1_11comp_targetILNS1_3genE9ELNS1_11target_archE1100ELNS1_3gpuE3ELNS1_3repE0EEENS1_30default_config_static_selectorELNS0_4arch9wavefront6targetE1EEEvT1_: ; @_ZN7rocprim17ROCPRIM_400000_NS6detail17trampoline_kernelINS0_14default_configENS1_20scan_config_selectorIxEEZZNS1_9scan_implILNS1_25lookback_scan_determinismE0ELb1ELb1ES3_N6thrust23THRUST_200600_302600_NS6detail15normal_iteratorINS9_10device_ptrIxEEEESE_xNS9_4plusIvEExEEDaPvRmT3_T4_T5_mT6_P12ihipStream_tbENKUlT_T0_E_clISt17integral_constantIbLb0EEST_IbLb1EEEEDaSP_SQ_EUlSP_E_NS1_11comp_targetILNS1_3genE9ELNS1_11target_archE1100ELNS1_3gpuE3ELNS1_3repE0EEENS1_30default_config_static_selectorELNS0_4arch9wavefront6targetE1EEEvT1_
; %bb.0:
	.section	.rodata,"a",@progbits
	.p2align	6, 0x0
	.amdhsa_kernel _ZN7rocprim17ROCPRIM_400000_NS6detail17trampoline_kernelINS0_14default_configENS1_20scan_config_selectorIxEEZZNS1_9scan_implILNS1_25lookback_scan_determinismE0ELb1ELb1ES3_N6thrust23THRUST_200600_302600_NS6detail15normal_iteratorINS9_10device_ptrIxEEEESE_xNS9_4plusIvEExEEDaPvRmT3_T4_T5_mT6_P12ihipStream_tbENKUlT_T0_E_clISt17integral_constantIbLb0EEST_IbLb1EEEEDaSP_SQ_EUlSP_E_NS1_11comp_targetILNS1_3genE9ELNS1_11target_archE1100ELNS1_3gpuE3ELNS1_3repE0EEENS1_30default_config_static_selectorELNS0_4arch9wavefront6targetE1EEEvT1_
		.amdhsa_group_segment_fixed_size 0
		.amdhsa_private_segment_fixed_size 0
		.amdhsa_kernarg_size 104
		.amdhsa_user_sgpr_count 6
		.amdhsa_user_sgpr_private_segment_buffer 1
		.amdhsa_user_sgpr_dispatch_ptr 0
		.amdhsa_user_sgpr_queue_ptr 0
		.amdhsa_user_sgpr_kernarg_segment_ptr 1
		.amdhsa_user_sgpr_dispatch_id 0
		.amdhsa_user_sgpr_flat_scratch_init 0
		.amdhsa_user_sgpr_kernarg_preload_length 0
		.amdhsa_user_sgpr_kernarg_preload_offset 0
		.amdhsa_user_sgpr_private_segment_size 0
		.amdhsa_uses_dynamic_stack 0
		.amdhsa_system_sgpr_private_segment_wavefront_offset 0
		.amdhsa_system_sgpr_workgroup_id_x 1
		.amdhsa_system_sgpr_workgroup_id_y 0
		.amdhsa_system_sgpr_workgroup_id_z 0
		.amdhsa_system_sgpr_workgroup_info 0
		.amdhsa_system_vgpr_workitem_id 0
		.amdhsa_next_free_vgpr 1
		.amdhsa_next_free_sgpr 0
		.amdhsa_accum_offset 4
		.amdhsa_reserve_vcc 0
		.amdhsa_reserve_flat_scratch 0
		.amdhsa_float_round_mode_32 0
		.amdhsa_float_round_mode_16_64 0
		.amdhsa_float_denorm_mode_32 3
		.amdhsa_float_denorm_mode_16_64 3
		.amdhsa_dx10_clamp 1
		.amdhsa_ieee_mode 1
		.amdhsa_fp16_overflow 0
		.amdhsa_tg_split 0
		.amdhsa_exception_fp_ieee_invalid_op 0
		.amdhsa_exception_fp_denorm_src 0
		.amdhsa_exception_fp_ieee_div_zero 0
		.amdhsa_exception_fp_ieee_overflow 0
		.amdhsa_exception_fp_ieee_underflow 0
		.amdhsa_exception_fp_ieee_inexact 0
		.amdhsa_exception_int_div_zero 0
	.end_amdhsa_kernel
	.section	.text._ZN7rocprim17ROCPRIM_400000_NS6detail17trampoline_kernelINS0_14default_configENS1_20scan_config_selectorIxEEZZNS1_9scan_implILNS1_25lookback_scan_determinismE0ELb1ELb1ES3_N6thrust23THRUST_200600_302600_NS6detail15normal_iteratorINS9_10device_ptrIxEEEESE_xNS9_4plusIvEExEEDaPvRmT3_T4_T5_mT6_P12ihipStream_tbENKUlT_T0_E_clISt17integral_constantIbLb0EEST_IbLb1EEEEDaSP_SQ_EUlSP_E_NS1_11comp_targetILNS1_3genE9ELNS1_11target_archE1100ELNS1_3gpuE3ELNS1_3repE0EEENS1_30default_config_static_selectorELNS0_4arch9wavefront6targetE1EEEvT1_,"axG",@progbits,_ZN7rocprim17ROCPRIM_400000_NS6detail17trampoline_kernelINS0_14default_configENS1_20scan_config_selectorIxEEZZNS1_9scan_implILNS1_25lookback_scan_determinismE0ELb1ELb1ES3_N6thrust23THRUST_200600_302600_NS6detail15normal_iteratorINS9_10device_ptrIxEEEESE_xNS9_4plusIvEExEEDaPvRmT3_T4_T5_mT6_P12ihipStream_tbENKUlT_T0_E_clISt17integral_constantIbLb0EEST_IbLb1EEEEDaSP_SQ_EUlSP_E_NS1_11comp_targetILNS1_3genE9ELNS1_11target_archE1100ELNS1_3gpuE3ELNS1_3repE0EEENS1_30default_config_static_selectorELNS0_4arch9wavefront6targetE1EEEvT1_,comdat
.Lfunc_end187:
	.size	_ZN7rocprim17ROCPRIM_400000_NS6detail17trampoline_kernelINS0_14default_configENS1_20scan_config_selectorIxEEZZNS1_9scan_implILNS1_25lookback_scan_determinismE0ELb1ELb1ES3_N6thrust23THRUST_200600_302600_NS6detail15normal_iteratorINS9_10device_ptrIxEEEESE_xNS9_4plusIvEExEEDaPvRmT3_T4_T5_mT6_P12ihipStream_tbENKUlT_T0_E_clISt17integral_constantIbLb0EEST_IbLb1EEEEDaSP_SQ_EUlSP_E_NS1_11comp_targetILNS1_3genE9ELNS1_11target_archE1100ELNS1_3gpuE3ELNS1_3repE0EEENS1_30default_config_static_selectorELNS0_4arch9wavefront6targetE1EEEvT1_, .Lfunc_end187-_ZN7rocprim17ROCPRIM_400000_NS6detail17trampoline_kernelINS0_14default_configENS1_20scan_config_selectorIxEEZZNS1_9scan_implILNS1_25lookback_scan_determinismE0ELb1ELb1ES3_N6thrust23THRUST_200600_302600_NS6detail15normal_iteratorINS9_10device_ptrIxEEEESE_xNS9_4plusIvEExEEDaPvRmT3_T4_T5_mT6_P12ihipStream_tbENKUlT_T0_E_clISt17integral_constantIbLb0EEST_IbLb1EEEEDaSP_SQ_EUlSP_E_NS1_11comp_targetILNS1_3genE9ELNS1_11target_archE1100ELNS1_3gpuE3ELNS1_3repE0EEENS1_30default_config_static_selectorELNS0_4arch9wavefront6targetE1EEEvT1_
                                        ; -- End function
	.section	.AMDGPU.csdata,"",@progbits
; Kernel info:
; codeLenInByte = 0
; NumSgprs: 4
; NumVgprs: 0
; NumAgprs: 0
; TotalNumVgprs: 0
; ScratchSize: 0
; MemoryBound: 0
; FloatMode: 240
; IeeeMode: 1
; LDSByteSize: 0 bytes/workgroup (compile time only)
; SGPRBlocks: 0
; VGPRBlocks: 0
; NumSGPRsForWavesPerEU: 4
; NumVGPRsForWavesPerEU: 1
; AccumOffset: 4
; Occupancy: 8
; WaveLimiterHint : 0
; COMPUTE_PGM_RSRC2:SCRATCH_EN: 0
; COMPUTE_PGM_RSRC2:USER_SGPR: 6
; COMPUTE_PGM_RSRC2:TRAP_HANDLER: 0
; COMPUTE_PGM_RSRC2:TGID_X_EN: 1
; COMPUTE_PGM_RSRC2:TGID_Y_EN: 0
; COMPUTE_PGM_RSRC2:TGID_Z_EN: 0
; COMPUTE_PGM_RSRC2:TIDIG_COMP_CNT: 0
; COMPUTE_PGM_RSRC3_GFX90A:ACCUM_OFFSET: 0
; COMPUTE_PGM_RSRC3_GFX90A:TG_SPLIT: 0
	.section	.text._ZN7rocprim17ROCPRIM_400000_NS6detail17trampoline_kernelINS0_14default_configENS1_20scan_config_selectorIxEEZZNS1_9scan_implILNS1_25lookback_scan_determinismE0ELb1ELb1ES3_N6thrust23THRUST_200600_302600_NS6detail15normal_iteratorINS9_10device_ptrIxEEEESE_xNS9_4plusIvEExEEDaPvRmT3_T4_T5_mT6_P12ihipStream_tbENKUlT_T0_E_clISt17integral_constantIbLb0EEST_IbLb1EEEEDaSP_SQ_EUlSP_E_NS1_11comp_targetILNS1_3genE8ELNS1_11target_archE1030ELNS1_3gpuE2ELNS1_3repE0EEENS1_30default_config_static_selectorELNS0_4arch9wavefront6targetE1EEEvT1_,"axG",@progbits,_ZN7rocprim17ROCPRIM_400000_NS6detail17trampoline_kernelINS0_14default_configENS1_20scan_config_selectorIxEEZZNS1_9scan_implILNS1_25lookback_scan_determinismE0ELb1ELb1ES3_N6thrust23THRUST_200600_302600_NS6detail15normal_iteratorINS9_10device_ptrIxEEEESE_xNS9_4plusIvEExEEDaPvRmT3_T4_T5_mT6_P12ihipStream_tbENKUlT_T0_E_clISt17integral_constantIbLb0EEST_IbLb1EEEEDaSP_SQ_EUlSP_E_NS1_11comp_targetILNS1_3genE8ELNS1_11target_archE1030ELNS1_3gpuE2ELNS1_3repE0EEENS1_30default_config_static_selectorELNS0_4arch9wavefront6targetE1EEEvT1_,comdat
	.protected	_ZN7rocprim17ROCPRIM_400000_NS6detail17trampoline_kernelINS0_14default_configENS1_20scan_config_selectorIxEEZZNS1_9scan_implILNS1_25lookback_scan_determinismE0ELb1ELb1ES3_N6thrust23THRUST_200600_302600_NS6detail15normal_iteratorINS9_10device_ptrIxEEEESE_xNS9_4plusIvEExEEDaPvRmT3_T4_T5_mT6_P12ihipStream_tbENKUlT_T0_E_clISt17integral_constantIbLb0EEST_IbLb1EEEEDaSP_SQ_EUlSP_E_NS1_11comp_targetILNS1_3genE8ELNS1_11target_archE1030ELNS1_3gpuE2ELNS1_3repE0EEENS1_30default_config_static_selectorELNS0_4arch9wavefront6targetE1EEEvT1_ ; -- Begin function _ZN7rocprim17ROCPRIM_400000_NS6detail17trampoline_kernelINS0_14default_configENS1_20scan_config_selectorIxEEZZNS1_9scan_implILNS1_25lookback_scan_determinismE0ELb1ELb1ES3_N6thrust23THRUST_200600_302600_NS6detail15normal_iteratorINS9_10device_ptrIxEEEESE_xNS9_4plusIvEExEEDaPvRmT3_T4_T5_mT6_P12ihipStream_tbENKUlT_T0_E_clISt17integral_constantIbLb0EEST_IbLb1EEEEDaSP_SQ_EUlSP_E_NS1_11comp_targetILNS1_3genE8ELNS1_11target_archE1030ELNS1_3gpuE2ELNS1_3repE0EEENS1_30default_config_static_selectorELNS0_4arch9wavefront6targetE1EEEvT1_
	.globl	_ZN7rocprim17ROCPRIM_400000_NS6detail17trampoline_kernelINS0_14default_configENS1_20scan_config_selectorIxEEZZNS1_9scan_implILNS1_25lookback_scan_determinismE0ELb1ELb1ES3_N6thrust23THRUST_200600_302600_NS6detail15normal_iteratorINS9_10device_ptrIxEEEESE_xNS9_4plusIvEExEEDaPvRmT3_T4_T5_mT6_P12ihipStream_tbENKUlT_T0_E_clISt17integral_constantIbLb0EEST_IbLb1EEEEDaSP_SQ_EUlSP_E_NS1_11comp_targetILNS1_3genE8ELNS1_11target_archE1030ELNS1_3gpuE2ELNS1_3repE0EEENS1_30default_config_static_selectorELNS0_4arch9wavefront6targetE1EEEvT1_
	.p2align	8
	.type	_ZN7rocprim17ROCPRIM_400000_NS6detail17trampoline_kernelINS0_14default_configENS1_20scan_config_selectorIxEEZZNS1_9scan_implILNS1_25lookback_scan_determinismE0ELb1ELb1ES3_N6thrust23THRUST_200600_302600_NS6detail15normal_iteratorINS9_10device_ptrIxEEEESE_xNS9_4plusIvEExEEDaPvRmT3_T4_T5_mT6_P12ihipStream_tbENKUlT_T0_E_clISt17integral_constantIbLb0EEST_IbLb1EEEEDaSP_SQ_EUlSP_E_NS1_11comp_targetILNS1_3genE8ELNS1_11target_archE1030ELNS1_3gpuE2ELNS1_3repE0EEENS1_30default_config_static_selectorELNS0_4arch9wavefront6targetE1EEEvT1_,@function
_ZN7rocprim17ROCPRIM_400000_NS6detail17trampoline_kernelINS0_14default_configENS1_20scan_config_selectorIxEEZZNS1_9scan_implILNS1_25lookback_scan_determinismE0ELb1ELb1ES3_N6thrust23THRUST_200600_302600_NS6detail15normal_iteratorINS9_10device_ptrIxEEEESE_xNS9_4plusIvEExEEDaPvRmT3_T4_T5_mT6_P12ihipStream_tbENKUlT_T0_E_clISt17integral_constantIbLb0EEST_IbLb1EEEEDaSP_SQ_EUlSP_E_NS1_11comp_targetILNS1_3genE8ELNS1_11target_archE1030ELNS1_3gpuE2ELNS1_3repE0EEENS1_30default_config_static_selectorELNS0_4arch9wavefront6targetE1EEEvT1_: ; @_ZN7rocprim17ROCPRIM_400000_NS6detail17trampoline_kernelINS0_14default_configENS1_20scan_config_selectorIxEEZZNS1_9scan_implILNS1_25lookback_scan_determinismE0ELb1ELb1ES3_N6thrust23THRUST_200600_302600_NS6detail15normal_iteratorINS9_10device_ptrIxEEEESE_xNS9_4plusIvEExEEDaPvRmT3_T4_T5_mT6_P12ihipStream_tbENKUlT_T0_E_clISt17integral_constantIbLb0EEST_IbLb1EEEEDaSP_SQ_EUlSP_E_NS1_11comp_targetILNS1_3genE8ELNS1_11target_archE1030ELNS1_3gpuE2ELNS1_3repE0EEENS1_30default_config_static_selectorELNS0_4arch9wavefront6targetE1EEEvT1_
; %bb.0:
	.section	.rodata,"a",@progbits
	.p2align	6, 0x0
	.amdhsa_kernel _ZN7rocprim17ROCPRIM_400000_NS6detail17trampoline_kernelINS0_14default_configENS1_20scan_config_selectorIxEEZZNS1_9scan_implILNS1_25lookback_scan_determinismE0ELb1ELb1ES3_N6thrust23THRUST_200600_302600_NS6detail15normal_iteratorINS9_10device_ptrIxEEEESE_xNS9_4plusIvEExEEDaPvRmT3_T4_T5_mT6_P12ihipStream_tbENKUlT_T0_E_clISt17integral_constantIbLb0EEST_IbLb1EEEEDaSP_SQ_EUlSP_E_NS1_11comp_targetILNS1_3genE8ELNS1_11target_archE1030ELNS1_3gpuE2ELNS1_3repE0EEENS1_30default_config_static_selectorELNS0_4arch9wavefront6targetE1EEEvT1_
		.amdhsa_group_segment_fixed_size 0
		.amdhsa_private_segment_fixed_size 0
		.amdhsa_kernarg_size 104
		.amdhsa_user_sgpr_count 6
		.amdhsa_user_sgpr_private_segment_buffer 1
		.amdhsa_user_sgpr_dispatch_ptr 0
		.amdhsa_user_sgpr_queue_ptr 0
		.amdhsa_user_sgpr_kernarg_segment_ptr 1
		.amdhsa_user_sgpr_dispatch_id 0
		.amdhsa_user_sgpr_flat_scratch_init 0
		.amdhsa_user_sgpr_kernarg_preload_length 0
		.amdhsa_user_sgpr_kernarg_preload_offset 0
		.amdhsa_user_sgpr_private_segment_size 0
		.amdhsa_uses_dynamic_stack 0
		.amdhsa_system_sgpr_private_segment_wavefront_offset 0
		.amdhsa_system_sgpr_workgroup_id_x 1
		.amdhsa_system_sgpr_workgroup_id_y 0
		.amdhsa_system_sgpr_workgroup_id_z 0
		.amdhsa_system_sgpr_workgroup_info 0
		.amdhsa_system_vgpr_workitem_id 0
		.amdhsa_next_free_vgpr 1
		.amdhsa_next_free_sgpr 0
		.amdhsa_accum_offset 4
		.amdhsa_reserve_vcc 0
		.amdhsa_reserve_flat_scratch 0
		.amdhsa_float_round_mode_32 0
		.amdhsa_float_round_mode_16_64 0
		.amdhsa_float_denorm_mode_32 3
		.amdhsa_float_denorm_mode_16_64 3
		.amdhsa_dx10_clamp 1
		.amdhsa_ieee_mode 1
		.amdhsa_fp16_overflow 0
		.amdhsa_tg_split 0
		.amdhsa_exception_fp_ieee_invalid_op 0
		.amdhsa_exception_fp_denorm_src 0
		.amdhsa_exception_fp_ieee_div_zero 0
		.amdhsa_exception_fp_ieee_overflow 0
		.amdhsa_exception_fp_ieee_underflow 0
		.amdhsa_exception_fp_ieee_inexact 0
		.amdhsa_exception_int_div_zero 0
	.end_amdhsa_kernel
	.section	.text._ZN7rocprim17ROCPRIM_400000_NS6detail17trampoline_kernelINS0_14default_configENS1_20scan_config_selectorIxEEZZNS1_9scan_implILNS1_25lookback_scan_determinismE0ELb1ELb1ES3_N6thrust23THRUST_200600_302600_NS6detail15normal_iteratorINS9_10device_ptrIxEEEESE_xNS9_4plusIvEExEEDaPvRmT3_T4_T5_mT6_P12ihipStream_tbENKUlT_T0_E_clISt17integral_constantIbLb0EEST_IbLb1EEEEDaSP_SQ_EUlSP_E_NS1_11comp_targetILNS1_3genE8ELNS1_11target_archE1030ELNS1_3gpuE2ELNS1_3repE0EEENS1_30default_config_static_selectorELNS0_4arch9wavefront6targetE1EEEvT1_,"axG",@progbits,_ZN7rocprim17ROCPRIM_400000_NS6detail17trampoline_kernelINS0_14default_configENS1_20scan_config_selectorIxEEZZNS1_9scan_implILNS1_25lookback_scan_determinismE0ELb1ELb1ES3_N6thrust23THRUST_200600_302600_NS6detail15normal_iteratorINS9_10device_ptrIxEEEESE_xNS9_4plusIvEExEEDaPvRmT3_T4_T5_mT6_P12ihipStream_tbENKUlT_T0_E_clISt17integral_constantIbLb0EEST_IbLb1EEEEDaSP_SQ_EUlSP_E_NS1_11comp_targetILNS1_3genE8ELNS1_11target_archE1030ELNS1_3gpuE2ELNS1_3repE0EEENS1_30default_config_static_selectorELNS0_4arch9wavefront6targetE1EEEvT1_,comdat
.Lfunc_end188:
	.size	_ZN7rocprim17ROCPRIM_400000_NS6detail17trampoline_kernelINS0_14default_configENS1_20scan_config_selectorIxEEZZNS1_9scan_implILNS1_25lookback_scan_determinismE0ELb1ELb1ES3_N6thrust23THRUST_200600_302600_NS6detail15normal_iteratorINS9_10device_ptrIxEEEESE_xNS9_4plusIvEExEEDaPvRmT3_T4_T5_mT6_P12ihipStream_tbENKUlT_T0_E_clISt17integral_constantIbLb0EEST_IbLb1EEEEDaSP_SQ_EUlSP_E_NS1_11comp_targetILNS1_3genE8ELNS1_11target_archE1030ELNS1_3gpuE2ELNS1_3repE0EEENS1_30default_config_static_selectorELNS0_4arch9wavefront6targetE1EEEvT1_, .Lfunc_end188-_ZN7rocprim17ROCPRIM_400000_NS6detail17trampoline_kernelINS0_14default_configENS1_20scan_config_selectorIxEEZZNS1_9scan_implILNS1_25lookback_scan_determinismE0ELb1ELb1ES3_N6thrust23THRUST_200600_302600_NS6detail15normal_iteratorINS9_10device_ptrIxEEEESE_xNS9_4plusIvEExEEDaPvRmT3_T4_T5_mT6_P12ihipStream_tbENKUlT_T0_E_clISt17integral_constantIbLb0EEST_IbLb1EEEEDaSP_SQ_EUlSP_E_NS1_11comp_targetILNS1_3genE8ELNS1_11target_archE1030ELNS1_3gpuE2ELNS1_3repE0EEENS1_30default_config_static_selectorELNS0_4arch9wavefront6targetE1EEEvT1_
                                        ; -- End function
	.section	.AMDGPU.csdata,"",@progbits
; Kernel info:
; codeLenInByte = 0
; NumSgprs: 4
; NumVgprs: 0
; NumAgprs: 0
; TotalNumVgprs: 0
; ScratchSize: 0
; MemoryBound: 0
; FloatMode: 240
; IeeeMode: 1
; LDSByteSize: 0 bytes/workgroup (compile time only)
; SGPRBlocks: 0
; VGPRBlocks: 0
; NumSGPRsForWavesPerEU: 4
; NumVGPRsForWavesPerEU: 1
; AccumOffset: 4
; Occupancy: 8
; WaveLimiterHint : 0
; COMPUTE_PGM_RSRC2:SCRATCH_EN: 0
; COMPUTE_PGM_RSRC2:USER_SGPR: 6
; COMPUTE_PGM_RSRC2:TRAP_HANDLER: 0
; COMPUTE_PGM_RSRC2:TGID_X_EN: 1
; COMPUTE_PGM_RSRC2:TGID_Y_EN: 0
; COMPUTE_PGM_RSRC2:TGID_Z_EN: 0
; COMPUTE_PGM_RSRC2:TIDIG_COMP_CNT: 0
; COMPUTE_PGM_RSRC3_GFX90A:ACCUM_OFFSET: 0
; COMPUTE_PGM_RSRC3_GFX90A:TG_SPLIT: 0
	.section	.text._ZN7rocprim17ROCPRIM_400000_NS6detail17trampoline_kernelINS0_14default_configENS1_20scan_config_selectorIxEEZZNS1_9scan_implILNS1_25lookback_scan_determinismE0ELb1ELb1ES3_N6thrust23THRUST_200600_302600_NS6detail15normal_iteratorINS9_10device_ptrIxEEEESE_xNS9_4plusIvEExEEDaPvRmT3_T4_T5_mT6_P12ihipStream_tbENKUlT_T0_E_clISt17integral_constantIbLb0EEST_IbLb1EEEEDaSP_SQ_EUlSP_E0_NS1_11comp_targetILNS1_3genE0ELNS1_11target_archE4294967295ELNS1_3gpuE0ELNS1_3repE0EEENS1_30default_config_static_selectorELNS0_4arch9wavefront6targetE1EEEvT1_,"axG",@progbits,_ZN7rocprim17ROCPRIM_400000_NS6detail17trampoline_kernelINS0_14default_configENS1_20scan_config_selectorIxEEZZNS1_9scan_implILNS1_25lookback_scan_determinismE0ELb1ELb1ES3_N6thrust23THRUST_200600_302600_NS6detail15normal_iteratorINS9_10device_ptrIxEEEESE_xNS9_4plusIvEExEEDaPvRmT3_T4_T5_mT6_P12ihipStream_tbENKUlT_T0_E_clISt17integral_constantIbLb0EEST_IbLb1EEEEDaSP_SQ_EUlSP_E0_NS1_11comp_targetILNS1_3genE0ELNS1_11target_archE4294967295ELNS1_3gpuE0ELNS1_3repE0EEENS1_30default_config_static_selectorELNS0_4arch9wavefront6targetE1EEEvT1_,comdat
	.protected	_ZN7rocprim17ROCPRIM_400000_NS6detail17trampoline_kernelINS0_14default_configENS1_20scan_config_selectorIxEEZZNS1_9scan_implILNS1_25lookback_scan_determinismE0ELb1ELb1ES3_N6thrust23THRUST_200600_302600_NS6detail15normal_iteratorINS9_10device_ptrIxEEEESE_xNS9_4plusIvEExEEDaPvRmT3_T4_T5_mT6_P12ihipStream_tbENKUlT_T0_E_clISt17integral_constantIbLb0EEST_IbLb1EEEEDaSP_SQ_EUlSP_E0_NS1_11comp_targetILNS1_3genE0ELNS1_11target_archE4294967295ELNS1_3gpuE0ELNS1_3repE0EEENS1_30default_config_static_selectorELNS0_4arch9wavefront6targetE1EEEvT1_ ; -- Begin function _ZN7rocprim17ROCPRIM_400000_NS6detail17trampoline_kernelINS0_14default_configENS1_20scan_config_selectorIxEEZZNS1_9scan_implILNS1_25lookback_scan_determinismE0ELb1ELb1ES3_N6thrust23THRUST_200600_302600_NS6detail15normal_iteratorINS9_10device_ptrIxEEEESE_xNS9_4plusIvEExEEDaPvRmT3_T4_T5_mT6_P12ihipStream_tbENKUlT_T0_E_clISt17integral_constantIbLb0EEST_IbLb1EEEEDaSP_SQ_EUlSP_E0_NS1_11comp_targetILNS1_3genE0ELNS1_11target_archE4294967295ELNS1_3gpuE0ELNS1_3repE0EEENS1_30default_config_static_selectorELNS0_4arch9wavefront6targetE1EEEvT1_
	.globl	_ZN7rocprim17ROCPRIM_400000_NS6detail17trampoline_kernelINS0_14default_configENS1_20scan_config_selectorIxEEZZNS1_9scan_implILNS1_25lookback_scan_determinismE0ELb1ELb1ES3_N6thrust23THRUST_200600_302600_NS6detail15normal_iteratorINS9_10device_ptrIxEEEESE_xNS9_4plusIvEExEEDaPvRmT3_T4_T5_mT6_P12ihipStream_tbENKUlT_T0_E_clISt17integral_constantIbLb0EEST_IbLb1EEEEDaSP_SQ_EUlSP_E0_NS1_11comp_targetILNS1_3genE0ELNS1_11target_archE4294967295ELNS1_3gpuE0ELNS1_3repE0EEENS1_30default_config_static_selectorELNS0_4arch9wavefront6targetE1EEEvT1_
	.p2align	8
	.type	_ZN7rocprim17ROCPRIM_400000_NS6detail17trampoline_kernelINS0_14default_configENS1_20scan_config_selectorIxEEZZNS1_9scan_implILNS1_25lookback_scan_determinismE0ELb1ELb1ES3_N6thrust23THRUST_200600_302600_NS6detail15normal_iteratorINS9_10device_ptrIxEEEESE_xNS9_4plusIvEExEEDaPvRmT3_T4_T5_mT6_P12ihipStream_tbENKUlT_T0_E_clISt17integral_constantIbLb0EEST_IbLb1EEEEDaSP_SQ_EUlSP_E0_NS1_11comp_targetILNS1_3genE0ELNS1_11target_archE4294967295ELNS1_3gpuE0ELNS1_3repE0EEENS1_30default_config_static_selectorELNS0_4arch9wavefront6targetE1EEEvT1_,@function
_ZN7rocprim17ROCPRIM_400000_NS6detail17trampoline_kernelINS0_14default_configENS1_20scan_config_selectorIxEEZZNS1_9scan_implILNS1_25lookback_scan_determinismE0ELb1ELb1ES3_N6thrust23THRUST_200600_302600_NS6detail15normal_iteratorINS9_10device_ptrIxEEEESE_xNS9_4plusIvEExEEDaPvRmT3_T4_T5_mT6_P12ihipStream_tbENKUlT_T0_E_clISt17integral_constantIbLb0EEST_IbLb1EEEEDaSP_SQ_EUlSP_E0_NS1_11comp_targetILNS1_3genE0ELNS1_11target_archE4294967295ELNS1_3gpuE0ELNS1_3repE0EEENS1_30default_config_static_selectorELNS0_4arch9wavefront6targetE1EEEvT1_: ; @_ZN7rocprim17ROCPRIM_400000_NS6detail17trampoline_kernelINS0_14default_configENS1_20scan_config_selectorIxEEZZNS1_9scan_implILNS1_25lookback_scan_determinismE0ELb1ELb1ES3_N6thrust23THRUST_200600_302600_NS6detail15normal_iteratorINS9_10device_ptrIxEEEESE_xNS9_4plusIvEExEEDaPvRmT3_T4_T5_mT6_P12ihipStream_tbENKUlT_T0_E_clISt17integral_constantIbLb0EEST_IbLb1EEEEDaSP_SQ_EUlSP_E0_NS1_11comp_targetILNS1_3genE0ELNS1_11target_archE4294967295ELNS1_3gpuE0ELNS1_3repE0EEENS1_30default_config_static_selectorELNS0_4arch9wavefront6targetE1EEEvT1_
; %bb.0:
	.section	.rodata,"a",@progbits
	.p2align	6, 0x0
	.amdhsa_kernel _ZN7rocprim17ROCPRIM_400000_NS6detail17trampoline_kernelINS0_14default_configENS1_20scan_config_selectorIxEEZZNS1_9scan_implILNS1_25lookback_scan_determinismE0ELb1ELb1ES3_N6thrust23THRUST_200600_302600_NS6detail15normal_iteratorINS9_10device_ptrIxEEEESE_xNS9_4plusIvEExEEDaPvRmT3_T4_T5_mT6_P12ihipStream_tbENKUlT_T0_E_clISt17integral_constantIbLb0EEST_IbLb1EEEEDaSP_SQ_EUlSP_E0_NS1_11comp_targetILNS1_3genE0ELNS1_11target_archE4294967295ELNS1_3gpuE0ELNS1_3repE0EEENS1_30default_config_static_selectorELNS0_4arch9wavefront6targetE1EEEvT1_
		.amdhsa_group_segment_fixed_size 0
		.amdhsa_private_segment_fixed_size 0
		.amdhsa_kernarg_size 40
		.amdhsa_user_sgpr_count 6
		.amdhsa_user_sgpr_private_segment_buffer 1
		.amdhsa_user_sgpr_dispatch_ptr 0
		.amdhsa_user_sgpr_queue_ptr 0
		.amdhsa_user_sgpr_kernarg_segment_ptr 1
		.amdhsa_user_sgpr_dispatch_id 0
		.amdhsa_user_sgpr_flat_scratch_init 0
		.amdhsa_user_sgpr_kernarg_preload_length 0
		.amdhsa_user_sgpr_kernarg_preload_offset 0
		.amdhsa_user_sgpr_private_segment_size 0
		.amdhsa_uses_dynamic_stack 0
		.amdhsa_system_sgpr_private_segment_wavefront_offset 0
		.amdhsa_system_sgpr_workgroup_id_x 1
		.amdhsa_system_sgpr_workgroup_id_y 0
		.amdhsa_system_sgpr_workgroup_id_z 0
		.amdhsa_system_sgpr_workgroup_info 0
		.amdhsa_system_vgpr_workitem_id 0
		.amdhsa_next_free_vgpr 1
		.amdhsa_next_free_sgpr 0
		.amdhsa_accum_offset 4
		.amdhsa_reserve_vcc 0
		.amdhsa_reserve_flat_scratch 0
		.amdhsa_float_round_mode_32 0
		.amdhsa_float_round_mode_16_64 0
		.amdhsa_float_denorm_mode_32 3
		.amdhsa_float_denorm_mode_16_64 3
		.amdhsa_dx10_clamp 1
		.amdhsa_ieee_mode 1
		.amdhsa_fp16_overflow 0
		.amdhsa_tg_split 0
		.amdhsa_exception_fp_ieee_invalid_op 0
		.amdhsa_exception_fp_denorm_src 0
		.amdhsa_exception_fp_ieee_div_zero 0
		.amdhsa_exception_fp_ieee_overflow 0
		.amdhsa_exception_fp_ieee_underflow 0
		.amdhsa_exception_fp_ieee_inexact 0
		.amdhsa_exception_int_div_zero 0
	.end_amdhsa_kernel
	.section	.text._ZN7rocprim17ROCPRIM_400000_NS6detail17trampoline_kernelINS0_14default_configENS1_20scan_config_selectorIxEEZZNS1_9scan_implILNS1_25lookback_scan_determinismE0ELb1ELb1ES3_N6thrust23THRUST_200600_302600_NS6detail15normal_iteratorINS9_10device_ptrIxEEEESE_xNS9_4plusIvEExEEDaPvRmT3_T4_T5_mT6_P12ihipStream_tbENKUlT_T0_E_clISt17integral_constantIbLb0EEST_IbLb1EEEEDaSP_SQ_EUlSP_E0_NS1_11comp_targetILNS1_3genE0ELNS1_11target_archE4294967295ELNS1_3gpuE0ELNS1_3repE0EEENS1_30default_config_static_selectorELNS0_4arch9wavefront6targetE1EEEvT1_,"axG",@progbits,_ZN7rocprim17ROCPRIM_400000_NS6detail17trampoline_kernelINS0_14default_configENS1_20scan_config_selectorIxEEZZNS1_9scan_implILNS1_25lookback_scan_determinismE0ELb1ELb1ES3_N6thrust23THRUST_200600_302600_NS6detail15normal_iteratorINS9_10device_ptrIxEEEESE_xNS9_4plusIvEExEEDaPvRmT3_T4_T5_mT6_P12ihipStream_tbENKUlT_T0_E_clISt17integral_constantIbLb0EEST_IbLb1EEEEDaSP_SQ_EUlSP_E0_NS1_11comp_targetILNS1_3genE0ELNS1_11target_archE4294967295ELNS1_3gpuE0ELNS1_3repE0EEENS1_30default_config_static_selectorELNS0_4arch9wavefront6targetE1EEEvT1_,comdat
.Lfunc_end189:
	.size	_ZN7rocprim17ROCPRIM_400000_NS6detail17trampoline_kernelINS0_14default_configENS1_20scan_config_selectorIxEEZZNS1_9scan_implILNS1_25lookback_scan_determinismE0ELb1ELb1ES3_N6thrust23THRUST_200600_302600_NS6detail15normal_iteratorINS9_10device_ptrIxEEEESE_xNS9_4plusIvEExEEDaPvRmT3_T4_T5_mT6_P12ihipStream_tbENKUlT_T0_E_clISt17integral_constantIbLb0EEST_IbLb1EEEEDaSP_SQ_EUlSP_E0_NS1_11comp_targetILNS1_3genE0ELNS1_11target_archE4294967295ELNS1_3gpuE0ELNS1_3repE0EEENS1_30default_config_static_selectorELNS0_4arch9wavefront6targetE1EEEvT1_, .Lfunc_end189-_ZN7rocprim17ROCPRIM_400000_NS6detail17trampoline_kernelINS0_14default_configENS1_20scan_config_selectorIxEEZZNS1_9scan_implILNS1_25lookback_scan_determinismE0ELb1ELb1ES3_N6thrust23THRUST_200600_302600_NS6detail15normal_iteratorINS9_10device_ptrIxEEEESE_xNS9_4plusIvEExEEDaPvRmT3_T4_T5_mT6_P12ihipStream_tbENKUlT_T0_E_clISt17integral_constantIbLb0EEST_IbLb1EEEEDaSP_SQ_EUlSP_E0_NS1_11comp_targetILNS1_3genE0ELNS1_11target_archE4294967295ELNS1_3gpuE0ELNS1_3repE0EEENS1_30default_config_static_selectorELNS0_4arch9wavefront6targetE1EEEvT1_
                                        ; -- End function
	.section	.AMDGPU.csdata,"",@progbits
; Kernel info:
; codeLenInByte = 0
; NumSgprs: 4
; NumVgprs: 0
; NumAgprs: 0
; TotalNumVgprs: 0
; ScratchSize: 0
; MemoryBound: 0
; FloatMode: 240
; IeeeMode: 1
; LDSByteSize: 0 bytes/workgroup (compile time only)
; SGPRBlocks: 0
; VGPRBlocks: 0
; NumSGPRsForWavesPerEU: 4
; NumVGPRsForWavesPerEU: 1
; AccumOffset: 4
; Occupancy: 8
; WaveLimiterHint : 0
; COMPUTE_PGM_RSRC2:SCRATCH_EN: 0
; COMPUTE_PGM_RSRC2:USER_SGPR: 6
; COMPUTE_PGM_RSRC2:TRAP_HANDLER: 0
; COMPUTE_PGM_RSRC2:TGID_X_EN: 1
; COMPUTE_PGM_RSRC2:TGID_Y_EN: 0
; COMPUTE_PGM_RSRC2:TGID_Z_EN: 0
; COMPUTE_PGM_RSRC2:TIDIG_COMP_CNT: 0
; COMPUTE_PGM_RSRC3_GFX90A:ACCUM_OFFSET: 0
; COMPUTE_PGM_RSRC3_GFX90A:TG_SPLIT: 0
	.section	.text._ZN7rocprim17ROCPRIM_400000_NS6detail17trampoline_kernelINS0_14default_configENS1_20scan_config_selectorIxEEZZNS1_9scan_implILNS1_25lookback_scan_determinismE0ELb1ELb1ES3_N6thrust23THRUST_200600_302600_NS6detail15normal_iteratorINS9_10device_ptrIxEEEESE_xNS9_4plusIvEExEEDaPvRmT3_T4_T5_mT6_P12ihipStream_tbENKUlT_T0_E_clISt17integral_constantIbLb0EEST_IbLb1EEEEDaSP_SQ_EUlSP_E0_NS1_11comp_targetILNS1_3genE5ELNS1_11target_archE942ELNS1_3gpuE9ELNS1_3repE0EEENS1_30default_config_static_selectorELNS0_4arch9wavefront6targetE1EEEvT1_,"axG",@progbits,_ZN7rocprim17ROCPRIM_400000_NS6detail17trampoline_kernelINS0_14default_configENS1_20scan_config_selectorIxEEZZNS1_9scan_implILNS1_25lookback_scan_determinismE0ELb1ELb1ES3_N6thrust23THRUST_200600_302600_NS6detail15normal_iteratorINS9_10device_ptrIxEEEESE_xNS9_4plusIvEExEEDaPvRmT3_T4_T5_mT6_P12ihipStream_tbENKUlT_T0_E_clISt17integral_constantIbLb0EEST_IbLb1EEEEDaSP_SQ_EUlSP_E0_NS1_11comp_targetILNS1_3genE5ELNS1_11target_archE942ELNS1_3gpuE9ELNS1_3repE0EEENS1_30default_config_static_selectorELNS0_4arch9wavefront6targetE1EEEvT1_,comdat
	.protected	_ZN7rocprim17ROCPRIM_400000_NS6detail17trampoline_kernelINS0_14default_configENS1_20scan_config_selectorIxEEZZNS1_9scan_implILNS1_25lookback_scan_determinismE0ELb1ELb1ES3_N6thrust23THRUST_200600_302600_NS6detail15normal_iteratorINS9_10device_ptrIxEEEESE_xNS9_4plusIvEExEEDaPvRmT3_T4_T5_mT6_P12ihipStream_tbENKUlT_T0_E_clISt17integral_constantIbLb0EEST_IbLb1EEEEDaSP_SQ_EUlSP_E0_NS1_11comp_targetILNS1_3genE5ELNS1_11target_archE942ELNS1_3gpuE9ELNS1_3repE0EEENS1_30default_config_static_selectorELNS0_4arch9wavefront6targetE1EEEvT1_ ; -- Begin function _ZN7rocprim17ROCPRIM_400000_NS6detail17trampoline_kernelINS0_14default_configENS1_20scan_config_selectorIxEEZZNS1_9scan_implILNS1_25lookback_scan_determinismE0ELb1ELb1ES3_N6thrust23THRUST_200600_302600_NS6detail15normal_iteratorINS9_10device_ptrIxEEEESE_xNS9_4plusIvEExEEDaPvRmT3_T4_T5_mT6_P12ihipStream_tbENKUlT_T0_E_clISt17integral_constantIbLb0EEST_IbLb1EEEEDaSP_SQ_EUlSP_E0_NS1_11comp_targetILNS1_3genE5ELNS1_11target_archE942ELNS1_3gpuE9ELNS1_3repE0EEENS1_30default_config_static_selectorELNS0_4arch9wavefront6targetE1EEEvT1_
	.globl	_ZN7rocprim17ROCPRIM_400000_NS6detail17trampoline_kernelINS0_14default_configENS1_20scan_config_selectorIxEEZZNS1_9scan_implILNS1_25lookback_scan_determinismE0ELb1ELb1ES3_N6thrust23THRUST_200600_302600_NS6detail15normal_iteratorINS9_10device_ptrIxEEEESE_xNS9_4plusIvEExEEDaPvRmT3_T4_T5_mT6_P12ihipStream_tbENKUlT_T0_E_clISt17integral_constantIbLb0EEST_IbLb1EEEEDaSP_SQ_EUlSP_E0_NS1_11comp_targetILNS1_3genE5ELNS1_11target_archE942ELNS1_3gpuE9ELNS1_3repE0EEENS1_30default_config_static_selectorELNS0_4arch9wavefront6targetE1EEEvT1_
	.p2align	8
	.type	_ZN7rocprim17ROCPRIM_400000_NS6detail17trampoline_kernelINS0_14default_configENS1_20scan_config_selectorIxEEZZNS1_9scan_implILNS1_25lookback_scan_determinismE0ELb1ELb1ES3_N6thrust23THRUST_200600_302600_NS6detail15normal_iteratorINS9_10device_ptrIxEEEESE_xNS9_4plusIvEExEEDaPvRmT3_T4_T5_mT6_P12ihipStream_tbENKUlT_T0_E_clISt17integral_constantIbLb0EEST_IbLb1EEEEDaSP_SQ_EUlSP_E0_NS1_11comp_targetILNS1_3genE5ELNS1_11target_archE942ELNS1_3gpuE9ELNS1_3repE0EEENS1_30default_config_static_selectorELNS0_4arch9wavefront6targetE1EEEvT1_,@function
_ZN7rocprim17ROCPRIM_400000_NS6detail17trampoline_kernelINS0_14default_configENS1_20scan_config_selectorIxEEZZNS1_9scan_implILNS1_25lookback_scan_determinismE0ELb1ELb1ES3_N6thrust23THRUST_200600_302600_NS6detail15normal_iteratorINS9_10device_ptrIxEEEESE_xNS9_4plusIvEExEEDaPvRmT3_T4_T5_mT6_P12ihipStream_tbENKUlT_T0_E_clISt17integral_constantIbLb0EEST_IbLb1EEEEDaSP_SQ_EUlSP_E0_NS1_11comp_targetILNS1_3genE5ELNS1_11target_archE942ELNS1_3gpuE9ELNS1_3repE0EEENS1_30default_config_static_selectorELNS0_4arch9wavefront6targetE1EEEvT1_: ; @_ZN7rocprim17ROCPRIM_400000_NS6detail17trampoline_kernelINS0_14default_configENS1_20scan_config_selectorIxEEZZNS1_9scan_implILNS1_25lookback_scan_determinismE0ELb1ELb1ES3_N6thrust23THRUST_200600_302600_NS6detail15normal_iteratorINS9_10device_ptrIxEEEESE_xNS9_4plusIvEExEEDaPvRmT3_T4_T5_mT6_P12ihipStream_tbENKUlT_T0_E_clISt17integral_constantIbLb0EEST_IbLb1EEEEDaSP_SQ_EUlSP_E0_NS1_11comp_targetILNS1_3genE5ELNS1_11target_archE942ELNS1_3gpuE9ELNS1_3repE0EEENS1_30default_config_static_selectorELNS0_4arch9wavefront6targetE1EEEvT1_
; %bb.0:
	.section	.rodata,"a",@progbits
	.p2align	6, 0x0
	.amdhsa_kernel _ZN7rocprim17ROCPRIM_400000_NS6detail17trampoline_kernelINS0_14default_configENS1_20scan_config_selectorIxEEZZNS1_9scan_implILNS1_25lookback_scan_determinismE0ELb1ELb1ES3_N6thrust23THRUST_200600_302600_NS6detail15normal_iteratorINS9_10device_ptrIxEEEESE_xNS9_4plusIvEExEEDaPvRmT3_T4_T5_mT6_P12ihipStream_tbENKUlT_T0_E_clISt17integral_constantIbLb0EEST_IbLb1EEEEDaSP_SQ_EUlSP_E0_NS1_11comp_targetILNS1_3genE5ELNS1_11target_archE942ELNS1_3gpuE9ELNS1_3repE0EEENS1_30default_config_static_selectorELNS0_4arch9wavefront6targetE1EEEvT1_
		.amdhsa_group_segment_fixed_size 0
		.amdhsa_private_segment_fixed_size 0
		.amdhsa_kernarg_size 40
		.amdhsa_user_sgpr_count 6
		.amdhsa_user_sgpr_private_segment_buffer 1
		.amdhsa_user_sgpr_dispatch_ptr 0
		.amdhsa_user_sgpr_queue_ptr 0
		.amdhsa_user_sgpr_kernarg_segment_ptr 1
		.amdhsa_user_sgpr_dispatch_id 0
		.amdhsa_user_sgpr_flat_scratch_init 0
		.amdhsa_user_sgpr_kernarg_preload_length 0
		.amdhsa_user_sgpr_kernarg_preload_offset 0
		.amdhsa_user_sgpr_private_segment_size 0
		.amdhsa_uses_dynamic_stack 0
		.amdhsa_system_sgpr_private_segment_wavefront_offset 0
		.amdhsa_system_sgpr_workgroup_id_x 1
		.amdhsa_system_sgpr_workgroup_id_y 0
		.amdhsa_system_sgpr_workgroup_id_z 0
		.amdhsa_system_sgpr_workgroup_info 0
		.amdhsa_system_vgpr_workitem_id 0
		.amdhsa_next_free_vgpr 1
		.amdhsa_next_free_sgpr 0
		.amdhsa_accum_offset 4
		.amdhsa_reserve_vcc 0
		.amdhsa_reserve_flat_scratch 0
		.amdhsa_float_round_mode_32 0
		.amdhsa_float_round_mode_16_64 0
		.amdhsa_float_denorm_mode_32 3
		.amdhsa_float_denorm_mode_16_64 3
		.amdhsa_dx10_clamp 1
		.amdhsa_ieee_mode 1
		.amdhsa_fp16_overflow 0
		.amdhsa_tg_split 0
		.amdhsa_exception_fp_ieee_invalid_op 0
		.amdhsa_exception_fp_denorm_src 0
		.amdhsa_exception_fp_ieee_div_zero 0
		.amdhsa_exception_fp_ieee_overflow 0
		.amdhsa_exception_fp_ieee_underflow 0
		.amdhsa_exception_fp_ieee_inexact 0
		.amdhsa_exception_int_div_zero 0
	.end_amdhsa_kernel
	.section	.text._ZN7rocprim17ROCPRIM_400000_NS6detail17trampoline_kernelINS0_14default_configENS1_20scan_config_selectorIxEEZZNS1_9scan_implILNS1_25lookback_scan_determinismE0ELb1ELb1ES3_N6thrust23THRUST_200600_302600_NS6detail15normal_iteratorINS9_10device_ptrIxEEEESE_xNS9_4plusIvEExEEDaPvRmT3_T4_T5_mT6_P12ihipStream_tbENKUlT_T0_E_clISt17integral_constantIbLb0EEST_IbLb1EEEEDaSP_SQ_EUlSP_E0_NS1_11comp_targetILNS1_3genE5ELNS1_11target_archE942ELNS1_3gpuE9ELNS1_3repE0EEENS1_30default_config_static_selectorELNS0_4arch9wavefront6targetE1EEEvT1_,"axG",@progbits,_ZN7rocprim17ROCPRIM_400000_NS6detail17trampoline_kernelINS0_14default_configENS1_20scan_config_selectorIxEEZZNS1_9scan_implILNS1_25lookback_scan_determinismE0ELb1ELb1ES3_N6thrust23THRUST_200600_302600_NS6detail15normal_iteratorINS9_10device_ptrIxEEEESE_xNS9_4plusIvEExEEDaPvRmT3_T4_T5_mT6_P12ihipStream_tbENKUlT_T0_E_clISt17integral_constantIbLb0EEST_IbLb1EEEEDaSP_SQ_EUlSP_E0_NS1_11comp_targetILNS1_3genE5ELNS1_11target_archE942ELNS1_3gpuE9ELNS1_3repE0EEENS1_30default_config_static_selectorELNS0_4arch9wavefront6targetE1EEEvT1_,comdat
.Lfunc_end190:
	.size	_ZN7rocprim17ROCPRIM_400000_NS6detail17trampoline_kernelINS0_14default_configENS1_20scan_config_selectorIxEEZZNS1_9scan_implILNS1_25lookback_scan_determinismE0ELb1ELb1ES3_N6thrust23THRUST_200600_302600_NS6detail15normal_iteratorINS9_10device_ptrIxEEEESE_xNS9_4plusIvEExEEDaPvRmT3_T4_T5_mT6_P12ihipStream_tbENKUlT_T0_E_clISt17integral_constantIbLb0EEST_IbLb1EEEEDaSP_SQ_EUlSP_E0_NS1_11comp_targetILNS1_3genE5ELNS1_11target_archE942ELNS1_3gpuE9ELNS1_3repE0EEENS1_30default_config_static_selectorELNS0_4arch9wavefront6targetE1EEEvT1_, .Lfunc_end190-_ZN7rocprim17ROCPRIM_400000_NS6detail17trampoline_kernelINS0_14default_configENS1_20scan_config_selectorIxEEZZNS1_9scan_implILNS1_25lookback_scan_determinismE0ELb1ELb1ES3_N6thrust23THRUST_200600_302600_NS6detail15normal_iteratorINS9_10device_ptrIxEEEESE_xNS9_4plusIvEExEEDaPvRmT3_T4_T5_mT6_P12ihipStream_tbENKUlT_T0_E_clISt17integral_constantIbLb0EEST_IbLb1EEEEDaSP_SQ_EUlSP_E0_NS1_11comp_targetILNS1_3genE5ELNS1_11target_archE942ELNS1_3gpuE9ELNS1_3repE0EEENS1_30default_config_static_selectorELNS0_4arch9wavefront6targetE1EEEvT1_
                                        ; -- End function
	.section	.AMDGPU.csdata,"",@progbits
; Kernel info:
; codeLenInByte = 0
; NumSgprs: 4
; NumVgprs: 0
; NumAgprs: 0
; TotalNumVgprs: 0
; ScratchSize: 0
; MemoryBound: 0
; FloatMode: 240
; IeeeMode: 1
; LDSByteSize: 0 bytes/workgroup (compile time only)
; SGPRBlocks: 0
; VGPRBlocks: 0
; NumSGPRsForWavesPerEU: 4
; NumVGPRsForWavesPerEU: 1
; AccumOffset: 4
; Occupancy: 8
; WaveLimiterHint : 0
; COMPUTE_PGM_RSRC2:SCRATCH_EN: 0
; COMPUTE_PGM_RSRC2:USER_SGPR: 6
; COMPUTE_PGM_RSRC2:TRAP_HANDLER: 0
; COMPUTE_PGM_RSRC2:TGID_X_EN: 1
; COMPUTE_PGM_RSRC2:TGID_Y_EN: 0
; COMPUTE_PGM_RSRC2:TGID_Z_EN: 0
; COMPUTE_PGM_RSRC2:TIDIG_COMP_CNT: 0
; COMPUTE_PGM_RSRC3_GFX90A:ACCUM_OFFSET: 0
; COMPUTE_PGM_RSRC3_GFX90A:TG_SPLIT: 0
	.section	.text._ZN7rocprim17ROCPRIM_400000_NS6detail17trampoline_kernelINS0_14default_configENS1_20scan_config_selectorIxEEZZNS1_9scan_implILNS1_25lookback_scan_determinismE0ELb1ELb1ES3_N6thrust23THRUST_200600_302600_NS6detail15normal_iteratorINS9_10device_ptrIxEEEESE_xNS9_4plusIvEExEEDaPvRmT3_T4_T5_mT6_P12ihipStream_tbENKUlT_T0_E_clISt17integral_constantIbLb0EEST_IbLb1EEEEDaSP_SQ_EUlSP_E0_NS1_11comp_targetILNS1_3genE4ELNS1_11target_archE910ELNS1_3gpuE8ELNS1_3repE0EEENS1_30default_config_static_selectorELNS0_4arch9wavefront6targetE1EEEvT1_,"axG",@progbits,_ZN7rocprim17ROCPRIM_400000_NS6detail17trampoline_kernelINS0_14default_configENS1_20scan_config_selectorIxEEZZNS1_9scan_implILNS1_25lookback_scan_determinismE0ELb1ELb1ES3_N6thrust23THRUST_200600_302600_NS6detail15normal_iteratorINS9_10device_ptrIxEEEESE_xNS9_4plusIvEExEEDaPvRmT3_T4_T5_mT6_P12ihipStream_tbENKUlT_T0_E_clISt17integral_constantIbLb0EEST_IbLb1EEEEDaSP_SQ_EUlSP_E0_NS1_11comp_targetILNS1_3genE4ELNS1_11target_archE910ELNS1_3gpuE8ELNS1_3repE0EEENS1_30default_config_static_selectorELNS0_4arch9wavefront6targetE1EEEvT1_,comdat
	.protected	_ZN7rocprim17ROCPRIM_400000_NS6detail17trampoline_kernelINS0_14default_configENS1_20scan_config_selectorIxEEZZNS1_9scan_implILNS1_25lookback_scan_determinismE0ELb1ELb1ES3_N6thrust23THRUST_200600_302600_NS6detail15normal_iteratorINS9_10device_ptrIxEEEESE_xNS9_4plusIvEExEEDaPvRmT3_T4_T5_mT6_P12ihipStream_tbENKUlT_T0_E_clISt17integral_constantIbLb0EEST_IbLb1EEEEDaSP_SQ_EUlSP_E0_NS1_11comp_targetILNS1_3genE4ELNS1_11target_archE910ELNS1_3gpuE8ELNS1_3repE0EEENS1_30default_config_static_selectorELNS0_4arch9wavefront6targetE1EEEvT1_ ; -- Begin function _ZN7rocprim17ROCPRIM_400000_NS6detail17trampoline_kernelINS0_14default_configENS1_20scan_config_selectorIxEEZZNS1_9scan_implILNS1_25lookback_scan_determinismE0ELb1ELb1ES3_N6thrust23THRUST_200600_302600_NS6detail15normal_iteratorINS9_10device_ptrIxEEEESE_xNS9_4plusIvEExEEDaPvRmT3_T4_T5_mT6_P12ihipStream_tbENKUlT_T0_E_clISt17integral_constantIbLb0EEST_IbLb1EEEEDaSP_SQ_EUlSP_E0_NS1_11comp_targetILNS1_3genE4ELNS1_11target_archE910ELNS1_3gpuE8ELNS1_3repE0EEENS1_30default_config_static_selectorELNS0_4arch9wavefront6targetE1EEEvT1_
	.globl	_ZN7rocprim17ROCPRIM_400000_NS6detail17trampoline_kernelINS0_14default_configENS1_20scan_config_selectorIxEEZZNS1_9scan_implILNS1_25lookback_scan_determinismE0ELb1ELb1ES3_N6thrust23THRUST_200600_302600_NS6detail15normal_iteratorINS9_10device_ptrIxEEEESE_xNS9_4plusIvEExEEDaPvRmT3_T4_T5_mT6_P12ihipStream_tbENKUlT_T0_E_clISt17integral_constantIbLb0EEST_IbLb1EEEEDaSP_SQ_EUlSP_E0_NS1_11comp_targetILNS1_3genE4ELNS1_11target_archE910ELNS1_3gpuE8ELNS1_3repE0EEENS1_30default_config_static_selectorELNS0_4arch9wavefront6targetE1EEEvT1_
	.p2align	8
	.type	_ZN7rocprim17ROCPRIM_400000_NS6detail17trampoline_kernelINS0_14default_configENS1_20scan_config_selectorIxEEZZNS1_9scan_implILNS1_25lookback_scan_determinismE0ELb1ELb1ES3_N6thrust23THRUST_200600_302600_NS6detail15normal_iteratorINS9_10device_ptrIxEEEESE_xNS9_4plusIvEExEEDaPvRmT3_T4_T5_mT6_P12ihipStream_tbENKUlT_T0_E_clISt17integral_constantIbLb0EEST_IbLb1EEEEDaSP_SQ_EUlSP_E0_NS1_11comp_targetILNS1_3genE4ELNS1_11target_archE910ELNS1_3gpuE8ELNS1_3repE0EEENS1_30default_config_static_selectorELNS0_4arch9wavefront6targetE1EEEvT1_,@function
_ZN7rocprim17ROCPRIM_400000_NS6detail17trampoline_kernelINS0_14default_configENS1_20scan_config_selectorIxEEZZNS1_9scan_implILNS1_25lookback_scan_determinismE0ELb1ELb1ES3_N6thrust23THRUST_200600_302600_NS6detail15normal_iteratorINS9_10device_ptrIxEEEESE_xNS9_4plusIvEExEEDaPvRmT3_T4_T5_mT6_P12ihipStream_tbENKUlT_T0_E_clISt17integral_constantIbLb0EEST_IbLb1EEEEDaSP_SQ_EUlSP_E0_NS1_11comp_targetILNS1_3genE4ELNS1_11target_archE910ELNS1_3gpuE8ELNS1_3repE0EEENS1_30default_config_static_selectorELNS0_4arch9wavefront6targetE1EEEvT1_: ; @_ZN7rocprim17ROCPRIM_400000_NS6detail17trampoline_kernelINS0_14default_configENS1_20scan_config_selectorIxEEZZNS1_9scan_implILNS1_25lookback_scan_determinismE0ELb1ELb1ES3_N6thrust23THRUST_200600_302600_NS6detail15normal_iteratorINS9_10device_ptrIxEEEESE_xNS9_4plusIvEExEEDaPvRmT3_T4_T5_mT6_P12ihipStream_tbENKUlT_T0_E_clISt17integral_constantIbLb0EEST_IbLb1EEEEDaSP_SQ_EUlSP_E0_NS1_11comp_targetILNS1_3genE4ELNS1_11target_archE910ELNS1_3gpuE8ELNS1_3repE0EEENS1_30default_config_static_selectorELNS0_4arch9wavefront6targetE1EEEvT1_
; %bb.0:
	s_load_dwordx4 s[16:19], s[4:5], 0x0
	v_lshlrev_b32_e32 v20, 3, v0
	s_waitcnt lgkmcnt(0)
	s_load_dwordx2 s[14:15], s[16:17], 0x0
	v_cmp_gt_u32_e32 vcc, s18, v0
	s_waitcnt lgkmcnt(0)
	v_pk_mov_b32 v[2:3], s[14:15], s[14:15] op_sel:[0,1]
	s_and_saveexec_b64 s[0:1], vcc
	s_cbranch_execz .LBB191_2
; %bb.1:
	global_load_dwordx2 v[2:3], v20, s[16:17]
.LBB191_2:
	s_or_b64 exec, exec, s[0:1]
	v_or_b32_e32 v1, 0x80, v0
	v_cmp_gt_u32_e64 s[0:1], s18, v1
	v_pk_mov_b32 v[4:5], s[14:15], s[14:15] op_sel:[0,1]
	s_and_saveexec_b64 s[2:3], s[0:1]
	s_cbranch_execz .LBB191_4
; %bb.3:
	global_load_dwordx2 v[4:5], v20, s[16:17] offset:1024
.LBB191_4:
	s_or_b64 exec, exec, s[2:3]
	v_or_b32_e32 v1, 0x100, v0
	v_cmp_gt_u32_e64 s[2:3], s18, v1
	v_pk_mov_b32 v[6:7], s[14:15], s[14:15] op_sel:[0,1]
	s_and_saveexec_b64 s[6:7], s[2:3]
	s_cbranch_execz .LBB191_6
; %bb.5:
	global_load_dwordx2 v[6:7], v20, s[16:17] offset:2048
.LBB191_6:
	;; [unrolled: 9-line block ×3, first 2 shown]
	s_or_b64 exec, exec, s[6:7]
	v_or_b32_e32 v1, 0x200, v0
	v_cmp_gt_u32_e64 s[6:7], s18, v1
	v_pk_mov_b32 v[10:11], s[14:15], s[14:15] op_sel:[0,1]
	s_and_saveexec_b64 s[8:9], s[6:7]
	s_cbranch_execz .LBB191_10
; %bb.9:
	v_lshlrev_b32_e32 v1, 3, v1
	global_load_dwordx2 v[10:11], v1, s[16:17]
.LBB191_10:
	s_or_b64 exec, exec, s[8:9]
	v_or_b32_e32 v1, 0x280, v0
	v_cmp_gt_u32_e64 s[8:9], s18, v1
	v_pk_mov_b32 v[12:13], s[14:15], s[14:15] op_sel:[0,1]
	s_and_saveexec_b64 s[10:11], s[8:9]
	s_cbranch_execz .LBB191_12
; %bb.11:
	v_lshlrev_b32_e32 v1, 3, v1
	global_load_dwordx2 v[12:13], v1, s[16:17]
.LBB191_12:
	s_or_b64 exec, exec, s[10:11]
	s_load_dwordx2 s[20:21], s[4:5], 0x10
	v_or_b32_e32 v1, 0x300, v0
	v_cmp_gt_u32_e64 s[10:11], s18, v1
	v_pk_mov_b32 v[14:15], s[14:15], s[14:15] op_sel:[0,1]
	s_and_saveexec_b64 s[14:15], s[10:11]
	s_cbranch_execz .LBB191_14
; %bb.13:
	v_lshlrev_b32_e32 v1, 3, v1
	global_load_dwordx2 v[14:15], v1, s[16:17]
.LBB191_14:
	s_or_b64 exec, exec, s[14:15]
	v_mad_u32_u24 v1, v0, 48, v20
	s_waitcnt vmcnt(0)
	ds_write2st64_b64 v20, v[2:3], v[4:5] offset1:2
	ds_write2st64_b64 v20, v[6:7], v[8:9] offset0:4 offset1:6
	ds_write2st64_b64 v20, v[10:11], v[12:13] offset0:8 offset1:10
	ds_write_b64 v20, v[14:15] offset:6144
	s_waitcnt lgkmcnt(0)
	s_barrier
	ds_read2_b64 v[2:5], v1 offset1:1
	ds_read2_b64 v[6:9], v1 offset0:2 offset1:3
	ds_read2_b64 v[10:13], v1 offset0:4 offset1:5
	ds_read_b64 v[14:15], v1 offset:48
	s_load_dwordx2 s[16:17], s[4:5], 0x20
	s_waitcnt lgkmcnt(0)
	v_add_co_u32_e64 v1, s[4:5], v4, v2
	v_addc_co_u32_e64 v16, s[4:5], v5, v3, s[4:5]
	v_add_co_u32_e64 v1, s[4:5], v1, v6
	v_addc_co_u32_e64 v16, s[4:5], v16, v7, s[4:5]
	;; [unrolled: 2-line block ×5, first 2 shown]
	v_add_co_u32_e64 v18, s[4:5], v1, v14
	v_lshrrev_b32_e32 v1, 2, v0
	v_addc_co_u32_e64 v19, s[4:5], v16, v15, s[4:5]
	v_and_b32_e32 v1, 24, v1
	v_add_u32_e32 v1, v20, v1
	v_cmp_gt_u32_e64 s[4:5], 64, v0
	s_barrier
	ds_write_b64 v1, v[18:19]
	s_waitcnt lgkmcnt(0)
	s_barrier
	s_and_saveexec_b64 s[18:19], s[4:5]
	s_cbranch_execz .LBB191_18
; %bb.15:
	v_lshlrev_b32_e32 v1, 1, v0
	v_lshrrev_b32_e32 v14, 4, v0
	v_add_lshl_u32 v21, v14, v1, 3
	ds_read2_b64 v[14:17], v21 offset1:1
	v_mbcnt_lo_u32_b32 v1, -1, 0
	s_waitcnt lgkmcnt(0)
	v_add_co_u32_e64 v22, s[4:5], v16, v14
	v_addc_co_u32_e64 v23, s[4:5], v17, v15, s[4:5]
	s_nop 0
	v_mov_b32_dpp v16, v22 row_shr:1 row_mask:0xf bank_mask:0xf
	v_add_co_u32_e64 v16, s[4:5], v22, v16
	v_addc_co_u32_e64 v25, s[4:5], 0, v23, s[4:5]
	v_mbcnt_hi_u32_b32 v17, -1, v1
	v_mov_b32_dpp v24, v23 row_shr:1 row_mask:0xf bank_mask:0xf
	v_add_co_u32_e64 v26, s[4:5], 0, v16
	v_and_b32_e32 v1, 15, v17
	v_addc_co_u32_e64 v24, s[4:5], v24, v25, s[4:5]
	v_cmp_eq_u32_e64 s[4:5], 0, v1
	v_cndmask_b32_e64 v16, v16, v22, s[4:5]
	v_cndmask_b32_e64 v24, v24, v23, s[4:5]
	v_cndmask_b32_e64 v25, v26, v22, s[4:5]
	v_mov_b32_dpp v26, v16 row_shr:2 row_mask:0xf bank_mask:0xf
	v_mov_b32_dpp v27, v24 row_shr:2 row_mask:0xf bank_mask:0xf
	v_add_co_u32_e64 v26, s[4:5], v26, v25
	v_addc_co_u32_e64 v27, s[4:5], v27, v24, s[4:5]
	v_cmp_lt_u32_e64 s[4:5], 1, v1
	v_cndmask_b32_e64 v16, v16, v26, s[4:5]
	v_cndmask_b32_e64 v24, v24, v27, s[4:5]
	v_cndmask_b32_e64 v25, v25, v26, s[4:5]
	v_mov_b32_dpp v26, v16 row_shr:4 row_mask:0xf bank_mask:0xf
	v_mov_b32_dpp v27, v24 row_shr:4 row_mask:0xf bank_mask:0xf
	v_add_co_u32_e64 v26, s[4:5], v26, v25
	v_addc_co_u32_e64 v27, s[4:5], v27, v24, s[4:5]
	v_cmp_lt_u32_e64 s[4:5], 3, v1
	;; [unrolled: 8-line block ×3, first 2 shown]
	v_cndmask_b32_e64 v28, v16, v26, s[4:5]
	v_cndmask_b32_e64 v1, v24, v27, s[4:5]
	;; [unrolled: 1-line block ×3, first 2 shown]
	v_mov_b32_dpp v24, v28 row_bcast:15 row_mask:0xf bank_mask:0xf
	v_mov_b32_dpp v25, v1 row_bcast:15 row_mask:0xf bank_mask:0xf
	v_add_co_u32_e64 v24, s[4:5], v24, v16
	v_and_b32_e32 v27, 16, v17
	v_addc_co_u32_e64 v26, s[4:5], v25, v1, s[4:5]
	v_cmp_eq_u32_e64 s[4:5], 0, v27
	v_cndmask_b32_e64 v27, v26, v1, s[4:5]
	v_cndmask_b32_e64 v25, v24, v28, s[4:5]
	v_cmp_ne_u32_e64 s[14:15], 0, v17
	v_mov_b32_dpp v27, v27 row_bcast:31 row_mask:0xf bank_mask:0xf
	v_mov_b32_dpp v25, v25 row_bcast:31 row_mask:0xf bank_mask:0xf
	s_and_saveexec_b64 s[22:23], s[14:15]
; %bb.16:
	v_cndmask_b32_e64 v1, v26, v1, s[4:5]
	v_cndmask_b32_e64 v16, v24, v16, s[4:5]
	v_cmp_lt_u32_e64 s[4:5], 31, v17
	v_cndmask_b32_e64 v22, 0, v25, s[4:5]
	v_cndmask_b32_e64 v23, 0, v27, s[4:5]
	v_add_co_u32_e64 v22, s[4:5], v22, v16
	v_addc_co_u32_e64 v23, s[4:5], v23, v1, s[4:5]
; %bb.17:
	s_or_b64 exec, exec, s[22:23]
	v_add_u32_e32 v1, -1, v17
	v_and_b32_e32 v16, 64, v17
	v_cmp_lt_i32_e64 s[4:5], v1, v16
	v_cndmask_b32_e64 v1, v1, v17, s[4:5]
	v_lshlrev_b32_e32 v1, 2, v1
	ds_bpermute_b32 v16, v1, v22
	ds_bpermute_b32 v1, v1, v23
	; wave barrier
	s_waitcnt lgkmcnt(1)
	v_add_co_u32_e64 v14, s[4:5], v14, v16
	v_addc_co_u32_e64 v15, s[4:5], 0, v15, s[4:5]
	v_add_co_u32_e64 v14, s[4:5], 0, v14
	s_waitcnt lgkmcnt(0)
	v_addc_co_u32_e64 v1, s[4:5], v15, v1, s[4:5]
	v_cmp_eq_u32_e64 s[4:5], 0, v0
	v_cndmask_b32_e64 v15, v1, v19, s[4:5]
	v_cndmask_b32_e64 v14, v14, v18, s[4:5]
	ds_write_b64 v21, v[14:15]
	; wave barrier
	ds_read_b64 v[16:17], v21 offset:8
	s_waitcnt lgkmcnt(0)
	v_add_co_u32_e64 v14, s[4:5], v16, v14
	v_addc_co_u32_e64 v15, s[4:5], v17, v15, s[4:5]
	ds_write_b64 v21, v[14:15] offset:8
.LBB191_18:
	s_or_b64 exec, exec, s[18:19]
	v_mul_u32_u24_e32 v1, 48, v0
	v_cmp_ne_u32_e64 s[4:5], 0, v0
	v_pk_mov_b32 v[14:15], s[20:21], s[20:21] op_sel:[0,1]
	s_waitcnt lgkmcnt(0)
	s_barrier
	s_and_saveexec_b64 s[14:15], s[4:5]
	s_cbranch_execz .LBB191_20
; %bb.19:
	v_add_u32_e32 v0, -1, v0
	v_lshrrev_b32_e32 v14, 5, v0
	v_add_lshl_u32 v0, v14, v0, 3
	ds_read_b64 v[14:15], v0
	v_mov_b32_e32 v0, s21
	s_waitcnt lgkmcnt(0)
	v_add_co_u32_e64 v14, s[4:5], s20, v14
	v_addc_co_u32_e64 v15, s[4:5], v15, v0, s[4:5]
.LBB191_20:
	s_or_b64 exec, exec, s[14:15]
	v_add_co_u32_e64 v2, s[4:5], v14, v2
	v_addc_co_u32_e64 v3, s[4:5], v15, v3, s[4:5]
	v_add_co_u32_e64 v4, s[4:5], v2, v4
	v_addc_co_u32_e64 v5, s[4:5], v3, v5, s[4:5]
	;; [unrolled: 2-line block ×5, first 2 shown]
	v_add_co_u32_e64 v12, s[4:5], v10, v12
	v_add_u32_e32 v0, v20, v1
	v_addc_co_u32_e64 v13, s[4:5], v11, v13, s[4:5]
	s_barrier
	ds_write2_b64 v0, v[14:15], v[2:3] offset1:1
	ds_write2_b64 v0, v[4:5], v[6:7] offset0:2 offset1:3
	ds_write2_b64 v0, v[8:9], v[10:11] offset0:4 offset1:5
	ds_write_b64 v0, v[12:13] offset:48
	s_waitcnt lgkmcnt(0)
	s_barrier
	ds_read2st64_b64 v[8:11], v20 offset0:2 offset1:4
	ds_read2st64_b64 v[4:7], v20 offset0:6 offset1:8
	;; [unrolled: 1-line block ×3, first 2 shown]
	v_mov_b32_e32 v13, s17
	v_add_co_u32_e64 v12, s[4:5], s16, v20
	v_addc_co_u32_e64 v13, s[4:5], 0, v13, s[4:5]
	s_and_saveexec_b64 s[4:5], vcc
	s_cbranch_execnz .LBB191_28
; %bb.21:
	s_or_b64 exec, exec, s[4:5]
	s_and_saveexec_b64 s[4:5], s[0:1]
	s_cbranch_execnz .LBB191_29
.LBB191_22:
	s_or_b64 exec, exec, s[4:5]
	s_and_saveexec_b64 s[0:1], s[2:3]
	s_cbranch_execnz .LBB191_30
.LBB191_23:
	s_or_b64 exec, exec, s[0:1]
	s_and_saveexec_b64 s[0:1], s[12:13]
	s_cbranch_execnz .LBB191_31
.LBB191_24:
	s_or_b64 exec, exec, s[0:1]
	s_and_saveexec_b64 s[0:1], s[6:7]
	s_cbranch_execnz .LBB191_32
.LBB191_25:
	s_or_b64 exec, exec, s[0:1]
	s_and_saveexec_b64 s[0:1], s[8:9]
	s_cbranch_execnz .LBB191_33
.LBB191_26:
	s_or_b64 exec, exec, s[0:1]
	s_and_saveexec_b64 s[0:1], s[10:11]
	s_cbranch_execnz .LBB191_34
.LBB191_27:
	s_endpgm
.LBB191_28:
	ds_read_b64 v[14:15], v20
	s_waitcnt lgkmcnt(0)
	global_store_dwordx2 v[12:13], v[14:15], off
	s_or_b64 exec, exec, s[4:5]
	s_and_saveexec_b64 s[4:5], s[0:1]
	s_cbranch_execz .LBB191_22
.LBB191_29:
	s_waitcnt lgkmcnt(2)
	global_store_dwordx2 v[12:13], v[8:9], off offset:1024
	s_or_b64 exec, exec, s[4:5]
	s_and_saveexec_b64 s[0:1], s[2:3]
	s_cbranch_execz .LBB191_23
.LBB191_30:
	s_waitcnt lgkmcnt(2)
	global_store_dwordx2 v[12:13], v[10:11], off offset:2048
	s_or_b64 exec, exec, s[0:1]
	s_and_saveexec_b64 s[0:1], s[12:13]
	s_cbranch_execz .LBB191_24
.LBB191_31:
	s_waitcnt lgkmcnt(1)
	global_store_dwordx2 v[12:13], v[4:5], off offset:3072
	s_or_b64 exec, exec, s[0:1]
	s_and_saveexec_b64 s[0:1], s[6:7]
	s_cbranch_execz .LBB191_25
.LBB191_32:
	s_waitcnt lgkmcnt(1)
	v_add_co_u32_e32 v4, vcc, 0x1000, v12
	v_addc_co_u32_e32 v5, vcc, 0, v13, vcc
	global_store_dwordx2 v[4:5], v[6:7], off
	s_or_b64 exec, exec, s[0:1]
	s_and_saveexec_b64 s[0:1], s[8:9]
	s_cbranch_execz .LBB191_26
.LBB191_33:
	s_waitcnt lgkmcnt(1)
	v_add_co_u32_e32 v4, vcc, 0x1000, v12
	v_addc_co_u32_e32 v5, vcc, 0, v13, vcc
	s_waitcnt lgkmcnt(0)
	global_store_dwordx2 v[4:5], v[0:1], off offset:1024
	s_or_b64 exec, exec, s[0:1]
	s_and_saveexec_b64 s[0:1], s[10:11]
	s_cbranch_execz .LBB191_27
.LBB191_34:
	s_waitcnt lgkmcnt(0)
	v_add_co_u32_e32 v0, vcc, 0x1000, v12
	v_addc_co_u32_e32 v1, vcc, 0, v13, vcc
	global_store_dwordx2 v[0:1], v[2:3], off offset:2048
	s_endpgm
	.section	.rodata,"a",@progbits
	.p2align	6, 0x0
	.amdhsa_kernel _ZN7rocprim17ROCPRIM_400000_NS6detail17trampoline_kernelINS0_14default_configENS1_20scan_config_selectorIxEEZZNS1_9scan_implILNS1_25lookback_scan_determinismE0ELb1ELb1ES3_N6thrust23THRUST_200600_302600_NS6detail15normal_iteratorINS9_10device_ptrIxEEEESE_xNS9_4plusIvEExEEDaPvRmT3_T4_T5_mT6_P12ihipStream_tbENKUlT_T0_E_clISt17integral_constantIbLb0EEST_IbLb1EEEEDaSP_SQ_EUlSP_E0_NS1_11comp_targetILNS1_3genE4ELNS1_11target_archE910ELNS1_3gpuE8ELNS1_3repE0EEENS1_30default_config_static_selectorELNS0_4arch9wavefront6targetE1EEEvT1_
		.amdhsa_group_segment_fixed_size 7168
		.amdhsa_private_segment_fixed_size 0
		.amdhsa_kernarg_size 40
		.amdhsa_user_sgpr_count 6
		.amdhsa_user_sgpr_private_segment_buffer 1
		.amdhsa_user_sgpr_dispatch_ptr 0
		.amdhsa_user_sgpr_queue_ptr 0
		.amdhsa_user_sgpr_kernarg_segment_ptr 1
		.amdhsa_user_sgpr_dispatch_id 0
		.amdhsa_user_sgpr_flat_scratch_init 0
		.amdhsa_user_sgpr_kernarg_preload_length 0
		.amdhsa_user_sgpr_kernarg_preload_offset 0
		.amdhsa_user_sgpr_private_segment_size 0
		.amdhsa_uses_dynamic_stack 0
		.amdhsa_system_sgpr_private_segment_wavefront_offset 0
		.amdhsa_system_sgpr_workgroup_id_x 1
		.amdhsa_system_sgpr_workgroup_id_y 0
		.amdhsa_system_sgpr_workgroup_id_z 0
		.amdhsa_system_sgpr_workgroup_info 0
		.amdhsa_system_vgpr_workitem_id 0
		.amdhsa_next_free_vgpr 29
		.amdhsa_next_free_sgpr 24
		.amdhsa_accum_offset 32
		.amdhsa_reserve_vcc 1
		.amdhsa_reserve_flat_scratch 0
		.amdhsa_float_round_mode_32 0
		.amdhsa_float_round_mode_16_64 0
		.amdhsa_float_denorm_mode_32 3
		.amdhsa_float_denorm_mode_16_64 3
		.amdhsa_dx10_clamp 1
		.amdhsa_ieee_mode 1
		.amdhsa_fp16_overflow 0
		.amdhsa_tg_split 0
		.amdhsa_exception_fp_ieee_invalid_op 0
		.amdhsa_exception_fp_denorm_src 0
		.amdhsa_exception_fp_ieee_div_zero 0
		.amdhsa_exception_fp_ieee_overflow 0
		.amdhsa_exception_fp_ieee_underflow 0
		.amdhsa_exception_fp_ieee_inexact 0
		.amdhsa_exception_int_div_zero 0
	.end_amdhsa_kernel
	.section	.text._ZN7rocprim17ROCPRIM_400000_NS6detail17trampoline_kernelINS0_14default_configENS1_20scan_config_selectorIxEEZZNS1_9scan_implILNS1_25lookback_scan_determinismE0ELb1ELb1ES3_N6thrust23THRUST_200600_302600_NS6detail15normal_iteratorINS9_10device_ptrIxEEEESE_xNS9_4plusIvEExEEDaPvRmT3_T4_T5_mT6_P12ihipStream_tbENKUlT_T0_E_clISt17integral_constantIbLb0EEST_IbLb1EEEEDaSP_SQ_EUlSP_E0_NS1_11comp_targetILNS1_3genE4ELNS1_11target_archE910ELNS1_3gpuE8ELNS1_3repE0EEENS1_30default_config_static_selectorELNS0_4arch9wavefront6targetE1EEEvT1_,"axG",@progbits,_ZN7rocprim17ROCPRIM_400000_NS6detail17trampoline_kernelINS0_14default_configENS1_20scan_config_selectorIxEEZZNS1_9scan_implILNS1_25lookback_scan_determinismE0ELb1ELb1ES3_N6thrust23THRUST_200600_302600_NS6detail15normal_iteratorINS9_10device_ptrIxEEEESE_xNS9_4plusIvEExEEDaPvRmT3_T4_T5_mT6_P12ihipStream_tbENKUlT_T0_E_clISt17integral_constantIbLb0EEST_IbLb1EEEEDaSP_SQ_EUlSP_E0_NS1_11comp_targetILNS1_3genE4ELNS1_11target_archE910ELNS1_3gpuE8ELNS1_3repE0EEENS1_30default_config_static_selectorELNS0_4arch9wavefront6targetE1EEEvT1_,comdat
.Lfunc_end191:
	.size	_ZN7rocprim17ROCPRIM_400000_NS6detail17trampoline_kernelINS0_14default_configENS1_20scan_config_selectorIxEEZZNS1_9scan_implILNS1_25lookback_scan_determinismE0ELb1ELb1ES3_N6thrust23THRUST_200600_302600_NS6detail15normal_iteratorINS9_10device_ptrIxEEEESE_xNS9_4plusIvEExEEDaPvRmT3_T4_T5_mT6_P12ihipStream_tbENKUlT_T0_E_clISt17integral_constantIbLb0EEST_IbLb1EEEEDaSP_SQ_EUlSP_E0_NS1_11comp_targetILNS1_3genE4ELNS1_11target_archE910ELNS1_3gpuE8ELNS1_3repE0EEENS1_30default_config_static_selectorELNS0_4arch9wavefront6targetE1EEEvT1_, .Lfunc_end191-_ZN7rocprim17ROCPRIM_400000_NS6detail17trampoline_kernelINS0_14default_configENS1_20scan_config_selectorIxEEZZNS1_9scan_implILNS1_25lookback_scan_determinismE0ELb1ELb1ES3_N6thrust23THRUST_200600_302600_NS6detail15normal_iteratorINS9_10device_ptrIxEEEESE_xNS9_4plusIvEExEEDaPvRmT3_T4_T5_mT6_P12ihipStream_tbENKUlT_T0_E_clISt17integral_constantIbLb0EEST_IbLb1EEEEDaSP_SQ_EUlSP_E0_NS1_11comp_targetILNS1_3genE4ELNS1_11target_archE910ELNS1_3gpuE8ELNS1_3repE0EEENS1_30default_config_static_selectorELNS0_4arch9wavefront6targetE1EEEvT1_
                                        ; -- End function
	.section	.AMDGPU.csdata,"",@progbits
; Kernel info:
; codeLenInByte = 1796
; NumSgprs: 28
; NumVgprs: 29
; NumAgprs: 0
; TotalNumVgprs: 29
; ScratchSize: 0
; MemoryBound: 0
; FloatMode: 240
; IeeeMode: 1
; LDSByteSize: 7168 bytes/workgroup (compile time only)
; SGPRBlocks: 3
; VGPRBlocks: 3
; NumSGPRsForWavesPerEU: 28
; NumVGPRsForWavesPerEU: 29
; AccumOffset: 32
; Occupancy: 5
; WaveLimiterHint : 0
; COMPUTE_PGM_RSRC2:SCRATCH_EN: 0
; COMPUTE_PGM_RSRC2:USER_SGPR: 6
; COMPUTE_PGM_RSRC2:TRAP_HANDLER: 0
; COMPUTE_PGM_RSRC2:TGID_X_EN: 1
; COMPUTE_PGM_RSRC2:TGID_Y_EN: 0
; COMPUTE_PGM_RSRC2:TGID_Z_EN: 0
; COMPUTE_PGM_RSRC2:TIDIG_COMP_CNT: 0
; COMPUTE_PGM_RSRC3_GFX90A:ACCUM_OFFSET: 7
; COMPUTE_PGM_RSRC3_GFX90A:TG_SPLIT: 0
	.section	.text._ZN7rocprim17ROCPRIM_400000_NS6detail17trampoline_kernelINS0_14default_configENS1_20scan_config_selectorIxEEZZNS1_9scan_implILNS1_25lookback_scan_determinismE0ELb1ELb1ES3_N6thrust23THRUST_200600_302600_NS6detail15normal_iteratorINS9_10device_ptrIxEEEESE_xNS9_4plusIvEExEEDaPvRmT3_T4_T5_mT6_P12ihipStream_tbENKUlT_T0_E_clISt17integral_constantIbLb0EEST_IbLb1EEEEDaSP_SQ_EUlSP_E0_NS1_11comp_targetILNS1_3genE3ELNS1_11target_archE908ELNS1_3gpuE7ELNS1_3repE0EEENS1_30default_config_static_selectorELNS0_4arch9wavefront6targetE1EEEvT1_,"axG",@progbits,_ZN7rocprim17ROCPRIM_400000_NS6detail17trampoline_kernelINS0_14default_configENS1_20scan_config_selectorIxEEZZNS1_9scan_implILNS1_25lookback_scan_determinismE0ELb1ELb1ES3_N6thrust23THRUST_200600_302600_NS6detail15normal_iteratorINS9_10device_ptrIxEEEESE_xNS9_4plusIvEExEEDaPvRmT3_T4_T5_mT6_P12ihipStream_tbENKUlT_T0_E_clISt17integral_constantIbLb0EEST_IbLb1EEEEDaSP_SQ_EUlSP_E0_NS1_11comp_targetILNS1_3genE3ELNS1_11target_archE908ELNS1_3gpuE7ELNS1_3repE0EEENS1_30default_config_static_selectorELNS0_4arch9wavefront6targetE1EEEvT1_,comdat
	.protected	_ZN7rocprim17ROCPRIM_400000_NS6detail17trampoline_kernelINS0_14default_configENS1_20scan_config_selectorIxEEZZNS1_9scan_implILNS1_25lookback_scan_determinismE0ELb1ELb1ES3_N6thrust23THRUST_200600_302600_NS6detail15normal_iteratorINS9_10device_ptrIxEEEESE_xNS9_4plusIvEExEEDaPvRmT3_T4_T5_mT6_P12ihipStream_tbENKUlT_T0_E_clISt17integral_constantIbLb0EEST_IbLb1EEEEDaSP_SQ_EUlSP_E0_NS1_11comp_targetILNS1_3genE3ELNS1_11target_archE908ELNS1_3gpuE7ELNS1_3repE0EEENS1_30default_config_static_selectorELNS0_4arch9wavefront6targetE1EEEvT1_ ; -- Begin function _ZN7rocprim17ROCPRIM_400000_NS6detail17trampoline_kernelINS0_14default_configENS1_20scan_config_selectorIxEEZZNS1_9scan_implILNS1_25lookback_scan_determinismE0ELb1ELb1ES3_N6thrust23THRUST_200600_302600_NS6detail15normal_iteratorINS9_10device_ptrIxEEEESE_xNS9_4plusIvEExEEDaPvRmT3_T4_T5_mT6_P12ihipStream_tbENKUlT_T0_E_clISt17integral_constantIbLb0EEST_IbLb1EEEEDaSP_SQ_EUlSP_E0_NS1_11comp_targetILNS1_3genE3ELNS1_11target_archE908ELNS1_3gpuE7ELNS1_3repE0EEENS1_30default_config_static_selectorELNS0_4arch9wavefront6targetE1EEEvT1_
	.globl	_ZN7rocprim17ROCPRIM_400000_NS6detail17trampoline_kernelINS0_14default_configENS1_20scan_config_selectorIxEEZZNS1_9scan_implILNS1_25lookback_scan_determinismE0ELb1ELb1ES3_N6thrust23THRUST_200600_302600_NS6detail15normal_iteratorINS9_10device_ptrIxEEEESE_xNS9_4plusIvEExEEDaPvRmT3_T4_T5_mT6_P12ihipStream_tbENKUlT_T0_E_clISt17integral_constantIbLb0EEST_IbLb1EEEEDaSP_SQ_EUlSP_E0_NS1_11comp_targetILNS1_3genE3ELNS1_11target_archE908ELNS1_3gpuE7ELNS1_3repE0EEENS1_30default_config_static_selectorELNS0_4arch9wavefront6targetE1EEEvT1_
	.p2align	8
	.type	_ZN7rocprim17ROCPRIM_400000_NS6detail17trampoline_kernelINS0_14default_configENS1_20scan_config_selectorIxEEZZNS1_9scan_implILNS1_25lookback_scan_determinismE0ELb1ELb1ES3_N6thrust23THRUST_200600_302600_NS6detail15normal_iteratorINS9_10device_ptrIxEEEESE_xNS9_4plusIvEExEEDaPvRmT3_T4_T5_mT6_P12ihipStream_tbENKUlT_T0_E_clISt17integral_constantIbLb0EEST_IbLb1EEEEDaSP_SQ_EUlSP_E0_NS1_11comp_targetILNS1_3genE3ELNS1_11target_archE908ELNS1_3gpuE7ELNS1_3repE0EEENS1_30default_config_static_selectorELNS0_4arch9wavefront6targetE1EEEvT1_,@function
_ZN7rocprim17ROCPRIM_400000_NS6detail17trampoline_kernelINS0_14default_configENS1_20scan_config_selectorIxEEZZNS1_9scan_implILNS1_25lookback_scan_determinismE0ELb1ELb1ES3_N6thrust23THRUST_200600_302600_NS6detail15normal_iteratorINS9_10device_ptrIxEEEESE_xNS9_4plusIvEExEEDaPvRmT3_T4_T5_mT6_P12ihipStream_tbENKUlT_T0_E_clISt17integral_constantIbLb0EEST_IbLb1EEEEDaSP_SQ_EUlSP_E0_NS1_11comp_targetILNS1_3genE3ELNS1_11target_archE908ELNS1_3gpuE7ELNS1_3repE0EEENS1_30default_config_static_selectorELNS0_4arch9wavefront6targetE1EEEvT1_: ; @_ZN7rocprim17ROCPRIM_400000_NS6detail17trampoline_kernelINS0_14default_configENS1_20scan_config_selectorIxEEZZNS1_9scan_implILNS1_25lookback_scan_determinismE0ELb1ELb1ES3_N6thrust23THRUST_200600_302600_NS6detail15normal_iteratorINS9_10device_ptrIxEEEESE_xNS9_4plusIvEExEEDaPvRmT3_T4_T5_mT6_P12ihipStream_tbENKUlT_T0_E_clISt17integral_constantIbLb0EEST_IbLb1EEEEDaSP_SQ_EUlSP_E0_NS1_11comp_targetILNS1_3genE3ELNS1_11target_archE908ELNS1_3gpuE7ELNS1_3repE0EEENS1_30default_config_static_selectorELNS0_4arch9wavefront6targetE1EEEvT1_
; %bb.0:
	.section	.rodata,"a",@progbits
	.p2align	6, 0x0
	.amdhsa_kernel _ZN7rocprim17ROCPRIM_400000_NS6detail17trampoline_kernelINS0_14default_configENS1_20scan_config_selectorIxEEZZNS1_9scan_implILNS1_25lookback_scan_determinismE0ELb1ELb1ES3_N6thrust23THRUST_200600_302600_NS6detail15normal_iteratorINS9_10device_ptrIxEEEESE_xNS9_4plusIvEExEEDaPvRmT3_T4_T5_mT6_P12ihipStream_tbENKUlT_T0_E_clISt17integral_constantIbLb0EEST_IbLb1EEEEDaSP_SQ_EUlSP_E0_NS1_11comp_targetILNS1_3genE3ELNS1_11target_archE908ELNS1_3gpuE7ELNS1_3repE0EEENS1_30default_config_static_selectorELNS0_4arch9wavefront6targetE1EEEvT1_
		.amdhsa_group_segment_fixed_size 0
		.amdhsa_private_segment_fixed_size 0
		.amdhsa_kernarg_size 40
		.amdhsa_user_sgpr_count 6
		.amdhsa_user_sgpr_private_segment_buffer 1
		.amdhsa_user_sgpr_dispatch_ptr 0
		.amdhsa_user_sgpr_queue_ptr 0
		.amdhsa_user_sgpr_kernarg_segment_ptr 1
		.amdhsa_user_sgpr_dispatch_id 0
		.amdhsa_user_sgpr_flat_scratch_init 0
		.amdhsa_user_sgpr_kernarg_preload_length 0
		.amdhsa_user_sgpr_kernarg_preload_offset 0
		.amdhsa_user_sgpr_private_segment_size 0
		.amdhsa_uses_dynamic_stack 0
		.amdhsa_system_sgpr_private_segment_wavefront_offset 0
		.amdhsa_system_sgpr_workgroup_id_x 1
		.amdhsa_system_sgpr_workgroup_id_y 0
		.amdhsa_system_sgpr_workgroup_id_z 0
		.amdhsa_system_sgpr_workgroup_info 0
		.amdhsa_system_vgpr_workitem_id 0
		.amdhsa_next_free_vgpr 1
		.amdhsa_next_free_sgpr 0
		.amdhsa_accum_offset 4
		.amdhsa_reserve_vcc 0
		.amdhsa_reserve_flat_scratch 0
		.amdhsa_float_round_mode_32 0
		.amdhsa_float_round_mode_16_64 0
		.amdhsa_float_denorm_mode_32 3
		.amdhsa_float_denorm_mode_16_64 3
		.amdhsa_dx10_clamp 1
		.amdhsa_ieee_mode 1
		.amdhsa_fp16_overflow 0
		.amdhsa_tg_split 0
		.amdhsa_exception_fp_ieee_invalid_op 0
		.amdhsa_exception_fp_denorm_src 0
		.amdhsa_exception_fp_ieee_div_zero 0
		.amdhsa_exception_fp_ieee_overflow 0
		.amdhsa_exception_fp_ieee_underflow 0
		.amdhsa_exception_fp_ieee_inexact 0
		.amdhsa_exception_int_div_zero 0
	.end_amdhsa_kernel
	.section	.text._ZN7rocprim17ROCPRIM_400000_NS6detail17trampoline_kernelINS0_14default_configENS1_20scan_config_selectorIxEEZZNS1_9scan_implILNS1_25lookback_scan_determinismE0ELb1ELb1ES3_N6thrust23THRUST_200600_302600_NS6detail15normal_iteratorINS9_10device_ptrIxEEEESE_xNS9_4plusIvEExEEDaPvRmT3_T4_T5_mT6_P12ihipStream_tbENKUlT_T0_E_clISt17integral_constantIbLb0EEST_IbLb1EEEEDaSP_SQ_EUlSP_E0_NS1_11comp_targetILNS1_3genE3ELNS1_11target_archE908ELNS1_3gpuE7ELNS1_3repE0EEENS1_30default_config_static_selectorELNS0_4arch9wavefront6targetE1EEEvT1_,"axG",@progbits,_ZN7rocprim17ROCPRIM_400000_NS6detail17trampoline_kernelINS0_14default_configENS1_20scan_config_selectorIxEEZZNS1_9scan_implILNS1_25lookback_scan_determinismE0ELb1ELb1ES3_N6thrust23THRUST_200600_302600_NS6detail15normal_iteratorINS9_10device_ptrIxEEEESE_xNS9_4plusIvEExEEDaPvRmT3_T4_T5_mT6_P12ihipStream_tbENKUlT_T0_E_clISt17integral_constantIbLb0EEST_IbLb1EEEEDaSP_SQ_EUlSP_E0_NS1_11comp_targetILNS1_3genE3ELNS1_11target_archE908ELNS1_3gpuE7ELNS1_3repE0EEENS1_30default_config_static_selectorELNS0_4arch9wavefront6targetE1EEEvT1_,comdat
.Lfunc_end192:
	.size	_ZN7rocprim17ROCPRIM_400000_NS6detail17trampoline_kernelINS0_14default_configENS1_20scan_config_selectorIxEEZZNS1_9scan_implILNS1_25lookback_scan_determinismE0ELb1ELb1ES3_N6thrust23THRUST_200600_302600_NS6detail15normal_iteratorINS9_10device_ptrIxEEEESE_xNS9_4plusIvEExEEDaPvRmT3_T4_T5_mT6_P12ihipStream_tbENKUlT_T0_E_clISt17integral_constantIbLb0EEST_IbLb1EEEEDaSP_SQ_EUlSP_E0_NS1_11comp_targetILNS1_3genE3ELNS1_11target_archE908ELNS1_3gpuE7ELNS1_3repE0EEENS1_30default_config_static_selectorELNS0_4arch9wavefront6targetE1EEEvT1_, .Lfunc_end192-_ZN7rocprim17ROCPRIM_400000_NS6detail17trampoline_kernelINS0_14default_configENS1_20scan_config_selectorIxEEZZNS1_9scan_implILNS1_25lookback_scan_determinismE0ELb1ELb1ES3_N6thrust23THRUST_200600_302600_NS6detail15normal_iteratorINS9_10device_ptrIxEEEESE_xNS9_4plusIvEExEEDaPvRmT3_T4_T5_mT6_P12ihipStream_tbENKUlT_T0_E_clISt17integral_constantIbLb0EEST_IbLb1EEEEDaSP_SQ_EUlSP_E0_NS1_11comp_targetILNS1_3genE3ELNS1_11target_archE908ELNS1_3gpuE7ELNS1_3repE0EEENS1_30default_config_static_selectorELNS0_4arch9wavefront6targetE1EEEvT1_
                                        ; -- End function
	.section	.AMDGPU.csdata,"",@progbits
; Kernel info:
; codeLenInByte = 0
; NumSgprs: 4
; NumVgprs: 0
; NumAgprs: 0
; TotalNumVgprs: 0
; ScratchSize: 0
; MemoryBound: 0
; FloatMode: 240
; IeeeMode: 1
; LDSByteSize: 0 bytes/workgroup (compile time only)
; SGPRBlocks: 0
; VGPRBlocks: 0
; NumSGPRsForWavesPerEU: 4
; NumVGPRsForWavesPerEU: 1
; AccumOffset: 4
; Occupancy: 8
; WaveLimiterHint : 0
; COMPUTE_PGM_RSRC2:SCRATCH_EN: 0
; COMPUTE_PGM_RSRC2:USER_SGPR: 6
; COMPUTE_PGM_RSRC2:TRAP_HANDLER: 0
; COMPUTE_PGM_RSRC2:TGID_X_EN: 1
; COMPUTE_PGM_RSRC2:TGID_Y_EN: 0
; COMPUTE_PGM_RSRC2:TGID_Z_EN: 0
; COMPUTE_PGM_RSRC2:TIDIG_COMP_CNT: 0
; COMPUTE_PGM_RSRC3_GFX90A:ACCUM_OFFSET: 0
; COMPUTE_PGM_RSRC3_GFX90A:TG_SPLIT: 0
	.section	.text._ZN7rocprim17ROCPRIM_400000_NS6detail17trampoline_kernelINS0_14default_configENS1_20scan_config_selectorIxEEZZNS1_9scan_implILNS1_25lookback_scan_determinismE0ELb1ELb1ES3_N6thrust23THRUST_200600_302600_NS6detail15normal_iteratorINS9_10device_ptrIxEEEESE_xNS9_4plusIvEExEEDaPvRmT3_T4_T5_mT6_P12ihipStream_tbENKUlT_T0_E_clISt17integral_constantIbLb0EEST_IbLb1EEEEDaSP_SQ_EUlSP_E0_NS1_11comp_targetILNS1_3genE2ELNS1_11target_archE906ELNS1_3gpuE6ELNS1_3repE0EEENS1_30default_config_static_selectorELNS0_4arch9wavefront6targetE1EEEvT1_,"axG",@progbits,_ZN7rocprim17ROCPRIM_400000_NS6detail17trampoline_kernelINS0_14default_configENS1_20scan_config_selectorIxEEZZNS1_9scan_implILNS1_25lookback_scan_determinismE0ELb1ELb1ES3_N6thrust23THRUST_200600_302600_NS6detail15normal_iteratorINS9_10device_ptrIxEEEESE_xNS9_4plusIvEExEEDaPvRmT3_T4_T5_mT6_P12ihipStream_tbENKUlT_T0_E_clISt17integral_constantIbLb0EEST_IbLb1EEEEDaSP_SQ_EUlSP_E0_NS1_11comp_targetILNS1_3genE2ELNS1_11target_archE906ELNS1_3gpuE6ELNS1_3repE0EEENS1_30default_config_static_selectorELNS0_4arch9wavefront6targetE1EEEvT1_,comdat
	.protected	_ZN7rocprim17ROCPRIM_400000_NS6detail17trampoline_kernelINS0_14default_configENS1_20scan_config_selectorIxEEZZNS1_9scan_implILNS1_25lookback_scan_determinismE0ELb1ELb1ES3_N6thrust23THRUST_200600_302600_NS6detail15normal_iteratorINS9_10device_ptrIxEEEESE_xNS9_4plusIvEExEEDaPvRmT3_T4_T5_mT6_P12ihipStream_tbENKUlT_T0_E_clISt17integral_constantIbLb0EEST_IbLb1EEEEDaSP_SQ_EUlSP_E0_NS1_11comp_targetILNS1_3genE2ELNS1_11target_archE906ELNS1_3gpuE6ELNS1_3repE0EEENS1_30default_config_static_selectorELNS0_4arch9wavefront6targetE1EEEvT1_ ; -- Begin function _ZN7rocprim17ROCPRIM_400000_NS6detail17trampoline_kernelINS0_14default_configENS1_20scan_config_selectorIxEEZZNS1_9scan_implILNS1_25lookback_scan_determinismE0ELb1ELb1ES3_N6thrust23THRUST_200600_302600_NS6detail15normal_iteratorINS9_10device_ptrIxEEEESE_xNS9_4plusIvEExEEDaPvRmT3_T4_T5_mT6_P12ihipStream_tbENKUlT_T0_E_clISt17integral_constantIbLb0EEST_IbLb1EEEEDaSP_SQ_EUlSP_E0_NS1_11comp_targetILNS1_3genE2ELNS1_11target_archE906ELNS1_3gpuE6ELNS1_3repE0EEENS1_30default_config_static_selectorELNS0_4arch9wavefront6targetE1EEEvT1_
	.globl	_ZN7rocprim17ROCPRIM_400000_NS6detail17trampoline_kernelINS0_14default_configENS1_20scan_config_selectorIxEEZZNS1_9scan_implILNS1_25lookback_scan_determinismE0ELb1ELb1ES3_N6thrust23THRUST_200600_302600_NS6detail15normal_iteratorINS9_10device_ptrIxEEEESE_xNS9_4plusIvEExEEDaPvRmT3_T4_T5_mT6_P12ihipStream_tbENKUlT_T0_E_clISt17integral_constantIbLb0EEST_IbLb1EEEEDaSP_SQ_EUlSP_E0_NS1_11comp_targetILNS1_3genE2ELNS1_11target_archE906ELNS1_3gpuE6ELNS1_3repE0EEENS1_30default_config_static_selectorELNS0_4arch9wavefront6targetE1EEEvT1_
	.p2align	8
	.type	_ZN7rocprim17ROCPRIM_400000_NS6detail17trampoline_kernelINS0_14default_configENS1_20scan_config_selectorIxEEZZNS1_9scan_implILNS1_25lookback_scan_determinismE0ELb1ELb1ES3_N6thrust23THRUST_200600_302600_NS6detail15normal_iteratorINS9_10device_ptrIxEEEESE_xNS9_4plusIvEExEEDaPvRmT3_T4_T5_mT6_P12ihipStream_tbENKUlT_T0_E_clISt17integral_constantIbLb0EEST_IbLb1EEEEDaSP_SQ_EUlSP_E0_NS1_11comp_targetILNS1_3genE2ELNS1_11target_archE906ELNS1_3gpuE6ELNS1_3repE0EEENS1_30default_config_static_selectorELNS0_4arch9wavefront6targetE1EEEvT1_,@function
_ZN7rocprim17ROCPRIM_400000_NS6detail17trampoline_kernelINS0_14default_configENS1_20scan_config_selectorIxEEZZNS1_9scan_implILNS1_25lookback_scan_determinismE0ELb1ELb1ES3_N6thrust23THRUST_200600_302600_NS6detail15normal_iteratorINS9_10device_ptrIxEEEESE_xNS9_4plusIvEExEEDaPvRmT3_T4_T5_mT6_P12ihipStream_tbENKUlT_T0_E_clISt17integral_constantIbLb0EEST_IbLb1EEEEDaSP_SQ_EUlSP_E0_NS1_11comp_targetILNS1_3genE2ELNS1_11target_archE906ELNS1_3gpuE6ELNS1_3repE0EEENS1_30default_config_static_selectorELNS0_4arch9wavefront6targetE1EEEvT1_: ; @_ZN7rocprim17ROCPRIM_400000_NS6detail17trampoline_kernelINS0_14default_configENS1_20scan_config_selectorIxEEZZNS1_9scan_implILNS1_25lookback_scan_determinismE0ELb1ELb1ES3_N6thrust23THRUST_200600_302600_NS6detail15normal_iteratorINS9_10device_ptrIxEEEESE_xNS9_4plusIvEExEEDaPvRmT3_T4_T5_mT6_P12ihipStream_tbENKUlT_T0_E_clISt17integral_constantIbLb0EEST_IbLb1EEEEDaSP_SQ_EUlSP_E0_NS1_11comp_targetILNS1_3genE2ELNS1_11target_archE906ELNS1_3gpuE6ELNS1_3repE0EEENS1_30default_config_static_selectorELNS0_4arch9wavefront6targetE1EEEvT1_
; %bb.0:
	.section	.rodata,"a",@progbits
	.p2align	6, 0x0
	.amdhsa_kernel _ZN7rocprim17ROCPRIM_400000_NS6detail17trampoline_kernelINS0_14default_configENS1_20scan_config_selectorIxEEZZNS1_9scan_implILNS1_25lookback_scan_determinismE0ELb1ELb1ES3_N6thrust23THRUST_200600_302600_NS6detail15normal_iteratorINS9_10device_ptrIxEEEESE_xNS9_4plusIvEExEEDaPvRmT3_T4_T5_mT6_P12ihipStream_tbENKUlT_T0_E_clISt17integral_constantIbLb0EEST_IbLb1EEEEDaSP_SQ_EUlSP_E0_NS1_11comp_targetILNS1_3genE2ELNS1_11target_archE906ELNS1_3gpuE6ELNS1_3repE0EEENS1_30default_config_static_selectorELNS0_4arch9wavefront6targetE1EEEvT1_
		.amdhsa_group_segment_fixed_size 0
		.amdhsa_private_segment_fixed_size 0
		.amdhsa_kernarg_size 40
		.amdhsa_user_sgpr_count 6
		.amdhsa_user_sgpr_private_segment_buffer 1
		.amdhsa_user_sgpr_dispatch_ptr 0
		.amdhsa_user_sgpr_queue_ptr 0
		.amdhsa_user_sgpr_kernarg_segment_ptr 1
		.amdhsa_user_sgpr_dispatch_id 0
		.amdhsa_user_sgpr_flat_scratch_init 0
		.amdhsa_user_sgpr_kernarg_preload_length 0
		.amdhsa_user_sgpr_kernarg_preload_offset 0
		.amdhsa_user_sgpr_private_segment_size 0
		.amdhsa_uses_dynamic_stack 0
		.amdhsa_system_sgpr_private_segment_wavefront_offset 0
		.amdhsa_system_sgpr_workgroup_id_x 1
		.amdhsa_system_sgpr_workgroup_id_y 0
		.amdhsa_system_sgpr_workgroup_id_z 0
		.amdhsa_system_sgpr_workgroup_info 0
		.amdhsa_system_vgpr_workitem_id 0
		.amdhsa_next_free_vgpr 1
		.amdhsa_next_free_sgpr 0
		.amdhsa_accum_offset 4
		.amdhsa_reserve_vcc 0
		.amdhsa_reserve_flat_scratch 0
		.amdhsa_float_round_mode_32 0
		.amdhsa_float_round_mode_16_64 0
		.amdhsa_float_denorm_mode_32 3
		.amdhsa_float_denorm_mode_16_64 3
		.amdhsa_dx10_clamp 1
		.amdhsa_ieee_mode 1
		.amdhsa_fp16_overflow 0
		.amdhsa_tg_split 0
		.amdhsa_exception_fp_ieee_invalid_op 0
		.amdhsa_exception_fp_denorm_src 0
		.amdhsa_exception_fp_ieee_div_zero 0
		.amdhsa_exception_fp_ieee_overflow 0
		.amdhsa_exception_fp_ieee_underflow 0
		.amdhsa_exception_fp_ieee_inexact 0
		.amdhsa_exception_int_div_zero 0
	.end_amdhsa_kernel
	.section	.text._ZN7rocprim17ROCPRIM_400000_NS6detail17trampoline_kernelINS0_14default_configENS1_20scan_config_selectorIxEEZZNS1_9scan_implILNS1_25lookback_scan_determinismE0ELb1ELb1ES3_N6thrust23THRUST_200600_302600_NS6detail15normal_iteratorINS9_10device_ptrIxEEEESE_xNS9_4plusIvEExEEDaPvRmT3_T4_T5_mT6_P12ihipStream_tbENKUlT_T0_E_clISt17integral_constantIbLb0EEST_IbLb1EEEEDaSP_SQ_EUlSP_E0_NS1_11comp_targetILNS1_3genE2ELNS1_11target_archE906ELNS1_3gpuE6ELNS1_3repE0EEENS1_30default_config_static_selectorELNS0_4arch9wavefront6targetE1EEEvT1_,"axG",@progbits,_ZN7rocprim17ROCPRIM_400000_NS6detail17trampoline_kernelINS0_14default_configENS1_20scan_config_selectorIxEEZZNS1_9scan_implILNS1_25lookback_scan_determinismE0ELb1ELb1ES3_N6thrust23THRUST_200600_302600_NS6detail15normal_iteratorINS9_10device_ptrIxEEEESE_xNS9_4plusIvEExEEDaPvRmT3_T4_T5_mT6_P12ihipStream_tbENKUlT_T0_E_clISt17integral_constantIbLb0EEST_IbLb1EEEEDaSP_SQ_EUlSP_E0_NS1_11comp_targetILNS1_3genE2ELNS1_11target_archE906ELNS1_3gpuE6ELNS1_3repE0EEENS1_30default_config_static_selectorELNS0_4arch9wavefront6targetE1EEEvT1_,comdat
.Lfunc_end193:
	.size	_ZN7rocprim17ROCPRIM_400000_NS6detail17trampoline_kernelINS0_14default_configENS1_20scan_config_selectorIxEEZZNS1_9scan_implILNS1_25lookback_scan_determinismE0ELb1ELb1ES3_N6thrust23THRUST_200600_302600_NS6detail15normal_iteratorINS9_10device_ptrIxEEEESE_xNS9_4plusIvEExEEDaPvRmT3_T4_T5_mT6_P12ihipStream_tbENKUlT_T0_E_clISt17integral_constantIbLb0EEST_IbLb1EEEEDaSP_SQ_EUlSP_E0_NS1_11comp_targetILNS1_3genE2ELNS1_11target_archE906ELNS1_3gpuE6ELNS1_3repE0EEENS1_30default_config_static_selectorELNS0_4arch9wavefront6targetE1EEEvT1_, .Lfunc_end193-_ZN7rocprim17ROCPRIM_400000_NS6detail17trampoline_kernelINS0_14default_configENS1_20scan_config_selectorIxEEZZNS1_9scan_implILNS1_25lookback_scan_determinismE0ELb1ELb1ES3_N6thrust23THRUST_200600_302600_NS6detail15normal_iteratorINS9_10device_ptrIxEEEESE_xNS9_4plusIvEExEEDaPvRmT3_T4_T5_mT6_P12ihipStream_tbENKUlT_T0_E_clISt17integral_constantIbLb0EEST_IbLb1EEEEDaSP_SQ_EUlSP_E0_NS1_11comp_targetILNS1_3genE2ELNS1_11target_archE906ELNS1_3gpuE6ELNS1_3repE0EEENS1_30default_config_static_selectorELNS0_4arch9wavefront6targetE1EEEvT1_
                                        ; -- End function
	.section	.AMDGPU.csdata,"",@progbits
; Kernel info:
; codeLenInByte = 0
; NumSgprs: 4
; NumVgprs: 0
; NumAgprs: 0
; TotalNumVgprs: 0
; ScratchSize: 0
; MemoryBound: 0
; FloatMode: 240
; IeeeMode: 1
; LDSByteSize: 0 bytes/workgroup (compile time only)
; SGPRBlocks: 0
; VGPRBlocks: 0
; NumSGPRsForWavesPerEU: 4
; NumVGPRsForWavesPerEU: 1
; AccumOffset: 4
; Occupancy: 8
; WaveLimiterHint : 0
; COMPUTE_PGM_RSRC2:SCRATCH_EN: 0
; COMPUTE_PGM_RSRC2:USER_SGPR: 6
; COMPUTE_PGM_RSRC2:TRAP_HANDLER: 0
; COMPUTE_PGM_RSRC2:TGID_X_EN: 1
; COMPUTE_PGM_RSRC2:TGID_Y_EN: 0
; COMPUTE_PGM_RSRC2:TGID_Z_EN: 0
; COMPUTE_PGM_RSRC2:TIDIG_COMP_CNT: 0
; COMPUTE_PGM_RSRC3_GFX90A:ACCUM_OFFSET: 0
; COMPUTE_PGM_RSRC3_GFX90A:TG_SPLIT: 0
	.section	.text._ZN7rocprim17ROCPRIM_400000_NS6detail17trampoline_kernelINS0_14default_configENS1_20scan_config_selectorIxEEZZNS1_9scan_implILNS1_25lookback_scan_determinismE0ELb1ELb1ES3_N6thrust23THRUST_200600_302600_NS6detail15normal_iteratorINS9_10device_ptrIxEEEESE_xNS9_4plusIvEExEEDaPvRmT3_T4_T5_mT6_P12ihipStream_tbENKUlT_T0_E_clISt17integral_constantIbLb0EEST_IbLb1EEEEDaSP_SQ_EUlSP_E0_NS1_11comp_targetILNS1_3genE10ELNS1_11target_archE1201ELNS1_3gpuE5ELNS1_3repE0EEENS1_30default_config_static_selectorELNS0_4arch9wavefront6targetE1EEEvT1_,"axG",@progbits,_ZN7rocprim17ROCPRIM_400000_NS6detail17trampoline_kernelINS0_14default_configENS1_20scan_config_selectorIxEEZZNS1_9scan_implILNS1_25lookback_scan_determinismE0ELb1ELb1ES3_N6thrust23THRUST_200600_302600_NS6detail15normal_iteratorINS9_10device_ptrIxEEEESE_xNS9_4plusIvEExEEDaPvRmT3_T4_T5_mT6_P12ihipStream_tbENKUlT_T0_E_clISt17integral_constantIbLb0EEST_IbLb1EEEEDaSP_SQ_EUlSP_E0_NS1_11comp_targetILNS1_3genE10ELNS1_11target_archE1201ELNS1_3gpuE5ELNS1_3repE0EEENS1_30default_config_static_selectorELNS0_4arch9wavefront6targetE1EEEvT1_,comdat
	.protected	_ZN7rocprim17ROCPRIM_400000_NS6detail17trampoline_kernelINS0_14default_configENS1_20scan_config_selectorIxEEZZNS1_9scan_implILNS1_25lookback_scan_determinismE0ELb1ELb1ES3_N6thrust23THRUST_200600_302600_NS6detail15normal_iteratorINS9_10device_ptrIxEEEESE_xNS9_4plusIvEExEEDaPvRmT3_T4_T5_mT6_P12ihipStream_tbENKUlT_T0_E_clISt17integral_constantIbLb0EEST_IbLb1EEEEDaSP_SQ_EUlSP_E0_NS1_11comp_targetILNS1_3genE10ELNS1_11target_archE1201ELNS1_3gpuE5ELNS1_3repE0EEENS1_30default_config_static_selectorELNS0_4arch9wavefront6targetE1EEEvT1_ ; -- Begin function _ZN7rocprim17ROCPRIM_400000_NS6detail17trampoline_kernelINS0_14default_configENS1_20scan_config_selectorIxEEZZNS1_9scan_implILNS1_25lookback_scan_determinismE0ELb1ELb1ES3_N6thrust23THRUST_200600_302600_NS6detail15normal_iteratorINS9_10device_ptrIxEEEESE_xNS9_4plusIvEExEEDaPvRmT3_T4_T5_mT6_P12ihipStream_tbENKUlT_T0_E_clISt17integral_constantIbLb0EEST_IbLb1EEEEDaSP_SQ_EUlSP_E0_NS1_11comp_targetILNS1_3genE10ELNS1_11target_archE1201ELNS1_3gpuE5ELNS1_3repE0EEENS1_30default_config_static_selectorELNS0_4arch9wavefront6targetE1EEEvT1_
	.globl	_ZN7rocprim17ROCPRIM_400000_NS6detail17trampoline_kernelINS0_14default_configENS1_20scan_config_selectorIxEEZZNS1_9scan_implILNS1_25lookback_scan_determinismE0ELb1ELb1ES3_N6thrust23THRUST_200600_302600_NS6detail15normal_iteratorINS9_10device_ptrIxEEEESE_xNS9_4plusIvEExEEDaPvRmT3_T4_T5_mT6_P12ihipStream_tbENKUlT_T0_E_clISt17integral_constantIbLb0EEST_IbLb1EEEEDaSP_SQ_EUlSP_E0_NS1_11comp_targetILNS1_3genE10ELNS1_11target_archE1201ELNS1_3gpuE5ELNS1_3repE0EEENS1_30default_config_static_selectorELNS0_4arch9wavefront6targetE1EEEvT1_
	.p2align	8
	.type	_ZN7rocprim17ROCPRIM_400000_NS6detail17trampoline_kernelINS0_14default_configENS1_20scan_config_selectorIxEEZZNS1_9scan_implILNS1_25lookback_scan_determinismE0ELb1ELb1ES3_N6thrust23THRUST_200600_302600_NS6detail15normal_iteratorINS9_10device_ptrIxEEEESE_xNS9_4plusIvEExEEDaPvRmT3_T4_T5_mT6_P12ihipStream_tbENKUlT_T0_E_clISt17integral_constantIbLb0EEST_IbLb1EEEEDaSP_SQ_EUlSP_E0_NS1_11comp_targetILNS1_3genE10ELNS1_11target_archE1201ELNS1_3gpuE5ELNS1_3repE0EEENS1_30default_config_static_selectorELNS0_4arch9wavefront6targetE1EEEvT1_,@function
_ZN7rocprim17ROCPRIM_400000_NS6detail17trampoline_kernelINS0_14default_configENS1_20scan_config_selectorIxEEZZNS1_9scan_implILNS1_25lookback_scan_determinismE0ELb1ELb1ES3_N6thrust23THRUST_200600_302600_NS6detail15normal_iteratorINS9_10device_ptrIxEEEESE_xNS9_4plusIvEExEEDaPvRmT3_T4_T5_mT6_P12ihipStream_tbENKUlT_T0_E_clISt17integral_constantIbLb0EEST_IbLb1EEEEDaSP_SQ_EUlSP_E0_NS1_11comp_targetILNS1_3genE10ELNS1_11target_archE1201ELNS1_3gpuE5ELNS1_3repE0EEENS1_30default_config_static_selectorELNS0_4arch9wavefront6targetE1EEEvT1_: ; @_ZN7rocprim17ROCPRIM_400000_NS6detail17trampoline_kernelINS0_14default_configENS1_20scan_config_selectorIxEEZZNS1_9scan_implILNS1_25lookback_scan_determinismE0ELb1ELb1ES3_N6thrust23THRUST_200600_302600_NS6detail15normal_iteratorINS9_10device_ptrIxEEEESE_xNS9_4plusIvEExEEDaPvRmT3_T4_T5_mT6_P12ihipStream_tbENKUlT_T0_E_clISt17integral_constantIbLb0EEST_IbLb1EEEEDaSP_SQ_EUlSP_E0_NS1_11comp_targetILNS1_3genE10ELNS1_11target_archE1201ELNS1_3gpuE5ELNS1_3repE0EEENS1_30default_config_static_selectorELNS0_4arch9wavefront6targetE1EEEvT1_
; %bb.0:
	.section	.rodata,"a",@progbits
	.p2align	6, 0x0
	.amdhsa_kernel _ZN7rocprim17ROCPRIM_400000_NS6detail17trampoline_kernelINS0_14default_configENS1_20scan_config_selectorIxEEZZNS1_9scan_implILNS1_25lookback_scan_determinismE0ELb1ELb1ES3_N6thrust23THRUST_200600_302600_NS6detail15normal_iteratorINS9_10device_ptrIxEEEESE_xNS9_4plusIvEExEEDaPvRmT3_T4_T5_mT6_P12ihipStream_tbENKUlT_T0_E_clISt17integral_constantIbLb0EEST_IbLb1EEEEDaSP_SQ_EUlSP_E0_NS1_11comp_targetILNS1_3genE10ELNS1_11target_archE1201ELNS1_3gpuE5ELNS1_3repE0EEENS1_30default_config_static_selectorELNS0_4arch9wavefront6targetE1EEEvT1_
		.amdhsa_group_segment_fixed_size 0
		.amdhsa_private_segment_fixed_size 0
		.amdhsa_kernarg_size 40
		.amdhsa_user_sgpr_count 6
		.amdhsa_user_sgpr_private_segment_buffer 1
		.amdhsa_user_sgpr_dispatch_ptr 0
		.amdhsa_user_sgpr_queue_ptr 0
		.amdhsa_user_sgpr_kernarg_segment_ptr 1
		.amdhsa_user_sgpr_dispatch_id 0
		.amdhsa_user_sgpr_flat_scratch_init 0
		.amdhsa_user_sgpr_kernarg_preload_length 0
		.amdhsa_user_sgpr_kernarg_preload_offset 0
		.amdhsa_user_sgpr_private_segment_size 0
		.amdhsa_uses_dynamic_stack 0
		.amdhsa_system_sgpr_private_segment_wavefront_offset 0
		.amdhsa_system_sgpr_workgroup_id_x 1
		.amdhsa_system_sgpr_workgroup_id_y 0
		.amdhsa_system_sgpr_workgroup_id_z 0
		.amdhsa_system_sgpr_workgroup_info 0
		.amdhsa_system_vgpr_workitem_id 0
		.amdhsa_next_free_vgpr 1
		.amdhsa_next_free_sgpr 0
		.amdhsa_accum_offset 4
		.amdhsa_reserve_vcc 0
		.amdhsa_reserve_flat_scratch 0
		.amdhsa_float_round_mode_32 0
		.amdhsa_float_round_mode_16_64 0
		.amdhsa_float_denorm_mode_32 3
		.amdhsa_float_denorm_mode_16_64 3
		.amdhsa_dx10_clamp 1
		.amdhsa_ieee_mode 1
		.amdhsa_fp16_overflow 0
		.amdhsa_tg_split 0
		.amdhsa_exception_fp_ieee_invalid_op 0
		.amdhsa_exception_fp_denorm_src 0
		.amdhsa_exception_fp_ieee_div_zero 0
		.amdhsa_exception_fp_ieee_overflow 0
		.amdhsa_exception_fp_ieee_underflow 0
		.amdhsa_exception_fp_ieee_inexact 0
		.amdhsa_exception_int_div_zero 0
	.end_amdhsa_kernel
	.section	.text._ZN7rocprim17ROCPRIM_400000_NS6detail17trampoline_kernelINS0_14default_configENS1_20scan_config_selectorIxEEZZNS1_9scan_implILNS1_25lookback_scan_determinismE0ELb1ELb1ES3_N6thrust23THRUST_200600_302600_NS6detail15normal_iteratorINS9_10device_ptrIxEEEESE_xNS9_4plusIvEExEEDaPvRmT3_T4_T5_mT6_P12ihipStream_tbENKUlT_T0_E_clISt17integral_constantIbLb0EEST_IbLb1EEEEDaSP_SQ_EUlSP_E0_NS1_11comp_targetILNS1_3genE10ELNS1_11target_archE1201ELNS1_3gpuE5ELNS1_3repE0EEENS1_30default_config_static_selectorELNS0_4arch9wavefront6targetE1EEEvT1_,"axG",@progbits,_ZN7rocprim17ROCPRIM_400000_NS6detail17trampoline_kernelINS0_14default_configENS1_20scan_config_selectorIxEEZZNS1_9scan_implILNS1_25lookback_scan_determinismE0ELb1ELb1ES3_N6thrust23THRUST_200600_302600_NS6detail15normal_iteratorINS9_10device_ptrIxEEEESE_xNS9_4plusIvEExEEDaPvRmT3_T4_T5_mT6_P12ihipStream_tbENKUlT_T0_E_clISt17integral_constantIbLb0EEST_IbLb1EEEEDaSP_SQ_EUlSP_E0_NS1_11comp_targetILNS1_3genE10ELNS1_11target_archE1201ELNS1_3gpuE5ELNS1_3repE0EEENS1_30default_config_static_selectorELNS0_4arch9wavefront6targetE1EEEvT1_,comdat
.Lfunc_end194:
	.size	_ZN7rocprim17ROCPRIM_400000_NS6detail17trampoline_kernelINS0_14default_configENS1_20scan_config_selectorIxEEZZNS1_9scan_implILNS1_25lookback_scan_determinismE0ELb1ELb1ES3_N6thrust23THRUST_200600_302600_NS6detail15normal_iteratorINS9_10device_ptrIxEEEESE_xNS9_4plusIvEExEEDaPvRmT3_T4_T5_mT6_P12ihipStream_tbENKUlT_T0_E_clISt17integral_constantIbLb0EEST_IbLb1EEEEDaSP_SQ_EUlSP_E0_NS1_11comp_targetILNS1_3genE10ELNS1_11target_archE1201ELNS1_3gpuE5ELNS1_3repE0EEENS1_30default_config_static_selectorELNS0_4arch9wavefront6targetE1EEEvT1_, .Lfunc_end194-_ZN7rocprim17ROCPRIM_400000_NS6detail17trampoline_kernelINS0_14default_configENS1_20scan_config_selectorIxEEZZNS1_9scan_implILNS1_25lookback_scan_determinismE0ELb1ELb1ES3_N6thrust23THRUST_200600_302600_NS6detail15normal_iteratorINS9_10device_ptrIxEEEESE_xNS9_4plusIvEExEEDaPvRmT3_T4_T5_mT6_P12ihipStream_tbENKUlT_T0_E_clISt17integral_constantIbLb0EEST_IbLb1EEEEDaSP_SQ_EUlSP_E0_NS1_11comp_targetILNS1_3genE10ELNS1_11target_archE1201ELNS1_3gpuE5ELNS1_3repE0EEENS1_30default_config_static_selectorELNS0_4arch9wavefront6targetE1EEEvT1_
                                        ; -- End function
	.section	.AMDGPU.csdata,"",@progbits
; Kernel info:
; codeLenInByte = 0
; NumSgprs: 4
; NumVgprs: 0
; NumAgprs: 0
; TotalNumVgprs: 0
; ScratchSize: 0
; MemoryBound: 0
; FloatMode: 240
; IeeeMode: 1
; LDSByteSize: 0 bytes/workgroup (compile time only)
; SGPRBlocks: 0
; VGPRBlocks: 0
; NumSGPRsForWavesPerEU: 4
; NumVGPRsForWavesPerEU: 1
; AccumOffset: 4
; Occupancy: 8
; WaveLimiterHint : 0
; COMPUTE_PGM_RSRC2:SCRATCH_EN: 0
; COMPUTE_PGM_RSRC2:USER_SGPR: 6
; COMPUTE_PGM_RSRC2:TRAP_HANDLER: 0
; COMPUTE_PGM_RSRC2:TGID_X_EN: 1
; COMPUTE_PGM_RSRC2:TGID_Y_EN: 0
; COMPUTE_PGM_RSRC2:TGID_Z_EN: 0
; COMPUTE_PGM_RSRC2:TIDIG_COMP_CNT: 0
; COMPUTE_PGM_RSRC3_GFX90A:ACCUM_OFFSET: 0
; COMPUTE_PGM_RSRC3_GFX90A:TG_SPLIT: 0
	.section	.text._ZN7rocprim17ROCPRIM_400000_NS6detail17trampoline_kernelINS0_14default_configENS1_20scan_config_selectorIxEEZZNS1_9scan_implILNS1_25lookback_scan_determinismE0ELb1ELb1ES3_N6thrust23THRUST_200600_302600_NS6detail15normal_iteratorINS9_10device_ptrIxEEEESE_xNS9_4plusIvEExEEDaPvRmT3_T4_T5_mT6_P12ihipStream_tbENKUlT_T0_E_clISt17integral_constantIbLb0EEST_IbLb1EEEEDaSP_SQ_EUlSP_E0_NS1_11comp_targetILNS1_3genE10ELNS1_11target_archE1200ELNS1_3gpuE4ELNS1_3repE0EEENS1_30default_config_static_selectorELNS0_4arch9wavefront6targetE1EEEvT1_,"axG",@progbits,_ZN7rocprim17ROCPRIM_400000_NS6detail17trampoline_kernelINS0_14default_configENS1_20scan_config_selectorIxEEZZNS1_9scan_implILNS1_25lookback_scan_determinismE0ELb1ELb1ES3_N6thrust23THRUST_200600_302600_NS6detail15normal_iteratorINS9_10device_ptrIxEEEESE_xNS9_4plusIvEExEEDaPvRmT3_T4_T5_mT6_P12ihipStream_tbENKUlT_T0_E_clISt17integral_constantIbLb0EEST_IbLb1EEEEDaSP_SQ_EUlSP_E0_NS1_11comp_targetILNS1_3genE10ELNS1_11target_archE1200ELNS1_3gpuE4ELNS1_3repE0EEENS1_30default_config_static_selectorELNS0_4arch9wavefront6targetE1EEEvT1_,comdat
	.protected	_ZN7rocprim17ROCPRIM_400000_NS6detail17trampoline_kernelINS0_14default_configENS1_20scan_config_selectorIxEEZZNS1_9scan_implILNS1_25lookback_scan_determinismE0ELb1ELb1ES3_N6thrust23THRUST_200600_302600_NS6detail15normal_iteratorINS9_10device_ptrIxEEEESE_xNS9_4plusIvEExEEDaPvRmT3_T4_T5_mT6_P12ihipStream_tbENKUlT_T0_E_clISt17integral_constantIbLb0EEST_IbLb1EEEEDaSP_SQ_EUlSP_E0_NS1_11comp_targetILNS1_3genE10ELNS1_11target_archE1200ELNS1_3gpuE4ELNS1_3repE0EEENS1_30default_config_static_selectorELNS0_4arch9wavefront6targetE1EEEvT1_ ; -- Begin function _ZN7rocprim17ROCPRIM_400000_NS6detail17trampoline_kernelINS0_14default_configENS1_20scan_config_selectorIxEEZZNS1_9scan_implILNS1_25lookback_scan_determinismE0ELb1ELb1ES3_N6thrust23THRUST_200600_302600_NS6detail15normal_iteratorINS9_10device_ptrIxEEEESE_xNS9_4plusIvEExEEDaPvRmT3_T4_T5_mT6_P12ihipStream_tbENKUlT_T0_E_clISt17integral_constantIbLb0EEST_IbLb1EEEEDaSP_SQ_EUlSP_E0_NS1_11comp_targetILNS1_3genE10ELNS1_11target_archE1200ELNS1_3gpuE4ELNS1_3repE0EEENS1_30default_config_static_selectorELNS0_4arch9wavefront6targetE1EEEvT1_
	.globl	_ZN7rocprim17ROCPRIM_400000_NS6detail17trampoline_kernelINS0_14default_configENS1_20scan_config_selectorIxEEZZNS1_9scan_implILNS1_25lookback_scan_determinismE0ELb1ELb1ES3_N6thrust23THRUST_200600_302600_NS6detail15normal_iteratorINS9_10device_ptrIxEEEESE_xNS9_4plusIvEExEEDaPvRmT3_T4_T5_mT6_P12ihipStream_tbENKUlT_T0_E_clISt17integral_constantIbLb0EEST_IbLb1EEEEDaSP_SQ_EUlSP_E0_NS1_11comp_targetILNS1_3genE10ELNS1_11target_archE1200ELNS1_3gpuE4ELNS1_3repE0EEENS1_30default_config_static_selectorELNS0_4arch9wavefront6targetE1EEEvT1_
	.p2align	8
	.type	_ZN7rocprim17ROCPRIM_400000_NS6detail17trampoline_kernelINS0_14default_configENS1_20scan_config_selectorIxEEZZNS1_9scan_implILNS1_25lookback_scan_determinismE0ELb1ELb1ES3_N6thrust23THRUST_200600_302600_NS6detail15normal_iteratorINS9_10device_ptrIxEEEESE_xNS9_4plusIvEExEEDaPvRmT3_T4_T5_mT6_P12ihipStream_tbENKUlT_T0_E_clISt17integral_constantIbLb0EEST_IbLb1EEEEDaSP_SQ_EUlSP_E0_NS1_11comp_targetILNS1_3genE10ELNS1_11target_archE1200ELNS1_3gpuE4ELNS1_3repE0EEENS1_30default_config_static_selectorELNS0_4arch9wavefront6targetE1EEEvT1_,@function
_ZN7rocprim17ROCPRIM_400000_NS6detail17trampoline_kernelINS0_14default_configENS1_20scan_config_selectorIxEEZZNS1_9scan_implILNS1_25lookback_scan_determinismE0ELb1ELb1ES3_N6thrust23THRUST_200600_302600_NS6detail15normal_iteratorINS9_10device_ptrIxEEEESE_xNS9_4plusIvEExEEDaPvRmT3_T4_T5_mT6_P12ihipStream_tbENKUlT_T0_E_clISt17integral_constantIbLb0EEST_IbLb1EEEEDaSP_SQ_EUlSP_E0_NS1_11comp_targetILNS1_3genE10ELNS1_11target_archE1200ELNS1_3gpuE4ELNS1_3repE0EEENS1_30default_config_static_selectorELNS0_4arch9wavefront6targetE1EEEvT1_: ; @_ZN7rocprim17ROCPRIM_400000_NS6detail17trampoline_kernelINS0_14default_configENS1_20scan_config_selectorIxEEZZNS1_9scan_implILNS1_25lookback_scan_determinismE0ELb1ELb1ES3_N6thrust23THRUST_200600_302600_NS6detail15normal_iteratorINS9_10device_ptrIxEEEESE_xNS9_4plusIvEExEEDaPvRmT3_T4_T5_mT6_P12ihipStream_tbENKUlT_T0_E_clISt17integral_constantIbLb0EEST_IbLb1EEEEDaSP_SQ_EUlSP_E0_NS1_11comp_targetILNS1_3genE10ELNS1_11target_archE1200ELNS1_3gpuE4ELNS1_3repE0EEENS1_30default_config_static_selectorELNS0_4arch9wavefront6targetE1EEEvT1_
; %bb.0:
	.section	.rodata,"a",@progbits
	.p2align	6, 0x0
	.amdhsa_kernel _ZN7rocprim17ROCPRIM_400000_NS6detail17trampoline_kernelINS0_14default_configENS1_20scan_config_selectorIxEEZZNS1_9scan_implILNS1_25lookback_scan_determinismE0ELb1ELb1ES3_N6thrust23THRUST_200600_302600_NS6detail15normal_iteratorINS9_10device_ptrIxEEEESE_xNS9_4plusIvEExEEDaPvRmT3_T4_T5_mT6_P12ihipStream_tbENKUlT_T0_E_clISt17integral_constantIbLb0EEST_IbLb1EEEEDaSP_SQ_EUlSP_E0_NS1_11comp_targetILNS1_3genE10ELNS1_11target_archE1200ELNS1_3gpuE4ELNS1_3repE0EEENS1_30default_config_static_selectorELNS0_4arch9wavefront6targetE1EEEvT1_
		.amdhsa_group_segment_fixed_size 0
		.amdhsa_private_segment_fixed_size 0
		.amdhsa_kernarg_size 40
		.amdhsa_user_sgpr_count 6
		.amdhsa_user_sgpr_private_segment_buffer 1
		.amdhsa_user_sgpr_dispatch_ptr 0
		.amdhsa_user_sgpr_queue_ptr 0
		.amdhsa_user_sgpr_kernarg_segment_ptr 1
		.amdhsa_user_sgpr_dispatch_id 0
		.amdhsa_user_sgpr_flat_scratch_init 0
		.amdhsa_user_sgpr_kernarg_preload_length 0
		.amdhsa_user_sgpr_kernarg_preload_offset 0
		.amdhsa_user_sgpr_private_segment_size 0
		.amdhsa_uses_dynamic_stack 0
		.amdhsa_system_sgpr_private_segment_wavefront_offset 0
		.amdhsa_system_sgpr_workgroup_id_x 1
		.amdhsa_system_sgpr_workgroup_id_y 0
		.amdhsa_system_sgpr_workgroup_id_z 0
		.amdhsa_system_sgpr_workgroup_info 0
		.amdhsa_system_vgpr_workitem_id 0
		.amdhsa_next_free_vgpr 1
		.amdhsa_next_free_sgpr 0
		.amdhsa_accum_offset 4
		.amdhsa_reserve_vcc 0
		.amdhsa_reserve_flat_scratch 0
		.amdhsa_float_round_mode_32 0
		.amdhsa_float_round_mode_16_64 0
		.amdhsa_float_denorm_mode_32 3
		.amdhsa_float_denorm_mode_16_64 3
		.amdhsa_dx10_clamp 1
		.amdhsa_ieee_mode 1
		.amdhsa_fp16_overflow 0
		.amdhsa_tg_split 0
		.amdhsa_exception_fp_ieee_invalid_op 0
		.amdhsa_exception_fp_denorm_src 0
		.amdhsa_exception_fp_ieee_div_zero 0
		.amdhsa_exception_fp_ieee_overflow 0
		.amdhsa_exception_fp_ieee_underflow 0
		.amdhsa_exception_fp_ieee_inexact 0
		.amdhsa_exception_int_div_zero 0
	.end_amdhsa_kernel
	.section	.text._ZN7rocprim17ROCPRIM_400000_NS6detail17trampoline_kernelINS0_14default_configENS1_20scan_config_selectorIxEEZZNS1_9scan_implILNS1_25lookback_scan_determinismE0ELb1ELb1ES3_N6thrust23THRUST_200600_302600_NS6detail15normal_iteratorINS9_10device_ptrIxEEEESE_xNS9_4plusIvEExEEDaPvRmT3_T4_T5_mT6_P12ihipStream_tbENKUlT_T0_E_clISt17integral_constantIbLb0EEST_IbLb1EEEEDaSP_SQ_EUlSP_E0_NS1_11comp_targetILNS1_3genE10ELNS1_11target_archE1200ELNS1_3gpuE4ELNS1_3repE0EEENS1_30default_config_static_selectorELNS0_4arch9wavefront6targetE1EEEvT1_,"axG",@progbits,_ZN7rocprim17ROCPRIM_400000_NS6detail17trampoline_kernelINS0_14default_configENS1_20scan_config_selectorIxEEZZNS1_9scan_implILNS1_25lookback_scan_determinismE0ELb1ELb1ES3_N6thrust23THRUST_200600_302600_NS6detail15normal_iteratorINS9_10device_ptrIxEEEESE_xNS9_4plusIvEExEEDaPvRmT3_T4_T5_mT6_P12ihipStream_tbENKUlT_T0_E_clISt17integral_constantIbLb0EEST_IbLb1EEEEDaSP_SQ_EUlSP_E0_NS1_11comp_targetILNS1_3genE10ELNS1_11target_archE1200ELNS1_3gpuE4ELNS1_3repE0EEENS1_30default_config_static_selectorELNS0_4arch9wavefront6targetE1EEEvT1_,comdat
.Lfunc_end195:
	.size	_ZN7rocprim17ROCPRIM_400000_NS6detail17trampoline_kernelINS0_14default_configENS1_20scan_config_selectorIxEEZZNS1_9scan_implILNS1_25lookback_scan_determinismE0ELb1ELb1ES3_N6thrust23THRUST_200600_302600_NS6detail15normal_iteratorINS9_10device_ptrIxEEEESE_xNS9_4plusIvEExEEDaPvRmT3_T4_T5_mT6_P12ihipStream_tbENKUlT_T0_E_clISt17integral_constantIbLb0EEST_IbLb1EEEEDaSP_SQ_EUlSP_E0_NS1_11comp_targetILNS1_3genE10ELNS1_11target_archE1200ELNS1_3gpuE4ELNS1_3repE0EEENS1_30default_config_static_selectorELNS0_4arch9wavefront6targetE1EEEvT1_, .Lfunc_end195-_ZN7rocprim17ROCPRIM_400000_NS6detail17trampoline_kernelINS0_14default_configENS1_20scan_config_selectorIxEEZZNS1_9scan_implILNS1_25lookback_scan_determinismE0ELb1ELb1ES3_N6thrust23THRUST_200600_302600_NS6detail15normal_iteratorINS9_10device_ptrIxEEEESE_xNS9_4plusIvEExEEDaPvRmT3_T4_T5_mT6_P12ihipStream_tbENKUlT_T0_E_clISt17integral_constantIbLb0EEST_IbLb1EEEEDaSP_SQ_EUlSP_E0_NS1_11comp_targetILNS1_3genE10ELNS1_11target_archE1200ELNS1_3gpuE4ELNS1_3repE0EEENS1_30default_config_static_selectorELNS0_4arch9wavefront6targetE1EEEvT1_
                                        ; -- End function
	.section	.AMDGPU.csdata,"",@progbits
; Kernel info:
; codeLenInByte = 0
; NumSgprs: 4
; NumVgprs: 0
; NumAgprs: 0
; TotalNumVgprs: 0
; ScratchSize: 0
; MemoryBound: 0
; FloatMode: 240
; IeeeMode: 1
; LDSByteSize: 0 bytes/workgroup (compile time only)
; SGPRBlocks: 0
; VGPRBlocks: 0
; NumSGPRsForWavesPerEU: 4
; NumVGPRsForWavesPerEU: 1
; AccumOffset: 4
; Occupancy: 8
; WaveLimiterHint : 0
; COMPUTE_PGM_RSRC2:SCRATCH_EN: 0
; COMPUTE_PGM_RSRC2:USER_SGPR: 6
; COMPUTE_PGM_RSRC2:TRAP_HANDLER: 0
; COMPUTE_PGM_RSRC2:TGID_X_EN: 1
; COMPUTE_PGM_RSRC2:TGID_Y_EN: 0
; COMPUTE_PGM_RSRC2:TGID_Z_EN: 0
; COMPUTE_PGM_RSRC2:TIDIG_COMP_CNT: 0
; COMPUTE_PGM_RSRC3_GFX90A:ACCUM_OFFSET: 0
; COMPUTE_PGM_RSRC3_GFX90A:TG_SPLIT: 0
	.section	.text._ZN7rocprim17ROCPRIM_400000_NS6detail17trampoline_kernelINS0_14default_configENS1_20scan_config_selectorIxEEZZNS1_9scan_implILNS1_25lookback_scan_determinismE0ELb1ELb1ES3_N6thrust23THRUST_200600_302600_NS6detail15normal_iteratorINS9_10device_ptrIxEEEESE_xNS9_4plusIvEExEEDaPvRmT3_T4_T5_mT6_P12ihipStream_tbENKUlT_T0_E_clISt17integral_constantIbLb0EEST_IbLb1EEEEDaSP_SQ_EUlSP_E0_NS1_11comp_targetILNS1_3genE9ELNS1_11target_archE1100ELNS1_3gpuE3ELNS1_3repE0EEENS1_30default_config_static_selectorELNS0_4arch9wavefront6targetE1EEEvT1_,"axG",@progbits,_ZN7rocprim17ROCPRIM_400000_NS6detail17trampoline_kernelINS0_14default_configENS1_20scan_config_selectorIxEEZZNS1_9scan_implILNS1_25lookback_scan_determinismE0ELb1ELb1ES3_N6thrust23THRUST_200600_302600_NS6detail15normal_iteratorINS9_10device_ptrIxEEEESE_xNS9_4plusIvEExEEDaPvRmT3_T4_T5_mT6_P12ihipStream_tbENKUlT_T0_E_clISt17integral_constantIbLb0EEST_IbLb1EEEEDaSP_SQ_EUlSP_E0_NS1_11comp_targetILNS1_3genE9ELNS1_11target_archE1100ELNS1_3gpuE3ELNS1_3repE0EEENS1_30default_config_static_selectorELNS0_4arch9wavefront6targetE1EEEvT1_,comdat
	.protected	_ZN7rocprim17ROCPRIM_400000_NS6detail17trampoline_kernelINS0_14default_configENS1_20scan_config_selectorIxEEZZNS1_9scan_implILNS1_25lookback_scan_determinismE0ELb1ELb1ES3_N6thrust23THRUST_200600_302600_NS6detail15normal_iteratorINS9_10device_ptrIxEEEESE_xNS9_4plusIvEExEEDaPvRmT3_T4_T5_mT6_P12ihipStream_tbENKUlT_T0_E_clISt17integral_constantIbLb0EEST_IbLb1EEEEDaSP_SQ_EUlSP_E0_NS1_11comp_targetILNS1_3genE9ELNS1_11target_archE1100ELNS1_3gpuE3ELNS1_3repE0EEENS1_30default_config_static_selectorELNS0_4arch9wavefront6targetE1EEEvT1_ ; -- Begin function _ZN7rocprim17ROCPRIM_400000_NS6detail17trampoline_kernelINS0_14default_configENS1_20scan_config_selectorIxEEZZNS1_9scan_implILNS1_25lookback_scan_determinismE0ELb1ELb1ES3_N6thrust23THRUST_200600_302600_NS6detail15normal_iteratorINS9_10device_ptrIxEEEESE_xNS9_4plusIvEExEEDaPvRmT3_T4_T5_mT6_P12ihipStream_tbENKUlT_T0_E_clISt17integral_constantIbLb0EEST_IbLb1EEEEDaSP_SQ_EUlSP_E0_NS1_11comp_targetILNS1_3genE9ELNS1_11target_archE1100ELNS1_3gpuE3ELNS1_3repE0EEENS1_30default_config_static_selectorELNS0_4arch9wavefront6targetE1EEEvT1_
	.globl	_ZN7rocprim17ROCPRIM_400000_NS6detail17trampoline_kernelINS0_14default_configENS1_20scan_config_selectorIxEEZZNS1_9scan_implILNS1_25lookback_scan_determinismE0ELb1ELb1ES3_N6thrust23THRUST_200600_302600_NS6detail15normal_iteratorINS9_10device_ptrIxEEEESE_xNS9_4plusIvEExEEDaPvRmT3_T4_T5_mT6_P12ihipStream_tbENKUlT_T0_E_clISt17integral_constantIbLb0EEST_IbLb1EEEEDaSP_SQ_EUlSP_E0_NS1_11comp_targetILNS1_3genE9ELNS1_11target_archE1100ELNS1_3gpuE3ELNS1_3repE0EEENS1_30default_config_static_selectorELNS0_4arch9wavefront6targetE1EEEvT1_
	.p2align	8
	.type	_ZN7rocprim17ROCPRIM_400000_NS6detail17trampoline_kernelINS0_14default_configENS1_20scan_config_selectorIxEEZZNS1_9scan_implILNS1_25lookback_scan_determinismE0ELb1ELb1ES3_N6thrust23THRUST_200600_302600_NS6detail15normal_iteratorINS9_10device_ptrIxEEEESE_xNS9_4plusIvEExEEDaPvRmT3_T4_T5_mT6_P12ihipStream_tbENKUlT_T0_E_clISt17integral_constantIbLb0EEST_IbLb1EEEEDaSP_SQ_EUlSP_E0_NS1_11comp_targetILNS1_3genE9ELNS1_11target_archE1100ELNS1_3gpuE3ELNS1_3repE0EEENS1_30default_config_static_selectorELNS0_4arch9wavefront6targetE1EEEvT1_,@function
_ZN7rocprim17ROCPRIM_400000_NS6detail17trampoline_kernelINS0_14default_configENS1_20scan_config_selectorIxEEZZNS1_9scan_implILNS1_25lookback_scan_determinismE0ELb1ELb1ES3_N6thrust23THRUST_200600_302600_NS6detail15normal_iteratorINS9_10device_ptrIxEEEESE_xNS9_4plusIvEExEEDaPvRmT3_T4_T5_mT6_P12ihipStream_tbENKUlT_T0_E_clISt17integral_constantIbLb0EEST_IbLb1EEEEDaSP_SQ_EUlSP_E0_NS1_11comp_targetILNS1_3genE9ELNS1_11target_archE1100ELNS1_3gpuE3ELNS1_3repE0EEENS1_30default_config_static_selectorELNS0_4arch9wavefront6targetE1EEEvT1_: ; @_ZN7rocprim17ROCPRIM_400000_NS6detail17trampoline_kernelINS0_14default_configENS1_20scan_config_selectorIxEEZZNS1_9scan_implILNS1_25lookback_scan_determinismE0ELb1ELb1ES3_N6thrust23THRUST_200600_302600_NS6detail15normal_iteratorINS9_10device_ptrIxEEEESE_xNS9_4plusIvEExEEDaPvRmT3_T4_T5_mT6_P12ihipStream_tbENKUlT_T0_E_clISt17integral_constantIbLb0EEST_IbLb1EEEEDaSP_SQ_EUlSP_E0_NS1_11comp_targetILNS1_3genE9ELNS1_11target_archE1100ELNS1_3gpuE3ELNS1_3repE0EEENS1_30default_config_static_selectorELNS0_4arch9wavefront6targetE1EEEvT1_
; %bb.0:
	.section	.rodata,"a",@progbits
	.p2align	6, 0x0
	.amdhsa_kernel _ZN7rocprim17ROCPRIM_400000_NS6detail17trampoline_kernelINS0_14default_configENS1_20scan_config_selectorIxEEZZNS1_9scan_implILNS1_25lookback_scan_determinismE0ELb1ELb1ES3_N6thrust23THRUST_200600_302600_NS6detail15normal_iteratorINS9_10device_ptrIxEEEESE_xNS9_4plusIvEExEEDaPvRmT3_T4_T5_mT6_P12ihipStream_tbENKUlT_T0_E_clISt17integral_constantIbLb0EEST_IbLb1EEEEDaSP_SQ_EUlSP_E0_NS1_11comp_targetILNS1_3genE9ELNS1_11target_archE1100ELNS1_3gpuE3ELNS1_3repE0EEENS1_30default_config_static_selectorELNS0_4arch9wavefront6targetE1EEEvT1_
		.amdhsa_group_segment_fixed_size 0
		.amdhsa_private_segment_fixed_size 0
		.amdhsa_kernarg_size 40
		.amdhsa_user_sgpr_count 6
		.amdhsa_user_sgpr_private_segment_buffer 1
		.amdhsa_user_sgpr_dispatch_ptr 0
		.amdhsa_user_sgpr_queue_ptr 0
		.amdhsa_user_sgpr_kernarg_segment_ptr 1
		.amdhsa_user_sgpr_dispatch_id 0
		.amdhsa_user_sgpr_flat_scratch_init 0
		.amdhsa_user_sgpr_kernarg_preload_length 0
		.amdhsa_user_sgpr_kernarg_preload_offset 0
		.amdhsa_user_sgpr_private_segment_size 0
		.amdhsa_uses_dynamic_stack 0
		.amdhsa_system_sgpr_private_segment_wavefront_offset 0
		.amdhsa_system_sgpr_workgroup_id_x 1
		.amdhsa_system_sgpr_workgroup_id_y 0
		.amdhsa_system_sgpr_workgroup_id_z 0
		.amdhsa_system_sgpr_workgroup_info 0
		.amdhsa_system_vgpr_workitem_id 0
		.amdhsa_next_free_vgpr 1
		.amdhsa_next_free_sgpr 0
		.amdhsa_accum_offset 4
		.amdhsa_reserve_vcc 0
		.amdhsa_reserve_flat_scratch 0
		.amdhsa_float_round_mode_32 0
		.amdhsa_float_round_mode_16_64 0
		.amdhsa_float_denorm_mode_32 3
		.amdhsa_float_denorm_mode_16_64 3
		.amdhsa_dx10_clamp 1
		.amdhsa_ieee_mode 1
		.amdhsa_fp16_overflow 0
		.amdhsa_tg_split 0
		.amdhsa_exception_fp_ieee_invalid_op 0
		.amdhsa_exception_fp_denorm_src 0
		.amdhsa_exception_fp_ieee_div_zero 0
		.amdhsa_exception_fp_ieee_overflow 0
		.amdhsa_exception_fp_ieee_underflow 0
		.amdhsa_exception_fp_ieee_inexact 0
		.amdhsa_exception_int_div_zero 0
	.end_amdhsa_kernel
	.section	.text._ZN7rocprim17ROCPRIM_400000_NS6detail17trampoline_kernelINS0_14default_configENS1_20scan_config_selectorIxEEZZNS1_9scan_implILNS1_25lookback_scan_determinismE0ELb1ELb1ES3_N6thrust23THRUST_200600_302600_NS6detail15normal_iteratorINS9_10device_ptrIxEEEESE_xNS9_4plusIvEExEEDaPvRmT3_T4_T5_mT6_P12ihipStream_tbENKUlT_T0_E_clISt17integral_constantIbLb0EEST_IbLb1EEEEDaSP_SQ_EUlSP_E0_NS1_11comp_targetILNS1_3genE9ELNS1_11target_archE1100ELNS1_3gpuE3ELNS1_3repE0EEENS1_30default_config_static_selectorELNS0_4arch9wavefront6targetE1EEEvT1_,"axG",@progbits,_ZN7rocprim17ROCPRIM_400000_NS6detail17trampoline_kernelINS0_14default_configENS1_20scan_config_selectorIxEEZZNS1_9scan_implILNS1_25lookback_scan_determinismE0ELb1ELb1ES3_N6thrust23THRUST_200600_302600_NS6detail15normal_iteratorINS9_10device_ptrIxEEEESE_xNS9_4plusIvEExEEDaPvRmT3_T4_T5_mT6_P12ihipStream_tbENKUlT_T0_E_clISt17integral_constantIbLb0EEST_IbLb1EEEEDaSP_SQ_EUlSP_E0_NS1_11comp_targetILNS1_3genE9ELNS1_11target_archE1100ELNS1_3gpuE3ELNS1_3repE0EEENS1_30default_config_static_selectorELNS0_4arch9wavefront6targetE1EEEvT1_,comdat
.Lfunc_end196:
	.size	_ZN7rocprim17ROCPRIM_400000_NS6detail17trampoline_kernelINS0_14default_configENS1_20scan_config_selectorIxEEZZNS1_9scan_implILNS1_25lookback_scan_determinismE0ELb1ELb1ES3_N6thrust23THRUST_200600_302600_NS6detail15normal_iteratorINS9_10device_ptrIxEEEESE_xNS9_4plusIvEExEEDaPvRmT3_T4_T5_mT6_P12ihipStream_tbENKUlT_T0_E_clISt17integral_constantIbLb0EEST_IbLb1EEEEDaSP_SQ_EUlSP_E0_NS1_11comp_targetILNS1_3genE9ELNS1_11target_archE1100ELNS1_3gpuE3ELNS1_3repE0EEENS1_30default_config_static_selectorELNS0_4arch9wavefront6targetE1EEEvT1_, .Lfunc_end196-_ZN7rocprim17ROCPRIM_400000_NS6detail17trampoline_kernelINS0_14default_configENS1_20scan_config_selectorIxEEZZNS1_9scan_implILNS1_25lookback_scan_determinismE0ELb1ELb1ES3_N6thrust23THRUST_200600_302600_NS6detail15normal_iteratorINS9_10device_ptrIxEEEESE_xNS9_4plusIvEExEEDaPvRmT3_T4_T5_mT6_P12ihipStream_tbENKUlT_T0_E_clISt17integral_constantIbLb0EEST_IbLb1EEEEDaSP_SQ_EUlSP_E0_NS1_11comp_targetILNS1_3genE9ELNS1_11target_archE1100ELNS1_3gpuE3ELNS1_3repE0EEENS1_30default_config_static_selectorELNS0_4arch9wavefront6targetE1EEEvT1_
                                        ; -- End function
	.section	.AMDGPU.csdata,"",@progbits
; Kernel info:
; codeLenInByte = 0
; NumSgprs: 4
; NumVgprs: 0
; NumAgprs: 0
; TotalNumVgprs: 0
; ScratchSize: 0
; MemoryBound: 0
; FloatMode: 240
; IeeeMode: 1
; LDSByteSize: 0 bytes/workgroup (compile time only)
; SGPRBlocks: 0
; VGPRBlocks: 0
; NumSGPRsForWavesPerEU: 4
; NumVGPRsForWavesPerEU: 1
; AccumOffset: 4
; Occupancy: 8
; WaveLimiterHint : 0
; COMPUTE_PGM_RSRC2:SCRATCH_EN: 0
; COMPUTE_PGM_RSRC2:USER_SGPR: 6
; COMPUTE_PGM_RSRC2:TRAP_HANDLER: 0
; COMPUTE_PGM_RSRC2:TGID_X_EN: 1
; COMPUTE_PGM_RSRC2:TGID_Y_EN: 0
; COMPUTE_PGM_RSRC2:TGID_Z_EN: 0
; COMPUTE_PGM_RSRC2:TIDIG_COMP_CNT: 0
; COMPUTE_PGM_RSRC3_GFX90A:ACCUM_OFFSET: 0
; COMPUTE_PGM_RSRC3_GFX90A:TG_SPLIT: 0
	.section	.text._ZN7rocprim17ROCPRIM_400000_NS6detail17trampoline_kernelINS0_14default_configENS1_20scan_config_selectorIxEEZZNS1_9scan_implILNS1_25lookback_scan_determinismE0ELb1ELb1ES3_N6thrust23THRUST_200600_302600_NS6detail15normal_iteratorINS9_10device_ptrIxEEEESE_xNS9_4plusIvEExEEDaPvRmT3_T4_T5_mT6_P12ihipStream_tbENKUlT_T0_E_clISt17integral_constantIbLb0EEST_IbLb1EEEEDaSP_SQ_EUlSP_E0_NS1_11comp_targetILNS1_3genE8ELNS1_11target_archE1030ELNS1_3gpuE2ELNS1_3repE0EEENS1_30default_config_static_selectorELNS0_4arch9wavefront6targetE1EEEvT1_,"axG",@progbits,_ZN7rocprim17ROCPRIM_400000_NS6detail17trampoline_kernelINS0_14default_configENS1_20scan_config_selectorIxEEZZNS1_9scan_implILNS1_25lookback_scan_determinismE0ELb1ELb1ES3_N6thrust23THRUST_200600_302600_NS6detail15normal_iteratorINS9_10device_ptrIxEEEESE_xNS9_4plusIvEExEEDaPvRmT3_T4_T5_mT6_P12ihipStream_tbENKUlT_T0_E_clISt17integral_constantIbLb0EEST_IbLb1EEEEDaSP_SQ_EUlSP_E0_NS1_11comp_targetILNS1_3genE8ELNS1_11target_archE1030ELNS1_3gpuE2ELNS1_3repE0EEENS1_30default_config_static_selectorELNS0_4arch9wavefront6targetE1EEEvT1_,comdat
	.protected	_ZN7rocprim17ROCPRIM_400000_NS6detail17trampoline_kernelINS0_14default_configENS1_20scan_config_selectorIxEEZZNS1_9scan_implILNS1_25lookback_scan_determinismE0ELb1ELb1ES3_N6thrust23THRUST_200600_302600_NS6detail15normal_iteratorINS9_10device_ptrIxEEEESE_xNS9_4plusIvEExEEDaPvRmT3_T4_T5_mT6_P12ihipStream_tbENKUlT_T0_E_clISt17integral_constantIbLb0EEST_IbLb1EEEEDaSP_SQ_EUlSP_E0_NS1_11comp_targetILNS1_3genE8ELNS1_11target_archE1030ELNS1_3gpuE2ELNS1_3repE0EEENS1_30default_config_static_selectorELNS0_4arch9wavefront6targetE1EEEvT1_ ; -- Begin function _ZN7rocprim17ROCPRIM_400000_NS6detail17trampoline_kernelINS0_14default_configENS1_20scan_config_selectorIxEEZZNS1_9scan_implILNS1_25lookback_scan_determinismE0ELb1ELb1ES3_N6thrust23THRUST_200600_302600_NS6detail15normal_iteratorINS9_10device_ptrIxEEEESE_xNS9_4plusIvEExEEDaPvRmT3_T4_T5_mT6_P12ihipStream_tbENKUlT_T0_E_clISt17integral_constantIbLb0EEST_IbLb1EEEEDaSP_SQ_EUlSP_E0_NS1_11comp_targetILNS1_3genE8ELNS1_11target_archE1030ELNS1_3gpuE2ELNS1_3repE0EEENS1_30default_config_static_selectorELNS0_4arch9wavefront6targetE1EEEvT1_
	.globl	_ZN7rocprim17ROCPRIM_400000_NS6detail17trampoline_kernelINS0_14default_configENS1_20scan_config_selectorIxEEZZNS1_9scan_implILNS1_25lookback_scan_determinismE0ELb1ELb1ES3_N6thrust23THRUST_200600_302600_NS6detail15normal_iteratorINS9_10device_ptrIxEEEESE_xNS9_4plusIvEExEEDaPvRmT3_T4_T5_mT6_P12ihipStream_tbENKUlT_T0_E_clISt17integral_constantIbLb0EEST_IbLb1EEEEDaSP_SQ_EUlSP_E0_NS1_11comp_targetILNS1_3genE8ELNS1_11target_archE1030ELNS1_3gpuE2ELNS1_3repE0EEENS1_30default_config_static_selectorELNS0_4arch9wavefront6targetE1EEEvT1_
	.p2align	8
	.type	_ZN7rocprim17ROCPRIM_400000_NS6detail17trampoline_kernelINS0_14default_configENS1_20scan_config_selectorIxEEZZNS1_9scan_implILNS1_25lookback_scan_determinismE0ELb1ELb1ES3_N6thrust23THRUST_200600_302600_NS6detail15normal_iteratorINS9_10device_ptrIxEEEESE_xNS9_4plusIvEExEEDaPvRmT3_T4_T5_mT6_P12ihipStream_tbENKUlT_T0_E_clISt17integral_constantIbLb0EEST_IbLb1EEEEDaSP_SQ_EUlSP_E0_NS1_11comp_targetILNS1_3genE8ELNS1_11target_archE1030ELNS1_3gpuE2ELNS1_3repE0EEENS1_30default_config_static_selectorELNS0_4arch9wavefront6targetE1EEEvT1_,@function
_ZN7rocprim17ROCPRIM_400000_NS6detail17trampoline_kernelINS0_14default_configENS1_20scan_config_selectorIxEEZZNS1_9scan_implILNS1_25lookback_scan_determinismE0ELb1ELb1ES3_N6thrust23THRUST_200600_302600_NS6detail15normal_iteratorINS9_10device_ptrIxEEEESE_xNS9_4plusIvEExEEDaPvRmT3_T4_T5_mT6_P12ihipStream_tbENKUlT_T0_E_clISt17integral_constantIbLb0EEST_IbLb1EEEEDaSP_SQ_EUlSP_E0_NS1_11comp_targetILNS1_3genE8ELNS1_11target_archE1030ELNS1_3gpuE2ELNS1_3repE0EEENS1_30default_config_static_selectorELNS0_4arch9wavefront6targetE1EEEvT1_: ; @_ZN7rocprim17ROCPRIM_400000_NS6detail17trampoline_kernelINS0_14default_configENS1_20scan_config_selectorIxEEZZNS1_9scan_implILNS1_25lookback_scan_determinismE0ELb1ELb1ES3_N6thrust23THRUST_200600_302600_NS6detail15normal_iteratorINS9_10device_ptrIxEEEESE_xNS9_4plusIvEExEEDaPvRmT3_T4_T5_mT6_P12ihipStream_tbENKUlT_T0_E_clISt17integral_constantIbLb0EEST_IbLb1EEEEDaSP_SQ_EUlSP_E0_NS1_11comp_targetILNS1_3genE8ELNS1_11target_archE1030ELNS1_3gpuE2ELNS1_3repE0EEENS1_30default_config_static_selectorELNS0_4arch9wavefront6targetE1EEEvT1_
; %bb.0:
	.section	.rodata,"a",@progbits
	.p2align	6, 0x0
	.amdhsa_kernel _ZN7rocprim17ROCPRIM_400000_NS6detail17trampoline_kernelINS0_14default_configENS1_20scan_config_selectorIxEEZZNS1_9scan_implILNS1_25lookback_scan_determinismE0ELb1ELb1ES3_N6thrust23THRUST_200600_302600_NS6detail15normal_iteratorINS9_10device_ptrIxEEEESE_xNS9_4plusIvEExEEDaPvRmT3_T4_T5_mT6_P12ihipStream_tbENKUlT_T0_E_clISt17integral_constantIbLb0EEST_IbLb1EEEEDaSP_SQ_EUlSP_E0_NS1_11comp_targetILNS1_3genE8ELNS1_11target_archE1030ELNS1_3gpuE2ELNS1_3repE0EEENS1_30default_config_static_selectorELNS0_4arch9wavefront6targetE1EEEvT1_
		.amdhsa_group_segment_fixed_size 0
		.amdhsa_private_segment_fixed_size 0
		.amdhsa_kernarg_size 40
		.amdhsa_user_sgpr_count 6
		.amdhsa_user_sgpr_private_segment_buffer 1
		.amdhsa_user_sgpr_dispatch_ptr 0
		.amdhsa_user_sgpr_queue_ptr 0
		.amdhsa_user_sgpr_kernarg_segment_ptr 1
		.amdhsa_user_sgpr_dispatch_id 0
		.amdhsa_user_sgpr_flat_scratch_init 0
		.amdhsa_user_sgpr_kernarg_preload_length 0
		.amdhsa_user_sgpr_kernarg_preload_offset 0
		.amdhsa_user_sgpr_private_segment_size 0
		.amdhsa_uses_dynamic_stack 0
		.amdhsa_system_sgpr_private_segment_wavefront_offset 0
		.amdhsa_system_sgpr_workgroup_id_x 1
		.amdhsa_system_sgpr_workgroup_id_y 0
		.amdhsa_system_sgpr_workgroup_id_z 0
		.amdhsa_system_sgpr_workgroup_info 0
		.amdhsa_system_vgpr_workitem_id 0
		.amdhsa_next_free_vgpr 1
		.amdhsa_next_free_sgpr 0
		.amdhsa_accum_offset 4
		.amdhsa_reserve_vcc 0
		.amdhsa_reserve_flat_scratch 0
		.amdhsa_float_round_mode_32 0
		.amdhsa_float_round_mode_16_64 0
		.amdhsa_float_denorm_mode_32 3
		.amdhsa_float_denorm_mode_16_64 3
		.amdhsa_dx10_clamp 1
		.amdhsa_ieee_mode 1
		.amdhsa_fp16_overflow 0
		.amdhsa_tg_split 0
		.amdhsa_exception_fp_ieee_invalid_op 0
		.amdhsa_exception_fp_denorm_src 0
		.amdhsa_exception_fp_ieee_div_zero 0
		.amdhsa_exception_fp_ieee_overflow 0
		.amdhsa_exception_fp_ieee_underflow 0
		.amdhsa_exception_fp_ieee_inexact 0
		.amdhsa_exception_int_div_zero 0
	.end_amdhsa_kernel
	.section	.text._ZN7rocprim17ROCPRIM_400000_NS6detail17trampoline_kernelINS0_14default_configENS1_20scan_config_selectorIxEEZZNS1_9scan_implILNS1_25lookback_scan_determinismE0ELb1ELb1ES3_N6thrust23THRUST_200600_302600_NS6detail15normal_iteratorINS9_10device_ptrIxEEEESE_xNS9_4plusIvEExEEDaPvRmT3_T4_T5_mT6_P12ihipStream_tbENKUlT_T0_E_clISt17integral_constantIbLb0EEST_IbLb1EEEEDaSP_SQ_EUlSP_E0_NS1_11comp_targetILNS1_3genE8ELNS1_11target_archE1030ELNS1_3gpuE2ELNS1_3repE0EEENS1_30default_config_static_selectorELNS0_4arch9wavefront6targetE1EEEvT1_,"axG",@progbits,_ZN7rocprim17ROCPRIM_400000_NS6detail17trampoline_kernelINS0_14default_configENS1_20scan_config_selectorIxEEZZNS1_9scan_implILNS1_25lookback_scan_determinismE0ELb1ELb1ES3_N6thrust23THRUST_200600_302600_NS6detail15normal_iteratorINS9_10device_ptrIxEEEESE_xNS9_4plusIvEExEEDaPvRmT3_T4_T5_mT6_P12ihipStream_tbENKUlT_T0_E_clISt17integral_constantIbLb0EEST_IbLb1EEEEDaSP_SQ_EUlSP_E0_NS1_11comp_targetILNS1_3genE8ELNS1_11target_archE1030ELNS1_3gpuE2ELNS1_3repE0EEENS1_30default_config_static_selectorELNS0_4arch9wavefront6targetE1EEEvT1_,comdat
.Lfunc_end197:
	.size	_ZN7rocprim17ROCPRIM_400000_NS6detail17trampoline_kernelINS0_14default_configENS1_20scan_config_selectorIxEEZZNS1_9scan_implILNS1_25lookback_scan_determinismE0ELb1ELb1ES3_N6thrust23THRUST_200600_302600_NS6detail15normal_iteratorINS9_10device_ptrIxEEEESE_xNS9_4plusIvEExEEDaPvRmT3_T4_T5_mT6_P12ihipStream_tbENKUlT_T0_E_clISt17integral_constantIbLb0EEST_IbLb1EEEEDaSP_SQ_EUlSP_E0_NS1_11comp_targetILNS1_3genE8ELNS1_11target_archE1030ELNS1_3gpuE2ELNS1_3repE0EEENS1_30default_config_static_selectorELNS0_4arch9wavefront6targetE1EEEvT1_, .Lfunc_end197-_ZN7rocprim17ROCPRIM_400000_NS6detail17trampoline_kernelINS0_14default_configENS1_20scan_config_selectorIxEEZZNS1_9scan_implILNS1_25lookback_scan_determinismE0ELb1ELb1ES3_N6thrust23THRUST_200600_302600_NS6detail15normal_iteratorINS9_10device_ptrIxEEEESE_xNS9_4plusIvEExEEDaPvRmT3_T4_T5_mT6_P12ihipStream_tbENKUlT_T0_E_clISt17integral_constantIbLb0EEST_IbLb1EEEEDaSP_SQ_EUlSP_E0_NS1_11comp_targetILNS1_3genE8ELNS1_11target_archE1030ELNS1_3gpuE2ELNS1_3repE0EEENS1_30default_config_static_selectorELNS0_4arch9wavefront6targetE1EEEvT1_
                                        ; -- End function
	.section	.AMDGPU.csdata,"",@progbits
; Kernel info:
; codeLenInByte = 0
; NumSgprs: 4
; NumVgprs: 0
; NumAgprs: 0
; TotalNumVgprs: 0
; ScratchSize: 0
; MemoryBound: 0
; FloatMode: 240
; IeeeMode: 1
; LDSByteSize: 0 bytes/workgroup (compile time only)
; SGPRBlocks: 0
; VGPRBlocks: 0
; NumSGPRsForWavesPerEU: 4
; NumVGPRsForWavesPerEU: 1
; AccumOffset: 4
; Occupancy: 8
; WaveLimiterHint : 0
; COMPUTE_PGM_RSRC2:SCRATCH_EN: 0
; COMPUTE_PGM_RSRC2:USER_SGPR: 6
; COMPUTE_PGM_RSRC2:TRAP_HANDLER: 0
; COMPUTE_PGM_RSRC2:TGID_X_EN: 1
; COMPUTE_PGM_RSRC2:TGID_Y_EN: 0
; COMPUTE_PGM_RSRC2:TGID_Z_EN: 0
; COMPUTE_PGM_RSRC2:TIDIG_COMP_CNT: 0
; COMPUTE_PGM_RSRC3_GFX90A:ACCUM_OFFSET: 0
; COMPUTE_PGM_RSRC3_GFX90A:TG_SPLIT: 0
	.section	.text._ZN7rocprim17ROCPRIM_400000_NS6detail17trampoline_kernelINS0_14default_configENS1_20scan_config_selectorIxEEZZNS1_9scan_implILNS1_25lookback_scan_determinismE0ELb0ELb0ES3_N6thrust23THRUST_200600_302600_NS6detail15normal_iteratorINS9_10device_ptrIxEEEESE_xNS9_4plusIxEExEEDaPvRmT3_T4_T5_mT6_P12ihipStream_tbENKUlT_T0_E_clISt17integral_constantIbLb0EESU_EEDaSP_SQ_EUlSP_E_NS1_11comp_targetILNS1_3genE0ELNS1_11target_archE4294967295ELNS1_3gpuE0ELNS1_3repE0EEENS1_30default_config_static_selectorELNS0_4arch9wavefront6targetE1EEEvT1_,"axG",@progbits,_ZN7rocprim17ROCPRIM_400000_NS6detail17trampoline_kernelINS0_14default_configENS1_20scan_config_selectorIxEEZZNS1_9scan_implILNS1_25lookback_scan_determinismE0ELb0ELb0ES3_N6thrust23THRUST_200600_302600_NS6detail15normal_iteratorINS9_10device_ptrIxEEEESE_xNS9_4plusIxEExEEDaPvRmT3_T4_T5_mT6_P12ihipStream_tbENKUlT_T0_E_clISt17integral_constantIbLb0EESU_EEDaSP_SQ_EUlSP_E_NS1_11comp_targetILNS1_3genE0ELNS1_11target_archE4294967295ELNS1_3gpuE0ELNS1_3repE0EEENS1_30default_config_static_selectorELNS0_4arch9wavefront6targetE1EEEvT1_,comdat
	.protected	_ZN7rocprim17ROCPRIM_400000_NS6detail17trampoline_kernelINS0_14default_configENS1_20scan_config_selectorIxEEZZNS1_9scan_implILNS1_25lookback_scan_determinismE0ELb0ELb0ES3_N6thrust23THRUST_200600_302600_NS6detail15normal_iteratorINS9_10device_ptrIxEEEESE_xNS9_4plusIxEExEEDaPvRmT3_T4_T5_mT6_P12ihipStream_tbENKUlT_T0_E_clISt17integral_constantIbLb0EESU_EEDaSP_SQ_EUlSP_E_NS1_11comp_targetILNS1_3genE0ELNS1_11target_archE4294967295ELNS1_3gpuE0ELNS1_3repE0EEENS1_30default_config_static_selectorELNS0_4arch9wavefront6targetE1EEEvT1_ ; -- Begin function _ZN7rocprim17ROCPRIM_400000_NS6detail17trampoline_kernelINS0_14default_configENS1_20scan_config_selectorIxEEZZNS1_9scan_implILNS1_25lookback_scan_determinismE0ELb0ELb0ES3_N6thrust23THRUST_200600_302600_NS6detail15normal_iteratorINS9_10device_ptrIxEEEESE_xNS9_4plusIxEExEEDaPvRmT3_T4_T5_mT6_P12ihipStream_tbENKUlT_T0_E_clISt17integral_constantIbLb0EESU_EEDaSP_SQ_EUlSP_E_NS1_11comp_targetILNS1_3genE0ELNS1_11target_archE4294967295ELNS1_3gpuE0ELNS1_3repE0EEENS1_30default_config_static_selectorELNS0_4arch9wavefront6targetE1EEEvT1_
	.globl	_ZN7rocprim17ROCPRIM_400000_NS6detail17trampoline_kernelINS0_14default_configENS1_20scan_config_selectorIxEEZZNS1_9scan_implILNS1_25lookback_scan_determinismE0ELb0ELb0ES3_N6thrust23THRUST_200600_302600_NS6detail15normal_iteratorINS9_10device_ptrIxEEEESE_xNS9_4plusIxEExEEDaPvRmT3_T4_T5_mT6_P12ihipStream_tbENKUlT_T0_E_clISt17integral_constantIbLb0EESU_EEDaSP_SQ_EUlSP_E_NS1_11comp_targetILNS1_3genE0ELNS1_11target_archE4294967295ELNS1_3gpuE0ELNS1_3repE0EEENS1_30default_config_static_selectorELNS0_4arch9wavefront6targetE1EEEvT1_
	.p2align	8
	.type	_ZN7rocprim17ROCPRIM_400000_NS6detail17trampoline_kernelINS0_14default_configENS1_20scan_config_selectorIxEEZZNS1_9scan_implILNS1_25lookback_scan_determinismE0ELb0ELb0ES3_N6thrust23THRUST_200600_302600_NS6detail15normal_iteratorINS9_10device_ptrIxEEEESE_xNS9_4plusIxEExEEDaPvRmT3_T4_T5_mT6_P12ihipStream_tbENKUlT_T0_E_clISt17integral_constantIbLb0EESU_EEDaSP_SQ_EUlSP_E_NS1_11comp_targetILNS1_3genE0ELNS1_11target_archE4294967295ELNS1_3gpuE0ELNS1_3repE0EEENS1_30default_config_static_selectorELNS0_4arch9wavefront6targetE1EEEvT1_,@function
_ZN7rocprim17ROCPRIM_400000_NS6detail17trampoline_kernelINS0_14default_configENS1_20scan_config_selectorIxEEZZNS1_9scan_implILNS1_25lookback_scan_determinismE0ELb0ELb0ES3_N6thrust23THRUST_200600_302600_NS6detail15normal_iteratorINS9_10device_ptrIxEEEESE_xNS9_4plusIxEExEEDaPvRmT3_T4_T5_mT6_P12ihipStream_tbENKUlT_T0_E_clISt17integral_constantIbLb0EESU_EEDaSP_SQ_EUlSP_E_NS1_11comp_targetILNS1_3genE0ELNS1_11target_archE4294967295ELNS1_3gpuE0ELNS1_3repE0EEENS1_30default_config_static_selectorELNS0_4arch9wavefront6targetE1EEEvT1_: ; @_ZN7rocprim17ROCPRIM_400000_NS6detail17trampoline_kernelINS0_14default_configENS1_20scan_config_selectorIxEEZZNS1_9scan_implILNS1_25lookback_scan_determinismE0ELb0ELb0ES3_N6thrust23THRUST_200600_302600_NS6detail15normal_iteratorINS9_10device_ptrIxEEEESE_xNS9_4plusIxEExEEDaPvRmT3_T4_T5_mT6_P12ihipStream_tbENKUlT_T0_E_clISt17integral_constantIbLb0EESU_EEDaSP_SQ_EUlSP_E_NS1_11comp_targetILNS1_3genE0ELNS1_11target_archE4294967295ELNS1_3gpuE0ELNS1_3repE0EEENS1_30default_config_static_selectorELNS0_4arch9wavefront6targetE1EEEvT1_
; %bb.0:
	.section	.rodata,"a",@progbits
	.p2align	6, 0x0
	.amdhsa_kernel _ZN7rocprim17ROCPRIM_400000_NS6detail17trampoline_kernelINS0_14default_configENS1_20scan_config_selectorIxEEZZNS1_9scan_implILNS1_25lookback_scan_determinismE0ELb0ELb0ES3_N6thrust23THRUST_200600_302600_NS6detail15normal_iteratorINS9_10device_ptrIxEEEESE_xNS9_4plusIxEExEEDaPvRmT3_T4_T5_mT6_P12ihipStream_tbENKUlT_T0_E_clISt17integral_constantIbLb0EESU_EEDaSP_SQ_EUlSP_E_NS1_11comp_targetILNS1_3genE0ELNS1_11target_archE4294967295ELNS1_3gpuE0ELNS1_3repE0EEENS1_30default_config_static_selectorELNS0_4arch9wavefront6targetE1EEEvT1_
		.amdhsa_group_segment_fixed_size 0
		.amdhsa_private_segment_fixed_size 0
		.amdhsa_kernarg_size 104
		.amdhsa_user_sgpr_count 6
		.amdhsa_user_sgpr_private_segment_buffer 1
		.amdhsa_user_sgpr_dispatch_ptr 0
		.amdhsa_user_sgpr_queue_ptr 0
		.amdhsa_user_sgpr_kernarg_segment_ptr 1
		.amdhsa_user_sgpr_dispatch_id 0
		.amdhsa_user_sgpr_flat_scratch_init 0
		.amdhsa_user_sgpr_kernarg_preload_length 0
		.amdhsa_user_sgpr_kernarg_preload_offset 0
		.amdhsa_user_sgpr_private_segment_size 0
		.amdhsa_uses_dynamic_stack 0
		.amdhsa_system_sgpr_private_segment_wavefront_offset 0
		.amdhsa_system_sgpr_workgroup_id_x 1
		.amdhsa_system_sgpr_workgroup_id_y 0
		.amdhsa_system_sgpr_workgroup_id_z 0
		.amdhsa_system_sgpr_workgroup_info 0
		.amdhsa_system_vgpr_workitem_id 0
		.amdhsa_next_free_vgpr 1
		.amdhsa_next_free_sgpr 0
		.amdhsa_accum_offset 4
		.amdhsa_reserve_vcc 0
		.amdhsa_reserve_flat_scratch 0
		.amdhsa_float_round_mode_32 0
		.amdhsa_float_round_mode_16_64 0
		.amdhsa_float_denorm_mode_32 3
		.amdhsa_float_denorm_mode_16_64 3
		.amdhsa_dx10_clamp 1
		.amdhsa_ieee_mode 1
		.amdhsa_fp16_overflow 0
		.amdhsa_tg_split 0
		.amdhsa_exception_fp_ieee_invalid_op 0
		.amdhsa_exception_fp_denorm_src 0
		.amdhsa_exception_fp_ieee_div_zero 0
		.amdhsa_exception_fp_ieee_overflow 0
		.amdhsa_exception_fp_ieee_underflow 0
		.amdhsa_exception_fp_ieee_inexact 0
		.amdhsa_exception_int_div_zero 0
	.end_amdhsa_kernel
	.section	.text._ZN7rocprim17ROCPRIM_400000_NS6detail17trampoline_kernelINS0_14default_configENS1_20scan_config_selectorIxEEZZNS1_9scan_implILNS1_25lookback_scan_determinismE0ELb0ELb0ES3_N6thrust23THRUST_200600_302600_NS6detail15normal_iteratorINS9_10device_ptrIxEEEESE_xNS9_4plusIxEExEEDaPvRmT3_T4_T5_mT6_P12ihipStream_tbENKUlT_T0_E_clISt17integral_constantIbLb0EESU_EEDaSP_SQ_EUlSP_E_NS1_11comp_targetILNS1_3genE0ELNS1_11target_archE4294967295ELNS1_3gpuE0ELNS1_3repE0EEENS1_30default_config_static_selectorELNS0_4arch9wavefront6targetE1EEEvT1_,"axG",@progbits,_ZN7rocprim17ROCPRIM_400000_NS6detail17trampoline_kernelINS0_14default_configENS1_20scan_config_selectorIxEEZZNS1_9scan_implILNS1_25lookback_scan_determinismE0ELb0ELb0ES3_N6thrust23THRUST_200600_302600_NS6detail15normal_iteratorINS9_10device_ptrIxEEEESE_xNS9_4plusIxEExEEDaPvRmT3_T4_T5_mT6_P12ihipStream_tbENKUlT_T0_E_clISt17integral_constantIbLb0EESU_EEDaSP_SQ_EUlSP_E_NS1_11comp_targetILNS1_3genE0ELNS1_11target_archE4294967295ELNS1_3gpuE0ELNS1_3repE0EEENS1_30default_config_static_selectorELNS0_4arch9wavefront6targetE1EEEvT1_,comdat
.Lfunc_end198:
	.size	_ZN7rocprim17ROCPRIM_400000_NS6detail17trampoline_kernelINS0_14default_configENS1_20scan_config_selectorIxEEZZNS1_9scan_implILNS1_25lookback_scan_determinismE0ELb0ELb0ES3_N6thrust23THRUST_200600_302600_NS6detail15normal_iteratorINS9_10device_ptrIxEEEESE_xNS9_4plusIxEExEEDaPvRmT3_T4_T5_mT6_P12ihipStream_tbENKUlT_T0_E_clISt17integral_constantIbLb0EESU_EEDaSP_SQ_EUlSP_E_NS1_11comp_targetILNS1_3genE0ELNS1_11target_archE4294967295ELNS1_3gpuE0ELNS1_3repE0EEENS1_30default_config_static_selectorELNS0_4arch9wavefront6targetE1EEEvT1_, .Lfunc_end198-_ZN7rocprim17ROCPRIM_400000_NS6detail17trampoline_kernelINS0_14default_configENS1_20scan_config_selectorIxEEZZNS1_9scan_implILNS1_25lookback_scan_determinismE0ELb0ELb0ES3_N6thrust23THRUST_200600_302600_NS6detail15normal_iteratorINS9_10device_ptrIxEEEESE_xNS9_4plusIxEExEEDaPvRmT3_T4_T5_mT6_P12ihipStream_tbENKUlT_T0_E_clISt17integral_constantIbLb0EESU_EEDaSP_SQ_EUlSP_E_NS1_11comp_targetILNS1_3genE0ELNS1_11target_archE4294967295ELNS1_3gpuE0ELNS1_3repE0EEENS1_30default_config_static_selectorELNS0_4arch9wavefront6targetE1EEEvT1_
                                        ; -- End function
	.section	.AMDGPU.csdata,"",@progbits
; Kernel info:
; codeLenInByte = 0
; NumSgprs: 4
; NumVgprs: 0
; NumAgprs: 0
; TotalNumVgprs: 0
; ScratchSize: 0
; MemoryBound: 0
; FloatMode: 240
; IeeeMode: 1
; LDSByteSize: 0 bytes/workgroup (compile time only)
; SGPRBlocks: 0
; VGPRBlocks: 0
; NumSGPRsForWavesPerEU: 4
; NumVGPRsForWavesPerEU: 1
; AccumOffset: 4
; Occupancy: 8
; WaveLimiterHint : 0
; COMPUTE_PGM_RSRC2:SCRATCH_EN: 0
; COMPUTE_PGM_RSRC2:USER_SGPR: 6
; COMPUTE_PGM_RSRC2:TRAP_HANDLER: 0
; COMPUTE_PGM_RSRC2:TGID_X_EN: 1
; COMPUTE_PGM_RSRC2:TGID_Y_EN: 0
; COMPUTE_PGM_RSRC2:TGID_Z_EN: 0
; COMPUTE_PGM_RSRC2:TIDIG_COMP_CNT: 0
; COMPUTE_PGM_RSRC3_GFX90A:ACCUM_OFFSET: 0
; COMPUTE_PGM_RSRC3_GFX90A:TG_SPLIT: 0
	.section	.text._ZN7rocprim17ROCPRIM_400000_NS6detail17trampoline_kernelINS0_14default_configENS1_20scan_config_selectorIxEEZZNS1_9scan_implILNS1_25lookback_scan_determinismE0ELb0ELb0ES3_N6thrust23THRUST_200600_302600_NS6detail15normal_iteratorINS9_10device_ptrIxEEEESE_xNS9_4plusIxEExEEDaPvRmT3_T4_T5_mT6_P12ihipStream_tbENKUlT_T0_E_clISt17integral_constantIbLb0EESU_EEDaSP_SQ_EUlSP_E_NS1_11comp_targetILNS1_3genE5ELNS1_11target_archE942ELNS1_3gpuE9ELNS1_3repE0EEENS1_30default_config_static_selectorELNS0_4arch9wavefront6targetE1EEEvT1_,"axG",@progbits,_ZN7rocprim17ROCPRIM_400000_NS6detail17trampoline_kernelINS0_14default_configENS1_20scan_config_selectorIxEEZZNS1_9scan_implILNS1_25lookback_scan_determinismE0ELb0ELb0ES3_N6thrust23THRUST_200600_302600_NS6detail15normal_iteratorINS9_10device_ptrIxEEEESE_xNS9_4plusIxEExEEDaPvRmT3_T4_T5_mT6_P12ihipStream_tbENKUlT_T0_E_clISt17integral_constantIbLb0EESU_EEDaSP_SQ_EUlSP_E_NS1_11comp_targetILNS1_3genE5ELNS1_11target_archE942ELNS1_3gpuE9ELNS1_3repE0EEENS1_30default_config_static_selectorELNS0_4arch9wavefront6targetE1EEEvT1_,comdat
	.protected	_ZN7rocprim17ROCPRIM_400000_NS6detail17trampoline_kernelINS0_14default_configENS1_20scan_config_selectorIxEEZZNS1_9scan_implILNS1_25lookback_scan_determinismE0ELb0ELb0ES3_N6thrust23THRUST_200600_302600_NS6detail15normal_iteratorINS9_10device_ptrIxEEEESE_xNS9_4plusIxEExEEDaPvRmT3_T4_T5_mT6_P12ihipStream_tbENKUlT_T0_E_clISt17integral_constantIbLb0EESU_EEDaSP_SQ_EUlSP_E_NS1_11comp_targetILNS1_3genE5ELNS1_11target_archE942ELNS1_3gpuE9ELNS1_3repE0EEENS1_30default_config_static_selectorELNS0_4arch9wavefront6targetE1EEEvT1_ ; -- Begin function _ZN7rocprim17ROCPRIM_400000_NS6detail17trampoline_kernelINS0_14default_configENS1_20scan_config_selectorIxEEZZNS1_9scan_implILNS1_25lookback_scan_determinismE0ELb0ELb0ES3_N6thrust23THRUST_200600_302600_NS6detail15normal_iteratorINS9_10device_ptrIxEEEESE_xNS9_4plusIxEExEEDaPvRmT3_T4_T5_mT6_P12ihipStream_tbENKUlT_T0_E_clISt17integral_constantIbLb0EESU_EEDaSP_SQ_EUlSP_E_NS1_11comp_targetILNS1_3genE5ELNS1_11target_archE942ELNS1_3gpuE9ELNS1_3repE0EEENS1_30default_config_static_selectorELNS0_4arch9wavefront6targetE1EEEvT1_
	.globl	_ZN7rocprim17ROCPRIM_400000_NS6detail17trampoline_kernelINS0_14default_configENS1_20scan_config_selectorIxEEZZNS1_9scan_implILNS1_25lookback_scan_determinismE0ELb0ELb0ES3_N6thrust23THRUST_200600_302600_NS6detail15normal_iteratorINS9_10device_ptrIxEEEESE_xNS9_4plusIxEExEEDaPvRmT3_T4_T5_mT6_P12ihipStream_tbENKUlT_T0_E_clISt17integral_constantIbLb0EESU_EEDaSP_SQ_EUlSP_E_NS1_11comp_targetILNS1_3genE5ELNS1_11target_archE942ELNS1_3gpuE9ELNS1_3repE0EEENS1_30default_config_static_selectorELNS0_4arch9wavefront6targetE1EEEvT1_
	.p2align	8
	.type	_ZN7rocprim17ROCPRIM_400000_NS6detail17trampoline_kernelINS0_14default_configENS1_20scan_config_selectorIxEEZZNS1_9scan_implILNS1_25lookback_scan_determinismE0ELb0ELb0ES3_N6thrust23THRUST_200600_302600_NS6detail15normal_iteratorINS9_10device_ptrIxEEEESE_xNS9_4plusIxEExEEDaPvRmT3_T4_T5_mT6_P12ihipStream_tbENKUlT_T0_E_clISt17integral_constantIbLb0EESU_EEDaSP_SQ_EUlSP_E_NS1_11comp_targetILNS1_3genE5ELNS1_11target_archE942ELNS1_3gpuE9ELNS1_3repE0EEENS1_30default_config_static_selectorELNS0_4arch9wavefront6targetE1EEEvT1_,@function
_ZN7rocprim17ROCPRIM_400000_NS6detail17trampoline_kernelINS0_14default_configENS1_20scan_config_selectorIxEEZZNS1_9scan_implILNS1_25lookback_scan_determinismE0ELb0ELb0ES3_N6thrust23THRUST_200600_302600_NS6detail15normal_iteratorINS9_10device_ptrIxEEEESE_xNS9_4plusIxEExEEDaPvRmT3_T4_T5_mT6_P12ihipStream_tbENKUlT_T0_E_clISt17integral_constantIbLb0EESU_EEDaSP_SQ_EUlSP_E_NS1_11comp_targetILNS1_3genE5ELNS1_11target_archE942ELNS1_3gpuE9ELNS1_3repE0EEENS1_30default_config_static_selectorELNS0_4arch9wavefront6targetE1EEEvT1_: ; @_ZN7rocprim17ROCPRIM_400000_NS6detail17trampoline_kernelINS0_14default_configENS1_20scan_config_selectorIxEEZZNS1_9scan_implILNS1_25lookback_scan_determinismE0ELb0ELb0ES3_N6thrust23THRUST_200600_302600_NS6detail15normal_iteratorINS9_10device_ptrIxEEEESE_xNS9_4plusIxEExEEDaPvRmT3_T4_T5_mT6_P12ihipStream_tbENKUlT_T0_E_clISt17integral_constantIbLb0EESU_EEDaSP_SQ_EUlSP_E_NS1_11comp_targetILNS1_3genE5ELNS1_11target_archE942ELNS1_3gpuE9ELNS1_3repE0EEENS1_30default_config_static_selectorELNS0_4arch9wavefront6targetE1EEEvT1_
; %bb.0:
	.section	.rodata,"a",@progbits
	.p2align	6, 0x0
	.amdhsa_kernel _ZN7rocprim17ROCPRIM_400000_NS6detail17trampoline_kernelINS0_14default_configENS1_20scan_config_selectorIxEEZZNS1_9scan_implILNS1_25lookback_scan_determinismE0ELb0ELb0ES3_N6thrust23THRUST_200600_302600_NS6detail15normal_iteratorINS9_10device_ptrIxEEEESE_xNS9_4plusIxEExEEDaPvRmT3_T4_T5_mT6_P12ihipStream_tbENKUlT_T0_E_clISt17integral_constantIbLb0EESU_EEDaSP_SQ_EUlSP_E_NS1_11comp_targetILNS1_3genE5ELNS1_11target_archE942ELNS1_3gpuE9ELNS1_3repE0EEENS1_30default_config_static_selectorELNS0_4arch9wavefront6targetE1EEEvT1_
		.amdhsa_group_segment_fixed_size 0
		.amdhsa_private_segment_fixed_size 0
		.amdhsa_kernarg_size 104
		.amdhsa_user_sgpr_count 6
		.amdhsa_user_sgpr_private_segment_buffer 1
		.amdhsa_user_sgpr_dispatch_ptr 0
		.amdhsa_user_sgpr_queue_ptr 0
		.amdhsa_user_sgpr_kernarg_segment_ptr 1
		.amdhsa_user_sgpr_dispatch_id 0
		.amdhsa_user_sgpr_flat_scratch_init 0
		.amdhsa_user_sgpr_kernarg_preload_length 0
		.amdhsa_user_sgpr_kernarg_preload_offset 0
		.amdhsa_user_sgpr_private_segment_size 0
		.amdhsa_uses_dynamic_stack 0
		.amdhsa_system_sgpr_private_segment_wavefront_offset 0
		.amdhsa_system_sgpr_workgroup_id_x 1
		.amdhsa_system_sgpr_workgroup_id_y 0
		.amdhsa_system_sgpr_workgroup_id_z 0
		.amdhsa_system_sgpr_workgroup_info 0
		.amdhsa_system_vgpr_workitem_id 0
		.amdhsa_next_free_vgpr 1
		.amdhsa_next_free_sgpr 0
		.amdhsa_accum_offset 4
		.amdhsa_reserve_vcc 0
		.amdhsa_reserve_flat_scratch 0
		.amdhsa_float_round_mode_32 0
		.amdhsa_float_round_mode_16_64 0
		.amdhsa_float_denorm_mode_32 3
		.amdhsa_float_denorm_mode_16_64 3
		.amdhsa_dx10_clamp 1
		.amdhsa_ieee_mode 1
		.amdhsa_fp16_overflow 0
		.amdhsa_tg_split 0
		.amdhsa_exception_fp_ieee_invalid_op 0
		.amdhsa_exception_fp_denorm_src 0
		.amdhsa_exception_fp_ieee_div_zero 0
		.amdhsa_exception_fp_ieee_overflow 0
		.amdhsa_exception_fp_ieee_underflow 0
		.amdhsa_exception_fp_ieee_inexact 0
		.amdhsa_exception_int_div_zero 0
	.end_amdhsa_kernel
	.section	.text._ZN7rocprim17ROCPRIM_400000_NS6detail17trampoline_kernelINS0_14default_configENS1_20scan_config_selectorIxEEZZNS1_9scan_implILNS1_25lookback_scan_determinismE0ELb0ELb0ES3_N6thrust23THRUST_200600_302600_NS6detail15normal_iteratorINS9_10device_ptrIxEEEESE_xNS9_4plusIxEExEEDaPvRmT3_T4_T5_mT6_P12ihipStream_tbENKUlT_T0_E_clISt17integral_constantIbLb0EESU_EEDaSP_SQ_EUlSP_E_NS1_11comp_targetILNS1_3genE5ELNS1_11target_archE942ELNS1_3gpuE9ELNS1_3repE0EEENS1_30default_config_static_selectorELNS0_4arch9wavefront6targetE1EEEvT1_,"axG",@progbits,_ZN7rocprim17ROCPRIM_400000_NS6detail17trampoline_kernelINS0_14default_configENS1_20scan_config_selectorIxEEZZNS1_9scan_implILNS1_25lookback_scan_determinismE0ELb0ELb0ES3_N6thrust23THRUST_200600_302600_NS6detail15normal_iteratorINS9_10device_ptrIxEEEESE_xNS9_4plusIxEExEEDaPvRmT3_T4_T5_mT6_P12ihipStream_tbENKUlT_T0_E_clISt17integral_constantIbLb0EESU_EEDaSP_SQ_EUlSP_E_NS1_11comp_targetILNS1_3genE5ELNS1_11target_archE942ELNS1_3gpuE9ELNS1_3repE0EEENS1_30default_config_static_selectorELNS0_4arch9wavefront6targetE1EEEvT1_,comdat
.Lfunc_end199:
	.size	_ZN7rocprim17ROCPRIM_400000_NS6detail17trampoline_kernelINS0_14default_configENS1_20scan_config_selectorIxEEZZNS1_9scan_implILNS1_25lookback_scan_determinismE0ELb0ELb0ES3_N6thrust23THRUST_200600_302600_NS6detail15normal_iteratorINS9_10device_ptrIxEEEESE_xNS9_4plusIxEExEEDaPvRmT3_T4_T5_mT6_P12ihipStream_tbENKUlT_T0_E_clISt17integral_constantIbLb0EESU_EEDaSP_SQ_EUlSP_E_NS1_11comp_targetILNS1_3genE5ELNS1_11target_archE942ELNS1_3gpuE9ELNS1_3repE0EEENS1_30default_config_static_selectorELNS0_4arch9wavefront6targetE1EEEvT1_, .Lfunc_end199-_ZN7rocprim17ROCPRIM_400000_NS6detail17trampoline_kernelINS0_14default_configENS1_20scan_config_selectorIxEEZZNS1_9scan_implILNS1_25lookback_scan_determinismE0ELb0ELb0ES3_N6thrust23THRUST_200600_302600_NS6detail15normal_iteratorINS9_10device_ptrIxEEEESE_xNS9_4plusIxEExEEDaPvRmT3_T4_T5_mT6_P12ihipStream_tbENKUlT_T0_E_clISt17integral_constantIbLb0EESU_EEDaSP_SQ_EUlSP_E_NS1_11comp_targetILNS1_3genE5ELNS1_11target_archE942ELNS1_3gpuE9ELNS1_3repE0EEENS1_30default_config_static_selectorELNS0_4arch9wavefront6targetE1EEEvT1_
                                        ; -- End function
	.section	.AMDGPU.csdata,"",@progbits
; Kernel info:
; codeLenInByte = 0
; NumSgprs: 4
; NumVgprs: 0
; NumAgprs: 0
; TotalNumVgprs: 0
; ScratchSize: 0
; MemoryBound: 0
; FloatMode: 240
; IeeeMode: 1
; LDSByteSize: 0 bytes/workgroup (compile time only)
; SGPRBlocks: 0
; VGPRBlocks: 0
; NumSGPRsForWavesPerEU: 4
; NumVGPRsForWavesPerEU: 1
; AccumOffset: 4
; Occupancy: 8
; WaveLimiterHint : 0
; COMPUTE_PGM_RSRC2:SCRATCH_EN: 0
; COMPUTE_PGM_RSRC2:USER_SGPR: 6
; COMPUTE_PGM_RSRC2:TRAP_HANDLER: 0
; COMPUTE_PGM_RSRC2:TGID_X_EN: 1
; COMPUTE_PGM_RSRC2:TGID_Y_EN: 0
; COMPUTE_PGM_RSRC2:TGID_Z_EN: 0
; COMPUTE_PGM_RSRC2:TIDIG_COMP_CNT: 0
; COMPUTE_PGM_RSRC3_GFX90A:ACCUM_OFFSET: 0
; COMPUTE_PGM_RSRC3_GFX90A:TG_SPLIT: 0
	.section	.text._ZN7rocprim17ROCPRIM_400000_NS6detail17trampoline_kernelINS0_14default_configENS1_20scan_config_selectorIxEEZZNS1_9scan_implILNS1_25lookback_scan_determinismE0ELb0ELb0ES3_N6thrust23THRUST_200600_302600_NS6detail15normal_iteratorINS9_10device_ptrIxEEEESE_xNS9_4plusIxEExEEDaPvRmT3_T4_T5_mT6_P12ihipStream_tbENKUlT_T0_E_clISt17integral_constantIbLb0EESU_EEDaSP_SQ_EUlSP_E_NS1_11comp_targetILNS1_3genE4ELNS1_11target_archE910ELNS1_3gpuE8ELNS1_3repE0EEENS1_30default_config_static_selectorELNS0_4arch9wavefront6targetE1EEEvT1_,"axG",@progbits,_ZN7rocprim17ROCPRIM_400000_NS6detail17trampoline_kernelINS0_14default_configENS1_20scan_config_selectorIxEEZZNS1_9scan_implILNS1_25lookback_scan_determinismE0ELb0ELb0ES3_N6thrust23THRUST_200600_302600_NS6detail15normal_iteratorINS9_10device_ptrIxEEEESE_xNS9_4plusIxEExEEDaPvRmT3_T4_T5_mT6_P12ihipStream_tbENKUlT_T0_E_clISt17integral_constantIbLb0EESU_EEDaSP_SQ_EUlSP_E_NS1_11comp_targetILNS1_3genE4ELNS1_11target_archE910ELNS1_3gpuE8ELNS1_3repE0EEENS1_30default_config_static_selectorELNS0_4arch9wavefront6targetE1EEEvT1_,comdat
	.protected	_ZN7rocprim17ROCPRIM_400000_NS6detail17trampoline_kernelINS0_14default_configENS1_20scan_config_selectorIxEEZZNS1_9scan_implILNS1_25lookback_scan_determinismE0ELb0ELb0ES3_N6thrust23THRUST_200600_302600_NS6detail15normal_iteratorINS9_10device_ptrIxEEEESE_xNS9_4plusIxEExEEDaPvRmT3_T4_T5_mT6_P12ihipStream_tbENKUlT_T0_E_clISt17integral_constantIbLb0EESU_EEDaSP_SQ_EUlSP_E_NS1_11comp_targetILNS1_3genE4ELNS1_11target_archE910ELNS1_3gpuE8ELNS1_3repE0EEENS1_30default_config_static_selectorELNS0_4arch9wavefront6targetE1EEEvT1_ ; -- Begin function _ZN7rocprim17ROCPRIM_400000_NS6detail17trampoline_kernelINS0_14default_configENS1_20scan_config_selectorIxEEZZNS1_9scan_implILNS1_25lookback_scan_determinismE0ELb0ELb0ES3_N6thrust23THRUST_200600_302600_NS6detail15normal_iteratorINS9_10device_ptrIxEEEESE_xNS9_4plusIxEExEEDaPvRmT3_T4_T5_mT6_P12ihipStream_tbENKUlT_T0_E_clISt17integral_constantIbLb0EESU_EEDaSP_SQ_EUlSP_E_NS1_11comp_targetILNS1_3genE4ELNS1_11target_archE910ELNS1_3gpuE8ELNS1_3repE0EEENS1_30default_config_static_selectorELNS0_4arch9wavefront6targetE1EEEvT1_
	.globl	_ZN7rocprim17ROCPRIM_400000_NS6detail17trampoline_kernelINS0_14default_configENS1_20scan_config_selectorIxEEZZNS1_9scan_implILNS1_25lookback_scan_determinismE0ELb0ELb0ES3_N6thrust23THRUST_200600_302600_NS6detail15normal_iteratorINS9_10device_ptrIxEEEESE_xNS9_4plusIxEExEEDaPvRmT3_T4_T5_mT6_P12ihipStream_tbENKUlT_T0_E_clISt17integral_constantIbLb0EESU_EEDaSP_SQ_EUlSP_E_NS1_11comp_targetILNS1_3genE4ELNS1_11target_archE910ELNS1_3gpuE8ELNS1_3repE0EEENS1_30default_config_static_selectorELNS0_4arch9wavefront6targetE1EEEvT1_
	.p2align	8
	.type	_ZN7rocprim17ROCPRIM_400000_NS6detail17trampoline_kernelINS0_14default_configENS1_20scan_config_selectorIxEEZZNS1_9scan_implILNS1_25lookback_scan_determinismE0ELb0ELb0ES3_N6thrust23THRUST_200600_302600_NS6detail15normal_iteratorINS9_10device_ptrIxEEEESE_xNS9_4plusIxEExEEDaPvRmT3_T4_T5_mT6_P12ihipStream_tbENKUlT_T0_E_clISt17integral_constantIbLb0EESU_EEDaSP_SQ_EUlSP_E_NS1_11comp_targetILNS1_3genE4ELNS1_11target_archE910ELNS1_3gpuE8ELNS1_3repE0EEENS1_30default_config_static_selectorELNS0_4arch9wavefront6targetE1EEEvT1_,@function
_ZN7rocprim17ROCPRIM_400000_NS6detail17trampoline_kernelINS0_14default_configENS1_20scan_config_selectorIxEEZZNS1_9scan_implILNS1_25lookback_scan_determinismE0ELb0ELb0ES3_N6thrust23THRUST_200600_302600_NS6detail15normal_iteratorINS9_10device_ptrIxEEEESE_xNS9_4plusIxEExEEDaPvRmT3_T4_T5_mT6_P12ihipStream_tbENKUlT_T0_E_clISt17integral_constantIbLb0EESU_EEDaSP_SQ_EUlSP_E_NS1_11comp_targetILNS1_3genE4ELNS1_11target_archE910ELNS1_3gpuE8ELNS1_3repE0EEENS1_30default_config_static_selectorELNS0_4arch9wavefront6targetE1EEEvT1_: ; @_ZN7rocprim17ROCPRIM_400000_NS6detail17trampoline_kernelINS0_14default_configENS1_20scan_config_selectorIxEEZZNS1_9scan_implILNS1_25lookback_scan_determinismE0ELb0ELb0ES3_N6thrust23THRUST_200600_302600_NS6detail15normal_iteratorINS9_10device_ptrIxEEEESE_xNS9_4plusIxEExEEDaPvRmT3_T4_T5_mT6_P12ihipStream_tbENKUlT_T0_E_clISt17integral_constantIbLb0EESU_EEDaSP_SQ_EUlSP_E_NS1_11comp_targetILNS1_3genE4ELNS1_11target_archE910ELNS1_3gpuE8ELNS1_3repE0EEENS1_30default_config_static_selectorELNS0_4arch9wavefront6targetE1EEEvT1_
; %bb.0:
	s_load_dwordx8 s[8:15], s[4:5], 0x0
	s_load_dword s1, s[4:5], 0x38
	s_mul_i32 s0, s6, 0x380
	v_lshlrev_b32_e32 v36, 3, v0
	s_waitcnt lgkmcnt(0)
	s_lshl_b64 s[16:17], s[10:11], 3
	s_add_u32 s2, s8, s16
	s_addc_u32 s3, s9, s17
	s_add_i32 s7, s1, -1
	s_mul_i32 s8, s7, 0x380
	s_sub_u32 s24, s14, s8
	s_subb_u32 s25, s15, 0
	s_mov_b32 s1, 0
	s_cmp_lg_u32 s6, s7
	s_cselect_b64 s[14:15], -1, 0
	s_lshl_b64 s[18:19], s[0:1], 3
	s_add_u32 s2, s2, s18
	s_addc_u32 s3, s3, s19
	s_mov_b64 s[0:1], -1
	s_and_b64 vcc, exec, s[14:15]
	s_cbranch_vccz .LBB200_2
; %bb.1:
	v_mov_b32_e32 v1, s3
	v_add_co_u32_e32 v2, vcc, s2, v36
	v_addc_co_u32_e32 v3, vcc, 0, v1, vcc
	flat_load_dwordx2 v[4:5], v[2:3]
	flat_load_dwordx2 v[6:7], v[2:3] offset:1024
	flat_load_dwordx2 v[8:9], v[2:3] offset:2048
	;; [unrolled: 1-line block ×3, first 2 shown]
	v_add_co_u32_e32 v2, vcc, 0x1000, v2
	v_addc_co_u32_e32 v3, vcc, 0, v3, vcc
	flat_load_dwordx2 v[12:13], v[2:3]
	flat_load_dwordx2 v[14:15], v[2:3] offset:1024
	flat_load_dwordx2 v[16:17], v[2:3] offset:2048
	s_mov_b64 s[0:1], 0
	s_waitcnt vmcnt(0) lgkmcnt(0)
	ds_write2st64_b64 v36, v[4:5], v[6:7] offset1:2
	ds_write2st64_b64 v36, v[8:9], v[10:11] offset0:4 offset1:6
	ds_write2st64_b64 v36, v[12:13], v[14:15] offset0:8 offset1:10
	ds_write_b64 v36, v[16:17] offset:6144
	s_waitcnt lgkmcnt(0)
	s_barrier
.LBB200_2:
	s_load_dwordx2 s[20:21], s[4:5], 0x30
	s_andn2_b64 vcc, exec, s[0:1]
	v_cmp_gt_u32_e64 s[0:1], s24, v0
	s_cbranch_vccnz .LBB200_18
; %bb.3:
	v_pk_mov_b32 v[2:3], s[2:3], s[2:3] op_sel:[0,1]
	flat_load_dwordx2 v[2:3], v[2:3]
	s_waitcnt vmcnt(0) lgkmcnt(0)
	v_mov_b32_e32 v4, v2
	v_mov_b32_e32 v5, v3
	;; [unrolled: 1-line block ×10, first 2 shown]
	v_pk_mov_b32 v[18:19], v[14:15], v[14:15] op_sel:[0,1]
	v_pk_mov_b32 v[16:17], v[12:13], v[12:13] op_sel:[0,1]
	;; [unrolled: 1-line block ×8, first 2 shown]
	s_and_saveexec_b64 s[8:9], s[0:1]
	s_cbranch_execz .LBB200_5
; %bb.4:
	v_mov_b32_e32 v1, s3
	v_add_co_u32_e32 v4, vcc, s2, v36
	v_addc_co_u32_e32 v5, vcc, 0, v1, vcc
	flat_load_dwordx2 v[20:21], v[4:5]
	v_mov_b32_e32 v4, v2
	v_mov_b32_e32 v5, v3
	;; [unrolled: 1-line block ×10, first 2 shown]
	v_pk_mov_b32 v[18:19], v[14:15], v[14:15] op_sel:[0,1]
	v_pk_mov_b32 v[16:17], v[12:13], v[12:13] op_sel:[0,1]
	;; [unrolled: 1-line block ×8, first 2 shown]
	s_waitcnt vmcnt(0) lgkmcnt(0)
	v_pk_mov_b32 v[2:3], v[20:21], v[20:21] op_sel:[0,1]
.LBB200_5:
	s_or_b64 exec, exec, s[8:9]
	v_or_b32_e32 v1, 0x80, v0
	v_cmp_gt_u32_e32 vcc, s24, v1
	s_and_saveexec_b64 s[0:1], vcc
	s_cbranch_execz .LBB200_7
; %bb.6:
	v_mov_b32_e32 v1, s3
	v_add_co_u32_e32 v4, vcc, s2, v36
	v_addc_co_u32_e32 v5, vcc, 0, v1, vcc
	flat_load_dwordx2 v[6:7], v[4:5] offset:1024
.LBB200_7:
	s_or_b64 exec, exec, s[0:1]
	v_or_b32_e32 v1, 0x100, v0
	v_cmp_gt_u32_e32 vcc, s24, v1
	s_and_saveexec_b64 s[0:1], vcc
	s_cbranch_execz .LBB200_9
; %bb.8:
	v_mov_b32_e32 v1, s3
	v_add_co_u32_e32 v4, vcc, s2, v36
	v_addc_co_u32_e32 v5, vcc, 0, v1, vcc
	flat_load_dwordx2 v[8:9], v[4:5] offset:2048
.LBB200_9:
	;; [unrolled: 11-line block ×3, first 2 shown]
	s_or_b64 exec, exec, s[0:1]
	v_or_b32_e32 v1, 0x200, v0
	v_cmp_gt_u32_e32 vcc, s24, v1
	s_and_saveexec_b64 s[0:1], vcc
	s_cbranch_execz .LBB200_13
; %bb.12:
	v_lshlrev_b32_e32 v1, 3, v1
	v_mov_b32_e32 v5, s3
	v_add_co_u32_e32 v4, vcc, s2, v1
	v_addc_co_u32_e32 v5, vcc, 0, v5, vcc
	flat_load_dwordx2 v[12:13], v[4:5]
.LBB200_13:
	s_or_b64 exec, exec, s[0:1]
	v_or_b32_e32 v1, 0x280, v0
	v_cmp_gt_u32_e32 vcc, s24, v1
	s_and_saveexec_b64 s[0:1], vcc
	s_cbranch_execz .LBB200_15
; %bb.14:
	v_lshlrev_b32_e32 v1, 3, v1
	v_mov_b32_e32 v5, s3
	v_add_co_u32_e32 v4, vcc, s2, v1
	v_addc_co_u32_e32 v5, vcc, 0, v5, vcc
	flat_load_dwordx2 v[14:15], v[4:5]
.LBB200_15:
	;; [unrolled: 12-line block ×3, first 2 shown]
	s_or_b64 exec, exec, s[0:1]
	s_waitcnt vmcnt(0) lgkmcnt(0)
	ds_write2st64_b64 v36, v[2:3], v[6:7] offset1:2
	ds_write2st64_b64 v36, v[8:9], v[10:11] offset0:4 offset1:6
	ds_write2st64_b64 v36, v[12:13], v[14:15] offset0:8 offset1:10
	ds_write_b64 v36, v[16:17] offset:6144
	s_waitcnt lgkmcnt(0)
	s_barrier
.LBB200_18:
	v_mul_u32_u24_e32 v37, 7, v0
	v_lshlrev_b32_e32 v1, 3, v37
	s_waitcnt lgkmcnt(0)
	ds_read2_b64 v[2:5], v1 offset1:1
	ds_read2_b64 v[10:13], v1 offset0:2 offset1:3
	ds_read2_b64 v[6:9], v1 offset0:4 offset1:5
	ds_read_b64 v[28:29], v1 offset:48
	s_cmp_lg_u32 s6, 0
	v_lshrrev_b32_e32 v38, 5, v0
	v_cmp_gt_u32_e32 vcc, 64, v0
	s_waitcnt lgkmcnt(0)
	s_barrier
	s_cbranch_scc0 .LBB200_45
; %bb.19:
	v_add_co_u32_e64 v1, s[0:1], v4, v2
	v_addc_co_u32_e64 v14, s[0:1], v5, v3, s[0:1]
	v_add_co_u32_e64 v1, s[0:1], v1, v10
	v_addc_co_u32_e64 v14, s[0:1], v14, v11, s[0:1]
	;; [unrolled: 2-line block ×6, first 2 shown]
	v_add_lshl_u32 v1, v38, v0, 3
	ds_write_b64 v1, v[18:19]
	s_waitcnt lgkmcnt(0)
	s_barrier
	s_and_saveexec_b64 s[8:9], vcc
	s_cbranch_execz .LBB200_23
; %bb.20:
	v_lshlrev_b32_e32 v1, 1, v0
	v_lshrrev_b32_e32 v14, 4, v0
	v_add_lshl_u32 v20, v14, v1, 3
	ds_read2_b64 v[14:17], v20 offset1:1
	v_mbcnt_lo_u32_b32 v1, -1, 0
	s_waitcnt lgkmcnt(0)
	v_add_co_u32_e64 v21, s[0:1], v16, v14
	v_addc_co_u32_e64 v22, s[0:1], v17, v15, s[0:1]
	s_nop 0
	v_mov_b32_dpp v16, v21 row_shr:1 row_mask:0xf bank_mask:0xf
	v_add_co_u32_e64 v16, s[0:1], v21, v16
	v_addc_co_u32_e64 v24, s[0:1], 0, v22, s[0:1]
	v_mbcnt_hi_u32_b32 v17, -1, v1
	v_mov_b32_dpp v23, v22 row_shr:1 row_mask:0xf bank_mask:0xf
	v_add_co_u32_e64 v25, s[0:1], 0, v16
	v_and_b32_e32 v1, 15, v17
	v_addc_co_u32_e64 v23, s[0:1], v23, v24, s[0:1]
	v_cmp_eq_u32_e64 s[0:1], 0, v1
	v_cndmask_b32_e64 v16, v16, v21, s[0:1]
	v_cndmask_b32_e64 v23, v23, v22, s[0:1]
	v_cndmask_b32_e64 v24, v25, v21, s[0:1]
	v_mov_b32_dpp v25, v16 row_shr:2 row_mask:0xf bank_mask:0xf
	v_mov_b32_dpp v26, v23 row_shr:2 row_mask:0xf bank_mask:0xf
	v_add_co_u32_e64 v25, s[0:1], v25, v24
	v_addc_co_u32_e64 v26, s[0:1], v26, v23, s[0:1]
	v_cmp_lt_u32_e64 s[0:1], 1, v1
	v_cndmask_b32_e64 v16, v16, v25, s[0:1]
	v_cndmask_b32_e64 v23, v23, v26, s[0:1]
	v_cndmask_b32_e64 v24, v24, v25, s[0:1]
	v_mov_b32_dpp v25, v16 row_shr:4 row_mask:0xf bank_mask:0xf
	v_mov_b32_dpp v26, v23 row_shr:4 row_mask:0xf bank_mask:0xf
	v_add_co_u32_e64 v25, s[0:1], v25, v24
	v_addc_co_u32_e64 v26, s[0:1], v26, v23, s[0:1]
	v_cmp_lt_u32_e64 s[0:1], 3, v1
	v_cndmask_b32_e64 v16, v16, v25, s[0:1]
	v_cndmask_b32_e64 v23, v23, v26, s[0:1]
	v_cndmask_b32_e64 v24, v24, v25, s[0:1]
	v_mov_b32_dpp v25, v16 row_shr:8 row_mask:0xf bank_mask:0xf
	v_mov_b32_dpp v26, v23 row_shr:8 row_mask:0xf bank_mask:0xf
	v_add_co_u32_e64 v25, s[0:1], v25, v24
	v_addc_co_u32_e64 v26, s[0:1], v26, v23, s[0:1]
	v_cmp_lt_u32_e64 s[0:1], 7, v1
	v_cndmask_b32_e64 v27, v16, v25, s[0:1]
	v_cndmask_b32_e64 v1, v23, v26, s[0:1]
	;; [unrolled: 1-line block ×3, first 2 shown]
	v_mov_b32_dpp v23, v27 row_bcast:15 row_mask:0xf bank_mask:0xf
	v_mov_b32_dpp v24, v1 row_bcast:15 row_mask:0xf bank_mask:0xf
	v_add_co_u32_e64 v23, s[0:1], v23, v16
	v_and_b32_e32 v26, 16, v17
	v_addc_co_u32_e64 v25, s[0:1], v24, v1, s[0:1]
	v_cmp_eq_u32_e64 s[0:1], 0, v26
	v_cndmask_b32_e64 v26, v25, v1, s[0:1]
	v_cndmask_b32_e64 v24, v23, v27, s[0:1]
	v_cmp_ne_u32_e64 s[2:3], 0, v17
	v_mov_b32_dpp v26, v26 row_bcast:31 row_mask:0xf bank_mask:0xf
	v_mov_b32_dpp v24, v24 row_bcast:31 row_mask:0xf bank_mask:0xf
	s_and_saveexec_b64 s[10:11], s[2:3]
; %bb.21:
	v_cndmask_b32_e64 v1, v25, v1, s[0:1]
	v_cndmask_b32_e64 v16, v23, v16, s[0:1]
	v_cmp_lt_u32_e64 s[0:1], 31, v17
	v_cndmask_b32_e64 v21, 0, v24, s[0:1]
	v_cndmask_b32_e64 v22, 0, v26, s[0:1]
	v_add_co_u32_e64 v21, s[0:1], v21, v16
	v_addc_co_u32_e64 v22, s[0:1], v22, v1, s[0:1]
; %bb.22:
	s_or_b64 exec, exec, s[10:11]
	v_add_u32_e32 v1, -1, v17
	v_and_b32_e32 v16, 64, v17
	v_cmp_lt_i32_e64 s[0:1], v1, v16
	v_cndmask_b32_e64 v1, v1, v17, s[0:1]
	v_lshlrev_b32_e32 v1, 2, v1
	ds_bpermute_b32 v16, v1, v21
	ds_bpermute_b32 v1, v1, v22
	; wave barrier
	s_waitcnt lgkmcnt(1)
	v_add_co_u32_e64 v14, s[0:1], v14, v16
	v_addc_co_u32_e64 v15, s[0:1], 0, v15, s[0:1]
	v_add_co_u32_e64 v14, s[0:1], 0, v14
	s_waitcnt lgkmcnt(0)
	v_addc_co_u32_e64 v1, s[0:1], v15, v1, s[0:1]
	v_cmp_eq_u32_e64 s[0:1], 0, v0
	v_cndmask_b32_e64 v15, v1, v19, s[0:1]
	v_cndmask_b32_e64 v14, v14, v18, s[0:1]
	ds_write_b64 v20, v[14:15]
	; wave barrier
	ds_read_b64 v[16:17], v20 offset:8
	s_waitcnt lgkmcnt(0)
	v_add_co_u32_e64 v14, s[0:1], v16, v14
	v_addc_co_u32_e64 v15, s[0:1], v17, v15, s[0:1]
	ds_write_b64 v20, v[14:15] offset:8
.LBB200_23:
	s_or_b64 exec, exec, s[8:9]
	v_cmp_eq_u32_e64 s[0:1], 0, v0
	v_cmp_ne_u32_e64 s[2:3], 0, v0
	v_pk_mov_b32 v[22:23], 0, 0
	s_waitcnt lgkmcnt(0)
	s_barrier
	s_and_saveexec_b64 s[8:9], s[2:3]
	s_cbranch_execz .LBB200_25
; %bb.24:
	v_add_u32_e32 v1, -1, v0
	v_lshrrev_b32_e32 v14, 5, v1
	v_add_lshl_u32 v1, v14, v1, 3
	ds_read_b64 v[22:23], v1
.LBB200_25:
	s_or_b64 exec, exec, s[8:9]
	s_and_saveexec_b64 s[22:23], vcc
	s_cbranch_execz .LBB200_44
; %bb.26:
	v_mov_b32_e32 v17, 0
	ds_read_b64 v[14:15], v17 offset:1040
	v_mbcnt_lo_u32_b32 v1, -1, 0
	v_mbcnt_hi_u32_b32 v30, -1, v1
	s_mov_b32 s11, 0
	v_cmp_eq_u32_e64 s[2:3], 0, v30
	s_and_saveexec_b64 s[8:9], s[2:3]
	s_cbranch_execz .LBB200_28
; %bb.27:
	s_add_i32 s10, s6, 64
	s_lshl_b64 s[10:11], s[10:11], 4
	s_add_u32 s10, s20, s10
	s_addc_u32 s11, s21, s11
	v_mov_b32_e32 v16, 1
	v_pk_mov_b32 v[18:19], s[10:11], s[10:11] op_sel:[0,1]
	s_waitcnt lgkmcnt(0)
	;;#ASMSTART
	global_store_dwordx4 v[18:19], v[14:17] off	
s_waitcnt vmcnt(0)
	;;#ASMEND
.LBB200_28:
	s_or_b64 exec, exec, s[8:9]
	v_xad_u32 v24, v30, -1, s6
	v_add_u32_e32 v16, 64, v24
	v_lshlrev_b64 v[18:19], 4, v[16:17]
	v_mov_b32_e32 v1, s21
	v_add_co_u32_e32 v26, vcc, s20, v18
	v_addc_co_u32_e32 v27, vcc, v1, v19, vcc
	;;#ASMSTART
	global_load_dwordx4 v[18:21], v[26:27] off glc	
s_waitcnt vmcnt(0)
	;;#ASMEND
	v_and_b32_e32 v1, 0xff, v19
	v_and_b32_e32 v16, 0xff00, v19
	v_or3_b32 v1, 0, v1, v16
	v_or3_b32 v16, v18, 0, 0
	v_and_b32_e32 v18, 0xff000000, v19
	v_and_b32_e32 v19, 0xff0000, v19
	v_or3_b32 v19, v1, v19, v18
	v_or3_b32 v18, v16, 0, 0
	v_cmp_eq_u16_sdwa s[10:11], v20, v17 src0_sel:BYTE_0 src1_sel:DWORD
	s_and_saveexec_b64 s[8:9], s[10:11]
	s_cbranch_execz .LBB200_32
; %bb.29:
	s_mov_b64 s[10:11], 0
	v_mov_b32_e32 v1, 0
.LBB200_30:                             ; =>This Inner Loop Header: Depth=1
	;;#ASMSTART
	global_load_dwordx4 v[18:21], v[26:27] off glc	
s_waitcnt vmcnt(0)
	;;#ASMEND
	v_cmp_ne_u16_sdwa s[26:27], v20, v1 src0_sel:BYTE_0 src1_sel:DWORD
	s_or_b64 s[10:11], s[26:27], s[10:11]
	s_andn2_b64 exec, exec, s[10:11]
	s_cbranch_execnz .LBB200_30
; %bb.31:
	s_or_b64 exec, exec, s[10:11]
.LBB200_32:
	s_or_b64 exec, exec, s[8:9]
	v_and_b32_e32 v32, 63, v30
	v_cmp_ne_u32_e32 vcc, 63, v32
	v_addc_co_u32_e32 v26, vcc, 0, v30, vcc
	v_lshlrev_b32_e32 v33, 2, v26
	ds_bpermute_b32 v26, v33, v18
	v_mov_b32_e32 v1, 2
	v_cmp_eq_u16_sdwa s[8:9], v20, v1 src0_sel:BYTE_0 src1_sel:DWORD
	v_lshlrev_b64 v[16:17], v30, -1
	ds_bpermute_b32 v27, v33, v19
	v_and_b32_e32 v21, s9, v17
	v_or_b32_e32 v21, 0x80000000, v21
	s_waitcnt lgkmcnt(1)
	v_add_co_u32_e32 v26, vcc, v18, v26
	v_and_b32_e32 v25, s8, v16
	v_ffbl_b32_e32 v21, v21
	v_addc_co_u32_e32 v31, vcc, 0, v19, vcc
	v_add_u32_e32 v21, 32, v21
	v_ffbl_b32_e32 v25, v25
	v_add_co_u32_e32 v35, vcc, 0, v26
	v_cmp_gt_u32_e64 s[8:9], 62, v32
	v_min_u32_e32 v21, v25, v21
	s_waitcnt lgkmcnt(0)
	v_addc_co_u32_e32 v27, vcc, v27, v31, vcc
	v_cndmask_b32_e64 v31, 0, 1, s[8:9]
	v_cmp_lt_u32_e32 vcc, v32, v21
	v_lshlrev_b32_e32 v31, 1, v31
	v_cndmask_b32_e32 v26, v18, v26, vcc
	v_add_lshl_u32 v34, v31, v30, 2
	v_cndmask_b32_e32 v27, v19, v27, vcc
	ds_bpermute_b32 v31, v34, v26
	ds_bpermute_b32 v39, v34, v27
	v_cndmask_b32_e32 v40, v18, v35, vcc
	v_add_u32_e32 v35, 2, v32
	v_cmp_gt_u32_e64 s[10:11], 60, v32
	s_waitcnt lgkmcnt(1)
	v_add_co_u32_e64 v31, s[8:9], v31, v40
	s_waitcnt lgkmcnt(0)
	v_addc_co_u32_e64 v39, s[8:9], v39, v27, s[8:9]
	v_cmp_gt_u32_e64 s[8:9], v35, v21
	v_cndmask_b32_e64 v27, v39, v27, s[8:9]
	v_cndmask_b32_e64 v39, 0, 1, s[10:11]
	v_lshlrev_b32_e32 v39, 2, v39
	v_cndmask_b32_e64 v26, v31, v26, s[8:9]
	v_add_lshl_u32 v39, v39, v30, 2
	ds_bpermute_b32 v41, v39, v26
	ds_bpermute_b32 v42, v39, v27
	v_cndmask_b32_e64 v31, v31, v40, s[8:9]
	v_add_u32_e32 v40, 4, v32
	v_cmp_gt_u32_e64 s[10:11], 56, v32
	s_waitcnt lgkmcnt(1)
	v_add_co_u32_e64 v43, s[8:9], v41, v31
	s_waitcnt lgkmcnt(0)
	v_addc_co_u32_e64 v41, s[8:9], v42, v27, s[8:9]
	v_cmp_gt_u32_e64 s[8:9], v40, v21
	v_cndmask_b32_e64 v27, v41, v27, s[8:9]
	v_cndmask_b32_e64 v41, 0, 1, s[10:11]
	v_lshlrev_b32_e32 v41, 3, v41
	v_cndmask_b32_e64 v26, v43, v26, s[8:9]
	v_add_lshl_u32 v41, v41, v30, 2
	ds_bpermute_b32 v44, v41, v26
	v_cndmask_b32_e64 v31, v43, v31, s[8:9]
	ds_bpermute_b32 v43, v41, v27
	v_add_u32_e32 v42, 8, v32
	v_cmp_gt_u32_e64 s[10:11], 48, v32
	s_waitcnt lgkmcnt(1)
	v_add_co_u32_e64 v44, s[8:9], v44, v31
	s_waitcnt lgkmcnt(0)
	v_addc_co_u32_e64 v43, s[8:9], v43, v27, s[8:9]
	v_cmp_gt_u32_e64 s[8:9], v42, v21
	v_cndmask_b32_e64 v27, v43, v27, s[8:9]
	v_cndmask_b32_e64 v43, 0, 1, s[10:11]
	v_lshlrev_b32_e32 v43, 4, v43
	v_cndmask_b32_e64 v26, v44, v26, s[8:9]
	v_add_lshl_u32 v43, v43, v30, 2
	ds_bpermute_b32 v45, v43, v26
	ds_bpermute_b32 v46, v43, v27
	v_cndmask_b32_e64 v31, v44, v31, s[8:9]
	v_cmp_gt_u32_e64 s[10:11], 32, v32
	v_add_u32_e32 v44, 16, v32
	s_waitcnt lgkmcnt(1)
	v_add_co_u32_e64 v47, s[8:9], v45, v31
	s_waitcnt lgkmcnt(0)
	v_addc_co_u32_e64 v46, s[8:9], v46, v27, s[8:9]
	v_cndmask_b32_e64 v45, 0, 1, s[10:11]
	v_cmp_gt_u32_e64 s[8:9], v44, v21
	v_lshlrev_b32_e32 v45, 5, v45
	v_cndmask_b32_e64 v26, v47, v26, s[8:9]
	v_add_lshl_u32 v45, v45, v30, 2
	v_cndmask_b32_e64 v27, v46, v27, s[8:9]
	ds_bpermute_b32 v26, v45, v26
	ds_bpermute_b32 v30, v45, v27
	v_add_u32_e32 v46, 32, v32
	v_cndmask_b32_e64 v31, v47, v31, s[8:9]
	v_cmp_le_u32_e64 s[8:9], v46, v21
	s_waitcnt lgkmcnt(1)
	v_cndmask_b32_e64 v26, 0, v26, s[8:9]
	s_waitcnt lgkmcnt(0)
	v_cndmask_b32_e64 v21, 0, v30, s[8:9]
	v_add_co_u32_e64 v26, s[8:9], v26, v31
	v_addc_co_u32_e64 v21, s[8:9], v21, v27, s[8:9]
	v_mov_b32_e32 v25, 0
	v_cndmask_b32_e32 v19, v19, v21, vcc
	v_cndmask_b32_e32 v18, v18, v26, vcc
	s_branch .LBB200_34
.LBB200_33:                             ;   in Loop: Header=BB200_34 Depth=1
	s_or_b64 exec, exec, s[8:9]
	v_cmp_eq_u16_sdwa s[8:9], v20, v1 src0_sel:BYTE_0 src1_sel:DWORD
	v_and_b32_e32 v21, s9, v17
	v_or_b32_e32 v21, 0x80000000, v21
	ds_bpermute_b32 v31, v33, v18
	v_and_b32_e32 v30, s8, v16
	v_ffbl_b32_e32 v21, v21
	v_add_u32_e32 v21, 32, v21
	v_ffbl_b32_e32 v30, v30
	v_min_u32_e32 v21, v30, v21
	ds_bpermute_b32 v30, v33, v19
	s_waitcnt lgkmcnt(1)
	v_add_co_u32_e32 v31, vcc, v18, v31
	v_addc_co_u32_e32 v47, vcc, 0, v19, vcc
	v_add_co_u32_e32 v48, vcc, 0, v31
	s_waitcnt lgkmcnt(0)
	v_addc_co_u32_e32 v30, vcc, v30, v47, vcc
	v_cmp_lt_u32_e32 vcc, v32, v21
	v_cndmask_b32_e32 v31, v18, v31, vcc
	ds_bpermute_b32 v47, v34, v31
	v_cndmask_b32_e32 v30, v19, v30, vcc
	ds_bpermute_b32 v49, v34, v30
	v_cndmask_b32_e32 v48, v18, v48, vcc
	v_subrev_u32_e32 v24, 64, v24
	s_waitcnt lgkmcnt(1)
	v_add_co_u32_e64 v47, s[8:9], v47, v48
	s_waitcnt lgkmcnt(0)
	v_addc_co_u32_e64 v49, s[8:9], v49, v30, s[8:9]
	v_cmp_gt_u32_e64 s[8:9], v35, v21
	v_cndmask_b32_e64 v31, v47, v31, s[8:9]
	ds_bpermute_b32 v50, v39, v31
	v_cndmask_b32_e64 v30, v49, v30, s[8:9]
	ds_bpermute_b32 v49, v39, v30
	v_cndmask_b32_e64 v47, v47, v48, s[8:9]
	s_waitcnt lgkmcnt(1)
	v_add_co_u32_e64 v48, s[8:9], v50, v47
	s_waitcnt lgkmcnt(0)
	v_addc_co_u32_e64 v49, s[8:9], v49, v30, s[8:9]
	v_cmp_gt_u32_e64 s[8:9], v40, v21
	v_cndmask_b32_e64 v31, v48, v31, s[8:9]
	ds_bpermute_b32 v50, v41, v31
	v_cndmask_b32_e64 v30, v49, v30, s[8:9]
	ds_bpermute_b32 v49, v41, v30
	v_cndmask_b32_e64 v47, v48, v47, s[8:9]
	;; [unrolled: 10-line block ×3, first 2 shown]
	s_waitcnt lgkmcnt(1)
	v_add_co_u32_e64 v48, s[8:9], v50, v47
	s_waitcnt lgkmcnt(0)
	v_addc_co_u32_e64 v49, s[8:9], v49, v30, s[8:9]
	v_cmp_gt_u32_e64 s[8:9], v44, v21
	v_cndmask_b32_e64 v31, v48, v31, s[8:9]
	v_cndmask_b32_e64 v30, v49, v30, s[8:9]
	ds_bpermute_b32 v31, v45, v31
	ds_bpermute_b32 v49, v45, v30
	v_cndmask_b32_e64 v47, v48, v47, s[8:9]
	v_cmp_le_u32_e64 s[8:9], v46, v21
	s_waitcnt lgkmcnt(1)
	v_cndmask_b32_e64 v31, 0, v31, s[8:9]
	s_waitcnt lgkmcnt(0)
	v_cndmask_b32_e64 v21, 0, v49, s[8:9]
	v_add_co_u32_e64 v31, s[8:9], v31, v47
	v_addc_co_u32_e64 v21, s[8:9], v21, v30, s[8:9]
	v_cndmask_b32_e32 v18, v18, v31, vcc
	v_cndmask_b32_e32 v19, v19, v21, vcc
	v_add_co_u32_e32 v18, vcc, v18, v26
	v_addc_co_u32_e32 v19, vcc, v19, v27, vcc
.LBB200_34:                             ; =>This Loop Header: Depth=1
                                        ;     Child Loop BB200_37 Depth 2
	v_cmp_ne_u16_sdwa s[8:9], v20, v1 src0_sel:BYTE_0 src1_sel:DWORD
	v_cndmask_b32_e64 v20, 0, 1, s[8:9]
	;;#ASMSTART
	;;#ASMEND
	v_cmp_ne_u32_e32 vcc, 0, v20
	s_cmp_lg_u64 vcc, exec
	v_pk_mov_b32 v[26:27], v[18:19], v[18:19] op_sel:[0,1]
	s_cbranch_scc1 .LBB200_39
; %bb.35:                               ;   in Loop: Header=BB200_34 Depth=1
	v_lshlrev_b64 v[18:19], 4, v[24:25]
	v_mov_b32_e32 v20, s21
	v_add_co_u32_e32 v30, vcc, s20, v18
	v_addc_co_u32_e32 v31, vcc, v20, v19, vcc
	;;#ASMSTART
	global_load_dwordx4 v[18:21], v[30:31] off glc	
s_waitcnt vmcnt(0)
	;;#ASMEND
	v_and_b32_e32 v21, 0xff, v19
	v_and_b32_e32 v47, 0xff00, v19
	v_or3_b32 v21, 0, v21, v47
	v_or3_b32 v18, v18, 0, 0
	v_and_b32_e32 v47, 0xff000000, v19
	v_and_b32_e32 v19, 0xff0000, v19
	v_or3_b32 v19, v21, v19, v47
	v_or3_b32 v18, v18, 0, 0
	v_cmp_eq_u16_sdwa s[10:11], v20, v25 src0_sel:BYTE_0 src1_sel:DWORD
	s_and_saveexec_b64 s[8:9], s[10:11]
	s_cbranch_execz .LBB200_33
; %bb.36:                               ;   in Loop: Header=BB200_34 Depth=1
	s_mov_b64 s[10:11], 0
.LBB200_37:                             ;   Parent Loop BB200_34 Depth=1
                                        ; =>  This Inner Loop Header: Depth=2
	;;#ASMSTART
	global_load_dwordx4 v[18:21], v[30:31] off glc	
s_waitcnt vmcnt(0)
	;;#ASMEND
	v_cmp_ne_u16_sdwa s[26:27], v20, v25 src0_sel:BYTE_0 src1_sel:DWORD
	s_or_b64 s[10:11], s[26:27], s[10:11]
	s_andn2_b64 exec, exec, s[10:11]
	s_cbranch_execnz .LBB200_37
; %bb.38:                               ;   in Loop: Header=BB200_34 Depth=1
	s_or_b64 exec, exec, s[10:11]
	s_branch .LBB200_33
.LBB200_39:                             ;   in Loop: Header=BB200_34 Depth=1
                                        ; implicit-def: $vgpr18_vgpr19
                                        ; implicit-def: $vgpr20
	s_cbranch_execz .LBB200_34
; %bb.40:
	s_and_saveexec_b64 s[8:9], s[2:3]
	s_cbranch_execz .LBB200_42
; %bb.41:
	s_add_i32 s2, s6, 64
	s_mov_b32 s3, 0
	s_lshl_b64 s[2:3], s[2:3], 4
	s_add_u32 s2, s20, s2
	v_add_co_u32_e32 v14, vcc, v26, v14
	s_addc_u32 s3, s21, s3
	v_addc_co_u32_e32 v15, vcc, v27, v15, vcc
	v_mov_b32_e32 v16, 2
	v_mov_b32_e32 v17, 0
	v_pk_mov_b32 v[18:19], s[2:3], s[2:3] op_sel:[0,1]
	;;#ASMSTART
	global_store_dwordx4 v[18:19], v[14:17] off	
s_waitcnt vmcnt(0)
	;;#ASMEND
.LBB200_42:
	s_or_b64 exec, exec, s[8:9]
	s_and_b64 exec, exec, s[0:1]
	s_cbranch_execz .LBB200_44
; %bb.43:
	v_mov_b32_e32 v1, 0
	ds_write_b64 v1, v[26:27]
.LBB200_44:
	s_or_b64 exec, exec, s[22:23]
	v_mov_b32_e32 v1, 0
	s_waitcnt lgkmcnt(0)
	s_barrier
	ds_read_b64 v[14:15], v1
	v_add_co_u32_e32 v1, vcc, v22, v2
	v_addc_co_u32_e32 v16, vcc, v23, v3, vcc
	s_waitcnt lgkmcnt(0)
	v_add_co_u32_e32 v24, vcc, v1, v14
	v_addc_co_u32_e32 v25, vcc, v16, v15, vcc
	v_add_co_u32_e32 v30, vcc, v24, v4
	v_addc_co_u32_e32 v31, vcc, v25, v5, vcc
	;; [unrolled: 2-line block ×7, first 2 shown]
	s_load_dwordx8 s[4:11], s[4:5], 0x40
	s_branch .LBB200_59
.LBB200_45:
                                        ; implicit-def: $vgpr22_vgpr23
                                        ; implicit-def: $vgpr34_vgpr35
                                        ; implicit-def: $vgpr32_vgpr33
                                        ; implicit-def: $vgpr30_vgpr31
                                        ; implicit-def: $vgpr18_vgpr19_vgpr20_vgpr21
                                        ; implicit-def: $vgpr14_vgpr15_vgpr16_vgpr17
                                        ; implicit-def: $vgpr24_vgpr25_vgpr26_vgpr27
	s_load_dwordx8 s[4:11], s[4:5], 0x40
	s_cbranch_execz .LBB200_59
; %bb.46:
	s_waitcnt lgkmcnt(0)
	s_cmp_lg_u64 s[8:9], 0
	s_cselect_b64 s[2:3], -1, 0
	v_cmp_eq_u32_e64 s[0:1], 0, v0
	v_cmp_ne_u32_e32 vcc, 0, v0
	s_and_b64 s[2:3], s[0:1], s[2:3]
	s_and_saveexec_b64 s[8:9], s[2:3]
	s_cbranch_execz .LBB200_48
; %bb.47:
	v_mov_b32_e32 v1, 0
	global_load_dwordx2 v[14:15], v1, s[4:5]
	s_waitcnt vmcnt(0)
	v_add_co_u32_e64 v2, s[2:3], v14, v2
	v_addc_co_u32_e64 v3, s[2:3], v15, v3, s[2:3]
.LBB200_48:
	s_or_b64 exec, exec, s[8:9]
	v_add_co_u32_e64 v30, s[2:3], v4, v2
	v_addc_co_u32_e64 v31, s[2:3], v5, v3, s[2:3]
	v_add_co_u32_e64 v14, s[2:3], v30, v10
	v_addc_co_u32_e64 v15, s[2:3], v31, v11, s[2:3]
	;; [unrolled: 2-line block ×6, first 2 shown]
	v_add_lshl_u32 v1, v38, v0, 3
	v_cmp_gt_u32_e64 s[2:3], 64, v0
	ds_write_b64 v1, v[22:23]
	s_waitcnt lgkmcnt(0)
	s_barrier
	s_and_saveexec_b64 s[8:9], s[2:3]
	s_cbranch_execz .LBB200_52
; %bb.49:
	v_lshlrev_b32_e32 v1, 1, v0
	v_lshrrev_b32_e32 v16, 4, v0
	v_add_lshl_u32 v17, v16, v1, 3
	ds_read2_b64 v[24:27], v17 offset1:1
	v_mbcnt_lo_u32_b32 v1, -1, 0
	v_mbcnt_hi_u32_b32 v20, -1, v1
	v_and_b32_e32 v1, 15, v20
	v_cmp_ne_u32_e64 s[4:5], 0, v20
	s_waitcnt lgkmcnt(0)
	v_add_co_u32_e64 v21, s[2:3], v26, v24
	v_addc_co_u32_e64 v26, s[2:3], v27, v25, s[2:3]
	s_nop 0
	v_mov_b32_dpp v16, v21 row_shr:1 row_mask:0xf bank_mask:0xf
	v_add_co_u32_e64 v16, s[2:3], v21, v16
	v_addc_co_u32_e64 v38, s[2:3], 0, v26, s[2:3]
	v_mov_b32_dpp v27, v26 row_shr:1 row_mask:0xf bank_mask:0xf
	v_add_co_u32_e64 v39, s[2:3], 0, v16
	v_addc_co_u32_e64 v27, s[2:3], v27, v38, s[2:3]
	v_cmp_eq_u32_e64 s[2:3], 0, v1
	v_cndmask_b32_e64 v16, v16, v21, s[2:3]
	v_cndmask_b32_e64 v27, v27, v26, s[2:3]
	v_cndmask_b32_e64 v38, v39, v21, s[2:3]
	v_mov_b32_dpp v39, v16 row_shr:2 row_mask:0xf bank_mask:0xf
	v_mov_b32_dpp v40, v27 row_shr:2 row_mask:0xf bank_mask:0xf
	v_add_co_u32_e64 v39, s[2:3], v39, v38
	v_addc_co_u32_e64 v40, s[2:3], v40, v27, s[2:3]
	v_cmp_lt_u32_e64 s[2:3], 1, v1
	v_cndmask_b32_e64 v16, v16, v39, s[2:3]
	v_cndmask_b32_e64 v27, v27, v40, s[2:3]
	v_cndmask_b32_e64 v38, v38, v39, s[2:3]
	v_mov_b32_dpp v39, v16 row_shr:4 row_mask:0xf bank_mask:0xf
	v_mov_b32_dpp v40, v27 row_shr:4 row_mask:0xf bank_mask:0xf
	v_add_co_u32_e64 v39, s[2:3], v39, v38
	v_addc_co_u32_e64 v40, s[2:3], v40, v27, s[2:3]
	v_cmp_lt_u32_e64 s[2:3], 3, v1
	;; [unrolled: 8-line block ×3, first 2 shown]
	v_cndmask_b32_e64 v41, v16, v39, s[2:3]
	v_cndmask_b32_e64 v1, v27, v40, s[2:3]
	;; [unrolled: 1-line block ×3, first 2 shown]
	v_mov_b32_dpp v27, v41 row_bcast:15 row_mask:0xf bank_mask:0xf
	v_mov_b32_dpp v38, v1 row_bcast:15 row_mask:0xf bank_mask:0xf
	v_add_co_u32_e64 v27, s[2:3], v27, v16
	v_and_b32_e32 v40, 16, v20
	v_addc_co_u32_e64 v39, s[2:3], v38, v1, s[2:3]
	v_cmp_eq_u32_e64 s[2:3], 0, v40
	v_cndmask_b32_e64 v40, v39, v1, s[2:3]
	v_cndmask_b32_e64 v38, v27, v41, s[2:3]
	s_nop 0
	v_mov_b32_dpp v40, v40 row_bcast:31 row_mask:0xf bank_mask:0xf
	v_mov_b32_dpp v38, v38 row_bcast:31 row_mask:0xf bank_mask:0xf
	s_and_saveexec_b64 s[22:23], s[4:5]
; %bb.50:
	v_cndmask_b32_e64 v1, v39, v1, s[2:3]
	v_cndmask_b32_e64 v16, v27, v16, s[2:3]
	v_cmp_lt_u32_e64 s[2:3], 31, v20
	v_cndmask_b32_e64 v21, 0, v38, s[2:3]
	v_cndmask_b32_e64 v26, 0, v40, s[2:3]
	v_add_co_u32_e64 v21, s[2:3], v21, v16
	v_addc_co_u32_e64 v26, s[2:3], v26, v1, s[2:3]
; %bb.51:
	s_or_b64 exec, exec, s[22:23]
	v_add_u32_e32 v1, -1, v20
	v_and_b32_e32 v16, 64, v20
	v_cmp_lt_i32_e64 s[2:3], v1, v16
	v_cndmask_b32_e64 v1, v1, v20, s[2:3]
	v_lshlrev_b32_e32 v1, 2, v1
	ds_bpermute_b32 v16, v1, v21
	ds_bpermute_b32 v1, v1, v26
	; wave barrier
	s_waitcnt lgkmcnt(1)
	v_add_co_u32_e64 v16, s[2:3], v24, v16
	v_addc_co_u32_e64 v20, s[2:3], 0, v25, s[2:3]
	v_add_co_u32_e64 v16, s[2:3], 0, v16
	s_waitcnt lgkmcnt(0)
	v_addc_co_u32_e64 v1, s[2:3], v20, v1, s[2:3]
	v_cndmask_b32_e64 v21, v1, v23, s[0:1]
	v_cndmask_b32_e64 v20, v16, v22, s[0:1]
	ds_write_b64 v17, v[20:21]
	; wave barrier
	ds_read_b64 v[24:25], v17 offset:8
	s_waitcnt lgkmcnt(0)
	v_add_co_u32_e64 v20, s[0:1], v24, v20
	v_addc_co_u32_e64 v21, s[0:1], v25, v21, s[0:1]
	ds_write_b64 v17, v[20:21] offset:8
.LBB200_52:
	s_or_b64 exec, exec, s[8:9]
	v_pk_mov_b32 v[16:17], v[22:23], v[22:23] op_sel:[0,1]
	s_waitcnt lgkmcnt(0)
	s_barrier
	s_and_saveexec_b64 s[0:1], vcc
	s_cbranch_execz .LBB200_54
; %bb.53:
	v_add_u32_e32 v1, -1, v0
	v_lshrrev_b32_e32 v16, 5, v1
	v_add_lshl_u32 v1, v16, v1, 3
	ds_read_b64 v[16:17], v1
.LBB200_54:
	s_or_b64 exec, exec, s[0:1]
	s_and_saveexec_b64 s[0:1], vcc
	s_cbranch_execz .LBB200_56
; %bb.55:
	s_waitcnt lgkmcnt(0)
	v_add_co_u32_e32 v2, vcc, v16, v2
	v_addc_co_u32_e32 v3, vcc, v17, v3, vcc
	v_add_co_u32_e32 v30, vcc, v2, v4
	v_addc_co_u32_e32 v31, vcc, v3, v5, vcc
	;; [unrolled: 2-line block ×7, first 2 shown]
	;;#ASMSTART
	;;#ASMEND
.LBB200_56:
	s_or_b64 exec, exec, s[0:1]
	s_movk_i32 s0, 0x7f
	v_cmp_eq_u32_e32 vcc, s0, v0
	s_and_saveexec_b64 s[0:1], vcc
	s_cbranch_execz .LBB200_58
; %bb.57:
	s_add_u32 s2, s20, 0x400
	s_addc_u32 s3, s21, 0
	v_mov_b32_e32 v24, 2
	v_mov_b32_e32 v25, 0
	v_pk_mov_b32 v[4:5], s[2:3], s[2:3] op_sel:[0,1]
	;;#ASMSTART
	global_store_dwordx4 v[4:5], v[22:25] off	
s_waitcnt vmcnt(0)
	;;#ASMEND
.LBB200_58:
	s_or_b64 exec, exec, s[0:1]
	v_pk_mov_b32 v[24:25], v[2:3], v[2:3] op_sel:[0,1]
.LBB200_59:
	s_add_u32 s0, s12, s16
	s_addc_u32 s1, s13, s17
	s_add_u32 s2, s0, s18
	s_addc_u32 s3, s1, s19
	s_mov_b64 s[0:1], -1
	s_and_b64 vcc, exec, s[14:15]
	v_mul_u32_u24_e32 v1, 56, v0
	s_waitcnt lgkmcnt(0)
	s_barrier
	s_cbranch_vccz .LBB200_61
; %bb.60:
	v_mul_i32_i24_e32 v2, 0xffffffd0, v0
	v_mad_u32_u24 v16, v0, 56, v2
	ds_write2_b64 v1, v[24:25], v[30:31] offset1:1
	ds_write2_b64 v1, v[14:15], v[32:33] offset0:2 offset1:3
	ds_write2_b64 v1, v[18:19], v[34:35] offset0:4 offset1:5
	ds_write_b64 v1, v[22:23] offset:48
	s_waitcnt lgkmcnt(0)
	s_barrier
	ds_read2st64_b64 v[2:5], v16 offset1:2
	ds_read2st64_b64 v[6:9], v16 offset0:4 offset1:6
	ds_read2st64_b64 v[10:13], v16 offset0:8 offset1:10
	ds_read_b64 v[16:17], v16 offset:6144
	v_mov_b32_e32 v21, s3
	v_add_co_u32_e32 v20, vcc, s2, v36
	v_addc_co_u32_e32 v21, vcc, 0, v21, vcc
	s_waitcnt lgkmcnt(3)
	flat_store_dwordx2 v[20:21], v[2:3]
	flat_store_dwordx2 v[20:21], v[4:5] offset:1024
	s_waitcnt lgkmcnt(0)
	flat_store_dwordx2 v[20:21], v[6:7] offset:2048
	flat_store_dwordx2 v[20:21], v[8:9] offset:3072
	v_add_co_u32_e32 v2, vcc, 0x1000, v20
	v_addc_co_u32_e32 v3, vcc, 0, v21, vcc
	flat_store_dwordx2 v[2:3], v[10:11]
	flat_store_dwordx2 v[2:3], v[12:13] offset:1024
	flat_store_dwordx2 v[2:3], v[16:17] offset:2048
	s_mov_b64 s[0:1], 0
.LBB200_61:
	s_andn2_b64 vcc, exec, s[0:1]
	s_cbranch_vccnz .LBB200_100
; %bb.62:
	v_mul_i32_i24_e32 v2, 0xffffffd0, v0
	ds_write2_b64 v1, v[24:25], v[30:31] offset1:1
	ds_write2_b64 v1, v[14:15], v[32:33] offset0:2 offset1:3
	ds_write2_b64 v1, v[18:19], v[34:35] offset0:4 offset1:5
	ds_write_b64 v1, v[22:23] offset:48
	v_mad_u32_u24 v14, v0, 56, v2
	s_waitcnt lgkmcnt(0)
	s_barrier
	ds_read2st64_b64 v[2:5], v14 offset1:2
	ds_read2st64_b64 v[6:9], v14 offset0:4 offset1:6
	ds_read2st64_b64 v[10:13], v14 offset0:8 offset1:10
	ds_read_b64 v[14:15], v14 offset:6144
	v_mov_b32_e32 v17, s3
	v_add_co_u32_e32 v16, vcc, s2, v36
	v_addc_co_u32_e32 v17, vcc, 0, v17, vcc
	v_mov_b32_e32 v1, 0
	v_cmp_gt_u32_e32 vcc, s24, v0
	s_and_saveexec_b64 s[0:1], vcc
	s_cbranch_execz .LBB200_64
; %bb.63:
	s_waitcnt lgkmcnt(0)
	flat_store_dwordx2 v[16:17], v[2:3]
.LBB200_64:
	s_or_b64 exec, exec, s[0:1]
	v_or_b32_e32 v18, 0x80, v0
	v_cmp_gt_u32_e32 vcc, s24, v18
	s_and_saveexec_b64 s[0:1], vcc
	s_cbranch_execz .LBB200_66
; %bb.65:
	s_waitcnt lgkmcnt(0)
	flat_store_dwordx2 v[16:17], v[4:5] offset:1024
.LBB200_66:
	s_or_b64 exec, exec, s[0:1]
	v_or_b32_e32 v18, 0x100, v0
	v_cmp_gt_u32_e32 vcc, s24, v18
	s_and_saveexec_b64 s[0:1], vcc
	s_cbranch_execz .LBB200_68
; %bb.67:
	s_waitcnt lgkmcnt(0)
	flat_store_dwordx2 v[16:17], v[6:7] offset:2048
.LBB200_68:
	;; [unrolled: 9-line block ×3, first 2 shown]
	s_or_b64 exec, exec, s[0:1]
	v_or_b32_e32 v18, 0x200, v0
	v_cmp_gt_u32_e32 vcc, s24, v18
	s_and_saveexec_b64 s[0:1], vcc
	s_cbranch_execz .LBB200_72
; %bb.71:
	v_add_co_u32_e32 v18, vcc, 0x1000, v16
	v_addc_co_u32_e32 v19, vcc, 0, v17, vcc
	s_waitcnt lgkmcnt(0)
	flat_store_dwordx2 v[18:19], v[10:11]
.LBB200_72:
	s_or_b64 exec, exec, s[0:1]
	v_or_b32_e32 v18, 0x280, v0
	v_cmp_gt_u32_e32 vcc, s24, v18
	s_and_saveexec_b64 s[0:1], vcc
	s_cbranch_execz .LBB200_74
; %bb.73:
	v_add_co_u32_e32 v18, vcc, 0x1000, v16
	v_addc_co_u32_e32 v19, vcc, 0, v17, vcc
	s_waitcnt lgkmcnt(0)
	flat_store_dwordx2 v[18:19], v[12:13] offset:1024
.LBB200_74:
	s_or_b64 exec, exec, s[0:1]
	v_or_b32_e32 v18, 0x300, v0
	v_cmp_gt_u32_e32 vcc, s24, v18
	s_and_saveexec_b64 s[0:1], vcc
	s_cbranch_execz .LBB200_76
; %bb.75:
	v_add_co_u32_e32 v16, vcc, 0x1000, v16
	v_addc_co_u32_e32 v17, vcc, 0, v17, vcc
	s_waitcnt lgkmcnt(0)
	flat_store_dwordx2 v[16:17], v[14:15] offset:2048
.LBB200_76:
	s_or_b64 exec, exec, s[0:1]
	v_cmp_lt_u64_e64 s[0:1], s[10:11], 2
	s_and_b64 vcc, exec, s[0:1]
	s_cbranch_vccnz .LBB200_100
; %bb.77:
	s_add_u32 s0, s24, -1
	s_addc_u32 s1, s25, -1
	s_add_u32 s2, 0, 0x92481000
	s_addc_u32 s3, 0, 0x64
	s_add_i32 s3, s3, 0x249248c0
	s_mul_hi_u32 s9, s2, -7
	s_sub_i32 s9, s9, s2
	s_mul_i32 s10, s3, -7
	s_mul_i32 s4, s2, -7
	s_add_i32 s9, s9, s10
	s_mul_hi_u32 s5, s3, s4
	s_mul_i32 s8, s3, s4
	s_mul_i32 s11, s2, s9
	s_mul_hi_u32 s4, s2, s4
	s_mul_hi_u32 s10, s2, s9
	s_add_u32 s4, s4, s11
	s_addc_u32 s10, 0, s10
	s_add_u32 s4, s4, s8
	s_mul_hi_u32 s11, s3, s9
	s_addc_u32 s4, s10, s5
	s_addc_u32 s5, s11, 0
	s_mul_i32 s8, s3, s9
	s_add_u32 s4, s4, s8
	v_mov_b32_e32 v16, s4
	s_addc_u32 s5, 0, s5
	v_add_co_u32_e32 v16, vcc, s2, v16
	s_cmp_lg_u64 vcc, 0
	s_addc_u32 s2, s3, s5
	v_readfirstlane_b32 s5, v16
	s_mul_i32 s4, s0, s2
	s_mul_hi_u32 s8, s0, s5
	s_mul_hi_u32 s3, s0, s2
	s_add_u32 s4, s8, s4
	s_addc_u32 s3, 0, s3
	s_mul_hi_u32 s9, s1, s5
	s_mul_i32 s5, s1, s5
	s_add_u32 s4, s4, s5
	s_mul_hi_u32 s8, s1, s2
	s_addc_u32 s3, s3, s9
	s_addc_u32 s4, s8, 0
	s_mul_i32 s2, s1, s2
	s_add_u32 s2, s3, s2
	s_addc_u32 s3, 0, s4
	s_add_u32 s4, s2, 1
	s_addc_u32 s5, s3, 0
	s_add_u32 s8, s2, 2
	s_mul_i32 s10, s3, 7
	s_mul_hi_u32 s11, s2, 7
	s_addc_u32 s9, s3, 0
	s_add_i32 s11, s11, s10
	s_mul_i32 s10, s2, 7
	v_mov_b32_e32 v16, s10
	v_sub_co_u32_e32 v16, vcc, s0, v16
	s_cmp_lg_u64 vcc, 0
	s_subb_u32 s10, s1, s11
	v_subrev_co_u32_e32 v17, vcc, 7, v16
	s_cmp_lg_u64 vcc, 0
	s_subb_u32 s11, s10, 0
	v_readfirstlane_b32 s12, v17
	s_cmp_gt_u32 s12, 6
	s_cselect_b32 s12, -1, 0
	s_cmp_eq_u32 s11, 0
	s_cselect_b32 s11, s12, -1
	s_cmp_lg_u32 s11, 0
	s_cselect_b32 s4, s8, s4
	v_readfirstlane_b32 s8, v16
	s_cselect_b32 s5, s9, s5
	s_cmp_gt_u32 s8, 6
	s_cselect_b32 s8, -1, 0
	s_cmp_eq_u32 s10, 0
	s_cselect_b32 s8, s8, -1
	s_cmp_lg_u32 s8, 0
	s_cselect_b32 s3, s5, s3
	s_cselect_b32 s2, s4, s2
	v_cmp_eq_u64_e32 vcc, s[2:3], v[0:1]
	s_and_saveexec_b64 s[2:3], vcc
	s_cbranch_execz .LBB200_100
; %bb.78:
	v_mul_hi_u32_u24_e32 v1, 7, v0
	v_mov_b32_e32 v16, s1
	v_sub_co_u32_e32 v0, vcc, s0, v37
	v_subb_co_u32_e32 v1, vcc, v16, v1, vcc
	v_cmp_lt_i64_e32 vcc, 3, v[0:1]
	s_and_saveexec_b64 s[0:1], vcc
	s_xor_b64 s[0:1], exec, s[0:1]
	s_cbranch_execz .LBB200_88
; %bb.79:
	v_cmp_lt_i64_e32 vcc, 4, v[0:1]
	s_and_saveexec_b64 s[2:3], vcc
	s_xor_b64 s[2:3], exec, s[2:3]
	s_cbranch_execz .LBB200_85
; %bb.80:
	v_cmp_lt_i64_e32 vcc, 5, v[0:1]
	s_and_saveexec_b64 s[4:5], vcc
	s_xor_b64 s[4:5], exec, s[4:5]
	s_cbranch_execz .LBB200_82
; %bb.81:
	v_mov_b32_e32 v0, 0
	s_waitcnt lgkmcnt(0)
	global_store_dwordx2 v0, v[14:15], s[6:7]
                                        ; implicit-def: $vgpr10_vgpr11_vgpr12_vgpr13
.LBB200_82:
	s_andn2_saveexec_b64 s[4:5], s[4:5]
	s_cbranch_execz .LBB200_84
; %bb.83:
	v_mov_b32_e32 v0, 0
	s_waitcnt lgkmcnt(0)
	global_store_dwordx2 v0, v[12:13], s[6:7]
.LBB200_84:
	s_or_b64 exec, exec, s[4:5]
                                        ; implicit-def: $vgpr10_vgpr11_vgpr12_vgpr13
.LBB200_85:
	s_andn2_saveexec_b64 s[2:3], s[2:3]
	s_cbranch_execz .LBB200_87
; %bb.86:
	v_mov_b32_e32 v0, 0
	s_waitcnt lgkmcnt(0)
	global_store_dwordx2 v0, v[10:11], s[6:7]
.LBB200_87:
	s_or_b64 exec, exec, s[2:3]
                                        ; implicit-def: $vgpr0_vgpr1
                                        ; implicit-def: $vgpr2_vgpr3_vgpr4_vgpr5
                                        ; implicit-def: $vgpr6_vgpr7_vgpr8_vgpr9
.LBB200_88:
	s_andn2_saveexec_b64 s[0:1], s[0:1]
	s_cbranch_execz .LBB200_100
; %bb.89:
	v_cmp_lt_i64_e32 vcc, 1, v[0:1]
	s_and_saveexec_b64 s[0:1], vcc
	s_xor_b64 s[0:1], exec, s[0:1]
	s_cbranch_execz .LBB200_95
; %bb.90:
	v_cmp_lt_i64_e32 vcc, 2, v[0:1]
	s_and_saveexec_b64 s[2:3], vcc
	s_xor_b64 s[2:3], exec, s[2:3]
	s_cbranch_execz .LBB200_92
; %bb.91:
	v_mov_b32_e32 v0, 0
	s_waitcnt lgkmcnt(0)
	global_store_dwordx2 v0, v[8:9], s[6:7]
                                        ; implicit-def: $vgpr6_vgpr7_vgpr8_vgpr9
.LBB200_92:
	s_andn2_saveexec_b64 s[2:3], s[2:3]
	s_cbranch_execz .LBB200_94
; %bb.93:
	v_mov_b32_e32 v0, 0
	s_waitcnt lgkmcnt(0)
	global_store_dwordx2 v0, v[6:7], s[6:7]
.LBB200_94:
	s_or_b64 exec, exec, s[2:3]
                                        ; implicit-def: $vgpr2_vgpr3_vgpr4_vgpr5
                                        ; implicit-def: $vgpr0_vgpr1
.LBB200_95:
	s_andn2_saveexec_b64 s[0:1], s[0:1]
	s_cbranch_execz .LBB200_100
; %bb.96:
	v_cmp_ne_u64_e32 vcc, 1, v[0:1]
	s_and_saveexec_b64 s[0:1], vcc
	s_xor_b64 s[0:1], exec, s[0:1]
	s_cbranch_execz .LBB200_98
; %bb.97:
	v_mov_b32_e32 v0, 0
	s_waitcnt lgkmcnt(0)
	global_store_dwordx2 v0, v[2:3], s[6:7]
                                        ; implicit-def: $vgpr2_vgpr3_vgpr4_vgpr5
.LBB200_98:
	s_andn2_saveexec_b64 s[0:1], s[0:1]
	s_cbranch_execz .LBB200_100
; %bb.99:
	v_mov_b32_e32 v0, 0
	s_waitcnt lgkmcnt(0)
	global_store_dwordx2 v0, v[4:5], s[6:7]
.LBB200_100:
	s_endpgm
	.section	.rodata,"a",@progbits
	.p2align	6, 0x0
	.amdhsa_kernel _ZN7rocprim17ROCPRIM_400000_NS6detail17trampoline_kernelINS0_14default_configENS1_20scan_config_selectorIxEEZZNS1_9scan_implILNS1_25lookback_scan_determinismE0ELb0ELb0ES3_N6thrust23THRUST_200600_302600_NS6detail15normal_iteratorINS9_10device_ptrIxEEEESE_xNS9_4plusIxEExEEDaPvRmT3_T4_T5_mT6_P12ihipStream_tbENKUlT_T0_E_clISt17integral_constantIbLb0EESU_EEDaSP_SQ_EUlSP_E_NS1_11comp_targetILNS1_3genE4ELNS1_11target_archE910ELNS1_3gpuE8ELNS1_3repE0EEENS1_30default_config_static_selectorELNS0_4arch9wavefront6targetE1EEEvT1_
		.amdhsa_group_segment_fixed_size 7168
		.amdhsa_private_segment_fixed_size 0
		.amdhsa_kernarg_size 104
		.amdhsa_user_sgpr_count 6
		.amdhsa_user_sgpr_private_segment_buffer 1
		.amdhsa_user_sgpr_dispatch_ptr 0
		.amdhsa_user_sgpr_queue_ptr 0
		.amdhsa_user_sgpr_kernarg_segment_ptr 1
		.amdhsa_user_sgpr_dispatch_id 0
		.amdhsa_user_sgpr_flat_scratch_init 0
		.amdhsa_user_sgpr_kernarg_preload_length 0
		.amdhsa_user_sgpr_kernarg_preload_offset 0
		.amdhsa_user_sgpr_private_segment_size 0
		.amdhsa_uses_dynamic_stack 0
		.amdhsa_system_sgpr_private_segment_wavefront_offset 0
		.amdhsa_system_sgpr_workgroup_id_x 1
		.amdhsa_system_sgpr_workgroup_id_y 0
		.amdhsa_system_sgpr_workgroup_id_z 0
		.amdhsa_system_sgpr_workgroup_info 0
		.amdhsa_system_vgpr_workitem_id 0
		.amdhsa_next_free_vgpr 51
		.amdhsa_next_free_sgpr 28
		.amdhsa_accum_offset 52
		.amdhsa_reserve_vcc 1
		.amdhsa_reserve_flat_scratch 0
		.amdhsa_float_round_mode_32 0
		.amdhsa_float_round_mode_16_64 0
		.amdhsa_float_denorm_mode_32 3
		.amdhsa_float_denorm_mode_16_64 3
		.amdhsa_dx10_clamp 1
		.amdhsa_ieee_mode 1
		.amdhsa_fp16_overflow 0
		.amdhsa_tg_split 0
		.amdhsa_exception_fp_ieee_invalid_op 0
		.amdhsa_exception_fp_denorm_src 0
		.amdhsa_exception_fp_ieee_div_zero 0
		.amdhsa_exception_fp_ieee_overflow 0
		.amdhsa_exception_fp_ieee_underflow 0
		.amdhsa_exception_fp_ieee_inexact 0
		.amdhsa_exception_int_div_zero 0
	.end_amdhsa_kernel
	.section	.text._ZN7rocprim17ROCPRIM_400000_NS6detail17trampoline_kernelINS0_14default_configENS1_20scan_config_selectorIxEEZZNS1_9scan_implILNS1_25lookback_scan_determinismE0ELb0ELb0ES3_N6thrust23THRUST_200600_302600_NS6detail15normal_iteratorINS9_10device_ptrIxEEEESE_xNS9_4plusIxEExEEDaPvRmT3_T4_T5_mT6_P12ihipStream_tbENKUlT_T0_E_clISt17integral_constantIbLb0EESU_EEDaSP_SQ_EUlSP_E_NS1_11comp_targetILNS1_3genE4ELNS1_11target_archE910ELNS1_3gpuE8ELNS1_3repE0EEENS1_30default_config_static_selectorELNS0_4arch9wavefront6targetE1EEEvT1_,"axG",@progbits,_ZN7rocprim17ROCPRIM_400000_NS6detail17trampoline_kernelINS0_14default_configENS1_20scan_config_selectorIxEEZZNS1_9scan_implILNS1_25lookback_scan_determinismE0ELb0ELb0ES3_N6thrust23THRUST_200600_302600_NS6detail15normal_iteratorINS9_10device_ptrIxEEEESE_xNS9_4plusIxEExEEDaPvRmT3_T4_T5_mT6_P12ihipStream_tbENKUlT_T0_E_clISt17integral_constantIbLb0EESU_EEDaSP_SQ_EUlSP_E_NS1_11comp_targetILNS1_3genE4ELNS1_11target_archE910ELNS1_3gpuE8ELNS1_3repE0EEENS1_30default_config_static_selectorELNS0_4arch9wavefront6targetE1EEEvT1_,comdat
.Lfunc_end200:
	.size	_ZN7rocprim17ROCPRIM_400000_NS6detail17trampoline_kernelINS0_14default_configENS1_20scan_config_selectorIxEEZZNS1_9scan_implILNS1_25lookback_scan_determinismE0ELb0ELb0ES3_N6thrust23THRUST_200600_302600_NS6detail15normal_iteratorINS9_10device_ptrIxEEEESE_xNS9_4plusIxEExEEDaPvRmT3_T4_T5_mT6_P12ihipStream_tbENKUlT_T0_E_clISt17integral_constantIbLb0EESU_EEDaSP_SQ_EUlSP_E_NS1_11comp_targetILNS1_3genE4ELNS1_11target_archE910ELNS1_3gpuE8ELNS1_3repE0EEENS1_30default_config_static_selectorELNS0_4arch9wavefront6targetE1EEEvT1_, .Lfunc_end200-_ZN7rocprim17ROCPRIM_400000_NS6detail17trampoline_kernelINS0_14default_configENS1_20scan_config_selectorIxEEZZNS1_9scan_implILNS1_25lookback_scan_determinismE0ELb0ELb0ES3_N6thrust23THRUST_200600_302600_NS6detail15normal_iteratorINS9_10device_ptrIxEEEESE_xNS9_4plusIxEExEEDaPvRmT3_T4_T5_mT6_P12ihipStream_tbENKUlT_T0_E_clISt17integral_constantIbLb0EESU_EEDaSP_SQ_EUlSP_E_NS1_11comp_targetILNS1_3genE4ELNS1_11target_archE910ELNS1_3gpuE8ELNS1_3repE0EEENS1_30default_config_static_selectorELNS0_4arch9wavefront6targetE1EEEvT1_
                                        ; -- End function
	.section	.AMDGPU.csdata,"",@progbits
; Kernel info:
; codeLenInByte = 5856
; NumSgprs: 32
; NumVgprs: 51
; NumAgprs: 0
; TotalNumVgprs: 51
; ScratchSize: 0
; MemoryBound: 0
; FloatMode: 240
; IeeeMode: 1
; LDSByteSize: 7168 bytes/workgroup (compile time only)
; SGPRBlocks: 3
; VGPRBlocks: 6
; NumSGPRsForWavesPerEU: 32
; NumVGPRsForWavesPerEU: 51
; AccumOffset: 52
; Occupancy: 5
; WaveLimiterHint : 1
; COMPUTE_PGM_RSRC2:SCRATCH_EN: 0
; COMPUTE_PGM_RSRC2:USER_SGPR: 6
; COMPUTE_PGM_RSRC2:TRAP_HANDLER: 0
; COMPUTE_PGM_RSRC2:TGID_X_EN: 1
; COMPUTE_PGM_RSRC2:TGID_Y_EN: 0
; COMPUTE_PGM_RSRC2:TGID_Z_EN: 0
; COMPUTE_PGM_RSRC2:TIDIG_COMP_CNT: 0
; COMPUTE_PGM_RSRC3_GFX90A:ACCUM_OFFSET: 12
; COMPUTE_PGM_RSRC3_GFX90A:TG_SPLIT: 0
	.section	.text._ZN7rocprim17ROCPRIM_400000_NS6detail17trampoline_kernelINS0_14default_configENS1_20scan_config_selectorIxEEZZNS1_9scan_implILNS1_25lookback_scan_determinismE0ELb0ELb0ES3_N6thrust23THRUST_200600_302600_NS6detail15normal_iteratorINS9_10device_ptrIxEEEESE_xNS9_4plusIxEExEEDaPvRmT3_T4_T5_mT6_P12ihipStream_tbENKUlT_T0_E_clISt17integral_constantIbLb0EESU_EEDaSP_SQ_EUlSP_E_NS1_11comp_targetILNS1_3genE3ELNS1_11target_archE908ELNS1_3gpuE7ELNS1_3repE0EEENS1_30default_config_static_selectorELNS0_4arch9wavefront6targetE1EEEvT1_,"axG",@progbits,_ZN7rocprim17ROCPRIM_400000_NS6detail17trampoline_kernelINS0_14default_configENS1_20scan_config_selectorIxEEZZNS1_9scan_implILNS1_25lookback_scan_determinismE0ELb0ELb0ES3_N6thrust23THRUST_200600_302600_NS6detail15normal_iteratorINS9_10device_ptrIxEEEESE_xNS9_4plusIxEExEEDaPvRmT3_T4_T5_mT6_P12ihipStream_tbENKUlT_T0_E_clISt17integral_constantIbLb0EESU_EEDaSP_SQ_EUlSP_E_NS1_11comp_targetILNS1_3genE3ELNS1_11target_archE908ELNS1_3gpuE7ELNS1_3repE0EEENS1_30default_config_static_selectorELNS0_4arch9wavefront6targetE1EEEvT1_,comdat
	.protected	_ZN7rocprim17ROCPRIM_400000_NS6detail17trampoline_kernelINS0_14default_configENS1_20scan_config_selectorIxEEZZNS1_9scan_implILNS1_25lookback_scan_determinismE0ELb0ELb0ES3_N6thrust23THRUST_200600_302600_NS6detail15normal_iteratorINS9_10device_ptrIxEEEESE_xNS9_4plusIxEExEEDaPvRmT3_T4_T5_mT6_P12ihipStream_tbENKUlT_T0_E_clISt17integral_constantIbLb0EESU_EEDaSP_SQ_EUlSP_E_NS1_11comp_targetILNS1_3genE3ELNS1_11target_archE908ELNS1_3gpuE7ELNS1_3repE0EEENS1_30default_config_static_selectorELNS0_4arch9wavefront6targetE1EEEvT1_ ; -- Begin function _ZN7rocprim17ROCPRIM_400000_NS6detail17trampoline_kernelINS0_14default_configENS1_20scan_config_selectorIxEEZZNS1_9scan_implILNS1_25lookback_scan_determinismE0ELb0ELb0ES3_N6thrust23THRUST_200600_302600_NS6detail15normal_iteratorINS9_10device_ptrIxEEEESE_xNS9_4plusIxEExEEDaPvRmT3_T4_T5_mT6_P12ihipStream_tbENKUlT_T0_E_clISt17integral_constantIbLb0EESU_EEDaSP_SQ_EUlSP_E_NS1_11comp_targetILNS1_3genE3ELNS1_11target_archE908ELNS1_3gpuE7ELNS1_3repE0EEENS1_30default_config_static_selectorELNS0_4arch9wavefront6targetE1EEEvT1_
	.globl	_ZN7rocprim17ROCPRIM_400000_NS6detail17trampoline_kernelINS0_14default_configENS1_20scan_config_selectorIxEEZZNS1_9scan_implILNS1_25lookback_scan_determinismE0ELb0ELb0ES3_N6thrust23THRUST_200600_302600_NS6detail15normal_iteratorINS9_10device_ptrIxEEEESE_xNS9_4plusIxEExEEDaPvRmT3_T4_T5_mT6_P12ihipStream_tbENKUlT_T0_E_clISt17integral_constantIbLb0EESU_EEDaSP_SQ_EUlSP_E_NS1_11comp_targetILNS1_3genE3ELNS1_11target_archE908ELNS1_3gpuE7ELNS1_3repE0EEENS1_30default_config_static_selectorELNS0_4arch9wavefront6targetE1EEEvT1_
	.p2align	8
	.type	_ZN7rocprim17ROCPRIM_400000_NS6detail17trampoline_kernelINS0_14default_configENS1_20scan_config_selectorIxEEZZNS1_9scan_implILNS1_25lookback_scan_determinismE0ELb0ELb0ES3_N6thrust23THRUST_200600_302600_NS6detail15normal_iteratorINS9_10device_ptrIxEEEESE_xNS9_4plusIxEExEEDaPvRmT3_T4_T5_mT6_P12ihipStream_tbENKUlT_T0_E_clISt17integral_constantIbLb0EESU_EEDaSP_SQ_EUlSP_E_NS1_11comp_targetILNS1_3genE3ELNS1_11target_archE908ELNS1_3gpuE7ELNS1_3repE0EEENS1_30default_config_static_selectorELNS0_4arch9wavefront6targetE1EEEvT1_,@function
_ZN7rocprim17ROCPRIM_400000_NS6detail17trampoline_kernelINS0_14default_configENS1_20scan_config_selectorIxEEZZNS1_9scan_implILNS1_25lookback_scan_determinismE0ELb0ELb0ES3_N6thrust23THRUST_200600_302600_NS6detail15normal_iteratorINS9_10device_ptrIxEEEESE_xNS9_4plusIxEExEEDaPvRmT3_T4_T5_mT6_P12ihipStream_tbENKUlT_T0_E_clISt17integral_constantIbLb0EESU_EEDaSP_SQ_EUlSP_E_NS1_11comp_targetILNS1_3genE3ELNS1_11target_archE908ELNS1_3gpuE7ELNS1_3repE0EEENS1_30default_config_static_selectorELNS0_4arch9wavefront6targetE1EEEvT1_: ; @_ZN7rocprim17ROCPRIM_400000_NS6detail17trampoline_kernelINS0_14default_configENS1_20scan_config_selectorIxEEZZNS1_9scan_implILNS1_25lookback_scan_determinismE0ELb0ELb0ES3_N6thrust23THRUST_200600_302600_NS6detail15normal_iteratorINS9_10device_ptrIxEEEESE_xNS9_4plusIxEExEEDaPvRmT3_T4_T5_mT6_P12ihipStream_tbENKUlT_T0_E_clISt17integral_constantIbLb0EESU_EEDaSP_SQ_EUlSP_E_NS1_11comp_targetILNS1_3genE3ELNS1_11target_archE908ELNS1_3gpuE7ELNS1_3repE0EEENS1_30default_config_static_selectorELNS0_4arch9wavefront6targetE1EEEvT1_
; %bb.0:
	.section	.rodata,"a",@progbits
	.p2align	6, 0x0
	.amdhsa_kernel _ZN7rocprim17ROCPRIM_400000_NS6detail17trampoline_kernelINS0_14default_configENS1_20scan_config_selectorIxEEZZNS1_9scan_implILNS1_25lookback_scan_determinismE0ELb0ELb0ES3_N6thrust23THRUST_200600_302600_NS6detail15normal_iteratorINS9_10device_ptrIxEEEESE_xNS9_4plusIxEExEEDaPvRmT3_T4_T5_mT6_P12ihipStream_tbENKUlT_T0_E_clISt17integral_constantIbLb0EESU_EEDaSP_SQ_EUlSP_E_NS1_11comp_targetILNS1_3genE3ELNS1_11target_archE908ELNS1_3gpuE7ELNS1_3repE0EEENS1_30default_config_static_selectorELNS0_4arch9wavefront6targetE1EEEvT1_
		.amdhsa_group_segment_fixed_size 0
		.amdhsa_private_segment_fixed_size 0
		.amdhsa_kernarg_size 104
		.amdhsa_user_sgpr_count 6
		.amdhsa_user_sgpr_private_segment_buffer 1
		.amdhsa_user_sgpr_dispatch_ptr 0
		.amdhsa_user_sgpr_queue_ptr 0
		.amdhsa_user_sgpr_kernarg_segment_ptr 1
		.amdhsa_user_sgpr_dispatch_id 0
		.amdhsa_user_sgpr_flat_scratch_init 0
		.amdhsa_user_sgpr_kernarg_preload_length 0
		.amdhsa_user_sgpr_kernarg_preload_offset 0
		.amdhsa_user_sgpr_private_segment_size 0
		.amdhsa_uses_dynamic_stack 0
		.amdhsa_system_sgpr_private_segment_wavefront_offset 0
		.amdhsa_system_sgpr_workgroup_id_x 1
		.amdhsa_system_sgpr_workgroup_id_y 0
		.amdhsa_system_sgpr_workgroup_id_z 0
		.amdhsa_system_sgpr_workgroup_info 0
		.amdhsa_system_vgpr_workitem_id 0
		.amdhsa_next_free_vgpr 1
		.amdhsa_next_free_sgpr 0
		.amdhsa_accum_offset 4
		.amdhsa_reserve_vcc 0
		.amdhsa_reserve_flat_scratch 0
		.amdhsa_float_round_mode_32 0
		.amdhsa_float_round_mode_16_64 0
		.amdhsa_float_denorm_mode_32 3
		.amdhsa_float_denorm_mode_16_64 3
		.amdhsa_dx10_clamp 1
		.amdhsa_ieee_mode 1
		.amdhsa_fp16_overflow 0
		.amdhsa_tg_split 0
		.amdhsa_exception_fp_ieee_invalid_op 0
		.amdhsa_exception_fp_denorm_src 0
		.amdhsa_exception_fp_ieee_div_zero 0
		.amdhsa_exception_fp_ieee_overflow 0
		.amdhsa_exception_fp_ieee_underflow 0
		.amdhsa_exception_fp_ieee_inexact 0
		.amdhsa_exception_int_div_zero 0
	.end_amdhsa_kernel
	.section	.text._ZN7rocprim17ROCPRIM_400000_NS6detail17trampoline_kernelINS0_14default_configENS1_20scan_config_selectorIxEEZZNS1_9scan_implILNS1_25lookback_scan_determinismE0ELb0ELb0ES3_N6thrust23THRUST_200600_302600_NS6detail15normal_iteratorINS9_10device_ptrIxEEEESE_xNS9_4plusIxEExEEDaPvRmT3_T4_T5_mT6_P12ihipStream_tbENKUlT_T0_E_clISt17integral_constantIbLb0EESU_EEDaSP_SQ_EUlSP_E_NS1_11comp_targetILNS1_3genE3ELNS1_11target_archE908ELNS1_3gpuE7ELNS1_3repE0EEENS1_30default_config_static_selectorELNS0_4arch9wavefront6targetE1EEEvT1_,"axG",@progbits,_ZN7rocprim17ROCPRIM_400000_NS6detail17trampoline_kernelINS0_14default_configENS1_20scan_config_selectorIxEEZZNS1_9scan_implILNS1_25lookback_scan_determinismE0ELb0ELb0ES3_N6thrust23THRUST_200600_302600_NS6detail15normal_iteratorINS9_10device_ptrIxEEEESE_xNS9_4plusIxEExEEDaPvRmT3_T4_T5_mT6_P12ihipStream_tbENKUlT_T0_E_clISt17integral_constantIbLb0EESU_EEDaSP_SQ_EUlSP_E_NS1_11comp_targetILNS1_3genE3ELNS1_11target_archE908ELNS1_3gpuE7ELNS1_3repE0EEENS1_30default_config_static_selectorELNS0_4arch9wavefront6targetE1EEEvT1_,comdat
.Lfunc_end201:
	.size	_ZN7rocprim17ROCPRIM_400000_NS6detail17trampoline_kernelINS0_14default_configENS1_20scan_config_selectorIxEEZZNS1_9scan_implILNS1_25lookback_scan_determinismE0ELb0ELb0ES3_N6thrust23THRUST_200600_302600_NS6detail15normal_iteratorINS9_10device_ptrIxEEEESE_xNS9_4plusIxEExEEDaPvRmT3_T4_T5_mT6_P12ihipStream_tbENKUlT_T0_E_clISt17integral_constantIbLb0EESU_EEDaSP_SQ_EUlSP_E_NS1_11comp_targetILNS1_3genE3ELNS1_11target_archE908ELNS1_3gpuE7ELNS1_3repE0EEENS1_30default_config_static_selectorELNS0_4arch9wavefront6targetE1EEEvT1_, .Lfunc_end201-_ZN7rocprim17ROCPRIM_400000_NS6detail17trampoline_kernelINS0_14default_configENS1_20scan_config_selectorIxEEZZNS1_9scan_implILNS1_25lookback_scan_determinismE0ELb0ELb0ES3_N6thrust23THRUST_200600_302600_NS6detail15normal_iteratorINS9_10device_ptrIxEEEESE_xNS9_4plusIxEExEEDaPvRmT3_T4_T5_mT6_P12ihipStream_tbENKUlT_T0_E_clISt17integral_constantIbLb0EESU_EEDaSP_SQ_EUlSP_E_NS1_11comp_targetILNS1_3genE3ELNS1_11target_archE908ELNS1_3gpuE7ELNS1_3repE0EEENS1_30default_config_static_selectorELNS0_4arch9wavefront6targetE1EEEvT1_
                                        ; -- End function
	.section	.AMDGPU.csdata,"",@progbits
; Kernel info:
; codeLenInByte = 0
; NumSgprs: 4
; NumVgprs: 0
; NumAgprs: 0
; TotalNumVgprs: 0
; ScratchSize: 0
; MemoryBound: 0
; FloatMode: 240
; IeeeMode: 1
; LDSByteSize: 0 bytes/workgroup (compile time only)
; SGPRBlocks: 0
; VGPRBlocks: 0
; NumSGPRsForWavesPerEU: 4
; NumVGPRsForWavesPerEU: 1
; AccumOffset: 4
; Occupancy: 8
; WaveLimiterHint : 0
; COMPUTE_PGM_RSRC2:SCRATCH_EN: 0
; COMPUTE_PGM_RSRC2:USER_SGPR: 6
; COMPUTE_PGM_RSRC2:TRAP_HANDLER: 0
; COMPUTE_PGM_RSRC2:TGID_X_EN: 1
; COMPUTE_PGM_RSRC2:TGID_Y_EN: 0
; COMPUTE_PGM_RSRC2:TGID_Z_EN: 0
; COMPUTE_PGM_RSRC2:TIDIG_COMP_CNT: 0
; COMPUTE_PGM_RSRC3_GFX90A:ACCUM_OFFSET: 0
; COMPUTE_PGM_RSRC3_GFX90A:TG_SPLIT: 0
	.section	.text._ZN7rocprim17ROCPRIM_400000_NS6detail17trampoline_kernelINS0_14default_configENS1_20scan_config_selectorIxEEZZNS1_9scan_implILNS1_25lookback_scan_determinismE0ELb0ELb0ES3_N6thrust23THRUST_200600_302600_NS6detail15normal_iteratorINS9_10device_ptrIxEEEESE_xNS9_4plusIxEExEEDaPvRmT3_T4_T5_mT6_P12ihipStream_tbENKUlT_T0_E_clISt17integral_constantIbLb0EESU_EEDaSP_SQ_EUlSP_E_NS1_11comp_targetILNS1_3genE2ELNS1_11target_archE906ELNS1_3gpuE6ELNS1_3repE0EEENS1_30default_config_static_selectorELNS0_4arch9wavefront6targetE1EEEvT1_,"axG",@progbits,_ZN7rocprim17ROCPRIM_400000_NS6detail17trampoline_kernelINS0_14default_configENS1_20scan_config_selectorIxEEZZNS1_9scan_implILNS1_25lookback_scan_determinismE0ELb0ELb0ES3_N6thrust23THRUST_200600_302600_NS6detail15normal_iteratorINS9_10device_ptrIxEEEESE_xNS9_4plusIxEExEEDaPvRmT3_T4_T5_mT6_P12ihipStream_tbENKUlT_T0_E_clISt17integral_constantIbLb0EESU_EEDaSP_SQ_EUlSP_E_NS1_11comp_targetILNS1_3genE2ELNS1_11target_archE906ELNS1_3gpuE6ELNS1_3repE0EEENS1_30default_config_static_selectorELNS0_4arch9wavefront6targetE1EEEvT1_,comdat
	.protected	_ZN7rocprim17ROCPRIM_400000_NS6detail17trampoline_kernelINS0_14default_configENS1_20scan_config_selectorIxEEZZNS1_9scan_implILNS1_25lookback_scan_determinismE0ELb0ELb0ES3_N6thrust23THRUST_200600_302600_NS6detail15normal_iteratorINS9_10device_ptrIxEEEESE_xNS9_4plusIxEExEEDaPvRmT3_T4_T5_mT6_P12ihipStream_tbENKUlT_T0_E_clISt17integral_constantIbLb0EESU_EEDaSP_SQ_EUlSP_E_NS1_11comp_targetILNS1_3genE2ELNS1_11target_archE906ELNS1_3gpuE6ELNS1_3repE0EEENS1_30default_config_static_selectorELNS0_4arch9wavefront6targetE1EEEvT1_ ; -- Begin function _ZN7rocprim17ROCPRIM_400000_NS6detail17trampoline_kernelINS0_14default_configENS1_20scan_config_selectorIxEEZZNS1_9scan_implILNS1_25lookback_scan_determinismE0ELb0ELb0ES3_N6thrust23THRUST_200600_302600_NS6detail15normal_iteratorINS9_10device_ptrIxEEEESE_xNS9_4plusIxEExEEDaPvRmT3_T4_T5_mT6_P12ihipStream_tbENKUlT_T0_E_clISt17integral_constantIbLb0EESU_EEDaSP_SQ_EUlSP_E_NS1_11comp_targetILNS1_3genE2ELNS1_11target_archE906ELNS1_3gpuE6ELNS1_3repE0EEENS1_30default_config_static_selectorELNS0_4arch9wavefront6targetE1EEEvT1_
	.globl	_ZN7rocprim17ROCPRIM_400000_NS6detail17trampoline_kernelINS0_14default_configENS1_20scan_config_selectorIxEEZZNS1_9scan_implILNS1_25lookback_scan_determinismE0ELb0ELb0ES3_N6thrust23THRUST_200600_302600_NS6detail15normal_iteratorINS9_10device_ptrIxEEEESE_xNS9_4plusIxEExEEDaPvRmT3_T4_T5_mT6_P12ihipStream_tbENKUlT_T0_E_clISt17integral_constantIbLb0EESU_EEDaSP_SQ_EUlSP_E_NS1_11comp_targetILNS1_3genE2ELNS1_11target_archE906ELNS1_3gpuE6ELNS1_3repE0EEENS1_30default_config_static_selectorELNS0_4arch9wavefront6targetE1EEEvT1_
	.p2align	8
	.type	_ZN7rocprim17ROCPRIM_400000_NS6detail17trampoline_kernelINS0_14default_configENS1_20scan_config_selectorIxEEZZNS1_9scan_implILNS1_25lookback_scan_determinismE0ELb0ELb0ES3_N6thrust23THRUST_200600_302600_NS6detail15normal_iteratorINS9_10device_ptrIxEEEESE_xNS9_4plusIxEExEEDaPvRmT3_T4_T5_mT6_P12ihipStream_tbENKUlT_T0_E_clISt17integral_constantIbLb0EESU_EEDaSP_SQ_EUlSP_E_NS1_11comp_targetILNS1_3genE2ELNS1_11target_archE906ELNS1_3gpuE6ELNS1_3repE0EEENS1_30default_config_static_selectorELNS0_4arch9wavefront6targetE1EEEvT1_,@function
_ZN7rocprim17ROCPRIM_400000_NS6detail17trampoline_kernelINS0_14default_configENS1_20scan_config_selectorIxEEZZNS1_9scan_implILNS1_25lookback_scan_determinismE0ELb0ELb0ES3_N6thrust23THRUST_200600_302600_NS6detail15normal_iteratorINS9_10device_ptrIxEEEESE_xNS9_4plusIxEExEEDaPvRmT3_T4_T5_mT6_P12ihipStream_tbENKUlT_T0_E_clISt17integral_constantIbLb0EESU_EEDaSP_SQ_EUlSP_E_NS1_11comp_targetILNS1_3genE2ELNS1_11target_archE906ELNS1_3gpuE6ELNS1_3repE0EEENS1_30default_config_static_selectorELNS0_4arch9wavefront6targetE1EEEvT1_: ; @_ZN7rocprim17ROCPRIM_400000_NS6detail17trampoline_kernelINS0_14default_configENS1_20scan_config_selectorIxEEZZNS1_9scan_implILNS1_25lookback_scan_determinismE0ELb0ELb0ES3_N6thrust23THRUST_200600_302600_NS6detail15normal_iteratorINS9_10device_ptrIxEEEESE_xNS9_4plusIxEExEEDaPvRmT3_T4_T5_mT6_P12ihipStream_tbENKUlT_T0_E_clISt17integral_constantIbLb0EESU_EEDaSP_SQ_EUlSP_E_NS1_11comp_targetILNS1_3genE2ELNS1_11target_archE906ELNS1_3gpuE6ELNS1_3repE0EEENS1_30default_config_static_selectorELNS0_4arch9wavefront6targetE1EEEvT1_
; %bb.0:
	.section	.rodata,"a",@progbits
	.p2align	6, 0x0
	.amdhsa_kernel _ZN7rocprim17ROCPRIM_400000_NS6detail17trampoline_kernelINS0_14default_configENS1_20scan_config_selectorIxEEZZNS1_9scan_implILNS1_25lookback_scan_determinismE0ELb0ELb0ES3_N6thrust23THRUST_200600_302600_NS6detail15normal_iteratorINS9_10device_ptrIxEEEESE_xNS9_4plusIxEExEEDaPvRmT3_T4_T5_mT6_P12ihipStream_tbENKUlT_T0_E_clISt17integral_constantIbLb0EESU_EEDaSP_SQ_EUlSP_E_NS1_11comp_targetILNS1_3genE2ELNS1_11target_archE906ELNS1_3gpuE6ELNS1_3repE0EEENS1_30default_config_static_selectorELNS0_4arch9wavefront6targetE1EEEvT1_
		.amdhsa_group_segment_fixed_size 0
		.amdhsa_private_segment_fixed_size 0
		.amdhsa_kernarg_size 104
		.amdhsa_user_sgpr_count 6
		.amdhsa_user_sgpr_private_segment_buffer 1
		.amdhsa_user_sgpr_dispatch_ptr 0
		.amdhsa_user_sgpr_queue_ptr 0
		.amdhsa_user_sgpr_kernarg_segment_ptr 1
		.amdhsa_user_sgpr_dispatch_id 0
		.amdhsa_user_sgpr_flat_scratch_init 0
		.amdhsa_user_sgpr_kernarg_preload_length 0
		.amdhsa_user_sgpr_kernarg_preload_offset 0
		.amdhsa_user_sgpr_private_segment_size 0
		.amdhsa_uses_dynamic_stack 0
		.amdhsa_system_sgpr_private_segment_wavefront_offset 0
		.amdhsa_system_sgpr_workgroup_id_x 1
		.amdhsa_system_sgpr_workgroup_id_y 0
		.amdhsa_system_sgpr_workgroup_id_z 0
		.amdhsa_system_sgpr_workgroup_info 0
		.amdhsa_system_vgpr_workitem_id 0
		.amdhsa_next_free_vgpr 1
		.amdhsa_next_free_sgpr 0
		.amdhsa_accum_offset 4
		.amdhsa_reserve_vcc 0
		.amdhsa_reserve_flat_scratch 0
		.amdhsa_float_round_mode_32 0
		.amdhsa_float_round_mode_16_64 0
		.amdhsa_float_denorm_mode_32 3
		.amdhsa_float_denorm_mode_16_64 3
		.amdhsa_dx10_clamp 1
		.amdhsa_ieee_mode 1
		.amdhsa_fp16_overflow 0
		.amdhsa_tg_split 0
		.amdhsa_exception_fp_ieee_invalid_op 0
		.amdhsa_exception_fp_denorm_src 0
		.amdhsa_exception_fp_ieee_div_zero 0
		.amdhsa_exception_fp_ieee_overflow 0
		.amdhsa_exception_fp_ieee_underflow 0
		.amdhsa_exception_fp_ieee_inexact 0
		.amdhsa_exception_int_div_zero 0
	.end_amdhsa_kernel
	.section	.text._ZN7rocprim17ROCPRIM_400000_NS6detail17trampoline_kernelINS0_14default_configENS1_20scan_config_selectorIxEEZZNS1_9scan_implILNS1_25lookback_scan_determinismE0ELb0ELb0ES3_N6thrust23THRUST_200600_302600_NS6detail15normal_iteratorINS9_10device_ptrIxEEEESE_xNS9_4plusIxEExEEDaPvRmT3_T4_T5_mT6_P12ihipStream_tbENKUlT_T0_E_clISt17integral_constantIbLb0EESU_EEDaSP_SQ_EUlSP_E_NS1_11comp_targetILNS1_3genE2ELNS1_11target_archE906ELNS1_3gpuE6ELNS1_3repE0EEENS1_30default_config_static_selectorELNS0_4arch9wavefront6targetE1EEEvT1_,"axG",@progbits,_ZN7rocprim17ROCPRIM_400000_NS6detail17trampoline_kernelINS0_14default_configENS1_20scan_config_selectorIxEEZZNS1_9scan_implILNS1_25lookback_scan_determinismE0ELb0ELb0ES3_N6thrust23THRUST_200600_302600_NS6detail15normal_iteratorINS9_10device_ptrIxEEEESE_xNS9_4plusIxEExEEDaPvRmT3_T4_T5_mT6_P12ihipStream_tbENKUlT_T0_E_clISt17integral_constantIbLb0EESU_EEDaSP_SQ_EUlSP_E_NS1_11comp_targetILNS1_3genE2ELNS1_11target_archE906ELNS1_3gpuE6ELNS1_3repE0EEENS1_30default_config_static_selectorELNS0_4arch9wavefront6targetE1EEEvT1_,comdat
.Lfunc_end202:
	.size	_ZN7rocprim17ROCPRIM_400000_NS6detail17trampoline_kernelINS0_14default_configENS1_20scan_config_selectorIxEEZZNS1_9scan_implILNS1_25lookback_scan_determinismE0ELb0ELb0ES3_N6thrust23THRUST_200600_302600_NS6detail15normal_iteratorINS9_10device_ptrIxEEEESE_xNS9_4plusIxEExEEDaPvRmT3_T4_T5_mT6_P12ihipStream_tbENKUlT_T0_E_clISt17integral_constantIbLb0EESU_EEDaSP_SQ_EUlSP_E_NS1_11comp_targetILNS1_3genE2ELNS1_11target_archE906ELNS1_3gpuE6ELNS1_3repE0EEENS1_30default_config_static_selectorELNS0_4arch9wavefront6targetE1EEEvT1_, .Lfunc_end202-_ZN7rocprim17ROCPRIM_400000_NS6detail17trampoline_kernelINS0_14default_configENS1_20scan_config_selectorIxEEZZNS1_9scan_implILNS1_25lookback_scan_determinismE0ELb0ELb0ES3_N6thrust23THRUST_200600_302600_NS6detail15normal_iteratorINS9_10device_ptrIxEEEESE_xNS9_4plusIxEExEEDaPvRmT3_T4_T5_mT6_P12ihipStream_tbENKUlT_T0_E_clISt17integral_constantIbLb0EESU_EEDaSP_SQ_EUlSP_E_NS1_11comp_targetILNS1_3genE2ELNS1_11target_archE906ELNS1_3gpuE6ELNS1_3repE0EEENS1_30default_config_static_selectorELNS0_4arch9wavefront6targetE1EEEvT1_
                                        ; -- End function
	.section	.AMDGPU.csdata,"",@progbits
; Kernel info:
; codeLenInByte = 0
; NumSgprs: 4
; NumVgprs: 0
; NumAgprs: 0
; TotalNumVgprs: 0
; ScratchSize: 0
; MemoryBound: 0
; FloatMode: 240
; IeeeMode: 1
; LDSByteSize: 0 bytes/workgroup (compile time only)
; SGPRBlocks: 0
; VGPRBlocks: 0
; NumSGPRsForWavesPerEU: 4
; NumVGPRsForWavesPerEU: 1
; AccumOffset: 4
; Occupancy: 8
; WaveLimiterHint : 0
; COMPUTE_PGM_RSRC2:SCRATCH_EN: 0
; COMPUTE_PGM_RSRC2:USER_SGPR: 6
; COMPUTE_PGM_RSRC2:TRAP_HANDLER: 0
; COMPUTE_PGM_RSRC2:TGID_X_EN: 1
; COMPUTE_PGM_RSRC2:TGID_Y_EN: 0
; COMPUTE_PGM_RSRC2:TGID_Z_EN: 0
; COMPUTE_PGM_RSRC2:TIDIG_COMP_CNT: 0
; COMPUTE_PGM_RSRC3_GFX90A:ACCUM_OFFSET: 0
; COMPUTE_PGM_RSRC3_GFX90A:TG_SPLIT: 0
	.section	.text._ZN7rocprim17ROCPRIM_400000_NS6detail17trampoline_kernelINS0_14default_configENS1_20scan_config_selectorIxEEZZNS1_9scan_implILNS1_25lookback_scan_determinismE0ELb0ELb0ES3_N6thrust23THRUST_200600_302600_NS6detail15normal_iteratorINS9_10device_ptrIxEEEESE_xNS9_4plusIxEExEEDaPvRmT3_T4_T5_mT6_P12ihipStream_tbENKUlT_T0_E_clISt17integral_constantIbLb0EESU_EEDaSP_SQ_EUlSP_E_NS1_11comp_targetILNS1_3genE10ELNS1_11target_archE1201ELNS1_3gpuE5ELNS1_3repE0EEENS1_30default_config_static_selectorELNS0_4arch9wavefront6targetE1EEEvT1_,"axG",@progbits,_ZN7rocprim17ROCPRIM_400000_NS6detail17trampoline_kernelINS0_14default_configENS1_20scan_config_selectorIxEEZZNS1_9scan_implILNS1_25lookback_scan_determinismE0ELb0ELb0ES3_N6thrust23THRUST_200600_302600_NS6detail15normal_iteratorINS9_10device_ptrIxEEEESE_xNS9_4plusIxEExEEDaPvRmT3_T4_T5_mT6_P12ihipStream_tbENKUlT_T0_E_clISt17integral_constantIbLb0EESU_EEDaSP_SQ_EUlSP_E_NS1_11comp_targetILNS1_3genE10ELNS1_11target_archE1201ELNS1_3gpuE5ELNS1_3repE0EEENS1_30default_config_static_selectorELNS0_4arch9wavefront6targetE1EEEvT1_,comdat
	.protected	_ZN7rocprim17ROCPRIM_400000_NS6detail17trampoline_kernelINS0_14default_configENS1_20scan_config_selectorIxEEZZNS1_9scan_implILNS1_25lookback_scan_determinismE0ELb0ELb0ES3_N6thrust23THRUST_200600_302600_NS6detail15normal_iteratorINS9_10device_ptrIxEEEESE_xNS9_4plusIxEExEEDaPvRmT3_T4_T5_mT6_P12ihipStream_tbENKUlT_T0_E_clISt17integral_constantIbLb0EESU_EEDaSP_SQ_EUlSP_E_NS1_11comp_targetILNS1_3genE10ELNS1_11target_archE1201ELNS1_3gpuE5ELNS1_3repE0EEENS1_30default_config_static_selectorELNS0_4arch9wavefront6targetE1EEEvT1_ ; -- Begin function _ZN7rocprim17ROCPRIM_400000_NS6detail17trampoline_kernelINS0_14default_configENS1_20scan_config_selectorIxEEZZNS1_9scan_implILNS1_25lookback_scan_determinismE0ELb0ELb0ES3_N6thrust23THRUST_200600_302600_NS6detail15normal_iteratorINS9_10device_ptrIxEEEESE_xNS9_4plusIxEExEEDaPvRmT3_T4_T5_mT6_P12ihipStream_tbENKUlT_T0_E_clISt17integral_constantIbLb0EESU_EEDaSP_SQ_EUlSP_E_NS1_11comp_targetILNS1_3genE10ELNS1_11target_archE1201ELNS1_3gpuE5ELNS1_3repE0EEENS1_30default_config_static_selectorELNS0_4arch9wavefront6targetE1EEEvT1_
	.globl	_ZN7rocprim17ROCPRIM_400000_NS6detail17trampoline_kernelINS0_14default_configENS1_20scan_config_selectorIxEEZZNS1_9scan_implILNS1_25lookback_scan_determinismE0ELb0ELb0ES3_N6thrust23THRUST_200600_302600_NS6detail15normal_iteratorINS9_10device_ptrIxEEEESE_xNS9_4plusIxEExEEDaPvRmT3_T4_T5_mT6_P12ihipStream_tbENKUlT_T0_E_clISt17integral_constantIbLb0EESU_EEDaSP_SQ_EUlSP_E_NS1_11comp_targetILNS1_3genE10ELNS1_11target_archE1201ELNS1_3gpuE5ELNS1_3repE0EEENS1_30default_config_static_selectorELNS0_4arch9wavefront6targetE1EEEvT1_
	.p2align	8
	.type	_ZN7rocprim17ROCPRIM_400000_NS6detail17trampoline_kernelINS0_14default_configENS1_20scan_config_selectorIxEEZZNS1_9scan_implILNS1_25lookback_scan_determinismE0ELb0ELb0ES3_N6thrust23THRUST_200600_302600_NS6detail15normal_iteratorINS9_10device_ptrIxEEEESE_xNS9_4plusIxEExEEDaPvRmT3_T4_T5_mT6_P12ihipStream_tbENKUlT_T0_E_clISt17integral_constantIbLb0EESU_EEDaSP_SQ_EUlSP_E_NS1_11comp_targetILNS1_3genE10ELNS1_11target_archE1201ELNS1_3gpuE5ELNS1_3repE0EEENS1_30default_config_static_selectorELNS0_4arch9wavefront6targetE1EEEvT1_,@function
_ZN7rocprim17ROCPRIM_400000_NS6detail17trampoline_kernelINS0_14default_configENS1_20scan_config_selectorIxEEZZNS1_9scan_implILNS1_25lookback_scan_determinismE0ELb0ELb0ES3_N6thrust23THRUST_200600_302600_NS6detail15normal_iteratorINS9_10device_ptrIxEEEESE_xNS9_4plusIxEExEEDaPvRmT3_T4_T5_mT6_P12ihipStream_tbENKUlT_T0_E_clISt17integral_constantIbLb0EESU_EEDaSP_SQ_EUlSP_E_NS1_11comp_targetILNS1_3genE10ELNS1_11target_archE1201ELNS1_3gpuE5ELNS1_3repE0EEENS1_30default_config_static_selectorELNS0_4arch9wavefront6targetE1EEEvT1_: ; @_ZN7rocprim17ROCPRIM_400000_NS6detail17trampoline_kernelINS0_14default_configENS1_20scan_config_selectorIxEEZZNS1_9scan_implILNS1_25lookback_scan_determinismE0ELb0ELb0ES3_N6thrust23THRUST_200600_302600_NS6detail15normal_iteratorINS9_10device_ptrIxEEEESE_xNS9_4plusIxEExEEDaPvRmT3_T4_T5_mT6_P12ihipStream_tbENKUlT_T0_E_clISt17integral_constantIbLb0EESU_EEDaSP_SQ_EUlSP_E_NS1_11comp_targetILNS1_3genE10ELNS1_11target_archE1201ELNS1_3gpuE5ELNS1_3repE0EEENS1_30default_config_static_selectorELNS0_4arch9wavefront6targetE1EEEvT1_
; %bb.0:
	.section	.rodata,"a",@progbits
	.p2align	6, 0x0
	.amdhsa_kernel _ZN7rocprim17ROCPRIM_400000_NS6detail17trampoline_kernelINS0_14default_configENS1_20scan_config_selectorIxEEZZNS1_9scan_implILNS1_25lookback_scan_determinismE0ELb0ELb0ES3_N6thrust23THRUST_200600_302600_NS6detail15normal_iteratorINS9_10device_ptrIxEEEESE_xNS9_4plusIxEExEEDaPvRmT3_T4_T5_mT6_P12ihipStream_tbENKUlT_T0_E_clISt17integral_constantIbLb0EESU_EEDaSP_SQ_EUlSP_E_NS1_11comp_targetILNS1_3genE10ELNS1_11target_archE1201ELNS1_3gpuE5ELNS1_3repE0EEENS1_30default_config_static_selectorELNS0_4arch9wavefront6targetE1EEEvT1_
		.amdhsa_group_segment_fixed_size 0
		.amdhsa_private_segment_fixed_size 0
		.amdhsa_kernarg_size 104
		.amdhsa_user_sgpr_count 6
		.amdhsa_user_sgpr_private_segment_buffer 1
		.amdhsa_user_sgpr_dispatch_ptr 0
		.amdhsa_user_sgpr_queue_ptr 0
		.amdhsa_user_sgpr_kernarg_segment_ptr 1
		.amdhsa_user_sgpr_dispatch_id 0
		.amdhsa_user_sgpr_flat_scratch_init 0
		.amdhsa_user_sgpr_kernarg_preload_length 0
		.amdhsa_user_sgpr_kernarg_preload_offset 0
		.amdhsa_user_sgpr_private_segment_size 0
		.amdhsa_uses_dynamic_stack 0
		.amdhsa_system_sgpr_private_segment_wavefront_offset 0
		.amdhsa_system_sgpr_workgroup_id_x 1
		.amdhsa_system_sgpr_workgroup_id_y 0
		.amdhsa_system_sgpr_workgroup_id_z 0
		.amdhsa_system_sgpr_workgroup_info 0
		.amdhsa_system_vgpr_workitem_id 0
		.amdhsa_next_free_vgpr 1
		.amdhsa_next_free_sgpr 0
		.amdhsa_accum_offset 4
		.amdhsa_reserve_vcc 0
		.amdhsa_reserve_flat_scratch 0
		.amdhsa_float_round_mode_32 0
		.amdhsa_float_round_mode_16_64 0
		.amdhsa_float_denorm_mode_32 3
		.amdhsa_float_denorm_mode_16_64 3
		.amdhsa_dx10_clamp 1
		.amdhsa_ieee_mode 1
		.amdhsa_fp16_overflow 0
		.amdhsa_tg_split 0
		.amdhsa_exception_fp_ieee_invalid_op 0
		.amdhsa_exception_fp_denorm_src 0
		.amdhsa_exception_fp_ieee_div_zero 0
		.amdhsa_exception_fp_ieee_overflow 0
		.amdhsa_exception_fp_ieee_underflow 0
		.amdhsa_exception_fp_ieee_inexact 0
		.amdhsa_exception_int_div_zero 0
	.end_amdhsa_kernel
	.section	.text._ZN7rocprim17ROCPRIM_400000_NS6detail17trampoline_kernelINS0_14default_configENS1_20scan_config_selectorIxEEZZNS1_9scan_implILNS1_25lookback_scan_determinismE0ELb0ELb0ES3_N6thrust23THRUST_200600_302600_NS6detail15normal_iteratorINS9_10device_ptrIxEEEESE_xNS9_4plusIxEExEEDaPvRmT3_T4_T5_mT6_P12ihipStream_tbENKUlT_T0_E_clISt17integral_constantIbLb0EESU_EEDaSP_SQ_EUlSP_E_NS1_11comp_targetILNS1_3genE10ELNS1_11target_archE1201ELNS1_3gpuE5ELNS1_3repE0EEENS1_30default_config_static_selectorELNS0_4arch9wavefront6targetE1EEEvT1_,"axG",@progbits,_ZN7rocprim17ROCPRIM_400000_NS6detail17trampoline_kernelINS0_14default_configENS1_20scan_config_selectorIxEEZZNS1_9scan_implILNS1_25lookback_scan_determinismE0ELb0ELb0ES3_N6thrust23THRUST_200600_302600_NS6detail15normal_iteratorINS9_10device_ptrIxEEEESE_xNS9_4plusIxEExEEDaPvRmT3_T4_T5_mT6_P12ihipStream_tbENKUlT_T0_E_clISt17integral_constantIbLb0EESU_EEDaSP_SQ_EUlSP_E_NS1_11comp_targetILNS1_3genE10ELNS1_11target_archE1201ELNS1_3gpuE5ELNS1_3repE0EEENS1_30default_config_static_selectorELNS0_4arch9wavefront6targetE1EEEvT1_,comdat
.Lfunc_end203:
	.size	_ZN7rocprim17ROCPRIM_400000_NS6detail17trampoline_kernelINS0_14default_configENS1_20scan_config_selectorIxEEZZNS1_9scan_implILNS1_25lookback_scan_determinismE0ELb0ELb0ES3_N6thrust23THRUST_200600_302600_NS6detail15normal_iteratorINS9_10device_ptrIxEEEESE_xNS9_4plusIxEExEEDaPvRmT3_T4_T5_mT6_P12ihipStream_tbENKUlT_T0_E_clISt17integral_constantIbLb0EESU_EEDaSP_SQ_EUlSP_E_NS1_11comp_targetILNS1_3genE10ELNS1_11target_archE1201ELNS1_3gpuE5ELNS1_3repE0EEENS1_30default_config_static_selectorELNS0_4arch9wavefront6targetE1EEEvT1_, .Lfunc_end203-_ZN7rocprim17ROCPRIM_400000_NS6detail17trampoline_kernelINS0_14default_configENS1_20scan_config_selectorIxEEZZNS1_9scan_implILNS1_25lookback_scan_determinismE0ELb0ELb0ES3_N6thrust23THRUST_200600_302600_NS6detail15normal_iteratorINS9_10device_ptrIxEEEESE_xNS9_4plusIxEExEEDaPvRmT3_T4_T5_mT6_P12ihipStream_tbENKUlT_T0_E_clISt17integral_constantIbLb0EESU_EEDaSP_SQ_EUlSP_E_NS1_11comp_targetILNS1_3genE10ELNS1_11target_archE1201ELNS1_3gpuE5ELNS1_3repE0EEENS1_30default_config_static_selectorELNS0_4arch9wavefront6targetE1EEEvT1_
                                        ; -- End function
	.section	.AMDGPU.csdata,"",@progbits
; Kernel info:
; codeLenInByte = 0
; NumSgprs: 4
; NumVgprs: 0
; NumAgprs: 0
; TotalNumVgprs: 0
; ScratchSize: 0
; MemoryBound: 0
; FloatMode: 240
; IeeeMode: 1
; LDSByteSize: 0 bytes/workgroup (compile time only)
; SGPRBlocks: 0
; VGPRBlocks: 0
; NumSGPRsForWavesPerEU: 4
; NumVGPRsForWavesPerEU: 1
; AccumOffset: 4
; Occupancy: 8
; WaveLimiterHint : 0
; COMPUTE_PGM_RSRC2:SCRATCH_EN: 0
; COMPUTE_PGM_RSRC2:USER_SGPR: 6
; COMPUTE_PGM_RSRC2:TRAP_HANDLER: 0
; COMPUTE_PGM_RSRC2:TGID_X_EN: 1
; COMPUTE_PGM_RSRC2:TGID_Y_EN: 0
; COMPUTE_PGM_RSRC2:TGID_Z_EN: 0
; COMPUTE_PGM_RSRC2:TIDIG_COMP_CNT: 0
; COMPUTE_PGM_RSRC3_GFX90A:ACCUM_OFFSET: 0
; COMPUTE_PGM_RSRC3_GFX90A:TG_SPLIT: 0
	.section	.text._ZN7rocprim17ROCPRIM_400000_NS6detail17trampoline_kernelINS0_14default_configENS1_20scan_config_selectorIxEEZZNS1_9scan_implILNS1_25lookback_scan_determinismE0ELb0ELb0ES3_N6thrust23THRUST_200600_302600_NS6detail15normal_iteratorINS9_10device_ptrIxEEEESE_xNS9_4plusIxEExEEDaPvRmT3_T4_T5_mT6_P12ihipStream_tbENKUlT_T0_E_clISt17integral_constantIbLb0EESU_EEDaSP_SQ_EUlSP_E_NS1_11comp_targetILNS1_3genE10ELNS1_11target_archE1200ELNS1_3gpuE4ELNS1_3repE0EEENS1_30default_config_static_selectorELNS0_4arch9wavefront6targetE1EEEvT1_,"axG",@progbits,_ZN7rocprim17ROCPRIM_400000_NS6detail17trampoline_kernelINS0_14default_configENS1_20scan_config_selectorIxEEZZNS1_9scan_implILNS1_25lookback_scan_determinismE0ELb0ELb0ES3_N6thrust23THRUST_200600_302600_NS6detail15normal_iteratorINS9_10device_ptrIxEEEESE_xNS9_4plusIxEExEEDaPvRmT3_T4_T5_mT6_P12ihipStream_tbENKUlT_T0_E_clISt17integral_constantIbLb0EESU_EEDaSP_SQ_EUlSP_E_NS1_11comp_targetILNS1_3genE10ELNS1_11target_archE1200ELNS1_3gpuE4ELNS1_3repE0EEENS1_30default_config_static_selectorELNS0_4arch9wavefront6targetE1EEEvT1_,comdat
	.protected	_ZN7rocprim17ROCPRIM_400000_NS6detail17trampoline_kernelINS0_14default_configENS1_20scan_config_selectorIxEEZZNS1_9scan_implILNS1_25lookback_scan_determinismE0ELb0ELb0ES3_N6thrust23THRUST_200600_302600_NS6detail15normal_iteratorINS9_10device_ptrIxEEEESE_xNS9_4plusIxEExEEDaPvRmT3_T4_T5_mT6_P12ihipStream_tbENKUlT_T0_E_clISt17integral_constantIbLb0EESU_EEDaSP_SQ_EUlSP_E_NS1_11comp_targetILNS1_3genE10ELNS1_11target_archE1200ELNS1_3gpuE4ELNS1_3repE0EEENS1_30default_config_static_selectorELNS0_4arch9wavefront6targetE1EEEvT1_ ; -- Begin function _ZN7rocprim17ROCPRIM_400000_NS6detail17trampoline_kernelINS0_14default_configENS1_20scan_config_selectorIxEEZZNS1_9scan_implILNS1_25lookback_scan_determinismE0ELb0ELb0ES3_N6thrust23THRUST_200600_302600_NS6detail15normal_iteratorINS9_10device_ptrIxEEEESE_xNS9_4plusIxEExEEDaPvRmT3_T4_T5_mT6_P12ihipStream_tbENKUlT_T0_E_clISt17integral_constantIbLb0EESU_EEDaSP_SQ_EUlSP_E_NS1_11comp_targetILNS1_3genE10ELNS1_11target_archE1200ELNS1_3gpuE4ELNS1_3repE0EEENS1_30default_config_static_selectorELNS0_4arch9wavefront6targetE1EEEvT1_
	.globl	_ZN7rocprim17ROCPRIM_400000_NS6detail17trampoline_kernelINS0_14default_configENS1_20scan_config_selectorIxEEZZNS1_9scan_implILNS1_25lookback_scan_determinismE0ELb0ELb0ES3_N6thrust23THRUST_200600_302600_NS6detail15normal_iteratorINS9_10device_ptrIxEEEESE_xNS9_4plusIxEExEEDaPvRmT3_T4_T5_mT6_P12ihipStream_tbENKUlT_T0_E_clISt17integral_constantIbLb0EESU_EEDaSP_SQ_EUlSP_E_NS1_11comp_targetILNS1_3genE10ELNS1_11target_archE1200ELNS1_3gpuE4ELNS1_3repE0EEENS1_30default_config_static_selectorELNS0_4arch9wavefront6targetE1EEEvT1_
	.p2align	8
	.type	_ZN7rocprim17ROCPRIM_400000_NS6detail17trampoline_kernelINS0_14default_configENS1_20scan_config_selectorIxEEZZNS1_9scan_implILNS1_25lookback_scan_determinismE0ELb0ELb0ES3_N6thrust23THRUST_200600_302600_NS6detail15normal_iteratorINS9_10device_ptrIxEEEESE_xNS9_4plusIxEExEEDaPvRmT3_T4_T5_mT6_P12ihipStream_tbENKUlT_T0_E_clISt17integral_constantIbLb0EESU_EEDaSP_SQ_EUlSP_E_NS1_11comp_targetILNS1_3genE10ELNS1_11target_archE1200ELNS1_3gpuE4ELNS1_3repE0EEENS1_30default_config_static_selectorELNS0_4arch9wavefront6targetE1EEEvT1_,@function
_ZN7rocprim17ROCPRIM_400000_NS6detail17trampoline_kernelINS0_14default_configENS1_20scan_config_selectorIxEEZZNS1_9scan_implILNS1_25lookback_scan_determinismE0ELb0ELb0ES3_N6thrust23THRUST_200600_302600_NS6detail15normal_iteratorINS9_10device_ptrIxEEEESE_xNS9_4plusIxEExEEDaPvRmT3_T4_T5_mT6_P12ihipStream_tbENKUlT_T0_E_clISt17integral_constantIbLb0EESU_EEDaSP_SQ_EUlSP_E_NS1_11comp_targetILNS1_3genE10ELNS1_11target_archE1200ELNS1_3gpuE4ELNS1_3repE0EEENS1_30default_config_static_selectorELNS0_4arch9wavefront6targetE1EEEvT1_: ; @_ZN7rocprim17ROCPRIM_400000_NS6detail17trampoline_kernelINS0_14default_configENS1_20scan_config_selectorIxEEZZNS1_9scan_implILNS1_25lookback_scan_determinismE0ELb0ELb0ES3_N6thrust23THRUST_200600_302600_NS6detail15normal_iteratorINS9_10device_ptrIxEEEESE_xNS9_4plusIxEExEEDaPvRmT3_T4_T5_mT6_P12ihipStream_tbENKUlT_T0_E_clISt17integral_constantIbLb0EESU_EEDaSP_SQ_EUlSP_E_NS1_11comp_targetILNS1_3genE10ELNS1_11target_archE1200ELNS1_3gpuE4ELNS1_3repE0EEENS1_30default_config_static_selectorELNS0_4arch9wavefront6targetE1EEEvT1_
; %bb.0:
	.section	.rodata,"a",@progbits
	.p2align	6, 0x0
	.amdhsa_kernel _ZN7rocprim17ROCPRIM_400000_NS6detail17trampoline_kernelINS0_14default_configENS1_20scan_config_selectorIxEEZZNS1_9scan_implILNS1_25lookback_scan_determinismE0ELb0ELb0ES3_N6thrust23THRUST_200600_302600_NS6detail15normal_iteratorINS9_10device_ptrIxEEEESE_xNS9_4plusIxEExEEDaPvRmT3_T4_T5_mT6_P12ihipStream_tbENKUlT_T0_E_clISt17integral_constantIbLb0EESU_EEDaSP_SQ_EUlSP_E_NS1_11comp_targetILNS1_3genE10ELNS1_11target_archE1200ELNS1_3gpuE4ELNS1_3repE0EEENS1_30default_config_static_selectorELNS0_4arch9wavefront6targetE1EEEvT1_
		.amdhsa_group_segment_fixed_size 0
		.amdhsa_private_segment_fixed_size 0
		.amdhsa_kernarg_size 104
		.amdhsa_user_sgpr_count 6
		.amdhsa_user_sgpr_private_segment_buffer 1
		.amdhsa_user_sgpr_dispatch_ptr 0
		.amdhsa_user_sgpr_queue_ptr 0
		.amdhsa_user_sgpr_kernarg_segment_ptr 1
		.amdhsa_user_sgpr_dispatch_id 0
		.amdhsa_user_sgpr_flat_scratch_init 0
		.amdhsa_user_sgpr_kernarg_preload_length 0
		.amdhsa_user_sgpr_kernarg_preload_offset 0
		.amdhsa_user_sgpr_private_segment_size 0
		.amdhsa_uses_dynamic_stack 0
		.amdhsa_system_sgpr_private_segment_wavefront_offset 0
		.amdhsa_system_sgpr_workgroup_id_x 1
		.amdhsa_system_sgpr_workgroup_id_y 0
		.amdhsa_system_sgpr_workgroup_id_z 0
		.amdhsa_system_sgpr_workgroup_info 0
		.amdhsa_system_vgpr_workitem_id 0
		.amdhsa_next_free_vgpr 1
		.amdhsa_next_free_sgpr 0
		.amdhsa_accum_offset 4
		.amdhsa_reserve_vcc 0
		.amdhsa_reserve_flat_scratch 0
		.amdhsa_float_round_mode_32 0
		.amdhsa_float_round_mode_16_64 0
		.amdhsa_float_denorm_mode_32 3
		.amdhsa_float_denorm_mode_16_64 3
		.amdhsa_dx10_clamp 1
		.amdhsa_ieee_mode 1
		.amdhsa_fp16_overflow 0
		.amdhsa_tg_split 0
		.amdhsa_exception_fp_ieee_invalid_op 0
		.amdhsa_exception_fp_denorm_src 0
		.amdhsa_exception_fp_ieee_div_zero 0
		.amdhsa_exception_fp_ieee_overflow 0
		.amdhsa_exception_fp_ieee_underflow 0
		.amdhsa_exception_fp_ieee_inexact 0
		.amdhsa_exception_int_div_zero 0
	.end_amdhsa_kernel
	.section	.text._ZN7rocprim17ROCPRIM_400000_NS6detail17trampoline_kernelINS0_14default_configENS1_20scan_config_selectorIxEEZZNS1_9scan_implILNS1_25lookback_scan_determinismE0ELb0ELb0ES3_N6thrust23THRUST_200600_302600_NS6detail15normal_iteratorINS9_10device_ptrIxEEEESE_xNS9_4plusIxEExEEDaPvRmT3_T4_T5_mT6_P12ihipStream_tbENKUlT_T0_E_clISt17integral_constantIbLb0EESU_EEDaSP_SQ_EUlSP_E_NS1_11comp_targetILNS1_3genE10ELNS1_11target_archE1200ELNS1_3gpuE4ELNS1_3repE0EEENS1_30default_config_static_selectorELNS0_4arch9wavefront6targetE1EEEvT1_,"axG",@progbits,_ZN7rocprim17ROCPRIM_400000_NS6detail17trampoline_kernelINS0_14default_configENS1_20scan_config_selectorIxEEZZNS1_9scan_implILNS1_25lookback_scan_determinismE0ELb0ELb0ES3_N6thrust23THRUST_200600_302600_NS6detail15normal_iteratorINS9_10device_ptrIxEEEESE_xNS9_4plusIxEExEEDaPvRmT3_T4_T5_mT6_P12ihipStream_tbENKUlT_T0_E_clISt17integral_constantIbLb0EESU_EEDaSP_SQ_EUlSP_E_NS1_11comp_targetILNS1_3genE10ELNS1_11target_archE1200ELNS1_3gpuE4ELNS1_3repE0EEENS1_30default_config_static_selectorELNS0_4arch9wavefront6targetE1EEEvT1_,comdat
.Lfunc_end204:
	.size	_ZN7rocprim17ROCPRIM_400000_NS6detail17trampoline_kernelINS0_14default_configENS1_20scan_config_selectorIxEEZZNS1_9scan_implILNS1_25lookback_scan_determinismE0ELb0ELb0ES3_N6thrust23THRUST_200600_302600_NS6detail15normal_iteratorINS9_10device_ptrIxEEEESE_xNS9_4plusIxEExEEDaPvRmT3_T4_T5_mT6_P12ihipStream_tbENKUlT_T0_E_clISt17integral_constantIbLb0EESU_EEDaSP_SQ_EUlSP_E_NS1_11comp_targetILNS1_3genE10ELNS1_11target_archE1200ELNS1_3gpuE4ELNS1_3repE0EEENS1_30default_config_static_selectorELNS0_4arch9wavefront6targetE1EEEvT1_, .Lfunc_end204-_ZN7rocprim17ROCPRIM_400000_NS6detail17trampoline_kernelINS0_14default_configENS1_20scan_config_selectorIxEEZZNS1_9scan_implILNS1_25lookback_scan_determinismE0ELb0ELb0ES3_N6thrust23THRUST_200600_302600_NS6detail15normal_iteratorINS9_10device_ptrIxEEEESE_xNS9_4plusIxEExEEDaPvRmT3_T4_T5_mT6_P12ihipStream_tbENKUlT_T0_E_clISt17integral_constantIbLb0EESU_EEDaSP_SQ_EUlSP_E_NS1_11comp_targetILNS1_3genE10ELNS1_11target_archE1200ELNS1_3gpuE4ELNS1_3repE0EEENS1_30default_config_static_selectorELNS0_4arch9wavefront6targetE1EEEvT1_
                                        ; -- End function
	.section	.AMDGPU.csdata,"",@progbits
; Kernel info:
; codeLenInByte = 0
; NumSgprs: 4
; NumVgprs: 0
; NumAgprs: 0
; TotalNumVgprs: 0
; ScratchSize: 0
; MemoryBound: 0
; FloatMode: 240
; IeeeMode: 1
; LDSByteSize: 0 bytes/workgroup (compile time only)
; SGPRBlocks: 0
; VGPRBlocks: 0
; NumSGPRsForWavesPerEU: 4
; NumVGPRsForWavesPerEU: 1
; AccumOffset: 4
; Occupancy: 8
; WaveLimiterHint : 0
; COMPUTE_PGM_RSRC2:SCRATCH_EN: 0
; COMPUTE_PGM_RSRC2:USER_SGPR: 6
; COMPUTE_PGM_RSRC2:TRAP_HANDLER: 0
; COMPUTE_PGM_RSRC2:TGID_X_EN: 1
; COMPUTE_PGM_RSRC2:TGID_Y_EN: 0
; COMPUTE_PGM_RSRC2:TGID_Z_EN: 0
; COMPUTE_PGM_RSRC2:TIDIG_COMP_CNT: 0
; COMPUTE_PGM_RSRC3_GFX90A:ACCUM_OFFSET: 0
; COMPUTE_PGM_RSRC3_GFX90A:TG_SPLIT: 0
	.section	.text._ZN7rocprim17ROCPRIM_400000_NS6detail17trampoline_kernelINS0_14default_configENS1_20scan_config_selectorIxEEZZNS1_9scan_implILNS1_25lookback_scan_determinismE0ELb0ELb0ES3_N6thrust23THRUST_200600_302600_NS6detail15normal_iteratorINS9_10device_ptrIxEEEESE_xNS9_4plusIxEExEEDaPvRmT3_T4_T5_mT6_P12ihipStream_tbENKUlT_T0_E_clISt17integral_constantIbLb0EESU_EEDaSP_SQ_EUlSP_E_NS1_11comp_targetILNS1_3genE9ELNS1_11target_archE1100ELNS1_3gpuE3ELNS1_3repE0EEENS1_30default_config_static_selectorELNS0_4arch9wavefront6targetE1EEEvT1_,"axG",@progbits,_ZN7rocprim17ROCPRIM_400000_NS6detail17trampoline_kernelINS0_14default_configENS1_20scan_config_selectorIxEEZZNS1_9scan_implILNS1_25lookback_scan_determinismE0ELb0ELb0ES3_N6thrust23THRUST_200600_302600_NS6detail15normal_iteratorINS9_10device_ptrIxEEEESE_xNS9_4plusIxEExEEDaPvRmT3_T4_T5_mT6_P12ihipStream_tbENKUlT_T0_E_clISt17integral_constantIbLb0EESU_EEDaSP_SQ_EUlSP_E_NS1_11comp_targetILNS1_3genE9ELNS1_11target_archE1100ELNS1_3gpuE3ELNS1_3repE0EEENS1_30default_config_static_selectorELNS0_4arch9wavefront6targetE1EEEvT1_,comdat
	.protected	_ZN7rocprim17ROCPRIM_400000_NS6detail17trampoline_kernelINS0_14default_configENS1_20scan_config_selectorIxEEZZNS1_9scan_implILNS1_25lookback_scan_determinismE0ELb0ELb0ES3_N6thrust23THRUST_200600_302600_NS6detail15normal_iteratorINS9_10device_ptrIxEEEESE_xNS9_4plusIxEExEEDaPvRmT3_T4_T5_mT6_P12ihipStream_tbENKUlT_T0_E_clISt17integral_constantIbLb0EESU_EEDaSP_SQ_EUlSP_E_NS1_11comp_targetILNS1_3genE9ELNS1_11target_archE1100ELNS1_3gpuE3ELNS1_3repE0EEENS1_30default_config_static_selectorELNS0_4arch9wavefront6targetE1EEEvT1_ ; -- Begin function _ZN7rocprim17ROCPRIM_400000_NS6detail17trampoline_kernelINS0_14default_configENS1_20scan_config_selectorIxEEZZNS1_9scan_implILNS1_25lookback_scan_determinismE0ELb0ELb0ES3_N6thrust23THRUST_200600_302600_NS6detail15normal_iteratorINS9_10device_ptrIxEEEESE_xNS9_4plusIxEExEEDaPvRmT3_T4_T5_mT6_P12ihipStream_tbENKUlT_T0_E_clISt17integral_constantIbLb0EESU_EEDaSP_SQ_EUlSP_E_NS1_11comp_targetILNS1_3genE9ELNS1_11target_archE1100ELNS1_3gpuE3ELNS1_3repE0EEENS1_30default_config_static_selectorELNS0_4arch9wavefront6targetE1EEEvT1_
	.globl	_ZN7rocprim17ROCPRIM_400000_NS6detail17trampoline_kernelINS0_14default_configENS1_20scan_config_selectorIxEEZZNS1_9scan_implILNS1_25lookback_scan_determinismE0ELb0ELb0ES3_N6thrust23THRUST_200600_302600_NS6detail15normal_iteratorINS9_10device_ptrIxEEEESE_xNS9_4plusIxEExEEDaPvRmT3_T4_T5_mT6_P12ihipStream_tbENKUlT_T0_E_clISt17integral_constantIbLb0EESU_EEDaSP_SQ_EUlSP_E_NS1_11comp_targetILNS1_3genE9ELNS1_11target_archE1100ELNS1_3gpuE3ELNS1_3repE0EEENS1_30default_config_static_selectorELNS0_4arch9wavefront6targetE1EEEvT1_
	.p2align	8
	.type	_ZN7rocprim17ROCPRIM_400000_NS6detail17trampoline_kernelINS0_14default_configENS1_20scan_config_selectorIxEEZZNS1_9scan_implILNS1_25lookback_scan_determinismE0ELb0ELb0ES3_N6thrust23THRUST_200600_302600_NS6detail15normal_iteratorINS9_10device_ptrIxEEEESE_xNS9_4plusIxEExEEDaPvRmT3_T4_T5_mT6_P12ihipStream_tbENKUlT_T0_E_clISt17integral_constantIbLb0EESU_EEDaSP_SQ_EUlSP_E_NS1_11comp_targetILNS1_3genE9ELNS1_11target_archE1100ELNS1_3gpuE3ELNS1_3repE0EEENS1_30default_config_static_selectorELNS0_4arch9wavefront6targetE1EEEvT1_,@function
_ZN7rocprim17ROCPRIM_400000_NS6detail17trampoline_kernelINS0_14default_configENS1_20scan_config_selectorIxEEZZNS1_9scan_implILNS1_25lookback_scan_determinismE0ELb0ELb0ES3_N6thrust23THRUST_200600_302600_NS6detail15normal_iteratorINS9_10device_ptrIxEEEESE_xNS9_4plusIxEExEEDaPvRmT3_T4_T5_mT6_P12ihipStream_tbENKUlT_T0_E_clISt17integral_constantIbLb0EESU_EEDaSP_SQ_EUlSP_E_NS1_11comp_targetILNS1_3genE9ELNS1_11target_archE1100ELNS1_3gpuE3ELNS1_3repE0EEENS1_30default_config_static_selectorELNS0_4arch9wavefront6targetE1EEEvT1_: ; @_ZN7rocprim17ROCPRIM_400000_NS6detail17trampoline_kernelINS0_14default_configENS1_20scan_config_selectorIxEEZZNS1_9scan_implILNS1_25lookback_scan_determinismE0ELb0ELb0ES3_N6thrust23THRUST_200600_302600_NS6detail15normal_iteratorINS9_10device_ptrIxEEEESE_xNS9_4plusIxEExEEDaPvRmT3_T4_T5_mT6_P12ihipStream_tbENKUlT_T0_E_clISt17integral_constantIbLb0EESU_EEDaSP_SQ_EUlSP_E_NS1_11comp_targetILNS1_3genE9ELNS1_11target_archE1100ELNS1_3gpuE3ELNS1_3repE0EEENS1_30default_config_static_selectorELNS0_4arch9wavefront6targetE1EEEvT1_
; %bb.0:
	.section	.rodata,"a",@progbits
	.p2align	6, 0x0
	.amdhsa_kernel _ZN7rocprim17ROCPRIM_400000_NS6detail17trampoline_kernelINS0_14default_configENS1_20scan_config_selectorIxEEZZNS1_9scan_implILNS1_25lookback_scan_determinismE0ELb0ELb0ES3_N6thrust23THRUST_200600_302600_NS6detail15normal_iteratorINS9_10device_ptrIxEEEESE_xNS9_4plusIxEExEEDaPvRmT3_T4_T5_mT6_P12ihipStream_tbENKUlT_T0_E_clISt17integral_constantIbLb0EESU_EEDaSP_SQ_EUlSP_E_NS1_11comp_targetILNS1_3genE9ELNS1_11target_archE1100ELNS1_3gpuE3ELNS1_3repE0EEENS1_30default_config_static_selectorELNS0_4arch9wavefront6targetE1EEEvT1_
		.amdhsa_group_segment_fixed_size 0
		.amdhsa_private_segment_fixed_size 0
		.amdhsa_kernarg_size 104
		.amdhsa_user_sgpr_count 6
		.amdhsa_user_sgpr_private_segment_buffer 1
		.amdhsa_user_sgpr_dispatch_ptr 0
		.amdhsa_user_sgpr_queue_ptr 0
		.amdhsa_user_sgpr_kernarg_segment_ptr 1
		.amdhsa_user_sgpr_dispatch_id 0
		.amdhsa_user_sgpr_flat_scratch_init 0
		.amdhsa_user_sgpr_kernarg_preload_length 0
		.amdhsa_user_sgpr_kernarg_preload_offset 0
		.amdhsa_user_sgpr_private_segment_size 0
		.amdhsa_uses_dynamic_stack 0
		.amdhsa_system_sgpr_private_segment_wavefront_offset 0
		.amdhsa_system_sgpr_workgroup_id_x 1
		.amdhsa_system_sgpr_workgroup_id_y 0
		.amdhsa_system_sgpr_workgroup_id_z 0
		.amdhsa_system_sgpr_workgroup_info 0
		.amdhsa_system_vgpr_workitem_id 0
		.amdhsa_next_free_vgpr 1
		.amdhsa_next_free_sgpr 0
		.amdhsa_accum_offset 4
		.amdhsa_reserve_vcc 0
		.amdhsa_reserve_flat_scratch 0
		.amdhsa_float_round_mode_32 0
		.amdhsa_float_round_mode_16_64 0
		.amdhsa_float_denorm_mode_32 3
		.amdhsa_float_denorm_mode_16_64 3
		.amdhsa_dx10_clamp 1
		.amdhsa_ieee_mode 1
		.amdhsa_fp16_overflow 0
		.amdhsa_tg_split 0
		.amdhsa_exception_fp_ieee_invalid_op 0
		.amdhsa_exception_fp_denorm_src 0
		.amdhsa_exception_fp_ieee_div_zero 0
		.amdhsa_exception_fp_ieee_overflow 0
		.amdhsa_exception_fp_ieee_underflow 0
		.amdhsa_exception_fp_ieee_inexact 0
		.amdhsa_exception_int_div_zero 0
	.end_amdhsa_kernel
	.section	.text._ZN7rocprim17ROCPRIM_400000_NS6detail17trampoline_kernelINS0_14default_configENS1_20scan_config_selectorIxEEZZNS1_9scan_implILNS1_25lookback_scan_determinismE0ELb0ELb0ES3_N6thrust23THRUST_200600_302600_NS6detail15normal_iteratorINS9_10device_ptrIxEEEESE_xNS9_4plusIxEExEEDaPvRmT3_T4_T5_mT6_P12ihipStream_tbENKUlT_T0_E_clISt17integral_constantIbLb0EESU_EEDaSP_SQ_EUlSP_E_NS1_11comp_targetILNS1_3genE9ELNS1_11target_archE1100ELNS1_3gpuE3ELNS1_3repE0EEENS1_30default_config_static_selectorELNS0_4arch9wavefront6targetE1EEEvT1_,"axG",@progbits,_ZN7rocprim17ROCPRIM_400000_NS6detail17trampoline_kernelINS0_14default_configENS1_20scan_config_selectorIxEEZZNS1_9scan_implILNS1_25lookback_scan_determinismE0ELb0ELb0ES3_N6thrust23THRUST_200600_302600_NS6detail15normal_iteratorINS9_10device_ptrIxEEEESE_xNS9_4plusIxEExEEDaPvRmT3_T4_T5_mT6_P12ihipStream_tbENKUlT_T0_E_clISt17integral_constantIbLb0EESU_EEDaSP_SQ_EUlSP_E_NS1_11comp_targetILNS1_3genE9ELNS1_11target_archE1100ELNS1_3gpuE3ELNS1_3repE0EEENS1_30default_config_static_selectorELNS0_4arch9wavefront6targetE1EEEvT1_,comdat
.Lfunc_end205:
	.size	_ZN7rocprim17ROCPRIM_400000_NS6detail17trampoline_kernelINS0_14default_configENS1_20scan_config_selectorIxEEZZNS1_9scan_implILNS1_25lookback_scan_determinismE0ELb0ELb0ES3_N6thrust23THRUST_200600_302600_NS6detail15normal_iteratorINS9_10device_ptrIxEEEESE_xNS9_4plusIxEExEEDaPvRmT3_T4_T5_mT6_P12ihipStream_tbENKUlT_T0_E_clISt17integral_constantIbLb0EESU_EEDaSP_SQ_EUlSP_E_NS1_11comp_targetILNS1_3genE9ELNS1_11target_archE1100ELNS1_3gpuE3ELNS1_3repE0EEENS1_30default_config_static_selectorELNS0_4arch9wavefront6targetE1EEEvT1_, .Lfunc_end205-_ZN7rocprim17ROCPRIM_400000_NS6detail17trampoline_kernelINS0_14default_configENS1_20scan_config_selectorIxEEZZNS1_9scan_implILNS1_25lookback_scan_determinismE0ELb0ELb0ES3_N6thrust23THRUST_200600_302600_NS6detail15normal_iteratorINS9_10device_ptrIxEEEESE_xNS9_4plusIxEExEEDaPvRmT3_T4_T5_mT6_P12ihipStream_tbENKUlT_T0_E_clISt17integral_constantIbLb0EESU_EEDaSP_SQ_EUlSP_E_NS1_11comp_targetILNS1_3genE9ELNS1_11target_archE1100ELNS1_3gpuE3ELNS1_3repE0EEENS1_30default_config_static_selectorELNS0_4arch9wavefront6targetE1EEEvT1_
                                        ; -- End function
	.section	.AMDGPU.csdata,"",@progbits
; Kernel info:
; codeLenInByte = 0
; NumSgprs: 4
; NumVgprs: 0
; NumAgprs: 0
; TotalNumVgprs: 0
; ScratchSize: 0
; MemoryBound: 0
; FloatMode: 240
; IeeeMode: 1
; LDSByteSize: 0 bytes/workgroup (compile time only)
; SGPRBlocks: 0
; VGPRBlocks: 0
; NumSGPRsForWavesPerEU: 4
; NumVGPRsForWavesPerEU: 1
; AccumOffset: 4
; Occupancy: 8
; WaveLimiterHint : 0
; COMPUTE_PGM_RSRC2:SCRATCH_EN: 0
; COMPUTE_PGM_RSRC2:USER_SGPR: 6
; COMPUTE_PGM_RSRC2:TRAP_HANDLER: 0
; COMPUTE_PGM_RSRC2:TGID_X_EN: 1
; COMPUTE_PGM_RSRC2:TGID_Y_EN: 0
; COMPUTE_PGM_RSRC2:TGID_Z_EN: 0
; COMPUTE_PGM_RSRC2:TIDIG_COMP_CNT: 0
; COMPUTE_PGM_RSRC3_GFX90A:ACCUM_OFFSET: 0
; COMPUTE_PGM_RSRC3_GFX90A:TG_SPLIT: 0
	.section	.text._ZN7rocprim17ROCPRIM_400000_NS6detail17trampoline_kernelINS0_14default_configENS1_20scan_config_selectorIxEEZZNS1_9scan_implILNS1_25lookback_scan_determinismE0ELb0ELb0ES3_N6thrust23THRUST_200600_302600_NS6detail15normal_iteratorINS9_10device_ptrIxEEEESE_xNS9_4plusIxEExEEDaPvRmT3_T4_T5_mT6_P12ihipStream_tbENKUlT_T0_E_clISt17integral_constantIbLb0EESU_EEDaSP_SQ_EUlSP_E_NS1_11comp_targetILNS1_3genE8ELNS1_11target_archE1030ELNS1_3gpuE2ELNS1_3repE0EEENS1_30default_config_static_selectorELNS0_4arch9wavefront6targetE1EEEvT1_,"axG",@progbits,_ZN7rocprim17ROCPRIM_400000_NS6detail17trampoline_kernelINS0_14default_configENS1_20scan_config_selectorIxEEZZNS1_9scan_implILNS1_25lookback_scan_determinismE0ELb0ELb0ES3_N6thrust23THRUST_200600_302600_NS6detail15normal_iteratorINS9_10device_ptrIxEEEESE_xNS9_4plusIxEExEEDaPvRmT3_T4_T5_mT6_P12ihipStream_tbENKUlT_T0_E_clISt17integral_constantIbLb0EESU_EEDaSP_SQ_EUlSP_E_NS1_11comp_targetILNS1_3genE8ELNS1_11target_archE1030ELNS1_3gpuE2ELNS1_3repE0EEENS1_30default_config_static_selectorELNS0_4arch9wavefront6targetE1EEEvT1_,comdat
	.protected	_ZN7rocprim17ROCPRIM_400000_NS6detail17trampoline_kernelINS0_14default_configENS1_20scan_config_selectorIxEEZZNS1_9scan_implILNS1_25lookback_scan_determinismE0ELb0ELb0ES3_N6thrust23THRUST_200600_302600_NS6detail15normal_iteratorINS9_10device_ptrIxEEEESE_xNS9_4plusIxEExEEDaPvRmT3_T4_T5_mT6_P12ihipStream_tbENKUlT_T0_E_clISt17integral_constantIbLb0EESU_EEDaSP_SQ_EUlSP_E_NS1_11comp_targetILNS1_3genE8ELNS1_11target_archE1030ELNS1_3gpuE2ELNS1_3repE0EEENS1_30default_config_static_selectorELNS0_4arch9wavefront6targetE1EEEvT1_ ; -- Begin function _ZN7rocprim17ROCPRIM_400000_NS6detail17trampoline_kernelINS0_14default_configENS1_20scan_config_selectorIxEEZZNS1_9scan_implILNS1_25lookback_scan_determinismE0ELb0ELb0ES3_N6thrust23THRUST_200600_302600_NS6detail15normal_iteratorINS9_10device_ptrIxEEEESE_xNS9_4plusIxEExEEDaPvRmT3_T4_T5_mT6_P12ihipStream_tbENKUlT_T0_E_clISt17integral_constantIbLb0EESU_EEDaSP_SQ_EUlSP_E_NS1_11comp_targetILNS1_3genE8ELNS1_11target_archE1030ELNS1_3gpuE2ELNS1_3repE0EEENS1_30default_config_static_selectorELNS0_4arch9wavefront6targetE1EEEvT1_
	.globl	_ZN7rocprim17ROCPRIM_400000_NS6detail17trampoline_kernelINS0_14default_configENS1_20scan_config_selectorIxEEZZNS1_9scan_implILNS1_25lookback_scan_determinismE0ELb0ELb0ES3_N6thrust23THRUST_200600_302600_NS6detail15normal_iteratorINS9_10device_ptrIxEEEESE_xNS9_4plusIxEExEEDaPvRmT3_T4_T5_mT6_P12ihipStream_tbENKUlT_T0_E_clISt17integral_constantIbLb0EESU_EEDaSP_SQ_EUlSP_E_NS1_11comp_targetILNS1_3genE8ELNS1_11target_archE1030ELNS1_3gpuE2ELNS1_3repE0EEENS1_30default_config_static_selectorELNS0_4arch9wavefront6targetE1EEEvT1_
	.p2align	8
	.type	_ZN7rocprim17ROCPRIM_400000_NS6detail17trampoline_kernelINS0_14default_configENS1_20scan_config_selectorIxEEZZNS1_9scan_implILNS1_25lookback_scan_determinismE0ELb0ELb0ES3_N6thrust23THRUST_200600_302600_NS6detail15normal_iteratorINS9_10device_ptrIxEEEESE_xNS9_4plusIxEExEEDaPvRmT3_T4_T5_mT6_P12ihipStream_tbENKUlT_T0_E_clISt17integral_constantIbLb0EESU_EEDaSP_SQ_EUlSP_E_NS1_11comp_targetILNS1_3genE8ELNS1_11target_archE1030ELNS1_3gpuE2ELNS1_3repE0EEENS1_30default_config_static_selectorELNS0_4arch9wavefront6targetE1EEEvT1_,@function
_ZN7rocprim17ROCPRIM_400000_NS6detail17trampoline_kernelINS0_14default_configENS1_20scan_config_selectorIxEEZZNS1_9scan_implILNS1_25lookback_scan_determinismE0ELb0ELb0ES3_N6thrust23THRUST_200600_302600_NS6detail15normal_iteratorINS9_10device_ptrIxEEEESE_xNS9_4plusIxEExEEDaPvRmT3_T4_T5_mT6_P12ihipStream_tbENKUlT_T0_E_clISt17integral_constantIbLb0EESU_EEDaSP_SQ_EUlSP_E_NS1_11comp_targetILNS1_3genE8ELNS1_11target_archE1030ELNS1_3gpuE2ELNS1_3repE0EEENS1_30default_config_static_selectorELNS0_4arch9wavefront6targetE1EEEvT1_: ; @_ZN7rocprim17ROCPRIM_400000_NS6detail17trampoline_kernelINS0_14default_configENS1_20scan_config_selectorIxEEZZNS1_9scan_implILNS1_25lookback_scan_determinismE0ELb0ELb0ES3_N6thrust23THRUST_200600_302600_NS6detail15normal_iteratorINS9_10device_ptrIxEEEESE_xNS9_4plusIxEExEEDaPvRmT3_T4_T5_mT6_P12ihipStream_tbENKUlT_T0_E_clISt17integral_constantIbLb0EESU_EEDaSP_SQ_EUlSP_E_NS1_11comp_targetILNS1_3genE8ELNS1_11target_archE1030ELNS1_3gpuE2ELNS1_3repE0EEENS1_30default_config_static_selectorELNS0_4arch9wavefront6targetE1EEEvT1_
; %bb.0:
	.section	.rodata,"a",@progbits
	.p2align	6, 0x0
	.amdhsa_kernel _ZN7rocprim17ROCPRIM_400000_NS6detail17trampoline_kernelINS0_14default_configENS1_20scan_config_selectorIxEEZZNS1_9scan_implILNS1_25lookback_scan_determinismE0ELb0ELb0ES3_N6thrust23THRUST_200600_302600_NS6detail15normal_iteratorINS9_10device_ptrIxEEEESE_xNS9_4plusIxEExEEDaPvRmT3_T4_T5_mT6_P12ihipStream_tbENKUlT_T0_E_clISt17integral_constantIbLb0EESU_EEDaSP_SQ_EUlSP_E_NS1_11comp_targetILNS1_3genE8ELNS1_11target_archE1030ELNS1_3gpuE2ELNS1_3repE0EEENS1_30default_config_static_selectorELNS0_4arch9wavefront6targetE1EEEvT1_
		.amdhsa_group_segment_fixed_size 0
		.amdhsa_private_segment_fixed_size 0
		.amdhsa_kernarg_size 104
		.amdhsa_user_sgpr_count 6
		.amdhsa_user_sgpr_private_segment_buffer 1
		.amdhsa_user_sgpr_dispatch_ptr 0
		.amdhsa_user_sgpr_queue_ptr 0
		.amdhsa_user_sgpr_kernarg_segment_ptr 1
		.amdhsa_user_sgpr_dispatch_id 0
		.amdhsa_user_sgpr_flat_scratch_init 0
		.amdhsa_user_sgpr_kernarg_preload_length 0
		.amdhsa_user_sgpr_kernarg_preload_offset 0
		.amdhsa_user_sgpr_private_segment_size 0
		.amdhsa_uses_dynamic_stack 0
		.amdhsa_system_sgpr_private_segment_wavefront_offset 0
		.amdhsa_system_sgpr_workgroup_id_x 1
		.amdhsa_system_sgpr_workgroup_id_y 0
		.amdhsa_system_sgpr_workgroup_id_z 0
		.amdhsa_system_sgpr_workgroup_info 0
		.amdhsa_system_vgpr_workitem_id 0
		.amdhsa_next_free_vgpr 1
		.amdhsa_next_free_sgpr 0
		.amdhsa_accum_offset 4
		.amdhsa_reserve_vcc 0
		.amdhsa_reserve_flat_scratch 0
		.amdhsa_float_round_mode_32 0
		.amdhsa_float_round_mode_16_64 0
		.amdhsa_float_denorm_mode_32 3
		.amdhsa_float_denorm_mode_16_64 3
		.amdhsa_dx10_clamp 1
		.amdhsa_ieee_mode 1
		.amdhsa_fp16_overflow 0
		.amdhsa_tg_split 0
		.amdhsa_exception_fp_ieee_invalid_op 0
		.amdhsa_exception_fp_denorm_src 0
		.amdhsa_exception_fp_ieee_div_zero 0
		.amdhsa_exception_fp_ieee_overflow 0
		.amdhsa_exception_fp_ieee_underflow 0
		.amdhsa_exception_fp_ieee_inexact 0
		.amdhsa_exception_int_div_zero 0
	.end_amdhsa_kernel
	.section	.text._ZN7rocprim17ROCPRIM_400000_NS6detail17trampoline_kernelINS0_14default_configENS1_20scan_config_selectorIxEEZZNS1_9scan_implILNS1_25lookback_scan_determinismE0ELb0ELb0ES3_N6thrust23THRUST_200600_302600_NS6detail15normal_iteratorINS9_10device_ptrIxEEEESE_xNS9_4plusIxEExEEDaPvRmT3_T4_T5_mT6_P12ihipStream_tbENKUlT_T0_E_clISt17integral_constantIbLb0EESU_EEDaSP_SQ_EUlSP_E_NS1_11comp_targetILNS1_3genE8ELNS1_11target_archE1030ELNS1_3gpuE2ELNS1_3repE0EEENS1_30default_config_static_selectorELNS0_4arch9wavefront6targetE1EEEvT1_,"axG",@progbits,_ZN7rocprim17ROCPRIM_400000_NS6detail17trampoline_kernelINS0_14default_configENS1_20scan_config_selectorIxEEZZNS1_9scan_implILNS1_25lookback_scan_determinismE0ELb0ELb0ES3_N6thrust23THRUST_200600_302600_NS6detail15normal_iteratorINS9_10device_ptrIxEEEESE_xNS9_4plusIxEExEEDaPvRmT3_T4_T5_mT6_P12ihipStream_tbENKUlT_T0_E_clISt17integral_constantIbLb0EESU_EEDaSP_SQ_EUlSP_E_NS1_11comp_targetILNS1_3genE8ELNS1_11target_archE1030ELNS1_3gpuE2ELNS1_3repE0EEENS1_30default_config_static_selectorELNS0_4arch9wavefront6targetE1EEEvT1_,comdat
.Lfunc_end206:
	.size	_ZN7rocprim17ROCPRIM_400000_NS6detail17trampoline_kernelINS0_14default_configENS1_20scan_config_selectorIxEEZZNS1_9scan_implILNS1_25lookback_scan_determinismE0ELb0ELb0ES3_N6thrust23THRUST_200600_302600_NS6detail15normal_iteratorINS9_10device_ptrIxEEEESE_xNS9_4plusIxEExEEDaPvRmT3_T4_T5_mT6_P12ihipStream_tbENKUlT_T0_E_clISt17integral_constantIbLb0EESU_EEDaSP_SQ_EUlSP_E_NS1_11comp_targetILNS1_3genE8ELNS1_11target_archE1030ELNS1_3gpuE2ELNS1_3repE0EEENS1_30default_config_static_selectorELNS0_4arch9wavefront6targetE1EEEvT1_, .Lfunc_end206-_ZN7rocprim17ROCPRIM_400000_NS6detail17trampoline_kernelINS0_14default_configENS1_20scan_config_selectorIxEEZZNS1_9scan_implILNS1_25lookback_scan_determinismE0ELb0ELb0ES3_N6thrust23THRUST_200600_302600_NS6detail15normal_iteratorINS9_10device_ptrIxEEEESE_xNS9_4plusIxEExEEDaPvRmT3_T4_T5_mT6_P12ihipStream_tbENKUlT_T0_E_clISt17integral_constantIbLb0EESU_EEDaSP_SQ_EUlSP_E_NS1_11comp_targetILNS1_3genE8ELNS1_11target_archE1030ELNS1_3gpuE2ELNS1_3repE0EEENS1_30default_config_static_selectorELNS0_4arch9wavefront6targetE1EEEvT1_
                                        ; -- End function
	.section	.AMDGPU.csdata,"",@progbits
; Kernel info:
; codeLenInByte = 0
; NumSgprs: 4
; NumVgprs: 0
; NumAgprs: 0
; TotalNumVgprs: 0
; ScratchSize: 0
; MemoryBound: 0
; FloatMode: 240
; IeeeMode: 1
; LDSByteSize: 0 bytes/workgroup (compile time only)
; SGPRBlocks: 0
; VGPRBlocks: 0
; NumSGPRsForWavesPerEU: 4
; NumVGPRsForWavesPerEU: 1
; AccumOffset: 4
; Occupancy: 8
; WaveLimiterHint : 0
; COMPUTE_PGM_RSRC2:SCRATCH_EN: 0
; COMPUTE_PGM_RSRC2:USER_SGPR: 6
; COMPUTE_PGM_RSRC2:TRAP_HANDLER: 0
; COMPUTE_PGM_RSRC2:TGID_X_EN: 1
; COMPUTE_PGM_RSRC2:TGID_Y_EN: 0
; COMPUTE_PGM_RSRC2:TGID_Z_EN: 0
; COMPUTE_PGM_RSRC2:TIDIG_COMP_CNT: 0
; COMPUTE_PGM_RSRC3_GFX90A:ACCUM_OFFSET: 0
; COMPUTE_PGM_RSRC3_GFX90A:TG_SPLIT: 0
	.section	.text._ZN7rocprim17ROCPRIM_400000_NS6detail17trampoline_kernelINS0_14default_configENS1_20scan_config_selectorIxEEZZNS1_9scan_implILNS1_25lookback_scan_determinismE0ELb0ELb0ES3_N6thrust23THRUST_200600_302600_NS6detail15normal_iteratorINS9_10device_ptrIxEEEESE_xNS9_4plusIxEExEEDaPvRmT3_T4_T5_mT6_P12ihipStream_tbENKUlT_T0_E_clISt17integral_constantIbLb0EESU_EEDaSP_SQ_EUlSP_E0_NS1_11comp_targetILNS1_3genE0ELNS1_11target_archE4294967295ELNS1_3gpuE0ELNS1_3repE0EEENS1_30default_config_static_selectorELNS0_4arch9wavefront6targetE1EEEvT1_,"axG",@progbits,_ZN7rocprim17ROCPRIM_400000_NS6detail17trampoline_kernelINS0_14default_configENS1_20scan_config_selectorIxEEZZNS1_9scan_implILNS1_25lookback_scan_determinismE0ELb0ELb0ES3_N6thrust23THRUST_200600_302600_NS6detail15normal_iteratorINS9_10device_ptrIxEEEESE_xNS9_4plusIxEExEEDaPvRmT3_T4_T5_mT6_P12ihipStream_tbENKUlT_T0_E_clISt17integral_constantIbLb0EESU_EEDaSP_SQ_EUlSP_E0_NS1_11comp_targetILNS1_3genE0ELNS1_11target_archE4294967295ELNS1_3gpuE0ELNS1_3repE0EEENS1_30default_config_static_selectorELNS0_4arch9wavefront6targetE1EEEvT1_,comdat
	.protected	_ZN7rocprim17ROCPRIM_400000_NS6detail17trampoline_kernelINS0_14default_configENS1_20scan_config_selectorIxEEZZNS1_9scan_implILNS1_25lookback_scan_determinismE0ELb0ELb0ES3_N6thrust23THRUST_200600_302600_NS6detail15normal_iteratorINS9_10device_ptrIxEEEESE_xNS9_4plusIxEExEEDaPvRmT3_T4_T5_mT6_P12ihipStream_tbENKUlT_T0_E_clISt17integral_constantIbLb0EESU_EEDaSP_SQ_EUlSP_E0_NS1_11comp_targetILNS1_3genE0ELNS1_11target_archE4294967295ELNS1_3gpuE0ELNS1_3repE0EEENS1_30default_config_static_selectorELNS0_4arch9wavefront6targetE1EEEvT1_ ; -- Begin function _ZN7rocprim17ROCPRIM_400000_NS6detail17trampoline_kernelINS0_14default_configENS1_20scan_config_selectorIxEEZZNS1_9scan_implILNS1_25lookback_scan_determinismE0ELb0ELb0ES3_N6thrust23THRUST_200600_302600_NS6detail15normal_iteratorINS9_10device_ptrIxEEEESE_xNS9_4plusIxEExEEDaPvRmT3_T4_T5_mT6_P12ihipStream_tbENKUlT_T0_E_clISt17integral_constantIbLb0EESU_EEDaSP_SQ_EUlSP_E0_NS1_11comp_targetILNS1_3genE0ELNS1_11target_archE4294967295ELNS1_3gpuE0ELNS1_3repE0EEENS1_30default_config_static_selectorELNS0_4arch9wavefront6targetE1EEEvT1_
	.globl	_ZN7rocprim17ROCPRIM_400000_NS6detail17trampoline_kernelINS0_14default_configENS1_20scan_config_selectorIxEEZZNS1_9scan_implILNS1_25lookback_scan_determinismE0ELb0ELb0ES3_N6thrust23THRUST_200600_302600_NS6detail15normal_iteratorINS9_10device_ptrIxEEEESE_xNS9_4plusIxEExEEDaPvRmT3_T4_T5_mT6_P12ihipStream_tbENKUlT_T0_E_clISt17integral_constantIbLb0EESU_EEDaSP_SQ_EUlSP_E0_NS1_11comp_targetILNS1_3genE0ELNS1_11target_archE4294967295ELNS1_3gpuE0ELNS1_3repE0EEENS1_30default_config_static_selectorELNS0_4arch9wavefront6targetE1EEEvT1_
	.p2align	8
	.type	_ZN7rocprim17ROCPRIM_400000_NS6detail17trampoline_kernelINS0_14default_configENS1_20scan_config_selectorIxEEZZNS1_9scan_implILNS1_25lookback_scan_determinismE0ELb0ELb0ES3_N6thrust23THRUST_200600_302600_NS6detail15normal_iteratorINS9_10device_ptrIxEEEESE_xNS9_4plusIxEExEEDaPvRmT3_T4_T5_mT6_P12ihipStream_tbENKUlT_T0_E_clISt17integral_constantIbLb0EESU_EEDaSP_SQ_EUlSP_E0_NS1_11comp_targetILNS1_3genE0ELNS1_11target_archE4294967295ELNS1_3gpuE0ELNS1_3repE0EEENS1_30default_config_static_selectorELNS0_4arch9wavefront6targetE1EEEvT1_,@function
_ZN7rocprim17ROCPRIM_400000_NS6detail17trampoline_kernelINS0_14default_configENS1_20scan_config_selectorIxEEZZNS1_9scan_implILNS1_25lookback_scan_determinismE0ELb0ELb0ES3_N6thrust23THRUST_200600_302600_NS6detail15normal_iteratorINS9_10device_ptrIxEEEESE_xNS9_4plusIxEExEEDaPvRmT3_T4_T5_mT6_P12ihipStream_tbENKUlT_T0_E_clISt17integral_constantIbLb0EESU_EEDaSP_SQ_EUlSP_E0_NS1_11comp_targetILNS1_3genE0ELNS1_11target_archE4294967295ELNS1_3gpuE0ELNS1_3repE0EEENS1_30default_config_static_selectorELNS0_4arch9wavefront6targetE1EEEvT1_: ; @_ZN7rocprim17ROCPRIM_400000_NS6detail17trampoline_kernelINS0_14default_configENS1_20scan_config_selectorIxEEZZNS1_9scan_implILNS1_25lookback_scan_determinismE0ELb0ELb0ES3_N6thrust23THRUST_200600_302600_NS6detail15normal_iteratorINS9_10device_ptrIxEEEESE_xNS9_4plusIxEExEEDaPvRmT3_T4_T5_mT6_P12ihipStream_tbENKUlT_T0_E_clISt17integral_constantIbLb0EESU_EEDaSP_SQ_EUlSP_E0_NS1_11comp_targetILNS1_3genE0ELNS1_11target_archE4294967295ELNS1_3gpuE0ELNS1_3repE0EEENS1_30default_config_static_selectorELNS0_4arch9wavefront6targetE1EEEvT1_
; %bb.0:
	.section	.rodata,"a",@progbits
	.p2align	6, 0x0
	.amdhsa_kernel _ZN7rocprim17ROCPRIM_400000_NS6detail17trampoline_kernelINS0_14default_configENS1_20scan_config_selectorIxEEZZNS1_9scan_implILNS1_25lookback_scan_determinismE0ELb0ELb0ES3_N6thrust23THRUST_200600_302600_NS6detail15normal_iteratorINS9_10device_ptrIxEEEESE_xNS9_4plusIxEExEEDaPvRmT3_T4_T5_mT6_P12ihipStream_tbENKUlT_T0_E_clISt17integral_constantIbLb0EESU_EEDaSP_SQ_EUlSP_E0_NS1_11comp_targetILNS1_3genE0ELNS1_11target_archE4294967295ELNS1_3gpuE0ELNS1_3repE0EEENS1_30default_config_static_selectorELNS0_4arch9wavefront6targetE1EEEvT1_
		.amdhsa_group_segment_fixed_size 0
		.amdhsa_private_segment_fixed_size 0
		.amdhsa_kernarg_size 40
		.amdhsa_user_sgpr_count 6
		.amdhsa_user_sgpr_private_segment_buffer 1
		.amdhsa_user_sgpr_dispatch_ptr 0
		.amdhsa_user_sgpr_queue_ptr 0
		.amdhsa_user_sgpr_kernarg_segment_ptr 1
		.amdhsa_user_sgpr_dispatch_id 0
		.amdhsa_user_sgpr_flat_scratch_init 0
		.amdhsa_user_sgpr_kernarg_preload_length 0
		.amdhsa_user_sgpr_kernarg_preload_offset 0
		.amdhsa_user_sgpr_private_segment_size 0
		.amdhsa_uses_dynamic_stack 0
		.amdhsa_system_sgpr_private_segment_wavefront_offset 0
		.amdhsa_system_sgpr_workgroup_id_x 1
		.amdhsa_system_sgpr_workgroup_id_y 0
		.amdhsa_system_sgpr_workgroup_id_z 0
		.amdhsa_system_sgpr_workgroup_info 0
		.amdhsa_system_vgpr_workitem_id 0
		.amdhsa_next_free_vgpr 1
		.amdhsa_next_free_sgpr 0
		.amdhsa_accum_offset 4
		.amdhsa_reserve_vcc 0
		.amdhsa_reserve_flat_scratch 0
		.amdhsa_float_round_mode_32 0
		.amdhsa_float_round_mode_16_64 0
		.amdhsa_float_denorm_mode_32 3
		.amdhsa_float_denorm_mode_16_64 3
		.amdhsa_dx10_clamp 1
		.amdhsa_ieee_mode 1
		.amdhsa_fp16_overflow 0
		.amdhsa_tg_split 0
		.amdhsa_exception_fp_ieee_invalid_op 0
		.amdhsa_exception_fp_denorm_src 0
		.amdhsa_exception_fp_ieee_div_zero 0
		.amdhsa_exception_fp_ieee_overflow 0
		.amdhsa_exception_fp_ieee_underflow 0
		.amdhsa_exception_fp_ieee_inexact 0
		.amdhsa_exception_int_div_zero 0
	.end_amdhsa_kernel
	.section	.text._ZN7rocprim17ROCPRIM_400000_NS6detail17trampoline_kernelINS0_14default_configENS1_20scan_config_selectorIxEEZZNS1_9scan_implILNS1_25lookback_scan_determinismE0ELb0ELb0ES3_N6thrust23THRUST_200600_302600_NS6detail15normal_iteratorINS9_10device_ptrIxEEEESE_xNS9_4plusIxEExEEDaPvRmT3_T4_T5_mT6_P12ihipStream_tbENKUlT_T0_E_clISt17integral_constantIbLb0EESU_EEDaSP_SQ_EUlSP_E0_NS1_11comp_targetILNS1_3genE0ELNS1_11target_archE4294967295ELNS1_3gpuE0ELNS1_3repE0EEENS1_30default_config_static_selectorELNS0_4arch9wavefront6targetE1EEEvT1_,"axG",@progbits,_ZN7rocprim17ROCPRIM_400000_NS6detail17trampoline_kernelINS0_14default_configENS1_20scan_config_selectorIxEEZZNS1_9scan_implILNS1_25lookback_scan_determinismE0ELb0ELb0ES3_N6thrust23THRUST_200600_302600_NS6detail15normal_iteratorINS9_10device_ptrIxEEEESE_xNS9_4plusIxEExEEDaPvRmT3_T4_T5_mT6_P12ihipStream_tbENKUlT_T0_E_clISt17integral_constantIbLb0EESU_EEDaSP_SQ_EUlSP_E0_NS1_11comp_targetILNS1_3genE0ELNS1_11target_archE4294967295ELNS1_3gpuE0ELNS1_3repE0EEENS1_30default_config_static_selectorELNS0_4arch9wavefront6targetE1EEEvT1_,comdat
.Lfunc_end207:
	.size	_ZN7rocprim17ROCPRIM_400000_NS6detail17trampoline_kernelINS0_14default_configENS1_20scan_config_selectorIxEEZZNS1_9scan_implILNS1_25lookback_scan_determinismE0ELb0ELb0ES3_N6thrust23THRUST_200600_302600_NS6detail15normal_iteratorINS9_10device_ptrIxEEEESE_xNS9_4plusIxEExEEDaPvRmT3_T4_T5_mT6_P12ihipStream_tbENKUlT_T0_E_clISt17integral_constantIbLb0EESU_EEDaSP_SQ_EUlSP_E0_NS1_11comp_targetILNS1_3genE0ELNS1_11target_archE4294967295ELNS1_3gpuE0ELNS1_3repE0EEENS1_30default_config_static_selectorELNS0_4arch9wavefront6targetE1EEEvT1_, .Lfunc_end207-_ZN7rocprim17ROCPRIM_400000_NS6detail17trampoline_kernelINS0_14default_configENS1_20scan_config_selectorIxEEZZNS1_9scan_implILNS1_25lookback_scan_determinismE0ELb0ELb0ES3_N6thrust23THRUST_200600_302600_NS6detail15normal_iteratorINS9_10device_ptrIxEEEESE_xNS9_4plusIxEExEEDaPvRmT3_T4_T5_mT6_P12ihipStream_tbENKUlT_T0_E_clISt17integral_constantIbLb0EESU_EEDaSP_SQ_EUlSP_E0_NS1_11comp_targetILNS1_3genE0ELNS1_11target_archE4294967295ELNS1_3gpuE0ELNS1_3repE0EEENS1_30default_config_static_selectorELNS0_4arch9wavefront6targetE1EEEvT1_
                                        ; -- End function
	.section	.AMDGPU.csdata,"",@progbits
; Kernel info:
; codeLenInByte = 0
; NumSgprs: 4
; NumVgprs: 0
; NumAgprs: 0
; TotalNumVgprs: 0
; ScratchSize: 0
; MemoryBound: 0
; FloatMode: 240
; IeeeMode: 1
; LDSByteSize: 0 bytes/workgroup (compile time only)
; SGPRBlocks: 0
; VGPRBlocks: 0
; NumSGPRsForWavesPerEU: 4
; NumVGPRsForWavesPerEU: 1
; AccumOffset: 4
; Occupancy: 8
; WaveLimiterHint : 0
; COMPUTE_PGM_RSRC2:SCRATCH_EN: 0
; COMPUTE_PGM_RSRC2:USER_SGPR: 6
; COMPUTE_PGM_RSRC2:TRAP_HANDLER: 0
; COMPUTE_PGM_RSRC2:TGID_X_EN: 1
; COMPUTE_PGM_RSRC2:TGID_Y_EN: 0
; COMPUTE_PGM_RSRC2:TGID_Z_EN: 0
; COMPUTE_PGM_RSRC2:TIDIG_COMP_CNT: 0
; COMPUTE_PGM_RSRC3_GFX90A:ACCUM_OFFSET: 0
; COMPUTE_PGM_RSRC3_GFX90A:TG_SPLIT: 0
	.section	.text._ZN7rocprim17ROCPRIM_400000_NS6detail17trampoline_kernelINS0_14default_configENS1_20scan_config_selectorIxEEZZNS1_9scan_implILNS1_25lookback_scan_determinismE0ELb0ELb0ES3_N6thrust23THRUST_200600_302600_NS6detail15normal_iteratorINS9_10device_ptrIxEEEESE_xNS9_4plusIxEExEEDaPvRmT3_T4_T5_mT6_P12ihipStream_tbENKUlT_T0_E_clISt17integral_constantIbLb0EESU_EEDaSP_SQ_EUlSP_E0_NS1_11comp_targetILNS1_3genE5ELNS1_11target_archE942ELNS1_3gpuE9ELNS1_3repE0EEENS1_30default_config_static_selectorELNS0_4arch9wavefront6targetE1EEEvT1_,"axG",@progbits,_ZN7rocprim17ROCPRIM_400000_NS6detail17trampoline_kernelINS0_14default_configENS1_20scan_config_selectorIxEEZZNS1_9scan_implILNS1_25lookback_scan_determinismE0ELb0ELb0ES3_N6thrust23THRUST_200600_302600_NS6detail15normal_iteratorINS9_10device_ptrIxEEEESE_xNS9_4plusIxEExEEDaPvRmT3_T4_T5_mT6_P12ihipStream_tbENKUlT_T0_E_clISt17integral_constantIbLb0EESU_EEDaSP_SQ_EUlSP_E0_NS1_11comp_targetILNS1_3genE5ELNS1_11target_archE942ELNS1_3gpuE9ELNS1_3repE0EEENS1_30default_config_static_selectorELNS0_4arch9wavefront6targetE1EEEvT1_,comdat
	.protected	_ZN7rocprim17ROCPRIM_400000_NS6detail17trampoline_kernelINS0_14default_configENS1_20scan_config_selectorIxEEZZNS1_9scan_implILNS1_25lookback_scan_determinismE0ELb0ELb0ES3_N6thrust23THRUST_200600_302600_NS6detail15normal_iteratorINS9_10device_ptrIxEEEESE_xNS9_4plusIxEExEEDaPvRmT3_T4_T5_mT6_P12ihipStream_tbENKUlT_T0_E_clISt17integral_constantIbLb0EESU_EEDaSP_SQ_EUlSP_E0_NS1_11comp_targetILNS1_3genE5ELNS1_11target_archE942ELNS1_3gpuE9ELNS1_3repE0EEENS1_30default_config_static_selectorELNS0_4arch9wavefront6targetE1EEEvT1_ ; -- Begin function _ZN7rocprim17ROCPRIM_400000_NS6detail17trampoline_kernelINS0_14default_configENS1_20scan_config_selectorIxEEZZNS1_9scan_implILNS1_25lookback_scan_determinismE0ELb0ELb0ES3_N6thrust23THRUST_200600_302600_NS6detail15normal_iteratorINS9_10device_ptrIxEEEESE_xNS9_4plusIxEExEEDaPvRmT3_T4_T5_mT6_P12ihipStream_tbENKUlT_T0_E_clISt17integral_constantIbLb0EESU_EEDaSP_SQ_EUlSP_E0_NS1_11comp_targetILNS1_3genE5ELNS1_11target_archE942ELNS1_3gpuE9ELNS1_3repE0EEENS1_30default_config_static_selectorELNS0_4arch9wavefront6targetE1EEEvT1_
	.globl	_ZN7rocprim17ROCPRIM_400000_NS6detail17trampoline_kernelINS0_14default_configENS1_20scan_config_selectorIxEEZZNS1_9scan_implILNS1_25lookback_scan_determinismE0ELb0ELb0ES3_N6thrust23THRUST_200600_302600_NS6detail15normal_iteratorINS9_10device_ptrIxEEEESE_xNS9_4plusIxEExEEDaPvRmT3_T4_T5_mT6_P12ihipStream_tbENKUlT_T0_E_clISt17integral_constantIbLb0EESU_EEDaSP_SQ_EUlSP_E0_NS1_11comp_targetILNS1_3genE5ELNS1_11target_archE942ELNS1_3gpuE9ELNS1_3repE0EEENS1_30default_config_static_selectorELNS0_4arch9wavefront6targetE1EEEvT1_
	.p2align	8
	.type	_ZN7rocprim17ROCPRIM_400000_NS6detail17trampoline_kernelINS0_14default_configENS1_20scan_config_selectorIxEEZZNS1_9scan_implILNS1_25lookback_scan_determinismE0ELb0ELb0ES3_N6thrust23THRUST_200600_302600_NS6detail15normal_iteratorINS9_10device_ptrIxEEEESE_xNS9_4plusIxEExEEDaPvRmT3_T4_T5_mT6_P12ihipStream_tbENKUlT_T0_E_clISt17integral_constantIbLb0EESU_EEDaSP_SQ_EUlSP_E0_NS1_11comp_targetILNS1_3genE5ELNS1_11target_archE942ELNS1_3gpuE9ELNS1_3repE0EEENS1_30default_config_static_selectorELNS0_4arch9wavefront6targetE1EEEvT1_,@function
_ZN7rocprim17ROCPRIM_400000_NS6detail17trampoline_kernelINS0_14default_configENS1_20scan_config_selectorIxEEZZNS1_9scan_implILNS1_25lookback_scan_determinismE0ELb0ELb0ES3_N6thrust23THRUST_200600_302600_NS6detail15normal_iteratorINS9_10device_ptrIxEEEESE_xNS9_4plusIxEExEEDaPvRmT3_T4_T5_mT6_P12ihipStream_tbENKUlT_T0_E_clISt17integral_constantIbLb0EESU_EEDaSP_SQ_EUlSP_E0_NS1_11comp_targetILNS1_3genE5ELNS1_11target_archE942ELNS1_3gpuE9ELNS1_3repE0EEENS1_30default_config_static_selectorELNS0_4arch9wavefront6targetE1EEEvT1_: ; @_ZN7rocprim17ROCPRIM_400000_NS6detail17trampoline_kernelINS0_14default_configENS1_20scan_config_selectorIxEEZZNS1_9scan_implILNS1_25lookback_scan_determinismE0ELb0ELb0ES3_N6thrust23THRUST_200600_302600_NS6detail15normal_iteratorINS9_10device_ptrIxEEEESE_xNS9_4plusIxEExEEDaPvRmT3_T4_T5_mT6_P12ihipStream_tbENKUlT_T0_E_clISt17integral_constantIbLb0EESU_EEDaSP_SQ_EUlSP_E0_NS1_11comp_targetILNS1_3genE5ELNS1_11target_archE942ELNS1_3gpuE9ELNS1_3repE0EEENS1_30default_config_static_selectorELNS0_4arch9wavefront6targetE1EEEvT1_
; %bb.0:
	.section	.rodata,"a",@progbits
	.p2align	6, 0x0
	.amdhsa_kernel _ZN7rocprim17ROCPRIM_400000_NS6detail17trampoline_kernelINS0_14default_configENS1_20scan_config_selectorIxEEZZNS1_9scan_implILNS1_25lookback_scan_determinismE0ELb0ELb0ES3_N6thrust23THRUST_200600_302600_NS6detail15normal_iteratorINS9_10device_ptrIxEEEESE_xNS9_4plusIxEExEEDaPvRmT3_T4_T5_mT6_P12ihipStream_tbENKUlT_T0_E_clISt17integral_constantIbLb0EESU_EEDaSP_SQ_EUlSP_E0_NS1_11comp_targetILNS1_3genE5ELNS1_11target_archE942ELNS1_3gpuE9ELNS1_3repE0EEENS1_30default_config_static_selectorELNS0_4arch9wavefront6targetE1EEEvT1_
		.amdhsa_group_segment_fixed_size 0
		.amdhsa_private_segment_fixed_size 0
		.amdhsa_kernarg_size 40
		.amdhsa_user_sgpr_count 6
		.amdhsa_user_sgpr_private_segment_buffer 1
		.amdhsa_user_sgpr_dispatch_ptr 0
		.amdhsa_user_sgpr_queue_ptr 0
		.amdhsa_user_sgpr_kernarg_segment_ptr 1
		.amdhsa_user_sgpr_dispatch_id 0
		.amdhsa_user_sgpr_flat_scratch_init 0
		.amdhsa_user_sgpr_kernarg_preload_length 0
		.amdhsa_user_sgpr_kernarg_preload_offset 0
		.amdhsa_user_sgpr_private_segment_size 0
		.amdhsa_uses_dynamic_stack 0
		.amdhsa_system_sgpr_private_segment_wavefront_offset 0
		.amdhsa_system_sgpr_workgroup_id_x 1
		.amdhsa_system_sgpr_workgroup_id_y 0
		.amdhsa_system_sgpr_workgroup_id_z 0
		.amdhsa_system_sgpr_workgroup_info 0
		.amdhsa_system_vgpr_workitem_id 0
		.amdhsa_next_free_vgpr 1
		.amdhsa_next_free_sgpr 0
		.amdhsa_accum_offset 4
		.amdhsa_reserve_vcc 0
		.amdhsa_reserve_flat_scratch 0
		.amdhsa_float_round_mode_32 0
		.amdhsa_float_round_mode_16_64 0
		.amdhsa_float_denorm_mode_32 3
		.amdhsa_float_denorm_mode_16_64 3
		.amdhsa_dx10_clamp 1
		.amdhsa_ieee_mode 1
		.amdhsa_fp16_overflow 0
		.amdhsa_tg_split 0
		.amdhsa_exception_fp_ieee_invalid_op 0
		.amdhsa_exception_fp_denorm_src 0
		.amdhsa_exception_fp_ieee_div_zero 0
		.amdhsa_exception_fp_ieee_overflow 0
		.amdhsa_exception_fp_ieee_underflow 0
		.amdhsa_exception_fp_ieee_inexact 0
		.amdhsa_exception_int_div_zero 0
	.end_amdhsa_kernel
	.section	.text._ZN7rocprim17ROCPRIM_400000_NS6detail17trampoline_kernelINS0_14default_configENS1_20scan_config_selectorIxEEZZNS1_9scan_implILNS1_25lookback_scan_determinismE0ELb0ELb0ES3_N6thrust23THRUST_200600_302600_NS6detail15normal_iteratorINS9_10device_ptrIxEEEESE_xNS9_4plusIxEExEEDaPvRmT3_T4_T5_mT6_P12ihipStream_tbENKUlT_T0_E_clISt17integral_constantIbLb0EESU_EEDaSP_SQ_EUlSP_E0_NS1_11comp_targetILNS1_3genE5ELNS1_11target_archE942ELNS1_3gpuE9ELNS1_3repE0EEENS1_30default_config_static_selectorELNS0_4arch9wavefront6targetE1EEEvT1_,"axG",@progbits,_ZN7rocprim17ROCPRIM_400000_NS6detail17trampoline_kernelINS0_14default_configENS1_20scan_config_selectorIxEEZZNS1_9scan_implILNS1_25lookback_scan_determinismE0ELb0ELb0ES3_N6thrust23THRUST_200600_302600_NS6detail15normal_iteratorINS9_10device_ptrIxEEEESE_xNS9_4plusIxEExEEDaPvRmT3_T4_T5_mT6_P12ihipStream_tbENKUlT_T0_E_clISt17integral_constantIbLb0EESU_EEDaSP_SQ_EUlSP_E0_NS1_11comp_targetILNS1_3genE5ELNS1_11target_archE942ELNS1_3gpuE9ELNS1_3repE0EEENS1_30default_config_static_selectorELNS0_4arch9wavefront6targetE1EEEvT1_,comdat
.Lfunc_end208:
	.size	_ZN7rocprim17ROCPRIM_400000_NS6detail17trampoline_kernelINS0_14default_configENS1_20scan_config_selectorIxEEZZNS1_9scan_implILNS1_25lookback_scan_determinismE0ELb0ELb0ES3_N6thrust23THRUST_200600_302600_NS6detail15normal_iteratorINS9_10device_ptrIxEEEESE_xNS9_4plusIxEExEEDaPvRmT3_T4_T5_mT6_P12ihipStream_tbENKUlT_T0_E_clISt17integral_constantIbLb0EESU_EEDaSP_SQ_EUlSP_E0_NS1_11comp_targetILNS1_3genE5ELNS1_11target_archE942ELNS1_3gpuE9ELNS1_3repE0EEENS1_30default_config_static_selectorELNS0_4arch9wavefront6targetE1EEEvT1_, .Lfunc_end208-_ZN7rocprim17ROCPRIM_400000_NS6detail17trampoline_kernelINS0_14default_configENS1_20scan_config_selectorIxEEZZNS1_9scan_implILNS1_25lookback_scan_determinismE0ELb0ELb0ES3_N6thrust23THRUST_200600_302600_NS6detail15normal_iteratorINS9_10device_ptrIxEEEESE_xNS9_4plusIxEExEEDaPvRmT3_T4_T5_mT6_P12ihipStream_tbENKUlT_T0_E_clISt17integral_constantIbLb0EESU_EEDaSP_SQ_EUlSP_E0_NS1_11comp_targetILNS1_3genE5ELNS1_11target_archE942ELNS1_3gpuE9ELNS1_3repE0EEENS1_30default_config_static_selectorELNS0_4arch9wavefront6targetE1EEEvT1_
                                        ; -- End function
	.section	.AMDGPU.csdata,"",@progbits
; Kernel info:
; codeLenInByte = 0
; NumSgprs: 4
; NumVgprs: 0
; NumAgprs: 0
; TotalNumVgprs: 0
; ScratchSize: 0
; MemoryBound: 0
; FloatMode: 240
; IeeeMode: 1
; LDSByteSize: 0 bytes/workgroup (compile time only)
; SGPRBlocks: 0
; VGPRBlocks: 0
; NumSGPRsForWavesPerEU: 4
; NumVGPRsForWavesPerEU: 1
; AccumOffset: 4
; Occupancy: 8
; WaveLimiterHint : 0
; COMPUTE_PGM_RSRC2:SCRATCH_EN: 0
; COMPUTE_PGM_RSRC2:USER_SGPR: 6
; COMPUTE_PGM_RSRC2:TRAP_HANDLER: 0
; COMPUTE_PGM_RSRC2:TGID_X_EN: 1
; COMPUTE_PGM_RSRC2:TGID_Y_EN: 0
; COMPUTE_PGM_RSRC2:TGID_Z_EN: 0
; COMPUTE_PGM_RSRC2:TIDIG_COMP_CNT: 0
; COMPUTE_PGM_RSRC3_GFX90A:ACCUM_OFFSET: 0
; COMPUTE_PGM_RSRC3_GFX90A:TG_SPLIT: 0
	.section	.text._ZN7rocprim17ROCPRIM_400000_NS6detail17trampoline_kernelINS0_14default_configENS1_20scan_config_selectorIxEEZZNS1_9scan_implILNS1_25lookback_scan_determinismE0ELb0ELb0ES3_N6thrust23THRUST_200600_302600_NS6detail15normal_iteratorINS9_10device_ptrIxEEEESE_xNS9_4plusIxEExEEDaPvRmT3_T4_T5_mT6_P12ihipStream_tbENKUlT_T0_E_clISt17integral_constantIbLb0EESU_EEDaSP_SQ_EUlSP_E0_NS1_11comp_targetILNS1_3genE4ELNS1_11target_archE910ELNS1_3gpuE8ELNS1_3repE0EEENS1_30default_config_static_selectorELNS0_4arch9wavefront6targetE1EEEvT1_,"axG",@progbits,_ZN7rocprim17ROCPRIM_400000_NS6detail17trampoline_kernelINS0_14default_configENS1_20scan_config_selectorIxEEZZNS1_9scan_implILNS1_25lookback_scan_determinismE0ELb0ELb0ES3_N6thrust23THRUST_200600_302600_NS6detail15normal_iteratorINS9_10device_ptrIxEEEESE_xNS9_4plusIxEExEEDaPvRmT3_T4_T5_mT6_P12ihipStream_tbENKUlT_T0_E_clISt17integral_constantIbLb0EESU_EEDaSP_SQ_EUlSP_E0_NS1_11comp_targetILNS1_3genE4ELNS1_11target_archE910ELNS1_3gpuE8ELNS1_3repE0EEENS1_30default_config_static_selectorELNS0_4arch9wavefront6targetE1EEEvT1_,comdat
	.protected	_ZN7rocprim17ROCPRIM_400000_NS6detail17trampoline_kernelINS0_14default_configENS1_20scan_config_selectorIxEEZZNS1_9scan_implILNS1_25lookback_scan_determinismE0ELb0ELb0ES3_N6thrust23THRUST_200600_302600_NS6detail15normal_iteratorINS9_10device_ptrIxEEEESE_xNS9_4plusIxEExEEDaPvRmT3_T4_T5_mT6_P12ihipStream_tbENKUlT_T0_E_clISt17integral_constantIbLb0EESU_EEDaSP_SQ_EUlSP_E0_NS1_11comp_targetILNS1_3genE4ELNS1_11target_archE910ELNS1_3gpuE8ELNS1_3repE0EEENS1_30default_config_static_selectorELNS0_4arch9wavefront6targetE1EEEvT1_ ; -- Begin function _ZN7rocprim17ROCPRIM_400000_NS6detail17trampoline_kernelINS0_14default_configENS1_20scan_config_selectorIxEEZZNS1_9scan_implILNS1_25lookback_scan_determinismE0ELb0ELb0ES3_N6thrust23THRUST_200600_302600_NS6detail15normal_iteratorINS9_10device_ptrIxEEEESE_xNS9_4plusIxEExEEDaPvRmT3_T4_T5_mT6_P12ihipStream_tbENKUlT_T0_E_clISt17integral_constantIbLb0EESU_EEDaSP_SQ_EUlSP_E0_NS1_11comp_targetILNS1_3genE4ELNS1_11target_archE910ELNS1_3gpuE8ELNS1_3repE0EEENS1_30default_config_static_selectorELNS0_4arch9wavefront6targetE1EEEvT1_
	.globl	_ZN7rocprim17ROCPRIM_400000_NS6detail17trampoline_kernelINS0_14default_configENS1_20scan_config_selectorIxEEZZNS1_9scan_implILNS1_25lookback_scan_determinismE0ELb0ELb0ES3_N6thrust23THRUST_200600_302600_NS6detail15normal_iteratorINS9_10device_ptrIxEEEESE_xNS9_4plusIxEExEEDaPvRmT3_T4_T5_mT6_P12ihipStream_tbENKUlT_T0_E_clISt17integral_constantIbLb0EESU_EEDaSP_SQ_EUlSP_E0_NS1_11comp_targetILNS1_3genE4ELNS1_11target_archE910ELNS1_3gpuE8ELNS1_3repE0EEENS1_30default_config_static_selectorELNS0_4arch9wavefront6targetE1EEEvT1_
	.p2align	8
	.type	_ZN7rocprim17ROCPRIM_400000_NS6detail17trampoline_kernelINS0_14default_configENS1_20scan_config_selectorIxEEZZNS1_9scan_implILNS1_25lookback_scan_determinismE0ELb0ELb0ES3_N6thrust23THRUST_200600_302600_NS6detail15normal_iteratorINS9_10device_ptrIxEEEESE_xNS9_4plusIxEExEEDaPvRmT3_T4_T5_mT6_P12ihipStream_tbENKUlT_T0_E_clISt17integral_constantIbLb0EESU_EEDaSP_SQ_EUlSP_E0_NS1_11comp_targetILNS1_3genE4ELNS1_11target_archE910ELNS1_3gpuE8ELNS1_3repE0EEENS1_30default_config_static_selectorELNS0_4arch9wavefront6targetE1EEEvT1_,@function
_ZN7rocprim17ROCPRIM_400000_NS6detail17trampoline_kernelINS0_14default_configENS1_20scan_config_selectorIxEEZZNS1_9scan_implILNS1_25lookback_scan_determinismE0ELb0ELb0ES3_N6thrust23THRUST_200600_302600_NS6detail15normal_iteratorINS9_10device_ptrIxEEEESE_xNS9_4plusIxEExEEDaPvRmT3_T4_T5_mT6_P12ihipStream_tbENKUlT_T0_E_clISt17integral_constantIbLb0EESU_EEDaSP_SQ_EUlSP_E0_NS1_11comp_targetILNS1_3genE4ELNS1_11target_archE910ELNS1_3gpuE8ELNS1_3repE0EEENS1_30default_config_static_selectorELNS0_4arch9wavefront6targetE1EEEvT1_: ; @_ZN7rocprim17ROCPRIM_400000_NS6detail17trampoline_kernelINS0_14default_configENS1_20scan_config_selectorIxEEZZNS1_9scan_implILNS1_25lookback_scan_determinismE0ELb0ELb0ES3_N6thrust23THRUST_200600_302600_NS6detail15normal_iteratorINS9_10device_ptrIxEEEESE_xNS9_4plusIxEExEEDaPvRmT3_T4_T5_mT6_P12ihipStream_tbENKUlT_T0_E_clISt17integral_constantIbLb0EESU_EEDaSP_SQ_EUlSP_E0_NS1_11comp_targetILNS1_3genE4ELNS1_11target_archE910ELNS1_3gpuE8ELNS1_3repE0EEENS1_30default_config_static_selectorELNS0_4arch9wavefront6targetE1EEEvT1_
; %bb.0:
	s_load_dwordx4 s[16:19], s[4:5], 0x0
	v_lshlrev_b32_e32 v21, 3, v0
	s_waitcnt lgkmcnt(0)
	s_load_dwordx2 s[14:15], s[16:17], 0x0
	v_cmp_gt_u32_e32 vcc, s18, v0
	s_waitcnt lgkmcnt(0)
	v_pk_mov_b32 v[2:3], s[14:15], s[14:15] op_sel:[0,1]
	s_and_saveexec_b64 s[0:1], vcc
	s_cbranch_execz .LBB209_2
; %bb.1:
	global_load_dwordx2 v[2:3], v21, s[16:17]
.LBB209_2:
	s_or_b64 exec, exec, s[0:1]
	v_or_b32_e32 v1, 0x80, v0
	v_cmp_gt_u32_e64 s[0:1], s18, v1
	v_pk_mov_b32 v[4:5], s[14:15], s[14:15] op_sel:[0,1]
	s_and_saveexec_b64 s[2:3], s[0:1]
	s_cbranch_execz .LBB209_4
; %bb.3:
	global_load_dwordx2 v[4:5], v21, s[16:17] offset:1024
.LBB209_4:
	s_or_b64 exec, exec, s[2:3]
	v_or_b32_e32 v1, 0x100, v0
	v_cmp_gt_u32_e64 s[2:3], s18, v1
	v_pk_mov_b32 v[6:7], s[14:15], s[14:15] op_sel:[0,1]
	s_and_saveexec_b64 s[6:7], s[2:3]
	s_cbranch_execz .LBB209_6
; %bb.5:
	global_load_dwordx2 v[6:7], v21, s[16:17] offset:2048
.LBB209_6:
	;; [unrolled: 9-line block ×3, first 2 shown]
	s_or_b64 exec, exec, s[6:7]
	v_or_b32_e32 v1, 0x200, v0
	v_cmp_gt_u32_e64 s[6:7], s18, v1
	v_pk_mov_b32 v[10:11], s[14:15], s[14:15] op_sel:[0,1]
	s_and_saveexec_b64 s[8:9], s[6:7]
	s_cbranch_execz .LBB209_10
; %bb.9:
	v_lshlrev_b32_e32 v1, 3, v1
	global_load_dwordx2 v[10:11], v1, s[16:17]
.LBB209_10:
	s_or_b64 exec, exec, s[8:9]
	v_or_b32_e32 v1, 0x280, v0
	v_cmp_gt_u32_e64 s[8:9], s18, v1
	v_pk_mov_b32 v[12:13], s[14:15], s[14:15] op_sel:[0,1]
	s_and_saveexec_b64 s[10:11], s[8:9]
	s_cbranch_execz .LBB209_12
; %bb.11:
	v_lshlrev_b32_e32 v1, 3, v1
	global_load_dwordx2 v[12:13], v1, s[16:17]
.LBB209_12:
	;; [unrolled: 10-line block ×3, first 2 shown]
	s_or_b64 exec, exec, s[14:15]
	v_mad_u32_u24 v1, v0, 48, v21
	s_waitcnt vmcnt(0)
	ds_write2st64_b64 v21, v[2:3], v[4:5] offset1:2
	ds_write2st64_b64 v21, v[6:7], v[8:9] offset0:4 offset1:6
	ds_write2st64_b64 v21, v[10:11], v[12:13] offset0:8 offset1:10
	ds_write_b64 v21, v[14:15] offset:6144
	s_waitcnt lgkmcnt(0)
	s_barrier
	ds_read2_b64 v[2:5], v1 offset1:1
	ds_read2_b64 v[6:9], v1 offset0:2 offset1:3
	ds_read2_b64 v[10:13], v1 offset0:4 offset1:5
	ds_read_b64 v[28:29], v1 offset:48
	s_load_dwordx2 s[16:17], s[4:5], 0x20
	s_waitcnt lgkmcnt(0)
	v_add_co_u32_e64 v20, s[4:5], v4, v2
	v_addc_co_u32_e64 v1, s[4:5], v5, v3, s[4:5]
	v_add_co_u32_e64 v18, s[4:5], v20, v6
	v_addc_co_u32_e64 v19, s[4:5], v1, v7, s[4:5]
	;; [unrolled: 2-line block ×5, first 2 shown]
	v_add_co_u32_e64 v30, s[4:5], v26, v28
	v_lshrrev_b32_e32 v14, 2, v0
	v_addc_co_u32_e64 v31, s[4:5], v27, v29, s[4:5]
	v_and_b32_e32 v14, 24, v14
	v_add_u32_e32 v14, v21, v14
	v_cmp_gt_u32_e64 s[4:5], 64, v0
	s_barrier
	ds_write_b64 v14, v[30:31]
	s_waitcnt lgkmcnt(0)
	s_barrier
	s_and_saveexec_b64 s[18:19], s[4:5]
	s_cbranch_execz .LBB209_18
; %bb.15:
	v_lshlrev_b32_e32 v14, 1, v0
	v_lshrrev_b32_e32 v15, 4, v0
	v_add_lshl_u32 v32, v15, v14, 3
	ds_read2_b64 v[14:17], v32 offset1:1
	s_waitcnt lgkmcnt(0)
	v_add_co_u32_e64 v34, s[4:5], v16, v14
	v_addc_co_u32_e64 v35, s[4:5], v17, v15, s[4:5]
	s_nop 0
	v_mov_b32_dpp v17, v34 row_shr:1 row_mask:0xf bank_mask:0xf
	v_add_co_u32_e64 v17, s[4:5], v34, v17
	v_mbcnt_lo_u32_b32 v16, -1, 0
	v_addc_co_u32_e64 v37, s[4:5], 0, v35, s[4:5]
	v_mbcnt_hi_u32_b32 v33, -1, v16
	v_mov_b32_dpp v36, v35 row_shr:1 row_mask:0xf bank_mask:0xf
	v_add_co_u32_e64 v38, s[4:5], 0, v17
	v_and_b32_e32 v16, 15, v33
	v_addc_co_u32_e64 v36, s[4:5], v36, v37, s[4:5]
	v_cmp_eq_u32_e64 s[4:5], 0, v16
	v_cndmask_b32_e64 v17, v17, v34, s[4:5]
	v_cndmask_b32_e64 v36, v36, v35, s[4:5]
	v_cndmask_b32_e64 v37, v38, v34, s[4:5]
	v_mov_b32_dpp v38, v17 row_shr:2 row_mask:0xf bank_mask:0xf
	v_mov_b32_dpp v39, v36 row_shr:2 row_mask:0xf bank_mask:0xf
	v_add_co_u32_e64 v38, s[4:5], v38, v37
	v_addc_co_u32_e64 v39, s[4:5], v39, v36, s[4:5]
	v_cmp_lt_u32_e64 s[4:5], 1, v16
	v_cndmask_b32_e64 v17, v17, v38, s[4:5]
	v_cndmask_b32_e64 v36, v36, v39, s[4:5]
	v_cndmask_b32_e64 v37, v37, v38, s[4:5]
	v_mov_b32_dpp v38, v17 row_shr:4 row_mask:0xf bank_mask:0xf
	v_mov_b32_dpp v39, v36 row_shr:4 row_mask:0xf bank_mask:0xf
	v_add_co_u32_e64 v38, s[4:5], v38, v37
	v_addc_co_u32_e64 v39, s[4:5], v39, v36, s[4:5]
	v_cmp_lt_u32_e64 s[4:5], 3, v16
	;; [unrolled: 8-line block ×3, first 2 shown]
	v_cndmask_b32_e64 v40, v17, v38, s[4:5]
	v_cndmask_b32_e64 v17, v36, v39, s[4:5]
	;; [unrolled: 1-line block ×3, first 2 shown]
	v_mov_b32_dpp v36, v40 row_bcast:15 row_mask:0xf bank_mask:0xf
	v_mov_b32_dpp v37, v17 row_bcast:15 row_mask:0xf bank_mask:0xf
	v_add_co_u32_e64 v36, s[4:5], v36, v16
	v_and_b32_e32 v39, 16, v33
	v_addc_co_u32_e64 v38, s[4:5], v37, v17, s[4:5]
	v_cmp_eq_u32_e64 s[4:5], 0, v39
	v_cndmask_b32_e64 v39, v38, v17, s[4:5]
	v_cndmask_b32_e64 v37, v36, v40, s[4:5]
	v_cmp_ne_u32_e64 s[14:15], 0, v33
	v_mov_b32_dpp v39, v39 row_bcast:31 row_mask:0xf bank_mask:0xf
	v_mov_b32_dpp v37, v37 row_bcast:31 row_mask:0xf bank_mask:0xf
	s_and_saveexec_b64 s[20:21], s[14:15]
; %bb.16:
	v_cndmask_b32_e64 v17, v38, v17, s[4:5]
	v_cndmask_b32_e64 v16, v36, v16, s[4:5]
	v_cmp_lt_u32_e64 s[4:5], 31, v33
	v_cndmask_b32_e64 v34, 0, v37, s[4:5]
	v_cndmask_b32_e64 v35, 0, v39, s[4:5]
	v_add_co_u32_e64 v34, s[4:5], v34, v16
	v_addc_co_u32_e64 v35, s[4:5], v35, v17, s[4:5]
; %bb.17:
	s_or_b64 exec, exec, s[20:21]
	v_add_u32_e32 v16, -1, v33
	v_and_b32_e32 v17, 64, v33
	v_cmp_lt_i32_e64 s[4:5], v16, v17
	v_cndmask_b32_e64 v16, v16, v33, s[4:5]
	v_lshlrev_b32_e32 v16, 2, v16
	ds_bpermute_b32 v17, v16, v34
	ds_bpermute_b32 v16, v16, v35
	; wave barrier
	s_waitcnt lgkmcnt(1)
	v_add_co_u32_e64 v14, s[4:5], v14, v17
	v_addc_co_u32_e64 v15, s[4:5], 0, v15, s[4:5]
	v_add_co_u32_e64 v14, s[4:5], 0, v14
	s_waitcnt lgkmcnt(0)
	v_addc_co_u32_e64 v15, s[4:5], v15, v16, s[4:5]
	v_cmp_eq_u32_e64 s[4:5], 0, v0
	v_cndmask_b32_e64 v15, v15, v31, s[4:5]
	v_cndmask_b32_e64 v14, v14, v30, s[4:5]
	ds_write_b64 v32, v[14:15]
	; wave barrier
	ds_read_b64 v[16:17], v32 offset:8
	s_waitcnt lgkmcnt(0)
	v_add_co_u32_e64 v14, s[4:5], v16, v14
	v_addc_co_u32_e64 v15, s[4:5], v17, v15, s[4:5]
	ds_write_b64 v32, v[14:15] offset:8
.LBB209_18:
	s_or_b64 exec, exec, s[18:19]
	v_mul_u32_u24_e32 v16, 48, v0
	v_cmp_ne_u32_e64 s[4:5], 0, v0
	v_pk_mov_b32 v[14:15], v[30:31], v[30:31] op_sel:[0,1]
	s_waitcnt lgkmcnt(0)
	s_barrier
	s_and_saveexec_b64 s[14:15], s[4:5]
	s_cbranch_execz .LBB209_20
; %bb.19:
	v_add_u32_e32 v0, -1, v0
	v_lshrrev_b32_e32 v14, 5, v0
	v_add_lshl_u32 v0, v14, v0, 3
	ds_read_b64 v[14:15], v0
.LBB209_20:
	s_or_b64 exec, exec, s[14:15]
	s_and_saveexec_b64 s[14:15], s[4:5]
	s_cbranch_execz .LBB209_22
; %bb.21:
	s_waitcnt lgkmcnt(0)
	v_add_co_u32_e64 v2, s[4:5], v14, v2
	v_addc_co_u32_e64 v3, s[4:5], v15, v3, s[4:5]
	v_add_co_u32_e64 v20, s[4:5], v2, v4
	v_addc_co_u32_e64 v1, s[4:5], v3, v5, s[4:5]
	;; [unrolled: 2-line block ×7, first 2 shown]
	;;#ASMSTART
	;;#ASMEND
.LBB209_22:
	s_or_b64 exec, exec, s[14:15]
	v_add_u32_e32 v4, v21, v16
	v_mov_b32_e32 v0, v20
	s_waitcnt lgkmcnt(0)
	s_barrier
	ds_write2_b64 v4, v[2:3], v[0:1] offset1:1
	ds_write2_b64 v4, v[18:19], v[24:25] offset0:2 offset1:3
	ds_write2_b64 v4, v[22:23], v[26:27] offset0:4 offset1:5
	ds_write_b64 v4, v[30:31] offset:48
	s_waitcnt lgkmcnt(0)
	s_barrier
	ds_read2st64_b64 v[8:11], v21 offset0:2 offset1:4
	ds_read2st64_b64 v[4:7], v21 offset0:6 offset1:8
	;; [unrolled: 1-line block ×3, first 2 shown]
	v_mov_b32_e32 v13, s17
	v_add_co_u32_e64 v12, s[4:5], s16, v21
	v_addc_co_u32_e64 v13, s[4:5], 0, v13, s[4:5]
	s_and_saveexec_b64 s[4:5], vcc
	s_cbranch_execnz .LBB209_30
; %bb.23:
	s_or_b64 exec, exec, s[4:5]
	s_and_saveexec_b64 s[4:5], s[0:1]
	s_cbranch_execnz .LBB209_31
.LBB209_24:
	s_or_b64 exec, exec, s[4:5]
	s_and_saveexec_b64 s[0:1], s[2:3]
	s_cbranch_execnz .LBB209_32
.LBB209_25:
	s_or_b64 exec, exec, s[0:1]
	s_and_saveexec_b64 s[0:1], s[12:13]
	s_cbranch_execnz .LBB209_33
.LBB209_26:
	s_or_b64 exec, exec, s[0:1]
	s_and_saveexec_b64 s[0:1], s[6:7]
	s_cbranch_execnz .LBB209_34
.LBB209_27:
	s_or_b64 exec, exec, s[0:1]
	s_and_saveexec_b64 s[0:1], s[8:9]
	s_cbranch_execnz .LBB209_35
.LBB209_28:
	s_or_b64 exec, exec, s[0:1]
	s_and_saveexec_b64 s[0:1], s[10:11]
	s_cbranch_execnz .LBB209_36
.LBB209_29:
	s_endpgm
.LBB209_30:
	ds_read_b64 v[14:15], v21
	s_waitcnt lgkmcnt(0)
	global_store_dwordx2 v[12:13], v[14:15], off
	s_or_b64 exec, exec, s[4:5]
	s_and_saveexec_b64 s[4:5], s[0:1]
	s_cbranch_execz .LBB209_24
.LBB209_31:
	s_waitcnt lgkmcnt(2)
	global_store_dwordx2 v[12:13], v[8:9], off offset:1024
	s_or_b64 exec, exec, s[4:5]
	s_and_saveexec_b64 s[0:1], s[2:3]
	s_cbranch_execz .LBB209_25
.LBB209_32:
	s_waitcnt lgkmcnt(2)
	global_store_dwordx2 v[12:13], v[10:11], off offset:2048
	s_or_b64 exec, exec, s[0:1]
	s_and_saveexec_b64 s[0:1], s[12:13]
	s_cbranch_execz .LBB209_26
.LBB209_33:
	s_waitcnt lgkmcnt(1)
	global_store_dwordx2 v[12:13], v[4:5], off offset:3072
	s_or_b64 exec, exec, s[0:1]
	s_and_saveexec_b64 s[0:1], s[6:7]
	s_cbranch_execz .LBB209_27
.LBB209_34:
	s_waitcnt lgkmcnt(1)
	v_add_co_u32_e32 v4, vcc, 0x1000, v12
	v_addc_co_u32_e32 v5, vcc, 0, v13, vcc
	global_store_dwordx2 v[4:5], v[6:7], off
	s_or_b64 exec, exec, s[0:1]
	s_and_saveexec_b64 s[0:1], s[8:9]
	s_cbranch_execz .LBB209_28
.LBB209_35:
	s_waitcnt lgkmcnt(1)
	v_add_co_u32_e32 v4, vcc, 0x1000, v12
	v_addc_co_u32_e32 v5, vcc, 0, v13, vcc
	s_waitcnt lgkmcnt(0)
	global_store_dwordx2 v[4:5], v[0:1], off offset:1024
	s_or_b64 exec, exec, s[0:1]
	s_and_saveexec_b64 s[0:1], s[10:11]
	s_cbranch_execz .LBB209_29
.LBB209_36:
	s_waitcnt lgkmcnt(0)
	v_add_co_u32_e32 v0, vcc, 0x1000, v12
	v_addc_co_u32_e32 v1, vcc, 0, v13, vcc
	global_store_dwordx2 v[0:1], v[2:3], off offset:2048
	s_endpgm
	.section	.rodata,"a",@progbits
	.p2align	6, 0x0
	.amdhsa_kernel _ZN7rocprim17ROCPRIM_400000_NS6detail17trampoline_kernelINS0_14default_configENS1_20scan_config_selectorIxEEZZNS1_9scan_implILNS1_25lookback_scan_determinismE0ELb0ELb0ES3_N6thrust23THRUST_200600_302600_NS6detail15normal_iteratorINS9_10device_ptrIxEEEESE_xNS9_4plusIxEExEEDaPvRmT3_T4_T5_mT6_P12ihipStream_tbENKUlT_T0_E_clISt17integral_constantIbLb0EESU_EEDaSP_SQ_EUlSP_E0_NS1_11comp_targetILNS1_3genE4ELNS1_11target_archE910ELNS1_3gpuE8ELNS1_3repE0EEENS1_30default_config_static_selectorELNS0_4arch9wavefront6targetE1EEEvT1_
		.amdhsa_group_segment_fixed_size 7168
		.amdhsa_private_segment_fixed_size 0
		.amdhsa_kernarg_size 40
		.amdhsa_user_sgpr_count 6
		.amdhsa_user_sgpr_private_segment_buffer 1
		.amdhsa_user_sgpr_dispatch_ptr 0
		.amdhsa_user_sgpr_queue_ptr 0
		.amdhsa_user_sgpr_kernarg_segment_ptr 1
		.amdhsa_user_sgpr_dispatch_id 0
		.amdhsa_user_sgpr_flat_scratch_init 0
		.amdhsa_user_sgpr_kernarg_preload_length 0
		.amdhsa_user_sgpr_kernarg_preload_offset 0
		.amdhsa_user_sgpr_private_segment_size 0
		.amdhsa_uses_dynamic_stack 0
		.amdhsa_system_sgpr_private_segment_wavefront_offset 0
		.amdhsa_system_sgpr_workgroup_id_x 1
		.amdhsa_system_sgpr_workgroup_id_y 0
		.amdhsa_system_sgpr_workgroup_id_z 0
		.amdhsa_system_sgpr_workgroup_info 0
		.amdhsa_system_vgpr_workitem_id 0
		.amdhsa_next_free_vgpr 41
		.amdhsa_next_free_sgpr 22
		.amdhsa_accum_offset 44
		.amdhsa_reserve_vcc 1
		.amdhsa_reserve_flat_scratch 0
		.amdhsa_float_round_mode_32 0
		.amdhsa_float_round_mode_16_64 0
		.amdhsa_float_denorm_mode_32 3
		.amdhsa_float_denorm_mode_16_64 3
		.amdhsa_dx10_clamp 1
		.amdhsa_ieee_mode 1
		.amdhsa_fp16_overflow 0
		.amdhsa_tg_split 0
		.amdhsa_exception_fp_ieee_invalid_op 0
		.amdhsa_exception_fp_denorm_src 0
		.amdhsa_exception_fp_ieee_div_zero 0
		.amdhsa_exception_fp_ieee_overflow 0
		.amdhsa_exception_fp_ieee_underflow 0
		.amdhsa_exception_fp_ieee_inexact 0
		.amdhsa_exception_int_div_zero 0
	.end_amdhsa_kernel
	.section	.text._ZN7rocprim17ROCPRIM_400000_NS6detail17trampoline_kernelINS0_14default_configENS1_20scan_config_selectorIxEEZZNS1_9scan_implILNS1_25lookback_scan_determinismE0ELb0ELb0ES3_N6thrust23THRUST_200600_302600_NS6detail15normal_iteratorINS9_10device_ptrIxEEEESE_xNS9_4plusIxEExEEDaPvRmT3_T4_T5_mT6_P12ihipStream_tbENKUlT_T0_E_clISt17integral_constantIbLb0EESU_EEDaSP_SQ_EUlSP_E0_NS1_11comp_targetILNS1_3genE4ELNS1_11target_archE910ELNS1_3gpuE8ELNS1_3repE0EEENS1_30default_config_static_selectorELNS0_4arch9wavefront6targetE1EEEvT1_,"axG",@progbits,_ZN7rocprim17ROCPRIM_400000_NS6detail17trampoline_kernelINS0_14default_configENS1_20scan_config_selectorIxEEZZNS1_9scan_implILNS1_25lookback_scan_determinismE0ELb0ELb0ES3_N6thrust23THRUST_200600_302600_NS6detail15normal_iteratorINS9_10device_ptrIxEEEESE_xNS9_4plusIxEExEEDaPvRmT3_T4_T5_mT6_P12ihipStream_tbENKUlT_T0_E_clISt17integral_constantIbLb0EESU_EEDaSP_SQ_EUlSP_E0_NS1_11comp_targetILNS1_3genE4ELNS1_11target_archE910ELNS1_3gpuE8ELNS1_3repE0EEENS1_30default_config_static_selectorELNS0_4arch9wavefront6targetE1EEEvT1_,comdat
.Lfunc_end209:
	.size	_ZN7rocprim17ROCPRIM_400000_NS6detail17trampoline_kernelINS0_14default_configENS1_20scan_config_selectorIxEEZZNS1_9scan_implILNS1_25lookback_scan_determinismE0ELb0ELb0ES3_N6thrust23THRUST_200600_302600_NS6detail15normal_iteratorINS9_10device_ptrIxEEEESE_xNS9_4plusIxEExEEDaPvRmT3_T4_T5_mT6_P12ihipStream_tbENKUlT_T0_E_clISt17integral_constantIbLb0EESU_EEDaSP_SQ_EUlSP_E0_NS1_11comp_targetILNS1_3genE4ELNS1_11target_archE910ELNS1_3gpuE8ELNS1_3repE0EEENS1_30default_config_static_selectorELNS0_4arch9wavefront6targetE1EEEvT1_, .Lfunc_end209-_ZN7rocprim17ROCPRIM_400000_NS6detail17trampoline_kernelINS0_14default_configENS1_20scan_config_selectorIxEEZZNS1_9scan_implILNS1_25lookback_scan_determinismE0ELb0ELb0ES3_N6thrust23THRUST_200600_302600_NS6detail15normal_iteratorINS9_10device_ptrIxEEEESE_xNS9_4plusIxEExEEDaPvRmT3_T4_T5_mT6_P12ihipStream_tbENKUlT_T0_E_clISt17integral_constantIbLb0EESU_EEDaSP_SQ_EUlSP_E0_NS1_11comp_targetILNS1_3genE4ELNS1_11target_archE910ELNS1_3gpuE8ELNS1_3repE0EEENS1_30default_config_static_selectorELNS0_4arch9wavefront6targetE1EEEvT1_
                                        ; -- End function
	.section	.AMDGPU.csdata,"",@progbits
; Kernel info:
; codeLenInByte = 1804
; NumSgprs: 26
; NumVgprs: 41
; NumAgprs: 0
; TotalNumVgprs: 41
; ScratchSize: 0
; MemoryBound: 0
; FloatMode: 240
; IeeeMode: 1
; LDSByteSize: 7168 bytes/workgroup (compile time only)
; SGPRBlocks: 3
; VGPRBlocks: 5
; NumSGPRsForWavesPerEU: 26
; NumVGPRsForWavesPerEU: 41
; AccumOffset: 44
; Occupancy: 5
; WaveLimiterHint : 0
; COMPUTE_PGM_RSRC2:SCRATCH_EN: 0
; COMPUTE_PGM_RSRC2:USER_SGPR: 6
; COMPUTE_PGM_RSRC2:TRAP_HANDLER: 0
; COMPUTE_PGM_RSRC2:TGID_X_EN: 1
; COMPUTE_PGM_RSRC2:TGID_Y_EN: 0
; COMPUTE_PGM_RSRC2:TGID_Z_EN: 0
; COMPUTE_PGM_RSRC2:TIDIG_COMP_CNT: 0
; COMPUTE_PGM_RSRC3_GFX90A:ACCUM_OFFSET: 10
; COMPUTE_PGM_RSRC3_GFX90A:TG_SPLIT: 0
	.section	.text._ZN7rocprim17ROCPRIM_400000_NS6detail17trampoline_kernelINS0_14default_configENS1_20scan_config_selectorIxEEZZNS1_9scan_implILNS1_25lookback_scan_determinismE0ELb0ELb0ES3_N6thrust23THRUST_200600_302600_NS6detail15normal_iteratorINS9_10device_ptrIxEEEESE_xNS9_4plusIxEExEEDaPvRmT3_T4_T5_mT6_P12ihipStream_tbENKUlT_T0_E_clISt17integral_constantIbLb0EESU_EEDaSP_SQ_EUlSP_E0_NS1_11comp_targetILNS1_3genE3ELNS1_11target_archE908ELNS1_3gpuE7ELNS1_3repE0EEENS1_30default_config_static_selectorELNS0_4arch9wavefront6targetE1EEEvT1_,"axG",@progbits,_ZN7rocprim17ROCPRIM_400000_NS6detail17trampoline_kernelINS0_14default_configENS1_20scan_config_selectorIxEEZZNS1_9scan_implILNS1_25lookback_scan_determinismE0ELb0ELb0ES3_N6thrust23THRUST_200600_302600_NS6detail15normal_iteratorINS9_10device_ptrIxEEEESE_xNS9_4plusIxEExEEDaPvRmT3_T4_T5_mT6_P12ihipStream_tbENKUlT_T0_E_clISt17integral_constantIbLb0EESU_EEDaSP_SQ_EUlSP_E0_NS1_11comp_targetILNS1_3genE3ELNS1_11target_archE908ELNS1_3gpuE7ELNS1_3repE0EEENS1_30default_config_static_selectorELNS0_4arch9wavefront6targetE1EEEvT1_,comdat
	.protected	_ZN7rocprim17ROCPRIM_400000_NS6detail17trampoline_kernelINS0_14default_configENS1_20scan_config_selectorIxEEZZNS1_9scan_implILNS1_25lookback_scan_determinismE0ELb0ELb0ES3_N6thrust23THRUST_200600_302600_NS6detail15normal_iteratorINS9_10device_ptrIxEEEESE_xNS9_4plusIxEExEEDaPvRmT3_T4_T5_mT6_P12ihipStream_tbENKUlT_T0_E_clISt17integral_constantIbLb0EESU_EEDaSP_SQ_EUlSP_E0_NS1_11comp_targetILNS1_3genE3ELNS1_11target_archE908ELNS1_3gpuE7ELNS1_3repE0EEENS1_30default_config_static_selectorELNS0_4arch9wavefront6targetE1EEEvT1_ ; -- Begin function _ZN7rocprim17ROCPRIM_400000_NS6detail17trampoline_kernelINS0_14default_configENS1_20scan_config_selectorIxEEZZNS1_9scan_implILNS1_25lookback_scan_determinismE0ELb0ELb0ES3_N6thrust23THRUST_200600_302600_NS6detail15normal_iteratorINS9_10device_ptrIxEEEESE_xNS9_4plusIxEExEEDaPvRmT3_T4_T5_mT6_P12ihipStream_tbENKUlT_T0_E_clISt17integral_constantIbLb0EESU_EEDaSP_SQ_EUlSP_E0_NS1_11comp_targetILNS1_3genE3ELNS1_11target_archE908ELNS1_3gpuE7ELNS1_3repE0EEENS1_30default_config_static_selectorELNS0_4arch9wavefront6targetE1EEEvT1_
	.globl	_ZN7rocprim17ROCPRIM_400000_NS6detail17trampoline_kernelINS0_14default_configENS1_20scan_config_selectorIxEEZZNS1_9scan_implILNS1_25lookback_scan_determinismE0ELb0ELb0ES3_N6thrust23THRUST_200600_302600_NS6detail15normal_iteratorINS9_10device_ptrIxEEEESE_xNS9_4plusIxEExEEDaPvRmT3_T4_T5_mT6_P12ihipStream_tbENKUlT_T0_E_clISt17integral_constantIbLb0EESU_EEDaSP_SQ_EUlSP_E0_NS1_11comp_targetILNS1_3genE3ELNS1_11target_archE908ELNS1_3gpuE7ELNS1_3repE0EEENS1_30default_config_static_selectorELNS0_4arch9wavefront6targetE1EEEvT1_
	.p2align	8
	.type	_ZN7rocprim17ROCPRIM_400000_NS6detail17trampoline_kernelINS0_14default_configENS1_20scan_config_selectorIxEEZZNS1_9scan_implILNS1_25lookback_scan_determinismE0ELb0ELb0ES3_N6thrust23THRUST_200600_302600_NS6detail15normal_iteratorINS9_10device_ptrIxEEEESE_xNS9_4plusIxEExEEDaPvRmT3_T4_T5_mT6_P12ihipStream_tbENKUlT_T0_E_clISt17integral_constantIbLb0EESU_EEDaSP_SQ_EUlSP_E0_NS1_11comp_targetILNS1_3genE3ELNS1_11target_archE908ELNS1_3gpuE7ELNS1_3repE0EEENS1_30default_config_static_selectorELNS0_4arch9wavefront6targetE1EEEvT1_,@function
_ZN7rocprim17ROCPRIM_400000_NS6detail17trampoline_kernelINS0_14default_configENS1_20scan_config_selectorIxEEZZNS1_9scan_implILNS1_25lookback_scan_determinismE0ELb0ELb0ES3_N6thrust23THRUST_200600_302600_NS6detail15normal_iteratorINS9_10device_ptrIxEEEESE_xNS9_4plusIxEExEEDaPvRmT3_T4_T5_mT6_P12ihipStream_tbENKUlT_T0_E_clISt17integral_constantIbLb0EESU_EEDaSP_SQ_EUlSP_E0_NS1_11comp_targetILNS1_3genE3ELNS1_11target_archE908ELNS1_3gpuE7ELNS1_3repE0EEENS1_30default_config_static_selectorELNS0_4arch9wavefront6targetE1EEEvT1_: ; @_ZN7rocprim17ROCPRIM_400000_NS6detail17trampoline_kernelINS0_14default_configENS1_20scan_config_selectorIxEEZZNS1_9scan_implILNS1_25lookback_scan_determinismE0ELb0ELb0ES3_N6thrust23THRUST_200600_302600_NS6detail15normal_iteratorINS9_10device_ptrIxEEEESE_xNS9_4plusIxEExEEDaPvRmT3_T4_T5_mT6_P12ihipStream_tbENKUlT_T0_E_clISt17integral_constantIbLb0EESU_EEDaSP_SQ_EUlSP_E0_NS1_11comp_targetILNS1_3genE3ELNS1_11target_archE908ELNS1_3gpuE7ELNS1_3repE0EEENS1_30default_config_static_selectorELNS0_4arch9wavefront6targetE1EEEvT1_
; %bb.0:
	.section	.rodata,"a",@progbits
	.p2align	6, 0x0
	.amdhsa_kernel _ZN7rocprim17ROCPRIM_400000_NS6detail17trampoline_kernelINS0_14default_configENS1_20scan_config_selectorIxEEZZNS1_9scan_implILNS1_25lookback_scan_determinismE0ELb0ELb0ES3_N6thrust23THRUST_200600_302600_NS6detail15normal_iteratorINS9_10device_ptrIxEEEESE_xNS9_4plusIxEExEEDaPvRmT3_T4_T5_mT6_P12ihipStream_tbENKUlT_T0_E_clISt17integral_constantIbLb0EESU_EEDaSP_SQ_EUlSP_E0_NS1_11comp_targetILNS1_3genE3ELNS1_11target_archE908ELNS1_3gpuE7ELNS1_3repE0EEENS1_30default_config_static_selectorELNS0_4arch9wavefront6targetE1EEEvT1_
		.amdhsa_group_segment_fixed_size 0
		.amdhsa_private_segment_fixed_size 0
		.amdhsa_kernarg_size 40
		.amdhsa_user_sgpr_count 6
		.amdhsa_user_sgpr_private_segment_buffer 1
		.amdhsa_user_sgpr_dispatch_ptr 0
		.amdhsa_user_sgpr_queue_ptr 0
		.amdhsa_user_sgpr_kernarg_segment_ptr 1
		.amdhsa_user_sgpr_dispatch_id 0
		.amdhsa_user_sgpr_flat_scratch_init 0
		.amdhsa_user_sgpr_kernarg_preload_length 0
		.amdhsa_user_sgpr_kernarg_preload_offset 0
		.amdhsa_user_sgpr_private_segment_size 0
		.amdhsa_uses_dynamic_stack 0
		.amdhsa_system_sgpr_private_segment_wavefront_offset 0
		.amdhsa_system_sgpr_workgroup_id_x 1
		.amdhsa_system_sgpr_workgroup_id_y 0
		.amdhsa_system_sgpr_workgroup_id_z 0
		.amdhsa_system_sgpr_workgroup_info 0
		.amdhsa_system_vgpr_workitem_id 0
		.amdhsa_next_free_vgpr 1
		.amdhsa_next_free_sgpr 0
		.amdhsa_accum_offset 4
		.amdhsa_reserve_vcc 0
		.amdhsa_reserve_flat_scratch 0
		.amdhsa_float_round_mode_32 0
		.amdhsa_float_round_mode_16_64 0
		.amdhsa_float_denorm_mode_32 3
		.amdhsa_float_denorm_mode_16_64 3
		.amdhsa_dx10_clamp 1
		.amdhsa_ieee_mode 1
		.amdhsa_fp16_overflow 0
		.amdhsa_tg_split 0
		.amdhsa_exception_fp_ieee_invalid_op 0
		.amdhsa_exception_fp_denorm_src 0
		.amdhsa_exception_fp_ieee_div_zero 0
		.amdhsa_exception_fp_ieee_overflow 0
		.amdhsa_exception_fp_ieee_underflow 0
		.amdhsa_exception_fp_ieee_inexact 0
		.amdhsa_exception_int_div_zero 0
	.end_amdhsa_kernel
	.section	.text._ZN7rocprim17ROCPRIM_400000_NS6detail17trampoline_kernelINS0_14default_configENS1_20scan_config_selectorIxEEZZNS1_9scan_implILNS1_25lookback_scan_determinismE0ELb0ELb0ES3_N6thrust23THRUST_200600_302600_NS6detail15normal_iteratorINS9_10device_ptrIxEEEESE_xNS9_4plusIxEExEEDaPvRmT3_T4_T5_mT6_P12ihipStream_tbENKUlT_T0_E_clISt17integral_constantIbLb0EESU_EEDaSP_SQ_EUlSP_E0_NS1_11comp_targetILNS1_3genE3ELNS1_11target_archE908ELNS1_3gpuE7ELNS1_3repE0EEENS1_30default_config_static_selectorELNS0_4arch9wavefront6targetE1EEEvT1_,"axG",@progbits,_ZN7rocprim17ROCPRIM_400000_NS6detail17trampoline_kernelINS0_14default_configENS1_20scan_config_selectorIxEEZZNS1_9scan_implILNS1_25lookback_scan_determinismE0ELb0ELb0ES3_N6thrust23THRUST_200600_302600_NS6detail15normal_iteratorINS9_10device_ptrIxEEEESE_xNS9_4plusIxEExEEDaPvRmT3_T4_T5_mT6_P12ihipStream_tbENKUlT_T0_E_clISt17integral_constantIbLb0EESU_EEDaSP_SQ_EUlSP_E0_NS1_11comp_targetILNS1_3genE3ELNS1_11target_archE908ELNS1_3gpuE7ELNS1_3repE0EEENS1_30default_config_static_selectorELNS0_4arch9wavefront6targetE1EEEvT1_,comdat
.Lfunc_end210:
	.size	_ZN7rocprim17ROCPRIM_400000_NS6detail17trampoline_kernelINS0_14default_configENS1_20scan_config_selectorIxEEZZNS1_9scan_implILNS1_25lookback_scan_determinismE0ELb0ELb0ES3_N6thrust23THRUST_200600_302600_NS6detail15normal_iteratorINS9_10device_ptrIxEEEESE_xNS9_4plusIxEExEEDaPvRmT3_T4_T5_mT6_P12ihipStream_tbENKUlT_T0_E_clISt17integral_constantIbLb0EESU_EEDaSP_SQ_EUlSP_E0_NS1_11comp_targetILNS1_3genE3ELNS1_11target_archE908ELNS1_3gpuE7ELNS1_3repE0EEENS1_30default_config_static_selectorELNS0_4arch9wavefront6targetE1EEEvT1_, .Lfunc_end210-_ZN7rocprim17ROCPRIM_400000_NS6detail17trampoline_kernelINS0_14default_configENS1_20scan_config_selectorIxEEZZNS1_9scan_implILNS1_25lookback_scan_determinismE0ELb0ELb0ES3_N6thrust23THRUST_200600_302600_NS6detail15normal_iteratorINS9_10device_ptrIxEEEESE_xNS9_4plusIxEExEEDaPvRmT3_T4_T5_mT6_P12ihipStream_tbENKUlT_T0_E_clISt17integral_constantIbLb0EESU_EEDaSP_SQ_EUlSP_E0_NS1_11comp_targetILNS1_3genE3ELNS1_11target_archE908ELNS1_3gpuE7ELNS1_3repE0EEENS1_30default_config_static_selectorELNS0_4arch9wavefront6targetE1EEEvT1_
                                        ; -- End function
	.section	.AMDGPU.csdata,"",@progbits
; Kernel info:
; codeLenInByte = 0
; NumSgprs: 4
; NumVgprs: 0
; NumAgprs: 0
; TotalNumVgprs: 0
; ScratchSize: 0
; MemoryBound: 0
; FloatMode: 240
; IeeeMode: 1
; LDSByteSize: 0 bytes/workgroup (compile time only)
; SGPRBlocks: 0
; VGPRBlocks: 0
; NumSGPRsForWavesPerEU: 4
; NumVGPRsForWavesPerEU: 1
; AccumOffset: 4
; Occupancy: 8
; WaveLimiterHint : 0
; COMPUTE_PGM_RSRC2:SCRATCH_EN: 0
; COMPUTE_PGM_RSRC2:USER_SGPR: 6
; COMPUTE_PGM_RSRC2:TRAP_HANDLER: 0
; COMPUTE_PGM_RSRC2:TGID_X_EN: 1
; COMPUTE_PGM_RSRC2:TGID_Y_EN: 0
; COMPUTE_PGM_RSRC2:TGID_Z_EN: 0
; COMPUTE_PGM_RSRC2:TIDIG_COMP_CNT: 0
; COMPUTE_PGM_RSRC3_GFX90A:ACCUM_OFFSET: 0
; COMPUTE_PGM_RSRC3_GFX90A:TG_SPLIT: 0
	.section	.text._ZN7rocprim17ROCPRIM_400000_NS6detail17trampoline_kernelINS0_14default_configENS1_20scan_config_selectorIxEEZZNS1_9scan_implILNS1_25lookback_scan_determinismE0ELb0ELb0ES3_N6thrust23THRUST_200600_302600_NS6detail15normal_iteratorINS9_10device_ptrIxEEEESE_xNS9_4plusIxEExEEDaPvRmT3_T4_T5_mT6_P12ihipStream_tbENKUlT_T0_E_clISt17integral_constantIbLb0EESU_EEDaSP_SQ_EUlSP_E0_NS1_11comp_targetILNS1_3genE2ELNS1_11target_archE906ELNS1_3gpuE6ELNS1_3repE0EEENS1_30default_config_static_selectorELNS0_4arch9wavefront6targetE1EEEvT1_,"axG",@progbits,_ZN7rocprim17ROCPRIM_400000_NS6detail17trampoline_kernelINS0_14default_configENS1_20scan_config_selectorIxEEZZNS1_9scan_implILNS1_25lookback_scan_determinismE0ELb0ELb0ES3_N6thrust23THRUST_200600_302600_NS6detail15normal_iteratorINS9_10device_ptrIxEEEESE_xNS9_4plusIxEExEEDaPvRmT3_T4_T5_mT6_P12ihipStream_tbENKUlT_T0_E_clISt17integral_constantIbLb0EESU_EEDaSP_SQ_EUlSP_E0_NS1_11comp_targetILNS1_3genE2ELNS1_11target_archE906ELNS1_3gpuE6ELNS1_3repE0EEENS1_30default_config_static_selectorELNS0_4arch9wavefront6targetE1EEEvT1_,comdat
	.protected	_ZN7rocprim17ROCPRIM_400000_NS6detail17trampoline_kernelINS0_14default_configENS1_20scan_config_selectorIxEEZZNS1_9scan_implILNS1_25lookback_scan_determinismE0ELb0ELb0ES3_N6thrust23THRUST_200600_302600_NS6detail15normal_iteratorINS9_10device_ptrIxEEEESE_xNS9_4plusIxEExEEDaPvRmT3_T4_T5_mT6_P12ihipStream_tbENKUlT_T0_E_clISt17integral_constantIbLb0EESU_EEDaSP_SQ_EUlSP_E0_NS1_11comp_targetILNS1_3genE2ELNS1_11target_archE906ELNS1_3gpuE6ELNS1_3repE0EEENS1_30default_config_static_selectorELNS0_4arch9wavefront6targetE1EEEvT1_ ; -- Begin function _ZN7rocprim17ROCPRIM_400000_NS6detail17trampoline_kernelINS0_14default_configENS1_20scan_config_selectorIxEEZZNS1_9scan_implILNS1_25lookback_scan_determinismE0ELb0ELb0ES3_N6thrust23THRUST_200600_302600_NS6detail15normal_iteratorINS9_10device_ptrIxEEEESE_xNS9_4plusIxEExEEDaPvRmT3_T4_T5_mT6_P12ihipStream_tbENKUlT_T0_E_clISt17integral_constantIbLb0EESU_EEDaSP_SQ_EUlSP_E0_NS1_11comp_targetILNS1_3genE2ELNS1_11target_archE906ELNS1_3gpuE6ELNS1_3repE0EEENS1_30default_config_static_selectorELNS0_4arch9wavefront6targetE1EEEvT1_
	.globl	_ZN7rocprim17ROCPRIM_400000_NS6detail17trampoline_kernelINS0_14default_configENS1_20scan_config_selectorIxEEZZNS1_9scan_implILNS1_25lookback_scan_determinismE0ELb0ELb0ES3_N6thrust23THRUST_200600_302600_NS6detail15normal_iteratorINS9_10device_ptrIxEEEESE_xNS9_4plusIxEExEEDaPvRmT3_T4_T5_mT6_P12ihipStream_tbENKUlT_T0_E_clISt17integral_constantIbLb0EESU_EEDaSP_SQ_EUlSP_E0_NS1_11comp_targetILNS1_3genE2ELNS1_11target_archE906ELNS1_3gpuE6ELNS1_3repE0EEENS1_30default_config_static_selectorELNS0_4arch9wavefront6targetE1EEEvT1_
	.p2align	8
	.type	_ZN7rocprim17ROCPRIM_400000_NS6detail17trampoline_kernelINS0_14default_configENS1_20scan_config_selectorIxEEZZNS1_9scan_implILNS1_25lookback_scan_determinismE0ELb0ELb0ES3_N6thrust23THRUST_200600_302600_NS6detail15normal_iteratorINS9_10device_ptrIxEEEESE_xNS9_4plusIxEExEEDaPvRmT3_T4_T5_mT6_P12ihipStream_tbENKUlT_T0_E_clISt17integral_constantIbLb0EESU_EEDaSP_SQ_EUlSP_E0_NS1_11comp_targetILNS1_3genE2ELNS1_11target_archE906ELNS1_3gpuE6ELNS1_3repE0EEENS1_30default_config_static_selectorELNS0_4arch9wavefront6targetE1EEEvT1_,@function
_ZN7rocprim17ROCPRIM_400000_NS6detail17trampoline_kernelINS0_14default_configENS1_20scan_config_selectorIxEEZZNS1_9scan_implILNS1_25lookback_scan_determinismE0ELb0ELb0ES3_N6thrust23THRUST_200600_302600_NS6detail15normal_iteratorINS9_10device_ptrIxEEEESE_xNS9_4plusIxEExEEDaPvRmT3_T4_T5_mT6_P12ihipStream_tbENKUlT_T0_E_clISt17integral_constantIbLb0EESU_EEDaSP_SQ_EUlSP_E0_NS1_11comp_targetILNS1_3genE2ELNS1_11target_archE906ELNS1_3gpuE6ELNS1_3repE0EEENS1_30default_config_static_selectorELNS0_4arch9wavefront6targetE1EEEvT1_: ; @_ZN7rocprim17ROCPRIM_400000_NS6detail17trampoline_kernelINS0_14default_configENS1_20scan_config_selectorIxEEZZNS1_9scan_implILNS1_25lookback_scan_determinismE0ELb0ELb0ES3_N6thrust23THRUST_200600_302600_NS6detail15normal_iteratorINS9_10device_ptrIxEEEESE_xNS9_4plusIxEExEEDaPvRmT3_T4_T5_mT6_P12ihipStream_tbENKUlT_T0_E_clISt17integral_constantIbLb0EESU_EEDaSP_SQ_EUlSP_E0_NS1_11comp_targetILNS1_3genE2ELNS1_11target_archE906ELNS1_3gpuE6ELNS1_3repE0EEENS1_30default_config_static_selectorELNS0_4arch9wavefront6targetE1EEEvT1_
; %bb.0:
	.section	.rodata,"a",@progbits
	.p2align	6, 0x0
	.amdhsa_kernel _ZN7rocprim17ROCPRIM_400000_NS6detail17trampoline_kernelINS0_14default_configENS1_20scan_config_selectorIxEEZZNS1_9scan_implILNS1_25lookback_scan_determinismE0ELb0ELb0ES3_N6thrust23THRUST_200600_302600_NS6detail15normal_iteratorINS9_10device_ptrIxEEEESE_xNS9_4plusIxEExEEDaPvRmT3_T4_T5_mT6_P12ihipStream_tbENKUlT_T0_E_clISt17integral_constantIbLb0EESU_EEDaSP_SQ_EUlSP_E0_NS1_11comp_targetILNS1_3genE2ELNS1_11target_archE906ELNS1_3gpuE6ELNS1_3repE0EEENS1_30default_config_static_selectorELNS0_4arch9wavefront6targetE1EEEvT1_
		.amdhsa_group_segment_fixed_size 0
		.amdhsa_private_segment_fixed_size 0
		.amdhsa_kernarg_size 40
		.amdhsa_user_sgpr_count 6
		.amdhsa_user_sgpr_private_segment_buffer 1
		.amdhsa_user_sgpr_dispatch_ptr 0
		.amdhsa_user_sgpr_queue_ptr 0
		.amdhsa_user_sgpr_kernarg_segment_ptr 1
		.amdhsa_user_sgpr_dispatch_id 0
		.amdhsa_user_sgpr_flat_scratch_init 0
		.amdhsa_user_sgpr_kernarg_preload_length 0
		.amdhsa_user_sgpr_kernarg_preload_offset 0
		.amdhsa_user_sgpr_private_segment_size 0
		.amdhsa_uses_dynamic_stack 0
		.amdhsa_system_sgpr_private_segment_wavefront_offset 0
		.amdhsa_system_sgpr_workgroup_id_x 1
		.amdhsa_system_sgpr_workgroup_id_y 0
		.amdhsa_system_sgpr_workgroup_id_z 0
		.amdhsa_system_sgpr_workgroup_info 0
		.amdhsa_system_vgpr_workitem_id 0
		.amdhsa_next_free_vgpr 1
		.amdhsa_next_free_sgpr 0
		.amdhsa_accum_offset 4
		.amdhsa_reserve_vcc 0
		.amdhsa_reserve_flat_scratch 0
		.amdhsa_float_round_mode_32 0
		.amdhsa_float_round_mode_16_64 0
		.amdhsa_float_denorm_mode_32 3
		.amdhsa_float_denorm_mode_16_64 3
		.amdhsa_dx10_clamp 1
		.amdhsa_ieee_mode 1
		.amdhsa_fp16_overflow 0
		.amdhsa_tg_split 0
		.amdhsa_exception_fp_ieee_invalid_op 0
		.amdhsa_exception_fp_denorm_src 0
		.amdhsa_exception_fp_ieee_div_zero 0
		.amdhsa_exception_fp_ieee_overflow 0
		.amdhsa_exception_fp_ieee_underflow 0
		.amdhsa_exception_fp_ieee_inexact 0
		.amdhsa_exception_int_div_zero 0
	.end_amdhsa_kernel
	.section	.text._ZN7rocprim17ROCPRIM_400000_NS6detail17trampoline_kernelINS0_14default_configENS1_20scan_config_selectorIxEEZZNS1_9scan_implILNS1_25lookback_scan_determinismE0ELb0ELb0ES3_N6thrust23THRUST_200600_302600_NS6detail15normal_iteratorINS9_10device_ptrIxEEEESE_xNS9_4plusIxEExEEDaPvRmT3_T4_T5_mT6_P12ihipStream_tbENKUlT_T0_E_clISt17integral_constantIbLb0EESU_EEDaSP_SQ_EUlSP_E0_NS1_11comp_targetILNS1_3genE2ELNS1_11target_archE906ELNS1_3gpuE6ELNS1_3repE0EEENS1_30default_config_static_selectorELNS0_4arch9wavefront6targetE1EEEvT1_,"axG",@progbits,_ZN7rocprim17ROCPRIM_400000_NS6detail17trampoline_kernelINS0_14default_configENS1_20scan_config_selectorIxEEZZNS1_9scan_implILNS1_25lookback_scan_determinismE0ELb0ELb0ES3_N6thrust23THRUST_200600_302600_NS6detail15normal_iteratorINS9_10device_ptrIxEEEESE_xNS9_4plusIxEExEEDaPvRmT3_T4_T5_mT6_P12ihipStream_tbENKUlT_T0_E_clISt17integral_constantIbLb0EESU_EEDaSP_SQ_EUlSP_E0_NS1_11comp_targetILNS1_3genE2ELNS1_11target_archE906ELNS1_3gpuE6ELNS1_3repE0EEENS1_30default_config_static_selectorELNS0_4arch9wavefront6targetE1EEEvT1_,comdat
.Lfunc_end211:
	.size	_ZN7rocprim17ROCPRIM_400000_NS6detail17trampoline_kernelINS0_14default_configENS1_20scan_config_selectorIxEEZZNS1_9scan_implILNS1_25lookback_scan_determinismE0ELb0ELb0ES3_N6thrust23THRUST_200600_302600_NS6detail15normal_iteratorINS9_10device_ptrIxEEEESE_xNS9_4plusIxEExEEDaPvRmT3_T4_T5_mT6_P12ihipStream_tbENKUlT_T0_E_clISt17integral_constantIbLb0EESU_EEDaSP_SQ_EUlSP_E0_NS1_11comp_targetILNS1_3genE2ELNS1_11target_archE906ELNS1_3gpuE6ELNS1_3repE0EEENS1_30default_config_static_selectorELNS0_4arch9wavefront6targetE1EEEvT1_, .Lfunc_end211-_ZN7rocprim17ROCPRIM_400000_NS6detail17trampoline_kernelINS0_14default_configENS1_20scan_config_selectorIxEEZZNS1_9scan_implILNS1_25lookback_scan_determinismE0ELb0ELb0ES3_N6thrust23THRUST_200600_302600_NS6detail15normal_iteratorINS9_10device_ptrIxEEEESE_xNS9_4plusIxEExEEDaPvRmT3_T4_T5_mT6_P12ihipStream_tbENKUlT_T0_E_clISt17integral_constantIbLb0EESU_EEDaSP_SQ_EUlSP_E0_NS1_11comp_targetILNS1_3genE2ELNS1_11target_archE906ELNS1_3gpuE6ELNS1_3repE0EEENS1_30default_config_static_selectorELNS0_4arch9wavefront6targetE1EEEvT1_
                                        ; -- End function
	.section	.AMDGPU.csdata,"",@progbits
; Kernel info:
; codeLenInByte = 0
; NumSgprs: 4
; NumVgprs: 0
; NumAgprs: 0
; TotalNumVgprs: 0
; ScratchSize: 0
; MemoryBound: 0
; FloatMode: 240
; IeeeMode: 1
; LDSByteSize: 0 bytes/workgroup (compile time only)
; SGPRBlocks: 0
; VGPRBlocks: 0
; NumSGPRsForWavesPerEU: 4
; NumVGPRsForWavesPerEU: 1
; AccumOffset: 4
; Occupancy: 8
; WaveLimiterHint : 0
; COMPUTE_PGM_RSRC2:SCRATCH_EN: 0
; COMPUTE_PGM_RSRC2:USER_SGPR: 6
; COMPUTE_PGM_RSRC2:TRAP_HANDLER: 0
; COMPUTE_PGM_RSRC2:TGID_X_EN: 1
; COMPUTE_PGM_RSRC2:TGID_Y_EN: 0
; COMPUTE_PGM_RSRC2:TGID_Z_EN: 0
; COMPUTE_PGM_RSRC2:TIDIG_COMP_CNT: 0
; COMPUTE_PGM_RSRC3_GFX90A:ACCUM_OFFSET: 0
; COMPUTE_PGM_RSRC3_GFX90A:TG_SPLIT: 0
	.section	.text._ZN7rocprim17ROCPRIM_400000_NS6detail17trampoline_kernelINS0_14default_configENS1_20scan_config_selectorIxEEZZNS1_9scan_implILNS1_25lookback_scan_determinismE0ELb0ELb0ES3_N6thrust23THRUST_200600_302600_NS6detail15normal_iteratorINS9_10device_ptrIxEEEESE_xNS9_4plusIxEExEEDaPvRmT3_T4_T5_mT6_P12ihipStream_tbENKUlT_T0_E_clISt17integral_constantIbLb0EESU_EEDaSP_SQ_EUlSP_E0_NS1_11comp_targetILNS1_3genE10ELNS1_11target_archE1201ELNS1_3gpuE5ELNS1_3repE0EEENS1_30default_config_static_selectorELNS0_4arch9wavefront6targetE1EEEvT1_,"axG",@progbits,_ZN7rocprim17ROCPRIM_400000_NS6detail17trampoline_kernelINS0_14default_configENS1_20scan_config_selectorIxEEZZNS1_9scan_implILNS1_25lookback_scan_determinismE0ELb0ELb0ES3_N6thrust23THRUST_200600_302600_NS6detail15normal_iteratorINS9_10device_ptrIxEEEESE_xNS9_4plusIxEExEEDaPvRmT3_T4_T5_mT6_P12ihipStream_tbENKUlT_T0_E_clISt17integral_constantIbLb0EESU_EEDaSP_SQ_EUlSP_E0_NS1_11comp_targetILNS1_3genE10ELNS1_11target_archE1201ELNS1_3gpuE5ELNS1_3repE0EEENS1_30default_config_static_selectorELNS0_4arch9wavefront6targetE1EEEvT1_,comdat
	.protected	_ZN7rocprim17ROCPRIM_400000_NS6detail17trampoline_kernelINS0_14default_configENS1_20scan_config_selectorIxEEZZNS1_9scan_implILNS1_25lookback_scan_determinismE0ELb0ELb0ES3_N6thrust23THRUST_200600_302600_NS6detail15normal_iteratorINS9_10device_ptrIxEEEESE_xNS9_4plusIxEExEEDaPvRmT3_T4_T5_mT6_P12ihipStream_tbENKUlT_T0_E_clISt17integral_constantIbLb0EESU_EEDaSP_SQ_EUlSP_E0_NS1_11comp_targetILNS1_3genE10ELNS1_11target_archE1201ELNS1_3gpuE5ELNS1_3repE0EEENS1_30default_config_static_selectorELNS0_4arch9wavefront6targetE1EEEvT1_ ; -- Begin function _ZN7rocprim17ROCPRIM_400000_NS6detail17trampoline_kernelINS0_14default_configENS1_20scan_config_selectorIxEEZZNS1_9scan_implILNS1_25lookback_scan_determinismE0ELb0ELb0ES3_N6thrust23THRUST_200600_302600_NS6detail15normal_iteratorINS9_10device_ptrIxEEEESE_xNS9_4plusIxEExEEDaPvRmT3_T4_T5_mT6_P12ihipStream_tbENKUlT_T0_E_clISt17integral_constantIbLb0EESU_EEDaSP_SQ_EUlSP_E0_NS1_11comp_targetILNS1_3genE10ELNS1_11target_archE1201ELNS1_3gpuE5ELNS1_3repE0EEENS1_30default_config_static_selectorELNS0_4arch9wavefront6targetE1EEEvT1_
	.globl	_ZN7rocprim17ROCPRIM_400000_NS6detail17trampoline_kernelINS0_14default_configENS1_20scan_config_selectorIxEEZZNS1_9scan_implILNS1_25lookback_scan_determinismE0ELb0ELb0ES3_N6thrust23THRUST_200600_302600_NS6detail15normal_iteratorINS9_10device_ptrIxEEEESE_xNS9_4plusIxEExEEDaPvRmT3_T4_T5_mT6_P12ihipStream_tbENKUlT_T0_E_clISt17integral_constantIbLb0EESU_EEDaSP_SQ_EUlSP_E0_NS1_11comp_targetILNS1_3genE10ELNS1_11target_archE1201ELNS1_3gpuE5ELNS1_3repE0EEENS1_30default_config_static_selectorELNS0_4arch9wavefront6targetE1EEEvT1_
	.p2align	8
	.type	_ZN7rocprim17ROCPRIM_400000_NS6detail17trampoline_kernelINS0_14default_configENS1_20scan_config_selectorIxEEZZNS1_9scan_implILNS1_25lookback_scan_determinismE0ELb0ELb0ES3_N6thrust23THRUST_200600_302600_NS6detail15normal_iteratorINS9_10device_ptrIxEEEESE_xNS9_4plusIxEExEEDaPvRmT3_T4_T5_mT6_P12ihipStream_tbENKUlT_T0_E_clISt17integral_constantIbLb0EESU_EEDaSP_SQ_EUlSP_E0_NS1_11comp_targetILNS1_3genE10ELNS1_11target_archE1201ELNS1_3gpuE5ELNS1_3repE0EEENS1_30default_config_static_selectorELNS0_4arch9wavefront6targetE1EEEvT1_,@function
_ZN7rocprim17ROCPRIM_400000_NS6detail17trampoline_kernelINS0_14default_configENS1_20scan_config_selectorIxEEZZNS1_9scan_implILNS1_25lookback_scan_determinismE0ELb0ELb0ES3_N6thrust23THRUST_200600_302600_NS6detail15normal_iteratorINS9_10device_ptrIxEEEESE_xNS9_4plusIxEExEEDaPvRmT3_T4_T5_mT6_P12ihipStream_tbENKUlT_T0_E_clISt17integral_constantIbLb0EESU_EEDaSP_SQ_EUlSP_E0_NS1_11comp_targetILNS1_3genE10ELNS1_11target_archE1201ELNS1_3gpuE5ELNS1_3repE0EEENS1_30default_config_static_selectorELNS0_4arch9wavefront6targetE1EEEvT1_: ; @_ZN7rocprim17ROCPRIM_400000_NS6detail17trampoline_kernelINS0_14default_configENS1_20scan_config_selectorIxEEZZNS1_9scan_implILNS1_25lookback_scan_determinismE0ELb0ELb0ES3_N6thrust23THRUST_200600_302600_NS6detail15normal_iteratorINS9_10device_ptrIxEEEESE_xNS9_4plusIxEExEEDaPvRmT3_T4_T5_mT6_P12ihipStream_tbENKUlT_T0_E_clISt17integral_constantIbLb0EESU_EEDaSP_SQ_EUlSP_E0_NS1_11comp_targetILNS1_3genE10ELNS1_11target_archE1201ELNS1_3gpuE5ELNS1_3repE0EEENS1_30default_config_static_selectorELNS0_4arch9wavefront6targetE1EEEvT1_
; %bb.0:
	.section	.rodata,"a",@progbits
	.p2align	6, 0x0
	.amdhsa_kernel _ZN7rocprim17ROCPRIM_400000_NS6detail17trampoline_kernelINS0_14default_configENS1_20scan_config_selectorIxEEZZNS1_9scan_implILNS1_25lookback_scan_determinismE0ELb0ELb0ES3_N6thrust23THRUST_200600_302600_NS6detail15normal_iteratorINS9_10device_ptrIxEEEESE_xNS9_4plusIxEExEEDaPvRmT3_T4_T5_mT6_P12ihipStream_tbENKUlT_T0_E_clISt17integral_constantIbLb0EESU_EEDaSP_SQ_EUlSP_E0_NS1_11comp_targetILNS1_3genE10ELNS1_11target_archE1201ELNS1_3gpuE5ELNS1_3repE0EEENS1_30default_config_static_selectorELNS0_4arch9wavefront6targetE1EEEvT1_
		.amdhsa_group_segment_fixed_size 0
		.amdhsa_private_segment_fixed_size 0
		.amdhsa_kernarg_size 40
		.amdhsa_user_sgpr_count 6
		.amdhsa_user_sgpr_private_segment_buffer 1
		.amdhsa_user_sgpr_dispatch_ptr 0
		.amdhsa_user_sgpr_queue_ptr 0
		.amdhsa_user_sgpr_kernarg_segment_ptr 1
		.amdhsa_user_sgpr_dispatch_id 0
		.amdhsa_user_sgpr_flat_scratch_init 0
		.amdhsa_user_sgpr_kernarg_preload_length 0
		.amdhsa_user_sgpr_kernarg_preload_offset 0
		.amdhsa_user_sgpr_private_segment_size 0
		.amdhsa_uses_dynamic_stack 0
		.amdhsa_system_sgpr_private_segment_wavefront_offset 0
		.amdhsa_system_sgpr_workgroup_id_x 1
		.amdhsa_system_sgpr_workgroup_id_y 0
		.amdhsa_system_sgpr_workgroup_id_z 0
		.amdhsa_system_sgpr_workgroup_info 0
		.amdhsa_system_vgpr_workitem_id 0
		.amdhsa_next_free_vgpr 1
		.amdhsa_next_free_sgpr 0
		.amdhsa_accum_offset 4
		.amdhsa_reserve_vcc 0
		.amdhsa_reserve_flat_scratch 0
		.amdhsa_float_round_mode_32 0
		.amdhsa_float_round_mode_16_64 0
		.amdhsa_float_denorm_mode_32 3
		.amdhsa_float_denorm_mode_16_64 3
		.amdhsa_dx10_clamp 1
		.amdhsa_ieee_mode 1
		.amdhsa_fp16_overflow 0
		.amdhsa_tg_split 0
		.amdhsa_exception_fp_ieee_invalid_op 0
		.amdhsa_exception_fp_denorm_src 0
		.amdhsa_exception_fp_ieee_div_zero 0
		.amdhsa_exception_fp_ieee_overflow 0
		.amdhsa_exception_fp_ieee_underflow 0
		.amdhsa_exception_fp_ieee_inexact 0
		.amdhsa_exception_int_div_zero 0
	.end_amdhsa_kernel
	.section	.text._ZN7rocprim17ROCPRIM_400000_NS6detail17trampoline_kernelINS0_14default_configENS1_20scan_config_selectorIxEEZZNS1_9scan_implILNS1_25lookback_scan_determinismE0ELb0ELb0ES3_N6thrust23THRUST_200600_302600_NS6detail15normal_iteratorINS9_10device_ptrIxEEEESE_xNS9_4plusIxEExEEDaPvRmT3_T4_T5_mT6_P12ihipStream_tbENKUlT_T0_E_clISt17integral_constantIbLb0EESU_EEDaSP_SQ_EUlSP_E0_NS1_11comp_targetILNS1_3genE10ELNS1_11target_archE1201ELNS1_3gpuE5ELNS1_3repE0EEENS1_30default_config_static_selectorELNS0_4arch9wavefront6targetE1EEEvT1_,"axG",@progbits,_ZN7rocprim17ROCPRIM_400000_NS6detail17trampoline_kernelINS0_14default_configENS1_20scan_config_selectorIxEEZZNS1_9scan_implILNS1_25lookback_scan_determinismE0ELb0ELb0ES3_N6thrust23THRUST_200600_302600_NS6detail15normal_iteratorINS9_10device_ptrIxEEEESE_xNS9_4plusIxEExEEDaPvRmT3_T4_T5_mT6_P12ihipStream_tbENKUlT_T0_E_clISt17integral_constantIbLb0EESU_EEDaSP_SQ_EUlSP_E0_NS1_11comp_targetILNS1_3genE10ELNS1_11target_archE1201ELNS1_3gpuE5ELNS1_3repE0EEENS1_30default_config_static_selectorELNS0_4arch9wavefront6targetE1EEEvT1_,comdat
.Lfunc_end212:
	.size	_ZN7rocprim17ROCPRIM_400000_NS6detail17trampoline_kernelINS0_14default_configENS1_20scan_config_selectorIxEEZZNS1_9scan_implILNS1_25lookback_scan_determinismE0ELb0ELb0ES3_N6thrust23THRUST_200600_302600_NS6detail15normal_iteratorINS9_10device_ptrIxEEEESE_xNS9_4plusIxEExEEDaPvRmT3_T4_T5_mT6_P12ihipStream_tbENKUlT_T0_E_clISt17integral_constantIbLb0EESU_EEDaSP_SQ_EUlSP_E0_NS1_11comp_targetILNS1_3genE10ELNS1_11target_archE1201ELNS1_3gpuE5ELNS1_3repE0EEENS1_30default_config_static_selectorELNS0_4arch9wavefront6targetE1EEEvT1_, .Lfunc_end212-_ZN7rocprim17ROCPRIM_400000_NS6detail17trampoline_kernelINS0_14default_configENS1_20scan_config_selectorIxEEZZNS1_9scan_implILNS1_25lookback_scan_determinismE0ELb0ELb0ES3_N6thrust23THRUST_200600_302600_NS6detail15normal_iteratorINS9_10device_ptrIxEEEESE_xNS9_4plusIxEExEEDaPvRmT3_T4_T5_mT6_P12ihipStream_tbENKUlT_T0_E_clISt17integral_constantIbLb0EESU_EEDaSP_SQ_EUlSP_E0_NS1_11comp_targetILNS1_3genE10ELNS1_11target_archE1201ELNS1_3gpuE5ELNS1_3repE0EEENS1_30default_config_static_selectorELNS0_4arch9wavefront6targetE1EEEvT1_
                                        ; -- End function
	.section	.AMDGPU.csdata,"",@progbits
; Kernel info:
; codeLenInByte = 0
; NumSgprs: 4
; NumVgprs: 0
; NumAgprs: 0
; TotalNumVgprs: 0
; ScratchSize: 0
; MemoryBound: 0
; FloatMode: 240
; IeeeMode: 1
; LDSByteSize: 0 bytes/workgroup (compile time only)
; SGPRBlocks: 0
; VGPRBlocks: 0
; NumSGPRsForWavesPerEU: 4
; NumVGPRsForWavesPerEU: 1
; AccumOffset: 4
; Occupancy: 8
; WaveLimiterHint : 0
; COMPUTE_PGM_RSRC2:SCRATCH_EN: 0
; COMPUTE_PGM_RSRC2:USER_SGPR: 6
; COMPUTE_PGM_RSRC2:TRAP_HANDLER: 0
; COMPUTE_PGM_RSRC2:TGID_X_EN: 1
; COMPUTE_PGM_RSRC2:TGID_Y_EN: 0
; COMPUTE_PGM_RSRC2:TGID_Z_EN: 0
; COMPUTE_PGM_RSRC2:TIDIG_COMP_CNT: 0
; COMPUTE_PGM_RSRC3_GFX90A:ACCUM_OFFSET: 0
; COMPUTE_PGM_RSRC3_GFX90A:TG_SPLIT: 0
	.section	.text._ZN7rocprim17ROCPRIM_400000_NS6detail17trampoline_kernelINS0_14default_configENS1_20scan_config_selectorIxEEZZNS1_9scan_implILNS1_25lookback_scan_determinismE0ELb0ELb0ES3_N6thrust23THRUST_200600_302600_NS6detail15normal_iteratorINS9_10device_ptrIxEEEESE_xNS9_4plusIxEExEEDaPvRmT3_T4_T5_mT6_P12ihipStream_tbENKUlT_T0_E_clISt17integral_constantIbLb0EESU_EEDaSP_SQ_EUlSP_E0_NS1_11comp_targetILNS1_3genE10ELNS1_11target_archE1200ELNS1_3gpuE4ELNS1_3repE0EEENS1_30default_config_static_selectorELNS0_4arch9wavefront6targetE1EEEvT1_,"axG",@progbits,_ZN7rocprim17ROCPRIM_400000_NS6detail17trampoline_kernelINS0_14default_configENS1_20scan_config_selectorIxEEZZNS1_9scan_implILNS1_25lookback_scan_determinismE0ELb0ELb0ES3_N6thrust23THRUST_200600_302600_NS6detail15normal_iteratorINS9_10device_ptrIxEEEESE_xNS9_4plusIxEExEEDaPvRmT3_T4_T5_mT6_P12ihipStream_tbENKUlT_T0_E_clISt17integral_constantIbLb0EESU_EEDaSP_SQ_EUlSP_E0_NS1_11comp_targetILNS1_3genE10ELNS1_11target_archE1200ELNS1_3gpuE4ELNS1_3repE0EEENS1_30default_config_static_selectorELNS0_4arch9wavefront6targetE1EEEvT1_,comdat
	.protected	_ZN7rocprim17ROCPRIM_400000_NS6detail17trampoline_kernelINS0_14default_configENS1_20scan_config_selectorIxEEZZNS1_9scan_implILNS1_25lookback_scan_determinismE0ELb0ELb0ES3_N6thrust23THRUST_200600_302600_NS6detail15normal_iteratorINS9_10device_ptrIxEEEESE_xNS9_4plusIxEExEEDaPvRmT3_T4_T5_mT6_P12ihipStream_tbENKUlT_T0_E_clISt17integral_constantIbLb0EESU_EEDaSP_SQ_EUlSP_E0_NS1_11comp_targetILNS1_3genE10ELNS1_11target_archE1200ELNS1_3gpuE4ELNS1_3repE0EEENS1_30default_config_static_selectorELNS0_4arch9wavefront6targetE1EEEvT1_ ; -- Begin function _ZN7rocprim17ROCPRIM_400000_NS6detail17trampoline_kernelINS0_14default_configENS1_20scan_config_selectorIxEEZZNS1_9scan_implILNS1_25lookback_scan_determinismE0ELb0ELb0ES3_N6thrust23THRUST_200600_302600_NS6detail15normal_iteratorINS9_10device_ptrIxEEEESE_xNS9_4plusIxEExEEDaPvRmT3_T4_T5_mT6_P12ihipStream_tbENKUlT_T0_E_clISt17integral_constantIbLb0EESU_EEDaSP_SQ_EUlSP_E0_NS1_11comp_targetILNS1_3genE10ELNS1_11target_archE1200ELNS1_3gpuE4ELNS1_3repE0EEENS1_30default_config_static_selectorELNS0_4arch9wavefront6targetE1EEEvT1_
	.globl	_ZN7rocprim17ROCPRIM_400000_NS6detail17trampoline_kernelINS0_14default_configENS1_20scan_config_selectorIxEEZZNS1_9scan_implILNS1_25lookback_scan_determinismE0ELb0ELb0ES3_N6thrust23THRUST_200600_302600_NS6detail15normal_iteratorINS9_10device_ptrIxEEEESE_xNS9_4plusIxEExEEDaPvRmT3_T4_T5_mT6_P12ihipStream_tbENKUlT_T0_E_clISt17integral_constantIbLb0EESU_EEDaSP_SQ_EUlSP_E0_NS1_11comp_targetILNS1_3genE10ELNS1_11target_archE1200ELNS1_3gpuE4ELNS1_3repE0EEENS1_30default_config_static_selectorELNS0_4arch9wavefront6targetE1EEEvT1_
	.p2align	8
	.type	_ZN7rocprim17ROCPRIM_400000_NS6detail17trampoline_kernelINS0_14default_configENS1_20scan_config_selectorIxEEZZNS1_9scan_implILNS1_25lookback_scan_determinismE0ELb0ELb0ES3_N6thrust23THRUST_200600_302600_NS6detail15normal_iteratorINS9_10device_ptrIxEEEESE_xNS9_4plusIxEExEEDaPvRmT3_T4_T5_mT6_P12ihipStream_tbENKUlT_T0_E_clISt17integral_constantIbLb0EESU_EEDaSP_SQ_EUlSP_E0_NS1_11comp_targetILNS1_3genE10ELNS1_11target_archE1200ELNS1_3gpuE4ELNS1_3repE0EEENS1_30default_config_static_selectorELNS0_4arch9wavefront6targetE1EEEvT1_,@function
_ZN7rocprim17ROCPRIM_400000_NS6detail17trampoline_kernelINS0_14default_configENS1_20scan_config_selectorIxEEZZNS1_9scan_implILNS1_25lookback_scan_determinismE0ELb0ELb0ES3_N6thrust23THRUST_200600_302600_NS6detail15normal_iteratorINS9_10device_ptrIxEEEESE_xNS9_4plusIxEExEEDaPvRmT3_T4_T5_mT6_P12ihipStream_tbENKUlT_T0_E_clISt17integral_constantIbLb0EESU_EEDaSP_SQ_EUlSP_E0_NS1_11comp_targetILNS1_3genE10ELNS1_11target_archE1200ELNS1_3gpuE4ELNS1_3repE0EEENS1_30default_config_static_selectorELNS0_4arch9wavefront6targetE1EEEvT1_: ; @_ZN7rocprim17ROCPRIM_400000_NS6detail17trampoline_kernelINS0_14default_configENS1_20scan_config_selectorIxEEZZNS1_9scan_implILNS1_25lookback_scan_determinismE0ELb0ELb0ES3_N6thrust23THRUST_200600_302600_NS6detail15normal_iteratorINS9_10device_ptrIxEEEESE_xNS9_4plusIxEExEEDaPvRmT3_T4_T5_mT6_P12ihipStream_tbENKUlT_T0_E_clISt17integral_constantIbLb0EESU_EEDaSP_SQ_EUlSP_E0_NS1_11comp_targetILNS1_3genE10ELNS1_11target_archE1200ELNS1_3gpuE4ELNS1_3repE0EEENS1_30default_config_static_selectorELNS0_4arch9wavefront6targetE1EEEvT1_
; %bb.0:
	.section	.rodata,"a",@progbits
	.p2align	6, 0x0
	.amdhsa_kernel _ZN7rocprim17ROCPRIM_400000_NS6detail17trampoline_kernelINS0_14default_configENS1_20scan_config_selectorIxEEZZNS1_9scan_implILNS1_25lookback_scan_determinismE0ELb0ELb0ES3_N6thrust23THRUST_200600_302600_NS6detail15normal_iteratorINS9_10device_ptrIxEEEESE_xNS9_4plusIxEExEEDaPvRmT3_T4_T5_mT6_P12ihipStream_tbENKUlT_T0_E_clISt17integral_constantIbLb0EESU_EEDaSP_SQ_EUlSP_E0_NS1_11comp_targetILNS1_3genE10ELNS1_11target_archE1200ELNS1_3gpuE4ELNS1_3repE0EEENS1_30default_config_static_selectorELNS0_4arch9wavefront6targetE1EEEvT1_
		.amdhsa_group_segment_fixed_size 0
		.amdhsa_private_segment_fixed_size 0
		.amdhsa_kernarg_size 40
		.amdhsa_user_sgpr_count 6
		.amdhsa_user_sgpr_private_segment_buffer 1
		.amdhsa_user_sgpr_dispatch_ptr 0
		.amdhsa_user_sgpr_queue_ptr 0
		.amdhsa_user_sgpr_kernarg_segment_ptr 1
		.amdhsa_user_sgpr_dispatch_id 0
		.amdhsa_user_sgpr_flat_scratch_init 0
		.amdhsa_user_sgpr_kernarg_preload_length 0
		.amdhsa_user_sgpr_kernarg_preload_offset 0
		.amdhsa_user_sgpr_private_segment_size 0
		.amdhsa_uses_dynamic_stack 0
		.amdhsa_system_sgpr_private_segment_wavefront_offset 0
		.amdhsa_system_sgpr_workgroup_id_x 1
		.amdhsa_system_sgpr_workgroup_id_y 0
		.amdhsa_system_sgpr_workgroup_id_z 0
		.amdhsa_system_sgpr_workgroup_info 0
		.amdhsa_system_vgpr_workitem_id 0
		.amdhsa_next_free_vgpr 1
		.amdhsa_next_free_sgpr 0
		.amdhsa_accum_offset 4
		.amdhsa_reserve_vcc 0
		.amdhsa_reserve_flat_scratch 0
		.amdhsa_float_round_mode_32 0
		.amdhsa_float_round_mode_16_64 0
		.amdhsa_float_denorm_mode_32 3
		.amdhsa_float_denorm_mode_16_64 3
		.amdhsa_dx10_clamp 1
		.amdhsa_ieee_mode 1
		.amdhsa_fp16_overflow 0
		.amdhsa_tg_split 0
		.amdhsa_exception_fp_ieee_invalid_op 0
		.amdhsa_exception_fp_denorm_src 0
		.amdhsa_exception_fp_ieee_div_zero 0
		.amdhsa_exception_fp_ieee_overflow 0
		.amdhsa_exception_fp_ieee_underflow 0
		.amdhsa_exception_fp_ieee_inexact 0
		.amdhsa_exception_int_div_zero 0
	.end_amdhsa_kernel
	.section	.text._ZN7rocprim17ROCPRIM_400000_NS6detail17trampoline_kernelINS0_14default_configENS1_20scan_config_selectorIxEEZZNS1_9scan_implILNS1_25lookback_scan_determinismE0ELb0ELb0ES3_N6thrust23THRUST_200600_302600_NS6detail15normal_iteratorINS9_10device_ptrIxEEEESE_xNS9_4plusIxEExEEDaPvRmT3_T4_T5_mT6_P12ihipStream_tbENKUlT_T0_E_clISt17integral_constantIbLb0EESU_EEDaSP_SQ_EUlSP_E0_NS1_11comp_targetILNS1_3genE10ELNS1_11target_archE1200ELNS1_3gpuE4ELNS1_3repE0EEENS1_30default_config_static_selectorELNS0_4arch9wavefront6targetE1EEEvT1_,"axG",@progbits,_ZN7rocprim17ROCPRIM_400000_NS6detail17trampoline_kernelINS0_14default_configENS1_20scan_config_selectorIxEEZZNS1_9scan_implILNS1_25lookback_scan_determinismE0ELb0ELb0ES3_N6thrust23THRUST_200600_302600_NS6detail15normal_iteratorINS9_10device_ptrIxEEEESE_xNS9_4plusIxEExEEDaPvRmT3_T4_T5_mT6_P12ihipStream_tbENKUlT_T0_E_clISt17integral_constantIbLb0EESU_EEDaSP_SQ_EUlSP_E0_NS1_11comp_targetILNS1_3genE10ELNS1_11target_archE1200ELNS1_3gpuE4ELNS1_3repE0EEENS1_30default_config_static_selectorELNS0_4arch9wavefront6targetE1EEEvT1_,comdat
.Lfunc_end213:
	.size	_ZN7rocprim17ROCPRIM_400000_NS6detail17trampoline_kernelINS0_14default_configENS1_20scan_config_selectorIxEEZZNS1_9scan_implILNS1_25lookback_scan_determinismE0ELb0ELb0ES3_N6thrust23THRUST_200600_302600_NS6detail15normal_iteratorINS9_10device_ptrIxEEEESE_xNS9_4plusIxEExEEDaPvRmT3_T4_T5_mT6_P12ihipStream_tbENKUlT_T0_E_clISt17integral_constantIbLb0EESU_EEDaSP_SQ_EUlSP_E0_NS1_11comp_targetILNS1_3genE10ELNS1_11target_archE1200ELNS1_3gpuE4ELNS1_3repE0EEENS1_30default_config_static_selectorELNS0_4arch9wavefront6targetE1EEEvT1_, .Lfunc_end213-_ZN7rocprim17ROCPRIM_400000_NS6detail17trampoline_kernelINS0_14default_configENS1_20scan_config_selectorIxEEZZNS1_9scan_implILNS1_25lookback_scan_determinismE0ELb0ELb0ES3_N6thrust23THRUST_200600_302600_NS6detail15normal_iteratorINS9_10device_ptrIxEEEESE_xNS9_4plusIxEExEEDaPvRmT3_T4_T5_mT6_P12ihipStream_tbENKUlT_T0_E_clISt17integral_constantIbLb0EESU_EEDaSP_SQ_EUlSP_E0_NS1_11comp_targetILNS1_3genE10ELNS1_11target_archE1200ELNS1_3gpuE4ELNS1_3repE0EEENS1_30default_config_static_selectorELNS0_4arch9wavefront6targetE1EEEvT1_
                                        ; -- End function
	.section	.AMDGPU.csdata,"",@progbits
; Kernel info:
; codeLenInByte = 0
; NumSgprs: 4
; NumVgprs: 0
; NumAgprs: 0
; TotalNumVgprs: 0
; ScratchSize: 0
; MemoryBound: 0
; FloatMode: 240
; IeeeMode: 1
; LDSByteSize: 0 bytes/workgroup (compile time only)
; SGPRBlocks: 0
; VGPRBlocks: 0
; NumSGPRsForWavesPerEU: 4
; NumVGPRsForWavesPerEU: 1
; AccumOffset: 4
; Occupancy: 8
; WaveLimiterHint : 0
; COMPUTE_PGM_RSRC2:SCRATCH_EN: 0
; COMPUTE_PGM_RSRC2:USER_SGPR: 6
; COMPUTE_PGM_RSRC2:TRAP_HANDLER: 0
; COMPUTE_PGM_RSRC2:TGID_X_EN: 1
; COMPUTE_PGM_RSRC2:TGID_Y_EN: 0
; COMPUTE_PGM_RSRC2:TGID_Z_EN: 0
; COMPUTE_PGM_RSRC2:TIDIG_COMP_CNT: 0
; COMPUTE_PGM_RSRC3_GFX90A:ACCUM_OFFSET: 0
; COMPUTE_PGM_RSRC3_GFX90A:TG_SPLIT: 0
	.section	.text._ZN7rocprim17ROCPRIM_400000_NS6detail17trampoline_kernelINS0_14default_configENS1_20scan_config_selectorIxEEZZNS1_9scan_implILNS1_25lookback_scan_determinismE0ELb0ELb0ES3_N6thrust23THRUST_200600_302600_NS6detail15normal_iteratorINS9_10device_ptrIxEEEESE_xNS9_4plusIxEExEEDaPvRmT3_T4_T5_mT6_P12ihipStream_tbENKUlT_T0_E_clISt17integral_constantIbLb0EESU_EEDaSP_SQ_EUlSP_E0_NS1_11comp_targetILNS1_3genE9ELNS1_11target_archE1100ELNS1_3gpuE3ELNS1_3repE0EEENS1_30default_config_static_selectorELNS0_4arch9wavefront6targetE1EEEvT1_,"axG",@progbits,_ZN7rocprim17ROCPRIM_400000_NS6detail17trampoline_kernelINS0_14default_configENS1_20scan_config_selectorIxEEZZNS1_9scan_implILNS1_25lookback_scan_determinismE0ELb0ELb0ES3_N6thrust23THRUST_200600_302600_NS6detail15normal_iteratorINS9_10device_ptrIxEEEESE_xNS9_4plusIxEExEEDaPvRmT3_T4_T5_mT6_P12ihipStream_tbENKUlT_T0_E_clISt17integral_constantIbLb0EESU_EEDaSP_SQ_EUlSP_E0_NS1_11comp_targetILNS1_3genE9ELNS1_11target_archE1100ELNS1_3gpuE3ELNS1_3repE0EEENS1_30default_config_static_selectorELNS0_4arch9wavefront6targetE1EEEvT1_,comdat
	.protected	_ZN7rocprim17ROCPRIM_400000_NS6detail17trampoline_kernelINS0_14default_configENS1_20scan_config_selectorIxEEZZNS1_9scan_implILNS1_25lookback_scan_determinismE0ELb0ELb0ES3_N6thrust23THRUST_200600_302600_NS6detail15normal_iteratorINS9_10device_ptrIxEEEESE_xNS9_4plusIxEExEEDaPvRmT3_T4_T5_mT6_P12ihipStream_tbENKUlT_T0_E_clISt17integral_constantIbLb0EESU_EEDaSP_SQ_EUlSP_E0_NS1_11comp_targetILNS1_3genE9ELNS1_11target_archE1100ELNS1_3gpuE3ELNS1_3repE0EEENS1_30default_config_static_selectorELNS0_4arch9wavefront6targetE1EEEvT1_ ; -- Begin function _ZN7rocprim17ROCPRIM_400000_NS6detail17trampoline_kernelINS0_14default_configENS1_20scan_config_selectorIxEEZZNS1_9scan_implILNS1_25lookback_scan_determinismE0ELb0ELb0ES3_N6thrust23THRUST_200600_302600_NS6detail15normal_iteratorINS9_10device_ptrIxEEEESE_xNS9_4plusIxEExEEDaPvRmT3_T4_T5_mT6_P12ihipStream_tbENKUlT_T0_E_clISt17integral_constantIbLb0EESU_EEDaSP_SQ_EUlSP_E0_NS1_11comp_targetILNS1_3genE9ELNS1_11target_archE1100ELNS1_3gpuE3ELNS1_3repE0EEENS1_30default_config_static_selectorELNS0_4arch9wavefront6targetE1EEEvT1_
	.globl	_ZN7rocprim17ROCPRIM_400000_NS6detail17trampoline_kernelINS0_14default_configENS1_20scan_config_selectorIxEEZZNS1_9scan_implILNS1_25lookback_scan_determinismE0ELb0ELb0ES3_N6thrust23THRUST_200600_302600_NS6detail15normal_iteratorINS9_10device_ptrIxEEEESE_xNS9_4plusIxEExEEDaPvRmT3_T4_T5_mT6_P12ihipStream_tbENKUlT_T0_E_clISt17integral_constantIbLb0EESU_EEDaSP_SQ_EUlSP_E0_NS1_11comp_targetILNS1_3genE9ELNS1_11target_archE1100ELNS1_3gpuE3ELNS1_3repE0EEENS1_30default_config_static_selectorELNS0_4arch9wavefront6targetE1EEEvT1_
	.p2align	8
	.type	_ZN7rocprim17ROCPRIM_400000_NS6detail17trampoline_kernelINS0_14default_configENS1_20scan_config_selectorIxEEZZNS1_9scan_implILNS1_25lookback_scan_determinismE0ELb0ELb0ES3_N6thrust23THRUST_200600_302600_NS6detail15normal_iteratorINS9_10device_ptrIxEEEESE_xNS9_4plusIxEExEEDaPvRmT3_T4_T5_mT6_P12ihipStream_tbENKUlT_T0_E_clISt17integral_constantIbLb0EESU_EEDaSP_SQ_EUlSP_E0_NS1_11comp_targetILNS1_3genE9ELNS1_11target_archE1100ELNS1_3gpuE3ELNS1_3repE0EEENS1_30default_config_static_selectorELNS0_4arch9wavefront6targetE1EEEvT1_,@function
_ZN7rocprim17ROCPRIM_400000_NS6detail17trampoline_kernelINS0_14default_configENS1_20scan_config_selectorIxEEZZNS1_9scan_implILNS1_25lookback_scan_determinismE0ELb0ELb0ES3_N6thrust23THRUST_200600_302600_NS6detail15normal_iteratorINS9_10device_ptrIxEEEESE_xNS9_4plusIxEExEEDaPvRmT3_T4_T5_mT6_P12ihipStream_tbENKUlT_T0_E_clISt17integral_constantIbLb0EESU_EEDaSP_SQ_EUlSP_E0_NS1_11comp_targetILNS1_3genE9ELNS1_11target_archE1100ELNS1_3gpuE3ELNS1_3repE0EEENS1_30default_config_static_selectorELNS0_4arch9wavefront6targetE1EEEvT1_: ; @_ZN7rocprim17ROCPRIM_400000_NS6detail17trampoline_kernelINS0_14default_configENS1_20scan_config_selectorIxEEZZNS1_9scan_implILNS1_25lookback_scan_determinismE0ELb0ELb0ES3_N6thrust23THRUST_200600_302600_NS6detail15normal_iteratorINS9_10device_ptrIxEEEESE_xNS9_4plusIxEExEEDaPvRmT3_T4_T5_mT6_P12ihipStream_tbENKUlT_T0_E_clISt17integral_constantIbLb0EESU_EEDaSP_SQ_EUlSP_E0_NS1_11comp_targetILNS1_3genE9ELNS1_11target_archE1100ELNS1_3gpuE3ELNS1_3repE0EEENS1_30default_config_static_selectorELNS0_4arch9wavefront6targetE1EEEvT1_
; %bb.0:
	.section	.rodata,"a",@progbits
	.p2align	6, 0x0
	.amdhsa_kernel _ZN7rocprim17ROCPRIM_400000_NS6detail17trampoline_kernelINS0_14default_configENS1_20scan_config_selectorIxEEZZNS1_9scan_implILNS1_25lookback_scan_determinismE0ELb0ELb0ES3_N6thrust23THRUST_200600_302600_NS6detail15normal_iteratorINS9_10device_ptrIxEEEESE_xNS9_4plusIxEExEEDaPvRmT3_T4_T5_mT6_P12ihipStream_tbENKUlT_T0_E_clISt17integral_constantIbLb0EESU_EEDaSP_SQ_EUlSP_E0_NS1_11comp_targetILNS1_3genE9ELNS1_11target_archE1100ELNS1_3gpuE3ELNS1_3repE0EEENS1_30default_config_static_selectorELNS0_4arch9wavefront6targetE1EEEvT1_
		.amdhsa_group_segment_fixed_size 0
		.amdhsa_private_segment_fixed_size 0
		.amdhsa_kernarg_size 40
		.amdhsa_user_sgpr_count 6
		.amdhsa_user_sgpr_private_segment_buffer 1
		.amdhsa_user_sgpr_dispatch_ptr 0
		.amdhsa_user_sgpr_queue_ptr 0
		.amdhsa_user_sgpr_kernarg_segment_ptr 1
		.amdhsa_user_sgpr_dispatch_id 0
		.amdhsa_user_sgpr_flat_scratch_init 0
		.amdhsa_user_sgpr_kernarg_preload_length 0
		.amdhsa_user_sgpr_kernarg_preload_offset 0
		.amdhsa_user_sgpr_private_segment_size 0
		.amdhsa_uses_dynamic_stack 0
		.amdhsa_system_sgpr_private_segment_wavefront_offset 0
		.amdhsa_system_sgpr_workgroup_id_x 1
		.amdhsa_system_sgpr_workgroup_id_y 0
		.amdhsa_system_sgpr_workgroup_id_z 0
		.amdhsa_system_sgpr_workgroup_info 0
		.amdhsa_system_vgpr_workitem_id 0
		.amdhsa_next_free_vgpr 1
		.amdhsa_next_free_sgpr 0
		.amdhsa_accum_offset 4
		.amdhsa_reserve_vcc 0
		.amdhsa_reserve_flat_scratch 0
		.amdhsa_float_round_mode_32 0
		.amdhsa_float_round_mode_16_64 0
		.amdhsa_float_denorm_mode_32 3
		.amdhsa_float_denorm_mode_16_64 3
		.amdhsa_dx10_clamp 1
		.amdhsa_ieee_mode 1
		.amdhsa_fp16_overflow 0
		.amdhsa_tg_split 0
		.amdhsa_exception_fp_ieee_invalid_op 0
		.amdhsa_exception_fp_denorm_src 0
		.amdhsa_exception_fp_ieee_div_zero 0
		.amdhsa_exception_fp_ieee_overflow 0
		.amdhsa_exception_fp_ieee_underflow 0
		.amdhsa_exception_fp_ieee_inexact 0
		.amdhsa_exception_int_div_zero 0
	.end_amdhsa_kernel
	.section	.text._ZN7rocprim17ROCPRIM_400000_NS6detail17trampoline_kernelINS0_14default_configENS1_20scan_config_selectorIxEEZZNS1_9scan_implILNS1_25lookback_scan_determinismE0ELb0ELb0ES3_N6thrust23THRUST_200600_302600_NS6detail15normal_iteratorINS9_10device_ptrIxEEEESE_xNS9_4plusIxEExEEDaPvRmT3_T4_T5_mT6_P12ihipStream_tbENKUlT_T0_E_clISt17integral_constantIbLb0EESU_EEDaSP_SQ_EUlSP_E0_NS1_11comp_targetILNS1_3genE9ELNS1_11target_archE1100ELNS1_3gpuE3ELNS1_3repE0EEENS1_30default_config_static_selectorELNS0_4arch9wavefront6targetE1EEEvT1_,"axG",@progbits,_ZN7rocprim17ROCPRIM_400000_NS6detail17trampoline_kernelINS0_14default_configENS1_20scan_config_selectorIxEEZZNS1_9scan_implILNS1_25lookback_scan_determinismE0ELb0ELb0ES3_N6thrust23THRUST_200600_302600_NS6detail15normal_iteratorINS9_10device_ptrIxEEEESE_xNS9_4plusIxEExEEDaPvRmT3_T4_T5_mT6_P12ihipStream_tbENKUlT_T0_E_clISt17integral_constantIbLb0EESU_EEDaSP_SQ_EUlSP_E0_NS1_11comp_targetILNS1_3genE9ELNS1_11target_archE1100ELNS1_3gpuE3ELNS1_3repE0EEENS1_30default_config_static_selectorELNS0_4arch9wavefront6targetE1EEEvT1_,comdat
.Lfunc_end214:
	.size	_ZN7rocprim17ROCPRIM_400000_NS6detail17trampoline_kernelINS0_14default_configENS1_20scan_config_selectorIxEEZZNS1_9scan_implILNS1_25lookback_scan_determinismE0ELb0ELb0ES3_N6thrust23THRUST_200600_302600_NS6detail15normal_iteratorINS9_10device_ptrIxEEEESE_xNS9_4plusIxEExEEDaPvRmT3_T4_T5_mT6_P12ihipStream_tbENKUlT_T0_E_clISt17integral_constantIbLb0EESU_EEDaSP_SQ_EUlSP_E0_NS1_11comp_targetILNS1_3genE9ELNS1_11target_archE1100ELNS1_3gpuE3ELNS1_3repE0EEENS1_30default_config_static_selectorELNS0_4arch9wavefront6targetE1EEEvT1_, .Lfunc_end214-_ZN7rocprim17ROCPRIM_400000_NS6detail17trampoline_kernelINS0_14default_configENS1_20scan_config_selectorIxEEZZNS1_9scan_implILNS1_25lookback_scan_determinismE0ELb0ELb0ES3_N6thrust23THRUST_200600_302600_NS6detail15normal_iteratorINS9_10device_ptrIxEEEESE_xNS9_4plusIxEExEEDaPvRmT3_T4_T5_mT6_P12ihipStream_tbENKUlT_T0_E_clISt17integral_constantIbLb0EESU_EEDaSP_SQ_EUlSP_E0_NS1_11comp_targetILNS1_3genE9ELNS1_11target_archE1100ELNS1_3gpuE3ELNS1_3repE0EEENS1_30default_config_static_selectorELNS0_4arch9wavefront6targetE1EEEvT1_
                                        ; -- End function
	.section	.AMDGPU.csdata,"",@progbits
; Kernel info:
; codeLenInByte = 0
; NumSgprs: 4
; NumVgprs: 0
; NumAgprs: 0
; TotalNumVgprs: 0
; ScratchSize: 0
; MemoryBound: 0
; FloatMode: 240
; IeeeMode: 1
; LDSByteSize: 0 bytes/workgroup (compile time only)
; SGPRBlocks: 0
; VGPRBlocks: 0
; NumSGPRsForWavesPerEU: 4
; NumVGPRsForWavesPerEU: 1
; AccumOffset: 4
; Occupancy: 8
; WaveLimiterHint : 0
; COMPUTE_PGM_RSRC2:SCRATCH_EN: 0
; COMPUTE_PGM_RSRC2:USER_SGPR: 6
; COMPUTE_PGM_RSRC2:TRAP_HANDLER: 0
; COMPUTE_PGM_RSRC2:TGID_X_EN: 1
; COMPUTE_PGM_RSRC2:TGID_Y_EN: 0
; COMPUTE_PGM_RSRC2:TGID_Z_EN: 0
; COMPUTE_PGM_RSRC2:TIDIG_COMP_CNT: 0
; COMPUTE_PGM_RSRC3_GFX90A:ACCUM_OFFSET: 0
; COMPUTE_PGM_RSRC3_GFX90A:TG_SPLIT: 0
	.section	.text._ZN7rocprim17ROCPRIM_400000_NS6detail17trampoline_kernelINS0_14default_configENS1_20scan_config_selectorIxEEZZNS1_9scan_implILNS1_25lookback_scan_determinismE0ELb0ELb0ES3_N6thrust23THRUST_200600_302600_NS6detail15normal_iteratorINS9_10device_ptrIxEEEESE_xNS9_4plusIxEExEEDaPvRmT3_T4_T5_mT6_P12ihipStream_tbENKUlT_T0_E_clISt17integral_constantIbLb0EESU_EEDaSP_SQ_EUlSP_E0_NS1_11comp_targetILNS1_3genE8ELNS1_11target_archE1030ELNS1_3gpuE2ELNS1_3repE0EEENS1_30default_config_static_selectorELNS0_4arch9wavefront6targetE1EEEvT1_,"axG",@progbits,_ZN7rocprim17ROCPRIM_400000_NS6detail17trampoline_kernelINS0_14default_configENS1_20scan_config_selectorIxEEZZNS1_9scan_implILNS1_25lookback_scan_determinismE0ELb0ELb0ES3_N6thrust23THRUST_200600_302600_NS6detail15normal_iteratorINS9_10device_ptrIxEEEESE_xNS9_4plusIxEExEEDaPvRmT3_T4_T5_mT6_P12ihipStream_tbENKUlT_T0_E_clISt17integral_constantIbLb0EESU_EEDaSP_SQ_EUlSP_E0_NS1_11comp_targetILNS1_3genE8ELNS1_11target_archE1030ELNS1_3gpuE2ELNS1_3repE0EEENS1_30default_config_static_selectorELNS0_4arch9wavefront6targetE1EEEvT1_,comdat
	.protected	_ZN7rocprim17ROCPRIM_400000_NS6detail17trampoline_kernelINS0_14default_configENS1_20scan_config_selectorIxEEZZNS1_9scan_implILNS1_25lookback_scan_determinismE0ELb0ELb0ES3_N6thrust23THRUST_200600_302600_NS6detail15normal_iteratorINS9_10device_ptrIxEEEESE_xNS9_4plusIxEExEEDaPvRmT3_T4_T5_mT6_P12ihipStream_tbENKUlT_T0_E_clISt17integral_constantIbLb0EESU_EEDaSP_SQ_EUlSP_E0_NS1_11comp_targetILNS1_3genE8ELNS1_11target_archE1030ELNS1_3gpuE2ELNS1_3repE0EEENS1_30default_config_static_selectorELNS0_4arch9wavefront6targetE1EEEvT1_ ; -- Begin function _ZN7rocprim17ROCPRIM_400000_NS6detail17trampoline_kernelINS0_14default_configENS1_20scan_config_selectorIxEEZZNS1_9scan_implILNS1_25lookback_scan_determinismE0ELb0ELb0ES3_N6thrust23THRUST_200600_302600_NS6detail15normal_iteratorINS9_10device_ptrIxEEEESE_xNS9_4plusIxEExEEDaPvRmT3_T4_T5_mT6_P12ihipStream_tbENKUlT_T0_E_clISt17integral_constantIbLb0EESU_EEDaSP_SQ_EUlSP_E0_NS1_11comp_targetILNS1_3genE8ELNS1_11target_archE1030ELNS1_3gpuE2ELNS1_3repE0EEENS1_30default_config_static_selectorELNS0_4arch9wavefront6targetE1EEEvT1_
	.globl	_ZN7rocprim17ROCPRIM_400000_NS6detail17trampoline_kernelINS0_14default_configENS1_20scan_config_selectorIxEEZZNS1_9scan_implILNS1_25lookback_scan_determinismE0ELb0ELb0ES3_N6thrust23THRUST_200600_302600_NS6detail15normal_iteratorINS9_10device_ptrIxEEEESE_xNS9_4plusIxEExEEDaPvRmT3_T4_T5_mT6_P12ihipStream_tbENKUlT_T0_E_clISt17integral_constantIbLb0EESU_EEDaSP_SQ_EUlSP_E0_NS1_11comp_targetILNS1_3genE8ELNS1_11target_archE1030ELNS1_3gpuE2ELNS1_3repE0EEENS1_30default_config_static_selectorELNS0_4arch9wavefront6targetE1EEEvT1_
	.p2align	8
	.type	_ZN7rocprim17ROCPRIM_400000_NS6detail17trampoline_kernelINS0_14default_configENS1_20scan_config_selectorIxEEZZNS1_9scan_implILNS1_25lookback_scan_determinismE0ELb0ELb0ES3_N6thrust23THRUST_200600_302600_NS6detail15normal_iteratorINS9_10device_ptrIxEEEESE_xNS9_4plusIxEExEEDaPvRmT3_T4_T5_mT6_P12ihipStream_tbENKUlT_T0_E_clISt17integral_constantIbLb0EESU_EEDaSP_SQ_EUlSP_E0_NS1_11comp_targetILNS1_3genE8ELNS1_11target_archE1030ELNS1_3gpuE2ELNS1_3repE0EEENS1_30default_config_static_selectorELNS0_4arch9wavefront6targetE1EEEvT1_,@function
_ZN7rocprim17ROCPRIM_400000_NS6detail17trampoline_kernelINS0_14default_configENS1_20scan_config_selectorIxEEZZNS1_9scan_implILNS1_25lookback_scan_determinismE0ELb0ELb0ES3_N6thrust23THRUST_200600_302600_NS6detail15normal_iteratorINS9_10device_ptrIxEEEESE_xNS9_4plusIxEExEEDaPvRmT3_T4_T5_mT6_P12ihipStream_tbENKUlT_T0_E_clISt17integral_constantIbLb0EESU_EEDaSP_SQ_EUlSP_E0_NS1_11comp_targetILNS1_3genE8ELNS1_11target_archE1030ELNS1_3gpuE2ELNS1_3repE0EEENS1_30default_config_static_selectorELNS0_4arch9wavefront6targetE1EEEvT1_: ; @_ZN7rocprim17ROCPRIM_400000_NS6detail17trampoline_kernelINS0_14default_configENS1_20scan_config_selectorIxEEZZNS1_9scan_implILNS1_25lookback_scan_determinismE0ELb0ELb0ES3_N6thrust23THRUST_200600_302600_NS6detail15normal_iteratorINS9_10device_ptrIxEEEESE_xNS9_4plusIxEExEEDaPvRmT3_T4_T5_mT6_P12ihipStream_tbENKUlT_T0_E_clISt17integral_constantIbLb0EESU_EEDaSP_SQ_EUlSP_E0_NS1_11comp_targetILNS1_3genE8ELNS1_11target_archE1030ELNS1_3gpuE2ELNS1_3repE0EEENS1_30default_config_static_selectorELNS0_4arch9wavefront6targetE1EEEvT1_
; %bb.0:
	.section	.rodata,"a",@progbits
	.p2align	6, 0x0
	.amdhsa_kernel _ZN7rocprim17ROCPRIM_400000_NS6detail17trampoline_kernelINS0_14default_configENS1_20scan_config_selectorIxEEZZNS1_9scan_implILNS1_25lookback_scan_determinismE0ELb0ELb0ES3_N6thrust23THRUST_200600_302600_NS6detail15normal_iteratorINS9_10device_ptrIxEEEESE_xNS9_4plusIxEExEEDaPvRmT3_T4_T5_mT6_P12ihipStream_tbENKUlT_T0_E_clISt17integral_constantIbLb0EESU_EEDaSP_SQ_EUlSP_E0_NS1_11comp_targetILNS1_3genE8ELNS1_11target_archE1030ELNS1_3gpuE2ELNS1_3repE0EEENS1_30default_config_static_selectorELNS0_4arch9wavefront6targetE1EEEvT1_
		.amdhsa_group_segment_fixed_size 0
		.amdhsa_private_segment_fixed_size 0
		.amdhsa_kernarg_size 40
		.amdhsa_user_sgpr_count 6
		.amdhsa_user_sgpr_private_segment_buffer 1
		.amdhsa_user_sgpr_dispatch_ptr 0
		.amdhsa_user_sgpr_queue_ptr 0
		.amdhsa_user_sgpr_kernarg_segment_ptr 1
		.amdhsa_user_sgpr_dispatch_id 0
		.amdhsa_user_sgpr_flat_scratch_init 0
		.amdhsa_user_sgpr_kernarg_preload_length 0
		.amdhsa_user_sgpr_kernarg_preload_offset 0
		.amdhsa_user_sgpr_private_segment_size 0
		.amdhsa_uses_dynamic_stack 0
		.amdhsa_system_sgpr_private_segment_wavefront_offset 0
		.amdhsa_system_sgpr_workgroup_id_x 1
		.amdhsa_system_sgpr_workgroup_id_y 0
		.amdhsa_system_sgpr_workgroup_id_z 0
		.amdhsa_system_sgpr_workgroup_info 0
		.amdhsa_system_vgpr_workitem_id 0
		.amdhsa_next_free_vgpr 1
		.amdhsa_next_free_sgpr 0
		.amdhsa_accum_offset 4
		.amdhsa_reserve_vcc 0
		.amdhsa_reserve_flat_scratch 0
		.amdhsa_float_round_mode_32 0
		.amdhsa_float_round_mode_16_64 0
		.amdhsa_float_denorm_mode_32 3
		.amdhsa_float_denorm_mode_16_64 3
		.amdhsa_dx10_clamp 1
		.amdhsa_ieee_mode 1
		.amdhsa_fp16_overflow 0
		.amdhsa_tg_split 0
		.amdhsa_exception_fp_ieee_invalid_op 0
		.amdhsa_exception_fp_denorm_src 0
		.amdhsa_exception_fp_ieee_div_zero 0
		.amdhsa_exception_fp_ieee_overflow 0
		.amdhsa_exception_fp_ieee_underflow 0
		.amdhsa_exception_fp_ieee_inexact 0
		.amdhsa_exception_int_div_zero 0
	.end_amdhsa_kernel
	.section	.text._ZN7rocprim17ROCPRIM_400000_NS6detail17trampoline_kernelINS0_14default_configENS1_20scan_config_selectorIxEEZZNS1_9scan_implILNS1_25lookback_scan_determinismE0ELb0ELb0ES3_N6thrust23THRUST_200600_302600_NS6detail15normal_iteratorINS9_10device_ptrIxEEEESE_xNS9_4plusIxEExEEDaPvRmT3_T4_T5_mT6_P12ihipStream_tbENKUlT_T0_E_clISt17integral_constantIbLb0EESU_EEDaSP_SQ_EUlSP_E0_NS1_11comp_targetILNS1_3genE8ELNS1_11target_archE1030ELNS1_3gpuE2ELNS1_3repE0EEENS1_30default_config_static_selectorELNS0_4arch9wavefront6targetE1EEEvT1_,"axG",@progbits,_ZN7rocprim17ROCPRIM_400000_NS6detail17trampoline_kernelINS0_14default_configENS1_20scan_config_selectorIxEEZZNS1_9scan_implILNS1_25lookback_scan_determinismE0ELb0ELb0ES3_N6thrust23THRUST_200600_302600_NS6detail15normal_iteratorINS9_10device_ptrIxEEEESE_xNS9_4plusIxEExEEDaPvRmT3_T4_T5_mT6_P12ihipStream_tbENKUlT_T0_E_clISt17integral_constantIbLb0EESU_EEDaSP_SQ_EUlSP_E0_NS1_11comp_targetILNS1_3genE8ELNS1_11target_archE1030ELNS1_3gpuE2ELNS1_3repE0EEENS1_30default_config_static_selectorELNS0_4arch9wavefront6targetE1EEEvT1_,comdat
.Lfunc_end215:
	.size	_ZN7rocprim17ROCPRIM_400000_NS6detail17trampoline_kernelINS0_14default_configENS1_20scan_config_selectorIxEEZZNS1_9scan_implILNS1_25lookback_scan_determinismE0ELb0ELb0ES3_N6thrust23THRUST_200600_302600_NS6detail15normal_iteratorINS9_10device_ptrIxEEEESE_xNS9_4plusIxEExEEDaPvRmT3_T4_T5_mT6_P12ihipStream_tbENKUlT_T0_E_clISt17integral_constantIbLb0EESU_EEDaSP_SQ_EUlSP_E0_NS1_11comp_targetILNS1_3genE8ELNS1_11target_archE1030ELNS1_3gpuE2ELNS1_3repE0EEENS1_30default_config_static_selectorELNS0_4arch9wavefront6targetE1EEEvT1_, .Lfunc_end215-_ZN7rocprim17ROCPRIM_400000_NS6detail17trampoline_kernelINS0_14default_configENS1_20scan_config_selectorIxEEZZNS1_9scan_implILNS1_25lookback_scan_determinismE0ELb0ELb0ES3_N6thrust23THRUST_200600_302600_NS6detail15normal_iteratorINS9_10device_ptrIxEEEESE_xNS9_4plusIxEExEEDaPvRmT3_T4_T5_mT6_P12ihipStream_tbENKUlT_T0_E_clISt17integral_constantIbLb0EESU_EEDaSP_SQ_EUlSP_E0_NS1_11comp_targetILNS1_3genE8ELNS1_11target_archE1030ELNS1_3gpuE2ELNS1_3repE0EEENS1_30default_config_static_selectorELNS0_4arch9wavefront6targetE1EEEvT1_
                                        ; -- End function
	.section	.AMDGPU.csdata,"",@progbits
; Kernel info:
; codeLenInByte = 0
; NumSgprs: 4
; NumVgprs: 0
; NumAgprs: 0
; TotalNumVgprs: 0
; ScratchSize: 0
; MemoryBound: 0
; FloatMode: 240
; IeeeMode: 1
; LDSByteSize: 0 bytes/workgroup (compile time only)
; SGPRBlocks: 0
; VGPRBlocks: 0
; NumSGPRsForWavesPerEU: 4
; NumVGPRsForWavesPerEU: 1
; AccumOffset: 4
; Occupancy: 8
; WaveLimiterHint : 0
; COMPUTE_PGM_RSRC2:SCRATCH_EN: 0
; COMPUTE_PGM_RSRC2:USER_SGPR: 6
; COMPUTE_PGM_RSRC2:TRAP_HANDLER: 0
; COMPUTE_PGM_RSRC2:TGID_X_EN: 1
; COMPUTE_PGM_RSRC2:TGID_Y_EN: 0
; COMPUTE_PGM_RSRC2:TGID_Z_EN: 0
; COMPUTE_PGM_RSRC2:TIDIG_COMP_CNT: 0
; COMPUTE_PGM_RSRC3_GFX90A:ACCUM_OFFSET: 0
; COMPUTE_PGM_RSRC3_GFX90A:TG_SPLIT: 0
	.section	.text._ZN7rocprim17ROCPRIM_400000_NS6detail17trampoline_kernelINS0_14default_configENS1_20scan_config_selectorIxEEZZNS1_9scan_implILNS1_25lookback_scan_determinismE0ELb0ELb0ES3_N6thrust23THRUST_200600_302600_NS6detail15normal_iteratorINS9_10device_ptrIxEEEESE_xNS9_4plusIxEExEEDaPvRmT3_T4_T5_mT6_P12ihipStream_tbENKUlT_T0_E_clISt17integral_constantIbLb1EESU_EEDaSP_SQ_EUlSP_E_NS1_11comp_targetILNS1_3genE0ELNS1_11target_archE4294967295ELNS1_3gpuE0ELNS1_3repE0EEENS1_30default_config_static_selectorELNS0_4arch9wavefront6targetE1EEEvT1_,"axG",@progbits,_ZN7rocprim17ROCPRIM_400000_NS6detail17trampoline_kernelINS0_14default_configENS1_20scan_config_selectorIxEEZZNS1_9scan_implILNS1_25lookback_scan_determinismE0ELb0ELb0ES3_N6thrust23THRUST_200600_302600_NS6detail15normal_iteratorINS9_10device_ptrIxEEEESE_xNS9_4plusIxEExEEDaPvRmT3_T4_T5_mT6_P12ihipStream_tbENKUlT_T0_E_clISt17integral_constantIbLb1EESU_EEDaSP_SQ_EUlSP_E_NS1_11comp_targetILNS1_3genE0ELNS1_11target_archE4294967295ELNS1_3gpuE0ELNS1_3repE0EEENS1_30default_config_static_selectorELNS0_4arch9wavefront6targetE1EEEvT1_,comdat
	.protected	_ZN7rocprim17ROCPRIM_400000_NS6detail17trampoline_kernelINS0_14default_configENS1_20scan_config_selectorIxEEZZNS1_9scan_implILNS1_25lookback_scan_determinismE0ELb0ELb0ES3_N6thrust23THRUST_200600_302600_NS6detail15normal_iteratorINS9_10device_ptrIxEEEESE_xNS9_4plusIxEExEEDaPvRmT3_T4_T5_mT6_P12ihipStream_tbENKUlT_T0_E_clISt17integral_constantIbLb1EESU_EEDaSP_SQ_EUlSP_E_NS1_11comp_targetILNS1_3genE0ELNS1_11target_archE4294967295ELNS1_3gpuE0ELNS1_3repE0EEENS1_30default_config_static_selectorELNS0_4arch9wavefront6targetE1EEEvT1_ ; -- Begin function _ZN7rocprim17ROCPRIM_400000_NS6detail17trampoline_kernelINS0_14default_configENS1_20scan_config_selectorIxEEZZNS1_9scan_implILNS1_25lookback_scan_determinismE0ELb0ELb0ES3_N6thrust23THRUST_200600_302600_NS6detail15normal_iteratorINS9_10device_ptrIxEEEESE_xNS9_4plusIxEExEEDaPvRmT3_T4_T5_mT6_P12ihipStream_tbENKUlT_T0_E_clISt17integral_constantIbLb1EESU_EEDaSP_SQ_EUlSP_E_NS1_11comp_targetILNS1_3genE0ELNS1_11target_archE4294967295ELNS1_3gpuE0ELNS1_3repE0EEENS1_30default_config_static_selectorELNS0_4arch9wavefront6targetE1EEEvT1_
	.globl	_ZN7rocprim17ROCPRIM_400000_NS6detail17trampoline_kernelINS0_14default_configENS1_20scan_config_selectorIxEEZZNS1_9scan_implILNS1_25lookback_scan_determinismE0ELb0ELb0ES3_N6thrust23THRUST_200600_302600_NS6detail15normal_iteratorINS9_10device_ptrIxEEEESE_xNS9_4plusIxEExEEDaPvRmT3_T4_T5_mT6_P12ihipStream_tbENKUlT_T0_E_clISt17integral_constantIbLb1EESU_EEDaSP_SQ_EUlSP_E_NS1_11comp_targetILNS1_3genE0ELNS1_11target_archE4294967295ELNS1_3gpuE0ELNS1_3repE0EEENS1_30default_config_static_selectorELNS0_4arch9wavefront6targetE1EEEvT1_
	.p2align	8
	.type	_ZN7rocprim17ROCPRIM_400000_NS6detail17trampoline_kernelINS0_14default_configENS1_20scan_config_selectorIxEEZZNS1_9scan_implILNS1_25lookback_scan_determinismE0ELb0ELb0ES3_N6thrust23THRUST_200600_302600_NS6detail15normal_iteratorINS9_10device_ptrIxEEEESE_xNS9_4plusIxEExEEDaPvRmT3_T4_T5_mT6_P12ihipStream_tbENKUlT_T0_E_clISt17integral_constantIbLb1EESU_EEDaSP_SQ_EUlSP_E_NS1_11comp_targetILNS1_3genE0ELNS1_11target_archE4294967295ELNS1_3gpuE0ELNS1_3repE0EEENS1_30default_config_static_selectorELNS0_4arch9wavefront6targetE1EEEvT1_,@function
_ZN7rocprim17ROCPRIM_400000_NS6detail17trampoline_kernelINS0_14default_configENS1_20scan_config_selectorIxEEZZNS1_9scan_implILNS1_25lookback_scan_determinismE0ELb0ELb0ES3_N6thrust23THRUST_200600_302600_NS6detail15normal_iteratorINS9_10device_ptrIxEEEESE_xNS9_4plusIxEExEEDaPvRmT3_T4_T5_mT6_P12ihipStream_tbENKUlT_T0_E_clISt17integral_constantIbLb1EESU_EEDaSP_SQ_EUlSP_E_NS1_11comp_targetILNS1_3genE0ELNS1_11target_archE4294967295ELNS1_3gpuE0ELNS1_3repE0EEENS1_30default_config_static_selectorELNS0_4arch9wavefront6targetE1EEEvT1_: ; @_ZN7rocprim17ROCPRIM_400000_NS6detail17trampoline_kernelINS0_14default_configENS1_20scan_config_selectorIxEEZZNS1_9scan_implILNS1_25lookback_scan_determinismE0ELb0ELb0ES3_N6thrust23THRUST_200600_302600_NS6detail15normal_iteratorINS9_10device_ptrIxEEEESE_xNS9_4plusIxEExEEDaPvRmT3_T4_T5_mT6_P12ihipStream_tbENKUlT_T0_E_clISt17integral_constantIbLb1EESU_EEDaSP_SQ_EUlSP_E_NS1_11comp_targetILNS1_3genE0ELNS1_11target_archE4294967295ELNS1_3gpuE0ELNS1_3repE0EEENS1_30default_config_static_selectorELNS0_4arch9wavefront6targetE1EEEvT1_
; %bb.0:
	.section	.rodata,"a",@progbits
	.p2align	6, 0x0
	.amdhsa_kernel _ZN7rocprim17ROCPRIM_400000_NS6detail17trampoline_kernelINS0_14default_configENS1_20scan_config_selectorIxEEZZNS1_9scan_implILNS1_25lookback_scan_determinismE0ELb0ELb0ES3_N6thrust23THRUST_200600_302600_NS6detail15normal_iteratorINS9_10device_ptrIxEEEESE_xNS9_4plusIxEExEEDaPvRmT3_T4_T5_mT6_P12ihipStream_tbENKUlT_T0_E_clISt17integral_constantIbLb1EESU_EEDaSP_SQ_EUlSP_E_NS1_11comp_targetILNS1_3genE0ELNS1_11target_archE4294967295ELNS1_3gpuE0ELNS1_3repE0EEENS1_30default_config_static_selectorELNS0_4arch9wavefront6targetE1EEEvT1_
		.amdhsa_group_segment_fixed_size 0
		.amdhsa_private_segment_fixed_size 0
		.amdhsa_kernarg_size 104
		.amdhsa_user_sgpr_count 6
		.amdhsa_user_sgpr_private_segment_buffer 1
		.amdhsa_user_sgpr_dispatch_ptr 0
		.amdhsa_user_sgpr_queue_ptr 0
		.amdhsa_user_sgpr_kernarg_segment_ptr 1
		.amdhsa_user_sgpr_dispatch_id 0
		.amdhsa_user_sgpr_flat_scratch_init 0
		.amdhsa_user_sgpr_kernarg_preload_length 0
		.amdhsa_user_sgpr_kernarg_preload_offset 0
		.amdhsa_user_sgpr_private_segment_size 0
		.amdhsa_uses_dynamic_stack 0
		.amdhsa_system_sgpr_private_segment_wavefront_offset 0
		.amdhsa_system_sgpr_workgroup_id_x 1
		.amdhsa_system_sgpr_workgroup_id_y 0
		.amdhsa_system_sgpr_workgroup_id_z 0
		.amdhsa_system_sgpr_workgroup_info 0
		.amdhsa_system_vgpr_workitem_id 0
		.amdhsa_next_free_vgpr 1
		.amdhsa_next_free_sgpr 0
		.amdhsa_accum_offset 4
		.amdhsa_reserve_vcc 0
		.amdhsa_reserve_flat_scratch 0
		.amdhsa_float_round_mode_32 0
		.amdhsa_float_round_mode_16_64 0
		.amdhsa_float_denorm_mode_32 3
		.amdhsa_float_denorm_mode_16_64 3
		.amdhsa_dx10_clamp 1
		.amdhsa_ieee_mode 1
		.amdhsa_fp16_overflow 0
		.amdhsa_tg_split 0
		.amdhsa_exception_fp_ieee_invalid_op 0
		.amdhsa_exception_fp_denorm_src 0
		.amdhsa_exception_fp_ieee_div_zero 0
		.amdhsa_exception_fp_ieee_overflow 0
		.amdhsa_exception_fp_ieee_underflow 0
		.amdhsa_exception_fp_ieee_inexact 0
		.amdhsa_exception_int_div_zero 0
	.end_amdhsa_kernel
	.section	.text._ZN7rocprim17ROCPRIM_400000_NS6detail17trampoline_kernelINS0_14default_configENS1_20scan_config_selectorIxEEZZNS1_9scan_implILNS1_25lookback_scan_determinismE0ELb0ELb0ES3_N6thrust23THRUST_200600_302600_NS6detail15normal_iteratorINS9_10device_ptrIxEEEESE_xNS9_4plusIxEExEEDaPvRmT3_T4_T5_mT6_P12ihipStream_tbENKUlT_T0_E_clISt17integral_constantIbLb1EESU_EEDaSP_SQ_EUlSP_E_NS1_11comp_targetILNS1_3genE0ELNS1_11target_archE4294967295ELNS1_3gpuE0ELNS1_3repE0EEENS1_30default_config_static_selectorELNS0_4arch9wavefront6targetE1EEEvT1_,"axG",@progbits,_ZN7rocprim17ROCPRIM_400000_NS6detail17trampoline_kernelINS0_14default_configENS1_20scan_config_selectorIxEEZZNS1_9scan_implILNS1_25lookback_scan_determinismE0ELb0ELb0ES3_N6thrust23THRUST_200600_302600_NS6detail15normal_iteratorINS9_10device_ptrIxEEEESE_xNS9_4plusIxEExEEDaPvRmT3_T4_T5_mT6_P12ihipStream_tbENKUlT_T0_E_clISt17integral_constantIbLb1EESU_EEDaSP_SQ_EUlSP_E_NS1_11comp_targetILNS1_3genE0ELNS1_11target_archE4294967295ELNS1_3gpuE0ELNS1_3repE0EEENS1_30default_config_static_selectorELNS0_4arch9wavefront6targetE1EEEvT1_,comdat
.Lfunc_end216:
	.size	_ZN7rocprim17ROCPRIM_400000_NS6detail17trampoline_kernelINS0_14default_configENS1_20scan_config_selectorIxEEZZNS1_9scan_implILNS1_25lookback_scan_determinismE0ELb0ELb0ES3_N6thrust23THRUST_200600_302600_NS6detail15normal_iteratorINS9_10device_ptrIxEEEESE_xNS9_4plusIxEExEEDaPvRmT3_T4_T5_mT6_P12ihipStream_tbENKUlT_T0_E_clISt17integral_constantIbLb1EESU_EEDaSP_SQ_EUlSP_E_NS1_11comp_targetILNS1_3genE0ELNS1_11target_archE4294967295ELNS1_3gpuE0ELNS1_3repE0EEENS1_30default_config_static_selectorELNS0_4arch9wavefront6targetE1EEEvT1_, .Lfunc_end216-_ZN7rocprim17ROCPRIM_400000_NS6detail17trampoline_kernelINS0_14default_configENS1_20scan_config_selectorIxEEZZNS1_9scan_implILNS1_25lookback_scan_determinismE0ELb0ELb0ES3_N6thrust23THRUST_200600_302600_NS6detail15normal_iteratorINS9_10device_ptrIxEEEESE_xNS9_4plusIxEExEEDaPvRmT3_T4_T5_mT6_P12ihipStream_tbENKUlT_T0_E_clISt17integral_constantIbLb1EESU_EEDaSP_SQ_EUlSP_E_NS1_11comp_targetILNS1_3genE0ELNS1_11target_archE4294967295ELNS1_3gpuE0ELNS1_3repE0EEENS1_30default_config_static_selectorELNS0_4arch9wavefront6targetE1EEEvT1_
                                        ; -- End function
	.section	.AMDGPU.csdata,"",@progbits
; Kernel info:
; codeLenInByte = 0
; NumSgprs: 4
; NumVgprs: 0
; NumAgprs: 0
; TotalNumVgprs: 0
; ScratchSize: 0
; MemoryBound: 0
; FloatMode: 240
; IeeeMode: 1
; LDSByteSize: 0 bytes/workgroup (compile time only)
; SGPRBlocks: 0
; VGPRBlocks: 0
; NumSGPRsForWavesPerEU: 4
; NumVGPRsForWavesPerEU: 1
; AccumOffset: 4
; Occupancy: 8
; WaveLimiterHint : 0
; COMPUTE_PGM_RSRC2:SCRATCH_EN: 0
; COMPUTE_PGM_RSRC2:USER_SGPR: 6
; COMPUTE_PGM_RSRC2:TRAP_HANDLER: 0
; COMPUTE_PGM_RSRC2:TGID_X_EN: 1
; COMPUTE_PGM_RSRC2:TGID_Y_EN: 0
; COMPUTE_PGM_RSRC2:TGID_Z_EN: 0
; COMPUTE_PGM_RSRC2:TIDIG_COMP_CNT: 0
; COMPUTE_PGM_RSRC3_GFX90A:ACCUM_OFFSET: 0
; COMPUTE_PGM_RSRC3_GFX90A:TG_SPLIT: 0
	.section	.text._ZN7rocprim17ROCPRIM_400000_NS6detail17trampoline_kernelINS0_14default_configENS1_20scan_config_selectorIxEEZZNS1_9scan_implILNS1_25lookback_scan_determinismE0ELb0ELb0ES3_N6thrust23THRUST_200600_302600_NS6detail15normal_iteratorINS9_10device_ptrIxEEEESE_xNS9_4plusIxEExEEDaPvRmT3_T4_T5_mT6_P12ihipStream_tbENKUlT_T0_E_clISt17integral_constantIbLb1EESU_EEDaSP_SQ_EUlSP_E_NS1_11comp_targetILNS1_3genE5ELNS1_11target_archE942ELNS1_3gpuE9ELNS1_3repE0EEENS1_30default_config_static_selectorELNS0_4arch9wavefront6targetE1EEEvT1_,"axG",@progbits,_ZN7rocprim17ROCPRIM_400000_NS6detail17trampoline_kernelINS0_14default_configENS1_20scan_config_selectorIxEEZZNS1_9scan_implILNS1_25lookback_scan_determinismE0ELb0ELb0ES3_N6thrust23THRUST_200600_302600_NS6detail15normal_iteratorINS9_10device_ptrIxEEEESE_xNS9_4plusIxEExEEDaPvRmT3_T4_T5_mT6_P12ihipStream_tbENKUlT_T0_E_clISt17integral_constantIbLb1EESU_EEDaSP_SQ_EUlSP_E_NS1_11comp_targetILNS1_3genE5ELNS1_11target_archE942ELNS1_3gpuE9ELNS1_3repE0EEENS1_30default_config_static_selectorELNS0_4arch9wavefront6targetE1EEEvT1_,comdat
	.protected	_ZN7rocprim17ROCPRIM_400000_NS6detail17trampoline_kernelINS0_14default_configENS1_20scan_config_selectorIxEEZZNS1_9scan_implILNS1_25lookback_scan_determinismE0ELb0ELb0ES3_N6thrust23THRUST_200600_302600_NS6detail15normal_iteratorINS9_10device_ptrIxEEEESE_xNS9_4plusIxEExEEDaPvRmT3_T4_T5_mT6_P12ihipStream_tbENKUlT_T0_E_clISt17integral_constantIbLb1EESU_EEDaSP_SQ_EUlSP_E_NS1_11comp_targetILNS1_3genE5ELNS1_11target_archE942ELNS1_3gpuE9ELNS1_3repE0EEENS1_30default_config_static_selectorELNS0_4arch9wavefront6targetE1EEEvT1_ ; -- Begin function _ZN7rocprim17ROCPRIM_400000_NS6detail17trampoline_kernelINS0_14default_configENS1_20scan_config_selectorIxEEZZNS1_9scan_implILNS1_25lookback_scan_determinismE0ELb0ELb0ES3_N6thrust23THRUST_200600_302600_NS6detail15normal_iteratorINS9_10device_ptrIxEEEESE_xNS9_4plusIxEExEEDaPvRmT3_T4_T5_mT6_P12ihipStream_tbENKUlT_T0_E_clISt17integral_constantIbLb1EESU_EEDaSP_SQ_EUlSP_E_NS1_11comp_targetILNS1_3genE5ELNS1_11target_archE942ELNS1_3gpuE9ELNS1_3repE0EEENS1_30default_config_static_selectorELNS0_4arch9wavefront6targetE1EEEvT1_
	.globl	_ZN7rocprim17ROCPRIM_400000_NS6detail17trampoline_kernelINS0_14default_configENS1_20scan_config_selectorIxEEZZNS1_9scan_implILNS1_25lookback_scan_determinismE0ELb0ELb0ES3_N6thrust23THRUST_200600_302600_NS6detail15normal_iteratorINS9_10device_ptrIxEEEESE_xNS9_4plusIxEExEEDaPvRmT3_T4_T5_mT6_P12ihipStream_tbENKUlT_T0_E_clISt17integral_constantIbLb1EESU_EEDaSP_SQ_EUlSP_E_NS1_11comp_targetILNS1_3genE5ELNS1_11target_archE942ELNS1_3gpuE9ELNS1_3repE0EEENS1_30default_config_static_selectorELNS0_4arch9wavefront6targetE1EEEvT1_
	.p2align	8
	.type	_ZN7rocprim17ROCPRIM_400000_NS6detail17trampoline_kernelINS0_14default_configENS1_20scan_config_selectorIxEEZZNS1_9scan_implILNS1_25lookback_scan_determinismE0ELb0ELb0ES3_N6thrust23THRUST_200600_302600_NS6detail15normal_iteratorINS9_10device_ptrIxEEEESE_xNS9_4plusIxEExEEDaPvRmT3_T4_T5_mT6_P12ihipStream_tbENKUlT_T0_E_clISt17integral_constantIbLb1EESU_EEDaSP_SQ_EUlSP_E_NS1_11comp_targetILNS1_3genE5ELNS1_11target_archE942ELNS1_3gpuE9ELNS1_3repE0EEENS1_30default_config_static_selectorELNS0_4arch9wavefront6targetE1EEEvT1_,@function
_ZN7rocprim17ROCPRIM_400000_NS6detail17trampoline_kernelINS0_14default_configENS1_20scan_config_selectorIxEEZZNS1_9scan_implILNS1_25lookback_scan_determinismE0ELb0ELb0ES3_N6thrust23THRUST_200600_302600_NS6detail15normal_iteratorINS9_10device_ptrIxEEEESE_xNS9_4plusIxEExEEDaPvRmT3_T4_T5_mT6_P12ihipStream_tbENKUlT_T0_E_clISt17integral_constantIbLb1EESU_EEDaSP_SQ_EUlSP_E_NS1_11comp_targetILNS1_3genE5ELNS1_11target_archE942ELNS1_3gpuE9ELNS1_3repE0EEENS1_30default_config_static_selectorELNS0_4arch9wavefront6targetE1EEEvT1_: ; @_ZN7rocprim17ROCPRIM_400000_NS6detail17trampoline_kernelINS0_14default_configENS1_20scan_config_selectorIxEEZZNS1_9scan_implILNS1_25lookback_scan_determinismE0ELb0ELb0ES3_N6thrust23THRUST_200600_302600_NS6detail15normal_iteratorINS9_10device_ptrIxEEEESE_xNS9_4plusIxEExEEDaPvRmT3_T4_T5_mT6_P12ihipStream_tbENKUlT_T0_E_clISt17integral_constantIbLb1EESU_EEDaSP_SQ_EUlSP_E_NS1_11comp_targetILNS1_3genE5ELNS1_11target_archE942ELNS1_3gpuE9ELNS1_3repE0EEENS1_30default_config_static_selectorELNS0_4arch9wavefront6targetE1EEEvT1_
; %bb.0:
	.section	.rodata,"a",@progbits
	.p2align	6, 0x0
	.amdhsa_kernel _ZN7rocprim17ROCPRIM_400000_NS6detail17trampoline_kernelINS0_14default_configENS1_20scan_config_selectorIxEEZZNS1_9scan_implILNS1_25lookback_scan_determinismE0ELb0ELb0ES3_N6thrust23THRUST_200600_302600_NS6detail15normal_iteratorINS9_10device_ptrIxEEEESE_xNS9_4plusIxEExEEDaPvRmT3_T4_T5_mT6_P12ihipStream_tbENKUlT_T0_E_clISt17integral_constantIbLb1EESU_EEDaSP_SQ_EUlSP_E_NS1_11comp_targetILNS1_3genE5ELNS1_11target_archE942ELNS1_3gpuE9ELNS1_3repE0EEENS1_30default_config_static_selectorELNS0_4arch9wavefront6targetE1EEEvT1_
		.amdhsa_group_segment_fixed_size 0
		.amdhsa_private_segment_fixed_size 0
		.amdhsa_kernarg_size 104
		.amdhsa_user_sgpr_count 6
		.amdhsa_user_sgpr_private_segment_buffer 1
		.amdhsa_user_sgpr_dispatch_ptr 0
		.amdhsa_user_sgpr_queue_ptr 0
		.amdhsa_user_sgpr_kernarg_segment_ptr 1
		.amdhsa_user_sgpr_dispatch_id 0
		.amdhsa_user_sgpr_flat_scratch_init 0
		.amdhsa_user_sgpr_kernarg_preload_length 0
		.amdhsa_user_sgpr_kernarg_preload_offset 0
		.amdhsa_user_sgpr_private_segment_size 0
		.amdhsa_uses_dynamic_stack 0
		.amdhsa_system_sgpr_private_segment_wavefront_offset 0
		.amdhsa_system_sgpr_workgroup_id_x 1
		.amdhsa_system_sgpr_workgroup_id_y 0
		.amdhsa_system_sgpr_workgroup_id_z 0
		.amdhsa_system_sgpr_workgroup_info 0
		.amdhsa_system_vgpr_workitem_id 0
		.amdhsa_next_free_vgpr 1
		.amdhsa_next_free_sgpr 0
		.amdhsa_accum_offset 4
		.amdhsa_reserve_vcc 0
		.amdhsa_reserve_flat_scratch 0
		.amdhsa_float_round_mode_32 0
		.amdhsa_float_round_mode_16_64 0
		.amdhsa_float_denorm_mode_32 3
		.amdhsa_float_denorm_mode_16_64 3
		.amdhsa_dx10_clamp 1
		.amdhsa_ieee_mode 1
		.amdhsa_fp16_overflow 0
		.amdhsa_tg_split 0
		.amdhsa_exception_fp_ieee_invalid_op 0
		.amdhsa_exception_fp_denorm_src 0
		.amdhsa_exception_fp_ieee_div_zero 0
		.amdhsa_exception_fp_ieee_overflow 0
		.amdhsa_exception_fp_ieee_underflow 0
		.amdhsa_exception_fp_ieee_inexact 0
		.amdhsa_exception_int_div_zero 0
	.end_amdhsa_kernel
	.section	.text._ZN7rocprim17ROCPRIM_400000_NS6detail17trampoline_kernelINS0_14default_configENS1_20scan_config_selectorIxEEZZNS1_9scan_implILNS1_25lookback_scan_determinismE0ELb0ELb0ES3_N6thrust23THRUST_200600_302600_NS6detail15normal_iteratorINS9_10device_ptrIxEEEESE_xNS9_4plusIxEExEEDaPvRmT3_T4_T5_mT6_P12ihipStream_tbENKUlT_T0_E_clISt17integral_constantIbLb1EESU_EEDaSP_SQ_EUlSP_E_NS1_11comp_targetILNS1_3genE5ELNS1_11target_archE942ELNS1_3gpuE9ELNS1_3repE0EEENS1_30default_config_static_selectorELNS0_4arch9wavefront6targetE1EEEvT1_,"axG",@progbits,_ZN7rocprim17ROCPRIM_400000_NS6detail17trampoline_kernelINS0_14default_configENS1_20scan_config_selectorIxEEZZNS1_9scan_implILNS1_25lookback_scan_determinismE0ELb0ELb0ES3_N6thrust23THRUST_200600_302600_NS6detail15normal_iteratorINS9_10device_ptrIxEEEESE_xNS9_4plusIxEExEEDaPvRmT3_T4_T5_mT6_P12ihipStream_tbENKUlT_T0_E_clISt17integral_constantIbLb1EESU_EEDaSP_SQ_EUlSP_E_NS1_11comp_targetILNS1_3genE5ELNS1_11target_archE942ELNS1_3gpuE9ELNS1_3repE0EEENS1_30default_config_static_selectorELNS0_4arch9wavefront6targetE1EEEvT1_,comdat
.Lfunc_end217:
	.size	_ZN7rocprim17ROCPRIM_400000_NS6detail17trampoline_kernelINS0_14default_configENS1_20scan_config_selectorIxEEZZNS1_9scan_implILNS1_25lookback_scan_determinismE0ELb0ELb0ES3_N6thrust23THRUST_200600_302600_NS6detail15normal_iteratorINS9_10device_ptrIxEEEESE_xNS9_4plusIxEExEEDaPvRmT3_T4_T5_mT6_P12ihipStream_tbENKUlT_T0_E_clISt17integral_constantIbLb1EESU_EEDaSP_SQ_EUlSP_E_NS1_11comp_targetILNS1_3genE5ELNS1_11target_archE942ELNS1_3gpuE9ELNS1_3repE0EEENS1_30default_config_static_selectorELNS0_4arch9wavefront6targetE1EEEvT1_, .Lfunc_end217-_ZN7rocprim17ROCPRIM_400000_NS6detail17trampoline_kernelINS0_14default_configENS1_20scan_config_selectorIxEEZZNS1_9scan_implILNS1_25lookback_scan_determinismE0ELb0ELb0ES3_N6thrust23THRUST_200600_302600_NS6detail15normal_iteratorINS9_10device_ptrIxEEEESE_xNS9_4plusIxEExEEDaPvRmT3_T4_T5_mT6_P12ihipStream_tbENKUlT_T0_E_clISt17integral_constantIbLb1EESU_EEDaSP_SQ_EUlSP_E_NS1_11comp_targetILNS1_3genE5ELNS1_11target_archE942ELNS1_3gpuE9ELNS1_3repE0EEENS1_30default_config_static_selectorELNS0_4arch9wavefront6targetE1EEEvT1_
                                        ; -- End function
	.section	.AMDGPU.csdata,"",@progbits
; Kernel info:
; codeLenInByte = 0
; NumSgprs: 4
; NumVgprs: 0
; NumAgprs: 0
; TotalNumVgprs: 0
; ScratchSize: 0
; MemoryBound: 0
; FloatMode: 240
; IeeeMode: 1
; LDSByteSize: 0 bytes/workgroup (compile time only)
; SGPRBlocks: 0
; VGPRBlocks: 0
; NumSGPRsForWavesPerEU: 4
; NumVGPRsForWavesPerEU: 1
; AccumOffset: 4
; Occupancy: 8
; WaveLimiterHint : 0
; COMPUTE_PGM_RSRC2:SCRATCH_EN: 0
; COMPUTE_PGM_RSRC2:USER_SGPR: 6
; COMPUTE_PGM_RSRC2:TRAP_HANDLER: 0
; COMPUTE_PGM_RSRC2:TGID_X_EN: 1
; COMPUTE_PGM_RSRC2:TGID_Y_EN: 0
; COMPUTE_PGM_RSRC2:TGID_Z_EN: 0
; COMPUTE_PGM_RSRC2:TIDIG_COMP_CNT: 0
; COMPUTE_PGM_RSRC3_GFX90A:ACCUM_OFFSET: 0
; COMPUTE_PGM_RSRC3_GFX90A:TG_SPLIT: 0
	.section	.text._ZN7rocprim17ROCPRIM_400000_NS6detail17trampoline_kernelINS0_14default_configENS1_20scan_config_selectorIxEEZZNS1_9scan_implILNS1_25lookback_scan_determinismE0ELb0ELb0ES3_N6thrust23THRUST_200600_302600_NS6detail15normal_iteratorINS9_10device_ptrIxEEEESE_xNS9_4plusIxEExEEDaPvRmT3_T4_T5_mT6_P12ihipStream_tbENKUlT_T0_E_clISt17integral_constantIbLb1EESU_EEDaSP_SQ_EUlSP_E_NS1_11comp_targetILNS1_3genE4ELNS1_11target_archE910ELNS1_3gpuE8ELNS1_3repE0EEENS1_30default_config_static_selectorELNS0_4arch9wavefront6targetE1EEEvT1_,"axG",@progbits,_ZN7rocprim17ROCPRIM_400000_NS6detail17trampoline_kernelINS0_14default_configENS1_20scan_config_selectorIxEEZZNS1_9scan_implILNS1_25lookback_scan_determinismE0ELb0ELb0ES3_N6thrust23THRUST_200600_302600_NS6detail15normal_iteratorINS9_10device_ptrIxEEEESE_xNS9_4plusIxEExEEDaPvRmT3_T4_T5_mT6_P12ihipStream_tbENKUlT_T0_E_clISt17integral_constantIbLb1EESU_EEDaSP_SQ_EUlSP_E_NS1_11comp_targetILNS1_3genE4ELNS1_11target_archE910ELNS1_3gpuE8ELNS1_3repE0EEENS1_30default_config_static_selectorELNS0_4arch9wavefront6targetE1EEEvT1_,comdat
	.protected	_ZN7rocprim17ROCPRIM_400000_NS6detail17trampoline_kernelINS0_14default_configENS1_20scan_config_selectorIxEEZZNS1_9scan_implILNS1_25lookback_scan_determinismE0ELb0ELb0ES3_N6thrust23THRUST_200600_302600_NS6detail15normal_iteratorINS9_10device_ptrIxEEEESE_xNS9_4plusIxEExEEDaPvRmT3_T4_T5_mT6_P12ihipStream_tbENKUlT_T0_E_clISt17integral_constantIbLb1EESU_EEDaSP_SQ_EUlSP_E_NS1_11comp_targetILNS1_3genE4ELNS1_11target_archE910ELNS1_3gpuE8ELNS1_3repE0EEENS1_30default_config_static_selectorELNS0_4arch9wavefront6targetE1EEEvT1_ ; -- Begin function _ZN7rocprim17ROCPRIM_400000_NS6detail17trampoline_kernelINS0_14default_configENS1_20scan_config_selectorIxEEZZNS1_9scan_implILNS1_25lookback_scan_determinismE0ELb0ELb0ES3_N6thrust23THRUST_200600_302600_NS6detail15normal_iteratorINS9_10device_ptrIxEEEESE_xNS9_4plusIxEExEEDaPvRmT3_T4_T5_mT6_P12ihipStream_tbENKUlT_T0_E_clISt17integral_constantIbLb1EESU_EEDaSP_SQ_EUlSP_E_NS1_11comp_targetILNS1_3genE4ELNS1_11target_archE910ELNS1_3gpuE8ELNS1_3repE0EEENS1_30default_config_static_selectorELNS0_4arch9wavefront6targetE1EEEvT1_
	.globl	_ZN7rocprim17ROCPRIM_400000_NS6detail17trampoline_kernelINS0_14default_configENS1_20scan_config_selectorIxEEZZNS1_9scan_implILNS1_25lookback_scan_determinismE0ELb0ELb0ES3_N6thrust23THRUST_200600_302600_NS6detail15normal_iteratorINS9_10device_ptrIxEEEESE_xNS9_4plusIxEExEEDaPvRmT3_T4_T5_mT6_P12ihipStream_tbENKUlT_T0_E_clISt17integral_constantIbLb1EESU_EEDaSP_SQ_EUlSP_E_NS1_11comp_targetILNS1_3genE4ELNS1_11target_archE910ELNS1_3gpuE8ELNS1_3repE0EEENS1_30default_config_static_selectorELNS0_4arch9wavefront6targetE1EEEvT1_
	.p2align	8
	.type	_ZN7rocprim17ROCPRIM_400000_NS6detail17trampoline_kernelINS0_14default_configENS1_20scan_config_selectorIxEEZZNS1_9scan_implILNS1_25lookback_scan_determinismE0ELb0ELb0ES3_N6thrust23THRUST_200600_302600_NS6detail15normal_iteratorINS9_10device_ptrIxEEEESE_xNS9_4plusIxEExEEDaPvRmT3_T4_T5_mT6_P12ihipStream_tbENKUlT_T0_E_clISt17integral_constantIbLb1EESU_EEDaSP_SQ_EUlSP_E_NS1_11comp_targetILNS1_3genE4ELNS1_11target_archE910ELNS1_3gpuE8ELNS1_3repE0EEENS1_30default_config_static_selectorELNS0_4arch9wavefront6targetE1EEEvT1_,@function
_ZN7rocprim17ROCPRIM_400000_NS6detail17trampoline_kernelINS0_14default_configENS1_20scan_config_selectorIxEEZZNS1_9scan_implILNS1_25lookback_scan_determinismE0ELb0ELb0ES3_N6thrust23THRUST_200600_302600_NS6detail15normal_iteratorINS9_10device_ptrIxEEEESE_xNS9_4plusIxEExEEDaPvRmT3_T4_T5_mT6_P12ihipStream_tbENKUlT_T0_E_clISt17integral_constantIbLb1EESU_EEDaSP_SQ_EUlSP_E_NS1_11comp_targetILNS1_3genE4ELNS1_11target_archE910ELNS1_3gpuE8ELNS1_3repE0EEENS1_30default_config_static_selectorELNS0_4arch9wavefront6targetE1EEEvT1_: ; @_ZN7rocprim17ROCPRIM_400000_NS6detail17trampoline_kernelINS0_14default_configENS1_20scan_config_selectorIxEEZZNS1_9scan_implILNS1_25lookback_scan_determinismE0ELb0ELb0ES3_N6thrust23THRUST_200600_302600_NS6detail15normal_iteratorINS9_10device_ptrIxEEEESE_xNS9_4plusIxEExEEDaPvRmT3_T4_T5_mT6_P12ihipStream_tbENKUlT_T0_E_clISt17integral_constantIbLb1EESU_EEDaSP_SQ_EUlSP_E_NS1_11comp_targetILNS1_3genE4ELNS1_11target_archE910ELNS1_3gpuE8ELNS1_3repE0EEENS1_30default_config_static_selectorELNS0_4arch9wavefront6targetE1EEEvT1_
; %bb.0:
	s_load_dwordx2 s[10:11], s[4:5], 0x30
	v_cmp_ne_u32_e64 s[0:1], 0, v0
	v_cmp_eq_u32_e64 s[2:3], 0, v0
	s_and_saveexec_b64 s[6:7], s[2:3]
	s_cbranch_execz .LBB218_4
; %bb.1:
	s_mov_b64 s[12:13], exec
	v_mbcnt_lo_u32_b32 v1, s12, 0
	v_mbcnt_hi_u32_b32 v1, s13, v1
	v_cmp_eq_u32_e32 vcc, 0, v1
                                        ; implicit-def: $vgpr2
	s_and_saveexec_b64 s[8:9], vcc
	s_cbranch_execz .LBB218_3
; %bb.2:
	s_load_dwordx2 s[14:15], s[4:5], 0x60
	s_bcnt1_i32_b64 s12, s[12:13]
	v_mov_b32_e32 v2, 0
	v_mov_b32_e32 v3, s12
	s_waitcnt lgkmcnt(0)
	global_atomic_add v2, v2, v3, s[14:15] glc
.LBB218_3:
	s_or_b64 exec, exec, s[8:9]
	s_waitcnt vmcnt(0)
	v_readfirstlane_b32 s8, v2
	v_add_u32_e32 v1, s8, v1
	v_mov_b32_e32 v2, 0
	ds_write_b32 v2, v1
.LBB218_4:
	s_or_b64 exec, exec, s[6:7]
	s_load_dwordx8 s[20:27], s[4:5], 0x0
	s_load_dword s6, s[4:5], 0x38
	s_load_dwordx8 s[12:19], s[4:5], 0x40
	v_mov_b32_e32 v1, 0
	s_waitcnt lgkmcnt(0)
	s_barrier
	ds_read_b32 v1, v1
	s_lshl_b64 s[22:23], s[22:23], 3
	s_add_u32 s7, s20, s22
	s_addc_u32 s8, s21, s23
	s_add_i32 s6, s6, -1
	s_mul_i32 s9, s6, 0x380
	s_sub_u32 s30, s26, s9
	s_waitcnt lgkmcnt(0)
	v_readfirstlane_b32 s33, v1
	s_subb_u32 s31, s27, 0
	s_mul_i32 s4, s33, 0x380
	s_mov_b32 s5, 0
	s_cmp_lg_u32 s33, s6
	s_cselect_b64 s[20:21], -1, 0
	s_lshl_b64 s[26:27], s[4:5], 3
	s_add_u32 s6, s7, s26
	s_addc_u32 s7, s8, s27
	s_mov_b64 s[4:5], -1
	s_and_b64 vcc, exec, s[20:21]
	v_lshlrev_b32_e32 v36, 3, v0
	s_barrier
	s_cbranch_vccz .LBB218_6
; %bb.5:
	v_mov_b32_e32 v1, s7
	v_add_co_u32_e32 v2, vcc, s6, v36
	v_addc_co_u32_e32 v3, vcc, 0, v1, vcc
	flat_load_dwordx2 v[4:5], v[2:3]
	flat_load_dwordx2 v[6:7], v[2:3] offset:1024
	flat_load_dwordx2 v[8:9], v[2:3] offset:2048
	flat_load_dwordx2 v[10:11], v[2:3] offset:3072
	v_add_co_u32_e32 v2, vcc, 0x1000, v2
	v_addc_co_u32_e32 v3, vcc, 0, v3, vcc
	flat_load_dwordx2 v[12:13], v[2:3]
	flat_load_dwordx2 v[14:15], v[2:3] offset:1024
	flat_load_dwordx2 v[16:17], v[2:3] offset:2048
	s_mov_b64 s[4:5], 0
	s_waitcnt vmcnt(0) lgkmcnt(0)
	ds_write2st64_b64 v36, v[4:5], v[6:7] offset1:2
	ds_write2st64_b64 v36, v[8:9], v[10:11] offset0:4 offset1:6
	ds_write2st64_b64 v36, v[12:13], v[14:15] offset0:8 offset1:10
	ds_write_b64 v36, v[16:17] offset:6144
	s_waitcnt lgkmcnt(0)
	s_barrier
.LBB218_6:
	s_andn2_b64 vcc, exec, s[4:5]
	v_cmp_gt_u32_e64 s[4:5], s30, v0
	s_cbranch_vccnz .LBB218_22
; %bb.7:
	v_pk_mov_b32 v[2:3], s[6:7], s[6:7] op_sel:[0,1]
	flat_load_dwordx2 v[2:3], v[2:3]
	s_waitcnt vmcnt(0) lgkmcnt(0)
	v_mov_b32_e32 v4, v2
	v_mov_b32_e32 v5, v3
	;; [unrolled: 1-line block ×10, first 2 shown]
	v_pk_mov_b32 v[18:19], v[14:15], v[14:15] op_sel:[0,1]
	v_pk_mov_b32 v[16:17], v[12:13], v[12:13] op_sel:[0,1]
	;; [unrolled: 1-line block ×8, first 2 shown]
	s_and_saveexec_b64 s[8:9], s[4:5]
	s_cbranch_execz .LBB218_9
; %bb.8:
	v_mov_b32_e32 v1, s7
	v_add_co_u32_e32 v4, vcc, s6, v36
	v_addc_co_u32_e32 v5, vcc, 0, v1, vcc
	flat_load_dwordx2 v[20:21], v[4:5]
	v_mov_b32_e32 v4, v2
	v_mov_b32_e32 v5, v3
	;; [unrolled: 1-line block ×10, first 2 shown]
	v_pk_mov_b32 v[18:19], v[14:15], v[14:15] op_sel:[0,1]
	v_pk_mov_b32 v[16:17], v[12:13], v[12:13] op_sel:[0,1]
	;; [unrolled: 1-line block ×8, first 2 shown]
	s_waitcnt vmcnt(0) lgkmcnt(0)
	v_pk_mov_b32 v[2:3], v[20:21], v[20:21] op_sel:[0,1]
.LBB218_9:
	s_or_b64 exec, exec, s[8:9]
	v_or_b32_e32 v1, 0x80, v0
	v_cmp_gt_u32_e32 vcc, s30, v1
	s_and_saveexec_b64 s[4:5], vcc
	s_cbranch_execz .LBB218_11
; %bb.10:
	v_mov_b32_e32 v1, s7
	v_add_co_u32_e32 v4, vcc, s6, v36
	v_addc_co_u32_e32 v5, vcc, 0, v1, vcc
	flat_load_dwordx2 v[6:7], v[4:5] offset:1024
.LBB218_11:
	s_or_b64 exec, exec, s[4:5]
	v_or_b32_e32 v1, 0x100, v0
	v_cmp_gt_u32_e32 vcc, s30, v1
	s_and_saveexec_b64 s[4:5], vcc
	s_cbranch_execz .LBB218_13
; %bb.12:
	v_mov_b32_e32 v1, s7
	v_add_co_u32_e32 v4, vcc, s6, v36
	v_addc_co_u32_e32 v5, vcc, 0, v1, vcc
	flat_load_dwordx2 v[8:9], v[4:5] offset:2048
.LBB218_13:
	;; [unrolled: 11-line block ×3, first 2 shown]
	s_or_b64 exec, exec, s[4:5]
	v_or_b32_e32 v1, 0x200, v0
	v_cmp_gt_u32_e32 vcc, s30, v1
	s_and_saveexec_b64 s[4:5], vcc
	s_cbranch_execz .LBB218_17
; %bb.16:
	v_lshlrev_b32_e32 v1, 3, v1
	v_mov_b32_e32 v5, s7
	v_add_co_u32_e32 v4, vcc, s6, v1
	v_addc_co_u32_e32 v5, vcc, 0, v5, vcc
	flat_load_dwordx2 v[12:13], v[4:5]
.LBB218_17:
	s_or_b64 exec, exec, s[4:5]
	v_or_b32_e32 v1, 0x280, v0
	v_cmp_gt_u32_e32 vcc, s30, v1
	s_and_saveexec_b64 s[4:5], vcc
	s_cbranch_execz .LBB218_19
; %bb.18:
	v_lshlrev_b32_e32 v1, 3, v1
	v_mov_b32_e32 v5, s7
	v_add_co_u32_e32 v4, vcc, s6, v1
	v_addc_co_u32_e32 v5, vcc, 0, v5, vcc
	flat_load_dwordx2 v[14:15], v[4:5]
.LBB218_19:
	;; [unrolled: 12-line block ×3, first 2 shown]
	s_or_b64 exec, exec, s[4:5]
	s_waitcnt vmcnt(0) lgkmcnt(0)
	ds_write2st64_b64 v36, v[2:3], v[6:7] offset1:2
	ds_write2st64_b64 v36, v[8:9], v[10:11] offset0:4 offset1:6
	ds_write2st64_b64 v36, v[12:13], v[14:15] offset0:8 offset1:10
	ds_write_b64 v36, v[16:17] offset:6144
	s_waitcnt lgkmcnt(0)
	s_barrier
.LBB218_22:
	v_mul_u32_u24_e32 v37, 7, v0
	v_lshlrev_b32_e32 v1, 3, v37
	ds_read2_b64 v[2:5], v1 offset1:1
	ds_read2_b64 v[10:13], v1 offset0:2 offset1:3
	ds_read2_b64 v[6:9], v1 offset0:4 offset1:5
	ds_read_b64 v[28:29], v1 offset:48
	s_cmp_lg_u32 s33, 0
	v_lshrrev_b32_e32 v38, 5, v0
	v_cmp_gt_u32_e32 vcc, 64, v0
	s_waitcnt lgkmcnt(0)
	s_barrier
	s_cbranch_scc0 .LBB218_53
; %bb.23:
	v_add_co_u32_e64 v1, s[4:5], v4, v2
	v_addc_co_u32_e64 v14, s[4:5], v5, v3, s[4:5]
	v_add_co_u32_e64 v1, s[4:5], v1, v10
	v_addc_co_u32_e64 v14, s[4:5], v14, v11, s[4:5]
	;; [unrolled: 2-line block ×6, first 2 shown]
	v_add_lshl_u32 v1, v38, v0, 3
	ds_write_b64 v1, v[18:19]
	s_waitcnt lgkmcnt(0)
	s_barrier
	s_and_saveexec_b64 s[8:9], vcc
	s_cbranch_execz .LBB218_27
; %bb.24:
	v_lshlrev_b32_e32 v1, 1, v0
	v_lshrrev_b32_e32 v14, 4, v0
	v_add_lshl_u32 v20, v14, v1, 3
	ds_read2_b64 v[14:17], v20 offset1:1
	v_mbcnt_lo_u32_b32 v1, -1, 0
	s_waitcnt lgkmcnt(0)
	v_add_co_u32_e64 v21, s[4:5], v16, v14
	v_addc_co_u32_e64 v22, s[4:5], v17, v15, s[4:5]
	s_nop 0
	v_mov_b32_dpp v16, v21 row_shr:1 row_mask:0xf bank_mask:0xf
	v_add_co_u32_e64 v16, s[4:5], v21, v16
	v_addc_co_u32_e64 v24, s[4:5], 0, v22, s[4:5]
	v_mbcnt_hi_u32_b32 v17, -1, v1
	v_mov_b32_dpp v23, v22 row_shr:1 row_mask:0xf bank_mask:0xf
	v_add_co_u32_e64 v25, s[4:5], 0, v16
	v_and_b32_e32 v1, 15, v17
	v_addc_co_u32_e64 v23, s[4:5], v23, v24, s[4:5]
	v_cmp_eq_u32_e64 s[4:5], 0, v1
	v_cndmask_b32_e64 v16, v16, v21, s[4:5]
	v_cndmask_b32_e64 v23, v23, v22, s[4:5]
	v_cndmask_b32_e64 v24, v25, v21, s[4:5]
	v_mov_b32_dpp v25, v16 row_shr:2 row_mask:0xf bank_mask:0xf
	v_mov_b32_dpp v26, v23 row_shr:2 row_mask:0xf bank_mask:0xf
	v_add_co_u32_e64 v25, s[4:5], v25, v24
	v_addc_co_u32_e64 v26, s[4:5], v26, v23, s[4:5]
	v_cmp_lt_u32_e64 s[4:5], 1, v1
	v_cndmask_b32_e64 v16, v16, v25, s[4:5]
	v_cndmask_b32_e64 v23, v23, v26, s[4:5]
	v_cndmask_b32_e64 v24, v24, v25, s[4:5]
	v_mov_b32_dpp v25, v16 row_shr:4 row_mask:0xf bank_mask:0xf
	v_mov_b32_dpp v26, v23 row_shr:4 row_mask:0xf bank_mask:0xf
	v_add_co_u32_e64 v25, s[4:5], v25, v24
	v_addc_co_u32_e64 v26, s[4:5], v26, v23, s[4:5]
	v_cmp_lt_u32_e64 s[4:5], 3, v1
	;; [unrolled: 8-line block ×3, first 2 shown]
	v_cndmask_b32_e64 v27, v16, v25, s[4:5]
	v_cndmask_b32_e64 v1, v23, v26, s[4:5]
	;; [unrolled: 1-line block ×3, first 2 shown]
	v_mov_b32_dpp v23, v27 row_bcast:15 row_mask:0xf bank_mask:0xf
	v_mov_b32_dpp v24, v1 row_bcast:15 row_mask:0xf bank_mask:0xf
	v_add_co_u32_e64 v23, s[4:5], v23, v16
	v_and_b32_e32 v26, 16, v17
	v_addc_co_u32_e64 v25, s[4:5], v24, v1, s[4:5]
	v_cmp_eq_u32_e64 s[4:5], 0, v26
	v_cndmask_b32_e64 v26, v25, v1, s[4:5]
	v_cndmask_b32_e64 v24, v23, v27, s[4:5]
	v_cmp_ne_u32_e64 s[6:7], 0, v17
	v_mov_b32_dpp v26, v26 row_bcast:31 row_mask:0xf bank_mask:0xf
	v_mov_b32_dpp v24, v24 row_bcast:31 row_mask:0xf bank_mask:0xf
	s_and_saveexec_b64 s[28:29], s[6:7]
; %bb.25:
	v_cndmask_b32_e64 v1, v25, v1, s[4:5]
	v_cndmask_b32_e64 v16, v23, v16, s[4:5]
	v_cmp_lt_u32_e64 s[4:5], 31, v17
	v_cndmask_b32_e64 v21, 0, v24, s[4:5]
	v_cndmask_b32_e64 v22, 0, v26, s[4:5]
	v_add_co_u32_e64 v21, s[4:5], v21, v16
	v_addc_co_u32_e64 v22, s[4:5], v22, v1, s[4:5]
; %bb.26:
	s_or_b64 exec, exec, s[28:29]
	v_add_u32_e32 v1, -1, v17
	v_and_b32_e32 v16, 64, v17
	v_cmp_lt_i32_e64 s[4:5], v1, v16
	v_cndmask_b32_e64 v1, v1, v17, s[4:5]
	v_lshlrev_b32_e32 v1, 2, v1
	ds_bpermute_b32 v16, v1, v21
	ds_bpermute_b32 v1, v1, v22
	; wave barrier
	s_waitcnt lgkmcnt(1)
	v_add_co_u32_e64 v14, s[4:5], v14, v16
	v_addc_co_u32_e64 v15, s[4:5], 0, v15, s[4:5]
	v_add_co_u32_e64 v14, s[4:5], 0, v14
	s_waitcnt lgkmcnt(0)
	v_addc_co_u32_e64 v1, s[4:5], v15, v1, s[4:5]
	v_cndmask_b32_e64 v15, v1, v19, s[2:3]
	v_cndmask_b32_e64 v14, v14, v18, s[2:3]
	ds_write_b64 v20, v[14:15]
	; wave barrier
	ds_read_b64 v[16:17], v20 offset:8
	s_waitcnt lgkmcnt(0)
	v_add_co_u32_e64 v14, s[4:5], v16, v14
	v_addc_co_u32_e64 v15, s[4:5], v17, v15, s[4:5]
	ds_write_b64 v20, v[14:15] offset:8
.LBB218_27:
	s_or_b64 exec, exec, s[8:9]
	v_pk_mov_b32 v[22:23], 0, 0
	s_waitcnt lgkmcnt(0)
	s_barrier
	s_and_saveexec_b64 s[4:5], s[0:1]
	s_cbranch_execz .LBB218_29
; %bb.28:
	v_add_u32_e32 v1, -1, v0
	v_lshrrev_b32_e32 v14, 5, v1
	v_add_lshl_u32 v1, v14, v1, 3
	ds_read_b64 v[22:23], v1
.LBB218_29:
	s_or_b64 exec, exec, s[4:5]
	s_and_saveexec_b64 s[28:29], vcc
	s_cbranch_execz .LBB218_52
; %bb.30:
	v_mov_b32_e32 v17, 0
	ds_read_b64 v[14:15], v17 offset:1040
	v_mbcnt_lo_u32_b32 v1, -1, 0
	v_mbcnt_hi_u32_b32 v30, -1, v1
	s_mov_b32 s9, 0
	v_cmp_eq_u32_e64 s[4:5], 0, v30
	s_and_saveexec_b64 s[6:7], s[4:5]
	s_cbranch_execz .LBB218_32
; %bb.31:
	s_add_i32 s8, s33, 64
	s_lshl_b64 s[8:9], s[8:9], 4
	s_add_u32 s8, s10, s8
	s_addc_u32 s9, s11, s9
	v_mov_b32_e32 v16, 1
	v_pk_mov_b32 v[18:19], s[8:9], s[8:9] op_sel:[0,1]
	s_waitcnt lgkmcnt(0)
	;;#ASMSTART
	global_store_dwordx4 v[18:19], v[14:17] off	
s_waitcnt vmcnt(0)
	;;#ASMEND
.LBB218_32:
	s_or_b64 exec, exec, s[6:7]
	v_xad_u32 v24, v30, -1, s33
	v_add_u32_e32 v16, 64, v24
	v_lshlrev_b64 v[18:19], 4, v[16:17]
	v_mov_b32_e32 v1, s11
	v_add_co_u32_e32 v26, vcc, s10, v18
	v_addc_co_u32_e32 v27, vcc, v1, v19, vcc
	;;#ASMSTART
	global_load_dwordx4 v[18:21], v[26:27] off glc	
s_waitcnt vmcnt(0)
	;;#ASMEND
	v_and_b32_e32 v1, 0xff, v19
	v_and_b32_e32 v16, 0xff00, v19
	v_or3_b32 v1, 0, v1, v16
	v_or3_b32 v16, v18, 0, 0
	v_and_b32_e32 v18, 0xff000000, v19
	v_and_b32_e32 v19, 0xff0000, v19
	v_or3_b32 v19, v1, v19, v18
	v_or3_b32 v18, v16, 0, 0
	v_cmp_eq_u16_sdwa s[8:9], v20, v17 src0_sel:BYTE_0 src1_sel:DWORD
	s_and_saveexec_b64 s[6:7], s[8:9]
	s_cbranch_execz .LBB218_38
; %bb.33:
	s_mov_b32 s34, 1
	s_mov_b64 s[8:9], 0
	v_mov_b32_e32 v1, 0
.LBB218_34:                             ; =>This Loop Header: Depth=1
                                        ;     Child Loop BB218_35 Depth 2
	s_max_u32 s35, s34, 1
.LBB218_35:                             ;   Parent Loop BB218_34 Depth=1
                                        ; =>  This Inner Loop Header: Depth=2
	s_add_i32 s35, s35, -1
	s_cmp_eq_u32 s35, 0
	s_sleep 1
	s_cbranch_scc0 .LBB218_35
; %bb.36:                               ;   in Loop: Header=BB218_34 Depth=1
	s_cmp_lt_u32 s34, 32
	s_cselect_b64 s[36:37], -1, 0
	s_cmp_lg_u64 s[36:37], 0
	s_addc_u32 s34, s34, 0
	;;#ASMSTART
	global_load_dwordx4 v[18:21], v[26:27] off glc	
s_waitcnt vmcnt(0)
	;;#ASMEND
	v_cmp_ne_u16_sdwa s[36:37], v20, v1 src0_sel:BYTE_0 src1_sel:DWORD
	s_or_b64 s[8:9], s[36:37], s[8:9]
	s_andn2_b64 exec, exec, s[8:9]
	s_cbranch_execnz .LBB218_34
; %bb.37:
	s_or_b64 exec, exec, s[8:9]
.LBB218_38:
	s_or_b64 exec, exec, s[6:7]
	v_and_b32_e32 v32, 63, v30
	v_cmp_ne_u32_e32 vcc, 63, v32
	v_addc_co_u32_e32 v26, vcc, 0, v30, vcc
	v_lshlrev_b32_e32 v33, 2, v26
	ds_bpermute_b32 v26, v33, v18
	v_mov_b32_e32 v1, 2
	v_cmp_eq_u16_sdwa s[6:7], v20, v1 src0_sel:BYTE_0 src1_sel:DWORD
	v_lshlrev_b64 v[16:17], v30, -1
	ds_bpermute_b32 v27, v33, v19
	v_and_b32_e32 v21, s7, v17
	v_or_b32_e32 v21, 0x80000000, v21
	s_waitcnt lgkmcnt(1)
	v_add_co_u32_e32 v26, vcc, v18, v26
	v_and_b32_e32 v25, s6, v16
	v_ffbl_b32_e32 v21, v21
	v_addc_co_u32_e32 v31, vcc, 0, v19, vcc
	v_add_u32_e32 v21, 32, v21
	v_ffbl_b32_e32 v25, v25
	v_add_co_u32_e32 v35, vcc, 0, v26
	v_cmp_gt_u32_e64 s[6:7], 62, v32
	v_min_u32_e32 v21, v25, v21
	s_waitcnt lgkmcnt(0)
	v_addc_co_u32_e32 v27, vcc, v27, v31, vcc
	v_cndmask_b32_e64 v31, 0, 1, s[6:7]
	v_cmp_lt_u32_e32 vcc, v32, v21
	v_lshlrev_b32_e32 v31, 1, v31
	v_cndmask_b32_e32 v26, v18, v26, vcc
	v_add_lshl_u32 v34, v31, v30, 2
	v_cndmask_b32_e32 v27, v19, v27, vcc
	ds_bpermute_b32 v31, v34, v26
	ds_bpermute_b32 v39, v34, v27
	v_cndmask_b32_e32 v40, v18, v35, vcc
	v_add_u32_e32 v35, 2, v32
	v_cmp_gt_u32_e64 s[8:9], 60, v32
	s_waitcnt lgkmcnt(1)
	v_add_co_u32_e64 v31, s[6:7], v31, v40
	s_waitcnt lgkmcnt(0)
	v_addc_co_u32_e64 v39, s[6:7], v39, v27, s[6:7]
	v_cmp_gt_u32_e64 s[6:7], v35, v21
	v_cndmask_b32_e64 v27, v39, v27, s[6:7]
	v_cndmask_b32_e64 v39, 0, 1, s[8:9]
	v_lshlrev_b32_e32 v39, 2, v39
	v_cndmask_b32_e64 v26, v31, v26, s[6:7]
	v_add_lshl_u32 v39, v39, v30, 2
	ds_bpermute_b32 v41, v39, v26
	ds_bpermute_b32 v42, v39, v27
	v_cndmask_b32_e64 v31, v31, v40, s[6:7]
	v_add_u32_e32 v40, 4, v32
	v_cmp_gt_u32_e64 s[8:9], 56, v32
	s_waitcnt lgkmcnt(1)
	v_add_co_u32_e64 v43, s[6:7], v41, v31
	s_waitcnt lgkmcnt(0)
	v_addc_co_u32_e64 v41, s[6:7], v42, v27, s[6:7]
	v_cmp_gt_u32_e64 s[6:7], v40, v21
	v_cndmask_b32_e64 v27, v41, v27, s[6:7]
	v_cndmask_b32_e64 v41, 0, 1, s[8:9]
	v_lshlrev_b32_e32 v41, 3, v41
	v_cndmask_b32_e64 v26, v43, v26, s[6:7]
	v_add_lshl_u32 v41, v41, v30, 2
	ds_bpermute_b32 v44, v41, v26
	v_cndmask_b32_e64 v31, v43, v31, s[6:7]
	ds_bpermute_b32 v43, v41, v27
	v_add_u32_e32 v42, 8, v32
	v_cmp_gt_u32_e64 s[8:9], 48, v32
	s_waitcnt lgkmcnt(1)
	v_add_co_u32_e64 v44, s[6:7], v44, v31
	s_waitcnt lgkmcnt(0)
	v_addc_co_u32_e64 v43, s[6:7], v43, v27, s[6:7]
	v_cmp_gt_u32_e64 s[6:7], v42, v21
	v_cndmask_b32_e64 v27, v43, v27, s[6:7]
	v_cndmask_b32_e64 v43, 0, 1, s[8:9]
	v_lshlrev_b32_e32 v43, 4, v43
	v_cndmask_b32_e64 v26, v44, v26, s[6:7]
	v_add_lshl_u32 v43, v43, v30, 2
	ds_bpermute_b32 v45, v43, v26
	ds_bpermute_b32 v46, v43, v27
	v_cndmask_b32_e64 v31, v44, v31, s[6:7]
	v_cmp_gt_u32_e64 s[8:9], 32, v32
	v_add_u32_e32 v44, 16, v32
	s_waitcnt lgkmcnt(1)
	v_add_co_u32_e64 v47, s[6:7], v45, v31
	s_waitcnt lgkmcnt(0)
	v_addc_co_u32_e64 v46, s[6:7], v46, v27, s[6:7]
	v_cndmask_b32_e64 v45, 0, 1, s[8:9]
	v_cmp_gt_u32_e64 s[6:7], v44, v21
	v_lshlrev_b32_e32 v45, 5, v45
	v_cndmask_b32_e64 v26, v47, v26, s[6:7]
	v_add_lshl_u32 v45, v45, v30, 2
	v_cndmask_b32_e64 v27, v46, v27, s[6:7]
	ds_bpermute_b32 v26, v45, v26
	ds_bpermute_b32 v30, v45, v27
	v_add_u32_e32 v46, 32, v32
	v_cndmask_b32_e64 v31, v47, v31, s[6:7]
	v_cmp_le_u32_e64 s[6:7], v46, v21
	s_waitcnt lgkmcnt(1)
	v_cndmask_b32_e64 v26, 0, v26, s[6:7]
	s_waitcnt lgkmcnt(0)
	v_cndmask_b32_e64 v21, 0, v30, s[6:7]
	v_add_co_u32_e64 v26, s[6:7], v26, v31
	v_addc_co_u32_e64 v21, s[6:7], v21, v27, s[6:7]
	v_mov_b32_e32 v25, 0
	v_cndmask_b32_e32 v19, v19, v21, vcc
	v_cndmask_b32_e32 v18, v18, v26, vcc
	s_branch .LBB218_40
.LBB218_39:                             ;   in Loop: Header=BB218_40 Depth=1
	s_or_b64 exec, exec, s[6:7]
	v_cmp_eq_u16_sdwa s[6:7], v20, v1 src0_sel:BYTE_0 src1_sel:DWORD
	v_and_b32_e32 v21, s7, v17
	v_or_b32_e32 v21, 0x80000000, v21
	ds_bpermute_b32 v31, v33, v18
	v_and_b32_e32 v30, s6, v16
	v_ffbl_b32_e32 v21, v21
	v_add_u32_e32 v21, 32, v21
	v_ffbl_b32_e32 v30, v30
	v_min_u32_e32 v21, v30, v21
	ds_bpermute_b32 v30, v33, v19
	s_waitcnt lgkmcnt(1)
	v_add_co_u32_e32 v31, vcc, v18, v31
	v_addc_co_u32_e32 v47, vcc, 0, v19, vcc
	v_add_co_u32_e32 v48, vcc, 0, v31
	s_waitcnt lgkmcnt(0)
	v_addc_co_u32_e32 v30, vcc, v30, v47, vcc
	v_cmp_lt_u32_e32 vcc, v32, v21
	v_cndmask_b32_e32 v31, v18, v31, vcc
	ds_bpermute_b32 v47, v34, v31
	v_cndmask_b32_e32 v30, v19, v30, vcc
	ds_bpermute_b32 v49, v34, v30
	v_cndmask_b32_e32 v48, v18, v48, vcc
	v_subrev_u32_e32 v24, 64, v24
	s_waitcnt lgkmcnt(1)
	v_add_co_u32_e64 v47, s[6:7], v47, v48
	s_waitcnt lgkmcnt(0)
	v_addc_co_u32_e64 v49, s[6:7], v49, v30, s[6:7]
	v_cmp_gt_u32_e64 s[6:7], v35, v21
	v_cndmask_b32_e64 v31, v47, v31, s[6:7]
	ds_bpermute_b32 v50, v39, v31
	v_cndmask_b32_e64 v30, v49, v30, s[6:7]
	ds_bpermute_b32 v49, v39, v30
	v_cndmask_b32_e64 v47, v47, v48, s[6:7]
	s_waitcnt lgkmcnt(1)
	v_add_co_u32_e64 v48, s[6:7], v50, v47
	s_waitcnt lgkmcnt(0)
	v_addc_co_u32_e64 v49, s[6:7], v49, v30, s[6:7]
	v_cmp_gt_u32_e64 s[6:7], v40, v21
	v_cndmask_b32_e64 v31, v48, v31, s[6:7]
	ds_bpermute_b32 v50, v41, v31
	v_cndmask_b32_e64 v30, v49, v30, s[6:7]
	ds_bpermute_b32 v49, v41, v30
	v_cndmask_b32_e64 v47, v48, v47, s[6:7]
	;; [unrolled: 10-line block ×3, first 2 shown]
	s_waitcnt lgkmcnt(1)
	v_add_co_u32_e64 v48, s[6:7], v50, v47
	s_waitcnt lgkmcnt(0)
	v_addc_co_u32_e64 v49, s[6:7], v49, v30, s[6:7]
	v_cmp_gt_u32_e64 s[6:7], v44, v21
	v_cndmask_b32_e64 v31, v48, v31, s[6:7]
	v_cndmask_b32_e64 v30, v49, v30, s[6:7]
	ds_bpermute_b32 v31, v45, v31
	ds_bpermute_b32 v49, v45, v30
	v_cndmask_b32_e64 v47, v48, v47, s[6:7]
	v_cmp_le_u32_e64 s[6:7], v46, v21
	s_waitcnt lgkmcnt(1)
	v_cndmask_b32_e64 v31, 0, v31, s[6:7]
	s_waitcnt lgkmcnt(0)
	v_cndmask_b32_e64 v21, 0, v49, s[6:7]
	v_add_co_u32_e64 v31, s[6:7], v31, v47
	v_addc_co_u32_e64 v21, s[6:7], v21, v30, s[6:7]
	v_cndmask_b32_e32 v18, v18, v31, vcc
	v_cndmask_b32_e32 v19, v19, v21, vcc
	v_add_co_u32_e32 v18, vcc, v18, v26
	v_addc_co_u32_e32 v19, vcc, v19, v27, vcc
.LBB218_40:                             ; =>This Loop Header: Depth=1
                                        ;     Child Loop BB218_43 Depth 2
                                        ;       Child Loop BB218_44 Depth 3
	v_cmp_ne_u16_sdwa s[6:7], v20, v1 src0_sel:BYTE_0 src1_sel:DWORD
	v_cndmask_b32_e64 v20, 0, 1, s[6:7]
	;;#ASMSTART
	;;#ASMEND
	v_cmp_ne_u32_e32 vcc, 0, v20
	s_cmp_lg_u64 vcc, exec
	v_pk_mov_b32 v[26:27], v[18:19], v[18:19] op_sel:[0,1]
	s_cbranch_scc1 .LBB218_47
; %bb.41:                               ;   in Loop: Header=BB218_40 Depth=1
	v_lshlrev_b64 v[18:19], 4, v[24:25]
	v_mov_b32_e32 v20, s11
	v_add_co_u32_e32 v30, vcc, s10, v18
	v_addc_co_u32_e32 v31, vcc, v20, v19, vcc
	;;#ASMSTART
	global_load_dwordx4 v[18:21], v[30:31] off glc	
s_waitcnt vmcnt(0)
	;;#ASMEND
	v_and_b32_e32 v21, 0xff, v19
	v_and_b32_e32 v47, 0xff00, v19
	v_or3_b32 v21, 0, v21, v47
	v_or3_b32 v18, v18, 0, 0
	v_and_b32_e32 v47, 0xff000000, v19
	v_and_b32_e32 v19, 0xff0000, v19
	v_or3_b32 v19, v21, v19, v47
	v_or3_b32 v18, v18, 0, 0
	v_cmp_eq_u16_sdwa s[8:9], v20, v25 src0_sel:BYTE_0 src1_sel:DWORD
	s_and_saveexec_b64 s[6:7], s[8:9]
	s_cbranch_execz .LBB218_39
; %bb.42:                               ;   in Loop: Header=BB218_40 Depth=1
	s_mov_b32 s34, 1
	s_mov_b64 s[8:9], 0
.LBB218_43:                             ;   Parent Loop BB218_40 Depth=1
                                        ; =>  This Loop Header: Depth=2
                                        ;       Child Loop BB218_44 Depth 3
	s_max_u32 s35, s34, 1
.LBB218_44:                             ;   Parent Loop BB218_40 Depth=1
                                        ;     Parent Loop BB218_43 Depth=2
                                        ; =>    This Inner Loop Header: Depth=3
	s_add_i32 s35, s35, -1
	s_cmp_eq_u32 s35, 0
	s_sleep 1
	s_cbranch_scc0 .LBB218_44
; %bb.45:                               ;   in Loop: Header=BB218_43 Depth=2
	s_cmp_lt_u32 s34, 32
	s_cselect_b64 s[36:37], -1, 0
	s_cmp_lg_u64 s[36:37], 0
	s_addc_u32 s34, s34, 0
	;;#ASMSTART
	global_load_dwordx4 v[18:21], v[30:31] off glc	
s_waitcnt vmcnt(0)
	;;#ASMEND
	v_cmp_ne_u16_sdwa s[36:37], v20, v25 src0_sel:BYTE_0 src1_sel:DWORD
	s_or_b64 s[8:9], s[36:37], s[8:9]
	s_andn2_b64 exec, exec, s[8:9]
	s_cbranch_execnz .LBB218_43
; %bb.46:                               ;   in Loop: Header=BB218_40 Depth=1
	s_or_b64 exec, exec, s[8:9]
	s_branch .LBB218_39
.LBB218_47:                             ;   in Loop: Header=BB218_40 Depth=1
                                        ; implicit-def: $vgpr18_vgpr19
                                        ; implicit-def: $vgpr20
	s_cbranch_execz .LBB218_40
; %bb.48:
	s_and_saveexec_b64 s[6:7], s[4:5]
	s_cbranch_execz .LBB218_50
; %bb.49:
	s_add_i32 s4, s33, 64
	s_mov_b32 s5, 0
	s_lshl_b64 s[4:5], s[4:5], 4
	s_add_u32 s4, s10, s4
	v_add_co_u32_e32 v14, vcc, v26, v14
	s_addc_u32 s5, s11, s5
	v_addc_co_u32_e32 v15, vcc, v27, v15, vcc
	v_mov_b32_e32 v16, 2
	v_mov_b32_e32 v17, 0
	v_pk_mov_b32 v[18:19], s[4:5], s[4:5] op_sel:[0,1]
	;;#ASMSTART
	global_store_dwordx4 v[18:19], v[14:17] off	
s_waitcnt vmcnt(0)
	;;#ASMEND
.LBB218_50:
	s_or_b64 exec, exec, s[6:7]
	s_and_b64 exec, exec, s[2:3]
	s_cbranch_execz .LBB218_52
; %bb.51:
	v_mov_b32_e32 v1, 0
	ds_write_b64 v1, v[26:27]
.LBB218_52:
	s_or_b64 exec, exec, s[28:29]
	v_mov_b32_e32 v1, 0
	s_waitcnt lgkmcnt(0)
	s_barrier
	ds_read_b64 v[14:15], v1
	v_add_co_u32_e32 v1, vcc, v22, v2
	v_addc_co_u32_e32 v16, vcc, v23, v3, vcc
	s_waitcnt lgkmcnt(0)
	v_add_co_u32_e32 v24, vcc, v1, v14
	v_addc_co_u32_e32 v25, vcc, v16, v15, vcc
	v_add_co_u32_e32 v30, vcc, v24, v4
	v_addc_co_u32_e32 v31, vcc, v25, v5, vcc
	;; [unrolled: 2-line block ×7, first 2 shown]
	s_branch .LBB218_67
.LBB218_53:
                                        ; implicit-def: $vgpr22_vgpr23
                                        ; implicit-def: $vgpr34_vgpr35
                                        ; implicit-def: $vgpr32_vgpr33
                                        ; implicit-def: $vgpr30_vgpr31
                                        ; implicit-def: $vgpr18_vgpr19_vgpr20_vgpr21
                                        ; implicit-def: $vgpr14_vgpr15_vgpr16_vgpr17
                                        ; implicit-def: $vgpr24_vgpr25_vgpr26_vgpr27
	s_cbranch_execz .LBB218_67
; %bb.54:
	s_cmp_lg_u64 s[16:17], 0
	s_cselect_b64 s[4:5], -1, 0
	s_and_b64 s[6:7], s[2:3], s[4:5]
	s_and_saveexec_b64 s[4:5], s[6:7]
	s_cbranch_execz .LBB218_56
; %bb.55:
	v_mov_b32_e32 v1, 0
	global_load_dwordx2 v[14:15], v1, s[12:13]
	s_waitcnt vmcnt(0)
	v_add_co_u32_e32 v2, vcc, v14, v2
	v_addc_co_u32_e32 v3, vcc, v15, v3, vcc
.LBB218_56:
	s_or_b64 exec, exec, s[4:5]
	v_add_co_u32_e32 v30, vcc, v4, v2
	v_addc_co_u32_e32 v31, vcc, v5, v3, vcc
	v_add_co_u32_e32 v14, vcc, v30, v10
	v_addc_co_u32_e32 v15, vcc, v31, v11, vcc
	;; [unrolled: 2-line block ×6, first 2 shown]
	v_add_lshl_u32 v1, v38, v0, 3
	v_cmp_gt_u32_e32 vcc, 64, v0
	ds_write_b64 v1, v[22:23]
	s_waitcnt lgkmcnt(0)
	s_barrier
	s_and_saveexec_b64 s[6:7], vcc
	s_cbranch_execz .LBB218_60
; %bb.57:
	v_lshlrev_b32_e32 v1, 1, v0
	v_lshrrev_b32_e32 v16, 4, v0
	v_add_lshl_u32 v17, v16, v1, 3
	ds_read2_b64 v[24:27], v17 offset1:1
	v_mbcnt_lo_u32_b32 v1, -1, 0
	v_mbcnt_hi_u32_b32 v20, -1, v1
	v_and_b32_e32 v1, 15, v20
	v_cmp_ne_u32_e64 s[4:5], 0, v20
	s_waitcnt lgkmcnt(0)
	v_add_co_u32_e32 v21, vcc, v26, v24
	v_addc_co_u32_e32 v26, vcc, v27, v25, vcc
	s_nop 0
	v_mov_b32_dpp v16, v21 row_shr:1 row_mask:0xf bank_mask:0xf
	v_add_co_u32_e32 v16, vcc, v21, v16
	v_addc_co_u32_e32 v38, vcc, 0, v26, vcc
	v_mov_b32_dpp v27, v26 row_shr:1 row_mask:0xf bank_mask:0xf
	v_add_co_u32_e32 v39, vcc, 0, v16
	v_addc_co_u32_e32 v27, vcc, v27, v38, vcc
	v_cmp_eq_u32_e32 vcc, 0, v1
	v_cndmask_b32_e32 v16, v16, v21, vcc
	v_cndmask_b32_e32 v27, v27, v26, vcc
	v_cndmask_b32_e32 v38, v39, v21, vcc
	v_mov_b32_dpp v39, v16 row_shr:2 row_mask:0xf bank_mask:0xf
	v_mov_b32_dpp v40, v27 row_shr:2 row_mask:0xf bank_mask:0xf
	v_add_co_u32_e32 v39, vcc, v39, v38
	v_addc_co_u32_e32 v40, vcc, v40, v27, vcc
	v_cmp_lt_u32_e32 vcc, 1, v1
	v_cndmask_b32_e32 v16, v16, v39, vcc
	v_cndmask_b32_e32 v27, v27, v40, vcc
	v_cndmask_b32_e32 v38, v38, v39, vcc
	v_mov_b32_dpp v39, v16 row_shr:4 row_mask:0xf bank_mask:0xf
	v_mov_b32_dpp v40, v27 row_shr:4 row_mask:0xf bank_mask:0xf
	v_add_co_u32_e32 v39, vcc, v39, v38
	v_addc_co_u32_e32 v40, vcc, v40, v27, vcc
	v_cmp_lt_u32_e32 vcc, 3, v1
	;; [unrolled: 8-line block ×3, first 2 shown]
	v_cndmask_b32_e32 v41, v16, v39, vcc
	v_cndmask_b32_e32 v1, v27, v40, vcc
	;; [unrolled: 1-line block ×3, first 2 shown]
	v_mov_b32_dpp v27, v41 row_bcast:15 row_mask:0xf bank_mask:0xf
	v_mov_b32_dpp v38, v1 row_bcast:15 row_mask:0xf bank_mask:0xf
	v_add_co_u32_e32 v27, vcc, v27, v16
	v_and_b32_e32 v40, 16, v20
	v_addc_co_u32_e32 v39, vcc, v38, v1, vcc
	v_cmp_eq_u32_e32 vcc, 0, v40
	v_cndmask_b32_e32 v40, v39, v1, vcc
	v_cndmask_b32_e32 v38, v27, v41, vcc
	s_nop 0
	v_mov_b32_dpp v40, v40 row_bcast:31 row_mask:0xf bank_mask:0xf
	v_mov_b32_dpp v38, v38 row_bcast:31 row_mask:0xf bank_mask:0xf
	s_and_saveexec_b64 s[8:9], s[4:5]
; %bb.58:
	v_cndmask_b32_e32 v1, v39, v1, vcc
	v_cndmask_b32_e32 v16, v27, v16, vcc
	v_cmp_lt_u32_e32 vcc, 31, v20
	v_cndmask_b32_e32 v21, 0, v38, vcc
	v_cndmask_b32_e32 v26, 0, v40, vcc
	v_add_co_u32_e32 v21, vcc, v21, v16
	v_addc_co_u32_e32 v26, vcc, v26, v1, vcc
; %bb.59:
	s_or_b64 exec, exec, s[8:9]
	v_add_u32_e32 v1, -1, v20
	v_and_b32_e32 v16, 64, v20
	v_cmp_lt_i32_e32 vcc, v1, v16
	v_cndmask_b32_e32 v1, v1, v20, vcc
	v_lshlrev_b32_e32 v1, 2, v1
	ds_bpermute_b32 v16, v1, v21
	ds_bpermute_b32 v1, v1, v26
	; wave barrier
	s_waitcnt lgkmcnt(1)
	v_add_co_u32_e32 v16, vcc, v24, v16
	v_addc_co_u32_e32 v20, vcc, 0, v25, vcc
	v_add_co_u32_e32 v16, vcc, 0, v16
	s_waitcnt lgkmcnt(0)
	v_addc_co_u32_e32 v1, vcc, v20, v1, vcc
	v_cndmask_b32_e64 v21, v1, v23, s[2:3]
	v_cndmask_b32_e64 v20, v16, v22, s[2:3]
	ds_write_b64 v17, v[20:21]
	; wave barrier
	ds_read_b64 v[24:25], v17 offset:8
	s_waitcnt lgkmcnt(0)
	v_add_co_u32_e32 v20, vcc, v24, v20
	v_addc_co_u32_e32 v21, vcc, v25, v21, vcc
	ds_write_b64 v17, v[20:21] offset:8
.LBB218_60:
	s_or_b64 exec, exec, s[6:7]
	v_pk_mov_b32 v[16:17], v[22:23], v[22:23] op_sel:[0,1]
	s_waitcnt lgkmcnt(0)
	s_barrier
	s_and_saveexec_b64 s[2:3], s[0:1]
	s_cbranch_execz .LBB218_62
; %bb.61:
	v_add_u32_e32 v1, -1, v0
	v_lshrrev_b32_e32 v16, 5, v1
	v_add_lshl_u32 v1, v16, v1, 3
	ds_read_b64 v[16:17], v1
.LBB218_62:
	s_or_b64 exec, exec, s[2:3]
	s_and_saveexec_b64 s[2:3], s[0:1]
	s_cbranch_execz .LBB218_64
; %bb.63:
	s_waitcnt lgkmcnt(0)
	v_add_co_u32_e32 v2, vcc, v16, v2
	v_addc_co_u32_e32 v3, vcc, v17, v3, vcc
	v_add_co_u32_e32 v30, vcc, v2, v4
	v_addc_co_u32_e32 v31, vcc, v3, v5, vcc
	;; [unrolled: 2-line block ×7, first 2 shown]
	;;#ASMSTART
	;;#ASMEND
.LBB218_64:
	s_or_b64 exec, exec, s[2:3]
	s_movk_i32 s0, 0x7f
	v_cmp_eq_u32_e32 vcc, s0, v0
	s_and_saveexec_b64 s[0:1], vcc
	s_cbranch_execz .LBB218_66
; %bb.65:
	s_add_u32 s2, s10, 0x400
	s_addc_u32 s3, s11, 0
	v_mov_b32_e32 v24, 2
	v_mov_b32_e32 v25, 0
	v_pk_mov_b32 v[4:5], s[2:3], s[2:3] op_sel:[0,1]
	;;#ASMSTART
	global_store_dwordx4 v[4:5], v[22:25] off	
s_waitcnt vmcnt(0)
	;;#ASMEND
.LBB218_66:
	s_or_b64 exec, exec, s[0:1]
	v_pk_mov_b32 v[24:25], v[2:3], v[2:3] op_sel:[0,1]
.LBB218_67:
	s_add_u32 s0, s24, s22
	s_addc_u32 s1, s25, s23
	s_add_u32 s2, s0, s26
	s_addc_u32 s3, s1, s27
	s_mov_b64 s[0:1], -1
	s_and_b64 vcc, exec, s[20:21]
	v_mul_u32_u24_e32 v1, 56, v0
	s_waitcnt lgkmcnt(0)
	s_barrier
	s_cbranch_vccz .LBB218_69
; %bb.68:
	v_mul_i32_i24_e32 v2, 0xffffffd0, v0
	v_mad_u32_u24 v16, v0, 56, v2
	ds_write2_b64 v1, v[24:25], v[30:31] offset1:1
	ds_write2_b64 v1, v[14:15], v[32:33] offset0:2 offset1:3
	ds_write2_b64 v1, v[18:19], v[34:35] offset0:4 offset1:5
	ds_write_b64 v1, v[22:23] offset:48
	s_waitcnt lgkmcnt(0)
	s_barrier
	ds_read2st64_b64 v[2:5], v16 offset1:2
	ds_read2st64_b64 v[6:9], v16 offset0:4 offset1:6
	ds_read2st64_b64 v[10:13], v16 offset0:8 offset1:10
	ds_read_b64 v[16:17], v16 offset:6144
	v_mov_b32_e32 v21, s3
	v_add_co_u32_e32 v20, vcc, s2, v36
	v_addc_co_u32_e32 v21, vcc, 0, v21, vcc
	s_waitcnt lgkmcnt(3)
	flat_store_dwordx2 v[20:21], v[2:3]
	flat_store_dwordx2 v[20:21], v[4:5] offset:1024
	s_waitcnt lgkmcnt(0)
	flat_store_dwordx2 v[20:21], v[6:7] offset:2048
	flat_store_dwordx2 v[20:21], v[8:9] offset:3072
	v_add_co_u32_e32 v2, vcc, 0x1000, v20
	v_addc_co_u32_e32 v3, vcc, 0, v21, vcc
	flat_store_dwordx2 v[2:3], v[10:11]
	flat_store_dwordx2 v[2:3], v[12:13] offset:1024
	flat_store_dwordx2 v[2:3], v[16:17] offset:2048
	s_mov_b64 s[0:1], 0
.LBB218_69:
	s_andn2_b64 vcc, exec, s[0:1]
	s_cbranch_vccnz .LBB218_108
; %bb.70:
	v_mul_i32_i24_e32 v2, 0xffffffd0, v0
	ds_write2_b64 v1, v[24:25], v[30:31] offset1:1
	ds_write2_b64 v1, v[14:15], v[32:33] offset0:2 offset1:3
	ds_write2_b64 v1, v[18:19], v[34:35] offset0:4 offset1:5
	ds_write_b64 v1, v[22:23] offset:48
	v_mad_u32_u24 v14, v0, 56, v2
	s_waitcnt lgkmcnt(0)
	s_barrier
	ds_read2st64_b64 v[2:5], v14 offset1:2
	ds_read2st64_b64 v[6:9], v14 offset0:4 offset1:6
	ds_read2st64_b64 v[10:13], v14 offset0:8 offset1:10
	ds_read_b64 v[14:15], v14 offset:6144
	v_mov_b32_e32 v17, s3
	v_add_co_u32_e32 v16, vcc, s2, v36
	v_addc_co_u32_e32 v17, vcc, 0, v17, vcc
	v_mov_b32_e32 v1, 0
	v_cmp_gt_u32_e32 vcc, s30, v0
	s_and_saveexec_b64 s[0:1], vcc
	s_cbranch_execz .LBB218_72
; %bb.71:
	s_waitcnt lgkmcnt(0)
	flat_store_dwordx2 v[16:17], v[2:3]
.LBB218_72:
	s_or_b64 exec, exec, s[0:1]
	v_or_b32_e32 v18, 0x80, v0
	v_cmp_gt_u32_e32 vcc, s30, v18
	s_and_saveexec_b64 s[0:1], vcc
	s_cbranch_execz .LBB218_74
; %bb.73:
	s_waitcnt lgkmcnt(0)
	flat_store_dwordx2 v[16:17], v[4:5] offset:1024
.LBB218_74:
	s_or_b64 exec, exec, s[0:1]
	v_or_b32_e32 v18, 0x100, v0
	v_cmp_gt_u32_e32 vcc, s30, v18
	s_and_saveexec_b64 s[0:1], vcc
	s_cbranch_execz .LBB218_76
; %bb.75:
	s_waitcnt lgkmcnt(0)
	flat_store_dwordx2 v[16:17], v[6:7] offset:2048
.LBB218_76:
	s_or_b64 exec, exec, s[0:1]
	v_or_b32_e32 v18, 0x180, v0
	v_cmp_gt_u32_e32 vcc, s30, v18
	s_and_saveexec_b64 s[0:1], vcc
	s_cbranch_execz .LBB218_78
; %bb.77:
	s_waitcnt lgkmcnt(0)
	flat_store_dwordx2 v[16:17], v[8:9] offset:3072
.LBB218_78:
	s_or_b64 exec, exec, s[0:1]
	v_or_b32_e32 v18, 0x200, v0
	v_cmp_gt_u32_e32 vcc, s30, v18
	s_and_saveexec_b64 s[0:1], vcc
	s_cbranch_execz .LBB218_80
; %bb.79:
	v_add_co_u32_e32 v18, vcc, 0x1000, v16
	v_addc_co_u32_e32 v19, vcc, 0, v17, vcc
	s_waitcnt lgkmcnt(0)
	flat_store_dwordx2 v[18:19], v[10:11]
.LBB218_80:
	s_or_b64 exec, exec, s[0:1]
	v_or_b32_e32 v18, 0x280, v0
	v_cmp_gt_u32_e32 vcc, s30, v18
	s_and_saveexec_b64 s[0:1], vcc
	s_cbranch_execz .LBB218_82
; %bb.81:
	v_add_co_u32_e32 v18, vcc, 0x1000, v16
	v_addc_co_u32_e32 v19, vcc, 0, v17, vcc
	s_waitcnt lgkmcnt(0)
	flat_store_dwordx2 v[18:19], v[12:13] offset:1024
.LBB218_82:
	s_or_b64 exec, exec, s[0:1]
	v_or_b32_e32 v18, 0x300, v0
	v_cmp_gt_u32_e32 vcc, s30, v18
	s_and_saveexec_b64 s[0:1], vcc
	s_cbranch_execz .LBB218_84
; %bb.83:
	v_add_co_u32_e32 v16, vcc, 0x1000, v16
	v_addc_co_u32_e32 v17, vcc, 0, v17, vcc
	s_waitcnt lgkmcnt(0)
	flat_store_dwordx2 v[16:17], v[14:15] offset:2048
.LBB218_84:
	s_or_b64 exec, exec, s[0:1]
	v_cmp_lt_u64_e64 s[0:1], s[18:19], 2
	s_and_b64 vcc, exec, s[0:1]
	s_cbranch_vccnz .LBB218_108
; %bb.85:
	s_add_u32 s0, s30, -1
	s_addc_u32 s1, s31, -1
	s_add_u32 s2, 0, 0x92481000
	s_addc_u32 s3, 0, 0x64
	s_add_i32 s3, s3, 0x249248c0
	s_mul_hi_u32 s7, s2, -7
	s_sub_i32 s7, s7, s2
	s_mul_i32 s8, s3, -7
	s_mul_i32 s4, s2, -7
	s_add_i32 s7, s7, s8
	s_mul_hi_u32 s5, s3, s4
	s_mul_i32 s6, s3, s4
	s_mul_i32 s9, s2, s7
	s_mul_hi_u32 s4, s2, s4
	s_mul_hi_u32 s8, s2, s7
	s_add_u32 s4, s4, s9
	s_addc_u32 s8, 0, s8
	s_add_u32 s4, s4, s6
	s_mul_hi_u32 s9, s3, s7
	s_addc_u32 s4, s8, s5
	s_addc_u32 s5, s9, 0
	s_mul_i32 s6, s3, s7
	s_add_u32 s4, s4, s6
	v_mov_b32_e32 v16, s4
	s_addc_u32 s5, 0, s5
	v_add_co_u32_e32 v16, vcc, s2, v16
	s_cmp_lg_u64 vcc, 0
	s_addc_u32 s2, s3, s5
	v_readfirstlane_b32 s5, v16
	s_mul_i32 s4, s0, s2
	s_mul_hi_u32 s6, s0, s5
	s_mul_hi_u32 s3, s0, s2
	s_add_u32 s4, s6, s4
	s_addc_u32 s3, 0, s3
	s_mul_hi_u32 s7, s1, s5
	s_mul_i32 s5, s1, s5
	s_add_u32 s4, s4, s5
	s_mul_hi_u32 s6, s1, s2
	s_addc_u32 s3, s3, s7
	s_addc_u32 s4, s6, 0
	s_mul_i32 s2, s1, s2
	s_add_u32 s2, s3, s2
	s_addc_u32 s3, 0, s4
	s_add_u32 s4, s2, 1
	s_addc_u32 s5, s3, 0
	s_add_u32 s6, s2, 2
	s_mul_i32 s8, s3, 7
	s_mul_hi_u32 s9, s2, 7
	s_addc_u32 s7, s3, 0
	s_add_i32 s9, s9, s8
	s_mul_i32 s8, s2, 7
	v_mov_b32_e32 v16, s8
	v_sub_co_u32_e32 v16, vcc, s0, v16
	s_cmp_lg_u64 vcc, 0
	s_subb_u32 s8, s1, s9
	v_subrev_co_u32_e32 v17, vcc, 7, v16
	s_cmp_lg_u64 vcc, 0
	s_subb_u32 s9, s8, 0
	v_readfirstlane_b32 s10, v17
	s_cmp_gt_u32 s10, 6
	s_cselect_b32 s10, -1, 0
	s_cmp_eq_u32 s9, 0
	s_cselect_b32 s9, s10, -1
	s_cmp_lg_u32 s9, 0
	s_cselect_b32 s4, s6, s4
	v_readfirstlane_b32 s6, v16
	s_cselect_b32 s5, s7, s5
	s_cmp_gt_u32 s6, 6
	s_cselect_b32 s6, -1, 0
	s_cmp_eq_u32 s8, 0
	s_cselect_b32 s6, s6, -1
	s_cmp_lg_u32 s6, 0
	s_cselect_b32 s3, s5, s3
	s_cselect_b32 s2, s4, s2
	v_cmp_eq_u64_e32 vcc, s[2:3], v[0:1]
	s_and_saveexec_b64 s[2:3], vcc
	s_cbranch_execz .LBB218_108
; %bb.86:
	v_mul_hi_u32_u24_e32 v1, 7, v0
	v_mov_b32_e32 v16, s1
	v_sub_co_u32_e32 v0, vcc, s0, v37
	v_subb_co_u32_e32 v1, vcc, v16, v1, vcc
	v_cmp_lt_i64_e32 vcc, 3, v[0:1]
	s_and_saveexec_b64 s[0:1], vcc
	s_xor_b64 s[0:1], exec, s[0:1]
	s_cbranch_execz .LBB218_96
; %bb.87:
	v_cmp_lt_i64_e32 vcc, 4, v[0:1]
	s_and_saveexec_b64 s[2:3], vcc
	s_xor_b64 s[2:3], exec, s[2:3]
	s_cbranch_execz .LBB218_93
; %bb.88:
	;; [unrolled: 5-line block ×3, first 2 shown]
	v_mov_b32_e32 v0, 0
	s_waitcnt lgkmcnt(0)
	global_store_dwordx2 v0, v[14:15], s[14:15]
                                        ; implicit-def: $vgpr10_vgpr11_vgpr12_vgpr13
.LBB218_90:
	s_andn2_saveexec_b64 s[4:5], s[4:5]
	s_cbranch_execz .LBB218_92
; %bb.91:
	v_mov_b32_e32 v0, 0
	s_waitcnt lgkmcnt(0)
	global_store_dwordx2 v0, v[12:13], s[14:15]
.LBB218_92:
	s_or_b64 exec, exec, s[4:5]
                                        ; implicit-def: $vgpr10_vgpr11_vgpr12_vgpr13
.LBB218_93:
	s_andn2_saveexec_b64 s[2:3], s[2:3]
	s_cbranch_execz .LBB218_95
; %bb.94:
	v_mov_b32_e32 v0, 0
	s_waitcnt lgkmcnt(0)
	global_store_dwordx2 v0, v[10:11], s[14:15]
.LBB218_95:
	s_or_b64 exec, exec, s[2:3]
                                        ; implicit-def: $vgpr0_vgpr1
                                        ; implicit-def: $vgpr2_vgpr3_vgpr4_vgpr5
                                        ; implicit-def: $vgpr6_vgpr7_vgpr8_vgpr9
.LBB218_96:
	s_andn2_saveexec_b64 s[0:1], s[0:1]
	s_cbranch_execz .LBB218_108
; %bb.97:
	v_cmp_lt_i64_e32 vcc, 1, v[0:1]
	s_and_saveexec_b64 s[0:1], vcc
	s_xor_b64 s[0:1], exec, s[0:1]
	s_cbranch_execz .LBB218_103
; %bb.98:
	v_cmp_lt_i64_e32 vcc, 2, v[0:1]
	s_and_saveexec_b64 s[2:3], vcc
	s_xor_b64 s[2:3], exec, s[2:3]
	s_cbranch_execz .LBB218_100
; %bb.99:
	v_mov_b32_e32 v0, 0
	s_waitcnt lgkmcnt(0)
	global_store_dwordx2 v0, v[8:9], s[14:15]
                                        ; implicit-def: $vgpr6_vgpr7_vgpr8_vgpr9
.LBB218_100:
	s_andn2_saveexec_b64 s[2:3], s[2:3]
	s_cbranch_execz .LBB218_102
; %bb.101:
	v_mov_b32_e32 v0, 0
	s_waitcnt lgkmcnt(0)
	global_store_dwordx2 v0, v[6:7], s[14:15]
.LBB218_102:
	s_or_b64 exec, exec, s[2:3]
                                        ; implicit-def: $vgpr2_vgpr3_vgpr4_vgpr5
                                        ; implicit-def: $vgpr0_vgpr1
.LBB218_103:
	s_andn2_saveexec_b64 s[0:1], s[0:1]
	s_cbranch_execz .LBB218_108
; %bb.104:
	v_cmp_ne_u64_e32 vcc, 1, v[0:1]
	s_and_saveexec_b64 s[0:1], vcc
	s_xor_b64 s[0:1], exec, s[0:1]
	s_cbranch_execz .LBB218_106
; %bb.105:
	v_mov_b32_e32 v0, 0
	s_waitcnt lgkmcnt(0)
	global_store_dwordx2 v0, v[2:3], s[14:15]
                                        ; implicit-def: $vgpr2_vgpr3_vgpr4_vgpr5
.LBB218_106:
	s_andn2_saveexec_b64 s[0:1], s[0:1]
	s_cbranch_execz .LBB218_108
; %bb.107:
	v_mov_b32_e32 v0, 0
	s_waitcnt lgkmcnt(0)
	global_store_dwordx2 v0, v[4:5], s[14:15]
.LBB218_108:
	s_endpgm
	.section	.rodata,"a",@progbits
	.p2align	6, 0x0
	.amdhsa_kernel _ZN7rocprim17ROCPRIM_400000_NS6detail17trampoline_kernelINS0_14default_configENS1_20scan_config_selectorIxEEZZNS1_9scan_implILNS1_25lookback_scan_determinismE0ELb0ELb0ES3_N6thrust23THRUST_200600_302600_NS6detail15normal_iteratorINS9_10device_ptrIxEEEESE_xNS9_4plusIxEExEEDaPvRmT3_T4_T5_mT6_P12ihipStream_tbENKUlT_T0_E_clISt17integral_constantIbLb1EESU_EEDaSP_SQ_EUlSP_E_NS1_11comp_targetILNS1_3genE4ELNS1_11target_archE910ELNS1_3gpuE8ELNS1_3repE0EEENS1_30default_config_static_selectorELNS0_4arch9wavefront6targetE1EEEvT1_
		.amdhsa_group_segment_fixed_size 7168
		.amdhsa_private_segment_fixed_size 0
		.amdhsa_kernarg_size 104
		.amdhsa_user_sgpr_count 6
		.amdhsa_user_sgpr_private_segment_buffer 1
		.amdhsa_user_sgpr_dispatch_ptr 0
		.amdhsa_user_sgpr_queue_ptr 0
		.amdhsa_user_sgpr_kernarg_segment_ptr 1
		.amdhsa_user_sgpr_dispatch_id 0
		.amdhsa_user_sgpr_flat_scratch_init 0
		.amdhsa_user_sgpr_kernarg_preload_length 0
		.amdhsa_user_sgpr_kernarg_preload_offset 0
		.amdhsa_user_sgpr_private_segment_size 0
		.amdhsa_uses_dynamic_stack 0
		.amdhsa_system_sgpr_private_segment_wavefront_offset 0
		.amdhsa_system_sgpr_workgroup_id_x 1
		.amdhsa_system_sgpr_workgroup_id_y 0
		.amdhsa_system_sgpr_workgroup_id_z 0
		.amdhsa_system_sgpr_workgroup_info 0
		.amdhsa_system_vgpr_workitem_id 0
		.amdhsa_next_free_vgpr 51
		.amdhsa_next_free_sgpr 38
		.amdhsa_accum_offset 52
		.amdhsa_reserve_vcc 1
		.amdhsa_reserve_flat_scratch 0
		.amdhsa_float_round_mode_32 0
		.amdhsa_float_round_mode_16_64 0
		.amdhsa_float_denorm_mode_32 3
		.amdhsa_float_denorm_mode_16_64 3
		.amdhsa_dx10_clamp 1
		.amdhsa_ieee_mode 1
		.amdhsa_fp16_overflow 0
		.amdhsa_tg_split 0
		.amdhsa_exception_fp_ieee_invalid_op 0
		.amdhsa_exception_fp_denorm_src 0
		.amdhsa_exception_fp_ieee_div_zero 0
		.amdhsa_exception_fp_ieee_overflow 0
		.amdhsa_exception_fp_ieee_underflow 0
		.amdhsa_exception_fp_ieee_inexact 0
		.amdhsa_exception_int_div_zero 0
	.end_amdhsa_kernel
	.section	.text._ZN7rocprim17ROCPRIM_400000_NS6detail17trampoline_kernelINS0_14default_configENS1_20scan_config_selectorIxEEZZNS1_9scan_implILNS1_25lookback_scan_determinismE0ELb0ELb0ES3_N6thrust23THRUST_200600_302600_NS6detail15normal_iteratorINS9_10device_ptrIxEEEESE_xNS9_4plusIxEExEEDaPvRmT3_T4_T5_mT6_P12ihipStream_tbENKUlT_T0_E_clISt17integral_constantIbLb1EESU_EEDaSP_SQ_EUlSP_E_NS1_11comp_targetILNS1_3genE4ELNS1_11target_archE910ELNS1_3gpuE8ELNS1_3repE0EEENS1_30default_config_static_selectorELNS0_4arch9wavefront6targetE1EEEvT1_,"axG",@progbits,_ZN7rocprim17ROCPRIM_400000_NS6detail17trampoline_kernelINS0_14default_configENS1_20scan_config_selectorIxEEZZNS1_9scan_implILNS1_25lookback_scan_determinismE0ELb0ELb0ES3_N6thrust23THRUST_200600_302600_NS6detail15normal_iteratorINS9_10device_ptrIxEEEESE_xNS9_4plusIxEExEEDaPvRmT3_T4_T5_mT6_P12ihipStream_tbENKUlT_T0_E_clISt17integral_constantIbLb1EESU_EEDaSP_SQ_EUlSP_E_NS1_11comp_targetILNS1_3genE4ELNS1_11target_archE910ELNS1_3gpuE8ELNS1_3repE0EEENS1_30default_config_static_selectorELNS0_4arch9wavefront6targetE1EEEvT1_,comdat
.Lfunc_end218:
	.size	_ZN7rocprim17ROCPRIM_400000_NS6detail17trampoline_kernelINS0_14default_configENS1_20scan_config_selectorIxEEZZNS1_9scan_implILNS1_25lookback_scan_determinismE0ELb0ELb0ES3_N6thrust23THRUST_200600_302600_NS6detail15normal_iteratorINS9_10device_ptrIxEEEESE_xNS9_4plusIxEExEEDaPvRmT3_T4_T5_mT6_P12ihipStream_tbENKUlT_T0_E_clISt17integral_constantIbLb1EESU_EEDaSP_SQ_EUlSP_E_NS1_11comp_targetILNS1_3genE4ELNS1_11target_archE910ELNS1_3gpuE8ELNS1_3repE0EEENS1_30default_config_static_selectorELNS0_4arch9wavefront6targetE1EEEvT1_, .Lfunc_end218-_ZN7rocprim17ROCPRIM_400000_NS6detail17trampoline_kernelINS0_14default_configENS1_20scan_config_selectorIxEEZZNS1_9scan_implILNS1_25lookback_scan_determinismE0ELb0ELb0ES3_N6thrust23THRUST_200600_302600_NS6detail15normal_iteratorINS9_10device_ptrIxEEEESE_xNS9_4plusIxEExEEDaPvRmT3_T4_T5_mT6_P12ihipStream_tbENKUlT_T0_E_clISt17integral_constantIbLb1EESU_EEDaSP_SQ_EUlSP_E_NS1_11comp_targetILNS1_3genE4ELNS1_11target_archE910ELNS1_3gpuE8ELNS1_3repE0EEENS1_30default_config_static_selectorELNS0_4arch9wavefront6targetE1EEEvT1_
                                        ; -- End function
	.section	.AMDGPU.csdata,"",@progbits
; Kernel info:
; codeLenInByte = 5780
; NumSgprs: 42
; NumVgprs: 51
; NumAgprs: 0
; TotalNumVgprs: 51
; ScratchSize: 0
; MemoryBound: 0
; FloatMode: 240
; IeeeMode: 1
; LDSByteSize: 7168 bytes/workgroup (compile time only)
; SGPRBlocks: 5
; VGPRBlocks: 6
; NumSGPRsForWavesPerEU: 42
; NumVGPRsForWavesPerEU: 51
; AccumOffset: 52
; Occupancy: 5
; WaveLimiterHint : 1
; COMPUTE_PGM_RSRC2:SCRATCH_EN: 0
; COMPUTE_PGM_RSRC2:USER_SGPR: 6
; COMPUTE_PGM_RSRC2:TRAP_HANDLER: 0
; COMPUTE_PGM_RSRC2:TGID_X_EN: 1
; COMPUTE_PGM_RSRC2:TGID_Y_EN: 0
; COMPUTE_PGM_RSRC2:TGID_Z_EN: 0
; COMPUTE_PGM_RSRC2:TIDIG_COMP_CNT: 0
; COMPUTE_PGM_RSRC3_GFX90A:ACCUM_OFFSET: 12
; COMPUTE_PGM_RSRC3_GFX90A:TG_SPLIT: 0
	.section	.text._ZN7rocprim17ROCPRIM_400000_NS6detail17trampoline_kernelINS0_14default_configENS1_20scan_config_selectorIxEEZZNS1_9scan_implILNS1_25lookback_scan_determinismE0ELb0ELb0ES3_N6thrust23THRUST_200600_302600_NS6detail15normal_iteratorINS9_10device_ptrIxEEEESE_xNS9_4plusIxEExEEDaPvRmT3_T4_T5_mT6_P12ihipStream_tbENKUlT_T0_E_clISt17integral_constantIbLb1EESU_EEDaSP_SQ_EUlSP_E_NS1_11comp_targetILNS1_3genE3ELNS1_11target_archE908ELNS1_3gpuE7ELNS1_3repE0EEENS1_30default_config_static_selectorELNS0_4arch9wavefront6targetE1EEEvT1_,"axG",@progbits,_ZN7rocprim17ROCPRIM_400000_NS6detail17trampoline_kernelINS0_14default_configENS1_20scan_config_selectorIxEEZZNS1_9scan_implILNS1_25lookback_scan_determinismE0ELb0ELb0ES3_N6thrust23THRUST_200600_302600_NS6detail15normal_iteratorINS9_10device_ptrIxEEEESE_xNS9_4plusIxEExEEDaPvRmT3_T4_T5_mT6_P12ihipStream_tbENKUlT_T0_E_clISt17integral_constantIbLb1EESU_EEDaSP_SQ_EUlSP_E_NS1_11comp_targetILNS1_3genE3ELNS1_11target_archE908ELNS1_3gpuE7ELNS1_3repE0EEENS1_30default_config_static_selectorELNS0_4arch9wavefront6targetE1EEEvT1_,comdat
	.protected	_ZN7rocprim17ROCPRIM_400000_NS6detail17trampoline_kernelINS0_14default_configENS1_20scan_config_selectorIxEEZZNS1_9scan_implILNS1_25lookback_scan_determinismE0ELb0ELb0ES3_N6thrust23THRUST_200600_302600_NS6detail15normal_iteratorINS9_10device_ptrIxEEEESE_xNS9_4plusIxEExEEDaPvRmT3_T4_T5_mT6_P12ihipStream_tbENKUlT_T0_E_clISt17integral_constantIbLb1EESU_EEDaSP_SQ_EUlSP_E_NS1_11comp_targetILNS1_3genE3ELNS1_11target_archE908ELNS1_3gpuE7ELNS1_3repE0EEENS1_30default_config_static_selectorELNS0_4arch9wavefront6targetE1EEEvT1_ ; -- Begin function _ZN7rocprim17ROCPRIM_400000_NS6detail17trampoline_kernelINS0_14default_configENS1_20scan_config_selectorIxEEZZNS1_9scan_implILNS1_25lookback_scan_determinismE0ELb0ELb0ES3_N6thrust23THRUST_200600_302600_NS6detail15normal_iteratorINS9_10device_ptrIxEEEESE_xNS9_4plusIxEExEEDaPvRmT3_T4_T5_mT6_P12ihipStream_tbENKUlT_T0_E_clISt17integral_constantIbLb1EESU_EEDaSP_SQ_EUlSP_E_NS1_11comp_targetILNS1_3genE3ELNS1_11target_archE908ELNS1_3gpuE7ELNS1_3repE0EEENS1_30default_config_static_selectorELNS0_4arch9wavefront6targetE1EEEvT1_
	.globl	_ZN7rocprim17ROCPRIM_400000_NS6detail17trampoline_kernelINS0_14default_configENS1_20scan_config_selectorIxEEZZNS1_9scan_implILNS1_25lookback_scan_determinismE0ELb0ELb0ES3_N6thrust23THRUST_200600_302600_NS6detail15normal_iteratorINS9_10device_ptrIxEEEESE_xNS9_4plusIxEExEEDaPvRmT3_T4_T5_mT6_P12ihipStream_tbENKUlT_T0_E_clISt17integral_constantIbLb1EESU_EEDaSP_SQ_EUlSP_E_NS1_11comp_targetILNS1_3genE3ELNS1_11target_archE908ELNS1_3gpuE7ELNS1_3repE0EEENS1_30default_config_static_selectorELNS0_4arch9wavefront6targetE1EEEvT1_
	.p2align	8
	.type	_ZN7rocprim17ROCPRIM_400000_NS6detail17trampoline_kernelINS0_14default_configENS1_20scan_config_selectorIxEEZZNS1_9scan_implILNS1_25lookback_scan_determinismE0ELb0ELb0ES3_N6thrust23THRUST_200600_302600_NS6detail15normal_iteratorINS9_10device_ptrIxEEEESE_xNS9_4plusIxEExEEDaPvRmT3_T4_T5_mT6_P12ihipStream_tbENKUlT_T0_E_clISt17integral_constantIbLb1EESU_EEDaSP_SQ_EUlSP_E_NS1_11comp_targetILNS1_3genE3ELNS1_11target_archE908ELNS1_3gpuE7ELNS1_3repE0EEENS1_30default_config_static_selectorELNS0_4arch9wavefront6targetE1EEEvT1_,@function
_ZN7rocprim17ROCPRIM_400000_NS6detail17trampoline_kernelINS0_14default_configENS1_20scan_config_selectorIxEEZZNS1_9scan_implILNS1_25lookback_scan_determinismE0ELb0ELb0ES3_N6thrust23THRUST_200600_302600_NS6detail15normal_iteratorINS9_10device_ptrIxEEEESE_xNS9_4plusIxEExEEDaPvRmT3_T4_T5_mT6_P12ihipStream_tbENKUlT_T0_E_clISt17integral_constantIbLb1EESU_EEDaSP_SQ_EUlSP_E_NS1_11comp_targetILNS1_3genE3ELNS1_11target_archE908ELNS1_3gpuE7ELNS1_3repE0EEENS1_30default_config_static_selectorELNS0_4arch9wavefront6targetE1EEEvT1_: ; @_ZN7rocprim17ROCPRIM_400000_NS6detail17trampoline_kernelINS0_14default_configENS1_20scan_config_selectorIxEEZZNS1_9scan_implILNS1_25lookback_scan_determinismE0ELb0ELb0ES3_N6thrust23THRUST_200600_302600_NS6detail15normal_iteratorINS9_10device_ptrIxEEEESE_xNS9_4plusIxEExEEDaPvRmT3_T4_T5_mT6_P12ihipStream_tbENKUlT_T0_E_clISt17integral_constantIbLb1EESU_EEDaSP_SQ_EUlSP_E_NS1_11comp_targetILNS1_3genE3ELNS1_11target_archE908ELNS1_3gpuE7ELNS1_3repE0EEENS1_30default_config_static_selectorELNS0_4arch9wavefront6targetE1EEEvT1_
; %bb.0:
	.section	.rodata,"a",@progbits
	.p2align	6, 0x0
	.amdhsa_kernel _ZN7rocprim17ROCPRIM_400000_NS6detail17trampoline_kernelINS0_14default_configENS1_20scan_config_selectorIxEEZZNS1_9scan_implILNS1_25lookback_scan_determinismE0ELb0ELb0ES3_N6thrust23THRUST_200600_302600_NS6detail15normal_iteratorINS9_10device_ptrIxEEEESE_xNS9_4plusIxEExEEDaPvRmT3_T4_T5_mT6_P12ihipStream_tbENKUlT_T0_E_clISt17integral_constantIbLb1EESU_EEDaSP_SQ_EUlSP_E_NS1_11comp_targetILNS1_3genE3ELNS1_11target_archE908ELNS1_3gpuE7ELNS1_3repE0EEENS1_30default_config_static_selectorELNS0_4arch9wavefront6targetE1EEEvT1_
		.amdhsa_group_segment_fixed_size 0
		.amdhsa_private_segment_fixed_size 0
		.amdhsa_kernarg_size 104
		.amdhsa_user_sgpr_count 6
		.amdhsa_user_sgpr_private_segment_buffer 1
		.amdhsa_user_sgpr_dispatch_ptr 0
		.amdhsa_user_sgpr_queue_ptr 0
		.amdhsa_user_sgpr_kernarg_segment_ptr 1
		.amdhsa_user_sgpr_dispatch_id 0
		.amdhsa_user_sgpr_flat_scratch_init 0
		.amdhsa_user_sgpr_kernarg_preload_length 0
		.amdhsa_user_sgpr_kernarg_preload_offset 0
		.amdhsa_user_sgpr_private_segment_size 0
		.amdhsa_uses_dynamic_stack 0
		.amdhsa_system_sgpr_private_segment_wavefront_offset 0
		.amdhsa_system_sgpr_workgroup_id_x 1
		.amdhsa_system_sgpr_workgroup_id_y 0
		.amdhsa_system_sgpr_workgroup_id_z 0
		.amdhsa_system_sgpr_workgroup_info 0
		.amdhsa_system_vgpr_workitem_id 0
		.amdhsa_next_free_vgpr 1
		.amdhsa_next_free_sgpr 0
		.amdhsa_accum_offset 4
		.amdhsa_reserve_vcc 0
		.amdhsa_reserve_flat_scratch 0
		.amdhsa_float_round_mode_32 0
		.amdhsa_float_round_mode_16_64 0
		.amdhsa_float_denorm_mode_32 3
		.amdhsa_float_denorm_mode_16_64 3
		.amdhsa_dx10_clamp 1
		.amdhsa_ieee_mode 1
		.amdhsa_fp16_overflow 0
		.amdhsa_tg_split 0
		.amdhsa_exception_fp_ieee_invalid_op 0
		.amdhsa_exception_fp_denorm_src 0
		.amdhsa_exception_fp_ieee_div_zero 0
		.amdhsa_exception_fp_ieee_overflow 0
		.amdhsa_exception_fp_ieee_underflow 0
		.amdhsa_exception_fp_ieee_inexact 0
		.amdhsa_exception_int_div_zero 0
	.end_amdhsa_kernel
	.section	.text._ZN7rocprim17ROCPRIM_400000_NS6detail17trampoline_kernelINS0_14default_configENS1_20scan_config_selectorIxEEZZNS1_9scan_implILNS1_25lookback_scan_determinismE0ELb0ELb0ES3_N6thrust23THRUST_200600_302600_NS6detail15normal_iteratorINS9_10device_ptrIxEEEESE_xNS9_4plusIxEExEEDaPvRmT3_T4_T5_mT6_P12ihipStream_tbENKUlT_T0_E_clISt17integral_constantIbLb1EESU_EEDaSP_SQ_EUlSP_E_NS1_11comp_targetILNS1_3genE3ELNS1_11target_archE908ELNS1_3gpuE7ELNS1_3repE0EEENS1_30default_config_static_selectorELNS0_4arch9wavefront6targetE1EEEvT1_,"axG",@progbits,_ZN7rocprim17ROCPRIM_400000_NS6detail17trampoline_kernelINS0_14default_configENS1_20scan_config_selectorIxEEZZNS1_9scan_implILNS1_25lookback_scan_determinismE0ELb0ELb0ES3_N6thrust23THRUST_200600_302600_NS6detail15normal_iteratorINS9_10device_ptrIxEEEESE_xNS9_4plusIxEExEEDaPvRmT3_T4_T5_mT6_P12ihipStream_tbENKUlT_T0_E_clISt17integral_constantIbLb1EESU_EEDaSP_SQ_EUlSP_E_NS1_11comp_targetILNS1_3genE3ELNS1_11target_archE908ELNS1_3gpuE7ELNS1_3repE0EEENS1_30default_config_static_selectorELNS0_4arch9wavefront6targetE1EEEvT1_,comdat
.Lfunc_end219:
	.size	_ZN7rocprim17ROCPRIM_400000_NS6detail17trampoline_kernelINS0_14default_configENS1_20scan_config_selectorIxEEZZNS1_9scan_implILNS1_25lookback_scan_determinismE0ELb0ELb0ES3_N6thrust23THRUST_200600_302600_NS6detail15normal_iteratorINS9_10device_ptrIxEEEESE_xNS9_4plusIxEExEEDaPvRmT3_T4_T5_mT6_P12ihipStream_tbENKUlT_T0_E_clISt17integral_constantIbLb1EESU_EEDaSP_SQ_EUlSP_E_NS1_11comp_targetILNS1_3genE3ELNS1_11target_archE908ELNS1_3gpuE7ELNS1_3repE0EEENS1_30default_config_static_selectorELNS0_4arch9wavefront6targetE1EEEvT1_, .Lfunc_end219-_ZN7rocprim17ROCPRIM_400000_NS6detail17trampoline_kernelINS0_14default_configENS1_20scan_config_selectorIxEEZZNS1_9scan_implILNS1_25lookback_scan_determinismE0ELb0ELb0ES3_N6thrust23THRUST_200600_302600_NS6detail15normal_iteratorINS9_10device_ptrIxEEEESE_xNS9_4plusIxEExEEDaPvRmT3_T4_T5_mT6_P12ihipStream_tbENKUlT_T0_E_clISt17integral_constantIbLb1EESU_EEDaSP_SQ_EUlSP_E_NS1_11comp_targetILNS1_3genE3ELNS1_11target_archE908ELNS1_3gpuE7ELNS1_3repE0EEENS1_30default_config_static_selectorELNS0_4arch9wavefront6targetE1EEEvT1_
                                        ; -- End function
	.section	.AMDGPU.csdata,"",@progbits
; Kernel info:
; codeLenInByte = 0
; NumSgprs: 4
; NumVgprs: 0
; NumAgprs: 0
; TotalNumVgprs: 0
; ScratchSize: 0
; MemoryBound: 0
; FloatMode: 240
; IeeeMode: 1
; LDSByteSize: 0 bytes/workgroup (compile time only)
; SGPRBlocks: 0
; VGPRBlocks: 0
; NumSGPRsForWavesPerEU: 4
; NumVGPRsForWavesPerEU: 1
; AccumOffset: 4
; Occupancy: 8
; WaveLimiterHint : 0
; COMPUTE_PGM_RSRC2:SCRATCH_EN: 0
; COMPUTE_PGM_RSRC2:USER_SGPR: 6
; COMPUTE_PGM_RSRC2:TRAP_HANDLER: 0
; COMPUTE_PGM_RSRC2:TGID_X_EN: 1
; COMPUTE_PGM_RSRC2:TGID_Y_EN: 0
; COMPUTE_PGM_RSRC2:TGID_Z_EN: 0
; COMPUTE_PGM_RSRC2:TIDIG_COMP_CNT: 0
; COMPUTE_PGM_RSRC3_GFX90A:ACCUM_OFFSET: 0
; COMPUTE_PGM_RSRC3_GFX90A:TG_SPLIT: 0
	.section	.text._ZN7rocprim17ROCPRIM_400000_NS6detail17trampoline_kernelINS0_14default_configENS1_20scan_config_selectorIxEEZZNS1_9scan_implILNS1_25lookback_scan_determinismE0ELb0ELb0ES3_N6thrust23THRUST_200600_302600_NS6detail15normal_iteratorINS9_10device_ptrIxEEEESE_xNS9_4plusIxEExEEDaPvRmT3_T4_T5_mT6_P12ihipStream_tbENKUlT_T0_E_clISt17integral_constantIbLb1EESU_EEDaSP_SQ_EUlSP_E_NS1_11comp_targetILNS1_3genE2ELNS1_11target_archE906ELNS1_3gpuE6ELNS1_3repE0EEENS1_30default_config_static_selectorELNS0_4arch9wavefront6targetE1EEEvT1_,"axG",@progbits,_ZN7rocprim17ROCPRIM_400000_NS6detail17trampoline_kernelINS0_14default_configENS1_20scan_config_selectorIxEEZZNS1_9scan_implILNS1_25lookback_scan_determinismE0ELb0ELb0ES3_N6thrust23THRUST_200600_302600_NS6detail15normal_iteratorINS9_10device_ptrIxEEEESE_xNS9_4plusIxEExEEDaPvRmT3_T4_T5_mT6_P12ihipStream_tbENKUlT_T0_E_clISt17integral_constantIbLb1EESU_EEDaSP_SQ_EUlSP_E_NS1_11comp_targetILNS1_3genE2ELNS1_11target_archE906ELNS1_3gpuE6ELNS1_3repE0EEENS1_30default_config_static_selectorELNS0_4arch9wavefront6targetE1EEEvT1_,comdat
	.protected	_ZN7rocprim17ROCPRIM_400000_NS6detail17trampoline_kernelINS0_14default_configENS1_20scan_config_selectorIxEEZZNS1_9scan_implILNS1_25lookback_scan_determinismE0ELb0ELb0ES3_N6thrust23THRUST_200600_302600_NS6detail15normal_iteratorINS9_10device_ptrIxEEEESE_xNS9_4plusIxEExEEDaPvRmT3_T4_T5_mT6_P12ihipStream_tbENKUlT_T0_E_clISt17integral_constantIbLb1EESU_EEDaSP_SQ_EUlSP_E_NS1_11comp_targetILNS1_3genE2ELNS1_11target_archE906ELNS1_3gpuE6ELNS1_3repE0EEENS1_30default_config_static_selectorELNS0_4arch9wavefront6targetE1EEEvT1_ ; -- Begin function _ZN7rocprim17ROCPRIM_400000_NS6detail17trampoline_kernelINS0_14default_configENS1_20scan_config_selectorIxEEZZNS1_9scan_implILNS1_25lookback_scan_determinismE0ELb0ELb0ES3_N6thrust23THRUST_200600_302600_NS6detail15normal_iteratorINS9_10device_ptrIxEEEESE_xNS9_4plusIxEExEEDaPvRmT3_T4_T5_mT6_P12ihipStream_tbENKUlT_T0_E_clISt17integral_constantIbLb1EESU_EEDaSP_SQ_EUlSP_E_NS1_11comp_targetILNS1_3genE2ELNS1_11target_archE906ELNS1_3gpuE6ELNS1_3repE0EEENS1_30default_config_static_selectorELNS0_4arch9wavefront6targetE1EEEvT1_
	.globl	_ZN7rocprim17ROCPRIM_400000_NS6detail17trampoline_kernelINS0_14default_configENS1_20scan_config_selectorIxEEZZNS1_9scan_implILNS1_25lookback_scan_determinismE0ELb0ELb0ES3_N6thrust23THRUST_200600_302600_NS6detail15normal_iteratorINS9_10device_ptrIxEEEESE_xNS9_4plusIxEExEEDaPvRmT3_T4_T5_mT6_P12ihipStream_tbENKUlT_T0_E_clISt17integral_constantIbLb1EESU_EEDaSP_SQ_EUlSP_E_NS1_11comp_targetILNS1_3genE2ELNS1_11target_archE906ELNS1_3gpuE6ELNS1_3repE0EEENS1_30default_config_static_selectorELNS0_4arch9wavefront6targetE1EEEvT1_
	.p2align	8
	.type	_ZN7rocprim17ROCPRIM_400000_NS6detail17trampoline_kernelINS0_14default_configENS1_20scan_config_selectorIxEEZZNS1_9scan_implILNS1_25lookback_scan_determinismE0ELb0ELb0ES3_N6thrust23THRUST_200600_302600_NS6detail15normal_iteratorINS9_10device_ptrIxEEEESE_xNS9_4plusIxEExEEDaPvRmT3_T4_T5_mT6_P12ihipStream_tbENKUlT_T0_E_clISt17integral_constantIbLb1EESU_EEDaSP_SQ_EUlSP_E_NS1_11comp_targetILNS1_3genE2ELNS1_11target_archE906ELNS1_3gpuE6ELNS1_3repE0EEENS1_30default_config_static_selectorELNS0_4arch9wavefront6targetE1EEEvT1_,@function
_ZN7rocprim17ROCPRIM_400000_NS6detail17trampoline_kernelINS0_14default_configENS1_20scan_config_selectorIxEEZZNS1_9scan_implILNS1_25lookback_scan_determinismE0ELb0ELb0ES3_N6thrust23THRUST_200600_302600_NS6detail15normal_iteratorINS9_10device_ptrIxEEEESE_xNS9_4plusIxEExEEDaPvRmT3_T4_T5_mT6_P12ihipStream_tbENKUlT_T0_E_clISt17integral_constantIbLb1EESU_EEDaSP_SQ_EUlSP_E_NS1_11comp_targetILNS1_3genE2ELNS1_11target_archE906ELNS1_3gpuE6ELNS1_3repE0EEENS1_30default_config_static_selectorELNS0_4arch9wavefront6targetE1EEEvT1_: ; @_ZN7rocprim17ROCPRIM_400000_NS6detail17trampoline_kernelINS0_14default_configENS1_20scan_config_selectorIxEEZZNS1_9scan_implILNS1_25lookback_scan_determinismE0ELb0ELb0ES3_N6thrust23THRUST_200600_302600_NS6detail15normal_iteratorINS9_10device_ptrIxEEEESE_xNS9_4plusIxEExEEDaPvRmT3_T4_T5_mT6_P12ihipStream_tbENKUlT_T0_E_clISt17integral_constantIbLb1EESU_EEDaSP_SQ_EUlSP_E_NS1_11comp_targetILNS1_3genE2ELNS1_11target_archE906ELNS1_3gpuE6ELNS1_3repE0EEENS1_30default_config_static_selectorELNS0_4arch9wavefront6targetE1EEEvT1_
; %bb.0:
	.section	.rodata,"a",@progbits
	.p2align	6, 0x0
	.amdhsa_kernel _ZN7rocprim17ROCPRIM_400000_NS6detail17trampoline_kernelINS0_14default_configENS1_20scan_config_selectorIxEEZZNS1_9scan_implILNS1_25lookback_scan_determinismE0ELb0ELb0ES3_N6thrust23THRUST_200600_302600_NS6detail15normal_iteratorINS9_10device_ptrIxEEEESE_xNS9_4plusIxEExEEDaPvRmT3_T4_T5_mT6_P12ihipStream_tbENKUlT_T0_E_clISt17integral_constantIbLb1EESU_EEDaSP_SQ_EUlSP_E_NS1_11comp_targetILNS1_3genE2ELNS1_11target_archE906ELNS1_3gpuE6ELNS1_3repE0EEENS1_30default_config_static_selectorELNS0_4arch9wavefront6targetE1EEEvT1_
		.amdhsa_group_segment_fixed_size 0
		.amdhsa_private_segment_fixed_size 0
		.amdhsa_kernarg_size 104
		.amdhsa_user_sgpr_count 6
		.amdhsa_user_sgpr_private_segment_buffer 1
		.amdhsa_user_sgpr_dispatch_ptr 0
		.amdhsa_user_sgpr_queue_ptr 0
		.amdhsa_user_sgpr_kernarg_segment_ptr 1
		.amdhsa_user_sgpr_dispatch_id 0
		.amdhsa_user_sgpr_flat_scratch_init 0
		.amdhsa_user_sgpr_kernarg_preload_length 0
		.amdhsa_user_sgpr_kernarg_preload_offset 0
		.amdhsa_user_sgpr_private_segment_size 0
		.amdhsa_uses_dynamic_stack 0
		.amdhsa_system_sgpr_private_segment_wavefront_offset 0
		.amdhsa_system_sgpr_workgroup_id_x 1
		.amdhsa_system_sgpr_workgroup_id_y 0
		.amdhsa_system_sgpr_workgroup_id_z 0
		.amdhsa_system_sgpr_workgroup_info 0
		.amdhsa_system_vgpr_workitem_id 0
		.amdhsa_next_free_vgpr 1
		.amdhsa_next_free_sgpr 0
		.amdhsa_accum_offset 4
		.amdhsa_reserve_vcc 0
		.amdhsa_reserve_flat_scratch 0
		.amdhsa_float_round_mode_32 0
		.amdhsa_float_round_mode_16_64 0
		.amdhsa_float_denorm_mode_32 3
		.amdhsa_float_denorm_mode_16_64 3
		.amdhsa_dx10_clamp 1
		.amdhsa_ieee_mode 1
		.amdhsa_fp16_overflow 0
		.amdhsa_tg_split 0
		.amdhsa_exception_fp_ieee_invalid_op 0
		.amdhsa_exception_fp_denorm_src 0
		.amdhsa_exception_fp_ieee_div_zero 0
		.amdhsa_exception_fp_ieee_overflow 0
		.amdhsa_exception_fp_ieee_underflow 0
		.amdhsa_exception_fp_ieee_inexact 0
		.amdhsa_exception_int_div_zero 0
	.end_amdhsa_kernel
	.section	.text._ZN7rocprim17ROCPRIM_400000_NS6detail17trampoline_kernelINS0_14default_configENS1_20scan_config_selectorIxEEZZNS1_9scan_implILNS1_25lookback_scan_determinismE0ELb0ELb0ES3_N6thrust23THRUST_200600_302600_NS6detail15normal_iteratorINS9_10device_ptrIxEEEESE_xNS9_4plusIxEExEEDaPvRmT3_T4_T5_mT6_P12ihipStream_tbENKUlT_T0_E_clISt17integral_constantIbLb1EESU_EEDaSP_SQ_EUlSP_E_NS1_11comp_targetILNS1_3genE2ELNS1_11target_archE906ELNS1_3gpuE6ELNS1_3repE0EEENS1_30default_config_static_selectorELNS0_4arch9wavefront6targetE1EEEvT1_,"axG",@progbits,_ZN7rocprim17ROCPRIM_400000_NS6detail17trampoline_kernelINS0_14default_configENS1_20scan_config_selectorIxEEZZNS1_9scan_implILNS1_25lookback_scan_determinismE0ELb0ELb0ES3_N6thrust23THRUST_200600_302600_NS6detail15normal_iteratorINS9_10device_ptrIxEEEESE_xNS9_4plusIxEExEEDaPvRmT3_T4_T5_mT6_P12ihipStream_tbENKUlT_T0_E_clISt17integral_constantIbLb1EESU_EEDaSP_SQ_EUlSP_E_NS1_11comp_targetILNS1_3genE2ELNS1_11target_archE906ELNS1_3gpuE6ELNS1_3repE0EEENS1_30default_config_static_selectorELNS0_4arch9wavefront6targetE1EEEvT1_,comdat
.Lfunc_end220:
	.size	_ZN7rocprim17ROCPRIM_400000_NS6detail17trampoline_kernelINS0_14default_configENS1_20scan_config_selectorIxEEZZNS1_9scan_implILNS1_25lookback_scan_determinismE0ELb0ELb0ES3_N6thrust23THRUST_200600_302600_NS6detail15normal_iteratorINS9_10device_ptrIxEEEESE_xNS9_4plusIxEExEEDaPvRmT3_T4_T5_mT6_P12ihipStream_tbENKUlT_T0_E_clISt17integral_constantIbLb1EESU_EEDaSP_SQ_EUlSP_E_NS1_11comp_targetILNS1_3genE2ELNS1_11target_archE906ELNS1_3gpuE6ELNS1_3repE0EEENS1_30default_config_static_selectorELNS0_4arch9wavefront6targetE1EEEvT1_, .Lfunc_end220-_ZN7rocprim17ROCPRIM_400000_NS6detail17trampoline_kernelINS0_14default_configENS1_20scan_config_selectorIxEEZZNS1_9scan_implILNS1_25lookback_scan_determinismE0ELb0ELb0ES3_N6thrust23THRUST_200600_302600_NS6detail15normal_iteratorINS9_10device_ptrIxEEEESE_xNS9_4plusIxEExEEDaPvRmT3_T4_T5_mT6_P12ihipStream_tbENKUlT_T0_E_clISt17integral_constantIbLb1EESU_EEDaSP_SQ_EUlSP_E_NS1_11comp_targetILNS1_3genE2ELNS1_11target_archE906ELNS1_3gpuE6ELNS1_3repE0EEENS1_30default_config_static_selectorELNS0_4arch9wavefront6targetE1EEEvT1_
                                        ; -- End function
	.section	.AMDGPU.csdata,"",@progbits
; Kernel info:
; codeLenInByte = 0
; NumSgprs: 4
; NumVgprs: 0
; NumAgprs: 0
; TotalNumVgprs: 0
; ScratchSize: 0
; MemoryBound: 0
; FloatMode: 240
; IeeeMode: 1
; LDSByteSize: 0 bytes/workgroup (compile time only)
; SGPRBlocks: 0
; VGPRBlocks: 0
; NumSGPRsForWavesPerEU: 4
; NumVGPRsForWavesPerEU: 1
; AccumOffset: 4
; Occupancy: 8
; WaveLimiterHint : 0
; COMPUTE_PGM_RSRC2:SCRATCH_EN: 0
; COMPUTE_PGM_RSRC2:USER_SGPR: 6
; COMPUTE_PGM_RSRC2:TRAP_HANDLER: 0
; COMPUTE_PGM_RSRC2:TGID_X_EN: 1
; COMPUTE_PGM_RSRC2:TGID_Y_EN: 0
; COMPUTE_PGM_RSRC2:TGID_Z_EN: 0
; COMPUTE_PGM_RSRC2:TIDIG_COMP_CNT: 0
; COMPUTE_PGM_RSRC3_GFX90A:ACCUM_OFFSET: 0
; COMPUTE_PGM_RSRC3_GFX90A:TG_SPLIT: 0
	.section	.text._ZN7rocprim17ROCPRIM_400000_NS6detail17trampoline_kernelINS0_14default_configENS1_20scan_config_selectorIxEEZZNS1_9scan_implILNS1_25lookback_scan_determinismE0ELb0ELb0ES3_N6thrust23THRUST_200600_302600_NS6detail15normal_iteratorINS9_10device_ptrIxEEEESE_xNS9_4plusIxEExEEDaPvRmT3_T4_T5_mT6_P12ihipStream_tbENKUlT_T0_E_clISt17integral_constantIbLb1EESU_EEDaSP_SQ_EUlSP_E_NS1_11comp_targetILNS1_3genE10ELNS1_11target_archE1201ELNS1_3gpuE5ELNS1_3repE0EEENS1_30default_config_static_selectorELNS0_4arch9wavefront6targetE1EEEvT1_,"axG",@progbits,_ZN7rocprim17ROCPRIM_400000_NS6detail17trampoline_kernelINS0_14default_configENS1_20scan_config_selectorIxEEZZNS1_9scan_implILNS1_25lookback_scan_determinismE0ELb0ELb0ES3_N6thrust23THRUST_200600_302600_NS6detail15normal_iteratorINS9_10device_ptrIxEEEESE_xNS9_4plusIxEExEEDaPvRmT3_T4_T5_mT6_P12ihipStream_tbENKUlT_T0_E_clISt17integral_constantIbLb1EESU_EEDaSP_SQ_EUlSP_E_NS1_11comp_targetILNS1_3genE10ELNS1_11target_archE1201ELNS1_3gpuE5ELNS1_3repE0EEENS1_30default_config_static_selectorELNS0_4arch9wavefront6targetE1EEEvT1_,comdat
	.protected	_ZN7rocprim17ROCPRIM_400000_NS6detail17trampoline_kernelINS0_14default_configENS1_20scan_config_selectorIxEEZZNS1_9scan_implILNS1_25lookback_scan_determinismE0ELb0ELb0ES3_N6thrust23THRUST_200600_302600_NS6detail15normal_iteratorINS9_10device_ptrIxEEEESE_xNS9_4plusIxEExEEDaPvRmT3_T4_T5_mT6_P12ihipStream_tbENKUlT_T0_E_clISt17integral_constantIbLb1EESU_EEDaSP_SQ_EUlSP_E_NS1_11comp_targetILNS1_3genE10ELNS1_11target_archE1201ELNS1_3gpuE5ELNS1_3repE0EEENS1_30default_config_static_selectorELNS0_4arch9wavefront6targetE1EEEvT1_ ; -- Begin function _ZN7rocprim17ROCPRIM_400000_NS6detail17trampoline_kernelINS0_14default_configENS1_20scan_config_selectorIxEEZZNS1_9scan_implILNS1_25lookback_scan_determinismE0ELb0ELb0ES3_N6thrust23THRUST_200600_302600_NS6detail15normal_iteratorINS9_10device_ptrIxEEEESE_xNS9_4plusIxEExEEDaPvRmT3_T4_T5_mT6_P12ihipStream_tbENKUlT_T0_E_clISt17integral_constantIbLb1EESU_EEDaSP_SQ_EUlSP_E_NS1_11comp_targetILNS1_3genE10ELNS1_11target_archE1201ELNS1_3gpuE5ELNS1_3repE0EEENS1_30default_config_static_selectorELNS0_4arch9wavefront6targetE1EEEvT1_
	.globl	_ZN7rocprim17ROCPRIM_400000_NS6detail17trampoline_kernelINS0_14default_configENS1_20scan_config_selectorIxEEZZNS1_9scan_implILNS1_25lookback_scan_determinismE0ELb0ELb0ES3_N6thrust23THRUST_200600_302600_NS6detail15normal_iteratorINS9_10device_ptrIxEEEESE_xNS9_4plusIxEExEEDaPvRmT3_T4_T5_mT6_P12ihipStream_tbENKUlT_T0_E_clISt17integral_constantIbLb1EESU_EEDaSP_SQ_EUlSP_E_NS1_11comp_targetILNS1_3genE10ELNS1_11target_archE1201ELNS1_3gpuE5ELNS1_3repE0EEENS1_30default_config_static_selectorELNS0_4arch9wavefront6targetE1EEEvT1_
	.p2align	8
	.type	_ZN7rocprim17ROCPRIM_400000_NS6detail17trampoline_kernelINS0_14default_configENS1_20scan_config_selectorIxEEZZNS1_9scan_implILNS1_25lookback_scan_determinismE0ELb0ELb0ES3_N6thrust23THRUST_200600_302600_NS6detail15normal_iteratorINS9_10device_ptrIxEEEESE_xNS9_4plusIxEExEEDaPvRmT3_T4_T5_mT6_P12ihipStream_tbENKUlT_T0_E_clISt17integral_constantIbLb1EESU_EEDaSP_SQ_EUlSP_E_NS1_11comp_targetILNS1_3genE10ELNS1_11target_archE1201ELNS1_3gpuE5ELNS1_3repE0EEENS1_30default_config_static_selectorELNS0_4arch9wavefront6targetE1EEEvT1_,@function
_ZN7rocprim17ROCPRIM_400000_NS6detail17trampoline_kernelINS0_14default_configENS1_20scan_config_selectorIxEEZZNS1_9scan_implILNS1_25lookback_scan_determinismE0ELb0ELb0ES3_N6thrust23THRUST_200600_302600_NS6detail15normal_iteratorINS9_10device_ptrIxEEEESE_xNS9_4plusIxEExEEDaPvRmT3_T4_T5_mT6_P12ihipStream_tbENKUlT_T0_E_clISt17integral_constantIbLb1EESU_EEDaSP_SQ_EUlSP_E_NS1_11comp_targetILNS1_3genE10ELNS1_11target_archE1201ELNS1_3gpuE5ELNS1_3repE0EEENS1_30default_config_static_selectorELNS0_4arch9wavefront6targetE1EEEvT1_: ; @_ZN7rocprim17ROCPRIM_400000_NS6detail17trampoline_kernelINS0_14default_configENS1_20scan_config_selectorIxEEZZNS1_9scan_implILNS1_25lookback_scan_determinismE0ELb0ELb0ES3_N6thrust23THRUST_200600_302600_NS6detail15normal_iteratorINS9_10device_ptrIxEEEESE_xNS9_4plusIxEExEEDaPvRmT3_T4_T5_mT6_P12ihipStream_tbENKUlT_T0_E_clISt17integral_constantIbLb1EESU_EEDaSP_SQ_EUlSP_E_NS1_11comp_targetILNS1_3genE10ELNS1_11target_archE1201ELNS1_3gpuE5ELNS1_3repE0EEENS1_30default_config_static_selectorELNS0_4arch9wavefront6targetE1EEEvT1_
; %bb.0:
	.section	.rodata,"a",@progbits
	.p2align	6, 0x0
	.amdhsa_kernel _ZN7rocprim17ROCPRIM_400000_NS6detail17trampoline_kernelINS0_14default_configENS1_20scan_config_selectorIxEEZZNS1_9scan_implILNS1_25lookback_scan_determinismE0ELb0ELb0ES3_N6thrust23THRUST_200600_302600_NS6detail15normal_iteratorINS9_10device_ptrIxEEEESE_xNS9_4plusIxEExEEDaPvRmT3_T4_T5_mT6_P12ihipStream_tbENKUlT_T0_E_clISt17integral_constantIbLb1EESU_EEDaSP_SQ_EUlSP_E_NS1_11comp_targetILNS1_3genE10ELNS1_11target_archE1201ELNS1_3gpuE5ELNS1_3repE0EEENS1_30default_config_static_selectorELNS0_4arch9wavefront6targetE1EEEvT1_
		.amdhsa_group_segment_fixed_size 0
		.amdhsa_private_segment_fixed_size 0
		.amdhsa_kernarg_size 104
		.amdhsa_user_sgpr_count 6
		.amdhsa_user_sgpr_private_segment_buffer 1
		.amdhsa_user_sgpr_dispatch_ptr 0
		.amdhsa_user_sgpr_queue_ptr 0
		.amdhsa_user_sgpr_kernarg_segment_ptr 1
		.amdhsa_user_sgpr_dispatch_id 0
		.amdhsa_user_sgpr_flat_scratch_init 0
		.amdhsa_user_sgpr_kernarg_preload_length 0
		.amdhsa_user_sgpr_kernarg_preload_offset 0
		.amdhsa_user_sgpr_private_segment_size 0
		.amdhsa_uses_dynamic_stack 0
		.amdhsa_system_sgpr_private_segment_wavefront_offset 0
		.amdhsa_system_sgpr_workgroup_id_x 1
		.amdhsa_system_sgpr_workgroup_id_y 0
		.amdhsa_system_sgpr_workgroup_id_z 0
		.amdhsa_system_sgpr_workgroup_info 0
		.amdhsa_system_vgpr_workitem_id 0
		.amdhsa_next_free_vgpr 1
		.amdhsa_next_free_sgpr 0
		.amdhsa_accum_offset 4
		.amdhsa_reserve_vcc 0
		.amdhsa_reserve_flat_scratch 0
		.amdhsa_float_round_mode_32 0
		.amdhsa_float_round_mode_16_64 0
		.amdhsa_float_denorm_mode_32 3
		.amdhsa_float_denorm_mode_16_64 3
		.amdhsa_dx10_clamp 1
		.amdhsa_ieee_mode 1
		.amdhsa_fp16_overflow 0
		.amdhsa_tg_split 0
		.amdhsa_exception_fp_ieee_invalid_op 0
		.amdhsa_exception_fp_denorm_src 0
		.amdhsa_exception_fp_ieee_div_zero 0
		.amdhsa_exception_fp_ieee_overflow 0
		.amdhsa_exception_fp_ieee_underflow 0
		.amdhsa_exception_fp_ieee_inexact 0
		.amdhsa_exception_int_div_zero 0
	.end_amdhsa_kernel
	.section	.text._ZN7rocprim17ROCPRIM_400000_NS6detail17trampoline_kernelINS0_14default_configENS1_20scan_config_selectorIxEEZZNS1_9scan_implILNS1_25lookback_scan_determinismE0ELb0ELb0ES3_N6thrust23THRUST_200600_302600_NS6detail15normal_iteratorINS9_10device_ptrIxEEEESE_xNS9_4plusIxEExEEDaPvRmT3_T4_T5_mT6_P12ihipStream_tbENKUlT_T0_E_clISt17integral_constantIbLb1EESU_EEDaSP_SQ_EUlSP_E_NS1_11comp_targetILNS1_3genE10ELNS1_11target_archE1201ELNS1_3gpuE5ELNS1_3repE0EEENS1_30default_config_static_selectorELNS0_4arch9wavefront6targetE1EEEvT1_,"axG",@progbits,_ZN7rocprim17ROCPRIM_400000_NS6detail17trampoline_kernelINS0_14default_configENS1_20scan_config_selectorIxEEZZNS1_9scan_implILNS1_25lookback_scan_determinismE0ELb0ELb0ES3_N6thrust23THRUST_200600_302600_NS6detail15normal_iteratorINS9_10device_ptrIxEEEESE_xNS9_4plusIxEExEEDaPvRmT3_T4_T5_mT6_P12ihipStream_tbENKUlT_T0_E_clISt17integral_constantIbLb1EESU_EEDaSP_SQ_EUlSP_E_NS1_11comp_targetILNS1_3genE10ELNS1_11target_archE1201ELNS1_3gpuE5ELNS1_3repE0EEENS1_30default_config_static_selectorELNS0_4arch9wavefront6targetE1EEEvT1_,comdat
.Lfunc_end221:
	.size	_ZN7rocprim17ROCPRIM_400000_NS6detail17trampoline_kernelINS0_14default_configENS1_20scan_config_selectorIxEEZZNS1_9scan_implILNS1_25lookback_scan_determinismE0ELb0ELb0ES3_N6thrust23THRUST_200600_302600_NS6detail15normal_iteratorINS9_10device_ptrIxEEEESE_xNS9_4plusIxEExEEDaPvRmT3_T4_T5_mT6_P12ihipStream_tbENKUlT_T0_E_clISt17integral_constantIbLb1EESU_EEDaSP_SQ_EUlSP_E_NS1_11comp_targetILNS1_3genE10ELNS1_11target_archE1201ELNS1_3gpuE5ELNS1_3repE0EEENS1_30default_config_static_selectorELNS0_4arch9wavefront6targetE1EEEvT1_, .Lfunc_end221-_ZN7rocprim17ROCPRIM_400000_NS6detail17trampoline_kernelINS0_14default_configENS1_20scan_config_selectorIxEEZZNS1_9scan_implILNS1_25lookback_scan_determinismE0ELb0ELb0ES3_N6thrust23THRUST_200600_302600_NS6detail15normal_iteratorINS9_10device_ptrIxEEEESE_xNS9_4plusIxEExEEDaPvRmT3_T4_T5_mT6_P12ihipStream_tbENKUlT_T0_E_clISt17integral_constantIbLb1EESU_EEDaSP_SQ_EUlSP_E_NS1_11comp_targetILNS1_3genE10ELNS1_11target_archE1201ELNS1_3gpuE5ELNS1_3repE0EEENS1_30default_config_static_selectorELNS0_4arch9wavefront6targetE1EEEvT1_
                                        ; -- End function
	.section	.AMDGPU.csdata,"",@progbits
; Kernel info:
; codeLenInByte = 0
; NumSgprs: 4
; NumVgprs: 0
; NumAgprs: 0
; TotalNumVgprs: 0
; ScratchSize: 0
; MemoryBound: 0
; FloatMode: 240
; IeeeMode: 1
; LDSByteSize: 0 bytes/workgroup (compile time only)
; SGPRBlocks: 0
; VGPRBlocks: 0
; NumSGPRsForWavesPerEU: 4
; NumVGPRsForWavesPerEU: 1
; AccumOffset: 4
; Occupancy: 8
; WaveLimiterHint : 0
; COMPUTE_PGM_RSRC2:SCRATCH_EN: 0
; COMPUTE_PGM_RSRC2:USER_SGPR: 6
; COMPUTE_PGM_RSRC2:TRAP_HANDLER: 0
; COMPUTE_PGM_RSRC2:TGID_X_EN: 1
; COMPUTE_PGM_RSRC2:TGID_Y_EN: 0
; COMPUTE_PGM_RSRC2:TGID_Z_EN: 0
; COMPUTE_PGM_RSRC2:TIDIG_COMP_CNT: 0
; COMPUTE_PGM_RSRC3_GFX90A:ACCUM_OFFSET: 0
; COMPUTE_PGM_RSRC3_GFX90A:TG_SPLIT: 0
	.section	.text._ZN7rocprim17ROCPRIM_400000_NS6detail17trampoline_kernelINS0_14default_configENS1_20scan_config_selectorIxEEZZNS1_9scan_implILNS1_25lookback_scan_determinismE0ELb0ELb0ES3_N6thrust23THRUST_200600_302600_NS6detail15normal_iteratorINS9_10device_ptrIxEEEESE_xNS9_4plusIxEExEEDaPvRmT3_T4_T5_mT6_P12ihipStream_tbENKUlT_T0_E_clISt17integral_constantIbLb1EESU_EEDaSP_SQ_EUlSP_E_NS1_11comp_targetILNS1_3genE10ELNS1_11target_archE1200ELNS1_3gpuE4ELNS1_3repE0EEENS1_30default_config_static_selectorELNS0_4arch9wavefront6targetE1EEEvT1_,"axG",@progbits,_ZN7rocprim17ROCPRIM_400000_NS6detail17trampoline_kernelINS0_14default_configENS1_20scan_config_selectorIxEEZZNS1_9scan_implILNS1_25lookback_scan_determinismE0ELb0ELb0ES3_N6thrust23THRUST_200600_302600_NS6detail15normal_iteratorINS9_10device_ptrIxEEEESE_xNS9_4plusIxEExEEDaPvRmT3_T4_T5_mT6_P12ihipStream_tbENKUlT_T0_E_clISt17integral_constantIbLb1EESU_EEDaSP_SQ_EUlSP_E_NS1_11comp_targetILNS1_3genE10ELNS1_11target_archE1200ELNS1_3gpuE4ELNS1_3repE0EEENS1_30default_config_static_selectorELNS0_4arch9wavefront6targetE1EEEvT1_,comdat
	.protected	_ZN7rocprim17ROCPRIM_400000_NS6detail17trampoline_kernelINS0_14default_configENS1_20scan_config_selectorIxEEZZNS1_9scan_implILNS1_25lookback_scan_determinismE0ELb0ELb0ES3_N6thrust23THRUST_200600_302600_NS6detail15normal_iteratorINS9_10device_ptrIxEEEESE_xNS9_4plusIxEExEEDaPvRmT3_T4_T5_mT6_P12ihipStream_tbENKUlT_T0_E_clISt17integral_constantIbLb1EESU_EEDaSP_SQ_EUlSP_E_NS1_11comp_targetILNS1_3genE10ELNS1_11target_archE1200ELNS1_3gpuE4ELNS1_3repE0EEENS1_30default_config_static_selectorELNS0_4arch9wavefront6targetE1EEEvT1_ ; -- Begin function _ZN7rocprim17ROCPRIM_400000_NS6detail17trampoline_kernelINS0_14default_configENS1_20scan_config_selectorIxEEZZNS1_9scan_implILNS1_25lookback_scan_determinismE0ELb0ELb0ES3_N6thrust23THRUST_200600_302600_NS6detail15normal_iteratorINS9_10device_ptrIxEEEESE_xNS9_4plusIxEExEEDaPvRmT3_T4_T5_mT6_P12ihipStream_tbENKUlT_T0_E_clISt17integral_constantIbLb1EESU_EEDaSP_SQ_EUlSP_E_NS1_11comp_targetILNS1_3genE10ELNS1_11target_archE1200ELNS1_3gpuE4ELNS1_3repE0EEENS1_30default_config_static_selectorELNS0_4arch9wavefront6targetE1EEEvT1_
	.globl	_ZN7rocprim17ROCPRIM_400000_NS6detail17trampoline_kernelINS0_14default_configENS1_20scan_config_selectorIxEEZZNS1_9scan_implILNS1_25lookback_scan_determinismE0ELb0ELb0ES3_N6thrust23THRUST_200600_302600_NS6detail15normal_iteratorINS9_10device_ptrIxEEEESE_xNS9_4plusIxEExEEDaPvRmT3_T4_T5_mT6_P12ihipStream_tbENKUlT_T0_E_clISt17integral_constantIbLb1EESU_EEDaSP_SQ_EUlSP_E_NS1_11comp_targetILNS1_3genE10ELNS1_11target_archE1200ELNS1_3gpuE4ELNS1_3repE0EEENS1_30default_config_static_selectorELNS0_4arch9wavefront6targetE1EEEvT1_
	.p2align	8
	.type	_ZN7rocprim17ROCPRIM_400000_NS6detail17trampoline_kernelINS0_14default_configENS1_20scan_config_selectorIxEEZZNS1_9scan_implILNS1_25lookback_scan_determinismE0ELb0ELb0ES3_N6thrust23THRUST_200600_302600_NS6detail15normal_iteratorINS9_10device_ptrIxEEEESE_xNS9_4plusIxEExEEDaPvRmT3_T4_T5_mT6_P12ihipStream_tbENKUlT_T0_E_clISt17integral_constantIbLb1EESU_EEDaSP_SQ_EUlSP_E_NS1_11comp_targetILNS1_3genE10ELNS1_11target_archE1200ELNS1_3gpuE4ELNS1_3repE0EEENS1_30default_config_static_selectorELNS0_4arch9wavefront6targetE1EEEvT1_,@function
_ZN7rocprim17ROCPRIM_400000_NS6detail17trampoline_kernelINS0_14default_configENS1_20scan_config_selectorIxEEZZNS1_9scan_implILNS1_25lookback_scan_determinismE0ELb0ELb0ES3_N6thrust23THRUST_200600_302600_NS6detail15normal_iteratorINS9_10device_ptrIxEEEESE_xNS9_4plusIxEExEEDaPvRmT3_T4_T5_mT6_P12ihipStream_tbENKUlT_T0_E_clISt17integral_constantIbLb1EESU_EEDaSP_SQ_EUlSP_E_NS1_11comp_targetILNS1_3genE10ELNS1_11target_archE1200ELNS1_3gpuE4ELNS1_3repE0EEENS1_30default_config_static_selectorELNS0_4arch9wavefront6targetE1EEEvT1_: ; @_ZN7rocprim17ROCPRIM_400000_NS6detail17trampoline_kernelINS0_14default_configENS1_20scan_config_selectorIxEEZZNS1_9scan_implILNS1_25lookback_scan_determinismE0ELb0ELb0ES3_N6thrust23THRUST_200600_302600_NS6detail15normal_iteratorINS9_10device_ptrIxEEEESE_xNS9_4plusIxEExEEDaPvRmT3_T4_T5_mT6_P12ihipStream_tbENKUlT_T0_E_clISt17integral_constantIbLb1EESU_EEDaSP_SQ_EUlSP_E_NS1_11comp_targetILNS1_3genE10ELNS1_11target_archE1200ELNS1_3gpuE4ELNS1_3repE0EEENS1_30default_config_static_selectorELNS0_4arch9wavefront6targetE1EEEvT1_
; %bb.0:
	.section	.rodata,"a",@progbits
	.p2align	6, 0x0
	.amdhsa_kernel _ZN7rocprim17ROCPRIM_400000_NS6detail17trampoline_kernelINS0_14default_configENS1_20scan_config_selectorIxEEZZNS1_9scan_implILNS1_25lookback_scan_determinismE0ELb0ELb0ES3_N6thrust23THRUST_200600_302600_NS6detail15normal_iteratorINS9_10device_ptrIxEEEESE_xNS9_4plusIxEExEEDaPvRmT3_T4_T5_mT6_P12ihipStream_tbENKUlT_T0_E_clISt17integral_constantIbLb1EESU_EEDaSP_SQ_EUlSP_E_NS1_11comp_targetILNS1_3genE10ELNS1_11target_archE1200ELNS1_3gpuE4ELNS1_3repE0EEENS1_30default_config_static_selectorELNS0_4arch9wavefront6targetE1EEEvT1_
		.amdhsa_group_segment_fixed_size 0
		.amdhsa_private_segment_fixed_size 0
		.amdhsa_kernarg_size 104
		.amdhsa_user_sgpr_count 6
		.amdhsa_user_sgpr_private_segment_buffer 1
		.amdhsa_user_sgpr_dispatch_ptr 0
		.amdhsa_user_sgpr_queue_ptr 0
		.amdhsa_user_sgpr_kernarg_segment_ptr 1
		.amdhsa_user_sgpr_dispatch_id 0
		.amdhsa_user_sgpr_flat_scratch_init 0
		.amdhsa_user_sgpr_kernarg_preload_length 0
		.amdhsa_user_sgpr_kernarg_preload_offset 0
		.amdhsa_user_sgpr_private_segment_size 0
		.amdhsa_uses_dynamic_stack 0
		.amdhsa_system_sgpr_private_segment_wavefront_offset 0
		.amdhsa_system_sgpr_workgroup_id_x 1
		.amdhsa_system_sgpr_workgroup_id_y 0
		.amdhsa_system_sgpr_workgroup_id_z 0
		.amdhsa_system_sgpr_workgroup_info 0
		.amdhsa_system_vgpr_workitem_id 0
		.amdhsa_next_free_vgpr 1
		.amdhsa_next_free_sgpr 0
		.amdhsa_accum_offset 4
		.amdhsa_reserve_vcc 0
		.amdhsa_reserve_flat_scratch 0
		.amdhsa_float_round_mode_32 0
		.amdhsa_float_round_mode_16_64 0
		.amdhsa_float_denorm_mode_32 3
		.amdhsa_float_denorm_mode_16_64 3
		.amdhsa_dx10_clamp 1
		.amdhsa_ieee_mode 1
		.amdhsa_fp16_overflow 0
		.amdhsa_tg_split 0
		.amdhsa_exception_fp_ieee_invalid_op 0
		.amdhsa_exception_fp_denorm_src 0
		.amdhsa_exception_fp_ieee_div_zero 0
		.amdhsa_exception_fp_ieee_overflow 0
		.amdhsa_exception_fp_ieee_underflow 0
		.amdhsa_exception_fp_ieee_inexact 0
		.amdhsa_exception_int_div_zero 0
	.end_amdhsa_kernel
	.section	.text._ZN7rocprim17ROCPRIM_400000_NS6detail17trampoline_kernelINS0_14default_configENS1_20scan_config_selectorIxEEZZNS1_9scan_implILNS1_25lookback_scan_determinismE0ELb0ELb0ES3_N6thrust23THRUST_200600_302600_NS6detail15normal_iteratorINS9_10device_ptrIxEEEESE_xNS9_4plusIxEExEEDaPvRmT3_T4_T5_mT6_P12ihipStream_tbENKUlT_T0_E_clISt17integral_constantIbLb1EESU_EEDaSP_SQ_EUlSP_E_NS1_11comp_targetILNS1_3genE10ELNS1_11target_archE1200ELNS1_3gpuE4ELNS1_3repE0EEENS1_30default_config_static_selectorELNS0_4arch9wavefront6targetE1EEEvT1_,"axG",@progbits,_ZN7rocprim17ROCPRIM_400000_NS6detail17trampoline_kernelINS0_14default_configENS1_20scan_config_selectorIxEEZZNS1_9scan_implILNS1_25lookback_scan_determinismE0ELb0ELb0ES3_N6thrust23THRUST_200600_302600_NS6detail15normal_iteratorINS9_10device_ptrIxEEEESE_xNS9_4plusIxEExEEDaPvRmT3_T4_T5_mT6_P12ihipStream_tbENKUlT_T0_E_clISt17integral_constantIbLb1EESU_EEDaSP_SQ_EUlSP_E_NS1_11comp_targetILNS1_3genE10ELNS1_11target_archE1200ELNS1_3gpuE4ELNS1_3repE0EEENS1_30default_config_static_selectorELNS0_4arch9wavefront6targetE1EEEvT1_,comdat
.Lfunc_end222:
	.size	_ZN7rocprim17ROCPRIM_400000_NS6detail17trampoline_kernelINS0_14default_configENS1_20scan_config_selectorIxEEZZNS1_9scan_implILNS1_25lookback_scan_determinismE0ELb0ELb0ES3_N6thrust23THRUST_200600_302600_NS6detail15normal_iteratorINS9_10device_ptrIxEEEESE_xNS9_4plusIxEExEEDaPvRmT3_T4_T5_mT6_P12ihipStream_tbENKUlT_T0_E_clISt17integral_constantIbLb1EESU_EEDaSP_SQ_EUlSP_E_NS1_11comp_targetILNS1_3genE10ELNS1_11target_archE1200ELNS1_3gpuE4ELNS1_3repE0EEENS1_30default_config_static_selectorELNS0_4arch9wavefront6targetE1EEEvT1_, .Lfunc_end222-_ZN7rocprim17ROCPRIM_400000_NS6detail17trampoline_kernelINS0_14default_configENS1_20scan_config_selectorIxEEZZNS1_9scan_implILNS1_25lookback_scan_determinismE0ELb0ELb0ES3_N6thrust23THRUST_200600_302600_NS6detail15normal_iteratorINS9_10device_ptrIxEEEESE_xNS9_4plusIxEExEEDaPvRmT3_T4_T5_mT6_P12ihipStream_tbENKUlT_T0_E_clISt17integral_constantIbLb1EESU_EEDaSP_SQ_EUlSP_E_NS1_11comp_targetILNS1_3genE10ELNS1_11target_archE1200ELNS1_3gpuE4ELNS1_3repE0EEENS1_30default_config_static_selectorELNS0_4arch9wavefront6targetE1EEEvT1_
                                        ; -- End function
	.section	.AMDGPU.csdata,"",@progbits
; Kernel info:
; codeLenInByte = 0
; NumSgprs: 4
; NumVgprs: 0
; NumAgprs: 0
; TotalNumVgprs: 0
; ScratchSize: 0
; MemoryBound: 0
; FloatMode: 240
; IeeeMode: 1
; LDSByteSize: 0 bytes/workgroup (compile time only)
; SGPRBlocks: 0
; VGPRBlocks: 0
; NumSGPRsForWavesPerEU: 4
; NumVGPRsForWavesPerEU: 1
; AccumOffset: 4
; Occupancy: 8
; WaveLimiterHint : 0
; COMPUTE_PGM_RSRC2:SCRATCH_EN: 0
; COMPUTE_PGM_RSRC2:USER_SGPR: 6
; COMPUTE_PGM_RSRC2:TRAP_HANDLER: 0
; COMPUTE_PGM_RSRC2:TGID_X_EN: 1
; COMPUTE_PGM_RSRC2:TGID_Y_EN: 0
; COMPUTE_PGM_RSRC2:TGID_Z_EN: 0
; COMPUTE_PGM_RSRC2:TIDIG_COMP_CNT: 0
; COMPUTE_PGM_RSRC3_GFX90A:ACCUM_OFFSET: 0
; COMPUTE_PGM_RSRC3_GFX90A:TG_SPLIT: 0
	.section	.text._ZN7rocprim17ROCPRIM_400000_NS6detail17trampoline_kernelINS0_14default_configENS1_20scan_config_selectorIxEEZZNS1_9scan_implILNS1_25lookback_scan_determinismE0ELb0ELb0ES3_N6thrust23THRUST_200600_302600_NS6detail15normal_iteratorINS9_10device_ptrIxEEEESE_xNS9_4plusIxEExEEDaPvRmT3_T4_T5_mT6_P12ihipStream_tbENKUlT_T0_E_clISt17integral_constantIbLb1EESU_EEDaSP_SQ_EUlSP_E_NS1_11comp_targetILNS1_3genE9ELNS1_11target_archE1100ELNS1_3gpuE3ELNS1_3repE0EEENS1_30default_config_static_selectorELNS0_4arch9wavefront6targetE1EEEvT1_,"axG",@progbits,_ZN7rocprim17ROCPRIM_400000_NS6detail17trampoline_kernelINS0_14default_configENS1_20scan_config_selectorIxEEZZNS1_9scan_implILNS1_25lookback_scan_determinismE0ELb0ELb0ES3_N6thrust23THRUST_200600_302600_NS6detail15normal_iteratorINS9_10device_ptrIxEEEESE_xNS9_4plusIxEExEEDaPvRmT3_T4_T5_mT6_P12ihipStream_tbENKUlT_T0_E_clISt17integral_constantIbLb1EESU_EEDaSP_SQ_EUlSP_E_NS1_11comp_targetILNS1_3genE9ELNS1_11target_archE1100ELNS1_3gpuE3ELNS1_3repE0EEENS1_30default_config_static_selectorELNS0_4arch9wavefront6targetE1EEEvT1_,comdat
	.protected	_ZN7rocprim17ROCPRIM_400000_NS6detail17trampoline_kernelINS0_14default_configENS1_20scan_config_selectorIxEEZZNS1_9scan_implILNS1_25lookback_scan_determinismE0ELb0ELb0ES3_N6thrust23THRUST_200600_302600_NS6detail15normal_iteratorINS9_10device_ptrIxEEEESE_xNS9_4plusIxEExEEDaPvRmT3_T4_T5_mT6_P12ihipStream_tbENKUlT_T0_E_clISt17integral_constantIbLb1EESU_EEDaSP_SQ_EUlSP_E_NS1_11comp_targetILNS1_3genE9ELNS1_11target_archE1100ELNS1_3gpuE3ELNS1_3repE0EEENS1_30default_config_static_selectorELNS0_4arch9wavefront6targetE1EEEvT1_ ; -- Begin function _ZN7rocprim17ROCPRIM_400000_NS6detail17trampoline_kernelINS0_14default_configENS1_20scan_config_selectorIxEEZZNS1_9scan_implILNS1_25lookback_scan_determinismE0ELb0ELb0ES3_N6thrust23THRUST_200600_302600_NS6detail15normal_iteratorINS9_10device_ptrIxEEEESE_xNS9_4plusIxEExEEDaPvRmT3_T4_T5_mT6_P12ihipStream_tbENKUlT_T0_E_clISt17integral_constantIbLb1EESU_EEDaSP_SQ_EUlSP_E_NS1_11comp_targetILNS1_3genE9ELNS1_11target_archE1100ELNS1_3gpuE3ELNS1_3repE0EEENS1_30default_config_static_selectorELNS0_4arch9wavefront6targetE1EEEvT1_
	.globl	_ZN7rocprim17ROCPRIM_400000_NS6detail17trampoline_kernelINS0_14default_configENS1_20scan_config_selectorIxEEZZNS1_9scan_implILNS1_25lookback_scan_determinismE0ELb0ELb0ES3_N6thrust23THRUST_200600_302600_NS6detail15normal_iteratorINS9_10device_ptrIxEEEESE_xNS9_4plusIxEExEEDaPvRmT3_T4_T5_mT6_P12ihipStream_tbENKUlT_T0_E_clISt17integral_constantIbLb1EESU_EEDaSP_SQ_EUlSP_E_NS1_11comp_targetILNS1_3genE9ELNS1_11target_archE1100ELNS1_3gpuE3ELNS1_3repE0EEENS1_30default_config_static_selectorELNS0_4arch9wavefront6targetE1EEEvT1_
	.p2align	8
	.type	_ZN7rocprim17ROCPRIM_400000_NS6detail17trampoline_kernelINS0_14default_configENS1_20scan_config_selectorIxEEZZNS1_9scan_implILNS1_25lookback_scan_determinismE0ELb0ELb0ES3_N6thrust23THRUST_200600_302600_NS6detail15normal_iteratorINS9_10device_ptrIxEEEESE_xNS9_4plusIxEExEEDaPvRmT3_T4_T5_mT6_P12ihipStream_tbENKUlT_T0_E_clISt17integral_constantIbLb1EESU_EEDaSP_SQ_EUlSP_E_NS1_11comp_targetILNS1_3genE9ELNS1_11target_archE1100ELNS1_3gpuE3ELNS1_3repE0EEENS1_30default_config_static_selectorELNS0_4arch9wavefront6targetE1EEEvT1_,@function
_ZN7rocprim17ROCPRIM_400000_NS6detail17trampoline_kernelINS0_14default_configENS1_20scan_config_selectorIxEEZZNS1_9scan_implILNS1_25lookback_scan_determinismE0ELb0ELb0ES3_N6thrust23THRUST_200600_302600_NS6detail15normal_iteratorINS9_10device_ptrIxEEEESE_xNS9_4plusIxEExEEDaPvRmT3_T4_T5_mT6_P12ihipStream_tbENKUlT_T0_E_clISt17integral_constantIbLb1EESU_EEDaSP_SQ_EUlSP_E_NS1_11comp_targetILNS1_3genE9ELNS1_11target_archE1100ELNS1_3gpuE3ELNS1_3repE0EEENS1_30default_config_static_selectorELNS0_4arch9wavefront6targetE1EEEvT1_: ; @_ZN7rocprim17ROCPRIM_400000_NS6detail17trampoline_kernelINS0_14default_configENS1_20scan_config_selectorIxEEZZNS1_9scan_implILNS1_25lookback_scan_determinismE0ELb0ELb0ES3_N6thrust23THRUST_200600_302600_NS6detail15normal_iteratorINS9_10device_ptrIxEEEESE_xNS9_4plusIxEExEEDaPvRmT3_T4_T5_mT6_P12ihipStream_tbENKUlT_T0_E_clISt17integral_constantIbLb1EESU_EEDaSP_SQ_EUlSP_E_NS1_11comp_targetILNS1_3genE9ELNS1_11target_archE1100ELNS1_3gpuE3ELNS1_3repE0EEENS1_30default_config_static_selectorELNS0_4arch9wavefront6targetE1EEEvT1_
; %bb.0:
	.section	.rodata,"a",@progbits
	.p2align	6, 0x0
	.amdhsa_kernel _ZN7rocprim17ROCPRIM_400000_NS6detail17trampoline_kernelINS0_14default_configENS1_20scan_config_selectorIxEEZZNS1_9scan_implILNS1_25lookback_scan_determinismE0ELb0ELb0ES3_N6thrust23THRUST_200600_302600_NS6detail15normal_iteratorINS9_10device_ptrIxEEEESE_xNS9_4plusIxEExEEDaPvRmT3_T4_T5_mT6_P12ihipStream_tbENKUlT_T0_E_clISt17integral_constantIbLb1EESU_EEDaSP_SQ_EUlSP_E_NS1_11comp_targetILNS1_3genE9ELNS1_11target_archE1100ELNS1_3gpuE3ELNS1_3repE0EEENS1_30default_config_static_selectorELNS0_4arch9wavefront6targetE1EEEvT1_
		.amdhsa_group_segment_fixed_size 0
		.amdhsa_private_segment_fixed_size 0
		.amdhsa_kernarg_size 104
		.amdhsa_user_sgpr_count 6
		.amdhsa_user_sgpr_private_segment_buffer 1
		.amdhsa_user_sgpr_dispatch_ptr 0
		.amdhsa_user_sgpr_queue_ptr 0
		.amdhsa_user_sgpr_kernarg_segment_ptr 1
		.amdhsa_user_sgpr_dispatch_id 0
		.amdhsa_user_sgpr_flat_scratch_init 0
		.amdhsa_user_sgpr_kernarg_preload_length 0
		.amdhsa_user_sgpr_kernarg_preload_offset 0
		.amdhsa_user_sgpr_private_segment_size 0
		.amdhsa_uses_dynamic_stack 0
		.amdhsa_system_sgpr_private_segment_wavefront_offset 0
		.amdhsa_system_sgpr_workgroup_id_x 1
		.amdhsa_system_sgpr_workgroup_id_y 0
		.amdhsa_system_sgpr_workgroup_id_z 0
		.amdhsa_system_sgpr_workgroup_info 0
		.amdhsa_system_vgpr_workitem_id 0
		.amdhsa_next_free_vgpr 1
		.amdhsa_next_free_sgpr 0
		.amdhsa_accum_offset 4
		.amdhsa_reserve_vcc 0
		.amdhsa_reserve_flat_scratch 0
		.amdhsa_float_round_mode_32 0
		.amdhsa_float_round_mode_16_64 0
		.amdhsa_float_denorm_mode_32 3
		.amdhsa_float_denorm_mode_16_64 3
		.amdhsa_dx10_clamp 1
		.amdhsa_ieee_mode 1
		.amdhsa_fp16_overflow 0
		.amdhsa_tg_split 0
		.amdhsa_exception_fp_ieee_invalid_op 0
		.amdhsa_exception_fp_denorm_src 0
		.amdhsa_exception_fp_ieee_div_zero 0
		.amdhsa_exception_fp_ieee_overflow 0
		.amdhsa_exception_fp_ieee_underflow 0
		.amdhsa_exception_fp_ieee_inexact 0
		.amdhsa_exception_int_div_zero 0
	.end_amdhsa_kernel
	.section	.text._ZN7rocprim17ROCPRIM_400000_NS6detail17trampoline_kernelINS0_14default_configENS1_20scan_config_selectorIxEEZZNS1_9scan_implILNS1_25lookback_scan_determinismE0ELb0ELb0ES3_N6thrust23THRUST_200600_302600_NS6detail15normal_iteratorINS9_10device_ptrIxEEEESE_xNS9_4plusIxEExEEDaPvRmT3_T4_T5_mT6_P12ihipStream_tbENKUlT_T0_E_clISt17integral_constantIbLb1EESU_EEDaSP_SQ_EUlSP_E_NS1_11comp_targetILNS1_3genE9ELNS1_11target_archE1100ELNS1_3gpuE3ELNS1_3repE0EEENS1_30default_config_static_selectorELNS0_4arch9wavefront6targetE1EEEvT1_,"axG",@progbits,_ZN7rocprim17ROCPRIM_400000_NS6detail17trampoline_kernelINS0_14default_configENS1_20scan_config_selectorIxEEZZNS1_9scan_implILNS1_25lookback_scan_determinismE0ELb0ELb0ES3_N6thrust23THRUST_200600_302600_NS6detail15normal_iteratorINS9_10device_ptrIxEEEESE_xNS9_4plusIxEExEEDaPvRmT3_T4_T5_mT6_P12ihipStream_tbENKUlT_T0_E_clISt17integral_constantIbLb1EESU_EEDaSP_SQ_EUlSP_E_NS1_11comp_targetILNS1_3genE9ELNS1_11target_archE1100ELNS1_3gpuE3ELNS1_3repE0EEENS1_30default_config_static_selectorELNS0_4arch9wavefront6targetE1EEEvT1_,comdat
.Lfunc_end223:
	.size	_ZN7rocprim17ROCPRIM_400000_NS6detail17trampoline_kernelINS0_14default_configENS1_20scan_config_selectorIxEEZZNS1_9scan_implILNS1_25lookback_scan_determinismE0ELb0ELb0ES3_N6thrust23THRUST_200600_302600_NS6detail15normal_iteratorINS9_10device_ptrIxEEEESE_xNS9_4plusIxEExEEDaPvRmT3_T4_T5_mT6_P12ihipStream_tbENKUlT_T0_E_clISt17integral_constantIbLb1EESU_EEDaSP_SQ_EUlSP_E_NS1_11comp_targetILNS1_3genE9ELNS1_11target_archE1100ELNS1_3gpuE3ELNS1_3repE0EEENS1_30default_config_static_selectorELNS0_4arch9wavefront6targetE1EEEvT1_, .Lfunc_end223-_ZN7rocprim17ROCPRIM_400000_NS6detail17trampoline_kernelINS0_14default_configENS1_20scan_config_selectorIxEEZZNS1_9scan_implILNS1_25lookback_scan_determinismE0ELb0ELb0ES3_N6thrust23THRUST_200600_302600_NS6detail15normal_iteratorINS9_10device_ptrIxEEEESE_xNS9_4plusIxEExEEDaPvRmT3_T4_T5_mT6_P12ihipStream_tbENKUlT_T0_E_clISt17integral_constantIbLb1EESU_EEDaSP_SQ_EUlSP_E_NS1_11comp_targetILNS1_3genE9ELNS1_11target_archE1100ELNS1_3gpuE3ELNS1_3repE0EEENS1_30default_config_static_selectorELNS0_4arch9wavefront6targetE1EEEvT1_
                                        ; -- End function
	.section	.AMDGPU.csdata,"",@progbits
; Kernel info:
; codeLenInByte = 0
; NumSgprs: 4
; NumVgprs: 0
; NumAgprs: 0
; TotalNumVgprs: 0
; ScratchSize: 0
; MemoryBound: 0
; FloatMode: 240
; IeeeMode: 1
; LDSByteSize: 0 bytes/workgroup (compile time only)
; SGPRBlocks: 0
; VGPRBlocks: 0
; NumSGPRsForWavesPerEU: 4
; NumVGPRsForWavesPerEU: 1
; AccumOffset: 4
; Occupancy: 8
; WaveLimiterHint : 0
; COMPUTE_PGM_RSRC2:SCRATCH_EN: 0
; COMPUTE_PGM_RSRC2:USER_SGPR: 6
; COMPUTE_PGM_RSRC2:TRAP_HANDLER: 0
; COMPUTE_PGM_RSRC2:TGID_X_EN: 1
; COMPUTE_PGM_RSRC2:TGID_Y_EN: 0
; COMPUTE_PGM_RSRC2:TGID_Z_EN: 0
; COMPUTE_PGM_RSRC2:TIDIG_COMP_CNT: 0
; COMPUTE_PGM_RSRC3_GFX90A:ACCUM_OFFSET: 0
; COMPUTE_PGM_RSRC3_GFX90A:TG_SPLIT: 0
	.section	.text._ZN7rocprim17ROCPRIM_400000_NS6detail17trampoline_kernelINS0_14default_configENS1_20scan_config_selectorIxEEZZNS1_9scan_implILNS1_25lookback_scan_determinismE0ELb0ELb0ES3_N6thrust23THRUST_200600_302600_NS6detail15normal_iteratorINS9_10device_ptrIxEEEESE_xNS9_4plusIxEExEEDaPvRmT3_T4_T5_mT6_P12ihipStream_tbENKUlT_T0_E_clISt17integral_constantIbLb1EESU_EEDaSP_SQ_EUlSP_E_NS1_11comp_targetILNS1_3genE8ELNS1_11target_archE1030ELNS1_3gpuE2ELNS1_3repE0EEENS1_30default_config_static_selectorELNS0_4arch9wavefront6targetE1EEEvT1_,"axG",@progbits,_ZN7rocprim17ROCPRIM_400000_NS6detail17trampoline_kernelINS0_14default_configENS1_20scan_config_selectorIxEEZZNS1_9scan_implILNS1_25lookback_scan_determinismE0ELb0ELb0ES3_N6thrust23THRUST_200600_302600_NS6detail15normal_iteratorINS9_10device_ptrIxEEEESE_xNS9_4plusIxEExEEDaPvRmT3_T4_T5_mT6_P12ihipStream_tbENKUlT_T0_E_clISt17integral_constantIbLb1EESU_EEDaSP_SQ_EUlSP_E_NS1_11comp_targetILNS1_3genE8ELNS1_11target_archE1030ELNS1_3gpuE2ELNS1_3repE0EEENS1_30default_config_static_selectorELNS0_4arch9wavefront6targetE1EEEvT1_,comdat
	.protected	_ZN7rocprim17ROCPRIM_400000_NS6detail17trampoline_kernelINS0_14default_configENS1_20scan_config_selectorIxEEZZNS1_9scan_implILNS1_25lookback_scan_determinismE0ELb0ELb0ES3_N6thrust23THRUST_200600_302600_NS6detail15normal_iteratorINS9_10device_ptrIxEEEESE_xNS9_4plusIxEExEEDaPvRmT3_T4_T5_mT6_P12ihipStream_tbENKUlT_T0_E_clISt17integral_constantIbLb1EESU_EEDaSP_SQ_EUlSP_E_NS1_11comp_targetILNS1_3genE8ELNS1_11target_archE1030ELNS1_3gpuE2ELNS1_3repE0EEENS1_30default_config_static_selectorELNS0_4arch9wavefront6targetE1EEEvT1_ ; -- Begin function _ZN7rocprim17ROCPRIM_400000_NS6detail17trampoline_kernelINS0_14default_configENS1_20scan_config_selectorIxEEZZNS1_9scan_implILNS1_25lookback_scan_determinismE0ELb0ELb0ES3_N6thrust23THRUST_200600_302600_NS6detail15normal_iteratorINS9_10device_ptrIxEEEESE_xNS9_4plusIxEExEEDaPvRmT3_T4_T5_mT6_P12ihipStream_tbENKUlT_T0_E_clISt17integral_constantIbLb1EESU_EEDaSP_SQ_EUlSP_E_NS1_11comp_targetILNS1_3genE8ELNS1_11target_archE1030ELNS1_3gpuE2ELNS1_3repE0EEENS1_30default_config_static_selectorELNS0_4arch9wavefront6targetE1EEEvT1_
	.globl	_ZN7rocprim17ROCPRIM_400000_NS6detail17trampoline_kernelINS0_14default_configENS1_20scan_config_selectorIxEEZZNS1_9scan_implILNS1_25lookback_scan_determinismE0ELb0ELb0ES3_N6thrust23THRUST_200600_302600_NS6detail15normal_iteratorINS9_10device_ptrIxEEEESE_xNS9_4plusIxEExEEDaPvRmT3_T4_T5_mT6_P12ihipStream_tbENKUlT_T0_E_clISt17integral_constantIbLb1EESU_EEDaSP_SQ_EUlSP_E_NS1_11comp_targetILNS1_3genE8ELNS1_11target_archE1030ELNS1_3gpuE2ELNS1_3repE0EEENS1_30default_config_static_selectorELNS0_4arch9wavefront6targetE1EEEvT1_
	.p2align	8
	.type	_ZN7rocprim17ROCPRIM_400000_NS6detail17trampoline_kernelINS0_14default_configENS1_20scan_config_selectorIxEEZZNS1_9scan_implILNS1_25lookback_scan_determinismE0ELb0ELb0ES3_N6thrust23THRUST_200600_302600_NS6detail15normal_iteratorINS9_10device_ptrIxEEEESE_xNS9_4plusIxEExEEDaPvRmT3_T4_T5_mT6_P12ihipStream_tbENKUlT_T0_E_clISt17integral_constantIbLb1EESU_EEDaSP_SQ_EUlSP_E_NS1_11comp_targetILNS1_3genE8ELNS1_11target_archE1030ELNS1_3gpuE2ELNS1_3repE0EEENS1_30default_config_static_selectorELNS0_4arch9wavefront6targetE1EEEvT1_,@function
_ZN7rocprim17ROCPRIM_400000_NS6detail17trampoline_kernelINS0_14default_configENS1_20scan_config_selectorIxEEZZNS1_9scan_implILNS1_25lookback_scan_determinismE0ELb0ELb0ES3_N6thrust23THRUST_200600_302600_NS6detail15normal_iteratorINS9_10device_ptrIxEEEESE_xNS9_4plusIxEExEEDaPvRmT3_T4_T5_mT6_P12ihipStream_tbENKUlT_T0_E_clISt17integral_constantIbLb1EESU_EEDaSP_SQ_EUlSP_E_NS1_11comp_targetILNS1_3genE8ELNS1_11target_archE1030ELNS1_3gpuE2ELNS1_3repE0EEENS1_30default_config_static_selectorELNS0_4arch9wavefront6targetE1EEEvT1_: ; @_ZN7rocprim17ROCPRIM_400000_NS6detail17trampoline_kernelINS0_14default_configENS1_20scan_config_selectorIxEEZZNS1_9scan_implILNS1_25lookback_scan_determinismE0ELb0ELb0ES3_N6thrust23THRUST_200600_302600_NS6detail15normal_iteratorINS9_10device_ptrIxEEEESE_xNS9_4plusIxEExEEDaPvRmT3_T4_T5_mT6_P12ihipStream_tbENKUlT_T0_E_clISt17integral_constantIbLb1EESU_EEDaSP_SQ_EUlSP_E_NS1_11comp_targetILNS1_3genE8ELNS1_11target_archE1030ELNS1_3gpuE2ELNS1_3repE0EEENS1_30default_config_static_selectorELNS0_4arch9wavefront6targetE1EEEvT1_
; %bb.0:
	.section	.rodata,"a",@progbits
	.p2align	6, 0x0
	.amdhsa_kernel _ZN7rocprim17ROCPRIM_400000_NS6detail17trampoline_kernelINS0_14default_configENS1_20scan_config_selectorIxEEZZNS1_9scan_implILNS1_25lookback_scan_determinismE0ELb0ELb0ES3_N6thrust23THRUST_200600_302600_NS6detail15normal_iteratorINS9_10device_ptrIxEEEESE_xNS9_4plusIxEExEEDaPvRmT3_T4_T5_mT6_P12ihipStream_tbENKUlT_T0_E_clISt17integral_constantIbLb1EESU_EEDaSP_SQ_EUlSP_E_NS1_11comp_targetILNS1_3genE8ELNS1_11target_archE1030ELNS1_3gpuE2ELNS1_3repE0EEENS1_30default_config_static_selectorELNS0_4arch9wavefront6targetE1EEEvT1_
		.amdhsa_group_segment_fixed_size 0
		.amdhsa_private_segment_fixed_size 0
		.amdhsa_kernarg_size 104
		.amdhsa_user_sgpr_count 6
		.amdhsa_user_sgpr_private_segment_buffer 1
		.amdhsa_user_sgpr_dispatch_ptr 0
		.amdhsa_user_sgpr_queue_ptr 0
		.amdhsa_user_sgpr_kernarg_segment_ptr 1
		.amdhsa_user_sgpr_dispatch_id 0
		.amdhsa_user_sgpr_flat_scratch_init 0
		.amdhsa_user_sgpr_kernarg_preload_length 0
		.amdhsa_user_sgpr_kernarg_preload_offset 0
		.amdhsa_user_sgpr_private_segment_size 0
		.amdhsa_uses_dynamic_stack 0
		.amdhsa_system_sgpr_private_segment_wavefront_offset 0
		.amdhsa_system_sgpr_workgroup_id_x 1
		.amdhsa_system_sgpr_workgroup_id_y 0
		.amdhsa_system_sgpr_workgroup_id_z 0
		.amdhsa_system_sgpr_workgroup_info 0
		.amdhsa_system_vgpr_workitem_id 0
		.amdhsa_next_free_vgpr 1
		.amdhsa_next_free_sgpr 0
		.amdhsa_accum_offset 4
		.amdhsa_reserve_vcc 0
		.amdhsa_reserve_flat_scratch 0
		.amdhsa_float_round_mode_32 0
		.amdhsa_float_round_mode_16_64 0
		.amdhsa_float_denorm_mode_32 3
		.amdhsa_float_denorm_mode_16_64 3
		.amdhsa_dx10_clamp 1
		.amdhsa_ieee_mode 1
		.amdhsa_fp16_overflow 0
		.amdhsa_tg_split 0
		.amdhsa_exception_fp_ieee_invalid_op 0
		.amdhsa_exception_fp_denorm_src 0
		.amdhsa_exception_fp_ieee_div_zero 0
		.amdhsa_exception_fp_ieee_overflow 0
		.amdhsa_exception_fp_ieee_underflow 0
		.amdhsa_exception_fp_ieee_inexact 0
		.amdhsa_exception_int_div_zero 0
	.end_amdhsa_kernel
	.section	.text._ZN7rocprim17ROCPRIM_400000_NS6detail17trampoline_kernelINS0_14default_configENS1_20scan_config_selectorIxEEZZNS1_9scan_implILNS1_25lookback_scan_determinismE0ELb0ELb0ES3_N6thrust23THRUST_200600_302600_NS6detail15normal_iteratorINS9_10device_ptrIxEEEESE_xNS9_4plusIxEExEEDaPvRmT3_T4_T5_mT6_P12ihipStream_tbENKUlT_T0_E_clISt17integral_constantIbLb1EESU_EEDaSP_SQ_EUlSP_E_NS1_11comp_targetILNS1_3genE8ELNS1_11target_archE1030ELNS1_3gpuE2ELNS1_3repE0EEENS1_30default_config_static_selectorELNS0_4arch9wavefront6targetE1EEEvT1_,"axG",@progbits,_ZN7rocprim17ROCPRIM_400000_NS6detail17trampoline_kernelINS0_14default_configENS1_20scan_config_selectorIxEEZZNS1_9scan_implILNS1_25lookback_scan_determinismE0ELb0ELb0ES3_N6thrust23THRUST_200600_302600_NS6detail15normal_iteratorINS9_10device_ptrIxEEEESE_xNS9_4plusIxEExEEDaPvRmT3_T4_T5_mT6_P12ihipStream_tbENKUlT_T0_E_clISt17integral_constantIbLb1EESU_EEDaSP_SQ_EUlSP_E_NS1_11comp_targetILNS1_3genE8ELNS1_11target_archE1030ELNS1_3gpuE2ELNS1_3repE0EEENS1_30default_config_static_selectorELNS0_4arch9wavefront6targetE1EEEvT1_,comdat
.Lfunc_end224:
	.size	_ZN7rocprim17ROCPRIM_400000_NS6detail17trampoline_kernelINS0_14default_configENS1_20scan_config_selectorIxEEZZNS1_9scan_implILNS1_25lookback_scan_determinismE0ELb0ELb0ES3_N6thrust23THRUST_200600_302600_NS6detail15normal_iteratorINS9_10device_ptrIxEEEESE_xNS9_4plusIxEExEEDaPvRmT3_T4_T5_mT6_P12ihipStream_tbENKUlT_T0_E_clISt17integral_constantIbLb1EESU_EEDaSP_SQ_EUlSP_E_NS1_11comp_targetILNS1_3genE8ELNS1_11target_archE1030ELNS1_3gpuE2ELNS1_3repE0EEENS1_30default_config_static_selectorELNS0_4arch9wavefront6targetE1EEEvT1_, .Lfunc_end224-_ZN7rocprim17ROCPRIM_400000_NS6detail17trampoline_kernelINS0_14default_configENS1_20scan_config_selectorIxEEZZNS1_9scan_implILNS1_25lookback_scan_determinismE0ELb0ELb0ES3_N6thrust23THRUST_200600_302600_NS6detail15normal_iteratorINS9_10device_ptrIxEEEESE_xNS9_4plusIxEExEEDaPvRmT3_T4_T5_mT6_P12ihipStream_tbENKUlT_T0_E_clISt17integral_constantIbLb1EESU_EEDaSP_SQ_EUlSP_E_NS1_11comp_targetILNS1_3genE8ELNS1_11target_archE1030ELNS1_3gpuE2ELNS1_3repE0EEENS1_30default_config_static_selectorELNS0_4arch9wavefront6targetE1EEEvT1_
                                        ; -- End function
	.section	.AMDGPU.csdata,"",@progbits
; Kernel info:
; codeLenInByte = 0
; NumSgprs: 4
; NumVgprs: 0
; NumAgprs: 0
; TotalNumVgprs: 0
; ScratchSize: 0
; MemoryBound: 0
; FloatMode: 240
; IeeeMode: 1
; LDSByteSize: 0 bytes/workgroup (compile time only)
; SGPRBlocks: 0
; VGPRBlocks: 0
; NumSGPRsForWavesPerEU: 4
; NumVGPRsForWavesPerEU: 1
; AccumOffset: 4
; Occupancy: 8
; WaveLimiterHint : 0
; COMPUTE_PGM_RSRC2:SCRATCH_EN: 0
; COMPUTE_PGM_RSRC2:USER_SGPR: 6
; COMPUTE_PGM_RSRC2:TRAP_HANDLER: 0
; COMPUTE_PGM_RSRC2:TGID_X_EN: 1
; COMPUTE_PGM_RSRC2:TGID_Y_EN: 0
; COMPUTE_PGM_RSRC2:TGID_Z_EN: 0
; COMPUTE_PGM_RSRC2:TIDIG_COMP_CNT: 0
; COMPUTE_PGM_RSRC3_GFX90A:ACCUM_OFFSET: 0
; COMPUTE_PGM_RSRC3_GFX90A:TG_SPLIT: 0
	.section	.text._ZN7rocprim17ROCPRIM_400000_NS6detail17trampoline_kernelINS0_14default_configENS1_20scan_config_selectorIxEEZZNS1_9scan_implILNS1_25lookback_scan_determinismE0ELb0ELb0ES3_N6thrust23THRUST_200600_302600_NS6detail15normal_iteratorINS9_10device_ptrIxEEEESE_xNS9_4plusIxEExEEDaPvRmT3_T4_T5_mT6_P12ihipStream_tbENKUlT_T0_E_clISt17integral_constantIbLb1EESU_EEDaSP_SQ_EUlSP_E0_NS1_11comp_targetILNS1_3genE0ELNS1_11target_archE4294967295ELNS1_3gpuE0ELNS1_3repE0EEENS1_30default_config_static_selectorELNS0_4arch9wavefront6targetE1EEEvT1_,"axG",@progbits,_ZN7rocprim17ROCPRIM_400000_NS6detail17trampoline_kernelINS0_14default_configENS1_20scan_config_selectorIxEEZZNS1_9scan_implILNS1_25lookback_scan_determinismE0ELb0ELb0ES3_N6thrust23THRUST_200600_302600_NS6detail15normal_iteratorINS9_10device_ptrIxEEEESE_xNS9_4plusIxEExEEDaPvRmT3_T4_T5_mT6_P12ihipStream_tbENKUlT_T0_E_clISt17integral_constantIbLb1EESU_EEDaSP_SQ_EUlSP_E0_NS1_11comp_targetILNS1_3genE0ELNS1_11target_archE4294967295ELNS1_3gpuE0ELNS1_3repE0EEENS1_30default_config_static_selectorELNS0_4arch9wavefront6targetE1EEEvT1_,comdat
	.protected	_ZN7rocprim17ROCPRIM_400000_NS6detail17trampoline_kernelINS0_14default_configENS1_20scan_config_selectorIxEEZZNS1_9scan_implILNS1_25lookback_scan_determinismE0ELb0ELb0ES3_N6thrust23THRUST_200600_302600_NS6detail15normal_iteratorINS9_10device_ptrIxEEEESE_xNS9_4plusIxEExEEDaPvRmT3_T4_T5_mT6_P12ihipStream_tbENKUlT_T0_E_clISt17integral_constantIbLb1EESU_EEDaSP_SQ_EUlSP_E0_NS1_11comp_targetILNS1_3genE0ELNS1_11target_archE4294967295ELNS1_3gpuE0ELNS1_3repE0EEENS1_30default_config_static_selectorELNS0_4arch9wavefront6targetE1EEEvT1_ ; -- Begin function _ZN7rocprim17ROCPRIM_400000_NS6detail17trampoline_kernelINS0_14default_configENS1_20scan_config_selectorIxEEZZNS1_9scan_implILNS1_25lookback_scan_determinismE0ELb0ELb0ES3_N6thrust23THRUST_200600_302600_NS6detail15normal_iteratorINS9_10device_ptrIxEEEESE_xNS9_4plusIxEExEEDaPvRmT3_T4_T5_mT6_P12ihipStream_tbENKUlT_T0_E_clISt17integral_constantIbLb1EESU_EEDaSP_SQ_EUlSP_E0_NS1_11comp_targetILNS1_3genE0ELNS1_11target_archE4294967295ELNS1_3gpuE0ELNS1_3repE0EEENS1_30default_config_static_selectorELNS0_4arch9wavefront6targetE1EEEvT1_
	.globl	_ZN7rocprim17ROCPRIM_400000_NS6detail17trampoline_kernelINS0_14default_configENS1_20scan_config_selectorIxEEZZNS1_9scan_implILNS1_25lookback_scan_determinismE0ELb0ELb0ES3_N6thrust23THRUST_200600_302600_NS6detail15normal_iteratorINS9_10device_ptrIxEEEESE_xNS9_4plusIxEExEEDaPvRmT3_T4_T5_mT6_P12ihipStream_tbENKUlT_T0_E_clISt17integral_constantIbLb1EESU_EEDaSP_SQ_EUlSP_E0_NS1_11comp_targetILNS1_3genE0ELNS1_11target_archE4294967295ELNS1_3gpuE0ELNS1_3repE0EEENS1_30default_config_static_selectorELNS0_4arch9wavefront6targetE1EEEvT1_
	.p2align	8
	.type	_ZN7rocprim17ROCPRIM_400000_NS6detail17trampoline_kernelINS0_14default_configENS1_20scan_config_selectorIxEEZZNS1_9scan_implILNS1_25lookback_scan_determinismE0ELb0ELb0ES3_N6thrust23THRUST_200600_302600_NS6detail15normal_iteratorINS9_10device_ptrIxEEEESE_xNS9_4plusIxEExEEDaPvRmT3_T4_T5_mT6_P12ihipStream_tbENKUlT_T0_E_clISt17integral_constantIbLb1EESU_EEDaSP_SQ_EUlSP_E0_NS1_11comp_targetILNS1_3genE0ELNS1_11target_archE4294967295ELNS1_3gpuE0ELNS1_3repE0EEENS1_30default_config_static_selectorELNS0_4arch9wavefront6targetE1EEEvT1_,@function
_ZN7rocprim17ROCPRIM_400000_NS6detail17trampoline_kernelINS0_14default_configENS1_20scan_config_selectorIxEEZZNS1_9scan_implILNS1_25lookback_scan_determinismE0ELb0ELb0ES3_N6thrust23THRUST_200600_302600_NS6detail15normal_iteratorINS9_10device_ptrIxEEEESE_xNS9_4plusIxEExEEDaPvRmT3_T4_T5_mT6_P12ihipStream_tbENKUlT_T0_E_clISt17integral_constantIbLb1EESU_EEDaSP_SQ_EUlSP_E0_NS1_11comp_targetILNS1_3genE0ELNS1_11target_archE4294967295ELNS1_3gpuE0ELNS1_3repE0EEENS1_30default_config_static_selectorELNS0_4arch9wavefront6targetE1EEEvT1_: ; @_ZN7rocprim17ROCPRIM_400000_NS6detail17trampoline_kernelINS0_14default_configENS1_20scan_config_selectorIxEEZZNS1_9scan_implILNS1_25lookback_scan_determinismE0ELb0ELb0ES3_N6thrust23THRUST_200600_302600_NS6detail15normal_iteratorINS9_10device_ptrIxEEEESE_xNS9_4plusIxEExEEDaPvRmT3_T4_T5_mT6_P12ihipStream_tbENKUlT_T0_E_clISt17integral_constantIbLb1EESU_EEDaSP_SQ_EUlSP_E0_NS1_11comp_targetILNS1_3genE0ELNS1_11target_archE4294967295ELNS1_3gpuE0ELNS1_3repE0EEENS1_30default_config_static_selectorELNS0_4arch9wavefront6targetE1EEEvT1_
; %bb.0:
	.section	.rodata,"a",@progbits
	.p2align	6, 0x0
	.amdhsa_kernel _ZN7rocprim17ROCPRIM_400000_NS6detail17trampoline_kernelINS0_14default_configENS1_20scan_config_selectorIxEEZZNS1_9scan_implILNS1_25lookback_scan_determinismE0ELb0ELb0ES3_N6thrust23THRUST_200600_302600_NS6detail15normal_iteratorINS9_10device_ptrIxEEEESE_xNS9_4plusIxEExEEDaPvRmT3_T4_T5_mT6_P12ihipStream_tbENKUlT_T0_E_clISt17integral_constantIbLb1EESU_EEDaSP_SQ_EUlSP_E0_NS1_11comp_targetILNS1_3genE0ELNS1_11target_archE4294967295ELNS1_3gpuE0ELNS1_3repE0EEENS1_30default_config_static_selectorELNS0_4arch9wavefront6targetE1EEEvT1_
		.amdhsa_group_segment_fixed_size 0
		.amdhsa_private_segment_fixed_size 0
		.amdhsa_kernarg_size 40
		.amdhsa_user_sgpr_count 6
		.amdhsa_user_sgpr_private_segment_buffer 1
		.amdhsa_user_sgpr_dispatch_ptr 0
		.amdhsa_user_sgpr_queue_ptr 0
		.amdhsa_user_sgpr_kernarg_segment_ptr 1
		.amdhsa_user_sgpr_dispatch_id 0
		.amdhsa_user_sgpr_flat_scratch_init 0
		.amdhsa_user_sgpr_kernarg_preload_length 0
		.amdhsa_user_sgpr_kernarg_preload_offset 0
		.amdhsa_user_sgpr_private_segment_size 0
		.amdhsa_uses_dynamic_stack 0
		.amdhsa_system_sgpr_private_segment_wavefront_offset 0
		.amdhsa_system_sgpr_workgroup_id_x 1
		.amdhsa_system_sgpr_workgroup_id_y 0
		.amdhsa_system_sgpr_workgroup_id_z 0
		.amdhsa_system_sgpr_workgroup_info 0
		.amdhsa_system_vgpr_workitem_id 0
		.amdhsa_next_free_vgpr 1
		.amdhsa_next_free_sgpr 0
		.amdhsa_accum_offset 4
		.amdhsa_reserve_vcc 0
		.amdhsa_reserve_flat_scratch 0
		.amdhsa_float_round_mode_32 0
		.amdhsa_float_round_mode_16_64 0
		.amdhsa_float_denorm_mode_32 3
		.amdhsa_float_denorm_mode_16_64 3
		.amdhsa_dx10_clamp 1
		.amdhsa_ieee_mode 1
		.amdhsa_fp16_overflow 0
		.amdhsa_tg_split 0
		.amdhsa_exception_fp_ieee_invalid_op 0
		.amdhsa_exception_fp_denorm_src 0
		.amdhsa_exception_fp_ieee_div_zero 0
		.amdhsa_exception_fp_ieee_overflow 0
		.amdhsa_exception_fp_ieee_underflow 0
		.amdhsa_exception_fp_ieee_inexact 0
		.amdhsa_exception_int_div_zero 0
	.end_amdhsa_kernel
	.section	.text._ZN7rocprim17ROCPRIM_400000_NS6detail17trampoline_kernelINS0_14default_configENS1_20scan_config_selectorIxEEZZNS1_9scan_implILNS1_25lookback_scan_determinismE0ELb0ELb0ES3_N6thrust23THRUST_200600_302600_NS6detail15normal_iteratorINS9_10device_ptrIxEEEESE_xNS9_4plusIxEExEEDaPvRmT3_T4_T5_mT6_P12ihipStream_tbENKUlT_T0_E_clISt17integral_constantIbLb1EESU_EEDaSP_SQ_EUlSP_E0_NS1_11comp_targetILNS1_3genE0ELNS1_11target_archE4294967295ELNS1_3gpuE0ELNS1_3repE0EEENS1_30default_config_static_selectorELNS0_4arch9wavefront6targetE1EEEvT1_,"axG",@progbits,_ZN7rocprim17ROCPRIM_400000_NS6detail17trampoline_kernelINS0_14default_configENS1_20scan_config_selectorIxEEZZNS1_9scan_implILNS1_25lookback_scan_determinismE0ELb0ELb0ES3_N6thrust23THRUST_200600_302600_NS6detail15normal_iteratorINS9_10device_ptrIxEEEESE_xNS9_4plusIxEExEEDaPvRmT3_T4_T5_mT6_P12ihipStream_tbENKUlT_T0_E_clISt17integral_constantIbLb1EESU_EEDaSP_SQ_EUlSP_E0_NS1_11comp_targetILNS1_3genE0ELNS1_11target_archE4294967295ELNS1_3gpuE0ELNS1_3repE0EEENS1_30default_config_static_selectorELNS0_4arch9wavefront6targetE1EEEvT1_,comdat
.Lfunc_end225:
	.size	_ZN7rocprim17ROCPRIM_400000_NS6detail17trampoline_kernelINS0_14default_configENS1_20scan_config_selectorIxEEZZNS1_9scan_implILNS1_25lookback_scan_determinismE0ELb0ELb0ES3_N6thrust23THRUST_200600_302600_NS6detail15normal_iteratorINS9_10device_ptrIxEEEESE_xNS9_4plusIxEExEEDaPvRmT3_T4_T5_mT6_P12ihipStream_tbENKUlT_T0_E_clISt17integral_constantIbLb1EESU_EEDaSP_SQ_EUlSP_E0_NS1_11comp_targetILNS1_3genE0ELNS1_11target_archE4294967295ELNS1_3gpuE0ELNS1_3repE0EEENS1_30default_config_static_selectorELNS0_4arch9wavefront6targetE1EEEvT1_, .Lfunc_end225-_ZN7rocprim17ROCPRIM_400000_NS6detail17trampoline_kernelINS0_14default_configENS1_20scan_config_selectorIxEEZZNS1_9scan_implILNS1_25lookback_scan_determinismE0ELb0ELb0ES3_N6thrust23THRUST_200600_302600_NS6detail15normal_iteratorINS9_10device_ptrIxEEEESE_xNS9_4plusIxEExEEDaPvRmT3_T4_T5_mT6_P12ihipStream_tbENKUlT_T0_E_clISt17integral_constantIbLb1EESU_EEDaSP_SQ_EUlSP_E0_NS1_11comp_targetILNS1_3genE0ELNS1_11target_archE4294967295ELNS1_3gpuE0ELNS1_3repE0EEENS1_30default_config_static_selectorELNS0_4arch9wavefront6targetE1EEEvT1_
                                        ; -- End function
	.section	.AMDGPU.csdata,"",@progbits
; Kernel info:
; codeLenInByte = 0
; NumSgprs: 4
; NumVgprs: 0
; NumAgprs: 0
; TotalNumVgprs: 0
; ScratchSize: 0
; MemoryBound: 0
; FloatMode: 240
; IeeeMode: 1
; LDSByteSize: 0 bytes/workgroup (compile time only)
; SGPRBlocks: 0
; VGPRBlocks: 0
; NumSGPRsForWavesPerEU: 4
; NumVGPRsForWavesPerEU: 1
; AccumOffset: 4
; Occupancy: 8
; WaveLimiterHint : 0
; COMPUTE_PGM_RSRC2:SCRATCH_EN: 0
; COMPUTE_PGM_RSRC2:USER_SGPR: 6
; COMPUTE_PGM_RSRC2:TRAP_HANDLER: 0
; COMPUTE_PGM_RSRC2:TGID_X_EN: 1
; COMPUTE_PGM_RSRC2:TGID_Y_EN: 0
; COMPUTE_PGM_RSRC2:TGID_Z_EN: 0
; COMPUTE_PGM_RSRC2:TIDIG_COMP_CNT: 0
; COMPUTE_PGM_RSRC3_GFX90A:ACCUM_OFFSET: 0
; COMPUTE_PGM_RSRC3_GFX90A:TG_SPLIT: 0
	.section	.text._ZN7rocprim17ROCPRIM_400000_NS6detail17trampoline_kernelINS0_14default_configENS1_20scan_config_selectorIxEEZZNS1_9scan_implILNS1_25lookback_scan_determinismE0ELb0ELb0ES3_N6thrust23THRUST_200600_302600_NS6detail15normal_iteratorINS9_10device_ptrIxEEEESE_xNS9_4plusIxEExEEDaPvRmT3_T4_T5_mT6_P12ihipStream_tbENKUlT_T0_E_clISt17integral_constantIbLb1EESU_EEDaSP_SQ_EUlSP_E0_NS1_11comp_targetILNS1_3genE5ELNS1_11target_archE942ELNS1_3gpuE9ELNS1_3repE0EEENS1_30default_config_static_selectorELNS0_4arch9wavefront6targetE1EEEvT1_,"axG",@progbits,_ZN7rocprim17ROCPRIM_400000_NS6detail17trampoline_kernelINS0_14default_configENS1_20scan_config_selectorIxEEZZNS1_9scan_implILNS1_25lookback_scan_determinismE0ELb0ELb0ES3_N6thrust23THRUST_200600_302600_NS6detail15normal_iteratorINS9_10device_ptrIxEEEESE_xNS9_4plusIxEExEEDaPvRmT3_T4_T5_mT6_P12ihipStream_tbENKUlT_T0_E_clISt17integral_constantIbLb1EESU_EEDaSP_SQ_EUlSP_E0_NS1_11comp_targetILNS1_3genE5ELNS1_11target_archE942ELNS1_3gpuE9ELNS1_3repE0EEENS1_30default_config_static_selectorELNS0_4arch9wavefront6targetE1EEEvT1_,comdat
	.protected	_ZN7rocprim17ROCPRIM_400000_NS6detail17trampoline_kernelINS0_14default_configENS1_20scan_config_selectorIxEEZZNS1_9scan_implILNS1_25lookback_scan_determinismE0ELb0ELb0ES3_N6thrust23THRUST_200600_302600_NS6detail15normal_iteratorINS9_10device_ptrIxEEEESE_xNS9_4plusIxEExEEDaPvRmT3_T4_T5_mT6_P12ihipStream_tbENKUlT_T0_E_clISt17integral_constantIbLb1EESU_EEDaSP_SQ_EUlSP_E0_NS1_11comp_targetILNS1_3genE5ELNS1_11target_archE942ELNS1_3gpuE9ELNS1_3repE0EEENS1_30default_config_static_selectorELNS0_4arch9wavefront6targetE1EEEvT1_ ; -- Begin function _ZN7rocprim17ROCPRIM_400000_NS6detail17trampoline_kernelINS0_14default_configENS1_20scan_config_selectorIxEEZZNS1_9scan_implILNS1_25lookback_scan_determinismE0ELb0ELb0ES3_N6thrust23THRUST_200600_302600_NS6detail15normal_iteratorINS9_10device_ptrIxEEEESE_xNS9_4plusIxEExEEDaPvRmT3_T4_T5_mT6_P12ihipStream_tbENKUlT_T0_E_clISt17integral_constantIbLb1EESU_EEDaSP_SQ_EUlSP_E0_NS1_11comp_targetILNS1_3genE5ELNS1_11target_archE942ELNS1_3gpuE9ELNS1_3repE0EEENS1_30default_config_static_selectorELNS0_4arch9wavefront6targetE1EEEvT1_
	.globl	_ZN7rocprim17ROCPRIM_400000_NS6detail17trampoline_kernelINS0_14default_configENS1_20scan_config_selectorIxEEZZNS1_9scan_implILNS1_25lookback_scan_determinismE0ELb0ELb0ES3_N6thrust23THRUST_200600_302600_NS6detail15normal_iteratorINS9_10device_ptrIxEEEESE_xNS9_4plusIxEExEEDaPvRmT3_T4_T5_mT6_P12ihipStream_tbENKUlT_T0_E_clISt17integral_constantIbLb1EESU_EEDaSP_SQ_EUlSP_E0_NS1_11comp_targetILNS1_3genE5ELNS1_11target_archE942ELNS1_3gpuE9ELNS1_3repE0EEENS1_30default_config_static_selectorELNS0_4arch9wavefront6targetE1EEEvT1_
	.p2align	8
	.type	_ZN7rocprim17ROCPRIM_400000_NS6detail17trampoline_kernelINS0_14default_configENS1_20scan_config_selectorIxEEZZNS1_9scan_implILNS1_25lookback_scan_determinismE0ELb0ELb0ES3_N6thrust23THRUST_200600_302600_NS6detail15normal_iteratorINS9_10device_ptrIxEEEESE_xNS9_4plusIxEExEEDaPvRmT3_T4_T5_mT6_P12ihipStream_tbENKUlT_T0_E_clISt17integral_constantIbLb1EESU_EEDaSP_SQ_EUlSP_E0_NS1_11comp_targetILNS1_3genE5ELNS1_11target_archE942ELNS1_3gpuE9ELNS1_3repE0EEENS1_30default_config_static_selectorELNS0_4arch9wavefront6targetE1EEEvT1_,@function
_ZN7rocprim17ROCPRIM_400000_NS6detail17trampoline_kernelINS0_14default_configENS1_20scan_config_selectorIxEEZZNS1_9scan_implILNS1_25lookback_scan_determinismE0ELb0ELb0ES3_N6thrust23THRUST_200600_302600_NS6detail15normal_iteratorINS9_10device_ptrIxEEEESE_xNS9_4plusIxEExEEDaPvRmT3_T4_T5_mT6_P12ihipStream_tbENKUlT_T0_E_clISt17integral_constantIbLb1EESU_EEDaSP_SQ_EUlSP_E0_NS1_11comp_targetILNS1_3genE5ELNS1_11target_archE942ELNS1_3gpuE9ELNS1_3repE0EEENS1_30default_config_static_selectorELNS0_4arch9wavefront6targetE1EEEvT1_: ; @_ZN7rocprim17ROCPRIM_400000_NS6detail17trampoline_kernelINS0_14default_configENS1_20scan_config_selectorIxEEZZNS1_9scan_implILNS1_25lookback_scan_determinismE0ELb0ELb0ES3_N6thrust23THRUST_200600_302600_NS6detail15normal_iteratorINS9_10device_ptrIxEEEESE_xNS9_4plusIxEExEEDaPvRmT3_T4_T5_mT6_P12ihipStream_tbENKUlT_T0_E_clISt17integral_constantIbLb1EESU_EEDaSP_SQ_EUlSP_E0_NS1_11comp_targetILNS1_3genE5ELNS1_11target_archE942ELNS1_3gpuE9ELNS1_3repE0EEENS1_30default_config_static_selectorELNS0_4arch9wavefront6targetE1EEEvT1_
; %bb.0:
	.section	.rodata,"a",@progbits
	.p2align	6, 0x0
	.amdhsa_kernel _ZN7rocprim17ROCPRIM_400000_NS6detail17trampoline_kernelINS0_14default_configENS1_20scan_config_selectorIxEEZZNS1_9scan_implILNS1_25lookback_scan_determinismE0ELb0ELb0ES3_N6thrust23THRUST_200600_302600_NS6detail15normal_iteratorINS9_10device_ptrIxEEEESE_xNS9_4plusIxEExEEDaPvRmT3_T4_T5_mT6_P12ihipStream_tbENKUlT_T0_E_clISt17integral_constantIbLb1EESU_EEDaSP_SQ_EUlSP_E0_NS1_11comp_targetILNS1_3genE5ELNS1_11target_archE942ELNS1_3gpuE9ELNS1_3repE0EEENS1_30default_config_static_selectorELNS0_4arch9wavefront6targetE1EEEvT1_
		.amdhsa_group_segment_fixed_size 0
		.amdhsa_private_segment_fixed_size 0
		.amdhsa_kernarg_size 40
		.amdhsa_user_sgpr_count 6
		.amdhsa_user_sgpr_private_segment_buffer 1
		.amdhsa_user_sgpr_dispatch_ptr 0
		.amdhsa_user_sgpr_queue_ptr 0
		.amdhsa_user_sgpr_kernarg_segment_ptr 1
		.amdhsa_user_sgpr_dispatch_id 0
		.amdhsa_user_sgpr_flat_scratch_init 0
		.amdhsa_user_sgpr_kernarg_preload_length 0
		.amdhsa_user_sgpr_kernarg_preload_offset 0
		.amdhsa_user_sgpr_private_segment_size 0
		.amdhsa_uses_dynamic_stack 0
		.amdhsa_system_sgpr_private_segment_wavefront_offset 0
		.amdhsa_system_sgpr_workgroup_id_x 1
		.amdhsa_system_sgpr_workgroup_id_y 0
		.amdhsa_system_sgpr_workgroup_id_z 0
		.amdhsa_system_sgpr_workgroup_info 0
		.amdhsa_system_vgpr_workitem_id 0
		.amdhsa_next_free_vgpr 1
		.amdhsa_next_free_sgpr 0
		.amdhsa_accum_offset 4
		.amdhsa_reserve_vcc 0
		.amdhsa_reserve_flat_scratch 0
		.amdhsa_float_round_mode_32 0
		.amdhsa_float_round_mode_16_64 0
		.amdhsa_float_denorm_mode_32 3
		.amdhsa_float_denorm_mode_16_64 3
		.amdhsa_dx10_clamp 1
		.amdhsa_ieee_mode 1
		.amdhsa_fp16_overflow 0
		.amdhsa_tg_split 0
		.amdhsa_exception_fp_ieee_invalid_op 0
		.amdhsa_exception_fp_denorm_src 0
		.amdhsa_exception_fp_ieee_div_zero 0
		.amdhsa_exception_fp_ieee_overflow 0
		.amdhsa_exception_fp_ieee_underflow 0
		.amdhsa_exception_fp_ieee_inexact 0
		.amdhsa_exception_int_div_zero 0
	.end_amdhsa_kernel
	.section	.text._ZN7rocprim17ROCPRIM_400000_NS6detail17trampoline_kernelINS0_14default_configENS1_20scan_config_selectorIxEEZZNS1_9scan_implILNS1_25lookback_scan_determinismE0ELb0ELb0ES3_N6thrust23THRUST_200600_302600_NS6detail15normal_iteratorINS9_10device_ptrIxEEEESE_xNS9_4plusIxEExEEDaPvRmT3_T4_T5_mT6_P12ihipStream_tbENKUlT_T0_E_clISt17integral_constantIbLb1EESU_EEDaSP_SQ_EUlSP_E0_NS1_11comp_targetILNS1_3genE5ELNS1_11target_archE942ELNS1_3gpuE9ELNS1_3repE0EEENS1_30default_config_static_selectorELNS0_4arch9wavefront6targetE1EEEvT1_,"axG",@progbits,_ZN7rocprim17ROCPRIM_400000_NS6detail17trampoline_kernelINS0_14default_configENS1_20scan_config_selectorIxEEZZNS1_9scan_implILNS1_25lookback_scan_determinismE0ELb0ELb0ES3_N6thrust23THRUST_200600_302600_NS6detail15normal_iteratorINS9_10device_ptrIxEEEESE_xNS9_4plusIxEExEEDaPvRmT3_T4_T5_mT6_P12ihipStream_tbENKUlT_T0_E_clISt17integral_constantIbLb1EESU_EEDaSP_SQ_EUlSP_E0_NS1_11comp_targetILNS1_3genE5ELNS1_11target_archE942ELNS1_3gpuE9ELNS1_3repE0EEENS1_30default_config_static_selectorELNS0_4arch9wavefront6targetE1EEEvT1_,comdat
.Lfunc_end226:
	.size	_ZN7rocprim17ROCPRIM_400000_NS6detail17trampoline_kernelINS0_14default_configENS1_20scan_config_selectorIxEEZZNS1_9scan_implILNS1_25lookback_scan_determinismE0ELb0ELb0ES3_N6thrust23THRUST_200600_302600_NS6detail15normal_iteratorINS9_10device_ptrIxEEEESE_xNS9_4plusIxEExEEDaPvRmT3_T4_T5_mT6_P12ihipStream_tbENKUlT_T0_E_clISt17integral_constantIbLb1EESU_EEDaSP_SQ_EUlSP_E0_NS1_11comp_targetILNS1_3genE5ELNS1_11target_archE942ELNS1_3gpuE9ELNS1_3repE0EEENS1_30default_config_static_selectorELNS0_4arch9wavefront6targetE1EEEvT1_, .Lfunc_end226-_ZN7rocprim17ROCPRIM_400000_NS6detail17trampoline_kernelINS0_14default_configENS1_20scan_config_selectorIxEEZZNS1_9scan_implILNS1_25lookback_scan_determinismE0ELb0ELb0ES3_N6thrust23THRUST_200600_302600_NS6detail15normal_iteratorINS9_10device_ptrIxEEEESE_xNS9_4plusIxEExEEDaPvRmT3_T4_T5_mT6_P12ihipStream_tbENKUlT_T0_E_clISt17integral_constantIbLb1EESU_EEDaSP_SQ_EUlSP_E0_NS1_11comp_targetILNS1_3genE5ELNS1_11target_archE942ELNS1_3gpuE9ELNS1_3repE0EEENS1_30default_config_static_selectorELNS0_4arch9wavefront6targetE1EEEvT1_
                                        ; -- End function
	.section	.AMDGPU.csdata,"",@progbits
; Kernel info:
; codeLenInByte = 0
; NumSgprs: 4
; NumVgprs: 0
; NumAgprs: 0
; TotalNumVgprs: 0
; ScratchSize: 0
; MemoryBound: 0
; FloatMode: 240
; IeeeMode: 1
; LDSByteSize: 0 bytes/workgroup (compile time only)
; SGPRBlocks: 0
; VGPRBlocks: 0
; NumSGPRsForWavesPerEU: 4
; NumVGPRsForWavesPerEU: 1
; AccumOffset: 4
; Occupancy: 8
; WaveLimiterHint : 0
; COMPUTE_PGM_RSRC2:SCRATCH_EN: 0
; COMPUTE_PGM_RSRC2:USER_SGPR: 6
; COMPUTE_PGM_RSRC2:TRAP_HANDLER: 0
; COMPUTE_PGM_RSRC2:TGID_X_EN: 1
; COMPUTE_PGM_RSRC2:TGID_Y_EN: 0
; COMPUTE_PGM_RSRC2:TGID_Z_EN: 0
; COMPUTE_PGM_RSRC2:TIDIG_COMP_CNT: 0
; COMPUTE_PGM_RSRC3_GFX90A:ACCUM_OFFSET: 0
; COMPUTE_PGM_RSRC3_GFX90A:TG_SPLIT: 0
	.section	.text._ZN7rocprim17ROCPRIM_400000_NS6detail17trampoline_kernelINS0_14default_configENS1_20scan_config_selectorIxEEZZNS1_9scan_implILNS1_25lookback_scan_determinismE0ELb0ELb0ES3_N6thrust23THRUST_200600_302600_NS6detail15normal_iteratorINS9_10device_ptrIxEEEESE_xNS9_4plusIxEExEEDaPvRmT3_T4_T5_mT6_P12ihipStream_tbENKUlT_T0_E_clISt17integral_constantIbLb1EESU_EEDaSP_SQ_EUlSP_E0_NS1_11comp_targetILNS1_3genE4ELNS1_11target_archE910ELNS1_3gpuE8ELNS1_3repE0EEENS1_30default_config_static_selectorELNS0_4arch9wavefront6targetE1EEEvT1_,"axG",@progbits,_ZN7rocprim17ROCPRIM_400000_NS6detail17trampoline_kernelINS0_14default_configENS1_20scan_config_selectorIxEEZZNS1_9scan_implILNS1_25lookback_scan_determinismE0ELb0ELb0ES3_N6thrust23THRUST_200600_302600_NS6detail15normal_iteratorINS9_10device_ptrIxEEEESE_xNS9_4plusIxEExEEDaPvRmT3_T4_T5_mT6_P12ihipStream_tbENKUlT_T0_E_clISt17integral_constantIbLb1EESU_EEDaSP_SQ_EUlSP_E0_NS1_11comp_targetILNS1_3genE4ELNS1_11target_archE910ELNS1_3gpuE8ELNS1_3repE0EEENS1_30default_config_static_selectorELNS0_4arch9wavefront6targetE1EEEvT1_,comdat
	.protected	_ZN7rocprim17ROCPRIM_400000_NS6detail17trampoline_kernelINS0_14default_configENS1_20scan_config_selectorIxEEZZNS1_9scan_implILNS1_25lookback_scan_determinismE0ELb0ELb0ES3_N6thrust23THRUST_200600_302600_NS6detail15normal_iteratorINS9_10device_ptrIxEEEESE_xNS9_4plusIxEExEEDaPvRmT3_T4_T5_mT6_P12ihipStream_tbENKUlT_T0_E_clISt17integral_constantIbLb1EESU_EEDaSP_SQ_EUlSP_E0_NS1_11comp_targetILNS1_3genE4ELNS1_11target_archE910ELNS1_3gpuE8ELNS1_3repE0EEENS1_30default_config_static_selectorELNS0_4arch9wavefront6targetE1EEEvT1_ ; -- Begin function _ZN7rocprim17ROCPRIM_400000_NS6detail17trampoline_kernelINS0_14default_configENS1_20scan_config_selectorIxEEZZNS1_9scan_implILNS1_25lookback_scan_determinismE0ELb0ELb0ES3_N6thrust23THRUST_200600_302600_NS6detail15normal_iteratorINS9_10device_ptrIxEEEESE_xNS9_4plusIxEExEEDaPvRmT3_T4_T5_mT6_P12ihipStream_tbENKUlT_T0_E_clISt17integral_constantIbLb1EESU_EEDaSP_SQ_EUlSP_E0_NS1_11comp_targetILNS1_3genE4ELNS1_11target_archE910ELNS1_3gpuE8ELNS1_3repE0EEENS1_30default_config_static_selectorELNS0_4arch9wavefront6targetE1EEEvT1_
	.globl	_ZN7rocprim17ROCPRIM_400000_NS6detail17trampoline_kernelINS0_14default_configENS1_20scan_config_selectorIxEEZZNS1_9scan_implILNS1_25lookback_scan_determinismE0ELb0ELb0ES3_N6thrust23THRUST_200600_302600_NS6detail15normal_iteratorINS9_10device_ptrIxEEEESE_xNS9_4plusIxEExEEDaPvRmT3_T4_T5_mT6_P12ihipStream_tbENKUlT_T0_E_clISt17integral_constantIbLb1EESU_EEDaSP_SQ_EUlSP_E0_NS1_11comp_targetILNS1_3genE4ELNS1_11target_archE910ELNS1_3gpuE8ELNS1_3repE0EEENS1_30default_config_static_selectorELNS0_4arch9wavefront6targetE1EEEvT1_
	.p2align	8
	.type	_ZN7rocprim17ROCPRIM_400000_NS6detail17trampoline_kernelINS0_14default_configENS1_20scan_config_selectorIxEEZZNS1_9scan_implILNS1_25lookback_scan_determinismE0ELb0ELb0ES3_N6thrust23THRUST_200600_302600_NS6detail15normal_iteratorINS9_10device_ptrIxEEEESE_xNS9_4plusIxEExEEDaPvRmT3_T4_T5_mT6_P12ihipStream_tbENKUlT_T0_E_clISt17integral_constantIbLb1EESU_EEDaSP_SQ_EUlSP_E0_NS1_11comp_targetILNS1_3genE4ELNS1_11target_archE910ELNS1_3gpuE8ELNS1_3repE0EEENS1_30default_config_static_selectorELNS0_4arch9wavefront6targetE1EEEvT1_,@function
_ZN7rocprim17ROCPRIM_400000_NS6detail17trampoline_kernelINS0_14default_configENS1_20scan_config_selectorIxEEZZNS1_9scan_implILNS1_25lookback_scan_determinismE0ELb0ELb0ES3_N6thrust23THRUST_200600_302600_NS6detail15normal_iteratorINS9_10device_ptrIxEEEESE_xNS9_4plusIxEExEEDaPvRmT3_T4_T5_mT6_P12ihipStream_tbENKUlT_T0_E_clISt17integral_constantIbLb1EESU_EEDaSP_SQ_EUlSP_E0_NS1_11comp_targetILNS1_3genE4ELNS1_11target_archE910ELNS1_3gpuE8ELNS1_3repE0EEENS1_30default_config_static_selectorELNS0_4arch9wavefront6targetE1EEEvT1_: ; @_ZN7rocprim17ROCPRIM_400000_NS6detail17trampoline_kernelINS0_14default_configENS1_20scan_config_selectorIxEEZZNS1_9scan_implILNS1_25lookback_scan_determinismE0ELb0ELb0ES3_N6thrust23THRUST_200600_302600_NS6detail15normal_iteratorINS9_10device_ptrIxEEEESE_xNS9_4plusIxEExEEDaPvRmT3_T4_T5_mT6_P12ihipStream_tbENKUlT_T0_E_clISt17integral_constantIbLb1EESU_EEDaSP_SQ_EUlSP_E0_NS1_11comp_targetILNS1_3genE4ELNS1_11target_archE910ELNS1_3gpuE8ELNS1_3repE0EEENS1_30default_config_static_selectorELNS0_4arch9wavefront6targetE1EEEvT1_
; %bb.0:
	s_load_dwordx4 s[16:19], s[4:5], 0x0
	v_lshlrev_b32_e32 v21, 3, v0
	s_waitcnt lgkmcnt(0)
	s_load_dwordx2 s[14:15], s[16:17], 0x0
	v_cmp_gt_u32_e32 vcc, s18, v0
	s_waitcnt lgkmcnt(0)
	v_pk_mov_b32 v[2:3], s[14:15], s[14:15] op_sel:[0,1]
	s_and_saveexec_b64 s[0:1], vcc
	s_cbranch_execz .LBB227_2
; %bb.1:
	global_load_dwordx2 v[2:3], v21, s[16:17]
.LBB227_2:
	s_or_b64 exec, exec, s[0:1]
	v_or_b32_e32 v1, 0x80, v0
	v_cmp_gt_u32_e64 s[0:1], s18, v1
	v_pk_mov_b32 v[4:5], s[14:15], s[14:15] op_sel:[0,1]
	s_and_saveexec_b64 s[2:3], s[0:1]
	s_cbranch_execz .LBB227_4
; %bb.3:
	global_load_dwordx2 v[4:5], v21, s[16:17] offset:1024
.LBB227_4:
	s_or_b64 exec, exec, s[2:3]
	v_or_b32_e32 v1, 0x100, v0
	v_cmp_gt_u32_e64 s[2:3], s18, v1
	v_pk_mov_b32 v[6:7], s[14:15], s[14:15] op_sel:[0,1]
	s_and_saveexec_b64 s[6:7], s[2:3]
	s_cbranch_execz .LBB227_6
; %bb.5:
	global_load_dwordx2 v[6:7], v21, s[16:17] offset:2048
.LBB227_6:
	s_or_b64 exec, exec, s[6:7]
	v_or_b32_e32 v1, 0x180, v0
	v_cmp_gt_u32_e64 s[12:13], s18, v1
	v_pk_mov_b32 v[8:9], s[14:15], s[14:15] op_sel:[0,1]
	s_and_saveexec_b64 s[6:7], s[12:13]
	s_cbranch_execz .LBB227_8
; %bb.7:
	global_load_dwordx2 v[8:9], v21, s[16:17] offset:3072
.LBB227_8:
	s_or_b64 exec, exec, s[6:7]
	v_or_b32_e32 v1, 0x200, v0
	v_cmp_gt_u32_e64 s[6:7], s18, v1
	v_pk_mov_b32 v[10:11], s[14:15], s[14:15] op_sel:[0,1]
	s_and_saveexec_b64 s[8:9], s[6:7]
	s_cbranch_execz .LBB227_10
; %bb.9:
	v_lshlrev_b32_e32 v1, 3, v1
	global_load_dwordx2 v[10:11], v1, s[16:17]
.LBB227_10:
	s_or_b64 exec, exec, s[8:9]
	v_or_b32_e32 v1, 0x280, v0
	v_cmp_gt_u32_e64 s[8:9], s18, v1
	v_pk_mov_b32 v[12:13], s[14:15], s[14:15] op_sel:[0,1]
	s_and_saveexec_b64 s[10:11], s[8:9]
	s_cbranch_execz .LBB227_12
; %bb.11:
	v_lshlrev_b32_e32 v1, 3, v1
	global_load_dwordx2 v[12:13], v1, s[16:17]
.LBB227_12:
	;; [unrolled: 10-line block ×3, first 2 shown]
	s_or_b64 exec, exec, s[14:15]
	v_mad_u32_u24 v1, v0, 48, v21
	s_waitcnt vmcnt(0)
	ds_write2st64_b64 v21, v[2:3], v[4:5] offset1:2
	ds_write2st64_b64 v21, v[6:7], v[8:9] offset0:4 offset1:6
	ds_write2st64_b64 v21, v[10:11], v[12:13] offset0:8 offset1:10
	ds_write_b64 v21, v[14:15] offset:6144
	s_waitcnt lgkmcnt(0)
	s_barrier
	ds_read2_b64 v[2:5], v1 offset1:1
	ds_read2_b64 v[6:9], v1 offset0:2 offset1:3
	ds_read2_b64 v[10:13], v1 offset0:4 offset1:5
	ds_read_b64 v[28:29], v1 offset:48
	s_load_dwordx2 s[16:17], s[4:5], 0x20
	s_waitcnt lgkmcnt(0)
	v_add_co_u32_e64 v20, s[4:5], v4, v2
	v_addc_co_u32_e64 v1, s[4:5], v5, v3, s[4:5]
	v_add_co_u32_e64 v18, s[4:5], v20, v6
	v_addc_co_u32_e64 v19, s[4:5], v1, v7, s[4:5]
	v_add_co_u32_e64 v24, s[4:5], v18, v8
	v_addc_co_u32_e64 v25, s[4:5], v19, v9, s[4:5]
	v_add_co_u32_e64 v22, s[4:5], v24, v10
	v_addc_co_u32_e64 v23, s[4:5], v25, v11, s[4:5]
	v_add_co_u32_e64 v26, s[4:5], v22, v12
	v_addc_co_u32_e64 v27, s[4:5], v23, v13, s[4:5]
	v_add_co_u32_e64 v30, s[4:5], v26, v28
	v_lshrrev_b32_e32 v14, 2, v0
	v_addc_co_u32_e64 v31, s[4:5], v27, v29, s[4:5]
	v_and_b32_e32 v14, 24, v14
	v_add_u32_e32 v14, v21, v14
	v_cmp_gt_u32_e64 s[4:5], 64, v0
	s_barrier
	ds_write_b64 v14, v[30:31]
	s_waitcnt lgkmcnt(0)
	s_barrier
	s_and_saveexec_b64 s[18:19], s[4:5]
	s_cbranch_execz .LBB227_18
; %bb.15:
	v_lshlrev_b32_e32 v14, 1, v0
	v_lshrrev_b32_e32 v15, 4, v0
	v_add_lshl_u32 v32, v15, v14, 3
	ds_read2_b64 v[14:17], v32 offset1:1
	s_waitcnt lgkmcnt(0)
	v_add_co_u32_e64 v34, s[4:5], v16, v14
	v_addc_co_u32_e64 v35, s[4:5], v17, v15, s[4:5]
	s_nop 0
	v_mov_b32_dpp v17, v34 row_shr:1 row_mask:0xf bank_mask:0xf
	v_add_co_u32_e64 v17, s[4:5], v34, v17
	v_mbcnt_lo_u32_b32 v16, -1, 0
	v_addc_co_u32_e64 v37, s[4:5], 0, v35, s[4:5]
	v_mbcnt_hi_u32_b32 v33, -1, v16
	v_mov_b32_dpp v36, v35 row_shr:1 row_mask:0xf bank_mask:0xf
	v_add_co_u32_e64 v38, s[4:5], 0, v17
	v_and_b32_e32 v16, 15, v33
	v_addc_co_u32_e64 v36, s[4:5], v36, v37, s[4:5]
	v_cmp_eq_u32_e64 s[4:5], 0, v16
	v_cndmask_b32_e64 v17, v17, v34, s[4:5]
	v_cndmask_b32_e64 v36, v36, v35, s[4:5]
	v_cndmask_b32_e64 v37, v38, v34, s[4:5]
	v_mov_b32_dpp v38, v17 row_shr:2 row_mask:0xf bank_mask:0xf
	v_mov_b32_dpp v39, v36 row_shr:2 row_mask:0xf bank_mask:0xf
	v_add_co_u32_e64 v38, s[4:5], v38, v37
	v_addc_co_u32_e64 v39, s[4:5], v39, v36, s[4:5]
	v_cmp_lt_u32_e64 s[4:5], 1, v16
	v_cndmask_b32_e64 v17, v17, v38, s[4:5]
	v_cndmask_b32_e64 v36, v36, v39, s[4:5]
	v_cndmask_b32_e64 v37, v37, v38, s[4:5]
	v_mov_b32_dpp v38, v17 row_shr:4 row_mask:0xf bank_mask:0xf
	v_mov_b32_dpp v39, v36 row_shr:4 row_mask:0xf bank_mask:0xf
	v_add_co_u32_e64 v38, s[4:5], v38, v37
	v_addc_co_u32_e64 v39, s[4:5], v39, v36, s[4:5]
	v_cmp_lt_u32_e64 s[4:5], 3, v16
	;; [unrolled: 8-line block ×3, first 2 shown]
	v_cndmask_b32_e64 v40, v17, v38, s[4:5]
	v_cndmask_b32_e64 v17, v36, v39, s[4:5]
	v_cndmask_b32_e64 v16, v37, v38, s[4:5]
	v_mov_b32_dpp v36, v40 row_bcast:15 row_mask:0xf bank_mask:0xf
	v_mov_b32_dpp v37, v17 row_bcast:15 row_mask:0xf bank_mask:0xf
	v_add_co_u32_e64 v36, s[4:5], v36, v16
	v_and_b32_e32 v39, 16, v33
	v_addc_co_u32_e64 v38, s[4:5], v37, v17, s[4:5]
	v_cmp_eq_u32_e64 s[4:5], 0, v39
	v_cndmask_b32_e64 v39, v38, v17, s[4:5]
	v_cndmask_b32_e64 v37, v36, v40, s[4:5]
	v_cmp_ne_u32_e64 s[14:15], 0, v33
	v_mov_b32_dpp v39, v39 row_bcast:31 row_mask:0xf bank_mask:0xf
	v_mov_b32_dpp v37, v37 row_bcast:31 row_mask:0xf bank_mask:0xf
	s_and_saveexec_b64 s[20:21], s[14:15]
; %bb.16:
	v_cndmask_b32_e64 v17, v38, v17, s[4:5]
	v_cndmask_b32_e64 v16, v36, v16, s[4:5]
	v_cmp_lt_u32_e64 s[4:5], 31, v33
	v_cndmask_b32_e64 v34, 0, v37, s[4:5]
	v_cndmask_b32_e64 v35, 0, v39, s[4:5]
	v_add_co_u32_e64 v34, s[4:5], v34, v16
	v_addc_co_u32_e64 v35, s[4:5], v35, v17, s[4:5]
; %bb.17:
	s_or_b64 exec, exec, s[20:21]
	v_add_u32_e32 v16, -1, v33
	v_and_b32_e32 v17, 64, v33
	v_cmp_lt_i32_e64 s[4:5], v16, v17
	v_cndmask_b32_e64 v16, v16, v33, s[4:5]
	v_lshlrev_b32_e32 v16, 2, v16
	ds_bpermute_b32 v17, v16, v34
	ds_bpermute_b32 v16, v16, v35
	; wave barrier
	s_waitcnt lgkmcnt(1)
	v_add_co_u32_e64 v14, s[4:5], v14, v17
	v_addc_co_u32_e64 v15, s[4:5], 0, v15, s[4:5]
	v_add_co_u32_e64 v14, s[4:5], 0, v14
	s_waitcnt lgkmcnt(0)
	v_addc_co_u32_e64 v15, s[4:5], v15, v16, s[4:5]
	v_cmp_eq_u32_e64 s[4:5], 0, v0
	v_cndmask_b32_e64 v15, v15, v31, s[4:5]
	v_cndmask_b32_e64 v14, v14, v30, s[4:5]
	ds_write_b64 v32, v[14:15]
	; wave barrier
	ds_read_b64 v[16:17], v32 offset:8
	s_waitcnt lgkmcnt(0)
	v_add_co_u32_e64 v14, s[4:5], v16, v14
	v_addc_co_u32_e64 v15, s[4:5], v17, v15, s[4:5]
	ds_write_b64 v32, v[14:15] offset:8
.LBB227_18:
	s_or_b64 exec, exec, s[18:19]
	v_mul_u32_u24_e32 v16, 48, v0
	v_cmp_ne_u32_e64 s[4:5], 0, v0
	v_pk_mov_b32 v[14:15], v[30:31], v[30:31] op_sel:[0,1]
	s_waitcnt lgkmcnt(0)
	s_barrier
	s_and_saveexec_b64 s[14:15], s[4:5]
	s_cbranch_execz .LBB227_20
; %bb.19:
	v_add_u32_e32 v0, -1, v0
	v_lshrrev_b32_e32 v14, 5, v0
	v_add_lshl_u32 v0, v14, v0, 3
	ds_read_b64 v[14:15], v0
.LBB227_20:
	s_or_b64 exec, exec, s[14:15]
	s_and_saveexec_b64 s[14:15], s[4:5]
	s_cbranch_execz .LBB227_22
; %bb.21:
	s_waitcnt lgkmcnt(0)
	v_add_co_u32_e64 v2, s[4:5], v14, v2
	v_addc_co_u32_e64 v3, s[4:5], v15, v3, s[4:5]
	v_add_co_u32_e64 v20, s[4:5], v2, v4
	v_addc_co_u32_e64 v1, s[4:5], v3, v5, s[4:5]
	;; [unrolled: 2-line block ×7, first 2 shown]
	;;#ASMSTART
	;;#ASMEND
.LBB227_22:
	s_or_b64 exec, exec, s[14:15]
	v_add_u32_e32 v4, v21, v16
	v_mov_b32_e32 v0, v20
	s_waitcnt lgkmcnt(0)
	s_barrier
	ds_write2_b64 v4, v[2:3], v[0:1] offset1:1
	ds_write2_b64 v4, v[18:19], v[24:25] offset0:2 offset1:3
	ds_write2_b64 v4, v[22:23], v[26:27] offset0:4 offset1:5
	ds_write_b64 v4, v[30:31] offset:48
	s_waitcnt lgkmcnt(0)
	s_barrier
	ds_read2st64_b64 v[8:11], v21 offset0:2 offset1:4
	ds_read2st64_b64 v[4:7], v21 offset0:6 offset1:8
	;; [unrolled: 1-line block ×3, first 2 shown]
	v_mov_b32_e32 v13, s17
	v_add_co_u32_e64 v12, s[4:5], s16, v21
	v_addc_co_u32_e64 v13, s[4:5], 0, v13, s[4:5]
	s_and_saveexec_b64 s[4:5], vcc
	s_cbranch_execnz .LBB227_30
; %bb.23:
	s_or_b64 exec, exec, s[4:5]
	s_and_saveexec_b64 s[4:5], s[0:1]
	s_cbranch_execnz .LBB227_31
.LBB227_24:
	s_or_b64 exec, exec, s[4:5]
	s_and_saveexec_b64 s[0:1], s[2:3]
	s_cbranch_execnz .LBB227_32
.LBB227_25:
	s_or_b64 exec, exec, s[0:1]
	s_and_saveexec_b64 s[0:1], s[12:13]
	s_cbranch_execnz .LBB227_33
.LBB227_26:
	s_or_b64 exec, exec, s[0:1]
	s_and_saveexec_b64 s[0:1], s[6:7]
	s_cbranch_execnz .LBB227_34
.LBB227_27:
	s_or_b64 exec, exec, s[0:1]
	s_and_saveexec_b64 s[0:1], s[8:9]
	s_cbranch_execnz .LBB227_35
.LBB227_28:
	s_or_b64 exec, exec, s[0:1]
	s_and_saveexec_b64 s[0:1], s[10:11]
	s_cbranch_execnz .LBB227_36
.LBB227_29:
	s_endpgm
.LBB227_30:
	ds_read_b64 v[14:15], v21
	s_waitcnt lgkmcnt(0)
	global_store_dwordx2 v[12:13], v[14:15], off
	s_or_b64 exec, exec, s[4:5]
	s_and_saveexec_b64 s[4:5], s[0:1]
	s_cbranch_execz .LBB227_24
.LBB227_31:
	s_waitcnt lgkmcnt(2)
	global_store_dwordx2 v[12:13], v[8:9], off offset:1024
	s_or_b64 exec, exec, s[4:5]
	s_and_saveexec_b64 s[0:1], s[2:3]
	s_cbranch_execz .LBB227_25
.LBB227_32:
	s_waitcnt lgkmcnt(2)
	global_store_dwordx2 v[12:13], v[10:11], off offset:2048
	s_or_b64 exec, exec, s[0:1]
	s_and_saveexec_b64 s[0:1], s[12:13]
	s_cbranch_execz .LBB227_26
.LBB227_33:
	s_waitcnt lgkmcnt(1)
	global_store_dwordx2 v[12:13], v[4:5], off offset:3072
	s_or_b64 exec, exec, s[0:1]
	s_and_saveexec_b64 s[0:1], s[6:7]
	s_cbranch_execz .LBB227_27
.LBB227_34:
	s_waitcnt lgkmcnt(1)
	v_add_co_u32_e32 v4, vcc, 0x1000, v12
	v_addc_co_u32_e32 v5, vcc, 0, v13, vcc
	global_store_dwordx2 v[4:5], v[6:7], off
	s_or_b64 exec, exec, s[0:1]
	s_and_saveexec_b64 s[0:1], s[8:9]
	s_cbranch_execz .LBB227_28
.LBB227_35:
	s_waitcnt lgkmcnt(1)
	v_add_co_u32_e32 v4, vcc, 0x1000, v12
	v_addc_co_u32_e32 v5, vcc, 0, v13, vcc
	s_waitcnt lgkmcnt(0)
	global_store_dwordx2 v[4:5], v[0:1], off offset:1024
	s_or_b64 exec, exec, s[0:1]
	s_and_saveexec_b64 s[0:1], s[10:11]
	s_cbranch_execz .LBB227_29
.LBB227_36:
	s_waitcnt lgkmcnt(0)
	v_add_co_u32_e32 v0, vcc, 0x1000, v12
	v_addc_co_u32_e32 v1, vcc, 0, v13, vcc
	global_store_dwordx2 v[0:1], v[2:3], off offset:2048
	s_endpgm
	.section	.rodata,"a",@progbits
	.p2align	6, 0x0
	.amdhsa_kernel _ZN7rocprim17ROCPRIM_400000_NS6detail17trampoline_kernelINS0_14default_configENS1_20scan_config_selectorIxEEZZNS1_9scan_implILNS1_25lookback_scan_determinismE0ELb0ELb0ES3_N6thrust23THRUST_200600_302600_NS6detail15normal_iteratorINS9_10device_ptrIxEEEESE_xNS9_4plusIxEExEEDaPvRmT3_T4_T5_mT6_P12ihipStream_tbENKUlT_T0_E_clISt17integral_constantIbLb1EESU_EEDaSP_SQ_EUlSP_E0_NS1_11comp_targetILNS1_3genE4ELNS1_11target_archE910ELNS1_3gpuE8ELNS1_3repE0EEENS1_30default_config_static_selectorELNS0_4arch9wavefront6targetE1EEEvT1_
		.amdhsa_group_segment_fixed_size 7168
		.amdhsa_private_segment_fixed_size 0
		.amdhsa_kernarg_size 40
		.amdhsa_user_sgpr_count 6
		.amdhsa_user_sgpr_private_segment_buffer 1
		.amdhsa_user_sgpr_dispatch_ptr 0
		.amdhsa_user_sgpr_queue_ptr 0
		.amdhsa_user_sgpr_kernarg_segment_ptr 1
		.amdhsa_user_sgpr_dispatch_id 0
		.amdhsa_user_sgpr_flat_scratch_init 0
		.amdhsa_user_sgpr_kernarg_preload_length 0
		.amdhsa_user_sgpr_kernarg_preload_offset 0
		.amdhsa_user_sgpr_private_segment_size 0
		.amdhsa_uses_dynamic_stack 0
		.amdhsa_system_sgpr_private_segment_wavefront_offset 0
		.amdhsa_system_sgpr_workgroup_id_x 1
		.amdhsa_system_sgpr_workgroup_id_y 0
		.amdhsa_system_sgpr_workgroup_id_z 0
		.amdhsa_system_sgpr_workgroup_info 0
		.amdhsa_system_vgpr_workitem_id 0
		.amdhsa_next_free_vgpr 41
		.amdhsa_next_free_sgpr 22
		.amdhsa_accum_offset 44
		.amdhsa_reserve_vcc 1
		.amdhsa_reserve_flat_scratch 0
		.amdhsa_float_round_mode_32 0
		.amdhsa_float_round_mode_16_64 0
		.amdhsa_float_denorm_mode_32 3
		.amdhsa_float_denorm_mode_16_64 3
		.amdhsa_dx10_clamp 1
		.amdhsa_ieee_mode 1
		.amdhsa_fp16_overflow 0
		.amdhsa_tg_split 0
		.amdhsa_exception_fp_ieee_invalid_op 0
		.amdhsa_exception_fp_denorm_src 0
		.amdhsa_exception_fp_ieee_div_zero 0
		.amdhsa_exception_fp_ieee_overflow 0
		.amdhsa_exception_fp_ieee_underflow 0
		.amdhsa_exception_fp_ieee_inexact 0
		.amdhsa_exception_int_div_zero 0
	.end_amdhsa_kernel
	.section	.text._ZN7rocprim17ROCPRIM_400000_NS6detail17trampoline_kernelINS0_14default_configENS1_20scan_config_selectorIxEEZZNS1_9scan_implILNS1_25lookback_scan_determinismE0ELb0ELb0ES3_N6thrust23THRUST_200600_302600_NS6detail15normal_iteratorINS9_10device_ptrIxEEEESE_xNS9_4plusIxEExEEDaPvRmT3_T4_T5_mT6_P12ihipStream_tbENKUlT_T0_E_clISt17integral_constantIbLb1EESU_EEDaSP_SQ_EUlSP_E0_NS1_11comp_targetILNS1_3genE4ELNS1_11target_archE910ELNS1_3gpuE8ELNS1_3repE0EEENS1_30default_config_static_selectorELNS0_4arch9wavefront6targetE1EEEvT1_,"axG",@progbits,_ZN7rocprim17ROCPRIM_400000_NS6detail17trampoline_kernelINS0_14default_configENS1_20scan_config_selectorIxEEZZNS1_9scan_implILNS1_25lookback_scan_determinismE0ELb0ELb0ES3_N6thrust23THRUST_200600_302600_NS6detail15normal_iteratorINS9_10device_ptrIxEEEESE_xNS9_4plusIxEExEEDaPvRmT3_T4_T5_mT6_P12ihipStream_tbENKUlT_T0_E_clISt17integral_constantIbLb1EESU_EEDaSP_SQ_EUlSP_E0_NS1_11comp_targetILNS1_3genE4ELNS1_11target_archE910ELNS1_3gpuE8ELNS1_3repE0EEENS1_30default_config_static_selectorELNS0_4arch9wavefront6targetE1EEEvT1_,comdat
.Lfunc_end227:
	.size	_ZN7rocprim17ROCPRIM_400000_NS6detail17trampoline_kernelINS0_14default_configENS1_20scan_config_selectorIxEEZZNS1_9scan_implILNS1_25lookback_scan_determinismE0ELb0ELb0ES3_N6thrust23THRUST_200600_302600_NS6detail15normal_iteratorINS9_10device_ptrIxEEEESE_xNS9_4plusIxEExEEDaPvRmT3_T4_T5_mT6_P12ihipStream_tbENKUlT_T0_E_clISt17integral_constantIbLb1EESU_EEDaSP_SQ_EUlSP_E0_NS1_11comp_targetILNS1_3genE4ELNS1_11target_archE910ELNS1_3gpuE8ELNS1_3repE0EEENS1_30default_config_static_selectorELNS0_4arch9wavefront6targetE1EEEvT1_, .Lfunc_end227-_ZN7rocprim17ROCPRIM_400000_NS6detail17trampoline_kernelINS0_14default_configENS1_20scan_config_selectorIxEEZZNS1_9scan_implILNS1_25lookback_scan_determinismE0ELb0ELb0ES3_N6thrust23THRUST_200600_302600_NS6detail15normal_iteratorINS9_10device_ptrIxEEEESE_xNS9_4plusIxEExEEDaPvRmT3_T4_T5_mT6_P12ihipStream_tbENKUlT_T0_E_clISt17integral_constantIbLb1EESU_EEDaSP_SQ_EUlSP_E0_NS1_11comp_targetILNS1_3genE4ELNS1_11target_archE910ELNS1_3gpuE8ELNS1_3repE0EEENS1_30default_config_static_selectorELNS0_4arch9wavefront6targetE1EEEvT1_
                                        ; -- End function
	.section	.AMDGPU.csdata,"",@progbits
; Kernel info:
; codeLenInByte = 1804
; NumSgprs: 26
; NumVgprs: 41
; NumAgprs: 0
; TotalNumVgprs: 41
; ScratchSize: 0
; MemoryBound: 0
; FloatMode: 240
; IeeeMode: 1
; LDSByteSize: 7168 bytes/workgroup (compile time only)
; SGPRBlocks: 3
; VGPRBlocks: 5
; NumSGPRsForWavesPerEU: 26
; NumVGPRsForWavesPerEU: 41
; AccumOffset: 44
; Occupancy: 5
; WaveLimiterHint : 0
; COMPUTE_PGM_RSRC2:SCRATCH_EN: 0
; COMPUTE_PGM_RSRC2:USER_SGPR: 6
; COMPUTE_PGM_RSRC2:TRAP_HANDLER: 0
; COMPUTE_PGM_RSRC2:TGID_X_EN: 1
; COMPUTE_PGM_RSRC2:TGID_Y_EN: 0
; COMPUTE_PGM_RSRC2:TGID_Z_EN: 0
; COMPUTE_PGM_RSRC2:TIDIG_COMP_CNT: 0
; COMPUTE_PGM_RSRC3_GFX90A:ACCUM_OFFSET: 10
; COMPUTE_PGM_RSRC3_GFX90A:TG_SPLIT: 0
	.section	.text._ZN7rocprim17ROCPRIM_400000_NS6detail17trampoline_kernelINS0_14default_configENS1_20scan_config_selectorIxEEZZNS1_9scan_implILNS1_25lookback_scan_determinismE0ELb0ELb0ES3_N6thrust23THRUST_200600_302600_NS6detail15normal_iteratorINS9_10device_ptrIxEEEESE_xNS9_4plusIxEExEEDaPvRmT3_T4_T5_mT6_P12ihipStream_tbENKUlT_T0_E_clISt17integral_constantIbLb1EESU_EEDaSP_SQ_EUlSP_E0_NS1_11comp_targetILNS1_3genE3ELNS1_11target_archE908ELNS1_3gpuE7ELNS1_3repE0EEENS1_30default_config_static_selectorELNS0_4arch9wavefront6targetE1EEEvT1_,"axG",@progbits,_ZN7rocprim17ROCPRIM_400000_NS6detail17trampoline_kernelINS0_14default_configENS1_20scan_config_selectorIxEEZZNS1_9scan_implILNS1_25lookback_scan_determinismE0ELb0ELb0ES3_N6thrust23THRUST_200600_302600_NS6detail15normal_iteratorINS9_10device_ptrIxEEEESE_xNS9_4plusIxEExEEDaPvRmT3_T4_T5_mT6_P12ihipStream_tbENKUlT_T0_E_clISt17integral_constantIbLb1EESU_EEDaSP_SQ_EUlSP_E0_NS1_11comp_targetILNS1_3genE3ELNS1_11target_archE908ELNS1_3gpuE7ELNS1_3repE0EEENS1_30default_config_static_selectorELNS0_4arch9wavefront6targetE1EEEvT1_,comdat
	.protected	_ZN7rocprim17ROCPRIM_400000_NS6detail17trampoline_kernelINS0_14default_configENS1_20scan_config_selectorIxEEZZNS1_9scan_implILNS1_25lookback_scan_determinismE0ELb0ELb0ES3_N6thrust23THRUST_200600_302600_NS6detail15normal_iteratorINS9_10device_ptrIxEEEESE_xNS9_4plusIxEExEEDaPvRmT3_T4_T5_mT6_P12ihipStream_tbENKUlT_T0_E_clISt17integral_constantIbLb1EESU_EEDaSP_SQ_EUlSP_E0_NS1_11comp_targetILNS1_3genE3ELNS1_11target_archE908ELNS1_3gpuE7ELNS1_3repE0EEENS1_30default_config_static_selectorELNS0_4arch9wavefront6targetE1EEEvT1_ ; -- Begin function _ZN7rocprim17ROCPRIM_400000_NS6detail17trampoline_kernelINS0_14default_configENS1_20scan_config_selectorIxEEZZNS1_9scan_implILNS1_25lookback_scan_determinismE0ELb0ELb0ES3_N6thrust23THRUST_200600_302600_NS6detail15normal_iteratorINS9_10device_ptrIxEEEESE_xNS9_4plusIxEExEEDaPvRmT3_T4_T5_mT6_P12ihipStream_tbENKUlT_T0_E_clISt17integral_constantIbLb1EESU_EEDaSP_SQ_EUlSP_E0_NS1_11comp_targetILNS1_3genE3ELNS1_11target_archE908ELNS1_3gpuE7ELNS1_3repE0EEENS1_30default_config_static_selectorELNS0_4arch9wavefront6targetE1EEEvT1_
	.globl	_ZN7rocprim17ROCPRIM_400000_NS6detail17trampoline_kernelINS0_14default_configENS1_20scan_config_selectorIxEEZZNS1_9scan_implILNS1_25lookback_scan_determinismE0ELb0ELb0ES3_N6thrust23THRUST_200600_302600_NS6detail15normal_iteratorINS9_10device_ptrIxEEEESE_xNS9_4plusIxEExEEDaPvRmT3_T4_T5_mT6_P12ihipStream_tbENKUlT_T0_E_clISt17integral_constantIbLb1EESU_EEDaSP_SQ_EUlSP_E0_NS1_11comp_targetILNS1_3genE3ELNS1_11target_archE908ELNS1_3gpuE7ELNS1_3repE0EEENS1_30default_config_static_selectorELNS0_4arch9wavefront6targetE1EEEvT1_
	.p2align	8
	.type	_ZN7rocprim17ROCPRIM_400000_NS6detail17trampoline_kernelINS0_14default_configENS1_20scan_config_selectorIxEEZZNS1_9scan_implILNS1_25lookback_scan_determinismE0ELb0ELb0ES3_N6thrust23THRUST_200600_302600_NS6detail15normal_iteratorINS9_10device_ptrIxEEEESE_xNS9_4plusIxEExEEDaPvRmT3_T4_T5_mT6_P12ihipStream_tbENKUlT_T0_E_clISt17integral_constantIbLb1EESU_EEDaSP_SQ_EUlSP_E0_NS1_11comp_targetILNS1_3genE3ELNS1_11target_archE908ELNS1_3gpuE7ELNS1_3repE0EEENS1_30default_config_static_selectorELNS0_4arch9wavefront6targetE1EEEvT1_,@function
_ZN7rocprim17ROCPRIM_400000_NS6detail17trampoline_kernelINS0_14default_configENS1_20scan_config_selectorIxEEZZNS1_9scan_implILNS1_25lookback_scan_determinismE0ELb0ELb0ES3_N6thrust23THRUST_200600_302600_NS6detail15normal_iteratorINS9_10device_ptrIxEEEESE_xNS9_4plusIxEExEEDaPvRmT3_T4_T5_mT6_P12ihipStream_tbENKUlT_T0_E_clISt17integral_constantIbLb1EESU_EEDaSP_SQ_EUlSP_E0_NS1_11comp_targetILNS1_3genE3ELNS1_11target_archE908ELNS1_3gpuE7ELNS1_3repE0EEENS1_30default_config_static_selectorELNS0_4arch9wavefront6targetE1EEEvT1_: ; @_ZN7rocprim17ROCPRIM_400000_NS6detail17trampoline_kernelINS0_14default_configENS1_20scan_config_selectorIxEEZZNS1_9scan_implILNS1_25lookback_scan_determinismE0ELb0ELb0ES3_N6thrust23THRUST_200600_302600_NS6detail15normal_iteratorINS9_10device_ptrIxEEEESE_xNS9_4plusIxEExEEDaPvRmT3_T4_T5_mT6_P12ihipStream_tbENKUlT_T0_E_clISt17integral_constantIbLb1EESU_EEDaSP_SQ_EUlSP_E0_NS1_11comp_targetILNS1_3genE3ELNS1_11target_archE908ELNS1_3gpuE7ELNS1_3repE0EEENS1_30default_config_static_selectorELNS0_4arch9wavefront6targetE1EEEvT1_
; %bb.0:
	.section	.rodata,"a",@progbits
	.p2align	6, 0x0
	.amdhsa_kernel _ZN7rocprim17ROCPRIM_400000_NS6detail17trampoline_kernelINS0_14default_configENS1_20scan_config_selectorIxEEZZNS1_9scan_implILNS1_25lookback_scan_determinismE0ELb0ELb0ES3_N6thrust23THRUST_200600_302600_NS6detail15normal_iteratorINS9_10device_ptrIxEEEESE_xNS9_4plusIxEExEEDaPvRmT3_T4_T5_mT6_P12ihipStream_tbENKUlT_T0_E_clISt17integral_constantIbLb1EESU_EEDaSP_SQ_EUlSP_E0_NS1_11comp_targetILNS1_3genE3ELNS1_11target_archE908ELNS1_3gpuE7ELNS1_3repE0EEENS1_30default_config_static_selectorELNS0_4arch9wavefront6targetE1EEEvT1_
		.amdhsa_group_segment_fixed_size 0
		.amdhsa_private_segment_fixed_size 0
		.amdhsa_kernarg_size 40
		.amdhsa_user_sgpr_count 6
		.amdhsa_user_sgpr_private_segment_buffer 1
		.amdhsa_user_sgpr_dispatch_ptr 0
		.amdhsa_user_sgpr_queue_ptr 0
		.amdhsa_user_sgpr_kernarg_segment_ptr 1
		.amdhsa_user_sgpr_dispatch_id 0
		.amdhsa_user_sgpr_flat_scratch_init 0
		.amdhsa_user_sgpr_kernarg_preload_length 0
		.amdhsa_user_sgpr_kernarg_preload_offset 0
		.amdhsa_user_sgpr_private_segment_size 0
		.amdhsa_uses_dynamic_stack 0
		.amdhsa_system_sgpr_private_segment_wavefront_offset 0
		.amdhsa_system_sgpr_workgroup_id_x 1
		.amdhsa_system_sgpr_workgroup_id_y 0
		.amdhsa_system_sgpr_workgroup_id_z 0
		.amdhsa_system_sgpr_workgroup_info 0
		.amdhsa_system_vgpr_workitem_id 0
		.amdhsa_next_free_vgpr 1
		.amdhsa_next_free_sgpr 0
		.amdhsa_accum_offset 4
		.amdhsa_reserve_vcc 0
		.amdhsa_reserve_flat_scratch 0
		.amdhsa_float_round_mode_32 0
		.amdhsa_float_round_mode_16_64 0
		.amdhsa_float_denorm_mode_32 3
		.amdhsa_float_denorm_mode_16_64 3
		.amdhsa_dx10_clamp 1
		.amdhsa_ieee_mode 1
		.amdhsa_fp16_overflow 0
		.amdhsa_tg_split 0
		.amdhsa_exception_fp_ieee_invalid_op 0
		.amdhsa_exception_fp_denorm_src 0
		.amdhsa_exception_fp_ieee_div_zero 0
		.amdhsa_exception_fp_ieee_overflow 0
		.amdhsa_exception_fp_ieee_underflow 0
		.amdhsa_exception_fp_ieee_inexact 0
		.amdhsa_exception_int_div_zero 0
	.end_amdhsa_kernel
	.section	.text._ZN7rocprim17ROCPRIM_400000_NS6detail17trampoline_kernelINS0_14default_configENS1_20scan_config_selectorIxEEZZNS1_9scan_implILNS1_25lookback_scan_determinismE0ELb0ELb0ES3_N6thrust23THRUST_200600_302600_NS6detail15normal_iteratorINS9_10device_ptrIxEEEESE_xNS9_4plusIxEExEEDaPvRmT3_T4_T5_mT6_P12ihipStream_tbENKUlT_T0_E_clISt17integral_constantIbLb1EESU_EEDaSP_SQ_EUlSP_E0_NS1_11comp_targetILNS1_3genE3ELNS1_11target_archE908ELNS1_3gpuE7ELNS1_3repE0EEENS1_30default_config_static_selectorELNS0_4arch9wavefront6targetE1EEEvT1_,"axG",@progbits,_ZN7rocprim17ROCPRIM_400000_NS6detail17trampoline_kernelINS0_14default_configENS1_20scan_config_selectorIxEEZZNS1_9scan_implILNS1_25lookback_scan_determinismE0ELb0ELb0ES3_N6thrust23THRUST_200600_302600_NS6detail15normal_iteratorINS9_10device_ptrIxEEEESE_xNS9_4plusIxEExEEDaPvRmT3_T4_T5_mT6_P12ihipStream_tbENKUlT_T0_E_clISt17integral_constantIbLb1EESU_EEDaSP_SQ_EUlSP_E0_NS1_11comp_targetILNS1_3genE3ELNS1_11target_archE908ELNS1_3gpuE7ELNS1_3repE0EEENS1_30default_config_static_selectorELNS0_4arch9wavefront6targetE1EEEvT1_,comdat
.Lfunc_end228:
	.size	_ZN7rocprim17ROCPRIM_400000_NS6detail17trampoline_kernelINS0_14default_configENS1_20scan_config_selectorIxEEZZNS1_9scan_implILNS1_25lookback_scan_determinismE0ELb0ELb0ES3_N6thrust23THRUST_200600_302600_NS6detail15normal_iteratorINS9_10device_ptrIxEEEESE_xNS9_4plusIxEExEEDaPvRmT3_T4_T5_mT6_P12ihipStream_tbENKUlT_T0_E_clISt17integral_constantIbLb1EESU_EEDaSP_SQ_EUlSP_E0_NS1_11comp_targetILNS1_3genE3ELNS1_11target_archE908ELNS1_3gpuE7ELNS1_3repE0EEENS1_30default_config_static_selectorELNS0_4arch9wavefront6targetE1EEEvT1_, .Lfunc_end228-_ZN7rocprim17ROCPRIM_400000_NS6detail17trampoline_kernelINS0_14default_configENS1_20scan_config_selectorIxEEZZNS1_9scan_implILNS1_25lookback_scan_determinismE0ELb0ELb0ES3_N6thrust23THRUST_200600_302600_NS6detail15normal_iteratorINS9_10device_ptrIxEEEESE_xNS9_4plusIxEExEEDaPvRmT3_T4_T5_mT6_P12ihipStream_tbENKUlT_T0_E_clISt17integral_constantIbLb1EESU_EEDaSP_SQ_EUlSP_E0_NS1_11comp_targetILNS1_3genE3ELNS1_11target_archE908ELNS1_3gpuE7ELNS1_3repE0EEENS1_30default_config_static_selectorELNS0_4arch9wavefront6targetE1EEEvT1_
                                        ; -- End function
	.section	.AMDGPU.csdata,"",@progbits
; Kernel info:
; codeLenInByte = 0
; NumSgprs: 4
; NumVgprs: 0
; NumAgprs: 0
; TotalNumVgprs: 0
; ScratchSize: 0
; MemoryBound: 0
; FloatMode: 240
; IeeeMode: 1
; LDSByteSize: 0 bytes/workgroup (compile time only)
; SGPRBlocks: 0
; VGPRBlocks: 0
; NumSGPRsForWavesPerEU: 4
; NumVGPRsForWavesPerEU: 1
; AccumOffset: 4
; Occupancy: 8
; WaveLimiterHint : 0
; COMPUTE_PGM_RSRC2:SCRATCH_EN: 0
; COMPUTE_PGM_RSRC2:USER_SGPR: 6
; COMPUTE_PGM_RSRC2:TRAP_HANDLER: 0
; COMPUTE_PGM_RSRC2:TGID_X_EN: 1
; COMPUTE_PGM_RSRC2:TGID_Y_EN: 0
; COMPUTE_PGM_RSRC2:TGID_Z_EN: 0
; COMPUTE_PGM_RSRC2:TIDIG_COMP_CNT: 0
; COMPUTE_PGM_RSRC3_GFX90A:ACCUM_OFFSET: 0
; COMPUTE_PGM_RSRC3_GFX90A:TG_SPLIT: 0
	.section	.text._ZN7rocprim17ROCPRIM_400000_NS6detail17trampoline_kernelINS0_14default_configENS1_20scan_config_selectorIxEEZZNS1_9scan_implILNS1_25lookback_scan_determinismE0ELb0ELb0ES3_N6thrust23THRUST_200600_302600_NS6detail15normal_iteratorINS9_10device_ptrIxEEEESE_xNS9_4plusIxEExEEDaPvRmT3_T4_T5_mT6_P12ihipStream_tbENKUlT_T0_E_clISt17integral_constantIbLb1EESU_EEDaSP_SQ_EUlSP_E0_NS1_11comp_targetILNS1_3genE2ELNS1_11target_archE906ELNS1_3gpuE6ELNS1_3repE0EEENS1_30default_config_static_selectorELNS0_4arch9wavefront6targetE1EEEvT1_,"axG",@progbits,_ZN7rocprim17ROCPRIM_400000_NS6detail17trampoline_kernelINS0_14default_configENS1_20scan_config_selectorIxEEZZNS1_9scan_implILNS1_25lookback_scan_determinismE0ELb0ELb0ES3_N6thrust23THRUST_200600_302600_NS6detail15normal_iteratorINS9_10device_ptrIxEEEESE_xNS9_4plusIxEExEEDaPvRmT3_T4_T5_mT6_P12ihipStream_tbENKUlT_T0_E_clISt17integral_constantIbLb1EESU_EEDaSP_SQ_EUlSP_E0_NS1_11comp_targetILNS1_3genE2ELNS1_11target_archE906ELNS1_3gpuE6ELNS1_3repE0EEENS1_30default_config_static_selectorELNS0_4arch9wavefront6targetE1EEEvT1_,comdat
	.protected	_ZN7rocprim17ROCPRIM_400000_NS6detail17trampoline_kernelINS0_14default_configENS1_20scan_config_selectorIxEEZZNS1_9scan_implILNS1_25lookback_scan_determinismE0ELb0ELb0ES3_N6thrust23THRUST_200600_302600_NS6detail15normal_iteratorINS9_10device_ptrIxEEEESE_xNS9_4plusIxEExEEDaPvRmT3_T4_T5_mT6_P12ihipStream_tbENKUlT_T0_E_clISt17integral_constantIbLb1EESU_EEDaSP_SQ_EUlSP_E0_NS1_11comp_targetILNS1_3genE2ELNS1_11target_archE906ELNS1_3gpuE6ELNS1_3repE0EEENS1_30default_config_static_selectorELNS0_4arch9wavefront6targetE1EEEvT1_ ; -- Begin function _ZN7rocprim17ROCPRIM_400000_NS6detail17trampoline_kernelINS0_14default_configENS1_20scan_config_selectorIxEEZZNS1_9scan_implILNS1_25lookback_scan_determinismE0ELb0ELb0ES3_N6thrust23THRUST_200600_302600_NS6detail15normal_iteratorINS9_10device_ptrIxEEEESE_xNS9_4plusIxEExEEDaPvRmT3_T4_T5_mT6_P12ihipStream_tbENKUlT_T0_E_clISt17integral_constantIbLb1EESU_EEDaSP_SQ_EUlSP_E0_NS1_11comp_targetILNS1_3genE2ELNS1_11target_archE906ELNS1_3gpuE6ELNS1_3repE0EEENS1_30default_config_static_selectorELNS0_4arch9wavefront6targetE1EEEvT1_
	.globl	_ZN7rocprim17ROCPRIM_400000_NS6detail17trampoline_kernelINS0_14default_configENS1_20scan_config_selectorIxEEZZNS1_9scan_implILNS1_25lookback_scan_determinismE0ELb0ELb0ES3_N6thrust23THRUST_200600_302600_NS6detail15normal_iteratorINS9_10device_ptrIxEEEESE_xNS9_4plusIxEExEEDaPvRmT3_T4_T5_mT6_P12ihipStream_tbENKUlT_T0_E_clISt17integral_constantIbLb1EESU_EEDaSP_SQ_EUlSP_E0_NS1_11comp_targetILNS1_3genE2ELNS1_11target_archE906ELNS1_3gpuE6ELNS1_3repE0EEENS1_30default_config_static_selectorELNS0_4arch9wavefront6targetE1EEEvT1_
	.p2align	8
	.type	_ZN7rocprim17ROCPRIM_400000_NS6detail17trampoline_kernelINS0_14default_configENS1_20scan_config_selectorIxEEZZNS1_9scan_implILNS1_25lookback_scan_determinismE0ELb0ELb0ES3_N6thrust23THRUST_200600_302600_NS6detail15normal_iteratorINS9_10device_ptrIxEEEESE_xNS9_4plusIxEExEEDaPvRmT3_T4_T5_mT6_P12ihipStream_tbENKUlT_T0_E_clISt17integral_constantIbLb1EESU_EEDaSP_SQ_EUlSP_E0_NS1_11comp_targetILNS1_3genE2ELNS1_11target_archE906ELNS1_3gpuE6ELNS1_3repE0EEENS1_30default_config_static_selectorELNS0_4arch9wavefront6targetE1EEEvT1_,@function
_ZN7rocprim17ROCPRIM_400000_NS6detail17trampoline_kernelINS0_14default_configENS1_20scan_config_selectorIxEEZZNS1_9scan_implILNS1_25lookback_scan_determinismE0ELb0ELb0ES3_N6thrust23THRUST_200600_302600_NS6detail15normal_iteratorINS9_10device_ptrIxEEEESE_xNS9_4plusIxEExEEDaPvRmT3_T4_T5_mT6_P12ihipStream_tbENKUlT_T0_E_clISt17integral_constantIbLb1EESU_EEDaSP_SQ_EUlSP_E0_NS1_11comp_targetILNS1_3genE2ELNS1_11target_archE906ELNS1_3gpuE6ELNS1_3repE0EEENS1_30default_config_static_selectorELNS0_4arch9wavefront6targetE1EEEvT1_: ; @_ZN7rocprim17ROCPRIM_400000_NS6detail17trampoline_kernelINS0_14default_configENS1_20scan_config_selectorIxEEZZNS1_9scan_implILNS1_25lookback_scan_determinismE0ELb0ELb0ES3_N6thrust23THRUST_200600_302600_NS6detail15normal_iteratorINS9_10device_ptrIxEEEESE_xNS9_4plusIxEExEEDaPvRmT3_T4_T5_mT6_P12ihipStream_tbENKUlT_T0_E_clISt17integral_constantIbLb1EESU_EEDaSP_SQ_EUlSP_E0_NS1_11comp_targetILNS1_3genE2ELNS1_11target_archE906ELNS1_3gpuE6ELNS1_3repE0EEENS1_30default_config_static_selectorELNS0_4arch9wavefront6targetE1EEEvT1_
; %bb.0:
	.section	.rodata,"a",@progbits
	.p2align	6, 0x0
	.amdhsa_kernel _ZN7rocprim17ROCPRIM_400000_NS6detail17trampoline_kernelINS0_14default_configENS1_20scan_config_selectorIxEEZZNS1_9scan_implILNS1_25lookback_scan_determinismE0ELb0ELb0ES3_N6thrust23THRUST_200600_302600_NS6detail15normal_iteratorINS9_10device_ptrIxEEEESE_xNS9_4plusIxEExEEDaPvRmT3_T4_T5_mT6_P12ihipStream_tbENKUlT_T0_E_clISt17integral_constantIbLb1EESU_EEDaSP_SQ_EUlSP_E0_NS1_11comp_targetILNS1_3genE2ELNS1_11target_archE906ELNS1_3gpuE6ELNS1_3repE0EEENS1_30default_config_static_selectorELNS0_4arch9wavefront6targetE1EEEvT1_
		.amdhsa_group_segment_fixed_size 0
		.amdhsa_private_segment_fixed_size 0
		.amdhsa_kernarg_size 40
		.amdhsa_user_sgpr_count 6
		.amdhsa_user_sgpr_private_segment_buffer 1
		.amdhsa_user_sgpr_dispatch_ptr 0
		.amdhsa_user_sgpr_queue_ptr 0
		.amdhsa_user_sgpr_kernarg_segment_ptr 1
		.amdhsa_user_sgpr_dispatch_id 0
		.amdhsa_user_sgpr_flat_scratch_init 0
		.amdhsa_user_sgpr_kernarg_preload_length 0
		.amdhsa_user_sgpr_kernarg_preload_offset 0
		.amdhsa_user_sgpr_private_segment_size 0
		.amdhsa_uses_dynamic_stack 0
		.amdhsa_system_sgpr_private_segment_wavefront_offset 0
		.amdhsa_system_sgpr_workgroup_id_x 1
		.amdhsa_system_sgpr_workgroup_id_y 0
		.amdhsa_system_sgpr_workgroup_id_z 0
		.amdhsa_system_sgpr_workgroup_info 0
		.amdhsa_system_vgpr_workitem_id 0
		.amdhsa_next_free_vgpr 1
		.amdhsa_next_free_sgpr 0
		.amdhsa_accum_offset 4
		.amdhsa_reserve_vcc 0
		.amdhsa_reserve_flat_scratch 0
		.amdhsa_float_round_mode_32 0
		.amdhsa_float_round_mode_16_64 0
		.amdhsa_float_denorm_mode_32 3
		.amdhsa_float_denorm_mode_16_64 3
		.amdhsa_dx10_clamp 1
		.amdhsa_ieee_mode 1
		.amdhsa_fp16_overflow 0
		.amdhsa_tg_split 0
		.amdhsa_exception_fp_ieee_invalid_op 0
		.amdhsa_exception_fp_denorm_src 0
		.amdhsa_exception_fp_ieee_div_zero 0
		.amdhsa_exception_fp_ieee_overflow 0
		.amdhsa_exception_fp_ieee_underflow 0
		.amdhsa_exception_fp_ieee_inexact 0
		.amdhsa_exception_int_div_zero 0
	.end_amdhsa_kernel
	.section	.text._ZN7rocprim17ROCPRIM_400000_NS6detail17trampoline_kernelINS0_14default_configENS1_20scan_config_selectorIxEEZZNS1_9scan_implILNS1_25lookback_scan_determinismE0ELb0ELb0ES3_N6thrust23THRUST_200600_302600_NS6detail15normal_iteratorINS9_10device_ptrIxEEEESE_xNS9_4plusIxEExEEDaPvRmT3_T4_T5_mT6_P12ihipStream_tbENKUlT_T0_E_clISt17integral_constantIbLb1EESU_EEDaSP_SQ_EUlSP_E0_NS1_11comp_targetILNS1_3genE2ELNS1_11target_archE906ELNS1_3gpuE6ELNS1_3repE0EEENS1_30default_config_static_selectorELNS0_4arch9wavefront6targetE1EEEvT1_,"axG",@progbits,_ZN7rocprim17ROCPRIM_400000_NS6detail17trampoline_kernelINS0_14default_configENS1_20scan_config_selectorIxEEZZNS1_9scan_implILNS1_25lookback_scan_determinismE0ELb0ELb0ES3_N6thrust23THRUST_200600_302600_NS6detail15normal_iteratorINS9_10device_ptrIxEEEESE_xNS9_4plusIxEExEEDaPvRmT3_T4_T5_mT6_P12ihipStream_tbENKUlT_T0_E_clISt17integral_constantIbLb1EESU_EEDaSP_SQ_EUlSP_E0_NS1_11comp_targetILNS1_3genE2ELNS1_11target_archE906ELNS1_3gpuE6ELNS1_3repE0EEENS1_30default_config_static_selectorELNS0_4arch9wavefront6targetE1EEEvT1_,comdat
.Lfunc_end229:
	.size	_ZN7rocprim17ROCPRIM_400000_NS6detail17trampoline_kernelINS0_14default_configENS1_20scan_config_selectorIxEEZZNS1_9scan_implILNS1_25lookback_scan_determinismE0ELb0ELb0ES3_N6thrust23THRUST_200600_302600_NS6detail15normal_iteratorINS9_10device_ptrIxEEEESE_xNS9_4plusIxEExEEDaPvRmT3_T4_T5_mT6_P12ihipStream_tbENKUlT_T0_E_clISt17integral_constantIbLb1EESU_EEDaSP_SQ_EUlSP_E0_NS1_11comp_targetILNS1_3genE2ELNS1_11target_archE906ELNS1_3gpuE6ELNS1_3repE0EEENS1_30default_config_static_selectorELNS0_4arch9wavefront6targetE1EEEvT1_, .Lfunc_end229-_ZN7rocprim17ROCPRIM_400000_NS6detail17trampoline_kernelINS0_14default_configENS1_20scan_config_selectorIxEEZZNS1_9scan_implILNS1_25lookback_scan_determinismE0ELb0ELb0ES3_N6thrust23THRUST_200600_302600_NS6detail15normal_iteratorINS9_10device_ptrIxEEEESE_xNS9_4plusIxEExEEDaPvRmT3_T4_T5_mT6_P12ihipStream_tbENKUlT_T0_E_clISt17integral_constantIbLb1EESU_EEDaSP_SQ_EUlSP_E0_NS1_11comp_targetILNS1_3genE2ELNS1_11target_archE906ELNS1_3gpuE6ELNS1_3repE0EEENS1_30default_config_static_selectorELNS0_4arch9wavefront6targetE1EEEvT1_
                                        ; -- End function
	.section	.AMDGPU.csdata,"",@progbits
; Kernel info:
; codeLenInByte = 0
; NumSgprs: 4
; NumVgprs: 0
; NumAgprs: 0
; TotalNumVgprs: 0
; ScratchSize: 0
; MemoryBound: 0
; FloatMode: 240
; IeeeMode: 1
; LDSByteSize: 0 bytes/workgroup (compile time only)
; SGPRBlocks: 0
; VGPRBlocks: 0
; NumSGPRsForWavesPerEU: 4
; NumVGPRsForWavesPerEU: 1
; AccumOffset: 4
; Occupancy: 8
; WaveLimiterHint : 0
; COMPUTE_PGM_RSRC2:SCRATCH_EN: 0
; COMPUTE_PGM_RSRC2:USER_SGPR: 6
; COMPUTE_PGM_RSRC2:TRAP_HANDLER: 0
; COMPUTE_PGM_RSRC2:TGID_X_EN: 1
; COMPUTE_PGM_RSRC2:TGID_Y_EN: 0
; COMPUTE_PGM_RSRC2:TGID_Z_EN: 0
; COMPUTE_PGM_RSRC2:TIDIG_COMP_CNT: 0
; COMPUTE_PGM_RSRC3_GFX90A:ACCUM_OFFSET: 0
; COMPUTE_PGM_RSRC3_GFX90A:TG_SPLIT: 0
	.section	.text._ZN7rocprim17ROCPRIM_400000_NS6detail17trampoline_kernelINS0_14default_configENS1_20scan_config_selectorIxEEZZNS1_9scan_implILNS1_25lookback_scan_determinismE0ELb0ELb0ES3_N6thrust23THRUST_200600_302600_NS6detail15normal_iteratorINS9_10device_ptrIxEEEESE_xNS9_4plusIxEExEEDaPvRmT3_T4_T5_mT6_P12ihipStream_tbENKUlT_T0_E_clISt17integral_constantIbLb1EESU_EEDaSP_SQ_EUlSP_E0_NS1_11comp_targetILNS1_3genE10ELNS1_11target_archE1201ELNS1_3gpuE5ELNS1_3repE0EEENS1_30default_config_static_selectorELNS0_4arch9wavefront6targetE1EEEvT1_,"axG",@progbits,_ZN7rocprim17ROCPRIM_400000_NS6detail17trampoline_kernelINS0_14default_configENS1_20scan_config_selectorIxEEZZNS1_9scan_implILNS1_25lookback_scan_determinismE0ELb0ELb0ES3_N6thrust23THRUST_200600_302600_NS6detail15normal_iteratorINS9_10device_ptrIxEEEESE_xNS9_4plusIxEExEEDaPvRmT3_T4_T5_mT6_P12ihipStream_tbENKUlT_T0_E_clISt17integral_constantIbLb1EESU_EEDaSP_SQ_EUlSP_E0_NS1_11comp_targetILNS1_3genE10ELNS1_11target_archE1201ELNS1_3gpuE5ELNS1_3repE0EEENS1_30default_config_static_selectorELNS0_4arch9wavefront6targetE1EEEvT1_,comdat
	.protected	_ZN7rocprim17ROCPRIM_400000_NS6detail17trampoline_kernelINS0_14default_configENS1_20scan_config_selectorIxEEZZNS1_9scan_implILNS1_25lookback_scan_determinismE0ELb0ELb0ES3_N6thrust23THRUST_200600_302600_NS6detail15normal_iteratorINS9_10device_ptrIxEEEESE_xNS9_4plusIxEExEEDaPvRmT3_T4_T5_mT6_P12ihipStream_tbENKUlT_T0_E_clISt17integral_constantIbLb1EESU_EEDaSP_SQ_EUlSP_E0_NS1_11comp_targetILNS1_3genE10ELNS1_11target_archE1201ELNS1_3gpuE5ELNS1_3repE0EEENS1_30default_config_static_selectorELNS0_4arch9wavefront6targetE1EEEvT1_ ; -- Begin function _ZN7rocprim17ROCPRIM_400000_NS6detail17trampoline_kernelINS0_14default_configENS1_20scan_config_selectorIxEEZZNS1_9scan_implILNS1_25lookback_scan_determinismE0ELb0ELb0ES3_N6thrust23THRUST_200600_302600_NS6detail15normal_iteratorINS9_10device_ptrIxEEEESE_xNS9_4plusIxEExEEDaPvRmT3_T4_T5_mT6_P12ihipStream_tbENKUlT_T0_E_clISt17integral_constantIbLb1EESU_EEDaSP_SQ_EUlSP_E0_NS1_11comp_targetILNS1_3genE10ELNS1_11target_archE1201ELNS1_3gpuE5ELNS1_3repE0EEENS1_30default_config_static_selectorELNS0_4arch9wavefront6targetE1EEEvT1_
	.globl	_ZN7rocprim17ROCPRIM_400000_NS6detail17trampoline_kernelINS0_14default_configENS1_20scan_config_selectorIxEEZZNS1_9scan_implILNS1_25lookback_scan_determinismE0ELb0ELb0ES3_N6thrust23THRUST_200600_302600_NS6detail15normal_iteratorINS9_10device_ptrIxEEEESE_xNS9_4plusIxEExEEDaPvRmT3_T4_T5_mT6_P12ihipStream_tbENKUlT_T0_E_clISt17integral_constantIbLb1EESU_EEDaSP_SQ_EUlSP_E0_NS1_11comp_targetILNS1_3genE10ELNS1_11target_archE1201ELNS1_3gpuE5ELNS1_3repE0EEENS1_30default_config_static_selectorELNS0_4arch9wavefront6targetE1EEEvT1_
	.p2align	8
	.type	_ZN7rocprim17ROCPRIM_400000_NS6detail17trampoline_kernelINS0_14default_configENS1_20scan_config_selectorIxEEZZNS1_9scan_implILNS1_25lookback_scan_determinismE0ELb0ELb0ES3_N6thrust23THRUST_200600_302600_NS6detail15normal_iteratorINS9_10device_ptrIxEEEESE_xNS9_4plusIxEExEEDaPvRmT3_T4_T5_mT6_P12ihipStream_tbENKUlT_T0_E_clISt17integral_constantIbLb1EESU_EEDaSP_SQ_EUlSP_E0_NS1_11comp_targetILNS1_3genE10ELNS1_11target_archE1201ELNS1_3gpuE5ELNS1_3repE0EEENS1_30default_config_static_selectorELNS0_4arch9wavefront6targetE1EEEvT1_,@function
_ZN7rocprim17ROCPRIM_400000_NS6detail17trampoline_kernelINS0_14default_configENS1_20scan_config_selectorIxEEZZNS1_9scan_implILNS1_25lookback_scan_determinismE0ELb0ELb0ES3_N6thrust23THRUST_200600_302600_NS6detail15normal_iteratorINS9_10device_ptrIxEEEESE_xNS9_4plusIxEExEEDaPvRmT3_T4_T5_mT6_P12ihipStream_tbENKUlT_T0_E_clISt17integral_constantIbLb1EESU_EEDaSP_SQ_EUlSP_E0_NS1_11comp_targetILNS1_3genE10ELNS1_11target_archE1201ELNS1_3gpuE5ELNS1_3repE0EEENS1_30default_config_static_selectorELNS0_4arch9wavefront6targetE1EEEvT1_: ; @_ZN7rocprim17ROCPRIM_400000_NS6detail17trampoline_kernelINS0_14default_configENS1_20scan_config_selectorIxEEZZNS1_9scan_implILNS1_25lookback_scan_determinismE0ELb0ELb0ES3_N6thrust23THRUST_200600_302600_NS6detail15normal_iteratorINS9_10device_ptrIxEEEESE_xNS9_4plusIxEExEEDaPvRmT3_T4_T5_mT6_P12ihipStream_tbENKUlT_T0_E_clISt17integral_constantIbLb1EESU_EEDaSP_SQ_EUlSP_E0_NS1_11comp_targetILNS1_3genE10ELNS1_11target_archE1201ELNS1_3gpuE5ELNS1_3repE0EEENS1_30default_config_static_selectorELNS0_4arch9wavefront6targetE1EEEvT1_
; %bb.0:
	.section	.rodata,"a",@progbits
	.p2align	6, 0x0
	.amdhsa_kernel _ZN7rocprim17ROCPRIM_400000_NS6detail17trampoline_kernelINS0_14default_configENS1_20scan_config_selectorIxEEZZNS1_9scan_implILNS1_25lookback_scan_determinismE0ELb0ELb0ES3_N6thrust23THRUST_200600_302600_NS6detail15normal_iteratorINS9_10device_ptrIxEEEESE_xNS9_4plusIxEExEEDaPvRmT3_T4_T5_mT6_P12ihipStream_tbENKUlT_T0_E_clISt17integral_constantIbLb1EESU_EEDaSP_SQ_EUlSP_E0_NS1_11comp_targetILNS1_3genE10ELNS1_11target_archE1201ELNS1_3gpuE5ELNS1_3repE0EEENS1_30default_config_static_selectorELNS0_4arch9wavefront6targetE1EEEvT1_
		.amdhsa_group_segment_fixed_size 0
		.amdhsa_private_segment_fixed_size 0
		.amdhsa_kernarg_size 40
		.amdhsa_user_sgpr_count 6
		.amdhsa_user_sgpr_private_segment_buffer 1
		.amdhsa_user_sgpr_dispatch_ptr 0
		.amdhsa_user_sgpr_queue_ptr 0
		.amdhsa_user_sgpr_kernarg_segment_ptr 1
		.amdhsa_user_sgpr_dispatch_id 0
		.amdhsa_user_sgpr_flat_scratch_init 0
		.amdhsa_user_sgpr_kernarg_preload_length 0
		.amdhsa_user_sgpr_kernarg_preload_offset 0
		.amdhsa_user_sgpr_private_segment_size 0
		.amdhsa_uses_dynamic_stack 0
		.amdhsa_system_sgpr_private_segment_wavefront_offset 0
		.amdhsa_system_sgpr_workgroup_id_x 1
		.amdhsa_system_sgpr_workgroup_id_y 0
		.amdhsa_system_sgpr_workgroup_id_z 0
		.amdhsa_system_sgpr_workgroup_info 0
		.amdhsa_system_vgpr_workitem_id 0
		.amdhsa_next_free_vgpr 1
		.amdhsa_next_free_sgpr 0
		.amdhsa_accum_offset 4
		.amdhsa_reserve_vcc 0
		.amdhsa_reserve_flat_scratch 0
		.amdhsa_float_round_mode_32 0
		.amdhsa_float_round_mode_16_64 0
		.amdhsa_float_denorm_mode_32 3
		.amdhsa_float_denorm_mode_16_64 3
		.amdhsa_dx10_clamp 1
		.amdhsa_ieee_mode 1
		.amdhsa_fp16_overflow 0
		.amdhsa_tg_split 0
		.amdhsa_exception_fp_ieee_invalid_op 0
		.amdhsa_exception_fp_denorm_src 0
		.amdhsa_exception_fp_ieee_div_zero 0
		.amdhsa_exception_fp_ieee_overflow 0
		.amdhsa_exception_fp_ieee_underflow 0
		.amdhsa_exception_fp_ieee_inexact 0
		.amdhsa_exception_int_div_zero 0
	.end_amdhsa_kernel
	.section	.text._ZN7rocprim17ROCPRIM_400000_NS6detail17trampoline_kernelINS0_14default_configENS1_20scan_config_selectorIxEEZZNS1_9scan_implILNS1_25lookback_scan_determinismE0ELb0ELb0ES3_N6thrust23THRUST_200600_302600_NS6detail15normal_iteratorINS9_10device_ptrIxEEEESE_xNS9_4plusIxEExEEDaPvRmT3_T4_T5_mT6_P12ihipStream_tbENKUlT_T0_E_clISt17integral_constantIbLb1EESU_EEDaSP_SQ_EUlSP_E0_NS1_11comp_targetILNS1_3genE10ELNS1_11target_archE1201ELNS1_3gpuE5ELNS1_3repE0EEENS1_30default_config_static_selectorELNS0_4arch9wavefront6targetE1EEEvT1_,"axG",@progbits,_ZN7rocprim17ROCPRIM_400000_NS6detail17trampoline_kernelINS0_14default_configENS1_20scan_config_selectorIxEEZZNS1_9scan_implILNS1_25lookback_scan_determinismE0ELb0ELb0ES3_N6thrust23THRUST_200600_302600_NS6detail15normal_iteratorINS9_10device_ptrIxEEEESE_xNS9_4plusIxEExEEDaPvRmT3_T4_T5_mT6_P12ihipStream_tbENKUlT_T0_E_clISt17integral_constantIbLb1EESU_EEDaSP_SQ_EUlSP_E0_NS1_11comp_targetILNS1_3genE10ELNS1_11target_archE1201ELNS1_3gpuE5ELNS1_3repE0EEENS1_30default_config_static_selectorELNS0_4arch9wavefront6targetE1EEEvT1_,comdat
.Lfunc_end230:
	.size	_ZN7rocprim17ROCPRIM_400000_NS6detail17trampoline_kernelINS0_14default_configENS1_20scan_config_selectorIxEEZZNS1_9scan_implILNS1_25lookback_scan_determinismE0ELb0ELb0ES3_N6thrust23THRUST_200600_302600_NS6detail15normal_iteratorINS9_10device_ptrIxEEEESE_xNS9_4plusIxEExEEDaPvRmT3_T4_T5_mT6_P12ihipStream_tbENKUlT_T0_E_clISt17integral_constantIbLb1EESU_EEDaSP_SQ_EUlSP_E0_NS1_11comp_targetILNS1_3genE10ELNS1_11target_archE1201ELNS1_3gpuE5ELNS1_3repE0EEENS1_30default_config_static_selectorELNS0_4arch9wavefront6targetE1EEEvT1_, .Lfunc_end230-_ZN7rocprim17ROCPRIM_400000_NS6detail17trampoline_kernelINS0_14default_configENS1_20scan_config_selectorIxEEZZNS1_9scan_implILNS1_25lookback_scan_determinismE0ELb0ELb0ES3_N6thrust23THRUST_200600_302600_NS6detail15normal_iteratorINS9_10device_ptrIxEEEESE_xNS9_4plusIxEExEEDaPvRmT3_T4_T5_mT6_P12ihipStream_tbENKUlT_T0_E_clISt17integral_constantIbLb1EESU_EEDaSP_SQ_EUlSP_E0_NS1_11comp_targetILNS1_3genE10ELNS1_11target_archE1201ELNS1_3gpuE5ELNS1_3repE0EEENS1_30default_config_static_selectorELNS0_4arch9wavefront6targetE1EEEvT1_
                                        ; -- End function
	.section	.AMDGPU.csdata,"",@progbits
; Kernel info:
; codeLenInByte = 0
; NumSgprs: 4
; NumVgprs: 0
; NumAgprs: 0
; TotalNumVgprs: 0
; ScratchSize: 0
; MemoryBound: 0
; FloatMode: 240
; IeeeMode: 1
; LDSByteSize: 0 bytes/workgroup (compile time only)
; SGPRBlocks: 0
; VGPRBlocks: 0
; NumSGPRsForWavesPerEU: 4
; NumVGPRsForWavesPerEU: 1
; AccumOffset: 4
; Occupancy: 8
; WaveLimiterHint : 0
; COMPUTE_PGM_RSRC2:SCRATCH_EN: 0
; COMPUTE_PGM_RSRC2:USER_SGPR: 6
; COMPUTE_PGM_RSRC2:TRAP_HANDLER: 0
; COMPUTE_PGM_RSRC2:TGID_X_EN: 1
; COMPUTE_PGM_RSRC2:TGID_Y_EN: 0
; COMPUTE_PGM_RSRC2:TGID_Z_EN: 0
; COMPUTE_PGM_RSRC2:TIDIG_COMP_CNT: 0
; COMPUTE_PGM_RSRC3_GFX90A:ACCUM_OFFSET: 0
; COMPUTE_PGM_RSRC3_GFX90A:TG_SPLIT: 0
	.section	.text._ZN7rocprim17ROCPRIM_400000_NS6detail17trampoline_kernelINS0_14default_configENS1_20scan_config_selectorIxEEZZNS1_9scan_implILNS1_25lookback_scan_determinismE0ELb0ELb0ES3_N6thrust23THRUST_200600_302600_NS6detail15normal_iteratorINS9_10device_ptrIxEEEESE_xNS9_4plusIxEExEEDaPvRmT3_T4_T5_mT6_P12ihipStream_tbENKUlT_T0_E_clISt17integral_constantIbLb1EESU_EEDaSP_SQ_EUlSP_E0_NS1_11comp_targetILNS1_3genE10ELNS1_11target_archE1200ELNS1_3gpuE4ELNS1_3repE0EEENS1_30default_config_static_selectorELNS0_4arch9wavefront6targetE1EEEvT1_,"axG",@progbits,_ZN7rocprim17ROCPRIM_400000_NS6detail17trampoline_kernelINS0_14default_configENS1_20scan_config_selectorIxEEZZNS1_9scan_implILNS1_25lookback_scan_determinismE0ELb0ELb0ES3_N6thrust23THRUST_200600_302600_NS6detail15normal_iteratorINS9_10device_ptrIxEEEESE_xNS9_4plusIxEExEEDaPvRmT3_T4_T5_mT6_P12ihipStream_tbENKUlT_T0_E_clISt17integral_constantIbLb1EESU_EEDaSP_SQ_EUlSP_E0_NS1_11comp_targetILNS1_3genE10ELNS1_11target_archE1200ELNS1_3gpuE4ELNS1_3repE0EEENS1_30default_config_static_selectorELNS0_4arch9wavefront6targetE1EEEvT1_,comdat
	.protected	_ZN7rocprim17ROCPRIM_400000_NS6detail17trampoline_kernelINS0_14default_configENS1_20scan_config_selectorIxEEZZNS1_9scan_implILNS1_25lookback_scan_determinismE0ELb0ELb0ES3_N6thrust23THRUST_200600_302600_NS6detail15normal_iteratorINS9_10device_ptrIxEEEESE_xNS9_4plusIxEExEEDaPvRmT3_T4_T5_mT6_P12ihipStream_tbENKUlT_T0_E_clISt17integral_constantIbLb1EESU_EEDaSP_SQ_EUlSP_E0_NS1_11comp_targetILNS1_3genE10ELNS1_11target_archE1200ELNS1_3gpuE4ELNS1_3repE0EEENS1_30default_config_static_selectorELNS0_4arch9wavefront6targetE1EEEvT1_ ; -- Begin function _ZN7rocprim17ROCPRIM_400000_NS6detail17trampoline_kernelINS0_14default_configENS1_20scan_config_selectorIxEEZZNS1_9scan_implILNS1_25lookback_scan_determinismE0ELb0ELb0ES3_N6thrust23THRUST_200600_302600_NS6detail15normal_iteratorINS9_10device_ptrIxEEEESE_xNS9_4plusIxEExEEDaPvRmT3_T4_T5_mT6_P12ihipStream_tbENKUlT_T0_E_clISt17integral_constantIbLb1EESU_EEDaSP_SQ_EUlSP_E0_NS1_11comp_targetILNS1_3genE10ELNS1_11target_archE1200ELNS1_3gpuE4ELNS1_3repE0EEENS1_30default_config_static_selectorELNS0_4arch9wavefront6targetE1EEEvT1_
	.globl	_ZN7rocprim17ROCPRIM_400000_NS6detail17trampoline_kernelINS0_14default_configENS1_20scan_config_selectorIxEEZZNS1_9scan_implILNS1_25lookback_scan_determinismE0ELb0ELb0ES3_N6thrust23THRUST_200600_302600_NS6detail15normal_iteratorINS9_10device_ptrIxEEEESE_xNS9_4plusIxEExEEDaPvRmT3_T4_T5_mT6_P12ihipStream_tbENKUlT_T0_E_clISt17integral_constantIbLb1EESU_EEDaSP_SQ_EUlSP_E0_NS1_11comp_targetILNS1_3genE10ELNS1_11target_archE1200ELNS1_3gpuE4ELNS1_3repE0EEENS1_30default_config_static_selectorELNS0_4arch9wavefront6targetE1EEEvT1_
	.p2align	8
	.type	_ZN7rocprim17ROCPRIM_400000_NS6detail17trampoline_kernelINS0_14default_configENS1_20scan_config_selectorIxEEZZNS1_9scan_implILNS1_25lookback_scan_determinismE0ELb0ELb0ES3_N6thrust23THRUST_200600_302600_NS6detail15normal_iteratorINS9_10device_ptrIxEEEESE_xNS9_4plusIxEExEEDaPvRmT3_T4_T5_mT6_P12ihipStream_tbENKUlT_T0_E_clISt17integral_constantIbLb1EESU_EEDaSP_SQ_EUlSP_E0_NS1_11comp_targetILNS1_3genE10ELNS1_11target_archE1200ELNS1_3gpuE4ELNS1_3repE0EEENS1_30default_config_static_selectorELNS0_4arch9wavefront6targetE1EEEvT1_,@function
_ZN7rocprim17ROCPRIM_400000_NS6detail17trampoline_kernelINS0_14default_configENS1_20scan_config_selectorIxEEZZNS1_9scan_implILNS1_25lookback_scan_determinismE0ELb0ELb0ES3_N6thrust23THRUST_200600_302600_NS6detail15normal_iteratorINS9_10device_ptrIxEEEESE_xNS9_4plusIxEExEEDaPvRmT3_T4_T5_mT6_P12ihipStream_tbENKUlT_T0_E_clISt17integral_constantIbLb1EESU_EEDaSP_SQ_EUlSP_E0_NS1_11comp_targetILNS1_3genE10ELNS1_11target_archE1200ELNS1_3gpuE4ELNS1_3repE0EEENS1_30default_config_static_selectorELNS0_4arch9wavefront6targetE1EEEvT1_: ; @_ZN7rocprim17ROCPRIM_400000_NS6detail17trampoline_kernelINS0_14default_configENS1_20scan_config_selectorIxEEZZNS1_9scan_implILNS1_25lookback_scan_determinismE0ELb0ELb0ES3_N6thrust23THRUST_200600_302600_NS6detail15normal_iteratorINS9_10device_ptrIxEEEESE_xNS9_4plusIxEExEEDaPvRmT3_T4_T5_mT6_P12ihipStream_tbENKUlT_T0_E_clISt17integral_constantIbLb1EESU_EEDaSP_SQ_EUlSP_E0_NS1_11comp_targetILNS1_3genE10ELNS1_11target_archE1200ELNS1_3gpuE4ELNS1_3repE0EEENS1_30default_config_static_selectorELNS0_4arch9wavefront6targetE1EEEvT1_
; %bb.0:
	.section	.rodata,"a",@progbits
	.p2align	6, 0x0
	.amdhsa_kernel _ZN7rocprim17ROCPRIM_400000_NS6detail17trampoline_kernelINS0_14default_configENS1_20scan_config_selectorIxEEZZNS1_9scan_implILNS1_25lookback_scan_determinismE0ELb0ELb0ES3_N6thrust23THRUST_200600_302600_NS6detail15normal_iteratorINS9_10device_ptrIxEEEESE_xNS9_4plusIxEExEEDaPvRmT3_T4_T5_mT6_P12ihipStream_tbENKUlT_T0_E_clISt17integral_constantIbLb1EESU_EEDaSP_SQ_EUlSP_E0_NS1_11comp_targetILNS1_3genE10ELNS1_11target_archE1200ELNS1_3gpuE4ELNS1_3repE0EEENS1_30default_config_static_selectorELNS0_4arch9wavefront6targetE1EEEvT1_
		.amdhsa_group_segment_fixed_size 0
		.amdhsa_private_segment_fixed_size 0
		.amdhsa_kernarg_size 40
		.amdhsa_user_sgpr_count 6
		.amdhsa_user_sgpr_private_segment_buffer 1
		.amdhsa_user_sgpr_dispatch_ptr 0
		.amdhsa_user_sgpr_queue_ptr 0
		.amdhsa_user_sgpr_kernarg_segment_ptr 1
		.amdhsa_user_sgpr_dispatch_id 0
		.amdhsa_user_sgpr_flat_scratch_init 0
		.amdhsa_user_sgpr_kernarg_preload_length 0
		.amdhsa_user_sgpr_kernarg_preload_offset 0
		.amdhsa_user_sgpr_private_segment_size 0
		.amdhsa_uses_dynamic_stack 0
		.amdhsa_system_sgpr_private_segment_wavefront_offset 0
		.amdhsa_system_sgpr_workgroup_id_x 1
		.amdhsa_system_sgpr_workgroup_id_y 0
		.amdhsa_system_sgpr_workgroup_id_z 0
		.amdhsa_system_sgpr_workgroup_info 0
		.amdhsa_system_vgpr_workitem_id 0
		.amdhsa_next_free_vgpr 1
		.amdhsa_next_free_sgpr 0
		.amdhsa_accum_offset 4
		.amdhsa_reserve_vcc 0
		.amdhsa_reserve_flat_scratch 0
		.amdhsa_float_round_mode_32 0
		.amdhsa_float_round_mode_16_64 0
		.amdhsa_float_denorm_mode_32 3
		.amdhsa_float_denorm_mode_16_64 3
		.amdhsa_dx10_clamp 1
		.amdhsa_ieee_mode 1
		.amdhsa_fp16_overflow 0
		.amdhsa_tg_split 0
		.amdhsa_exception_fp_ieee_invalid_op 0
		.amdhsa_exception_fp_denorm_src 0
		.amdhsa_exception_fp_ieee_div_zero 0
		.amdhsa_exception_fp_ieee_overflow 0
		.amdhsa_exception_fp_ieee_underflow 0
		.amdhsa_exception_fp_ieee_inexact 0
		.amdhsa_exception_int_div_zero 0
	.end_amdhsa_kernel
	.section	.text._ZN7rocprim17ROCPRIM_400000_NS6detail17trampoline_kernelINS0_14default_configENS1_20scan_config_selectorIxEEZZNS1_9scan_implILNS1_25lookback_scan_determinismE0ELb0ELb0ES3_N6thrust23THRUST_200600_302600_NS6detail15normal_iteratorINS9_10device_ptrIxEEEESE_xNS9_4plusIxEExEEDaPvRmT3_T4_T5_mT6_P12ihipStream_tbENKUlT_T0_E_clISt17integral_constantIbLb1EESU_EEDaSP_SQ_EUlSP_E0_NS1_11comp_targetILNS1_3genE10ELNS1_11target_archE1200ELNS1_3gpuE4ELNS1_3repE0EEENS1_30default_config_static_selectorELNS0_4arch9wavefront6targetE1EEEvT1_,"axG",@progbits,_ZN7rocprim17ROCPRIM_400000_NS6detail17trampoline_kernelINS0_14default_configENS1_20scan_config_selectorIxEEZZNS1_9scan_implILNS1_25lookback_scan_determinismE0ELb0ELb0ES3_N6thrust23THRUST_200600_302600_NS6detail15normal_iteratorINS9_10device_ptrIxEEEESE_xNS9_4plusIxEExEEDaPvRmT3_T4_T5_mT6_P12ihipStream_tbENKUlT_T0_E_clISt17integral_constantIbLb1EESU_EEDaSP_SQ_EUlSP_E0_NS1_11comp_targetILNS1_3genE10ELNS1_11target_archE1200ELNS1_3gpuE4ELNS1_3repE0EEENS1_30default_config_static_selectorELNS0_4arch9wavefront6targetE1EEEvT1_,comdat
.Lfunc_end231:
	.size	_ZN7rocprim17ROCPRIM_400000_NS6detail17trampoline_kernelINS0_14default_configENS1_20scan_config_selectorIxEEZZNS1_9scan_implILNS1_25lookback_scan_determinismE0ELb0ELb0ES3_N6thrust23THRUST_200600_302600_NS6detail15normal_iteratorINS9_10device_ptrIxEEEESE_xNS9_4plusIxEExEEDaPvRmT3_T4_T5_mT6_P12ihipStream_tbENKUlT_T0_E_clISt17integral_constantIbLb1EESU_EEDaSP_SQ_EUlSP_E0_NS1_11comp_targetILNS1_3genE10ELNS1_11target_archE1200ELNS1_3gpuE4ELNS1_3repE0EEENS1_30default_config_static_selectorELNS0_4arch9wavefront6targetE1EEEvT1_, .Lfunc_end231-_ZN7rocprim17ROCPRIM_400000_NS6detail17trampoline_kernelINS0_14default_configENS1_20scan_config_selectorIxEEZZNS1_9scan_implILNS1_25lookback_scan_determinismE0ELb0ELb0ES3_N6thrust23THRUST_200600_302600_NS6detail15normal_iteratorINS9_10device_ptrIxEEEESE_xNS9_4plusIxEExEEDaPvRmT3_T4_T5_mT6_P12ihipStream_tbENKUlT_T0_E_clISt17integral_constantIbLb1EESU_EEDaSP_SQ_EUlSP_E0_NS1_11comp_targetILNS1_3genE10ELNS1_11target_archE1200ELNS1_3gpuE4ELNS1_3repE0EEENS1_30default_config_static_selectorELNS0_4arch9wavefront6targetE1EEEvT1_
                                        ; -- End function
	.section	.AMDGPU.csdata,"",@progbits
; Kernel info:
; codeLenInByte = 0
; NumSgprs: 4
; NumVgprs: 0
; NumAgprs: 0
; TotalNumVgprs: 0
; ScratchSize: 0
; MemoryBound: 0
; FloatMode: 240
; IeeeMode: 1
; LDSByteSize: 0 bytes/workgroup (compile time only)
; SGPRBlocks: 0
; VGPRBlocks: 0
; NumSGPRsForWavesPerEU: 4
; NumVGPRsForWavesPerEU: 1
; AccumOffset: 4
; Occupancy: 8
; WaveLimiterHint : 0
; COMPUTE_PGM_RSRC2:SCRATCH_EN: 0
; COMPUTE_PGM_RSRC2:USER_SGPR: 6
; COMPUTE_PGM_RSRC2:TRAP_HANDLER: 0
; COMPUTE_PGM_RSRC2:TGID_X_EN: 1
; COMPUTE_PGM_RSRC2:TGID_Y_EN: 0
; COMPUTE_PGM_RSRC2:TGID_Z_EN: 0
; COMPUTE_PGM_RSRC2:TIDIG_COMP_CNT: 0
; COMPUTE_PGM_RSRC3_GFX90A:ACCUM_OFFSET: 0
; COMPUTE_PGM_RSRC3_GFX90A:TG_SPLIT: 0
	.section	.text._ZN7rocprim17ROCPRIM_400000_NS6detail17trampoline_kernelINS0_14default_configENS1_20scan_config_selectorIxEEZZNS1_9scan_implILNS1_25lookback_scan_determinismE0ELb0ELb0ES3_N6thrust23THRUST_200600_302600_NS6detail15normal_iteratorINS9_10device_ptrIxEEEESE_xNS9_4plusIxEExEEDaPvRmT3_T4_T5_mT6_P12ihipStream_tbENKUlT_T0_E_clISt17integral_constantIbLb1EESU_EEDaSP_SQ_EUlSP_E0_NS1_11comp_targetILNS1_3genE9ELNS1_11target_archE1100ELNS1_3gpuE3ELNS1_3repE0EEENS1_30default_config_static_selectorELNS0_4arch9wavefront6targetE1EEEvT1_,"axG",@progbits,_ZN7rocprim17ROCPRIM_400000_NS6detail17trampoline_kernelINS0_14default_configENS1_20scan_config_selectorIxEEZZNS1_9scan_implILNS1_25lookback_scan_determinismE0ELb0ELb0ES3_N6thrust23THRUST_200600_302600_NS6detail15normal_iteratorINS9_10device_ptrIxEEEESE_xNS9_4plusIxEExEEDaPvRmT3_T4_T5_mT6_P12ihipStream_tbENKUlT_T0_E_clISt17integral_constantIbLb1EESU_EEDaSP_SQ_EUlSP_E0_NS1_11comp_targetILNS1_3genE9ELNS1_11target_archE1100ELNS1_3gpuE3ELNS1_3repE0EEENS1_30default_config_static_selectorELNS0_4arch9wavefront6targetE1EEEvT1_,comdat
	.protected	_ZN7rocprim17ROCPRIM_400000_NS6detail17trampoline_kernelINS0_14default_configENS1_20scan_config_selectorIxEEZZNS1_9scan_implILNS1_25lookback_scan_determinismE0ELb0ELb0ES3_N6thrust23THRUST_200600_302600_NS6detail15normal_iteratorINS9_10device_ptrIxEEEESE_xNS9_4plusIxEExEEDaPvRmT3_T4_T5_mT6_P12ihipStream_tbENKUlT_T0_E_clISt17integral_constantIbLb1EESU_EEDaSP_SQ_EUlSP_E0_NS1_11comp_targetILNS1_3genE9ELNS1_11target_archE1100ELNS1_3gpuE3ELNS1_3repE0EEENS1_30default_config_static_selectorELNS0_4arch9wavefront6targetE1EEEvT1_ ; -- Begin function _ZN7rocprim17ROCPRIM_400000_NS6detail17trampoline_kernelINS0_14default_configENS1_20scan_config_selectorIxEEZZNS1_9scan_implILNS1_25lookback_scan_determinismE0ELb0ELb0ES3_N6thrust23THRUST_200600_302600_NS6detail15normal_iteratorINS9_10device_ptrIxEEEESE_xNS9_4plusIxEExEEDaPvRmT3_T4_T5_mT6_P12ihipStream_tbENKUlT_T0_E_clISt17integral_constantIbLb1EESU_EEDaSP_SQ_EUlSP_E0_NS1_11comp_targetILNS1_3genE9ELNS1_11target_archE1100ELNS1_3gpuE3ELNS1_3repE0EEENS1_30default_config_static_selectorELNS0_4arch9wavefront6targetE1EEEvT1_
	.globl	_ZN7rocprim17ROCPRIM_400000_NS6detail17trampoline_kernelINS0_14default_configENS1_20scan_config_selectorIxEEZZNS1_9scan_implILNS1_25lookback_scan_determinismE0ELb0ELb0ES3_N6thrust23THRUST_200600_302600_NS6detail15normal_iteratorINS9_10device_ptrIxEEEESE_xNS9_4plusIxEExEEDaPvRmT3_T4_T5_mT6_P12ihipStream_tbENKUlT_T0_E_clISt17integral_constantIbLb1EESU_EEDaSP_SQ_EUlSP_E0_NS1_11comp_targetILNS1_3genE9ELNS1_11target_archE1100ELNS1_3gpuE3ELNS1_3repE0EEENS1_30default_config_static_selectorELNS0_4arch9wavefront6targetE1EEEvT1_
	.p2align	8
	.type	_ZN7rocprim17ROCPRIM_400000_NS6detail17trampoline_kernelINS0_14default_configENS1_20scan_config_selectorIxEEZZNS1_9scan_implILNS1_25lookback_scan_determinismE0ELb0ELb0ES3_N6thrust23THRUST_200600_302600_NS6detail15normal_iteratorINS9_10device_ptrIxEEEESE_xNS9_4plusIxEExEEDaPvRmT3_T4_T5_mT6_P12ihipStream_tbENKUlT_T0_E_clISt17integral_constantIbLb1EESU_EEDaSP_SQ_EUlSP_E0_NS1_11comp_targetILNS1_3genE9ELNS1_11target_archE1100ELNS1_3gpuE3ELNS1_3repE0EEENS1_30default_config_static_selectorELNS0_4arch9wavefront6targetE1EEEvT1_,@function
_ZN7rocprim17ROCPRIM_400000_NS6detail17trampoline_kernelINS0_14default_configENS1_20scan_config_selectorIxEEZZNS1_9scan_implILNS1_25lookback_scan_determinismE0ELb0ELb0ES3_N6thrust23THRUST_200600_302600_NS6detail15normal_iteratorINS9_10device_ptrIxEEEESE_xNS9_4plusIxEExEEDaPvRmT3_T4_T5_mT6_P12ihipStream_tbENKUlT_T0_E_clISt17integral_constantIbLb1EESU_EEDaSP_SQ_EUlSP_E0_NS1_11comp_targetILNS1_3genE9ELNS1_11target_archE1100ELNS1_3gpuE3ELNS1_3repE0EEENS1_30default_config_static_selectorELNS0_4arch9wavefront6targetE1EEEvT1_: ; @_ZN7rocprim17ROCPRIM_400000_NS6detail17trampoline_kernelINS0_14default_configENS1_20scan_config_selectorIxEEZZNS1_9scan_implILNS1_25lookback_scan_determinismE0ELb0ELb0ES3_N6thrust23THRUST_200600_302600_NS6detail15normal_iteratorINS9_10device_ptrIxEEEESE_xNS9_4plusIxEExEEDaPvRmT3_T4_T5_mT6_P12ihipStream_tbENKUlT_T0_E_clISt17integral_constantIbLb1EESU_EEDaSP_SQ_EUlSP_E0_NS1_11comp_targetILNS1_3genE9ELNS1_11target_archE1100ELNS1_3gpuE3ELNS1_3repE0EEENS1_30default_config_static_selectorELNS0_4arch9wavefront6targetE1EEEvT1_
; %bb.0:
	.section	.rodata,"a",@progbits
	.p2align	6, 0x0
	.amdhsa_kernel _ZN7rocprim17ROCPRIM_400000_NS6detail17trampoline_kernelINS0_14default_configENS1_20scan_config_selectorIxEEZZNS1_9scan_implILNS1_25lookback_scan_determinismE0ELb0ELb0ES3_N6thrust23THRUST_200600_302600_NS6detail15normal_iteratorINS9_10device_ptrIxEEEESE_xNS9_4plusIxEExEEDaPvRmT3_T4_T5_mT6_P12ihipStream_tbENKUlT_T0_E_clISt17integral_constantIbLb1EESU_EEDaSP_SQ_EUlSP_E0_NS1_11comp_targetILNS1_3genE9ELNS1_11target_archE1100ELNS1_3gpuE3ELNS1_3repE0EEENS1_30default_config_static_selectorELNS0_4arch9wavefront6targetE1EEEvT1_
		.amdhsa_group_segment_fixed_size 0
		.amdhsa_private_segment_fixed_size 0
		.amdhsa_kernarg_size 40
		.amdhsa_user_sgpr_count 6
		.amdhsa_user_sgpr_private_segment_buffer 1
		.amdhsa_user_sgpr_dispatch_ptr 0
		.amdhsa_user_sgpr_queue_ptr 0
		.amdhsa_user_sgpr_kernarg_segment_ptr 1
		.amdhsa_user_sgpr_dispatch_id 0
		.amdhsa_user_sgpr_flat_scratch_init 0
		.amdhsa_user_sgpr_kernarg_preload_length 0
		.amdhsa_user_sgpr_kernarg_preload_offset 0
		.amdhsa_user_sgpr_private_segment_size 0
		.amdhsa_uses_dynamic_stack 0
		.amdhsa_system_sgpr_private_segment_wavefront_offset 0
		.amdhsa_system_sgpr_workgroup_id_x 1
		.amdhsa_system_sgpr_workgroup_id_y 0
		.amdhsa_system_sgpr_workgroup_id_z 0
		.amdhsa_system_sgpr_workgroup_info 0
		.amdhsa_system_vgpr_workitem_id 0
		.amdhsa_next_free_vgpr 1
		.amdhsa_next_free_sgpr 0
		.amdhsa_accum_offset 4
		.amdhsa_reserve_vcc 0
		.amdhsa_reserve_flat_scratch 0
		.amdhsa_float_round_mode_32 0
		.amdhsa_float_round_mode_16_64 0
		.amdhsa_float_denorm_mode_32 3
		.amdhsa_float_denorm_mode_16_64 3
		.amdhsa_dx10_clamp 1
		.amdhsa_ieee_mode 1
		.amdhsa_fp16_overflow 0
		.amdhsa_tg_split 0
		.amdhsa_exception_fp_ieee_invalid_op 0
		.amdhsa_exception_fp_denorm_src 0
		.amdhsa_exception_fp_ieee_div_zero 0
		.amdhsa_exception_fp_ieee_overflow 0
		.amdhsa_exception_fp_ieee_underflow 0
		.amdhsa_exception_fp_ieee_inexact 0
		.amdhsa_exception_int_div_zero 0
	.end_amdhsa_kernel
	.section	.text._ZN7rocprim17ROCPRIM_400000_NS6detail17trampoline_kernelINS0_14default_configENS1_20scan_config_selectorIxEEZZNS1_9scan_implILNS1_25lookback_scan_determinismE0ELb0ELb0ES3_N6thrust23THRUST_200600_302600_NS6detail15normal_iteratorINS9_10device_ptrIxEEEESE_xNS9_4plusIxEExEEDaPvRmT3_T4_T5_mT6_P12ihipStream_tbENKUlT_T0_E_clISt17integral_constantIbLb1EESU_EEDaSP_SQ_EUlSP_E0_NS1_11comp_targetILNS1_3genE9ELNS1_11target_archE1100ELNS1_3gpuE3ELNS1_3repE0EEENS1_30default_config_static_selectorELNS0_4arch9wavefront6targetE1EEEvT1_,"axG",@progbits,_ZN7rocprim17ROCPRIM_400000_NS6detail17trampoline_kernelINS0_14default_configENS1_20scan_config_selectorIxEEZZNS1_9scan_implILNS1_25lookback_scan_determinismE0ELb0ELb0ES3_N6thrust23THRUST_200600_302600_NS6detail15normal_iteratorINS9_10device_ptrIxEEEESE_xNS9_4plusIxEExEEDaPvRmT3_T4_T5_mT6_P12ihipStream_tbENKUlT_T0_E_clISt17integral_constantIbLb1EESU_EEDaSP_SQ_EUlSP_E0_NS1_11comp_targetILNS1_3genE9ELNS1_11target_archE1100ELNS1_3gpuE3ELNS1_3repE0EEENS1_30default_config_static_selectorELNS0_4arch9wavefront6targetE1EEEvT1_,comdat
.Lfunc_end232:
	.size	_ZN7rocprim17ROCPRIM_400000_NS6detail17trampoline_kernelINS0_14default_configENS1_20scan_config_selectorIxEEZZNS1_9scan_implILNS1_25lookback_scan_determinismE0ELb0ELb0ES3_N6thrust23THRUST_200600_302600_NS6detail15normal_iteratorINS9_10device_ptrIxEEEESE_xNS9_4plusIxEExEEDaPvRmT3_T4_T5_mT6_P12ihipStream_tbENKUlT_T0_E_clISt17integral_constantIbLb1EESU_EEDaSP_SQ_EUlSP_E0_NS1_11comp_targetILNS1_3genE9ELNS1_11target_archE1100ELNS1_3gpuE3ELNS1_3repE0EEENS1_30default_config_static_selectorELNS0_4arch9wavefront6targetE1EEEvT1_, .Lfunc_end232-_ZN7rocprim17ROCPRIM_400000_NS6detail17trampoline_kernelINS0_14default_configENS1_20scan_config_selectorIxEEZZNS1_9scan_implILNS1_25lookback_scan_determinismE0ELb0ELb0ES3_N6thrust23THRUST_200600_302600_NS6detail15normal_iteratorINS9_10device_ptrIxEEEESE_xNS9_4plusIxEExEEDaPvRmT3_T4_T5_mT6_P12ihipStream_tbENKUlT_T0_E_clISt17integral_constantIbLb1EESU_EEDaSP_SQ_EUlSP_E0_NS1_11comp_targetILNS1_3genE9ELNS1_11target_archE1100ELNS1_3gpuE3ELNS1_3repE0EEENS1_30default_config_static_selectorELNS0_4arch9wavefront6targetE1EEEvT1_
                                        ; -- End function
	.section	.AMDGPU.csdata,"",@progbits
; Kernel info:
; codeLenInByte = 0
; NumSgprs: 4
; NumVgprs: 0
; NumAgprs: 0
; TotalNumVgprs: 0
; ScratchSize: 0
; MemoryBound: 0
; FloatMode: 240
; IeeeMode: 1
; LDSByteSize: 0 bytes/workgroup (compile time only)
; SGPRBlocks: 0
; VGPRBlocks: 0
; NumSGPRsForWavesPerEU: 4
; NumVGPRsForWavesPerEU: 1
; AccumOffset: 4
; Occupancy: 8
; WaveLimiterHint : 0
; COMPUTE_PGM_RSRC2:SCRATCH_EN: 0
; COMPUTE_PGM_RSRC2:USER_SGPR: 6
; COMPUTE_PGM_RSRC2:TRAP_HANDLER: 0
; COMPUTE_PGM_RSRC2:TGID_X_EN: 1
; COMPUTE_PGM_RSRC2:TGID_Y_EN: 0
; COMPUTE_PGM_RSRC2:TGID_Z_EN: 0
; COMPUTE_PGM_RSRC2:TIDIG_COMP_CNT: 0
; COMPUTE_PGM_RSRC3_GFX90A:ACCUM_OFFSET: 0
; COMPUTE_PGM_RSRC3_GFX90A:TG_SPLIT: 0
	.section	.text._ZN7rocprim17ROCPRIM_400000_NS6detail17trampoline_kernelINS0_14default_configENS1_20scan_config_selectorIxEEZZNS1_9scan_implILNS1_25lookback_scan_determinismE0ELb0ELb0ES3_N6thrust23THRUST_200600_302600_NS6detail15normal_iteratorINS9_10device_ptrIxEEEESE_xNS9_4plusIxEExEEDaPvRmT3_T4_T5_mT6_P12ihipStream_tbENKUlT_T0_E_clISt17integral_constantIbLb1EESU_EEDaSP_SQ_EUlSP_E0_NS1_11comp_targetILNS1_3genE8ELNS1_11target_archE1030ELNS1_3gpuE2ELNS1_3repE0EEENS1_30default_config_static_selectorELNS0_4arch9wavefront6targetE1EEEvT1_,"axG",@progbits,_ZN7rocprim17ROCPRIM_400000_NS6detail17trampoline_kernelINS0_14default_configENS1_20scan_config_selectorIxEEZZNS1_9scan_implILNS1_25lookback_scan_determinismE0ELb0ELb0ES3_N6thrust23THRUST_200600_302600_NS6detail15normal_iteratorINS9_10device_ptrIxEEEESE_xNS9_4plusIxEExEEDaPvRmT3_T4_T5_mT6_P12ihipStream_tbENKUlT_T0_E_clISt17integral_constantIbLb1EESU_EEDaSP_SQ_EUlSP_E0_NS1_11comp_targetILNS1_3genE8ELNS1_11target_archE1030ELNS1_3gpuE2ELNS1_3repE0EEENS1_30default_config_static_selectorELNS0_4arch9wavefront6targetE1EEEvT1_,comdat
	.protected	_ZN7rocprim17ROCPRIM_400000_NS6detail17trampoline_kernelINS0_14default_configENS1_20scan_config_selectorIxEEZZNS1_9scan_implILNS1_25lookback_scan_determinismE0ELb0ELb0ES3_N6thrust23THRUST_200600_302600_NS6detail15normal_iteratorINS9_10device_ptrIxEEEESE_xNS9_4plusIxEExEEDaPvRmT3_T4_T5_mT6_P12ihipStream_tbENKUlT_T0_E_clISt17integral_constantIbLb1EESU_EEDaSP_SQ_EUlSP_E0_NS1_11comp_targetILNS1_3genE8ELNS1_11target_archE1030ELNS1_3gpuE2ELNS1_3repE0EEENS1_30default_config_static_selectorELNS0_4arch9wavefront6targetE1EEEvT1_ ; -- Begin function _ZN7rocprim17ROCPRIM_400000_NS6detail17trampoline_kernelINS0_14default_configENS1_20scan_config_selectorIxEEZZNS1_9scan_implILNS1_25lookback_scan_determinismE0ELb0ELb0ES3_N6thrust23THRUST_200600_302600_NS6detail15normal_iteratorINS9_10device_ptrIxEEEESE_xNS9_4plusIxEExEEDaPvRmT3_T4_T5_mT6_P12ihipStream_tbENKUlT_T0_E_clISt17integral_constantIbLb1EESU_EEDaSP_SQ_EUlSP_E0_NS1_11comp_targetILNS1_3genE8ELNS1_11target_archE1030ELNS1_3gpuE2ELNS1_3repE0EEENS1_30default_config_static_selectorELNS0_4arch9wavefront6targetE1EEEvT1_
	.globl	_ZN7rocprim17ROCPRIM_400000_NS6detail17trampoline_kernelINS0_14default_configENS1_20scan_config_selectorIxEEZZNS1_9scan_implILNS1_25lookback_scan_determinismE0ELb0ELb0ES3_N6thrust23THRUST_200600_302600_NS6detail15normal_iteratorINS9_10device_ptrIxEEEESE_xNS9_4plusIxEExEEDaPvRmT3_T4_T5_mT6_P12ihipStream_tbENKUlT_T0_E_clISt17integral_constantIbLb1EESU_EEDaSP_SQ_EUlSP_E0_NS1_11comp_targetILNS1_3genE8ELNS1_11target_archE1030ELNS1_3gpuE2ELNS1_3repE0EEENS1_30default_config_static_selectorELNS0_4arch9wavefront6targetE1EEEvT1_
	.p2align	8
	.type	_ZN7rocprim17ROCPRIM_400000_NS6detail17trampoline_kernelINS0_14default_configENS1_20scan_config_selectorIxEEZZNS1_9scan_implILNS1_25lookback_scan_determinismE0ELb0ELb0ES3_N6thrust23THRUST_200600_302600_NS6detail15normal_iteratorINS9_10device_ptrIxEEEESE_xNS9_4plusIxEExEEDaPvRmT3_T4_T5_mT6_P12ihipStream_tbENKUlT_T0_E_clISt17integral_constantIbLb1EESU_EEDaSP_SQ_EUlSP_E0_NS1_11comp_targetILNS1_3genE8ELNS1_11target_archE1030ELNS1_3gpuE2ELNS1_3repE0EEENS1_30default_config_static_selectorELNS0_4arch9wavefront6targetE1EEEvT1_,@function
_ZN7rocprim17ROCPRIM_400000_NS6detail17trampoline_kernelINS0_14default_configENS1_20scan_config_selectorIxEEZZNS1_9scan_implILNS1_25lookback_scan_determinismE0ELb0ELb0ES3_N6thrust23THRUST_200600_302600_NS6detail15normal_iteratorINS9_10device_ptrIxEEEESE_xNS9_4plusIxEExEEDaPvRmT3_T4_T5_mT6_P12ihipStream_tbENKUlT_T0_E_clISt17integral_constantIbLb1EESU_EEDaSP_SQ_EUlSP_E0_NS1_11comp_targetILNS1_3genE8ELNS1_11target_archE1030ELNS1_3gpuE2ELNS1_3repE0EEENS1_30default_config_static_selectorELNS0_4arch9wavefront6targetE1EEEvT1_: ; @_ZN7rocprim17ROCPRIM_400000_NS6detail17trampoline_kernelINS0_14default_configENS1_20scan_config_selectorIxEEZZNS1_9scan_implILNS1_25lookback_scan_determinismE0ELb0ELb0ES3_N6thrust23THRUST_200600_302600_NS6detail15normal_iteratorINS9_10device_ptrIxEEEESE_xNS9_4plusIxEExEEDaPvRmT3_T4_T5_mT6_P12ihipStream_tbENKUlT_T0_E_clISt17integral_constantIbLb1EESU_EEDaSP_SQ_EUlSP_E0_NS1_11comp_targetILNS1_3genE8ELNS1_11target_archE1030ELNS1_3gpuE2ELNS1_3repE0EEENS1_30default_config_static_selectorELNS0_4arch9wavefront6targetE1EEEvT1_
; %bb.0:
	.section	.rodata,"a",@progbits
	.p2align	6, 0x0
	.amdhsa_kernel _ZN7rocprim17ROCPRIM_400000_NS6detail17trampoline_kernelINS0_14default_configENS1_20scan_config_selectorIxEEZZNS1_9scan_implILNS1_25lookback_scan_determinismE0ELb0ELb0ES3_N6thrust23THRUST_200600_302600_NS6detail15normal_iteratorINS9_10device_ptrIxEEEESE_xNS9_4plusIxEExEEDaPvRmT3_T4_T5_mT6_P12ihipStream_tbENKUlT_T0_E_clISt17integral_constantIbLb1EESU_EEDaSP_SQ_EUlSP_E0_NS1_11comp_targetILNS1_3genE8ELNS1_11target_archE1030ELNS1_3gpuE2ELNS1_3repE0EEENS1_30default_config_static_selectorELNS0_4arch9wavefront6targetE1EEEvT1_
		.amdhsa_group_segment_fixed_size 0
		.amdhsa_private_segment_fixed_size 0
		.amdhsa_kernarg_size 40
		.amdhsa_user_sgpr_count 6
		.amdhsa_user_sgpr_private_segment_buffer 1
		.amdhsa_user_sgpr_dispatch_ptr 0
		.amdhsa_user_sgpr_queue_ptr 0
		.amdhsa_user_sgpr_kernarg_segment_ptr 1
		.amdhsa_user_sgpr_dispatch_id 0
		.amdhsa_user_sgpr_flat_scratch_init 0
		.amdhsa_user_sgpr_kernarg_preload_length 0
		.amdhsa_user_sgpr_kernarg_preload_offset 0
		.amdhsa_user_sgpr_private_segment_size 0
		.amdhsa_uses_dynamic_stack 0
		.amdhsa_system_sgpr_private_segment_wavefront_offset 0
		.amdhsa_system_sgpr_workgroup_id_x 1
		.amdhsa_system_sgpr_workgroup_id_y 0
		.amdhsa_system_sgpr_workgroup_id_z 0
		.amdhsa_system_sgpr_workgroup_info 0
		.amdhsa_system_vgpr_workitem_id 0
		.amdhsa_next_free_vgpr 1
		.amdhsa_next_free_sgpr 0
		.amdhsa_accum_offset 4
		.amdhsa_reserve_vcc 0
		.amdhsa_reserve_flat_scratch 0
		.amdhsa_float_round_mode_32 0
		.amdhsa_float_round_mode_16_64 0
		.amdhsa_float_denorm_mode_32 3
		.amdhsa_float_denorm_mode_16_64 3
		.amdhsa_dx10_clamp 1
		.amdhsa_ieee_mode 1
		.amdhsa_fp16_overflow 0
		.amdhsa_tg_split 0
		.amdhsa_exception_fp_ieee_invalid_op 0
		.amdhsa_exception_fp_denorm_src 0
		.amdhsa_exception_fp_ieee_div_zero 0
		.amdhsa_exception_fp_ieee_overflow 0
		.amdhsa_exception_fp_ieee_underflow 0
		.amdhsa_exception_fp_ieee_inexact 0
		.amdhsa_exception_int_div_zero 0
	.end_amdhsa_kernel
	.section	.text._ZN7rocprim17ROCPRIM_400000_NS6detail17trampoline_kernelINS0_14default_configENS1_20scan_config_selectorIxEEZZNS1_9scan_implILNS1_25lookback_scan_determinismE0ELb0ELb0ES3_N6thrust23THRUST_200600_302600_NS6detail15normal_iteratorINS9_10device_ptrIxEEEESE_xNS9_4plusIxEExEEDaPvRmT3_T4_T5_mT6_P12ihipStream_tbENKUlT_T0_E_clISt17integral_constantIbLb1EESU_EEDaSP_SQ_EUlSP_E0_NS1_11comp_targetILNS1_3genE8ELNS1_11target_archE1030ELNS1_3gpuE2ELNS1_3repE0EEENS1_30default_config_static_selectorELNS0_4arch9wavefront6targetE1EEEvT1_,"axG",@progbits,_ZN7rocprim17ROCPRIM_400000_NS6detail17trampoline_kernelINS0_14default_configENS1_20scan_config_selectorIxEEZZNS1_9scan_implILNS1_25lookback_scan_determinismE0ELb0ELb0ES3_N6thrust23THRUST_200600_302600_NS6detail15normal_iteratorINS9_10device_ptrIxEEEESE_xNS9_4plusIxEExEEDaPvRmT3_T4_T5_mT6_P12ihipStream_tbENKUlT_T0_E_clISt17integral_constantIbLb1EESU_EEDaSP_SQ_EUlSP_E0_NS1_11comp_targetILNS1_3genE8ELNS1_11target_archE1030ELNS1_3gpuE2ELNS1_3repE0EEENS1_30default_config_static_selectorELNS0_4arch9wavefront6targetE1EEEvT1_,comdat
.Lfunc_end233:
	.size	_ZN7rocprim17ROCPRIM_400000_NS6detail17trampoline_kernelINS0_14default_configENS1_20scan_config_selectorIxEEZZNS1_9scan_implILNS1_25lookback_scan_determinismE0ELb0ELb0ES3_N6thrust23THRUST_200600_302600_NS6detail15normal_iteratorINS9_10device_ptrIxEEEESE_xNS9_4plusIxEExEEDaPvRmT3_T4_T5_mT6_P12ihipStream_tbENKUlT_T0_E_clISt17integral_constantIbLb1EESU_EEDaSP_SQ_EUlSP_E0_NS1_11comp_targetILNS1_3genE8ELNS1_11target_archE1030ELNS1_3gpuE2ELNS1_3repE0EEENS1_30default_config_static_selectorELNS0_4arch9wavefront6targetE1EEEvT1_, .Lfunc_end233-_ZN7rocprim17ROCPRIM_400000_NS6detail17trampoline_kernelINS0_14default_configENS1_20scan_config_selectorIxEEZZNS1_9scan_implILNS1_25lookback_scan_determinismE0ELb0ELb0ES3_N6thrust23THRUST_200600_302600_NS6detail15normal_iteratorINS9_10device_ptrIxEEEESE_xNS9_4plusIxEExEEDaPvRmT3_T4_T5_mT6_P12ihipStream_tbENKUlT_T0_E_clISt17integral_constantIbLb1EESU_EEDaSP_SQ_EUlSP_E0_NS1_11comp_targetILNS1_3genE8ELNS1_11target_archE1030ELNS1_3gpuE2ELNS1_3repE0EEENS1_30default_config_static_selectorELNS0_4arch9wavefront6targetE1EEEvT1_
                                        ; -- End function
	.section	.AMDGPU.csdata,"",@progbits
; Kernel info:
; codeLenInByte = 0
; NumSgprs: 4
; NumVgprs: 0
; NumAgprs: 0
; TotalNumVgprs: 0
; ScratchSize: 0
; MemoryBound: 0
; FloatMode: 240
; IeeeMode: 1
; LDSByteSize: 0 bytes/workgroup (compile time only)
; SGPRBlocks: 0
; VGPRBlocks: 0
; NumSGPRsForWavesPerEU: 4
; NumVGPRsForWavesPerEU: 1
; AccumOffset: 4
; Occupancy: 8
; WaveLimiterHint : 0
; COMPUTE_PGM_RSRC2:SCRATCH_EN: 0
; COMPUTE_PGM_RSRC2:USER_SGPR: 6
; COMPUTE_PGM_RSRC2:TRAP_HANDLER: 0
; COMPUTE_PGM_RSRC2:TGID_X_EN: 1
; COMPUTE_PGM_RSRC2:TGID_Y_EN: 0
; COMPUTE_PGM_RSRC2:TGID_Z_EN: 0
; COMPUTE_PGM_RSRC2:TIDIG_COMP_CNT: 0
; COMPUTE_PGM_RSRC3_GFX90A:ACCUM_OFFSET: 0
; COMPUTE_PGM_RSRC3_GFX90A:TG_SPLIT: 0
	.section	.text._ZN7rocprim17ROCPRIM_400000_NS6detail17trampoline_kernelINS0_14default_configENS1_20scan_config_selectorIxEEZZNS1_9scan_implILNS1_25lookback_scan_determinismE0ELb0ELb0ES3_N6thrust23THRUST_200600_302600_NS6detail15normal_iteratorINS9_10device_ptrIxEEEESE_xNS9_4plusIxEExEEDaPvRmT3_T4_T5_mT6_P12ihipStream_tbENKUlT_T0_E_clISt17integral_constantIbLb1EEST_IbLb0EEEEDaSP_SQ_EUlSP_E_NS1_11comp_targetILNS1_3genE0ELNS1_11target_archE4294967295ELNS1_3gpuE0ELNS1_3repE0EEENS1_30default_config_static_selectorELNS0_4arch9wavefront6targetE1EEEvT1_,"axG",@progbits,_ZN7rocprim17ROCPRIM_400000_NS6detail17trampoline_kernelINS0_14default_configENS1_20scan_config_selectorIxEEZZNS1_9scan_implILNS1_25lookback_scan_determinismE0ELb0ELb0ES3_N6thrust23THRUST_200600_302600_NS6detail15normal_iteratorINS9_10device_ptrIxEEEESE_xNS9_4plusIxEExEEDaPvRmT3_T4_T5_mT6_P12ihipStream_tbENKUlT_T0_E_clISt17integral_constantIbLb1EEST_IbLb0EEEEDaSP_SQ_EUlSP_E_NS1_11comp_targetILNS1_3genE0ELNS1_11target_archE4294967295ELNS1_3gpuE0ELNS1_3repE0EEENS1_30default_config_static_selectorELNS0_4arch9wavefront6targetE1EEEvT1_,comdat
	.protected	_ZN7rocprim17ROCPRIM_400000_NS6detail17trampoline_kernelINS0_14default_configENS1_20scan_config_selectorIxEEZZNS1_9scan_implILNS1_25lookback_scan_determinismE0ELb0ELb0ES3_N6thrust23THRUST_200600_302600_NS6detail15normal_iteratorINS9_10device_ptrIxEEEESE_xNS9_4plusIxEExEEDaPvRmT3_T4_T5_mT6_P12ihipStream_tbENKUlT_T0_E_clISt17integral_constantIbLb1EEST_IbLb0EEEEDaSP_SQ_EUlSP_E_NS1_11comp_targetILNS1_3genE0ELNS1_11target_archE4294967295ELNS1_3gpuE0ELNS1_3repE0EEENS1_30default_config_static_selectorELNS0_4arch9wavefront6targetE1EEEvT1_ ; -- Begin function _ZN7rocprim17ROCPRIM_400000_NS6detail17trampoline_kernelINS0_14default_configENS1_20scan_config_selectorIxEEZZNS1_9scan_implILNS1_25lookback_scan_determinismE0ELb0ELb0ES3_N6thrust23THRUST_200600_302600_NS6detail15normal_iteratorINS9_10device_ptrIxEEEESE_xNS9_4plusIxEExEEDaPvRmT3_T4_T5_mT6_P12ihipStream_tbENKUlT_T0_E_clISt17integral_constantIbLb1EEST_IbLb0EEEEDaSP_SQ_EUlSP_E_NS1_11comp_targetILNS1_3genE0ELNS1_11target_archE4294967295ELNS1_3gpuE0ELNS1_3repE0EEENS1_30default_config_static_selectorELNS0_4arch9wavefront6targetE1EEEvT1_
	.globl	_ZN7rocprim17ROCPRIM_400000_NS6detail17trampoline_kernelINS0_14default_configENS1_20scan_config_selectorIxEEZZNS1_9scan_implILNS1_25lookback_scan_determinismE0ELb0ELb0ES3_N6thrust23THRUST_200600_302600_NS6detail15normal_iteratorINS9_10device_ptrIxEEEESE_xNS9_4plusIxEExEEDaPvRmT3_T4_T5_mT6_P12ihipStream_tbENKUlT_T0_E_clISt17integral_constantIbLb1EEST_IbLb0EEEEDaSP_SQ_EUlSP_E_NS1_11comp_targetILNS1_3genE0ELNS1_11target_archE4294967295ELNS1_3gpuE0ELNS1_3repE0EEENS1_30default_config_static_selectorELNS0_4arch9wavefront6targetE1EEEvT1_
	.p2align	8
	.type	_ZN7rocprim17ROCPRIM_400000_NS6detail17trampoline_kernelINS0_14default_configENS1_20scan_config_selectorIxEEZZNS1_9scan_implILNS1_25lookback_scan_determinismE0ELb0ELb0ES3_N6thrust23THRUST_200600_302600_NS6detail15normal_iteratorINS9_10device_ptrIxEEEESE_xNS9_4plusIxEExEEDaPvRmT3_T4_T5_mT6_P12ihipStream_tbENKUlT_T0_E_clISt17integral_constantIbLb1EEST_IbLb0EEEEDaSP_SQ_EUlSP_E_NS1_11comp_targetILNS1_3genE0ELNS1_11target_archE4294967295ELNS1_3gpuE0ELNS1_3repE0EEENS1_30default_config_static_selectorELNS0_4arch9wavefront6targetE1EEEvT1_,@function
_ZN7rocprim17ROCPRIM_400000_NS6detail17trampoline_kernelINS0_14default_configENS1_20scan_config_selectorIxEEZZNS1_9scan_implILNS1_25lookback_scan_determinismE0ELb0ELb0ES3_N6thrust23THRUST_200600_302600_NS6detail15normal_iteratorINS9_10device_ptrIxEEEESE_xNS9_4plusIxEExEEDaPvRmT3_T4_T5_mT6_P12ihipStream_tbENKUlT_T0_E_clISt17integral_constantIbLb1EEST_IbLb0EEEEDaSP_SQ_EUlSP_E_NS1_11comp_targetILNS1_3genE0ELNS1_11target_archE4294967295ELNS1_3gpuE0ELNS1_3repE0EEENS1_30default_config_static_selectorELNS0_4arch9wavefront6targetE1EEEvT1_: ; @_ZN7rocprim17ROCPRIM_400000_NS6detail17trampoline_kernelINS0_14default_configENS1_20scan_config_selectorIxEEZZNS1_9scan_implILNS1_25lookback_scan_determinismE0ELb0ELb0ES3_N6thrust23THRUST_200600_302600_NS6detail15normal_iteratorINS9_10device_ptrIxEEEESE_xNS9_4plusIxEExEEDaPvRmT3_T4_T5_mT6_P12ihipStream_tbENKUlT_T0_E_clISt17integral_constantIbLb1EEST_IbLb0EEEEDaSP_SQ_EUlSP_E_NS1_11comp_targetILNS1_3genE0ELNS1_11target_archE4294967295ELNS1_3gpuE0ELNS1_3repE0EEENS1_30default_config_static_selectorELNS0_4arch9wavefront6targetE1EEEvT1_
; %bb.0:
	.section	.rodata,"a",@progbits
	.p2align	6, 0x0
	.amdhsa_kernel _ZN7rocprim17ROCPRIM_400000_NS6detail17trampoline_kernelINS0_14default_configENS1_20scan_config_selectorIxEEZZNS1_9scan_implILNS1_25lookback_scan_determinismE0ELb0ELb0ES3_N6thrust23THRUST_200600_302600_NS6detail15normal_iteratorINS9_10device_ptrIxEEEESE_xNS9_4plusIxEExEEDaPvRmT3_T4_T5_mT6_P12ihipStream_tbENKUlT_T0_E_clISt17integral_constantIbLb1EEST_IbLb0EEEEDaSP_SQ_EUlSP_E_NS1_11comp_targetILNS1_3genE0ELNS1_11target_archE4294967295ELNS1_3gpuE0ELNS1_3repE0EEENS1_30default_config_static_selectorELNS0_4arch9wavefront6targetE1EEEvT1_
		.amdhsa_group_segment_fixed_size 0
		.amdhsa_private_segment_fixed_size 0
		.amdhsa_kernarg_size 104
		.amdhsa_user_sgpr_count 6
		.amdhsa_user_sgpr_private_segment_buffer 1
		.amdhsa_user_sgpr_dispatch_ptr 0
		.amdhsa_user_sgpr_queue_ptr 0
		.amdhsa_user_sgpr_kernarg_segment_ptr 1
		.amdhsa_user_sgpr_dispatch_id 0
		.amdhsa_user_sgpr_flat_scratch_init 0
		.amdhsa_user_sgpr_kernarg_preload_length 0
		.amdhsa_user_sgpr_kernarg_preload_offset 0
		.amdhsa_user_sgpr_private_segment_size 0
		.amdhsa_uses_dynamic_stack 0
		.amdhsa_system_sgpr_private_segment_wavefront_offset 0
		.amdhsa_system_sgpr_workgroup_id_x 1
		.amdhsa_system_sgpr_workgroup_id_y 0
		.amdhsa_system_sgpr_workgroup_id_z 0
		.amdhsa_system_sgpr_workgroup_info 0
		.amdhsa_system_vgpr_workitem_id 0
		.amdhsa_next_free_vgpr 1
		.amdhsa_next_free_sgpr 0
		.amdhsa_accum_offset 4
		.amdhsa_reserve_vcc 0
		.amdhsa_reserve_flat_scratch 0
		.amdhsa_float_round_mode_32 0
		.amdhsa_float_round_mode_16_64 0
		.amdhsa_float_denorm_mode_32 3
		.amdhsa_float_denorm_mode_16_64 3
		.amdhsa_dx10_clamp 1
		.amdhsa_ieee_mode 1
		.amdhsa_fp16_overflow 0
		.amdhsa_tg_split 0
		.amdhsa_exception_fp_ieee_invalid_op 0
		.amdhsa_exception_fp_denorm_src 0
		.amdhsa_exception_fp_ieee_div_zero 0
		.amdhsa_exception_fp_ieee_overflow 0
		.amdhsa_exception_fp_ieee_underflow 0
		.amdhsa_exception_fp_ieee_inexact 0
		.amdhsa_exception_int_div_zero 0
	.end_amdhsa_kernel
	.section	.text._ZN7rocprim17ROCPRIM_400000_NS6detail17trampoline_kernelINS0_14default_configENS1_20scan_config_selectorIxEEZZNS1_9scan_implILNS1_25lookback_scan_determinismE0ELb0ELb0ES3_N6thrust23THRUST_200600_302600_NS6detail15normal_iteratorINS9_10device_ptrIxEEEESE_xNS9_4plusIxEExEEDaPvRmT3_T4_T5_mT6_P12ihipStream_tbENKUlT_T0_E_clISt17integral_constantIbLb1EEST_IbLb0EEEEDaSP_SQ_EUlSP_E_NS1_11comp_targetILNS1_3genE0ELNS1_11target_archE4294967295ELNS1_3gpuE0ELNS1_3repE0EEENS1_30default_config_static_selectorELNS0_4arch9wavefront6targetE1EEEvT1_,"axG",@progbits,_ZN7rocprim17ROCPRIM_400000_NS6detail17trampoline_kernelINS0_14default_configENS1_20scan_config_selectorIxEEZZNS1_9scan_implILNS1_25lookback_scan_determinismE0ELb0ELb0ES3_N6thrust23THRUST_200600_302600_NS6detail15normal_iteratorINS9_10device_ptrIxEEEESE_xNS9_4plusIxEExEEDaPvRmT3_T4_T5_mT6_P12ihipStream_tbENKUlT_T0_E_clISt17integral_constantIbLb1EEST_IbLb0EEEEDaSP_SQ_EUlSP_E_NS1_11comp_targetILNS1_3genE0ELNS1_11target_archE4294967295ELNS1_3gpuE0ELNS1_3repE0EEENS1_30default_config_static_selectorELNS0_4arch9wavefront6targetE1EEEvT1_,comdat
.Lfunc_end234:
	.size	_ZN7rocprim17ROCPRIM_400000_NS6detail17trampoline_kernelINS0_14default_configENS1_20scan_config_selectorIxEEZZNS1_9scan_implILNS1_25lookback_scan_determinismE0ELb0ELb0ES3_N6thrust23THRUST_200600_302600_NS6detail15normal_iteratorINS9_10device_ptrIxEEEESE_xNS9_4plusIxEExEEDaPvRmT3_T4_T5_mT6_P12ihipStream_tbENKUlT_T0_E_clISt17integral_constantIbLb1EEST_IbLb0EEEEDaSP_SQ_EUlSP_E_NS1_11comp_targetILNS1_3genE0ELNS1_11target_archE4294967295ELNS1_3gpuE0ELNS1_3repE0EEENS1_30default_config_static_selectorELNS0_4arch9wavefront6targetE1EEEvT1_, .Lfunc_end234-_ZN7rocprim17ROCPRIM_400000_NS6detail17trampoline_kernelINS0_14default_configENS1_20scan_config_selectorIxEEZZNS1_9scan_implILNS1_25lookback_scan_determinismE0ELb0ELb0ES3_N6thrust23THRUST_200600_302600_NS6detail15normal_iteratorINS9_10device_ptrIxEEEESE_xNS9_4plusIxEExEEDaPvRmT3_T4_T5_mT6_P12ihipStream_tbENKUlT_T0_E_clISt17integral_constantIbLb1EEST_IbLb0EEEEDaSP_SQ_EUlSP_E_NS1_11comp_targetILNS1_3genE0ELNS1_11target_archE4294967295ELNS1_3gpuE0ELNS1_3repE0EEENS1_30default_config_static_selectorELNS0_4arch9wavefront6targetE1EEEvT1_
                                        ; -- End function
	.section	.AMDGPU.csdata,"",@progbits
; Kernel info:
; codeLenInByte = 0
; NumSgprs: 4
; NumVgprs: 0
; NumAgprs: 0
; TotalNumVgprs: 0
; ScratchSize: 0
; MemoryBound: 0
; FloatMode: 240
; IeeeMode: 1
; LDSByteSize: 0 bytes/workgroup (compile time only)
; SGPRBlocks: 0
; VGPRBlocks: 0
; NumSGPRsForWavesPerEU: 4
; NumVGPRsForWavesPerEU: 1
; AccumOffset: 4
; Occupancy: 8
; WaveLimiterHint : 0
; COMPUTE_PGM_RSRC2:SCRATCH_EN: 0
; COMPUTE_PGM_RSRC2:USER_SGPR: 6
; COMPUTE_PGM_RSRC2:TRAP_HANDLER: 0
; COMPUTE_PGM_RSRC2:TGID_X_EN: 1
; COMPUTE_PGM_RSRC2:TGID_Y_EN: 0
; COMPUTE_PGM_RSRC2:TGID_Z_EN: 0
; COMPUTE_PGM_RSRC2:TIDIG_COMP_CNT: 0
; COMPUTE_PGM_RSRC3_GFX90A:ACCUM_OFFSET: 0
; COMPUTE_PGM_RSRC3_GFX90A:TG_SPLIT: 0
	.section	.text._ZN7rocprim17ROCPRIM_400000_NS6detail17trampoline_kernelINS0_14default_configENS1_20scan_config_selectorIxEEZZNS1_9scan_implILNS1_25lookback_scan_determinismE0ELb0ELb0ES3_N6thrust23THRUST_200600_302600_NS6detail15normal_iteratorINS9_10device_ptrIxEEEESE_xNS9_4plusIxEExEEDaPvRmT3_T4_T5_mT6_P12ihipStream_tbENKUlT_T0_E_clISt17integral_constantIbLb1EEST_IbLb0EEEEDaSP_SQ_EUlSP_E_NS1_11comp_targetILNS1_3genE5ELNS1_11target_archE942ELNS1_3gpuE9ELNS1_3repE0EEENS1_30default_config_static_selectorELNS0_4arch9wavefront6targetE1EEEvT1_,"axG",@progbits,_ZN7rocprim17ROCPRIM_400000_NS6detail17trampoline_kernelINS0_14default_configENS1_20scan_config_selectorIxEEZZNS1_9scan_implILNS1_25lookback_scan_determinismE0ELb0ELb0ES3_N6thrust23THRUST_200600_302600_NS6detail15normal_iteratorINS9_10device_ptrIxEEEESE_xNS9_4plusIxEExEEDaPvRmT3_T4_T5_mT6_P12ihipStream_tbENKUlT_T0_E_clISt17integral_constantIbLb1EEST_IbLb0EEEEDaSP_SQ_EUlSP_E_NS1_11comp_targetILNS1_3genE5ELNS1_11target_archE942ELNS1_3gpuE9ELNS1_3repE0EEENS1_30default_config_static_selectorELNS0_4arch9wavefront6targetE1EEEvT1_,comdat
	.protected	_ZN7rocprim17ROCPRIM_400000_NS6detail17trampoline_kernelINS0_14default_configENS1_20scan_config_selectorIxEEZZNS1_9scan_implILNS1_25lookback_scan_determinismE0ELb0ELb0ES3_N6thrust23THRUST_200600_302600_NS6detail15normal_iteratorINS9_10device_ptrIxEEEESE_xNS9_4plusIxEExEEDaPvRmT3_T4_T5_mT6_P12ihipStream_tbENKUlT_T0_E_clISt17integral_constantIbLb1EEST_IbLb0EEEEDaSP_SQ_EUlSP_E_NS1_11comp_targetILNS1_3genE5ELNS1_11target_archE942ELNS1_3gpuE9ELNS1_3repE0EEENS1_30default_config_static_selectorELNS0_4arch9wavefront6targetE1EEEvT1_ ; -- Begin function _ZN7rocprim17ROCPRIM_400000_NS6detail17trampoline_kernelINS0_14default_configENS1_20scan_config_selectorIxEEZZNS1_9scan_implILNS1_25lookback_scan_determinismE0ELb0ELb0ES3_N6thrust23THRUST_200600_302600_NS6detail15normal_iteratorINS9_10device_ptrIxEEEESE_xNS9_4plusIxEExEEDaPvRmT3_T4_T5_mT6_P12ihipStream_tbENKUlT_T0_E_clISt17integral_constantIbLb1EEST_IbLb0EEEEDaSP_SQ_EUlSP_E_NS1_11comp_targetILNS1_3genE5ELNS1_11target_archE942ELNS1_3gpuE9ELNS1_3repE0EEENS1_30default_config_static_selectorELNS0_4arch9wavefront6targetE1EEEvT1_
	.globl	_ZN7rocprim17ROCPRIM_400000_NS6detail17trampoline_kernelINS0_14default_configENS1_20scan_config_selectorIxEEZZNS1_9scan_implILNS1_25lookback_scan_determinismE0ELb0ELb0ES3_N6thrust23THRUST_200600_302600_NS6detail15normal_iteratorINS9_10device_ptrIxEEEESE_xNS9_4plusIxEExEEDaPvRmT3_T4_T5_mT6_P12ihipStream_tbENKUlT_T0_E_clISt17integral_constantIbLb1EEST_IbLb0EEEEDaSP_SQ_EUlSP_E_NS1_11comp_targetILNS1_3genE5ELNS1_11target_archE942ELNS1_3gpuE9ELNS1_3repE0EEENS1_30default_config_static_selectorELNS0_4arch9wavefront6targetE1EEEvT1_
	.p2align	8
	.type	_ZN7rocprim17ROCPRIM_400000_NS6detail17trampoline_kernelINS0_14default_configENS1_20scan_config_selectorIxEEZZNS1_9scan_implILNS1_25lookback_scan_determinismE0ELb0ELb0ES3_N6thrust23THRUST_200600_302600_NS6detail15normal_iteratorINS9_10device_ptrIxEEEESE_xNS9_4plusIxEExEEDaPvRmT3_T4_T5_mT6_P12ihipStream_tbENKUlT_T0_E_clISt17integral_constantIbLb1EEST_IbLb0EEEEDaSP_SQ_EUlSP_E_NS1_11comp_targetILNS1_3genE5ELNS1_11target_archE942ELNS1_3gpuE9ELNS1_3repE0EEENS1_30default_config_static_selectorELNS0_4arch9wavefront6targetE1EEEvT1_,@function
_ZN7rocprim17ROCPRIM_400000_NS6detail17trampoline_kernelINS0_14default_configENS1_20scan_config_selectorIxEEZZNS1_9scan_implILNS1_25lookback_scan_determinismE0ELb0ELb0ES3_N6thrust23THRUST_200600_302600_NS6detail15normal_iteratorINS9_10device_ptrIxEEEESE_xNS9_4plusIxEExEEDaPvRmT3_T4_T5_mT6_P12ihipStream_tbENKUlT_T0_E_clISt17integral_constantIbLb1EEST_IbLb0EEEEDaSP_SQ_EUlSP_E_NS1_11comp_targetILNS1_3genE5ELNS1_11target_archE942ELNS1_3gpuE9ELNS1_3repE0EEENS1_30default_config_static_selectorELNS0_4arch9wavefront6targetE1EEEvT1_: ; @_ZN7rocprim17ROCPRIM_400000_NS6detail17trampoline_kernelINS0_14default_configENS1_20scan_config_selectorIxEEZZNS1_9scan_implILNS1_25lookback_scan_determinismE0ELb0ELb0ES3_N6thrust23THRUST_200600_302600_NS6detail15normal_iteratorINS9_10device_ptrIxEEEESE_xNS9_4plusIxEExEEDaPvRmT3_T4_T5_mT6_P12ihipStream_tbENKUlT_T0_E_clISt17integral_constantIbLb1EEST_IbLb0EEEEDaSP_SQ_EUlSP_E_NS1_11comp_targetILNS1_3genE5ELNS1_11target_archE942ELNS1_3gpuE9ELNS1_3repE0EEENS1_30default_config_static_selectorELNS0_4arch9wavefront6targetE1EEEvT1_
; %bb.0:
	.section	.rodata,"a",@progbits
	.p2align	6, 0x0
	.amdhsa_kernel _ZN7rocprim17ROCPRIM_400000_NS6detail17trampoline_kernelINS0_14default_configENS1_20scan_config_selectorIxEEZZNS1_9scan_implILNS1_25lookback_scan_determinismE0ELb0ELb0ES3_N6thrust23THRUST_200600_302600_NS6detail15normal_iteratorINS9_10device_ptrIxEEEESE_xNS9_4plusIxEExEEDaPvRmT3_T4_T5_mT6_P12ihipStream_tbENKUlT_T0_E_clISt17integral_constantIbLb1EEST_IbLb0EEEEDaSP_SQ_EUlSP_E_NS1_11comp_targetILNS1_3genE5ELNS1_11target_archE942ELNS1_3gpuE9ELNS1_3repE0EEENS1_30default_config_static_selectorELNS0_4arch9wavefront6targetE1EEEvT1_
		.amdhsa_group_segment_fixed_size 0
		.amdhsa_private_segment_fixed_size 0
		.amdhsa_kernarg_size 104
		.amdhsa_user_sgpr_count 6
		.amdhsa_user_sgpr_private_segment_buffer 1
		.amdhsa_user_sgpr_dispatch_ptr 0
		.amdhsa_user_sgpr_queue_ptr 0
		.amdhsa_user_sgpr_kernarg_segment_ptr 1
		.amdhsa_user_sgpr_dispatch_id 0
		.amdhsa_user_sgpr_flat_scratch_init 0
		.amdhsa_user_sgpr_kernarg_preload_length 0
		.amdhsa_user_sgpr_kernarg_preload_offset 0
		.amdhsa_user_sgpr_private_segment_size 0
		.amdhsa_uses_dynamic_stack 0
		.amdhsa_system_sgpr_private_segment_wavefront_offset 0
		.amdhsa_system_sgpr_workgroup_id_x 1
		.amdhsa_system_sgpr_workgroup_id_y 0
		.amdhsa_system_sgpr_workgroup_id_z 0
		.amdhsa_system_sgpr_workgroup_info 0
		.amdhsa_system_vgpr_workitem_id 0
		.amdhsa_next_free_vgpr 1
		.amdhsa_next_free_sgpr 0
		.amdhsa_accum_offset 4
		.amdhsa_reserve_vcc 0
		.amdhsa_reserve_flat_scratch 0
		.amdhsa_float_round_mode_32 0
		.amdhsa_float_round_mode_16_64 0
		.amdhsa_float_denorm_mode_32 3
		.amdhsa_float_denorm_mode_16_64 3
		.amdhsa_dx10_clamp 1
		.amdhsa_ieee_mode 1
		.amdhsa_fp16_overflow 0
		.amdhsa_tg_split 0
		.amdhsa_exception_fp_ieee_invalid_op 0
		.amdhsa_exception_fp_denorm_src 0
		.amdhsa_exception_fp_ieee_div_zero 0
		.amdhsa_exception_fp_ieee_overflow 0
		.amdhsa_exception_fp_ieee_underflow 0
		.amdhsa_exception_fp_ieee_inexact 0
		.amdhsa_exception_int_div_zero 0
	.end_amdhsa_kernel
	.section	.text._ZN7rocprim17ROCPRIM_400000_NS6detail17trampoline_kernelINS0_14default_configENS1_20scan_config_selectorIxEEZZNS1_9scan_implILNS1_25lookback_scan_determinismE0ELb0ELb0ES3_N6thrust23THRUST_200600_302600_NS6detail15normal_iteratorINS9_10device_ptrIxEEEESE_xNS9_4plusIxEExEEDaPvRmT3_T4_T5_mT6_P12ihipStream_tbENKUlT_T0_E_clISt17integral_constantIbLb1EEST_IbLb0EEEEDaSP_SQ_EUlSP_E_NS1_11comp_targetILNS1_3genE5ELNS1_11target_archE942ELNS1_3gpuE9ELNS1_3repE0EEENS1_30default_config_static_selectorELNS0_4arch9wavefront6targetE1EEEvT1_,"axG",@progbits,_ZN7rocprim17ROCPRIM_400000_NS6detail17trampoline_kernelINS0_14default_configENS1_20scan_config_selectorIxEEZZNS1_9scan_implILNS1_25lookback_scan_determinismE0ELb0ELb0ES3_N6thrust23THRUST_200600_302600_NS6detail15normal_iteratorINS9_10device_ptrIxEEEESE_xNS9_4plusIxEExEEDaPvRmT3_T4_T5_mT6_P12ihipStream_tbENKUlT_T0_E_clISt17integral_constantIbLb1EEST_IbLb0EEEEDaSP_SQ_EUlSP_E_NS1_11comp_targetILNS1_3genE5ELNS1_11target_archE942ELNS1_3gpuE9ELNS1_3repE0EEENS1_30default_config_static_selectorELNS0_4arch9wavefront6targetE1EEEvT1_,comdat
.Lfunc_end235:
	.size	_ZN7rocprim17ROCPRIM_400000_NS6detail17trampoline_kernelINS0_14default_configENS1_20scan_config_selectorIxEEZZNS1_9scan_implILNS1_25lookback_scan_determinismE0ELb0ELb0ES3_N6thrust23THRUST_200600_302600_NS6detail15normal_iteratorINS9_10device_ptrIxEEEESE_xNS9_4plusIxEExEEDaPvRmT3_T4_T5_mT6_P12ihipStream_tbENKUlT_T0_E_clISt17integral_constantIbLb1EEST_IbLb0EEEEDaSP_SQ_EUlSP_E_NS1_11comp_targetILNS1_3genE5ELNS1_11target_archE942ELNS1_3gpuE9ELNS1_3repE0EEENS1_30default_config_static_selectorELNS0_4arch9wavefront6targetE1EEEvT1_, .Lfunc_end235-_ZN7rocprim17ROCPRIM_400000_NS6detail17trampoline_kernelINS0_14default_configENS1_20scan_config_selectorIxEEZZNS1_9scan_implILNS1_25lookback_scan_determinismE0ELb0ELb0ES3_N6thrust23THRUST_200600_302600_NS6detail15normal_iteratorINS9_10device_ptrIxEEEESE_xNS9_4plusIxEExEEDaPvRmT3_T4_T5_mT6_P12ihipStream_tbENKUlT_T0_E_clISt17integral_constantIbLb1EEST_IbLb0EEEEDaSP_SQ_EUlSP_E_NS1_11comp_targetILNS1_3genE5ELNS1_11target_archE942ELNS1_3gpuE9ELNS1_3repE0EEENS1_30default_config_static_selectorELNS0_4arch9wavefront6targetE1EEEvT1_
                                        ; -- End function
	.section	.AMDGPU.csdata,"",@progbits
; Kernel info:
; codeLenInByte = 0
; NumSgprs: 4
; NumVgprs: 0
; NumAgprs: 0
; TotalNumVgprs: 0
; ScratchSize: 0
; MemoryBound: 0
; FloatMode: 240
; IeeeMode: 1
; LDSByteSize: 0 bytes/workgroup (compile time only)
; SGPRBlocks: 0
; VGPRBlocks: 0
; NumSGPRsForWavesPerEU: 4
; NumVGPRsForWavesPerEU: 1
; AccumOffset: 4
; Occupancy: 8
; WaveLimiterHint : 0
; COMPUTE_PGM_RSRC2:SCRATCH_EN: 0
; COMPUTE_PGM_RSRC2:USER_SGPR: 6
; COMPUTE_PGM_RSRC2:TRAP_HANDLER: 0
; COMPUTE_PGM_RSRC2:TGID_X_EN: 1
; COMPUTE_PGM_RSRC2:TGID_Y_EN: 0
; COMPUTE_PGM_RSRC2:TGID_Z_EN: 0
; COMPUTE_PGM_RSRC2:TIDIG_COMP_CNT: 0
; COMPUTE_PGM_RSRC3_GFX90A:ACCUM_OFFSET: 0
; COMPUTE_PGM_RSRC3_GFX90A:TG_SPLIT: 0
	.section	.text._ZN7rocprim17ROCPRIM_400000_NS6detail17trampoline_kernelINS0_14default_configENS1_20scan_config_selectorIxEEZZNS1_9scan_implILNS1_25lookback_scan_determinismE0ELb0ELb0ES3_N6thrust23THRUST_200600_302600_NS6detail15normal_iteratorINS9_10device_ptrIxEEEESE_xNS9_4plusIxEExEEDaPvRmT3_T4_T5_mT6_P12ihipStream_tbENKUlT_T0_E_clISt17integral_constantIbLb1EEST_IbLb0EEEEDaSP_SQ_EUlSP_E_NS1_11comp_targetILNS1_3genE4ELNS1_11target_archE910ELNS1_3gpuE8ELNS1_3repE0EEENS1_30default_config_static_selectorELNS0_4arch9wavefront6targetE1EEEvT1_,"axG",@progbits,_ZN7rocprim17ROCPRIM_400000_NS6detail17trampoline_kernelINS0_14default_configENS1_20scan_config_selectorIxEEZZNS1_9scan_implILNS1_25lookback_scan_determinismE0ELb0ELb0ES3_N6thrust23THRUST_200600_302600_NS6detail15normal_iteratorINS9_10device_ptrIxEEEESE_xNS9_4plusIxEExEEDaPvRmT3_T4_T5_mT6_P12ihipStream_tbENKUlT_T0_E_clISt17integral_constantIbLb1EEST_IbLb0EEEEDaSP_SQ_EUlSP_E_NS1_11comp_targetILNS1_3genE4ELNS1_11target_archE910ELNS1_3gpuE8ELNS1_3repE0EEENS1_30default_config_static_selectorELNS0_4arch9wavefront6targetE1EEEvT1_,comdat
	.protected	_ZN7rocprim17ROCPRIM_400000_NS6detail17trampoline_kernelINS0_14default_configENS1_20scan_config_selectorIxEEZZNS1_9scan_implILNS1_25lookback_scan_determinismE0ELb0ELb0ES3_N6thrust23THRUST_200600_302600_NS6detail15normal_iteratorINS9_10device_ptrIxEEEESE_xNS9_4plusIxEExEEDaPvRmT3_T4_T5_mT6_P12ihipStream_tbENKUlT_T0_E_clISt17integral_constantIbLb1EEST_IbLb0EEEEDaSP_SQ_EUlSP_E_NS1_11comp_targetILNS1_3genE4ELNS1_11target_archE910ELNS1_3gpuE8ELNS1_3repE0EEENS1_30default_config_static_selectorELNS0_4arch9wavefront6targetE1EEEvT1_ ; -- Begin function _ZN7rocprim17ROCPRIM_400000_NS6detail17trampoline_kernelINS0_14default_configENS1_20scan_config_selectorIxEEZZNS1_9scan_implILNS1_25lookback_scan_determinismE0ELb0ELb0ES3_N6thrust23THRUST_200600_302600_NS6detail15normal_iteratorINS9_10device_ptrIxEEEESE_xNS9_4plusIxEExEEDaPvRmT3_T4_T5_mT6_P12ihipStream_tbENKUlT_T0_E_clISt17integral_constantIbLb1EEST_IbLb0EEEEDaSP_SQ_EUlSP_E_NS1_11comp_targetILNS1_3genE4ELNS1_11target_archE910ELNS1_3gpuE8ELNS1_3repE0EEENS1_30default_config_static_selectorELNS0_4arch9wavefront6targetE1EEEvT1_
	.globl	_ZN7rocprim17ROCPRIM_400000_NS6detail17trampoline_kernelINS0_14default_configENS1_20scan_config_selectorIxEEZZNS1_9scan_implILNS1_25lookback_scan_determinismE0ELb0ELb0ES3_N6thrust23THRUST_200600_302600_NS6detail15normal_iteratorINS9_10device_ptrIxEEEESE_xNS9_4plusIxEExEEDaPvRmT3_T4_T5_mT6_P12ihipStream_tbENKUlT_T0_E_clISt17integral_constantIbLb1EEST_IbLb0EEEEDaSP_SQ_EUlSP_E_NS1_11comp_targetILNS1_3genE4ELNS1_11target_archE910ELNS1_3gpuE8ELNS1_3repE0EEENS1_30default_config_static_selectorELNS0_4arch9wavefront6targetE1EEEvT1_
	.p2align	8
	.type	_ZN7rocprim17ROCPRIM_400000_NS6detail17trampoline_kernelINS0_14default_configENS1_20scan_config_selectorIxEEZZNS1_9scan_implILNS1_25lookback_scan_determinismE0ELb0ELb0ES3_N6thrust23THRUST_200600_302600_NS6detail15normal_iteratorINS9_10device_ptrIxEEEESE_xNS9_4plusIxEExEEDaPvRmT3_T4_T5_mT6_P12ihipStream_tbENKUlT_T0_E_clISt17integral_constantIbLb1EEST_IbLb0EEEEDaSP_SQ_EUlSP_E_NS1_11comp_targetILNS1_3genE4ELNS1_11target_archE910ELNS1_3gpuE8ELNS1_3repE0EEENS1_30default_config_static_selectorELNS0_4arch9wavefront6targetE1EEEvT1_,@function
_ZN7rocprim17ROCPRIM_400000_NS6detail17trampoline_kernelINS0_14default_configENS1_20scan_config_selectorIxEEZZNS1_9scan_implILNS1_25lookback_scan_determinismE0ELb0ELb0ES3_N6thrust23THRUST_200600_302600_NS6detail15normal_iteratorINS9_10device_ptrIxEEEESE_xNS9_4plusIxEExEEDaPvRmT3_T4_T5_mT6_P12ihipStream_tbENKUlT_T0_E_clISt17integral_constantIbLb1EEST_IbLb0EEEEDaSP_SQ_EUlSP_E_NS1_11comp_targetILNS1_3genE4ELNS1_11target_archE910ELNS1_3gpuE8ELNS1_3repE0EEENS1_30default_config_static_selectorELNS0_4arch9wavefront6targetE1EEEvT1_: ; @_ZN7rocprim17ROCPRIM_400000_NS6detail17trampoline_kernelINS0_14default_configENS1_20scan_config_selectorIxEEZZNS1_9scan_implILNS1_25lookback_scan_determinismE0ELb0ELb0ES3_N6thrust23THRUST_200600_302600_NS6detail15normal_iteratorINS9_10device_ptrIxEEEESE_xNS9_4plusIxEExEEDaPvRmT3_T4_T5_mT6_P12ihipStream_tbENKUlT_T0_E_clISt17integral_constantIbLb1EEST_IbLb0EEEEDaSP_SQ_EUlSP_E_NS1_11comp_targetILNS1_3genE4ELNS1_11target_archE910ELNS1_3gpuE8ELNS1_3repE0EEENS1_30default_config_static_selectorELNS0_4arch9wavefront6targetE1EEEvT1_
; %bb.0:
	s_load_dwordx8 s[8:15], s[4:5], 0x0
	s_load_dword s1, s[4:5], 0x38
	s_mul_i32 s0, s6, 0x380
	v_lshlrev_b32_e32 v36, 3, v0
	s_waitcnt lgkmcnt(0)
	s_lshl_b64 s[16:17], s[10:11], 3
	s_add_u32 s2, s8, s16
	s_addc_u32 s3, s9, s17
	s_add_i32 s7, s1, -1
	s_mul_i32 s8, s7, 0x380
	s_sub_u32 s24, s14, s8
	s_subb_u32 s25, s15, 0
	s_mov_b32 s1, 0
	s_cmp_lg_u32 s6, s7
	s_cselect_b64 s[14:15], -1, 0
	s_lshl_b64 s[18:19], s[0:1], 3
	s_add_u32 s2, s2, s18
	s_addc_u32 s3, s3, s19
	s_mov_b64 s[0:1], -1
	s_and_b64 vcc, exec, s[14:15]
	s_cbranch_vccz .LBB236_2
; %bb.1:
	v_mov_b32_e32 v1, s3
	v_add_co_u32_e32 v2, vcc, s2, v36
	v_addc_co_u32_e32 v3, vcc, 0, v1, vcc
	flat_load_dwordx2 v[4:5], v[2:3]
	flat_load_dwordx2 v[6:7], v[2:3] offset:1024
	flat_load_dwordx2 v[8:9], v[2:3] offset:2048
	flat_load_dwordx2 v[10:11], v[2:3] offset:3072
	v_add_co_u32_e32 v2, vcc, 0x1000, v2
	v_addc_co_u32_e32 v3, vcc, 0, v3, vcc
	flat_load_dwordx2 v[12:13], v[2:3]
	flat_load_dwordx2 v[14:15], v[2:3] offset:1024
	flat_load_dwordx2 v[16:17], v[2:3] offset:2048
	s_mov_b64 s[0:1], 0
	s_waitcnt vmcnt(0) lgkmcnt(0)
	ds_write2st64_b64 v36, v[4:5], v[6:7] offset1:2
	ds_write2st64_b64 v36, v[8:9], v[10:11] offset0:4 offset1:6
	ds_write2st64_b64 v36, v[12:13], v[14:15] offset0:8 offset1:10
	ds_write_b64 v36, v[16:17] offset:6144
	s_waitcnt lgkmcnt(0)
	s_barrier
.LBB236_2:
	s_load_dwordx2 s[20:21], s[4:5], 0x30
	s_andn2_b64 vcc, exec, s[0:1]
	v_cmp_gt_u32_e64 s[0:1], s24, v0
	s_cbranch_vccnz .LBB236_18
; %bb.3:
	v_pk_mov_b32 v[2:3], s[2:3], s[2:3] op_sel:[0,1]
	flat_load_dwordx2 v[2:3], v[2:3]
	s_waitcnt vmcnt(0) lgkmcnt(0)
	v_mov_b32_e32 v4, v2
	v_mov_b32_e32 v5, v3
	;; [unrolled: 1-line block ×10, first 2 shown]
	v_pk_mov_b32 v[18:19], v[14:15], v[14:15] op_sel:[0,1]
	v_pk_mov_b32 v[16:17], v[12:13], v[12:13] op_sel:[0,1]
	;; [unrolled: 1-line block ×8, first 2 shown]
	s_and_saveexec_b64 s[8:9], s[0:1]
	s_cbranch_execz .LBB236_5
; %bb.4:
	v_mov_b32_e32 v1, s3
	v_add_co_u32_e32 v4, vcc, s2, v36
	v_addc_co_u32_e32 v5, vcc, 0, v1, vcc
	flat_load_dwordx2 v[20:21], v[4:5]
	v_mov_b32_e32 v4, v2
	v_mov_b32_e32 v5, v3
	;; [unrolled: 1-line block ×10, first 2 shown]
	v_pk_mov_b32 v[18:19], v[14:15], v[14:15] op_sel:[0,1]
	v_pk_mov_b32 v[16:17], v[12:13], v[12:13] op_sel:[0,1]
	;; [unrolled: 1-line block ×8, first 2 shown]
	s_waitcnt vmcnt(0) lgkmcnt(0)
	v_pk_mov_b32 v[2:3], v[20:21], v[20:21] op_sel:[0,1]
.LBB236_5:
	s_or_b64 exec, exec, s[8:9]
	v_or_b32_e32 v1, 0x80, v0
	v_cmp_gt_u32_e32 vcc, s24, v1
	s_and_saveexec_b64 s[0:1], vcc
	s_cbranch_execz .LBB236_7
; %bb.6:
	v_mov_b32_e32 v1, s3
	v_add_co_u32_e32 v4, vcc, s2, v36
	v_addc_co_u32_e32 v5, vcc, 0, v1, vcc
	flat_load_dwordx2 v[6:7], v[4:5] offset:1024
.LBB236_7:
	s_or_b64 exec, exec, s[0:1]
	v_or_b32_e32 v1, 0x100, v0
	v_cmp_gt_u32_e32 vcc, s24, v1
	s_and_saveexec_b64 s[0:1], vcc
	s_cbranch_execz .LBB236_9
; %bb.8:
	v_mov_b32_e32 v1, s3
	v_add_co_u32_e32 v4, vcc, s2, v36
	v_addc_co_u32_e32 v5, vcc, 0, v1, vcc
	flat_load_dwordx2 v[8:9], v[4:5] offset:2048
.LBB236_9:
	;; [unrolled: 11-line block ×3, first 2 shown]
	s_or_b64 exec, exec, s[0:1]
	v_or_b32_e32 v1, 0x200, v0
	v_cmp_gt_u32_e32 vcc, s24, v1
	s_and_saveexec_b64 s[0:1], vcc
	s_cbranch_execz .LBB236_13
; %bb.12:
	v_lshlrev_b32_e32 v1, 3, v1
	v_mov_b32_e32 v5, s3
	v_add_co_u32_e32 v4, vcc, s2, v1
	v_addc_co_u32_e32 v5, vcc, 0, v5, vcc
	flat_load_dwordx2 v[12:13], v[4:5]
.LBB236_13:
	s_or_b64 exec, exec, s[0:1]
	v_or_b32_e32 v1, 0x280, v0
	v_cmp_gt_u32_e32 vcc, s24, v1
	s_and_saveexec_b64 s[0:1], vcc
	s_cbranch_execz .LBB236_15
; %bb.14:
	v_lshlrev_b32_e32 v1, 3, v1
	v_mov_b32_e32 v5, s3
	v_add_co_u32_e32 v4, vcc, s2, v1
	v_addc_co_u32_e32 v5, vcc, 0, v5, vcc
	flat_load_dwordx2 v[14:15], v[4:5]
.LBB236_15:
	;; [unrolled: 12-line block ×3, first 2 shown]
	s_or_b64 exec, exec, s[0:1]
	s_waitcnt vmcnt(0) lgkmcnt(0)
	ds_write2st64_b64 v36, v[2:3], v[6:7] offset1:2
	ds_write2st64_b64 v36, v[8:9], v[10:11] offset0:4 offset1:6
	ds_write2st64_b64 v36, v[12:13], v[14:15] offset0:8 offset1:10
	ds_write_b64 v36, v[16:17] offset:6144
	s_waitcnt lgkmcnt(0)
	s_barrier
.LBB236_18:
	v_mul_u32_u24_e32 v37, 7, v0
	v_lshlrev_b32_e32 v1, 3, v37
	s_waitcnt lgkmcnt(0)
	ds_read2_b64 v[2:5], v1 offset1:1
	ds_read2_b64 v[10:13], v1 offset0:2 offset1:3
	ds_read2_b64 v[6:9], v1 offset0:4 offset1:5
	ds_read_b64 v[28:29], v1 offset:48
	s_cmp_lg_u32 s6, 0
	v_lshrrev_b32_e32 v38, 5, v0
	v_cmp_gt_u32_e32 vcc, 64, v0
	s_waitcnt lgkmcnt(0)
	s_barrier
	s_cbranch_scc0 .LBB236_49
; %bb.19:
	v_add_co_u32_e64 v1, s[0:1], v4, v2
	v_addc_co_u32_e64 v14, s[0:1], v5, v3, s[0:1]
	v_add_co_u32_e64 v1, s[0:1], v1, v10
	v_addc_co_u32_e64 v14, s[0:1], v14, v11, s[0:1]
	;; [unrolled: 2-line block ×6, first 2 shown]
	v_add_lshl_u32 v1, v38, v0, 3
	ds_write_b64 v1, v[18:19]
	s_waitcnt lgkmcnt(0)
	s_barrier
	s_and_saveexec_b64 s[8:9], vcc
	s_cbranch_execz .LBB236_23
; %bb.20:
	v_lshlrev_b32_e32 v1, 1, v0
	v_lshrrev_b32_e32 v14, 4, v0
	v_add_lshl_u32 v20, v14, v1, 3
	ds_read2_b64 v[14:17], v20 offset1:1
	v_mbcnt_lo_u32_b32 v1, -1, 0
	s_waitcnt lgkmcnt(0)
	v_add_co_u32_e64 v21, s[0:1], v16, v14
	v_addc_co_u32_e64 v22, s[0:1], v17, v15, s[0:1]
	s_nop 0
	v_mov_b32_dpp v16, v21 row_shr:1 row_mask:0xf bank_mask:0xf
	v_add_co_u32_e64 v16, s[0:1], v21, v16
	v_addc_co_u32_e64 v24, s[0:1], 0, v22, s[0:1]
	v_mbcnt_hi_u32_b32 v17, -1, v1
	v_mov_b32_dpp v23, v22 row_shr:1 row_mask:0xf bank_mask:0xf
	v_add_co_u32_e64 v25, s[0:1], 0, v16
	v_and_b32_e32 v1, 15, v17
	v_addc_co_u32_e64 v23, s[0:1], v23, v24, s[0:1]
	v_cmp_eq_u32_e64 s[0:1], 0, v1
	v_cndmask_b32_e64 v16, v16, v21, s[0:1]
	v_cndmask_b32_e64 v23, v23, v22, s[0:1]
	v_cndmask_b32_e64 v24, v25, v21, s[0:1]
	v_mov_b32_dpp v25, v16 row_shr:2 row_mask:0xf bank_mask:0xf
	v_mov_b32_dpp v26, v23 row_shr:2 row_mask:0xf bank_mask:0xf
	v_add_co_u32_e64 v25, s[0:1], v25, v24
	v_addc_co_u32_e64 v26, s[0:1], v26, v23, s[0:1]
	v_cmp_lt_u32_e64 s[0:1], 1, v1
	v_cndmask_b32_e64 v16, v16, v25, s[0:1]
	v_cndmask_b32_e64 v23, v23, v26, s[0:1]
	v_cndmask_b32_e64 v24, v24, v25, s[0:1]
	v_mov_b32_dpp v25, v16 row_shr:4 row_mask:0xf bank_mask:0xf
	v_mov_b32_dpp v26, v23 row_shr:4 row_mask:0xf bank_mask:0xf
	v_add_co_u32_e64 v25, s[0:1], v25, v24
	v_addc_co_u32_e64 v26, s[0:1], v26, v23, s[0:1]
	v_cmp_lt_u32_e64 s[0:1], 3, v1
	;; [unrolled: 8-line block ×3, first 2 shown]
	v_cndmask_b32_e64 v27, v16, v25, s[0:1]
	v_cndmask_b32_e64 v1, v23, v26, s[0:1]
	v_cndmask_b32_e64 v16, v24, v25, s[0:1]
	v_mov_b32_dpp v23, v27 row_bcast:15 row_mask:0xf bank_mask:0xf
	v_mov_b32_dpp v24, v1 row_bcast:15 row_mask:0xf bank_mask:0xf
	v_add_co_u32_e64 v23, s[0:1], v23, v16
	v_and_b32_e32 v26, 16, v17
	v_addc_co_u32_e64 v25, s[0:1], v24, v1, s[0:1]
	v_cmp_eq_u32_e64 s[0:1], 0, v26
	v_cndmask_b32_e64 v26, v25, v1, s[0:1]
	v_cndmask_b32_e64 v24, v23, v27, s[0:1]
	v_cmp_ne_u32_e64 s[2:3], 0, v17
	v_mov_b32_dpp v26, v26 row_bcast:31 row_mask:0xf bank_mask:0xf
	v_mov_b32_dpp v24, v24 row_bcast:31 row_mask:0xf bank_mask:0xf
	s_and_saveexec_b64 s[10:11], s[2:3]
; %bb.21:
	v_cndmask_b32_e64 v1, v25, v1, s[0:1]
	v_cndmask_b32_e64 v16, v23, v16, s[0:1]
	v_cmp_lt_u32_e64 s[0:1], 31, v17
	v_cndmask_b32_e64 v21, 0, v24, s[0:1]
	v_cndmask_b32_e64 v22, 0, v26, s[0:1]
	v_add_co_u32_e64 v21, s[0:1], v21, v16
	v_addc_co_u32_e64 v22, s[0:1], v22, v1, s[0:1]
; %bb.22:
	s_or_b64 exec, exec, s[10:11]
	v_add_u32_e32 v1, -1, v17
	v_and_b32_e32 v16, 64, v17
	v_cmp_lt_i32_e64 s[0:1], v1, v16
	v_cndmask_b32_e64 v1, v1, v17, s[0:1]
	v_lshlrev_b32_e32 v1, 2, v1
	ds_bpermute_b32 v16, v1, v21
	ds_bpermute_b32 v1, v1, v22
	; wave barrier
	s_waitcnt lgkmcnt(1)
	v_add_co_u32_e64 v14, s[0:1], v14, v16
	v_addc_co_u32_e64 v15, s[0:1], 0, v15, s[0:1]
	v_add_co_u32_e64 v14, s[0:1], 0, v14
	s_waitcnt lgkmcnt(0)
	v_addc_co_u32_e64 v1, s[0:1], v15, v1, s[0:1]
	v_cmp_eq_u32_e64 s[0:1], 0, v0
	v_cndmask_b32_e64 v15, v1, v19, s[0:1]
	v_cndmask_b32_e64 v14, v14, v18, s[0:1]
	ds_write_b64 v20, v[14:15]
	; wave barrier
	ds_read_b64 v[16:17], v20 offset:8
	s_waitcnt lgkmcnt(0)
	v_add_co_u32_e64 v14, s[0:1], v16, v14
	v_addc_co_u32_e64 v15, s[0:1], v17, v15, s[0:1]
	ds_write_b64 v20, v[14:15] offset:8
.LBB236_23:
	s_or_b64 exec, exec, s[8:9]
	v_cmp_eq_u32_e64 s[0:1], 0, v0
	v_cmp_ne_u32_e64 s[2:3], 0, v0
	v_pk_mov_b32 v[22:23], 0, 0
	s_waitcnt lgkmcnt(0)
	s_barrier
	s_and_saveexec_b64 s[8:9], s[2:3]
	s_cbranch_execz .LBB236_25
; %bb.24:
	v_add_u32_e32 v1, -1, v0
	v_lshrrev_b32_e32 v14, 5, v1
	v_add_lshl_u32 v1, v14, v1, 3
	ds_read_b64 v[22:23], v1
.LBB236_25:
	s_or_b64 exec, exec, s[8:9]
	s_and_saveexec_b64 s[22:23], vcc
	s_cbranch_execz .LBB236_48
; %bb.26:
	v_mov_b32_e32 v17, 0
	ds_read_b64 v[14:15], v17 offset:1040
	v_mbcnt_lo_u32_b32 v1, -1, 0
	v_mbcnt_hi_u32_b32 v30, -1, v1
	s_mov_b32 s11, 0
	v_cmp_eq_u32_e64 s[2:3], 0, v30
	s_and_saveexec_b64 s[8:9], s[2:3]
	s_cbranch_execz .LBB236_28
; %bb.27:
	s_add_i32 s10, s6, 64
	s_lshl_b64 s[10:11], s[10:11], 4
	s_add_u32 s10, s20, s10
	s_addc_u32 s11, s21, s11
	v_mov_b32_e32 v16, 1
	v_pk_mov_b32 v[18:19], s[10:11], s[10:11] op_sel:[0,1]
	s_waitcnt lgkmcnt(0)
	;;#ASMSTART
	global_store_dwordx4 v[18:19], v[14:17] off	
s_waitcnt vmcnt(0)
	;;#ASMEND
.LBB236_28:
	s_or_b64 exec, exec, s[8:9]
	v_xad_u32 v24, v30, -1, s6
	v_add_u32_e32 v16, 64, v24
	v_lshlrev_b64 v[18:19], 4, v[16:17]
	v_mov_b32_e32 v1, s21
	v_add_co_u32_e32 v26, vcc, s20, v18
	v_addc_co_u32_e32 v27, vcc, v1, v19, vcc
	;;#ASMSTART
	global_load_dwordx4 v[18:21], v[26:27] off glc	
s_waitcnt vmcnt(0)
	;;#ASMEND
	v_and_b32_e32 v1, 0xff, v19
	v_and_b32_e32 v16, 0xff00, v19
	v_or3_b32 v1, 0, v1, v16
	v_or3_b32 v16, v18, 0, 0
	v_and_b32_e32 v18, 0xff000000, v19
	v_and_b32_e32 v19, 0xff0000, v19
	v_or3_b32 v19, v1, v19, v18
	v_or3_b32 v18, v16, 0, 0
	v_cmp_eq_u16_sdwa s[10:11], v20, v17 src0_sel:BYTE_0 src1_sel:DWORD
	s_and_saveexec_b64 s[8:9], s[10:11]
	s_cbranch_execz .LBB236_34
; %bb.29:
	s_mov_b32 s7, 1
	s_mov_b64 s[10:11], 0
	v_mov_b32_e32 v1, 0
.LBB236_30:                             ; =>This Loop Header: Depth=1
                                        ;     Child Loop BB236_31 Depth 2
	s_max_u32 s26, s7, 1
.LBB236_31:                             ;   Parent Loop BB236_30 Depth=1
                                        ; =>  This Inner Loop Header: Depth=2
	s_add_i32 s26, s26, -1
	s_cmp_eq_u32 s26, 0
	s_sleep 1
	s_cbranch_scc0 .LBB236_31
; %bb.32:                               ;   in Loop: Header=BB236_30 Depth=1
	s_cmp_lt_u32 s7, 32
	s_cselect_b64 s[26:27], -1, 0
	s_cmp_lg_u64 s[26:27], 0
	s_addc_u32 s7, s7, 0
	;;#ASMSTART
	global_load_dwordx4 v[18:21], v[26:27] off glc	
s_waitcnt vmcnt(0)
	;;#ASMEND
	v_cmp_ne_u16_sdwa s[26:27], v20, v1 src0_sel:BYTE_0 src1_sel:DWORD
	s_or_b64 s[10:11], s[26:27], s[10:11]
	s_andn2_b64 exec, exec, s[10:11]
	s_cbranch_execnz .LBB236_30
; %bb.33:
	s_or_b64 exec, exec, s[10:11]
.LBB236_34:
	s_or_b64 exec, exec, s[8:9]
	v_and_b32_e32 v32, 63, v30
	v_cmp_ne_u32_e32 vcc, 63, v32
	v_addc_co_u32_e32 v26, vcc, 0, v30, vcc
	v_lshlrev_b32_e32 v33, 2, v26
	ds_bpermute_b32 v26, v33, v18
	v_mov_b32_e32 v1, 2
	v_cmp_eq_u16_sdwa s[8:9], v20, v1 src0_sel:BYTE_0 src1_sel:DWORD
	v_lshlrev_b64 v[16:17], v30, -1
	ds_bpermute_b32 v27, v33, v19
	v_and_b32_e32 v21, s9, v17
	v_or_b32_e32 v21, 0x80000000, v21
	s_waitcnt lgkmcnt(1)
	v_add_co_u32_e32 v26, vcc, v18, v26
	v_and_b32_e32 v25, s8, v16
	v_ffbl_b32_e32 v21, v21
	v_addc_co_u32_e32 v31, vcc, 0, v19, vcc
	v_add_u32_e32 v21, 32, v21
	v_ffbl_b32_e32 v25, v25
	v_add_co_u32_e32 v35, vcc, 0, v26
	v_cmp_gt_u32_e64 s[8:9], 62, v32
	v_min_u32_e32 v21, v25, v21
	s_waitcnt lgkmcnt(0)
	v_addc_co_u32_e32 v27, vcc, v27, v31, vcc
	v_cndmask_b32_e64 v31, 0, 1, s[8:9]
	v_cmp_lt_u32_e32 vcc, v32, v21
	v_lshlrev_b32_e32 v31, 1, v31
	v_cndmask_b32_e32 v26, v18, v26, vcc
	v_add_lshl_u32 v34, v31, v30, 2
	v_cndmask_b32_e32 v27, v19, v27, vcc
	ds_bpermute_b32 v31, v34, v26
	ds_bpermute_b32 v39, v34, v27
	v_cndmask_b32_e32 v40, v18, v35, vcc
	v_add_u32_e32 v35, 2, v32
	v_cmp_gt_u32_e64 s[10:11], 60, v32
	s_waitcnt lgkmcnt(1)
	v_add_co_u32_e64 v31, s[8:9], v31, v40
	s_waitcnt lgkmcnt(0)
	v_addc_co_u32_e64 v39, s[8:9], v39, v27, s[8:9]
	v_cmp_gt_u32_e64 s[8:9], v35, v21
	v_cndmask_b32_e64 v27, v39, v27, s[8:9]
	v_cndmask_b32_e64 v39, 0, 1, s[10:11]
	v_lshlrev_b32_e32 v39, 2, v39
	v_cndmask_b32_e64 v26, v31, v26, s[8:9]
	v_add_lshl_u32 v39, v39, v30, 2
	ds_bpermute_b32 v41, v39, v26
	ds_bpermute_b32 v42, v39, v27
	v_cndmask_b32_e64 v31, v31, v40, s[8:9]
	v_add_u32_e32 v40, 4, v32
	v_cmp_gt_u32_e64 s[10:11], 56, v32
	s_waitcnt lgkmcnt(1)
	v_add_co_u32_e64 v43, s[8:9], v41, v31
	s_waitcnt lgkmcnt(0)
	v_addc_co_u32_e64 v41, s[8:9], v42, v27, s[8:9]
	v_cmp_gt_u32_e64 s[8:9], v40, v21
	v_cndmask_b32_e64 v27, v41, v27, s[8:9]
	v_cndmask_b32_e64 v41, 0, 1, s[10:11]
	v_lshlrev_b32_e32 v41, 3, v41
	v_cndmask_b32_e64 v26, v43, v26, s[8:9]
	v_add_lshl_u32 v41, v41, v30, 2
	ds_bpermute_b32 v44, v41, v26
	v_cndmask_b32_e64 v31, v43, v31, s[8:9]
	ds_bpermute_b32 v43, v41, v27
	v_add_u32_e32 v42, 8, v32
	v_cmp_gt_u32_e64 s[10:11], 48, v32
	s_waitcnt lgkmcnt(1)
	v_add_co_u32_e64 v44, s[8:9], v44, v31
	s_waitcnt lgkmcnt(0)
	v_addc_co_u32_e64 v43, s[8:9], v43, v27, s[8:9]
	v_cmp_gt_u32_e64 s[8:9], v42, v21
	v_cndmask_b32_e64 v27, v43, v27, s[8:9]
	v_cndmask_b32_e64 v43, 0, 1, s[10:11]
	v_lshlrev_b32_e32 v43, 4, v43
	v_cndmask_b32_e64 v26, v44, v26, s[8:9]
	v_add_lshl_u32 v43, v43, v30, 2
	ds_bpermute_b32 v45, v43, v26
	ds_bpermute_b32 v46, v43, v27
	v_cndmask_b32_e64 v31, v44, v31, s[8:9]
	v_cmp_gt_u32_e64 s[10:11], 32, v32
	v_add_u32_e32 v44, 16, v32
	s_waitcnt lgkmcnt(1)
	v_add_co_u32_e64 v47, s[8:9], v45, v31
	s_waitcnt lgkmcnt(0)
	v_addc_co_u32_e64 v46, s[8:9], v46, v27, s[8:9]
	v_cndmask_b32_e64 v45, 0, 1, s[10:11]
	v_cmp_gt_u32_e64 s[8:9], v44, v21
	v_lshlrev_b32_e32 v45, 5, v45
	v_cndmask_b32_e64 v26, v47, v26, s[8:9]
	v_add_lshl_u32 v45, v45, v30, 2
	v_cndmask_b32_e64 v27, v46, v27, s[8:9]
	ds_bpermute_b32 v26, v45, v26
	ds_bpermute_b32 v30, v45, v27
	v_add_u32_e32 v46, 32, v32
	v_cndmask_b32_e64 v31, v47, v31, s[8:9]
	v_cmp_le_u32_e64 s[8:9], v46, v21
	s_waitcnt lgkmcnt(1)
	v_cndmask_b32_e64 v26, 0, v26, s[8:9]
	s_waitcnt lgkmcnt(0)
	v_cndmask_b32_e64 v21, 0, v30, s[8:9]
	v_add_co_u32_e64 v26, s[8:9], v26, v31
	v_addc_co_u32_e64 v21, s[8:9], v21, v27, s[8:9]
	v_mov_b32_e32 v25, 0
	v_cndmask_b32_e32 v19, v19, v21, vcc
	v_cndmask_b32_e32 v18, v18, v26, vcc
	s_branch .LBB236_36
.LBB236_35:                             ;   in Loop: Header=BB236_36 Depth=1
	s_or_b64 exec, exec, s[8:9]
	v_cmp_eq_u16_sdwa s[8:9], v20, v1 src0_sel:BYTE_0 src1_sel:DWORD
	v_and_b32_e32 v21, s9, v17
	v_or_b32_e32 v21, 0x80000000, v21
	ds_bpermute_b32 v31, v33, v18
	v_and_b32_e32 v30, s8, v16
	v_ffbl_b32_e32 v21, v21
	v_add_u32_e32 v21, 32, v21
	v_ffbl_b32_e32 v30, v30
	v_min_u32_e32 v21, v30, v21
	ds_bpermute_b32 v30, v33, v19
	s_waitcnt lgkmcnt(1)
	v_add_co_u32_e32 v31, vcc, v18, v31
	v_addc_co_u32_e32 v47, vcc, 0, v19, vcc
	v_add_co_u32_e32 v48, vcc, 0, v31
	s_waitcnt lgkmcnt(0)
	v_addc_co_u32_e32 v30, vcc, v30, v47, vcc
	v_cmp_lt_u32_e32 vcc, v32, v21
	v_cndmask_b32_e32 v31, v18, v31, vcc
	ds_bpermute_b32 v47, v34, v31
	v_cndmask_b32_e32 v30, v19, v30, vcc
	ds_bpermute_b32 v49, v34, v30
	v_cndmask_b32_e32 v48, v18, v48, vcc
	v_subrev_u32_e32 v24, 64, v24
	s_waitcnt lgkmcnt(1)
	v_add_co_u32_e64 v47, s[8:9], v47, v48
	s_waitcnt lgkmcnt(0)
	v_addc_co_u32_e64 v49, s[8:9], v49, v30, s[8:9]
	v_cmp_gt_u32_e64 s[8:9], v35, v21
	v_cndmask_b32_e64 v31, v47, v31, s[8:9]
	ds_bpermute_b32 v50, v39, v31
	v_cndmask_b32_e64 v30, v49, v30, s[8:9]
	ds_bpermute_b32 v49, v39, v30
	v_cndmask_b32_e64 v47, v47, v48, s[8:9]
	s_waitcnt lgkmcnt(1)
	v_add_co_u32_e64 v48, s[8:9], v50, v47
	s_waitcnt lgkmcnt(0)
	v_addc_co_u32_e64 v49, s[8:9], v49, v30, s[8:9]
	v_cmp_gt_u32_e64 s[8:9], v40, v21
	v_cndmask_b32_e64 v31, v48, v31, s[8:9]
	ds_bpermute_b32 v50, v41, v31
	v_cndmask_b32_e64 v30, v49, v30, s[8:9]
	ds_bpermute_b32 v49, v41, v30
	v_cndmask_b32_e64 v47, v48, v47, s[8:9]
	;; [unrolled: 10-line block ×3, first 2 shown]
	s_waitcnt lgkmcnt(1)
	v_add_co_u32_e64 v48, s[8:9], v50, v47
	s_waitcnt lgkmcnt(0)
	v_addc_co_u32_e64 v49, s[8:9], v49, v30, s[8:9]
	v_cmp_gt_u32_e64 s[8:9], v44, v21
	v_cndmask_b32_e64 v31, v48, v31, s[8:9]
	v_cndmask_b32_e64 v30, v49, v30, s[8:9]
	ds_bpermute_b32 v31, v45, v31
	ds_bpermute_b32 v49, v45, v30
	v_cndmask_b32_e64 v47, v48, v47, s[8:9]
	v_cmp_le_u32_e64 s[8:9], v46, v21
	s_waitcnt lgkmcnt(1)
	v_cndmask_b32_e64 v31, 0, v31, s[8:9]
	s_waitcnt lgkmcnt(0)
	v_cndmask_b32_e64 v21, 0, v49, s[8:9]
	v_add_co_u32_e64 v31, s[8:9], v31, v47
	v_addc_co_u32_e64 v21, s[8:9], v21, v30, s[8:9]
	v_cndmask_b32_e32 v18, v18, v31, vcc
	v_cndmask_b32_e32 v19, v19, v21, vcc
	v_add_co_u32_e32 v18, vcc, v18, v26
	v_addc_co_u32_e32 v19, vcc, v19, v27, vcc
.LBB236_36:                             ; =>This Loop Header: Depth=1
                                        ;     Child Loop BB236_39 Depth 2
                                        ;       Child Loop BB236_40 Depth 3
	v_cmp_ne_u16_sdwa s[8:9], v20, v1 src0_sel:BYTE_0 src1_sel:DWORD
	v_cndmask_b32_e64 v20, 0, 1, s[8:9]
	;;#ASMSTART
	;;#ASMEND
	v_cmp_ne_u32_e32 vcc, 0, v20
	s_cmp_lg_u64 vcc, exec
	v_pk_mov_b32 v[26:27], v[18:19], v[18:19] op_sel:[0,1]
	s_cbranch_scc1 .LBB236_43
; %bb.37:                               ;   in Loop: Header=BB236_36 Depth=1
	v_lshlrev_b64 v[18:19], 4, v[24:25]
	v_mov_b32_e32 v20, s21
	v_add_co_u32_e32 v30, vcc, s20, v18
	v_addc_co_u32_e32 v31, vcc, v20, v19, vcc
	;;#ASMSTART
	global_load_dwordx4 v[18:21], v[30:31] off glc	
s_waitcnt vmcnt(0)
	;;#ASMEND
	v_and_b32_e32 v21, 0xff, v19
	v_and_b32_e32 v47, 0xff00, v19
	v_or3_b32 v21, 0, v21, v47
	v_or3_b32 v18, v18, 0, 0
	v_and_b32_e32 v47, 0xff000000, v19
	v_and_b32_e32 v19, 0xff0000, v19
	v_or3_b32 v19, v21, v19, v47
	v_or3_b32 v18, v18, 0, 0
	v_cmp_eq_u16_sdwa s[10:11], v20, v25 src0_sel:BYTE_0 src1_sel:DWORD
	s_and_saveexec_b64 s[8:9], s[10:11]
	s_cbranch_execz .LBB236_35
; %bb.38:                               ;   in Loop: Header=BB236_36 Depth=1
	s_mov_b32 s7, 1
	s_mov_b64 s[10:11], 0
.LBB236_39:                             ;   Parent Loop BB236_36 Depth=1
                                        ; =>  This Loop Header: Depth=2
                                        ;       Child Loop BB236_40 Depth 3
	s_max_u32 s26, s7, 1
.LBB236_40:                             ;   Parent Loop BB236_36 Depth=1
                                        ;     Parent Loop BB236_39 Depth=2
                                        ; =>    This Inner Loop Header: Depth=3
	s_add_i32 s26, s26, -1
	s_cmp_eq_u32 s26, 0
	s_sleep 1
	s_cbranch_scc0 .LBB236_40
; %bb.41:                               ;   in Loop: Header=BB236_39 Depth=2
	s_cmp_lt_u32 s7, 32
	s_cselect_b64 s[26:27], -1, 0
	s_cmp_lg_u64 s[26:27], 0
	s_addc_u32 s7, s7, 0
	;;#ASMSTART
	global_load_dwordx4 v[18:21], v[30:31] off glc	
s_waitcnt vmcnt(0)
	;;#ASMEND
	v_cmp_ne_u16_sdwa s[26:27], v20, v25 src0_sel:BYTE_0 src1_sel:DWORD
	s_or_b64 s[10:11], s[26:27], s[10:11]
	s_andn2_b64 exec, exec, s[10:11]
	s_cbranch_execnz .LBB236_39
; %bb.42:                               ;   in Loop: Header=BB236_36 Depth=1
	s_or_b64 exec, exec, s[10:11]
	s_branch .LBB236_35
.LBB236_43:                             ;   in Loop: Header=BB236_36 Depth=1
                                        ; implicit-def: $vgpr18_vgpr19
                                        ; implicit-def: $vgpr20
	s_cbranch_execz .LBB236_36
; %bb.44:
	s_and_saveexec_b64 s[8:9], s[2:3]
	s_cbranch_execz .LBB236_46
; %bb.45:
	s_add_i32 s2, s6, 64
	s_mov_b32 s3, 0
	s_lshl_b64 s[2:3], s[2:3], 4
	s_add_u32 s2, s20, s2
	v_add_co_u32_e32 v14, vcc, v26, v14
	s_addc_u32 s3, s21, s3
	v_addc_co_u32_e32 v15, vcc, v27, v15, vcc
	v_mov_b32_e32 v16, 2
	v_mov_b32_e32 v17, 0
	v_pk_mov_b32 v[18:19], s[2:3], s[2:3] op_sel:[0,1]
	;;#ASMSTART
	global_store_dwordx4 v[18:19], v[14:17] off	
s_waitcnt vmcnt(0)
	;;#ASMEND
.LBB236_46:
	s_or_b64 exec, exec, s[8:9]
	s_and_b64 exec, exec, s[0:1]
	s_cbranch_execz .LBB236_48
; %bb.47:
	v_mov_b32_e32 v1, 0
	ds_write_b64 v1, v[26:27]
.LBB236_48:
	s_or_b64 exec, exec, s[22:23]
	v_mov_b32_e32 v1, 0
	s_waitcnt lgkmcnt(0)
	s_barrier
	ds_read_b64 v[14:15], v1
	v_add_co_u32_e32 v1, vcc, v22, v2
	v_addc_co_u32_e32 v16, vcc, v23, v3, vcc
	s_waitcnt lgkmcnt(0)
	v_add_co_u32_e32 v24, vcc, v1, v14
	v_addc_co_u32_e32 v25, vcc, v16, v15, vcc
	v_add_co_u32_e32 v30, vcc, v24, v4
	v_addc_co_u32_e32 v31, vcc, v25, v5, vcc
	;; [unrolled: 2-line block ×7, first 2 shown]
	s_load_dwordx8 s[4:11], s[4:5], 0x40
	s_branch .LBB236_63
.LBB236_49:
                                        ; implicit-def: $vgpr22_vgpr23
                                        ; implicit-def: $vgpr34_vgpr35
                                        ; implicit-def: $vgpr32_vgpr33
                                        ; implicit-def: $vgpr30_vgpr31
                                        ; implicit-def: $vgpr18_vgpr19_vgpr20_vgpr21
                                        ; implicit-def: $vgpr14_vgpr15_vgpr16_vgpr17
                                        ; implicit-def: $vgpr24_vgpr25_vgpr26_vgpr27
	s_load_dwordx8 s[4:11], s[4:5], 0x40
	s_cbranch_execz .LBB236_63
; %bb.50:
	s_waitcnt lgkmcnt(0)
	s_cmp_lg_u64 s[8:9], 0
	s_cselect_b64 s[2:3], -1, 0
	v_cmp_eq_u32_e64 s[0:1], 0, v0
	v_cmp_ne_u32_e32 vcc, 0, v0
	s_and_b64 s[2:3], s[0:1], s[2:3]
	s_and_saveexec_b64 s[8:9], s[2:3]
	s_cbranch_execz .LBB236_52
; %bb.51:
	v_mov_b32_e32 v1, 0
	global_load_dwordx2 v[14:15], v1, s[4:5]
	s_waitcnt vmcnt(0)
	v_add_co_u32_e64 v2, s[2:3], v14, v2
	v_addc_co_u32_e64 v3, s[2:3], v15, v3, s[2:3]
.LBB236_52:
	s_or_b64 exec, exec, s[8:9]
	v_add_co_u32_e64 v30, s[2:3], v4, v2
	v_addc_co_u32_e64 v31, s[2:3], v5, v3, s[2:3]
	v_add_co_u32_e64 v14, s[2:3], v30, v10
	v_addc_co_u32_e64 v15, s[2:3], v31, v11, s[2:3]
	;; [unrolled: 2-line block ×6, first 2 shown]
	v_add_lshl_u32 v1, v38, v0, 3
	v_cmp_gt_u32_e64 s[2:3], 64, v0
	ds_write_b64 v1, v[22:23]
	s_waitcnt lgkmcnt(0)
	s_barrier
	s_and_saveexec_b64 s[8:9], s[2:3]
	s_cbranch_execz .LBB236_56
; %bb.53:
	v_lshlrev_b32_e32 v1, 1, v0
	v_lshrrev_b32_e32 v16, 4, v0
	v_add_lshl_u32 v17, v16, v1, 3
	ds_read2_b64 v[24:27], v17 offset1:1
	v_mbcnt_lo_u32_b32 v1, -1, 0
	v_mbcnt_hi_u32_b32 v20, -1, v1
	v_and_b32_e32 v1, 15, v20
	v_cmp_ne_u32_e64 s[4:5], 0, v20
	s_waitcnt lgkmcnt(0)
	v_add_co_u32_e64 v21, s[2:3], v26, v24
	v_addc_co_u32_e64 v26, s[2:3], v27, v25, s[2:3]
	s_nop 0
	v_mov_b32_dpp v16, v21 row_shr:1 row_mask:0xf bank_mask:0xf
	v_add_co_u32_e64 v16, s[2:3], v21, v16
	v_addc_co_u32_e64 v38, s[2:3], 0, v26, s[2:3]
	v_mov_b32_dpp v27, v26 row_shr:1 row_mask:0xf bank_mask:0xf
	v_add_co_u32_e64 v39, s[2:3], 0, v16
	v_addc_co_u32_e64 v27, s[2:3], v27, v38, s[2:3]
	v_cmp_eq_u32_e64 s[2:3], 0, v1
	v_cndmask_b32_e64 v16, v16, v21, s[2:3]
	v_cndmask_b32_e64 v27, v27, v26, s[2:3]
	v_cndmask_b32_e64 v38, v39, v21, s[2:3]
	v_mov_b32_dpp v39, v16 row_shr:2 row_mask:0xf bank_mask:0xf
	v_mov_b32_dpp v40, v27 row_shr:2 row_mask:0xf bank_mask:0xf
	v_add_co_u32_e64 v39, s[2:3], v39, v38
	v_addc_co_u32_e64 v40, s[2:3], v40, v27, s[2:3]
	v_cmp_lt_u32_e64 s[2:3], 1, v1
	v_cndmask_b32_e64 v16, v16, v39, s[2:3]
	v_cndmask_b32_e64 v27, v27, v40, s[2:3]
	v_cndmask_b32_e64 v38, v38, v39, s[2:3]
	v_mov_b32_dpp v39, v16 row_shr:4 row_mask:0xf bank_mask:0xf
	v_mov_b32_dpp v40, v27 row_shr:4 row_mask:0xf bank_mask:0xf
	v_add_co_u32_e64 v39, s[2:3], v39, v38
	v_addc_co_u32_e64 v40, s[2:3], v40, v27, s[2:3]
	v_cmp_lt_u32_e64 s[2:3], 3, v1
	;; [unrolled: 8-line block ×3, first 2 shown]
	v_cndmask_b32_e64 v41, v16, v39, s[2:3]
	v_cndmask_b32_e64 v1, v27, v40, s[2:3]
	;; [unrolled: 1-line block ×3, first 2 shown]
	v_mov_b32_dpp v27, v41 row_bcast:15 row_mask:0xf bank_mask:0xf
	v_mov_b32_dpp v38, v1 row_bcast:15 row_mask:0xf bank_mask:0xf
	v_add_co_u32_e64 v27, s[2:3], v27, v16
	v_and_b32_e32 v40, 16, v20
	v_addc_co_u32_e64 v39, s[2:3], v38, v1, s[2:3]
	v_cmp_eq_u32_e64 s[2:3], 0, v40
	v_cndmask_b32_e64 v40, v39, v1, s[2:3]
	v_cndmask_b32_e64 v38, v27, v41, s[2:3]
	s_nop 0
	v_mov_b32_dpp v40, v40 row_bcast:31 row_mask:0xf bank_mask:0xf
	v_mov_b32_dpp v38, v38 row_bcast:31 row_mask:0xf bank_mask:0xf
	s_and_saveexec_b64 s[22:23], s[4:5]
; %bb.54:
	v_cndmask_b32_e64 v1, v39, v1, s[2:3]
	v_cndmask_b32_e64 v16, v27, v16, s[2:3]
	v_cmp_lt_u32_e64 s[2:3], 31, v20
	v_cndmask_b32_e64 v21, 0, v38, s[2:3]
	v_cndmask_b32_e64 v26, 0, v40, s[2:3]
	v_add_co_u32_e64 v21, s[2:3], v21, v16
	v_addc_co_u32_e64 v26, s[2:3], v26, v1, s[2:3]
; %bb.55:
	s_or_b64 exec, exec, s[22:23]
	v_add_u32_e32 v1, -1, v20
	v_and_b32_e32 v16, 64, v20
	v_cmp_lt_i32_e64 s[2:3], v1, v16
	v_cndmask_b32_e64 v1, v1, v20, s[2:3]
	v_lshlrev_b32_e32 v1, 2, v1
	ds_bpermute_b32 v16, v1, v21
	ds_bpermute_b32 v1, v1, v26
	; wave barrier
	s_waitcnt lgkmcnt(1)
	v_add_co_u32_e64 v16, s[2:3], v24, v16
	v_addc_co_u32_e64 v20, s[2:3], 0, v25, s[2:3]
	v_add_co_u32_e64 v16, s[2:3], 0, v16
	s_waitcnt lgkmcnt(0)
	v_addc_co_u32_e64 v1, s[2:3], v20, v1, s[2:3]
	v_cndmask_b32_e64 v21, v1, v23, s[0:1]
	v_cndmask_b32_e64 v20, v16, v22, s[0:1]
	ds_write_b64 v17, v[20:21]
	; wave barrier
	ds_read_b64 v[24:25], v17 offset:8
	s_waitcnt lgkmcnt(0)
	v_add_co_u32_e64 v20, s[0:1], v24, v20
	v_addc_co_u32_e64 v21, s[0:1], v25, v21, s[0:1]
	ds_write_b64 v17, v[20:21] offset:8
.LBB236_56:
	s_or_b64 exec, exec, s[8:9]
	v_pk_mov_b32 v[16:17], v[22:23], v[22:23] op_sel:[0,1]
	s_waitcnt lgkmcnt(0)
	s_barrier
	s_and_saveexec_b64 s[0:1], vcc
	s_cbranch_execz .LBB236_58
; %bb.57:
	v_add_u32_e32 v1, -1, v0
	v_lshrrev_b32_e32 v16, 5, v1
	v_add_lshl_u32 v1, v16, v1, 3
	ds_read_b64 v[16:17], v1
.LBB236_58:
	s_or_b64 exec, exec, s[0:1]
	s_and_saveexec_b64 s[0:1], vcc
	s_cbranch_execz .LBB236_60
; %bb.59:
	s_waitcnt lgkmcnt(0)
	v_add_co_u32_e32 v2, vcc, v16, v2
	v_addc_co_u32_e32 v3, vcc, v17, v3, vcc
	v_add_co_u32_e32 v30, vcc, v2, v4
	v_addc_co_u32_e32 v31, vcc, v3, v5, vcc
	;; [unrolled: 2-line block ×7, first 2 shown]
	;;#ASMSTART
	;;#ASMEND
.LBB236_60:
	s_or_b64 exec, exec, s[0:1]
	s_movk_i32 s0, 0x7f
	v_cmp_eq_u32_e32 vcc, s0, v0
	s_and_saveexec_b64 s[0:1], vcc
	s_cbranch_execz .LBB236_62
; %bb.61:
	s_add_u32 s2, s20, 0x400
	s_addc_u32 s3, s21, 0
	v_mov_b32_e32 v24, 2
	v_mov_b32_e32 v25, 0
	v_pk_mov_b32 v[4:5], s[2:3], s[2:3] op_sel:[0,1]
	;;#ASMSTART
	global_store_dwordx4 v[4:5], v[22:25] off	
s_waitcnt vmcnt(0)
	;;#ASMEND
.LBB236_62:
	s_or_b64 exec, exec, s[0:1]
	v_pk_mov_b32 v[24:25], v[2:3], v[2:3] op_sel:[0,1]
.LBB236_63:
	s_add_u32 s0, s12, s16
	s_addc_u32 s1, s13, s17
	s_add_u32 s2, s0, s18
	s_addc_u32 s3, s1, s19
	s_mov_b64 s[0:1], -1
	s_and_b64 vcc, exec, s[14:15]
	v_mul_u32_u24_e32 v1, 56, v0
	s_waitcnt lgkmcnt(0)
	s_barrier
	s_cbranch_vccz .LBB236_65
; %bb.64:
	v_mul_i32_i24_e32 v2, 0xffffffd0, v0
	v_mad_u32_u24 v16, v0, 56, v2
	ds_write2_b64 v1, v[24:25], v[30:31] offset1:1
	ds_write2_b64 v1, v[14:15], v[32:33] offset0:2 offset1:3
	ds_write2_b64 v1, v[18:19], v[34:35] offset0:4 offset1:5
	ds_write_b64 v1, v[22:23] offset:48
	s_waitcnt lgkmcnt(0)
	s_barrier
	ds_read2st64_b64 v[2:5], v16 offset1:2
	ds_read2st64_b64 v[6:9], v16 offset0:4 offset1:6
	ds_read2st64_b64 v[10:13], v16 offset0:8 offset1:10
	ds_read_b64 v[16:17], v16 offset:6144
	v_mov_b32_e32 v21, s3
	v_add_co_u32_e32 v20, vcc, s2, v36
	v_addc_co_u32_e32 v21, vcc, 0, v21, vcc
	s_waitcnt lgkmcnt(3)
	flat_store_dwordx2 v[20:21], v[2:3]
	flat_store_dwordx2 v[20:21], v[4:5] offset:1024
	s_waitcnt lgkmcnt(0)
	flat_store_dwordx2 v[20:21], v[6:7] offset:2048
	flat_store_dwordx2 v[20:21], v[8:9] offset:3072
	v_add_co_u32_e32 v2, vcc, 0x1000, v20
	v_addc_co_u32_e32 v3, vcc, 0, v21, vcc
	flat_store_dwordx2 v[2:3], v[10:11]
	flat_store_dwordx2 v[2:3], v[12:13] offset:1024
	flat_store_dwordx2 v[2:3], v[16:17] offset:2048
	s_mov_b64 s[0:1], 0
.LBB236_65:
	s_andn2_b64 vcc, exec, s[0:1]
	s_cbranch_vccnz .LBB236_104
; %bb.66:
	v_mul_i32_i24_e32 v2, 0xffffffd0, v0
	ds_write2_b64 v1, v[24:25], v[30:31] offset1:1
	ds_write2_b64 v1, v[14:15], v[32:33] offset0:2 offset1:3
	ds_write2_b64 v1, v[18:19], v[34:35] offset0:4 offset1:5
	ds_write_b64 v1, v[22:23] offset:48
	v_mad_u32_u24 v14, v0, 56, v2
	s_waitcnt lgkmcnt(0)
	s_barrier
	ds_read2st64_b64 v[2:5], v14 offset1:2
	ds_read2st64_b64 v[6:9], v14 offset0:4 offset1:6
	ds_read2st64_b64 v[10:13], v14 offset0:8 offset1:10
	ds_read_b64 v[14:15], v14 offset:6144
	v_mov_b32_e32 v17, s3
	v_add_co_u32_e32 v16, vcc, s2, v36
	v_addc_co_u32_e32 v17, vcc, 0, v17, vcc
	v_mov_b32_e32 v1, 0
	v_cmp_gt_u32_e32 vcc, s24, v0
	s_and_saveexec_b64 s[0:1], vcc
	s_cbranch_execz .LBB236_68
; %bb.67:
	s_waitcnt lgkmcnt(0)
	flat_store_dwordx2 v[16:17], v[2:3]
.LBB236_68:
	s_or_b64 exec, exec, s[0:1]
	v_or_b32_e32 v18, 0x80, v0
	v_cmp_gt_u32_e32 vcc, s24, v18
	s_and_saveexec_b64 s[0:1], vcc
	s_cbranch_execz .LBB236_70
; %bb.69:
	s_waitcnt lgkmcnt(0)
	flat_store_dwordx2 v[16:17], v[4:5] offset:1024
.LBB236_70:
	s_or_b64 exec, exec, s[0:1]
	v_or_b32_e32 v18, 0x100, v0
	v_cmp_gt_u32_e32 vcc, s24, v18
	s_and_saveexec_b64 s[0:1], vcc
	s_cbranch_execz .LBB236_72
; %bb.71:
	s_waitcnt lgkmcnt(0)
	flat_store_dwordx2 v[16:17], v[6:7] offset:2048
.LBB236_72:
	;; [unrolled: 9-line block ×3, first 2 shown]
	s_or_b64 exec, exec, s[0:1]
	v_or_b32_e32 v18, 0x200, v0
	v_cmp_gt_u32_e32 vcc, s24, v18
	s_and_saveexec_b64 s[0:1], vcc
	s_cbranch_execz .LBB236_76
; %bb.75:
	v_add_co_u32_e32 v18, vcc, 0x1000, v16
	v_addc_co_u32_e32 v19, vcc, 0, v17, vcc
	s_waitcnt lgkmcnt(0)
	flat_store_dwordx2 v[18:19], v[10:11]
.LBB236_76:
	s_or_b64 exec, exec, s[0:1]
	v_or_b32_e32 v18, 0x280, v0
	v_cmp_gt_u32_e32 vcc, s24, v18
	s_and_saveexec_b64 s[0:1], vcc
	s_cbranch_execz .LBB236_78
; %bb.77:
	v_add_co_u32_e32 v18, vcc, 0x1000, v16
	v_addc_co_u32_e32 v19, vcc, 0, v17, vcc
	s_waitcnt lgkmcnt(0)
	flat_store_dwordx2 v[18:19], v[12:13] offset:1024
.LBB236_78:
	s_or_b64 exec, exec, s[0:1]
	v_or_b32_e32 v18, 0x300, v0
	v_cmp_gt_u32_e32 vcc, s24, v18
	s_and_saveexec_b64 s[0:1], vcc
	s_cbranch_execz .LBB236_80
; %bb.79:
	v_add_co_u32_e32 v16, vcc, 0x1000, v16
	v_addc_co_u32_e32 v17, vcc, 0, v17, vcc
	s_waitcnt lgkmcnt(0)
	flat_store_dwordx2 v[16:17], v[14:15] offset:2048
.LBB236_80:
	s_or_b64 exec, exec, s[0:1]
	v_cmp_lt_u64_e64 s[0:1], s[10:11], 2
	s_and_b64 vcc, exec, s[0:1]
	s_cbranch_vccnz .LBB236_104
; %bb.81:
	s_add_u32 s0, s24, -1
	s_addc_u32 s1, s25, -1
	s_add_u32 s2, 0, 0x92481000
	s_addc_u32 s3, 0, 0x64
	s_add_i32 s3, s3, 0x249248c0
	s_mul_hi_u32 s9, s2, -7
	s_sub_i32 s9, s9, s2
	s_mul_i32 s10, s3, -7
	s_mul_i32 s4, s2, -7
	s_add_i32 s9, s9, s10
	s_mul_hi_u32 s5, s3, s4
	s_mul_i32 s8, s3, s4
	s_mul_i32 s11, s2, s9
	s_mul_hi_u32 s4, s2, s4
	s_mul_hi_u32 s10, s2, s9
	s_add_u32 s4, s4, s11
	s_addc_u32 s10, 0, s10
	s_add_u32 s4, s4, s8
	s_mul_hi_u32 s11, s3, s9
	s_addc_u32 s4, s10, s5
	s_addc_u32 s5, s11, 0
	s_mul_i32 s8, s3, s9
	s_add_u32 s4, s4, s8
	v_mov_b32_e32 v16, s4
	s_addc_u32 s5, 0, s5
	v_add_co_u32_e32 v16, vcc, s2, v16
	s_cmp_lg_u64 vcc, 0
	s_addc_u32 s2, s3, s5
	v_readfirstlane_b32 s5, v16
	s_mul_i32 s4, s0, s2
	s_mul_hi_u32 s8, s0, s5
	s_mul_hi_u32 s3, s0, s2
	s_add_u32 s4, s8, s4
	s_addc_u32 s3, 0, s3
	s_mul_hi_u32 s9, s1, s5
	s_mul_i32 s5, s1, s5
	s_add_u32 s4, s4, s5
	s_mul_hi_u32 s8, s1, s2
	s_addc_u32 s3, s3, s9
	s_addc_u32 s4, s8, 0
	s_mul_i32 s2, s1, s2
	s_add_u32 s2, s3, s2
	s_addc_u32 s3, 0, s4
	s_add_u32 s4, s2, 1
	s_addc_u32 s5, s3, 0
	s_add_u32 s8, s2, 2
	s_mul_i32 s10, s3, 7
	s_mul_hi_u32 s11, s2, 7
	s_addc_u32 s9, s3, 0
	s_add_i32 s11, s11, s10
	s_mul_i32 s10, s2, 7
	v_mov_b32_e32 v16, s10
	v_sub_co_u32_e32 v16, vcc, s0, v16
	s_cmp_lg_u64 vcc, 0
	s_subb_u32 s10, s1, s11
	v_subrev_co_u32_e32 v17, vcc, 7, v16
	s_cmp_lg_u64 vcc, 0
	s_subb_u32 s11, s10, 0
	v_readfirstlane_b32 s12, v17
	s_cmp_gt_u32 s12, 6
	s_cselect_b32 s12, -1, 0
	s_cmp_eq_u32 s11, 0
	s_cselect_b32 s11, s12, -1
	s_cmp_lg_u32 s11, 0
	s_cselect_b32 s4, s8, s4
	v_readfirstlane_b32 s8, v16
	s_cselect_b32 s5, s9, s5
	s_cmp_gt_u32 s8, 6
	s_cselect_b32 s8, -1, 0
	s_cmp_eq_u32 s10, 0
	s_cselect_b32 s8, s8, -1
	s_cmp_lg_u32 s8, 0
	s_cselect_b32 s3, s5, s3
	s_cselect_b32 s2, s4, s2
	v_cmp_eq_u64_e32 vcc, s[2:3], v[0:1]
	s_and_saveexec_b64 s[2:3], vcc
	s_cbranch_execz .LBB236_104
; %bb.82:
	v_mul_hi_u32_u24_e32 v1, 7, v0
	v_mov_b32_e32 v16, s1
	v_sub_co_u32_e32 v0, vcc, s0, v37
	v_subb_co_u32_e32 v1, vcc, v16, v1, vcc
	v_cmp_lt_i64_e32 vcc, 3, v[0:1]
	s_and_saveexec_b64 s[0:1], vcc
	s_xor_b64 s[0:1], exec, s[0:1]
	s_cbranch_execz .LBB236_92
; %bb.83:
	v_cmp_lt_i64_e32 vcc, 4, v[0:1]
	s_and_saveexec_b64 s[2:3], vcc
	s_xor_b64 s[2:3], exec, s[2:3]
	s_cbranch_execz .LBB236_89
; %bb.84:
	;; [unrolled: 5-line block ×3, first 2 shown]
	v_mov_b32_e32 v0, 0
	s_waitcnt lgkmcnt(0)
	global_store_dwordx2 v0, v[14:15], s[6:7]
                                        ; implicit-def: $vgpr10_vgpr11_vgpr12_vgpr13
.LBB236_86:
	s_andn2_saveexec_b64 s[4:5], s[4:5]
	s_cbranch_execz .LBB236_88
; %bb.87:
	v_mov_b32_e32 v0, 0
	s_waitcnt lgkmcnt(0)
	global_store_dwordx2 v0, v[12:13], s[6:7]
.LBB236_88:
	s_or_b64 exec, exec, s[4:5]
                                        ; implicit-def: $vgpr10_vgpr11_vgpr12_vgpr13
.LBB236_89:
	s_andn2_saveexec_b64 s[2:3], s[2:3]
	s_cbranch_execz .LBB236_91
; %bb.90:
	v_mov_b32_e32 v0, 0
	s_waitcnt lgkmcnt(0)
	global_store_dwordx2 v0, v[10:11], s[6:7]
.LBB236_91:
	s_or_b64 exec, exec, s[2:3]
                                        ; implicit-def: $vgpr0_vgpr1
                                        ; implicit-def: $vgpr2_vgpr3_vgpr4_vgpr5
                                        ; implicit-def: $vgpr6_vgpr7_vgpr8_vgpr9
.LBB236_92:
	s_andn2_saveexec_b64 s[0:1], s[0:1]
	s_cbranch_execz .LBB236_104
; %bb.93:
	v_cmp_lt_i64_e32 vcc, 1, v[0:1]
	s_and_saveexec_b64 s[0:1], vcc
	s_xor_b64 s[0:1], exec, s[0:1]
	s_cbranch_execz .LBB236_99
; %bb.94:
	v_cmp_lt_i64_e32 vcc, 2, v[0:1]
	s_and_saveexec_b64 s[2:3], vcc
	s_xor_b64 s[2:3], exec, s[2:3]
	s_cbranch_execz .LBB236_96
; %bb.95:
	v_mov_b32_e32 v0, 0
	s_waitcnt lgkmcnt(0)
	global_store_dwordx2 v0, v[8:9], s[6:7]
                                        ; implicit-def: $vgpr6_vgpr7_vgpr8_vgpr9
.LBB236_96:
	s_andn2_saveexec_b64 s[2:3], s[2:3]
	s_cbranch_execz .LBB236_98
; %bb.97:
	v_mov_b32_e32 v0, 0
	s_waitcnt lgkmcnt(0)
	global_store_dwordx2 v0, v[6:7], s[6:7]
.LBB236_98:
	s_or_b64 exec, exec, s[2:3]
                                        ; implicit-def: $vgpr2_vgpr3_vgpr4_vgpr5
                                        ; implicit-def: $vgpr0_vgpr1
.LBB236_99:
	s_andn2_saveexec_b64 s[0:1], s[0:1]
	s_cbranch_execz .LBB236_104
; %bb.100:
	v_cmp_ne_u64_e32 vcc, 1, v[0:1]
	s_and_saveexec_b64 s[0:1], vcc
	s_xor_b64 s[0:1], exec, s[0:1]
	s_cbranch_execz .LBB236_102
; %bb.101:
	v_mov_b32_e32 v0, 0
	s_waitcnt lgkmcnt(0)
	global_store_dwordx2 v0, v[2:3], s[6:7]
                                        ; implicit-def: $vgpr2_vgpr3_vgpr4_vgpr5
.LBB236_102:
	s_andn2_saveexec_b64 s[0:1], s[0:1]
	s_cbranch_execz .LBB236_104
; %bb.103:
	v_mov_b32_e32 v0, 0
	s_waitcnt lgkmcnt(0)
	global_store_dwordx2 v0, v[4:5], s[6:7]
.LBB236_104:
	s_endpgm
	.section	.rodata,"a",@progbits
	.p2align	6, 0x0
	.amdhsa_kernel _ZN7rocprim17ROCPRIM_400000_NS6detail17trampoline_kernelINS0_14default_configENS1_20scan_config_selectorIxEEZZNS1_9scan_implILNS1_25lookback_scan_determinismE0ELb0ELb0ES3_N6thrust23THRUST_200600_302600_NS6detail15normal_iteratorINS9_10device_ptrIxEEEESE_xNS9_4plusIxEExEEDaPvRmT3_T4_T5_mT6_P12ihipStream_tbENKUlT_T0_E_clISt17integral_constantIbLb1EEST_IbLb0EEEEDaSP_SQ_EUlSP_E_NS1_11comp_targetILNS1_3genE4ELNS1_11target_archE910ELNS1_3gpuE8ELNS1_3repE0EEENS1_30default_config_static_selectorELNS0_4arch9wavefront6targetE1EEEvT1_
		.amdhsa_group_segment_fixed_size 7168
		.amdhsa_private_segment_fixed_size 0
		.amdhsa_kernarg_size 104
		.amdhsa_user_sgpr_count 6
		.amdhsa_user_sgpr_private_segment_buffer 1
		.amdhsa_user_sgpr_dispatch_ptr 0
		.amdhsa_user_sgpr_queue_ptr 0
		.amdhsa_user_sgpr_kernarg_segment_ptr 1
		.amdhsa_user_sgpr_dispatch_id 0
		.amdhsa_user_sgpr_flat_scratch_init 0
		.amdhsa_user_sgpr_kernarg_preload_length 0
		.amdhsa_user_sgpr_kernarg_preload_offset 0
		.amdhsa_user_sgpr_private_segment_size 0
		.amdhsa_uses_dynamic_stack 0
		.amdhsa_system_sgpr_private_segment_wavefront_offset 0
		.amdhsa_system_sgpr_workgroup_id_x 1
		.amdhsa_system_sgpr_workgroup_id_y 0
		.amdhsa_system_sgpr_workgroup_id_z 0
		.amdhsa_system_sgpr_workgroup_info 0
		.amdhsa_system_vgpr_workitem_id 0
		.amdhsa_next_free_vgpr 51
		.amdhsa_next_free_sgpr 28
		.amdhsa_accum_offset 52
		.amdhsa_reserve_vcc 1
		.amdhsa_reserve_flat_scratch 0
		.amdhsa_float_round_mode_32 0
		.amdhsa_float_round_mode_16_64 0
		.amdhsa_float_denorm_mode_32 3
		.amdhsa_float_denorm_mode_16_64 3
		.amdhsa_dx10_clamp 1
		.amdhsa_ieee_mode 1
		.amdhsa_fp16_overflow 0
		.amdhsa_tg_split 0
		.amdhsa_exception_fp_ieee_invalid_op 0
		.amdhsa_exception_fp_denorm_src 0
		.amdhsa_exception_fp_ieee_div_zero 0
		.amdhsa_exception_fp_ieee_overflow 0
		.amdhsa_exception_fp_ieee_underflow 0
		.amdhsa_exception_fp_ieee_inexact 0
		.amdhsa_exception_int_div_zero 0
	.end_amdhsa_kernel
	.section	.text._ZN7rocprim17ROCPRIM_400000_NS6detail17trampoline_kernelINS0_14default_configENS1_20scan_config_selectorIxEEZZNS1_9scan_implILNS1_25lookback_scan_determinismE0ELb0ELb0ES3_N6thrust23THRUST_200600_302600_NS6detail15normal_iteratorINS9_10device_ptrIxEEEESE_xNS9_4plusIxEExEEDaPvRmT3_T4_T5_mT6_P12ihipStream_tbENKUlT_T0_E_clISt17integral_constantIbLb1EEST_IbLb0EEEEDaSP_SQ_EUlSP_E_NS1_11comp_targetILNS1_3genE4ELNS1_11target_archE910ELNS1_3gpuE8ELNS1_3repE0EEENS1_30default_config_static_selectorELNS0_4arch9wavefront6targetE1EEEvT1_,"axG",@progbits,_ZN7rocprim17ROCPRIM_400000_NS6detail17trampoline_kernelINS0_14default_configENS1_20scan_config_selectorIxEEZZNS1_9scan_implILNS1_25lookback_scan_determinismE0ELb0ELb0ES3_N6thrust23THRUST_200600_302600_NS6detail15normal_iteratorINS9_10device_ptrIxEEEESE_xNS9_4plusIxEExEEDaPvRmT3_T4_T5_mT6_P12ihipStream_tbENKUlT_T0_E_clISt17integral_constantIbLb1EEST_IbLb0EEEEDaSP_SQ_EUlSP_E_NS1_11comp_targetILNS1_3genE4ELNS1_11target_archE910ELNS1_3gpuE8ELNS1_3repE0EEENS1_30default_config_static_selectorELNS0_4arch9wavefront6targetE1EEEvT1_,comdat
.Lfunc_end236:
	.size	_ZN7rocprim17ROCPRIM_400000_NS6detail17trampoline_kernelINS0_14default_configENS1_20scan_config_selectorIxEEZZNS1_9scan_implILNS1_25lookback_scan_determinismE0ELb0ELb0ES3_N6thrust23THRUST_200600_302600_NS6detail15normal_iteratorINS9_10device_ptrIxEEEESE_xNS9_4plusIxEExEEDaPvRmT3_T4_T5_mT6_P12ihipStream_tbENKUlT_T0_E_clISt17integral_constantIbLb1EEST_IbLb0EEEEDaSP_SQ_EUlSP_E_NS1_11comp_targetILNS1_3genE4ELNS1_11target_archE910ELNS1_3gpuE8ELNS1_3repE0EEENS1_30default_config_static_selectorELNS0_4arch9wavefront6targetE1EEEvT1_, .Lfunc_end236-_ZN7rocprim17ROCPRIM_400000_NS6detail17trampoline_kernelINS0_14default_configENS1_20scan_config_selectorIxEEZZNS1_9scan_implILNS1_25lookback_scan_determinismE0ELb0ELb0ES3_N6thrust23THRUST_200600_302600_NS6detail15normal_iteratorINS9_10device_ptrIxEEEESE_xNS9_4plusIxEExEEDaPvRmT3_T4_T5_mT6_P12ihipStream_tbENKUlT_T0_E_clISt17integral_constantIbLb1EEST_IbLb0EEEEDaSP_SQ_EUlSP_E_NS1_11comp_targetILNS1_3genE4ELNS1_11target_archE910ELNS1_3gpuE8ELNS1_3repE0EEENS1_30default_config_static_selectorELNS0_4arch9wavefront6targetE1EEEvT1_
                                        ; -- End function
	.section	.AMDGPU.csdata,"",@progbits
; Kernel info:
; codeLenInByte = 5936
; NumSgprs: 32
; NumVgprs: 51
; NumAgprs: 0
; TotalNumVgprs: 51
; ScratchSize: 0
; MemoryBound: 0
; FloatMode: 240
; IeeeMode: 1
; LDSByteSize: 7168 bytes/workgroup (compile time only)
; SGPRBlocks: 3
; VGPRBlocks: 6
; NumSGPRsForWavesPerEU: 32
; NumVGPRsForWavesPerEU: 51
; AccumOffset: 52
; Occupancy: 5
; WaveLimiterHint : 1
; COMPUTE_PGM_RSRC2:SCRATCH_EN: 0
; COMPUTE_PGM_RSRC2:USER_SGPR: 6
; COMPUTE_PGM_RSRC2:TRAP_HANDLER: 0
; COMPUTE_PGM_RSRC2:TGID_X_EN: 1
; COMPUTE_PGM_RSRC2:TGID_Y_EN: 0
; COMPUTE_PGM_RSRC2:TGID_Z_EN: 0
; COMPUTE_PGM_RSRC2:TIDIG_COMP_CNT: 0
; COMPUTE_PGM_RSRC3_GFX90A:ACCUM_OFFSET: 12
; COMPUTE_PGM_RSRC3_GFX90A:TG_SPLIT: 0
	.section	.text._ZN7rocprim17ROCPRIM_400000_NS6detail17trampoline_kernelINS0_14default_configENS1_20scan_config_selectorIxEEZZNS1_9scan_implILNS1_25lookback_scan_determinismE0ELb0ELb0ES3_N6thrust23THRUST_200600_302600_NS6detail15normal_iteratorINS9_10device_ptrIxEEEESE_xNS9_4plusIxEExEEDaPvRmT3_T4_T5_mT6_P12ihipStream_tbENKUlT_T0_E_clISt17integral_constantIbLb1EEST_IbLb0EEEEDaSP_SQ_EUlSP_E_NS1_11comp_targetILNS1_3genE3ELNS1_11target_archE908ELNS1_3gpuE7ELNS1_3repE0EEENS1_30default_config_static_selectorELNS0_4arch9wavefront6targetE1EEEvT1_,"axG",@progbits,_ZN7rocprim17ROCPRIM_400000_NS6detail17trampoline_kernelINS0_14default_configENS1_20scan_config_selectorIxEEZZNS1_9scan_implILNS1_25lookback_scan_determinismE0ELb0ELb0ES3_N6thrust23THRUST_200600_302600_NS6detail15normal_iteratorINS9_10device_ptrIxEEEESE_xNS9_4plusIxEExEEDaPvRmT3_T4_T5_mT6_P12ihipStream_tbENKUlT_T0_E_clISt17integral_constantIbLb1EEST_IbLb0EEEEDaSP_SQ_EUlSP_E_NS1_11comp_targetILNS1_3genE3ELNS1_11target_archE908ELNS1_3gpuE7ELNS1_3repE0EEENS1_30default_config_static_selectorELNS0_4arch9wavefront6targetE1EEEvT1_,comdat
	.protected	_ZN7rocprim17ROCPRIM_400000_NS6detail17trampoline_kernelINS0_14default_configENS1_20scan_config_selectorIxEEZZNS1_9scan_implILNS1_25lookback_scan_determinismE0ELb0ELb0ES3_N6thrust23THRUST_200600_302600_NS6detail15normal_iteratorINS9_10device_ptrIxEEEESE_xNS9_4plusIxEExEEDaPvRmT3_T4_T5_mT6_P12ihipStream_tbENKUlT_T0_E_clISt17integral_constantIbLb1EEST_IbLb0EEEEDaSP_SQ_EUlSP_E_NS1_11comp_targetILNS1_3genE3ELNS1_11target_archE908ELNS1_3gpuE7ELNS1_3repE0EEENS1_30default_config_static_selectorELNS0_4arch9wavefront6targetE1EEEvT1_ ; -- Begin function _ZN7rocprim17ROCPRIM_400000_NS6detail17trampoline_kernelINS0_14default_configENS1_20scan_config_selectorIxEEZZNS1_9scan_implILNS1_25lookback_scan_determinismE0ELb0ELb0ES3_N6thrust23THRUST_200600_302600_NS6detail15normal_iteratorINS9_10device_ptrIxEEEESE_xNS9_4plusIxEExEEDaPvRmT3_T4_T5_mT6_P12ihipStream_tbENKUlT_T0_E_clISt17integral_constantIbLb1EEST_IbLb0EEEEDaSP_SQ_EUlSP_E_NS1_11comp_targetILNS1_3genE3ELNS1_11target_archE908ELNS1_3gpuE7ELNS1_3repE0EEENS1_30default_config_static_selectorELNS0_4arch9wavefront6targetE1EEEvT1_
	.globl	_ZN7rocprim17ROCPRIM_400000_NS6detail17trampoline_kernelINS0_14default_configENS1_20scan_config_selectorIxEEZZNS1_9scan_implILNS1_25lookback_scan_determinismE0ELb0ELb0ES3_N6thrust23THRUST_200600_302600_NS6detail15normal_iteratorINS9_10device_ptrIxEEEESE_xNS9_4plusIxEExEEDaPvRmT3_T4_T5_mT6_P12ihipStream_tbENKUlT_T0_E_clISt17integral_constantIbLb1EEST_IbLb0EEEEDaSP_SQ_EUlSP_E_NS1_11comp_targetILNS1_3genE3ELNS1_11target_archE908ELNS1_3gpuE7ELNS1_3repE0EEENS1_30default_config_static_selectorELNS0_4arch9wavefront6targetE1EEEvT1_
	.p2align	8
	.type	_ZN7rocprim17ROCPRIM_400000_NS6detail17trampoline_kernelINS0_14default_configENS1_20scan_config_selectorIxEEZZNS1_9scan_implILNS1_25lookback_scan_determinismE0ELb0ELb0ES3_N6thrust23THRUST_200600_302600_NS6detail15normal_iteratorINS9_10device_ptrIxEEEESE_xNS9_4plusIxEExEEDaPvRmT3_T4_T5_mT6_P12ihipStream_tbENKUlT_T0_E_clISt17integral_constantIbLb1EEST_IbLb0EEEEDaSP_SQ_EUlSP_E_NS1_11comp_targetILNS1_3genE3ELNS1_11target_archE908ELNS1_3gpuE7ELNS1_3repE0EEENS1_30default_config_static_selectorELNS0_4arch9wavefront6targetE1EEEvT1_,@function
_ZN7rocprim17ROCPRIM_400000_NS6detail17trampoline_kernelINS0_14default_configENS1_20scan_config_selectorIxEEZZNS1_9scan_implILNS1_25lookback_scan_determinismE0ELb0ELb0ES3_N6thrust23THRUST_200600_302600_NS6detail15normal_iteratorINS9_10device_ptrIxEEEESE_xNS9_4plusIxEExEEDaPvRmT3_T4_T5_mT6_P12ihipStream_tbENKUlT_T0_E_clISt17integral_constantIbLb1EEST_IbLb0EEEEDaSP_SQ_EUlSP_E_NS1_11comp_targetILNS1_3genE3ELNS1_11target_archE908ELNS1_3gpuE7ELNS1_3repE0EEENS1_30default_config_static_selectorELNS0_4arch9wavefront6targetE1EEEvT1_: ; @_ZN7rocprim17ROCPRIM_400000_NS6detail17trampoline_kernelINS0_14default_configENS1_20scan_config_selectorIxEEZZNS1_9scan_implILNS1_25lookback_scan_determinismE0ELb0ELb0ES3_N6thrust23THRUST_200600_302600_NS6detail15normal_iteratorINS9_10device_ptrIxEEEESE_xNS9_4plusIxEExEEDaPvRmT3_T4_T5_mT6_P12ihipStream_tbENKUlT_T0_E_clISt17integral_constantIbLb1EEST_IbLb0EEEEDaSP_SQ_EUlSP_E_NS1_11comp_targetILNS1_3genE3ELNS1_11target_archE908ELNS1_3gpuE7ELNS1_3repE0EEENS1_30default_config_static_selectorELNS0_4arch9wavefront6targetE1EEEvT1_
; %bb.0:
	.section	.rodata,"a",@progbits
	.p2align	6, 0x0
	.amdhsa_kernel _ZN7rocprim17ROCPRIM_400000_NS6detail17trampoline_kernelINS0_14default_configENS1_20scan_config_selectorIxEEZZNS1_9scan_implILNS1_25lookback_scan_determinismE0ELb0ELb0ES3_N6thrust23THRUST_200600_302600_NS6detail15normal_iteratorINS9_10device_ptrIxEEEESE_xNS9_4plusIxEExEEDaPvRmT3_T4_T5_mT6_P12ihipStream_tbENKUlT_T0_E_clISt17integral_constantIbLb1EEST_IbLb0EEEEDaSP_SQ_EUlSP_E_NS1_11comp_targetILNS1_3genE3ELNS1_11target_archE908ELNS1_3gpuE7ELNS1_3repE0EEENS1_30default_config_static_selectorELNS0_4arch9wavefront6targetE1EEEvT1_
		.amdhsa_group_segment_fixed_size 0
		.amdhsa_private_segment_fixed_size 0
		.amdhsa_kernarg_size 104
		.amdhsa_user_sgpr_count 6
		.amdhsa_user_sgpr_private_segment_buffer 1
		.amdhsa_user_sgpr_dispatch_ptr 0
		.amdhsa_user_sgpr_queue_ptr 0
		.amdhsa_user_sgpr_kernarg_segment_ptr 1
		.amdhsa_user_sgpr_dispatch_id 0
		.amdhsa_user_sgpr_flat_scratch_init 0
		.amdhsa_user_sgpr_kernarg_preload_length 0
		.amdhsa_user_sgpr_kernarg_preload_offset 0
		.amdhsa_user_sgpr_private_segment_size 0
		.amdhsa_uses_dynamic_stack 0
		.amdhsa_system_sgpr_private_segment_wavefront_offset 0
		.amdhsa_system_sgpr_workgroup_id_x 1
		.amdhsa_system_sgpr_workgroup_id_y 0
		.amdhsa_system_sgpr_workgroup_id_z 0
		.amdhsa_system_sgpr_workgroup_info 0
		.amdhsa_system_vgpr_workitem_id 0
		.amdhsa_next_free_vgpr 1
		.amdhsa_next_free_sgpr 0
		.amdhsa_accum_offset 4
		.amdhsa_reserve_vcc 0
		.amdhsa_reserve_flat_scratch 0
		.amdhsa_float_round_mode_32 0
		.amdhsa_float_round_mode_16_64 0
		.amdhsa_float_denorm_mode_32 3
		.amdhsa_float_denorm_mode_16_64 3
		.amdhsa_dx10_clamp 1
		.amdhsa_ieee_mode 1
		.amdhsa_fp16_overflow 0
		.amdhsa_tg_split 0
		.amdhsa_exception_fp_ieee_invalid_op 0
		.amdhsa_exception_fp_denorm_src 0
		.amdhsa_exception_fp_ieee_div_zero 0
		.amdhsa_exception_fp_ieee_overflow 0
		.amdhsa_exception_fp_ieee_underflow 0
		.amdhsa_exception_fp_ieee_inexact 0
		.amdhsa_exception_int_div_zero 0
	.end_amdhsa_kernel
	.section	.text._ZN7rocprim17ROCPRIM_400000_NS6detail17trampoline_kernelINS0_14default_configENS1_20scan_config_selectorIxEEZZNS1_9scan_implILNS1_25lookback_scan_determinismE0ELb0ELb0ES3_N6thrust23THRUST_200600_302600_NS6detail15normal_iteratorINS9_10device_ptrIxEEEESE_xNS9_4plusIxEExEEDaPvRmT3_T4_T5_mT6_P12ihipStream_tbENKUlT_T0_E_clISt17integral_constantIbLb1EEST_IbLb0EEEEDaSP_SQ_EUlSP_E_NS1_11comp_targetILNS1_3genE3ELNS1_11target_archE908ELNS1_3gpuE7ELNS1_3repE0EEENS1_30default_config_static_selectorELNS0_4arch9wavefront6targetE1EEEvT1_,"axG",@progbits,_ZN7rocprim17ROCPRIM_400000_NS6detail17trampoline_kernelINS0_14default_configENS1_20scan_config_selectorIxEEZZNS1_9scan_implILNS1_25lookback_scan_determinismE0ELb0ELb0ES3_N6thrust23THRUST_200600_302600_NS6detail15normal_iteratorINS9_10device_ptrIxEEEESE_xNS9_4plusIxEExEEDaPvRmT3_T4_T5_mT6_P12ihipStream_tbENKUlT_T0_E_clISt17integral_constantIbLb1EEST_IbLb0EEEEDaSP_SQ_EUlSP_E_NS1_11comp_targetILNS1_3genE3ELNS1_11target_archE908ELNS1_3gpuE7ELNS1_3repE0EEENS1_30default_config_static_selectorELNS0_4arch9wavefront6targetE1EEEvT1_,comdat
.Lfunc_end237:
	.size	_ZN7rocprim17ROCPRIM_400000_NS6detail17trampoline_kernelINS0_14default_configENS1_20scan_config_selectorIxEEZZNS1_9scan_implILNS1_25lookback_scan_determinismE0ELb0ELb0ES3_N6thrust23THRUST_200600_302600_NS6detail15normal_iteratorINS9_10device_ptrIxEEEESE_xNS9_4plusIxEExEEDaPvRmT3_T4_T5_mT6_P12ihipStream_tbENKUlT_T0_E_clISt17integral_constantIbLb1EEST_IbLb0EEEEDaSP_SQ_EUlSP_E_NS1_11comp_targetILNS1_3genE3ELNS1_11target_archE908ELNS1_3gpuE7ELNS1_3repE0EEENS1_30default_config_static_selectorELNS0_4arch9wavefront6targetE1EEEvT1_, .Lfunc_end237-_ZN7rocprim17ROCPRIM_400000_NS6detail17trampoline_kernelINS0_14default_configENS1_20scan_config_selectorIxEEZZNS1_9scan_implILNS1_25lookback_scan_determinismE0ELb0ELb0ES3_N6thrust23THRUST_200600_302600_NS6detail15normal_iteratorINS9_10device_ptrIxEEEESE_xNS9_4plusIxEExEEDaPvRmT3_T4_T5_mT6_P12ihipStream_tbENKUlT_T0_E_clISt17integral_constantIbLb1EEST_IbLb0EEEEDaSP_SQ_EUlSP_E_NS1_11comp_targetILNS1_3genE3ELNS1_11target_archE908ELNS1_3gpuE7ELNS1_3repE0EEENS1_30default_config_static_selectorELNS0_4arch9wavefront6targetE1EEEvT1_
                                        ; -- End function
	.section	.AMDGPU.csdata,"",@progbits
; Kernel info:
; codeLenInByte = 0
; NumSgprs: 4
; NumVgprs: 0
; NumAgprs: 0
; TotalNumVgprs: 0
; ScratchSize: 0
; MemoryBound: 0
; FloatMode: 240
; IeeeMode: 1
; LDSByteSize: 0 bytes/workgroup (compile time only)
; SGPRBlocks: 0
; VGPRBlocks: 0
; NumSGPRsForWavesPerEU: 4
; NumVGPRsForWavesPerEU: 1
; AccumOffset: 4
; Occupancy: 8
; WaveLimiterHint : 0
; COMPUTE_PGM_RSRC2:SCRATCH_EN: 0
; COMPUTE_PGM_RSRC2:USER_SGPR: 6
; COMPUTE_PGM_RSRC2:TRAP_HANDLER: 0
; COMPUTE_PGM_RSRC2:TGID_X_EN: 1
; COMPUTE_PGM_RSRC2:TGID_Y_EN: 0
; COMPUTE_PGM_RSRC2:TGID_Z_EN: 0
; COMPUTE_PGM_RSRC2:TIDIG_COMP_CNT: 0
; COMPUTE_PGM_RSRC3_GFX90A:ACCUM_OFFSET: 0
; COMPUTE_PGM_RSRC3_GFX90A:TG_SPLIT: 0
	.section	.text._ZN7rocprim17ROCPRIM_400000_NS6detail17trampoline_kernelINS0_14default_configENS1_20scan_config_selectorIxEEZZNS1_9scan_implILNS1_25lookback_scan_determinismE0ELb0ELb0ES3_N6thrust23THRUST_200600_302600_NS6detail15normal_iteratorINS9_10device_ptrIxEEEESE_xNS9_4plusIxEExEEDaPvRmT3_T4_T5_mT6_P12ihipStream_tbENKUlT_T0_E_clISt17integral_constantIbLb1EEST_IbLb0EEEEDaSP_SQ_EUlSP_E_NS1_11comp_targetILNS1_3genE2ELNS1_11target_archE906ELNS1_3gpuE6ELNS1_3repE0EEENS1_30default_config_static_selectorELNS0_4arch9wavefront6targetE1EEEvT1_,"axG",@progbits,_ZN7rocprim17ROCPRIM_400000_NS6detail17trampoline_kernelINS0_14default_configENS1_20scan_config_selectorIxEEZZNS1_9scan_implILNS1_25lookback_scan_determinismE0ELb0ELb0ES3_N6thrust23THRUST_200600_302600_NS6detail15normal_iteratorINS9_10device_ptrIxEEEESE_xNS9_4plusIxEExEEDaPvRmT3_T4_T5_mT6_P12ihipStream_tbENKUlT_T0_E_clISt17integral_constantIbLb1EEST_IbLb0EEEEDaSP_SQ_EUlSP_E_NS1_11comp_targetILNS1_3genE2ELNS1_11target_archE906ELNS1_3gpuE6ELNS1_3repE0EEENS1_30default_config_static_selectorELNS0_4arch9wavefront6targetE1EEEvT1_,comdat
	.protected	_ZN7rocprim17ROCPRIM_400000_NS6detail17trampoline_kernelINS0_14default_configENS1_20scan_config_selectorIxEEZZNS1_9scan_implILNS1_25lookback_scan_determinismE0ELb0ELb0ES3_N6thrust23THRUST_200600_302600_NS6detail15normal_iteratorINS9_10device_ptrIxEEEESE_xNS9_4plusIxEExEEDaPvRmT3_T4_T5_mT6_P12ihipStream_tbENKUlT_T0_E_clISt17integral_constantIbLb1EEST_IbLb0EEEEDaSP_SQ_EUlSP_E_NS1_11comp_targetILNS1_3genE2ELNS1_11target_archE906ELNS1_3gpuE6ELNS1_3repE0EEENS1_30default_config_static_selectorELNS0_4arch9wavefront6targetE1EEEvT1_ ; -- Begin function _ZN7rocprim17ROCPRIM_400000_NS6detail17trampoline_kernelINS0_14default_configENS1_20scan_config_selectorIxEEZZNS1_9scan_implILNS1_25lookback_scan_determinismE0ELb0ELb0ES3_N6thrust23THRUST_200600_302600_NS6detail15normal_iteratorINS9_10device_ptrIxEEEESE_xNS9_4plusIxEExEEDaPvRmT3_T4_T5_mT6_P12ihipStream_tbENKUlT_T0_E_clISt17integral_constantIbLb1EEST_IbLb0EEEEDaSP_SQ_EUlSP_E_NS1_11comp_targetILNS1_3genE2ELNS1_11target_archE906ELNS1_3gpuE6ELNS1_3repE0EEENS1_30default_config_static_selectorELNS0_4arch9wavefront6targetE1EEEvT1_
	.globl	_ZN7rocprim17ROCPRIM_400000_NS6detail17trampoline_kernelINS0_14default_configENS1_20scan_config_selectorIxEEZZNS1_9scan_implILNS1_25lookback_scan_determinismE0ELb0ELb0ES3_N6thrust23THRUST_200600_302600_NS6detail15normal_iteratorINS9_10device_ptrIxEEEESE_xNS9_4plusIxEExEEDaPvRmT3_T4_T5_mT6_P12ihipStream_tbENKUlT_T0_E_clISt17integral_constantIbLb1EEST_IbLb0EEEEDaSP_SQ_EUlSP_E_NS1_11comp_targetILNS1_3genE2ELNS1_11target_archE906ELNS1_3gpuE6ELNS1_3repE0EEENS1_30default_config_static_selectorELNS0_4arch9wavefront6targetE1EEEvT1_
	.p2align	8
	.type	_ZN7rocprim17ROCPRIM_400000_NS6detail17trampoline_kernelINS0_14default_configENS1_20scan_config_selectorIxEEZZNS1_9scan_implILNS1_25lookback_scan_determinismE0ELb0ELb0ES3_N6thrust23THRUST_200600_302600_NS6detail15normal_iteratorINS9_10device_ptrIxEEEESE_xNS9_4plusIxEExEEDaPvRmT3_T4_T5_mT6_P12ihipStream_tbENKUlT_T0_E_clISt17integral_constantIbLb1EEST_IbLb0EEEEDaSP_SQ_EUlSP_E_NS1_11comp_targetILNS1_3genE2ELNS1_11target_archE906ELNS1_3gpuE6ELNS1_3repE0EEENS1_30default_config_static_selectorELNS0_4arch9wavefront6targetE1EEEvT1_,@function
_ZN7rocprim17ROCPRIM_400000_NS6detail17trampoline_kernelINS0_14default_configENS1_20scan_config_selectorIxEEZZNS1_9scan_implILNS1_25lookback_scan_determinismE0ELb0ELb0ES3_N6thrust23THRUST_200600_302600_NS6detail15normal_iteratorINS9_10device_ptrIxEEEESE_xNS9_4plusIxEExEEDaPvRmT3_T4_T5_mT6_P12ihipStream_tbENKUlT_T0_E_clISt17integral_constantIbLb1EEST_IbLb0EEEEDaSP_SQ_EUlSP_E_NS1_11comp_targetILNS1_3genE2ELNS1_11target_archE906ELNS1_3gpuE6ELNS1_3repE0EEENS1_30default_config_static_selectorELNS0_4arch9wavefront6targetE1EEEvT1_: ; @_ZN7rocprim17ROCPRIM_400000_NS6detail17trampoline_kernelINS0_14default_configENS1_20scan_config_selectorIxEEZZNS1_9scan_implILNS1_25lookback_scan_determinismE0ELb0ELb0ES3_N6thrust23THRUST_200600_302600_NS6detail15normal_iteratorINS9_10device_ptrIxEEEESE_xNS9_4plusIxEExEEDaPvRmT3_T4_T5_mT6_P12ihipStream_tbENKUlT_T0_E_clISt17integral_constantIbLb1EEST_IbLb0EEEEDaSP_SQ_EUlSP_E_NS1_11comp_targetILNS1_3genE2ELNS1_11target_archE906ELNS1_3gpuE6ELNS1_3repE0EEENS1_30default_config_static_selectorELNS0_4arch9wavefront6targetE1EEEvT1_
; %bb.0:
	.section	.rodata,"a",@progbits
	.p2align	6, 0x0
	.amdhsa_kernel _ZN7rocprim17ROCPRIM_400000_NS6detail17trampoline_kernelINS0_14default_configENS1_20scan_config_selectorIxEEZZNS1_9scan_implILNS1_25lookback_scan_determinismE0ELb0ELb0ES3_N6thrust23THRUST_200600_302600_NS6detail15normal_iteratorINS9_10device_ptrIxEEEESE_xNS9_4plusIxEExEEDaPvRmT3_T4_T5_mT6_P12ihipStream_tbENKUlT_T0_E_clISt17integral_constantIbLb1EEST_IbLb0EEEEDaSP_SQ_EUlSP_E_NS1_11comp_targetILNS1_3genE2ELNS1_11target_archE906ELNS1_3gpuE6ELNS1_3repE0EEENS1_30default_config_static_selectorELNS0_4arch9wavefront6targetE1EEEvT1_
		.amdhsa_group_segment_fixed_size 0
		.amdhsa_private_segment_fixed_size 0
		.amdhsa_kernarg_size 104
		.amdhsa_user_sgpr_count 6
		.amdhsa_user_sgpr_private_segment_buffer 1
		.amdhsa_user_sgpr_dispatch_ptr 0
		.amdhsa_user_sgpr_queue_ptr 0
		.amdhsa_user_sgpr_kernarg_segment_ptr 1
		.amdhsa_user_sgpr_dispatch_id 0
		.amdhsa_user_sgpr_flat_scratch_init 0
		.amdhsa_user_sgpr_kernarg_preload_length 0
		.amdhsa_user_sgpr_kernarg_preload_offset 0
		.amdhsa_user_sgpr_private_segment_size 0
		.amdhsa_uses_dynamic_stack 0
		.amdhsa_system_sgpr_private_segment_wavefront_offset 0
		.amdhsa_system_sgpr_workgroup_id_x 1
		.amdhsa_system_sgpr_workgroup_id_y 0
		.amdhsa_system_sgpr_workgroup_id_z 0
		.amdhsa_system_sgpr_workgroup_info 0
		.amdhsa_system_vgpr_workitem_id 0
		.amdhsa_next_free_vgpr 1
		.amdhsa_next_free_sgpr 0
		.amdhsa_accum_offset 4
		.amdhsa_reserve_vcc 0
		.amdhsa_reserve_flat_scratch 0
		.amdhsa_float_round_mode_32 0
		.amdhsa_float_round_mode_16_64 0
		.amdhsa_float_denorm_mode_32 3
		.amdhsa_float_denorm_mode_16_64 3
		.amdhsa_dx10_clamp 1
		.amdhsa_ieee_mode 1
		.amdhsa_fp16_overflow 0
		.amdhsa_tg_split 0
		.amdhsa_exception_fp_ieee_invalid_op 0
		.amdhsa_exception_fp_denorm_src 0
		.amdhsa_exception_fp_ieee_div_zero 0
		.amdhsa_exception_fp_ieee_overflow 0
		.amdhsa_exception_fp_ieee_underflow 0
		.amdhsa_exception_fp_ieee_inexact 0
		.amdhsa_exception_int_div_zero 0
	.end_amdhsa_kernel
	.section	.text._ZN7rocprim17ROCPRIM_400000_NS6detail17trampoline_kernelINS0_14default_configENS1_20scan_config_selectorIxEEZZNS1_9scan_implILNS1_25lookback_scan_determinismE0ELb0ELb0ES3_N6thrust23THRUST_200600_302600_NS6detail15normal_iteratorINS9_10device_ptrIxEEEESE_xNS9_4plusIxEExEEDaPvRmT3_T4_T5_mT6_P12ihipStream_tbENKUlT_T0_E_clISt17integral_constantIbLb1EEST_IbLb0EEEEDaSP_SQ_EUlSP_E_NS1_11comp_targetILNS1_3genE2ELNS1_11target_archE906ELNS1_3gpuE6ELNS1_3repE0EEENS1_30default_config_static_selectorELNS0_4arch9wavefront6targetE1EEEvT1_,"axG",@progbits,_ZN7rocprim17ROCPRIM_400000_NS6detail17trampoline_kernelINS0_14default_configENS1_20scan_config_selectorIxEEZZNS1_9scan_implILNS1_25lookback_scan_determinismE0ELb0ELb0ES3_N6thrust23THRUST_200600_302600_NS6detail15normal_iteratorINS9_10device_ptrIxEEEESE_xNS9_4plusIxEExEEDaPvRmT3_T4_T5_mT6_P12ihipStream_tbENKUlT_T0_E_clISt17integral_constantIbLb1EEST_IbLb0EEEEDaSP_SQ_EUlSP_E_NS1_11comp_targetILNS1_3genE2ELNS1_11target_archE906ELNS1_3gpuE6ELNS1_3repE0EEENS1_30default_config_static_selectorELNS0_4arch9wavefront6targetE1EEEvT1_,comdat
.Lfunc_end238:
	.size	_ZN7rocprim17ROCPRIM_400000_NS6detail17trampoline_kernelINS0_14default_configENS1_20scan_config_selectorIxEEZZNS1_9scan_implILNS1_25lookback_scan_determinismE0ELb0ELb0ES3_N6thrust23THRUST_200600_302600_NS6detail15normal_iteratorINS9_10device_ptrIxEEEESE_xNS9_4plusIxEExEEDaPvRmT3_T4_T5_mT6_P12ihipStream_tbENKUlT_T0_E_clISt17integral_constantIbLb1EEST_IbLb0EEEEDaSP_SQ_EUlSP_E_NS1_11comp_targetILNS1_3genE2ELNS1_11target_archE906ELNS1_3gpuE6ELNS1_3repE0EEENS1_30default_config_static_selectorELNS0_4arch9wavefront6targetE1EEEvT1_, .Lfunc_end238-_ZN7rocprim17ROCPRIM_400000_NS6detail17trampoline_kernelINS0_14default_configENS1_20scan_config_selectorIxEEZZNS1_9scan_implILNS1_25lookback_scan_determinismE0ELb0ELb0ES3_N6thrust23THRUST_200600_302600_NS6detail15normal_iteratorINS9_10device_ptrIxEEEESE_xNS9_4plusIxEExEEDaPvRmT3_T4_T5_mT6_P12ihipStream_tbENKUlT_T0_E_clISt17integral_constantIbLb1EEST_IbLb0EEEEDaSP_SQ_EUlSP_E_NS1_11comp_targetILNS1_3genE2ELNS1_11target_archE906ELNS1_3gpuE6ELNS1_3repE0EEENS1_30default_config_static_selectorELNS0_4arch9wavefront6targetE1EEEvT1_
                                        ; -- End function
	.section	.AMDGPU.csdata,"",@progbits
; Kernel info:
; codeLenInByte = 0
; NumSgprs: 4
; NumVgprs: 0
; NumAgprs: 0
; TotalNumVgprs: 0
; ScratchSize: 0
; MemoryBound: 0
; FloatMode: 240
; IeeeMode: 1
; LDSByteSize: 0 bytes/workgroup (compile time only)
; SGPRBlocks: 0
; VGPRBlocks: 0
; NumSGPRsForWavesPerEU: 4
; NumVGPRsForWavesPerEU: 1
; AccumOffset: 4
; Occupancy: 8
; WaveLimiterHint : 0
; COMPUTE_PGM_RSRC2:SCRATCH_EN: 0
; COMPUTE_PGM_RSRC2:USER_SGPR: 6
; COMPUTE_PGM_RSRC2:TRAP_HANDLER: 0
; COMPUTE_PGM_RSRC2:TGID_X_EN: 1
; COMPUTE_PGM_RSRC2:TGID_Y_EN: 0
; COMPUTE_PGM_RSRC2:TGID_Z_EN: 0
; COMPUTE_PGM_RSRC2:TIDIG_COMP_CNT: 0
; COMPUTE_PGM_RSRC3_GFX90A:ACCUM_OFFSET: 0
; COMPUTE_PGM_RSRC3_GFX90A:TG_SPLIT: 0
	.section	.text._ZN7rocprim17ROCPRIM_400000_NS6detail17trampoline_kernelINS0_14default_configENS1_20scan_config_selectorIxEEZZNS1_9scan_implILNS1_25lookback_scan_determinismE0ELb0ELb0ES3_N6thrust23THRUST_200600_302600_NS6detail15normal_iteratorINS9_10device_ptrIxEEEESE_xNS9_4plusIxEExEEDaPvRmT3_T4_T5_mT6_P12ihipStream_tbENKUlT_T0_E_clISt17integral_constantIbLb1EEST_IbLb0EEEEDaSP_SQ_EUlSP_E_NS1_11comp_targetILNS1_3genE10ELNS1_11target_archE1201ELNS1_3gpuE5ELNS1_3repE0EEENS1_30default_config_static_selectorELNS0_4arch9wavefront6targetE1EEEvT1_,"axG",@progbits,_ZN7rocprim17ROCPRIM_400000_NS6detail17trampoline_kernelINS0_14default_configENS1_20scan_config_selectorIxEEZZNS1_9scan_implILNS1_25lookback_scan_determinismE0ELb0ELb0ES3_N6thrust23THRUST_200600_302600_NS6detail15normal_iteratorINS9_10device_ptrIxEEEESE_xNS9_4plusIxEExEEDaPvRmT3_T4_T5_mT6_P12ihipStream_tbENKUlT_T0_E_clISt17integral_constantIbLb1EEST_IbLb0EEEEDaSP_SQ_EUlSP_E_NS1_11comp_targetILNS1_3genE10ELNS1_11target_archE1201ELNS1_3gpuE5ELNS1_3repE0EEENS1_30default_config_static_selectorELNS0_4arch9wavefront6targetE1EEEvT1_,comdat
	.protected	_ZN7rocprim17ROCPRIM_400000_NS6detail17trampoline_kernelINS0_14default_configENS1_20scan_config_selectorIxEEZZNS1_9scan_implILNS1_25lookback_scan_determinismE0ELb0ELb0ES3_N6thrust23THRUST_200600_302600_NS6detail15normal_iteratorINS9_10device_ptrIxEEEESE_xNS9_4plusIxEExEEDaPvRmT3_T4_T5_mT6_P12ihipStream_tbENKUlT_T0_E_clISt17integral_constantIbLb1EEST_IbLb0EEEEDaSP_SQ_EUlSP_E_NS1_11comp_targetILNS1_3genE10ELNS1_11target_archE1201ELNS1_3gpuE5ELNS1_3repE0EEENS1_30default_config_static_selectorELNS0_4arch9wavefront6targetE1EEEvT1_ ; -- Begin function _ZN7rocprim17ROCPRIM_400000_NS6detail17trampoline_kernelINS0_14default_configENS1_20scan_config_selectorIxEEZZNS1_9scan_implILNS1_25lookback_scan_determinismE0ELb0ELb0ES3_N6thrust23THRUST_200600_302600_NS6detail15normal_iteratorINS9_10device_ptrIxEEEESE_xNS9_4plusIxEExEEDaPvRmT3_T4_T5_mT6_P12ihipStream_tbENKUlT_T0_E_clISt17integral_constantIbLb1EEST_IbLb0EEEEDaSP_SQ_EUlSP_E_NS1_11comp_targetILNS1_3genE10ELNS1_11target_archE1201ELNS1_3gpuE5ELNS1_3repE0EEENS1_30default_config_static_selectorELNS0_4arch9wavefront6targetE1EEEvT1_
	.globl	_ZN7rocprim17ROCPRIM_400000_NS6detail17trampoline_kernelINS0_14default_configENS1_20scan_config_selectorIxEEZZNS1_9scan_implILNS1_25lookback_scan_determinismE0ELb0ELb0ES3_N6thrust23THRUST_200600_302600_NS6detail15normal_iteratorINS9_10device_ptrIxEEEESE_xNS9_4plusIxEExEEDaPvRmT3_T4_T5_mT6_P12ihipStream_tbENKUlT_T0_E_clISt17integral_constantIbLb1EEST_IbLb0EEEEDaSP_SQ_EUlSP_E_NS1_11comp_targetILNS1_3genE10ELNS1_11target_archE1201ELNS1_3gpuE5ELNS1_3repE0EEENS1_30default_config_static_selectorELNS0_4arch9wavefront6targetE1EEEvT1_
	.p2align	8
	.type	_ZN7rocprim17ROCPRIM_400000_NS6detail17trampoline_kernelINS0_14default_configENS1_20scan_config_selectorIxEEZZNS1_9scan_implILNS1_25lookback_scan_determinismE0ELb0ELb0ES3_N6thrust23THRUST_200600_302600_NS6detail15normal_iteratorINS9_10device_ptrIxEEEESE_xNS9_4plusIxEExEEDaPvRmT3_T4_T5_mT6_P12ihipStream_tbENKUlT_T0_E_clISt17integral_constantIbLb1EEST_IbLb0EEEEDaSP_SQ_EUlSP_E_NS1_11comp_targetILNS1_3genE10ELNS1_11target_archE1201ELNS1_3gpuE5ELNS1_3repE0EEENS1_30default_config_static_selectorELNS0_4arch9wavefront6targetE1EEEvT1_,@function
_ZN7rocprim17ROCPRIM_400000_NS6detail17trampoline_kernelINS0_14default_configENS1_20scan_config_selectorIxEEZZNS1_9scan_implILNS1_25lookback_scan_determinismE0ELb0ELb0ES3_N6thrust23THRUST_200600_302600_NS6detail15normal_iteratorINS9_10device_ptrIxEEEESE_xNS9_4plusIxEExEEDaPvRmT3_T4_T5_mT6_P12ihipStream_tbENKUlT_T0_E_clISt17integral_constantIbLb1EEST_IbLb0EEEEDaSP_SQ_EUlSP_E_NS1_11comp_targetILNS1_3genE10ELNS1_11target_archE1201ELNS1_3gpuE5ELNS1_3repE0EEENS1_30default_config_static_selectorELNS0_4arch9wavefront6targetE1EEEvT1_: ; @_ZN7rocprim17ROCPRIM_400000_NS6detail17trampoline_kernelINS0_14default_configENS1_20scan_config_selectorIxEEZZNS1_9scan_implILNS1_25lookback_scan_determinismE0ELb0ELb0ES3_N6thrust23THRUST_200600_302600_NS6detail15normal_iteratorINS9_10device_ptrIxEEEESE_xNS9_4plusIxEExEEDaPvRmT3_T4_T5_mT6_P12ihipStream_tbENKUlT_T0_E_clISt17integral_constantIbLb1EEST_IbLb0EEEEDaSP_SQ_EUlSP_E_NS1_11comp_targetILNS1_3genE10ELNS1_11target_archE1201ELNS1_3gpuE5ELNS1_3repE0EEENS1_30default_config_static_selectorELNS0_4arch9wavefront6targetE1EEEvT1_
; %bb.0:
	.section	.rodata,"a",@progbits
	.p2align	6, 0x0
	.amdhsa_kernel _ZN7rocprim17ROCPRIM_400000_NS6detail17trampoline_kernelINS0_14default_configENS1_20scan_config_selectorIxEEZZNS1_9scan_implILNS1_25lookback_scan_determinismE0ELb0ELb0ES3_N6thrust23THRUST_200600_302600_NS6detail15normal_iteratorINS9_10device_ptrIxEEEESE_xNS9_4plusIxEExEEDaPvRmT3_T4_T5_mT6_P12ihipStream_tbENKUlT_T0_E_clISt17integral_constantIbLb1EEST_IbLb0EEEEDaSP_SQ_EUlSP_E_NS1_11comp_targetILNS1_3genE10ELNS1_11target_archE1201ELNS1_3gpuE5ELNS1_3repE0EEENS1_30default_config_static_selectorELNS0_4arch9wavefront6targetE1EEEvT1_
		.amdhsa_group_segment_fixed_size 0
		.amdhsa_private_segment_fixed_size 0
		.amdhsa_kernarg_size 104
		.amdhsa_user_sgpr_count 6
		.amdhsa_user_sgpr_private_segment_buffer 1
		.amdhsa_user_sgpr_dispatch_ptr 0
		.amdhsa_user_sgpr_queue_ptr 0
		.amdhsa_user_sgpr_kernarg_segment_ptr 1
		.amdhsa_user_sgpr_dispatch_id 0
		.amdhsa_user_sgpr_flat_scratch_init 0
		.amdhsa_user_sgpr_kernarg_preload_length 0
		.amdhsa_user_sgpr_kernarg_preload_offset 0
		.amdhsa_user_sgpr_private_segment_size 0
		.amdhsa_uses_dynamic_stack 0
		.amdhsa_system_sgpr_private_segment_wavefront_offset 0
		.amdhsa_system_sgpr_workgroup_id_x 1
		.amdhsa_system_sgpr_workgroup_id_y 0
		.amdhsa_system_sgpr_workgroup_id_z 0
		.amdhsa_system_sgpr_workgroup_info 0
		.amdhsa_system_vgpr_workitem_id 0
		.amdhsa_next_free_vgpr 1
		.amdhsa_next_free_sgpr 0
		.amdhsa_accum_offset 4
		.amdhsa_reserve_vcc 0
		.amdhsa_reserve_flat_scratch 0
		.amdhsa_float_round_mode_32 0
		.amdhsa_float_round_mode_16_64 0
		.amdhsa_float_denorm_mode_32 3
		.amdhsa_float_denorm_mode_16_64 3
		.amdhsa_dx10_clamp 1
		.amdhsa_ieee_mode 1
		.amdhsa_fp16_overflow 0
		.amdhsa_tg_split 0
		.amdhsa_exception_fp_ieee_invalid_op 0
		.amdhsa_exception_fp_denorm_src 0
		.amdhsa_exception_fp_ieee_div_zero 0
		.amdhsa_exception_fp_ieee_overflow 0
		.amdhsa_exception_fp_ieee_underflow 0
		.amdhsa_exception_fp_ieee_inexact 0
		.amdhsa_exception_int_div_zero 0
	.end_amdhsa_kernel
	.section	.text._ZN7rocprim17ROCPRIM_400000_NS6detail17trampoline_kernelINS0_14default_configENS1_20scan_config_selectorIxEEZZNS1_9scan_implILNS1_25lookback_scan_determinismE0ELb0ELb0ES3_N6thrust23THRUST_200600_302600_NS6detail15normal_iteratorINS9_10device_ptrIxEEEESE_xNS9_4plusIxEExEEDaPvRmT3_T4_T5_mT6_P12ihipStream_tbENKUlT_T0_E_clISt17integral_constantIbLb1EEST_IbLb0EEEEDaSP_SQ_EUlSP_E_NS1_11comp_targetILNS1_3genE10ELNS1_11target_archE1201ELNS1_3gpuE5ELNS1_3repE0EEENS1_30default_config_static_selectorELNS0_4arch9wavefront6targetE1EEEvT1_,"axG",@progbits,_ZN7rocprim17ROCPRIM_400000_NS6detail17trampoline_kernelINS0_14default_configENS1_20scan_config_selectorIxEEZZNS1_9scan_implILNS1_25lookback_scan_determinismE0ELb0ELb0ES3_N6thrust23THRUST_200600_302600_NS6detail15normal_iteratorINS9_10device_ptrIxEEEESE_xNS9_4plusIxEExEEDaPvRmT3_T4_T5_mT6_P12ihipStream_tbENKUlT_T0_E_clISt17integral_constantIbLb1EEST_IbLb0EEEEDaSP_SQ_EUlSP_E_NS1_11comp_targetILNS1_3genE10ELNS1_11target_archE1201ELNS1_3gpuE5ELNS1_3repE0EEENS1_30default_config_static_selectorELNS0_4arch9wavefront6targetE1EEEvT1_,comdat
.Lfunc_end239:
	.size	_ZN7rocprim17ROCPRIM_400000_NS6detail17trampoline_kernelINS0_14default_configENS1_20scan_config_selectorIxEEZZNS1_9scan_implILNS1_25lookback_scan_determinismE0ELb0ELb0ES3_N6thrust23THRUST_200600_302600_NS6detail15normal_iteratorINS9_10device_ptrIxEEEESE_xNS9_4plusIxEExEEDaPvRmT3_T4_T5_mT6_P12ihipStream_tbENKUlT_T0_E_clISt17integral_constantIbLb1EEST_IbLb0EEEEDaSP_SQ_EUlSP_E_NS1_11comp_targetILNS1_3genE10ELNS1_11target_archE1201ELNS1_3gpuE5ELNS1_3repE0EEENS1_30default_config_static_selectorELNS0_4arch9wavefront6targetE1EEEvT1_, .Lfunc_end239-_ZN7rocprim17ROCPRIM_400000_NS6detail17trampoline_kernelINS0_14default_configENS1_20scan_config_selectorIxEEZZNS1_9scan_implILNS1_25lookback_scan_determinismE0ELb0ELb0ES3_N6thrust23THRUST_200600_302600_NS6detail15normal_iteratorINS9_10device_ptrIxEEEESE_xNS9_4plusIxEExEEDaPvRmT3_T4_T5_mT6_P12ihipStream_tbENKUlT_T0_E_clISt17integral_constantIbLb1EEST_IbLb0EEEEDaSP_SQ_EUlSP_E_NS1_11comp_targetILNS1_3genE10ELNS1_11target_archE1201ELNS1_3gpuE5ELNS1_3repE0EEENS1_30default_config_static_selectorELNS0_4arch9wavefront6targetE1EEEvT1_
                                        ; -- End function
	.section	.AMDGPU.csdata,"",@progbits
; Kernel info:
; codeLenInByte = 0
; NumSgprs: 4
; NumVgprs: 0
; NumAgprs: 0
; TotalNumVgprs: 0
; ScratchSize: 0
; MemoryBound: 0
; FloatMode: 240
; IeeeMode: 1
; LDSByteSize: 0 bytes/workgroup (compile time only)
; SGPRBlocks: 0
; VGPRBlocks: 0
; NumSGPRsForWavesPerEU: 4
; NumVGPRsForWavesPerEU: 1
; AccumOffset: 4
; Occupancy: 8
; WaveLimiterHint : 0
; COMPUTE_PGM_RSRC2:SCRATCH_EN: 0
; COMPUTE_PGM_RSRC2:USER_SGPR: 6
; COMPUTE_PGM_RSRC2:TRAP_HANDLER: 0
; COMPUTE_PGM_RSRC2:TGID_X_EN: 1
; COMPUTE_PGM_RSRC2:TGID_Y_EN: 0
; COMPUTE_PGM_RSRC2:TGID_Z_EN: 0
; COMPUTE_PGM_RSRC2:TIDIG_COMP_CNT: 0
; COMPUTE_PGM_RSRC3_GFX90A:ACCUM_OFFSET: 0
; COMPUTE_PGM_RSRC3_GFX90A:TG_SPLIT: 0
	.section	.text._ZN7rocprim17ROCPRIM_400000_NS6detail17trampoline_kernelINS0_14default_configENS1_20scan_config_selectorIxEEZZNS1_9scan_implILNS1_25lookback_scan_determinismE0ELb0ELb0ES3_N6thrust23THRUST_200600_302600_NS6detail15normal_iteratorINS9_10device_ptrIxEEEESE_xNS9_4plusIxEExEEDaPvRmT3_T4_T5_mT6_P12ihipStream_tbENKUlT_T0_E_clISt17integral_constantIbLb1EEST_IbLb0EEEEDaSP_SQ_EUlSP_E_NS1_11comp_targetILNS1_3genE10ELNS1_11target_archE1200ELNS1_3gpuE4ELNS1_3repE0EEENS1_30default_config_static_selectorELNS0_4arch9wavefront6targetE1EEEvT1_,"axG",@progbits,_ZN7rocprim17ROCPRIM_400000_NS6detail17trampoline_kernelINS0_14default_configENS1_20scan_config_selectorIxEEZZNS1_9scan_implILNS1_25lookback_scan_determinismE0ELb0ELb0ES3_N6thrust23THRUST_200600_302600_NS6detail15normal_iteratorINS9_10device_ptrIxEEEESE_xNS9_4plusIxEExEEDaPvRmT3_T4_T5_mT6_P12ihipStream_tbENKUlT_T0_E_clISt17integral_constantIbLb1EEST_IbLb0EEEEDaSP_SQ_EUlSP_E_NS1_11comp_targetILNS1_3genE10ELNS1_11target_archE1200ELNS1_3gpuE4ELNS1_3repE0EEENS1_30default_config_static_selectorELNS0_4arch9wavefront6targetE1EEEvT1_,comdat
	.protected	_ZN7rocprim17ROCPRIM_400000_NS6detail17trampoline_kernelINS0_14default_configENS1_20scan_config_selectorIxEEZZNS1_9scan_implILNS1_25lookback_scan_determinismE0ELb0ELb0ES3_N6thrust23THRUST_200600_302600_NS6detail15normal_iteratorINS9_10device_ptrIxEEEESE_xNS9_4plusIxEExEEDaPvRmT3_T4_T5_mT6_P12ihipStream_tbENKUlT_T0_E_clISt17integral_constantIbLb1EEST_IbLb0EEEEDaSP_SQ_EUlSP_E_NS1_11comp_targetILNS1_3genE10ELNS1_11target_archE1200ELNS1_3gpuE4ELNS1_3repE0EEENS1_30default_config_static_selectorELNS0_4arch9wavefront6targetE1EEEvT1_ ; -- Begin function _ZN7rocprim17ROCPRIM_400000_NS6detail17trampoline_kernelINS0_14default_configENS1_20scan_config_selectorIxEEZZNS1_9scan_implILNS1_25lookback_scan_determinismE0ELb0ELb0ES3_N6thrust23THRUST_200600_302600_NS6detail15normal_iteratorINS9_10device_ptrIxEEEESE_xNS9_4plusIxEExEEDaPvRmT3_T4_T5_mT6_P12ihipStream_tbENKUlT_T0_E_clISt17integral_constantIbLb1EEST_IbLb0EEEEDaSP_SQ_EUlSP_E_NS1_11comp_targetILNS1_3genE10ELNS1_11target_archE1200ELNS1_3gpuE4ELNS1_3repE0EEENS1_30default_config_static_selectorELNS0_4arch9wavefront6targetE1EEEvT1_
	.globl	_ZN7rocprim17ROCPRIM_400000_NS6detail17trampoline_kernelINS0_14default_configENS1_20scan_config_selectorIxEEZZNS1_9scan_implILNS1_25lookback_scan_determinismE0ELb0ELb0ES3_N6thrust23THRUST_200600_302600_NS6detail15normal_iteratorINS9_10device_ptrIxEEEESE_xNS9_4plusIxEExEEDaPvRmT3_T4_T5_mT6_P12ihipStream_tbENKUlT_T0_E_clISt17integral_constantIbLb1EEST_IbLb0EEEEDaSP_SQ_EUlSP_E_NS1_11comp_targetILNS1_3genE10ELNS1_11target_archE1200ELNS1_3gpuE4ELNS1_3repE0EEENS1_30default_config_static_selectorELNS0_4arch9wavefront6targetE1EEEvT1_
	.p2align	8
	.type	_ZN7rocprim17ROCPRIM_400000_NS6detail17trampoline_kernelINS0_14default_configENS1_20scan_config_selectorIxEEZZNS1_9scan_implILNS1_25lookback_scan_determinismE0ELb0ELb0ES3_N6thrust23THRUST_200600_302600_NS6detail15normal_iteratorINS9_10device_ptrIxEEEESE_xNS9_4plusIxEExEEDaPvRmT3_T4_T5_mT6_P12ihipStream_tbENKUlT_T0_E_clISt17integral_constantIbLb1EEST_IbLb0EEEEDaSP_SQ_EUlSP_E_NS1_11comp_targetILNS1_3genE10ELNS1_11target_archE1200ELNS1_3gpuE4ELNS1_3repE0EEENS1_30default_config_static_selectorELNS0_4arch9wavefront6targetE1EEEvT1_,@function
_ZN7rocprim17ROCPRIM_400000_NS6detail17trampoline_kernelINS0_14default_configENS1_20scan_config_selectorIxEEZZNS1_9scan_implILNS1_25lookback_scan_determinismE0ELb0ELb0ES3_N6thrust23THRUST_200600_302600_NS6detail15normal_iteratorINS9_10device_ptrIxEEEESE_xNS9_4plusIxEExEEDaPvRmT3_T4_T5_mT6_P12ihipStream_tbENKUlT_T0_E_clISt17integral_constantIbLb1EEST_IbLb0EEEEDaSP_SQ_EUlSP_E_NS1_11comp_targetILNS1_3genE10ELNS1_11target_archE1200ELNS1_3gpuE4ELNS1_3repE0EEENS1_30default_config_static_selectorELNS0_4arch9wavefront6targetE1EEEvT1_: ; @_ZN7rocprim17ROCPRIM_400000_NS6detail17trampoline_kernelINS0_14default_configENS1_20scan_config_selectorIxEEZZNS1_9scan_implILNS1_25lookback_scan_determinismE0ELb0ELb0ES3_N6thrust23THRUST_200600_302600_NS6detail15normal_iteratorINS9_10device_ptrIxEEEESE_xNS9_4plusIxEExEEDaPvRmT3_T4_T5_mT6_P12ihipStream_tbENKUlT_T0_E_clISt17integral_constantIbLb1EEST_IbLb0EEEEDaSP_SQ_EUlSP_E_NS1_11comp_targetILNS1_3genE10ELNS1_11target_archE1200ELNS1_3gpuE4ELNS1_3repE0EEENS1_30default_config_static_selectorELNS0_4arch9wavefront6targetE1EEEvT1_
; %bb.0:
	.section	.rodata,"a",@progbits
	.p2align	6, 0x0
	.amdhsa_kernel _ZN7rocprim17ROCPRIM_400000_NS6detail17trampoline_kernelINS0_14default_configENS1_20scan_config_selectorIxEEZZNS1_9scan_implILNS1_25lookback_scan_determinismE0ELb0ELb0ES3_N6thrust23THRUST_200600_302600_NS6detail15normal_iteratorINS9_10device_ptrIxEEEESE_xNS9_4plusIxEExEEDaPvRmT3_T4_T5_mT6_P12ihipStream_tbENKUlT_T0_E_clISt17integral_constantIbLb1EEST_IbLb0EEEEDaSP_SQ_EUlSP_E_NS1_11comp_targetILNS1_3genE10ELNS1_11target_archE1200ELNS1_3gpuE4ELNS1_3repE0EEENS1_30default_config_static_selectorELNS0_4arch9wavefront6targetE1EEEvT1_
		.amdhsa_group_segment_fixed_size 0
		.amdhsa_private_segment_fixed_size 0
		.amdhsa_kernarg_size 104
		.amdhsa_user_sgpr_count 6
		.amdhsa_user_sgpr_private_segment_buffer 1
		.amdhsa_user_sgpr_dispatch_ptr 0
		.amdhsa_user_sgpr_queue_ptr 0
		.amdhsa_user_sgpr_kernarg_segment_ptr 1
		.amdhsa_user_sgpr_dispatch_id 0
		.amdhsa_user_sgpr_flat_scratch_init 0
		.amdhsa_user_sgpr_kernarg_preload_length 0
		.amdhsa_user_sgpr_kernarg_preload_offset 0
		.amdhsa_user_sgpr_private_segment_size 0
		.amdhsa_uses_dynamic_stack 0
		.amdhsa_system_sgpr_private_segment_wavefront_offset 0
		.amdhsa_system_sgpr_workgroup_id_x 1
		.amdhsa_system_sgpr_workgroup_id_y 0
		.amdhsa_system_sgpr_workgroup_id_z 0
		.amdhsa_system_sgpr_workgroup_info 0
		.amdhsa_system_vgpr_workitem_id 0
		.amdhsa_next_free_vgpr 1
		.amdhsa_next_free_sgpr 0
		.amdhsa_accum_offset 4
		.amdhsa_reserve_vcc 0
		.amdhsa_reserve_flat_scratch 0
		.amdhsa_float_round_mode_32 0
		.amdhsa_float_round_mode_16_64 0
		.amdhsa_float_denorm_mode_32 3
		.amdhsa_float_denorm_mode_16_64 3
		.amdhsa_dx10_clamp 1
		.amdhsa_ieee_mode 1
		.amdhsa_fp16_overflow 0
		.amdhsa_tg_split 0
		.amdhsa_exception_fp_ieee_invalid_op 0
		.amdhsa_exception_fp_denorm_src 0
		.amdhsa_exception_fp_ieee_div_zero 0
		.amdhsa_exception_fp_ieee_overflow 0
		.amdhsa_exception_fp_ieee_underflow 0
		.amdhsa_exception_fp_ieee_inexact 0
		.amdhsa_exception_int_div_zero 0
	.end_amdhsa_kernel
	.section	.text._ZN7rocprim17ROCPRIM_400000_NS6detail17trampoline_kernelINS0_14default_configENS1_20scan_config_selectorIxEEZZNS1_9scan_implILNS1_25lookback_scan_determinismE0ELb0ELb0ES3_N6thrust23THRUST_200600_302600_NS6detail15normal_iteratorINS9_10device_ptrIxEEEESE_xNS9_4plusIxEExEEDaPvRmT3_T4_T5_mT6_P12ihipStream_tbENKUlT_T0_E_clISt17integral_constantIbLb1EEST_IbLb0EEEEDaSP_SQ_EUlSP_E_NS1_11comp_targetILNS1_3genE10ELNS1_11target_archE1200ELNS1_3gpuE4ELNS1_3repE0EEENS1_30default_config_static_selectorELNS0_4arch9wavefront6targetE1EEEvT1_,"axG",@progbits,_ZN7rocprim17ROCPRIM_400000_NS6detail17trampoline_kernelINS0_14default_configENS1_20scan_config_selectorIxEEZZNS1_9scan_implILNS1_25lookback_scan_determinismE0ELb0ELb0ES3_N6thrust23THRUST_200600_302600_NS6detail15normal_iteratorINS9_10device_ptrIxEEEESE_xNS9_4plusIxEExEEDaPvRmT3_T4_T5_mT6_P12ihipStream_tbENKUlT_T0_E_clISt17integral_constantIbLb1EEST_IbLb0EEEEDaSP_SQ_EUlSP_E_NS1_11comp_targetILNS1_3genE10ELNS1_11target_archE1200ELNS1_3gpuE4ELNS1_3repE0EEENS1_30default_config_static_selectorELNS0_4arch9wavefront6targetE1EEEvT1_,comdat
.Lfunc_end240:
	.size	_ZN7rocprim17ROCPRIM_400000_NS6detail17trampoline_kernelINS0_14default_configENS1_20scan_config_selectorIxEEZZNS1_9scan_implILNS1_25lookback_scan_determinismE0ELb0ELb0ES3_N6thrust23THRUST_200600_302600_NS6detail15normal_iteratorINS9_10device_ptrIxEEEESE_xNS9_4plusIxEExEEDaPvRmT3_T4_T5_mT6_P12ihipStream_tbENKUlT_T0_E_clISt17integral_constantIbLb1EEST_IbLb0EEEEDaSP_SQ_EUlSP_E_NS1_11comp_targetILNS1_3genE10ELNS1_11target_archE1200ELNS1_3gpuE4ELNS1_3repE0EEENS1_30default_config_static_selectorELNS0_4arch9wavefront6targetE1EEEvT1_, .Lfunc_end240-_ZN7rocprim17ROCPRIM_400000_NS6detail17trampoline_kernelINS0_14default_configENS1_20scan_config_selectorIxEEZZNS1_9scan_implILNS1_25lookback_scan_determinismE0ELb0ELb0ES3_N6thrust23THRUST_200600_302600_NS6detail15normal_iteratorINS9_10device_ptrIxEEEESE_xNS9_4plusIxEExEEDaPvRmT3_T4_T5_mT6_P12ihipStream_tbENKUlT_T0_E_clISt17integral_constantIbLb1EEST_IbLb0EEEEDaSP_SQ_EUlSP_E_NS1_11comp_targetILNS1_3genE10ELNS1_11target_archE1200ELNS1_3gpuE4ELNS1_3repE0EEENS1_30default_config_static_selectorELNS0_4arch9wavefront6targetE1EEEvT1_
                                        ; -- End function
	.section	.AMDGPU.csdata,"",@progbits
; Kernel info:
; codeLenInByte = 0
; NumSgprs: 4
; NumVgprs: 0
; NumAgprs: 0
; TotalNumVgprs: 0
; ScratchSize: 0
; MemoryBound: 0
; FloatMode: 240
; IeeeMode: 1
; LDSByteSize: 0 bytes/workgroup (compile time only)
; SGPRBlocks: 0
; VGPRBlocks: 0
; NumSGPRsForWavesPerEU: 4
; NumVGPRsForWavesPerEU: 1
; AccumOffset: 4
; Occupancy: 8
; WaveLimiterHint : 0
; COMPUTE_PGM_RSRC2:SCRATCH_EN: 0
; COMPUTE_PGM_RSRC2:USER_SGPR: 6
; COMPUTE_PGM_RSRC2:TRAP_HANDLER: 0
; COMPUTE_PGM_RSRC2:TGID_X_EN: 1
; COMPUTE_PGM_RSRC2:TGID_Y_EN: 0
; COMPUTE_PGM_RSRC2:TGID_Z_EN: 0
; COMPUTE_PGM_RSRC2:TIDIG_COMP_CNT: 0
; COMPUTE_PGM_RSRC3_GFX90A:ACCUM_OFFSET: 0
; COMPUTE_PGM_RSRC3_GFX90A:TG_SPLIT: 0
	.section	.text._ZN7rocprim17ROCPRIM_400000_NS6detail17trampoline_kernelINS0_14default_configENS1_20scan_config_selectorIxEEZZNS1_9scan_implILNS1_25lookback_scan_determinismE0ELb0ELb0ES3_N6thrust23THRUST_200600_302600_NS6detail15normal_iteratorINS9_10device_ptrIxEEEESE_xNS9_4plusIxEExEEDaPvRmT3_T4_T5_mT6_P12ihipStream_tbENKUlT_T0_E_clISt17integral_constantIbLb1EEST_IbLb0EEEEDaSP_SQ_EUlSP_E_NS1_11comp_targetILNS1_3genE9ELNS1_11target_archE1100ELNS1_3gpuE3ELNS1_3repE0EEENS1_30default_config_static_selectorELNS0_4arch9wavefront6targetE1EEEvT1_,"axG",@progbits,_ZN7rocprim17ROCPRIM_400000_NS6detail17trampoline_kernelINS0_14default_configENS1_20scan_config_selectorIxEEZZNS1_9scan_implILNS1_25lookback_scan_determinismE0ELb0ELb0ES3_N6thrust23THRUST_200600_302600_NS6detail15normal_iteratorINS9_10device_ptrIxEEEESE_xNS9_4plusIxEExEEDaPvRmT3_T4_T5_mT6_P12ihipStream_tbENKUlT_T0_E_clISt17integral_constantIbLb1EEST_IbLb0EEEEDaSP_SQ_EUlSP_E_NS1_11comp_targetILNS1_3genE9ELNS1_11target_archE1100ELNS1_3gpuE3ELNS1_3repE0EEENS1_30default_config_static_selectorELNS0_4arch9wavefront6targetE1EEEvT1_,comdat
	.protected	_ZN7rocprim17ROCPRIM_400000_NS6detail17trampoline_kernelINS0_14default_configENS1_20scan_config_selectorIxEEZZNS1_9scan_implILNS1_25lookback_scan_determinismE0ELb0ELb0ES3_N6thrust23THRUST_200600_302600_NS6detail15normal_iteratorINS9_10device_ptrIxEEEESE_xNS9_4plusIxEExEEDaPvRmT3_T4_T5_mT6_P12ihipStream_tbENKUlT_T0_E_clISt17integral_constantIbLb1EEST_IbLb0EEEEDaSP_SQ_EUlSP_E_NS1_11comp_targetILNS1_3genE9ELNS1_11target_archE1100ELNS1_3gpuE3ELNS1_3repE0EEENS1_30default_config_static_selectorELNS0_4arch9wavefront6targetE1EEEvT1_ ; -- Begin function _ZN7rocprim17ROCPRIM_400000_NS6detail17trampoline_kernelINS0_14default_configENS1_20scan_config_selectorIxEEZZNS1_9scan_implILNS1_25lookback_scan_determinismE0ELb0ELb0ES3_N6thrust23THRUST_200600_302600_NS6detail15normal_iteratorINS9_10device_ptrIxEEEESE_xNS9_4plusIxEExEEDaPvRmT3_T4_T5_mT6_P12ihipStream_tbENKUlT_T0_E_clISt17integral_constantIbLb1EEST_IbLb0EEEEDaSP_SQ_EUlSP_E_NS1_11comp_targetILNS1_3genE9ELNS1_11target_archE1100ELNS1_3gpuE3ELNS1_3repE0EEENS1_30default_config_static_selectorELNS0_4arch9wavefront6targetE1EEEvT1_
	.globl	_ZN7rocprim17ROCPRIM_400000_NS6detail17trampoline_kernelINS0_14default_configENS1_20scan_config_selectorIxEEZZNS1_9scan_implILNS1_25lookback_scan_determinismE0ELb0ELb0ES3_N6thrust23THRUST_200600_302600_NS6detail15normal_iteratorINS9_10device_ptrIxEEEESE_xNS9_4plusIxEExEEDaPvRmT3_T4_T5_mT6_P12ihipStream_tbENKUlT_T0_E_clISt17integral_constantIbLb1EEST_IbLb0EEEEDaSP_SQ_EUlSP_E_NS1_11comp_targetILNS1_3genE9ELNS1_11target_archE1100ELNS1_3gpuE3ELNS1_3repE0EEENS1_30default_config_static_selectorELNS0_4arch9wavefront6targetE1EEEvT1_
	.p2align	8
	.type	_ZN7rocprim17ROCPRIM_400000_NS6detail17trampoline_kernelINS0_14default_configENS1_20scan_config_selectorIxEEZZNS1_9scan_implILNS1_25lookback_scan_determinismE0ELb0ELb0ES3_N6thrust23THRUST_200600_302600_NS6detail15normal_iteratorINS9_10device_ptrIxEEEESE_xNS9_4plusIxEExEEDaPvRmT3_T4_T5_mT6_P12ihipStream_tbENKUlT_T0_E_clISt17integral_constantIbLb1EEST_IbLb0EEEEDaSP_SQ_EUlSP_E_NS1_11comp_targetILNS1_3genE9ELNS1_11target_archE1100ELNS1_3gpuE3ELNS1_3repE0EEENS1_30default_config_static_selectorELNS0_4arch9wavefront6targetE1EEEvT1_,@function
_ZN7rocprim17ROCPRIM_400000_NS6detail17trampoline_kernelINS0_14default_configENS1_20scan_config_selectorIxEEZZNS1_9scan_implILNS1_25lookback_scan_determinismE0ELb0ELb0ES3_N6thrust23THRUST_200600_302600_NS6detail15normal_iteratorINS9_10device_ptrIxEEEESE_xNS9_4plusIxEExEEDaPvRmT3_T4_T5_mT6_P12ihipStream_tbENKUlT_T0_E_clISt17integral_constantIbLb1EEST_IbLb0EEEEDaSP_SQ_EUlSP_E_NS1_11comp_targetILNS1_3genE9ELNS1_11target_archE1100ELNS1_3gpuE3ELNS1_3repE0EEENS1_30default_config_static_selectorELNS0_4arch9wavefront6targetE1EEEvT1_: ; @_ZN7rocprim17ROCPRIM_400000_NS6detail17trampoline_kernelINS0_14default_configENS1_20scan_config_selectorIxEEZZNS1_9scan_implILNS1_25lookback_scan_determinismE0ELb0ELb0ES3_N6thrust23THRUST_200600_302600_NS6detail15normal_iteratorINS9_10device_ptrIxEEEESE_xNS9_4plusIxEExEEDaPvRmT3_T4_T5_mT6_P12ihipStream_tbENKUlT_T0_E_clISt17integral_constantIbLb1EEST_IbLb0EEEEDaSP_SQ_EUlSP_E_NS1_11comp_targetILNS1_3genE9ELNS1_11target_archE1100ELNS1_3gpuE3ELNS1_3repE0EEENS1_30default_config_static_selectorELNS0_4arch9wavefront6targetE1EEEvT1_
; %bb.0:
	.section	.rodata,"a",@progbits
	.p2align	6, 0x0
	.amdhsa_kernel _ZN7rocprim17ROCPRIM_400000_NS6detail17trampoline_kernelINS0_14default_configENS1_20scan_config_selectorIxEEZZNS1_9scan_implILNS1_25lookback_scan_determinismE0ELb0ELb0ES3_N6thrust23THRUST_200600_302600_NS6detail15normal_iteratorINS9_10device_ptrIxEEEESE_xNS9_4plusIxEExEEDaPvRmT3_T4_T5_mT6_P12ihipStream_tbENKUlT_T0_E_clISt17integral_constantIbLb1EEST_IbLb0EEEEDaSP_SQ_EUlSP_E_NS1_11comp_targetILNS1_3genE9ELNS1_11target_archE1100ELNS1_3gpuE3ELNS1_3repE0EEENS1_30default_config_static_selectorELNS0_4arch9wavefront6targetE1EEEvT1_
		.amdhsa_group_segment_fixed_size 0
		.amdhsa_private_segment_fixed_size 0
		.amdhsa_kernarg_size 104
		.amdhsa_user_sgpr_count 6
		.amdhsa_user_sgpr_private_segment_buffer 1
		.amdhsa_user_sgpr_dispatch_ptr 0
		.amdhsa_user_sgpr_queue_ptr 0
		.amdhsa_user_sgpr_kernarg_segment_ptr 1
		.amdhsa_user_sgpr_dispatch_id 0
		.amdhsa_user_sgpr_flat_scratch_init 0
		.amdhsa_user_sgpr_kernarg_preload_length 0
		.amdhsa_user_sgpr_kernarg_preload_offset 0
		.amdhsa_user_sgpr_private_segment_size 0
		.amdhsa_uses_dynamic_stack 0
		.amdhsa_system_sgpr_private_segment_wavefront_offset 0
		.amdhsa_system_sgpr_workgroup_id_x 1
		.amdhsa_system_sgpr_workgroup_id_y 0
		.amdhsa_system_sgpr_workgroup_id_z 0
		.amdhsa_system_sgpr_workgroup_info 0
		.amdhsa_system_vgpr_workitem_id 0
		.amdhsa_next_free_vgpr 1
		.amdhsa_next_free_sgpr 0
		.amdhsa_accum_offset 4
		.amdhsa_reserve_vcc 0
		.amdhsa_reserve_flat_scratch 0
		.amdhsa_float_round_mode_32 0
		.amdhsa_float_round_mode_16_64 0
		.amdhsa_float_denorm_mode_32 3
		.amdhsa_float_denorm_mode_16_64 3
		.amdhsa_dx10_clamp 1
		.amdhsa_ieee_mode 1
		.amdhsa_fp16_overflow 0
		.amdhsa_tg_split 0
		.amdhsa_exception_fp_ieee_invalid_op 0
		.amdhsa_exception_fp_denorm_src 0
		.amdhsa_exception_fp_ieee_div_zero 0
		.amdhsa_exception_fp_ieee_overflow 0
		.amdhsa_exception_fp_ieee_underflow 0
		.amdhsa_exception_fp_ieee_inexact 0
		.amdhsa_exception_int_div_zero 0
	.end_amdhsa_kernel
	.section	.text._ZN7rocprim17ROCPRIM_400000_NS6detail17trampoline_kernelINS0_14default_configENS1_20scan_config_selectorIxEEZZNS1_9scan_implILNS1_25lookback_scan_determinismE0ELb0ELb0ES3_N6thrust23THRUST_200600_302600_NS6detail15normal_iteratorINS9_10device_ptrIxEEEESE_xNS9_4plusIxEExEEDaPvRmT3_T4_T5_mT6_P12ihipStream_tbENKUlT_T0_E_clISt17integral_constantIbLb1EEST_IbLb0EEEEDaSP_SQ_EUlSP_E_NS1_11comp_targetILNS1_3genE9ELNS1_11target_archE1100ELNS1_3gpuE3ELNS1_3repE0EEENS1_30default_config_static_selectorELNS0_4arch9wavefront6targetE1EEEvT1_,"axG",@progbits,_ZN7rocprim17ROCPRIM_400000_NS6detail17trampoline_kernelINS0_14default_configENS1_20scan_config_selectorIxEEZZNS1_9scan_implILNS1_25lookback_scan_determinismE0ELb0ELb0ES3_N6thrust23THRUST_200600_302600_NS6detail15normal_iteratorINS9_10device_ptrIxEEEESE_xNS9_4plusIxEExEEDaPvRmT3_T4_T5_mT6_P12ihipStream_tbENKUlT_T0_E_clISt17integral_constantIbLb1EEST_IbLb0EEEEDaSP_SQ_EUlSP_E_NS1_11comp_targetILNS1_3genE9ELNS1_11target_archE1100ELNS1_3gpuE3ELNS1_3repE0EEENS1_30default_config_static_selectorELNS0_4arch9wavefront6targetE1EEEvT1_,comdat
.Lfunc_end241:
	.size	_ZN7rocprim17ROCPRIM_400000_NS6detail17trampoline_kernelINS0_14default_configENS1_20scan_config_selectorIxEEZZNS1_9scan_implILNS1_25lookback_scan_determinismE0ELb0ELb0ES3_N6thrust23THRUST_200600_302600_NS6detail15normal_iteratorINS9_10device_ptrIxEEEESE_xNS9_4plusIxEExEEDaPvRmT3_T4_T5_mT6_P12ihipStream_tbENKUlT_T0_E_clISt17integral_constantIbLb1EEST_IbLb0EEEEDaSP_SQ_EUlSP_E_NS1_11comp_targetILNS1_3genE9ELNS1_11target_archE1100ELNS1_3gpuE3ELNS1_3repE0EEENS1_30default_config_static_selectorELNS0_4arch9wavefront6targetE1EEEvT1_, .Lfunc_end241-_ZN7rocprim17ROCPRIM_400000_NS6detail17trampoline_kernelINS0_14default_configENS1_20scan_config_selectorIxEEZZNS1_9scan_implILNS1_25lookback_scan_determinismE0ELb0ELb0ES3_N6thrust23THRUST_200600_302600_NS6detail15normal_iteratorINS9_10device_ptrIxEEEESE_xNS9_4plusIxEExEEDaPvRmT3_T4_T5_mT6_P12ihipStream_tbENKUlT_T0_E_clISt17integral_constantIbLb1EEST_IbLb0EEEEDaSP_SQ_EUlSP_E_NS1_11comp_targetILNS1_3genE9ELNS1_11target_archE1100ELNS1_3gpuE3ELNS1_3repE0EEENS1_30default_config_static_selectorELNS0_4arch9wavefront6targetE1EEEvT1_
                                        ; -- End function
	.section	.AMDGPU.csdata,"",@progbits
; Kernel info:
; codeLenInByte = 0
; NumSgprs: 4
; NumVgprs: 0
; NumAgprs: 0
; TotalNumVgprs: 0
; ScratchSize: 0
; MemoryBound: 0
; FloatMode: 240
; IeeeMode: 1
; LDSByteSize: 0 bytes/workgroup (compile time only)
; SGPRBlocks: 0
; VGPRBlocks: 0
; NumSGPRsForWavesPerEU: 4
; NumVGPRsForWavesPerEU: 1
; AccumOffset: 4
; Occupancy: 8
; WaveLimiterHint : 0
; COMPUTE_PGM_RSRC2:SCRATCH_EN: 0
; COMPUTE_PGM_RSRC2:USER_SGPR: 6
; COMPUTE_PGM_RSRC2:TRAP_HANDLER: 0
; COMPUTE_PGM_RSRC2:TGID_X_EN: 1
; COMPUTE_PGM_RSRC2:TGID_Y_EN: 0
; COMPUTE_PGM_RSRC2:TGID_Z_EN: 0
; COMPUTE_PGM_RSRC2:TIDIG_COMP_CNT: 0
; COMPUTE_PGM_RSRC3_GFX90A:ACCUM_OFFSET: 0
; COMPUTE_PGM_RSRC3_GFX90A:TG_SPLIT: 0
	.section	.text._ZN7rocprim17ROCPRIM_400000_NS6detail17trampoline_kernelINS0_14default_configENS1_20scan_config_selectorIxEEZZNS1_9scan_implILNS1_25lookback_scan_determinismE0ELb0ELb0ES3_N6thrust23THRUST_200600_302600_NS6detail15normal_iteratorINS9_10device_ptrIxEEEESE_xNS9_4plusIxEExEEDaPvRmT3_T4_T5_mT6_P12ihipStream_tbENKUlT_T0_E_clISt17integral_constantIbLb1EEST_IbLb0EEEEDaSP_SQ_EUlSP_E_NS1_11comp_targetILNS1_3genE8ELNS1_11target_archE1030ELNS1_3gpuE2ELNS1_3repE0EEENS1_30default_config_static_selectorELNS0_4arch9wavefront6targetE1EEEvT1_,"axG",@progbits,_ZN7rocprim17ROCPRIM_400000_NS6detail17trampoline_kernelINS0_14default_configENS1_20scan_config_selectorIxEEZZNS1_9scan_implILNS1_25lookback_scan_determinismE0ELb0ELb0ES3_N6thrust23THRUST_200600_302600_NS6detail15normal_iteratorINS9_10device_ptrIxEEEESE_xNS9_4plusIxEExEEDaPvRmT3_T4_T5_mT6_P12ihipStream_tbENKUlT_T0_E_clISt17integral_constantIbLb1EEST_IbLb0EEEEDaSP_SQ_EUlSP_E_NS1_11comp_targetILNS1_3genE8ELNS1_11target_archE1030ELNS1_3gpuE2ELNS1_3repE0EEENS1_30default_config_static_selectorELNS0_4arch9wavefront6targetE1EEEvT1_,comdat
	.protected	_ZN7rocprim17ROCPRIM_400000_NS6detail17trampoline_kernelINS0_14default_configENS1_20scan_config_selectorIxEEZZNS1_9scan_implILNS1_25lookback_scan_determinismE0ELb0ELb0ES3_N6thrust23THRUST_200600_302600_NS6detail15normal_iteratorINS9_10device_ptrIxEEEESE_xNS9_4plusIxEExEEDaPvRmT3_T4_T5_mT6_P12ihipStream_tbENKUlT_T0_E_clISt17integral_constantIbLb1EEST_IbLb0EEEEDaSP_SQ_EUlSP_E_NS1_11comp_targetILNS1_3genE8ELNS1_11target_archE1030ELNS1_3gpuE2ELNS1_3repE0EEENS1_30default_config_static_selectorELNS0_4arch9wavefront6targetE1EEEvT1_ ; -- Begin function _ZN7rocprim17ROCPRIM_400000_NS6detail17trampoline_kernelINS0_14default_configENS1_20scan_config_selectorIxEEZZNS1_9scan_implILNS1_25lookback_scan_determinismE0ELb0ELb0ES3_N6thrust23THRUST_200600_302600_NS6detail15normal_iteratorINS9_10device_ptrIxEEEESE_xNS9_4plusIxEExEEDaPvRmT3_T4_T5_mT6_P12ihipStream_tbENKUlT_T0_E_clISt17integral_constantIbLb1EEST_IbLb0EEEEDaSP_SQ_EUlSP_E_NS1_11comp_targetILNS1_3genE8ELNS1_11target_archE1030ELNS1_3gpuE2ELNS1_3repE0EEENS1_30default_config_static_selectorELNS0_4arch9wavefront6targetE1EEEvT1_
	.globl	_ZN7rocprim17ROCPRIM_400000_NS6detail17trampoline_kernelINS0_14default_configENS1_20scan_config_selectorIxEEZZNS1_9scan_implILNS1_25lookback_scan_determinismE0ELb0ELb0ES3_N6thrust23THRUST_200600_302600_NS6detail15normal_iteratorINS9_10device_ptrIxEEEESE_xNS9_4plusIxEExEEDaPvRmT3_T4_T5_mT6_P12ihipStream_tbENKUlT_T0_E_clISt17integral_constantIbLb1EEST_IbLb0EEEEDaSP_SQ_EUlSP_E_NS1_11comp_targetILNS1_3genE8ELNS1_11target_archE1030ELNS1_3gpuE2ELNS1_3repE0EEENS1_30default_config_static_selectorELNS0_4arch9wavefront6targetE1EEEvT1_
	.p2align	8
	.type	_ZN7rocprim17ROCPRIM_400000_NS6detail17trampoline_kernelINS0_14default_configENS1_20scan_config_selectorIxEEZZNS1_9scan_implILNS1_25lookback_scan_determinismE0ELb0ELb0ES3_N6thrust23THRUST_200600_302600_NS6detail15normal_iteratorINS9_10device_ptrIxEEEESE_xNS9_4plusIxEExEEDaPvRmT3_T4_T5_mT6_P12ihipStream_tbENKUlT_T0_E_clISt17integral_constantIbLb1EEST_IbLb0EEEEDaSP_SQ_EUlSP_E_NS1_11comp_targetILNS1_3genE8ELNS1_11target_archE1030ELNS1_3gpuE2ELNS1_3repE0EEENS1_30default_config_static_selectorELNS0_4arch9wavefront6targetE1EEEvT1_,@function
_ZN7rocprim17ROCPRIM_400000_NS6detail17trampoline_kernelINS0_14default_configENS1_20scan_config_selectorIxEEZZNS1_9scan_implILNS1_25lookback_scan_determinismE0ELb0ELb0ES3_N6thrust23THRUST_200600_302600_NS6detail15normal_iteratorINS9_10device_ptrIxEEEESE_xNS9_4plusIxEExEEDaPvRmT3_T4_T5_mT6_P12ihipStream_tbENKUlT_T0_E_clISt17integral_constantIbLb1EEST_IbLb0EEEEDaSP_SQ_EUlSP_E_NS1_11comp_targetILNS1_3genE8ELNS1_11target_archE1030ELNS1_3gpuE2ELNS1_3repE0EEENS1_30default_config_static_selectorELNS0_4arch9wavefront6targetE1EEEvT1_: ; @_ZN7rocprim17ROCPRIM_400000_NS6detail17trampoline_kernelINS0_14default_configENS1_20scan_config_selectorIxEEZZNS1_9scan_implILNS1_25lookback_scan_determinismE0ELb0ELb0ES3_N6thrust23THRUST_200600_302600_NS6detail15normal_iteratorINS9_10device_ptrIxEEEESE_xNS9_4plusIxEExEEDaPvRmT3_T4_T5_mT6_P12ihipStream_tbENKUlT_T0_E_clISt17integral_constantIbLb1EEST_IbLb0EEEEDaSP_SQ_EUlSP_E_NS1_11comp_targetILNS1_3genE8ELNS1_11target_archE1030ELNS1_3gpuE2ELNS1_3repE0EEENS1_30default_config_static_selectorELNS0_4arch9wavefront6targetE1EEEvT1_
; %bb.0:
	.section	.rodata,"a",@progbits
	.p2align	6, 0x0
	.amdhsa_kernel _ZN7rocprim17ROCPRIM_400000_NS6detail17trampoline_kernelINS0_14default_configENS1_20scan_config_selectorIxEEZZNS1_9scan_implILNS1_25lookback_scan_determinismE0ELb0ELb0ES3_N6thrust23THRUST_200600_302600_NS6detail15normal_iteratorINS9_10device_ptrIxEEEESE_xNS9_4plusIxEExEEDaPvRmT3_T4_T5_mT6_P12ihipStream_tbENKUlT_T0_E_clISt17integral_constantIbLb1EEST_IbLb0EEEEDaSP_SQ_EUlSP_E_NS1_11comp_targetILNS1_3genE8ELNS1_11target_archE1030ELNS1_3gpuE2ELNS1_3repE0EEENS1_30default_config_static_selectorELNS0_4arch9wavefront6targetE1EEEvT1_
		.amdhsa_group_segment_fixed_size 0
		.amdhsa_private_segment_fixed_size 0
		.amdhsa_kernarg_size 104
		.amdhsa_user_sgpr_count 6
		.amdhsa_user_sgpr_private_segment_buffer 1
		.amdhsa_user_sgpr_dispatch_ptr 0
		.amdhsa_user_sgpr_queue_ptr 0
		.amdhsa_user_sgpr_kernarg_segment_ptr 1
		.amdhsa_user_sgpr_dispatch_id 0
		.amdhsa_user_sgpr_flat_scratch_init 0
		.amdhsa_user_sgpr_kernarg_preload_length 0
		.amdhsa_user_sgpr_kernarg_preload_offset 0
		.amdhsa_user_sgpr_private_segment_size 0
		.amdhsa_uses_dynamic_stack 0
		.amdhsa_system_sgpr_private_segment_wavefront_offset 0
		.amdhsa_system_sgpr_workgroup_id_x 1
		.amdhsa_system_sgpr_workgroup_id_y 0
		.amdhsa_system_sgpr_workgroup_id_z 0
		.amdhsa_system_sgpr_workgroup_info 0
		.amdhsa_system_vgpr_workitem_id 0
		.amdhsa_next_free_vgpr 1
		.amdhsa_next_free_sgpr 0
		.amdhsa_accum_offset 4
		.amdhsa_reserve_vcc 0
		.amdhsa_reserve_flat_scratch 0
		.amdhsa_float_round_mode_32 0
		.amdhsa_float_round_mode_16_64 0
		.amdhsa_float_denorm_mode_32 3
		.amdhsa_float_denorm_mode_16_64 3
		.amdhsa_dx10_clamp 1
		.amdhsa_ieee_mode 1
		.amdhsa_fp16_overflow 0
		.amdhsa_tg_split 0
		.amdhsa_exception_fp_ieee_invalid_op 0
		.amdhsa_exception_fp_denorm_src 0
		.amdhsa_exception_fp_ieee_div_zero 0
		.amdhsa_exception_fp_ieee_overflow 0
		.amdhsa_exception_fp_ieee_underflow 0
		.amdhsa_exception_fp_ieee_inexact 0
		.amdhsa_exception_int_div_zero 0
	.end_amdhsa_kernel
	.section	.text._ZN7rocprim17ROCPRIM_400000_NS6detail17trampoline_kernelINS0_14default_configENS1_20scan_config_selectorIxEEZZNS1_9scan_implILNS1_25lookback_scan_determinismE0ELb0ELb0ES3_N6thrust23THRUST_200600_302600_NS6detail15normal_iteratorINS9_10device_ptrIxEEEESE_xNS9_4plusIxEExEEDaPvRmT3_T4_T5_mT6_P12ihipStream_tbENKUlT_T0_E_clISt17integral_constantIbLb1EEST_IbLb0EEEEDaSP_SQ_EUlSP_E_NS1_11comp_targetILNS1_3genE8ELNS1_11target_archE1030ELNS1_3gpuE2ELNS1_3repE0EEENS1_30default_config_static_selectorELNS0_4arch9wavefront6targetE1EEEvT1_,"axG",@progbits,_ZN7rocprim17ROCPRIM_400000_NS6detail17trampoline_kernelINS0_14default_configENS1_20scan_config_selectorIxEEZZNS1_9scan_implILNS1_25lookback_scan_determinismE0ELb0ELb0ES3_N6thrust23THRUST_200600_302600_NS6detail15normal_iteratorINS9_10device_ptrIxEEEESE_xNS9_4plusIxEExEEDaPvRmT3_T4_T5_mT6_P12ihipStream_tbENKUlT_T0_E_clISt17integral_constantIbLb1EEST_IbLb0EEEEDaSP_SQ_EUlSP_E_NS1_11comp_targetILNS1_3genE8ELNS1_11target_archE1030ELNS1_3gpuE2ELNS1_3repE0EEENS1_30default_config_static_selectorELNS0_4arch9wavefront6targetE1EEEvT1_,comdat
.Lfunc_end242:
	.size	_ZN7rocprim17ROCPRIM_400000_NS6detail17trampoline_kernelINS0_14default_configENS1_20scan_config_selectorIxEEZZNS1_9scan_implILNS1_25lookback_scan_determinismE0ELb0ELb0ES3_N6thrust23THRUST_200600_302600_NS6detail15normal_iteratorINS9_10device_ptrIxEEEESE_xNS9_4plusIxEExEEDaPvRmT3_T4_T5_mT6_P12ihipStream_tbENKUlT_T0_E_clISt17integral_constantIbLb1EEST_IbLb0EEEEDaSP_SQ_EUlSP_E_NS1_11comp_targetILNS1_3genE8ELNS1_11target_archE1030ELNS1_3gpuE2ELNS1_3repE0EEENS1_30default_config_static_selectorELNS0_4arch9wavefront6targetE1EEEvT1_, .Lfunc_end242-_ZN7rocprim17ROCPRIM_400000_NS6detail17trampoline_kernelINS0_14default_configENS1_20scan_config_selectorIxEEZZNS1_9scan_implILNS1_25lookback_scan_determinismE0ELb0ELb0ES3_N6thrust23THRUST_200600_302600_NS6detail15normal_iteratorINS9_10device_ptrIxEEEESE_xNS9_4plusIxEExEEDaPvRmT3_T4_T5_mT6_P12ihipStream_tbENKUlT_T0_E_clISt17integral_constantIbLb1EEST_IbLb0EEEEDaSP_SQ_EUlSP_E_NS1_11comp_targetILNS1_3genE8ELNS1_11target_archE1030ELNS1_3gpuE2ELNS1_3repE0EEENS1_30default_config_static_selectorELNS0_4arch9wavefront6targetE1EEEvT1_
                                        ; -- End function
	.section	.AMDGPU.csdata,"",@progbits
; Kernel info:
; codeLenInByte = 0
; NumSgprs: 4
; NumVgprs: 0
; NumAgprs: 0
; TotalNumVgprs: 0
; ScratchSize: 0
; MemoryBound: 0
; FloatMode: 240
; IeeeMode: 1
; LDSByteSize: 0 bytes/workgroup (compile time only)
; SGPRBlocks: 0
; VGPRBlocks: 0
; NumSGPRsForWavesPerEU: 4
; NumVGPRsForWavesPerEU: 1
; AccumOffset: 4
; Occupancy: 8
; WaveLimiterHint : 0
; COMPUTE_PGM_RSRC2:SCRATCH_EN: 0
; COMPUTE_PGM_RSRC2:USER_SGPR: 6
; COMPUTE_PGM_RSRC2:TRAP_HANDLER: 0
; COMPUTE_PGM_RSRC2:TGID_X_EN: 1
; COMPUTE_PGM_RSRC2:TGID_Y_EN: 0
; COMPUTE_PGM_RSRC2:TGID_Z_EN: 0
; COMPUTE_PGM_RSRC2:TIDIG_COMP_CNT: 0
; COMPUTE_PGM_RSRC3_GFX90A:ACCUM_OFFSET: 0
; COMPUTE_PGM_RSRC3_GFX90A:TG_SPLIT: 0
	.section	.text._ZN7rocprim17ROCPRIM_400000_NS6detail17trampoline_kernelINS0_14default_configENS1_20scan_config_selectorIxEEZZNS1_9scan_implILNS1_25lookback_scan_determinismE0ELb0ELb0ES3_N6thrust23THRUST_200600_302600_NS6detail15normal_iteratorINS9_10device_ptrIxEEEESE_xNS9_4plusIxEExEEDaPvRmT3_T4_T5_mT6_P12ihipStream_tbENKUlT_T0_E_clISt17integral_constantIbLb1EEST_IbLb0EEEEDaSP_SQ_EUlSP_E0_NS1_11comp_targetILNS1_3genE0ELNS1_11target_archE4294967295ELNS1_3gpuE0ELNS1_3repE0EEENS1_30default_config_static_selectorELNS0_4arch9wavefront6targetE1EEEvT1_,"axG",@progbits,_ZN7rocprim17ROCPRIM_400000_NS6detail17trampoline_kernelINS0_14default_configENS1_20scan_config_selectorIxEEZZNS1_9scan_implILNS1_25lookback_scan_determinismE0ELb0ELb0ES3_N6thrust23THRUST_200600_302600_NS6detail15normal_iteratorINS9_10device_ptrIxEEEESE_xNS9_4plusIxEExEEDaPvRmT3_T4_T5_mT6_P12ihipStream_tbENKUlT_T0_E_clISt17integral_constantIbLb1EEST_IbLb0EEEEDaSP_SQ_EUlSP_E0_NS1_11comp_targetILNS1_3genE0ELNS1_11target_archE4294967295ELNS1_3gpuE0ELNS1_3repE0EEENS1_30default_config_static_selectorELNS0_4arch9wavefront6targetE1EEEvT1_,comdat
	.protected	_ZN7rocprim17ROCPRIM_400000_NS6detail17trampoline_kernelINS0_14default_configENS1_20scan_config_selectorIxEEZZNS1_9scan_implILNS1_25lookback_scan_determinismE0ELb0ELb0ES3_N6thrust23THRUST_200600_302600_NS6detail15normal_iteratorINS9_10device_ptrIxEEEESE_xNS9_4plusIxEExEEDaPvRmT3_T4_T5_mT6_P12ihipStream_tbENKUlT_T0_E_clISt17integral_constantIbLb1EEST_IbLb0EEEEDaSP_SQ_EUlSP_E0_NS1_11comp_targetILNS1_3genE0ELNS1_11target_archE4294967295ELNS1_3gpuE0ELNS1_3repE0EEENS1_30default_config_static_selectorELNS0_4arch9wavefront6targetE1EEEvT1_ ; -- Begin function _ZN7rocprim17ROCPRIM_400000_NS6detail17trampoline_kernelINS0_14default_configENS1_20scan_config_selectorIxEEZZNS1_9scan_implILNS1_25lookback_scan_determinismE0ELb0ELb0ES3_N6thrust23THRUST_200600_302600_NS6detail15normal_iteratorINS9_10device_ptrIxEEEESE_xNS9_4plusIxEExEEDaPvRmT3_T4_T5_mT6_P12ihipStream_tbENKUlT_T0_E_clISt17integral_constantIbLb1EEST_IbLb0EEEEDaSP_SQ_EUlSP_E0_NS1_11comp_targetILNS1_3genE0ELNS1_11target_archE4294967295ELNS1_3gpuE0ELNS1_3repE0EEENS1_30default_config_static_selectorELNS0_4arch9wavefront6targetE1EEEvT1_
	.globl	_ZN7rocprim17ROCPRIM_400000_NS6detail17trampoline_kernelINS0_14default_configENS1_20scan_config_selectorIxEEZZNS1_9scan_implILNS1_25lookback_scan_determinismE0ELb0ELb0ES3_N6thrust23THRUST_200600_302600_NS6detail15normal_iteratorINS9_10device_ptrIxEEEESE_xNS9_4plusIxEExEEDaPvRmT3_T4_T5_mT6_P12ihipStream_tbENKUlT_T0_E_clISt17integral_constantIbLb1EEST_IbLb0EEEEDaSP_SQ_EUlSP_E0_NS1_11comp_targetILNS1_3genE0ELNS1_11target_archE4294967295ELNS1_3gpuE0ELNS1_3repE0EEENS1_30default_config_static_selectorELNS0_4arch9wavefront6targetE1EEEvT1_
	.p2align	8
	.type	_ZN7rocprim17ROCPRIM_400000_NS6detail17trampoline_kernelINS0_14default_configENS1_20scan_config_selectorIxEEZZNS1_9scan_implILNS1_25lookback_scan_determinismE0ELb0ELb0ES3_N6thrust23THRUST_200600_302600_NS6detail15normal_iteratorINS9_10device_ptrIxEEEESE_xNS9_4plusIxEExEEDaPvRmT3_T4_T5_mT6_P12ihipStream_tbENKUlT_T0_E_clISt17integral_constantIbLb1EEST_IbLb0EEEEDaSP_SQ_EUlSP_E0_NS1_11comp_targetILNS1_3genE0ELNS1_11target_archE4294967295ELNS1_3gpuE0ELNS1_3repE0EEENS1_30default_config_static_selectorELNS0_4arch9wavefront6targetE1EEEvT1_,@function
_ZN7rocprim17ROCPRIM_400000_NS6detail17trampoline_kernelINS0_14default_configENS1_20scan_config_selectorIxEEZZNS1_9scan_implILNS1_25lookback_scan_determinismE0ELb0ELb0ES3_N6thrust23THRUST_200600_302600_NS6detail15normal_iteratorINS9_10device_ptrIxEEEESE_xNS9_4plusIxEExEEDaPvRmT3_T4_T5_mT6_P12ihipStream_tbENKUlT_T0_E_clISt17integral_constantIbLb1EEST_IbLb0EEEEDaSP_SQ_EUlSP_E0_NS1_11comp_targetILNS1_3genE0ELNS1_11target_archE4294967295ELNS1_3gpuE0ELNS1_3repE0EEENS1_30default_config_static_selectorELNS0_4arch9wavefront6targetE1EEEvT1_: ; @_ZN7rocprim17ROCPRIM_400000_NS6detail17trampoline_kernelINS0_14default_configENS1_20scan_config_selectorIxEEZZNS1_9scan_implILNS1_25lookback_scan_determinismE0ELb0ELb0ES3_N6thrust23THRUST_200600_302600_NS6detail15normal_iteratorINS9_10device_ptrIxEEEESE_xNS9_4plusIxEExEEDaPvRmT3_T4_T5_mT6_P12ihipStream_tbENKUlT_T0_E_clISt17integral_constantIbLb1EEST_IbLb0EEEEDaSP_SQ_EUlSP_E0_NS1_11comp_targetILNS1_3genE0ELNS1_11target_archE4294967295ELNS1_3gpuE0ELNS1_3repE0EEENS1_30default_config_static_selectorELNS0_4arch9wavefront6targetE1EEEvT1_
; %bb.0:
	.section	.rodata,"a",@progbits
	.p2align	6, 0x0
	.amdhsa_kernel _ZN7rocprim17ROCPRIM_400000_NS6detail17trampoline_kernelINS0_14default_configENS1_20scan_config_selectorIxEEZZNS1_9scan_implILNS1_25lookback_scan_determinismE0ELb0ELb0ES3_N6thrust23THRUST_200600_302600_NS6detail15normal_iteratorINS9_10device_ptrIxEEEESE_xNS9_4plusIxEExEEDaPvRmT3_T4_T5_mT6_P12ihipStream_tbENKUlT_T0_E_clISt17integral_constantIbLb1EEST_IbLb0EEEEDaSP_SQ_EUlSP_E0_NS1_11comp_targetILNS1_3genE0ELNS1_11target_archE4294967295ELNS1_3gpuE0ELNS1_3repE0EEENS1_30default_config_static_selectorELNS0_4arch9wavefront6targetE1EEEvT1_
		.amdhsa_group_segment_fixed_size 0
		.amdhsa_private_segment_fixed_size 0
		.amdhsa_kernarg_size 40
		.amdhsa_user_sgpr_count 6
		.amdhsa_user_sgpr_private_segment_buffer 1
		.amdhsa_user_sgpr_dispatch_ptr 0
		.amdhsa_user_sgpr_queue_ptr 0
		.amdhsa_user_sgpr_kernarg_segment_ptr 1
		.amdhsa_user_sgpr_dispatch_id 0
		.amdhsa_user_sgpr_flat_scratch_init 0
		.amdhsa_user_sgpr_kernarg_preload_length 0
		.amdhsa_user_sgpr_kernarg_preload_offset 0
		.amdhsa_user_sgpr_private_segment_size 0
		.amdhsa_uses_dynamic_stack 0
		.amdhsa_system_sgpr_private_segment_wavefront_offset 0
		.amdhsa_system_sgpr_workgroup_id_x 1
		.amdhsa_system_sgpr_workgroup_id_y 0
		.amdhsa_system_sgpr_workgroup_id_z 0
		.amdhsa_system_sgpr_workgroup_info 0
		.amdhsa_system_vgpr_workitem_id 0
		.amdhsa_next_free_vgpr 1
		.amdhsa_next_free_sgpr 0
		.amdhsa_accum_offset 4
		.amdhsa_reserve_vcc 0
		.amdhsa_reserve_flat_scratch 0
		.amdhsa_float_round_mode_32 0
		.amdhsa_float_round_mode_16_64 0
		.amdhsa_float_denorm_mode_32 3
		.amdhsa_float_denorm_mode_16_64 3
		.amdhsa_dx10_clamp 1
		.amdhsa_ieee_mode 1
		.amdhsa_fp16_overflow 0
		.amdhsa_tg_split 0
		.amdhsa_exception_fp_ieee_invalid_op 0
		.amdhsa_exception_fp_denorm_src 0
		.amdhsa_exception_fp_ieee_div_zero 0
		.amdhsa_exception_fp_ieee_overflow 0
		.amdhsa_exception_fp_ieee_underflow 0
		.amdhsa_exception_fp_ieee_inexact 0
		.amdhsa_exception_int_div_zero 0
	.end_amdhsa_kernel
	.section	.text._ZN7rocprim17ROCPRIM_400000_NS6detail17trampoline_kernelINS0_14default_configENS1_20scan_config_selectorIxEEZZNS1_9scan_implILNS1_25lookback_scan_determinismE0ELb0ELb0ES3_N6thrust23THRUST_200600_302600_NS6detail15normal_iteratorINS9_10device_ptrIxEEEESE_xNS9_4plusIxEExEEDaPvRmT3_T4_T5_mT6_P12ihipStream_tbENKUlT_T0_E_clISt17integral_constantIbLb1EEST_IbLb0EEEEDaSP_SQ_EUlSP_E0_NS1_11comp_targetILNS1_3genE0ELNS1_11target_archE4294967295ELNS1_3gpuE0ELNS1_3repE0EEENS1_30default_config_static_selectorELNS0_4arch9wavefront6targetE1EEEvT1_,"axG",@progbits,_ZN7rocprim17ROCPRIM_400000_NS6detail17trampoline_kernelINS0_14default_configENS1_20scan_config_selectorIxEEZZNS1_9scan_implILNS1_25lookback_scan_determinismE0ELb0ELb0ES3_N6thrust23THRUST_200600_302600_NS6detail15normal_iteratorINS9_10device_ptrIxEEEESE_xNS9_4plusIxEExEEDaPvRmT3_T4_T5_mT6_P12ihipStream_tbENKUlT_T0_E_clISt17integral_constantIbLb1EEST_IbLb0EEEEDaSP_SQ_EUlSP_E0_NS1_11comp_targetILNS1_3genE0ELNS1_11target_archE4294967295ELNS1_3gpuE0ELNS1_3repE0EEENS1_30default_config_static_selectorELNS0_4arch9wavefront6targetE1EEEvT1_,comdat
.Lfunc_end243:
	.size	_ZN7rocprim17ROCPRIM_400000_NS6detail17trampoline_kernelINS0_14default_configENS1_20scan_config_selectorIxEEZZNS1_9scan_implILNS1_25lookback_scan_determinismE0ELb0ELb0ES3_N6thrust23THRUST_200600_302600_NS6detail15normal_iteratorINS9_10device_ptrIxEEEESE_xNS9_4plusIxEExEEDaPvRmT3_T4_T5_mT6_P12ihipStream_tbENKUlT_T0_E_clISt17integral_constantIbLb1EEST_IbLb0EEEEDaSP_SQ_EUlSP_E0_NS1_11comp_targetILNS1_3genE0ELNS1_11target_archE4294967295ELNS1_3gpuE0ELNS1_3repE0EEENS1_30default_config_static_selectorELNS0_4arch9wavefront6targetE1EEEvT1_, .Lfunc_end243-_ZN7rocprim17ROCPRIM_400000_NS6detail17trampoline_kernelINS0_14default_configENS1_20scan_config_selectorIxEEZZNS1_9scan_implILNS1_25lookback_scan_determinismE0ELb0ELb0ES3_N6thrust23THRUST_200600_302600_NS6detail15normal_iteratorINS9_10device_ptrIxEEEESE_xNS9_4plusIxEExEEDaPvRmT3_T4_T5_mT6_P12ihipStream_tbENKUlT_T0_E_clISt17integral_constantIbLb1EEST_IbLb0EEEEDaSP_SQ_EUlSP_E0_NS1_11comp_targetILNS1_3genE0ELNS1_11target_archE4294967295ELNS1_3gpuE0ELNS1_3repE0EEENS1_30default_config_static_selectorELNS0_4arch9wavefront6targetE1EEEvT1_
                                        ; -- End function
	.section	.AMDGPU.csdata,"",@progbits
; Kernel info:
; codeLenInByte = 0
; NumSgprs: 4
; NumVgprs: 0
; NumAgprs: 0
; TotalNumVgprs: 0
; ScratchSize: 0
; MemoryBound: 0
; FloatMode: 240
; IeeeMode: 1
; LDSByteSize: 0 bytes/workgroup (compile time only)
; SGPRBlocks: 0
; VGPRBlocks: 0
; NumSGPRsForWavesPerEU: 4
; NumVGPRsForWavesPerEU: 1
; AccumOffset: 4
; Occupancy: 8
; WaveLimiterHint : 0
; COMPUTE_PGM_RSRC2:SCRATCH_EN: 0
; COMPUTE_PGM_RSRC2:USER_SGPR: 6
; COMPUTE_PGM_RSRC2:TRAP_HANDLER: 0
; COMPUTE_PGM_RSRC2:TGID_X_EN: 1
; COMPUTE_PGM_RSRC2:TGID_Y_EN: 0
; COMPUTE_PGM_RSRC2:TGID_Z_EN: 0
; COMPUTE_PGM_RSRC2:TIDIG_COMP_CNT: 0
; COMPUTE_PGM_RSRC3_GFX90A:ACCUM_OFFSET: 0
; COMPUTE_PGM_RSRC3_GFX90A:TG_SPLIT: 0
	.section	.text._ZN7rocprim17ROCPRIM_400000_NS6detail17trampoline_kernelINS0_14default_configENS1_20scan_config_selectorIxEEZZNS1_9scan_implILNS1_25lookback_scan_determinismE0ELb0ELb0ES3_N6thrust23THRUST_200600_302600_NS6detail15normal_iteratorINS9_10device_ptrIxEEEESE_xNS9_4plusIxEExEEDaPvRmT3_T4_T5_mT6_P12ihipStream_tbENKUlT_T0_E_clISt17integral_constantIbLb1EEST_IbLb0EEEEDaSP_SQ_EUlSP_E0_NS1_11comp_targetILNS1_3genE5ELNS1_11target_archE942ELNS1_3gpuE9ELNS1_3repE0EEENS1_30default_config_static_selectorELNS0_4arch9wavefront6targetE1EEEvT1_,"axG",@progbits,_ZN7rocprim17ROCPRIM_400000_NS6detail17trampoline_kernelINS0_14default_configENS1_20scan_config_selectorIxEEZZNS1_9scan_implILNS1_25lookback_scan_determinismE0ELb0ELb0ES3_N6thrust23THRUST_200600_302600_NS6detail15normal_iteratorINS9_10device_ptrIxEEEESE_xNS9_4plusIxEExEEDaPvRmT3_T4_T5_mT6_P12ihipStream_tbENKUlT_T0_E_clISt17integral_constantIbLb1EEST_IbLb0EEEEDaSP_SQ_EUlSP_E0_NS1_11comp_targetILNS1_3genE5ELNS1_11target_archE942ELNS1_3gpuE9ELNS1_3repE0EEENS1_30default_config_static_selectorELNS0_4arch9wavefront6targetE1EEEvT1_,comdat
	.protected	_ZN7rocprim17ROCPRIM_400000_NS6detail17trampoline_kernelINS0_14default_configENS1_20scan_config_selectorIxEEZZNS1_9scan_implILNS1_25lookback_scan_determinismE0ELb0ELb0ES3_N6thrust23THRUST_200600_302600_NS6detail15normal_iteratorINS9_10device_ptrIxEEEESE_xNS9_4plusIxEExEEDaPvRmT3_T4_T5_mT6_P12ihipStream_tbENKUlT_T0_E_clISt17integral_constantIbLb1EEST_IbLb0EEEEDaSP_SQ_EUlSP_E0_NS1_11comp_targetILNS1_3genE5ELNS1_11target_archE942ELNS1_3gpuE9ELNS1_3repE0EEENS1_30default_config_static_selectorELNS0_4arch9wavefront6targetE1EEEvT1_ ; -- Begin function _ZN7rocprim17ROCPRIM_400000_NS6detail17trampoline_kernelINS0_14default_configENS1_20scan_config_selectorIxEEZZNS1_9scan_implILNS1_25lookback_scan_determinismE0ELb0ELb0ES3_N6thrust23THRUST_200600_302600_NS6detail15normal_iteratorINS9_10device_ptrIxEEEESE_xNS9_4plusIxEExEEDaPvRmT3_T4_T5_mT6_P12ihipStream_tbENKUlT_T0_E_clISt17integral_constantIbLb1EEST_IbLb0EEEEDaSP_SQ_EUlSP_E0_NS1_11comp_targetILNS1_3genE5ELNS1_11target_archE942ELNS1_3gpuE9ELNS1_3repE0EEENS1_30default_config_static_selectorELNS0_4arch9wavefront6targetE1EEEvT1_
	.globl	_ZN7rocprim17ROCPRIM_400000_NS6detail17trampoline_kernelINS0_14default_configENS1_20scan_config_selectorIxEEZZNS1_9scan_implILNS1_25lookback_scan_determinismE0ELb0ELb0ES3_N6thrust23THRUST_200600_302600_NS6detail15normal_iteratorINS9_10device_ptrIxEEEESE_xNS9_4plusIxEExEEDaPvRmT3_T4_T5_mT6_P12ihipStream_tbENKUlT_T0_E_clISt17integral_constantIbLb1EEST_IbLb0EEEEDaSP_SQ_EUlSP_E0_NS1_11comp_targetILNS1_3genE5ELNS1_11target_archE942ELNS1_3gpuE9ELNS1_3repE0EEENS1_30default_config_static_selectorELNS0_4arch9wavefront6targetE1EEEvT1_
	.p2align	8
	.type	_ZN7rocprim17ROCPRIM_400000_NS6detail17trampoline_kernelINS0_14default_configENS1_20scan_config_selectorIxEEZZNS1_9scan_implILNS1_25lookback_scan_determinismE0ELb0ELb0ES3_N6thrust23THRUST_200600_302600_NS6detail15normal_iteratorINS9_10device_ptrIxEEEESE_xNS9_4plusIxEExEEDaPvRmT3_T4_T5_mT6_P12ihipStream_tbENKUlT_T0_E_clISt17integral_constantIbLb1EEST_IbLb0EEEEDaSP_SQ_EUlSP_E0_NS1_11comp_targetILNS1_3genE5ELNS1_11target_archE942ELNS1_3gpuE9ELNS1_3repE0EEENS1_30default_config_static_selectorELNS0_4arch9wavefront6targetE1EEEvT1_,@function
_ZN7rocprim17ROCPRIM_400000_NS6detail17trampoline_kernelINS0_14default_configENS1_20scan_config_selectorIxEEZZNS1_9scan_implILNS1_25lookback_scan_determinismE0ELb0ELb0ES3_N6thrust23THRUST_200600_302600_NS6detail15normal_iteratorINS9_10device_ptrIxEEEESE_xNS9_4plusIxEExEEDaPvRmT3_T4_T5_mT6_P12ihipStream_tbENKUlT_T0_E_clISt17integral_constantIbLb1EEST_IbLb0EEEEDaSP_SQ_EUlSP_E0_NS1_11comp_targetILNS1_3genE5ELNS1_11target_archE942ELNS1_3gpuE9ELNS1_3repE0EEENS1_30default_config_static_selectorELNS0_4arch9wavefront6targetE1EEEvT1_: ; @_ZN7rocprim17ROCPRIM_400000_NS6detail17trampoline_kernelINS0_14default_configENS1_20scan_config_selectorIxEEZZNS1_9scan_implILNS1_25lookback_scan_determinismE0ELb0ELb0ES3_N6thrust23THRUST_200600_302600_NS6detail15normal_iteratorINS9_10device_ptrIxEEEESE_xNS9_4plusIxEExEEDaPvRmT3_T4_T5_mT6_P12ihipStream_tbENKUlT_T0_E_clISt17integral_constantIbLb1EEST_IbLb0EEEEDaSP_SQ_EUlSP_E0_NS1_11comp_targetILNS1_3genE5ELNS1_11target_archE942ELNS1_3gpuE9ELNS1_3repE0EEENS1_30default_config_static_selectorELNS0_4arch9wavefront6targetE1EEEvT1_
; %bb.0:
	.section	.rodata,"a",@progbits
	.p2align	6, 0x0
	.amdhsa_kernel _ZN7rocprim17ROCPRIM_400000_NS6detail17trampoline_kernelINS0_14default_configENS1_20scan_config_selectorIxEEZZNS1_9scan_implILNS1_25lookback_scan_determinismE0ELb0ELb0ES3_N6thrust23THRUST_200600_302600_NS6detail15normal_iteratorINS9_10device_ptrIxEEEESE_xNS9_4plusIxEExEEDaPvRmT3_T4_T5_mT6_P12ihipStream_tbENKUlT_T0_E_clISt17integral_constantIbLb1EEST_IbLb0EEEEDaSP_SQ_EUlSP_E0_NS1_11comp_targetILNS1_3genE5ELNS1_11target_archE942ELNS1_3gpuE9ELNS1_3repE0EEENS1_30default_config_static_selectorELNS0_4arch9wavefront6targetE1EEEvT1_
		.amdhsa_group_segment_fixed_size 0
		.amdhsa_private_segment_fixed_size 0
		.amdhsa_kernarg_size 40
		.amdhsa_user_sgpr_count 6
		.amdhsa_user_sgpr_private_segment_buffer 1
		.amdhsa_user_sgpr_dispatch_ptr 0
		.amdhsa_user_sgpr_queue_ptr 0
		.amdhsa_user_sgpr_kernarg_segment_ptr 1
		.amdhsa_user_sgpr_dispatch_id 0
		.amdhsa_user_sgpr_flat_scratch_init 0
		.amdhsa_user_sgpr_kernarg_preload_length 0
		.amdhsa_user_sgpr_kernarg_preload_offset 0
		.amdhsa_user_sgpr_private_segment_size 0
		.amdhsa_uses_dynamic_stack 0
		.amdhsa_system_sgpr_private_segment_wavefront_offset 0
		.amdhsa_system_sgpr_workgroup_id_x 1
		.amdhsa_system_sgpr_workgroup_id_y 0
		.amdhsa_system_sgpr_workgroup_id_z 0
		.amdhsa_system_sgpr_workgroup_info 0
		.amdhsa_system_vgpr_workitem_id 0
		.amdhsa_next_free_vgpr 1
		.amdhsa_next_free_sgpr 0
		.amdhsa_accum_offset 4
		.amdhsa_reserve_vcc 0
		.amdhsa_reserve_flat_scratch 0
		.amdhsa_float_round_mode_32 0
		.amdhsa_float_round_mode_16_64 0
		.amdhsa_float_denorm_mode_32 3
		.amdhsa_float_denorm_mode_16_64 3
		.amdhsa_dx10_clamp 1
		.amdhsa_ieee_mode 1
		.amdhsa_fp16_overflow 0
		.amdhsa_tg_split 0
		.amdhsa_exception_fp_ieee_invalid_op 0
		.amdhsa_exception_fp_denorm_src 0
		.amdhsa_exception_fp_ieee_div_zero 0
		.amdhsa_exception_fp_ieee_overflow 0
		.amdhsa_exception_fp_ieee_underflow 0
		.amdhsa_exception_fp_ieee_inexact 0
		.amdhsa_exception_int_div_zero 0
	.end_amdhsa_kernel
	.section	.text._ZN7rocprim17ROCPRIM_400000_NS6detail17trampoline_kernelINS0_14default_configENS1_20scan_config_selectorIxEEZZNS1_9scan_implILNS1_25lookback_scan_determinismE0ELb0ELb0ES3_N6thrust23THRUST_200600_302600_NS6detail15normal_iteratorINS9_10device_ptrIxEEEESE_xNS9_4plusIxEExEEDaPvRmT3_T4_T5_mT6_P12ihipStream_tbENKUlT_T0_E_clISt17integral_constantIbLb1EEST_IbLb0EEEEDaSP_SQ_EUlSP_E0_NS1_11comp_targetILNS1_3genE5ELNS1_11target_archE942ELNS1_3gpuE9ELNS1_3repE0EEENS1_30default_config_static_selectorELNS0_4arch9wavefront6targetE1EEEvT1_,"axG",@progbits,_ZN7rocprim17ROCPRIM_400000_NS6detail17trampoline_kernelINS0_14default_configENS1_20scan_config_selectorIxEEZZNS1_9scan_implILNS1_25lookback_scan_determinismE0ELb0ELb0ES3_N6thrust23THRUST_200600_302600_NS6detail15normal_iteratorINS9_10device_ptrIxEEEESE_xNS9_4plusIxEExEEDaPvRmT3_T4_T5_mT6_P12ihipStream_tbENKUlT_T0_E_clISt17integral_constantIbLb1EEST_IbLb0EEEEDaSP_SQ_EUlSP_E0_NS1_11comp_targetILNS1_3genE5ELNS1_11target_archE942ELNS1_3gpuE9ELNS1_3repE0EEENS1_30default_config_static_selectorELNS0_4arch9wavefront6targetE1EEEvT1_,comdat
.Lfunc_end244:
	.size	_ZN7rocprim17ROCPRIM_400000_NS6detail17trampoline_kernelINS0_14default_configENS1_20scan_config_selectorIxEEZZNS1_9scan_implILNS1_25lookback_scan_determinismE0ELb0ELb0ES3_N6thrust23THRUST_200600_302600_NS6detail15normal_iteratorINS9_10device_ptrIxEEEESE_xNS9_4plusIxEExEEDaPvRmT3_T4_T5_mT6_P12ihipStream_tbENKUlT_T0_E_clISt17integral_constantIbLb1EEST_IbLb0EEEEDaSP_SQ_EUlSP_E0_NS1_11comp_targetILNS1_3genE5ELNS1_11target_archE942ELNS1_3gpuE9ELNS1_3repE0EEENS1_30default_config_static_selectorELNS0_4arch9wavefront6targetE1EEEvT1_, .Lfunc_end244-_ZN7rocprim17ROCPRIM_400000_NS6detail17trampoline_kernelINS0_14default_configENS1_20scan_config_selectorIxEEZZNS1_9scan_implILNS1_25lookback_scan_determinismE0ELb0ELb0ES3_N6thrust23THRUST_200600_302600_NS6detail15normal_iteratorINS9_10device_ptrIxEEEESE_xNS9_4plusIxEExEEDaPvRmT3_T4_T5_mT6_P12ihipStream_tbENKUlT_T0_E_clISt17integral_constantIbLb1EEST_IbLb0EEEEDaSP_SQ_EUlSP_E0_NS1_11comp_targetILNS1_3genE5ELNS1_11target_archE942ELNS1_3gpuE9ELNS1_3repE0EEENS1_30default_config_static_selectorELNS0_4arch9wavefront6targetE1EEEvT1_
                                        ; -- End function
	.section	.AMDGPU.csdata,"",@progbits
; Kernel info:
; codeLenInByte = 0
; NumSgprs: 4
; NumVgprs: 0
; NumAgprs: 0
; TotalNumVgprs: 0
; ScratchSize: 0
; MemoryBound: 0
; FloatMode: 240
; IeeeMode: 1
; LDSByteSize: 0 bytes/workgroup (compile time only)
; SGPRBlocks: 0
; VGPRBlocks: 0
; NumSGPRsForWavesPerEU: 4
; NumVGPRsForWavesPerEU: 1
; AccumOffset: 4
; Occupancy: 8
; WaveLimiterHint : 0
; COMPUTE_PGM_RSRC2:SCRATCH_EN: 0
; COMPUTE_PGM_RSRC2:USER_SGPR: 6
; COMPUTE_PGM_RSRC2:TRAP_HANDLER: 0
; COMPUTE_PGM_RSRC2:TGID_X_EN: 1
; COMPUTE_PGM_RSRC2:TGID_Y_EN: 0
; COMPUTE_PGM_RSRC2:TGID_Z_EN: 0
; COMPUTE_PGM_RSRC2:TIDIG_COMP_CNT: 0
; COMPUTE_PGM_RSRC3_GFX90A:ACCUM_OFFSET: 0
; COMPUTE_PGM_RSRC3_GFX90A:TG_SPLIT: 0
	.section	.text._ZN7rocprim17ROCPRIM_400000_NS6detail17trampoline_kernelINS0_14default_configENS1_20scan_config_selectorIxEEZZNS1_9scan_implILNS1_25lookback_scan_determinismE0ELb0ELb0ES3_N6thrust23THRUST_200600_302600_NS6detail15normal_iteratorINS9_10device_ptrIxEEEESE_xNS9_4plusIxEExEEDaPvRmT3_T4_T5_mT6_P12ihipStream_tbENKUlT_T0_E_clISt17integral_constantIbLb1EEST_IbLb0EEEEDaSP_SQ_EUlSP_E0_NS1_11comp_targetILNS1_3genE4ELNS1_11target_archE910ELNS1_3gpuE8ELNS1_3repE0EEENS1_30default_config_static_selectorELNS0_4arch9wavefront6targetE1EEEvT1_,"axG",@progbits,_ZN7rocprim17ROCPRIM_400000_NS6detail17trampoline_kernelINS0_14default_configENS1_20scan_config_selectorIxEEZZNS1_9scan_implILNS1_25lookback_scan_determinismE0ELb0ELb0ES3_N6thrust23THRUST_200600_302600_NS6detail15normal_iteratorINS9_10device_ptrIxEEEESE_xNS9_4plusIxEExEEDaPvRmT3_T4_T5_mT6_P12ihipStream_tbENKUlT_T0_E_clISt17integral_constantIbLb1EEST_IbLb0EEEEDaSP_SQ_EUlSP_E0_NS1_11comp_targetILNS1_3genE4ELNS1_11target_archE910ELNS1_3gpuE8ELNS1_3repE0EEENS1_30default_config_static_selectorELNS0_4arch9wavefront6targetE1EEEvT1_,comdat
	.protected	_ZN7rocprim17ROCPRIM_400000_NS6detail17trampoline_kernelINS0_14default_configENS1_20scan_config_selectorIxEEZZNS1_9scan_implILNS1_25lookback_scan_determinismE0ELb0ELb0ES3_N6thrust23THRUST_200600_302600_NS6detail15normal_iteratorINS9_10device_ptrIxEEEESE_xNS9_4plusIxEExEEDaPvRmT3_T4_T5_mT6_P12ihipStream_tbENKUlT_T0_E_clISt17integral_constantIbLb1EEST_IbLb0EEEEDaSP_SQ_EUlSP_E0_NS1_11comp_targetILNS1_3genE4ELNS1_11target_archE910ELNS1_3gpuE8ELNS1_3repE0EEENS1_30default_config_static_selectorELNS0_4arch9wavefront6targetE1EEEvT1_ ; -- Begin function _ZN7rocprim17ROCPRIM_400000_NS6detail17trampoline_kernelINS0_14default_configENS1_20scan_config_selectorIxEEZZNS1_9scan_implILNS1_25lookback_scan_determinismE0ELb0ELb0ES3_N6thrust23THRUST_200600_302600_NS6detail15normal_iteratorINS9_10device_ptrIxEEEESE_xNS9_4plusIxEExEEDaPvRmT3_T4_T5_mT6_P12ihipStream_tbENKUlT_T0_E_clISt17integral_constantIbLb1EEST_IbLb0EEEEDaSP_SQ_EUlSP_E0_NS1_11comp_targetILNS1_3genE4ELNS1_11target_archE910ELNS1_3gpuE8ELNS1_3repE0EEENS1_30default_config_static_selectorELNS0_4arch9wavefront6targetE1EEEvT1_
	.globl	_ZN7rocprim17ROCPRIM_400000_NS6detail17trampoline_kernelINS0_14default_configENS1_20scan_config_selectorIxEEZZNS1_9scan_implILNS1_25lookback_scan_determinismE0ELb0ELb0ES3_N6thrust23THRUST_200600_302600_NS6detail15normal_iteratorINS9_10device_ptrIxEEEESE_xNS9_4plusIxEExEEDaPvRmT3_T4_T5_mT6_P12ihipStream_tbENKUlT_T0_E_clISt17integral_constantIbLb1EEST_IbLb0EEEEDaSP_SQ_EUlSP_E0_NS1_11comp_targetILNS1_3genE4ELNS1_11target_archE910ELNS1_3gpuE8ELNS1_3repE0EEENS1_30default_config_static_selectorELNS0_4arch9wavefront6targetE1EEEvT1_
	.p2align	8
	.type	_ZN7rocprim17ROCPRIM_400000_NS6detail17trampoline_kernelINS0_14default_configENS1_20scan_config_selectorIxEEZZNS1_9scan_implILNS1_25lookback_scan_determinismE0ELb0ELb0ES3_N6thrust23THRUST_200600_302600_NS6detail15normal_iteratorINS9_10device_ptrIxEEEESE_xNS9_4plusIxEExEEDaPvRmT3_T4_T5_mT6_P12ihipStream_tbENKUlT_T0_E_clISt17integral_constantIbLb1EEST_IbLb0EEEEDaSP_SQ_EUlSP_E0_NS1_11comp_targetILNS1_3genE4ELNS1_11target_archE910ELNS1_3gpuE8ELNS1_3repE0EEENS1_30default_config_static_selectorELNS0_4arch9wavefront6targetE1EEEvT1_,@function
_ZN7rocprim17ROCPRIM_400000_NS6detail17trampoline_kernelINS0_14default_configENS1_20scan_config_selectorIxEEZZNS1_9scan_implILNS1_25lookback_scan_determinismE0ELb0ELb0ES3_N6thrust23THRUST_200600_302600_NS6detail15normal_iteratorINS9_10device_ptrIxEEEESE_xNS9_4plusIxEExEEDaPvRmT3_T4_T5_mT6_P12ihipStream_tbENKUlT_T0_E_clISt17integral_constantIbLb1EEST_IbLb0EEEEDaSP_SQ_EUlSP_E0_NS1_11comp_targetILNS1_3genE4ELNS1_11target_archE910ELNS1_3gpuE8ELNS1_3repE0EEENS1_30default_config_static_selectorELNS0_4arch9wavefront6targetE1EEEvT1_: ; @_ZN7rocprim17ROCPRIM_400000_NS6detail17trampoline_kernelINS0_14default_configENS1_20scan_config_selectorIxEEZZNS1_9scan_implILNS1_25lookback_scan_determinismE0ELb0ELb0ES3_N6thrust23THRUST_200600_302600_NS6detail15normal_iteratorINS9_10device_ptrIxEEEESE_xNS9_4plusIxEExEEDaPvRmT3_T4_T5_mT6_P12ihipStream_tbENKUlT_T0_E_clISt17integral_constantIbLb1EEST_IbLb0EEEEDaSP_SQ_EUlSP_E0_NS1_11comp_targetILNS1_3genE4ELNS1_11target_archE910ELNS1_3gpuE8ELNS1_3repE0EEENS1_30default_config_static_selectorELNS0_4arch9wavefront6targetE1EEEvT1_
; %bb.0:
	s_load_dwordx4 s[16:19], s[4:5], 0x0
	v_lshlrev_b32_e32 v21, 3, v0
	s_waitcnt lgkmcnt(0)
	s_load_dwordx2 s[14:15], s[16:17], 0x0
	v_cmp_gt_u32_e32 vcc, s18, v0
	s_waitcnt lgkmcnt(0)
	v_pk_mov_b32 v[2:3], s[14:15], s[14:15] op_sel:[0,1]
	s_and_saveexec_b64 s[0:1], vcc
	s_cbranch_execz .LBB245_2
; %bb.1:
	global_load_dwordx2 v[2:3], v21, s[16:17]
.LBB245_2:
	s_or_b64 exec, exec, s[0:1]
	v_or_b32_e32 v1, 0x80, v0
	v_cmp_gt_u32_e64 s[0:1], s18, v1
	v_pk_mov_b32 v[4:5], s[14:15], s[14:15] op_sel:[0,1]
	s_and_saveexec_b64 s[2:3], s[0:1]
	s_cbranch_execz .LBB245_4
; %bb.3:
	global_load_dwordx2 v[4:5], v21, s[16:17] offset:1024
.LBB245_4:
	s_or_b64 exec, exec, s[2:3]
	v_or_b32_e32 v1, 0x100, v0
	v_cmp_gt_u32_e64 s[2:3], s18, v1
	v_pk_mov_b32 v[6:7], s[14:15], s[14:15] op_sel:[0,1]
	s_and_saveexec_b64 s[6:7], s[2:3]
	s_cbranch_execz .LBB245_6
; %bb.5:
	global_load_dwordx2 v[6:7], v21, s[16:17] offset:2048
.LBB245_6:
	;; [unrolled: 9-line block ×3, first 2 shown]
	s_or_b64 exec, exec, s[6:7]
	v_or_b32_e32 v1, 0x200, v0
	v_cmp_gt_u32_e64 s[6:7], s18, v1
	v_pk_mov_b32 v[10:11], s[14:15], s[14:15] op_sel:[0,1]
	s_and_saveexec_b64 s[8:9], s[6:7]
	s_cbranch_execz .LBB245_10
; %bb.9:
	v_lshlrev_b32_e32 v1, 3, v1
	global_load_dwordx2 v[10:11], v1, s[16:17]
.LBB245_10:
	s_or_b64 exec, exec, s[8:9]
	v_or_b32_e32 v1, 0x280, v0
	v_cmp_gt_u32_e64 s[8:9], s18, v1
	v_pk_mov_b32 v[12:13], s[14:15], s[14:15] op_sel:[0,1]
	s_and_saveexec_b64 s[10:11], s[8:9]
	s_cbranch_execz .LBB245_12
; %bb.11:
	v_lshlrev_b32_e32 v1, 3, v1
	global_load_dwordx2 v[12:13], v1, s[16:17]
.LBB245_12:
	;; [unrolled: 10-line block ×3, first 2 shown]
	s_or_b64 exec, exec, s[14:15]
	v_mad_u32_u24 v1, v0, 48, v21
	s_waitcnt vmcnt(0)
	ds_write2st64_b64 v21, v[2:3], v[4:5] offset1:2
	ds_write2st64_b64 v21, v[6:7], v[8:9] offset0:4 offset1:6
	ds_write2st64_b64 v21, v[10:11], v[12:13] offset0:8 offset1:10
	ds_write_b64 v21, v[14:15] offset:6144
	s_waitcnt lgkmcnt(0)
	s_barrier
	ds_read2_b64 v[2:5], v1 offset1:1
	ds_read2_b64 v[6:9], v1 offset0:2 offset1:3
	ds_read2_b64 v[10:13], v1 offset0:4 offset1:5
	ds_read_b64 v[28:29], v1 offset:48
	s_load_dwordx2 s[16:17], s[4:5], 0x20
	s_waitcnt lgkmcnt(0)
	v_add_co_u32_e64 v20, s[4:5], v4, v2
	v_addc_co_u32_e64 v1, s[4:5], v5, v3, s[4:5]
	v_add_co_u32_e64 v18, s[4:5], v20, v6
	v_addc_co_u32_e64 v19, s[4:5], v1, v7, s[4:5]
	;; [unrolled: 2-line block ×5, first 2 shown]
	v_add_co_u32_e64 v30, s[4:5], v26, v28
	v_lshrrev_b32_e32 v14, 2, v0
	v_addc_co_u32_e64 v31, s[4:5], v27, v29, s[4:5]
	v_and_b32_e32 v14, 24, v14
	v_add_u32_e32 v14, v21, v14
	v_cmp_gt_u32_e64 s[4:5], 64, v0
	s_barrier
	ds_write_b64 v14, v[30:31]
	s_waitcnt lgkmcnt(0)
	s_barrier
	s_and_saveexec_b64 s[18:19], s[4:5]
	s_cbranch_execz .LBB245_18
; %bb.15:
	v_lshlrev_b32_e32 v14, 1, v0
	v_lshrrev_b32_e32 v15, 4, v0
	v_add_lshl_u32 v32, v15, v14, 3
	ds_read2_b64 v[14:17], v32 offset1:1
	s_waitcnt lgkmcnt(0)
	v_add_co_u32_e64 v34, s[4:5], v16, v14
	v_addc_co_u32_e64 v35, s[4:5], v17, v15, s[4:5]
	s_nop 0
	v_mov_b32_dpp v17, v34 row_shr:1 row_mask:0xf bank_mask:0xf
	v_add_co_u32_e64 v17, s[4:5], v34, v17
	v_mbcnt_lo_u32_b32 v16, -1, 0
	v_addc_co_u32_e64 v37, s[4:5], 0, v35, s[4:5]
	v_mbcnt_hi_u32_b32 v33, -1, v16
	v_mov_b32_dpp v36, v35 row_shr:1 row_mask:0xf bank_mask:0xf
	v_add_co_u32_e64 v38, s[4:5], 0, v17
	v_and_b32_e32 v16, 15, v33
	v_addc_co_u32_e64 v36, s[4:5], v36, v37, s[4:5]
	v_cmp_eq_u32_e64 s[4:5], 0, v16
	v_cndmask_b32_e64 v17, v17, v34, s[4:5]
	v_cndmask_b32_e64 v36, v36, v35, s[4:5]
	v_cndmask_b32_e64 v37, v38, v34, s[4:5]
	v_mov_b32_dpp v38, v17 row_shr:2 row_mask:0xf bank_mask:0xf
	v_mov_b32_dpp v39, v36 row_shr:2 row_mask:0xf bank_mask:0xf
	v_add_co_u32_e64 v38, s[4:5], v38, v37
	v_addc_co_u32_e64 v39, s[4:5], v39, v36, s[4:5]
	v_cmp_lt_u32_e64 s[4:5], 1, v16
	v_cndmask_b32_e64 v17, v17, v38, s[4:5]
	v_cndmask_b32_e64 v36, v36, v39, s[4:5]
	v_cndmask_b32_e64 v37, v37, v38, s[4:5]
	v_mov_b32_dpp v38, v17 row_shr:4 row_mask:0xf bank_mask:0xf
	v_mov_b32_dpp v39, v36 row_shr:4 row_mask:0xf bank_mask:0xf
	v_add_co_u32_e64 v38, s[4:5], v38, v37
	v_addc_co_u32_e64 v39, s[4:5], v39, v36, s[4:5]
	v_cmp_lt_u32_e64 s[4:5], 3, v16
	;; [unrolled: 8-line block ×3, first 2 shown]
	v_cndmask_b32_e64 v40, v17, v38, s[4:5]
	v_cndmask_b32_e64 v17, v36, v39, s[4:5]
	v_cndmask_b32_e64 v16, v37, v38, s[4:5]
	v_mov_b32_dpp v36, v40 row_bcast:15 row_mask:0xf bank_mask:0xf
	v_mov_b32_dpp v37, v17 row_bcast:15 row_mask:0xf bank_mask:0xf
	v_add_co_u32_e64 v36, s[4:5], v36, v16
	v_and_b32_e32 v39, 16, v33
	v_addc_co_u32_e64 v38, s[4:5], v37, v17, s[4:5]
	v_cmp_eq_u32_e64 s[4:5], 0, v39
	v_cndmask_b32_e64 v39, v38, v17, s[4:5]
	v_cndmask_b32_e64 v37, v36, v40, s[4:5]
	v_cmp_ne_u32_e64 s[14:15], 0, v33
	v_mov_b32_dpp v39, v39 row_bcast:31 row_mask:0xf bank_mask:0xf
	v_mov_b32_dpp v37, v37 row_bcast:31 row_mask:0xf bank_mask:0xf
	s_and_saveexec_b64 s[20:21], s[14:15]
; %bb.16:
	v_cndmask_b32_e64 v17, v38, v17, s[4:5]
	v_cndmask_b32_e64 v16, v36, v16, s[4:5]
	v_cmp_lt_u32_e64 s[4:5], 31, v33
	v_cndmask_b32_e64 v34, 0, v37, s[4:5]
	v_cndmask_b32_e64 v35, 0, v39, s[4:5]
	v_add_co_u32_e64 v34, s[4:5], v34, v16
	v_addc_co_u32_e64 v35, s[4:5], v35, v17, s[4:5]
; %bb.17:
	s_or_b64 exec, exec, s[20:21]
	v_add_u32_e32 v16, -1, v33
	v_and_b32_e32 v17, 64, v33
	v_cmp_lt_i32_e64 s[4:5], v16, v17
	v_cndmask_b32_e64 v16, v16, v33, s[4:5]
	v_lshlrev_b32_e32 v16, 2, v16
	ds_bpermute_b32 v17, v16, v34
	ds_bpermute_b32 v16, v16, v35
	; wave barrier
	s_waitcnt lgkmcnt(1)
	v_add_co_u32_e64 v14, s[4:5], v14, v17
	v_addc_co_u32_e64 v15, s[4:5], 0, v15, s[4:5]
	v_add_co_u32_e64 v14, s[4:5], 0, v14
	s_waitcnt lgkmcnt(0)
	v_addc_co_u32_e64 v15, s[4:5], v15, v16, s[4:5]
	v_cmp_eq_u32_e64 s[4:5], 0, v0
	v_cndmask_b32_e64 v15, v15, v31, s[4:5]
	v_cndmask_b32_e64 v14, v14, v30, s[4:5]
	ds_write_b64 v32, v[14:15]
	; wave barrier
	ds_read_b64 v[16:17], v32 offset:8
	s_waitcnt lgkmcnt(0)
	v_add_co_u32_e64 v14, s[4:5], v16, v14
	v_addc_co_u32_e64 v15, s[4:5], v17, v15, s[4:5]
	ds_write_b64 v32, v[14:15] offset:8
.LBB245_18:
	s_or_b64 exec, exec, s[18:19]
	v_mul_u32_u24_e32 v16, 48, v0
	v_cmp_ne_u32_e64 s[4:5], 0, v0
	v_pk_mov_b32 v[14:15], v[30:31], v[30:31] op_sel:[0,1]
	s_waitcnt lgkmcnt(0)
	s_barrier
	s_and_saveexec_b64 s[14:15], s[4:5]
	s_cbranch_execz .LBB245_20
; %bb.19:
	v_add_u32_e32 v0, -1, v0
	v_lshrrev_b32_e32 v14, 5, v0
	v_add_lshl_u32 v0, v14, v0, 3
	ds_read_b64 v[14:15], v0
.LBB245_20:
	s_or_b64 exec, exec, s[14:15]
	s_and_saveexec_b64 s[14:15], s[4:5]
	s_cbranch_execz .LBB245_22
; %bb.21:
	s_waitcnt lgkmcnt(0)
	v_add_co_u32_e64 v2, s[4:5], v14, v2
	v_addc_co_u32_e64 v3, s[4:5], v15, v3, s[4:5]
	v_add_co_u32_e64 v20, s[4:5], v2, v4
	v_addc_co_u32_e64 v1, s[4:5], v3, v5, s[4:5]
	v_add_co_u32_e64 v18, s[4:5], v20, v6
	v_addc_co_u32_e64 v19, s[4:5], v1, v7, s[4:5]
	v_add_co_u32_e64 v24, s[4:5], v18, v8
	v_addc_co_u32_e64 v25, s[4:5], v19, v9, s[4:5]
	v_add_co_u32_e64 v22, s[4:5], v24, v10
	v_addc_co_u32_e64 v23, s[4:5], v25, v11, s[4:5]
	v_add_co_u32_e64 v26, s[4:5], v22, v12
	v_addc_co_u32_e64 v27, s[4:5], v23, v13, s[4:5]
	v_add_co_u32_e64 v30, s[4:5], v26, v28
	v_addc_co_u32_e64 v31, s[4:5], v27, v29, s[4:5]
	;;#ASMSTART
	;;#ASMEND
.LBB245_22:
	s_or_b64 exec, exec, s[14:15]
	v_add_u32_e32 v4, v21, v16
	v_mov_b32_e32 v0, v20
	s_waitcnt lgkmcnt(0)
	s_barrier
	ds_write2_b64 v4, v[2:3], v[0:1] offset1:1
	ds_write2_b64 v4, v[18:19], v[24:25] offset0:2 offset1:3
	ds_write2_b64 v4, v[22:23], v[26:27] offset0:4 offset1:5
	ds_write_b64 v4, v[30:31] offset:48
	s_waitcnt lgkmcnt(0)
	s_barrier
	ds_read2st64_b64 v[8:11], v21 offset0:2 offset1:4
	ds_read2st64_b64 v[4:7], v21 offset0:6 offset1:8
	;; [unrolled: 1-line block ×3, first 2 shown]
	v_mov_b32_e32 v13, s17
	v_add_co_u32_e64 v12, s[4:5], s16, v21
	v_addc_co_u32_e64 v13, s[4:5], 0, v13, s[4:5]
	s_and_saveexec_b64 s[4:5], vcc
	s_cbranch_execnz .LBB245_30
; %bb.23:
	s_or_b64 exec, exec, s[4:5]
	s_and_saveexec_b64 s[4:5], s[0:1]
	s_cbranch_execnz .LBB245_31
.LBB245_24:
	s_or_b64 exec, exec, s[4:5]
	s_and_saveexec_b64 s[0:1], s[2:3]
	s_cbranch_execnz .LBB245_32
.LBB245_25:
	s_or_b64 exec, exec, s[0:1]
	s_and_saveexec_b64 s[0:1], s[12:13]
	s_cbranch_execnz .LBB245_33
.LBB245_26:
	s_or_b64 exec, exec, s[0:1]
	s_and_saveexec_b64 s[0:1], s[6:7]
	s_cbranch_execnz .LBB245_34
.LBB245_27:
	s_or_b64 exec, exec, s[0:1]
	s_and_saveexec_b64 s[0:1], s[8:9]
	s_cbranch_execnz .LBB245_35
.LBB245_28:
	s_or_b64 exec, exec, s[0:1]
	s_and_saveexec_b64 s[0:1], s[10:11]
	s_cbranch_execnz .LBB245_36
.LBB245_29:
	s_endpgm
.LBB245_30:
	ds_read_b64 v[14:15], v21
	s_waitcnt lgkmcnt(0)
	global_store_dwordx2 v[12:13], v[14:15], off
	s_or_b64 exec, exec, s[4:5]
	s_and_saveexec_b64 s[4:5], s[0:1]
	s_cbranch_execz .LBB245_24
.LBB245_31:
	s_waitcnt lgkmcnt(2)
	global_store_dwordx2 v[12:13], v[8:9], off offset:1024
	s_or_b64 exec, exec, s[4:5]
	s_and_saveexec_b64 s[0:1], s[2:3]
	s_cbranch_execz .LBB245_25
.LBB245_32:
	s_waitcnt lgkmcnt(2)
	global_store_dwordx2 v[12:13], v[10:11], off offset:2048
	s_or_b64 exec, exec, s[0:1]
	s_and_saveexec_b64 s[0:1], s[12:13]
	s_cbranch_execz .LBB245_26
.LBB245_33:
	s_waitcnt lgkmcnt(1)
	global_store_dwordx2 v[12:13], v[4:5], off offset:3072
	s_or_b64 exec, exec, s[0:1]
	s_and_saveexec_b64 s[0:1], s[6:7]
	s_cbranch_execz .LBB245_27
.LBB245_34:
	s_waitcnt lgkmcnt(1)
	v_add_co_u32_e32 v4, vcc, 0x1000, v12
	v_addc_co_u32_e32 v5, vcc, 0, v13, vcc
	global_store_dwordx2 v[4:5], v[6:7], off
	s_or_b64 exec, exec, s[0:1]
	s_and_saveexec_b64 s[0:1], s[8:9]
	s_cbranch_execz .LBB245_28
.LBB245_35:
	s_waitcnt lgkmcnt(1)
	v_add_co_u32_e32 v4, vcc, 0x1000, v12
	v_addc_co_u32_e32 v5, vcc, 0, v13, vcc
	s_waitcnt lgkmcnt(0)
	global_store_dwordx2 v[4:5], v[0:1], off offset:1024
	s_or_b64 exec, exec, s[0:1]
	s_and_saveexec_b64 s[0:1], s[10:11]
	s_cbranch_execz .LBB245_29
.LBB245_36:
	s_waitcnt lgkmcnt(0)
	v_add_co_u32_e32 v0, vcc, 0x1000, v12
	v_addc_co_u32_e32 v1, vcc, 0, v13, vcc
	global_store_dwordx2 v[0:1], v[2:3], off offset:2048
	s_endpgm
	.section	.rodata,"a",@progbits
	.p2align	6, 0x0
	.amdhsa_kernel _ZN7rocprim17ROCPRIM_400000_NS6detail17trampoline_kernelINS0_14default_configENS1_20scan_config_selectorIxEEZZNS1_9scan_implILNS1_25lookback_scan_determinismE0ELb0ELb0ES3_N6thrust23THRUST_200600_302600_NS6detail15normal_iteratorINS9_10device_ptrIxEEEESE_xNS9_4plusIxEExEEDaPvRmT3_T4_T5_mT6_P12ihipStream_tbENKUlT_T0_E_clISt17integral_constantIbLb1EEST_IbLb0EEEEDaSP_SQ_EUlSP_E0_NS1_11comp_targetILNS1_3genE4ELNS1_11target_archE910ELNS1_3gpuE8ELNS1_3repE0EEENS1_30default_config_static_selectorELNS0_4arch9wavefront6targetE1EEEvT1_
		.amdhsa_group_segment_fixed_size 7168
		.amdhsa_private_segment_fixed_size 0
		.amdhsa_kernarg_size 40
		.amdhsa_user_sgpr_count 6
		.amdhsa_user_sgpr_private_segment_buffer 1
		.amdhsa_user_sgpr_dispatch_ptr 0
		.amdhsa_user_sgpr_queue_ptr 0
		.amdhsa_user_sgpr_kernarg_segment_ptr 1
		.amdhsa_user_sgpr_dispatch_id 0
		.amdhsa_user_sgpr_flat_scratch_init 0
		.amdhsa_user_sgpr_kernarg_preload_length 0
		.amdhsa_user_sgpr_kernarg_preload_offset 0
		.amdhsa_user_sgpr_private_segment_size 0
		.amdhsa_uses_dynamic_stack 0
		.amdhsa_system_sgpr_private_segment_wavefront_offset 0
		.amdhsa_system_sgpr_workgroup_id_x 1
		.amdhsa_system_sgpr_workgroup_id_y 0
		.amdhsa_system_sgpr_workgroup_id_z 0
		.amdhsa_system_sgpr_workgroup_info 0
		.amdhsa_system_vgpr_workitem_id 0
		.amdhsa_next_free_vgpr 41
		.amdhsa_next_free_sgpr 22
		.amdhsa_accum_offset 44
		.amdhsa_reserve_vcc 1
		.amdhsa_reserve_flat_scratch 0
		.amdhsa_float_round_mode_32 0
		.amdhsa_float_round_mode_16_64 0
		.amdhsa_float_denorm_mode_32 3
		.amdhsa_float_denorm_mode_16_64 3
		.amdhsa_dx10_clamp 1
		.amdhsa_ieee_mode 1
		.amdhsa_fp16_overflow 0
		.amdhsa_tg_split 0
		.amdhsa_exception_fp_ieee_invalid_op 0
		.amdhsa_exception_fp_denorm_src 0
		.amdhsa_exception_fp_ieee_div_zero 0
		.amdhsa_exception_fp_ieee_overflow 0
		.amdhsa_exception_fp_ieee_underflow 0
		.amdhsa_exception_fp_ieee_inexact 0
		.amdhsa_exception_int_div_zero 0
	.end_amdhsa_kernel
	.section	.text._ZN7rocprim17ROCPRIM_400000_NS6detail17trampoline_kernelINS0_14default_configENS1_20scan_config_selectorIxEEZZNS1_9scan_implILNS1_25lookback_scan_determinismE0ELb0ELb0ES3_N6thrust23THRUST_200600_302600_NS6detail15normal_iteratorINS9_10device_ptrIxEEEESE_xNS9_4plusIxEExEEDaPvRmT3_T4_T5_mT6_P12ihipStream_tbENKUlT_T0_E_clISt17integral_constantIbLb1EEST_IbLb0EEEEDaSP_SQ_EUlSP_E0_NS1_11comp_targetILNS1_3genE4ELNS1_11target_archE910ELNS1_3gpuE8ELNS1_3repE0EEENS1_30default_config_static_selectorELNS0_4arch9wavefront6targetE1EEEvT1_,"axG",@progbits,_ZN7rocprim17ROCPRIM_400000_NS6detail17trampoline_kernelINS0_14default_configENS1_20scan_config_selectorIxEEZZNS1_9scan_implILNS1_25lookback_scan_determinismE0ELb0ELb0ES3_N6thrust23THRUST_200600_302600_NS6detail15normal_iteratorINS9_10device_ptrIxEEEESE_xNS9_4plusIxEExEEDaPvRmT3_T4_T5_mT6_P12ihipStream_tbENKUlT_T0_E_clISt17integral_constantIbLb1EEST_IbLb0EEEEDaSP_SQ_EUlSP_E0_NS1_11comp_targetILNS1_3genE4ELNS1_11target_archE910ELNS1_3gpuE8ELNS1_3repE0EEENS1_30default_config_static_selectorELNS0_4arch9wavefront6targetE1EEEvT1_,comdat
.Lfunc_end245:
	.size	_ZN7rocprim17ROCPRIM_400000_NS6detail17trampoline_kernelINS0_14default_configENS1_20scan_config_selectorIxEEZZNS1_9scan_implILNS1_25lookback_scan_determinismE0ELb0ELb0ES3_N6thrust23THRUST_200600_302600_NS6detail15normal_iteratorINS9_10device_ptrIxEEEESE_xNS9_4plusIxEExEEDaPvRmT3_T4_T5_mT6_P12ihipStream_tbENKUlT_T0_E_clISt17integral_constantIbLb1EEST_IbLb0EEEEDaSP_SQ_EUlSP_E0_NS1_11comp_targetILNS1_3genE4ELNS1_11target_archE910ELNS1_3gpuE8ELNS1_3repE0EEENS1_30default_config_static_selectorELNS0_4arch9wavefront6targetE1EEEvT1_, .Lfunc_end245-_ZN7rocprim17ROCPRIM_400000_NS6detail17trampoline_kernelINS0_14default_configENS1_20scan_config_selectorIxEEZZNS1_9scan_implILNS1_25lookback_scan_determinismE0ELb0ELb0ES3_N6thrust23THRUST_200600_302600_NS6detail15normal_iteratorINS9_10device_ptrIxEEEESE_xNS9_4plusIxEExEEDaPvRmT3_T4_T5_mT6_P12ihipStream_tbENKUlT_T0_E_clISt17integral_constantIbLb1EEST_IbLb0EEEEDaSP_SQ_EUlSP_E0_NS1_11comp_targetILNS1_3genE4ELNS1_11target_archE910ELNS1_3gpuE8ELNS1_3repE0EEENS1_30default_config_static_selectorELNS0_4arch9wavefront6targetE1EEEvT1_
                                        ; -- End function
	.section	.AMDGPU.csdata,"",@progbits
; Kernel info:
; codeLenInByte = 1804
; NumSgprs: 26
; NumVgprs: 41
; NumAgprs: 0
; TotalNumVgprs: 41
; ScratchSize: 0
; MemoryBound: 0
; FloatMode: 240
; IeeeMode: 1
; LDSByteSize: 7168 bytes/workgroup (compile time only)
; SGPRBlocks: 3
; VGPRBlocks: 5
; NumSGPRsForWavesPerEU: 26
; NumVGPRsForWavesPerEU: 41
; AccumOffset: 44
; Occupancy: 5
; WaveLimiterHint : 0
; COMPUTE_PGM_RSRC2:SCRATCH_EN: 0
; COMPUTE_PGM_RSRC2:USER_SGPR: 6
; COMPUTE_PGM_RSRC2:TRAP_HANDLER: 0
; COMPUTE_PGM_RSRC2:TGID_X_EN: 1
; COMPUTE_PGM_RSRC2:TGID_Y_EN: 0
; COMPUTE_PGM_RSRC2:TGID_Z_EN: 0
; COMPUTE_PGM_RSRC2:TIDIG_COMP_CNT: 0
; COMPUTE_PGM_RSRC3_GFX90A:ACCUM_OFFSET: 10
; COMPUTE_PGM_RSRC3_GFX90A:TG_SPLIT: 0
	.section	.text._ZN7rocprim17ROCPRIM_400000_NS6detail17trampoline_kernelINS0_14default_configENS1_20scan_config_selectorIxEEZZNS1_9scan_implILNS1_25lookback_scan_determinismE0ELb0ELb0ES3_N6thrust23THRUST_200600_302600_NS6detail15normal_iteratorINS9_10device_ptrIxEEEESE_xNS9_4plusIxEExEEDaPvRmT3_T4_T5_mT6_P12ihipStream_tbENKUlT_T0_E_clISt17integral_constantIbLb1EEST_IbLb0EEEEDaSP_SQ_EUlSP_E0_NS1_11comp_targetILNS1_3genE3ELNS1_11target_archE908ELNS1_3gpuE7ELNS1_3repE0EEENS1_30default_config_static_selectorELNS0_4arch9wavefront6targetE1EEEvT1_,"axG",@progbits,_ZN7rocprim17ROCPRIM_400000_NS6detail17trampoline_kernelINS0_14default_configENS1_20scan_config_selectorIxEEZZNS1_9scan_implILNS1_25lookback_scan_determinismE0ELb0ELb0ES3_N6thrust23THRUST_200600_302600_NS6detail15normal_iteratorINS9_10device_ptrIxEEEESE_xNS9_4plusIxEExEEDaPvRmT3_T4_T5_mT6_P12ihipStream_tbENKUlT_T0_E_clISt17integral_constantIbLb1EEST_IbLb0EEEEDaSP_SQ_EUlSP_E0_NS1_11comp_targetILNS1_3genE3ELNS1_11target_archE908ELNS1_3gpuE7ELNS1_3repE0EEENS1_30default_config_static_selectorELNS0_4arch9wavefront6targetE1EEEvT1_,comdat
	.protected	_ZN7rocprim17ROCPRIM_400000_NS6detail17trampoline_kernelINS0_14default_configENS1_20scan_config_selectorIxEEZZNS1_9scan_implILNS1_25lookback_scan_determinismE0ELb0ELb0ES3_N6thrust23THRUST_200600_302600_NS6detail15normal_iteratorINS9_10device_ptrIxEEEESE_xNS9_4plusIxEExEEDaPvRmT3_T4_T5_mT6_P12ihipStream_tbENKUlT_T0_E_clISt17integral_constantIbLb1EEST_IbLb0EEEEDaSP_SQ_EUlSP_E0_NS1_11comp_targetILNS1_3genE3ELNS1_11target_archE908ELNS1_3gpuE7ELNS1_3repE0EEENS1_30default_config_static_selectorELNS0_4arch9wavefront6targetE1EEEvT1_ ; -- Begin function _ZN7rocprim17ROCPRIM_400000_NS6detail17trampoline_kernelINS0_14default_configENS1_20scan_config_selectorIxEEZZNS1_9scan_implILNS1_25lookback_scan_determinismE0ELb0ELb0ES3_N6thrust23THRUST_200600_302600_NS6detail15normal_iteratorINS9_10device_ptrIxEEEESE_xNS9_4plusIxEExEEDaPvRmT3_T4_T5_mT6_P12ihipStream_tbENKUlT_T0_E_clISt17integral_constantIbLb1EEST_IbLb0EEEEDaSP_SQ_EUlSP_E0_NS1_11comp_targetILNS1_3genE3ELNS1_11target_archE908ELNS1_3gpuE7ELNS1_3repE0EEENS1_30default_config_static_selectorELNS0_4arch9wavefront6targetE1EEEvT1_
	.globl	_ZN7rocprim17ROCPRIM_400000_NS6detail17trampoline_kernelINS0_14default_configENS1_20scan_config_selectorIxEEZZNS1_9scan_implILNS1_25lookback_scan_determinismE0ELb0ELb0ES3_N6thrust23THRUST_200600_302600_NS6detail15normal_iteratorINS9_10device_ptrIxEEEESE_xNS9_4plusIxEExEEDaPvRmT3_T4_T5_mT6_P12ihipStream_tbENKUlT_T0_E_clISt17integral_constantIbLb1EEST_IbLb0EEEEDaSP_SQ_EUlSP_E0_NS1_11comp_targetILNS1_3genE3ELNS1_11target_archE908ELNS1_3gpuE7ELNS1_3repE0EEENS1_30default_config_static_selectorELNS0_4arch9wavefront6targetE1EEEvT1_
	.p2align	8
	.type	_ZN7rocprim17ROCPRIM_400000_NS6detail17trampoline_kernelINS0_14default_configENS1_20scan_config_selectorIxEEZZNS1_9scan_implILNS1_25lookback_scan_determinismE0ELb0ELb0ES3_N6thrust23THRUST_200600_302600_NS6detail15normal_iteratorINS9_10device_ptrIxEEEESE_xNS9_4plusIxEExEEDaPvRmT3_T4_T5_mT6_P12ihipStream_tbENKUlT_T0_E_clISt17integral_constantIbLb1EEST_IbLb0EEEEDaSP_SQ_EUlSP_E0_NS1_11comp_targetILNS1_3genE3ELNS1_11target_archE908ELNS1_3gpuE7ELNS1_3repE0EEENS1_30default_config_static_selectorELNS0_4arch9wavefront6targetE1EEEvT1_,@function
_ZN7rocprim17ROCPRIM_400000_NS6detail17trampoline_kernelINS0_14default_configENS1_20scan_config_selectorIxEEZZNS1_9scan_implILNS1_25lookback_scan_determinismE0ELb0ELb0ES3_N6thrust23THRUST_200600_302600_NS6detail15normal_iteratorINS9_10device_ptrIxEEEESE_xNS9_4plusIxEExEEDaPvRmT3_T4_T5_mT6_P12ihipStream_tbENKUlT_T0_E_clISt17integral_constantIbLb1EEST_IbLb0EEEEDaSP_SQ_EUlSP_E0_NS1_11comp_targetILNS1_3genE3ELNS1_11target_archE908ELNS1_3gpuE7ELNS1_3repE0EEENS1_30default_config_static_selectorELNS0_4arch9wavefront6targetE1EEEvT1_: ; @_ZN7rocprim17ROCPRIM_400000_NS6detail17trampoline_kernelINS0_14default_configENS1_20scan_config_selectorIxEEZZNS1_9scan_implILNS1_25lookback_scan_determinismE0ELb0ELb0ES3_N6thrust23THRUST_200600_302600_NS6detail15normal_iteratorINS9_10device_ptrIxEEEESE_xNS9_4plusIxEExEEDaPvRmT3_T4_T5_mT6_P12ihipStream_tbENKUlT_T0_E_clISt17integral_constantIbLb1EEST_IbLb0EEEEDaSP_SQ_EUlSP_E0_NS1_11comp_targetILNS1_3genE3ELNS1_11target_archE908ELNS1_3gpuE7ELNS1_3repE0EEENS1_30default_config_static_selectorELNS0_4arch9wavefront6targetE1EEEvT1_
; %bb.0:
	.section	.rodata,"a",@progbits
	.p2align	6, 0x0
	.amdhsa_kernel _ZN7rocprim17ROCPRIM_400000_NS6detail17trampoline_kernelINS0_14default_configENS1_20scan_config_selectorIxEEZZNS1_9scan_implILNS1_25lookback_scan_determinismE0ELb0ELb0ES3_N6thrust23THRUST_200600_302600_NS6detail15normal_iteratorINS9_10device_ptrIxEEEESE_xNS9_4plusIxEExEEDaPvRmT3_T4_T5_mT6_P12ihipStream_tbENKUlT_T0_E_clISt17integral_constantIbLb1EEST_IbLb0EEEEDaSP_SQ_EUlSP_E0_NS1_11comp_targetILNS1_3genE3ELNS1_11target_archE908ELNS1_3gpuE7ELNS1_3repE0EEENS1_30default_config_static_selectorELNS0_4arch9wavefront6targetE1EEEvT1_
		.amdhsa_group_segment_fixed_size 0
		.amdhsa_private_segment_fixed_size 0
		.amdhsa_kernarg_size 40
		.amdhsa_user_sgpr_count 6
		.amdhsa_user_sgpr_private_segment_buffer 1
		.amdhsa_user_sgpr_dispatch_ptr 0
		.amdhsa_user_sgpr_queue_ptr 0
		.amdhsa_user_sgpr_kernarg_segment_ptr 1
		.amdhsa_user_sgpr_dispatch_id 0
		.amdhsa_user_sgpr_flat_scratch_init 0
		.amdhsa_user_sgpr_kernarg_preload_length 0
		.amdhsa_user_sgpr_kernarg_preload_offset 0
		.amdhsa_user_sgpr_private_segment_size 0
		.amdhsa_uses_dynamic_stack 0
		.amdhsa_system_sgpr_private_segment_wavefront_offset 0
		.amdhsa_system_sgpr_workgroup_id_x 1
		.amdhsa_system_sgpr_workgroup_id_y 0
		.amdhsa_system_sgpr_workgroup_id_z 0
		.amdhsa_system_sgpr_workgroup_info 0
		.amdhsa_system_vgpr_workitem_id 0
		.amdhsa_next_free_vgpr 1
		.amdhsa_next_free_sgpr 0
		.amdhsa_accum_offset 4
		.amdhsa_reserve_vcc 0
		.amdhsa_reserve_flat_scratch 0
		.amdhsa_float_round_mode_32 0
		.amdhsa_float_round_mode_16_64 0
		.amdhsa_float_denorm_mode_32 3
		.amdhsa_float_denorm_mode_16_64 3
		.amdhsa_dx10_clamp 1
		.amdhsa_ieee_mode 1
		.amdhsa_fp16_overflow 0
		.amdhsa_tg_split 0
		.amdhsa_exception_fp_ieee_invalid_op 0
		.amdhsa_exception_fp_denorm_src 0
		.amdhsa_exception_fp_ieee_div_zero 0
		.amdhsa_exception_fp_ieee_overflow 0
		.amdhsa_exception_fp_ieee_underflow 0
		.amdhsa_exception_fp_ieee_inexact 0
		.amdhsa_exception_int_div_zero 0
	.end_amdhsa_kernel
	.section	.text._ZN7rocprim17ROCPRIM_400000_NS6detail17trampoline_kernelINS0_14default_configENS1_20scan_config_selectorIxEEZZNS1_9scan_implILNS1_25lookback_scan_determinismE0ELb0ELb0ES3_N6thrust23THRUST_200600_302600_NS6detail15normal_iteratorINS9_10device_ptrIxEEEESE_xNS9_4plusIxEExEEDaPvRmT3_T4_T5_mT6_P12ihipStream_tbENKUlT_T0_E_clISt17integral_constantIbLb1EEST_IbLb0EEEEDaSP_SQ_EUlSP_E0_NS1_11comp_targetILNS1_3genE3ELNS1_11target_archE908ELNS1_3gpuE7ELNS1_3repE0EEENS1_30default_config_static_selectorELNS0_4arch9wavefront6targetE1EEEvT1_,"axG",@progbits,_ZN7rocprim17ROCPRIM_400000_NS6detail17trampoline_kernelINS0_14default_configENS1_20scan_config_selectorIxEEZZNS1_9scan_implILNS1_25lookback_scan_determinismE0ELb0ELb0ES3_N6thrust23THRUST_200600_302600_NS6detail15normal_iteratorINS9_10device_ptrIxEEEESE_xNS9_4plusIxEExEEDaPvRmT3_T4_T5_mT6_P12ihipStream_tbENKUlT_T0_E_clISt17integral_constantIbLb1EEST_IbLb0EEEEDaSP_SQ_EUlSP_E0_NS1_11comp_targetILNS1_3genE3ELNS1_11target_archE908ELNS1_3gpuE7ELNS1_3repE0EEENS1_30default_config_static_selectorELNS0_4arch9wavefront6targetE1EEEvT1_,comdat
.Lfunc_end246:
	.size	_ZN7rocprim17ROCPRIM_400000_NS6detail17trampoline_kernelINS0_14default_configENS1_20scan_config_selectorIxEEZZNS1_9scan_implILNS1_25lookback_scan_determinismE0ELb0ELb0ES3_N6thrust23THRUST_200600_302600_NS6detail15normal_iteratorINS9_10device_ptrIxEEEESE_xNS9_4plusIxEExEEDaPvRmT3_T4_T5_mT6_P12ihipStream_tbENKUlT_T0_E_clISt17integral_constantIbLb1EEST_IbLb0EEEEDaSP_SQ_EUlSP_E0_NS1_11comp_targetILNS1_3genE3ELNS1_11target_archE908ELNS1_3gpuE7ELNS1_3repE0EEENS1_30default_config_static_selectorELNS0_4arch9wavefront6targetE1EEEvT1_, .Lfunc_end246-_ZN7rocprim17ROCPRIM_400000_NS6detail17trampoline_kernelINS0_14default_configENS1_20scan_config_selectorIxEEZZNS1_9scan_implILNS1_25lookback_scan_determinismE0ELb0ELb0ES3_N6thrust23THRUST_200600_302600_NS6detail15normal_iteratorINS9_10device_ptrIxEEEESE_xNS9_4plusIxEExEEDaPvRmT3_T4_T5_mT6_P12ihipStream_tbENKUlT_T0_E_clISt17integral_constantIbLb1EEST_IbLb0EEEEDaSP_SQ_EUlSP_E0_NS1_11comp_targetILNS1_3genE3ELNS1_11target_archE908ELNS1_3gpuE7ELNS1_3repE0EEENS1_30default_config_static_selectorELNS0_4arch9wavefront6targetE1EEEvT1_
                                        ; -- End function
	.section	.AMDGPU.csdata,"",@progbits
; Kernel info:
; codeLenInByte = 0
; NumSgprs: 4
; NumVgprs: 0
; NumAgprs: 0
; TotalNumVgprs: 0
; ScratchSize: 0
; MemoryBound: 0
; FloatMode: 240
; IeeeMode: 1
; LDSByteSize: 0 bytes/workgroup (compile time only)
; SGPRBlocks: 0
; VGPRBlocks: 0
; NumSGPRsForWavesPerEU: 4
; NumVGPRsForWavesPerEU: 1
; AccumOffset: 4
; Occupancy: 8
; WaveLimiterHint : 0
; COMPUTE_PGM_RSRC2:SCRATCH_EN: 0
; COMPUTE_PGM_RSRC2:USER_SGPR: 6
; COMPUTE_PGM_RSRC2:TRAP_HANDLER: 0
; COMPUTE_PGM_RSRC2:TGID_X_EN: 1
; COMPUTE_PGM_RSRC2:TGID_Y_EN: 0
; COMPUTE_PGM_RSRC2:TGID_Z_EN: 0
; COMPUTE_PGM_RSRC2:TIDIG_COMP_CNT: 0
; COMPUTE_PGM_RSRC3_GFX90A:ACCUM_OFFSET: 0
; COMPUTE_PGM_RSRC3_GFX90A:TG_SPLIT: 0
	.section	.text._ZN7rocprim17ROCPRIM_400000_NS6detail17trampoline_kernelINS0_14default_configENS1_20scan_config_selectorIxEEZZNS1_9scan_implILNS1_25lookback_scan_determinismE0ELb0ELb0ES3_N6thrust23THRUST_200600_302600_NS6detail15normal_iteratorINS9_10device_ptrIxEEEESE_xNS9_4plusIxEExEEDaPvRmT3_T4_T5_mT6_P12ihipStream_tbENKUlT_T0_E_clISt17integral_constantIbLb1EEST_IbLb0EEEEDaSP_SQ_EUlSP_E0_NS1_11comp_targetILNS1_3genE2ELNS1_11target_archE906ELNS1_3gpuE6ELNS1_3repE0EEENS1_30default_config_static_selectorELNS0_4arch9wavefront6targetE1EEEvT1_,"axG",@progbits,_ZN7rocprim17ROCPRIM_400000_NS6detail17trampoline_kernelINS0_14default_configENS1_20scan_config_selectorIxEEZZNS1_9scan_implILNS1_25lookback_scan_determinismE0ELb0ELb0ES3_N6thrust23THRUST_200600_302600_NS6detail15normal_iteratorINS9_10device_ptrIxEEEESE_xNS9_4plusIxEExEEDaPvRmT3_T4_T5_mT6_P12ihipStream_tbENKUlT_T0_E_clISt17integral_constantIbLb1EEST_IbLb0EEEEDaSP_SQ_EUlSP_E0_NS1_11comp_targetILNS1_3genE2ELNS1_11target_archE906ELNS1_3gpuE6ELNS1_3repE0EEENS1_30default_config_static_selectorELNS0_4arch9wavefront6targetE1EEEvT1_,comdat
	.protected	_ZN7rocprim17ROCPRIM_400000_NS6detail17trampoline_kernelINS0_14default_configENS1_20scan_config_selectorIxEEZZNS1_9scan_implILNS1_25lookback_scan_determinismE0ELb0ELb0ES3_N6thrust23THRUST_200600_302600_NS6detail15normal_iteratorINS9_10device_ptrIxEEEESE_xNS9_4plusIxEExEEDaPvRmT3_T4_T5_mT6_P12ihipStream_tbENKUlT_T0_E_clISt17integral_constantIbLb1EEST_IbLb0EEEEDaSP_SQ_EUlSP_E0_NS1_11comp_targetILNS1_3genE2ELNS1_11target_archE906ELNS1_3gpuE6ELNS1_3repE0EEENS1_30default_config_static_selectorELNS0_4arch9wavefront6targetE1EEEvT1_ ; -- Begin function _ZN7rocprim17ROCPRIM_400000_NS6detail17trampoline_kernelINS0_14default_configENS1_20scan_config_selectorIxEEZZNS1_9scan_implILNS1_25lookback_scan_determinismE0ELb0ELb0ES3_N6thrust23THRUST_200600_302600_NS6detail15normal_iteratorINS9_10device_ptrIxEEEESE_xNS9_4plusIxEExEEDaPvRmT3_T4_T5_mT6_P12ihipStream_tbENKUlT_T0_E_clISt17integral_constantIbLb1EEST_IbLb0EEEEDaSP_SQ_EUlSP_E0_NS1_11comp_targetILNS1_3genE2ELNS1_11target_archE906ELNS1_3gpuE6ELNS1_3repE0EEENS1_30default_config_static_selectorELNS0_4arch9wavefront6targetE1EEEvT1_
	.globl	_ZN7rocprim17ROCPRIM_400000_NS6detail17trampoline_kernelINS0_14default_configENS1_20scan_config_selectorIxEEZZNS1_9scan_implILNS1_25lookback_scan_determinismE0ELb0ELb0ES3_N6thrust23THRUST_200600_302600_NS6detail15normal_iteratorINS9_10device_ptrIxEEEESE_xNS9_4plusIxEExEEDaPvRmT3_T4_T5_mT6_P12ihipStream_tbENKUlT_T0_E_clISt17integral_constantIbLb1EEST_IbLb0EEEEDaSP_SQ_EUlSP_E0_NS1_11comp_targetILNS1_3genE2ELNS1_11target_archE906ELNS1_3gpuE6ELNS1_3repE0EEENS1_30default_config_static_selectorELNS0_4arch9wavefront6targetE1EEEvT1_
	.p2align	8
	.type	_ZN7rocprim17ROCPRIM_400000_NS6detail17trampoline_kernelINS0_14default_configENS1_20scan_config_selectorIxEEZZNS1_9scan_implILNS1_25lookback_scan_determinismE0ELb0ELb0ES3_N6thrust23THRUST_200600_302600_NS6detail15normal_iteratorINS9_10device_ptrIxEEEESE_xNS9_4plusIxEExEEDaPvRmT3_T4_T5_mT6_P12ihipStream_tbENKUlT_T0_E_clISt17integral_constantIbLb1EEST_IbLb0EEEEDaSP_SQ_EUlSP_E0_NS1_11comp_targetILNS1_3genE2ELNS1_11target_archE906ELNS1_3gpuE6ELNS1_3repE0EEENS1_30default_config_static_selectorELNS0_4arch9wavefront6targetE1EEEvT1_,@function
_ZN7rocprim17ROCPRIM_400000_NS6detail17trampoline_kernelINS0_14default_configENS1_20scan_config_selectorIxEEZZNS1_9scan_implILNS1_25lookback_scan_determinismE0ELb0ELb0ES3_N6thrust23THRUST_200600_302600_NS6detail15normal_iteratorINS9_10device_ptrIxEEEESE_xNS9_4plusIxEExEEDaPvRmT3_T4_T5_mT6_P12ihipStream_tbENKUlT_T0_E_clISt17integral_constantIbLb1EEST_IbLb0EEEEDaSP_SQ_EUlSP_E0_NS1_11comp_targetILNS1_3genE2ELNS1_11target_archE906ELNS1_3gpuE6ELNS1_3repE0EEENS1_30default_config_static_selectorELNS0_4arch9wavefront6targetE1EEEvT1_: ; @_ZN7rocprim17ROCPRIM_400000_NS6detail17trampoline_kernelINS0_14default_configENS1_20scan_config_selectorIxEEZZNS1_9scan_implILNS1_25lookback_scan_determinismE0ELb0ELb0ES3_N6thrust23THRUST_200600_302600_NS6detail15normal_iteratorINS9_10device_ptrIxEEEESE_xNS9_4plusIxEExEEDaPvRmT3_T4_T5_mT6_P12ihipStream_tbENKUlT_T0_E_clISt17integral_constantIbLb1EEST_IbLb0EEEEDaSP_SQ_EUlSP_E0_NS1_11comp_targetILNS1_3genE2ELNS1_11target_archE906ELNS1_3gpuE6ELNS1_3repE0EEENS1_30default_config_static_selectorELNS0_4arch9wavefront6targetE1EEEvT1_
; %bb.0:
	.section	.rodata,"a",@progbits
	.p2align	6, 0x0
	.amdhsa_kernel _ZN7rocprim17ROCPRIM_400000_NS6detail17trampoline_kernelINS0_14default_configENS1_20scan_config_selectorIxEEZZNS1_9scan_implILNS1_25lookback_scan_determinismE0ELb0ELb0ES3_N6thrust23THRUST_200600_302600_NS6detail15normal_iteratorINS9_10device_ptrIxEEEESE_xNS9_4plusIxEExEEDaPvRmT3_T4_T5_mT6_P12ihipStream_tbENKUlT_T0_E_clISt17integral_constantIbLb1EEST_IbLb0EEEEDaSP_SQ_EUlSP_E0_NS1_11comp_targetILNS1_3genE2ELNS1_11target_archE906ELNS1_3gpuE6ELNS1_3repE0EEENS1_30default_config_static_selectorELNS0_4arch9wavefront6targetE1EEEvT1_
		.amdhsa_group_segment_fixed_size 0
		.amdhsa_private_segment_fixed_size 0
		.amdhsa_kernarg_size 40
		.amdhsa_user_sgpr_count 6
		.amdhsa_user_sgpr_private_segment_buffer 1
		.amdhsa_user_sgpr_dispatch_ptr 0
		.amdhsa_user_sgpr_queue_ptr 0
		.amdhsa_user_sgpr_kernarg_segment_ptr 1
		.amdhsa_user_sgpr_dispatch_id 0
		.amdhsa_user_sgpr_flat_scratch_init 0
		.amdhsa_user_sgpr_kernarg_preload_length 0
		.amdhsa_user_sgpr_kernarg_preload_offset 0
		.amdhsa_user_sgpr_private_segment_size 0
		.amdhsa_uses_dynamic_stack 0
		.amdhsa_system_sgpr_private_segment_wavefront_offset 0
		.amdhsa_system_sgpr_workgroup_id_x 1
		.amdhsa_system_sgpr_workgroup_id_y 0
		.amdhsa_system_sgpr_workgroup_id_z 0
		.amdhsa_system_sgpr_workgroup_info 0
		.amdhsa_system_vgpr_workitem_id 0
		.amdhsa_next_free_vgpr 1
		.amdhsa_next_free_sgpr 0
		.amdhsa_accum_offset 4
		.amdhsa_reserve_vcc 0
		.amdhsa_reserve_flat_scratch 0
		.amdhsa_float_round_mode_32 0
		.amdhsa_float_round_mode_16_64 0
		.amdhsa_float_denorm_mode_32 3
		.amdhsa_float_denorm_mode_16_64 3
		.amdhsa_dx10_clamp 1
		.amdhsa_ieee_mode 1
		.amdhsa_fp16_overflow 0
		.amdhsa_tg_split 0
		.amdhsa_exception_fp_ieee_invalid_op 0
		.amdhsa_exception_fp_denorm_src 0
		.amdhsa_exception_fp_ieee_div_zero 0
		.amdhsa_exception_fp_ieee_overflow 0
		.amdhsa_exception_fp_ieee_underflow 0
		.amdhsa_exception_fp_ieee_inexact 0
		.amdhsa_exception_int_div_zero 0
	.end_amdhsa_kernel
	.section	.text._ZN7rocprim17ROCPRIM_400000_NS6detail17trampoline_kernelINS0_14default_configENS1_20scan_config_selectorIxEEZZNS1_9scan_implILNS1_25lookback_scan_determinismE0ELb0ELb0ES3_N6thrust23THRUST_200600_302600_NS6detail15normal_iteratorINS9_10device_ptrIxEEEESE_xNS9_4plusIxEExEEDaPvRmT3_T4_T5_mT6_P12ihipStream_tbENKUlT_T0_E_clISt17integral_constantIbLb1EEST_IbLb0EEEEDaSP_SQ_EUlSP_E0_NS1_11comp_targetILNS1_3genE2ELNS1_11target_archE906ELNS1_3gpuE6ELNS1_3repE0EEENS1_30default_config_static_selectorELNS0_4arch9wavefront6targetE1EEEvT1_,"axG",@progbits,_ZN7rocprim17ROCPRIM_400000_NS6detail17trampoline_kernelINS0_14default_configENS1_20scan_config_selectorIxEEZZNS1_9scan_implILNS1_25lookback_scan_determinismE0ELb0ELb0ES3_N6thrust23THRUST_200600_302600_NS6detail15normal_iteratorINS9_10device_ptrIxEEEESE_xNS9_4plusIxEExEEDaPvRmT3_T4_T5_mT6_P12ihipStream_tbENKUlT_T0_E_clISt17integral_constantIbLb1EEST_IbLb0EEEEDaSP_SQ_EUlSP_E0_NS1_11comp_targetILNS1_3genE2ELNS1_11target_archE906ELNS1_3gpuE6ELNS1_3repE0EEENS1_30default_config_static_selectorELNS0_4arch9wavefront6targetE1EEEvT1_,comdat
.Lfunc_end247:
	.size	_ZN7rocprim17ROCPRIM_400000_NS6detail17trampoline_kernelINS0_14default_configENS1_20scan_config_selectorIxEEZZNS1_9scan_implILNS1_25lookback_scan_determinismE0ELb0ELb0ES3_N6thrust23THRUST_200600_302600_NS6detail15normal_iteratorINS9_10device_ptrIxEEEESE_xNS9_4plusIxEExEEDaPvRmT3_T4_T5_mT6_P12ihipStream_tbENKUlT_T0_E_clISt17integral_constantIbLb1EEST_IbLb0EEEEDaSP_SQ_EUlSP_E0_NS1_11comp_targetILNS1_3genE2ELNS1_11target_archE906ELNS1_3gpuE6ELNS1_3repE0EEENS1_30default_config_static_selectorELNS0_4arch9wavefront6targetE1EEEvT1_, .Lfunc_end247-_ZN7rocprim17ROCPRIM_400000_NS6detail17trampoline_kernelINS0_14default_configENS1_20scan_config_selectorIxEEZZNS1_9scan_implILNS1_25lookback_scan_determinismE0ELb0ELb0ES3_N6thrust23THRUST_200600_302600_NS6detail15normal_iteratorINS9_10device_ptrIxEEEESE_xNS9_4plusIxEExEEDaPvRmT3_T4_T5_mT6_P12ihipStream_tbENKUlT_T0_E_clISt17integral_constantIbLb1EEST_IbLb0EEEEDaSP_SQ_EUlSP_E0_NS1_11comp_targetILNS1_3genE2ELNS1_11target_archE906ELNS1_3gpuE6ELNS1_3repE0EEENS1_30default_config_static_selectorELNS0_4arch9wavefront6targetE1EEEvT1_
                                        ; -- End function
	.section	.AMDGPU.csdata,"",@progbits
; Kernel info:
; codeLenInByte = 0
; NumSgprs: 4
; NumVgprs: 0
; NumAgprs: 0
; TotalNumVgprs: 0
; ScratchSize: 0
; MemoryBound: 0
; FloatMode: 240
; IeeeMode: 1
; LDSByteSize: 0 bytes/workgroup (compile time only)
; SGPRBlocks: 0
; VGPRBlocks: 0
; NumSGPRsForWavesPerEU: 4
; NumVGPRsForWavesPerEU: 1
; AccumOffset: 4
; Occupancy: 8
; WaveLimiterHint : 0
; COMPUTE_PGM_RSRC2:SCRATCH_EN: 0
; COMPUTE_PGM_RSRC2:USER_SGPR: 6
; COMPUTE_PGM_RSRC2:TRAP_HANDLER: 0
; COMPUTE_PGM_RSRC2:TGID_X_EN: 1
; COMPUTE_PGM_RSRC2:TGID_Y_EN: 0
; COMPUTE_PGM_RSRC2:TGID_Z_EN: 0
; COMPUTE_PGM_RSRC2:TIDIG_COMP_CNT: 0
; COMPUTE_PGM_RSRC3_GFX90A:ACCUM_OFFSET: 0
; COMPUTE_PGM_RSRC3_GFX90A:TG_SPLIT: 0
	.section	.text._ZN7rocprim17ROCPRIM_400000_NS6detail17trampoline_kernelINS0_14default_configENS1_20scan_config_selectorIxEEZZNS1_9scan_implILNS1_25lookback_scan_determinismE0ELb0ELb0ES3_N6thrust23THRUST_200600_302600_NS6detail15normal_iteratorINS9_10device_ptrIxEEEESE_xNS9_4plusIxEExEEDaPvRmT3_T4_T5_mT6_P12ihipStream_tbENKUlT_T0_E_clISt17integral_constantIbLb1EEST_IbLb0EEEEDaSP_SQ_EUlSP_E0_NS1_11comp_targetILNS1_3genE10ELNS1_11target_archE1201ELNS1_3gpuE5ELNS1_3repE0EEENS1_30default_config_static_selectorELNS0_4arch9wavefront6targetE1EEEvT1_,"axG",@progbits,_ZN7rocprim17ROCPRIM_400000_NS6detail17trampoline_kernelINS0_14default_configENS1_20scan_config_selectorIxEEZZNS1_9scan_implILNS1_25lookback_scan_determinismE0ELb0ELb0ES3_N6thrust23THRUST_200600_302600_NS6detail15normal_iteratorINS9_10device_ptrIxEEEESE_xNS9_4plusIxEExEEDaPvRmT3_T4_T5_mT6_P12ihipStream_tbENKUlT_T0_E_clISt17integral_constantIbLb1EEST_IbLb0EEEEDaSP_SQ_EUlSP_E0_NS1_11comp_targetILNS1_3genE10ELNS1_11target_archE1201ELNS1_3gpuE5ELNS1_3repE0EEENS1_30default_config_static_selectorELNS0_4arch9wavefront6targetE1EEEvT1_,comdat
	.protected	_ZN7rocprim17ROCPRIM_400000_NS6detail17trampoline_kernelINS0_14default_configENS1_20scan_config_selectorIxEEZZNS1_9scan_implILNS1_25lookback_scan_determinismE0ELb0ELb0ES3_N6thrust23THRUST_200600_302600_NS6detail15normal_iteratorINS9_10device_ptrIxEEEESE_xNS9_4plusIxEExEEDaPvRmT3_T4_T5_mT6_P12ihipStream_tbENKUlT_T0_E_clISt17integral_constantIbLb1EEST_IbLb0EEEEDaSP_SQ_EUlSP_E0_NS1_11comp_targetILNS1_3genE10ELNS1_11target_archE1201ELNS1_3gpuE5ELNS1_3repE0EEENS1_30default_config_static_selectorELNS0_4arch9wavefront6targetE1EEEvT1_ ; -- Begin function _ZN7rocprim17ROCPRIM_400000_NS6detail17trampoline_kernelINS0_14default_configENS1_20scan_config_selectorIxEEZZNS1_9scan_implILNS1_25lookback_scan_determinismE0ELb0ELb0ES3_N6thrust23THRUST_200600_302600_NS6detail15normal_iteratorINS9_10device_ptrIxEEEESE_xNS9_4plusIxEExEEDaPvRmT3_T4_T5_mT6_P12ihipStream_tbENKUlT_T0_E_clISt17integral_constantIbLb1EEST_IbLb0EEEEDaSP_SQ_EUlSP_E0_NS1_11comp_targetILNS1_3genE10ELNS1_11target_archE1201ELNS1_3gpuE5ELNS1_3repE0EEENS1_30default_config_static_selectorELNS0_4arch9wavefront6targetE1EEEvT1_
	.globl	_ZN7rocprim17ROCPRIM_400000_NS6detail17trampoline_kernelINS0_14default_configENS1_20scan_config_selectorIxEEZZNS1_9scan_implILNS1_25lookback_scan_determinismE0ELb0ELb0ES3_N6thrust23THRUST_200600_302600_NS6detail15normal_iteratorINS9_10device_ptrIxEEEESE_xNS9_4plusIxEExEEDaPvRmT3_T4_T5_mT6_P12ihipStream_tbENKUlT_T0_E_clISt17integral_constantIbLb1EEST_IbLb0EEEEDaSP_SQ_EUlSP_E0_NS1_11comp_targetILNS1_3genE10ELNS1_11target_archE1201ELNS1_3gpuE5ELNS1_3repE0EEENS1_30default_config_static_selectorELNS0_4arch9wavefront6targetE1EEEvT1_
	.p2align	8
	.type	_ZN7rocprim17ROCPRIM_400000_NS6detail17trampoline_kernelINS0_14default_configENS1_20scan_config_selectorIxEEZZNS1_9scan_implILNS1_25lookback_scan_determinismE0ELb0ELb0ES3_N6thrust23THRUST_200600_302600_NS6detail15normal_iteratorINS9_10device_ptrIxEEEESE_xNS9_4plusIxEExEEDaPvRmT3_T4_T5_mT6_P12ihipStream_tbENKUlT_T0_E_clISt17integral_constantIbLb1EEST_IbLb0EEEEDaSP_SQ_EUlSP_E0_NS1_11comp_targetILNS1_3genE10ELNS1_11target_archE1201ELNS1_3gpuE5ELNS1_3repE0EEENS1_30default_config_static_selectorELNS0_4arch9wavefront6targetE1EEEvT1_,@function
_ZN7rocprim17ROCPRIM_400000_NS6detail17trampoline_kernelINS0_14default_configENS1_20scan_config_selectorIxEEZZNS1_9scan_implILNS1_25lookback_scan_determinismE0ELb0ELb0ES3_N6thrust23THRUST_200600_302600_NS6detail15normal_iteratorINS9_10device_ptrIxEEEESE_xNS9_4plusIxEExEEDaPvRmT3_T4_T5_mT6_P12ihipStream_tbENKUlT_T0_E_clISt17integral_constantIbLb1EEST_IbLb0EEEEDaSP_SQ_EUlSP_E0_NS1_11comp_targetILNS1_3genE10ELNS1_11target_archE1201ELNS1_3gpuE5ELNS1_3repE0EEENS1_30default_config_static_selectorELNS0_4arch9wavefront6targetE1EEEvT1_: ; @_ZN7rocprim17ROCPRIM_400000_NS6detail17trampoline_kernelINS0_14default_configENS1_20scan_config_selectorIxEEZZNS1_9scan_implILNS1_25lookback_scan_determinismE0ELb0ELb0ES3_N6thrust23THRUST_200600_302600_NS6detail15normal_iteratorINS9_10device_ptrIxEEEESE_xNS9_4plusIxEExEEDaPvRmT3_T4_T5_mT6_P12ihipStream_tbENKUlT_T0_E_clISt17integral_constantIbLb1EEST_IbLb0EEEEDaSP_SQ_EUlSP_E0_NS1_11comp_targetILNS1_3genE10ELNS1_11target_archE1201ELNS1_3gpuE5ELNS1_3repE0EEENS1_30default_config_static_selectorELNS0_4arch9wavefront6targetE1EEEvT1_
; %bb.0:
	.section	.rodata,"a",@progbits
	.p2align	6, 0x0
	.amdhsa_kernel _ZN7rocprim17ROCPRIM_400000_NS6detail17trampoline_kernelINS0_14default_configENS1_20scan_config_selectorIxEEZZNS1_9scan_implILNS1_25lookback_scan_determinismE0ELb0ELb0ES3_N6thrust23THRUST_200600_302600_NS6detail15normal_iteratorINS9_10device_ptrIxEEEESE_xNS9_4plusIxEExEEDaPvRmT3_T4_T5_mT6_P12ihipStream_tbENKUlT_T0_E_clISt17integral_constantIbLb1EEST_IbLb0EEEEDaSP_SQ_EUlSP_E0_NS1_11comp_targetILNS1_3genE10ELNS1_11target_archE1201ELNS1_3gpuE5ELNS1_3repE0EEENS1_30default_config_static_selectorELNS0_4arch9wavefront6targetE1EEEvT1_
		.amdhsa_group_segment_fixed_size 0
		.amdhsa_private_segment_fixed_size 0
		.amdhsa_kernarg_size 40
		.amdhsa_user_sgpr_count 6
		.amdhsa_user_sgpr_private_segment_buffer 1
		.amdhsa_user_sgpr_dispatch_ptr 0
		.amdhsa_user_sgpr_queue_ptr 0
		.amdhsa_user_sgpr_kernarg_segment_ptr 1
		.amdhsa_user_sgpr_dispatch_id 0
		.amdhsa_user_sgpr_flat_scratch_init 0
		.amdhsa_user_sgpr_kernarg_preload_length 0
		.amdhsa_user_sgpr_kernarg_preload_offset 0
		.amdhsa_user_sgpr_private_segment_size 0
		.amdhsa_uses_dynamic_stack 0
		.amdhsa_system_sgpr_private_segment_wavefront_offset 0
		.amdhsa_system_sgpr_workgroup_id_x 1
		.amdhsa_system_sgpr_workgroup_id_y 0
		.amdhsa_system_sgpr_workgroup_id_z 0
		.amdhsa_system_sgpr_workgroup_info 0
		.amdhsa_system_vgpr_workitem_id 0
		.amdhsa_next_free_vgpr 1
		.amdhsa_next_free_sgpr 0
		.amdhsa_accum_offset 4
		.amdhsa_reserve_vcc 0
		.amdhsa_reserve_flat_scratch 0
		.amdhsa_float_round_mode_32 0
		.amdhsa_float_round_mode_16_64 0
		.amdhsa_float_denorm_mode_32 3
		.amdhsa_float_denorm_mode_16_64 3
		.amdhsa_dx10_clamp 1
		.amdhsa_ieee_mode 1
		.amdhsa_fp16_overflow 0
		.amdhsa_tg_split 0
		.amdhsa_exception_fp_ieee_invalid_op 0
		.amdhsa_exception_fp_denorm_src 0
		.amdhsa_exception_fp_ieee_div_zero 0
		.amdhsa_exception_fp_ieee_overflow 0
		.amdhsa_exception_fp_ieee_underflow 0
		.amdhsa_exception_fp_ieee_inexact 0
		.amdhsa_exception_int_div_zero 0
	.end_amdhsa_kernel
	.section	.text._ZN7rocprim17ROCPRIM_400000_NS6detail17trampoline_kernelINS0_14default_configENS1_20scan_config_selectorIxEEZZNS1_9scan_implILNS1_25lookback_scan_determinismE0ELb0ELb0ES3_N6thrust23THRUST_200600_302600_NS6detail15normal_iteratorINS9_10device_ptrIxEEEESE_xNS9_4plusIxEExEEDaPvRmT3_T4_T5_mT6_P12ihipStream_tbENKUlT_T0_E_clISt17integral_constantIbLb1EEST_IbLb0EEEEDaSP_SQ_EUlSP_E0_NS1_11comp_targetILNS1_3genE10ELNS1_11target_archE1201ELNS1_3gpuE5ELNS1_3repE0EEENS1_30default_config_static_selectorELNS0_4arch9wavefront6targetE1EEEvT1_,"axG",@progbits,_ZN7rocprim17ROCPRIM_400000_NS6detail17trampoline_kernelINS0_14default_configENS1_20scan_config_selectorIxEEZZNS1_9scan_implILNS1_25lookback_scan_determinismE0ELb0ELb0ES3_N6thrust23THRUST_200600_302600_NS6detail15normal_iteratorINS9_10device_ptrIxEEEESE_xNS9_4plusIxEExEEDaPvRmT3_T4_T5_mT6_P12ihipStream_tbENKUlT_T0_E_clISt17integral_constantIbLb1EEST_IbLb0EEEEDaSP_SQ_EUlSP_E0_NS1_11comp_targetILNS1_3genE10ELNS1_11target_archE1201ELNS1_3gpuE5ELNS1_3repE0EEENS1_30default_config_static_selectorELNS0_4arch9wavefront6targetE1EEEvT1_,comdat
.Lfunc_end248:
	.size	_ZN7rocprim17ROCPRIM_400000_NS6detail17trampoline_kernelINS0_14default_configENS1_20scan_config_selectorIxEEZZNS1_9scan_implILNS1_25lookback_scan_determinismE0ELb0ELb0ES3_N6thrust23THRUST_200600_302600_NS6detail15normal_iteratorINS9_10device_ptrIxEEEESE_xNS9_4plusIxEExEEDaPvRmT3_T4_T5_mT6_P12ihipStream_tbENKUlT_T0_E_clISt17integral_constantIbLb1EEST_IbLb0EEEEDaSP_SQ_EUlSP_E0_NS1_11comp_targetILNS1_3genE10ELNS1_11target_archE1201ELNS1_3gpuE5ELNS1_3repE0EEENS1_30default_config_static_selectorELNS0_4arch9wavefront6targetE1EEEvT1_, .Lfunc_end248-_ZN7rocprim17ROCPRIM_400000_NS6detail17trampoline_kernelINS0_14default_configENS1_20scan_config_selectorIxEEZZNS1_9scan_implILNS1_25lookback_scan_determinismE0ELb0ELb0ES3_N6thrust23THRUST_200600_302600_NS6detail15normal_iteratorINS9_10device_ptrIxEEEESE_xNS9_4plusIxEExEEDaPvRmT3_T4_T5_mT6_P12ihipStream_tbENKUlT_T0_E_clISt17integral_constantIbLb1EEST_IbLb0EEEEDaSP_SQ_EUlSP_E0_NS1_11comp_targetILNS1_3genE10ELNS1_11target_archE1201ELNS1_3gpuE5ELNS1_3repE0EEENS1_30default_config_static_selectorELNS0_4arch9wavefront6targetE1EEEvT1_
                                        ; -- End function
	.section	.AMDGPU.csdata,"",@progbits
; Kernel info:
; codeLenInByte = 0
; NumSgprs: 4
; NumVgprs: 0
; NumAgprs: 0
; TotalNumVgprs: 0
; ScratchSize: 0
; MemoryBound: 0
; FloatMode: 240
; IeeeMode: 1
; LDSByteSize: 0 bytes/workgroup (compile time only)
; SGPRBlocks: 0
; VGPRBlocks: 0
; NumSGPRsForWavesPerEU: 4
; NumVGPRsForWavesPerEU: 1
; AccumOffset: 4
; Occupancy: 8
; WaveLimiterHint : 0
; COMPUTE_PGM_RSRC2:SCRATCH_EN: 0
; COMPUTE_PGM_RSRC2:USER_SGPR: 6
; COMPUTE_PGM_RSRC2:TRAP_HANDLER: 0
; COMPUTE_PGM_RSRC2:TGID_X_EN: 1
; COMPUTE_PGM_RSRC2:TGID_Y_EN: 0
; COMPUTE_PGM_RSRC2:TGID_Z_EN: 0
; COMPUTE_PGM_RSRC2:TIDIG_COMP_CNT: 0
; COMPUTE_PGM_RSRC3_GFX90A:ACCUM_OFFSET: 0
; COMPUTE_PGM_RSRC3_GFX90A:TG_SPLIT: 0
	.section	.text._ZN7rocprim17ROCPRIM_400000_NS6detail17trampoline_kernelINS0_14default_configENS1_20scan_config_selectorIxEEZZNS1_9scan_implILNS1_25lookback_scan_determinismE0ELb0ELb0ES3_N6thrust23THRUST_200600_302600_NS6detail15normal_iteratorINS9_10device_ptrIxEEEESE_xNS9_4plusIxEExEEDaPvRmT3_T4_T5_mT6_P12ihipStream_tbENKUlT_T0_E_clISt17integral_constantIbLb1EEST_IbLb0EEEEDaSP_SQ_EUlSP_E0_NS1_11comp_targetILNS1_3genE10ELNS1_11target_archE1200ELNS1_3gpuE4ELNS1_3repE0EEENS1_30default_config_static_selectorELNS0_4arch9wavefront6targetE1EEEvT1_,"axG",@progbits,_ZN7rocprim17ROCPRIM_400000_NS6detail17trampoline_kernelINS0_14default_configENS1_20scan_config_selectorIxEEZZNS1_9scan_implILNS1_25lookback_scan_determinismE0ELb0ELb0ES3_N6thrust23THRUST_200600_302600_NS6detail15normal_iteratorINS9_10device_ptrIxEEEESE_xNS9_4plusIxEExEEDaPvRmT3_T4_T5_mT6_P12ihipStream_tbENKUlT_T0_E_clISt17integral_constantIbLb1EEST_IbLb0EEEEDaSP_SQ_EUlSP_E0_NS1_11comp_targetILNS1_3genE10ELNS1_11target_archE1200ELNS1_3gpuE4ELNS1_3repE0EEENS1_30default_config_static_selectorELNS0_4arch9wavefront6targetE1EEEvT1_,comdat
	.protected	_ZN7rocprim17ROCPRIM_400000_NS6detail17trampoline_kernelINS0_14default_configENS1_20scan_config_selectorIxEEZZNS1_9scan_implILNS1_25lookback_scan_determinismE0ELb0ELb0ES3_N6thrust23THRUST_200600_302600_NS6detail15normal_iteratorINS9_10device_ptrIxEEEESE_xNS9_4plusIxEExEEDaPvRmT3_T4_T5_mT6_P12ihipStream_tbENKUlT_T0_E_clISt17integral_constantIbLb1EEST_IbLb0EEEEDaSP_SQ_EUlSP_E0_NS1_11comp_targetILNS1_3genE10ELNS1_11target_archE1200ELNS1_3gpuE4ELNS1_3repE0EEENS1_30default_config_static_selectorELNS0_4arch9wavefront6targetE1EEEvT1_ ; -- Begin function _ZN7rocprim17ROCPRIM_400000_NS6detail17trampoline_kernelINS0_14default_configENS1_20scan_config_selectorIxEEZZNS1_9scan_implILNS1_25lookback_scan_determinismE0ELb0ELb0ES3_N6thrust23THRUST_200600_302600_NS6detail15normal_iteratorINS9_10device_ptrIxEEEESE_xNS9_4plusIxEExEEDaPvRmT3_T4_T5_mT6_P12ihipStream_tbENKUlT_T0_E_clISt17integral_constantIbLb1EEST_IbLb0EEEEDaSP_SQ_EUlSP_E0_NS1_11comp_targetILNS1_3genE10ELNS1_11target_archE1200ELNS1_3gpuE4ELNS1_3repE0EEENS1_30default_config_static_selectorELNS0_4arch9wavefront6targetE1EEEvT1_
	.globl	_ZN7rocprim17ROCPRIM_400000_NS6detail17trampoline_kernelINS0_14default_configENS1_20scan_config_selectorIxEEZZNS1_9scan_implILNS1_25lookback_scan_determinismE0ELb0ELb0ES3_N6thrust23THRUST_200600_302600_NS6detail15normal_iteratorINS9_10device_ptrIxEEEESE_xNS9_4plusIxEExEEDaPvRmT3_T4_T5_mT6_P12ihipStream_tbENKUlT_T0_E_clISt17integral_constantIbLb1EEST_IbLb0EEEEDaSP_SQ_EUlSP_E0_NS1_11comp_targetILNS1_3genE10ELNS1_11target_archE1200ELNS1_3gpuE4ELNS1_3repE0EEENS1_30default_config_static_selectorELNS0_4arch9wavefront6targetE1EEEvT1_
	.p2align	8
	.type	_ZN7rocprim17ROCPRIM_400000_NS6detail17trampoline_kernelINS0_14default_configENS1_20scan_config_selectorIxEEZZNS1_9scan_implILNS1_25lookback_scan_determinismE0ELb0ELb0ES3_N6thrust23THRUST_200600_302600_NS6detail15normal_iteratorINS9_10device_ptrIxEEEESE_xNS9_4plusIxEExEEDaPvRmT3_T4_T5_mT6_P12ihipStream_tbENKUlT_T0_E_clISt17integral_constantIbLb1EEST_IbLb0EEEEDaSP_SQ_EUlSP_E0_NS1_11comp_targetILNS1_3genE10ELNS1_11target_archE1200ELNS1_3gpuE4ELNS1_3repE0EEENS1_30default_config_static_selectorELNS0_4arch9wavefront6targetE1EEEvT1_,@function
_ZN7rocprim17ROCPRIM_400000_NS6detail17trampoline_kernelINS0_14default_configENS1_20scan_config_selectorIxEEZZNS1_9scan_implILNS1_25lookback_scan_determinismE0ELb0ELb0ES3_N6thrust23THRUST_200600_302600_NS6detail15normal_iteratorINS9_10device_ptrIxEEEESE_xNS9_4plusIxEExEEDaPvRmT3_T4_T5_mT6_P12ihipStream_tbENKUlT_T0_E_clISt17integral_constantIbLb1EEST_IbLb0EEEEDaSP_SQ_EUlSP_E0_NS1_11comp_targetILNS1_3genE10ELNS1_11target_archE1200ELNS1_3gpuE4ELNS1_3repE0EEENS1_30default_config_static_selectorELNS0_4arch9wavefront6targetE1EEEvT1_: ; @_ZN7rocprim17ROCPRIM_400000_NS6detail17trampoline_kernelINS0_14default_configENS1_20scan_config_selectorIxEEZZNS1_9scan_implILNS1_25lookback_scan_determinismE0ELb0ELb0ES3_N6thrust23THRUST_200600_302600_NS6detail15normal_iteratorINS9_10device_ptrIxEEEESE_xNS9_4plusIxEExEEDaPvRmT3_T4_T5_mT6_P12ihipStream_tbENKUlT_T0_E_clISt17integral_constantIbLb1EEST_IbLb0EEEEDaSP_SQ_EUlSP_E0_NS1_11comp_targetILNS1_3genE10ELNS1_11target_archE1200ELNS1_3gpuE4ELNS1_3repE0EEENS1_30default_config_static_selectorELNS0_4arch9wavefront6targetE1EEEvT1_
; %bb.0:
	.section	.rodata,"a",@progbits
	.p2align	6, 0x0
	.amdhsa_kernel _ZN7rocprim17ROCPRIM_400000_NS6detail17trampoline_kernelINS0_14default_configENS1_20scan_config_selectorIxEEZZNS1_9scan_implILNS1_25lookback_scan_determinismE0ELb0ELb0ES3_N6thrust23THRUST_200600_302600_NS6detail15normal_iteratorINS9_10device_ptrIxEEEESE_xNS9_4plusIxEExEEDaPvRmT3_T4_T5_mT6_P12ihipStream_tbENKUlT_T0_E_clISt17integral_constantIbLb1EEST_IbLb0EEEEDaSP_SQ_EUlSP_E0_NS1_11comp_targetILNS1_3genE10ELNS1_11target_archE1200ELNS1_3gpuE4ELNS1_3repE0EEENS1_30default_config_static_selectorELNS0_4arch9wavefront6targetE1EEEvT1_
		.amdhsa_group_segment_fixed_size 0
		.amdhsa_private_segment_fixed_size 0
		.amdhsa_kernarg_size 40
		.amdhsa_user_sgpr_count 6
		.amdhsa_user_sgpr_private_segment_buffer 1
		.amdhsa_user_sgpr_dispatch_ptr 0
		.amdhsa_user_sgpr_queue_ptr 0
		.amdhsa_user_sgpr_kernarg_segment_ptr 1
		.amdhsa_user_sgpr_dispatch_id 0
		.amdhsa_user_sgpr_flat_scratch_init 0
		.amdhsa_user_sgpr_kernarg_preload_length 0
		.amdhsa_user_sgpr_kernarg_preload_offset 0
		.amdhsa_user_sgpr_private_segment_size 0
		.amdhsa_uses_dynamic_stack 0
		.amdhsa_system_sgpr_private_segment_wavefront_offset 0
		.amdhsa_system_sgpr_workgroup_id_x 1
		.amdhsa_system_sgpr_workgroup_id_y 0
		.amdhsa_system_sgpr_workgroup_id_z 0
		.amdhsa_system_sgpr_workgroup_info 0
		.amdhsa_system_vgpr_workitem_id 0
		.amdhsa_next_free_vgpr 1
		.amdhsa_next_free_sgpr 0
		.amdhsa_accum_offset 4
		.amdhsa_reserve_vcc 0
		.amdhsa_reserve_flat_scratch 0
		.amdhsa_float_round_mode_32 0
		.amdhsa_float_round_mode_16_64 0
		.amdhsa_float_denorm_mode_32 3
		.amdhsa_float_denorm_mode_16_64 3
		.amdhsa_dx10_clamp 1
		.amdhsa_ieee_mode 1
		.amdhsa_fp16_overflow 0
		.amdhsa_tg_split 0
		.amdhsa_exception_fp_ieee_invalid_op 0
		.amdhsa_exception_fp_denorm_src 0
		.amdhsa_exception_fp_ieee_div_zero 0
		.amdhsa_exception_fp_ieee_overflow 0
		.amdhsa_exception_fp_ieee_underflow 0
		.amdhsa_exception_fp_ieee_inexact 0
		.amdhsa_exception_int_div_zero 0
	.end_amdhsa_kernel
	.section	.text._ZN7rocprim17ROCPRIM_400000_NS6detail17trampoline_kernelINS0_14default_configENS1_20scan_config_selectorIxEEZZNS1_9scan_implILNS1_25lookback_scan_determinismE0ELb0ELb0ES3_N6thrust23THRUST_200600_302600_NS6detail15normal_iteratorINS9_10device_ptrIxEEEESE_xNS9_4plusIxEExEEDaPvRmT3_T4_T5_mT6_P12ihipStream_tbENKUlT_T0_E_clISt17integral_constantIbLb1EEST_IbLb0EEEEDaSP_SQ_EUlSP_E0_NS1_11comp_targetILNS1_3genE10ELNS1_11target_archE1200ELNS1_3gpuE4ELNS1_3repE0EEENS1_30default_config_static_selectorELNS0_4arch9wavefront6targetE1EEEvT1_,"axG",@progbits,_ZN7rocprim17ROCPRIM_400000_NS6detail17trampoline_kernelINS0_14default_configENS1_20scan_config_selectorIxEEZZNS1_9scan_implILNS1_25lookback_scan_determinismE0ELb0ELb0ES3_N6thrust23THRUST_200600_302600_NS6detail15normal_iteratorINS9_10device_ptrIxEEEESE_xNS9_4plusIxEExEEDaPvRmT3_T4_T5_mT6_P12ihipStream_tbENKUlT_T0_E_clISt17integral_constantIbLb1EEST_IbLb0EEEEDaSP_SQ_EUlSP_E0_NS1_11comp_targetILNS1_3genE10ELNS1_11target_archE1200ELNS1_3gpuE4ELNS1_3repE0EEENS1_30default_config_static_selectorELNS0_4arch9wavefront6targetE1EEEvT1_,comdat
.Lfunc_end249:
	.size	_ZN7rocprim17ROCPRIM_400000_NS6detail17trampoline_kernelINS0_14default_configENS1_20scan_config_selectorIxEEZZNS1_9scan_implILNS1_25lookback_scan_determinismE0ELb0ELb0ES3_N6thrust23THRUST_200600_302600_NS6detail15normal_iteratorINS9_10device_ptrIxEEEESE_xNS9_4plusIxEExEEDaPvRmT3_T4_T5_mT6_P12ihipStream_tbENKUlT_T0_E_clISt17integral_constantIbLb1EEST_IbLb0EEEEDaSP_SQ_EUlSP_E0_NS1_11comp_targetILNS1_3genE10ELNS1_11target_archE1200ELNS1_3gpuE4ELNS1_3repE0EEENS1_30default_config_static_selectorELNS0_4arch9wavefront6targetE1EEEvT1_, .Lfunc_end249-_ZN7rocprim17ROCPRIM_400000_NS6detail17trampoline_kernelINS0_14default_configENS1_20scan_config_selectorIxEEZZNS1_9scan_implILNS1_25lookback_scan_determinismE0ELb0ELb0ES3_N6thrust23THRUST_200600_302600_NS6detail15normal_iteratorINS9_10device_ptrIxEEEESE_xNS9_4plusIxEExEEDaPvRmT3_T4_T5_mT6_P12ihipStream_tbENKUlT_T0_E_clISt17integral_constantIbLb1EEST_IbLb0EEEEDaSP_SQ_EUlSP_E0_NS1_11comp_targetILNS1_3genE10ELNS1_11target_archE1200ELNS1_3gpuE4ELNS1_3repE0EEENS1_30default_config_static_selectorELNS0_4arch9wavefront6targetE1EEEvT1_
                                        ; -- End function
	.section	.AMDGPU.csdata,"",@progbits
; Kernel info:
; codeLenInByte = 0
; NumSgprs: 4
; NumVgprs: 0
; NumAgprs: 0
; TotalNumVgprs: 0
; ScratchSize: 0
; MemoryBound: 0
; FloatMode: 240
; IeeeMode: 1
; LDSByteSize: 0 bytes/workgroup (compile time only)
; SGPRBlocks: 0
; VGPRBlocks: 0
; NumSGPRsForWavesPerEU: 4
; NumVGPRsForWavesPerEU: 1
; AccumOffset: 4
; Occupancy: 8
; WaveLimiterHint : 0
; COMPUTE_PGM_RSRC2:SCRATCH_EN: 0
; COMPUTE_PGM_RSRC2:USER_SGPR: 6
; COMPUTE_PGM_RSRC2:TRAP_HANDLER: 0
; COMPUTE_PGM_RSRC2:TGID_X_EN: 1
; COMPUTE_PGM_RSRC2:TGID_Y_EN: 0
; COMPUTE_PGM_RSRC2:TGID_Z_EN: 0
; COMPUTE_PGM_RSRC2:TIDIG_COMP_CNT: 0
; COMPUTE_PGM_RSRC3_GFX90A:ACCUM_OFFSET: 0
; COMPUTE_PGM_RSRC3_GFX90A:TG_SPLIT: 0
	.section	.text._ZN7rocprim17ROCPRIM_400000_NS6detail17trampoline_kernelINS0_14default_configENS1_20scan_config_selectorIxEEZZNS1_9scan_implILNS1_25lookback_scan_determinismE0ELb0ELb0ES3_N6thrust23THRUST_200600_302600_NS6detail15normal_iteratorINS9_10device_ptrIxEEEESE_xNS9_4plusIxEExEEDaPvRmT3_T4_T5_mT6_P12ihipStream_tbENKUlT_T0_E_clISt17integral_constantIbLb1EEST_IbLb0EEEEDaSP_SQ_EUlSP_E0_NS1_11comp_targetILNS1_3genE9ELNS1_11target_archE1100ELNS1_3gpuE3ELNS1_3repE0EEENS1_30default_config_static_selectorELNS0_4arch9wavefront6targetE1EEEvT1_,"axG",@progbits,_ZN7rocprim17ROCPRIM_400000_NS6detail17trampoline_kernelINS0_14default_configENS1_20scan_config_selectorIxEEZZNS1_9scan_implILNS1_25lookback_scan_determinismE0ELb0ELb0ES3_N6thrust23THRUST_200600_302600_NS6detail15normal_iteratorINS9_10device_ptrIxEEEESE_xNS9_4plusIxEExEEDaPvRmT3_T4_T5_mT6_P12ihipStream_tbENKUlT_T0_E_clISt17integral_constantIbLb1EEST_IbLb0EEEEDaSP_SQ_EUlSP_E0_NS1_11comp_targetILNS1_3genE9ELNS1_11target_archE1100ELNS1_3gpuE3ELNS1_3repE0EEENS1_30default_config_static_selectorELNS0_4arch9wavefront6targetE1EEEvT1_,comdat
	.protected	_ZN7rocprim17ROCPRIM_400000_NS6detail17trampoline_kernelINS0_14default_configENS1_20scan_config_selectorIxEEZZNS1_9scan_implILNS1_25lookback_scan_determinismE0ELb0ELb0ES3_N6thrust23THRUST_200600_302600_NS6detail15normal_iteratorINS9_10device_ptrIxEEEESE_xNS9_4plusIxEExEEDaPvRmT3_T4_T5_mT6_P12ihipStream_tbENKUlT_T0_E_clISt17integral_constantIbLb1EEST_IbLb0EEEEDaSP_SQ_EUlSP_E0_NS1_11comp_targetILNS1_3genE9ELNS1_11target_archE1100ELNS1_3gpuE3ELNS1_3repE0EEENS1_30default_config_static_selectorELNS0_4arch9wavefront6targetE1EEEvT1_ ; -- Begin function _ZN7rocprim17ROCPRIM_400000_NS6detail17trampoline_kernelINS0_14default_configENS1_20scan_config_selectorIxEEZZNS1_9scan_implILNS1_25lookback_scan_determinismE0ELb0ELb0ES3_N6thrust23THRUST_200600_302600_NS6detail15normal_iteratorINS9_10device_ptrIxEEEESE_xNS9_4plusIxEExEEDaPvRmT3_T4_T5_mT6_P12ihipStream_tbENKUlT_T0_E_clISt17integral_constantIbLb1EEST_IbLb0EEEEDaSP_SQ_EUlSP_E0_NS1_11comp_targetILNS1_3genE9ELNS1_11target_archE1100ELNS1_3gpuE3ELNS1_3repE0EEENS1_30default_config_static_selectorELNS0_4arch9wavefront6targetE1EEEvT1_
	.globl	_ZN7rocprim17ROCPRIM_400000_NS6detail17trampoline_kernelINS0_14default_configENS1_20scan_config_selectorIxEEZZNS1_9scan_implILNS1_25lookback_scan_determinismE0ELb0ELb0ES3_N6thrust23THRUST_200600_302600_NS6detail15normal_iteratorINS9_10device_ptrIxEEEESE_xNS9_4plusIxEExEEDaPvRmT3_T4_T5_mT6_P12ihipStream_tbENKUlT_T0_E_clISt17integral_constantIbLb1EEST_IbLb0EEEEDaSP_SQ_EUlSP_E0_NS1_11comp_targetILNS1_3genE9ELNS1_11target_archE1100ELNS1_3gpuE3ELNS1_3repE0EEENS1_30default_config_static_selectorELNS0_4arch9wavefront6targetE1EEEvT1_
	.p2align	8
	.type	_ZN7rocprim17ROCPRIM_400000_NS6detail17trampoline_kernelINS0_14default_configENS1_20scan_config_selectorIxEEZZNS1_9scan_implILNS1_25lookback_scan_determinismE0ELb0ELb0ES3_N6thrust23THRUST_200600_302600_NS6detail15normal_iteratorINS9_10device_ptrIxEEEESE_xNS9_4plusIxEExEEDaPvRmT3_T4_T5_mT6_P12ihipStream_tbENKUlT_T0_E_clISt17integral_constantIbLb1EEST_IbLb0EEEEDaSP_SQ_EUlSP_E0_NS1_11comp_targetILNS1_3genE9ELNS1_11target_archE1100ELNS1_3gpuE3ELNS1_3repE0EEENS1_30default_config_static_selectorELNS0_4arch9wavefront6targetE1EEEvT1_,@function
_ZN7rocprim17ROCPRIM_400000_NS6detail17trampoline_kernelINS0_14default_configENS1_20scan_config_selectorIxEEZZNS1_9scan_implILNS1_25lookback_scan_determinismE0ELb0ELb0ES3_N6thrust23THRUST_200600_302600_NS6detail15normal_iteratorINS9_10device_ptrIxEEEESE_xNS9_4plusIxEExEEDaPvRmT3_T4_T5_mT6_P12ihipStream_tbENKUlT_T0_E_clISt17integral_constantIbLb1EEST_IbLb0EEEEDaSP_SQ_EUlSP_E0_NS1_11comp_targetILNS1_3genE9ELNS1_11target_archE1100ELNS1_3gpuE3ELNS1_3repE0EEENS1_30default_config_static_selectorELNS0_4arch9wavefront6targetE1EEEvT1_: ; @_ZN7rocprim17ROCPRIM_400000_NS6detail17trampoline_kernelINS0_14default_configENS1_20scan_config_selectorIxEEZZNS1_9scan_implILNS1_25lookback_scan_determinismE0ELb0ELb0ES3_N6thrust23THRUST_200600_302600_NS6detail15normal_iteratorINS9_10device_ptrIxEEEESE_xNS9_4plusIxEExEEDaPvRmT3_T4_T5_mT6_P12ihipStream_tbENKUlT_T0_E_clISt17integral_constantIbLb1EEST_IbLb0EEEEDaSP_SQ_EUlSP_E0_NS1_11comp_targetILNS1_3genE9ELNS1_11target_archE1100ELNS1_3gpuE3ELNS1_3repE0EEENS1_30default_config_static_selectorELNS0_4arch9wavefront6targetE1EEEvT1_
; %bb.0:
	.section	.rodata,"a",@progbits
	.p2align	6, 0x0
	.amdhsa_kernel _ZN7rocprim17ROCPRIM_400000_NS6detail17trampoline_kernelINS0_14default_configENS1_20scan_config_selectorIxEEZZNS1_9scan_implILNS1_25lookback_scan_determinismE0ELb0ELb0ES3_N6thrust23THRUST_200600_302600_NS6detail15normal_iteratorINS9_10device_ptrIxEEEESE_xNS9_4plusIxEExEEDaPvRmT3_T4_T5_mT6_P12ihipStream_tbENKUlT_T0_E_clISt17integral_constantIbLb1EEST_IbLb0EEEEDaSP_SQ_EUlSP_E0_NS1_11comp_targetILNS1_3genE9ELNS1_11target_archE1100ELNS1_3gpuE3ELNS1_3repE0EEENS1_30default_config_static_selectorELNS0_4arch9wavefront6targetE1EEEvT1_
		.amdhsa_group_segment_fixed_size 0
		.amdhsa_private_segment_fixed_size 0
		.amdhsa_kernarg_size 40
		.amdhsa_user_sgpr_count 6
		.amdhsa_user_sgpr_private_segment_buffer 1
		.amdhsa_user_sgpr_dispatch_ptr 0
		.amdhsa_user_sgpr_queue_ptr 0
		.amdhsa_user_sgpr_kernarg_segment_ptr 1
		.amdhsa_user_sgpr_dispatch_id 0
		.amdhsa_user_sgpr_flat_scratch_init 0
		.amdhsa_user_sgpr_kernarg_preload_length 0
		.amdhsa_user_sgpr_kernarg_preload_offset 0
		.amdhsa_user_sgpr_private_segment_size 0
		.amdhsa_uses_dynamic_stack 0
		.amdhsa_system_sgpr_private_segment_wavefront_offset 0
		.amdhsa_system_sgpr_workgroup_id_x 1
		.amdhsa_system_sgpr_workgroup_id_y 0
		.amdhsa_system_sgpr_workgroup_id_z 0
		.amdhsa_system_sgpr_workgroup_info 0
		.amdhsa_system_vgpr_workitem_id 0
		.amdhsa_next_free_vgpr 1
		.amdhsa_next_free_sgpr 0
		.amdhsa_accum_offset 4
		.amdhsa_reserve_vcc 0
		.amdhsa_reserve_flat_scratch 0
		.amdhsa_float_round_mode_32 0
		.amdhsa_float_round_mode_16_64 0
		.amdhsa_float_denorm_mode_32 3
		.amdhsa_float_denorm_mode_16_64 3
		.amdhsa_dx10_clamp 1
		.amdhsa_ieee_mode 1
		.amdhsa_fp16_overflow 0
		.amdhsa_tg_split 0
		.amdhsa_exception_fp_ieee_invalid_op 0
		.amdhsa_exception_fp_denorm_src 0
		.amdhsa_exception_fp_ieee_div_zero 0
		.amdhsa_exception_fp_ieee_overflow 0
		.amdhsa_exception_fp_ieee_underflow 0
		.amdhsa_exception_fp_ieee_inexact 0
		.amdhsa_exception_int_div_zero 0
	.end_amdhsa_kernel
	.section	.text._ZN7rocprim17ROCPRIM_400000_NS6detail17trampoline_kernelINS0_14default_configENS1_20scan_config_selectorIxEEZZNS1_9scan_implILNS1_25lookback_scan_determinismE0ELb0ELb0ES3_N6thrust23THRUST_200600_302600_NS6detail15normal_iteratorINS9_10device_ptrIxEEEESE_xNS9_4plusIxEExEEDaPvRmT3_T4_T5_mT6_P12ihipStream_tbENKUlT_T0_E_clISt17integral_constantIbLb1EEST_IbLb0EEEEDaSP_SQ_EUlSP_E0_NS1_11comp_targetILNS1_3genE9ELNS1_11target_archE1100ELNS1_3gpuE3ELNS1_3repE0EEENS1_30default_config_static_selectorELNS0_4arch9wavefront6targetE1EEEvT1_,"axG",@progbits,_ZN7rocprim17ROCPRIM_400000_NS6detail17trampoline_kernelINS0_14default_configENS1_20scan_config_selectorIxEEZZNS1_9scan_implILNS1_25lookback_scan_determinismE0ELb0ELb0ES3_N6thrust23THRUST_200600_302600_NS6detail15normal_iteratorINS9_10device_ptrIxEEEESE_xNS9_4plusIxEExEEDaPvRmT3_T4_T5_mT6_P12ihipStream_tbENKUlT_T0_E_clISt17integral_constantIbLb1EEST_IbLb0EEEEDaSP_SQ_EUlSP_E0_NS1_11comp_targetILNS1_3genE9ELNS1_11target_archE1100ELNS1_3gpuE3ELNS1_3repE0EEENS1_30default_config_static_selectorELNS0_4arch9wavefront6targetE1EEEvT1_,comdat
.Lfunc_end250:
	.size	_ZN7rocprim17ROCPRIM_400000_NS6detail17trampoline_kernelINS0_14default_configENS1_20scan_config_selectorIxEEZZNS1_9scan_implILNS1_25lookback_scan_determinismE0ELb0ELb0ES3_N6thrust23THRUST_200600_302600_NS6detail15normal_iteratorINS9_10device_ptrIxEEEESE_xNS9_4plusIxEExEEDaPvRmT3_T4_T5_mT6_P12ihipStream_tbENKUlT_T0_E_clISt17integral_constantIbLb1EEST_IbLb0EEEEDaSP_SQ_EUlSP_E0_NS1_11comp_targetILNS1_3genE9ELNS1_11target_archE1100ELNS1_3gpuE3ELNS1_3repE0EEENS1_30default_config_static_selectorELNS0_4arch9wavefront6targetE1EEEvT1_, .Lfunc_end250-_ZN7rocprim17ROCPRIM_400000_NS6detail17trampoline_kernelINS0_14default_configENS1_20scan_config_selectorIxEEZZNS1_9scan_implILNS1_25lookback_scan_determinismE0ELb0ELb0ES3_N6thrust23THRUST_200600_302600_NS6detail15normal_iteratorINS9_10device_ptrIxEEEESE_xNS9_4plusIxEExEEDaPvRmT3_T4_T5_mT6_P12ihipStream_tbENKUlT_T0_E_clISt17integral_constantIbLb1EEST_IbLb0EEEEDaSP_SQ_EUlSP_E0_NS1_11comp_targetILNS1_3genE9ELNS1_11target_archE1100ELNS1_3gpuE3ELNS1_3repE0EEENS1_30default_config_static_selectorELNS0_4arch9wavefront6targetE1EEEvT1_
                                        ; -- End function
	.section	.AMDGPU.csdata,"",@progbits
; Kernel info:
; codeLenInByte = 0
; NumSgprs: 4
; NumVgprs: 0
; NumAgprs: 0
; TotalNumVgprs: 0
; ScratchSize: 0
; MemoryBound: 0
; FloatMode: 240
; IeeeMode: 1
; LDSByteSize: 0 bytes/workgroup (compile time only)
; SGPRBlocks: 0
; VGPRBlocks: 0
; NumSGPRsForWavesPerEU: 4
; NumVGPRsForWavesPerEU: 1
; AccumOffset: 4
; Occupancy: 8
; WaveLimiterHint : 0
; COMPUTE_PGM_RSRC2:SCRATCH_EN: 0
; COMPUTE_PGM_RSRC2:USER_SGPR: 6
; COMPUTE_PGM_RSRC2:TRAP_HANDLER: 0
; COMPUTE_PGM_RSRC2:TGID_X_EN: 1
; COMPUTE_PGM_RSRC2:TGID_Y_EN: 0
; COMPUTE_PGM_RSRC2:TGID_Z_EN: 0
; COMPUTE_PGM_RSRC2:TIDIG_COMP_CNT: 0
; COMPUTE_PGM_RSRC3_GFX90A:ACCUM_OFFSET: 0
; COMPUTE_PGM_RSRC3_GFX90A:TG_SPLIT: 0
	.section	.text._ZN7rocprim17ROCPRIM_400000_NS6detail17trampoline_kernelINS0_14default_configENS1_20scan_config_selectorIxEEZZNS1_9scan_implILNS1_25lookback_scan_determinismE0ELb0ELb0ES3_N6thrust23THRUST_200600_302600_NS6detail15normal_iteratorINS9_10device_ptrIxEEEESE_xNS9_4plusIxEExEEDaPvRmT3_T4_T5_mT6_P12ihipStream_tbENKUlT_T0_E_clISt17integral_constantIbLb1EEST_IbLb0EEEEDaSP_SQ_EUlSP_E0_NS1_11comp_targetILNS1_3genE8ELNS1_11target_archE1030ELNS1_3gpuE2ELNS1_3repE0EEENS1_30default_config_static_selectorELNS0_4arch9wavefront6targetE1EEEvT1_,"axG",@progbits,_ZN7rocprim17ROCPRIM_400000_NS6detail17trampoline_kernelINS0_14default_configENS1_20scan_config_selectorIxEEZZNS1_9scan_implILNS1_25lookback_scan_determinismE0ELb0ELb0ES3_N6thrust23THRUST_200600_302600_NS6detail15normal_iteratorINS9_10device_ptrIxEEEESE_xNS9_4plusIxEExEEDaPvRmT3_T4_T5_mT6_P12ihipStream_tbENKUlT_T0_E_clISt17integral_constantIbLb1EEST_IbLb0EEEEDaSP_SQ_EUlSP_E0_NS1_11comp_targetILNS1_3genE8ELNS1_11target_archE1030ELNS1_3gpuE2ELNS1_3repE0EEENS1_30default_config_static_selectorELNS0_4arch9wavefront6targetE1EEEvT1_,comdat
	.protected	_ZN7rocprim17ROCPRIM_400000_NS6detail17trampoline_kernelINS0_14default_configENS1_20scan_config_selectorIxEEZZNS1_9scan_implILNS1_25lookback_scan_determinismE0ELb0ELb0ES3_N6thrust23THRUST_200600_302600_NS6detail15normal_iteratorINS9_10device_ptrIxEEEESE_xNS9_4plusIxEExEEDaPvRmT3_T4_T5_mT6_P12ihipStream_tbENKUlT_T0_E_clISt17integral_constantIbLb1EEST_IbLb0EEEEDaSP_SQ_EUlSP_E0_NS1_11comp_targetILNS1_3genE8ELNS1_11target_archE1030ELNS1_3gpuE2ELNS1_3repE0EEENS1_30default_config_static_selectorELNS0_4arch9wavefront6targetE1EEEvT1_ ; -- Begin function _ZN7rocprim17ROCPRIM_400000_NS6detail17trampoline_kernelINS0_14default_configENS1_20scan_config_selectorIxEEZZNS1_9scan_implILNS1_25lookback_scan_determinismE0ELb0ELb0ES3_N6thrust23THRUST_200600_302600_NS6detail15normal_iteratorINS9_10device_ptrIxEEEESE_xNS9_4plusIxEExEEDaPvRmT3_T4_T5_mT6_P12ihipStream_tbENKUlT_T0_E_clISt17integral_constantIbLb1EEST_IbLb0EEEEDaSP_SQ_EUlSP_E0_NS1_11comp_targetILNS1_3genE8ELNS1_11target_archE1030ELNS1_3gpuE2ELNS1_3repE0EEENS1_30default_config_static_selectorELNS0_4arch9wavefront6targetE1EEEvT1_
	.globl	_ZN7rocprim17ROCPRIM_400000_NS6detail17trampoline_kernelINS0_14default_configENS1_20scan_config_selectorIxEEZZNS1_9scan_implILNS1_25lookback_scan_determinismE0ELb0ELb0ES3_N6thrust23THRUST_200600_302600_NS6detail15normal_iteratorINS9_10device_ptrIxEEEESE_xNS9_4plusIxEExEEDaPvRmT3_T4_T5_mT6_P12ihipStream_tbENKUlT_T0_E_clISt17integral_constantIbLb1EEST_IbLb0EEEEDaSP_SQ_EUlSP_E0_NS1_11comp_targetILNS1_3genE8ELNS1_11target_archE1030ELNS1_3gpuE2ELNS1_3repE0EEENS1_30default_config_static_selectorELNS0_4arch9wavefront6targetE1EEEvT1_
	.p2align	8
	.type	_ZN7rocprim17ROCPRIM_400000_NS6detail17trampoline_kernelINS0_14default_configENS1_20scan_config_selectorIxEEZZNS1_9scan_implILNS1_25lookback_scan_determinismE0ELb0ELb0ES3_N6thrust23THRUST_200600_302600_NS6detail15normal_iteratorINS9_10device_ptrIxEEEESE_xNS9_4plusIxEExEEDaPvRmT3_T4_T5_mT6_P12ihipStream_tbENKUlT_T0_E_clISt17integral_constantIbLb1EEST_IbLb0EEEEDaSP_SQ_EUlSP_E0_NS1_11comp_targetILNS1_3genE8ELNS1_11target_archE1030ELNS1_3gpuE2ELNS1_3repE0EEENS1_30default_config_static_selectorELNS0_4arch9wavefront6targetE1EEEvT1_,@function
_ZN7rocprim17ROCPRIM_400000_NS6detail17trampoline_kernelINS0_14default_configENS1_20scan_config_selectorIxEEZZNS1_9scan_implILNS1_25lookback_scan_determinismE0ELb0ELb0ES3_N6thrust23THRUST_200600_302600_NS6detail15normal_iteratorINS9_10device_ptrIxEEEESE_xNS9_4plusIxEExEEDaPvRmT3_T4_T5_mT6_P12ihipStream_tbENKUlT_T0_E_clISt17integral_constantIbLb1EEST_IbLb0EEEEDaSP_SQ_EUlSP_E0_NS1_11comp_targetILNS1_3genE8ELNS1_11target_archE1030ELNS1_3gpuE2ELNS1_3repE0EEENS1_30default_config_static_selectorELNS0_4arch9wavefront6targetE1EEEvT1_: ; @_ZN7rocprim17ROCPRIM_400000_NS6detail17trampoline_kernelINS0_14default_configENS1_20scan_config_selectorIxEEZZNS1_9scan_implILNS1_25lookback_scan_determinismE0ELb0ELb0ES3_N6thrust23THRUST_200600_302600_NS6detail15normal_iteratorINS9_10device_ptrIxEEEESE_xNS9_4plusIxEExEEDaPvRmT3_T4_T5_mT6_P12ihipStream_tbENKUlT_T0_E_clISt17integral_constantIbLb1EEST_IbLb0EEEEDaSP_SQ_EUlSP_E0_NS1_11comp_targetILNS1_3genE8ELNS1_11target_archE1030ELNS1_3gpuE2ELNS1_3repE0EEENS1_30default_config_static_selectorELNS0_4arch9wavefront6targetE1EEEvT1_
; %bb.0:
	.section	.rodata,"a",@progbits
	.p2align	6, 0x0
	.amdhsa_kernel _ZN7rocprim17ROCPRIM_400000_NS6detail17trampoline_kernelINS0_14default_configENS1_20scan_config_selectorIxEEZZNS1_9scan_implILNS1_25lookback_scan_determinismE0ELb0ELb0ES3_N6thrust23THRUST_200600_302600_NS6detail15normal_iteratorINS9_10device_ptrIxEEEESE_xNS9_4plusIxEExEEDaPvRmT3_T4_T5_mT6_P12ihipStream_tbENKUlT_T0_E_clISt17integral_constantIbLb1EEST_IbLb0EEEEDaSP_SQ_EUlSP_E0_NS1_11comp_targetILNS1_3genE8ELNS1_11target_archE1030ELNS1_3gpuE2ELNS1_3repE0EEENS1_30default_config_static_selectorELNS0_4arch9wavefront6targetE1EEEvT1_
		.amdhsa_group_segment_fixed_size 0
		.amdhsa_private_segment_fixed_size 0
		.amdhsa_kernarg_size 40
		.amdhsa_user_sgpr_count 6
		.amdhsa_user_sgpr_private_segment_buffer 1
		.amdhsa_user_sgpr_dispatch_ptr 0
		.amdhsa_user_sgpr_queue_ptr 0
		.amdhsa_user_sgpr_kernarg_segment_ptr 1
		.amdhsa_user_sgpr_dispatch_id 0
		.amdhsa_user_sgpr_flat_scratch_init 0
		.amdhsa_user_sgpr_kernarg_preload_length 0
		.amdhsa_user_sgpr_kernarg_preload_offset 0
		.amdhsa_user_sgpr_private_segment_size 0
		.amdhsa_uses_dynamic_stack 0
		.amdhsa_system_sgpr_private_segment_wavefront_offset 0
		.amdhsa_system_sgpr_workgroup_id_x 1
		.amdhsa_system_sgpr_workgroup_id_y 0
		.amdhsa_system_sgpr_workgroup_id_z 0
		.amdhsa_system_sgpr_workgroup_info 0
		.amdhsa_system_vgpr_workitem_id 0
		.amdhsa_next_free_vgpr 1
		.amdhsa_next_free_sgpr 0
		.amdhsa_accum_offset 4
		.amdhsa_reserve_vcc 0
		.amdhsa_reserve_flat_scratch 0
		.amdhsa_float_round_mode_32 0
		.amdhsa_float_round_mode_16_64 0
		.amdhsa_float_denorm_mode_32 3
		.amdhsa_float_denorm_mode_16_64 3
		.amdhsa_dx10_clamp 1
		.amdhsa_ieee_mode 1
		.amdhsa_fp16_overflow 0
		.amdhsa_tg_split 0
		.amdhsa_exception_fp_ieee_invalid_op 0
		.amdhsa_exception_fp_denorm_src 0
		.amdhsa_exception_fp_ieee_div_zero 0
		.amdhsa_exception_fp_ieee_overflow 0
		.amdhsa_exception_fp_ieee_underflow 0
		.amdhsa_exception_fp_ieee_inexact 0
		.amdhsa_exception_int_div_zero 0
	.end_amdhsa_kernel
	.section	.text._ZN7rocprim17ROCPRIM_400000_NS6detail17trampoline_kernelINS0_14default_configENS1_20scan_config_selectorIxEEZZNS1_9scan_implILNS1_25lookback_scan_determinismE0ELb0ELb0ES3_N6thrust23THRUST_200600_302600_NS6detail15normal_iteratorINS9_10device_ptrIxEEEESE_xNS9_4plusIxEExEEDaPvRmT3_T4_T5_mT6_P12ihipStream_tbENKUlT_T0_E_clISt17integral_constantIbLb1EEST_IbLb0EEEEDaSP_SQ_EUlSP_E0_NS1_11comp_targetILNS1_3genE8ELNS1_11target_archE1030ELNS1_3gpuE2ELNS1_3repE0EEENS1_30default_config_static_selectorELNS0_4arch9wavefront6targetE1EEEvT1_,"axG",@progbits,_ZN7rocprim17ROCPRIM_400000_NS6detail17trampoline_kernelINS0_14default_configENS1_20scan_config_selectorIxEEZZNS1_9scan_implILNS1_25lookback_scan_determinismE0ELb0ELb0ES3_N6thrust23THRUST_200600_302600_NS6detail15normal_iteratorINS9_10device_ptrIxEEEESE_xNS9_4plusIxEExEEDaPvRmT3_T4_T5_mT6_P12ihipStream_tbENKUlT_T0_E_clISt17integral_constantIbLb1EEST_IbLb0EEEEDaSP_SQ_EUlSP_E0_NS1_11comp_targetILNS1_3genE8ELNS1_11target_archE1030ELNS1_3gpuE2ELNS1_3repE0EEENS1_30default_config_static_selectorELNS0_4arch9wavefront6targetE1EEEvT1_,comdat
.Lfunc_end251:
	.size	_ZN7rocprim17ROCPRIM_400000_NS6detail17trampoline_kernelINS0_14default_configENS1_20scan_config_selectorIxEEZZNS1_9scan_implILNS1_25lookback_scan_determinismE0ELb0ELb0ES3_N6thrust23THRUST_200600_302600_NS6detail15normal_iteratorINS9_10device_ptrIxEEEESE_xNS9_4plusIxEExEEDaPvRmT3_T4_T5_mT6_P12ihipStream_tbENKUlT_T0_E_clISt17integral_constantIbLb1EEST_IbLb0EEEEDaSP_SQ_EUlSP_E0_NS1_11comp_targetILNS1_3genE8ELNS1_11target_archE1030ELNS1_3gpuE2ELNS1_3repE0EEENS1_30default_config_static_selectorELNS0_4arch9wavefront6targetE1EEEvT1_, .Lfunc_end251-_ZN7rocprim17ROCPRIM_400000_NS6detail17trampoline_kernelINS0_14default_configENS1_20scan_config_selectorIxEEZZNS1_9scan_implILNS1_25lookback_scan_determinismE0ELb0ELb0ES3_N6thrust23THRUST_200600_302600_NS6detail15normal_iteratorINS9_10device_ptrIxEEEESE_xNS9_4plusIxEExEEDaPvRmT3_T4_T5_mT6_P12ihipStream_tbENKUlT_T0_E_clISt17integral_constantIbLb1EEST_IbLb0EEEEDaSP_SQ_EUlSP_E0_NS1_11comp_targetILNS1_3genE8ELNS1_11target_archE1030ELNS1_3gpuE2ELNS1_3repE0EEENS1_30default_config_static_selectorELNS0_4arch9wavefront6targetE1EEEvT1_
                                        ; -- End function
	.section	.AMDGPU.csdata,"",@progbits
; Kernel info:
; codeLenInByte = 0
; NumSgprs: 4
; NumVgprs: 0
; NumAgprs: 0
; TotalNumVgprs: 0
; ScratchSize: 0
; MemoryBound: 0
; FloatMode: 240
; IeeeMode: 1
; LDSByteSize: 0 bytes/workgroup (compile time only)
; SGPRBlocks: 0
; VGPRBlocks: 0
; NumSGPRsForWavesPerEU: 4
; NumVGPRsForWavesPerEU: 1
; AccumOffset: 4
; Occupancy: 8
; WaveLimiterHint : 0
; COMPUTE_PGM_RSRC2:SCRATCH_EN: 0
; COMPUTE_PGM_RSRC2:USER_SGPR: 6
; COMPUTE_PGM_RSRC2:TRAP_HANDLER: 0
; COMPUTE_PGM_RSRC2:TGID_X_EN: 1
; COMPUTE_PGM_RSRC2:TGID_Y_EN: 0
; COMPUTE_PGM_RSRC2:TGID_Z_EN: 0
; COMPUTE_PGM_RSRC2:TIDIG_COMP_CNT: 0
; COMPUTE_PGM_RSRC3_GFX90A:ACCUM_OFFSET: 0
; COMPUTE_PGM_RSRC3_GFX90A:TG_SPLIT: 0
	.section	.text._ZN7rocprim17ROCPRIM_400000_NS6detail17trampoline_kernelINS0_14default_configENS1_20scan_config_selectorIxEEZZNS1_9scan_implILNS1_25lookback_scan_determinismE0ELb0ELb0ES3_N6thrust23THRUST_200600_302600_NS6detail15normal_iteratorINS9_10device_ptrIxEEEESE_xNS9_4plusIxEExEEDaPvRmT3_T4_T5_mT6_P12ihipStream_tbENKUlT_T0_E_clISt17integral_constantIbLb0EEST_IbLb1EEEEDaSP_SQ_EUlSP_E_NS1_11comp_targetILNS1_3genE0ELNS1_11target_archE4294967295ELNS1_3gpuE0ELNS1_3repE0EEENS1_30default_config_static_selectorELNS0_4arch9wavefront6targetE1EEEvT1_,"axG",@progbits,_ZN7rocprim17ROCPRIM_400000_NS6detail17trampoline_kernelINS0_14default_configENS1_20scan_config_selectorIxEEZZNS1_9scan_implILNS1_25lookback_scan_determinismE0ELb0ELb0ES3_N6thrust23THRUST_200600_302600_NS6detail15normal_iteratorINS9_10device_ptrIxEEEESE_xNS9_4plusIxEExEEDaPvRmT3_T4_T5_mT6_P12ihipStream_tbENKUlT_T0_E_clISt17integral_constantIbLb0EEST_IbLb1EEEEDaSP_SQ_EUlSP_E_NS1_11comp_targetILNS1_3genE0ELNS1_11target_archE4294967295ELNS1_3gpuE0ELNS1_3repE0EEENS1_30default_config_static_selectorELNS0_4arch9wavefront6targetE1EEEvT1_,comdat
	.protected	_ZN7rocprim17ROCPRIM_400000_NS6detail17trampoline_kernelINS0_14default_configENS1_20scan_config_selectorIxEEZZNS1_9scan_implILNS1_25lookback_scan_determinismE0ELb0ELb0ES3_N6thrust23THRUST_200600_302600_NS6detail15normal_iteratorINS9_10device_ptrIxEEEESE_xNS9_4plusIxEExEEDaPvRmT3_T4_T5_mT6_P12ihipStream_tbENKUlT_T0_E_clISt17integral_constantIbLb0EEST_IbLb1EEEEDaSP_SQ_EUlSP_E_NS1_11comp_targetILNS1_3genE0ELNS1_11target_archE4294967295ELNS1_3gpuE0ELNS1_3repE0EEENS1_30default_config_static_selectorELNS0_4arch9wavefront6targetE1EEEvT1_ ; -- Begin function _ZN7rocprim17ROCPRIM_400000_NS6detail17trampoline_kernelINS0_14default_configENS1_20scan_config_selectorIxEEZZNS1_9scan_implILNS1_25lookback_scan_determinismE0ELb0ELb0ES3_N6thrust23THRUST_200600_302600_NS6detail15normal_iteratorINS9_10device_ptrIxEEEESE_xNS9_4plusIxEExEEDaPvRmT3_T4_T5_mT6_P12ihipStream_tbENKUlT_T0_E_clISt17integral_constantIbLb0EEST_IbLb1EEEEDaSP_SQ_EUlSP_E_NS1_11comp_targetILNS1_3genE0ELNS1_11target_archE4294967295ELNS1_3gpuE0ELNS1_3repE0EEENS1_30default_config_static_selectorELNS0_4arch9wavefront6targetE1EEEvT1_
	.globl	_ZN7rocprim17ROCPRIM_400000_NS6detail17trampoline_kernelINS0_14default_configENS1_20scan_config_selectorIxEEZZNS1_9scan_implILNS1_25lookback_scan_determinismE0ELb0ELb0ES3_N6thrust23THRUST_200600_302600_NS6detail15normal_iteratorINS9_10device_ptrIxEEEESE_xNS9_4plusIxEExEEDaPvRmT3_T4_T5_mT6_P12ihipStream_tbENKUlT_T0_E_clISt17integral_constantIbLb0EEST_IbLb1EEEEDaSP_SQ_EUlSP_E_NS1_11comp_targetILNS1_3genE0ELNS1_11target_archE4294967295ELNS1_3gpuE0ELNS1_3repE0EEENS1_30default_config_static_selectorELNS0_4arch9wavefront6targetE1EEEvT1_
	.p2align	8
	.type	_ZN7rocprim17ROCPRIM_400000_NS6detail17trampoline_kernelINS0_14default_configENS1_20scan_config_selectorIxEEZZNS1_9scan_implILNS1_25lookback_scan_determinismE0ELb0ELb0ES3_N6thrust23THRUST_200600_302600_NS6detail15normal_iteratorINS9_10device_ptrIxEEEESE_xNS9_4plusIxEExEEDaPvRmT3_T4_T5_mT6_P12ihipStream_tbENKUlT_T0_E_clISt17integral_constantIbLb0EEST_IbLb1EEEEDaSP_SQ_EUlSP_E_NS1_11comp_targetILNS1_3genE0ELNS1_11target_archE4294967295ELNS1_3gpuE0ELNS1_3repE0EEENS1_30default_config_static_selectorELNS0_4arch9wavefront6targetE1EEEvT1_,@function
_ZN7rocprim17ROCPRIM_400000_NS6detail17trampoline_kernelINS0_14default_configENS1_20scan_config_selectorIxEEZZNS1_9scan_implILNS1_25lookback_scan_determinismE0ELb0ELb0ES3_N6thrust23THRUST_200600_302600_NS6detail15normal_iteratorINS9_10device_ptrIxEEEESE_xNS9_4plusIxEExEEDaPvRmT3_T4_T5_mT6_P12ihipStream_tbENKUlT_T0_E_clISt17integral_constantIbLb0EEST_IbLb1EEEEDaSP_SQ_EUlSP_E_NS1_11comp_targetILNS1_3genE0ELNS1_11target_archE4294967295ELNS1_3gpuE0ELNS1_3repE0EEENS1_30default_config_static_selectorELNS0_4arch9wavefront6targetE1EEEvT1_: ; @_ZN7rocprim17ROCPRIM_400000_NS6detail17trampoline_kernelINS0_14default_configENS1_20scan_config_selectorIxEEZZNS1_9scan_implILNS1_25lookback_scan_determinismE0ELb0ELb0ES3_N6thrust23THRUST_200600_302600_NS6detail15normal_iteratorINS9_10device_ptrIxEEEESE_xNS9_4plusIxEExEEDaPvRmT3_T4_T5_mT6_P12ihipStream_tbENKUlT_T0_E_clISt17integral_constantIbLb0EEST_IbLb1EEEEDaSP_SQ_EUlSP_E_NS1_11comp_targetILNS1_3genE0ELNS1_11target_archE4294967295ELNS1_3gpuE0ELNS1_3repE0EEENS1_30default_config_static_selectorELNS0_4arch9wavefront6targetE1EEEvT1_
; %bb.0:
	.section	.rodata,"a",@progbits
	.p2align	6, 0x0
	.amdhsa_kernel _ZN7rocprim17ROCPRIM_400000_NS6detail17trampoline_kernelINS0_14default_configENS1_20scan_config_selectorIxEEZZNS1_9scan_implILNS1_25lookback_scan_determinismE0ELb0ELb0ES3_N6thrust23THRUST_200600_302600_NS6detail15normal_iteratorINS9_10device_ptrIxEEEESE_xNS9_4plusIxEExEEDaPvRmT3_T4_T5_mT6_P12ihipStream_tbENKUlT_T0_E_clISt17integral_constantIbLb0EEST_IbLb1EEEEDaSP_SQ_EUlSP_E_NS1_11comp_targetILNS1_3genE0ELNS1_11target_archE4294967295ELNS1_3gpuE0ELNS1_3repE0EEENS1_30default_config_static_selectorELNS0_4arch9wavefront6targetE1EEEvT1_
		.amdhsa_group_segment_fixed_size 0
		.amdhsa_private_segment_fixed_size 0
		.amdhsa_kernarg_size 104
		.amdhsa_user_sgpr_count 6
		.amdhsa_user_sgpr_private_segment_buffer 1
		.amdhsa_user_sgpr_dispatch_ptr 0
		.amdhsa_user_sgpr_queue_ptr 0
		.amdhsa_user_sgpr_kernarg_segment_ptr 1
		.amdhsa_user_sgpr_dispatch_id 0
		.amdhsa_user_sgpr_flat_scratch_init 0
		.amdhsa_user_sgpr_kernarg_preload_length 0
		.amdhsa_user_sgpr_kernarg_preload_offset 0
		.amdhsa_user_sgpr_private_segment_size 0
		.amdhsa_uses_dynamic_stack 0
		.amdhsa_system_sgpr_private_segment_wavefront_offset 0
		.amdhsa_system_sgpr_workgroup_id_x 1
		.amdhsa_system_sgpr_workgroup_id_y 0
		.amdhsa_system_sgpr_workgroup_id_z 0
		.amdhsa_system_sgpr_workgroup_info 0
		.amdhsa_system_vgpr_workitem_id 0
		.amdhsa_next_free_vgpr 1
		.amdhsa_next_free_sgpr 0
		.amdhsa_accum_offset 4
		.amdhsa_reserve_vcc 0
		.amdhsa_reserve_flat_scratch 0
		.amdhsa_float_round_mode_32 0
		.amdhsa_float_round_mode_16_64 0
		.amdhsa_float_denorm_mode_32 3
		.amdhsa_float_denorm_mode_16_64 3
		.amdhsa_dx10_clamp 1
		.amdhsa_ieee_mode 1
		.amdhsa_fp16_overflow 0
		.amdhsa_tg_split 0
		.amdhsa_exception_fp_ieee_invalid_op 0
		.amdhsa_exception_fp_denorm_src 0
		.amdhsa_exception_fp_ieee_div_zero 0
		.amdhsa_exception_fp_ieee_overflow 0
		.amdhsa_exception_fp_ieee_underflow 0
		.amdhsa_exception_fp_ieee_inexact 0
		.amdhsa_exception_int_div_zero 0
	.end_amdhsa_kernel
	.section	.text._ZN7rocprim17ROCPRIM_400000_NS6detail17trampoline_kernelINS0_14default_configENS1_20scan_config_selectorIxEEZZNS1_9scan_implILNS1_25lookback_scan_determinismE0ELb0ELb0ES3_N6thrust23THRUST_200600_302600_NS6detail15normal_iteratorINS9_10device_ptrIxEEEESE_xNS9_4plusIxEExEEDaPvRmT3_T4_T5_mT6_P12ihipStream_tbENKUlT_T0_E_clISt17integral_constantIbLb0EEST_IbLb1EEEEDaSP_SQ_EUlSP_E_NS1_11comp_targetILNS1_3genE0ELNS1_11target_archE4294967295ELNS1_3gpuE0ELNS1_3repE0EEENS1_30default_config_static_selectorELNS0_4arch9wavefront6targetE1EEEvT1_,"axG",@progbits,_ZN7rocprim17ROCPRIM_400000_NS6detail17trampoline_kernelINS0_14default_configENS1_20scan_config_selectorIxEEZZNS1_9scan_implILNS1_25lookback_scan_determinismE0ELb0ELb0ES3_N6thrust23THRUST_200600_302600_NS6detail15normal_iteratorINS9_10device_ptrIxEEEESE_xNS9_4plusIxEExEEDaPvRmT3_T4_T5_mT6_P12ihipStream_tbENKUlT_T0_E_clISt17integral_constantIbLb0EEST_IbLb1EEEEDaSP_SQ_EUlSP_E_NS1_11comp_targetILNS1_3genE0ELNS1_11target_archE4294967295ELNS1_3gpuE0ELNS1_3repE0EEENS1_30default_config_static_selectorELNS0_4arch9wavefront6targetE1EEEvT1_,comdat
.Lfunc_end252:
	.size	_ZN7rocprim17ROCPRIM_400000_NS6detail17trampoline_kernelINS0_14default_configENS1_20scan_config_selectorIxEEZZNS1_9scan_implILNS1_25lookback_scan_determinismE0ELb0ELb0ES3_N6thrust23THRUST_200600_302600_NS6detail15normal_iteratorINS9_10device_ptrIxEEEESE_xNS9_4plusIxEExEEDaPvRmT3_T4_T5_mT6_P12ihipStream_tbENKUlT_T0_E_clISt17integral_constantIbLb0EEST_IbLb1EEEEDaSP_SQ_EUlSP_E_NS1_11comp_targetILNS1_3genE0ELNS1_11target_archE4294967295ELNS1_3gpuE0ELNS1_3repE0EEENS1_30default_config_static_selectorELNS0_4arch9wavefront6targetE1EEEvT1_, .Lfunc_end252-_ZN7rocprim17ROCPRIM_400000_NS6detail17trampoline_kernelINS0_14default_configENS1_20scan_config_selectorIxEEZZNS1_9scan_implILNS1_25lookback_scan_determinismE0ELb0ELb0ES3_N6thrust23THRUST_200600_302600_NS6detail15normal_iteratorINS9_10device_ptrIxEEEESE_xNS9_4plusIxEExEEDaPvRmT3_T4_T5_mT6_P12ihipStream_tbENKUlT_T0_E_clISt17integral_constantIbLb0EEST_IbLb1EEEEDaSP_SQ_EUlSP_E_NS1_11comp_targetILNS1_3genE0ELNS1_11target_archE4294967295ELNS1_3gpuE0ELNS1_3repE0EEENS1_30default_config_static_selectorELNS0_4arch9wavefront6targetE1EEEvT1_
                                        ; -- End function
	.section	.AMDGPU.csdata,"",@progbits
; Kernel info:
; codeLenInByte = 0
; NumSgprs: 4
; NumVgprs: 0
; NumAgprs: 0
; TotalNumVgprs: 0
; ScratchSize: 0
; MemoryBound: 0
; FloatMode: 240
; IeeeMode: 1
; LDSByteSize: 0 bytes/workgroup (compile time only)
; SGPRBlocks: 0
; VGPRBlocks: 0
; NumSGPRsForWavesPerEU: 4
; NumVGPRsForWavesPerEU: 1
; AccumOffset: 4
; Occupancy: 8
; WaveLimiterHint : 0
; COMPUTE_PGM_RSRC2:SCRATCH_EN: 0
; COMPUTE_PGM_RSRC2:USER_SGPR: 6
; COMPUTE_PGM_RSRC2:TRAP_HANDLER: 0
; COMPUTE_PGM_RSRC2:TGID_X_EN: 1
; COMPUTE_PGM_RSRC2:TGID_Y_EN: 0
; COMPUTE_PGM_RSRC2:TGID_Z_EN: 0
; COMPUTE_PGM_RSRC2:TIDIG_COMP_CNT: 0
; COMPUTE_PGM_RSRC3_GFX90A:ACCUM_OFFSET: 0
; COMPUTE_PGM_RSRC3_GFX90A:TG_SPLIT: 0
	.section	.text._ZN7rocprim17ROCPRIM_400000_NS6detail17trampoline_kernelINS0_14default_configENS1_20scan_config_selectorIxEEZZNS1_9scan_implILNS1_25lookback_scan_determinismE0ELb0ELb0ES3_N6thrust23THRUST_200600_302600_NS6detail15normal_iteratorINS9_10device_ptrIxEEEESE_xNS9_4plusIxEExEEDaPvRmT3_T4_T5_mT6_P12ihipStream_tbENKUlT_T0_E_clISt17integral_constantIbLb0EEST_IbLb1EEEEDaSP_SQ_EUlSP_E_NS1_11comp_targetILNS1_3genE5ELNS1_11target_archE942ELNS1_3gpuE9ELNS1_3repE0EEENS1_30default_config_static_selectorELNS0_4arch9wavefront6targetE1EEEvT1_,"axG",@progbits,_ZN7rocprim17ROCPRIM_400000_NS6detail17trampoline_kernelINS0_14default_configENS1_20scan_config_selectorIxEEZZNS1_9scan_implILNS1_25lookback_scan_determinismE0ELb0ELb0ES3_N6thrust23THRUST_200600_302600_NS6detail15normal_iteratorINS9_10device_ptrIxEEEESE_xNS9_4plusIxEExEEDaPvRmT3_T4_T5_mT6_P12ihipStream_tbENKUlT_T0_E_clISt17integral_constantIbLb0EEST_IbLb1EEEEDaSP_SQ_EUlSP_E_NS1_11comp_targetILNS1_3genE5ELNS1_11target_archE942ELNS1_3gpuE9ELNS1_3repE0EEENS1_30default_config_static_selectorELNS0_4arch9wavefront6targetE1EEEvT1_,comdat
	.protected	_ZN7rocprim17ROCPRIM_400000_NS6detail17trampoline_kernelINS0_14default_configENS1_20scan_config_selectorIxEEZZNS1_9scan_implILNS1_25lookback_scan_determinismE0ELb0ELb0ES3_N6thrust23THRUST_200600_302600_NS6detail15normal_iteratorINS9_10device_ptrIxEEEESE_xNS9_4plusIxEExEEDaPvRmT3_T4_T5_mT6_P12ihipStream_tbENKUlT_T0_E_clISt17integral_constantIbLb0EEST_IbLb1EEEEDaSP_SQ_EUlSP_E_NS1_11comp_targetILNS1_3genE5ELNS1_11target_archE942ELNS1_3gpuE9ELNS1_3repE0EEENS1_30default_config_static_selectorELNS0_4arch9wavefront6targetE1EEEvT1_ ; -- Begin function _ZN7rocprim17ROCPRIM_400000_NS6detail17trampoline_kernelINS0_14default_configENS1_20scan_config_selectorIxEEZZNS1_9scan_implILNS1_25lookback_scan_determinismE0ELb0ELb0ES3_N6thrust23THRUST_200600_302600_NS6detail15normal_iteratorINS9_10device_ptrIxEEEESE_xNS9_4plusIxEExEEDaPvRmT3_T4_T5_mT6_P12ihipStream_tbENKUlT_T0_E_clISt17integral_constantIbLb0EEST_IbLb1EEEEDaSP_SQ_EUlSP_E_NS1_11comp_targetILNS1_3genE5ELNS1_11target_archE942ELNS1_3gpuE9ELNS1_3repE0EEENS1_30default_config_static_selectorELNS0_4arch9wavefront6targetE1EEEvT1_
	.globl	_ZN7rocprim17ROCPRIM_400000_NS6detail17trampoline_kernelINS0_14default_configENS1_20scan_config_selectorIxEEZZNS1_9scan_implILNS1_25lookback_scan_determinismE0ELb0ELb0ES3_N6thrust23THRUST_200600_302600_NS6detail15normal_iteratorINS9_10device_ptrIxEEEESE_xNS9_4plusIxEExEEDaPvRmT3_T4_T5_mT6_P12ihipStream_tbENKUlT_T0_E_clISt17integral_constantIbLb0EEST_IbLb1EEEEDaSP_SQ_EUlSP_E_NS1_11comp_targetILNS1_3genE5ELNS1_11target_archE942ELNS1_3gpuE9ELNS1_3repE0EEENS1_30default_config_static_selectorELNS0_4arch9wavefront6targetE1EEEvT1_
	.p2align	8
	.type	_ZN7rocprim17ROCPRIM_400000_NS6detail17trampoline_kernelINS0_14default_configENS1_20scan_config_selectorIxEEZZNS1_9scan_implILNS1_25lookback_scan_determinismE0ELb0ELb0ES3_N6thrust23THRUST_200600_302600_NS6detail15normal_iteratorINS9_10device_ptrIxEEEESE_xNS9_4plusIxEExEEDaPvRmT3_T4_T5_mT6_P12ihipStream_tbENKUlT_T0_E_clISt17integral_constantIbLb0EEST_IbLb1EEEEDaSP_SQ_EUlSP_E_NS1_11comp_targetILNS1_3genE5ELNS1_11target_archE942ELNS1_3gpuE9ELNS1_3repE0EEENS1_30default_config_static_selectorELNS0_4arch9wavefront6targetE1EEEvT1_,@function
_ZN7rocprim17ROCPRIM_400000_NS6detail17trampoline_kernelINS0_14default_configENS1_20scan_config_selectorIxEEZZNS1_9scan_implILNS1_25lookback_scan_determinismE0ELb0ELb0ES3_N6thrust23THRUST_200600_302600_NS6detail15normal_iteratorINS9_10device_ptrIxEEEESE_xNS9_4plusIxEExEEDaPvRmT3_T4_T5_mT6_P12ihipStream_tbENKUlT_T0_E_clISt17integral_constantIbLb0EEST_IbLb1EEEEDaSP_SQ_EUlSP_E_NS1_11comp_targetILNS1_3genE5ELNS1_11target_archE942ELNS1_3gpuE9ELNS1_3repE0EEENS1_30default_config_static_selectorELNS0_4arch9wavefront6targetE1EEEvT1_: ; @_ZN7rocprim17ROCPRIM_400000_NS6detail17trampoline_kernelINS0_14default_configENS1_20scan_config_selectorIxEEZZNS1_9scan_implILNS1_25lookback_scan_determinismE0ELb0ELb0ES3_N6thrust23THRUST_200600_302600_NS6detail15normal_iteratorINS9_10device_ptrIxEEEESE_xNS9_4plusIxEExEEDaPvRmT3_T4_T5_mT6_P12ihipStream_tbENKUlT_T0_E_clISt17integral_constantIbLb0EEST_IbLb1EEEEDaSP_SQ_EUlSP_E_NS1_11comp_targetILNS1_3genE5ELNS1_11target_archE942ELNS1_3gpuE9ELNS1_3repE0EEENS1_30default_config_static_selectorELNS0_4arch9wavefront6targetE1EEEvT1_
; %bb.0:
	.section	.rodata,"a",@progbits
	.p2align	6, 0x0
	.amdhsa_kernel _ZN7rocprim17ROCPRIM_400000_NS6detail17trampoline_kernelINS0_14default_configENS1_20scan_config_selectorIxEEZZNS1_9scan_implILNS1_25lookback_scan_determinismE0ELb0ELb0ES3_N6thrust23THRUST_200600_302600_NS6detail15normal_iteratorINS9_10device_ptrIxEEEESE_xNS9_4plusIxEExEEDaPvRmT3_T4_T5_mT6_P12ihipStream_tbENKUlT_T0_E_clISt17integral_constantIbLb0EEST_IbLb1EEEEDaSP_SQ_EUlSP_E_NS1_11comp_targetILNS1_3genE5ELNS1_11target_archE942ELNS1_3gpuE9ELNS1_3repE0EEENS1_30default_config_static_selectorELNS0_4arch9wavefront6targetE1EEEvT1_
		.amdhsa_group_segment_fixed_size 0
		.amdhsa_private_segment_fixed_size 0
		.amdhsa_kernarg_size 104
		.amdhsa_user_sgpr_count 6
		.amdhsa_user_sgpr_private_segment_buffer 1
		.amdhsa_user_sgpr_dispatch_ptr 0
		.amdhsa_user_sgpr_queue_ptr 0
		.amdhsa_user_sgpr_kernarg_segment_ptr 1
		.amdhsa_user_sgpr_dispatch_id 0
		.amdhsa_user_sgpr_flat_scratch_init 0
		.amdhsa_user_sgpr_kernarg_preload_length 0
		.amdhsa_user_sgpr_kernarg_preload_offset 0
		.amdhsa_user_sgpr_private_segment_size 0
		.amdhsa_uses_dynamic_stack 0
		.amdhsa_system_sgpr_private_segment_wavefront_offset 0
		.amdhsa_system_sgpr_workgroup_id_x 1
		.amdhsa_system_sgpr_workgroup_id_y 0
		.amdhsa_system_sgpr_workgroup_id_z 0
		.amdhsa_system_sgpr_workgroup_info 0
		.amdhsa_system_vgpr_workitem_id 0
		.amdhsa_next_free_vgpr 1
		.amdhsa_next_free_sgpr 0
		.amdhsa_accum_offset 4
		.amdhsa_reserve_vcc 0
		.amdhsa_reserve_flat_scratch 0
		.amdhsa_float_round_mode_32 0
		.amdhsa_float_round_mode_16_64 0
		.amdhsa_float_denorm_mode_32 3
		.amdhsa_float_denorm_mode_16_64 3
		.amdhsa_dx10_clamp 1
		.amdhsa_ieee_mode 1
		.amdhsa_fp16_overflow 0
		.amdhsa_tg_split 0
		.amdhsa_exception_fp_ieee_invalid_op 0
		.amdhsa_exception_fp_denorm_src 0
		.amdhsa_exception_fp_ieee_div_zero 0
		.amdhsa_exception_fp_ieee_overflow 0
		.amdhsa_exception_fp_ieee_underflow 0
		.amdhsa_exception_fp_ieee_inexact 0
		.amdhsa_exception_int_div_zero 0
	.end_amdhsa_kernel
	.section	.text._ZN7rocprim17ROCPRIM_400000_NS6detail17trampoline_kernelINS0_14default_configENS1_20scan_config_selectorIxEEZZNS1_9scan_implILNS1_25lookback_scan_determinismE0ELb0ELb0ES3_N6thrust23THRUST_200600_302600_NS6detail15normal_iteratorINS9_10device_ptrIxEEEESE_xNS9_4plusIxEExEEDaPvRmT3_T4_T5_mT6_P12ihipStream_tbENKUlT_T0_E_clISt17integral_constantIbLb0EEST_IbLb1EEEEDaSP_SQ_EUlSP_E_NS1_11comp_targetILNS1_3genE5ELNS1_11target_archE942ELNS1_3gpuE9ELNS1_3repE0EEENS1_30default_config_static_selectorELNS0_4arch9wavefront6targetE1EEEvT1_,"axG",@progbits,_ZN7rocprim17ROCPRIM_400000_NS6detail17trampoline_kernelINS0_14default_configENS1_20scan_config_selectorIxEEZZNS1_9scan_implILNS1_25lookback_scan_determinismE0ELb0ELb0ES3_N6thrust23THRUST_200600_302600_NS6detail15normal_iteratorINS9_10device_ptrIxEEEESE_xNS9_4plusIxEExEEDaPvRmT3_T4_T5_mT6_P12ihipStream_tbENKUlT_T0_E_clISt17integral_constantIbLb0EEST_IbLb1EEEEDaSP_SQ_EUlSP_E_NS1_11comp_targetILNS1_3genE5ELNS1_11target_archE942ELNS1_3gpuE9ELNS1_3repE0EEENS1_30default_config_static_selectorELNS0_4arch9wavefront6targetE1EEEvT1_,comdat
.Lfunc_end253:
	.size	_ZN7rocprim17ROCPRIM_400000_NS6detail17trampoline_kernelINS0_14default_configENS1_20scan_config_selectorIxEEZZNS1_9scan_implILNS1_25lookback_scan_determinismE0ELb0ELb0ES3_N6thrust23THRUST_200600_302600_NS6detail15normal_iteratorINS9_10device_ptrIxEEEESE_xNS9_4plusIxEExEEDaPvRmT3_T4_T5_mT6_P12ihipStream_tbENKUlT_T0_E_clISt17integral_constantIbLb0EEST_IbLb1EEEEDaSP_SQ_EUlSP_E_NS1_11comp_targetILNS1_3genE5ELNS1_11target_archE942ELNS1_3gpuE9ELNS1_3repE0EEENS1_30default_config_static_selectorELNS0_4arch9wavefront6targetE1EEEvT1_, .Lfunc_end253-_ZN7rocprim17ROCPRIM_400000_NS6detail17trampoline_kernelINS0_14default_configENS1_20scan_config_selectorIxEEZZNS1_9scan_implILNS1_25lookback_scan_determinismE0ELb0ELb0ES3_N6thrust23THRUST_200600_302600_NS6detail15normal_iteratorINS9_10device_ptrIxEEEESE_xNS9_4plusIxEExEEDaPvRmT3_T4_T5_mT6_P12ihipStream_tbENKUlT_T0_E_clISt17integral_constantIbLb0EEST_IbLb1EEEEDaSP_SQ_EUlSP_E_NS1_11comp_targetILNS1_3genE5ELNS1_11target_archE942ELNS1_3gpuE9ELNS1_3repE0EEENS1_30default_config_static_selectorELNS0_4arch9wavefront6targetE1EEEvT1_
                                        ; -- End function
	.section	.AMDGPU.csdata,"",@progbits
; Kernel info:
; codeLenInByte = 0
; NumSgprs: 4
; NumVgprs: 0
; NumAgprs: 0
; TotalNumVgprs: 0
; ScratchSize: 0
; MemoryBound: 0
; FloatMode: 240
; IeeeMode: 1
; LDSByteSize: 0 bytes/workgroup (compile time only)
; SGPRBlocks: 0
; VGPRBlocks: 0
; NumSGPRsForWavesPerEU: 4
; NumVGPRsForWavesPerEU: 1
; AccumOffset: 4
; Occupancy: 8
; WaveLimiterHint : 0
; COMPUTE_PGM_RSRC2:SCRATCH_EN: 0
; COMPUTE_PGM_RSRC2:USER_SGPR: 6
; COMPUTE_PGM_RSRC2:TRAP_HANDLER: 0
; COMPUTE_PGM_RSRC2:TGID_X_EN: 1
; COMPUTE_PGM_RSRC2:TGID_Y_EN: 0
; COMPUTE_PGM_RSRC2:TGID_Z_EN: 0
; COMPUTE_PGM_RSRC2:TIDIG_COMP_CNT: 0
; COMPUTE_PGM_RSRC3_GFX90A:ACCUM_OFFSET: 0
; COMPUTE_PGM_RSRC3_GFX90A:TG_SPLIT: 0
	.section	.text._ZN7rocprim17ROCPRIM_400000_NS6detail17trampoline_kernelINS0_14default_configENS1_20scan_config_selectorIxEEZZNS1_9scan_implILNS1_25lookback_scan_determinismE0ELb0ELb0ES3_N6thrust23THRUST_200600_302600_NS6detail15normal_iteratorINS9_10device_ptrIxEEEESE_xNS9_4plusIxEExEEDaPvRmT3_T4_T5_mT6_P12ihipStream_tbENKUlT_T0_E_clISt17integral_constantIbLb0EEST_IbLb1EEEEDaSP_SQ_EUlSP_E_NS1_11comp_targetILNS1_3genE4ELNS1_11target_archE910ELNS1_3gpuE8ELNS1_3repE0EEENS1_30default_config_static_selectorELNS0_4arch9wavefront6targetE1EEEvT1_,"axG",@progbits,_ZN7rocprim17ROCPRIM_400000_NS6detail17trampoline_kernelINS0_14default_configENS1_20scan_config_selectorIxEEZZNS1_9scan_implILNS1_25lookback_scan_determinismE0ELb0ELb0ES3_N6thrust23THRUST_200600_302600_NS6detail15normal_iteratorINS9_10device_ptrIxEEEESE_xNS9_4plusIxEExEEDaPvRmT3_T4_T5_mT6_P12ihipStream_tbENKUlT_T0_E_clISt17integral_constantIbLb0EEST_IbLb1EEEEDaSP_SQ_EUlSP_E_NS1_11comp_targetILNS1_3genE4ELNS1_11target_archE910ELNS1_3gpuE8ELNS1_3repE0EEENS1_30default_config_static_selectorELNS0_4arch9wavefront6targetE1EEEvT1_,comdat
	.protected	_ZN7rocprim17ROCPRIM_400000_NS6detail17trampoline_kernelINS0_14default_configENS1_20scan_config_selectorIxEEZZNS1_9scan_implILNS1_25lookback_scan_determinismE0ELb0ELb0ES3_N6thrust23THRUST_200600_302600_NS6detail15normal_iteratorINS9_10device_ptrIxEEEESE_xNS9_4plusIxEExEEDaPvRmT3_T4_T5_mT6_P12ihipStream_tbENKUlT_T0_E_clISt17integral_constantIbLb0EEST_IbLb1EEEEDaSP_SQ_EUlSP_E_NS1_11comp_targetILNS1_3genE4ELNS1_11target_archE910ELNS1_3gpuE8ELNS1_3repE0EEENS1_30default_config_static_selectorELNS0_4arch9wavefront6targetE1EEEvT1_ ; -- Begin function _ZN7rocprim17ROCPRIM_400000_NS6detail17trampoline_kernelINS0_14default_configENS1_20scan_config_selectorIxEEZZNS1_9scan_implILNS1_25lookback_scan_determinismE0ELb0ELb0ES3_N6thrust23THRUST_200600_302600_NS6detail15normal_iteratorINS9_10device_ptrIxEEEESE_xNS9_4plusIxEExEEDaPvRmT3_T4_T5_mT6_P12ihipStream_tbENKUlT_T0_E_clISt17integral_constantIbLb0EEST_IbLb1EEEEDaSP_SQ_EUlSP_E_NS1_11comp_targetILNS1_3genE4ELNS1_11target_archE910ELNS1_3gpuE8ELNS1_3repE0EEENS1_30default_config_static_selectorELNS0_4arch9wavefront6targetE1EEEvT1_
	.globl	_ZN7rocprim17ROCPRIM_400000_NS6detail17trampoline_kernelINS0_14default_configENS1_20scan_config_selectorIxEEZZNS1_9scan_implILNS1_25lookback_scan_determinismE0ELb0ELb0ES3_N6thrust23THRUST_200600_302600_NS6detail15normal_iteratorINS9_10device_ptrIxEEEESE_xNS9_4plusIxEExEEDaPvRmT3_T4_T5_mT6_P12ihipStream_tbENKUlT_T0_E_clISt17integral_constantIbLb0EEST_IbLb1EEEEDaSP_SQ_EUlSP_E_NS1_11comp_targetILNS1_3genE4ELNS1_11target_archE910ELNS1_3gpuE8ELNS1_3repE0EEENS1_30default_config_static_selectorELNS0_4arch9wavefront6targetE1EEEvT1_
	.p2align	8
	.type	_ZN7rocprim17ROCPRIM_400000_NS6detail17trampoline_kernelINS0_14default_configENS1_20scan_config_selectorIxEEZZNS1_9scan_implILNS1_25lookback_scan_determinismE0ELb0ELb0ES3_N6thrust23THRUST_200600_302600_NS6detail15normal_iteratorINS9_10device_ptrIxEEEESE_xNS9_4plusIxEExEEDaPvRmT3_T4_T5_mT6_P12ihipStream_tbENKUlT_T0_E_clISt17integral_constantIbLb0EEST_IbLb1EEEEDaSP_SQ_EUlSP_E_NS1_11comp_targetILNS1_3genE4ELNS1_11target_archE910ELNS1_3gpuE8ELNS1_3repE0EEENS1_30default_config_static_selectorELNS0_4arch9wavefront6targetE1EEEvT1_,@function
_ZN7rocprim17ROCPRIM_400000_NS6detail17trampoline_kernelINS0_14default_configENS1_20scan_config_selectorIxEEZZNS1_9scan_implILNS1_25lookback_scan_determinismE0ELb0ELb0ES3_N6thrust23THRUST_200600_302600_NS6detail15normal_iteratorINS9_10device_ptrIxEEEESE_xNS9_4plusIxEExEEDaPvRmT3_T4_T5_mT6_P12ihipStream_tbENKUlT_T0_E_clISt17integral_constantIbLb0EEST_IbLb1EEEEDaSP_SQ_EUlSP_E_NS1_11comp_targetILNS1_3genE4ELNS1_11target_archE910ELNS1_3gpuE8ELNS1_3repE0EEENS1_30default_config_static_selectorELNS0_4arch9wavefront6targetE1EEEvT1_: ; @_ZN7rocprim17ROCPRIM_400000_NS6detail17trampoline_kernelINS0_14default_configENS1_20scan_config_selectorIxEEZZNS1_9scan_implILNS1_25lookback_scan_determinismE0ELb0ELb0ES3_N6thrust23THRUST_200600_302600_NS6detail15normal_iteratorINS9_10device_ptrIxEEEESE_xNS9_4plusIxEExEEDaPvRmT3_T4_T5_mT6_P12ihipStream_tbENKUlT_T0_E_clISt17integral_constantIbLb0EEST_IbLb1EEEEDaSP_SQ_EUlSP_E_NS1_11comp_targetILNS1_3genE4ELNS1_11target_archE910ELNS1_3gpuE8ELNS1_3repE0EEENS1_30default_config_static_selectorELNS0_4arch9wavefront6targetE1EEEvT1_
; %bb.0:
	s_load_dwordx2 s[10:11], s[4:5], 0x30
	v_cmp_ne_u32_e64 s[0:1], 0, v0
	v_cmp_eq_u32_e64 s[2:3], 0, v0
	s_and_saveexec_b64 s[6:7], s[2:3]
	s_cbranch_execz .LBB254_4
; %bb.1:
	s_mov_b64 s[12:13], exec
	v_mbcnt_lo_u32_b32 v1, s12, 0
	v_mbcnt_hi_u32_b32 v1, s13, v1
	v_cmp_eq_u32_e32 vcc, 0, v1
                                        ; implicit-def: $vgpr2
	s_and_saveexec_b64 s[8:9], vcc
	s_cbranch_execz .LBB254_3
; %bb.2:
	s_load_dwordx2 s[14:15], s[4:5], 0x60
	s_bcnt1_i32_b64 s12, s[12:13]
	v_mov_b32_e32 v2, 0
	v_mov_b32_e32 v3, s12
	s_waitcnt lgkmcnt(0)
	global_atomic_add v2, v2, v3, s[14:15] glc
.LBB254_3:
	s_or_b64 exec, exec, s[8:9]
	s_waitcnt vmcnt(0)
	v_readfirstlane_b32 s8, v2
	v_add_u32_e32 v1, s8, v1
	v_mov_b32_e32 v2, 0
	ds_write_b32 v2, v1
.LBB254_4:
	s_or_b64 exec, exec, s[6:7]
	s_load_dwordx8 s[20:27], s[4:5], 0x0
	s_load_dword s6, s[4:5], 0x38
	s_load_dwordx8 s[12:19], s[4:5], 0x40
	v_mov_b32_e32 v1, 0
	s_waitcnt lgkmcnt(0)
	s_barrier
	ds_read_b32 v1, v1
	s_lshl_b64 s[22:23], s[22:23], 3
	s_add_u32 s7, s20, s22
	s_addc_u32 s8, s21, s23
	s_add_i32 s6, s6, -1
	s_mul_i32 s9, s6, 0x380
	s_sub_u32 s30, s26, s9
	s_waitcnt lgkmcnt(0)
	v_readfirstlane_b32 s33, v1
	s_subb_u32 s31, s27, 0
	s_mul_i32 s4, s33, 0x380
	s_mov_b32 s5, 0
	s_cmp_lg_u32 s33, s6
	s_cselect_b64 s[20:21], -1, 0
	s_lshl_b64 s[26:27], s[4:5], 3
	s_add_u32 s6, s7, s26
	s_addc_u32 s7, s8, s27
	s_mov_b64 s[4:5], -1
	s_and_b64 vcc, exec, s[20:21]
	v_lshlrev_b32_e32 v36, 3, v0
	s_barrier
	s_cbranch_vccz .LBB254_6
; %bb.5:
	v_mov_b32_e32 v1, s7
	v_add_co_u32_e32 v2, vcc, s6, v36
	v_addc_co_u32_e32 v3, vcc, 0, v1, vcc
	flat_load_dwordx2 v[4:5], v[2:3]
	flat_load_dwordx2 v[6:7], v[2:3] offset:1024
	flat_load_dwordx2 v[8:9], v[2:3] offset:2048
	;; [unrolled: 1-line block ×3, first 2 shown]
	v_add_co_u32_e32 v2, vcc, 0x1000, v2
	v_addc_co_u32_e32 v3, vcc, 0, v3, vcc
	flat_load_dwordx2 v[12:13], v[2:3]
	flat_load_dwordx2 v[14:15], v[2:3] offset:1024
	flat_load_dwordx2 v[16:17], v[2:3] offset:2048
	s_mov_b64 s[4:5], 0
	s_waitcnt vmcnt(0) lgkmcnt(0)
	ds_write2st64_b64 v36, v[4:5], v[6:7] offset1:2
	ds_write2st64_b64 v36, v[8:9], v[10:11] offset0:4 offset1:6
	ds_write2st64_b64 v36, v[12:13], v[14:15] offset0:8 offset1:10
	ds_write_b64 v36, v[16:17] offset:6144
	s_waitcnt lgkmcnt(0)
	s_barrier
.LBB254_6:
	s_andn2_b64 vcc, exec, s[4:5]
	v_cmp_gt_u32_e64 s[4:5], s30, v0
	s_cbranch_vccnz .LBB254_22
; %bb.7:
	v_pk_mov_b32 v[2:3], s[6:7], s[6:7] op_sel:[0,1]
	flat_load_dwordx2 v[2:3], v[2:3]
	s_waitcnt vmcnt(0) lgkmcnt(0)
	v_mov_b32_e32 v4, v2
	v_mov_b32_e32 v5, v3
	;; [unrolled: 1-line block ×10, first 2 shown]
	v_pk_mov_b32 v[18:19], v[14:15], v[14:15] op_sel:[0,1]
	v_pk_mov_b32 v[16:17], v[12:13], v[12:13] op_sel:[0,1]
	v_pk_mov_b32 v[14:15], v[10:11], v[10:11] op_sel:[0,1]
	v_pk_mov_b32 v[12:13], v[8:9], v[8:9] op_sel:[0,1]
	v_pk_mov_b32 v[10:11], v[6:7], v[6:7] op_sel:[0,1]
	v_pk_mov_b32 v[8:9], v[4:5], v[4:5] op_sel:[0,1]
	v_pk_mov_b32 v[6:7], v[2:3], v[2:3] op_sel:[0,1]
	v_pk_mov_b32 v[4:5], v[0:1], v[0:1] op_sel:[0,1]
	s_and_saveexec_b64 s[8:9], s[4:5]
	s_cbranch_execz .LBB254_9
; %bb.8:
	v_mov_b32_e32 v1, s7
	v_add_co_u32_e32 v4, vcc, s6, v36
	v_addc_co_u32_e32 v5, vcc, 0, v1, vcc
	flat_load_dwordx2 v[20:21], v[4:5]
	v_mov_b32_e32 v4, v2
	v_mov_b32_e32 v5, v3
	;; [unrolled: 1-line block ×10, first 2 shown]
	v_pk_mov_b32 v[18:19], v[14:15], v[14:15] op_sel:[0,1]
	v_pk_mov_b32 v[16:17], v[12:13], v[12:13] op_sel:[0,1]
	;; [unrolled: 1-line block ×8, first 2 shown]
	s_waitcnt vmcnt(0) lgkmcnt(0)
	v_pk_mov_b32 v[2:3], v[20:21], v[20:21] op_sel:[0,1]
.LBB254_9:
	s_or_b64 exec, exec, s[8:9]
	v_or_b32_e32 v1, 0x80, v0
	v_cmp_gt_u32_e32 vcc, s30, v1
	s_and_saveexec_b64 s[4:5], vcc
	s_cbranch_execz .LBB254_11
; %bb.10:
	v_mov_b32_e32 v1, s7
	v_add_co_u32_e32 v4, vcc, s6, v36
	v_addc_co_u32_e32 v5, vcc, 0, v1, vcc
	flat_load_dwordx2 v[6:7], v[4:5] offset:1024
.LBB254_11:
	s_or_b64 exec, exec, s[4:5]
	v_or_b32_e32 v1, 0x100, v0
	v_cmp_gt_u32_e32 vcc, s30, v1
	s_and_saveexec_b64 s[4:5], vcc
	s_cbranch_execz .LBB254_13
; %bb.12:
	v_mov_b32_e32 v1, s7
	v_add_co_u32_e32 v4, vcc, s6, v36
	v_addc_co_u32_e32 v5, vcc, 0, v1, vcc
	flat_load_dwordx2 v[8:9], v[4:5] offset:2048
.LBB254_13:
	;; [unrolled: 11-line block ×3, first 2 shown]
	s_or_b64 exec, exec, s[4:5]
	v_or_b32_e32 v1, 0x200, v0
	v_cmp_gt_u32_e32 vcc, s30, v1
	s_and_saveexec_b64 s[4:5], vcc
	s_cbranch_execz .LBB254_17
; %bb.16:
	v_lshlrev_b32_e32 v1, 3, v1
	v_mov_b32_e32 v5, s7
	v_add_co_u32_e32 v4, vcc, s6, v1
	v_addc_co_u32_e32 v5, vcc, 0, v5, vcc
	flat_load_dwordx2 v[12:13], v[4:5]
.LBB254_17:
	s_or_b64 exec, exec, s[4:5]
	v_or_b32_e32 v1, 0x280, v0
	v_cmp_gt_u32_e32 vcc, s30, v1
	s_and_saveexec_b64 s[4:5], vcc
	s_cbranch_execz .LBB254_19
; %bb.18:
	v_lshlrev_b32_e32 v1, 3, v1
	v_mov_b32_e32 v5, s7
	v_add_co_u32_e32 v4, vcc, s6, v1
	v_addc_co_u32_e32 v5, vcc, 0, v5, vcc
	flat_load_dwordx2 v[14:15], v[4:5]
.LBB254_19:
	;; [unrolled: 12-line block ×3, first 2 shown]
	s_or_b64 exec, exec, s[4:5]
	s_waitcnt vmcnt(0) lgkmcnt(0)
	ds_write2st64_b64 v36, v[2:3], v[6:7] offset1:2
	ds_write2st64_b64 v36, v[8:9], v[10:11] offset0:4 offset1:6
	ds_write2st64_b64 v36, v[12:13], v[14:15] offset0:8 offset1:10
	ds_write_b64 v36, v[16:17] offset:6144
	s_waitcnt lgkmcnt(0)
	s_barrier
.LBB254_22:
	v_mul_u32_u24_e32 v37, 7, v0
	v_lshlrev_b32_e32 v1, 3, v37
	ds_read2_b64 v[2:5], v1 offset1:1
	ds_read2_b64 v[10:13], v1 offset0:2 offset1:3
	ds_read2_b64 v[6:9], v1 offset0:4 offset1:5
	ds_read_b64 v[28:29], v1 offset:48
	s_cmp_lg_u32 s33, 0
	v_lshrrev_b32_e32 v38, 5, v0
	v_cmp_gt_u32_e32 vcc, 64, v0
	s_waitcnt lgkmcnt(0)
	s_barrier
	s_cbranch_scc0 .LBB254_49
; %bb.23:
	v_add_co_u32_e64 v1, s[4:5], v4, v2
	v_addc_co_u32_e64 v14, s[4:5], v5, v3, s[4:5]
	v_add_co_u32_e64 v1, s[4:5], v1, v10
	v_addc_co_u32_e64 v14, s[4:5], v14, v11, s[4:5]
	;; [unrolled: 2-line block ×6, first 2 shown]
	v_add_lshl_u32 v1, v38, v0, 3
	ds_write_b64 v1, v[18:19]
	s_waitcnt lgkmcnt(0)
	s_barrier
	s_and_saveexec_b64 s[8:9], vcc
	s_cbranch_execz .LBB254_27
; %bb.24:
	v_lshlrev_b32_e32 v1, 1, v0
	v_lshrrev_b32_e32 v14, 4, v0
	v_add_lshl_u32 v20, v14, v1, 3
	ds_read2_b64 v[14:17], v20 offset1:1
	v_mbcnt_lo_u32_b32 v1, -1, 0
	s_waitcnt lgkmcnt(0)
	v_add_co_u32_e64 v21, s[4:5], v16, v14
	v_addc_co_u32_e64 v22, s[4:5], v17, v15, s[4:5]
	s_nop 0
	v_mov_b32_dpp v16, v21 row_shr:1 row_mask:0xf bank_mask:0xf
	v_add_co_u32_e64 v16, s[4:5], v21, v16
	v_addc_co_u32_e64 v24, s[4:5], 0, v22, s[4:5]
	v_mbcnt_hi_u32_b32 v17, -1, v1
	v_mov_b32_dpp v23, v22 row_shr:1 row_mask:0xf bank_mask:0xf
	v_add_co_u32_e64 v25, s[4:5], 0, v16
	v_and_b32_e32 v1, 15, v17
	v_addc_co_u32_e64 v23, s[4:5], v23, v24, s[4:5]
	v_cmp_eq_u32_e64 s[4:5], 0, v1
	v_cndmask_b32_e64 v16, v16, v21, s[4:5]
	v_cndmask_b32_e64 v23, v23, v22, s[4:5]
	v_cndmask_b32_e64 v24, v25, v21, s[4:5]
	v_mov_b32_dpp v25, v16 row_shr:2 row_mask:0xf bank_mask:0xf
	v_mov_b32_dpp v26, v23 row_shr:2 row_mask:0xf bank_mask:0xf
	v_add_co_u32_e64 v25, s[4:5], v25, v24
	v_addc_co_u32_e64 v26, s[4:5], v26, v23, s[4:5]
	v_cmp_lt_u32_e64 s[4:5], 1, v1
	v_cndmask_b32_e64 v16, v16, v25, s[4:5]
	v_cndmask_b32_e64 v23, v23, v26, s[4:5]
	v_cndmask_b32_e64 v24, v24, v25, s[4:5]
	v_mov_b32_dpp v25, v16 row_shr:4 row_mask:0xf bank_mask:0xf
	v_mov_b32_dpp v26, v23 row_shr:4 row_mask:0xf bank_mask:0xf
	v_add_co_u32_e64 v25, s[4:5], v25, v24
	v_addc_co_u32_e64 v26, s[4:5], v26, v23, s[4:5]
	v_cmp_lt_u32_e64 s[4:5], 3, v1
	;; [unrolled: 8-line block ×3, first 2 shown]
	v_cndmask_b32_e64 v27, v16, v25, s[4:5]
	v_cndmask_b32_e64 v1, v23, v26, s[4:5]
	;; [unrolled: 1-line block ×3, first 2 shown]
	v_mov_b32_dpp v23, v27 row_bcast:15 row_mask:0xf bank_mask:0xf
	v_mov_b32_dpp v24, v1 row_bcast:15 row_mask:0xf bank_mask:0xf
	v_add_co_u32_e64 v23, s[4:5], v23, v16
	v_and_b32_e32 v26, 16, v17
	v_addc_co_u32_e64 v25, s[4:5], v24, v1, s[4:5]
	v_cmp_eq_u32_e64 s[4:5], 0, v26
	v_cndmask_b32_e64 v26, v25, v1, s[4:5]
	v_cndmask_b32_e64 v24, v23, v27, s[4:5]
	v_cmp_ne_u32_e64 s[6:7], 0, v17
	v_mov_b32_dpp v26, v26 row_bcast:31 row_mask:0xf bank_mask:0xf
	v_mov_b32_dpp v24, v24 row_bcast:31 row_mask:0xf bank_mask:0xf
	s_and_saveexec_b64 s[28:29], s[6:7]
; %bb.25:
	v_cndmask_b32_e64 v1, v25, v1, s[4:5]
	v_cndmask_b32_e64 v16, v23, v16, s[4:5]
	v_cmp_lt_u32_e64 s[4:5], 31, v17
	v_cndmask_b32_e64 v21, 0, v24, s[4:5]
	v_cndmask_b32_e64 v22, 0, v26, s[4:5]
	v_add_co_u32_e64 v21, s[4:5], v21, v16
	v_addc_co_u32_e64 v22, s[4:5], v22, v1, s[4:5]
; %bb.26:
	s_or_b64 exec, exec, s[28:29]
	v_add_u32_e32 v1, -1, v17
	v_and_b32_e32 v16, 64, v17
	v_cmp_lt_i32_e64 s[4:5], v1, v16
	v_cndmask_b32_e64 v1, v1, v17, s[4:5]
	v_lshlrev_b32_e32 v1, 2, v1
	ds_bpermute_b32 v16, v1, v21
	ds_bpermute_b32 v1, v1, v22
	; wave barrier
	s_waitcnt lgkmcnt(1)
	v_add_co_u32_e64 v14, s[4:5], v14, v16
	v_addc_co_u32_e64 v15, s[4:5], 0, v15, s[4:5]
	v_add_co_u32_e64 v14, s[4:5], 0, v14
	s_waitcnt lgkmcnt(0)
	v_addc_co_u32_e64 v1, s[4:5], v15, v1, s[4:5]
	v_cndmask_b32_e64 v15, v1, v19, s[2:3]
	v_cndmask_b32_e64 v14, v14, v18, s[2:3]
	ds_write_b64 v20, v[14:15]
	; wave barrier
	ds_read_b64 v[16:17], v20 offset:8
	s_waitcnt lgkmcnt(0)
	v_add_co_u32_e64 v14, s[4:5], v16, v14
	v_addc_co_u32_e64 v15, s[4:5], v17, v15, s[4:5]
	ds_write_b64 v20, v[14:15] offset:8
.LBB254_27:
	s_or_b64 exec, exec, s[8:9]
	v_pk_mov_b32 v[22:23], 0, 0
	s_waitcnt lgkmcnt(0)
	s_barrier
	s_and_saveexec_b64 s[4:5], s[0:1]
	s_cbranch_execz .LBB254_29
; %bb.28:
	v_add_u32_e32 v1, -1, v0
	v_lshrrev_b32_e32 v14, 5, v1
	v_add_lshl_u32 v1, v14, v1, 3
	ds_read_b64 v[22:23], v1
.LBB254_29:
	s_or_b64 exec, exec, s[4:5]
	s_and_saveexec_b64 s[28:29], vcc
	s_cbranch_execz .LBB254_48
; %bb.30:
	v_mov_b32_e32 v17, 0
	ds_read_b64 v[14:15], v17 offset:1040
	v_mbcnt_lo_u32_b32 v1, -1, 0
	v_mbcnt_hi_u32_b32 v30, -1, v1
	s_mov_b32 s9, 0
	v_cmp_eq_u32_e64 s[4:5], 0, v30
	s_and_saveexec_b64 s[6:7], s[4:5]
	s_cbranch_execz .LBB254_32
; %bb.31:
	s_add_i32 s8, s33, 64
	s_lshl_b64 s[8:9], s[8:9], 4
	s_add_u32 s8, s10, s8
	s_addc_u32 s9, s11, s9
	v_mov_b32_e32 v16, 1
	v_pk_mov_b32 v[18:19], s[8:9], s[8:9] op_sel:[0,1]
	s_waitcnt lgkmcnt(0)
	;;#ASMSTART
	global_store_dwordx4 v[18:19], v[14:17] off	
s_waitcnt vmcnt(0)
	;;#ASMEND
.LBB254_32:
	s_or_b64 exec, exec, s[6:7]
	v_xad_u32 v24, v30, -1, s33
	v_add_u32_e32 v16, 64, v24
	v_lshlrev_b64 v[18:19], 4, v[16:17]
	v_mov_b32_e32 v1, s11
	v_add_co_u32_e32 v26, vcc, s10, v18
	v_addc_co_u32_e32 v27, vcc, v1, v19, vcc
	;;#ASMSTART
	global_load_dwordx4 v[18:21], v[26:27] off glc	
s_waitcnt vmcnt(0)
	;;#ASMEND
	v_and_b32_e32 v1, 0xff, v19
	v_and_b32_e32 v16, 0xff00, v19
	v_or3_b32 v1, 0, v1, v16
	v_or3_b32 v16, v18, 0, 0
	v_and_b32_e32 v18, 0xff000000, v19
	v_and_b32_e32 v19, 0xff0000, v19
	v_or3_b32 v19, v1, v19, v18
	v_or3_b32 v18, v16, 0, 0
	v_cmp_eq_u16_sdwa s[8:9], v20, v17 src0_sel:BYTE_0 src1_sel:DWORD
	s_and_saveexec_b64 s[6:7], s[8:9]
	s_cbranch_execz .LBB254_36
; %bb.33:
	s_mov_b64 s[8:9], 0
	v_mov_b32_e32 v1, 0
.LBB254_34:                             ; =>This Inner Loop Header: Depth=1
	;;#ASMSTART
	global_load_dwordx4 v[18:21], v[26:27] off glc	
s_waitcnt vmcnt(0)
	;;#ASMEND
	v_cmp_ne_u16_sdwa s[34:35], v20, v1 src0_sel:BYTE_0 src1_sel:DWORD
	s_or_b64 s[8:9], s[34:35], s[8:9]
	s_andn2_b64 exec, exec, s[8:9]
	s_cbranch_execnz .LBB254_34
; %bb.35:
	s_or_b64 exec, exec, s[8:9]
.LBB254_36:
	s_or_b64 exec, exec, s[6:7]
	v_and_b32_e32 v32, 63, v30
	v_cmp_ne_u32_e32 vcc, 63, v32
	v_addc_co_u32_e32 v26, vcc, 0, v30, vcc
	v_lshlrev_b32_e32 v33, 2, v26
	ds_bpermute_b32 v26, v33, v18
	v_mov_b32_e32 v1, 2
	v_cmp_eq_u16_sdwa s[6:7], v20, v1 src0_sel:BYTE_0 src1_sel:DWORD
	v_lshlrev_b64 v[16:17], v30, -1
	ds_bpermute_b32 v27, v33, v19
	v_and_b32_e32 v21, s7, v17
	v_or_b32_e32 v21, 0x80000000, v21
	s_waitcnt lgkmcnt(1)
	v_add_co_u32_e32 v26, vcc, v18, v26
	v_and_b32_e32 v25, s6, v16
	v_ffbl_b32_e32 v21, v21
	v_addc_co_u32_e32 v31, vcc, 0, v19, vcc
	v_add_u32_e32 v21, 32, v21
	v_ffbl_b32_e32 v25, v25
	v_add_co_u32_e32 v35, vcc, 0, v26
	v_cmp_gt_u32_e64 s[6:7], 62, v32
	v_min_u32_e32 v21, v25, v21
	s_waitcnt lgkmcnt(0)
	v_addc_co_u32_e32 v27, vcc, v27, v31, vcc
	v_cndmask_b32_e64 v31, 0, 1, s[6:7]
	v_cmp_lt_u32_e32 vcc, v32, v21
	v_lshlrev_b32_e32 v31, 1, v31
	v_cndmask_b32_e32 v26, v18, v26, vcc
	v_add_lshl_u32 v34, v31, v30, 2
	v_cndmask_b32_e32 v27, v19, v27, vcc
	ds_bpermute_b32 v31, v34, v26
	ds_bpermute_b32 v39, v34, v27
	v_cndmask_b32_e32 v40, v18, v35, vcc
	v_add_u32_e32 v35, 2, v32
	v_cmp_gt_u32_e64 s[8:9], 60, v32
	s_waitcnt lgkmcnt(1)
	v_add_co_u32_e64 v31, s[6:7], v31, v40
	s_waitcnt lgkmcnt(0)
	v_addc_co_u32_e64 v39, s[6:7], v39, v27, s[6:7]
	v_cmp_gt_u32_e64 s[6:7], v35, v21
	v_cndmask_b32_e64 v27, v39, v27, s[6:7]
	v_cndmask_b32_e64 v39, 0, 1, s[8:9]
	v_lshlrev_b32_e32 v39, 2, v39
	v_cndmask_b32_e64 v26, v31, v26, s[6:7]
	v_add_lshl_u32 v39, v39, v30, 2
	ds_bpermute_b32 v41, v39, v26
	ds_bpermute_b32 v42, v39, v27
	v_cndmask_b32_e64 v31, v31, v40, s[6:7]
	v_add_u32_e32 v40, 4, v32
	v_cmp_gt_u32_e64 s[8:9], 56, v32
	s_waitcnt lgkmcnt(1)
	v_add_co_u32_e64 v43, s[6:7], v41, v31
	s_waitcnt lgkmcnt(0)
	v_addc_co_u32_e64 v41, s[6:7], v42, v27, s[6:7]
	v_cmp_gt_u32_e64 s[6:7], v40, v21
	v_cndmask_b32_e64 v27, v41, v27, s[6:7]
	v_cndmask_b32_e64 v41, 0, 1, s[8:9]
	v_lshlrev_b32_e32 v41, 3, v41
	v_cndmask_b32_e64 v26, v43, v26, s[6:7]
	v_add_lshl_u32 v41, v41, v30, 2
	ds_bpermute_b32 v44, v41, v26
	v_cndmask_b32_e64 v31, v43, v31, s[6:7]
	ds_bpermute_b32 v43, v41, v27
	v_add_u32_e32 v42, 8, v32
	v_cmp_gt_u32_e64 s[8:9], 48, v32
	s_waitcnt lgkmcnt(1)
	v_add_co_u32_e64 v44, s[6:7], v44, v31
	s_waitcnt lgkmcnt(0)
	v_addc_co_u32_e64 v43, s[6:7], v43, v27, s[6:7]
	v_cmp_gt_u32_e64 s[6:7], v42, v21
	v_cndmask_b32_e64 v27, v43, v27, s[6:7]
	v_cndmask_b32_e64 v43, 0, 1, s[8:9]
	v_lshlrev_b32_e32 v43, 4, v43
	v_cndmask_b32_e64 v26, v44, v26, s[6:7]
	v_add_lshl_u32 v43, v43, v30, 2
	ds_bpermute_b32 v45, v43, v26
	ds_bpermute_b32 v46, v43, v27
	v_cndmask_b32_e64 v31, v44, v31, s[6:7]
	v_cmp_gt_u32_e64 s[8:9], 32, v32
	v_add_u32_e32 v44, 16, v32
	s_waitcnt lgkmcnt(1)
	v_add_co_u32_e64 v47, s[6:7], v45, v31
	s_waitcnt lgkmcnt(0)
	v_addc_co_u32_e64 v46, s[6:7], v46, v27, s[6:7]
	v_cndmask_b32_e64 v45, 0, 1, s[8:9]
	v_cmp_gt_u32_e64 s[6:7], v44, v21
	v_lshlrev_b32_e32 v45, 5, v45
	v_cndmask_b32_e64 v26, v47, v26, s[6:7]
	v_add_lshl_u32 v45, v45, v30, 2
	v_cndmask_b32_e64 v27, v46, v27, s[6:7]
	ds_bpermute_b32 v26, v45, v26
	ds_bpermute_b32 v30, v45, v27
	v_add_u32_e32 v46, 32, v32
	v_cndmask_b32_e64 v31, v47, v31, s[6:7]
	v_cmp_le_u32_e64 s[6:7], v46, v21
	s_waitcnt lgkmcnt(1)
	v_cndmask_b32_e64 v26, 0, v26, s[6:7]
	s_waitcnt lgkmcnt(0)
	v_cndmask_b32_e64 v21, 0, v30, s[6:7]
	v_add_co_u32_e64 v26, s[6:7], v26, v31
	v_addc_co_u32_e64 v21, s[6:7], v21, v27, s[6:7]
	v_mov_b32_e32 v25, 0
	v_cndmask_b32_e32 v19, v19, v21, vcc
	v_cndmask_b32_e32 v18, v18, v26, vcc
	s_branch .LBB254_38
.LBB254_37:                             ;   in Loop: Header=BB254_38 Depth=1
	s_or_b64 exec, exec, s[6:7]
	v_cmp_eq_u16_sdwa s[6:7], v20, v1 src0_sel:BYTE_0 src1_sel:DWORD
	v_and_b32_e32 v21, s7, v17
	v_or_b32_e32 v21, 0x80000000, v21
	ds_bpermute_b32 v31, v33, v18
	v_and_b32_e32 v30, s6, v16
	v_ffbl_b32_e32 v21, v21
	v_add_u32_e32 v21, 32, v21
	v_ffbl_b32_e32 v30, v30
	v_min_u32_e32 v21, v30, v21
	ds_bpermute_b32 v30, v33, v19
	s_waitcnt lgkmcnt(1)
	v_add_co_u32_e32 v31, vcc, v18, v31
	v_addc_co_u32_e32 v47, vcc, 0, v19, vcc
	v_add_co_u32_e32 v48, vcc, 0, v31
	s_waitcnt lgkmcnt(0)
	v_addc_co_u32_e32 v30, vcc, v30, v47, vcc
	v_cmp_lt_u32_e32 vcc, v32, v21
	v_cndmask_b32_e32 v31, v18, v31, vcc
	ds_bpermute_b32 v47, v34, v31
	v_cndmask_b32_e32 v30, v19, v30, vcc
	ds_bpermute_b32 v49, v34, v30
	v_cndmask_b32_e32 v48, v18, v48, vcc
	v_subrev_u32_e32 v24, 64, v24
	s_waitcnt lgkmcnt(1)
	v_add_co_u32_e64 v47, s[6:7], v47, v48
	s_waitcnt lgkmcnt(0)
	v_addc_co_u32_e64 v49, s[6:7], v49, v30, s[6:7]
	v_cmp_gt_u32_e64 s[6:7], v35, v21
	v_cndmask_b32_e64 v31, v47, v31, s[6:7]
	ds_bpermute_b32 v50, v39, v31
	v_cndmask_b32_e64 v30, v49, v30, s[6:7]
	ds_bpermute_b32 v49, v39, v30
	v_cndmask_b32_e64 v47, v47, v48, s[6:7]
	s_waitcnt lgkmcnt(1)
	v_add_co_u32_e64 v48, s[6:7], v50, v47
	s_waitcnt lgkmcnt(0)
	v_addc_co_u32_e64 v49, s[6:7], v49, v30, s[6:7]
	v_cmp_gt_u32_e64 s[6:7], v40, v21
	v_cndmask_b32_e64 v31, v48, v31, s[6:7]
	ds_bpermute_b32 v50, v41, v31
	v_cndmask_b32_e64 v30, v49, v30, s[6:7]
	ds_bpermute_b32 v49, v41, v30
	v_cndmask_b32_e64 v47, v48, v47, s[6:7]
	;; [unrolled: 10-line block ×3, first 2 shown]
	s_waitcnt lgkmcnt(1)
	v_add_co_u32_e64 v48, s[6:7], v50, v47
	s_waitcnt lgkmcnt(0)
	v_addc_co_u32_e64 v49, s[6:7], v49, v30, s[6:7]
	v_cmp_gt_u32_e64 s[6:7], v44, v21
	v_cndmask_b32_e64 v31, v48, v31, s[6:7]
	v_cndmask_b32_e64 v30, v49, v30, s[6:7]
	ds_bpermute_b32 v31, v45, v31
	ds_bpermute_b32 v49, v45, v30
	v_cndmask_b32_e64 v47, v48, v47, s[6:7]
	v_cmp_le_u32_e64 s[6:7], v46, v21
	s_waitcnt lgkmcnt(1)
	v_cndmask_b32_e64 v31, 0, v31, s[6:7]
	s_waitcnt lgkmcnt(0)
	v_cndmask_b32_e64 v21, 0, v49, s[6:7]
	v_add_co_u32_e64 v31, s[6:7], v31, v47
	v_addc_co_u32_e64 v21, s[6:7], v21, v30, s[6:7]
	v_cndmask_b32_e32 v18, v18, v31, vcc
	v_cndmask_b32_e32 v19, v19, v21, vcc
	v_add_co_u32_e32 v18, vcc, v18, v26
	v_addc_co_u32_e32 v19, vcc, v19, v27, vcc
.LBB254_38:                             ; =>This Loop Header: Depth=1
                                        ;     Child Loop BB254_41 Depth 2
	v_cmp_ne_u16_sdwa s[6:7], v20, v1 src0_sel:BYTE_0 src1_sel:DWORD
	v_cndmask_b32_e64 v20, 0, 1, s[6:7]
	;;#ASMSTART
	;;#ASMEND
	v_cmp_ne_u32_e32 vcc, 0, v20
	s_cmp_lg_u64 vcc, exec
	v_pk_mov_b32 v[26:27], v[18:19], v[18:19] op_sel:[0,1]
	s_cbranch_scc1 .LBB254_43
; %bb.39:                               ;   in Loop: Header=BB254_38 Depth=1
	v_lshlrev_b64 v[18:19], 4, v[24:25]
	v_mov_b32_e32 v20, s11
	v_add_co_u32_e32 v30, vcc, s10, v18
	v_addc_co_u32_e32 v31, vcc, v20, v19, vcc
	;;#ASMSTART
	global_load_dwordx4 v[18:21], v[30:31] off glc	
s_waitcnt vmcnt(0)
	;;#ASMEND
	v_and_b32_e32 v21, 0xff, v19
	v_and_b32_e32 v47, 0xff00, v19
	v_or3_b32 v21, 0, v21, v47
	v_or3_b32 v18, v18, 0, 0
	v_and_b32_e32 v47, 0xff000000, v19
	v_and_b32_e32 v19, 0xff0000, v19
	v_or3_b32 v19, v21, v19, v47
	v_or3_b32 v18, v18, 0, 0
	v_cmp_eq_u16_sdwa s[8:9], v20, v25 src0_sel:BYTE_0 src1_sel:DWORD
	s_and_saveexec_b64 s[6:7], s[8:9]
	s_cbranch_execz .LBB254_37
; %bb.40:                               ;   in Loop: Header=BB254_38 Depth=1
	s_mov_b64 s[8:9], 0
.LBB254_41:                             ;   Parent Loop BB254_38 Depth=1
                                        ; =>  This Inner Loop Header: Depth=2
	;;#ASMSTART
	global_load_dwordx4 v[18:21], v[30:31] off glc	
s_waitcnt vmcnt(0)
	;;#ASMEND
	v_cmp_ne_u16_sdwa s[34:35], v20, v25 src0_sel:BYTE_0 src1_sel:DWORD
	s_or_b64 s[8:9], s[34:35], s[8:9]
	s_andn2_b64 exec, exec, s[8:9]
	s_cbranch_execnz .LBB254_41
; %bb.42:                               ;   in Loop: Header=BB254_38 Depth=1
	s_or_b64 exec, exec, s[8:9]
	s_branch .LBB254_37
.LBB254_43:                             ;   in Loop: Header=BB254_38 Depth=1
                                        ; implicit-def: $vgpr18_vgpr19
                                        ; implicit-def: $vgpr20
	s_cbranch_execz .LBB254_38
; %bb.44:
	s_and_saveexec_b64 s[6:7], s[4:5]
	s_cbranch_execz .LBB254_46
; %bb.45:
	s_add_i32 s4, s33, 64
	s_mov_b32 s5, 0
	s_lshl_b64 s[4:5], s[4:5], 4
	s_add_u32 s4, s10, s4
	v_add_co_u32_e32 v14, vcc, v26, v14
	s_addc_u32 s5, s11, s5
	v_addc_co_u32_e32 v15, vcc, v27, v15, vcc
	v_mov_b32_e32 v16, 2
	v_mov_b32_e32 v17, 0
	v_pk_mov_b32 v[18:19], s[4:5], s[4:5] op_sel:[0,1]
	;;#ASMSTART
	global_store_dwordx4 v[18:19], v[14:17] off	
s_waitcnt vmcnt(0)
	;;#ASMEND
.LBB254_46:
	s_or_b64 exec, exec, s[6:7]
	s_and_b64 exec, exec, s[2:3]
	s_cbranch_execz .LBB254_48
; %bb.47:
	v_mov_b32_e32 v1, 0
	ds_write_b64 v1, v[26:27]
.LBB254_48:
	s_or_b64 exec, exec, s[28:29]
	v_mov_b32_e32 v1, 0
	s_waitcnt lgkmcnt(0)
	s_barrier
	ds_read_b64 v[14:15], v1
	v_add_co_u32_e32 v1, vcc, v22, v2
	v_addc_co_u32_e32 v16, vcc, v23, v3, vcc
	s_waitcnt lgkmcnt(0)
	v_add_co_u32_e32 v24, vcc, v1, v14
	v_addc_co_u32_e32 v25, vcc, v16, v15, vcc
	v_add_co_u32_e32 v30, vcc, v24, v4
	v_addc_co_u32_e32 v31, vcc, v25, v5, vcc
	;; [unrolled: 2-line block ×7, first 2 shown]
	s_branch .LBB254_63
.LBB254_49:
                                        ; implicit-def: $vgpr22_vgpr23
                                        ; implicit-def: $vgpr34_vgpr35
                                        ; implicit-def: $vgpr32_vgpr33
                                        ; implicit-def: $vgpr30_vgpr31
                                        ; implicit-def: $vgpr18_vgpr19_vgpr20_vgpr21
                                        ; implicit-def: $vgpr14_vgpr15_vgpr16_vgpr17
                                        ; implicit-def: $vgpr24_vgpr25_vgpr26_vgpr27
	s_cbranch_execz .LBB254_63
; %bb.50:
	s_cmp_lg_u64 s[16:17], 0
	s_cselect_b64 s[4:5], -1, 0
	s_and_b64 s[6:7], s[2:3], s[4:5]
	s_and_saveexec_b64 s[4:5], s[6:7]
	s_cbranch_execz .LBB254_52
; %bb.51:
	v_mov_b32_e32 v1, 0
	global_load_dwordx2 v[14:15], v1, s[12:13]
	s_waitcnt vmcnt(0)
	v_add_co_u32_e32 v2, vcc, v14, v2
	v_addc_co_u32_e32 v3, vcc, v15, v3, vcc
.LBB254_52:
	s_or_b64 exec, exec, s[4:5]
	v_add_co_u32_e32 v30, vcc, v4, v2
	v_addc_co_u32_e32 v31, vcc, v5, v3, vcc
	v_add_co_u32_e32 v14, vcc, v30, v10
	v_addc_co_u32_e32 v15, vcc, v31, v11, vcc
	;; [unrolled: 2-line block ×6, first 2 shown]
	v_add_lshl_u32 v1, v38, v0, 3
	v_cmp_gt_u32_e32 vcc, 64, v0
	ds_write_b64 v1, v[22:23]
	s_waitcnt lgkmcnt(0)
	s_barrier
	s_and_saveexec_b64 s[6:7], vcc
	s_cbranch_execz .LBB254_56
; %bb.53:
	v_lshlrev_b32_e32 v1, 1, v0
	v_lshrrev_b32_e32 v16, 4, v0
	v_add_lshl_u32 v17, v16, v1, 3
	ds_read2_b64 v[24:27], v17 offset1:1
	v_mbcnt_lo_u32_b32 v1, -1, 0
	v_mbcnt_hi_u32_b32 v20, -1, v1
	v_and_b32_e32 v1, 15, v20
	v_cmp_ne_u32_e64 s[4:5], 0, v20
	s_waitcnt lgkmcnt(0)
	v_add_co_u32_e32 v21, vcc, v26, v24
	v_addc_co_u32_e32 v26, vcc, v27, v25, vcc
	s_nop 0
	v_mov_b32_dpp v16, v21 row_shr:1 row_mask:0xf bank_mask:0xf
	v_add_co_u32_e32 v16, vcc, v21, v16
	v_addc_co_u32_e32 v38, vcc, 0, v26, vcc
	v_mov_b32_dpp v27, v26 row_shr:1 row_mask:0xf bank_mask:0xf
	v_add_co_u32_e32 v39, vcc, 0, v16
	v_addc_co_u32_e32 v27, vcc, v27, v38, vcc
	v_cmp_eq_u32_e32 vcc, 0, v1
	v_cndmask_b32_e32 v16, v16, v21, vcc
	v_cndmask_b32_e32 v27, v27, v26, vcc
	v_cndmask_b32_e32 v38, v39, v21, vcc
	v_mov_b32_dpp v39, v16 row_shr:2 row_mask:0xf bank_mask:0xf
	v_mov_b32_dpp v40, v27 row_shr:2 row_mask:0xf bank_mask:0xf
	v_add_co_u32_e32 v39, vcc, v39, v38
	v_addc_co_u32_e32 v40, vcc, v40, v27, vcc
	v_cmp_lt_u32_e32 vcc, 1, v1
	v_cndmask_b32_e32 v16, v16, v39, vcc
	v_cndmask_b32_e32 v27, v27, v40, vcc
	v_cndmask_b32_e32 v38, v38, v39, vcc
	v_mov_b32_dpp v39, v16 row_shr:4 row_mask:0xf bank_mask:0xf
	v_mov_b32_dpp v40, v27 row_shr:4 row_mask:0xf bank_mask:0xf
	v_add_co_u32_e32 v39, vcc, v39, v38
	v_addc_co_u32_e32 v40, vcc, v40, v27, vcc
	v_cmp_lt_u32_e32 vcc, 3, v1
	;; [unrolled: 8-line block ×3, first 2 shown]
	v_cndmask_b32_e32 v41, v16, v39, vcc
	v_cndmask_b32_e32 v1, v27, v40, vcc
	;; [unrolled: 1-line block ×3, first 2 shown]
	v_mov_b32_dpp v27, v41 row_bcast:15 row_mask:0xf bank_mask:0xf
	v_mov_b32_dpp v38, v1 row_bcast:15 row_mask:0xf bank_mask:0xf
	v_add_co_u32_e32 v27, vcc, v27, v16
	v_and_b32_e32 v40, 16, v20
	v_addc_co_u32_e32 v39, vcc, v38, v1, vcc
	v_cmp_eq_u32_e32 vcc, 0, v40
	v_cndmask_b32_e32 v40, v39, v1, vcc
	v_cndmask_b32_e32 v38, v27, v41, vcc
	s_nop 0
	v_mov_b32_dpp v40, v40 row_bcast:31 row_mask:0xf bank_mask:0xf
	v_mov_b32_dpp v38, v38 row_bcast:31 row_mask:0xf bank_mask:0xf
	s_and_saveexec_b64 s[8:9], s[4:5]
; %bb.54:
	v_cndmask_b32_e32 v1, v39, v1, vcc
	v_cndmask_b32_e32 v16, v27, v16, vcc
	v_cmp_lt_u32_e32 vcc, 31, v20
	v_cndmask_b32_e32 v21, 0, v38, vcc
	v_cndmask_b32_e32 v26, 0, v40, vcc
	v_add_co_u32_e32 v21, vcc, v21, v16
	v_addc_co_u32_e32 v26, vcc, v26, v1, vcc
; %bb.55:
	s_or_b64 exec, exec, s[8:9]
	v_add_u32_e32 v1, -1, v20
	v_and_b32_e32 v16, 64, v20
	v_cmp_lt_i32_e32 vcc, v1, v16
	v_cndmask_b32_e32 v1, v1, v20, vcc
	v_lshlrev_b32_e32 v1, 2, v1
	ds_bpermute_b32 v16, v1, v21
	ds_bpermute_b32 v1, v1, v26
	; wave barrier
	s_waitcnt lgkmcnt(1)
	v_add_co_u32_e32 v16, vcc, v24, v16
	v_addc_co_u32_e32 v20, vcc, 0, v25, vcc
	v_add_co_u32_e32 v16, vcc, 0, v16
	s_waitcnt lgkmcnt(0)
	v_addc_co_u32_e32 v1, vcc, v20, v1, vcc
	v_cndmask_b32_e64 v21, v1, v23, s[2:3]
	v_cndmask_b32_e64 v20, v16, v22, s[2:3]
	ds_write_b64 v17, v[20:21]
	; wave barrier
	ds_read_b64 v[24:25], v17 offset:8
	s_waitcnt lgkmcnt(0)
	v_add_co_u32_e32 v20, vcc, v24, v20
	v_addc_co_u32_e32 v21, vcc, v25, v21, vcc
	ds_write_b64 v17, v[20:21] offset:8
.LBB254_56:
	s_or_b64 exec, exec, s[6:7]
	v_pk_mov_b32 v[16:17], v[22:23], v[22:23] op_sel:[0,1]
	s_waitcnt lgkmcnt(0)
	s_barrier
	s_and_saveexec_b64 s[2:3], s[0:1]
	s_cbranch_execz .LBB254_58
; %bb.57:
	v_add_u32_e32 v1, -1, v0
	v_lshrrev_b32_e32 v16, 5, v1
	v_add_lshl_u32 v1, v16, v1, 3
	ds_read_b64 v[16:17], v1
.LBB254_58:
	s_or_b64 exec, exec, s[2:3]
	s_and_saveexec_b64 s[2:3], s[0:1]
	s_cbranch_execz .LBB254_60
; %bb.59:
	s_waitcnt lgkmcnt(0)
	v_add_co_u32_e32 v2, vcc, v16, v2
	v_addc_co_u32_e32 v3, vcc, v17, v3, vcc
	v_add_co_u32_e32 v30, vcc, v2, v4
	v_addc_co_u32_e32 v31, vcc, v3, v5, vcc
	;; [unrolled: 2-line block ×7, first 2 shown]
	;;#ASMSTART
	;;#ASMEND
.LBB254_60:
	s_or_b64 exec, exec, s[2:3]
	s_movk_i32 s0, 0x7f
	v_cmp_eq_u32_e32 vcc, s0, v0
	s_and_saveexec_b64 s[0:1], vcc
	s_cbranch_execz .LBB254_62
; %bb.61:
	s_add_u32 s2, s10, 0x400
	s_addc_u32 s3, s11, 0
	v_mov_b32_e32 v24, 2
	v_mov_b32_e32 v25, 0
	v_pk_mov_b32 v[4:5], s[2:3], s[2:3] op_sel:[0,1]
	;;#ASMSTART
	global_store_dwordx4 v[4:5], v[22:25] off	
s_waitcnt vmcnt(0)
	;;#ASMEND
.LBB254_62:
	s_or_b64 exec, exec, s[0:1]
	v_pk_mov_b32 v[24:25], v[2:3], v[2:3] op_sel:[0,1]
.LBB254_63:
	s_add_u32 s0, s24, s22
	s_addc_u32 s1, s25, s23
	s_add_u32 s2, s0, s26
	s_addc_u32 s3, s1, s27
	s_mov_b64 s[0:1], -1
	s_and_b64 vcc, exec, s[20:21]
	v_mul_u32_u24_e32 v1, 56, v0
	s_waitcnt lgkmcnt(0)
	s_barrier
	s_cbranch_vccz .LBB254_65
; %bb.64:
	v_mul_i32_i24_e32 v2, 0xffffffd0, v0
	v_mad_u32_u24 v16, v0, 56, v2
	ds_write2_b64 v1, v[24:25], v[30:31] offset1:1
	ds_write2_b64 v1, v[14:15], v[32:33] offset0:2 offset1:3
	ds_write2_b64 v1, v[18:19], v[34:35] offset0:4 offset1:5
	ds_write_b64 v1, v[22:23] offset:48
	s_waitcnt lgkmcnt(0)
	s_barrier
	ds_read2st64_b64 v[2:5], v16 offset1:2
	ds_read2st64_b64 v[6:9], v16 offset0:4 offset1:6
	ds_read2st64_b64 v[10:13], v16 offset0:8 offset1:10
	ds_read_b64 v[16:17], v16 offset:6144
	v_mov_b32_e32 v21, s3
	v_add_co_u32_e32 v20, vcc, s2, v36
	v_addc_co_u32_e32 v21, vcc, 0, v21, vcc
	s_waitcnt lgkmcnt(3)
	flat_store_dwordx2 v[20:21], v[2:3]
	flat_store_dwordx2 v[20:21], v[4:5] offset:1024
	s_waitcnt lgkmcnt(0)
	flat_store_dwordx2 v[20:21], v[6:7] offset:2048
	flat_store_dwordx2 v[20:21], v[8:9] offset:3072
	v_add_co_u32_e32 v2, vcc, 0x1000, v20
	v_addc_co_u32_e32 v3, vcc, 0, v21, vcc
	flat_store_dwordx2 v[2:3], v[10:11]
	flat_store_dwordx2 v[2:3], v[12:13] offset:1024
	flat_store_dwordx2 v[2:3], v[16:17] offset:2048
	s_mov_b64 s[0:1], 0
.LBB254_65:
	s_andn2_b64 vcc, exec, s[0:1]
	s_cbranch_vccnz .LBB254_104
; %bb.66:
	v_mul_i32_i24_e32 v2, 0xffffffd0, v0
	ds_write2_b64 v1, v[24:25], v[30:31] offset1:1
	ds_write2_b64 v1, v[14:15], v[32:33] offset0:2 offset1:3
	ds_write2_b64 v1, v[18:19], v[34:35] offset0:4 offset1:5
	ds_write_b64 v1, v[22:23] offset:48
	v_mad_u32_u24 v14, v0, 56, v2
	s_waitcnt lgkmcnt(0)
	s_barrier
	ds_read2st64_b64 v[2:5], v14 offset1:2
	ds_read2st64_b64 v[6:9], v14 offset0:4 offset1:6
	ds_read2st64_b64 v[10:13], v14 offset0:8 offset1:10
	ds_read_b64 v[14:15], v14 offset:6144
	v_mov_b32_e32 v17, s3
	v_add_co_u32_e32 v16, vcc, s2, v36
	v_addc_co_u32_e32 v17, vcc, 0, v17, vcc
	v_mov_b32_e32 v1, 0
	v_cmp_gt_u32_e32 vcc, s30, v0
	s_and_saveexec_b64 s[0:1], vcc
	s_cbranch_execz .LBB254_68
; %bb.67:
	s_waitcnt lgkmcnt(0)
	flat_store_dwordx2 v[16:17], v[2:3]
.LBB254_68:
	s_or_b64 exec, exec, s[0:1]
	v_or_b32_e32 v18, 0x80, v0
	v_cmp_gt_u32_e32 vcc, s30, v18
	s_and_saveexec_b64 s[0:1], vcc
	s_cbranch_execz .LBB254_70
; %bb.69:
	s_waitcnt lgkmcnt(0)
	flat_store_dwordx2 v[16:17], v[4:5] offset:1024
.LBB254_70:
	s_or_b64 exec, exec, s[0:1]
	v_or_b32_e32 v18, 0x100, v0
	v_cmp_gt_u32_e32 vcc, s30, v18
	s_and_saveexec_b64 s[0:1], vcc
	s_cbranch_execz .LBB254_72
; %bb.71:
	s_waitcnt lgkmcnt(0)
	flat_store_dwordx2 v[16:17], v[6:7] offset:2048
.LBB254_72:
	;; [unrolled: 9-line block ×3, first 2 shown]
	s_or_b64 exec, exec, s[0:1]
	v_or_b32_e32 v18, 0x200, v0
	v_cmp_gt_u32_e32 vcc, s30, v18
	s_and_saveexec_b64 s[0:1], vcc
	s_cbranch_execz .LBB254_76
; %bb.75:
	v_add_co_u32_e32 v18, vcc, 0x1000, v16
	v_addc_co_u32_e32 v19, vcc, 0, v17, vcc
	s_waitcnt lgkmcnt(0)
	flat_store_dwordx2 v[18:19], v[10:11]
.LBB254_76:
	s_or_b64 exec, exec, s[0:1]
	v_or_b32_e32 v18, 0x280, v0
	v_cmp_gt_u32_e32 vcc, s30, v18
	s_and_saveexec_b64 s[0:1], vcc
	s_cbranch_execz .LBB254_78
; %bb.77:
	v_add_co_u32_e32 v18, vcc, 0x1000, v16
	v_addc_co_u32_e32 v19, vcc, 0, v17, vcc
	s_waitcnt lgkmcnt(0)
	flat_store_dwordx2 v[18:19], v[12:13] offset:1024
.LBB254_78:
	s_or_b64 exec, exec, s[0:1]
	v_or_b32_e32 v18, 0x300, v0
	v_cmp_gt_u32_e32 vcc, s30, v18
	s_and_saveexec_b64 s[0:1], vcc
	s_cbranch_execz .LBB254_80
; %bb.79:
	v_add_co_u32_e32 v16, vcc, 0x1000, v16
	v_addc_co_u32_e32 v17, vcc, 0, v17, vcc
	s_waitcnt lgkmcnt(0)
	flat_store_dwordx2 v[16:17], v[14:15] offset:2048
.LBB254_80:
	s_or_b64 exec, exec, s[0:1]
	v_cmp_lt_u64_e64 s[0:1], s[18:19], 2
	s_and_b64 vcc, exec, s[0:1]
	s_cbranch_vccnz .LBB254_104
; %bb.81:
	s_add_u32 s0, s30, -1
	s_addc_u32 s1, s31, -1
	s_add_u32 s2, 0, 0x92481000
	s_addc_u32 s3, 0, 0x64
	s_add_i32 s3, s3, 0x249248c0
	s_mul_hi_u32 s7, s2, -7
	s_sub_i32 s7, s7, s2
	s_mul_i32 s8, s3, -7
	s_mul_i32 s4, s2, -7
	s_add_i32 s7, s7, s8
	s_mul_hi_u32 s5, s3, s4
	s_mul_i32 s6, s3, s4
	s_mul_i32 s9, s2, s7
	s_mul_hi_u32 s4, s2, s4
	s_mul_hi_u32 s8, s2, s7
	s_add_u32 s4, s4, s9
	s_addc_u32 s8, 0, s8
	s_add_u32 s4, s4, s6
	s_mul_hi_u32 s9, s3, s7
	s_addc_u32 s4, s8, s5
	s_addc_u32 s5, s9, 0
	s_mul_i32 s6, s3, s7
	s_add_u32 s4, s4, s6
	v_mov_b32_e32 v16, s4
	s_addc_u32 s5, 0, s5
	v_add_co_u32_e32 v16, vcc, s2, v16
	s_cmp_lg_u64 vcc, 0
	s_addc_u32 s2, s3, s5
	v_readfirstlane_b32 s5, v16
	s_mul_i32 s4, s0, s2
	s_mul_hi_u32 s6, s0, s5
	s_mul_hi_u32 s3, s0, s2
	s_add_u32 s4, s6, s4
	s_addc_u32 s3, 0, s3
	s_mul_hi_u32 s7, s1, s5
	s_mul_i32 s5, s1, s5
	s_add_u32 s4, s4, s5
	s_mul_hi_u32 s6, s1, s2
	s_addc_u32 s3, s3, s7
	s_addc_u32 s4, s6, 0
	s_mul_i32 s2, s1, s2
	s_add_u32 s2, s3, s2
	s_addc_u32 s3, 0, s4
	s_add_u32 s4, s2, 1
	s_addc_u32 s5, s3, 0
	s_add_u32 s6, s2, 2
	s_mul_i32 s8, s3, 7
	s_mul_hi_u32 s9, s2, 7
	s_addc_u32 s7, s3, 0
	s_add_i32 s9, s9, s8
	s_mul_i32 s8, s2, 7
	v_mov_b32_e32 v16, s8
	v_sub_co_u32_e32 v16, vcc, s0, v16
	s_cmp_lg_u64 vcc, 0
	s_subb_u32 s8, s1, s9
	v_subrev_co_u32_e32 v17, vcc, 7, v16
	s_cmp_lg_u64 vcc, 0
	s_subb_u32 s9, s8, 0
	v_readfirstlane_b32 s10, v17
	s_cmp_gt_u32 s10, 6
	s_cselect_b32 s10, -1, 0
	s_cmp_eq_u32 s9, 0
	s_cselect_b32 s9, s10, -1
	s_cmp_lg_u32 s9, 0
	s_cselect_b32 s4, s6, s4
	v_readfirstlane_b32 s6, v16
	s_cselect_b32 s5, s7, s5
	s_cmp_gt_u32 s6, 6
	s_cselect_b32 s6, -1, 0
	s_cmp_eq_u32 s8, 0
	s_cselect_b32 s6, s6, -1
	s_cmp_lg_u32 s6, 0
	s_cselect_b32 s3, s5, s3
	s_cselect_b32 s2, s4, s2
	v_cmp_eq_u64_e32 vcc, s[2:3], v[0:1]
	s_and_saveexec_b64 s[2:3], vcc
	s_cbranch_execz .LBB254_104
; %bb.82:
	v_mul_hi_u32_u24_e32 v1, 7, v0
	v_mov_b32_e32 v16, s1
	v_sub_co_u32_e32 v0, vcc, s0, v37
	v_subb_co_u32_e32 v1, vcc, v16, v1, vcc
	v_cmp_lt_i64_e32 vcc, 3, v[0:1]
	s_and_saveexec_b64 s[0:1], vcc
	s_xor_b64 s[0:1], exec, s[0:1]
	s_cbranch_execz .LBB254_92
; %bb.83:
	v_cmp_lt_i64_e32 vcc, 4, v[0:1]
	s_and_saveexec_b64 s[2:3], vcc
	s_xor_b64 s[2:3], exec, s[2:3]
	s_cbranch_execz .LBB254_89
; %bb.84:
	;; [unrolled: 5-line block ×3, first 2 shown]
	v_mov_b32_e32 v0, 0
	s_waitcnt lgkmcnt(0)
	global_store_dwordx2 v0, v[14:15], s[14:15]
                                        ; implicit-def: $vgpr10_vgpr11_vgpr12_vgpr13
.LBB254_86:
	s_andn2_saveexec_b64 s[4:5], s[4:5]
	s_cbranch_execz .LBB254_88
; %bb.87:
	v_mov_b32_e32 v0, 0
	s_waitcnt lgkmcnt(0)
	global_store_dwordx2 v0, v[12:13], s[14:15]
.LBB254_88:
	s_or_b64 exec, exec, s[4:5]
                                        ; implicit-def: $vgpr10_vgpr11_vgpr12_vgpr13
.LBB254_89:
	s_andn2_saveexec_b64 s[2:3], s[2:3]
	s_cbranch_execz .LBB254_91
; %bb.90:
	v_mov_b32_e32 v0, 0
	s_waitcnt lgkmcnt(0)
	global_store_dwordx2 v0, v[10:11], s[14:15]
.LBB254_91:
	s_or_b64 exec, exec, s[2:3]
                                        ; implicit-def: $vgpr0_vgpr1
                                        ; implicit-def: $vgpr2_vgpr3_vgpr4_vgpr5
                                        ; implicit-def: $vgpr6_vgpr7_vgpr8_vgpr9
.LBB254_92:
	s_andn2_saveexec_b64 s[0:1], s[0:1]
	s_cbranch_execz .LBB254_104
; %bb.93:
	v_cmp_lt_i64_e32 vcc, 1, v[0:1]
	s_and_saveexec_b64 s[0:1], vcc
	s_xor_b64 s[0:1], exec, s[0:1]
	s_cbranch_execz .LBB254_99
; %bb.94:
	v_cmp_lt_i64_e32 vcc, 2, v[0:1]
	s_and_saveexec_b64 s[2:3], vcc
	s_xor_b64 s[2:3], exec, s[2:3]
	s_cbranch_execz .LBB254_96
; %bb.95:
	v_mov_b32_e32 v0, 0
	s_waitcnt lgkmcnt(0)
	global_store_dwordx2 v0, v[8:9], s[14:15]
                                        ; implicit-def: $vgpr6_vgpr7_vgpr8_vgpr9
.LBB254_96:
	s_andn2_saveexec_b64 s[2:3], s[2:3]
	s_cbranch_execz .LBB254_98
; %bb.97:
	v_mov_b32_e32 v0, 0
	s_waitcnt lgkmcnt(0)
	global_store_dwordx2 v0, v[6:7], s[14:15]
.LBB254_98:
	s_or_b64 exec, exec, s[2:3]
                                        ; implicit-def: $vgpr2_vgpr3_vgpr4_vgpr5
                                        ; implicit-def: $vgpr0_vgpr1
.LBB254_99:
	s_andn2_saveexec_b64 s[0:1], s[0:1]
	s_cbranch_execz .LBB254_104
; %bb.100:
	v_cmp_ne_u64_e32 vcc, 1, v[0:1]
	s_and_saveexec_b64 s[0:1], vcc
	s_xor_b64 s[0:1], exec, s[0:1]
	s_cbranch_execz .LBB254_102
; %bb.101:
	v_mov_b32_e32 v0, 0
	s_waitcnt lgkmcnt(0)
	global_store_dwordx2 v0, v[2:3], s[14:15]
                                        ; implicit-def: $vgpr2_vgpr3_vgpr4_vgpr5
.LBB254_102:
	s_andn2_saveexec_b64 s[0:1], s[0:1]
	s_cbranch_execz .LBB254_104
; %bb.103:
	v_mov_b32_e32 v0, 0
	s_waitcnt lgkmcnt(0)
	global_store_dwordx2 v0, v[4:5], s[14:15]
.LBB254_104:
	s_endpgm
	.section	.rodata,"a",@progbits
	.p2align	6, 0x0
	.amdhsa_kernel _ZN7rocprim17ROCPRIM_400000_NS6detail17trampoline_kernelINS0_14default_configENS1_20scan_config_selectorIxEEZZNS1_9scan_implILNS1_25lookback_scan_determinismE0ELb0ELb0ES3_N6thrust23THRUST_200600_302600_NS6detail15normal_iteratorINS9_10device_ptrIxEEEESE_xNS9_4plusIxEExEEDaPvRmT3_T4_T5_mT6_P12ihipStream_tbENKUlT_T0_E_clISt17integral_constantIbLb0EEST_IbLb1EEEEDaSP_SQ_EUlSP_E_NS1_11comp_targetILNS1_3genE4ELNS1_11target_archE910ELNS1_3gpuE8ELNS1_3repE0EEENS1_30default_config_static_selectorELNS0_4arch9wavefront6targetE1EEEvT1_
		.amdhsa_group_segment_fixed_size 7168
		.amdhsa_private_segment_fixed_size 0
		.amdhsa_kernarg_size 104
		.amdhsa_user_sgpr_count 6
		.amdhsa_user_sgpr_private_segment_buffer 1
		.amdhsa_user_sgpr_dispatch_ptr 0
		.amdhsa_user_sgpr_queue_ptr 0
		.amdhsa_user_sgpr_kernarg_segment_ptr 1
		.amdhsa_user_sgpr_dispatch_id 0
		.amdhsa_user_sgpr_flat_scratch_init 0
		.amdhsa_user_sgpr_kernarg_preload_length 0
		.amdhsa_user_sgpr_kernarg_preload_offset 0
		.amdhsa_user_sgpr_private_segment_size 0
		.amdhsa_uses_dynamic_stack 0
		.amdhsa_system_sgpr_private_segment_wavefront_offset 0
		.amdhsa_system_sgpr_workgroup_id_x 1
		.amdhsa_system_sgpr_workgroup_id_y 0
		.amdhsa_system_sgpr_workgroup_id_z 0
		.amdhsa_system_sgpr_workgroup_info 0
		.amdhsa_system_vgpr_workitem_id 0
		.amdhsa_next_free_vgpr 51
		.amdhsa_next_free_sgpr 36
		.amdhsa_accum_offset 52
		.amdhsa_reserve_vcc 1
		.amdhsa_reserve_flat_scratch 0
		.amdhsa_float_round_mode_32 0
		.amdhsa_float_round_mode_16_64 0
		.amdhsa_float_denorm_mode_32 3
		.amdhsa_float_denorm_mode_16_64 3
		.amdhsa_dx10_clamp 1
		.amdhsa_ieee_mode 1
		.amdhsa_fp16_overflow 0
		.amdhsa_tg_split 0
		.amdhsa_exception_fp_ieee_invalid_op 0
		.amdhsa_exception_fp_denorm_src 0
		.amdhsa_exception_fp_ieee_div_zero 0
		.amdhsa_exception_fp_ieee_overflow 0
		.amdhsa_exception_fp_ieee_underflow 0
		.amdhsa_exception_fp_ieee_inexact 0
		.amdhsa_exception_int_div_zero 0
	.end_amdhsa_kernel
	.section	.text._ZN7rocprim17ROCPRIM_400000_NS6detail17trampoline_kernelINS0_14default_configENS1_20scan_config_selectorIxEEZZNS1_9scan_implILNS1_25lookback_scan_determinismE0ELb0ELb0ES3_N6thrust23THRUST_200600_302600_NS6detail15normal_iteratorINS9_10device_ptrIxEEEESE_xNS9_4plusIxEExEEDaPvRmT3_T4_T5_mT6_P12ihipStream_tbENKUlT_T0_E_clISt17integral_constantIbLb0EEST_IbLb1EEEEDaSP_SQ_EUlSP_E_NS1_11comp_targetILNS1_3genE4ELNS1_11target_archE910ELNS1_3gpuE8ELNS1_3repE0EEENS1_30default_config_static_selectorELNS0_4arch9wavefront6targetE1EEEvT1_,"axG",@progbits,_ZN7rocprim17ROCPRIM_400000_NS6detail17trampoline_kernelINS0_14default_configENS1_20scan_config_selectorIxEEZZNS1_9scan_implILNS1_25lookback_scan_determinismE0ELb0ELb0ES3_N6thrust23THRUST_200600_302600_NS6detail15normal_iteratorINS9_10device_ptrIxEEEESE_xNS9_4plusIxEExEEDaPvRmT3_T4_T5_mT6_P12ihipStream_tbENKUlT_T0_E_clISt17integral_constantIbLb0EEST_IbLb1EEEEDaSP_SQ_EUlSP_E_NS1_11comp_targetILNS1_3genE4ELNS1_11target_archE910ELNS1_3gpuE8ELNS1_3repE0EEENS1_30default_config_static_selectorELNS0_4arch9wavefront6targetE1EEEvT1_,comdat
.Lfunc_end254:
	.size	_ZN7rocprim17ROCPRIM_400000_NS6detail17trampoline_kernelINS0_14default_configENS1_20scan_config_selectorIxEEZZNS1_9scan_implILNS1_25lookback_scan_determinismE0ELb0ELb0ES3_N6thrust23THRUST_200600_302600_NS6detail15normal_iteratorINS9_10device_ptrIxEEEESE_xNS9_4plusIxEExEEDaPvRmT3_T4_T5_mT6_P12ihipStream_tbENKUlT_T0_E_clISt17integral_constantIbLb0EEST_IbLb1EEEEDaSP_SQ_EUlSP_E_NS1_11comp_targetILNS1_3genE4ELNS1_11target_archE910ELNS1_3gpuE8ELNS1_3repE0EEENS1_30default_config_static_selectorELNS0_4arch9wavefront6targetE1EEEvT1_, .Lfunc_end254-_ZN7rocprim17ROCPRIM_400000_NS6detail17trampoline_kernelINS0_14default_configENS1_20scan_config_selectorIxEEZZNS1_9scan_implILNS1_25lookback_scan_determinismE0ELb0ELb0ES3_N6thrust23THRUST_200600_302600_NS6detail15normal_iteratorINS9_10device_ptrIxEEEESE_xNS9_4plusIxEExEEDaPvRmT3_T4_T5_mT6_P12ihipStream_tbENKUlT_T0_E_clISt17integral_constantIbLb0EEST_IbLb1EEEEDaSP_SQ_EUlSP_E_NS1_11comp_targetILNS1_3genE4ELNS1_11target_archE910ELNS1_3gpuE8ELNS1_3repE0EEENS1_30default_config_static_selectorELNS0_4arch9wavefront6targetE1EEEvT1_
                                        ; -- End function
	.section	.AMDGPU.csdata,"",@progbits
; Kernel info:
; codeLenInByte = 5700
; NumSgprs: 40
; NumVgprs: 51
; NumAgprs: 0
; TotalNumVgprs: 51
; ScratchSize: 0
; MemoryBound: 0
; FloatMode: 240
; IeeeMode: 1
; LDSByteSize: 7168 bytes/workgroup (compile time only)
; SGPRBlocks: 4
; VGPRBlocks: 6
; NumSGPRsForWavesPerEU: 40
; NumVGPRsForWavesPerEU: 51
; AccumOffset: 52
; Occupancy: 5
; WaveLimiterHint : 1
; COMPUTE_PGM_RSRC2:SCRATCH_EN: 0
; COMPUTE_PGM_RSRC2:USER_SGPR: 6
; COMPUTE_PGM_RSRC2:TRAP_HANDLER: 0
; COMPUTE_PGM_RSRC2:TGID_X_EN: 1
; COMPUTE_PGM_RSRC2:TGID_Y_EN: 0
; COMPUTE_PGM_RSRC2:TGID_Z_EN: 0
; COMPUTE_PGM_RSRC2:TIDIG_COMP_CNT: 0
; COMPUTE_PGM_RSRC3_GFX90A:ACCUM_OFFSET: 12
; COMPUTE_PGM_RSRC3_GFX90A:TG_SPLIT: 0
	.section	.text._ZN7rocprim17ROCPRIM_400000_NS6detail17trampoline_kernelINS0_14default_configENS1_20scan_config_selectorIxEEZZNS1_9scan_implILNS1_25lookback_scan_determinismE0ELb0ELb0ES3_N6thrust23THRUST_200600_302600_NS6detail15normal_iteratorINS9_10device_ptrIxEEEESE_xNS9_4plusIxEExEEDaPvRmT3_T4_T5_mT6_P12ihipStream_tbENKUlT_T0_E_clISt17integral_constantIbLb0EEST_IbLb1EEEEDaSP_SQ_EUlSP_E_NS1_11comp_targetILNS1_3genE3ELNS1_11target_archE908ELNS1_3gpuE7ELNS1_3repE0EEENS1_30default_config_static_selectorELNS0_4arch9wavefront6targetE1EEEvT1_,"axG",@progbits,_ZN7rocprim17ROCPRIM_400000_NS6detail17trampoline_kernelINS0_14default_configENS1_20scan_config_selectorIxEEZZNS1_9scan_implILNS1_25lookback_scan_determinismE0ELb0ELb0ES3_N6thrust23THRUST_200600_302600_NS6detail15normal_iteratorINS9_10device_ptrIxEEEESE_xNS9_4plusIxEExEEDaPvRmT3_T4_T5_mT6_P12ihipStream_tbENKUlT_T0_E_clISt17integral_constantIbLb0EEST_IbLb1EEEEDaSP_SQ_EUlSP_E_NS1_11comp_targetILNS1_3genE3ELNS1_11target_archE908ELNS1_3gpuE7ELNS1_3repE0EEENS1_30default_config_static_selectorELNS0_4arch9wavefront6targetE1EEEvT1_,comdat
	.protected	_ZN7rocprim17ROCPRIM_400000_NS6detail17trampoline_kernelINS0_14default_configENS1_20scan_config_selectorIxEEZZNS1_9scan_implILNS1_25lookback_scan_determinismE0ELb0ELb0ES3_N6thrust23THRUST_200600_302600_NS6detail15normal_iteratorINS9_10device_ptrIxEEEESE_xNS9_4plusIxEExEEDaPvRmT3_T4_T5_mT6_P12ihipStream_tbENKUlT_T0_E_clISt17integral_constantIbLb0EEST_IbLb1EEEEDaSP_SQ_EUlSP_E_NS1_11comp_targetILNS1_3genE3ELNS1_11target_archE908ELNS1_3gpuE7ELNS1_3repE0EEENS1_30default_config_static_selectorELNS0_4arch9wavefront6targetE1EEEvT1_ ; -- Begin function _ZN7rocprim17ROCPRIM_400000_NS6detail17trampoline_kernelINS0_14default_configENS1_20scan_config_selectorIxEEZZNS1_9scan_implILNS1_25lookback_scan_determinismE0ELb0ELb0ES3_N6thrust23THRUST_200600_302600_NS6detail15normal_iteratorINS9_10device_ptrIxEEEESE_xNS9_4plusIxEExEEDaPvRmT3_T4_T5_mT6_P12ihipStream_tbENKUlT_T0_E_clISt17integral_constantIbLb0EEST_IbLb1EEEEDaSP_SQ_EUlSP_E_NS1_11comp_targetILNS1_3genE3ELNS1_11target_archE908ELNS1_3gpuE7ELNS1_3repE0EEENS1_30default_config_static_selectorELNS0_4arch9wavefront6targetE1EEEvT1_
	.globl	_ZN7rocprim17ROCPRIM_400000_NS6detail17trampoline_kernelINS0_14default_configENS1_20scan_config_selectorIxEEZZNS1_9scan_implILNS1_25lookback_scan_determinismE0ELb0ELb0ES3_N6thrust23THRUST_200600_302600_NS6detail15normal_iteratorINS9_10device_ptrIxEEEESE_xNS9_4plusIxEExEEDaPvRmT3_T4_T5_mT6_P12ihipStream_tbENKUlT_T0_E_clISt17integral_constantIbLb0EEST_IbLb1EEEEDaSP_SQ_EUlSP_E_NS1_11comp_targetILNS1_3genE3ELNS1_11target_archE908ELNS1_3gpuE7ELNS1_3repE0EEENS1_30default_config_static_selectorELNS0_4arch9wavefront6targetE1EEEvT1_
	.p2align	8
	.type	_ZN7rocprim17ROCPRIM_400000_NS6detail17trampoline_kernelINS0_14default_configENS1_20scan_config_selectorIxEEZZNS1_9scan_implILNS1_25lookback_scan_determinismE0ELb0ELb0ES3_N6thrust23THRUST_200600_302600_NS6detail15normal_iteratorINS9_10device_ptrIxEEEESE_xNS9_4plusIxEExEEDaPvRmT3_T4_T5_mT6_P12ihipStream_tbENKUlT_T0_E_clISt17integral_constantIbLb0EEST_IbLb1EEEEDaSP_SQ_EUlSP_E_NS1_11comp_targetILNS1_3genE3ELNS1_11target_archE908ELNS1_3gpuE7ELNS1_3repE0EEENS1_30default_config_static_selectorELNS0_4arch9wavefront6targetE1EEEvT1_,@function
_ZN7rocprim17ROCPRIM_400000_NS6detail17trampoline_kernelINS0_14default_configENS1_20scan_config_selectorIxEEZZNS1_9scan_implILNS1_25lookback_scan_determinismE0ELb0ELb0ES3_N6thrust23THRUST_200600_302600_NS6detail15normal_iteratorINS9_10device_ptrIxEEEESE_xNS9_4plusIxEExEEDaPvRmT3_T4_T5_mT6_P12ihipStream_tbENKUlT_T0_E_clISt17integral_constantIbLb0EEST_IbLb1EEEEDaSP_SQ_EUlSP_E_NS1_11comp_targetILNS1_3genE3ELNS1_11target_archE908ELNS1_3gpuE7ELNS1_3repE0EEENS1_30default_config_static_selectorELNS0_4arch9wavefront6targetE1EEEvT1_: ; @_ZN7rocprim17ROCPRIM_400000_NS6detail17trampoline_kernelINS0_14default_configENS1_20scan_config_selectorIxEEZZNS1_9scan_implILNS1_25lookback_scan_determinismE0ELb0ELb0ES3_N6thrust23THRUST_200600_302600_NS6detail15normal_iteratorINS9_10device_ptrIxEEEESE_xNS9_4plusIxEExEEDaPvRmT3_T4_T5_mT6_P12ihipStream_tbENKUlT_T0_E_clISt17integral_constantIbLb0EEST_IbLb1EEEEDaSP_SQ_EUlSP_E_NS1_11comp_targetILNS1_3genE3ELNS1_11target_archE908ELNS1_3gpuE7ELNS1_3repE0EEENS1_30default_config_static_selectorELNS0_4arch9wavefront6targetE1EEEvT1_
; %bb.0:
	.section	.rodata,"a",@progbits
	.p2align	6, 0x0
	.amdhsa_kernel _ZN7rocprim17ROCPRIM_400000_NS6detail17trampoline_kernelINS0_14default_configENS1_20scan_config_selectorIxEEZZNS1_9scan_implILNS1_25lookback_scan_determinismE0ELb0ELb0ES3_N6thrust23THRUST_200600_302600_NS6detail15normal_iteratorINS9_10device_ptrIxEEEESE_xNS9_4plusIxEExEEDaPvRmT3_T4_T5_mT6_P12ihipStream_tbENKUlT_T0_E_clISt17integral_constantIbLb0EEST_IbLb1EEEEDaSP_SQ_EUlSP_E_NS1_11comp_targetILNS1_3genE3ELNS1_11target_archE908ELNS1_3gpuE7ELNS1_3repE0EEENS1_30default_config_static_selectorELNS0_4arch9wavefront6targetE1EEEvT1_
		.amdhsa_group_segment_fixed_size 0
		.amdhsa_private_segment_fixed_size 0
		.amdhsa_kernarg_size 104
		.amdhsa_user_sgpr_count 6
		.amdhsa_user_sgpr_private_segment_buffer 1
		.amdhsa_user_sgpr_dispatch_ptr 0
		.amdhsa_user_sgpr_queue_ptr 0
		.amdhsa_user_sgpr_kernarg_segment_ptr 1
		.amdhsa_user_sgpr_dispatch_id 0
		.amdhsa_user_sgpr_flat_scratch_init 0
		.amdhsa_user_sgpr_kernarg_preload_length 0
		.amdhsa_user_sgpr_kernarg_preload_offset 0
		.amdhsa_user_sgpr_private_segment_size 0
		.amdhsa_uses_dynamic_stack 0
		.amdhsa_system_sgpr_private_segment_wavefront_offset 0
		.amdhsa_system_sgpr_workgroup_id_x 1
		.amdhsa_system_sgpr_workgroup_id_y 0
		.amdhsa_system_sgpr_workgroup_id_z 0
		.amdhsa_system_sgpr_workgroup_info 0
		.amdhsa_system_vgpr_workitem_id 0
		.amdhsa_next_free_vgpr 1
		.amdhsa_next_free_sgpr 0
		.amdhsa_accum_offset 4
		.amdhsa_reserve_vcc 0
		.amdhsa_reserve_flat_scratch 0
		.amdhsa_float_round_mode_32 0
		.amdhsa_float_round_mode_16_64 0
		.amdhsa_float_denorm_mode_32 3
		.amdhsa_float_denorm_mode_16_64 3
		.amdhsa_dx10_clamp 1
		.amdhsa_ieee_mode 1
		.amdhsa_fp16_overflow 0
		.amdhsa_tg_split 0
		.amdhsa_exception_fp_ieee_invalid_op 0
		.amdhsa_exception_fp_denorm_src 0
		.amdhsa_exception_fp_ieee_div_zero 0
		.amdhsa_exception_fp_ieee_overflow 0
		.amdhsa_exception_fp_ieee_underflow 0
		.amdhsa_exception_fp_ieee_inexact 0
		.amdhsa_exception_int_div_zero 0
	.end_amdhsa_kernel
	.section	.text._ZN7rocprim17ROCPRIM_400000_NS6detail17trampoline_kernelINS0_14default_configENS1_20scan_config_selectorIxEEZZNS1_9scan_implILNS1_25lookback_scan_determinismE0ELb0ELb0ES3_N6thrust23THRUST_200600_302600_NS6detail15normal_iteratorINS9_10device_ptrIxEEEESE_xNS9_4plusIxEExEEDaPvRmT3_T4_T5_mT6_P12ihipStream_tbENKUlT_T0_E_clISt17integral_constantIbLb0EEST_IbLb1EEEEDaSP_SQ_EUlSP_E_NS1_11comp_targetILNS1_3genE3ELNS1_11target_archE908ELNS1_3gpuE7ELNS1_3repE0EEENS1_30default_config_static_selectorELNS0_4arch9wavefront6targetE1EEEvT1_,"axG",@progbits,_ZN7rocprim17ROCPRIM_400000_NS6detail17trampoline_kernelINS0_14default_configENS1_20scan_config_selectorIxEEZZNS1_9scan_implILNS1_25lookback_scan_determinismE0ELb0ELb0ES3_N6thrust23THRUST_200600_302600_NS6detail15normal_iteratorINS9_10device_ptrIxEEEESE_xNS9_4plusIxEExEEDaPvRmT3_T4_T5_mT6_P12ihipStream_tbENKUlT_T0_E_clISt17integral_constantIbLb0EEST_IbLb1EEEEDaSP_SQ_EUlSP_E_NS1_11comp_targetILNS1_3genE3ELNS1_11target_archE908ELNS1_3gpuE7ELNS1_3repE0EEENS1_30default_config_static_selectorELNS0_4arch9wavefront6targetE1EEEvT1_,comdat
.Lfunc_end255:
	.size	_ZN7rocprim17ROCPRIM_400000_NS6detail17trampoline_kernelINS0_14default_configENS1_20scan_config_selectorIxEEZZNS1_9scan_implILNS1_25lookback_scan_determinismE0ELb0ELb0ES3_N6thrust23THRUST_200600_302600_NS6detail15normal_iteratorINS9_10device_ptrIxEEEESE_xNS9_4plusIxEExEEDaPvRmT3_T4_T5_mT6_P12ihipStream_tbENKUlT_T0_E_clISt17integral_constantIbLb0EEST_IbLb1EEEEDaSP_SQ_EUlSP_E_NS1_11comp_targetILNS1_3genE3ELNS1_11target_archE908ELNS1_3gpuE7ELNS1_3repE0EEENS1_30default_config_static_selectorELNS0_4arch9wavefront6targetE1EEEvT1_, .Lfunc_end255-_ZN7rocprim17ROCPRIM_400000_NS6detail17trampoline_kernelINS0_14default_configENS1_20scan_config_selectorIxEEZZNS1_9scan_implILNS1_25lookback_scan_determinismE0ELb0ELb0ES3_N6thrust23THRUST_200600_302600_NS6detail15normal_iteratorINS9_10device_ptrIxEEEESE_xNS9_4plusIxEExEEDaPvRmT3_T4_T5_mT6_P12ihipStream_tbENKUlT_T0_E_clISt17integral_constantIbLb0EEST_IbLb1EEEEDaSP_SQ_EUlSP_E_NS1_11comp_targetILNS1_3genE3ELNS1_11target_archE908ELNS1_3gpuE7ELNS1_3repE0EEENS1_30default_config_static_selectorELNS0_4arch9wavefront6targetE1EEEvT1_
                                        ; -- End function
	.section	.AMDGPU.csdata,"",@progbits
; Kernel info:
; codeLenInByte = 0
; NumSgprs: 4
; NumVgprs: 0
; NumAgprs: 0
; TotalNumVgprs: 0
; ScratchSize: 0
; MemoryBound: 0
; FloatMode: 240
; IeeeMode: 1
; LDSByteSize: 0 bytes/workgroup (compile time only)
; SGPRBlocks: 0
; VGPRBlocks: 0
; NumSGPRsForWavesPerEU: 4
; NumVGPRsForWavesPerEU: 1
; AccumOffset: 4
; Occupancy: 8
; WaveLimiterHint : 0
; COMPUTE_PGM_RSRC2:SCRATCH_EN: 0
; COMPUTE_PGM_RSRC2:USER_SGPR: 6
; COMPUTE_PGM_RSRC2:TRAP_HANDLER: 0
; COMPUTE_PGM_RSRC2:TGID_X_EN: 1
; COMPUTE_PGM_RSRC2:TGID_Y_EN: 0
; COMPUTE_PGM_RSRC2:TGID_Z_EN: 0
; COMPUTE_PGM_RSRC2:TIDIG_COMP_CNT: 0
; COMPUTE_PGM_RSRC3_GFX90A:ACCUM_OFFSET: 0
; COMPUTE_PGM_RSRC3_GFX90A:TG_SPLIT: 0
	.section	.text._ZN7rocprim17ROCPRIM_400000_NS6detail17trampoline_kernelINS0_14default_configENS1_20scan_config_selectorIxEEZZNS1_9scan_implILNS1_25lookback_scan_determinismE0ELb0ELb0ES3_N6thrust23THRUST_200600_302600_NS6detail15normal_iteratorINS9_10device_ptrIxEEEESE_xNS9_4plusIxEExEEDaPvRmT3_T4_T5_mT6_P12ihipStream_tbENKUlT_T0_E_clISt17integral_constantIbLb0EEST_IbLb1EEEEDaSP_SQ_EUlSP_E_NS1_11comp_targetILNS1_3genE2ELNS1_11target_archE906ELNS1_3gpuE6ELNS1_3repE0EEENS1_30default_config_static_selectorELNS0_4arch9wavefront6targetE1EEEvT1_,"axG",@progbits,_ZN7rocprim17ROCPRIM_400000_NS6detail17trampoline_kernelINS0_14default_configENS1_20scan_config_selectorIxEEZZNS1_9scan_implILNS1_25lookback_scan_determinismE0ELb0ELb0ES3_N6thrust23THRUST_200600_302600_NS6detail15normal_iteratorINS9_10device_ptrIxEEEESE_xNS9_4plusIxEExEEDaPvRmT3_T4_T5_mT6_P12ihipStream_tbENKUlT_T0_E_clISt17integral_constantIbLb0EEST_IbLb1EEEEDaSP_SQ_EUlSP_E_NS1_11comp_targetILNS1_3genE2ELNS1_11target_archE906ELNS1_3gpuE6ELNS1_3repE0EEENS1_30default_config_static_selectorELNS0_4arch9wavefront6targetE1EEEvT1_,comdat
	.protected	_ZN7rocprim17ROCPRIM_400000_NS6detail17trampoline_kernelINS0_14default_configENS1_20scan_config_selectorIxEEZZNS1_9scan_implILNS1_25lookback_scan_determinismE0ELb0ELb0ES3_N6thrust23THRUST_200600_302600_NS6detail15normal_iteratorINS9_10device_ptrIxEEEESE_xNS9_4plusIxEExEEDaPvRmT3_T4_T5_mT6_P12ihipStream_tbENKUlT_T0_E_clISt17integral_constantIbLb0EEST_IbLb1EEEEDaSP_SQ_EUlSP_E_NS1_11comp_targetILNS1_3genE2ELNS1_11target_archE906ELNS1_3gpuE6ELNS1_3repE0EEENS1_30default_config_static_selectorELNS0_4arch9wavefront6targetE1EEEvT1_ ; -- Begin function _ZN7rocprim17ROCPRIM_400000_NS6detail17trampoline_kernelINS0_14default_configENS1_20scan_config_selectorIxEEZZNS1_9scan_implILNS1_25lookback_scan_determinismE0ELb0ELb0ES3_N6thrust23THRUST_200600_302600_NS6detail15normal_iteratorINS9_10device_ptrIxEEEESE_xNS9_4plusIxEExEEDaPvRmT3_T4_T5_mT6_P12ihipStream_tbENKUlT_T0_E_clISt17integral_constantIbLb0EEST_IbLb1EEEEDaSP_SQ_EUlSP_E_NS1_11comp_targetILNS1_3genE2ELNS1_11target_archE906ELNS1_3gpuE6ELNS1_3repE0EEENS1_30default_config_static_selectorELNS0_4arch9wavefront6targetE1EEEvT1_
	.globl	_ZN7rocprim17ROCPRIM_400000_NS6detail17trampoline_kernelINS0_14default_configENS1_20scan_config_selectorIxEEZZNS1_9scan_implILNS1_25lookback_scan_determinismE0ELb0ELb0ES3_N6thrust23THRUST_200600_302600_NS6detail15normal_iteratorINS9_10device_ptrIxEEEESE_xNS9_4plusIxEExEEDaPvRmT3_T4_T5_mT6_P12ihipStream_tbENKUlT_T0_E_clISt17integral_constantIbLb0EEST_IbLb1EEEEDaSP_SQ_EUlSP_E_NS1_11comp_targetILNS1_3genE2ELNS1_11target_archE906ELNS1_3gpuE6ELNS1_3repE0EEENS1_30default_config_static_selectorELNS0_4arch9wavefront6targetE1EEEvT1_
	.p2align	8
	.type	_ZN7rocprim17ROCPRIM_400000_NS6detail17trampoline_kernelINS0_14default_configENS1_20scan_config_selectorIxEEZZNS1_9scan_implILNS1_25lookback_scan_determinismE0ELb0ELb0ES3_N6thrust23THRUST_200600_302600_NS6detail15normal_iteratorINS9_10device_ptrIxEEEESE_xNS9_4plusIxEExEEDaPvRmT3_T4_T5_mT6_P12ihipStream_tbENKUlT_T0_E_clISt17integral_constantIbLb0EEST_IbLb1EEEEDaSP_SQ_EUlSP_E_NS1_11comp_targetILNS1_3genE2ELNS1_11target_archE906ELNS1_3gpuE6ELNS1_3repE0EEENS1_30default_config_static_selectorELNS0_4arch9wavefront6targetE1EEEvT1_,@function
_ZN7rocprim17ROCPRIM_400000_NS6detail17trampoline_kernelINS0_14default_configENS1_20scan_config_selectorIxEEZZNS1_9scan_implILNS1_25lookback_scan_determinismE0ELb0ELb0ES3_N6thrust23THRUST_200600_302600_NS6detail15normal_iteratorINS9_10device_ptrIxEEEESE_xNS9_4plusIxEExEEDaPvRmT3_T4_T5_mT6_P12ihipStream_tbENKUlT_T0_E_clISt17integral_constantIbLb0EEST_IbLb1EEEEDaSP_SQ_EUlSP_E_NS1_11comp_targetILNS1_3genE2ELNS1_11target_archE906ELNS1_3gpuE6ELNS1_3repE0EEENS1_30default_config_static_selectorELNS0_4arch9wavefront6targetE1EEEvT1_: ; @_ZN7rocprim17ROCPRIM_400000_NS6detail17trampoline_kernelINS0_14default_configENS1_20scan_config_selectorIxEEZZNS1_9scan_implILNS1_25lookback_scan_determinismE0ELb0ELb0ES3_N6thrust23THRUST_200600_302600_NS6detail15normal_iteratorINS9_10device_ptrIxEEEESE_xNS9_4plusIxEExEEDaPvRmT3_T4_T5_mT6_P12ihipStream_tbENKUlT_T0_E_clISt17integral_constantIbLb0EEST_IbLb1EEEEDaSP_SQ_EUlSP_E_NS1_11comp_targetILNS1_3genE2ELNS1_11target_archE906ELNS1_3gpuE6ELNS1_3repE0EEENS1_30default_config_static_selectorELNS0_4arch9wavefront6targetE1EEEvT1_
; %bb.0:
	.section	.rodata,"a",@progbits
	.p2align	6, 0x0
	.amdhsa_kernel _ZN7rocprim17ROCPRIM_400000_NS6detail17trampoline_kernelINS0_14default_configENS1_20scan_config_selectorIxEEZZNS1_9scan_implILNS1_25lookback_scan_determinismE0ELb0ELb0ES3_N6thrust23THRUST_200600_302600_NS6detail15normal_iteratorINS9_10device_ptrIxEEEESE_xNS9_4plusIxEExEEDaPvRmT3_T4_T5_mT6_P12ihipStream_tbENKUlT_T0_E_clISt17integral_constantIbLb0EEST_IbLb1EEEEDaSP_SQ_EUlSP_E_NS1_11comp_targetILNS1_3genE2ELNS1_11target_archE906ELNS1_3gpuE6ELNS1_3repE0EEENS1_30default_config_static_selectorELNS0_4arch9wavefront6targetE1EEEvT1_
		.amdhsa_group_segment_fixed_size 0
		.amdhsa_private_segment_fixed_size 0
		.amdhsa_kernarg_size 104
		.amdhsa_user_sgpr_count 6
		.amdhsa_user_sgpr_private_segment_buffer 1
		.amdhsa_user_sgpr_dispatch_ptr 0
		.amdhsa_user_sgpr_queue_ptr 0
		.amdhsa_user_sgpr_kernarg_segment_ptr 1
		.amdhsa_user_sgpr_dispatch_id 0
		.amdhsa_user_sgpr_flat_scratch_init 0
		.amdhsa_user_sgpr_kernarg_preload_length 0
		.amdhsa_user_sgpr_kernarg_preload_offset 0
		.amdhsa_user_sgpr_private_segment_size 0
		.amdhsa_uses_dynamic_stack 0
		.amdhsa_system_sgpr_private_segment_wavefront_offset 0
		.amdhsa_system_sgpr_workgroup_id_x 1
		.amdhsa_system_sgpr_workgroup_id_y 0
		.amdhsa_system_sgpr_workgroup_id_z 0
		.amdhsa_system_sgpr_workgroup_info 0
		.amdhsa_system_vgpr_workitem_id 0
		.amdhsa_next_free_vgpr 1
		.amdhsa_next_free_sgpr 0
		.amdhsa_accum_offset 4
		.amdhsa_reserve_vcc 0
		.amdhsa_reserve_flat_scratch 0
		.amdhsa_float_round_mode_32 0
		.amdhsa_float_round_mode_16_64 0
		.amdhsa_float_denorm_mode_32 3
		.amdhsa_float_denorm_mode_16_64 3
		.amdhsa_dx10_clamp 1
		.amdhsa_ieee_mode 1
		.amdhsa_fp16_overflow 0
		.amdhsa_tg_split 0
		.amdhsa_exception_fp_ieee_invalid_op 0
		.amdhsa_exception_fp_denorm_src 0
		.amdhsa_exception_fp_ieee_div_zero 0
		.amdhsa_exception_fp_ieee_overflow 0
		.amdhsa_exception_fp_ieee_underflow 0
		.amdhsa_exception_fp_ieee_inexact 0
		.amdhsa_exception_int_div_zero 0
	.end_amdhsa_kernel
	.section	.text._ZN7rocprim17ROCPRIM_400000_NS6detail17trampoline_kernelINS0_14default_configENS1_20scan_config_selectorIxEEZZNS1_9scan_implILNS1_25lookback_scan_determinismE0ELb0ELb0ES3_N6thrust23THRUST_200600_302600_NS6detail15normal_iteratorINS9_10device_ptrIxEEEESE_xNS9_4plusIxEExEEDaPvRmT3_T4_T5_mT6_P12ihipStream_tbENKUlT_T0_E_clISt17integral_constantIbLb0EEST_IbLb1EEEEDaSP_SQ_EUlSP_E_NS1_11comp_targetILNS1_3genE2ELNS1_11target_archE906ELNS1_3gpuE6ELNS1_3repE0EEENS1_30default_config_static_selectorELNS0_4arch9wavefront6targetE1EEEvT1_,"axG",@progbits,_ZN7rocprim17ROCPRIM_400000_NS6detail17trampoline_kernelINS0_14default_configENS1_20scan_config_selectorIxEEZZNS1_9scan_implILNS1_25lookback_scan_determinismE0ELb0ELb0ES3_N6thrust23THRUST_200600_302600_NS6detail15normal_iteratorINS9_10device_ptrIxEEEESE_xNS9_4plusIxEExEEDaPvRmT3_T4_T5_mT6_P12ihipStream_tbENKUlT_T0_E_clISt17integral_constantIbLb0EEST_IbLb1EEEEDaSP_SQ_EUlSP_E_NS1_11comp_targetILNS1_3genE2ELNS1_11target_archE906ELNS1_3gpuE6ELNS1_3repE0EEENS1_30default_config_static_selectorELNS0_4arch9wavefront6targetE1EEEvT1_,comdat
.Lfunc_end256:
	.size	_ZN7rocprim17ROCPRIM_400000_NS6detail17trampoline_kernelINS0_14default_configENS1_20scan_config_selectorIxEEZZNS1_9scan_implILNS1_25lookback_scan_determinismE0ELb0ELb0ES3_N6thrust23THRUST_200600_302600_NS6detail15normal_iteratorINS9_10device_ptrIxEEEESE_xNS9_4plusIxEExEEDaPvRmT3_T4_T5_mT6_P12ihipStream_tbENKUlT_T0_E_clISt17integral_constantIbLb0EEST_IbLb1EEEEDaSP_SQ_EUlSP_E_NS1_11comp_targetILNS1_3genE2ELNS1_11target_archE906ELNS1_3gpuE6ELNS1_3repE0EEENS1_30default_config_static_selectorELNS0_4arch9wavefront6targetE1EEEvT1_, .Lfunc_end256-_ZN7rocprim17ROCPRIM_400000_NS6detail17trampoline_kernelINS0_14default_configENS1_20scan_config_selectorIxEEZZNS1_9scan_implILNS1_25lookback_scan_determinismE0ELb0ELb0ES3_N6thrust23THRUST_200600_302600_NS6detail15normal_iteratorINS9_10device_ptrIxEEEESE_xNS9_4plusIxEExEEDaPvRmT3_T4_T5_mT6_P12ihipStream_tbENKUlT_T0_E_clISt17integral_constantIbLb0EEST_IbLb1EEEEDaSP_SQ_EUlSP_E_NS1_11comp_targetILNS1_3genE2ELNS1_11target_archE906ELNS1_3gpuE6ELNS1_3repE0EEENS1_30default_config_static_selectorELNS0_4arch9wavefront6targetE1EEEvT1_
                                        ; -- End function
	.section	.AMDGPU.csdata,"",@progbits
; Kernel info:
; codeLenInByte = 0
; NumSgprs: 4
; NumVgprs: 0
; NumAgprs: 0
; TotalNumVgprs: 0
; ScratchSize: 0
; MemoryBound: 0
; FloatMode: 240
; IeeeMode: 1
; LDSByteSize: 0 bytes/workgroup (compile time only)
; SGPRBlocks: 0
; VGPRBlocks: 0
; NumSGPRsForWavesPerEU: 4
; NumVGPRsForWavesPerEU: 1
; AccumOffset: 4
; Occupancy: 8
; WaveLimiterHint : 0
; COMPUTE_PGM_RSRC2:SCRATCH_EN: 0
; COMPUTE_PGM_RSRC2:USER_SGPR: 6
; COMPUTE_PGM_RSRC2:TRAP_HANDLER: 0
; COMPUTE_PGM_RSRC2:TGID_X_EN: 1
; COMPUTE_PGM_RSRC2:TGID_Y_EN: 0
; COMPUTE_PGM_RSRC2:TGID_Z_EN: 0
; COMPUTE_PGM_RSRC2:TIDIG_COMP_CNT: 0
; COMPUTE_PGM_RSRC3_GFX90A:ACCUM_OFFSET: 0
; COMPUTE_PGM_RSRC3_GFX90A:TG_SPLIT: 0
	.section	.text._ZN7rocprim17ROCPRIM_400000_NS6detail17trampoline_kernelINS0_14default_configENS1_20scan_config_selectorIxEEZZNS1_9scan_implILNS1_25lookback_scan_determinismE0ELb0ELb0ES3_N6thrust23THRUST_200600_302600_NS6detail15normal_iteratorINS9_10device_ptrIxEEEESE_xNS9_4plusIxEExEEDaPvRmT3_T4_T5_mT6_P12ihipStream_tbENKUlT_T0_E_clISt17integral_constantIbLb0EEST_IbLb1EEEEDaSP_SQ_EUlSP_E_NS1_11comp_targetILNS1_3genE10ELNS1_11target_archE1201ELNS1_3gpuE5ELNS1_3repE0EEENS1_30default_config_static_selectorELNS0_4arch9wavefront6targetE1EEEvT1_,"axG",@progbits,_ZN7rocprim17ROCPRIM_400000_NS6detail17trampoline_kernelINS0_14default_configENS1_20scan_config_selectorIxEEZZNS1_9scan_implILNS1_25lookback_scan_determinismE0ELb0ELb0ES3_N6thrust23THRUST_200600_302600_NS6detail15normal_iteratorINS9_10device_ptrIxEEEESE_xNS9_4plusIxEExEEDaPvRmT3_T4_T5_mT6_P12ihipStream_tbENKUlT_T0_E_clISt17integral_constantIbLb0EEST_IbLb1EEEEDaSP_SQ_EUlSP_E_NS1_11comp_targetILNS1_3genE10ELNS1_11target_archE1201ELNS1_3gpuE5ELNS1_3repE0EEENS1_30default_config_static_selectorELNS0_4arch9wavefront6targetE1EEEvT1_,comdat
	.protected	_ZN7rocprim17ROCPRIM_400000_NS6detail17trampoline_kernelINS0_14default_configENS1_20scan_config_selectorIxEEZZNS1_9scan_implILNS1_25lookback_scan_determinismE0ELb0ELb0ES3_N6thrust23THRUST_200600_302600_NS6detail15normal_iteratorINS9_10device_ptrIxEEEESE_xNS9_4plusIxEExEEDaPvRmT3_T4_T5_mT6_P12ihipStream_tbENKUlT_T0_E_clISt17integral_constantIbLb0EEST_IbLb1EEEEDaSP_SQ_EUlSP_E_NS1_11comp_targetILNS1_3genE10ELNS1_11target_archE1201ELNS1_3gpuE5ELNS1_3repE0EEENS1_30default_config_static_selectorELNS0_4arch9wavefront6targetE1EEEvT1_ ; -- Begin function _ZN7rocprim17ROCPRIM_400000_NS6detail17trampoline_kernelINS0_14default_configENS1_20scan_config_selectorIxEEZZNS1_9scan_implILNS1_25lookback_scan_determinismE0ELb0ELb0ES3_N6thrust23THRUST_200600_302600_NS6detail15normal_iteratorINS9_10device_ptrIxEEEESE_xNS9_4plusIxEExEEDaPvRmT3_T4_T5_mT6_P12ihipStream_tbENKUlT_T0_E_clISt17integral_constantIbLb0EEST_IbLb1EEEEDaSP_SQ_EUlSP_E_NS1_11comp_targetILNS1_3genE10ELNS1_11target_archE1201ELNS1_3gpuE5ELNS1_3repE0EEENS1_30default_config_static_selectorELNS0_4arch9wavefront6targetE1EEEvT1_
	.globl	_ZN7rocprim17ROCPRIM_400000_NS6detail17trampoline_kernelINS0_14default_configENS1_20scan_config_selectorIxEEZZNS1_9scan_implILNS1_25lookback_scan_determinismE0ELb0ELb0ES3_N6thrust23THRUST_200600_302600_NS6detail15normal_iteratorINS9_10device_ptrIxEEEESE_xNS9_4plusIxEExEEDaPvRmT3_T4_T5_mT6_P12ihipStream_tbENKUlT_T0_E_clISt17integral_constantIbLb0EEST_IbLb1EEEEDaSP_SQ_EUlSP_E_NS1_11comp_targetILNS1_3genE10ELNS1_11target_archE1201ELNS1_3gpuE5ELNS1_3repE0EEENS1_30default_config_static_selectorELNS0_4arch9wavefront6targetE1EEEvT1_
	.p2align	8
	.type	_ZN7rocprim17ROCPRIM_400000_NS6detail17trampoline_kernelINS0_14default_configENS1_20scan_config_selectorIxEEZZNS1_9scan_implILNS1_25lookback_scan_determinismE0ELb0ELb0ES3_N6thrust23THRUST_200600_302600_NS6detail15normal_iteratorINS9_10device_ptrIxEEEESE_xNS9_4plusIxEExEEDaPvRmT3_T4_T5_mT6_P12ihipStream_tbENKUlT_T0_E_clISt17integral_constantIbLb0EEST_IbLb1EEEEDaSP_SQ_EUlSP_E_NS1_11comp_targetILNS1_3genE10ELNS1_11target_archE1201ELNS1_3gpuE5ELNS1_3repE0EEENS1_30default_config_static_selectorELNS0_4arch9wavefront6targetE1EEEvT1_,@function
_ZN7rocprim17ROCPRIM_400000_NS6detail17trampoline_kernelINS0_14default_configENS1_20scan_config_selectorIxEEZZNS1_9scan_implILNS1_25lookback_scan_determinismE0ELb0ELb0ES3_N6thrust23THRUST_200600_302600_NS6detail15normal_iteratorINS9_10device_ptrIxEEEESE_xNS9_4plusIxEExEEDaPvRmT3_T4_T5_mT6_P12ihipStream_tbENKUlT_T0_E_clISt17integral_constantIbLb0EEST_IbLb1EEEEDaSP_SQ_EUlSP_E_NS1_11comp_targetILNS1_3genE10ELNS1_11target_archE1201ELNS1_3gpuE5ELNS1_3repE0EEENS1_30default_config_static_selectorELNS0_4arch9wavefront6targetE1EEEvT1_: ; @_ZN7rocprim17ROCPRIM_400000_NS6detail17trampoline_kernelINS0_14default_configENS1_20scan_config_selectorIxEEZZNS1_9scan_implILNS1_25lookback_scan_determinismE0ELb0ELb0ES3_N6thrust23THRUST_200600_302600_NS6detail15normal_iteratorINS9_10device_ptrIxEEEESE_xNS9_4plusIxEExEEDaPvRmT3_T4_T5_mT6_P12ihipStream_tbENKUlT_T0_E_clISt17integral_constantIbLb0EEST_IbLb1EEEEDaSP_SQ_EUlSP_E_NS1_11comp_targetILNS1_3genE10ELNS1_11target_archE1201ELNS1_3gpuE5ELNS1_3repE0EEENS1_30default_config_static_selectorELNS0_4arch9wavefront6targetE1EEEvT1_
; %bb.0:
	.section	.rodata,"a",@progbits
	.p2align	6, 0x0
	.amdhsa_kernel _ZN7rocprim17ROCPRIM_400000_NS6detail17trampoline_kernelINS0_14default_configENS1_20scan_config_selectorIxEEZZNS1_9scan_implILNS1_25lookback_scan_determinismE0ELb0ELb0ES3_N6thrust23THRUST_200600_302600_NS6detail15normal_iteratorINS9_10device_ptrIxEEEESE_xNS9_4plusIxEExEEDaPvRmT3_T4_T5_mT6_P12ihipStream_tbENKUlT_T0_E_clISt17integral_constantIbLb0EEST_IbLb1EEEEDaSP_SQ_EUlSP_E_NS1_11comp_targetILNS1_3genE10ELNS1_11target_archE1201ELNS1_3gpuE5ELNS1_3repE0EEENS1_30default_config_static_selectorELNS0_4arch9wavefront6targetE1EEEvT1_
		.amdhsa_group_segment_fixed_size 0
		.amdhsa_private_segment_fixed_size 0
		.amdhsa_kernarg_size 104
		.amdhsa_user_sgpr_count 6
		.amdhsa_user_sgpr_private_segment_buffer 1
		.amdhsa_user_sgpr_dispatch_ptr 0
		.amdhsa_user_sgpr_queue_ptr 0
		.amdhsa_user_sgpr_kernarg_segment_ptr 1
		.amdhsa_user_sgpr_dispatch_id 0
		.amdhsa_user_sgpr_flat_scratch_init 0
		.amdhsa_user_sgpr_kernarg_preload_length 0
		.amdhsa_user_sgpr_kernarg_preload_offset 0
		.amdhsa_user_sgpr_private_segment_size 0
		.amdhsa_uses_dynamic_stack 0
		.amdhsa_system_sgpr_private_segment_wavefront_offset 0
		.amdhsa_system_sgpr_workgroup_id_x 1
		.amdhsa_system_sgpr_workgroup_id_y 0
		.amdhsa_system_sgpr_workgroup_id_z 0
		.amdhsa_system_sgpr_workgroup_info 0
		.amdhsa_system_vgpr_workitem_id 0
		.amdhsa_next_free_vgpr 1
		.amdhsa_next_free_sgpr 0
		.amdhsa_accum_offset 4
		.amdhsa_reserve_vcc 0
		.amdhsa_reserve_flat_scratch 0
		.amdhsa_float_round_mode_32 0
		.amdhsa_float_round_mode_16_64 0
		.amdhsa_float_denorm_mode_32 3
		.amdhsa_float_denorm_mode_16_64 3
		.amdhsa_dx10_clamp 1
		.amdhsa_ieee_mode 1
		.amdhsa_fp16_overflow 0
		.amdhsa_tg_split 0
		.amdhsa_exception_fp_ieee_invalid_op 0
		.amdhsa_exception_fp_denorm_src 0
		.amdhsa_exception_fp_ieee_div_zero 0
		.amdhsa_exception_fp_ieee_overflow 0
		.amdhsa_exception_fp_ieee_underflow 0
		.amdhsa_exception_fp_ieee_inexact 0
		.amdhsa_exception_int_div_zero 0
	.end_amdhsa_kernel
	.section	.text._ZN7rocprim17ROCPRIM_400000_NS6detail17trampoline_kernelINS0_14default_configENS1_20scan_config_selectorIxEEZZNS1_9scan_implILNS1_25lookback_scan_determinismE0ELb0ELb0ES3_N6thrust23THRUST_200600_302600_NS6detail15normal_iteratorINS9_10device_ptrIxEEEESE_xNS9_4plusIxEExEEDaPvRmT3_T4_T5_mT6_P12ihipStream_tbENKUlT_T0_E_clISt17integral_constantIbLb0EEST_IbLb1EEEEDaSP_SQ_EUlSP_E_NS1_11comp_targetILNS1_3genE10ELNS1_11target_archE1201ELNS1_3gpuE5ELNS1_3repE0EEENS1_30default_config_static_selectorELNS0_4arch9wavefront6targetE1EEEvT1_,"axG",@progbits,_ZN7rocprim17ROCPRIM_400000_NS6detail17trampoline_kernelINS0_14default_configENS1_20scan_config_selectorIxEEZZNS1_9scan_implILNS1_25lookback_scan_determinismE0ELb0ELb0ES3_N6thrust23THRUST_200600_302600_NS6detail15normal_iteratorINS9_10device_ptrIxEEEESE_xNS9_4plusIxEExEEDaPvRmT3_T4_T5_mT6_P12ihipStream_tbENKUlT_T0_E_clISt17integral_constantIbLb0EEST_IbLb1EEEEDaSP_SQ_EUlSP_E_NS1_11comp_targetILNS1_3genE10ELNS1_11target_archE1201ELNS1_3gpuE5ELNS1_3repE0EEENS1_30default_config_static_selectorELNS0_4arch9wavefront6targetE1EEEvT1_,comdat
.Lfunc_end257:
	.size	_ZN7rocprim17ROCPRIM_400000_NS6detail17trampoline_kernelINS0_14default_configENS1_20scan_config_selectorIxEEZZNS1_9scan_implILNS1_25lookback_scan_determinismE0ELb0ELb0ES3_N6thrust23THRUST_200600_302600_NS6detail15normal_iteratorINS9_10device_ptrIxEEEESE_xNS9_4plusIxEExEEDaPvRmT3_T4_T5_mT6_P12ihipStream_tbENKUlT_T0_E_clISt17integral_constantIbLb0EEST_IbLb1EEEEDaSP_SQ_EUlSP_E_NS1_11comp_targetILNS1_3genE10ELNS1_11target_archE1201ELNS1_3gpuE5ELNS1_3repE0EEENS1_30default_config_static_selectorELNS0_4arch9wavefront6targetE1EEEvT1_, .Lfunc_end257-_ZN7rocprim17ROCPRIM_400000_NS6detail17trampoline_kernelINS0_14default_configENS1_20scan_config_selectorIxEEZZNS1_9scan_implILNS1_25lookback_scan_determinismE0ELb0ELb0ES3_N6thrust23THRUST_200600_302600_NS6detail15normal_iteratorINS9_10device_ptrIxEEEESE_xNS9_4plusIxEExEEDaPvRmT3_T4_T5_mT6_P12ihipStream_tbENKUlT_T0_E_clISt17integral_constantIbLb0EEST_IbLb1EEEEDaSP_SQ_EUlSP_E_NS1_11comp_targetILNS1_3genE10ELNS1_11target_archE1201ELNS1_3gpuE5ELNS1_3repE0EEENS1_30default_config_static_selectorELNS0_4arch9wavefront6targetE1EEEvT1_
                                        ; -- End function
	.section	.AMDGPU.csdata,"",@progbits
; Kernel info:
; codeLenInByte = 0
; NumSgprs: 4
; NumVgprs: 0
; NumAgprs: 0
; TotalNumVgprs: 0
; ScratchSize: 0
; MemoryBound: 0
; FloatMode: 240
; IeeeMode: 1
; LDSByteSize: 0 bytes/workgroup (compile time only)
; SGPRBlocks: 0
; VGPRBlocks: 0
; NumSGPRsForWavesPerEU: 4
; NumVGPRsForWavesPerEU: 1
; AccumOffset: 4
; Occupancy: 8
; WaveLimiterHint : 0
; COMPUTE_PGM_RSRC2:SCRATCH_EN: 0
; COMPUTE_PGM_RSRC2:USER_SGPR: 6
; COMPUTE_PGM_RSRC2:TRAP_HANDLER: 0
; COMPUTE_PGM_RSRC2:TGID_X_EN: 1
; COMPUTE_PGM_RSRC2:TGID_Y_EN: 0
; COMPUTE_PGM_RSRC2:TGID_Z_EN: 0
; COMPUTE_PGM_RSRC2:TIDIG_COMP_CNT: 0
; COMPUTE_PGM_RSRC3_GFX90A:ACCUM_OFFSET: 0
; COMPUTE_PGM_RSRC3_GFX90A:TG_SPLIT: 0
	.section	.text._ZN7rocprim17ROCPRIM_400000_NS6detail17trampoline_kernelINS0_14default_configENS1_20scan_config_selectorIxEEZZNS1_9scan_implILNS1_25lookback_scan_determinismE0ELb0ELb0ES3_N6thrust23THRUST_200600_302600_NS6detail15normal_iteratorINS9_10device_ptrIxEEEESE_xNS9_4plusIxEExEEDaPvRmT3_T4_T5_mT6_P12ihipStream_tbENKUlT_T0_E_clISt17integral_constantIbLb0EEST_IbLb1EEEEDaSP_SQ_EUlSP_E_NS1_11comp_targetILNS1_3genE10ELNS1_11target_archE1200ELNS1_3gpuE4ELNS1_3repE0EEENS1_30default_config_static_selectorELNS0_4arch9wavefront6targetE1EEEvT1_,"axG",@progbits,_ZN7rocprim17ROCPRIM_400000_NS6detail17trampoline_kernelINS0_14default_configENS1_20scan_config_selectorIxEEZZNS1_9scan_implILNS1_25lookback_scan_determinismE0ELb0ELb0ES3_N6thrust23THRUST_200600_302600_NS6detail15normal_iteratorINS9_10device_ptrIxEEEESE_xNS9_4plusIxEExEEDaPvRmT3_T4_T5_mT6_P12ihipStream_tbENKUlT_T0_E_clISt17integral_constantIbLb0EEST_IbLb1EEEEDaSP_SQ_EUlSP_E_NS1_11comp_targetILNS1_3genE10ELNS1_11target_archE1200ELNS1_3gpuE4ELNS1_3repE0EEENS1_30default_config_static_selectorELNS0_4arch9wavefront6targetE1EEEvT1_,comdat
	.protected	_ZN7rocprim17ROCPRIM_400000_NS6detail17trampoline_kernelINS0_14default_configENS1_20scan_config_selectorIxEEZZNS1_9scan_implILNS1_25lookback_scan_determinismE0ELb0ELb0ES3_N6thrust23THRUST_200600_302600_NS6detail15normal_iteratorINS9_10device_ptrIxEEEESE_xNS9_4plusIxEExEEDaPvRmT3_T4_T5_mT6_P12ihipStream_tbENKUlT_T0_E_clISt17integral_constantIbLb0EEST_IbLb1EEEEDaSP_SQ_EUlSP_E_NS1_11comp_targetILNS1_3genE10ELNS1_11target_archE1200ELNS1_3gpuE4ELNS1_3repE0EEENS1_30default_config_static_selectorELNS0_4arch9wavefront6targetE1EEEvT1_ ; -- Begin function _ZN7rocprim17ROCPRIM_400000_NS6detail17trampoline_kernelINS0_14default_configENS1_20scan_config_selectorIxEEZZNS1_9scan_implILNS1_25lookback_scan_determinismE0ELb0ELb0ES3_N6thrust23THRUST_200600_302600_NS6detail15normal_iteratorINS9_10device_ptrIxEEEESE_xNS9_4plusIxEExEEDaPvRmT3_T4_T5_mT6_P12ihipStream_tbENKUlT_T0_E_clISt17integral_constantIbLb0EEST_IbLb1EEEEDaSP_SQ_EUlSP_E_NS1_11comp_targetILNS1_3genE10ELNS1_11target_archE1200ELNS1_3gpuE4ELNS1_3repE0EEENS1_30default_config_static_selectorELNS0_4arch9wavefront6targetE1EEEvT1_
	.globl	_ZN7rocprim17ROCPRIM_400000_NS6detail17trampoline_kernelINS0_14default_configENS1_20scan_config_selectorIxEEZZNS1_9scan_implILNS1_25lookback_scan_determinismE0ELb0ELb0ES3_N6thrust23THRUST_200600_302600_NS6detail15normal_iteratorINS9_10device_ptrIxEEEESE_xNS9_4plusIxEExEEDaPvRmT3_T4_T5_mT6_P12ihipStream_tbENKUlT_T0_E_clISt17integral_constantIbLb0EEST_IbLb1EEEEDaSP_SQ_EUlSP_E_NS1_11comp_targetILNS1_3genE10ELNS1_11target_archE1200ELNS1_3gpuE4ELNS1_3repE0EEENS1_30default_config_static_selectorELNS0_4arch9wavefront6targetE1EEEvT1_
	.p2align	8
	.type	_ZN7rocprim17ROCPRIM_400000_NS6detail17trampoline_kernelINS0_14default_configENS1_20scan_config_selectorIxEEZZNS1_9scan_implILNS1_25lookback_scan_determinismE0ELb0ELb0ES3_N6thrust23THRUST_200600_302600_NS6detail15normal_iteratorINS9_10device_ptrIxEEEESE_xNS9_4plusIxEExEEDaPvRmT3_T4_T5_mT6_P12ihipStream_tbENKUlT_T0_E_clISt17integral_constantIbLb0EEST_IbLb1EEEEDaSP_SQ_EUlSP_E_NS1_11comp_targetILNS1_3genE10ELNS1_11target_archE1200ELNS1_3gpuE4ELNS1_3repE0EEENS1_30default_config_static_selectorELNS0_4arch9wavefront6targetE1EEEvT1_,@function
_ZN7rocprim17ROCPRIM_400000_NS6detail17trampoline_kernelINS0_14default_configENS1_20scan_config_selectorIxEEZZNS1_9scan_implILNS1_25lookback_scan_determinismE0ELb0ELb0ES3_N6thrust23THRUST_200600_302600_NS6detail15normal_iteratorINS9_10device_ptrIxEEEESE_xNS9_4plusIxEExEEDaPvRmT3_T4_T5_mT6_P12ihipStream_tbENKUlT_T0_E_clISt17integral_constantIbLb0EEST_IbLb1EEEEDaSP_SQ_EUlSP_E_NS1_11comp_targetILNS1_3genE10ELNS1_11target_archE1200ELNS1_3gpuE4ELNS1_3repE0EEENS1_30default_config_static_selectorELNS0_4arch9wavefront6targetE1EEEvT1_: ; @_ZN7rocprim17ROCPRIM_400000_NS6detail17trampoline_kernelINS0_14default_configENS1_20scan_config_selectorIxEEZZNS1_9scan_implILNS1_25lookback_scan_determinismE0ELb0ELb0ES3_N6thrust23THRUST_200600_302600_NS6detail15normal_iteratorINS9_10device_ptrIxEEEESE_xNS9_4plusIxEExEEDaPvRmT3_T4_T5_mT6_P12ihipStream_tbENKUlT_T0_E_clISt17integral_constantIbLb0EEST_IbLb1EEEEDaSP_SQ_EUlSP_E_NS1_11comp_targetILNS1_3genE10ELNS1_11target_archE1200ELNS1_3gpuE4ELNS1_3repE0EEENS1_30default_config_static_selectorELNS0_4arch9wavefront6targetE1EEEvT1_
; %bb.0:
	.section	.rodata,"a",@progbits
	.p2align	6, 0x0
	.amdhsa_kernel _ZN7rocprim17ROCPRIM_400000_NS6detail17trampoline_kernelINS0_14default_configENS1_20scan_config_selectorIxEEZZNS1_9scan_implILNS1_25lookback_scan_determinismE0ELb0ELb0ES3_N6thrust23THRUST_200600_302600_NS6detail15normal_iteratorINS9_10device_ptrIxEEEESE_xNS9_4plusIxEExEEDaPvRmT3_T4_T5_mT6_P12ihipStream_tbENKUlT_T0_E_clISt17integral_constantIbLb0EEST_IbLb1EEEEDaSP_SQ_EUlSP_E_NS1_11comp_targetILNS1_3genE10ELNS1_11target_archE1200ELNS1_3gpuE4ELNS1_3repE0EEENS1_30default_config_static_selectorELNS0_4arch9wavefront6targetE1EEEvT1_
		.amdhsa_group_segment_fixed_size 0
		.amdhsa_private_segment_fixed_size 0
		.amdhsa_kernarg_size 104
		.amdhsa_user_sgpr_count 6
		.amdhsa_user_sgpr_private_segment_buffer 1
		.amdhsa_user_sgpr_dispatch_ptr 0
		.amdhsa_user_sgpr_queue_ptr 0
		.amdhsa_user_sgpr_kernarg_segment_ptr 1
		.amdhsa_user_sgpr_dispatch_id 0
		.amdhsa_user_sgpr_flat_scratch_init 0
		.amdhsa_user_sgpr_kernarg_preload_length 0
		.amdhsa_user_sgpr_kernarg_preload_offset 0
		.amdhsa_user_sgpr_private_segment_size 0
		.amdhsa_uses_dynamic_stack 0
		.amdhsa_system_sgpr_private_segment_wavefront_offset 0
		.amdhsa_system_sgpr_workgroup_id_x 1
		.amdhsa_system_sgpr_workgroup_id_y 0
		.amdhsa_system_sgpr_workgroup_id_z 0
		.amdhsa_system_sgpr_workgroup_info 0
		.amdhsa_system_vgpr_workitem_id 0
		.amdhsa_next_free_vgpr 1
		.amdhsa_next_free_sgpr 0
		.amdhsa_accum_offset 4
		.amdhsa_reserve_vcc 0
		.amdhsa_reserve_flat_scratch 0
		.amdhsa_float_round_mode_32 0
		.amdhsa_float_round_mode_16_64 0
		.amdhsa_float_denorm_mode_32 3
		.amdhsa_float_denorm_mode_16_64 3
		.amdhsa_dx10_clamp 1
		.amdhsa_ieee_mode 1
		.amdhsa_fp16_overflow 0
		.amdhsa_tg_split 0
		.amdhsa_exception_fp_ieee_invalid_op 0
		.amdhsa_exception_fp_denorm_src 0
		.amdhsa_exception_fp_ieee_div_zero 0
		.amdhsa_exception_fp_ieee_overflow 0
		.amdhsa_exception_fp_ieee_underflow 0
		.amdhsa_exception_fp_ieee_inexact 0
		.amdhsa_exception_int_div_zero 0
	.end_amdhsa_kernel
	.section	.text._ZN7rocprim17ROCPRIM_400000_NS6detail17trampoline_kernelINS0_14default_configENS1_20scan_config_selectorIxEEZZNS1_9scan_implILNS1_25lookback_scan_determinismE0ELb0ELb0ES3_N6thrust23THRUST_200600_302600_NS6detail15normal_iteratorINS9_10device_ptrIxEEEESE_xNS9_4plusIxEExEEDaPvRmT3_T4_T5_mT6_P12ihipStream_tbENKUlT_T0_E_clISt17integral_constantIbLb0EEST_IbLb1EEEEDaSP_SQ_EUlSP_E_NS1_11comp_targetILNS1_3genE10ELNS1_11target_archE1200ELNS1_3gpuE4ELNS1_3repE0EEENS1_30default_config_static_selectorELNS0_4arch9wavefront6targetE1EEEvT1_,"axG",@progbits,_ZN7rocprim17ROCPRIM_400000_NS6detail17trampoline_kernelINS0_14default_configENS1_20scan_config_selectorIxEEZZNS1_9scan_implILNS1_25lookback_scan_determinismE0ELb0ELb0ES3_N6thrust23THRUST_200600_302600_NS6detail15normal_iteratorINS9_10device_ptrIxEEEESE_xNS9_4plusIxEExEEDaPvRmT3_T4_T5_mT6_P12ihipStream_tbENKUlT_T0_E_clISt17integral_constantIbLb0EEST_IbLb1EEEEDaSP_SQ_EUlSP_E_NS1_11comp_targetILNS1_3genE10ELNS1_11target_archE1200ELNS1_3gpuE4ELNS1_3repE0EEENS1_30default_config_static_selectorELNS0_4arch9wavefront6targetE1EEEvT1_,comdat
.Lfunc_end258:
	.size	_ZN7rocprim17ROCPRIM_400000_NS6detail17trampoline_kernelINS0_14default_configENS1_20scan_config_selectorIxEEZZNS1_9scan_implILNS1_25lookback_scan_determinismE0ELb0ELb0ES3_N6thrust23THRUST_200600_302600_NS6detail15normal_iteratorINS9_10device_ptrIxEEEESE_xNS9_4plusIxEExEEDaPvRmT3_T4_T5_mT6_P12ihipStream_tbENKUlT_T0_E_clISt17integral_constantIbLb0EEST_IbLb1EEEEDaSP_SQ_EUlSP_E_NS1_11comp_targetILNS1_3genE10ELNS1_11target_archE1200ELNS1_3gpuE4ELNS1_3repE0EEENS1_30default_config_static_selectorELNS0_4arch9wavefront6targetE1EEEvT1_, .Lfunc_end258-_ZN7rocprim17ROCPRIM_400000_NS6detail17trampoline_kernelINS0_14default_configENS1_20scan_config_selectorIxEEZZNS1_9scan_implILNS1_25lookback_scan_determinismE0ELb0ELb0ES3_N6thrust23THRUST_200600_302600_NS6detail15normal_iteratorINS9_10device_ptrIxEEEESE_xNS9_4plusIxEExEEDaPvRmT3_T4_T5_mT6_P12ihipStream_tbENKUlT_T0_E_clISt17integral_constantIbLb0EEST_IbLb1EEEEDaSP_SQ_EUlSP_E_NS1_11comp_targetILNS1_3genE10ELNS1_11target_archE1200ELNS1_3gpuE4ELNS1_3repE0EEENS1_30default_config_static_selectorELNS0_4arch9wavefront6targetE1EEEvT1_
                                        ; -- End function
	.section	.AMDGPU.csdata,"",@progbits
; Kernel info:
; codeLenInByte = 0
; NumSgprs: 4
; NumVgprs: 0
; NumAgprs: 0
; TotalNumVgprs: 0
; ScratchSize: 0
; MemoryBound: 0
; FloatMode: 240
; IeeeMode: 1
; LDSByteSize: 0 bytes/workgroup (compile time only)
; SGPRBlocks: 0
; VGPRBlocks: 0
; NumSGPRsForWavesPerEU: 4
; NumVGPRsForWavesPerEU: 1
; AccumOffset: 4
; Occupancy: 8
; WaveLimiterHint : 0
; COMPUTE_PGM_RSRC2:SCRATCH_EN: 0
; COMPUTE_PGM_RSRC2:USER_SGPR: 6
; COMPUTE_PGM_RSRC2:TRAP_HANDLER: 0
; COMPUTE_PGM_RSRC2:TGID_X_EN: 1
; COMPUTE_PGM_RSRC2:TGID_Y_EN: 0
; COMPUTE_PGM_RSRC2:TGID_Z_EN: 0
; COMPUTE_PGM_RSRC2:TIDIG_COMP_CNT: 0
; COMPUTE_PGM_RSRC3_GFX90A:ACCUM_OFFSET: 0
; COMPUTE_PGM_RSRC3_GFX90A:TG_SPLIT: 0
	.section	.text._ZN7rocprim17ROCPRIM_400000_NS6detail17trampoline_kernelINS0_14default_configENS1_20scan_config_selectorIxEEZZNS1_9scan_implILNS1_25lookback_scan_determinismE0ELb0ELb0ES3_N6thrust23THRUST_200600_302600_NS6detail15normal_iteratorINS9_10device_ptrIxEEEESE_xNS9_4plusIxEExEEDaPvRmT3_T4_T5_mT6_P12ihipStream_tbENKUlT_T0_E_clISt17integral_constantIbLb0EEST_IbLb1EEEEDaSP_SQ_EUlSP_E_NS1_11comp_targetILNS1_3genE9ELNS1_11target_archE1100ELNS1_3gpuE3ELNS1_3repE0EEENS1_30default_config_static_selectorELNS0_4arch9wavefront6targetE1EEEvT1_,"axG",@progbits,_ZN7rocprim17ROCPRIM_400000_NS6detail17trampoline_kernelINS0_14default_configENS1_20scan_config_selectorIxEEZZNS1_9scan_implILNS1_25lookback_scan_determinismE0ELb0ELb0ES3_N6thrust23THRUST_200600_302600_NS6detail15normal_iteratorINS9_10device_ptrIxEEEESE_xNS9_4plusIxEExEEDaPvRmT3_T4_T5_mT6_P12ihipStream_tbENKUlT_T0_E_clISt17integral_constantIbLb0EEST_IbLb1EEEEDaSP_SQ_EUlSP_E_NS1_11comp_targetILNS1_3genE9ELNS1_11target_archE1100ELNS1_3gpuE3ELNS1_3repE0EEENS1_30default_config_static_selectorELNS0_4arch9wavefront6targetE1EEEvT1_,comdat
	.protected	_ZN7rocprim17ROCPRIM_400000_NS6detail17trampoline_kernelINS0_14default_configENS1_20scan_config_selectorIxEEZZNS1_9scan_implILNS1_25lookback_scan_determinismE0ELb0ELb0ES3_N6thrust23THRUST_200600_302600_NS6detail15normal_iteratorINS9_10device_ptrIxEEEESE_xNS9_4plusIxEExEEDaPvRmT3_T4_T5_mT6_P12ihipStream_tbENKUlT_T0_E_clISt17integral_constantIbLb0EEST_IbLb1EEEEDaSP_SQ_EUlSP_E_NS1_11comp_targetILNS1_3genE9ELNS1_11target_archE1100ELNS1_3gpuE3ELNS1_3repE0EEENS1_30default_config_static_selectorELNS0_4arch9wavefront6targetE1EEEvT1_ ; -- Begin function _ZN7rocprim17ROCPRIM_400000_NS6detail17trampoline_kernelINS0_14default_configENS1_20scan_config_selectorIxEEZZNS1_9scan_implILNS1_25lookback_scan_determinismE0ELb0ELb0ES3_N6thrust23THRUST_200600_302600_NS6detail15normal_iteratorINS9_10device_ptrIxEEEESE_xNS9_4plusIxEExEEDaPvRmT3_T4_T5_mT6_P12ihipStream_tbENKUlT_T0_E_clISt17integral_constantIbLb0EEST_IbLb1EEEEDaSP_SQ_EUlSP_E_NS1_11comp_targetILNS1_3genE9ELNS1_11target_archE1100ELNS1_3gpuE3ELNS1_3repE0EEENS1_30default_config_static_selectorELNS0_4arch9wavefront6targetE1EEEvT1_
	.globl	_ZN7rocprim17ROCPRIM_400000_NS6detail17trampoline_kernelINS0_14default_configENS1_20scan_config_selectorIxEEZZNS1_9scan_implILNS1_25lookback_scan_determinismE0ELb0ELb0ES3_N6thrust23THRUST_200600_302600_NS6detail15normal_iteratorINS9_10device_ptrIxEEEESE_xNS9_4plusIxEExEEDaPvRmT3_T4_T5_mT6_P12ihipStream_tbENKUlT_T0_E_clISt17integral_constantIbLb0EEST_IbLb1EEEEDaSP_SQ_EUlSP_E_NS1_11comp_targetILNS1_3genE9ELNS1_11target_archE1100ELNS1_3gpuE3ELNS1_3repE0EEENS1_30default_config_static_selectorELNS0_4arch9wavefront6targetE1EEEvT1_
	.p2align	8
	.type	_ZN7rocprim17ROCPRIM_400000_NS6detail17trampoline_kernelINS0_14default_configENS1_20scan_config_selectorIxEEZZNS1_9scan_implILNS1_25lookback_scan_determinismE0ELb0ELb0ES3_N6thrust23THRUST_200600_302600_NS6detail15normal_iteratorINS9_10device_ptrIxEEEESE_xNS9_4plusIxEExEEDaPvRmT3_T4_T5_mT6_P12ihipStream_tbENKUlT_T0_E_clISt17integral_constantIbLb0EEST_IbLb1EEEEDaSP_SQ_EUlSP_E_NS1_11comp_targetILNS1_3genE9ELNS1_11target_archE1100ELNS1_3gpuE3ELNS1_3repE0EEENS1_30default_config_static_selectorELNS0_4arch9wavefront6targetE1EEEvT1_,@function
_ZN7rocprim17ROCPRIM_400000_NS6detail17trampoline_kernelINS0_14default_configENS1_20scan_config_selectorIxEEZZNS1_9scan_implILNS1_25lookback_scan_determinismE0ELb0ELb0ES3_N6thrust23THRUST_200600_302600_NS6detail15normal_iteratorINS9_10device_ptrIxEEEESE_xNS9_4plusIxEExEEDaPvRmT3_T4_T5_mT6_P12ihipStream_tbENKUlT_T0_E_clISt17integral_constantIbLb0EEST_IbLb1EEEEDaSP_SQ_EUlSP_E_NS1_11comp_targetILNS1_3genE9ELNS1_11target_archE1100ELNS1_3gpuE3ELNS1_3repE0EEENS1_30default_config_static_selectorELNS0_4arch9wavefront6targetE1EEEvT1_: ; @_ZN7rocprim17ROCPRIM_400000_NS6detail17trampoline_kernelINS0_14default_configENS1_20scan_config_selectorIxEEZZNS1_9scan_implILNS1_25lookback_scan_determinismE0ELb0ELb0ES3_N6thrust23THRUST_200600_302600_NS6detail15normal_iteratorINS9_10device_ptrIxEEEESE_xNS9_4plusIxEExEEDaPvRmT3_T4_T5_mT6_P12ihipStream_tbENKUlT_T0_E_clISt17integral_constantIbLb0EEST_IbLb1EEEEDaSP_SQ_EUlSP_E_NS1_11comp_targetILNS1_3genE9ELNS1_11target_archE1100ELNS1_3gpuE3ELNS1_3repE0EEENS1_30default_config_static_selectorELNS0_4arch9wavefront6targetE1EEEvT1_
; %bb.0:
	.section	.rodata,"a",@progbits
	.p2align	6, 0x0
	.amdhsa_kernel _ZN7rocprim17ROCPRIM_400000_NS6detail17trampoline_kernelINS0_14default_configENS1_20scan_config_selectorIxEEZZNS1_9scan_implILNS1_25lookback_scan_determinismE0ELb0ELb0ES3_N6thrust23THRUST_200600_302600_NS6detail15normal_iteratorINS9_10device_ptrIxEEEESE_xNS9_4plusIxEExEEDaPvRmT3_T4_T5_mT6_P12ihipStream_tbENKUlT_T0_E_clISt17integral_constantIbLb0EEST_IbLb1EEEEDaSP_SQ_EUlSP_E_NS1_11comp_targetILNS1_3genE9ELNS1_11target_archE1100ELNS1_3gpuE3ELNS1_3repE0EEENS1_30default_config_static_selectorELNS0_4arch9wavefront6targetE1EEEvT1_
		.amdhsa_group_segment_fixed_size 0
		.amdhsa_private_segment_fixed_size 0
		.amdhsa_kernarg_size 104
		.amdhsa_user_sgpr_count 6
		.amdhsa_user_sgpr_private_segment_buffer 1
		.amdhsa_user_sgpr_dispatch_ptr 0
		.amdhsa_user_sgpr_queue_ptr 0
		.amdhsa_user_sgpr_kernarg_segment_ptr 1
		.amdhsa_user_sgpr_dispatch_id 0
		.amdhsa_user_sgpr_flat_scratch_init 0
		.amdhsa_user_sgpr_kernarg_preload_length 0
		.amdhsa_user_sgpr_kernarg_preload_offset 0
		.amdhsa_user_sgpr_private_segment_size 0
		.amdhsa_uses_dynamic_stack 0
		.amdhsa_system_sgpr_private_segment_wavefront_offset 0
		.amdhsa_system_sgpr_workgroup_id_x 1
		.amdhsa_system_sgpr_workgroup_id_y 0
		.amdhsa_system_sgpr_workgroup_id_z 0
		.amdhsa_system_sgpr_workgroup_info 0
		.amdhsa_system_vgpr_workitem_id 0
		.amdhsa_next_free_vgpr 1
		.amdhsa_next_free_sgpr 0
		.amdhsa_accum_offset 4
		.amdhsa_reserve_vcc 0
		.amdhsa_reserve_flat_scratch 0
		.amdhsa_float_round_mode_32 0
		.amdhsa_float_round_mode_16_64 0
		.amdhsa_float_denorm_mode_32 3
		.amdhsa_float_denorm_mode_16_64 3
		.amdhsa_dx10_clamp 1
		.amdhsa_ieee_mode 1
		.amdhsa_fp16_overflow 0
		.amdhsa_tg_split 0
		.amdhsa_exception_fp_ieee_invalid_op 0
		.amdhsa_exception_fp_denorm_src 0
		.amdhsa_exception_fp_ieee_div_zero 0
		.amdhsa_exception_fp_ieee_overflow 0
		.amdhsa_exception_fp_ieee_underflow 0
		.amdhsa_exception_fp_ieee_inexact 0
		.amdhsa_exception_int_div_zero 0
	.end_amdhsa_kernel
	.section	.text._ZN7rocprim17ROCPRIM_400000_NS6detail17trampoline_kernelINS0_14default_configENS1_20scan_config_selectorIxEEZZNS1_9scan_implILNS1_25lookback_scan_determinismE0ELb0ELb0ES3_N6thrust23THRUST_200600_302600_NS6detail15normal_iteratorINS9_10device_ptrIxEEEESE_xNS9_4plusIxEExEEDaPvRmT3_T4_T5_mT6_P12ihipStream_tbENKUlT_T0_E_clISt17integral_constantIbLb0EEST_IbLb1EEEEDaSP_SQ_EUlSP_E_NS1_11comp_targetILNS1_3genE9ELNS1_11target_archE1100ELNS1_3gpuE3ELNS1_3repE0EEENS1_30default_config_static_selectorELNS0_4arch9wavefront6targetE1EEEvT1_,"axG",@progbits,_ZN7rocprim17ROCPRIM_400000_NS6detail17trampoline_kernelINS0_14default_configENS1_20scan_config_selectorIxEEZZNS1_9scan_implILNS1_25lookback_scan_determinismE0ELb0ELb0ES3_N6thrust23THRUST_200600_302600_NS6detail15normal_iteratorINS9_10device_ptrIxEEEESE_xNS9_4plusIxEExEEDaPvRmT3_T4_T5_mT6_P12ihipStream_tbENKUlT_T0_E_clISt17integral_constantIbLb0EEST_IbLb1EEEEDaSP_SQ_EUlSP_E_NS1_11comp_targetILNS1_3genE9ELNS1_11target_archE1100ELNS1_3gpuE3ELNS1_3repE0EEENS1_30default_config_static_selectorELNS0_4arch9wavefront6targetE1EEEvT1_,comdat
.Lfunc_end259:
	.size	_ZN7rocprim17ROCPRIM_400000_NS6detail17trampoline_kernelINS0_14default_configENS1_20scan_config_selectorIxEEZZNS1_9scan_implILNS1_25lookback_scan_determinismE0ELb0ELb0ES3_N6thrust23THRUST_200600_302600_NS6detail15normal_iteratorINS9_10device_ptrIxEEEESE_xNS9_4plusIxEExEEDaPvRmT3_T4_T5_mT6_P12ihipStream_tbENKUlT_T0_E_clISt17integral_constantIbLb0EEST_IbLb1EEEEDaSP_SQ_EUlSP_E_NS1_11comp_targetILNS1_3genE9ELNS1_11target_archE1100ELNS1_3gpuE3ELNS1_3repE0EEENS1_30default_config_static_selectorELNS0_4arch9wavefront6targetE1EEEvT1_, .Lfunc_end259-_ZN7rocprim17ROCPRIM_400000_NS6detail17trampoline_kernelINS0_14default_configENS1_20scan_config_selectorIxEEZZNS1_9scan_implILNS1_25lookback_scan_determinismE0ELb0ELb0ES3_N6thrust23THRUST_200600_302600_NS6detail15normal_iteratorINS9_10device_ptrIxEEEESE_xNS9_4plusIxEExEEDaPvRmT3_T4_T5_mT6_P12ihipStream_tbENKUlT_T0_E_clISt17integral_constantIbLb0EEST_IbLb1EEEEDaSP_SQ_EUlSP_E_NS1_11comp_targetILNS1_3genE9ELNS1_11target_archE1100ELNS1_3gpuE3ELNS1_3repE0EEENS1_30default_config_static_selectorELNS0_4arch9wavefront6targetE1EEEvT1_
                                        ; -- End function
	.section	.AMDGPU.csdata,"",@progbits
; Kernel info:
; codeLenInByte = 0
; NumSgprs: 4
; NumVgprs: 0
; NumAgprs: 0
; TotalNumVgprs: 0
; ScratchSize: 0
; MemoryBound: 0
; FloatMode: 240
; IeeeMode: 1
; LDSByteSize: 0 bytes/workgroup (compile time only)
; SGPRBlocks: 0
; VGPRBlocks: 0
; NumSGPRsForWavesPerEU: 4
; NumVGPRsForWavesPerEU: 1
; AccumOffset: 4
; Occupancy: 8
; WaveLimiterHint : 0
; COMPUTE_PGM_RSRC2:SCRATCH_EN: 0
; COMPUTE_PGM_RSRC2:USER_SGPR: 6
; COMPUTE_PGM_RSRC2:TRAP_HANDLER: 0
; COMPUTE_PGM_RSRC2:TGID_X_EN: 1
; COMPUTE_PGM_RSRC2:TGID_Y_EN: 0
; COMPUTE_PGM_RSRC2:TGID_Z_EN: 0
; COMPUTE_PGM_RSRC2:TIDIG_COMP_CNT: 0
; COMPUTE_PGM_RSRC3_GFX90A:ACCUM_OFFSET: 0
; COMPUTE_PGM_RSRC3_GFX90A:TG_SPLIT: 0
	.section	.text._ZN7rocprim17ROCPRIM_400000_NS6detail17trampoline_kernelINS0_14default_configENS1_20scan_config_selectorIxEEZZNS1_9scan_implILNS1_25lookback_scan_determinismE0ELb0ELb0ES3_N6thrust23THRUST_200600_302600_NS6detail15normal_iteratorINS9_10device_ptrIxEEEESE_xNS9_4plusIxEExEEDaPvRmT3_T4_T5_mT6_P12ihipStream_tbENKUlT_T0_E_clISt17integral_constantIbLb0EEST_IbLb1EEEEDaSP_SQ_EUlSP_E_NS1_11comp_targetILNS1_3genE8ELNS1_11target_archE1030ELNS1_3gpuE2ELNS1_3repE0EEENS1_30default_config_static_selectorELNS0_4arch9wavefront6targetE1EEEvT1_,"axG",@progbits,_ZN7rocprim17ROCPRIM_400000_NS6detail17trampoline_kernelINS0_14default_configENS1_20scan_config_selectorIxEEZZNS1_9scan_implILNS1_25lookback_scan_determinismE0ELb0ELb0ES3_N6thrust23THRUST_200600_302600_NS6detail15normal_iteratorINS9_10device_ptrIxEEEESE_xNS9_4plusIxEExEEDaPvRmT3_T4_T5_mT6_P12ihipStream_tbENKUlT_T0_E_clISt17integral_constantIbLb0EEST_IbLb1EEEEDaSP_SQ_EUlSP_E_NS1_11comp_targetILNS1_3genE8ELNS1_11target_archE1030ELNS1_3gpuE2ELNS1_3repE0EEENS1_30default_config_static_selectorELNS0_4arch9wavefront6targetE1EEEvT1_,comdat
	.protected	_ZN7rocprim17ROCPRIM_400000_NS6detail17trampoline_kernelINS0_14default_configENS1_20scan_config_selectorIxEEZZNS1_9scan_implILNS1_25lookback_scan_determinismE0ELb0ELb0ES3_N6thrust23THRUST_200600_302600_NS6detail15normal_iteratorINS9_10device_ptrIxEEEESE_xNS9_4plusIxEExEEDaPvRmT3_T4_T5_mT6_P12ihipStream_tbENKUlT_T0_E_clISt17integral_constantIbLb0EEST_IbLb1EEEEDaSP_SQ_EUlSP_E_NS1_11comp_targetILNS1_3genE8ELNS1_11target_archE1030ELNS1_3gpuE2ELNS1_3repE0EEENS1_30default_config_static_selectorELNS0_4arch9wavefront6targetE1EEEvT1_ ; -- Begin function _ZN7rocprim17ROCPRIM_400000_NS6detail17trampoline_kernelINS0_14default_configENS1_20scan_config_selectorIxEEZZNS1_9scan_implILNS1_25lookback_scan_determinismE0ELb0ELb0ES3_N6thrust23THRUST_200600_302600_NS6detail15normal_iteratorINS9_10device_ptrIxEEEESE_xNS9_4plusIxEExEEDaPvRmT3_T4_T5_mT6_P12ihipStream_tbENKUlT_T0_E_clISt17integral_constantIbLb0EEST_IbLb1EEEEDaSP_SQ_EUlSP_E_NS1_11comp_targetILNS1_3genE8ELNS1_11target_archE1030ELNS1_3gpuE2ELNS1_3repE0EEENS1_30default_config_static_selectorELNS0_4arch9wavefront6targetE1EEEvT1_
	.globl	_ZN7rocprim17ROCPRIM_400000_NS6detail17trampoline_kernelINS0_14default_configENS1_20scan_config_selectorIxEEZZNS1_9scan_implILNS1_25lookback_scan_determinismE0ELb0ELb0ES3_N6thrust23THRUST_200600_302600_NS6detail15normal_iteratorINS9_10device_ptrIxEEEESE_xNS9_4plusIxEExEEDaPvRmT3_T4_T5_mT6_P12ihipStream_tbENKUlT_T0_E_clISt17integral_constantIbLb0EEST_IbLb1EEEEDaSP_SQ_EUlSP_E_NS1_11comp_targetILNS1_3genE8ELNS1_11target_archE1030ELNS1_3gpuE2ELNS1_3repE0EEENS1_30default_config_static_selectorELNS0_4arch9wavefront6targetE1EEEvT1_
	.p2align	8
	.type	_ZN7rocprim17ROCPRIM_400000_NS6detail17trampoline_kernelINS0_14default_configENS1_20scan_config_selectorIxEEZZNS1_9scan_implILNS1_25lookback_scan_determinismE0ELb0ELb0ES3_N6thrust23THRUST_200600_302600_NS6detail15normal_iteratorINS9_10device_ptrIxEEEESE_xNS9_4plusIxEExEEDaPvRmT3_T4_T5_mT6_P12ihipStream_tbENKUlT_T0_E_clISt17integral_constantIbLb0EEST_IbLb1EEEEDaSP_SQ_EUlSP_E_NS1_11comp_targetILNS1_3genE8ELNS1_11target_archE1030ELNS1_3gpuE2ELNS1_3repE0EEENS1_30default_config_static_selectorELNS0_4arch9wavefront6targetE1EEEvT1_,@function
_ZN7rocprim17ROCPRIM_400000_NS6detail17trampoline_kernelINS0_14default_configENS1_20scan_config_selectorIxEEZZNS1_9scan_implILNS1_25lookback_scan_determinismE0ELb0ELb0ES3_N6thrust23THRUST_200600_302600_NS6detail15normal_iteratorINS9_10device_ptrIxEEEESE_xNS9_4plusIxEExEEDaPvRmT3_T4_T5_mT6_P12ihipStream_tbENKUlT_T0_E_clISt17integral_constantIbLb0EEST_IbLb1EEEEDaSP_SQ_EUlSP_E_NS1_11comp_targetILNS1_3genE8ELNS1_11target_archE1030ELNS1_3gpuE2ELNS1_3repE0EEENS1_30default_config_static_selectorELNS0_4arch9wavefront6targetE1EEEvT1_: ; @_ZN7rocprim17ROCPRIM_400000_NS6detail17trampoline_kernelINS0_14default_configENS1_20scan_config_selectorIxEEZZNS1_9scan_implILNS1_25lookback_scan_determinismE0ELb0ELb0ES3_N6thrust23THRUST_200600_302600_NS6detail15normal_iteratorINS9_10device_ptrIxEEEESE_xNS9_4plusIxEExEEDaPvRmT3_T4_T5_mT6_P12ihipStream_tbENKUlT_T0_E_clISt17integral_constantIbLb0EEST_IbLb1EEEEDaSP_SQ_EUlSP_E_NS1_11comp_targetILNS1_3genE8ELNS1_11target_archE1030ELNS1_3gpuE2ELNS1_3repE0EEENS1_30default_config_static_selectorELNS0_4arch9wavefront6targetE1EEEvT1_
; %bb.0:
	.section	.rodata,"a",@progbits
	.p2align	6, 0x0
	.amdhsa_kernel _ZN7rocprim17ROCPRIM_400000_NS6detail17trampoline_kernelINS0_14default_configENS1_20scan_config_selectorIxEEZZNS1_9scan_implILNS1_25lookback_scan_determinismE0ELb0ELb0ES3_N6thrust23THRUST_200600_302600_NS6detail15normal_iteratorINS9_10device_ptrIxEEEESE_xNS9_4plusIxEExEEDaPvRmT3_T4_T5_mT6_P12ihipStream_tbENKUlT_T0_E_clISt17integral_constantIbLb0EEST_IbLb1EEEEDaSP_SQ_EUlSP_E_NS1_11comp_targetILNS1_3genE8ELNS1_11target_archE1030ELNS1_3gpuE2ELNS1_3repE0EEENS1_30default_config_static_selectorELNS0_4arch9wavefront6targetE1EEEvT1_
		.amdhsa_group_segment_fixed_size 0
		.amdhsa_private_segment_fixed_size 0
		.amdhsa_kernarg_size 104
		.amdhsa_user_sgpr_count 6
		.amdhsa_user_sgpr_private_segment_buffer 1
		.amdhsa_user_sgpr_dispatch_ptr 0
		.amdhsa_user_sgpr_queue_ptr 0
		.amdhsa_user_sgpr_kernarg_segment_ptr 1
		.amdhsa_user_sgpr_dispatch_id 0
		.amdhsa_user_sgpr_flat_scratch_init 0
		.amdhsa_user_sgpr_kernarg_preload_length 0
		.amdhsa_user_sgpr_kernarg_preload_offset 0
		.amdhsa_user_sgpr_private_segment_size 0
		.amdhsa_uses_dynamic_stack 0
		.amdhsa_system_sgpr_private_segment_wavefront_offset 0
		.amdhsa_system_sgpr_workgroup_id_x 1
		.amdhsa_system_sgpr_workgroup_id_y 0
		.amdhsa_system_sgpr_workgroup_id_z 0
		.amdhsa_system_sgpr_workgroup_info 0
		.amdhsa_system_vgpr_workitem_id 0
		.amdhsa_next_free_vgpr 1
		.amdhsa_next_free_sgpr 0
		.amdhsa_accum_offset 4
		.amdhsa_reserve_vcc 0
		.amdhsa_reserve_flat_scratch 0
		.amdhsa_float_round_mode_32 0
		.amdhsa_float_round_mode_16_64 0
		.amdhsa_float_denorm_mode_32 3
		.amdhsa_float_denorm_mode_16_64 3
		.amdhsa_dx10_clamp 1
		.amdhsa_ieee_mode 1
		.amdhsa_fp16_overflow 0
		.amdhsa_tg_split 0
		.amdhsa_exception_fp_ieee_invalid_op 0
		.amdhsa_exception_fp_denorm_src 0
		.amdhsa_exception_fp_ieee_div_zero 0
		.amdhsa_exception_fp_ieee_overflow 0
		.amdhsa_exception_fp_ieee_underflow 0
		.amdhsa_exception_fp_ieee_inexact 0
		.amdhsa_exception_int_div_zero 0
	.end_amdhsa_kernel
	.section	.text._ZN7rocprim17ROCPRIM_400000_NS6detail17trampoline_kernelINS0_14default_configENS1_20scan_config_selectorIxEEZZNS1_9scan_implILNS1_25lookback_scan_determinismE0ELb0ELb0ES3_N6thrust23THRUST_200600_302600_NS6detail15normal_iteratorINS9_10device_ptrIxEEEESE_xNS9_4plusIxEExEEDaPvRmT3_T4_T5_mT6_P12ihipStream_tbENKUlT_T0_E_clISt17integral_constantIbLb0EEST_IbLb1EEEEDaSP_SQ_EUlSP_E_NS1_11comp_targetILNS1_3genE8ELNS1_11target_archE1030ELNS1_3gpuE2ELNS1_3repE0EEENS1_30default_config_static_selectorELNS0_4arch9wavefront6targetE1EEEvT1_,"axG",@progbits,_ZN7rocprim17ROCPRIM_400000_NS6detail17trampoline_kernelINS0_14default_configENS1_20scan_config_selectorIxEEZZNS1_9scan_implILNS1_25lookback_scan_determinismE0ELb0ELb0ES3_N6thrust23THRUST_200600_302600_NS6detail15normal_iteratorINS9_10device_ptrIxEEEESE_xNS9_4plusIxEExEEDaPvRmT3_T4_T5_mT6_P12ihipStream_tbENKUlT_T0_E_clISt17integral_constantIbLb0EEST_IbLb1EEEEDaSP_SQ_EUlSP_E_NS1_11comp_targetILNS1_3genE8ELNS1_11target_archE1030ELNS1_3gpuE2ELNS1_3repE0EEENS1_30default_config_static_selectorELNS0_4arch9wavefront6targetE1EEEvT1_,comdat
.Lfunc_end260:
	.size	_ZN7rocprim17ROCPRIM_400000_NS6detail17trampoline_kernelINS0_14default_configENS1_20scan_config_selectorIxEEZZNS1_9scan_implILNS1_25lookback_scan_determinismE0ELb0ELb0ES3_N6thrust23THRUST_200600_302600_NS6detail15normal_iteratorINS9_10device_ptrIxEEEESE_xNS9_4plusIxEExEEDaPvRmT3_T4_T5_mT6_P12ihipStream_tbENKUlT_T0_E_clISt17integral_constantIbLb0EEST_IbLb1EEEEDaSP_SQ_EUlSP_E_NS1_11comp_targetILNS1_3genE8ELNS1_11target_archE1030ELNS1_3gpuE2ELNS1_3repE0EEENS1_30default_config_static_selectorELNS0_4arch9wavefront6targetE1EEEvT1_, .Lfunc_end260-_ZN7rocprim17ROCPRIM_400000_NS6detail17trampoline_kernelINS0_14default_configENS1_20scan_config_selectorIxEEZZNS1_9scan_implILNS1_25lookback_scan_determinismE0ELb0ELb0ES3_N6thrust23THRUST_200600_302600_NS6detail15normal_iteratorINS9_10device_ptrIxEEEESE_xNS9_4plusIxEExEEDaPvRmT3_T4_T5_mT6_P12ihipStream_tbENKUlT_T0_E_clISt17integral_constantIbLb0EEST_IbLb1EEEEDaSP_SQ_EUlSP_E_NS1_11comp_targetILNS1_3genE8ELNS1_11target_archE1030ELNS1_3gpuE2ELNS1_3repE0EEENS1_30default_config_static_selectorELNS0_4arch9wavefront6targetE1EEEvT1_
                                        ; -- End function
	.section	.AMDGPU.csdata,"",@progbits
; Kernel info:
; codeLenInByte = 0
; NumSgprs: 4
; NumVgprs: 0
; NumAgprs: 0
; TotalNumVgprs: 0
; ScratchSize: 0
; MemoryBound: 0
; FloatMode: 240
; IeeeMode: 1
; LDSByteSize: 0 bytes/workgroup (compile time only)
; SGPRBlocks: 0
; VGPRBlocks: 0
; NumSGPRsForWavesPerEU: 4
; NumVGPRsForWavesPerEU: 1
; AccumOffset: 4
; Occupancy: 8
; WaveLimiterHint : 0
; COMPUTE_PGM_RSRC2:SCRATCH_EN: 0
; COMPUTE_PGM_RSRC2:USER_SGPR: 6
; COMPUTE_PGM_RSRC2:TRAP_HANDLER: 0
; COMPUTE_PGM_RSRC2:TGID_X_EN: 1
; COMPUTE_PGM_RSRC2:TGID_Y_EN: 0
; COMPUTE_PGM_RSRC2:TGID_Z_EN: 0
; COMPUTE_PGM_RSRC2:TIDIG_COMP_CNT: 0
; COMPUTE_PGM_RSRC3_GFX90A:ACCUM_OFFSET: 0
; COMPUTE_PGM_RSRC3_GFX90A:TG_SPLIT: 0
	.section	.text._ZN7rocprim17ROCPRIM_400000_NS6detail17trampoline_kernelINS0_14default_configENS1_20scan_config_selectorIxEEZZNS1_9scan_implILNS1_25lookback_scan_determinismE0ELb0ELb0ES3_N6thrust23THRUST_200600_302600_NS6detail15normal_iteratorINS9_10device_ptrIxEEEESE_xNS9_4plusIxEExEEDaPvRmT3_T4_T5_mT6_P12ihipStream_tbENKUlT_T0_E_clISt17integral_constantIbLb0EEST_IbLb1EEEEDaSP_SQ_EUlSP_E0_NS1_11comp_targetILNS1_3genE0ELNS1_11target_archE4294967295ELNS1_3gpuE0ELNS1_3repE0EEENS1_30default_config_static_selectorELNS0_4arch9wavefront6targetE1EEEvT1_,"axG",@progbits,_ZN7rocprim17ROCPRIM_400000_NS6detail17trampoline_kernelINS0_14default_configENS1_20scan_config_selectorIxEEZZNS1_9scan_implILNS1_25lookback_scan_determinismE0ELb0ELb0ES3_N6thrust23THRUST_200600_302600_NS6detail15normal_iteratorINS9_10device_ptrIxEEEESE_xNS9_4plusIxEExEEDaPvRmT3_T4_T5_mT6_P12ihipStream_tbENKUlT_T0_E_clISt17integral_constantIbLb0EEST_IbLb1EEEEDaSP_SQ_EUlSP_E0_NS1_11comp_targetILNS1_3genE0ELNS1_11target_archE4294967295ELNS1_3gpuE0ELNS1_3repE0EEENS1_30default_config_static_selectorELNS0_4arch9wavefront6targetE1EEEvT1_,comdat
	.protected	_ZN7rocprim17ROCPRIM_400000_NS6detail17trampoline_kernelINS0_14default_configENS1_20scan_config_selectorIxEEZZNS1_9scan_implILNS1_25lookback_scan_determinismE0ELb0ELb0ES3_N6thrust23THRUST_200600_302600_NS6detail15normal_iteratorINS9_10device_ptrIxEEEESE_xNS9_4plusIxEExEEDaPvRmT3_T4_T5_mT6_P12ihipStream_tbENKUlT_T0_E_clISt17integral_constantIbLb0EEST_IbLb1EEEEDaSP_SQ_EUlSP_E0_NS1_11comp_targetILNS1_3genE0ELNS1_11target_archE4294967295ELNS1_3gpuE0ELNS1_3repE0EEENS1_30default_config_static_selectorELNS0_4arch9wavefront6targetE1EEEvT1_ ; -- Begin function _ZN7rocprim17ROCPRIM_400000_NS6detail17trampoline_kernelINS0_14default_configENS1_20scan_config_selectorIxEEZZNS1_9scan_implILNS1_25lookback_scan_determinismE0ELb0ELb0ES3_N6thrust23THRUST_200600_302600_NS6detail15normal_iteratorINS9_10device_ptrIxEEEESE_xNS9_4plusIxEExEEDaPvRmT3_T4_T5_mT6_P12ihipStream_tbENKUlT_T0_E_clISt17integral_constantIbLb0EEST_IbLb1EEEEDaSP_SQ_EUlSP_E0_NS1_11comp_targetILNS1_3genE0ELNS1_11target_archE4294967295ELNS1_3gpuE0ELNS1_3repE0EEENS1_30default_config_static_selectorELNS0_4arch9wavefront6targetE1EEEvT1_
	.globl	_ZN7rocprim17ROCPRIM_400000_NS6detail17trampoline_kernelINS0_14default_configENS1_20scan_config_selectorIxEEZZNS1_9scan_implILNS1_25lookback_scan_determinismE0ELb0ELb0ES3_N6thrust23THRUST_200600_302600_NS6detail15normal_iteratorINS9_10device_ptrIxEEEESE_xNS9_4plusIxEExEEDaPvRmT3_T4_T5_mT6_P12ihipStream_tbENKUlT_T0_E_clISt17integral_constantIbLb0EEST_IbLb1EEEEDaSP_SQ_EUlSP_E0_NS1_11comp_targetILNS1_3genE0ELNS1_11target_archE4294967295ELNS1_3gpuE0ELNS1_3repE0EEENS1_30default_config_static_selectorELNS0_4arch9wavefront6targetE1EEEvT1_
	.p2align	8
	.type	_ZN7rocprim17ROCPRIM_400000_NS6detail17trampoline_kernelINS0_14default_configENS1_20scan_config_selectorIxEEZZNS1_9scan_implILNS1_25lookback_scan_determinismE0ELb0ELb0ES3_N6thrust23THRUST_200600_302600_NS6detail15normal_iteratorINS9_10device_ptrIxEEEESE_xNS9_4plusIxEExEEDaPvRmT3_T4_T5_mT6_P12ihipStream_tbENKUlT_T0_E_clISt17integral_constantIbLb0EEST_IbLb1EEEEDaSP_SQ_EUlSP_E0_NS1_11comp_targetILNS1_3genE0ELNS1_11target_archE4294967295ELNS1_3gpuE0ELNS1_3repE0EEENS1_30default_config_static_selectorELNS0_4arch9wavefront6targetE1EEEvT1_,@function
_ZN7rocprim17ROCPRIM_400000_NS6detail17trampoline_kernelINS0_14default_configENS1_20scan_config_selectorIxEEZZNS1_9scan_implILNS1_25lookback_scan_determinismE0ELb0ELb0ES3_N6thrust23THRUST_200600_302600_NS6detail15normal_iteratorINS9_10device_ptrIxEEEESE_xNS9_4plusIxEExEEDaPvRmT3_T4_T5_mT6_P12ihipStream_tbENKUlT_T0_E_clISt17integral_constantIbLb0EEST_IbLb1EEEEDaSP_SQ_EUlSP_E0_NS1_11comp_targetILNS1_3genE0ELNS1_11target_archE4294967295ELNS1_3gpuE0ELNS1_3repE0EEENS1_30default_config_static_selectorELNS0_4arch9wavefront6targetE1EEEvT1_: ; @_ZN7rocprim17ROCPRIM_400000_NS6detail17trampoline_kernelINS0_14default_configENS1_20scan_config_selectorIxEEZZNS1_9scan_implILNS1_25lookback_scan_determinismE0ELb0ELb0ES3_N6thrust23THRUST_200600_302600_NS6detail15normal_iteratorINS9_10device_ptrIxEEEESE_xNS9_4plusIxEExEEDaPvRmT3_T4_T5_mT6_P12ihipStream_tbENKUlT_T0_E_clISt17integral_constantIbLb0EEST_IbLb1EEEEDaSP_SQ_EUlSP_E0_NS1_11comp_targetILNS1_3genE0ELNS1_11target_archE4294967295ELNS1_3gpuE0ELNS1_3repE0EEENS1_30default_config_static_selectorELNS0_4arch9wavefront6targetE1EEEvT1_
; %bb.0:
	.section	.rodata,"a",@progbits
	.p2align	6, 0x0
	.amdhsa_kernel _ZN7rocprim17ROCPRIM_400000_NS6detail17trampoline_kernelINS0_14default_configENS1_20scan_config_selectorIxEEZZNS1_9scan_implILNS1_25lookback_scan_determinismE0ELb0ELb0ES3_N6thrust23THRUST_200600_302600_NS6detail15normal_iteratorINS9_10device_ptrIxEEEESE_xNS9_4plusIxEExEEDaPvRmT3_T4_T5_mT6_P12ihipStream_tbENKUlT_T0_E_clISt17integral_constantIbLb0EEST_IbLb1EEEEDaSP_SQ_EUlSP_E0_NS1_11comp_targetILNS1_3genE0ELNS1_11target_archE4294967295ELNS1_3gpuE0ELNS1_3repE0EEENS1_30default_config_static_selectorELNS0_4arch9wavefront6targetE1EEEvT1_
		.amdhsa_group_segment_fixed_size 0
		.amdhsa_private_segment_fixed_size 0
		.amdhsa_kernarg_size 40
		.amdhsa_user_sgpr_count 6
		.amdhsa_user_sgpr_private_segment_buffer 1
		.amdhsa_user_sgpr_dispatch_ptr 0
		.amdhsa_user_sgpr_queue_ptr 0
		.amdhsa_user_sgpr_kernarg_segment_ptr 1
		.amdhsa_user_sgpr_dispatch_id 0
		.amdhsa_user_sgpr_flat_scratch_init 0
		.amdhsa_user_sgpr_kernarg_preload_length 0
		.amdhsa_user_sgpr_kernarg_preload_offset 0
		.amdhsa_user_sgpr_private_segment_size 0
		.amdhsa_uses_dynamic_stack 0
		.amdhsa_system_sgpr_private_segment_wavefront_offset 0
		.amdhsa_system_sgpr_workgroup_id_x 1
		.amdhsa_system_sgpr_workgroup_id_y 0
		.amdhsa_system_sgpr_workgroup_id_z 0
		.amdhsa_system_sgpr_workgroup_info 0
		.amdhsa_system_vgpr_workitem_id 0
		.amdhsa_next_free_vgpr 1
		.amdhsa_next_free_sgpr 0
		.amdhsa_accum_offset 4
		.amdhsa_reserve_vcc 0
		.amdhsa_reserve_flat_scratch 0
		.amdhsa_float_round_mode_32 0
		.amdhsa_float_round_mode_16_64 0
		.amdhsa_float_denorm_mode_32 3
		.amdhsa_float_denorm_mode_16_64 3
		.amdhsa_dx10_clamp 1
		.amdhsa_ieee_mode 1
		.amdhsa_fp16_overflow 0
		.amdhsa_tg_split 0
		.amdhsa_exception_fp_ieee_invalid_op 0
		.amdhsa_exception_fp_denorm_src 0
		.amdhsa_exception_fp_ieee_div_zero 0
		.amdhsa_exception_fp_ieee_overflow 0
		.amdhsa_exception_fp_ieee_underflow 0
		.amdhsa_exception_fp_ieee_inexact 0
		.amdhsa_exception_int_div_zero 0
	.end_amdhsa_kernel
	.section	.text._ZN7rocprim17ROCPRIM_400000_NS6detail17trampoline_kernelINS0_14default_configENS1_20scan_config_selectorIxEEZZNS1_9scan_implILNS1_25lookback_scan_determinismE0ELb0ELb0ES3_N6thrust23THRUST_200600_302600_NS6detail15normal_iteratorINS9_10device_ptrIxEEEESE_xNS9_4plusIxEExEEDaPvRmT3_T4_T5_mT6_P12ihipStream_tbENKUlT_T0_E_clISt17integral_constantIbLb0EEST_IbLb1EEEEDaSP_SQ_EUlSP_E0_NS1_11comp_targetILNS1_3genE0ELNS1_11target_archE4294967295ELNS1_3gpuE0ELNS1_3repE0EEENS1_30default_config_static_selectorELNS0_4arch9wavefront6targetE1EEEvT1_,"axG",@progbits,_ZN7rocprim17ROCPRIM_400000_NS6detail17trampoline_kernelINS0_14default_configENS1_20scan_config_selectorIxEEZZNS1_9scan_implILNS1_25lookback_scan_determinismE0ELb0ELb0ES3_N6thrust23THRUST_200600_302600_NS6detail15normal_iteratorINS9_10device_ptrIxEEEESE_xNS9_4plusIxEExEEDaPvRmT3_T4_T5_mT6_P12ihipStream_tbENKUlT_T0_E_clISt17integral_constantIbLb0EEST_IbLb1EEEEDaSP_SQ_EUlSP_E0_NS1_11comp_targetILNS1_3genE0ELNS1_11target_archE4294967295ELNS1_3gpuE0ELNS1_3repE0EEENS1_30default_config_static_selectorELNS0_4arch9wavefront6targetE1EEEvT1_,comdat
.Lfunc_end261:
	.size	_ZN7rocprim17ROCPRIM_400000_NS6detail17trampoline_kernelINS0_14default_configENS1_20scan_config_selectorIxEEZZNS1_9scan_implILNS1_25lookback_scan_determinismE0ELb0ELb0ES3_N6thrust23THRUST_200600_302600_NS6detail15normal_iteratorINS9_10device_ptrIxEEEESE_xNS9_4plusIxEExEEDaPvRmT3_T4_T5_mT6_P12ihipStream_tbENKUlT_T0_E_clISt17integral_constantIbLb0EEST_IbLb1EEEEDaSP_SQ_EUlSP_E0_NS1_11comp_targetILNS1_3genE0ELNS1_11target_archE4294967295ELNS1_3gpuE0ELNS1_3repE0EEENS1_30default_config_static_selectorELNS0_4arch9wavefront6targetE1EEEvT1_, .Lfunc_end261-_ZN7rocprim17ROCPRIM_400000_NS6detail17trampoline_kernelINS0_14default_configENS1_20scan_config_selectorIxEEZZNS1_9scan_implILNS1_25lookback_scan_determinismE0ELb0ELb0ES3_N6thrust23THRUST_200600_302600_NS6detail15normal_iteratorINS9_10device_ptrIxEEEESE_xNS9_4plusIxEExEEDaPvRmT3_T4_T5_mT6_P12ihipStream_tbENKUlT_T0_E_clISt17integral_constantIbLb0EEST_IbLb1EEEEDaSP_SQ_EUlSP_E0_NS1_11comp_targetILNS1_3genE0ELNS1_11target_archE4294967295ELNS1_3gpuE0ELNS1_3repE0EEENS1_30default_config_static_selectorELNS0_4arch9wavefront6targetE1EEEvT1_
                                        ; -- End function
	.section	.AMDGPU.csdata,"",@progbits
; Kernel info:
; codeLenInByte = 0
; NumSgprs: 4
; NumVgprs: 0
; NumAgprs: 0
; TotalNumVgprs: 0
; ScratchSize: 0
; MemoryBound: 0
; FloatMode: 240
; IeeeMode: 1
; LDSByteSize: 0 bytes/workgroup (compile time only)
; SGPRBlocks: 0
; VGPRBlocks: 0
; NumSGPRsForWavesPerEU: 4
; NumVGPRsForWavesPerEU: 1
; AccumOffset: 4
; Occupancy: 8
; WaveLimiterHint : 0
; COMPUTE_PGM_RSRC2:SCRATCH_EN: 0
; COMPUTE_PGM_RSRC2:USER_SGPR: 6
; COMPUTE_PGM_RSRC2:TRAP_HANDLER: 0
; COMPUTE_PGM_RSRC2:TGID_X_EN: 1
; COMPUTE_PGM_RSRC2:TGID_Y_EN: 0
; COMPUTE_PGM_RSRC2:TGID_Z_EN: 0
; COMPUTE_PGM_RSRC2:TIDIG_COMP_CNT: 0
; COMPUTE_PGM_RSRC3_GFX90A:ACCUM_OFFSET: 0
; COMPUTE_PGM_RSRC3_GFX90A:TG_SPLIT: 0
	.section	.text._ZN7rocprim17ROCPRIM_400000_NS6detail17trampoline_kernelINS0_14default_configENS1_20scan_config_selectorIxEEZZNS1_9scan_implILNS1_25lookback_scan_determinismE0ELb0ELb0ES3_N6thrust23THRUST_200600_302600_NS6detail15normal_iteratorINS9_10device_ptrIxEEEESE_xNS9_4plusIxEExEEDaPvRmT3_T4_T5_mT6_P12ihipStream_tbENKUlT_T0_E_clISt17integral_constantIbLb0EEST_IbLb1EEEEDaSP_SQ_EUlSP_E0_NS1_11comp_targetILNS1_3genE5ELNS1_11target_archE942ELNS1_3gpuE9ELNS1_3repE0EEENS1_30default_config_static_selectorELNS0_4arch9wavefront6targetE1EEEvT1_,"axG",@progbits,_ZN7rocprim17ROCPRIM_400000_NS6detail17trampoline_kernelINS0_14default_configENS1_20scan_config_selectorIxEEZZNS1_9scan_implILNS1_25lookback_scan_determinismE0ELb0ELb0ES3_N6thrust23THRUST_200600_302600_NS6detail15normal_iteratorINS9_10device_ptrIxEEEESE_xNS9_4plusIxEExEEDaPvRmT3_T4_T5_mT6_P12ihipStream_tbENKUlT_T0_E_clISt17integral_constantIbLb0EEST_IbLb1EEEEDaSP_SQ_EUlSP_E0_NS1_11comp_targetILNS1_3genE5ELNS1_11target_archE942ELNS1_3gpuE9ELNS1_3repE0EEENS1_30default_config_static_selectorELNS0_4arch9wavefront6targetE1EEEvT1_,comdat
	.protected	_ZN7rocprim17ROCPRIM_400000_NS6detail17trampoline_kernelINS0_14default_configENS1_20scan_config_selectorIxEEZZNS1_9scan_implILNS1_25lookback_scan_determinismE0ELb0ELb0ES3_N6thrust23THRUST_200600_302600_NS6detail15normal_iteratorINS9_10device_ptrIxEEEESE_xNS9_4plusIxEExEEDaPvRmT3_T4_T5_mT6_P12ihipStream_tbENKUlT_T0_E_clISt17integral_constantIbLb0EEST_IbLb1EEEEDaSP_SQ_EUlSP_E0_NS1_11comp_targetILNS1_3genE5ELNS1_11target_archE942ELNS1_3gpuE9ELNS1_3repE0EEENS1_30default_config_static_selectorELNS0_4arch9wavefront6targetE1EEEvT1_ ; -- Begin function _ZN7rocprim17ROCPRIM_400000_NS6detail17trampoline_kernelINS0_14default_configENS1_20scan_config_selectorIxEEZZNS1_9scan_implILNS1_25lookback_scan_determinismE0ELb0ELb0ES3_N6thrust23THRUST_200600_302600_NS6detail15normal_iteratorINS9_10device_ptrIxEEEESE_xNS9_4plusIxEExEEDaPvRmT3_T4_T5_mT6_P12ihipStream_tbENKUlT_T0_E_clISt17integral_constantIbLb0EEST_IbLb1EEEEDaSP_SQ_EUlSP_E0_NS1_11comp_targetILNS1_3genE5ELNS1_11target_archE942ELNS1_3gpuE9ELNS1_3repE0EEENS1_30default_config_static_selectorELNS0_4arch9wavefront6targetE1EEEvT1_
	.globl	_ZN7rocprim17ROCPRIM_400000_NS6detail17trampoline_kernelINS0_14default_configENS1_20scan_config_selectorIxEEZZNS1_9scan_implILNS1_25lookback_scan_determinismE0ELb0ELb0ES3_N6thrust23THRUST_200600_302600_NS6detail15normal_iteratorINS9_10device_ptrIxEEEESE_xNS9_4plusIxEExEEDaPvRmT3_T4_T5_mT6_P12ihipStream_tbENKUlT_T0_E_clISt17integral_constantIbLb0EEST_IbLb1EEEEDaSP_SQ_EUlSP_E0_NS1_11comp_targetILNS1_3genE5ELNS1_11target_archE942ELNS1_3gpuE9ELNS1_3repE0EEENS1_30default_config_static_selectorELNS0_4arch9wavefront6targetE1EEEvT1_
	.p2align	8
	.type	_ZN7rocprim17ROCPRIM_400000_NS6detail17trampoline_kernelINS0_14default_configENS1_20scan_config_selectorIxEEZZNS1_9scan_implILNS1_25lookback_scan_determinismE0ELb0ELb0ES3_N6thrust23THRUST_200600_302600_NS6detail15normal_iteratorINS9_10device_ptrIxEEEESE_xNS9_4plusIxEExEEDaPvRmT3_T4_T5_mT6_P12ihipStream_tbENKUlT_T0_E_clISt17integral_constantIbLb0EEST_IbLb1EEEEDaSP_SQ_EUlSP_E0_NS1_11comp_targetILNS1_3genE5ELNS1_11target_archE942ELNS1_3gpuE9ELNS1_3repE0EEENS1_30default_config_static_selectorELNS0_4arch9wavefront6targetE1EEEvT1_,@function
_ZN7rocprim17ROCPRIM_400000_NS6detail17trampoline_kernelINS0_14default_configENS1_20scan_config_selectorIxEEZZNS1_9scan_implILNS1_25lookback_scan_determinismE0ELb0ELb0ES3_N6thrust23THRUST_200600_302600_NS6detail15normal_iteratorINS9_10device_ptrIxEEEESE_xNS9_4plusIxEExEEDaPvRmT3_T4_T5_mT6_P12ihipStream_tbENKUlT_T0_E_clISt17integral_constantIbLb0EEST_IbLb1EEEEDaSP_SQ_EUlSP_E0_NS1_11comp_targetILNS1_3genE5ELNS1_11target_archE942ELNS1_3gpuE9ELNS1_3repE0EEENS1_30default_config_static_selectorELNS0_4arch9wavefront6targetE1EEEvT1_: ; @_ZN7rocprim17ROCPRIM_400000_NS6detail17trampoline_kernelINS0_14default_configENS1_20scan_config_selectorIxEEZZNS1_9scan_implILNS1_25lookback_scan_determinismE0ELb0ELb0ES3_N6thrust23THRUST_200600_302600_NS6detail15normal_iteratorINS9_10device_ptrIxEEEESE_xNS9_4plusIxEExEEDaPvRmT3_T4_T5_mT6_P12ihipStream_tbENKUlT_T0_E_clISt17integral_constantIbLb0EEST_IbLb1EEEEDaSP_SQ_EUlSP_E0_NS1_11comp_targetILNS1_3genE5ELNS1_11target_archE942ELNS1_3gpuE9ELNS1_3repE0EEENS1_30default_config_static_selectorELNS0_4arch9wavefront6targetE1EEEvT1_
; %bb.0:
	.section	.rodata,"a",@progbits
	.p2align	6, 0x0
	.amdhsa_kernel _ZN7rocprim17ROCPRIM_400000_NS6detail17trampoline_kernelINS0_14default_configENS1_20scan_config_selectorIxEEZZNS1_9scan_implILNS1_25lookback_scan_determinismE0ELb0ELb0ES3_N6thrust23THRUST_200600_302600_NS6detail15normal_iteratorINS9_10device_ptrIxEEEESE_xNS9_4plusIxEExEEDaPvRmT3_T4_T5_mT6_P12ihipStream_tbENKUlT_T0_E_clISt17integral_constantIbLb0EEST_IbLb1EEEEDaSP_SQ_EUlSP_E0_NS1_11comp_targetILNS1_3genE5ELNS1_11target_archE942ELNS1_3gpuE9ELNS1_3repE0EEENS1_30default_config_static_selectorELNS0_4arch9wavefront6targetE1EEEvT1_
		.amdhsa_group_segment_fixed_size 0
		.amdhsa_private_segment_fixed_size 0
		.amdhsa_kernarg_size 40
		.amdhsa_user_sgpr_count 6
		.amdhsa_user_sgpr_private_segment_buffer 1
		.amdhsa_user_sgpr_dispatch_ptr 0
		.amdhsa_user_sgpr_queue_ptr 0
		.amdhsa_user_sgpr_kernarg_segment_ptr 1
		.amdhsa_user_sgpr_dispatch_id 0
		.amdhsa_user_sgpr_flat_scratch_init 0
		.amdhsa_user_sgpr_kernarg_preload_length 0
		.amdhsa_user_sgpr_kernarg_preload_offset 0
		.amdhsa_user_sgpr_private_segment_size 0
		.amdhsa_uses_dynamic_stack 0
		.amdhsa_system_sgpr_private_segment_wavefront_offset 0
		.amdhsa_system_sgpr_workgroup_id_x 1
		.amdhsa_system_sgpr_workgroup_id_y 0
		.amdhsa_system_sgpr_workgroup_id_z 0
		.amdhsa_system_sgpr_workgroup_info 0
		.amdhsa_system_vgpr_workitem_id 0
		.amdhsa_next_free_vgpr 1
		.amdhsa_next_free_sgpr 0
		.amdhsa_accum_offset 4
		.amdhsa_reserve_vcc 0
		.amdhsa_reserve_flat_scratch 0
		.amdhsa_float_round_mode_32 0
		.amdhsa_float_round_mode_16_64 0
		.amdhsa_float_denorm_mode_32 3
		.amdhsa_float_denorm_mode_16_64 3
		.amdhsa_dx10_clamp 1
		.amdhsa_ieee_mode 1
		.amdhsa_fp16_overflow 0
		.amdhsa_tg_split 0
		.amdhsa_exception_fp_ieee_invalid_op 0
		.amdhsa_exception_fp_denorm_src 0
		.amdhsa_exception_fp_ieee_div_zero 0
		.amdhsa_exception_fp_ieee_overflow 0
		.amdhsa_exception_fp_ieee_underflow 0
		.amdhsa_exception_fp_ieee_inexact 0
		.amdhsa_exception_int_div_zero 0
	.end_amdhsa_kernel
	.section	.text._ZN7rocprim17ROCPRIM_400000_NS6detail17trampoline_kernelINS0_14default_configENS1_20scan_config_selectorIxEEZZNS1_9scan_implILNS1_25lookback_scan_determinismE0ELb0ELb0ES3_N6thrust23THRUST_200600_302600_NS6detail15normal_iteratorINS9_10device_ptrIxEEEESE_xNS9_4plusIxEExEEDaPvRmT3_T4_T5_mT6_P12ihipStream_tbENKUlT_T0_E_clISt17integral_constantIbLb0EEST_IbLb1EEEEDaSP_SQ_EUlSP_E0_NS1_11comp_targetILNS1_3genE5ELNS1_11target_archE942ELNS1_3gpuE9ELNS1_3repE0EEENS1_30default_config_static_selectorELNS0_4arch9wavefront6targetE1EEEvT1_,"axG",@progbits,_ZN7rocprim17ROCPRIM_400000_NS6detail17trampoline_kernelINS0_14default_configENS1_20scan_config_selectorIxEEZZNS1_9scan_implILNS1_25lookback_scan_determinismE0ELb0ELb0ES3_N6thrust23THRUST_200600_302600_NS6detail15normal_iteratorINS9_10device_ptrIxEEEESE_xNS9_4plusIxEExEEDaPvRmT3_T4_T5_mT6_P12ihipStream_tbENKUlT_T0_E_clISt17integral_constantIbLb0EEST_IbLb1EEEEDaSP_SQ_EUlSP_E0_NS1_11comp_targetILNS1_3genE5ELNS1_11target_archE942ELNS1_3gpuE9ELNS1_3repE0EEENS1_30default_config_static_selectorELNS0_4arch9wavefront6targetE1EEEvT1_,comdat
.Lfunc_end262:
	.size	_ZN7rocprim17ROCPRIM_400000_NS6detail17trampoline_kernelINS0_14default_configENS1_20scan_config_selectorIxEEZZNS1_9scan_implILNS1_25lookback_scan_determinismE0ELb0ELb0ES3_N6thrust23THRUST_200600_302600_NS6detail15normal_iteratorINS9_10device_ptrIxEEEESE_xNS9_4plusIxEExEEDaPvRmT3_T4_T5_mT6_P12ihipStream_tbENKUlT_T0_E_clISt17integral_constantIbLb0EEST_IbLb1EEEEDaSP_SQ_EUlSP_E0_NS1_11comp_targetILNS1_3genE5ELNS1_11target_archE942ELNS1_3gpuE9ELNS1_3repE0EEENS1_30default_config_static_selectorELNS0_4arch9wavefront6targetE1EEEvT1_, .Lfunc_end262-_ZN7rocprim17ROCPRIM_400000_NS6detail17trampoline_kernelINS0_14default_configENS1_20scan_config_selectorIxEEZZNS1_9scan_implILNS1_25lookback_scan_determinismE0ELb0ELb0ES3_N6thrust23THRUST_200600_302600_NS6detail15normal_iteratorINS9_10device_ptrIxEEEESE_xNS9_4plusIxEExEEDaPvRmT3_T4_T5_mT6_P12ihipStream_tbENKUlT_T0_E_clISt17integral_constantIbLb0EEST_IbLb1EEEEDaSP_SQ_EUlSP_E0_NS1_11comp_targetILNS1_3genE5ELNS1_11target_archE942ELNS1_3gpuE9ELNS1_3repE0EEENS1_30default_config_static_selectorELNS0_4arch9wavefront6targetE1EEEvT1_
                                        ; -- End function
	.section	.AMDGPU.csdata,"",@progbits
; Kernel info:
; codeLenInByte = 0
; NumSgprs: 4
; NumVgprs: 0
; NumAgprs: 0
; TotalNumVgprs: 0
; ScratchSize: 0
; MemoryBound: 0
; FloatMode: 240
; IeeeMode: 1
; LDSByteSize: 0 bytes/workgroup (compile time only)
; SGPRBlocks: 0
; VGPRBlocks: 0
; NumSGPRsForWavesPerEU: 4
; NumVGPRsForWavesPerEU: 1
; AccumOffset: 4
; Occupancy: 8
; WaveLimiterHint : 0
; COMPUTE_PGM_RSRC2:SCRATCH_EN: 0
; COMPUTE_PGM_RSRC2:USER_SGPR: 6
; COMPUTE_PGM_RSRC2:TRAP_HANDLER: 0
; COMPUTE_PGM_RSRC2:TGID_X_EN: 1
; COMPUTE_PGM_RSRC2:TGID_Y_EN: 0
; COMPUTE_PGM_RSRC2:TGID_Z_EN: 0
; COMPUTE_PGM_RSRC2:TIDIG_COMP_CNT: 0
; COMPUTE_PGM_RSRC3_GFX90A:ACCUM_OFFSET: 0
; COMPUTE_PGM_RSRC3_GFX90A:TG_SPLIT: 0
	.section	.text._ZN7rocprim17ROCPRIM_400000_NS6detail17trampoline_kernelINS0_14default_configENS1_20scan_config_selectorIxEEZZNS1_9scan_implILNS1_25lookback_scan_determinismE0ELb0ELb0ES3_N6thrust23THRUST_200600_302600_NS6detail15normal_iteratorINS9_10device_ptrIxEEEESE_xNS9_4plusIxEExEEDaPvRmT3_T4_T5_mT6_P12ihipStream_tbENKUlT_T0_E_clISt17integral_constantIbLb0EEST_IbLb1EEEEDaSP_SQ_EUlSP_E0_NS1_11comp_targetILNS1_3genE4ELNS1_11target_archE910ELNS1_3gpuE8ELNS1_3repE0EEENS1_30default_config_static_selectorELNS0_4arch9wavefront6targetE1EEEvT1_,"axG",@progbits,_ZN7rocprim17ROCPRIM_400000_NS6detail17trampoline_kernelINS0_14default_configENS1_20scan_config_selectorIxEEZZNS1_9scan_implILNS1_25lookback_scan_determinismE0ELb0ELb0ES3_N6thrust23THRUST_200600_302600_NS6detail15normal_iteratorINS9_10device_ptrIxEEEESE_xNS9_4plusIxEExEEDaPvRmT3_T4_T5_mT6_P12ihipStream_tbENKUlT_T0_E_clISt17integral_constantIbLb0EEST_IbLb1EEEEDaSP_SQ_EUlSP_E0_NS1_11comp_targetILNS1_3genE4ELNS1_11target_archE910ELNS1_3gpuE8ELNS1_3repE0EEENS1_30default_config_static_selectorELNS0_4arch9wavefront6targetE1EEEvT1_,comdat
	.protected	_ZN7rocprim17ROCPRIM_400000_NS6detail17trampoline_kernelINS0_14default_configENS1_20scan_config_selectorIxEEZZNS1_9scan_implILNS1_25lookback_scan_determinismE0ELb0ELb0ES3_N6thrust23THRUST_200600_302600_NS6detail15normal_iteratorINS9_10device_ptrIxEEEESE_xNS9_4plusIxEExEEDaPvRmT3_T4_T5_mT6_P12ihipStream_tbENKUlT_T0_E_clISt17integral_constantIbLb0EEST_IbLb1EEEEDaSP_SQ_EUlSP_E0_NS1_11comp_targetILNS1_3genE4ELNS1_11target_archE910ELNS1_3gpuE8ELNS1_3repE0EEENS1_30default_config_static_selectorELNS0_4arch9wavefront6targetE1EEEvT1_ ; -- Begin function _ZN7rocprim17ROCPRIM_400000_NS6detail17trampoline_kernelINS0_14default_configENS1_20scan_config_selectorIxEEZZNS1_9scan_implILNS1_25lookback_scan_determinismE0ELb0ELb0ES3_N6thrust23THRUST_200600_302600_NS6detail15normal_iteratorINS9_10device_ptrIxEEEESE_xNS9_4plusIxEExEEDaPvRmT3_T4_T5_mT6_P12ihipStream_tbENKUlT_T0_E_clISt17integral_constantIbLb0EEST_IbLb1EEEEDaSP_SQ_EUlSP_E0_NS1_11comp_targetILNS1_3genE4ELNS1_11target_archE910ELNS1_3gpuE8ELNS1_3repE0EEENS1_30default_config_static_selectorELNS0_4arch9wavefront6targetE1EEEvT1_
	.globl	_ZN7rocprim17ROCPRIM_400000_NS6detail17trampoline_kernelINS0_14default_configENS1_20scan_config_selectorIxEEZZNS1_9scan_implILNS1_25lookback_scan_determinismE0ELb0ELb0ES3_N6thrust23THRUST_200600_302600_NS6detail15normal_iteratorINS9_10device_ptrIxEEEESE_xNS9_4plusIxEExEEDaPvRmT3_T4_T5_mT6_P12ihipStream_tbENKUlT_T0_E_clISt17integral_constantIbLb0EEST_IbLb1EEEEDaSP_SQ_EUlSP_E0_NS1_11comp_targetILNS1_3genE4ELNS1_11target_archE910ELNS1_3gpuE8ELNS1_3repE0EEENS1_30default_config_static_selectorELNS0_4arch9wavefront6targetE1EEEvT1_
	.p2align	8
	.type	_ZN7rocprim17ROCPRIM_400000_NS6detail17trampoline_kernelINS0_14default_configENS1_20scan_config_selectorIxEEZZNS1_9scan_implILNS1_25lookback_scan_determinismE0ELb0ELb0ES3_N6thrust23THRUST_200600_302600_NS6detail15normal_iteratorINS9_10device_ptrIxEEEESE_xNS9_4plusIxEExEEDaPvRmT3_T4_T5_mT6_P12ihipStream_tbENKUlT_T0_E_clISt17integral_constantIbLb0EEST_IbLb1EEEEDaSP_SQ_EUlSP_E0_NS1_11comp_targetILNS1_3genE4ELNS1_11target_archE910ELNS1_3gpuE8ELNS1_3repE0EEENS1_30default_config_static_selectorELNS0_4arch9wavefront6targetE1EEEvT1_,@function
_ZN7rocprim17ROCPRIM_400000_NS6detail17trampoline_kernelINS0_14default_configENS1_20scan_config_selectorIxEEZZNS1_9scan_implILNS1_25lookback_scan_determinismE0ELb0ELb0ES3_N6thrust23THRUST_200600_302600_NS6detail15normal_iteratorINS9_10device_ptrIxEEEESE_xNS9_4plusIxEExEEDaPvRmT3_T4_T5_mT6_P12ihipStream_tbENKUlT_T0_E_clISt17integral_constantIbLb0EEST_IbLb1EEEEDaSP_SQ_EUlSP_E0_NS1_11comp_targetILNS1_3genE4ELNS1_11target_archE910ELNS1_3gpuE8ELNS1_3repE0EEENS1_30default_config_static_selectorELNS0_4arch9wavefront6targetE1EEEvT1_: ; @_ZN7rocprim17ROCPRIM_400000_NS6detail17trampoline_kernelINS0_14default_configENS1_20scan_config_selectorIxEEZZNS1_9scan_implILNS1_25lookback_scan_determinismE0ELb0ELb0ES3_N6thrust23THRUST_200600_302600_NS6detail15normal_iteratorINS9_10device_ptrIxEEEESE_xNS9_4plusIxEExEEDaPvRmT3_T4_T5_mT6_P12ihipStream_tbENKUlT_T0_E_clISt17integral_constantIbLb0EEST_IbLb1EEEEDaSP_SQ_EUlSP_E0_NS1_11comp_targetILNS1_3genE4ELNS1_11target_archE910ELNS1_3gpuE8ELNS1_3repE0EEENS1_30default_config_static_selectorELNS0_4arch9wavefront6targetE1EEEvT1_
; %bb.0:
	s_load_dwordx4 s[16:19], s[4:5], 0x0
	v_lshlrev_b32_e32 v21, 3, v0
	s_waitcnt lgkmcnt(0)
	s_load_dwordx2 s[14:15], s[16:17], 0x0
	v_cmp_gt_u32_e32 vcc, s18, v0
	s_waitcnt lgkmcnt(0)
	v_pk_mov_b32 v[2:3], s[14:15], s[14:15] op_sel:[0,1]
	s_and_saveexec_b64 s[0:1], vcc
	s_cbranch_execz .LBB263_2
; %bb.1:
	global_load_dwordx2 v[2:3], v21, s[16:17]
.LBB263_2:
	s_or_b64 exec, exec, s[0:1]
	v_or_b32_e32 v1, 0x80, v0
	v_cmp_gt_u32_e64 s[0:1], s18, v1
	v_pk_mov_b32 v[4:5], s[14:15], s[14:15] op_sel:[0,1]
	s_and_saveexec_b64 s[2:3], s[0:1]
	s_cbranch_execz .LBB263_4
; %bb.3:
	global_load_dwordx2 v[4:5], v21, s[16:17] offset:1024
.LBB263_4:
	s_or_b64 exec, exec, s[2:3]
	v_or_b32_e32 v1, 0x100, v0
	v_cmp_gt_u32_e64 s[2:3], s18, v1
	v_pk_mov_b32 v[6:7], s[14:15], s[14:15] op_sel:[0,1]
	s_and_saveexec_b64 s[6:7], s[2:3]
	s_cbranch_execz .LBB263_6
; %bb.5:
	global_load_dwordx2 v[6:7], v21, s[16:17] offset:2048
.LBB263_6:
	;; [unrolled: 9-line block ×3, first 2 shown]
	s_or_b64 exec, exec, s[6:7]
	v_or_b32_e32 v1, 0x200, v0
	v_cmp_gt_u32_e64 s[6:7], s18, v1
	v_pk_mov_b32 v[10:11], s[14:15], s[14:15] op_sel:[0,1]
	s_and_saveexec_b64 s[8:9], s[6:7]
	s_cbranch_execz .LBB263_10
; %bb.9:
	v_lshlrev_b32_e32 v1, 3, v1
	global_load_dwordx2 v[10:11], v1, s[16:17]
.LBB263_10:
	s_or_b64 exec, exec, s[8:9]
	v_or_b32_e32 v1, 0x280, v0
	v_cmp_gt_u32_e64 s[8:9], s18, v1
	v_pk_mov_b32 v[12:13], s[14:15], s[14:15] op_sel:[0,1]
	s_and_saveexec_b64 s[10:11], s[8:9]
	s_cbranch_execz .LBB263_12
; %bb.11:
	v_lshlrev_b32_e32 v1, 3, v1
	global_load_dwordx2 v[12:13], v1, s[16:17]
.LBB263_12:
	;; [unrolled: 10-line block ×3, first 2 shown]
	s_or_b64 exec, exec, s[14:15]
	v_mad_u32_u24 v1, v0, 48, v21
	s_waitcnt vmcnt(0)
	ds_write2st64_b64 v21, v[2:3], v[4:5] offset1:2
	ds_write2st64_b64 v21, v[6:7], v[8:9] offset0:4 offset1:6
	ds_write2st64_b64 v21, v[10:11], v[12:13] offset0:8 offset1:10
	ds_write_b64 v21, v[14:15] offset:6144
	s_waitcnt lgkmcnt(0)
	s_barrier
	ds_read2_b64 v[2:5], v1 offset1:1
	ds_read2_b64 v[6:9], v1 offset0:2 offset1:3
	ds_read2_b64 v[10:13], v1 offset0:4 offset1:5
	ds_read_b64 v[28:29], v1 offset:48
	s_load_dwordx2 s[16:17], s[4:5], 0x20
	s_waitcnt lgkmcnt(0)
	v_add_co_u32_e64 v20, s[4:5], v4, v2
	v_addc_co_u32_e64 v1, s[4:5], v5, v3, s[4:5]
	v_add_co_u32_e64 v18, s[4:5], v20, v6
	v_addc_co_u32_e64 v19, s[4:5], v1, v7, s[4:5]
	;; [unrolled: 2-line block ×5, first 2 shown]
	v_add_co_u32_e64 v30, s[4:5], v26, v28
	v_lshrrev_b32_e32 v14, 2, v0
	v_addc_co_u32_e64 v31, s[4:5], v27, v29, s[4:5]
	v_and_b32_e32 v14, 24, v14
	v_add_u32_e32 v14, v21, v14
	v_cmp_gt_u32_e64 s[4:5], 64, v0
	s_barrier
	ds_write_b64 v14, v[30:31]
	s_waitcnt lgkmcnt(0)
	s_barrier
	s_and_saveexec_b64 s[18:19], s[4:5]
	s_cbranch_execz .LBB263_18
; %bb.15:
	v_lshlrev_b32_e32 v14, 1, v0
	v_lshrrev_b32_e32 v15, 4, v0
	v_add_lshl_u32 v32, v15, v14, 3
	ds_read2_b64 v[14:17], v32 offset1:1
	s_waitcnt lgkmcnt(0)
	v_add_co_u32_e64 v34, s[4:5], v16, v14
	v_addc_co_u32_e64 v35, s[4:5], v17, v15, s[4:5]
	s_nop 0
	v_mov_b32_dpp v17, v34 row_shr:1 row_mask:0xf bank_mask:0xf
	v_add_co_u32_e64 v17, s[4:5], v34, v17
	v_mbcnt_lo_u32_b32 v16, -1, 0
	v_addc_co_u32_e64 v37, s[4:5], 0, v35, s[4:5]
	v_mbcnt_hi_u32_b32 v33, -1, v16
	v_mov_b32_dpp v36, v35 row_shr:1 row_mask:0xf bank_mask:0xf
	v_add_co_u32_e64 v38, s[4:5], 0, v17
	v_and_b32_e32 v16, 15, v33
	v_addc_co_u32_e64 v36, s[4:5], v36, v37, s[4:5]
	v_cmp_eq_u32_e64 s[4:5], 0, v16
	v_cndmask_b32_e64 v17, v17, v34, s[4:5]
	v_cndmask_b32_e64 v36, v36, v35, s[4:5]
	v_cndmask_b32_e64 v37, v38, v34, s[4:5]
	v_mov_b32_dpp v38, v17 row_shr:2 row_mask:0xf bank_mask:0xf
	v_mov_b32_dpp v39, v36 row_shr:2 row_mask:0xf bank_mask:0xf
	v_add_co_u32_e64 v38, s[4:5], v38, v37
	v_addc_co_u32_e64 v39, s[4:5], v39, v36, s[4:5]
	v_cmp_lt_u32_e64 s[4:5], 1, v16
	v_cndmask_b32_e64 v17, v17, v38, s[4:5]
	v_cndmask_b32_e64 v36, v36, v39, s[4:5]
	v_cndmask_b32_e64 v37, v37, v38, s[4:5]
	v_mov_b32_dpp v38, v17 row_shr:4 row_mask:0xf bank_mask:0xf
	v_mov_b32_dpp v39, v36 row_shr:4 row_mask:0xf bank_mask:0xf
	v_add_co_u32_e64 v38, s[4:5], v38, v37
	v_addc_co_u32_e64 v39, s[4:5], v39, v36, s[4:5]
	v_cmp_lt_u32_e64 s[4:5], 3, v16
	;; [unrolled: 8-line block ×3, first 2 shown]
	v_cndmask_b32_e64 v40, v17, v38, s[4:5]
	v_cndmask_b32_e64 v17, v36, v39, s[4:5]
	;; [unrolled: 1-line block ×3, first 2 shown]
	v_mov_b32_dpp v36, v40 row_bcast:15 row_mask:0xf bank_mask:0xf
	v_mov_b32_dpp v37, v17 row_bcast:15 row_mask:0xf bank_mask:0xf
	v_add_co_u32_e64 v36, s[4:5], v36, v16
	v_and_b32_e32 v39, 16, v33
	v_addc_co_u32_e64 v38, s[4:5], v37, v17, s[4:5]
	v_cmp_eq_u32_e64 s[4:5], 0, v39
	v_cndmask_b32_e64 v39, v38, v17, s[4:5]
	v_cndmask_b32_e64 v37, v36, v40, s[4:5]
	v_cmp_ne_u32_e64 s[14:15], 0, v33
	v_mov_b32_dpp v39, v39 row_bcast:31 row_mask:0xf bank_mask:0xf
	v_mov_b32_dpp v37, v37 row_bcast:31 row_mask:0xf bank_mask:0xf
	s_and_saveexec_b64 s[20:21], s[14:15]
; %bb.16:
	v_cndmask_b32_e64 v17, v38, v17, s[4:5]
	v_cndmask_b32_e64 v16, v36, v16, s[4:5]
	v_cmp_lt_u32_e64 s[4:5], 31, v33
	v_cndmask_b32_e64 v34, 0, v37, s[4:5]
	v_cndmask_b32_e64 v35, 0, v39, s[4:5]
	v_add_co_u32_e64 v34, s[4:5], v34, v16
	v_addc_co_u32_e64 v35, s[4:5], v35, v17, s[4:5]
; %bb.17:
	s_or_b64 exec, exec, s[20:21]
	v_add_u32_e32 v16, -1, v33
	v_and_b32_e32 v17, 64, v33
	v_cmp_lt_i32_e64 s[4:5], v16, v17
	v_cndmask_b32_e64 v16, v16, v33, s[4:5]
	v_lshlrev_b32_e32 v16, 2, v16
	ds_bpermute_b32 v17, v16, v34
	ds_bpermute_b32 v16, v16, v35
	; wave barrier
	s_waitcnt lgkmcnt(1)
	v_add_co_u32_e64 v14, s[4:5], v14, v17
	v_addc_co_u32_e64 v15, s[4:5], 0, v15, s[4:5]
	v_add_co_u32_e64 v14, s[4:5], 0, v14
	s_waitcnt lgkmcnt(0)
	v_addc_co_u32_e64 v15, s[4:5], v15, v16, s[4:5]
	v_cmp_eq_u32_e64 s[4:5], 0, v0
	v_cndmask_b32_e64 v15, v15, v31, s[4:5]
	v_cndmask_b32_e64 v14, v14, v30, s[4:5]
	ds_write_b64 v32, v[14:15]
	; wave barrier
	ds_read_b64 v[16:17], v32 offset:8
	s_waitcnt lgkmcnt(0)
	v_add_co_u32_e64 v14, s[4:5], v16, v14
	v_addc_co_u32_e64 v15, s[4:5], v17, v15, s[4:5]
	ds_write_b64 v32, v[14:15] offset:8
.LBB263_18:
	s_or_b64 exec, exec, s[18:19]
	v_mul_u32_u24_e32 v16, 48, v0
	v_cmp_ne_u32_e64 s[4:5], 0, v0
	v_pk_mov_b32 v[14:15], v[30:31], v[30:31] op_sel:[0,1]
	s_waitcnt lgkmcnt(0)
	s_barrier
	s_and_saveexec_b64 s[14:15], s[4:5]
	s_cbranch_execz .LBB263_20
; %bb.19:
	v_add_u32_e32 v0, -1, v0
	v_lshrrev_b32_e32 v14, 5, v0
	v_add_lshl_u32 v0, v14, v0, 3
	ds_read_b64 v[14:15], v0
.LBB263_20:
	s_or_b64 exec, exec, s[14:15]
	s_and_saveexec_b64 s[14:15], s[4:5]
	s_cbranch_execz .LBB263_22
; %bb.21:
	s_waitcnt lgkmcnt(0)
	v_add_co_u32_e64 v2, s[4:5], v14, v2
	v_addc_co_u32_e64 v3, s[4:5], v15, v3, s[4:5]
	v_add_co_u32_e64 v20, s[4:5], v2, v4
	v_addc_co_u32_e64 v1, s[4:5], v3, v5, s[4:5]
	;; [unrolled: 2-line block ×7, first 2 shown]
	;;#ASMSTART
	;;#ASMEND
.LBB263_22:
	s_or_b64 exec, exec, s[14:15]
	v_add_u32_e32 v4, v21, v16
	v_mov_b32_e32 v0, v20
	s_waitcnt lgkmcnt(0)
	s_barrier
	ds_write2_b64 v4, v[2:3], v[0:1] offset1:1
	ds_write2_b64 v4, v[18:19], v[24:25] offset0:2 offset1:3
	ds_write2_b64 v4, v[22:23], v[26:27] offset0:4 offset1:5
	ds_write_b64 v4, v[30:31] offset:48
	s_waitcnt lgkmcnt(0)
	s_barrier
	ds_read2st64_b64 v[8:11], v21 offset0:2 offset1:4
	ds_read2st64_b64 v[4:7], v21 offset0:6 offset1:8
	;; [unrolled: 1-line block ×3, first 2 shown]
	v_mov_b32_e32 v13, s17
	v_add_co_u32_e64 v12, s[4:5], s16, v21
	v_addc_co_u32_e64 v13, s[4:5], 0, v13, s[4:5]
	s_and_saveexec_b64 s[4:5], vcc
	s_cbranch_execnz .LBB263_30
; %bb.23:
	s_or_b64 exec, exec, s[4:5]
	s_and_saveexec_b64 s[4:5], s[0:1]
	s_cbranch_execnz .LBB263_31
.LBB263_24:
	s_or_b64 exec, exec, s[4:5]
	s_and_saveexec_b64 s[0:1], s[2:3]
	s_cbranch_execnz .LBB263_32
.LBB263_25:
	s_or_b64 exec, exec, s[0:1]
	s_and_saveexec_b64 s[0:1], s[12:13]
	s_cbranch_execnz .LBB263_33
.LBB263_26:
	s_or_b64 exec, exec, s[0:1]
	s_and_saveexec_b64 s[0:1], s[6:7]
	s_cbranch_execnz .LBB263_34
.LBB263_27:
	s_or_b64 exec, exec, s[0:1]
	s_and_saveexec_b64 s[0:1], s[8:9]
	s_cbranch_execnz .LBB263_35
.LBB263_28:
	s_or_b64 exec, exec, s[0:1]
	s_and_saveexec_b64 s[0:1], s[10:11]
	s_cbranch_execnz .LBB263_36
.LBB263_29:
	s_endpgm
.LBB263_30:
	ds_read_b64 v[14:15], v21
	s_waitcnt lgkmcnt(0)
	global_store_dwordx2 v[12:13], v[14:15], off
	s_or_b64 exec, exec, s[4:5]
	s_and_saveexec_b64 s[4:5], s[0:1]
	s_cbranch_execz .LBB263_24
.LBB263_31:
	s_waitcnt lgkmcnt(2)
	global_store_dwordx2 v[12:13], v[8:9], off offset:1024
	s_or_b64 exec, exec, s[4:5]
	s_and_saveexec_b64 s[0:1], s[2:3]
	s_cbranch_execz .LBB263_25
.LBB263_32:
	s_waitcnt lgkmcnt(2)
	global_store_dwordx2 v[12:13], v[10:11], off offset:2048
	s_or_b64 exec, exec, s[0:1]
	s_and_saveexec_b64 s[0:1], s[12:13]
	s_cbranch_execz .LBB263_26
.LBB263_33:
	s_waitcnt lgkmcnt(1)
	global_store_dwordx2 v[12:13], v[4:5], off offset:3072
	s_or_b64 exec, exec, s[0:1]
	s_and_saveexec_b64 s[0:1], s[6:7]
	s_cbranch_execz .LBB263_27
.LBB263_34:
	s_waitcnt lgkmcnt(1)
	v_add_co_u32_e32 v4, vcc, 0x1000, v12
	v_addc_co_u32_e32 v5, vcc, 0, v13, vcc
	global_store_dwordx2 v[4:5], v[6:7], off
	s_or_b64 exec, exec, s[0:1]
	s_and_saveexec_b64 s[0:1], s[8:9]
	s_cbranch_execz .LBB263_28
.LBB263_35:
	s_waitcnt lgkmcnt(1)
	v_add_co_u32_e32 v4, vcc, 0x1000, v12
	v_addc_co_u32_e32 v5, vcc, 0, v13, vcc
	s_waitcnt lgkmcnt(0)
	global_store_dwordx2 v[4:5], v[0:1], off offset:1024
	s_or_b64 exec, exec, s[0:1]
	s_and_saveexec_b64 s[0:1], s[10:11]
	s_cbranch_execz .LBB263_29
.LBB263_36:
	s_waitcnt lgkmcnt(0)
	v_add_co_u32_e32 v0, vcc, 0x1000, v12
	v_addc_co_u32_e32 v1, vcc, 0, v13, vcc
	global_store_dwordx2 v[0:1], v[2:3], off offset:2048
	s_endpgm
	.section	.rodata,"a",@progbits
	.p2align	6, 0x0
	.amdhsa_kernel _ZN7rocprim17ROCPRIM_400000_NS6detail17trampoline_kernelINS0_14default_configENS1_20scan_config_selectorIxEEZZNS1_9scan_implILNS1_25lookback_scan_determinismE0ELb0ELb0ES3_N6thrust23THRUST_200600_302600_NS6detail15normal_iteratorINS9_10device_ptrIxEEEESE_xNS9_4plusIxEExEEDaPvRmT3_T4_T5_mT6_P12ihipStream_tbENKUlT_T0_E_clISt17integral_constantIbLb0EEST_IbLb1EEEEDaSP_SQ_EUlSP_E0_NS1_11comp_targetILNS1_3genE4ELNS1_11target_archE910ELNS1_3gpuE8ELNS1_3repE0EEENS1_30default_config_static_selectorELNS0_4arch9wavefront6targetE1EEEvT1_
		.amdhsa_group_segment_fixed_size 7168
		.amdhsa_private_segment_fixed_size 0
		.amdhsa_kernarg_size 40
		.amdhsa_user_sgpr_count 6
		.amdhsa_user_sgpr_private_segment_buffer 1
		.amdhsa_user_sgpr_dispatch_ptr 0
		.amdhsa_user_sgpr_queue_ptr 0
		.amdhsa_user_sgpr_kernarg_segment_ptr 1
		.amdhsa_user_sgpr_dispatch_id 0
		.amdhsa_user_sgpr_flat_scratch_init 0
		.amdhsa_user_sgpr_kernarg_preload_length 0
		.amdhsa_user_sgpr_kernarg_preload_offset 0
		.amdhsa_user_sgpr_private_segment_size 0
		.amdhsa_uses_dynamic_stack 0
		.amdhsa_system_sgpr_private_segment_wavefront_offset 0
		.amdhsa_system_sgpr_workgroup_id_x 1
		.amdhsa_system_sgpr_workgroup_id_y 0
		.amdhsa_system_sgpr_workgroup_id_z 0
		.amdhsa_system_sgpr_workgroup_info 0
		.amdhsa_system_vgpr_workitem_id 0
		.amdhsa_next_free_vgpr 41
		.amdhsa_next_free_sgpr 22
		.amdhsa_accum_offset 44
		.amdhsa_reserve_vcc 1
		.amdhsa_reserve_flat_scratch 0
		.amdhsa_float_round_mode_32 0
		.amdhsa_float_round_mode_16_64 0
		.amdhsa_float_denorm_mode_32 3
		.amdhsa_float_denorm_mode_16_64 3
		.amdhsa_dx10_clamp 1
		.amdhsa_ieee_mode 1
		.amdhsa_fp16_overflow 0
		.amdhsa_tg_split 0
		.amdhsa_exception_fp_ieee_invalid_op 0
		.amdhsa_exception_fp_denorm_src 0
		.amdhsa_exception_fp_ieee_div_zero 0
		.amdhsa_exception_fp_ieee_overflow 0
		.amdhsa_exception_fp_ieee_underflow 0
		.amdhsa_exception_fp_ieee_inexact 0
		.amdhsa_exception_int_div_zero 0
	.end_amdhsa_kernel
	.section	.text._ZN7rocprim17ROCPRIM_400000_NS6detail17trampoline_kernelINS0_14default_configENS1_20scan_config_selectorIxEEZZNS1_9scan_implILNS1_25lookback_scan_determinismE0ELb0ELb0ES3_N6thrust23THRUST_200600_302600_NS6detail15normal_iteratorINS9_10device_ptrIxEEEESE_xNS9_4plusIxEExEEDaPvRmT3_T4_T5_mT6_P12ihipStream_tbENKUlT_T0_E_clISt17integral_constantIbLb0EEST_IbLb1EEEEDaSP_SQ_EUlSP_E0_NS1_11comp_targetILNS1_3genE4ELNS1_11target_archE910ELNS1_3gpuE8ELNS1_3repE0EEENS1_30default_config_static_selectorELNS0_4arch9wavefront6targetE1EEEvT1_,"axG",@progbits,_ZN7rocprim17ROCPRIM_400000_NS6detail17trampoline_kernelINS0_14default_configENS1_20scan_config_selectorIxEEZZNS1_9scan_implILNS1_25lookback_scan_determinismE0ELb0ELb0ES3_N6thrust23THRUST_200600_302600_NS6detail15normal_iteratorINS9_10device_ptrIxEEEESE_xNS9_4plusIxEExEEDaPvRmT3_T4_T5_mT6_P12ihipStream_tbENKUlT_T0_E_clISt17integral_constantIbLb0EEST_IbLb1EEEEDaSP_SQ_EUlSP_E0_NS1_11comp_targetILNS1_3genE4ELNS1_11target_archE910ELNS1_3gpuE8ELNS1_3repE0EEENS1_30default_config_static_selectorELNS0_4arch9wavefront6targetE1EEEvT1_,comdat
.Lfunc_end263:
	.size	_ZN7rocprim17ROCPRIM_400000_NS6detail17trampoline_kernelINS0_14default_configENS1_20scan_config_selectorIxEEZZNS1_9scan_implILNS1_25lookback_scan_determinismE0ELb0ELb0ES3_N6thrust23THRUST_200600_302600_NS6detail15normal_iteratorINS9_10device_ptrIxEEEESE_xNS9_4plusIxEExEEDaPvRmT3_T4_T5_mT6_P12ihipStream_tbENKUlT_T0_E_clISt17integral_constantIbLb0EEST_IbLb1EEEEDaSP_SQ_EUlSP_E0_NS1_11comp_targetILNS1_3genE4ELNS1_11target_archE910ELNS1_3gpuE8ELNS1_3repE0EEENS1_30default_config_static_selectorELNS0_4arch9wavefront6targetE1EEEvT1_, .Lfunc_end263-_ZN7rocprim17ROCPRIM_400000_NS6detail17trampoline_kernelINS0_14default_configENS1_20scan_config_selectorIxEEZZNS1_9scan_implILNS1_25lookback_scan_determinismE0ELb0ELb0ES3_N6thrust23THRUST_200600_302600_NS6detail15normal_iteratorINS9_10device_ptrIxEEEESE_xNS9_4plusIxEExEEDaPvRmT3_T4_T5_mT6_P12ihipStream_tbENKUlT_T0_E_clISt17integral_constantIbLb0EEST_IbLb1EEEEDaSP_SQ_EUlSP_E0_NS1_11comp_targetILNS1_3genE4ELNS1_11target_archE910ELNS1_3gpuE8ELNS1_3repE0EEENS1_30default_config_static_selectorELNS0_4arch9wavefront6targetE1EEEvT1_
                                        ; -- End function
	.section	.AMDGPU.csdata,"",@progbits
; Kernel info:
; codeLenInByte = 1804
; NumSgprs: 26
; NumVgprs: 41
; NumAgprs: 0
; TotalNumVgprs: 41
; ScratchSize: 0
; MemoryBound: 0
; FloatMode: 240
; IeeeMode: 1
; LDSByteSize: 7168 bytes/workgroup (compile time only)
; SGPRBlocks: 3
; VGPRBlocks: 5
; NumSGPRsForWavesPerEU: 26
; NumVGPRsForWavesPerEU: 41
; AccumOffset: 44
; Occupancy: 5
; WaveLimiterHint : 0
; COMPUTE_PGM_RSRC2:SCRATCH_EN: 0
; COMPUTE_PGM_RSRC2:USER_SGPR: 6
; COMPUTE_PGM_RSRC2:TRAP_HANDLER: 0
; COMPUTE_PGM_RSRC2:TGID_X_EN: 1
; COMPUTE_PGM_RSRC2:TGID_Y_EN: 0
; COMPUTE_PGM_RSRC2:TGID_Z_EN: 0
; COMPUTE_PGM_RSRC2:TIDIG_COMP_CNT: 0
; COMPUTE_PGM_RSRC3_GFX90A:ACCUM_OFFSET: 10
; COMPUTE_PGM_RSRC3_GFX90A:TG_SPLIT: 0
	.section	.text._ZN7rocprim17ROCPRIM_400000_NS6detail17trampoline_kernelINS0_14default_configENS1_20scan_config_selectorIxEEZZNS1_9scan_implILNS1_25lookback_scan_determinismE0ELb0ELb0ES3_N6thrust23THRUST_200600_302600_NS6detail15normal_iteratorINS9_10device_ptrIxEEEESE_xNS9_4plusIxEExEEDaPvRmT3_T4_T5_mT6_P12ihipStream_tbENKUlT_T0_E_clISt17integral_constantIbLb0EEST_IbLb1EEEEDaSP_SQ_EUlSP_E0_NS1_11comp_targetILNS1_3genE3ELNS1_11target_archE908ELNS1_3gpuE7ELNS1_3repE0EEENS1_30default_config_static_selectorELNS0_4arch9wavefront6targetE1EEEvT1_,"axG",@progbits,_ZN7rocprim17ROCPRIM_400000_NS6detail17trampoline_kernelINS0_14default_configENS1_20scan_config_selectorIxEEZZNS1_9scan_implILNS1_25lookback_scan_determinismE0ELb0ELb0ES3_N6thrust23THRUST_200600_302600_NS6detail15normal_iteratorINS9_10device_ptrIxEEEESE_xNS9_4plusIxEExEEDaPvRmT3_T4_T5_mT6_P12ihipStream_tbENKUlT_T0_E_clISt17integral_constantIbLb0EEST_IbLb1EEEEDaSP_SQ_EUlSP_E0_NS1_11comp_targetILNS1_3genE3ELNS1_11target_archE908ELNS1_3gpuE7ELNS1_3repE0EEENS1_30default_config_static_selectorELNS0_4arch9wavefront6targetE1EEEvT1_,comdat
	.protected	_ZN7rocprim17ROCPRIM_400000_NS6detail17trampoline_kernelINS0_14default_configENS1_20scan_config_selectorIxEEZZNS1_9scan_implILNS1_25lookback_scan_determinismE0ELb0ELb0ES3_N6thrust23THRUST_200600_302600_NS6detail15normal_iteratorINS9_10device_ptrIxEEEESE_xNS9_4plusIxEExEEDaPvRmT3_T4_T5_mT6_P12ihipStream_tbENKUlT_T0_E_clISt17integral_constantIbLb0EEST_IbLb1EEEEDaSP_SQ_EUlSP_E0_NS1_11comp_targetILNS1_3genE3ELNS1_11target_archE908ELNS1_3gpuE7ELNS1_3repE0EEENS1_30default_config_static_selectorELNS0_4arch9wavefront6targetE1EEEvT1_ ; -- Begin function _ZN7rocprim17ROCPRIM_400000_NS6detail17trampoline_kernelINS0_14default_configENS1_20scan_config_selectorIxEEZZNS1_9scan_implILNS1_25lookback_scan_determinismE0ELb0ELb0ES3_N6thrust23THRUST_200600_302600_NS6detail15normal_iteratorINS9_10device_ptrIxEEEESE_xNS9_4plusIxEExEEDaPvRmT3_T4_T5_mT6_P12ihipStream_tbENKUlT_T0_E_clISt17integral_constantIbLb0EEST_IbLb1EEEEDaSP_SQ_EUlSP_E0_NS1_11comp_targetILNS1_3genE3ELNS1_11target_archE908ELNS1_3gpuE7ELNS1_3repE0EEENS1_30default_config_static_selectorELNS0_4arch9wavefront6targetE1EEEvT1_
	.globl	_ZN7rocprim17ROCPRIM_400000_NS6detail17trampoline_kernelINS0_14default_configENS1_20scan_config_selectorIxEEZZNS1_9scan_implILNS1_25lookback_scan_determinismE0ELb0ELb0ES3_N6thrust23THRUST_200600_302600_NS6detail15normal_iteratorINS9_10device_ptrIxEEEESE_xNS9_4plusIxEExEEDaPvRmT3_T4_T5_mT6_P12ihipStream_tbENKUlT_T0_E_clISt17integral_constantIbLb0EEST_IbLb1EEEEDaSP_SQ_EUlSP_E0_NS1_11comp_targetILNS1_3genE3ELNS1_11target_archE908ELNS1_3gpuE7ELNS1_3repE0EEENS1_30default_config_static_selectorELNS0_4arch9wavefront6targetE1EEEvT1_
	.p2align	8
	.type	_ZN7rocprim17ROCPRIM_400000_NS6detail17trampoline_kernelINS0_14default_configENS1_20scan_config_selectorIxEEZZNS1_9scan_implILNS1_25lookback_scan_determinismE0ELb0ELb0ES3_N6thrust23THRUST_200600_302600_NS6detail15normal_iteratorINS9_10device_ptrIxEEEESE_xNS9_4plusIxEExEEDaPvRmT3_T4_T5_mT6_P12ihipStream_tbENKUlT_T0_E_clISt17integral_constantIbLb0EEST_IbLb1EEEEDaSP_SQ_EUlSP_E0_NS1_11comp_targetILNS1_3genE3ELNS1_11target_archE908ELNS1_3gpuE7ELNS1_3repE0EEENS1_30default_config_static_selectorELNS0_4arch9wavefront6targetE1EEEvT1_,@function
_ZN7rocprim17ROCPRIM_400000_NS6detail17trampoline_kernelINS0_14default_configENS1_20scan_config_selectorIxEEZZNS1_9scan_implILNS1_25lookback_scan_determinismE0ELb0ELb0ES3_N6thrust23THRUST_200600_302600_NS6detail15normal_iteratorINS9_10device_ptrIxEEEESE_xNS9_4plusIxEExEEDaPvRmT3_T4_T5_mT6_P12ihipStream_tbENKUlT_T0_E_clISt17integral_constantIbLb0EEST_IbLb1EEEEDaSP_SQ_EUlSP_E0_NS1_11comp_targetILNS1_3genE3ELNS1_11target_archE908ELNS1_3gpuE7ELNS1_3repE0EEENS1_30default_config_static_selectorELNS0_4arch9wavefront6targetE1EEEvT1_: ; @_ZN7rocprim17ROCPRIM_400000_NS6detail17trampoline_kernelINS0_14default_configENS1_20scan_config_selectorIxEEZZNS1_9scan_implILNS1_25lookback_scan_determinismE0ELb0ELb0ES3_N6thrust23THRUST_200600_302600_NS6detail15normal_iteratorINS9_10device_ptrIxEEEESE_xNS9_4plusIxEExEEDaPvRmT3_T4_T5_mT6_P12ihipStream_tbENKUlT_T0_E_clISt17integral_constantIbLb0EEST_IbLb1EEEEDaSP_SQ_EUlSP_E0_NS1_11comp_targetILNS1_3genE3ELNS1_11target_archE908ELNS1_3gpuE7ELNS1_3repE0EEENS1_30default_config_static_selectorELNS0_4arch9wavefront6targetE1EEEvT1_
; %bb.0:
	.section	.rodata,"a",@progbits
	.p2align	6, 0x0
	.amdhsa_kernel _ZN7rocprim17ROCPRIM_400000_NS6detail17trampoline_kernelINS0_14default_configENS1_20scan_config_selectorIxEEZZNS1_9scan_implILNS1_25lookback_scan_determinismE0ELb0ELb0ES3_N6thrust23THRUST_200600_302600_NS6detail15normal_iteratorINS9_10device_ptrIxEEEESE_xNS9_4plusIxEExEEDaPvRmT3_T4_T5_mT6_P12ihipStream_tbENKUlT_T0_E_clISt17integral_constantIbLb0EEST_IbLb1EEEEDaSP_SQ_EUlSP_E0_NS1_11comp_targetILNS1_3genE3ELNS1_11target_archE908ELNS1_3gpuE7ELNS1_3repE0EEENS1_30default_config_static_selectorELNS0_4arch9wavefront6targetE1EEEvT1_
		.amdhsa_group_segment_fixed_size 0
		.amdhsa_private_segment_fixed_size 0
		.amdhsa_kernarg_size 40
		.amdhsa_user_sgpr_count 6
		.amdhsa_user_sgpr_private_segment_buffer 1
		.amdhsa_user_sgpr_dispatch_ptr 0
		.amdhsa_user_sgpr_queue_ptr 0
		.amdhsa_user_sgpr_kernarg_segment_ptr 1
		.amdhsa_user_sgpr_dispatch_id 0
		.amdhsa_user_sgpr_flat_scratch_init 0
		.amdhsa_user_sgpr_kernarg_preload_length 0
		.amdhsa_user_sgpr_kernarg_preload_offset 0
		.amdhsa_user_sgpr_private_segment_size 0
		.amdhsa_uses_dynamic_stack 0
		.amdhsa_system_sgpr_private_segment_wavefront_offset 0
		.amdhsa_system_sgpr_workgroup_id_x 1
		.amdhsa_system_sgpr_workgroup_id_y 0
		.amdhsa_system_sgpr_workgroup_id_z 0
		.amdhsa_system_sgpr_workgroup_info 0
		.amdhsa_system_vgpr_workitem_id 0
		.amdhsa_next_free_vgpr 1
		.amdhsa_next_free_sgpr 0
		.amdhsa_accum_offset 4
		.amdhsa_reserve_vcc 0
		.amdhsa_reserve_flat_scratch 0
		.amdhsa_float_round_mode_32 0
		.amdhsa_float_round_mode_16_64 0
		.amdhsa_float_denorm_mode_32 3
		.amdhsa_float_denorm_mode_16_64 3
		.amdhsa_dx10_clamp 1
		.amdhsa_ieee_mode 1
		.amdhsa_fp16_overflow 0
		.amdhsa_tg_split 0
		.amdhsa_exception_fp_ieee_invalid_op 0
		.amdhsa_exception_fp_denorm_src 0
		.amdhsa_exception_fp_ieee_div_zero 0
		.amdhsa_exception_fp_ieee_overflow 0
		.amdhsa_exception_fp_ieee_underflow 0
		.amdhsa_exception_fp_ieee_inexact 0
		.amdhsa_exception_int_div_zero 0
	.end_amdhsa_kernel
	.section	.text._ZN7rocprim17ROCPRIM_400000_NS6detail17trampoline_kernelINS0_14default_configENS1_20scan_config_selectorIxEEZZNS1_9scan_implILNS1_25lookback_scan_determinismE0ELb0ELb0ES3_N6thrust23THRUST_200600_302600_NS6detail15normal_iteratorINS9_10device_ptrIxEEEESE_xNS9_4plusIxEExEEDaPvRmT3_T4_T5_mT6_P12ihipStream_tbENKUlT_T0_E_clISt17integral_constantIbLb0EEST_IbLb1EEEEDaSP_SQ_EUlSP_E0_NS1_11comp_targetILNS1_3genE3ELNS1_11target_archE908ELNS1_3gpuE7ELNS1_3repE0EEENS1_30default_config_static_selectorELNS0_4arch9wavefront6targetE1EEEvT1_,"axG",@progbits,_ZN7rocprim17ROCPRIM_400000_NS6detail17trampoline_kernelINS0_14default_configENS1_20scan_config_selectorIxEEZZNS1_9scan_implILNS1_25lookback_scan_determinismE0ELb0ELb0ES3_N6thrust23THRUST_200600_302600_NS6detail15normal_iteratorINS9_10device_ptrIxEEEESE_xNS9_4plusIxEExEEDaPvRmT3_T4_T5_mT6_P12ihipStream_tbENKUlT_T0_E_clISt17integral_constantIbLb0EEST_IbLb1EEEEDaSP_SQ_EUlSP_E0_NS1_11comp_targetILNS1_3genE3ELNS1_11target_archE908ELNS1_3gpuE7ELNS1_3repE0EEENS1_30default_config_static_selectorELNS0_4arch9wavefront6targetE1EEEvT1_,comdat
.Lfunc_end264:
	.size	_ZN7rocprim17ROCPRIM_400000_NS6detail17trampoline_kernelINS0_14default_configENS1_20scan_config_selectorIxEEZZNS1_9scan_implILNS1_25lookback_scan_determinismE0ELb0ELb0ES3_N6thrust23THRUST_200600_302600_NS6detail15normal_iteratorINS9_10device_ptrIxEEEESE_xNS9_4plusIxEExEEDaPvRmT3_T4_T5_mT6_P12ihipStream_tbENKUlT_T0_E_clISt17integral_constantIbLb0EEST_IbLb1EEEEDaSP_SQ_EUlSP_E0_NS1_11comp_targetILNS1_3genE3ELNS1_11target_archE908ELNS1_3gpuE7ELNS1_3repE0EEENS1_30default_config_static_selectorELNS0_4arch9wavefront6targetE1EEEvT1_, .Lfunc_end264-_ZN7rocprim17ROCPRIM_400000_NS6detail17trampoline_kernelINS0_14default_configENS1_20scan_config_selectorIxEEZZNS1_9scan_implILNS1_25lookback_scan_determinismE0ELb0ELb0ES3_N6thrust23THRUST_200600_302600_NS6detail15normal_iteratorINS9_10device_ptrIxEEEESE_xNS9_4plusIxEExEEDaPvRmT3_T4_T5_mT6_P12ihipStream_tbENKUlT_T0_E_clISt17integral_constantIbLb0EEST_IbLb1EEEEDaSP_SQ_EUlSP_E0_NS1_11comp_targetILNS1_3genE3ELNS1_11target_archE908ELNS1_3gpuE7ELNS1_3repE0EEENS1_30default_config_static_selectorELNS0_4arch9wavefront6targetE1EEEvT1_
                                        ; -- End function
	.section	.AMDGPU.csdata,"",@progbits
; Kernel info:
; codeLenInByte = 0
; NumSgprs: 4
; NumVgprs: 0
; NumAgprs: 0
; TotalNumVgprs: 0
; ScratchSize: 0
; MemoryBound: 0
; FloatMode: 240
; IeeeMode: 1
; LDSByteSize: 0 bytes/workgroup (compile time only)
; SGPRBlocks: 0
; VGPRBlocks: 0
; NumSGPRsForWavesPerEU: 4
; NumVGPRsForWavesPerEU: 1
; AccumOffset: 4
; Occupancy: 8
; WaveLimiterHint : 0
; COMPUTE_PGM_RSRC2:SCRATCH_EN: 0
; COMPUTE_PGM_RSRC2:USER_SGPR: 6
; COMPUTE_PGM_RSRC2:TRAP_HANDLER: 0
; COMPUTE_PGM_RSRC2:TGID_X_EN: 1
; COMPUTE_PGM_RSRC2:TGID_Y_EN: 0
; COMPUTE_PGM_RSRC2:TGID_Z_EN: 0
; COMPUTE_PGM_RSRC2:TIDIG_COMP_CNT: 0
; COMPUTE_PGM_RSRC3_GFX90A:ACCUM_OFFSET: 0
; COMPUTE_PGM_RSRC3_GFX90A:TG_SPLIT: 0
	.section	.text._ZN7rocprim17ROCPRIM_400000_NS6detail17trampoline_kernelINS0_14default_configENS1_20scan_config_selectorIxEEZZNS1_9scan_implILNS1_25lookback_scan_determinismE0ELb0ELb0ES3_N6thrust23THRUST_200600_302600_NS6detail15normal_iteratorINS9_10device_ptrIxEEEESE_xNS9_4plusIxEExEEDaPvRmT3_T4_T5_mT6_P12ihipStream_tbENKUlT_T0_E_clISt17integral_constantIbLb0EEST_IbLb1EEEEDaSP_SQ_EUlSP_E0_NS1_11comp_targetILNS1_3genE2ELNS1_11target_archE906ELNS1_3gpuE6ELNS1_3repE0EEENS1_30default_config_static_selectorELNS0_4arch9wavefront6targetE1EEEvT1_,"axG",@progbits,_ZN7rocprim17ROCPRIM_400000_NS6detail17trampoline_kernelINS0_14default_configENS1_20scan_config_selectorIxEEZZNS1_9scan_implILNS1_25lookback_scan_determinismE0ELb0ELb0ES3_N6thrust23THRUST_200600_302600_NS6detail15normal_iteratorINS9_10device_ptrIxEEEESE_xNS9_4plusIxEExEEDaPvRmT3_T4_T5_mT6_P12ihipStream_tbENKUlT_T0_E_clISt17integral_constantIbLb0EEST_IbLb1EEEEDaSP_SQ_EUlSP_E0_NS1_11comp_targetILNS1_3genE2ELNS1_11target_archE906ELNS1_3gpuE6ELNS1_3repE0EEENS1_30default_config_static_selectorELNS0_4arch9wavefront6targetE1EEEvT1_,comdat
	.protected	_ZN7rocprim17ROCPRIM_400000_NS6detail17trampoline_kernelINS0_14default_configENS1_20scan_config_selectorIxEEZZNS1_9scan_implILNS1_25lookback_scan_determinismE0ELb0ELb0ES3_N6thrust23THRUST_200600_302600_NS6detail15normal_iteratorINS9_10device_ptrIxEEEESE_xNS9_4plusIxEExEEDaPvRmT3_T4_T5_mT6_P12ihipStream_tbENKUlT_T0_E_clISt17integral_constantIbLb0EEST_IbLb1EEEEDaSP_SQ_EUlSP_E0_NS1_11comp_targetILNS1_3genE2ELNS1_11target_archE906ELNS1_3gpuE6ELNS1_3repE0EEENS1_30default_config_static_selectorELNS0_4arch9wavefront6targetE1EEEvT1_ ; -- Begin function _ZN7rocprim17ROCPRIM_400000_NS6detail17trampoline_kernelINS0_14default_configENS1_20scan_config_selectorIxEEZZNS1_9scan_implILNS1_25lookback_scan_determinismE0ELb0ELb0ES3_N6thrust23THRUST_200600_302600_NS6detail15normal_iteratorINS9_10device_ptrIxEEEESE_xNS9_4plusIxEExEEDaPvRmT3_T4_T5_mT6_P12ihipStream_tbENKUlT_T0_E_clISt17integral_constantIbLb0EEST_IbLb1EEEEDaSP_SQ_EUlSP_E0_NS1_11comp_targetILNS1_3genE2ELNS1_11target_archE906ELNS1_3gpuE6ELNS1_3repE0EEENS1_30default_config_static_selectorELNS0_4arch9wavefront6targetE1EEEvT1_
	.globl	_ZN7rocprim17ROCPRIM_400000_NS6detail17trampoline_kernelINS0_14default_configENS1_20scan_config_selectorIxEEZZNS1_9scan_implILNS1_25lookback_scan_determinismE0ELb0ELb0ES3_N6thrust23THRUST_200600_302600_NS6detail15normal_iteratorINS9_10device_ptrIxEEEESE_xNS9_4plusIxEExEEDaPvRmT3_T4_T5_mT6_P12ihipStream_tbENKUlT_T0_E_clISt17integral_constantIbLb0EEST_IbLb1EEEEDaSP_SQ_EUlSP_E0_NS1_11comp_targetILNS1_3genE2ELNS1_11target_archE906ELNS1_3gpuE6ELNS1_3repE0EEENS1_30default_config_static_selectorELNS0_4arch9wavefront6targetE1EEEvT1_
	.p2align	8
	.type	_ZN7rocprim17ROCPRIM_400000_NS6detail17trampoline_kernelINS0_14default_configENS1_20scan_config_selectorIxEEZZNS1_9scan_implILNS1_25lookback_scan_determinismE0ELb0ELb0ES3_N6thrust23THRUST_200600_302600_NS6detail15normal_iteratorINS9_10device_ptrIxEEEESE_xNS9_4plusIxEExEEDaPvRmT3_T4_T5_mT6_P12ihipStream_tbENKUlT_T0_E_clISt17integral_constantIbLb0EEST_IbLb1EEEEDaSP_SQ_EUlSP_E0_NS1_11comp_targetILNS1_3genE2ELNS1_11target_archE906ELNS1_3gpuE6ELNS1_3repE0EEENS1_30default_config_static_selectorELNS0_4arch9wavefront6targetE1EEEvT1_,@function
_ZN7rocprim17ROCPRIM_400000_NS6detail17trampoline_kernelINS0_14default_configENS1_20scan_config_selectorIxEEZZNS1_9scan_implILNS1_25lookback_scan_determinismE0ELb0ELb0ES3_N6thrust23THRUST_200600_302600_NS6detail15normal_iteratorINS9_10device_ptrIxEEEESE_xNS9_4plusIxEExEEDaPvRmT3_T4_T5_mT6_P12ihipStream_tbENKUlT_T0_E_clISt17integral_constantIbLb0EEST_IbLb1EEEEDaSP_SQ_EUlSP_E0_NS1_11comp_targetILNS1_3genE2ELNS1_11target_archE906ELNS1_3gpuE6ELNS1_3repE0EEENS1_30default_config_static_selectorELNS0_4arch9wavefront6targetE1EEEvT1_: ; @_ZN7rocprim17ROCPRIM_400000_NS6detail17trampoline_kernelINS0_14default_configENS1_20scan_config_selectorIxEEZZNS1_9scan_implILNS1_25lookback_scan_determinismE0ELb0ELb0ES3_N6thrust23THRUST_200600_302600_NS6detail15normal_iteratorINS9_10device_ptrIxEEEESE_xNS9_4plusIxEExEEDaPvRmT3_T4_T5_mT6_P12ihipStream_tbENKUlT_T0_E_clISt17integral_constantIbLb0EEST_IbLb1EEEEDaSP_SQ_EUlSP_E0_NS1_11comp_targetILNS1_3genE2ELNS1_11target_archE906ELNS1_3gpuE6ELNS1_3repE0EEENS1_30default_config_static_selectorELNS0_4arch9wavefront6targetE1EEEvT1_
; %bb.0:
	.section	.rodata,"a",@progbits
	.p2align	6, 0x0
	.amdhsa_kernel _ZN7rocprim17ROCPRIM_400000_NS6detail17trampoline_kernelINS0_14default_configENS1_20scan_config_selectorIxEEZZNS1_9scan_implILNS1_25lookback_scan_determinismE0ELb0ELb0ES3_N6thrust23THRUST_200600_302600_NS6detail15normal_iteratorINS9_10device_ptrIxEEEESE_xNS9_4plusIxEExEEDaPvRmT3_T4_T5_mT6_P12ihipStream_tbENKUlT_T0_E_clISt17integral_constantIbLb0EEST_IbLb1EEEEDaSP_SQ_EUlSP_E0_NS1_11comp_targetILNS1_3genE2ELNS1_11target_archE906ELNS1_3gpuE6ELNS1_3repE0EEENS1_30default_config_static_selectorELNS0_4arch9wavefront6targetE1EEEvT1_
		.amdhsa_group_segment_fixed_size 0
		.amdhsa_private_segment_fixed_size 0
		.amdhsa_kernarg_size 40
		.amdhsa_user_sgpr_count 6
		.amdhsa_user_sgpr_private_segment_buffer 1
		.amdhsa_user_sgpr_dispatch_ptr 0
		.amdhsa_user_sgpr_queue_ptr 0
		.amdhsa_user_sgpr_kernarg_segment_ptr 1
		.amdhsa_user_sgpr_dispatch_id 0
		.amdhsa_user_sgpr_flat_scratch_init 0
		.amdhsa_user_sgpr_kernarg_preload_length 0
		.amdhsa_user_sgpr_kernarg_preload_offset 0
		.amdhsa_user_sgpr_private_segment_size 0
		.amdhsa_uses_dynamic_stack 0
		.amdhsa_system_sgpr_private_segment_wavefront_offset 0
		.amdhsa_system_sgpr_workgroup_id_x 1
		.amdhsa_system_sgpr_workgroup_id_y 0
		.amdhsa_system_sgpr_workgroup_id_z 0
		.amdhsa_system_sgpr_workgroup_info 0
		.amdhsa_system_vgpr_workitem_id 0
		.amdhsa_next_free_vgpr 1
		.amdhsa_next_free_sgpr 0
		.amdhsa_accum_offset 4
		.amdhsa_reserve_vcc 0
		.amdhsa_reserve_flat_scratch 0
		.amdhsa_float_round_mode_32 0
		.amdhsa_float_round_mode_16_64 0
		.amdhsa_float_denorm_mode_32 3
		.amdhsa_float_denorm_mode_16_64 3
		.amdhsa_dx10_clamp 1
		.amdhsa_ieee_mode 1
		.amdhsa_fp16_overflow 0
		.amdhsa_tg_split 0
		.amdhsa_exception_fp_ieee_invalid_op 0
		.amdhsa_exception_fp_denorm_src 0
		.amdhsa_exception_fp_ieee_div_zero 0
		.amdhsa_exception_fp_ieee_overflow 0
		.amdhsa_exception_fp_ieee_underflow 0
		.amdhsa_exception_fp_ieee_inexact 0
		.amdhsa_exception_int_div_zero 0
	.end_amdhsa_kernel
	.section	.text._ZN7rocprim17ROCPRIM_400000_NS6detail17trampoline_kernelINS0_14default_configENS1_20scan_config_selectorIxEEZZNS1_9scan_implILNS1_25lookback_scan_determinismE0ELb0ELb0ES3_N6thrust23THRUST_200600_302600_NS6detail15normal_iteratorINS9_10device_ptrIxEEEESE_xNS9_4plusIxEExEEDaPvRmT3_T4_T5_mT6_P12ihipStream_tbENKUlT_T0_E_clISt17integral_constantIbLb0EEST_IbLb1EEEEDaSP_SQ_EUlSP_E0_NS1_11comp_targetILNS1_3genE2ELNS1_11target_archE906ELNS1_3gpuE6ELNS1_3repE0EEENS1_30default_config_static_selectorELNS0_4arch9wavefront6targetE1EEEvT1_,"axG",@progbits,_ZN7rocprim17ROCPRIM_400000_NS6detail17trampoline_kernelINS0_14default_configENS1_20scan_config_selectorIxEEZZNS1_9scan_implILNS1_25lookback_scan_determinismE0ELb0ELb0ES3_N6thrust23THRUST_200600_302600_NS6detail15normal_iteratorINS9_10device_ptrIxEEEESE_xNS9_4plusIxEExEEDaPvRmT3_T4_T5_mT6_P12ihipStream_tbENKUlT_T0_E_clISt17integral_constantIbLb0EEST_IbLb1EEEEDaSP_SQ_EUlSP_E0_NS1_11comp_targetILNS1_3genE2ELNS1_11target_archE906ELNS1_3gpuE6ELNS1_3repE0EEENS1_30default_config_static_selectorELNS0_4arch9wavefront6targetE1EEEvT1_,comdat
.Lfunc_end265:
	.size	_ZN7rocprim17ROCPRIM_400000_NS6detail17trampoline_kernelINS0_14default_configENS1_20scan_config_selectorIxEEZZNS1_9scan_implILNS1_25lookback_scan_determinismE0ELb0ELb0ES3_N6thrust23THRUST_200600_302600_NS6detail15normal_iteratorINS9_10device_ptrIxEEEESE_xNS9_4plusIxEExEEDaPvRmT3_T4_T5_mT6_P12ihipStream_tbENKUlT_T0_E_clISt17integral_constantIbLb0EEST_IbLb1EEEEDaSP_SQ_EUlSP_E0_NS1_11comp_targetILNS1_3genE2ELNS1_11target_archE906ELNS1_3gpuE6ELNS1_3repE0EEENS1_30default_config_static_selectorELNS0_4arch9wavefront6targetE1EEEvT1_, .Lfunc_end265-_ZN7rocprim17ROCPRIM_400000_NS6detail17trampoline_kernelINS0_14default_configENS1_20scan_config_selectorIxEEZZNS1_9scan_implILNS1_25lookback_scan_determinismE0ELb0ELb0ES3_N6thrust23THRUST_200600_302600_NS6detail15normal_iteratorINS9_10device_ptrIxEEEESE_xNS9_4plusIxEExEEDaPvRmT3_T4_T5_mT6_P12ihipStream_tbENKUlT_T0_E_clISt17integral_constantIbLb0EEST_IbLb1EEEEDaSP_SQ_EUlSP_E0_NS1_11comp_targetILNS1_3genE2ELNS1_11target_archE906ELNS1_3gpuE6ELNS1_3repE0EEENS1_30default_config_static_selectorELNS0_4arch9wavefront6targetE1EEEvT1_
                                        ; -- End function
	.section	.AMDGPU.csdata,"",@progbits
; Kernel info:
; codeLenInByte = 0
; NumSgprs: 4
; NumVgprs: 0
; NumAgprs: 0
; TotalNumVgprs: 0
; ScratchSize: 0
; MemoryBound: 0
; FloatMode: 240
; IeeeMode: 1
; LDSByteSize: 0 bytes/workgroup (compile time only)
; SGPRBlocks: 0
; VGPRBlocks: 0
; NumSGPRsForWavesPerEU: 4
; NumVGPRsForWavesPerEU: 1
; AccumOffset: 4
; Occupancy: 8
; WaveLimiterHint : 0
; COMPUTE_PGM_RSRC2:SCRATCH_EN: 0
; COMPUTE_PGM_RSRC2:USER_SGPR: 6
; COMPUTE_PGM_RSRC2:TRAP_HANDLER: 0
; COMPUTE_PGM_RSRC2:TGID_X_EN: 1
; COMPUTE_PGM_RSRC2:TGID_Y_EN: 0
; COMPUTE_PGM_RSRC2:TGID_Z_EN: 0
; COMPUTE_PGM_RSRC2:TIDIG_COMP_CNT: 0
; COMPUTE_PGM_RSRC3_GFX90A:ACCUM_OFFSET: 0
; COMPUTE_PGM_RSRC3_GFX90A:TG_SPLIT: 0
	.section	.text._ZN7rocprim17ROCPRIM_400000_NS6detail17trampoline_kernelINS0_14default_configENS1_20scan_config_selectorIxEEZZNS1_9scan_implILNS1_25lookback_scan_determinismE0ELb0ELb0ES3_N6thrust23THRUST_200600_302600_NS6detail15normal_iteratorINS9_10device_ptrIxEEEESE_xNS9_4plusIxEExEEDaPvRmT3_T4_T5_mT6_P12ihipStream_tbENKUlT_T0_E_clISt17integral_constantIbLb0EEST_IbLb1EEEEDaSP_SQ_EUlSP_E0_NS1_11comp_targetILNS1_3genE10ELNS1_11target_archE1201ELNS1_3gpuE5ELNS1_3repE0EEENS1_30default_config_static_selectorELNS0_4arch9wavefront6targetE1EEEvT1_,"axG",@progbits,_ZN7rocprim17ROCPRIM_400000_NS6detail17trampoline_kernelINS0_14default_configENS1_20scan_config_selectorIxEEZZNS1_9scan_implILNS1_25lookback_scan_determinismE0ELb0ELb0ES3_N6thrust23THRUST_200600_302600_NS6detail15normal_iteratorINS9_10device_ptrIxEEEESE_xNS9_4plusIxEExEEDaPvRmT3_T4_T5_mT6_P12ihipStream_tbENKUlT_T0_E_clISt17integral_constantIbLb0EEST_IbLb1EEEEDaSP_SQ_EUlSP_E0_NS1_11comp_targetILNS1_3genE10ELNS1_11target_archE1201ELNS1_3gpuE5ELNS1_3repE0EEENS1_30default_config_static_selectorELNS0_4arch9wavefront6targetE1EEEvT1_,comdat
	.protected	_ZN7rocprim17ROCPRIM_400000_NS6detail17trampoline_kernelINS0_14default_configENS1_20scan_config_selectorIxEEZZNS1_9scan_implILNS1_25lookback_scan_determinismE0ELb0ELb0ES3_N6thrust23THRUST_200600_302600_NS6detail15normal_iteratorINS9_10device_ptrIxEEEESE_xNS9_4plusIxEExEEDaPvRmT3_T4_T5_mT6_P12ihipStream_tbENKUlT_T0_E_clISt17integral_constantIbLb0EEST_IbLb1EEEEDaSP_SQ_EUlSP_E0_NS1_11comp_targetILNS1_3genE10ELNS1_11target_archE1201ELNS1_3gpuE5ELNS1_3repE0EEENS1_30default_config_static_selectorELNS0_4arch9wavefront6targetE1EEEvT1_ ; -- Begin function _ZN7rocprim17ROCPRIM_400000_NS6detail17trampoline_kernelINS0_14default_configENS1_20scan_config_selectorIxEEZZNS1_9scan_implILNS1_25lookback_scan_determinismE0ELb0ELb0ES3_N6thrust23THRUST_200600_302600_NS6detail15normal_iteratorINS9_10device_ptrIxEEEESE_xNS9_4plusIxEExEEDaPvRmT3_T4_T5_mT6_P12ihipStream_tbENKUlT_T0_E_clISt17integral_constantIbLb0EEST_IbLb1EEEEDaSP_SQ_EUlSP_E0_NS1_11comp_targetILNS1_3genE10ELNS1_11target_archE1201ELNS1_3gpuE5ELNS1_3repE0EEENS1_30default_config_static_selectorELNS0_4arch9wavefront6targetE1EEEvT1_
	.globl	_ZN7rocprim17ROCPRIM_400000_NS6detail17trampoline_kernelINS0_14default_configENS1_20scan_config_selectorIxEEZZNS1_9scan_implILNS1_25lookback_scan_determinismE0ELb0ELb0ES3_N6thrust23THRUST_200600_302600_NS6detail15normal_iteratorINS9_10device_ptrIxEEEESE_xNS9_4plusIxEExEEDaPvRmT3_T4_T5_mT6_P12ihipStream_tbENKUlT_T0_E_clISt17integral_constantIbLb0EEST_IbLb1EEEEDaSP_SQ_EUlSP_E0_NS1_11comp_targetILNS1_3genE10ELNS1_11target_archE1201ELNS1_3gpuE5ELNS1_3repE0EEENS1_30default_config_static_selectorELNS0_4arch9wavefront6targetE1EEEvT1_
	.p2align	8
	.type	_ZN7rocprim17ROCPRIM_400000_NS6detail17trampoline_kernelINS0_14default_configENS1_20scan_config_selectorIxEEZZNS1_9scan_implILNS1_25lookback_scan_determinismE0ELb0ELb0ES3_N6thrust23THRUST_200600_302600_NS6detail15normal_iteratorINS9_10device_ptrIxEEEESE_xNS9_4plusIxEExEEDaPvRmT3_T4_T5_mT6_P12ihipStream_tbENKUlT_T0_E_clISt17integral_constantIbLb0EEST_IbLb1EEEEDaSP_SQ_EUlSP_E0_NS1_11comp_targetILNS1_3genE10ELNS1_11target_archE1201ELNS1_3gpuE5ELNS1_3repE0EEENS1_30default_config_static_selectorELNS0_4arch9wavefront6targetE1EEEvT1_,@function
_ZN7rocprim17ROCPRIM_400000_NS6detail17trampoline_kernelINS0_14default_configENS1_20scan_config_selectorIxEEZZNS1_9scan_implILNS1_25lookback_scan_determinismE0ELb0ELb0ES3_N6thrust23THRUST_200600_302600_NS6detail15normal_iteratorINS9_10device_ptrIxEEEESE_xNS9_4plusIxEExEEDaPvRmT3_T4_T5_mT6_P12ihipStream_tbENKUlT_T0_E_clISt17integral_constantIbLb0EEST_IbLb1EEEEDaSP_SQ_EUlSP_E0_NS1_11comp_targetILNS1_3genE10ELNS1_11target_archE1201ELNS1_3gpuE5ELNS1_3repE0EEENS1_30default_config_static_selectorELNS0_4arch9wavefront6targetE1EEEvT1_: ; @_ZN7rocprim17ROCPRIM_400000_NS6detail17trampoline_kernelINS0_14default_configENS1_20scan_config_selectorIxEEZZNS1_9scan_implILNS1_25lookback_scan_determinismE0ELb0ELb0ES3_N6thrust23THRUST_200600_302600_NS6detail15normal_iteratorINS9_10device_ptrIxEEEESE_xNS9_4plusIxEExEEDaPvRmT3_T4_T5_mT6_P12ihipStream_tbENKUlT_T0_E_clISt17integral_constantIbLb0EEST_IbLb1EEEEDaSP_SQ_EUlSP_E0_NS1_11comp_targetILNS1_3genE10ELNS1_11target_archE1201ELNS1_3gpuE5ELNS1_3repE0EEENS1_30default_config_static_selectorELNS0_4arch9wavefront6targetE1EEEvT1_
; %bb.0:
	.section	.rodata,"a",@progbits
	.p2align	6, 0x0
	.amdhsa_kernel _ZN7rocprim17ROCPRIM_400000_NS6detail17trampoline_kernelINS0_14default_configENS1_20scan_config_selectorIxEEZZNS1_9scan_implILNS1_25lookback_scan_determinismE0ELb0ELb0ES3_N6thrust23THRUST_200600_302600_NS6detail15normal_iteratorINS9_10device_ptrIxEEEESE_xNS9_4plusIxEExEEDaPvRmT3_T4_T5_mT6_P12ihipStream_tbENKUlT_T0_E_clISt17integral_constantIbLb0EEST_IbLb1EEEEDaSP_SQ_EUlSP_E0_NS1_11comp_targetILNS1_3genE10ELNS1_11target_archE1201ELNS1_3gpuE5ELNS1_3repE0EEENS1_30default_config_static_selectorELNS0_4arch9wavefront6targetE1EEEvT1_
		.amdhsa_group_segment_fixed_size 0
		.amdhsa_private_segment_fixed_size 0
		.amdhsa_kernarg_size 40
		.amdhsa_user_sgpr_count 6
		.amdhsa_user_sgpr_private_segment_buffer 1
		.amdhsa_user_sgpr_dispatch_ptr 0
		.amdhsa_user_sgpr_queue_ptr 0
		.amdhsa_user_sgpr_kernarg_segment_ptr 1
		.amdhsa_user_sgpr_dispatch_id 0
		.amdhsa_user_sgpr_flat_scratch_init 0
		.amdhsa_user_sgpr_kernarg_preload_length 0
		.amdhsa_user_sgpr_kernarg_preload_offset 0
		.amdhsa_user_sgpr_private_segment_size 0
		.amdhsa_uses_dynamic_stack 0
		.amdhsa_system_sgpr_private_segment_wavefront_offset 0
		.amdhsa_system_sgpr_workgroup_id_x 1
		.amdhsa_system_sgpr_workgroup_id_y 0
		.amdhsa_system_sgpr_workgroup_id_z 0
		.amdhsa_system_sgpr_workgroup_info 0
		.amdhsa_system_vgpr_workitem_id 0
		.amdhsa_next_free_vgpr 1
		.amdhsa_next_free_sgpr 0
		.amdhsa_accum_offset 4
		.amdhsa_reserve_vcc 0
		.amdhsa_reserve_flat_scratch 0
		.amdhsa_float_round_mode_32 0
		.amdhsa_float_round_mode_16_64 0
		.amdhsa_float_denorm_mode_32 3
		.amdhsa_float_denorm_mode_16_64 3
		.amdhsa_dx10_clamp 1
		.amdhsa_ieee_mode 1
		.amdhsa_fp16_overflow 0
		.amdhsa_tg_split 0
		.amdhsa_exception_fp_ieee_invalid_op 0
		.amdhsa_exception_fp_denorm_src 0
		.amdhsa_exception_fp_ieee_div_zero 0
		.amdhsa_exception_fp_ieee_overflow 0
		.amdhsa_exception_fp_ieee_underflow 0
		.amdhsa_exception_fp_ieee_inexact 0
		.amdhsa_exception_int_div_zero 0
	.end_amdhsa_kernel
	.section	.text._ZN7rocprim17ROCPRIM_400000_NS6detail17trampoline_kernelINS0_14default_configENS1_20scan_config_selectorIxEEZZNS1_9scan_implILNS1_25lookback_scan_determinismE0ELb0ELb0ES3_N6thrust23THRUST_200600_302600_NS6detail15normal_iteratorINS9_10device_ptrIxEEEESE_xNS9_4plusIxEExEEDaPvRmT3_T4_T5_mT6_P12ihipStream_tbENKUlT_T0_E_clISt17integral_constantIbLb0EEST_IbLb1EEEEDaSP_SQ_EUlSP_E0_NS1_11comp_targetILNS1_3genE10ELNS1_11target_archE1201ELNS1_3gpuE5ELNS1_3repE0EEENS1_30default_config_static_selectorELNS0_4arch9wavefront6targetE1EEEvT1_,"axG",@progbits,_ZN7rocprim17ROCPRIM_400000_NS6detail17trampoline_kernelINS0_14default_configENS1_20scan_config_selectorIxEEZZNS1_9scan_implILNS1_25lookback_scan_determinismE0ELb0ELb0ES3_N6thrust23THRUST_200600_302600_NS6detail15normal_iteratorINS9_10device_ptrIxEEEESE_xNS9_4plusIxEExEEDaPvRmT3_T4_T5_mT6_P12ihipStream_tbENKUlT_T0_E_clISt17integral_constantIbLb0EEST_IbLb1EEEEDaSP_SQ_EUlSP_E0_NS1_11comp_targetILNS1_3genE10ELNS1_11target_archE1201ELNS1_3gpuE5ELNS1_3repE0EEENS1_30default_config_static_selectorELNS0_4arch9wavefront6targetE1EEEvT1_,comdat
.Lfunc_end266:
	.size	_ZN7rocprim17ROCPRIM_400000_NS6detail17trampoline_kernelINS0_14default_configENS1_20scan_config_selectorIxEEZZNS1_9scan_implILNS1_25lookback_scan_determinismE0ELb0ELb0ES3_N6thrust23THRUST_200600_302600_NS6detail15normal_iteratorINS9_10device_ptrIxEEEESE_xNS9_4plusIxEExEEDaPvRmT3_T4_T5_mT6_P12ihipStream_tbENKUlT_T0_E_clISt17integral_constantIbLb0EEST_IbLb1EEEEDaSP_SQ_EUlSP_E0_NS1_11comp_targetILNS1_3genE10ELNS1_11target_archE1201ELNS1_3gpuE5ELNS1_3repE0EEENS1_30default_config_static_selectorELNS0_4arch9wavefront6targetE1EEEvT1_, .Lfunc_end266-_ZN7rocprim17ROCPRIM_400000_NS6detail17trampoline_kernelINS0_14default_configENS1_20scan_config_selectorIxEEZZNS1_9scan_implILNS1_25lookback_scan_determinismE0ELb0ELb0ES3_N6thrust23THRUST_200600_302600_NS6detail15normal_iteratorINS9_10device_ptrIxEEEESE_xNS9_4plusIxEExEEDaPvRmT3_T4_T5_mT6_P12ihipStream_tbENKUlT_T0_E_clISt17integral_constantIbLb0EEST_IbLb1EEEEDaSP_SQ_EUlSP_E0_NS1_11comp_targetILNS1_3genE10ELNS1_11target_archE1201ELNS1_3gpuE5ELNS1_3repE0EEENS1_30default_config_static_selectorELNS0_4arch9wavefront6targetE1EEEvT1_
                                        ; -- End function
	.section	.AMDGPU.csdata,"",@progbits
; Kernel info:
; codeLenInByte = 0
; NumSgprs: 4
; NumVgprs: 0
; NumAgprs: 0
; TotalNumVgprs: 0
; ScratchSize: 0
; MemoryBound: 0
; FloatMode: 240
; IeeeMode: 1
; LDSByteSize: 0 bytes/workgroup (compile time only)
; SGPRBlocks: 0
; VGPRBlocks: 0
; NumSGPRsForWavesPerEU: 4
; NumVGPRsForWavesPerEU: 1
; AccumOffset: 4
; Occupancy: 8
; WaveLimiterHint : 0
; COMPUTE_PGM_RSRC2:SCRATCH_EN: 0
; COMPUTE_PGM_RSRC2:USER_SGPR: 6
; COMPUTE_PGM_RSRC2:TRAP_HANDLER: 0
; COMPUTE_PGM_RSRC2:TGID_X_EN: 1
; COMPUTE_PGM_RSRC2:TGID_Y_EN: 0
; COMPUTE_PGM_RSRC2:TGID_Z_EN: 0
; COMPUTE_PGM_RSRC2:TIDIG_COMP_CNT: 0
; COMPUTE_PGM_RSRC3_GFX90A:ACCUM_OFFSET: 0
; COMPUTE_PGM_RSRC3_GFX90A:TG_SPLIT: 0
	.section	.text._ZN7rocprim17ROCPRIM_400000_NS6detail17trampoline_kernelINS0_14default_configENS1_20scan_config_selectorIxEEZZNS1_9scan_implILNS1_25lookback_scan_determinismE0ELb0ELb0ES3_N6thrust23THRUST_200600_302600_NS6detail15normal_iteratorINS9_10device_ptrIxEEEESE_xNS9_4plusIxEExEEDaPvRmT3_T4_T5_mT6_P12ihipStream_tbENKUlT_T0_E_clISt17integral_constantIbLb0EEST_IbLb1EEEEDaSP_SQ_EUlSP_E0_NS1_11comp_targetILNS1_3genE10ELNS1_11target_archE1200ELNS1_3gpuE4ELNS1_3repE0EEENS1_30default_config_static_selectorELNS0_4arch9wavefront6targetE1EEEvT1_,"axG",@progbits,_ZN7rocprim17ROCPRIM_400000_NS6detail17trampoline_kernelINS0_14default_configENS1_20scan_config_selectorIxEEZZNS1_9scan_implILNS1_25lookback_scan_determinismE0ELb0ELb0ES3_N6thrust23THRUST_200600_302600_NS6detail15normal_iteratorINS9_10device_ptrIxEEEESE_xNS9_4plusIxEExEEDaPvRmT3_T4_T5_mT6_P12ihipStream_tbENKUlT_T0_E_clISt17integral_constantIbLb0EEST_IbLb1EEEEDaSP_SQ_EUlSP_E0_NS1_11comp_targetILNS1_3genE10ELNS1_11target_archE1200ELNS1_3gpuE4ELNS1_3repE0EEENS1_30default_config_static_selectorELNS0_4arch9wavefront6targetE1EEEvT1_,comdat
	.protected	_ZN7rocprim17ROCPRIM_400000_NS6detail17trampoline_kernelINS0_14default_configENS1_20scan_config_selectorIxEEZZNS1_9scan_implILNS1_25lookback_scan_determinismE0ELb0ELb0ES3_N6thrust23THRUST_200600_302600_NS6detail15normal_iteratorINS9_10device_ptrIxEEEESE_xNS9_4plusIxEExEEDaPvRmT3_T4_T5_mT6_P12ihipStream_tbENKUlT_T0_E_clISt17integral_constantIbLb0EEST_IbLb1EEEEDaSP_SQ_EUlSP_E0_NS1_11comp_targetILNS1_3genE10ELNS1_11target_archE1200ELNS1_3gpuE4ELNS1_3repE0EEENS1_30default_config_static_selectorELNS0_4arch9wavefront6targetE1EEEvT1_ ; -- Begin function _ZN7rocprim17ROCPRIM_400000_NS6detail17trampoline_kernelINS0_14default_configENS1_20scan_config_selectorIxEEZZNS1_9scan_implILNS1_25lookback_scan_determinismE0ELb0ELb0ES3_N6thrust23THRUST_200600_302600_NS6detail15normal_iteratorINS9_10device_ptrIxEEEESE_xNS9_4plusIxEExEEDaPvRmT3_T4_T5_mT6_P12ihipStream_tbENKUlT_T0_E_clISt17integral_constantIbLb0EEST_IbLb1EEEEDaSP_SQ_EUlSP_E0_NS1_11comp_targetILNS1_3genE10ELNS1_11target_archE1200ELNS1_3gpuE4ELNS1_3repE0EEENS1_30default_config_static_selectorELNS0_4arch9wavefront6targetE1EEEvT1_
	.globl	_ZN7rocprim17ROCPRIM_400000_NS6detail17trampoline_kernelINS0_14default_configENS1_20scan_config_selectorIxEEZZNS1_9scan_implILNS1_25lookback_scan_determinismE0ELb0ELb0ES3_N6thrust23THRUST_200600_302600_NS6detail15normal_iteratorINS9_10device_ptrIxEEEESE_xNS9_4plusIxEExEEDaPvRmT3_T4_T5_mT6_P12ihipStream_tbENKUlT_T0_E_clISt17integral_constantIbLb0EEST_IbLb1EEEEDaSP_SQ_EUlSP_E0_NS1_11comp_targetILNS1_3genE10ELNS1_11target_archE1200ELNS1_3gpuE4ELNS1_3repE0EEENS1_30default_config_static_selectorELNS0_4arch9wavefront6targetE1EEEvT1_
	.p2align	8
	.type	_ZN7rocprim17ROCPRIM_400000_NS6detail17trampoline_kernelINS0_14default_configENS1_20scan_config_selectorIxEEZZNS1_9scan_implILNS1_25lookback_scan_determinismE0ELb0ELb0ES3_N6thrust23THRUST_200600_302600_NS6detail15normal_iteratorINS9_10device_ptrIxEEEESE_xNS9_4plusIxEExEEDaPvRmT3_T4_T5_mT6_P12ihipStream_tbENKUlT_T0_E_clISt17integral_constantIbLb0EEST_IbLb1EEEEDaSP_SQ_EUlSP_E0_NS1_11comp_targetILNS1_3genE10ELNS1_11target_archE1200ELNS1_3gpuE4ELNS1_3repE0EEENS1_30default_config_static_selectorELNS0_4arch9wavefront6targetE1EEEvT1_,@function
_ZN7rocprim17ROCPRIM_400000_NS6detail17trampoline_kernelINS0_14default_configENS1_20scan_config_selectorIxEEZZNS1_9scan_implILNS1_25lookback_scan_determinismE0ELb0ELb0ES3_N6thrust23THRUST_200600_302600_NS6detail15normal_iteratorINS9_10device_ptrIxEEEESE_xNS9_4plusIxEExEEDaPvRmT3_T4_T5_mT6_P12ihipStream_tbENKUlT_T0_E_clISt17integral_constantIbLb0EEST_IbLb1EEEEDaSP_SQ_EUlSP_E0_NS1_11comp_targetILNS1_3genE10ELNS1_11target_archE1200ELNS1_3gpuE4ELNS1_3repE0EEENS1_30default_config_static_selectorELNS0_4arch9wavefront6targetE1EEEvT1_: ; @_ZN7rocprim17ROCPRIM_400000_NS6detail17trampoline_kernelINS0_14default_configENS1_20scan_config_selectorIxEEZZNS1_9scan_implILNS1_25lookback_scan_determinismE0ELb0ELb0ES3_N6thrust23THRUST_200600_302600_NS6detail15normal_iteratorINS9_10device_ptrIxEEEESE_xNS9_4plusIxEExEEDaPvRmT3_T4_T5_mT6_P12ihipStream_tbENKUlT_T0_E_clISt17integral_constantIbLb0EEST_IbLb1EEEEDaSP_SQ_EUlSP_E0_NS1_11comp_targetILNS1_3genE10ELNS1_11target_archE1200ELNS1_3gpuE4ELNS1_3repE0EEENS1_30default_config_static_selectorELNS0_4arch9wavefront6targetE1EEEvT1_
; %bb.0:
	.section	.rodata,"a",@progbits
	.p2align	6, 0x0
	.amdhsa_kernel _ZN7rocprim17ROCPRIM_400000_NS6detail17trampoline_kernelINS0_14default_configENS1_20scan_config_selectorIxEEZZNS1_9scan_implILNS1_25lookback_scan_determinismE0ELb0ELb0ES3_N6thrust23THRUST_200600_302600_NS6detail15normal_iteratorINS9_10device_ptrIxEEEESE_xNS9_4plusIxEExEEDaPvRmT3_T4_T5_mT6_P12ihipStream_tbENKUlT_T0_E_clISt17integral_constantIbLb0EEST_IbLb1EEEEDaSP_SQ_EUlSP_E0_NS1_11comp_targetILNS1_3genE10ELNS1_11target_archE1200ELNS1_3gpuE4ELNS1_3repE0EEENS1_30default_config_static_selectorELNS0_4arch9wavefront6targetE1EEEvT1_
		.amdhsa_group_segment_fixed_size 0
		.amdhsa_private_segment_fixed_size 0
		.amdhsa_kernarg_size 40
		.amdhsa_user_sgpr_count 6
		.amdhsa_user_sgpr_private_segment_buffer 1
		.amdhsa_user_sgpr_dispatch_ptr 0
		.amdhsa_user_sgpr_queue_ptr 0
		.amdhsa_user_sgpr_kernarg_segment_ptr 1
		.amdhsa_user_sgpr_dispatch_id 0
		.amdhsa_user_sgpr_flat_scratch_init 0
		.amdhsa_user_sgpr_kernarg_preload_length 0
		.amdhsa_user_sgpr_kernarg_preload_offset 0
		.amdhsa_user_sgpr_private_segment_size 0
		.amdhsa_uses_dynamic_stack 0
		.amdhsa_system_sgpr_private_segment_wavefront_offset 0
		.amdhsa_system_sgpr_workgroup_id_x 1
		.amdhsa_system_sgpr_workgroup_id_y 0
		.amdhsa_system_sgpr_workgroup_id_z 0
		.amdhsa_system_sgpr_workgroup_info 0
		.amdhsa_system_vgpr_workitem_id 0
		.amdhsa_next_free_vgpr 1
		.amdhsa_next_free_sgpr 0
		.amdhsa_accum_offset 4
		.amdhsa_reserve_vcc 0
		.amdhsa_reserve_flat_scratch 0
		.amdhsa_float_round_mode_32 0
		.amdhsa_float_round_mode_16_64 0
		.amdhsa_float_denorm_mode_32 3
		.amdhsa_float_denorm_mode_16_64 3
		.amdhsa_dx10_clamp 1
		.amdhsa_ieee_mode 1
		.amdhsa_fp16_overflow 0
		.amdhsa_tg_split 0
		.amdhsa_exception_fp_ieee_invalid_op 0
		.amdhsa_exception_fp_denorm_src 0
		.amdhsa_exception_fp_ieee_div_zero 0
		.amdhsa_exception_fp_ieee_overflow 0
		.amdhsa_exception_fp_ieee_underflow 0
		.amdhsa_exception_fp_ieee_inexact 0
		.amdhsa_exception_int_div_zero 0
	.end_amdhsa_kernel
	.section	.text._ZN7rocprim17ROCPRIM_400000_NS6detail17trampoline_kernelINS0_14default_configENS1_20scan_config_selectorIxEEZZNS1_9scan_implILNS1_25lookback_scan_determinismE0ELb0ELb0ES3_N6thrust23THRUST_200600_302600_NS6detail15normal_iteratorINS9_10device_ptrIxEEEESE_xNS9_4plusIxEExEEDaPvRmT3_T4_T5_mT6_P12ihipStream_tbENKUlT_T0_E_clISt17integral_constantIbLb0EEST_IbLb1EEEEDaSP_SQ_EUlSP_E0_NS1_11comp_targetILNS1_3genE10ELNS1_11target_archE1200ELNS1_3gpuE4ELNS1_3repE0EEENS1_30default_config_static_selectorELNS0_4arch9wavefront6targetE1EEEvT1_,"axG",@progbits,_ZN7rocprim17ROCPRIM_400000_NS6detail17trampoline_kernelINS0_14default_configENS1_20scan_config_selectorIxEEZZNS1_9scan_implILNS1_25lookback_scan_determinismE0ELb0ELb0ES3_N6thrust23THRUST_200600_302600_NS6detail15normal_iteratorINS9_10device_ptrIxEEEESE_xNS9_4plusIxEExEEDaPvRmT3_T4_T5_mT6_P12ihipStream_tbENKUlT_T0_E_clISt17integral_constantIbLb0EEST_IbLb1EEEEDaSP_SQ_EUlSP_E0_NS1_11comp_targetILNS1_3genE10ELNS1_11target_archE1200ELNS1_3gpuE4ELNS1_3repE0EEENS1_30default_config_static_selectorELNS0_4arch9wavefront6targetE1EEEvT1_,comdat
.Lfunc_end267:
	.size	_ZN7rocprim17ROCPRIM_400000_NS6detail17trampoline_kernelINS0_14default_configENS1_20scan_config_selectorIxEEZZNS1_9scan_implILNS1_25lookback_scan_determinismE0ELb0ELb0ES3_N6thrust23THRUST_200600_302600_NS6detail15normal_iteratorINS9_10device_ptrIxEEEESE_xNS9_4plusIxEExEEDaPvRmT3_T4_T5_mT6_P12ihipStream_tbENKUlT_T0_E_clISt17integral_constantIbLb0EEST_IbLb1EEEEDaSP_SQ_EUlSP_E0_NS1_11comp_targetILNS1_3genE10ELNS1_11target_archE1200ELNS1_3gpuE4ELNS1_3repE0EEENS1_30default_config_static_selectorELNS0_4arch9wavefront6targetE1EEEvT1_, .Lfunc_end267-_ZN7rocprim17ROCPRIM_400000_NS6detail17trampoline_kernelINS0_14default_configENS1_20scan_config_selectorIxEEZZNS1_9scan_implILNS1_25lookback_scan_determinismE0ELb0ELb0ES3_N6thrust23THRUST_200600_302600_NS6detail15normal_iteratorINS9_10device_ptrIxEEEESE_xNS9_4plusIxEExEEDaPvRmT3_T4_T5_mT6_P12ihipStream_tbENKUlT_T0_E_clISt17integral_constantIbLb0EEST_IbLb1EEEEDaSP_SQ_EUlSP_E0_NS1_11comp_targetILNS1_3genE10ELNS1_11target_archE1200ELNS1_3gpuE4ELNS1_3repE0EEENS1_30default_config_static_selectorELNS0_4arch9wavefront6targetE1EEEvT1_
                                        ; -- End function
	.section	.AMDGPU.csdata,"",@progbits
; Kernel info:
; codeLenInByte = 0
; NumSgprs: 4
; NumVgprs: 0
; NumAgprs: 0
; TotalNumVgprs: 0
; ScratchSize: 0
; MemoryBound: 0
; FloatMode: 240
; IeeeMode: 1
; LDSByteSize: 0 bytes/workgroup (compile time only)
; SGPRBlocks: 0
; VGPRBlocks: 0
; NumSGPRsForWavesPerEU: 4
; NumVGPRsForWavesPerEU: 1
; AccumOffset: 4
; Occupancy: 8
; WaveLimiterHint : 0
; COMPUTE_PGM_RSRC2:SCRATCH_EN: 0
; COMPUTE_PGM_RSRC2:USER_SGPR: 6
; COMPUTE_PGM_RSRC2:TRAP_HANDLER: 0
; COMPUTE_PGM_RSRC2:TGID_X_EN: 1
; COMPUTE_PGM_RSRC2:TGID_Y_EN: 0
; COMPUTE_PGM_RSRC2:TGID_Z_EN: 0
; COMPUTE_PGM_RSRC2:TIDIG_COMP_CNT: 0
; COMPUTE_PGM_RSRC3_GFX90A:ACCUM_OFFSET: 0
; COMPUTE_PGM_RSRC3_GFX90A:TG_SPLIT: 0
	.section	.text._ZN7rocprim17ROCPRIM_400000_NS6detail17trampoline_kernelINS0_14default_configENS1_20scan_config_selectorIxEEZZNS1_9scan_implILNS1_25lookback_scan_determinismE0ELb0ELb0ES3_N6thrust23THRUST_200600_302600_NS6detail15normal_iteratorINS9_10device_ptrIxEEEESE_xNS9_4plusIxEExEEDaPvRmT3_T4_T5_mT6_P12ihipStream_tbENKUlT_T0_E_clISt17integral_constantIbLb0EEST_IbLb1EEEEDaSP_SQ_EUlSP_E0_NS1_11comp_targetILNS1_3genE9ELNS1_11target_archE1100ELNS1_3gpuE3ELNS1_3repE0EEENS1_30default_config_static_selectorELNS0_4arch9wavefront6targetE1EEEvT1_,"axG",@progbits,_ZN7rocprim17ROCPRIM_400000_NS6detail17trampoline_kernelINS0_14default_configENS1_20scan_config_selectorIxEEZZNS1_9scan_implILNS1_25lookback_scan_determinismE0ELb0ELb0ES3_N6thrust23THRUST_200600_302600_NS6detail15normal_iteratorINS9_10device_ptrIxEEEESE_xNS9_4plusIxEExEEDaPvRmT3_T4_T5_mT6_P12ihipStream_tbENKUlT_T0_E_clISt17integral_constantIbLb0EEST_IbLb1EEEEDaSP_SQ_EUlSP_E0_NS1_11comp_targetILNS1_3genE9ELNS1_11target_archE1100ELNS1_3gpuE3ELNS1_3repE0EEENS1_30default_config_static_selectorELNS0_4arch9wavefront6targetE1EEEvT1_,comdat
	.protected	_ZN7rocprim17ROCPRIM_400000_NS6detail17trampoline_kernelINS0_14default_configENS1_20scan_config_selectorIxEEZZNS1_9scan_implILNS1_25lookback_scan_determinismE0ELb0ELb0ES3_N6thrust23THRUST_200600_302600_NS6detail15normal_iteratorINS9_10device_ptrIxEEEESE_xNS9_4plusIxEExEEDaPvRmT3_T4_T5_mT6_P12ihipStream_tbENKUlT_T0_E_clISt17integral_constantIbLb0EEST_IbLb1EEEEDaSP_SQ_EUlSP_E0_NS1_11comp_targetILNS1_3genE9ELNS1_11target_archE1100ELNS1_3gpuE3ELNS1_3repE0EEENS1_30default_config_static_selectorELNS0_4arch9wavefront6targetE1EEEvT1_ ; -- Begin function _ZN7rocprim17ROCPRIM_400000_NS6detail17trampoline_kernelINS0_14default_configENS1_20scan_config_selectorIxEEZZNS1_9scan_implILNS1_25lookback_scan_determinismE0ELb0ELb0ES3_N6thrust23THRUST_200600_302600_NS6detail15normal_iteratorINS9_10device_ptrIxEEEESE_xNS9_4plusIxEExEEDaPvRmT3_T4_T5_mT6_P12ihipStream_tbENKUlT_T0_E_clISt17integral_constantIbLb0EEST_IbLb1EEEEDaSP_SQ_EUlSP_E0_NS1_11comp_targetILNS1_3genE9ELNS1_11target_archE1100ELNS1_3gpuE3ELNS1_3repE0EEENS1_30default_config_static_selectorELNS0_4arch9wavefront6targetE1EEEvT1_
	.globl	_ZN7rocprim17ROCPRIM_400000_NS6detail17trampoline_kernelINS0_14default_configENS1_20scan_config_selectorIxEEZZNS1_9scan_implILNS1_25lookback_scan_determinismE0ELb0ELb0ES3_N6thrust23THRUST_200600_302600_NS6detail15normal_iteratorINS9_10device_ptrIxEEEESE_xNS9_4plusIxEExEEDaPvRmT3_T4_T5_mT6_P12ihipStream_tbENKUlT_T0_E_clISt17integral_constantIbLb0EEST_IbLb1EEEEDaSP_SQ_EUlSP_E0_NS1_11comp_targetILNS1_3genE9ELNS1_11target_archE1100ELNS1_3gpuE3ELNS1_3repE0EEENS1_30default_config_static_selectorELNS0_4arch9wavefront6targetE1EEEvT1_
	.p2align	8
	.type	_ZN7rocprim17ROCPRIM_400000_NS6detail17trampoline_kernelINS0_14default_configENS1_20scan_config_selectorIxEEZZNS1_9scan_implILNS1_25lookback_scan_determinismE0ELb0ELb0ES3_N6thrust23THRUST_200600_302600_NS6detail15normal_iteratorINS9_10device_ptrIxEEEESE_xNS9_4plusIxEExEEDaPvRmT3_T4_T5_mT6_P12ihipStream_tbENKUlT_T0_E_clISt17integral_constantIbLb0EEST_IbLb1EEEEDaSP_SQ_EUlSP_E0_NS1_11comp_targetILNS1_3genE9ELNS1_11target_archE1100ELNS1_3gpuE3ELNS1_3repE0EEENS1_30default_config_static_selectorELNS0_4arch9wavefront6targetE1EEEvT1_,@function
_ZN7rocprim17ROCPRIM_400000_NS6detail17trampoline_kernelINS0_14default_configENS1_20scan_config_selectorIxEEZZNS1_9scan_implILNS1_25lookback_scan_determinismE0ELb0ELb0ES3_N6thrust23THRUST_200600_302600_NS6detail15normal_iteratorINS9_10device_ptrIxEEEESE_xNS9_4plusIxEExEEDaPvRmT3_T4_T5_mT6_P12ihipStream_tbENKUlT_T0_E_clISt17integral_constantIbLb0EEST_IbLb1EEEEDaSP_SQ_EUlSP_E0_NS1_11comp_targetILNS1_3genE9ELNS1_11target_archE1100ELNS1_3gpuE3ELNS1_3repE0EEENS1_30default_config_static_selectorELNS0_4arch9wavefront6targetE1EEEvT1_: ; @_ZN7rocprim17ROCPRIM_400000_NS6detail17trampoline_kernelINS0_14default_configENS1_20scan_config_selectorIxEEZZNS1_9scan_implILNS1_25lookback_scan_determinismE0ELb0ELb0ES3_N6thrust23THRUST_200600_302600_NS6detail15normal_iteratorINS9_10device_ptrIxEEEESE_xNS9_4plusIxEExEEDaPvRmT3_T4_T5_mT6_P12ihipStream_tbENKUlT_T0_E_clISt17integral_constantIbLb0EEST_IbLb1EEEEDaSP_SQ_EUlSP_E0_NS1_11comp_targetILNS1_3genE9ELNS1_11target_archE1100ELNS1_3gpuE3ELNS1_3repE0EEENS1_30default_config_static_selectorELNS0_4arch9wavefront6targetE1EEEvT1_
; %bb.0:
	.section	.rodata,"a",@progbits
	.p2align	6, 0x0
	.amdhsa_kernel _ZN7rocprim17ROCPRIM_400000_NS6detail17trampoline_kernelINS0_14default_configENS1_20scan_config_selectorIxEEZZNS1_9scan_implILNS1_25lookback_scan_determinismE0ELb0ELb0ES3_N6thrust23THRUST_200600_302600_NS6detail15normal_iteratorINS9_10device_ptrIxEEEESE_xNS9_4plusIxEExEEDaPvRmT3_T4_T5_mT6_P12ihipStream_tbENKUlT_T0_E_clISt17integral_constantIbLb0EEST_IbLb1EEEEDaSP_SQ_EUlSP_E0_NS1_11comp_targetILNS1_3genE9ELNS1_11target_archE1100ELNS1_3gpuE3ELNS1_3repE0EEENS1_30default_config_static_selectorELNS0_4arch9wavefront6targetE1EEEvT1_
		.amdhsa_group_segment_fixed_size 0
		.amdhsa_private_segment_fixed_size 0
		.amdhsa_kernarg_size 40
		.amdhsa_user_sgpr_count 6
		.amdhsa_user_sgpr_private_segment_buffer 1
		.amdhsa_user_sgpr_dispatch_ptr 0
		.amdhsa_user_sgpr_queue_ptr 0
		.amdhsa_user_sgpr_kernarg_segment_ptr 1
		.amdhsa_user_sgpr_dispatch_id 0
		.amdhsa_user_sgpr_flat_scratch_init 0
		.amdhsa_user_sgpr_kernarg_preload_length 0
		.amdhsa_user_sgpr_kernarg_preload_offset 0
		.amdhsa_user_sgpr_private_segment_size 0
		.amdhsa_uses_dynamic_stack 0
		.amdhsa_system_sgpr_private_segment_wavefront_offset 0
		.amdhsa_system_sgpr_workgroup_id_x 1
		.amdhsa_system_sgpr_workgroup_id_y 0
		.amdhsa_system_sgpr_workgroup_id_z 0
		.amdhsa_system_sgpr_workgroup_info 0
		.amdhsa_system_vgpr_workitem_id 0
		.amdhsa_next_free_vgpr 1
		.amdhsa_next_free_sgpr 0
		.amdhsa_accum_offset 4
		.amdhsa_reserve_vcc 0
		.amdhsa_reserve_flat_scratch 0
		.amdhsa_float_round_mode_32 0
		.amdhsa_float_round_mode_16_64 0
		.amdhsa_float_denorm_mode_32 3
		.amdhsa_float_denorm_mode_16_64 3
		.amdhsa_dx10_clamp 1
		.amdhsa_ieee_mode 1
		.amdhsa_fp16_overflow 0
		.amdhsa_tg_split 0
		.amdhsa_exception_fp_ieee_invalid_op 0
		.amdhsa_exception_fp_denorm_src 0
		.amdhsa_exception_fp_ieee_div_zero 0
		.amdhsa_exception_fp_ieee_overflow 0
		.amdhsa_exception_fp_ieee_underflow 0
		.amdhsa_exception_fp_ieee_inexact 0
		.amdhsa_exception_int_div_zero 0
	.end_amdhsa_kernel
	.section	.text._ZN7rocprim17ROCPRIM_400000_NS6detail17trampoline_kernelINS0_14default_configENS1_20scan_config_selectorIxEEZZNS1_9scan_implILNS1_25lookback_scan_determinismE0ELb0ELb0ES3_N6thrust23THRUST_200600_302600_NS6detail15normal_iteratorINS9_10device_ptrIxEEEESE_xNS9_4plusIxEExEEDaPvRmT3_T4_T5_mT6_P12ihipStream_tbENKUlT_T0_E_clISt17integral_constantIbLb0EEST_IbLb1EEEEDaSP_SQ_EUlSP_E0_NS1_11comp_targetILNS1_3genE9ELNS1_11target_archE1100ELNS1_3gpuE3ELNS1_3repE0EEENS1_30default_config_static_selectorELNS0_4arch9wavefront6targetE1EEEvT1_,"axG",@progbits,_ZN7rocprim17ROCPRIM_400000_NS6detail17trampoline_kernelINS0_14default_configENS1_20scan_config_selectorIxEEZZNS1_9scan_implILNS1_25lookback_scan_determinismE0ELb0ELb0ES3_N6thrust23THRUST_200600_302600_NS6detail15normal_iteratorINS9_10device_ptrIxEEEESE_xNS9_4plusIxEExEEDaPvRmT3_T4_T5_mT6_P12ihipStream_tbENKUlT_T0_E_clISt17integral_constantIbLb0EEST_IbLb1EEEEDaSP_SQ_EUlSP_E0_NS1_11comp_targetILNS1_3genE9ELNS1_11target_archE1100ELNS1_3gpuE3ELNS1_3repE0EEENS1_30default_config_static_selectorELNS0_4arch9wavefront6targetE1EEEvT1_,comdat
.Lfunc_end268:
	.size	_ZN7rocprim17ROCPRIM_400000_NS6detail17trampoline_kernelINS0_14default_configENS1_20scan_config_selectorIxEEZZNS1_9scan_implILNS1_25lookback_scan_determinismE0ELb0ELb0ES3_N6thrust23THRUST_200600_302600_NS6detail15normal_iteratorINS9_10device_ptrIxEEEESE_xNS9_4plusIxEExEEDaPvRmT3_T4_T5_mT6_P12ihipStream_tbENKUlT_T0_E_clISt17integral_constantIbLb0EEST_IbLb1EEEEDaSP_SQ_EUlSP_E0_NS1_11comp_targetILNS1_3genE9ELNS1_11target_archE1100ELNS1_3gpuE3ELNS1_3repE0EEENS1_30default_config_static_selectorELNS0_4arch9wavefront6targetE1EEEvT1_, .Lfunc_end268-_ZN7rocprim17ROCPRIM_400000_NS6detail17trampoline_kernelINS0_14default_configENS1_20scan_config_selectorIxEEZZNS1_9scan_implILNS1_25lookback_scan_determinismE0ELb0ELb0ES3_N6thrust23THRUST_200600_302600_NS6detail15normal_iteratorINS9_10device_ptrIxEEEESE_xNS9_4plusIxEExEEDaPvRmT3_T4_T5_mT6_P12ihipStream_tbENKUlT_T0_E_clISt17integral_constantIbLb0EEST_IbLb1EEEEDaSP_SQ_EUlSP_E0_NS1_11comp_targetILNS1_3genE9ELNS1_11target_archE1100ELNS1_3gpuE3ELNS1_3repE0EEENS1_30default_config_static_selectorELNS0_4arch9wavefront6targetE1EEEvT1_
                                        ; -- End function
	.section	.AMDGPU.csdata,"",@progbits
; Kernel info:
; codeLenInByte = 0
; NumSgprs: 4
; NumVgprs: 0
; NumAgprs: 0
; TotalNumVgprs: 0
; ScratchSize: 0
; MemoryBound: 0
; FloatMode: 240
; IeeeMode: 1
; LDSByteSize: 0 bytes/workgroup (compile time only)
; SGPRBlocks: 0
; VGPRBlocks: 0
; NumSGPRsForWavesPerEU: 4
; NumVGPRsForWavesPerEU: 1
; AccumOffset: 4
; Occupancy: 8
; WaveLimiterHint : 0
; COMPUTE_PGM_RSRC2:SCRATCH_EN: 0
; COMPUTE_PGM_RSRC2:USER_SGPR: 6
; COMPUTE_PGM_RSRC2:TRAP_HANDLER: 0
; COMPUTE_PGM_RSRC2:TGID_X_EN: 1
; COMPUTE_PGM_RSRC2:TGID_Y_EN: 0
; COMPUTE_PGM_RSRC2:TGID_Z_EN: 0
; COMPUTE_PGM_RSRC2:TIDIG_COMP_CNT: 0
; COMPUTE_PGM_RSRC3_GFX90A:ACCUM_OFFSET: 0
; COMPUTE_PGM_RSRC3_GFX90A:TG_SPLIT: 0
	.section	.text._ZN7rocprim17ROCPRIM_400000_NS6detail17trampoline_kernelINS0_14default_configENS1_20scan_config_selectorIxEEZZNS1_9scan_implILNS1_25lookback_scan_determinismE0ELb0ELb0ES3_N6thrust23THRUST_200600_302600_NS6detail15normal_iteratorINS9_10device_ptrIxEEEESE_xNS9_4plusIxEExEEDaPvRmT3_T4_T5_mT6_P12ihipStream_tbENKUlT_T0_E_clISt17integral_constantIbLb0EEST_IbLb1EEEEDaSP_SQ_EUlSP_E0_NS1_11comp_targetILNS1_3genE8ELNS1_11target_archE1030ELNS1_3gpuE2ELNS1_3repE0EEENS1_30default_config_static_selectorELNS0_4arch9wavefront6targetE1EEEvT1_,"axG",@progbits,_ZN7rocprim17ROCPRIM_400000_NS6detail17trampoline_kernelINS0_14default_configENS1_20scan_config_selectorIxEEZZNS1_9scan_implILNS1_25lookback_scan_determinismE0ELb0ELb0ES3_N6thrust23THRUST_200600_302600_NS6detail15normal_iteratorINS9_10device_ptrIxEEEESE_xNS9_4plusIxEExEEDaPvRmT3_T4_T5_mT6_P12ihipStream_tbENKUlT_T0_E_clISt17integral_constantIbLb0EEST_IbLb1EEEEDaSP_SQ_EUlSP_E0_NS1_11comp_targetILNS1_3genE8ELNS1_11target_archE1030ELNS1_3gpuE2ELNS1_3repE0EEENS1_30default_config_static_selectorELNS0_4arch9wavefront6targetE1EEEvT1_,comdat
	.protected	_ZN7rocprim17ROCPRIM_400000_NS6detail17trampoline_kernelINS0_14default_configENS1_20scan_config_selectorIxEEZZNS1_9scan_implILNS1_25lookback_scan_determinismE0ELb0ELb0ES3_N6thrust23THRUST_200600_302600_NS6detail15normal_iteratorINS9_10device_ptrIxEEEESE_xNS9_4plusIxEExEEDaPvRmT3_T4_T5_mT6_P12ihipStream_tbENKUlT_T0_E_clISt17integral_constantIbLb0EEST_IbLb1EEEEDaSP_SQ_EUlSP_E0_NS1_11comp_targetILNS1_3genE8ELNS1_11target_archE1030ELNS1_3gpuE2ELNS1_3repE0EEENS1_30default_config_static_selectorELNS0_4arch9wavefront6targetE1EEEvT1_ ; -- Begin function _ZN7rocprim17ROCPRIM_400000_NS6detail17trampoline_kernelINS0_14default_configENS1_20scan_config_selectorIxEEZZNS1_9scan_implILNS1_25lookback_scan_determinismE0ELb0ELb0ES3_N6thrust23THRUST_200600_302600_NS6detail15normal_iteratorINS9_10device_ptrIxEEEESE_xNS9_4plusIxEExEEDaPvRmT3_T4_T5_mT6_P12ihipStream_tbENKUlT_T0_E_clISt17integral_constantIbLb0EEST_IbLb1EEEEDaSP_SQ_EUlSP_E0_NS1_11comp_targetILNS1_3genE8ELNS1_11target_archE1030ELNS1_3gpuE2ELNS1_3repE0EEENS1_30default_config_static_selectorELNS0_4arch9wavefront6targetE1EEEvT1_
	.globl	_ZN7rocprim17ROCPRIM_400000_NS6detail17trampoline_kernelINS0_14default_configENS1_20scan_config_selectorIxEEZZNS1_9scan_implILNS1_25lookback_scan_determinismE0ELb0ELb0ES3_N6thrust23THRUST_200600_302600_NS6detail15normal_iteratorINS9_10device_ptrIxEEEESE_xNS9_4plusIxEExEEDaPvRmT3_T4_T5_mT6_P12ihipStream_tbENKUlT_T0_E_clISt17integral_constantIbLb0EEST_IbLb1EEEEDaSP_SQ_EUlSP_E0_NS1_11comp_targetILNS1_3genE8ELNS1_11target_archE1030ELNS1_3gpuE2ELNS1_3repE0EEENS1_30default_config_static_selectorELNS0_4arch9wavefront6targetE1EEEvT1_
	.p2align	8
	.type	_ZN7rocprim17ROCPRIM_400000_NS6detail17trampoline_kernelINS0_14default_configENS1_20scan_config_selectorIxEEZZNS1_9scan_implILNS1_25lookback_scan_determinismE0ELb0ELb0ES3_N6thrust23THRUST_200600_302600_NS6detail15normal_iteratorINS9_10device_ptrIxEEEESE_xNS9_4plusIxEExEEDaPvRmT3_T4_T5_mT6_P12ihipStream_tbENKUlT_T0_E_clISt17integral_constantIbLb0EEST_IbLb1EEEEDaSP_SQ_EUlSP_E0_NS1_11comp_targetILNS1_3genE8ELNS1_11target_archE1030ELNS1_3gpuE2ELNS1_3repE0EEENS1_30default_config_static_selectorELNS0_4arch9wavefront6targetE1EEEvT1_,@function
_ZN7rocprim17ROCPRIM_400000_NS6detail17trampoline_kernelINS0_14default_configENS1_20scan_config_selectorIxEEZZNS1_9scan_implILNS1_25lookback_scan_determinismE0ELb0ELb0ES3_N6thrust23THRUST_200600_302600_NS6detail15normal_iteratorINS9_10device_ptrIxEEEESE_xNS9_4plusIxEExEEDaPvRmT3_T4_T5_mT6_P12ihipStream_tbENKUlT_T0_E_clISt17integral_constantIbLb0EEST_IbLb1EEEEDaSP_SQ_EUlSP_E0_NS1_11comp_targetILNS1_3genE8ELNS1_11target_archE1030ELNS1_3gpuE2ELNS1_3repE0EEENS1_30default_config_static_selectorELNS0_4arch9wavefront6targetE1EEEvT1_: ; @_ZN7rocprim17ROCPRIM_400000_NS6detail17trampoline_kernelINS0_14default_configENS1_20scan_config_selectorIxEEZZNS1_9scan_implILNS1_25lookback_scan_determinismE0ELb0ELb0ES3_N6thrust23THRUST_200600_302600_NS6detail15normal_iteratorINS9_10device_ptrIxEEEESE_xNS9_4plusIxEExEEDaPvRmT3_T4_T5_mT6_P12ihipStream_tbENKUlT_T0_E_clISt17integral_constantIbLb0EEST_IbLb1EEEEDaSP_SQ_EUlSP_E0_NS1_11comp_targetILNS1_3genE8ELNS1_11target_archE1030ELNS1_3gpuE2ELNS1_3repE0EEENS1_30default_config_static_selectorELNS0_4arch9wavefront6targetE1EEEvT1_
; %bb.0:
	.section	.rodata,"a",@progbits
	.p2align	6, 0x0
	.amdhsa_kernel _ZN7rocprim17ROCPRIM_400000_NS6detail17trampoline_kernelINS0_14default_configENS1_20scan_config_selectorIxEEZZNS1_9scan_implILNS1_25lookback_scan_determinismE0ELb0ELb0ES3_N6thrust23THRUST_200600_302600_NS6detail15normal_iteratorINS9_10device_ptrIxEEEESE_xNS9_4plusIxEExEEDaPvRmT3_T4_T5_mT6_P12ihipStream_tbENKUlT_T0_E_clISt17integral_constantIbLb0EEST_IbLb1EEEEDaSP_SQ_EUlSP_E0_NS1_11comp_targetILNS1_3genE8ELNS1_11target_archE1030ELNS1_3gpuE2ELNS1_3repE0EEENS1_30default_config_static_selectorELNS0_4arch9wavefront6targetE1EEEvT1_
		.amdhsa_group_segment_fixed_size 0
		.amdhsa_private_segment_fixed_size 0
		.amdhsa_kernarg_size 40
		.amdhsa_user_sgpr_count 6
		.amdhsa_user_sgpr_private_segment_buffer 1
		.amdhsa_user_sgpr_dispatch_ptr 0
		.amdhsa_user_sgpr_queue_ptr 0
		.amdhsa_user_sgpr_kernarg_segment_ptr 1
		.amdhsa_user_sgpr_dispatch_id 0
		.amdhsa_user_sgpr_flat_scratch_init 0
		.amdhsa_user_sgpr_kernarg_preload_length 0
		.amdhsa_user_sgpr_kernarg_preload_offset 0
		.amdhsa_user_sgpr_private_segment_size 0
		.amdhsa_uses_dynamic_stack 0
		.amdhsa_system_sgpr_private_segment_wavefront_offset 0
		.amdhsa_system_sgpr_workgroup_id_x 1
		.amdhsa_system_sgpr_workgroup_id_y 0
		.amdhsa_system_sgpr_workgroup_id_z 0
		.amdhsa_system_sgpr_workgroup_info 0
		.amdhsa_system_vgpr_workitem_id 0
		.amdhsa_next_free_vgpr 1
		.amdhsa_next_free_sgpr 0
		.amdhsa_accum_offset 4
		.amdhsa_reserve_vcc 0
		.amdhsa_reserve_flat_scratch 0
		.amdhsa_float_round_mode_32 0
		.amdhsa_float_round_mode_16_64 0
		.amdhsa_float_denorm_mode_32 3
		.amdhsa_float_denorm_mode_16_64 3
		.amdhsa_dx10_clamp 1
		.amdhsa_ieee_mode 1
		.amdhsa_fp16_overflow 0
		.amdhsa_tg_split 0
		.amdhsa_exception_fp_ieee_invalid_op 0
		.amdhsa_exception_fp_denorm_src 0
		.amdhsa_exception_fp_ieee_div_zero 0
		.amdhsa_exception_fp_ieee_overflow 0
		.amdhsa_exception_fp_ieee_underflow 0
		.amdhsa_exception_fp_ieee_inexact 0
		.amdhsa_exception_int_div_zero 0
	.end_amdhsa_kernel
	.section	.text._ZN7rocprim17ROCPRIM_400000_NS6detail17trampoline_kernelINS0_14default_configENS1_20scan_config_selectorIxEEZZNS1_9scan_implILNS1_25lookback_scan_determinismE0ELb0ELb0ES3_N6thrust23THRUST_200600_302600_NS6detail15normal_iteratorINS9_10device_ptrIxEEEESE_xNS9_4plusIxEExEEDaPvRmT3_T4_T5_mT6_P12ihipStream_tbENKUlT_T0_E_clISt17integral_constantIbLb0EEST_IbLb1EEEEDaSP_SQ_EUlSP_E0_NS1_11comp_targetILNS1_3genE8ELNS1_11target_archE1030ELNS1_3gpuE2ELNS1_3repE0EEENS1_30default_config_static_selectorELNS0_4arch9wavefront6targetE1EEEvT1_,"axG",@progbits,_ZN7rocprim17ROCPRIM_400000_NS6detail17trampoline_kernelINS0_14default_configENS1_20scan_config_selectorIxEEZZNS1_9scan_implILNS1_25lookback_scan_determinismE0ELb0ELb0ES3_N6thrust23THRUST_200600_302600_NS6detail15normal_iteratorINS9_10device_ptrIxEEEESE_xNS9_4plusIxEExEEDaPvRmT3_T4_T5_mT6_P12ihipStream_tbENKUlT_T0_E_clISt17integral_constantIbLb0EEST_IbLb1EEEEDaSP_SQ_EUlSP_E0_NS1_11comp_targetILNS1_3genE8ELNS1_11target_archE1030ELNS1_3gpuE2ELNS1_3repE0EEENS1_30default_config_static_selectorELNS0_4arch9wavefront6targetE1EEEvT1_,comdat
.Lfunc_end269:
	.size	_ZN7rocprim17ROCPRIM_400000_NS6detail17trampoline_kernelINS0_14default_configENS1_20scan_config_selectorIxEEZZNS1_9scan_implILNS1_25lookback_scan_determinismE0ELb0ELb0ES3_N6thrust23THRUST_200600_302600_NS6detail15normal_iteratorINS9_10device_ptrIxEEEESE_xNS9_4plusIxEExEEDaPvRmT3_T4_T5_mT6_P12ihipStream_tbENKUlT_T0_E_clISt17integral_constantIbLb0EEST_IbLb1EEEEDaSP_SQ_EUlSP_E0_NS1_11comp_targetILNS1_3genE8ELNS1_11target_archE1030ELNS1_3gpuE2ELNS1_3repE0EEENS1_30default_config_static_selectorELNS0_4arch9wavefront6targetE1EEEvT1_, .Lfunc_end269-_ZN7rocprim17ROCPRIM_400000_NS6detail17trampoline_kernelINS0_14default_configENS1_20scan_config_selectorIxEEZZNS1_9scan_implILNS1_25lookback_scan_determinismE0ELb0ELb0ES3_N6thrust23THRUST_200600_302600_NS6detail15normal_iteratorINS9_10device_ptrIxEEEESE_xNS9_4plusIxEExEEDaPvRmT3_T4_T5_mT6_P12ihipStream_tbENKUlT_T0_E_clISt17integral_constantIbLb0EEST_IbLb1EEEEDaSP_SQ_EUlSP_E0_NS1_11comp_targetILNS1_3genE8ELNS1_11target_archE1030ELNS1_3gpuE2ELNS1_3repE0EEENS1_30default_config_static_selectorELNS0_4arch9wavefront6targetE1EEEvT1_
                                        ; -- End function
	.section	.AMDGPU.csdata,"",@progbits
; Kernel info:
; codeLenInByte = 0
; NumSgprs: 4
; NumVgprs: 0
; NumAgprs: 0
; TotalNumVgprs: 0
; ScratchSize: 0
; MemoryBound: 0
; FloatMode: 240
; IeeeMode: 1
; LDSByteSize: 0 bytes/workgroup (compile time only)
; SGPRBlocks: 0
; VGPRBlocks: 0
; NumSGPRsForWavesPerEU: 4
; NumVGPRsForWavesPerEU: 1
; AccumOffset: 4
; Occupancy: 8
; WaveLimiterHint : 0
; COMPUTE_PGM_RSRC2:SCRATCH_EN: 0
; COMPUTE_PGM_RSRC2:USER_SGPR: 6
; COMPUTE_PGM_RSRC2:TRAP_HANDLER: 0
; COMPUTE_PGM_RSRC2:TGID_X_EN: 1
; COMPUTE_PGM_RSRC2:TGID_Y_EN: 0
; COMPUTE_PGM_RSRC2:TGID_Z_EN: 0
; COMPUTE_PGM_RSRC2:TIDIG_COMP_CNT: 0
; COMPUTE_PGM_RSRC3_GFX90A:ACCUM_OFFSET: 0
; COMPUTE_PGM_RSRC3_GFX90A:TG_SPLIT: 0
	.section	.text._ZN7rocprim17ROCPRIM_400000_NS6detail17trampoline_kernelINS0_14default_configENS1_20scan_config_selectorIxEEZZNS1_9scan_implILNS1_25lookback_scan_determinismE0ELb0ELb1ES3_N6thrust23THRUST_200600_302600_NS6detail15normal_iteratorINS9_10device_ptrIxEEEESE_xNS9_10multipliesIxEExEEDaPvRmT3_T4_T5_mT6_P12ihipStream_tbENKUlT_T0_E_clISt17integral_constantIbLb0EESU_EEDaSP_SQ_EUlSP_E_NS1_11comp_targetILNS1_3genE0ELNS1_11target_archE4294967295ELNS1_3gpuE0ELNS1_3repE0EEENS1_30default_config_static_selectorELNS0_4arch9wavefront6targetE1EEEvT1_,"axG",@progbits,_ZN7rocprim17ROCPRIM_400000_NS6detail17trampoline_kernelINS0_14default_configENS1_20scan_config_selectorIxEEZZNS1_9scan_implILNS1_25lookback_scan_determinismE0ELb0ELb1ES3_N6thrust23THRUST_200600_302600_NS6detail15normal_iteratorINS9_10device_ptrIxEEEESE_xNS9_10multipliesIxEExEEDaPvRmT3_T4_T5_mT6_P12ihipStream_tbENKUlT_T0_E_clISt17integral_constantIbLb0EESU_EEDaSP_SQ_EUlSP_E_NS1_11comp_targetILNS1_3genE0ELNS1_11target_archE4294967295ELNS1_3gpuE0ELNS1_3repE0EEENS1_30default_config_static_selectorELNS0_4arch9wavefront6targetE1EEEvT1_,comdat
	.protected	_ZN7rocprim17ROCPRIM_400000_NS6detail17trampoline_kernelINS0_14default_configENS1_20scan_config_selectorIxEEZZNS1_9scan_implILNS1_25lookback_scan_determinismE0ELb0ELb1ES3_N6thrust23THRUST_200600_302600_NS6detail15normal_iteratorINS9_10device_ptrIxEEEESE_xNS9_10multipliesIxEExEEDaPvRmT3_T4_T5_mT6_P12ihipStream_tbENKUlT_T0_E_clISt17integral_constantIbLb0EESU_EEDaSP_SQ_EUlSP_E_NS1_11comp_targetILNS1_3genE0ELNS1_11target_archE4294967295ELNS1_3gpuE0ELNS1_3repE0EEENS1_30default_config_static_selectorELNS0_4arch9wavefront6targetE1EEEvT1_ ; -- Begin function _ZN7rocprim17ROCPRIM_400000_NS6detail17trampoline_kernelINS0_14default_configENS1_20scan_config_selectorIxEEZZNS1_9scan_implILNS1_25lookback_scan_determinismE0ELb0ELb1ES3_N6thrust23THRUST_200600_302600_NS6detail15normal_iteratorINS9_10device_ptrIxEEEESE_xNS9_10multipliesIxEExEEDaPvRmT3_T4_T5_mT6_P12ihipStream_tbENKUlT_T0_E_clISt17integral_constantIbLb0EESU_EEDaSP_SQ_EUlSP_E_NS1_11comp_targetILNS1_3genE0ELNS1_11target_archE4294967295ELNS1_3gpuE0ELNS1_3repE0EEENS1_30default_config_static_selectorELNS0_4arch9wavefront6targetE1EEEvT1_
	.globl	_ZN7rocprim17ROCPRIM_400000_NS6detail17trampoline_kernelINS0_14default_configENS1_20scan_config_selectorIxEEZZNS1_9scan_implILNS1_25lookback_scan_determinismE0ELb0ELb1ES3_N6thrust23THRUST_200600_302600_NS6detail15normal_iteratorINS9_10device_ptrIxEEEESE_xNS9_10multipliesIxEExEEDaPvRmT3_T4_T5_mT6_P12ihipStream_tbENKUlT_T0_E_clISt17integral_constantIbLb0EESU_EEDaSP_SQ_EUlSP_E_NS1_11comp_targetILNS1_3genE0ELNS1_11target_archE4294967295ELNS1_3gpuE0ELNS1_3repE0EEENS1_30default_config_static_selectorELNS0_4arch9wavefront6targetE1EEEvT1_
	.p2align	8
	.type	_ZN7rocprim17ROCPRIM_400000_NS6detail17trampoline_kernelINS0_14default_configENS1_20scan_config_selectorIxEEZZNS1_9scan_implILNS1_25lookback_scan_determinismE0ELb0ELb1ES3_N6thrust23THRUST_200600_302600_NS6detail15normal_iteratorINS9_10device_ptrIxEEEESE_xNS9_10multipliesIxEExEEDaPvRmT3_T4_T5_mT6_P12ihipStream_tbENKUlT_T0_E_clISt17integral_constantIbLb0EESU_EEDaSP_SQ_EUlSP_E_NS1_11comp_targetILNS1_3genE0ELNS1_11target_archE4294967295ELNS1_3gpuE0ELNS1_3repE0EEENS1_30default_config_static_selectorELNS0_4arch9wavefront6targetE1EEEvT1_,@function
_ZN7rocprim17ROCPRIM_400000_NS6detail17trampoline_kernelINS0_14default_configENS1_20scan_config_selectorIxEEZZNS1_9scan_implILNS1_25lookback_scan_determinismE0ELb0ELb1ES3_N6thrust23THRUST_200600_302600_NS6detail15normal_iteratorINS9_10device_ptrIxEEEESE_xNS9_10multipliesIxEExEEDaPvRmT3_T4_T5_mT6_P12ihipStream_tbENKUlT_T0_E_clISt17integral_constantIbLb0EESU_EEDaSP_SQ_EUlSP_E_NS1_11comp_targetILNS1_3genE0ELNS1_11target_archE4294967295ELNS1_3gpuE0ELNS1_3repE0EEENS1_30default_config_static_selectorELNS0_4arch9wavefront6targetE1EEEvT1_: ; @_ZN7rocprim17ROCPRIM_400000_NS6detail17trampoline_kernelINS0_14default_configENS1_20scan_config_selectorIxEEZZNS1_9scan_implILNS1_25lookback_scan_determinismE0ELb0ELb1ES3_N6thrust23THRUST_200600_302600_NS6detail15normal_iteratorINS9_10device_ptrIxEEEESE_xNS9_10multipliesIxEExEEDaPvRmT3_T4_T5_mT6_P12ihipStream_tbENKUlT_T0_E_clISt17integral_constantIbLb0EESU_EEDaSP_SQ_EUlSP_E_NS1_11comp_targetILNS1_3genE0ELNS1_11target_archE4294967295ELNS1_3gpuE0ELNS1_3repE0EEENS1_30default_config_static_selectorELNS0_4arch9wavefront6targetE1EEEvT1_
; %bb.0:
	.section	.rodata,"a",@progbits
	.p2align	6, 0x0
	.amdhsa_kernel _ZN7rocprim17ROCPRIM_400000_NS6detail17trampoline_kernelINS0_14default_configENS1_20scan_config_selectorIxEEZZNS1_9scan_implILNS1_25lookback_scan_determinismE0ELb0ELb1ES3_N6thrust23THRUST_200600_302600_NS6detail15normal_iteratorINS9_10device_ptrIxEEEESE_xNS9_10multipliesIxEExEEDaPvRmT3_T4_T5_mT6_P12ihipStream_tbENKUlT_T0_E_clISt17integral_constantIbLb0EESU_EEDaSP_SQ_EUlSP_E_NS1_11comp_targetILNS1_3genE0ELNS1_11target_archE4294967295ELNS1_3gpuE0ELNS1_3repE0EEENS1_30default_config_static_selectorELNS0_4arch9wavefront6targetE1EEEvT1_
		.amdhsa_group_segment_fixed_size 0
		.amdhsa_private_segment_fixed_size 0
		.amdhsa_kernarg_size 104
		.amdhsa_user_sgpr_count 6
		.amdhsa_user_sgpr_private_segment_buffer 1
		.amdhsa_user_sgpr_dispatch_ptr 0
		.amdhsa_user_sgpr_queue_ptr 0
		.amdhsa_user_sgpr_kernarg_segment_ptr 1
		.amdhsa_user_sgpr_dispatch_id 0
		.amdhsa_user_sgpr_flat_scratch_init 0
		.amdhsa_user_sgpr_kernarg_preload_length 0
		.amdhsa_user_sgpr_kernarg_preload_offset 0
		.amdhsa_user_sgpr_private_segment_size 0
		.amdhsa_uses_dynamic_stack 0
		.amdhsa_system_sgpr_private_segment_wavefront_offset 0
		.amdhsa_system_sgpr_workgroup_id_x 1
		.amdhsa_system_sgpr_workgroup_id_y 0
		.amdhsa_system_sgpr_workgroup_id_z 0
		.amdhsa_system_sgpr_workgroup_info 0
		.amdhsa_system_vgpr_workitem_id 0
		.amdhsa_next_free_vgpr 1
		.amdhsa_next_free_sgpr 0
		.amdhsa_accum_offset 4
		.amdhsa_reserve_vcc 0
		.amdhsa_reserve_flat_scratch 0
		.amdhsa_float_round_mode_32 0
		.amdhsa_float_round_mode_16_64 0
		.amdhsa_float_denorm_mode_32 3
		.amdhsa_float_denorm_mode_16_64 3
		.amdhsa_dx10_clamp 1
		.amdhsa_ieee_mode 1
		.amdhsa_fp16_overflow 0
		.amdhsa_tg_split 0
		.amdhsa_exception_fp_ieee_invalid_op 0
		.amdhsa_exception_fp_denorm_src 0
		.amdhsa_exception_fp_ieee_div_zero 0
		.amdhsa_exception_fp_ieee_overflow 0
		.amdhsa_exception_fp_ieee_underflow 0
		.amdhsa_exception_fp_ieee_inexact 0
		.amdhsa_exception_int_div_zero 0
	.end_amdhsa_kernel
	.section	.text._ZN7rocprim17ROCPRIM_400000_NS6detail17trampoline_kernelINS0_14default_configENS1_20scan_config_selectorIxEEZZNS1_9scan_implILNS1_25lookback_scan_determinismE0ELb0ELb1ES3_N6thrust23THRUST_200600_302600_NS6detail15normal_iteratorINS9_10device_ptrIxEEEESE_xNS9_10multipliesIxEExEEDaPvRmT3_T4_T5_mT6_P12ihipStream_tbENKUlT_T0_E_clISt17integral_constantIbLb0EESU_EEDaSP_SQ_EUlSP_E_NS1_11comp_targetILNS1_3genE0ELNS1_11target_archE4294967295ELNS1_3gpuE0ELNS1_3repE0EEENS1_30default_config_static_selectorELNS0_4arch9wavefront6targetE1EEEvT1_,"axG",@progbits,_ZN7rocprim17ROCPRIM_400000_NS6detail17trampoline_kernelINS0_14default_configENS1_20scan_config_selectorIxEEZZNS1_9scan_implILNS1_25lookback_scan_determinismE0ELb0ELb1ES3_N6thrust23THRUST_200600_302600_NS6detail15normal_iteratorINS9_10device_ptrIxEEEESE_xNS9_10multipliesIxEExEEDaPvRmT3_T4_T5_mT6_P12ihipStream_tbENKUlT_T0_E_clISt17integral_constantIbLb0EESU_EEDaSP_SQ_EUlSP_E_NS1_11comp_targetILNS1_3genE0ELNS1_11target_archE4294967295ELNS1_3gpuE0ELNS1_3repE0EEENS1_30default_config_static_selectorELNS0_4arch9wavefront6targetE1EEEvT1_,comdat
.Lfunc_end270:
	.size	_ZN7rocprim17ROCPRIM_400000_NS6detail17trampoline_kernelINS0_14default_configENS1_20scan_config_selectorIxEEZZNS1_9scan_implILNS1_25lookback_scan_determinismE0ELb0ELb1ES3_N6thrust23THRUST_200600_302600_NS6detail15normal_iteratorINS9_10device_ptrIxEEEESE_xNS9_10multipliesIxEExEEDaPvRmT3_T4_T5_mT6_P12ihipStream_tbENKUlT_T0_E_clISt17integral_constantIbLb0EESU_EEDaSP_SQ_EUlSP_E_NS1_11comp_targetILNS1_3genE0ELNS1_11target_archE4294967295ELNS1_3gpuE0ELNS1_3repE0EEENS1_30default_config_static_selectorELNS0_4arch9wavefront6targetE1EEEvT1_, .Lfunc_end270-_ZN7rocprim17ROCPRIM_400000_NS6detail17trampoline_kernelINS0_14default_configENS1_20scan_config_selectorIxEEZZNS1_9scan_implILNS1_25lookback_scan_determinismE0ELb0ELb1ES3_N6thrust23THRUST_200600_302600_NS6detail15normal_iteratorINS9_10device_ptrIxEEEESE_xNS9_10multipliesIxEExEEDaPvRmT3_T4_T5_mT6_P12ihipStream_tbENKUlT_T0_E_clISt17integral_constantIbLb0EESU_EEDaSP_SQ_EUlSP_E_NS1_11comp_targetILNS1_3genE0ELNS1_11target_archE4294967295ELNS1_3gpuE0ELNS1_3repE0EEENS1_30default_config_static_selectorELNS0_4arch9wavefront6targetE1EEEvT1_
                                        ; -- End function
	.section	.AMDGPU.csdata,"",@progbits
; Kernel info:
; codeLenInByte = 0
; NumSgprs: 4
; NumVgprs: 0
; NumAgprs: 0
; TotalNumVgprs: 0
; ScratchSize: 0
; MemoryBound: 0
; FloatMode: 240
; IeeeMode: 1
; LDSByteSize: 0 bytes/workgroup (compile time only)
; SGPRBlocks: 0
; VGPRBlocks: 0
; NumSGPRsForWavesPerEU: 4
; NumVGPRsForWavesPerEU: 1
; AccumOffset: 4
; Occupancy: 8
; WaveLimiterHint : 0
; COMPUTE_PGM_RSRC2:SCRATCH_EN: 0
; COMPUTE_PGM_RSRC2:USER_SGPR: 6
; COMPUTE_PGM_RSRC2:TRAP_HANDLER: 0
; COMPUTE_PGM_RSRC2:TGID_X_EN: 1
; COMPUTE_PGM_RSRC2:TGID_Y_EN: 0
; COMPUTE_PGM_RSRC2:TGID_Z_EN: 0
; COMPUTE_PGM_RSRC2:TIDIG_COMP_CNT: 0
; COMPUTE_PGM_RSRC3_GFX90A:ACCUM_OFFSET: 0
; COMPUTE_PGM_RSRC3_GFX90A:TG_SPLIT: 0
	.section	.text._ZN7rocprim17ROCPRIM_400000_NS6detail17trampoline_kernelINS0_14default_configENS1_20scan_config_selectorIxEEZZNS1_9scan_implILNS1_25lookback_scan_determinismE0ELb0ELb1ES3_N6thrust23THRUST_200600_302600_NS6detail15normal_iteratorINS9_10device_ptrIxEEEESE_xNS9_10multipliesIxEExEEDaPvRmT3_T4_T5_mT6_P12ihipStream_tbENKUlT_T0_E_clISt17integral_constantIbLb0EESU_EEDaSP_SQ_EUlSP_E_NS1_11comp_targetILNS1_3genE5ELNS1_11target_archE942ELNS1_3gpuE9ELNS1_3repE0EEENS1_30default_config_static_selectorELNS0_4arch9wavefront6targetE1EEEvT1_,"axG",@progbits,_ZN7rocprim17ROCPRIM_400000_NS6detail17trampoline_kernelINS0_14default_configENS1_20scan_config_selectorIxEEZZNS1_9scan_implILNS1_25lookback_scan_determinismE0ELb0ELb1ES3_N6thrust23THRUST_200600_302600_NS6detail15normal_iteratorINS9_10device_ptrIxEEEESE_xNS9_10multipliesIxEExEEDaPvRmT3_T4_T5_mT6_P12ihipStream_tbENKUlT_T0_E_clISt17integral_constantIbLb0EESU_EEDaSP_SQ_EUlSP_E_NS1_11comp_targetILNS1_3genE5ELNS1_11target_archE942ELNS1_3gpuE9ELNS1_3repE0EEENS1_30default_config_static_selectorELNS0_4arch9wavefront6targetE1EEEvT1_,comdat
	.protected	_ZN7rocprim17ROCPRIM_400000_NS6detail17trampoline_kernelINS0_14default_configENS1_20scan_config_selectorIxEEZZNS1_9scan_implILNS1_25lookback_scan_determinismE0ELb0ELb1ES3_N6thrust23THRUST_200600_302600_NS6detail15normal_iteratorINS9_10device_ptrIxEEEESE_xNS9_10multipliesIxEExEEDaPvRmT3_T4_T5_mT6_P12ihipStream_tbENKUlT_T0_E_clISt17integral_constantIbLb0EESU_EEDaSP_SQ_EUlSP_E_NS1_11comp_targetILNS1_3genE5ELNS1_11target_archE942ELNS1_3gpuE9ELNS1_3repE0EEENS1_30default_config_static_selectorELNS0_4arch9wavefront6targetE1EEEvT1_ ; -- Begin function _ZN7rocprim17ROCPRIM_400000_NS6detail17trampoline_kernelINS0_14default_configENS1_20scan_config_selectorIxEEZZNS1_9scan_implILNS1_25lookback_scan_determinismE0ELb0ELb1ES3_N6thrust23THRUST_200600_302600_NS6detail15normal_iteratorINS9_10device_ptrIxEEEESE_xNS9_10multipliesIxEExEEDaPvRmT3_T4_T5_mT6_P12ihipStream_tbENKUlT_T0_E_clISt17integral_constantIbLb0EESU_EEDaSP_SQ_EUlSP_E_NS1_11comp_targetILNS1_3genE5ELNS1_11target_archE942ELNS1_3gpuE9ELNS1_3repE0EEENS1_30default_config_static_selectorELNS0_4arch9wavefront6targetE1EEEvT1_
	.globl	_ZN7rocprim17ROCPRIM_400000_NS6detail17trampoline_kernelINS0_14default_configENS1_20scan_config_selectorIxEEZZNS1_9scan_implILNS1_25lookback_scan_determinismE0ELb0ELb1ES3_N6thrust23THRUST_200600_302600_NS6detail15normal_iteratorINS9_10device_ptrIxEEEESE_xNS9_10multipliesIxEExEEDaPvRmT3_T4_T5_mT6_P12ihipStream_tbENKUlT_T0_E_clISt17integral_constantIbLb0EESU_EEDaSP_SQ_EUlSP_E_NS1_11comp_targetILNS1_3genE5ELNS1_11target_archE942ELNS1_3gpuE9ELNS1_3repE0EEENS1_30default_config_static_selectorELNS0_4arch9wavefront6targetE1EEEvT1_
	.p2align	8
	.type	_ZN7rocprim17ROCPRIM_400000_NS6detail17trampoline_kernelINS0_14default_configENS1_20scan_config_selectorIxEEZZNS1_9scan_implILNS1_25lookback_scan_determinismE0ELb0ELb1ES3_N6thrust23THRUST_200600_302600_NS6detail15normal_iteratorINS9_10device_ptrIxEEEESE_xNS9_10multipliesIxEExEEDaPvRmT3_T4_T5_mT6_P12ihipStream_tbENKUlT_T0_E_clISt17integral_constantIbLb0EESU_EEDaSP_SQ_EUlSP_E_NS1_11comp_targetILNS1_3genE5ELNS1_11target_archE942ELNS1_3gpuE9ELNS1_3repE0EEENS1_30default_config_static_selectorELNS0_4arch9wavefront6targetE1EEEvT1_,@function
_ZN7rocprim17ROCPRIM_400000_NS6detail17trampoline_kernelINS0_14default_configENS1_20scan_config_selectorIxEEZZNS1_9scan_implILNS1_25lookback_scan_determinismE0ELb0ELb1ES3_N6thrust23THRUST_200600_302600_NS6detail15normal_iteratorINS9_10device_ptrIxEEEESE_xNS9_10multipliesIxEExEEDaPvRmT3_T4_T5_mT6_P12ihipStream_tbENKUlT_T0_E_clISt17integral_constantIbLb0EESU_EEDaSP_SQ_EUlSP_E_NS1_11comp_targetILNS1_3genE5ELNS1_11target_archE942ELNS1_3gpuE9ELNS1_3repE0EEENS1_30default_config_static_selectorELNS0_4arch9wavefront6targetE1EEEvT1_: ; @_ZN7rocprim17ROCPRIM_400000_NS6detail17trampoline_kernelINS0_14default_configENS1_20scan_config_selectorIxEEZZNS1_9scan_implILNS1_25lookback_scan_determinismE0ELb0ELb1ES3_N6thrust23THRUST_200600_302600_NS6detail15normal_iteratorINS9_10device_ptrIxEEEESE_xNS9_10multipliesIxEExEEDaPvRmT3_T4_T5_mT6_P12ihipStream_tbENKUlT_T0_E_clISt17integral_constantIbLb0EESU_EEDaSP_SQ_EUlSP_E_NS1_11comp_targetILNS1_3genE5ELNS1_11target_archE942ELNS1_3gpuE9ELNS1_3repE0EEENS1_30default_config_static_selectorELNS0_4arch9wavefront6targetE1EEEvT1_
; %bb.0:
	.section	.rodata,"a",@progbits
	.p2align	6, 0x0
	.amdhsa_kernel _ZN7rocprim17ROCPRIM_400000_NS6detail17trampoline_kernelINS0_14default_configENS1_20scan_config_selectorIxEEZZNS1_9scan_implILNS1_25lookback_scan_determinismE0ELb0ELb1ES3_N6thrust23THRUST_200600_302600_NS6detail15normal_iteratorINS9_10device_ptrIxEEEESE_xNS9_10multipliesIxEExEEDaPvRmT3_T4_T5_mT6_P12ihipStream_tbENKUlT_T0_E_clISt17integral_constantIbLb0EESU_EEDaSP_SQ_EUlSP_E_NS1_11comp_targetILNS1_3genE5ELNS1_11target_archE942ELNS1_3gpuE9ELNS1_3repE0EEENS1_30default_config_static_selectorELNS0_4arch9wavefront6targetE1EEEvT1_
		.amdhsa_group_segment_fixed_size 0
		.amdhsa_private_segment_fixed_size 0
		.amdhsa_kernarg_size 104
		.amdhsa_user_sgpr_count 6
		.amdhsa_user_sgpr_private_segment_buffer 1
		.amdhsa_user_sgpr_dispatch_ptr 0
		.amdhsa_user_sgpr_queue_ptr 0
		.amdhsa_user_sgpr_kernarg_segment_ptr 1
		.amdhsa_user_sgpr_dispatch_id 0
		.amdhsa_user_sgpr_flat_scratch_init 0
		.amdhsa_user_sgpr_kernarg_preload_length 0
		.amdhsa_user_sgpr_kernarg_preload_offset 0
		.amdhsa_user_sgpr_private_segment_size 0
		.amdhsa_uses_dynamic_stack 0
		.amdhsa_system_sgpr_private_segment_wavefront_offset 0
		.amdhsa_system_sgpr_workgroup_id_x 1
		.amdhsa_system_sgpr_workgroup_id_y 0
		.amdhsa_system_sgpr_workgroup_id_z 0
		.amdhsa_system_sgpr_workgroup_info 0
		.amdhsa_system_vgpr_workitem_id 0
		.amdhsa_next_free_vgpr 1
		.amdhsa_next_free_sgpr 0
		.amdhsa_accum_offset 4
		.amdhsa_reserve_vcc 0
		.amdhsa_reserve_flat_scratch 0
		.amdhsa_float_round_mode_32 0
		.amdhsa_float_round_mode_16_64 0
		.amdhsa_float_denorm_mode_32 3
		.amdhsa_float_denorm_mode_16_64 3
		.amdhsa_dx10_clamp 1
		.amdhsa_ieee_mode 1
		.amdhsa_fp16_overflow 0
		.amdhsa_tg_split 0
		.amdhsa_exception_fp_ieee_invalid_op 0
		.amdhsa_exception_fp_denorm_src 0
		.amdhsa_exception_fp_ieee_div_zero 0
		.amdhsa_exception_fp_ieee_overflow 0
		.amdhsa_exception_fp_ieee_underflow 0
		.amdhsa_exception_fp_ieee_inexact 0
		.amdhsa_exception_int_div_zero 0
	.end_amdhsa_kernel
	.section	.text._ZN7rocprim17ROCPRIM_400000_NS6detail17trampoline_kernelINS0_14default_configENS1_20scan_config_selectorIxEEZZNS1_9scan_implILNS1_25lookback_scan_determinismE0ELb0ELb1ES3_N6thrust23THRUST_200600_302600_NS6detail15normal_iteratorINS9_10device_ptrIxEEEESE_xNS9_10multipliesIxEExEEDaPvRmT3_T4_T5_mT6_P12ihipStream_tbENKUlT_T0_E_clISt17integral_constantIbLb0EESU_EEDaSP_SQ_EUlSP_E_NS1_11comp_targetILNS1_3genE5ELNS1_11target_archE942ELNS1_3gpuE9ELNS1_3repE0EEENS1_30default_config_static_selectorELNS0_4arch9wavefront6targetE1EEEvT1_,"axG",@progbits,_ZN7rocprim17ROCPRIM_400000_NS6detail17trampoline_kernelINS0_14default_configENS1_20scan_config_selectorIxEEZZNS1_9scan_implILNS1_25lookback_scan_determinismE0ELb0ELb1ES3_N6thrust23THRUST_200600_302600_NS6detail15normal_iteratorINS9_10device_ptrIxEEEESE_xNS9_10multipliesIxEExEEDaPvRmT3_T4_T5_mT6_P12ihipStream_tbENKUlT_T0_E_clISt17integral_constantIbLb0EESU_EEDaSP_SQ_EUlSP_E_NS1_11comp_targetILNS1_3genE5ELNS1_11target_archE942ELNS1_3gpuE9ELNS1_3repE0EEENS1_30default_config_static_selectorELNS0_4arch9wavefront6targetE1EEEvT1_,comdat
.Lfunc_end271:
	.size	_ZN7rocprim17ROCPRIM_400000_NS6detail17trampoline_kernelINS0_14default_configENS1_20scan_config_selectorIxEEZZNS1_9scan_implILNS1_25lookback_scan_determinismE0ELb0ELb1ES3_N6thrust23THRUST_200600_302600_NS6detail15normal_iteratorINS9_10device_ptrIxEEEESE_xNS9_10multipliesIxEExEEDaPvRmT3_T4_T5_mT6_P12ihipStream_tbENKUlT_T0_E_clISt17integral_constantIbLb0EESU_EEDaSP_SQ_EUlSP_E_NS1_11comp_targetILNS1_3genE5ELNS1_11target_archE942ELNS1_3gpuE9ELNS1_3repE0EEENS1_30default_config_static_selectorELNS0_4arch9wavefront6targetE1EEEvT1_, .Lfunc_end271-_ZN7rocprim17ROCPRIM_400000_NS6detail17trampoline_kernelINS0_14default_configENS1_20scan_config_selectorIxEEZZNS1_9scan_implILNS1_25lookback_scan_determinismE0ELb0ELb1ES3_N6thrust23THRUST_200600_302600_NS6detail15normal_iteratorINS9_10device_ptrIxEEEESE_xNS9_10multipliesIxEExEEDaPvRmT3_T4_T5_mT6_P12ihipStream_tbENKUlT_T0_E_clISt17integral_constantIbLb0EESU_EEDaSP_SQ_EUlSP_E_NS1_11comp_targetILNS1_3genE5ELNS1_11target_archE942ELNS1_3gpuE9ELNS1_3repE0EEENS1_30default_config_static_selectorELNS0_4arch9wavefront6targetE1EEEvT1_
                                        ; -- End function
	.section	.AMDGPU.csdata,"",@progbits
; Kernel info:
; codeLenInByte = 0
; NumSgprs: 4
; NumVgprs: 0
; NumAgprs: 0
; TotalNumVgprs: 0
; ScratchSize: 0
; MemoryBound: 0
; FloatMode: 240
; IeeeMode: 1
; LDSByteSize: 0 bytes/workgroup (compile time only)
; SGPRBlocks: 0
; VGPRBlocks: 0
; NumSGPRsForWavesPerEU: 4
; NumVGPRsForWavesPerEU: 1
; AccumOffset: 4
; Occupancy: 8
; WaveLimiterHint : 0
; COMPUTE_PGM_RSRC2:SCRATCH_EN: 0
; COMPUTE_PGM_RSRC2:USER_SGPR: 6
; COMPUTE_PGM_RSRC2:TRAP_HANDLER: 0
; COMPUTE_PGM_RSRC2:TGID_X_EN: 1
; COMPUTE_PGM_RSRC2:TGID_Y_EN: 0
; COMPUTE_PGM_RSRC2:TGID_Z_EN: 0
; COMPUTE_PGM_RSRC2:TIDIG_COMP_CNT: 0
; COMPUTE_PGM_RSRC3_GFX90A:ACCUM_OFFSET: 0
; COMPUTE_PGM_RSRC3_GFX90A:TG_SPLIT: 0
	.section	.text._ZN7rocprim17ROCPRIM_400000_NS6detail17trampoline_kernelINS0_14default_configENS1_20scan_config_selectorIxEEZZNS1_9scan_implILNS1_25lookback_scan_determinismE0ELb0ELb1ES3_N6thrust23THRUST_200600_302600_NS6detail15normal_iteratorINS9_10device_ptrIxEEEESE_xNS9_10multipliesIxEExEEDaPvRmT3_T4_T5_mT6_P12ihipStream_tbENKUlT_T0_E_clISt17integral_constantIbLb0EESU_EEDaSP_SQ_EUlSP_E_NS1_11comp_targetILNS1_3genE4ELNS1_11target_archE910ELNS1_3gpuE8ELNS1_3repE0EEENS1_30default_config_static_selectorELNS0_4arch9wavefront6targetE1EEEvT1_,"axG",@progbits,_ZN7rocprim17ROCPRIM_400000_NS6detail17trampoline_kernelINS0_14default_configENS1_20scan_config_selectorIxEEZZNS1_9scan_implILNS1_25lookback_scan_determinismE0ELb0ELb1ES3_N6thrust23THRUST_200600_302600_NS6detail15normal_iteratorINS9_10device_ptrIxEEEESE_xNS9_10multipliesIxEExEEDaPvRmT3_T4_T5_mT6_P12ihipStream_tbENKUlT_T0_E_clISt17integral_constantIbLb0EESU_EEDaSP_SQ_EUlSP_E_NS1_11comp_targetILNS1_3genE4ELNS1_11target_archE910ELNS1_3gpuE8ELNS1_3repE0EEENS1_30default_config_static_selectorELNS0_4arch9wavefront6targetE1EEEvT1_,comdat
	.protected	_ZN7rocprim17ROCPRIM_400000_NS6detail17trampoline_kernelINS0_14default_configENS1_20scan_config_selectorIxEEZZNS1_9scan_implILNS1_25lookback_scan_determinismE0ELb0ELb1ES3_N6thrust23THRUST_200600_302600_NS6detail15normal_iteratorINS9_10device_ptrIxEEEESE_xNS9_10multipliesIxEExEEDaPvRmT3_T4_T5_mT6_P12ihipStream_tbENKUlT_T0_E_clISt17integral_constantIbLb0EESU_EEDaSP_SQ_EUlSP_E_NS1_11comp_targetILNS1_3genE4ELNS1_11target_archE910ELNS1_3gpuE8ELNS1_3repE0EEENS1_30default_config_static_selectorELNS0_4arch9wavefront6targetE1EEEvT1_ ; -- Begin function _ZN7rocprim17ROCPRIM_400000_NS6detail17trampoline_kernelINS0_14default_configENS1_20scan_config_selectorIxEEZZNS1_9scan_implILNS1_25lookback_scan_determinismE0ELb0ELb1ES3_N6thrust23THRUST_200600_302600_NS6detail15normal_iteratorINS9_10device_ptrIxEEEESE_xNS9_10multipliesIxEExEEDaPvRmT3_T4_T5_mT6_P12ihipStream_tbENKUlT_T0_E_clISt17integral_constantIbLb0EESU_EEDaSP_SQ_EUlSP_E_NS1_11comp_targetILNS1_3genE4ELNS1_11target_archE910ELNS1_3gpuE8ELNS1_3repE0EEENS1_30default_config_static_selectorELNS0_4arch9wavefront6targetE1EEEvT1_
	.globl	_ZN7rocprim17ROCPRIM_400000_NS6detail17trampoline_kernelINS0_14default_configENS1_20scan_config_selectorIxEEZZNS1_9scan_implILNS1_25lookback_scan_determinismE0ELb0ELb1ES3_N6thrust23THRUST_200600_302600_NS6detail15normal_iteratorINS9_10device_ptrIxEEEESE_xNS9_10multipliesIxEExEEDaPvRmT3_T4_T5_mT6_P12ihipStream_tbENKUlT_T0_E_clISt17integral_constantIbLb0EESU_EEDaSP_SQ_EUlSP_E_NS1_11comp_targetILNS1_3genE4ELNS1_11target_archE910ELNS1_3gpuE8ELNS1_3repE0EEENS1_30default_config_static_selectorELNS0_4arch9wavefront6targetE1EEEvT1_
	.p2align	8
	.type	_ZN7rocprim17ROCPRIM_400000_NS6detail17trampoline_kernelINS0_14default_configENS1_20scan_config_selectorIxEEZZNS1_9scan_implILNS1_25lookback_scan_determinismE0ELb0ELb1ES3_N6thrust23THRUST_200600_302600_NS6detail15normal_iteratorINS9_10device_ptrIxEEEESE_xNS9_10multipliesIxEExEEDaPvRmT3_T4_T5_mT6_P12ihipStream_tbENKUlT_T0_E_clISt17integral_constantIbLb0EESU_EEDaSP_SQ_EUlSP_E_NS1_11comp_targetILNS1_3genE4ELNS1_11target_archE910ELNS1_3gpuE8ELNS1_3repE0EEENS1_30default_config_static_selectorELNS0_4arch9wavefront6targetE1EEEvT1_,@function
_ZN7rocprim17ROCPRIM_400000_NS6detail17trampoline_kernelINS0_14default_configENS1_20scan_config_selectorIxEEZZNS1_9scan_implILNS1_25lookback_scan_determinismE0ELb0ELb1ES3_N6thrust23THRUST_200600_302600_NS6detail15normal_iteratorINS9_10device_ptrIxEEEESE_xNS9_10multipliesIxEExEEDaPvRmT3_T4_T5_mT6_P12ihipStream_tbENKUlT_T0_E_clISt17integral_constantIbLb0EESU_EEDaSP_SQ_EUlSP_E_NS1_11comp_targetILNS1_3genE4ELNS1_11target_archE910ELNS1_3gpuE8ELNS1_3repE0EEENS1_30default_config_static_selectorELNS0_4arch9wavefront6targetE1EEEvT1_: ; @_ZN7rocprim17ROCPRIM_400000_NS6detail17trampoline_kernelINS0_14default_configENS1_20scan_config_selectorIxEEZZNS1_9scan_implILNS1_25lookback_scan_determinismE0ELb0ELb1ES3_N6thrust23THRUST_200600_302600_NS6detail15normal_iteratorINS9_10device_ptrIxEEEESE_xNS9_10multipliesIxEExEEDaPvRmT3_T4_T5_mT6_P12ihipStream_tbENKUlT_T0_E_clISt17integral_constantIbLb0EESU_EEDaSP_SQ_EUlSP_E_NS1_11comp_targetILNS1_3genE4ELNS1_11target_archE910ELNS1_3gpuE8ELNS1_3repE0EEENS1_30default_config_static_selectorELNS0_4arch9wavefront6targetE1EEEvT1_
; %bb.0:
	s_load_dwordx8 s[8:15], s[4:5], 0x0
	s_load_dword s1, s[4:5], 0x38
	s_mul_i32 s0, s6, 0x380
	v_lshlrev_b32_e32 v48, 3, v0
	s_waitcnt lgkmcnt(0)
	s_lshl_b64 s[16:17], s[10:11], 3
	s_add_u32 s2, s8, s16
	s_addc_u32 s3, s9, s17
	s_add_i32 s7, s1, -1
	s_mul_i32 s8, s7, 0x380
	s_sub_u32 s26, s14, s8
	s_subb_u32 s27, s15, 0
	s_mov_b32 s1, 0
	s_cmp_lg_u32 s6, s7
	s_cselect_b64 s[14:15], -1, 0
	s_lshl_b64 s[18:19], s[0:1], 3
	s_add_u32 s2, s2, s18
	s_addc_u32 s3, s3, s19
	s_mov_b64 s[0:1], -1
	s_and_b64 vcc, exec, s[14:15]
	s_cbranch_vccz .LBB272_2
; %bb.1:
	v_mov_b32_e32 v1, s3
	v_add_co_u32_e32 v2, vcc, s2, v48
	v_addc_co_u32_e32 v3, vcc, 0, v1, vcc
	flat_load_dwordx2 v[4:5], v[2:3]
	flat_load_dwordx2 v[6:7], v[2:3] offset:1024
	flat_load_dwordx2 v[8:9], v[2:3] offset:2048
	;; [unrolled: 1-line block ×3, first 2 shown]
	v_add_co_u32_e32 v2, vcc, 0x1000, v2
	v_addc_co_u32_e32 v3, vcc, 0, v3, vcc
	flat_load_dwordx2 v[12:13], v[2:3]
	flat_load_dwordx2 v[14:15], v[2:3] offset:1024
	flat_load_dwordx2 v[16:17], v[2:3] offset:2048
	s_mov_b64 s[0:1], 0
	s_waitcnt vmcnt(0) lgkmcnt(0)
	ds_write2st64_b64 v48, v[4:5], v[6:7] offset1:2
	ds_write2st64_b64 v48, v[8:9], v[10:11] offset0:4 offset1:6
	ds_write2st64_b64 v48, v[12:13], v[14:15] offset0:8 offset1:10
	ds_write_b64 v48, v[16:17] offset:6144
	s_waitcnt lgkmcnt(0)
	s_barrier
.LBB272_2:
	s_load_dwordx2 s[22:23], s[4:5], 0x20
	s_load_dwordx2 s[20:21], s[4:5], 0x30
	s_andn2_b64 vcc, exec, s[0:1]
	v_cmp_gt_u32_e64 s[0:1], s26, v0
	s_cbranch_vccnz .LBB272_18
; %bb.3:
	v_pk_mov_b32 v[2:3], s[2:3], s[2:3] op_sel:[0,1]
	flat_load_dwordx2 v[2:3], v[2:3]
	s_waitcnt vmcnt(0) lgkmcnt(0)
	v_mov_b32_e32 v4, v2
	v_mov_b32_e32 v5, v3
	;; [unrolled: 1-line block ×10, first 2 shown]
	v_pk_mov_b32 v[18:19], v[14:15], v[14:15] op_sel:[0,1]
	v_pk_mov_b32 v[16:17], v[12:13], v[12:13] op_sel:[0,1]
	;; [unrolled: 1-line block ×8, first 2 shown]
	s_and_saveexec_b64 s[8:9], s[0:1]
	s_cbranch_execz .LBB272_5
; %bb.4:
	v_mov_b32_e32 v1, s3
	v_add_co_u32_e32 v4, vcc, s2, v48
	v_addc_co_u32_e32 v5, vcc, 0, v1, vcc
	flat_load_dwordx2 v[20:21], v[4:5]
	v_mov_b32_e32 v4, v2
	v_mov_b32_e32 v5, v3
	;; [unrolled: 1-line block ×10, first 2 shown]
	v_pk_mov_b32 v[18:19], v[14:15], v[14:15] op_sel:[0,1]
	v_pk_mov_b32 v[16:17], v[12:13], v[12:13] op_sel:[0,1]
	;; [unrolled: 1-line block ×8, first 2 shown]
	s_waitcnt vmcnt(0) lgkmcnt(0)
	v_pk_mov_b32 v[2:3], v[20:21], v[20:21] op_sel:[0,1]
.LBB272_5:
	s_or_b64 exec, exec, s[8:9]
	v_or_b32_e32 v1, 0x80, v0
	v_cmp_gt_u32_e32 vcc, s26, v1
	s_and_saveexec_b64 s[0:1], vcc
	s_cbranch_execz .LBB272_7
; %bb.6:
	v_mov_b32_e32 v1, s3
	v_add_co_u32_e32 v4, vcc, s2, v48
	v_addc_co_u32_e32 v5, vcc, 0, v1, vcc
	flat_load_dwordx2 v[6:7], v[4:5] offset:1024
.LBB272_7:
	s_or_b64 exec, exec, s[0:1]
	v_or_b32_e32 v1, 0x100, v0
	v_cmp_gt_u32_e32 vcc, s26, v1
	s_and_saveexec_b64 s[0:1], vcc
	s_cbranch_execz .LBB272_9
; %bb.8:
	v_mov_b32_e32 v1, s3
	v_add_co_u32_e32 v4, vcc, s2, v48
	v_addc_co_u32_e32 v5, vcc, 0, v1, vcc
	flat_load_dwordx2 v[8:9], v[4:5] offset:2048
.LBB272_9:
	;; [unrolled: 11-line block ×3, first 2 shown]
	s_or_b64 exec, exec, s[0:1]
	v_or_b32_e32 v1, 0x200, v0
	v_cmp_gt_u32_e32 vcc, s26, v1
	s_and_saveexec_b64 s[0:1], vcc
	s_cbranch_execz .LBB272_13
; %bb.12:
	v_lshlrev_b32_e32 v1, 3, v1
	v_mov_b32_e32 v5, s3
	v_add_co_u32_e32 v4, vcc, s2, v1
	v_addc_co_u32_e32 v5, vcc, 0, v5, vcc
	flat_load_dwordx2 v[12:13], v[4:5]
.LBB272_13:
	s_or_b64 exec, exec, s[0:1]
	v_or_b32_e32 v1, 0x280, v0
	v_cmp_gt_u32_e32 vcc, s26, v1
	s_and_saveexec_b64 s[0:1], vcc
	s_cbranch_execz .LBB272_15
; %bb.14:
	v_lshlrev_b32_e32 v1, 3, v1
	v_mov_b32_e32 v5, s3
	v_add_co_u32_e32 v4, vcc, s2, v1
	v_addc_co_u32_e32 v5, vcc, 0, v5, vcc
	flat_load_dwordx2 v[14:15], v[4:5]
.LBB272_15:
	;; [unrolled: 12-line block ×3, first 2 shown]
	s_or_b64 exec, exec, s[0:1]
	s_waitcnt vmcnt(0) lgkmcnt(0)
	ds_write2st64_b64 v48, v[2:3], v[6:7] offset1:2
	ds_write2st64_b64 v48, v[8:9], v[10:11] offset0:4 offset1:6
	ds_write2st64_b64 v48, v[12:13], v[14:15] offset0:8 offset1:10
	ds_write_b64 v48, v[16:17] offset:6144
	s_waitcnt lgkmcnt(0)
	s_barrier
.LBB272_18:
	v_mul_u32_u24_e32 v49, 7, v0
	v_lshlrev_b32_e32 v1, 3, v49
	s_waitcnt lgkmcnt(0)
	ds_read2_b64 v[2:5], v1 offset1:1
	ds_read2_b64 v[10:13], v1 offset0:2 offset1:3
	ds_read2_b64 v[6:9], v1 offset0:4 offset1:5
	ds_read_b64 v[28:29], v1 offset:48
	s_cmp_lg_u32 s6, 0
	v_lshrrev_b32_e32 v1, 5, v0
	v_cmp_gt_u32_e32 vcc, 64, v0
	s_waitcnt lgkmcnt(0)
	s_barrier
	s_cbranch_scc0 .LBB272_79
; %bb.19:
	v_mul_lo_u32 v16, v5, v2
	v_mul_lo_u32 v17, v4, v3
	v_mad_u64_u32 v[14:15], s[0:1], v4, v2, 0
	v_add3_u32 v15, v15, v17, v16
	v_mul_lo_u32 v16, v15, v10
	v_mul_lo_u32 v17, v14, v11
	v_mad_u64_u32 v[14:15], s[0:1], v14, v10, 0
	v_add3_u32 v15, v15, v17, v16
	;; [unrolled: 4-line block ×6, first 2 shown]
	v_add_lshl_u32 v14, v1, v0, 3
	ds_write_b64 v14, v[18:19]
	s_waitcnt lgkmcnt(0)
	s_barrier
	s_and_saveexec_b64 s[2:3], vcc
	s_cbranch_execz .LBB272_33
; %bb.20:
	v_lshlrev_b32_e32 v14, 1, v0
	v_lshrrev_b32_e32 v15, 4, v0
	v_add_lshl_u32 v20, v15, v14, 3
	ds_read2_b64 v[14:17], v20 offset1:1
	s_waitcnt lgkmcnt(0)
	v_mul_lo_u32 v21, v17, v14
	v_mul_lo_u32 v22, v16, v15
	v_mad_u64_u32 v[16:17], s[0:1], v16, v14, 0
	v_add3_u32 v17, v17, v22, v21
	v_mbcnt_lo_u32_b32 v21, -1, 0
	v_mbcnt_hi_u32_b32 v21, -1, v21
	v_and_b32_e32 v22, 15, v21
	v_mov_b32_dpp v23, v16 row_shr:1 row_mask:0xf bank_mask:0xf
	v_mov_b32_dpp v24, v17 row_shr:1 row_mask:0xf bank_mask:0xf
	v_cmp_ne_u32_e64 s[0:1], 0, v22
	s_and_saveexec_b64 s[8:9], s[0:1]
; %bb.21:
	v_mul_lo_u32 v24, v24, v16
	v_mul_lo_u32 v25, v23, v17
	v_mad_u64_u32 v[16:17], s[0:1], v23, v16, 0
	v_add3_u32 v17, v17, v25, v24
; %bb.22:
	s_or_b64 exec, exec, s[8:9]
	v_mov_b32_dpp v23, v16 row_shr:2 row_mask:0xf bank_mask:0xf
	v_mov_b32_dpp v24, v17 row_shr:2 row_mask:0xf bank_mask:0xf
	v_cmp_lt_u32_e64 s[0:1], 1, v22
	s_and_saveexec_b64 s[8:9], s[0:1]
; %bb.23:
	v_mul_lo_u32 v24, v24, v16
	v_mul_lo_u32 v25, v23, v17
	v_mad_u64_u32 v[16:17], s[0:1], v23, v16, 0
	v_add3_u32 v17, v17, v25, v24
; %bb.24:
	s_or_b64 exec, exec, s[8:9]
	v_mov_b32_dpp v23, v16 row_shr:4 row_mask:0xf bank_mask:0xf
	v_mov_b32_dpp v24, v17 row_shr:4 row_mask:0xf bank_mask:0xf
	v_cmp_lt_u32_e64 s[0:1], 3, v22
	s_and_saveexec_b64 s[8:9], s[0:1]
; %bb.25:
	v_mul_lo_u32 v24, v24, v16
	v_mul_lo_u32 v25, v23, v17
	v_mad_u64_u32 v[16:17], s[0:1], v23, v16, 0
	v_add3_u32 v17, v17, v25, v24
; %bb.26:
	s_or_b64 exec, exec, s[8:9]
	v_mov_b32_dpp v23, v16 row_shr:8 row_mask:0xf bank_mask:0xf
	v_mov_b32_dpp v24, v17 row_shr:8 row_mask:0xf bank_mask:0xf
	v_cmp_lt_u32_e64 s[0:1], 7, v22
	s_and_saveexec_b64 s[8:9], s[0:1]
; %bb.27:
	v_mul_lo_u32 v22, v24, v16
	v_mul_lo_u32 v24, v23, v17
	v_mad_u64_u32 v[16:17], s[0:1], v23, v16, 0
	v_add3_u32 v17, v17, v24, v22
; %bb.28:
	s_or_b64 exec, exec, s[8:9]
	v_and_b32_e32 v24, 16, v21
	v_mov_b32_dpp v22, v16 row_bcast:15 row_mask:0xf bank_mask:0xf
	v_mov_b32_dpp v23, v17 row_bcast:15 row_mask:0xf bank_mask:0xf
	v_cmp_ne_u32_e64 s[0:1], 0, v24
	s_and_saveexec_b64 s[8:9], s[0:1]
; %bb.29:
	v_mul_lo_u32 v23, v23, v16
	v_mul_lo_u32 v24, v22, v17
	v_mad_u64_u32 v[16:17], s[0:1], v22, v16, 0
	v_add3_u32 v17, v17, v24, v23
; %bb.30:
	s_or_b64 exec, exec, s[8:9]
	v_mov_b32_dpp v22, v16 row_bcast:31 row_mask:0xf bank_mask:0xf
	v_mov_b32_dpp v23, v17 row_bcast:31 row_mask:0xf bank_mask:0xf
	v_cmp_lt_u32_e64 s[0:1], 31, v21
	s_and_saveexec_b64 s[8:9], s[0:1]
; %bb.31:
	v_mul_lo_u32 v23, v23, v16
	v_mul_lo_u32 v24, v22, v17
	v_mad_u64_u32 v[16:17], s[0:1], v22, v16, 0
	v_add3_u32 v17, v17, v24, v23
; %bb.32:
	s_or_b64 exec, exec, s[8:9]
	v_add_u32_e32 v22, -1, v21
	v_and_b32_e32 v23, 64, v21
	v_cmp_lt_i32_e64 s[0:1], v22, v23
	v_cndmask_b32_e64 v21, v22, v21, s[0:1]
	v_lshlrev_b32_e32 v21, 2, v21
	ds_bpermute_b32 v17, v21, v17
	ds_bpermute_b32 v16, v21, v16
	; wave barrier
	s_waitcnt lgkmcnt(1)
	v_mul_lo_u32 v17, v17, v14
	s_waitcnt lgkmcnt(0)
	v_mul_lo_u32 v21, v16, v15
	v_mad_u64_u32 v[14:15], s[0:1], v16, v14, 0
	v_add3_u32 v15, v15, v21, v17
	v_cmp_eq_u32_e64 s[0:1], 0, v0
	v_cndmask_b32_e64 v15, v15, v19, s[0:1]
	v_cndmask_b32_e64 v14, v14, v18, s[0:1]
	ds_write_b64 v20, v[14:15]
	; wave barrier
	ds_read_b64 v[16:17], v20 offset:8
	s_waitcnt lgkmcnt(0)
	v_mul_lo_u32 v18, v16, v15
	v_mul_lo_u32 v17, v17, v14
	v_mad_u64_u32 v[14:15], s[0:1], v16, v14, 0
	v_add3_u32 v15, v15, v18, v17
	ds_write_b64 v20, v[14:15] offset:8
.LBB272_33:
	s_or_b64 exec, exec, s[2:3]
	v_mov_b32_e32 v22, 1
	v_cmp_eq_u32_e64 s[0:1], 0, v0
	v_cmp_ne_u32_e64 s[2:3], 0, v0
	v_mov_b32_e32 v23, 0
	s_waitcnt lgkmcnt(0)
	s_barrier
	s_and_saveexec_b64 s[8:9], s[2:3]
	s_cbranch_execz .LBB272_35
; %bb.34:
	v_add_u32_e32 v14, -1, v0
	v_lshrrev_b32_e32 v15, 5, v14
	v_add_lshl_u32 v14, v15, v14, 3
	ds_read_b64 v[22:23], v14
.LBB272_35:
	s_or_b64 exec, exec, s[8:9]
	s_and_saveexec_b64 s[8:9], vcc
	s_cbranch_execz .LBB272_78
; %bb.36:
	v_mov_b32_e32 v17, 0
	ds_read_b64 v[14:15], v17 offset:1040
	v_mbcnt_lo_u32_b32 v16, -1, 0
	v_mbcnt_hi_u32_b32 v25, -1, v16
	s_mov_b32 s25, 0
	v_cmp_eq_u32_e64 s[2:3], 0, v25
	s_and_saveexec_b64 s[10:11], s[2:3]
	s_cbranch_execz .LBB272_38
; %bb.37:
	s_add_i32 s24, s6, 64
	s_lshl_b64 s[24:25], s[24:25], 4
	s_add_u32 s24, s20, s24
	s_addc_u32 s25, s21, s25
	v_mov_b32_e32 v16, 1
	v_pk_mov_b32 v[18:19], s[24:25], s[24:25] op_sel:[0,1]
	s_waitcnt lgkmcnt(0)
	;;#ASMSTART
	global_store_dwordx4 v[18:19], v[14:17] off	
s_waitcnt vmcnt(0)
	;;#ASMEND
.LBB272_38:
	s_or_b64 exec, exec, s[10:11]
	v_xad_u32 v24, v25, -1, s6
	v_add_u32_e32 v16, 64, v24
	v_lshlrev_b64 v[18:19], 4, v[16:17]
	v_mov_b32_e32 v16, s21
	v_add_co_u32_e32 v26, vcc, s20, v18
	v_addc_co_u32_e32 v27, vcc, v16, v19, vcc
	;;#ASMSTART
	global_load_dwordx4 v[18:21], v[26:27] off glc	
s_waitcnt vmcnt(0)
	;;#ASMEND
	v_and_b32_e32 v16, 0xff, v19
	v_and_b32_e32 v21, 0xff00, v19
	v_or3_b32 v16, 0, v16, v21
	v_or3_b32 v18, v18, 0, 0
	v_and_b32_e32 v21, 0xff000000, v19
	v_and_b32_e32 v19, 0xff0000, v19
	v_or3_b32 v19, v16, v19, v21
	v_or3_b32 v18, v18, 0, 0
	v_cmp_eq_u16_sdwa s[24:25], v20, v17 src0_sel:BYTE_0 src1_sel:DWORD
	s_and_saveexec_b64 s[10:11], s[24:25]
	s_cbranch_execz .LBB272_42
; %bb.39:
	s_mov_b64 s[24:25], 0
	v_mov_b32_e32 v16, 0
.LBB272_40:                             ; =>This Inner Loop Header: Depth=1
	;;#ASMSTART
	global_load_dwordx4 v[18:21], v[26:27] off glc	
s_waitcnt vmcnt(0)
	;;#ASMEND
	v_cmp_ne_u16_sdwa s[28:29], v20, v16 src0_sel:BYTE_0 src1_sel:DWORD
	s_or_b64 s[24:25], s[28:29], s[24:25]
	s_andn2_b64 exec, exec, s[24:25]
	s_cbranch_execnz .LBB272_40
; %bb.41:
	s_or_b64 exec, exec, s[24:25]
.LBB272_42:
	s_or_b64 exec, exec, s[10:11]
	v_and_b32_e32 v32, 63, v25
	v_mov_b32_e32 v16, 2
	v_cmp_ne_u32_e32 vcc, 63, v32
	v_cmp_eq_u16_sdwa s[10:11], v20, v16 src0_sel:BYTE_0 src1_sel:DWORD
	v_lshlrev_b64 v[16:17], v25, -1
	v_addc_co_u32_e32 v26, vcc, 0, v25, vcc
	v_and_b32_e32 v21, s11, v17
	v_lshlrev_b32_e32 v33, 2, v26
	v_or_b32_e32 v21, 0x80000000, v21
	ds_bpermute_b32 v26, v33, v18
	ds_bpermute_b32 v27, v33, v19
	v_and_b32_e32 v30, s10, v16
	v_ffbl_b32_e32 v21, v21
	v_add_u32_e32 v21, 32, v21
	v_ffbl_b32_e32 v30, v30
	v_min_u32_e32 v21, v30, v21
	v_cmp_lt_u32_e32 vcc, v32, v21
	s_and_saveexec_b64 s[10:11], vcc
	s_cbranch_execz .LBB272_44
; %bb.43:
	s_waitcnt lgkmcnt(0)
	v_mul_lo_u32 v27, v27, v18
	v_mul_lo_u32 v30, v26, v19
	v_mad_u64_u32 v[18:19], s[24:25], v26, v18, 0
	v_add3_u32 v19, v19, v30, v27
.LBB272_44:
	s_or_b64 exec, exec, s[10:11]
	v_cmp_gt_u32_e32 vcc, 62, v32
	s_waitcnt lgkmcnt(1)
	v_cndmask_b32_e64 v26, 0, 1, vcc
	v_lshlrev_b32_e32 v26, 1, v26
	v_add_lshl_u32 v34, v26, v25, 2
	ds_bpermute_b32 v26, v34, v18
	s_waitcnt lgkmcnt(1)
	ds_bpermute_b32 v27, v34, v19
	v_add_u32_e32 v35, 2, v32
	v_cmp_le_u32_e32 vcc, v35, v21
	s_and_saveexec_b64 s[10:11], vcc
	s_cbranch_execz .LBB272_46
; %bb.45:
	s_waitcnt lgkmcnt(0)
	v_mul_lo_u32 v27, v27, v18
	v_mul_lo_u32 v30, v26, v19
	v_mad_u64_u32 v[18:19], s[24:25], v26, v18, 0
	v_add3_u32 v19, v19, v30, v27
.LBB272_46:
	s_or_b64 exec, exec, s[10:11]
	v_cmp_gt_u32_e32 vcc, 60, v32
	s_waitcnt lgkmcnt(1)
	v_cndmask_b32_e64 v26, 0, 1, vcc
	v_lshlrev_b32_e32 v26, 2, v26
	v_add_lshl_u32 v36, v26, v25, 2
	ds_bpermute_b32 v26, v36, v18
	s_waitcnt lgkmcnt(1)
	ds_bpermute_b32 v27, v36, v19
	v_add_u32_e32 v37, 4, v32
	v_cmp_le_u32_e32 vcc, v37, v21
	;; [unrolled: 20-line block ×4, first 2 shown]
	s_and_saveexec_b64 s[10:11], vcc
	s_cbranch_execz .LBB272_52
; %bb.51:
	s_waitcnt lgkmcnt(0)
	v_mul_lo_u32 v27, v27, v18
	v_mul_lo_u32 v30, v26, v19
	v_mad_u64_u32 v[18:19], s[24:25], v26, v18, 0
	v_add3_u32 v19, v19, v30, v27
.LBB272_52:
	s_or_b64 exec, exec, s[10:11]
	v_cmp_gt_u32_e32 vcc, 32, v32
	s_waitcnt lgkmcnt(1)
	v_cndmask_b32_e64 v26, 0, 1, vcc
	v_lshlrev_b32_e32 v26, 5, v26
	v_add_lshl_u32 v42, v26, v25, 2
	ds_bpermute_b32 v25, v42, v18
	ds_bpermute_b32 v26, v42, v19
	v_add_u32_e32 v43, 32, v32
	v_cmp_le_u32_e32 vcc, v43, v21
	s_and_saveexec_b64 s[10:11], vcc
	s_cbranch_execz .LBB272_54
; %bb.53:
	s_waitcnt lgkmcnt(0)
	v_mul_lo_u32 v21, v26, v18
	v_mul_lo_u32 v26, v25, v19
	v_mad_u64_u32 v[18:19], s[24:25], v25, v18, 0
	v_add3_u32 v19, v19, v26, v21
.LBB272_54:
	s_or_b64 exec, exec, s[10:11]
	s_waitcnt lgkmcnt(1)
	v_mov_b32_e32 v25, 0
	v_mov_b32_e32 v44, 2
	s_branch .LBB272_56
.LBB272_55:                             ;   in Loop: Header=BB272_56 Depth=1
	s_or_b64 exec, exec, s[10:11]
	v_mul_lo_u32 v21, v19, v26
	s_waitcnt lgkmcnt(1)
	v_mul_lo_u32 v30, v18, v27
	v_mad_u64_u32 v[18:19], s[10:11], v18, v26, 0
	v_subrev_u32_e32 v24, 64, v24
	v_add3_u32 v19, v19, v30, v21
.LBB272_56:                             ; =>This Loop Header: Depth=1
                                        ;     Child Loop BB272_59 Depth 2
	v_cmp_ne_u16_sdwa s[10:11], v20, v44 src0_sel:BYTE_0 src1_sel:DWORD
	v_cndmask_b32_e64 v20, 0, 1, s[10:11]
	;;#ASMSTART
	;;#ASMEND
	v_cmp_ne_u32_e32 vcc, 0, v20
	s_cmp_lg_u64 vcc, exec
	s_waitcnt lgkmcnt(0)
	v_pk_mov_b32 v[26:27], v[18:19], v[18:19] op_sel:[0,1]
	s_cbranch_scc1 .LBB272_73
; %bb.57:                               ;   in Loop: Header=BB272_56 Depth=1
	v_lshlrev_b64 v[18:19], 4, v[24:25]
	v_mov_b32_e32 v20, s21
	v_add_co_u32_e32 v30, vcc, s20, v18
	v_addc_co_u32_e32 v31, vcc, v20, v19, vcc
	;;#ASMSTART
	global_load_dwordx4 v[18:21], v[30:31] off glc	
s_waitcnt vmcnt(0)
	;;#ASMEND
	v_and_b32_e32 v21, 0xff, v19
	v_and_b32_e32 v45, 0xff00, v19
	v_or3_b32 v21, 0, v21, v45
	v_or3_b32 v18, v18, 0, 0
	v_and_b32_e32 v45, 0xff000000, v19
	v_and_b32_e32 v19, 0xff0000, v19
	v_or3_b32 v19, v21, v19, v45
	v_or3_b32 v18, v18, 0, 0
	v_cmp_eq_u16_sdwa s[24:25], v20, v25 src0_sel:BYTE_0 src1_sel:DWORD
	s_and_saveexec_b64 s[10:11], s[24:25]
	s_cbranch_execz .LBB272_61
; %bb.58:                               ;   in Loop: Header=BB272_56 Depth=1
	s_mov_b64 s[24:25], 0
.LBB272_59:                             ;   Parent Loop BB272_56 Depth=1
                                        ; =>  This Inner Loop Header: Depth=2
	;;#ASMSTART
	global_load_dwordx4 v[18:21], v[30:31] off glc	
s_waitcnt vmcnt(0)
	;;#ASMEND
	v_cmp_ne_u16_sdwa s[28:29], v20, v25 src0_sel:BYTE_0 src1_sel:DWORD
	s_or_b64 s[24:25], s[28:29], s[24:25]
	s_andn2_b64 exec, exec, s[24:25]
	s_cbranch_execnz .LBB272_59
; %bb.60:                               ;   in Loop: Header=BB272_56 Depth=1
	s_or_b64 exec, exec, s[24:25]
.LBB272_61:                             ;   in Loop: Header=BB272_56 Depth=1
	s_or_b64 exec, exec, s[10:11]
	v_cmp_eq_u16_sdwa s[10:11], v20, v44 src0_sel:BYTE_0 src1_sel:DWORD
	v_and_b32_e32 v21, s11, v17
	v_or_b32_e32 v21, 0x80000000, v21
	ds_bpermute_b32 v30, v33, v18
	ds_bpermute_b32 v31, v33, v19
	v_and_b32_e32 v45, s10, v16
	v_ffbl_b32_e32 v21, v21
	v_add_u32_e32 v21, 32, v21
	v_ffbl_b32_e32 v45, v45
	v_min_u32_e32 v21, v45, v21
	v_cmp_lt_u32_e32 vcc, v32, v21
	s_and_saveexec_b64 s[10:11], vcc
	s_cbranch_execz .LBB272_63
; %bb.62:                               ;   in Loop: Header=BB272_56 Depth=1
	s_waitcnt lgkmcnt(0)
	v_mul_lo_u32 v31, v31, v18
	v_mul_lo_u32 v45, v30, v19
	v_mad_u64_u32 v[18:19], s[24:25], v30, v18, 0
	v_add3_u32 v19, v19, v45, v31
.LBB272_63:                             ;   in Loop: Header=BB272_56 Depth=1
	s_or_b64 exec, exec, s[10:11]
	s_waitcnt lgkmcnt(1)
	ds_bpermute_b32 v30, v34, v18
	s_waitcnt lgkmcnt(1)
	ds_bpermute_b32 v31, v34, v19
	v_cmp_le_u32_e32 vcc, v35, v21
	s_and_saveexec_b64 s[10:11], vcc
	s_cbranch_execz .LBB272_65
; %bb.64:                               ;   in Loop: Header=BB272_56 Depth=1
	s_waitcnt lgkmcnt(0)
	v_mul_lo_u32 v31, v31, v18
	v_mul_lo_u32 v45, v30, v19
	v_mad_u64_u32 v[18:19], s[24:25], v30, v18, 0
	v_add3_u32 v19, v19, v45, v31
.LBB272_65:                             ;   in Loop: Header=BB272_56 Depth=1
	s_or_b64 exec, exec, s[10:11]
	s_waitcnt lgkmcnt(1)
	ds_bpermute_b32 v30, v36, v18
	s_waitcnt lgkmcnt(1)
	ds_bpermute_b32 v31, v36, v19
	v_cmp_le_u32_e32 vcc, v37, v21
	;; [unrolled: 15-line block ×5, first 2 shown]
	s_and_saveexec_b64 s[10:11], vcc
	s_cbranch_execz .LBB272_55
; %bb.72:                               ;   in Loop: Header=BB272_56 Depth=1
	s_waitcnt lgkmcnt(0)
	v_mul_lo_u32 v21, v31, v18
	v_mul_lo_u32 v31, v30, v19
	v_mad_u64_u32 v[18:19], s[24:25], v30, v18, 0
	v_add3_u32 v19, v19, v31, v21
	s_branch .LBB272_55
.LBB272_73:                             ;   in Loop: Header=BB272_56 Depth=1
                                        ; implicit-def: $vgpr18_vgpr19
	s_cbranch_execz .LBB272_56
; %bb.74:
	s_and_saveexec_b64 s[10:11], s[2:3]
	s_cbranch_execz .LBB272_76
; %bb.75:
	v_mul_lo_u32 v16, v27, v14
	v_mul_lo_u32 v17, v26, v15
	v_mad_u64_u32 v[14:15], s[2:3], v26, v14, 0
	s_add_i32 s2, s6, 64
	s_mov_b32 s3, 0
	s_lshl_b64 s[2:3], s[2:3], 4
	s_add_u32 s2, s20, s2
	s_addc_u32 s3, s21, s3
	v_add3_u32 v15, v15, v17, v16
	v_mov_b32_e32 v16, 2
	v_mov_b32_e32 v17, 0
	v_pk_mov_b32 v[18:19], s[2:3], s[2:3] op_sel:[0,1]
	;;#ASMSTART
	global_store_dwordx4 v[18:19], v[14:17] off	
s_waitcnt vmcnt(0)
	;;#ASMEND
.LBB272_76:
	s_or_b64 exec, exec, s[10:11]
	s_and_b64 exec, exec, s[0:1]
	s_cbranch_execz .LBB272_78
; %bb.77:
	v_mov_b32_e32 v14, 0
	ds_write_b64 v14, v[26:27]
.LBB272_78:
	s_or_b64 exec, exec, s[8:9]
	v_mov_b32_e32 v14, 0
	s_waitcnt lgkmcnt(0)
	s_barrier
	ds_read_b64 v[14:15], v14
	v_mul_lo_u32 v18, v23, v2
	v_mul_lo_u32 v19, v22, v3
	v_mad_u64_u32 v[16:17], s[0:1], v22, v2, 0
	v_add3_u32 v17, v17, v19, v18
	s_waitcnt lgkmcnt(0)
	v_mul_lo_u32 v17, v17, v14
	v_mul_lo_u32 v18, v16, v15
	v_mad_u64_u32 v[14:15], s[0:1], v16, v14, 0
	v_add3_u32 v15, v15, v18, v17
	v_mul_lo_u32 v16, v15, v4
	v_mul_lo_u32 v17, v14, v5
	v_mad_u64_u32 v[42:43], s[0:1], v14, v4, 0
	v_add3_u32 v43, v43, v17, v16
	;; [unrolled: 4-line block ×7, first 2 shown]
	s_load_dwordx8 s[4:11], s[4:5], 0x40
	s_branch .LBB272_125
.LBB272_79:
                                        ; implicit-def: $vgpr26_vgpr27
                                        ; implicit-def: $vgpr46_vgpr47
                                        ; implicit-def: $vgpr44_vgpr45
                                        ; implicit-def: $vgpr42_vgpr43
                                        ; implicit-def: $vgpr22_vgpr23_vgpr24_vgpr25
                                        ; implicit-def: $vgpr18_vgpr19_vgpr20_vgpr21
                                        ; implicit-def: $vgpr14_vgpr15_vgpr16_vgpr17
	s_load_dwordx8 s[4:11], s[4:5], 0x40
	s_cbranch_execz .LBB272_125
; %bb.80:
	s_waitcnt lgkmcnt(0)
	s_cmp_lg_u64 s[8:9], 0
	s_cselect_b64 s[24:25], -1, 0
	s_cmp_eq_u64 s[8:9], 0
	v_cmp_eq_u32_e64 s[2:3], 0, v0
	s_cselect_b64 s[8:9], -1, 0
	v_cmp_ne_u32_e64 s[0:1], 0, v0
	s_and_b64 s[28:29], s[2:3], s[24:25]
	s_and_saveexec_b64 s[24:25], s[28:29]
	s_cbranch_execz .LBB272_82
; %bb.81:
	v_mov_b32_e32 v14, 0
	global_load_dwordx2 v[14:15], v14, s[4:5]
	s_waitcnt vmcnt(0)
	v_mul_lo_u32 v15, v15, v2
	v_mul_lo_u32 v16, v14, v3
	v_mad_u64_u32 v[2:3], s[4:5], v14, v2, 0
	v_add3_u32 v3, v3, v16, v15
.LBB272_82:
	s_or_b64 exec, exec, s[24:25]
	v_mul_lo_u32 v14, v5, v2
	v_mul_lo_u32 v15, v4, v3
	v_mad_u64_u32 v[30:31], s[4:5], v4, v2, 0
	v_add3_u32 v31, v31, v15, v14
	v_mul_lo_u32 v14, v31, v10
	v_mul_lo_u32 v15, v30, v11
	v_mad_u64_u32 v[32:33], s[4:5], v30, v10, 0
	v_add3_u32 v33, v33, v15, v14
	;; [unrolled: 4-line block ×6, first 2 shown]
	v_add_lshl_u32 v1, v1, v0, 3
	s_andn2_b64 vcc, exec, s[8:9]
	v_cmp_gt_u32_e64 s[4:5], 64, v0
	ds_write_b64 v1, v[40:41]
	s_waitcnt lgkmcnt(0)
	s_cbranch_vccnz .LBB272_102
; %bb.83:
	s_barrier
	s_and_saveexec_b64 s[8:9], s[4:5]
	s_cbranch_execz .LBB272_97
; %bb.84:
	v_lshlrev_b32_e32 v1, 1, v0
	v_lshrrev_b32_e32 v14, 4, v0
	v_add_lshl_u32 v1, v14, v1, 3
	ds_read2_b64 v[14:17], v1 offset1:1
	s_waitcnt lgkmcnt(0)
	v_mul_lo_u32 v18, v17, v14
	v_mul_lo_u32 v19, v16, v15
	v_mad_u64_u32 v[16:17], s[24:25], v16, v14, 0
	v_add3_u32 v17, v17, v19, v18
	v_mbcnt_lo_u32_b32 v18, -1, 0
	v_mbcnt_hi_u32_b32 v18, -1, v18
	v_and_b32_e32 v19, 15, v18
	v_mov_b32_dpp v20, v16 row_shr:1 row_mask:0xf bank_mask:0xf
	v_mov_b32_dpp v21, v17 row_shr:1 row_mask:0xf bank_mask:0xf
	v_cmp_ne_u32_e32 vcc, 0, v19
	s_and_saveexec_b64 s[24:25], vcc
; %bb.85:
	v_mul_lo_u32 v21, v21, v16
	v_mul_lo_u32 v22, v20, v17
	v_mad_u64_u32 v[16:17], s[28:29], v20, v16, 0
	v_add3_u32 v17, v17, v22, v21
; %bb.86:
	s_or_b64 exec, exec, s[24:25]
	v_mov_b32_dpp v20, v16 row_shr:2 row_mask:0xf bank_mask:0xf
	v_mov_b32_dpp v21, v17 row_shr:2 row_mask:0xf bank_mask:0xf
	v_cmp_lt_u32_e32 vcc, 1, v19
	s_and_saveexec_b64 s[24:25], vcc
; %bb.87:
	v_mul_lo_u32 v21, v21, v16
	v_mul_lo_u32 v22, v20, v17
	v_mad_u64_u32 v[16:17], s[28:29], v20, v16, 0
	v_add3_u32 v17, v17, v22, v21
; %bb.88:
	s_or_b64 exec, exec, s[24:25]
	v_mov_b32_dpp v20, v16 row_shr:4 row_mask:0xf bank_mask:0xf
	v_mov_b32_dpp v21, v17 row_shr:4 row_mask:0xf bank_mask:0xf
	v_cmp_lt_u32_e32 vcc, 3, v19
	;; [unrolled: 11-line block ×3, first 2 shown]
	s_and_saveexec_b64 s[24:25], vcc
; %bb.91:
	v_mul_lo_u32 v19, v21, v16
	v_mul_lo_u32 v21, v20, v17
	v_mad_u64_u32 v[16:17], s[28:29], v20, v16, 0
	v_add3_u32 v17, v17, v21, v19
; %bb.92:
	s_or_b64 exec, exec, s[24:25]
	v_and_b32_e32 v21, 16, v18
	v_mov_b32_dpp v19, v16 row_bcast:15 row_mask:0xf bank_mask:0xf
	v_mov_b32_dpp v20, v17 row_bcast:15 row_mask:0xf bank_mask:0xf
	v_cmp_ne_u32_e32 vcc, 0, v21
	s_and_saveexec_b64 s[24:25], vcc
; %bb.93:
	v_mul_lo_u32 v20, v20, v16
	v_mul_lo_u32 v21, v19, v17
	v_mad_u64_u32 v[16:17], s[28:29], v19, v16, 0
	v_add3_u32 v17, v17, v21, v20
; %bb.94:
	s_or_b64 exec, exec, s[24:25]
	v_mov_b32_dpp v19, v16 row_bcast:31 row_mask:0xf bank_mask:0xf
	v_mov_b32_dpp v20, v17 row_bcast:31 row_mask:0xf bank_mask:0xf
	v_cmp_lt_u32_e32 vcc, 31, v18
	s_and_saveexec_b64 s[24:25], vcc
; %bb.95:
	v_mul_lo_u32 v20, v20, v16
	v_mul_lo_u32 v21, v19, v17
	v_mad_u64_u32 v[16:17], s[28:29], v19, v16, 0
	v_add3_u32 v17, v17, v21, v20
; %bb.96:
	s_or_b64 exec, exec, s[24:25]
	v_add_u32_e32 v19, -1, v18
	v_and_b32_e32 v20, 64, v18
	v_cmp_lt_i32_e32 vcc, v19, v20
	v_cndmask_b32_e32 v18, v19, v18, vcc
	v_lshlrev_b32_e32 v18, 2, v18
	ds_bpermute_b32 v17, v18, v17
	ds_bpermute_b32 v16, v18, v16
	; wave barrier
	s_waitcnt lgkmcnt(1)
	v_mul_lo_u32 v17, v17, v14
	s_waitcnt lgkmcnt(0)
	v_mul_lo_u32 v18, v16, v15
	v_mad_u64_u32 v[14:15], s[24:25], v16, v14, 0
	v_add3_u32 v15, v15, v18, v17
	v_cndmask_b32_e64 v15, v15, v41, s[2:3]
	v_cndmask_b32_e64 v14, v14, v40, s[2:3]
	ds_write_b64 v1, v[14:15]
	; wave barrier
	ds_read_b64 v[16:17], v1 offset:8
	s_waitcnt lgkmcnt(0)
	v_mul_lo_u32 v18, v16, v15
	v_mul_lo_u32 v17, v17, v14
	v_mad_u64_u32 v[14:15], s[24:25], v16, v14, 0
	v_add3_u32 v15, v15, v18, v17
	ds_write_b64 v1, v[14:15] offset:8
.LBB272_97:
	s_or_b64 exec, exec, s[8:9]
	v_pk_mov_b32 v[26:27], v[40:41], v[40:41] op_sel:[0,1]
	s_waitcnt lgkmcnt(0)
	s_barrier
	s_and_saveexec_b64 s[8:9], s[0:1]
	s_cbranch_execz .LBB272_99
; %bb.98:
	v_add_u32_e32 v1, -1, v0
	v_lshrrev_b32_e32 v14, 5, v1
	v_add_lshl_u32 v1, v14, v1, 3
	ds_read_b64 v[26:27], v1
.LBB272_99:
	s_or_b64 exec, exec, s[8:9]
	v_pk_mov_b32 v[16:17], v[38:39], v[38:39] op_sel:[0,1]
	v_pk_mov_b32 v[20:21], v[36:37], v[36:37] op_sel:[0,1]
	;; [unrolled: 1-line block ×6, first 2 shown]
	s_and_saveexec_b64 s[8:9], s[0:1]
	s_cbranch_execz .LBB272_101
; %bb.100:
	s_waitcnt lgkmcnt(0)
	v_mul_lo_u32 v1, v27, v2
	v_mul_lo_u32 v16, v26, v3
	v_mad_u64_u32 v[14:15], s[24:25], v26, v2, 0
	v_add3_u32 v15, v15, v16, v1
	v_mul_lo_u32 v1, v15, v4
	v_mul_lo_u32 v16, v14, v5
	v_mad_u64_u32 v[24:25], s[24:25], v14, v4, 0
	v_add3_u32 v25, v25, v16, v1
	v_mul_lo_u32 v1, v25, v10
	v_mul_lo_u32 v16, v24, v11
	v_mad_u64_u32 v[18:19], s[24:25], v24, v10, 0
	v_add3_u32 v19, v19, v16, v1
	v_mul_lo_u32 v1, v19, v12
	v_mul_lo_u32 v16, v18, v13
	v_mad_u64_u32 v[22:23], s[24:25], v18, v12, 0
	v_add3_u32 v23, v23, v16, v1
	v_mul_lo_u32 v1, v23, v6
	v_mul_lo_u32 v16, v22, v7
	v_mad_u64_u32 v[20:21], s[24:25], v22, v6, 0
	v_add3_u32 v21, v21, v16, v1
	v_mul_lo_u32 v1, v21, v8
	v_mul_lo_u32 v26, v20, v9
	v_mad_u64_u32 v[16:17], s[24:25], v20, v8, 0
	v_add3_u32 v17, v17, v26, v1
	;;#ASMSTART
	;;#ASMEND
.LBB272_101:
	s_or_b64 exec, exec, s[8:9]
	v_mul_lo_u32 v1, v15, s22
	s_waitcnt lgkmcnt(0)
	v_mul_lo_u32 v26, v14, s23
	v_mad_u64_u32 v[14:15], s[8:9], v14, s22, 0
	v_add3_u32 v15, v15, v26, v1
	v_mul_lo_u32 v1, v25, s22
	v_mul_lo_u32 v25, v24, s23
	v_mad_u64_u32 v[42:43], s[8:9], v24, s22, 0
	v_add3_u32 v43, v43, v25, v1
	v_mul_lo_u32 v1, v19, s22
	;; [unrolled: 4-line block ×6, first 2 shown]
	v_mul_lo_u32 v16, v46, v29
	v_mad_u64_u32 v[26:27], s[8:9], v46, v28, 0
	v_add3_u32 v27, v27, v16, v1
	s_branch .LBB272_122
.LBB272_102:
                                        ; implicit-def: $vgpr26_vgpr27
                                        ; implicit-def: $vgpr46_vgpr47
                                        ; implicit-def: $vgpr44_vgpr45
                                        ; implicit-def: $vgpr42_vgpr43
                                        ; implicit-def: $vgpr22_vgpr23_vgpr24_vgpr25
                                        ; implicit-def: $vgpr18_vgpr19_vgpr20_vgpr21
                                        ; implicit-def: $vgpr14_vgpr15_vgpr16_vgpr17
	s_cbranch_execz .LBB272_122
; %bb.103:
	s_barrier
	s_and_saveexec_b64 s[8:9], s[4:5]
	s_cbranch_execz .LBB272_117
; %bb.104:
	v_lshlrev_b32_e32 v1, 1, v0
	v_lshrrev_b32_e32 v14, 4, v0
	v_add_lshl_u32 v1, v14, v1, 3
	ds_read2_b64 v[14:17], v1 offset1:1
	s_waitcnt lgkmcnt(0)
	v_mul_lo_u32 v18, v17, v14
	v_mul_lo_u32 v19, v16, v15
	v_mad_u64_u32 v[16:17], s[4:5], v16, v14, 0
	v_add3_u32 v17, v17, v19, v18
	v_mbcnt_lo_u32_b32 v18, -1, 0
	v_mbcnt_hi_u32_b32 v18, -1, v18
	v_and_b32_e32 v19, 15, v18
	v_mov_b32_dpp v20, v16 row_shr:1 row_mask:0xf bank_mask:0xf
	v_mov_b32_dpp v21, v17 row_shr:1 row_mask:0xf bank_mask:0xf
	v_cmp_ne_u32_e32 vcc, 0, v19
	s_and_saveexec_b64 s[4:5], vcc
; %bb.105:
	v_mul_lo_u32 v21, v21, v16
	v_mul_lo_u32 v22, v20, v17
	v_mad_u64_u32 v[16:17], s[22:23], v20, v16, 0
	v_add3_u32 v17, v17, v22, v21
; %bb.106:
	s_or_b64 exec, exec, s[4:5]
	v_mov_b32_dpp v20, v16 row_shr:2 row_mask:0xf bank_mask:0xf
	v_mov_b32_dpp v21, v17 row_shr:2 row_mask:0xf bank_mask:0xf
	v_cmp_lt_u32_e32 vcc, 1, v19
	s_and_saveexec_b64 s[4:5], vcc
; %bb.107:
	v_mul_lo_u32 v21, v21, v16
	v_mul_lo_u32 v22, v20, v17
	v_mad_u64_u32 v[16:17], s[22:23], v20, v16, 0
	v_add3_u32 v17, v17, v22, v21
; %bb.108:
	s_or_b64 exec, exec, s[4:5]
	v_mov_b32_dpp v20, v16 row_shr:4 row_mask:0xf bank_mask:0xf
	v_mov_b32_dpp v21, v17 row_shr:4 row_mask:0xf bank_mask:0xf
	v_cmp_lt_u32_e32 vcc, 3, v19
	;; [unrolled: 11-line block ×3, first 2 shown]
	s_and_saveexec_b64 s[4:5], vcc
; %bb.111:
	v_mul_lo_u32 v19, v21, v16
	v_mul_lo_u32 v21, v20, v17
	v_mad_u64_u32 v[16:17], s[22:23], v20, v16, 0
	v_add3_u32 v17, v17, v21, v19
; %bb.112:
	s_or_b64 exec, exec, s[4:5]
	v_and_b32_e32 v21, 16, v18
	v_mov_b32_dpp v19, v16 row_bcast:15 row_mask:0xf bank_mask:0xf
	v_mov_b32_dpp v20, v17 row_bcast:15 row_mask:0xf bank_mask:0xf
	v_cmp_ne_u32_e32 vcc, 0, v21
	s_and_saveexec_b64 s[4:5], vcc
; %bb.113:
	v_mul_lo_u32 v20, v20, v16
	v_mul_lo_u32 v21, v19, v17
	v_mad_u64_u32 v[16:17], s[22:23], v19, v16, 0
	v_add3_u32 v17, v17, v21, v20
; %bb.114:
	s_or_b64 exec, exec, s[4:5]
	v_mov_b32_dpp v19, v16 row_bcast:31 row_mask:0xf bank_mask:0xf
	v_mov_b32_dpp v20, v17 row_bcast:31 row_mask:0xf bank_mask:0xf
	v_cmp_lt_u32_e32 vcc, 31, v18
	s_and_saveexec_b64 s[4:5], vcc
; %bb.115:
	v_mul_lo_u32 v20, v20, v16
	v_mul_lo_u32 v21, v19, v17
	v_mad_u64_u32 v[16:17], s[22:23], v19, v16, 0
	v_add3_u32 v17, v17, v21, v20
; %bb.116:
	s_or_b64 exec, exec, s[4:5]
	v_add_u32_e32 v19, -1, v18
	v_and_b32_e32 v20, 64, v18
	v_cmp_lt_i32_e32 vcc, v19, v20
	v_cndmask_b32_e32 v18, v19, v18, vcc
	v_lshlrev_b32_e32 v18, 2, v18
	ds_bpermute_b32 v17, v18, v17
	ds_bpermute_b32 v16, v18, v16
	; wave barrier
	s_waitcnt lgkmcnt(1)
	v_mul_lo_u32 v17, v17, v14
	s_waitcnt lgkmcnt(0)
	v_mul_lo_u32 v18, v16, v15
	v_mad_u64_u32 v[14:15], s[4:5], v16, v14, 0
	v_add3_u32 v15, v15, v18, v17
	v_cndmask_b32_e64 v15, v15, v41, s[2:3]
	v_cndmask_b32_e64 v14, v14, v40, s[2:3]
	ds_write_b64 v1, v[14:15]
	; wave barrier
	ds_read_b64 v[16:17], v1 offset:8
	s_waitcnt lgkmcnt(0)
	v_mul_lo_u32 v18, v16, v15
	v_mul_lo_u32 v17, v17, v14
	v_mad_u64_u32 v[14:15], s[2:3], v16, v14, 0
	v_add3_u32 v15, v15, v18, v17
	ds_write_b64 v1, v[14:15] offset:8
.LBB272_117:
	s_or_b64 exec, exec, s[8:9]
	v_pk_mov_b32 v[14:15], v[40:41], v[40:41] op_sel:[0,1]
	s_waitcnt lgkmcnt(0)
	s_barrier
	s_and_saveexec_b64 s[2:3], s[0:1]
	s_cbranch_execz .LBB272_119
; %bb.118:
	v_add_u32_e32 v1, -1, v0
	v_lshrrev_b32_e32 v14, 5, v1
	v_add_lshl_u32 v1, v14, v1, 3
	ds_read_b64 v[14:15], v1
.LBB272_119:
	s_or_b64 exec, exec, s[2:3]
	s_and_saveexec_b64 s[2:3], s[0:1]
	s_cbranch_execz .LBB272_121
; %bb.120:
	s_waitcnt lgkmcnt(0)
	v_mul_lo_u32 v1, v15, v2
	v_mul_lo_u32 v15, v14, v3
	v_mad_u64_u32 v[2:3], s[0:1], v14, v2, 0
	v_add3_u32 v3, v3, v15, v1
	v_mul_lo_u32 v1, v3, v4
	v_mul_lo_u32 v5, v2, v5
	v_mad_u64_u32 v[30:31], s[0:1], v2, v4, 0
	v_add3_u32 v31, v31, v5, v1
	;; [unrolled: 4-line block ×7, first 2 shown]
	;;#ASMSTART
	;;#ASMEND
.LBB272_121:
	s_or_b64 exec, exec, s[2:3]
	v_pk_mov_b32 v[26:27], v[40:41], v[40:41] op_sel:[0,1]
	v_pk_mov_b32 v[46:47], v[38:39], v[38:39] op_sel:[0,1]
	;; [unrolled: 1-line block ×6, first 2 shown]
	s_waitcnt lgkmcnt(0)
	v_pk_mov_b32 v[14:15], v[2:3], v[2:3] op_sel:[0,1]
.LBB272_122:
	s_movk_i32 s0, 0x7f
	v_cmp_eq_u32_e32 vcc, s0, v0
	s_and_saveexec_b64 s[0:1], vcc
	s_cbranch_execz .LBB272_124
; %bb.123:
	s_add_u32 s2, s20, 0x400
	s_addc_u32 s3, s21, 0
	v_mov_b32_e32 v28, 2
	v_mov_b32_e32 v29, 0
	v_pk_mov_b32 v[2:3], s[2:3], s[2:3] op_sel:[0,1]
	;;#ASMSTART
	global_store_dwordx4 v[2:3], v[26:29] off	
s_waitcnt vmcnt(0)
	;;#ASMEND
.LBB272_124:
	s_or_b64 exec, exec, s[0:1]
.LBB272_125:
	s_add_u32 s0, s12, s16
	s_addc_u32 s1, s13, s17
	s_add_u32 s2, s0, s18
	s_addc_u32 s3, s1, s19
	s_mov_b64 s[0:1], -1
	s_and_b64 vcc, exec, s[14:15]
	v_mul_u32_u24_e32 v1, 56, v0
	s_waitcnt lgkmcnt(0)
	s_barrier
	s_cbranch_vccz .LBB272_127
; %bb.126:
	v_mul_i32_i24_e32 v2, 0xffffffd0, v0
	v_mad_u32_u24 v16, v0, 56, v2
	ds_write2_b64 v1, v[14:15], v[42:43] offset1:1
	ds_write2_b64 v1, v[18:19], v[44:45] offset0:2 offset1:3
	ds_write2_b64 v1, v[22:23], v[46:47] offset0:4 offset1:5
	ds_write_b64 v1, v[26:27] offset:48
	s_waitcnt lgkmcnt(0)
	s_barrier
	ds_read2st64_b64 v[2:5], v16 offset1:2
	ds_read2st64_b64 v[6:9], v16 offset0:4 offset1:6
	ds_read2st64_b64 v[10:13], v16 offset0:8 offset1:10
	ds_read_b64 v[16:17], v16 offset:6144
	v_mov_b32_e32 v21, s3
	v_add_co_u32_e32 v20, vcc, s2, v48
	v_addc_co_u32_e32 v21, vcc, 0, v21, vcc
	s_waitcnt lgkmcnt(3)
	flat_store_dwordx2 v[20:21], v[2:3]
	flat_store_dwordx2 v[20:21], v[4:5] offset:1024
	s_waitcnt lgkmcnt(0)
	flat_store_dwordx2 v[20:21], v[6:7] offset:2048
	flat_store_dwordx2 v[20:21], v[8:9] offset:3072
	v_add_co_u32_e32 v2, vcc, 0x1000, v20
	v_addc_co_u32_e32 v3, vcc, 0, v21, vcc
	flat_store_dwordx2 v[2:3], v[10:11]
	flat_store_dwordx2 v[2:3], v[12:13] offset:1024
	flat_store_dwordx2 v[2:3], v[16:17] offset:2048
	s_mov_b64 s[0:1], 0
.LBB272_127:
	s_andn2_b64 vcc, exec, s[0:1]
	s_cbranch_vccnz .LBB272_166
; %bb.128:
	v_mul_i32_i24_e32 v2, 0xffffffd0, v0
	ds_write2_b64 v1, v[14:15], v[42:43] offset1:1
	ds_write2_b64 v1, v[18:19], v[44:45] offset0:2 offset1:3
	ds_write2_b64 v1, v[22:23], v[46:47] offset0:4 offset1:5
	ds_write_b64 v1, v[26:27] offset:48
	v_mad_u32_u24 v14, v0, 56, v2
	s_waitcnt lgkmcnt(0)
	s_barrier
	ds_read2st64_b64 v[2:5], v14 offset1:2
	ds_read2st64_b64 v[6:9], v14 offset0:4 offset1:6
	ds_read2st64_b64 v[10:13], v14 offset0:8 offset1:10
	ds_read_b64 v[14:15], v14 offset:6144
	v_mov_b32_e32 v17, s3
	v_add_co_u32_e32 v16, vcc, s2, v48
	v_addc_co_u32_e32 v17, vcc, 0, v17, vcc
	v_mov_b32_e32 v1, 0
	v_cmp_gt_u32_e32 vcc, s26, v0
	s_and_saveexec_b64 s[0:1], vcc
	s_cbranch_execz .LBB272_130
; %bb.129:
	s_waitcnt lgkmcnt(0)
	flat_store_dwordx2 v[16:17], v[2:3]
.LBB272_130:
	s_or_b64 exec, exec, s[0:1]
	v_or_b32_e32 v18, 0x80, v0
	v_cmp_gt_u32_e32 vcc, s26, v18
	s_and_saveexec_b64 s[0:1], vcc
	s_cbranch_execz .LBB272_132
; %bb.131:
	s_waitcnt lgkmcnt(0)
	flat_store_dwordx2 v[16:17], v[4:5] offset:1024
.LBB272_132:
	s_or_b64 exec, exec, s[0:1]
	v_or_b32_e32 v18, 0x100, v0
	v_cmp_gt_u32_e32 vcc, s26, v18
	s_and_saveexec_b64 s[0:1], vcc
	s_cbranch_execz .LBB272_134
; %bb.133:
	s_waitcnt lgkmcnt(0)
	flat_store_dwordx2 v[16:17], v[6:7] offset:2048
.LBB272_134:
	;; [unrolled: 9-line block ×3, first 2 shown]
	s_or_b64 exec, exec, s[0:1]
	v_or_b32_e32 v18, 0x200, v0
	v_cmp_gt_u32_e32 vcc, s26, v18
	s_and_saveexec_b64 s[0:1], vcc
	s_cbranch_execz .LBB272_138
; %bb.137:
	v_add_co_u32_e32 v18, vcc, 0x1000, v16
	v_addc_co_u32_e32 v19, vcc, 0, v17, vcc
	s_waitcnt lgkmcnt(0)
	flat_store_dwordx2 v[18:19], v[10:11]
.LBB272_138:
	s_or_b64 exec, exec, s[0:1]
	v_or_b32_e32 v18, 0x280, v0
	v_cmp_gt_u32_e32 vcc, s26, v18
	s_and_saveexec_b64 s[0:1], vcc
	s_cbranch_execz .LBB272_140
; %bb.139:
	v_add_co_u32_e32 v18, vcc, 0x1000, v16
	v_addc_co_u32_e32 v19, vcc, 0, v17, vcc
	s_waitcnt lgkmcnt(0)
	flat_store_dwordx2 v[18:19], v[12:13] offset:1024
.LBB272_140:
	s_or_b64 exec, exec, s[0:1]
	v_or_b32_e32 v18, 0x300, v0
	v_cmp_gt_u32_e32 vcc, s26, v18
	s_and_saveexec_b64 s[0:1], vcc
	s_cbranch_execz .LBB272_142
; %bb.141:
	v_add_co_u32_e32 v16, vcc, 0x1000, v16
	v_addc_co_u32_e32 v17, vcc, 0, v17, vcc
	s_waitcnt lgkmcnt(0)
	flat_store_dwordx2 v[16:17], v[14:15] offset:2048
.LBB272_142:
	s_or_b64 exec, exec, s[0:1]
	v_cmp_lt_u64_e64 s[0:1], s[10:11], 2
	s_and_b64 vcc, exec, s[0:1]
	s_cbranch_vccnz .LBB272_166
; %bb.143:
	s_add_u32 s0, s26, -1
	s_addc_u32 s1, s27, -1
	s_add_u32 s2, 0, 0x92481000
	s_addc_u32 s3, 0, 0x64
	s_add_i32 s3, s3, 0x249248c0
	s_mul_hi_u32 s9, s2, -7
	s_sub_i32 s9, s9, s2
	s_mul_i32 s10, s3, -7
	s_mul_i32 s4, s2, -7
	s_add_i32 s9, s9, s10
	s_mul_hi_u32 s5, s3, s4
	s_mul_i32 s8, s3, s4
	s_mul_i32 s11, s2, s9
	s_mul_hi_u32 s4, s2, s4
	s_mul_hi_u32 s10, s2, s9
	s_add_u32 s4, s4, s11
	s_addc_u32 s10, 0, s10
	s_add_u32 s4, s4, s8
	s_mul_hi_u32 s11, s3, s9
	s_addc_u32 s4, s10, s5
	s_addc_u32 s5, s11, 0
	s_mul_i32 s8, s3, s9
	s_add_u32 s4, s4, s8
	v_mov_b32_e32 v16, s4
	s_addc_u32 s5, 0, s5
	v_add_co_u32_e32 v16, vcc, s2, v16
	s_cmp_lg_u64 vcc, 0
	s_addc_u32 s2, s3, s5
	v_readfirstlane_b32 s5, v16
	s_mul_i32 s4, s0, s2
	s_mul_hi_u32 s8, s0, s5
	s_mul_hi_u32 s3, s0, s2
	s_add_u32 s4, s8, s4
	s_addc_u32 s3, 0, s3
	s_mul_hi_u32 s9, s1, s5
	s_mul_i32 s5, s1, s5
	s_add_u32 s4, s4, s5
	s_mul_hi_u32 s8, s1, s2
	s_addc_u32 s3, s3, s9
	s_addc_u32 s4, s8, 0
	s_mul_i32 s2, s1, s2
	s_add_u32 s2, s3, s2
	s_addc_u32 s3, 0, s4
	s_add_u32 s4, s2, 1
	s_addc_u32 s5, s3, 0
	s_add_u32 s8, s2, 2
	s_mul_i32 s10, s3, 7
	s_mul_hi_u32 s11, s2, 7
	s_addc_u32 s9, s3, 0
	s_add_i32 s11, s11, s10
	s_mul_i32 s10, s2, 7
	v_mov_b32_e32 v16, s10
	v_sub_co_u32_e32 v16, vcc, s0, v16
	s_cmp_lg_u64 vcc, 0
	s_subb_u32 s10, s1, s11
	v_subrev_co_u32_e32 v17, vcc, 7, v16
	s_cmp_lg_u64 vcc, 0
	s_subb_u32 s11, s10, 0
	v_readfirstlane_b32 s12, v17
	s_cmp_gt_u32 s12, 6
	s_cselect_b32 s12, -1, 0
	s_cmp_eq_u32 s11, 0
	s_cselect_b32 s11, s12, -1
	s_cmp_lg_u32 s11, 0
	s_cselect_b32 s4, s8, s4
	v_readfirstlane_b32 s8, v16
	s_cselect_b32 s5, s9, s5
	s_cmp_gt_u32 s8, 6
	s_cselect_b32 s8, -1, 0
	s_cmp_eq_u32 s10, 0
	s_cselect_b32 s8, s8, -1
	s_cmp_lg_u32 s8, 0
	s_cselect_b32 s3, s5, s3
	s_cselect_b32 s2, s4, s2
	v_cmp_eq_u64_e32 vcc, s[2:3], v[0:1]
	s_and_saveexec_b64 s[2:3], vcc
	s_cbranch_execz .LBB272_166
; %bb.144:
	v_mul_hi_u32_u24_e32 v1, 7, v0
	v_mov_b32_e32 v16, s1
	v_sub_co_u32_e32 v0, vcc, s0, v49
	v_subb_co_u32_e32 v1, vcc, v16, v1, vcc
	v_cmp_lt_i64_e32 vcc, 3, v[0:1]
	s_and_saveexec_b64 s[0:1], vcc
	s_xor_b64 s[0:1], exec, s[0:1]
	s_cbranch_execz .LBB272_154
; %bb.145:
	v_cmp_lt_i64_e32 vcc, 4, v[0:1]
	s_and_saveexec_b64 s[2:3], vcc
	s_xor_b64 s[2:3], exec, s[2:3]
	s_cbranch_execz .LBB272_151
; %bb.146:
	v_cmp_lt_i64_e32 vcc, 5, v[0:1]
	s_and_saveexec_b64 s[4:5], vcc
	s_xor_b64 s[4:5], exec, s[4:5]
	s_cbranch_execz .LBB272_148
; %bb.147:
	v_mov_b32_e32 v0, 0
	s_waitcnt lgkmcnt(0)
	global_store_dwordx2 v0, v[14:15], s[6:7]
                                        ; implicit-def: $vgpr10_vgpr11_vgpr12_vgpr13
.LBB272_148:
	s_andn2_saveexec_b64 s[4:5], s[4:5]
	s_cbranch_execz .LBB272_150
; %bb.149:
	v_mov_b32_e32 v0, 0
	s_waitcnt lgkmcnt(0)
	global_store_dwordx2 v0, v[12:13], s[6:7]
.LBB272_150:
	s_or_b64 exec, exec, s[4:5]
                                        ; implicit-def: $vgpr10_vgpr11_vgpr12_vgpr13
.LBB272_151:
	s_andn2_saveexec_b64 s[2:3], s[2:3]
	s_cbranch_execz .LBB272_153
; %bb.152:
	v_mov_b32_e32 v0, 0
	s_waitcnt lgkmcnt(0)
	global_store_dwordx2 v0, v[10:11], s[6:7]
.LBB272_153:
	s_or_b64 exec, exec, s[2:3]
                                        ; implicit-def: $vgpr0_vgpr1
                                        ; implicit-def: $vgpr2_vgpr3_vgpr4_vgpr5
                                        ; implicit-def: $vgpr6_vgpr7_vgpr8_vgpr9
.LBB272_154:
	s_andn2_saveexec_b64 s[0:1], s[0:1]
	s_cbranch_execz .LBB272_166
; %bb.155:
	v_cmp_lt_i64_e32 vcc, 1, v[0:1]
	s_and_saveexec_b64 s[0:1], vcc
	s_xor_b64 s[0:1], exec, s[0:1]
	s_cbranch_execz .LBB272_161
; %bb.156:
	v_cmp_lt_i64_e32 vcc, 2, v[0:1]
	s_and_saveexec_b64 s[2:3], vcc
	s_xor_b64 s[2:3], exec, s[2:3]
	s_cbranch_execz .LBB272_158
; %bb.157:
	v_mov_b32_e32 v0, 0
	s_waitcnt lgkmcnt(0)
	global_store_dwordx2 v0, v[8:9], s[6:7]
                                        ; implicit-def: $vgpr6_vgpr7_vgpr8_vgpr9
.LBB272_158:
	s_andn2_saveexec_b64 s[2:3], s[2:3]
	s_cbranch_execz .LBB272_160
; %bb.159:
	v_mov_b32_e32 v0, 0
	s_waitcnt lgkmcnt(0)
	global_store_dwordx2 v0, v[6:7], s[6:7]
.LBB272_160:
	s_or_b64 exec, exec, s[2:3]
                                        ; implicit-def: $vgpr2_vgpr3_vgpr4_vgpr5
                                        ; implicit-def: $vgpr0_vgpr1
.LBB272_161:
	s_andn2_saveexec_b64 s[0:1], s[0:1]
	s_cbranch_execz .LBB272_166
; %bb.162:
	v_cmp_ne_u64_e32 vcc, 1, v[0:1]
	s_and_saveexec_b64 s[0:1], vcc
	s_xor_b64 s[0:1], exec, s[0:1]
	s_cbranch_execz .LBB272_164
; %bb.163:
	v_mov_b32_e32 v0, 0
	s_waitcnt lgkmcnt(0)
	global_store_dwordx2 v0, v[2:3], s[6:7]
                                        ; implicit-def: $vgpr2_vgpr3_vgpr4_vgpr5
.LBB272_164:
	s_andn2_saveexec_b64 s[0:1], s[0:1]
	s_cbranch_execz .LBB272_166
; %bb.165:
	v_mov_b32_e32 v0, 0
	s_waitcnt lgkmcnt(0)
	global_store_dwordx2 v0, v[4:5], s[6:7]
.LBB272_166:
	s_endpgm
	.section	.rodata,"a",@progbits
	.p2align	6, 0x0
	.amdhsa_kernel _ZN7rocprim17ROCPRIM_400000_NS6detail17trampoline_kernelINS0_14default_configENS1_20scan_config_selectorIxEEZZNS1_9scan_implILNS1_25lookback_scan_determinismE0ELb0ELb1ES3_N6thrust23THRUST_200600_302600_NS6detail15normal_iteratorINS9_10device_ptrIxEEEESE_xNS9_10multipliesIxEExEEDaPvRmT3_T4_T5_mT6_P12ihipStream_tbENKUlT_T0_E_clISt17integral_constantIbLb0EESU_EEDaSP_SQ_EUlSP_E_NS1_11comp_targetILNS1_3genE4ELNS1_11target_archE910ELNS1_3gpuE8ELNS1_3repE0EEENS1_30default_config_static_selectorELNS0_4arch9wavefront6targetE1EEEvT1_
		.amdhsa_group_segment_fixed_size 7168
		.amdhsa_private_segment_fixed_size 0
		.amdhsa_kernarg_size 104
		.amdhsa_user_sgpr_count 6
		.amdhsa_user_sgpr_private_segment_buffer 1
		.amdhsa_user_sgpr_dispatch_ptr 0
		.amdhsa_user_sgpr_queue_ptr 0
		.amdhsa_user_sgpr_kernarg_segment_ptr 1
		.amdhsa_user_sgpr_dispatch_id 0
		.amdhsa_user_sgpr_flat_scratch_init 0
		.amdhsa_user_sgpr_kernarg_preload_length 0
		.amdhsa_user_sgpr_kernarg_preload_offset 0
		.amdhsa_user_sgpr_private_segment_size 0
		.amdhsa_uses_dynamic_stack 0
		.amdhsa_system_sgpr_private_segment_wavefront_offset 0
		.amdhsa_system_sgpr_workgroup_id_x 1
		.amdhsa_system_sgpr_workgroup_id_y 0
		.amdhsa_system_sgpr_workgroup_id_z 0
		.amdhsa_system_sgpr_workgroup_info 0
		.amdhsa_system_vgpr_workitem_id 0
		.amdhsa_next_free_vgpr 50
		.amdhsa_next_free_sgpr 30
		.amdhsa_accum_offset 52
		.amdhsa_reserve_vcc 1
		.amdhsa_reserve_flat_scratch 0
		.amdhsa_float_round_mode_32 0
		.amdhsa_float_round_mode_16_64 0
		.amdhsa_float_denorm_mode_32 3
		.amdhsa_float_denorm_mode_16_64 3
		.amdhsa_dx10_clamp 1
		.amdhsa_ieee_mode 1
		.amdhsa_fp16_overflow 0
		.amdhsa_tg_split 0
		.amdhsa_exception_fp_ieee_invalid_op 0
		.amdhsa_exception_fp_denorm_src 0
		.amdhsa_exception_fp_ieee_div_zero 0
		.amdhsa_exception_fp_ieee_overflow 0
		.amdhsa_exception_fp_ieee_underflow 0
		.amdhsa_exception_fp_ieee_inexact 0
		.amdhsa_exception_int_div_zero 0
	.end_amdhsa_kernel
	.section	.text._ZN7rocprim17ROCPRIM_400000_NS6detail17trampoline_kernelINS0_14default_configENS1_20scan_config_selectorIxEEZZNS1_9scan_implILNS1_25lookback_scan_determinismE0ELb0ELb1ES3_N6thrust23THRUST_200600_302600_NS6detail15normal_iteratorINS9_10device_ptrIxEEEESE_xNS9_10multipliesIxEExEEDaPvRmT3_T4_T5_mT6_P12ihipStream_tbENKUlT_T0_E_clISt17integral_constantIbLb0EESU_EEDaSP_SQ_EUlSP_E_NS1_11comp_targetILNS1_3genE4ELNS1_11target_archE910ELNS1_3gpuE8ELNS1_3repE0EEENS1_30default_config_static_selectorELNS0_4arch9wavefront6targetE1EEEvT1_,"axG",@progbits,_ZN7rocprim17ROCPRIM_400000_NS6detail17trampoline_kernelINS0_14default_configENS1_20scan_config_selectorIxEEZZNS1_9scan_implILNS1_25lookback_scan_determinismE0ELb0ELb1ES3_N6thrust23THRUST_200600_302600_NS6detail15normal_iteratorINS9_10device_ptrIxEEEESE_xNS9_10multipliesIxEExEEDaPvRmT3_T4_T5_mT6_P12ihipStream_tbENKUlT_T0_E_clISt17integral_constantIbLb0EESU_EEDaSP_SQ_EUlSP_E_NS1_11comp_targetILNS1_3genE4ELNS1_11target_archE910ELNS1_3gpuE8ELNS1_3repE0EEENS1_30default_config_static_selectorELNS0_4arch9wavefront6targetE1EEEvT1_,comdat
.Lfunc_end272:
	.size	_ZN7rocprim17ROCPRIM_400000_NS6detail17trampoline_kernelINS0_14default_configENS1_20scan_config_selectorIxEEZZNS1_9scan_implILNS1_25lookback_scan_determinismE0ELb0ELb1ES3_N6thrust23THRUST_200600_302600_NS6detail15normal_iteratorINS9_10device_ptrIxEEEESE_xNS9_10multipliesIxEExEEDaPvRmT3_T4_T5_mT6_P12ihipStream_tbENKUlT_T0_E_clISt17integral_constantIbLb0EESU_EEDaSP_SQ_EUlSP_E_NS1_11comp_targetILNS1_3genE4ELNS1_11target_archE910ELNS1_3gpuE8ELNS1_3repE0EEENS1_30default_config_static_selectorELNS0_4arch9wavefront6targetE1EEEvT1_, .Lfunc_end272-_ZN7rocprim17ROCPRIM_400000_NS6detail17trampoline_kernelINS0_14default_configENS1_20scan_config_selectorIxEEZZNS1_9scan_implILNS1_25lookback_scan_determinismE0ELb0ELb1ES3_N6thrust23THRUST_200600_302600_NS6detail15normal_iteratorINS9_10device_ptrIxEEEESE_xNS9_10multipliesIxEExEEDaPvRmT3_T4_T5_mT6_P12ihipStream_tbENKUlT_T0_E_clISt17integral_constantIbLb0EESU_EEDaSP_SQ_EUlSP_E_NS1_11comp_targetILNS1_3genE4ELNS1_11target_archE910ELNS1_3gpuE8ELNS1_3repE0EEENS1_30default_config_static_selectorELNS0_4arch9wavefront6targetE1EEEvT1_
                                        ; -- End function
	.section	.AMDGPU.csdata,"",@progbits
; Kernel info:
; codeLenInByte = 7720
; NumSgprs: 34
; NumVgprs: 50
; NumAgprs: 0
; TotalNumVgprs: 50
; ScratchSize: 0
; MemoryBound: 0
; FloatMode: 240
; IeeeMode: 1
; LDSByteSize: 7168 bytes/workgroup (compile time only)
; SGPRBlocks: 4
; VGPRBlocks: 6
; NumSGPRsForWavesPerEU: 34
; NumVGPRsForWavesPerEU: 50
; AccumOffset: 52
; Occupancy: 5
; WaveLimiterHint : 1
; COMPUTE_PGM_RSRC2:SCRATCH_EN: 0
; COMPUTE_PGM_RSRC2:USER_SGPR: 6
; COMPUTE_PGM_RSRC2:TRAP_HANDLER: 0
; COMPUTE_PGM_RSRC2:TGID_X_EN: 1
; COMPUTE_PGM_RSRC2:TGID_Y_EN: 0
; COMPUTE_PGM_RSRC2:TGID_Z_EN: 0
; COMPUTE_PGM_RSRC2:TIDIG_COMP_CNT: 0
; COMPUTE_PGM_RSRC3_GFX90A:ACCUM_OFFSET: 12
; COMPUTE_PGM_RSRC3_GFX90A:TG_SPLIT: 0
	.section	.text._ZN7rocprim17ROCPRIM_400000_NS6detail17trampoline_kernelINS0_14default_configENS1_20scan_config_selectorIxEEZZNS1_9scan_implILNS1_25lookback_scan_determinismE0ELb0ELb1ES3_N6thrust23THRUST_200600_302600_NS6detail15normal_iteratorINS9_10device_ptrIxEEEESE_xNS9_10multipliesIxEExEEDaPvRmT3_T4_T5_mT6_P12ihipStream_tbENKUlT_T0_E_clISt17integral_constantIbLb0EESU_EEDaSP_SQ_EUlSP_E_NS1_11comp_targetILNS1_3genE3ELNS1_11target_archE908ELNS1_3gpuE7ELNS1_3repE0EEENS1_30default_config_static_selectorELNS0_4arch9wavefront6targetE1EEEvT1_,"axG",@progbits,_ZN7rocprim17ROCPRIM_400000_NS6detail17trampoline_kernelINS0_14default_configENS1_20scan_config_selectorIxEEZZNS1_9scan_implILNS1_25lookback_scan_determinismE0ELb0ELb1ES3_N6thrust23THRUST_200600_302600_NS6detail15normal_iteratorINS9_10device_ptrIxEEEESE_xNS9_10multipliesIxEExEEDaPvRmT3_T4_T5_mT6_P12ihipStream_tbENKUlT_T0_E_clISt17integral_constantIbLb0EESU_EEDaSP_SQ_EUlSP_E_NS1_11comp_targetILNS1_3genE3ELNS1_11target_archE908ELNS1_3gpuE7ELNS1_3repE0EEENS1_30default_config_static_selectorELNS0_4arch9wavefront6targetE1EEEvT1_,comdat
	.protected	_ZN7rocprim17ROCPRIM_400000_NS6detail17trampoline_kernelINS0_14default_configENS1_20scan_config_selectorIxEEZZNS1_9scan_implILNS1_25lookback_scan_determinismE0ELb0ELb1ES3_N6thrust23THRUST_200600_302600_NS6detail15normal_iteratorINS9_10device_ptrIxEEEESE_xNS9_10multipliesIxEExEEDaPvRmT3_T4_T5_mT6_P12ihipStream_tbENKUlT_T0_E_clISt17integral_constantIbLb0EESU_EEDaSP_SQ_EUlSP_E_NS1_11comp_targetILNS1_3genE3ELNS1_11target_archE908ELNS1_3gpuE7ELNS1_3repE0EEENS1_30default_config_static_selectorELNS0_4arch9wavefront6targetE1EEEvT1_ ; -- Begin function _ZN7rocprim17ROCPRIM_400000_NS6detail17trampoline_kernelINS0_14default_configENS1_20scan_config_selectorIxEEZZNS1_9scan_implILNS1_25lookback_scan_determinismE0ELb0ELb1ES3_N6thrust23THRUST_200600_302600_NS6detail15normal_iteratorINS9_10device_ptrIxEEEESE_xNS9_10multipliesIxEExEEDaPvRmT3_T4_T5_mT6_P12ihipStream_tbENKUlT_T0_E_clISt17integral_constantIbLb0EESU_EEDaSP_SQ_EUlSP_E_NS1_11comp_targetILNS1_3genE3ELNS1_11target_archE908ELNS1_3gpuE7ELNS1_3repE0EEENS1_30default_config_static_selectorELNS0_4arch9wavefront6targetE1EEEvT1_
	.globl	_ZN7rocprim17ROCPRIM_400000_NS6detail17trampoline_kernelINS0_14default_configENS1_20scan_config_selectorIxEEZZNS1_9scan_implILNS1_25lookback_scan_determinismE0ELb0ELb1ES3_N6thrust23THRUST_200600_302600_NS6detail15normal_iteratorINS9_10device_ptrIxEEEESE_xNS9_10multipliesIxEExEEDaPvRmT3_T4_T5_mT6_P12ihipStream_tbENKUlT_T0_E_clISt17integral_constantIbLb0EESU_EEDaSP_SQ_EUlSP_E_NS1_11comp_targetILNS1_3genE3ELNS1_11target_archE908ELNS1_3gpuE7ELNS1_3repE0EEENS1_30default_config_static_selectorELNS0_4arch9wavefront6targetE1EEEvT1_
	.p2align	8
	.type	_ZN7rocprim17ROCPRIM_400000_NS6detail17trampoline_kernelINS0_14default_configENS1_20scan_config_selectorIxEEZZNS1_9scan_implILNS1_25lookback_scan_determinismE0ELb0ELb1ES3_N6thrust23THRUST_200600_302600_NS6detail15normal_iteratorINS9_10device_ptrIxEEEESE_xNS9_10multipliesIxEExEEDaPvRmT3_T4_T5_mT6_P12ihipStream_tbENKUlT_T0_E_clISt17integral_constantIbLb0EESU_EEDaSP_SQ_EUlSP_E_NS1_11comp_targetILNS1_3genE3ELNS1_11target_archE908ELNS1_3gpuE7ELNS1_3repE0EEENS1_30default_config_static_selectorELNS0_4arch9wavefront6targetE1EEEvT1_,@function
_ZN7rocprim17ROCPRIM_400000_NS6detail17trampoline_kernelINS0_14default_configENS1_20scan_config_selectorIxEEZZNS1_9scan_implILNS1_25lookback_scan_determinismE0ELb0ELb1ES3_N6thrust23THRUST_200600_302600_NS6detail15normal_iteratorINS9_10device_ptrIxEEEESE_xNS9_10multipliesIxEExEEDaPvRmT3_T4_T5_mT6_P12ihipStream_tbENKUlT_T0_E_clISt17integral_constantIbLb0EESU_EEDaSP_SQ_EUlSP_E_NS1_11comp_targetILNS1_3genE3ELNS1_11target_archE908ELNS1_3gpuE7ELNS1_3repE0EEENS1_30default_config_static_selectorELNS0_4arch9wavefront6targetE1EEEvT1_: ; @_ZN7rocprim17ROCPRIM_400000_NS6detail17trampoline_kernelINS0_14default_configENS1_20scan_config_selectorIxEEZZNS1_9scan_implILNS1_25lookback_scan_determinismE0ELb0ELb1ES3_N6thrust23THRUST_200600_302600_NS6detail15normal_iteratorINS9_10device_ptrIxEEEESE_xNS9_10multipliesIxEExEEDaPvRmT3_T4_T5_mT6_P12ihipStream_tbENKUlT_T0_E_clISt17integral_constantIbLb0EESU_EEDaSP_SQ_EUlSP_E_NS1_11comp_targetILNS1_3genE3ELNS1_11target_archE908ELNS1_3gpuE7ELNS1_3repE0EEENS1_30default_config_static_selectorELNS0_4arch9wavefront6targetE1EEEvT1_
; %bb.0:
	.section	.rodata,"a",@progbits
	.p2align	6, 0x0
	.amdhsa_kernel _ZN7rocprim17ROCPRIM_400000_NS6detail17trampoline_kernelINS0_14default_configENS1_20scan_config_selectorIxEEZZNS1_9scan_implILNS1_25lookback_scan_determinismE0ELb0ELb1ES3_N6thrust23THRUST_200600_302600_NS6detail15normal_iteratorINS9_10device_ptrIxEEEESE_xNS9_10multipliesIxEExEEDaPvRmT3_T4_T5_mT6_P12ihipStream_tbENKUlT_T0_E_clISt17integral_constantIbLb0EESU_EEDaSP_SQ_EUlSP_E_NS1_11comp_targetILNS1_3genE3ELNS1_11target_archE908ELNS1_3gpuE7ELNS1_3repE0EEENS1_30default_config_static_selectorELNS0_4arch9wavefront6targetE1EEEvT1_
		.amdhsa_group_segment_fixed_size 0
		.amdhsa_private_segment_fixed_size 0
		.amdhsa_kernarg_size 104
		.amdhsa_user_sgpr_count 6
		.amdhsa_user_sgpr_private_segment_buffer 1
		.amdhsa_user_sgpr_dispatch_ptr 0
		.amdhsa_user_sgpr_queue_ptr 0
		.amdhsa_user_sgpr_kernarg_segment_ptr 1
		.amdhsa_user_sgpr_dispatch_id 0
		.amdhsa_user_sgpr_flat_scratch_init 0
		.amdhsa_user_sgpr_kernarg_preload_length 0
		.amdhsa_user_sgpr_kernarg_preload_offset 0
		.amdhsa_user_sgpr_private_segment_size 0
		.amdhsa_uses_dynamic_stack 0
		.amdhsa_system_sgpr_private_segment_wavefront_offset 0
		.amdhsa_system_sgpr_workgroup_id_x 1
		.amdhsa_system_sgpr_workgroup_id_y 0
		.amdhsa_system_sgpr_workgroup_id_z 0
		.amdhsa_system_sgpr_workgroup_info 0
		.amdhsa_system_vgpr_workitem_id 0
		.amdhsa_next_free_vgpr 1
		.amdhsa_next_free_sgpr 0
		.amdhsa_accum_offset 4
		.amdhsa_reserve_vcc 0
		.amdhsa_reserve_flat_scratch 0
		.amdhsa_float_round_mode_32 0
		.amdhsa_float_round_mode_16_64 0
		.amdhsa_float_denorm_mode_32 3
		.amdhsa_float_denorm_mode_16_64 3
		.amdhsa_dx10_clamp 1
		.amdhsa_ieee_mode 1
		.amdhsa_fp16_overflow 0
		.amdhsa_tg_split 0
		.amdhsa_exception_fp_ieee_invalid_op 0
		.amdhsa_exception_fp_denorm_src 0
		.amdhsa_exception_fp_ieee_div_zero 0
		.amdhsa_exception_fp_ieee_overflow 0
		.amdhsa_exception_fp_ieee_underflow 0
		.amdhsa_exception_fp_ieee_inexact 0
		.amdhsa_exception_int_div_zero 0
	.end_amdhsa_kernel
	.section	.text._ZN7rocprim17ROCPRIM_400000_NS6detail17trampoline_kernelINS0_14default_configENS1_20scan_config_selectorIxEEZZNS1_9scan_implILNS1_25lookback_scan_determinismE0ELb0ELb1ES3_N6thrust23THRUST_200600_302600_NS6detail15normal_iteratorINS9_10device_ptrIxEEEESE_xNS9_10multipliesIxEExEEDaPvRmT3_T4_T5_mT6_P12ihipStream_tbENKUlT_T0_E_clISt17integral_constantIbLb0EESU_EEDaSP_SQ_EUlSP_E_NS1_11comp_targetILNS1_3genE3ELNS1_11target_archE908ELNS1_3gpuE7ELNS1_3repE0EEENS1_30default_config_static_selectorELNS0_4arch9wavefront6targetE1EEEvT1_,"axG",@progbits,_ZN7rocprim17ROCPRIM_400000_NS6detail17trampoline_kernelINS0_14default_configENS1_20scan_config_selectorIxEEZZNS1_9scan_implILNS1_25lookback_scan_determinismE0ELb0ELb1ES3_N6thrust23THRUST_200600_302600_NS6detail15normal_iteratorINS9_10device_ptrIxEEEESE_xNS9_10multipliesIxEExEEDaPvRmT3_T4_T5_mT6_P12ihipStream_tbENKUlT_T0_E_clISt17integral_constantIbLb0EESU_EEDaSP_SQ_EUlSP_E_NS1_11comp_targetILNS1_3genE3ELNS1_11target_archE908ELNS1_3gpuE7ELNS1_3repE0EEENS1_30default_config_static_selectorELNS0_4arch9wavefront6targetE1EEEvT1_,comdat
.Lfunc_end273:
	.size	_ZN7rocprim17ROCPRIM_400000_NS6detail17trampoline_kernelINS0_14default_configENS1_20scan_config_selectorIxEEZZNS1_9scan_implILNS1_25lookback_scan_determinismE0ELb0ELb1ES3_N6thrust23THRUST_200600_302600_NS6detail15normal_iteratorINS9_10device_ptrIxEEEESE_xNS9_10multipliesIxEExEEDaPvRmT3_T4_T5_mT6_P12ihipStream_tbENKUlT_T0_E_clISt17integral_constantIbLb0EESU_EEDaSP_SQ_EUlSP_E_NS1_11comp_targetILNS1_3genE3ELNS1_11target_archE908ELNS1_3gpuE7ELNS1_3repE0EEENS1_30default_config_static_selectorELNS0_4arch9wavefront6targetE1EEEvT1_, .Lfunc_end273-_ZN7rocprim17ROCPRIM_400000_NS6detail17trampoline_kernelINS0_14default_configENS1_20scan_config_selectorIxEEZZNS1_9scan_implILNS1_25lookback_scan_determinismE0ELb0ELb1ES3_N6thrust23THRUST_200600_302600_NS6detail15normal_iteratorINS9_10device_ptrIxEEEESE_xNS9_10multipliesIxEExEEDaPvRmT3_T4_T5_mT6_P12ihipStream_tbENKUlT_T0_E_clISt17integral_constantIbLb0EESU_EEDaSP_SQ_EUlSP_E_NS1_11comp_targetILNS1_3genE3ELNS1_11target_archE908ELNS1_3gpuE7ELNS1_3repE0EEENS1_30default_config_static_selectorELNS0_4arch9wavefront6targetE1EEEvT1_
                                        ; -- End function
	.section	.AMDGPU.csdata,"",@progbits
; Kernel info:
; codeLenInByte = 0
; NumSgprs: 4
; NumVgprs: 0
; NumAgprs: 0
; TotalNumVgprs: 0
; ScratchSize: 0
; MemoryBound: 0
; FloatMode: 240
; IeeeMode: 1
; LDSByteSize: 0 bytes/workgroup (compile time only)
; SGPRBlocks: 0
; VGPRBlocks: 0
; NumSGPRsForWavesPerEU: 4
; NumVGPRsForWavesPerEU: 1
; AccumOffset: 4
; Occupancy: 8
; WaveLimiterHint : 0
; COMPUTE_PGM_RSRC2:SCRATCH_EN: 0
; COMPUTE_PGM_RSRC2:USER_SGPR: 6
; COMPUTE_PGM_RSRC2:TRAP_HANDLER: 0
; COMPUTE_PGM_RSRC2:TGID_X_EN: 1
; COMPUTE_PGM_RSRC2:TGID_Y_EN: 0
; COMPUTE_PGM_RSRC2:TGID_Z_EN: 0
; COMPUTE_PGM_RSRC2:TIDIG_COMP_CNT: 0
; COMPUTE_PGM_RSRC3_GFX90A:ACCUM_OFFSET: 0
; COMPUTE_PGM_RSRC3_GFX90A:TG_SPLIT: 0
	.section	.text._ZN7rocprim17ROCPRIM_400000_NS6detail17trampoline_kernelINS0_14default_configENS1_20scan_config_selectorIxEEZZNS1_9scan_implILNS1_25lookback_scan_determinismE0ELb0ELb1ES3_N6thrust23THRUST_200600_302600_NS6detail15normal_iteratorINS9_10device_ptrIxEEEESE_xNS9_10multipliesIxEExEEDaPvRmT3_T4_T5_mT6_P12ihipStream_tbENKUlT_T0_E_clISt17integral_constantIbLb0EESU_EEDaSP_SQ_EUlSP_E_NS1_11comp_targetILNS1_3genE2ELNS1_11target_archE906ELNS1_3gpuE6ELNS1_3repE0EEENS1_30default_config_static_selectorELNS0_4arch9wavefront6targetE1EEEvT1_,"axG",@progbits,_ZN7rocprim17ROCPRIM_400000_NS6detail17trampoline_kernelINS0_14default_configENS1_20scan_config_selectorIxEEZZNS1_9scan_implILNS1_25lookback_scan_determinismE0ELb0ELb1ES3_N6thrust23THRUST_200600_302600_NS6detail15normal_iteratorINS9_10device_ptrIxEEEESE_xNS9_10multipliesIxEExEEDaPvRmT3_T4_T5_mT6_P12ihipStream_tbENKUlT_T0_E_clISt17integral_constantIbLb0EESU_EEDaSP_SQ_EUlSP_E_NS1_11comp_targetILNS1_3genE2ELNS1_11target_archE906ELNS1_3gpuE6ELNS1_3repE0EEENS1_30default_config_static_selectorELNS0_4arch9wavefront6targetE1EEEvT1_,comdat
	.protected	_ZN7rocprim17ROCPRIM_400000_NS6detail17trampoline_kernelINS0_14default_configENS1_20scan_config_selectorIxEEZZNS1_9scan_implILNS1_25lookback_scan_determinismE0ELb0ELb1ES3_N6thrust23THRUST_200600_302600_NS6detail15normal_iteratorINS9_10device_ptrIxEEEESE_xNS9_10multipliesIxEExEEDaPvRmT3_T4_T5_mT6_P12ihipStream_tbENKUlT_T0_E_clISt17integral_constantIbLb0EESU_EEDaSP_SQ_EUlSP_E_NS1_11comp_targetILNS1_3genE2ELNS1_11target_archE906ELNS1_3gpuE6ELNS1_3repE0EEENS1_30default_config_static_selectorELNS0_4arch9wavefront6targetE1EEEvT1_ ; -- Begin function _ZN7rocprim17ROCPRIM_400000_NS6detail17trampoline_kernelINS0_14default_configENS1_20scan_config_selectorIxEEZZNS1_9scan_implILNS1_25lookback_scan_determinismE0ELb0ELb1ES3_N6thrust23THRUST_200600_302600_NS6detail15normal_iteratorINS9_10device_ptrIxEEEESE_xNS9_10multipliesIxEExEEDaPvRmT3_T4_T5_mT6_P12ihipStream_tbENKUlT_T0_E_clISt17integral_constantIbLb0EESU_EEDaSP_SQ_EUlSP_E_NS1_11comp_targetILNS1_3genE2ELNS1_11target_archE906ELNS1_3gpuE6ELNS1_3repE0EEENS1_30default_config_static_selectorELNS0_4arch9wavefront6targetE1EEEvT1_
	.globl	_ZN7rocprim17ROCPRIM_400000_NS6detail17trampoline_kernelINS0_14default_configENS1_20scan_config_selectorIxEEZZNS1_9scan_implILNS1_25lookback_scan_determinismE0ELb0ELb1ES3_N6thrust23THRUST_200600_302600_NS6detail15normal_iteratorINS9_10device_ptrIxEEEESE_xNS9_10multipliesIxEExEEDaPvRmT3_T4_T5_mT6_P12ihipStream_tbENKUlT_T0_E_clISt17integral_constantIbLb0EESU_EEDaSP_SQ_EUlSP_E_NS1_11comp_targetILNS1_3genE2ELNS1_11target_archE906ELNS1_3gpuE6ELNS1_3repE0EEENS1_30default_config_static_selectorELNS0_4arch9wavefront6targetE1EEEvT1_
	.p2align	8
	.type	_ZN7rocprim17ROCPRIM_400000_NS6detail17trampoline_kernelINS0_14default_configENS1_20scan_config_selectorIxEEZZNS1_9scan_implILNS1_25lookback_scan_determinismE0ELb0ELb1ES3_N6thrust23THRUST_200600_302600_NS6detail15normal_iteratorINS9_10device_ptrIxEEEESE_xNS9_10multipliesIxEExEEDaPvRmT3_T4_T5_mT6_P12ihipStream_tbENKUlT_T0_E_clISt17integral_constantIbLb0EESU_EEDaSP_SQ_EUlSP_E_NS1_11comp_targetILNS1_3genE2ELNS1_11target_archE906ELNS1_3gpuE6ELNS1_3repE0EEENS1_30default_config_static_selectorELNS0_4arch9wavefront6targetE1EEEvT1_,@function
_ZN7rocprim17ROCPRIM_400000_NS6detail17trampoline_kernelINS0_14default_configENS1_20scan_config_selectorIxEEZZNS1_9scan_implILNS1_25lookback_scan_determinismE0ELb0ELb1ES3_N6thrust23THRUST_200600_302600_NS6detail15normal_iteratorINS9_10device_ptrIxEEEESE_xNS9_10multipliesIxEExEEDaPvRmT3_T4_T5_mT6_P12ihipStream_tbENKUlT_T0_E_clISt17integral_constantIbLb0EESU_EEDaSP_SQ_EUlSP_E_NS1_11comp_targetILNS1_3genE2ELNS1_11target_archE906ELNS1_3gpuE6ELNS1_3repE0EEENS1_30default_config_static_selectorELNS0_4arch9wavefront6targetE1EEEvT1_: ; @_ZN7rocprim17ROCPRIM_400000_NS6detail17trampoline_kernelINS0_14default_configENS1_20scan_config_selectorIxEEZZNS1_9scan_implILNS1_25lookback_scan_determinismE0ELb0ELb1ES3_N6thrust23THRUST_200600_302600_NS6detail15normal_iteratorINS9_10device_ptrIxEEEESE_xNS9_10multipliesIxEExEEDaPvRmT3_T4_T5_mT6_P12ihipStream_tbENKUlT_T0_E_clISt17integral_constantIbLb0EESU_EEDaSP_SQ_EUlSP_E_NS1_11comp_targetILNS1_3genE2ELNS1_11target_archE906ELNS1_3gpuE6ELNS1_3repE0EEENS1_30default_config_static_selectorELNS0_4arch9wavefront6targetE1EEEvT1_
; %bb.0:
	.section	.rodata,"a",@progbits
	.p2align	6, 0x0
	.amdhsa_kernel _ZN7rocprim17ROCPRIM_400000_NS6detail17trampoline_kernelINS0_14default_configENS1_20scan_config_selectorIxEEZZNS1_9scan_implILNS1_25lookback_scan_determinismE0ELb0ELb1ES3_N6thrust23THRUST_200600_302600_NS6detail15normal_iteratorINS9_10device_ptrIxEEEESE_xNS9_10multipliesIxEExEEDaPvRmT3_T4_T5_mT6_P12ihipStream_tbENKUlT_T0_E_clISt17integral_constantIbLb0EESU_EEDaSP_SQ_EUlSP_E_NS1_11comp_targetILNS1_3genE2ELNS1_11target_archE906ELNS1_3gpuE6ELNS1_3repE0EEENS1_30default_config_static_selectorELNS0_4arch9wavefront6targetE1EEEvT1_
		.amdhsa_group_segment_fixed_size 0
		.amdhsa_private_segment_fixed_size 0
		.amdhsa_kernarg_size 104
		.amdhsa_user_sgpr_count 6
		.amdhsa_user_sgpr_private_segment_buffer 1
		.amdhsa_user_sgpr_dispatch_ptr 0
		.amdhsa_user_sgpr_queue_ptr 0
		.amdhsa_user_sgpr_kernarg_segment_ptr 1
		.amdhsa_user_sgpr_dispatch_id 0
		.amdhsa_user_sgpr_flat_scratch_init 0
		.amdhsa_user_sgpr_kernarg_preload_length 0
		.amdhsa_user_sgpr_kernarg_preload_offset 0
		.amdhsa_user_sgpr_private_segment_size 0
		.amdhsa_uses_dynamic_stack 0
		.amdhsa_system_sgpr_private_segment_wavefront_offset 0
		.amdhsa_system_sgpr_workgroup_id_x 1
		.amdhsa_system_sgpr_workgroup_id_y 0
		.amdhsa_system_sgpr_workgroup_id_z 0
		.amdhsa_system_sgpr_workgroup_info 0
		.amdhsa_system_vgpr_workitem_id 0
		.amdhsa_next_free_vgpr 1
		.amdhsa_next_free_sgpr 0
		.amdhsa_accum_offset 4
		.amdhsa_reserve_vcc 0
		.amdhsa_reserve_flat_scratch 0
		.amdhsa_float_round_mode_32 0
		.amdhsa_float_round_mode_16_64 0
		.amdhsa_float_denorm_mode_32 3
		.amdhsa_float_denorm_mode_16_64 3
		.amdhsa_dx10_clamp 1
		.amdhsa_ieee_mode 1
		.amdhsa_fp16_overflow 0
		.amdhsa_tg_split 0
		.amdhsa_exception_fp_ieee_invalid_op 0
		.amdhsa_exception_fp_denorm_src 0
		.amdhsa_exception_fp_ieee_div_zero 0
		.amdhsa_exception_fp_ieee_overflow 0
		.amdhsa_exception_fp_ieee_underflow 0
		.amdhsa_exception_fp_ieee_inexact 0
		.amdhsa_exception_int_div_zero 0
	.end_amdhsa_kernel
	.section	.text._ZN7rocprim17ROCPRIM_400000_NS6detail17trampoline_kernelINS0_14default_configENS1_20scan_config_selectorIxEEZZNS1_9scan_implILNS1_25lookback_scan_determinismE0ELb0ELb1ES3_N6thrust23THRUST_200600_302600_NS6detail15normal_iteratorINS9_10device_ptrIxEEEESE_xNS9_10multipliesIxEExEEDaPvRmT3_T4_T5_mT6_P12ihipStream_tbENKUlT_T0_E_clISt17integral_constantIbLb0EESU_EEDaSP_SQ_EUlSP_E_NS1_11comp_targetILNS1_3genE2ELNS1_11target_archE906ELNS1_3gpuE6ELNS1_3repE0EEENS1_30default_config_static_selectorELNS0_4arch9wavefront6targetE1EEEvT1_,"axG",@progbits,_ZN7rocprim17ROCPRIM_400000_NS6detail17trampoline_kernelINS0_14default_configENS1_20scan_config_selectorIxEEZZNS1_9scan_implILNS1_25lookback_scan_determinismE0ELb0ELb1ES3_N6thrust23THRUST_200600_302600_NS6detail15normal_iteratorINS9_10device_ptrIxEEEESE_xNS9_10multipliesIxEExEEDaPvRmT3_T4_T5_mT6_P12ihipStream_tbENKUlT_T0_E_clISt17integral_constantIbLb0EESU_EEDaSP_SQ_EUlSP_E_NS1_11comp_targetILNS1_3genE2ELNS1_11target_archE906ELNS1_3gpuE6ELNS1_3repE0EEENS1_30default_config_static_selectorELNS0_4arch9wavefront6targetE1EEEvT1_,comdat
.Lfunc_end274:
	.size	_ZN7rocprim17ROCPRIM_400000_NS6detail17trampoline_kernelINS0_14default_configENS1_20scan_config_selectorIxEEZZNS1_9scan_implILNS1_25lookback_scan_determinismE0ELb0ELb1ES3_N6thrust23THRUST_200600_302600_NS6detail15normal_iteratorINS9_10device_ptrIxEEEESE_xNS9_10multipliesIxEExEEDaPvRmT3_T4_T5_mT6_P12ihipStream_tbENKUlT_T0_E_clISt17integral_constantIbLb0EESU_EEDaSP_SQ_EUlSP_E_NS1_11comp_targetILNS1_3genE2ELNS1_11target_archE906ELNS1_3gpuE6ELNS1_3repE0EEENS1_30default_config_static_selectorELNS0_4arch9wavefront6targetE1EEEvT1_, .Lfunc_end274-_ZN7rocprim17ROCPRIM_400000_NS6detail17trampoline_kernelINS0_14default_configENS1_20scan_config_selectorIxEEZZNS1_9scan_implILNS1_25lookback_scan_determinismE0ELb0ELb1ES3_N6thrust23THRUST_200600_302600_NS6detail15normal_iteratorINS9_10device_ptrIxEEEESE_xNS9_10multipliesIxEExEEDaPvRmT3_T4_T5_mT6_P12ihipStream_tbENKUlT_T0_E_clISt17integral_constantIbLb0EESU_EEDaSP_SQ_EUlSP_E_NS1_11comp_targetILNS1_3genE2ELNS1_11target_archE906ELNS1_3gpuE6ELNS1_3repE0EEENS1_30default_config_static_selectorELNS0_4arch9wavefront6targetE1EEEvT1_
                                        ; -- End function
	.section	.AMDGPU.csdata,"",@progbits
; Kernel info:
; codeLenInByte = 0
; NumSgprs: 4
; NumVgprs: 0
; NumAgprs: 0
; TotalNumVgprs: 0
; ScratchSize: 0
; MemoryBound: 0
; FloatMode: 240
; IeeeMode: 1
; LDSByteSize: 0 bytes/workgroup (compile time only)
; SGPRBlocks: 0
; VGPRBlocks: 0
; NumSGPRsForWavesPerEU: 4
; NumVGPRsForWavesPerEU: 1
; AccumOffset: 4
; Occupancy: 8
; WaveLimiterHint : 0
; COMPUTE_PGM_RSRC2:SCRATCH_EN: 0
; COMPUTE_PGM_RSRC2:USER_SGPR: 6
; COMPUTE_PGM_RSRC2:TRAP_HANDLER: 0
; COMPUTE_PGM_RSRC2:TGID_X_EN: 1
; COMPUTE_PGM_RSRC2:TGID_Y_EN: 0
; COMPUTE_PGM_RSRC2:TGID_Z_EN: 0
; COMPUTE_PGM_RSRC2:TIDIG_COMP_CNT: 0
; COMPUTE_PGM_RSRC3_GFX90A:ACCUM_OFFSET: 0
; COMPUTE_PGM_RSRC3_GFX90A:TG_SPLIT: 0
	.section	.text._ZN7rocprim17ROCPRIM_400000_NS6detail17trampoline_kernelINS0_14default_configENS1_20scan_config_selectorIxEEZZNS1_9scan_implILNS1_25lookback_scan_determinismE0ELb0ELb1ES3_N6thrust23THRUST_200600_302600_NS6detail15normal_iteratorINS9_10device_ptrIxEEEESE_xNS9_10multipliesIxEExEEDaPvRmT3_T4_T5_mT6_P12ihipStream_tbENKUlT_T0_E_clISt17integral_constantIbLb0EESU_EEDaSP_SQ_EUlSP_E_NS1_11comp_targetILNS1_3genE10ELNS1_11target_archE1201ELNS1_3gpuE5ELNS1_3repE0EEENS1_30default_config_static_selectorELNS0_4arch9wavefront6targetE1EEEvT1_,"axG",@progbits,_ZN7rocprim17ROCPRIM_400000_NS6detail17trampoline_kernelINS0_14default_configENS1_20scan_config_selectorIxEEZZNS1_9scan_implILNS1_25lookback_scan_determinismE0ELb0ELb1ES3_N6thrust23THRUST_200600_302600_NS6detail15normal_iteratorINS9_10device_ptrIxEEEESE_xNS9_10multipliesIxEExEEDaPvRmT3_T4_T5_mT6_P12ihipStream_tbENKUlT_T0_E_clISt17integral_constantIbLb0EESU_EEDaSP_SQ_EUlSP_E_NS1_11comp_targetILNS1_3genE10ELNS1_11target_archE1201ELNS1_3gpuE5ELNS1_3repE0EEENS1_30default_config_static_selectorELNS0_4arch9wavefront6targetE1EEEvT1_,comdat
	.protected	_ZN7rocprim17ROCPRIM_400000_NS6detail17trampoline_kernelINS0_14default_configENS1_20scan_config_selectorIxEEZZNS1_9scan_implILNS1_25lookback_scan_determinismE0ELb0ELb1ES3_N6thrust23THRUST_200600_302600_NS6detail15normal_iteratorINS9_10device_ptrIxEEEESE_xNS9_10multipliesIxEExEEDaPvRmT3_T4_T5_mT6_P12ihipStream_tbENKUlT_T0_E_clISt17integral_constantIbLb0EESU_EEDaSP_SQ_EUlSP_E_NS1_11comp_targetILNS1_3genE10ELNS1_11target_archE1201ELNS1_3gpuE5ELNS1_3repE0EEENS1_30default_config_static_selectorELNS0_4arch9wavefront6targetE1EEEvT1_ ; -- Begin function _ZN7rocprim17ROCPRIM_400000_NS6detail17trampoline_kernelINS0_14default_configENS1_20scan_config_selectorIxEEZZNS1_9scan_implILNS1_25lookback_scan_determinismE0ELb0ELb1ES3_N6thrust23THRUST_200600_302600_NS6detail15normal_iteratorINS9_10device_ptrIxEEEESE_xNS9_10multipliesIxEExEEDaPvRmT3_T4_T5_mT6_P12ihipStream_tbENKUlT_T0_E_clISt17integral_constantIbLb0EESU_EEDaSP_SQ_EUlSP_E_NS1_11comp_targetILNS1_3genE10ELNS1_11target_archE1201ELNS1_3gpuE5ELNS1_3repE0EEENS1_30default_config_static_selectorELNS0_4arch9wavefront6targetE1EEEvT1_
	.globl	_ZN7rocprim17ROCPRIM_400000_NS6detail17trampoline_kernelINS0_14default_configENS1_20scan_config_selectorIxEEZZNS1_9scan_implILNS1_25lookback_scan_determinismE0ELb0ELb1ES3_N6thrust23THRUST_200600_302600_NS6detail15normal_iteratorINS9_10device_ptrIxEEEESE_xNS9_10multipliesIxEExEEDaPvRmT3_T4_T5_mT6_P12ihipStream_tbENKUlT_T0_E_clISt17integral_constantIbLb0EESU_EEDaSP_SQ_EUlSP_E_NS1_11comp_targetILNS1_3genE10ELNS1_11target_archE1201ELNS1_3gpuE5ELNS1_3repE0EEENS1_30default_config_static_selectorELNS0_4arch9wavefront6targetE1EEEvT1_
	.p2align	8
	.type	_ZN7rocprim17ROCPRIM_400000_NS6detail17trampoline_kernelINS0_14default_configENS1_20scan_config_selectorIxEEZZNS1_9scan_implILNS1_25lookback_scan_determinismE0ELb0ELb1ES3_N6thrust23THRUST_200600_302600_NS6detail15normal_iteratorINS9_10device_ptrIxEEEESE_xNS9_10multipliesIxEExEEDaPvRmT3_T4_T5_mT6_P12ihipStream_tbENKUlT_T0_E_clISt17integral_constantIbLb0EESU_EEDaSP_SQ_EUlSP_E_NS1_11comp_targetILNS1_3genE10ELNS1_11target_archE1201ELNS1_3gpuE5ELNS1_3repE0EEENS1_30default_config_static_selectorELNS0_4arch9wavefront6targetE1EEEvT1_,@function
_ZN7rocprim17ROCPRIM_400000_NS6detail17trampoline_kernelINS0_14default_configENS1_20scan_config_selectorIxEEZZNS1_9scan_implILNS1_25lookback_scan_determinismE0ELb0ELb1ES3_N6thrust23THRUST_200600_302600_NS6detail15normal_iteratorINS9_10device_ptrIxEEEESE_xNS9_10multipliesIxEExEEDaPvRmT3_T4_T5_mT6_P12ihipStream_tbENKUlT_T0_E_clISt17integral_constantIbLb0EESU_EEDaSP_SQ_EUlSP_E_NS1_11comp_targetILNS1_3genE10ELNS1_11target_archE1201ELNS1_3gpuE5ELNS1_3repE0EEENS1_30default_config_static_selectorELNS0_4arch9wavefront6targetE1EEEvT1_: ; @_ZN7rocprim17ROCPRIM_400000_NS6detail17trampoline_kernelINS0_14default_configENS1_20scan_config_selectorIxEEZZNS1_9scan_implILNS1_25lookback_scan_determinismE0ELb0ELb1ES3_N6thrust23THRUST_200600_302600_NS6detail15normal_iteratorINS9_10device_ptrIxEEEESE_xNS9_10multipliesIxEExEEDaPvRmT3_T4_T5_mT6_P12ihipStream_tbENKUlT_T0_E_clISt17integral_constantIbLb0EESU_EEDaSP_SQ_EUlSP_E_NS1_11comp_targetILNS1_3genE10ELNS1_11target_archE1201ELNS1_3gpuE5ELNS1_3repE0EEENS1_30default_config_static_selectorELNS0_4arch9wavefront6targetE1EEEvT1_
; %bb.0:
	.section	.rodata,"a",@progbits
	.p2align	6, 0x0
	.amdhsa_kernel _ZN7rocprim17ROCPRIM_400000_NS6detail17trampoline_kernelINS0_14default_configENS1_20scan_config_selectorIxEEZZNS1_9scan_implILNS1_25lookback_scan_determinismE0ELb0ELb1ES3_N6thrust23THRUST_200600_302600_NS6detail15normal_iteratorINS9_10device_ptrIxEEEESE_xNS9_10multipliesIxEExEEDaPvRmT3_T4_T5_mT6_P12ihipStream_tbENKUlT_T0_E_clISt17integral_constantIbLb0EESU_EEDaSP_SQ_EUlSP_E_NS1_11comp_targetILNS1_3genE10ELNS1_11target_archE1201ELNS1_3gpuE5ELNS1_3repE0EEENS1_30default_config_static_selectorELNS0_4arch9wavefront6targetE1EEEvT1_
		.amdhsa_group_segment_fixed_size 0
		.amdhsa_private_segment_fixed_size 0
		.amdhsa_kernarg_size 104
		.amdhsa_user_sgpr_count 6
		.amdhsa_user_sgpr_private_segment_buffer 1
		.amdhsa_user_sgpr_dispatch_ptr 0
		.amdhsa_user_sgpr_queue_ptr 0
		.amdhsa_user_sgpr_kernarg_segment_ptr 1
		.amdhsa_user_sgpr_dispatch_id 0
		.amdhsa_user_sgpr_flat_scratch_init 0
		.amdhsa_user_sgpr_kernarg_preload_length 0
		.amdhsa_user_sgpr_kernarg_preload_offset 0
		.amdhsa_user_sgpr_private_segment_size 0
		.amdhsa_uses_dynamic_stack 0
		.amdhsa_system_sgpr_private_segment_wavefront_offset 0
		.amdhsa_system_sgpr_workgroup_id_x 1
		.amdhsa_system_sgpr_workgroup_id_y 0
		.amdhsa_system_sgpr_workgroup_id_z 0
		.amdhsa_system_sgpr_workgroup_info 0
		.amdhsa_system_vgpr_workitem_id 0
		.amdhsa_next_free_vgpr 1
		.amdhsa_next_free_sgpr 0
		.amdhsa_accum_offset 4
		.amdhsa_reserve_vcc 0
		.amdhsa_reserve_flat_scratch 0
		.amdhsa_float_round_mode_32 0
		.amdhsa_float_round_mode_16_64 0
		.amdhsa_float_denorm_mode_32 3
		.amdhsa_float_denorm_mode_16_64 3
		.amdhsa_dx10_clamp 1
		.amdhsa_ieee_mode 1
		.amdhsa_fp16_overflow 0
		.amdhsa_tg_split 0
		.amdhsa_exception_fp_ieee_invalid_op 0
		.amdhsa_exception_fp_denorm_src 0
		.amdhsa_exception_fp_ieee_div_zero 0
		.amdhsa_exception_fp_ieee_overflow 0
		.amdhsa_exception_fp_ieee_underflow 0
		.amdhsa_exception_fp_ieee_inexact 0
		.amdhsa_exception_int_div_zero 0
	.end_amdhsa_kernel
	.section	.text._ZN7rocprim17ROCPRIM_400000_NS6detail17trampoline_kernelINS0_14default_configENS1_20scan_config_selectorIxEEZZNS1_9scan_implILNS1_25lookback_scan_determinismE0ELb0ELb1ES3_N6thrust23THRUST_200600_302600_NS6detail15normal_iteratorINS9_10device_ptrIxEEEESE_xNS9_10multipliesIxEExEEDaPvRmT3_T4_T5_mT6_P12ihipStream_tbENKUlT_T0_E_clISt17integral_constantIbLb0EESU_EEDaSP_SQ_EUlSP_E_NS1_11comp_targetILNS1_3genE10ELNS1_11target_archE1201ELNS1_3gpuE5ELNS1_3repE0EEENS1_30default_config_static_selectorELNS0_4arch9wavefront6targetE1EEEvT1_,"axG",@progbits,_ZN7rocprim17ROCPRIM_400000_NS6detail17trampoline_kernelINS0_14default_configENS1_20scan_config_selectorIxEEZZNS1_9scan_implILNS1_25lookback_scan_determinismE0ELb0ELb1ES3_N6thrust23THRUST_200600_302600_NS6detail15normal_iteratorINS9_10device_ptrIxEEEESE_xNS9_10multipliesIxEExEEDaPvRmT3_T4_T5_mT6_P12ihipStream_tbENKUlT_T0_E_clISt17integral_constantIbLb0EESU_EEDaSP_SQ_EUlSP_E_NS1_11comp_targetILNS1_3genE10ELNS1_11target_archE1201ELNS1_3gpuE5ELNS1_3repE0EEENS1_30default_config_static_selectorELNS0_4arch9wavefront6targetE1EEEvT1_,comdat
.Lfunc_end275:
	.size	_ZN7rocprim17ROCPRIM_400000_NS6detail17trampoline_kernelINS0_14default_configENS1_20scan_config_selectorIxEEZZNS1_9scan_implILNS1_25lookback_scan_determinismE0ELb0ELb1ES3_N6thrust23THRUST_200600_302600_NS6detail15normal_iteratorINS9_10device_ptrIxEEEESE_xNS9_10multipliesIxEExEEDaPvRmT3_T4_T5_mT6_P12ihipStream_tbENKUlT_T0_E_clISt17integral_constantIbLb0EESU_EEDaSP_SQ_EUlSP_E_NS1_11comp_targetILNS1_3genE10ELNS1_11target_archE1201ELNS1_3gpuE5ELNS1_3repE0EEENS1_30default_config_static_selectorELNS0_4arch9wavefront6targetE1EEEvT1_, .Lfunc_end275-_ZN7rocprim17ROCPRIM_400000_NS6detail17trampoline_kernelINS0_14default_configENS1_20scan_config_selectorIxEEZZNS1_9scan_implILNS1_25lookback_scan_determinismE0ELb0ELb1ES3_N6thrust23THRUST_200600_302600_NS6detail15normal_iteratorINS9_10device_ptrIxEEEESE_xNS9_10multipliesIxEExEEDaPvRmT3_T4_T5_mT6_P12ihipStream_tbENKUlT_T0_E_clISt17integral_constantIbLb0EESU_EEDaSP_SQ_EUlSP_E_NS1_11comp_targetILNS1_3genE10ELNS1_11target_archE1201ELNS1_3gpuE5ELNS1_3repE0EEENS1_30default_config_static_selectorELNS0_4arch9wavefront6targetE1EEEvT1_
                                        ; -- End function
	.section	.AMDGPU.csdata,"",@progbits
; Kernel info:
; codeLenInByte = 0
; NumSgprs: 4
; NumVgprs: 0
; NumAgprs: 0
; TotalNumVgprs: 0
; ScratchSize: 0
; MemoryBound: 0
; FloatMode: 240
; IeeeMode: 1
; LDSByteSize: 0 bytes/workgroup (compile time only)
; SGPRBlocks: 0
; VGPRBlocks: 0
; NumSGPRsForWavesPerEU: 4
; NumVGPRsForWavesPerEU: 1
; AccumOffset: 4
; Occupancy: 8
; WaveLimiterHint : 0
; COMPUTE_PGM_RSRC2:SCRATCH_EN: 0
; COMPUTE_PGM_RSRC2:USER_SGPR: 6
; COMPUTE_PGM_RSRC2:TRAP_HANDLER: 0
; COMPUTE_PGM_RSRC2:TGID_X_EN: 1
; COMPUTE_PGM_RSRC2:TGID_Y_EN: 0
; COMPUTE_PGM_RSRC2:TGID_Z_EN: 0
; COMPUTE_PGM_RSRC2:TIDIG_COMP_CNT: 0
; COMPUTE_PGM_RSRC3_GFX90A:ACCUM_OFFSET: 0
; COMPUTE_PGM_RSRC3_GFX90A:TG_SPLIT: 0
	.section	.text._ZN7rocprim17ROCPRIM_400000_NS6detail17trampoline_kernelINS0_14default_configENS1_20scan_config_selectorIxEEZZNS1_9scan_implILNS1_25lookback_scan_determinismE0ELb0ELb1ES3_N6thrust23THRUST_200600_302600_NS6detail15normal_iteratorINS9_10device_ptrIxEEEESE_xNS9_10multipliesIxEExEEDaPvRmT3_T4_T5_mT6_P12ihipStream_tbENKUlT_T0_E_clISt17integral_constantIbLb0EESU_EEDaSP_SQ_EUlSP_E_NS1_11comp_targetILNS1_3genE10ELNS1_11target_archE1200ELNS1_3gpuE4ELNS1_3repE0EEENS1_30default_config_static_selectorELNS0_4arch9wavefront6targetE1EEEvT1_,"axG",@progbits,_ZN7rocprim17ROCPRIM_400000_NS6detail17trampoline_kernelINS0_14default_configENS1_20scan_config_selectorIxEEZZNS1_9scan_implILNS1_25lookback_scan_determinismE0ELb0ELb1ES3_N6thrust23THRUST_200600_302600_NS6detail15normal_iteratorINS9_10device_ptrIxEEEESE_xNS9_10multipliesIxEExEEDaPvRmT3_T4_T5_mT6_P12ihipStream_tbENKUlT_T0_E_clISt17integral_constantIbLb0EESU_EEDaSP_SQ_EUlSP_E_NS1_11comp_targetILNS1_3genE10ELNS1_11target_archE1200ELNS1_3gpuE4ELNS1_3repE0EEENS1_30default_config_static_selectorELNS0_4arch9wavefront6targetE1EEEvT1_,comdat
	.protected	_ZN7rocprim17ROCPRIM_400000_NS6detail17trampoline_kernelINS0_14default_configENS1_20scan_config_selectorIxEEZZNS1_9scan_implILNS1_25lookback_scan_determinismE0ELb0ELb1ES3_N6thrust23THRUST_200600_302600_NS6detail15normal_iteratorINS9_10device_ptrIxEEEESE_xNS9_10multipliesIxEExEEDaPvRmT3_T4_T5_mT6_P12ihipStream_tbENKUlT_T0_E_clISt17integral_constantIbLb0EESU_EEDaSP_SQ_EUlSP_E_NS1_11comp_targetILNS1_3genE10ELNS1_11target_archE1200ELNS1_3gpuE4ELNS1_3repE0EEENS1_30default_config_static_selectorELNS0_4arch9wavefront6targetE1EEEvT1_ ; -- Begin function _ZN7rocprim17ROCPRIM_400000_NS6detail17trampoline_kernelINS0_14default_configENS1_20scan_config_selectorIxEEZZNS1_9scan_implILNS1_25lookback_scan_determinismE0ELb0ELb1ES3_N6thrust23THRUST_200600_302600_NS6detail15normal_iteratorINS9_10device_ptrIxEEEESE_xNS9_10multipliesIxEExEEDaPvRmT3_T4_T5_mT6_P12ihipStream_tbENKUlT_T0_E_clISt17integral_constantIbLb0EESU_EEDaSP_SQ_EUlSP_E_NS1_11comp_targetILNS1_3genE10ELNS1_11target_archE1200ELNS1_3gpuE4ELNS1_3repE0EEENS1_30default_config_static_selectorELNS0_4arch9wavefront6targetE1EEEvT1_
	.globl	_ZN7rocprim17ROCPRIM_400000_NS6detail17trampoline_kernelINS0_14default_configENS1_20scan_config_selectorIxEEZZNS1_9scan_implILNS1_25lookback_scan_determinismE0ELb0ELb1ES3_N6thrust23THRUST_200600_302600_NS6detail15normal_iteratorINS9_10device_ptrIxEEEESE_xNS9_10multipliesIxEExEEDaPvRmT3_T4_T5_mT6_P12ihipStream_tbENKUlT_T0_E_clISt17integral_constantIbLb0EESU_EEDaSP_SQ_EUlSP_E_NS1_11comp_targetILNS1_3genE10ELNS1_11target_archE1200ELNS1_3gpuE4ELNS1_3repE0EEENS1_30default_config_static_selectorELNS0_4arch9wavefront6targetE1EEEvT1_
	.p2align	8
	.type	_ZN7rocprim17ROCPRIM_400000_NS6detail17trampoline_kernelINS0_14default_configENS1_20scan_config_selectorIxEEZZNS1_9scan_implILNS1_25lookback_scan_determinismE0ELb0ELb1ES3_N6thrust23THRUST_200600_302600_NS6detail15normal_iteratorINS9_10device_ptrIxEEEESE_xNS9_10multipliesIxEExEEDaPvRmT3_T4_T5_mT6_P12ihipStream_tbENKUlT_T0_E_clISt17integral_constantIbLb0EESU_EEDaSP_SQ_EUlSP_E_NS1_11comp_targetILNS1_3genE10ELNS1_11target_archE1200ELNS1_3gpuE4ELNS1_3repE0EEENS1_30default_config_static_selectorELNS0_4arch9wavefront6targetE1EEEvT1_,@function
_ZN7rocprim17ROCPRIM_400000_NS6detail17trampoline_kernelINS0_14default_configENS1_20scan_config_selectorIxEEZZNS1_9scan_implILNS1_25lookback_scan_determinismE0ELb0ELb1ES3_N6thrust23THRUST_200600_302600_NS6detail15normal_iteratorINS9_10device_ptrIxEEEESE_xNS9_10multipliesIxEExEEDaPvRmT3_T4_T5_mT6_P12ihipStream_tbENKUlT_T0_E_clISt17integral_constantIbLb0EESU_EEDaSP_SQ_EUlSP_E_NS1_11comp_targetILNS1_3genE10ELNS1_11target_archE1200ELNS1_3gpuE4ELNS1_3repE0EEENS1_30default_config_static_selectorELNS0_4arch9wavefront6targetE1EEEvT1_: ; @_ZN7rocprim17ROCPRIM_400000_NS6detail17trampoline_kernelINS0_14default_configENS1_20scan_config_selectorIxEEZZNS1_9scan_implILNS1_25lookback_scan_determinismE0ELb0ELb1ES3_N6thrust23THRUST_200600_302600_NS6detail15normal_iteratorINS9_10device_ptrIxEEEESE_xNS9_10multipliesIxEExEEDaPvRmT3_T4_T5_mT6_P12ihipStream_tbENKUlT_T0_E_clISt17integral_constantIbLb0EESU_EEDaSP_SQ_EUlSP_E_NS1_11comp_targetILNS1_3genE10ELNS1_11target_archE1200ELNS1_3gpuE4ELNS1_3repE0EEENS1_30default_config_static_selectorELNS0_4arch9wavefront6targetE1EEEvT1_
; %bb.0:
	.section	.rodata,"a",@progbits
	.p2align	6, 0x0
	.amdhsa_kernel _ZN7rocprim17ROCPRIM_400000_NS6detail17trampoline_kernelINS0_14default_configENS1_20scan_config_selectorIxEEZZNS1_9scan_implILNS1_25lookback_scan_determinismE0ELb0ELb1ES3_N6thrust23THRUST_200600_302600_NS6detail15normal_iteratorINS9_10device_ptrIxEEEESE_xNS9_10multipliesIxEExEEDaPvRmT3_T4_T5_mT6_P12ihipStream_tbENKUlT_T0_E_clISt17integral_constantIbLb0EESU_EEDaSP_SQ_EUlSP_E_NS1_11comp_targetILNS1_3genE10ELNS1_11target_archE1200ELNS1_3gpuE4ELNS1_3repE0EEENS1_30default_config_static_selectorELNS0_4arch9wavefront6targetE1EEEvT1_
		.amdhsa_group_segment_fixed_size 0
		.amdhsa_private_segment_fixed_size 0
		.amdhsa_kernarg_size 104
		.amdhsa_user_sgpr_count 6
		.amdhsa_user_sgpr_private_segment_buffer 1
		.amdhsa_user_sgpr_dispatch_ptr 0
		.amdhsa_user_sgpr_queue_ptr 0
		.amdhsa_user_sgpr_kernarg_segment_ptr 1
		.amdhsa_user_sgpr_dispatch_id 0
		.amdhsa_user_sgpr_flat_scratch_init 0
		.amdhsa_user_sgpr_kernarg_preload_length 0
		.amdhsa_user_sgpr_kernarg_preload_offset 0
		.amdhsa_user_sgpr_private_segment_size 0
		.amdhsa_uses_dynamic_stack 0
		.amdhsa_system_sgpr_private_segment_wavefront_offset 0
		.amdhsa_system_sgpr_workgroup_id_x 1
		.amdhsa_system_sgpr_workgroup_id_y 0
		.amdhsa_system_sgpr_workgroup_id_z 0
		.amdhsa_system_sgpr_workgroup_info 0
		.amdhsa_system_vgpr_workitem_id 0
		.amdhsa_next_free_vgpr 1
		.amdhsa_next_free_sgpr 0
		.amdhsa_accum_offset 4
		.amdhsa_reserve_vcc 0
		.amdhsa_reserve_flat_scratch 0
		.amdhsa_float_round_mode_32 0
		.amdhsa_float_round_mode_16_64 0
		.amdhsa_float_denorm_mode_32 3
		.amdhsa_float_denorm_mode_16_64 3
		.amdhsa_dx10_clamp 1
		.amdhsa_ieee_mode 1
		.amdhsa_fp16_overflow 0
		.amdhsa_tg_split 0
		.amdhsa_exception_fp_ieee_invalid_op 0
		.amdhsa_exception_fp_denorm_src 0
		.amdhsa_exception_fp_ieee_div_zero 0
		.amdhsa_exception_fp_ieee_overflow 0
		.amdhsa_exception_fp_ieee_underflow 0
		.amdhsa_exception_fp_ieee_inexact 0
		.amdhsa_exception_int_div_zero 0
	.end_amdhsa_kernel
	.section	.text._ZN7rocprim17ROCPRIM_400000_NS6detail17trampoline_kernelINS0_14default_configENS1_20scan_config_selectorIxEEZZNS1_9scan_implILNS1_25lookback_scan_determinismE0ELb0ELb1ES3_N6thrust23THRUST_200600_302600_NS6detail15normal_iteratorINS9_10device_ptrIxEEEESE_xNS9_10multipliesIxEExEEDaPvRmT3_T4_T5_mT6_P12ihipStream_tbENKUlT_T0_E_clISt17integral_constantIbLb0EESU_EEDaSP_SQ_EUlSP_E_NS1_11comp_targetILNS1_3genE10ELNS1_11target_archE1200ELNS1_3gpuE4ELNS1_3repE0EEENS1_30default_config_static_selectorELNS0_4arch9wavefront6targetE1EEEvT1_,"axG",@progbits,_ZN7rocprim17ROCPRIM_400000_NS6detail17trampoline_kernelINS0_14default_configENS1_20scan_config_selectorIxEEZZNS1_9scan_implILNS1_25lookback_scan_determinismE0ELb0ELb1ES3_N6thrust23THRUST_200600_302600_NS6detail15normal_iteratorINS9_10device_ptrIxEEEESE_xNS9_10multipliesIxEExEEDaPvRmT3_T4_T5_mT6_P12ihipStream_tbENKUlT_T0_E_clISt17integral_constantIbLb0EESU_EEDaSP_SQ_EUlSP_E_NS1_11comp_targetILNS1_3genE10ELNS1_11target_archE1200ELNS1_3gpuE4ELNS1_3repE0EEENS1_30default_config_static_selectorELNS0_4arch9wavefront6targetE1EEEvT1_,comdat
.Lfunc_end276:
	.size	_ZN7rocprim17ROCPRIM_400000_NS6detail17trampoline_kernelINS0_14default_configENS1_20scan_config_selectorIxEEZZNS1_9scan_implILNS1_25lookback_scan_determinismE0ELb0ELb1ES3_N6thrust23THRUST_200600_302600_NS6detail15normal_iteratorINS9_10device_ptrIxEEEESE_xNS9_10multipliesIxEExEEDaPvRmT3_T4_T5_mT6_P12ihipStream_tbENKUlT_T0_E_clISt17integral_constantIbLb0EESU_EEDaSP_SQ_EUlSP_E_NS1_11comp_targetILNS1_3genE10ELNS1_11target_archE1200ELNS1_3gpuE4ELNS1_3repE0EEENS1_30default_config_static_selectorELNS0_4arch9wavefront6targetE1EEEvT1_, .Lfunc_end276-_ZN7rocprim17ROCPRIM_400000_NS6detail17trampoline_kernelINS0_14default_configENS1_20scan_config_selectorIxEEZZNS1_9scan_implILNS1_25lookback_scan_determinismE0ELb0ELb1ES3_N6thrust23THRUST_200600_302600_NS6detail15normal_iteratorINS9_10device_ptrIxEEEESE_xNS9_10multipliesIxEExEEDaPvRmT3_T4_T5_mT6_P12ihipStream_tbENKUlT_T0_E_clISt17integral_constantIbLb0EESU_EEDaSP_SQ_EUlSP_E_NS1_11comp_targetILNS1_3genE10ELNS1_11target_archE1200ELNS1_3gpuE4ELNS1_3repE0EEENS1_30default_config_static_selectorELNS0_4arch9wavefront6targetE1EEEvT1_
                                        ; -- End function
	.section	.AMDGPU.csdata,"",@progbits
; Kernel info:
; codeLenInByte = 0
; NumSgprs: 4
; NumVgprs: 0
; NumAgprs: 0
; TotalNumVgprs: 0
; ScratchSize: 0
; MemoryBound: 0
; FloatMode: 240
; IeeeMode: 1
; LDSByteSize: 0 bytes/workgroup (compile time only)
; SGPRBlocks: 0
; VGPRBlocks: 0
; NumSGPRsForWavesPerEU: 4
; NumVGPRsForWavesPerEU: 1
; AccumOffset: 4
; Occupancy: 8
; WaveLimiterHint : 0
; COMPUTE_PGM_RSRC2:SCRATCH_EN: 0
; COMPUTE_PGM_RSRC2:USER_SGPR: 6
; COMPUTE_PGM_RSRC2:TRAP_HANDLER: 0
; COMPUTE_PGM_RSRC2:TGID_X_EN: 1
; COMPUTE_PGM_RSRC2:TGID_Y_EN: 0
; COMPUTE_PGM_RSRC2:TGID_Z_EN: 0
; COMPUTE_PGM_RSRC2:TIDIG_COMP_CNT: 0
; COMPUTE_PGM_RSRC3_GFX90A:ACCUM_OFFSET: 0
; COMPUTE_PGM_RSRC3_GFX90A:TG_SPLIT: 0
	.section	.text._ZN7rocprim17ROCPRIM_400000_NS6detail17trampoline_kernelINS0_14default_configENS1_20scan_config_selectorIxEEZZNS1_9scan_implILNS1_25lookback_scan_determinismE0ELb0ELb1ES3_N6thrust23THRUST_200600_302600_NS6detail15normal_iteratorINS9_10device_ptrIxEEEESE_xNS9_10multipliesIxEExEEDaPvRmT3_T4_T5_mT6_P12ihipStream_tbENKUlT_T0_E_clISt17integral_constantIbLb0EESU_EEDaSP_SQ_EUlSP_E_NS1_11comp_targetILNS1_3genE9ELNS1_11target_archE1100ELNS1_3gpuE3ELNS1_3repE0EEENS1_30default_config_static_selectorELNS0_4arch9wavefront6targetE1EEEvT1_,"axG",@progbits,_ZN7rocprim17ROCPRIM_400000_NS6detail17trampoline_kernelINS0_14default_configENS1_20scan_config_selectorIxEEZZNS1_9scan_implILNS1_25lookback_scan_determinismE0ELb0ELb1ES3_N6thrust23THRUST_200600_302600_NS6detail15normal_iteratorINS9_10device_ptrIxEEEESE_xNS9_10multipliesIxEExEEDaPvRmT3_T4_T5_mT6_P12ihipStream_tbENKUlT_T0_E_clISt17integral_constantIbLb0EESU_EEDaSP_SQ_EUlSP_E_NS1_11comp_targetILNS1_3genE9ELNS1_11target_archE1100ELNS1_3gpuE3ELNS1_3repE0EEENS1_30default_config_static_selectorELNS0_4arch9wavefront6targetE1EEEvT1_,comdat
	.protected	_ZN7rocprim17ROCPRIM_400000_NS6detail17trampoline_kernelINS0_14default_configENS1_20scan_config_selectorIxEEZZNS1_9scan_implILNS1_25lookback_scan_determinismE0ELb0ELb1ES3_N6thrust23THRUST_200600_302600_NS6detail15normal_iteratorINS9_10device_ptrIxEEEESE_xNS9_10multipliesIxEExEEDaPvRmT3_T4_T5_mT6_P12ihipStream_tbENKUlT_T0_E_clISt17integral_constantIbLb0EESU_EEDaSP_SQ_EUlSP_E_NS1_11comp_targetILNS1_3genE9ELNS1_11target_archE1100ELNS1_3gpuE3ELNS1_3repE0EEENS1_30default_config_static_selectorELNS0_4arch9wavefront6targetE1EEEvT1_ ; -- Begin function _ZN7rocprim17ROCPRIM_400000_NS6detail17trampoline_kernelINS0_14default_configENS1_20scan_config_selectorIxEEZZNS1_9scan_implILNS1_25lookback_scan_determinismE0ELb0ELb1ES3_N6thrust23THRUST_200600_302600_NS6detail15normal_iteratorINS9_10device_ptrIxEEEESE_xNS9_10multipliesIxEExEEDaPvRmT3_T4_T5_mT6_P12ihipStream_tbENKUlT_T0_E_clISt17integral_constantIbLb0EESU_EEDaSP_SQ_EUlSP_E_NS1_11comp_targetILNS1_3genE9ELNS1_11target_archE1100ELNS1_3gpuE3ELNS1_3repE0EEENS1_30default_config_static_selectorELNS0_4arch9wavefront6targetE1EEEvT1_
	.globl	_ZN7rocprim17ROCPRIM_400000_NS6detail17trampoline_kernelINS0_14default_configENS1_20scan_config_selectorIxEEZZNS1_9scan_implILNS1_25lookback_scan_determinismE0ELb0ELb1ES3_N6thrust23THRUST_200600_302600_NS6detail15normal_iteratorINS9_10device_ptrIxEEEESE_xNS9_10multipliesIxEExEEDaPvRmT3_T4_T5_mT6_P12ihipStream_tbENKUlT_T0_E_clISt17integral_constantIbLb0EESU_EEDaSP_SQ_EUlSP_E_NS1_11comp_targetILNS1_3genE9ELNS1_11target_archE1100ELNS1_3gpuE3ELNS1_3repE0EEENS1_30default_config_static_selectorELNS0_4arch9wavefront6targetE1EEEvT1_
	.p2align	8
	.type	_ZN7rocprim17ROCPRIM_400000_NS6detail17trampoline_kernelINS0_14default_configENS1_20scan_config_selectorIxEEZZNS1_9scan_implILNS1_25lookback_scan_determinismE0ELb0ELb1ES3_N6thrust23THRUST_200600_302600_NS6detail15normal_iteratorINS9_10device_ptrIxEEEESE_xNS9_10multipliesIxEExEEDaPvRmT3_T4_T5_mT6_P12ihipStream_tbENKUlT_T0_E_clISt17integral_constantIbLb0EESU_EEDaSP_SQ_EUlSP_E_NS1_11comp_targetILNS1_3genE9ELNS1_11target_archE1100ELNS1_3gpuE3ELNS1_3repE0EEENS1_30default_config_static_selectorELNS0_4arch9wavefront6targetE1EEEvT1_,@function
_ZN7rocprim17ROCPRIM_400000_NS6detail17trampoline_kernelINS0_14default_configENS1_20scan_config_selectorIxEEZZNS1_9scan_implILNS1_25lookback_scan_determinismE0ELb0ELb1ES3_N6thrust23THRUST_200600_302600_NS6detail15normal_iteratorINS9_10device_ptrIxEEEESE_xNS9_10multipliesIxEExEEDaPvRmT3_T4_T5_mT6_P12ihipStream_tbENKUlT_T0_E_clISt17integral_constantIbLb0EESU_EEDaSP_SQ_EUlSP_E_NS1_11comp_targetILNS1_3genE9ELNS1_11target_archE1100ELNS1_3gpuE3ELNS1_3repE0EEENS1_30default_config_static_selectorELNS0_4arch9wavefront6targetE1EEEvT1_: ; @_ZN7rocprim17ROCPRIM_400000_NS6detail17trampoline_kernelINS0_14default_configENS1_20scan_config_selectorIxEEZZNS1_9scan_implILNS1_25lookback_scan_determinismE0ELb0ELb1ES3_N6thrust23THRUST_200600_302600_NS6detail15normal_iteratorINS9_10device_ptrIxEEEESE_xNS9_10multipliesIxEExEEDaPvRmT3_T4_T5_mT6_P12ihipStream_tbENKUlT_T0_E_clISt17integral_constantIbLb0EESU_EEDaSP_SQ_EUlSP_E_NS1_11comp_targetILNS1_3genE9ELNS1_11target_archE1100ELNS1_3gpuE3ELNS1_3repE0EEENS1_30default_config_static_selectorELNS0_4arch9wavefront6targetE1EEEvT1_
; %bb.0:
	.section	.rodata,"a",@progbits
	.p2align	6, 0x0
	.amdhsa_kernel _ZN7rocprim17ROCPRIM_400000_NS6detail17trampoline_kernelINS0_14default_configENS1_20scan_config_selectorIxEEZZNS1_9scan_implILNS1_25lookback_scan_determinismE0ELb0ELb1ES3_N6thrust23THRUST_200600_302600_NS6detail15normal_iteratorINS9_10device_ptrIxEEEESE_xNS9_10multipliesIxEExEEDaPvRmT3_T4_T5_mT6_P12ihipStream_tbENKUlT_T0_E_clISt17integral_constantIbLb0EESU_EEDaSP_SQ_EUlSP_E_NS1_11comp_targetILNS1_3genE9ELNS1_11target_archE1100ELNS1_3gpuE3ELNS1_3repE0EEENS1_30default_config_static_selectorELNS0_4arch9wavefront6targetE1EEEvT1_
		.amdhsa_group_segment_fixed_size 0
		.amdhsa_private_segment_fixed_size 0
		.amdhsa_kernarg_size 104
		.amdhsa_user_sgpr_count 6
		.amdhsa_user_sgpr_private_segment_buffer 1
		.amdhsa_user_sgpr_dispatch_ptr 0
		.amdhsa_user_sgpr_queue_ptr 0
		.amdhsa_user_sgpr_kernarg_segment_ptr 1
		.amdhsa_user_sgpr_dispatch_id 0
		.amdhsa_user_sgpr_flat_scratch_init 0
		.amdhsa_user_sgpr_kernarg_preload_length 0
		.amdhsa_user_sgpr_kernarg_preload_offset 0
		.amdhsa_user_sgpr_private_segment_size 0
		.amdhsa_uses_dynamic_stack 0
		.amdhsa_system_sgpr_private_segment_wavefront_offset 0
		.amdhsa_system_sgpr_workgroup_id_x 1
		.amdhsa_system_sgpr_workgroup_id_y 0
		.amdhsa_system_sgpr_workgroup_id_z 0
		.amdhsa_system_sgpr_workgroup_info 0
		.amdhsa_system_vgpr_workitem_id 0
		.amdhsa_next_free_vgpr 1
		.amdhsa_next_free_sgpr 0
		.amdhsa_accum_offset 4
		.amdhsa_reserve_vcc 0
		.amdhsa_reserve_flat_scratch 0
		.amdhsa_float_round_mode_32 0
		.amdhsa_float_round_mode_16_64 0
		.amdhsa_float_denorm_mode_32 3
		.amdhsa_float_denorm_mode_16_64 3
		.amdhsa_dx10_clamp 1
		.amdhsa_ieee_mode 1
		.amdhsa_fp16_overflow 0
		.amdhsa_tg_split 0
		.amdhsa_exception_fp_ieee_invalid_op 0
		.amdhsa_exception_fp_denorm_src 0
		.amdhsa_exception_fp_ieee_div_zero 0
		.amdhsa_exception_fp_ieee_overflow 0
		.amdhsa_exception_fp_ieee_underflow 0
		.amdhsa_exception_fp_ieee_inexact 0
		.amdhsa_exception_int_div_zero 0
	.end_amdhsa_kernel
	.section	.text._ZN7rocprim17ROCPRIM_400000_NS6detail17trampoline_kernelINS0_14default_configENS1_20scan_config_selectorIxEEZZNS1_9scan_implILNS1_25lookback_scan_determinismE0ELb0ELb1ES3_N6thrust23THRUST_200600_302600_NS6detail15normal_iteratorINS9_10device_ptrIxEEEESE_xNS9_10multipliesIxEExEEDaPvRmT3_T4_T5_mT6_P12ihipStream_tbENKUlT_T0_E_clISt17integral_constantIbLb0EESU_EEDaSP_SQ_EUlSP_E_NS1_11comp_targetILNS1_3genE9ELNS1_11target_archE1100ELNS1_3gpuE3ELNS1_3repE0EEENS1_30default_config_static_selectorELNS0_4arch9wavefront6targetE1EEEvT1_,"axG",@progbits,_ZN7rocprim17ROCPRIM_400000_NS6detail17trampoline_kernelINS0_14default_configENS1_20scan_config_selectorIxEEZZNS1_9scan_implILNS1_25lookback_scan_determinismE0ELb0ELb1ES3_N6thrust23THRUST_200600_302600_NS6detail15normal_iteratorINS9_10device_ptrIxEEEESE_xNS9_10multipliesIxEExEEDaPvRmT3_T4_T5_mT6_P12ihipStream_tbENKUlT_T0_E_clISt17integral_constantIbLb0EESU_EEDaSP_SQ_EUlSP_E_NS1_11comp_targetILNS1_3genE9ELNS1_11target_archE1100ELNS1_3gpuE3ELNS1_3repE0EEENS1_30default_config_static_selectorELNS0_4arch9wavefront6targetE1EEEvT1_,comdat
.Lfunc_end277:
	.size	_ZN7rocprim17ROCPRIM_400000_NS6detail17trampoline_kernelINS0_14default_configENS1_20scan_config_selectorIxEEZZNS1_9scan_implILNS1_25lookback_scan_determinismE0ELb0ELb1ES3_N6thrust23THRUST_200600_302600_NS6detail15normal_iteratorINS9_10device_ptrIxEEEESE_xNS9_10multipliesIxEExEEDaPvRmT3_T4_T5_mT6_P12ihipStream_tbENKUlT_T0_E_clISt17integral_constantIbLb0EESU_EEDaSP_SQ_EUlSP_E_NS1_11comp_targetILNS1_3genE9ELNS1_11target_archE1100ELNS1_3gpuE3ELNS1_3repE0EEENS1_30default_config_static_selectorELNS0_4arch9wavefront6targetE1EEEvT1_, .Lfunc_end277-_ZN7rocprim17ROCPRIM_400000_NS6detail17trampoline_kernelINS0_14default_configENS1_20scan_config_selectorIxEEZZNS1_9scan_implILNS1_25lookback_scan_determinismE0ELb0ELb1ES3_N6thrust23THRUST_200600_302600_NS6detail15normal_iteratorINS9_10device_ptrIxEEEESE_xNS9_10multipliesIxEExEEDaPvRmT3_T4_T5_mT6_P12ihipStream_tbENKUlT_T0_E_clISt17integral_constantIbLb0EESU_EEDaSP_SQ_EUlSP_E_NS1_11comp_targetILNS1_3genE9ELNS1_11target_archE1100ELNS1_3gpuE3ELNS1_3repE0EEENS1_30default_config_static_selectorELNS0_4arch9wavefront6targetE1EEEvT1_
                                        ; -- End function
	.section	.AMDGPU.csdata,"",@progbits
; Kernel info:
; codeLenInByte = 0
; NumSgprs: 4
; NumVgprs: 0
; NumAgprs: 0
; TotalNumVgprs: 0
; ScratchSize: 0
; MemoryBound: 0
; FloatMode: 240
; IeeeMode: 1
; LDSByteSize: 0 bytes/workgroup (compile time only)
; SGPRBlocks: 0
; VGPRBlocks: 0
; NumSGPRsForWavesPerEU: 4
; NumVGPRsForWavesPerEU: 1
; AccumOffset: 4
; Occupancy: 8
; WaveLimiterHint : 0
; COMPUTE_PGM_RSRC2:SCRATCH_EN: 0
; COMPUTE_PGM_RSRC2:USER_SGPR: 6
; COMPUTE_PGM_RSRC2:TRAP_HANDLER: 0
; COMPUTE_PGM_RSRC2:TGID_X_EN: 1
; COMPUTE_PGM_RSRC2:TGID_Y_EN: 0
; COMPUTE_PGM_RSRC2:TGID_Z_EN: 0
; COMPUTE_PGM_RSRC2:TIDIG_COMP_CNT: 0
; COMPUTE_PGM_RSRC3_GFX90A:ACCUM_OFFSET: 0
; COMPUTE_PGM_RSRC3_GFX90A:TG_SPLIT: 0
	.section	.text._ZN7rocprim17ROCPRIM_400000_NS6detail17trampoline_kernelINS0_14default_configENS1_20scan_config_selectorIxEEZZNS1_9scan_implILNS1_25lookback_scan_determinismE0ELb0ELb1ES3_N6thrust23THRUST_200600_302600_NS6detail15normal_iteratorINS9_10device_ptrIxEEEESE_xNS9_10multipliesIxEExEEDaPvRmT3_T4_T5_mT6_P12ihipStream_tbENKUlT_T0_E_clISt17integral_constantIbLb0EESU_EEDaSP_SQ_EUlSP_E_NS1_11comp_targetILNS1_3genE8ELNS1_11target_archE1030ELNS1_3gpuE2ELNS1_3repE0EEENS1_30default_config_static_selectorELNS0_4arch9wavefront6targetE1EEEvT1_,"axG",@progbits,_ZN7rocprim17ROCPRIM_400000_NS6detail17trampoline_kernelINS0_14default_configENS1_20scan_config_selectorIxEEZZNS1_9scan_implILNS1_25lookback_scan_determinismE0ELb0ELb1ES3_N6thrust23THRUST_200600_302600_NS6detail15normal_iteratorINS9_10device_ptrIxEEEESE_xNS9_10multipliesIxEExEEDaPvRmT3_T4_T5_mT6_P12ihipStream_tbENKUlT_T0_E_clISt17integral_constantIbLb0EESU_EEDaSP_SQ_EUlSP_E_NS1_11comp_targetILNS1_3genE8ELNS1_11target_archE1030ELNS1_3gpuE2ELNS1_3repE0EEENS1_30default_config_static_selectorELNS0_4arch9wavefront6targetE1EEEvT1_,comdat
	.protected	_ZN7rocprim17ROCPRIM_400000_NS6detail17trampoline_kernelINS0_14default_configENS1_20scan_config_selectorIxEEZZNS1_9scan_implILNS1_25lookback_scan_determinismE0ELb0ELb1ES3_N6thrust23THRUST_200600_302600_NS6detail15normal_iteratorINS9_10device_ptrIxEEEESE_xNS9_10multipliesIxEExEEDaPvRmT3_T4_T5_mT6_P12ihipStream_tbENKUlT_T0_E_clISt17integral_constantIbLb0EESU_EEDaSP_SQ_EUlSP_E_NS1_11comp_targetILNS1_3genE8ELNS1_11target_archE1030ELNS1_3gpuE2ELNS1_3repE0EEENS1_30default_config_static_selectorELNS0_4arch9wavefront6targetE1EEEvT1_ ; -- Begin function _ZN7rocprim17ROCPRIM_400000_NS6detail17trampoline_kernelINS0_14default_configENS1_20scan_config_selectorIxEEZZNS1_9scan_implILNS1_25lookback_scan_determinismE0ELb0ELb1ES3_N6thrust23THRUST_200600_302600_NS6detail15normal_iteratorINS9_10device_ptrIxEEEESE_xNS9_10multipliesIxEExEEDaPvRmT3_T4_T5_mT6_P12ihipStream_tbENKUlT_T0_E_clISt17integral_constantIbLb0EESU_EEDaSP_SQ_EUlSP_E_NS1_11comp_targetILNS1_3genE8ELNS1_11target_archE1030ELNS1_3gpuE2ELNS1_3repE0EEENS1_30default_config_static_selectorELNS0_4arch9wavefront6targetE1EEEvT1_
	.globl	_ZN7rocprim17ROCPRIM_400000_NS6detail17trampoline_kernelINS0_14default_configENS1_20scan_config_selectorIxEEZZNS1_9scan_implILNS1_25lookback_scan_determinismE0ELb0ELb1ES3_N6thrust23THRUST_200600_302600_NS6detail15normal_iteratorINS9_10device_ptrIxEEEESE_xNS9_10multipliesIxEExEEDaPvRmT3_T4_T5_mT6_P12ihipStream_tbENKUlT_T0_E_clISt17integral_constantIbLb0EESU_EEDaSP_SQ_EUlSP_E_NS1_11comp_targetILNS1_3genE8ELNS1_11target_archE1030ELNS1_3gpuE2ELNS1_3repE0EEENS1_30default_config_static_selectorELNS0_4arch9wavefront6targetE1EEEvT1_
	.p2align	8
	.type	_ZN7rocprim17ROCPRIM_400000_NS6detail17trampoline_kernelINS0_14default_configENS1_20scan_config_selectorIxEEZZNS1_9scan_implILNS1_25lookback_scan_determinismE0ELb0ELb1ES3_N6thrust23THRUST_200600_302600_NS6detail15normal_iteratorINS9_10device_ptrIxEEEESE_xNS9_10multipliesIxEExEEDaPvRmT3_T4_T5_mT6_P12ihipStream_tbENKUlT_T0_E_clISt17integral_constantIbLb0EESU_EEDaSP_SQ_EUlSP_E_NS1_11comp_targetILNS1_3genE8ELNS1_11target_archE1030ELNS1_3gpuE2ELNS1_3repE0EEENS1_30default_config_static_selectorELNS0_4arch9wavefront6targetE1EEEvT1_,@function
_ZN7rocprim17ROCPRIM_400000_NS6detail17trampoline_kernelINS0_14default_configENS1_20scan_config_selectorIxEEZZNS1_9scan_implILNS1_25lookback_scan_determinismE0ELb0ELb1ES3_N6thrust23THRUST_200600_302600_NS6detail15normal_iteratorINS9_10device_ptrIxEEEESE_xNS9_10multipliesIxEExEEDaPvRmT3_T4_T5_mT6_P12ihipStream_tbENKUlT_T0_E_clISt17integral_constantIbLb0EESU_EEDaSP_SQ_EUlSP_E_NS1_11comp_targetILNS1_3genE8ELNS1_11target_archE1030ELNS1_3gpuE2ELNS1_3repE0EEENS1_30default_config_static_selectorELNS0_4arch9wavefront6targetE1EEEvT1_: ; @_ZN7rocprim17ROCPRIM_400000_NS6detail17trampoline_kernelINS0_14default_configENS1_20scan_config_selectorIxEEZZNS1_9scan_implILNS1_25lookback_scan_determinismE0ELb0ELb1ES3_N6thrust23THRUST_200600_302600_NS6detail15normal_iteratorINS9_10device_ptrIxEEEESE_xNS9_10multipliesIxEExEEDaPvRmT3_T4_T5_mT6_P12ihipStream_tbENKUlT_T0_E_clISt17integral_constantIbLb0EESU_EEDaSP_SQ_EUlSP_E_NS1_11comp_targetILNS1_3genE8ELNS1_11target_archE1030ELNS1_3gpuE2ELNS1_3repE0EEENS1_30default_config_static_selectorELNS0_4arch9wavefront6targetE1EEEvT1_
; %bb.0:
	.section	.rodata,"a",@progbits
	.p2align	6, 0x0
	.amdhsa_kernel _ZN7rocprim17ROCPRIM_400000_NS6detail17trampoline_kernelINS0_14default_configENS1_20scan_config_selectorIxEEZZNS1_9scan_implILNS1_25lookback_scan_determinismE0ELb0ELb1ES3_N6thrust23THRUST_200600_302600_NS6detail15normal_iteratorINS9_10device_ptrIxEEEESE_xNS9_10multipliesIxEExEEDaPvRmT3_T4_T5_mT6_P12ihipStream_tbENKUlT_T0_E_clISt17integral_constantIbLb0EESU_EEDaSP_SQ_EUlSP_E_NS1_11comp_targetILNS1_3genE8ELNS1_11target_archE1030ELNS1_3gpuE2ELNS1_3repE0EEENS1_30default_config_static_selectorELNS0_4arch9wavefront6targetE1EEEvT1_
		.amdhsa_group_segment_fixed_size 0
		.amdhsa_private_segment_fixed_size 0
		.amdhsa_kernarg_size 104
		.amdhsa_user_sgpr_count 6
		.amdhsa_user_sgpr_private_segment_buffer 1
		.amdhsa_user_sgpr_dispatch_ptr 0
		.amdhsa_user_sgpr_queue_ptr 0
		.amdhsa_user_sgpr_kernarg_segment_ptr 1
		.amdhsa_user_sgpr_dispatch_id 0
		.amdhsa_user_sgpr_flat_scratch_init 0
		.amdhsa_user_sgpr_kernarg_preload_length 0
		.amdhsa_user_sgpr_kernarg_preload_offset 0
		.amdhsa_user_sgpr_private_segment_size 0
		.amdhsa_uses_dynamic_stack 0
		.amdhsa_system_sgpr_private_segment_wavefront_offset 0
		.amdhsa_system_sgpr_workgroup_id_x 1
		.amdhsa_system_sgpr_workgroup_id_y 0
		.amdhsa_system_sgpr_workgroup_id_z 0
		.amdhsa_system_sgpr_workgroup_info 0
		.amdhsa_system_vgpr_workitem_id 0
		.amdhsa_next_free_vgpr 1
		.amdhsa_next_free_sgpr 0
		.amdhsa_accum_offset 4
		.amdhsa_reserve_vcc 0
		.amdhsa_reserve_flat_scratch 0
		.amdhsa_float_round_mode_32 0
		.amdhsa_float_round_mode_16_64 0
		.amdhsa_float_denorm_mode_32 3
		.amdhsa_float_denorm_mode_16_64 3
		.amdhsa_dx10_clamp 1
		.amdhsa_ieee_mode 1
		.amdhsa_fp16_overflow 0
		.amdhsa_tg_split 0
		.amdhsa_exception_fp_ieee_invalid_op 0
		.amdhsa_exception_fp_denorm_src 0
		.amdhsa_exception_fp_ieee_div_zero 0
		.amdhsa_exception_fp_ieee_overflow 0
		.amdhsa_exception_fp_ieee_underflow 0
		.amdhsa_exception_fp_ieee_inexact 0
		.amdhsa_exception_int_div_zero 0
	.end_amdhsa_kernel
	.section	.text._ZN7rocprim17ROCPRIM_400000_NS6detail17trampoline_kernelINS0_14default_configENS1_20scan_config_selectorIxEEZZNS1_9scan_implILNS1_25lookback_scan_determinismE0ELb0ELb1ES3_N6thrust23THRUST_200600_302600_NS6detail15normal_iteratorINS9_10device_ptrIxEEEESE_xNS9_10multipliesIxEExEEDaPvRmT3_T4_T5_mT6_P12ihipStream_tbENKUlT_T0_E_clISt17integral_constantIbLb0EESU_EEDaSP_SQ_EUlSP_E_NS1_11comp_targetILNS1_3genE8ELNS1_11target_archE1030ELNS1_3gpuE2ELNS1_3repE0EEENS1_30default_config_static_selectorELNS0_4arch9wavefront6targetE1EEEvT1_,"axG",@progbits,_ZN7rocprim17ROCPRIM_400000_NS6detail17trampoline_kernelINS0_14default_configENS1_20scan_config_selectorIxEEZZNS1_9scan_implILNS1_25lookback_scan_determinismE0ELb0ELb1ES3_N6thrust23THRUST_200600_302600_NS6detail15normal_iteratorINS9_10device_ptrIxEEEESE_xNS9_10multipliesIxEExEEDaPvRmT3_T4_T5_mT6_P12ihipStream_tbENKUlT_T0_E_clISt17integral_constantIbLb0EESU_EEDaSP_SQ_EUlSP_E_NS1_11comp_targetILNS1_3genE8ELNS1_11target_archE1030ELNS1_3gpuE2ELNS1_3repE0EEENS1_30default_config_static_selectorELNS0_4arch9wavefront6targetE1EEEvT1_,comdat
.Lfunc_end278:
	.size	_ZN7rocprim17ROCPRIM_400000_NS6detail17trampoline_kernelINS0_14default_configENS1_20scan_config_selectorIxEEZZNS1_9scan_implILNS1_25lookback_scan_determinismE0ELb0ELb1ES3_N6thrust23THRUST_200600_302600_NS6detail15normal_iteratorINS9_10device_ptrIxEEEESE_xNS9_10multipliesIxEExEEDaPvRmT3_T4_T5_mT6_P12ihipStream_tbENKUlT_T0_E_clISt17integral_constantIbLb0EESU_EEDaSP_SQ_EUlSP_E_NS1_11comp_targetILNS1_3genE8ELNS1_11target_archE1030ELNS1_3gpuE2ELNS1_3repE0EEENS1_30default_config_static_selectorELNS0_4arch9wavefront6targetE1EEEvT1_, .Lfunc_end278-_ZN7rocprim17ROCPRIM_400000_NS6detail17trampoline_kernelINS0_14default_configENS1_20scan_config_selectorIxEEZZNS1_9scan_implILNS1_25lookback_scan_determinismE0ELb0ELb1ES3_N6thrust23THRUST_200600_302600_NS6detail15normal_iteratorINS9_10device_ptrIxEEEESE_xNS9_10multipliesIxEExEEDaPvRmT3_T4_T5_mT6_P12ihipStream_tbENKUlT_T0_E_clISt17integral_constantIbLb0EESU_EEDaSP_SQ_EUlSP_E_NS1_11comp_targetILNS1_3genE8ELNS1_11target_archE1030ELNS1_3gpuE2ELNS1_3repE0EEENS1_30default_config_static_selectorELNS0_4arch9wavefront6targetE1EEEvT1_
                                        ; -- End function
	.section	.AMDGPU.csdata,"",@progbits
; Kernel info:
; codeLenInByte = 0
; NumSgprs: 4
; NumVgprs: 0
; NumAgprs: 0
; TotalNumVgprs: 0
; ScratchSize: 0
; MemoryBound: 0
; FloatMode: 240
; IeeeMode: 1
; LDSByteSize: 0 bytes/workgroup (compile time only)
; SGPRBlocks: 0
; VGPRBlocks: 0
; NumSGPRsForWavesPerEU: 4
; NumVGPRsForWavesPerEU: 1
; AccumOffset: 4
; Occupancy: 8
; WaveLimiterHint : 0
; COMPUTE_PGM_RSRC2:SCRATCH_EN: 0
; COMPUTE_PGM_RSRC2:USER_SGPR: 6
; COMPUTE_PGM_RSRC2:TRAP_HANDLER: 0
; COMPUTE_PGM_RSRC2:TGID_X_EN: 1
; COMPUTE_PGM_RSRC2:TGID_Y_EN: 0
; COMPUTE_PGM_RSRC2:TGID_Z_EN: 0
; COMPUTE_PGM_RSRC2:TIDIG_COMP_CNT: 0
; COMPUTE_PGM_RSRC3_GFX90A:ACCUM_OFFSET: 0
; COMPUTE_PGM_RSRC3_GFX90A:TG_SPLIT: 0
	.section	.text._ZN7rocprim17ROCPRIM_400000_NS6detail17trampoline_kernelINS0_14default_configENS1_20scan_config_selectorIxEEZZNS1_9scan_implILNS1_25lookback_scan_determinismE0ELb0ELb1ES3_N6thrust23THRUST_200600_302600_NS6detail15normal_iteratorINS9_10device_ptrIxEEEESE_xNS9_10multipliesIxEExEEDaPvRmT3_T4_T5_mT6_P12ihipStream_tbENKUlT_T0_E_clISt17integral_constantIbLb0EESU_EEDaSP_SQ_EUlSP_E0_NS1_11comp_targetILNS1_3genE0ELNS1_11target_archE4294967295ELNS1_3gpuE0ELNS1_3repE0EEENS1_30default_config_static_selectorELNS0_4arch9wavefront6targetE1EEEvT1_,"axG",@progbits,_ZN7rocprim17ROCPRIM_400000_NS6detail17trampoline_kernelINS0_14default_configENS1_20scan_config_selectorIxEEZZNS1_9scan_implILNS1_25lookback_scan_determinismE0ELb0ELb1ES3_N6thrust23THRUST_200600_302600_NS6detail15normal_iteratorINS9_10device_ptrIxEEEESE_xNS9_10multipliesIxEExEEDaPvRmT3_T4_T5_mT6_P12ihipStream_tbENKUlT_T0_E_clISt17integral_constantIbLb0EESU_EEDaSP_SQ_EUlSP_E0_NS1_11comp_targetILNS1_3genE0ELNS1_11target_archE4294967295ELNS1_3gpuE0ELNS1_3repE0EEENS1_30default_config_static_selectorELNS0_4arch9wavefront6targetE1EEEvT1_,comdat
	.protected	_ZN7rocprim17ROCPRIM_400000_NS6detail17trampoline_kernelINS0_14default_configENS1_20scan_config_selectorIxEEZZNS1_9scan_implILNS1_25lookback_scan_determinismE0ELb0ELb1ES3_N6thrust23THRUST_200600_302600_NS6detail15normal_iteratorINS9_10device_ptrIxEEEESE_xNS9_10multipliesIxEExEEDaPvRmT3_T4_T5_mT6_P12ihipStream_tbENKUlT_T0_E_clISt17integral_constantIbLb0EESU_EEDaSP_SQ_EUlSP_E0_NS1_11comp_targetILNS1_3genE0ELNS1_11target_archE4294967295ELNS1_3gpuE0ELNS1_3repE0EEENS1_30default_config_static_selectorELNS0_4arch9wavefront6targetE1EEEvT1_ ; -- Begin function _ZN7rocprim17ROCPRIM_400000_NS6detail17trampoline_kernelINS0_14default_configENS1_20scan_config_selectorIxEEZZNS1_9scan_implILNS1_25lookback_scan_determinismE0ELb0ELb1ES3_N6thrust23THRUST_200600_302600_NS6detail15normal_iteratorINS9_10device_ptrIxEEEESE_xNS9_10multipliesIxEExEEDaPvRmT3_T4_T5_mT6_P12ihipStream_tbENKUlT_T0_E_clISt17integral_constantIbLb0EESU_EEDaSP_SQ_EUlSP_E0_NS1_11comp_targetILNS1_3genE0ELNS1_11target_archE4294967295ELNS1_3gpuE0ELNS1_3repE0EEENS1_30default_config_static_selectorELNS0_4arch9wavefront6targetE1EEEvT1_
	.globl	_ZN7rocprim17ROCPRIM_400000_NS6detail17trampoline_kernelINS0_14default_configENS1_20scan_config_selectorIxEEZZNS1_9scan_implILNS1_25lookback_scan_determinismE0ELb0ELb1ES3_N6thrust23THRUST_200600_302600_NS6detail15normal_iteratorINS9_10device_ptrIxEEEESE_xNS9_10multipliesIxEExEEDaPvRmT3_T4_T5_mT6_P12ihipStream_tbENKUlT_T0_E_clISt17integral_constantIbLb0EESU_EEDaSP_SQ_EUlSP_E0_NS1_11comp_targetILNS1_3genE0ELNS1_11target_archE4294967295ELNS1_3gpuE0ELNS1_3repE0EEENS1_30default_config_static_selectorELNS0_4arch9wavefront6targetE1EEEvT1_
	.p2align	8
	.type	_ZN7rocprim17ROCPRIM_400000_NS6detail17trampoline_kernelINS0_14default_configENS1_20scan_config_selectorIxEEZZNS1_9scan_implILNS1_25lookback_scan_determinismE0ELb0ELb1ES3_N6thrust23THRUST_200600_302600_NS6detail15normal_iteratorINS9_10device_ptrIxEEEESE_xNS9_10multipliesIxEExEEDaPvRmT3_T4_T5_mT6_P12ihipStream_tbENKUlT_T0_E_clISt17integral_constantIbLb0EESU_EEDaSP_SQ_EUlSP_E0_NS1_11comp_targetILNS1_3genE0ELNS1_11target_archE4294967295ELNS1_3gpuE0ELNS1_3repE0EEENS1_30default_config_static_selectorELNS0_4arch9wavefront6targetE1EEEvT1_,@function
_ZN7rocprim17ROCPRIM_400000_NS6detail17trampoline_kernelINS0_14default_configENS1_20scan_config_selectorIxEEZZNS1_9scan_implILNS1_25lookback_scan_determinismE0ELb0ELb1ES3_N6thrust23THRUST_200600_302600_NS6detail15normal_iteratorINS9_10device_ptrIxEEEESE_xNS9_10multipliesIxEExEEDaPvRmT3_T4_T5_mT6_P12ihipStream_tbENKUlT_T0_E_clISt17integral_constantIbLb0EESU_EEDaSP_SQ_EUlSP_E0_NS1_11comp_targetILNS1_3genE0ELNS1_11target_archE4294967295ELNS1_3gpuE0ELNS1_3repE0EEENS1_30default_config_static_selectorELNS0_4arch9wavefront6targetE1EEEvT1_: ; @_ZN7rocprim17ROCPRIM_400000_NS6detail17trampoline_kernelINS0_14default_configENS1_20scan_config_selectorIxEEZZNS1_9scan_implILNS1_25lookback_scan_determinismE0ELb0ELb1ES3_N6thrust23THRUST_200600_302600_NS6detail15normal_iteratorINS9_10device_ptrIxEEEESE_xNS9_10multipliesIxEExEEDaPvRmT3_T4_T5_mT6_P12ihipStream_tbENKUlT_T0_E_clISt17integral_constantIbLb0EESU_EEDaSP_SQ_EUlSP_E0_NS1_11comp_targetILNS1_3genE0ELNS1_11target_archE4294967295ELNS1_3gpuE0ELNS1_3repE0EEENS1_30default_config_static_selectorELNS0_4arch9wavefront6targetE1EEEvT1_
; %bb.0:
	.section	.rodata,"a",@progbits
	.p2align	6, 0x0
	.amdhsa_kernel _ZN7rocprim17ROCPRIM_400000_NS6detail17trampoline_kernelINS0_14default_configENS1_20scan_config_selectorIxEEZZNS1_9scan_implILNS1_25lookback_scan_determinismE0ELb0ELb1ES3_N6thrust23THRUST_200600_302600_NS6detail15normal_iteratorINS9_10device_ptrIxEEEESE_xNS9_10multipliesIxEExEEDaPvRmT3_T4_T5_mT6_P12ihipStream_tbENKUlT_T0_E_clISt17integral_constantIbLb0EESU_EEDaSP_SQ_EUlSP_E0_NS1_11comp_targetILNS1_3genE0ELNS1_11target_archE4294967295ELNS1_3gpuE0ELNS1_3repE0EEENS1_30default_config_static_selectorELNS0_4arch9wavefront6targetE1EEEvT1_
		.amdhsa_group_segment_fixed_size 0
		.amdhsa_private_segment_fixed_size 0
		.amdhsa_kernarg_size 40
		.amdhsa_user_sgpr_count 6
		.amdhsa_user_sgpr_private_segment_buffer 1
		.amdhsa_user_sgpr_dispatch_ptr 0
		.amdhsa_user_sgpr_queue_ptr 0
		.amdhsa_user_sgpr_kernarg_segment_ptr 1
		.amdhsa_user_sgpr_dispatch_id 0
		.amdhsa_user_sgpr_flat_scratch_init 0
		.amdhsa_user_sgpr_kernarg_preload_length 0
		.amdhsa_user_sgpr_kernarg_preload_offset 0
		.amdhsa_user_sgpr_private_segment_size 0
		.amdhsa_uses_dynamic_stack 0
		.amdhsa_system_sgpr_private_segment_wavefront_offset 0
		.amdhsa_system_sgpr_workgroup_id_x 1
		.amdhsa_system_sgpr_workgroup_id_y 0
		.amdhsa_system_sgpr_workgroup_id_z 0
		.amdhsa_system_sgpr_workgroup_info 0
		.amdhsa_system_vgpr_workitem_id 0
		.amdhsa_next_free_vgpr 1
		.amdhsa_next_free_sgpr 0
		.amdhsa_accum_offset 4
		.amdhsa_reserve_vcc 0
		.amdhsa_reserve_flat_scratch 0
		.amdhsa_float_round_mode_32 0
		.amdhsa_float_round_mode_16_64 0
		.amdhsa_float_denorm_mode_32 3
		.amdhsa_float_denorm_mode_16_64 3
		.amdhsa_dx10_clamp 1
		.amdhsa_ieee_mode 1
		.amdhsa_fp16_overflow 0
		.amdhsa_tg_split 0
		.amdhsa_exception_fp_ieee_invalid_op 0
		.amdhsa_exception_fp_denorm_src 0
		.amdhsa_exception_fp_ieee_div_zero 0
		.amdhsa_exception_fp_ieee_overflow 0
		.amdhsa_exception_fp_ieee_underflow 0
		.amdhsa_exception_fp_ieee_inexact 0
		.amdhsa_exception_int_div_zero 0
	.end_amdhsa_kernel
	.section	.text._ZN7rocprim17ROCPRIM_400000_NS6detail17trampoline_kernelINS0_14default_configENS1_20scan_config_selectorIxEEZZNS1_9scan_implILNS1_25lookback_scan_determinismE0ELb0ELb1ES3_N6thrust23THRUST_200600_302600_NS6detail15normal_iteratorINS9_10device_ptrIxEEEESE_xNS9_10multipliesIxEExEEDaPvRmT3_T4_T5_mT6_P12ihipStream_tbENKUlT_T0_E_clISt17integral_constantIbLb0EESU_EEDaSP_SQ_EUlSP_E0_NS1_11comp_targetILNS1_3genE0ELNS1_11target_archE4294967295ELNS1_3gpuE0ELNS1_3repE0EEENS1_30default_config_static_selectorELNS0_4arch9wavefront6targetE1EEEvT1_,"axG",@progbits,_ZN7rocprim17ROCPRIM_400000_NS6detail17trampoline_kernelINS0_14default_configENS1_20scan_config_selectorIxEEZZNS1_9scan_implILNS1_25lookback_scan_determinismE0ELb0ELb1ES3_N6thrust23THRUST_200600_302600_NS6detail15normal_iteratorINS9_10device_ptrIxEEEESE_xNS9_10multipliesIxEExEEDaPvRmT3_T4_T5_mT6_P12ihipStream_tbENKUlT_T0_E_clISt17integral_constantIbLb0EESU_EEDaSP_SQ_EUlSP_E0_NS1_11comp_targetILNS1_3genE0ELNS1_11target_archE4294967295ELNS1_3gpuE0ELNS1_3repE0EEENS1_30default_config_static_selectorELNS0_4arch9wavefront6targetE1EEEvT1_,comdat
.Lfunc_end279:
	.size	_ZN7rocprim17ROCPRIM_400000_NS6detail17trampoline_kernelINS0_14default_configENS1_20scan_config_selectorIxEEZZNS1_9scan_implILNS1_25lookback_scan_determinismE0ELb0ELb1ES3_N6thrust23THRUST_200600_302600_NS6detail15normal_iteratorINS9_10device_ptrIxEEEESE_xNS9_10multipliesIxEExEEDaPvRmT3_T4_T5_mT6_P12ihipStream_tbENKUlT_T0_E_clISt17integral_constantIbLb0EESU_EEDaSP_SQ_EUlSP_E0_NS1_11comp_targetILNS1_3genE0ELNS1_11target_archE4294967295ELNS1_3gpuE0ELNS1_3repE0EEENS1_30default_config_static_selectorELNS0_4arch9wavefront6targetE1EEEvT1_, .Lfunc_end279-_ZN7rocprim17ROCPRIM_400000_NS6detail17trampoline_kernelINS0_14default_configENS1_20scan_config_selectorIxEEZZNS1_9scan_implILNS1_25lookback_scan_determinismE0ELb0ELb1ES3_N6thrust23THRUST_200600_302600_NS6detail15normal_iteratorINS9_10device_ptrIxEEEESE_xNS9_10multipliesIxEExEEDaPvRmT3_T4_T5_mT6_P12ihipStream_tbENKUlT_T0_E_clISt17integral_constantIbLb0EESU_EEDaSP_SQ_EUlSP_E0_NS1_11comp_targetILNS1_3genE0ELNS1_11target_archE4294967295ELNS1_3gpuE0ELNS1_3repE0EEENS1_30default_config_static_selectorELNS0_4arch9wavefront6targetE1EEEvT1_
                                        ; -- End function
	.section	.AMDGPU.csdata,"",@progbits
; Kernel info:
; codeLenInByte = 0
; NumSgprs: 4
; NumVgprs: 0
; NumAgprs: 0
; TotalNumVgprs: 0
; ScratchSize: 0
; MemoryBound: 0
; FloatMode: 240
; IeeeMode: 1
; LDSByteSize: 0 bytes/workgroup (compile time only)
; SGPRBlocks: 0
; VGPRBlocks: 0
; NumSGPRsForWavesPerEU: 4
; NumVGPRsForWavesPerEU: 1
; AccumOffset: 4
; Occupancy: 8
; WaveLimiterHint : 0
; COMPUTE_PGM_RSRC2:SCRATCH_EN: 0
; COMPUTE_PGM_RSRC2:USER_SGPR: 6
; COMPUTE_PGM_RSRC2:TRAP_HANDLER: 0
; COMPUTE_PGM_RSRC2:TGID_X_EN: 1
; COMPUTE_PGM_RSRC2:TGID_Y_EN: 0
; COMPUTE_PGM_RSRC2:TGID_Z_EN: 0
; COMPUTE_PGM_RSRC2:TIDIG_COMP_CNT: 0
; COMPUTE_PGM_RSRC3_GFX90A:ACCUM_OFFSET: 0
; COMPUTE_PGM_RSRC3_GFX90A:TG_SPLIT: 0
	.section	.text._ZN7rocprim17ROCPRIM_400000_NS6detail17trampoline_kernelINS0_14default_configENS1_20scan_config_selectorIxEEZZNS1_9scan_implILNS1_25lookback_scan_determinismE0ELb0ELb1ES3_N6thrust23THRUST_200600_302600_NS6detail15normal_iteratorINS9_10device_ptrIxEEEESE_xNS9_10multipliesIxEExEEDaPvRmT3_T4_T5_mT6_P12ihipStream_tbENKUlT_T0_E_clISt17integral_constantIbLb0EESU_EEDaSP_SQ_EUlSP_E0_NS1_11comp_targetILNS1_3genE5ELNS1_11target_archE942ELNS1_3gpuE9ELNS1_3repE0EEENS1_30default_config_static_selectorELNS0_4arch9wavefront6targetE1EEEvT1_,"axG",@progbits,_ZN7rocprim17ROCPRIM_400000_NS6detail17trampoline_kernelINS0_14default_configENS1_20scan_config_selectorIxEEZZNS1_9scan_implILNS1_25lookback_scan_determinismE0ELb0ELb1ES3_N6thrust23THRUST_200600_302600_NS6detail15normal_iteratorINS9_10device_ptrIxEEEESE_xNS9_10multipliesIxEExEEDaPvRmT3_T4_T5_mT6_P12ihipStream_tbENKUlT_T0_E_clISt17integral_constantIbLb0EESU_EEDaSP_SQ_EUlSP_E0_NS1_11comp_targetILNS1_3genE5ELNS1_11target_archE942ELNS1_3gpuE9ELNS1_3repE0EEENS1_30default_config_static_selectorELNS0_4arch9wavefront6targetE1EEEvT1_,comdat
	.protected	_ZN7rocprim17ROCPRIM_400000_NS6detail17trampoline_kernelINS0_14default_configENS1_20scan_config_selectorIxEEZZNS1_9scan_implILNS1_25lookback_scan_determinismE0ELb0ELb1ES3_N6thrust23THRUST_200600_302600_NS6detail15normal_iteratorINS9_10device_ptrIxEEEESE_xNS9_10multipliesIxEExEEDaPvRmT3_T4_T5_mT6_P12ihipStream_tbENKUlT_T0_E_clISt17integral_constantIbLb0EESU_EEDaSP_SQ_EUlSP_E0_NS1_11comp_targetILNS1_3genE5ELNS1_11target_archE942ELNS1_3gpuE9ELNS1_3repE0EEENS1_30default_config_static_selectorELNS0_4arch9wavefront6targetE1EEEvT1_ ; -- Begin function _ZN7rocprim17ROCPRIM_400000_NS6detail17trampoline_kernelINS0_14default_configENS1_20scan_config_selectorIxEEZZNS1_9scan_implILNS1_25lookback_scan_determinismE0ELb0ELb1ES3_N6thrust23THRUST_200600_302600_NS6detail15normal_iteratorINS9_10device_ptrIxEEEESE_xNS9_10multipliesIxEExEEDaPvRmT3_T4_T5_mT6_P12ihipStream_tbENKUlT_T0_E_clISt17integral_constantIbLb0EESU_EEDaSP_SQ_EUlSP_E0_NS1_11comp_targetILNS1_3genE5ELNS1_11target_archE942ELNS1_3gpuE9ELNS1_3repE0EEENS1_30default_config_static_selectorELNS0_4arch9wavefront6targetE1EEEvT1_
	.globl	_ZN7rocprim17ROCPRIM_400000_NS6detail17trampoline_kernelINS0_14default_configENS1_20scan_config_selectorIxEEZZNS1_9scan_implILNS1_25lookback_scan_determinismE0ELb0ELb1ES3_N6thrust23THRUST_200600_302600_NS6detail15normal_iteratorINS9_10device_ptrIxEEEESE_xNS9_10multipliesIxEExEEDaPvRmT3_T4_T5_mT6_P12ihipStream_tbENKUlT_T0_E_clISt17integral_constantIbLb0EESU_EEDaSP_SQ_EUlSP_E0_NS1_11comp_targetILNS1_3genE5ELNS1_11target_archE942ELNS1_3gpuE9ELNS1_3repE0EEENS1_30default_config_static_selectorELNS0_4arch9wavefront6targetE1EEEvT1_
	.p2align	8
	.type	_ZN7rocprim17ROCPRIM_400000_NS6detail17trampoline_kernelINS0_14default_configENS1_20scan_config_selectorIxEEZZNS1_9scan_implILNS1_25lookback_scan_determinismE0ELb0ELb1ES3_N6thrust23THRUST_200600_302600_NS6detail15normal_iteratorINS9_10device_ptrIxEEEESE_xNS9_10multipliesIxEExEEDaPvRmT3_T4_T5_mT6_P12ihipStream_tbENKUlT_T0_E_clISt17integral_constantIbLb0EESU_EEDaSP_SQ_EUlSP_E0_NS1_11comp_targetILNS1_3genE5ELNS1_11target_archE942ELNS1_3gpuE9ELNS1_3repE0EEENS1_30default_config_static_selectorELNS0_4arch9wavefront6targetE1EEEvT1_,@function
_ZN7rocprim17ROCPRIM_400000_NS6detail17trampoline_kernelINS0_14default_configENS1_20scan_config_selectorIxEEZZNS1_9scan_implILNS1_25lookback_scan_determinismE0ELb0ELb1ES3_N6thrust23THRUST_200600_302600_NS6detail15normal_iteratorINS9_10device_ptrIxEEEESE_xNS9_10multipliesIxEExEEDaPvRmT3_T4_T5_mT6_P12ihipStream_tbENKUlT_T0_E_clISt17integral_constantIbLb0EESU_EEDaSP_SQ_EUlSP_E0_NS1_11comp_targetILNS1_3genE5ELNS1_11target_archE942ELNS1_3gpuE9ELNS1_3repE0EEENS1_30default_config_static_selectorELNS0_4arch9wavefront6targetE1EEEvT1_: ; @_ZN7rocprim17ROCPRIM_400000_NS6detail17trampoline_kernelINS0_14default_configENS1_20scan_config_selectorIxEEZZNS1_9scan_implILNS1_25lookback_scan_determinismE0ELb0ELb1ES3_N6thrust23THRUST_200600_302600_NS6detail15normal_iteratorINS9_10device_ptrIxEEEESE_xNS9_10multipliesIxEExEEDaPvRmT3_T4_T5_mT6_P12ihipStream_tbENKUlT_T0_E_clISt17integral_constantIbLb0EESU_EEDaSP_SQ_EUlSP_E0_NS1_11comp_targetILNS1_3genE5ELNS1_11target_archE942ELNS1_3gpuE9ELNS1_3repE0EEENS1_30default_config_static_selectorELNS0_4arch9wavefront6targetE1EEEvT1_
; %bb.0:
	.section	.rodata,"a",@progbits
	.p2align	6, 0x0
	.amdhsa_kernel _ZN7rocprim17ROCPRIM_400000_NS6detail17trampoline_kernelINS0_14default_configENS1_20scan_config_selectorIxEEZZNS1_9scan_implILNS1_25lookback_scan_determinismE0ELb0ELb1ES3_N6thrust23THRUST_200600_302600_NS6detail15normal_iteratorINS9_10device_ptrIxEEEESE_xNS9_10multipliesIxEExEEDaPvRmT3_T4_T5_mT6_P12ihipStream_tbENKUlT_T0_E_clISt17integral_constantIbLb0EESU_EEDaSP_SQ_EUlSP_E0_NS1_11comp_targetILNS1_3genE5ELNS1_11target_archE942ELNS1_3gpuE9ELNS1_3repE0EEENS1_30default_config_static_selectorELNS0_4arch9wavefront6targetE1EEEvT1_
		.amdhsa_group_segment_fixed_size 0
		.amdhsa_private_segment_fixed_size 0
		.amdhsa_kernarg_size 40
		.amdhsa_user_sgpr_count 6
		.amdhsa_user_sgpr_private_segment_buffer 1
		.amdhsa_user_sgpr_dispatch_ptr 0
		.amdhsa_user_sgpr_queue_ptr 0
		.amdhsa_user_sgpr_kernarg_segment_ptr 1
		.amdhsa_user_sgpr_dispatch_id 0
		.amdhsa_user_sgpr_flat_scratch_init 0
		.amdhsa_user_sgpr_kernarg_preload_length 0
		.amdhsa_user_sgpr_kernarg_preload_offset 0
		.amdhsa_user_sgpr_private_segment_size 0
		.amdhsa_uses_dynamic_stack 0
		.amdhsa_system_sgpr_private_segment_wavefront_offset 0
		.amdhsa_system_sgpr_workgroup_id_x 1
		.amdhsa_system_sgpr_workgroup_id_y 0
		.amdhsa_system_sgpr_workgroup_id_z 0
		.amdhsa_system_sgpr_workgroup_info 0
		.amdhsa_system_vgpr_workitem_id 0
		.amdhsa_next_free_vgpr 1
		.amdhsa_next_free_sgpr 0
		.amdhsa_accum_offset 4
		.amdhsa_reserve_vcc 0
		.amdhsa_reserve_flat_scratch 0
		.amdhsa_float_round_mode_32 0
		.amdhsa_float_round_mode_16_64 0
		.amdhsa_float_denorm_mode_32 3
		.amdhsa_float_denorm_mode_16_64 3
		.amdhsa_dx10_clamp 1
		.amdhsa_ieee_mode 1
		.amdhsa_fp16_overflow 0
		.amdhsa_tg_split 0
		.amdhsa_exception_fp_ieee_invalid_op 0
		.amdhsa_exception_fp_denorm_src 0
		.amdhsa_exception_fp_ieee_div_zero 0
		.amdhsa_exception_fp_ieee_overflow 0
		.amdhsa_exception_fp_ieee_underflow 0
		.amdhsa_exception_fp_ieee_inexact 0
		.amdhsa_exception_int_div_zero 0
	.end_amdhsa_kernel
	.section	.text._ZN7rocprim17ROCPRIM_400000_NS6detail17trampoline_kernelINS0_14default_configENS1_20scan_config_selectorIxEEZZNS1_9scan_implILNS1_25lookback_scan_determinismE0ELb0ELb1ES3_N6thrust23THRUST_200600_302600_NS6detail15normal_iteratorINS9_10device_ptrIxEEEESE_xNS9_10multipliesIxEExEEDaPvRmT3_T4_T5_mT6_P12ihipStream_tbENKUlT_T0_E_clISt17integral_constantIbLb0EESU_EEDaSP_SQ_EUlSP_E0_NS1_11comp_targetILNS1_3genE5ELNS1_11target_archE942ELNS1_3gpuE9ELNS1_3repE0EEENS1_30default_config_static_selectorELNS0_4arch9wavefront6targetE1EEEvT1_,"axG",@progbits,_ZN7rocprim17ROCPRIM_400000_NS6detail17trampoline_kernelINS0_14default_configENS1_20scan_config_selectorIxEEZZNS1_9scan_implILNS1_25lookback_scan_determinismE0ELb0ELb1ES3_N6thrust23THRUST_200600_302600_NS6detail15normal_iteratorINS9_10device_ptrIxEEEESE_xNS9_10multipliesIxEExEEDaPvRmT3_T4_T5_mT6_P12ihipStream_tbENKUlT_T0_E_clISt17integral_constantIbLb0EESU_EEDaSP_SQ_EUlSP_E0_NS1_11comp_targetILNS1_3genE5ELNS1_11target_archE942ELNS1_3gpuE9ELNS1_3repE0EEENS1_30default_config_static_selectorELNS0_4arch9wavefront6targetE1EEEvT1_,comdat
.Lfunc_end280:
	.size	_ZN7rocprim17ROCPRIM_400000_NS6detail17trampoline_kernelINS0_14default_configENS1_20scan_config_selectorIxEEZZNS1_9scan_implILNS1_25lookback_scan_determinismE0ELb0ELb1ES3_N6thrust23THRUST_200600_302600_NS6detail15normal_iteratorINS9_10device_ptrIxEEEESE_xNS9_10multipliesIxEExEEDaPvRmT3_T4_T5_mT6_P12ihipStream_tbENKUlT_T0_E_clISt17integral_constantIbLb0EESU_EEDaSP_SQ_EUlSP_E0_NS1_11comp_targetILNS1_3genE5ELNS1_11target_archE942ELNS1_3gpuE9ELNS1_3repE0EEENS1_30default_config_static_selectorELNS0_4arch9wavefront6targetE1EEEvT1_, .Lfunc_end280-_ZN7rocprim17ROCPRIM_400000_NS6detail17trampoline_kernelINS0_14default_configENS1_20scan_config_selectorIxEEZZNS1_9scan_implILNS1_25lookback_scan_determinismE0ELb0ELb1ES3_N6thrust23THRUST_200600_302600_NS6detail15normal_iteratorINS9_10device_ptrIxEEEESE_xNS9_10multipliesIxEExEEDaPvRmT3_T4_T5_mT6_P12ihipStream_tbENKUlT_T0_E_clISt17integral_constantIbLb0EESU_EEDaSP_SQ_EUlSP_E0_NS1_11comp_targetILNS1_3genE5ELNS1_11target_archE942ELNS1_3gpuE9ELNS1_3repE0EEENS1_30default_config_static_selectorELNS0_4arch9wavefront6targetE1EEEvT1_
                                        ; -- End function
	.section	.AMDGPU.csdata,"",@progbits
; Kernel info:
; codeLenInByte = 0
; NumSgprs: 4
; NumVgprs: 0
; NumAgprs: 0
; TotalNumVgprs: 0
; ScratchSize: 0
; MemoryBound: 0
; FloatMode: 240
; IeeeMode: 1
; LDSByteSize: 0 bytes/workgroup (compile time only)
; SGPRBlocks: 0
; VGPRBlocks: 0
; NumSGPRsForWavesPerEU: 4
; NumVGPRsForWavesPerEU: 1
; AccumOffset: 4
; Occupancy: 8
; WaveLimiterHint : 0
; COMPUTE_PGM_RSRC2:SCRATCH_EN: 0
; COMPUTE_PGM_RSRC2:USER_SGPR: 6
; COMPUTE_PGM_RSRC2:TRAP_HANDLER: 0
; COMPUTE_PGM_RSRC2:TGID_X_EN: 1
; COMPUTE_PGM_RSRC2:TGID_Y_EN: 0
; COMPUTE_PGM_RSRC2:TGID_Z_EN: 0
; COMPUTE_PGM_RSRC2:TIDIG_COMP_CNT: 0
; COMPUTE_PGM_RSRC3_GFX90A:ACCUM_OFFSET: 0
; COMPUTE_PGM_RSRC3_GFX90A:TG_SPLIT: 0
	.section	.text._ZN7rocprim17ROCPRIM_400000_NS6detail17trampoline_kernelINS0_14default_configENS1_20scan_config_selectorIxEEZZNS1_9scan_implILNS1_25lookback_scan_determinismE0ELb0ELb1ES3_N6thrust23THRUST_200600_302600_NS6detail15normal_iteratorINS9_10device_ptrIxEEEESE_xNS9_10multipliesIxEExEEDaPvRmT3_T4_T5_mT6_P12ihipStream_tbENKUlT_T0_E_clISt17integral_constantIbLb0EESU_EEDaSP_SQ_EUlSP_E0_NS1_11comp_targetILNS1_3genE4ELNS1_11target_archE910ELNS1_3gpuE8ELNS1_3repE0EEENS1_30default_config_static_selectorELNS0_4arch9wavefront6targetE1EEEvT1_,"axG",@progbits,_ZN7rocprim17ROCPRIM_400000_NS6detail17trampoline_kernelINS0_14default_configENS1_20scan_config_selectorIxEEZZNS1_9scan_implILNS1_25lookback_scan_determinismE0ELb0ELb1ES3_N6thrust23THRUST_200600_302600_NS6detail15normal_iteratorINS9_10device_ptrIxEEEESE_xNS9_10multipliesIxEExEEDaPvRmT3_T4_T5_mT6_P12ihipStream_tbENKUlT_T0_E_clISt17integral_constantIbLb0EESU_EEDaSP_SQ_EUlSP_E0_NS1_11comp_targetILNS1_3genE4ELNS1_11target_archE910ELNS1_3gpuE8ELNS1_3repE0EEENS1_30default_config_static_selectorELNS0_4arch9wavefront6targetE1EEEvT1_,comdat
	.protected	_ZN7rocprim17ROCPRIM_400000_NS6detail17trampoline_kernelINS0_14default_configENS1_20scan_config_selectorIxEEZZNS1_9scan_implILNS1_25lookback_scan_determinismE0ELb0ELb1ES3_N6thrust23THRUST_200600_302600_NS6detail15normal_iteratorINS9_10device_ptrIxEEEESE_xNS9_10multipliesIxEExEEDaPvRmT3_T4_T5_mT6_P12ihipStream_tbENKUlT_T0_E_clISt17integral_constantIbLb0EESU_EEDaSP_SQ_EUlSP_E0_NS1_11comp_targetILNS1_3genE4ELNS1_11target_archE910ELNS1_3gpuE8ELNS1_3repE0EEENS1_30default_config_static_selectorELNS0_4arch9wavefront6targetE1EEEvT1_ ; -- Begin function _ZN7rocprim17ROCPRIM_400000_NS6detail17trampoline_kernelINS0_14default_configENS1_20scan_config_selectorIxEEZZNS1_9scan_implILNS1_25lookback_scan_determinismE0ELb0ELb1ES3_N6thrust23THRUST_200600_302600_NS6detail15normal_iteratorINS9_10device_ptrIxEEEESE_xNS9_10multipliesIxEExEEDaPvRmT3_T4_T5_mT6_P12ihipStream_tbENKUlT_T0_E_clISt17integral_constantIbLb0EESU_EEDaSP_SQ_EUlSP_E0_NS1_11comp_targetILNS1_3genE4ELNS1_11target_archE910ELNS1_3gpuE8ELNS1_3repE0EEENS1_30default_config_static_selectorELNS0_4arch9wavefront6targetE1EEEvT1_
	.globl	_ZN7rocprim17ROCPRIM_400000_NS6detail17trampoline_kernelINS0_14default_configENS1_20scan_config_selectorIxEEZZNS1_9scan_implILNS1_25lookback_scan_determinismE0ELb0ELb1ES3_N6thrust23THRUST_200600_302600_NS6detail15normal_iteratorINS9_10device_ptrIxEEEESE_xNS9_10multipliesIxEExEEDaPvRmT3_T4_T5_mT6_P12ihipStream_tbENKUlT_T0_E_clISt17integral_constantIbLb0EESU_EEDaSP_SQ_EUlSP_E0_NS1_11comp_targetILNS1_3genE4ELNS1_11target_archE910ELNS1_3gpuE8ELNS1_3repE0EEENS1_30default_config_static_selectorELNS0_4arch9wavefront6targetE1EEEvT1_
	.p2align	8
	.type	_ZN7rocprim17ROCPRIM_400000_NS6detail17trampoline_kernelINS0_14default_configENS1_20scan_config_selectorIxEEZZNS1_9scan_implILNS1_25lookback_scan_determinismE0ELb0ELb1ES3_N6thrust23THRUST_200600_302600_NS6detail15normal_iteratorINS9_10device_ptrIxEEEESE_xNS9_10multipliesIxEExEEDaPvRmT3_T4_T5_mT6_P12ihipStream_tbENKUlT_T0_E_clISt17integral_constantIbLb0EESU_EEDaSP_SQ_EUlSP_E0_NS1_11comp_targetILNS1_3genE4ELNS1_11target_archE910ELNS1_3gpuE8ELNS1_3repE0EEENS1_30default_config_static_selectorELNS0_4arch9wavefront6targetE1EEEvT1_,@function
_ZN7rocprim17ROCPRIM_400000_NS6detail17trampoline_kernelINS0_14default_configENS1_20scan_config_selectorIxEEZZNS1_9scan_implILNS1_25lookback_scan_determinismE0ELb0ELb1ES3_N6thrust23THRUST_200600_302600_NS6detail15normal_iteratorINS9_10device_ptrIxEEEESE_xNS9_10multipliesIxEExEEDaPvRmT3_T4_T5_mT6_P12ihipStream_tbENKUlT_T0_E_clISt17integral_constantIbLb0EESU_EEDaSP_SQ_EUlSP_E0_NS1_11comp_targetILNS1_3genE4ELNS1_11target_archE910ELNS1_3gpuE8ELNS1_3repE0EEENS1_30default_config_static_selectorELNS0_4arch9wavefront6targetE1EEEvT1_: ; @_ZN7rocprim17ROCPRIM_400000_NS6detail17trampoline_kernelINS0_14default_configENS1_20scan_config_selectorIxEEZZNS1_9scan_implILNS1_25lookback_scan_determinismE0ELb0ELb1ES3_N6thrust23THRUST_200600_302600_NS6detail15normal_iteratorINS9_10device_ptrIxEEEESE_xNS9_10multipliesIxEExEEDaPvRmT3_T4_T5_mT6_P12ihipStream_tbENKUlT_T0_E_clISt17integral_constantIbLb0EESU_EEDaSP_SQ_EUlSP_E0_NS1_11comp_targetILNS1_3genE4ELNS1_11target_archE910ELNS1_3gpuE8ELNS1_3repE0EEENS1_30default_config_static_selectorELNS0_4arch9wavefront6targetE1EEEvT1_
; %bb.0:
	s_load_dwordx4 s[16:19], s[4:5], 0x0
	v_lshlrev_b32_e32 v30, 3, v0
	s_waitcnt lgkmcnt(0)
	s_load_dwordx2 s[14:15], s[16:17], 0x0
	v_cmp_gt_u32_e32 vcc, s18, v0
	s_waitcnt lgkmcnt(0)
	v_pk_mov_b32 v[2:3], s[14:15], s[14:15] op_sel:[0,1]
	s_and_saveexec_b64 s[0:1], vcc
	s_cbranch_execz .LBB281_2
; %bb.1:
	global_load_dwordx2 v[2:3], v30, s[16:17]
.LBB281_2:
	s_or_b64 exec, exec, s[0:1]
	v_or_b32_e32 v1, 0x80, v0
	v_cmp_gt_u32_e64 s[0:1], s18, v1
	v_pk_mov_b32 v[4:5], s[14:15], s[14:15] op_sel:[0,1]
	s_and_saveexec_b64 s[2:3], s[0:1]
	s_cbranch_execz .LBB281_4
; %bb.3:
	global_load_dwordx2 v[4:5], v30, s[16:17] offset:1024
.LBB281_4:
	s_or_b64 exec, exec, s[2:3]
	v_or_b32_e32 v1, 0x100, v0
	v_cmp_gt_u32_e64 s[2:3], s18, v1
	v_pk_mov_b32 v[6:7], s[14:15], s[14:15] op_sel:[0,1]
	s_and_saveexec_b64 s[6:7], s[2:3]
	s_cbranch_execz .LBB281_6
; %bb.5:
	global_load_dwordx2 v[6:7], v30, s[16:17] offset:2048
.LBB281_6:
	;; [unrolled: 9-line block ×3, first 2 shown]
	s_or_b64 exec, exec, s[6:7]
	v_or_b32_e32 v1, 0x200, v0
	v_cmp_gt_u32_e64 s[6:7], s18, v1
	v_pk_mov_b32 v[10:11], s[14:15], s[14:15] op_sel:[0,1]
	s_and_saveexec_b64 s[8:9], s[6:7]
	s_cbranch_execz .LBB281_10
; %bb.9:
	v_lshlrev_b32_e32 v1, 3, v1
	global_load_dwordx2 v[10:11], v1, s[16:17]
.LBB281_10:
	s_or_b64 exec, exec, s[8:9]
	v_or_b32_e32 v1, 0x280, v0
	v_cmp_gt_u32_e64 s[8:9], s18, v1
	v_pk_mov_b32 v[12:13], s[14:15], s[14:15] op_sel:[0,1]
	s_and_saveexec_b64 s[10:11], s[8:9]
	s_cbranch_execz .LBB281_12
; %bb.11:
	v_lshlrev_b32_e32 v1, 3, v1
	global_load_dwordx2 v[12:13], v1, s[16:17]
.LBB281_12:
	s_or_b64 exec, exec, s[10:11]
	s_load_dwordx2 s[20:21], s[4:5], 0x10
	v_or_b32_e32 v1, 0x300, v0
	v_cmp_gt_u32_e64 s[10:11], s18, v1
	v_pk_mov_b32 v[14:15], s[14:15], s[14:15] op_sel:[0,1]
	s_and_saveexec_b64 s[14:15], s[10:11]
	s_cbranch_execz .LBB281_14
; %bb.13:
	v_lshlrev_b32_e32 v1, 3, v1
	global_load_dwordx2 v[14:15], v1, s[16:17]
.LBB281_14:
	s_or_b64 exec, exec, s[14:15]
	v_mad_u32_u24 v1, v0, 48, v30
	s_waitcnt vmcnt(0)
	ds_write2st64_b64 v30, v[2:3], v[4:5] offset1:2
	ds_write2st64_b64 v30, v[6:7], v[8:9] offset0:4 offset1:6
	ds_write2st64_b64 v30, v[10:11], v[12:13] offset0:8 offset1:10
	ds_write_b64 v30, v[14:15] offset:6144
	s_waitcnt lgkmcnt(0)
	s_barrier
	ds_read2_b64 v[6:9], v1 offset1:1
	ds_read2_b64 v[10:13], v1 offset0:2 offset1:3
	ds_read2_b64 v[2:5], v1 offset0:4 offset1:5
	ds_read_b64 v[18:19], v1 offset:48
	s_load_dwordx2 s[14:15], s[4:5], 0x20
	s_waitcnt lgkmcnt(0)
	v_mul_lo_u32 v1, v9, v6
	v_mul_lo_u32 v14, v8, v7
	v_mad_u64_u32 v[20:21], s[4:5], v8, v6, 0
	v_add3_u32 v21, v21, v14, v1
	v_mul_lo_u32 v1, v21, v10
	v_mul_lo_u32 v14, v20, v11
	v_mad_u64_u32 v[22:23], s[4:5], v20, v10, 0
	v_add3_u32 v23, v23, v14, v1
	;; [unrolled: 4-line block ×6, first 2 shown]
	v_lshrrev_b32_e32 v1, 2, v0
	v_and_b32_e32 v1, 24, v1
	v_add_u32_e32 v1, v30, v1
	v_cmp_gt_u32_e64 s[4:5], 64, v0
	s_barrier
	ds_write_b64 v1, v[28:29]
	s_waitcnt lgkmcnt(0)
	s_barrier
	s_and_saveexec_b64 s[16:17], s[4:5]
	s_cbranch_execz .LBB281_28
; %bb.15:
	v_lshlrev_b32_e32 v1, 1, v0
	v_lshrrev_b32_e32 v14, 4, v0
	v_add_lshl_u32 v1, v14, v1, 3
	ds_read2_b64 v[14:17], v1 offset1:1
	s_waitcnt lgkmcnt(0)
	v_mul_lo_u32 v31, v17, v14
	v_mul_lo_u32 v32, v16, v15
	v_mad_u64_u32 v[16:17], s[4:5], v16, v14, 0
	v_add3_u32 v17, v17, v32, v31
	v_mbcnt_lo_u32_b32 v31, -1, 0
	v_mbcnt_hi_u32_b32 v31, -1, v31
	v_and_b32_e32 v32, 15, v31
	v_mov_b32_dpp v33, v16 row_shr:1 row_mask:0xf bank_mask:0xf
	v_mov_b32_dpp v34, v17 row_shr:1 row_mask:0xf bank_mask:0xf
	v_cmp_ne_u32_e64 s[4:5], 0, v32
	s_and_saveexec_b64 s[18:19], s[4:5]
; %bb.16:
	v_mul_lo_u32 v34, v34, v16
	v_mul_lo_u32 v35, v33, v17
	v_mad_u64_u32 v[16:17], s[4:5], v33, v16, 0
	v_add3_u32 v17, v17, v35, v34
; %bb.17:
	s_or_b64 exec, exec, s[18:19]
	v_mov_b32_dpp v33, v16 row_shr:2 row_mask:0xf bank_mask:0xf
	v_mov_b32_dpp v34, v17 row_shr:2 row_mask:0xf bank_mask:0xf
	v_cmp_lt_u32_e64 s[4:5], 1, v32
	s_and_saveexec_b64 s[18:19], s[4:5]
; %bb.18:
	v_mul_lo_u32 v34, v34, v16
	v_mul_lo_u32 v35, v33, v17
	v_mad_u64_u32 v[16:17], s[4:5], v33, v16, 0
	v_add3_u32 v17, v17, v35, v34
; %bb.19:
	s_or_b64 exec, exec, s[18:19]
	v_mov_b32_dpp v33, v16 row_shr:4 row_mask:0xf bank_mask:0xf
	v_mov_b32_dpp v34, v17 row_shr:4 row_mask:0xf bank_mask:0xf
	v_cmp_lt_u32_e64 s[4:5], 3, v32
	s_and_saveexec_b64 s[18:19], s[4:5]
; %bb.20:
	v_mul_lo_u32 v34, v34, v16
	v_mul_lo_u32 v35, v33, v17
	v_mad_u64_u32 v[16:17], s[4:5], v33, v16, 0
	v_add3_u32 v17, v17, v35, v34
; %bb.21:
	s_or_b64 exec, exec, s[18:19]
	v_mov_b32_dpp v33, v16 row_shr:8 row_mask:0xf bank_mask:0xf
	v_mov_b32_dpp v34, v17 row_shr:8 row_mask:0xf bank_mask:0xf
	v_cmp_lt_u32_e64 s[4:5], 7, v32
	s_and_saveexec_b64 s[18:19], s[4:5]
; %bb.22:
	v_mul_lo_u32 v32, v34, v16
	v_mul_lo_u32 v34, v33, v17
	v_mad_u64_u32 v[16:17], s[4:5], v33, v16, 0
	v_add3_u32 v17, v17, v34, v32
; %bb.23:
	s_or_b64 exec, exec, s[18:19]
	v_and_b32_e32 v34, 16, v31
	v_mov_b32_dpp v32, v16 row_bcast:15 row_mask:0xf bank_mask:0xf
	v_mov_b32_dpp v33, v17 row_bcast:15 row_mask:0xf bank_mask:0xf
	v_cmp_ne_u32_e64 s[4:5], 0, v34
	s_and_saveexec_b64 s[18:19], s[4:5]
; %bb.24:
	v_mul_lo_u32 v33, v33, v16
	v_mul_lo_u32 v34, v32, v17
	v_mad_u64_u32 v[16:17], s[4:5], v32, v16, 0
	v_add3_u32 v17, v17, v34, v33
; %bb.25:
	s_or_b64 exec, exec, s[18:19]
	v_mov_b32_dpp v32, v16 row_bcast:31 row_mask:0xf bank_mask:0xf
	v_mov_b32_dpp v33, v17 row_bcast:31 row_mask:0xf bank_mask:0xf
	v_cmp_lt_u32_e64 s[4:5], 31, v31
	s_and_saveexec_b64 s[18:19], s[4:5]
; %bb.26:
	v_mul_lo_u32 v33, v33, v16
	v_mul_lo_u32 v34, v32, v17
	v_mad_u64_u32 v[16:17], s[4:5], v32, v16, 0
	v_add3_u32 v17, v17, v34, v33
; %bb.27:
	s_or_b64 exec, exec, s[18:19]
	v_add_u32_e32 v32, -1, v31
	v_and_b32_e32 v33, 64, v31
	v_cmp_lt_i32_e64 s[4:5], v32, v33
	v_cndmask_b32_e64 v31, v32, v31, s[4:5]
	v_lshlrev_b32_e32 v31, 2, v31
	ds_bpermute_b32 v17, v31, v17
	ds_bpermute_b32 v16, v31, v16
	; wave barrier
	s_waitcnt lgkmcnt(1)
	v_mul_lo_u32 v17, v17, v14
	s_waitcnt lgkmcnt(0)
	v_mul_lo_u32 v31, v16, v15
	v_mad_u64_u32 v[14:15], s[4:5], v16, v14, 0
	v_add3_u32 v15, v15, v31, v17
	v_cmp_eq_u32_e64 s[4:5], 0, v0
	v_cndmask_b32_e64 v15, v15, v29, s[4:5]
	v_cndmask_b32_e64 v14, v14, v28, s[4:5]
	ds_write_b64 v1, v[14:15]
	; wave barrier
	ds_read_b64 v[16:17], v1 offset:8
	s_waitcnt lgkmcnt(0)
	v_mul_lo_u32 v31, v16, v15
	v_mul_lo_u32 v17, v17, v14
	v_mad_u64_u32 v[14:15], s[4:5], v16, v14, 0
	v_add3_u32 v15, v15, v31, v17
	ds_write_b64 v1, v[14:15] offset:8
.LBB281_28:
	s_or_b64 exec, exec, s[16:17]
	v_mul_u32_u24_e32 v1, 48, v0
	v_cmp_ne_u32_e64 s[4:5], 0, v0
	s_waitcnt lgkmcnt(0)
	s_barrier
	s_and_saveexec_b64 s[16:17], s[4:5]
	s_cbranch_execz .LBB281_30
; %bb.29:
	v_add_u32_e32 v0, -1, v0
	v_lshrrev_b32_e32 v14, 5, v0
	v_add_lshl_u32 v0, v14, v0, 3
	ds_read_b64 v[28:29], v0
.LBB281_30:
	s_or_b64 exec, exec, s[16:17]
	s_and_saveexec_b64 s[16:17], s[4:5]
	s_cbranch_execz .LBB281_32
; %bb.31:
	s_waitcnt lgkmcnt(0)
	v_mul_lo_u32 v0, v29, v6
	v_mul_lo_u32 v14, v28, v7
	v_mad_u64_u32 v[6:7], s[4:5], v28, v6, 0
	v_add3_u32 v7, v7, v14, v0
	v_mul_lo_u32 v0, v7, v8
	v_mul_lo_u32 v9, v6, v9
	v_mad_u64_u32 v[20:21], s[4:5], v6, v8, 0
	v_add3_u32 v21, v21, v9, v0
	;; [unrolled: 4-line block ×5, first 2 shown]
	;;#ASMSTART
	;;#ASMEND
.LBB281_32:
	s_or_b64 exec, exec, s[16:17]
	v_mul_lo_u32 v0, v7, s20
	v_mul_lo_u32 v7, v6, s21
	v_mad_u64_u32 v[2:3], s[4:5], v6, s20, 0
	v_add3_u32 v3, v3, v7, v0
	v_mul_lo_u32 v0, v21, s20
	v_mul_lo_u32 v8, v20, s21
	v_mad_u64_u32 v[6:7], s[4:5], v20, s20, 0
	v_add3_u32 v7, v7, v8, v0
	;; [unrolled: 4-line block ×7, first 2 shown]
	v_add_u32_e32 v0, v30, v1
	s_waitcnt lgkmcnt(0)
	s_barrier
	ds_write2_b64 v0, v[2:3], v[6:7] offset1:1
	ds_write2_b64 v0, v[8:9], v[10:11] offset0:2 offset1:3
	ds_write2_b64 v0, v[12:13], v[4:5] offset0:4 offset1:5
	ds_write_b64 v0, v[14:15] offset:48
	s_waitcnt lgkmcnt(0)
	s_barrier
	ds_read2st64_b64 v[8:11], v30 offset0:2 offset1:4
	ds_read2st64_b64 v[4:7], v30 offset0:6 offset1:8
	;; [unrolled: 1-line block ×3, first 2 shown]
	v_mov_b32_e32 v13, s15
	v_add_co_u32_e64 v12, s[4:5], s14, v30
	v_addc_co_u32_e64 v13, s[4:5], 0, v13, s[4:5]
	s_and_saveexec_b64 s[4:5], vcc
	s_cbranch_execnz .LBB281_40
; %bb.33:
	s_or_b64 exec, exec, s[4:5]
	s_and_saveexec_b64 s[4:5], s[0:1]
	s_cbranch_execnz .LBB281_41
.LBB281_34:
	s_or_b64 exec, exec, s[4:5]
	s_and_saveexec_b64 s[0:1], s[2:3]
	s_cbranch_execnz .LBB281_42
.LBB281_35:
	s_or_b64 exec, exec, s[0:1]
	s_and_saveexec_b64 s[0:1], s[12:13]
	s_cbranch_execnz .LBB281_43
.LBB281_36:
	s_or_b64 exec, exec, s[0:1]
	s_and_saveexec_b64 s[0:1], s[6:7]
	s_cbranch_execnz .LBB281_44
.LBB281_37:
	s_or_b64 exec, exec, s[0:1]
	s_and_saveexec_b64 s[0:1], s[8:9]
	s_cbranch_execnz .LBB281_45
.LBB281_38:
	s_or_b64 exec, exec, s[0:1]
	s_and_saveexec_b64 s[0:1], s[10:11]
	s_cbranch_execnz .LBB281_46
.LBB281_39:
	s_endpgm
.LBB281_40:
	ds_read_b64 v[14:15], v30
	s_waitcnt lgkmcnt(0)
	global_store_dwordx2 v[12:13], v[14:15], off
	s_or_b64 exec, exec, s[4:5]
	s_and_saveexec_b64 s[4:5], s[0:1]
	s_cbranch_execz .LBB281_34
.LBB281_41:
	s_waitcnt lgkmcnt(2)
	global_store_dwordx2 v[12:13], v[8:9], off offset:1024
	s_or_b64 exec, exec, s[4:5]
	s_and_saveexec_b64 s[0:1], s[2:3]
	s_cbranch_execz .LBB281_35
.LBB281_42:
	s_waitcnt lgkmcnt(2)
	global_store_dwordx2 v[12:13], v[10:11], off offset:2048
	s_or_b64 exec, exec, s[0:1]
	s_and_saveexec_b64 s[0:1], s[12:13]
	s_cbranch_execz .LBB281_36
.LBB281_43:
	s_waitcnt lgkmcnt(1)
	global_store_dwordx2 v[12:13], v[4:5], off offset:3072
	s_or_b64 exec, exec, s[0:1]
	s_and_saveexec_b64 s[0:1], s[6:7]
	s_cbranch_execz .LBB281_37
.LBB281_44:
	s_waitcnt lgkmcnt(1)
	v_add_co_u32_e32 v4, vcc, 0x1000, v12
	v_addc_co_u32_e32 v5, vcc, 0, v13, vcc
	global_store_dwordx2 v[4:5], v[6:7], off
	s_or_b64 exec, exec, s[0:1]
	s_and_saveexec_b64 s[0:1], s[8:9]
	s_cbranch_execz .LBB281_38
.LBB281_45:
	s_waitcnt lgkmcnt(1)
	v_add_co_u32_e32 v4, vcc, 0x1000, v12
	v_addc_co_u32_e32 v5, vcc, 0, v13, vcc
	s_waitcnt lgkmcnt(0)
	global_store_dwordx2 v[4:5], v[0:1], off offset:1024
	s_or_b64 exec, exec, s[0:1]
	s_and_saveexec_b64 s[0:1], s[10:11]
	s_cbranch_execz .LBB281_39
.LBB281_46:
	s_waitcnt lgkmcnt(0)
	v_add_co_u32_e32 v0, vcc, 0x1000, v12
	v_addc_co_u32_e32 v1, vcc, 0, v13, vcc
	global_store_dwordx2 v[0:1], v[2:3], off offset:2048
	s_endpgm
	.section	.rodata,"a",@progbits
	.p2align	6, 0x0
	.amdhsa_kernel _ZN7rocprim17ROCPRIM_400000_NS6detail17trampoline_kernelINS0_14default_configENS1_20scan_config_selectorIxEEZZNS1_9scan_implILNS1_25lookback_scan_determinismE0ELb0ELb1ES3_N6thrust23THRUST_200600_302600_NS6detail15normal_iteratorINS9_10device_ptrIxEEEESE_xNS9_10multipliesIxEExEEDaPvRmT3_T4_T5_mT6_P12ihipStream_tbENKUlT_T0_E_clISt17integral_constantIbLb0EESU_EEDaSP_SQ_EUlSP_E0_NS1_11comp_targetILNS1_3genE4ELNS1_11target_archE910ELNS1_3gpuE8ELNS1_3repE0EEENS1_30default_config_static_selectorELNS0_4arch9wavefront6targetE1EEEvT1_
		.amdhsa_group_segment_fixed_size 7168
		.amdhsa_private_segment_fixed_size 0
		.amdhsa_kernarg_size 40
		.amdhsa_user_sgpr_count 6
		.amdhsa_user_sgpr_private_segment_buffer 1
		.amdhsa_user_sgpr_dispatch_ptr 0
		.amdhsa_user_sgpr_queue_ptr 0
		.amdhsa_user_sgpr_kernarg_segment_ptr 1
		.amdhsa_user_sgpr_dispatch_id 0
		.amdhsa_user_sgpr_flat_scratch_init 0
		.amdhsa_user_sgpr_kernarg_preload_length 0
		.amdhsa_user_sgpr_kernarg_preload_offset 0
		.amdhsa_user_sgpr_private_segment_size 0
		.amdhsa_uses_dynamic_stack 0
		.amdhsa_system_sgpr_private_segment_wavefront_offset 0
		.amdhsa_system_sgpr_workgroup_id_x 1
		.amdhsa_system_sgpr_workgroup_id_y 0
		.amdhsa_system_sgpr_workgroup_id_z 0
		.amdhsa_system_sgpr_workgroup_info 0
		.amdhsa_system_vgpr_workitem_id 0
		.amdhsa_next_free_vgpr 36
		.amdhsa_next_free_sgpr 22
		.amdhsa_accum_offset 36
		.amdhsa_reserve_vcc 1
		.amdhsa_reserve_flat_scratch 0
		.amdhsa_float_round_mode_32 0
		.amdhsa_float_round_mode_16_64 0
		.amdhsa_float_denorm_mode_32 3
		.amdhsa_float_denorm_mode_16_64 3
		.amdhsa_dx10_clamp 1
		.amdhsa_ieee_mode 1
		.amdhsa_fp16_overflow 0
		.amdhsa_tg_split 0
		.amdhsa_exception_fp_ieee_invalid_op 0
		.amdhsa_exception_fp_denorm_src 0
		.amdhsa_exception_fp_ieee_div_zero 0
		.amdhsa_exception_fp_ieee_overflow 0
		.amdhsa_exception_fp_ieee_underflow 0
		.amdhsa_exception_fp_ieee_inexact 0
		.amdhsa_exception_int_div_zero 0
	.end_amdhsa_kernel
	.section	.text._ZN7rocprim17ROCPRIM_400000_NS6detail17trampoline_kernelINS0_14default_configENS1_20scan_config_selectorIxEEZZNS1_9scan_implILNS1_25lookback_scan_determinismE0ELb0ELb1ES3_N6thrust23THRUST_200600_302600_NS6detail15normal_iteratorINS9_10device_ptrIxEEEESE_xNS9_10multipliesIxEExEEDaPvRmT3_T4_T5_mT6_P12ihipStream_tbENKUlT_T0_E_clISt17integral_constantIbLb0EESU_EEDaSP_SQ_EUlSP_E0_NS1_11comp_targetILNS1_3genE4ELNS1_11target_archE910ELNS1_3gpuE8ELNS1_3repE0EEENS1_30default_config_static_selectorELNS0_4arch9wavefront6targetE1EEEvT1_,"axG",@progbits,_ZN7rocprim17ROCPRIM_400000_NS6detail17trampoline_kernelINS0_14default_configENS1_20scan_config_selectorIxEEZZNS1_9scan_implILNS1_25lookback_scan_determinismE0ELb0ELb1ES3_N6thrust23THRUST_200600_302600_NS6detail15normal_iteratorINS9_10device_ptrIxEEEESE_xNS9_10multipliesIxEExEEDaPvRmT3_T4_T5_mT6_P12ihipStream_tbENKUlT_T0_E_clISt17integral_constantIbLb0EESU_EEDaSP_SQ_EUlSP_E0_NS1_11comp_targetILNS1_3genE4ELNS1_11target_archE910ELNS1_3gpuE8ELNS1_3repE0EEENS1_30default_config_static_selectorELNS0_4arch9wavefront6targetE1EEEvT1_,comdat
.Lfunc_end281:
	.size	_ZN7rocprim17ROCPRIM_400000_NS6detail17trampoline_kernelINS0_14default_configENS1_20scan_config_selectorIxEEZZNS1_9scan_implILNS1_25lookback_scan_determinismE0ELb0ELb1ES3_N6thrust23THRUST_200600_302600_NS6detail15normal_iteratorINS9_10device_ptrIxEEEESE_xNS9_10multipliesIxEExEEDaPvRmT3_T4_T5_mT6_P12ihipStream_tbENKUlT_T0_E_clISt17integral_constantIbLb0EESU_EEDaSP_SQ_EUlSP_E0_NS1_11comp_targetILNS1_3genE4ELNS1_11target_archE910ELNS1_3gpuE8ELNS1_3repE0EEENS1_30default_config_static_selectorELNS0_4arch9wavefront6targetE1EEEvT1_, .Lfunc_end281-_ZN7rocprim17ROCPRIM_400000_NS6detail17trampoline_kernelINS0_14default_configENS1_20scan_config_selectorIxEEZZNS1_9scan_implILNS1_25lookback_scan_determinismE0ELb0ELb1ES3_N6thrust23THRUST_200600_302600_NS6detail15normal_iteratorINS9_10device_ptrIxEEEESE_xNS9_10multipliesIxEExEEDaPvRmT3_T4_T5_mT6_P12ihipStream_tbENKUlT_T0_E_clISt17integral_constantIbLb0EESU_EEDaSP_SQ_EUlSP_E0_NS1_11comp_targetILNS1_3genE4ELNS1_11target_archE910ELNS1_3gpuE8ELNS1_3repE0EEENS1_30default_config_static_selectorELNS0_4arch9wavefront6targetE1EEEvT1_
                                        ; -- End function
	.section	.AMDGPU.csdata,"",@progbits
; Kernel info:
; codeLenInByte = 2164
; NumSgprs: 26
; NumVgprs: 36
; NumAgprs: 0
; TotalNumVgprs: 36
; ScratchSize: 0
; MemoryBound: 0
; FloatMode: 240
; IeeeMode: 1
; LDSByteSize: 7168 bytes/workgroup (compile time only)
; SGPRBlocks: 3
; VGPRBlocks: 4
; NumSGPRsForWavesPerEU: 26
; NumVGPRsForWavesPerEU: 36
; AccumOffset: 36
; Occupancy: 5
; WaveLimiterHint : 0
; COMPUTE_PGM_RSRC2:SCRATCH_EN: 0
; COMPUTE_PGM_RSRC2:USER_SGPR: 6
; COMPUTE_PGM_RSRC2:TRAP_HANDLER: 0
; COMPUTE_PGM_RSRC2:TGID_X_EN: 1
; COMPUTE_PGM_RSRC2:TGID_Y_EN: 0
; COMPUTE_PGM_RSRC2:TGID_Z_EN: 0
; COMPUTE_PGM_RSRC2:TIDIG_COMP_CNT: 0
; COMPUTE_PGM_RSRC3_GFX90A:ACCUM_OFFSET: 8
; COMPUTE_PGM_RSRC3_GFX90A:TG_SPLIT: 0
	.section	.text._ZN7rocprim17ROCPRIM_400000_NS6detail17trampoline_kernelINS0_14default_configENS1_20scan_config_selectorIxEEZZNS1_9scan_implILNS1_25lookback_scan_determinismE0ELb0ELb1ES3_N6thrust23THRUST_200600_302600_NS6detail15normal_iteratorINS9_10device_ptrIxEEEESE_xNS9_10multipliesIxEExEEDaPvRmT3_T4_T5_mT6_P12ihipStream_tbENKUlT_T0_E_clISt17integral_constantIbLb0EESU_EEDaSP_SQ_EUlSP_E0_NS1_11comp_targetILNS1_3genE3ELNS1_11target_archE908ELNS1_3gpuE7ELNS1_3repE0EEENS1_30default_config_static_selectorELNS0_4arch9wavefront6targetE1EEEvT1_,"axG",@progbits,_ZN7rocprim17ROCPRIM_400000_NS6detail17trampoline_kernelINS0_14default_configENS1_20scan_config_selectorIxEEZZNS1_9scan_implILNS1_25lookback_scan_determinismE0ELb0ELb1ES3_N6thrust23THRUST_200600_302600_NS6detail15normal_iteratorINS9_10device_ptrIxEEEESE_xNS9_10multipliesIxEExEEDaPvRmT3_T4_T5_mT6_P12ihipStream_tbENKUlT_T0_E_clISt17integral_constantIbLb0EESU_EEDaSP_SQ_EUlSP_E0_NS1_11comp_targetILNS1_3genE3ELNS1_11target_archE908ELNS1_3gpuE7ELNS1_3repE0EEENS1_30default_config_static_selectorELNS0_4arch9wavefront6targetE1EEEvT1_,comdat
	.protected	_ZN7rocprim17ROCPRIM_400000_NS6detail17trampoline_kernelINS0_14default_configENS1_20scan_config_selectorIxEEZZNS1_9scan_implILNS1_25lookback_scan_determinismE0ELb0ELb1ES3_N6thrust23THRUST_200600_302600_NS6detail15normal_iteratorINS9_10device_ptrIxEEEESE_xNS9_10multipliesIxEExEEDaPvRmT3_T4_T5_mT6_P12ihipStream_tbENKUlT_T0_E_clISt17integral_constantIbLb0EESU_EEDaSP_SQ_EUlSP_E0_NS1_11comp_targetILNS1_3genE3ELNS1_11target_archE908ELNS1_3gpuE7ELNS1_3repE0EEENS1_30default_config_static_selectorELNS0_4arch9wavefront6targetE1EEEvT1_ ; -- Begin function _ZN7rocprim17ROCPRIM_400000_NS6detail17trampoline_kernelINS0_14default_configENS1_20scan_config_selectorIxEEZZNS1_9scan_implILNS1_25lookback_scan_determinismE0ELb0ELb1ES3_N6thrust23THRUST_200600_302600_NS6detail15normal_iteratorINS9_10device_ptrIxEEEESE_xNS9_10multipliesIxEExEEDaPvRmT3_T4_T5_mT6_P12ihipStream_tbENKUlT_T0_E_clISt17integral_constantIbLb0EESU_EEDaSP_SQ_EUlSP_E0_NS1_11comp_targetILNS1_3genE3ELNS1_11target_archE908ELNS1_3gpuE7ELNS1_3repE0EEENS1_30default_config_static_selectorELNS0_4arch9wavefront6targetE1EEEvT1_
	.globl	_ZN7rocprim17ROCPRIM_400000_NS6detail17trampoline_kernelINS0_14default_configENS1_20scan_config_selectorIxEEZZNS1_9scan_implILNS1_25lookback_scan_determinismE0ELb0ELb1ES3_N6thrust23THRUST_200600_302600_NS6detail15normal_iteratorINS9_10device_ptrIxEEEESE_xNS9_10multipliesIxEExEEDaPvRmT3_T4_T5_mT6_P12ihipStream_tbENKUlT_T0_E_clISt17integral_constantIbLb0EESU_EEDaSP_SQ_EUlSP_E0_NS1_11comp_targetILNS1_3genE3ELNS1_11target_archE908ELNS1_3gpuE7ELNS1_3repE0EEENS1_30default_config_static_selectorELNS0_4arch9wavefront6targetE1EEEvT1_
	.p2align	8
	.type	_ZN7rocprim17ROCPRIM_400000_NS6detail17trampoline_kernelINS0_14default_configENS1_20scan_config_selectorIxEEZZNS1_9scan_implILNS1_25lookback_scan_determinismE0ELb0ELb1ES3_N6thrust23THRUST_200600_302600_NS6detail15normal_iteratorINS9_10device_ptrIxEEEESE_xNS9_10multipliesIxEExEEDaPvRmT3_T4_T5_mT6_P12ihipStream_tbENKUlT_T0_E_clISt17integral_constantIbLb0EESU_EEDaSP_SQ_EUlSP_E0_NS1_11comp_targetILNS1_3genE3ELNS1_11target_archE908ELNS1_3gpuE7ELNS1_3repE0EEENS1_30default_config_static_selectorELNS0_4arch9wavefront6targetE1EEEvT1_,@function
_ZN7rocprim17ROCPRIM_400000_NS6detail17trampoline_kernelINS0_14default_configENS1_20scan_config_selectorIxEEZZNS1_9scan_implILNS1_25lookback_scan_determinismE0ELb0ELb1ES3_N6thrust23THRUST_200600_302600_NS6detail15normal_iteratorINS9_10device_ptrIxEEEESE_xNS9_10multipliesIxEExEEDaPvRmT3_T4_T5_mT6_P12ihipStream_tbENKUlT_T0_E_clISt17integral_constantIbLb0EESU_EEDaSP_SQ_EUlSP_E0_NS1_11comp_targetILNS1_3genE3ELNS1_11target_archE908ELNS1_3gpuE7ELNS1_3repE0EEENS1_30default_config_static_selectorELNS0_4arch9wavefront6targetE1EEEvT1_: ; @_ZN7rocprim17ROCPRIM_400000_NS6detail17trampoline_kernelINS0_14default_configENS1_20scan_config_selectorIxEEZZNS1_9scan_implILNS1_25lookback_scan_determinismE0ELb0ELb1ES3_N6thrust23THRUST_200600_302600_NS6detail15normal_iteratorINS9_10device_ptrIxEEEESE_xNS9_10multipliesIxEExEEDaPvRmT3_T4_T5_mT6_P12ihipStream_tbENKUlT_T0_E_clISt17integral_constantIbLb0EESU_EEDaSP_SQ_EUlSP_E0_NS1_11comp_targetILNS1_3genE3ELNS1_11target_archE908ELNS1_3gpuE7ELNS1_3repE0EEENS1_30default_config_static_selectorELNS0_4arch9wavefront6targetE1EEEvT1_
; %bb.0:
	.section	.rodata,"a",@progbits
	.p2align	6, 0x0
	.amdhsa_kernel _ZN7rocprim17ROCPRIM_400000_NS6detail17trampoline_kernelINS0_14default_configENS1_20scan_config_selectorIxEEZZNS1_9scan_implILNS1_25lookback_scan_determinismE0ELb0ELb1ES3_N6thrust23THRUST_200600_302600_NS6detail15normal_iteratorINS9_10device_ptrIxEEEESE_xNS9_10multipliesIxEExEEDaPvRmT3_T4_T5_mT6_P12ihipStream_tbENKUlT_T0_E_clISt17integral_constantIbLb0EESU_EEDaSP_SQ_EUlSP_E0_NS1_11comp_targetILNS1_3genE3ELNS1_11target_archE908ELNS1_3gpuE7ELNS1_3repE0EEENS1_30default_config_static_selectorELNS0_4arch9wavefront6targetE1EEEvT1_
		.amdhsa_group_segment_fixed_size 0
		.amdhsa_private_segment_fixed_size 0
		.amdhsa_kernarg_size 40
		.amdhsa_user_sgpr_count 6
		.amdhsa_user_sgpr_private_segment_buffer 1
		.amdhsa_user_sgpr_dispatch_ptr 0
		.amdhsa_user_sgpr_queue_ptr 0
		.amdhsa_user_sgpr_kernarg_segment_ptr 1
		.amdhsa_user_sgpr_dispatch_id 0
		.amdhsa_user_sgpr_flat_scratch_init 0
		.amdhsa_user_sgpr_kernarg_preload_length 0
		.amdhsa_user_sgpr_kernarg_preload_offset 0
		.amdhsa_user_sgpr_private_segment_size 0
		.amdhsa_uses_dynamic_stack 0
		.amdhsa_system_sgpr_private_segment_wavefront_offset 0
		.amdhsa_system_sgpr_workgroup_id_x 1
		.amdhsa_system_sgpr_workgroup_id_y 0
		.amdhsa_system_sgpr_workgroup_id_z 0
		.amdhsa_system_sgpr_workgroup_info 0
		.amdhsa_system_vgpr_workitem_id 0
		.amdhsa_next_free_vgpr 1
		.amdhsa_next_free_sgpr 0
		.amdhsa_accum_offset 4
		.amdhsa_reserve_vcc 0
		.amdhsa_reserve_flat_scratch 0
		.amdhsa_float_round_mode_32 0
		.amdhsa_float_round_mode_16_64 0
		.amdhsa_float_denorm_mode_32 3
		.amdhsa_float_denorm_mode_16_64 3
		.amdhsa_dx10_clamp 1
		.amdhsa_ieee_mode 1
		.amdhsa_fp16_overflow 0
		.amdhsa_tg_split 0
		.amdhsa_exception_fp_ieee_invalid_op 0
		.amdhsa_exception_fp_denorm_src 0
		.amdhsa_exception_fp_ieee_div_zero 0
		.amdhsa_exception_fp_ieee_overflow 0
		.amdhsa_exception_fp_ieee_underflow 0
		.amdhsa_exception_fp_ieee_inexact 0
		.amdhsa_exception_int_div_zero 0
	.end_amdhsa_kernel
	.section	.text._ZN7rocprim17ROCPRIM_400000_NS6detail17trampoline_kernelINS0_14default_configENS1_20scan_config_selectorIxEEZZNS1_9scan_implILNS1_25lookback_scan_determinismE0ELb0ELb1ES3_N6thrust23THRUST_200600_302600_NS6detail15normal_iteratorINS9_10device_ptrIxEEEESE_xNS9_10multipliesIxEExEEDaPvRmT3_T4_T5_mT6_P12ihipStream_tbENKUlT_T0_E_clISt17integral_constantIbLb0EESU_EEDaSP_SQ_EUlSP_E0_NS1_11comp_targetILNS1_3genE3ELNS1_11target_archE908ELNS1_3gpuE7ELNS1_3repE0EEENS1_30default_config_static_selectorELNS0_4arch9wavefront6targetE1EEEvT1_,"axG",@progbits,_ZN7rocprim17ROCPRIM_400000_NS6detail17trampoline_kernelINS0_14default_configENS1_20scan_config_selectorIxEEZZNS1_9scan_implILNS1_25lookback_scan_determinismE0ELb0ELb1ES3_N6thrust23THRUST_200600_302600_NS6detail15normal_iteratorINS9_10device_ptrIxEEEESE_xNS9_10multipliesIxEExEEDaPvRmT3_T4_T5_mT6_P12ihipStream_tbENKUlT_T0_E_clISt17integral_constantIbLb0EESU_EEDaSP_SQ_EUlSP_E0_NS1_11comp_targetILNS1_3genE3ELNS1_11target_archE908ELNS1_3gpuE7ELNS1_3repE0EEENS1_30default_config_static_selectorELNS0_4arch9wavefront6targetE1EEEvT1_,comdat
.Lfunc_end282:
	.size	_ZN7rocprim17ROCPRIM_400000_NS6detail17trampoline_kernelINS0_14default_configENS1_20scan_config_selectorIxEEZZNS1_9scan_implILNS1_25lookback_scan_determinismE0ELb0ELb1ES3_N6thrust23THRUST_200600_302600_NS6detail15normal_iteratorINS9_10device_ptrIxEEEESE_xNS9_10multipliesIxEExEEDaPvRmT3_T4_T5_mT6_P12ihipStream_tbENKUlT_T0_E_clISt17integral_constantIbLb0EESU_EEDaSP_SQ_EUlSP_E0_NS1_11comp_targetILNS1_3genE3ELNS1_11target_archE908ELNS1_3gpuE7ELNS1_3repE0EEENS1_30default_config_static_selectorELNS0_4arch9wavefront6targetE1EEEvT1_, .Lfunc_end282-_ZN7rocprim17ROCPRIM_400000_NS6detail17trampoline_kernelINS0_14default_configENS1_20scan_config_selectorIxEEZZNS1_9scan_implILNS1_25lookback_scan_determinismE0ELb0ELb1ES3_N6thrust23THRUST_200600_302600_NS6detail15normal_iteratorINS9_10device_ptrIxEEEESE_xNS9_10multipliesIxEExEEDaPvRmT3_T4_T5_mT6_P12ihipStream_tbENKUlT_T0_E_clISt17integral_constantIbLb0EESU_EEDaSP_SQ_EUlSP_E0_NS1_11comp_targetILNS1_3genE3ELNS1_11target_archE908ELNS1_3gpuE7ELNS1_3repE0EEENS1_30default_config_static_selectorELNS0_4arch9wavefront6targetE1EEEvT1_
                                        ; -- End function
	.section	.AMDGPU.csdata,"",@progbits
; Kernel info:
; codeLenInByte = 0
; NumSgprs: 4
; NumVgprs: 0
; NumAgprs: 0
; TotalNumVgprs: 0
; ScratchSize: 0
; MemoryBound: 0
; FloatMode: 240
; IeeeMode: 1
; LDSByteSize: 0 bytes/workgroup (compile time only)
; SGPRBlocks: 0
; VGPRBlocks: 0
; NumSGPRsForWavesPerEU: 4
; NumVGPRsForWavesPerEU: 1
; AccumOffset: 4
; Occupancy: 8
; WaveLimiterHint : 0
; COMPUTE_PGM_RSRC2:SCRATCH_EN: 0
; COMPUTE_PGM_RSRC2:USER_SGPR: 6
; COMPUTE_PGM_RSRC2:TRAP_HANDLER: 0
; COMPUTE_PGM_RSRC2:TGID_X_EN: 1
; COMPUTE_PGM_RSRC2:TGID_Y_EN: 0
; COMPUTE_PGM_RSRC2:TGID_Z_EN: 0
; COMPUTE_PGM_RSRC2:TIDIG_COMP_CNT: 0
; COMPUTE_PGM_RSRC3_GFX90A:ACCUM_OFFSET: 0
; COMPUTE_PGM_RSRC3_GFX90A:TG_SPLIT: 0
	.section	.text._ZN7rocprim17ROCPRIM_400000_NS6detail17trampoline_kernelINS0_14default_configENS1_20scan_config_selectorIxEEZZNS1_9scan_implILNS1_25lookback_scan_determinismE0ELb0ELb1ES3_N6thrust23THRUST_200600_302600_NS6detail15normal_iteratorINS9_10device_ptrIxEEEESE_xNS9_10multipliesIxEExEEDaPvRmT3_T4_T5_mT6_P12ihipStream_tbENKUlT_T0_E_clISt17integral_constantIbLb0EESU_EEDaSP_SQ_EUlSP_E0_NS1_11comp_targetILNS1_3genE2ELNS1_11target_archE906ELNS1_3gpuE6ELNS1_3repE0EEENS1_30default_config_static_selectorELNS0_4arch9wavefront6targetE1EEEvT1_,"axG",@progbits,_ZN7rocprim17ROCPRIM_400000_NS6detail17trampoline_kernelINS0_14default_configENS1_20scan_config_selectorIxEEZZNS1_9scan_implILNS1_25lookback_scan_determinismE0ELb0ELb1ES3_N6thrust23THRUST_200600_302600_NS6detail15normal_iteratorINS9_10device_ptrIxEEEESE_xNS9_10multipliesIxEExEEDaPvRmT3_T4_T5_mT6_P12ihipStream_tbENKUlT_T0_E_clISt17integral_constantIbLb0EESU_EEDaSP_SQ_EUlSP_E0_NS1_11comp_targetILNS1_3genE2ELNS1_11target_archE906ELNS1_3gpuE6ELNS1_3repE0EEENS1_30default_config_static_selectorELNS0_4arch9wavefront6targetE1EEEvT1_,comdat
	.protected	_ZN7rocprim17ROCPRIM_400000_NS6detail17trampoline_kernelINS0_14default_configENS1_20scan_config_selectorIxEEZZNS1_9scan_implILNS1_25lookback_scan_determinismE0ELb0ELb1ES3_N6thrust23THRUST_200600_302600_NS6detail15normal_iteratorINS9_10device_ptrIxEEEESE_xNS9_10multipliesIxEExEEDaPvRmT3_T4_T5_mT6_P12ihipStream_tbENKUlT_T0_E_clISt17integral_constantIbLb0EESU_EEDaSP_SQ_EUlSP_E0_NS1_11comp_targetILNS1_3genE2ELNS1_11target_archE906ELNS1_3gpuE6ELNS1_3repE0EEENS1_30default_config_static_selectorELNS0_4arch9wavefront6targetE1EEEvT1_ ; -- Begin function _ZN7rocprim17ROCPRIM_400000_NS6detail17trampoline_kernelINS0_14default_configENS1_20scan_config_selectorIxEEZZNS1_9scan_implILNS1_25lookback_scan_determinismE0ELb0ELb1ES3_N6thrust23THRUST_200600_302600_NS6detail15normal_iteratorINS9_10device_ptrIxEEEESE_xNS9_10multipliesIxEExEEDaPvRmT3_T4_T5_mT6_P12ihipStream_tbENKUlT_T0_E_clISt17integral_constantIbLb0EESU_EEDaSP_SQ_EUlSP_E0_NS1_11comp_targetILNS1_3genE2ELNS1_11target_archE906ELNS1_3gpuE6ELNS1_3repE0EEENS1_30default_config_static_selectorELNS0_4arch9wavefront6targetE1EEEvT1_
	.globl	_ZN7rocprim17ROCPRIM_400000_NS6detail17trampoline_kernelINS0_14default_configENS1_20scan_config_selectorIxEEZZNS1_9scan_implILNS1_25lookback_scan_determinismE0ELb0ELb1ES3_N6thrust23THRUST_200600_302600_NS6detail15normal_iteratorINS9_10device_ptrIxEEEESE_xNS9_10multipliesIxEExEEDaPvRmT3_T4_T5_mT6_P12ihipStream_tbENKUlT_T0_E_clISt17integral_constantIbLb0EESU_EEDaSP_SQ_EUlSP_E0_NS1_11comp_targetILNS1_3genE2ELNS1_11target_archE906ELNS1_3gpuE6ELNS1_3repE0EEENS1_30default_config_static_selectorELNS0_4arch9wavefront6targetE1EEEvT1_
	.p2align	8
	.type	_ZN7rocprim17ROCPRIM_400000_NS6detail17trampoline_kernelINS0_14default_configENS1_20scan_config_selectorIxEEZZNS1_9scan_implILNS1_25lookback_scan_determinismE0ELb0ELb1ES3_N6thrust23THRUST_200600_302600_NS6detail15normal_iteratorINS9_10device_ptrIxEEEESE_xNS9_10multipliesIxEExEEDaPvRmT3_T4_T5_mT6_P12ihipStream_tbENKUlT_T0_E_clISt17integral_constantIbLb0EESU_EEDaSP_SQ_EUlSP_E0_NS1_11comp_targetILNS1_3genE2ELNS1_11target_archE906ELNS1_3gpuE6ELNS1_3repE0EEENS1_30default_config_static_selectorELNS0_4arch9wavefront6targetE1EEEvT1_,@function
_ZN7rocprim17ROCPRIM_400000_NS6detail17trampoline_kernelINS0_14default_configENS1_20scan_config_selectorIxEEZZNS1_9scan_implILNS1_25lookback_scan_determinismE0ELb0ELb1ES3_N6thrust23THRUST_200600_302600_NS6detail15normal_iteratorINS9_10device_ptrIxEEEESE_xNS9_10multipliesIxEExEEDaPvRmT3_T4_T5_mT6_P12ihipStream_tbENKUlT_T0_E_clISt17integral_constantIbLb0EESU_EEDaSP_SQ_EUlSP_E0_NS1_11comp_targetILNS1_3genE2ELNS1_11target_archE906ELNS1_3gpuE6ELNS1_3repE0EEENS1_30default_config_static_selectorELNS0_4arch9wavefront6targetE1EEEvT1_: ; @_ZN7rocprim17ROCPRIM_400000_NS6detail17trampoline_kernelINS0_14default_configENS1_20scan_config_selectorIxEEZZNS1_9scan_implILNS1_25lookback_scan_determinismE0ELb0ELb1ES3_N6thrust23THRUST_200600_302600_NS6detail15normal_iteratorINS9_10device_ptrIxEEEESE_xNS9_10multipliesIxEExEEDaPvRmT3_T4_T5_mT6_P12ihipStream_tbENKUlT_T0_E_clISt17integral_constantIbLb0EESU_EEDaSP_SQ_EUlSP_E0_NS1_11comp_targetILNS1_3genE2ELNS1_11target_archE906ELNS1_3gpuE6ELNS1_3repE0EEENS1_30default_config_static_selectorELNS0_4arch9wavefront6targetE1EEEvT1_
; %bb.0:
	.section	.rodata,"a",@progbits
	.p2align	6, 0x0
	.amdhsa_kernel _ZN7rocprim17ROCPRIM_400000_NS6detail17trampoline_kernelINS0_14default_configENS1_20scan_config_selectorIxEEZZNS1_9scan_implILNS1_25lookback_scan_determinismE0ELb0ELb1ES3_N6thrust23THRUST_200600_302600_NS6detail15normal_iteratorINS9_10device_ptrIxEEEESE_xNS9_10multipliesIxEExEEDaPvRmT3_T4_T5_mT6_P12ihipStream_tbENKUlT_T0_E_clISt17integral_constantIbLb0EESU_EEDaSP_SQ_EUlSP_E0_NS1_11comp_targetILNS1_3genE2ELNS1_11target_archE906ELNS1_3gpuE6ELNS1_3repE0EEENS1_30default_config_static_selectorELNS0_4arch9wavefront6targetE1EEEvT1_
		.amdhsa_group_segment_fixed_size 0
		.amdhsa_private_segment_fixed_size 0
		.amdhsa_kernarg_size 40
		.amdhsa_user_sgpr_count 6
		.amdhsa_user_sgpr_private_segment_buffer 1
		.amdhsa_user_sgpr_dispatch_ptr 0
		.amdhsa_user_sgpr_queue_ptr 0
		.amdhsa_user_sgpr_kernarg_segment_ptr 1
		.amdhsa_user_sgpr_dispatch_id 0
		.amdhsa_user_sgpr_flat_scratch_init 0
		.amdhsa_user_sgpr_kernarg_preload_length 0
		.amdhsa_user_sgpr_kernarg_preload_offset 0
		.amdhsa_user_sgpr_private_segment_size 0
		.amdhsa_uses_dynamic_stack 0
		.amdhsa_system_sgpr_private_segment_wavefront_offset 0
		.amdhsa_system_sgpr_workgroup_id_x 1
		.amdhsa_system_sgpr_workgroup_id_y 0
		.amdhsa_system_sgpr_workgroup_id_z 0
		.amdhsa_system_sgpr_workgroup_info 0
		.amdhsa_system_vgpr_workitem_id 0
		.amdhsa_next_free_vgpr 1
		.amdhsa_next_free_sgpr 0
		.amdhsa_accum_offset 4
		.amdhsa_reserve_vcc 0
		.amdhsa_reserve_flat_scratch 0
		.amdhsa_float_round_mode_32 0
		.amdhsa_float_round_mode_16_64 0
		.amdhsa_float_denorm_mode_32 3
		.amdhsa_float_denorm_mode_16_64 3
		.amdhsa_dx10_clamp 1
		.amdhsa_ieee_mode 1
		.amdhsa_fp16_overflow 0
		.amdhsa_tg_split 0
		.amdhsa_exception_fp_ieee_invalid_op 0
		.amdhsa_exception_fp_denorm_src 0
		.amdhsa_exception_fp_ieee_div_zero 0
		.amdhsa_exception_fp_ieee_overflow 0
		.amdhsa_exception_fp_ieee_underflow 0
		.amdhsa_exception_fp_ieee_inexact 0
		.amdhsa_exception_int_div_zero 0
	.end_amdhsa_kernel
	.section	.text._ZN7rocprim17ROCPRIM_400000_NS6detail17trampoline_kernelINS0_14default_configENS1_20scan_config_selectorIxEEZZNS1_9scan_implILNS1_25lookback_scan_determinismE0ELb0ELb1ES3_N6thrust23THRUST_200600_302600_NS6detail15normal_iteratorINS9_10device_ptrIxEEEESE_xNS9_10multipliesIxEExEEDaPvRmT3_T4_T5_mT6_P12ihipStream_tbENKUlT_T0_E_clISt17integral_constantIbLb0EESU_EEDaSP_SQ_EUlSP_E0_NS1_11comp_targetILNS1_3genE2ELNS1_11target_archE906ELNS1_3gpuE6ELNS1_3repE0EEENS1_30default_config_static_selectorELNS0_4arch9wavefront6targetE1EEEvT1_,"axG",@progbits,_ZN7rocprim17ROCPRIM_400000_NS6detail17trampoline_kernelINS0_14default_configENS1_20scan_config_selectorIxEEZZNS1_9scan_implILNS1_25lookback_scan_determinismE0ELb0ELb1ES3_N6thrust23THRUST_200600_302600_NS6detail15normal_iteratorINS9_10device_ptrIxEEEESE_xNS9_10multipliesIxEExEEDaPvRmT3_T4_T5_mT6_P12ihipStream_tbENKUlT_T0_E_clISt17integral_constantIbLb0EESU_EEDaSP_SQ_EUlSP_E0_NS1_11comp_targetILNS1_3genE2ELNS1_11target_archE906ELNS1_3gpuE6ELNS1_3repE0EEENS1_30default_config_static_selectorELNS0_4arch9wavefront6targetE1EEEvT1_,comdat
.Lfunc_end283:
	.size	_ZN7rocprim17ROCPRIM_400000_NS6detail17trampoline_kernelINS0_14default_configENS1_20scan_config_selectorIxEEZZNS1_9scan_implILNS1_25lookback_scan_determinismE0ELb0ELb1ES3_N6thrust23THRUST_200600_302600_NS6detail15normal_iteratorINS9_10device_ptrIxEEEESE_xNS9_10multipliesIxEExEEDaPvRmT3_T4_T5_mT6_P12ihipStream_tbENKUlT_T0_E_clISt17integral_constantIbLb0EESU_EEDaSP_SQ_EUlSP_E0_NS1_11comp_targetILNS1_3genE2ELNS1_11target_archE906ELNS1_3gpuE6ELNS1_3repE0EEENS1_30default_config_static_selectorELNS0_4arch9wavefront6targetE1EEEvT1_, .Lfunc_end283-_ZN7rocprim17ROCPRIM_400000_NS6detail17trampoline_kernelINS0_14default_configENS1_20scan_config_selectorIxEEZZNS1_9scan_implILNS1_25lookback_scan_determinismE0ELb0ELb1ES3_N6thrust23THRUST_200600_302600_NS6detail15normal_iteratorINS9_10device_ptrIxEEEESE_xNS9_10multipliesIxEExEEDaPvRmT3_T4_T5_mT6_P12ihipStream_tbENKUlT_T0_E_clISt17integral_constantIbLb0EESU_EEDaSP_SQ_EUlSP_E0_NS1_11comp_targetILNS1_3genE2ELNS1_11target_archE906ELNS1_3gpuE6ELNS1_3repE0EEENS1_30default_config_static_selectorELNS0_4arch9wavefront6targetE1EEEvT1_
                                        ; -- End function
	.section	.AMDGPU.csdata,"",@progbits
; Kernel info:
; codeLenInByte = 0
; NumSgprs: 4
; NumVgprs: 0
; NumAgprs: 0
; TotalNumVgprs: 0
; ScratchSize: 0
; MemoryBound: 0
; FloatMode: 240
; IeeeMode: 1
; LDSByteSize: 0 bytes/workgroup (compile time only)
; SGPRBlocks: 0
; VGPRBlocks: 0
; NumSGPRsForWavesPerEU: 4
; NumVGPRsForWavesPerEU: 1
; AccumOffset: 4
; Occupancy: 8
; WaveLimiterHint : 0
; COMPUTE_PGM_RSRC2:SCRATCH_EN: 0
; COMPUTE_PGM_RSRC2:USER_SGPR: 6
; COMPUTE_PGM_RSRC2:TRAP_HANDLER: 0
; COMPUTE_PGM_RSRC2:TGID_X_EN: 1
; COMPUTE_PGM_RSRC2:TGID_Y_EN: 0
; COMPUTE_PGM_RSRC2:TGID_Z_EN: 0
; COMPUTE_PGM_RSRC2:TIDIG_COMP_CNT: 0
; COMPUTE_PGM_RSRC3_GFX90A:ACCUM_OFFSET: 0
; COMPUTE_PGM_RSRC3_GFX90A:TG_SPLIT: 0
	.section	.text._ZN7rocprim17ROCPRIM_400000_NS6detail17trampoline_kernelINS0_14default_configENS1_20scan_config_selectorIxEEZZNS1_9scan_implILNS1_25lookback_scan_determinismE0ELb0ELb1ES3_N6thrust23THRUST_200600_302600_NS6detail15normal_iteratorINS9_10device_ptrIxEEEESE_xNS9_10multipliesIxEExEEDaPvRmT3_T4_T5_mT6_P12ihipStream_tbENKUlT_T0_E_clISt17integral_constantIbLb0EESU_EEDaSP_SQ_EUlSP_E0_NS1_11comp_targetILNS1_3genE10ELNS1_11target_archE1201ELNS1_3gpuE5ELNS1_3repE0EEENS1_30default_config_static_selectorELNS0_4arch9wavefront6targetE1EEEvT1_,"axG",@progbits,_ZN7rocprim17ROCPRIM_400000_NS6detail17trampoline_kernelINS0_14default_configENS1_20scan_config_selectorIxEEZZNS1_9scan_implILNS1_25lookback_scan_determinismE0ELb0ELb1ES3_N6thrust23THRUST_200600_302600_NS6detail15normal_iteratorINS9_10device_ptrIxEEEESE_xNS9_10multipliesIxEExEEDaPvRmT3_T4_T5_mT6_P12ihipStream_tbENKUlT_T0_E_clISt17integral_constantIbLb0EESU_EEDaSP_SQ_EUlSP_E0_NS1_11comp_targetILNS1_3genE10ELNS1_11target_archE1201ELNS1_3gpuE5ELNS1_3repE0EEENS1_30default_config_static_selectorELNS0_4arch9wavefront6targetE1EEEvT1_,comdat
	.protected	_ZN7rocprim17ROCPRIM_400000_NS6detail17trampoline_kernelINS0_14default_configENS1_20scan_config_selectorIxEEZZNS1_9scan_implILNS1_25lookback_scan_determinismE0ELb0ELb1ES3_N6thrust23THRUST_200600_302600_NS6detail15normal_iteratorINS9_10device_ptrIxEEEESE_xNS9_10multipliesIxEExEEDaPvRmT3_T4_T5_mT6_P12ihipStream_tbENKUlT_T0_E_clISt17integral_constantIbLb0EESU_EEDaSP_SQ_EUlSP_E0_NS1_11comp_targetILNS1_3genE10ELNS1_11target_archE1201ELNS1_3gpuE5ELNS1_3repE0EEENS1_30default_config_static_selectorELNS0_4arch9wavefront6targetE1EEEvT1_ ; -- Begin function _ZN7rocprim17ROCPRIM_400000_NS6detail17trampoline_kernelINS0_14default_configENS1_20scan_config_selectorIxEEZZNS1_9scan_implILNS1_25lookback_scan_determinismE0ELb0ELb1ES3_N6thrust23THRUST_200600_302600_NS6detail15normal_iteratorINS9_10device_ptrIxEEEESE_xNS9_10multipliesIxEExEEDaPvRmT3_T4_T5_mT6_P12ihipStream_tbENKUlT_T0_E_clISt17integral_constantIbLb0EESU_EEDaSP_SQ_EUlSP_E0_NS1_11comp_targetILNS1_3genE10ELNS1_11target_archE1201ELNS1_3gpuE5ELNS1_3repE0EEENS1_30default_config_static_selectorELNS0_4arch9wavefront6targetE1EEEvT1_
	.globl	_ZN7rocprim17ROCPRIM_400000_NS6detail17trampoline_kernelINS0_14default_configENS1_20scan_config_selectorIxEEZZNS1_9scan_implILNS1_25lookback_scan_determinismE0ELb0ELb1ES3_N6thrust23THRUST_200600_302600_NS6detail15normal_iteratorINS9_10device_ptrIxEEEESE_xNS9_10multipliesIxEExEEDaPvRmT3_T4_T5_mT6_P12ihipStream_tbENKUlT_T0_E_clISt17integral_constantIbLb0EESU_EEDaSP_SQ_EUlSP_E0_NS1_11comp_targetILNS1_3genE10ELNS1_11target_archE1201ELNS1_3gpuE5ELNS1_3repE0EEENS1_30default_config_static_selectorELNS0_4arch9wavefront6targetE1EEEvT1_
	.p2align	8
	.type	_ZN7rocprim17ROCPRIM_400000_NS6detail17trampoline_kernelINS0_14default_configENS1_20scan_config_selectorIxEEZZNS1_9scan_implILNS1_25lookback_scan_determinismE0ELb0ELb1ES3_N6thrust23THRUST_200600_302600_NS6detail15normal_iteratorINS9_10device_ptrIxEEEESE_xNS9_10multipliesIxEExEEDaPvRmT3_T4_T5_mT6_P12ihipStream_tbENKUlT_T0_E_clISt17integral_constantIbLb0EESU_EEDaSP_SQ_EUlSP_E0_NS1_11comp_targetILNS1_3genE10ELNS1_11target_archE1201ELNS1_3gpuE5ELNS1_3repE0EEENS1_30default_config_static_selectorELNS0_4arch9wavefront6targetE1EEEvT1_,@function
_ZN7rocprim17ROCPRIM_400000_NS6detail17trampoline_kernelINS0_14default_configENS1_20scan_config_selectorIxEEZZNS1_9scan_implILNS1_25lookback_scan_determinismE0ELb0ELb1ES3_N6thrust23THRUST_200600_302600_NS6detail15normal_iteratorINS9_10device_ptrIxEEEESE_xNS9_10multipliesIxEExEEDaPvRmT3_T4_T5_mT6_P12ihipStream_tbENKUlT_T0_E_clISt17integral_constantIbLb0EESU_EEDaSP_SQ_EUlSP_E0_NS1_11comp_targetILNS1_3genE10ELNS1_11target_archE1201ELNS1_3gpuE5ELNS1_3repE0EEENS1_30default_config_static_selectorELNS0_4arch9wavefront6targetE1EEEvT1_: ; @_ZN7rocprim17ROCPRIM_400000_NS6detail17trampoline_kernelINS0_14default_configENS1_20scan_config_selectorIxEEZZNS1_9scan_implILNS1_25lookback_scan_determinismE0ELb0ELb1ES3_N6thrust23THRUST_200600_302600_NS6detail15normal_iteratorINS9_10device_ptrIxEEEESE_xNS9_10multipliesIxEExEEDaPvRmT3_T4_T5_mT6_P12ihipStream_tbENKUlT_T0_E_clISt17integral_constantIbLb0EESU_EEDaSP_SQ_EUlSP_E0_NS1_11comp_targetILNS1_3genE10ELNS1_11target_archE1201ELNS1_3gpuE5ELNS1_3repE0EEENS1_30default_config_static_selectorELNS0_4arch9wavefront6targetE1EEEvT1_
; %bb.0:
	.section	.rodata,"a",@progbits
	.p2align	6, 0x0
	.amdhsa_kernel _ZN7rocprim17ROCPRIM_400000_NS6detail17trampoline_kernelINS0_14default_configENS1_20scan_config_selectorIxEEZZNS1_9scan_implILNS1_25lookback_scan_determinismE0ELb0ELb1ES3_N6thrust23THRUST_200600_302600_NS6detail15normal_iteratorINS9_10device_ptrIxEEEESE_xNS9_10multipliesIxEExEEDaPvRmT3_T4_T5_mT6_P12ihipStream_tbENKUlT_T0_E_clISt17integral_constantIbLb0EESU_EEDaSP_SQ_EUlSP_E0_NS1_11comp_targetILNS1_3genE10ELNS1_11target_archE1201ELNS1_3gpuE5ELNS1_3repE0EEENS1_30default_config_static_selectorELNS0_4arch9wavefront6targetE1EEEvT1_
		.amdhsa_group_segment_fixed_size 0
		.amdhsa_private_segment_fixed_size 0
		.amdhsa_kernarg_size 40
		.amdhsa_user_sgpr_count 6
		.amdhsa_user_sgpr_private_segment_buffer 1
		.amdhsa_user_sgpr_dispatch_ptr 0
		.amdhsa_user_sgpr_queue_ptr 0
		.amdhsa_user_sgpr_kernarg_segment_ptr 1
		.amdhsa_user_sgpr_dispatch_id 0
		.amdhsa_user_sgpr_flat_scratch_init 0
		.amdhsa_user_sgpr_kernarg_preload_length 0
		.amdhsa_user_sgpr_kernarg_preload_offset 0
		.amdhsa_user_sgpr_private_segment_size 0
		.amdhsa_uses_dynamic_stack 0
		.amdhsa_system_sgpr_private_segment_wavefront_offset 0
		.amdhsa_system_sgpr_workgroup_id_x 1
		.amdhsa_system_sgpr_workgroup_id_y 0
		.amdhsa_system_sgpr_workgroup_id_z 0
		.amdhsa_system_sgpr_workgroup_info 0
		.amdhsa_system_vgpr_workitem_id 0
		.amdhsa_next_free_vgpr 1
		.amdhsa_next_free_sgpr 0
		.amdhsa_accum_offset 4
		.amdhsa_reserve_vcc 0
		.amdhsa_reserve_flat_scratch 0
		.amdhsa_float_round_mode_32 0
		.amdhsa_float_round_mode_16_64 0
		.amdhsa_float_denorm_mode_32 3
		.amdhsa_float_denorm_mode_16_64 3
		.amdhsa_dx10_clamp 1
		.amdhsa_ieee_mode 1
		.amdhsa_fp16_overflow 0
		.amdhsa_tg_split 0
		.amdhsa_exception_fp_ieee_invalid_op 0
		.amdhsa_exception_fp_denorm_src 0
		.amdhsa_exception_fp_ieee_div_zero 0
		.amdhsa_exception_fp_ieee_overflow 0
		.amdhsa_exception_fp_ieee_underflow 0
		.amdhsa_exception_fp_ieee_inexact 0
		.amdhsa_exception_int_div_zero 0
	.end_amdhsa_kernel
	.section	.text._ZN7rocprim17ROCPRIM_400000_NS6detail17trampoline_kernelINS0_14default_configENS1_20scan_config_selectorIxEEZZNS1_9scan_implILNS1_25lookback_scan_determinismE0ELb0ELb1ES3_N6thrust23THRUST_200600_302600_NS6detail15normal_iteratorINS9_10device_ptrIxEEEESE_xNS9_10multipliesIxEExEEDaPvRmT3_T4_T5_mT6_P12ihipStream_tbENKUlT_T0_E_clISt17integral_constantIbLb0EESU_EEDaSP_SQ_EUlSP_E0_NS1_11comp_targetILNS1_3genE10ELNS1_11target_archE1201ELNS1_3gpuE5ELNS1_3repE0EEENS1_30default_config_static_selectorELNS0_4arch9wavefront6targetE1EEEvT1_,"axG",@progbits,_ZN7rocprim17ROCPRIM_400000_NS6detail17trampoline_kernelINS0_14default_configENS1_20scan_config_selectorIxEEZZNS1_9scan_implILNS1_25lookback_scan_determinismE0ELb0ELb1ES3_N6thrust23THRUST_200600_302600_NS6detail15normal_iteratorINS9_10device_ptrIxEEEESE_xNS9_10multipliesIxEExEEDaPvRmT3_T4_T5_mT6_P12ihipStream_tbENKUlT_T0_E_clISt17integral_constantIbLb0EESU_EEDaSP_SQ_EUlSP_E0_NS1_11comp_targetILNS1_3genE10ELNS1_11target_archE1201ELNS1_3gpuE5ELNS1_3repE0EEENS1_30default_config_static_selectorELNS0_4arch9wavefront6targetE1EEEvT1_,comdat
.Lfunc_end284:
	.size	_ZN7rocprim17ROCPRIM_400000_NS6detail17trampoline_kernelINS0_14default_configENS1_20scan_config_selectorIxEEZZNS1_9scan_implILNS1_25lookback_scan_determinismE0ELb0ELb1ES3_N6thrust23THRUST_200600_302600_NS6detail15normal_iteratorINS9_10device_ptrIxEEEESE_xNS9_10multipliesIxEExEEDaPvRmT3_T4_T5_mT6_P12ihipStream_tbENKUlT_T0_E_clISt17integral_constantIbLb0EESU_EEDaSP_SQ_EUlSP_E0_NS1_11comp_targetILNS1_3genE10ELNS1_11target_archE1201ELNS1_3gpuE5ELNS1_3repE0EEENS1_30default_config_static_selectorELNS0_4arch9wavefront6targetE1EEEvT1_, .Lfunc_end284-_ZN7rocprim17ROCPRIM_400000_NS6detail17trampoline_kernelINS0_14default_configENS1_20scan_config_selectorIxEEZZNS1_9scan_implILNS1_25lookback_scan_determinismE0ELb0ELb1ES3_N6thrust23THRUST_200600_302600_NS6detail15normal_iteratorINS9_10device_ptrIxEEEESE_xNS9_10multipliesIxEExEEDaPvRmT3_T4_T5_mT6_P12ihipStream_tbENKUlT_T0_E_clISt17integral_constantIbLb0EESU_EEDaSP_SQ_EUlSP_E0_NS1_11comp_targetILNS1_3genE10ELNS1_11target_archE1201ELNS1_3gpuE5ELNS1_3repE0EEENS1_30default_config_static_selectorELNS0_4arch9wavefront6targetE1EEEvT1_
                                        ; -- End function
	.section	.AMDGPU.csdata,"",@progbits
; Kernel info:
; codeLenInByte = 0
; NumSgprs: 4
; NumVgprs: 0
; NumAgprs: 0
; TotalNumVgprs: 0
; ScratchSize: 0
; MemoryBound: 0
; FloatMode: 240
; IeeeMode: 1
; LDSByteSize: 0 bytes/workgroup (compile time only)
; SGPRBlocks: 0
; VGPRBlocks: 0
; NumSGPRsForWavesPerEU: 4
; NumVGPRsForWavesPerEU: 1
; AccumOffset: 4
; Occupancy: 8
; WaveLimiterHint : 0
; COMPUTE_PGM_RSRC2:SCRATCH_EN: 0
; COMPUTE_PGM_RSRC2:USER_SGPR: 6
; COMPUTE_PGM_RSRC2:TRAP_HANDLER: 0
; COMPUTE_PGM_RSRC2:TGID_X_EN: 1
; COMPUTE_PGM_RSRC2:TGID_Y_EN: 0
; COMPUTE_PGM_RSRC2:TGID_Z_EN: 0
; COMPUTE_PGM_RSRC2:TIDIG_COMP_CNT: 0
; COMPUTE_PGM_RSRC3_GFX90A:ACCUM_OFFSET: 0
; COMPUTE_PGM_RSRC3_GFX90A:TG_SPLIT: 0
	.section	.text._ZN7rocprim17ROCPRIM_400000_NS6detail17trampoline_kernelINS0_14default_configENS1_20scan_config_selectorIxEEZZNS1_9scan_implILNS1_25lookback_scan_determinismE0ELb0ELb1ES3_N6thrust23THRUST_200600_302600_NS6detail15normal_iteratorINS9_10device_ptrIxEEEESE_xNS9_10multipliesIxEExEEDaPvRmT3_T4_T5_mT6_P12ihipStream_tbENKUlT_T0_E_clISt17integral_constantIbLb0EESU_EEDaSP_SQ_EUlSP_E0_NS1_11comp_targetILNS1_3genE10ELNS1_11target_archE1200ELNS1_3gpuE4ELNS1_3repE0EEENS1_30default_config_static_selectorELNS0_4arch9wavefront6targetE1EEEvT1_,"axG",@progbits,_ZN7rocprim17ROCPRIM_400000_NS6detail17trampoline_kernelINS0_14default_configENS1_20scan_config_selectorIxEEZZNS1_9scan_implILNS1_25lookback_scan_determinismE0ELb0ELb1ES3_N6thrust23THRUST_200600_302600_NS6detail15normal_iteratorINS9_10device_ptrIxEEEESE_xNS9_10multipliesIxEExEEDaPvRmT3_T4_T5_mT6_P12ihipStream_tbENKUlT_T0_E_clISt17integral_constantIbLb0EESU_EEDaSP_SQ_EUlSP_E0_NS1_11comp_targetILNS1_3genE10ELNS1_11target_archE1200ELNS1_3gpuE4ELNS1_3repE0EEENS1_30default_config_static_selectorELNS0_4arch9wavefront6targetE1EEEvT1_,comdat
	.protected	_ZN7rocprim17ROCPRIM_400000_NS6detail17trampoline_kernelINS0_14default_configENS1_20scan_config_selectorIxEEZZNS1_9scan_implILNS1_25lookback_scan_determinismE0ELb0ELb1ES3_N6thrust23THRUST_200600_302600_NS6detail15normal_iteratorINS9_10device_ptrIxEEEESE_xNS9_10multipliesIxEExEEDaPvRmT3_T4_T5_mT6_P12ihipStream_tbENKUlT_T0_E_clISt17integral_constantIbLb0EESU_EEDaSP_SQ_EUlSP_E0_NS1_11comp_targetILNS1_3genE10ELNS1_11target_archE1200ELNS1_3gpuE4ELNS1_3repE0EEENS1_30default_config_static_selectorELNS0_4arch9wavefront6targetE1EEEvT1_ ; -- Begin function _ZN7rocprim17ROCPRIM_400000_NS6detail17trampoline_kernelINS0_14default_configENS1_20scan_config_selectorIxEEZZNS1_9scan_implILNS1_25lookback_scan_determinismE0ELb0ELb1ES3_N6thrust23THRUST_200600_302600_NS6detail15normal_iteratorINS9_10device_ptrIxEEEESE_xNS9_10multipliesIxEExEEDaPvRmT3_T4_T5_mT6_P12ihipStream_tbENKUlT_T0_E_clISt17integral_constantIbLb0EESU_EEDaSP_SQ_EUlSP_E0_NS1_11comp_targetILNS1_3genE10ELNS1_11target_archE1200ELNS1_3gpuE4ELNS1_3repE0EEENS1_30default_config_static_selectorELNS0_4arch9wavefront6targetE1EEEvT1_
	.globl	_ZN7rocprim17ROCPRIM_400000_NS6detail17trampoline_kernelINS0_14default_configENS1_20scan_config_selectorIxEEZZNS1_9scan_implILNS1_25lookback_scan_determinismE0ELb0ELb1ES3_N6thrust23THRUST_200600_302600_NS6detail15normal_iteratorINS9_10device_ptrIxEEEESE_xNS9_10multipliesIxEExEEDaPvRmT3_T4_T5_mT6_P12ihipStream_tbENKUlT_T0_E_clISt17integral_constantIbLb0EESU_EEDaSP_SQ_EUlSP_E0_NS1_11comp_targetILNS1_3genE10ELNS1_11target_archE1200ELNS1_3gpuE4ELNS1_3repE0EEENS1_30default_config_static_selectorELNS0_4arch9wavefront6targetE1EEEvT1_
	.p2align	8
	.type	_ZN7rocprim17ROCPRIM_400000_NS6detail17trampoline_kernelINS0_14default_configENS1_20scan_config_selectorIxEEZZNS1_9scan_implILNS1_25lookback_scan_determinismE0ELb0ELb1ES3_N6thrust23THRUST_200600_302600_NS6detail15normal_iteratorINS9_10device_ptrIxEEEESE_xNS9_10multipliesIxEExEEDaPvRmT3_T4_T5_mT6_P12ihipStream_tbENKUlT_T0_E_clISt17integral_constantIbLb0EESU_EEDaSP_SQ_EUlSP_E0_NS1_11comp_targetILNS1_3genE10ELNS1_11target_archE1200ELNS1_3gpuE4ELNS1_3repE0EEENS1_30default_config_static_selectorELNS0_4arch9wavefront6targetE1EEEvT1_,@function
_ZN7rocprim17ROCPRIM_400000_NS6detail17trampoline_kernelINS0_14default_configENS1_20scan_config_selectorIxEEZZNS1_9scan_implILNS1_25lookback_scan_determinismE0ELb0ELb1ES3_N6thrust23THRUST_200600_302600_NS6detail15normal_iteratorINS9_10device_ptrIxEEEESE_xNS9_10multipliesIxEExEEDaPvRmT3_T4_T5_mT6_P12ihipStream_tbENKUlT_T0_E_clISt17integral_constantIbLb0EESU_EEDaSP_SQ_EUlSP_E0_NS1_11comp_targetILNS1_3genE10ELNS1_11target_archE1200ELNS1_3gpuE4ELNS1_3repE0EEENS1_30default_config_static_selectorELNS0_4arch9wavefront6targetE1EEEvT1_: ; @_ZN7rocprim17ROCPRIM_400000_NS6detail17trampoline_kernelINS0_14default_configENS1_20scan_config_selectorIxEEZZNS1_9scan_implILNS1_25lookback_scan_determinismE0ELb0ELb1ES3_N6thrust23THRUST_200600_302600_NS6detail15normal_iteratorINS9_10device_ptrIxEEEESE_xNS9_10multipliesIxEExEEDaPvRmT3_T4_T5_mT6_P12ihipStream_tbENKUlT_T0_E_clISt17integral_constantIbLb0EESU_EEDaSP_SQ_EUlSP_E0_NS1_11comp_targetILNS1_3genE10ELNS1_11target_archE1200ELNS1_3gpuE4ELNS1_3repE0EEENS1_30default_config_static_selectorELNS0_4arch9wavefront6targetE1EEEvT1_
; %bb.0:
	.section	.rodata,"a",@progbits
	.p2align	6, 0x0
	.amdhsa_kernel _ZN7rocprim17ROCPRIM_400000_NS6detail17trampoline_kernelINS0_14default_configENS1_20scan_config_selectorIxEEZZNS1_9scan_implILNS1_25lookback_scan_determinismE0ELb0ELb1ES3_N6thrust23THRUST_200600_302600_NS6detail15normal_iteratorINS9_10device_ptrIxEEEESE_xNS9_10multipliesIxEExEEDaPvRmT3_T4_T5_mT6_P12ihipStream_tbENKUlT_T0_E_clISt17integral_constantIbLb0EESU_EEDaSP_SQ_EUlSP_E0_NS1_11comp_targetILNS1_3genE10ELNS1_11target_archE1200ELNS1_3gpuE4ELNS1_3repE0EEENS1_30default_config_static_selectorELNS0_4arch9wavefront6targetE1EEEvT1_
		.amdhsa_group_segment_fixed_size 0
		.amdhsa_private_segment_fixed_size 0
		.amdhsa_kernarg_size 40
		.amdhsa_user_sgpr_count 6
		.amdhsa_user_sgpr_private_segment_buffer 1
		.amdhsa_user_sgpr_dispatch_ptr 0
		.amdhsa_user_sgpr_queue_ptr 0
		.amdhsa_user_sgpr_kernarg_segment_ptr 1
		.amdhsa_user_sgpr_dispatch_id 0
		.amdhsa_user_sgpr_flat_scratch_init 0
		.amdhsa_user_sgpr_kernarg_preload_length 0
		.amdhsa_user_sgpr_kernarg_preload_offset 0
		.amdhsa_user_sgpr_private_segment_size 0
		.amdhsa_uses_dynamic_stack 0
		.amdhsa_system_sgpr_private_segment_wavefront_offset 0
		.amdhsa_system_sgpr_workgroup_id_x 1
		.amdhsa_system_sgpr_workgroup_id_y 0
		.amdhsa_system_sgpr_workgroup_id_z 0
		.amdhsa_system_sgpr_workgroup_info 0
		.amdhsa_system_vgpr_workitem_id 0
		.amdhsa_next_free_vgpr 1
		.amdhsa_next_free_sgpr 0
		.amdhsa_accum_offset 4
		.amdhsa_reserve_vcc 0
		.amdhsa_reserve_flat_scratch 0
		.amdhsa_float_round_mode_32 0
		.amdhsa_float_round_mode_16_64 0
		.amdhsa_float_denorm_mode_32 3
		.amdhsa_float_denorm_mode_16_64 3
		.amdhsa_dx10_clamp 1
		.amdhsa_ieee_mode 1
		.amdhsa_fp16_overflow 0
		.amdhsa_tg_split 0
		.amdhsa_exception_fp_ieee_invalid_op 0
		.amdhsa_exception_fp_denorm_src 0
		.amdhsa_exception_fp_ieee_div_zero 0
		.amdhsa_exception_fp_ieee_overflow 0
		.amdhsa_exception_fp_ieee_underflow 0
		.amdhsa_exception_fp_ieee_inexact 0
		.amdhsa_exception_int_div_zero 0
	.end_amdhsa_kernel
	.section	.text._ZN7rocprim17ROCPRIM_400000_NS6detail17trampoline_kernelINS0_14default_configENS1_20scan_config_selectorIxEEZZNS1_9scan_implILNS1_25lookback_scan_determinismE0ELb0ELb1ES3_N6thrust23THRUST_200600_302600_NS6detail15normal_iteratorINS9_10device_ptrIxEEEESE_xNS9_10multipliesIxEExEEDaPvRmT3_T4_T5_mT6_P12ihipStream_tbENKUlT_T0_E_clISt17integral_constantIbLb0EESU_EEDaSP_SQ_EUlSP_E0_NS1_11comp_targetILNS1_3genE10ELNS1_11target_archE1200ELNS1_3gpuE4ELNS1_3repE0EEENS1_30default_config_static_selectorELNS0_4arch9wavefront6targetE1EEEvT1_,"axG",@progbits,_ZN7rocprim17ROCPRIM_400000_NS6detail17trampoline_kernelINS0_14default_configENS1_20scan_config_selectorIxEEZZNS1_9scan_implILNS1_25lookback_scan_determinismE0ELb0ELb1ES3_N6thrust23THRUST_200600_302600_NS6detail15normal_iteratorINS9_10device_ptrIxEEEESE_xNS9_10multipliesIxEExEEDaPvRmT3_T4_T5_mT6_P12ihipStream_tbENKUlT_T0_E_clISt17integral_constantIbLb0EESU_EEDaSP_SQ_EUlSP_E0_NS1_11comp_targetILNS1_3genE10ELNS1_11target_archE1200ELNS1_3gpuE4ELNS1_3repE0EEENS1_30default_config_static_selectorELNS0_4arch9wavefront6targetE1EEEvT1_,comdat
.Lfunc_end285:
	.size	_ZN7rocprim17ROCPRIM_400000_NS6detail17trampoline_kernelINS0_14default_configENS1_20scan_config_selectorIxEEZZNS1_9scan_implILNS1_25lookback_scan_determinismE0ELb0ELb1ES3_N6thrust23THRUST_200600_302600_NS6detail15normal_iteratorINS9_10device_ptrIxEEEESE_xNS9_10multipliesIxEExEEDaPvRmT3_T4_T5_mT6_P12ihipStream_tbENKUlT_T0_E_clISt17integral_constantIbLb0EESU_EEDaSP_SQ_EUlSP_E0_NS1_11comp_targetILNS1_3genE10ELNS1_11target_archE1200ELNS1_3gpuE4ELNS1_3repE0EEENS1_30default_config_static_selectorELNS0_4arch9wavefront6targetE1EEEvT1_, .Lfunc_end285-_ZN7rocprim17ROCPRIM_400000_NS6detail17trampoline_kernelINS0_14default_configENS1_20scan_config_selectorIxEEZZNS1_9scan_implILNS1_25lookback_scan_determinismE0ELb0ELb1ES3_N6thrust23THRUST_200600_302600_NS6detail15normal_iteratorINS9_10device_ptrIxEEEESE_xNS9_10multipliesIxEExEEDaPvRmT3_T4_T5_mT6_P12ihipStream_tbENKUlT_T0_E_clISt17integral_constantIbLb0EESU_EEDaSP_SQ_EUlSP_E0_NS1_11comp_targetILNS1_3genE10ELNS1_11target_archE1200ELNS1_3gpuE4ELNS1_3repE0EEENS1_30default_config_static_selectorELNS0_4arch9wavefront6targetE1EEEvT1_
                                        ; -- End function
	.section	.AMDGPU.csdata,"",@progbits
; Kernel info:
; codeLenInByte = 0
; NumSgprs: 4
; NumVgprs: 0
; NumAgprs: 0
; TotalNumVgprs: 0
; ScratchSize: 0
; MemoryBound: 0
; FloatMode: 240
; IeeeMode: 1
; LDSByteSize: 0 bytes/workgroup (compile time only)
; SGPRBlocks: 0
; VGPRBlocks: 0
; NumSGPRsForWavesPerEU: 4
; NumVGPRsForWavesPerEU: 1
; AccumOffset: 4
; Occupancy: 8
; WaveLimiterHint : 0
; COMPUTE_PGM_RSRC2:SCRATCH_EN: 0
; COMPUTE_PGM_RSRC2:USER_SGPR: 6
; COMPUTE_PGM_RSRC2:TRAP_HANDLER: 0
; COMPUTE_PGM_RSRC2:TGID_X_EN: 1
; COMPUTE_PGM_RSRC2:TGID_Y_EN: 0
; COMPUTE_PGM_RSRC2:TGID_Z_EN: 0
; COMPUTE_PGM_RSRC2:TIDIG_COMP_CNT: 0
; COMPUTE_PGM_RSRC3_GFX90A:ACCUM_OFFSET: 0
; COMPUTE_PGM_RSRC3_GFX90A:TG_SPLIT: 0
	.section	.text._ZN7rocprim17ROCPRIM_400000_NS6detail17trampoline_kernelINS0_14default_configENS1_20scan_config_selectorIxEEZZNS1_9scan_implILNS1_25lookback_scan_determinismE0ELb0ELb1ES3_N6thrust23THRUST_200600_302600_NS6detail15normal_iteratorINS9_10device_ptrIxEEEESE_xNS9_10multipliesIxEExEEDaPvRmT3_T4_T5_mT6_P12ihipStream_tbENKUlT_T0_E_clISt17integral_constantIbLb0EESU_EEDaSP_SQ_EUlSP_E0_NS1_11comp_targetILNS1_3genE9ELNS1_11target_archE1100ELNS1_3gpuE3ELNS1_3repE0EEENS1_30default_config_static_selectorELNS0_4arch9wavefront6targetE1EEEvT1_,"axG",@progbits,_ZN7rocprim17ROCPRIM_400000_NS6detail17trampoline_kernelINS0_14default_configENS1_20scan_config_selectorIxEEZZNS1_9scan_implILNS1_25lookback_scan_determinismE0ELb0ELb1ES3_N6thrust23THRUST_200600_302600_NS6detail15normal_iteratorINS9_10device_ptrIxEEEESE_xNS9_10multipliesIxEExEEDaPvRmT3_T4_T5_mT6_P12ihipStream_tbENKUlT_T0_E_clISt17integral_constantIbLb0EESU_EEDaSP_SQ_EUlSP_E0_NS1_11comp_targetILNS1_3genE9ELNS1_11target_archE1100ELNS1_3gpuE3ELNS1_3repE0EEENS1_30default_config_static_selectorELNS0_4arch9wavefront6targetE1EEEvT1_,comdat
	.protected	_ZN7rocprim17ROCPRIM_400000_NS6detail17trampoline_kernelINS0_14default_configENS1_20scan_config_selectorIxEEZZNS1_9scan_implILNS1_25lookback_scan_determinismE0ELb0ELb1ES3_N6thrust23THRUST_200600_302600_NS6detail15normal_iteratorINS9_10device_ptrIxEEEESE_xNS9_10multipliesIxEExEEDaPvRmT3_T4_T5_mT6_P12ihipStream_tbENKUlT_T0_E_clISt17integral_constantIbLb0EESU_EEDaSP_SQ_EUlSP_E0_NS1_11comp_targetILNS1_3genE9ELNS1_11target_archE1100ELNS1_3gpuE3ELNS1_3repE0EEENS1_30default_config_static_selectorELNS0_4arch9wavefront6targetE1EEEvT1_ ; -- Begin function _ZN7rocprim17ROCPRIM_400000_NS6detail17trampoline_kernelINS0_14default_configENS1_20scan_config_selectorIxEEZZNS1_9scan_implILNS1_25lookback_scan_determinismE0ELb0ELb1ES3_N6thrust23THRUST_200600_302600_NS6detail15normal_iteratorINS9_10device_ptrIxEEEESE_xNS9_10multipliesIxEExEEDaPvRmT3_T4_T5_mT6_P12ihipStream_tbENKUlT_T0_E_clISt17integral_constantIbLb0EESU_EEDaSP_SQ_EUlSP_E0_NS1_11comp_targetILNS1_3genE9ELNS1_11target_archE1100ELNS1_3gpuE3ELNS1_3repE0EEENS1_30default_config_static_selectorELNS0_4arch9wavefront6targetE1EEEvT1_
	.globl	_ZN7rocprim17ROCPRIM_400000_NS6detail17trampoline_kernelINS0_14default_configENS1_20scan_config_selectorIxEEZZNS1_9scan_implILNS1_25lookback_scan_determinismE0ELb0ELb1ES3_N6thrust23THRUST_200600_302600_NS6detail15normal_iteratorINS9_10device_ptrIxEEEESE_xNS9_10multipliesIxEExEEDaPvRmT3_T4_T5_mT6_P12ihipStream_tbENKUlT_T0_E_clISt17integral_constantIbLb0EESU_EEDaSP_SQ_EUlSP_E0_NS1_11comp_targetILNS1_3genE9ELNS1_11target_archE1100ELNS1_3gpuE3ELNS1_3repE0EEENS1_30default_config_static_selectorELNS0_4arch9wavefront6targetE1EEEvT1_
	.p2align	8
	.type	_ZN7rocprim17ROCPRIM_400000_NS6detail17trampoline_kernelINS0_14default_configENS1_20scan_config_selectorIxEEZZNS1_9scan_implILNS1_25lookback_scan_determinismE0ELb0ELb1ES3_N6thrust23THRUST_200600_302600_NS6detail15normal_iteratorINS9_10device_ptrIxEEEESE_xNS9_10multipliesIxEExEEDaPvRmT3_T4_T5_mT6_P12ihipStream_tbENKUlT_T0_E_clISt17integral_constantIbLb0EESU_EEDaSP_SQ_EUlSP_E0_NS1_11comp_targetILNS1_3genE9ELNS1_11target_archE1100ELNS1_3gpuE3ELNS1_3repE0EEENS1_30default_config_static_selectorELNS0_4arch9wavefront6targetE1EEEvT1_,@function
_ZN7rocprim17ROCPRIM_400000_NS6detail17trampoline_kernelINS0_14default_configENS1_20scan_config_selectorIxEEZZNS1_9scan_implILNS1_25lookback_scan_determinismE0ELb0ELb1ES3_N6thrust23THRUST_200600_302600_NS6detail15normal_iteratorINS9_10device_ptrIxEEEESE_xNS9_10multipliesIxEExEEDaPvRmT3_T4_T5_mT6_P12ihipStream_tbENKUlT_T0_E_clISt17integral_constantIbLb0EESU_EEDaSP_SQ_EUlSP_E0_NS1_11comp_targetILNS1_3genE9ELNS1_11target_archE1100ELNS1_3gpuE3ELNS1_3repE0EEENS1_30default_config_static_selectorELNS0_4arch9wavefront6targetE1EEEvT1_: ; @_ZN7rocprim17ROCPRIM_400000_NS6detail17trampoline_kernelINS0_14default_configENS1_20scan_config_selectorIxEEZZNS1_9scan_implILNS1_25lookback_scan_determinismE0ELb0ELb1ES3_N6thrust23THRUST_200600_302600_NS6detail15normal_iteratorINS9_10device_ptrIxEEEESE_xNS9_10multipliesIxEExEEDaPvRmT3_T4_T5_mT6_P12ihipStream_tbENKUlT_T0_E_clISt17integral_constantIbLb0EESU_EEDaSP_SQ_EUlSP_E0_NS1_11comp_targetILNS1_3genE9ELNS1_11target_archE1100ELNS1_3gpuE3ELNS1_3repE0EEENS1_30default_config_static_selectorELNS0_4arch9wavefront6targetE1EEEvT1_
; %bb.0:
	.section	.rodata,"a",@progbits
	.p2align	6, 0x0
	.amdhsa_kernel _ZN7rocprim17ROCPRIM_400000_NS6detail17trampoline_kernelINS0_14default_configENS1_20scan_config_selectorIxEEZZNS1_9scan_implILNS1_25lookback_scan_determinismE0ELb0ELb1ES3_N6thrust23THRUST_200600_302600_NS6detail15normal_iteratorINS9_10device_ptrIxEEEESE_xNS9_10multipliesIxEExEEDaPvRmT3_T4_T5_mT6_P12ihipStream_tbENKUlT_T0_E_clISt17integral_constantIbLb0EESU_EEDaSP_SQ_EUlSP_E0_NS1_11comp_targetILNS1_3genE9ELNS1_11target_archE1100ELNS1_3gpuE3ELNS1_3repE0EEENS1_30default_config_static_selectorELNS0_4arch9wavefront6targetE1EEEvT1_
		.amdhsa_group_segment_fixed_size 0
		.amdhsa_private_segment_fixed_size 0
		.amdhsa_kernarg_size 40
		.amdhsa_user_sgpr_count 6
		.amdhsa_user_sgpr_private_segment_buffer 1
		.amdhsa_user_sgpr_dispatch_ptr 0
		.amdhsa_user_sgpr_queue_ptr 0
		.amdhsa_user_sgpr_kernarg_segment_ptr 1
		.amdhsa_user_sgpr_dispatch_id 0
		.amdhsa_user_sgpr_flat_scratch_init 0
		.amdhsa_user_sgpr_kernarg_preload_length 0
		.amdhsa_user_sgpr_kernarg_preload_offset 0
		.amdhsa_user_sgpr_private_segment_size 0
		.amdhsa_uses_dynamic_stack 0
		.amdhsa_system_sgpr_private_segment_wavefront_offset 0
		.amdhsa_system_sgpr_workgroup_id_x 1
		.amdhsa_system_sgpr_workgroup_id_y 0
		.amdhsa_system_sgpr_workgroup_id_z 0
		.amdhsa_system_sgpr_workgroup_info 0
		.amdhsa_system_vgpr_workitem_id 0
		.amdhsa_next_free_vgpr 1
		.amdhsa_next_free_sgpr 0
		.amdhsa_accum_offset 4
		.amdhsa_reserve_vcc 0
		.amdhsa_reserve_flat_scratch 0
		.amdhsa_float_round_mode_32 0
		.amdhsa_float_round_mode_16_64 0
		.amdhsa_float_denorm_mode_32 3
		.amdhsa_float_denorm_mode_16_64 3
		.amdhsa_dx10_clamp 1
		.amdhsa_ieee_mode 1
		.amdhsa_fp16_overflow 0
		.amdhsa_tg_split 0
		.amdhsa_exception_fp_ieee_invalid_op 0
		.amdhsa_exception_fp_denorm_src 0
		.amdhsa_exception_fp_ieee_div_zero 0
		.amdhsa_exception_fp_ieee_overflow 0
		.amdhsa_exception_fp_ieee_underflow 0
		.amdhsa_exception_fp_ieee_inexact 0
		.amdhsa_exception_int_div_zero 0
	.end_amdhsa_kernel
	.section	.text._ZN7rocprim17ROCPRIM_400000_NS6detail17trampoline_kernelINS0_14default_configENS1_20scan_config_selectorIxEEZZNS1_9scan_implILNS1_25lookback_scan_determinismE0ELb0ELb1ES3_N6thrust23THRUST_200600_302600_NS6detail15normal_iteratorINS9_10device_ptrIxEEEESE_xNS9_10multipliesIxEExEEDaPvRmT3_T4_T5_mT6_P12ihipStream_tbENKUlT_T0_E_clISt17integral_constantIbLb0EESU_EEDaSP_SQ_EUlSP_E0_NS1_11comp_targetILNS1_3genE9ELNS1_11target_archE1100ELNS1_3gpuE3ELNS1_3repE0EEENS1_30default_config_static_selectorELNS0_4arch9wavefront6targetE1EEEvT1_,"axG",@progbits,_ZN7rocprim17ROCPRIM_400000_NS6detail17trampoline_kernelINS0_14default_configENS1_20scan_config_selectorIxEEZZNS1_9scan_implILNS1_25lookback_scan_determinismE0ELb0ELb1ES3_N6thrust23THRUST_200600_302600_NS6detail15normal_iteratorINS9_10device_ptrIxEEEESE_xNS9_10multipliesIxEExEEDaPvRmT3_T4_T5_mT6_P12ihipStream_tbENKUlT_T0_E_clISt17integral_constantIbLb0EESU_EEDaSP_SQ_EUlSP_E0_NS1_11comp_targetILNS1_3genE9ELNS1_11target_archE1100ELNS1_3gpuE3ELNS1_3repE0EEENS1_30default_config_static_selectorELNS0_4arch9wavefront6targetE1EEEvT1_,comdat
.Lfunc_end286:
	.size	_ZN7rocprim17ROCPRIM_400000_NS6detail17trampoline_kernelINS0_14default_configENS1_20scan_config_selectorIxEEZZNS1_9scan_implILNS1_25lookback_scan_determinismE0ELb0ELb1ES3_N6thrust23THRUST_200600_302600_NS6detail15normal_iteratorINS9_10device_ptrIxEEEESE_xNS9_10multipliesIxEExEEDaPvRmT3_T4_T5_mT6_P12ihipStream_tbENKUlT_T0_E_clISt17integral_constantIbLb0EESU_EEDaSP_SQ_EUlSP_E0_NS1_11comp_targetILNS1_3genE9ELNS1_11target_archE1100ELNS1_3gpuE3ELNS1_3repE0EEENS1_30default_config_static_selectorELNS0_4arch9wavefront6targetE1EEEvT1_, .Lfunc_end286-_ZN7rocprim17ROCPRIM_400000_NS6detail17trampoline_kernelINS0_14default_configENS1_20scan_config_selectorIxEEZZNS1_9scan_implILNS1_25lookback_scan_determinismE0ELb0ELb1ES3_N6thrust23THRUST_200600_302600_NS6detail15normal_iteratorINS9_10device_ptrIxEEEESE_xNS9_10multipliesIxEExEEDaPvRmT3_T4_T5_mT6_P12ihipStream_tbENKUlT_T0_E_clISt17integral_constantIbLb0EESU_EEDaSP_SQ_EUlSP_E0_NS1_11comp_targetILNS1_3genE9ELNS1_11target_archE1100ELNS1_3gpuE3ELNS1_3repE0EEENS1_30default_config_static_selectorELNS0_4arch9wavefront6targetE1EEEvT1_
                                        ; -- End function
	.section	.AMDGPU.csdata,"",@progbits
; Kernel info:
; codeLenInByte = 0
; NumSgprs: 4
; NumVgprs: 0
; NumAgprs: 0
; TotalNumVgprs: 0
; ScratchSize: 0
; MemoryBound: 0
; FloatMode: 240
; IeeeMode: 1
; LDSByteSize: 0 bytes/workgroup (compile time only)
; SGPRBlocks: 0
; VGPRBlocks: 0
; NumSGPRsForWavesPerEU: 4
; NumVGPRsForWavesPerEU: 1
; AccumOffset: 4
; Occupancy: 8
; WaveLimiterHint : 0
; COMPUTE_PGM_RSRC2:SCRATCH_EN: 0
; COMPUTE_PGM_RSRC2:USER_SGPR: 6
; COMPUTE_PGM_RSRC2:TRAP_HANDLER: 0
; COMPUTE_PGM_RSRC2:TGID_X_EN: 1
; COMPUTE_PGM_RSRC2:TGID_Y_EN: 0
; COMPUTE_PGM_RSRC2:TGID_Z_EN: 0
; COMPUTE_PGM_RSRC2:TIDIG_COMP_CNT: 0
; COMPUTE_PGM_RSRC3_GFX90A:ACCUM_OFFSET: 0
; COMPUTE_PGM_RSRC3_GFX90A:TG_SPLIT: 0
	.section	.text._ZN7rocprim17ROCPRIM_400000_NS6detail17trampoline_kernelINS0_14default_configENS1_20scan_config_selectorIxEEZZNS1_9scan_implILNS1_25lookback_scan_determinismE0ELb0ELb1ES3_N6thrust23THRUST_200600_302600_NS6detail15normal_iteratorINS9_10device_ptrIxEEEESE_xNS9_10multipliesIxEExEEDaPvRmT3_T4_T5_mT6_P12ihipStream_tbENKUlT_T0_E_clISt17integral_constantIbLb0EESU_EEDaSP_SQ_EUlSP_E0_NS1_11comp_targetILNS1_3genE8ELNS1_11target_archE1030ELNS1_3gpuE2ELNS1_3repE0EEENS1_30default_config_static_selectorELNS0_4arch9wavefront6targetE1EEEvT1_,"axG",@progbits,_ZN7rocprim17ROCPRIM_400000_NS6detail17trampoline_kernelINS0_14default_configENS1_20scan_config_selectorIxEEZZNS1_9scan_implILNS1_25lookback_scan_determinismE0ELb0ELb1ES3_N6thrust23THRUST_200600_302600_NS6detail15normal_iteratorINS9_10device_ptrIxEEEESE_xNS9_10multipliesIxEExEEDaPvRmT3_T4_T5_mT6_P12ihipStream_tbENKUlT_T0_E_clISt17integral_constantIbLb0EESU_EEDaSP_SQ_EUlSP_E0_NS1_11comp_targetILNS1_3genE8ELNS1_11target_archE1030ELNS1_3gpuE2ELNS1_3repE0EEENS1_30default_config_static_selectorELNS0_4arch9wavefront6targetE1EEEvT1_,comdat
	.protected	_ZN7rocprim17ROCPRIM_400000_NS6detail17trampoline_kernelINS0_14default_configENS1_20scan_config_selectorIxEEZZNS1_9scan_implILNS1_25lookback_scan_determinismE0ELb0ELb1ES3_N6thrust23THRUST_200600_302600_NS6detail15normal_iteratorINS9_10device_ptrIxEEEESE_xNS9_10multipliesIxEExEEDaPvRmT3_T4_T5_mT6_P12ihipStream_tbENKUlT_T0_E_clISt17integral_constantIbLb0EESU_EEDaSP_SQ_EUlSP_E0_NS1_11comp_targetILNS1_3genE8ELNS1_11target_archE1030ELNS1_3gpuE2ELNS1_3repE0EEENS1_30default_config_static_selectorELNS0_4arch9wavefront6targetE1EEEvT1_ ; -- Begin function _ZN7rocprim17ROCPRIM_400000_NS6detail17trampoline_kernelINS0_14default_configENS1_20scan_config_selectorIxEEZZNS1_9scan_implILNS1_25lookback_scan_determinismE0ELb0ELb1ES3_N6thrust23THRUST_200600_302600_NS6detail15normal_iteratorINS9_10device_ptrIxEEEESE_xNS9_10multipliesIxEExEEDaPvRmT3_T4_T5_mT6_P12ihipStream_tbENKUlT_T0_E_clISt17integral_constantIbLb0EESU_EEDaSP_SQ_EUlSP_E0_NS1_11comp_targetILNS1_3genE8ELNS1_11target_archE1030ELNS1_3gpuE2ELNS1_3repE0EEENS1_30default_config_static_selectorELNS0_4arch9wavefront6targetE1EEEvT1_
	.globl	_ZN7rocprim17ROCPRIM_400000_NS6detail17trampoline_kernelINS0_14default_configENS1_20scan_config_selectorIxEEZZNS1_9scan_implILNS1_25lookback_scan_determinismE0ELb0ELb1ES3_N6thrust23THRUST_200600_302600_NS6detail15normal_iteratorINS9_10device_ptrIxEEEESE_xNS9_10multipliesIxEExEEDaPvRmT3_T4_T5_mT6_P12ihipStream_tbENKUlT_T0_E_clISt17integral_constantIbLb0EESU_EEDaSP_SQ_EUlSP_E0_NS1_11comp_targetILNS1_3genE8ELNS1_11target_archE1030ELNS1_3gpuE2ELNS1_3repE0EEENS1_30default_config_static_selectorELNS0_4arch9wavefront6targetE1EEEvT1_
	.p2align	8
	.type	_ZN7rocprim17ROCPRIM_400000_NS6detail17trampoline_kernelINS0_14default_configENS1_20scan_config_selectorIxEEZZNS1_9scan_implILNS1_25lookback_scan_determinismE0ELb0ELb1ES3_N6thrust23THRUST_200600_302600_NS6detail15normal_iteratorINS9_10device_ptrIxEEEESE_xNS9_10multipliesIxEExEEDaPvRmT3_T4_T5_mT6_P12ihipStream_tbENKUlT_T0_E_clISt17integral_constantIbLb0EESU_EEDaSP_SQ_EUlSP_E0_NS1_11comp_targetILNS1_3genE8ELNS1_11target_archE1030ELNS1_3gpuE2ELNS1_3repE0EEENS1_30default_config_static_selectorELNS0_4arch9wavefront6targetE1EEEvT1_,@function
_ZN7rocprim17ROCPRIM_400000_NS6detail17trampoline_kernelINS0_14default_configENS1_20scan_config_selectorIxEEZZNS1_9scan_implILNS1_25lookback_scan_determinismE0ELb0ELb1ES3_N6thrust23THRUST_200600_302600_NS6detail15normal_iteratorINS9_10device_ptrIxEEEESE_xNS9_10multipliesIxEExEEDaPvRmT3_T4_T5_mT6_P12ihipStream_tbENKUlT_T0_E_clISt17integral_constantIbLb0EESU_EEDaSP_SQ_EUlSP_E0_NS1_11comp_targetILNS1_3genE8ELNS1_11target_archE1030ELNS1_3gpuE2ELNS1_3repE0EEENS1_30default_config_static_selectorELNS0_4arch9wavefront6targetE1EEEvT1_: ; @_ZN7rocprim17ROCPRIM_400000_NS6detail17trampoline_kernelINS0_14default_configENS1_20scan_config_selectorIxEEZZNS1_9scan_implILNS1_25lookback_scan_determinismE0ELb0ELb1ES3_N6thrust23THRUST_200600_302600_NS6detail15normal_iteratorINS9_10device_ptrIxEEEESE_xNS9_10multipliesIxEExEEDaPvRmT3_T4_T5_mT6_P12ihipStream_tbENKUlT_T0_E_clISt17integral_constantIbLb0EESU_EEDaSP_SQ_EUlSP_E0_NS1_11comp_targetILNS1_3genE8ELNS1_11target_archE1030ELNS1_3gpuE2ELNS1_3repE0EEENS1_30default_config_static_selectorELNS0_4arch9wavefront6targetE1EEEvT1_
; %bb.0:
	.section	.rodata,"a",@progbits
	.p2align	6, 0x0
	.amdhsa_kernel _ZN7rocprim17ROCPRIM_400000_NS6detail17trampoline_kernelINS0_14default_configENS1_20scan_config_selectorIxEEZZNS1_9scan_implILNS1_25lookback_scan_determinismE0ELb0ELb1ES3_N6thrust23THRUST_200600_302600_NS6detail15normal_iteratorINS9_10device_ptrIxEEEESE_xNS9_10multipliesIxEExEEDaPvRmT3_T4_T5_mT6_P12ihipStream_tbENKUlT_T0_E_clISt17integral_constantIbLb0EESU_EEDaSP_SQ_EUlSP_E0_NS1_11comp_targetILNS1_3genE8ELNS1_11target_archE1030ELNS1_3gpuE2ELNS1_3repE0EEENS1_30default_config_static_selectorELNS0_4arch9wavefront6targetE1EEEvT1_
		.amdhsa_group_segment_fixed_size 0
		.amdhsa_private_segment_fixed_size 0
		.amdhsa_kernarg_size 40
		.amdhsa_user_sgpr_count 6
		.amdhsa_user_sgpr_private_segment_buffer 1
		.amdhsa_user_sgpr_dispatch_ptr 0
		.amdhsa_user_sgpr_queue_ptr 0
		.amdhsa_user_sgpr_kernarg_segment_ptr 1
		.amdhsa_user_sgpr_dispatch_id 0
		.amdhsa_user_sgpr_flat_scratch_init 0
		.amdhsa_user_sgpr_kernarg_preload_length 0
		.amdhsa_user_sgpr_kernarg_preload_offset 0
		.amdhsa_user_sgpr_private_segment_size 0
		.amdhsa_uses_dynamic_stack 0
		.amdhsa_system_sgpr_private_segment_wavefront_offset 0
		.amdhsa_system_sgpr_workgroup_id_x 1
		.amdhsa_system_sgpr_workgroup_id_y 0
		.amdhsa_system_sgpr_workgroup_id_z 0
		.amdhsa_system_sgpr_workgroup_info 0
		.amdhsa_system_vgpr_workitem_id 0
		.amdhsa_next_free_vgpr 1
		.amdhsa_next_free_sgpr 0
		.amdhsa_accum_offset 4
		.amdhsa_reserve_vcc 0
		.amdhsa_reserve_flat_scratch 0
		.amdhsa_float_round_mode_32 0
		.amdhsa_float_round_mode_16_64 0
		.amdhsa_float_denorm_mode_32 3
		.amdhsa_float_denorm_mode_16_64 3
		.amdhsa_dx10_clamp 1
		.amdhsa_ieee_mode 1
		.amdhsa_fp16_overflow 0
		.amdhsa_tg_split 0
		.amdhsa_exception_fp_ieee_invalid_op 0
		.amdhsa_exception_fp_denorm_src 0
		.amdhsa_exception_fp_ieee_div_zero 0
		.amdhsa_exception_fp_ieee_overflow 0
		.amdhsa_exception_fp_ieee_underflow 0
		.amdhsa_exception_fp_ieee_inexact 0
		.amdhsa_exception_int_div_zero 0
	.end_amdhsa_kernel
	.section	.text._ZN7rocprim17ROCPRIM_400000_NS6detail17trampoline_kernelINS0_14default_configENS1_20scan_config_selectorIxEEZZNS1_9scan_implILNS1_25lookback_scan_determinismE0ELb0ELb1ES3_N6thrust23THRUST_200600_302600_NS6detail15normal_iteratorINS9_10device_ptrIxEEEESE_xNS9_10multipliesIxEExEEDaPvRmT3_T4_T5_mT6_P12ihipStream_tbENKUlT_T0_E_clISt17integral_constantIbLb0EESU_EEDaSP_SQ_EUlSP_E0_NS1_11comp_targetILNS1_3genE8ELNS1_11target_archE1030ELNS1_3gpuE2ELNS1_3repE0EEENS1_30default_config_static_selectorELNS0_4arch9wavefront6targetE1EEEvT1_,"axG",@progbits,_ZN7rocprim17ROCPRIM_400000_NS6detail17trampoline_kernelINS0_14default_configENS1_20scan_config_selectorIxEEZZNS1_9scan_implILNS1_25lookback_scan_determinismE0ELb0ELb1ES3_N6thrust23THRUST_200600_302600_NS6detail15normal_iteratorINS9_10device_ptrIxEEEESE_xNS9_10multipliesIxEExEEDaPvRmT3_T4_T5_mT6_P12ihipStream_tbENKUlT_T0_E_clISt17integral_constantIbLb0EESU_EEDaSP_SQ_EUlSP_E0_NS1_11comp_targetILNS1_3genE8ELNS1_11target_archE1030ELNS1_3gpuE2ELNS1_3repE0EEENS1_30default_config_static_selectorELNS0_4arch9wavefront6targetE1EEEvT1_,comdat
.Lfunc_end287:
	.size	_ZN7rocprim17ROCPRIM_400000_NS6detail17trampoline_kernelINS0_14default_configENS1_20scan_config_selectorIxEEZZNS1_9scan_implILNS1_25lookback_scan_determinismE0ELb0ELb1ES3_N6thrust23THRUST_200600_302600_NS6detail15normal_iteratorINS9_10device_ptrIxEEEESE_xNS9_10multipliesIxEExEEDaPvRmT3_T4_T5_mT6_P12ihipStream_tbENKUlT_T0_E_clISt17integral_constantIbLb0EESU_EEDaSP_SQ_EUlSP_E0_NS1_11comp_targetILNS1_3genE8ELNS1_11target_archE1030ELNS1_3gpuE2ELNS1_3repE0EEENS1_30default_config_static_selectorELNS0_4arch9wavefront6targetE1EEEvT1_, .Lfunc_end287-_ZN7rocprim17ROCPRIM_400000_NS6detail17trampoline_kernelINS0_14default_configENS1_20scan_config_selectorIxEEZZNS1_9scan_implILNS1_25lookback_scan_determinismE0ELb0ELb1ES3_N6thrust23THRUST_200600_302600_NS6detail15normal_iteratorINS9_10device_ptrIxEEEESE_xNS9_10multipliesIxEExEEDaPvRmT3_T4_T5_mT6_P12ihipStream_tbENKUlT_T0_E_clISt17integral_constantIbLb0EESU_EEDaSP_SQ_EUlSP_E0_NS1_11comp_targetILNS1_3genE8ELNS1_11target_archE1030ELNS1_3gpuE2ELNS1_3repE0EEENS1_30default_config_static_selectorELNS0_4arch9wavefront6targetE1EEEvT1_
                                        ; -- End function
	.section	.AMDGPU.csdata,"",@progbits
; Kernel info:
; codeLenInByte = 0
; NumSgprs: 4
; NumVgprs: 0
; NumAgprs: 0
; TotalNumVgprs: 0
; ScratchSize: 0
; MemoryBound: 0
; FloatMode: 240
; IeeeMode: 1
; LDSByteSize: 0 bytes/workgroup (compile time only)
; SGPRBlocks: 0
; VGPRBlocks: 0
; NumSGPRsForWavesPerEU: 4
; NumVGPRsForWavesPerEU: 1
; AccumOffset: 4
; Occupancy: 8
; WaveLimiterHint : 0
; COMPUTE_PGM_RSRC2:SCRATCH_EN: 0
; COMPUTE_PGM_RSRC2:USER_SGPR: 6
; COMPUTE_PGM_RSRC2:TRAP_HANDLER: 0
; COMPUTE_PGM_RSRC2:TGID_X_EN: 1
; COMPUTE_PGM_RSRC2:TGID_Y_EN: 0
; COMPUTE_PGM_RSRC2:TGID_Z_EN: 0
; COMPUTE_PGM_RSRC2:TIDIG_COMP_CNT: 0
; COMPUTE_PGM_RSRC3_GFX90A:ACCUM_OFFSET: 0
; COMPUTE_PGM_RSRC3_GFX90A:TG_SPLIT: 0
	.section	.text._ZN7rocprim17ROCPRIM_400000_NS6detail17trampoline_kernelINS0_14default_configENS1_20scan_config_selectorIxEEZZNS1_9scan_implILNS1_25lookback_scan_determinismE0ELb0ELb1ES3_N6thrust23THRUST_200600_302600_NS6detail15normal_iteratorINS9_10device_ptrIxEEEESE_xNS9_10multipliesIxEExEEDaPvRmT3_T4_T5_mT6_P12ihipStream_tbENKUlT_T0_E_clISt17integral_constantIbLb1EESU_EEDaSP_SQ_EUlSP_E_NS1_11comp_targetILNS1_3genE0ELNS1_11target_archE4294967295ELNS1_3gpuE0ELNS1_3repE0EEENS1_30default_config_static_selectorELNS0_4arch9wavefront6targetE1EEEvT1_,"axG",@progbits,_ZN7rocprim17ROCPRIM_400000_NS6detail17trampoline_kernelINS0_14default_configENS1_20scan_config_selectorIxEEZZNS1_9scan_implILNS1_25lookback_scan_determinismE0ELb0ELb1ES3_N6thrust23THRUST_200600_302600_NS6detail15normal_iteratorINS9_10device_ptrIxEEEESE_xNS9_10multipliesIxEExEEDaPvRmT3_T4_T5_mT6_P12ihipStream_tbENKUlT_T0_E_clISt17integral_constantIbLb1EESU_EEDaSP_SQ_EUlSP_E_NS1_11comp_targetILNS1_3genE0ELNS1_11target_archE4294967295ELNS1_3gpuE0ELNS1_3repE0EEENS1_30default_config_static_selectorELNS0_4arch9wavefront6targetE1EEEvT1_,comdat
	.protected	_ZN7rocprim17ROCPRIM_400000_NS6detail17trampoline_kernelINS0_14default_configENS1_20scan_config_selectorIxEEZZNS1_9scan_implILNS1_25lookback_scan_determinismE0ELb0ELb1ES3_N6thrust23THRUST_200600_302600_NS6detail15normal_iteratorINS9_10device_ptrIxEEEESE_xNS9_10multipliesIxEExEEDaPvRmT3_T4_T5_mT6_P12ihipStream_tbENKUlT_T0_E_clISt17integral_constantIbLb1EESU_EEDaSP_SQ_EUlSP_E_NS1_11comp_targetILNS1_3genE0ELNS1_11target_archE4294967295ELNS1_3gpuE0ELNS1_3repE0EEENS1_30default_config_static_selectorELNS0_4arch9wavefront6targetE1EEEvT1_ ; -- Begin function _ZN7rocprim17ROCPRIM_400000_NS6detail17trampoline_kernelINS0_14default_configENS1_20scan_config_selectorIxEEZZNS1_9scan_implILNS1_25lookback_scan_determinismE0ELb0ELb1ES3_N6thrust23THRUST_200600_302600_NS6detail15normal_iteratorINS9_10device_ptrIxEEEESE_xNS9_10multipliesIxEExEEDaPvRmT3_T4_T5_mT6_P12ihipStream_tbENKUlT_T0_E_clISt17integral_constantIbLb1EESU_EEDaSP_SQ_EUlSP_E_NS1_11comp_targetILNS1_3genE0ELNS1_11target_archE4294967295ELNS1_3gpuE0ELNS1_3repE0EEENS1_30default_config_static_selectorELNS0_4arch9wavefront6targetE1EEEvT1_
	.globl	_ZN7rocprim17ROCPRIM_400000_NS6detail17trampoline_kernelINS0_14default_configENS1_20scan_config_selectorIxEEZZNS1_9scan_implILNS1_25lookback_scan_determinismE0ELb0ELb1ES3_N6thrust23THRUST_200600_302600_NS6detail15normal_iteratorINS9_10device_ptrIxEEEESE_xNS9_10multipliesIxEExEEDaPvRmT3_T4_T5_mT6_P12ihipStream_tbENKUlT_T0_E_clISt17integral_constantIbLb1EESU_EEDaSP_SQ_EUlSP_E_NS1_11comp_targetILNS1_3genE0ELNS1_11target_archE4294967295ELNS1_3gpuE0ELNS1_3repE0EEENS1_30default_config_static_selectorELNS0_4arch9wavefront6targetE1EEEvT1_
	.p2align	8
	.type	_ZN7rocprim17ROCPRIM_400000_NS6detail17trampoline_kernelINS0_14default_configENS1_20scan_config_selectorIxEEZZNS1_9scan_implILNS1_25lookback_scan_determinismE0ELb0ELb1ES3_N6thrust23THRUST_200600_302600_NS6detail15normal_iteratorINS9_10device_ptrIxEEEESE_xNS9_10multipliesIxEExEEDaPvRmT3_T4_T5_mT6_P12ihipStream_tbENKUlT_T0_E_clISt17integral_constantIbLb1EESU_EEDaSP_SQ_EUlSP_E_NS1_11comp_targetILNS1_3genE0ELNS1_11target_archE4294967295ELNS1_3gpuE0ELNS1_3repE0EEENS1_30default_config_static_selectorELNS0_4arch9wavefront6targetE1EEEvT1_,@function
_ZN7rocprim17ROCPRIM_400000_NS6detail17trampoline_kernelINS0_14default_configENS1_20scan_config_selectorIxEEZZNS1_9scan_implILNS1_25lookback_scan_determinismE0ELb0ELb1ES3_N6thrust23THRUST_200600_302600_NS6detail15normal_iteratorINS9_10device_ptrIxEEEESE_xNS9_10multipliesIxEExEEDaPvRmT3_T4_T5_mT6_P12ihipStream_tbENKUlT_T0_E_clISt17integral_constantIbLb1EESU_EEDaSP_SQ_EUlSP_E_NS1_11comp_targetILNS1_3genE0ELNS1_11target_archE4294967295ELNS1_3gpuE0ELNS1_3repE0EEENS1_30default_config_static_selectorELNS0_4arch9wavefront6targetE1EEEvT1_: ; @_ZN7rocprim17ROCPRIM_400000_NS6detail17trampoline_kernelINS0_14default_configENS1_20scan_config_selectorIxEEZZNS1_9scan_implILNS1_25lookback_scan_determinismE0ELb0ELb1ES3_N6thrust23THRUST_200600_302600_NS6detail15normal_iteratorINS9_10device_ptrIxEEEESE_xNS9_10multipliesIxEExEEDaPvRmT3_T4_T5_mT6_P12ihipStream_tbENKUlT_T0_E_clISt17integral_constantIbLb1EESU_EEDaSP_SQ_EUlSP_E_NS1_11comp_targetILNS1_3genE0ELNS1_11target_archE4294967295ELNS1_3gpuE0ELNS1_3repE0EEENS1_30default_config_static_selectorELNS0_4arch9wavefront6targetE1EEEvT1_
; %bb.0:
	.section	.rodata,"a",@progbits
	.p2align	6, 0x0
	.amdhsa_kernel _ZN7rocprim17ROCPRIM_400000_NS6detail17trampoline_kernelINS0_14default_configENS1_20scan_config_selectorIxEEZZNS1_9scan_implILNS1_25lookback_scan_determinismE0ELb0ELb1ES3_N6thrust23THRUST_200600_302600_NS6detail15normal_iteratorINS9_10device_ptrIxEEEESE_xNS9_10multipliesIxEExEEDaPvRmT3_T4_T5_mT6_P12ihipStream_tbENKUlT_T0_E_clISt17integral_constantIbLb1EESU_EEDaSP_SQ_EUlSP_E_NS1_11comp_targetILNS1_3genE0ELNS1_11target_archE4294967295ELNS1_3gpuE0ELNS1_3repE0EEENS1_30default_config_static_selectorELNS0_4arch9wavefront6targetE1EEEvT1_
		.amdhsa_group_segment_fixed_size 0
		.amdhsa_private_segment_fixed_size 0
		.amdhsa_kernarg_size 104
		.amdhsa_user_sgpr_count 6
		.amdhsa_user_sgpr_private_segment_buffer 1
		.amdhsa_user_sgpr_dispatch_ptr 0
		.amdhsa_user_sgpr_queue_ptr 0
		.amdhsa_user_sgpr_kernarg_segment_ptr 1
		.amdhsa_user_sgpr_dispatch_id 0
		.amdhsa_user_sgpr_flat_scratch_init 0
		.amdhsa_user_sgpr_kernarg_preload_length 0
		.amdhsa_user_sgpr_kernarg_preload_offset 0
		.amdhsa_user_sgpr_private_segment_size 0
		.amdhsa_uses_dynamic_stack 0
		.amdhsa_system_sgpr_private_segment_wavefront_offset 0
		.amdhsa_system_sgpr_workgroup_id_x 1
		.amdhsa_system_sgpr_workgroup_id_y 0
		.amdhsa_system_sgpr_workgroup_id_z 0
		.amdhsa_system_sgpr_workgroup_info 0
		.amdhsa_system_vgpr_workitem_id 0
		.amdhsa_next_free_vgpr 1
		.amdhsa_next_free_sgpr 0
		.amdhsa_accum_offset 4
		.amdhsa_reserve_vcc 0
		.amdhsa_reserve_flat_scratch 0
		.amdhsa_float_round_mode_32 0
		.amdhsa_float_round_mode_16_64 0
		.amdhsa_float_denorm_mode_32 3
		.amdhsa_float_denorm_mode_16_64 3
		.amdhsa_dx10_clamp 1
		.amdhsa_ieee_mode 1
		.amdhsa_fp16_overflow 0
		.amdhsa_tg_split 0
		.amdhsa_exception_fp_ieee_invalid_op 0
		.amdhsa_exception_fp_denorm_src 0
		.amdhsa_exception_fp_ieee_div_zero 0
		.amdhsa_exception_fp_ieee_overflow 0
		.amdhsa_exception_fp_ieee_underflow 0
		.amdhsa_exception_fp_ieee_inexact 0
		.amdhsa_exception_int_div_zero 0
	.end_amdhsa_kernel
	.section	.text._ZN7rocprim17ROCPRIM_400000_NS6detail17trampoline_kernelINS0_14default_configENS1_20scan_config_selectorIxEEZZNS1_9scan_implILNS1_25lookback_scan_determinismE0ELb0ELb1ES3_N6thrust23THRUST_200600_302600_NS6detail15normal_iteratorINS9_10device_ptrIxEEEESE_xNS9_10multipliesIxEExEEDaPvRmT3_T4_T5_mT6_P12ihipStream_tbENKUlT_T0_E_clISt17integral_constantIbLb1EESU_EEDaSP_SQ_EUlSP_E_NS1_11comp_targetILNS1_3genE0ELNS1_11target_archE4294967295ELNS1_3gpuE0ELNS1_3repE0EEENS1_30default_config_static_selectorELNS0_4arch9wavefront6targetE1EEEvT1_,"axG",@progbits,_ZN7rocprim17ROCPRIM_400000_NS6detail17trampoline_kernelINS0_14default_configENS1_20scan_config_selectorIxEEZZNS1_9scan_implILNS1_25lookback_scan_determinismE0ELb0ELb1ES3_N6thrust23THRUST_200600_302600_NS6detail15normal_iteratorINS9_10device_ptrIxEEEESE_xNS9_10multipliesIxEExEEDaPvRmT3_T4_T5_mT6_P12ihipStream_tbENKUlT_T0_E_clISt17integral_constantIbLb1EESU_EEDaSP_SQ_EUlSP_E_NS1_11comp_targetILNS1_3genE0ELNS1_11target_archE4294967295ELNS1_3gpuE0ELNS1_3repE0EEENS1_30default_config_static_selectorELNS0_4arch9wavefront6targetE1EEEvT1_,comdat
.Lfunc_end288:
	.size	_ZN7rocprim17ROCPRIM_400000_NS6detail17trampoline_kernelINS0_14default_configENS1_20scan_config_selectorIxEEZZNS1_9scan_implILNS1_25lookback_scan_determinismE0ELb0ELb1ES3_N6thrust23THRUST_200600_302600_NS6detail15normal_iteratorINS9_10device_ptrIxEEEESE_xNS9_10multipliesIxEExEEDaPvRmT3_T4_T5_mT6_P12ihipStream_tbENKUlT_T0_E_clISt17integral_constantIbLb1EESU_EEDaSP_SQ_EUlSP_E_NS1_11comp_targetILNS1_3genE0ELNS1_11target_archE4294967295ELNS1_3gpuE0ELNS1_3repE0EEENS1_30default_config_static_selectorELNS0_4arch9wavefront6targetE1EEEvT1_, .Lfunc_end288-_ZN7rocprim17ROCPRIM_400000_NS6detail17trampoline_kernelINS0_14default_configENS1_20scan_config_selectorIxEEZZNS1_9scan_implILNS1_25lookback_scan_determinismE0ELb0ELb1ES3_N6thrust23THRUST_200600_302600_NS6detail15normal_iteratorINS9_10device_ptrIxEEEESE_xNS9_10multipliesIxEExEEDaPvRmT3_T4_T5_mT6_P12ihipStream_tbENKUlT_T0_E_clISt17integral_constantIbLb1EESU_EEDaSP_SQ_EUlSP_E_NS1_11comp_targetILNS1_3genE0ELNS1_11target_archE4294967295ELNS1_3gpuE0ELNS1_3repE0EEENS1_30default_config_static_selectorELNS0_4arch9wavefront6targetE1EEEvT1_
                                        ; -- End function
	.section	.AMDGPU.csdata,"",@progbits
; Kernel info:
; codeLenInByte = 0
; NumSgprs: 4
; NumVgprs: 0
; NumAgprs: 0
; TotalNumVgprs: 0
; ScratchSize: 0
; MemoryBound: 0
; FloatMode: 240
; IeeeMode: 1
; LDSByteSize: 0 bytes/workgroup (compile time only)
; SGPRBlocks: 0
; VGPRBlocks: 0
; NumSGPRsForWavesPerEU: 4
; NumVGPRsForWavesPerEU: 1
; AccumOffset: 4
; Occupancy: 8
; WaveLimiterHint : 0
; COMPUTE_PGM_RSRC2:SCRATCH_EN: 0
; COMPUTE_PGM_RSRC2:USER_SGPR: 6
; COMPUTE_PGM_RSRC2:TRAP_HANDLER: 0
; COMPUTE_PGM_RSRC2:TGID_X_EN: 1
; COMPUTE_PGM_RSRC2:TGID_Y_EN: 0
; COMPUTE_PGM_RSRC2:TGID_Z_EN: 0
; COMPUTE_PGM_RSRC2:TIDIG_COMP_CNT: 0
; COMPUTE_PGM_RSRC3_GFX90A:ACCUM_OFFSET: 0
; COMPUTE_PGM_RSRC3_GFX90A:TG_SPLIT: 0
	.section	.text._ZN7rocprim17ROCPRIM_400000_NS6detail17trampoline_kernelINS0_14default_configENS1_20scan_config_selectorIxEEZZNS1_9scan_implILNS1_25lookback_scan_determinismE0ELb0ELb1ES3_N6thrust23THRUST_200600_302600_NS6detail15normal_iteratorINS9_10device_ptrIxEEEESE_xNS9_10multipliesIxEExEEDaPvRmT3_T4_T5_mT6_P12ihipStream_tbENKUlT_T0_E_clISt17integral_constantIbLb1EESU_EEDaSP_SQ_EUlSP_E_NS1_11comp_targetILNS1_3genE5ELNS1_11target_archE942ELNS1_3gpuE9ELNS1_3repE0EEENS1_30default_config_static_selectorELNS0_4arch9wavefront6targetE1EEEvT1_,"axG",@progbits,_ZN7rocprim17ROCPRIM_400000_NS6detail17trampoline_kernelINS0_14default_configENS1_20scan_config_selectorIxEEZZNS1_9scan_implILNS1_25lookback_scan_determinismE0ELb0ELb1ES3_N6thrust23THRUST_200600_302600_NS6detail15normal_iteratorINS9_10device_ptrIxEEEESE_xNS9_10multipliesIxEExEEDaPvRmT3_T4_T5_mT6_P12ihipStream_tbENKUlT_T0_E_clISt17integral_constantIbLb1EESU_EEDaSP_SQ_EUlSP_E_NS1_11comp_targetILNS1_3genE5ELNS1_11target_archE942ELNS1_3gpuE9ELNS1_3repE0EEENS1_30default_config_static_selectorELNS0_4arch9wavefront6targetE1EEEvT1_,comdat
	.protected	_ZN7rocprim17ROCPRIM_400000_NS6detail17trampoline_kernelINS0_14default_configENS1_20scan_config_selectorIxEEZZNS1_9scan_implILNS1_25lookback_scan_determinismE0ELb0ELb1ES3_N6thrust23THRUST_200600_302600_NS6detail15normal_iteratorINS9_10device_ptrIxEEEESE_xNS9_10multipliesIxEExEEDaPvRmT3_T4_T5_mT6_P12ihipStream_tbENKUlT_T0_E_clISt17integral_constantIbLb1EESU_EEDaSP_SQ_EUlSP_E_NS1_11comp_targetILNS1_3genE5ELNS1_11target_archE942ELNS1_3gpuE9ELNS1_3repE0EEENS1_30default_config_static_selectorELNS0_4arch9wavefront6targetE1EEEvT1_ ; -- Begin function _ZN7rocprim17ROCPRIM_400000_NS6detail17trampoline_kernelINS0_14default_configENS1_20scan_config_selectorIxEEZZNS1_9scan_implILNS1_25lookback_scan_determinismE0ELb0ELb1ES3_N6thrust23THRUST_200600_302600_NS6detail15normal_iteratorINS9_10device_ptrIxEEEESE_xNS9_10multipliesIxEExEEDaPvRmT3_T4_T5_mT6_P12ihipStream_tbENKUlT_T0_E_clISt17integral_constantIbLb1EESU_EEDaSP_SQ_EUlSP_E_NS1_11comp_targetILNS1_3genE5ELNS1_11target_archE942ELNS1_3gpuE9ELNS1_3repE0EEENS1_30default_config_static_selectorELNS0_4arch9wavefront6targetE1EEEvT1_
	.globl	_ZN7rocprim17ROCPRIM_400000_NS6detail17trampoline_kernelINS0_14default_configENS1_20scan_config_selectorIxEEZZNS1_9scan_implILNS1_25lookback_scan_determinismE0ELb0ELb1ES3_N6thrust23THRUST_200600_302600_NS6detail15normal_iteratorINS9_10device_ptrIxEEEESE_xNS9_10multipliesIxEExEEDaPvRmT3_T4_T5_mT6_P12ihipStream_tbENKUlT_T0_E_clISt17integral_constantIbLb1EESU_EEDaSP_SQ_EUlSP_E_NS1_11comp_targetILNS1_3genE5ELNS1_11target_archE942ELNS1_3gpuE9ELNS1_3repE0EEENS1_30default_config_static_selectorELNS0_4arch9wavefront6targetE1EEEvT1_
	.p2align	8
	.type	_ZN7rocprim17ROCPRIM_400000_NS6detail17trampoline_kernelINS0_14default_configENS1_20scan_config_selectorIxEEZZNS1_9scan_implILNS1_25lookback_scan_determinismE0ELb0ELb1ES3_N6thrust23THRUST_200600_302600_NS6detail15normal_iteratorINS9_10device_ptrIxEEEESE_xNS9_10multipliesIxEExEEDaPvRmT3_T4_T5_mT6_P12ihipStream_tbENKUlT_T0_E_clISt17integral_constantIbLb1EESU_EEDaSP_SQ_EUlSP_E_NS1_11comp_targetILNS1_3genE5ELNS1_11target_archE942ELNS1_3gpuE9ELNS1_3repE0EEENS1_30default_config_static_selectorELNS0_4arch9wavefront6targetE1EEEvT1_,@function
_ZN7rocprim17ROCPRIM_400000_NS6detail17trampoline_kernelINS0_14default_configENS1_20scan_config_selectorIxEEZZNS1_9scan_implILNS1_25lookback_scan_determinismE0ELb0ELb1ES3_N6thrust23THRUST_200600_302600_NS6detail15normal_iteratorINS9_10device_ptrIxEEEESE_xNS9_10multipliesIxEExEEDaPvRmT3_T4_T5_mT6_P12ihipStream_tbENKUlT_T0_E_clISt17integral_constantIbLb1EESU_EEDaSP_SQ_EUlSP_E_NS1_11comp_targetILNS1_3genE5ELNS1_11target_archE942ELNS1_3gpuE9ELNS1_3repE0EEENS1_30default_config_static_selectorELNS0_4arch9wavefront6targetE1EEEvT1_: ; @_ZN7rocprim17ROCPRIM_400000_NS6detail17trampoline_kernelINS0_14default_configENS1_20scan_config_selectorIxEEZZNS1_9scan_implILNS1_25lookback_scan_determinismE0ELb0ELb1ES3_N6thrust23THRUST_200600_302600_NS6detail15normal_iteratorINS9_10device_ptrIxEEEESE_xNS9_10multipliesIxEExEEDaPvRmT3_T4_T5_mT6_P12ihipStream_tbENKUlT_T0_E_clISt17integral_constantIbLb1EESU_EEDaSP_SQ_EUlSP_E_NS1_11comp_targetILNS1_3genE5ELNS1_11target_archE942ELNS1_3gpuE9ELNS1_3repE0EEENS1_30default_config_static_selectorELNS0_4arch9wavefront6targetE1EEEvT1_
; %bb.0:
	.section	.rodata,"a",@progbits
	.p2align	6, 0x0
	.amdhsa_kernel _ZN7rocprim17ROCPRIM_400000_NS6detail17trampoline_kernelINS0_14default_configENS1_20scan_config_selectorIxEEZZNS1_9scan_implILNS1_25lookback_scan_determinismE0ELb0ELb1ES3_N6thrust23THRUST_200600_302600_NS6detail15normal_iteratorINS9_10device_ptrIxEEEESE_xNS9_10multipliesIxEExEEDaPvRmT3_T4_T5_mT6_P12ihipStream_tbENKUlT_T0_E_clISt17integral_constantIbLb1EESU_EEDaSP_SQ_EUlSP_E_NS1_11comp_targetILNS1_3genE5ELNS1_11target_archE942ELNS1_3gpuE9ELNS1_3repE0EEENS1_30default_config_static_selectorELNS0_4arch9wavefront6targetE1EEEvT1_
		.amdhsa_group_segment_fixed_size 0
		.amdhsa_private_segment_fixed_size 0
		.amdhsa_kernarg_size 104
		.amdhsa_user_sgpr_count 6
		.amdhsa_user_sgpr_private_segment_buffer 1
		.amdhsa_user_sgpr_dispatch_ptr 0
		.amdhsa_user_sgpr_queue_ptr 0
		.amdhsa_user_sgpr_kernarg_segment_ptr 1
		.amdhsa_user_sgpr_dispatch_id 0
		.amdhsa_user_sgpr_flat_scratch_init 0
		.amdhsa_user_sgpr_kernarg_preload_length 0
		.amdhsa_user_sgpr_kernarg_preload_offset 0
		.amdhsa_user_sgpr_private_segment_size 0
		.amdhsa_uses_dynamic_stack 0
		.amdhsa_system_sgpr_private_segment_wavefront_offset 0
		.amdhsa_system_sgpr_workgroup_id_x 1
		.amdhsa_system_sgpr_workgroup_id_y 0
		.amdhsa_system_sgpr_workgroup_id_z 0
		.amdhsa_system_sgpr_workgroup_info 0
		.amdhsa_system_vgpr_workitem_id 0
		.amdhsa_next_free_vgpr 1
		.amdhsa_next_free_sgpr 0
		.amdhsa_accum_offset 4
		.amdhsa_reserve_vcc 0
		.amdhsa_reserve_flat_scratch 0
		.amdhsa_float_round_mode_32 0
		.amdhsa_float_round_mode_16_64 0
		.amdhsa_float_denorm_mode_32 3
		.amdhsa_float_denorm_mode_16_64 3
		.amdhsa_dx10_clamp 1
		.amdhsa_ieee_mode 1
		.amdhsa_fp16_overflow 0
		.amdhsa_tg_split 0
		.amdhsa_exception_fp_ieee_invalid_op 0
		.amdhsa_exception_fp_denorm_src 0
		.amdhsa_exception_fp_ieee_div_zero 0
		.amdhsa_exception_fp_ieee_overflow 0
		.amdhsa_exception_fp_ieee_underflow 0
		.amdhsa_exception_fp_ieee_inexact 0
		.amdhsa_exception_int_div_zero 0
	.end_amdhsa_kernel
	.section	.text._ZN7rocprim17ROCPRIM_400000_NS6detail17trampoline_kernelINS0_14default_configENS1_20scan_config_selectorIxEEZZNS1_9scan_implILNS1_25lookback_scan_determinismE0ELb0ELb1ES3_N6thrust23THRUST_200600_302600_NS6detail15normal_iteratorINS9_10device_ptrIxEEEESE_xNS9_10multipliesIxEExEEDaPvRmT3_T4_T5_mT6_P12ihipStream_tbENKUlT_T0_E_clISt17integral_constantIbLb1EESU_EEDaSP_SQ_EUlSP_E_NS1_11comp_targetILNS1_3genE5ELNS1_11target_archE942ELNS1_3gpuE9ELNS1_3repE0EEENS1_30default_config_static_selectorELNS0_4arch9wavefront6targetE1EEEvT1_,"axG",@progbits,_ZN7rocprim17ROCPRIM_400000_NS6detail17trampoline_kernelINS0_14default_configENS1_20scan_config_selectorIxEEZZNS1_9scan_implILNS1_25lookback_scan_determinismE0ELb0ELb1ES3_N6thrust23THRUST_200600_302600_NS6detail15normal_iteratorINS9_10device_ptrIxEEEESE_xNS9_10multipliesIxEExEEDaPvRmT3_T4_T5_mT6_P12ihipStream_tbENKUlT_T0_E_clISt17integral_constantIbLb1EESU_EEDaSP_SQ_EUlSP_E_NS1_11comp_targetILNS1_3genE5ELNS1_11target_archE942ELNS1_3gpuE9ELNS1_3repE0EEENS1_30default_config_static_selectorELNS0_4arch9wavefront6targetE1EEEvT1_,comdat
.Lfunc_end289:
	.size	_ZN7rocprim17ROCPRIM_400000_NS6detail17trampoline_kernelINS0_14default_configENS1_20scan_config_selectorIxEEZZNS1_9scan_implILNS1_25lookback_scan_determinismE0ELb0ELb1ES3_N6thrust23THRUST_200600_302600_NS6detail15normal_iteratorINS9_10device_ptrIxEEEESE_xNS9_10multipliesIxEExEEDaPvRmT3_T4_T5_mT6_P12ihipStream_tbENKUlT_T0_E_clISt17integral_constantIbLb1EESU_EEDaSP_SQ_EUlSP_E_NS1_11comp_targetILNS1_3genE5ELNS1_11target_archE942ELNS1_3gpuE9ELNS1_3repE0EEENS1_30default_config_static_selectorELNS0_4arch9wavefront6targetE1EEEvT1_, .Lfunc_end289-_ZN7rocprim17ROCPRIM_400000_NS6detail17trampoline_kernelINS0_14default_configENS1_20scan_config_selectorIxEEZZNS1_9scan_implILNS1_25lookback_scan_determinismE0ELb0ELb1ES3_N6thrust23THRUST_200600_302600_NS6detail15normal_iteratorINS9_10device_ptrIxEEEESE_xNS9_10multipliesIxEExEEDaPvRmT3_T4_T5_mT6_P12ihipStream_tbENKUlT_T0_E_clISt17integral_constantIbLb1EESU_EEDaSP_SQ_EUlSP_E_NS1_11comp_targetILNS1_3genE5ELNS1_11target_archE942ELNS1_3gpuE9ELNS1_3repE0EEENS1_30default_config_static_selectorELNS0_4arch9wavefront6targetE1EEEvT1_
                                        ; -- End function
	.section	.AMDGPU.csdata,"",@progbits
; Kernel info:
; codeLenInByte = 0
; NumSgprs: 4
; NumVgprs: 0
; NumAgprs: 0
; TotalNumVgprs: 0
; ScratchSize: 0
; MemoryBound: 0
; FloatMode: 240
; IeeeMode: 1
; LDSByteSize: 0 bytes/workgroup (compile time only)
; SGPRBlocks: 0
; VGPRBlocks: 0
; NumSGPRsForWavesPerEU: 4
; NumVGPRsForWavesPerEU: 1
; AccumOffset: 4
; Occupancy: 8
; WaveLimiterHint : 0
; COMPUTE_PGM_RSRC2:SCRATCH_EN: 0
; COMPUTE_PGM_RSRC2:USER_SGPR: 6
; COMPUTE_PGM_RSRC2:TRAP_HANDLER: 0
; COMPUTE_PGM_RSRC2:TGID_X_EN: 1
; COMPUTE_PGM_RSRC2:TGID_Y_EN: 0
; COMPUTE_PGM_RSRC2:TGID_Z_EN: 0
; COMPUTE_PGM_RSRC2:TIDIG_COMP_CNT: 0
; COMPUTE_PGM_RSRC3_GFX90A:ACCUM_OFFSET: 0
; COMPUTE_PGM_RSRC3_GFX90A:TG_SPLIT: 0
	.section	.text._ZN7rocprim17ROCPRIM_400000_NS6detail17trampoline_kernelINS0_14default_configENS1_20scan_config_selectorIxEEZZNS1_9scan_implILNS1_25lookback_scan_determinismE0ELb0ELb1ES3_N6thrust23THRUST_200600_302600_NS6detail15normal_iteratorINS9_10device_ptrIxEEEESE_xNS9_10multipliesIxEExEEDaPvRmT3_T4_T5_mT6_P12ihipStream_tbENKUlT_T0_E_clISt17integral_constantIbLb1EESU_EEDaSP_SQ_EUlSP_E_NS1_11comp_targetILNS1_3genE4ELNS1_11target_archE910ELNS1_3gpuE8ELNS1_3repE0EEENS1_30default_config_static_selectorELNS0_4arch9wavefront6targetE1EEEvT1_,"axG",@progbits,_ZN7rocprim17ROCPRIM_400000_NS6detail17trampoline_kernelINS0_14default_configENS1_20scan_config_selectorIxEEZZNS1_9scan_implILNS1_25lookback_scan_determinismE0ELb0ELb1ES3_N6thrust23THRUST_200600_302600_NS6detail15normal_iteratorINS9_10device_ptrIxEEEESE_xNS9_10multipliesIxEExEEDaPvRmT3_T4_T5_mT6_P12ihipStream_tbENKUlT_T0_E_clISt17integral_constantIbLb1EESU_EEDaSP_SQ_EUlSP_E_NS1_11comp_targetILNS1_3genE4ELNS1_11target_archE910ELNS1_3gpuE8ELNS1_3repE0EEENS1_30default_config_static_selectorELNS0_4arch9wavefront6targetE1EEEvT1_,comdat
	.protected	_ZN7rocprim17ROCPRIM_400000_NS6detail17trampoline_kernelINS0_14default_configENS1_20scan_config_selectorIxEEZZNS1_9scan_implILNS1_25lookback_scan_determinismE0ELb0ELb1ES3_N6thrust23THRUST_200600_302600_NS6detail15normal_iteratorINS9_10device_ptrIxEEEESE_xNS9_10multipliesIxEExEEDaPvRmT3_T4_T5_mT6_P12ihipStream_tbENKUlT_T0_E_clISt17integral_constantIbLb1EESU_EEDaSP_SQ_EUlSP_E_NS1_11comp_targetILNS1_3genE4ELNS1_11target_archE910ELNS1_3gpuE8ELNS1_3repE0EEENS1_30default_config_static_selectorELNS0_4arch9wavefront6targetE1EEEvT1_ ; -- Begin function _ZN7rocprim17ROCPRIM_400000_NS6detail17trampoline_kernelINS0_14default_configENS1_20scan_config_selectorIxEEZZNS1_9scan_implILNS1_25lookback_scan_determinismE0ELb0ELb1ES3_N6thrust23THRUST_200600_302600_NS6detail15normal_iteratorINS9_10device_ptrIxEEEESE_xNS9_10multipliesIxEExEEDaPvRmT3_T4_T5_mT6_P12ihipStream_tbENKUlT_T0_E_clISt17integral_constantIbLb1EESU_EEDaSP_SQ_EUlSP_E_NS1_11comp_targetILNS1_3genE4ELNS1_11target_archE910ELNS1_3gpuE8ELNS1_3repE0EEENS1_30default_config_static_selectorELNS0_4arch9wavefront6targetE1EEEvT1_
	.globl	_ZN7rocprim17ROCPRIM_400000_NS6detail17trampoline_kernelINS0_14default_configENS1_20scan_config_selectorIxEEZZNS1_9scan_implILNS1_25lookback_scan_determinismE0ELb0ELb1ES3_N6thrust23THRUST_200600_302600_NS6detail15normal_iteratorINS9_10device_ptrIxEEEESE_xNS9_10multipliesIxEExEEDaPvRmT3_T4_T5_mT6_P12ihipStream_tbENKUlT_T0_E_clISt17integral_constantIbLb1EESU_EEDaSP_SQ_EUlSP_E_NS1_11comp_targetILNS1_3genE4ELNS1_11target_archE910ELNS1_3gpuE8ELNS1_3repE0EEENS1_30default_config_static_selectorELNS0_4arch9wavefront6targetE1EEEvT1_
	.p2align	8
	.type	_ZN7rocprim17ROCPRIM_400000_NS6detail17trampoline_kernelINS0_14default_configENS1_20scan_config_selectorIxEEZZNS1_9scan_implILNS1_25lookback_scan_determinismE0ELb0ELb1ES3_N6thrust23THRUST_200600_302600_NS6detail15normal_iteratorINS9_10device_ptrIxEEEESE_xNS9_10multipliesIxEExEEDaPvRmT3_T4_T5_mT6_P12ihipStream_tbENKUlT_T0_E_clISt17integral_constantIbLb1EESU_EEDaSP_SQ_EUlSP_E_NS1_11comp_targetILNS1_3genE4ELNS1_11target_archE910ELNS1_3gpuE8ELNS1_3repE0EEENS1_30default_config_static_selectorELNS0_4arch9wavefront6targetE1EEEvT1_,@function
_ZN7rocprim17ROCPRIM_400000_NS6detail17trampoline_kernelINS0_14default_configENS1_20scan_config_selectorIxEEZZNS1_9scan_implILNS1_25lookback_scan_determinismE0ELb0ELb1ES3_N6thrust23THRUST_200600_302600_NS6detail15normal_iteratorINS9_10device_ptrIxEEEESE_xNS9_10multipliesIxEExEEDaPvRmT3_T4_T5_mT6_P12ihipStream_tbENKUlT_T0_E_clISt17integral_constantIbLb1EESU_EEDaSP_SQ_EUlSP_E_NS1_11comp_targetILNS1_3genE4ELNS1_11target_archE910ELNS1_3gpuE8ELNS1_3repE0EEENS1_30default_config_static_selectorELNS0_4arch9wavefront6targetE1EEEvT1_: ; @_ZN7rocprim17ROCPRIM_400000_NS6detail17trampoline_kernelINS0_14default_configENS1_20scan_config_selectorIxEEZZNS1_9scan_implILNS1_25lookback_scan_determinismE0ELb0ELb1ES3_N6thrust23THRUST_200600_302600_NS6detail15normal_iteratorINS9_10device_ptrIxEEEESE_xNS9_10multipliesIxEExEEDaPvRmT3_T4_T5_mT6_P12ihipStream_tbENKUlT_T0_E_clISt17integral_constantIbLb1EESU_EEDaSP_SQ_EUlSP_E_NS1_11comp_targetILNS1_3genE4ELNS1_11target_archE910ELNS1_3gpuE8ELNS1_3repE0EEENS1_30default_config_static_selectorELNS0_4arch9wavefront6targetE1EEEvT1_
; %bb.0:
	s_load_dwordx8 s[16:23], s[4:5], 0x0
	s_load_dwordx2 s[24:25], s[4:5], 0x20
	s_load_dwordx2 s[6:7], s[4:5], 0x30
	v_cmp_ne_u32_e64 s[0:1], 0, v0
	v_cmp_eq_u32_e64 s[2:3], 0, v0
	s_and_saveexec_b64 s[8:9], s[2:3]
	s_cbranch_execz .LBB290_4
; %bb.1:
	s_mov_b64 s[12:13], exec
	v_mbcnt_lo_u32_b32 v1, s12, 0
	v_mbcnt_hi_u32_b32 v1, s13, v1
	v_cmp_eq_u32_e32 vcc, 0, v1
                                        ; implicit-def: $vgpr2
	s_and_saveexec_b64 s[10:11], vcc
	s_cbranch_execz .LBB290_3
; %bb.2:
	s_load_dwordx2 s[14:15], s[4:5], 0x60
	s_bcnt1_i32_b64 s12, s[12:13]
	v_mov_b32_e32 v2, 0
	v_mov_b32_e32 v3, s12
	s_waitcnt lgkmcnt(0)
	global_atomic_add v2, v2, v3, s[14:15] glc
.LBB290_3:
	s_or_b64 exec, exec, s[10:11]
	s_waitcnt vmcnt(0)
	v_readfirstlane_b32 s10, v2
	v_add_u32_e32 v1, s10, v1
	v_mov_b32_e32 v2, 0
	ds_write_b32 v2, v1
.LBB290_4:
	s_or_b64 exec, exec, s[8:9]
	s_load_dword s26, s[4:5], 0x38
	s_load_dwordx8 s[8:15], s[4:5], 0x40
	v_mov_b32_e32 v1, 0
	s_waitcnt lgkmcnt(0)
	s_barrier
	ds_read_b32 v1, v1
	s_lshl_b64 s[18:19], s[18:19], 3
	s_add_u32 s27, s16, s18
	s_addc_u32 s28, s17, s19
	s_add_i32 s16, s26, -1
	s_mul_i32 s17, s16, 0x380
	s_sub_u32 s33, s22, s17
	s_waitcnt lgkmcnt(0)
	v_readfirstlane_b32 s35, v1
	s_subb_u32 s34, s23, 0
	s_mul_i32 s4, s35, 0x380
	s_mov_b32 s5, 0
	s_cmp_lg_u32 s35, s16
	s_cselect_b64 s[16:17], -1, 0
	s_lshl_b64 s[22:23], s[4:5], 3
	s_add_u32 s26, s27, s22
	s_addc_u32 s27, s28, s23
	s_mov_b64 s[4:5], -1
	s_and_b64 vcc, exec, s[16:17]
	v_lshlrev_b32_e32 v48, 3, v0
	s_barrier
	s_cbranch_vccz .LBB290_6
; %bb.5:
	v_mov_b32_e32 v1, s27
	v_add_co_u32_e32 v2, vcc, s26, v48
	v_addc_co_u32_e32 v3, vcc, 0, v1, vcc
	flat_load_dwordx2 v[4:5], v[2:3]
	flat_load_dwordx2 v[6:7], v[2:3] offset:1024
	flat_load_dwordx2 v[8:9], v[2:3] offset:2048
	;; [unrolled: 1-line block ×3, first 2 shown]
	v_add_co_u32_e32 v2, vcc, 0x1000, v2
	v_addc_co_u32_e32 v3, vcc, 0, v3, vcc
	flat_load_dwordx2 v[12:13], v[2:3]
	flat_load_dwordx2 v[14:15], v[2:3] offset:1024
	flat_load_dwordx2 v[16:17], v[2:3] offset:2048
	s_mov_b64 s[4:5], 0
	s_waitcnt vmcnt(0) lgkmcnt(0)
	ds_write2st64_b64 v48, v[4:5], v[6:7] offset1:2
	ds_write2st64_b64 v48, v[8:9], v[10:11] offset0:4 offset1:6
	ds_write2st64_b64 v48, v[12:13], v[14:15] offset0:8 offset1:10
	ds_write_b64 v48, v[16:17] offset:6144
	s_waitcnt lgkmcnt(0)
	s_barrier
.LBB290_6:
	s_andn2_b64 vcc, exec, s[4:5]
	v_cmp_gt_u32_e64 s[4:5], s33, v0
	s_cbranch_vccnz .LBB290_22
; %bb.7:
	v_pk_mov_b32 v[2:3], s[26:27], s[26:27] op_sel:[0,1]
	flat_load_dwordx2 v[2:3], v[2:3]
	s_waitcnt vmcnt(0) lgkmcnt(0)
	v_mov_b32_e32 v4, v2
	v_mov_b32_e32 v5, v3
	;; [unrolled: 1-line block ×10, first 2 shown]
	v_pk_mov_b32 v[18:19], v[14:15], v[14:15] op_sel:[0,1]
	v_pk_mov_b32 v[16:17], v[12:13], v[12:13] op_sel:[0,1]
	;; [unrolled: 1-line block ×8, first 2 shown]
	s_and_saveexec_b64 s[28:29], s[4:5]
	s_cbranch_execz .LBB290_9
; %bb.8:
	v_mov_b32_e32 v1, s27
	v_add_co_u32_e32 v4, vcc, s26, v48
	v_addc_co_u32_e32 v5, vcc, 0, v1, vcc
	flat_load_dwordx2 v[20:21], v[4:5]
	v_mov_b32_e32 v4, v2
	v_mov_b32_e32 v5, v3
	;; [unrolled: 1-line block ×10, first 2 shown]
	v_pk_mov_b32 v[18:19], v[14:15], v[14:15] op_sel:[0,1]
	v_pk_mov_b32 v[16:17], v[12:13], v[12:13] op_sel:[0,1]
	;; [unrolled: 1-line block ×8, first 2 shown]
	s_waitcnt vmcnt(0) lgkmcnt(0)
	v_pk_mov_b32 v[2:3], v[20:21], v[20:21] op_sel:[0,1]
.LBB290_9:
	s_or_b64 exec, exec, s[28:29]
	v_or_b32_e32 v1, 0x80, v0
	v_cmp_gt_u32_e32 vcc, s33, v1
	s_and_saveexec_b64 s[4:5], vcc
	s_cbranch_execz .LBB290_11
; %bb.10:
	v_mov_b32_e32 v1, s27
	v_add_co_u32_e32 v4, vcc, s26, v48
	v_addc_co_u32_e32 v5, vcc, 0, v1, vcc
	flat_load_dwordx2 v[6:7], v[4:5] offset:1024
.LBB290_11:
	s_or_b64 exec, exec, s[4:5]
	v_or_b32_e32 v1, 0x100, v0
	v_cmp_gt_u32_e32 vcc, s33, v1
	s_and_saveexec_b64 s[4:5], vcc
	s_cbranch_execz .LBB290_13
; %bb.12:
	v_mov_b32_e32 v1, s27
	v_add_co_u32_e32 v4, vcc, s26, v48
	v_addc_co_u32_e32 v5, vcc, 0, v1, vcc
	flat_load_dwordx2 v[8:9], v[4:5] offset:2048
.LBB290_13:
	s_or_b64 exec, exec, s[4:5]
	v_or_b32_e32 v1, 0x180, v0
	v_cmp_gt_u32_e32 vcc, s33, v1
	s_and_saveexec_b64 s[4:5], vcc
	s_cbranch_execz .LBB290_15
; %bb.14:
	v_mov_b32_e32 v1, s27
	v_add_co_u32_e32 v4, vcc, s26, v48
	v_addc_co_u32_e32 v5, vcc, 0, v1, vcc
	flat_load_dwordx2 v[10:11], v[4:5] offset:3072
.LBB290_15:
	s_or_b64 exec, exec, s[4:5]
	v_or_b32_e32 v1, 0x200, v0
	v_cmp_gt_u32_e32 vcc, s33, v1
	s_and_saveexec_b64 s[4:5], vcc
	s_cbranch_execz .LBB290_17
; %bb.16:
	v_lshlrev_b32_e32 v1, 3, v1
	v_mov_b32_e32 v5, s27
	v_add_co_u32_e32 v4, vcc, s26, v1
	v_addc_co_u32_e32 v5, vcc, 0, v5, vcc
	flat_load_dwordx2 v[12:13], v[4:5]
.LBB290_17:
	s_or_b64 exec, exec, s[4:5]
	v_or_b32_e32 v1, 0x280, v0
	v_cmp_gt_u32_e32 vcc, s33, v1
	s_and_saveexec_b64 s[4:5], vcc
	s_cbranch_execz .LBB290_19
; %bb.18:
	v_lshlrev_b32_e32 v1, 3, v1
	v_mov_b32_e32 v5, s27
	v_add_co_u32_e32 v4, vcc, s26, v1
	v_addc_co_u32_e32 v5, vcc, 0, v5, vcc
	flat_load_dwordx2 v[14:15], v[4:5]
.LBB290_19:
	;; [unrolled: 12-line block ×3, first 2 shown]
	s_or_b64 exec, exec, s[4:5]
	s_waitcnt vmcnt(0) lgkmcnt(0)
	ds_write2st64_b64 v48, v[2:3], v[6:7] offset1:2
	ds_write2st64_b64 v48, v[8:9], v[10:11] offset0:4 offset1:6
	ds_write2st64_b64 v48, v[12:13], v[14:15] offset0:8 offset1:10
	ds_write_b64 v48, v[16:17] offset:6144
	s_waitcnt lgkmcnt(0)
	s_barrier
.LBB290_22:
	v_mul_u32_u24_e32 v49, 7, v0
	v_lshlrev_b32_e32 v1, 3, v49
	ds_read2_b64 v[2:5], v1 offset1:1
	ds_read2_b64 v[10:13], v1 offset0:2 offset1:3
	ds_read2_b64 v[6:9], v1 offset0:4 offset1:5
	ds_read_b64 v[28:29], v1 offset:48
	s_cmp_lg_u32 s35, 0
	v_lshrrev_b32_e32 v1, 5, v0
	v_cmp_gt_u32_e32 vcc, 64, v0
	s_waitcnt lgkmcnt(0)
	s_barrier
	s_cbranch_scc0 .LBB290_87
; %bb.23:
	v_mul_lo_u32 v16, v5, v2
	v_mul_lo_u32 v17, v4, v3
	v_mad_u64_u32 v[14:15], s[4:5], v4, v2, 0
	v_add3_u32 v15, v15, v17, v16
	v_mul_lo_u32 v16, v15, v10
	v_mul_lo_u32 v17, v14, v11
	v_mad_u64_u32 v[14:15], s[4:5], v14, v10, 0
	v_add3_u32 v15, v15, v17, v16
	;; [unrolled: 4-line block ×6, first 2 shown]
	v_add_lshl_u32 v14, v1, v0, 3
	ds_write_b64 v14, v[18:19]
	s_waitcnt lgkmcnt(0)
	s_barrier
	s_and_saveexec_b64 s[26:27], vcc
	s_cbranch_execz .LBB290_37
; %bb.24:
	v_lshlrev_b32_e32 v14, 1, v0
	v_lshrrev_b32_e32 v15, 4, v0
	v_add_lshl_u32 v20, v15, v14, 3
	ds_read2_b64 v[14:17], v20 offset1:1
	s_waitcnt lgkmcnt(0)
	v_mul_lo_u32 v21, v17, v14
	v_mul_lo_u32 v22, v16, v15
	v_mad_u64_u32 v[16:17], s[4:5], v16, v14, 0
	v_add3_u32 v17, v17, v22, v21
	v_mbcnt_lo_u32_b32 v21, -1, 0
	v_mbcnt_hi_u32_b32 v21, -1, v21
	v_and_b32_e32 v22, 15, v21
	v_mov_b32_dpp v23, v16 row_shr:1 row_mask:0xf bank_mask:0xf
	v_mov_b32_dpp v24, v17 row_shr:1 row_mask:0xf bank_mask:0xf
	v_cmp_ne_u32_e64 s[4:5], 0, v22
	s_and_saveexec_b64 s[28:29], s[4:5]
; %bb.25:
	v_mul_lo_u32 v24, v24, v16
	v_mul_lo_u32 v25, v23, v17
	v_mad_u64_u32 v[16:17], s[4:5], v23, v16, 0
	v_add3_u32 v17, v17, v25, v24
; %bb.26:
	s_or_b64 exec, exec, s[28:29]
	v_mov_b32_dpp v23, v16 row_shr:2 row_mask:0xf bank_mask:0xf
	v_mov_b32_dpp v24, v17 row_shr:2 row_mask:0xf bank_mask:0xf
	v_cmp_lt_u32_e64 s[4:5], 1, v22
	s_and_saveexec_b64 s[28:29], s[4:5]
; %bb.27:
	v_mul_lo_u32 v24, v24, v16
	v_mul_lo_u32 v25, v23, v17
	v_mad_u64_u32 v[16:17], s[4:5], v23, v16, 0
	v_add3_u32 v17, v17, v25, v24
; %bb.28:
	s_or_b64 exec, exec, s[28:29]
	v_mov_b32_dpp v23, v16 row_shr:4 row_mask:0xf bank_mask:0xf
	v_mov_b32_dpp v24, v17 row_shr:4 row_mask:0xf bank_mask:0xf
	v_cmp_lt_u32_e64 s[4:5], 3, v22
	;; [unrolled: 11-line block ×3, first 2 shown]
	s_and_saveexec_b64 s[28:29], s[4:5]
; %bb.31:
	v_mul_lo_u32 v22, v24, v16
	v_mul_lo_u32 v24, v23, v17
	v_mad_u64_u32 v[16:17], s[4:5], v23, v16, 0
	v_add3_u32 v17, v17, v24, v22
; %bb.32:
	s_or_b64 exec, exec, s[28:29]
	v_and_b32_e32 v24, 16, v21
	v_mov_b32_dpp v22, v16 row_bcast:15 row_mask:0xf bank_mask:0xf
	v_mov_b32_dpp v23, v17 row_bcast:15 row_mask:0xf bank_mask:0xf
	v_cmp_ne_u32_e64 s[4:5], 0, v24
	s_and_saveexec_b64 s[28:29], s[4:5]
; %bb.33:
	v_mul_lo_u32 v23, v23, v16
	v_mul_lo_u32 v24, v22, v17
	v_mad_u64_u32 v[16:17], s[4:5], v22, v16, 0
	v_add3_u32 v17, v17, v24, v23
; %bb.34:
	s_or_b64 exec, exec, s[28:29]
	v_mov_b32_dpp v22, v16 row_bcast:31 row_mask:0xf bank_mask:0xf
	v_mov_b32_dpp v23, v17 row_bcast:31 row_mask:0xf bank_mask:0xf
	v_cmp_lt_u32_e64 s[4:5], 31, v21
	s_and_saveexec_b64 s[28:29], s[4:5]
; %bb.35:
	v_mul_lo_u32 v23, v23, v16
	v_mul_lo_u32 v24, v22, v17
	v_mad_u64_u32 v[16:17], s[4:5], v22, v16, 0
	v_add3_u32 v17, v17, v24, v23
; %bb.36:
	s_or_b64 exec, exec, s[28:29]
	v_add_u32_e32 v22, -1, v21
	v_and_b32_e32 v23, 64, v21
	v_cmp_lt_i32_e64 s[4:5], v22, v23
	v_cndmask_b32_e64 v21, v22, v21, s[4:5]
	v_lshlrev_b32_e32 v21, 2, v21
	ds_bpermute_b32 v17, v21, v17
	ds_bpermute_b32 v16, v21, v16
	; wave barrier
	s_waitcnt lgkmcnt(1)
	v_mul_lo_u32 v17, v17, v14
	s_waitcnt lgkmcnt(0)
	v_mul_lo_u32 v21, v16, v15
	v_mad_u64_u32 v[14:15], s[4:5], v16, v14, 0
	v_add3_u32 v15, v15, v21, v17
	v_cndmask_b32_e64 v15, v15, v19, s[2:3]
	v_cndmask_b32_e64 v14, v14, v18, s[2:3]
	ds_write_b64 v20, v[14:15]
	; wave barrier
	ds_read_b64 v[16:17], v20 offset:8
	s_waitcnt lgkmcnt(0)
	v_mul_lo_u32 v18, v16, v15
	v_mul_lo_u32 v17, v17, v14
	v_mad_u64_u32 v[14:15], s[4:5], v16, v14, 0
	v_add3_u32 v15, v15, v18, v17
	ds_write_b64 v20, v[14:15] offset:8
.LBB290_37:
	s_or_b64 exec, exec, s[26:27]
	v_mov_b32_e32 v22, 1
	v_mov_b32_e32 v23, 0
	s_waitcnt lgkmcnt(0)
	s_barrier
	s_and_saveexec_b64 s[4:5], s[0:1]
	s_cbranch_execz .LBB290_39
; %bb.38:
	v_add_u32_e32 v14, -1, v0
	v_lshrrev_b32_e32 v15, 5, v14
	v_add_lshl_u32 v14, v15, v14, 3
	ds_read_b64 v[22:23], v14
.LBB290_39:
	s_or_b64 exec, exec, s[4:5]
	s_and_saveexec_b64 s[26:27], vcc
	s_cbranch_execz .LBB290_86
; %bb.40:
	v_mov_b32_e32 v17, 0
	ds_read_b64 v[14:15], v17 offset:1040
	v_mbcnt_lo_u32_b32 v16, -1, 0
	v_mbcnt_hi_u32_b32 v25, -1, v16
	s_mov_b32 s31, 0
	v_cmp_eq_u32_e64 s[4:5], 0, v25
	s_and_saveexec_b64 s[28:29], s[4:5]
	s_cbranch_execz .LBB290_42
; %bb.41:
	s_add_i32 s30, s35, 64
	s_lshl_b64 s[30:31], s[30:31], 4
	s_add_u32 s30, s6, s30
	s_addc_u32 s31, s7, s31
	v_mov_b32_e32 v16, 1
	v_pk_mov_b32 v[18:19], s[30:31], s[30:31] op_sel:[0,1]
	s_waitcnt lgkmcnt(0)
	;;#ASMSTART
	global_store_dwordx4 v[18:19], v[14:17] off	
s_waitcnt vmcnt(0)
	;;#ASMEND
.LBB290_42:
	s_or_b64 exec, exec, s[28:29]
	v_xad_u32 v24, v25, -1, s35
	v_add_u32_e32 v16, 64, v24
	v_lshlrev_b64 v[18:19], 4, v[16:17]
	v_mov_b32_e32 v16, s7
	v_add_co_u32_e32 v26, vcc, s6, v18
	v_addc_co_u32_e32 v27, vcc, v16, v19, vcc
	;;#ASMSTART
	global_load_dwordx4 v[18:21], v[26:27] off glc	
s_waitcnt vmcnt(0)
	;;#ASMEND
	v_and_b32_e32 v16, 0xff, v19
	v_and_b32_e32 v21, 0xff00, v19
	v_or3_b32 v16, 0, v16, v21
	v_or3_b32 v18, v18, 0, 0
	v_and_b32_e32 v21, 0xff000000, v19
	v_and_b32_e32 v19, 0xff0000, v19
	v_or3_b32 v19, v16, v19, v21
	v_or3_b32 v18, v18, 0, 0
	v_cmp_eq_u16_sdwa s[30:31], v20, v17 src0_sel:BYTE_0 src1_sel:DWORD
	s_and_saveexec_b64 s[28:29], s[30:31]
	s_cbranch_execz .LBB290_48
; %bb.43:
	s_mov_b32 s36, 1
	s_mov_b64 s[30:31], 0
	v_mov_b32_e32 v16, 0
.LBB290_44:                             ; =>This Loop Header: Depth=1
                                        ;     Child Loop BB290_45 Depth 2
	s_max_u32 s37, s36, 1
.LBB290_45:                             ;   Parent Loop BB290_44 Depth=1
                                        ; =>  This Inner Loop Header: Depth=2
	s_add_i32 s37, s37, -1
	s_cmp_eq_u32 s37, 0
	s_sleep 1
	s_cbranch_scc0 .LBB290_45
; %bb.46:                               ;   in Loop: Header=BB290_44 Depth=1
	s_cmp_lt_u32 s36, 32
	s_cselect_b64 s[38:39], -1, 0
	s_cmp_lg_u64 s[38:39], 0
	s_addc_u32 s36, s36, 0
	;;#ASMSTART
	global_load_dwordx4 v[18:21], v[26:27] off glc	
s_waitcnt vmcnt(0)
	;;#ASMEND
	v_cmp_ne_u16_sdwa s[38:39], v20, v16 src0_sel:BYTE_0 src1_sel:DWORD
	s_or_b64 s[30:31], s[38:39], s[30:31]
	s_andn2_b64 exec, exec, s[30:31]
	s_cbranch_execnz .LBB290_44
; %bb.47:
	s_or_b64 exec, exec, s[30:31]
.LBB290_48:
	s_or_b64 exec, exec, s[28:29]
	v_and_b32_e32 v32, 63, v25
	v_mov_b32_e32 v16, 2
	v_cmp_ne_u32_e32 vcc, 63, v32
	v_cmp_eq_u16_sdwa s[28:29], v20, v16 src0_sel:BYTE_0 src1_sel:DWORD
	v_lshlrev_b64 v[16:17], v25, -1
	v_addc_co_u32_e32 v26, vcc, 0, v25, vcc
	v_and_b32_e32 v21, s29, v17
	v_lshlrev_b32_e32 v33, 2, v26
	v_or_b32_e32 v21, 0x80000000, v21
	ds_bpermute_b32 v26, v33, v18
	ds_bpermute_b32 v27, v33, v19
	v_and_b32_e32 v30, s28, v16
	v_ffbl_b32_e32 v21, v21
	v_add_u32_e32 v21, 32, v21
	v_ffbl_b32_e32 v30, v30
	v_min_u32_e32 v21, v30, v21
	v_cmp_lt_u32_e32 vcc, v32, v21
	s_and_saveexec_b64 s[28:29], vcc
	s_cbranch_execz .LBB290_50
; %bb.49:
	s_waitcnt lgkmcnt(0)
	v_mul_lo_u32 v27, v27, v18
	v_mul_lo_u32 v30, v26, v19
	v_mad_u64_u32 v[18:19], s[30:31], v26, v18, 0
	v_add3_u32 v19, v19, v30, v27
.LBB290_50:
	s_or_b64 exec, exec, s[28:29]
	v_cmp_gt_u32_e32 vcc, 62, v32
	s_waitcnt lgkmcnt(1)
	v_cndmask_b32_e64 v26, 0, 1, vcc
	v_lshlrev_b32_e32 v26, 1, v26
	v_add_lshl_u32 v34, v26, v25, 2
	ds_bpermute_b32 v26, v34, v18
	s_waitcnt lgkmcnt(1)
	ds_bpermute_b32 v27, v34, v19
	v_add_u32_e32 v35, 2, v32
	v_cmp_le_u32_e32 vcc, v35, v21
	s_and_saveexec_b64 s[28:29], vcc
	s_cbranch_execz .LBB290_52
; %bb.51:
	s_waitcnt lgkmcnt(0)
	v_mul_lo_u32 v27, v27, v18
	v_mul_lo_u32 v30, v26, v19
	v_mad_u64_u32 v[18:19], s[30:31], v26, v18, 0
	v_add3_u32 v19, v19, v30, v27
.LBB290_52:
	s_or_b64 exec, exec, s[28:29]
	v_cmp_gt_u32_e32 vcc, 60, v32
	s_waitcnt lgkmcnt(1)
	v_cndmask_b32_e64 v26, 0, 1, vcc
	v_lshlrev_b32_e32 v26, 2, v26
	v_add_lshl_u32 v36, v26, v25, 2
	ds_bpermute_b32 v26, v36, v18
	s_waitcnt lgkmcnt(1)
	ds_bpermute_b32 v27, v36, v19
	v_add_u32_e32 v37, 4, v32
	v_cmp_le_u32_e32 vcc, v37, v21
	;; [unrolled: 20-line block ×4, first 2 shown]
	s_and_saveexec_b64 s[28:29], vcc
	s_cbranch_execz .LBB290_58
; %bb.57:
	s_waitcnt lgkmcnt(0)
	v_mul_lo_u32 v27, v27, v18
	v_mul_lo_u32 v30, v26, v19
	v_mad_u64_u32 v[18:19], s[30:31], v26, v18, 0
	v_add3_u32 v19, v19, v30, v27
.LBB290_58:
	s_or_b64 exec, exec, s[28:29]
	v_cmp_gt_u32_e32 vcc, 32, v32
	s_waitcnt lgkmcnt(1)
	v_cndmask_b32_e64 v26, 0, 1, vcc
	v_lshlrev_b32_e32 v26, 5, v26
	v_add_lshl_u32 v42, v26, v25, 2
	ds_bpermute_b32 v25, v42, v18
	ds_bpermute_b32 v26, v42, v19
	v_add_u32_e32 v43, 32, v32
	v_cmp_le_u32_e32 vcc, v43, v21
	s_and_saveexec_b64 s[28:29], vcc
	s_cbranch_execz .LBB290_60
; %bb.59:
	s_waitcnt lgkmcnt(0)
	v_mul_lo_u32 v21, v26, v18
	v_mul_lo_u32 v26, v25, v19
	v_mad_u64_u32 v[18:19], s[30:31], v25, v18, 0
	v_add3_u32 v19, v19, v26, v21
.LBB290_60:
	s_or_b64 exec, exec, s[28:29]
	s_waitcnt lgkmcnt(1)
	v_mov_b32_e32 v25, 0
	v_mov_b32_e32 v44, 2
	s_branch .LBB290_62
.LBB290_61:                             ;   in Loop: Header=BB290_62 Depth=1
	s_or_b64 exec, exec, s[28:29]
	v_mul_lo_u32 v21, v19, v26
	s_waitcnt lgkmcnt(1)
	v_mul_lo_u32 v30, v18, v27
	v_mad_u64_u32 v[18:19], s[28:29], v18, v26, 0
	v_subrev_u32_e32 v24, 64, v24
	v_add3_u32 v19, v19, v30, v21
.LBB290_62:                             ; =>This Loop Header: Depth=1
                                        ;     Child Loop BB290_65 Depth 2
                                        ;       Child Loop BB290_66 Depth 3
	v_cmp_ne_u16_sdwa s[28:29], v20, v44 src0_sel:BYTE_0 src1_sel:DWORD
	v_cndmask_b32_e64 v20, 0, 1, s[28:29]
	;;#ASMSTART
	;;#ASMEND
	v_cmp_ne_u32_e32 vcc, 0, v20
	s_cmp_lg_u64 vcc, exec
	s_waitcnt lgkmcnt(0)
	v_pk_mov_b32 v[26:27], v[18:19], v[18:19] op_sel:[0,1]
	s_cbranch_scc1 .LBB290_81
; %bb.63:                               ;   in Loop: Header=BB290_62 Depth=1
	v_lshlrev_b64 v[18:19], 4, v[24:25]
	v_mov_b32_e32 v20, s7
	v_add_co_u32_e32 v30, vcc, s6, v18
	v_addc_co_u32_e32 v31, vcc, v20, v19, vcc
	;;#ASMSTART
	global_load_dwordx4 v[18:21], v[30:31] off glc	
s_waitcnt vmcnt(0)
	;;#ASMEND
	v_and_b32_e32 v21, 0xff, v19
	v_and_b32_e32 v45, 0xff00, v19
	v_or3_b32 v21, 0, v21, v45
	v_or3_b32 v18, v18, 0, 0
	v_and_b32_e32 v45, 0xff000000, v19
	v_and_b32_e32 v19, 0xff0000, v19
	v_or3_b32 v19, v21, v19, v45
	v_or3_b32 v18, v18, 0, 0
	v_cmp_eq_u16_sdwa s[30:31], v20, v25 src0_sel:BYTE_0 src1_sel:DWORD
	s_and_saveexec_b64 s[28:29], s[30:31]
	s_cbranch_execz .LBB290_69
; %bb.64:                               ;   in Loop: Header=BB290_62 Depth=1
	s_mov_b32 s36, 1
	s_mov_b64 s[30:31], 0
.LBB290_65:                             ;   Parent Loop BB290_62 Depth=1
                                        ; =>  This Loop Header: Depth=2
                                        ;       Child Loop BB290_66 Depth 3
	s_max_u32 s37, s36, 1
.LBB290_66:                             ;   Parent Loop BB290_62 Depth=1
                                        ;     Parent Loop BB290_65 Depth=2
                                        ; =>    This Inner Loop Header: Depth=3
	s_add_i32 s37, s37, -1
	s_cmp_eq_u32 s37, 0
	s_sleep 1
	s_cbranch_scc0 .LBB290_66
; %bb.67:                               ;   in Loop: Header=BB290_65 Depth=2
	s_cmp_lt_u32 s36, 32
	s_cselect_b64 s[38:39], -1, 0
	s_cmp_lg_u64 s[38:39], 0
	s_addc_u32 s36, s36, 0
	;;#ASMSTART
	global_load_dwordx4 v[18:21], v[30:31] off glc	
s_waitcnt vmcnt(0)
	;;#ASMEND
	v_cmp_ne_u16_sdwa s[38:39], v20, v25 src0_sel:BYTE_0 src1_sel:DWORD
	s_or_b64 s[30:31], s[38:39], s[30:31]
	s_andn2_b64 exec, exec, s[30:31]
	s_cbranch_execnz .LBB290_65
; %bb.68:                               ;   in Loop: Header=BB290_62 Depth=1
	s_or_b64 exec, exec, s[30:31]
.LBB290_69:                             ;   in Loop: Header=BB290_62 Depth=1
	s_or_b64 exec, exec, s[28:29]
	v_cmp_eq_u16_sdwa s[28:29], v20, v44 src0_sel:BYTE_0 src1_sel:DWORD
	v_and_b32_e32 v21, s29, v17
	v_or_b32_e32 v21, 0x80000000, v21
	ds_bpermute_b32 v30, v33, v18
	ds_bpermute_b32 v31, v33, v19
	v_and_b32_e32 v45, s28, v16
	v_ffbl_b32_e32 v21, v21
	v_add_u32_e32 v21, 32, v21
	v_ffbl_b32_e32 v45, v45
	v_min_u32_e32 v21, v45, v21
	v_cmp_lt_u32_e32 vcc, v32, v21
	s_and_saveexec_b64 s[28:29], vcc
	s_cbranch_execz .LBB290_71
; %bb.70:                               ;   in Loop: Header=BB290_62 Depth=1
	s_waitcnt lgkmcnt(0)
	v_mul_lo_u32 v31, v31, v18
	v_mul_lo_u32 v45, v30, v19
	v_mad_u64_u32 v[18:19], s[30:31], v30, v18, 0
	v_add3_u32 v19, v19, v45, v31
.LBB290_71:                             ;   in Loop: Header=BB290_62 Depth=1
	s_or_b64 exec, exec, s[28:29]
	s_waitcnt lgkmcnt(1)
	ds_bpermute_b32 v30, v34, v18
	s_waitcnt lgkmcnt(1)
	ds_bpermute_b32 v31, v34, v19
	v_cmp_le_u32_e32 vcc, v35, v21
	s_and_saveexec_b64 s[28:29], vcc
	s_cbranch_execz .LBB290_73
; %bb.72:                               ;   in Loop: Header=BB290_62 Depth=1
	s_waitcnt lgkmcnt(0)
	v_mul_lo_u32 v31, v31, v18
	v_mul_lo_u32 v45, v30, v19
	v_mad_u64_u32 v[18:19], s[30:31], v30, v18, 0
	v_add3_u32 v19, v19, v45, v31
.LBB290_73:                             ;   in Loop: Header=BB290_62 Depth=1
	s_or_b64 exec, exec, s[28:29]
	s_waitcnt lgkmcnt(1)
	ds_bpermute_b32 v30, v36, v18
	s_waitcnt lgkmcnt(1)
	ds_bpermute_b32 v31, v36, v19
	v_cmp_le_u32_e32 vcc, v37, v21
	;; [unrolled: 15-line block ×5, first 2 shown]
	s_and_saveexec_b64 s[28:29], vcc
	s_cbranch_execz .LBB290_61
; %bb.80:                               ;   in Loop: Header=BB290_62 Depth=1
	s_waitcnt lgkmcnt(0)
	v_mul_lo_u32 v21, v31, v18
	v_mul_lo_u32 v31, v30, v19
	v_mad_u64_u32 v[18:19], s[30:31], v30, v18, 0
	v_add3_u32 v19, v19, v31, v21
	s_branch .LBB290_61
.LBB290_81:                             ;   in Loop: Header=BB290_62 Depth=1
                                        ; implicit-def: $vgpr18_vgpr19
	s_cbranch_execz .LBB290_62
; %bb.82:
	s_and_saveexec_b64 s[28:29], s[4:5]
	s_cbranch_execz .LBB290_84
; %bb.83:
	v_mul_lo_u32 v16, v27, v14
	v_mul_lo_u32 v17, v26, v15
	v_mad_u64_u32 v[14:15], s[4:5], v26, v14, 0
	s_add_i32 s4, s35, 64
	s_mov_b32 s5, 0
	s_lshl_b64 s[4:5], s[4:5], 4
	s_add_u32 s4, s6, s4
	s_addc_u32 s5, s7, s5
	v_add3_u32 v15, v15, v17, v16
	v_mov_b32_e32 v16, 2
	v_mov_b32_e32 v17, 0
	v_pk_mov_b32 v[18:19], s[4:5], s[4:5] op_sel:[0,1]
	;;#ASMSTART
	global_store_dwordx4 v[18:19], v[14:17] off	
s_waitcnt vmcnt(0)
	;;#ASMEND
.LBB290_84:
	s_or_b64 exec, exec, s[28:29]
	s_and_b64 exec, exec, s[2:3]
	s_cbranch_execz .LBB290_86
; %bb.85:
	v_mov_b32_e32 v14, 0
	ds_write_b64 v14, v[26:27]
.LBB290_86:
	s_or_b64 exec, exec, s[26:27]
	v_mov_b32_e32 v14, 0
	s_waitcnt lgkmcnt(0)
	s_barrier
	ds_read_b64 v[14:15], v14
	v_mul_lo_u32 v18, v23, v2
	v_mul_lo_u32 v19, v22, v3
	v_mad_u64_u32 v[16:17], s[4:5], v22, v2, 0
	v_add3_u32 v17, v17, v19, v18
	s_waitcnt lgkmcnt(0)
	v_mul_lo_u32 v17, v17, v14
	v_mul_lo_u32 v18, v16, v15
	v_mad_u64_u32 v[14:15], s[4:5], v16, v14, 0
	v_add3_u32 v15, v15, v18, v17
	v_mul_lo_u32 v16, v15, v4
	v_mul_lo_u32 v17, v14, v5
	v_mad_u64_u32 v[42:43], s[4:5], v14, v4, 0
	v_add3_u32 v43, v43, v17, v16
	;; [unrolled: 4-line block ×7, first 2 shown]
	s_branch .LBB290_133
.LBB290_87:
                                        ; implicit-def: $vgpr26_vgpr27
                                        ; implicit-def: $vgpr46_vgpr47
                                        ; implicit-def: $vgpr44_vgpr45
                                        ; implicit-def: $vgpr42_vgpr43
                                        ; implicit-def: $vgpr22_vgpr23_vgpr24_vgpr25
                                        ; implicit-def: $vgpr18_vgpr19_vgpr20_vgpr21
                                        ; implicit-def: $vgpr14_vgpr15_vgpr16_vgpr17
	s_cbranch_execz .LBB290_133
; %bb.88:
	s_cmp_lg_u64 s[12:13], 0
	s_cselect_b64 s[26:27], -1, 0
	s_cmp_eq_u64 s[12:13], 0
	s_cselect_b64 s[4:5], -1, 0
	s_and_b64 s[26:27], s[2:3], s[26:27]
	s_and_saveexec_b64 s[12:13], s[26:27]
	s_cbranch_execz .LBB290_90
; %bb.89:
	v_mov_b32_e32 v14, 0
	global_load_dwordx2 v[14:15], v14, s[8:9]
	s_waitcnt vmcnt(0)
	v_mul_lo_u32 v15, v15, v2
	v_mul_lo_u32 v16, v14, v3
	v_mad_u64_u32 v[2:3], s[8:9], v14, v2, 0
	v_add3_u32 v3, v3, v16, v15
.LBB290_90:
	s_or_b64 exec, exec, s[12:13]
	v_mul_lo_u32 v14, v5, v2
	v_mul_lo_u32 v15, v4, v3
	v_mad_u64_u32 v[30:31], s[8:9], v4, v2, 0
	v_add3_u32 v31, v31, v15, v14
	v_mul_lo_u32 v14, v31, v10
	v_mul_lo_u32 v15, v30, v11
	v_mad_u64_u32 v[32:33], s[8:9], v30, v10, 0
	v_add3_u32 v33, v33, v15, v14
	v_mul_lo_u32 v14, v33, v12
	v_mul_lo_u32 v15, v32, v13
	v_mad_u64_u32 v[34:35], s[8:9], v32, v12, 0
	v_add3_u32 v35, v35, v15, v14
	v_mul_lo_u32 v14, v35, v6
	v_mul_lo_u32 v15, v34, v7
	v_mad_u64_u32 v[36:37], s[8:9], v34, v6, 0
	v_add3_u32 v37, v37, v15, v14
	v_mul_lo_u32 v14, v37, v8
	v_mul_lo_u32 v15, v36, v9
	v_mad_u64_u32 v[38:39], s[8:9], v36, v8, 0
	v_add3_u32 v39, v39, v15, v14
	v_mul_lo_u32 v14, v39, v28
	v_mul_lo_u32 v15, v38, v29
	v_mad_u64_u32 v[40:41], s[8:9], v38, v28, 0
	v_add3_u32 v41, v41, v15, v14
	v_add_lshl_u32 v1, v1, v0, 3
	s_andn2_b64 vcc, exec, s[4:5]
	v_cmp_gt_u32_e64 s[4:5], 64, v0
	ds_write_b64 v1, v[40:41]
	s_waitcnt lgkmcnt(0)
	s_cbranch_vccnz .LBB290_110
; %bb.91:
	s_barrier
	s_and_saveexec_b64 s[8:9], s[4:5]
	s_cbranch_execz .LBB290_105
; %bb.92:
	v_lshlrev_b32_e32 v1, 1, v0
	v_lshrrev_b32_e32 v14, 4, v0
	v_add_lshl_u32 v1, v14, v1, 3
	ds_read2_b64 v[14:17], v1 offset1:1
	s_waitcnt lgkmcnt(0)
	v_mul_lo_u32 v18, v17, v14
	v_mul_lo_u32 v19, v16, v15
	v_mad_u64_u32 v[16:17], s[12:13], v16, v14, 0
	v_add3_u32 v17, v17, v19, v18
	v_mbcnt_lo_u32_b32 v18, -1, 0
	v_mbcnt_hi_u32_b32 v18, -1, v18
	v_and_b32_e32 v19, 15, v18
	v_mov_b32_dpp v20, v16 row_shr:1 row_mask:0xf bank_mask:0xf
	v_mov_b32_dpp v21, v17 row_shr:1 row_mask:0xf bank_mask:0xf
	v_cmp_ne_u32_e32 vcc, 0, v19
	s_and_saveexec_b64 s[12:13], vcc
; %bb.93:
	v_mul_lo_u32 v21, v21, v16
	v_mul_lo_u32 v22, v20, v17
	v_mad_u64_u32 v[16:17], s[26:27], v20, v16, 0
	v_add3_u32 v17, v17, v22, v21
; %bb.94:
	s_or_b64 exec, exec, s[12:13]
	v_mov_b32_dpp v20, v16 row_shr:2 row_mask:0xf bank_mask:0xf
	v_mov_b32_dpp v21, v17 row_shr:2 row_mask:0xf bank_mask:0xf
	v_cmp_lt_u32_e32 vcc, 1, v19
	s_and_saveexec_b64 s[12:13], vcc
; %bb.95:
	v_mul_lo_u32 v21, v21, v16
	v_mul_lo_u32 v22, v20, v17
	v_mad_u64_u32 v[16:17], s[26:27], v20, v16, 0
	v_add3_u32 v17, v17, v22, v21
; %bb.96:
	s_or_b64 exec, exec, s[12:13]
	v_mov_b32_dpp v20, v16 row_shr:4 row_mask:0xf bank_mask:0xf
	v_mov_b32_dpp v21, v17 row_shr:4 row_mask:0xf bank_mask:0xf
	v_cmp_lt_u32_e32 vcc, 3, v19
	s_and_saveexec_b64 s[12:13], vcc
; %bb.97:
	v_mul_lo_u32 v21, v21, v16
	v_mul_lo_u32 v22, v20, v17
	v_mad_u64_u32 v[16:17], s[26:27], v20, v16, 0
	v_add3_u32 v17, v17, v22, v21
; %bb.98:
	s_or_b64 exec, exec, s[12:13]
	v_mov_b32_dpp v20, v16 row_shr:8 row_mask:0xf bank_mask:0xf
	v_mov_b32_dpp v21, v17 row_shr:8 row_mask:0xf bank_mask:0xf
	v_cmp_lt_u32_e32 vcc, 7, v19
	s_and_saveexec_b64 s[12:13], vcc
; %bb.99:
	v_mul_lo_u32 v19, v21, v16
	v_mul_lo_u32 v21, v20, v17
	v_mad_u64_u32 v[16:17], s[26:27], v20, v16, 0
	v_add3_u32 v17, v17, v21, v19
; %bb.100:
	s_or_b64 exec, exec, s[12:13]
	v_and_b32_e32 v21, 16, v18
	v_mov_b32_dpp v19, v16 row_bcast:15 row_mask:0xf bank_mask:0xf
	v_mov_b32_dpp v20, v17 row_bcast:15 row_mask:0xf bank_mask:0xf
	v_cmp_ne_u32_e32 vcc, 0, v21
	s_and_saveexec_b64 s[12:13], vcc
; %bb.101:
	v_mul_lo_u32 v20, v20, v16
	v_mul_lo_u32 v21, v19, v17
	v_mad_u64_u32 v[16:17], s[26:27], v19, v16, 0
	v_add3_u32 v17, v17, v21, v20
; %bb.102:
	s_or_b64 exec, exec, s[12:13]
	v_mov_b32_dpp v19, v16 row_bcast:31 row_mask:0xf bank_mask:0xf
	v_mov_b32_dpp v20, v17 row_bcast:31 row_mask:0xf bank_mask:0xf
	v_cmp_lt_u32_e32 vcc, 31, v18
	s_and_saveexec_b64 s[12:13], vcc
; %bb.103:
	v_mul_lo_u32 v20, v20, v16
	v_mul_lo_u32 v21, v19, v17
	v_mad_u64_u32 v[16:17], s[26:27], v19, v16, 0
	v_add3_u32 v17, v17, v21, v20
; %bb.104:
	s_or_b64 exec, exec, s[12:13]
	v_add_u32_e32 v19, -1, v18
	v_and_b32_e32 v20, 64, v18
	v_cmp_lt_i32_e32 vcc, v19, v20
	v_cndmask_b32_e32 v18, v19, v18, vcc
	v_lshlrev_b32_e32 v18, 2, v18
	ds_bpermute_b32 v17, v18, v17
	ds_bpermute_b32 v16, v18, v16
	; wave barrier
	s_waitcnt lgkmcnt(1)
	v_mul_lo_u32 v17, v17, v14
	s_waitcnt lgkmcnt(0)
	v_mul_lo_u32 v18, v16, v15
	v_mad_u64_u32 v[14:15], s[12:13], v16, v14, 0
	v_add3_u32 v15, v15, v18, v17
	v_cndmask_b32_e64 v15, v15, v41, s[2:3]
	v_cndmask_b32_e64 v14, v14, v40, s[2:3]
	ds_write_b64 v1, v[14:15]
	; wave barrier
	ds_read_b64 v[16:17], v1 offset:8
	s_waitcnt lgkmcnt(0)
	v_mul_lo_u32 v18, v16, v15
	v_mul_lo_u32 v17, v17, v14
	v_mad_u64_u32 v[14:15], s[12:13], v16, v14, 0
	v_add3_u32 v15, v15, v18, v17
	ds_write_b64 v1, v[14:15] offset:8
.LBB290_105:
	s_or_b64 exec, exec, s[8:9]
	v_pk_mov_b32 v[26:27], v[40:41], v[40:41] op_sel:[0,1]
	s_waitcnt lgkmcnt(0)
	s_barrier
	s_and_saveexec_b64 s[8:9], s[0:1]
	s_cbranch_execz .LBB290_107
; %bb.106:
	v_add_u32_e32 v1, -1, v0
	v_lshrrev_b32_e32 v14, 5, v1
	v_add_lshl_u32 v1, v14, v1, 3
	ds_read_b64 v[26:27], v1
.LBB290_107:
	s_or_b64 exec, exec, s[8:9]
	v_pk_mov_b32 v[16:17], v[38:39], v[38:39] op_sel:[0,1]
	v_pk_mov_b32 v[20:21], v[36:37], v[36:37] op_sel:[0,1]
	;; [unrolled: 1-line block ×6, first 2 shown]
	s_and_saveexec_b64 s[8:9], s[0:1]
	s_cbranch_execz .LBB290_109
; %bb.108:
	s_waitcnt lgkmcnt(0)
	v_mul_lo_u32 v1, v27, v2
	v_mul_lo_u32 v16, v26, v3
	v_mad_u64_u32 v[14:15], s[12:13], v26, v2, 0
	v_add3_u32 v15, v15, v16, v1
	v_mul_lo_u32 v1, v15, v4
	v_mul_lo_u32 v16, v14, v5
	v_mad_u64_u32 v[24:25], s[12:13], v14, v4, 0
	v_add3_u32 v25, v25, v16, v1
	;; [unrolled: 4-line block ×6, first 2 shown]
	;;#ASMSTART
	;;#ASMEND
.LBB290_109:
	s_or_b64 exec, exec, s[8:9]
	v_mul_lo_u32 v1, v15, s24
	s_waitcnt lgkmcnt(0)
	v_mul_lo_u32 v26, v14, s25
	v_mad_u64_u32 v[14:15], s[8:9], v14, s24, 0
	v_add3_u32 v15, v15, v26, v1
	v_mul_lo_u32 v1, v25, s24
	v_mul_lo_u32 v25, v24, s25
	v_mad_u64_u32 v[42:43], s[8:9], v24, s24, 0
	v_add3_u32 v43, v43, v25, v1
	v_mul_lo_u32 v1, v19, s24
	;; [unrolled: 4-line block ×6, first 2 shown]
	v_mul_lo_u32 v16, v46, v29
	v_mad_u64_u32 v[26:27], s[8:9], v46, v28, 0
	v_add3_u32 v27, v27, v16, v1
	s_branch .LBB290_130
.LBB290_110:
                                        ; implicit-def: $vgpr26_vgpr27
                                        ; implicit-def: $vgpr46_vgpr47
                                        ; implicit-def: $vgpr44_vgpr45
                                        ; implicit-def: $vgpr42_vgpr43
                                        ; implicit-def: $vgpr22_vgpr23_vgpr24_vgpr25
                                        ; implicit-def: $vgpr18_vgpr19_vgpr20_vgpr21
                                        ; implicit-def: $vgpr14_vgpr15_vgpr16_vgpr17
	s_cbranch_execz .LBB290_130
; %bb.111:
	s_barrier
	s_and_saveexec_b64 s[8:9], s[4:5]
	s_cbranch_execz .LBB290_125
; %bb.112:
	v_lshlrev_b32_e32 v1, 1, v0
	v_lshrrev_b32_e32 v14, 4, v0
	v_add_lshl_u32 v1, v14, v1, 3
	ds_read2_b64 v[14:17], v1 offset1:1
	s_waitcnt lgkmcnt(0)
	v_mul_lo_u32 v18, v17, v14
	v_mul_lo_u32 v19, v16, v15
	v_mad_u64_u32 v[16:17], s[4:5], v16, v14, 0
	v_add3_u32 v17, v17, v19, v18
	v_mbcnt_lo_u32_b32 v18, -1, 0
	v_mbcnt_hi_u32_b32 v18, -1, v18
	v_and_b32_e32 v19, 15, v18
	v_mov_b32_dpp v20, v16 row_shr:1 row_mask:0xf bank_mask:0xf
	v_mov_b32_dpp v21, v17 row_shr:1 row_mask:0xf bank_mask:0xf
	v_cmp_ne_u32_e32 vcc, 0, v19
	s_and_saveexec_b64 s[4:5], vcc
; %bb.113:
	v_mul_lo_u32 v21, v21, v16
	v_mul_lo_u32 v22, v20, v17
	v_mad_u64_u32 v[16:17], s[12:13], v20, v16, 0
	v_add3_u32 v17, v17, v22, v21
; %bb.114:
	s_or_b64 exec, exec, s[4:5]
	v_mov_b32_dpp v20, v16 row_shr:2 row_mask:0xf bank_mask:0xf
	v_mov_b32_dpp v21, v17 row_shr:2 row_mask:0xf bank_mask:0xf
	v_cmp_lt_u32_e32 vcc, 1, v19
	s_and_saveexec_b64 s[4:5], vcc
; %bb.115:
	v_mul_lo_u32 v21, v21, v16
	v_mul_lo_u32 v22, v20, v17
	v_mad_u64_u32 v[16:17], s[12:13], v20, v16, 0
	v_add3_u32 v17, v17, v22, v21
; %bb.116:
	s_or_b64 exec, exec, s[4:5]
	v_mov_b32_dpp v20, v16 row_shr:4 row_mask:0xf bank_mask:0xf
	v_mov_b32_dpp v21, v17 row_shr:4 row_mask:0xf bank_mask:0xf
	v_cmp_lt_u32_e32 vcc, 3, v19
	;; [unrolled: 11-line block ×3, first 2 shown]
	s_and_saveexec_b64 s[4:5], vcc
; %bb.119:
	v_mul_lo_u32 v19, v21, v16
	v_mul_lo_u32 v21, v20, v17
	v_mad_u64_u32 v[16:17], s[12:13], v20, v16, 0
	v_add3_u32 v17, v17, v21, v19
; %bb.120:
	s_or_b64 exec, exec, s[4:5]
	v_and_b32_e32 v21, 16, v18
	v_mov_b32_dpp v19, v16 row_bcast:15 row_mask:0xf bank_mask:0xf
	v_mov_b32_dpp v20, v17 row_bcast:15 row_mask:0xf bank_mask:0xf
	v_cmp_ne_u32_e32 vcc, 0, v21
	s_and_saveexec_b64 s[4:5], vcc
; %bb.121:
	v_mul_lo_u32 v20, v20, v16
	v_mul_lo_u32 v21, v19, v17
	v_mad_u64_u32 v[16:17], s[12:13], v19, v16, 0
	v_add3_u32 v17, v17, v21, v20
; %bb.122:
	s_or_b64 exec, exec, s[4:5]
	v_mov_b32_dpp v19, v16 row_bcast:31 row_mask:0xf bank_mask:0xf
	v_mov_b32_dpp v20, v17 row_bcast:31 row_mask:0xf bank_mask:0xf
	v_cmp_lt_u32_e32 vcc, 31, v18
	s_and_saveexec_b64 s[4:5], vcc
; %bb.123:
	v_mul_lo_u32 v20, v20, v16
	v_mul_lo_u32 v21, v19, v17
	v_mad_u64_u32 v[16:17], s[12:13], v19, v16, 0
	v_add3_u32 v17, v17, v21, v20
; %bb.124:
	s_or_b64 exec, exec, s[4:5]
	v_add_u32_e32 v19, -1, v18
	v_and_b32_e32 v20, 64, v18
	v_cmp_lt_i32_e32 vcc, v19, v20
	v_cndmask_b32_e32 v18, v19, v18, vcc
	v_lshlrev_b32_e32 v18, 2, v18
	ds_bpermute_b32 v17, v18, v17
	ds_bpermute_b32 v16, v18, v16
	; wave barrier
	s_waitcnt lgkmcnt(1)
	v_mul_lo_u32 v17, v17, v14
	s_waitcnt lgkmcnt(0)
	v_mul_lo_u32 v18, v16, v15
	v_mad_u64_u32 v[14:15], s[4:5], v16, v14, 0
	v_add3_u32 v15, v15, v18, v17
	v_cndmask_b32_e64 v15, v15, v41, s[2:3]
	v_cndmask_b32_e64 v14, v14, v40, s[2:3]
	ds_write_b64 v1, v[14:15]
	; wave barrier
	ds_read_b64 v[16:17], v1 offset:8
	s_waitcnt lgkmcnt(0)
	v_mul_lo_u32 v18, v16, v15
	v_mul_lo_u32 v17, v17, v14
	v_mad_u64_u32 v[14:15], s[2:3], v16, v14, 0
	v_add3_u32 v15, v15, v18, v17
	ds_write_b64 v1, v[14:15] offset:8
.LBB290_125:
	s_or_b64 exec, exec, s[8:9]
	v_pk_mov_b32 v[14:15], v[40:41], v[40:41] op_sel:[0,1]
	s_waitcnt lgkmcnt(0)
	s_barrier
	s_and_saveexec_b64 s[2:3], s[0:1]
	s_cbranch_execz .LBB290_127
; %bb.126:
	v_add_u32_e32 v1, -1, v0
	v_lshrrev_b32_e32 v14, 5, v1
	v_add_lshl_u32 v1, v14, v1, 3
	ds_read_b64 v[14:15], v1
.LBB290_127:
	s_or_b64 exec, exec, s[2:3]
	s_and_saveexec_b64 s[2:3], s[0:1]
	s_cbranch_execz .LBB290_129
; %bb.128:
	s_waitcnt lgkmcnt(0)
	v_mul_lo_u32 v1, v15, v2
	v_mul_lo_u32 v15, v14, v3
	v_mad_u64_u32 v[2:3], s[0:1], v14, v2, 0
	v_add3_u32 v3, v3, v15, v1
	v_mul_lo_u32 v1, v3, v4
	v_mul_lo_u32 v5, v2, v5
	v_mad_u64_u32 v[30:31], s[0:1], v2, v4, 0
	v_add3_u32 v31, v31, v5, v1
	;; [unrolled: 4-line block ×7, first 2 shown]
	;;#ASMSTART
	;;#ASMEND
.LBB290_129:
	s_or_b64 exec, exec, s[2:3]
	v_pk_mov_b32 v[26:27], v[40:41], v[40:41] op_sel:[0,1]
	v_pk_mov_b32 v[46:47], v[38:39], v[38:39] op_sel:[0,1]
	;; [unrolled: 1-line block ×6, first 2 shown]
	s_waitcnt lgkmcnt(0)
	v_pk_mov_b32 v[14:15], v[2:3], v[2:3] op_sel:[0,1]
.LBB290_130:
	s_movk_i32 s0, 0x7f
	v_cmp_eq_u32_e32 vcc, s0, v0
	s_and_saveexec_b64 s[0:1], vcc
	s_cbranch_execz .LBB290_132
; %bb.131:
	s_add_u32 s2, s6, 0x400
	s_addc_u32 s3, s7, 0
	v_mov_b32_e32 v28, 2
	v_mov_b32_e32 v29, 0
	v_pk_mov_b32 v[2:3], s[2:3], s[2:3] op_sel:[0,1]
	;;#ASMSTART
	global_store_dwordx4 v[2:3], v[26:29] off	
s_waitcnt vmcnt(0)
	;;#ASMEND
.LBB290_132:
	s_or_b64 exec, exec, s[0:1]
.LBB290_133:
	s_add_u32 s0, s20, s18
	s_addc_u32 s1, s21, s19
	s_add_u32 s2, s0, s22
	s_addc_u32 s3, s1, s23
	s_mov_b64 s[0:1], -1
	s_and_b64 vcc, exec, s[16:17]
	v_mul_u32_u24_e32 v1, 56, v0
	s_barrier
	s_cbranch_vccz .LBB290_135
; %bb.134:
	v_mul_i32_i24_e32 v2, 0xffffffd0, v0
	v_mad_u32_u24 v16, v0, 56, v2
	ds_write2_b64 v1, v[14:15], v[42:43] offset1:1
	ds_write2_b64 v1, v[18:19], v[44:45] offset0:2 offset1:3
	ds_write2_b64 v1, v[22:23], v[46:47] offset0:4 offset1:5
	ds_write_b64 v1, v[26:27] offset:48
	s_waitcnt lgkmcnt(0)
	s_barrier
	ds_read2st64_b64 v[2:5], v16 offset1:2
	ds_read2st64_b64 v[6:9], v16 offset0:4 offset1:6
	ds_read2st64_b64 v[10:13], v16 offset0:8 offset1:10
	ds_read_b64 v[16:17], v16 offset:6144
	v_mov_b32_e32 v21, s3
	v_add_co_u32_e32 v20, vcc, s2, v48
	v_addc_co_u32_e32 v21, vcc, 0, v21, vcc
	s_waitcnt lgkmcnt(3)
	flat_store_dwordx2 v[20:21], v[2:3]
	flat_store_dwordx2 v[20:21], v[4:5] offset:1024
	s_waitcnt lgkmcnt(0)
	flat_store_dwordx2 v[20:21], v[6:7] offset:2048
	flat_store_dwordx2 v[20:21], v[8:9] offset:3072
	v_add_co_u32_e32 v2, vcc, 0x1000, v20
	v_addc_co_u32_e32 v3, vcc, 0, v21, vcc
	flat_store_dwordx2 v[2:3], v[10:11]
	flat_store_dwordx2 v[2:3], v[12:13] offset:1024
	flat_store_dwordx2 v[2:3], v[16:17] offset:2048
	s_mov_b64 s[0:1], 0
.LBB290_135:
	s_andn2_b64 vcc, exec, s[0:1]
	s_cbranch_vccnz .LBB290_174
; %bb.136:
	v_mul_i32_i24_e32 v2, 0xffffffd0, v0
	ds_write2_b64 v1, v[14:15], v[42:43] offset1:1
	ds_write2_b64 v1, v[18:19], v[44:45] offset0:2 offset1:3
	ds_write2_b64 v1, v[22:23], v[46:47] offset0:4 offset1:5
	ds_write_b64 v1, v[26:27] offset:48
	v_mad_u32_u24 v14, v0, 56, v2
	s_waitcnt lgkmcnt(0)
	s_barrier
	ds_read2st64_b64 v[2:5], v14 offset1:2
	ds_read2st64_b64 v[6:9], v14 offset0:4 offset1:6
	ds_read2st64_b64 v[10:13], v14 offset0:8 offset1:10
	ds_read_b64 v[14:15], v14 offset:6144
	v_mov_b32_e32 v17, s3
	v_add_co_u32_e32 v16, vcc, s2, v48
	v_addc_co_u32_e32 v17, vcc, 0, v17, vcc
	v_mov_b32_e32 v1, 0
	v_cmp_gt_u32_e32 vcc, s33, v0
	s_and_saveexec_b64 s[0:1], vcc
	s_cbranch_execz .LBB290_138
; %bb.137:
	s_waitcnt lgkmcnt(0)
	flat_store_dwordx2 v[16:17], v[2:3]
.LBB290_138:
	s_or_b64 exec, exec, s[0:1]
	v_or_b32_e32 v18, 0x80, v0
	v_cmp_gt_u32_e32 vcc, s33, v18
	s_and_saveexec_b64 s[0:1], vcc
	s_cbranch_execz .LBB290_140
; %bb.139:
	s_waitcnt lgkmcnt(0)
	flat_store_dwordx2 v[16:17], v[4:5] offset:1024
.LBB290_140:
	s_or_b64 exec, exec, s[0:1]
	v_or_b32_e32 v18, 0x100, v0
	v_cmp_gt_u32_e32 vcc, s33, v18
	s_and_saveexec_b64 s[0:1], vcc
	s_cbranch_execz .LBB290_142
; %bb.141:
	s_waitcnt lgkmcnt(0)
	flat_store_dwordx2 v[16:17], v[6:7] offset:2048
.LBB290_142:
	;; [unrolled: 9-line block ×3, first 2 shown]
	s_or_b64 exec, exec, s[0:1]
	v_or_b32_e32 v18, 0x200, v0
	v_cmp_gt_u32_e32 vcc, s33, v18
	s_and_saveexec_b64 s[0:1], vcc
	s_cbranch_execz .LBB290_146
; %bb.145:
	v_add_co_u32_e32 v18, vcc, 0x1000, v16
	v_addc_co_u32_e32 v19, vcc, 0, v17, vcc
	s_waitcnt lgkmcnt(0)
	flat_store_dwordx2 v[18:19], v[10:11]
.LBB290_146:
	s_or_b64 exec, exec, s[0:1]
	v_or_b32_e32 v18, 0x280, v0
	v_cmp_gt_u32_e32 vcc, s33, v18
	s_and_saveexec_b64 s[0:1], vcc
	s_cbranch_execz .LBB290_148
; %bb.147:
	v_add_co_u32_e32 v18, vcc, 0x1000, v16
	v_addc_co_u32_e32 v19, vcc, 0, v17, vcc
	s_waitcnt lgkmcnt(0)
	flat_store_dwordx2 v[18:19], v[12:13] offset:1024
.LBB290_148:
	s_or_b64 exec, exec, s[0:1]
	v_or_b32_e32 v18, 0x300, v0
	v_cmp_gt_u32_e32 vcc, s33, v18
	s_and_saveexec_b64 s[0:1], vcc
	s_cbranch_execz .LBB290_150
; %bb.149:
	v_add_co_u32_e32 v16, vcc, 0x1000, v16
	v_addc_co_u32_e32 v17, vcc, 0, v17, vcc
	s_waitcnt lgkmcnt(0)
	flat_store_dwordx2 v[16:17], v[14:15] offset:2048
.LBB290_150:
	s_or_b64 exec, exec, s[0:1]
	v_cmp_lt_u64_e64 s[0:1], s[14:15], 2
	s_and_b64 vcc, exec, s[0:1]
	s_cbranch_vccnz .LBB290_174
; %bb.151:
	s_add_u32 s0, s33, -1
	s_addc_u32 s1, s34, -1
	s_add_u32 s2, 0, 0x92481000
	s_addc_u32 s3, 0, 0x64
	s_add_i32 s3, s3, 0x249248c0
	s_mul_hi_u32 s7, s2, -7
	s_sub_i32 s7, s7, s2
	s_mul_i32 s8, s3, -7
	s_mul_i32 s4, s2, -7
	s_add_i32 s7, s7, s8
	s_mul_hi_u32 s5, s3, s4
	s_mul_i32 s6, s3, s4
	s_mul_i32 s9, s2, s7
	s_mul_hi_u32 s4, s2, s4
	s_mul_hi_u32 s8, s2, s7
	s_add_u32 s4, s4, s9
	s_addc_u32 s8, 0, s8
	s_add_u32 s4, s4, s6
	s_mul_hi_u32 s9, s3, s7
	s_addc_u32 s4, s8, s5
	s_addc_u32 s5, s9, 0
	s_mul_i32 s6, s3, s7
	s_add_u32 s4, s4, s6
	v_mov_b32_e32 v16, s4
	s_addc_u32 s5, 0, s5
	v_add_co_u32_e32 v16, vcc, s2, v16
	s_cmp_lg_u64 vcc, 0
	s_addc_u32 s2, s3, s5
	v_readfirstlane_b32 s5, v16
	s_mul_i32 s4, s0, s2
	s_mul_hi_u32 s6, s0, s5
	s_mul_hi_u32 s3, s0, s2
	s_add_u32 s4, s6, s4
	s_addc_u32 s3, 0, s3
	s_mul_hi_u32 s7, s1, s5
	s_mul_i32 s5, s1, s5
	s_add_u32 s4, s4, s5
	s_mul_hi_u32 s6, s1, s2
	s_addc_u32 s3, s3, s7
	s_addc_u32 s4, s6, 0
	s_mul_i32 s2, s1, s2
	s_add_u32 s2, s3, s2
	s_addc_u32 s3, 0, s4
	s_add_u32 s4, s2, 1
	s_addc_u32 s5, s3, 0
	s_add_u32 s6, s2, 2
	s_mul_i32 s8, s3, 7
	s_mul_hi_u32 s9, s2, 7
	s_addc_u32 s7, s3, 0
	s_add_i32 s9, s9, s8
	s_mul_i32 s8, s2, 7
	v_mov_b32_e32 v16, s8
	v_sub_co_u32_e32 v16, vcc, s0, v16
	s_cmp_lg_u64 vcc, 0
	s_subb_u32 s8, s1, s9
	v_subrev_co_u32_e32 v17, vcc, 7, v16
	s_cmp_lg_u64 vcc, 0
	s_subb_u32 s9, s8, 0
	v_readfirstlane_b32 s12, v17
	s_cmp_gt_u32 s12, 6
	s_cselect_b32 s12, -1, 0
	s_cmp_eq_u32 s9, 0
	s_cselect_b32 s9, s12, -1
	s_cmp_lg_u32 s9, 0
	s_cselect_b32 s4, s6, s4
	v_readfirstlane_b32 s6, v16
	s_cselect_b32 s5, s7, s5
	s_cmp_gt_u32 s6, 6
	s_cselect_b32 s6, -1, 0
	s_cmp_eq_u32 s8, 0
	s_cselect_b32 s6, s6, -1
	s_cmp_lg_u32 s6, 0
	s_cselect_b32 s3, s5, s3
	s_cselect_b32 s2, s4, s2
	v_cmp_eq_u64_e32 vcc, s[2:3], v[0:1]
	s_and_saveexec_b64 s[2:3], vcc
	s_cbranch_execz .LBB290_174
; %bb.152:
	v_mul_hi_u32_u24_e32 v1, 7, v0
	v_mov_b32_e32 v16, s1
	v_sub_co_u32_e32 v0, vcc, s0, v49
	v_subb_co_u32_e32 v1, vcc, v16, v1, vcc
	v_cmp_lt_i64_e32 vcc, 3, v[0:1]
	s_and_saveexec_b64 s[0:1], vcc
	s_xor_b64 s[0:1], exec, s[0:1]
	s_cbranch_execz .LBB290_162
; %bb.153:
	v_cmp_lt_i64_e32 vcc, 4, v[0:1]
	s_and_saveexec_b64 s[2:3], vcc
	s_xor_b64 s[2:3], exec, s[2:3]
	s_cbranch_execz .LBB290_159
; %bb.154:
	;; [unrolled: 5-line block ×3, first 2 shown]
	v_mov_b32_e32 v0, 0
	s_waitcnt lgkmcnt(0)
	global_store_dwordx2 v0, v[14:15], s[10:11]
                                        ; implicit-def: $vgpr10_vgpr11_vgpr12_vgpr13
.LBB290_156:
	s_andn2_saveexec_b64 s[4:5], s[4:5]
	s_cbranch_execz .LBB290_158
; %bb.157:
	v_mov_b32_e32 v0, 0
	s_waitcnt lgkmcnt(0)
	global_store_dwordx2 v0, v[12:13], s[10:11]
.LBB290_158:
	s_or_b64 exec, exec, s[4:5]
                                        ; implicit-def: $vgpr10_vgpr11_vgpr12_vgpr13
.LBB290_159:
	s_andn2_saveexec_b64 s[2:3], s[2:3]
	s_cbranch_execz .LBB290_161
; %bb.160:
	v_mov_b32_e32 v0, 0
	s_waitcnt lgkmcnt(0)
	global_store_dwordx2 v0, v[10:11], s[10:11]
.LBB290_161:
	s_or_b64 exec, exec, s[2:3]
                                        ; implicit-def: $vgpr0_vgpr1
                                        ; implicit-def: $vgpr2_vgpr3_vgpr4_vgpr5
                                        ; implicit-def: $vgpr6_vgpr7_vgpr8_vgpr9
.LBB290_162:
	s_andn2_saveexec_b64 s[0:1], s[0:1]
	s_cbranch_execz .LBB290_174
; %bb.163:
	v_cmp_lt_i64_e32 vcc, 1, v[0:1]
	s_and_saveexec_b64 s[0:1], vcc
	s_xor_b64 s[0:1], exec, s[0:1]
	s_cbranch_execz .LBB290_169
; %bb.164:
	v_cmp_lt_i64_e32 vcc, 2, v[0:1]
	s_and_saveexec_b64 s[2:3], vcc
	s_xor_b64 s[2:3], exec, s[2:3]
	s_cbranch_execz .LBB290_166
; %bb.165:
	v_mov_b32_e32 v0, 0
	s_waitcnt lgkmcnt(0)
	global_store_dwordx2 v0, v[8:9], s[10:11]
                                        ; implicit-def: $vgpr6_vgpr7_vgpr8_vgpr9
.LBB290_166:
	s_andn2_saveexec_b64 s[2:3], s[2:3]
	s_cbranch_execz .LBB290_168
; %bb.167:
	v_mov_b32_e32 v0, 0
	s_waitcnt lgkmcnt(0)
	global_store_dwordx2 v0, v[6:7], s[10:11]
.LBB290_168:
	s_or_b64 exec, exec, s[2:3]
                                        ; implicit-def: $vgpr2_vgpr3_vgpr4_vgpr5
                                        ; implicit-def: $vgpr0_vgpr1
.LBB290_169:
	s_andn2_saveexec_b64 s[0:1], s[0:1]
	s_cbranch_execz .LBB290_174
; %bb.170:
	v_cmp_ne_u64_e32 vcc, 1, v[0:1]
	s_and_saveexec_b64 s[0:1], vcc
	s_xor_b64 s[0:1], exec, s[0:1]
	s_cbranch_execz .LBB290_172
; %bb.171:
	v_mov_b32_e32 v0, 0
	s_waitcnt lgkmcnt(0)
	global_store_dwordx2 v0, v[2:3], s[10:11]
                                        ; implicit-def: $vgpr2_vgpr3_vgpr4_vgpr5
.LBB290_172:
	s_andn2_saveexec_b64 s[0:1], s[0:1]
	s_cbranch_execz .LBB290_174
; %bb.173:
	v_mov_b32_e32 v0, 0
	s_waitcnt lgkmcnt(0)
	global_store_dwordx2 v0, v[4:5], s[10:11]
.LBB290_174:
	s_endpgm
	.section	.rodata,"a",@progbits
	.p2align	6, 0x0
	.amdhsa_kernel _ZN7rocprim17ROCPRIM_400000_NS6detail17trampoline_kernelINS0_14default_configENS1_20scan_config_selectorIxEEZZNS1_9scan_implILNS1_25lookback_scan_determinismE0ELb0ELb1ES3_N6thrust23THRUST_200600_302600_NS6detail15normal_iteratorINS9_10device_ptrIxEEEESE_xNS9_10multipliesIxEExEEDaPvRmT3_T4_T5_mT6_P12ihipStream_tbENKUlT_T0_E_clISt17integral_constantIbLb1EESU_EEDaSP_SQ_EUlSP_E_NS1_11comp_targetILNS1_3genE4ELNS1_11target_archE910ELNS1_3gpuE8ELNS1_3repE0EEENS1_30default_config_static_selectorELNS0_4arch9wavefront6targetE1EEEvT1_
		.amdhsa_group_segment_fixed_size 7168
		.amdhsa_private_segment_fixed_size 0
		.amdhsa_kernarg_size 104
		.amdhsa_user_sgpr_count 6
		.amdhsa_user_sgpr_private_segment_buffer 1
		.amdhsa_user_sgpr_dispatch_ptr 0
		.amdhsa_user_sgpr_queue_ptr 0
		.amdhsa_user_sgpr_kernarg_segment_ptr 1
		.amdhsa_user_sgpr_dispatch_id 0
		.amdhsa_user_sgpr_flat_scratch_init 0
		.amdhsa_user_sgpr_kernarg_preload_length 0
		.amdhsa_user_sgpr_kernarg_preload_offset 0
		.amdhsa_user_sgpr_private_segment_size 0
		.amdhsa_uses_dynamic_stack 0
		.amdhsa_system_sgpr_private_segment_wavefront_offset 0
		.amdhsa_system_sgpr_workgroup_id_x 1
		.amdhsa_system_sgpr_workgroup_id_y 0
		.amdhsa_system_sgpr_workgroup_id_z 0
		.amdhsa_system_sgpr_workgroup_info 0
		.amdhsa_system_vgpr_workitem_id 0
		.amdhsa_next_free_vgpr 50
		.amdhsa_next_free_sgpr 40
		.amdhsa_accum_offset 52
		.amdhsa_reserve_vcc 1
		.amdhsa_reserve_flat_scratch 0
		.amdhsa_float_round_mode_32 0
		.amdhsa_float_round_mode_16_64 0
		.amdhsa_float_denorm_mode_32 3
		.amdhsa_float_denorm_mode_16_64 3
		.amdhsa_dx10_clamp 1
		.amdhsa_ieee_mode 1
		.amdhsa_fp16_overflow 0
		.amdhsa_tg_split 0
		.amdhsa_exception_fp_ieee_invalid_op 0
		.amdhsa_exception_fp_denorm_src 0
		.amdhsa_exception_fp_ieee_div_zero 0
		.amdhsa_exception_fp_ieee_overflow 0
		.amdhsa_exception_fp_ieee_underflow 0
		.amdhsa_exception_fp_ieee_inexact 0
		.amdhsa_exception_int_div_zero 0
	.end_amdhsa_kernel
	.section	.text._ZN7rocprim17ROCPRIM_400000_NS6detail17trampoline_kernelINS0_14default_configENS1_20scan_config_selectorIxEEZZNS1_9scan_implILNS1_25lookback_scan_determinismE0ELb0ELb1ES3_N6thrust23THRUST_200600_302600_NS6detail15normal_iteratorINS9_10device_ptrIxEEEESE_xNS9_10multipliesIxEExEEDaPvRmT3_T4_T5_mT6_P12ihipStream_tbENKUlT_T0_E_clISt17integral_constantIbLb1EESU_EEDaSP_SQ_EUlSP_E_NS1_11comp_targetILNS1_3genE4ELNS1_11target_archE910ELNS1_3gpuE8ELNS1_3repE0EEENS1_30default_config_static_selectorELNS0_4arch9wavefront6targetE1EEEvT1_,"axG",@progbits,_ZN7rocprim17ROCPRIM_400000_NS6detail17trampoline_kernelINS0_14default_configENS1_20scan_config_selectorIxEEZZNS1_9scan_implILNS1_25lookback_scan_determinismE0ELb0ELb1ES3_N6thrust23THRUST_200600_302600_NS6detail15normal_iteratorINS9_10device_ptrIxEEEESE_xNS9_10multipliesIxEExEEDaPvRmT3_T4_T5_mT6_P12ihipStream_tbENKUlT_T0_E_clISt17integral_constantIbLb1EESU_EEDaSP_SQ_EUlSP_E_NS1_11comp_targetILNS1_3genE4ELNS1_11target_archE910ELNS1_3gpuE8ELNS1_3repE0EEENS1_30default_config_static_selectorELNS0_4arch9wavefront6targetE1EEEvT1_,comdat
.Lfunc_end290:
	.size	_ZN7rocprim17ROCPRIM_400000_NS6detail17trampoline_kernelINS0_14default_configENS1_20scan_config_selectorIxEEZZNS1_9scan_implILNS1_25lookback_scan_determinismE0ELb0ELb1ES3_N6thrust23THRUST_200600_302600_NS6detail15normal_iteratorINS9_10device_ptrIxEEEESE_xNS9_10multipliesIxEExEEDaPvRmT3_T4_T5_mT6_P12ihipStream_tbENKUlT_T0_E_clISt17integral_constantIbLb1EESU_EEDaSP_SQ_EUlSP_E_NS1_11comp_targetILNS1_3genE4ELNS1_11target_archE910ELNS1_3gpuE8ELNS1_3repE0EEENS1_30default_config_static_selectorELNS0_4arch9wavefront6targetE1EEEvT1_, .Lfunc_end290-_ZN7rocprim17ROCPRIM_400000_NS6detail17trampoline_kernelINS0_14default_configENS1_20scan_config_selectorIxEEZZNS1_9scan_implILNS1_25lookback_scan_determinismE0ELb0ELb1ES3_N6thrust23THRUST_200600_302600_NS6detail15normal_iteratorINS9_10device_ptrIxEEEESE_xNS9_10multipliesIxEExEEDaPvRmT3_T4_T5_mT6_P12ihipStream_tbENKUlT_T0_E_clISt17integral_constantIbLb1EESU_EEDaSP_SQ_EUlSP_E_NS1_11comp_targetILNS1_3genE4ELNS1_11target_archE910ELNS1_3gpuE8ELNS1_3repE0EEENS1_30default_config_static_selectorELNS0_4arch9wavefront6targetE1EEEvT1_
                                        ; -- End function
	.section	.AMDGPU.csdata,"",@progbits
; Kernel info:
; codeLenInByte = 7888
; NumSgprs: 44
; NumVgprs: 50
; NumAgprs: 0
; TotalNumVgprs: 50
; ScratchSize: 0
; MemoryBound: 0
; FloatMode: 240
; IeeeMode: 1
; LDSByteSize: 7168 bytes/workgroup (compile time only)
; SGPRBlocks: 5
; VGPRBlocks: 6
; NumSGPRsForWavesPerEU: 44
; NumVGPRsForWavesPerEU: 50
; AccumOffset: 52
; Occupancy: 5
; WaveLimiterHint : 1
; COMPUTE_PGM_RSRC2:SCRATCH_EN: 0
; COMPUTE_PGM_RSRC2:USER_SGPR: 6
; COMPUTE_PGM_RSRC2:TRAP_HANDLER: 0
; COMPUTE_PGM_RSRC2:TGID_X_EN: 1
; COMPUTE_PGM_RSRC2:TGID_Y_EN: 0
; COMPUTE_PGM_RSRC2:TGID_Z_EN: 0
; COMPUTE_PGM_RSRC2:TIDIG_COMP_CNT: 0
; COMPUTE_PGM_RSRC3_GFX90A:ACCUM_OFFSET: 12
; COMPUTE_PGM_RSRC3_GFX90A:TG_SPLIT: 0
	.section	.text._ZN7rocprim17ROCPRIM_400000_NS6detail17trampoline_kernelINS0_14default_configENS1_20scan_config_selectorIxEEZZNS1_9scan_implILNS1_25lookback_scan_determinismE0ELb0ELb1ES3_N6thrust23THRUST_200600_302600_NS6detail15normal_iteratorINS9_10device_ptrIxEEEESE_xNS9_10multipliesIxEExEEDaPvRmT3_T4_T5_mT6_P12ihipStream_tbENKUlT_T0_E_clISt17integral_constantIbLb1EESU_EEDaSP_SQ_EUlSP_E_NS1_11comp_targetILNS1_3genE3ELNS1_11target_archE908ELNS1_3gpuE7ELNS1_3repE0EEENS1_30default_config_static_selectorELNS0_4arch9wavefront6targetE1EEEvT1_,"axG",@progbits,_ZN7rocprim17ROCPRIM_400000_NS6detail17trampoline_kernelINS0_14default_configENS1_20scan_config_selectorIxEEZZNS1_9scan_implILNS1_25lookback_scan_determinismE0ELb0ELb1ES3_N6thrust23THRUST_200600_302600_NS6detail15normal_iteratorINS9_10device_ptrIxEEEESE_xNS9_10multipliesIxEExEEDaPvRmT3_T4_T5_mT6_P12ihipStream_tbENKUlT_T0_E_clISt17integral_constantIbLb1EESU_EEDaSP_SQ_EUlSP_E_NS1_11comp_targetILNS1_3genE3ELNS1_11target_archE908ELNS1_3gpuE7ELNS1_3repE0EEENS1_30default_config_static_selectorELNS0_4arch9wavefront6targetE1EEEvT1_,comdat
	.protected	_ZN7rocprim17ROCPRIM_400000_NS6detail17trampoline_kernelINS0_14default_configENS1_20scan_config_selectorIxEEZZNS1_9scan_implILNS1_25lookback_scan_determinismE0ELb0ELb1ES3_N6thrust23THRUST_200600_302600_NS6detail15normal_iteratorINS9_10device_ptrIxEEEESE_xNS9_10multipliesIxEExEEDaPvRmT3_T4_T5_mT6_P12ihipStream_tbENKUlT_T0_E_clISt17integral_constantIbLb1EESU_EEDaSP_SQ_EUlSP_E_NS1_11comp_targetILNS1_3genE3ELNS1_11target_archE908ELNS1_3gpuE7ELNS1_3repE0EEENS1_30default_config_static_selectorELNS0_4arch9wavefront6targetE1EEEvT1_ ; -- Begin function _ZN7rocprim17ROCPRIM_400000_NS6detail17trampoline_kernelINS0_14default_configENS1_20scan_config_selectorIxEEZZNS1_9scan_implILNS1_25lookback_scan_determinismE0ELb0ELb1ES3_N6thrust23THRUST_200600_302600_NS6detail15normal_iteratorINS9_10device_ptrIxEEEESE_xNS9_10multipliesIxEExEEDaPvRmT3_T4_T5_mT6_P12ihipStream_tbENKUlT_T0_E_clISt17integral_constantIbLb1EESU_EEDaSP_SQ_EUlSP_E_NS1_11comp_targetILNS1_3genE3ELNS1_11target_archE908ELNS1_3gpuE7ELNS1_3repE0EEENS1_30default_config_static_selectorELNS0_4arch9wavefront6targetE1EEEvT1_
	.globl	_ZN7rocprim17ROCPRIM_400000_NS6detail17trampoline_kernelINS0_14default_configENS1_20scan_config_selectorIxEEZZNS1_9scan_implILNS1_25lookback_scan_determinismE0ELb0ELb1ES3_N6thrust23THRUST_200600_302600_NS6detail15normal_iteratorINS9_10device_ptrIxEEEESE_xNS9_10multipliesIxEExEEDaPvRmT3_T4_T5_mT6_P12ihipStream_tbENKUlT_T0_E_clISt17integral_constantIbLb1EESU_EEDaSP_SQ_EUlSP_E_NS1_11comp_targetILNS1_3genE3ELNS1_11target_archE908ELNS1_3gpuE7ELNS1_3repE0EEENS1_30default_config_static_selectorELNS0_4arch9wavefront6targetE1EEEvT1_
	.p2align	8
	.type	_ZN7rocprim17ROCPRIM_400000_NS6detail17trampoline_kernelINS0_14default_configENS1_20scan_config_selectorIxEEZZNS1_9scan_implILNS1_25lookback_scan_determinismE0ELb0ELb1ES3_N6thrust23THRUST_200600_302600_NS6detail15normal_iteratorINS9_10device_ptrIxEEEESE_xNS9_10multipliesIxEExEEDaPvRmT3_T4_T5_mT6_P12ihipStream_tbENKUlT_T0_E_clISt17integral_constantIbLb1EESU_EEDaSP_SQ_EUlSP_E_NS1_11comp_targetILNS1_3genE3ELNS1_11target_archE908ELNS1_3gpuE7ELNS1_3repE0EEENS1_30default_config_static_selectorELNS0_4arch9wavefront6targetE1EEEvT1_,@function
_ZN7rocprim17ROCPRIM_400000_NS6detail17trampoline_kernelINS0_14default_configENS1_20scan_config_selectorIxEEZZNS1_9scan_implILNS1_25lookback_scan_determinismE0ELb0ELb1ES3_N6thrust23THRUST_200600_302600_NS6detail15normal_iteratorINS9_10device_ptrIxEEEESE_xNS9_10multipliesIxEExEEDaPvRmT3_T4_T5_mT6_P12ihipStream_tbENKUlT_T0_E_clISt17integral_constantIbLb1EESU_EEDaSP_SQ_EUlSP_E_NS1_11comp_targetILNS1_3genE3ELNS1_11target_archE908ELNS1_3gpuE7ELNS1_3repE0EEENS1_30default_config_static_selectorELNS0_4arch9wavefront6targetE1EEEvT1_: ; @_ZN7rocprim17ROCPRIM_400000_NS6detail17trampoline_kernelINS0_14default_configENS1_20scan_config_selectorIxEEZZNS1_9scan_implILNS1_25lookback_scan_determinismE0ELb0ELb1ES3_N6thrust23THRUST_200600_302600_NS6detail15normal_iteratorINS9_10device_ptrIxEEEESE_xNS9_10multipliesIxEExEEDaPvRmT3_T4_T5_mT6_P12ihipStream_tbENKUlT_T0_E_clISt17integral_constantIbLb1EESU_EEDaSP_SQ_EUlSP_E_NS1_11comp_targetILNS1_3genE3ELNS1_11target_archE908ELNS1_3gpuE7ELNS1_3repE0EEENS1_30default_config_static_selectorELNS0_4arch9wavefront6targetE1EEEvT1_
; %bb.0:
	.section	.rodata,"a",@progbits
	.p2align	6, 0x0
	.amdhsa_kernel _ZN7rocprim17ROCPRIM_400000_NS6detail17trampoline_kernelINS0_14default_configENS1_20scan_config_selectorIxEEZZNS1_9scan_implILNS1_25lookback_scan_determinismE0ELb0ELb1ES3_N6thrust23THRUST_200600_302600_NS6detail15normal_iteratorINS9_10device_ptrIxEEEESE_xNS9_10multipliesIxEExEEDaPvRmT3_T4_T5_mT6_P12ihipStream_tbENKUlT_T0_E_clISt17integral_constantIbLb1EESU_EEDaSP_SQ_EUlSP_E_NS1_11comp_targetILNS1_3genE3ELNS1_11target_archE908ELNS1_3gpuE7ELNS1_3repE0EEENS1_30default_config_static_selectorELNS0_4arch9wavefront6targetE1EEEvT1_
		.amdhsa_group_segment_fixed_size 0
		.amdhsa_private_segment_fixed_size 0
		.amdhsa_kernarg_size 104
		.amdhsa_user_sgpr_count 6
		.amdhsa_user_sgpr_private_segment_buffer 1
		.amdhsa_user_sgpr_dispatch_ptr 0
		.amdhsa_user_sgpr_queue_ptr 0
		.amdhsa_user_sgpr_kernarg_segment_ptr 1
		.amdhsa_user_sgpr_dispatch_id 0
		.amdhsa_user_sgpr_flat_scratch_init 0
		.amdhsa_user_sgpr_kernarg_preload_length 0
		.amdhsa_user_sgpr_kernarg_preload_offset 0
		.amdhsa_user_sgpr_private_segment_size 0
		.amdhsa_uses_dynamic_stack 0
		.amdhsa_system_sgpr_private_segment_wavefront_offset 0
		.amdhsa_system_sgpr_workgroup_id_x 1
		.amdhsa_system_sgpr_workgroup_id_y 0
		.amdhsa_system_sgpr_workgroup_id_z 0
		.amdhsa_system_sgpr_workgroup_info 0
		.amdhsa_system_vgpr_workitem_id 0
		.amdhsa_next_free_vgpr 1
		.amdhsa_next_free_sgpr 0
		.amdhsa_accum_offset 4
		.amdhsa_reserve_vcc 0
		.amdhsa_reserve_flat_scratch 0
		.amdhsa_float_round_mode_32 0
		.amdhsa_float_round_mode_16_64 0
		.amdhsa_float_denorm_mode_32 3
		.amdhsa_float_denorm_mode_16_64 3
		.amdhsa_dx10_clamp 1
		.amdhsa_ieee_mode 1
		.amdhsa_fp16_overflow 0
		.amdhsa_tg_split 0
		.amdhsa_exception_fp_ieee_invalid_op 0
		.amdhsa_exception_fp_denorm_src 0
		.amdhsa_exception_fp_ieee_div_zero 0
		.amdhsa_exception_fp_ieee_overflow 0
		.amdhsa_exception_fp_ieee_underflow 0
		.amdhsa_exception_fp_ieee_inexact 0
		.amdhsa_exception_int_div_zero 0
	.end_amdhsa_kernel
	.section	.text._ZN7rocprim17ROCPRIM_400000_NS6detail17trampoline_kernelINS0_14default_configENS1_20scan_config_selectorIxEEZZNS1_9scan_implILNS1_25lookback_scan_determinismE0ELb0ELb1ES3_N6thrust23THRUST_200600_302600_NS6detail15normal_iteratorINS9_10device_ptrIxEEEESE_xNS9_10multipliesIxEExEEDaPvRmT3_T4_T5_mT6_P12ihipStream_tbENKUlT_T0_E_clISt17integral_constantIbLb1EESU_EEDaSP_SQ_EUlSP_E_NS1_11comp_targetILNS1_3genE3ELNS1_11target_archE908ELNS1_3gpuE7ELNS1_3repE0EEENS1_30default_config_static_selectorELNS0_4arch9wavefront6targetE1EEEvT1_,"axG",@progbits,_ZN7rocprim17ROCPRIM_400000_NS6detail17trampoline_kernelINS0_14default_configENS1_20scan_config_selectorIxEEZZNS1_9scan_implILNS1_25lookback_scan_determinismE0ELb0ELb1ES3_N6thrust23THRUST_200600_302600_NS6detail15normal_iteratorINS9_10device_ptrIxEEEESE_xNS9_10multipliesIxEExEEDaPvRmT3_T4_T5_mT6_P12ihipStream_tbENKUlT_T0_E_clISt17integral_constantIbLb1EESU_EEDaSP_SQ_EUlSP_E_NS1_11comp_targetILNS1_3genE3ELNS1_11target_archE908ELNS1_3gpuE7ELNS1_3repE0EEENS1_30default_config_static_selectorELNS0_4arch9wavefront6targetE1EEEvT1_,comdat
.Lfunc_end291:
	.size	_ZN7rocprim17ROCPRIM_400000_NS6detail17trampoline_kernelINS0_14default_configENS1_20scan_config_selectorIxEEZZNS1_9scan_implILNS1_25lookback_scan_determinismE0ELb0ELb1ES3_N6thrust23THRUST_200600_302600_NS6detail15normal_iteratorINS9_10device_ptrIxEEEESE_xNS9_10multipliesIxEExEEDaPvRmT3_T4_T5_mT6_P12ihipStream_tbENKUlT_T0_E_clISt17integral_constantIbLb1EESU_EEDaSP_SQ_EUlSP_E_NS1_11comp_targetILNS1_3genE3ELNS1_11target_archE908ELNS1_3gpuE7ELNS1_3repE0EEENS1_30default_config_static_selectorELNS0_4arch9wavefront6targetE1EEEvT1_, .Lfunc_end291-_ZN7rocprim17ROCPRIM_400000_NS6detail17trampoline_kernelINS0_14default_configENS1_20scan_config_selectorIxEEZZNS1_9scan_implILNS1_25lookback_scan_determinismE0ELb0ELb1ES3_N6thrust23THRUST_200600_302600_NS6detail15normal_iteratorINS9_10device_ptrIxEEEESE_xNS9_10multipliesIxEExEEDaPvRmT3_T4_T5_mT6_P12ihipStream_tbENKUlT_T0_E_clISt17integral_constantIbLb1EESU_EEDaSP_SQ_EUlSP_E_NS1_11comp_targetILNS1_3genE3ELNS1_11target_archE908ELNS1_3gpuE7ELNS1_3repE0EEENS1_30default_config_static_selectorELNS0_4arch9wavefront6targetE1EEEvT1_
                                        ; -- End function
	.section	.AMDGPU.csdata,"",@progbits
; Kernel info:
; codeLenInByte = 0
; NumSgprs: 4
; NumVgprs: 0
; NumAgprs: 0
; TotalNumVgprs: 0
; ScratchSize: 0
; MemoryBound: 0
; FloatMode: 240
; IeeeMode: 1
; LDSByteSize: 0 bytes/workgroup (compile time only)
; SGPRBlocks: 0
; VGPRBlocks: 0
; NumSGPRsForWavesPerEU: 4
; NumVGPRsForWavesPerEU: 1
; AccumOffset: 4
; Occupancy: 8
; WaveLimiterHint : 0
; COMPUTE_PGM_RSRC2:SCRATCH_EN: 0
; COMPUTE_PGM_RSRC2:USER_SGPR: 6
; COMPUTE_PGM_RSRC2:TRAP_HANDLER: 0
; COMPUTE_PGM_RSRC2:TGID_X_EN: 1
; COMPUTE_PGM_RSRC2:TGID_Y_EN: 0
; COMPUTE_PGM_RSRC2:TGID_Z_EN: 0
; COMPUTE_PGM_RSRC2:TIDIG_COMP_CNT: 0
; COMPUTE_PGM_RSRC3_GFX90A:ACCUM_OFFSET: 0
; COMPUTE_PGM_RSRC3_GFX90A:TG_SPLIT: 0
	.section	.text._ZN7rocprim17ROCPRIM_400000_NS6detail17trampoline_kernelINS0_14default_configENS1_20scan_config_selectorIxEEZZNS1_9scan_implILNS1_25lookback_scan_determinismE0ELb0ELb1ES3_N6thrust23THRUST_200600_302600_NS6detail15normal_iteratorINS9_10device_ptrIxEEEESE_xNS9_10multipliesIxEExEEDaPvRmT3_T4_T5_mT6_P12ihipStream_tbENKUlT_T0_E_clISt17integral_constantIbLb1EESU_EEDaSP_SQ_EUlSP_E_NS1_11comp_targetILNS1_3genE2ELNS1_11target_archE906ELNS1_3gpuE6ELNS1_3repE0EEENS1_30default_config_static_selectorELNS0_4arch9wavefront6targetE1EEEvT1_,"axG",@progbits,_ZN7rocprim17ROCPRIM_400000_NS6detail17trampoline_kernelINS0_14default_configENS1_20scan_config_selectorIxEEZZNS1_9scan_implILNS1_25lookback_scan_determinismE0ELb0ELb1ES3_N6thrust23THRUST_200600_302600_NS6detail15normal_iteratorINS9_10device_ptrIxEEEESE_xNS9_10multipliesIxEExEEDaPvRmT3_T4_T5_mT6_P12ihipStream_tbENKUlT_T0_E_clISt17integral_constantIbLb1EESU_EEDaSP_SQ_EUlSP_E_NS1_11comp_targetILNS1_3genE2ELNS1_11target_archE906ELNS1_3gpuE6ELNS1_3repE0EEENS1_30default_config_static_selectorELNS0_4arch9wavefront6targetE1EEEvT1_,comdat
	.protected	_ZN7rocprim17ROCPRIM_400000_NS6detail17trampoline_kernelINS0_14default_configENS1_20scan_config_selectorIxEEZZNS1_9scan_implILNS1_25lookback_scan_determinismE0ELb0ELb1ES3_N6thrust23THRUST_200600_302600_NS6detail15normal_iteratorINS9_10device_ptrIxEEEESE_xNS9_10multipliesIxEExEEDaPvRmT3_T4_T5_mT6_P12ihipStream_tbENKUlT_T0_E_clISt17integral_constantIbLb1EESU_EEDaSP_SQ_EUlSP_E_NS1_11comp_targetILNS1_3genE2ELNS1_11target_archE906ELNS1_3gpuE6ELNS1_3repE0EEENS1_30default_config_static_selectorELNS0_4arch9wavefront6targetE1EEEvT1_ ; -- Begin function _ZN7rocprim17ROCPRIM_400000_NS6detail17trampoline_kernelINS0_14default_configENS1_20scan_config_selectorIxEEZZNS1_9scan_implILNS1_25lookback_scan_determinismE0ELb0ELb1ES3_N6thrust23THRUST_200600_302600_NS6detail15normal_iteratorINS9_10device_ptrIxEEEESE_xNS9_10multipliesIxEExEEDaPvRmT3_T4_T5_mT6_P12ihipStream_tbENKUlT_T0_E_clISt17integral_constantIbLb1EESU_EEDaSP_SQ_EUlSP_E_NS1_11comp_targetILNS1_3genE2ELNS1_11target_archE906ELNS1_3gpuE6ELNS1_3repE0EEENS1_30default_config_static_selectorELNS0_4arch9wavefront6targetE1EEEvT1_
	.globl	_ZN7rocprim17ROCPRIM_400000_NS6detail17trampoline_kernelINS0_14default_configENS1_20scan_config_selectorIxEEZZNS1_9scan_implILNS1_25lookback_scan_determinismE0ELb0ELb1ES3_N6thrust23THRUST_200600_302600_NS6detail15normal_iteratorINS9_10device_ptrIxEEEESE_xNS9_10multipliesIxEExEEDaPvRmT3_T4_T5_mT6_P12ihipStream_tbENKUlT_T0_E_clISt17integral_constantIbLb1EESU_EEDaSP_SQ_EUlSP_E_NS1_11comp_targetILNS1_3genE2ELNS1_11target_archE906ELNS1_3gpuE6ELNS1_3repE0EEENS1_30default_config_static_selectorELNS0_4arch9wavefront6targetE1EEEvT1_
	.p2align	8
	.type	_ZN7rocprim17ROCPRIM_400000_NS6detail17trampoline_kernelINS0_14default_configENS1_20scan_config_selectorIxEEZZNS1_9scan_implILNS1_25lookback_scan_determinismE0ELb0ELb1ES3_N6thrust23THRUST_200600_302600_NS6detail15normal_iteratorINS9_10device_ptrIxEEEESE_xNS9_10multipliesIxEExEEDaPvRmT3_T4_T5_mT6_P12ihipStream_tbENKUlT_T0_E_clISt17integral_constantIbLb1EESU_EEDaSP_SQ_EUlSP_E_NS1_11comp_targetILNS1_3genE2ELNS1_11target_archE906ELNS1_3gpuE6ELNS1_3repE0EEENS1_30default_config_static_selectorELNS0_4arch9wavefront6targetE1EEEvT1_,@function
_ZN7rocprim17ROCPRIM_400000_NS6detail17trampoline_kernelINS0_14default_configENS1_20scan_config_selectorIxEEZZNS1_9scan_implILNS1_25lookback_scan_determinismE0ELb0ELb1ES3_N6thrust23THRUST_200600_302600_NS6detail15normal_iteratorINS9_10device_ptrIxEEEESE_xNS9_10multipliesIxEExEEDaPvRmT3_T4_T5_mT6_P12ihipStream_tbENKUlT_T0_E_clISt17integral_constantIbLb1EESU_EEDaSP_SQ_EUlSP_E_NS1_11comp_targetILNS1_3genE2ELNS1_11target_archE906ELNS1_3gpuE6ELNS1_3repE0EEENS1_30default_config_static_selectorELNS0_4arch9wavefront6targetE1EEEvT1_: ; @_ZN7rocprim17ROCPRIM_400000_NS6detail17trampoline_kernelINS0_14default_configENS1_20scan_config_selectorIxEEZZNS1_9scan_implILNS1_25lookback_scan_determinismE0ELb0ELb1ES3_N6thrust23THRUST_200600_302600_NS6detail15normal_iteratorINS9_10device_ptrIxEEEESE_xNS9_10multipliesIxEExEEDaPvRmT3_T4_T5_mT6_P12ihipStream_tbENKUlT_T0_E_clISt17integral_constantIbLb1EESU_EEDaSP_SQ_EUlSP_E_NS1_11comp_targetILNS1_3genE2ELNS1_11target_archE906ELNS1_3gpuE6ELNS1_3repE0EEENS1_30default_config_static_selectorELNS0_4arch9wavefront6targetE1EEEvT1_
; %bb.0:
	.section	.rodata,"a",@progbits
	.p2align	6, 0x0
	.amdhsa_kernel _ZN7rocprim17ROCPRIM_400000_NS6detail17trampoline_kernelINS0_14default_configENS1_20scan_config_selectorIxEEZZNS1_9scan_implILNS1_25lookback_scan_determinismE0ELb0ELb1ES3_N6thrust23THRUST_200600_302600_NS6detail15normal_iteratorINS9_10device_ptrIxEEEESE_xNS9_10multipliesIxEExEEDaPvRmT3_T4_T5_mT6_P12ihipStream_tbENKUlT_T0_E_clISt17integral_constantIbLb1EESU_EEDaSP_SQ_EUlSP_E_NS1_11comp_targetILNS1_3genE2ELNS1_11target_archE906ELNS1_3gpuE6ELNS1_3repE0EEENS1_30default_config_static_selectorELNS0_4arch9wavefront6targetE1EEEvT1_
		.amdhsa_group_segment_fixed_size 0
		.amdhsa_private_segment_fixed_size 0
		.amdhsa_kernarg_size 104
		.amdhsa_user_sgpr_count 6
		.amdhsa_user_sgpr_private_segment_buffer 1
		.amdhsa_user_sgpr_dispatch_ptr 0
		.amdhsa_user_sgpr_queue_ptr 0
		.amdhsa_user_sgpr_kernarg_segment_ptr 1
		.amdhsa_user_sgpr_dispatch_id 0
		.amdhsa_user_sgpr_flat_scratch_init 0
		.amdhsa_user_sgpr_kernarg_preload_length 0
		.amdhsa_user_sgpr_kernarg_preload_offset 0
		.amdhsa_user_sgpr_private_segment_size 0
		.amdhsa_uses_dynamic_stack 0
		.amdhsa_system_sgpr_private_segment_wavefront_offset 0
		.amdhsa_system_sgpr_workgroup_id_x 1
		.amdhsa_system_sgpr_workgroup_id_y 0
		.amdhsa_system_sgpr_workgroup_id_z 0
		.amdhsa_system_sgpr_workgroup_info 0
		.amdhsa_system_vgpr_workitem_id 0
		.amdhsa_next_free_vgpr 1
		.amdhsa_next_free_sgpr 0
		.amdhsa_accum_offset 4
		.amdhsa_reserve_vcc 0
		.amdhsa_reserve_flat_scratch 0
		.amdhsa_float_round_mode_32 0
		.amdhsa_float_round_mode_16_64 0
		.amdhsa_float_denorm_mode_32 3
		.amdhsa_float_denorm_mode_16_64 3
		.amdhsa_dx10_clamp 1
		.amdhsa_ieee_mode 1
		.amdhsa_fp16_overflow 0
		.amdhsa_tg_split 0
		.amdhsa_exception_fp_ieee_invalid_op 0
		.amdhsa_exception_fp_denorm_src 0
		.amdhsa_exception_fp_ieee_div_zero 0
		.amdhsa_exception_fp_ieee_overflow 0
		.amdhsa_exception_fp_ieee_underflow 0
		.amdhsa_exception_fp_ieee_inexact 0
		.amdhsa_exception_int_div_zero 0
	.end_amdhsa_kernel
	.section	.text._ZN7rocprim17ROCPRIM_400000_NS6detail17trampoline_kernelINS0_14default_configENS1_20scan_config_selectorIxEEZZNS1_9scan_implILNS1_25lookback_scan_determinismE0ELb0ELb1ES3_N6thrust23THRUST_200600_302600_NS6detail15normal_iteratorINS9_10device_ptrIxEEEESE_xNS9_10multipliesIxEExEEDaPvRmT3_T4_T5_mT6_P12ihipStream_tbENKUlT_T0_E_clISt17integral_constantIbLb1EESU_EEDaSP_SQ_EUlSP_E_NS1_11comp_targetILNS1_3genE2ELNS1_11target_archE906ELNS1_3gpuE6ELNS1_3repE0EEENS1_30default_config_static_selectorELNS0_4arch9wavefront6targetE1EEEvT1_,"axG",@progbits,_ZN7rocprim17ROCPRIM_400000_NS6detail17trampoline_kernelINS0_14default_configENS1_20scan_config_selectorIxEEZZNS1_9scan_implILNS1_25lookback_scan_determinismE0ELb0ELb1ES3_N6thrust23THRUST_200600_302600_NS6detail15normal_iteratorINS9_10device_ptrIxEEEESE_xNS9_10multipliesIxEExEEDaPvRmT3_T4_T5_mT6_P12ihipStream_tbENKUlT_T0_E_clISt17integral_constantIbLb1EESU_EEDaSP_SQ_EUlSP_E_NS1_11comp_targetILNS1_3genE2ELNS1_11target_archE906ELNS1_3gpuE6ELNS1_3repE0EEENS1_30default_config_static_selectorELNS0_4arch9wavefront6targetE1EEEvT1_,comdat
.Lfunc_end292:
	.size	_ZN7rocprim17ROCPRIM_400000_NS6detail17trampoline_kernelINS0_14default_configENS1_20scan_config_selectorIxEEZZNS1_9scan_implILNS1_25lookback_scan_determinismE0ELb0ELb1ES3_N6thrust23THRUST_200600_302600_NS6detail15normal_iteratorINS9_10device_ptrIxEEEESE_xNS9_10multipliesIxEExEEDaPvRmT3_T4_T5_mT6_P12ihipStream_tbENKUlT_T0_E_clISt17integral_constantIbLb1EESU_EEDaSP_SQ_EUlSP_E_NS1_11comp_targetILNS1_3genE2ELNS1_11target_archE906ELNS1_3gpuE6ELNS1_3repE0EEENS1_30default_config_static_selectorELNS0_4arch9wavefront6targetE1EEEvT1_, .Lfunc_end292-_ZN7rocprim17ROCPRIM_400000_NS6detail17trampoline_kernelINS0_14default_configENS1_20scan_config_selectorIxEEZZNS1_9scan_implILNS1_25lookback_scan_determinismE0ELb0ELb1ES3_N6thrust23THRUST_200600_302600_NS6detail15normal_iteratorINS9_10device_ptrIxEEEESE_xNS9_10multipliesIxEExEEDaPvRmT3_T4_T5_mT6_P12ihipStream_tbENKUlT_T0_E_clISt17integral_constantIbLb1EESU_EEDaSP_SQ_EUlSP_E_NS1_11comp_targetILNS1_3genE2ELNS1_11target_archE906ELNS1_3gpuE6ELNS1_3repE0EEENS1_30default_config_static_selectorELNS0_4arch9wavefront6targetE1EEEvT1_
                                        ; -- End function
	.section	.AMDGPU.csdata,"",@progbits
; Kernel info:
; codeLenInByte = 0
; NumSgprs: 4
; NumVgprs: 0
; NumAgprs: 0
; TotalNumVgprs: 0
; ScratchSize: 0
; MemoryBound: 0
; FloatMode: 240
; IeeeMode: 1
; LDSByteSize: 0 bytes/workgroup (compile time only)
; SGPRBlocks: 0
; VGPRBlocks: 0
; NumSGPRsForWavesPerEU: 4
; NumVGPRsForWavesPerEU: 1
; AccumOffset: 4
; Occupancy: 8
; WaveLimiterHint : 0
; COMPUTE_PGM_RSRC2:SCRATCH_EN: 0
; COMPUTE_PGM_RSRC2:USER_SGPR: 6
; COMPUTE_PGM_RSRC2:TRAP_HANDLER: 0
; COMPUTE_PGM_RSRC2:TGID_X_EN: 1
; COMPUTE_PGM_RSRC2:TGID_Y_EN: 0
; COMPUTE_PGM_RSRC2:TGID_Z_EN: 0
; COMPUTE_PGM_RSRC2:TIDIG_COMP_CNT: 0
; COMPUTE_PGM_RSRC3_GFX90A:ACCUM_OFFSET: 0
; COMPUTE_PGM_RSRC3_GFX90A:TG_SPLIT: 0
	.section	.text._ZN7rocprim17ROCPRIM_400000_NS6detail17trampoline_kernelINS0_14default_configENS1_20scan_config_selectorIxEEZZNS1_9scan_implILNS1_25lookback_scan_determinismE0ELb0ELb1ES3_N6thrust23THRUST_200600_302600_NS6detail15normal_iteratorINS9_10device_ptrIxEEEESE_xNS9_10multipliesIxEExEEDaPvRmT3_T4_T5_mT6_P12ihipStream_tbENKUlT_T0_E_clISt17integral_constantIbLb1EESU_EEDaSP_SQ_EUlSP_E_NS1_11comp_targetILNS1_3genE10ELNS1_11target_archE1201ELNS1_3gpuE5ELNS1_3repE0EEENS1_30default_config_static_selectorELNS0_4arch9wavefront6targetE1EEEvT1_,"axG",@progbits,_ZN7rocprim17ROCPRIM_400000_NS6detail17trampoline_kernelINS0_14default_configENS1_20scan_config_selectorIxEEZZNS1_9scan_implILNS1_25lookback_scan_determinismE0ELb0ELb1ES3_N6thrust23THRUST_200600_302600_NS6detail15normal_iteratorINS9_10device_ptrIxEEEESE_xNS9_10multipliesIxEExEEDaPvRmT3_T4_T5_mT6_P12ihipStream_tbENKUlT_T0_E_clISt17integral_constantIbLb1EESU_EEDaSP_SQ_EUlSP_E_NS1_11comp_targetILNS1_3genE10ELNS1_11target_archE1201ELNS1_3gpuE5ELNS1_3repE0EEENS1_30default_config_static_selectorELNS0_4arch9wavefront6targetE1EEEvT1_,comdat
	.protected	_ZN7rocprim17ROCPRIM_400000_NS6detail17trampoline_kernelINS0_14default_configENS1_20scan_config_selectorIxEEZZNS1_9scan_implILNS1_25lookback_scan_determinismE0ELb0ELb1ES3_N6thrust23THRUST_200600_302600_NS6detail15normal_iteratorINS9_10device_ptrIxEEEESE_xNS9_10multipliesIxEExEEDaPvRmT3_T4_T5_mT6_P12ihipStream_tbENKUlT_T0_E_clISt17integral_constantIbLb1EESU_EEDaSP_SQ_EUlSP_E_NS1_11comp_targetILNS1_3genE10ELNS1_11target_archE1201ELNS1_3gpuE5ELNS1_3repE0EEENS1_30default_config_static_selectorELNS0_4arch9wavefront6targetE1EEEvT1_ ; -- Begin function _ZN7rocprim17ROCPRIM_400000_NS6detail17trampoline_kernelINS0_14default_configENS1_20scan_config_selectorIxEEZZNS1_9scan_implILNS1_25lookback_scan_determinismE0ELb0ELb1ES3_N6thrust23THRUST_200600_302600_NS6detail15normal_iteratorINS9_10device_ptrIxEEEESE_xNS9_10multipliesIxEExEEDaPvRmT3_T4_T5_mT6_P12ihipStream_tbENKUlT_T0_E_clISt17integral_constantIbLb1EESU_EEDaSP_SQ_EUlSP_E_NS1_11comp_targetILNS1_3genE10ELNS1_11target_archE1201ELNS1_3gpuE5ELNS1_3repE0EEENS1_30default_config_static_selectorELNS0_4arch9wavefront6targetE1EEEvT1_
	.globl	_ZN7rocprim17ROCPRIM_400000_NS6detail17trampoline_kernelINS0_14default_configENS1_20scan_config_selectorIxEEZZNS1_9scan_implILNS1_25lookback_scan_determinismE0ELb0ELb1ES3_N6thrust23THRUST_200600_302600_NS6detail15normal_iteratorINS9_10device_ptrIxEEEESE_xNS9_10multipliesIxEExEEDaPvRmT3_T4_T5_mT6_P12ihipStream_tbENKUlT_T0_E_clISt17integral_constantIbLb1EESU_EEDaSP_SQ_EUlSP_E_NS1_11comp_targetILNS1_3genE10ELNS1_11target_archE1201ELNS1_3gpuE5ELNS1_3repE0EEENS1_30default_config_static_selectorELNS0_4arch9wavefront6targetE1EEEvT1_
	.p2align	8
	.type	_ZN7rocprim17ROCPRIM_400000_NS6detail17trampoline_kernelINS0_14default_configENS1_20scan_config_selectorIxEEZZNS1_9scan_implILNS1_25lookback_scan_determinismE0ELb0ELb1ES3_N6thrust23THRUST_200600_302600_NS6detail15normal_iteratorINS9_10device_ptrIxEEEESE_xNS9_10multipliesIxEExEEDaPvRmT3_T4_T5_mT6_P12ihipStream_tbENKUlT_T0_E_clISt17integral_constantIbLb1EESU_EEDaSP_SQ_EUlSP_E_NS1_11comp_targetILNS1_3genE10ELNS1_11target_archE1201ELNS1_3gpuE5ELNS1_3repE0EEENS1_30default_config_static_selectorELNS0_4arch9wavefront6targetE1EEEvT1_,@function
_ZN7rocprim17ROCPRIM_400000_NS6detail17trampoline_kernelINS0_14default_configENS1_20scan_config_selectorIxEEZZNS1_9scan_implILNS1_25lookback_scan_determinismE0ELb0ELb1ES3_N6thrust23THRUST_200600_302600_NS6detail15normal_iteratorINS9_10device_ptrIxEEEESE_xNS9_10multipliesIxEExEEDaPvRmT3_T4_T5_mT6_P12ihipStream_tbENKUlT_T0_E_clISt17integral_constantIbLb1EESU_EEDaSP_SQ_EUlSP_E_NS1_11comp_targetILNS1_3genE10ELNS1_11target_archE1201ELNS1_3gpuE5ELNS1_3repE0EEENS1_30default_config_static_selectorELNS0_4arch9wavefront6targetE1EEEvT1_: ; @_ZN7rocprim17ROCPRIM_400000_NS6detail17trampoline_kernelINS0_14default_configENS1_20scan_config_selectorIxEEZZNS1_9scan_implILNS1_25lookback_scan_determinismE0ELb0ELb1ES3_N6thrust23THRUST_200600_302600_NS6detail15normal_iteratorINS9_10device_ptrIxEEEESE_xNS9_10multipliesIxEExEEDaPvRmT3_T4_T5_mT6_P12ihipStream_tbENKUlT_T0_E_clISt17integral_constantIbLb1EESU_EEDaSP_SQ_EUlSP_E_NS1_11comp_targetILNS1_3genE10ELNS1_11target_archE1201ELNS1_3gpuE5ELNS1_3repE0EEENS1_30default_config_static_selectorELNS0_4arch9wavefront6targetE1EEEvT1_
; %bb.0:
	.section	.rodata,"a",@progbits
	.p2align	6, 0x0
	.amdhsa_kernel _ZN7rocprim17ROCPRIM_400000_NS6detail17trampoline_kernelINS0_14default_configENS1_20scan_config_selectorIxEEZZNS1_9scan_implILNS1_25lookback_scan_determinismE0ELb0ELb1ES3_N6thrust23THRUST_200600_302600_NS6detail15normal_iteratorINS9_10device_ptrIxEEEESE_xNS9_10multipliesIxEExEEDaPvRmT3_T4_T5_mT6_P12ihipStream_tbENKUlT_T0_E_clISt17integral_constantIbLb1EESU_EEDaSP_SQ_EUlSP_E_NS1_11comp_targetILNS1_3genE10ELNS1_11target_archE1201ELNS1_3gpuE5ELNS1_3repE0EEENS1_30default_config_static_selectorELNS0_4arch9wavefront6targetE1EEEvT1_
		.amdhsa_group_segment_fixed_size 0
		.amdhsa_private_segment_fixed_size 0
		.amdhsa_kernarg_size 104
		.amdhsa_user_sgpr_count 6
		.amdhsa_user_sgpr_private_segment_buffer 1
		.amdhsa_user_sgpr_dispatch_ptr 0
		.amdhsa_user_sgpr_queue_ptr 0
		.amdhsa_user_sgpr_kernarg_segment_ptr 1
		.amdhsa_user_sgpr_dispatch_id 0
		.amdhsa_user_sgpr_flat_scratch_init 0
		.amdhsa_user_sgpr_kernarg_preload_length 0
		.amdhsa_user_sgpr_kernarg_preload_offset 0
		.amdhsa_user_sgpr_private_segment_size 0
		.amdhsa_uses_dynamic_stack 0
		.amdhsa_system_sgpr_private_segment_wavefront_offset 0
		.amdhsa_system_sgpr_workgroup_id_x 1
		.amdhsa_system_sgpr_workgroup_id_y 0
		.amdhsa_system_sgpr_workgroup_id_z 0
		.amdhsa_system_sgpr_workgroup_info 0
		.amdhsa_system_vgpr_workitem_id 0
		.amdhsa_next_free_vgpr 1
		.amdhsa_next_free_sgpr 0
		.amdhsa_accum_offset 4
		.amdhsa_reserve_vcc 0
		.amdhsa_reserve_flat_scratch 0
		.amdhsa_float_round_mode_32 0
		.amdhsa_float_round_mode_16_64 0
		.amdhsa_float_denorm_mode_32 3
		.amdhsa_float_denorm_mode_16_64 3
		.amdhsa_dx10_clamp 1
		.amdhsa_ieee_mode 1
		.amdhsa_fp16_overflow 0
		.amdhsa_tg_split 0
		.amdhsa_exception_fp_ieee_invalid_op 0
		.amdhsa_exception_fp_denorm_src 0
		.amdhsa_exception_fp_ieee_div_zero 0
		.amdhsa_exception_fp_ieee_overflow 0
		.amdhsa_exception_fp_ieee_underflow 0
		.amdhsa_exception_fp_ieee_inexact 0
		.amdhsa_exception_int_div_zero 0
	.end_amdhsa_kernel
	.section	.text._ZN7rocprim17ROCPRIM_400000_NS6detail17trampoline_kernelINS0_14default_configENS1_20scan_config_selectorIxEEZZNS1_9scan_implILNS1_25lookback_scan_determinismE0ELb0ELb1ES3_N6thrust23THRUST_200600_302600_NS6detail15normal_iteratorINS9_10device_ptrIxEEEESE_xNS9_10multipliesIxEExEEDaPvRmT3_T4_T5_mT6_P12ihipStream_tbENKUlT_T0_E_clISt17integral_constantIbLb1EESU_EEDaSP_SQ_EUlSP_E_NS1_11comp_targetILNS1_3genE10ELNS1_11target_archE1201ELNS1_3gpuE5ELNS1_3repE0EEENS1_30default_config_static_selectorELNS0_4arch9wavefront6targetE1EEEvT1_,"axG",@progbits,_ZN7rocprim17ROCPRIM_400000_NS6detail17trampoline_kernelINS0_14default_configENS1_20scan_config_selectorIxEEZZNS1_9scan_implILNS1_25lookback_scan_determinismE0ELb0ELb1ES3_N6thrust23THRUST_200600_302600_NS6detail15normal_iteratorINS9_10device_ptrIxEEEESE_xNS9_10multipliesIxEExEEDaPvRmT3_T4_T5_mT6_P12ihipStream_tbENKUlT_T0_E_clISt17integral_constantIbLb1EESU_EEDaSP_SQ_EUlSP_E_NS1_11comp_targetILNS1_3genE10ELNS1_11target_archE1201ELNS1_3gpuE5ELNS1_3repE0EEENS1_30default_config_static_selectorELNS0_4arch9wavefront6targetE1EEEvT1_,comdat
.Lfunc_end293:
	.size	_ZN7rocprim17ROCPRIM_400000_NS6detail17trampoline_kernelINS0_14default_configENS1_20scan_config_selectorIxEEZZNS1_9scan_implILNS1_25lookback_scan_determinismE0ELb0ELb1ES3_N6thrust23THRUST_200600_302600_NS6detail15normal_iteratorINS9_10device_ptrIxEEEESE_xNS9_10multipliesIxEExEEDaPvRmT3_T4_T5_mT6_P12ihipStream_tbENKUlT_T0_E_clISt17integral_constantIbLb1EESU_EEDaSP_SQ_EUlSP_E_NS1_11comp_targetILNS1_3genE10ELNS1_11target_archE1201ELNS1_3gpuE5ELNS1_3repE0EEENS1_30default_config_static_selectorELNS0_4arch9wavefront6targetE1EEEvT1_, .Lfunc_end293-_ZN7rocprim17ROCPRIM_400000_NS6detail17trampoline_kernelINS0_14default_configENS1_20scan_config_selectorIxEEZZNS1_9scan_implILNS1_25lookback_scan_determinismE0ELb0ELb1ES3_N6thrust23THRUST_200600_302600_NS6detail15normal_iteratorINS9_10device_ptrIxEEEESE_xNS9_10multipliesIxEExEEDaPvRmT3_T4_T5_mT6_P12ihipStream_tbENKUlT_T0_E_clISt17integral_constantIbLb1EESU_EEDaSP_SQ_EUlSP_E_NS1_11comp_targetILNS1_3genE10ELNS1_11target_archE1201ELNS1_3gpuE5ELNS1_3repE0EEENS1_30default_config_static_selectorELNS0_4arch9wavefront6targetE1EEEvT1_
                                        ; -- End function
	.section	.AMDGPU.csdata,"",@progbits
; Kernel info:
; codeLenInByte = 0
; NumSgprs: 4
; NumVgprs: 0
; NumAgprs: 0
; TotalNumVgprs: 0
; ScratchSize: 0
; MemoryBound: 0
; FloatMode: 240
; IeeeMode: 1
; LDSByteSize: 0 bytes/workgroup (compile time only)
; SGPRBlocks: 0
; VGPRBlocks: 0
; NumSGPRsForWavesPerEU: 4
; NumVGPRsForWavesPerEU: 1
; AccumOffset: 4
; Occupancy: 8
; WaveLimiterHint : 0
; COMPUTE_PGM_RSRC2:SCRATCH_EN: 0
; COMPUTE_PGM_RSRC2:USER_SGPR: 6
; COMPUTE_PGM_RSRC2:TRAP_HANDLER: 0
; COMPUTE_PGM_RSRC2:TGID_X_EN: 1
; COMPUTE_PGM_RSRC2:TGID_Y_EN: 0
; COMPUTE_PGM_RSRC2:TGID_Z_EN: 0
; COMPUTE_PGM_RSRC2:TIDIG_COMP_CNT: 0
; COMPUTE_PGM_RSRC3_GFX90A:ACCUM_OFFSET: 0
; COMPUTE_PGM_RSRC3_GFX90A:TG_SPLIT: 0
	.section	.text._ZN7rocprim17ROCPRIM_400000_NS6detail17trampoline_kernelINS0_14default_configENS1_20scan_config_selectorIxEEZZNS1_9scan_implILNS1_25lookback_scan_determinismE0ELb0ELb1ES3_N6thrust23THRUST_200600_302600_NS6detail15normal_iteratorINS9_10device_ptrIxEEEESE_xNS9_10multipliesIxEExEEDaPvRmT3_T4_T5_mT6_P12ihipStream_tbENKUlT_T0_E_clISt17integral_constantIbLb1EESU_EEDaSP_SQ_EUlSP_E_NS1_11comp_targetILNS1_3genE10ELNS1_11target_archE1200ELNS1_3gpuE4ELNS1_3repE0EEENS1_30default_config_static_selectorELNS0_4arch9wavefront6targetE1EEEvT1_,"axG",@progbits,_ZN7rocprim17ROCPRIM_400000_NS6detail17trampoline_kernelINS0_14default_configENS1_20scan_config_selectorIxEEZZNS1_9scan_implILNS1_25lookback_scan_determinismE0ELb0ELb1ES3_N6thrust23THRUST_200600_302600_NS6detail15normal_iteratorINS9_10device_ptrIxEEEESE_xNS9_10multipliesIxEExEEDaPvRmT3_T4_T5_mT6_P12ihipStream_tbENKUlT_T0_E_clISt17integral_constantIbLb1EESU_EEDaSP_SQ_EUlSP_E_NS1_11comp_targetILNS1_3genE10ELNS1_11target_archE1200ELNS1_3gpuE4ELNS1_3repE0EEENS1_30default_config_static_selectorELNS0_4arch9wavefront6targetE1EEEvT1_,comdat
	.protected	_ZN7rocprim17ROCPRIM_400000_NS6detail17trampoline_kernelINS0_14default_configENS1_20scan_config_selectorIxEEZZNS1_9scan_implILNS1_25lookback_scan_determinismE0ELb0ELb1ES3_N6thrust23THRUST_200600_302600_NS6detail15normal_iteratorINS9_10device_ptrIxEEEESE_xNS9_10multipliesIxEExEEDaPvRmT3_T4_T5_mT6_P12ihipStream_tbENKUlT_T0_E_clISt17integral_constantIbLb1EESU_EEDaSP_SQ_EUlSP_E_NS1_11comp_targetILNS1_3genE10ELNS1_11target_archE1200ELNS1_3gpuE4ELNS1_3repE0EEENS1_30default_config_static_selectorELNS0_4arch9wavefront6targetE1EEEvT1_ ; -- Begin function _ZN7rocprim17ROCPRIM_400000_NS6detail17trampoline_kernelINS0_14default_configENS1_20scan_config_selectorIxEEZZNS1_9scan_implILNS1_25lookback_scan_determinismE0ELb0ELb1ES3_N6thrust23THRUST_200600_302600_NS6detail15normal_iteratorINS9_10device_ptrIxEEEESE_xNS9_10multipliesIxEExEEDaPvRmT3_T4_T5_mT6_P12ihipStream_tbENKUlT_T0_E_clISt17integral_constantIbLb1EESU_EEDaSP_SQ_EUlSP_E_NS1_11comp_targetILNS1_3genE10ELNS1_11target_archE1200ELNS1_3gpuE4ELNS1_3repE0EEENS1_30default_config_static_selectorELNS0_4arch9wavefront6targetE1EEEvT1_
	.globl	_ZN7rocprim17ROCPRIM_400000_NS6detail17trampoline_kernelINS0_14default_configENS1_20scan_config_selectorIxEEZZNS1_9scan_implILNS1_25lookback_scan_determinismE0ELb0ELb1ES3_N6thrust23THRUST_200600_302600_NS6detail15normal_iteratorINS9_10device_ptrIxEEEESE_xNS9_10multipliesIxEExEEDaPvRmT3_T4_T5_mT6_P12ihipStream_tbENKUlT_T0_E_clISt17integral_constantIbLb1EESU_EEDaSP_SQ_EUlSP_E_NS1_11comp_targetILNS1_3genE10ELNS1_11target_archE1200ELNS1_3gpuE4ELNS1_3repE0EEENS1_30default_config_static_selectorELNS0_4arch9wavefront6targetE1EEEvT1_
	.p2align	8
	.type	_ZN7rocprim17ROCPRIM_400000_NS6detail17trampoline_kernelINS0_14default_configENS1_20scan_config_selectorIxEEZZNS1_9scan_implILNS1_25lookback_scan_determinismE0ELb0ELb1ES3_N6thrust23THRUST_200600_302600_NS6detail15normal_iteratorINS9_10device_ptrIxEEEESE_xNS9_10multipliesIxEExEEDaPvRmT3_T4_T5_mT6_P12ihipStream_tbENKUlT_T0_E_clISt17integral_constantIbLb1EESU_EEDaSP_SQ_EUlSP_E_NS1_11comp_targetILNS1_3genE10ELNS1_11target_archE1200ELNS1_3gpuE4ELNS1_3repE0EEENS1_30default_config_static_selectorELNS0_4arch9wavefront6targetE1EEEvT1_,@function
_ZN7rocprim17ROCPRIM_400000_NS6detail17trampoline_kernelINS0_14default_configENS1_20scan_config_selectorIxEEZZNS1_9scan_implILNS1_25lookback_scan_determinismE0ELb0ELb1ES3_N6thrust23THRUST_200600_302600_NS6detail15normal_iteratorINS9_10device_ptrIxEEEESE_xNS9_10multipliesIxEExEEDaPvRmT3_T4_T5_mT6_P12ihipStream_tbENKUlT_T0_E_clISt17integral_constantIbLb1EESU_EEDaSP_SQ_EUlSP_E_NS1_11comp_targetILNS1_3genE10ELNS1_11target_archE1200ELNS1_3gpuE4ELNS1_3repE0EEENS1_30default_config_static_selectorELNS0_4arch9wavefront6targetE1EEEvT1_: ; @_ZN7rocprim17ROCPRIM_400000_NS6detail17trampoline_kernelINS0_14default_configENS1_20scan_config_selectorIxEEZZNS1_9scan_implILNS1_25lookback_scan_determinismE0ELb0ELb1ES3_N6thrust23THRUST_200600_302600_NS6detail15normal_iteratorINS9_10device_ptrIxEEEESE_xNS9_10multipliesIxEExEEDaPvRmT3_T4_T5_mT6_P12ihipStream_tbENKUlT_T0_E_clISt17integral_constantIbLb1EESU_EEDaSP_SQ_EUlSP_E_NS1_11comp_targetILNS1_3genE10ELNS1_11target_archE1200ELNS1_3gpuE4ELNS1_3repE0EEENS1_30default_config_static_selectorELNS0_4arch9wavefront6targetE1EEEvT1_
; %bb.0:
	.section	.rodata,"a",@progbits
	.p2align	6, 0x0
	.amdhsa_kernel _ZN7rocprim17ROCPRIM_400000_NS6detail17trampoline_kernelINS0_14default_configENS1_20scan_config_selectorIxEEZZNS1_9scan_implILNS1_25lookback_scan_determinismE0ELb0ELb1ES3_N6thrust23THRUST_200600_302600_NS6detail15normal_iteratorINS9_10device_ptrIxEEEESE_xNS9_10multipliesIxEExEEDaPvRmT3_T4_T5_mT6_P12ihipStream_tbENKUlT_T0_E_clISt17integral_constantIbLb1EESU_EEDaSP_SQ_EUlSP_E_NS1_11comp_targetILNS1_3genE10ELNS1_11target_archE1200ELNS1_3gpuE4ELNS1_3repE0EEENS1_30default_config_static_selectorELNS0_4arch9wavefront6targetE1EEEvT1_
		.amdhsa_group_segment_fixed_size 0
		.amdhsa_private_segment_fixed_size 0
		.amdhsa_kernarg_size 104
		.amdhsa_user_sgpr_count 6
		.amdhsa_user_sgpr_private_segment_buffer 1
		.amdhsa_user_sgpr_dispatch_ptr 0
		.amdhsa_user_sgpr_queue_ptr 0
		.amdhsa_user_sgpr_kernarg_segment_ptr 1
		.amdhsa_user_sgpr_dispatch_id 0
		.amdhsa_user_sgpr_flat_scratch_init 0
		.amdhsa_user_sgpr_kernarg_preload_length 0
		.amdhsa_user_sgpr_kernarg_preload_offset 0
		.amdhsa_user_sgpr_private_segment_size 0
		.amdhsa_uses_dynamic_stack 0
		.amdhsa_system_sgpr_private_segment_wavefront_offset 0
		.amdhsa_system_sgpr_workgroup_id_x 1
		.amdhsa_system_sgpr_workgroup_id_y 0
		.amdhsa_system_sgpr_workgroup_id_z 0
		.amdhsa_system_sgpr_workgroup_info 0
		.amdhsa_system_vgpr_workitem_id 0
		.amdhsa_next_free_vgpr 1
		.amdhsa_next_free_sgpr 0
		.amdhsa_accum_offset 4
		.amdhsa_reserve_vcc 0
		.amdhsa_reserve_flat_scratch 0
		.amdhsa_float_round_mode_32 0
		.amdhsa_float_round_mode_16_64 0
		.amdhsa_float_denorm_mode_32 3
		.amdhsa_float_denorm_mode_16_64 3
		.amdhsa_dx10_clamp 1
		.amdhsa_ieee_mode 1
		.amdhsa_fp16_overflow 0
		.amdhsa_tg_split 0
		.amdhsa_exception_fp_ieee_invalid_op 0
		.amdhsa_exception_fp_denorm_src 0
		.amdhsa_exception_fp_ieee_div_zero 0
		.amdhsa_exception_fp_ieee_overflow 0
		.amdhsa_exception_fp_ieee_underflow 0
		.amdhsa_exception_fp_ieee_inexact 0
		.amdhsa_exception_int_div_zero 0
	.end_amdhsa_kernel
	.section	.text._ZN7rocprim17ROCPRIM_400000_NS6detail17trampoline_kernelINS0_14default_configENS1_20scan_config_selectorIxEEZZNS1_9scan_implILNS1_25lookback_scan_determinismE0ELb0ELb1ES3_N6thrust23THRUST_200600_302600_NS6detail15normal_iteratorINS9_10device_ptrIxEEEESE_xNS9_10multipliesIxEExEEDaPvRmT3_T4_T5_mT6_P12ihipStream_tbENKUlT_T0_E_clISt17integral_constantIbLb1EESU_EEDaSP_SQ_EUlSP_E_NS1_11comp_targetILNS1_3genE10ELNS1_11target_archE1200ELNS1_3gpuE4ELNS1_3repE0EEENS1_30default_config_static_selectorELNS0_4arch9wavefront6targetE1EEEvT1_,"axG",@progbits,_ZN7rocprim17ROCPRIM_400000_NS6detail17trampoline_kernelINS0_14default_configENS1_20scan_config_selectorIxEEZZNS1_9scan_implILNS1_25lookback_scan_determinismE0ELb0ELb1ES3_N6thrust23THRUST_200600_302600_NS6detail15normal_iteratorINS9_10device_ptrIxEEEESE_xNS9_10multipliesIxEExEEDaPvRmT3_T4_T5_mT6_P12ihipStream_tbENKUlT_T0_E_clISt17integral_constantIbLb1EESU_EEDaSP_SQ_EUlSP_E_NS1_11comp_targetILNS1_3genE10ELNS1_11target_archE1200ELNS1_3gpuE4ELNS1_3repE0EEENS1_30default_config_static_selectorELNS0_4arch9wavefront6targetE1EEEvT1_,comdat
.Lfunc_end294:
	.size	_ZN7rocprim17ROCPRIM_400000_NS6detail17trampoline_kernelINS0_14default_configENS1_20scan_config_selectorIxEEZZNS1_9scan_implILNS1_25lookback_scan_determinismE0ELb0ELb1ES3_N6thrust23THRUST_200600_302600_NS6detail15normal_iteratorINS9_10device_ptrIxEEEESE_xNS9_10multipliesIxEExEEDaPvRmT3_T4_T5_mT6_P12ihipStream_tbENKUlT_T0_E_clISt17integral_constantIbLb1EESU_EEDaSP_SQ_EUlSP_E_NS1_11comp_targetILNS1_3genE10ELNS1_11target_archE1200ELNS1_3gpuE4ELNS1_3repE0EEENS1_30default_config_static_selectorELNS0_4arch9wavefront6targetE1EEEvT1_, .Lfunc_end294-_ZN7rocprim17ROCPRIM_400000_NS6detail17trampoline_kernelINS0_14default_configENS1_20scan_config_selectorIxEEZZNS1_9scan_implILNS1_25lookback_scan_determinismE0ELb0ELb1ES3_N6thrust23THRUST_200600_302600_NS6detail15normal_iteratorINS9_10device_ptrIxEEEESE_xNS9_10multipliesIxEExEEDaPvRmT3_T4_T5_mT6_P12ihipStream_tbENKUlT_T0_E_clISt17integral_constantIbLb1EESU_EEDaSP_SQ_EUlSP_E_NS1_11comp_targetILNS1_3genE10ELNS1_11target_archE1200ELNS1_3gpuE4ELNS1_3repE0EEENS1_30default_config_static_selectorELNS0_4arch9wavefront6targetE1EEEvT1_
                                        ; -- End function
	.section	.AMDGPU.csdata,"",@progbits
; Kernel info:
; codeLenInByte = 0
; NumSgprs: 4
; NumVgprs: 0
; NumAgprs: 0
; TotalNumVgprs: 0
; ScratchSize: 0
; MemoryBound: 0
; FloatMode: 240
; IeeeMode: 1
; LDSByteSize: 0 bytes/workgroup (compile time only)
; SGPRBlocks: 0
; VGPRBlocks: 0
; NumSGPRsForWavesPerEU: 4
; NumVGPRsForWavesPerEU: 1
; AccumOffset: 4
; Occupancy: 8
; WaveLimiterHint : 0
; COMPUTE_PGM_RSRC2:SCRATCH_EN: 0
; COMPUTE_PGM_RSRC2:USER_SGPR: 6
; COMPUTE_PGM_RSRC2:TRAP_HANDLER: 0
; COMPUTE_PGM_RSRC2:TGID_X_EN: 1
; COMPUTE_PGM_RSRC2:TGID_Y_EN: 0
; COMPUTE_PGM_RSRC2:TGID_Z_EN: 0
; COMPUTE_PGM_RSRC2:TIDIG_COMP_CNT: 0
; COMPUTE_PGM_RSRC3_GFX90A:ACCUM_OFFSET: 0
; COMPUTE_PGM_RSRC3_GFX90A:TG_SPLIT: 0
	.section	.text._ZN7rocprim17ROCPRIM_400000_NS6detail17trampoline_kernelINS0_14default_configENS1_20scan_config_selectorIxEEZZNS1_9scan_implILNS1_25lookback_scan_determinismE0ELb0ELb1ES3_N6thrust23THRUST_200600_302600_NS6detail15normal_iteratorINS9_10device_ptrIxEEEESE_xNS9_10multipliesIxEExEEDaPvRmT3_T4_T5_mT6_P12ihipStream_tbENKUlT_T0_E_clISt17integral_constantIbLb1EESU_EEDaSP_SQ_EUlSP_E_NS1_11comp_targetILNS1_3genE9ELNS1_11target_archE1100ELNS1_3gpuE3ELNS1_3repE0EEENS1_30default_config_static_selectorELNS0_4arch9wavefront6targetE1EEEvT1_,"axG",@progbits,_ZN7rocprim17ROCPRIM_400000_NS6detail17trampoline_kernelINS0_14default_configENS1_20scan_config_selectorIxEEZZNS1_9scan_implILNS1_25lookback_scan_determinismE0ELb0ELb1ES3_N6thrust23THRUST_200600_302600_NS6detail15normal_iteratorINS9_10device_ptrIxEEEESE_xNS9_10multipliesIxEExEEDaPvRmT3_T4_T5_mT6_P12ihipStream_tbENKUlT_T0_E_clISt17integral_constantIbLb1EESU_EEDaSP_SQ_EUlSP_E_NS1_11comp_targetILNS1_3genE9ELNS1_11target_archE1100ELNS1_3gpuE3ELNS1_3repE0EEENS1_30default_config_static_selectorELNS0_4arch9wavefront6targetE1EEEvT1_,comdat
	.protected	_ZN7rocprim17ROCPRIM_400000_NS6detail17trampoline_kernelINS0_14default_configENS1_20scan_config_selectorIxEEZZNS1_9scan_implILNS1_25lookback_scan_determinismE0ELb0ELb1ES3_N6thrust23THRUST_200600_302600_NS6detail15normal_iteratorINS9_10device_ptrIxEEEESE_xNS9_10multipliesIxEExEEDaPvRmT3_T4_T5_mT6_P12ihipStream_tbENKUlT_T0_E_clISt17integral_constantIbLb1EESU_EEDaSP_SQ_EUlSP_E_NS1_11comp_targetILNS1_3genE9ELNS1_11target_archE1100ELNS1_3gpuE3ELNS1_3repE0EEENS1_30default_config_static_selectorELNS0_4arch9wavefront6targetE1EEEvT1_ ; -- Begin function _ZN7rocprim17ROCPRIM_400000_NS6detail17trampoline_kernelINS0_14default_configENS1_20scan_config_selectorIxEEZZNS1_9scan_implILNS1_25lookback_scan_determinismE0ELb0ELb1ES3_N6thrust23THRUST_200600_302600_NS6detail15normal_iteratorINS9_10device_ptrIxEEEESE_xNS9_10multipliesIxEExEEDaPvRmT3_T4_T5_mT6_P12ihipStream_tbENKUlT_T0_E_clISt17integral_constantIbLb1EESU_EEDaSP_SQ_EUlSP_E_NS1_11comp_targetILNS1_3genE9ELNS1_11target_archE1100ELNS1_3gpuE3ELNS1_3repE0EEENS1_30default_config_static_selectorELNS0_4arch9wavefront6targetE1EEEvT1_
	.globl	_ZN7rocprim17ROCPRIM_400000_NS6detail17trampoline_kernelINS0_14default_configENS1_20scan_config_selectorIxEEZZNS1_9scan_implILNS1_25lookback_scan_determinismE0ELb0ELb1ES3_N6thrust23THRUST_200600_302600_NS6detail15normal_iteratorINS9_10device_ptrIxEEEESE_xNS9_10multipliesIxEExEEDaPvRmT3_T4_T5_mT6_P12ihipStream_tbENKUlT_T0_E_clISt17integral_constantIbLb1EESU_EEDaSP_SQ_EUlSP_E_NS1_11comp_targetILNS1_3genE9ELNS1_11target_archE1100ELNS1_3gpuE3ELNS1_3repE0EEENS1_30default_config_static_selectorELNS0_4arch9wavefront6targetE1EEEvT1_
	.p2align	8
	.type	_ZN7rocprim17ROCPRIM_400000_NS6detail17trampoline_kernelINS0_14default_configENS1_20scan_config_selectorIxEEZZNS1_9scan_implILNS1_25lookback_scan_determinismE0ELb0ELb1ES3_N6thrust23THRUST_200600_302600_NS6detail15normal_iteratorINS9_10device_ptrIxEEEESE_xNS9_10multipliesIxEExEEDaPvRmT3_T4_T5_mT6_P12ihipStream_tbENKUlT_T0_E_clISt17integral_constantIbLb1EESU_EEDaSP_SQ_EUlSP_E_NS1_11comp_targetILNS1_3genE9ELNS1_11target_archE1100ELNS1_3gpuE3ELNS1_3repE0EEENS1_30default_config_static_selectorELNS0_4arch9wavefront6targetE1EEEvT1_,@function
_ZN7rocprim17ROCPRIM_400000_NS6detail17trampoline_kernelINS0_14default_configENS1_20scan_config_selectorIxEEZZNS1_9scan_implILNS1_25lookback_scan_determinismE0ELb0ELb1ES3_N6thrust23THRUST_200600_302600_NS6detail15normal_iteratorINS9_10device_ptrIxEEEESE_xNS9_10multipliesIxEExEEDaPvRmT3_T4_T5_mT6_P12ihipStream_tbENKUlT_T0_E_clISt17integral_constantIbLb1EESU_EEDaSP_SQ_EUlSP_E_NS1_11comp_targetILNS1_3genE9ELNS1_11target_archE1100ELNS1_3gpuE3ELNS1_3repE0EEENS1_30default_config_static_selectorELNS0_4arch9wavefront6targetE1EEEvT1_: ; @_ZN7rocprim17ROCPRIM_400000_NS6detail17trampoline_kernelINS0_14default_configENS1_20scan_config_selectorIxEEZZNS1_9scan_implILNS1_25lookback_scan_determinismE0ELb0ELb1ES3_N6thrust23THRUST_200600_302600_NS6detail15normal_iteratorINS9_10device_ptrIxEEEESE_xNS9_10multipliesIxEExEEDaPvRmT3_T4_T5_mT6_P12ihipStream_tbENKUlT_T0_E_clISt17integral_constantIbLb1EESU_EEDaSP_SQ_EUlSP_E_NS1_11comp_targetILNS1_3genE9ELNS1_11target_archE1100ELNS1_3gpuE3ELNS1_3repE0EEENS1_30default_config_static_selectorELNS0_4arch9wavefront6targetE1EEEvT1_
; %bb.0:
	.section	.rodata,"a",@progbits
	.p2align	6, 0x0
	.amdhsa_kernel _ZN7rocprim17ROCPRIM_400000_NS6detail17trampoline_kernelINS0_14default_configENS1_20scan_config_selectorIxEEZZNS1_9scan_implILNS1_25lookback_scan_determinismE0ELb0ELb1ES3_N6thrust23THRUST_200600_302600_NS6detail15normal_iteratorINS9_10device_ptrIxEEEESE_xNS9_10multipliesIxEExEEDaPvRmT3_T4_T5_mT6_P12ihipStream_tbENKUlT_T0_E_clISt17integral_constantIbLb1EESU_EEDaSP_SQ_EUlSP_E_NS1_11comp_targetILNS1_3genE9ELNS1_11target_archE1100ELNS1_3gpuE3ELNS1_3repE0EEENS1_30default_config_static_selectorELNS0_4arch9wavefront6targetE1EEEvT1_
		.amdhsa_group_segment_fixed_size 0
		.amdhsa_private_segment_fixed_size 0
		.amdhsa_kernarg_size 104
		.amdhsa_user_sgpr_count 6
		.amdhsa_user_sgpr_private_segment_buffer 1
		.amdhsa_user_sgpr_dispatch_ptr 0
		.amdhsa_user_sgpr_queue_ptr 0
		.amdhsa_user_sgpr_kernarg_segment_ptr 1
		.amdhsa_user_sgpr_dispatch_id 0
		.amdhsa_user_sgpr_flat_scratch_init 0
		.amdhsa_user_sgpr_kernarg_preload_length 0
		.amdhsa_user_sgpr_kernarg_preload_offset 0
		.amdhsa_user_sgpr_private_segment_size 0
		.amdhsa_uses_dynamic_stack 0
		.amdhsa_system_sgpr_private_segment_wavefront_offset 0
		.amdhsa_system_sgpr_workgroup_id_x 1
		.amdhsa_system_sgpr_workgroup_id_y 0
		.amdhsa_system_sgpr_workgroup_id_z 0
		.amdhsa_system_sgpr_workgroup_info 0
		.amdhsa_system_vgpr_workitem_id 0
		.amdhsa_next_free_vgpr 1
		.amdhsa_next_free_sgpr 0
		.amdhsa_accum_offset 4
		.amdhsa_reserve_vcc 0
		.amdhsa_reserve_flat_scratch 0
		.amdhsa_float_round_mode_32 0
		.amdhsa_float_round_mode_16_64 0
		.amdhsa_float_denorm_mode_32 3
		.amdhsa_float_denorm_mode_16_64 3
		.amdhsa_dx10_clamp 1
		.amdhsa_ieee_mode 1
		.amdhsa_fp16_overflow 0
		.amdhsa_tg_split 0
		.amdhsa_exception_fp_ieee_invalid_op 0
		.amdhsa_exception_fp_denorm_src 0
		.amdhsa_exception_fp_ieee_div_zero 0
		.amdhsa_exception_fp_ieee_overflow 0
		.amdhsa_exception_fp_ieee_underflow 0
		.amdhsa_exception_fp_ieee_inexact 0
		.amdhsa_exception_int_div_zero 0
	.end_amdhsa_kernel
	.section	.text._ZN7rocprim17ROCPRIM_400000_NS6detail17trampoline_kernelINS0_14default_configENS1_20scan_config_selectorIxEEZZNS1_9scan_implILNS1_25lookback_scan_determinismE0ELb0ELb1ES3_N6thrust23THRUST_200600_302600_NS6detail15normal_iteratorINS9_10device_ptrIxEEEESE_xNS9_10multipliesIxEExEEDaPvRmT3_T4_T5_mT6_P12ihipStream_tbENKUlT_T0_E_clISt17integral_constantIbLb1EESU_EEDaSP_SQ_EUlSP_E_NS1_11comp_targetILNS1_3genE9ELNS1_11target_archE1100ELNS1_3gpuE3ELNS1_3repE0EEENS1_30default_config_static_selectorELNS0_4arch9wavefront6targetE1EEEvT1_,"axG",@progbits,_ZN7rocprim17ROCPRIM_400000_NS6detail17trampoline_kernelINS0_14default_configENS1_20scan_config_selectorIxEEZZNS1_9scan_implILNS1_25lookback_scan_determinismE0ELb0ELb1ES3_N6thrust23THRUST_200600_302600_NS6detail15normal_iteratorINS9_10device_ptrIxEEEESE_xNS9_10multipliesIxEExEEDaPvRmT3_T4_T5_mT6_P12ihipStream_tbENKUlT_T0_E_clISt17integral_constantIbLb1EESU_EEDaSP_SQ_EUlSP_E_NS1_11comp_targetILNS1_3genE9ELNS1_11target_archE1100ELNS1_3gpuE3ELNS1_3repE0EEENS1_30default_config_static_selectorELNS0_4arch9wavefront6targetE1EEEvT1_,comdat
.Lfunc_end295:
	.size	_ZN7rocprim17ROCPRIM_400000_NS6detail17trampoline_kernelINS0_14default_configENS1_20scan_config_selectorIxEEZZNS1_9scan_implILNS1_25lookback_scan_determinismE0ELb0ELb1ES3_N6thrust23THRUST_200600_302600_NS6detail15normal_iteratorINS9_10device_ptrIxEEEESE_xNS9_10multipliesIxEExEEDaPvRmT3_T4_T5_mT6_P12ihipStream_tbENKUlT_T0_E_clISt17integral_constantIbLb1EESU_EEDaSP_SQ_EUlSP_E_NS1_11comp_targetILNS1_3genE9ELNS1_11target_archE1100ELNS1_3gpuE3ELNS1_3repE0EEENS1_30default_config_static_selectorELNS0_4arch9wavefront6targetE1EEEvT1_, .Lfunc_end295-_ZN7rocprim17ROCPRIM_400000_NS6detail17trampoline_kernelINS0_14default_configENS1_20scan_config_selectorIxEEZZNS1_9scan_implILNS1_25lookback_scan_determinismE0ELb0ELb1ES3_N6thrust23THRUST_200600_302600_NS6detail15normal_iteratorINS9_10device_ptrIxEEEESE_xNS9_10multipliesIxEExEEDaPvRmT3_T4_T5_mT6_P12ihipStream_tbENKUlT_T0_E_clISt17integral_constantIbLb1EESU_EEDaSP_SQ_EUlSP_E_NS1_11comp_targetILNS1_3genE9ELNS1_11target_archE1100ELNS1_3gpuE3ELNS1_3repE0EEENS1_30default_config_static_selectorELNS0_4arch9wavefront6targetE1EEEvT1_
                                        ; -- End function
	.section	.AMDGPU.csdata,"",@progbits
; Kernel info:
; codeLenInByte = 0
; NumSgprs: 4
; NumVgprs: 0
; NumAgprs: 0
; TotalNumVgprs: 0
; ScratchSize: 0
; MemoryBound: 0
; FloatMode: 240
; IeeeMode: 1
; LDSByteSize: 0 bytes/workgroup (compile time only)
; SGPRBlocks: 0
; VGPRBlocks: 0
; NumSGPRsForWavesPerEU: 4
; NumVGPRsForWavesPerEU: 1
; AccumOffset: 4
; Occupancy: 8
; WaveLimiterHint : 0
; COMPUTE_PGM_RSRC2:SCRATCH_EN: 0
; COMPUTE_PGM_RSRC2:USER_SGPR: 6
; COMPUTE_PGM_RSRC2:TRAP_HANDLER: 0
; COMPUTE_PGM_RSRC2:TGID_X_EN: 1
; COMPUTE_PGM_RSRC2:TGID_Y_EN: 0
; COMPUTE_PGM_RSRC2:TGID_Z_EN: 0
; COMPUTE_PGM_RSRC2:TIDIG_COMP_CNT: 0
; COMPUTE_PGM_RSRC3_GFX90A:ACCUM_OFFSET: 0
; COMPUTE_PGM_RSRC3_GFX90A:TG_SPLIT: 0
	.section	.text._ZN7rocprim17ROCPRIM_400000_NS6detail17trampoline_kernelINS0_14default_configENS1_20scan_config_selectorIxEEZZNS1_9scan_implILNS1_25lookback_scan_determinismE0ELb0ELb1ES3_N6thrust23THRUST_200600_302600_NS6detail15normal_iteratorINS9_10device_ptrIxEEEESE_xNS9_10multipliesIxEExEEDaPvRmT3_T4_T5_mT6_P12ihipStream_tbENKUlT_T0_E_clISt17integral_constantIbLb1EESU_EEDaSP_SQ_EUlSP_E_NS1_11comp_targetILNS1_3genE8ELNS1_11target_archE1030ELNS1_3gpuE2ELNS1_3repE0EEENS1_30default_config_static_selectorELNS0_4arch9wavefront6targetE1EEEvT1_,"axG",@progbits,_ZN7rocprim17ROCPRIM_400000_NS6detail17trampoline_kernelINS0_14default_configENS1_20scan_config_selectorIxEEZZNS1_9scan_implILNS1_25lookback_scan_determinismE0ELb0ELb1ES3_N6thrust23THRUST_200600_302600_NS6detail15normal_iteratorINS9_10device_ptrIxEEEESE_xNS9_10multipliesIxEExEEDaPvRmT3_T4_T5_mT6_P12ihipStream_tbENKUlT_T0_E_clISt17integral_constantIbLb1EESU_EEDaSP_SQ_EUlSP_E_NS1_11comp_targetILNS1_3genE8ELNS1_11target_archE1030ELNS1_3gpuE2ELNS1_3repE0EEENS1_30default_config_static_selectorELNS0_4arch9wavefront6targetE1EEEvT1_,comdat
	.protected	_ZN7rocprim17ROCPRIM_400000_NS6detail17trampoline_kernelINS0_14default_configENS1_20scan_config_selectorIxEEZZNS1_9scan_implILNS1_25lookback_scan_determinismE0ELb0ELb1ES3_N6thrust23THRUST_200600_302600_NS6detail15normal_iteratorINS9_10device_ptrIxEEEESE_xNS9_10multipliesIxEExEEDaPvRmT3_T4_T5_mT6_P12ihipStream_tbENKUlT_T0_E_clISt17integral_constantIbLb1EESU_EEDaSP_SQ_EUlSP_E_NS1_11comp_targetILNS1_3genE8ELNS1_11target_archE1030ELNS1_3gpuE2ELNS1_3repE0EEENS1_30default_config_static_selectorELNS0_4arch9wavefront6targetE1EEEvT1_ ; -- Begin function _ZN7rocprim17ROCPRIM_400000_NS6detail17trampoline_kernelINS0_14default_configENS1_20scan_config_selectorIxEEZZNS1_9scan_implILNS1_25lookback_scan_determinismE0ELb0ELb1ES3_N6thrust23THRUST_200600_302600_NS6detail15normal_iteratorINS9_10device_ptrIxEEEESE_xNS9_10multipliesIxEExEEDaPvRmT3_T4_T5_mT6_P12ihipStream_tbENKUlT_T0_E_clISt17integral_constantIbLb1EESU_EEDaSP_SQ_EUlSP_E_NS1_11comp_targetILNS1_3genE8ELNS1_11target_archE1030ELNS1_3gpuE2ELNS1_3repE0EEENS1_30default_config_static_selectorELNS0_4arch9wavefront6targetE1EEEvT1_
	.globl	_ZN7rocprim17ROCPRIM_400000_NS6detail17trampoline_kernelINS0_14default_configENS1_20scan_config_selectorIxEEZZNS1_9scan_implILNS1_25lookback_scan_determinismE0ELb0ELb1ES3_N6thrust23THRUST_200600_302600_NS6detail15normal_iteratorINS9_10device_ptrIxEEEESE_xNS9_10multipliesIxEExEEDaPvRmT3_T4_T5_mT6_P12ihipStream_tbENKUlT_T0_E_clISt17integral_constantIbLb1EESU_EEDaSP_SQ_EUlSP_E_NS1_11comp_targetILNS1_3genE8ELNS1_11target_archE1030ELNS1_3gpuE2ELNS1_3repE0EEENS1_30default_config_static_selectorELNS0_4arch9wavefront6targetE1EEEvT1_
	.p2align	8
	.type	_ZN7rocprim17ROCPRIM_400000_NS6detail17trampoline_kernelINS0_14default_configENS1_20scan_config_selectorIxEEZZNS1_9scan_implILNS1_25lookback_scan_determinismE0ELb0ELb1ES3_N6thrust23THRUST_200600_302600_NS6detail15normal_iteratorINS9_10device_ptrIxEEEESE_xNS9_10multipliesIxEExEEDaPvRmT3_T4_T5_mT6_P12ihipStream_tbENKUlT_T0_E_clISt17integral_constantIbLb1EESU_EEDaSP_SQ_EUlSP_E_NS1_11comp_targetILNS1_3genE8ELNS1_11target_archE1030ELNS1_3gpuE2ELNS1_3repE0EEENS1_30default_config_static_selectorELNS0_4arch9wavefront6targetE1EEEvT1_,@function
_ZN7rocprim17ROCPRIM_400000_NS6detail17trampoline_kernelINS0_14default_configENS1_20scan_config_selectorIxEEZZNS1_9scan_implILNS1_25lookback_scan_determinismE0ELb0ELb1ES3_N6thrust23THRUST_200600_302600_NS6detail15normal_iteratorINS9_10device_ptrIxEEEESE_xNS9_10multipliesIxEExEEDaPvRmT3_T4_T5_mT6_P12ihipStream_tbENKUlT_T0_E_clISt17integral_constantIbLb1EESU_EEDaSP_SQ_EUlSP_E_NS1_11comp_targetILNS1_3genE8ELNS1_11target_archE1030ELNS1_3gpuE2ELNS1_3repE0EEENS1_30default_config_static_selectorELNS0_4arch9wavefront6targetE1EEEvT1_: ; @_ZN7rocprim17ROCPRIM_400000_NS6detail17trampoline_kernelINS0_14default_configENS1_20scan_config_selectorIxEEZZNS1_9scan_implILNS1_25lookback_scan_determinismE0ELb0ELb1ES3_N6thrust23THRUST_200600_302600_NS6detail15normal_iteratorINS9_10device_ptrIxEEEESE_xNS9_10multipliesIxEExEEDaPvRmT3_T4_T5_mT6_P12ihipStream_tbENKUlT_T0_E_clISt17integral_constantIbLb1EESU_EEDaSP_SQ_EUlSP_E_NS1_11comp_targetILNS1_3genE8ELNS1_11target_archE1030ELNS1_3gpuE2ELNS1_3repE0EEENS1_30default_config_static_selectorELNS0_4arch9wavefront6targetE1EEEvT1_
; %bb.0:
	.section	.rodata,"a",@progbits
	.p2align	6, 0x0
	.amdhsa_kernel _ZN7rocprim17ROCPRIM_400000_NS6detail17trampoline_kernelINS0_14default_configENS1_20scan_config_selectorIxEEZZNS1_9scan_implILNS1_25lookback_scan_determinismE0ELb0ELb1ES3_N6thrust23THRUST_200600_302600_NS6detail15normal_iteratorINS9_10device_ptrIxEEEESE_xNS9_10multipliesIxEExEEDaPvRmT3_T4_T5_mT6_P12ihipStream_tbENKUlT_T0_E_clISt17integral_constantIbLb1EESU_EEDaSP_SQ_EUlSP_E_NS1_11comp_targetILNS1_3genE8ELNS1_11target_archE1030ELNS1_3gpuE2ELNS1_3repE0EEENS1_30default_config_static_selectorELNS0_4arch9wavefront6targetE1EEEvT1_
		.amdhsa_group_segment_fixed_size 0
		.amdhsa_private_segment_fixed_size 0
		.amdhsa_kernarg_size 104
		.amdhsa_user_sgpr_count 6
		.amdhsa_user_sgpr_private_segment_buffer 1
		.amdhsa_user_sgpr_dispatch_ptr 0
		.amdhsa_user_sgpr_queue_ptr 0
		.amdhsa_user_sgpr_kernarg_segment_ptr 1
		.amdhsa_user_sgpr_dispatch_id 0
		.amdhsa_user_sgpr_flat_scratch_init 0
		.amdhsa_user_sgpr_kernarg_preload_length 0
		.amdhsa_user_sgpr_kernarg_preload_offset 0
		.amdhsa_user_sgpr_private_segment_size 0
		.amdhsa_uses_dynamic_stack 0
		.amdhsa_system_sgpr_private_segment_wavefront_offset 0
		.amdhsa_system_sgpr_workgroup_id_x 1
		.amdhsa_system_sgpr_workgroup_id_y 0
		.amdhsa_system_sgpr_workgroup_id_z 0
		.amdhsa_system_sgpr_workgroup_info 0
		.amdhsa_system_vgpr_workitem_id 0
		.amdhsa_next_free_vgpr 1
		.amdhsa_next_free_sgpr 0
		.amdhsa_accum_offset 4
		.amdhsa_reserve_vcc 0
		.amdhsa_reserve_flat_scratch 0
		.amdhsa_float_round_mode_32 0
		.amdhsa_float_round_mode_16_64 0
		.amdhsa_float_denorm_mode_32 3
		.amdhsa_float_denorm_mode_16_64 3
		.amdhsa_dx10_clamp 1
		.amdhsa_ieee_mode 1
		.amdhsa_fp16_overflow 0
		.amdhsa_tg_split 0
		.amdhsa_exception_fp_ieee_invalid_op 0
		.amdhsa_exception_fp_denorm_src 0
		.amdhsa_exception_fp_ieee_div_zero 0
		.amdhsa_exception_fp_ieee_overflow 0
		.amdhsa_exception_fp_ieee_underflow 0
		.amdhsa_exception_fp_ieee_inexact 0
		.amdhsa_exception_int_div_zero 0
	.end_amdhsa_kernel
	.section	.text._ZN7rocprim17ROCPRIM_400000_NS6detail17trampoline_kernelINS0_14default_configENS1_20scan_config_selectorIxEEZZNS1_9scan_implILNS1_25lookback_scan_determinismE0ELb0ELb1ES3_N6thrust23THRUST_200600_302600_NS6detail15normal_iteratorINS9_10device_ptrIxEEEESE_xNS9_10multipliesIxEExEEDaPvRmT3_T4_T5_mT6_P12ihipStream_tbENKUlT_T0_E_clISt17integral_constantIbLb1EESU_EEDaSP_SQ_EUlSP_E_NS1_11comp_targetILNS1_3genE8ELNS1_11target_archE1030ELNS1_3gpuE2ELNS1_3repE0EEENS1_30default_config_static_selectorELNS0_4arch9wavefront6targetE1EEEvT1_,"axG",@progbits,_ZN7rocprim17ROCPRIM_400000_NS6detail17trampoline_kernelINS0_14default_configENS1_20scan_config_selectorIxEEZZNS1_9scan_implILNS1_25lookback_scan_determinismE0ELb0ELb1ES3_N6thrust23THRUST_200600_302600_NS6detail15normal_iteratorINS9_10device_ptrIxEEEESE_xNS9_10multipliesIxEExEEDaPvRmT3_T4_T5_mT6_P12ihipStream_tbENKUlT_T0_E_clISt17integral_constantIbLb1EESU_EEDaSP_SQ_EUlSP_E_NS1_11comp_targetILNS1_3genE8ELNS1_11target_archE1030ELNS1_3gpuE2ELNS1_3repE0EEENS1_30default_config_static_selectorELNS0_4arch9wavefront6targetE1EEEvT1_,comdat
.Lfunc_end296:
	.size	_ZN7rocprim17ROCPRIM_400000_NS6detail17trampoline_kernelINS0_14default_configENS1_20scan_config_selectorIxEEZZNS1_9scan_implILNS1_25lookback_scan_determinismE0ELb0ELb1ES3_N6thrust23THRUST_200600_302600_NS6detail15normal_iteratorINS9_10device_ptrIxEEEESE_xNS9_10multipliesIxEExEEDaPvRmT3_T4_T5_mT6_P12ihipStream_tbENKUlT_T0_E_clISt17integral_constantIbLb1EESU_EEDaSP_SQ_EUlSP_E_NS1_11comp_targetILNS1_3genE8ELNS1_11target_archE1030ELNS1_3gpuE2ELNS1_3repE0EEENS1_30default_config_static_selectorELNS0_4arch9wavefront6targetE1EEEvT1_, .Lfunc_end296-_ZN7rocprim17ROCPRIM_400000_NS6detail17trampoline_kernelINS0_14default_configENS1_20scan_config_selectorIxEEZZNS1_9scan_implILNS1_25lookback_scan_determinismE0ELb0ELb1ES3_N6thrust23THRUST_200600_302600_NS6detail15normal_iteratorINS9_10device_ptrIxEEEESE_xNS9_10multipliesIxEExEEDaPvRmT3_T4_T5_mT6_P12ihipStream_tbENKUlT_T0_E_clISt17integral_constantIbLb1EESU_EEDaSP_SQ_EUlSP_E_NS1_11comp_targetILNS1_3genE8ELNS1_11target_archE1030ELNS1_3gpuE2ELNS1_3repE0EEENS1_30default_config_static_selectorELNS0_4arch9wavefront6targetE1EEEvT1_
                                        ; -- End function
	.section	.AMDGPU.csdata,"",@progbits
; Kernel info:
; codeLenInByte = 0
; NumSgprs: 4
; NumVgprs: 0
; NumAgprs: 0
; TotalNumVgprs: 0
; ScratchSize: 0
; MemoryBound: 0
; FloatMode: 240
; IeeeMode: 1
; LDSByteSize: 0 bytes/workgroup (compile time only)
; SGPRBlocks: 0
; VGPRBlocks: 0
; NumSGPRsForWavesPerEU: 4
; NumVGPRsForWavesPerEU: 1
; AccumOffset: 4
; Occupancy: 8
; WaveLimiterHint : 0
; COMPUTE_PGM_RSRC2:SCRATCH_EN: 0
; COMPUTE_PGM_RSRC2:USER_SGPR: 6
; COMPUTE_PGM_RSRC2:TRAP_HANDLER: 0
; COMPUTE_PGM_RSRC2:TGID_X_EN: 1
; COMPUTE_PGM_RSRC2:TGID_Y_EN: 0
; COMPUTE_PGM_RSRC2:TGID_Z_EN: 0
; COMPUTE_PGM_RSRC2:TIDIG_COMP_CNT: 0
; COMPUTE_PGM_RSRC3_GFX90A:ACCUM_OFFSET: 0
; COMPUTE_PGM_RSRC3_GFX90A:TG_SPLIT: 0
	.section	.text._ZN7rocprim17ROCPRIM_400000_NS6detail17trampoline_kernelINS0_14default_configENS1_20scan_config_selectorIxEEZZNS1_9scan_implILNS1_25lookback_scan_determinismE0ELb0ELb1ES3_N6thrust23THRUST_200600_302600_NS6detail15normal_iteratorINS9_10device_ptrIxEEEESE_xNS9_10multipliesIxEExEEDaPvRmT3_T4_T5_mT6_P12ihipStream_tbENKUlT_T0_E_clISt17integral_constantIbLb1EESU_EEDaSP_SQ_EUlSP_E0_NS1_11comp_targetILNS1_3genE0ELNS1_11target_archE4294967295ELNS1_3gpuE0ELNS1_3repE0EEENS1_30default_config_static_selectorELNS0_4arch9wavefront6targetE1EEEvT1_,"axG",@progbits,_ZN7rocprim17ROCPRIM_400000_NS6detail17trampoline_kernelINS0_14default_configENS1_20scan_config_selectorIxEEZZNS1_9scan_implILNS1_25lookback_scan_determinismE0ELb0ELb1ES3_N6thrust23THRUST_200600_302600_NS6detail15normal_iteratorINS9_10device_ptrIxEEEESE_xNS9_10multipliesIxEExEEDaPvRmT3_T4_T5_mT6_P12ihipStream_tbENKUlT_T0_E_clISt17integral_constantIbLb1EESU_EEDaSP_SQ_EUlSP_E0_NS1_11comp_targetILNS1_3genE0ELNS1_11target_archE4294967295ELNS1_3gpuE0ELNS1_3repE0EEENS1_30default_config_static_selectorELNS0_4arch9wavefront6targetE1EEEvT1_,comdat
	.protected	_ZN7rocprim17ROCPRIM_400000_NS6detail17trampoline_kernelINS0_14default_configENS1_20scan_config_selectorIxEEZZNS1_9scan_implILNS1_25lookback_scan_determinismE0ELb0ELb1ES3_N6thrust23THRUST_200600_302600_NS6detail15normal_iteratorINS9_10device_ptrIxEEEESE_xNS9_10multipliesIxEExEEDaPvRmT3_T4_T5_mT6_P12ihipStream_tbENKUlT_T0_E_clISt17integral_constantIbLb1EESU_EEDaSP_SQ_EUlSP_E0_NS1_11comp_targetILNS1_3genE0ELNS1_11target_archE4294967295ELNS1_3gpuE0ELNS1_3repE0EEENS1_30default_config_static_selectorELNS0_4arch9wavefront6targetE1EEEvT1_ ; -- Begin function _ZN7rocprim17ROCPRIM_400000_NS6detail17trampoline_kernelINS0_14default_configENS1_20scan_config_selectorIxEEZZNS1_9scan_implILNS1_25lookback_scan_determinismE0ELb0ELb1ES3_N6thrust23THRUST_200600_302600_NS6detail15normal_iteratorINS9_10device_ptrIxEEEESE_xNS9_10multipliesIxEExEEDaPvRmT3_T4_T5_mT6_P12ihipStream_tbENKUlT_T0_E_clISt17integral_constantIbLb1EESU_EEDaSP_SQ_EUlSP_E0_NS1_11comp_targetILNS1_3genE0ELNS1_11target_archE4294967295ELNS1_3gpuE0ELNS1_3repE0EEENS1_30default_config_static_selectorELNS0_4arch9wavefront6targetE1EEEvT1_
	.globl	_ZN7rocprim17ROCPRIM_400000_NS6detail17trampoline_kernelINS0_14default_configENS1_20scan_config_selectorIxEEZZNS1_9scan_implILNS1_25lookback_scan_determinismE0ELb0ELb1ES3_N6thrust23THRUST_200600_302600_NS6detail15normal_iteratorINS9_10device_ptrIxEEEESE_xNS9_10multipliesIxEExEEDaPvRmT3_T4_T5_mT6_P12ihipStream_tbENKUlT_T0_E_clISt17integral_constantIbLb1EESU_EEDaSP_SQ_EUlSP_E0_NS1_11comp_targetILNS1_3genE0ELNS1_11target_archE4294967295ELNS1_3gpuE0ELNS1_3repE0EEENS1_30default_config_static_selectorELNS0_4arch9wavefront6targetE1EEEvT1_
	.p2align	8
	.type	_ZN7rocprim17ROCPRIM_400000_NS6detail17trampoline_kernelINS0_14default_configENS1_20scan_config_selectorIxEEZZNS1_9scan_implILNS1_25lookback_scan_determinismE0ELb0ELb1ES3_N6thrust23THRUST_200600_302600_NS6detail15normal_iteratorINS9_10device_ptrIxEEEESE_xNS9_10multipliesIxEExEEDaPvRmT3_T4_T5_mT6_P12ihipStream_tbENKUlT_T0_E_clISt17integral_constantIbLb1EESU_EEDaSP_SQ_EUlSP_E0_NS1_11comp_targetILNS1_3genE0ELNS1_11target_archE4294967295ELNS1_3gpuE0ELNS1_3repE0EEENS1_30default_config_static_selectorELNS0_4arch9wavefront6targetE1EEEvT1_,@function
_ZN7rocprim17ROCPRIM_400000_NS6detail17trampoline_kernelINS0_14default_configENS1_20scan_config_selectorIxEEZZNS1_9scan_implILNS1_25lookback_scan_determinismE0ELb0ELb1ES3_N6thrust23THRUST_200600_302600_NS6detail15normal_iteratorINS9_10device_ptrIxEEEESE_xNS9_10multipliesIxEExEEDaPvRmT3_T4_T5_mT6_P12ihipStream_tbENKUlT_T0_E_clISt17integral_constantIbLb1EESU_EEDaSP_SQ_EUlSP_E0_NS1_11comp_targetILNS1_3genE0ELNS1_11target_archE4294967295ELNS1_3gpuE0ELNS1_3repE0EEENS1_30default_config_static_selectorELNS0_4arch9wavefront6targetE1EEEvT1_: ; @_ZN7rocprim17ROCPRIM_400000_NS6detail17trampoline_kernelINS0_14default_configENS1_20scan_config_selectorIxEEZZNS1_9scan_implILNS1_25lookback_scan_determinismE0ELb0ELb1ES3_N6thrust23THRUST_200600_302600_NS6detail15normal_iteratorINS9_10device_ptrIxEEEESE_xNS9_10multipliesIxEExEEDaPvRmT3_T4_T5_mT6_P12ihipStream_tbENKUlT_T0_E_clISt17integral_constantIbLb1EESU_EEDaSP_SQ_EUlSP_E0_NS1_11comp_targetILNS1_3genE0ELNS1_11target_archE4294967295ELNS1_3gpuE0ELNS1_3repE0EEENS1_30default_config_static_selectorELNS0_4arch9wavefront6targetE1EEEvT1_
; %bb.0:
	.section	.rodata,"a",@progbits
	.p2align	6, 0x0
	.amdhsa_kernel _ZN7rocprim17ROCPRIM_400000_NS6detail17trampoline_kernelINS0_14default_configENS1_20scan_config_selectorIxEEZZNS1_9scan_implILNS1_25lookback_scan_determinismE0ELb0ELb1ES3_N6thrust23THRUST_200600_302600_NS6detail15normal_iteratorINS9_10device_ptrIxEEEESE_xNS9_10multipliesIxEExEEDaPvRmT3_T4_T5_mT6_P12ihipStream_tbENKUlT_T0_E_clISt17integral_constantIbLb1EESU_EEDaSP_SQ_EUlSP_E0_NS1_11comp_targetILNS1_3genE0ELNS1_11target_archE4294967295ELNS1_3gpuE0ELNS1_3repE0EEENS1_30default_config_static_selectorELNS0_4arch9wavefront6targetE1EEEvT1_
		.amdhsa_group_segment_fixed_size 0
		.amdhsa_private_segment_fixed_size 0
		.amdhsa_kernarg_size 40
		.amdhsa_user_sgpr_count 6
		.amdhsa_user_sgpr_private_segment_buffer 1
		.amdhsa_user_sgpr_dispatch_ptr 0
		.amdhsa_user_sgpr_queue_ptr 0
		.amdhsa_user_sgpr_kernarg_segment_ptr 1
		.amdhsa_user_sgpr_dispatch_id 0
		.amdhsa_user_sgpr_flat_scratch_init 0
		.amdhsa_user_sgpr_kernarg_preload_length 0
		.amdhsa_user_sgpr_kernarg_preload_offset 0
		.amdhsa_user_sgpr_private_segment_size 0
		.amdhsa_uses_dynamic_stack 0
		.amdhsa_system_sgpr_private_segment_wavefront_offset 0
		.amdhsa_system_sgpr_workgroup_id_x 1
		.amdhsa_system_sgpr_workgroup_id_y 0
		.amdhsa_system_sgpr_workgroup_id_z 0
		.amdhsa_system_sgpr_workgroup_info 0
		.amdhsa_system_vgpr_workitem_id 0
		.amdhsa_next_free_vgpr 1
		.amdhsa_next_free_sgpr 0
		.amdhsa_accum_offset 4
		.amdhsa_reserve_vcc 0
		.amdhsa_reserve_flat_scratch 0
		.amdhsa_float_round_mode_32 0
		.amdhsa_float_round_mode_16_64 0
		.amdhsa_float_denorm_mode_32 3
		.amdhsa_float_denorm_mode_16_64 3
		.amdhsa_dx10_clamp 1
		.amdhsa_ieee_mode 1
		.amdhsa_fp16_overflow 0
		.amdhsa_tg_split 0
		.amdhsa_exception_fp_ieee_invalid_op 0
		.amdhsa_exception_fp_denorm_src 0
		.amdhsa_exception_fp_ieee_div_zero 0
		.amdhsa_exception_fp_ieee_overflow 0
		.amdhsa_exception_fp_ieee_underflow 0
		.amdhsa_exception_fp_ieee_inexact 0
		.amdhsa_exception_int_div_zero 0
	.end_amdhsa_kernel
	.section	.text._ZN7rocprim17ROCPRIM_400000_NS6detail17trampoline_kernelINS0_14default_configENS1_20scan_config_selectorIxEEZZNS1_9scan_implILNS1_25lookback_scan_determinismE0ELb0ELb1ES3_N6thrust23THRUST_200600_302600_NS6detail15normal_iteratorINS9_10device_ptrIxEEEESE_xNS9_10multipliesIxEExEEDaPvRmT3_T4_T5_mT6_P12ihipStream_tbENKUlT_T0_E_clISt17integral_constantIbLb1EESU_EEDaSP_SQ_EUlSP_E0_NS1_11comp_targetILNS1_3genE0ELNS1_11target_archE4294967295ELNS1_3gpuE0ELNS1_3repE0EEENS1_30default_config_static_selectorELNS0_4arch9wavefront6targetE1EEEvT1_,"axG",@progbits,_ZN7rocprim17ROCPRIM_400000_NS6detail17trampoline_kernelINS0_14default_configENS1_20scan_config_selectorIxEEZZNS1_9scan_implILNS1_25lookback_scan_determinismE0ELb0ELb1ES3_N6thrust23THRUST_200600_302600_NS6detail15normal_iteratorINS9_10device_ptrIxEEEESE_xNS9_10multipliesIxEExEEDaPvRmT3_T4_T5_mT6_P12ihipStream_tbENKUlT_T0_E_clISt17integral_constantIbLb1EESU_EEDaSP_SQ_EUlSP_E0_NS1_11comp_targetILNS1_3genE0ELNS1_11target_archE4294967295ELNS1_3gpuE0ELNS1_3repE0EEENS1_30default_config_static_selectorELNS0_4arch9wavefront6targetE1EEEvT1_,comdat
.Lfunc_end297:
	.size	_ZN7rocprim17ROCPRIM_400000_NS6detail17trampoline_kernelINS0_14default_configENS1_20scan_config_selectorIxEEZZNS1_9scan_implILNS1_25lookback_scan_determinismE0ELb0ELb1ES3_N6thrust23THRUST_200600_302600_NS6detail15normal_iteratorINS9_10device_ptrIxEEEESE_xNS9_10multipliesIxEExEEDaPvRmT3_T4_T5_mT6_P12ihipStream_tbENKUlT_T0_E_clISt17integral_constantIbLb1EESU_EEDaSP_SQ_EUlSP_E0_NS1_11comp_targetILNS1_3genE0ELNS1_11target_archE4294967295ELNS1_3gpuE0ELNS1_3repE0EEENS1_30default_config_static_selectorELNS0_4arch9wavefront6targetE1EEEvT1_, .Lfunc_end297-_ZN7rocprim17ROCPRIM_400000_NS6detail17trampoline_kernelINS0_14default_configENS1_20scan_config_selectorIxEEZZNS1_9scan_implILNS1_25lookback_scan_determinismE0ELb0ELb1ES3_N6thrust23THRUST_200600_302600_NS6detail15normal_iteratorINS9_10device_ptrIxEEEESE_xNS9_10multipliesIxEExEEDaPvRmT3_T4_T5_mT6_P12ihipStream_tbENKUlT_T0_E_clISt17integral_constantIbLb1EESU_EEDaSP_SQ_EUlSP_E0_NS1_11comp_targetILNS1_3genE0ELNS1_11target_archE4294967295ELNS1_3gpuE0ELNS1_3repE0EEENS1_30default_config_static_selectorELNS0_4arch9wavefront6targetE1EEEvT1_
                                        ; -- End function
	.section	.AMDGPU.csdata,"",@progbits
; Kernel info:
; codeLenInByte = 0
; NumSgprs: 4
; NumVgprs: 0
; NumAgprs: 0
; TotalNumVgprs: 0
; ScratchSize: 0
; MemoryBound: 0
; FloatMode: 240
; IeeeMode: 1
; LDSByteSize: 0 bytes/workgroup (compile time only)
; SGPRBlocks: 0
; VGPRBlocks: 0
; NumSGPRsForWavesPerEU: 4
; NumVGPRsForWavesPerEU: 1
; AccumOffset: 4
; Occupancy: 8
; WaveLimiterHint : 0
; COMPUTE_PGM_RSRC2:SCRATCH_EN: 0
; COMPUTE_PGM_RSRC2:USER_SGPR: 6
; COMPUTE_PGM_RSRC2:TRAP_HANDLER: 0
; COMPUTE_PGM_RSRC2:TGID_X_EN: 1
; COMPUTE_PGM_RSRC2:TGID_Y_EN: 0
; COMPUTE_PGM_RSRC2:TGID_Z_EN: 0
; COMPUTE_PGM_RSRC2:TIDIG_COMP_CNT: 0
; COMPUTE_PGM_RSRC3_GFX90A:ACCUM_OFFSET: 0
; COMPUTE_PGM_RSRC3_GFX90A:TG_SPLIT: 0
	.section	.text._ZN7rocprim17ROCPRIM_400000_NS6detail17trampoline_kernelINS0_14default_configENS1_20scan_config_selectorIxEEZZNS1_9scan_implILNS1_25lookback_scan_determinismE0ELb0ELb1ES3_N6thrust23THRUST_200600_302600_NS6detail15normal_iteratorINS9_10device_ptrIxEEEESE_xNS9_10multipliesIxEExEEDaPvRmT3_T4_T5_mT6_P12ihipStream_tbENKUlT_T0_E_clISt17integral_constantIbLb1EESU_EEDaSP_SQ_EUlSP_E0_NS1_11comp_targetILNS1_3genE5ELNS1_11target_archE942ELNS1_3gpuE9ELNS1_3repE0EEENS1_30default_config_static_selectorELNS0_4arch9wavefront6targetE1EEEvT1_,"axG",@progbits,_ZN7rocprim17ROCPRIM_400000_NS6detail17trampoline_kernelINS0_14default_configENS1_20scan_config_selectorIxEEZZNS1_9scan_implILNS1_25lookback_scan_determinismE0ELb0ELb1ES3_N6thrust23THRUST_200600_302600_NS6detail15normal_iteratorINS9_10device_ptrIxEEEESE_xNS9_10multipliesIxEExEEDaPvRmT3_T4_T5_mT6_P12ihipStream_tbENKUlT_T0_E_clISt17integral_constantIbLb1EESU_EEDaSP_SQ_EUlSP_E0_NS1_11comp_targetILNS1_3genE5ELNS1_11target_archE942ELNS1_3gpuE9ELNS1_3repE0EEENS1_30default_config_static_selectorELNS0_4arch9wavefront6targetE1EEEvT1_,comdat
	.protected	_ZN7rocprim17ROCPRIM_400000_NS6detail17trampoline_kernelINS0_14default_configENS1_20scan_config_selectorIxEEZZNS1_9scan_implILNS1_25lookback_scan_determinismE0ELb0ELb1ES3_N6thrust23THRUST_200600_302600_NS6detail15normal_iteratorINS9_10device_ptrIxEEEESE_xNS9_10multipliesIxEExEEDaPvRmT3_T4_T5_mT6_P12ihipStream_tbENKUlT_T0_E_clISt17integral_constantIbLb1EESU_EEDaSP_SQ_EUlSP_E0_NS1_11comp_targetILNS1_3genE5ELNS1_11target_archE942ELNS1_3gpuE9ELNS1_3repE0EEENS1_30default_config_static_selectorELNS0_4arch9wavefront6targetE1EEEvT1_ ; -- Begin function _ZN7rocprim17ROCPRIM_400000_NS6detail17trampoline_kernelINS0_14default_configENS1_20scan_config_selectorIxEEZZNS1_9scan_implILNS1_25lookback_scan_determinismE0ELb0ELb1ES3_N6thrust23THRUST_200600_302600_NS6detail15normal_iteratorINS9_10device_ptrIxEEEESE_xNS9_10multipliesIxEExEEDaPvRmT3_T4_T5_mT6_P12ihipStream_tbENKUlT_T0_E_clISt17integral_constantIbLb1EESU_EEDaSP_SQ_EUlSP_E0_NS1_11comp_targetILNS1_3genE5ELNS1_11target_archE942ELNS1_3gpuE9ELNS1_3repE0EEENS1_30default_config_static_selectorELNS0_4arch9wavefront6targetE1EEEvT1_
	.globl	_ZN7rocprim17ROCPRIM_400000_NS6detail17trampoline_kernelINS0_14default_configENS1_20scan_config_selectorIxEEZZNS1_9scan_implILNS1_25lookback_scan_determinismE0ELb0ELb1ES3_N6thrust23THRUST_200600_302600_NS6detail15normal_iteratorINS9_10device_ptrIxEEEESE_xNS9_10multipliesIxEExEEDaPvRmT3_T4_T5_mT6_P12ihipStream_tbENKUlT_T0_E_clISt17integral_constantIbLb1EESU_EEDaSP_SQ_EUlSP_E0_NS1_11comp_targetILNS1_3genE5ELNS1_11target_archE942ELNS1_3gpuE9ELNS1_3repE0EEENS1_30default_config_static_selectorELNS0_4arch9wavefront6targetE1EEEvT1_
	.p2align	8
	.type	_ZN7rocprim17ROCPRIM_400000_NS6detail17trampoline_kernelINS0_14default_configENS1_20scan_config_selectorIxEEZZNS1_9scan_implILNS1_25lookback_scan_determinismE0ELb0ELb1ES3_N6thrust23THRUST_200600_302600_NS6detail15normal_iteratorINS9_10device_ptrIxEEEESE_xNS9_10multipliesIxEExEEDaPvRmT3_T4_T5_mT6_P12ihipStream_tbENKUlT_T0_E_clISt17integral_constantIbLb1EESU_EEDaSP_SQ_EUlSP_E0_NS1_11comp_targetILNS1_3genE5ELNS1_11target_archE942ELNS1_3gpuE9ELNS1_3repE0EEENS1_30default_config_static_selectorELNS0_4arch9wavefront6targetE1EEEvT1_,@function
_ZN7rocprim17ROCPRIM_400000_NS6detail17trampoline_kernelINS0_14default_configENS1_20scan_config_selectorIxEEZZNS1_9scan_implILNS1_25lookback_scan_determinismE0ELb0ELb1ES3_N6thrust23THRUST_200600_302600_NS6detail15normal_iteratorINS9_10device_ptrIxEEEESE_xNS9_10multipliesIxEExEEDaPvRmT3_T4_T5_mT6_P12ihipStream_tbENKUlT_T0_E_clISt17integral_constantIbLb1EESU_EEDaSP_SQ_EUlSP_E0_NS1_11comp_targetILNS1_3genE5ELNS1_11target_archE942ELNS1_3gpuE9ELNS1_3repE0EEENS1_30default_config_static_selectorELNS0_4arch9wavefront6targetE1EEEvT1_: ; @_ZN7rocprim17ROCPRIM_400000_NS6detail17trampoline_kernelINS0_14default_configENS1_20scan_config_selectorIxEEZZNS1_9scan_implILNS1_25lookback_scan_determinismE0ELb0ELb1ES3_N6thrust23THRUST_200600_302600_NS6detail15normal_iteratorINS9_10device_ptrIxEEEESE_xNS9_10multipliesIxEExEEDaPvRmT3_T4_T5_mT6_P12ihipStream_tbENKUlT_T0_E_clISt17integral_constantIbLb1EESU_EEDaSP_SQ_EUlSP_E0_NS1_11comp_targetILNS1_3genE5ELNS1_11target_archE942ELNS1_3gpuE9ELNS1_3repE0EEENS1_30default_config_static_selectorELNS0_4arch9wavefront6targetE1EEEvT1_
; %bb.0:
	.section	.rodata,"a",@progbits
	.p2align	6, 0x0
	.amdhsa_kernel _ZN7rocprim17ROCPRIM_400000_NS6detail17trampoline_kernelINS0_14default_configENS1_20scan_config_selectorIxEEZZNS1_9scan_implILNS1_25lookback_scan_determinismE0ELb0ELb1ES3_N6thrust23THRUST_200600_302600_NS6detail15normal_iteratorINS9_10device_ptrIxEEEESE_xNS9_10multipliesIxEExEEDaPvRmT3_T4_T5_mT6_P12ihipStream_tbENKUlT_T0_E_clISt17integral_constantIbLb1EESU_EEDaSP_SQ_EUlSP_E0_NS1_11comp_targetILNS1_3genE5ELNS1_11target_archE942ELNS1_3gpuE9ELNS1_3repE0EEENS1_30default_config_static_selectorELNS0_4arch9wavefront6targetE1EEEvT1_
		.amdhsa_group_segment_fixed_size 0
		.amdhsa_private_segment_fixed_size 0
		.amdhsa_kernarg_size 40
		.amdhsa_user_sgpr_count 6
		.amdhsa_user_sgpr_private_segment_buffer 1
		.amdhsa_user_sgpr_dispatch_ptr 0
		.amdhsa_user_sgpr_queue_ptr 0
		.amdhsa_user_sgpr_kernarg_segment_ptr 1
		.amdhsa_user_sgpr_dispatch_id 0
		.amdhsa_user_sgpr_flat_scratch_init 0
		.amdhsa_user_sgpr_kernarg_preload_length 0
		.amdhsa_user_sgpr_kernarg_preload_offset 0
		.amdhsa_user_sgpr_private_segment_size 0
		.amdhsa_uses_dynamic_stack 0
		.amdhsa_system_sgpr_private_segment_wavefront_offset 0
		.amdhsa_system_sgpr_workgroup_id_x 1
		.amdhsa_system_sgpr_workgroup_id_y 0
		.amdhsa_system_sgpr_workgroup_id_z 0
		.amdhsa_system_sgpr_workgroup_info 0
		.amdhsa_system_vgpr_workitem_id 0
		.amdhsa_next_free_vgpr 1
		.amdhsa_next_free_sgpr 0
		.amdhsa_accum_offset 4
		.amdhsa_reserve_vcc 0
		.amdhsa_reserve_flat_scratch 0
		.amdhsa_float_round_mode_32 0
		.amdhsa_float_round_mode_16_64 0
		.amdhsa_float_denorm_mode_32 3
		.amdhsa_float_denorm_mode_16_64 3
		.amdhsa_dx10_clamp 1
		.amdhsa_ieee_mode 1
		.amdhsa_fp16_overflow 0
		.amdhsa_tg_split 0
		.amdhsa_exception_fp_ieee_invalid_op 0
		.amdhsa_exception_fp_denorm_src 0
		.amdhsa_exception_fp_ieee_div_zero 0
		.amdhsa_exception_fp_ieee_overflow 0
		.amdhsa_exception_fp_ieee_underflow 0
		.amdhsa_exception_fp_ieee_inexact 0
		.amdhsa_exception_int_div_zero 0
	.end_amdhsa_kernel
	.section	.text._ZN7rocprim17ROCPRIM_400000_NS6detail17trampoline_kernelINS0_14default_configENS1_20scan_config_selectorIxEEZZNS1_9scan_implILNS1_25lookback_scan_determinismE0ELb0ELb1ES3_N6thrust23THRUST_200600_302600_NS6detail15normal_iteratorINS9_10device_ptrIxEEEESE_xNS9_10multipliesIxEExEEDaPvRmT3_T4_T5_mT6_P12ihipStream_tbENKUlT_T0_E_clISt17integral_constantIbLb1EESU_EEDaSP_SQ_EUlSP_E0_NS1_11comp_targetILNS1_3genE5ELNS1_11target_archE942ELNS1_3gpuE9ELNS1_3repE0EEENS1_30default_config_static_selectorELNS0_4arch9wavefront6targetE1EEEvT1_,"axG",@progbits,_ZN7rocprim17ROCPRIM_400000_NS6detail17trampoline_kernelINS0_14default_configENS1_20scan_config_selectorIxEEZZNS1_9scan_implILNS1_25lookback_scan_determinismE0ELb0ELb1ES3_N6thrust23THRUST_200600_302600_NS6detail15normal_iteratorINS9_10device_ptrIxEEEESE_xNS9_10multipliesIxEExEEDaPvRmT3_T4_T5_mT6_P12ihipStream_tbENKUlT_T0_E_clISt17integral_constantIbLb1EESU_EEDaSP_SQ_EUlSP_E0_NS1_11comp_targetILNS1_3genE5ELNS1_11target_archE942ELNS1_3gpuE9ELNS1_3repE0EEENS1_30default_config_static_selectorELNS0_4arch9wavefront6targetE1EEEvT1_,comdat
.Lfunc_end298:
	.size	_ZN7rocprim17ROCPRIM_400000_NS6detail17trampoline_kernelINS0_14default_configENS1_20scan_config_selectorIxEEZZNS1_9scan_implILNS1_25lookback_scan_determinismE0ELb0ELb1ES3_N6thrust23THRUST_200600_302600_NS6detail15normal_iteratorINS9_10device_ptrIxEEEESE_xNS9_10multipliesIxEExEEDaPvRmT3_T4_T5_mT6_P12ihipStream_tbENKUlT_T0_E_clISt17integral_constantIbLb1EESU_EEDaSP_SQ_EUlSP_E0_NS1_11comp_targetILNS1_3genE5ELNS1_11target_archE942ELNS1_3gpuE9ELNS1_3repE0EEENS1_30default_config_static_selectorELNS0_4arch9wavefront6targetE1EEEvT1_, .Lfunc_end298-_ZN7rocprim17ROCPRIM_400000_NS6detail17trampoline_kernelINS0_14default_configENS1_20scan_config_selectorIxEEZZNS1_9scan_implILNS1_25lookback_scan_determinismE0ELb0ELb1ES3_N6thrust23THRUST_200600_302600_NS6detail15normal_iteratorINS9_10device_ptrIxEEEESE_xNS9_10multipliesIxEExEEDaPvRmT3_T4_T5_mT6_P12ihipStream_tbENKUlT_T0_E_clISt17integral_constantIbLb1EESU_EEDaSP_SQ_EUlSP_E0_NS1_11comp_targetILNS1_3genE5ELNS1_11target_archE942ELNS1_3gpuE9ELNS1_3repE0EEENS1_30default_config_static_selectorELNS0_4arch9wavefront6targetE1EEEvT1_
                                        ; -- End function
	.section	.AMDGPU.csdata,"",@progbits
; Kernel info:
; codeLenInByte = 0
; NumSgprs: 4
; NumVgprs: 0
; NumAgprs: 0
; TotalNumVgprs: 0
; ScratchSize: 0
; MemoryBound: 0
; FloatMode: 240
; IeeeMode: 1
; LDSByteSize: 0 bytes/workgroup (compile time only)
; SGPRBlocks: 0
; VGPRBlocks: 0
; NumSGPRsForWavesPerEU: 4
; NumVGPRsForWavesPerEU: 1
; AccumOffset: 4
; Occupancy: 8
; WaveLimiterHint : 0
; COMPUTE_PGM_RSRC2:SCRATCH_EN: 0
; COMPUTE_PGM_RSRC2:USER_SGPR: 6
; COMPUTE_PGM_RSRC2:TRAP_HANDLER: 0
; COMPUTE_PGM_RSRC2:TGID_X_EN: 1
; COMPUTE_PGM_RSRC2:TGID_Y_EN: 0
; COMPUTE_PGM_RSRC2:TGID_Z_EN: 0
; COMPUTE_PGM_RSRC2:TIDIG_COMP_CNT: 0
; COMPUTE_PGM_RSRC3_GFX90A:ACCUM_OFFSET: 0
; COMPUTE_PGM_RSRC3_GFX90A:TG_SPLIT: 0
	.section	.text._ZN7rocprim17ROCPRIM_400000_NS6detail17trampoline_kernelINS0_14default_configENS1_20scan_config_selectorIxEEZZNS1_9scan_implILNS1_25lookback_scan_determinismE0ELb0ELb1ES3_N6thrust23THRUST_200600_302600_NS6detail15normal_iteratorINS9_10device_ptrIxEEEESE_xNS9_10multipliesIxEExEEDaPvRmT3_T4_T5_mT6_P12ihipStream_tbENKUlT_T0_E_clISt17integral_constantIbLb1EESU_EEDaSP_SQ_EUlSP_E0_NS1_11comp_targetILNS1_3genE4ELNS1_11target_archE910ELNS1_3gpuE8ELNS1_3repE0EEENS1_30default_config_static_selectorELNS0_4arch9wavefront6targetE1EEEvT1_,"axG",@progbits,_ZN7rocprim17ROCPRIM_400000_NS6detail17trampoline_kernelINS0_14default_configENS1_20scan_config_selectorIxEEZZNS1_9scan_implILNS1_25lookback_scan_determinismE0ELb0ELb1ES3_N6thrust23THRUST_200600_302600_NS6detail15normal_iteratorINS9_10device_ptrIxEEEESE_xNS9_10multipliesIxEExEEDaPvRmT3_T4_T5_mT6_P12ihipStream_tbENKUlT_T0_E_clISt17integral_constantIbLb1EESU_EEDaSP_SQ_EUlSP_E0_NS1_11comp_targetILNS1_3genE4ELNS1_11target_archE910ELNS1_3gpuE8ELNS1_3repE0EEENS1_30default_config_static_selectorELNS0_4arch9wavefront6targetE1EEEvT1_,comdat
	.protected	_ZN7rocprim17ROCPRIM_400000_NS6detail17trampoline_kernelINS0_14default_configENS1_20scan_config_selectorIxEEZZNS1_9scan_implILNS1_25lookback_scan_determinismE0ELb0ELb1ES3_N6thrust23THRUST_200600_302600_NS6detail15normal_iteratorINS9_10device_ptrIxEEEESE_xNS9_10multipliesIxEExEEDaPvRmT3_T4_T5_mT6_P12ihipStream_tbENKUlT_T0_E_clISt17integral_constantIbLb1EESU_EEDaSP_SQ_EUlSP_E0_NS1_11comp_targetILNS1_3genE4ELNS1_11target_archE910ELNS1_3gpuE8ELNS1_3repE0EEENS1_30default_config_static_selectorELNS0_4arch9wavefront6targetE1EEEvT1_ ; -- Begin function _ZN7rocprim17ROCPRIM_400000_NS6detail17trampoline_kernelINS0_14default_configENS1_20scan_config_selectorIxEEZZNS1_9scan_implILNS1_25lookback_scan_determinismE0ELb0ELb1ES3_N6thrust23THRUST_200600_302600_NS6detail15normal_iteratorINS9_10device_ptrIxEEEESE_xNS9_10multipliesIxEExEEDaPvRmT3_T4_T5_mT6_P12ihipStream_tbENKUlT_T0_E_clISt17integral_constantIbLb1EESU_EEDaSP_SQ_EUlSP_E0_NS1_11comp_targetILNS1_3genE4ELNS1_11target_archE910ELNS1_3gpuE8ELNS1_3repE0EEENS1_30default_config_static_selectorELNS0_4arch9wavefront6targetE1EEEvT1_
	.globl	_ZN7rocprim17ROCPRIM_400000_NS6detail17trampoline_kernelINS0_14default_configENS1_20scan_config_selectorIxEEZZNS1_9scan_implILNS1_25lookback_scan_determinismE0ELb0ELb1ES3_N6thrust23THRUST_200600_302600_NS6detail15normal_iteratorINS9_10device_ptrIxEEEESE_xNS9_10multipliesIxEExEEDaPvRmT3_T4_T5_mT6_P12ihipStream_tbENKUlT_T0_E_clISt17integral_constantIbLb1EESU_EEDaSP_SQ_EUlSP_E0_NS1_11comp_targetILNS1_3genE4ELNS1_11target_archE910ELNS1_3gpuE8ELNS1_3repE0EEENS1_30default_config_static_selectorELNS0_4arch9wavefront6targetE1EEEvT1_
	.p2align	8
	.type	_ZN7rocprim17ROCPRIM_400000_NS6detail17trampoline_kernelINS0_14default_configENS1_20scan_config_selectorIxEEZZNS1_9scan_implILNS1_25lookback_scan_determinismE0ELb0ELb1ES3_N6thrust23THRUST_200600_302600_NS6detail15normal_iteratorINS9_10device_ptrIxEEEESE_xNS9_10multipliesIxEExEEDaPvRmT3_T4_T5_mT6_P12ihipStream_tbENKUlT_T0_E_clISt17integral_constantIbLb1EESU_EEDaSP_SQ_EUlSP_E0_NS1_11comp_targetILNS1_3genE4ELNS1_11target_archE910ELNS1_3gpuE8ELNS1_3repE0EEENS1_30default_config_static_selectorELNS0_4arch9wavefront6targetE1EEEvT1_,@function
_ZN7rocprim17ROCPRIM_400000_NS6detail17trampoline_kernelINS0_14default_configENS1_20scan_config_selectorIxEEZZNS1_9scan_implILNS1_25lookback_scan_determinismE0ELb0ELb1ES3_N6thrust23THRUST_200600_302600_NS6detail15normal_iteratorINS9_10device_ptrIxEEEESE_xNS9_10multipliesIxEExEEDaPvRmT3_T4_T5_mT6_P12ihipStream_tbENKUlT_T0_E_clISt17integral_constantIbLb1EESU_EEDaSP_SQ_EUlSP_E0_NS1_11comp_targetILNS1_3genE4ELNS1_11target_archE910ELNS1_3gpuE8ELNS1_3repE0EEENS1_30default_config_static_selectorELNS0_4arch9wavefront6targetE1EEEvT1_: ; @_ZN7rocprim17ROCPRIM_400000_NS6detail17trampoline_kernelINS0_14default_configENS1_20scan_config_selectorIxEEZZNS1_9scan_implILNS1_25lookback_scan_determinismE0ELb0ELb1ES3_N6thrust23THRUST_200600_302600_NS6detail15normal_iteratorINS9_10device_ptrIxEEEESE_xNS9_10multipliesIxEExEEDaPvRmT3_T4_T5_mT6_P12ihipStream_tbENKUlT_T0_E_clISt17integral_constantIbLb1EESU_EEDaSP_SQ_EUlSP_E0_NS1_11comp_targetILNS1_3genE4ELNS1_11target_archE910ELNS1_3gpuE8ELNS1_3repE0EEENS1_30default_config_static_selectorELNS0_4arch9wavefront6targetE1EEEvT1_
; %bb.0:
	s_load_dwordx4 s[16:19], s[4:5], 0x0
	v_lshlrev_b32_e32 v30, 3, v0
	s_waitcnt lgkmcnt(0)
	s_load_dwordx2 s[14:15], s[16:17], 0x0
	v_cmp_gt_u32_e32 vcc, s18, v0
	s_waitcnt lgkmcnt(0)
	v_pk_mov_b32 v[2:3], s[14:15], s[14:15] op_sel:[0,1]
	s_and_saveexec_b64 s[0:1], vcc
	s_cbranch_execz .LBB299_2
; %bb.1:
	global_load_dwordx2 v[2:3], v30, s[16:17]
.LBB299_2:
	s_or_b64 exec, exec, s[0:1]
	v_or_b32_e32 v1, 0x80, v0
	v_cmp_gt_u32_e64 s[0:1], s18, v1
	v_pk_mov_b32 v[4:5], s[14:15], s[14:15] op_sel:[0,1]
	s_and_saveexec_b64 s[2:3], s[0:1]
	s_cbranch_execz .LBB299_4
; %bb.3:
	global_load_dwordx2 v[4:5], v30, s[16:17] offset:1024
.LBB299_4:
	s_or_b64 exec, exec, s[2:3]
	v_or_b32_e32 v1, 0x100, v0
	v_cmp_gt_u32_e64 s[2:3], s18, v1
	v_pk_mov_b32 v[6:7], s[14:15], s[14:15] op_sel:[0,1]
	s_and_saveexec_b64 s[6:7], s[2:3]
	s_cbranch_execz .LBB299_6
; %bb.5:
	global_load_dwordx2 v[6:7], v30, s[16:17] offset:2048
.LBB299_6:
	;; [unrolled: 9-line block ×3, first 2 shown]
	s_or_b64 exec, exec, s[6:7]
	v_or_b32_e32 v1, 0x200, v0
	v_cmp_gt_u32_e64 s[6:7], s18, v1
	v_pk_mov_b32 v[10:11], s[14:15], s[14:15] op_sel:[0,1]
	s_and_saveexec_b64 s[8:9], s[6:7]
	s_cbranch_execz .LBB299_10
; %bb.9:
	v_lshlrev_b32_e32 v1, 3, v1
	global_load_dwordx2 v[10:11], v1, s[16:17]
.LBB299_10:
	s_or_b64 exec, exec, s[8:9]
	v_or_b32_e32 v1, 0x280, v0
	v_cmp_gt_u32_e64 s[8:9], s18, v1
	v_pk_mov_b32 v[12:13], s[14:15], s[14:15] op_sel:[0,1]
	s_and_saveexec_b64 s[10:11], s[8:9]
	s_cbranch_execz .LBB299_12
; %bb.11:
	v_lshlrev_b32_e32 v1, 3, v1
	global_load_dwordx2 v[12:13], v1, s[16:17]
.LBB299_12:
	s_or_b64 exec, exec, s[10:11]
	s_load_dwordx2 s[20:21], s[4:5], 0x10
	v_or_b32_e32 v1, 0x300, v0
	v_cmp_gt_u32_e64 s[10:11], s18, v1
	v_pk_mov_b32 v[14:15], s[14:15], s[14:15] op_sel:[0,1]
	s_and_saveexec_b64 s[14:15], s[10:11]
	s_cbranch_execz .LBB299_14
; %bb.13:
	v_lshlrev_b32_e32 v1, 3, v1
	global_load_dwordx2 v[14:15], v1, s[16:17]
.LBB299_14:
	s_or_b64 exec, exec, s[14:15]
	v_mad_u32_u24 v1, v0, 48, v30
	s_waitcnt vmcnt(0)
	ds_write2st64_b64 v30, v[2:3], v[4:5] offset1:2
	ds_write2st64_b64 v30, v[6:7], v[8:9] offset0:4 offset1:6
	ds_write2st64_b64 v30, v[10:11], v[12:13] offset0:8 offset1:10
	ds_write_b64 v30, v[14:15] offset:6144
	s_waitcnt lgkmcnt(0)
	s_barrier
	ds_read2_b64 v[6:9], v1 offset1:1
	ds_read2_b64 v[10:13], v1 offset0:2 offset1:3
	ds_read2_b64 v[2:5], v1 offset0:4 offset1:5
	ds_read_b64 v[18:19], v1 offset:48
	s_load_dwordx2 s[14:15], s[4:5], 0x20
	s_waitcnt lgkmcnt(0)
	v_mul_lo_u32 v1, v9, v6
	v_mul_lo_u32 v14, v8, v7
	v_mad_u64_u32 v[20:21], s[4:5], v8, v6, 0
	v_add3_u32 v21, v21, v14, v1
	v_mul_lo_u32 v1, v21, v10
	v_mul_lo_u32 v14, v20, v11
	v_mad_u64_u32 v[22:23], s[4:5], v20, v10, 0
	v_add3_u32 v23, v23, v14, v1
	;; [unrolled: 4-line block ×6, first 2 shown]
	v_lshrrev_b32_e32 v1, 2, v0
	v_and_b32_e32 v1, 24, v1
	v_add_u32_e32 v1, v30, v1
	v_cmp_gt_u32_e64 s[4:5], 64, v0
	s_barrier
	ds_write_b64 v1, v[28:29]
	s_waitcnt lgkmcnt(0)
	s_barrier
	s_and_saveexec_b64 s[16:17], s[4:5]
	s_cbranch_execz .LBB299_28
; %bb.15:
	v_lshlrev_b32_e32 v1, 1, v0
	v_lshrrev_b32_e32 v14, 4, v0
	v_add_lshl_u32 v1, v14, v1, 3
	ds_read2_b64 v[14:17], v1 offset1:1
	s_waitcnt lgkmcnt(0)
	v_mul_lo_u32 v31, v17, v14
	v_mul_lo_u32 v32, v16, v15
	v_mad_u64_u32 v[16:17], s[4:5], v16, v14, 0
	v_add3_u32 v17, v17, v32, v31
	v_mbcnt_lo_u32_b32 v31, -1, 0
	v_mbcnt_hi_u32_b32 v31, -1, v31
	v_and_b32_e32 v32, 15, v31
	v_mov_b32_dpp v33, v16 row_shr:1 row_mask:0xf bank_mask:0xf
	v_mov_b32_dpp v34, v17 row_shr:1 row_mask:0xf bank_mask:0xf
	v_cmp_ne_u32_e64 s[4:5], 0, v32
	s_and_saveexec_b64 s[18:19], s[4:5]
; %bb.16:
	v_mul_lo_u32 v34, v34, v16
	v_mul_lo_u32 v35, v33, v17
	v_mad_u64_u32 v[16:17], s[4:5], v33, v16, 0
	v_add3_u32 v17, v17, v35, v34
; %bb.17:
	s_or_b64 exec, exec, s[18:19]
	v_mov_b32_dpp v33, v16 row_shr:2 row_mask:0xf bank_mask:0xf
	v_mov_b32_dpp v34, v17 row_shr:2 row_mask:0xf bank_mask:0xf
	v_cmp_lt_u32_e64 s[4:5], 1, v32
	s_and_saveexec_b64 s[18:19], s[4:5]
; %bb.18:
	v_mul_lo_u32 v34, v34, v16
	v_mul_lo_u32 v35, v33, v17
	v_mad_u64_u32 v[16:17], s[4:5], v33, v16, 0
	v_add3_u32 v17, v17, v35, v34
; %bb.19:
	s_or_b64 exec, exec, s[18:19]
	v_mov_b32_dpp v33, v16 row_shr:4 row_mask:0xf bank_mask:0xf
	v_mov_b32_dpp v34, v17 row_shr:4 row_mask:0xf bank_mask:0xf
	v_cmp_lt_u32_e64 s[4:5], 3, v32
	;; [unrolled: 11-line block ×3, first 2 shown]
	s_and_saveexec_b64 s[18:19], s[4:5]
; %bb.22:
	v_mul_lo_u32 v32, v34, v16
	v_mul_lo_u32 v34, v33, v17
	v_mad_u64_u32 v[16:17], s[4:5], v33, v16, 0
	v_add3_u32 v17, v17, v34, v32
; %bb.23:
	s_or_b64 exec, exec, s[18:19]
	v_and_b32_e32 v34, 16, v31
	v_mov_b32_dpp v32, v16 row_bcast:15 row_mask:0xf bank_mask:0xf
	v_mov_b32_dpp v33, v17 row_bcast:15 row_mask:0xf bank_mask:0xf
	v_cmp_ne_u32_e64 s[4:5], 0, v34
	s_and_saveexec_b64 s[18:19], s[4:5]
; %bb.24:
	v_mul_lo_u32 v33, v33, v16
	v_mul_lo_u32 v34, v32, v17
	v_mad_u64_u32 v[16:17], s[4:5], v32, v16, 0
	v_add3_u32 v17, v17, v34, v33
; %bb.25:
	s_or_b64 exec, exec, s[18:19]
	v_mov_b32_dpp v32, v16 row_bcast:31 row_mask:0xf bank_mask:0xf
	v_mov_b32_dpp v33, v17 row_bcast:31 row_mask:0xf bank_mask:0xf
	v_cmp_lt_u32_e64 s[4:5], 31, v31
	s_and_saveexec_b64 s[18:19], s[4:5]
; %bb.26:
	v_mul_lo_u32 v33, v33, v16
	v_mul_lo_u32 v34, v32, v17
	v_mad_u64_u32 v[16:17], s[4:5], v32, v16, 0
	v_add3_u32 v17, v17, v34, v33
; %bb.27:
	s_or_b64 exec, exec, s[18:19]
	v_add_u32_e32 v32, -1, v31
	v_and_b32_e32 v33, 64, v31
	v_cmp_lt_i32_e64 s[4:5], v32, v33
	v_cndmask_b32_e64 v31, v32, v31, s[4:5]
	v_lshlrev_b32_e32 v31, 2, v31
	ds_bpermute_b32 v17, v31, v17
	ds_bpermute_b32 v16, v31, v16
	; wave barrier
	s_waitcnt lgkmcnt(1)
	v_mul_lo_u32 v17, v17, v14
	s_waitcnt lgkmcnt(0)
	v_mul_lo_u32 v31, v16, v15
	v_mad_u64_u32 v[14:15], s[4:5], v16, v14, 0
	v_add3_u32 v15, v15, v31, v17
	v_cmp_eq_u32_e64 s[4:5], 0, v0
	v_cndmask_b32_e64 v15, v15, v29, s[4:5]
	v_cndmask_b32_e64 v14, v14, v28, s[4:5]
	ds_write_b64 v1, v[14:15]
	; wave barrier
	ds_read_b64 v[16:17], v1 offset:8
	s_waitcnt lgkmcnt(0)
	v_mul_lo_u32 v31, v16, v15
	v_mul_lo_u32 v17, v17, v14
	v_mad_u64_u32 v[14:15], s[4:5], v16, v14, 0
	v_add3_u32 v15, v15, v31, v17
	ds_write_b64 v1, v[14:15] offset:8
.LBB299_28:
	s_or_b64 exec, exec, s[16:17]
	v_mul_u32_u24_e32 v1, 48, v0
	v_cmp_ne_u32_e64 s[4:5], 0, v0
	s_waitcnt lgkmcnt(0)
	s_barrier
	s_and_saveexec_b64 s[16:17], s[4:5]
	s_cbranch_execz .LBB299_30
; %bb.29:
	v_add_u32_e32 v0, -1, v0
	v_lshrrev_b32_e32 v14, 5, v0
	v_add_lshl_u32 v0, v14, v0, 3
	ds_read_b64 v[28:29], v0
.LBB299_30:
	s_or_b64 exec, exec, s[16:17]
	s_and_saveexec_b64 s[16:17], s[4:5]
	s_cbranch_execz .LBB299_32
; %bb.31:
	s_waitcnt lgkmcnt(0)
	v_mul_lo_u32 v0, v29, v6
	v_mul_lo_u32 v14, v28, v7
	v_mad_u64_u32 v[6:7], s[4:5], v28, v6, 0
	v_add3_u32 v7, v7, v14, v0
	v_mul_lo_u32 v0, v7, v8
	v_mul_lo_u32 v9, v6, v9
	v_mad_u64_u32 v[20:21], s[4:5], v6, v8, 0
	v_add3_u32 v21, v21, v9, v0
	;; [unrolled: 4-line block ×5, first 2 shown]
	;;#ASMSTART
	;;#ASMEND
.LBB299_32:
	s_or_b64 exec, exec, s[16:17]
	v_mul_lo_u32 v0, v7, s20
	v_mul_lo_u32 v7, v6, s21
	v_mad_u64_u32 v[2:3], s[4:5], v6, s20, 0
	v_add3_u32 v3, v3, v7, v0
	v_mul_lo_u32 v0, v21, s20
	v_mul_lo_u32 v8, v20, s21
	v_mad_u64_u32 v[6:7], s[4:5], v20, s20, 0
	v_add3_u32 v7, v7, v8, v0
	v_mul_lo_u32 v0, v23, s20
	v_mul_lo_u32 v10, v22, s21
	v_mad_u64_u32 v[8:9], s[4:5], v22, s20, 0
	v_add3_u32 v9, v9, v10, v0
	v_mul_lo_u32 v0, v25, s20
	v_mul_lo_u32 v12, v24, s21
	v_mad_u64_u32 v[10:11], s[4:5], v24, s20, 0
	v_add3_u32 v11, v11, v12, v0
	v_mul_lo_u32 v0, v27, s20
	v_mul_lo_u32 v14, v26, s21
	v_mad_u64_u32 v[12:13], s[4:5], v26, s20, 0
	v_add3_u32 v13, v13, v14, v0
	v_mul_lo_u32 v0, v13, v4
	v_mul_lo_u32 v14, v12, v5
	v_mad_u64_u32 v[4:5], s[4:5], v12, v4, 0
	v_add3_u32 v5, v5, v14, v0
	v_mul_lo_u32 v0, v5, v18
	v_mul_lo_u32 v16, v4, v19
	v_mad_u64_u32 v[14:15], s[4:5], v4, v18, 0
	v_add3_u32 v15, v15, v16, v0
	v_add_u32_e32 v0, v30, v1
	s_waitcnt lgkmcnt(0)
	s_barrier
	ds_write2_b64 v0, v[2:3], v[6:7] offset1:1
	ds_write2_b64 v0, v[8:9], v[10:11] offset0:2 offset1:3
	ds_write2_b64 v0, v[12:13], v[4:5] offset0:4 offset1:5
	ds_write_b64 v0, v[14:15] offset:48
	s_waitcnt lgkmcnt(0)
	s_barrier
	ds_read2st64_b64 v[8:11], v30 offset0:2 offset1:4
	ds_read2st64_b64 v[4:7], v30 offset0:6 offset1:8
	;; [unrolled: 1-line block ×3, first 2 shown]
	v_mov_b32_e32 v13, s15
	v_add_co_u32_e64 v12, s[4:5], s14, v30
	v_addc_co_u32_e64 v13, s[4:5], 0, v13, s[4:5]
	s_and_saveexec_b64 s[4:5], vcc
	s_cbranch_execnz .LBB299_40
; %bb.33:
	s_or_b64 exec, exec, s[4:5]
	s_and_saveexec_b64 s[4:5], s[0:1]
	s_cbranch_execnz .LBB299_41
.LBB299_34:
	s_or_b64 exec, exec, s[4:5]
	s_and_saveexec_b64 s[0:1], s[2:3]
	s_cbranch_execnz .LBB299_42
.LBB299_35:
	s_or_b64 exec, exec, s[0:1]
	s_and_saveexec_b64 s[0:1], s[12:13]
	s_cbranch_execnz .LBB299_43
.LBB299_36:
	s_or_b64 exec, exec, s[0:1]
	s_and_saveexec_b64 s[0:1], s[6:7]
	s_cbranch_execnz .LBB299_44
.LBB299_37:
	s_or_b64 exec, exec, s[0:1]
	s_and_saveexec_b64 s[0:1], s[8:9]
	s_cbranch_execnz .LBB299_45
.LBB299_38:
	s_or_b64 exec, exec, s[0:1]
	s_and_saveexec_b64 s[0:1], s[10:11]
	s_cbranch_execnz .LBB299_46
.LBB299_39:
	s_endpgm
.LBB299_40:
	ds_read_b64 v[14:15], v30
	s_waitcnt lgkmcnt(0)
	global_store_dwordx2 v[12:13], v[14:15], off
	s_or_b64 exec, exec, s[4:5]
	s_and_saveexec_b64 s[4:5], s[0:1]
	s_cbranch_execz .LBB299_34
.LBB299_41:
	s_waitcnt lgkmcnt(2)
	global_store_dwordx2 v[12:13], v[8:9], off offset:1024
	s_or_b64 exec, exec, s[4:5]
	s_and_saveexec_b64 s[0:1], s[2:3]
	s_cbranch_execz .LBB299_35
.LBB299_42:
	s_waitcnt lgkmcnt(2)
	global_store_dwordx2 v[12:13], v[10:11], off offset:2048
	s_or_b64 exec, exec, s[0:1]
	s_and_saveexec_b64 s[0:1], s[12:13]
	s_cbranch_execz .LBB299_36
.LBB299_43:
	s_waitcnt lgkmcnt(1)
	global_store_dwordx2 v[12:13], v[4:5], off offset:3072
	s_or_b64 exec, exec, s[0:1]
	s_and_saveexec_b64 s[0:1], s[6:7]
	s_cbranch_execz .LBB299_37
.LBB299_44:
	s_waitcnt lgkmcnt(1)
	v_add_co_u32_e32 v4, vcc, 0x1000, v12
	v_addc_co_u32_e32 v5, vcc, 0, v13, vcc
	global_store_dwordx2 v[4:5], v[6:7], off
	s_or_b64 exec, exec, s[0:1]
	s_and_saveexec_b64 s[0:1], s[8:9]
	s_cbranch_execz .LBB299_38
.LBB299_45:
	s_waitcnt lgkmcnt(1)
	v_add_co_u32_e32 v4, vcc, 0x1000, v12
	v_addc_co_u32_e32 v5, vcc, 0, v13, vcc
	s_waitcnt lgkmcnt(0)
	global_store_dwordx2 v[4:5], v[0:1], off offset:1024
	s_or_b64 exec, exec, s[0:1]
	s_and_saveexec_b64 s[0:1], s[10:11]
	s_cbranch_execz .LBB299_39
.LBB299_46:
	s_waitcnt lgkmcnt(0)
	v_add_co_u32_e32 v0, vcc, 0x1000, v12
	v_addc_co_u32_e32 v1, vcc, 0, v13, vcc
	global_store_dwordx2 v[0:1], v[2:3], off offset:2048
	s_endpgm
	.section	.rodata,"a",@progbits
	.p2align	6, 0x0
	.amdhsa_kernel _ZN7rocprim17ROCPRIM_400000_NS6detail17trampoline_kernelINS0_14default_configENS1_20scan_config_selectorIxEEZZNS1_9scan_implILNS1_25lookback_scan_determinismE0ELb0ELb1ES3_N6thrust23THRUST_200600_302600_NS6detail15normal_iteratorINS9_10device_ptrIxEEEESE_xNS9_10multipliesIxEExEEDaPvRmT3_T4_T5_mT6_P12ihipStream_tbENKUlT_T0_E_clISt17integral_constantIbLb1EESU_EEDaSP_SQ_EUlSP_E0_NS1_11comp_targetILNS1_3genE4ELNS1_11target_archE910ELNS1_3gpuE8ELNS1_3repE0EEENS1_30default_config_static_selectorELNS0_4arch9wavefront6targetE1EEEvT1_
		.amdhsa_group_segment_fixed_size 7168
		.amdhsa_private_segment_fixed_size 0
		.amdhsa_kernarg_size 40
		.amdhsa_user_sgpr_count 6
		.amdhsa_user_sgpr_private_segment_buffer 1
		.amdhsa_user_sgpr_dispatch_ptr 0
		.amdhsa_user_sgpr_queue_ptr 0
		.amdhsa_user_sgpr_kernarg_segment_ptr 1
		.amdhsa_user_sgpr_dispatch_id 0
		.amdhsa_user_sgpr_flat_scratch_init 0
		.amdhsa_user_sgpr_kernarg_preload_length 0
		.amdhsa_user_sgpr_kernarg_preload_offset 0
		.amdhsa_user_sgpr_private_segment_size 0
		.amdhsa_uses_dynamic_stack 0
		.amdhsa_system_sgpr_private_segment_wavefront_offset 0
		.amdhsa_system_sgpr_workgroup_id_x 1
		.amdhsa_system_sgpr_workgroup_id_y 0
		.amdhsa_system_sgpr_workgroup_id_z 0
		.amdhsa_system_sgpr_workgroup_info 0
		.amdhsa_system_vgpr_workitem_id 0
		.amdhsa_next_free_vgpr 36
		.amdhsa_next_free_sgpr 22
		.amdhsa_accum_offset 36
		.amdhsa_reserve_vcc 1
		.amdhsa_reserve_flat_scratch 0
		.amdhsa_float_round_mode_32 0
		.amdhsa_float_round_mode_16_64 0
		.amdhsa_float_denorm_mode_32 3
		.amdhsa_float_denorm_mode_16_64 3
		.amdhsa_dx10_clamp 1
		.amdhsa_ieee_mode 1
		.amdhsa_fp16_overflow 0
		.amdhsa_tg_split 0
		.amdhsa_exception_fp_ieee_invalid_op 0
		.amdhsa_exception_fp_denorm_src 0
		.amdhsa_exception_fp_ieee_div_zero 0
		.amdhsa_exception_fp_ieee_overflow 0
		.amdhsa_exception_fp_ieee_underflow 0
		.amdhsa_exception_fp_ieee_inexact 0
		.amdhsa_exception_int_div_zero 0
	.end_amdhsa_kernel
	.section	.text._ZN7rocprim17ROCPRIM_400000_NS6detail17trampoline_kernelINS0_14default_configENS1_20scan_config_selectorIxEEZZNS1_9scan_implILNS1_25lookback_scan_determinismE0ELb0ELb1ES3_N6thrust23THRUST_200600_302600_NS6detail15normal_iteratorINS9_10device_ptrIxEEEESE_xNS9_10multipliesIxEExEEDaPvRmT3_T4_T5_mT6_P12ihipStream_tbENKUlT_T0_E_clISt17integral_constantIbLb1EESU_EEDaSP_SQ_EUlSP_E0_NS1_11comp_targetILNS1_3genE4ELNS1_11target_archE910ELNS1_3gpuE8ELNS1_3repE0EEENS1_30default_config_static_selectorELNS0_4arch9wavefront6targetE1EEEvT1_,"axG",@progbits,_ZN7rocprim17ROCPRIM_400000_NS6detail17trampoline_kernelINS0_14default_configENS1_20scan_config_selectorIxEEZZNS1_9scan_implILNS1_25lookback_scan_determinismE0ELb0ELb1ES3_N6thrust23THRUST_200600_302600_NS6detail15normal_iteratorINS9_10device_ptrIxEEEESE_xNS9_10multipliesIxEExEEDaPvRmT3_T4_T5_mT6_P12ihipStream_tbENKUlT_T0_E_clISt17integral_constantIbLb1EESU_EEDaSP_SQ_EUlSP_E0_NS1_11comp_targetILNS1_3genE4ELNS1_11target_archE910ELNS1_3gpuE8ELNS1_3repE0EEENS1_30default_config_static_selectorELNS0_4arch9wavefront6targetE1EEEvT1_,comdat
.Lfunc_end299:
	.size	_ZN7rocprim17ROCPRIM_400000_NS6detail17trampoline_kernelINS0_14default_configENS1_20scan_config_selectorIxEEZZNS1_9scan_implILNS1_25lookback_scan_determinismE0ELb0ELb1ES3_N6thrust23THRUST_200600_302600_NS6detail15normal_iteratorINS9_10device_ptrIxEEEESE_xNS9_10multipliesIxEExEEDaPvRmT3_T4_T5_mT6_P12ihipStream_tbENKUlT_T0_E_clISt17integral_constantIbLb1EESU_EEDaSP_SQ_EUlSP_E0_NS1_11comp_targetILNS1_3genE4ELNS1_11target_archE910ELNS1_3gpuE8ELNS1_3repE0EEENS1_30default_config_static_selectorELNS0_4arch9wavefront6targetE1EEEvT1_, .Lfunc_end299-_ZN7rocprim17ROCPRIM_400000_NS6detail17trampoline_kernelINS0_14default_configENS1_20scan_config_selectorIxEEZZNS1_9scan_implILNS1_25lookback_scan_determinismE0ELb0ELb1ES3_N6thrust23THRUST_200600_302600_NS6detail15normal_iteratorINS9_10device_ptrIxEEEESE_xNS9_10multipliesIxEExEEDaPvRmT3_T4_T5_mT6_P12ihipStream_tbENKUlT_T0_E_clISt17integral_constantIbLb1EESU_EEDaSP_SQ_EUlSP_E0_NS1_11comp_targetILNS1_3genE4ELNS1_11target_archE910ELNS1_3gpuE8ELNS1_3repE0EEENS1_30default_config_static_selectorELNS0_4arch9wavefront6targetE1EEEvT1_
                                        ; -- End function
	.section	.AMDGPU.csdata,"",@progbits
; Kernel info:
; codeLenInByte = 2164
; NumSgprs: 26
; NumVgprs: 36
; NumAgprs: 0
; TotalNumVgprs: 36
; ScratchSize: 0
; MemoryBound: 0
; FloatMode: 240
; IeeeMode: 1
; LDSByteSize: 7168 bytes/workgroup (compile time only)
; SGPRBlocks: 3
; VGPRBlocks: 4
; NumSGPRsForWavesPerEU: 26
; NumVGPRsForWavesPerEU: 36
; AccumOffset: 36
; Occupancy: 5
; WaveLimiterHint : 0
; COMPUTE_PGM_RSRC2:SCRATCH_EN: 0
; COMPUTE_PGM_RSRC2:USER_SGPR: 6
; COMPUTE_PGM_RSRC2:TRAP_HANDLER: 0
; COMPUTE_PGM_RSRC2:TGID_X_EN: 1
; COMPUTE_PGM_RSRC2:TGID_Y_EN: 0
; COMPUTE_PGM_RSRC2:TGID_Z_EN: 0
; COMPUTE_PGM_RSRC2:TIDIG_COMP_CNT: 0
; COMPUTE_PGM_RSRC3_GFX90A:ACCUM_OFFSET: 8
; COMPUTE_PGM_RSRC3_GFX90A:TG_SPLIT: 0
	.section	.text._ZN7rocprim17ROCPRIM_400000_NS6detail17trampoline_kernelINS0_14default_configENS1_20scan_config_selectorIxEEZZNS1_9scan_implILNS1_25lookback_scan_determinismE0ELb0ELb1ES3_N6thrust23THRUST_200600_302600_NS6detail15normal_iteratorINS9_10device_ptrIxEEEESE_xNS9_10multipliesIxEExEEDaPvRmT3_T4_T5_mT6_P12ihipStream_tbENKUlT_T0_E_clISt17integral_constantIbLb1EESU_EEDaSP_SQ_EUlSP_E0_NS1_11comp_targetILNS1_3genE3ELNS1_11target_archE908ELNS1_3gpuE7ELNS1_3repE0EEENS1_30default_config_static_selectorELNS0_4arch9wavefront6targetE1EEEvT1_,"axG",@progbits,_ZN7rocprim17ROCPRIM_400000_NS6detail17trampoline_kernelINS0_14default_configENS1_20scan_config_selectorIxEEZZNS1_9scan_implILNS1_25lookback_scan_determinismE0ELb0ELb1ES3_N6thrust23THRUST_200600_302600_NS6detail15normal_iteratorINS9_10device_ptrIxEEEESE_xNS9_10multipliesIxEExEEDaPvRmT3_T4_T5_mT6_P12ihipStream_tbENKUlT_T0_E_clISt17integral_constantIbLb1EESU_EEDaSP_SQ_EUlSP_E0_NS1_11comp_targetILNS1_3genE3ELNS1_11target_archE908ELNS1_3gpuE7ELNS1_3repE0EEENS1_30default_config_static_selectorELNS0_4arch9wavefront6targetE1EEEvT1_,comdat
	.protected	_ZN7rocprim17ROCPRIM_400000_NS6detail17trampoline_kernelINS0_14default_configENS1_20scan_config_selectorIxEEZZNS1_9scan_implILNS1_25lookback_scan_determinismE0ELb0ELb1ES3_N6thrust23THRUST_200600_302600_NS6detail15normal_iteratorINS9_10device_ptrIxEEEESE_xNS9_10multipliesIxEExEEDaPvRmT3_T4_T5_mT6_P12ihipStream_tbENKUlT_T0_E_clISt17integral_constantIbLb1EESU_EEDaSP_SQ_EUlSP_E0_NS1_11comp_targetILNS1_3genE3ELNS1_11target_archE908ELNS1_3gpuE7ELNS1_3repE0EEENS1_30default_config_static_selectorELNS0_4arch9wavefront6targetE1EEEvT1_ ; -- Begin function _ZN7rocprim17ROCPRIM_400000_NS6detail17trampoline_kernelINS0_14default_configENS1_20scan_config_selectorIxEEZZNS1_9scan_implILNS1_25lookback_scan_determinismE0ELb0ELb1ES3_N6thrust23THRUST_200600_302600_NS6detail15normal_iteratorINS9_10device_ptrIxEEEESE_xNS9_10multipliesIxEExEEDaPvRmT3_T4_T5_mT6_P12ihipStream_tbENKUlT_T0_E_clISt17integral_constantIbLb1EESU_EEDaSP_SQ_EUlSP_E0_NS1_11comp_targetILNS1_3genE3ELNS1_11target_archE908ELNS1_3gpuE7ELNS1_3repE0EEENS1_30default_config_static_selectorELNS0_4arch9wavefront6targetE1EEEvT1_
	.globl	_ZN7rocprim17ROCPRIM_400000_NS6detail17trampoline_kernelINS0_14default_configENS1_20scan_config_selectorIxEEZZNS1_9scan_implILNS1_25lookback_scan_determinismE0ELb0ELb1ES3_N6thrust23THRUST_200600_302600_NS6detail15normal_iteratorINS9_10device_ptrIxEEEESE_xNS9_10multipliesIxEExEEDaPvRmT3_T4_T5_mT6_P12ihipStream_tbENKUlT_T0_E_clISt17integral_constantIbLb1EESU_EEDaSP_SQ_EUlSP_E0_NS1_11comp_targetILNS1_3genE3ELNS1_11target_archE908ELNS1_3gpuE7ELNS1_3repE0EEENS1_30default_config_static_selectorELNS0_4arch9wavefront6targetE1EEEvT1_
	.p2align	8
	.type	_ZN7rocprim17ROCPRIM_400000_NS6detail17trampoline_kernelINS0_14default_configENS1_20scan_config_selectorIxEEZZNS1_9scan_implILNS1_25lookback_scan_determinismE0ELb0ELb1ES3_N6thrust23THRUST_200600_302600_NS6detail15normal_iteratorINS9_10device_ptrIxEEEESE_xNS9_10multipliesIxEExEEDaPvRmT3_T4_T5_mT6_P12ihipStream_tbENKUlT_T0_E_clISt17integral_constantIbLb1EESU_EEDaSP_SQ_EUlSP_E0_NS1_11comp_targetILNS1_3genE3ELNS1_11target_archE908ELNS1_3gpuE7ELNS1_3repE0EEENS1_30default_config_static_selectorELNS0_4arch9wavefront6targetE1EEEvT1_,@function
_ZN7rocprim17ROCPRIM_400000_NS6detail17trampoline_kernelINS0_14default_configENS1_20scan_config_selectorIxEEZZNS1_9scan_implILNS1_25lookback_scan_determinismE0ELb0ELb1ES3_N6thrust23THRUST_200600_302600_NS6detail15normal_iteratorINS9_10device_ptrIxEEEESE_xNS9_10multipliesIxEExEEDaPvRmT3_T4_T5_mT6_P12ihipStream_tbENKUlT_T0_E_clISt17integral_constantIbLb1EESU_EEDaSP_SQ_EUlSP_E0_NS1_11comp_targetILNS1_3genE3ELNS1_11target_archE908ELNS1_3gpuE7ELNS1_3repE0EEENS1_30default_config_static_selectorELNS0_4arch9wavefront6targetE1EEEvT1_: ; @_ZN7rocprim17ROCPRIM_400000_NS6detail17trampoline_kernelINS0_14default_configENS1_20scan_config_selectorIxEEZZNS1_9scan_implILNS1_25lookback_scan_determinismE0ELb0ELb1ES3_N6thrust23THRUST_200600_302600_NS6detail15normal_iteratorINS9_10device_ptrIxEEEESE_xNS9_10multipliesIxEExEEDaPvRmT3_T4_T5_mT6_P12ihipStream_tbENKUlT_T0_E_clISt17integral_constantIbLb1EESU_EEDaSP_SQ_EUlSP_E0_NS1_11comp_targetILNS1_3genE3ELNS1_11target_archE908ELNS1_3gpuE7ELNS1_3repE0EEENS1_30default_config_static_selectorELNS0_4arch9wavefront6targetE1EEEvT1_
; %bb.0:
	.section	.rodata,"a",@progbits
	.p2align	6, 0x0
	.amdhsa_kernel _ZN7rocprim17ROCPRIM_400000_NS6detail17trampoline_kernelINS0_14default_configENS1_20scan_config_selectorIxEEZZNS1_9scan_implILNS1_25lookback_scan_determinismE0ELb0ELb1ES3_N6thrust23THRUST_200600_302600_NS6detail15normal_iteratorINS9_10device_ptrIxEEEESE_xNS9_10multipliesIxEExEEDaPvRmT3_T4_T5_mT6_P12ihipStream_tbENKUlT_T0_E_clISt17integral_constantIbLb1EESU_EEDaSP_SQ_EUlSP_E0_NS1_11comp_targetILNS1_3genE3ELNS1_11target_archE908ELNS1_3gpuE7ELNS1_3repE0EEENS1_30default_config_static_selectorELNS0_4arch9wavefront6targetE1EEEvT1_
		.amdhsa_group_segment_fixed_size 0
		.amdhsa_private_segment_fixed_size 0
		.amdhsa_kernarg_size 40
		.amdhsa_user_sgpr_count 6
		.amdhsa_user_sgpr_private_segment_buffer 1
		.amdhsa_user_sgpr_dispatch_ptr 0
		.amdhsa_user_sgpr_queue_ptr 0
		.amdhsa_user_sgpr_kernarg_segment_ptr 1
		.amdhsa_user_sgpr_dispatch_id 0
		.amdhsa_user_sgpr_flat_scratch_init 0
		.amdhsa_user_sgpr_kernarg_preload_length 0
		.amdhsa_user_sgpr_kernarg_preload_offset 0
		.amdhsa_user_sgpr_private_segment_size 0
		.amdhsa_uses_dynamic_stack 0
		.amdhsa_system_sgpr_private_segment_wavefront_offset 0
		.amdhsa_system_sgpr_workgroup_id_x 1
		.amdhsa_system_sgpr_workgroup_id_y 0
		.amdhsa_system_sgpr_workgroup_id_z 0
		.amdhsa_system_sgpr_workgroup_info 0
		.amdhsa_system_vgpr_workitem_id 0
		.amdhsa_next_free_vgpr 1
		.amdhsa_next_free_sgpr 0
		.amdhsa_accum_offset 4
		.amdhsa_reserve_vcc 0
		.amdhsa_reserve_flat_scratch 0
		.amdhsa_float_round_mode_32 0
		.amdhsa_float_round_mode_16_64 0
		.amdhsa_float_denorm_mode_32 3
		.amdhsa_float_denorm_mode_16_64 3
		.amdhsa_dx10_clamp 1
		.amdhsa_ieee_mode 1
		.amdhsa_fp16_overflow 0
		.amdhsa_tg_split 0
		.amdhsa_exception_fp_ieee_invalid_op 0
		.amdhsa_exception_fp_denorm_src 0
		.amdhsa_exception_fp_ieee_div_zero 0
		.amdhsa_exception_fp_ieee_overflow 0
		.amdhsa_exception_fp_ieee_underflow 0
		.amdhsa_exception_fp_ieee_inexact 0
		.amdhsa_exception_int_div_zero 0
	.end_amdhsa_kernel
	.section	.text._ZN7rocprim17ROCPRIM_400000_NS6detail17trampoline_kernelINS0_14default_configENS1_20scan_config_selectorIxEEZZNS1_9scan_implILNS1_25lookback_scan_determinismE0ELb0ELb1ES3_N6thrust23THRUST_200600_302600_NS6detail15normal_iteratorINS9_10device_ptrIxEEEESE_xNS9_10multipliesIxEExEEDaPvRmT3_T4_T5_mT6_P12ihipStream_tbENKUlT_T0_E_clISt17integral_constantIbLb1EESU_EEDaSP_SQ_EUlSP_E0_NS1_11comp_targetILNS1_3genE3ELNS1_11target_archE908ELNS1_3gpuE7ELNS1_3repE0EEENS1_30default_config_static_selectorELNS0_4arch9wavefront6targetE1EEEvT1_,"axG",@progbits,_ZN7rocprim17ROCPRIM_400000_NS6detail17trampoline_kernelINS0_14default_configENS1_20scan_config_selectorIxEEZZNS1_9scan_implILNS1_25lookback_scan_determinismE0ELb0ELb1ES3_N6thrust23THRUST_200600_302600_NS6detail15normal_iteratorINS9_10device_ptrIxEEEESE_xNS9_10multipliesIxEExEEDaPvRmT3_T4_T5_mT6_P12ihipStream_tbENKUlT_T0_E_clISt17integral_constantIbLb1EESU_EEDaSP_SQ_EUlSP_E0_NS1_11comp_targetILNS1_3genE3ELNS1_11target_archE908ELNS1_3gpuE7ELNS1_3repE0EEENS1_30default_config_static_selectorELNS0_4arch9wavefront6targetE1EEEvT1_,comdat
.Lfunc_end300:
	.size	_ZN7rocprim17ROCPRIM_400000_NS6detail17trampoline_kernelINS0_14default_configENS1_20scan_config_selectorIxEEZZNS1_9scan_implILNS1_25lookback_scan_determinismE0ELb0ELb1ES3_N6thrust23THRUST_200600_302600_NS6detail15normal_iteratorINS9_10device_ptrIxEEEESE_xNS9_10multipliesIxEExEEDaPvRmT3_T4_T5_mT6_P12ihipStream_tbENKUlT_T0_E_clISt17integral_constantIbLb1EESU_EEDaSP_SQ_EUlSP_E0_NS1_11comp_targetILNS1_3genE3ELNS1_11target_archE908ELNS1_3gpuE7ELNS1_3repE0EEENS1_30default_config_static_selectorELNS0_4arch9wavefront6targetE1EEEvT1_, .Lfunc_end300-_ZN7rocprim17ROCPRIM_400000_NS6detail17trampoline_kernelINS0_14default_configENS1_20scan_config_selectorIxEEZZNS1_9scan_implILNS1_25lookback_scan_determinismE0ELb0ELb1ES3_N6thrust23THRUST_200600_302600_NS6detail15normal_iteratorINS9_10device_ptrIxEEEESE_xNS9_10multipliesIxEExEEDaPvRmT3_T4_T5_mT6_P12ihipStream_tbENKUlT_T0_E_clISt17integral_constantIbLb1EESU_EEDaSP_SQ_EUlSP_E0_NS1_11comp_targetILNS1_3genE3ELNS1_11target_archE908ELNS1_3gpuE7ELNS1_3repE0EEENS1_30default_config_static_selectorELNS0_4arch9wavefront6targetE1EEEvT1_
                                        ; -- End function
	.section	.AMDGPU.csdata,"",@progbits
; Kernel info:
; codeLenInByte = 0
; NumSgprs: 4
; NumVgprs: 0
; NumAgprs: 0
; TotalNumVgprs: 0
; ScratchSize: 0
; MemoryBound: 0
; FloatMode: 240
; IeeeMode: 1
; LDSByteSize: 0 bytes/workgroup (compile time only)
; SGPRBlocks: 0
; VGPRBlocks: 0
; NumSGPRsForWavesPerEU: 4
; NumVGPRsForWavesPerEU: 1
; AccumOffset: 4
; Occupancy: 8
; WaveLimiterHint : 0
; COMPUTE_PGM_RSRC2:SCRATCH_EN: 0
; COMPUTE_PGM_RSRC2:USER_SGPR: 6
; COMPUTE_PGM_RSRC2:TRAP_HANDLER: 0
; COMPUTE_PGM_RSRC2:TGID_X_EN: 1
; COMPUTE_PGM_RSRC2:TGID_Y_EN: 0
; COMPUTE_PGM_RSRC2:TGID_Z_EN: 0
; COMPUTE_PGM_RSRC2:TIDIG_COMP_CNT: 0
; COMPUTE_PGM_RSRC3_GFX90A:ACCUM_OFFSET: 0
; COMPUTE_PGM_RSRC3_GFX90A:TG_SPLIT: 0
	.section	.text._ZN7rocprim17ROCPRIM_400000_NS6detail17trampoline_kernelINS0_14default_configENS1_20scan_config_selectorIxEEZZNS1_9scan_implILNS1_25lookback_scan_determinismE0ELb0ELb1ES3_N6thrust23THRUST_200600_302600_NS6detail15normal_iteratorINS9_10device_ptrIxEEEESE_xNS9_10multipliesIxEExEEDaPvRmT3_T4_T5_mT6_P12ihipStream_tbENKUlT_T0_E_clISt17integral_constantIbLb1EESU_EEDaSP_SQ_EUlSP_E0_NS1_11comp_targetILNS1_3genE2ELNS1_11target_archE906ELNS1_3gpuE6ELNS1_3repE0EEENS1_30default_config_static_selectorELNS0_4arch9wavefront6targetE1EEEvT1_,"axG",@progbits,_ZN7rocprim17ROCPRIM_400000_NS6detail17trampoline_kernelINS0_14default_configENS1_20scan_config_selectorIxEEZZNS1_9scan_implILNS1_25lookback_scan_determinismE0ELb0ELb1ES3_N6thrust23THRUST_200600_302600_NS6detail15normal_iteratorINS9_10device_ptrIxEEEESE_xNS9_10multipliesIxEExEEDaPvRmT3_T4_T5_mT6_P12ihipStream_tbENKUlT_T0_E_clISt17integral_constantIbLb1EESU_EEDaSP_SQ_EUlSP_E0_NS1_11comp_targetILNS1_3genE2ELNS1_11target_archE906ELNS1_3gpuE6ELNS1_3repE0EEENS1_30default_config_static_selectorELNS0_4arch9wavefront6targetE1EEEvT1_,comdat
	.protected	_ZN7rocprim17ROCPRIM_400000_NS6detail17trampoline_kernelINS0_14default_configENS1_20scan_config_selectorIxEEZZNS1_9scan_implILNS1_25lookback_scan_determinismE0ELb0ELb1ES3_N6thrust23THRUST_200600_302600_NS6detail15normal_iteratorINS9_10device_ptrIxEEEESE_xNS9_10multipliesIxEExEEDaPvRmT3_T4_T5_mT6_P12ihipStream_tbENKUlT_T0_E_clISt17integral_constantIbLb1EESU_EEDaSP_SQ_EUlSP_E0_NS1_11comp_targetILNS1_3genE2ELNS1_11target_archE906ELNS1_3gpuE6ELNS1_3repE0EEENS1_30default_config_static_selectorELNS0_4arch9wavefront6targetE1EEEvT1_ ; -- Begin function _ZN7rocprim17ROCPRIM_400000_NS6detail17trampoline_kernelINS0_14default_configENS1_20scan_config_selectorIxEEZZNS1_9scan_implILNS1_25lookback_scan_determinismE0ELb0ELb1ES3_N6thrust23THRUST_200600_302600_NS6detail15normal_iteratorINS9_10device_ptrIxEEEESE_xNS9_10multipliesIxEExEEDaPvRmT3_T4_T5_mT6_P12ihipStream_tbENKUlT_T0_E_clISt17integral_constantIbLb1EESU_EEDaSP_SQ_EUlSP_E0_NS1_11comp_targetILNS1_3genE2ELNS1_11target_archE906ELNS1_3gpuE6ELNS1_3repE0EEENS1_30default_config_static_selectorELNS0_4arch9wavefront6targetE1EEEvT1_
	.globl	_ZN7rocprim17ROCPRIM_400000_NS6detail17trampoline_kernelINS0_14default_configENS1_20scan_config_selectorIxEEZZNS1_9scan_implILNS1_25lookback_scan_determinismE0ELb0ELb1ES3_N6thrust23THRUST_200600_302600_NS6detail15normal_iteratorINS9_10device_ptrIxEEEESE_xNS9_10multipliesIxEExEEDaPvRmT3_T4_T5_mT6_P12ihipStream_tbENKUlT_T0_E_clISt17integral_constantIbLb1EESU_EEDaSP_SQ_EUlSP_E0_NS1_11comp_targetILNS1_3genE2ELNS1_11target_archE906ELNS1_3gpuE6ELNS1_3repE0EEENS1_30default_config_static_selectorELNS0_4arch9wavefront6targetE1EEEvT1_
	.p2align	8
	.type	_ZN7rocprim17ROCPRIM_400000_NS6detail17trampoline_kernelINS0_14default_configENS1_20scan_config_selectorIxEEZZNS1_9scan_implILNS1_25lookback_scan_determinismE0ELb0ELb1ES3_N6thrust23THRUST_200600_302600_NS6detail15normal_iteratorINS9_10device_ptrIxEEEESE_xNS9_10multipliesIxEExEEDaPvRmT3_T4_T5_mT6_P12ihipStream_tbENKUlT_T0_E_clISt17integral_constantIbLb1EESU_EEDaSP_SQ_EUlSP_E0_NS1_11comp_targetILNS1_3genE2ELNS1_11target_archE906ELNS1_3gpuE6ELNS1_3repE0EEENS1_30default_config_static_selectorELNS0_4arch9wavefront6targetE1EEEvT1_,@function
_ZN7rocprim17ROCPRIM_400000_NS6detail17trampoline_kernelINS0_14default_configENS1_20scan_config_selectorIxEEZZNS1_9scan_implILNS1_25lookback_scan_determinismE0ELb0ELb1ES3_N6thrust23THRUST_200600_302600_NS6detail15normal_iteratorINS9_10device_ptrIxEEEESE_xNS9_10multipliesIxEExEEDaPvRmT3_T4_T5_mT6_P12ihipStream_tbENKUlT_T0_E_clISt17integral_constantIbLb1EESU_EEDaSP_SQ_EUlSP_E0_NS1_11comp_targetILNS1_3genE2ELNS1_11target_archE906ELNS1_3gpuE6ELNS1_3repE0EEENS1_30default_config_static_selectorELNS0_4arch9wavefront6targetE1EEEvT1_: ; @_ZN7rocprim17ROCPRIM_400000_NS6detail17trampoline_kernelINS0_14default_configENS1_20scan_config_selectorIxEEZZNS1_9scan_implILNS1_25lookback_scan_determinismE0ELb0ELb1ES3_N6thrust23THRUST_200600_302600_NS6detail15normal_iteratorINS9_10device_ptrIxEEEESE_xNS9_10multipliesIxEExEEDaPvRmT3_T4_T5_mT6_P12ihipStream_tbENKUlT_T0_E_clISt17integral_constantIbLb1EESU_EEDaSP_SQ_EUlSP_E0_NS1_11comp_targetILNS1_3genE2ELNS1_11target_archE906ELNS1_3gpuE6ELNS1_3repE0EEENS1_30default_config_static_selectorELNS0_4arch9wavefront6targetE1EEEvT1_
; %bb.0:
	.section	.rodata,"a",@progbits
	.p2align	6, 0x0
	.amdhsa_kernel _ZN7rocprim17ROCPRIM_400000_NS6detail17trampoline_kernelINS0_14default_configENS1_20scan_config_selectorIxEEZZNS1_9scan_implILNS1_25lookback_scan_determinismE0ELb0ELb1ES3_N6thrust23THRUST_200600_302600_NS6detail15normal_iteratorINS9_10device_ptrIxEEEESE_xNS9_10multipliesIxEExEEDaPvRmT3_T4_T5_mT6_P12ihipStream_tbENKUlT_T0_E_clISt17integral_constantIbLb1EESU_EEDaSP_SQ_EUlSP_E0_NS1_11comp_targetILNS1_3genE2ELNS1_11target_archE906ELNS1_3gpuE6ELNS1_3repE0EEENS1_30default_config_static_selectorELNS0_4arch9wavefront6targetE1EEEvT1_
		.amdhsa_group_segment_fixed_size 0
		.amdhsa_private_segment_fixed_size 0
		.amdhsa_kernarg_size 40
		.amdhsa_user_sgpr_count 6
		.amdhsa_user_sgpr_private_segment_buffer 1
		.amdhsa_user_sgpr_dispatch_ptr 0
		.amdhsa_user_sgpr_queue_ptr 0
		.amdhsa_user_sgpr_kernarg_segment_ptr 1
		.amdhsa_user_sgpr_dispatch_id 0
		.amdhsa_user_sgpr_flat_scratch_init 0
		.amdhsa_user_sgpr_kernarg_preload_length 0
		.amdhsa_user_sgpr_kernarg_preload_offset 0
		.amdhsa_user_sgpr_private_segment_size 0
		.amdhsa_uses_dynamic_stack 0
		.amdhsa_system_sgpr_private_segment_wavefront_offset 0
		.amdhsa_system_sgpr_workgroup_id_x 1
		.amdhsa_system_sgpr_workgroup_id_y 0
		.amdhsa_system_sgpr_workgroup_id_z 0
		.amdhsa_system_sgpr_workgroup_info 0
		.amdhsa_system_vgpr_workitem_id 0
		.amdhsa_next_free_vgpr 1
		.amdhsa_next_free_sgpr 0
		.amdhsa_accum_offset 4
		.amdhsa_reserve_vcc 0
		.amdhsa_reserve_flat_scratch 0
		.amdhsa_float_round_mode_32 0
		.amdhsa_float_round_mode_16_64 0
		.amdhsa_float_denorm_mode_32 3
		.amdhsa_float_denorm_mode_16_64 3
		.amdhsa_dx10_clamp 1
		.amdhsa_ieee_mode 1
		.amdhsa_fp16_overflow 0
		.amdhsa_tg_split 0
		.amdhsa_exception_fp_ieee_invalid_op 0
		.amdhsa_exception_fp_denorm_src 0
		.amdhsa_exception_fp_ieee_div_zero 0
		.amdhsa_exception_fp_ieee_overflow 0
		.amdhsa_exception_fp_ieee_underflow 0
		.amdhsa_exception_fp_ieee_inexact 0
		.amdhsa_exception_int_div_zero 0
	.end_amdhsa_kernel
	.section	.text._ZN7rocprim17ROCPRIM_400000_NS6detail17trampoline_kernelINS0_14default_configENS1_20scan_config_selectorIxEEZZNS1_9scan_implILNS1_25lookback_scan_determinismE0ELb0ELb1ES3_N6thrust23THRUST_200600_302600_NS6detail15normal_iteratorINS9_10device_ptrIxEEEESE_xNS9_10multipliesIxEExEEDaPvRmT3_T4_T5_mT6_P12ihipStream_tbENKUlT_T0_E_clISt17integral_constantIbLb1EESU_EEDaSP_SQ_EUlSP_E0_NS1_11comp_targetILNS1_3genE2ELNS1_11target_archE906ELNS1_3gpuE6ELNS1_3repE0EEENS1_30default_config_static_selectorELNS0_4arch9wavefront6targetE1EEEvT1_,"axG",@progbits,_ZN7rocprim17ROCPRIM_400000_NS6detail17trampoline_kernelINS0_14default_configENS1_20scan_config_selectorIxEEZZNS1_9scan_implILNS1_25lookback_scan_determinismE0ELb0ELb1ES3_N6thrust23THRUST_200600_302600_NS6detail15normal_iteratorINS9_10device_ptrIxEEEESE_xNS9_10multipliesIxEExEEDaPvRmT3_T4_T5_mT6_P12ihipStream_tbENKUlT_T0_E_clISt17integral_constantIbLb1EESU_EEDaSP_SQ_EUlSP_E0_NS1_11comp_targetILNS1_3genE2ELNS1_11target_archE906ELNS1_3gpuE6ELNS1_3repE0EEENS1_30default_config_static_selectorELNS0_4arch9wavefront6targetE1EEEvT1_,comdat
.Lfunc_end301:
	.size	_ZN7rocprim17ROCPRIM_400000_NS6detail17trampoline_kernelINS0_14default_configENS1_20scan_config_selectorIxEEZZNS1_9scan_implILNS1_25lookback_scan_determinismE0ELb0ELb1ES3_N6thrust23THRUST_200600_302600_NS6detail15normal_iteratorINS9_10device_ptrIxEEEESE_xNS9_10multipliesIxEExEEDaPvRmT3_T4_T5_mT6_P12ihipStream_tbENKUlT_T0_E_clISt17integral_constantIbLb1EESU_EEDaSP_SQ_EUlSP_E0_NS1_11comp_targetILNS1_3genE2ELNS1_11target_archE906ELNS1_3gpuE6ELNS1_3repE0EEENS1_30default_config_static_selectorELNS0_4arch9wavefront6targetE1EEEvT1_, .Lfunc_end301-_ZN7rocprim17ROCPRIM_400000_NS6detail17trampoline_kernelINS0_14default_configENS1_20scan_config_selectorIxEEZZNS1_9scan_implILNS1_25lookback_scan_determinismE0ELb0ELb1ES3_N6thrust23THRUST_200600_302600_NS6detail15normal_iteratorINS9_10device_ptrIxEEEESE_xNS9_10multipliesIxEExEEDaPvRmT3_T4_T5_mT6_P12ihipStream_tbENKUlT_T0_E_clISt17integral_constantIbLb1EESU_EEDaSP_SQ_EUlSP_E0_NS1_11comp_targetILNS1_3genE2ELNS1_11target_archE906ELNS1_3gpuE6ELNS1_3repE0EEENS1_30default_config_static_selectorELNS0_4arch9wavefront6targetE1EEEvT1_
                                        ; -- End function
	.section	.AMDGPU.csdata,"",@progbits
; Kernel info:
; codeLenInByte = 0
; NumSgprs: 4
; NumVgprs: 0
; NumAgprs: 0
; TotalNumVgprs: 0
; ScratchSize: 0
; MemoryBound: 0
; FloatMode: 240
; IeeeMode: 1
; LDSByteSize: 0 bytes/workgroup (compile time only)
; SGPRBlocks: 0
; VGPRBlocks: 0
; NumSGPRsForWavesPerEU: 4
; NumVGPRsForWavesPerEU: 1
; AccumOffset: 4
; Occupancy: 8
; WaveLimiterHint : 0
; COMPUTE_PGM_RSRC2:SCRATCH_EN: 0
; COMPUTE_PGM_RSRC2:USER_SGPR: 6
; COMPUTE_PGM_RSRC2:TRAP_HANDLER: 0
; COMPUTE_PGM_RSRC2:TGID_X_EN: 1
; COMPUTE_PGM_RSRC2:TGID_Y_EN: 0
; COMPUTE_PGM_RSRC2:TGID_Z_EN: 0
; COMPUTE_PGM_RSRC2:TIDIG_COMP_CNT: 0
; COMPUTE_PGM_RSRC3_GFX90A:ACCUM_OFFSET: 0
; COMPUTE_PGM_RSRC3_GFX90A:TG_SPLIT: 0
	.section	.text._ZN7rocprim17ROCPRIM_400000_NS6detail17trampoline_kernelINS0_14default_configENS1_20scan_config_selectorIxEEZZNS1_9scan_implILNS1_25lookback_scan_determinismE0ELb0ELb1ES3_N6thrust23THRUST_200600_302600_NS6detail15normal_iteratorINS9_10device_ptrIxEEEESE_xNS9_10multipliesIxEExEEDaPvRmT3_T4_T5_mT6_P12ihipStream_tbENKUlT_T0_E_clISt17integral_constantIbLb1EESU_EEDaSP_SQ_EUlSP_E0_NS1_11comp_targetILNS1_3genE10ELNS1_11target_archE1201ELNS1_3gpuE5ELNS1_3repE0EEENS1_30default_config_static_selectorELNS0_4arch9wavefront6targetE1EEEvT1_,"axG",@progbits,_ZN7rocprim17ROCPRIM_400000_NS6detail17trampoline_kernelINS0_14default_configENS1_20scan_config_selectorIxEEZZNS1_9scan_implILNS1_25lookback_scan_determinismE0ELb0ELb1ES3_N6thrust23THRUST_200600_302600_NS6detail15normal_iteratorINS9_10device_ptrIxEEEESE_xNS9_10multipliesIxEExEEDaPvRmT3_T4_T5_mT6_P12ihipStream_tbENKUlT_T0_E_clISt17integral_constantIbLb1EESU_EEDaSP_SQ_EUlSP_E0_NS1_11comp_targetILNS1_3genE10ELNS1_11target_archE1201ELNS1_3gpuE5ELNS1_3repE0EEENS1_30default_config_static_selectorELNS0_4arch9wavefront6targetE1EEEvT1_,comdat
	.protected	_ZN7rocprim17ROCPRIM_400000_NS6detail17trampoline_kernelINS0_14default_configENS1_20scan_config_selectorIxEEZZNS1_9scan_implILNS1_25lookback_scan_determinismE0ELb0ELb1ES3_N6thrust23THRUST_200600_302600_NS6detail15normal_iteratorINS9_10device_ptrIxEEEESE_xNS9_10multipliesIxEExEEDaPvRmT3_T4_T5_mT6_P12ihipStream_tbENKUlT_T0_E_clISt17integral_constantIbLb1EESU_EEDaSP_SQ_EUlSP_E0_NS1_11comp_targetILNS1_3genE10ELNS1_11target_archE1201ELNS1_3gpuE5ELNS1_3repE0EEENS1_30default_config_static_selectorELNS0_4arch9wavefront6targetE1EEEvT1_ ; -- Begin function _ZN7rocprim17ROCPRIM_400000_NS6detail17trampoline_kernelINS0_14default_configENS1_20scan_config_selectorIxEEZZNS1_9scan_implILNS1_25lookback_scan_determinismE0ELb0ELb1ES3_N6thrust23THRUST_200600_302600_NS6detail15normal_iteratorINS9_10device_ptrIxEEEESE_xNS9_10multipliesIxEExEEDaPvRmT3_T4_T5_mT6_P12ihipStream_tbENKUlT_T0_E_clISt17integral_constantIbLb1EESU_EEDaSP_SQ_EUlSP_E0_NS1_11comp_targetILNS1_3genE10ELNS1_11target_archE1201ELNS1_3gpuE5ELNS1_3repE0EEENS1_30default_config_static_selectorELNS0_4arch9wavefront6targetE1EEEvT1_
	.globl	_ZN7rocprim17ROCPRIM_400000_NS6detail17trampoline_kernelINS0_14default_configENS1_20scan_config_selectorIxEEZZNS1_9scan_implILNS1_25lookback_scan_determinismE0ELb0ELb1ES3_N6thrust23THRUST_200600_302600_NS6detail15normal_iteratorINS9_10device_ptrIxEEEESE_xNS9_10multipliesIxEExEEDaPvRmT3_T4_T5_mT6_P12ihipStream_tbENKUlT_T0_E_clISt17integral_constantIbLb1EESU_EEDaSP_SQ_EUlSP_E0_NS1_11comp_targetILNS1_3genE10ELNS1_11target_archE1201ELNS1_3gpuE5ELNS1_3repE0EEENS1_30default_config_static_selectorELNS0_4arch9wavefront6targetE1EEEvT1_
	.p2align	8
	.type	_ZN7rocprim17ROCPRIM_400000_NS6detail17trampoline_kernelINS0_14default_configENS1_20scan_config_selectorIxEEZZNS1_9scan_implILNS1_25lookback_scan_determinismE0ELb0ELb1ES3_N6thrust23THRUST_200600_302600_NS6detail15normal_iteratorINS9_10device_ptrIxEEEESE_xNS9_10multipliesIxEExEEDaPvRmT3_T4_T5_mT6_P12ihipStream_tbENKUlT_T0_E_clISt17integral_constantIbLb1EESU_EEDaSP_SQ_EUlSP_E0_NS1_11comp_targetILNS1_3genE10ELNS1_11target_archE1201ELNS1_3gpuE5ELNS1_3repE0EEENS1_30default_config_static_selectorELNS0_4arch9wavefront6targetE1EEEvT1_,@function
_ZN7rocprim17ROCPRIM_400000_NS6detail17trampoline_kernelINS0_14default_configENS1_20scan_config_selectorIxEEZZNS1_9scan_implILNS1_25lookback_scan_determinismE0ELb0ELb1ES3_N6thrust23THRUST_200600_302600_NS6detail15normal_iteratorINS9_10device_ptrIxEEEESE_xNS9_10multipliesIxEExEEDaPvRmT3_T4_T5_mT6_P12ihipStream_tbENKUlT_T0_E_clISt17integral_constantIbLb1EESU_EEDaSP_SQ_EUlSP_E0_NS1_11comp_targetILNS1_3genE10ELNS1_11target_archE1201ELNS1_3gpuE5ELNS1_3repE0EEENS1_30default_config_static_selectorELNS0_4arch9wavefront6targetE1EEEvT1_: ; @_ZN7rocprim17ROCPRIM_400000_NS6detail17trampoline_kernelINS0_14default_configENS1_20scan_config_selectorIxEEZZNS1_9scan_implILNS1_25lookback_scan_determinismE0ELb0ELb1ES3_N6thrust23THRUST_200600_302600_NS6detail15normal_iteratorINS9_10device_ptrIxEEEESE_xNS9_10multipliesIxEExEEDaPvRmT3_T4_T5_mT6_P12ihipStream_tbENKUlT_T0_E_clISt17integral_constantIbLb1EESU_EEDaSP_SQ_EUlSP_E0_NS1_11comp_targetILNS1_3genE10ELNS1_11target_archE1201ELNS1_3gpuE5ELNS1_3repE0EEENS1_30default_config_static_selectorELNS0_4arch9wavefront6targetE1EEEvT1_
; %bb.0:
	.section	.rodata,"a",@progbits
	.p2align	6, 0x0
	.amdhsa_kernel _ZN7rocprim17ROCPRIM_400000_NS6detail17trampoline_kernelINS0_14default_configENS1_20scan_config_selectorIxEEZZNS1_9scan_implILNS1_25lookback_scan_determinismE0ELb0ELb1ES3_N6thrust23THRUST_200600_302600_NS6detail15normal_iteratorINS9_10device_ptrIxEEEESE_xNS9_10multipliesIxEExEEDaPvRmT3_T4_T5_mT6_P12ihipStream_tbENKUlT_T0_E_clISt17integral_constantIbLb1EESU_EEDaSP_SQ_EUlSP_E0_NS1_11comp_targetILNS1_3genE10ELNS1_11target_archE1201ELNS1_3gpuE5ELNS1_3repE0EEENS1_30default_config_static_selectorELNS0_4arch9wavefront6targetE1EEEvT1_
		.amdhsa_group_segment_fixed_size 0
		.amdhsa_private_segment_fixed_size 0
		.amdhsa_kernarg_size 40
		.amdhsa_user_sgpr_count 6
		.amdhsa_user_sgpr_private_segment_buffer 1
		.amdhsa_user_sgpr_dispatch_ptr 0
		.amdhsa_user_sgpr_queue_ptr 0
		.amdhsa_user_sgpr_kernarg_segment_ptr 1
		.amdhsa_user_sgpr_dispatch_id 0
		.amdhsa_user_sgpr_flat_scratch_init 0
		.amdhsa_user_sgpr_kernarg_preload_length 0
		.amdhsa_user_sgpr_kernarg_preload_offset 0
		.amdhsa_user_sgpr_private_segment_size 0
		.amdhsa_uses_dynamic_stack 0
		.amdhsa_system_sgpr_private_segment_wavefront_offset 0
		.amdhsa_system_sgpr_workgroup_id_x 1
		.amdhsa_system_sgpr_workgroup_id_y 0
		.amdhsa_system_sgpr_workgroup_id_z 0
		.amdhsa_system_sgpr_workgroup_info 0
		.amdhsa_system_vgpr_workitem_id 0
		.amdhsa_next_free_vgpr 1
		.amdhsa_next_free_sgpr 0
		.amdhsa_accum_offset 4
		.amdhsa_reserve_vcc 0
		.amdhsa_reserve_flat_scratch 0
		.amdhsa_float_round_mode_32 0
		.amdhsa_float_round_mode_16_64 0
		.amdhsa_float_denorm_mode_32 3
		.amdhsa_float_denorm_mode_16_64 3
		.amdhsa_dx10_clamp 1
		.amdhsa_ieee_mode 1
		.amdhsa_fp16_overflow 0
		.amdhsa_tg_split 0
		.amdhsa_exception_fp_ieee_invalid_op 0
		.amdhsa_exception_fp_denorm_src 0
		.amdhsa_exception_fp_ieee_div_zero 0
		.amdhsa_exception_fp_ieee_overflow 0
		.amdhsa_exception_fp_ieee_underflow 0
		.amdhsa_exception_fp_ieee_inexact 0
		.amdhsa_exception_int_div_zero 0
	.end_amdhsa_kernel
	.section	.text._ZN7rocprim17ROCPRIM_400000_NS6detail17trampoline_kernelINS0_14default_configENS1_20scan_config_selectorIxEEZZNS1_9scan_implILNS1_25lookback_scan_determinismE0ELb0ELb1ES3_N6thrust23THRUST_200600_302600_NS6detail15normal_iteratorINS9_10device_ptrIxEEEESE_xNS9_10multipliesIxEExEEDaPvRmT3_T4_T5_mT6_P12ihipStream_tbENKUlT_T0_E_clISt17integral_constantIbLb1EESU_EEDaSP_SQ_EUlSP_E0_NS1_11comp_targetILNS1_3genE10ELNS1_11target_archE1201ELNS1_3gpuE5ELNS1_3repE0EEENS1_30default_config_static_selectorELNS0_4arch9wavefront6targetE1EEEvT1_,"axG",@progbits,_ZN7rocprim17ROCPRIM_400000_NS6detail17trampoline_kernelINS0_14default_configENS1_20scan_config_selectorIxEEZZNS1_9scan_implILNS1_25lookback_scan_determinismE0ELb0ELb1ES3_N6thrust23THRUST_200600_302600_NS6detail15normal_iteratorINS9_10device_ptrIxEEEESE_xNS9_10multipliesIxEExEEDaPvRmT3_T4_T5_mT6_P12ihipStream_tbENKUlT_T0_E_clISt17integral_constantIbLb1EESU_EEDaSP_SQ_EUlSP_E0_NS1_11comp_targetILNS1_3genE10ELNS1_11target_archE1201ELNS1_3gpuE5ELNS1_3repE0EEENS1_30default_config_static_selectorELNS0_4arch9wavefront6targetE1EEEvT1_,comdat
.Lfunc_end302:
	.size	_ZN7rocprim17ROCPRIM_400000_NS6detail17trampoline_kernelINS0_14default_configENS1_20scan_config_selectorIxEEZZNS1_9scan_implILNS1_25lookback_scan_determinismE0ELb0ELb1ES3_N6thrust23THRUST_200600_302600_NS6detail15normal_iteratorINS9_10device_ptrIxEEEESE_xNS9_10multipliesIxEExEEDaPvRmT3_T4_T5_mT6_P12ihipStream_tbENKUlT_T0_E_clISt17integral_constantIbLb1EESU_EEDaSP_SQ_EUlSP_E0_NS1_11comp_targetILNS1_3genE10ELNS1_11target_archE1201ELNS1_3gpuE5ELNS1_3repE0EEENS1_30default_config_static_selectorELNS0_4arch9wavefront6targetE1EEEvT1_, .Lfunc_end302-_ZN7rocprim17ROCPRIM_400000_NS6detail17trampoline_kernelINS0_14default_configENS1_20scan_config_selectorIxEEZZNS1_9scan_implILNS1_25lookback_scan_determinismE0ELb0ELb1ES3_N6thrust23THRUST_200600_302600_NS6detail15normal_iteratorINS9_10device_ptrIxEEEESE_xNS9_10multipliesIxEExEEDaPvRmT3_T4_T5_mT6_P12ihipStream_tbENKUlT_T0_E_clISt17integral_constantIbLb1EESU_EEDaSP_SQ_EUlSP_E0_NS1_11comp_targetILNS1_3genE10ELNS1_11target_archE1201ELNS1_3gpuE5ELNS1_3repE0EEENS1_30default_config_static_selectorELNS0_4arch9wavefront6targetE1EEEvT1_
                                        ; -- End function
	.section	.AMDGPU.csdata,"",@progbits
; Kernel info:
; codeLenInByte = 0
; NumSgprs: 4
; NumVgprs: 0
; NumAgprs: 0
; TotalNumVgprs: 0
; ScratchSize: 0
; MemoryBound: 0
; FloatMode: 240
; IeeeMode: 1
; LDSByteSize: 0 bytes/workgroup (compile time only)
; SGPRBlocks: 0
; VGPRBlocks: 0
; NumSGPRsForWavesPerEU: 4
; NumVGPRsForWavesPerEU: 1
; AccumOffset: 4
; Occupancy: 8
; WaveLimiterHint : 0
; COMPUTE_PGM_RSRC2:SCRATCH_EN: 0
; COMPUTE_PGM_RSRC2:USER_SGPR: 6
; COMPUTE_PGM_RSRC2:TRAP_HANDLER: 0
; COMPUTE_PGM_RSRC2:TGID_X_EN: 1
; COMPUTE_PGM_RSRC2:TGID_Y_EN: 0
; COMPUTE_PGM_RSRC2:TGID_Z_EN: 0
; COMPUTE_PGM_RSRC2:TIDIG_COMP_CNT: 0
; COMPUTE_PGM_RSRC3_GFX90A:ACCUM_OFFSET: 0
; COMPUTE_PGM_RSRC3_GFX90A:TG_SPLIT: 0
	.section	.text._ZN7rocprim17ROCPRIM_400000_NS6detail17trampoline_kernelINS0_14default_configENS1_20scan_config_selectorIxEEZZNS1_9scan_implILNS1_25lookback_scan_determinismE0ELb0ELb1ES3_N6thrust23THRUST_200600_302600_NS6detail15normal_iteratorINS9_10device_ptrIxEEEESE_xNS9_10multipliesIxEExEEDaPvRmT3_T4_T5_mT6_P12ihipStream_tbENKUlT_T0_E_clISt17integral_constantIbLb1EESU_EEDaSP_SQ_EUlSP_E0_NS1_11comp_targetILNS1_3genE10ELNS1_11target_archE1200ELNS1_3gpuE4ELNS1_3repE0EEENS1_30default_config_static_selectorELNS0_4arch9wavefront6targetE1EEEvT1_,"axG",@progbits,_ZN7rocprim17ROCPRIM_400000_NS6detail17trampoline_kernelINS0_14default_configENS1_20scan_config_selectorIxEEZZNS1_9scan_implILNS1_25lookback_scan_determinismE0ELb0ELb1ES3_N6thrust23THRUST_200600_302600_NS6detail15normal_iteratorINS9_10device_ptrIxEEEESE_xNS9_10multipliesIxEExEEDaPvRmT3_T4_T5_mT6_P12ihipStream_tbENKUlT_T0_E_clISt17integral_constantIbLb1EESU_EEDaSP_SQ_EUlSP_E0_NS1_11comp_targetILNS1_3genE10ELNS1_11target_archE1200ELNS1_3gpuE4ELNS1_3repE0EEENS1_30default_config_static_selectorELNS0_4arch9wavefront6targetE1EEEvT1_,comdat
	.protected	_ZN7rocprim17ROCPRIM_400000_NS6detail17trampoline_kernelINS0_14default_configENS1_20scan_config_selectorIxEEZZNS1_9scan_implILNS1_25lookback_scan_determinismE0ELb0ELb1ES3_N6thrust23THRUST_200600_302600_NS6detail15normal_iteratorINS9_10device_ptrIxEEEESE_xNS9_10multipliesIxEExEEDaPvRmT3_T4_T5_mT6_P12ihipStream_tbENKUlT_T0_E_clISt17integral_constantIbLb1EESU_EEDaSP_SQ_EUlSP_E0_NS1_11comp_targetILNS1_3genE10ELNS1_11target_archE1200ELNS1_3gpuE4ELNS1_3repE0EEENS1_30default_config_static_selectorELNS0_4arch9wavefront6targetE1EEEvT1_ ; -- Begin function _ZN7rocprim17ROCPRIM_400000_NS6detail17trampoline_kernelINS0_14default_configENS1_20scan_config_selectorIxEEZZNS1_9scan_implILNS1_25lookback_scan_determinismE0ELb0ELb1ES3_N6thrust23THRUST_200600_302600_NS6detail15normal_iteratorINS9_10device_ptrIxEEEESE_xNS9_10multipliesIxEExEEDaPvRmT3_T4_T5_mT6_P12ihipStream_tbENKUlT_T0_E_clISt17integral_constantIbLb1EESU_EEDaSP_SQ_EUlSP_E0_NS1_11comp_targetILNS1_3genE10ELNS1_11target_archE1200ELNS1_3gpuE4ELNS1_3repE0EEENS1_30default_config_static_selectorELNS0_4arch9wavefront6targetE1EEEvT1_
	.globl	_ZN7rocprim17ROCPRIM_400000_NS6detail17trampoline_kernelINS0_14default_configENS1_20scan_config_selectorIxEEZZNS1_9scan_implILNS1_25lookback_scan_determinismE0ELb0ELb1ES3_N6thrust23THRUST_200600_302600_NS6detail15normal_iteratorINS9_10device_ptrIxEEEESE_xNS9_10multipliesIxEExEEDaPvRmT3_T4_T5_mT6_P12ihipStream_tbENKUlT_T0_E_clISt17integral_constantIbLb1EESU_EEDaSP_SQ_EUlSP_E0_NS1_11comp_targetILNS1_3genE10ELNS1_11target_archE1200ELNS1_3gpuE4ELNS1_3repE0EEENS1_30default_config_static_selectorELNS0_4arch9wavefront6targetE1EEEvT1_
	.p2align	8
	.type	_ZN7rocprim17ROCPRIM_400000_NS6detail17trampoline_kernelINS0_14default_configENS1_20scan_config_selectorIxEEZZNS1_9scan_implILNS1_25lookback_scan_determinismE0ELb0ELb1ES3_N6thrust23THRUST_200600_302600_NS6detail15normal_iteratorINS9_10device_ptrIxEEEESE_xNS9_10multipliesIxEExEEDaPvRmT3_T4_T5_mT6_P12ihipStream_tbENKUlT_T0_E_clISt17integral_constantIbLb1EESU_EEDaSP_SQ_EUlSP_E0_NS1_11comp_targetILNS1_3genE10ELNS1_11target_archE1200ELNS1_3gpuE4ELNS1_3repE0EEENS1_30default_config_static_selectorELNS0_4arch9wavefront6targetE1EEEvT1_,@function
_ZN7rocprim17ROCPRIM_400000_NS6detail17trampoline_kernelINS0_14default_configENS1_20scan_config_selectorIxEEZZNS1_9scan_implILNS1_25lookback_scan_determinismE0ELb0ELb1ES3_N6thrust23THRUST_200600_302600_NS6detail15normal_iteratorINS9_10device_ptrIxEEEESE_xNS9_10multipliesIxEExEEDaPvRmT3_T4_T5_mT6_P12ihipStream_tbENKUlT_T0_E_clISt17integral_constantIbLb1EESU_EEDaSP_SQ_EUlSP_E0_NS1_11comp_targetILNS1_3genE10ELNS1_11target_archE1200ELNS1_3gpuE4ELNS1_3repE0EEENS1_30default_config_static_selectorELNS0_4arch9wavefront6targetE1EEEvT1_: ; @_ZN7rocprim17ROCPRIM_400000_NS6detail17trampoline_kernelINS0_14default_configENS1_20scan_config_selectorIxEEZZNS1_9scan_implILNS1_25lookback_scan_determinismE0ELb0ELb1ES3_N6thrust23THRUST_200600_302600_NS6detail15normal_iteratorINS9_10device_ptrIxEEEESE_xNS9_10multipliesIxEExEEDaPvRmT3_T4_T5_mT6_P12ihipStream_tbENKUlT_T0_E_clISt17integral_constantIbLb1EESU_EEDaSP_SQ_EUlSP_E0_NS1_11comp_targetILNS1_3genE10ELNS1_11target_archE1200ELNS1_3gpuE4ELNS1_3repE0EEENS1_30default_config_static_selectorELNS0_4arch9wavefront6targetE1EEEvT1_
; %bb.0:
	.section	.rodata,"a",@progbits
	.p2align	6, 0x0
	.amdhsa_kernel _ZN7rocprim17ROCPRIM_400000_NS6detail17trampoline_kernelINS0_14default_configENS1_20scan_config_selectorIxEEZZNS1_9scan_implILNS1_25lookback_scan_determinismE0ELb0ELb1ES3_N6thrust23THRUST_200600_302600_NS6detail15normal_iteratorINS9_10device_ptrIxEEEESE_xNS9_10multipliesIxEExEEDaPvRmT3_T4_T5_mT6_P12ihipStream_tbENKUlT_T0_E_clISt17integral_constantIbLb1EESU_EEDaSP_SQ_EUlSP_E0_NS1_11comp_targetILNS1_3genE10ELNS1_11target_archE1200ELNS1_3gpuE4ELNS1_3repE0EEENS1_30default_config_static_selectorELNS0_4arch9wavefront6targetE1EEEvT1_
		.amdhsa_group_segment_fixed_size 0
		.amdhsa_private_segment_fixed_size 0
		.amdhsa_kernarg_size 40
		.amdhsa_user_sgpr_count 6
		.amdhsa_user_sgpr_private_segment_buffer 1
		.amdhsa_user_sgpr_dispatch_ptr 0
		.amdhsa_user_sgpr_queue_ptr 0
		.amdhsa_user_sgpr_kernarg_segment_ptr 1
		.amdhsa_user_sgpr_dispatch_id 0
		.amdhsa_user_sgpr_flat_scratch_init 0
		.amdhsa_user_sgpr_kernarg_preload_length 0
		.amdhsa_user_sgpr_kernarg_preload_offset 0
		.amdhsa_user_sgpr_private_segment_size 0
		.amdhsa_uses_dynamic_stack 0
		.amdhsa_system_sgpr_private_segment_wavefront_offset 0
		.amdhsa_system_sgpr_workgroup_id_x 1
		.amdhsa_system_sgpr_workgroup_id_y 0
		.amdhsa_system_sgpr_workgroup_id_z 0
		.amdhsa_system_sgpr_workgroup_info 0
		.amdhsa_system_vgpr_workitem_id 0
		.amdhsa_next_free_vgpr 1
		.amdhsa_next_free_sgpr 0
		.amdhsa_accum_offset 4
		.amdhsa_reserve_vcc 0
		.amdhsa_reserve_flat_scratch 0
		.amdhsa_float_round_mode_32 0
		.amdhsa_float_round_mode_16_64 0
		.amdhsa_float_denorm_mode_32 3
		.amdhsa_float_denorm_mode_16_64 3
		.amdhsa_dx10_clamp 1
		.amdhsa_ieee_mode 1
		.amdhsa_fp16_overflow 0
		.amdhsa_tg_split 0
		.amdhsa_exception_fp_ieee_invalid_op 0
		.amdhsa_exception_fp_denorm_src 0
		.amdhsa_exception_fp_ieee_div_zero 0
		.amdhsa_exception_fp_ieee_overflow 0
		.amdhsa_exception_fp_ieee_underflow 0
		.amdhsa_exception_fp_ieee_inexact 0
		.amdhsa_exception_int_div_zero 0
	.end_amdhsa_kernel
	.section	.text._ZN7rocprim17ROCPRIM_400000_NS6detail17trampoline_kernelINS0_14default_configENS1_20scan_config_selectorIxEEZZNS1_9scan_implILNS1_25lookback_scan_determinismE0ELb0ELb1ES3_N6thrust23THRUST_200600_302600_NS6detail15normal_iteratorINS9_10device_ptrIxEEEESE_xNS9_10multipliesIxEExEEDaPvRmT3_T4_T5_mT6_P12ihipStream_tbENKUlT_T0_E_clISt17integral_constantIbLb1EESU_EEDaSP_SQ_EUlSP_E0_NS1_11comp_targetILNS1_3genE10ELNS1_11target_archE1200ELNS1_3gpuE4ELNS1_3repE0EEENS1_30default_config_static_selectorELNS0_4arch9wavefront6targetE1EEEvT1_,"axG",@progbits,_ZN7rocprim17ROCPRIM_400000_NS6detail17trampoline_kernelINS0_14default_configENS1_20scan_config_selectorIxEEZZNS1_9scan_implILNS1_25lookback_scan_determinismE0ELb0ELb1ES3_N6thrust23THRUST_200600_302600_NS6detail15normal_iteratorINS9_10device_ptrIxEEEESE_xNS9_10multipliesIxEExEEDaPvRmT3_T4_T5_mT6_P12ihipStream_tbENKUlT_T0_E_clISt17integral_constantIbLb1EESU_EEDaSP_SQ_EUlSP_E0_NS1_11comp_targetILNS1_3genE10ELNS1_11target_archE1200ELNS1_3gpuE4ELNS1_3repE0EEENS1_30default_config_static_selectorELNS0_4arch9wavefront6targetE1EEEvT1_,comdat
.Lfunc_end303:
	.size	_ZN7rocprim17ROCPRIM_400000_NS6detail17trampoline_kernelINS0_14default_configENS1_20scan_config_selectorIxEEZZNS1_9scan_implILNS1_25lookback_scan_determinismE0ELb0ELb1ES3_N6thrust23THRUST_200600_302600_NS6detail15normal_iteratorINS9_10device_ptrIxEEEESE_xNS9_10multipliesIxEExEEDaPvRmT3_T4_T5_mT6_P12ihipStream_tbENKUlT_T0_E_clISt17integral_constantIbLb1EESU_EEDaSP_SQ_EUlSP_E0_NS1_11comp_targetILNS1_3genE10ELNS1_11target_archE1200ELNS1_3gpuE4ELNS1_3repE0EEENS1_30default_config_static_selectorELNS0_4arch9wavefront6targetE1EEEvT1_, .Lfunc_end303-_ZN7rocprim17ROCPRIM_400000_NS6detail17trampoline_kernelINS0_14default_configENS1_20scan_config_selectorIxEEZZNS1_9scan_implILNS1_25lookback_scan_determinismE0ELb0ELb1ES3_N6thrust23THRUST_200600_302600_NS6detail15normal_iteratorINS9_10device_ptrIxEEEESE_xNS9_10multipliesIxEExEEDaPvRmT3_T4_T5_mT6_P12ihipStream_tbENKUlT_T0_E_clISt17integral_constantIbLb1EESU_EEDaSP_SQ_EUlSP_E0_NS1_11comp_targetILNS1_3genE10ELNS1_11target_archE1200ELNS1_3gpuE4ELNS1_3repE0EEENS1_30default_config_static_selectorELNS0_4arch9wavefront6targetE1EEEvT1_
                                        ; -- End function
	.section	.AMDGPU.csdata,"",@progbits
; Kernel info:
; codeLenInByte = 0
; NumSgprs: 4
; NumVgprs: 0
; NumAgprs: 0
; TotalNumVgprs: 0
; ScratchSize: 0
; MemoryBound: 0
; FloatMode: 240
; IeeeMode: 1
; LDSByteSize: 0 bytes/workgroup (compile time only)
; SGPRBlocks: 0
; VGPRBlocks: 0
; NumSGPRsForWavesPerEU: 4
; NumVGPRsForWavesPerEU: 1
; AccumOffset: 4
; Occupancy: 8
; WaveLimiterHint : 0
; COMPUTE_PGM_RSRC2:SCRATCH_EN: 0
; COMPUTE_PGM_RSRC2:USER_SGPR: 6
; COMPUTE_PGM_RSRC2:TRAP_HANDLER: 0
; COMPUTE_PGM_RSRC2:TGID_X_EN: 1
; COMPUTE_PGM_RSRC2:TGID_Y_EN: 0
; COMPUTE_PGM_RSRC2:TGID_Z_EN: 0
; COMPUTE_PGM_RSRC2:TIDIG_COMP_CNT: 0
; COMPUTE_PGM_RSRC3_GFX90A:ACCUM_OFFSET: 0
; COMPUTE_PGM_RSRC3_GFX90A:TG_SPLIT: 0
	.section	.text._ZN7rocprim17ROCPRIM_400000_NS6detail17trampoline_kernelINS0_14default_configENS1_20scan_config_selectorIxEEZZNS1_9scan_implILNS1_25lookback_scan_determinismE0ELb0ELb1ES3_N6thrust23THRUST_200600_302600_NS6detail15normal_iteratorINS9_10device_ptrIxEEEESE_xNS9_10multipliesIxEExEEDaPvRmT3_T4_T5_mT6_P12ihipStream_tbENKUlT_T0_E_clISt17integral_constantIbLb1EESU_EEDaSP_SQ_EUlSP_E0_NS1_11comp_targetILNS1_3genE9ELNS1_11target_archE1100ELNS1_3gpuE3ELNS1_3repE0EEENS1_30default_config_static_selectorELNS0_4arch9wavefront6targetE1EEEvT1_,"axG",@progbits,_ZN7rocprim17ROCPRIM_400000_NS6detail17trampoline_kernelINS0_14default_configENS1_20scan_config_selectorIxEEZZNS1_9scan_implILNS1_25lookback_scan_determinismE0ELb0ELb1ES3_N6thrust23THRUST_200600_302600_NS6detail15normal_iteratorINS9_10device_ptrIxEEEESE_xNS9_10multipliesIxEExEEDaPvRmT3_T4_T5_mT6_P12ihipStream_tbENKUlT_T0_E_clISt17integral_constantIbLb1EESU_EEDaSP_SQ_EUlSP_E0_NS1_11comp_targetILNS1_3genE9ELNS1_11target_archE1100ELNS1_3gpuE3ELNS1_3repE0EEENS1_30default_config_static_selectorELNS0_4arch9wavefront6targetE1EEEvT1_,comdat
	.protected	_ZN7rocprim17ROCPRIM_400000_NS6detail17trampoline_kernelINS0_14default_configENS1_20scan_config_selectorIxEEZZNS1_9scan_implILNS1_25lookback_scan_determinismE0ELb0ELb1ES3_N6thrust23THRUST_200600_302600_NS6detail15normal_iteratorINS9_10device_ptrIxEEEESE_xNS9_10multipliesIxEExEEDaPvRmT3_T4_T5_mT6_P12ihipStream_tbENKUlT_T0_E_clISt17integral_constantIbLb1EESU_EEDaSP_SQ_EUlSP_E0_NS1_11comp_targetILNS1_3genE9ELNS1_11target_archE1100ELNS1_3gpuE3ELNS1_3repE0EEENS1_30default_config_static_selectorELNS0_4arch9wavefront6targetE1EEEvT1_ ; -- Begin function _ZN7rocprim17ROCPRIM_400000_NS6detail17trampoline_kernelINS0_14default_configENS1_20scan_config_selectorIxEEZZNS1_9scan_implILNS1_25lookback_scan_determinismE0ELb0ELb1ES3_N6thrust23THRUST_200600_302600_NS6detail15normal_iteratorINS9_10device_ptrIxEEEESE_xNS9_10multipliesIxEExEEDaPvRmT3_T4_T5_mT6_P12ihipStream_tbENKUlT_T0_E_clISt17integral_constantIbLb1EESU_EEDaSP_SQ_EUlSP_E0_NS1_11comp_targetILNS1_3genE9ELNS1_11target_archE1100ELNS1_3gpuE3ELNS1_3repE0EEENS1_30default_config_static_selectorELNS0_4arch9wavefront6targetE1EEEvT1_
	.globl	_ZN7rocprim17ROCPRIM_400000_NS6detail17trampoline_kernelINS0_14default_configENS1_20scan_config_selectorIxEEZZNS1_9scan_implILNS1_25lookback_scan_determinismE0ELb0ELb1ES3_N6thrust23THRUST_200600_302600_NS6detail15normal_iteratorINS9_10device_ptrIxEEEESE_xNS9_10multipliesIxEExEEDaPvRmT3_T4_T5_mT6_P12ihipStream_tbENKUlT_T0_E_clISt17integral_constantIbLb1EESU_EEDaSP_SQ_EUlSP_E0_NS1_11comp_targetILNS1_3genE9ELNS1_11target_archE1100ELNS1_3gpuE3ELNS1_3repE0EEENS1_30default_config_static_selectorELNS0_4arch9wavefront6targetE1EEEvT1_
	.p2align	8
	.type	_ZN7rocprim17ROCPRIM_400000_NS6detail17trampoline_kernelINS0_14default_configENS1_20scan_config_selectorIxEEZZNS1_9scan_implILNS1_25lookback_scan_determinismE0ELb0ELb1ES3_N6thrust23THRUST_200600_302600_NS6detail15normal_iteratorINS9_10device_ptrIxEEEESE_xNS9_10multipliesIxEExEEDaPvRmT3_T4_T5_mT6_P12ihipStream_tbENKUlT_T0_E_clISt17integral_constantIbLb1EESU_EEDaSP_SQ_EUlSP_E0_NS1_11comp_targetILNS1_3genE9ELNS1_11target_archE1100ELNS1_3gpuE3ELNS1_3repE0EEENS1_30default_config_static_selectorELNS0_4arch9wavefront6targetE1EEEvT1_,@function
_ZN7rocprim17ROCPRIM_400000_NS6detail17trampoline_kernelINS0_14default_configENS1_20scan_config_selectorIxEEZZNS1_9scan_implILNS1_25lookback_scan_determinismE0ELb0ELb1ES3_N6thrust23THRUST_200600_302600_NS6detail15normal_iteratorINS9_10device_ptrIxEEEESE_xNS9_10multipliesIxEExEEDaPvRmT3_T4_T5_mT6_P12ihipStream_tbENKUlT_T0_E_clISt17integral_constantIbLb1EESU_EEDaSP_SQ_EUlSP_E0_NS1_11comp_targetILNS1_3genE9ELNS1_11target_archE1100ELNS1_3gpuE3ELNS1_3repE0EEENS1_30default_config_static_selectorELNS0_4arch9wavefront6targetE1EEEvT1_: ; @_ZN7rocprim17ROCPRIM_400000_NS6detail17trampoline_kernelINS0_14default_configENS1_20scan_config_selectorIxEEZZNS1_9scan_implILNS1_25lookback_scan_determinismE0ELb0ELb1ES3_N6thrust23THRUST_200600_302600_NS6detail15normal_iteratorINS9_10device_ptrIxEEEESE_xNS9_10multipliesIxEExEEDaPvRmT3_T4_T5_mT6_P12ihipStream_tbENKUlT_T0_E_clISt17integral_constantIbLb1EESU_EEDaSP_SQ_EUlSP_E0_NS1_11comp_targetILNS1_3genE9ELNS1_11target_archE1100ELNS1_3gpuE3ELNS1_3repE0EEENS1_30default_config_static_selectorELNS0_4arch9wavefront6targetE1EEEvT1_
; %bb.0:
	.section	.rodata,"a",@progbits
	.p2align	6, 0x0
	.amdhsa_kernel _ZN7rocprim17ROCPRIM_400000_NS6detail17trampoline_kernelINS0_14default_configENS1_20scan_config_selectorIxEEZZNS1_9scan_implILNS1_25lookback_scan_determinismE0ELb0ELb1ES3_N6thrust23THRUST_200600_302600_NS6detail15normal_iteratorINS9_10device_ptrIxEEEESE_xNS9_10multipliesIxEExEEDaPvRmT3_T4_T5_mT6_P12ihipStream_tbENKUlT_T0_E_clISt17integral_constantIbLb1EESU_EEDaSP_SQ_EUlSP_E0_NS1_11comp_targetILNS1_3genE9ELNS1_11target_archE1100ELNS1_3gpuE3ELNS1_3repE0EEENS1_30default_config_static_selectorELNS0_4arch9wavefront6targetE1EEEvT1_
		.amdhsa_group_segment_fixed_size 0
		.amdhsa_private_segment_fixed_size 0
		.amdhsa_kernarg_size 40
		.amdhsa_user_sgpr_count 6
		.amdhsa_user_sgpr_private_segment_buffer 1
		.amdhsa_user_sgpr_dispatch_ptr 0
		.amdhsa_user_sgpr_queue_ptr 0
		.amdhsa_user_sgpr_kernarg_segment_ptr 1
		.amdhsa_user_sgpr_dispatch_id 0
		.amdhsa_user_sgpr_flat_scratch_init 0
		.amdhsa_user_sgpr_kernarg_preload_length 0
		.amdhsa_user_sgpr_kernarg_preload_offset 0
		.amdhsa_user_sgpr_private_segment_size 0
		.amdhsa_uses_dynamic_stack 0
		.amdhsa_system_sgpr_private_segment_wavefront_offset 0
		.amdhsa_system_sgpr_workgroup_id_x 1
		.amdhsa_system_sgpr_workgroup_id_y 0
		.amdhsa_system_sgpr_workgroup_id_z 0
		.amdhsa_system_sgpr_workgroup_info 0
		.amdhsa_system_vgpr_workitem_id 0
		.amdhsa_next_free_vgpr 1
		.amdhsa_next_free_sgpr 0
		.amdhsa_accum_offset 4
		.amdhsa_reserve_vcc 0
		.amdhsa_reserve_flat_scratch 0
		.amdhsa_float_round_mode_32 0
		.amdhsa_float_round_mode_16_64 0
		.amdhsa_float_denorm_mode_32 3
		.amdhsa_float_denorm_mode_16_64 3
		.amdhsa_dx10_clamp 1
		.amdhsa_ieee_mode 1
		.amdhsa_fp16_overflow 0
		.amdhsa_tg_split 0
		.amdhsa_exception_fp_ieee_invalid_op 0
		.amdhsa_exception_fp_denorm_src 0
		.amdhsa_exception_fp_ieee_div_zero 0
		.amdhsa_exception_fp_ieee_overflow 0
		.amdhsa_exception_fp_ieee_underflow 0
		.amdhsa_exception_fp_ieee_inexact 0
		.amdhsa_exception_int_div_zero 0
	.end_amdhsa_kernel
	.section	.text._ZN7rocprim17ROCPRIM_400000_NS6detail17trampoline_kernelINS0_14default_configENS1_20scan_config_selectorIxEEZZNS1_9scan_implILNS1_25lookback_scan_determinismE0ELb0ELb1ES3_N6thrust23THRUST_200600_302600_NS6detail15normal_iteratorINS9_10device_ptrIxEEEESE_xNS9_10multipliesIxEExEEDaPvRmT3_T4_T5_mT6_P12ihipStream_tbENKUlT_T0_E_clISt17integral_constantIbLb1EESU_EEDaSP_SQ_EUlSP_E0_NS1_11comp_targetILNS1_3genE9ELNS1_11target_archE1100ELNS1_3gpuE3ELNS1_3repE0EEENS1_30default_config_static_selectorELNS0_4arch9wavefront6targetE1EEEvT1_,"axG",@progbits,_ZN7rocprim17ROCPRIM_400000_NS6detail17trampoline_kernelINS0_14default_configENS1_20scan_config_selectorIxEEZZNS1_9scan_implILNS1_25lookback_scan_determinismE0ELb0ELb1ES3_N6thrust23THRUST_200600_302600_NS6detail15normal_iteratorINS9_10device_ptrIxEEEESE_xNS9_10multipliesIxEExEEDaPvRmT3_T4_T5_mT6_P12ihipStream_tbENKUlT_T0_E_clISt17integral_constantIbLb1EESU_EEDaSP_SQ_EUlSP_E0_NS1_11comp_targetILNS1_3genE9ELNS1_11target_archE1100ELNS1_3gpuE3ELNS1_3repE0EEENS1_30default_config_static_selectorELNS0_4arch9wavefront6targetE1EEEvT1_,comdat
.Lfunc_end304:
	.size	_ZN7rocprim17ROCPRIM_400000_NS6detail17trampoline_kernelINS0_14default_configENS1_20scan_config_selectorIxEEZZNS1_9scan_implILNS1_25lookback_scan_determinismE0ELb0ELb1ES3_N6thrust23THRUST_200600_302600_NS6detail15normal_iteratorINS9_10device_ptrIxEEEESE_xNS9_10multipliesIxEExEEDaPvRmT3_T4_T5_mT6_P12ihipStream_tbENKUlT_T0_E_clISt17integral_constantIbLb1EESU_EEDaSP_SQ_EUlSP_E0_NS1_11comp_targetILNS1_3genE9ELNS1_11target_archE1100ELNS1_3gpuE3ELNS1_3repE0EEENS1_30default_config_static_selectorELNS0_4arch9wavefront6targetE1EEEvT1_, .Lfunc_end304-_ZN7rocprim17ROCPRIM_400000_NS6detail17trampoline_kernelINS0_14default_configENS1_20scan_config_selectorIxEEZZNS1_9scan_implILNS1_25lookback_scan_determinismE0ELb0ELb1ES3_N6thrust23THRUST_200600_302600_NS6detail15normal_iteratorINS9_10device_ptrIxEEEESE_xNS9_10multipliesIxEExEEDaPvRmT3_T4_T5_mT6_P12ihipStream_tbENKUlT_T0_E_clISt17integral_constantIbLb1EESU_EEDaSP_SQ_EUlSP_E0_NS1_11comp_targetILNS1_3genE9ELNS1_11target_archE1100ELNS1_3gpuE3ELNS1_3repE0EEENS1_30default_config_static_selectorELNS0_4arch9wavefront6targetE1EEEvT1_
                                        ; -- End function
	.section	.AMDGPU.csdata,"",@progbits
; Kernel info:
; codeLenInByte = 0
; NumSgprs: 4
; NumVgprs: 0
; NumAgprs: 0
; TotalNumVgprs: 0
; ScratchSize: 0
; MemoryBound: 0
; FloatMode: 240
; IeeeMode: 1
; LDSByteSize: 0 bytes/workgroup (compile time only)
; SGPRBlocks: 0
; VGPRBlocks: 0
; NumSGPRsForWavesPerEU: 4
; NumVGPRsForWavesPerEU: 1
; AccumOffset: 4
; Occupancy: 8
; WaveLimiterHint : 0
; COMPUTE_PGM_RSRC2:SCRATCH_EN: 0
; COMPUTE_PGM_RSRC2:USER_SGPR: 6
; COMPUTE_PGM_RSRC2:TRAP_HANDLER: 0
; COMPUTE_PGM_RSRC2:TGID_X_EN: 1
; COMPUTE_PGM_RSRC2:TGID_Y_EN: 0
; COMPUTE_PGM_RSRC2:TGID_Z_EN: 0
; COMPUTE_PGM_RSRC2:TIDIG_COMP_CNT: 0
; COMPUTE_PGM_RSRC3_GFX90A:ACCUM_OFFSET: 0
; COMPUTE_PGM_RSRC3_GFX90A:TG_SPLIT: 0
	.section	.text._ZN7rocprim17ROCPRIM_400000_NS6detail17trampoline_kernelINS0_14default_configENS1_20scan_config_selectorIxEEZZNS1_9scan_implILNS1_25lookback_scan_determinismE0ELb0ELb1ES3_N6thrust23THRUST_200600_302600_NS6detail15normal_iteratorINS9_10device_ptrIxEEEESE_xNS9_10multipliesIxEExEEDaPvRmT3_T4_T5_mT6_P12ihipStream_tbENKUlT_T0_E_clISt17integral_constantIbLb1EESU_EEDaSP_SQ_EUlSP_E0_NS1_11comp_targetILNS1_3genE8ELNS1_11target_archE1030ELNS1_3gpuE2ELNS1_3repE0EEENS1_30default_config_static_selectorELNS0_4arch9wavefront6targetE1EEEvT1_,"axG",@progbits,_ZN7rocprim17ROCPRIM_400000_NS6detail17trampoline_kernelINS0_14default_configENS1_20scan_config_selectorIxEEZZNS1_9scan_implILNS1_25lookback_scan_determinismE0ELb0ELb1ES3_N6thrust23THRUST_200600_302600_NS6detail15normal_iteratorINS9_10device_ptrIxEEEESE_xNS9_10multipliesIxEExEEDaPvRmT3_T4_T5_mT6_P12ihipStream_tbENKUlT_T0_E_clISt17integral_constantIbLb1EESU_EEDaSP_SQ_EUlSP_E0_NS1_11comp_targetILNS1_3genE8ELNS1_11target_archE1030ELNS1_3gpuE2ELNS1_3repE0EEENS1_30default_config_static_selectorELNS0_4arch9wavefront6targetE1EEEvT1_,comdat
	.protected	_ZN7rocprim17ROCPRIM_400000_NS6detail17trampoline_kernelINS0_14default_configENS1_20scan_config_selectorIxEEZZNS1_9scan_implILNS1_25lookback_scan_determinismE0ELb0ELb1ES3_N6thrust23THRUST_200600_302600_NS6detail15normal_iteratorINS9_10device_ptrIxEEEESE_xNS9_10multipliesIxEExEEDaPvRmT3_T4_T5_mT6_P12ihipStream_tbENKUlT_T0_E_clISt17integral_constantIbLb1EESU_EEDaSP_SQ_EUlSP_E0_NS1_11comp_targetILNS1_3genE8ELNS1_11target_archE1030ELNS1_3gpuE2ELNS1_3repE0EEENS1_30default_config_static_selectorELNS0_4arch9wavefront6targetE1EEEvT1_ ; -- Begin function _ZN7rocprim17ROCPRIM_400000_NS6detail17trampoline_kernelINS0_14default_configENS1_20scan_config_selectorIxEEZZNS1_9scan_implILNS1_25lookback_scan_determinismE0ELb0ELb1ES3_N6thrust23THRUST_200600_302600_NS6detail15normal_iteratorINS9_10device_ptrIxEEEESE_xNS9_10multipliesIxEExEEDaPvRmT3_T4_T5_mT6_P12ihipStream_tbENKUlT_T0_E_clISt17integral_constantIbLb1EESU_EEDaSP_SQ_EUlSP_E0_NS1_11comp_targetILNS1_3genE8ELNS1_11target_archE1030ELNS1_3gpuE2ELNS1_3repE0EEENS1_30default_config_static_selectorELNS0_4arch9wavefront6targetE1EEEvT1_
	.globl	_ZN7rocprim17ROCPRIM_400000_NS6detail17trampoline_kernelINS0_14default_configENS1_20scan_config_selectorIxEEZZNS1_9scan_implILNS1_25lookback_scan_determinismE0ELb0ELb1ES3_N6thrust23THRUST_200600_302600_NS6detail15normal_iteratorINS9_10device_ptrIxEEEESE_xNS9_10multipliesIxEExEEDaPvRmT3_T4_T5_mT6_P12ihipStream_tbENKUlT_T0_E_clISt17integral_constantIbLb1EESU_EEDaSP_SQ_EUlSP_E0_NS1_11comp_targetILNS1_3genE8ELNS1_11target_archE1030ELNS1_3gpuE2ELNS1_3repE0EEENS1_30default_config_static_selectorELNS0_4arch9wavefront6targetE1EEEvT1_
	.p2align	8
	.type	_ZN7rocprim17ROCPRIM_400000_NS6detail17trampoline_kernelINS0_14default_configENS1_20scan_config_selectorIxEEZZNS1_9scan_implILNS1_25lookback_scan_determinismE0ELb0ELb1ES3_N6thrust23THRUST_200600_302600_NS6detail15normal_iteratorINS9_10device_ptrIxEEEESE_xNS9_10multipliesIxEExEEDaPvRmT3_T4_T5_mT6_P12ihipStream_tbENKUlT_T0_E_clISt17integral_constantIbLb1EESU_EEDaSP_SQ_EUlSP_E0_NS1_11comp_targetILNS1_3genE8ELNS1_11target_archE1030ELNS1_3gpuE2ELNS1_3repE0EEENS1_30default_config_static_selectorELNS0_4arch9wavefront6targetE1EEEvT1_,@function
_ZN7rocprim17ROCPRIM_400000_NS6detail17trampoline_kernelINS0_14default_configENS1_20scan_config_selectorIxEEZZNS1_9scan_implILNS1_25lookback_scan_determinismE0ELb0ELb1ES3_N6thrust23THRUST_200600_302600_NS6detail15normal_iteratorINS9_10device_ptrIxEEEESE_xNS9_10multipliesIxEExEEDaPvRmT3_T4_T5_mT6_P12ihipStream_tbENKUlT_T0_E_clISt17integral_constantIbLb1EESU_EEDaSP_SQ_EUlSP_E0_NS1_11comp_targetILNS1_3genE8ELNS1_11target_archE1030ELNS1_3gpuE2ELNS1_3repE0EEENS1_30default_config_static_selectorELNS0_4arch9wavefront6targetE1EEEvT1_: ; @_ZN7rocprim17ROCPRIM_400000_NS6detail17trampoline_kernelINS0_14default_configENS1_20scan_config_selectorIxEEZZNS1_9scan_implILNS1_25lookback_scan_determinismE0ELb0ELb1ES3_N6thrust23THRUST_200600_302600_NS6detail15normal_iteratorINS9_10device_ptrIxEEEESE_xNS9_10multipliesIxEExEEDaPvRmT3_T4_T5_mT6_P12ihipStream_tbENKUlT_T0_E_clISt17integral_constantIbLb1EESU_EEDaSP_SQ_EUlSP_E0_NS1_11comp_targetILNS1_3genE8ELNS1_11target_archE1030ELNS1_3gpuE2ELNS1_3repE0EEENS1_30default_config_static_selectorELNS0_4arch9wavefront6targetE1EEEvT1_
; %bb.0:
	.section	.rodata,"a",@progbits
	.p2align	6, 0x0
	.amdhsa_kernel _ZN7rocprim17ROCPRIM_400000_NS6detail17trampoline_kernelINS0_14default_configENS1_20scan_config_selectorIxEEZZNS1_9scan_implILNS1_25lookback_scan_determinismE0ELb0ELb1ES3_N6thrust23THRUST_200600_302600_NS6detail15normal_iteratorINS9_10device_ptrIxEEEESE_xNS9_10multipliesIxEExEEDaPvRmT3_T4_T5_mT6_P12ihipStream_tbENKUlT_T0_E_clISt17integral_constantIbLb1EESU_EEDaSP_SQ_EUlSP_E0_NS1_11comp_targetILNS1_3genE8ELNS1_11target_archE1030ELNS1_3gpuE2ELNS1_3repE0EEENS1_30default_config_static_selectorELNS0_4arch9wavefront6targetE1EEEvT1_
		.amdhsa_group_segment_fixed_size 0
		.amdhsa_private_segment_fixed_size 0
		.amdhsa_kernarg_size 40
		.amdhsa_user_sgpr_count 6
		.amdhsa_user_sgpr_private_segment_buffer 1
		.amdhsa_user_sgpr_dispatch_ptr 0
		.amdhsa_user_sgpr_queue_ptr 0
		.amdhsa_user_sgpr_kernarg_segment_ptr 1
		.amdhsa_user_sgpr_dispatch_id 0
		.amdhsa_user_sgpr_flat_scratch_init 0
		.amdhsa_user_sgpr_kernarg_preload_length 0
		.amdhsa_user_sgpr_kernarg_preload_offset 0
		.amdhsa_user_sgpr_private_segment_size 0
		.amdhsa_uses_dynamic_stack 0
		.amdhsa_system_sgpr_private_segment_wavefront_offset 0
		.amdhsa_system_sgpr_workgroup_id_x 1
		.amdhsa_system_sgpr_workgroup_id_y 0
		.amdhsa_system_sgpr_workgroup_id_z 0
		.amdhsa_system_sgpr_workgroup_info 0
		.amdhsa_system_vgpr_workitem_id 0
		.amdhsa_next_free_vgpr 1
		.amdhsa_next_free_sgpr 0
		.amdhsa_accum_offset 4
		.amdhsa_reserve_vcc 0
		.amdhsa_reserve_flat_scratch 0
		.amdhsa_float_round_mode_32 0
		.amdhsa_float_round_mode_16_64 0
		.amdhsa_float_denorm_mode_32 3
		.amdhsa_float_denorm_mode_16_64 3
		.amdhsa_dx10_clamp 1
		.amdhsa_ieee_mode 1
		.amdhsa_fp16_overflow 0
		.amdhsa_tg_split 0
		.amdhsa_exception_fp_ieee_invalid_op 0
		.amdhsa_exception_fp_denorm_src 0
		.amdhsa_exception_fp_ieee_div_zero 0
		.amdhsa_exception_fp_ieee_overflow 0
		.amdhsa_exception_fp_ieee_underflow 0
		.amdhsa_exception_fp_ieee_inexact 0
		.amdhsa_exception_int_div_zero 0
	.end_amdhsa_kernel
	.section	.text._ZN7rocprim17ROCPRIM_400000_NS6detail17trampoline_kernelINS0_14default_configENS1_20scan_config_selectorIxEEZZNS1_9scan_implILNS1_25lookback_scan_determinismE0ELb0ELb1ES3_N6thrust23THRUST_200600_302600_NS6detail15normal_iteratorINS9_10device_ptrIxEEEESE_xNS9_10multipliesIxEExEEDaPvRmT3_T4_T5_mT6_P12ihipStream_tbENKUlT_T0_E_clISt17integral_constantIbLb1EESU_EEDaSP_SQ_EUlSP_E0_NS1_11comp_targetILNS1_3genE8ELNS1_11target_archE1030ELNS1_3gpuE2ELNS1_3repE0EEENS1_30default_config_static_selectorELNS0_4arch9wavefront6targetE1EEEvT1_,"axG",@progbits,_ZN7rocprim17ROCPRIM_400000_NS6detail17trampoline_kernelINS0_14default_configENS1_20scan_config_selectorIxEEZZNS1_9scan_implILNS1_25lookback_scan_determinismE0ELb0ELb1ES3_N6thrust23THRUST_200600_302600_NS6detail15normal_iteratorINS9_10device_ptrIxEEEESE_xNS9_10multipliesIxEExEEDaPvRmT3_T4_T5_mT6_P12ihipStream_tbENKUlT_T0_E_clISt17integral_constantIbLb1EESU_EEDaSP_SQ_EUlSP_E0_NS1_11comp_targetILNS1_3genE8ELNS1_11target_archE1030ELNS1_3gpuE2ELNS1_3repE0EEENS1_30default_config_static_selectorELNS0_4arch9wavefront6targetE1EEEvT1_,comdat
.Lfunc_end305:
	.size	_ZN7rocprim17ROCPRIM_400000_NS6detail17trampoline_kernelINS0_14default_configENS1_20scan_config_selectorIxEEZZNS1_9scan_implILNS1_25lookback_scan_determinismE0ELb0ELb1ES3_N6thrust23THRUST_200600_302600_NS6detail15normal_iteratorINS9_10device_ptrIxEEEESE_xNS9_10multipliesIxEExEEDaPvRmT3_T4_T5_mT6_P12ihipStream_tbENKUlT_T0_E_clISt17integral_constantIbLb1EESU_EEDaSP_SQ_EUlSP_E0_NS1_11comp_targetILNS1_3genE8ELNS1_11target_archE1030ELNS1_3gpuE2ELNS1_3repE0EEENS1_30default_config_static_selectorELNS0_4arch9wavefront6targetE1EEEvT1_, .Lfunc_end305-_ZN7rocprim17ROCPRIM_400000_NS6detail17trampoline_kernelINS0_14default_configENS1_20scan_config_selectorIxEEZZNS1_9scan_implILNS1_25lookback_scan_determinismE0ELb0ELb1ES3_N6thrust23THRUST_200600_302600_NS6detail15normal_iteratorINS9_10device_ptrIxEEEESE_xNS9_10multipliesIxEExEEDaPvRmT3_T4_T5_mT6_P12ihipStream_tbENKUlT_T0_E_clISt17integral_constantIbLb1EESU_EEDaSP_SQ_EUlSP_E0_NS1_11comp_targetILNS1_3genE8ELNS1_11target_archE1030ELNS1_3gpuE2ELNS1_3repE0EEENS1_30default_config_static_selectorELNS0_4arch9wavefront6targetE1EEEvT1_
                                        ; -- End function
	.section	.AMDGPU.csdata,"",@progbits
; Kernel info:
; codeLenInByte = 0
; NumSgprs: 4
; NumVgprs: 0
; NumAgprs: 0
; TotalNumVgprs: 0
; ScratchSize: 0
; MemoryBound: 0
; FloatMode: 240
; IeeeMode: 1
; LDSByteSize: 0 bytes/workgroup (compile time only)
; SGPRBlocks: 0
; VGPRBlocks: 0
; NumSGPRsForWavesPerEU: 4
; NumVGPRsForWavesPerEU: 1
; AccumOffset: 4
; Occupancy: 8
; WaveLimiterHint : 0
; COMPUTE_PGM_RSRC2:SCRATCH_EN: 0
; COMPUTE_PGM_RSRC2:USER_SGPR: 6
; COMPUTE_PGM_RSRC2:TRAP_HANDLER: 0
; COMPUTE_PGM_RSRC2:TGID_X_EN: 1
; COMPUTE_PGM_RSRC2:TGID_Y_EN: 0
; COMPUTE_PGM_RSRC2:TGID_Z_EN: 0
; COMPUTE_PGM_RSRC2:TIDIG_COMP_CNT: 0
; COMPUTE_PGM_RSRC3_GFX90A:ACCUM_OFFSET: 0
; COMPUTE_PGM_RSRC3_GFX90A:TG_SPLIT: 0
	.section	.text._ZN7rocprim17ROCPRIM_400000_NS6detail17trampoline_kernelINS0_14default_configENS1_20scan_config_selectorIxEEZZNS1_9scan_implILNS1_25lookback_scan_determinismE0ELb0ELb1ES3_N6thrust23THRUST_200600_302600_NS6detail15normal_iteratorINS9_10device_ptrIxEEEESE_xNS9_10multipliesIxEExEEDaPvRmT3_T4_T5_mT6_P12ihipStream_tbENKUlT_T0_E_clISt17integral_constantIbLb1EEST_IbLb0EEEEDaSP_SQ_EUlSP_E_NS1_11comp_targetILNS1_3genE0ELNS1_11target_archE4294967295ELNS1_3gpuE0ELNS1_3repE0EEENS1_30default_config_static_selectorELNS0_4arch9wavefront6targetE1EEEvT1_,"axG",@progbits,_ZN7rocprim17ROCPRIM_400000_NS6detail17trampoline_kernelINS0_14default_configENS1_20scan_config_selectorIxEEZZNS1_9scan_implILNS1_25lookback_scan_determinismE0ELb0ELb1ES3_N6thrust23THRUST_200600_302600_NS6detail15normal_iteratorINS9_10device_ptrIxEEEESE_xNS9_10multipliesIxEExEEDaPvRmT3_T4_T5_mT6_P12ihipStream_tbENKUlT_T0_E_clISt17integral_constantIbLb1EEST_IbLb0EEEEDaSP_SQ_EUlSP_E_NS1_11comp_targetILNS1_3genE0ELNS1_11target_archE4294967295ELNS1_3gpuE0ELNS1_3repE0EEENS1_30default_config_static_selectorELNS0_4arch9wavefront6targetE1EEEvT1_,comdat
	.protected	_ZN7rocprim17ROCPRIM_400000_NS6detail17trampoline_kernelINS0_14default_configENS1_20scan_config_selectorIxEEZZNS1_9scan_implILNS1_25lookback_scan_determinismE0ELb0ELb1ES3_N6thrust23THRUST_200600_302600_NS6detail15normal_iteratorINS9_10device_ptrIxEEEESE_xNS9_10multipliesIxEExEEDaPvRmT3_T4_T5_mT6_P12ihipStream_tbENKUlT_T0_E_clISt17integral_constantIbLb1EEST_IbLb0EEEEDaSP_SQ_EUlSP_E_NS1_11comp_targetILNS1_3genE0ELNS1_11target_archE4294967295ELNS1_3gpuE0ELNS1_3repE0EEENS1_30default_config_static_selectorELNS0_4arch9wavefront6targetE1EEEvT1_ ; -- Begin function _ZN7rocprim17ROCPRIM_400000_NS6detail17trampoline_kernelINS0_14default_configENS1_20scan_config_selectorIxEEZZNS1_9scan_implILNS1_25lookback_scan_determinismE0ELb0ELb1ES3_N6thrust23THRUST_200600_302600_NS6detail15normal_iteratorINS9_10device_ptrIxEEEESE_xNS9_10multipliesIxEExEEDaPvRmT3_T4_T5_mT6_P12ihipStream_tbENKUlT_T0_E_clISt17integral_constantIbLb1EEST_IbLb0EEEEDaSP_SQ_EUlSP_E_NS1_11comp_targetILNS1_3genE0ELNS1_11target_archE4294967295ELNS1_3gpuE0ELNS1_3repE0EEENS1_30default_config_static_selectorELNS0_4arch9wavefront6targetE1EEEvT1_
	.globl	_ZN7rocprim17ROCPRIM_400000_NS6detail17trampoline_kernelINS0_14default_configENS1_20scan_config_selectorIxEEZZNS1_9scan_implILNS1_25lookback_scan_determinismE0ELb0ELb1ES3_N6thrust23THRUST_200600_302600_NS6detail15normal_iteratorINS9_10device_ptrIxEEEESE_xNS9_10multipliesIxEExEEDaPvRmT3_T4_T5_mT6_P12ihipStream_tbENKUlT_T0_E_clISt17integral_constantIbLb1EEST_IbLb0EEEEDaSP_SQ_EUlSP_E_NS1_11comp_targetILNS1_3genE0ELNS1_11target_archE4294967295ELNS1_3gpuE0ELNS1_3repE0EEENS1_30default_config_static_selectorELNS0_4arch9wavefront6targetE1EEEvT1_
	.p2align	8
	.type	_ZN7rocprim17ROCPRIM_400000_NS6detail17trampoline_kernelINS0_14default_configENS1_20scan_config_selectorIxEEZZNS1_9scan_implILNS1_25lookback_scan_determinismE0ELb0ELb1ES3_N6thrust23THRUST_200600_302600_NS6detail15normal_iteratorINS9_10device_ptrIxEEEESE_xNS9_10multipliesIxEExEEDaPvRmT3_T4_T5_mT6_P12ihipStream_tbENKUlT_T0_E_clISt17integral_constantIbLb1EEST_IbLb0EEEEDaSP_SQ_EUlSP_E_NS1_11comp_targetILNS1_3genE0ELNS1_11target_archE4294967295ELNS1_3gpuE0ELNS1_3repE0EEENS1_30default_config_static_selectorELNS0_4arch9wavefront6targetE1EEEvT1_,@function
_ZN7rocprim17ROCPRIM_400000_NS6detail17trampoline_kernelINS0_14default_configENS1_20scan_config_selectorIxEEZZNS1_9scan_implILNS1_25lookback_scan_determinismE0ELb0ELb1ES3_N6thrust23THRUST_200600_302600_NS6detail15normal_iteratorINS9_10device_ptrIxEEEESE_xNS9_10multipliesIxEExEEDaPvRmT3_T4_T5_mT6_P12ihipStream_tbENKUlT_T0_E_clISt17integral_constantIbLb1EEST_IbLb0EEEEDaSP_SQ_EUlSP_E_NS1_11comp_targetILNS1_3genE0ELNS1_11target_archE4294967295ELNS1_3gpuE0ELNS1_3repE0EEENS1_30default_config_static_selectorELNS0_4arch9wavefront6targetE1EEEvT1_: ; @_ZN7rocprim17ROCPRIM_400000_NS6detail17trampoline_kernelINS0_14default_configENS1_20scan_config_selectorIxEEZZNS1_9scan_implILNS1_25lookback_scan_determinismE0ELb0ELb1ES3_N6thrust23THRUST_200600_302600_NS6detail15normal_iteratorINS9_10device_ptrIxEEEESE_xNS9_10multipliesIxEExEEDaPvRmT3_T4_T5_mT6_P12ihipStream_tbENKUlT_T0_E_clISt17integral_constantIbLb1EEST_IbLb0EEEEDaSP_SQ_EUlSP_E_NS1_11comp_targetILNS1_3genE0ELNS1_11target_archE4294967295ELNS1_3gpuE0ELNS1_3repE0EEENS1_30default_config_static_selectorELNS0_4arch9wavefront6targetE1EEEvT1_
; %bb.0:
	.section	.rodata,"a",@progbits
	.p2align	6, 0x0
	.amdhsa_kernel _ZN7rocprim17ROCPRIM_400000_NS6detail17trampoline_kernelINS0_14default_configENS1_20scan_config_selectorIxEEZZNS1_9scan_implILNS1_25lookback_scan_determinismE0ELb0ELb1ES3_N6thrust23THRUST_200600_302600_NS6detail15normal_iteratorINS9_10device_ptrIxEEEESE_xNS9_10multipliesIxEExEEDaPvRmT3_T4_T5_mT6_P12ihipStream_tbENKUlT_T0_E_clISt17integral_constantIbLb1EEST_IbLb0EEEEDaSP_SQ_EUlSP_E_NS1_11comp_targetILNS1_3genE0ELNS1_11target_archE4294967295ELNS1_3gpuE0ELNS1_3repE0EEENS1_30default_config_static_selectorELNS0_4arch9wavefront6targetE1EEEvT1_
		.amdhsa_group_segment_fixed_size 0
		.amdhsa_private_segment_fixed_size 0
		.amdhsa_kernarg_size 104
		.amdhsa_user_sgpr_count 6
		.amdhsa_user_sgpr_private_segment_buffer 1
		.amdhsa_user_sgpr_dispatch_ptr 0
		.amdhsa_user_sgpr_queue_ptr 0
		.amdhsa_user_sgpr_kernarg_segment_ptr 1
		.amdhsa_user_sgpr_dispatch_id 0
		.amdhsa_user_sgpr_flat_scratch_init 0
		.amdhsa_user_sgpr_kernarg_preload_length 0
		.amdhsa_user_sgpr_kernarg_preload_offset 0
		.amdhsa_user_sgpr_private_segment_size 0
		.amdhsa_uses_dynamic_stack 0
		.amdhsa_system_sgpr_private_segment_wavefront_offset 0
		.amdhsa_system_sgpr_workgroup_id_x 1
		.amdhsa_system_sgpr_workgroup_id_y 0
		.amdhsa_system_sgpr_workgroup_id_z 0
		.amdhsa_system_sgpr_workgroup_info 0
		.amdhsa_system_vgpr_workitem_id 0
		.amdhsa_next_free_vgpr 1
		.amdhsa_next_free_sgpr 0
		.amdhsa_accum_offset 4
		.amdhsa_reserve_vcc 0
		.amdhsa_reserve_flat_scratch 0
		.amdhsa_float_round_mode_32 0
		.amdhsa_float_round_mode_16_64 0
		.amdhsa_float_denorm_mode_32 3
		.amdhsa_float_denorm_mode_16_64 3
		.amdhsa_dx10_clamp 1
		.amdhsa_ieee_mode 1
		.amdhsa_fp16_overflow 0
		.amdhsa_tg_split 0
		.amdhsa_exception_fp_ieee_invalid_op 0
		.amdhsa_exception_fp_denorm_src 0
		.amdhsa_exception_fp_ieee_div_zero 0
		.amdhsa_exception_fp_ieee_overflow 0
		.amdhsa_exception_fp_ieee_underflow 0
		.amdhsa_exception_fp_ieee_inexact 0
		.amdhsa_exception_int_div_zero 0
	.end_amdhsa_kernel
	.section	.text._ZN7rocprim17ROCPRIM_400000_NS6detail17trampoline_kernelINS0_14default_configENS1_20scan_config_selectorIxEEZZNS1_9scan_implILNS1_25lookback_scan_determinismE0ELb0ELb1ES3_N6thrust23THRUST_200600_302600_NS6detail15normal_iteratorINS9_10device_ptrIxEEEESE_xNS9_10multipliesIxEExEEDaPvRmT3_T4_T5_mT6_P12ihipStream_tbENKUlT_T0_E_clISt17integral_constantIbLb1EEST_IbLb0EEEEDaSP_SQ_EUlSP_E_NS1_11comp_targetILNS1_3genE0ELNS1_11target_archE4294967295ELNS1_3gpuE0ELNS1_3repE0EEENS1_30default_config_static_selectorELNS0_4arch9wavefront6targetE1EEEvT1_,"axG",@progbits,_ZN7rocprim17ROCPRIM_400000_NS6detail17trampoline_kernelINS0_14default_configENS1_20scan_config_selectorIxEEZZNS1_9scan_implILNS1_25lookback_scan_determinismE0ELb0ELb1ES3_N6thrust23THRUST_200600_302600_NS6detail15normal_iteratorINS9_10device_ptrIxEEEESE_xNS9_10multipliesIxEExEEDaPvRmT3_T4_T5_mT6_P12ihipStream_tbENKUlT_T0_E_clISt17integral_constantIbLb1EEST_IbLb0EEEEDaSP_SQ_EUlSP_E_NS1_11comp_targetILNS1_3genE0ELNS1_11target_archE4294967295ELNS1_3gpuE0ELNS1_3repE0EEENS1_30default_config_static_selectorELNS0_4arch9wavefront6targetE1EEEvT1_,comdat
.Lfunc_end306:
	.size	_ZN7rocprim17ROCPRIM_400000_NS6detail17trampoline_kernelINS0_14default_configENS1_20scan_config_selectorIxEEZZNS1_9scan_implILNS1_25lookback_scan_determinismE0ELb0ELb1ES3_N6thrust23THRUST_200600_302600_NS6detail15normal_iteratorINS9_10device_ptrIxEEEESE_xNS9_10multipliesIxEExEEDaPvRmT3_T4_T5_mT6_P12ihipStream_tbENKUlT_T0_E_clISt17integral_constantIbLb1EEST_IbLb0EEEEDaSP_SQ_EUlSP_E_NS1_11comp_targetILNS1_3genE0ELNS1_11target_archE4294967295ELNS1_3gpuE0ELNS1_3repE0EEENS1_30default_config_static_selectorELNS0_4arch9wavefront6targetE1EEEvT1_, .Lfunc_end306-_ZN7rocprim17ROCPRIM_400000_NS6detail17trampoline_kernelINS0_14default_configENS1_20scan_config_selectorIxEEZZNS1_9scan_implILNS1_25lookback_scan_determinismE0ELb0ELb1ES3_N6thrust23THRUST_200600_302600_NS6detail15normal_iteratorINS9_10device_ptrIxEEEESE_xNS9_10multipliesIxEExEEDaPvRmT3_T4_T5_mT6_P12ihipStream_tbENKUlT_T0_E_clISt17integral_constantIbLb1EEST_IbLb0EEEEDaSP_SQ_EUlSP_E_NS1_11comp_targetILNS1_3genE0ELNS1_11target_archE4294967295ELNS1_3gpuE0ELNS1_3repE0EEENS1_30default_config_static_selectorELNS0_4arch9wavefront6targetE1EEEvT1_
                                        ; -- End function
	.section	.AMDGPU.csdata,"",@progbits
; Kernel info:
; codeLenInByte = 0
; NumSgprs: 4
; NumVgprs: 0
; NumAgprs: 0
; TotalNumVgprs: 0
; ScratchSize: 0
; MemoryBound: 0
; FloatMode: 240
; IeeeMode: 1
; LDSByteSize: 0 bytes/workgroup (compile time only)
; SGPRBlocks: 0
; VGPRBlocks: 0
; NumSGPRsForWavesPerEU: 4
; NumVGPRsForWavesPerEU: 1
; AccumOffset: 4
; Occupancy: 8
; WaveLimiterHint : 0
; COMPUTE_PGM_RSRC2:SCRATCH_EN: 0
; COMPUTE_PGM_RSRC2:USER_SGPR: 6
; COMPUTE_PGM_RSRC2:TRAP_HANDLER: 0
; COMPUTE_PGM_RSRC2:TGID_X_EN: 1
; COMPUTE_PGM_RSRC2:TGID_Y_EN: 0
; COMPUTE_PGM_RSRC2:TGID_Z_EN: 0
; COMPUTE_PGM_RSRC2:TIDIG_COMP_CNT: 0
; COMPUTE_PGM_RSRC3_GFX90A:ACCUM_OFFSET: 0
; COMPUTE_PGM_RSRC3_GFX90A:TG_SPLIT: 0
	.section	.text._ZN7rocprim17ROCPRIM_400000_NS6detail17trampoline_kernelINS0_14default_configENS1_20scan_config_selectorIxEEZZNS1_9scan_implILNS1_25lookback_scan_determinismE0ELb0ELb1ES3_N6thrust23THRUST_200600_302600_NS6detail15normal_iteratorINS9_10device_ptrIxEEEESE_xNS9_10multipliesIxEExEEDaPvRmT3_T4_T5_mT6_P12ihipStream_tbENKUlT_T0_E_clISt17integral_constantIbLb1EEST_IbLb0EEEEDaSP_SQ_EUlSP_E_NS1_11comp_targetILNS1_3genE5ELNS1_11target_archE942ELNS1_3gpuE9ELNS1_3repE0EEENS1_30default_config_static_selectorELNS0_4arch9wavefront6targetE1EEEvT1_,"axG",@progbits,_ZN7rocprim17ROCPRIM_400000_NS6detail17trampoline_kernelINS0_14default_configENS1_20scan_config_selectorIxEEZZNS1_9scan_implILNS1_25lookback_scan_determinismE0ELb0ELb1ES3_N6thrust23THRUST_200600_302600_NS6detail15normal_iteratorINS9_10device_ptrIxEEEESE_xNS9_10multipliesIxEExEEDaPvRmT3_T4_T5_mT6_P12ihipStream_tbENKUlT_T0_E_clISt17integral_constantIbLb1EEST_IbLb0EEEEDaSP_SQ_EUlSP_E_NS1_11comp_targetILNS1_3genE5ELNS1_11target_archE942ELNS1_3gpuE9ELNS1_3repE0EEENS1_30default_config_static_selectorELNS0_4arch9wavefront6targetE1EEEvT1_,comdat
	.protected	_ZN7rocprim17ROCPRIM_400000_NS6detail17trampoline_kernelINS0_14default_configENS1_20scan_config_selectorIxEEZZNS1_9scan_implILNS1_25lookback_scan_determinismE0ELb0ELb1ES3_N6thrust23THRUST_200600_302600_NS6detail15normal_iteratorINS9_10device_ptrIxEEEESE_xNS9_10multipliesIxEExEEDaPvRmT3_T4_T5_mT6_P12ihipStream_tbENKUlT_T0_E_clISt17integral_constantIbLb1EEST_IbLb0EEEEDaSP_SQ_EUlSP_E_NS1_11comp_targetILNS1_3genE5ELNS1_11target_archE942ELNS1_3gpuE9ELNS1_3repE0EEENS1_30default_config_static_selectorELNS0_4arch9wavefront6targetE1EEEvT1_ ; -- Begin function _ZN7rocprim17ROCPRIM_400000_NS6detail17trampoline_kernelINS0_14default_configENS1_20scan_config_selectorIxEEZZNS1_9scan_implILNS1_25lookback_scan_determinismE0ELb0ELb1ES3_N6thrust23THRUST_200600_302600_NS6detail15normal_iteratorINS9_10device_ptrIxEEEESE_xNS9_10multipliesIxEExEEDaPvRmT3_T4_T5_mT6_P12ihipStream_tbENKUlT_T0_E_clISt17integral_constantIbLb1EEST_IbLb0EEEEDaSP_SQ_EUlSP_E_NS1_11comp_targetILNS1_3genE5ELNS1_11target_archE942ELNS1_3gpuE9ELNS1_3repE0EEENS1_30default_config_static_selectorELNS0_4arch9wavefront6targetE1EEEvT1_
	.globl	_ZN7rocprim17ROCPRIM_400000_NS6detail17trampoline_kernelINS0_14default_configENS1_20scan_config_selectorIxEEZZNS1_9scan_implILNS1_25lookback_scan_determinismE0ELb0ELb1ES3_N6thrust23THRUST_200600_302600_NS6detail15normal_iteratorINS9_10device_ptrIxEEEESE_xNS9_10multipliesIxEExEEDaPvRmT3_T4_T5_mT6_P12ihipStream_tbENKUlT_T0_E_clISt17integral_constantIbLb1EEST_IbLb0EEEEDaSP_SQ_EUlSP_E_NS1_11comp_targetILNS1_3genE5ELNS1_11target_archE942ELNS1_3gpuE9ELNS1_3repE0EEENS1_30default_config_static_selectorELNS0_4arch9wavefront6targetE1EEEvT1_
	.p2align	8
	.type	_ZN7rocprim17ROCPRIM_400000_NS6detail17trampoline_kernelINS0_14default_configENS1_20scan_config_selectorIxEEZZNS1_9scan_implILNS1_25lookback_scan_determinismE0ELb0ELb1ES3_N6thrust23THRUST_200600_302600_NS6detail15normal_iteratorINS9_10device_ptrIxEEEESE_xNS9_10multipliesIxEExEEDaPvRmT3_T4_T5_mT6_P12ihipStream_tbENKUlT_T0_E_clISt17integral_constantIbLb1EEST_IbLb0EEEEDaSP_SQ_EUlSP_E_NS1_11comp_targetILNS1_3genE5ELNS1_11target_archE942ELNS1_3gpuE9ELNS1_3repE0EEENS1_30default_config_static_selectorELNS0_4arch9wavefront6targetE1EEEvT1_,@function
_ZN7rocprim17ROCPRIM_400000_NS6detail17trampoline_kernelINS0_14default_configENS1_20scan_config_selectorIxEEZZNS1_9scan_implILNS1_25lookback_scan_determinismE0ELb0ELb1ES3_N6thrust23THRUST_200600_302600_NS6detail15normal_iteratorINS9_10device_ptrIxEEEESE_xNS9_10multipliesIxEExEEDaPvRmT3_T4_T5_mT6_P12ihipStream_tbENKUlT_T0_E_clISt17integral_constantIbLb1EEST_IbLb0EEEEDaSP_SQ_EUlSP_E_NS1_11comp_targetILNS1_3genE5ELNS1_11target_archE942ELNS1_3gpuE9ELNS1_3repE0EEENS1_30default_config_static_selectorELNS0_4arch9wavefront6targetE1EEEvT1_: ; @_ZN7rocprim17ROCPRIM_400000_NS6detail17trampoline_kernelINS0_14default_configENS1_20scan_config_selectorIxEEZZNS1_9scan_implILNS1_25lookback_scan_determinismE0ELb0ELb1ES3_N6thrust23THRUST_200600_302600_NS6detail15normal_iteratorINS9_10device_ptrIxEEEESE_xNS9_10multipliesIxEExEEDaPvRmT3_T4_T5_mT6_P12ihipStream_tbENKUlT_T0_E_clISt17integral_constantIbLb1EEST_IbLb0EEEEDaSP_SQ_EUlSP_E_NS1_11comp_targetILNS1_3genE5ELNS1_11target_archE942ELNS1_3gpuE9ELNS1_3repE0EEENS1_30default_config_static_selectorELNS0_4arch9wavefront6targetE1EEEvT1_
; %bb.0:
	.section	.rodata,"a",@progbits
	.p2align	6, 0x0
	.amdhsa_kernel _ZN7rocprim17ROCPRIM_400000_NS6detail17trampoline_kernelINS0_14default_configENS1_20scan_config_selectorIxEEZZNS1_9scan_implILNS1_25lookback_scan_determinismE0ELb0ELb1ES3_N6thrust23THRUST_200600_302600_NS6detail15normal_iteratorINS9_10device_ptrIxEEEESE_xNS9_10multipliesIxEExEEDaPvRmT3_T4_T5_mT6_P12ihipStream_tbENKUlT_T0_E_clISt17integral_constantIbLb1EEST_IbLb0EEEEDaSP_SQ_EUlSP_E_NS1_11comp_targetILNS1_3genE5ELNS1_11target_archE942ELNS1_3gpuE9ELNS1_3repE0EEENS1_30default_config_static_selectorELNS0_4arch9wavefront6targetE1EEEvT1_
		.amdhsa_group_segment_fixed_size 0
		.amdhsa_private_segment_fixed_size 0
		.amdhsa_kernarg_size 104
		.amdhsa_user_sgpr_count 6
		.amdhsa_user_sgpr_private_segment_buffer 1
		.amdhsa_user_sgpr_dispatch_ptr 0
		.amdhsa_user_sgpr_queue_ptr 0
		.amdhsa_user_sgpr_kernarg_segment_ptr 1
		.amdhsa_user_sgpr_dispatch_id 0
		.amdhsa_user_sgpr_flat_scratch_init 0
		.amdhsa_user_sgpr_kernarg_preload_length 0
		.amdhsa_user_sgpr_kernarg_preload_offset 0
		.amdhsa_user_sgpr_private_segment_size 0
		.amdhsa_uses_dynamic_stack 0
		.amdhsa_system_sgpr_private_segment_wavefront_offset 0
		.amdhsa_system_sgpr_workgroup_id_x 1
		.amdhsa_system_sgpr_workgroup_id_y 0
		.amdhsa_system_sgpr_workgroup_id_z 0
		.amdhsa_system_sgpr_workgroup_info 0
		.amdhsa_system_vgpr_workitem_id 0
		.amdhsa_next_free_vgpr 1
		.amdhsa_next_free_sgpr 0
		.amdhsa_accum_offset 4
		.amdhsa_reserve_vcc 0
		.amdhsa_reserve_flat_scratch 0
		.amdhsa_float_round_mode_32 0
		.amdhsa_float_round_mode_16_64 0
		.amdhsa_float_denorm_mode_32 3
		.amdhsa_float_denorm_mode_16_64 3
		.amdhsa_dx10_clamp 1
		.amdhsa_ieee_mode 1
		.amdhsa_fp16_overflow 0
		.amdhsa_tg_split 0
		.amdhsa_exception_fp_ieee_invalid_op 0
		.amdhsa_exception_fp_denorm_src 0
		.amdhsa_exception_fp_ieee_div_zero 0
		.amdhsa_exception_fp_ieee_overflow 0
		.amdhsa_exception_fp_ieee_underflow 0
		.amdhsa_exception_fp_ieee_inexact 0
		.amdhsa_exception_int_div_zero 0
	.end_amdhsa_kernel
	.section	.text._ZN7rocprim17ROCPRIM_400000_NS6detail17trampoline_kernelINS0_14default_configENS1_20scan_config_selectorIxEEZZNS1_9scan_implILNS1_25lookback_scan_determinismE0ELb0ELb1ES3_N6thrust23THRUST_200600_302600_NS6detail15normal_iteratorINS9_10device_ptrIxEEEESE_xNS9_10multipliesIxEExEEDaPvRmT3_T4_T5_mT6_P12ihipStream_tbENKUlT_T0_E_clISt17integral_constantIbLb1EEST_IbLb0EEEEDaSP_SQ_EUlSP_E_NS1_11comp_targetILNS1_3genE5ELNS1_11target_archE942ELNS1_3gpuE9ELNS1_3repE0EEENS1_30default_config_static_selectorELNS0_4arch9wavefront6targetE1EEEvT1_,"axG",@progbits,_ZN7rocprim17ROCPRIM_400000_NS6detail17trampoline_kernelINS0_14default_configENS1_20scan_config_selectorIxEEZZNS1_9scan_implILNS1_25lookback_scan_determinismE0ELb0ELb1ES3_N6thrust23THRUST_200600_302600_NS6detail15normal_iteratorINS9_10device_ptrIxEEEESE_xNS9_10multipliesIxEExEEDaPvRmT3_T4_T5_mT6_P12ihipStream_tbENKUlT_T0_E_clISt17integral_constantIbLb1EEST_IbLb0EEEEDaSP_SQ_EUlSP_E_NS1_11comp_targetILNS1_3genE5ELNS1_11target_archE942ELNS1_3gpuE9ELNS1_3repE0EEENS1_30default_config_static_selectorELNS0_4arch9wavefront6targetE1EEEvT1_,comdat
.Lfunc_end307:
	.size	_ZN7rocprim17ROCPRIM_400000_NS6detail17trampoline_kernelINS0_14default_configENS1_20scan_config_selectorIxEEZZNS1_9scan_implILNS1_25lookback_scan_determinismE0ELb0ELb1ES3_N6thrust23THRUST_200600_302600_NS6detail15normal_iteratorINS9_10device_ptrIxEEEESE_xNS9_10multipliesIxEExEEDaPvRmT3_T4_T5_mT6_P12ihipStream_tbENKUlT_T0_E_clISt17integral_constantIbLb1EEST_IbLb0EEEEDaSP_SQ_EUlSP_E_NS1_11comp_targetILNS1_3genE5ELNS1_11target_archE942ELNS1_3gpuE9ELNS1_3repE0EEENS1_30default_config_static_selectorELNS0_4arch9wavefront6targetE1EEEvT1_, .Lfunc_end307-_ZN7rocprim17ROCPRIM_400000_NS6detail17trampoline_kernelINS0_14default_configENS1_20scan_config_selectorIxEEZZNS1_9scan_implILNS1_25lookback_scan_determinismE0ELb0ELb1ES3_N6thrust23THRUST_200600_302600_NS6detail15normal_iteratorINS9_10device_ptrIxEEEESE_xNS9_10multipliesIxEExEEDaPvRmT3_T4_T5_mT6_P12ihipStream_tbENKUlT_T0_E_clISt17integral_constantIbLb1EEST_IbLb0EEEEDaSP_SQ_EUlSP_E_NS1_11comp_targetILNS1_3genE5ELNS1_11target_archE942ELNS1_3gpuE9ELNS1_3repE0EEENS1_30default_config_static_selectorELNS0_4arch9wavefront6targetE1EEEvT1_
                                        ; -- End function
	.section	.AMDGPU.csdata,"",@progbits
; Kernel info:
; codeLenInByte = 0
; NumSgprs: 4
; NumVgprs: 0
; NumAgprs: 0
; TotalNumVgprs: 0
; ScratchSize: 0
; MemoryBound: 0
; FloatMode: 240
; IeeeMode: 1
; LDSByteSize: 0 bytes/workgroup (compile time only)
; SGPRBlocks: 0
; VGPRBlocks: 0
; NumSGPRsForWavesPerEU: 4
; NumVGPRsForWavesPerEU: 1
; AccumOffset: 4
; Occupancy: 8
; WaveLimiterHint : 0
; COMPUTE_PGM_RSRC2:SCRATCH_EN: 0
; COMPUTE_PGM_RSRC2:USER_SGPR: 6
; COMPUTE_PGM_RSRC2:TRAP_HANDLER: 0
; COMPUTE_PGM_RSRC2:TGID_X_EN: 1
; COMPUTE_PGM_RSRC2:TGID_Y_EN: 0
; COMPUTE_PGM_RSRC2:TGID_Z_EN: 0
; COMPUTE_PGM_RSRC2:TIDIG_COMP_CNT: 0
; COMPUTE_PGM_RSRC3_GFX90A:ACCUM_OFFSET: 0
; COMPUTE_PGM_RSRC3_GFX90A:TG_SPLIT: 0
	.section	.text._ZN7rocprim17ROCPRIM_400000_NS6detail17trampoline_kernelINS0_14default_configENS1_20scan_config_selectorIxEEZZNS1_9scan_implILNS1_25lookback_scan_determinismE0ELb0ELb1ES3_N6thrust23THRUST_200600_302600_NS6detail15normal_iteratorINS9_10device_ptrIxEEEESE_xNS9_10multipliesIxEExEEDaPvRmT3_T4_T5_mT6_P12ihipStream_tbENKUlT_T0_E_clISt17integral_constantIbLb1EEST_IbLb0EEEEDaSP_SQ_EUlSP_E_NS1_11comp_targetILNS1_3genE4ELNS1_11target_archE910ELNS1_3gpuE8ELNS1_3repE0EEENS1_30default_config_static_selectorELNS0_4arch9wavefront6targetE1EEEvT1_,"axG",@progbits,_ZN7rocprim17ROCPRIM_400000_NS6detail17trampoline_kernelINS0_14default_configENS1_20scan_config_selectorIxEEZZNS1_9scan_implILNS1_25lookback_scan_determinismE0ELb0ELb1ES3_N6thrust23THRUST_200600_302600_NS6detail15normal_iteratorINS9_10device_ptrIxEEEESE_xNS9_10multipliesIxEExEEDaPvRmT3_T4_T5_mT6_P12ihipStream_tbENKUlT_T0_E_clISt17integral_constantIbLb1EEST_IbLb0EEEEDaSP_SQ_EUlSP_E_NS1_11comp_targetILNS1_3genE4ELNS1_11target_archE910ELNS1_3gpuE8ELNS1_3repE0EEENS1_30default_config_static_selectorELNS0_4arch9wavefront6targetE1EEEvT1_,comdat
	.protected	_ZN7rocprim17ROCPRIM_400000_NS6detail17trampoline_kernelINS0_14default_configENS1_20scan_config_selectorIxEEZZNS1_9scan_implILNS1_25lookback_scan_determinismE0ELb0ELb1ES3_N6thrust23THRUST_200600_302600_NS6detail15normal_iteratorINS9_10device_ptrIxEEEESE_xNS9_10multipliesIxEExEEDaPvRmT3_T4_T5_mT6_P12ihipStream_tbENKUlT_T0_E_clISt17integral_constantIbLb1EEST_IbLb0EEEEDaSP_SQ_EUlSP_E_NS1_11comp_targetILNS1_3genE4ELNS1_11target_archE910ELNS1_3gpuE8ELNS1_3repE0EEENS1_30default_config_static_selectorELNS0_4arch9wavefront6targetE1EEEvT1_ ; -- Begin function _ZN7rocprim17ROCPRIM_400000_NS6detail17trampoline_kernelINS0_14default_configENS1_20scan_config_selectorIxEEZZNS1_9scan_implILNS1_25lookback_scan_determinismE0ELb0ELb1ES3_N6thrust23THRUST_200600_302600_NS6detail15normal_iteratorINS9_10device_ptrIxEEEESE_xNS9_10multipliesIxEExEEDaPvRmT3_T4_T5_mT6_P12ihipStream_tbENKUlT_T0_E_clISt17integral_constantIbLb1EEST_IbLb0EEEEDaSP_SQ_EUlSP_E_NS1_11comp_targetILNS1_3genE4ELNS1_11target_archE910ELNS1_3gpuE8ELNS1_3repE0EEENS1_30default_config_static_selectorELNS0_4arch9wavefront6targetE1EEEvT1_
	.globl	_ZN7rocprim17ROCPRIM_400000_NS6detail17trampoline_kernelINS0_14default_configENS1_20scan_config_selectorIxEEZZNS1_9scan_implILNS1_25lookback_scan_determinismE0ELb0ELb1ES3_N6thrust23THRUST_200600_302600_NS6detail15normal_iteratorINS9_10device_ptrIxEEEESE_xNS9_10multipliesIxEExEEDaPvRmT3_T4_T5_mT6_P12ihipStream_tbENKUlT_T0_E_clISt17integral_constantIbLb1EEST_IbLb0EEEEDaSP_SQ_EUlSP_E_NS1_11comp_targetILNS1_3genE4ELNS1_11target_archE910ELNS1_3gpuE8ELNS1_3repE0EEENS1_30default_config_static_selectorELNS0_4arch9wavefront6targetE1EEEvT1_
	.p2align	8
	.type	_ZN7rocprim17ROCPRIM_400000_NS6detail17trampoline_kernelINS0_14default_configENS1_20scan_config_selectorIxEEZZNS1_9scan_implILNS1_25lookback_scan_determinismE0ELb0ELb1ES3_N6thrust23THRUST_200600_302600_NS6detail15normal_iteratorINS9_10device_ptrIxEEEESE_xNS9_10multipliesIxEExEEDaPvRmT3_T4_T5_mT6_P12ihipStream_tbENKUlT_T0_E_clISt17integral_constantIbLb1EEST_IbLb0EEEEDaSP_SQ_EUlSP_E_NS1_11comp_targetILNS1_3genE4ELNS1_11target_archE910ELNS1_3gpuE8ELNS1_3repE0EEENS1_30default_config_static_selectorELNS0_4arch9wavefront6targetE1EEEvT1_,@function
_ZN7rocprim17ROCPRIM_400000_NS6detail17trampoline_kernelINS0_14default_configENS1_20scan_config_selectorIxEEZZNS1_9scan_implILNS1_25lookback_scan_determinismE0ELb0ELb1ES3_N6thrust23THRUST_200600_302600_NS6detail15normal_iteratorINS9_10device_ptrIxEEEESE_xNS9_10multipliesIxEExEEDaPvRmT3_T4_T5_mT6_P12ihipStream_tbENKUlT_T0_E_clISt17integral_constantIbLb1EEST_IbLb0EEEEDaSP_SQ_EUlSP_E_NS1_11comp_targetILNS1_3genE4ELNS1_11target_archE910ELNS1_3gpuE8ELNS1_3repE0EEENS1_30default_config_static_selectorELNS0_4arch9wavefront6targetE1EEEvT1_: ; @_ZN7rocprim17ROCPRIM_400000_NS6detail17trampoline_kernelINS0_14default_configENS1_20scan_config_selectorIxEEZZNS1_9scan_implILNS1_25lookback_scan_determinismE0ELb0ELb1ES3_N6thrust23THRUST_200600_302600_NS6detail15normal_iteratorINS9_10device_ptrIxEEEESE_xNS9_10multipliesIxEExEEDaPvRmT3_T4_T5_mT6_P12ihipStream_tbENKUlT_T0_E_clISt17integral_constantIbLb1EEST_IbLb0EEEEDaSP_SQ_EUlSP_E_NS1_11comp_targetILNS1_3genE4ELNS1_11target_archE910ELNS1_3gpuE8ELNS1_3repE0EEENS1_30default_config_static_selectorELNS0_4arch9wavefront6targetE1EEEvT1_
; %bb.0:
	s_load_dwordx8 s[8:15], s[4:5], 0x0
	s_load_dword s1, s[4:5], 0x38
	s_mul_i32 s0, s6, 0x380
	v_lshlrev_b32_e32 v48, 3, v0
	s_waitcnt lgkmcnt(0)
	s_lshl_b64 s[16:17], s[10:11], 3
	s_add_u32 s2, s8, s16
	s_addc_u32 s3, s9, s17
	s_add_i32 s7, s1, -1
	s_mul_i32 s8, s7, 0x380
	s_sub_u32 s26, s14, s8
	s_subb_u32 s27, s15, 0
	s_mov_b32 s1, 0
	s_cmp_lg_u32 s6, s7
	s_cselect_b64 s[14:15], -1, 0
	s_lshl_b64 s[18:19], s[0:1], 3
	s_add_u32 s2, s2, s18
	s_addc_u32 s3, s3, s19
	s_mov_b64 s[0:1], -1
	s_and_b64 vcc, exec, s[14:15]
	s_cbranch_vccz .LBB308_2
; %bb.1:
	v_mov_b32_e32 v1, s3
	v_add_co_u32_e32 v2, vcc, s2, v48
	v_addc_co_u32_e32 v3, vcc, 0, v1, vcc
	flat_load_dwordx2 v[4:5], v[2:3]
	flat_load_dwordx2 v[6:7], v[2:3] offset:1024
	flat_load_dwordx2 v[8:9], v[2:3] offset:2048
	;; [unrolled: 1-line block ×3, first 2 shown]
	v_add_co_u32_e32 v2, vcc, 0x1000, v2
	v_addc_co_u32_e32 v3, vcc, 0, v3, vcc
	flat_load_dwordx2 v[12:13], v[2:3]
	flat_load_dwordx2 v[14:15], v[2:3] offset:1024
	flat_load_dwordx2 v[16:17], v[2:3] offset:2048
	s_mov_b64 s[0:1], 0
	s_waitcnt vmcnt(0) lgkmcnt(0)
	ds_write2st64_b64 v48, v[4:5], v[6:7] offset1:2
	ds_write2st64_b64 v48, v[8:9], v[10:11] offset0:4 offset1:6
	ds_write2st64_b64 v48, v[12:13], v[14:15] offset0:8 offset1:10
	ds_write_b64 v48, v[16:17] offset:6144
	s_waitcnt lgkmcnt(0)
	s_barrier
.LBB308_2:
	s_load_dwordx2 s[22:23], s[4:5], 0x20
	s_load_dwordx2 s[20:21], s[4:5], 0x30
	s_andn2_b64 vcc, exec, s[0:1]
	v_cmp_gt_u32_e64 s[0:1], s26, v0
	s_cbranch_vccnz .LBB308_18
; %bb.3:
	v_pk_mov_b32 v[2:3], s[2:3], s[2:3] op_sel:[0,1]
	flat_load_dwordx2 v[2:3], v[2:3]
	s_waitcnt vmcnt(0) lgkmcnt(0)
	v_mov_b32_e32 v4, v2
	v_mov_b32_e32 v5, v3
	v_mov_b32_e32 v6, v2
	v_mov_b32_e32 v7, v3
	v_mov_b32_e32 v8, v2
	v_mov_b32_e32 v9, v3
	v_mov_b32_e32 v10, v2
	v_mov_b32_e32 v11, v3
	v_mov_b32_e32 v12, v2
	v_mov_b32_e32 v13, v3
	v_pk_mov_b32 v[18:19], v[14:15], v[14:15] op_sel:[0,1]
	v_pk_mov_b32 v[16:17], v[12:13], v[12:13] op_sel:[0,1]
	;; [unrolled: 1-line block ×8, first 2 shown]
	s_and_saveexec_b64 s[8:9], s[0:1]
	s_cbranch_execz .LBB308_5
; %bb.4:
	v_mov_b32_e32 v1, s3
	v_add_co_u32_e32 v4, vcc, s2, v48
	v_addc_co_u32_e32 v5, vcc, 0, v1, vcc
	flat_load_dwordx2 v[20:21], v[4:5]
	v_mov_b32_e32 v4, v2
	v_mov_b32_e32 v5, v3
	;; [unrolled: 1-line block ×10, first 2 shown]
	v_pk_mov_b32 v[18:19], v[14:15], v[14:15] op_sel:[0,1]
	v_pk_mov_b32 v[16:17], v[12:13], v[12:13] op_sel:[0,1]
	;; [unrolled: 1-line block ×8, first 2 shown]
	s_waitcnt vmcnt(0) lgkmcnt(0)
	v_pk_mov_b32 v[2:3], v[20:21], v[20:21] op_sel:[0,1]
.LBB308_5:
	s_or_b64 exec, exec, s[8:9]
	v_or_b32_e32 v1, 0x80, v0
	v_cmp_gt_u32_e32 vcc, s26, v1
	s_and_saveexec_b64 s[0:1], vcc
	s_cbranch_execz .LBB308_7
; %bb.6:
	v_mov_b32_e32 v1, s3
	v_add_co_u32_e32 v4, vcc, s2, v48
	v_addc_co_u32_e32 v5, vcc, 0, v1, vcc
	flat_load_dwordx2 v[6:7], v[4:5] offset:1024
.LBB308_7:
	s_or_b64 exec, exec, s[0:1]
	v_or_b32_e32 v1, 0x100, v0
	v_cmp_gt_u32_e32 vcc, s26, v1
	s_and_saveexec_b64 s[0:1], vcc
	s_cbranch_execz .LBB308_9
; %bb.8:
	v_mov_b32_e32 v1, s3
	v_add_co_u32_e32 v4, vcc, s2, v48
	v_addc_co_u32_e32 v5, vcc, 0, v1, vcc
	flat_load_dwordx2 v[8:9], v[4:5] offset:2048
.LBB308_9:
	;; [unrolled: 11-line block ×3, first 2 shown]
	s_or_b64 exec, exec, s[0:1]
	v_or_b32_e32 v1, 0x200, v0
	v_cmp_gt_u32_e32 vcc, s26, v1
	s_and_saveexec_b64 s[0:1], vcc
	s_cbranch_execz .LBB308_13
; %bb.12:
	v_lshlrev_b32_e32 v1, 3, v1
	v_mov_b32_e32 v5, s3
	v_add_co_u32_e32 v4, vcc, s2, v1
	v_addc_co_u32_e32 v5, vcc, 0, v5, vcc
	flat_load_dwordx2 v[12:13], v[4:5]
.LBB308_13:
	s_or_b64 exec, exec, s[0:1]
	v_or_b32_e32 v1, 0x280, v0
	v_cmp_gt_u32_e32 vcc, s26, v1
	s_and_saveexec_b64 s[0:1], vcc
	s_cbranch_execz .LBB308_15
; %bb.14:
	v_lshlrev_b32_e32 v1, 3, v1
	v_mov_b32_e32 v5, s3
	v_add_co_u32_e32 v4, vcc, s2, v1
	v_addc_co_u32_e32 v5, vcc, 0, v5, vcc
	flat_load_dwordx2 v[14:15], v[4:5]
.LBB308_15:
	;; [unrolled: 12-line block ×3, first 2 shown]
	s_or_b64 exec, exec, s[0:1]
	s_waitcnt vmcnt(0) lgkmcnt(0)
	ds_write2st64_b64 v48, v[2:3], v[6:7] offset1:2
	ds_write2st64_b64 v48, v[8:9], v[10:11] offset0:4 offset1:6
	ds_write2st64_b64 v48, v[12:13], v[14:15] offset0:8 offset1:10
	ds_write_b64 v48, v[16:17] offset:6144
	s_waitcnt lgkmcnt(0)
	s_barrier
.LBB308_18:
	v_mul_u32_u24_e32 v49, 7, v0
	v_lshlrev_b32_e32 v1, 3, v49
	s_waitcnt lgkmcnt(0)
	ds_read2_b64 v[2:5], v1 offset1:1
	ds_read2_b64 v[10:13], v1 offset0:2 offset1:3
	ds_read2_b64 v[6:9], v1 offset0:4 offset1:5
	ds_read_b64 v[28:29], v1 offset:48
	s_cmp_lg_u32 s6, 0
	v_lshrrev_b32_e32 v1, 5, v0
	v_cmp_gt_u32_e32 vcc, 64, v0
	s_waitcnt lgkmcnt(0)
	s_barrier
	s_cbranch_scc0 .LBB308_83
; %bb.19:
	v_mul_lo_u32 v16, v5, v2
	v_mul_lo_u32 v17, v4, v3
	v_mad_u64_u32 v[14:15], s[0:1], v4, v2, 0
	v_add3_u32 v15, v15, v17, v16
	v_mul_lo_u32 v16, v15, v10
	v_mul_lo_u32 v17, v14, v11
	v_mad_u64_u32 v[14:15], s[0:1], v14, v10, 0
	v_add3_u32 v15, v15, v17, v16
	;; [unrolled: 4-line block ×6, first 2 shown]
	v_add_lshl_u32 v14, v1, v0, 3
	ds_write_b64 v14, v[18:19]
	s_waitcnt lgkmcnt(0)
	s_barrier
	s_and_saveexec_b64 s[2:3], vcc
	s_cbranch_execz .LBB308_33
; %bb.20:
	v_lshlrev_b32_e32 v14, 1, v0
	v_lshrrev_b32_e32 v15, 4, v0
	v_add_lshl_u32 v20, v15, v14, 3
	ds_read2_b64 v[14:17], v20 offset1:1
	s_waitcnt lgkmcnt(0)
	v_mul_lo_u32 v21, v17, v14
	v_mul_lo_u32 v22, v16, v15
	v_mad_u64_u32 v[16:17], s[0:1], v16, v14, 0
	v_add3_u32 v17, v17, v22, v21
	v_mbcnt_lo_u32_b32 v21, -1, 0
	v_mbcnt_hi_u32_b32 v21, -1, v21
	v_and_b32_e32 v22, 15, v21
	v_mov_b32_dpp v23, v16 row_shr:1 row_mask:0xf bank_mask:0xf
	v_mov_b32_dpp v24, v17 row_shr:1 row_mask:0xf bank_mask:0xf
	v_cmp_ne_u32_e64 s[0:1], 0, v22
	s_and_saveexec_b64 s[8:9], s[0:1]
; %bb.21:
	v_mul_lo_u32 v24, v24, v16
	v_mul_lo_u32 v25, v23, v17
	v_mad_u64_u32 v[16:17], s[0:1], v23, v16, 0
	v_add3_u32 v17, v17, v25, v24
; %bb.22:
	s_or_b64 exec, exec, s[8:9]
	v_mov_b32_dpp v23, v16 row_shr:2 row_mask:0xf bank_mask:0xf
	v_mov_b32_dpp v24, v17 row_shr:2 row_mask:0xf bank_mask:0xf
	v_cmp_lt_u32_e64 s[0:1], 1, v22
	s_and_saveexec_b64 s[8:9], s[0:1]
; %bb.23:
	v_mul_lo_u32 v24, v24, v16
	v_mul_lo_u32 v25, v23, v17
	v_mad_u64_u32 v[16:17], s[0:1], v23, v16, 0
	v_add3_u32 v17, v17, v25, v24
; %bb.24:
	s_or_b64 exec, exec, s[8:9]
	v_mov_b32_dpp v23, v16 row_shr:4 row_mask:0xf bank_mask:0xf
	v_mov_b32_dpp v24, v17 row_shr:4 row_mask:0xf bank_mask:0xf
	v_cmp_lt_u32_e64 s[0:1], 3, v22
	;; [unrolled: 11-line block ×3, first 2 shown]
	s_and_saveexec_b64 s[8:9], s[0:1]
; %bb.27:
	v_mul_lo_u32 v22, v24, v16
	v_mul_lo_u32 v24, v23, v17
	v_mad_u64_u32 v[16:17], s[0:1], v23, v16, 0
	v_add3_u32 v17, v17, v24, v22
; %bb.28:
	s_or_b64 exec, exec, s[8:9]
	v_and_b32_e32 v24, 16, v21
	v_mov_b32_dpp v22, v16 row_bcast:15 row_mask:0xf bank_mask:0xf
	v_mov_b32_dpp v23, v17 row_bcast:15 row_mask:0xf bank_mask:0xf
	v_cmp_ne_u32_e64 s[0:1], 0, v24
	s_and_saveexec_b64 s[8:9], s[0:1]
; %bb.29:
	v_mul_lo_u32 v23, v23, v16
	v_mul_lo_u32 v24, v22, v17
	v_mad_u64_u32 v[16:17], s[0:1], v22, v16, 0
	v_add3_u32 v17, v17, v24, v23
; %bb.30:
	s_or_b64 exec, exec, s[8:9]
	v_mov_b32_dpp v22, v16 row_bcast:31 row_mask:0xf bank_mask:0xf
	v_mov_b32_dpp v23, v17 row_bcast:31 row_mask:0xf bank_mask:0xf
	v_cmp_lt_u32_e64 s[0:1], 31, v21
	s_and_saveexec_b64 s[8:9], s[0:1]
; %bb.31:
	v_mul_lo_u32 v23, v23, v16
	v_mul_lo_u32 v24, v22, v17
	v_mad_u64_u32 v[16:17], s[0:1], v22, v16, 0
	v_add3_u32 v17, v17, v24, v23
; %bb.32:
	s_or_b64 exec, exec, s[8:9]
	v_add_u32_e32 v22, -1, v21
	v_and_b32_e32 v23, 64, v21
	v_cmp_lt_i32_e64 s[0:1], v22, v23
	v_cndmask_b32_e64 v21, v22, v21, s[0:1]
	v_lshlrev_b32_e32 v21, 2, v21
	ds_bpermute_b32 v17, v21, v17
	ds_bpermute_b32 v16, v21, v16
	; wave barrier
	s_waitcnt lgkmcnt(1)
	v_mul_lo_u32 v17, v17, v14
	s_waitcnt lgkmcnt(0)
	v_mul_lo_u32 v21, v16, v15
	v_mad_u64_u32 v[14:15], s[0:1], v16, v14, 0
	v_add3_u32 v15, v15, v21, v17
	v_cmp_eq_u32_e64 s[0:1], 0, v0
	v_cndmask_b32_e64 v15, v15, v19, s[0:1]
	v_cndmask_b32_e64 v14, v14, v18, s[0:1]
	ds_write_b64 v20, v[14:15]
	; wave barrier
	ds_read_b64 v[16:17], v20 offset:8
	s_waitcnt lgkmcnt(0)
	v_mul_lo_u32 v18, v16, v15
	v_mul_lo_u32 v17, v17, v14
	v_mad_u64_u32 v[14:15], s[0:1], v16, v14, 0
	v_add3_u32 v15, v15, v18, v17
	ds_write_b64 v20, v[14:15] offset:8
.LBB308_33:
	s_or_b64 exec, exec, s[2:3]
	v_mov_b32_e32 v22, 1
	v_cmp_eq_u32_e64 s[0:1], 0, v0
	v_cmp_ne_u32_e64 s[2:3], 0, v0
	v_mov_b32_e32 v23, 0
	s_waitcnt lgkmcnt(0)
	s_barrier
	s_and_saveexec_b64 s[8:9], s[2:3]
	s_cbranch_execz .LBB308_35
; %bb.34:
	v_add_u32_e32 v14, -1, v0
	v_lshrrev_b32_e32 v15, 5, v14
	v_add_lshl_u32 v14, v15, v14, 3
	ds_read_b64 v[22:23], v14
.LBB308_35:
	s_or_b64 exec, exec, s[8:9]
	s_and_saveexec_b64 s[8:9], vcc
	s_cbranch_execz .LBB308_82
; %bb.36:
	v_mov_b32_e32 v17, 0
	ds_read_b64 v[14:15], v17 offset:1040
	v_mbcnt_lo_u32_b32 v16, -1, 0
	v_mbcnt_hi_u32_b32 v25, -1, v16
	s_mov_b32 s25, 0
	v_cmp_eq_u32_e64 s[2:3], 0, v25
	s_and_saveexec_b64 s[10:11], s[2:3]
	s_cbranch_execz .LBB308_38
; %bb.37:
	s_add_i32 s24, s6, 64
	s_lshl_b64 s[24:25], s[24:25], 4
	s_add_u32 s24, s20, s24
	s_addc_u32 s25, s21, s25
	v_mov_b32_e32 v16, 1
	v_pk_mov_b32 v[18:19], s[24:25], s[24:25] op_sel:[0,1]
	s_waitcnt lgkmcnt(0)
	;;#ASMSTART
	global_store_dwordx4 v[18:19], v[14:17] off	
s_waitcnt vmcnt(0)
	;;#ASMEND
.LBB308_38:
	s_or_b64 exec, exec, s[10:11]
	v_xad_u32 v24, v25, -1, s6
	v_add_u32_e32 v16, 64, v24
	v_lshlrev_b64 v[18:19], 4, v[16:17]
	v_mov_b32_e32 v16, s21
	v_add_co_u32_e32 v26, vcc, s20, v18
	v_addc_co_u32_e32 v27, vcc, v16, v19, vcc
	;;#ASMSTART
	global_load_dwordx4 v[18:21], v[26:27] off glc	
s_waitcnt vmcnt(0)
	;;#ASMEND
	v_and_b32_e32 v16, 0xff, v19
	v_and_b32_e32 v21, 0xff00, v19
	v_or3_b32 v16, 0, v16, v21
	v_or3_b32 v18, v18, 0, 0
	v_and_b32_e32 v21, 0xff000000, v19
	v_and_b32_e32 v19, 0xff0000, v19
	v_or3_b32 v19, v16, v19, v21
	v_or3_b32 v18, v18, 0, 0
	v_cmp_eq_u16_sdwa s[24:25], v20, v17 src0_sel:BYTE_0 src1_sel:DWORD
	s_and_saveexec_b64 s[10:11], s[24:25]
	s_cbranch_execz .LBB308_44
; %bb.39:
	s_mov_b32 s7, 1
	s_mov_b64 s[24:25], 0
	v_mov_b32_e32 v16, 0
.LBB308_40:                             ; =>This Loop Header: Depth=1
                                        ;     Child Loop BB308_41 Depth 2
	s_max_u32 s28, s7, 1
.LBB308_41:                             ;   Parent Loop BB308_40 Depth=1
                                        ; =>  This Inner Loop Header: Depth=2
	s_add_i32 s28, s28, -1
	s_cmp_eq_u32 s28, 0
	s_sleep 1
	s_cbranch_scc0 .LBB308_41
; %bb.42:                               ;   in Loop: Header=BB308_40 Depth=1
	s_cmp_lt_u32 s7, 32
	s_cselect_b64 s[28:29], -1, 0
	s_cmp_lg_u64 s[28:29], 0
	s_addc_u32 s7, s7, 0
	;;#ASMSTART
	global_load_dwordx4 v[18:21], v[26:27] off glc	
s_waitcnt vmcnt(0)
	;;#ASMEND
	v_cmp_ne_u16_sdwa s[28:29], v20, v16 src0_sel:BYTE_0 src1_sel:DWORD
	s_or_b64 s[24:25], s[28:29], s[24:25]
	s_andn2_b64 exec, exec, s[24:25]
	s_cbranch_execnz .LBB308_40
; %bb.43:
	s_or_b64 exec, exec, s[24:25]
.LBB308_44:
	s_or_b64 exec, exec, s[10:11]
	v_and_b32_e32 v32, 63, v25
	v_mov_b32_e32 v16, 2
	v_cmp_ne_u32_e32 vcc, 63, v32
	v_cmp_eq_u16_sdwa s[10:11], v20, v16 src0_sel:BYTE_0 src1_sel:DWORD
	v_lshlrev_b64 v[16:17], v25, -1
	v_addc_co_u32_e32 v26, vcc, 0, v25, vcc
	v_and_b32_e32 v21, s11, v17
	v_lshlrev_b32_e32 v33, 2, v26
	v_or_b32_e32 v21, 0x80000000, v21
	ds_bpermute_b32 v26, v33, v18
	ds_bpermute_b32 v27, v33, v19
	v_and_b32_e32 v30, s10, v16
	v_ffbl_b32_e32 v21, v21
	v_add_u32_e32 v21, 32, v21
	v_ffbl_b32_e32 v30, v30
	v_min_u32_e32 v21, v30, v21
	v_cmp_lt_u32_e32 vcc, v32, v21
	s_and_saveexec_b64 s[10:11], vcc
	s_cbranch_execz .LBB308_46
; %bb.45:
	s_waitcnt lgkmcnt(0)
	v_mul_lo_u32 v27, v27, v18
	v_mul_lo_u32 v30, v26, v19
	v_mad_u64_u32 v[18:19], s[24:25], v26, v18, 0
	v_add3_u32 v19, v19, v30, v27
.LBB308_46:
	s_or_b64 exec, exec, s[10:11]
	v_cmp_gt_u32_e32 vcc, 62, v32
	s_waitcnt lgkmcnt(1)
	v_cndmask_b32_e64 v26, 0, 1, vcc
	v_lshlrev_b32_e32 v26, 1, v26
	v_add_lshl_u32 v34, v26, v25, 2
	ds_bpermute_b32 v26, v34, v18
	s_waitcnt lgkmcnt(1)
	ds_bpermute_b32 v27, v34, v19
	v_add_u32_e32 v35, 2, v32
	v_cmp_le_u32_e32 vcc, v35, v21
	s_and_saveexec_b64 s[10:11], vcc
	s_cbranch_execz .LBB308_48
; %bb.47:
	s_waitcnt lgkmcnt(0)
	v_mul_lo_u32 v27, v27, v18
	v_mul_lo_u32 v30, v26, v19
	v_mad_u64_u32 v[18:19], s[24:25], v26, v18, 0
	v_add3_u32 v19, v19, v30, v27
.LBB308_48:
	s_or_b64 exec, exec, s[10:11]
	v_cmp_gt_u32_e32 vcc, 60, v32
	s_waitcnt lgkmcnt(1)
	v_cndmask_b32_e64 v26, 0, 1, vcc
	v_lshlrev_b32_e32 v26, 2, v26
	v_add_lshl_u32 v36, v26, v25, 2
	ds_bpermute_b32 v26, v36, v18
	s_waitcnt lgkmcnt(1)
	ds_bpermute_b32 v27, v36, v19
	v_add_u32_e32 v37, 4, v32
	v_cmp_le_u32_e32 vcc, v37, v21
	s_and_saveexec_b64 s[10:11], vcc
	s_cbranch_execz .LBB308_50
; %bb.49:
	s_waitcnt lgkmcnt(0)
	v_mul_lo_u32 v27, v27, v18
	v_mul_lo_u32 v30, v26, v19
	v_mad_u64_u32 v[18:19], s[24:25], v26, v18, 0
	v_add3_u32 v19, v19, v30, v27
.LBB308_50:
	s_or_b64 exec, exec, s[10:11]
	v_cmp_gt_u32_e32 vcc, 56, v32
	s_waitcnt lgkmcnt(1)
	v_cndmask_b32_e64 v26, 0, 1, vcc
	v_lshlrev_b32_e32 v26, 3, v26
	v_add_lshl_u32 v38, v26, v25, 2
	ds_bpermute_b32 v26, v38, v18
	s_waitcnt lgkmcnt(1)
	ds_bpermute_b32 v27, v38, v19
	v_add_u32_e32 v39, 8, v32
	v_cmp_le_u32_e32 vcc, v39, v21
	s_and_saveexec_b64 s[10:11], vcc
	s_cbranch_execz .LBB308_52
; %bb.51:
	s_waitcnt lgkmcnt(0)
	v_mul_lo_u32 v27, v27, v18
	v_mul_lo_u32 v30, v26, v19
	v_mad_u64_u32 v[18:19], s[24:25], v26, v18, 0
	v_add3_u32 v19, v19, v30, v27
.LBB308_52:
	s_or_b64 exec, exec, s[10:11]
	v_cmp_gt_u32_e32 vcc, 48, v32
	s_waitcnt lgkmcnt(1)
	v_cndmask_b32_e64 v26, 0, 1, vcc
	v_lshlrev_b32_e32 v26, 4, v26
	v_add_lshl_u32 v40, v26, v25, 2
	ds_bpermute_b32 v26, v40, v18
	s_waitcnt lgkmcnt(1)
	ds_bpermute_b32 v27, v40, v19
	v_add_u32_e32 v41, 16, v32
	v_cmp_le_u32_e32 vcc, v41, v21
	s_and_saveexec_b64 s[10:11], vcc
	s_cbranch_execz .LBB308_54
; %bb.53:
	s_waitcnt lgkmcnt(0)
	v_mul_lo_u32 v27, v27, v18
	v_mul_lo_u32 v30, v26, v19
	v_mad_u64_u32 v[18:19], s[24:25], v26, v18, 0
	v_add3_u32 v19, v19, v30, v27
.LBB308_54:
	s_or_b64 exec, exec, s[10:11]
	v_cmp_gt_u32_e32 vcc, 32, v32
	s_waitcnt lgkmcnt(1)
	v_cndmask_b32_e64 v26, 0, 1, vcc
	v_lshlrev_b32_e32 v26, 5, v26
	v_add_lshl_u32 v42, v26, v25, 2
	ds_bpermute_b32 v25, v42, v18
	ds_bpermute_b32 v26, v42, v19
	v_add_u32_e32 v43, 32, v32
	v_cmp_le_u32_e32 vcc, v43, v21
	s_and_saveexec_b64 s[10:11], vcc
	s_cbranch_execz .LBB308_56
; %bb.55:
	s_waitcnt lgkmcnt(0)
	v_mul_lo_u32 v21, v26, v18
	v_mul_lo_u32 v26, v25, v19
	v_mad_u64_u32 v[18:19], s[24:25], v25, v18, 0
	v_add3_u32 v19, v19, v26, v21
.LBB308_56:
	s_or_b64 exec, exec, s[10:11]
	s_waitcnt lgkmcnt(1)
	v_mov_b32_e32 v25, 0
	v_mov_b32_e32 v44, 2
	s_branch .LBB308_58
.LBB308_57:                             ;   in Loop: Header=BB308_58 Depth=1
	s_or_b64 exec, exec, s[10:11]
	v_mul_lo_u32 v21, v19, v26
	s_waitcnt lgkmcnt(1)
	v_mul_lo_u32 v30, v18, v27
	v_mad_u64_u32 v[18:19], s[10:11], v18, v26, 0
	v_subrev_u32_e32 v24, 64, v24
	v_add3_u32 v19, v19, v30, v21
.LBB308_58:                             ; =>This Loop Header: Depth=1
                                        ;     Child Loop BB308_61 Depth 2
                                        ;       Child Loop BB308_62 Depth 3
	v_cmp_ne_u16_sdwa s[10:11], v20, v44 src0_sel:BYTE_0 src1_sel:DWORD
	v_cndmask_b32_e64 v20, 0, 1, s[10:11]
	;;#ASMSTART
	;;#ASMEND
	v_cmp_ne_u32_e32 vcc, 0, v20
	s_cmp_lg_u64 vcc, exec
	s_waitcnt lgkmcnt(0)
	v_pk_mov_b32 v[26:27], v[18:19], v[18:19] op_sel:[0,1]
	s_cbranch_scc1 .LBB308_77
; %bb.59:                               ;   in Loop: Header=BB308_58 Depth=1
	v_lshlrev_b64 v[18:19], 4, v[24:25]
	v_mov_b32_e32 v20, s21
	v_add_co_u32_e32 v30, vcc, s20, v18
	v_addc_co_u32_e32 v31, vcc, v20, v19, vcc
	;;#ASMSTART
	global_load_dwordx4 v[18:21], v[30:31] off glc	
s_waitcnt vmcnt(0)
	;;#ASMEND
	v_and_b32_e32 v21, 0xff, v19
	v_and_b32_e32 v45, 0xff00, v19
	v_or3_b32 v21, 0, v21, v45
	v_or3_b32 v18, v18, 0, 0
	v_and_b32_e32 v45, 0xff000000, v19
	v_and_b32_e32 v19, 0xff0000, v19
	v_or3_b32 v19, v21, v19, v45
	v_or3_b32 v18, v18, 0, 0
	v_cmp_eq_u16_sdwa s[24:25], v20, v25 src0_sel:BYTE_0 src1_sel:DWORD
	s_and_saveexec_b64 s[10:11], s[24:25]
	s_cbranch_execz .LBB308_65
; %bb.60:                               ;   in Loop: Header=BB308_58 Depth=1
	s_mov_b32 s7, 1
	s_mov_b64 s[24:25], 0
.LBB308_61:                             ;   Parent Loop BB308_58 Depth=1
                                        ; =>  This Loop Header: Depth=2
                                        ;       Child Loop BB308_62 Depth 3
	s_max_u32 s28, s7, 1
.LBB308_62:                             ;   Parent Loop BB308_58 Depth=1
                                        ;     Parent Loop BB308_61 Depth=2
                                        ; =>    This Inner Loop Header: Depth=3
	s_add_i32 s28, s28, -1
	s_cmp_eq_u32 s28, 0
	s_sleep 1
	s_cbranch_scc0 .LBB308_62
; %bb.63:                               ;   in Loop: Header=BB308_61 Depth=2
	s_cmp_lt_u32 s7, 32
	s_cselect_b64 s[28:29], -1, 0
	s_cmp_lg_u64 s[28:29], 0
	s_addc_u32 s7, s7, 0
	;;#ASMSTART
	global_load_dwordx4 v[18:21], v[30:31] off glc	
s_waitcnt vmcnt(0)
	;;#ASMEND
	v_cmp_ne_u16_sdwa s[28:29], v20, v25 src0_sel:BYTE_0 src1_sel:DWORD
	s_or_b64 s[24:25], s[28:29], s[24:25]
	s_andn2_b64 exec, exec, s[24:25]
	s_cbranch_execnz .LBB308_61
; %bb.64:                               ;   in Loop: Header=BB308_58 Depth=1
	s_or_b64 exec, exec, s[24:25]
.LBB308_65:                             ;   in Loop: Header=BB308_58 Depth=1
	s_or_b64 exec, exec, s[10:11]
	v_cmp_eq_u16_sdwa s[10:11], v20, v44 src0_sel:BYTE_0 src1_sel:DWORD
	v_and_b32_e32 v21, s11, v17
	v_or_b32_e32 v21, 0x80000000, v21
	ds_bpermute_b32 v30, v33, v18
	ds_bpermute_b32 v31, v33, v19
	v_and_b32_e32 v45, s10, v16
	v_ffbl_b32_e32 v21, v21
	v_add_u32_e32 v21, 32, v21
	v_ffbl_b32_e32 v45, v45
	v_min_u32_e32 v21, v45, v21
	v_cmp_lt_u32_e32 vcc, v32, v21
	s_and_saveexec_b64 s[10:11], vcc
	s_cbranch_execz .LBB308_67
; %bb.66:                               ;   in Loop: Header=BB308_58 Depth=1
	s_waitcnt lgkmcnt(0)
	v_mul_lo_u32 v31, v31, v18
	v_mul_lo_u32 v45, v30, v19
	v_mad_u64_u32 v[18:19], s[24:25], v30, v18, 0
	v_add3_u32 v19, v19, v45, v31
.LBB308_67:                             ;   in Loop: Header=BB308_58 Depth=1
	s_or_b64 exec, exec, s[10:11]
	s_waitcnt lgkmcnt(1)
	ds_bpermute_b32 v30, v34, v18
	s_waitcnt lgkmcnt(1)
	ds_bpermute_b32 v31, v34, v19
	v_cmp_le_u32_e32 vcc, v35, v21
	s_and_saveexec_b64 s[10:11], vcc
	s_cbranch_execz .LBB308_69
; %bb.68:                               ;   in Loop: Header=BB308_58 Depth=1
	s_waitcnt lgkmcnt(0)
	v_mul_lo_u32 v31, v31, v18
	v_mul_lo_u32 v45, v30, v19
	v_mad_u64_u32 v[18:19], s[24:25], v30, v18, 0
	v_add3_u32 v19, v19, v45, v31
.LBB308_69:                             ;   in Loop: Header=BB308_58 Depth=1
	s_or_b64 exec, exec, s[10:11]
	s_waitcnt lgkmcnt(1)
	ds_bpermute_b32 v30, v36, v18
	s_waitcnt lgkmcnt(1)
	ds_bpermute_b32 v31, v36, v19
	v_cmp_le_u32_e32 vcc, v37, v21
	;; [unrolled: 15-line block ×5, first 2 shown]
	s_and_saveexec_b64 s[10:11], vcc
	s_cbranch_execz .LBB308_57
; %bb.76:                               ;   in Loop: Header=BB308_58 Depth=1
	s_waitcnt lgkmcnt(0)
	v_mul_lo_u32 v21, v31, v18
	v_mul_lo_u32 v31, v30, v19
	v_mad_u64_u32 v[18:19], s[24:25], v30, v18, 0
	v_add3_u32 v19, v19, v31, v21
	s_branch .LBB308_57
.LBB308_77:                             ;   in Loop: Header=BB308_58 Depth=1
                                        ; implicit-def: $vgpr18_vgpr19
	s_cbranch_execz .LBB308_58
; %bb.78:
	s_and_saveexec_b64 s[10:11], s[2:3]
	s_cbranch_execz .LBB308_80
; %bb.79:
	v_mul_lo_u32 v16, v27, v14
	v_mul_lo_u32 v17, v26, v15
	v_mad_u64_u32 v[14:15], s[2:3], v26, v14, 0
	s_add_i32 s2, s6, 64
	s_mov_b32 s3, 0
	s_lshl_b64 s[2:3], s[2:3], 4
	s_add_u32 s2, s20, s2
	s_addc_u32 s3, s21, s3
	v_add3_u32 v15, v15, v17, v16
	v_mov_b32_e32 v16, 2
	v_mov_b32_e32 v17, 0
	v_pk_mov_b32 v[18:19], s[2:3], s[2:3] op_sel:[0,1]
	;;#ASMSTART
	global_store_dwordx4 v[18:19], v[14:17] off	
s_waitcnt vmcnt(0)
	;;#ASMEND
.LBB308_80:
	s_or_b64 exec, exec, s[10:11]
	s_and_b64 exec, exec, s[0:1]
	s_cbranch_execz .LBB308_82
; %bb.81:
	v_mov_b32_e32 v14, 0
	ds_write_b64 v14, v[26:27]
.LBB308_82:
	s_or_b64 exec, exec, s[8:9]
	v_mov_b32_e32 v14, 0
	s_waitcnt lgkmcnt(0)
	s_barrier
	ds_read_b64 v[14:15], v14
	v_mul_lo_u32 v18, v23, v2
	v_mul_lo_u32 v19, v22, v3
	v_mad_u64_u32 v[16:17], s[0:1], v22, v2, 0
	v_add3_u32 v17, v17, v19, v18
	s_waitcnt lgkmcnt(0)
	v_mul_lo_u32 v17, v17, v14
	v_mul_lo_u32 v18, v16, v15
	v_mad_u64_u32 v[14:15], s[0:1], v16, v14, 0
	v_add3_u32 v15, v15, v18, v17
	v_mul_lo_u32 v16, v15, v4
	v_mul_lo_u32 v17, v14, v5
	v_mad_u64_u32 v[42:43], s[0:1], v14, v4, 0
	v_add3_u32 v43, v43, v17, v16
	v_mul_lo_u32 v16, v43, v10
	v_mul_lo_u32 v17, v42, v11
	v_mad_u64_u32 v[18:19], s[0:1], v42, v10, 0
	v_add3_u32 v19, v19, v17, v16
	v_mul_lo_u32 v16, v19, v12
	v_mul_lo_u32 v17, v18, v13
	v_mad_u64_u32 v[44:45], s[0:1], v18, v12, 0
	v_add3_u32 v45, v45, v17, v16
	v_mul_lo_u32 v16, v45, v6
	v_mul_lo_u32 v17, v44, v7
	v_mad_u64_u32 v[22:23], s[0:1], v44, v6, 0
	v_add3_u32 v23, v23, v17, v16
	v_mul_lo_u32 v16, v23, v8
	v_mul_lo_u32 v17, v22, v9
	v_mad_u64_u32 v[46:47], s[0:1], v22, v8, 0
	v_add3_u32 v47, v47, v17, v16
	v_mul_lo_u32 v16, v47, v28
	v_mul_lo_u32 v17, v46, v29
	v_mad_u64_u32 v[26:27], s[0:1], v46, v28, 0
	v_add3_u32 v27, v27, v17, v16
	s_load_dwordx8 s[4:11], s[4:5], 0x40
	s_branch .LBB308_129
.LBB308_83:
                                        ; implicit-def: $vgpr26_vgpr27
                                        ; implicit-def: $vgpr46_vgpr47
                                        ; implicit-def: $vgpr44_vgpr45
                                        ; implicit-def: $vgpr42_vgpr43
                                        ; implicit-def: $vgpr22_vgpr23_vgpr24_vgpr25
                                        ; implicit-def: $vgpr18_vgpr19_vgpr20_vgpr21
                                        ; implicit-def: $vgpr14_vgpr15_vgpr16_vgpr17
	s_load_dwordx8 s[4:11], s[4:5], 0x40
	s_cbranch_execz .LBB308_129
; %bb.84:
	s_waitcnt lgkmcnt(0)
	s_cmp_lg_u64 s[8:9], 0
	s_cselect_b64 s[24:25], -1, 0
	s_cmp_eq_u64 s[8:9], 0
	v_cmp_eq_u32_e64 s[2:3], 0, v0
	s_cselect_b64 s[8:9], -1, 0
	v_cmp_ne_u32_e64 s[0:1], 0, v0
	s_and_b64 s[28:29], s[2:3], s[24:25]
	s_and_saveexec_b64 s[24:25], s[28:29]
	s_cbranch_execz .LBB308_86
; %bb.85:
	v_mov_b32_e32 v14, 0
	global_load_dwordx2 v[14:15], v14, s[4:5]
	s_waitcnt vmcnt(0)
	v_mul_lo_u32 v15, v15, v2
	v_mul_lo_u32 v16, v14, v3
	v_mad_u64_u32 v[2:3], s[4:5], v14, v2, 0
	v_add3_u32 v3, v3, v16, v15
.LBB308_86:
	s_or_b64 exec, exec, s[24:25]
	v_mul_lo_u32 v14, v5, v2
	v_mul_lo_u32 v15, v4, v3
	v_mad_u64_u32 v[30:31], s[4:5], v4, v2, 0
	v_add3_u32 v31, v31, v15, v14
	v_mul_lo_u32 v14, v31, v10
	v_mul_lo_u32 v15, v30, v11
	v_mad_u64_u32 v[32:33], s[4:5], v30, v10, 0
	v_add3_u32 v33, v33, v15, v14
	;; [unrolled: 4-line block ×6, first 2 shown]
	v_add_lshl_u32 v1, v1, v0, 3
	s_andn2_b64 vcc, exec, s[8:9]
	v_cmp_gt_u32_e64 s[4:5], 64, v0
	ds_write_b64 v1, v[40:41]
	s_waitcnt lgkmcnt(0)
	s_cbranch_vccnz .LBB308_106
; %bb.87:
	s_barrier
	s_and_saveexec_b64 s[8:9], s[4:5]
	s_cbranch_execz .LBB308_101
; %bb.88:
	v_lshlrev_b32_e32 v1, 1, v0
	v_lshrrev_b32_e32 v14, 4, v0
	v_add_lshl_u32 v1, v14, v1, 3
	ds_read2_b64 v[14:17], v1 offset1:1
	s_waitcnt lgkmcnt(0)
	v_mul_lo_u32 v18, v17, v14
	v_mul_lo_u32 v19, v16, v15
	v_mad_u64_u32 v[16:17], s[24:25], v16, v14, 0
	v_add3_u32 v17, v17, v19, v18
	v_mbcnt_lo_u32_b32 v18, -1, 0
	v_mbcnt_hi_u32_b32 v18, -1, v18
	v_and_b32_e32 v19, 15, v18
	v_mov_b32_dpp v20, v16 row_shr:1 row_mask:0xf bank_mask:0xf
	v_mov_b32_dpp v21, v17 row_shr:1 row_mask:0xf bank_mask:0xf
	v_cmp_ne_u32_e32 vcc, 0, v19
	s_and_saveexec_b64 s[24:25], vcc
; %bb.89:
	v_mul_lo_u32 v21, v21, v16
	v_mul_lo_u32 v22, v20, v17
	v_mad_u64_u32 v[16:17], s[28:29], v20, v16, 0
	v_add3_u32 v17, v17, v22, v21
; %bb.90:
	s_or_b64 exec, exec, s[24:25]
	v_mov_b32_dpp v20, v16 row_shr:2 row_mask:0xf bank_mask:0xf
	v_mov_b32_dpp v21, v17 row_shr:2 row_mask:0xf bank_mask:0xf
	v_cmp_lt_u32_e32 vcc, 1, v19
	s_and_saveexec_b64 s[24:25], vcc
; %bb.91:
	v_mul_lo_u32 v21, v21, v16
	v_mul_lo_u32 v22, v20, v17
	v_mad_u64_u32 v[16:17], s[28:29], v20, v16, 0
	v_add3_u32 v17, v17, v22, v21
; %bb.92:
	s_or_b64 exec, exec, s[24:25]
	v_mov_b32_dpp v20, v16 row_shr:4 row_mask:0xf bank_mask:0xf
	v_mov_b32_dpp v21, v17 row_shr:4 row_mask:0xf bank_mask:0xf
	v_cmp_lt_u32_e32 vcc, 3, v19
	;; [unrolled: 11-line block ×3, first 2 shown]
	s_and_saveexec_b64 s[24:25], vcc
; %bb.95:
	v_mul_lo_u32 v19, v21, v16
	v_mul_lo_u32 v21, v20, v17
	v_mad_u64_u32 v[16:17], s[28:29], v20, v16, 0
	v_add3_u32 v17, v17, v21, v19
; %bb.96:
	s_or_b64 exec, exec, s[24:25]
	v_and_b32_e32 v21, 16, v18
	v_mov_b32_dpp v19, v16 row_bcast:15 row_mask:0xf bank_mask:0xf
	v_mov_b32_dpp v20, v17 row_bcast:15 row_mask:0xf bank_mask:0xf
	v_cmp_ne_u32_e32 vcc, 0, v21
	s_and_saveexec_b64 s[24:25], vcc
; %bb.97:
	v_mul_lo_u32 v20, v20, v16
	v_mul_lo_u32 v21, v19, v17
	v_mad_u64_u32 v[16:17], s[28:29], v19, v16, 0
	v_add3_u32 v17, v17, v21, v20
; %bb.98:
	s_or_b64 exec, exec, s[24:25]
	v_mov_b32_dpp v19, v16 row_bcast:31 row_mask:0xf bank_mask:0xf
	v_mov_b32_dpp v20, v17 row_bcast:31 row_mask:0xf bank_mask:0xf
	v_cmp_lt_u32_e32 vcc, 31, v18
	s_and_saveexec_b64 s[24:25], vcc
; %bb.99:
	v_mul_lo_u32 v20, v20, v16
	v_mul_lo_u32 v21, v19, v17
	v_mad_u64_u32 v[16:17], s[28:29], v19, v16, 0
	v_add3_u32 v17, v17, v21, v20
; %bb.100:
	s_or_b64 exec, exec, s[24:25]
	v_add_u32_e32 v19, -1, v18
	v_and_b32_e32 v20, 64, v18
	v_cmp_lt_i32_e32 vcc, v19, v20
	v_cndmask_b32_e32 v18, v19, v18, vcc
	v_lshlrev_b32_e32 v18, 2, v18
	ds_bpermute_b32 v17, v18, v17
	ds_bpermute_b32 v16, v18, v16
	; wave barrier
	s_waitcnt lgkmcnt(1)
	v_mul_lo_u32 v17, v17, v14
	s_waitcnt lgkmcnt(0)
	v_mul_lo_u32 v18, v16, v15
	v_mad_u64_u32 v[14:15], s[24:25], v16, v14, 0
	v_add3_u32 v15, v15, v18, v17
	v_cndmask_b32_e64 v15, v15, v41, s[2:3]
	v_cndmask_b32_e64 v14, v14, v40, s[2:3]
	ds_write_b64 v1, v[14:15]
	; wave barrier
	ds_read_b64 v[16:17], v1 offset:8
	s_waitcnt lgkmcnt(0)
	v_mul_lo_u32 v18, v16, v15
	v_mul_lo_u32 v17, v17, v14
	v_mad_u64_u32 v[14:15], s[24:25], v16, v14, 0
	v_add3_u32 v15, v15, v18, v17
	ds_write_b64 v1, v[14:15] offset:8
.LBB308_101:
	s_or_b64 exec, exec, s[8:9]
	v_pk_mov_b32 v[26:27], v[40:41], v[40:41] op_sel:[0,1]
	s_waitcnt lgkmcnt(0)
	s_barrier
	s_and_saveexec_b64 s[8:9], s[0:1]
	s_cbranch_execz .LBB308_103
; %bb.102:
	v_add_u32_e32 v1, -1, v0
	v_lshrrev_b32_e32 v14, 5, v1
	v_add_lshl_u32 v1, v14, v1, 3
	ds_read_b64 v[26:27], v1
.LBB308_103:
	s_or_b64 exec, exec, s[8:9]
	v_pk_mov_b32 v[16:17], v[38:39], v[38:39] op_sel:[0,1]
	v_pk_mov_b32 v[20:21], v[36:37], v[36:37] op_sel:[0,1]
	;; [unrolled: 1-line block ×6, first 2 shown]
	s_and_saveexec_b64 s[8:9], s[0:1]
	s_cbranch_execz .LBB308_105
; %bb.104:
	s_waitcnt lgkmcnt(0)
	v_mul_lo_u32 v1, v27, v2
	v_mul_lo_u32 v16, v26, v3
	v_mad_u64_u32 v[14:15], s[24:25], v26, v2, 0
	v_add3_u32 v15, v15, v16, v1
	v_mul_lo_u32 v1, v15, v4
	v_mul_lo_u32 v16, v14, v5
	v_mad_u64_u32 v[24:25], s[24:25], v14, v4, 0
	v_add3_u32 v25, v25, v16, v1
	v_mul_lo_u32 v1, v25, v10
	v_mul_lo_u32 v16, v24, v11
	v_mad_u64_u32 v[18:19], s[24:25], v24, v10, 0
	v_add3_u32 v19, v19, v16, v1
	v_mul_lo_u32 v1, v19, v12
	v_mul_lo_u32 v16, v18, v13
	v_mad_u64_u32 v[22:23], s[24:25], v18, v12, 0
	v_add3_u32 v23, v23, v16, v1
	v_mul_lo_u32 v1, v23, v6
	v_mul_lo_u32 v16, v22, v7
	v_mad_u64_u32 v[20:21], s[24:25], v22, v6, 0
	v_add3_u32 v21, v21, v16, v1
	v_mul_lo_u32 v1, v21, v8
	v_mul_lo_u32 v26, v20, v9
	v_mad_u64_u32 v[16:17], s[24:25], v20, v8, 0
	v_add3_u32 v17, v17, v26, v1
	;;#ASMSTART
	;;#ASMEND
.LBB308_105:
	s_or_b64 exec, exec, s[8:9]
	v_mul_lo_u32 v1, v15, s22
	s_waitcnt lgkmcnt(0)
	v_mul_lo_u32 v26, v14, s23
	v_mad_u64_u32 v[14:15], s[8:9], v14, s22, 0
	v_add3_u32 v15, v15, v26, v1
	v_mul_lo_u32 v1, v25, s22
	v_mul_lo_u32 v25, v24, s23
	v_mad_u64_u32 v[42:43], s[8:9], v24, s22, 0
	v_add3_u32 v43, v43, v25, v1
	v_mul_lo_u32 v1, v19, s22
	;; [unrolled: 4-line block ×6, first 2 shown]
	v_mul_lo_u32 v16, v46, v29
	v_mad_u64_u32 v[26:27], s[8:9], v46, v28, 0
	v_add3_u32 v27, v27, v16, v1
	s_branch .LBB308_126
.LBB308_106:
                                        ; implicit-def: $vgpr26_vgpr27
                                        ; implicit-def: $vgpr46_vgpr47
                                        ; implicit-def: $vgpr44_vgpr45
                                        ; implicit-def: $vgpr42_vgpr43
                                        ; implicit-def: $vgpr22_vgpr23_vgpr24_vgpr25
                                        ; implicit-def: $vgpr18_vgpr19_vgpr20_vgpr21
                                        ; implicit-def: $vgpr14_vgpr15_vgpr16_vgpr17
	s_cbranch_execz .LBB308_126
; %bb.107:
	s_barrier
	s_and_saveexec_b64 s[8:9], s[4:5]
	s_cbranch_execz .LBB308_121
; %bb.108:
	v_lshlrev_b32_e32 v1, 1, v0
	v_lshrrev_b32_e32 v14, 4, v0
	v_add_lshl_u32 v1, v14, v1, 3
	ds_read2_b64 v[14:17], v1 offset1:1
	s_waitcnt lgkmcnt(0)
	v_mul_lo_u32 v18, v17, v14
	v_mul_lo_u32 v19, v16, v15
	v_mad_u64_u32 v[16:17], s[4:5], v16, v14, 0
	v_add3_u32 v17, v17, v19, v18
	v_mbcnt_lo_u32_b32 v18, -1, 0
	v_mbcnt_hi_u32_b32 v18, -1, v18
	v_and_b32_e32 v19, 15, v18
	v_mov_b32_dpp v20, v16 row_shr:1 row_mask:0xf bank_mask:0xf
	v_mov_b32_dpp v21, v17 row_shr:1 row_mask:0xf bank_mask:0xf
	v_cmp_ne_u32_e32 vcc, 0, v19
	s_and_saveexec_b64 s[4:5], vcc
; %bb.109:
	v_mul_lo_u32 v21, v21, v16
	v_mul_lo_u32 v22, v20, v17
	v_mad_u64_u32 v[16:17], s[22:23], v20, v16, 0
	v_add3_u32 v17, v17, v22, v21
; %bb.110:
	s_or_b64 exec, exec, s[4:5]
	v_mov_b32_dpp v20, v16 row_shr:2 row_mask:0xf bank_mask:0xf
	v_mov_b32_dpp v21, v17 row_shr:2 row_mask:0xf bank_mask:0xf
	v_cmp_lt_u32_e32 vcc, 1, v19
	s_and_saveexec_b64 s[4:5], vcc
; %bb.111:
	v_mul_lo_u32 v21, v21, v16
	v_mul_lo_u32 v22, v20, v17
	v_mad_u64_u32 v[16:17], s[22:23], v20, v16, 0
	v_add3_u32 v17, v17, v22, v21
; %bb.112:
	s_or_b64 exec, exec, s[4:5]
	v_mov_b32_dpp v20, v16 row_shr:4 row_mask:0xf bank_mask:0xf
	v_mov_b32_dpp v21, v17 row_shr:4 row_mask:0xf bank_mask:0xf
	v_cmp_lt_u32_e32 vcc, 3, v19
	;; [unrolled: 11-line block ×3, first 2 shown]
	s_and_saveexec_b64 s[4:5], vcc
; %bb.115:
	v_mul_lo_u32 v19, v21, v16
	v_mul_lo_u32 v21, v20, v17
	v_mad_u64_u32 v[16:17], s[22:23], v20, v16, 0
	v_add3_u32 v17, v17, v21, v19
; %bb.116:
	s_or_b64 exec, exec, s[4:5]
	v_and_b32_e32 v21, 16, v18
	v_mov_b32_dpp v19, v16 row_bcast:15 row_mask:0xf bank_mask:0xf
	v_mov_b32_dpp v20, v17 row_bcast:15 row_mask:0xf bank_mask:0xf
	v_cmp_ne_u32_e32 vcc, 0, v21
	s_and_saveexec_b64 s[4:5], vcc
; %bb.117:
	v_mul_lo_u32 v20, v20, v16
	v_mul_lo_u32 v21, v19, v17
	v_mad_u64_u32 v[16:17], s[22:23], v19, v16, 0
	v_add3_u32 v17, v17, v21, v20
; %bb.118:
	s_or_b64 exec, exec, s[4:5]
	v_mov_b32_dpp v19, v16 row_bcast:31 row_mask:0xf bank_mask:0xf
	v_mov_b32_dpp v20, v17 row_bcast:31 row_mask:0xf bank_mask:0xf
	v_cmp_lt_u32_e32 vcc, 31, v18
	s_and_saveexec_b64 s[4:5], vcc
; %bb.119:
	v_mul_lo_u32 v20, v20, v16
	v_mul_lo_u32 v21, v19, v17
	v_mad_u64_u32 v[16:17], s[22:23], v19, v16, 0
	v_add3_u32 v17, v17, v21, v20
; %bb.120:
	s_or_b64 exec, exec, s[4:5]
	v_add_u32_e32 v19, -1, v18
	v_and_b32_e32 v20, 64, v18
	v_cmp_lt_i32_e32 vcc, v19, v20
	v_cndmask_b32_e32 v18, v19, v18, vcc
	v_lshlrev_b32_e32 v18, 2, v18
	ds_bpermute_b32 v17, v18, v17
	ds_bpermute_b32 v16, v18, v16
	; wave barrier
	s_waitcnt lgkmcnt(1)
	v_mul_lo_u32 v17, v17, v14
	s_waitcnt lgkmcnt(0)
	v_mul_lo_u32 v18, v16, v15
	v_mad_u64_u32 v[14:15], s[4:5], v16, v14, 0
	v_add3_u32 v15, v15, v18, v17
	v_cndmask_b32_e64 v15, v15, v41, s[2:3]
	v_cndmask_b32_e64 v14, v14, v40, s[2:3]
	ds_write_b64 v1, v[14:15]
	; wave barrier
	ds_read_b64 v[16:17], v1 offset:8
	s_waitcnt lgkmcnt(0)
	v_mul_lo_u32 v18, v16, v15
	v_mul_lo_u32 v17, v17, v14
	v_mad_u64_u32 v[14:15], s[2:3], v16, v14, 0
	v_add3_u32 v15, v15, v18, v17
	ds_write_b64 v1, v[14:15] offset:8
.LBB308_121:
	s_or_b64 exec, exec, s[8:9]
	v_pk_mov_b32 v[14:15], v[40:41], v[40:41] op_sel:[0,1]
	s_waitcnt lgkmcnt(0)
	s_barrier
	s_and_saveexec_b64 s[2:3], s[0:1]
	s_cbranch_execz .LBB308_123
; %bb.122:
	v_add_u32_e32 v1, -1, v0
	v_lshrrev_b32_e32 v14, 5, v1
	v_add_lshl_u32 v1, v14, v1, 3
	ds_read_b64 v[14:15], v1
.LBB308_123:
	s_or_b64 exec, exec, s[2:3]
	s_and_saveexec_b64 s[2:3], s[0:1]
	s_cbranch_execz .LBB308_125
; %bb.124:
	s_waitcnt lgkmcnt(0)
	v_mul_lo_u32 v1, v15, v2
	v_mul_lo_u32 v15, v14, v3
	v_mad_u64_u32 v[2:3], s[0:1], v14, v2, 0
	v_add3_u32 v3, v3, v15, v1
	v_mul_lo_u32 v1, v3, v4
	v_mul_lo_u32 v5, v2, v5
	v_mad_u64_u32 v[30:31], s[0:1], v2, v4, 0
	v_add3_u32 v31, v31, v5, v1
	;; [unrolled: 4-line block ×7, first 2 shown]
	;;#ASMSTART
	;;#ASMEND
.LBB308_125:
	s_or_b64 exec, exec, s[2:3]
	v_pk_mov_b32 v[26:27], v[40:41], v[40:41] op_sel:[0,1]
	v_pk_mov_b32 v[46:47], v[38:39], v[38:39] op_sel:[0,1]
	;; [unrolled: 1-line block ×6, first 2 shown]
	s_waitcnt lgkmcnt(0)
	v_pk_mov_b32 v[14:15], v[2:3], v[2:3] op_sel:[0,1]
.LBB308_126:
	s_movk_i32 s0, 0x7f
	v_cmp_eq_u32_e32 vcc, s0, v0
	s_and_saveexec_b64 s[0:1], vcc
	s_cbranch_execz .LBB308_128
; %bb.127:
	s_add_u32 s2, s20, 0x400
	s_addc_u32 s3, s21, 0
	v_mov_b32_e32 v28, 2
	v_mov_b32_e32 v29, 0
	v_pk_mov_b32 v[2:3], s[2:3], s[2:3] op_sel:[0,1]
	;;#ASMSTART
	global_store_dwordx4 v[2:3], v[26:29] off	
s_waitcnt vmcnt(0)
	;;#ASMEND
.LBB308_128:
	s_or_b64 exec, exec, s[0:1]
.LBB308_129:
	s_add_u32 s0, s12, s16
	s_addc_u32 s1, s13, s17
	s_add_u32 s2, s0, s18
	s_addc_u32 s3, s1, s19
	s_mov_b64 s[0:1], -1
	s_and_b64 vcc, exec, s[14:15]
	v_mul_u32_u24_e32 v1, 56, v0
	s_waitcnt lgkmcnt(0)
	s_barrier
	s_cbranch_vccz .LBB308_131
; %bb.130:
	v_mul_i32_i24_e32 v2, 0xffffffd0, v0
	v_mad_u32_u24 v16, v0, 56, v2
	ds_write2_b64 v1, v[14:15], v[42:43] offset1:1
	ds_write2_b64 v1, v[18:19], v[44:45] offset0:2 offset1:3
	ds_write2_b64 v1, v[22:23], v[46:47] offset0:4 offset1:5
	ds_write_b64 v1, v[26:27] offset:48
	s_waitcnt lgkmcnt(0)
	s_barrier
	ds_read2st64_b64 v[2:5], v16 offset1:2
	ds_read2st64_b64 v[6:9], v16 offset0:4 offset1:6
	ds_read2st64_b64 v[10:13], v16 offset0:8 offset1:10
	ds_read_b64 v[16:17], v16 offset:6144
	v_mov_b32_e32 v21, s3
	v_add_co_u32_e32 v20, vcc, s2, v48
	v_addc_co_u32_e32 v21, vcc, 0, v21, vcc
	s_waitcnt lgkmcnt(3)
	flat_store_dwordx2 v[20:21], v[2:3]
	flat_store_dwordx2 v[20:21], v[4:5] offset:1024
	s_waitcnt lgkmcnt(0)
	flat_store_dwordx2 v[20:21], v[6:7] offset:2048
	flat_store_dwordx2 v[20:21], v[8:9] offset:3072
	v_add_co_u32_e32 v2, vcc, 0x1000, v20
	v_addc_co_u32_e32 v3, vcc, 0, v21, vcc
	flat_store_dwordx2 v[2:3], v[10:11]
	flat_store_dwordx2 v[2:3], v[12:13] offset:1024
	flat_store_dwordx2 v[2:3], v[16:17] offset:2048
	s_mov_b64 s[0:1], 0
.LBB308_131:
	s_andn2_b64 vcc, exec, s[0:1]
	s_cbranch_vccnz .LBB308_170
; %bb.132:
	v_mul_i32_i24_e32 v2, 0xffffffd0, v0
	ds_write2_b64 v1, v[14:15], v[42:43] offset1:1
	ds_write2_b64 v1, v[18:19], v[44:45] offset0:2 offset1:3
	ds_write2_b64 v1, v[22:23], v[46:47] offset0:4 offset1:5
	ds_write_b64 v1, v[26:27] offset:48
	v_mad_u32_u24 v14, v0, 56, v2
	s_waitcnt lgkmcnt(0)
	s_barrier
	ds_read2st64_b64 v[2:5], v14 offset1:2
	ds_read2st64_b64 v[6:9], v14 offset0:4 offset1:6
	ds_read2st64_b64 v[10:13], v14 offset0:8 offset1:10
	ds_read_b64 v[14:15], v14 offset:6144
	v_mov_b32_e32 v17, s3
	v_add_co_u32_e32 v16, vcc, s2, v48
	v_addc_co_u32_e32 v17, vcc, 0, v17, vcc
	v_mov_b32_e32 v1, 0
	v_cmp_gt_u32_e32 vcc, s26, v0
	s_and_saveexec_b64 s[0:1], vcc
	s_cbranch_execz .LBB308_134
; %bb.133:
	s_waitcnt lgkmcnt(0)
	flat_store_dwordx2 v[16:17], v[2:3]
.LBB308_134:
	s_or_b64 exec, exec, s[0:1]
	v_or_b32_e32 v18, 0x80, v0
	v_cmp_gt_u32_e32 vcc, s26, v18
	s_and_saveexec_b64 s[0:1], vcc
	s_cbranch_execz .LBB308_136
; %bb.135:
	s_waitcnt lgkmcnt(0)
	flat_store_dwordx2 v[16:17], v[4:5] offset:1024
.LBB308_136:
	s_or_b64 exec, exec, s[0:1]
	v_or_b32_e32 v18, 0x100, v0
	v_cmp_gt_u32_e32 vcc, s26, v18
	s_and_saveexec_b64 s[0:1], vcc
	s_cbranch_execz .LBB308_138
; %bb.137:
	s_waitcnt lgkmcnt(0)
	flat_store_dwordx2 v[16:17], v[6:7] offset:2048
.LBB308_138:
	;; [unrolled: 9-line block ×3, first 2 shown]
	s_or_b64 exec, exec, s[0:1]
	v_or_b32_e32 v18, 0x200, v0
	v_cmp_gt_u32_e32 vcc, s26, v18
	s_and_saveexec_b64 s[0:1], vcc
	s_cbranch_execz .LBB308_142
; %bb.141:
	v_add_co_u32_e32 v18, vcc, 0x1000, v16
	v_addc_co_u32_e32 v19, vcc, 0, v17, vcc
	s_waitcnt lgkmcnt(0)
	flat_store_dwordx2 v[18:19], v[10:11]
.LBB308_142:
	s_or_b64 exec, exec, s[0:1]
	v_or_b32_e32 v18, 0x280, v0
	v_cmp_gt_u32_e32 vcc, s26, v18
	s_and_saveexec_b64 s[0:1], vcc
	s_cbranch_execz .LBB308_144
; %bb.143:
	v_add_co_u32_e32 v18, vcc, 0x1000, v16
	v_addc_co_u32_e32 v19, vcc, 0, v17, vcc
	s_waitcnt lgkmcnt(0)
	flat_store_dwordx2 v[18:19], v[12:13] offset:1024
.LBB308_144:
	s_or_b64 exec, exec, s[0:1]
	v_or_b32_e32 v18, 0x300, v0
	v_cmp_gt_u32_e32 vcc, s26, v18
	s_and_saveexec_b64 s[0:1], vcc
	s_cbranch_execz .LBB308_146
; %bb.145:
	v_add_co_u32_e32 v16, vcc, 0x1000, v16
	v_addc_co_u32_e32 v17, vcc, 0, v17, vcc
	s_waitcnt lgkmcnt(0)
	flat_store_dwordx2 v[16:17], v[14:15] offset:2048
.LBB308_146:
	s_or_b64 exec, exec, s[0:1]
	v_cmp_lt_u64_e64 s[0:1], s[10:11], 2
	s_and_b64 vcc, exec, s[0:1]
	s_cbranch_vccnz .LBB308_170
; %bb.147:
	s_add_u32 s0, s26, -1
	s_addc_u32 s1, s27, -1
	s_add_u32 s2, 0, 0x92481000
	s_addc_u32 s3, 0, 0x64
	s_add_i32 s3, s3, 0x249248c0
	s_mul_hi_u32 s9, s2, -7
	s_sub_i32 s9, s9, s2
	s_mul_i32 s10, s3, -7
	s_mul_i32 s4, s2, -7
	s_add_i32 s9, s9, s10
	s_mul_hi_u32 s5, s3, s4
	s_mul_i32 s8, s3, s4
	s_mul_i32 s11, s2, s9
	s_mul_hi_u32 s4, s2, s4
	s_mul_hi_u32 s10, s2, s9
	s_add_u32 s4, s4, s11
	s_addc_u32 s10, 0, s10
	s_add_u32 s4, s4, s8
	s_mul_hi_u32 s11, s3, s9
	s_addc_u32 s4, s10, s5
	s_addc_u32 s5, s11, 0
	s_mul_i32 s8, s3, s9
	s_add_u32 s4, s4, s8
	v_mov_b32_e32 v16, s4
	s_addc_u32 s5, 0, s5
	v_add_co_u32_e32 v16, vcc, s2, v16
	s_cmp_lg_u64 vcc, 0
	s_addc_u32 s2, s3, s5
	v_readfirstlane_b32 s5, v16
	s_mul_i32 s4, s0, s2
	s_mul_hi_u32 s8, s0, s5
	s_mul_hi_u32 s3, s0, s2
	s_add_u32 s4, s8, s4
	s_addc_u32 s3, 0, s3
	s_mul_hi_u32 s9, s1, s5
	s_mul_i32 s5, s1, s5
	s_add_u32 s4, s4, s5
	s_mul_hi_u32 s8, s1, s2
	s_addc_u32 s3, s3, s9
	s_addc_u32 s4, s8, 0
	s_mul_i32 s2, s1, s2
	s_add_u32 s2, s3, s2
	s_addc_u32 s3, 0, s4
	s_add_u32 s4, s2, 1
	s_addc_u32 s5, s3, 0
	s_add_u32 s8, s2, 2
	s_mul_i32 s10, s3, 7
	s_mul_hi_u32 s11, s2, 7
	s_addc_u32 s9, s3, 0
	s_add_i32 s11, s11, s10
	s_mul_i32 s10, s2, 7
	v_mov_b32_e32 v16, s10
	v_sub_co_u32_e32 v16, vcc, s0, v16
	s_cmp_lg_u64 vcc, 0
	s_subb_u32 s10, s1, s11
	v_subrev_co_u32_e32 v17, vcc, 7, v16
	s_cmp_lg_u64 vcc, 0
	s_subb_u32 s11, s10, 0
	v_readfirstlane_b32 s12, v17
	s_cmp_gt_u32 s12, 6
	s_cselect_b32 s12, -1, 0
	s_cmp_eq_u32 s11, 0
	s_cselect_b32 s11, s12, -1
	s_cmp_lg_u32 s11, 0
	s_cselect_b32 s4, s8, s4
	v_readfirstlane_b32 s8, v16
	s_cselect_b32 s5, s9, s5
	s_cmp_gt_u32 s8, 6
	s_cselect_b32 s8, -1, 0
	s_cmp_eq_u32 s10, 0
	s_cselect_b32 s8, s8, -1
	s_cmp_lg_u32 s8, 0
	s_cselect_b32 s3, s5, s3
	s_cselect_b32 s2, s4, s2
	v_cmp_eq_u64_e32 vcc, s[2:3], v[0:1]
	s_and_saveexec_b64 s[2:3], vcc
	s_cbranch_execz .LBB308_170
; %bb.148:
	v_mul_hi_u32_u24_e32 v1, 7, v0
	v_mov_b32_e32 v16, s1
	v_sub_co_u32_e32 v0, vcc, s0, v49
	v_subb_co_u32_e32 v1, vcc, v16, v1, vcc
	v_cmp_lt_i64_e32 vcc, 3, v[0:1]
	s_and_saveexec_b64 s[0:1], vcc
	s_xor_b64 s[0:1], exec, s[0:1]
	s_cbranch_execz .LBB308_158
; %bb.149:
	v_cmp_lt_i64_e32 vcc, 4, v[0:1]
	s_and_saveexec_b64 s[2:3], vcc
	s_xor_b64 s[2:3], exec, s[2:3]
	s_cbranch_execz .LBB308_155
; %bb.150:
	;; [unrolled: 5-line block ×3, first 2 shown]
	v_mov_b32_e32 v0, 0
	s_waitcnt lgkmcnt(0)
	global_store_dwordx2 v0, v[14:15], s[6:7]
                                        ; implicit-def: $vgpr10_vgpr11_vgpr12_vgpr13
.LBB308_152:
	s_andn2_saveexec_b64 s[4:5], s[4:5]
	s_cbranch_execz .LBB308_154
; %bb.153:
	v_mov_b32_e32 v0, 0
	s_waitcnt lgkmcnt(0)
	global_store_dwordx2 v0, v[12:13], s[6:7]
.LBB308_154:
	s_or_b64 exec, exec, s[4:5]
                                        ; implicit-def: $vgpr10_vgpr11_vgpr12_vgpr13
.LBB308_155:
	s_andn2_saveexec_b64 s[2:3], s[2:3]
	s_cbranch_execz .LBB308_157
; %bb.156:
	v_mov_b32_e32 v0, 0
	s_waitcnt lgkmcnt(0)
	global_store_dwordx2 v0, v[10:11], s[6:7]
.LBB308_157:
	s_or_b64 exec, exec, s[2:3]
                                        ; implicit-def: $vgpr0_vgpr1
                                        ; implicit-def: $vgpr2_vgpr3_vgpr4_vgpr5
                                        ; implicit-def: $vgpr6_vgpr7_vgpr8_vgpr9
.LBB308_158:
	s_andn2_saveexec_b64 s[0:1], s[0:1]
	s_cbranch_execz .LBB308_170
; %bb.159:
	v_cmp_lt_i64_e32 vcc, 1, v[0:1]
	s_and_saveexec_b64 s[0:1], vcc
	s_xor_b64 s[0:1], exec, s[0:1]
	s_cbranch_execz .LBB308_165
; %bb.160:
	v_cmp_lt_i64_e32 vcc, 2, v[0:1]
	s_and_saveexec_b64 s[2:3], vcc
	s_xor_b64 s[2:3], exec, s[2:3]
	s_cbranch_execz .LBB308_162
; %bb.161:
	v_mov_b32_e32 v0, 0
	s_waitcnt lgkmcnt(0)
	global_store_dwordx2 v0, v[8:9], s[6:7]
                                        ; implicit-def: $vgpr6_vgpr7_vgpr8_vgpr9
.LBB308_162:
	s_andn2_saveexec_b64 s[2:3], s[2:3]
	s_cbranch_execz .LBB308_164
; %bb.163:
	v_mov_b32_e32 v0, 0
	s_waitcnt lgkmcnt(0)
	global_store_dwordx2 v0, v[6:7], s[6:7]
.LBB308_164:
	s_or_b64 exec, exec, s[2:3]
                                        ; implicit-def: $vgpr2_vgpr3_vgpr4_vgpr5
                                        ; implicit-def: $vgpr0_vgpr1
.LBB308_165:
	s_andn2_saveexec_b64 s[0:1], s[0:1]
	s_cbranch_execz .LBB308_170
; %bb.166:
	v_cmp_ne_u64_e32 vcc, 1, v[0:1]
	s_and_saveexec_b64 s[0:1], vcc
	s_xor_b64 s[0:1], exec, s[0:1]
	s_cbranch_execz .LBB308_168
; %bb.167:
	v_mov_b32_e32 v0, 0
	s_waitcnt lgkmcnt(0)
	global_store_dwordx2 v0, v[2:3], s[6:7]
                                        ; implicit-def: $vgpr2_vgpr3_vgpr4_vgpr5
.LBB308_168:
	s_andn2_saveexec_b64 s[0:1], s[0:1]
	s_cbranch_execz .LBB308_170
; %bb.169:
	v_mov_b32_e32 v0, 0
	s_waitcnt lgkmcnt(0)
	global_store_dwordx2 v0, v[4:5], s[6:7]
.LBB308_170:
	s_endpgm
	.section	.rodata,"a",@progbits
	.p2align	6, 0x0
	.amdhsa_kernel _ZN7rocprim17ROCPRIM_400000_NS6detail17trampoline_kernelINS0_14default_configENS1_20scan_config_selectorIxEEZZNS1_9scan_implILNS1_25lookback_scan_determinismE0ELb0ELb1ES3_N6thrust23THRUST_200600_302600_NS6detail15normal_iteratorINS9_10device_ptrIxEEEESE_xNS9_10multipliesIxEExEEDaPvRmT3_T4_T5_mT6_P12ihipStream_tbENKUlT_T0_E_clISt17integral_constantIbLb1EEST_IbLb0EEEEDaSP_SQ_EUlSP_E_NS1_11comp_targetILNS1_3genE4ELNS1_11target_archE910ELNS1_3gpuE8ELNS1_3repE0EEENS1_30default_config_static_selectorELNS0_4arch9wavefront6targetE1EEEvT1_
		.amdhsa_group_segment_fixed_size 7168
		.amdhsa_private_segment_fixed_size 0
		.amdhsa_kernarg_size 104
		.amdhsa_user_sgpr_count 6
		.amdhsa_user_sgpr_private_segment_buffer 1
		.amdhsa_user_sgpr_dispatch_ptr 0
		.amdhsa_user_sgpr_queue_ptr 0
		.amdhsa_user_sgpr_kernarg_segment_ptr 1
		.amdhsa_user_sgpr_dispatch_id 0
		.amdhsa_user_sgpr_flat_scratch_init 0
		.amdhsa_user_sgpr_kernarg_preload_length 0
		.amdhsa_user_sgpr_kernarg_preload_offset 0
		.amdhsa_user_sgpr_private_segment_size 0
		.amdhsa_uses_dynamic_stack 0
		.amdhsa_system_sgpr_private_segment_wavefront_offset 0
		.amdhsa_system_sgpr_workgroup_id_x 1
		.amdhsa_system_sgpr_workgroup_id_y 0
		.amdhsa_system_sgpr_workgroup_id_z 0
		.amdhsa_system_sgpr_workgroup_info 0
		.amdhsa_system_vgpr_workitem_id 0
		.amdhsa_next_free_vgpr 50
		.amdhsa_next_free_sgpr 30
		.amdhsa_accum_offset 52
		.amdhsa_reserve_vcc 1
		.amdhsa_reserve_flat_scratch 0
		.amdhsa_float_round_mode_32 0
		.amdhsa_float_round_mode_16_64 0
		.amdhsa_float_denorm_mode_32 3
		.amdhsa_float_denorm_mode_16_64 3
		.amdhsa_dx10_clamp 1
		.amdhsa_ieee_mode 1
		.amdhsa_fp16_overflow 0
		.amdhsa_tg_split 0
		.amdhsa_exception_fp_ieee_invalid_op 0
		.amdhsa_exception_fp_denorm_src 0
		.amdhsa_exception_fp_ieee_div_zero 0
		.amdhsa_exception_fp_ieee_overflow 0
		.amdhsa_exception_fp_ieee_underflow 0
		.amdhsa_exception_fp_ieee_inexact 0
		.amdhsa_exception_int_div_zero 0
	.end_amdhsa_kernel
	.section	.text._ZN7rocprim17ROCPRIM_400000_NS6detail17trampoline_kernelINS0_14default_configENS1_20scan_config_selectorIxEEZZNS1_9scan_implILNS1_25lookback_scan_determinismE0ELb0ELb1ES3_N6thrust23THRUST_200600_302600_NS6detail15normal_iteratorINS9_10device_ptrIxEEEESE_xNS9_10multipliesIxEExEEDaPvRmT3_T4_T5_mT6_P12ihipStream_tbENKUlT_T0_E_clISt17integral_constantIbLb1EEST_IbLb0EEEEDaSP_SQ_EUlSP_E_NS1_11comp_targetILNS1_3genE4ELNS1_11target_archE910ELNS1_3gpuE8ELNS1_3repE0EEENS1_30default_config_static_selectorELNS0_4arch9wavefront6targetE1EEEvT1_,"axG",@progbits,_ZN7rocprim17ROCPRIM_400000_NS6detail17trampoline_kernelINS0_14default_configENS1_20scan_config_selectorIxEEZZNS1_9scan_implILNS1_25lookback_scan_determinismE0ELb0ELb1ES3_N6thrust23THRUST_200600_302600_NS6detail15normal_iteratorINS9_10device_ptrIxEEEESE_xNS9_10multipliesIxEExEEDaPvRmT3_T4_T5_mT6_P12ihipStream_tbENKUlT_T0_E_clISt17integral_constantIbLb1EEST_IbLb0EEEEDaSP_SQ_EUlSP_E_NS1_11comp_targetILNS1_3genE4ELNS1_11target_archE910ELNS1_3gpuE8ELNS1_3repE0EEENS1_30default_config_static_selectorELNS0_4arch9wavefront6targetE1EEEvT1_,comdat
.Lfunc_end308:
	.size	_ZN7rocprim17ROCPRIM_400000_NS6detail17trampoline_kernelINS0_14default_configENS1_20scan_config_selectorIxEEZZNS1_9scan_implILNS1_25lookback_scan_determinismE0ELb0ELb1ES3_N6thrust23THRUST_200600_302600_NS6detail15normal_iteratorINS9_10device_ptrIxEEEESE_xNS9_10multipliesIxEExEEDaPvRmT3_T4_T5_mT6_P12ihipStream_tbENKUlT_T0_E_clISt17integral_constantIbLb1EEST_IbLb0EEEEDaSP_SQ_EUlSP_E_NS1_11comp_targetILNS1_3genE4ELNS1_11target_archE910ELNS1_3gpuE8ELNS1_3repE0EEENS1_30default_config_static_selectorELNS0_4arch9wavefront6targetE1EEEvT1_, .Lfunc_end308-_ZN7rocprim17ROCPRIM_400000_NS6detail17trampoline_kernelINS0_14default_configENS1_20scan_config_selectorIxEEZZNS1_9scan_implILNS1_25lookback_scan_determinismE0ELb0ELb1ES3_N6thrust23THRUST_200600_302600_NS6detail15normal_iteratorINS9_10device_ptrIxEEEESE_xNS9_10multipliesIxEExEEDaPvRmT3_T4_T5_mT6_P12ihipStream_tbENKUlT_T0_E_clISt17integral_constantIbLb1EEST_IbLb0EEEEDaSP_SQ_EUlSP_E_NS1_11comp_targetILNS1_3genE4ELNS1_11target_archE910ELNS1_3gpuE8ELNS1_3repE0EEENS1_30default_config_static_selectorELNS0_4arch9wavefront6targetE1EEEvT1_
                                        ; -- End function
	.section	.AMDGPU.csdata,"",@progbits
; Kernel info:
; codeLenInByte = 7800
; NumSgprs: 34
; NumVgprs: 50
; NumAgprs: 0
; TotalNumVgprs: 50
; ScratchSize: 0
; MemoryBound: 0
; FloatMode: 240
; IeeeMode: 1
; LDSByteSize: 7168 bytes/workgroup (compile time only)
; SGPRBlocks: 4
; VGPRBlocks: 6
; NumSGPRsForWavesPerEU: 34
; NumVGPRsForWavesPerEU: 50
; AccumOffset: 52
; Occupancy: 5
; WaveLimiterHint : 1
; COMPUTE_PGM_RSRC2:SCRATCH_EN: 0
; COMPUTE_PGM_RSRC2:USER_SGPR: 6
; COMPUTE_PGM_RSRC2:TRAP_HANDLER: 0
; COMPUTE_PGM_RSRC2:TGID_X_EN: 1
; COMPUTE_PGM_RSRC2:TGID_Y_EN: 0
; COMPUTE_PGM_RSRC2:TGID_Z_EN: 0
; COMPUTE_PGM_RSRC2:TIDIG_COMP_CNT: 0
; COMPUTE_PGM_RSRC3_GFX90A:ACCUM_OFFSET: 12
; COMPUTE_PGM_RSRC3_GFX90A:TG_SPLIT: 0
	.section	.text._ZN7rocprim17ROCPRIM_400000_NS6detail17trampoline_kernelINS0_14default_configENS1_20scan_config_selectorIxEEZZNS1_9scan_implILNS1_25lookback_scan_determinismE0ELb0ELb1ES3_N6thrust23THRUST_200600_302600_NS6detail15normal_iteratorINS9_10device_ptrIxEEEESE_xNS9_10multipliesIxEExEEDaPvRmT3_T4_T5_mT6_P12ihipStream_tbENKUlT_T0_E_clISt17integral_constantIbLb1EEST_IbLb0EEEEDaSP_SQ_EUlSP_E_NS1_11comp_targetILNS1_3genE3ELNS1_11target_archE908ELNS1_3gpuE7ELNS1_3repE0EEENS1_30default_config_static_selectorELNS0_4arch9wavefront6targetE1EEEvT1_,"axG",@progbits,_ZN7rocprim17ROCPRIM_400000_NS6detail17trampoline_kernelINS0_14default_configENS1_20scan_config_selectorIxEEZZNS1_9scan_implILNS1_25lookback_scan_determinismE0ELb0ELb1ES3_N6thrust23THRUST_200600_302600_NS6detail15normal_iteratorINS9_10device_ptrIxEEEESE_xNS9_10multipliesIxEExEEDaPvRmT3_T4_T5_mT6_P12ihipStream_tbENKUlT_T0_E_clISt17integral_constantIbLb1EEST_IbLb0EEEEDaSP_SQ_EUlSP_E_NS1_11comp_targetILNS1_3genE3ELNS1_11target_archE908ELNS1_3gpuE7ELNS1_3repE0EEENS1_30default_config_static_selectorELNS0_4arch9wavefront6targetE1EEEvT1_,comdat
	.protected	_ZN7rocprim17ROCPRIM_400000_NS6detail17trampoline_kernelINS0_14default_configENS1_20scan_config_selectorIxEEZZNS1_9scan_implILNS1_25lookback_scan_determinismE0ELb0ELb1ES3_N6thrust23THRUST_200600_302600_NS6detail15normal_iteratorINS9_10device_ptrIxEEEESE_xNS9_10multipliesIxEExEEDaPvRmT3_T4_T5_mT6_P12ihipStream_tbENKUlT_T0_E_clISt17integral_constantIbLb1EEST_IbLb0EEEEDaSP_SQ_EUlSP_E_NS1_11comp_targetILNS1_3genE3ELNS1_11target_archE908ELNS1_3gpuE7ELNS1_3repE0EEENS1_30default_config_static_selectorELNS0_4arch9wavefront6targetE1EEEvT1_ ; -- Begin function _ZN7rocprim17ROCPRIM_400000_NS6detail17trampoline_kernelINS0_14default_configENS1_20scan_config_selectorIxEEZZNS1_9scan_implILNS1_25lookback_scan_determinismE0ELb0ELb1ES3_N6thrust23THRUST_200600_302600_NS6detail15normal_iteratorINS9_10device_ptrIxEEEESE_xNS9_10multipliesIxEExEEDaPvRmT3_T4_T5_mT6_P12ihipStream_tbENKUlT_T0_E_clISt17integral_constantIbLb1EEST_IbLb0EEEEDaSP_SQ_EUlSP_E_NS1_11comp_targetILNS1_3genE3ELNS1_11target_archE908ELNS1_3gpuE7ELNS1_3repE0EEENS1_30default_config_static_selectorELNS0_4arch9wavefront6targetE1EEEvT1_
	.globl	_ZN7rocprim17ROCPRIM_400000_NS6detail17trampoline_kernelINS0_14default_configENS1_20scan_config_selectorIxEEZZNS1_9scan_implILNS1_25lookback_scan_determinismE0ELb0ELb1ES3_N6thrust23THRUST_200600_302600_NS6detail15normal_iteratorINS9_10device_ptrIxEEEESE_xNS9_10multipliesIxEExEEDaPvRmT3_T4_T5_mT6_P12ihipStream_tbENKUlT_T0_E_clISt17integral_constantIbLb1EEST_IbLb0EEEEDaSP_SQ_EUlSP_E_NS1_11comp_targetILNS1_3genE3ELNS1_11target_archE908ELNS1_3gpuE7ELNS1_3repE0EEENS1_30default_config_static_selectorELNS0_4arch9wavefront6targetE1EEEvT1_
	.p2align	8
	.type	_ZN7rocprim17ROCPRIM_400000_NS6detail17trampoline_kernelINS0_14default_configENS1_20scan_config_selectorIxEEZZNS1_9scan_implILNS1_25lookback_scan_determinismE0ELb0ELb1ES3_N6thrust23THRUST_200600_302600_NS6detail15normal_iteratorINS9_10device_ptrIxEEEESE_xNS9_10multipliesIxEExEEDaPvRmT3_T4_T5_mT6_P12ihipStream_tbENKUlT_T0_E_clISt17integral_constantIbLb1EEST_IbLb0EEEEDaSP_SQ_EUlSP_E_NS1_11comp_targetILNS1_3genE3ELNS1_11target_archE908ELNS1_3gpuE7ELNS1_3repE0EEENS1_30default_config_static_selectorELNS0_4arch9wavefront6targetE1EEEvT1_,@function
_ZN7rocprim17ROCPRIM_400000_NS6detail17trampoline_kernelINS0_14default_configENS1_20scan_config_selectorIxEEZZNS1_9scan_implILNS1_25lookback_scan_determinismE0ELb0ELb1ES3_N6thrust23THRUST_200600_302600_NS6detail15normal_iteratorINS9_10device_ptrIxEEEESE_xNS9_10multipliesIxEExEEDaPvRmT3_T4_T5_mT6_P12ihipStream_tbENKUlT_T0_E_clISt17integral_constantIbLb1EEST_IbLb0EEEEDaSP_SQ_EUlSP_E_NS1_11comp_targetILNS1_3genE3ELNS1_11target_archE908ELNS1_3gpuE7ELNS1_3repE0EEENS1_30default_config_static_selectorELNS0_4arch9wavefront6targetE1EEEvT1_: ; @_ZN7rocprim17ROCPRIM_400000_NS6detail17trampoline_kernelINS0_14default_configENS1_20scan_config_selectorIxEEZZNS1_9scan_implILNS1_25lookback_scan_determinismE0ELb0ELb1ES3_N6thrust23THRUST_200600_302600_NS6detail15normal_iteratorINS9_10device_ptrIxEEEESE_xNS9_10multipliesIxEExEEDaPvRmT3_T4_T5_mT6_P12ihipStream_tbENKUlT_T0_E_clISt17integral_constantIbLb1EEST_IbLb0EEEEDaSP_SQ_EUlSP_E_NS1_11comp_targetILNS1_3genE3ELNS1_11target_archE908ELNS1_3gpuE7ELNS1_3repE0EEENS1_30default_config_static_selectorELNS0_4arch9wavefront6targetE1EEEvT1_
; %bb.0:
	.section	.rodata,"a",@progbits
	.p2align	6, 0x0
	.amdhsa_kernel _ZN7rocprim17ROCPRIM_400000_NS6detail17trampoline_kernelINS0_14default_configENS1_20scan_config_selectorIxEEZZNS1_9scan_implILNS1_25lookback_scan_determinismE0ELb0ELb1ES3_N6thrust23THRUST_200600_302600_NS6detail15normal_iteratorINS9_10device_ptrIxEEEESE_xNS9_10multipliesIxEExEEDaPvRmT3_T4_T5_mT6_P12ihipStream_tbENKUlT_T0_E_clISt17integral_constantIbLb1EEST_IbLb0EEEEDaSP_SQ_EUlSP_E_NS1_11comp_targetILNS1_3genE3ELNS1_11target_archE908ELNS1_3gpuE7ELNS1_3repE0EEENS1_30default_config_static_selectorELNS0_4arch9wavefront6targetE1EEEvT1_
		.amdhsa_group_segment_fixed_size 0
		.amdhsa_private_segment_fixed_size 0
		.amdhsa_kernarg_size 104
		.amdhsa_user_sgpr_count 6
		.amdhsa_user_sgpr_private_segment_buffer 1
		.amdhsa_user_sgpr_dispatch_ptr 0
		.amdhsa_user_sgpr_queue_ptr 0
		.amdhsa_user_sgpr_kernarg_segment_ptr 1
		.amdhsa_user_sgpr_dispatch_id 0
		.amdhsa_user_sgpr_flat_scratch_init 0
		.amdhsa_user_sgpr_kernarg_preload_length 0
		.amdhsa_user_sgpr_kernarg_preload_offset 0
		.amdhsa_user_sgpr_private_segment_size 0
		.amdhsa_uses_dynamic_stack 0
		.amdhsa_system_sgpr_private_segment_wavefront_offset 0
		.amdhsa_system_sgpr_workgroup_id_x 1
		.amdhsa_system_sgpr_workgroup_id_y 0
		.amdhsa_system_sgpr_workgroup_id_z 0
		.amdhsa_system_sgpr_workgroup_info 0
		.amdhsa_system_vgpr_workitem_id 0
		.amdhsa_next_free_vgpr 1
		.amdhsa_next_free_sgpr 0
		.amdhsa_accum_offset 4
		.amdhsa_reserve_vcc 0
		.amdhsa_reserve_flat_scratch 0
		.amdhsa_float_round_mode_32 0
		.amdhsa_float_round_mode_16_64 0
		.amdhsa_float_denorm_mode_32 3
		.amdhsa_float_denorm_mode_16_64 3
		.amdhsa_dx10_clamp 1
		.amdhsa_ieee_mode 1
		.amdhsa_fp16_overflow 0
		.amdhsa_tg_split 0
		.amdhsa_exception_fp_ieee_invalid_op 0
		.amdhsa_exception_fp_denorm_src 0
		.amdhsa_exception_fp_ieee_div_zero 0
		.amdhsa_exception_fp_ieee_overflow 0
		.amdhsa_exception_fp_ieee_underflow 0
		.amdhsa_exception_fp_ieee_inexact 0
		.amdhsa_exception_int_div_zero 0
	.end_amdhsa_kernel
	.section	.text._ZN7rocprim17ROCPRIM_400000_NS6detail17trampoline_kernelINS0_14default_configENS1_20scan_config_selectorIxEEZZNS1_9scan_implILNS1_25lookback_scan_determinismE0ELb0ELb1ES3_N6thrust23THRUST_200600_302600_NS6detail15normal_iteratorINS9_10device_ptrIxEEEESE_xNS9_10multipliesIxEExEEDaPvRmT3_T4_T5_mT6_P12ihipStream_tbENKUlT_T0_E_clISt17integral_constantIbLb1EEST_IbLb0EEEEDaSP_SQ_EUlSP_E_NS1_11comp_targetILNS1_3genE3ELNS1_11target_archE908ELNS1_3gpuE7ELNS1_3repE0EEENS1_30default_config_static_selectorELNS0_4arch9wavefront6targetE1EEEvT1_,"axG",@progbits,_ZN7rocprim17ROCPRIM_400000_NS6detail17trampoline_kernelINS0_14default_configENS1_20scan_config_selectorIxEEZZNS1_9scan_implILNS1_25lookback_scan_determinismE0ELb0ELb1ES3_N6thrust23THRUST_200600_302600_NS6detail15normal_iteratorINS9_10device_ptrIxEEEESE_xNS9_10multipliesIxEExEEDaPvRmT3_T4_T5_mT6_P12ihipStream_tbENKUlT_T0_E_clISt17integral_constantIbLb1EEST_IbLb0EEEEDaSP_SQ_EUlSP_E_NS1_11comp_targetILNS1_3genE3ELNS1_11target_archE908ELNS1_3gpuE7ELNS1_3repE0EEENS1_30default_config_static_selectorELNS0_4arch9wavefront6targetE1EEEvT1_,comdat
.Lfunc_end309:
	.size	_ZN7rocprim17ROCPRIM_400000_NS6detail17trampoline_kernelINS0_14default_configENS1_20scan_config_selectorIxEEZZNS1_9scan_implILNS1_25lookback_scan_determinismE0ELb0ELb1ES3_N6thrust23THRUST_200600_302600_NS6detail15normal_iteratorINS9_10device_ptrIxEEEESE_xNS9_10multipliesIxEExEEDaPvRmT3_T4_T5_mT6_P12ihipStream_tbENKUlT_T0_E_clISt17integral_constantIbLb1EEST_IbLb0EEEEDaSP_SQ_EUlSP_E_NS1_11comp_targetILNS1_3genE3ELNS1_11target_archE908ELNS1_3gpuE7ELNS1_3repE0EEENS1_30default_config_static_selectorELNS0_4arch9wavefront6targetE1EEEvT1_, .Lfunc_end309-_ZN7rocprim17ROCPRIM_400000_NS6detail17trampoline_kernelINS0_14default_configENS1_20scan_config_selectorIxEEZZNS1_9scan_implILNS1_25lookback_scan_determinismE0ELb0ELb1ES3_N6thrust23THRUST_200600_302600_NS6detail15normal_iteratorINS9_10device_ptrIxEEEESE_xNS9_10multipliesIxEExEEDaPvRmT3_T4_T5_mT6_P12ihipStream_tbENKUlT_T0_E_clISt17integral_constantIbLb1EEST_IbLb0EEEEDaSP_SQ_EUlSP_E_NS1_11comp_targetILNS1_3genE3ELNS1_11target_archE908ELNS1_3gpuE7ELNS1_3repE0EEENS1_30default_config_static_selectorELNS0_4arch9wavefront6targetE1EEEvT1_
                                        ; -- End function
	.section	.AMDGPU.csdata,"",@progbits
; Kernel info:
; codeLenInByte = 0
; NumSgprs: 4
; NumVgprs: 0
; NumAgprs: 0
; TotalNumVgprs: 0
; ScratchSize: 0
; MemoryBound: 0
; FloatMode: 240
; IeeeMode: 1
; LDSByteSize: 0 bytes/workgroup (compile time only)
; SGPRBlocks: 0
; VGPRBlocks: 0
; NumSGPRsForWavesPerEU: 4
; NumVGPRsForWavesPerEU: 1
; AccumOffset: 4
; Occupancy: 8
; WaveLimiterHint : 0
; COMPUTE_PGM_RSRC2:SCRATCH_EN: 0
; COMPUTE_PGM_RSRC2:USER_SGPR: 6
; COMPUTE_PGM_RSRC2:TRAP_HANDLER: 0
; COMPUTE_PGM_RSRC2:TGID_X_EN: 1
; COMPUTE_PGM_RSRC2:TGID_Y_EN: 0
; COMPUTE_PGM_RSRC2:TGID_Z_EN: 0
; COMPUTE_PGM_RSRC2:TIDIG_COMP_CNT: 0
; COMPUTE_PGM_RSRC3_GFX90A:ACCUM_OFFSET: 0
; COMPUTE_PGM_RSRC3_GFX90A:TG_SPLIT: 0
	.section	.text._ZN7rocprim17ROCPRIM_400000_NS6detail17trampoline_kernelINS0_14default_configENS1_20scan_config_selectorIxEEZZNS1_9scan_implILNS1_25lookback_scan_determinismE0ELb0ELb1ES3_N6thrust23THRUST_200600_302600_NS6detail15normal_iteratorINS9_10device_ptrIxEEEESE_xNS9_10multipliesIxEExEEDaPvRmT3_T4_T5_mT6_P12ihipStream_tbENKUlT_T0_E_clISt17integral_constantIbLb1EEST_IbLb0EEEEDaSP_SQ_EUlSP_E_NS1_11comp_targetILNS1_3genE2ELNS1_11target_archE906ELNS1_3gpuE6ELNS1_3repE0EEENS1_30default_config_static_selectorELNS0_4arch9wavefront6targetE1EEEvT1_,"axG",@progbits,_ZN7rocprim17ROCPRIM_400000_NS6detail17trampoline_kernelINS0_14default_configENS1_20scan_config_selectorIxEEZZNS1_9scan_implILNS1_25lookback_scan_determinismE0ELb0ELb1ES3_N6thrust23THRUST_200600_302600_NS6detail15normal_iteratorINS9_10device_ptrIxEEEESE_xNS9_10multipliesIxEExEEDaPvRmT3_T4_T5_mT6_P12ihipStream_tbENKUlT_T0_E_clISt17integral_constantIbLb1EEST_IbLb0EEEEDaSP_SQ_EUlSP_E_NS1_11comp_targetILNS1_3genE2ELNS1_11target_archE906ELNS1_3gpuE6ELNS1_3repE0EEENS1_30default_config_static_selectorELNS0_4arch9wavefront6targetE1EEEvT1_,comdat
	.protected	_ZN7rocprim17ROCPRIM_400000_NS6detail17trampoline_kernelINS0_14default_configENS1_20scan_config_selectorIxEEZZNS1_9scan_implILNS1_25lookback_scan_determinismE0ELb0ELb1ES3_N6thrust23THRUST_200600_302600_NS6detail15normal_iteratorINS9_10device_ptrIxEEEESE_xNS9_10multipliesIxEExEEDaPvRmT3_T4_T5_mT6_P12ihipStream_tbENKUlT_T0_E_clISt17integral_constantIbLb1EEST_IbLb0EEEEDaSP_SQ_EUlSP_E_NS1_11comp_targetILNS1_3genE2ELNS1_11target_archE906ELNS1_3gpuE6ELNS1_3repE0EEENS1_30default_config_static_selectorELNS0_4arch9wavefront6targetE1EEEvT1_ ; -- Begin function _ZN7rocprim17ROCPRIM_400000_NS6detail17trampoline_kernelINS0_14default_configENS1_20scan_config_selectorIxEEZZNS1_9scan_implILNS1_25lookback_scan_determinismE0ELb0ELb1ES3_N6thrust23THRUST_200600_302600_NS6detail15normal_iteratorINS9_10device_ptrIxEEEESE_xNS9_10multipliesIxEExEEDaPvRmT3_T4_T5_mT6_P12ihipStream_tbENKUlT_T0_E_clISt17integral_constantIbLb1EEST_IbLb0EEEEDaSP_SQ_EUlSP_E_NS1_11comp_targetILNS1_3genE2ELNS1_11target_archE906ELNS1_3gpuE6ELNS1_3repE0EEENS1_30default_config_static_selectorELNS0_4arch9wavefront6targetE1EEEvT1_
	.globl	_ZN7rocprim17ROCPRIM_400000_NS6detail17trampoline_kernelINS0_14default_configENS1_20scan_config_selectorIxEEZZNS1_9scan_implILNS1_25lookback_scan_determinismE0ELb0ELb1ES3_N6thrust23THRUST_200600_302600_NS6detail15normal_iteratorINS9_10device_ptrIxEEEESE_xNS9_10multipliesIxEExEEDaPvRmT3_T4_T5_mT6_P12ihipStream_tbENKUlT_T0_E_clISt17integral_constantIbLb1EEST_IbLb0EEEEDaSP_SQ_EUlSP_E_NS1_11comp_targetILNS1_3genE2ELNS1_11target_archE906ELNS1_3gpuE6ELNS1_3repE0EEENS1_30default_config_static_selectorELNS0_4arch9wavefront6targetE1EEEvT1_
	.p2align	8
	.type	_ZN7rocprim17ROCPRIM_400000_NS6detail17trampoline_kernelINS0_14default_configENS1_20scan_config_selectorIxEEZZNS1_9scan_implILNS1_25lookback_scan_determinismE0ELb0ELb1ES3_N6thrust23THRUST_200600_302600_NS6detail15normal_iteratorINS9_10device_ptrIxEEEESE_xNS9_10multipliesIxEExEEDaPvRmT3_T4_T5_mT6_P12ihipStream_tbENKUlT_T0_E_clISt17integral_constantIbLb1EEST_IbLb0EEEEDaSP_SQ_EUlSP_E_NS1_11comp_targetILNS1_3genE2ELNS1_11target_archE906ELNS1_3gpuE6ELNS1_3repE0EEENS1_30default_config_static_selectorELNS0_4arch9wavefront6targetE1EEEvT1_,@function
_ZN7rocprim17ROCPRIM_400000_NS6detail17trampoline_kernelINS0_14default_configENS1_20scan_config_selectorIxEEZZNS1_9scan_implILNS1_25lookback_scan_determinismE0ELb0ELb1ES3_N6thrust23THRUST_200600_302600_NS6detail15normal_iteratorINS9_10device_ptrIxEEEESE_xNS9_10multipliesIxEExEEDaPvRmT3_T4_T5_mT6_P12ihipStream_tbENKUlT_T0_E_clISt17integral_constantIbLb1EEST_IbLb0EEEEDaSP_SQ_EUlSP_E_NS1_11comp_targetILNS1_3genE2ELNS1_11target_archE906ELNS1_3gpuE6ELNS1_3repE0EEENS1_30default_config_static_selectorELNS0_4arch9wavefront6targetE1EEEvT1_: ; @_ZN7rocprim17ROCPRIM_400000_NS6detail17trampoline_kernelINS0_14default_configENS1_20scan_config_selectorIxEEZZNS1_9scan_implILNS1_25lookback_scan_determinismE0ELb0ELb1ES3_N6thrust23THRUST_200600_302600_NS6detail15normal_iteratorINS9_10device_ptrIxEEEESE_xNS9_10multipliesIxEExEEDaPvRmT3_T4_T5_mT6_P12ihipStream_tbENKUlT_T0_E_clISt17integral_constantIbLb1EEST_IbLb0EEEEDaSP_SQ_EUlSP_E_NS1_11comp_targetILNS1_3genE2ELNS1_11target_archE906ELNS1_3gpuE6ELNS1_3repE0EEENS1_30default_config_static_selectorELNS0_4arch9wavefront6targetE1EEEvT1_
; %bb.0:
	.section	.rodata,"a",@progbits
	.p2align	6, 0x0
	.amdhsa_kernel _ZN7rocprim17ROCPRIM_400000_NS6detail17trampoline_kernelINS0_14default_configENS1_20scan_config_selectorIxEEZZNS1_9scan_implILNS1_25lookback_scan_determinismE0ELb0ELb1ES3_N6thrust23THRUST_200600_302600_NS6detail15normal_iteratorINS9_10device_ptrIxEEEESE_xNS9_10multipliesIxEExEEDaPvRmT3_T4_T5_mT6_P12ihipStream_tbENKUlT_T0_E_clISt17integral_constantIbLb1EEST_IbLb0EEEEDaSP_SQ_EUlSP_E_NS1_11comp_targetILNS1_3genE2ELNS1_11target_archE906ELNS1_3gpuE6ELNS1_3repE0EEENS1_30default_config_static_selectorELNS0_4arch9wavefront6targetE1EEEvT1_
		.amdhsa_group_segment_fixed_size 0
		.amdhsa_private_segment_fixed_size 0
		.amdhsa_kernarg_size 104
		.amdhsa_user_sgpr_count 6
		.amdhsa_user_sgpr_private_segment_buffer 1
		.amdhsa_user_sgpr_dispatch_ptr 0
		.amdhsa_user_sgpr_queue_ptr 0
		.amdhsa_user_sgpr_kernarg_segment_ptr 1
		.amdhsa_user_sgpr_dispatch_id 0
		.amdhsa_user_sgpr_flat_scratch_init 0
		.amdhsa_user_sgpr_kernarg_preload_length 0
		.amdhsa_user_sgpr_kernarg_preload_offset 0
		.amdhsa_user_sgpr_private_segment_size 0
		.amdhsa_uses_dynamic_stack 0
		.amdhsa_system_sgpr_private_segment_wavefront_offset 0
		.amdhsa_system_sgpr_workgroup_id_x 1
		.amdhsa_system_sgpr_workgroup_id_y 0
		.amdhsa_system_sgpr_workgroup_id_z 0
		.amdhsa_system_sgpr_workgroup_info 0
		.amdhsa_system_vgpr_workitem_id 0
		.amdhsa_next_free_vgpr 1
		.amdhsa_next_free_sgpr 0
		.amdhsa_accum_offset 4
		.amdhsa_reserve_vcc 0
		.amdhsa_reserve_flat_scratch 0
		.amdhsa_float_round_mode_32 0
		.amdhsa_float_round_mode_16_64 0
		.amdhsa_float_denorm_mode_32 3
		.amdhsa_float_denorm_mode_16_64 3
		.amdhsa_dx10_clamp 1
		.amdhsa_ieee_mode 1
		.amdhsa_fp16_overflow 0
		.amdhsa_tg_split 0
		.amdhsa_exception_fp_ieee_invalid_op 0
		.amdhsa_exception_fp_denorm_src 0
		.amdhsa_exception_fp_ieee_div_zero 0
		.amdhsa_exception_fp_ieee_overflow 0
		.amdhsa_exception_fp_ieee_underflow 0
		.amdhsa_exception_fp_ieee_inexact 0
		.amdhsa_exception_int_div_zero 0
	.end_amdhsa_kernel
	.section	.text._ZN7rocprim17ROCPRIM_400000_NS6detail17trampoline_kernelINS0_14default_configENS1_20scan_config_selectorIxEEZZNS1_9scan_implILNS1_25lookback_scan_determinismE0ELb0ELb1ES3_N6thrust23THRUST_200600_302600_NS6detail15normal_iteratorINS9_10device_ptrIxEEEESE_xNS9_10multipliesIxEExEEDaPvRmT3_T4_T5_mT6_P12ihipStream_tbENKUlT_T0_E_clISt17integral_constantIbLb1EEST_IbLb0EEEEDaSP_SQ_EUlSP_E_NS1_11comp_targetILNS1_3genE2ELNS1_11target_archE906ELNS1_3gpuE6ELNS1_3repE0EEENS1_30default_config_static_selectorELNS0_4arch9wavefront6targetE1EEEvT1_,"axG",@progbits,_ZN7rocprim17ROCPRIM_400000_NS6detail17trampoline_kernelINS0_14default_configENS1_20scan_config_selectorIxEEZZNS1_9scan_implILNS1_25lookback_scan_determinismE0ELb0ELb1ES3_N6thrust23THRUST_200600_302600_NS6detail15normal_iteratorINS9_10device_ptrIxEEEESE_xNS9_10multipliesIxEExEEDaPvRmT3_T4_T5_mT6_P12ihipStream_tbENKUlT_T0_E_clISt17integral_constantIbLb1EEST_IbLb0EEEEDaSP_SQ_EUlSP_E_NS1_11comp_targetILNS1_3genE2ELNS1_11target_archE906ELNS1_3gpuE6ELNS1_3repE0EEENS1_30default_config_static_selectorELNS0_4arch9wavefront6targetE1EEEvT1_,comdat
.Lfunc_end310:
	.size	_ZN7rocprim17ROCPRIM_400000_NS6detail17trampoline_kernelINS0_14default_configENS1_20scan_config_selectorIxEEZZNS1_9scan_implILNS1_25lookback_scan_determinismE0ELb0ELb1ES3_N6thrust23THRUST_200600_302600_NS6detail15normal_iteratorINS9_10device_ptrIxEEEESE_xNS9_10multipliesIxEExEEDaPvRmT3_T4_T5_mT6_P12ihipStream_tbENKUlT_T0_E_clISt17integral_constantIbLb1EEST_IbLb0EEEEDaSP_SQ_EUlSP_E_NS1_11comp_targetILNS1_3genE2ELNS1_11target_archE906ELNS1_3gpuE6ELNS1_3repE0EEENS1_30default_config_static_selectorELNS0_4arch9wavefront6targetE1EEEvT1_, .Lfunc_end310-_ZN7rocprim17ROCPRIM_400000_NS6detail17trampoline_kernelINS0_14default_configENS1_20scan_config_selectorIxEEZZNS1_9scan_implILNS1_25lookback_scan_determinismE0ELb0ELb1ES3_N6thrust23THRUST_200600_302600_NS6detail15normal_iteratorINS9_10device_ptrIxEEEESE_xNS9_10multipliesIxEExEEDaPvRmT3_T4_T5_mT6_P12ihipStream_tbENKUlT_T0_E_clISt17integral_constantIbLb1EEST_IbLb0EEEEDaSP_SQ_EUlSP_E_NS1_11comp_targetILNS1_3genE2ELNS1_11target_archE906ELNS1_3gpuE6ELNS1_3repE0EEENS1_30default_config_static_selectorELNS0_4arch9wavefront6targetE1EEEvT1_
                                        ; -- End function
	.section	.AMDGPU.csdata,"",@progbits
; Kernel info:
; codeLenInByte = 0
; NumSgprs: 4
; NumVgprs: 0
; NumAgprs: 0
; TotalNumVgprs: 0
; ScratchSize: 0
; MemoryBound: 0
; FloatMode: 240
; IeeeMode: 1
; LDSByteSize: 0 bytes/workgroup (compile time only)
; SGPRBlocks: 0
; VGPRBlocks: 0
; NumSGPRsForWavesPerEU: 4
; NumVGPRsForWavesPerEU: 1
; AccumOffset: 4
; Occupancy: 8
; WaveLimiterHint : 0
; COMPUTE_PGM_RSRC2:SCRATCH_EN: 0
; COMPUTE_PGM_RSRC2:USER_SGPR: 6
; COMPUTE_PGM_RSRC2:TRAP_HANDLER: 0
; COMPUTE_PGM_RSRC2:TGID_X_EN: 1
; COMPUTE_PGM_RSRC2:TGID_Y_EN: 0
; COMPUTE_PGM_RSRC2:TGID_Z_EN: 0
; COMPUTE_PGM_RSRC2:TIDIG_COMP_CNT: 0
; COMPUTE_PGM_RSRC3_GFX90A:ACCUM_OFFSET: 0
; COMPUTE_PGM_RSRC3_GFX90A:TG_SPLIT: 0
	.section	.text._ZN7rocprim17ROCPRIM_400000_NS6detail17trampoline_kernelINS0_14default_configENS1_20scan_config_selectorIxEEZZNS1_9scan_implILNS1_25lookback_scan_determinismE0ELb0ELb1ES3_N6thrust23THRUST_200600_302600_NS6detail15normal_iteratorINS9_10device_ptrIxEEEESE_xNS9_10multipliesIxEExEEDaPvRmT3_T4_T5_mT6_P12ihipStream_tbENKUlT_T0_E_clISt17integral_constantIbLb1EEST_IbLb0EEEEDaSP_SQ_EUlSP_E_NS1_11comp_targetILNS1_3genE10ELNS1_11target_archE1201ELNS1_3gpuE5ELNS1_3repE0EEENS1_30default_config_static_selectorELNS0_4arch9wavefront6targetE1EEEvT1_,"axG",@progbits,_ZN7rocprim17ROCPRIM_400000_NS6detail17trampoline_kernelINS0_14default_configENS1_20scan_config_selectorIxEEZZNS1_9scan_implILNS1_25lookback_scan_determinismE0ELb0ELb1ES3_N6thrust23THRUST_200600_302600_NS6detail15normal_iteratorINS9_10device_ptrIxEEEESE_xNS9_10multipliesIxEExEEDaPvRmT3_T4_T5_mT6_P12ihipStream_tbENKUlT_T0_E_clISt17integral_constantIbLb1EEST_IbLb0EEEEDaSP_SQ_EUlSP_E_NS1_11comp_targetILNS1_3genE10ELNS1_11target_archE1201ELNS1_3gpuE5ELNS1_3repE0EEENS1_30default_config_static_selectorELNS0_4arch9wavefront6targetE1EEEvT1_,comdat
	.protected	_ZN7rocprim17ROCPRIM_400000_NS6detail17trampoline_kernelINS0_14default_configENS1_20scan_config_selectorIxEEZZNS1_9scan_implILNS1_25lookback_scan_determinismE0ELb0ELb1ES3_N6thrust23THRUST_200600_302600_NS6detail15normal_iteratorINS9_10device_ptrIxEEEESE_xNS9_10multipliesIxEExEEDaPvRmT3_T4_T5_mT6_P12ihipStream_tbENKUlT_T0_E_clISt17integral_constantIbLb1EEST_IbLb0EEEEDaSP_SQ_EUlSP_E_NS1_11comp_targetILNS1_3genE10ELNS1_11target_archE1201ELNS1_3gpuE5ELNS1_3repE0EEENS1_30default_config_static_selectorELNS0_4arch9wavefront6targetE1EEEvT1_ ; -- Begin function _ZN7rocprim17ROCPRIM_400000_NS6detail17trampoline_kernelINS0_14default_configENS1_20scan_config_selectorIxEEZZNS1_9scan_implILNS1_25lookback_scan_determinismE0ELb0ELb1ES3_N6thrust23THRUST_200600_302600_NS6detail15normal_iteratorINS9_10device_ptrIxEEEESE_xNS9_10multipliesIxEExEEDaPvRmT3_T4_T5_mT6_P12ihipStream_tbENKUlT_T0_E_clISt17integral_constantIbLb1EEST_IbLb0EEEEDaSP_SQ_EUlSP_E_NS1_11comp_targetILNS1_3genE10ELNS1_11target_archE1201ELNS1_3gpuE5ELNS1_3repE0EEENS1_30default_config_static_selectorELNS0_4arch9wavefront6targetE1EEEvT1_
	.globl	_ZN7rocprim17ROCPRIM_400000_NS6detail17trampoline_kernelINS0_14default_configENS1_20scan_config_selectorIxEEZZNS1_9scan_implILNS1_25lookback_scan_determinismE0ELb0ELb1ES3_N6thrust23THRUST_200600_302600_NS6detail15normal_iteratorINS9_10device_ptrIxEEEESE_xNS9_10multipliesIxEExEEDaPvRmT3_T4_T5_mT6_P12ihipStream_tbENKUlT_T0_E_clISt17integral_constantIbLb1EEST_IbLb0EEEEDaSP_SQ_EUlSP_E_NS1_11comp_targetILNS1_3genE10ELNS1_11target_archE1201ELNS1_3gpuE5ELNS1_3repE0EEENS1_30default_config_static_selectorELNS0_4arch9wavefront6targetE1EEEvT1_
	.p2align	8
	.type	_ZN7rocprim17ROCPRIM_400000_NS6detail17trampoline_kernelINS0_14default_configENS1_20scan_config_selectorIxEEZZNS1_9scan_implILNS1_25lookback_scan_determinismE0ELb0ELb1ES3_N6thrust23THRUST_200600_302600_NS6detail15normal_iteratorINS9_10device_ptrIxEEEESE_xNS9_10multipliesIxEExEEDaPvRmT3_T4_T5_mT6_P12ihipStream_tbENKUlT_T0_E_clISt17integral_constantIbLb1EEST_IbLb0EEEEDaSP_SQ_EUlSP_E_NS1_11comp_targetILNS1_3genE10ELNS1_11target_archE1201ELNS1_3gpuE5ELNS1_3repE0EEENS1_30default_config_static_selectorELNS0_4arch9wavefront6targetE1EEEvT1_,@function
_ZN7rocprim17ROCPRIM_400000_NS6detail17trampoline_kernelINS0_14default_configENS1_20scan_config_selectorIxEEZZNS1_9scan_implILNS1_25lookback_scan_determinismE0ELb0ELb1ES3_N6thrust23THRUST_200600_302600_NS6detail15normal_iteratorINS9_10device_ptrIxEEEESE_xNS9_10multipliesIxEExEEDaPvRmT3_T4_T5_mT6_P12ihipStream_tbENKUlT_T0_E_clISt17integral_constantIbLb1EEST_IbLb0EEEEDaSP_SQ_EUlSP_E_NS1_11comp_targetILNS1_3genE10ELNS1_11target_archE1201ELNS1_3gpuE5ELNS1_3repE0EEENS1_30default_config_static_selectorELNS0_4arch9wavefront6targetE1EEEvT1_: ; @_ZN7rocprim17ROCPRIM_400000_NS6detail17trampoline_kernelINS0_14default_configENS1_20scan_config_selectorIxEEZZNS1_9scan_implILNS1_25lookback_scan_determinismE0ELb0ELb1ES3_N6thrust23THRUST_200600_302600_NS6detail15normal_iteratorINS9_10device_ptrIxEEEESE_xNS9_10multipliesIxEExEEDaPvRmT3_T4_T5_mT6_P12ihipStream_tbENKUlT_T0_E_clISt17integral_constantIbLb1EEST_IbLb0EEEEDaSP_SQ_EUlSP_E_NS1_11comp_targetILNS1_3genE10ELNS1_11target_archE1201ELNS1_3gpuE5ELNS1_3repE0EEENS1_30default_config_static_selectorELNS0_4arch9wavefront6targetE1EEEvT1_
; %bb.0:
	.section	.rodata,"a",@progbits
	.p2align	6, 0x0
	.amdhsa_kernel _ZN7rocprim17ROCPRIM_400000_NS6detail17trampoline_kernelINS0_14default_configENS1_20scan_config_selectorIxEEZZNS1_9scan_implILNS1_25lookback_scan_determinismE0ELb0ELb1ES3_N6thrust23THRUST_200600_302600_NS6detail15normal_iteratorINS9_10device_ptrIxEEEESE_xNS9_10multipliesIxEExEEDaPvRmT3_T4_T5_mT6_P12ihipStream_tbENKUlT_T0_E_clISt17integral_constantIbLb1EEST_IbLb0EEEEDaSP_SQ_EUlSP_E_NS1_11comp_targetILNS1_3genE10ELNS1_11target_archE1201ELNS1_3gpuE5ELNS1_3repE0EEENS1_30default_config_static_selectorELNS0_4arch9wavefront6targetE1EEEvT1_
		.amdhsa_group_segment_fixed_size 0
		.amdhsa_private_segment_fixed_size 0
		.amdhsa_kernarg_size 104
		.amdhsa_user_sgpr_count 6
		.amdhsa_user_sgpr_private_segment_buffer 1
		.amdhsa_user_sgpr_dispatch_ptr 0
		.amdhsa_user_sgpr_queue_ptr 0
		.amdhsa_user_sgpr_kernarg_segment_ptr 1
		.amdhsa_user_sgpr_dispatch_id 0
		.amdhsa_user_sgpr_flat_scratch_init 0
		.amdhsa_user_sgpr_kernarg_preload_length 0
		.amdhsa_user_sgpr_kernarg_preload_offset 0
		.amdhsa_user_sgpr_private_segment_size 0
		.amdhsa_uses_dynamic_stack 0
		.amdhsa_system_sgpr_private_segment_wavefront_offset 0
		.amdhsa_system_sgpr_workgroup_id_x 1
		.amdhsa_system_sgpr_workgroup_id_y 0
		.amdhsa_system_sgpr_workgroup_id_z 0
		.amdhsa_system_sgpr_workgroup_info 0
		.amdhsa_system_vgpr_workitem_id 0
		.amdhsa_next_free_vgpr 1
		.amdhsa_next_free_sgpr 0
		.amdhsa_accum_offset 4
		.amdhsa_reserve_vcc 0
		.amdhsa_reserve_flat_scratch 0
		.amdhsa_float_round_mode_32 0
		.amdhsa_float_round_mode_16_64 0
		.amdhsa_float_denorm_mode_32 3
		.amdhsa_float_denorm_mode_16_64 3
		.amdhsa_dx10_clamp 1
		.amdhsa_ieee_mode 1
		.amdhsa_fp16_overflow 0
		.amdhsa_tg_split 0
		.amdhsa_exception_fp_ieee_invalid_op 0
		.amdhsa_exception_fp_denorm_src 0
		.amdhsa_exception_fp_ieee_div_zero 0
		.amdhsa_exception_fp_ieee_overflow 0
		.amdhsa_exception_fp_ieee_underflow 0
		.amdhsa_exception_fp_ieee_inexact 0
		.amdhsa_exception_int_div_zero 0
	.end_amdhsa_kernel
	.section	.text._ZN7rocprim17ROCPRIM_400000_NS6detail17trampoline_kernelINS0_14default_configENS1_20scan_config_selectorIxEEZZNS1_9scan_implILNS1_25lookback_scan_determinismE0ELb0ELb1ES3_N6thrust23THRUST_200600_302600_NS6detail15normal_iteratorINS9_10device_ptrIxEEEESE_xNS9_10multipliesIxEExEEDaPvRmT3_T4_T5_mT6_P12ihipStream_tbENKUlT_T0_E_clISt17integral_constantIbLb1EEST_IbLb0EEEEDaSP_SQ_EUlSP_E_NS1_11comp_targetILNS1_3genE10ELNS1_11target_archE1201ELNS1_3gpuE5ELNS1_3repE0EEENS1_30default_config_static_selectorELNS0_4arch9wavefront6targetE1EEEvT1_,"axG",@progbits,_ZN7rocprim17ROCPRIM_400000_NS6detail17trampoline_kernelINS0_14default_configENS1_20scan_config_selectorIxEEZZNS1_9scan_implILNS1_25lookback_scan_determinismE0ELb0ELb1ES3_N6thrust23THRUST_200600_302600_NS6detail15normal_iteratorINS9_10device_ptrIxEEEESE_xNS9_10multipliesIxEExEEDaPvRmT3_T4_T5_mT6_P12ihipStream_tbENKUlT_T0_E_clISt17integral_constantIbLb1EEST_IbLb0EEEEDaSP_SQ_EUlSP_E_NS1_11comp_targetILNS1_3genE10ELNS1_11target_archE1201ELNS1_3gpuE5ELNS1_3repE0EEENS1_30default_config_static_selectorELNS0_4arch9wavefront6targetE1EEEvT1_,comdat
.Lfunc_end311:
	.size	_ZN7rocprim17ROCPRIM_400000_NS6detail17trampoline_kernelINS0_14default_configENS1_20scan_config_selectorIxEEZZNS1_9scan_implILNS1_25lookback_scan_determinismE0ELb0ELb1ES3_N6thrust23THRUST_200600_302600_NS6detail15normal_iteratorINS9_10device_ptrIxEEEESE_xNS9_10multipliesIxEExEEDaPvRmT3_T4_T5_mT6_P12ihipStream_tbENKUlT_T0_E_clISt17integral_constantIbLb1EEST_IbLb0EEEEDaSP_SQ_EUlSP_E_NS1_11comp_targetILNS1_3genE10ELNS1_11target_archE1201ELNS1_3gpuE5ELNS1_3repE0EEENS1_30default_config_static_selectorELNS0_4arch9wavefront6targetE1EEEvT1_, .Lfunc_end311-_ZN7rocprim17ROCPRIM_400000_NS6detail17trampoline_kernelINS0_14default_configENS1_20scan_config_selectorIxEEZZNS1_9scan_implILNS1_25lookback_scan_determinismE0ELb0ELb1ES3_N6thrust23THRUST_200600_302600_NS6detail15normal_iteratorINS9_10device_ptrIxEEEESE_xNS9_10multipliesIxEExEEDaPvRmT3_T4_T5_mT6_P12ihipStream_tbENKUlT_T0_E_clISt17integral_constantIbLb1EEST_IbLb0EEEEDaSP_SQ_EUlSP_E_NS1_11comp_targetILNS1_3genE10ELNS1_11target_archE1201ELNS1_3gpuE5ELNS1_3repE0EEENS1_30default_config_static_selectorELNS0_4arch9wavefront6targetE1EEEvT1_
                                        ; -- End function
	.section	.AMDGPU.csdata,"",@progbits
; Kernel info:
; codeLenInByte = 0
; NumSgprs: 4
; NumVgprs: 0
; NumAgprs: 0
; TotalNumVgprs: 0
; ScratchSize: 0
; MemoryBound: 0
; FloatMode: 240
; IeeeMode: 1
; LDSByteSize: 0 bytes/workgroup (compile time only)
; SGPRBlocks: 0
; VGPRBlocks: 0
; NumSGPRsForWavesPerEU: 4
; NumVGPRsForWavesPerEU: 1
; AccumOffset: 4
; Occupancy: 8
; WaveLimiterHint : 0
; COMPUTE_PGM_RSRC2:SCRATCH_EN: 0
; COMPUTE_PGM_RSRC2:USER_SGPR: 6
; COMPUTE_PGM_RSRC2:TRAP_HANDLER: 0
; COMPUTE_PGM_RSRC2:TGID_X_EN: 1
; COMPUTE_PGM_RSRC2:TGID_Y_EN: 0
; COMPUTE_PGM_RSRC2:TGID_Z_EN: 0
; COMPUTE_PGM_RSRC2:TIDIG_COMP_CNT: 0
; COMPUTE_PGM_RSRC3_GFX90A:ACCUM_OFFSET: 0
; COMPUTE_PGM_RSRC3_GFX90A:TG_SPLIT: 0
	.section	.text._ZN7rocprim17ROCPRIM_400000_NS6detail17trampoline_kernelINS0_14default_configENS1_20scan_config_selectorIxEEZZNS1_9scan_implILNS1_25lookback_scan_determinismE0ELb0ELb1ES3_N6thrust23THRUST_200600_302600_NS6detail15normal_iteratorINS9_10device_ptrIxEEEESE_xNS9_10multipliesIxEExEEDaPvRmT3_T4_T5_mT6_P12ihipStream_tbENKUlT_T0_E_clISt17integral_constantIbLb1EEST_IbLb0EEEEDaSP_SQ_EUlSP_E_NS1_11comp_targetILNS1_3genE10ELNS1_11target_archE1200ELNS1_3gpuE4ELNS1_3repE0EEENS1_30default_config_static_selectorELNS0_4arch9wavefront6targetE1EEEvT1_,"axG",@progbits,_ZN7rocprim17ROCPRIM_400000_NS6detail17trampoline_kernelINS0_14default_configENS1_20scan_config_selectorIxEEZZNS1_9scan_implILNS1_25lookback_scan_determinismE0ELb0ELb1ES3_N6thrust23THRUST_200600_302600_NS6detail15normal_iteratorINS9_10device_ptrIxEEEESE_xNS9_10multipliesIxEExEEDaPvRmT3_T4_T5_mT6_P12ihipStream_tbENKUlT_T0_E_clISt17integral_constantIbLb1EEST_IbLb0EEEEDaSP_SQ_EUlSP_E_NS1_11comp_targetILNS1_3genE10ELNS1_11target_archE1200ELNS1_3gpuE4ELNS1_3repE0EEENS1_30default_config_static_selectorELNS0_4arch9wavefront6targetE1EEEvT1_,comdat
	.protected	_ZN7rocprim17ROCPRIM_400000_NS6detail17trampoline_kernelINS0_14default_configENS1_20scan_config_selectorIxEEZZNS1_9scan_implILNS1_25lookback_scan_determinismE0ELb0ELb1ES3_N6thrust23THRUST_200600_302600_NS6detail15normal_iteratorINS9_10device_ptrIxEEEESE_xNS9_10multipliesIxEExEEDaPvRmT3_T4_T5_mT6_P12ihipStream_tbENKUlT_T0_E_clISt17integral_constantIbLb1EEST_IbLb0EEEEDaSP_SQ_EUlSP_E_NS1_11comp_targetILNS1_3genE10ELNS1_11target_archE1200ELNS1_3gpuE4ELNS1_3repE0EEENS1_30default_config_static_selectorELNS0_4arch9wavefront6targetE1EEEvT1_ ; -- Begin function _ZN7rocprim17ROCPRIM_400000_NS6detail17trampoline_kernelINS0_14default_configENS1_20scan_config_selectorIxEEZZNS1_9scan_implILNS1_25lookback_scan_determinismE0ELb0ELb1ES3_N6thrust23THRUST_200600_302600_NS6detail15normal_iteratorINS9_10device_ptrIxEEEESE_xNS9_10multipliesIxEExEEDaPvRmT3_T4_T5_mT6_P12ihipStream_tbENKUlT_T0_E_clISt17integral_constantIbLb1EEST_IbLb0EEEEDaSP_SQ_EUlSP_E_NS1_11comp_targetILNS1_3genE10ELNS1_11target_archE1200ELNS1_3gpuE4ELNS1_3repE0EEENS1_30default_config_static_selectorELNS0_4arch9wavefront6targetE1EEEvT1_
	.globl	_ZN7rocprim17ROCPRIM_400000_NS6detail17trampoline_kernelINS0_14default_configENS1_20scan_config_selectorIxEEZZNS1_9scan_implILNS1_25lookback_scan_determinismE0ELb0ELb1ES3_N6thrust23THRUST_200600_302600_NS6detail15normal_iteratorINS9_10device_ptrIxEEEESE_xNS9_10multipliesIxEExEEDaPvRmT3_T4_T5_mT6_P12ihipStream_tbENKUlT_T0_E_clISt17integral_constantIbLb1EEST_IbLb0EEEEDaSP_SQ_EUlSP_E_NS1_11comp_targetILNS1_3genE10ELNS1_11target_archE1200ELNS1_3gpuE4ELNS1_3repE0EEENS1_30default_config_static_selectorELNS0_4arch9wavefront6targetE1EEEvT1_
	.p2align	8
	.type	_ZN7rocprim17ROCPRIM_400000_NS6detail17trampoline_kernelINS0_14default_configENS1_20scan_config_selectorIxEEZZNS1_9scan_implILNS1_25lookback_scan_determinismE0ELb0ELb1ES3_N6thrust23THRUST_200600_302600_NS6detail15normal_iteratorINS9_10device_ptrIxEEEESE_xNS9_10multipliesIxEExEEDaPvRmT3_T4_T5_mT6_P12ihipStream_tbENKUlT_T0_E_clISt17integral_constantIbLb1EEST_IbLb0EEEEDaSP_SQ_EUlSP_E_NS1_11comp_targetILNS1_3genE10ELNS1_11target_archE1200ELNS1_3gpuE4ELNS1_3repE0EEENS1_30default_config_static_selectorELNS0_4arch9wavefront6targetE1EEEvT1_,@function
_ZN7rocprim17ROCPRIM_400000_NS6detail17trampoline_kernelINS0_14default_configENS1_20scan_config_selectorIxEEZZNS1_9scan_implILNS1_25lookback_scan_determinismE0ELb0ELb1ES3_N6thrust23THRUST_200600_302600_NS6detail15normal_iteratorINS9_10device_ptrIxEEEESE_xNS9_10multipliesIxEExEEDaPvRmT3_T4_T5_mT6_P12ihipStream_tbENKUlT_T0_E_clISt17integral_constantIbLb1EEST_IbLb0EEEEDaSP_SQ_EUlSP_E_NS1_11comp_targetILNS1_3genE10ELNS1_11target_archE1200ELNS1_3gpuE4ELNS1_3repE0EEENS1_30default_config_static_selectorELNS0_4arch9wavefront6targetE1EEEvT1_: ; @_ZN7rocprim17ROCPRIM_400000_NS6detail17trampoline_kernelINS0_14default_configENS1_20scan_config_selectorIxEEZZNS1_9scan_implILNS1_25lookback_scan_determinismE0ELb0ELb1ES3_N6thrust23THRUST_200600_302600_NS6detail15normal_iteratorINS9_10device_ptrIxEEEESE_xNS9_10multipliesIxEExEEDaPvRmT3_T4_T5_mT6_P12ihipStream_tbENKUlT_T0_E_clISt17integral_constantIbLb1EEST_IbLb0EEEEDaSP_SQ_EUlSP_E_NS1_11comp_targetILNS1_3genE10ELNS1_11target_archE1200ELNS1_3gpuE4ELNS1_3repE0EEENS1_30default_config_static_selectorELNS0_4arch9wavefront6targetE1EEEvT1_
; %bb.0:
	.section	.rodata,"a",@progbits
	.p2align	6, 0x0
	.amdhsa_kernel _ZN7rocprim17ROCPRIM_400000_NS6detail17trampoline_kernelINS0_14default_configENS1_20scan_config_selectorIxEEZZNS1_9scan_implILNS1_25lookback_scan_determinismE0ELb0ELb1ES3_N6thrust23THRUST_200600_302600_NS6detail15normal_iteratorINS9_10device_ptrIxEEEESE_xNS9_10multipliesIxEExEEDaPvRmT3_T4_T5_mT6_P12ihipStream_tbENKUlT_T0_E_clISt17integral_constantIbLb1EEST_IbLb0EEEEDaSP_SQ_EUlSP_E_NS1_11comp_targetILNS1_3genE10ELNS1_11target_archE1200ELNS1_3gpuE4ELNS1_3repE0EEENS1_30default_config_static_selectorELNS0_4arch9wavefront6targetE1EEEvT1_
		.amdhsa_group_segment_fixed_size 0
		.amdhsa_private_segment_fixed_size 0
		.amdhsa_kernarg_size 104
		.amdhsa_user_sgpr_count 6
		.amdhsa_user_sgpr_private_segment_buffer 1
		.amdhsa_user_sgpr_dispatch_ptr 0
		.amdhsa_user_sgpr_queue_ptr 0
		.amdhsa_user_sgpr_kernarg_segment_ptr 1
		.amdhsa_user_sgpr_dispatch_id 0
		.amdhsa_user_sgpr_flat_scratch_init 0
		.amdhsa_user_sgpr_kernarg_preload_length 0
		.amdhsa_user_sgpr_kernarg_preload_offset 0
		.amdhsa_user_sgpr_private_segment_size 0
		.amdhsa_uses_dynamic_stack 0
		.amdhsa_system_sgpr_private_segment_wavefront_offset 0
		.amdhsa_system_sgpr_workgroup_id_x 1
		.amdhsa_system_sgpr_workgroup_id_y 0
		.amdhsa_system_sgpr_workgroup_id_z 0
		.amdhsa_system_sgpr_workgroup_info 0
		.amdhsa_system_vgpr_workitem_id 0
		.amdhsa_next_free_vgpr 1
		.amdhsa_next_free_sgpr 0
		.amdhsa_accum_offset 4
		.amdhsa_reserve_vcc 0
		.amdhsa_reserve_flat_scratch 0
		.amdhsa_float_round_mode_32 0
		.amdhsa_float_round_mode_16_64 0
		.amdhsa_float_denorm_mode_32 3
		.amdhsa_float_denorm_mode_16_64 3
		.amdhsa_dx10_clamp 1
		.amdhsa_ieee_mode 1
		.amdhsa_fp16_overflow 0
		.amdhsa_tg_split 0
		.amdhsa_exception_fp_ieee_invalid_op 0
		.amdhsa_exception_fp_denorm_src 0
		.amdhsa_exception_fp_ieee_div_zero 0
		.amdhsa_exception_fp_ieee_overflow 0
		.amdhsa_exception_fp_ieee_underflow 0
		.amdhsa_exception_fp_ieee_inexact 0
		.amdhsa_exception_int_div_zero 0
	.end_amdhsa_kernel
	.section	.text._ZN7rocprim17ROCPRIM_400000_NS6detail17trampoline_kernelINS0_14default_configENS1_20scan_config_selectorIxEEZZNS1_9scan_implILNS1_25lookback_scan_determinismE0ELb0ELb1ES3_N6thrust23THRUST_200600_302600_NS6detail15normal_iteratorINS9_10device_ptrIxEEEESE_xNS9_10multipliesIxEExEEDaPvRmT3_T4_T5_mT6_P12ihipStream_tbENKUlT_T0_E_clISt17integral_constantIbLb1EEST_IbLb0EEEEDaSP_SQ_EUlSP_E_NS1_11comp_targetILNS1_3genE10ELNS1_11target_archE1200ELNS1_3gpuE4ELNS1_3repE0EEENS1_30default_config_static_selectorELNS0_4arch9wavefront6targetE1EEEvT1_,"axG",@progbits,_ZN7rocprim17ROCPRIM_400000_NS6detail17trampoline_kernelINS0_14default_configENS1_20scan_config_selectorIxEEZZNS1_9scan_implILNS1_25lookback_scan_determinismE0ELb0ELb1ES3_N6thrust23THRUST_200600_302600_NS6detail15normal_iteratorINS9_10device_ptrIxEEEESE_xNS9_10multipliesIxEExEEDaPvRmT3_T4_T5_mT6_P12ihipStream_tbENKUlT_T0_E_clISt17integral_constantIbLb1EEST_IbLb0EEEEDaSP_SQ_EUlSP_E_NS1_11comp_targetILNS1_3genE10ELNS1_11target_archE1200ELNS1_3gpuE4ELNS1_3repE0EEENS1_30default_config_static_selectorELNS0_4arch9wavefront6targetE1EEEvT1_,comdat
.Lfunc_end312:
	.size	_ZN7rocprim17ROCPRIM_400000_NS6detail17trampoline_kernelINS0_14default_configENS1_20scan_config_selectorIxEEZZNS1_9scan_implILNS1_25lookback_scan_determinismE0ELb0ELb1ES3_N6thrust23THRUST_200600_302600_NS6detail15normal_iteratorINS9_10device_ptrIxEEEESE_xNS9_10multipliesIxEExEEDaPvRmT3_T4_T5_mT6_P12ihipStream_tbENKUlT_T0_E_clISt17integral_constantIbLb1EEST_IbLb0EEEEDaSP_SQ_EUlSP_E_NS1_11comp_targetILNS1_3genE10ELNS1_11target_archE1200ELNS1_3gpuE4ELNS1_3repE0EEENS1_30default_config_static_selectorELNS0_4arch9wavefront6targetE1EEEvT1_, .Lfunc_end312-_ZN7rocprim17ROCPRIM_400000_NS6detail17trampoline_kernelINS0_14default_configENS1_20scan_config_selectorIxEEZZNS1_9scan_implILNS1_25lookback_scan_determinismE0ELb0ELb1ES3_N6thrust23THRUST_200600_302600_NS6detail15normal_iteratorINS9_10device_ptrIxEEEESE_xNS9_10multipliesIxEExEEDaPvRmT3_T4_T5_mT6_P12ihipStream_tbENKUlT_T0_E_clISt17integral_constantIbLb1EEST_IbLb0EEEEDaSP_SQ_EUlSP_E_NS1_11comp_targetILNS1_3genE10ELNS1_11target_archE1200ELNS1_3gpuE4ELNS1_3repE0EEENS1_30default_config_static_selectorELNS0_4arch9wavefront6targetE1EEEvT1_
                                        ; -- End function
	.section	.AMDGPU.csdata,"",@progbits
; Kernel info:
; codeLenInByte = 0
; NumSgprs: 4
; NumVgprs: 0
; NumAgprs: 0
; TotalNumVgprs: 0
; ScratchSize: 0
; MemoryBound: 0
; FloatMode: 240
; IeeeMode: 1
; LDSByteSize: 0 bytes/workgroup (compile time only)
; SGPRBlocks: 0
; VGPRBlocks: 0
; NumSGPRsForWavesPerEU: 4
; NumVGPRsForWavesPerEU: 1
; AccumOffset: 4
; Occupancy: 8
; WaveLimiterHint : 0
; COMPUTE_PGM_RSRC2:SCRATCH_EN: 0
; COMPUTE_PGM_RSRC2:USER_SGPR: 6
; COMPUTE_PGM_RSRC2:TRAP_HANDLER: 0
; COMPUTE_PGM_RSRC2:TGID_X_EN: 1
; COMPUTE_PGM_RSRC2:TGID_Y_EN: 0
; COMPUTE_PGM_RSRC2:TGID_Z_EN: 0
; COMPUTE_PGM_RSRC2:TIDIG_COMP_CNT: 0
; COMPUTE_PGM_RSRC3_GFX90A:ACCUM_OFFSET: 0
; COMPUTE_PGM_RSRC3_GFX90A:TG_SPLIT: 0
	.section	.text._ZN7rocprim17ROCPRIM_400000_NS6detail17trampoline_kernelINS0_14default_configENS1_20scan_config_selectorIxEEZZNS1_9scan_implILNS1_25lookback_scan_determinismE0ELb0ELb1ES3_N6thrust23THRUST_200600_302600_NS6detail15normal_iteratorINS9_10device_ptrIxEEEESE_xNS9_10multipliesIxEExEEDaPvRmT3_T4_T5_mT6_P12ihipStream_tbENKUlT_T0_E_clISt17integral_constantIbLb1EEST_IbLb0EEEEDaSP_SQ_EUlSP_E_NS1_11comp_targetILNS1_3genE9ELNS1_11target_archE1100ELNS1_3gpuE3ELNS1_3repE0EEENS1_30default_config_static_selectorELNS0_4arch9wavefront6targetE1EEEvT1_,"axG",@progbits,_ZN7rocprim17ROCPRIM_400000_NS6detail17trampoline_kernelINS0_14default_configENS1_20scan_config_selectorIxEEZZNS1_9scan_implILNS1_25lookback_scan_determinismE0ELb0ELb1ES3_N6thrust23THRUST_200600_302600_NS6detail15normal_iteratorINS9_10device_ptrIxEEEESE_xNS9_10multipliesIxEExEEDaPvRmT3_T4_T5_mT6_P12ihipStream_tbENKUlT_T0_E_clISt17integral_constantIbLb1EEST_IbLb0EEEEDaSP_SQ_EUlSP_E_NS1_11comp_targetILNS1_3genE9ELNS1_11target_archE1100ELNS1_3gpuE3ELNS1_3repE0EEENS1_30default_config_static_selectorELNS0_4arch9wavefront6targetE1EEEvT1_,comdat
	.protected	_ZN7rocprim17ROCPRIM_400000_NS6detail17trampoline_kernelINS0_14default_configENS1_20scan_config_selectorIxEEZZNS1_9scan_implILNS1_25lookback_scan_determinismE0ELb0ELb1ES3_N6thrust23THRUST_200600_302600_NS6detail15normal_iteratorINS9_10device_ptrIxEEEESE_xNS9_10multipliesIxEExEEDaPvRmT3_T4_T5_mT6_P12ihipStream_tbENKUlT_T0_E_clISt17integral_constantIbLb1EEST_IbLb0EEEEDaSP_SQ_EUlSP_E_NS1_11comp_targetILNS1_3genE9ELNS1_11target_archE1100ELNS1_3gpuE3ELNS1_3repE0EEENS1_30default_config_static_selectorELNS0_4arch9wavefront6targetE1EEEvT1_ ; -- Begin function _ZN7rocprim17ROCPRIM_400000_NS6detail17trampoline_kernelINS0_14default_configENS1_20scan_config_selectorIxEEZZNS1_9scan_implILNS1_25lookback_scan_determinismE0ELb0ELb1ES3_N6thrust23THRUST_200600_302600_NS6detail15normal_iteratorINS9_10device_ptrIxEEEESE_xNS9_10multipliesIxEExEEDaPvRmT3_T4_T5_mT6_P12ihipStream_tbENKUlT_T0_E_clISt17integral_constantIbLb1EEST_IbLb0EEEEDaSP_SQ_EUlSP_E_NS1_11comp_targetILNS1_3genE9ELNS1_11target_archE1100ELNS1_3gpuE3ELNS1_3repE0EEENS1_30default_config_static_selectorELNS0_4arch9wavefront6targetE1EEEvT1_
	.globl	_ZN7rocprim17ROCPRIM_400000_NS6detail17trampoline_kernelINS0_14default_configENS1_20scan_config_selectorIxEEZZNS1_9scan_implILNS1_25lookback_scan_determinismE0ELb0ELb1ES3_N6thrust23THRUST_200600_302600_NS6detail15normal_iteratorINS9_10device_ptrIxEEEESE_xNS9_10multipliesIxEExEEDaPvRmT3_T4_T5_mT6_P12ihipStream_tbENKUlT_T0_E_clISt17integral_constantIbLb1EEST_IbLb0EEEEDaSP_SQ_EUlSP_E_NS1_11comp_targetILNS1_3genE9ELNS1_11target_archE1100ELNS1_3gpuE3ELNS1_3repE0EEENS1_30default_config_static_selectorELNS0_4arch9wavefront6targetE1EEEvT1_
	.p2align	8
	.type	_ZN7rocprim17ROCPRIM_400000_NS6detail17trampoline_kernelINS0_14default_configENS1_20scan_config_selectorIxEEZZNS1_9scan_implILNS1_25lookback_scan_determinismE0ELb0ELb1ES3_N6thrust23THRUST_200600_302600_NS6detail15normal_iteratorINS9_10device_ptrIxEEEESE_xNS9_10multipliesIxEExEEDaPvRmT3_T4_T5_mT6_P12ihipStream_tbENKUlT_T0_E_clISt17integral_constantIbLb1EEST_IbLb0EEEEDaSP_SQ_EUlSP_E_NS1_11comp_targetILNS1_3genE9ELNS1_11target_archE1100ELNS1_3gpuE3ELNS1_3repE0EEENS1_30default_config_static_selectorELNS0_4arch9wavefront6targetE1EEEvT1_,@function
_ZN7rocprim17ROCPRIM_400000_NS6detail17trampoline_kernelINS0_14default_configENS1_20scan_config_selectorIxEEZZNS1_9scan_implILNS1_25lookback_scan_determinismE0ELb0ELb1ES3_N6thrust23THRUST_200600_302600_NS6detail15normal_iteratorINS9_10device_ptrIxEEEESE_xNS9_10multipliesIxEExEEDaPvRmT3_T4_T5_mT6_P12ihipStream_tbENKUlT_T0_E_clISt17integral_constantIbLb1EEST_IbLb0EEEEDaSP_SQ_EUlSP_E_NS1_11comp_targetILNS1_3genE9ELNS1_11target_archE1100ELNS1_3gpuE3ELNS1_3repE0EEENS1_30default_config_static_selectorELNS0_4arch9wavefront6targetE1EEEvT1_: ; @_ZN7rocprim17ROCPRIM_400000_NS6detail17trampoline_kernelINS0_14default_configENS1_20scan_config_selectorIxEEZZNS1_9scan_implILNS1_25lookback_scan_determinismE0ELb0ELb1ES3_N6thrust23THRUST_200600_302600_NS6detail15normal_iteratorINS9_10device_ptrIxEEEESE_xNS9_10multipliesIxEExEEDaPvRmT3_T4_T5_mT6_P12ihipStream_tbENKUlT_T0_E_clISt17integral_constantIbLb1EEST_IbLb0EEEEDaSP_SQ_EUlSP_E_NS1_11comp_targetILNS1_3genE9ELNS1_11target_archE1100ELNS1_3gpuE3ELNS1_3repE0EEENS1_30default_config_static_selectorELNS0_4arch9wavefront6targetE1EEEvT1_
; %bb.0:
	.section	.rodata,"a",@progbits
	.p2align	6, 0x0
	.amdhsa_kernel _ZN7rocprim17ROCPRIM_400000_NS6detail17trampoline_kernelINS0_14default_configENS1_20scan_config_selectorIxEEZZNS1_9scan_implILNS1_25lookback_scan_determinismE0ELb0ELb1ES3_N6thrust23THRUST_200600_302600_NS6detail15normal_iteratorINS9_10device_ptrIxEEEESE_xNS9_10multipliesIxEExEEDaPvRmT3_T4_T5_mT6_P12ihipStream_tbENKUlT_T0_E_clISt17integral_constantIbLb1EEST_IbLb0EEEEDaSP_SQ_EUlSP_E_NS1_11comp_targetILNS1_3genE9ELNS1_11target_archE1100ELNS1_3gpuE3ELNS1_3repE0EEENS1_30default_config_static_selectorELNS0_4arch9wavefront6targetE1EEEvT1_
		.amdhsa_group_segment_fixed_size 0
		.amdhsa_private_segment_fixed_size 0
		.amdhsa_kernarg_size 104
		.amdhsa_user_sgpr_count 6
		.amdhsa_user_sgpr_private_segment_buffer 1
		.amdhsa_user_sgpr_dispatch_ptr 0
		.amdhsa_user_sgpr_queue_ptr 0
		.amdhsa_user_sgpr_kernarg_segment_ptr 1
		.amdhsa_user_sgpr_dispatch_id 0
		.amdhsa_user_sgpr_flat_scratch_init 0
		.amdhsa_user_sgpr_kernarg_preload_length 0
		.amdhsa_user_sgpr_kernarg_preload_offset 0
		.amdhsa_user_sgpr_private_segment_size 0
		.amdhsa_uses_dynamic_stack 0
		.amdhsa_system_sgpr_private_segment_wavefront_offset 0
		.amdhsa_system_sgpr_workgroup_id_x 1
		.amdhsa_system_sgpr_workgroup_id_y 0
		.amdhsa_system_sgpr_workgroup_id_z 0
		.amdhsa_system_sgpr_workgroup_info 0
		.amdhsa_system_vgpr_workitem_id 0
		.amdhsa_next_free_vgpr 1
		.amdhsa_next_free_sgpr 0
		.amdhsa_accum_offset 4
		.amdhsa_reserve_vcc 0
		.amdhsa_reserve_flat_scratch 0
		.amdhsa_float_round_mode_32 0
		.amdhsa_float_round_mode_16_64 0
		.amdhsa_float_denorm_mode_32 3
		.amdhsa_float_denorm_mode_16_64 3
		.amdhsa_dx10_clamp 1
		.amdhsa_ieee_mode 1
		.amdhsa_fp16_overflow 0
		.amdhsa_tg_split 0
		.amdhsa_exception_fp_ieee_invalid_op 0
		.amdhsa_exception_fp_denorm_src 0
		.amdhsa_exception_fp_ieee_div_zero 0
		.amdhsa_exception_fp_ieee_overflow 0
		.amdhsa_exception_fp_ieee_underflow 0
		.amdhsa_exception_fp_ieee_inexact 0
		.amdhsa_exception_int_div_zero 0
	.end_amdhsa_kernel
	.section	.text._ZN7rocprim17ROCPRIM_400000_NS6detail17trampoline_kernelINS0_14default_configENS1_20scan_config_selectorIxEEZZNS1_9scan_implILNS1_25lookback_scan_determinismE0ELb0ELb1ES3_N6thrust23THRUST_200600_302600_NS6detail15normal_iteratorINS9_10device_ptrIxEEEESE_xNS9_10multipliesIxEExEEDaPvRmT3_T4_T5_mT6_P12ihipStream_tbENKUlT_T0_E_clISt17integral_constantIbLb1EEST_IbLb0EEEEDaSP_SQ_EUlSP_E_NS1_11comp_targetILNS1_3genE9ELNS1_11target_archE1100ELNS1_3gpuE3ELNS1_3repE0EEENS1_30default_config_static_selectorELNS0_4arch9wavefront6targetE1EEEvT1_,"axG",@progbits,_ZN7rocprim17ROCPRIM_400000_NS6detail17trampoline_kernelINS0_14default_configENS1_20scan_config_selectorIxEEZZNS1_9scan_implILNS1_25lookback_scan_determinismE0ELb0ELb1ES3_N6thrust23THRUST_200600_302600_NS6detail15normal_iteratorINS9_10device_ptrIxEEEESE_xNS9_10multipliesIxEExEEDaPvRmT3_T4_T5_mT6_P12ihipStream_tbENKUlT_T0_E_clISt17integral_constantIbLb1EEST_IbLb0EEEEDaSP_SQ_EUlSP_E_NS1_11comp_targetILNS1_3genE9ELNS1_11target_archE1100ELNS1_3gpuE3ELNS1_3repE0EEENS1_30default_config_static_selectorELNS0_4arch9wavefront6targetE1EEEvT1_,comdat
.Lfunc_end313:
	.size	_ZN7rocprim17ROCPRIM_400000_NS6detail17trampoline_kernelINS0_14default_configENS1_20scan_config_selectorIxEEZZNS1_9scan_implILNS1_25lookback_scan_determinismE0ELb0ELb1ES3_N6thrust23THRUST_200600_302600_NS6detail15normal_iteratorINS9_10device_ptrIxEEEESE_xNS9_10multipliesIxEExEEDaPvRmT3_T4_T5_mT6_P12ihipStream_tbENKUlT_T0_E_clISt17integral_constantIbLb1EEST_IbLb0EEEEDaSP_SQ_EUlSP_E_NS1_11comp_targetILNS1_3genE9ELNS1_11target_archE1100ELNS1_3gpuE3ELNS1_3repE0EEENS1_30default_config_static_selectorELNS0_4arch9wavefront6targetE1EEEvT1_, .Lfunc_end313-_ZN7rocprim17ROCPRIM_400000_NS6detail17trampoline_kernelINS0_14default_configENS1_20scan_config_selectorIxEEZZNS1_9scan_implILNS1_25lookback_scan_determinismE0ELb0ELb1ES3_N6thrust23THRUST_200600_302600_NS6detail15normal_iteratorINS9_10device_ptrIxEEEESE_xNS9_10multipliesIxEExEEDaPvRmT3_T4_T5_mT6_P12ihipStream_tbENKUlT_T0_E_clISt17integral_constantIbLb1EEST_IbLb0EEEEDaSP_SQ_EUlSP_E_NS1_11comp_targetILNS1_3genE9ELNS1_11target_archE1100ELNS1_3gpuE3ELNS1_3repE0EEENS1_30default_config_static_selectorELNS0_4arch9wavefront6targetE1EEEvT1_
                                        ; -- End function
	.section	.AMDGPU.csdata,"",@progbits
; Kernel info:
; codeLenInByte = 0
; NumSgprs: 4
; NumVgprs: 0
; NumAgprs: 0
; TotalNumVgprs: 0
; ScratchSize: 0
; MemoryBound: 0
; FloatMode: 240
; IeeeMode: 1
; LDSByteSize: 0 bytes/workgroup (compile time only)
; SGPRBlocks: 0
; VGPRBlocks: 0
; NumSGPRsForWavesPerEU: 4
; NumVGPRsForWavesPerEU: 1
; AccumOffset: 4
; Occupancy: 8
; WaveLimiterHint : 0
; COMPUTE_PGM_RSRC2:SCRATCH_EN: 0
; COMPUTE_PGM_RSRC2:USER_SGPR: 6
; COMPUTE_PGM_RSRC2:TRAP_HANDLER: 0
; COMPUTE_PGM_RSRC2:TGID_X_EN: 1
; COMPUTE_PGM_RSRC2:TGID_Y_EN: 0
; COMPUTE_PGM_RSRC2:TGID_Z_EN: 0
; COMPUTE_PGM_RSRC2:TIDIG_COMP_CNT: 0
; COMPUTE_PGM_RSRC3_GFX90A:ACCUM_OFFSET: 0
; COMPUTE_PGM_RSRC3_GFX90A:TG_SPLIT: 0
	.section	.text._ZN7rocprim17ROCPRIM_400000_NS6detail17trampoline_kernelINS0_14default_configENS1_20scan_config_selectorIxEEZZNS1_9scan_implILNS1_25lookback_scan_determinismE0ELb0ELb1ES3_N6thrust23THRUST_200600_302600_NS6detail15normal_iteratorINS9_10device_ptrIxEEEESE_xNS9_10multipliesIxEExEEDaPvRmT3_T4_T5_mT6_P12ihipStream_tbENKUlT_T0_E_clISt17integral_constantIbLb1EEST_IbLb0EEEEDaSP_SQ_EUlSP_E_NS1_11comp_targetILNS1_3genE8ELNS1_11target_archE1030ELNS1_3gpuE2ELNS1_3repE0EEENS1_30default_config_static_selectorELNS0_4arch9wavefront6targetE1EEEvT1_,"axG",@progbits,_ZN7rocprim17ROCPRIM_400000_NS6detail17trampoline_kernelINS0_14default_configENS1_20scan_config_selectorIxEEZZNS1_9scan_implILNS1_25lookback_scan_determinismE0ELb0ELb1ES3_N6thrust23THRUST_200600_302600_NS6detail15normal_iteratorINS9_10device_ptrIxEEEESE_xNS9_10multipliesIxEExEEDaPvRmT3_T4_T5_mT6_P12ihipStream_tbENKUlT_T0_E_clISt17integral_constantIbLb1EEST_IbLb0EEEEDaSP_SQ_EUlSP_E_NS1_11comp_targetILNS1_3genE8ELNS1_11target_archE1030ELNS1_3gpuE2ELNS1_3repE0EEENS1_30default_config_static_selectorELNS0_4arch9wavefront6targetE1EEEvT1_,comdat
	.protected	_ZN7rocprim17ROCPRIM_400000_NS6detail17trampoline_kernelINS0_14default_configENS1_20scan_config_selectorIxEEZZNS1_9scan_implILNS1_25lookback_scan_determinismE0ELb0ELb1ES3_N6thrust23THRUST_200600_302600_NS6detail15normal_iteratorINS9_10device_ptrIxEEEESE_xNS9_10multipliesIxEExEEDaPvRmT3_T4_T5_mT6_P12ihipStream_tbENKUlT_T0_E_clISt17integral_constantIbLb1EEST_IbLb0EEEEDaSP_SQ_EUlSP_E_NS1_11comp_targetILNS1_3genE8ELNS1_11target_archE1030ELNS1_3gpuE2ELNS1_3repE0EEENS1_30default_config_static_selectorELNS0_4arch9wavefront6targetE1EEEvT1_ ; -- Begin function _ZN7rocprim17ROCPRIM_400000_NS6detail17trampoline_kernelINS0_14default_configENS1_20scan_config_selectorIxEEZZNS1_9scan_implILNS1_25lookback_scan_determinismE0ELb0ELb1ES3_N6thrust23THRUST_200600_302600_NS6detail15normal_iteratorINS9_10device_ptrIxEEEESE_xNS9_10multipliesIxEExEEDaPvRmT3_T4_T5_mT6_P12ihipStream_tbENKUlT_T0_E_clISt17integral_constantIbLb1EEST_IbLb0EEEEDaSP_SQ_EUlSP_E_NS1_11comp_targetILNS1_3genE8ELNS1_11target_archE1030ELNS1_3gpuE2ELNS1_3repE0EEENS1_30default_config_static_selectorELNS0_4arch9wavefront6targetE1EEEvT1_
	.globl	_ZN7rocprim17ROCPRIM_400000_NS6detail17trampoline_kernelINS0_14default_configENS1_20scan_config_selectorIxEEZZNS1_9scan_implILNS1_25lookback_scan_determinismE0ELb0ELb1ES3_N6thrust23THRUST_200600_302600_NS6detail15normal_iteratorINS9_10device_ptrIxEEEESE_xNS9_10multipliesIxEExEEDaPvRmT3_T4_T5_mT6_P12ihipStream_tbENKUlT_T0_E_clISt17integral_constantIbLb1EEST_IbLb0EEEEDaSP_SQ_EUlSP_E_NS1_11comp_targetILNS1_3genE8ELNS1_11target_archE1030ELNS1_3gpuE2ELNS1_3repE0EEENS1_30default_config_static_selectorELNS0_4arch9wavefront6targetE1EEEvT1_
	.p2align	8
	.type	_ZN7rocprim17ROCPRIM_400000_NS6detail17trampoline_kernelINS0_14default_configENS1_20scan_config_selectorIxEEZZNS1_9scan_implILNS1_25lookback_scan_determinismE0ELb0ELb1ES3_N6thrust23THRUST_200600_302600_NS6detail15normal_iteratorINS9_10device_ptrIxEEEESE_xNS9_10multipliesIxEExEEDaPvRmT3_T4_T5_mT6_P12ihipStream_tbENKUlT_T0_E_clISt17integral_constantIbLb1EEST_IbLb0EEEEDaSP_SQ_EUlSP_E_NS1_11comp_targetILNS1_3genE8ELNS1_11target_archE1030ELNS1_3gpuE2ELNS1_3repE0EEENS1_30default_config_static_selectorELNS0_4arch9wavefront6targetE1EEEvT1_,@function
_ZN7rocprim17ROCPRIM_400000_NS6detail17trampoline_kernelINS0_14default_configENS1_20scan_config_selectorIxEEZZNS1_9scan_implILNS1_25lookback_scan_determinismE0ELb0ELb1ES3_N6thrust23THRUST_200600_302600_NS6detail15normal_iteratorINS9_10device_ptrIxEEEESE_xNS9_10multipliesIxEExEEDaPvRmT3_T4_T5_mT6_P12ihipStream_tbENKUlT_T0_E_clISt17integral_constantIbLb1EEST_IbLb0EEEEDaSP_SQ_EUlSP_E_NS1_11comp_targetILNS1_3genE8ELNS1_11target_archE1030ELNS1_3gpuE2ELNS1_3repE0EEENS1_30default_config_static_selectorELNS0_4arch9wavefront6targetE1EEEvT1_: ; @_ZN7rocprim17ROCPRIM_400000_NS6detail17trampoline_kernelINS0_14default_configENS1_20scan_config_selectorIxEEZZNS1_9scan_implILNS1_25lookback_scan_determinismE0ELb0ELb1ES3_N6thrust23THRUST_200600_302600_NS6detail15normal_iteratorINS9_10device_ptrIxEEEESE_xNS9_10multipliesIxEExEEDaPvRmT3_T4_T5_mT6_P12ihipStream_tbENKUlT_T0_E_clISt17integral_constantIbLb1EEST_IbLb0EEEEDaSP_SQ_EUlSP_E_NS1_11comp_targetILNS1_3genE8ELNS1_11target_archE1030ELNS1_3gpuE2ELNS1_3repE0EEENS1_30default_config_static_selectorELNS0_4arch9wavefront6targetE1EEEvT1_
; %bb.0:
	.section	.rodata,"a",@progbits
	.p2align	6, 0x0
	.amdhsa_kernel _ZN7rocprim17ROCPRIM_400000_NS6detail17trampoline_kernelINS0_14default_configENS1_20scan_config_selectorIxEEZZNS1_9scan_implILNS1_25lookback_scan_determinismE0ELb0ELb1ES3_N6thrust23THRUST_200600_302600_NS6detail15normal_iteratorINS9_10device_ptrIxEEEESE_xNS9_10multipliesIxEExEEDaPvRmT3_T4_T5_mT6_P12ihipStream_tbENKUlT_T0_E_clISt17integral_constantIbLb1EEST_IbLb0EEEEDaSP_SQ_EUlSP_E_NS1_11comp_targetILNS1_3genE8ELNS1_11target_archE1030ELNS1_3gpuE2ELNS1_3repE0EEENS1_30default_config_static_selectorELNS0_4arch9wavefront6targetE1EEEvT1_
		.amdhsa_group_segment_fixed_size 0
		.amdhsa_private_segment_fixed_size 0
		.amdhsa_kernarg_size 104
		.amdhsa_user_sgpr_count 6
		.amdhsa_user_sgpr_private_segment_buffer 1
		.amdhsa_user_sgpr_dispatch_ptr 0
		.amdhsa_user_sgpr_queue_ptr 0
		.amdhsa_user_sgpr_kernarg_segment_ptr 1
		.amdhsa_user_sgpr_dispatch_id 0
		.amdhsa_user_sgpr_flat_scratch_init 0
		.amdhsa_user_sgpr_kernarg_preload_length 0
		.amdhsa_user_sgpr_kernarg_preload_offset 0
		.amdhsa_user_sgpr_private_segment_size 0
		.amdhsa_uses_dynamic_stack 0
		.amdhsa_system_sgpr_private_segment_wavefront_offset 0
		.amdhsa_system_sgpr_workgroup_id_x 1
		.amdhsa_system_sgpr_workgroup_id_y 0
		.amdhsa_system_sgpr_workgroup_id_z 0
		.amdhsa_system_sgpr_workgroup_info 0
		.amdhsa_system_vgpr_workitem_id 0
		.amdhsa_next_free_vgpr 1
		.amdhsa_next_free_sgpr 0
		.amdhsa_accum_offset 4
		.amdhsa_reserve_vcc 0
		.amdhsa_reserve_flat_scratch 0
		.amdhsa_float_round_mode_32 0
		.amdhsa_float_round_mode_16_64 0
		.amdhsa_float_denorm_mode_32 3
		.amdhsa_float_denorm_mode_16_64 3
		.amdhsa_dx10_clamp 1
		.amdhsa_ieee_mode 1
		.amdhsa_fp16_overflow 0
		.amdhsa_tg_split 0
		.amdhsa_exception_fp_ieee_invalid_op 0
		.amdhsa_exception_fp_denorm_src 0
		.amdhsa_exception_fp_ieee_div_zero 0
		.amdhsa_exception_fp_ieee_overflow 0
		.amdhsa_exception_fp_ieee_underflow 0
		.amdhsa_exception_fp_ieee_inexact 0
		.amdhsa_exception_int_div_zero 0
	.end_amdhsa_kernel
	.section	.text._ZN7rocprim17ROCPRIM_400000_NS6detail17trampoline_kernelINS0_14default_configENS1_20scan_config_selectorIxEEZZNS1_9scan_implILNS1_25lookback_scan_determinismE0ELb0ELb1ES3_N6thrust23THRUST_200600_302600_NS6detail15normal_iteratorINS9_10device_ptrIxEEEESE_xNS9_10multipliesIxEExEEDaPvRmT3_T4_T5_mT6_P12ihipStream_tbENKUlT_T0_E_clISt17integral_constantIbLb1EEST_IbLb0EEEEDaSP_SQ_EUlSP_E_NS1_11comp_targetILNS1_3genE8ELNS1_11target_archE1030ELNS1_3gpuE2ELNS1_3repE0EEENS1_30default_config_static_selectorELNS0_4arch9wavefront6targetE1EEEvT1_,"axG",@progbits,_ZN7rocprim17ROCPRIM_400000_NS6detail17trampoline_kernelINS0_14default_configENS1_20scan_config_selectorIxEEZZNS1_9scan_implILNS1_25lookback_scan_determinismE0ELb0ELb1ES3_N6thrust23THRUST_200600_302600_NS6detail15normal_iteratorINS9_10device_ptrIxEEEESE_xNS9_10multipliesIxEExEEDaPvRmT3_T4_T5_mT6_P12ihipStream_tbENKUlT_T0_E_clISt17integral_constantIbLb1EEST_IbLb0EEEEDaSP_SQ_EUlSP_E_NS1_11comp_targetILNS1_3genE8ELNS1_11target_archE1030ELNS1_3gpuE2ELNS1_3repE0EEENS1_30default_config_static_selectorELNS0_4arch9wavefront6targetE1EEEvT1_,comdat
.Lfunc_end314:
	.size	_ZN7rocprim17ROCPRIM_400000_NS6detail17trampoline_kernelINS0_14default_configENS1_20scan_config_selectorIxEEZZNS1_9scan_implILNS1_25lookback_scan_determinismE0ELb0ELb1ES3_N6thrust23THRUST_200600_302600_NS6detail15normal_iteratorINS9_10device_ptrIxEEEESE_xNS9_10multipliesIxEExEEDaPvRmT3_T4_T5_mT6_P12ihipStream_tbENKUlT_T0_E_clISt17integral_constantIbLb1EEST_IbLb0EEEEDaSP_SQ_EUlSP_E_NS1_11comp_targetILNS1_3genE8ELNS1_11target_archE1030ELNS1_3gpuE2ELNS1_3repE0EEENS1_30default_config_static_selectorELNS0_4arch9wavefront6targetE1EEEvT1_, .Lfunc_end314-_ZN7rocprim17ROCPRIM_400000_NS6detail17trampoline_kernelINS0_14default_configENS1_20scan_config_selectorIxEEZZNS1_9scan_implILNS1_25lookback_scan_determinismE0ELb0ELb1ES3_N6thrust23THRUST_200600_302600_NS6detail15normal_iteratorINS9_10device_ptrIxEEEESE_xNS9_10multipliesIxEExEEDaPvRmT3_T4_T5_mT6_P12ihipStream_tbENKUlT_T0_E_clISt17integral_constantIbLb1EEST_IbLb0EEEEDaSP_SQ_EUlSP_E_NS1_11comp_targetILNS1_3genE8ELNS1_11target_archE1030ELNS1_3gpuE2ELNS1_3repE0EEENS1_30default_config_static_selectorELNS0_4arch9wavefront6targetE1EEEvT1_
                                        ; -- End function
	.section	.AMDGPU.csdata,"",@progbits
; Kernel info:
; codeLenInByte = 0
; NumSgprs: 4
; NumVgprs: 0
; NumAgprs: 0
; TotalNumVgprs: 0
; ScratchSize: 0
; MemoryBound: 0
; FloatMode: 240
; IeeeMode: 1
; LDSByteSize: 0 bytes/workgroup (compile time only)
; SGPRBlocks: 0
; VGPRBlocks: 0
; NumSGPRsForWavesPerEU: 4
; NumVGPRsForWavesPerEU: 1
; AccumOffset: 4
; Occupancy: 8
; WaveLimiterHint : 0
; COMPUTE_PGM_RSRC2:SCRATCH_EN: 0
; COMPUTE_PGM_RSRC2:USER_SGPR: 6
; COMPUTE_PGM_RSRC2:TRAP_HANDLER: 0
; COMPUTE_PGM_RSRC2:TGID_X_EN: 1
; COMPUTE_PGM_RSRC2:TGID_Y_EN: 0
; COMPUTE_PGM_RSRC2:TGID_Z_EN: 0
; COMPUTE_PGM_RSRC2:TIDIG_COMP_CNT: 0
; COMPUTE_PGM_RSRC3_GFX90A:ACCUM_OFFSET: 0
; COMPUTE_PGM_RSRC3_GFX90A:TG_SPLIT: 0
	.section	.text._ZN7rocprim17ROCPRIM_400000_NS6detail17trampoline_kernelINS0_14default_configENS1_20scan_config_selectorIxEEZZNS1_9scan_implILNS1_25lookback_scan_determinismE0ELb0ELb1ES3_N6thrust23THRUST_200600_302600_NS6detail15normal_iteratorINS9_10device_ptrIxEEEESE_xNS9_10multipliesIxEExEEDaPvRmT3_T4_T5_mT6_P12ihipStream_tbENKUlT_T0_E_clISt17integral_constantIbLb1EEST_IbLb0EEEEDaSP_SQ_EUlSP_E0_NS1_11comp_targetILNS1_3genE0ELNS1_11target_archE4294967295ELNS1_3gpuE0ELNS1_3repE0EEENS1_30default_config_static_selectorELNS0_4arch9wavefront6targetE1EEEvT1_,"axG",@progbits,_ZN7rocprim17ROCPRIM_400000_NS6detail17trampoline_kernelINS0_14default_configENS1_20scan_config_selectorIxEEZZNS1_9scan_implILNS1_25lookback_scan_determinismE0ELb0ELb1ES3_N6thrust23THRUST_200600_302600_NS6detail15normal_iteratorINS9_10device_ptrIxEEEESE_xNS9_10multipliesIxEExEEDaPvRmT3_T4_T5_mT6_P12ihipStream_tbENKUlT_T0_E_clISt17integral_constantIbLb1EEST_IbLb0EEEEDaSP_SQ_EUlSP_E0_NS1_11comp_targetILNS1_3genE0ELNS1_11target_archE4294967295ELNS1_3gpuE0ELNS1_3repE0EEENS1_30default_config_static_selectorELNS0_4arch9wavefront6targetE1EEEvT1_,comdat
	.protected	_ZN7rocprim17ROCPRIM_400000_NS6detail17trampoline_kernelINS0_14default_configENS1_20scan_config_selectorIxEEZZNS1_9scan_implILNS1_25lookback_scan_determinismE0ELb0ELb1ES3_N6thrust23THRUST_200600_302600_NS6detail15normal_iteratorINS9_10device_ptrIxEEEESE_xNS9_10multipliesIxEExEEDaPvRmT3_T4_T5_mT6_P12ihipStream_tbENKUlT_T0_E_clISt17integral_constantIbLb1EEST_IbLb0EEEEDaSP_SQ_EUlSP_E0_NS1_11comp_targetILNS1_3genE0ELNS1_11target_archE4294967295ELNS1_3gpuE0ELNS1_3repE0EEENS1_30default_config_static_selectorELNS0_4arch9wavefront6targetE1EEEvT1_ ; -- Begin function _ZN7rocprim17ROCPRIM_400000_NS6detail17trampoline_kernelINS0_14default_configENS1_20scan_config_selectorIxEEZZNS1_9scan_implILNS1_25lookback_scan_determinismE0ELb0ELb1ES3_N6thrust23THRUST_200600_302600_NS6detail15normal_iteratorINS9_10device_ptrIxEEEESE_xNS9_10multipliesIxEExEEDaPvRmT3_T4_T5_mT6_P12ihipStream_tbENKUlT_T0_E_clISt17integral_constantIbLb1EEST_IbLb0EEEEDaSP_SQ_EUlSP_E0_NS1_11comp_targetILNS1_3genE0ELNS1_11target_archE4294967295ELNS1_3gpuE0ELNS1_3repE0EEENS1_30default_config_static_selectorELNS0_4arch9wavefront6targetE1EEEvT1_
	.globl	_ZN7rocprim17ROCPRIM_400000_NS6detail17trampoline_kernelINS0_14default_configENS1_20scan_config_selectorIxEEZZNS1_9scan_implILNS1_25lookback_scan_determinismE0ELb0ELb1ES3_N6thrust23THRUST_200600_302600_NS6detail15normal_iteratorINS9_10device_ptrIxEEEESE_xNS9_10multipliesIxEExEEDaPvRmT3_T4_T5_mT6_P12ihipStream_tbENKUlT_T0_E_clISt17integral_constantIbLb1EEST_IbLb0EEEEDaSP_SQ_EUlSP_E0_NS1_11comp_targetILNS1_3genE0ELNS1_11target_archE4294967295ELNS1_3gpuE0ELNS1_3repE0EEENS1_30default_config_static_selectorELNS0_4arch9wavefront6targetE1EEEvT1_
	.p2align	8
	.type	_ZN7rocprim17ROCPRIM_400000_NS6detail17trampoline_kernelINS0_14default_configENS1_20scan_config_selectorIxEEZZNS1_9scan_implILNS1_25lookback_scan_determinismE0ELb0ELb1ES3_N6thrust23THRUST_200600_302600_NS6detail15normal_iteratorINS9_10device_ptrIxEEEESE_xNS9_10multipliesIxEExEEDaPvRmT3_T4_T5_mT6_P12ihipStream_tbENKUlT_T0_E_clISt17integral_constantIbLb1EEST_IbLb0EEEEDaSP_SQ_EUlSP_E0_NS1_11comp_targetILNS1_3genE0ELNS1_11target_archE4294967295ELNS1_3gpuE0ELNS1_3repE0EEENS1_30default_config_static_selectorELNS0_4arch9wavefront6targetE1EEEvT1_,@function
_ZN7rocprim17ROCPRIM_400000_NS6detail17trampoline_kernelINS0_14default_configENS1_20scan_config_selectorIxEEZZNS1_9scan_implILNS1_25lookback_scan_determinismE0ELb0ELb1ES3_N6thrust23THRUST_200600_302600_NS6detail15normal_iteratorINS9_10device_ptrIxEEEESE_xNS9_10multipliesIxEExEEDaPvRmT3_T4_T5_mT6_P12ihipStream_tbENKUlT_T0_E_clISt17integral_constantIbLb1EEST_IbLb0EEEEDaSP_SQ_EUlSP_E0_NS1_11comp_targetILNS1_3genE0ELNS1_11target_archE4294967295ELNS1_3gpuE0ELNS1_3repE0EEENS1_30default_config_static_selectorELNS0_4arch9wavefront6targetE1EEEvT1_: ; @_ZN7rocprim17ROCPRIM_400000_NS6detail17trampoline_kernelINS0_14default_configENS1_20scan_config_selectorIxEEZZNS1_9scan_implILNS1_25lookback_scan_determinismE0ELb0ELb1ES3_N6thrust23THRUST_200600_302600_NS6detail15normal_iteratorINS9_10device_ptrIxEEEESE_xNS9_10multipliesIxEExEEDaPvRmT3_T4_T5_mT6_P12ihipStream_tbENKUlT_T0_E_clISt17integral_constantIbLb1EEST_IbLb0EEEEDaSP_SQ_EUlSP_E0_NS1_11comp_targetILNS1_3genE0ELNS1_11target_archE4294967295ELNS1_3gpuE0ELNS1_3repE0EEENS1_30default_config_static_selectorELNS0_4arch9wavefront6targetE1EEEvT1_
; %bb.0:
	.section	.rodata,"a",@progbits
	.p2align	6, 0x0
	.amdhsa_kernel _ZN7rocprim17ROCPRIM_400000_NS6detail17trampoline_kernelINS0_14default_configENS1_20scan_config_selectorIxEEZZNS1_9scan_implILNS1_25lookback_scan_determinismE0ELb0ELb1ES3_N6thrust23THRUST_200600_302600_NS6detail15normal_iteratorINS9_10device_ptrIxEEEESE_xNS9_10multipliesIxEExEEDaPvRmT3_T4_T5_mT6_P12ihipStream_tbENKUlT_T0_E_clISt17integral_constantIbLb1EEST_IbLb0EEEEDaSP_SQ_EUlSP_E0_NS1_11comp_targetILNS1_3genE0ELNS1_11target_archE4294967295ELNS1_3gpuE0ELNS1_3repE0EEENS1_30default_config_static_selectorELNS0_4arch9wavefront6targetE1EEEvT1_
		.amdhsa_group_segment_fixed_size 0
		.amdhsa_private_segment_fixed_size 0
		.amdhsa_kernarg_size 40
		.amdhsa_user_sgpr_count 6
		.amdhsa_user_sgpr_private_segment_buffer 1
		.amdhsa_user_sgpr_dispatch_ptr 0
		.amdhsa_user_sgpr_queue_ptr 0
		.amdhsa_user_sgpr_kernarg_segment_ptr 1
		.amdhsa_user_sgpr_dispatch_id 0
		.amdhsa_user_sgpr_flat_scratch_init 0
		.amdhsa_user_sgpr_kernarg_preload_length 0
		.amdhsa_user_sgpr_kernarg_preload_offset 0
		.amdhsa_user_sgpr_private_segment_size 0
		.amdhsa_uses_dynamic_stack 0
		.amdhsa_system_sgpr_private_segment_wavefront_offset 0
		.amdhsa_system_sgpr_workgroup_id_x 1
		.amdhsa_system_sgpr_workgroup_id_y 0
		.amdhsa_system_sgpr_workgroup_id_z 0
		.amdhsa_system_sgpr_workgroup_info 0
		.amdhsa_system_vgpr_workitem_id 0
		.amdhsa_next_free_vgpr 1
		.amdhsa_next_free_sgpr 0
		.amdhsa_accum_offset 4
		.amdhsa_reserve_vcc 0
		.amdhsa_reserve_flat_scratch 0
		.amdhsa_float_round_mode_32 0
		.amdhsa_float_round_mode_16_64 0
		.amdhsa_float_denorm_mode_32 3
		.amdhsa_float_denorm_mode_16_64 3
		.amdhsa_dx10_clamp 1
		.amdhsa_ieee_mode 1
		.amdhsa_fp16_overflow 0
		.amdhsa_tg_split 0
		.amdhsa_exception_fp_ieee_invalid_op 0
		.amdhsa_exception_fp_denorm_src 0
		.amdhsa_exception_fp_ieee_div_zero 0
		.amdhsa_exception_fp_ieee_overflow 0
		.amdhsa_exception_fp_ieee_underflow 0
		.amdhsa_exception_fp_ieee_inexact 0
		.amdhsa_exception_int_div_zero 0
	.end_amdhsa_kernel
	.section	.text._ZN7rocprim17ROCPRIM_400000_NS6detail17trampoline_kernelINS0_14default_configENS1_20scan_config_selectorIxEEZZNS1_9scan_implILNS1_25lookback_scan_determinismE0ELb0ELb1ES3_N6thrust23THRUST_200600_302600_NS6detail15normal_iteratorINS9_10device_ptrIxEEEESE_xNS9_10multipliesIxEExEEDaPvRmT3_T4_T5_mT6_P12ihipStream_tbENKUlT_T0_E_clISt17integral_constantIbLb1EEST_IbLb0EEEEDaSP_SQ_EUlSP_E0_NS1_11comp_targetILNS1_3genE0ELNS1_11target_archE4294967295ELNS1_3gpuE0ELNS1_3repE0EEENS1_30default_config_static_selectorELNS0_4arch9wavefront6targetE1EEEvT1_,"axG",@progbits,_ZN7rocprim17ROCPRIM_400000_NS6detail17trampoline_kernelINS0_14default_configENS1_20scan_config_selectorIxEEZZNS1_9scan_implILNS1_25lookback_scan_determinismE0ELb0ELb1ES3_N6thrust23THRUST_200600_302600_NS6detail15normal_iteratorINS9_10device_ptrIxEEEESE_xNS9_10multipliesIxEExEEDaPvRmT3_T4_T5_mT6_P12ihipStream_tbENKUlT_T0_E_clISt17integral_constantIbLb1EEST_IbLb0EEEEDaSP_SQ_EUlSP_E0_NS1_11comp_targetILNS1_3genE0ELNS1_11target_archE4294967295ELNS1_3gpuE0ELNS1_3repE0EEENS1_30default_config_static_selectorELNS0_4arch9wavefront6targetE1EEEvT1_,comdat
.Lfunc_end315:
	.size	_ZN7rocprim17ROCPRIM_400000_NS6detail17trampoline_kernelINS0_14default_configENS1_20scan_config_selectorIxEEZZNS1_9scan_implILNS1_25lookback_scan_determinismE0ELb0ELb1ES3_N6thrust23THRUST_200600_302600_NS6detail15normal_iteratorINS9_10device_ptrIxEEEESE_xNS9_10multipliesIxEExEEDaPvRmT3_T4_T5_mT6_P12ihipStream_tbENKUlT_T0_E_clISt17integral_constantIbLb1EEST_IbLb0EEEEDaSP_SQ_EUlSP_E0_NS1_11comp_targetILNS1_3genE0ELNS1_11target_archE4294967295ELNS1_3gpuE0ELNS1_3repE0EEENS1_30default_config_static_selectorELNS0_4arch9wavefront6targetE1EEEvT1_, .Lfunc_end315-_ZN7rocprim17ROCPRIM_400000_NS6detail17trampoline_kernelINS0_14default_configENS1_20scan_config_selectorIxEEZZNS1_9scan_implILNS1_25lookback_scan_determinismE0ELb0ELb1ES3_N6thrust23THRUST_200600_302600_NS6detail15normal_iteratorINS9_10device_ptrIxEEEESE_xNS9_10multipliesIxEExEEDaPvRmT3_T4_T5_mT6_P12ihipStream_tbENKUlT_T0_E_clISt17integral_constantIbLb1EEST_IbLb0EEEEDaSP_SQ_EUlSP_E0_NS1_11comp_targetILNS1_3genE0ELNS1_11target_archE4294967295ELNS1_3gpuE0ELNS1_3repE0EEENS1_30default_config_static_selectorELNS0_4arch9wavefront6targetE1EEEvT1_
                                        ; -- End function
	.section	.AMDGPU.csdata,"",@progbits
; Kernel info:
; codeLenInByte = 0
; NumSgprs: 4
; NumVgprs: 0
; NumAgprs: 0
; TotalNumVgprs: 0
; ScratchSize: 0
; MemoryBound: 0
; FloatMode: 240
; IeeeMode: 1
; LDSByteSize: 0 bytes/workgroup (compile time only)
; SGPRBlocks: 0
; VGPRBlocks: 0
; NumSGPRsForWavesPerEU: 4
; NumVGPRsForWavesPerEU: 1
; AccumOffset: 4
; Occupancy: 8
; WaveLimiterHint : 0
; COMPUTE_PGM_RSRC2:SCRATCH_EN: 0
; COMPUTE_PGM_RSRC2:USER_SGPR: 6
; COMPUTE_PGM_RSRC2:TRAP_HANDLER: 0
; COMPUTE_PGM_RSRC2:TGID_X_EN: 1
; COMPUTE_PGM_RSRC2:TGID_Y_EN: 0
; COMPUTE_PGM_RSRC2:TGID_Z_EN: 0
; COMPUTE_PGM_RSRC2:TIDIG_COMP_CNT: 0
; COMPUTE_PGM_RSRC3_GFX90A:ACCUM_OFFSET: 0
; COMPUTE_PGM_RSRC3_GFX90A:TG_SPLIT: 0
	.section	.text._ZN7rocprim17ROCPRIM_400000_NS6detail17trampoline_kernelINS0_14default_configENS1_20scan_config_selectorIxEEZZNS1_9scan_implILNS1_25lookback_scan_determinismE0ELb0ELb1ES3_N6thrust23THRUST_200600_302600_NS6detail15normal_iteratorINS9_10device_ptrIxEEEESE_xNS9_10multipliesIxEExEEDaPvRmT3_T4_T5_mT6_P12ihipStream_tbENKUlT_T0_E_clISt17integral_constantIbLb1EEST_IbLb0EEEEDaSP_SQ_EUlSP_E0_NS1_11comp_targetILNS1_3genE5ELNS1_11target_archE942ELNS1_3gpuE9ELNS1_3repE0EEENS1_30default_config_static_selectorELNS0_4arch9wavefront6targetE1EEEvT1_,"axG",@progbits,_ZN7rocprim17ROCPRIM_400000_NS6detail17trampoline_kernelINS0_14default_configENS1_20scan_config_selectorIxEEZZNS1_9scan_implILNS1_25lookback_scan_determinismE0ELb0ELb1ES3_N6thrust23THRUST_200600_302600_NS6detail15normal_iteratorINS9_10device_ptrIxEEEESE_xNS9_10multipliesIxEExEEDaPvRmT3_T4_T5_mT6_P12ihipStream_tbENKUlT_T0_E_clISt17integral_constantIbLb1EEST_IbLb0EEEEDaSP_SQ_EUlSP_E0_NS1_11comp_targetILNS1_3genE5ELNS1_11target_archE942ELNS1_3gpuE9ELNS1_3repE0EEENS1_30default_config_static_selectorELNS0_4arch9wavefront6targetE1EEEvT1_,comdat
	.protected	_ZN7rocprim17ROCPRIM_400000_NS6detail17trampoline_kernelINS0_14default_configENS1_20scan_config_selectorIxEEZZNS1_9scan_implILNS1_25lookback_scan_determinismE0ELb0ELb1ES3_N6thrust23THRUST_200600_302600_NS6detail15normal_iteratorINS9_10device_ptrIxEEEESE_xNS9_10multipliesIxEExEEDaPvRmT3_T4_T5_mT6_P12ihipStream_tbENKUlT_T0_E_clISt17integral_constantIbLb1EEST_IbLb0EEEEDaSP_SQ_EUlSP_E0_NS1_11comp_targetILNS1_3genE5ELNS1_11target_archE942ELNS1_3gpuE9ELNS1_3repE0EEENS1_30default_config_static_selectorELNS0_4arch9wavefront6targetE1EEEvT1_ ; -- Begin function _ZN7rocprim17ROCPRIM_400000_NS6detail17trampoline_kernelINS0_14default_configENS1_20scan_config_selectorIxEEZZNS1_9scan_implILNS1_25lookback_scan_determinismE0ELb0ELb1ES3_N6thrust23THRUST_200600_302600_NS6detail15normal_iteratorINS9_10device_ptrIxEEEESE_xNS9_10multipliesIxEExEEDaPvRmT3_T4_T5_mT6_P12ihipStream_tbENKUlT_T0_E_clISt17integral_constantIbLb1EEST_IbLb0EEEEDaSP_SQ_EUlSP_E0_NS1_11comp_targetILNS1_3genE5ELNS1_11target_archE942ELNS1_3gpuE9ELNS1_3repE0EEENS1_30default_config_static_selectorELNS0_4arch9wavefront6targetE1EEEvT1_
	.globl	_ZN7rocprim17ROCPRIM_400000_NS6detail17trampoline_kernelINS0_14default_configENS1_20scan_config_selectorIxEEZZNS1_9scan_implILNS1_25lookback_scan_determinismE0ELb0ELb1ES3_N6thrust23THRUST_200600_302600_NS6detail15normal_iteratorINS9_10device_ptrIxEEEESE_xNS9_10multipliesIxEExEEDaPvRmT3_T4_T5_mT6_P12ihipStream_tbENKUlT_T0_E_clISt17integral_constantIbLb1EEST_IbLb0EEEEDaSP_SQ_EUlSP_E0_NS1_11comp_targetILNS1_3genE5ELNS1_11target_archE942ELNS1_3gpuE9ELNS1_3repE0EEENS1_30default_config_static_selectorELNS0_4arch9wavefront6targetE1EEEvT1_
	.p2align	8
	.type	_ZN7rocprim17ROCPRIM_400000_NS6detail17trampoline_kernelINS0_14default_configENS1_20scan_config_selectorIxEEZZNS1_9scan_implILNS1_25lookback_scan_determinismE0ELb0ELb1ES3_N6thrust23THRUST_200600_302600_NS6detail15normal_iteratorINS9_10device_ptrIxEEEESE_xNS9_10multipliesIxEExEEDaPvRmT3_T4_T5_mT6_P12ihipStream_tbENKUlT_T0_E_clISt17integral_constantIbLb1EEST_IbLb0EEEEDaSP_SQ_EUlSP_E0_NS1_11comp_targetILNS1_3genE5ELNS1_11target_archE942ELNS1_3gpuE9ELNS1_3repE0EEENS1_30default_config_static_selectorELNS0_4arch9wavefront6targetE1EEEvT1_,@function
_ZN7rocprim17ROCPRIM_400000_NS6detail17trampoline_kernelINS0_14default_configENS1_20scan_config_selectorIxEEZZNS1_9scan_implILNS1_25lookback_scan_determinismE0ELb0ELb1ES3_N6thrust23THRUST_200600_302600_NS6detail15normal_iteratorINS9_10device_ptrIxEEEESE_xNS9_10multipliesIxEExEEDaPvRmT3_T4_T5_mT6_P12ihipStream_tbENKUlT_T0_E_clISt17integral_constantIbLb1EEST_IbLb0EEEEDaSP_SQ_EUlSP_E0_NS1_11comp_targetILNS1_3genE5ELNS1_11target_archE942ELNS1_3gpuE9ELNS1_3repE0EEENS1_30default_config_static_selectorELNS0_4arch9wavefront6targetE1EEEvT1_: ; @_ZN7rocprim17ROCPRIM_400000_NS6detail17trampoline_kernelINS0_14default_configENS1_20scan_config_selectorIxEEZZNS1_9scan_implILNS1_25lookback_scan_determinismE0ELb0ELb1ES3_N6thrust23THRUST_200600_302600_NS6detail15normal_iteratorINS9_10device_ptrIxEEEESE_xNS9_10multipliesIxEExEEDaPvRmT3_T4_T5_mT6_P12ihipStream_tbENKUlT_T0_E_clISt17integral_constantIbLb1EEST_IbLb0EEEEDaSP_SQ_EUlSP_E0_NS1_11comp_targetILNS1_3genE5ELNS1_11target_archE942ELNS1_3gpuE9ELNS1_3repE0EEENS1_30default_config_static_selectorELNS0_4arch9wavefront6targetE1EEEvT1_
; %bb.0:
	.section	.rodata,"a",@progbits
	.p2align	6, 0x0
	.amdhsa_kernel _ZN7rocprim17ROCPRIM_400000_NS6detail17trampoline_kernelINS0_14default_configENS1_20scan_config_selectorIxEEZZNS1_9scan_implILNS1_25lookback_scan_determinismE0ELb0ELb1ES3_N6thrust23THRUST_200600_302600_NS6detail15normal_iteratorINS9_10device_ptrIxEEEESE_xNS9_10multipliesIxEExEEDaPvRmT3_T4_T5_mT6_P12ihipStream_tbENKUlT_T0_E_clISt17integral_constantIbLb1EEST_IbLb0EEEEDaSP_SQ_EUlSP_E0_NS1_11comp_targetILNS1_3genE5ELNS1_11target_archE942ELNS1_3gpuE9ELNS1_3repE0EEENS1_30default_config_static_selectorELNS0_4arch9wavefront6targetE1EEEvT1_
		.amdhsa_group_segment_fixed_size 0
		.amdhsa_private_segment_fixed_size 0
		.amdhsa_kernarg_size 40
		.amdhsa_user_sgpr_count 6
		.amdhsa_user_sgpr_private_segment_buffer 1
		.amdhsa_user_sgpr_dispatch_ptr 0
		.amdhsa_user_sgpr_queue_ptr 0
		.amdhsa_user_sgpr_kernarg_segment_ptr 1
		.amdhsa_user_sgpr_dispatch_id 0
		.amdhsa_user_sgpr_flat_scratch_init 0
		.amdhsa_user_sgpr_kernarg_preload_length 0
		.amdhsa_user_sgpr_kernarg_preload_offset 0
		.amdhsa_user_sgpr_private_segment_size 0
		.amdhsa_uses_dynamic_stack 0
		.amdhsa_system_sgpr_private_segment_wavefront_offset 0
		.amdhsa_system_sgpr_workgroup_id_x 1
		.amdhsa_system_sgpr_workgroup_id_y 0
		.amdhsa_system_sgpr_workgroup_id_z 0
		.amdhsa_system_sgpr_workgroup_info 0
		.amdhsa_system_vgpr_workitem_id 0
		.amdhsa_next_free_vgpr 1
		.amdhsa_next_free_sgpr 0
		.amdhsa_accum_offset 4
		.amdhsa_reserve_vcc 0
		.amdhsa_reserve_flat_scratch 0
		.amdhsa_float_round_mode_32 0
		.amdhsa_float_round_mode_16_64 0
		.amdhsa_float_denorm_mode_32 3
		.amdhsa_float_denorm_mode_16_64 3
		.amdhsa_dx10_clamp 1
		.amdhsa_ieee_mode 1
		.amdhsa_fp16_overflow 0
		.amdhsa_tg_split 0
		.amdhsa_exception_fp_ieee_invalid_op 0
		.amdhsa_exception_fp_denorm_src 0
		.amdhsa_exception_fp_ieee_div_zero 0
		.amdhsa_exception_fp_ieee_overflow 0
		.amdhsa_exception_fp_ieee_underflow 0
		.amdhsa_exception_fp_ieee_inexact 0
		.amdhsa_exception_int_div_zero 0
	.end_amdhsa_kernel
	.section	.text._ZN7rocprim17ROCPRIM_400000_NS6detail17trampoline_kernelINS0_14default_configENS1_20scan_config_selectorIxEEZZNS1_9scan_implILNS1_25lookback_scan_determinismE0ELb0ELb1ES3_N6thrust23THRUST_200600_302600_NS6detail15normal_iteratorINS9_10device_ptrIxEEEESE_xNS9_10multipliesIxEExEEDaPvRmT3_T4_T5_mT6_P12ihipStream_tbENKUlT_T0_E_clISt17integral_constantIbLb1EEST_IbLb0EEEEDaSP_SQ_EUlSP_E0_NS1_11comp_targetILNS1_3genE5ELNS1_11target_archE942ELNS1_3gpuE9ELNS1_3repE0EEENS1_30default_config_static_selectorELNS0_4arch9wavefront6targetE1EEEvT1_,"axG",@progbits,_ZN7rocprim17ROCPRIM_400000_NS6detail17trampoline_kernelINS0_14default_configENS1_20scan_config_selectorIxEEZZNS1_9scan_implILNS1_25lookback_scan_determinismE0ELb0ELb1ES3_N6thrust23THRUST_200600_302600_NS6detail15normal_iteratorINS9_10device_ptrIxEEEESE_xNS9_10multipliesIxEExEEDaPvRmT3_T4_T5_mT6_P12ihipStream_tbENKUlT_T0_E_clISt17integral_constantIbLb1EEST_IbLb0EEEEDaSP_SQ_EUlSP_E0_NS1_11comp_targetILNS1_3genE5ELNS1_11target_archE942ELNS1_3gpuE9ELNS1_3repE0EEENS1_30default_config_static_selectorELNS0_4arch9wavefront6targetE1EEEvT1_,comdat
.Lfunc_end316:
	.size	_ZN7rocprim17ROCPRIM_400000_NS6detail17trampoline_kernelINS0_14default_configENS1_20scan_config_selectorIxEEZZNS1_9scan_implILNS1_25lookback_scan_determinismE0ELb0ELb1ES3_N6thrust23THRUST_200600_302600_NS6detail15normal_iteratorINS9_10device_ptrIxEEEESE_xNS9_10multipliesIxEExEEDaPvRmT3_T4_T5_mT6_P12ihipStream_tbENKUlT_T0_E_clISt17integral_constantIbLb1EEST_IbLb0EEEEDaSP_SQ_EUlSP_E0_NS1_11comp_targetILNS1_3genE5ELNS1_11target_archE942ELNS1_3gpuE9ELNS1_3repE0EEENS1_30default_config_static_selectorELNS0_4arch9wavefront6targetE1EEEvT1_, .Lfunc_end316-_ZN7rocprim17ROCPRIM_400000_NS6detail17trampoline_kernelINS0_14default_configENS1_20scan_config_selectorIxEEZZNS1_9scan_implILNS1_25lookback_scan_determinismE0ELb0ELb1ES3_N6thrust23THRUST_200600_302600_NS6detail15normal_iteratorINS9_10device_ptrIxEEEESE_xNS9_10multipliesIxEExEEDaPvRmT3_T4_T5_mT6_P12ihipStream_tbENKUlT_T0_E_clISt17integral_constantIbLb1EEST_IbLb0EEEEDaSP_SQ_EUlSP_E0_NS1_11comp_targetILNS1_3genE5ELNS1_11target_archE942ELNS1_3gpuE9ELNS1_3repE0EEENS1_30default_config_static_selectorELNS0_4arch9wavefront6targetE1EEEvT1_
                                        ; -- End function
	.section	.AMDGPU.csdata,"",@progbits
; Kernel info:
; codeLenInByte = 0
; NumSgprs: 4
; NumVgprs: 0
; NumAgprs: 0
; TotalNumVgprs: 0
; ScratchSize: 0
; MemoryBound: 0
; FloatMode: 240
; IeeeMode: 1
; LDSByteSize: 0 bytes/workgroup (compile time only)
; SGPRBlocks: 0
; VGPRBlocks: 0
; NumSGPRsForWavesPerEU: 4
; NumVGPRsForWavesPerEU: 1
; AccumOffset: 4
; Occupancy: 8
; WaveLimiterHint : 0
; COMPUTE_PGM_RSRC2:SCRATCH_EN: 0
; COMPUTE_PGM_RSRC2:USER_SGPR: 6
; COMPUTE_PGM_RSRC2:TRAP_HANDLER: 0
; COMPUTE_PGM_RSRC2:TGID_X_EN: 1
; COMPUTE_PGM_RSRC2:TGID_Y_EN: 0
; COMPUTE_PGM_RSRC2:TGID_Z_EN: 0
; COMPUTE_PGM_RSRC2:TIDIG_COMP_CNT: 0
; COMPUTE_PGM_RSRC3_GFX90A:ACCUM_OFFSET: 0
; COMPUTE_PGM_RSRC3_GFX90A:TG_SPLIT: 0
	.section	.text._ZN7rocprim17ROCPRIM_400000_NS6detail17trampoline_kernelINS0_14default_configENS1_20scan_config_selectorIxEEZZNS1_9scan_implILNS1_25lookback_scan_determinismE0ELb0ELb1ES3_N6thrust23THRUST_200600_302600_NS6detail15normal_iteratorINS9_10device_ptrIxEEEESE_xNS9_10multipliesIxEExEEDaPvRmT3_T4_T5_mT6_P12ihipStream_tbENKUlT_T0_E_clISt17integral_constantIbLb1EEST_IbLb0EEEEDaSP_SQ_EUlSP_E0_NS1_11comp_targetILNS1_3genE4ELNS1_11target_archE910ELNS1_3gpuE8ELNS1_3repE0EEENS1_30default_config_static_selectorELNS0_4arch9wavefront6targetE1EEEvT1_,"axG",@progbits,_ZN7rocprim17ROCPRIM_400000_NS6detail17trampoline_kernelINS0_14default_configENS1_20scan_config_selectorIxEEZZNS1_9scan_implILNS1_25lookback_scan_determinismE0ELb0ELb1ES3_N6thrust23THRUST_200600_302600_NS6detail15normal_iteratorINS9_10device_ptrIxEEEESE_xNS9_10multipliesIxEExEEDaPvRmT3_T4_T5_mT6_P12ihipStream_tbENKUlT_T0_E_clISt17integral_constantIbLb1EEST_IbLb0EEEEDaSP_SQ_EUlSP_E0_NS1_11comp_targetILNS1_3genE4ELNS1_11target_archE910ELNS1_3gpuE8ELNS1_3repE0EEENS1_30default_config_static_selectorELNS0_4arch9wavefront6targetE1EEEvT1_,comdat
	.protected	_ZN7rocprim17ROCPRIM_400000_NS6detail17trampoline_kernelINS0_14default_configENS1_20scan_config_selectorIxEEZZNS1_9scan_implILNS1_25lookback_scan_determinismE0ELb0ELb1ES3_N6thrust23THRUST_200600_302600_NS6detail15normal_iteratorINS9_10device_ptrIxEEEESE_xNS9_10multipliesIxEExEEDaPvRmT3_T4_T5_mT6_P12ihipStream_tbENKUlT_T0_E_clISt17integral_constantIbLb1EEST_IbLb0EEEEDaSP_SQ_EUlSP_E0_NS1_11comp_targetILNS1_3genE4ELNS1_11target_archE910ELNS1_3gpuE8ELNS1_3repE0EEENS1_30default_config_static_selectorELNS0_4arch9wavefront6targetE1EEEvT1_ ; -- Begin function _ZN7rocprim17ROCPRIM_400000_NS6detail17trampoline_kernelINS0_14default_configENS1_20scan_config_selectorIxEEZZNS1_9scan_implILNS1_25lookback_scan_determinismE0ELb0ELb1ES3_N6thrust23THRUST_200600_302600_NS6detail15normal_iteratorINS9_10device_ptrIxEEEESE_xNS9_10multipliesIxEExEEDaPvRmT3_T4_T5_mT6_P12ihipStream_tbENKUlT_T0_E_clISt17integral_constantIbLb1EEST_IbLb0EEEEDaSP_SQ_EUlSP_E0_NS1_11comp_targetILNS1_3genE4ELNS1_11target_archE910ELNS1_3gpuE8ELNS1_3repE0EEENS1_30default_config_static_selectorELNS0_4arch9wavefront6targetE1EEEvT1_
	.globl	_ZN7rocprim17ROCPRIM_400000_NS6detail17trampoline_kernelINS0_14default_configENS1_20scan_config_selectorIxEEZZNS1_9scan_implILNS1_25lookback_scan_determinismE0ELb0ELb1ES3_N6thrust23THRUST_200600_302600_NS6detail15normal_iteratorINS9_10device_ptrIxEEEESE_xNS9_10multipliesIxEExEEDaPvRmT3_T4_T5_mT6_P12ihipStream_tbENKUlT_T0_E_clISt17integral_constantIbLb1EEST_IbLb0EEEEDaSP_SQ_EUlSP_E0_NS1_11comp_targetILNS1_3genE4ELNS1_11target_archE910ELNS1_3gpuE8ELNS1_3repE0EEENS1_30default_config_static_selectorELNS0_4arch9wavefront6targetE1EEEvT1_
	.p2align	8
	.type	_ZN7rocprim17ROCPRIM_400000_NS6detail17trampoline_kernelINS0_14default_configENS1_20scan_config_selectorIxEEZZNS1_9scan_implILNS1_25lookback_scan_determinismE0ELb0ELb1ES3_N6thrust23THRUST_200600_302600_NS6detail15normal_iteratorINS9_10device_ptrIxEEEESE_xNS9_10multipliesIxEExEEDaPvRmT3_T4_T5_mT6_P12ihipStream_tbENKUlT_T0_E_clISt17integral_constantIbLb1EEST_IbLb0EEEEDaSP_SQ_EUlSP_E0_NS1_11comp_targetILNS1_3genE4ELNS1_11target_archE910ELNS1_3gpuE8ELNS1_3repE0EEENS1_30default_config_static_selectorELNS0_4arch9wavefront6targetE1EEEvT1_,@function
_ZN7rocprim17ROCPRIM_400000_NS6detail17trampoline_kernelINS0_14default_configENS1_20scan_config_selectorIxEEZZNS1_9scan_implILNS1_25lookback_scan_determinismE0ELb0ELb1ES3_N6thrust23THRUST_200600_302600_NS6detail15normal_iteratorINS9_10device_ptrIxEEEESE_xNS9_10multipliesIxEExEEDaPvRmT3_T4_T5_mT6_P12ihipStream_tbENKUlT_T0_E_clISt17integral_constantIbLb1EEST_IbLb0EEEEDaSP_SQ_EUlSP_E0_NS1_11comp_targetILNS1_3genE4ELNS1_11target_archE910ELNS1_3gpuE8ELNS1_3repE0EEENS1_30default_config_static_selectorELNS0_4arch9wavefront6targetE1EEEvT1_: ; @_ZN7rocprim17ROCPRIM_400000_NS6detail17trampoline_kernelINS0_14default_configENS1_20scan_config_selectorIxEEZZNS1_9scan_implILNS1_25lookback_scan_determinismE0ELb0ELb1ES3_N6thrust23THRUST_200600_302600_NS6detail15normal_iteratorINS9_10device_ptrIxEEEESE_xNS9_10multipliesIxEExEEDaPvRmT3_T4_T5_mT6_P12ihipStream_tbENKUlT_T0_E_clISt17integral_constantIbLb1EEST_IbLb0EEEEDaSP_SQ_EUlSP_E0_NS1_11comp_targetILNS1_3genE4ELNS1_11target_archE910ELNS1_3gpuE8ELNS1_3repE0EEENS1_30default_config_static_selectorELNS0_4arch9wavefront6targetE1EEEvT1_
; %bb.0:
	s_load_dwordx4 s[16:19], s[4:5], 0x0
	v_lshlrev_b32_e32 v30, 3, v0
	s_waitcnt lgkmcnt(0)
	s_load_dwordx2 s[14:15], s[16:17], 0x0
	v_cmp_gt_u32_e32 vcc, s18, v0
	s_waitcnt lgkmcnt(0)
	v_pk_mov_b32 v[2:3], s[14:15], s[14:15] op_sel:[0,1]
	s_and_saveexec_b64 s[0:1], vcc
	s_cbranch_execz .LBB317_2
; %bb.1:
	global_load_dwordx2 v[2:3], v30, s[16:17]
.LBB317_2:
	s_or_b64 exec, exec, s[0:1]
	v_or_b32_e32 v1, 0x80, v0
	v_cmp_gt_u32_e64 s[0:1], s18, v1
	v_pk_mov_b32 v[4:5], s[14:15], s[14:15] op_sel:[0,1]
	s_and_saveexec_b64 s[2:3], s[0:1]
	s_cbranch_execz .LBB317_4
; %bb.3:
	global_load_dwordx2 v[4:5], v30, s[16:17] offset:1024
.LBB317_4:
	s_or_b64 exec, exec, s[2:3]
	v_or_b32_e32 v1, 0x100, v0
	v_cmp_gt_u32_e64 s[2:3], s18, v1
	v_pk_mov_b32 v[6:7], s[14:15], s[14:15] op_sel:[0,1]
	s_and_saveexec_b64 s[6:7], s[2:3]
	s_cbranch_execz .LBB317_6
; %bb.5:
	global_load_dwordx2 v[6:7], v30, s[16:17] offset:2048
.LBB317_6:
	;; [unrolled: 9-line block ×3, first 2 shown]
	s_or_b64 exec, exec, s[6:7]
	v_or_b32_e32 v1, 0x200, v0
	v_cmp_gt_u32_e64 s[6:7], s18, v1
	v_pk_mov_b32 v[10:11], s[14:15], s[14:15] op_sel:[0,1]
	s_and_saveexec_b64 s[8:9], s[6:7]
	s_cbranch_execz .LBB317_10
; %bb.9:
	v_lshlrev_b32_e32 v1, 3, v1
	global_load_dwordx2 v[10:11], v1, s[16:17]
.LBB317_10:
	s_or_b64 exec, exec, s[8:9]
	v_or_b32_e32 v1, 0x280, v0
	v_cmp_gt_u32_e64 s[8:9], s18, v1
	v_pk_mov_b32 v[12:13], s[14:15], s[14:15] op_sel:[0,1]
	s_and_saveexec_b64 s[10:11], s[8:9]
	s_cbranch_execz .LBB317_12
; %bb.11:
	v_lshlrev_b32_e32 v1, 3, v1
	global_load_dwordx2 v[12:13], v1, s[16:17]
.LBB317_12:
	s_or_b64 exec, exec, s[10:11]
	s_load_dwordx2 s[20:21], s[4:5], 0x10
	v_or_b32_e32 v1, 0x300, v0
	v_cmp_gt_u32_e64 s[10:11], s18, v1
	v_pk_mov_b32 v[14:15], s[14:15], s[14:15] op_sel:[0,1]
	s_and_saveexec_b64 s[14:15], s[10:11]
	s_cbranch_execz .LBB317_14
; %bb.13:
	v_lshlrev_b32_e32 v1, 3, v1
	global_load_dwordx2 v[14:15], v1, s[16:17]
.LBB317_14:
	s_or_b64 exec, exec, s[14:15]
	v_mad_u32_u24 v1, v0, 48, v30
	s_waitcnt vmcnt(0)
	ds_write2st64_b64 v30, v[2:3], v[4:5] offset1:2
	ds_write2st64_b64 v30, v[6:7], v[8:9] offset0:4 offset1:6
	ds_write2st64_b64 v30, v[10:11], v[12:13] offset0:8 offset1:10
	ds_write_b64 v30, v[14:15] offset:6144
	s_waitcnt lgkmcnt(0)
	s_barrier
	ds_read2_b64 v[6:9], v1 offset1:1
	ds_read2_b64 v[10:13], v1 offset0:2 offset1:3
	ds_read2_b64 v[2:5], v1 offset0:4 offset1:5
	ds_read_b64 v[18:19], v1 offset:48
	s_load_dwordx2 s[14:15], s[4:5], 0x20
	s_waitcnt lgkmcnt(0)
	v_mul_lo_u32 v1, v9, v6
	v_mul_lo_u32 v14, v8, v7
	v_mad_u64_u32 v[20:21], s[4:5], v8, v6, 0
	v_add3_u32 v21, v21, v14, v1
	v_mul_lo_u32 v1, v21, v10
	v_mul_lo_u32 v14, v20, v11
	v_mad_u64_u32 v[22:23], s[4:5], v20, v10, 0
	v_add3_u32 v23, v23, v14, v1
	;; [unrolled: 4-line block ×6, first 2 shown]
	v_lshrrev_b32_e32 v1, 2, v0
	v_and_b32_e32 v1, 24, v1
	v_add_u32_e32 v1, v30, v1
	v_cmp_gt_u32_e64 s[4:5], 64, v0
	s_barrier
	ds_write_b64 v1, v[28:29]
	s_waitcnt lgkmcnt(0)
	s_barrier
	s_and_saveexec_b64 s[16:17], s[4:5]
	s_cbranch_execz .LBB317_28
; %bb.15:
	v_lshlrev_b32_e32 v1, 1, v0
	v_lshrrev_b32_e32 v14, 4, v0
	v_add_lshl_u32 v1, v14, v1, 3
	ds_read2_b64 v[14:17], v1 offset1:1
	s_waitcnt lgkmcnt(0)
	v_mul_lo_u32 v31, v17, v14
	v_mul_lo_u32 v32, v16, v15
	v_mad_u64_u32 v[16:17], s[4:5], v16, v14, 0
	v_add3_u32 v17, v17, v32, v31
	v_mbcnt_lo_u32_b32 v31, -1, 0
	v_mbcnt_hi_u32_b32 v31, -1, v31
	v_and_b32_e32 v32, 15, v31
	v_mov_b32_dpp v33, v16 row_shr:1 row_mask:0xf bank_mask:0xf
	v_mov_b32_dpp v34, v17 row_shr:1 row_mask:0xf bank_mask:0xf
	v_cmp_ne_u32_e64 s[4:5], 0, v32
	s_and_saveexec_b64 s[18:19], s[4:5]
; %bb.16:
	v_mul_lo_u32 v34, v34, v16
	v_mul_lo_u32 v35, v33, v17
	v_mad_u64_u32 v[16:17], s[4:5], v33, v16, 0
	v_add3_u32 v17, v17, v35, v34
; %bb.17:
	s_or_b64 exec, exec, s[18:19]
	v_mov_b32_dpp v33, v16 row_shr:2 row_mask:0xf bank_mask:0xf
	v_mov_b32_dpp v34, v17 row_shr:2 row_mask:0xf bank_mask:0xf
	v_cmp_lt_u32_e64 s[4:5], 1, v32
	s_and_saveexec_b64 s[18:19], s[4:5]
; %bb.18:
	v_mul_lo_u32 v34, v34, v16
	v_mul_lo_u32 v35, v33, v17
	v_mad_u64_u32 v[16:17], s[4:5], v33, v16, 0
	v_add3_u32 v17, v17, v35, v34
; %bb.19:
	s_or_b64 exec, exec, s[18:19]
	v_mov_b32_dpp v33, v16 row_shr:4 row_mask:0xf bank_mask:0xf
	v_mov_b32_dpp v34, v17 row_shr:4 row_mask:0xf bank_mask:0xf
	v_cmp_lt_u32_e64 s[4:5], 3, v32
	;; [unrolled: 11-line block ×3, first 2 shown]
	s_and_saveexec_b64 s[18:19], s[4:5]
; %bb.22:
	v_mul_lo_u32 v32, v34, v16
	v_mul_lo_u32 v34, v33, v17
	v_mad_u64_u32 v[16:17], s[4:5], v33, v16, 0
	v_add3_u32 v17, v17, v34, v32
; %bb.23:
	s_or_b64 exec, exec, s[18:19]
	v_and_b32_e32 v34, 16, v31
	v_mov_b32_dpp v32, v16 row_bcast:15 row_mask:0xf bank_mask:0xf
	v_mov_b32_dpp v33, v17 row_bcast:15 row_mask:0xf bank_mask:0xf
	v_cmp_ne_u32_e64 s[4:5], 0, v34
	s_and_saveexec_b64 s[18:19], s[4:5]
; %bb.24:
	v_mul_lo_u32 v33, v33, v16
	v_mul_lo_u32 v34, v32, v17
	v_mad_u64_u32 v[16:17], s[4:5], v32, v16, 0
	v_add3_u32 v17, v17, v34, v33
; %bb.25:
	s_or_b64 exec, exec, s[18:19]
	v_mov_b32_dpp v32, v16 row_bcast:31 row_mask:0xf bank_mask:0xf
	v_mov_b32_dpp v33, v17 row_bcast:31 row_mask:0xf bank_mask:0xf
	v_cmp_lt_u32_e64 s[4:5], 31, v31
	s_and_saveexec_b64 s[18:19], s[4:5]
; %bb.26:
	v_mul_lo_u32 v33, v33, v16
	v_mul_lo_u32 v34, v32, v17
	v_mad_u64_u32 v[16:17], s[4:5], v32, v16, 0
	v_add3_u32 v17, v17, v34, v33
; %bb.27:
	s_or_b64 exec, exec, s[18:19]
	v_add_u32_e32 v32, -1, v31
	v_and_b32_e32 v33, 64, v31
	v_cmp_lt_i32_e64 s[4:5], v32, v33
	v_cndmask_b32_e64 v31, v32, v31, s[4:5]
	v_lshlrev_b32_e32 v31, 2, v31
	ds_bpermute_b32 v17, v31, v17
	ds_bpermute_b32 v16, v31, v16
	; wave barrier
	s_waitcnt lgkmcnt(1)
	v_mul_lo_u32 v17, v17, v14
	s_waitcnt lgkmcnt(0)
	v_mul_lo_u32 v31, v16, v15
	v_mad_u64_u32 v[14:15], s[4:5], v16, v14, 0
	v_add3_u32 v15, v15, v31, v17
	v_cmp_eq_u32_e64 s[4:5], 0, v0
	v_cndmask_b32_e64 v15, v15, v29, s[4:5]
	v_cndmask_b32_e64 v14, v14, v28, s[4:5]
	ds_write_b64 v1, v[14:15]
	; wave barrier
	ds_read_b64 v[16:17], v1 offset:8
	s_waitcnt lgkmcnt(0)
	v_mul_lo_u32 v31, v16, v15
	v_mul_lo_u32 v17, v17, v14
	v_mad_u64_u32 v[14:15], s[4:5], v16, v14, 0
	v_add3_u32 v15, v15, v31, v17
	ds_write_b64 v1, v[14:15] offset:8
.LBB317_28:
	s_or_b64 exec, exec, s[16:17]
	v_mul_u32_u24_e32 v1, 48, v0
	v_cmp_ne_u32_e64 s[4:5], 0, v0
	s_waitcnt lgkmcnt(0)
	s_barrier
	s_and_saveexec_b64 s[16:17], s[4:5]
	s_cbranch_execz .LBB317_30
; %bb.29:
	v_add_u32_e32 v0, -1, v0
	v_lshrrev_b32_e32 v14, 5, v0
	v_add_lshl_u32 v0, v14, v0, 3
	ds_read_b64 v[28:29], v0
.LBB317_30:
	s_or_b64 exec, exec, s[16:17]
	s_and_saveexec_b64 s[16:17], s[4:5]
	s_cbranch_execz .LBB317_32
; %bb.31:
	s_waitcnt lgkmcnt(0)
	v_mul_lo_u32 v0, v29, v6
	v_mul_lo_u32 v14, v28, v7
	v_mad_u64_u32 v[6:7], s[4:5], v28, v6, 0
	v_add3_u32 v7, v7, v14, v0
	v_mul_lo_u32 v0, v7, v8
	v_mul_lo_u32 v9, v6, v9
	v_mad_u64_u32 v[20:21], s[4:5], v6, v8, 0
	v_add3_u32 v21, v21, v9, v0
	;; [unrolled: 4-line block ×5, first 2 shown]
	;;#ASMSTART
	;;#ASMEND
.LBB317_32:
	s_or_b64 exec, exec, s[16:17]
	v_mul_lo_u32 v0, v7, s20
	v_mul_lo_u32 v7, v6, s21
	v_mad_u64_u32 v[2:3], s[4:5], v6, s20, 0
	v_add3_u32 v3, v3, v7, v0
	v_mul_lo_u32 v0, v21, s20
	v_mul_lo_u32 v8, v20, s21
	v_mad_u64_u32 v[6:7], s[4:5], v20, s20, 0
	v_add3_u32 v7, v7, v8, v0
	;; [unrolled: 4-line block ×7, first 2 shown]
	v_add_u32_e32 v0, v30, v1
	s_waitcnt lgkmcnt(0)
	s_barrier
	ds_write2_b64 v0, v[2:3], v[6:7] offset1:1
	ds_write2_b64 v0, v[8:9], v[10:11] offset0:2 offset1:3
	ds_write2_b64 v0, v[12:13], v[4:5] offset0:4 offset1:5
	ds_write_b64 v0, v[14:15] offset:48
	s_waitcnt lgkmcnt(0)
	s_barrier
	ds_read2st64_b64 v[8:11], v30 offset0:2 offset1:4
	ds_read2st64_b64 v[4:7], v30 offset0:6 offset1:8
	;; [unrolled: 1-line block ×3, first 2 shown]
	v_mov_b32_e32 v13, s15
	v_add_co_u32_e64 v12, s[4:5], s14, v30
	v_addc_co_u32_e64 v13, s[4:5], 0, v13, s[4:5]
	s_and_saveexec_b64 s[4:5], vcc
	s_cbranch_execnz .LBB317_40
; %bb.33:
	s_or_b64 exec, exec, s[4:5]
	s_and_saveexec_b64 s[4:5], s[0:1]
	s_cbranch_execnz .LBB317_41
.LBB317_34:
	s_or_b64 exec, exec, s[4:5]
	s_and_saveexec_b64 s[0:1], s[2:3]
	s_cbranch_execnz .LBB317_42
.LBB317_35:
	s_or_b64 exec, exec, s[0:1]
	s_and_saveexec_b64 s[0:1], s[12:13]
	s_cbranch_execnz .LBB317_43
.LBB317_36:
	s_or_b64 exec, exec, s[0:1]
	s_and_saveexec_b64 s[0:1], s[6:7]
	s_cbranch_execnz .LBB317_44
.LBB317_37:
	s_or_b64 exec, exec, s[0:1]
	s_and_saveexec_b64 s[0:1], s[8:9]
	s_cbranch_execnz .LBB317_45
.LBB317_38:
	s_or_b64 exec, exec, s[0:1]
	s_and_saveexec_b64 s[0:1], s[10:11]
	s_cbranch_execnz .LBB317_46
.LBB317_39:
	s_endpgm
.LBB317_40:
	ds_read_b64 v[14:15], v30
	s_waitcnt lgkmcnt(0)
	global_store_dwordx2 v[12:13], v[14:15], off
	s_or_b64 exec, exec, s[4:5]
	s_and_saveexec_b64 s[4:5], s[0:1]
	s_cbranch_execz .LBB317_34
.LBB317_41:
	s_waitcnt lgkmcnt(2)
	global_store_dwordx2 v[12:13], v[8:9], off offset:1024
	s_or_b64 exec, exec, s[4:5]
	s_and_saveexec_b64 s[0:1], s[2:3]
	s_cbranch_execz .LBB317_35
.LBB317_42:
	s_waitcnt lgkmcnt(2)
	global_store_dwordx2 v[12:13], v[10:11], off offset:2048
	s_or_b64 exec, exec, s[0:1]
	s_and_saveexec_b64 s[0:1], s[12:13]
	s_cbranch_execz .LBB317_36
.LBB317_43:
	s_waitcnt lgkmcnt(1)
	global_store_dwordx2 v[12:13], v[4:5], off offset:3072
	s_or_b64 exec, exec, s[0:1]
	s_and_saveexec_b64 s[0:1], s[6:7]
	s_cbranch_execz .LBB317_37
.LBB317_44:
	s_waitcnt lgkmcnt(1)
	v_add_co_u32_e32 v4, vcc, 0x1000, v12
	v_addc_co_u32_e32 v5, vcc, 0, v13, vcc
	global_store_dwordx2 v[4:5], v[6:7], off
	s_or_b64 exec, exec, s[0:1]
	s_and_saveexec_b64 s[0:1], s[8:9]
	s_cbranch_execz .LBB317_38
.LBB317_45:
	s_waitcnt lgkmcnt(1)
	v_add_co_u32_e32 v4, vcc, 0x1000, v12
	v_addc_co_u32_e32 v5, vcc, 0, v13, vcc
	s_waitcnt lgkmcnt(0)
	global_store_dwordx2 v[4:5], v[0:1], off offset:1024
	s_or_b64 exec, exec, s[0:1]
	s_and_saveexec_b64 s[0:1], s[10:11]
	s_cbranch_execz .LBB317_39
.LBB317_46:
	s_waitcnt lgkmcnt(0)
	v_add_co_u32_e32 v0, vcc, 0x1000, v12
	v_addc_co_u32_e32 v1, vcc, 0, v13, vcc
	global_store_dwordx2 v[0:1], v[2:3], off offset:2048
	s_endpgm
	.section	.rodata,"a",@progbits
	.p2align	6, 0x0
	.amdhsa_kernel _ZN7rocprim17ROCPRIM_400000_NS6detail17trampoline_kernelINS0_14default_configENS1_20scan_config_selectorIxEEZZNS1_9scan_implILNS1_25lookback_scan_determinismE0ELb0ELb1ES3_N6thrust23THRUST_200600_302600_NS6detail15normal_iteratorINS9_10device_ptrIxEEEESE_xNS9_10multipliesIxEExEEDaPvRmT3_T4_T5_mT6_P12ihipStream_tbENKUlT_T0_E_clISt17integral_constantIbLb1EEST_IbLb0EEEEDaSP_SQ_EUlSP_E0_NS1_11comp_targetILNS1_3genE4ELNS1_11target_archE910ELNS1_3gpuE8ELNS1_3repE0EEENS1_30default_config_static_selectorELNS0_4arch9wavefront6targetE1EEEvT1_
		.amdhsa_group_segment_fixed_size 7168
		.amdhsa_private_segment_fixed_size 0
		.amdhsa_kernarg_size 40
		.amdhsa_user_sgpr_count 6
		.amdhsa_user_sgpr_private_segment_buffer 1
		.amdhsa_user_sgpr_dispatch_ptr 0
		.amdhsa_user_sgpr_queue_ptr 0
		.amdhsa_user_sgpr_kernarg_segment_ptr 1
		.amdhsa_user_sgpr_dispatch_id 0
		.amdhsa_user_sgpr_flat_scratch_init 0
		.amdhsa_user_sgpr_kernarg_preload_length 0
		.amdhsa_user_sgpr_kernarg_preload_offset 0
		.amdhsa_user_sgpr_private_segment_size 0
		.amdhsa_uses_dynamic_stack 0
		.amdhsa_system_sgpr_private_segment_wavefront_offset 0
		.amdhsa_system_sgpr_workgroup_id_x 1
		.amdhsa_system_sgpr_workgroup_id_y 0
		.amdhsa_system_sgpr_workgroup_id_z 0
		.amdhsa_system_sgpr_workgroup_info 0
		.amdhsa_system_vgpr_workitem_id 0
		.amdhsa_next_free_vgpr 36
		.amdhsa_next_free_sgpr 22
		.amdhsa_accum_offset 36
		.amdhsa_reserve_vcc 1
		.amdhsa_reserve_flat_scratch 0
		.amdhsa_float_round_mode_32 0
		.amdhsa_float_round_mode_16_64 0
		.amdhsa_float_denorm_mode_32 3
		.amdhsa_float_denorm_mode_16_64 3
		.amdhsa_dx10_clamp 1
		.amdhsa_ieee_mode 1
		.amdhsa_fp16_overflow 0
		.amdhsa_tg_split 0
		.amdhsa_exception_fp_ieee_invalid_op 0
		.amdhsa_exception_fp_denorm_src 0
		.amdhsa_exception_fp_ieee_div_zero 0
		.amdhsa_exception_fp_ieee_overflow 0
		.amdhsa_exception_fp_ieee_underflow 0
		.amdhsa_exception_fp_ieee_inexact 0
		.amdhsa_exception_int_div_zero 0
	.end_amdhsa_kernel
	.section	.text._ZN7rocprim17ROCPRIM_400000_NS6detail17trampoline_kernelINS0_14default_configENS1_20scan_config_selectorIxEEZZNS1_9scan_implILNS1_25lookback_scan_determinismE0ELb0ELb1ES3_N6thrust23THRUST_200600_302600_NS6detail15normal_iteratorINS9_10device_ptrIxEEEESE_xNS9_10multipliesIxEExEEDaPvRmT3_T4_T5_mT6_P12ihipStream_tbENKUlT_T0_E_clISt17integral_constantIbLb1EEST_IbLb0EEEEDaSP_SQ_EUlSP_E0_NS1_11comp_targetILNS1_3genE4ELNS1_11target_archE910ELNS1_3gpuE8ELNS1_3repE0EEENS1_30default_config_static_selectorELNS0_4arch9wavefront6targetE1EEEvT1_,"axG",@progbits,_ZN7rocprim17ROCPRIM_400000_NS6detail17trampoline_kernelINS0_14default_configENS1_20scan_config_selectorIxEEZZNS1_9scan_implILNS1_25lookback_scan_determinismE0ELb0ELb1ES3_N6thrust23THRUST_200600_302600_NS6detail15normal_iteratorINS9_10device_ptrIxEEEESE_xNS9_10multipliesIxEExEEDaPvRmT3_T4_T5_mT6_P12ihipStream_tbENKUlT_T0_E_clISt17integral_constantIbLb1EEST_IbLb0EEEEDaSP_SQ_EUlSP_E0_NS1_11comp_targetILNS1_3genE4ELNS1_11target_archE910ELNS1_3gpuE8ELNS1_3repE0EEENS1_30default_config_static_selectorELNS0_4arch9wavefront6targetE1EEEvT1_,comdat
.Lfunc_end317:
	.size	_ZN7rocprim17ROCPRIM_400000_NS6detail17trampoline_kernelINS0_14default_configENS1_20scan_config_selectorIxEEZZNS1_9scan_implILNS1_25lookback_scan_determinismE0ELb0ELb1ES3_N6thrust23THRUST_200600_302600_NS6detail15normal_iteratorINS9_10device_ptrIxEEEESE_xNS9_10multipliesIxEExEEDaPvRmT3_T4_T5_mT6_P12ihipStream_tbENKUlT_T0_E_clISt17integral_constantIbLb1EEST_IbLb0EEEEDaSP_SQ_EUlSP_E0_NS1_11comp_targetILNS1_3genE4ELNS1_11target_archE910ELNS1_3gpuE8ELNS1_3repE0EEENS1_30default_config_static_selectorELNS0_4arch9wavefront6targetE1EEEvT1_, .Lfunc_end317-_ZN7rocprim17ROCPRIM_400000_NS6detail17trampoline_kernelINS0_14default_configENS1_20scan_config_selectorIxEEZZNS1_9scan_implILNS1_25lookback_scan_determinismE0ELb0ELb1ES3_N6thrust23THRUST_200600_302600_NS6detail15normal_iteratorINS9_10device_ptrIxEEEESE_xNS9_10multipliesIxEExEEDaPvRmT3_T4_T5_mT6_P12ihipStream_tbENKUlT_T0_E_clISt17integral_constantIbLb1EEST_IbLb0EEEEDaSP_SQ_EUlSP_E0_NS1_11comp_targetILNS1_3genE4ELNS1_11target_archE910ELNS1_3gpuE8ELNS1_3repE0EEENS1_30default_config_static_selectorELNS0_4arch9wavefront6targetE1EEEvT1_
                                        ; -- End function
	.section	.AMDGPU.csdata,"",@progbits
; Kernel info:
; codeLenInByte = 2164
; NumSgprs: 26
; NumVgprs: 36
; NumAgprs: 0
; TotalNumVgprs: 36
; ScratchSize: 0
; MemoryBound: 0
; FloatMode: 240
; IeeeMode: 1
; LDSByteSize: 7168 bytes/workgroup (compile time only)
; SGPRBlocks: 3
; VGPRBlocks: 4
; NumSGPRsForWavesPerEU: 26
; NumVGPRsForWavesPerEU: 36
; AccumOffset: 36
; Occupancy: 5
; WaveLimiterHint : 0
; COMPUTE_PGM_RSRC2:SCRATCH_EN: 0
; COMPUTE_PGM_RSRC2:USER_SGPR: 6
; COMPUTE_PGM_RSRC2:TRAP_HANDLER: 0
; COMPUTE_PGM_RSRC2:TGID_X_EN: 1
; COMPUTE_PGM_RSRC2:TGID_Y_EN: 0
; COMPUTE_PGM_RSRC2:TGID_Z_EN: 0
; COMPUTE_PGM_RSRC2:TIDIG_COMP_CNT: 0
; COMPUTE_PGM_RSRC3_GFX90A:ACCUM_OFFSET: 8
; COMPUTE_PGM_RSRC3_GFX90A:TG_SPLIT: 0
	.section	.text._ZN7rocprim17ROCPRIM_400000_NS6detail17trampoline_kernelINS0_14default_configENS1_20scan_config_selectorIxEEZZNS1_9scan_implILNS1_25lookback_scan_determinismE0ELb0ELb1ES3_N6thrust23THRUST_200600_302600_NS6detail15normal_iteratorINS9_10device_ptrIxEEEESE_xNS9_10multipliesIxEExEEDaPvRmT3_T4_T5_mT6_P12ihipStream_tbENKUlT_T0_E_clISt17integral_constantIbLb1EEST_IbLb0EEEEDaSP_SQ_EUlSP_E0_NS1_11comp_targetILNS1_3genE3ELNS1_11target_archE908ELNS1_3gpuE7ELNS1_3repE0EEENS1_30default_config_static_selectorELNS0_4arch9wavefront6targetE1EEEvT1_,"axG",@progbits,_ZN7rocprim17ROCPRIM_400000_NS6detail17trampoline_kernelINS0_14default_configENS1_20scan_config_selectorIxEEZZNS1_9scan_implILNS1_25lookback_scan_determinismE0ELb0ELb1ES3_N6thrust23THRUST_200600_302600_NS6detail15normal_iteratorINS9_10device_ptrIxEEEESE_xNS9_10multipliesIxEExEEDaPvRmT3_T4_T5_mT6_P12ihipStream_tbENKUlT_T0_E_clISt17integral_constantIbLb1EEST_IbLb0EEEEDaSP_SQ_EUlSP_E0_NS1_11comp_targetILNS1_3genE3ELNS1_11target_archE908ELNS1_3gpuE7ELNS1_3repE0EEENS1_30default_config_static_selectorELNS0_4arch9wavefront6targetE1EEEvT1_,comdat
	.protected	_ZN7rocprim17ROCPRIM_400000_NS6detail17trampoline_kernelINS0_14default_configENS1_20scan_config_selectorIxEEZZNS1_9scan_implILNS1_25lookback_scan_determinismE0ELb0ELb1ES3_N6thrust23THRUST_200600_302600_NS6detail15normal_iteratorINS9_10device_ptrIxEEEESE_xNS9_10multipliesIxEExEEDaPvRmT3_T4_T5_mT6_P12ihipStream_tbENKUlT_T0_E_clISt17integral_constantIbLb1EEST_IbLb0EEEEDaSP_SQ_EUlSP_E0_NS1_11comp_targetILNS1_3genE3ELNS1_11target_archE908ELNS1_3gpuE7ELNS1_3repE0EEENS1_30default_config_static_selectorELNS0_4arch9wavefront6targetE1EEEvT1_ ; -- Begin function _ZN7rocprim17ROCPRIM_400000_NS6detail17trampoline_kernelINS0_14default_configENS1_20scan_config_selectorIxEEZZNS1_9scan_implILNS1_25lookback_scan_determinismE0ELb0ELb1ES3_N6thrust23THRUST_200600_302600_NS6detail15normal_iteratorINS9_10device_ptrIxEEEESE_xNS9_10multipliesIxEExEEDaPvRmT3_T4_T5_mT6_P12ihipStream_tbENKUlT_T0_E_clISt17integral_constantIbLb1EEST_IbLb0EEEEDaSP_SQ_EUlSP_E0_NS1_11comp_targetILNS1_3genE3ELNS1_11target_archE908ELNS1_3gpuE7ELNS1_3repE0EEENS1_30default_config_static_selectorELNS0_4arch9wavefront6targetE1EEEvT1_
	.globl	_ZN7rocprim17ROCPRIM_400000_NS6detail17trampoline_kernelINS0_14default_configENS1_20scan_config_selectorIxEEZZNS1_9scan_implILNS1_25lookback_scan_determinismE0ELb0ELb1ES3_N6thrust23THRUST_200600_302600_NS6detail15normal_iteratorINS9_10device_ptrIxEEEESE_xNS9_10multipliesIxEExEEDaPvRmT3_T4_T5_mT6_P12ihipStream_tbENKUlT_T0_E_clISt17integral_constantIbLb1EEST_IbLb0EEEEDaSP_SQ_EUlSP_E0_NS1_11comp_targetILNS1_3genE3ELNS1_11target_archE908ELNS1_3gpuE7ELNS1_3repE0EEENS1_30default_config_static_selectorELNS0_4arch9wavefront6targetE1EEEvT1_
	.p2align	8
	.type	_ZN7rocprim17ROCPRIM_400000_NS6detail17trampoline_kernelINS0_14default_configENS1_20scan_config_selectorIxEEZZNS1_9scan_implILNS1_25lookback_scan_determinismE0ELb0ELb1ES3_N6thrust23THRUST_200600_302600_NS6detail15normal_iteratorINS9_10device_ptrIxEEEESE_xNS9_10multipliesIxEExEEDaPvRmT3_T4_T5_mT6_P12ihipStream_tbENKUlT_T0_E_clISt17integral_constantIbLb1EEST_IbLb0EEEEDaSP_SQ_EUlSP_E0_NS1_11comp_targetILNS1_3genE3ELNS1_11target_archE908ELNS1_3gpuE7ELNS1_3repE0EEENS1_30default_config_static_selectorELNS0_4arch9wavefront6targetE1EEEvT1_,@function
_ZN7rocprim17ROCPRIM_400000_NS6detail17trampoline_kernelINS0_14default_configENS1_20scan_config_selectorIxEEZZNS1_9scan_implILNS1_25lookback_scan_determinismE0ELb0ELb1ES3_N6thrust23THRUST_200600_302600_NS6detail15normal_iteratorINS9_10device_ptrIxEEEESE_xNS9_10multipliesIxEExEEDaPvRmT3_T4_T5_mT6_P12ihipStream_tbENKUlT_T0_E_clISt17integral_constantIbLb1EEST_IbLb0EEEEDaSP_SQ_EUlSP_E0_NS1_11comp_targetILNS1_3genE3ELNS1_11target_archE908ELNS1_3gpuE7ELNS1_3repE0EEENS1_30default_config_static_selectorELNS0_4arch9wavefront6targetE1EEEvT1_: ; @_ZN7rocprim17ROCPRIM_400000_NS6detail17trampoline_kernelINS0_14default_configENS1_20scan_config_selectorIxEEZZNS1_9scan_implILNS1_25lookback_scan_determinismE0ELb0ELb1ES3_N6thrust23THRUST_200600_302600_NS6detail15normal_iteratorINS9_10device_ptrIxEEEESE_xNS9_10multipliesIxEExEEDaPvRmT3_T4_T5_mT6_P12ihipStream_tbENKUlT_T0_E_clISt17integral_constantIbLb1EEST_IbLb0EEEEDaSP_SQ_EUlSP_E0_NS1_11comp_targetILNS1_3genE3ELNS1_11target_archE908ELNS1_3gpuE7ELNS1_3repE0EEENS1_30default_config_static_selectorELNS0_4arch9wavefront6targetE1EEEvT1_
; %bb.0:
	.section	.rodata,"a",@progbits
	.p2align	6, 0x0
	.amdhsa_kernel _ZN7rocprim17ROCPRIM_400000_NS6detail17trampoline_kernelINS0_14default_configENS1_20scan_config_selectorIxEEZZNS1_9scan_implILNS1_25lookback_scan_determinismE0ELb0ELb1ES3_N6thrust23THRUST_200600_302600_NS6detail15normal_iteratorINS9_10device_ptrIxEEEESE_xNS9_10multipliesIxEExEEDaPvRmT3_T4_T5_mT6_P12ihipStream_tbENKUlT_T0_E_clISt17integral_constantIbLb1EEST_IbLb0EEEEDaSP_SQ_EUlSP_E0_NS1_11comp_targetILNS1_3genE3ELNS1_11target_archE908ELNS1_3gpuE7ELNS1_3repE0EEENS1_30default_config_static_selectorELNS0_4arch9wavefront6targetE1EEEvT1_
		.amdhsa_group_segment_fixed_size 0
		.amdhsa_private_segment_fixed_size 0
		.amdhsa_kernarg_size 40
		.amdhsa_user_sgpr_count 6
		.amdhsa_user_sgpr_private_segment_buffer 1
		.amdhsa_user_sgpr_dispatch_ptr 0
		.amdhsa_user_sgpr_queue_ptr 0
		.amdhsa_user_sgpr_kernarg_segment_ptr 1
		.amdhsa_user_sgpr_dispatch_id 0
		.amdhsa_user_sgpr_flat_scratch_init 0
		.amdhsa_user_sgpr_kernarg_preload_length 0
		.amdhsa_user_sgpr_kernarg_preload_offset 0
		.amdhsa_user_sgpr_private_segment_size 0
		.amdhsa_uses_dynamic_stack 0
		.amdhsa_system_sgpr_private_segment_wavefront_offset 0
		.amdhsa_system_sgpr_workgroup_id_x 1
		.amdhsa_system_sgpr_workgroup_id_y 0
		.amdhsa_system_sgpr_workgroup_id_z 0
		.amdhsa_system_sgpr_workgroup_info 0
		.amdhsa_system_vgpr_workitem_id 0
		.amdhsa_next_free_vgpr 1
		.amdhsa_next_free_sgpr 0
		.amdhsa_accum_offset 4
		.amdhsa_reserve_vcc 0
		.amdhsa_reserve_flat_scratch 0
		.amdhsa_float_round_mode_32 0
		.amdhsa_float_round_mode_16_64 0
		.amdhsa_float_denorm_mode_32 3
		.amdhsa_float_denorm_mode_16_64 3
		.amdhsa_dx10_clamp 1
		.amdhsa_ieee_mode 1
		.amdhsa_fp16_overflow 0
		.amdhsa_tg_split 0
		.amdhsa_exception_fp_ieee_invalid_op 0
		.amdhsa_exception_fp_denorm_src 0
		.amdhsa_exception_fp_ieee_div_zero 0
		.amdhsa_exception_fp_ieee_overflow 0
		.amdhsa_exception_fp_ieee_underflow 0
		.amdhsa_exception_fp_ieee_inexact 0
		.amdhsa_exception_int_div_zero 0
	.end_amdhsa_kernel
	.section	.text._ZN7rocprim17ROCPRIM_400000_NS6detail17trampoline_kernelINS0_14default_configENS1_20scan_config_selectorIxEEZZNS1_9scan_implILNS1_25lookback_scan_determinismE0ELb0ELb1ES3_N6thrust23THRUST_200600_302600_NS6detail15normal_iteratorINS9_10device_ptrIxEEEESE_xNS9_10multipliesIxEExEEDaPvRmT3_T4_T5_mT6_P12ihipStream_tbENKUlT_T0_E_clISt17integral_constantIbLb1EEST_IbLb0EEEEDaSP_SQ_EUlSP_E0_NS1_11comp_targetILNS1_3genE3ELNS1_11target_archE908ELNS1_3gpuE7ELNS1_3repE0EEENS1_30default_config_static_selectorELNS0_4arch9wavefront6targetE1EEEvT1_,"axG",@progbits,_ZN7rocprim17ROCPRIM_400000_NS6detail17trampoline_kernelINS0_14default_configENS1_20scan_config_selectorIxEEZZNS1_9scan_implILNS1_25lookback_scan_determinismE0ELb0ELb1ES3_N6thrust23THRUST_200600_302600_NS6detail15normal_iteratorINS9_10device_ptrIxEEEESE_xNS9_10multipliesIxEExEEDaPvRmT3_T4_T5_mT6_P12ihipStream_tbENKUlT_T0_E_clISt17integral_constantIbLb1EEST_IbLb0EEEEDaSP_SQ_EUlSP_E0_NS1_11comp_targetILNS1_3genE3ELNS1_11target_archE908ELNS1_3gpuE7ELNS1_3repE0EEENS1_30default_config_static_selectorELNS0_4arch9wavefront6targetE1EEEvT1_,comdat
.Lfunc_end318:
	.size	_ZN7rocprim17ROCPRIM_400000_NS6detail17trampoline_kernelINS0_14default_configENS1_20scan_config_selectorIxEEZZNS1_9scan_implILNS1_25lookback_scan_determinismE0ELb0ELb1ES3_N6thrust23THRUST_200600_302600_NS6detail15normal_iteratorINS9_10device_ptrIxEEEESE_xNS9_10multipliesIxEExEEDaPvRmT3_T4_T5_mT6_P12ihipStream_tbENKUlT_T0_E_clISt17integral_constantIbLb1EEST_IbLb0EEEEDaSP_SQ_EUlSP_E0_NS1_11comp_targetILNS1_3genE3ELNS1_11target_archE908ELNS1_3gpuE7ELNS1_3repE0EEENS1_30default_config_static_selectorELNS0_4arch9wavefront6targetE1EEEvT1_, .Lfunc_end318-_ZN7rocprim17ROCPRIM_400000_NS6detail17trampoline_kernelINS0_14default_configENS1_20scan_config_selectorIxEEZZNS1_9scan_implILNS1_25lookback_scan_determinismE0ELb0ELb1ES3_N6thrust23THRUST_200600_302600_NS6detail15normal_iteratorINS9_10device_ptrIxEEEESE_xNS9_10multipliesIxEExEEDaPvRmT3_T4_T5_mT6_P12ihipStream_tbENKUlT_T0_E_clISt17integral_constantIbLb1EEST_IbLb0EEEEDaSP_SQ_EUlSP_E0_NS1_11comp_targetILNS1_3genE3ELNS1_11target_archE908ELNS1_3gpuE7ELNS1_3repE0EEENS1_30default_config_static_selectorELNS0_4arch9wavefront6targetE1EEEvT1_
                                        ; -- End function
	.section	.AMDGPU.csdata,"",@progbits
; Kernel info:
; codeLenInByte = 0
; NumSgprs: 4
; NumVgprs: 0
; NumAgprs: 0
; TotalNumVgprs: 0
; ScratchSize: 0
; MemoryBound: 0
; FloatMode: 240
; IeeeMode: 1
; LDSByteSize: 0 bytes/workgroup (compile time only)
; SGPRBlocks: 0
; VGPRBlocks: 0
; NumSGPRsForWavesPerEU: 4
; NumVGPRsForWavesPerEU: 1
; AccumOffset: 4
; Occupancy: 8
; WaveLimiterHint : 0
; COMPUTE_PGM_RSRC2:SCRATCH_EN: 0
; COMPUTE_PGM_RSRC2:USER_SGPR: 6
; COMPUTE_PGM_RSRC2:TRAP_HANDLER: 0
; COMPUTE_PGM_RSRC2:TGID_X_EN: 1
; COMPUTE_PGM_RSRC2:TGID_Y_EN: 0
; COMPUTE_PGM_RSRC2:TGID_Z_EN: 0
; COMPUTE_PGM_RSRC2:TIDIG_COMP_CNT: 0
; COMPUTE_PGM_RSRC3_GFX90A:ACCUM_OFFSET: 0
; COMPUTE_PGM_RSRC3_GFX90A:TG_SPLIT: 0
	.section	.text._ZN7rocprim17ROCPRIM_400000_NS6detail17trampoline_kernelINS0_14default_configENS1_20scan_config_selectorIxEEZZNS1_9scan_implILNS1_25lookback_scan_determinismE0ELb0ELb1ES3_N6thrust23THRUST_200600_302600_NS6detail15normal_iteratorINS9_10device_ptrIxEEEESE_xNS9_10multipliesIxEExEEDaPvRmT3_T4_T5_mT6_P12ihipStream_tbENKUlT_T0_E_clISt17integral_constantIbLb1EEST_IbLb0EEEEDaSP_SQ_EUlSP_E0_NS1_11comp_targetILNS1_3genE2ELNS1_11target_archE906ELNS1_3gpuE6ELNS1_3repE0EEENS1_30default_config_static_selectorELNS0_4arch9wavefront6targetE1EEEvT1_,"axG",@progbits,_ZN7rocprim17ROCPRIM_400000_NS6detail17trampoline_kernelINS0_14default_configENS1_20scan_config_selectorIxEEZZNS1_9scan_implILNS1_25lookback_scan_determinismE0ELb0ELb1ES3_N6thrust23THRUST_200600_302600_NS6detail15normal_iteratorINS9_10device_ptrIxEEEESE_xNS9_10multipliesIxEExEEDaPvRmT3_T4_T5_mT6_P12ihipStream_tbENKUlT_T0_E_clISt17integral_constantIbLb1EEST_IbLb0EEEEDaSP_SQ_EUlSP_E0_NS1_11comp_targetILNS1_3genE2ELNS1_11target_archE906ELNS1_3gpuE6ELNS1_3repE0EEENS1_30default_config_static_selectorELNS0_4arch9wavefront6targetE1EEEvT1_,comdat
	.protected	_ZN7rocprim17ROCPRIM_400000_NS6detail17trampoline_kernelINS0_14default_configENS1_20scan_config_selectorIxEEZZNS1_9scan_implILNS1_25lookback_scan_determinismE0ELb0ELb1ES3_N6thrust23THRUST_200600_302600_NS6detail15normal_iteratorINS9_10device_ptrIxEEEESE_xNS9_10multipliesIxEExEEDaPvRmT3_T4_T5_mT6_P12ihipStream_tbENKUlT_T0_E_clISt17integral_constantIbLb1EEST_IbLb0EEEEDaSP_SQ_EUlSP_E0_NS1_11comp_targetILNS1_3genE2ELNS1_11target_archE906ELNS1_3gpuE6ELNS1_3repE0EEENS1_30default_config_static_selectorELNS0_4arch9wavefront6targetE1EEEvT1_ ; -- Begin function _ZN7rocprim17ROCPRIM_400000_NS6detail17trampoline_kernelINS0_14default_configENS1_20scan_config_selectorIxEEZZNS1_9scan_implILNS1_25lookback_scan_determinismE0ELb0ELb1ES3_N6thrust23THRUST_200600_302600_NS6detail15normal_iteratorINS9_10device_ptrIxEEEESE_xNS9_10multipliesIxEExEEDaPvRmT3_T4_T5_mT6_P12ihipStream_tbENKUlT_T0_E_clISt17integral_constantIbLb1EEST_IbLb0EEEEDaSP_SQ_EUlSP_E0_NS1_11comp_targetILNS1_3genE2ELNS1_11target_archE906ELNS1_3gpuE6ELNS1_3repE0EEENS1_30default_config_static_selectorELNS0_4arch9wavefront6targetE1EEEvT1_
	.globl	_ZN7rocprim17ROCPRIM_400000_NS6detail17trampoline_kernelINS0_14default_configENS1_20scan_config_selectorIxEEZZNS1_9scan_implILNS1_25lookback_scan_determinismE0ELb0ELb1ES3_N6thrust23THRUST_200600_302600_NS6detail15normal_iteratorINS9_10device_ptrIxEEEESE_xNS9_10multipliesIxEExEEDaPvRmT3_T4_T5_mT6_P12ihipStream_tbENKUlT_T0_E_clISt17integral_constantIbLb1EEST_IbLb0EEEEDaSP_SQ_EUlSP_E0_NS1_11comp_targetILNS1_3genE2ELNS1_11target_archE906ELNS1_3gpuE6ELNS1_3repE0EEENS1_30default_config_static_selectorELNS0_4arch9wavefront6targetE1EEEvT1_
	.p2align	8
	.type	_ZN7rocprim17ROCPRIM_400000_NS6detail17trampoline_kernelINS0_14default_configENS1_20scan_config_selectorIxEEZZNS1_9scan_implILNS1_25lookback_scan_determinismE0ELb0ELb1ES3_N6thrust23THRUST_200600_302600_NS6detail15normal_iteratorINS9_10device_ptrIxEEEESE_xNS9_10multipliesIxEExEEDaPvRmT3_T4_T5_mT6_P12ihipStream_tbENKUlT_T0_E_clISt17integral_constantIbLb1EEST_IbLb0EEEEDaSP_SQ_EUlSP_E0_NS1_11comp_targetILNS1_3genE2ELNS1_11target_archE906ELNS1_3gpuE6ELNS1_3repE0EEENS1_30default_config_static_selectorELNS0_4arch9wavefront6targetE1EEEvT1_,@function
_ZN7rocprim17ROCPRIM_400000_NS6detail17trampoline_kernelINS0_14default_configENS1_20scan_config_selectorIxEEZZNS1_9scan_implILNS1_25lookback_scan_determinismE0ELb0ELb1ES3_N6thrust23THRUST_200600_302600_NS6detail15normal_iteratorINS9_10device_ptrIxEEEESE_xNS9_10multipliesIxEExEEDaPvRmT3_T4_T5_mT6_P12ihipStream_tbENKUlT_T0_E_clISt17integral_constantIbLb1EEST_IbLb0EEEEDaSP_SQ_EUlSP_E0_NS1_11comp_targetILNS1_3genE2ELNS1_11target_archE906ELNS1_3gpuE6ELNS1_3repE0EEENS1_30default_config_static_selectorELNS0_4arch9wavefront6targetE1EEEvT1_: ; @_ZN7rocprim17ROCPRIM_400000_NS6detail17trampoline_kernelINS0_14default_configENS1_20scan_config_selectorIxEEZZNS1_9scan_implILNS1_25lookback_scan_determinismE0ELb0ELb1ES3_N6thrust23THRUST_200600_302600_NS6detail15normal_iteratorINS9_10device_ptrIxEEEESE_xNS9_10multipliesIxEExEEDaPvRmT3_T4_T5_mT6_P12ihipStream_tbENKUlT_T0_E_clISt17integral_constantIbLb1EEST_IbLb0EEEEDaSP_SQ_EUlSP_E0_NS1_11comp_targetILNS1_3genE2ELNS1_11target_archE906ELNS1_3gpuE6ELNS1_3repE0EEENS1_30default_config_static_selectorELNS0_4arch9wavefront6targetE1EEEvT1_
; %bb.0:
	.section	.rodata,"a",@progbits
	.p2align	6, 0x0
	.amdhsa_kernel _ZN7rocprim17ROCPRIM_400000_NS6detail17trampoline_kernelINS0_14default_configENS1_20scan_config_selectorIxEEZZNS1_9scan_implILNS1_25lookback_scan_determinismE0ELb0ELb1ES3_N6thrust23THRUST_200600_302600_NS6detail15normal_iteratorINS9_10device_ptrIxEEEESE_xNS9_10multipliesIxEExEEDaPvRmT3_T4_T5_mT6_P12ihipStream_tbENKUlT_T0_E_clISt17integral_constantIbLb1EEST_IbLb0EEEEDaSP_SQ_EUlSP_E0_NS1_11comp_targetILNS1_3genE2ELNS1_11target_archE906ELNS1_3gpuE6ELNS1_3repE0EEENS1_30default_config_static_selectorELNS0_4arch9wavefront6targetE1EEEvT1_
		.amdhsa_group_segment_fixed_size 0
		.amdhsa_private_segment_fixed_size 0
		.amdhsa_kernarg_size 40
		.amdhsa_user_sgpr_count 6
		.amdhsa_user_sgpr_private_segment_buffer 1
		.amdhsa_user_sgpr_dispatch_ptr 0
		.amdhsa_user_sgpr_queue_ptr 0
		.amdhsa_user_sgpr_kernarg_segment_ptr 1
		.amdhsa_user_sgpr_dispatch_id 0
		.amdhsa_user_sgpr_flat_scratch_init 0
		.amdhsa_user_sgpr_kernarg_preload_length 0
		.amdhsa_user_sgpr_kernarg_preload_offset 0
		.amdhsa_user_sgpr_private_segment_size 0
		.amdhsa_uses_dynamic_stack 0
		.amdhsa_system_sgpr_private_segment_wavefront_offset 0
		.amdhsa_system_sgpr_workgroup_id_x 1
		.amdhsa_system_sgpr_workgroup_id_y 0
		.amdhsa_system_sgpr_workgroup_id_z 0
		.amdhsa_system_sgpr_workgroup_info 0
		.amdhsa_system_vgpr_workitem_id 0
		.amdhsa_next_free_vgpr 1
		.amdhsa_next_free_sgpr 0
		.amdhsa_accum_offset 4
		.amdhsa_reserve_vcc 0
		.amdhsa_reserve_flat_scratch 0
		.amdhsa_float_round_mode_32 0
		.amdhsa_float_round_mode_16_64 0
		.amdhsa_float_denorm_mode_32 3
		.amdhsa_float_denorm_mode_16_64 3
		.amdhsa_dx10_clamp 1
		.amdhsa_ieee_mode 1
		.amdhsa_fp16_overflow 0
		.amdhsa_tg_split 0
		.amdhsa_exception_fp_ieee_invalid_op 0
		.amdhsa_exception_fp_denorm_src 0
		.amdhsa_exception_fp_ieee_div_zero 0
		.amdhsa_exception_fp_ieee_overflow 0
		.amdhsa_exception_fp_ieee_underflow 0
		.amdhsa_exception_fp_ieee_inexact 0
		.amdhsa_exception_int_div_zero 0
	.end_amdhsa_kernel
	.section	.text._ZN7rocprim17ROCPRIM_400000_NS6detail17trampoline_kernelINS0_14default_configENS1_20scan_config_selectorIxEEZZNS1_9scan_implILNS1_25lookback_scan_determinismE0ELb0ELb1ES3_N6thrust23THRUST_200600_302600_NS6detail15normal_iteratorINS9_10device_ptrIxEEEESE_xNS9_10multipliesIxEExEEDaPvRmT3_T4_T5_mT6_P12ihipStream_tbENKUlT_T0_E_clISt17integral_constantIbLb1EEST_IbLb0EEEEDaSP_SQ_EUlSP_E0_NS1_11comp_targetILNS1_3genE2ELNS1_11target_archE906ELNS1_3gpuE6ELNS1_3repE0EEENS1_30default_config_static_selectorELNS0_4arch9wavefront6targetE1EEEvT1_,"axG",@progbits,_ZN7rocprim17ROCPRIM_400000_NS6detail17trampoline_kernelINS0_14default_configENS1_20scan_config_selectorIxEEZZNS1_9scan_implILNS1_25lookback_scan_determinismE0ELb0ELb1ES3_N6thrust23THRUST_200600_302600_NS6detail15normal_iteratorINS9_10device_ptrIxEEEESE_xNS9_10multipliesIxEExEEDaPvRmT3_T4_T5_mT6_P12ihipStream_tbENKUlT_T0_E_clISt17integral_constantIbLb1EEST_IbLb0EEEEDaSP_SQ_EUlSP_E0_NS1_11comp_targetILNS1_3genE2ELNS1_11target_archE906ELNS1_3gpuE6ELNS1_3repE0EEENS1_30default_config_static_selectorELNS0_4arch9wavefront6targetE1EEEvT1_,comdat
.Lfunc_end319:
	.size	_ZN7rocprim17ROCPRIM_400000_NS6detail17trampoline_kernelINS0_14default_configENS1_20scan_config_selectorIxEEZZNS1_9scan_implILNS1_25lookback_scan_determinismE0ELb0ELb1ES3_N6thrust23THRUST_200600_302600_NS6detail15normal_iteratorINS9_10device_ptrIxEEEESE_xNS9_10multipliesIxEExEEDaPvRmT3_T4_T5_mT6_P12ihipStream_tbENKUlT_T0_E_clISt17integral_constantIbLb1EEST_IbLb0EEEEDaSP_SQ_EUlSP_E0_NS1_11comp_targetILNS1_3genE2ELNS1_11target_archE906ELNS1_3gpuE6ELNS1_3repE0EEENS1_30default_config_static_selectorELNS0_4arch9wavefront6targetE1EEEvT1_, .Lfunc_end319-_ZN7rocprim17ROCPRIM_400000_NS6detail17trampoline_kernelINS0_14default_configENS1_20scan_config_selectorIxEEZZNS1_9scan_implILNS1_25lookback_scan_determinismE0ELb0ELb1ES3_N6thrust23THRUST_200600_302600_NS6detail15normal_iteratorINS9_10device_ptrIxEEEESE_xNS9_10multipliesIxEExEEDaPvRmT3_T4_T5_mT6_P12ihipStream_tbENKUlT_T0_E_clISt17integral_constantIbLb1EEST_IbLb0EEEEDaSP_SQ_EUlSP_E0_NS1_11comp_targetILNS1_3genE2ELNS1_11target_archE906ELNS1_3gpuE6ELNS1_3repE0EEENS1_30default_config_static_selectorELNS0_4arch9wavefront6targetE1EEEvT1_
                                        ; -- End function
	.section	.AMDGPU.csdata,"",@progbits
; Kernel info:
; codeLenInByte = 0
; NumSgprs: 4
; NumVgprs: 0
; NumAgprs: 0
; TotalNumVgprs: 0
; ScratchSize: 0
; MemoryBound: 0
; FloatMode: 240
; IeeeMode: 1
; LDSByteSize: 0 bytes/workgroup (compile time only)
; SGPRBlocks: 0
; VGPRBlocks: 0
; NumSGPRsForWavesPerEU: 4
; NumVGPRsForWavesPerEU: 1
; AccumOffset: 4
; Occupancy: 8
; WaveLimiterHint : 0
; COMPUTE_PGM_RSRC2:SCRATCH_EN: 0
; COMPUTE_PGM_RSRC2:USER_SGPR: 6
; COMPUTE_PGM_RSRC2:TRAP_HANDLER: 0
; COMPUTE_PGM_RSRC2:TGID_X_EN: 1
; COMPUTE_PGM_RSRC2:TGID_Y_EN: 0
; COMPUTE_PGM_RSRC2:TGID_Z_EN: 0
; COMPUTE_PGM_RSRC2:TIDIG_COMP_CNT: 0
; COMPUTE_PGM_RSRC3_GFX90A:ACCUM_OFFSET: 0
; COMPUTE_PGM_RSRC3_GFX90A:TG_SPLIT: 0
	.section	.text._ZN7rocprim17ROCPRIM_400000_NS6detail17trampoline_kernelINS0_14default_configENS1_20scan_config_selectorIxEEZZNS1_9scan_implILNS1_25lookback_scan_determinismE0ELb0ELb1ES3_N6thrust23THRUST_200600_302600_NS6detail15normal_iteratorINS9_10device_ptrIxEEEESE_xNS9_10multipliesIxEExEEDaPvRmT3_T4_T5_mT6_P12ihipStream_tbENKUlT_T0_E_clISt17integral_constantIbLb1EEST_IbLb0EEEEDaSP_SQ_EUlSP_E0_NS1_11comp_targetILNS1_3genE10ELNS1_11target_archE1201ELNS1_3gpuE5ELNS1_3repE0EEENS1_30default_config_static_selectorELNS0_4arch9wavefront6targetE1EEEvT1_,"axG",@progbits,_ZN7rocprim17ROCPRIM_400000_NS6detail17trampoline_kernelINS0_14default_configENS1_20scan_config_selectorIxEEZZNS1_9scan_implILNS1_25lookback_scan_determinismE0ELb0ELb1ES3_N6thrust23THRUST_200600_302600_NS6detail15normal_iteratorINS9_10device_ptrIxEEEESE_xNS9_10multipliesIxEExEEDaPvRmT3_T4_T5_mT6_P12ihipStream_tbENKUlT_T0_E_clISt17integral_constantIbLb1EEST_IbLb0EEEEDaSP_SQ_EUlSP_E0_NS1_11comp_targetILNS1_3genE10ELNS1_11target_archE1201ELNS1_3gpuE5ELNS1_3repE0EEENS1_30default_config_static_selectorELNS0_4arch9wavefront6targetE1EEEvT1_,comdat
	.protected	_ZN7rocprim17ROCPRIM_400000_NS6detail17trampoline_kernelINS0_14default_configENS1_20scan_config_selectorIxEEZZNS1_9scan_implILNS1_25lookback_scan_determinismE0ELb0ELb1ES3_N6thrust23THRUST_200600_302600_NS6detail15normal_iteratorINS9_10device_ptrIxEEEESE_xNS9_10multipliesIxEExEEDaPvRmT3_T4_T5_mT6_P12ihipStream_tbENKUlT_T0_E_clISt17integral_constantIbLb1EEST_IbLb0EEEEDaSP_SQ_EUlSP_E0_NS1_11comp_targetILNS1_3genE10ELNS1_11target_archE1201ELNS1_3gpuE5ELNS1_3repE0EEENS1_30default_config_static_selectorELNS0_4arch9wavefront6targetE1EEEvT1_ ; -- Begin function _ZN7rocprim17ROCPRIM_400000_NS6detail17trampoline_kernelINS0_14default_configENS1_20scan_config_selectorIxEEZZNS1_9scan_implILNS1_25lookback_scan_determinismE0ELb0ELb1ES3_N6thrust23THRUST_200600_302600_NS6detail15normal_iteratorINS9_10device_ptrIxEEEESE_xNS9_10multipliesIxEExEEDaPvRmT3_T4_T5_mT6_P12ihipStream_tbENKUlT_T0_E_clISt17integral_constantIbLb1EEST_IbLb0EEEEDaSP_SQ_EUlSP_E0_NS1_11comp_targetILNS1_3genE10ELNS1_11target_archE1201ELNS1_3gpuE5ELNS1_3repE0EEENS1_30default_config_static_selectorELNS0_4arch9wavefront6targetE1EEEvT1_
	.globl	_ZN7rocprim17ROCPRIM_400000_NS6detail17trampoline_kernelINS0_14default_configENS1_20scan_config_selectorIxEEZZNS1_9scan_implILNS1_25lookback_scan_determinismE0ELb0ELb1ES3_N6thrust23THRUST_200600_302600_NS6detail15normal_iteratorINS9_10device_ptrIxEEEESE_xNS9_10multipliesIxEExEEDaPvRmT3_T4_T5_mT6_P12ihipStream_tbENKUlT_T0_E_clISt17integral_constantIbLb1EEST_IbLb0EEEEDaSP_SQ_EUlSP_E0_NS1_11comp_targetILNS1_3genE10ELNS1_11target_archE1201ELNS1_3gpuE5ELNS1_3repE0EEENS1_30default_config_static_selectorELNS0_4arch9wavefront6targetE1EEEvT1_
	.p2align	8
	.type	_ZN7rocprim17ROCPRIM_400000_NS6detail17trampoline_kernelINS0_14default_configENS1_20scan_config_selectorIxEEZZNS1_9scan_implILNS1_25lookback_scan_determinismE0ELb0ELb1ES3_N6thrust23THRUST_200600_302600_NS6detail15normal_iteratorINS9_10device_ptrIxEEEESE_xNS9_10multipliesIxEExEEDaPvRmT3_T4_T5_mT6_P12ihipStream_tbENKUlT_T0_E_clISt17integral_constantIbLb1EEST_IbLb0EEEEDaSP_SQ_EUlSP_E0_NS1_11comp_targetILNS1_3genE10ELNS1_11target_archE1201ELNS1_3gpuE5ELNS1_3repE0EEENS1_30default_config_static_selectorELNS0_4arch9wavefront6targetE1EEEvT1_,@function
_ZN7rocprim17ROCPRIM_400000_NS6detail17trampoline_kernelINS0_14default_configENS1_20scan_config_selectorIxEEZZNS1_9scan_implILNS1_25lookback_scan_determinismE0ELb0ELb1ES3_N6thrust23THRUST_200600_302600_NS6detail15normal_iteratorINS9_10device_ptrIxEEEESE_xNS9_10multipliesIxEExEEDaPvRmT3_T4_T5_mT6_P12ihipStream_tbENKUlT_T0_E_clISt17integral_constantIbLb1EEST_IbLb0EEEEDaSP_SQ_EUlSP_E0_NS1_11comp_targetILNS1_3genE10ELNS1_11target_archE1201ELNS1_3gpuE5ELNS1_3repE0EEENS1_30default_config_static_selectorELNS0_4arch9wavefront6targetE1EEEvT1_: ; @_ZN7rocprim17ROCPRIM_400000_NS6detail17trampoline_kernelINS0_14default_configENS1_20scan_config_selectorIxEEZZNS1_9scan_implILNS1_25lookback_scan_determinismE0ELb0ELb1ES3_N6thrust23THRUST_200600_302600_NS6detail15normal_iteratorINS9_10device_ptrIxEEEESE_xNS9_10multipliesIxEExEEDaPvRmT3_T4_T5_mT6_P12ihipStream_tbENKUlT_T0_E_clISt17integral_constantIbLb1EEST_IbLb0EEEEDaSP_SQ_EUlSP_E0_NS1_11comp_targetILNS1_3genE10ELNS1_11target_archE1201ELNS1_3gpuE5ELNS1_3repE0EEENS1_30default_config_static_selectorELNS0_4arch9wavefront6targetE1EEEvT1_
; %bb.0:
	.section	.rodata,"a",@progbits
	.p2align	6, 0x0
	.amdhsa_kernel _ZN7rocprim17ROCPRIM_400000_NS6detail17trampoline_kernelINS0_14default_configENS1_20scan_config_selectorIxEEZZNS1_9scan_implILNS1_25lookback_scan_determinismE0ELb0ELb1ES3_N6thrust23THRUST_200600_302600_NS6detail15normal_iteratorINS9_10device_ptrIxEEEESE_xNS9_10multipliesIxEExEEDaPvRmT3_T4_T5_mT6_P12ihipStream_tbENKUlT_T0_E_clISt17integral_constantIbLb1EEST_IbLb0EEEEDaSP_SQ_EUlSP_E0_NS1_11comp_targetILNS1_3genE10ELNS1_11target_archE1201ELNS1_3gpuE5ELNS1_3repE0EEENS1_30default_config_static_selectorELNS0_4arch9wavefront6targetE1EEEvT1_
		.amdhsa_group_segment_fixed_size 0
		.amdhsa_private_segment_fixed_size 0
		.amdhsa_kernarg_size 40
		.amdhsa_user_sgpr_count 6
		.amdhsa_user_sgpr_private_segment_buffer 1
		.amdhsa_user_sgpr_dispatch_ptr 0
		.amdhsa_user_sgpr_queue_ptr 0
		.amdhsa_user_sgpr_kernarg_segment_ptr 1
		.amdhsa_user_sgpr_dispatch_id 0
		.amdhsa_user_sgpr_flat_scratch_init 0
		.amdhsa_user_sgpr_kernarg_preload_length 0
		.amdhsa_user_sgpr_kernarg_preload_offset 0
		.amdhsa_user_sgpr_private_segment_size 0
		.amdhsa_uses_dynamic_stack 0
		.amdhsa_system_sgpr_private_segment_wavefront_offset 0
		.amdhsa_system_sgpr_workgroup_id_x 1
		.amdhsa_system_sgpr_workgroup_id_y 0
		.amdhsa_system_sgpr_workgroup_id_z 0
		.amdhsa_system_sgpr_workgroup_info 0
		.amdhsa_system_vgpr_workitem_id 0
		.amdhsa_next_free_vgpr 1
		.amdhsa_next_free_sgpr 0
		.amdhsa_accum_offset 4
		.amdhsa_reserve_vcc 0
		.amdhsa_reserve_flat_scratch 0
		.amdhsa_float_round_mode_32 0
		.amdhsa_float_round_mode_16_64 0
		.amdhsa_float_denorm_mode_32 3
		.amdhsa_float_denorm_mode_16_64 3
		.amdhsa_dx10_clamp 1
		.amdhsa_ieee_mode 1
		.amdhsa_fp16_overflow 0
		.amdhsa_tg_split 0
		.amdhsa_exception_fp_ieee_invalid_op 0
		.amdhsa_exception_fp_denorm_src 0
		.amdhsa_exception_fp_ieee_div_zero 0
		.amdhsa_exception_fp_ieee_overflow 0
		.amdhsa_exception_fp_ieee_underflow 0
		.amdhsa_exception_fp_ieee_inexact 0
		.amdhsa_exception_int_div_zero 0
	.end_amdhsa_kernel
	.section	.text._ZN7rocprim17ROCPRIM_400000_NS6detail17trampoline_kernelINS0_14default_configENS1_20scan_config_selectorIxEEZZNS1_9scan_implILNS1_25lookback_scan_determinismE0ELb0ELb1ES3_N6thrust23THRUST_200600_302600_NS6detail15normal_iteratorINS9_10device_ptrIxEEEESE_xNS9_10multipliesIxEExEEDaPvRmT3_T4_T5_mT6_P12ihipStream_tbENKUlT_T0_E_clISt17integral_constantIbLb1EEST_IbLb0EEEEDaSP_SQ_EUlSP_E0_NS1_11comp_targetILNS1_3genE10ELNS1_11target_archE1201ELNS1_3gpuE5ELNS1_3repE0EEENS1_30default_config_static_selectorELNS0_4arch9wavefront6targetE1EEEvT1_,"axG",@progbits,_ZN7rocprim17ROCPRIM_400000_NS6detail17trampoline_kernelINS0_14default_configENS1_20scan_config_selectorIxEEZZNS1_9scan_implILNS1_25lookback_scan_determinismE0ELb0ELb1ES3_N6thrust23THRUST_200600_302600_NS6detail15normal_iteratorINS9_10device_ptrIxEEEESE_xNS9_10multipliesIxEExEEDaPvRmT3_T4_T5_mT6_P12ihipStream_tbENKUlT_T0_E_clISt17integral_constantIbLb1EEST_IbLb0EEEEDaSP_SQ_EUlSP_E0_NS1_11comp_targetILNS1_3genE10ELNS1_11target_archE1201ELNS1_3gpuE5ELNS1_3repE0EEENS1_30default_config_static_selectorELNS0_4arch9wavefront6targetE1EEEvT1_,comdat
.Lfunc_end320:
	.size	_ZN7rocprim17ROCPRIM_400000_NS6detail17trampoline_kernelINS0_14default_configENS1_20scan_config_selectorIxEEZZNS1_9scan_implILNS1_25lookback_scan_determinismE0ELb0ELb1ES3_N6thrust23THRUST_200600_302600_NS6detail15normal_iteratorINS9_10device_ptrIxEEEESE_xNS9_10multipliesIxEExEEDaPvRmT3_T4_T5_mT6_P12ihipStream_tbENKUlT_T0_E_clISt17integral_constantIbLb1EEST_IbLb0EEEEDaSP_SQ_EUlSP_E0_NS1_11comp_targetILNS1_3genE10ELNS1_11target_archE1201ELNS1_3gpuE5ELNS1_3repE0EEENS1_30default_config_static_selectorELNS0_4arch9wavefront6targetE1EEEvT1_, .Lfunc_end320-_ZN7rocprim17ROCPRIM_400000_NS6detail17trampoline_kernelINS0_14default_configENS1_20scan_config_selectorIxEEZZNS1_9scan_implILNS1_25lookback_scan_determinismE0ELb0ELb1ES3_N6thrust23THRUST_200600_302600_NS6detail15normal_iteratorINS9_10device_ptrIxEEEESE_xNS9_10multipliesIxEExEEDaPvRmT3_T4_T5_mT6_P12ihipStream_tbENKUlT_T0_E_clISt17integral_constantIbLb1EEST_IbLb0EEEEDaSP_SQ_EUlSP_E0_NS1_11comp_targetILNS1_3genE10ELNS1_11target_archE1201ELNS1_3gpuE5ELNS1_3repE0EEENS1_30default_config_static_selectorELNS0_4arch9wavefront6targetE1EEEvT1_
                                        ; -- End function
	.section	.AMDGPU.csdata,"",@progbits
; Kernel info:
; codeLenInByte = 0
; NumSgprs: 4
; NumVgprs: 0
; NumAgprs: 0
; TotalNumVgprs: 0
; ScratchSize: 0
; MemoryBound: 0
; FloatMode: 240
; IeeeMode: 1
; LDSByteSize: 0 bytes/workgroup (compile time only)
; SGPRBlocks: 0
; VGPRBlocks: 0
; NumSGPRsForWavesPerEU: 4
; NumVGPRsForWavesPerEU: 1
; AccumOffset: 4
; Occupancy: 8
; WaveLimiterHint : 0
; COMPUTE_PGM_RSRC2:SCRATCH_EN: 0
; COMPUTE_PGM_RSRC2:USER_SGPR: 6
; COMPUTE_PGM_RSRC2:TRAP_HANDLER: 0
; COMPUTE_PGM_RSRC2:TGID_X_EN: 1
; COMPUTE_PGM_RSRC2:TGID_Y_EN: 0
; COMPUTE_PGM_RSRC2:TGID_Z_EN: 0
; COMPUTE_PGM_RSRC2:TIDIG_COMP_CNT: 0
; COMPUTE_PGM_RSRC3_GFX90A:ACCUM_OFFSET: 0
; COMPUTE_PGM_RSRC3_GFX90A:TG_SPLIT: 0
	.section	.text._ZN7rocprim17ROCPRIM_400000_NS6detail17trampoline_kernelINS0_14default_configENS1_20scan_config_selectorIxEEZZNS1_9scan_implILNS1_25lookback_scan_determinismE0ELb0ELb1ES3_N6thrust23THRUST_200600_302600_NS6detail15normal_iteratorINS9_10device_ptrIxEEEESE_xNS9_10multipliesIxEExEEDaPvRmT3_T4_T5_mT6_P12ihipStream_tbENKUlT_T0_E_clISt17integral_constantIbLb1EEST_IbLb0EEEEDaSP_SQ_EUlSP_E0_NS1_11comp_targetILNS1_3genE10ELNS1_11target_archE1200ELNS1_3gpuE4ELNS1_3repE0EEENS1_30default_config_static_selectorELNS0_4arch9wavefront6targetE1EEEvT1_,"axG",@progbits,_ZN7rocprim17ROCPRIM_400000_NS6detail17trampoline_kernelINS0_14default_configENS1_20scan_config_selectorIxEEZZNS1_9scan_implILNS1_25lookback_scan_determinismE0ELb0ELb1ES3_N6thrust23THRUST_200600_302600_NS6detail15normal_iteratorINS9_10device_ptrIxEEEESE_xNS9_10multipliesIxEExEEDaPvRmT3_T4_T5_mT6_P12ihipStream_tbENKUlT_T0_E_clISt17integral_constantIbLb1EEST_IbLb0EEEEDaSP_SQ_EUlSP_E0_NS1_11comp_targetILNS1_3genE10ELNS1_11target_archE1200ELNS1_3gpuE4ELNS1_3repE0EEENS1_30default_config_static_selectorELNS0_4arch9wavefront6targetE1EEEvT1_,comdat
	.protected	_ZN7rocprim17ROCPRIM_400000_NS6detail17trampoline_kernelINS0_14default_configENS1_20scan_config_selectorIxEEZZNS1_9scan_implILNS1_25lookback_scan_determinismE0ELb0ELb1ES3_N6thrust23THRUST_200600_302600_NS6detail15normal_iteratorINS9_10device_ptrIxEEEESE_xNS9_10multipliesIxEExEEDaPvRmT3_T4_T5_mT6_P12ihipStream_tbENKUlT_T0_E_clISt17integral_constantIbLb1EEST_IbLb0EEEEDaSP_SQ_EUlSP_E0_NS1_11comp_targetILNS1_3genE10ELNS1_11target_archE1200ELNS1_3gpuE4ELNS1_3repE0EEENS1_30default_config_static_selectorELNS0_4arch9wavefront6targetE1EEEvT1_ ; -- Begin function _ZN7rocprim17ROCPRIM_400000_NS6detail17trampoline_kernelINS0_14default_configENS1_20scan_config_selectorIxEEZZNS1_9scan_implILNS1_25lookback_scan_determinismE0ELb0ELb1ES3_N6thrust23THRUST_200600_302600_NS6detail15normal_iteratorINS9_10device_ptrIxEEEESE_xNS9_10multipliesIxEExEEDaPvRmT3_T4_T5_mT6_P12ihipStream_tbENKUlT_T0_E_clISt17integral_constantIbLb1EEST_IbLb0EEEEDaSP_SQ_EUlSP_E0_NS1_11comp_targetILNS1_3genE10ELNS1_11target_archE1200ELNS1_3gpuE4ELNS1_3repE0EEENS1_30default_config_static_selectorELNS0_4arch9wavefront6targetE1EEEvT1_
	.globl	_ZN7rocprim17ROCPRIM_400000_NS6detail17trampoline_kernelINS0_14default_configENS1_20scan_config_selectorIxEEZZNS1_9scan_implILNS1_25lookback_scan_determinismE0ELb0ELb1ES3_N6thrust23THRUST_200600_302600_NS6detail15normal_iteratorINS9_10device_ptrIxEEEESE_xNS9_10multipliesIxEExEEDaPvRmT3_T4_T5_mT6_P12ihipStream_tbENKUlT_T0_E_clISt17integral_constantIbLb1EEST_IbLb0EEEEDaSP_SQ_EUlSP_E0_NS1_11comp_targetILNS1_3genE10ELNS1_11target_archE1200ELNS1_3gpuE4ELNS1_3repE0EEENS1_30default_config_static_selectorELNS0_4arch9wavefront6targetE1EEEvT1_
	.p2align	8
	.type	_ZN7rocprim17ROCPRIM_400000_NS6detail17trampoline_kernelINS0_14default_configENS1_20scan_config_selectorIxEEZZNS1_9scan_implILNS1_25lookback_scan_determinismE0ELb0ELb1ES3_N6thrust23THRUST_200600_302600_NS6detail15normal_iteratorINS9_10device_ptrIxEEEESE_xNS9_10multipliesIxEExEEDaPvRmT3_T4_T5_mT6_P12ihipStream_tbENKUlT_T0_E_clISt17integral_constantIbLb1EEST_IbLb0EEEEDaSP_SQ_EUlSP_E0_NS1_11comp_targetILNS1_3genE10ELNS1_11target_archE1200ELNS1_3gpuE4ELNS1_3repE0EEENS1_30default_config_static_selectorELNS0_4arch9wavefront6targetE1EEEvT1_,@function
_ZN7rocprim17ROCPRIM_400000_NS6detail17trampoline_kernelINS0_14default_configENS1_20scan_config_selectorIxEEZZNS1_9scan_implILNS1_25lookback_scan_determinismE0ELb0ELb1ES3_N6thrust23THRUST_200600_302600_NS6detail15normal_iteratorINS9_10device_ptrIxEEEESE_xNS9_10multipliesIxEExEEDaPvRmT3_T4_T5_mT6_P12ihipStream_tbENKUlT_T0_E_clISt17integral_constantIbLb1EEST_IbLb0EEEEDaSP_SQ_EUlSP_E0_NS1_11comp_targetILNS1_3genE10ELNS1_11target_archE1200ELNS1_3gpuE4ELNS1_3repE0EEENS1_30default_config_static_selectorELNS0_4arch9wavefront6targetE1EEEvT1_: ; @_ZN7rocprim17ROCPRIM_400000_NS6detail17trampoline_kernelINS0_14default_configENS1_20scan_config_selectorIxEEZZNS1_9scan_implILNS1_25lookback_scan_determinismE0ELb0ELb1ES3_N6thrust23THRUST_200600_302600_NS6detail15normal_iteratorINS9_10device_ptrIxEEEESE_xNS9_10multipliesIxEExEEDaPvRmT3_T4_T5_mT6_P12ihipStream_tbENKUlT_T0_E_clISt17integral_constantIbLb1EEST_IbLb0EEEEDaSP_SQ_EUlSP_E0_NS1_11comp_targetILNS1_3genE10ELNS1_11target_archE1200ELNS1_3gpuE4ELNS1_3repE0EEENS1_30default_config_static_selectorELNS0_4arch9wavefront6targetE1EEEvT1_
; %bb.0:
	.section	.rodata,"a",@progbits
	.p2align	6, 0x0
	.amdhsa_kernel _ZN7rocprim17ROCPRIM_400000_NS6detail17trampoline_kernelINS0_14default_configENS1_20scan_config_selectorIxEEZZNS1_9scan_implILNS1_25lookback_scan_determinismE0ELb0ELb1ES3_N6thrust23THRUST_200600_302600_NS6detail15normal_iteratorINS9_10device_ptrIxEEEESE_xNS9_10multipliesIxEExEEDaPvRmT3_T4_T5_mT6_P12ihipStream_tbENKUlT_T0_E_clISt17integral_constantIbLb1EEST_IbLb0EEEEDaSP_SQ_EUlSP_E0_NS1_11comp_targetILNS1_3genE10ELNS1_11target_archE1200ELNS1_3gpuE4ELNS1_3repE0EEENS1_30default_config_static_selectorELNS0_4arch9wavefront6targetE1EEEvT1_
		.amdhsa_group_segment_fixed_size 0
		.amdhsa_private_segment_fixed_size 0
		.amdhsa_kernarg_size 40
		.amdhsa_user_sgpr_count 6
		.amdhsa_user_sgpr_private_segment_buffer 1
		.amdhsa_user_sgpr_dispatch_ptr 0
		.amdhsa_user_sgpr_queue_ptr 0
		.amdhsa_user_sgpr_kernarg_segment_ptr 1
		.amdhsa_user_sgpr_dispatch_id 0
		.amdhsa_user_sgpr_flat_scratch_init 0
		.amdhsa_user_sgpr_kernarg_preload_length 0
		.amdhsa_user_sgpr_kernarg_preload_offset 0
		.amdhsa_user_sgpr_private_segment_size 0
		.amdhsa_uses_dynamic_stack 0
		.amdhsa_system_sgpr_private_segment_wavefront_offset 0
		.amdhsa_system_sgpr_workgroup_id_x 1
		.amdhsa_system_sgpr_workgroup_id_y 0
		.amdhsa_system_sgpr_workgroup_id_z 0
		.amdhsa_system_sgpr_workgroup_info 0
		.amdhsa_system_vgpr_workitem_id 0
		.amdhsa_next_free_vgpr 1
		.amdhsa_next_free_sgpr 0
		.amdhsa_accum_offset 4
		.amdhsa_reserve_vcc 0
		.amdhsa_reserve_flat_scratch 0
		.amdhsa_float_round_mode_32 0
		.amdhsa_float_round_mode_16_64 0
		.amdhsa_float_denorm_mode_32 3
		.amdhsa_float_denorm_mode_16_64 3
		.amdhsa_dx10_clamp 1
		.amdhsa_ieee_mode 1
		.amdhsa_fp16_overflow 0
		.amdhsa_tg_split 0
		.amdhsa_exception_fp_ieee_invalid_op 0
		.amdhsa_exception_fp_denorm_src 0
		.amdhsa_exception_fp_ieee_div_zero 0
		.amdhsa_exception_fp_ieee_overflow 0
		.amdhsa_exception_fp_ieee_underflow 0
		.amdhsa_exception_fp_ieee_inexact 0
		.amdhsa_exception_int_div_zero 0
	.end_amdhsa_kernel
	.section	.text._ZN7rocprim17ROCPRIM_400000_NS6detail17trampoline_kernelINS0_14default_configENS1_20scan_config_selectorIxEEZZNS1_9scan_implILNS1_25lookback_scan_determinismE0ELb0ELb1ES3_N6thrust23THRUST_200600_302600_NS6detail15normal_iteratorINS9_10device_ptrIxEEEESE_xNS9_10multipliesIxEExEEDaPvRmT3_T4_T5_mT6_P12ihipStream_tbENKUlT_T0_E_clISt17integral_constantIbLb1EEST_IbLb0EEEEDaSP_SQ_EUlSP_E0_NS1_11comp_targetILNS1_3genE10ELNS1_11target_archE1200ELNS1_3gpuE4ELNS1_3repE0EEENS1_30default_config_static_selectorELNS0_4arch9wavefront6targetE1EEEvT1_,"axG",@progbits,_ZN7rocprim17ROCPRIM_400000_NS6detail17trampoline_kernelINS0_14default_configENS1_20scan_config_selectorIxEEZZNS1_9scan_implILNS1_25lookback_scan_determinismE0ELb0ELb1ES3_N6thrust23THRUST_200600_302600_NS6detail15normal_iteratorINS9_10device_ptrIxEEEESE_xNS9_10multipliesIxEExEEDaPvRmT3_T4_T5_mT6_P12ihipStream_tbENKUlT_T0_E_clISt17integral_constantIbLb1EEST_IbLb0EEEEDaSP_SQ_EUlSP_E0_NS1_11comp_targetILNS1_3genE10ELNS1_11target_archE1200ELNS1_3gpuE4ELNS1_3repE0EEENS1_30default_config_static_selectorELNS0_4arch9wavefront6targetE1EEEvT1_,comdat
.Lfunc_end321:
	.size	_ZN7rocprim17ROCPRIM_400000_NS6detail17trampoline_kernelINS0_14default_configENS1_20scan_config_selectorIxEEZZNS1_9scan_implILNS1_25lookback_scan_determinismE0ELb0ELb1ES3_N6thrust23THRUST_200600_302600_NS6detail15normal_iteratorINS9_10device_ptrIxEEEESE_xNS9_10multipliesIxEExEEDaPvRmT3_T4_T5_mT6_P12ihipStream_tbENKUlT_T0_E_clISt17integral_constantIbLb1EEST_IbLb0EEEEDaSP_SQ_EUlSP_E0_NS1_11comp_targetILNS1_3genE10ELNS1_11target_archE1200ELNS1_3gpuE4ELNS1_3repE0EEENS1_30default_config_static_selectorELNS0_4arch9wavefront6targetE1EEEvT1_, .Lfunc_end321-_ZN7rocprim17ROCPRIM_400000_NS6detail17trampoline_kernelINS0_14default_configENS1_20scan_config_selectorIxEEZZNS1_9scan_implILNS1_25lookback_scan_determinismE0ELb0ELb1ES3_N6thrust23THRUST_200600_302600_NS6detail15normal_iteratorINS9_10device_ptrIxEEEESE_xNS9_10multipliesIxEExEEDaPvRmT3_T4_T5_mT6_P12ihipStream_tbENKUlT_T0_E_clISt17integral_constantIbLb1EEST_IbLb0EEEEDaSP_SQ_EUlSP_E0_NS1_11comp_targetILNS1_3genE10ELNS1_11target_archE1200ELNS1_3gpuE4ELNS1_3repE0EEENS1_30default_config_static_selectorELNS0_4arch9wavefront6targetE1EEEvT1_
                                        ; -- End function
	.section	.AMDGPU.csdata,"",@progbits
; Kernel info:
; codeLenInByte = 0
; NumSgprs: 4
; NumVgprs: 0
; NumAgprs: 0
; TotalNumVgprs: 0
; ScratchSize: 0
; MemoryBound: 0
; FloatMode: 240
; IeeeMode: 1
; LDSByteSize: 0 bytes/workgroup (compile time only)
; SGPRBlocks: 0
; VGPRBlocks: 0
; NumSGPRsForWavesPerEU: 4
; NumVGPRsForWavesPerEU: 1
; AccumOffset: 4
; Occupancy: 8
; WaveLimiterHint : 0
; COMPUTE_PGM_RSRC2:SCRATCH_EN: 0
; COMPUTE_PGM_RSRC2:USER_SGPR: 6
; COMPUTE_PGM_RSRC2:TRAP_HANDLER: 0
; COMPUTE_PGM_RSRC2:TGID_X_EN: 1
; COMPUTE_PGM_RSRC2:TGID_Y_EN: 0
; COMPUTE_PGM_RSRC2:TGID_Z_EN: 0
; COMPUTE_PGM_RSRC2:TIDIG_COMP_CNT: 0
; COMPUTE_PGM_RSRC3_GFX90A:ACCUM_OFFSET: 0
; COMPUTE_PGM_RSRC3_GFX90A:TG_SPLIT: 0
	.section	.text._ZN7rocprim17ROCPRIM_400000_NS6detail17trampoline_kernelINS0_14default_configENS1_20scan_config_selectorIxEEZZNS1_9scan_implILNS1_25lookback_scan_determinismE0ELb0ELb1ES3_N6thrust23THRUST_200600_302600_NS6detail15normal_iteratorINS9_10device_ptrIxEEEESE_xNS9_10multipliesIxEExEEDaPvRmT3_T4_T5_mT6_P12ihipStream_tbENKUlT_T0_E_clISt17integral_constantIbLb1EEST_IbLb0EEEEDaSP_SQ_EUlSP_E0_NS1_11comp_targetILNS1_3genE9ELNS1_11target_archE1100ELNS1_3gpuE3ELNS1_3repE0EEENS1_30default_config_static_selectorELNS0_4arch9wavefront6targetE1EEEvT1_,"axG",@progbits,_ZN7rocprim17ROCPRIM_400000_NS6detail17trampoline_kernelINS0_14default_configENS1_20scan_config_selectorIxEEZZNS1_9scan_implILNS1_25lookback_scan_determinismE0ELb0ELb1ES3_N6thrust23THRUST_200600_302600_NS6detail15normal_iteratorINS9_10device_ptrIxEEEESE_xNS9_10multipliesIxEExEEDaPvRmT3_T4_T5_mT6_P12ihipStream_tbENKUlT_T0_E_clISt17integral_constantIbLb1EEST_IbLb0EEEEDaSP_SQ_EUlSP_E0_NS1_11comp_targetILNS1_3genE9ELNS1_11target_archE1100ELNS1_3gpuE3ELNS1_3repE0EEENS1_30default_config_static_selectorELNS0_4arch9wavefront6targetE1EEEvT1_,comdat
	.protected	_ZN7rocprim17ROCPRIM_400000_NS6detail17trampoline_kernelINS0_14default_configENS1_20scan_config_selectorIxEEZZNS1_9scan_implILNS1_25lookback_scan_determinismE0ELb0ELb1ES3_N6thrust23THRUST_200600_302600_NS6detail15normal_iteratorINS9_10device_ptrIxEEEESE_xNS9_10multipliesIxEExEEDaPvRmT3_T4_T5_mT6_P12ihipStream_tbENKUlT_T0_E_clISt17integral_constantIbLb1EEST_IbLb0EEEEDaSP_SQ_EUlSP_E0_NS1_11comp_targetILNS1_3genE9ELNS1_11target_archE1100ELNS1_3gpuE3ELNS1_3repE0EEENS1_30default_config_static_selectorELNS0_4arch9wavefront6targetE1EEEvT1_ ; -- Begin function _ZN7rocprim17ROCPRIM_400000_NS6detail17trampoline_kernelINS0_14default_configENS1_20scan_config_selectorIxEEZZNS1_9scan_implILNS1_25lookback_scan_determinismE0ELb0ELb1ES3_N6thrust23THRUST_200600_302600_NS6detail15normal_iteratorINS9_10device_ptrIxEEEESE_xNS9_10multipliesIxEExEEDaPvRmT3_T4_T5_mT6_P12ihipStream_tbENKUlT_T0_E_clISt17integral_constantIbLb1EEST_IbLb0EEEEDaSP_SQ_EUlSP_E0_NS1_11comp_targetILNS1_3genE9ELNS1_11target_archE1100ELNS1_3gpuE3ELNS1_3repE0EEENS1_30default_config_static_selectorELNS0_4arch9wavefront6targetE1EEEvT1_
	.globl	_ZN7rocprim17ROCPRIM_400000_NS6detail17trampoline_kernelINS0_14default_configENS1_20scan_config_selectorIxEEZZNS1_9scan_implILNS1_25lookback_scan_determinismE0ELb0ELb1ES3_N6thrust23THRUST_200600_302600_NS6detail15normal_iteratorINS9_10device_ptrIxEEEESE_xNS9_10multipliesIxEExEEDaPvRmT3_T4_T5_mT6_P12ihipStream_tbENKUlT_T0_E_clISt17integral_constantIbLb1EEST_IbLb0EEEEDaSP_SQ_EUlSP_E0_NS1_11comp_targetILNS1_3genE9ELNS1_11target_archE1100ELNS1_3gpuE3ELNS1_3repE0EEENS1_30default_config_static_selectorELNS0_4arch9wavefront6targetE1EEEvT1_
	.p2align	8
	.type	_ZN7rocprim17ROCPRIM_400000_NS6detail17trampoline_kernelINS0_14default_configENS1_20scan_config_selectorIxEEZZNS1_9scan_implILNS1_25lookback_scan_determinismE0ELb0ELb1ES3_N6thrust23THRUST_200600_302600_NS6detail15normal_iteratorINS9_10device_ptrIxEEEESE_xNS9_10multipliesIxEExEEDaPvRmT3_T4_T5_mT6_P12ihipStream_tbENKUlT_T0_E_clISt17integral_constantIbLb1EEST_IbLb0EEEEDaSP_SQ_EUlSP_E0_NS1_11comp_targetILNS1_3genE9ELNS1_11target_archE1100ELNS1_3gpuE3ELNS1_3repE0EEENS1_30default_config_static_selectorELNS0_4arch9wavefront6targetE1EEEvT1_,@function
_ZN7rocprim17ROCPRIM_400000_NS6detail17trampoline_kernelINS0_14default_configENS1_20scan_config_selectorIxEEZZNS1_9scan_implILNS1_25lookback_scan_determinismE0ELb0ELb1ES3_N6thrust23THRUST_200600_302600_NS6detail15normal_iteratorINS9_10device_ptrIxEEEESE_xNS9_10multipliesIxEExEEDaPvRmT3_T4_T5_mT6_P12ihipStream_tbENKUlT_T0_E_clISt17integral_constantIbLb1EEST_IbLb0EEEEDaSP_SQ_EUlSP_E0_NS1_11comp_targetILNS1_3genE9ELNS1_11target_archE1100ELNS1_3gpuE3ELNS1_3repE0EEENS1_30default_config_static_selectorELNS0_4arch9wavefront6targetE1EEEvT1_: ; @_ZN7rocprim17ROCPRIM_400000_NS6detail17trampoline_kernelINS0_14default_configENS1_20scan_config_selectorIxEEZZNS1_9scan_implILNS1_25lookback_scan_determinismE0ELb0ELb1ES3_N6thrust23THRUST_200600_302600_NS6detail15normal_iteratorINS9_10device_ptrIxEEEESE_xNS9_10multipliesIxEExEEDaPvRmT3_T4_T5_mT6_P12ihipStream_tbENKUlT_T0_E_clISt17integral_constantIbLb1EEST_IbLb0EEEEDaSP_SQ_EUlSP_E0_NS1_11comp_targetILNS1_3genE9ELNS1_11target_archE1100ELNS1_3gpuE3ELNS1_3repE0EEENS1_30default_config_static_selectorELNS0_4arch9wavefront6targetE1EEEvT1_
; %bb.0:
	.section	.rodata,"a",@progbits
	.p2align	6, 0x0
	.amdhsa_kernel _ZN7rocprim17ROCPRIM_400000_NS6detail17trampoline_kernelINS0_14default_configENS1_20scan_config_selectorIxEEZZNS1_9scan_implILNS1_25lookback_scan_determinismE0ELb0ELb1ES3_N6thrust23THRUST_200600_302600_NS6detail15normal_iteratorINS9_10device_ptrIxEEEESE_xNS9_10multipliesIxEExEEDaPvRmT3_T4_T5_mT6_P12ihipStream_tbENKUlT_T0_E_clISt17integral_constantIbLb1EEST_IbLb0EEEEDaSP_SQ_EUlSP_E0_NS1_11comp_targetILNS1_3genE9ELNS1_11target_archE1100ELNS1_3gpuE3ELNS1_3repE0EEENS1_30default_config_static_selectorELNS0_4arch9wavefront6targetE1EEEvT1_
		.amdhsa_group_segment_fixed_size 0
		.amdhsa_private_segment_fixed_size 0
		.amdhsa_kernarg_size 40
		.amdhsa_user_sgpr_count 6
		.amdhsa_user_sgpr_private_segment_buffer 1
		.amdhsa_user_sgpr_dispatch_ptr 0
		.amdhsa_user_sgpr_queue_ptr 0
		.amdhsa_user_sgpr_kernarg_segment_ptr 1
		.amdhsa_user_sgpr_dispatch_id 0
		.amdhsa_user_sgpr_flat_scratch_init 0
		.amdhsa_user_sgpr_kernarg_preload_length 0
		.amdhsa_user_sgpr_kernarg_preload_offset 0
		.amdhsa_user_sgpr_private_segment_size 0
		.amdhsa_uses_dynamic_stack 0
		.amdhsa_system_sgpr_private_segment_wavefront_offset 0
		.amdhsa_system_sgpr_workgroup_id_x 1
		.amdhsa_system_sgpr_workgroup_id_y 0
		.amdhsa_system_sgpr_workgroup_id_z 0
		.amdhsa_system_sgpr_workgroup_info 0
		.amdhsa_system_vgpr_workitem_id 0
		.amdhsa_next_free_vgpr 1
		.amdhsa_next_free_sgpr 0
		.amdhsa_accum_offset 4
		.amdhsa_reserve_vcc 0
		.amdhsa_reserve_flat_scratch 0
		.amdhsa_float_round_mode_32 0
		.amdhsa_float_round_mode_16_64 0
		.amdhsa_float_denorm_mode_32 3
		.amdhsa_float_denorm_mode_16_64 3
		.amdhsa_dx10_clamp 1
		.amdhsa_ieee_mode 1
		.amdhsa_fp16_overflow 0
		.amdhsa_tg_split 0
		.amdhsa_exception_fp_ieee_invalid_op 0
		.amdhsa_exception_fp_denorm_src 0
		.amdhsa_exception_fp_ieee_div_zero 0
		.amdhsa_exception_fp_ieee_overflow 0
		.amdhsa_exception_fp_ieee_underflow 0
		.amdhsa_exception_fp_ieee_inexact 0
		.amdhsa_exception_int_div_zero 0
	.end_amdhsa_kernel
	.section	.text._ZN7rocprim17ROCPRIM_400000_NS6detail17trampoline_kernelINS0_14default_configENS1_20scan_config_selectorIxEEZZNS1_9scan_implILNS1_25lookback_scan_determinismE0ELb0ELb1ES3_N6thrust23THRUST_200600_302600_NS6detail15normal_iteratorINS9_10device_ptrIxEEEESE_xNS9_10multipliesIxEExEEDaPvRmT3_T4_T5_mT6_P12ihipStream_tbENKUlT_T0_E_clISt17integral_constantIbLb1EEST_IbLb0EEEEDaSP_SQ_EUlSP_E0_NS1_11comp_targetILNS1_3genE9ELNS1_11target_archE1100ELNS1_3gpuE3ELNS1_3repE0EEENS1_30default_config_static_selectorELNS0_4arch9wavefront6targetE1EEEvT1_,"axG",@progbits,_ZN7rocprim17ROCPRIM_400000_NS6detail17trampoline_kernelINS0_14default_configENS1_20scan_config_selectorIxEEZZNS1_9scan_implILNS1_25lookback_scan_determinismE0ELb0ELb1ES3_N6thrust23THRUST_200600_302600_NS6detail15normal_iteratorINS9_10device_ptrIxEEEESE_xNS9_10multipliesIxEExEEDaPvRmT3_T4_T5_mT6_P12ihipStream_tbENKUlT_T0_E_clISt17integral_constantIbLb1EEST_IbLb0EEEEDaSP_SQ_EUlSP_E0_NS1_11comp_targetILNS1_3genE9ELNS1_11target_archE1100ELNS1_3gpuE3ELNS1_3repE0EEENS1_30default_config_static_selectorELNS0_4arch9wavefront6targetE1EEEvT1_,comdat
.Lfunc_end322:
	.size	_ZN7rocprim17ROCPRIM_400000_NS6detail17trampoline_kernelINS0_14default_configENS1_20scan_config_selectorIxEEZZNS1_9scan_implILNS1_25lookback_scan_determinismE0ELb0ELb1ES3_N6thrust23THRUST_200600_302600_NS6detail15normal_iteratorINS9_10device_ptrIxEEEESE_xNS9_10multipliesIxEExEEDaPvRmT3_T4_T5_mT6_P12ihipStream_tbENKUlT_T0_E_clISt17integral_constantIbLb1EEST_IbLb0EEEEDaSP_SQ_EUlSP_E0_NS1_11comp_targetILNS1_3genE9ELNS1_11target_archE1100ELNS1_3gpuE3ELNS1_3repE0EEENS1_30default_config_static_selectorELNS0_4arch9wavefront6targetE1EEEvT1_, .Lfunc_end322-_ZN7rocprim17ROCPRIM_400000_NS6detail17trampoline_kernelINS0_14default_configENS1_20scan_config_selectorIxEEZZNS1_9scan_implILNS1_25lookback_scan_determinismE0ELb0ELb1ES3_N6thrust23THRUST_200600_302600_NS6detail15normal_iteratorINS9_10device_ptrIxEEEESE_xNS9_10multipliesIxEExEEDaPvRmT3_T4_T5_mT6_P12ihipStream_tbENKUlT_T0_E_clISt17integral_constantIbLb1EEST_IbLb0EEEEDaSP_SQ_EUlSP_E0_NS1_11comp_targetILNS1_3genE9ELNS1_11target_archE1100ELNS1_3gpuE3ELNS1_3repE0EEENS1_30default_config_static_selectorELNS0_4arch9wavefront6targetE1EEEvT1_
                                        ; -- End function
	.section	.AMDGPU.csdata,"",@progbits
; Kernel info:
; codeLenInByte = 0
; NumSgprs: 4
; NumVgprs: 0
; NumAgprs: 0
; TotalNumVgprs: 0
; ScratchSize: 0
; MemoryBound: 0
; FloatMode: 240
; IeeeMode: 1
; LDSByteSize: 0 bytes/workgroup (compile time only)
; SGPRBlocks: 0
; VGPRBlocks: 0
; NumSGPRsForWavesPerEU: 4
; NumVGPRsForWavesPerEU: 1
; AccumOffset: 4
; Occupancy: 8
; WaveLimiterHint : 0
; COMPUTE_PGM_RSRC2:SCRATCH_EN: 0
; COMPUTE_PGM_RSRC2:USER_SGPR: 6
; COMPUTE_PGM_RSRC2:TRAP_HANDLER: 0
; COMPUTE_PGM_RSRC2:TGID_X_EN: 1
; COMPUTE_PGM_RSRC2:TGID_Y_EN: 0
; COMPUTE_PGM_RSRC2:TGID_Z_EN: 0
; COMPUTE_PGM_RSRC2:TIDIG_COMP_CNT: 0
; COMPUTE_PGM_RSRC3_GFX90A:ACCUM_OFFSET: 0
; COMPUTE_PGM_RSRC3_GFX90A:TG_SPLIT: 0
	.section	.text._ZN7rocprim17ROCPRIM_400000_NS6detail17trampoline_kernelINS0_14default_configENS1_20scan_config_selectorIxEEZZNS1_9scan_implILNS1_25lookback_scan_determinismE0ELb0ELb1ES3_N6thrust23THRUST_200600_302600_NS6detail15normal_iteratorINS9_10device_ptrIxEEEESE_xNS9_10multipliesIxEExEEDaPvRmT3_T4_T5_mT6_P12ihipStream_tbENKUlT_T0_E_clISt17integral_constantIbLb1EEST_IbLb0EEEEDaSP_SQ_EUlSP_E0_NS1_11comp_targetILNS1_3genE8ELNS1_11target_archE1030ELNS1_3gpuE2ELNS1_3repE0EEENS1_30default_config_static_selectorELNS0_4arch9wavefront6targetE1EEEvT1_,"axG",@progbits,_ZN7rocprim17ROCPRIM_400000_NS6detail17trampoline_kernelINS0_14default_configENS1_20scan_config_selectorIxEEZZNS1_9scan_implILNS1_25lookback_scan_determinismE0ELb0ELb1ES3_N6thrust23THRUST_200600_302600_NS6detail15normal_iteratorINS9_10device_ptrIxEEEESE_xNS9_10multipliesIxEExEEDaPvRmT3_T4_T5_mT6_P12ihipStream_tbENKUlT_T0_E_clISt17integral_constantIbLb1EEST_IbLb0EEEEDaSP_SQ_EUlSP_E0_NS1_11comp_targetILNS1_3genE8ELNS1_11target_archE1030ELNS1_3gpuE2ELNS1_3repE0EEENS1_30default_config_static_selectorELNS0_4arch9wavefront6targetE1EEEvT1_,comdat
	.protected	_ZN7rocprim17ROCPRIM_400000_NS6detail17trampoline_kernelINS0_14default_configENS1_20scan_config_selectorIxEEZZNS1_9scan_implILNS1_25lookback_scan_determinismE0ELb0ELb1ES3_N6thrust23THRUST_200600_302600_NS6detail15normal_iteratorINS9_10device_ptrIxEEEESE_xNS9_10multipliesIxEExEEDaPvRmT3_T4_T5_mT6_P12ihipStream_tbENKUlT_T0_E_clISt17integral_constantIbLb1EEST_IbLb0EEEEDaSP_SQ_EUlSP_E0_NS1_11comp_targetILNS1_3genE8ELNS1_11target_archE1030ELNS1_3gpuE2ELNS1_3repE0EEENS1_30default_config_static_selectorELNS0_4arch9wavefront6targetE1EEEvT1_ ; -- Begin function _ZN7rocprim17ROCPRIM_400000_NS6detail17trampoline_kernelINS0_14default_configENS1_20scan_config_selectorIxEEZZNS1_9scan_implILNS1_25lookback_scan_determinismE0ELb0ELb1ES3_N6thrust23THRUST_200600_302600_NS6detail15normal_iteratorINS9_10device_ptrIxEEEESE_xNS9_10multipliesIxEExEEDaPvRmT3_T4_T5_mT6_P12ihipStream_tbENKUlT_T0_E_clISt17integral_constantIbLb1EEST_IbLb0EEEEDaSP_SQ_EUlSP_E0_NS1_11comp_targetILNS1_3genE8ELNS1_11target_archE1030ELNS1_3gpuE2ELNS1_3repE0EEENS1_30default_config_static_selectorELNS0_4arch9wavefront6targetE1EEEvT1_
	.globl	_ZN7rocprim17ROCPRIM_400000_NS6detail17trampoline_kernelINS0_14default_configENS1_20scan_config_selectorIxEEZZNS1_9scan_implILNS1_25lookback_scan_determinismE0ELb0ELb1ES3_N6thrust23THRUST_200600_302600_NS6detail15normal_iteratorINS9_10device_ptrIxEEEESE_xNS9_10multipliesIxEExEEDaPvRmT3_T4_T5_mT6_P12ihipStream_tbENKUlT_T0_E_clISt17integral_constantIbLb1EEST_IbLb0EEEEDaSP_SQ_EUlSP_E0_NS1_11comp_targetILNS1_3genE8ELNS1_11target_archE1030ELNS1_3gpuE2ELNS1_3repE0EEENS1_30default_config_static_selectorELNS0_4arch9wavefront6targetE1EEEvT1_
	.p2align	8
	.type	_ZN7rocprim17ROCPRIM_400000_NS6detail17trampoline_kernelINS0_14default_configENS1_20scan_config_selectorIxEEZZNS1_9scan_implILNS1_25lookback_scan_determinismE0ELb0ELb1ES3_N6thrust23THRUST_200600_302600_NS6detail15normal_iteratorINS9_10device_ptrIxEEEESE_xNS9_10multipliesIxEExEEDaPvRmT3_T4_T5_mT6_P12ihipStream_tbENKUlT_T0_E_clISt17integral_constantIbLb1EEST_IbLb0EEEEDaSP_SQ_EUlSP_E0_NS1_11comp_targetILNS1_3genE8ELNS1_11target_archE1030ELNS1_3gpuE2ELNS1_3repE0EEENS1_30default_config_static_selectorELNS0_4arch9wavefront6targetE1EEEvT1_,@function
_ZN7rocprim17ROCPRIM_400000_NS6detail17trampoline_kernelINS0_14default_configENS1_20scan_config_selectorIxEEZZNS1_9scan_implILNS1_25lookback_scan_determinismE0ELb0ELb1ES3_N6thrust23THRUST_200600_302600_NS6detail15normal_iteratorINS9_10device_ptrIxEEEESE_xNS9_10multipliesIxEExEEDaPvRmT3_T4_T5_mT6_P12ihipStream_tbENKUlT_T0_E_clISt17integral_constantIbLb1EEST_IbLb0EEEEDaSP_SQ_EUlSP_E0_NS1_11comp_targetILNS1_3genE8ELNS1_11target_archE1030ELNS1_3gpuE2ELNS1_3repE0EEENS1_30default_config_static_selectorELNS0_4arch9wavefront6targetE1EEEvT1_: ; @_ZN7rocprim17ROCPRIM_400000_NS6detail17trampoline_kernelINS0_14default_configENS1_20scan_config_selectorIxEEZZNS1_9scan_implILNS1_25lookback_scan_determinismE0ELb0ELb1ES3_N6thrust23THRUST_200600_302600_NS6detail15normal_iteratorINS9_10device_ptrIxEEEESE_xNS9_10multipliesIxEExEEDaPvRmT3_T4_T5_mT6_P12ihipStream_tbENKUlT_T0_E_clISt17integral_constantIbLb1EEST_IbLb0EEEEDaSP_SQ_EUlSP_E0_NS1_11comp_targetILNS1_3genE8ELNS1_11target_archE1030ELNS1_3gpuE2ELNS1_3repE0EEENS1_30default_config_static_selectorELNS0_4arch9wavefront6targetE1EEEvT1_
; %bb.0:
	.section	.rodata,"a",@progbits
	.p2align	6, 0x0
	.amdhsa_kernel _ZN7rocprim17ROCPRIM_400000_NS6detail17trampoline_kernelINS0_14default_configENS1_20scan_config_selectorIxEEZZNS1_9scan_implILNS1_25lookback_scan_determinismE0ELb0ELb1ES3_N6thrust23THRUST_200600_302600_NS6detail15normal_iteratorINS9_10device_ptrIxEEEESE_xNS9_10multipliesIxEExEEDaPvRmT3_T4_T5_mT6_P12ihipStream_tbENKUlT_T0_E_clISt17integral_constantIbLb1EEST_IbLb0EEEEDaSP_SQ_EUlSP_E0_NS1_11comp_targetILNS1_3genE8ELNS1_11target_archE1030ELNS1_3gpuE2ELNS1_3repE0EEENS1_30default_config_static_selectorELNS0_4arch9wavefront6targetE1EEEvT1_
		.amdhsa_group_segment_fixed_size 0
		.amdhsa_private_segment_fixed_size 0
		.amdhsa_kernarg_size 40
		.amdhsa_user_sgpr_count 6
		.amdhsa_user_sgpr_private_segment_buffer 1
		.amdhsa_user_sgpr_dispatch_ptr 0
		.amdhsa_user_sgpr_queue_ptr 0
		.amdhsa_user_sgpr_kernarg_segment_ptr 1
		.amdhsa_user_sgpr_dispatch_id 0
		.amdhsa_user_sgpr_flat_scratch_init 0
		.amdhsa_user_sgpr_kernarg_preload_length 0
		.amdhsa_user_sgpr_kernarg_preload_offset 0
		.amdhsa_user_sgpr_private_segment_size 0
		.amdhsa_uses_dynamic_stack 0
		.amdhsa_system_sgpr_private_segment_wavefront_offset 0
		.amdhsa_system_sgpr_workgroup_id_x 1
		.amdhsa_system_sgpr_workgroup_id_y 0
		.amdhsa_system_sgpr_workgroup_id_z 0
		.amdhsa_system_sgpr_workgroup_info 0
		.amdhsa_system_vgpr_workitem_id 0
		.amdhsa_next_free_vgpr 1
		.amdhsa_next_free_sgpr 0
		.amdhsa_accum_offset 4
		.amdhsa_reserve_vcc 0
		.amdhsa_reserve_flat_scratch 0
		.amdhsa_float_round_mode_32 0
		.amdhsa_float_round_mode_16_64 0
		.amdhsa_float_denorm_mode_32 3
		.amdhsa_float_denorm_mode_16_64 3
		.amdhsa_dx10_clamp 1
		.amdhsa_ieee_mode 1
		.amdhsa_fp16_overflow 0
		.amdhsa_tg_split 0
		.amdhsa_exception_fp_ieee_invalid_op 0
		.amdhsa_exception_fp_denorm_src 0
		.amdhsa_exception_fp_ieee_div_zero 0
		.amdhsa_exception_fp_ieee_overflow 0
		.amdhsa_exception_fp_ieee_underflow 0
		.amdhsa_exception_fp_ieee_inexact 0
		.amdhsa_exception_int_div_zero 0
	.end_amdhsa_kernel
	.section	.text._ZN7rocprim17ROCPRIM_400000_NS6detail17trampoline_kernelINS0_14default_configENS1_20scan_config_selectorIxEEZZNS1_9scan_implILNS1_25lookback_scan_determinismE0ELb0ELb1ES3_N6thrust23THRUST_200600_302600_NS6detail15normal_iteratorINS9_10device_ptrIxEEEESE_xNS9_10multipliesIxEExEEDaPvRmT3_T4_T5_mT6_P12ihipStream_tbENKUlT_T0_E_clISt17integral_constantIbLb1EEST_IbLb0EEEEDaSP_SQ_EUlSP_E0_NS1_11comp_targetILNS1_3genE8ELNS1_11target_archE1030ELNS1_3gpuE2ELNS1_3repE0EEENS1_30default_config_static_selectorELNS0_4arch9wavefront6targetE1EEEvT1_,"axG",@progbits,_ZN7rocprim17ROCPRIM_400000_NS6detail17trampoline_kernelINS0_14default_configENS1_20scan_config_selectorIxEEZZNS1_9scan_implILNS1_25lookback_scan_determinismE0ELb0ELb1ES3_N6thrust23THRUST_200600_302600_NS6detail15normal_iteratorINS9_10device_ptrIxEEEESE_xNS9_10multipliesIxEExEEDaPvRmT3_T4_T5_mT6_P12ihipStream_tbENKUlT_T0_E_clISt17integral_constantIbLb1EEST_IbLb0EEEEDaSP_SQ_EUlSP_E0_NS1_11comp_targetILNS1_3genE8ELNS1_11target_archE1030ELNS1_3gpuE2ELNS1_3repE0EEENS1_30default_config_static_selectorELNS0_4arch9wavefront6targetE1EEEvT1_,comdat
.Lfunc_end323:
	.size	_ZN7rocprim17ROCPRIM_400000_NS6detail17trampoline_kernelINS0_14default_configENS1_20scan_config_selectorIxEEZZNS1_9scan_implILNS1_25lookback_scan_determinismE0ELb0ELb1ES3_N6thrust23THRUST_200600_302600_NS6detail15normal_iteratorINS9_10device_ptrIxEEEESE_xNS9_10multipliesIxEExEEDaPvRmT3_T4_T5_mT6_P12ihipStream_tbENKUlT_T0_E_clISt17integral_constantIbLb1EEST_IbLb0EEEEDaSP_SQ_EUlSP_E0_NS1_11comp_targetILNS1_3genE8ELNS1_11target_archE1030ELNS1_3gpuE2ELNS1_3repE0EEENS1_30default_config_static_selectorELNS0_4arch9wavefront6targetE1EEEvT1_, .Lfunc_end323-_ZN7rocprim17ROCPRIM_400000_NS6detail17trampoline_kernelINS0_14default_configENS1_20scan_config_selectorIxEEZZNS1_9scan_implILNS1_25lookback_scan_determinismE0ELb0ELb1ES3_N6thrust23THRUST_200600_302600_NS6detail15normal_iteratorINS9_10device_ptrIxEEEESE_xNS9_10multipliesIxEExEEDaPvRmT3_T4_T5_mT6_P12ihipStream_tbENKUlT_T0_E_clISt17integral_constantIbLb1EEST_IbLb0EEEEDaSP_SQ_EUlSP_E0_NS1_11comp_targetILNS1_3genE8ELNS1_11target_archE1030ELNS1_3gpuE2ELNS1_3repE0EEENS1_30default_config_static_selectorELNS0_4arch9wavefront6targetE1EEEvT1_
                                        ; -- End function
	.section	.AMDGPU.csdata,"",@progbits
; Kernel info:
; codeLenInByte = 0
; NumSgprs: 4
; NumVgprs: 0
; NumAgprs: 0
; TotalNumVgprs: 0
; ScratchSize: 0
; MemoryBound: 0
; FloatMode: 240
; IeeeMode: 1
; LDSByteSize: 0 bytes/workgroup (compile time only)
; SGPRBlocks: 0
; VGPRBlocks: 0
; NumSGPRsForWavesPerEU: 4
; NumVGPRsForWavesPerEU: 1
; AccumOffset: 4
; Occupancy: 8
; WaveLimiterHint : 0
; COMPUTE_PGM_RSRC2:SCRATCH_EN: 0
; COMPUTE_PGM_RSRC2:USER_SGPR: 6
; COMPUTE_PGM_RSRC2:TRAP_HANDLER: 0
; COMPUTE_PGM_RSRC2:TGID_X_EN: 1
; COMPUTE_PGM_RSRC2:TGID_Y_EN: 0
; COMPUTE_PGM_RSRC2:TGID_Z_EN: 0
; COMPUTE_PGM_RSRC2:TIDIG_COMP_CNT: 0
; COMPUTE_PGM_RSRC3_GFX90A:ACCUM_OFFSET: 0
; COMPUTE_PGM_RSRC3_GFX90A:TG_SPLIT: 0
	.section	.text._ZN7rocprim17ROCPRIM_400000_NS6detail17trampoline_kernelINS0_14default_configENS1_20scan_config_selectorIxEEZZNS1_9scan_implILNS1_25lookback_scan_determinismE0ELb0ELb1ES3_N6thrust23THRUST_200600_302600_NS6detail15normal_iteratorINS9_10device_ptrIxEEEESE_xNS9_10multipliesIxEExEEDaPvRmT3_T4_T5_mT6_P12ihipStream_tbENKUlT_T0_E_clISt17integral_constantIbLb0EEST_IbLb1EEEEDaSP_SQ_EUlSP_E_NS1_11comp_targetILNS1_3genE0ELNS1_11target_archE4294967295ELNS1_3gpuE0ELNS1_3repE0EEENS1_30default_config_static_selectorELNS0_4arch9wavefront6targetE1EEEvT1_,"axG",@progbits,_ZN7rocprim17ROCPRIM_400000_NS6detail17trampoline_kernelINS0_14default_configENS1_20scan_config_selectorIxEEZZNS1_9scan_implILNS1_25lookback_scan_determinismE0ELb0ELb1ES3_N6thrust23THRUST_200600_302600_NS6detail15normal_iteratorINS9_10device_ptrIxEEEESE_xNS9_10multipliesIxEExEEDaPvRmT3_T4_T5_mT6_P12ihipStream_tbENKUlT_T0_E_clISt17integral_constantIbLb0EEST_IbLb1EEEEDaSP_SQ_EUlSP_E_NS1_11comp_targetILNS1_3genE0ELNS1_11target_archE4294967295ELNS1_3gpuE0ELNS1_3repE0EEENS1_30default_config_static_selectorELNS0_4arch9wavefront6targetE1EEEvT1_,comdat
	.protected	_ZN7rocprim17ROCPRIM_400000_NS6detail17trampoline_kernelINS0_14default_configENS1_20scan_config_selectorIxEEZZNS1_9scan_implILNS1_25lookback_scan_determinismE0ELb0ELb1ES3_N6thrust23THRUST_200600_302600_NS6detail15normal_iteratorINS9_10device_ptrIxEEEESE_xNS9_10multipliesIxEExEEDaPvRmT3_T4_T5_mT6_P12ihipStream_tbENKUlT_T0_E_clISt17integral_constantIbLb0EEST_IbLb1EEEEDaSP_SQ_EUlSP_E_NS1_11comp_targetILNS1_3genE0ELNS1_11target_archE4294967295ELNS1_3gpuE0ELNS1_3repE0EEENS1_30default_config_static_selectorELNS0_4arch9wavefront6targetE1EEEvT1_ ; -- Begin function _ZN7rocprim17ROCPRIM_400000_NS6detail17trampoline_kernelINS0_14default_configENS1_20scan_config_selectorIxEEZZNS1_9scan_implILNS1_25lookback_scan_determinismE0ELb0ELb1ES3_N6thrust23THRUST_200600_302600_NS6detail15normal_iteratorINS9_10device_ptrIxEEEESE_xNS9_10multipliesIxEExEEDaPvRmT3_T4_T5_mT6_P12ihipStream_tbENKUlT_T0_E_clISt17integral_constantIbLb0EEST_IbLb1EEEEDaSP_SQ_EUlSP_E_NS1_11comp_targetILNS1_3genE0ELNS1_11target_archE4294967295ELNS1_3gpuE0ELNS1_3repE0EEENS1_30default_config_static_selectorELNS0_4arch9wavefront6targetE1EEEvT1_
	.globl	_ZN7rocprim17ROCPRIM_400000_NS6detail17trampoline_kernelINS0_14default_configENS1_20scan_config_selectorIxEEZZNS1_9scan_implILNS1_25lookback_scan_determinismE0ELb0ELb1ES3_N6thrust23THRUST_200600_302600_NS6detail15normal_iteratorINS9_10device_ptrIxEEEESE_xNS9_10multipliesIxEExEEDaPvRmT3_T4_T5_mT6_P12ihipStream_tbENKUlT_T0_E_clISt17integral_constantIbLb0EEST_IbLb1EEEEDaSP_SQ_EUlSP_E_NS1_11comp_targetILNS1_3genE0ELNS1_11target_archE4294967295ELNS1_3gpuE0ELNS1_3repE0EEENS1_30default_config_static_selectorELNS0_4arch9wavefront6targetE1EEEvT1_
	.p2align	8
	.type	_ZN7rocprim17ROCPRIM_400000_NS6detail17trampoline_kernelINS0_14default_configENS1_20scan_config_selectorIxEEZZNS1_9scan_implILNS1_25lookback_scan_determinismE0ELb0ELb1ES3_N6thrust23THRUST_200600_302600_NS6detail15normal_iteratorINS9_10device_ptrIxEEEESE_xNS9_10multipliesIxEExEEDaPvRmT3_T4_T5_mT6_P12ihipStream_tbENKUlT_T0_E_clISt17integral_constantIbLb0EEST_IbLb1EEEEDaSP_SQ_EUlSP_E_NS1_11comp_targetILNS1_3genE0ELNS1_11target_archE4294967295ELNS1_3gpuE0ELNS1_3repE0EEENS1_30default_config_static_selectorELNS0_4arch9wavefront6targetE1EEEvT1_,@function
_ZN7rocprim17ROCPRIM_400000_NS6detail17trampoline_kernelINS0_14default_configENS1_20scan_config_selectorIxEEZZNS1_9scan_implILNS1_25lookback_scan_determinismE0ELb0ELb1ES3_N6thrust23THRUST_200600_302600_NS6detail15normal_iteratorINS9_10device_ptrIxEEEESE_xNS9_10multipliesIxEExEEDaPvRmT3_T4_T5_mT6_P12ihipStream_tbENKUlT_T0_E_clISt17integral_constantIbLb0EEST_IbLb1EEEEDaSP_SQ_EUlSP_E_NS1_11comp_targetILNS1_3genE0ELNS1_11target_archE4294967295ELNS1_3gpuE0ELNS1_3repE0EEENS1_30default_config_static_selectorELNS0_4arch9wavefront6targetE1EEEvT1_: ; @_ZN7rocprim17ROCPRIM_400000_NS6detail17trampoline_kernelINS0_14default_configENS1_20scan_config_selectorIxEEZZNS1_9scan_implILNS1_25lookback_scan_determinismE0ELb0ELb1ES3_N6thrust23THRUST_200600_302600_NS6detail15normal_iteratorINS9_10device_ptrIxEEEESE_xNS9_10multipliesIxEExEEDaPvRmT3_T4_T5_mT6_P12ihipStream_tbENKUlT_T0_E_clISt17integral_constantIbLb0EEST_IbLb1EEEEDaSP_SQ_EUlSP_E_NS1_11comp_targetILNS1_3genE0ELNS1_11target_archE4294967295ELNS1_3gpuE0ELNS1_3repE0EEENS1_30default_config_static_selectorELNS0_4arch9wavefront6targetE1EEEvT1_
; %bb.0:
	.section	.rodata,"a",@progbits
	.p2align	6, 0x0
	.amdhsa_kernel _ZN7rocprim17ROCPRIM_400000_NS6detail17trampoline_kernelINS0_14default_configENS1_20scan_config_selectorIxEEZZNS1_9scan_implILNS1_25lookback_scan_determinismE0ELb0ELb1ES3_N6thrust23THRUST_200600_302600_NS6detail15normal_iteratorINS9_10device_ptrIxEEEESE_xNS9_10multipliesIxEExEEDaPvRmT3_T4_T5_mT6_P12ihipStream_tbENKUlT_T0_E_clISt17integral_constantIbLb0EEST_IbLb1EEEEDaSP_SQ_EUlSP_E_NS1_11comp_targetILNS1_3genE0ELNS1_11target_archE4294967295ELNS1_3gpuE0ELNS1_3repE0EEENS1_30default_config_static_selectorELNS0_4arch9wavefront6targetE1EEEvT1_
		.amdhsa_group_segment_fixed_size 0
		.amdhsa_private_segment_fixed_size 0
		.amdhsa_kernarg_size 104
		.amdhsa_user_sgpr_count 6
		.amdhsa_user_sgpr_private_segment_buffer 1
		.amdhsa_user_sgpr_dispatch_ptr 0
		.amdhsa_user_sgpr_queue_ptr 0
		.amdhsa_user_sgpr_kernarg_segment_ptr 1
		.amdhsa_user_sgpr_dispatch_id 0
		.amdhsa_user_sgpr_flat_scratch_init 0
		.amdhsa_user_sgpr_kernarg_preload_length 0
		.amdhsa_user_sgpr_kernarg_preload_offset 0
		.amdhsa_user_sgpr_private_segment_size 0
		.amdhsa_uses_dynamic_stack 0
		.amdhsa_system_sgpr_private_segment_wavefront_offset 0
		.amdhsa_system_sgpr_workgroup_id_x 1
		.amdhsa_system_sgpr_workgroup_id_y 0
		.amdhsa_system_sgpr_workgroup_id_z 0
		.amdhsa_system_sgpr_workgroup_info 0
		.amdhsa_system_vgpr_workitem_id 0
		.amdhsa_next_free_vgpr 1
		.amdhsa_next_free_sgpr 0
		.amdhsa_accum_offset 4
		.amdhsa_reserve_vcc 0
		.amdhsa_reserve_flat_scratch 0
		.amdhsa_float_round_mode_32 0
		.amdhsa_float_round_mode_16_64 0
		.amdhsa_float_denorm_mode_32 3
		.amdhsa_float_denorm_mode_16_64 3
		.amdhsa_dx10_clamp 1
		.amdhsa_ieee_mode 1
		.amdhsa_fp16_overflow 0
		.amdhsa_tg_split 0
		.amdhsa_exception_fp_ieee_invalid_op 0
		.amdhsa_exception_fp_denorm_src 0
		.amdhsa_exception_fp_ieee_div_zero 0
		.amdhsa_exception_fp_ieee_overflow 0
		.amdhsa_exception_fp_ieee_underflow 0
		.amdhsa_exception_fp_ieee_inexact 0
		.amdhsa_exception_int_div_zero 0
	.end_amdhsa_kernel
	.section	.text._ZN7rocprim17ROCPRIM_400000_NS6detail17trampoline_kernelINS0_14default_configENS1_20scan_config_selectorIxEEZZNS1_9scan_implILNS1_25lookback_scan_determinismE0ELb0ELb1ES3_N6thrust23THRUST_200600_302600_NS6detail15normal_iteratorINS9_10device_ptrIxEEEESE_xNS9_10multipliesIxEExEEDaPvRmT3_T4_T5_mT6_P12ihipStream_tbENKUlT_T0_E_clISt17integral_constantIbLb0EEST_IbLb1EEEEDaSP_SQ_EUlSP_E_NS1_11comp_targetILNS1_3genE0ELNS1_11target_archE4294967295ELNS1_3gpuE0ELNS1_3repE0EEENS1_30default_config_static_selectorELNS0_4arch9wavefront6targetE1EEEvT1_,"axG",@progbits,_ZN7rocprim17ROCPRIM_400000_NS6detail17trampoline_kernelINS0_14default_configENS1_20scan_config_selectorIxEEZZNS1_9scan_implILNS1_25lookback_scan_determinismE0ELb0ELb1ES3_N6thrust23THRUST_200600_302600_NS6detail15normal_iteratorINS9_10device_ptrIxEEEESE_xNS9_10multipliesIxEExEEDaPvRmT3_T4_T5_mT6_P12ihipStream_tbENKUlT_T0_E_clISt17integral_constantIbLb0EEST_IbLb1EEEEDaSP_SQ_EUlSP_E_NS1_11comp_targetILNS1_3genE0ELNS1_11target_archE4294967295ELNS1_3gpuE0ELNS1_3repE0EEENS1_30default_config_static_selectorELNS0_4arch9wavefront6targetE1EEEvT1_,comdat
.Lfunc_end324:
	.size	_ZN7rocprim17ROCPRIM_400000_NS6detail17trampoline_kernelINS0_14default_configENS1_20scan_config_selectorIxEEZZNS1_9scan_implILNS1_25lookback_scan_determinismE0ELb0ELb1ES3_N6thrust23THRUST_200600_302600_NS6detail15normal_iteratorINS9_10device_ptrIxEEEESE_xNS9_10multipliesIxEExEEDaPvRmT3_T4_T5_mT6_P12ihipStream_tbENKUlT_T0_E_clISt17integral_constantIbLb0EEST_IbLb1EEEEDaSP_SQ_EUlSP_E_NS1_11comp_targetILNS1_3genE0ELNS1_11target_archE4294967295ELNS1_3gpuE0ELNS1_3repE0EEENS1_30default_config_static_selectorELNS0_4arch9wavefront6targetE1EEEvT1_, .Lfunc_end324-_ZN7rocprim17ROCPRIM_400000_NS6detail17trampoline_kernelINS0_14default_configENS1_20scan_config_selectorIxEEZZNS1_9scan_implILNS1_25lookback_scan_determinismE0ELb0ELb1ES3_N6thrust23THRUST_200600_302600_NS6detail15normal_iteratorINS9_10device_ptrIxEEEESE_xNS9_10multipliesIxEExEEDaPvRmT3_T4_T5_mT6_P12ihipStream_tbENKUlT_T0_E_clISt17integral_constantIbLb0EEST_IbLb1EEEEDaSP_SQ_EUlSP_E_NS1_11comp_targetILNS1_3genE0ELNS1_11target_archE4294967295ELNS1_3gpuE0ELNS1_3repE0EEENS1_30default_config_static_selectorELNS0_4arch9wavefront6targetE1EEEvT1_
                                        ; -- End function
	.section	.AMDGPU.csdata,"",@progbits
; Kernel info:
; codeLenInByte = 0
; NumSgprs: 4
; NumVgprs: 0
; NumAgprs: 0
; TotalNumVgprs: 0
; ScratchSize: 0
; MemoryBound: 0
; FloatMode: 240
; IeeeMode: 1
; LDSByteSize: 0 bytes/workgroup (compile time only)
; SGPRBlocks: 0
; VGPRBlocks: 0
; NumSGPRsForWavesPerEU: 4
; NumVGPRsForWavesPerEU: 1
; AccumOffset: 4
; Occupancy: 8
; WaveLimiterHint : 0
; COMPUTE_PGM_RSRC2:SCRATCH_EN: 0
; COMPUTE_PGM_RSRC2:USER_SGPR: 6
; COMPUTE_PGM_RSRC2:TRAP_HANDLER: 0
; COMPUTE_PGM_RSRC2:TGID_X_EN: 1
; COMPUTE_PGM_RSRC2:TGID_Y_EN: 0
; COMPUTE_PGM_RSRC2:TGID_Z_EN: 0
; COMPUTE_PGM_RSRC2:TIDIG_COMP_CNT: 0
; COMPUTE_PGM_RSRC3_GFX90A:ACCUM_OFFSET: 0
; COMPUTE_PGM_RSRC3_GFX90A:TG_SPLIT: 0
	.section	.text._ZN7rocprim17ROCPRIM_400000_NS6detail17trampoline_kernelINS0_14default_configENS1_20scan_config_selectorIxEEZZNS1_9scan_implILNS1_25lookback_scan_determinismE0ELb0ELb1ES3_N6thrust23THRUST_200600_302600_NS6detail15normal_iteratorINS9_10device_ptrIxEEEESE_xNS9_10multipliesIxEExEEDaPvRmT3_T4_T5_mT6_P12ihipStream_tbENKUlT_T0_E_clISt17integral_constantIbLb0EEST_IbLb1EEEEDaSP_SQ_EUlSP_E_NS1_11comp_targetILNS1_3genE5ELNS1_11target_archE942ELNS1_3gpuE9ELNS1_3repE0EEENS1_30default_config_static_selectorELNS0_4arch9wavefront6targetE1EEEvT1_,"axG",@progbits,_ZN7rocprim17ROCPRIM_400000_NS6detail17trampoline_kernelINS0_14default_configENS1_20scan_config_selectorIxEEZZNS1_9scan_implILNS1_25lookback_scan_determinismE0ELb0ELb1ES3_N6thrust23THRUST_200600_302600_NS6detail15normal_iteratorINS9_10device_ptrIxEEEESE_xNS9_10multipliesIxEExEEDaPvRmT3_T4_T5_mT6_P12ihipStream_tbENKUlT_T0_E_clISt17integral_constantIbLb0EEST_IbLb1EEEEDaSP_SQ_EUlSP_E_NS1_11comp_targetILNS1_3genE5ELNS1_11target_archE942ELNS1_3gpuE9ELNS1_3repE0EEENS1_30default_config_static_selectorELNS0_4arch9wavefront6targetE1EEEvT1_,comdat
	.protected	_ZN7rocprim17ROCPRIM_400000_NS6detail17trampoline_kernelINS0_14default_configENS1_20scan_config_selectorIxEEZZNS1_9scan_implILNS1_25lookback_scan_determinismE0ELb0ELb1ES3_N6thrust23THRUST_200600_302600_NS6detail15normal_iteratorINS9_10device_ptrIxEEEESE_xNS9_10multipliesIxEExEEDaPvRmT3_T4_T5_mT6_P12ihipStream_tbENKUlT_T0_E_clISt17integral_constantIbLb0EEST_IbLb1EEEEDaSP_SQ_EUlSP_E_NS1_11comp_targetILNS1_3genE5ELNS1_11target_archE942ELNS1_3gpuE9ELNS1_3repE0EEENS1_30default_config_static_selectorELNS0_4arch9wavefront6targetE1EEEvT1_ ; -- Begin function _ZN7rocprim17ROCPRIM_400000_NS6detail17trampoline_kernelINS0_14default_configENS1_20scan_config_selectorIxEEZZNS1_9scan_implILNS1_25lookback_scan_determinismE0ELb0ELb1ES3_N6thrust23THRUST_200600_302600_NS6detail15normal_iteratorINS9_10device_ptrIxEEEESE_xNS9_10multipliesIxEExEEDaPvRmT3_T4_T5_mT6_P12ihipStream_tbENKUlT_T0_E_clISt17integral_constantIbLb0EEST_IbLb1EEEEDaSP_SQ_EUlSP_E_NS1_11comp_targetILNS1_3genE5ELNS1_11target_archE942ELNS1_3gpuE9ELNS1_3repE0EEENS1_30default_config_static_selectorELNS0_4arch9wavefront6targetE1EEEvT1_
	.globl	_ZN7rocprim17ROCPRIM_400000_NS6detail17trampoline_kernelINS0_14default_configENS1_20scan_config_selectorIxEEZZNS1_9scan_implILNS1_25lookback_scan_determinismE0ELb0ELb1ES3_N6thrust23THRUST_200600_302600_NS6detail15normal_iteratorINS9_10device_ptrIxEEEESE_xNS9_10multipliesIxEExEEDaPvRmT3_T4_T5_mT6_P12ihipStream_tbENKUlT_T0_E_clISt17integral_constantIbLb0EEST_IbLb1EEEEDaSP_SQ_EUlSP_E_NS1_11comp_targetILNS1_3genE5ELNS1_11target_archE942ELNS1_3gpuE9ELNS1_3repE0EEENS1_30default_config_static_selectorELNS0_4arch9wavefront6targetE1EEEvT1_
	.p2align	8
	.type	_ZN7rocprim17ROCPRIM_400000_NS6detail17trampoline_kernelINS0_14default_configENS1_20scan_config_selectorIxEEZZNS1_9scan_implILNS1_25lookback_scan_determinismE0ELb0ELb1ES3_N6thrust23THRUST_200600_302600_NS6detail15normal_iteratorINS9_10device_ptrIxEEEESE_xNS9_10multipliesIxEExEEDaPvRmT3_T4_T5_mT6_P12ihipStream_tbENKUlT_T0_E_clISt17integral_constantIbLb0EEST_IbLb1EEEEDaSP_SQ_EUlSP_E_NS1_11comp_targetILNS1_3genE5ELNS1_11target_archE942ELNS1_3gpuE9ELNS1_3repE0EEENS1_30default_config_static_selectorELNS0_4arch9wavefront6targetE1EEEvT1_,@function
_ZN7rocprim17ROCPRIM_400000_NS6detail17trampoline_kernelINS0_14default_configENS1_20scan_config_selectorIxEEZZNS1_9scan_implILNS1_25lookback_scan_determinismE0ELb0ELb1ES3_N6thrust23THRUST_200600_302600_NS6detail15normal_iteratorINS9_10device_ptrIxEEEESE_xNS9_10multipliesIxEExEEDaPvRmT3_T4_T5_mT6_P12ihipStream_tbENKUlT_T0_E_clISt17integral_constantIbLb0EEST_IbLb1EEEEDaSP_SQ_EUlSP_E_NS1_11comp_targetILNS1_3genE5ELNS1_11target_archE942ELNS1_3gpuE9ELNS1_3repE0EEENS1_30default_config_static_selectorELNS0_4arch9wavefront6targetE1EEEvT1_: ; @_ZN7rocprim17ROCPRIM_400000_NS6detail17trampoline_kernelINS0_14default_configENS1_20scan_config_selectorIxEEZZNS1_9scan_implILNS1_25lookback_scan_determinismE0ELb0ELb1ES3_N6thrust23THRUST_200600_302600_NS6detail15normal_iteratorINS9_10device_ptrIxEEEESE_xNS9_10multipliesIxEExEEDaPvRmT3_T4_T5_mT6_P12ihipStream_tbENKUlT_T0_E_clISt17integral_constantIbLb0EEST_IbLb1EEEEDaSP_SQ_EUlSP_E_NS1_11comp_targetILNS1_3genE5ELNS1_11target_archE942ELNS1_3gpuE9ELNS1_3repE0EEENS1_30default_config_static_selectorELNS0_4arch9wavefront6targetE1EEEvT1_
; %bb.0:
	.section	.rodata,"a",@progbits
	.p2align	6, 0x0
	.amdhsa_kernel _ZN7rocprim17ROCPRIM_400000_NS6detail17trampoline_kernelINS0_14default_configENS1_20scan_config_selectorIxEEZZNS1_9scan_implILNS1_25lookback_scan_determinismE0ELb0ELb1ES3_N6thrust23THRUST_200600_302600_NS6detail15normal_iteratorINS9_10device_ptrIxEEEESE_xNS9_10multipliesIxEExEEDaPvRmT3_T4_T5_mT6_P12ihipStream_tbENKUlT_T0_E_clISt17integral_constantIbLb0EEST_IbLb1EEEEDaSP_SQ_EUlSP_E_NS1_11comp_targetILNS1_3genE5ELNS1_11target_archE942ELNS1_3gpuE9ELNS1_3repE0EEENS1_30default_config_static_selectorELNS0_4arch9wavefront6targetE1EEEvT1_
		.amdhsa_group_segment_fixed_size 0
		.amdhsa_private_segment_fixed_size 0
		.amdhsa_kernarg_size 104
		.amdhsa_user_sgpr_count 6
		.amdhsa_user_sgpr_private_segment_buffer 1
		.amdhsa_user_sgpr_dispatch_ptr 0
		.amdhsa_user_sgpr_queue_ptr 0
		.amdhsa_user_sgpr_kernarg_segment_ptr 1
		.amdhsa_user_sgpr_dispatch_id 0
		.amdhsa_user_sgpr_flat_scratch_init 0
		.amdhsa_user_sgpr_kernarg_preload_length 0
		.amdhsa_user_sgpr_kernarg_preload_offset 0
		.amdhsa_user_sgpr_private_segment_size 0
		.amdhsa_uses_dynamic_stack 0
		.amdhsa_system_sgpr_private_segment_wavefront_offset 0
		.amdhsa_system_sgpr_workgroup_id_x 1
		.amdhsa_system_sgpr_workgroup_id_y 0
		.amdhsa_system_sgpr_workgroup_id_z 0
		.amdhsa_system_sgpr_workgroup_info 0
		.amdhsa_system_vgpr_workitem_id 0
		.amdhsa_next_free_vgpr 1
		.amdhsa_next_free_sgpr 0
		.amdhsa_accum_offset 4
		.amdhsa_reserve_vcc 0
		.amdhsa_reserve_flat_scratch 0
		.amdhsa_float_round_mode_32 0
		.amdhsa_float_round_mode_16_64 0
		.amdhsa_float_denorm_mode_32 3
		.amdhsa_float_denorm_mode_16_64 3
		.amdhsa_dx10_clamp 1
		.amdhsa_ieee_mode 1
		.amdhsa_fp16_overflow 0
		.amdhsa_tg_split 0
		.amdhsa_exception_fp_ieee_invalid_op 0
		.amdhsa_exception_fp_denorm_src 0
		.amdhsa_exception_fp_ieee_div_zero 0
		.amdhsa_exception_fp_ieee_overflow 0
		.amdhsa_exception_fp_ieee_underflow 0
		.amdhsa_exception_fp_ieee_inexact 0
		.amdhsa_exception_int_div_zero 0
	.end_amdhsa_kernel
	.section	.text._ZN7rocprim17ROCPRIM_400000_NS6detail17trampoline_kernelINS0_14default_configENS1_20scan_config_selectorIxEEZZNS1_9scan_implILNS1_25lookback_scan_determinismE0ELb0ELb1ES3_N6thrust23THRUST_200600_302600_NS6detail15normal_iteratorINS9_10device_ptrIxEEEESE_xNS9_10multipliesIxEExEEDaPvRmT3_T4_T5_mT6_P12ihipStream_tbENKUlT_T0_E_clISt17integral_constantIbLb0EEST_IbLb1EEEEDaSP_SQ_EUlSP_E_NS1_11comp_targetILNS1_3genE5ELNS1_11target_archE942ELNS1_3gpuE9ELNS1_3repE0EEENS1_30default_config_static_selectorELNS0_4arch9wavefront6targetE1EEEvT1_,"axG",@progbits,_ZN7rocprim17ROCPRIM_400000_NS6detail17trampoline_kernelINS0_14default_configENS1_20scan_config_selectorIxEEZZNS1_9scan_implILNS1_25lookback_scan_determinismE0ELb0ELb1ES3_N6thrust23THRUST_200600_302600_NS6detail15normal_iteratorINS9_10device_ptrIxEEEESE_xNS9_10multipliesIxEExEEDaPvRmT3_T4_T5_mT6_P12ihipStream_tbENKUlT_T0_E_clISt17integral_constantIbLb0EEST_IbLb1EEEEDaSP_SQ_EUlSP_E_NS1_11comp_targetILNS1_3genE5ELNS1_11target_archE942ELNS1_3gpuE9ELNS1_3repE0EEENS1_30default_config_static_selectorELNS0_4arch9wavefront6targetE1EEEvT1_,comdat
.Lfunc_end325:
	.size	_ZN7rocprim17ROCPRIM_400000_NS6detail17trampoline_kernelINS0_14default_configENS1_20scan_config_selectorIxEEZZNS1_9scan_implILNS1_25lookback_scan_determinismE0ELb0ELb1ES3_N6thrust23THRUST_200600_302600_NS6detail15normal_iteratorINS9_10device_ptrIxEEEESE_xNS9_10multipliesIxEExEEDaPvRmT3_T4_T5_mT6_P12ihipStream_tbENKUlT_T0_E_clISt17integral_constantIbLb0EEST_IbLb1EEEEDaSP_SQ_EUlSP_E_NS1_11comp_targetILNS1_3genE5ELNS1_11target_archE942ELNS1_3gpuE9ELNS1_3repE0EEENS1_30default_config_static_selectorELNS0_4arch9wavefront6targetE1EEEvT1_, .Lfunc_end325-_ZN7rocprim17ROCPRIM_400000_NS6detail17trampoline_kernelINS0_14default_configENS1_20scan_config_selectorIxEEZZNS1_9scan_implILNS1_25lookback_scan_determinismE0ELb0ELb1ES3_N6thrust23THRUST_200600_302600_NS6detail15normal_iteratorINS9_10device_ptrIxEEEESE_xNS9_10multipliesIxEExEEDaPvRmT3_T4_T5_mT6_P12ihipStream_tbENKUlT_T0_E_clISt17integral_constantIbLb0EEST_IbLb1EEEEDaSP_SQ_EUlSP_E_NS1_11comp_targetILNS1_3genE5ELNS1_11target_archE942ELNS1_3gpuE9ELNS1_3repE0EEENS1_30default_config_static_selectorELNS0_4arch9wavefront6targetE1EEEvT1_
                                        ; -- End function
	.section	.AMDGPU.csdata,"",@progbits
; Kernel info:
; codeLenInByte = 0
; NumSgprs: 4
; NumVgprs: 0
; NumAgprs: 0
; TotalNumVgprs: 0
; ScratchSize: 0
; MemoryBound: 0
; FloatMode: 240
; IeeeMode: 1
; LDSByteSize: 0 bytes/workgroup (compile time only)
; SGPRBlocks: 0
; VGPRBlocks: 0
; NumSGPRsForWavesPerEU: 4
; NumVGPRsForWavesPerEU: 1
; AccumOffset: 4
; Occupancy: 8
; WaveLimiterHint : 0
; COMPUTE_PGM_RSRC2:SCRATCH_EN: 0
; COMPUTE_PGM_RSRC2:USER_SGPR: 6
; COMPUTE_PGM_RSRC2:TRAP_HANDLER: 0
; COMPUTE_PGM_RSRC2:TGID_X_EN: 1
; COMPUTE_PGM_RSRC2:TGID_Y_EN: 0
; COMPUTE_PGM_RSRC2:TGID_Z_EN: 0
; COMPUTE_PGM_RSRC2:TIDIG_COMP_CNT: 0
; COMPUTE_PGM_RSRC3_GFX90A:ACCUM_OFFSET: 0
; COMPUTE_PGM_RSRC3_GFX90A:TG_SPLIT: 0
	.section	.text._ZN7rocprim17ROCPRIM_400000_NS6detail17trampoline_kernelINS0_14default_configENS1_20scan_config_selectorIxEEZZNS1_9scan_implILNS1_25lookback_scan_determinismE0ELb0ELb1ES3_N6thrust23THRUST_200600_302600_NS6detail15normal_iteratorINS9_10device_ptrIxEEEESE_xNS9_10multipliesIxEExEEDaPvRmT3_T4_T5_mT6_P12ihipStream_tbENKUlT_T0_E_clISt17integral_constantIbLb0EEST_IbLb1EEEEDaSP_SQ_EUlSP_E_NS1_11comp_targetILNS1_3genE4ELNS1_11target_archE910ELNS1_3gpuE8ELNS1_3repE0EEENS1_30default_config_static_selectorELNS0_4arch9wavefront6targetE1EEEvT1_,"axG",@progbits,_ZN7rocprim17ROCPRIM_400000_NS6detail17trampoline_kernelINS0_14default_configENS1_20scan_config_selectorIxEEZZNS1_9scan_implILNS1_25lookback_scan_determinismE0ELb0ELb1ES3_N6thrust23THRUST_200600_302600_NS6detail15normal_iteratorINS9_10device_ptrIxEEEESE_xNS9_10multipliesIxEExEEDaPvRmT3_T4_T5_mT6_P12ihipStream_tbENKUlT_T0_E_clISt17integral_constantIbLb0EEST_IbLb1EEEEDaSP_SQ_EUlSP_E_NS1_11comp_targetILNS1_3genE4ELNS1_11target_archE910ELNS1_3gpuE8ELNS1_3repE0EEENS1_30default_config_static_selectorELNS0_4arch9wavefront6targetE1EEEvT1_,comdat
	.protected	_ZN7rocprim17ROCPRIM_400000_NS6detail17trampoline_kernelINS0_14default_configENS1_20scan_config_selectorIxEEZZNS1_9scan_implILNS1_25lookback_scan_determinismE0ELb0ELb1ES3_N6thrust23THRUST_200600_302600_NS6detail15normal_iteratorINS9_10device_ptrIxEEEESE_xNS9_10multipliesIxEExEEDaPvRmT3_T4_T5_mT6_P12ihipStream_tbENKUlT_T0_E_clISt17integral_constantIbLb0EEST_IbLb1EEEEDaSP_SQ_EUlSP_E_NS1_11comp_targetILNS1_3genE4ELNS1_11target_archE910ELNS1_3gpuE8ELNS1_3repE0EEENS1_30default_config_static_selectorELNS0_4arch9wavefront6targetE1EEEvT1_ ; -- Begin function _ZN7rocprim17ROCPRIM_400000_NS6detail17trampoline_kernelINS0_14default_configENS1_20scan_config_selectorIxEEZZNS1_9scan_implILNS1_25lookback_scan_determinismE0ELb0ELb1ES3_N6thrust23THRUST_200600_302600_NS6detail15normal_iteratorINS9_10device_ptrIxEEEESE_xNS9_10multipliesIxEExEEDaPvRmT3_T4_T5_mT6_P12ihipStream_tbENKUlT_T0_E_clISt17integral_constantIbLb0EEST_IbLb1EEEEDaSP_SQ_EUlSP_E_NS1_11comp_targetILNS1_3genE4ELNS1_11target_archE910ELNS1_3gpuE8ELNS1_3repE0EEENS1_30default_config_static_selectorELNS0_4arch9wavefront6targetE1EEEvT1_
	.globl	_ZN7rocprim17ROCPRIM_400000_NS6detail17trampoline_kernelINS0_14default_configENS1_20scan_config_selectorIxEEZZNS1_9scan_implILNS1_25lookback_scan_determinismE0ELb0ELb1ES3_N6thrust23THRUST_200600_302600_NS6detail15normal_iteratorINS9_10device_ptrIxEEEESE_xNS9_10multipliesIxEExEEDaPvRmT3_T4_T5_mT6_P12ihipStream_tbENKUlT_T0_E_clISt17integral_constantIbLb0EEST_IbLb1EEEEDaSP_SQ_EUlSP_E_NS1_11comp_targetILNS1_3genE4ELNS1_11target_archE910ELNS1_3gpuE8ELNS1_3repE0EEENS1_30default_config_static_selectorELNS0_4arch9wavefront6targetE1EEEvT1_
	.p2align	8
	.type	_ZN7rocprim17ROCPRIM_400000_NS6detail17trampoline_kernelINS0_14default_configENS1_20scan_config_selectorIxEEZZNS1_9scan_implILNS1_25lookback_scan_determinismE0ELb0ELb1ES3_N6thrust23THRUST_200600_302600_NS6detail15normal_iteratorINS9_10device_ptrIxEEEESE_xNS9_10multipliesIxEExEEDaPvRmT3_T4_T5_mT6_P12ihipStream_tbENKUlT_T0_E_clISt17integral_constantIbLb0EEST_IbLb1EEEEDaSP_SQ_EUlSP_E_NS1_11comp_targetILNS1_3genE4ELNS1_11target_archE910ELNS1_3gpuE8ELNS1_3repE0EEENS1_30default_config_static_selectorELNS0_4arch9wavefront6targetE1EEEvT1_,@function
_ZN7rocprim17ROCPRIM_400000_NS6detail17trampoline_kernelINS0_14default_configENS1_20scan_config_selectorIxEEZZNS1_9scan_implILNS1_25lookback_scan_determinismE0ELb0ELb1ES3_N6thrust23THRUST_200600_302600_NS6detail15normal_iteratorINS9_10device_ptrIxEEEESE_xNS9_10multipliesIxEExEEDaPvRmT3_T4_T5_mT6_P12ihipStream_tbENKUlT_T0_E_clISt17integral_constantIbLb0EEST_IbLb1EEEEDaSP_SQ_EUlSP_E_NS1_11comp_targetILNS1_3genE4ELNS1_11target_archE910ELNS1_3gpuE8ELNS1_3repE0EEENS1_30default_config_static_selectorELNS0_4arch9wavefront6targetE1EEEvT1_: ; @_ZN7rocprim17ROCPRIM_400000_NS6detail17trampoline_kernelINS0_14default_configENS1_20scan_config_selectorIxEEZZNS1_9scan_implILNS1_25lookback_scan_determinismE0ELb0ELb1ES3_N6thrust23THRUST_200600_302600_NS6detail15normal_iteratorINS9_10device_ptrIxEEEESE_xNS9_10multipliesIxEExEEDaPvRmT3_T4_T5_mT6_P12ihipStream_tbENKUlT_T0_E_clISt17integral_constantIbLb0EEST_IbLb1EEEEDaSP_SQ_EUlSP_E_NS1_11comp_targetILNS1_3genE4ELNS1_11target_archE910ELNS1_3gpuE8ELNS1_3repE0EEENS1_30default_config_static_selectorELNS0_4arch9wavefront6targetE1EEEvT1_
; %bb.0:
	s_load_dwordx8 s[16:23], s[4:5], 0x0
	s_load_dwordx2 s[24:25], s[4:5], 0x20
	s_load_dwordx2 s[6:7], s[4:5], 0x30
	v_cmp_ne_u32_e64 s[0:1], 0, v0
	v_cmp_eq_u32_e64 s[2:3], 0, v0
	s_and_saveexec_b64 s[8:9], s[2:3]
	s_cbranch_execz .LBB326_4
; %bb.1:
	s_mov_b64 s[12:13], exec
	v_mbcnt_lo_u32_b32 v1, s12, 0
	v_mbcnt_hi_u32_b32 v1, s13, v1
	v_cmp_eq_u32_e32 vcc, 0, v1
                                        ; implicit-def: $vgpr2
	s_and_saveexec_b64 s[10:11], vcc
	s_cbranch_execz .LBB326_3
; %bb.2:
	s_load_dwordx2 s[14:15], s[4:5], 0x60
	s_bcnt1_i32_b64 s12, s[12:13]
	v_mov_b32_e32 v2, 0
	v_mov_b32_e32 v3, s12
	s_waitcnt lgkmcnt(0)
	global_atomic_add v2, v2, v3, s[14:15] glc
.LBB326_3:
	s_or_b64 exec, exec, s[10:11]
	s_waitcnt vmcnt(0)
	v_readfirstlane_b32 s10, v2
	v_add_u32_e32 v1, s10, v1
	v_mov_b32_e32 v2, 0
	ds_write_b32 v2, v1
.LBB326_4:
	s_or_b64 exec, exec, s[8:9]
	s_load_dword s26, s[4:5], 0x38
	s_load_dwordx8 s[8:15], s[4:5], 0x40
	v_mov_b32_e32 v1, 0
	s_waitcnt lgkmcnt(0)
	s_barrier
	ds_read_b32 v1, v1
	s_lshl_b64 s[18:19], s[18:19], 3
	s_add_u32 s27, s16, s18
	s_addc_u32 s28, s17, s19
	s_add_i32 s16, s26, -1
	s_mul_i32 s17, s16, 0x380
	s_sub_u32 s33, s22, s17
	s_waitcnt lgkmcnt(0)
	v_readfirstlane_b32 s35, v1
	s_subb_u32 s34, s23, 0
	s_mul_i32 s4, s35, 0x380
	s_mov_b32 s5, 0
	s_cmp_lg_u32 s35, s16
	s_cselect_b64 s[16:17], -1, 0
	s_lshl_b64 s[22:23], s[4:5], 3
	s_add_u32 s26, s27, s22
	s_addc_u32 s27, s28, s23
	s_mov_b64 s[4:5], -1
	s_and_b64 vcc, exec, s[16:17]
	v_lshlrev_b32_e32 v48, 3, v0
	s_barrier
	s_cbranch_vccz .LBB326_6
; %bb.5:
	v_mov_b32_e32 v1, s27
	v_add_co_u32_e32 v2, vcc, s26, v48
	v_addc_co_u32_e32 v3, vcc, 0, v1, vcc
	flat_load_dwordx2 v[4:5], v[2:3]
	flat_load_dwordx2 v[6:7], v[2:3] offset:1024
	flat_load_dwordx2 v[8:9], v[2:3] offset:2048
	;; [unrolled: 1-line block ×3, first 2 shown]
	v_add_co_u32_e32 v2, vcc, 0x1000, v2
	v_addc_co_u32_e32 v3, vcc, 0, v3, vcc
	flat_load_dwordx2 v[12:13], v[2:3]
	flat_load_dwordx2 v[14:15], v[2:3] offset:1024
	flat_load_dwordx2 v[16:17], v[2:3] offset:2048
	s_mov_b64 s[4:5], 0
	s_waitcnt vmcnt(0) lgkmcnt(0)
	ds_write2st64_b64 v48, v[4:5], v[6:7] offset1:2
	ds_write2st64_b64 v48, v[8:9], v[10:11] offset0:4 offset1:6
	ds_write2st64_b64 v48, v[12:13], v[14:15] offset0:8 offset1:10
	ds_write_b64 v48, v[16:17] offset:6144
	s_waitcnt lgkmcnt(0)
	s_barrier
.LBB326_6:
	s_andn2_b64 vcc, exec, s[4:5]
	v_cmp_gt_u32_e64 s[4:5], s33, v0
	s_cbranch_vccnz .LBB326_22
; %bb.7:
	v_pk_mov_b32 v[2:3], s[26:27], s[26:27] op_sel:[0,1]
	flat_load_dwordx2 v[2:3], v[2:3]
	s_waitcnt vmcnt(0) lgkmcnt(0)
	v_mov_b32_e32 v4, v2
	v_mov_b32_e32 v5, v3
	;; [unrolled: 1-line block ×10, first 2 shown]
	v_pk_mov_b32 v[18:19], v[14:15], v[14:15] op_sel:[0,1]
	v_pk_mov_b32 v[16:17], v[12:13], v[12:13] op_sel:[0,1]
	;; [unrolled: 1-line block ×8, first 2 shown]
	s_and_saveexec_b64 s[28:29], s[4:5]
	s_cbranch_execz .LBB326_9
; %bb.8:
	v_mov_b32_e32 v1, s27
	v_add_co_u32_e32 v4, vcc, s26, v48
	v_addc_co_u32_e32 v5, vcc, 0, v1, vcc
	flat_load_dwordx2 v[20:21], v[4:5]
	v_mov_b32_e32 v4, v2
	v_mov_b32_e32 v5, v3
	;; [unrolled: 1-line block ×10, first 2 shown]
	v_pk_mov_b32 v[18:19], v[14:15], v[14:15] op_sel:[0,1]
	v_pk_mov_b32 v[16:17], v[12:13], v[12:13] op_sel:[0,1]
	v_pk_mov_b32 v[14:15], v[10:11], v[10:11] op_sel:[0,1]
	v_pk_mov_b32 v[12:13], v[8:9], v[8:9] op_sel:[0,1]
	v_pk_mov_b32 v[10:11], v[6:7], v[6:7] op_sel:[0,1]
	v_pk_mov_b32 v[8:9], v[4:5], v[4:5] op_sel:[0,1]
	v_pk_mov_b32 v[6:7], v[2:3], v[2:3] op_sel:[0,1]
	v_pk_mov_b32 v[4:5], v[0:1], v[0:1] op_sel:[0,1]
	s_waitcnt vmcnt(0) lgkmcnt(0)
	v_pk_mov_b32 v[2:3], v[20:21], v[20:21] op_sel:[0,1]
.LBB326_9:
	s_or_b64 exec, exec, s[28:29]
	v_or_b32_e32 v1, 0x80, v0
	v_cmp_gt_u32_e32 vcc, s33, v1
	s_and_saveexec_b64 s[4:5], vcc
	s_cbranch_execz .LBB326_11
; %bb.10:
	v_mov_b32_e32 v1, s27
	v_add_co_u32_e32 v4, vcc, s26, v48
	v_addc_co_u32_e32 v5, vcc, 0, v1, vcc
	flat_load_dwordx2 v[6:7], v[4:5] offset:1024
.LBB326_11:
	s_or_b64 exec, exec, s[4:5]
	v_or_b32_e32 v1, 0x100, v0
	v_cmp_gt_u32_e32 vcc, s33, v1
	s_and_saveexec_b64 s[4:5], vcc
	s_cbranch_execz .LBB326_13
; %bb.12:
	v_mov_b32_e32 v1, s27
	v_add_co_u32_e32 v4, vcc, s26, v48
	v_addc_co_u32_e32 v5, vcc, 0, v1, vcc
	flat_load_dwordx2 v[8:9], v[4:5] offset:2048
.LBB326_13:
	;; [unrolled: 11-line block ×3, first 2 shown]
	s_or_b64 exec, exec, s[4:5]
	v_or_b32_e32 v1, 0x200, v0
	v_cmp_gt_u32_e32 vcc, s33, v1
	s_and_saveexec_b64 s[4:5], vcc
	s_cbranch_execz .LBB326_17
; %bb.16:
	v_lshlrev_b32_e32 v1, 3, v1
	v_mov_b32_e32 v5, s27
	v_add_co_u32_e32 v4, vcc, s26, v1
	v_addc_co_u32_e32 v5, vcc, 0, v5, vcc
	flat_load_dwordx2 v[12:13], v[4:5]
.LBB326_17:
	s_or_b64 exec, exec, s[4:5]
	v_or_b32_e32 v1, 0x280, v0
	v_cmp_gt_u32_e32 vcc, s33, v1
	s_and_saveexec_b64 s[4:5], vcc
	s_cbranch_execz .LBB326_19
; %bb.18:
	v_lshlrev_b32_e32 v1, 3, v1
	v_mov_b32_e32 v5, s27
	v_add_co_u32_e32 v4, vcc, s26, v1
	v_addc_co_u32_e32 v5, vcc, 0, v5, vcc
	flat_load_dwordx2 v[14:15], v[4:5]
.LBB326_19:
	;; [unrolled: 12-line block ×3, first 2 shown]
	s_or_b64 exec, exec, s[4:5]
	s_waitcnt vmcnt(0) lgkmcnt(0)
	ds_write2st64_b64 v48, v[2:3], v[6:7] offset1:2
	ds_write2st64_b64 v48, v[8:9], v[10:11] offset0:4 offset1:6
	ds_write2st64_b64 v48, v[12:13], v[14:15] offset0:8 offset1:10
	ds_write_b64 v48, v[16:17] offset:6144
	s_waitcnt lgkmcnt(0)
	s_barrier
.LBB326_22:
	v_mul_u32_u24_e32 v49, 7, v0
	v_lshlrev_b32_e32 v1, 3, v49
	ds_read2_b64 v[2:5], v1 offset1:1
	ds_read2_b64 v[10:13], v1 offset0:2 offset1:3
	ds_read2_b64 v[6:9], v1 offset0:4 offset1:5
	ds_read_b64 v[28:29], v1 offset:48
	s_cmp_lg_u32 s35, 0
	v_lshrrev_b32_e32 v1, 5, v0
	v_cmp_gt_u32_e32 vcc, 64, v0
	s_waitcnt lgkmcnt(0)
	s_barrier
	s_cbranch_scc0 .LBB326_83
; %bb.23:
	v_mul_lo_u32 v16, v5, v2
	v_mul_lo_u32 v17, v4, v3
	v_mad_u64_u32 v[14:15], s[4:5], v4, v2, 0
	v_add3_u32 v15, v15, v17, v16
	v_mul_lo_u32 v16, v15, v10
	v_mul_lo_u32 v17, v14, v11
	v_mad_u64_u32 v[14:15], s[4:5], v14, v10, 0
	v_add3_u32 v15, v15, v17, v16
	;; [unrolled: 4-line block ×6, first 2 shown]
	v_add_lshl_u32 v14, v1, v0, 3
	ds_write_b64 v14, v[18:19]
	s_waitcnt lgkmcnt(0)
	s_barrier
	s_and_saveexec_b64 s[26:27], vcc
	s_cbranch_execz .LBB326_37
; %bb.24:
	v_lshlrev_b32_e32 v14, 1, v0
	v_lshrrev_b32_e32 v15, 4, v0
	v_add_lshl_u32 v20, v15, v14, 3
	ds_read2_b64 v[14:17], v20 offset1:1
	s_waitcnt lgkmcnt(0)
	v_mul_lo_u32 v21, v17, v14
	v_mul_lo_u32 v22, v16, v15
	v_mad_u64_u32 v[16:17], s[4:5], v16, v14, 0
	v_add3_u32 v17, v17, v22, v21
	v_mbcnt_lo_u32_b32 v21, -1, 0
	v_mbcnt_hi_u32_b32 v21, -1, v21
	v_and_b32_e32 v22, 15, v21
	v_mov_b32_dpp v23, v16 row_shr:1 row_mask:0xf bank_mask:0xf
	v_mov_b32_dpp v24, v17 row_shr:1 row_mask:0xf bank_mask:0xf
	v_cmp_ne_u32_e64 s[4:5], 0, v22
	s_and_saveexec_b64 s[28:29], s[4:5]
; %bb.25:
	v_mul_lo_u32 v24, v24, v16
	v_mul_lo_u32 v25, v23, v17
	v_mad_u64_u32 v[16:17], s[4:5], v23, v16, 0
	v_add3_u32 v17, v17, v25, v24
; %bb.26:
	s_or_b64 exec, exec, s[28:29]
	v_mov_b32_dpp v23, v16 row_shr:2 row_mask:0xf bank_mask:0xf
	v_mov_b32_dpp v24, v17 row_shr:2 row_mask:0xf bank_mask:0xf
	v_cmp_lt_u32_e64 s[4:5], 1, v22
	s_and_saveexec_b64 s[28:29], s[4:5]
; %bb.27:
	v_mul_lo_u32 v24, v24, v16
	v_mul_lo_u32 v25, v23, v17
	v_mad_u64_u32 v[16:17], s[4:5], v23, v16, 0
	v_add3_u32 v17, v17, v25, v24
; %bb.28:
	s_or_b64 exec, exec, s[28:29]
	v_mov_b32_dpp v23, v16 row_shr:4 row_mask:0xf bank_mask:0xf
	v_mov_b32_dpp v24, v17 row_shr:4 row_mask:0xf bank_mask:0xf
	v_cmp_lt_u32_e64 s[4:5], 3, v22
	s_and_saveexec_b64 s[28:29], s[4:5]
; %bb.29:
	v_mul_lo_u32 v24, v24, v16
	v_mul_lo_u32 v25, v23, v17
	v_mad_u64_u32 v[16:17], s[4:5], v23, v16, 0
	v_add3_u32 v17, v17, v25, v24
; %bb.30:
	s_or_b64 exec, exec, s[28:29]
	v_mov_b32_dpp v23, v16 row_shr:8 row_mask:0xf bank_mask:0xf
	v_mov_b32_dpp v24, v17 row_shr:8 row_mask:0xf bank_mask:0xf
	v_cmp_lt_u32_e64 s[4:5], 7, v22
	s_and_saveexec_b64 s[28:29], s[4:5]
; %bb.31:
	v_mul_lo_u32 v22, v24, v16
	v_mul_lo_u32 v24, v23, v17
	v_mad_u64_u32 v[16:17], s[4:5], v23, v16, 0
	v_add3_u32 v17, v17, v24, v22
; %bb.32:
	s_or_b64 exec, exec, s[28:29]
	v_and_b32_e32 v24, 16, v21
	v_mov_b32_dpp v22, v16 row_bcast:15 row_mask:0xf bank_mask:0xf
	v_mov_b32_dpp v23, v17 row_bcast:15 row_mask:0xf bank_mask:0xf
	v_cmp_ne_u32_e64 s[4:5], 0, v24
	s_and_saveexec_b64 s[28:29], s[4:5]
; %bb.33:
	v_mul_lo_u32 v23, v23, v16
	v_mul_lo_u32 v24, v22, v17
	v_mad_u64_u32 v[16:17], s[4:5], v22, v16, 0
	v_add3_u32 v17, v17, v24, v23
; %bb.34:
	s_or_b64 exec, exec, s[28:29]
	v_mov_b32_dpp v22, v16 row_bcast:31 row_mask:0xf bank_mask:0xf
	v_mov_b32_dpp v23, v17 row_bcast:31 row_mask:0xf bank_mask:0xf
	v_cmp_lt_u32_e64 s[4:5], 31, v21
	s_and_saveexec_b64 s[28:29], s[4:5]
; %bb.35:
	v_mul_lo_u32 v23, v23, v16
	v_mul_lo_u32 v24, v22, v17
	v_mad_u64_u32 v[16:17], s[4:5], v22, v16, 0
	v_add3_u32 v17, v17, v24, v23
; %bb.36:
	s_or_b64 exec, exec, s[28:29]
	v_add_u32_e32 v22, -1, v21
	v_and_b32_e32 v23, 64, v21
	v_cmp_lt_i32_e64 s[4:5], v22, v23
	v_cndmask_b32_e64 v21, v22, v21, s[4:5]
	v_lshlrev_b32_e32 v21, 2, v21
	ds_bpermute_b32 v17, v21, v17
	ds_bpermute_b32 v16, v21, v16
	; wave barrier
	s_waitcnt lgkmcnt(1)
	v_mul_lo_u32 v17, v17, v14
	s_waitcnt lgkmcnt(0)
	v_mul_lo_u32 v21, v16, v15
	v_mad_u64_u32 v[14:15], s[4:5], v16, v14, 0
	v_add3_u32 v15, v15, v21, v17
	v_cndmask_b32_e64 v15, v15, v19, s[2:3]
	v_cndmask_b32_e64 v14, v14, v18, s[2:3]
	ds_write_b64 v20, v[14:15]
	; wave barrier
	ds_read_b64 v[16:17], v20 offset:8
	s_waitcnt lgkmcnt(0)
	v_mul_lo_u32 v18, v16, v15
	v_mul_lo_u32 v17, v17, v14
	v_mad_u64_u32 v[14:15], s[4:5], v16, v14, 0
	v_add3_u32 v15, v15, v18, v17
	ds_write_b64 v20, v[14:15] offset:8
.LBB326_37:
	s_or_b64 exec, exec, s[26:27]
	v_mov_b32_e32 v22, 1
	v_mov_b32_e32 v23, 0
	s_waitcnt lgkmcnt(0)
	s_barrier
	s_and_saveexec_b64 s[4:5], s[0:1]
	s_cbranch_execz .LBB326_39
; %bb.38:
	v_add_u32_e32 v14, -1, v0
	v_lshrrev_b32_e32 v15, 5, v14
	v_add_lshl_u32 v14, v15, v14, 3
	ds_read_b64 v[22:23], v14
.LBB326_39:
	s_or_b64 exec, exec, s[4:5]
	s_and_saveexec_b64 s[26:27], vcc
	s_cbranch_execz .LBB326_82
; %bb.40:
	v_mov_b32_e32 v17, 0
	ds_read_b64 v[14:15], v17 offset:1040
	v_mbcnt_lo_u32_b32 v16, -1, 0
	v_mbcnt_hi_u32_b32 v25, -1, v16
	s_mov_b32 s31, 0
	v_cmp_eq_u32_e64 s[4:5], 0, v25
	s_and_saveexec_b64 s[28:29], s[4:5]
	s_cbranch_execz .LBB326_42
; %bb.41:
	s_add_i32 s30, s35, 64
	s_lshl_b64 s[30:31], s[30:31], 4
	s_add_u32 s30, s6, s30
	s_addc_u32 s31, s7, s31
	v_mov_b32_e32 v16, 1
	v_pk_mov_b32 v[18:19], s[30:31], s[30:31] op_sel:[0,1]
	s_waitcnt lgkmcnt(0)
	;;#ASMSTART
	global_store_dwordx4 v[18:19], v[14:17] off	
s_waitcnt vmcnt(0)
	;;#ASMEND
.LBB326_42:
	s_or_b64 exec, exec, s[28:29]
	v_xad_u32 v24, v25, -1, s35
	v_add_u32_e32 v16, 64, v24
	v_lshlrev_b64 v[18:19], 4, v[16:17]
	v_mov_b32_e32 v16, s7
	v_add_co_u32_e32 v26, vcc, s6, v18
	v_addc_co_u32_e32 v27, vcc, v16, v19, vcc
	;;#ASMSTART
	global_load_dwordx4 v[18:21], v[26:27] off glc	
s_waitcnt vmcnt(0)
	;;#ASMEND
	v_and_b32_e32 v16, 0xff, v19
	v_and_b32_e32 v21, 0xff00, v19
	v_or3_b32 v16, 0, v16, v21
	v_or3_b32 v18, v18, 0, 0
	v_and_b32_e32 v21, 0xff000000, v19
	v_and_b32_e32 v19, 0xff0000, v19
	v_or3_b32 v19, v16, v19, v21
	v_or3_b32 v18, v18, 0, 0
	v_cmp_eq_u16_sdwa s[30:31], v20, v17 src0_sel:BYTE_0 src1_sel:DWORD
	s_and_saveexec_b64 s[28:29], s[30:31]
	s_cbranch_execz .LBB326_46
; %bb.43:
	s_mov_b64 s[30:31], 0
	v_mov_b32_e32 v16, 0
.LBB326_44:                             ; =>This Inner Loop Header: Depth=1
	;;#ASMSTART
	global_load_dwordx4 v[18:21], v[26:27] off glc	
s_waitcnt vmcnt(0)
	;;#ASMEND
	v_cmp_ne_u16_sdwa s[36:37], v20, v16 src0_sel:BYTE_0 src1_sel:DWORD
	s_or_b64 s[30:31], s[36:37], s[30:31]
	s_andn2_b64 exec, exec, s[30:31]
	s_cbranch_execnz .LBB326_44
; %bb.45:
	s_or_b64 exec, exec, s[30:31]
.LBB326_46:
	s_or_b64 exec, exec, s[28:29]
	v_and_b32_e32 v32, 63, v25
	v_mov_b32_e32 v16, 2
	v_cmp_ne_u32_e32 vcc, 63, v32
	v_cmp_eq_u16_sdwa s[28:29], v20, v16 src0_sel:BYTE_0 src1_sel:DWORD
	v_lshlrev_b64 v[16:17], v25, -1
	v_addc_co_u32_e32 v26, vcc, 0, v25, vcc
	v_and_b32_e32 v21, s29, v17
	v_lshlrev_b32_e32 v33, 2, v26
	v_or_b32_e32 v21, 0x80000000, v21
	ds_bpermute_b32 v26, v33, v18
	ds_bpermute_b32 v27, v33, v19
	v_and_b32_e32 v30, s28, v16
	v_ffbl_b32_e32 v21, v21
	v_add_u32_e32 v21, 32, v21
	v_ffbl_b32_e32 v30, v30
	v_min_u32_e32 v21, v30, v21
	v_cmp_lt_u32_e32 vcc, v32, v21
	s_and_saveexec_b64 s[28:29], vcc
	s_cbranch_execz .LBB326_48
; %bb.47:
	s_waitcnt lgkmcnt(0)
	v_mul_lo_u32 v27, v27, v18
	v_mul_lo_u32 v30, v26, v19
	v_mad_u64_u32 v[18:19], s[30:31], v26, v18, 0
	v_add3_u32 v19, v19, v30, v27
.LBB326_48:
	s_or_b64 exec, exec, s[28:29]
	v_cmp_gt_u32_e32 vcc, 62, v32
	s_waitcnt lgkmcnt(1)
	v_cndmask_b32_e64 v26, 0, 1, vcc
	v_lshlrev_b32_e32 v26, 1, v26
	v_add_lshl_u32 v34, v26, v25, 2
	ds_bpermute_b32 v26, v34, v18
	s_waitcnt lgkmcnt(1)
	ds_bpermute_b32 v27, v34, v19
	v_add_u32_e32 v35, 2, v32
	v_cmp_le_u32_e32 vcc, v35, v21
	s_and_saveexec_b64 s[28:29], vcc
	s_cbranch_execz .LBB326_50
; %bb.49:
	s_waitcnt lgkmcnt(0)
	v_mul_lo_u32 v27, v27, v18
	v_mul_lo_u32 v30, v26, v19
	v_mad_u64_u32 v[18:19], s[30:31], v26, v18, 0
	v_add3_u32 v19, v19, v30, v27
.LBB326_50:
	s_or_b64 exec, exec, s[28:29]
	v_cmp_gt_u32_e32 vcc, 60, v32
	s_waitcnt lgkmcnt(1)
	v_cndmask_b32_e64 v26, 0, 1, vcc
	v_lshlrev_b32_e32 v26, 2, v26
	v_add_lshl_u32 v36, v26, v25, 2
	ds_bpermute_b32 v26, v36, v18
	s_waitcnt lgkmcnt(1)
	ds_bpermute_b32 v27, v36, v19
	v_add_u32_e32 v37, 4, v32
	v_cmp_le_u32_e32 vcc, v37, v21
	;; [unrolled: 20-line block ×4, first 2 shown]
	s_and_saveexec_b64 s[28:29], vcc
	s_cbranch_execz .LBB326_56
; %bb.55:
	s_waitcnt lgkmcnt(0)
	v_mul_lo_u32 v27, v27, v18
	v_mul_lo_u32 v30, v26, v19
	v_mad_u64_u32 v[18:19], s[30:31], v26, v18, 0
	v_add3_u32 v19, v19, v30, v27
.LBB326_56:
	s_or_b64 exec, exec, s[28:29]
	v_cmp_gt_u32_e32 vcc, 32, v32
	s_waitcnt lgkmcnt(1)
	v_cndmask_b32_e64 v26, 0, 1, vcc
	v_lshlrev_b32_e32 v26, 5, v26
	v_add_lshl_u32 v42, v26, v25, 2
	ds_bpermute_b32 v25, v42, v18
	ds_bpermute_b32 v26, v42, v19
	v_add_u32_e32 v43, 32, v32
	v_cmp_le_u32_e32 vcc, v43, v21
	s_and_saveexec_b64 s[28:29], vcc
	s_cbranch_execz .LBB326_58
; %bb.57:
	s_waitcnt lgkmcnt(0)
	v_mul_lo_u32 v21, v26, v18
	v_mul_lo_u32 v26, v25, v19
	v_mad_u64_u32 v[18:19], s[30:31], v25, v18, 0
	v_add3_u32 v19, v19, v26, v21
.LBB326_58:
	s_or_b64 exec, exec, s[28:29]
	s_waitcnt lgkmcnt(1)
	v_mov_b32_e32 v25, 0
	v_mov_b32_e32 v44, 2
	s_branch .LBB326_60
.LBB326_59:                             ;   in Loop: Header=BB326_60 Depth=1
	s_or_b64 exec, exec, s[28:29]
	v_mul_lo_u32 v21, v19, v26
	s_waitcnt lgkmcnt(1)
	v_mul_lo_u32 v30, v18, v27
	v_mad_u64_u32 v[18:19], s[28:29], v18, v26, 0
	v_subrev_u32_e32 v24, 64, v24
	v_add3_u32 v19, v19, v30, v21
.LBB326_60:                             ; =>This Loop Header: Depth=1
                                        ;     Child Loop BB326_63 Depth 2
	v_cmp_ne_u16_sdwa s[28:29], v20, v44 src0_sel:BYTE_0 src1_sel:DWORD
	v_cndmask_b32_e64 v20, 0, 1, s[28:29]
	;;#ASMSTART
	;;#ASMEND
	v_cmp_ne_u32_e32 vcc, 0, v20
	s_cmp_lg_u64 vcc, exec
	s_waitcnt lgkmcnt(0)
	v_pk_mov_b32 v[26:27], v[18:19], v[18:19] op_sel:[0,1]
	s_cbranch_scc1 .LBB326_77
; %bb.61:                               ;   in Loop: Header=BB326_60 Depth=1
	v_lshlrev_b64 v[18:19], 4, v[24:25]
	v_mov_b32_e32 v20, s7
	v_add_co_u32_e32 v30, vcc, s6, v18
	v_addc_co_u32_e32 v31, vcc, v20, v19, vcc
	;;#ASMSTART
	global_load_dwordx4 v[18:21], v[30:31] off glc	
s_waitcnt vmcnt(0)
	;;#ASMEND
	v_and_b32_e32 v21, 0xff, v19
	v_and_b32_e32 v45, 0xff00, v19
	v_or3_b32 v21, 0, v21, v45
	v_or3_b32 v18, v18, 0, 0
	v_and_b32_e32 v45, 0xff000000, v19
	v_and_b32_e32 v19, 0xff0000, v19
	v_or3_b32 v19, v21, v19, v45
	v_or3_b32 v18, v18, 0, 0
	v_cmp_eq_u16_sdwa s[30:31], v20, v25 src0_sel:BYTE_0 src1_sel:DWORD
	s_and_saveexec_b64 s[28:29], s[30:31]
	s_cbranch_execz .LBB326_65
; %bb.62:                               ;   in Loop: Header=BB326_60 Depth=1
	s_mov_b64 s[30:31], 0
.LBB326_63:                             ;   Parent Loop BB326_60 Depth=1
                                        ; =>  This Inner Loop Header: Depth=2
	;;#ASMSTART
	global_load_dwordx4 v[18:21], v[30:31] off glc	
s_waitcnt vmcnt(0)
	;;#ASMEND
	v_cmp_ne_u16_sdwa s[36:37], v20, v25 src0_sel:BYTE_0 src1_sel:DWORD
	s_or_b64 s[30:31], s[36:37], s[30:31]
	s_andn2_b64 exec, exec, s[30:31]
	s_cbranch_execnz .LBB326_63
; %bb.64:                               ;   in Loop: Header=BB326_60 Depth=1
	s_or_b64 exec, exec, s[30:31]
.LBB326_65:                             ;   in Loop: Header=BB326_60 Depth=1
	s_or_b64 exec, exec, s[28:29]
	v_cmp_eq_u16_sdwa s[28:29], v20, v44 src0_sel:BYTE_0 src1_sel:DWORD
	v_and_b32_e32 v21, s29, v17
	v_or_b32_e32 v21, 0x80000000, v21
	ds_bpermute_b32 v30, v33, v18
	ds_bpermute_b32 v31, v33, v19
	v_and_b32_e32 v45, s28, v16
	v_ffbl_b32_e32 v21, v21
	v_add_u32_e32 v21, 32, v21
	v_ffbl_b32_e32 v45, v45
	v_min_u32_e32 v21, v45, v21
	v_cmp_lt_u32_e32 vcc, v32, v21
	s_and_saveexec_b64 s[28:29], vcc
	s_cbranch_execz .LBB326_67
; %bb.66:                               ;   in Loop: Header=BB326_60 Depth=1
	s_waitcnt lgkmcnt(0)
	v_mul_lo_u32 v31, v31, v18
	v_mul_lo_u32 v45, v30, v19
	v_mad_u64_u32 v[18:19], s[30:31], v30, v18, 0
	v_add3_u32 v19, v19, v45, v31
.LBB326_67:                             ;   in Loop: Header=BB326_60 Depth=1
	s_or_b64 exec, exec, s[28:29]
	s_waitcnt lgkmcnt(1)
	ds_bpermute_b32 v30, v34, v18
	s_waitcnt lgkmcnt(1)
	ds_bpermute_b32 v31, v34, v19
	v_cmp_le_u32_e32 vcc, v35, v21
	s_and_saveexec_b64 s[28:29], vcc
	s_cbranch_execz .LBB326_69
; %bb.68:                               ;   in Loop: Header=BB326_60 Depth=1
	s_waitcnt lgkmcnt(0)
	v_mul_lo_u32 v31, v31, v18
	v_mul_lo_u32 v45, v30, v19
	v_mad_u64_u32 v[18:19], s[30:31], v30, v18, 0
	v_add3_u32 v19, v19, v45, v31
.LBB326_69:                             ;   in Loop: Header=BB326_60 Depth=1
	s_or_b64 exec, exec, s[28:29]
	s_waitcnt lgkmcnt(1)
	ds_bpermute_b32 v30, v36, v18
	s_waitcnt lgkmcnt(1)
	ds_bpermute_b32 v31, v36, v19
	v_cmp_le_u32_e32 vcc, v37, v21
	;; [unrolled: 15-line block ×5, first 2 shown]
	s_and_saveexec_b64 s[28:29], vcc
	s_cbranch_execz .LBB326_59
; %bb.76:                               ;   in Loop: Header=BB326_60 Depth=1
	s_waitcnt lgkmcnt(0)
	v_mul_lo_u32 v21, v31, v18
	v_mul_lo_u32 v31, v30, v19
	v_mad_u64_u32 v[18:19], s[30:31], v30, v18, 0
	v_add3_u32 v19, v19, v31, v21
	s_branch .LBB326_59
.LBB326_77:                             ;   in Loop: Header=BB326_60 Depth=1
                                        ; implicit-def: $vgpr18_vgpr19
	s_cbranch_execz .LBB326_60
; %bb.78:
	s_and_saveexec_b64 s[28:29], s[4:5]
	s_cbranch_execz .LBB326_80
; %bb.79:
	v_mul_lo_u32 v16, v27, v14
	v_mul_lo_u32 v17, v26, v15
	v_mad_u64_u32 v[14:15], s[4:5], v26, v14, 0
	s_add_i32 s4, s35, 64
	s_mov_b32 s5, 0
	s_lshl_b64 s[4:5], s[4:5], 4
	s_add_u32 s4, s6, s4
	s_addc_u32 s5, s7, s5
	v_add3_u32 v15, v15, v17, v16
	v_mov_b32_e32 v16, 2
	v_mov_b32_e32 v17, 0
	v_pk_mov_b32 v[18:19], s[4:5], s[4:5] op_sel:[0,1]
	;;#ASMSTART
	global_store_dwordx4 v[18:19], v[14:17] off	
s_waitcnt vmcnt(0)
	;;#ASMEND
.LBB326_80:
	s_or_b64 exec, exec, s[28:29]
	s_and_b64 exec, exec, s[2:3]
	s_cbranch_execz .LBB326_82
; %bb.81:
	v_mov_b32_e32 v14, 0
	ds_write_b64 v14, v[26:27]
.LBB326_82:
	s_or_b64 exec, exec, s[26:27]
	v_mov_b32_e32 v14, 0
	s_waitcnt lgkmcnt(0)
	s_barrier
	ds_read_b64 v[14:15], v14
	v_mul_lo_u32 v18, v23, v2
	v_mul_lo_u32 v19, v22, v3
	v_mad_u64_u32 v[16:17], s[4:5], v22, v2, 0
	v_add3_u32 v17, v17, v19, v18
	s_waitcnt lgkmcnt(0)
	v_mul_lo_u32 v17, v17, v14
	v_mul_lo_u32 v18, v16, v15
	v_mad_u64_u32 v[14:15], s[4:5], v16, v14, 0
	v_add3_u32 v15, v15, v18, v17
	v_mul_lo_u32 v16, v15, v4
	v_mul_lo_u32 v17, v14, v5
	v_mad_u64_u32 v[42:43], s[4:5], v14, v4, 0
	v_add3_u32 v43, v43, v17, v16
	;; [unrolled: 4-line block ×7, first 2 shown]
	s_branch .LBB326_129
.LBB326_83:
                                        ; implicit-def: $vgpr26_vgpr27
                                        ; implicit-def: $vgpr46_vgpr47
                                        ; implicit-def: $vgpr44_vgpr45
                                        ; implicit-def: $vgpr42_vgpr43
                                        ; implicit-def: $vgpr22_vgpr23_vgpr24_vgpr25
                                        ; implicit-def: $vgpr18_vgpr19_vgpr20_vgpr21
                                        ; implicit-def: $vgpr14_vgpr15_vgpr16_vgpr17
	s_cbranch_execz .LBB326_129
; %bb.84:
	s_cmp_lg_u64 s[12:13], 0
	s_cselect_b64 s[26:27], -1, 0
	s_cmp_eq_u64 s[12:13], 0
	s_cselect_b64 s[4:5], -1, 0
	s_and_b64 s[26:27], s[2:3], s[26:27]
	s_and_saveexec_b64 s[12:13], s[26:27]
	s_cbranch_execz .LBB326_86
; %bb.85:
	v_mov_b32_e32 v14, 0
	global_load_dwordx2 v[14:15], v14, s[8:9]
	s_waitcnt vmcnt(0)
	v_mul_lo_u32 v15, v15, v2
	v_mul_lo_u32 v16, v14, v3
	v_mad_u64_u32 v[2:3], s[8:9], v14, v2, 0
	v_add3_u32 v3, v3, v16, v15
.LBB326_86:
	s_or_b64 exec, exec, s[12:13]
	v_mul_lo_u32 v14, v5, v2
	v_mul_lo_u32 v15, v4, v3
	v_mad_u64_u32 v[30:31], s[8:9], v4, v2, 0
	v_add3_u32 v31, v31, v15, v14
	v_mul_lo_u32 v14, v31, v10
	v_mul_lo_u32 v15, v30, v11
	v_mad_u64_u32 v[32:33], s[8:9], v30, v10, 0
	v_add3_u32 v33, v33, v15, v14
	;; [unrolled: 4-line block ×6, first 2 shown]
	v_add_lshl_u32 v1, v1, v0, 3
	s_andn2_b64 vcc, exec, s[4:5]
	v_cmp_gt_u32_e64 s[4:5], 64, v0
	ds_write_b64 v1, v[40:41]
	s_waitcnt lgkmcnt(0)
	s_cbranch_vccnz .LBB326_106
; %bb.87:
	s_barrier
	s_and_saveexec_b64 s[8:9], s[4:5]
	s_cbranch_execz .LBB326_101
; %bb.88:
	v_lshlrev_b32_e32 v1, 1, v0
	v_lshrrev_b32_e32 v14, 4, v0
	v_add_lshl_u32 v1, v14, v1, 3
	ds_read2_b64 v[14:17], v1 offset1:1
	s_waitcnt lgkmcnt(0)
	v_mul_lo_u32 v18, v17, v14
	v_mul_lo_u32 v19, v16, v15
	v_mad_u64_u32 v[16:17], s[12:13], v16, v14, 0
	v_add3_u32 v17, v17, v19, v18
	v_mbcnt_lo_u32_b32 v18, -1, 0
	v_mbcnt_hi_u32_b32 v18, -1, v18
	v_and_b32_e32 v19, 15, v18
	v_mov_b32_dpp v20, v16 row_shr:1 row_mask:0xf bank_mask:0xf
	v_mov_b32_dpp v21, v17 row_shr:1 row_mask:0xf bank_mask:0xf
	v_cmp_ne_u32_e32 vcc, 0, v19
	s_and_saveexec_b64 s[12:13], vcc
; %bb.89:
	v_mul_lo_u32 v21, v21, v16
	v_mul_lo_u32 v22, v20, v17
	v_mad_u64_u32 v[16:17], s[26:27], v20, v16, 0
	v_add3_u32 v17, v17, v22, v21
; %bb.90:
	s_or_b64 exec, exec, s[12:13]
	v_mov_b32_dpp v20, v16 row_shr:2 row_mask:0xf bank_mask:0xf
	v_mov_b32_dpp v21, v17 row_shr:2 row_mask:0xf bank_mask:0xf
	v_cmp_lt_u32_e32 vcc, 1, v19
	s_and_saveexec_b64 s[12:13], vcc
; %bb.91:
	v_mul_lo_u32 v21, v21, v16
	v_mul_lo_u32 v22, v20, v17
	v_mad_u64_u32 v[16:17], s[26:27], v20, v16, 0
	v_add3_u32 v17, v17, v22, v21
; %bb.92:
	s_or_b64 exec, exec, s[12:13]
	v_mov_b32_dpp v20, v16 row_shr:4 row_mask:0xf bank_mask:0xf
	v_mov_b32_dpp v21, v17 row_shr:4 row_mask:0xf bank_mask:0xf
	v_cmp_lt_u32_e32 vcc, 3, v19
	;; [unrolled: 11-line block ×3, first 2 shown]
	s_and_saveexec_b64 s[12:13], vcc
; %bb.95:
	v_mul_lo_u32 v19, v21, v16
	v_mul_lo_u32 v21, v20, v17
	v_mad_u64_u32 v[16:17], s[26:27], v20, v16, 0
	v_add3_u32 v17, v17, v21, v19
; %bb.96:
	s_or_b64 exec, exec, s[12:13]
	v_and_b32_e32 v21, 16, v18
	v_mov_b32_dpp v19, v16 row_bcast:15 row_mask:0xf bank_mask:0xf
	v_mov_b32_dpp v20, v17 row_bcast:15 row_mask:0xf bank_mask:0xf
	v_cmp_ne_u32_e32 vcc, 0, v21
	s_and_saveexec_b64 s[12:13], vcc
; %bb.97:
	v_mul_lo_u32 v20, v20, v16
	v_mul_lo_u32 v21, v19, v17
	v_mad_u64_u32 v[16:17], s[26:27], v19, v16, 0
	v_add3_u32 v17, v17, v21, v20
; %bb.98:
	s_or_b64 exec, exec, s[12:13]
	v_mov_b32_dpp v19, v16 row_bcast:31 row_mask:0xf bank_mask:0xf
	v_mov_b32_dpp v20, v17 row_bcast:31 row_mask:0xf bank_mask:0xf
	v_cmp_lt_u32_e32 vcc, 31, v18
	s_and_saveexec_b64 s[12:13], vcc
; %bb.99:
	v_mul_lo_u32 v20, v20, v16
	v_mul_lo_u32 v21, v19, v17
	v_mad_u64_u32 v[16:17], s[26:27], v19, v16, 0
	v_add3_u32 v17, v17, v21, v20
; %bb.100:
	s_or_b64 exec, exec, s[12:13]
	v_add_u32_e32 v19, -1, v18
	v_and_b32_e32 v20, 64, v18
	v_cmp_lt_i32_e32 vcc, v19, v20
	v_cndmask_b32_e32 v18, v19, v18, vcc
	v_lshlrev_b32_e32 v18, 2, v18
	ds_bpermute_b32 v17, v18, v17
	ds_bpermute_b32 v16, v18, v16
	; wave barrier
	s_waitcnt lgkmcnt(1)
	v_mul_lo_u32 v17, v17, v14
	s_waitcnt lgkmcnt(0)
	v_mul_lo_u32 v18, v16, v15
	v_mad_u64_u32 v[14:15], s[12:13], v16, v14, 0
	v_add3_u32 v15, v15, v18, v17
	v_cndmask_b32_e64 v15, v15, v41, s[2:3]
	v_cndmask_b32_e64 v14, v14, v40, s[2:3]
	ds_write_b64 v1, v[14:15]
	; wave barrier
	ds_read_b64 v[16:17], v1 offset:8
	s_waitcnt lgkmcnt(0)
	v_mul_lo_u32 v18, v16, v15
	v_mul_lo_u32 v17, v17, v14
	v_mad_u64_u32 v[14:15], s[12:13], v16, v14, 0
	v_add3_u32 v15, v15, v18, v17
	ds_write_b64 v1, v[14:15] offset:8
.LBB326_101:
	s_or_b64 exec, exec, s[8:9]
	v_pk_mov_b32 v[26:27], v[40:41], v[40:41] op_sel:[0,1]
	s_waitcnt lgkmcnt(0)
	s_barrier
	s_and_saveexec_b64 s[8:9], s[0:1]
	s_cbranch_execz .LBB326_103
; %bb.102:
	v_add_u32_e32 v1, -1, v0
	v_lshrrev_b32_e32 v14, 5, v1
	v_add_lshl_u32 v1, v14, v1, 3
	ds_read_b64 v[26:27], v1
.LBB326_103:
	s_or_b64 exec, exec, s[8:9]
	v_pk_mov_b32 v[16:17], v[38:39], v[38:39] op_sel:[0,1]
	v_pk_mov_b32 v[20:21], v[36:37], v[36:37] op_sel:[0,1]
	;; [unrolled: 1-line block ×6, first 2 shown]
	s_and_saveexec_b64 s[8:9], s[0:1]
	s_cbranch_execz .LBB326_105
; %bb.104:
	s_waitcnt lgkmcnt(0)
	v_mul_lo_u32 v1, v27, v2
	v_mul_lo_u32 v16, v26, v3
	v_mad_u64_u32 v[14:15], s[12:13], v26, v2, 0
	v_add3_u32 v15, v15, v16, v1
	v_mul_lo_u32 v1, v15, v4
	v_mul_lo_u32 v16, v14, v5
	v_mad_u64_u32 v[24:25], s[12:13], v14, v4, 0
	v_add3_u32 v25, v25, v16, v1
	;; [unrolled: 4-line block ×6, first 2 shown]
	;;#ASMSTART
	;;#ASMEND
.LBB326_105:
	s_or_b64 exec, exec, s[8:9]
	v_mul_lo_u32 v1, v15, s24
	s_waitcnt lgkmcnt(0)
	v_mul_lo_u32 v26, v14, s25
	v_mad_u64_u32 v[14:15], s[8:9], v14, s24, 0
	v_add3_u32 v15, v15, v26, v1
	v_mul_lo_u32 v1, v25, s24
	v_mul_lo_u32 v25, v24, s25
	v_mad_u64_u32 v[42:43], s[8:9], v24, s24, 0
	v_add3_u32 v43, v43, v25, v1
	v_mul_lo_u32 v1, v19, s24
	;; [unrolled: 4-line block ×6, first 2 shown]
	v_mul_lo_u32 v16, v46, v29
	v_mad_u64_u32 v[26:27], s[8:9], v46, v28, 0
	v_add3_u32 v27, v27, v16, v1
	s_branch .LBB326_126
.LBB326_106:
                                        ; implicit-def: $vgpr26_vgpr27
                                        ; implicit-def: $vgpr46_vgpr47
                                        ; implicit-def: $vgpr44_vgpr45
                                        ; implicit-def: $vgpr42_vgpr43
                                        ; implicit-def: $vgpr22_vgpr23_vgpr24_vgpr25
                                        ; implicit-def: $vgpr18_vgpr19_vgpr20_vgpr21
                                        ; implicit-def: $vgpr14_vgpr15_vgpr16_vgpr17
	s_cbranch_execz .LBB326_126
; %bb.107:
	s_barrier
	s_and_saveexec_b64 s[8:9], s[4:5]
	s_cbranch_execz .LBB326_121
; %bb.108:
	v_lshlrev_b32_e32 v1, 1, v0
	v_lshrrev_b32_e32 v14, 4, v0
	v_add_lshl_u32 v1, v14, v1, 3
	ds_read2_b64 v[14:17], v1 offset1:1
	s_waitcnt lgkmcnt(0)
	v_mul_lo_u32 v18, v17, v14
	v_mul_lo_u32 v19, v16, v15
	v_mad_u64_u32 v[16:17], s[4:5], v16, v14, 0
	v_add3_u32 v17, v17, v19, v18
	v_mbcnt_lo_u32_b32 v18, -1, 0
	v_mbcnt_hi_u32_b32 v18, -1, v18
	v_and_b32_e32 v19, 15, v18
	v_mov_b32_dpp v20, v16 row_shr:1 row_mask:0xf bank_mask:0xf
	v_mov_b32_dpp v21, v17 row_shr:1 row_mask:0xf bank_mask:0xf
	v_cmp_ne_u32_e32 vcc, 0, v19
	s_and_saveexec_b64 s[4:5], vcc
; %bb.109:
	v_mul_lo_u32 v21, v21, v16
	v_mul_lo_u32 v22, v20, v17
	v_mad_u64_u32 v[16:17], s[12:13], v20, v16, 0
	v_add3_u32 v17, v17, v22, v21
; %bb.110:
	s_or_b64 exec, exec, s[4:5]
	v_mov_b32_dpp v20, v16 row_shr:2 row_mask:0xf bank_mask:0xf
	v_mov_b32_dpp v21, v17 row_shr:2 row_mask:0xf bank_mask:0xf
	v_cmp_lt_u32_e32 vcc, 1, v19
	s_and_saveexec_b64 s[4:5], vcc
; %bb.111:
	v_mul_lo_u32 v21, v21, v16
	v_mul_lo_u32 v22, v20, v17
	v_mad_u64_u32 v[16:17], s[12:13], v20, v16, 0
	v_add3_u32 v17, v17, v22, v21
; %bb.112:
	s_or_b64 exec, exec, s[4:5]
	v_mov_b32_dpp v20, v16 row_shr:4 row_mask:0xf bank_mask:0xf
	v_mov_b32_dpp v21, v17 row_shr:4 row_mask:0xf bank_mask:0xf
	v_cmp_lt_u32_e32 vcc, 3, v19
	;; [unrolled: 11-line block ×3, first 2 shown]
	s_and_saveexec_b64 s[4:5], vcc
; %bb.115:
	v_mul_lo_u32 v19, v21, v16
	v_mul_lo_u32 v21, v20, v17
	v_mad_u64_u32 v[16:17], s[12:13], v20, v16, 0
	v_add3_u32 v17, v17, v21, v19
; %bb.116:
	s_or_b64 exec, exec, s[4:5]
	v_and_b32_e32 v21, 16, v18
	v_mov_b32_dpp v19, v16 row_bcast:15 row_mask:0xf bank_mask:0xf
	v_mov_b32_dpp v20, v17 row_bcast:15 row_mask:0xf bank_mask:0xf
	v_cmp_ne_u32_e32 vcc, 0, v21
	s_and_saveexec_b64 s[4:5], vcc
; %bb.117:
	v_mul_lo_u32 v20, v20, v16
	v_mul_lo_u32 v21, v19, v17
	v_mad_u64_u32 v[16:17], s[12:13], v19, v16, 0
	v_add3_u32 v17, v17, v21, v20
; %bb.118:
	s_or_b64 exec, exec, s[4:5]
	v_mov_b32_dpp v19, v16 row_bcast:31 row_mask:0xf bank_mask:0xf
	v_mov_b32_dpp v20, v17 row_bcast:31 row_mask:0xf bank_mask:0xf
	v_cmp_lt_u32_e32 vcc, 31, v18
	s_and_saveexec_b64 s[4:5], vcc
; %bb.119:
	v_mul_lo_u32 v20, v20, v16
	v_mul_lo_u32 v21, v19, v17
	v_mad_u64_u32 v[16:17], s[12:13], v19, v16, 0
	v_add3_u32 v17, v17, v21, v20
; %bb.120:
	s_or_b64 exec, exec, s[4:5]
	v_add_u32_e32 v19, -1, v18
	v_and_b32_e32 v20, 64, v18
	v_cmp_lt_i32_e32 vcc, v19, v20
	v_cndmask_b32_e32 v18, v19, v18, vcc
	v_lshlrev_b32_e32 v18, 2, v18
	ds_bpermute_b32 v17, v18, v17
	ds_bpermute_b32 v16, v18, v16
	; wave barrier
	s_waitcnt lgkmcnt(1)
	v_mul_lo_u32 v17, v17, v14
	s_waitcnt lgkmcnt(0)
	v_mul_lo_u32 v18, v16, v15
	v_mad_u64_u32 v[14:15], s[4:5], v16, v14, 0
	v_add3_u32 v15, v15, v18, v17
	v_cndmask_b32_e64 v15, v15, v41, s[2:3]
	v_cndmask_b32_e64 v14, v14, v40, s[2:3]
	ds_write_b64 v1, v[14:15]
	; wave barrier
	ds_read_b64 v[16:17], v1 offset:8
	s_waitcnt lgkmcnt(0)
	v_mul_lo_u32 v18, v16, v15
	v_mul_lo_u32 v17, v17, v14
	v_mad_u64_u32 v[14:15], s[2:3], v16, v14, 0
	v_add3_u32 v15, v15, v18, v17
	ds_write_b64 v1, v[14:15] offset:8
.LBB326_121:
	s_or_b64 exec, exec, s[8:9]
	v_pk_mov_b32 v[14:15], v[40:41], v[40:41] op_sel:[0,1]
	s_waitcnt lgkmcnt(0)
	s_barrier
	s_and_saveexec_b64 s[2:3], s[0:1]
	s_cbranch_execz .LBB326_123
; %bb.122:
	v_add_u32_e32 v1, -1, v0
	v_lshrrev_b32_e32 v14, 5, v1
	v_add_lshl_u32 v1, v14, v1, 3
	ds_read_b64 v[14:15], v1
.LBB326_123:
	s_or_b64 exec, exec, s[2:3]
	s_and_saveexec_b64 s[2:3], s[0:1]
	s_cbranch_execz .LBB326_125
; %bb.124:
	s_waitcnt lgkmcnt(0)
	v_mul_lo_u32 v1, v15, v2
	v_mul_lo_u32 v15, v14, v3
	v_mad_u64_u32 v[2:3], s[0:1], v14, v2, 0
	v_add3_u32 v3, v3, v15, v1
	v_mul_lo_u32 v1, v3, v4
	v_mul_lo_u32 v5, v2, v5
	v_mad_u64_u32 v[30:31], s[0:1], v2, v4, 0
	v_add3_u32 v31, v31, v5, v1
	;; [unrolled: 4-line block ×7, first 2 shown]
	;;#ASMSTART
	;;#ASMEND
.LBB326_125:
	s_or_b64 exec, exec, s[2:3]
	v_pk_mov_b32 v[26:27], v[40:41], v[40:41] op_sel:[0,1]
	v_pk_mov_b32 v[46:47], v[38:39], v[38:39] op_sel:[0,1]
	;; [unrolled: 1-line block ×6, first 2 shown]
	s_waitcnt lgkmcnt(0)
	v_pk_mov_b32 v[14:15], v[2:3], v[2:3] op_sel:[0,1]
.LBB326_126:
	s_movk_i32 s0, 0x7f
	v_cmp_eq_u32_e32 vcc, s0, v0
	s_and_saveexec_b64 s[0:1], vcc
	s_cbranch_execz .LBB326_128
; %bb.127:
	s_add_u32 s2, s6, 0x400
	s_addc_u32 s3, s7, 0
	v_mov_b32_e32 v28, 2
	v_mov_b32_e32 v29, 0
	v_pk_mov_b32 v[2:3], s[2:3], s[2:3] op_sel:[0,1]
	;;#ASMSTART
	global_store_dwordx4 v[2:3], v[26:29] off	
s_waitcnt vmcnt(0)
	;;#ASMEND
.LBB326_128:
	s_or_b64 exec, exec, s[0:1]
.LBB326_129:
	s_add_u32 s0, s20, s18
	s_addc_u32 s1, s21, s19
	s_add_u32 s2, s0, s22
	s_addc_u32 s3, s1, s23
	s_mov_b64 s[0:1], -1
	s_and_b64 vcc, exec, s[16:17]
	v_mul_u32_u24_e32 v1, 56, v0
	s_barrier
	s_cbranch_vccz .LBB326_131
; %bb.130:
	v_mul_i32_i24_e32 v2, 0xffffffd0, v0
	v_mad_u32_u24 v16, v0, 56, v2
	ds_write2_b64 v1, v[14:15], v[42:43] offset1:1
	ds_write2_b64 v1, v[18:19], v[44:45] offset0:2 offset1:3
	ds_write2_b64 v1, v[22:23], v[46:47] offset0:4 offset1:5
	ds_write_b64 v1, v[26:27] offset:48
	s_waitcnt lgkmcnt(0)
	s_barrier
	ds_read2st64_b64 v[2:5], v16 offset1:2
	ds_read2st64_b64 v[6:9], v16 offset0:4 offset1:6
	ds_read2st64_b64 v[10:13], v16 offset0:8 offset1:10
	ds_read_b64 v[16:17], v16 offset:6144
	v_mov_b32_e32 v21, s3
	v_add_co_u32_e32 v20, vcc, s2, v48
	v_addc_co_u32_e32 v21, vcc, 0, v21, vcc
	s_waitcnt lgkmcnt(3)
	flat_store_dwordx2 v[20:21], v[2:3]
	flat_store_dwordx2 v[20:21], v[4:5] offset:1024
	s_waitcnt lgkmcnt(0)
	flat_store_dwordx2 v[20:21], v[6:7] offset:2048
	flat_store_dwordx2 v[20:21], v[8:9] offset:3072
	v_add_co_u32_e32 v2, vcc, 0x1000, v20
	v_addc_co_u32_e32 v3, vcc, 0, v21, vcc
	flat_store_dwordx2 v[2:3], v[10:11]
	flat_store_dwordx2 v[2:3], v[12:13] offset:1024
	flat_store_dwordx2 v[2:3], v[16:17] offset:2048
	s_mov_b64 s[0:1], 0
.LBB326_131:
	s_andn2_b64 vcc, exec, s[0:1]
	s_cbranch_vccnz .LBB326_170
; %bb.132:
	v_mul_i32_i24_e32 v2, 0xffffffd0, v0
	ds_write2_b64 v1, v[14:15], v[42:43] offset1:1
	ds_write2_b64 v1, v[18:19], v[44:45] offset0:2 offset1:3
	ds_write2_b64 v1, v[22:23], v[46:47] offset0:4 offset1:5
	ds_write_b64 v1, v[26:27] offset:48
	v_mad_u32_u24 v14, v0, 56, v2
	s_waitcnt lgkmcnt(0)
	s_barrier
	ds_read2st64_b64 v[2:5], v14 offset1:2
	ds_read2st64_b64 v[6:9], v14 offset0:4 offset1:6
	ds_read2st64_b64 v[10:13], v14 offset0:8 offset1:10
	ds_read_b64 v[14:15], v14 offset:6144
	v_mov_b32_e32 v17, s3
	v_add_co_u32_e32 v16, vcc, s2, v48
	v_addc_co_u32_e32 v17, vcc, 0, v17, vcc
	v_mov_b32_e32 v1, 0
	v_cmp_gt_u32_e32 vcc, s33, v0
	s_and_saveexec_b64 s[0:1], vcc
	s_cbranch_execz .LBB326_134
; %bb.133:
	s_waitcnt lgkmcnt(0)
	flat_store_dwordx2 v[16:17], v[2:3]
.LBB326_134:
	s_or_b64 exec, exec, s[0:1]
	v_or_b32_e32 v18, 0x80, v0
	v_cmp_gt_u32_e32 vcc, s33, v18
	s_and_saveexec_b64 s[0:1], vcc
	s_cbranch_execz .LBB326_136
; %bb.135:
	s_waitcnt lgkmcnt(0)
	flat_store_dwordx2 v[16:17], v[4:5] offset:1024
.LBB326_136:
	s_or_b64 exec, exec, s[0:1]
	v_or_b32_e32 v18, 0x100, v0
	v_cmp_gt_u32_e32 vcc, s33, v18
	s_and_saveexec_b64 s[0:1], vcc
	s_cbranch_execz .LBB326_138
; %bb.137:
	s_waitcnt lgkmcnt(0)
	flat_store_dwordx2 v[16:17], v[6:7] offset:2048
.LBB326_138:
	;; [unrolled: 9-line block ×3, first 2 shown]
	s_or_b64 exec, exec, s[0:1]
	v_or_b32_e32 v18, 0x200, v0
	v_cmp_gt_u32_e32 vcc, s33, v18
	s_and_saveexec_b64 s[0:1], vcc
	s_cbranch_execz .LBB326_142
; %bb.141:
	v_add_co_u32_e32 v18, vcc, 0x1000, v16
	v_addc_co_u32_e32 v19, vcc, 0, v17, vcc
	s_waitcnt lgkmcnt(0)
	flat_store_dwordx2 v[18:19], v[10:11]
.LBB326_142:
	s_or_b64 exec, exec, s[0:1]
	v_or_b32_e32 v18, 0x280, v0
	v_cmp_gt_u32_e32 vcc, s33, v18
	s_and_saveexec_b64 s[0:1], vcc
	s_cbranch_execz .LBB326_144
; %bb.143:
	v_add_co_u32_e32 v18, vcc, 0x1000, v16
	v_addc_co_u32_e32 v19, vcc, 0, v17, vcc
	s_waitcnt lgkmcnt(0)
	flat_store_dwordx2 v[18:19], v[12:13] offset:1024
.LBB326_144:
	s_or_b64 exec, exec, s[0:1]
	v_or_b32_e32 v18, 0x300, v0
	v_cmp_gt_u32_e32 vcc, s33, v18
	s_and_saveexec_b64 s[0:1], vcc
	s_cbranch_execz .LBB326_146
; %bb.145:
	v_add_co_u32_e32 v16, vcc, 0x1000, v16
	v_addc_co_u32_e32 v17, vcc, 0, v17, vcc
	s_waitcnt lgkmcnt(0)
	flat_store_dwordx2 v[16:17], v[14:15] offset:2048
.LBB326_146:
	s_or_b64 exec, exec, s[0:1]
	v_cmp_lt_u64_e64 s[0:1], s[14:15], 2
	s_and_b64 vcc, exec, s[0:1]
	s_cbranch_vccnz .LBB326_170
; %bb.147:
	s_add_u32 s0, s33, -1
	s_addc_u32 s1, s34, -1
	s_add_u32 s2, 0, 0x92481000
	s_addc_u32 s3, 0, 0x64
	s_add_i32 s3, s3, 0x249248c0
	s_mul_hi_u32 s7, s2, -7
	s_sub_i32 s7, s7, s2
	s_mul_i32 s8, s3, -7
	s_mul_i32 s4, s2, -7
	s_add_i32 s7, s7, s8
	s_mul_hi_u32 s5, s3, s4
	s_mul_i32 s6, s3, s4
	s_mul_i32 s9, s2, s7
	s_mul_hi_u32 s4, s2, s4
	s_mul_hi_u32 s8, s2, s7
	s_add_u32 s4, s4, s9
	s_addc_u32 s8, 0, s8
	s_add_u32 s4, s4, s6
	s_mul_hi_u32 s9, s3, s7
	s_addc_u32 s4, s8, s5
	s_addc_u32 s5, s9, 0
	s_mul_i32 s6, s3, s7
	s_add_u32 s4, s4, s6
	v_mov_b32_e32 v16, s4
	s_addc_u32 s5, 0, s5
	v_add_co_u32_e32 v16, vcc, s2, v16
	s_cmp_lg_u64 vcc, 0
	s_addc_u32 s2, s3, s5
	v_readfirstlane_b32 s5, v16
	s_mul_i32 s4, s0, s2
	s_mul_hi_u32 s6, s0, s5
	s_mul_hi_u32 s3, s0, s2
	s_add_u32 s4, s6, s4
	s_addc_u32 s3, 0, s3
	s_mul_hi_u32 s7, s1, s5
	s_mul_i32 s5, s1, s5
	s_add_u32 s4, s4, s5
	s_mul_hi_u32 s6, s1, s2
	s_addc_u32 s3, s3, s7
	s_addc_u32 s4, s6, 0
	s_mul_i32 s2, s1, s2
	s_add_u32 s2, s3, s2
	s_addc_u32 s3, 0, s4
	s_add_u32 s4, s2, 1
	s_addc_u32 s5, s3, 0
	s_add_u32 s6, s2, 2
	s_mul_i32 s8, s3, 7
	s_mul_hi_u32 s9, s2, 7
	s_addc_u32 s7, s3, 0
	s_add_i32 s9, s9, s8
	s_mul_i32 s8, s2, 7
	v_mov_b32_e32 v16, s8
	v_sub_co_u32_e32 v16, vcc, s0, v16
	s_cmp_lg_u64 vcc, 0
	s_subb_u32 s8, s1, s9
	v_subrev_co_u32_e32 v17, vcc, 7, v16
	s_cmp_lg_u64 vcc, 0
	s_subb_u32 s9, s8, 0
	v_readfirstlane_b32 s12, v17
	s_cmp_gt_u32 s12, 6
	s_cselect_b32 s12, -1, 0
	s_cmp_eq_u32 s9, 0
	s_cselect_b32 s9, s12, -1
	s_cmp_lg_u32 s9, 0
	s_cselect_b32 s4, s6, s4
	v_readfirstlane_b32 s6, v16
	s_cselect_b32 s5, s7, s5
	s_cmp_gt_u32 s6, 6
	s_cselect_b32 s6, -1, 0
	s_cmp_eq_u32 s8, 0
	s_cselect_b32 s6, s6, -1
	s_cmp_lg_u32 s6, 0
	s_cselect_b32 s3, s5, s3
	s_cselect_b32 s2, s4, s2
	v_cmp_eq_u64_e32 vcc, s[2:3], v[0:1]
	s_and_saveexec_b64 s[2:3], vcc
	s_cbranch_execz .LBB326_170
; %bb.148:
	v_mul_hi_u32_u24_e32 v1, 7, v0
	v_mov_b32_e32 v16, s1
	v_sub_co_u32_e32 v0, vcc, s0, v49
	v_subb_co_u32_e32 v1, vcc, v16, v1, vcc
	v_cmp_lt_i64_e32 vcc, 3, v[0:1]
	s_and_saveexec_b64 s[0:1], vcc
	s_xor_b64 s[0:1], exec, s[0:1]
	s_cbranch_execz .LBB326_158
; %bb.149:
	v_cmp_lt_i64_e32 vcc, 4, v[0:1]
	s_and_saveexec_b64 s[2:3], vcc
	s_xor_b64 s[2:3], exec, s[2:3]
	s_cbranch_execz .LBB326_155
; %bb.150:
	;; [unrolled: 5-line block ×3, first 2 shown]
	v_mov_b32_e32 v0, 0
	s_waitcnt lgkmcnt(0)
	global_store_dwordx2 v0, v[14:15], s[10:11]
                                        ; implicit-def: $vgpr10_vgpr11_vgpr12_vgpr13
.LBB326_152:
	s_andn2_saveexec_b64 s[4:5], s[4:5]
	s_cbranch_execz .LBB326_154
; %bb.153:
	v_mov_b32_e32 v0, 0
	s_waitcnt lgkmcnt(0)
	global_store_dwordx2 v0, v[12:13], s[10:11]
.LBB326_154:
	s_or_b64 exec, exec, s[4:5]
                                        ; implicit-def: $vgpr10_vgpr11_vgpr12_vgpr13
.LBB326_155:
	s_andn2_saveexec_b64 s[2:3], s[2:3]
	s_cbranch_execz .LBB326_157
; %bb.156:
	v_mov_b32_e32 v0, 0
	s_waitcnt lgkmcnt(0)
	global_store_dwordx2 v0, v[10:11], s[10:11]
.LBB326_157:
	s_or_b64 exec, exec, s[2:3]
                                        ; implicit-def: $vgpr0_vgpr1
                                        ; implicit-def: $vgpr2_vgpr3_vgpr4_vgpr5
                                        ; implicit-def: $vgpr6_vgpr7_vgpr8_vgpr9
.LBB326_158:
	s_andn2_saveexec_b64 s[0:1], s[0:1]
	s_cbranch_execz .LBB326_170
; %bb.159:
	v_cmp_lt_i64_e32 vcc, 1, v[0:1]
	s_and_saveexec_b64 s[0:1], vcc
	s_xor_b64 s[0:1], exec, s[0:1]
	s_cbranch_execz .LBB326_165
; %bb.160:
	v_cmp_lt_i64_e32 vcc, 2, v[0:1]
	s_and_saveexec_b64 s[2:3], vcc
	s_xor_b64 s[2:3], exec, s[2:3]
	s_cbranch_execz .LBB326_162
; %bb.161:
	v_mov_b32_e32 v0, 0
	s_waitcnt lgkmcnt(0)
	global_store_dwordx2 v0, v[8:9], s[10:11]
                                        ; implicit-def: $vgpr6_vgpr7_vgpr8_vgpr9
.LBB326_162:
	s_andn2_saveexec_b64 s[2:3], s[2:3]
	s_cbranch_execz .LBB326_164
; %bb.163:
	v_mov_b32_e32 v0, 0
	s_waitcnt lgkmcnt(0)
	global_store_dwordx2 v0, v[6:7], s[10:11]
.LBB326_164:
	s_or_b64 exec, exec, s[2:3]
                                        ; implicit-def: $vgpr2_vgpr3_vgpr4_vgpr5
                                        ; implicit-def: $vgpr0_vgpr1
.LBB326_165:
	s_andn2_saveexec_b64 s[0:1], s[0:1]
	s_cbranch_execz .LBB326_170
; %bb.166:
	v_cmp_ne_u64_e32 vcc, 1, v[0:1]
	s_and_saveexec_b64 s[0:1], vcc
	s_xor_b64 s[0:1], exec, s[0:1]
	s_cbranch_execz .LBB326_168
; %bb.167:
	v_mov_b32_e32 v0, 0
	s_waitcnt lgkmcnt(0)
	global_store_dwordx2 v0, v[2:3], s[10:11]
                                        ; implicit-def: $vgpr2_vgpr3_vgpr4_vgpr5
.LBB326_168:
	s_andn2_saveexec_b64 s[0:1], s[0:1]
	s_cbranch_execz .LBB326_170
; %bb.169:
	v_mov_b32_e32 v0, 0
	s_waitcnt lgkmcnt(0)
	global_store_dwordx2 v0, v[4:5], s[10:11]
.LBB326_170:
	s_endpgm
	.section	.rodata,"a",@progbits
	.p2align	6, 0x0
	.amdhsa_kernel _ZN7rocprim17ROCPRIM_400000_NS6detail17trampoline_kernelINS0_14default_configENS1_20scan_config_selectorIxEEZZNS1_9scan_implILNS1_25lookback_scan_determinismE0ELb0ELb1ES3_N6thrust23THRUST_200600_302600_NS6detail15normal_iteratorINS9_10device_ptrIxEEEESE_xNS9_10multipliesIxEExEEDaPvRmT3_T4_T5_mT6_P12ihipStream_tbENKUlT_T0_E_clISt17integral_constantIbLb0EEST_IbLb1EEEEDaSP_SQ_EUlSP_E_NS1_11comp_targetILNS1_3genE4ELNS1_11target_archE910ELNS1_3gpuE8ELNS1_3repE0EEENS1_30default_config_static_selectorELNS0_4arch9wavefront6targetE1EEEvT1_
		.amdhsa_group_segment_fixed_size 7168
		.amdhsa_private_segment_fixed_size 0
		.amdhsa_kernarg_size 104
		.amdhsa_user_sgpr_count 6
		.amdhsa_user_sgpr_private_segment_buffer 1
		.amdhsa_user_sgpr_dispatch_ptr 0
		.amdhsa_user_sgpr_queue_ptr 0
		.amdhsa_user_sgpr_kernarg_segment_ptr 1
		.amdhsa_user_sgpr_dispatch_id 0
		.amdhsa_user_sgpr_flat_scratch_init 0
		.amdhsa_user_sgpr_kernarg_preload_length 0
		.amdhsa_user_sgpr_kernarg_preload_offset 0
		.amdhsa_user_sgpr_private_segment_size 0
		.amdhsa_uses_dynamic_stack 0
		.amdhsa_system_sgpr_private_segment_wavefront_offset 0
		.amdhsa_system_sgpr_workgroup_id_x 1
		.amdhsa_system_sgpr_workgroup_id_y 0
		.amdhsa_system_sgpr_workgroup_id_z 0
		.amdhsa_system_sgpr_workgroup_info 0
		.amdhsa_system_vgpr_workitem_id 0
		.amdhsa_next_free_vgpr 50
		.amdhsa_next_free_sgpr 38
		.amdhsa_accum_offset 52
		.amdhsa_reserve_vcc 1
		.amdhsa_reserve_flat_scratch 0
		.amdhsa_float_round_mode_32 0
		.amdhsa_float_round_mode_16_64 0
		.amdhsa_float_denorm_mode_32 3
		.amdhsa_float_denorm_mode_16_64 3
		.amdhsa_dx10_clamp 1
		.amdhsa_ieee_mode 1
		.amdhsa_fp16_overflow 0
		.amdhsa_tg_split 0
		.amdhsa_exception_fp_ieee_invalid_op 0
		.amdhsa_exception_fp_denorm_src 0
		.amdhsa_exception_fp_ieee_div_zero 0
		.amdhsa_exception_fp_ieee_overflow 0
		.amdhsa_exception_fp_ieee_underflow 0
		.amdhsa_exception_fp_ieee_inexact 0
		.amdhsa_exception_int_div_zero 0
	.end_amdhsa_kernel
	.section	.text._ZN7rocprim17ROCPRIM_400000_NS6detail17trampoline_kernelINS0_14default_configENS1_20scan_config_selectorIxEEZZNS1_9scan_implILNS1_25lookback_scan_determinismE0ELb0ELb1ES3_N6thrust23THRUST_200600_302600_NS6detail15normal_iteratorINS9_10device_ptrIxEEEESE_xNS9_10multipliesIxEExEEDaPvRmT3_T4_T5_mT6_P12ihipStream_tbENKUlT_T0_E_clISt17integral_constantIbLb0EEST_IbLb1EEEEDaSP_SQ_EUlSP_E_NS1_11comp_targetILNS1_3genE4ELNS1_11target_archE910ELNS1_3gpuE8ELNS1_3repE0EEENS1_30default_config_static_selectorELNS0_4arch9wavefront6targetE1EEEvT1_,"axG",@progbits,_ZN7rocprim17ROCPRIM_400000_NS6detail17trampoline_kernelINS0_14default_configENS1_20scan_config_selectorIxEEZZNS1_9scan_implILNS1_25lookback_scan_determinismE0ELb0ELb1ES3_N6thrust23THRUST_200600_302600_NS6detail15normal_iteratorINS9_10device_ptrIxEEEESE_xNS9_10multipliesIxEExEEDaPvRmT3_T4_T5_mT6_P12ihipStream_tbENKUlT_T0_E_clISt17integral_constantIbLb0EEST_IbLb1EEEEDaSP_SQ_EUlSP_E_NS1_11comp_targetILNS1_3genE4ELNS1_11target_archE910ELNS1_3gpuE8ELNS1_3repE0EEENS1_30default_config_static_selectorELNS0_4arch9wavefront6targetE1EEEvT1_,comdat
.Lfunc_end326:
	.size	_ZN7rocprim17ROCPRIM_400000_NS6detail17trampoline_kernelINS0_14default_configENS1_20scan_config_selectorIxEEZZNS1_9scan_implILNS1_25lookback_scan_determinismE0ELb0ELb1ES3_N6thrust23THRUST_200600_302600_NS6detail15normal_iteratorINS9_10device_ptrIxEEEESE_xNS9_10multipliesIxEExEEDaPvRmT3_T4_T5_mT6_P12ihipStream_tbENKUlT_T0_E_clISt17integral_constantIbLb0EEST_IbLb1EEEEDaSP_SQ_EUlSP_E_NS1_11comp_targetILNS1_3genE4ELNS1_11target_archE910ELNS1_3gpuE8ELNS1_3repE0EEENS1_30default_config_static_selectorELNS0_4arch9wavefront6targetE1EEEvT1_, .Lfunc_end326-_ZN7rocprim17ROCPRIM_400000_NS6detail17trampoline_kernelINS0_14default_configENS1_20scan_config_selectorIxEEZZNS1_9scan_implILNS1_25lookback_scan_determinismE0ELb0ELb1ES3_N6thrust23THRUST_200600_302600_NS6detail15normal_iteratorINS9_10device_ptrIxEEEESE_xNS9_10multipliesIxEExEEDaPvRmT3_T4_T5_mT6_P12ihipStream_tbENKUlT_T0_E_clISt17integral_constantIbLb0EEST_IbLb1EEEEDaSP_SQ_EUlSP_E_NS1_11comp_targetILNS1_3genE4ELNS1_11target_archE910ELNS1_3gpuE8ELNS1_3repE0EEENS1_30default_config_static_selectorELNS0_4arch9wavefront6targetE1EEEvT1_
                                        ; -- End function
	.section	.AMDGPU.csdata,"",@progbits
; Kernel info:
; codeLenInByte = 7808
; NumSgprs: 42
; NumVgprs: 50
; NumAgprs: 0
; TotalNumVgprs: 50
; ScratchSize: 0
; MemoryBound: 0
; FloatMode: 240
; IeeeMode: 1
; LDSByteSize: 7168 bytes/workgroup (compile time only)
; SGPRBlocks: 5
; VGPRBlocks: 6
; NumSGPRsForWavesPerEU: 42
; NumVGPRsForWavesPerEU: 50
; AccumOffset: 52
; Occupancy: 5
; WaveLimiterHint : 1
; COMPUTE_PGM_RSRC2:SCRATCH_EN: 0
; COMPUTE_PGM_RSRC2:USER_SGPR: 6
; COMPUTE_PGM_RSRC2:TRAP_HANDLER: 0
; COMPUTE_PGM_RSRC2:TGID_X_EN: 1
; COMPUTE_PGM_RSRC2:TGID_Y_EN: 0
; COMPUTE_PGM_RSRC2:TGID_Z_EN: 0
; COMPUTE_PGM_RSRC2:TIDIG_COMP_CNT: 0
; COMPUTE_PGM_RSRC3_GFX90A:ACCUM_OFFSET: 12
; COMPUTE_PGM_RSRC3_GFX90A:TG_SPLIT: 0
	.section	.text._ZN7rocprim17ROCPRIM_400000_NS6detail17trampoline_kernelINS0_14default_configENS1_20scan_config_selectorIxEEZZNS1_9scan_implILNS1_25lookback_scan_determinismE0ELb0ELb1ES3_N6thrust23THRUST_200600_302600_NS6detail15normal_iteratorINS9_10device_ptrIxEEEESE_xNS9_10multipliesIxEExEEDaPvRmT3_T4_T5_mT6_P12ihipStream_tbENKUlT_T0_E_clISt17integral_constantIbLb0EEST_IbLb1EEEEDaSP_SQ_EUlSP_E_NS1_11comp_targetILNS1_3genE3ELNS1_11target_archE908ELNS1_3gpuE7ELNS1_3repE0EEENS1_30default_config_static_selectorELNS0_4arch9wavefront6targetE1EEEvT1_,"axG",@progbits,_ZN7rocprim17ROCPRIM_400000_NS6detail17trampoline_kernelINS0_14default_configENS1_20scan_config_selectorIxEEZZNS1_9scan_implILNS1_25lookback_scan_determinismE0ELb0ELb1ES3_N6thrust23THRUST_200600_302600_NS6detail15normal_iteratorINS9_10device_ptrIxEEEESE_xNS9_10multipliesIxEExEEDaPvRmT3_T4_T5_mT6_P12ihipStream_tbENKUlT_T0_E_clISt17integral_constantIbLb0EEST_IbLb1EEEEDaSP_SQ_EUlSP_E_NS1_11comp_targetILNS1_3genE3ELNS1_11target_archE908ELNS1_3gpuE7ELNS1_3repE0EEENS1_30default_config_static_selectorELNS0_4arch9wavefront6targetE1EEEvT1_,comdat
	.protected	_ZN7rocprim17ROCPRIM_400000_NS6detail17trampoline_kernelINS0_14default_configENS1_20scan_config_selectorIxEEZZNS1_9scan_implILNS1_25lookback_scan_determinismE0ELb0ELb1ES3_N6thrust23THRUST_200600_302600_NS6detail15normal_iteratorINS9_10device_ptrIxEEEESE_xNS9_10multipliesIxEExEEDaPvRmT3_T4_T5_mT6_P12ihipStream_tbENKUlT_T0_E_clISt17integral_constantIbLb0EEST_IbLb1EEEEDaSP_SQ_EUlSP_E_NS1_11comp_targetILNS1_3genE3ELNS1_11target_archE908ELNS1_3gpuE7ELNS1_3repE0EEENS1_30default_config_static_selectorELNS0_4arch9wavefront6targetE1EEEvT1_ ; -- Begin function _ZN7rocprim17ROCPRIM_400000_NS6detail17trampoline_kernelINS0_14default_configENS1_20scan_config_selectorIxEEZZNS1_9scan_implILNS1_25lookback_scan_determinismE0ELb0ELb1ES3_N6thrust23THRUST_200600_302600_NS6detail15normal_iteratorINS9_10device_ptrIxEEEESE_xNS9_10multipliesIxEExEEDaPvRmT3_T4_T5_mT6_P12ihipStream_tbENKUlT_T0_E_clISt17integral_constantIbLb0EEST_IbLb1EEEEDaSP_SQ_EUlSP_E_NS1_11comp_targetILNS1_3genE3ELNS1_11target_archE908ELNS1_3gpuE7ELNS1_3repE0EEENS1_30default_config_static_selectorELNS0_4arch9wavefront6targetE1EEEvT1_
	.globl	_ZN7rocprim17ROCPRIM_400000_NS6detail17trampoline_kernelINS0_14default_configENS1_20scan_config_selectorIxEEZZNS1_9scan_implILNS1_25lookback_scan_determinismE0ELb0ELb1ES3_N6thrust23THRUST_200600_302600_NS6detail15normal_iteratorINS9_10device_ptrIxEEEESE_xNS9_10multipliesIxEExEEDaPvRmT3_T4_T5_mT6_P12ihipStream_tbENKUlT_T0_E_clISt17integral_constantIbLb0EEST_IbLb1EEEEDaSP_SQ_EUlSP_E_NS1_11comp_targetILNS1_3genE3ELNS1_11target_archE908ELNS1_3gpuE7ELNS1_3repE0EEENS1_30default_config_static_selectorELNS0_4arch9wavefront6targetE1EEEvT1_
	.p2align	8
	.type	_ZN7rocprim17ROCPRIM_400000_NS6detail17trampoline_kernelINS0_14default_configENS1_20scan_config_selectorIxEEZZNS1_9scan_implILNS1_25lookback_scan_determinismE0ELb0ELb1ES3_N6thrust23THRUST_200600_302600_NS6detail15normal_iteratorINS9_10device_ptrIxEEEESE_xNS9_10multipliesIxEExEEDaPvRmT3_T4_T5_mT6_P12ihipStream_tbENKUlT_T0_E_clISt17integral_constantIbLb0EEST_IbLb1EEEEDaSP_SQ_EUlSP_E_NS1_11comp_targetILNS1_3genE3ELNS1_11target_archE908ELNS1_3gpuE7ELNS1_3repE0EEENS1_30default_config_static_selectorELNS0_4arch9wavefront6targetE1EEEvT1_,@function
_ZN7rocprim17ROCPRIM_400000_NS6detail17trampoline_kernelINS0_14default_configENS1_20scan_config_selectorIxEEZZNS1_9scan_implILNS1_25lookback_scan_determinismE0ELb0ELb1ES3_N6thrust23THRUST_200600_302600_NS6detail15normal_iteratorINS9_10device_ptrIxEEEESE_xNS9_10multipliesIxEExEEDaPvRmT3_T4_T5_mT6_P12ihipStream_tbENKUlT_T0_E_clISt17integral_constantIbLb0EEST_IbLb1EEEEDaSP_SQ_EUlSP_E_NS1_11comp_targetILNS1_3genE3ELNS1_11target_archE908ELNS1_3gpuE7ELNS1_3repE0EEENS1_30default_config_static_selectorELNS0_4arch9wavefront6targetE1EEEvT1_: ; @_ZN7rocprim17ROCPRIM_400000_NS6detail17trampoline_kernelINS0_14default_configENS1_20scan_config_selectorIxEEZZNS1_9scan_implILNS1_25lookback_scan_determinismE0ELb0ELb1ES3_N6thrust23THRUST_200600_302600_NS6detail15normal_iteratorINS9_10device_ptrIxEEEESE_xNS9_10multipliesIxEExEEDaPvRmT3_T4_T5_mT6_P12ihipStream_tbENKUlT_T0_E_clISt17integral_constantIbLb0EEST_IbLb1EEEEDaSP_SQ_EUlSP_E_NS1_11comp_targetILNS1_3genE3ELNS1_11target_archE908ELNS1_3gpuE7ELNS1_3repE0EEENS1_30default_config_static_selectorELNS0_4arch9wavefront6targetE1EEEvT1_
; %bb.0:
	.section	.rodata,"a",@progbits
	.p2align	6, 0x0
	.amdhsa_kernel _ZN7rocprim17ROCPRIM_400000_NS6detail17trampoline_kernelINS0_14default_configENS1_20scan_config_selectorIxEEZZNS1_9scan_implILNS1_25lookback_scan_determinismE0ELb0ELb1ES3_N6thrust23THRUST_200600_302600_NS6detail15normal_iteratorINS9_10device_ptrIxEEEESE_xNS9_10multipliesIxEExEEDaPvRmT3_T4_T5_mT6_P12ihipStream_tbENKUlT_T0_E_clISt17integral_constantIbLb0EEST_IbLb1EEEEDaSP_SQ_EUlSP_E_NS1_11comp_targetILNS1_3genE3ELNS1_11target_archE908ELNS1_3gpuE7ELNS1_3repE0EEENS1_30default_config_static_selectorELNS0_4arch9wavefront6targetE1EEEvT1_
		.amdhsa_group_segment_fixed_size 0
		.amdhsa_private_segment_fixed_size 0
		.amdhsa_kernarg_size 104
		.amdhsa_user_sgpr_count 6
		.amdhsa_user_sgpr_private_segment_buffer 1
		.amdhsa_user_sgpr_dispatch_ptr 0
		.amdhsa_user_sgpr_queue_ptr 0
		.amdhsa_user_sgpr_kernarg_segment_ptr 1
		.amdhsa_user_sgpr_dispatch_id 0
		.amdhsa_user_sgpr_flat_scratch_init 0
		.amdhsa_user_sgpr_kernarg_preload_length 0
		.amdhsa_user_sgpr_kernarg_preload_offset 0
		.amdhsa_user_sgpr_private_segment_size 0
		.amdhsa_uses_dynamic_stack 0
		.amdhsa_system_sgpr_private_segment_wavefront_offset 0
		.amdhsa_system_sgpr_workgroup_id_x 1
		.amdhsa_system_sgpr_workgroup_id_y 0
		.amdhsa_system_sgpr_workgroup_id_z 0
		.amdhsa_system_sgpr_workgroup_info 0
		.amdhsa_system_vgpr_workitem_id 0
		.amdhsa_next_free_vgpr 1
		.amdhsa_next_free_sgpr 0
		.amdhsa_accum_offset 4
		.amdhsa_reserve_vcc 0
		.amdhsa_reserve_flat_scratch 0
		.amdhsa_float_round_mode_32 0
		.amdhsa_float_round_mode_16_64 0
		.amdhsa_float_denorm_mode_32 3
		.amdhsa_float_denorm_mode_16_64 3
		.amdhsa_dx10_clamp 1
		.amdhsa_ieee_mode 1
		.amdhsa_fp16_overflow 0
		.amdhsa_tg_split 0
		.amdhsa_exception_fp_ieee_invalid_op 0
		.amdhsa_exception_fp_denorm_src 0
		.amdhsa_exception_fp_ieee_div_zero 0
		.amdhsa_exception_fp_ieee_overflow 0
		.amdhsa_exception_fp_ieee_underflow 0
		.amdhsa_exception_fp_ieee_inexact 0
		.amdhsa_exception_int_div_zero 0
	.end_amdhsa_kernel
	.section	.text._ZN7rocprim17ROCPRIM_400000_NS6detail17trampoline_kernelINS0_14default_configENS1_20scan_config_selectorIxEEZZNS1_9scan_implILNS1_25lookback_scan_determinismE0ELb0ELb1ES3_N6thrust23THRUST_200600_302600_NS6detail15normal_iteratorINS9_10device_ptrIxEEEESE_xNS9_10multipliesIxEExEEDaPvRmT3_T4_T5_mT6_P12ihipStream_tbENKUlT_T0_E_clISt17integral_constantIbLb0EEST_IbLb1EEEEDaSP_SQ_EUlSP_E_NS1_11comp_targetILNS1_3genE3ELNS1_11target_archE908ELNS1_3gpuE7ELNS1_3repE0EEENS1_30default_config_static_selectorELNS0_4arch9wavefront6targetE1EEEvT1_,"axG",@progbits,_ZN7rocprim17ROCPRIM_400000_NS6detail17trampoline_kernelINS0_14default_configENS1_20scan_config_selectorIxEEZZNS1_9scan_implILNS1_25lookback_scan_determinismE0ELb0ELb1ES3_N6thrust23THRUST_200600_302600_NS6detail15normal_iteratorINS9_10device_ptrIxEEEESE_xNS9_10multipliesIxEExEEDaPvRmT3_T4_T5_mT6_P12ihipStream_tbENKUlT_T0_E_clISt17integral_constantIbLb0EEST_IbLb1EEEEDaSP_SQ_EUlSP_E_NS1_11comp_targetILNS1_3genE3ELNS1_11target_archE908ELNS1_3gpuE7ELNS1_3repE0EEENS1_30default_config_static_selectorELNS0_4arch9wavefront6targetE1EEEvT1_,comdat
.Lfunc_end327:
	.size	_ZN7rocprim17ROCPRIM_400000_NS6detail17trampoline_kernelINS0_14default_configENS1_20scan_config_selectorIxEEZZNS1_9scan_implILNS1_25lookback_scan_determinismE0ELb0ELb1ES3_N6thrust23THRUST_200600_302600_NS6detail15normal_iteratorINS9_10device_ptrIxEEEESE_xNS9_10multipliesIxEExEEDaPvRmT3_T4_T5_mT6_P12ihipStream_tbENKUlT_T0_E_clISt17integral_constantIbLb0EEST_IbLb1EEEEDaSP_SQ_EUlSP_E_NS1_11comp_targetILNS1_3genE3ELNS1_11target_archE908ELNS1_3gpuE7ELNS1_3repE0EEENS1_30default_config_static_selectorELNS0_4arch9wavefront6targetE1EEEvT1_, .Lfunc_end327-_ZN7rocprim17ROCPRIM_400000_NS6detail17trampoline_kernelINS0_14default_configENS1_20scan_config_selectorIxEEZZNS1_9scan_implILNS1_25lookback_scan_determinismE0ELb0ELb1ES3_N6thrust23THRUST_200600_302600_NS6detail15normal_iteratorINS9_10device_ptrIxEEEESE_xNS9_10multipliesIxEExEEDaPvRmT3_T4_T5_mT6_P12ihipStream_tbENKUlT_T0_E_clISt17integral_constantIbLb0EEST_IbLb1EEEEDaSP_SQ_EUlSP_E_NS1_11comp_targetILNS1_3genE3ELNS1_11target_archE908ELNS1_3gpuE7ELNS1_3repE0EEENS1_30default_config_static_selectorELNS0_4arch9wavefront6targetE1EEEvT1_
                                        ; -- End function
	.section	.AMDGPU.csdata,"",@progbits
; Kernel info:
; codeLenInByte = 0
; NumSgprs: 4
; NumVgprs: 0
; NumAgprs: 0
; TotalNumVgprs: 0
; ScratchSize: 0
; MemoryBound: 0
; FloatMode: 240
; IeeeMode: 1
; LDSByteSize: 0 bytes/workgroup (compile time only)
; SGPRBlocks: 0
; VGPRBlocks: 0
; NumSGPRsForWavesPerEU: 4
; NumVGPRsForWavesPerEU: 1
; AccumOffset: 4
; Occupancy: 8
; WaveLimiterHint : 0
; COMPUTE_PGM_RSRC2:SCRATCH_EN: 0
; COMPUTE_PGM_RSRC2:USER_SGPR: 6
; COMPUTE_PGM_RSRC2:TRAP_HANDLER: 0
; COMPUTE_PGM_RSRC2:TGID_X_EN: 1
; COMPUTE_PGM_RSRC2:TGID_Y_EN: 0
; COMPUTE_PGM_RSRC2:TGID_Z_EN: 0
; COMPUTE_PGM_RSRC2:TIDIG_COMP_CNT: 0
; COMPUTE_PGM_RSRC3_GFX90A:ACCUM_OFFSET: 0
; COMPUTE_PGM_RSRC3_GFX90A:TG_SPLIT: 0
	.section	.text._ZN7rocprim17ROCPRIM_400000_NS6detail17trampoline_kernelINS0_14default_configENS1_20scan_config_selectorIxEEZZNS1_9scan_implILNS1_25lookback_scan_determinismE0ELb0ELb1ES3_N6thrust23THRUST_200600_302600_NS6detail15normal_iteratorINS9_10device_ptrIxEEEESE_xNS9_10multipliesIxEExEEDaPvRmT3_T4_T5_mT6_P12ihipStream_tbENKUlT_T0_E_clISt17integral_constantIbLb0EEST_IbLb1EEEEDaSP_SQ_EUlSP_E_NS1_11comp_targetILNS1_3genE2ELNS1_11target_archE906ELNS1_3gpuE6ELNS1_3repE0EEENS1_30default_config_static_selectorELNS0_4arch9wavefront6targetE1EEEvT1_,"axG",@progbits,_ZN7rocprim17ROCPRIM_400000_NS6detail17trampoline_kernelINS0_14default_configENS1_20scan_config_selectorIxEEZZNS1_9scan_implILNS1_25lookback_scan_determinismE0ELb0ELb1ES3_N6thrust23THRUST_200600_302600_NS6detail15normal_iteratorINS9_10device_ptrIxEEEESE_xNS9_10multipliesIxEExEEDaPvRmT3_T4_T5_mT6_P12ihipStream_tbENKUlT_T0_E_clISt17integral_constantIbLb0EEST_IbLb1EEEEDaSP_SQ_EUlSP_E_NS1_11comp_targetILNS1_3genE2ELNS1_11target_archE906ELNS1_3gpuE6ELNS1_3repE0EEENS1_30default_config_static_selectorELNS0_4arch9wavefront6targetE1EEEvT1_,comdat
	.protected	_ZN7rocprim17ROCPRIM_400000_NS6detail17trampoline_kernelINS0_14default_configENS1_20scan_config_selectorIxEEZZNS1_9scan_implILNS1_25lookback_scan_determinismE0ELb0ELb1ES3_N6thrust23THRUST_200600_302600_NS6detail15normal_iteratorINS9_10device_ptrIxEEEESE_xNS9_10multipliesIxEExEEDaPvRmT3_T4_T5_mT6_P12ihipStream_tbENKUlT_T0_E_clISt17integral_constantIbLb0EEST_IbLb1EEEEDaSP_SQ_EUlSP_E_NS1_11comp_targetILNS1_3genE2ELNS1_11target_archE906ELNS1_3gpuE6ELNS1_3repE0EEENS1_30default_config_static_selectorELNS0_4arch9wavefront6targetE1EEEvT1_ ; -- Begin function _ZN7rocprim17ROCPRIM_400000_NS6detail17trampoline_kernelINS0_14default_configENS1_20scan_config_selectorIxEEZZNS1_9scan_implILNS1_25lookback_scan_determinismE0ELb0ELb1ES3_N6thrust23THRUST_200600_302600_NS6detail15normal_iteratorINS9_10device_ptrIxEEEESE_xNS9_10multipliesIxEExEEDaPvRmT3_T4_T5_mT6_P12ihipStream_tbENKUlT_T0_E_clISt17integral_constantIbLb0EEST_IbLb1EEEEDaSP_SQ_EUlSP_E_NS1_11comp_targetILNS1_3genE2ELNS1_11target_archE906ELNS1_3gpuE6ELNS1_3repE0EEENS1_30default_config_static_selectorELNS0_4arch9wavefront6targetE1EEEvT1_
	.globl	_ZN7rocprim17ROCPRIM_400000_NS6detail17trampoline_kernelINS0_14default_configENS1_20scan_config_selectorIxEEZZNS1_9scan_implILNS1_25lookback_scan_determinismE0ELb0ELb1ES3_N6thrust23THRUST_200600_302600_NS6detail15normal_iteratorINS9_10device_ptrIxEEEESE_xNS9_10multipliesIxEExEEDaPvRmT3_T4_T5_mT6_P12ihipStream_tbENKUlT_T0_E_clISt17integral_constantIbLb0EEST_IbLb1EEEEDaSP_SQ_EUlSP_E_NS1_11comp_targetILNS1_3genE2ELNS1_11target_archE906ELNS1_3gpuE6ELNS1_3repE0EEENS1_30default_config_static_selectorELNS0_4arch9wavefront6targetE1EEEvT1_
	.p2align	8
	.type	_ZN7rocprim17ROCPRIM_400000_NS6detail17trampoline_kernelINS0_14default_configENS1_20scan_config_selectorIxEEZZNS1_9scan_implILNS1_25lookback_scan_determinismE0ELb0ELb1ES3_N6thrust23THRUST_200600_302600_NS6detail15normal_iteratorINS9_10device_ptrIxEEEESE_xNS9_10multipliesIxEExEEDaPvRmT3_T4_T5_mT6_P12ihipStream_tbENKUlT_T0_E_clISt17integral_constantIbLb0EEST_IbLb1EEEEDaSP_SQ_EUlSP_E_NS1_11comp_targetILNS1_3genE2ELNS1_11target_archE906ELNS1_3gpuE6ELNS1_3repE0EEENS1_30default_config_static_selectorELNS0_4arch9wavefront6targetE1EEEvT1_,@function
_ZN7rocprim17ROCPRIM_400000_NS6detail17trampoline_kernelINS0_14default_configENS1_20scan_config_selectorIxEEZZNS1_9scan_implILNS1_25lookback_scan_determinismE0ELb0ELb1ES3_N6thrust23THRUST_200600_302600_NS6detail15normal_iteratorINS9_10device_ptrIxEEEESE_xNS9_10multipliesIxEExEEDaPvRmT3_T4_T5_mT6_P12ihipStream_tbENKUlT_T0_E_clISt17integral_constantIbLb0EEST_IbLb1EEEEDaSP_SQ_EUlSP_E_NS1_11comp_targetILNS1_3genE2ELNS1_11target_archE906ELNS1_3gpuE6ELNS1_3repE0EEENS1_30default_config_static_selectorELNS0_4arch9wavefront6targetE1EEEvT1_: ; @_ZN7rocprim17ROCPRIM_400000_NS6detail17trampoline_kernelINS0_14default_configENS1_20scan_config_selectorIxEEZZNS1_9scan_implILNS1_25lookback_scan_determinismE0ELb0ELb1ES3_N6thrust23THRUST_200600_302600_NS6detail15normal_iteratorINS9_10device_ptrIxEEEESE_xNS9_10multipliesIxEExEEDaPvRmT3_T4_T5_mT6_P12ihipStream_tbENKUlT_T0_E_clISt17integral_constantIbLb0EEST_IbLb1EEEEDaSP_SQ_EUlSP_E_NS1_11comp_targetILNS1_3genE2ELNS1_11target_archE906ELNS1_3gpuE6ELNS1_3repE0EEENS1_30default_config_static_selectorELNS0_4arch9wavefront6targetE1EEEvT1_
; %bb.0:
	.section	.rodata,"a",@progbits
	.p2align	6, 0x0
	.amdhsa_kernel _ZN7rocprim17ROCPRIM_400000_NS6detail17trampoline_kernelINS0_14default_configENS1_20scan_config_selectorIxEEZZNS1_9scan_implILNS1_25lookback_scan_determinismE0ELb0ELb1ES3_N6thrust23THRUST_200600_302600_NS6detail15normal_iteratorINS9_10device_ptrIxEEEESE_xNS9_10multipliesIxEExEEDaPvRmT3_T4_T5_mT6_P12ihipStream_tbENKUlT_T0_E_clISt17integral_constantIbLb0EEST_IbLb1EEEEDaSP_SQ_EUlSP_E_NS1_11comp_targetILNS1_3genE2ELNS1_11target_archE906ELNS1_3gpuE6ELNS1_3repE0EEENS1_30default_config_static_selectorELNS0_4arch9wavefront6targetE1EEEvT1_
		.amdhsa_group_segment_fixed_size 0
		.amdhsa_private_segment_fixed_size 0
		.amdhsa_kernarg_size 104
		.amdhsa_user_sgpr_count 6
		.amdhsa_user_sgpr_private_segment_buffer 1
		.amdhsa_user_sgpr_dispatch_ptr 0
		.amdhsa_user_sgpr_queue_ptr 0
		.amdhsa_user_sgpr_kernarg_segment_ptr 1
		.amdhsa_user_sgpr_dispatch_id 0
		.amdhsa_user_sgpr_flat_scratch_init 0
		.amdhsa_user_sgpr_kernarg_preload_length 0
		.amdhsa_user_sgpr_kernarg_preload_offset 0
		.amdhsa_user_sgpr_private_segment_size 0
		.amdhsa_uses_dynamic_stack 0
		.amdhsa_system_sgpr_private_segment_wavefront_offset 0
		.amdhsa_system_sgpr_workgroup_id_x 1
		.amdhsa_system_sgpr_workgroup_id_y 0
		.amdhsa_system_sgpr_workgroup_id_z 0
		.amdhsa_system_sgpr_workgroup_info 0
		.amdhsa_system_vgpr_workitem_id 0
		.amdhsa_next_free_vgpr 1
		.amdhsa_next_free_sgpr 0
		.amdhsa_accum_offset 4
		.amdhsa_reserve_vcc 0
		.amdhsa_reserve_flat_scratch 0
		.amdhsa_float_round_mode_32 0
		.amdhsa_float_round_mode_16_64 0
		.amdhsa_float_denorm_mode_32 3
		.amdhsa_float_denorm_mode_16_64 3
		.amdhsa_dx10_clamp 1
		.amdhsa_ieee_mode 1
		.amdhsa_fp16_overflow 0
		.amdhsa_tg_split 0
		.amdhsa_exception_fp_ieee_invalid_op 0
		.amdhsa_exception_fp_denorm_src 0
		.amdhsa_exception_fp_ieee_div_zero 0
		.amdhsa_exception_fp_ieee_overflow 0
		.amdhsa_exception_fp_ieee_underflow 0
		.amdhsa_exception_fp_ieee_inexact 0
		.amdhsa_exception_int_div_zero 0
	.end_amdhsa_kernel
	.section	.text._ZN7rocprim17ROCPRIM_400000_NS6detail17trampoline_kernelINS0_14default_configENS1_20scan_config_selectorIxEEZZNS1_9scan_implILNS1_25lookback_scan_determinismE0ELb0ELb1ES3_N6thrust23THRUST_200600_302600_NS6detail15normal_iteratorINS9_10device_ptrIxEEEESE_xNS9_10multipliesIxEExEEDaPvRmT3_T4_T5_mT6_P12ihipStream_tbENKUlT_T0_E_clISt17integral_constantIbLb0EEST_IbLb1EEEEDaSP_SQ_EUlSP_E_NS1_11comp_targetILNS1_3genE2ELNS1_11target_archE906ELNS1_3gpuE6ELNS1_3repE0EEENS1_30default_config_static_selectorELNS0_4arch9wavefront6targetE1EEEvT1_,"axG",@progbits,_ZN7rocprim17ROCPRIM_400000_NS6detail17trampoline_kernelINS0_14default_configENS1_20scan_config_selectorIxEEZZNS1_9scan_implILNS1_25lookback_scan_determinismE0ELb0ELb1ES3_N6thrust23THRUST_200600_302600_NS6detail15normal_iteratorINS9_10device_ptrIxEEEESE_xNS9_10multipliesIxEExEEDaPvRmT3_T4_T5_mT6_P12ihipStream_tbENKUlT_T0_E_clISt17integral_constantIbLb0EEST_IbLb1EEEEDaSP_SQ_EUlSP_E_NS1_11comp_targetILNS1_3genE2ELNS1_11target_archE906ELNS1_3gpuE6ELNS1_3repE0EEENS1_30default_config_static_selectorELNS0_4arch9wavefront6targetE1EEEvT1_,comdat
.Lfunc_end328:
	.size	_ZN7rocprim17ROCPRIM_400000_NS6detail17trampoline_kernelINS0_14default_configENS1_20scan_config_selectorIxEEZZNS1_9scan_implILNS1_25lookback_scan_determinismE0ELb0ELb1ES3_N6thrust23THRUST_200600_302600_NS6detail15normal_iteratorINS9_10device_ptrIxEEEESE_xNS9_10multipliesIxEExEEDaPvRmT3_T4_T5_mT6_P12ihipStream_tbENKUlT_T0_E_clISt17integral_constantIbLb0EEST_IbLb1EEEEDaSP_SQ_EUlSP_E_NS1_11comp_targetILNS1_3genE2ELNS1_11target_archE906ELNS1_3gpuE6ELNS1_3repE0EEENS1_30default_config_static_selectorELNS0_4arch9wavefront6targetE1EEEvT1_, .Lfunc_end328-_ZN7rocprim17ROCPRIM_400000_NS6detail17trampoline_kernelINS0_14default_configENS1_20scan_config_selectorIxEEZZNS1_9scan_implILNS1_25lookback_scan_determinismE0ELb0ELb1ES3_N6thrust23THRUST_200600_302600_NS6detail15normal_iteratorINS9_10device_ptrIxEEEESE_xNS9_10multipliesIxEExEEDaPvRmT3_T4_T5_mT6_P12ihipStream_tbENKUlT_T0_E_clISt17integral_constantIbLb0EEST_IbLb1EEEEDaSP_SQ_EUlSP_E_NS1_11comp_targetILNS1_3genE2ELNS1_11target_archE906ELNS1_3gpuE6ELNS1_3repE0EEENS1_30default_config_static_selectorELNS0_4arch9wavefront6targetE1EEEvT1_
                                        ; -- End function
	.section	.AMDGPU.csdata,"",@progbits
; Kernel info:
; codeLenInByte = 0
; NumSgprs: 4
; NumVgprs: 0
; NumAgprs: 0
; TotalNumVgprs: 0
; ScratchSize: 0
; MemoryBound: 0
; FloatMode: 240
; IeeeMode: 1
; LDSByteSize: 0 bytes/workgroup (compile time only)
; SGPRBlocks: 0
; VGPRBlocks: 0
; NumSGPRsForWavesPerEU: 4
; NumVGPRsForWavesPerEU: 1
; AccumOffset: 4
; Occupancy: 8
; WaveLimiterHint : 0
; COMPUTE_PGM_RSRC2:SCRATCH_EN: 0
; COMPUTE_PGM_RSRC2:USER_SGPR: 6
; COMPUTE_PGM_RSRC2:TRAP_HANDLER: 0
; COMPUTE_PGM_RSRC2:TGID_X_EN: 1
; COMPUTE_PGM_RSRC2:TGID_Y_EN: 0
; COMPUTE_PGM_RSRC2:TGID_Z_EN: 0
; COMPUTE_PGM_RSRC2:TIDIG_COMP_CNT: 0
; COMPUTE_PGM_RSRC3_GFX90A:ACCUM_OFFSET: 0
; COMPUTE_PGM_RSRC3_GFX90A:TG_SPLIT: 0
	.section	.text._ZN7rocprim17ROCPRIM_400000_NS6detail17trampoline_kernelINS0_14default_configENS1_20scan_config_selectorIxEEZZNS1_9scan_implILNS1_25lookback_scan_determinismE0ELb0ELb1ES3_N6thrust23THRUST_200600_302600_NS6detail15normal_iteratorINS9_10device_ptrIxEEEESE_xNS9_10multipliesIxEExEEDaPvRmT3_T4_T5_mT6_P12ihipStream_tbENKUlT_T0_E_clISt17integral_constantIbLb0EEST_IbLb1EEEEDaSP_SQ_EUlSP_E_NS1_11comp_targetILNS1_3genE10ELNS1_11target_archE1201ELNS1_3gpuE5ELNS1_3repE0EEENS1_30default_config_static_selectorELNS0_4arch9wavefront6targetE1EEEvT1_,"axG",@progbits,_ZN7rocprim17ROCPRIM_400000_NS6detail17trampoline_kernelINS0_14default_configENS1_20scan_config_selectorIxEEZZNS1_9scan_implILNS1_25lookback_scan_determinismE0ELb0ELb1ES3_N6thrust23THRUST_200600_302600_NS6detail15normal_iteratorINS9_10device_ptrIxEEEESE_xNS9_10multipliesIxEExEEDaPvRmT3_T4_T5_mT6_P12ihipStream_tbENKUlT_T0_E_clISt17integral_constantIbLb0EEST_IbLb1EEEEDaSP_SQ_EUlSP_E_NS1_11comp_targetILNS1_3genE10ELNS1_11target_archE1201ELNS1_3gpuE5ELNS1_3repE0EEENS1_30default_config_static_selectorELNS0_4arch9wavefront6targetE1EEEvT1_,comdat
	.protected	_ZN7rocprim17ROCPRIM_400000_NS6detail17trampoline_kernelINS0_14default_configENS1_20scan_config_selectorIxEEZZNS1_9scan_implILNS1_25lookback_scan_determinismE0ELb0ELb1ES3_N6thrust23THRUST_200600_302600_NS6detail15normal_iteratorINS9_10device_ptrIxEEEESE_xNS9_10multipliesIxEExEEDaPvRmT3_T4_T5_mT6_P12ihipStream_tbENKUlT_T0_E_clISt17integral_constantIbLb0EEST_IbLb1EEEEDaSP_SQ_EUlSP_E_NS1_11comp_targetILNS1_3genE10ELNS1_11target_archE1201ELNS1_3gpuE5ELNS1_3repE0EEENS1_30default_config_static_selectorELNS0_4arch9wavefront6targetE1EEEvT1_ ; -- Begin function _ZN7rocprim17ROCPRIM_400000_NS6detail17trampoline_kernelINS0_14default_configENS1_20scan_config_selectorIxEEZZNS1_9scan_implILNS1_25lookback_scan_determinismE0ELb0ELb1ES3_N6thrust23THRUST_200600_302600_NS6detail15normal_iteratorINS9_10device_ptrIxEEEESE_xNS9_10multipliesIxEExEEDaPvRmT3_T4_T5_mT6_P12ihipStream_tbENKUlT_T0_E_clISt17integral_constantIbLb0EEST_IbLb1EEEEDaSP_SQ_EUlSP_E_NS1_11comp_targetILNS1_3genE10ELNS1_11target_archE1201ELNS1_3gpuE5ELNS1_3repE0EEENS1_30default_config_static_selectorELNS0_4arch9wavefront6targetE1EEEvT1_
	.globl	_ZN7rocprim17ROCPRIM_400000_NS6detail17trampoline_kernelINS0_14default_configENS1_20scan_config_selectorIxEEZZNS1_9scan_implILNS1_25lookback_scan_determinismE0ELb0ELb1ES3_N6thrust23THRUST_200600_302600_NS6detail15normal_iteratorINS9_10device_ptrIxEEEESE_xNS9_10multipliesIxEExEEDaPvRmT3_T4_T5_mT6_P12ihipStream_tbENKUlT_T0_E_clISt17integral_constantIbLb0EEST_IbLb1EEEEDaSP_SQ_EUlSP_E_NS1_11comp_targetILNS1_3genE10ELNS1_11target_archE1201ELNS1_3gpuE5ELNS1_3repE0EEENS1_30default_config_static_selectorELNS0_4arch9wavefront6targetE1EEEvT1_
	.p2align	8
	.type	_ZN7rocprim17ROCPRIM_400000_NS6detail17trampoline_kernelINS0_14default_configENS1_20scan_config_selectorIxEEZZNS1_9scan_implILNS1_25lookback_scan_determinismE0ELb0ELb1ES3_N6thrust23THRUST_200600_302600_NS6detail15normal_iteratorINS9_10device_ptrIxEEEESE_xNS9_10multipliesIxEExEEDaPvRmT3_T4_T5_mT6_P12ihipStream_tbENKUlT_T0_E_clISt17integral_constantIbLb0EEST_IbLb1EEEEDaSP_SQ_EUlSP_E_NS1_11comp_targetILNS1_3genE10ELNS1_11target_archE1201ELNS1_3gpuE5ELNS1_3repE0EEENS1_30default_config_static_selectorELNS0_4arch9wavefront6targetE1EEEvT1_,@function
_ZN7rocprim17ROCPRIM_400000_NS6detail17trampoline_kernelINS0_14default_configENS1_20scan_config_selectorIxEEZZNS1_9scan_implILNS1_25lookback_scan_determinismE0ELb0ELb1ES3_N6thrust23THRUST_200600_302600_NS6detail15normal_iteratorINS9_10device_ptrIxEEEESE_xNS9_10multipliesIxEExEEDaPvRmT3_T4_T5_mT6_P12ihipStream_tbENKUlT_T0_E_clISt17integral_constantIbLb0EEST_IbLb1EEEEDaSP_SQ_EUlSP_E_NS1_11comp_targetILNS1_3genE10ELNS1_11target_archE1201ELNS1_3gpuE5ELNS1_3repE0EEENS1_30default_config_static_selectorELNS0_4arch9wavefront6targetE1EEEvT1_: ; @_ZN7rocprim17ROCPRIM_400000_NS6detail17trampoline_kernelINS0_14default_configENS1_20scan_config_selectorIxEEZZNS1_9scan_implILNS1_25lookback_scan_determinismE0ELb0ELb1ES3_N6thrust23THRUST_200600_302600_NS6detail15normal_iteratorINS9_10device_ptrIxEEEESE_xNS9_10multipliesIxEExEEDaPvRmT3_T4_T5_mT6_P12ihipStream_tbENKUlT_T0_E_clISt17integral_constantIbLb0EEST_IbLb1EEEEDaSP_SQ_EUlSP_E_NS1_11comp_targetILNS1_3genE10ELNS1_11target_archE1201ELNS1_3gpuE5ELNS1_3repE0EEENS1_30default_config_static_selectorELNS0_4arch9wavefront6targetE1EEEvT1_
; %bb.0:
	.section	.rodata,"a",@progbits
	.p2align	6, 0x0
	.amdhsa_kernel _ZN7rocprim17ROCPRIM_400000_NS6detail17trampoline_kernelINS0_14default_configENS1_20scan_config_selectorIxEEZZNS1_9scan_implILNS1_25lookback_scan_determinismE0ELb0ELb1ES3_N6thrust23THRUST_200600_302600_NS6detail15normal_iteratorINS9_10device_ptrIxEEEESE_xNS9_10multipliesIxEExEEDaPvRmT3_T4_T5_mT6_P12ihipStream_tbENKUlT_T0_E_clISt17integral_constantIbLb0EEST_IbLb1EEEEDaSP_SQ_EUlSP_E_NS1_11comp_targetILNS1_3genE10ELNS1_11target_archE1201ELNS1_3gpuE5ELNS1_3repE0EEENS1_30default_config_static_selectorELNS0_4arch9wavefront6targetE1EEEvT1_
		.amdhsa_group_segment_fixed_size 0
		.amdhsa_private_segment_fixed_size 0
		.amdhsa_kernarg_size 104
		.amdhsa_user_sgpr_count 6
		.amdhsa_user_sgpr_private_segment_buffer 1
		.amdhsa_user_sgpr_dispatch_ptr 0
		.amdhsa_user_sgpr_queue_ptr 0
		.amdhsa_user_sgpr_kernarg_segment_ptr 1
		.amdhsa_user_sgpr_dispatch_id 0
		.amdhsa_user_sgpr_flat_scratch_init 0
		.amdhsa_user_sgpr_kernarg_preload_length 0
		.amdhsa_user_sgpr_kernarg_preload_offset 0
		.amdhsa_user_sgpr_private_segment_size 0
		.amdhsa_uses_dynamic_stack 0
		.amdhsa_system_sgpr_private_segment_wavefront_offset 0
		.amdhsa_system_sgpr_workgroup_id_x 1
		.amdhsa_system_sgpr_workgroup_id_y 0
		.amdhsa_system_sgpr_workgroup_id_z 0
		.amdhsa_system_sgpr_workgroup_info 0
		.amdhsa_system_vgpr_workitem_id 0
		.amdhsa_next_free_vgpr 1
		.amdhsa_next_free_sgpr 0
		.amdhsa_accum_offset 4
		.amdhsa_reserve_vcc 0
		.amdhsa_reserve_flat_scratch 0
		.amdhsa_float_round_mode_32 0
		.amdhsa_float_round_mode_16_64 0
		.amdhsa_float_denorm_mode_32 3
		.amdhsa_float_denorm_mode_16_64 3
		.amdhsa_dx10_clamp 1
		.amdhsa_ieee_mode 1
		.amdhsa_fp16_overflow 0
		.amdhsa_tg_split 0
		.amdhsa_exception_fp_ieee_invalid_op 0
		.amdhsa_exception_fp_denorm_src 0
		.amdhsa_exception_fp_ieee_div_zero 0
		.amdhsa_exception_fp_ieee_overflow 0
		.amdhsa_exception_fp_ieee_underflow 0
		.amdhsa_exception_fp_ieee_inexact 0
		.amdhsa_exception_int_div_zero 0
	.end_amdhsa_kernel
	.section	.text._ZN7rocprim17ROCPRIM_400000_NS6detail17trampoline_kernelINS0_14default_configENS1_20scan_config_selectorIxEEZZNS1_9scan_implILNS1_25lookback_scan_determinismE0ELb0ELb1ES3_N6thrust23THRUST_200600_302600_NS6detail15normal_iteratorINS9_10device_ptrIxEEEESE_xNS9_10multipliesIxEExEEDaPvRmT3_T4_T5_mT6_P12ihipStream_tbENKUlT_T0_E_clISt17integral_constantIbLb0EEST_IbLb1EEEEDaSP_SQ_EUlSP_E_NS1_11comp_targetILNS1_3genE10ELNS1_11target_archE1201ELNS1_3gpuE5ELNS1_3repE0EEENS1_30default_config_static_selectorELNS0_4arch9wavefront6targetE1EEEvT1_,"axG",@progbits,_ZN7rocprim17ROCPRIM_400000_NS6detail17trampoline_kernelINS0_14default_configENS1_20scan_config_selectorIxEEZZNS1_9scan_implILNS1_25lookback_scan_determinismE0ELb0ELb1ES3_N6thrust23THRUST_200600_302600_NS6detail15normal_iteratorINS9_10device_ptrIxEEEESE_xNS9_10multipliesIxEExEEDaPvRmT3_T4_T5_mT6_P12ihipStream_tbENKUlT_T0_E_clISt17integral_constantIbLb0EEST_IbLb1EEEEDaSP_SQ_EUlSP_E_NS1_11comp_targetILNS1_3genE10ELNS1_11target_archE1201ELNS1_3gpuE5ELNS1_3repE0EEENS1_30default_config_static_selectorELNS0_4arch9wavefront6targetE1EEEvT1_,comdat
.Lfunc_end329:
	.size	_ZN7rocprim17ROCPRIM_400000_NS6detail17trampoline_kernelINS0_14default_configENS1_20scan_config_selectorIxEEZZNS1_9scan_implILNS1_25lookback_scan_determinismE0ELb0ELb1ES3_N6thrust23THRUST_200600_302600_NS6detail15normal_iteratorINS9_10device_ptrIxEEEESE_xNS9_10multipliesIxEExEEDaPvRmT3_T4_T5_mT6_P12ihipStream_tbENKUlT_T0_E_clISt17integral_constantIbLb0EEST_IbLb1EEEEDaSP_SQ_EUlSP_E_NS1_11comp_targetILNS1_3genE10ELNS1_11target_archE1201ELNS1_3gpuE5ELNS1_3repE0EEENS1_30default_config_static_selectorELNS0_4arch9wavefront6targetE1EEEvT1_, .Lfunc_end329-_ZN7rocprim17ROCPRIM_400000_NS6detail17trampoline_kernelINS0_14default_configENS1_20scan_config_selectorIxEEZZNS1_9scan_implILNS1_25lookback_scan_determinismE0ELb0ELb1ES3_N6thrust23THRUST_200600_302600_NS6detail15normal_iteratorINS9_10device_ptrIxEEEESE_xNS9_10multipliesIxEExEEDaPvRmT3_T4_T5_mT6_P12ihipStream_tbENKUlT_T0_E_clISt17integral_constantIbLb0EEST_IbLb1EEEEDaSP_SQ_EUlSP_E_NS1_11comp_targetILNS1_3genE10ELNS1_11target_archE1201ELNS1_3gpuE5ELNS1_3repE0EEENS1_30default_config_static_selectorELNS0_4arch9wavefront6targetE1EEEvT1_
                                        ; -- End function
	.section	.AMDGPU.csdata,"",@progbits
; Kernel info:
; codeLenInByte = 0
; NumSgprs: 4
; NumVgprs: 0
; NumAgprs: 0
; TotalNumVgprs: 0
; ScratchSize: 0
; MemoryBound: 0
; FloatMode: 240
; IeeeMode: 1
; LDSByteSize: 0 bytes/workgroup (compile time only)
; SGPRBlocks: 0
; VGPRBlocks: 0
; NumSGPRsForWavesPerEU: 4
; NumVGPRsForWavesPerEU: 1
; AccumOffset: 4
; Occupancy: 8
; WaveLimiterHint : 0
; COMPUTE_PGM_RSRC2:SCRATCH_EN: 0
; COMPUTE_PGM_RSRC2:USER_SGPR: 6
; COMPUTE_PGM_RSRC2:TRAP_HANDLER: 0
; COMPUTE_PGM_RSRC2:TGID_X_EN: 1
; COMPUTE_PGM_RSRC2:TGID_Y_EN: 0
; COMPUTE_PGM_RSRC2:TGID_Z_EN: 0
; COMPUTE_PGM_RSRC2:TIDIG_COMP_CNT: 0
; COMPUTE_PGM_RSRC3_GFX90A:ACCUM_OFFSET: 0
; COMPUTE_PGM_RSRC3_GFX90A:TG_SPLIT: 0
	.section	.text._ZN7rocprim17ROCPRIM_400000_NS6detail17trampoline_kernelINS0_14default_configENS1_20scan_config_selectorIxEEZZNS1_9scan_implILNS1_25lookback_scan_determinismE0ELb0ELb1ES3_N6thrust23THRUST_200600_302600_NS6detail15normal_iteratorINS9_10device_ptrIxEEEESE_xNS9_10multipliesIxEExEEDaPvRmT3_T4_T5_mT6_P12ihipStream_tbENKUlT_T0_E_clISt17integral_constantIbLb0EEST_IbLb1EEEEDaSP_SQ_EUlSP_E_NS1_11comp_targetILNS1_3genE10ELNS1_11target_archE1200ELNS1_3gpuE4ELNS1_3repE0EEENS1_30default_config_static_selectorELNS0_4arch9wavefront6targetE1EEEvT1_,"axG",@progbits,_ZN7rocprim17ROCPRIM_400000_NS6detail17trampoline_kernelINS0_14default_configENS1_20scan_config_selectorIxEEZZNS1_9scan_implILNS1_25lookback_scan_determinismE0ELb0ELb1ES3_N6thrust23THRUST_200600_302600_NS6detail15normal_iteratorINS9_10device_ptrIxEEEESE_xNS9_10multipliesIxEExEEDaPvRmT3_T4_T5_mT6_P12ihipStream_tbENKUlT_T0_E_clISt17integral_constantIbLb0EEST_IbLb1EEEEDaSP_SQ_EUlSP_E_NS1_11comp_targetILNS1_3genE10ELNS1_11target_archE1200ELNS1_3gpuE4ELNS1_3repE0EEENS1_30default_config_static_selectorELNS0_4arch9wavefront6targetE1EEEvT1_,comdat
	.protected	_ZN7rocprim17ROCPRIM_400000_NS6detail17trampoline_kernelINS0_14default_configENS1_20scan_config_selectorIxEEZZNS1_9scan_implILNS1_25lookback_scan_determinismE0ELb0ELb1ES3_N6thrust23THRUST_200600_302600_NS6detail15normal_iteratorINS9_10device_ptrIxEEEESE_xNS9_10multipliesIxEExEEDaPvRmT3_T4_T5_mT6_P12ihipStream_tbENKUlT_T0_E_clISt17integral_constantIbLb0EEST_IbLb1EEEEDaSP_SQ_EUlSP_E_NS1_11comp_targetILNS1_3genE10ELNS1_11target_archE1200ELNS1_3gpuE4ELNS1_3repE0EEENS1_30default_config_static_selectorELNS0_4arch9wavefront6targetE1EEEvT1_ ; -- Begin function _ZN7rocprim17ROCPRIM_400000_NS6detail17trampoline_kernelINS0_14default_configENS1_20scan_config_selectorIxEEZZNS1_9scan_implILNS1_25lookback_scan_determinismE0ELb0ELb1ES3_N6thrust23THRUST_200600_302600_NS6detail15normal_iteratorINS9_10device_ptrIxEEEESE_xNS9_10multipliesIxEExEEDaPvRmT3_T4_T5_mT6_P12ihipStream_tbENKUlT_T0_E_clISt17integral_constantIbLb0EEST_IbLb1EEEEDaSP_SQ_EUlSP_E_NS1_11comp_targetILNS1_3genE10ELNS1_11target_archE1200ELNS1_3gpuE4ELNS1_3repE0EEENS1_30default_config_static_selectorELNS0_4arch9wavefront6targetE1EEEvT1_
	.globl	_ZN7rocprim17ROCPRIM_400000_NS6detail17trampoline_kernelINS0_14default_configENS1_20scan_config_selectorIxEEZZNS1_9scan_implILNS1_25lookback_scan_determinismE0ELb0ELb1ES3_N6thrust23THRUST_200600_302600_NS6detail15normal_iteratorINS9_10device_ptrIxEEEESE_xNS9_10multipliesIxEExEEDaPvRmT3_T4_T5_mT6_P12ihipStream_tbENKUlT_T0_E_clISt17integral_constantIbLb0EEST_IbLb1EEEEDaSP_SQ_EUlSP_E_NS1_11comp_targetILNS1_3genE10ELNS1_11target_archE1200ELNS1_3gpuE4ELNS1_3repE0EEENS1_30default_config_static_selectorELNS0_4arch9wavefront6targetE1EEEvT1_
	.p2align	8
	.type	_ZN7rocprim17ROCPRIM_400000_NS6detail17trampoline_kernelINS0_14default_configENS1_20scan_config_selectorIxEEZZNS1_9scan_implILNS1_25lookback_scan_determinismE0ELb0ELb1ES3_N6thrust23THRUST_200600_302600_NS6detail15normal_iteratorINS9_10device_ptrIxEEEESE_xNS9_10multipliesIxEExEEDaPvRmT3_T4_T5_mT6_P12ihipStream_tbENKUlT_T0_E_clISt17integral_constantIbLb0EEST_IbLb1EEEEDaSP_SQ_EUlSP_E_NS1_11comp_targetILNS1_3genE10ELNS1_11target_archE1200ELNS1_3gpuE4ELNS1_3repE0EEENS1_30default_config_static_selectorELNS0_4arch9wavefront6targetE1EEEvT1_,@function
_ZN7rocprim17ROCPRIM_400000_NS6detail17trampoline_kernelINS0_14default_configENS1_20scan_config_selectorIxEEZZNS1_9scan_implILNS1_25lookback_scan_determinismE0ELb0ELb1ES3_N6thrust23THRUST_200600_302600_NS6detail15normal_iteratorINS9_10device_ptrIxEEEESE_xNS9_10multipliesIxEExEEDaPvRmT3_T4_T5_mT6_P12ihipStream_tbENKUlT_T0_E_clISt17integral_constantIbLb0EEST_IbLb1EEEEDaSP_SQ_EUlSP_E_NS1_11comp_targetILNS1_3genE10ELNS1_11target_archE1200ELNS1_3gpuE4ELNS1_3repE0EEENS1_30default_config_static_selectorELNS0_4arch9wavefront6targetE1EEEvT1_: ; @_ZN7rocprim17ROCPRIM_400000_NS6detail17trampoline_kernelINS0_14default_configENS1_20scan_config_selectorIxEEZZNS1_9scan_implILNS1_25lookback_scan_determinismE0ELb0ELb1ES3_N6thrust23THRUST_200600_302600_NS6detail15normal_iteratorINS9_10device_ptrIxEEEESE_xNS9_10multipliesIxEExEEDaPvRmT3_T4_T5_mT6_P12ihipStream_tbENKUlT_T0_E_clISt17integral_constantIbLb0EEST_IbLb1EEEEDaSP_SQ_EUlSP_E_NS1_11comp_targetILNS1_3genE10ELNS1_11target_archE1200ELNS1_3gpuE4ELNS1_3repE0EEENS1_30default_config_static_selectorELNS0_4arch9wavefront6targetE1EEEvT1_
; %bb.0:
	.section	.rodata,"a",@progbits
	.p2align	6, 0x0
	.amdhsa_kernel _ZN7rocprim17ROCPRIM_400000_NS6detail17trampoline_kernelINS0_14default_configENS1_20scan_config_selectorIxEEZZNS1_9scan_implILNS1_25lookback_scan_determinismE0ELb0ELb1ES3_N6thrust23THRUST_200600_302600_NS6detail15normal_iteratorINS9_10device_ptrIxEEEESE_xNS9_10multipliesIxEExEEDaPvRmT3_T4_T5_mT6_P12ihipStream_tbENKUlT_T0_E_clISt17integral_constantIbLb0EEST_IbLb1EEEEDaSP_SQ_EUlSP_E_NS1_11comp_targetILNS1_3genE10ELNS1_11target_archE1200ELNS1_3gpuE4ELNS1_3repE0EEENS1_30default_config_static_selectorELNS0_4arch9wavefront6targetE1EEEvT1_
		.amdhsa_group_segment_fixed_size 0
		.amdhsa_private_segment_fixed_size 0
		.amdhsa_kernarg_size 104
		.amdhsa_user_sgpr_count 6
		.amdhsa_user_sgpr_private_segment_buffer 1
		.amdhsa_user_sgpr_dispatch_ptr 0
		.amdhsa_user_sgpr_queue_ptr 0
		.amdhsa_user_sgpr_kernarg_segment_ptr 1
		.amdhsa_user_sgpr_dispatch_id 0
		.amdhsa_user_sgpr_flat_scratch_init 0
		.amdhsa_user_sgpr_kernarg_preload_length 0
		.amdhsa_user_sgpr_kernarg_preload_offset 0
		.amdhsa_user_sgpr_private_segment_size 0
		.amdhsa_uses_dynamic_stack 0
		.amdhsa_system_sgpr_private_segment_wavefront_offset 0
		.amdhsa_system_sgpr_workgroup_id_x 1
		.amdhsa_system_sgpr_workgroup_id_y 0
		.amdhsa_system_sgpr_workgroup_id_z 0
		.amdhsa_system_sgpr_workgroup_info 0
		.amdhsa_system_vgpr_workitem_id 0
		.amdhsa_next_free_vgpr 1
		.amdhsa_next_free_sgpr 0
		.amdhsa_accum_offset 4
		.amdhsa_reserve_vcc 0
		.amdhsa_reserve_flat_scratch 0
		.amdhsa_float_round_mode_32 0
		.amdhsa_float_round_mode_16_64 0
		.amdhsa_float_denorm_mode_32 3
		.amdhsa_float_denorm_mode_16_64 3
		.amdhsa_dx10_clamp 1
		.amdhsa_ieee_mode 1
		.amdhsa_fp16_overflow 0
		.amdhsa_tg_split 0
		.amdhsa_exception_fp_ieee_invalid_op 0
		.amdhsa_exception_fp_denorm_src 0
		.amdhsa_exception_fp_ieee_div_zero 0
		.amdhsa_exception_fp_ieee_overflow 0
		.amdhsa_exception_fp_ieee_underflow 0
		.amdhsa_exception_fp_ieee_inexact 0
		.amdhsa_exception_int_div_zero 0
	.end_amdhsa_kernel
	.section	.text._ZN7rocprim17ROCPRIM_400000_NS6detail17trampoline_kernelINS0_14default_configENS1_20scan_config_selectorIxEEZZNS1_9scan_implILNS1_25lookback_scan_determinismE0ELb0ELb1ES3_N6thrust23THRUST_200600_302600_NS6detail15normal_iteratorINS9_10device_ptrIxEEEESE_xNS9_10multipliesIxEExEEDaPvRmT3_T4_T5_mT6_P12ihipStream_tbENKUlT_T0_E_clISt17integral_constantIbLb0EEST_IbLb1EEEEDaSP_SQ_EUlSP_E_NS1_11comp_targetILNS1_3genE10ELNS1_11target_archE1200ELNS1_3gpuE4ELNS1_3repE0EEENS1_30default_config_static_selectorELNS0_4arch9wavefront6targetE1EEEvT1_,"axG",@progbits,_ZN7rocprim17ROCPRIM_400000_NS6detail17trampoline_kernelINS0_14default_configENS1_20scan_config_selectorIxEEZZNS1_9scan_implILNS1_25lookback_scan_determinismE0ELb0ELb1ES3_N6thrust23THRUST_200600_302600_NS6detail15normal_iteratorINS9_10device_ptrIxEEEESE_xNS9_10multipliesIxEExEEDaPvRmT3_T4_T5_mT6_P12ihipStream_tbENKUlT_T0_E_clISt17integral_constantIbLb0EEST_IbLb1EEEEDaSP_SQ_EUlSP_E_NS1_11comp_targetILNS1_3genE10ELNS1_11target_archE1200ELNS1_3gpuE4ELNS1_3repE0EEENS1_30default_config_static_selectorELNS0_4arch9wavefront6targetE1EEEvT1_,comdat
.Lfunc_end330:
	.size	_ZN7rocprim17ROCPRIM_400000_NS6detail17trampoline_kernelINS0_14default_configENS1_20scan_config_selectorIxEEZZNS1_9scan_implILNS1_25lookback_scan_determinismE0ELb0ELb1ES3_N6thrust23THRUST_200600_302600_NS6detail15normal_iteratorINS9_10device_ptrIxEEEESE_xNS9_10multipliesIxEExEEDaPvRmT3_T4_T5_mT6_P12ihipStream_tbENKUlT_T0_E_clISt17integral_constantIbLb0EEST_IbLb1EEEEDaSP_SQ_EUlSP_E_NS1_11comp_targetILNS1_3genE10ELNS1_11target_archE1200ELNS1_3gpuE4ELNS1_3repE0EEENS1_30default_config_static_selectorELNS0_4arch9wavefront6targetE1EEEvT1_, .Lfunc_end330-_ZN7rocprim17ROCPRIM_400000_NS6detail17trampoline_kernelINS0_14default_configENS1_20scan_config_selectorIxEEZZNS1_9scan_implILNS1_25lookback_scan_determinismE0ELb0ELb1ES3_N6thrust23THRUST_200600_302600_NS6detail15normal_iteratorINS9_10device_ptrIxEEEESE_xNS9_10multipliesIxEExEEDaPvRmT3_T4_T5_mT6_P12ihipStream_tbENKUlT_T0_E_clISt17integral_constantIbLb0EEST_IbLb1EEEEDaSP_SQ_EUlSP_E_NS1_11comp_targetILNS1_3genE10ELNS1_11target_archE1200ELNS1_3gpuE4ELNS1_3repE0EEENS1_30default_config_static_selectorELNS0_4arch9wavefront6targetE1EEEvT1_
                                        ; -- End function
	.section	.AMDGPU.csdata,"",@progbits
; Kernel info:
; codeLenInByte = 0
; NumSgprs: 4
; NumVgprs: 0
; NumAgprs: 0
; TotalNumVgprs: 0
; ScratchSize: 0
; MemoryBound: 0
; FloatMode: 240
; IeeeMode: 1
; LDSByteSize: 0 bytes/workgroup (compile time only)
; SGPRBlocks: 0
; VGPRBlocks: 0
; NumSGPRsForWavesPerEU: 4
; NumVGPRsForWavesPerEU: 1
; AccumOffset: 4
; Occupancy: 8
; WaveLimiterHint : 0
; COMPUTE_PGM_RSRC2:SCRATCH_EN: 0
; COMPUTE_PGM_RSRC2:USER_SGPR: 6
; COMPUTE_PGM_RSRC2:TRAP_HANDLER: 0
; COMPUTE_PGM_RSRC2:TGID_X_EN: 1
; COMPUTE_PGM_RSRC2:TGID_Y_EN: 0
; COMPUTE_PGM_RSRC2:TGID_Z_EN: 0
; COMPUTE_PGM_RSRC2:TIDIG_COMP_CNT: 0
; COMPUTE_PGM_RSRC3_GFX90A:ACCUM_OFFSET: 0
; COMPUTE_PGM_RSRC3_GFX90A:TG_SPLIT: 0
	.section	.text._ZN7rocprim17ROCPRIM_400000_NS6detail17trampoline_kernelINS0_14default_configENS1_20scan_config_selectorIxEEZZNS1_9scan_implILNS1_25lookback_scan_determinismE0ELb0ELb1ES3_N6thrust23THRUST_200600_302600_NS6detail15normal_iteratorINS9_10device_ptrIxEEEESE_xNS9_10multipliesIxEExEEDaPvRmT3_T4_T5_mT6_P12ihipStream_tbENKUlT_T0_E_clISt17integral_constantIbLb0EEST_IbLb1EEEEDaSP_SQ_EUlSP_E_NS1_11comp_targetILNS1_3genE9ELNS1_11target_archE1100ELNS1_3gpuE3ELNS1_3repE0EEENS1_30default_config_static_selectorELNS0_4arch9wavefront6targetE1EEEvT1_,"axG",@progbits,_ZN7rocprim17ROCPRIM_400000_NS6detail17trampoline_kernelINS0_14default_configENS1_20scan_config_selectorIxEEZZNS1_9scan_implILNS1_25lookback_scan_determinismE0ELb0ELb1ES3_N6thrust23THRUST_200600_302600_NS6detail15normal_iteratorINS9_10device_ptrIxEEEESE_xNS9_10multipliesIxEExEEDaPvRmT3_T4_T5_mT6_P12ihipStream_tbENKUlT_T0_E_clISt17integral_constantIbLb0EEST_IbLb1EEEEDaSP_SQ_EUlSP_E_NS1_11comp_targetILNS1_3genE9ELNS1_11target_archE1100ELNS1_3gpuE3ELNS1_3repE0EEENS1_30default_config_static_selectorELNS0_4arch9wavefront6targetE1EEEvT1_,comdat
	.protected	_ZN7rocprim17ROCPRIM_400000_NS6detail17trampoline_kernelINS0_14default_configENS1_20scan_config_selectorIxEEZZNS1_9scan_implILNS1_25lookback_scan_determinismE0ELb0ELb1ES3_N6thrust23THRUST_200600_302600_NS6detail15normal_iteratorINS9_10device_ptrIxEEEESE_xNS9_10multipliesIxEExEEDaPvRmT3_T4_T5_mT6_P12ihipStream_tbENKUlT_T0_E_clISt17integral_constantIbLb0EEST_IbLb1EEEEDaSP_SQ_EUlSP_E_NS1_11comp_targetILNS1_3genE9ELNS1_11target_archE1100ELNS1_3gpuE3ELNS1_3repE0EEENS1_30default_config_static_selectorELNS0_4arch9wavefront6targetE1EEEvT1_ ; -- Begin function _ZN7rocprim17ROCPRIM_400000_NS6detail17trampoline_kernelINS0_14default_configENS1_20scan_config_selectorIxEEZZNS1_9scan_implILNS1_25lookback_scan_determinismE0ELb0ELb1ES3_N6thrust23THRUST_200600_302600_NS6detail15normal_iteratorINS9_10device_ptrIxEEEESE_xNS9_10multipliesIxEExEEDaPvRmT3_T4_T5_mT6_P12ihipStream_tbENKUlT_T0_E_clISt17integral_constantIbLb0EEST_IbLb1EEEEDaSP_SQ_EUlSP_E_NS1_11comp_targetILNS1_3genE9ELNS1_11target_archE1100ELNS1_3gpuE3ELNS1_3repE0EEENS1_30default_config_static_selectorELNS0_4arch9wavefront6targetE1EEEvT1_
	.globl	_ZN7rocprim17ROCPRIM_400000_NS6detail17trampoline_kernelINS0_14default_configENS1_20scan_config_selectorIxEEZZNS1_9scan_implILNS1_25lookback_scan_determinismE0ELb0ELb1ES3_N6thrust23THRUST_200600_302600_NS6detail15normal_iteratorINS9_10device_ptrIxEEEESE_xNS9_10multipliesIxEExEEDaPvRmT3_T4_T5_mT6_P12ihipStream_tbENKUlT_T0_E_clISt17integral_constantIbLb0EEST_IbLb1EEEEDaSP_SQ_EUlSP_E_NS1_11comp_targetILNS1_3genE9ELNS1_11target_archE1100ELNS1_3gpuE3ELNS1_3repE0EEENS1_30default_config_static_selectorELNS0_4arch9wavefront6targetE1EEEvT1_
	.p2align	8
	.type	_ZN7rocprim17ROCPRIM_400000_NS6detail17trampoline_kernelINS0_14default_configENS1_20scan_config_selectorIxEEZZNS1_9scan_implILNS1_25lookback_scan_determinismE0ELb0ELb1ES3_N6thrust23THRUST_200600_302600_NS6detail15normal_iteratorINS9_10device_ptrIxEEEESE_xNS9_10multipliesIxEExEEDaPvRmT3_T4_T5_mT6_P12ihipStream_tbENKUlT_T0_E_clISt17integral_constantIbLb0EEST_IbLb1EEEEDaSP_SQ_EUlSP_E_NS1_11comp_targetILNS1_3genE9ELNS1_11target_archE1100ELNS1_3gpuE3ELNS1_3repE0EEENS1_30default_config_static_selectorELNS0_4arch9wavefront6targetE1EEEvT1_,@function
_ZN7rocprim17ROCPRIM_400000_NS6detail17trampoline_kernelINS0_14default_configENS1_20scan_config_selectorIxEEZZNS1_9scan_implILNS1_25lookback_scan_determinismE0ELb0ELb1ES3_N6thrust23THRUST_200600_302600_NS6detail15normal_iteratorINS9_10device_ptrIxEEEESE_xNS9_10multipliesIxEExEEDaPvRmT3_T4_T5_mT6_P12ihipStream_tbENKUlT_T0_E_clISt17integral_constantIbLb0EEST_IbLb1EEEEDaSP_SQ_EUlSP_E_NS1_11comp_targetILNS1_3genE9ELNS1_11target_archE1100ELNS1_3gpuE3ELNS1_3repE0EEENS1_30default_config_static_selectorELNS0_4arch9wavefront6targetE1EEEvT1_: ; @_ZN7rocprim17ROCPRIM_400000_NS6detail17trampoline_kernelINS0_14default_configENS1_20scan_config_selectorIxEEZZNS1_9scan_implILNS1_25lookback_scan_determinismE0ELb0ELb1ES3_N6thrust23THRUST_200600_302600_NS6detail15normal_iteratorINS9_10device_ptrIxEEEESE_xNS9_10multipliesIxEExEEDaPvRmT3_T4_T5_mT6_P12ihipStream_tbENKUlT_T0_E_clISt17integral_constantIbLb0EEST_IbLb1EEEEDaSP_SQ_EUlSP_E_NS1_11comp_targetILNS1_3genE9ELNS1_11target_archE1100ELNS1_3gpuE3ELNS1_3repE0EEENS1_30default_config_static_selectorELNS0_4arch9wavefront6targetE1EEEvT1_
; %bb.0:
	.section	.rodata,"a",@progbits
	.p2align	6, 0x0
	.amdhsa_kernel _ZN7rocprim17ROCPRIM_400000_NS6detail17trampoline_kernelINS0_14default_configENS1_20scan_config_selectorIxEEZZNS1_9scan_implILNS1_25lookback_scan_determinismE0ELb0ELb1ES3_N6thrust23THRUST_200600_302600_NS6detail15normal_iteratorINS9_10device_ptrIxEEEESE_xNS9_10multipliesIxEExEEDaPvRmT3_T4_T5_mT6_P12ihipStream_tbENKUlT_T0_E_clISt17integral_constantIbLb0EEST_IbLb1EEEEDaSP_SQ_EUlSP_E_NS1_11comp_targetILNS1_3genE9ELNS1_11target_archE1100ELNS1_3gpuE3ELNS1_3repE0EEENS1_30default_config_static_selectorELNS0_4arch9wavefront6targetE1EEEvT1_
		.amdhsa_group_segment_fixed_size 0
		.amdhsa_private_segment_fixed_size 0
		.amdhsa_kernarg_size 104
		.amdhsa_user_sgpr_count 6
		.amdhsa_user_sgpr_private_segment_buffer 1
		.amdhsa_user_sgpr_dispatch_ptr 0
		.amdhsa_user_sgpr_queue_ptr 0
		.amdhsa_user_sgpr_kernarg_segment_ptr 1
		.amdhsa_user_sgpr_dispatch_id 0
		.amdhsa_user_sgpr_flat_scratch_init 0
		.amdhsa_user_sgpr_kernarg_preload_length 0
		.amdhsa_user_sgpr_kernarg_preload_offset 0
		.amdhsa_user_sgpr_private_segment_size 0
		.amdhsa_uses_dynamic_stack 0
		.amdhsa_system_sgpr_private_segment_wavefront_offset 0
		.amdhsa_system_sgpr_workgroup_id_x 1
		.amdhsa_system_sgpr_workgroup_id_y 0
		.amdhsa_system_sgpr_workgroup_id_z 0
		.amdhsa_system_sgpr_workgroup_info 0
		.amdhsa_system_vgpr_workitem_id 0
		.amdhsa_next_free_vgpr 1
		.amdhsa_next_free_sgpr 0
		.amdhsa_accum_offset 4
		.amdhsa_reserve_vcc 0
		.amdhsa_reserve_flat_scratch 0
		.amdhsa_float_round_mode_32 0
		.amdhsa_float_round_mode_16_64 0
		.amdhsa_float_denorm_mode_32 3
		.amdhsa_float_denorm_mode_16_64 3
		.amdhsa_dx10_clamp 1
		.amdhsa_ieee_mode 1
		.amdhsa_fp16_overflow 0
		.amdhsa_tg_split 0
		.amdhsa_exception_fp_ieee_invalid_op 0
		.amdhsa_exception_fp_denorm_src 0
		.amdhsa_exception_fp_ieee_div_zero 0
		.amdhsa_exception_fp_ieee_overflow 0
		.amdhsa_exception_fp_ieee_underflow 0
		.amdhsa_exception_fp_ieee_inexact 0
		.amdhsa_exception_int_div_zero 0
	.end_amdhsa_kernel
	.section	.text._ZN7rocprim17ROCPRIM_400000_NS6detail17trampoline_kernelINS0_14default_configENS1_20scan_config_selectorIxEEZZNS1_9scan_implILNS1_25lookback_scan_determinismE0ELb0ELb1ES3_N6thrust23THRUST_200600_302600_NS6detail15normal_iteratorINS9_10device_ptrIxEEEESE_xNS9_10multipliesIxEExEEDaPvRmT3_T4_T5_mT6_P12ihipStream_tbENKUlT_T0_E_clISt17integral_constantIbLb0EEST_IbLb1EEEEDaSP_SQ_EUlSP_E_NS1_11comp_targetILNS1_3genE9ELNS1_11target_archE1100ELNS1_3gpuE3ELNS1_3repE0EEENS1_30default_config_static_selectorELNS0_4arch9wavefront6targetE1EEEvT1_,"axG",@progbits,_ZN7rocprim17ROCPRIM_400000_NS6detail17trampoline_kernelINS0_14default_configENS1_20scan_config_selectorIxEEZZNS1_9scan_implILNS1_25lookback_scan_determinismE0ELb0ELb1ES3_N6thrust23THRUST_200600_302600_NS6detail15normal_iteratorINS9_10device_ptrIxEEEESE_xNS9_10multipliesIxEExEEDaPvRmT3_T4_T5_mT6_P12ihipStream_tbENKUlT_T0_E_clISt17integral_constantIbLb0EEST_IbLb1EEEEDaSP_SQ_EUlSP_E_NS1_11comp_targetILNS1_3genE9ELNS1_11target_archE1100ELNS1_3gpuE3ELNS1_3repE0EEENS1_30default_config_static_selectorELNS0_4arch9wavefront6targetE1EEEvT1_,comdat
.Lfunc_end331:
	.size	_ZN7rocprim17ROCPRIM_400000_NS6detail17trampoline_kernelINS0_14default_configENS1_20scan_config_selectorIxEEZZNS1_9scan_implILNS1_25lookback_scan_determinismE0ELb0ELb1ES3_N6thrust23THRUST_200600_302600_NS6detail15normal_iteratorINS9_10device_ptrIxEEEESE_xNS9_10multipliesIxEExEEDaPvRmT3_T4_T5_mT6_P12ihipStream_tbENKUlT_T0_E_clISt17integral_constantIbLb0EEST_IbLb1EEEEDaSP_SQ_EUlSP_E_NS1_11comp_targetILNS1_3genE9ELNS1_11target_archE1100ELNS1_3gpuE3ELNS1_3repE0EEENS1_30default_config_static_selectorELNS0_4arch9wavefront6targetE1EEEvT1_, .Lfunc_end331-_ZN7rocprim17ROCPRIM_400000_NS6detail17trampoline_kernelINS0_14default_configENS1_20scan_config_selectorIxEEZZNS1_9scan_implILNS1_25lookback_scan_determinismE0ELb0ELb1ES3_N6thrust23THRUST_200600_302600_NS6detail15normal_iteratorINS9_10device_ptrIxEEEESE_xNS9_10multipliesIxEExEEDaPvRmT3_T4_T5_mT6_P12ihipStream_tbENKUlT_T0_E_clISt17integral_constantIbLb0EEST_IbLb1EEEEDaSP_SQ_EUlSP_E_NS1_11comp_targetILNS1_3genE9ELNS1_11target_archE1100ELNS1_3gpuE3ELNS1_3repE0EEENS1_30default_config_static_selectorELNS0_4arch9wavefront6targetE1EEEvT1_
                                        ; -- End function
	.section	.AMDGPU.csdata,"",@progbits
; Kernel info:
; codeLenInByte = 0
; NumSgprs: 4
; NumVgprs: 0
; NumAgprs: 0
; TotalNumVgprs: 0
; ScratchSize: 0
; MemoryBound: 0
; FloatMode: 240
; IeeeMode: 1
; LDSByteSize: 0 bytes/workgroup (compile time only)
; SGPRBlocks: 0
; VGPRBlocks: 0
; NumSGPRsForWavesPerEU: 4
; NumVGPRsForWavesPerEU: 1
; AccumOffset: 4
; Occupancy: 8
; WaveLimiterHint : 0
; COMPUTE_PGM_RSRC2:SCRATCH_EN: 0
; COMPUTE_PGM_RSRC2:USER_SGPR: 6
; COMPUTE_PGM_RSRC2:TRAP_HANDLER: 0
; COMPUTE_PGM_RSRC2:TGID_X_EN: 1
; COMPUTE_PGM_RSRC2:TGID_Y_EN: 0
; COMPUTE_PGM_RSRC2:TGID_Z_EN: 0
; COMPUTE_PGM_RSRC2:TIDIG_COMP_CNT: 0
; COMPUTE_PGM_RSRC3_GFX90A:ACCUM_OFFSET: 0
; COMPUTE_PGM_RSRC3_GFX90A:TG_SPLIT: 0
	.section	.text._ZN7rocprim17ROCPRIM_400000_NS6detail17trampoline_kernelINS0_14default_configENS1_20scan_config_selectorIxEEZZNS1_9scan_implILNS1_25lookback_scan_determinismE0ELb0ELb1ES3_N6thrust23THRUST_200600_302600_NS6detail15normal_iteratorINS9_10device_ptrIxEEEESE_xNS9_10multipliesIxEExEEDaPvRmT3_T4_T5_mT6_P12ihipStream_tbENKUlT_T0_E_clISt17integral_constantIbLb0EEST_IbLb1EEEEDaSP_SQ_EUlSP_E_NS1_11comp_targetILNS1_3genE8ELNS1_11target_archE1030ELNS1_3gpuE2ELNS1_3repE0EEENS1_30default_config_static_selectorELNS0_4arch9wavefront6targetE1EEEvT1_,"axG",@progbits,_ZN7rocprim17ROCPRIM_400000_NS6detail17trampoline_kernelINS0_14default_configENS1_20scan_config_selectorIxEEZZNS1_9scan_implILNS1_25lookback_scan_determinismE0ELb0ELb1ES3_N6thrust23THRUST_200600_302600_NS6detail15normal_iteratorINS9_10device_ptrIxEEEESE_xNS9_10multipliesIxEExEEDaPvRmT3_T4_T5_mT6_P12ihipStream_tbENKUlT_T0_E_clISt17integral_constantIbLb0EEST_IbLb1EEEEDaSP_SQ_EUlSP_E_NS1_11comp_targetILNS1_3genE8ELNS1_11target_archE1030ELNS1_3gpuE2ELNS1_3repE0EEENS1_30default_config_static_selectorELNS0_4arch9wavefront6targetE1EEEvT1_,comdat
	.protected	_ZN7rocprim17ROCPRIM_400000_NS6detail17trampoline_kernelINS0_14default_configENS1_20scan_config_selectorIxEEZZNS1_9scan_implILNS1_25lookback_scan_determinismE0ELb0ELb1ES3_N6thrust23THRUST_200600_302600_NS6detail15normal_iteratorINS9_10device_ptrIxEEEESE_xNS9_10multipliesIxEExEEDaPvRmT3_T4_T5_mT6_P12ihipStream_tbENKUlT_T0_E_clISt17integral_constantIbLb0EEST_IbLb1EEEEDaSP_SQ_EUlSP_E_NS1_11comp_targetILNS1_3genE8ELNS1_11target_archE1030ELNS1_3gpuE2ELNS1_3repE0EEENS1_30default_config_static_selectorELNS0_4arch9wavefront6targetE1EEEvT1_ ; -- Begin function _ZN7rocprim17ROCPRIM_400000_NS6detail17trampoline_kernelINS0_14default_configENS1_20scan_config_selectorIxEEZZNS1_9scan_implILNS1_25lookback_scan_determinismE0ELb0ELb1ES3_N6thrust23THRUST_200600_302600_NS6detail15normal_iteratorINS9_10device_ptrIxEEEESE_xNS9_10multipliesIxEExEEDaPvRmT3_T4_T5_mT6_P12ihipStream_tbENKUlT_T0_E_clISt17integral_constantIbLb0EEST_IbLb1EEEEDaSP_SQ_EUlSP_E_NS1_11comp_targetILNS1_3genE8ELNS1_11target_archE1030ELNS1_3gpuE2ELNS1_3repE0EEENS1_30default_config_static_selectorELNS0_4arch9wavefront6targetE1EEEvT1_
	.globl	_ZN7rocprim17ROCPRIM_400000_NS6detail17trampoline_kernelINS0_14default_configENS1_20scan_config_selectorIxEEZZNS1_9scan_implILNS1_25lookback_scan_determinismE0ELb0ELb1ES3_N6thrust23THRUST_200600_302600_NS6detail15normal_iteratorINS9_10device_ptrIxEEEESE_xNS9_10multipliesIxEExEEDaPvRmT3_T4_T5_mT6_P12ihipStream_tbENKUlT_T0_E_clISt17integral_constantIbLb0EEST_IbLb1EEEEDaSP_SQ_EUlSP_E_NS1_11comp_targetILNS1_3genE8ELNS1_11target_archE1030ELNS1_3gpuE2ELNS1_3repE0EEENS1_30default_config_static_selectorELNS0_4arch9wavefront6targetE1EEEvT1_
	.p2align	8
	.type	_ZN7rocprim17ROCPRIM_400000_NS6detail17trampoline_kernelINS0_14default_configENS1_20scan_config_selectorIxEEZZNS1_9scan_implILNS1_25lookback_scan_determinismE0ELb0ELb1ES3_N6thrust23THRUST_200600_302600_NS6detail15normal_iteratorINS9_10device_ptrIxEEEESE_xNS9_10multipliesIxEExEEDaPvRmT3_T4_T5_mT6_P12ihipStream_tbENKUlT_T0_E_clISt17integral_constantIbLb0EEST_IbLb1EEEEDaSP_SQ_EUlSP_E_NS1_11comp_targetILNS1_3genE8ELNS1_11target_archE1030ELNS1_3gpuE2ELNS1_3repE0EEENS1_30default_config_static_selectorELNS0_4arch9wavefront6targetE1EEEvT1_,@function
_ZN7rocprim17ROCPRIM_400000_NS6detail17trampoline_kernelINS0_14default_configENS1_20scan_config_selectorIxEEZZNS1_9scan_implILNS1_25lookback_scan_determinismE0ELb0ELb1ES3_N6thrust23THRUST_200600_302600_NS6detail15normal_iteratorINS9_10device_ptrIxEEEESE_xNS9_10multipliesIxEExEEDaPvRmT3_T4_T5_mT6_P12ihipStream_tbENKUlT_T0_E_clISt17integral_constantIbLb0EEST_IbLb1EEEEDaSP_SQ_EUlSP_E_NS1_11comp_targetILNS1_3genE8ELNS1_11target_archE1030ELNS1_3gpuE2ELNS1_3repE0EEENS1_30default_config_static_selectorELNS0_4arch9wavefront6targetE1EEEvT1_: ; @_ZN7rocprim17ROCPRIM_400000_NS6detail17trampoline_kernelINS0_14default_configENS1_20scan_config_selectorIxEEZZNS1_9scan_implILNS1_25lookback_scan_determinismE0ELb0ELb1ES3_N6thrust23THRUST_200600_302600_NS6detail15normal_iteratorINS9_10device_ptrIxEEEESE_xNS9_10multipliesIxEExEEDaPvRmT3_T4_T5_mT6_P12ihipStream_tbENKUlT_T0_E_clISt17integral_constantIbLb0EEST_IbLb1EEEEDaSP_SQ_EUlSP_E_NS1_11comp_targetILNS1_3genE8ELNS1_11target_archE1030ELNS1_3gpuE2ELNS1_3repE0EEENS1_30default_config_static_selectorELNS0_4arch9wavefront6targetE1EEEvT1_
; %bb.0:
	.section	.rodata,"a",@progbits
	.p2align	6, 0x0
	.amdhsa_kernel _ZN7rocprim17ROCPRIM_400000_NS6detail17trampoline_kernelINS0_14default_configENS1_20scan_config_selectorIxEEZZNS1_9scan_implILNS1_25lookback_scan_determinismE0ELb0ELb1ES3_N6thrust23THRUST_200600_302600_NS6detail15normal_iteratorINS9_10device_ptrIxEEEESE_xNS9_10multipliesIxEExEEDaPvRmT3_T4_T5_mT6_P12ihipStream_tbENKUlT_T0_E_clISt17integral_constantIbLb0EEST_IbLb1EEEEDaSP_SQ_EUlSP_E_NS1_11comp_targetILNS1_3genE8ELNS1_11target_archE1030ELNS1_3gpuE2ELNS1_3repE0EEENS1_30default_config_static_selectorELNS0_4arch9wavefront6targetE1EEEvT1_
		.amdhsa_group_segment_fixed_size 0
		.amdhsa_private_segment_fixed_size 0
		.amdhsa_kernarg_size 104
		.amdhsa_user_sgpr_count 6
		.amdhsa_user_sgpr_private_segment_buffer 1
		.amdhsa_user_sgpr_dispatch_ptr 0
		.amdhsa_user_sgpr_queue_ptr 0
		.amdhsa_user_sgpr_kernarg_segment_ptr 1
		.amdhsa_user_sgpr_dispatch_id 0
		.amdhsa_user_sgpr_flat_scratch_init 0
		.amdhsa_user_sgpr_kernarg_preload_length 0
		.amdhsa_user_sgpr_kernarg_preload_offset 0
		.amdhsa_user_sgpr_private_segment_size 0
		.amdhsa_uses_dynamic_stack 0
		.amdhsa_system_sgpr_private_segment_wavefront_offset 0
		.amdhsa_system_sgpr_workgroup_id_x 1
		.amdhsa_system_sgpr_workgroup_id_y 0
		.amdhsa_system_sgpr_workgroup_id_z 0
		.amdhsa_system_sgpr_workgroup_info 0
		.amdhsa_system_vgpr_workitem_id 0
		.amdhsa_next_free_vgpr 1
		.amdhsa_next_free_sgpr 0
		.amdhsa_accum_offset 4
		.amdhsa_reserve_vcc 0
		.amdhsa_reserve_flat_scratch 0
		.amdhsa_float_round_mode_32 0
		.amdhsa_float_round_mode_16_64 0
		.amdhsa_float_denorm_mode_32 3
		.amdhsa_float_denorm_mode_16_64 3
		.amdhsa_dx10_clamp 1
		.amdhsa_ieee_mode 1
		.amdhsa_fp16_overflow 0
		.amdhsa_tg_split 0
		.amdhsa_exception_fp_ieee_invalid_op 0
		.amdhsa_exception_fp_denorm_src 0
		.amdhsa_exception_fp_ieee_div_zero 0
		.amdhsa_exception_fp_ieee_overflow 0
		.amdhsa_exception_fp_ieee_underflow 0
		.amdhsa_exception_fp_ieee_inexact 0
		.amdhsa_exception_int_div_zero 0
	.end_amdhsa_kernel
	.section	.text._ZN7rocprim17ROCPRIM_400000_NS6detail17trampoline_kernelINS0_14default_configENS1_20scan_config_selectorIxEEZZNS1_9scan_implILNS1_25lookback_scan_determinismE0ELb0ELb1ES3_N6thrust23THRUST_200600_302600_NS6detail15normal_iteratorINS9_10device_ptrIxEEEESE_xNS9_10multipliesIxEExEEDaPvRmT3_T4_T5_mT6_P12ihipStream_tbENKUlT_T0_E_clISt17integral_constantIbLb0EEST_IbLb1EEEEDaSP_SQ_EUlSP_E_NS1_11comp_targetILNS1_3genE8ELNS1_11target_archE1030ELNS1_3gpuE2ELNS1_3repE0EEENS1_30default_config_static_selectorELNS0_4arch9wavefront6targetE1EEEvT1_,"axG",@progbits,_ZN7rocprim17ROCPRIM_400000_NS6detail17trampoline_kernelINS0_14default_configENS1_20scan_config_selectorIxEEZZNS1_9scan_implILNS1_25lookback_scan_determinismE0ELb0ELb1ES3_N6thrust23THRUST_200600_302600_NS6detail15normal_iteratorINS9_10device_ptrIxEEEESE_xNS9_10multipliesIxEExEEDaPvRmT3_T4_T5_mT6_P12ihipStream_tbENKUlT_T0_E_clISt17integral_constantIbLb0EEST_IbLb1EEEEDaSP_SQ_EUlSP_E_NS1_11comp_targetILNS1_3genE8ELNS1_11target_archE1030ELNS1_3gpuE2ELNS1_3repE0EEENS1_30default_config_static_selectorELNS0_4arch9wavefront6targetE1EEEvT1_,comdat
.Lfunc_end332:
	.size	_ZN7rocprim17ROCPRIM_400000_NS6detail17trampoline_kernelINS0_14default_configENS1_20scan_config_selectorIxEEZZNS1_9scan_implILNS1_25lookback_scan_determinismE0ELb0ELb1ES3_N6thrust23THRUST_200600_302600_NS6detail15normal_iteratorINS9_10device_ptrIxEEEESE_xNS9_10multipliesIxEExEEDaPvRmT3_T4_T5_mT6_P12ihipStream_tbENKUlT_T0_E_clISt17integral_constantIbLb0EEST_IbLb1EEEEDaSP_SQ_EUlSP_E_NS1_11comp_targetILNS1_3genE8ELNS1_11target_archE1030ELNS1_3gpuE2ELNS1_3repE0EEENS1_30default_config_static_selectorELNS0_4arch9wavefront6targetE1EEEvT1_, .Lfunc_end332-_ZN7rocprim17ROCPRIM_400000_NS6detail17trampoline_kernelINS0_14default_configENS1_20scan_config_selectorIxEEZZNS1_9scan_implILNS1_25lookback_scan_determinismE0ELb0ELb1ES3_N6thrust23THRUST_200600_302600_NS6detail15normal_iteratorINS9_10device_ptrIxEEEESE_xNS9_10multipliesIxEExEEDaPvRmT3_T4_T5_mT6_P12ihipStream_tbENKUlT_T0_E_clISt17integral_constantIbLb0EEST_IbLb1EEEEDaSP_SQ_EUlSP_E_NS1_11comp_targetILNS1_3genE8ELNS1_11target_archE1030ELNS1_3gpuE2ELNS1_3repE0EEENS1_30default_config_static_selectorELNS0_4arch9wavefront6targetE1EEEvT1_
                                        ; -- End function
	.section	.AMDGPU.csdata,"",@progbits
; Kernel info:
; codeLenInByte = 0
; NumSgprs: 4
; NumVgprs: 0
; NumAgprs: 0
; TotalNumVgprs: 0
; ScratchSize: 0
; MemoryBound: 0
; FloatMode: 240
; IeeeMode: 1
; LDSByteSize: 0 bytes/workgroup (compile time only)
; SGPRBlocks: 0
; VGPRBlocks: 0
; NumSGPRsForWavesPerEU: 4
; NumVGPRsForWavesPerEU: 1
; AccumOffset: 4
; Occupancy: 8
; WaveLimiterHint : 0
; COMPUTE_PGM_RSRC2:SCRATCH_EN: 0
; COMPUTE_PGM_RSRC2:USER_SGPR: 6
; COMPUTE_PGM_RSRC2:TRAP_HANDLER: 0
; COMPUTE_PGM_RSRC2:TGID_X_EN: 1
; COMPUTE_PGM_RSRC2:TGID_Y_EN: 0
; COMPUTE_PGM_RSRC2:TGID_Z_EN: 0
; COMPUTE_PGM_RSRC2:TIDIG_COMP_CNT: 0
; COMPUTE_PGM_RSRC3_GFX90A:ACCUM_OFFSET: 0
; COMPUTE_PGM_RSRC3_GFX90A:TG_SPLIT: 0
	.section	.text._ZN7rocprim17ROCPRIM_400000_NS6detail17trampoline_kernelINS0_14default_configENS1_20scan_config_selectorIxEEZZNS1_9scan_implILNS1_25lookback_scan_determinismE0ELb0ELb1ES3_N6thrust23THRUST_200600_302600_NS6detail15normal_iteratorINS9_10device_ptrIxEEEESE_xNS9_10multipliesIxEExEEDaPvRmT3_T4_T5_mT6_P12ihipStream_tbENKUlT_T0_E_clISt17integral_constantIbLb0EEST_IbLb1EEEEDaSP_SQ_EUlSP_E0_NS1_11comp_targetILNS1_3genE0ELNS1_11target_archE4294967295ELNS1_3gpuE0ELNS1_3repE0EEENS1_30default_config_static_selectorELNS0_4arch9wavefront6targetE1EEEvT1_,"axG",@progbits,_ZN7rocprim17ROCPRIM_400000_NS6detail17trampoline_kernelINS0_14default_configENS1_20scan_config_selectorIxEEZZNS1_9scan_implILNS1_25lookback_scan_determinismE0ELb0ELb1ES3_N6thrust23THRUST_200600_302600_NS6detail15normal_iteratorINS9_10device_ptrIxEEEESE_xNS9_10multipliesIxEExEEDaPvRmT3_T4_T5_mT6_P12ihipStream_tbENKUlT_T0_E_clISt17integral_constantIbLb0EEST_IbLb1EEEEDaSP_SQ_EUlSP_E0_NS1_11comp_targetILNS1_3genE0ELNS1_11target_archE4294967295ELNS1_3gpuE0ELNS1_3repE0EEENS1_30default_config_static_selectorELNS0_4arch9wavefront6targetE1EEEvT1_,comdat
	.protected	_ZN7rocprim17ROCPRIM_400000_NS6detail17trampoline_kernelINS0_14default_configENS1_20scan_config_selectorIxEEZZNS1_9scan_implILNS1_25lookback_scan_determinismE0ELb0ELb1ES3_N6thrust23THRUST_200600_302600_NS6detail15normal_iteratorINS9_10device_ptrIxEEEESE_xNS9_10multipliesIxEExEEDaPvRmT3_T4_T5_mT6_P12ihipStream_tbENKUlT_T0_E_clISt17integral_constantIbLb0EEST_IbLb1EEEEDaSP_SQ_EUlSP_E0_NS1_11comp_targetILNS1_3genE0ELNS1_11target_archE4294967295ELNS1_3gpuE0ELNS1_3repE0EEENS1_30default_config_static_selectorELNS0_4arch9wavefront6targetE1EEEvT1_ ; -- Begin function _ZN7rocprim17ROCPRIM_400000_NS6detail17trampoline_kernelINS0_14default_configENS1_20scan_config_selectorIxEEZZNS1_9scan_implILNS1_25lookback_scan_determinismE0ELb0ELb1ES3_N6thrust23THRUST_200600_302600_NS6detail15normal_iteratorINS9_10device_ptrIxEEEESE_xNS9_10multipliesIxEExEEDaPvRmT3_T4_T5_mT6_P12ihipStream_tbENKUlT_T0_E_clISt17integral_constantIbLb0EEST_IbLb1EEEEDaSP_SQ_EUlSP_E0_NS1_11comp_targetILNS1_3genE0ELNS1_11target_archE4294967295ELNS1_3gpuE0ELNS1_3repE0EEENS1_30default_config_static_selectorELNS0_4arch9wavefront6targetE1EEEvT1_
	.globl	_ZN7rocprim17ROCPRIM_400000_NS6detail17trampoline_kernelINS0_14default_configENS1_20scan_config_selectorIxEEZZNS1_9scan_implILNS1_25lookback_scan_determinismE0ELb0ELb1ES3_N6thrust23THRUST_200600_302600_NS6detail15normal_iteratorINS9_10device_ptrIxEEEESE_xNS9_10multipliesIxEExEEDaPvRmT3_T4_T5_mT6_P12ihipStream_tbENKUlT_T0_E_clISt17integral_constantIbLb0EEST_IbLb1EEEEDaSP_SQ_EUlSP_E0_NS1_11comp_targetILNS1_3genE0ELNS1_11target_archE4294967295ELNS1_3gpuE0ELNS1_3repE0EEENS1_30default_config_static_selectorELNS0_4arch9wavefront6targetE1EEEvT1_
	.p2align	8
	.type	_ZN7rocprim17ROCPRIM_400000_NS6detail17trampoline_kernelINS0_14default_configENS1_20scan_config_selectorIxEEZZNS1_9scan_implILNS1_25lookback_scan_determinismE0ELb0ELb1ES3_N6thrust23THRUST_200600_302600_NS6detail15normal_iteratorINS9_10device_ptrIxEEEESE_xNS9_10multipliesIxEExEEDaPvRmT3_T4_T5_mT6_P12ihipStream_tbENKUlT_T0_E_clISt17integral_constantIbLb0EEST_IbLb1EEEEDaSP_SQ_EUlSP_E0_NS1_11comp_targetILNS1_3genE0ELNS1_11target_archE4294967295ELNS1_3gpuE0ELNS1_3repE0EEENS1_30default_config_static_selectorELNS0_4arch9wavefront6targetE1EEEvT1_,@function
_ZN7rocprim17ROCPRIM_400000_NS6detail17trampoline_kernelINS0_14default_configENS1_20scan_config_selectorIxEEZZNS1_9scan_implILNS1_25lookback_scan_determinismE0ELb0ELb1ES3_N6thrust23THRUST_200600_302600_NS6detail15normal_iteratorINS9_10device_ptrIxEEEESE_xNS9_10multipliesIxEExEEDaPvRmT3_T4_T5_mT6_P12ihipStream_tbENKUlT_T0_E_clISt17integral_constantIbLb0EEST_IbLb1EEEEDaSP_SQ_EUlSP_E0_NS1_11comp_targetILNS1_3genE0ELNS1_11target_archE4294967295ELNS1_3gpuE0ELNS1_3repE0EEENS1_30default_config_static_selectorELNS0_4arch9wavefront6targetE1EEEvT1_: ; @_ZN7rocprim17ROCPRIM_400000_NS6detail17trampoline_kernelINS0_14default_configENS1_20scan_config_selectorIxEEZZNS1_9scan_implILNS1_25lookback_scan_determinismE0ELb0ELb1ES3_N6thrust23THRUST_200600_302600_NS6detail15normal_iteratorINS9_10device_ptrIxEEEESE_xNS9_10multipliesIxEExEEDaPvRmT3_T4_T5_mT6_P12ihipStream_tbENKUlT_T0_E_clISt17integral_constantIbLb0EEST_IbLb1EEEEDaSP_SQ_EUlSP_E0_NS1_11comp_targetILNS1_3genE0ELNS1_11target_archE4294967295ELNS1_3gpuE0ELNS1_3repE0EEENS1_30default_config_static_selectorELNS0_4arch9wavefront6targetE1EEEvT1_
; %bb.0:
	.section	.rodata,"a",@progbits
	.p2align	6, 0x0
	.amdhsa_kernel _ZN7rocprim17ROCPRIM_400000_NS6detail17trampoline_kernelINS0_14default_configENS1_20scan_config_selectorIxEEZZNS1_9scan_implILNS1_25lookback_scan_determinismE0ELb0ELb1ES3_N6thrust23THRUST_200600_302600_NS6detail15normal_iteratorINS9_10device_ptrIxEEEESE_xNS9_10multipliesIxEExEEDaPvRmT3_T4_T5_mT6_P12ihipStream_tbENKUlT_T0_E_clISt17integral_constantIbLb0EEST_IbLb1EEEEDaSP_SQ_EUlSP_E0_NS1_11comp_targetILNS1_3genE0ELNS1_11target_archE4294967295ELNS1_3gpuE0ELNS1_3repE0EEENS1_30default_config_static_selectorELNS0_4arch9wavefront6targetE1EEEvT1_
		.amdhsa_group_segment_fixed_size 0
		.amdhsa_private_segment_fixed_size 0
		.amdhsa_kernarg_size 40
		.amdhsa_user_sgpr_count 6
		.amdhsa_user_sgpr_private_segment_buffer 1
		.amdhsa_user_sgpr_dispatch_ptr 0
		.amdhsa_user_sgpr_queue_ptr 0
		.amdhsa_user_sgpr_kernarg_segment_ptr 1
		.amdhsa_user_sgpr_dispatch_id 0
		.amdhsa_user_sgpr_flat_scratch_init 0
		.amdhsa_user_sgpr_kernarg_preload_length 0
		.amdhsa_user_sgpr_kernarg_preload_offset 0
		.amdhsa_user_sgpr_private_segment_size 0
		.amdhsa_uses_dynamic_stack 0
		.amdhsa_system_sgpr_private_segment_wavefront_offset 0
		.amdhsa_system_sgpr_workgroup_id_x 1
		.amdhsa_system_sgpr_workgroup_id_y 0
		.amdhsa_system_sgpr_workgroup_id_z 0
		.amdhsa_system_sgpr_workgroup_info 0
		.amdhsa_system_vgpr_workitem_id 0
		.amdhsa_next_free_vgpr 1
		.amdhsa_next_free_sgpr 0
		.amdhsa_accum_offset 4
		.amdhsa_reserve_vcc 0
		.amdhsa_reserve_flat_scratch 0
		.amdhsa_float_round_mode_32 0
		.amdhsa_float_round_mode_16_64 0
		.amdhsa_float_denorm_mode_32 3
		.amdhsa_float_denorm_mode_16_64 3
		.amdhsa_dx10_clamp 1
		.amdhsa_ieee_mode 1
		.amdhsa_fp16_overflow 0
		.amdhsa_tg_split 0
		.amdhsa_exception_fp_ieee_invalid_op 0
		.amdhsa_exception_fp_denorm_src 0
		.amdhsa_exception_fp_ieee_div_zero 0
		.amdhsa_exception_fp_ieee_overflow 0
		.amdhsa_exception_fp_ieee_underflow 0
		.amdhsa_exception_fp_ieee_inexact 0
		.amdhsa_exception_int_div_zero 0
	.end_amdhsa_kernel
	.section	.text._ZN7rocprim17ROCPRIM_400000_NS6detail17trampoline_kernelINS0_14default_configENS1_20scan_config_selectorIxEEZZNS1_9scan_implILNS1_25lookback_scan_determinismE0ELb0ELb1ES3_N6thrust23THRUST_200600_302600_NS6detail15normal_iteratorINS9_10device_ptrIxEEEESE_xNS9_10multipliesIxEExEEDaPvRmT3_T4_T5_mT6_P12ihipStream_tbENKUlT_T0_E_clISt17integral_constantIbLb0EEST_IbLb1EEEEDaSP_SQ_EUlSP_E0_NS1_11comp_targetILNS1_3genE0ELNS1_11target_archE4294967295ELNS1_3gpuE0ELNS1_3repE0EEENS1_30default_config_static_selectorELNS0_4arch9wavefront6targetE1EEEvT1_,"axG",@progbits,_ZN7rocprim17ROCPRIM_400000_NS6detail17trampoline_kernelINS0_14default_configENS1_20scan_config_selectorIxEEZZNS1_9scan_implILNS1_25lookback_scan_determinismE0ELb0ELb1ES3_N6thrust23THRUST_200600_302600_NS6detail15normal_iteratorINS9_10device_ptrIxEEEESE_xNS9_10multipliesIxEExEEDaPvRmT3_T4_T5_mT6_P12ihipStream_tbENKUlT_T0_E_clISt17integral_constantIbLb0EEST_IbLb1EEEEDaSP_SQ_EUlSP_E0_NS1_11comp_targetILNS1_3genE0ELNS1_11target_archE4294967295ELNS1_3gpuE0ELNS1_3repE0EEENS1_30default_config_static_selectorELNS0_4arch9wavefront6targetE1EEEvT1_,comdat
.Lfunc_end333:
	.size	_ZN7rocprim17ROCPRIM_400000_NS6detail17trampoline_kernelINS0_14default_configENS1_20scan_config_selectorIxEEZZNS1_9scan_implILNS1_25lookback_scan_determinismE0ELb0ELb1ES3_N6thrust23THRUST_200600_302600_NS6detail15normal_iteratorINS9_10device_ptrIxEEEESE_xNS9_10multipliesIxEExEEDaPvRmT3_T4_T5_mT6_P12ihipStream_tbENKUlT_T0_E_clISt17integral_constantIbLb0EEST_IbLb1EEEEDaSP_SQ_EUlSP_E0_NS1_11comp_targetILNS1_3genE0ELNS1_11target_archE4294967295ELNS1_3gpuE0ELNS1_3repE0EEENS1_30default_config_static_selectorELNS0_4arch9wavefront6targetE1EEEvT1_, .Lfunc_end333-_ZN7rocprim17ROCPRIM_400000_NS6detail17trampoline_kernelINS0_14default_configENS1_20scan_config_selectorIxEEZZNS1_9scan_implILNS1_25lookback_scan_determinismE0ELb0ELb1ES3_N6thrust23THRUST_200600_302600_NS6detail15normal_iteratorINS9_10device_ptrIxEEEESE_xNS9_10multipliesIxEExEEDaPvRmT3_T4_T5_mT6_P12ihipStream_tbENKUlT_T0_E_clISt17integral_constantIbLb0EEST_IbLb1EEEEDaSP_SQ_EUlSP_E0_NS1_11comp_targetILNS1_3genE0ELNS1_11target_archE4294967295ELNS1_3gpuE0ELNS1_3repE0EEENS1_30default_config_static_selectorELNS0_4arch9wavefront6targetE1EEEvT1_
                                        ; -- End function
	.section	.AMDGPU.csdata,"",@progbits
; Kernel info:
; codeLenInByte = 0
; NumSgprs: 4
; NumVgprs: 0
; NumAgprs: 0
; TotalNumVgprs: 0
; ScratchSize: 0
; MemoryBound: 0
; FloatMode: 240
; IeeeMode: 1
; LDSByteSize: 0 bytes/workgroup (compile time only)
; SGPRBlocks: 0
; VGPRBlocks: 0
; NumSGPRsForWavesPerEU: 4
; NumVGPRsForWavesPerEU: 1
; AccumOffset: 4
; Occupancy: 8
; WaveLimiterHint : 0
; COMPUTE_PGM_RSRC2:SCRATCH_EN: 0
; COMPUTE_PGM_RSRC2:USER_SGPR: 6
; COMPUTE_PGM_RSRC2:TRAP_HANDLER: 0
; COMPUTE_PGM_RSRC2:TGID_X_EN: 1
; COMPUTE_PGM_RSRC2:TGID_Y_EN: 0
; COMPUTE_PGM_RSRC2:TGID_Z_EN: 0
; COMPUTE_PGM_RSRC2:TIDIG_COMP_CNT: 0
; COMPUTE_PGM_RSRC3_GFX90A:ACCUM_OFFSET: 0
; COMPUTE_PGM_RSRC3_GFX90A:TG_SPLIT: 0
	.section	.text._ZN7rocprim17ROCPRIM_400000_NS6detail17trampoline_kernelINS0_14default_configENS1_20scan_config_selectorIxEEZZNS1_9scan_implILNS1_25lookback_scan_determinismE0ELb0ELb1ES3_N6thrust23THRUST_200600_302600_NS6detail15normal_iteratorINS9_10device_ptrIxEEEESE_xNS9_10multipliesIxEExEEDaPvRmT3_T4_T5_mT6_P12ihipStream_tbENKUlT_T0_E_clISt17integral_constantIbLb0EEST_IbLb1EEEEDaSP_SQ_EUlSP_E0_NS1_11comp_targetILNS1_3genE5ELNS1_11target_archE942ELNS1_3gpuE9ELNS1_3repE0EEENS1_30default_config_static_selectorELNS0_4arch9wavefront6targetE1EEEvT1_,"axG",@progbits,_ZN7rocprim17ROCPRIM_400000_NS6detail17trampoline_kernelINS0_14default_configENS1_20scan_config_selectorIxEEZZNS1_9scan_implILNS1_25lookback_scan_determinismE0ELb0ELb1ES3_N6thrust23THRUST_200600_302600_NS6detail15normal_iteratorINS9_10device_ptrIxEEEESE_xNS9_10multipliesIxEExEEDaPvRmT3_T4_T5_mT6_P12ihipStream_tbENKUlT_T0_E_clISt17integral_constantIbLb0EEST_IbLb1EEEEDaSP_SQ_EUlSP_E0_NS1_11comp_targetILNS1_3genE5ELNS1_11target_archE942ELNS1_3gpuE9ELNS1_3repE0EEENS1_30default_config_static_selectorELNS0_4arch9wavefront6targetE1EEEvT1_,comdat
	.protected	_ZN7rocprim17ROCPRIM_400000_NS6detail17trampoline_kernelINS0_14default_configENS1_20scan_config_selectorIxEEZZNS1_9scan_implILNS1_25lookback_scan_determinismE0ELb0ELb1ES3_N6thrust23THRUST_200600_302600_NS6detail15normal_iteratorINS9_10device_ptrIxEEEESE_xNS9_10multipliesIxEExEEDaPvRmT3_T4_T5_mT6_P12ihipStream_tbENKUlT_T0_E_clISt17integral_constantIbLb0EEST_IbLb1EEEEDaSP_SQ_EUlSP_E0_NS1_11comp_targetILNS1_3genE5ELNS1_11target_archE942ELNS1_3gpuE9ELNS1_3repE0EEENS1_30default_config_static_selectorELNS0_4arch9wavefront6targetE1EEEvT1_ ; -- Begin function _ZN7rocprim17ROCPRIM_400000_NS6detail17trampoline_kernelINS0_14default_configENS1_20scan_config_selectorIxEEZZNS1_9scan_implILNS1_25lookback_scan_determinismE0ELb0ELb1ES3_N6thrust23THRUST_200600_302600_NS6detail15normal_iteratorINS9_10device_ptrIxEEEESE_xNS9_10multipliesIxEExEEDaPvRmT3_T4_T5_mT6_P12ihipStream_tbENKUlT_T0_E_clISt17integral_constantIbLb0EEST_IbLb1EEEEDaSP_SQ_EUlSP_E0_NS1_11comp_targetILNS1_3genE5ELNS1_11target_archE942ELNS1_3gpuE9ELNS1_3repE0EEENS1_30default_config_static_selectorELNS0_4arch9wavefront6targetE1EEEvT1_
	.globl	_ZN7rocprim17ROCPRIM_400000_NS6detail17trampoline_kernelINS0_14default_configENS1_20scan_config_selectorIxEEZZNS1_9scan_implILNS1_25lookback_scan_determinismE0ELb0ELb1ES3_N6thrust23THRUST_200600_302600_NS6detail15normal_iteratorINS9_10device_ptrIxEEEESE_xNS9_10multipliesIxEExEEDaPvRmT3_T4_T5_mT6_P12ihipStream_tbENKUlT_T0_E_clISt17integral_constantIbLb0EEST_IbLb1EEEEDaSP_SQ_EUlSP_E0_NS1_11comp_targetILNS1_3genE5ELNS1_11target_archE942ELNS1_3gpuE9ELNS1_3repE0EEENS1_30default_config_static_selectorELNS0_4arch9wavefront6targetE1EEEvT1_
	.p2align	8
	.type	_ZN7rocprim17ROCPRIM_400000_NS6detail17trampoline_kernelINS0_14default_configENS1_20scan_config_selectorIxEEZZNS1_9scan_implILNS1_25lookback_scan_determinismE0ELb0ELb1ES3_N6thrust23THRUST_200600_302600_NS6detail15normal_iteratorINS9_10device_ptrIxEEEESE_xNS9_10multipliesIxEExEEDaPvRmT3_T4_T5_mT6_P12ihipStream_tbENKUlT_T0_E_clISt17integral_constantIbLb0EEST_IbLb1EEEEDaSP_SQ_EUlSP_E0_NS1_11comp_targetILNS1_3genE5ELNS1_11target_archE942ELNS1_3gpuE9ELNS1_3repE0EEENS1_30default_config_static_selectorELNS0_4arch9wavefront6targetE1EEEvT1_,@function
_ZN7rocprim17ROCPRIM_400000_NS6detail17trampoline_kernelINS0_14default_configENS1_20scan_config_selectorIxEEZZNS1_9scan_implILNS1_25lookback_scan_determinismE0ELb0ELb1ES3_N6thrust23THRUST_200600_302600_NS6detail15normal_iteratorINS9_10device_ptrIxEEEESE_xNS9_10multipliesIxEExEEDaPvRmT3_T4_T5_mT6_P12ihipStream_tbENKUlT_T0_E_clISt17integral_constantIbLb0EEST_IbLb1EEEEDaSP_SQ_EUlSP_E0_NS1_11comp_targetILNS1_3genE5ELNS1_11target_archE942ELNS1_3gpuE9ELNS1_3repE0EEENS1_30default_config_static_selectorELNS0_4arch9wavefront6targetE1EEEvT1_: ; @_ZN7rocprim17ROCPRIM_400000_NS6detail17trampoline_kernelINS0_14default_configENS1_20scan_config_selectorIxEEZZNS1_9scan_implILNS1_25lookback_scan_determinismE0ELb0ELb1ES3_N6thrust23THRUST_200600_302600_NS6detail15normal_iteratorINS9_10device_ptrIxEEEESE_xNS9_10multipliesIxEExEEDaPvRmT3_T4_T5_mT6_P12ihipStream_tbENKUlT_T0_E_clISt17integral_constantIbLb0EEST_IbLb1EEEEDaSP_SQ_EUlSP_E0_NS1_11comp_targetILNS1_3genE5ELNS1_11target_archE942ELNS1_3gpuE9ELNS1_3repE0EEENS1_30default_config_static_selectorELNS0_4arch9wavefront6targetE1EEEvT1_
; %bb.0:
	.section	.rodata,"a",@progbits
	.p2align	6, 0x0
	.amdhsa_kernel _ZN7rocprim17ROCPRIM_400000_NS6detail17trampoline_kernelINS0_14default_configENS1_20scan_config_selectorIxEEZZNS1_9scan_implILNS1_25lookback_scan_determinismE0ELb0ELb1ES3_N6thrust23THRUST_200600_302600_NS6detail15normal_iteratorINS9_10device_ptrIxEEEESE_xNS9_10multipliesIxEExEEDaPvRmT3_T4_T5_mT6_P12ihipStream_tbENKUlT_T0_E_clISt17integral_constantIbLb0EEST_IbLb1EEEEDaSP_SQ_EUlSP_E0_NS1_11comp_targetILNS1_3genE5ELNS1_11target_archE942ELNS1_3gpuE9ELNS1_3repE0EEENS1_30default_config_static_selectorELNS0_4arch9wavefront6targetE1EEEvT1_
		.amdhsa_group_segment_fixed_size 0
		.amdhsa_private_segment_fixed_size 0
		.amdhsa_kernarg_size 40
		.amdhsa_user_sgpr_count 6
		.amdhsa_user_sgpr_private_segment_buffer 1
		.amdhsa_user_sgpr_dispatch_ptr 0
		.amdhsa_user_sgpr_queue_ptr 0
		.amdhsa_user_sgpr_kernarg_segment_ptr 1
		.amdhsa_user_sgpr_dispatch_id 0
		.amdhsa_user_sgpr_flat_scratch_init 0
		.amdhsa_user_sgpr_kernarg_preload_length 0
		.amdhsa_user_sgpr_kernarg_preload_offset 0
		.amdhsa_user_sgpr_private_segment_size 0
		.amdhsa_uses_dynamic_stack 0
		.amdhsa_system_sgpr_private_segment_wavefront_offset 0
		.amdhsa_system_sgpr_workgroup_id_x 1
		.amdhsa_system_sgpr_workgroup_id_y 0
		.amdhsa_system_sgpr_workgroup_id_z 0
		.amdhsa_system_sgpr_workgroup_info 0
		.amdhsa_system_vgpr_workitem_id 0
		.amdhsa_next_free_vgpr 1
		.amdhsa_next_free_sgpr 0
		.amdhsa_accum_offset 4
		.amdhsa_reserve_vcc 0
		.amdhsa_reserve_flat_scratch 0
		.amdhsa_float_round_mode_32 0
		.amdhsa_float_round_mode_16_64 0
		.amdhsa_float_denorm_mode_32 3
		.amdhsa_float_denorm_mode_16_64 3
		.amdhsa_dx10_clamp 1
		.amdhsa_ieee_mode 1
		.amdhsa_fp16_overflow 0
		.amdhsa_tg_split 0
		.amdhsa_exception_fp_ieee_invalid_op 0
		.amdhsa_exception_fp_denorm_src 0
		.amdhsa_exception_fp_ieee_div_zero 0
		.amdhsa_exception_fp_ieee_overflow 0
		.amdhsa_exception_fp_ieee_underflow 0
		.amdhsa_exception_fp_ieee_inexact 0
		.amdhsa_exception_int_div_zero 0
	.end_amdhsa_kernel
	.section	.text._ZN7rocprim17ROCPRIM_400000_NS6detail17trampoline_kernelINS0_14default_configENS1_20scan_config_selectorIxEEZZNS1_9scan_implILNS1_25lookback_scan_determinismE0ELb0ELb1ES3_N6thrust23THRUST_200600_302600_NS6detail15normal_iteratorINS9_10device_ptrIxEEEESE_xNS9_10multipliesIxEExEEDaPvRmT3_T4_T5_mT6_P12ihipStream_tbENKUlT_T0_E_clISt17integral_constantIbLb0EEST_IbLb1EEEEDaSP_SQ_EUlSP_E0_NS1_11comp_targetILNS1_3genE5ELNS1_11target_archE942ELNS1_3gpuE9ELNS1_3repE0EEENS1_30default_config_static_selectorELNS0_4arch9wavefront6targetE1EEEvT1_,"axG",@progbits,_ZN7rocprim17ROCPRIM_400000_NS6detail17trampoline_kernelINS0_14default_configENS1_20scan_config_selectorIxEEZZNS1_9scan_implILNS1_25lookback_scan_determinismE0ELb0ELb1ES3_N6thrust23THRUST_200600_302600_NS6detail15normal_iteratorINS9_10device_ptrIxEEEESE_xNS9_10multipliesIxEExEEDaPvRmT3_T4_T5_mT6_P12ihipStream_tbENKUlT_T0_E_clISt17integral_constantIbLb0EEST_IbLb1EEEEDaSP_SQ_EUlSP_E0_NS1_11comp_targetILNS1_3genE5ELNS1_11target_archE942ELNS1_3gpuE9ELNS1_3repE0EEENS1_30default_config_static_selectorELNS0_4arch9wavefront6targetE1EEEvT1_,comdat
.Lfunc_end334:
	.size	_ZN7rocprim17ROCPRIM_400000_NS6detail17trampoline_kernelINS0_14default_configENS1_20scan_config_selectorIxEEZZNS1_9scan_implILNS1_25lookback_scan_determinismE0ELb0ELb1ES3_N6thrust23THRUST_200600_302600_NS6detail15normal_iteratorINS9_10device_ptrIxEEEESE_xNS9_10multipliesIxEExEEDaPvRmT3_T4_T5_mT6_P12ihipStream_tbENKUlT_T0_E_clISt17integral_constantIbLb0EEST_IbLb1EEEEDaSP_SQ_EUlSP_E0_NS1_11comp_targetILNS1_3genE5ELNS1_11target_archE942ELNS1_3gpuE9ELNS1_3repE0EEENS1_30default_config_static_selectorELNS0_4arch9wavefront6targetE1EEEvT1_, .Lfunc_end334-_ZN7rocprim17ROCPRIM_400000_NS6detail17trampoline_kernelINS0_14default_configENS1_20scan_config_selectorIxEEZZNS1_9scan_implILNS1_25lookback_scan_determinismE0ELb0ELb1ES3_N6thrust23THRUST_200600_302600_NS6detail15normal_iteratorINS9_10device_ptrIxEEEESE_xNS9_10multipliesIxEExEEDaPvRmT3_T4_T5_mT6_P12ihipStream_tbENKUlT_T0_E_clISt17integral_constantIbLb0EEST_IbLb1EEEEDaSP_SQ_EUlSP_E0_NS1_11comp_targetILNS1_3genE5ELNS1_11target_archE942ELNS1_3gpuE9ELNS1_3repE0EEENS1_30default_config_static_selectorELNS0_4arch9wavefront6targetE1EEEvT1_
                                        ; -- End function
	.section	.AMDGPU.csdata,"",@progbits
; Kernel info:
; codeLenInByte = 0
; NumSgprs: 4
; NumVgprs: 0
; NumAgprs: 0
; TotalNumVgprs: 0
; ScratchSize: 0
; MemoryBound: 0
; FloatMode: 240
; IeeeMode: 1
; LDSByteSize: 0 bytes/workgroup (compile time only)
; SGPRBlocks: 0
; VGPRBlocks: 0
; NumSGPRsForWavesPerEU: 4
; NumVGPRsForWavesPerEU: 1
; AccumOffset: 4
; Occupancy: 8
; WaveLimiterHint : 0
; COMPUTE_PGM_RSRC2:SCRATCH_EN: 0
; COMPUTE_PGM_RSRC2:USER_SGPR: 6
; COMPUTE_PGM_RSRC2:TRAP_HANDLER: 0
; COMPUTE_PGM_RSRC2:TGID_X_EN: 1
; COMPUTE_PGM_RSRC2:TGID_Y_EN: 0
; COMPUTE_PGM_RSRC2:TGID_Z_EN: 0
; COMPUTE_PGM_RSRC2:TIDIG_COMP_CNT: 0
; COMPUTE_PGM_RSRC3_GFX90A:ACCUM_OFFSET: 0
; COMPUTE_PGM_RSRC3_GFX90A:TG_SPLIT: 0
	.section	.text._ZN7rocprim17ROCPRIM_400000_NS6detail17trampoline_kernelINS0_14default_configENS1_20scan_config_selectorIxEEZZNS1_9scan_implILNS1_25lookback_scan_determinismE0ELb0ELb1ES3_N6thrust23THRUST_200600_302600_NS6detail15normal_iteratorINS9_10device_ptrIxEEEESE_xNS9_10multipliesIxEExEEDaPvRmT3_T4_T5_mT6_P12ihipStream_tbENKUlT_T0_E_clISt17integral_constantIbLb0EEST_IbLb1EEEEDaSP_SQ_EUlSP_E0_NS1_11comp_targetILNS1_3genE4ELNS1_11target_archE910ELNS1_3gpuE8ELNS1_3repE0EEENS1_30default_config_static_selectorELNS0_4arch9wavefront6targetE1EEEvT1_,"axG",@progbits,_ZN7rocprim17ROCPRIM_400000_NS6detail17trampoline_kernelINS0_14default_configENS1_20scan_config_selectorIxEEZZNS1_9scan_implILNS1_25lookback_scan_determinismE0ELb0ELb1ES3_N6thrust23THRUST_200600_302600_NS6detail15normal_iteratorINS9_10device_ptrIxEEEESE_xNS9_10multipliesIxEExEEDaPvRmT3_T4_T5_mT6_P12ihipStream_tbENKUlT_T0_E_clISt17integral_constantIbLb0EEST_IbLb1EEEEDaSP_SQ_EUlSP_E0_NS1_11comp_targetILNS1_3genE4ELNS1_11target_archE910ELNS1_3gpuE8ELNS1_3repE0EEENS1_30default_config_static_selectorELNS0_4arch9wavefront6targetE1EEEvT1_,comdat
	.protected	_ZN7rocprim17ROCPRIM_400000_NS6detail17trampoline_kernelINS0_14default_configENS1_20scan_config_selectorIxEEZZNS1_9scan_implILNS1_25lookback_scan_determinismE0ELb0ELb1ES3_N6thrust23THRUST_200600_302600_NS6detail15normal_iteratorINS9_10device_ptrIxEEEESE_xNS9_10multipliesIxEExEEDaPvRmT3_T4_T5_mT6_P12ihipStream_tbENKUlT_T0_E_clISt17integral_constantIbLb0EEST_IbLb1EEEEDaSP_SQ_EUlSP_E0_NS1_11comp_targetILNS1_3genE4ELNS1_11target_archE910ELNS1_3gpuE8ELNS1_3repE0EEENS1_30default_config_static_selectorELNS0_4arch9wavefront6targetE1EEEvT1_ ; -- Begin function _ZN7rocprim17ROCPRIM_400000_NS6detail17trampoline_kernelINS0_14default_configENS1_20scan_config_selectorIxEEZZNS1_9scan_implILNS1_25lookback_scan_determinismE0ELb0ELb1ES3_N6thrust23THRUST_200600_302600_NS6detail15normal_iteratorINS9_10device_ptrIxEEEESE_xNS9_10multipliesIxEExEEDaPvRmT3_T4_T5_mT6_P12ihipStream_tbENKUlT_T0_E_clISt17integral_constantIbLb0EEST_IbLb1EEEEDaSP_SQ_EUlSP_E0_NS1_11comp_targetILNS1_3genE4ELNS1_11target_archE910ELNS1_3gpuE8ELNS1_3repE0EEENS1_30default_config_static_selectorELNS0_4arch9wavefront6targetE1EEEvT1_
	.globl	_ZN7rocprim17ROCPRIM_400000_NS6detail17trampoline_kernelINS0_14default_configENS1_20scan_config_selectorIxEEZZNS1_9scan_implILNS1_25lookback_scan_determinismE0ELb0ELb1ES3_N6thrust23THRUST_200600_302600_NS6detail15normal_iteratorINS9_10device_ptrIxEEEESE_xNS9_10multipliesIxEExEEDaPvRmT3_T4_T5_mT6_P12ihipStream_tbENKUlT_T0_E_clISt17integral_constantIbLb0EEST_IbLb1EEEEDaSP_SQ_EUlSP_E0_NS1_11comp_targetILNS1_3genE4ELNS1_11target_archE910ELNS1_3gpuE8ELNS1_3repE0EEENS1_30default_config_static_selectorELNS0_4arch9wavefront6targetE1EEEvT1_
	.p2align	8
	.type	_ZN7rocprim17ROCPRIM_400000_NS6detail17trampoline_kernelINS0_14default_configENS1_20scan_config_selectorIxEEZZNS1_9scan_implILNS1_25lookback_scan_determinismE0ELb0ELb1ES3_N6thrust23THRUST_200600_302600_NS6detail15normal_iteratorINS9_10device_ptrIxEEEESE_xNS9_10multipliesIxEExEEDaPvRmT3_T4_T5_mT6_P12ihipStream_tbENKUlT_T0_E_clISt17integral_constantIbLb0EEST_IbLb1EEEEDaSP_SQ_EUlSP_E0_NS1_11comp_targetILNS1_3genE4ELNS1_11target_archE910ELNS1_3gpuE8ELNS1_3repE0EEENS1_30default_config_static_selectorELNS0_4arch9wavefront6targetE1EEEvT1_,@function
_ZN7rocprim17ROCPRIM_400000_NS6detail17trampoline_kernelINS0_14default_configENS1_20scan_config_selectorIxEEZZNS1_9scan_implILNS1_25lookback_scan_determinismE0ELb0ELb1ES3_N6thrust23THRUST_200600_302600_NS6detail15normal_iteratorINS9_10device_ptrIxEEEESE_xNS9_10multipliesIxEExEEDaPvRmT3_T4_T5_mT6_P12ihipStream_tbENKUlT_T0_E_clISt17integral_constantIbLb0EEST_IbLb1EEEEDaSP_SQ_EUlSP_E0_NS1_11comp_targetILNS1_3genE4ELNS1_11target_archE910ELNS1_3gpuE8ELNS1_3repE0EEENS1_30default_config_static_selectorELNS0_4arch9wavefront6targetE1EEEvT1_: ; @_ZN7rocprim17ROCPRIM_400000_NS6detail17trampoline_kernelINS0_14default_configENS1_20scan_config_selectorIxEEZZNS1_9scan_implILNS1_25lookback_scan_determinismE0ELb0ELb1ES3_N6thrust23THRUST_200600_302600_NS6detail15normal_iteratorINS9_10device_ptrIxEEEESE_xNS9_10multipliesIxEExEEDaPvRmT3_T4_T5_mT6_P12ihipStream_tbENKUlT_T0_E_clISt17integral_constantIbLb0EEST_IbLb1EEEEDaSP_SQ_EUlSP_E0_NS1_11comp_targetILNS1_3genE4ELNS1_11target_archE910ELNS1_3gpuE8ELNS1_3repE0EEENS1_30default_config_static_selectorELNS0_4arch9wavefront6targetE1EEEvT1_
; %bb.0:
	s_load_dwordx4 s[16:19], s[4:5], 0x0
	v_lshlrev_b32_e32 v30, 3, v0
	s_waitcnt lgkmcnt(0)
	s_load_dwordx2 s[14:15], s[16:17], 0x0
	v_cmp_gt_u32_e32 vcc, s18, v0
	s_waitcnt lgkmcnt(0)
	v_pk_mov_b32 v[2:3], s[14:15], s[14:15] op_sel:[0,1]
	s_and_saveexec_b64 s[0:1], vcc
	s_cbranch_execz .LBB335_2
; %bb.1:
	global_load_dwordx2 v[2:3], v30, s[16:17]
.LBB335_2:
	s_or_b64 exec, exec, s[0:1]
	v_or_b32_e32 v1, 0x80, v0
	v_cmp_gt_u32_e64 s[0:1], s18, v1
	v_pk_mov_b32 v[4:5], s[14:15], s[14:15] op_sel:[0,1]
	s_and_saveexec_b64 s[2:3], s[0:1]
	s_cbranch_execz .LBB335_4
; %bb.3:
	global_load_dwordx2 v[4:5], v30, s[16:17] offset:1024
.LBB335_4:
	s_or_b64 exec, exec, s[2:3]
	v_or_b32_e32 v1, 0x100, v0
	v_cmp_gt_u32_e64 s[2:3], s18, v1
	v_pk_mov_b32 v[6:7], s[14:15], s[14:15] op_sel:[0,1]
	s_and_saveexec_b64 s[6:7], s[2:3]
	s_cbranch_execz .LBB335_6
; %bb.5:
	global_load_dwordx2 v[6:7], v30, s[16:17] offset:2048
.LBB335_6:
	;; [unrolled: 9-line block ×3, first 2 shown]
	s_or_b64 exec, exec, s[6:7]
	v_or_b32_e32 v1, 0x200, v0
	v_cmp_gt_u32_e64 s[6:7], s18, v1
	v_pk_mov_b32 v[10:11], s[14:15], s[14:15] op_sel:[0,1]
	s_and_saveexec_b64 s[8:9], s[6:7]
	s_cbranch_execz .LBB335_10
; %bb.9:
	v_lshlrev_b32_e32 v1, 3, v1
	global_load_dwordx2 v[10:11], v1, s[16:17]
.LBB335_10:
	s_or_b64 exec, exec, s[8:9]
	v_or_b32_e32 v1, 0x280, v0
	v_cmp_gt_u32_e64 s[8:9], s18, v1
	v_pk_mov_b32 v[12:13], s[14:15], s[14:15] op_sel:[0,1]
	s_and_saveexec_b64 s[10:11], s[8:9]
	s_cbranch_execz .LBB335_12
; %bb.11:
	v_lshlrev_b32_e32 v1, 3, v1
	global_load_dwordx2 v[12:13], v1, s[16:17]
.LBB335_12:
	s_or_b64 exec, exec, s[10:11]
	s_load_dwordx2 s[20:21], s[4:5], 0x10
	v_or_b32_e32 v1, 0x300, v0
	v_cmp_gt_u32_e64 s[10:11], s18, v1
	v_pk_mov_b32 v[14:15], s[14:15], s[14:15] op_sel:[0,1]
	s_and_saveexec_b64 s[14:15], s[10:11]
	s_cbranch_execz .LBB335_14
; %bb.13:
	v_lshlrev_b32_e32 v1, 3, v1
	global_load_dwordx2 v[14:15], v1, s[16:17]
.LBB335_14:
	s_or_b64 exec, exec, s[14:15]
	v_mad_u32_u24 v1, v0, 48, v30
	s_waitcnt vmcnt(0)
	ds_write2st64_b64 v30, v[2:3], v[4:5] offset1:2
	ds_write2st64_b64 v30, v[6:7], v[8:9] offset0:4 offset1:6
	ds_write2st64_b64 v30, v[10:11], v[12:13] offset0:8 offset1:10
	ds_write_b64 v30, v[14:15] offset:6144
	s_waitcnt lgkmcnt(0)
	s_barrier
	ds_read2_b64 v[6:9], v1 offset1:1
	ds_read2_b64 v[10:13], v1 offset0:2 offset1:3
	ds_read2_b64 v[2:5], v1 offset0:4 offset1:5
	ds_read_b64 v[18:19], v1 offset:48
	s_load_dwordx2 s[14:15], s[4:5], 0x20
	s_waitcnt lgkmcnt(0)
	v_mul_lo_u32 v1, v9, v6
	v_mul_lo_u32 v14, v8, v7
	v_mad_u64_u32 v[20:21], s[4:5], v8, v6, 0
	v_add3_u32 v21, v21, v14, v1
	v_mul_lo_u32 v1, v21, v10
	v_mul_lo_u32 v14, v20, v11
	v_mad_u64_u32 v[22:23], s[4:5], v20, v10, 0
	v_add3_u32 v23, v23, v14, v1
	;; [unrolled: 4-line block ×6, first 2 shown]
	v_lshrrev_b32_e32 v1, 2, v0
	v_and_b32_e32 v1, 24, v1
	v_add_u32_e32 v1, v30, v1
	v_cmp_gt_u32_e64 s[4:5], 64, v0
	s_barrier
	ds_write_b64 v1, v[28:29]
	s_waitcnt lgkmcnt(0)
	s_barrier
	s_and_saveexec_b64 s[16:17], s[4:5]
	s_cbranch_execz .LBB335_28
; %bb.15:
	v_lshlrev_b32_e32 v1, 1, v0
	v_lshrrev_b32_e32 v14, 4, v0
	v_add_lshl_u32 v1, v14, v1, 3
	ds_read2_b64 v[14:17], v1 offset1:1
	s_waitcnt lgkmcnt(0)
	v_mul_lo_u32 v31, v17, v14
	v_mul_lo_u32 v32, v16, v15
	v_mad_u64_u32 v[16:17], s[4:5], v16, v14, 0
	v_add3_u32 v17, v17, v32, v31
	v_mbcnt_lo_u32_b32 v31, -1, 0
	v_mbcnt_hi_u32_b32 v31, -1, v31
	v_and_b32_e32 v32, 15, v31
	v_mov_b32_dpp v33, v16 row_shr:1 row_mask:0xf bank_mask:0xf
	v_mov_b32_dpp v34, v17 row_shr:1 row_mask:0xf bank_mask:0xf
	v_cmp_ne_u32_e64 s[4:5], 0, v32
	s_and_saveexec_b64 s[18:19], s[4:5]
; %bb.16:
	v_mul_lo_u32 v34, v34, v16
	v_mul_lo_u32 v35, v33, v17
	v_mad_u64_u32 v[16:17], s[4:5], v33, v16, 0
	v_add3_u32 v17, v17, v35, v34
; %bb.17:
	s_or_b64 exec, exec, s[18:19]
	v_mov_b32_dpp v33, v16 row_shr:2 row_mask:0xf bank_mask:0xf
	v_mov_b32_dpp v34, v17 row_shr:2 row_mask:0xf bank_mask:0xf
	v_cmp_lt_u32_e64 s[4:5], 1, v32
	s_and_saveexec_b64 s[18:19], s[4:5]
; %bb.18:
	v_mul_lo_u32 v34, v34, v16
	v_mul_lo_u32 v35, v33, v17
	v_mad_u64_u32 v[16:17], s[4:5], v33, v16, 0
	v_add3_u32 v17, v17, v35, v34
; %bb.19:
	s_or_b64 exec, exec, s[18:19]
	v_mov_b32_dpp v33, v16 row_shr:4 row_mask:0xf bank_mask:0xf
	v_mov_b32_dpp v34, v17 row_shr:4 row_mask:0xf bank_mask:0xf
	v_cmp_lt_u32_e64 s[4:5], 3, v32
	;; [unrolled: 11-line block ×3, first 2 shown]
	s_and_saveexec_b64 s[18:19], s[4:5]
; %bb.22:
	v_mul_lo_u32 v32, v34, v16
	v_mul_lo_u32 v34, v33, v17
	v_mad_u64_u32 v[16:17], s[4:5], v33, v16, 0
	v_add3_u32 v17, v17, v34, v32
; %bb.23:
	s_or_b64 exec, exec, s[18:19]
	v_and_b32_e32 v34, 16, v31
	v_mov_b32_dpp v32, v16 row_bcast:15 row_mask:0xf bank_mask:0xf
	v_mov_b32_dpp v33, v17 row_bcast:15 row_mask:0xf bank_mask:0xf
	v_cmp_ne_u32_e64 s[4:5], 0, v34
	s_and_saveexec_b64 s[18:19], s[4:5]
; %bb.24:
	v_mul_lo_u32 v33, v33, v16
	v_mul_lo_u32 v34, v32, v17
	v_mad_u64_u32 v[16:17], s[4:5], v32, v16, 0
	v_add3_u32 v17, v17, v34, v33
; %bb.25:
	s_or_b64 exec, exec, s[18:19]
	v_mov_b32_dpp v32, v16 row_bcast:31 row_mask:0xf bank_mask:0xf
	v_mov_b32_dpp v33, v17 row_bcast:31 row_mask:0xf bank_mask:0xf
	v_cmp_lt_u32_e64 s[4:5], 31, v31
	s_and_saveexec_b64 s[18:19], s[4:5]
; %bb.26:
	v_mul_lo_u32 v33, v33, v16
	v_mul_lo_u32 v34, v32, v17
	v_mad_u64_u32 v[16:17], s[4:5], v32, v16, 0
	v_add3_u32 v17, v17, v34, v33
; %bb.27:
	s_or_b64 exec, exec, s[18:19]
	v_add_u32_e32 v32, -1, v31
	v_and_b32_e32 v33, 64, v31
	v_cmp_lt_i32_e64 s[4:5], v32, v33
	v_cndmask_b32_e64 v31, v32, v31, s[4:5]
	v_lshlrev_b32_e32 v31, 2, v31
	ds_bpermute_b32 v17, v31, v17
	ds_bpermute_b32 v16, v31, v16
	; wave barrier
	s_waitcnt lgkmcnt(1)
	v_mul_lo_u32 v17, v17, v14
	s_waitcnt lgkmcnt(0)
	v_mul_lo_u32 v31, v16, v15
	v_mad_u64_u32 v[14:15], s[4:5], v16, v14, 0
	v_add3_u32 v15, v15, v31, v17
	v_cmp_eq_u32_e64 s[4:5], 0, v0
	v_cndmask_b32_e64 v15, v15, v29, s[4:5]
	v_cndmask_b32_e64 v14, v14, v28, s[4:5]
	ds_write_b64 v1, v[14:15]
	; wave barrier
	ds_read_b64 v[16:17], v1 offset:8
	s_waitcnt lgkmcnt(0)
	v_mul_lo_u32 v31, v16, v15
	v_mul_lo_u32 v17, v17, v14
	v_mad_u64_u32 v[14:15], s[4:5], v16, v14, 0
	v_add3_u32 v15, v15, v31, v17
	ds_write_b64 v1, v[14:15] offset:8
.LBB335_28:
	s_or_b64 exec, exec, s[16:17]
	v_mul_u32_u24_e32 v1, 48, v0
	v_cmp_ne_u32_e64 s[4:5], 0, v0
	s_waitcnt lgkmcnt(0)
	s_barrier
	s_and_saveexec_b64 s[16:17], s[4:5]
	s_cbranch_execz .LBB335_30
; %bb.29:
	v_add_u32_e32 v0, -1, v0
	v_lshrrev_b32_e32 v14, 5, v0
	v_add_lshl_u32 v0, v14, v0, 3
	ds_read_b64 v[28:29], v0
.LBB335_30:
	s_or_b64 exec, exec, s[16:17]
	s_and_saveexec_b64 s[16:17], s[4:5]
	s_cbranch_execz .LBB335_32
; %bb.31:
	s_waitcnt lgkmcnt(0)
	v_mul_lo_u32 v0, v29, v6
	v_mul_lo_u32 v14, v28, v7
	v_mad_u64_u32 v[6:7], s[4:5], v28, v6, 0
	v_add3_u32 v7, v7, v14, v0
	v_mul_lo_u32 v0, v7, v8
	v_mul_lo_u32 v9, v6, v9
	v_mad_u64_u32 v[20:21], s[4:5], v6, v8, 0
	v_add3_u32 v21, v21, v9, v0
	;; [unrolled: 4-line block ×5, first 2 shown]
	;;#ASMSTART
	;;#ASMEND
.LBB335_32:
	s_or_b64 exec, exec, s[16:17]
	v_mul_lo_u32 v0, v7, s20
	v_mul_lo_u32 v7, v6, s21
	v_mad_u64_u32 v[2:3], s[4:5], v6, s20, 0
	v_add3_u32 v3, v3, v7, v0
	v_mul_lo_u32 v0, v21, s20
	v_mul_lo_u32 v8, v20, s21
	v_mad_u64_u32 v[6:7], s[4:5], v20, s20, 0
	v_add3_u32 v7, v7, v8, v0
	;; [unrolled: 4-line block ×7, first 2 shown]
	v_add_u32_e32 v0, v30, v1
	s_waitcnt lgkmcnt(0)
	s_barrier
	ds_write2_b64 v0, v[2:3], v[6:7] offset1:1
	ds_write2_b64 v0, v[8:9], v[10:11] offset0:2 offset1:3
	ds_write2_b64 v0, v[12:13], v[4:5] offset0:4 offset1:5
	ds_write_b64 v0, v[14:15] offset:48
	s_waitcnt lgkmcnt(0)
	s_barrier
	ds_read2st64_b64 v[8:11], v30 offset0:2 offset1:4
	ds_read2st64_b64 v[4:7], v30 offset0:6 offset1:8
	;; [unrolled: 1-line block ×3, first 2 shown]
	v_mov_b32_e32 v13, s15
	v_add_co_u32_e64 v12, s[4:5], s14, v30
	v_addc_co_u32_e64 v13, s[4:5], 0, v13, s[4:5]
	s_and_saveexec_b64 s[4:5], vcc
	s_cbranch_execnz .LBB335_40
; %bb.33:
	s_or_b64 exec, exec, s[4:5]
	s_and_saveexec_b64 s[4:5], s[0:1]
	s_cbranch_execnz .LBB335_41
.LBB335_34:
	s_or_b64 exec, exec, s[4:5]
	s_and_saveexec_b64 s[0:1], s[2:3]
	s_cbranch_execnz .LBB335_42
.LBB335_35:
	s_or_b64 exec, exec, s[0:1]
	s_and_saveexec_b64 s[0:1], s[12:13]
	s_cbranch_execnz .LBB335_43
.LBB335_36:
	s_or_b64 exec, exec, s[0:1]
	s_and_saveexec_b64 s[0:1], s[6:7]
	s_cbranch_execnz .LBB335_44
.LBB335_37:
	s_or_b64 exec, exec, s[0:1]
	s_and_saveexec_b64 s[0:1], s[8:9]
	s_cbranch_execnz .LBB335_45
.LBB335_38:
	s_or_b64 exec, exec, s[0:1]
	s_and_saveexec_b64 s[0:1], s[10:11]
	s_cbranch_execnz .LBB335_46
.LBB335_39:
	s_endpgm
.LBB335_40:
	ds_read_b64 v[14:15], v30
	s_waitcnt lgkmcnt(0)
	global_store_dwordx2 v[12:13], v[14:15], off
	s_or_b64 exec, exec, s[4:5]
	s_and_saveexec_b64 s[4:5], s[0:1]
	s_cbranch_execz .LBB335_34
.LBB335_41:
	s_waitcnt lgkmcnt(2)
	global_store_dwordx2 v[12:13], v[8:9], off offset:1024
	s_or_b64 exec, exec, s[4:5]
	s_and_saveexec_b64 s[0:1], s[2:3]
	s_cbranch_execz .LBB335_35
.LBB335_42:
	s_waitcnt lgkmcnt(2)
	global_store_dwordx2 v[12:13], v[10:11], off offset:2048
	s_or_b64 exec, exec, s[0:1]
	s_and_saveexec_b64 s[0:1], s[12:13]
	s_cbranch_execz .LBB335_36
.LBB335_43:
	s_waitcnt lgkmcnt(1)
	global_store_dwordx2 v[12:13], v[4:5], off offset:3072
	s_or_b64 exec, exec, s[0:1]
	s_and_saveexec_b64 s[0:1], s[6:7]
	s_cbranch_execz .LBB335_37
.LBB335_44:
	s_waitcnt lgkmcnt(1)
	v_add_co_u32_e32 v4, vcc, 0x1000, v12
	v_addc_co_u32_e32 v5, vcc, 0, v13, vcc
	global_store_dwordx2 v[4:5], v[6:7], off
	s_or_b64 exec, exec, s[0:1]
	s_and_saveexec_b64 s[0:1], s[8:9]
	s_cbranch_execz .LBB335_38
.LBB335_45:
	s_waitcnt lgkmcnt(1)
	v_add_co_u32_e32 v4, vcc, 0x1000, v12
	v_addc_co_u32_e32 v5, vcc, 0, v13, vcc
	s_waitcnt lgkmcnt(0)
	global_store_dwordx2 v[4:5], v[0:1], off offset:1024
	s_or_b64 exec, exec, s[0:1]
	s_and_saveexec_b64 s[0:1], s[10:11]
	s_cbranch_execz .LBB335_39
.LBB335_46:
	s_waitcnt lgkmcnt(0)
	v_add_co_u32_e32 v0, vcc, 0x1000, v12
	v_addc_co_u32_e32 v1, vcc, 0, v13, vcc
	global_store_dwordx2 v[0:1], v[2:3], off offset:2048
	s_endpgm
	.section	.rodata,"a",@progbits
	.p2align	6, 0x0
	.amdhsa_kernel _ZN7rocprim17ROCPRIM_400000_NS6detail17trampoline_kernelINS0_14default_configENS1_20scan_config_selectorIxEEZZNS1_9scan_implILNS1_25lookback_scan_determinismE0ELb0ELb1ES3_N6thrust23THRUST_200600_302600_NS6detail15normal_iteratorINS9_10device_ptrIxEEEESE_xNS9_10multipliesIxEExEEDaPvRmT3_T4_T5_mT6_P12ihipStream_tbENKUlT_T0_E_clISt17integral_constantIbLb0EEST_IbLb1EEEEDaSP_SQ_EUlSP_E0_NS1_11comp_targetILNS1_3genE4ELNS1_11target_archE910ELNS1_3gpuE8ELNS1_3repE0EEENS1_30default_config_static_selectorELNS0_4arch9wavefront6targetE1EEEvT1_
		.amdhsa_group_segment_fixed_size 7168
		.amdhsa_private_segment_fixed_size 0
		.amdhsa_kernarg_size 40
		.amdhsa_user_sgpr_count 6
		.amdhsa_user_sgpr_private_segment_buffer 1
		.amdhsa_user_sgpr_dispatch_ptr 0
		.amdhsa_user_sgpr_queue_ptr 0
		.amdhsa_user_sgpr_kernarg_segment_ptr 1
		.amdhsa_user_sgpr_dispatch_id 0
		.amdhsa_user_sgpr_flat_scratch_init 0
		.amdhsa_user_sgpr_kernarg_preload_length 0
		.amdhsa_user_sgpr_kernarg_preload_offset 0
		.amdhsa_user_sgpr_private_segment_size 0
		.amdhsa_uses_dynamic_stack 0
		.amdhsa_system_sgpr_private_segment_wavefront_offset 0
		.amdhsa_system_sgpr_workgroup_id_x 1
		.amdhsa_system_sgpr_workgroup_id_y 0
		.amdhsa_system_sgpr_workgroup_id_z 0
		.amdhsa_system_sgpr_workgroup_info 0
		.amdhsa_system_vgpr_workitem_id 0
		.amdhsa_next_free_vgpr 36
		.amdhsa_next_free_sgpr 22
		.amdhsa_accum_offset 36
		.amdhsa_reserve_vcc 1
		.amdhsa_reserve_flat_scratch 0
		.amdhsa_float_round_mode_32 0
		.amdhsa_float_round_mode_16_64 0
		.amdhsa_float_denorm_mode_32 3
		.amdhsa_float_denorm_mode_16_64 3
		.amdhsa_dx10_clamp 1
		.amdhsa_ieee_mode 1
		.amdhsa_fp16_overflow 0
		.amdhsa_tg_split 0
		.amdhsa_exception_fp_ieee_invalid_op 0
		.amdhsa_exception_fp_denorm_src 0
		.amdhsa_exception_fp_ieee_div_zero 0
		.amdhsa_exception_fp_ieee_overflow 0
		.amdhsa_exception_fp_ieee_underflow 0
		.amdhsa_exception_fp_ieee_inexact 0
		.amdhsa_exception_int_div_zero 0
	.end_amdhsa_kernel
	.section	.text._ZN7rocprim17ROCPRIM_400000_NS6detail17trampoline_kernelINS0_14default_configENS1_20scan_config_selectorIxEEZZNS1_9scan_implILNS1_25lookback_scan_determinismE0ELb0ELb1ES3_N6thrust23THRUST_200600_302600_NS6detail15normal_iteratorINS9_10device_ptrIxEEEESE_xNS9_10multipliesIxEExEEDaPvRmT3_T4_T5_mT6_P12ihipStream_tbENKUlT_T0_E_clISt17integral_constantIbLb0EEST_IbLb1EEEEDaSP_SQ_EUlSP_E0_NS1_11comp_targetILNS1_3genE4ELNS1_11target_archE910ELNS1_3gpuE8ELNS1_3repE0EEENS1_30default_config_static_selectorELNS0_4arch9wavefront6targetE1EEEvT1_,"axG",@progbits,_ZN7rocprim17ROCPRIM_400000_NS6detail17trampoline_kernelINS0_14default_configENS1_20scan_config_selectorIxEEZZNS1_9scan_implILNS1_25lookback_scan_determinismE0ELb0ELb1ES3_N6thrust23THRUST_200600_302600_NS6detail15normal_iteratorINS9_10device_ptrIxEEEESE_xNS9_10multipliesIxEExEEDaPvRmT3_T4_T5_mT6_P12ihipStream_tbENKUlT_T0_E_clISt17integral_constantIbLb0EEST_IbLb1EEEEDaSP_SQ_EUlSP_E0_NS1_11comp_targetILNS1_3genE4ELNS1_11target_archE910ELNS1_3gpuE8ELNS1_3repE0EEENS1_30default_config_static_selectorELNS0_4arch9wavefront6targetE1EEEvT1_,comdat
.Lfunc_end335:
	.size	_ZN7rocprim17ROCPRIM_400000_NS6detail17trampoline_kernelINS0_14default_configENS1_20scan_config_selectorIxEEZZNS1_9scan_implILNS1_25lookback_scan_determinismE0ELb0ELb1ES3_N6thrust23THRUST_200600_302600_NS6detail15normal_iteratorINS9_10device_ptrIxEEEESE_xNS9_10multipliesIxEExEEDaPvRmT3_T4_T5_mT6_P12ihipStream_tbENKUlT_T0_E_clISt17integral_constantIbLb0EEST_IbLb1EEEEDaSP_SQ_EUlSP_E0_NS1_11comp_targetILNS1_3genE4ELNS1_11target_archE910ELNS1_3gpuE8ELNS1_3repE0EEENS1_30default_config_static_selectorELNS0_4arch9wavefront6targetE1EEEvT1_, .Lfunc_end335-_ZN7rocprim17ROCPRIM_400000_NS6detail17trampoline_kernelINS0_14default_configENS1_20scan_config_selectorIxEEZZNS1_9scan_implILNS1_25lookback_scan_determinismE0ELb0ELb1ES3_N6thrust23THRUST_200600_302600_NS6detail15normal_iteratorINS9_10device_ptrIxEEEESE_xNS9_10multipliesIxEExEEDaPvRmT3_T4_T5_mT6_P12ihipStream_tbENKUlT_T0_E_clISt17integral_constantIbLb0EEST_IbLb1EEEEDaSP_SQ_EUlSP_E0_NS1_11comp_targetILNS1_3genE4ELNS1_11target_archE910ELNS1_3gpuE8ELNS1_3repE0EEENS1_30default_config_static_selectorELNS0_4arch9wavefront6targetE1EEEvT1_
                                        ; -- End function
	.section	.AMDGPU.csdata,"",@progbits
; Kernel info:
; codeLenInByte = 2164
; NumSgprs: 26
; NumVgprs: 36
; NumAgprs: 0
; TotalNumVgprs: 36
; ScratchSize: 0
; MemoryBound: 0
; FloatMode: 240
; IeeeMode: 1
; LDSByteSize: 7168 bytes/workgroup (compile time only)
; SGPRBlocks: 3
; VGPRBlocks: 4
; NumSGPRsForWavesPerEU: 26
; NumVGPRsForWavesPerEU: 36
; AccumOffset: 36
; Occupancy: 5
; WaveLimiterHint : 0
; COMPUTE_PGM_RSRC2:SCRATCH_EN: 0
; COMPUTE_PGM_RSRC2:USER_SGPR: 6
; COMPUTE_PGM_RSRC2:TRAP_HANDLER: 0
; COMPUTE_PGM_RSRC2:TGID_X_EN: 1
; COMPUTE_PGM_RSRC2:TGID_Y_EN: 0
; COMPUTE_PGM_RSRC2:TGID_Z_EN: 0
; COMPUTE_PGM_RSRC2:TIDIG_COMP_CNT: 0
; COMPUTE_PGM_RSRC3_GFX90A:ACCUM_OFFSET: 8
; COMPUTE_PGM_RSRC3_GFX90A:TG_SPLIT: 0
	.section	.text._ZN7rocprim17ROCPRIM_400000_NS6detail17trampoline_kernelINS0_14default_configENS1_20scan_config_selectorIxEEZZNS1_9scan_implILNS1_25lookback_scan_determinismE0ELb0ELb1ES3_N6thrust23THRUST_200600_302600_NS6detail15normal_iteratorINS9_10device_ptrIxEEEESE_xNS9_10multipliesIxEExEEDaPvRmT3_T4_T5_mT6_P12ihipStream_tbENKUlT_T0_E_clISt17integral_constantIbLb0EEST_IbLb1EEEEDaSP_SQ_EUlSP_E0_NS1_11comp_targetILNS1_3genE3ELNS1_11target_archE908ELNS1_3gpuE7ELNS1_3repE0EEENS1_30default_config_static_selectorELNS0_4arch9wavefront6targetE1EEEvT1_,"axG",@progbits,_ZN7rocprim17ROCPRIM_400000_NS6detail17trampoline_kernelINS0_14default_configENS1_20scan_config_selectorIxEEZZNS1_9scan_implILNS1_25lookback_scan_determinismE0ELb0ELb1ES3_N6thrust23THRUST_200600_302600_NS6detail15normal_iteratorINS9_10device_ptrIxEEEESE_xNS9_10multipliesIxEExEEDaPvRmT3_T4_T5_mT6_P12ihipStream_tbENKUlT_T0_E_clISt17integral_constantIbLb0EEST_IbLb1EEEEDaSP_SQ_EUlSP_E0_NS1_11comp_targetILNS1_3genE3ELNS1_11target_archE908ELNS1_3gpuE7ELNS1_3repE0EEENS1_30default_config_static_selectorELNS0_4arch9wavefront6targetE1EEEvT1_,comdat
	.protected	_ZN7rocprim17ROCPRIM_400000_NS6detail17trampoline_kernelINS0_14default_configENS1_20scan_config_selectorIxEEZZNS1_9scan_implILNS1_25lookback_scan_determinismE0ELb0ELb1ES3_N6thrust23THRUST_200600_302600_NS6detail15normal_iteratorINS9_10device_ptrIxEEEESE_xNS9_10multipliesIxEExEEDaPvRmT3_T4_T5_mT6_P12ihipStream_tbENKUlT_T0_E_clISt17integral_constantIbLb0EEST_IbLb1EEEEDaSP_SQ_EUlSP_E0_NS1_11comp_targetILNS1_3genE3ELNS1_11target_archE908ELNS1_3gpuE7ELNS1_3repE0EEENS1_30default_config_static_selectorELNS0_4arch9wavefront6targetE1EEEvT1_ ; -- Begin function _ZN7rocprim17ROCPRIM_400000_NS6detail17trampoline_kernelINS0_14default_configENS1_20scan_config_selectorIxEEZZNS1_9scan_implILNS1_25lookback_scan_determinismE0ELb0ELb1ES3_N6thrust23THRUST_200600_302600_NS6detail15normal_iteratorINS9_10device_ptrIxEEEESE_xNS9_10multipliesIxEExEEDaPvRmT3_T4_T5_mT6_P12ihipStream_tbENKUlT_T0_E_clISt17integral_constantIbLb0EEST_IbLb1EEEEDaSP_SQ_EUlSP_E0_NS1_11comp_targetILNS1_3genE3ELNS1_11target_archE908ELNS1_3gpuE7ELNS1_3repE0EEENS1_30default_config_static_selectorELNS0_4arch9wavefront6targetE1EEEvT1_
	.globl	_ZN7rocprim17ROCPRIM_400000_NS6detail17trampoline_kernelINS0_14default_configENS1_20scan_config_selectorIxEEZZNS1_9scan_implILNS1_25lookback_scan_determinismE0ELb0ELb1ES3_N6thrust23THRUST_200600_302600_NS6detail15normal_iteratorINS9_10device_ptrIxEEEESE_xNS9_10multipliesIxEExEEDaPvRmT3_T4_T5_mT6_P12ihipStream_tbENKUlT_T0_E_clISt17integral_constantIbLb0EEST_IbLb1EEEEDaSP_SQ_EUlSP_E0_NS1_11comp_targetILNS1_3genE3ELNS1_11target_archE908ELNS1_3gpuE7ELNS1_3repE0EEENS1_30default_config_static_selectorELNS0_4arch9wavefront6targetE1EEEvT1_
	.p2align	8
	.type	_ZN7rocprim17ROCPRIM_400000_NS6detail17trampoline_kernelINS0_14default_configENS1_20scan_config_selectorIxEEZZNS1_9scan_implILNS1_25lookback_scan_determinismE0ELb0ELb1ES3_N6thrust23THRUST_200600_302600_NS6detail15normal_iteratorINS9_10device_ptrIxEEEESE_xNS9_10multipliesIxEExEEDaPvRmT3_T4_T5_mT6_P12ihipStream_tbENKUlT_T0_E_clISt17integral_constantIbLb0EEST_IbLb1EEEEDaSP_SQ_EUlSP_E0_NS1_11comp_targetILNS1_3genE3ELNS1_11target_archE908ELNS1_3gpuE7ELNS1_3repE0EEENS1_30default_config_static_selectorELNS0_4arch9wavefront6targetE1EEEvT1_,@function
_ZN7rocprim17ROCPRIM_400000_NS6detail17trampoline_kernelINS0_14default_configENS1_20scan_config_selectorIxEEZZNS1_9scan_implILNS1_25lookback_scan_determinismE0ELb0ELb1ES3_N6thrust23THRUST_200600_302600_NS6detail15normal_iteratorINS9_10device_ptrIxEEEESE_xNS9_10multipliesIxEExEEDaPvRmT3_T4_T5_mT6_P12ihipStream_tbENKUlT_T0_E_clISt17integral_constantIbLb0EEST_IbLb1EEEEDaSP_SQ_EUlSP_E0_NS1_11comp_targetILNS1_3genE3ELNS1_11target_archE908ELNS1_3gpuE7ELNS1_3repE0EEENS1_30default_config_static_selectorELNS0_4arch9wavefront6targetE1EEEvT1_: ; @_ZN7rocprim17ROCPRIM_400000_NS6detail17trampoline_kernelINS0_14default_configENS1_20scan_config_selectorIxEEZZNS1_9scan_implILNS1_25lookback_scan_determinismE0ELb0ELb1ES3_N6thrust23THRUST_200600_302600_NS6detail15normal_iteratorINS9_10device_ptrIxEEEESE_xNS9_10multipliesIxEExEEDaPvRmT3_T4_T5_mT6_P12ihipStream_tbENKUlT_T0_E_clISt17integral_constantIbLb0EEST_IbLb1EEEEDaSP_SQ_EUlSP_E0_NS1_11comp_targetILNS1_3genE3ELNS1_11target_archE908ELNS1_3gpuE7ELNS1_3repE0EEENS1_30default_config_static_selectorELNS0_4arch9wavefront6targetE1EEEvT1_
; %bb.0:
	.section	.rodata,"a",@progbits
	.p2align	6, 0x0
	.amdhsa_kernel _ZN7rocprim17ROCPRIM_400000_NS6detail17trampoline_kernelINS0_14default_configENS1_20scan_config_selectorIxEEZZNS1_9scan_implILNS1_25lookback_scan_determinismE0ELb0ELb1ES3_N6thrust23THRUST_200600_302600_NS6detail15normal_iteratorINS9_10device_ptrIxEEEESE_xNS9_10multipliesIxEExEEDaPvRmT3_T4_T5_mT6_P12ihipStream_tbENKUlT_T0_E_clISt17integral_constantIbLb0EEST_IbLb1EEEEDaSP_SQ_EUlSP_E0_NS1_11comp_targetILNS1_3genE3ELNS1_11target_archE908ELNS1_3gpuE7ELNS1_3repE0EEENS1_30default_config_static_selectorELNS0_4arch9wavefront6targetE1EEEvT1_
		.amdhsa_group_segment_fixed_size 0
		.amdhsa_private_segment_fixed_size 0
		.amdhsa_kernarg_size 40
		.amdhsa_user_sgpr_count 6
		.amdhsa_user_sgpr_private_segment_buffer 1
		.amdhsa_user_sgpr_dispatch_ptr 0
		.amdhsa_user_sgpr_queue_ptr 0
		.amdhsa_user_sgpr_kernarg_segment_ptr 1
		.amdhsa_user_sgpr_dispatch_id 0
		.amdhsa_user_sgpr_flat_scratch_init 0
		.amdhsa_user_sgpr_kernarg_preload_length 0
		.amdhsa_user_sgpr_kernarg_preload_offset 0
		.amdhsa_user_sgpr_private_segment_size 0
		.amdhsa_uses_dynamic_stack 0
		.amdhsa_system_sgpr_private_segment_wavefront_offset 0
		.amdhsa_system_sgpr_workgroup_id_x 1
		.amdhsa_system_sgpr_workgroup_id_y 0
		.amdhsa_system_sgpr_workgroup_id_z 0
		.amdhsa_system_sgpr_workgroup_info 0
		.amdhsa_system_vgpr_workitem_id 0
		.amdhsa_next_free_vgpr 1
		.amdhsa_next_free_sgpr 0
		.amdhsa_accum_offset 4
		.amdhsa_reserve_vcc 0
		.amdhsa_reserve_flat_scratch 0
		.amdhsa_float_round_mode_32 0
		.amdhsa_float_round_mode_16_64 0
		.amdhsa_float_denorm_mode_32 3
		.amdhsa_float_denorm_mode_16_64 3
		.amdhsa_dx10_clamp 1
		.amdhsa_ieee_mode 1
		.amdhsa_fp16_overflow 0
		.amdhsa_tg_split 0
		.amdhsa_exception_fp_ieee_invalid_op 0
		.amdhsa_exception_fp_denorm_src 0
		.amdhsa_exception_fp_ieee_div_zero 0
		.amdhsa_exception_fp_ieee_overflow 0
		.amdhsa_exception_fp_ieee_underflow 0
		.amdhsa_exception_fp_ieee_inexact 0
		.amdhsa_exception_int_div_zero 0
	.end_amdhsa_kernel
	.section	.text._ZN7rocprim17ROCPRIM_400000_NS6detail17trampoline_kernelINS0_14default_configENS1_20scan_config_selectorIxEEZZNS1_9scan_implILNS1_25lookback_scan_determinismE0ELb0ELb1ES3_N6thrust23THRUST_200600_302600_NS6detail15normal_iteratorINS9_10device_ptrIxEEEESE_xNS9_10multipliesIxEExEEDaPvRmT3_T4_T5_mT6_P12ihipStream_tbENKUlT_T0_E_clISt17integral_constantIbLb0EEST_IbLb1EEEEDaSP_SQ_EUlSP_E0_NS1_11comp_targetILNS1_3genE3ELNS1_11target_archE908ELNS1_3gpuE7ELNS1_3repE0EEENS1_30default_config_static_selectorELNS0_4arch9wavefront6targetE1EEEvT1_,"axG",@progbits,_ZN7rocprim17ROCPRIM_400000_NS6detail17trampoline_kernelINS0_14default_configENS1_20scan_config_selectorIxEEZZNS1_9scan_implILNS1_25lookback_scan_determinismE0ELb0ELb1ES3_N6thrust23THRUST_200600_302600_NS6detail15normal_iteratorINS9_10device_ptrIxEEEESE_xNS9_10multipliesIxEExEEDaPvRmT3_T4_T5_mT6_P12ihipStream_tbENKUlT_T0_E_clISt17integral_constantIbLb0EEST_IbLb1EEEEDaSP_SQ_EUlSP_E0_NS1_11comp_targetILNS1_3genE3ELNS1_11target_archE908ELNS1_3gpuE7ELNS1_3repE0EEENS1_30default_config_static_selectorELNS0_4arch9wavefront6targetE1EEEvT1_,comdat
.Lfunc_end336:
	.size	_ZN7rocprim17ROCPRIM_400000_NS6detail17trampoline_kernelINS0_14default_configENS1_20scan_config_selectorIxEEZZNS1_9scan_implILNS1_25lookback_scan_determinismE0ELb0ELb1ES3_N6thrust23THRUST_200600_302600_NS6detail15normal_iteratorINS9_10device_ptrIxEEEESE_xNS9_10multipliesIxEExEEDaPvRmT3_T4_T5_mT6_P12ihipStream_tbENKUlT_T0_E_clISt17integral_constantIbLb0EEST_IbLb1EEEEDaSP_SQ_EUlSP_E0_NS1_11comp_targetILNS1_3genE3ELNS1_11target_archE908ELNS1_3gpuE7ELNS1_3repE0EEENS1_30default_config_static_selectorELNS0_4arch9wavefront6targetE1EEEvT1_, .Lfunc_end336-_ZN7rocprim17ROCPRIM_400000_NS6detail17trampoline_kernelINS0_14default_configENS1_20scan_config_selectorIxEEZZNS1_9scan_implILNS1_25lookback_scan_determinismE0ELb0ELb1ES3_N6thrust23THRUST_200600_302600_NS6detail15normal_iteratorINS9_10device_ptrIxEEEESE_xNS9_10multipliesIxEExEEDaPvRmT3_T4_T5_mT6_P12ihipStream_tbENKUlT_T0_E_clISt17integral_constantIbLb0EEST_IbLb1EEEEDaSP_SQ_EUlSP_E0_NS1_11comp_targetILNS1_3genE3ELNS1_11target_archE908ELNS1_3gpuE7ELNS1_3repE0EEENS1_30default_config_static_selectorELNS0_4arch9wavefront6targetE1EEEvT1_
                                        ; -- End function
	.section	.AMDGPU.csdata,"",@progbits
; Kernel info:
; codeLenInByte = 0
; NumSgprs: 4
; NumVgprs: 0
; NumAgprs: 0
; TotalNumVgprs: 0
; ScratchSize: 0
; MemoryBound: 0
; FloatMode: 240
; IeeeMode: 1
; LDSByteSize: 0 bytes/workgroup (compile time only)
; SGPRBlocks: 0
; VGPRBlocks: 0
; NumSGPRsForWavesPerEU: 4
; NumVGPRsForWavesPerEU: 1
; AccumOffset: 4
; Occupancy: 8
; WaveLimiterHint : 0
; COMPUTE_PGM_RSRC2:SCRATCH_EN: 0
; COMPUTE_PGM_RSRC2:USER_SGPR: 6
; COMPUTE_PGM_RSRC2:TRAP_HANDLER: 0
; COMPUTE_PGM_RSRC2:TGID_X_EN: 1
; COMPUTE_PGM_RSRC2:TGID_Y_EN: 0
; COMPUTE_PGM_RSRC2:TGID_Z_EN: 0
; COMPUTE_PGM_RSRC2:TIDIG_COMP_CNT: 0
; COMPUTE_PGM_RSRC3_GFX90A:ACCUM_OFFSET: 0
; COMPUTE_PGM_RSRC3_GFX90A:TG_SPLIT: 0
	.section	.text._ZN7rocprim17ROCPRIM_400000_NS6detail17trampoline_kernelINS0_14default_configENS1_20scan_config_selectorIxEEZZNS1_9scan_implILNS1_25lookback_scan_determinismE0ELb0ELb1ES3_N6thrust23THRUST_200600_302600_NS6detail15normal_iteratorINS9_10device_ptrIxEEEESE_xNS9_10multipliesIxEExEEDaPvRmT3_T4_T5_mT6_P12ihipStream_tbENKUlT_T0_E_clISt17integral_constantIbLb0EEST_IbLb1EEEEDaSP_SQ_EUlSP_E0_NS1_11comp_targetILNS1_3genE2ELNS1_11target_archE906ELNS1_3gpuE6ELNS1_3repE0EEENS1_30default_config_static_selectorELNS0_4arch9wavefront6targetE1EEEvT1_,"axG",@progbits,_ZN7rocprim17ROCPRIM_400000_NS6detail17trampoline_kernelINS0_14default_configENS1_20scan_config_selectorIxEEZZNS1_9scan_implILNS1_25lookback_scan_determinismE0ELb0ELb1ES3_N6thrust23THRUST_200600_302600_NS6detail15normal_iteratorINS9_10device_ptrIxEEEESE_xNS9_10multipliesIxEExEEDaPvRmT3_T4_T5_mT6_P12ihipStream_tbENKUlT_T0_E_clISt17integral_constantIbLb0EEST_IbLb1EEEEDaSP_SQ_EUlSP_E0_NS1_11comp_targetILNS1_3genE2ELNS1_11target_archE906ELNS1_3gpuE6ELNS1_3repE0EEENS1_30default_config_static_selectorELNS0_4arch9wavefront6targetE1EEEvT1_,comdat
	.protected	_ZN7rocprim17ROCPRIM_400000_NS6detail17trampoline_kernelINS0_14default_configENS1_20scan_config_selectorIxEEZZNS1_9scan_implILNS1_25lookback_scan_determinismE0ELb0ELb1ES3_N6thrust23THRUST_200600_302600_NS6detail15normal_iteratorINS9_10device_ptrIxEEEESE_xNS9_10multipliesIxEExEEDaPvRmT3_T4_T5_mT6_P12ihipStream_tbENKUlT_T0_E_clISt17integral_constantIbLb0EEST_IbLb1EEEEDaSP_SQ_EUlSP_E0_NS1_11comp_targetILNS1_3genE2ELNS1_11target_archE906ELNS1_3gpuE6ELNS1_3repE0EEENS1_30default_config_static_selectorELNS0_4arch9wavefront6targetE1EEEvT1_ ; -- Begin function _ZN7rocprim17ROCPRIM_400000_NS6detail17trampoline_kernelINS0_14default_configENS1_20scan_config_selectorIxEEZZNS1_9scan_implILNS1_25lookback_scan_determinismE0ELb0ELb1ES3_N6thrust23THRUST_200600_302600_NS6detail15normal_iteratorINS9_10device_ptrIxEEEESE_xNS9_10multipliesIxEExEEDaPvRmT3_T4_T5_mT6_P12ihipStream_tbENKUlT_T0_E_clISt17integral_constantIbLb0EEST_IbLb1EEEEDaSP_SQ_EUlSP_E0_NS1_11comp_targetILNS1_3genE2ELNS1_11target_archE906ELNS1_3gpuE6ELNS1_3repE0EEENS1_30default_config_static_selectorELNS0_4arch9wavefront6targetE1EEEvT1_
	.globl	_ZN7rocprim17ROCPRIM_400000_NS6detail17trampoline_kernelINS0_14default_configENS1_20scan_config_selectorIxEEZZNS1_9scan_implILNS1_25lookback_scan_determinismE0ELb0ELb1ES3_N6thrust23THRUST_200600_302600_NS6detail15normal_iteratorINS9_10device_ptrIxEEEESE_xNS9_10multipliesIxEExEEDaPvRmT3_T4_T5_mT6_P12ihipStream_tbENKUlT_T0_E_clISt17integral_constantIbLb0EEST_IbLb1EEEEDaSP_SQ_EUlSP_E0_NS1_11comp_targetILNS1_3genE2ELNS1_11target_archE906ELNS1_3gpuE6ELNS1_3repE0EEENS1_30default_config_static_selectorELNS0_4arch9wavefront6targetE1EEEvT1_
	.p2align	8
	.type	_ZN7rocprim17ROCPRIM_400000_NS6detail17trampoline_kernelINS0_14default_configENS1_20scan_config_selectorIxEEZZNS1_9scan_implILNS1_25lookback_scan_determinismE0ELb0ELb1ES3_N6thrust23THRUST_200600_302600_NS6detail15normal_iteratorINS9_10device_ptrIxEEEESE_xNS9_10multipliesIxEExEEDaPvRmT3_T4_T5_mT6_P12ihipStream_tbENKUlT_T0_E_clISt17integral_constantIbLb0EEST_IbLb1EEEEDaSP_SQ_EUlSP_E0_NS1_11comp_targetILNS1_3genE2ELNS1_11target_archE906ELNS1_3gpuE6ELNS1_3repE0EEENS1_30default_config_static_selectorELNS0_4arch9wavefront6targetE1EEEvT1_,@function
_ZN7rocprim17ROCPRIM_400000_NS6detail17trampoline_kernelINS0_14default_configENS1_20scan_config_selectorIxEEZZNS1_9scan_implILNS1_25lookback_scan_determinismE0ELb0ELb1ES3_N6thrust23THRUST_200600_302600_NS6detail15normal_iteratorINS9_10device_ptrIxEEEESE_xNS9_10multipliesIxEExEEDaPvRmT3_T4_T5_mT6_P12ihipStream_tbENKUlT_T0_E_clISt17integral_constantIbLb0EEST_IbLb1EEEEDaSP_SQ_EUlSP_E0_NS1_11comp_targetILNS1_3genE2ELNS1_11target_archE906ELNS1_3gpuE6ELNS1_3repE0EEENS1_30default_config_static_selectorELNS0_4arch9wavefront6targetE1EEEvT1_: ; @_ZN7rocprim17ROCPRIM_400000_NS6detail17trampoline_kernelINS0_14default_configENS1_20scan_config_selectorIxEEZZNS1_9scan_implILNS1_25lookback_scan_determinismE0ELb0ELb1ES3_N6thrust23THRUST_200600_302600_NS6detail15normal_iteratorINS9_10device_ptrIxEEEESE_xNS9_10multipliesIxEExEEDaPvRmT3_T4_T5_mT6_P12ihipStream_tbENKUlT_T0_E_clISt17integral_constantIbLb0EEST_IbLb1EEEEDaSP_SQ_EUlSP_E0_NS1_11comp_targetILNS1_3genE2ELNS1_11target_archE906ELNS1_3gpuE6ELNS1_3repE0EEENS1_30default_config_static_selectorELNS0_4arch9wavefront6targetE1EEEvT1_
; %bb.0:
	.section	.rodata,"a",@progbits
	.p2align	6, 0x0
	.amdhsa_kernel _ZN7rocprim17ROCPRIM_400000_NS6detail17trampoline_kernelINS0_14default_configENS1_20scan_config_selectorIxEEZZNS1_9scan_implILNS1_25lookback_scan_determinismE0ELb0ELb1ES3_N6thrust23THRUST_200600_302600_NS6detail15normal_iteratorINS9_10device_ptrIxEEEESE_xNS9_10multipliesIxEExEEDaPvRmT3_T4_T5_mT6_P12ihipStream_tbENKUlT_T0_E_clISt17integral_constantIbLb0EEST_IbLb1EEEEDaSP_SQ_EUlSP_E0_NS1_11comp_targetILNS1_3genE2ELNS1_11target_archE906ELNS1_3gpuE6ELNS1_3repE0EEENS1_30default_config_static_selectorELNS0_4arch9wavefront6targetE1EEEvT1_
		.amdhsa_group_segment_fixed_size 0
		.amdhsa_private_segment_fixed_size 0
		.amdhsa_kernarg_size 40
		.amdhsa_user_sgpr_count 6
		.amdhsa_user_sgpr_private_segment_buffer 1
		.amdhsa_user_sgpr_dispatch_ptr 0
		.amdhsa_user_sgpr_queue_ptr 0
		.amdhsa_user_sgpr_kernarg_segment_ptr 1
		.amdhsa_user_sgpr_dispatch_id 0
		.amdhsa_user_sgpr_flat_scratch_init 0
		.amdhsa_user_sgpr_kernarg_preload_length 0
		.amdhsa_user_sgpr_kernarg_preload_offset 0
		.amdhsa_user_sgpr_private_segment_size 0
		.amdhsa_uses_dynamic_stack 0
		.amdhsa_system_sgpr_private_segment_wavefront_offset 0
		.amdhsa_system_sgpr_workgroup_id_x 1
		.amdhsa_system_sgpr_workgroup_id_y 0
		.amdhsa_system_sgpr_workgroup_id_z 0
		.amdhsa_system_sgpr_workgroup_info 0
		.amdhsa_system_vgpr_workitem_id 0
		.amdhsa_next_free_vgpr 1
		.amdhsa_next_free_sgpr 0
		.amdhsa_accum_offset 4
		.amdhsa_reserve_vcc 0
		.amdhsa_reserve_flat_scratch 0
		.amdhsa_float_round_mode_32 0
		.amdhsa_float_round_mode_16_64 0
		.amdhsa_float_denorm_mode_32 3
		.amdhsa_float_denorm_mode_16_64 3
		.amdhsa_dx10_clamp 1
		.amdhsa_ieee_mode 1
		.amdhsa_fp16_overflow 0
		.amdhsa_tg_split 0
		.amdhsa_exception_fp_ieee_invalid_op 0
		.amdhsa_exception_fp_denorm_src 0
		.amdhsa_exception_fp_ieee_div_zero 0
		.amdhsa_exception_fp_ieee_overflow 0
		.amdhsa_exception_fp_ieee_underflow 0
		.amdhsa_exception_fp_ieee_inexact 0
		.amdhsa_exception_int_div_zero 0
	.end_amdhsa_kernel
	.section	.text._ZN7rocprim17ROCPRIM_400000_NS6detail17trampoline_kernelINS0_14default_configENS1_20scan_config_selectorIxEEZZNS1_9scan_implILNS1_25lookback_scan_determinismE0ELb0ELb1ES3_N6thrust23THRUST_200600_302600_NS6detail15normal_iteratorINS9_10device_ptrIxEEEESE_xNS9_10multipliesIxEExEEDaPvRmT3_T4_T5_mT6_P12ihipStream_tbENKUlT_T0_E_clISt17integral_constantIbLb0EEST_IbLb1EEEEDaSP_SQ_EUlSP_E0_NS1_11comp_targetILNS1_3genE2ELNS1_11target_archE906ELNS1_3gpuE6ELNS1_3repE0EEENS1_30default_config_static_selectorELNS0_4arch9wavefront6targetE1EEEvT1_,"axG",@progbits,_ZN7rocprim17ROCPRIM_400000_NS6detail17trampoline_kernelINS0_14default_configENS1_20scan_config_selectorIxEEZZNS1_9scan_implILNS1_25lookback_scan_determinismE0ELb0ELb1ES3_N6thrust23THRUST_200600_302600_NS6detail15normal_iteratorINS9_10device_ptrIxEEEESE_xNS9_10multipliesIxEExEEDaPvRmT3_T4_T5_mT6_P12ihipStream_tbENKUlT_T0_E_clISt17integral_constantIbLb0EEST_IbLb1EEEEDaSP_SQ_EUlSP_E0_NS1_11comp_targetILNS1_3genE2ELNS1_11target_archE906ELNS1_3gpuE6ELNS1_3repE0EEENS1_30default_config_static_selectorELNS0_4arch9wavefront6targetE1EEEvT1_,comdat
.Lfunc_end337:
	.size	_ZN7rocprim17ROCPRIM_400000_NS6detail17trampoline_kernelINS0_14default_configENS1_20scan_config_selectorIxEEZZNS1_9scan_implILNS1_25lookback_scan_determinismE0ELb0ELb1ES3_N6thrust23THRUST_200600_302600_NS6detail15normal_iteratorINS9_10device_ptrIxEEEESE_xNS9_10multipliesIxEExEEDaPvRmT3_T4_T5_mT6_P12ihipStream_tbENKUlT_T0_E_clISt17integral_constantIbLb0EEST_IbLb1EEEEDaSP_SQ_EUlSP_E0_NS1_11comp_targetILNS1_3genE2ELNS1_11target_archE906ELNS1_3gpuE6ELNS1_3repE0EEENS1_30default_config_static_selectorELNS0_4arch9wavefront6targetE1EEEvT1_, .Lfunc_end337-_ZN7rocprim17ROCPRIM_400000_NS6detail17trampoline_kernelINS0_14default_configENS1_20scan_config_selectorIxEEZZNS1_9scan_implILNS1_25lookback_scan_determinismE0ELb0ELb1ES3_N6thrust23THRUST_200600_302600_NS6detail15normal_iteratorINS9_10device_ptrIxEEEESE_xNS9_10multipliesIxEExEEDaPvRmT3_T4_T5_mT6_P12ihipStream_tbENKUlT_T0_E_clISt17integral_constantIbLb0EEST_IbLb1EEEEDaSP_SQ_EUlSP_E0_NS1_11comp_targetILNS1_3genE2ELNS1_11target_archE906ELNS1_3gpuE6ELNS1_3repE0EEENS1_30default_config_static_selectorELNS0_4arch9wavefront6targetE1EEEvT1_
                                        ; -- End function
	.section	.AMDGPU.csdata,"",@progbits
; Kernel info:
; codeLenInByte = 0
; NumSgprs: 4
; NumVgprs: 0
; NumAgprs: 0
; TotalNumVgprs: 0
; ScratchSize: 0
; MemoryBound: 0
; FloatMode: 240
; IeeeMode: 1
; LDSByteSize: 0 bytes/workgroup (compile time only)
; SGPRBlocks: 0
; VGPRBlocks: 0
; NumSGPRsForWavesPerEU: 4
; NumVGPRsForWavesPerEU: 1
; AccumOffset: 4
; Occupancy: 8
; WaveLimiterHint : 0
; COMPUTE_PGM_RSRC2:SCRATCH_EN: 0
; COMPUTE_PGM_RSRC2:USER_SGPR: 6
; COMPUTE_PGM_RSRC2:TRAP_HANDLER: 0
; COMPUTE_PGM_RSRC2:TGID_X_EN: 1
; COMPUTE_PGM_RSRC2:TGID_Y_EN: 0
; COMPUTE_PGM_RSRC2:TGID_Z_EN: 0
; COMPUTE_PGM_RSRC2:TIDIG_COMP_CNT: 0
; COMPUTE_PGM_RSRC3_GFX90A:ACCUM_OFFSET: 0
; COMPUTE_PGM_RSRC3_GFX90A:TG_SPLIT: 0
	.section	.text._ZN7rocprim17ROCPRIM_400000_NS6detail17trampoline_kernelINS0_14default_configENS1_20scan_config_selectorIxEEZZNS1_9scan_implILNS1_25lookback_scan_determinismE0ELb0ELb1ES3_N6thrust23THRUST_200600_302600_NS6detail15normal_iteratorINS9_10device_ptrIxEEEESE_xNS9_10multipliesIxEExEEDaPvRmT3_T4_T5_mT6_P12ihipStream_tbENKUlT_T0_E_clISt17integral_constantIbLb0EEST_IbLb1EEEEDaSP_SQ_EUlSP_E0_NS1_11comp_targetILNS1_3genE10ELNS1_11target_archE1201ELNS1_3gpuE5ELNS1_3repE0EEENS1_30default_config_static_selectorELNS0_4arch9wavefront6targetE1EEEvT1_,"axG",@progbits,_ZN7rocprim17ROCPRIM_400000_NS6detail17trampoline_kernelINS0_14default_configENS1_20scan_config_selectorIxEEZZNS1_9scan_implILNS1_25lookback_scan_determinismE0ELb0ELb1ES3_N6thrust23THRUST_200600_302600_NS6detail15normal_iteratorINS9_10device_ptrIxEEEESE_xNS9_10multipliesIxEExEEDaPvRmT3_T4_T5_mT6_P12ihipStream_tbENKUlT_T0_E_clISt17integral_constantIbLb0EEST_IbLb1EEEEDaSP_SQ_EUlSP_E0_NS1_11comp_targetILNS1_3genE10ELNS1_11target_archE1201ELNS1_3gpuE5ELNS1_3repE0EEENS1_30default_config_static_selectorELNS0_4arch9wavefront6targetE1EEEvT1_,comdat
	.protected	_ZN7rocprim17ROCPRIM_400000_NS6detail17trampoline_kernelINS0_14default_configENS1_20scan_config_selectorIxEEZZNS1_9scan_implILNS1_25lookback_scan_determinismE0ELb0ELb1ES3_N6thrust23THRUST_200600_302600_NS6detail15normal_iteratorINS9_10device_ptrIxEEEESE_xNS9_10multipliesIxEExEEDaPvRmT3_T4_T5_mT6_P12ihipStream_tbENKUlT_T0_E_clISt17integral_constantIbLb0EEST_IbLb1EEEEDaSP_SQ_EUlSP_E0_NS1_11comp_targetILNS1_3genE10ELNS1_11target_archE1201ELNS1_3gpuE5ELNS1_3repE0EEENS1_30default_config_static_selectorELNS0_4arch9wavefront6targetE1EEEvT1_ ; -- Begin function _ZN7rocprim17ROCPRIM_400000_NS6detail17trampoline_kernelINS0_14default_configENS1_20scan_config_selectorIxEEZZNS1_9scan_implILNS1_25lookback_scan_determinismE0ELb0ELb1ES3_N6thrust23THRUST_200600_302600_NS6detail15normal_iteratorINS9_10device_ptrIxEEEESE_xNS9_10multipliesIxEExEEDaPvRmT3_T4_T5_mT6_P12ihipStream_tbENKUlT_T0_E_clISt17integral_constantIbLb0EEST_IbLb1EEEEDaSP_SQ_EUlSP_E0_NS1_11comp_targetILNS1_3genE10ELNS1_11target_archE1201ELNS1_3gpuE5ELNS1_3repE0EEENS1_30default_config_static_selectorELNS0_4arch9wavefront6targetE1EEEvT1_
	.globl	_ZN7rocprim17ROCPRIM_400000_NS6detail17trampoline_kernelINS0_14default_configENS1_20scan_config_selectorIxEEZZNS1_9scan_implILNS1_25lookback_scan_determinismE0ELb0ELb1ES3_N6thrust23THRUST_200600_302600_NS6detail15normal_iteratorINS9_10device_ptrIxEEEESE_xNS9_10multipliesIxEExEEDaPvRmT3_T4_T5_mT6_P12ihipStream_tbENKUlT_T0_E_clISt17integral_constantIbLb0EEST_IbLb1EEEEDaSP_SQ_EUlSP_E0_NS1_11comp_targetILNS1_3genE10ELNS1_11target_archE1201ELNS1_3gpuE5ELNS1_3repE0EEENS1_30default_config_static_selectorELNS0_4arch9wavefront6targetE1EEEvT1_
	.p2align	8
	.type	_ZN7rocprim17ROCPRIM_400000_NS6detail17trampoline_kernelINS0_14default_configENS1_20scan_config_selectorIxEEZZNS1_9scan_implILNS1_25lookback_scan_determinismE0ELb0ELb1ES3_N6thrust23THRUST_200600_302600_NS6detail15normal_iteratorINS9_10device_ptrIxEEEESE_xNS9_10multipliesIxEExEEDaPvRmT3_T4_T5_mT6_P12ihipStream_tbENKUlT_T0_E_clISt17integral_constantIbLb0EEST_IbLb1EEEEDaSP_SQ_EUlSP_E0_NS1_11comp_targetILNS1_3genE10ELNS1_11target_archE1201ELNS1_3gpuE5ELNS1_3repE0EEENS1_30default_config_static_selectorELNS0_4arch9wavefront6targetE1EEEvT1_,@function
_ZN7rocprim17ROCPRIM_400000_NS6detail17trampoline_kernelINS0_14default_configENS1_20scan_config_selectorIxEEZZNS1_9scan_implILNS1_25lookback_scan_determinismE0ELb0ELb1ES3_N6thrust23THRUST_200600_302600_NS6detail15normal_iteratorINS9_10device_ptrIxEEEESE_xNS9_10multipliesIxEExEEDaPvRmT3_T4_T5_mT6_P12ihipStream_tbENKUlT_T0_E_clISt17integral_constantIbLb0EEST_IbLb1EEEEDaSP_SQ_EUlSP_E0_NS1_11comp_targetILNS1_3genE10ELNS1_11target_archE1201ELNS1_3gpuE5ELNS1_3repE0EEENS1_30default_config_static_selectorELNS0_4arch9wavefront6targetE1EEEvT1_: ; @_ZN7rocprim17ROCPRIM_400000_NS6detail17trampoline_kernelINS0_14default_configENS1_20scan_config_selectorIxEEZZNS1_9scan_implILNS1_25lookback_scan_determinismE0ELb0ELb1ES3_N6thrust23THRUST_200600_302600_NS6detail15normal_iteratorINS9_10device_ptrIxEEEESE_xNS9_10multipliesIxEExEEDaPvRmT3_T4_T5_mT6_P12ihipStream_tbENKUlT_T0_E_clISt17integral_constantIbLb0EEST_IbLb1EEEEDaSP_SQ_EUlSP_E0_NS1_11comp_targetILNS1_3genE10ELNS1_11target_archE1201ELNS1_3gpuE5ELNS1_3repE0EEENS1_30default_config_static_selectorELNS0_4arch9wavefront6targetE1EEEvT1_
; %bb.0:
	.section	.rodata,"a",@progbits
	.p2align	6, 0x0
	.amdhsa_kernel _ZN7rocprim17ROCPRIM_400000_NS6detail17trampoline_kernelINS0_14default_configENS1_20scan_config_selectorIxEEZZNS1_9scan_implILNS1_25lookback_scan_determinismE0ELb0ELb1ES3_N6thrust23THRUST_200600_302600_NS6detail15normal_iteratorINS9_10device_ptrIxEEEESE_xNS9_10multipliesIxEExEEDaPvRmT3_T4_T5_mT6_P12ihipStream_tbENKUlT_T0_E_clISt17integral_constantIbLb0EEST_IbLb1EEEEDaSP_SQ_EUlSP_E0_NS1_11comp_targetILNS1_3genE10ELNS1_11target_archE1201ELNS1_3gpuE5ELNS1_3repE0EEENS1_30default_config_static_selectorELNS0_4arch9wavefront6targetE1EEEvT1_
		.amdhsa_group_segment_fixed_size 0
		.amdhsa_private_segment_fixed_size 0
		.amdhsa_kernarg_size 40
		.amdhsa_user_sgpr_count 6
		.amdhsa_user_sgpr_private_segment_buffer 1
		.amdhsa_user_sgpr_dispatch_ptr 0
		.amdhsa_user_sgpr_queue_ptr 0
		.amdhsa_user_sgpr_kernarg_segment_ptr 1
		.amdhsa_user_sgpr_dispatch_id 0
		.amdhsa_user_sgpr_flat_scratch_init 0
		.amdhsa_user_sgpr_kernarg_preload_length 0
		.amdhsa_user_sgpr_kernarg_preload_offset 0
		.amdhsa_user_sgpr_private_segment_size 0
		.amdhsa_uses_dynamic_stack 0
		.amdhsa_system_sgpr_private_segment_wavefront_offset 0
		.amdhsa_system_sgpr_workgroup_id_x 1
		.amdhsa_system_sgpr_workgroup_id_y 0
		.amdhsa_system_sgpr_workgroup_id_z 0
		.amdhsa_system_sgpr_workgroup_info 0
		.amdhsa_system_vgpr_workitem_id 0
		.amdhsa_next_free_vgpr 1
		.amdhsa_next_free_sgpr 0
		.amdhsa_accum_offset 4
		.amdhsa_reserve_vcc 0
		.amdhsa_reserve_flat_scratch 0
		.amdhsa_float_round_mode_32 0
		.amdhsa_float_round_mode_16_64 0
		.amdhsa_float_denorm_mode_32 3
		.amdhsa_float_denorm_mode_16_64 3
		.amdhsa_dx10_clamp 1
		.amdhsa_ieee_mode 1
		.amdhsa_fp16_overflow 0
		.amdhsa_tg_split 0
		.amdhsa_exception_fp_ieee_invalid_op 0
		.amdhsa_exception_fp_denorm_src 0
		.amdhsa_exception_fp_ieee_div_zero 0
		.amdhsa_exception_fp_ieee_overflow 0
		.amdhsa_exception_fp_ieee_underflow 0
		.amdhsa_exception_fp_ieee_inexact 0
		.amdhsa_exception_int_div_zero 0
	.end_amdhsa_kernel
	.section	.text._ZN7rocprim17ROCPRIM_400000_NS6detail17trampoline_kernelINS0_14default_configENS1_20scan_config_selectorIxEEZZNS1_9scan_implILNS1_25lookback_scan_determinismE0ELb0ELb1ES3_N6thrust23THRUST_200600_302600_NS6detail15normal_iteratorINS9_10device_ptrIxEEEESE_xNS9_10multipliesIxEExEEDaPvRmT3_T4_T5_mT6_P12ihipStream_tbENKUlT_T0_E_clISt17integral_constantIbLb0EEST_IbLb1EEEEDaSP_SQ_EUlSP_E0_NS1_11comp_targetILNS1_3genE10ELNS1_11target_archE1201ELNS1_3gpuE5ELNS1_3repE0EEENS1_30default_config_static_selectorELNS0_4arch9wavefront6targetE1EEEvT1_,"axG",@progbits,_ZN7rocprim17ROCPRIM_400000_NS6detail17trampoline_kernelINS0_14default_configENS1_20scan_config_selectorIxEEZZNS1_9scan_implILNS1_25lookback_scan_determinismE0ELb0ELb1ES3_N6thrust23THRUST_200600_302600_NS6detail15normal_iteratorINS9_10device_ptrIxEEEESE_xNS9_10multipliesIxEExEEDaPvRmT3_T4_T5_mT6_P12ihipStream_tbENKUlT_T0_E_clISt17integral_constantIbLb0EEST_IbLb1EEEEDaSP_SQ_EUlSP_E0_NS1_11comp_targetILNS1_3genE10ELNS1_11target_archE1201ELNS1_3gpuE5ELNS1_3repE0EEENS1_30default_config_static_selectorELNS0_4arch9wavefront6targetE1EEEvT1_,comdat
.Lfunc_end338:
	.size	_ZN7rocprim17ROCPRIM_400000_NS6detail17trampoline_kernelINS0_14default_configENS1_20scan_config_selectorIxEEZZNS1_9scan_implILNS1_25lookback_scan_determinismE0ELb0ELb1ES3_N6thrust23THRUST_200600_302600_NS6detail15normal_iteratorINS9_10device_ptrIxEEEESE_xNS9_10multipliesIxEExEEDaPvRmT3_T4_T5_mT6_P12ihipStream_tbENKUlT_T0_E_clISt17integral_constantIbLb0EEST_IbLb1EEEEDaSP_SQ_EUlSP_E0_NS1_11comp_targetILNS1_3genE10ELNS1_11target_archE1201ELNS1_3gpuE5ELNS1_3repE0EEENS1_30default_config_static_selectorELNS0_4arch9wavefront6targetE1EEEvT1_, .Lfunc_end338-_ZN7rocprim17ROCPRIM_400000_NS6detail17trampoline_kernelINS0_14default_configENS1_20scan_config_selectorIxEEZZNS1_9scan_implILNS1_25lookback_scan_determinismE0ELb0ELb1ES3_N6thrust23THRUST_200600_302600_NS6detail15normal_iteratorINS9_10device_ptrIxEEEESE_xNS9_10multipliesIxEExEEDaPvRmT3_T4_T5_mT6_P12ihipStream_tbENKUlT_T0_E_clISt17integral_constantIbLb0EEST_IbLb1EEEEDaSP_SQ_EUlSP_E0_NS1_11comp_targetILNS1_3genE10ELNS1_11target_archE1201ELNS1_3gpuE5ELNS1_3repE0EEENS1_30default_config_static_selectorELNS0_4arch9wavefront6targetE1EEEvT1_
                                        ; -- End function
	.section	.AMDGPU.csdata,"",@progbits
; Kernel info:
; codeLenInByte = 0
; NumSgprs: 4
; NumVgprs: 0
; NumAgprs: 0
; TotalNumVgprs: 0
; ScratchSize: 0
; MemoryBound: 0
; FloatMode: 240
; IeeeMode: 1
; LDSByteSize: 0 bytes/workgroup (compile time only)
; SGPRBlocks: 0
; VGPRBlocks: 0
; NumSGPRsForWavesPerEU: 4
; NumVGPRsForWavesPerEU: 1
; AccumOffset: 4
; Occupancy: 8
; WaveLimiterHint : 0
; COMPUTE_PGM_RSRC2:SCRATCH_EN: 0
; COMPUTE_PGM_RSRC2:USER_SGPR: 6
; COMPUTE_PGM_RSRC2:TRAP_HANDLER: 0
; COMPUTE_PGM_RSRC2:TGID_X_EN: 1
; COMPUTE_PGM_RSRC2:TGID_Y_EN: 0
; COMPUTE_PGM_RSRC2:TGID_Z_EN: 0
; COMPUTE_PGM_RSRC2:TIDIG_COMP_CNT: 0
; COMPUTE_PGM_RSRC3_GFX90A:ACCUM_OFFSET: 0
; COMPUTE_PGM_RSRC3_GFX90A:TG_SPLIT: 0
	.section	.text._ZN7rocprim17ROCPRIM_400000_NS6detail17trampoline_kernelINS0_14default_configENS1_20scan_config_selectorIxEEZZNS1_9scan_implILNS1_25lookback_scan_determinismE0ELb0ELb1ES3_N6thrust23THRUST_200600_302600_NS6detail15normal_iteratorINS9_10device_ptrIxEEEESE_xNS9_10multipliesIxEExEEDaPvRmT3_T4_T5_mT6_P12ihipStream_tbENKUlT_T0_E_clISt17integral_constantIbLb0EEST_IbLb1EEEEDaSP_SQ_EUlSP_E0_NS1_11comp_targetILNS1_3genE10ELNS1_11target_archE1200ELNS1_3gpuE4ELNS1_3repE0EEENS1_30default_config_static_selectorELNS0_4arch9wavefront6targetE1EEEvT1_,"axG",@progbits,_ZN7rocprim17ROCPRIM_400000_NS6detail17trampoline_kernelINS0_14default_configENS1_20scan_config_selectorIxEEZZNS1_9scan_implILNS1_25lookback_scan_determinismE0ELb0ELb1ES3_N6thrust23THRUST_200600_302600_NS6detail15normal_iteratorINS9_10device_ptrIxEEEESE_xNS9_10multipliesIxEExEEDaPvRmT3_T4_T5_mT6_P12ihipStream_tbENKUlT_T0_E_clISt17integral_constantIbLb0EEST_IbLb1EEEEDaSP_SQ_EUlSP_E0_NS1_11comp_targetILNS1_3genE10ELNS1_11target_archE1200ELNS1_3gpuE4ELNS1_3repE0EEENS1_30default_config_static_selectorELNS0_4arch9wavefront6targetE1EEEvT1_,comdat
	.protected	_ZN7rocprim17ROCPRIM_400000_NS6detail17trampoline_kernelINS0_14default_configENS1_20scan_config_selectorIxEEZZNS1_9scan_implILNS1_25lookback_scan_determinismE0ELb0ELb1ES3_N6thrust23THRUST_200600_302600_NS6detail15normal_iteratorINS9_10device_ptrIxEEEESE_xNS9_10multipliesIxEExEEDaPvRmT3_T4_T5_mT6_P12ihipStream_tbENKUlT_T0_E_clISt17integral_constantIbLb0EEST_IbLb1EEEEDaSP_SQ_EUlSP_E0_NS1_11comp_targetILNS1_3genE10ELNS1_11target_archE1200ELNS1_3gpuE4ELNS1_3repE0EEENS1_30default_config_static_selectorELNS0_4arch9wavefront6targetE1EEEvT1_ ; -- Begin function _ZN7rocprim17ROCPRIM_400000_NS6detail17trampoline_kernelINS0_14default_configENS1_20scan_config_selectorIxEEZZNS1_9scan_implILNS1_25lookback_scan_determinismE0ELb0ELb1ES3_N6thrust23THRUST_200600_302600_NS6detail15normal_iteratorINS9_10device_ptrIxEEEESE_xNS9_10multipliesIxEExEEDaPvRmT3_T4_T5_mT6_P12ihipStream_tbENKUlT_T0_E_clISt17integral_constantIbLb0EEST_IbLb1EEEEDaSP_SQ_EUlSP_E0_NS1_11comp_targetILNS1_3genE10ELNS1_11target_archE1200ELNS1_3gpuE4ELNS1_3repE0EEENS1_30default_config_static_selectorELNS0_4arch9wavefront6targetE1EEEvT1_
	.globl	_ZN7rocprim17ROCPRIM_400000_NS6detail17trampoline_kernelINS0_14default_configENS1_20scan_config_selectorIxEEZZNS1_9scan_implILNS1_25lookback_scan_determinismE0ELb0ELb1ES3_N6thrust23THRUST_200600_302600_NS6detail15normal_iteratorINS9_10device_ptrIxEEEESE_xNS9_10multipliesIxEExEEDaPvRmT3_T4_T5_mT6_P12ihipStream_tbENKUlT_T0_E_clISt17integral_constantIbLb0EEST_IbLb1EEEEDaSP_SQ_EUlSP_E0_NS1_11comp_targetILNS1_3genE10ELNS1_11target_archE1200ELNS1_3gpuE4ELNS1_3repE0EEENS1_30default_config_static_selectorELNS0_4arch9wavefront6targetE1EEEvT1_
	.p2align	8
	.type	_ZN7rocprim17ROCPRIM_400000_NS6detail17trampoline_kernelINS0_14default_configENS1_20scan_config_selectorIxEEZZNS1_9scan_implILNS1_25lookback_scan_determinismE0ELb0ELb1ES3_N6thrust23THRUST_200600_302600_NS6detail15normal_iteratorINS9_10device_ptrIxEEEESE_xNS9_10multipliesIxEExEEDaPvRmT3_T4_T5_mT6_P12ihipStream_tbENKUlT_T0_E_clISt17integral_constantIbLb0EEST_IbLb1EEEEDaSP_SQ_EUlSP_E0_NS1_11comp_targetILNS1_3genE10ELNS1_11target_archE1200ELNS1_3gpuE4ELNS1_3repE0EEENS1_30default_config_static_selectorELNS0_4arch9wavefront6targetE1EEEvT1_,@function
_ZN7rocprim17ROCPRIM_400000_NS6detail17trampoline_kernelINS0_14default_configENS1_20scan_config_selectorIxEEZZNS1_9scan_implILNS1_25lookback_scan_determinismE0ELb0ELb1ES3_N6thrust23THRUST_200600_302600_NS6detail15normal_iteratorINS9_10device_ptrIxEEEESE_xNS9_10multipliesIxEExEEDaPvRmT3_T4_T5_mT6_P12ihipStream_tbENKUlT_T0_E_clISt17integral_constantIbLb0EEST_IbLb1EEEEDaSP_SQ_EUlSP_E0_NS1_11comp_targetILNS1_3genE10ELNS1_11target_archE1200ELNS1_3gpuE4ELNS1_3repE0EEENS1_30default_config_static_selectorELNS0_4arch9wavefront6targetE1EEEvT1_: ; @_ZN7rocprim17ROCPRIM_400000_NS6detail17trampoline_kernelINS0_14default_configENS1_20scan_config_selectorIxEEZZNS1_9scan_implILNS1_25lookback_scan_determinismE0ELb0ELb1ES3_N6thrust23THRUST_200600_302600_NS6detail15normal_iteratorINS9_10device_ptrIxEEEESE_xNS9_10multipliesIxEExEEDaPvRmT3_T4_T5_mT6_P12ihipStream_tbENKUlT_T0_E_clISt17integral_constantIbLb0EEST_IbLb1EEEEDaSP_SQ_EUlSP_E0_NS1_11comp_targetILNS1_3genE10ELNS1_11target_archE1200ELNS1_3gpuE4ELNS1_3repE0EEENS1_30default_config_static_selectorELNS0_4arch9wavefront6targetE1EEEvT1_
; %bb.0:
	.section	.rodata,"a",@progbits
	.p2align	6, 0x0
	.amdhsa_kernel _ZN7rocprim17ROCPRIM_400000_NS6detail17trampoline_kernelINS0_14default_configENS1_20scan_config_selectorIxEEZZNS1_9scan_implILNS1_25lookback_scan_determinismE0ELb0ELb1ES3_N6thrust23THRUST_200600_302600_NS6detail15normal_iteratorINS9_10device_ptrIxEEEESE_xNS9_10multipliesIxEExEEDaPvRmT3_T4_T5_mT6_P12ihipStream_tbENKUlT_T0_E_clISt17integral_constantIbLb0EEST_IbLb1EEEEDaSP_SQ_EUlSP_E0_NS1_11comp_targetILNS1_3genE10ELNS1_11target_archE1200ELNS1_3gpuE4ELNS1_3repE0EEENS1_30default_config_static_selectorELNS0_4arch9wavefront6targetE1EEEvT1_
		.amdhsa_group_segment_fixed_size 0
		.amdhsa_private_segment_fixed_size 0
		.amdhsa_kernarg_size 40
		.amdhsa_user_sgpr_count 6
		.amdhsa_user_sgpr_private_segment_buffer 1
		.amdhsa_user_sgpr_dispatch_ptr 0
		.amdhsa_user_sgpr_queue_ptr 0
		.amdhsa_user_sgpr_kernarg_segment_ptr 1
		.amdhsa_user_sgpr_dispatch_id 0
		.amdhsa_user_sgpr_flat_scratch_init 0
		.amdhsa_user_sgpr_kernarg_preload_length 0
		.amdhsa_user_sgpr_kernarg_preload_offset 0
		.amdhsa_user_sgpr_private_segment_size 0
		.amdhsa_uses_dynamic_stack 0
		.amdhsa_system_sgpr_private_segment_wavefront_offset 0
		.amdhsa_system_sgpr_workgroup_id_x 1
		.amdhsa_system_sgpr_workgroup_id_y 0
		.amdhsa_system_sgpr_workgroup_id_z 0
		.amdhsa_system_sgpr_workgroup_info 0
		.amdhsa_system_vgpr_workitem_id 0
		.amdhsa_next_free_vgpr 1
		.amdhsa_next_free_sgpr 0
		.amdhsa_accum_offset 4
		.amdhsa_reserve_vcc 0
		.amdhsa_reserve_flat_scratch 0
		.amdhsa_float_round_mode_32 0
		.amdhsa_float_round_mode_16_64 0
		.amdhsa_float_denorm_mode_32 3
		.amdhsa_float_denorm_mode_16_64 3
		.amdhsa_dx10_clamp 1
		.amdhsa_ieee_mode 1
		.amdhsa_fp16_overflow 0
		.amdhsa_tg_split 0
		.amdhsa_exception_fp_ieee_invalid_op 0
		.amdhsa_exception_fp_denorm_src 0
		.amdhsa_exception_fp_ieee_div_zero 0
		.amdhsa_exception_fp_ieee_overflow 0
		.amdhsa_exception_fp_ieee_underflow 0
		.amdhsa_exception_fp_ieee_inexact 0
		.amdhsa_exception_int_div_zero 0
	.end_amdhsa_kernel
	.section	.text._ZN7rocprim17ROCPRIM_400000_NS6detail17trampoline_kernelINS0_14default_configENS1_20scan_config_selectorIxEEZZNS1_9scan_implILNS1_25lookback_scan_determinismE0ELb0ELb1ES3_N6thrust23THRUST_200600_302600_NS6detail15normal_iteratorINS9_10device_ptrIxEEEESE_xNS9_10multipliesIxEExEEDaPvRmT3_T4_T5_mT6_P12ihipStream_tbENKUlT_T0_E_clISt17integral_constantIbLb0EEST_IbLb1EEEEDaSP_SQ_EUlSP_E0_NS1_11comp_targetILNS1_3genE10ELNS1_11target_archE1200ELNS1_3gpuE4ELNS1_3repE0EEENS1_30default_config_static_selectorELNS0_4arch9wavefront6targetE1EEEvT1_,"axG",@progbits,_ZN7rocprim17ROCPRIM_400000_NS6detail17trampoline_kernelINS0_14default_configENS1_20scan_config_selectorIxEEZZNS1_9scan_implILNS1_25lookback_scan_determinismE0ELb0ELb1ES3_N6thrust23THRUST_200600_302600_NS6detail15normal_iteratorINS9_10device_ptrIxEEEESE_xNS9_10multipliesIxEExEEDaPvRmT3_T4_T5_mT6_P12ihipStream_tbENKUlT_T0_E_clISt17integral_constantIbLb0EEST_IbLb1EEEEDaSP_SQ_EUlSP_E0_NS1_11comp_targetILNS1_3genE10ELNS1_11target_archE1200ELNS1_3gpuE4ELNS1_3repE0EEENS1_30default_config_static_selectorELNS0_4arch9wavefront6targetE1EEEvT1_,comdat
.Lfunc_end339:
	.size	_ZN7rocprim17ROCPRIM_400000_NS6detail17trampoline_kernelINS0_14default_configENS1_20scan_config_selectorIxEEZZNS1_9scan_implILNS1_25lookback_scan_determinismE0ELb0ELb1ES3_N6thrust23THRUST_200600_302600_NS6detail15normal_iteratorINS9_10device_ptrIxEEEESE_xNS9_10multipliesIxEExEEDaPvRmT3_T4_T5_mT6_P12ihipStream_tbENKUlT_T0_E_clISt17integral_constantIbLb0EEST_IbLb1EEEEDaSP_SQ_EUlSP_E0_NS1_11comp_targetILNS1_3genE10ELNS1_11target_archE1200ELNS1_3gpuE4ELNS1_3repE0EEENS1_30default_config_static_selectorELNS0_4arch9wavefront6targetE1EEEvT1_, .Lfunc_end339-_ZN7rocprim17ROCPRIM_400000_NS6detail17trampoline_kernelINS0_14default_configENS1_20scan_config_selectorIxEEZZNS1_9scan_implILNS1_25lookback_scan_determinismE0ELb0ELb1ES3_N6thrust23THRUST_200600_302600_NS6detail15normal_iteratorINS9_10device_ptrIxEEEESE_xNS9_10multipliesIxEExEEDaPvRmT3_T4_T5_mT6_P12ihipStream_tbENKUlT_T0_E_clISt17integral_constantIbLb0EEST_IbLb1EEEEDaSP_SQ_EUlSP_E0_NS1_11comp_targetILNS1_3genE10ELNS1_11target_archE1200ELNS1_3gpuE4ELNS1_3repE0EEENS1_30default_config_static_selectorELNS0_4arch9wavefront6targetE1EEEvT1_
                                        ; -- End function
	.section	.AMDGPU.csdata,"",@progbits
; Kernel info:
; codeLenInByte = 0
; NumSgprs: 4
; NumVgprs: 0
; NumAgprs: 0
; TotalNumVgprs: 0
; ScratchSize: 0
; MemoryBound: 0
; FloatMode: 240
; IeeeMode: 1
; LDSByteSize: 0 bytes/workgroup (compile time only)
; SGPRBlocks: 0
; VGPRBlocks: 0
; NumSGPRsForWavesPerEU: 4
; NumVGPRsForWavesPerEU: 1
; AccumOffset: 4
; Occupancy: 8
; WaveLimiterHint : 0
; COMPUTE_PGM_RSRC2:SCRATCH_EN: 0
; COMPUTE_PGM_RSRC2:USER_SGPR: 6
; COMPUTE_PGM_RSRC2:TRAP_HANDLER: 0
; COMPUTE_PGM_RSRC2:TGID_X_EN: 1
; COMPUTE_PGM_RSRC2:TGID_Y_EN: 0
; COMPUTE_PGM_RSRC2:TGID_Z_EN: 0
; COMPUTE_PGM_RSRC2:TIDIG_COMP_CNT: 0
; COMPUTE_PGM_RSRC3_GFX90A:ACCUM_OFFSET: 0
; COMPUTE_PGM_RSRC3_GFX90A:TG_SPLIT: 0
	.section	.text._ZN7rocprim17ROCPRIM_400000_NS6detail17trampoline_kernelINS0_14default_configENS1_20scan_config_selectorIxEEZZNS1_9scan_implILNS1_25lookback_scan_determinismE0ELb0ELb1ES3_N6thrust23THRUST_200600_302600_NS6detail15normal_iteratorINS9_10device_ptrIxEEEESE_xNS9_10multipliesIxEExEEDaPvRmT3_T4_T5_mT6_P12ihipStream_tbENKUlT_T0_E_clISt17integral_constantIbLb0EEST_IbLb1EEEEDaSP_SQ_EUlSP_E0_NS1_11comp_targetILNS1_3genE9ELNS1_11target_archE1100ELNS1_3gpuE3ELNS1_3repE0EEENS1_30default_config_static_selectorELNS0_4arch9wavefront6targetE1EEEvT1_,"axG",@progbits,_ZN7rocprim17ROCPRIM_400000_NS6detail17trampoline_kernelINS0_14default_configENS1_20scan_config_selectorIxEEZZNS1_9scan_implILNS1_25lookback_scan_determinismE0ELb0ELb1ES3_N6thrust23THRUST_200600_302600_NS6detail15normal_iteratorINS9_10device_ptrIxEEEESE_xNS9_10multipliesIxEExEEDaPvRmT3_T4_T5_mT6_P12ihipStream_tbENKUlT_T0_E_clISt17integral_constantIbLb0EEST_IbLb1EEEEDaSP_SQ_EUlSP_E0_NS1_11comp_targetILNS1_3genE9ELNS1_11target_archE1100ELNS1_3gpuE3ELNS1_3repE0EEENS1_30default_config_static_selectorELNS0_4arch9wavefront6targetE1EEEvT1_,comdat
	.protected	_ZN7rocprim17ROCPRIM_400000_NS6detail17trampoline_kernelINS0_14default_configENS1_20scan_config_selectorIxEEZZNS1_9scan_implILNS1_25lookback_scan_determinismE0ELb0ELb1ES3_N6thrust23THRUST_200600_302600_NS6detail15normal_iteratorINS9_10device_ptrIxEEEESE_xNS9_10multipliesIxEExEEDaPvRmT3_T4_T5_mT6_P12ihipStream_tbENKUlT_T0_E_clISt17integral_constantIbLb0EEST_IbLb1EEEEDaSP_SQ_EUlSP_E0_NS1_11comp_targetILNS1_3genE9ELNS1_11target_archE1100ELNS1_3gpuE3ELNS1_3repE0EEENS1_30default_config_static_selectorELNS0_4arch9wavefront6targetE1EEEvT1_ ; -- Begin function _ZN7rocprim17ROCPRIM_400000_NS6detail17trampoline_kernelINS0_14default_configENS1_20scan_config_selectorIxEEZZNS1_9scan_implILNS1_25lookback_scan_determinismE0ELb0ELb1ES3_N6thrust23THRUST_200600_302600_NS6detail15normal_iteratorINS9_10device_ptrIxEEEESE_xNS9_10multipliesIxEExEEDaPvRmT3_T4_T5_mT6_P12ihipStream_tbENKUlT_T0_E_clISt17integral_constantIbLb0EEST_IbLb1EEEEDaSP_SQ_EUlSP_E0_NS1_11comp_targetILNS1_3genE9ELNS1_11target_archE1100ELNS1_3gpuE3ELNS1_3repE0EEENS1_30default_config_static_selectorELNS0_4arch9wavefront6targetE1EEEvT1_
	.globl	_ZN7rocprim17ROCPRIM_400000_NS6detail17trampoline_kernelINS0_14default_configENS1_20scan_config_selectorIxEEZZNS1_9scan_implILNS1_25lookback_scan_determinismE0ELb0ELb1ES3_N6thrust23THRUST_200600_302600_NS6detail15normal_iteratorINS9_10device_ptrIxEEEESE_xNS9_10multipliesIxEExEEDaPvRmT3_T4_T5_mT6_P12ihipStream_tbENKUlT_T0_E_clISt17integral_constantIbLb0EEST_IbLb1EEEEDaSP_SQ_EUlSP_E0_NS1_11comp_targetILNS1_3genE9ELNS1_11target_archE1100ELNS1_3gpuE3ELNS1_3repE0EEENS1_30default_config_static_selectorELNS0_4arch9wavefront6targetE1EEEvT1_
	.p2align	8
	.type	_ZN7rocprim17ROCPRIM_400000_NS6detail17trampoline_kernelINS0_14default_configENS1_20scan_config_selectorIxEEZZNS1_9scan_implILNS1_25lookback_scan_determinismE0ELb0ELb1ES3_N6thrust23THRUST_200600_302600_NS6detail15normal_iteratorINS9_10device_ptrIxEEEESE_xNS9_10multipliesIxEExEEDaPvRmT3_T4_T5_mT6_P12ihipStream_tbENKUlT_T0_E_clISt17integral_constantIbLb0EEST_IbLb1EEEEDaSP_SQ_EUlSP_E0_NS1_11comp_targetILNS1_3genE9ELNS1_11target_archE1100ELNS1_3gpuE3ELNS1_3repE0EEENS1_30default_config_static_selectorELNS0_4arch9wavefront6targetE1EEEvT1_,@function
_ZN7rocprim17ROCPRIM_400000_NS6detail17trampoline_kernelINS0_14default_configENS1_20scan_config_selectorIxEEZZNS1_9scan_implILNS1_25lookback_scan_determinismE0ELb0ELb1ES3_N6thrust23THRUST_200600_302600_NS6detail15normal_iteratorINS9_10device_ptrIxEEEESE_xNS9_10multipliesIxEExEEDaPvRmT3_T4_T5_mT6_P12ihipStream_tbENKUlT_T0_E_clISt17integral_constantIbLb0EEST_IbLb1EEEEDaSP_SQ_EUlSP_E0_NS1_11comp_targetILNS1_3genE9ELNS1_11target_archE1100ELNS1_3gpuE3ELNS1_3repE0EEENS1_30default_config_static_selectorELNS0_4arch9wavefront6targetE1EEEvT1_: ; @_ZN7rocprim17ROCPRIM_400000_NS6detail17trampoline_kernelINS0_14default_configENS1_20scan_config_selectorIxEEZZNS1_9scan_implILNS1_25lookback_scan_determinismE0ELb0ELb1ES3_N6thrust23THRUST_200600_302600_NS6detail15normal_iteratorINS9_10device_ptrIxEEEESE_xNS9_10multipliesIxEExEEDaPvRmT3_T4_T5_mT6_P12ihipStream_tbENKUlT_T0_E_clISt17integral_constantIbLb0EEST_IbLb1EEEEDaSP_SQ_EUlSP_E0_NS1_11comp_targetILNS1_3genE9ELNS1_11target_archE1100ELNS1_3gpuE3ELNS1_3repE0EEENS1_30default_config_static_selectorELNS0_4arch9wavefront6targetE1EEEvT1_
; %bb.0:
	.section	.rodata,"a",@progbits
	.p2align	6, 0x0
	.amdhsa_kernel _ZN7rocprim17ROCPRIM_400000_NS6detail17trampoline_kernelINS0_14default_configENS1_20scan_config_selectorIxEEZZNS1_9scan_implILNS1_25lookback_scan_determinismE0ELb0ELb1ES3_N6thrust23THRUST_200600_302600_NS6detail15normal_iteratorINS9_10device_ptrIxEEEESE_xNS9_10multipliesIxEExEEDaPvRmT3_T4_T5_mT6_P12ihipStream_tbENKUlT_T0_E_clISt17integral_constantIbLb0EEST_IbLb1EEEEDaSP_SQ_EUlSP_E0_NS1_11comp_targetILNS1_3genE9ELNS1_11target_archE1100ELNS1_3gpuE3ELNS1_3repE0EEENS1_30default_config_static_selectorELNS0_4arch9wavefront6targetE1EEEvT1_
		.amdhsa_group_segment_fixed_size 0
		.amdhsa_private_segment_fixed_size 0
		.amdhsa_kernarg_size 40
		.amdhsa_user_sgpr_count 6
		.amdhsa_user_sgpr_private_segment_buffer 1
		.amdhsa_user_sgpr_dispatch_ptr 0
		.amdhsa_user_sgpr_queue_ptr 0
		.amdhsa_user_sgpr_kernarg_segment_ptr 1
		.amdhsa_user_sgpr_dispatch_id 0
		.amdhsa_user_sgpr_flat_scratch_init 0
		.amdhsa_user_sgpr_kernarg_preload_length 0
		.amdhsa_user_sgpr_kernarg_preload_offset 0
		.amdhsa_user_sgpr_private_segment_size 0
		.amdhsa_uses_dynamic_stack 0
		.amdhsa_system_sgpr_private_segment_wavefront_offset 0
		.amdhsa_system_sgpr_workgroup_id_x 1
		.amdhsa_system_sgpr_workgroup_id_y 0
		.amdhsa_system_sgpr_workgroup_id_z 0
		.amdhsa_system_sgpr_workgroup_info 0
		.amdhsa_system_vgpr_workitem_id 0
		.amdhsa_next_free_vgpr 1
		.amdhsa_next_free_sgpr 0
		.amdhsa_accum_offset 4
		.amdhsa_reserve_vcc 0
		.amdhsa_reserve_flat_scratch 0
		.amdhsa_float_round_mode_32 0
		.amdhsa_float_round_mode_16_64 0
		.amdhsa_float_denorm_mode_32 3
		.amdhsa_float_denorm_mode_16_64 3
		.amdhsa_dx10_clamp 1
		.amdhsa_ieee_mode 1
		.amdhsa_fp16_overflow 0
		.amdhsa_tg_split 0
		.amdhsa_exception_fp_ieee_invalid_op 0
		.amdhsa_exception_fp_denorm_src 0
		.amdhsa_exception_fp_ieee_div_zero 0
		.amdhsa_exception_fp_ieee_overflow 0
		.amdhsa_exception_fp_ieee_underflow 0
		.amdhsa_exception_fp_ieee_inexact 0
		.amdhsa_exception_int_div_zero 0
	.end_amdhsa_kernel
	.section	.text._ZN7rocprim17ROCPRIM_400000_NS6detail17trampoline_kernelINS0_14default_configENS1_20scan_config_selectorIxEEZZNS1_9scan_implILNS1_25lookback_scan_determinismE0ELb0ELb1ES3_N6thrust23THRUST_200600_302600_NS6detail15normal_iteratorINS9_10device_ptrIxEEEESE_xNS9_10multipliesIxEExEEDaPvRmT3_T4_T5_mT6_P12ihipStream_tbENKUlT_T0_E_clISt17integral_constantIbLb0EEST_IbLb1EEEEDaSP_SQ_EUlSP_E0_NS1_11comp_targetILNS1_3genE9ELNS1_11target_archE1100ELNS1_3gpuE3ELNS1_3repE0EEENS1_30default_config_static_selectorELNS0_4arch9wavefront6targetE1EEEvT1_,"axG",@progbits,_ZN7rocprim17ROCPRIM_400000_NS6detail17trampoline_kernelINS0_14default_configENS1_20scan_config_selectorIxEEZZNS1_9scan_implILNS1_25lookback_scan_determinismE0ELb0ELb1ES3_N6thrust23THRUST_200600_302600_NS6detail15normal_iteratorINS9_10device_ptrIxEEEESE_xNS9_10multipliesIxEExEEDaPvRmT3_T4_T5_mT6_P12ihipStream_tbENKUlT_T0_E_clISt17integral_constantIbLb0EEST_IbLb1EEEEDaSP_SQ_EUlSP_E0_NS1_11comp_targetILNS1_3genE9ELNS1_11target_archE1100ELNS1_3gpuE3ELNS1_3repE0EEENS1_30default_config_static_selectorELNS0_4arch9wavefront6targetE1EEEvT1_,comdat
.Lfunc_end340:
	.size	_ZN7rocprim17ROCPRIM_400000_NS6detail17trampoline_kernelINS0_14default_configENS1_20scan_config_selectorIxEEZZNS1_9scan_implILNS1_25lookback_scan_determinismE0ELb0ELb1ES3_N6thrust23THRUST_200600_302600_NS6detail15normal_iteratorINS9_10device_ptrIxEEEESE_xNS9_10multipliesIxEExEEDaPvRmT3_T4_T5_mT6_P12ihipStream_tbENKUlT_T0_E_clISt17integral_constantIbLb0EEST_IbLb1EEEEDaSP_SQ_EUlSP_E0_NS1_11comp_targetILNS1_3genE9ELNS1_11target_archE1100ELNS1_3gpuE3ELNS1_3repE0EEENS1_30default_config_static_selectorELNS0_4arch9wavefront6targetE1EEEvT1_, .Lfunc_end340-_ZN7rocprim17ROCPRIM_400000_NS6detail17trampoline_kernelINS0_14default_configENS1_20scan_config_selectorIxEEZZNS1_9scan_implILNS1_25lookback_scan_determinismE0ELb0ELb1ES3_N6thrust23THRUST_200600_302600_NS6detail15normal_iteratorINS9_10device_ptrIxEEEESE_xNS9_10multipliesIxEExEEDaPvRmT3_T4_T5_mT6_P12ihipStream_tbENKUlT_T0_E_clISt17integral_constantIbLb0EEST_IbLb1EEEEDaSP_SQ_EUlSP_E0_NS1_11comp_targetILNS1_3genE9ELNS1_11target_archE1100ELNS1_3gpuE3ELNS1_3repE0EEENS1_30default_config_static_selectorELNS0_4arch9wavefront6targetE1EEEvT1_
                                        ; -- End function
	.section	.AMDGPU.csdata,"",@progbits
; Kernel info:
; codeLenInByte = 0
; NumSgprs: 4
; NumVgprs: 0
; NumAgprs: 0
; TotalNumVgprs: 0
; ScratchSize: 0
; MemoryBound: 0
; FloatMode: 240
; IeeeMode: 1
; LDSByteSize: 0 bytes/workgroup (compile time only)
; SGPRBlocks: 0
; VGPRBlocks: 0
; NumSGPRsForWavesPerEU: 4
; NumVGPRsForWavesPerEU: 1
; AccumOffset: 4
; Occupancy: 8
; WaveLimiterHint : 0
; COMPUTE_PGM_RSRC2:SCRATCH_EN: 0
; COMPUTE_PGM_RSRC2:USER_SGPR: 6
; COMPUTE_PGM_RSRC2:TRAP_HANDLER: 0
; COMPUTE_PGM_RSRC2:TGID_X_EN: 1
; COMPUTE_PGM_RSRC2:TGID_Y_EN: 0
; COMPUTE_PGM_RSRC2:TGID_Z_EN: 0
; COMPUTE_PGM_RSRC2:TIDIG_COMP_CNT: 0
; COMPUTE_PGM_RSRC3_GFX90A:ACCUM_OFFSET: 0
; COMPUTE_PGM_RSRC3_GFX90A:TG_SPLIT: 0
	.section	.text._ZN7rocprim17ROCPRIM_400000_NS6detail17trampoline_kernelINS0_14default_configENS1_20scan_config_selectorIxEEZZNS1_9scan_implILNS1_25lookback_scan_determinismE0ELb0ELb1ES3_N6thrust23THRUST_200600_302600_NS6detail15normal_iteratorINS9_10device_ptrIxEEEESE_xNS9_10multipliesIxEExEEDaPvRmT3_T4_T5_mT6_P12ihipStream_tbENKUlT_T0_E_clISt17integral_constantIbLb0EEST_IbLb1EEEEDaSP_SQ_EUlSP_E0_NS1_11comp_targetILNS1_3genE8ELNS1_11target_archE1030ELNS1_3gpuE2ELNS1_3repE0EEENS1_30default_config_static_selectorELNS0_4arch9wavefront6targetE1EEEvT1_,"axG",@progbits,_ZN7rocprim17ROCPRIM_400000_NS6detail17trampoline_kernelINS0_14default_configENS1_20scan_config_selectorIxEEZZNS1_9scan_implILNS1_25lookback_scan_determinismE0ELb0ELb1ES3_N6thrust23THRUST_200600_302600_NS6detail15normal_iteratorINS9_10device_ptrIxEEEESE_xNS9_10multipliesIxEExEEDaPvRmT3_T4_T5_mT6_P12ihipStream_tbENKUlT_T0_E_clISt17integral_constantIbLb0EEST_IbLb1EEEEDaSP_SQ_EUlSP_E0_NS1_11comp_targetILNS1_3genE8ELNS1_11target_archE1030ELNS1_3gpuE2ELNS1_3repE0EEENS1_30default_config_static_selectorELNS0_4arch9wavefront6targetE1EEEvT1_,comdat
	.protected	_ZN7rocprim17ROCPRIM_400000_NS6detail17trampoline_kernelINS0_14default_configENS1_20scan_config_selectorIxEEZZNS1_9scan_implILNS1_25lookback_scan_determinismE0ELb0ELb1ES3_N6thrust23THRUST_200600_302600_NS6detail15normal_iteratorINS9_10device_ptrIxEEEESE_xNS9_10multipliesIxEExEEDaPvRmT3_T4_T5_mT6_P12ihipStream_tbENKUlT_T0_E_clISt17integral_constantIbLb0EEST_IbLb1EEEEDaSP_SQ_EUlSP_E0_NS1_11comp_targetILNS1_3genE8ELNS1_11target_archE1030ELNS1_3gpuE2ELNS1_3repE0EEENS1_30default_config_static_selectorELNS0_4arch9wavefront6targetE1EEEvT1_ ; -- Begin function _ZN7rocprim17ROCPRIM_400000_NS6detail17trampoline_kernelINS0_14default_configENS1_20scan_config_selectorIxEEZZNS1_9scan_implILNS1_25lookback_scan_determinismE0ELb0ELb1ES3_N6thrust23THRUST_200600_302600_NS6detail15normal_iteratorINS9_10device_ptrIxEEEESE_xNS9_10multipliesIxEExEEDaPvRmT3_T4_T5_mT6_P12ihipStream_tbENKUlT_T0_E_clISt17integral_constantIbLb0EEST_IbLb1EEEEDaSP_SQ_EUlSP_E0_NS1_11comp_targetILNS1_3genE8ELNS1_11target_archE1030ELNS1_3gpuE2ELNS1_3repE0EEENS1_30default_config_static_selectorELNS0_4arch9wavefront6targetE1EEEvT1_
	.globl	_ZN7rocprim17ROCPRIM_400000_NS6detail17trampoline_kernelINS0_14default_configENS1_20scan_config_selectorIxEEZZNS1_9scan_implILNS1_25lookback_scan_determinismE0ELb0ELb1ES3_N6thrust23THRUST_200600_302600_NS6detail15normal_iteratorINS9_10device_ptrIxEEEESE_xNS9_10multipliesIxEExEEDaPvRmT3_T4_T5_mT6_P12ihipStream_tbENKUlT_T0_E_clISt17integral_constantIbLb0EEST_IbLb1EEEEDaSP_SQ_EUlSP_E0_NS1_11comp_targetILNS1_3genE8ELNS1_11target_archE1030ELNS1_3gpuE2ELNS1_3repE0EEENS1_30default_config_static_selectorELNS0_4arch9wavefront6targetE1EEEvT1_
	.p2align	8
	.type	_ZN7rocprim17ROCPRIM_400000_NS6detail17trampoline_kernelINS0_14default_configENS1_20scan_config_selectorIxEEZZNS1_9scan_implILNS1_25lookback_scan_determinismE0ELb0ELb1ES3_N6thrust23THRUST_200600_302600_NS6detail15normal_iteratorINS9_10device_ptrIxEEEESE_xNS9_10multipliesIxEExEEDaPvRmT3_T4_T5_mT6_P12ihipStream_tbENKUlT_T0_E_clISt17integral_constantIbLb0EEST_IbLb1EEEEDaSP_SQ_EUlSP_E0_NS1_11comp_targetILNS1_3genE8ELNS1_11target_archE1030ELNS1_3gpuE2ELNS1_3repE0EEENS1_30default_config_static_selectorELNS0_4arch9wavefront6targetE1EEEvT1_,@function
_ZN7rocprim17ROCPRIM_400000_NS6detail17trampoline_kernelINS0_14default_configENS1_20scan_config_selectorIxEEZZNS1_9scan_implILNS1_25lookback_scan_determinismE0ELb0ELb1ES3_N6thrust23THRUST_200600_302600_NS6detail15normal_iteratorINS9_10device_ptrIxEEEESE_xNS9_10multipliesIxEExEEDaPvRmT3_T4_T5_mT6_P12ihipStream_tbENKUlT_T0_E_clISt17integral_constantIbLb0EEST_IbLb1EEEEDaSP_SQ_EUlSP_E0_NS1_11comp_targetILNS1_3genE8ELNS1_11target_archE1030ELNS1_3gpuE2ELNS1_3repE0EEENS1_30default_config_static_selectorELNS0_4arch9wavefront6targetE1EEEvT1_: ; @_ZN7rocprim17ROCPRIM_400000_NS6detail17trampoline_kernelINS0_14default_configENS1_20scan_config_selectorIxEEZZNS1_9scan_implILNS1_25lookback_scan_determinismE0ELb0ELb1ES3_N6thrust23THRUST_200600_302600_NS6detail15normal_iteratorINS9_10device_ptrIxEEEESE_xNS9_10multipliesIxEExEEDaPvRmT3_T4_T5_mT6_P12ihipStream_tbENKUlT_T0_E_clISt17integral_constantIbLb0EEST_IbLb1EEEEDaSP_SQ_EUlSP_E0_NS1_11comp_targetILNS1_3genE8ELNS1_11target_archE1030ELNS1_3gpuE2ELNS1_3repE0EEENS1_30default_config_static_selectorELNS0_4arch9wavefront6targetE1EEEvT1_
; %bb.0:
	.section	.rodata,"a",@progbits
	.p2align	6, 0x0
	.amdhsa_kernel _ZN7rocprim17ROCPRIM_400000_NS6detail17trampoline_kernelINS0_14default_configENS1_20scan_config_selectorIxEEZZNS1_9scan_implILNS1_25lookback_scan_determinismE0ELb0ELb1ES3_N6thrust23THRUST_200600_302600_NS6detail15normal_iteratorINS9_10device_ptrIxEEEESE_xNS9_10multipliesIxEExEEDaPvRmT3_T4_T5_mT6_P12ihipStream_tbENKUlT_T0_E_clISt17integral_constantIbLb0EEST_IbLb1EEEEDaSP_SQ_EUlSP_E0_NS1_11comp_targetILNS1_3genE8ELNS1_11target_archE1030ELNS1_3gpuE2ELNS1_3repE0EEENS1_30default_config_static_selectorELNS0_4arch9wavefront6targetE1EEEvT1_
		.amdhsa_group_segment_fixed_size 0
		.amdhsa_private_segment_fixed_size 0
		.amdhsa_kernarg_size 40
		.amdhsa_user_sgpr_count 6
		.amdhsa_user_sgpr_private_segment_buffer 1
		.amdhsa_user_sgpr_dispatch_ptr 0
		.amdhsa_user_sgpr_queue_ptr 0
		.amdhsa_user_sgpr_kernarg_segment_ptr 1
		.amdhsa_user_sgpr_dispatch_id 0
		.amdhsa_user_sgpr_flat_scratch_init 0
		.amdhsa_user_sgpr_kernarg_preload_length 0
		.amdhsa_user_sgpr_kernarg_preload_offset 0
		.amdhsa_user_sgpr_private_segment_size 0
		.amdhsa_uses_dynamic_stack 0
		.amdhsa_system_sgpr_private_segment_wavefront_offset 0
		.amdhsa_system_sgpr_workgroup_id_x 1
		.amdhsa_system_sgpr_workgroup_id_y 0
		.amdhsa_system_sgpr_workgroup_id_z 0
		.amdhsa_system_sgpr_workgroup_info 0
		.amdhsa_system_vgpr_workitem_id 0
		.amdhsa_next_free_vgpr 1
		.amdhsa_next_free_sgpr 0
		.amdhsa_accum_offset 4
		.amdhsa_reserve_vcc 0
		.amdhsa_reserve_flat_scratch 0
		.amdhsa_float_round_mode_32 0
		.amdhsa_float_round_mode_16_64 0
		.amdhsa_float_denorm_mode_32 3
		.amdhsa_float_denorm_mode_16_64 3
		.amdhsa_dx10_clamp 1
		.amdhsa_ieee_mode 1
		.amdhsa_fp16_overflow 0
		.amdhsa_tg_split 0
		.amdhsa_exception_fp_ieee_invalid_op 0
		.amdhsa_exception_fp_denorm_src 0
		.amdhsa_exception_fp_ieee_div_zero 0
		.amdhsa_exception_fp_ieee_overflow 0
		.amdhsa_exception_fp_ieee_underflow 0
		.amdhsa_exception_fp_ieee_inexact 0
		.amdhsa_exception_int_div_zero 0
	.end_amdhsa_kernel
	.section	.text._ZN7rocprim17ROCPRIM_400000_NS6detail17trampoline_kernelINS0_14default_configENS1_20scan_config_selectorIxEEZZNS1_9scan_implILNS1_25lookback_scan_determinismE0ELb0ELb1ES3_N6thrust23THRUST_200600_302600_NS6detail15normal_iteratorINS9_10device_ptrIxEEEESE_xNS9_10multipliesIxEExEEDaPvRmT3_T4_T5_mT6_P12ihipStream_tbENKUlT_T0_E_clISt17integral_constantIbLb0EEST_IbLb1EEEEDaSP_SQ_EUlSP_E0_NS1_11comp_targetILNS1_3genE8ELNS1_11target_archE1030ELNS1_3gpuE2ELNS1_3repE0EEENS1_30default_config_static_selectorELNS0_4arch9wavefront6targetE1EEEvT1_,"axG",@progbits,_ZN7rocprim17ROCPRIM_400000_NS6detail17trampoline_kernelINS0_14default_configENS1_20scan_config_selectorIxEEZZNS1_9scan_implILNS1_25lookback_scan_determinismE0ELb0ELb1ES3_N6thrust23THRUST_200600_302600_NS6detail15normal_iteratorINS9_10device_ptrIxEEEESE_xNS9_10multipliesIxEExEEDaPvRmT3_T4_T5_mT6_P12ihipStream_tbENKUlT_T0_E_clISt17integral_constantIbLb0EEST_IbLb1EEEEDaSP_SQ_EUlSP_E0_NS1_11comp_targetILNS1_3genE8ELNS1_11target_archE1030ELNS1_3gpuE2ELNS1_3repE0EEENS1_30default_config_static_selectorELNS0_4arch9wavefront6targetE1EEEvT1_,comdat
.Lfunc_end341:
	.size	_ZN7rocprim17ROCPRIM_400000_NS6detail17trampoline_kernelINS0_14default_configENS1_20scan_config_selectorIxEEZZNS1_9scan_implILNS1_25lookback_scan_determinismE0ELb0ELb1ES3_N6thrust23THRUST_200600_302600_NS6detail15normal_iteratorINS9_10device_ptrIxEEEESE_xNS9_10multipliesIxEExEEDaPvRmT3_T4_T5_mT6_P12ihipStream_tbENKUlT_T0_E_clISt17integral_constantIbLb0EEST_IbLb1EEEEDaSP_SQ_EUlSP_E0_NS1_11comp_targetILNS1_3genE8ELNS1_11target_archE1030ELNS1_3gpuE2ELNS1_3repE0EEENS1_30default_config_static_selectorELNS0_4arch9wavefront6targetE1EEEvT1_, .Lfunc_end341-_ZN7rocprim17ROCPRIM_400000_NS6detail17trampoline_kernelINS0_14default_configENS1_20scan_config_selectorIxEEZZNS1_9scan_implILNS1_25lookback_scan_determinismE0ELb0ELb1ES3_N6thrust23THRUST_200600_302600_NS6detail15normal_iteratorINS9_10device_ptrIxEEEESE_xNS9_10multipliesIxEExEEDaPvRmT3_T4_T5_mT6_P12ihipStream_tbENKUlT_T0_E_clISt17integral_constantIbLb0EEST_IbLb1EEEEDaSP_SQ_EUlSP_E0_NS1_11comp_targetILNS1_3genE8ELNS1_11target_archE1030ELNS1_3gpuE2ELNS1_3repE0EEENS1_30default_config_static_selectorELNS0_4arch9wavefront6targetE1EEEvT1_
                                        ; -- End function
	.section	.AMDGPU.csdata,"",@progbits
; Kernel info:
; codeLenInByte = 0
; NumSgprs: 4
; NumVgprs: 0
; NumAgprs: 0
; TotalNumVgprs: 0
; ScratchSize: 0
; MemoryBound: 0
; FloatMode: 240
; IeeeMode: 1
; LDSByteSize: 0 bytes/workgroup (compile time only)
; SGPRBlocks: 0
; VGPRBlocks: 0
; NumSGPRsForWavesPerEU: 4
; NumVGPRsForWavesPerEU: 1
; AccumOffset: 4
; Occupancy: 8
; WaveLimiterHint : 0
; COMPUTE_PGM_RSRC2:SCRATCH_EN: 0
; COMPUTE_PGM_RSRC2:USER_SGPR: 6
; COMPUTE_PGM_RSRC2:TRAP_HANDLER: 0
; COMPUTE_PGM_RSRC2:TGID_X_EN: 1
; COMPUTE_PGM_RSRC2:TGID_Y_EN: 0
; COMPUTE_PGM_RSRC2:TGID_Z_EN: 0
; COMPUTE_PGM_RSRC2:TIDIG_COMP_CNT: 0
; COMPUTE_PGM_RSRC3_GFX90A:ACCUM_OFFSET: 0
; COMPUTE_PGM_RSRC3_GFX90A:TG_SPLIT: 0
	.section	.text._ZN7rocprim17ROCPRIM_400000_NS6detail17trampoline_kernelINS0_14default_configENS1_20scan_config_selectorIxEEZZNS1_9scan_implILNS1_25lookback_scan_determinismE0ELb1ELb1ES3_N6thrust23THRUST_200600_302600_NS6detail15normal_iteratorINS9_10device_ptrIxEEEESE_xNS9_4plusIxEExEEDaPvRmT3_T4_T5_mT6_P12ihipStream_tbENKUlT_T0_E_clISt17integral_constantIbLb0EESU_EEDaSP_SQ_EUlSP_E_NS1_11comp_targetILNS1_3genE0ELNS1_11target_archE4294967295ELNS1_3gpuE0ELNS1_3repE0EEENS1_30default_config_static_selectorELNS0_4arch9wavefront6targetE1EEEvT1_,"axG",@progbits,_ZN7rocprim17ROCPRIM_400000_NS6detail17trampoline_kernelINS0_14default_configENS1_20scan_config_selectorIxEEZZNS1_9scan_implILNS1_25lookback_scan_determinismE0ELb1ELb1ES3_N6thrust23THRUST_200600_302600_NS6detail15normal_iteratorINS9_10device_ptrIxEEEESE_xNS9_4plusIxEExEEDaPvRmT3_T4_T5_mT6_P12ihipStream_tbENKUlT_T0_E_clISt17integral_constantIbLb0EESU_EEDaSP_SQ_EUlSP_E_NS1_11comp_targetILNS1_3genE0ELNS1_11target_archE4294967295ELNS1_3gpuE0ELNS1_3repE0EEENS1_30default_config_static_selectorELNS0_4arch9wavefront6targetE1EEEvT1_,comdat
	.protected	_ZN7rocprim17ROCPRIM_400000_NS6detail17trampoline_kernelINS0_14default_configENS1_20scan_config_selectorIxEEZZNS1_9scan_implILNS1_25lookback_scan_determinismE0ELb1ELb1ES3_N6thrust23THRUST_200600_302600_NS6detail15normal_iteratorINS9_10device_ptrIxEEEESE_xNS9_4plusIxEExEEDaPvRmT3_T4_T5_mT6_P12ihipStream_tbENKUlT_T0_E_clISt17integral_constantIbLb0EESU_EEDaSP_SQ_EUlSP_E_NS1_11comp_targetILNS1_3genE0ELNS1_11target_archE4294967295ELNS1_3gpuE0ELNS1_3repE0EEENS1_30default_config_static_selectorELNS0_4arch9wavefront6targetE1EEEvT1_ ; -- Begin function _ZN7rocprim17ROCPRIM_400000_NS6detail17trampoline_kernelINS0_14default_configENS1_20scan_config_selectorIxEEZZNS1_9scan_implILNS1_25lookback_scan_determinismE0ELb1ELb1ES3_N6thrust23THRUST_200600_302600_NS6detail15normal_iteratorINS9_10device_ptrIxEEEESE_xNS9_4plusIxEExEEDaPvRmT3_T4_T5_mT6_P12ihipStream_tbENKUlT_T0_E_clISt17integral_constantIbLb0EESU_EEDaSP_SQ_EUlSP_E_NS1_11comp_targetILNS1_3genE0ELNS1_11target_archE4294967295ELNS1_3gpuE0ELNS1_3repE0EEENS1_30default_config_static_selectorELNS0_4arch9wavefront6targetE1EEEvT1_
	.globl	_ZN7rocprim17ROCPRIM_400000_NS6detail17trampoline_kernelINS0_14default_configENS1_20scan_config_selectorIxEEZZNS1_9scan_implILNS1_25lookback_scan_determinismE0ELb1ELb1ES3_N6thrust23THRUST_200600_302600_NS6detail15normal_iteratorINS9_10device_ptrIxEEEESE_xNS9_4plusIxEExEEDaPvRmT3_T4_T5_mT6_P12ihipStream_tbENKUlT_T0_E_clISt17integral_constantIbLb0EESU_EEDaSP_SQ_EUlSP_E_NS1_11comp_targetILNS1_3genE0ELNS1_11target_archE4294967295ELNS1_3gpuE0ELNS1_3repE0EEENS1_30default_config_static_selectorELNS0_4arch9wavefront6targetE1EEEvT1_
	.p2align	8
	.type	_ZN7rocprim17ROCPRIM_400000_NS6detail17trampoline_kernelINS0_14default_configENS1_20scan_config_selectorIxEEZZNS1_9scan_implILNS1_25lookback_scan_determinismE0ELb1ELb1ES3_N6thrust23THRUST_200600_302600_NS6detail15normal_iteratorINS9_10device_ptrIxEEEESE_xNS9_4plusIxEExEEDaPvRmT3_T4_T5_mT6_P12ihipStream_tbENKUlT_T0_E_clISt17integral_constantIbLb0EESU_EEDaSP_SQ_EUlSP_E_NS1_11comp_targetILNS1_3genE0ELNS1_11target_archE4294967295ELNS1_3gpuE0ELNS1_3repE0EEENS1_30default_config_static_selectorELNS0_4arch9wavefront6targetE1EEEvT1_,@function
_ZN7rocprim17ROCPRIM_400000_NS6detail17trampoline_kernelINS0_14default_configENS1_20scan_config_selectorIxEEZZNS1_9scan_implILNS1_25lookback_scan_determinismE0ELb1ELb1ES3_N6thrust23THRUST_200600_302600_NS6detail15normal_iteratorINS9_10device_ptrIxEEEESE_xNS9_4plusIxEExEEDaPvRmT3_T4_T5_mT6_P12ihipStream_tbENKUlT_T0_E_clISt17integral_constantIbLb0EESU_EEDaSP_SQ_EUlSP_E_NS1_11comp_targetILNS1_3genE0ELNS1_11target_archE4294967295ELNS1_3gpuE0ELNS1_3repE0EEENS1_30default_config_static_selectorELNS0_4arch9wavefront6targetE1EEEvT1_: ; @_ZN7rocprim17ROCPRIM_400000_NS6detail17trampoline_kernelINS0_14default_configENS1_20scan_config_selectorIxEEZZNS1_9scan_implILNS1_25lookback_scan_determinismE0ELb1ELb1ES3_N6thrust23THRUST_200600_302600_NS6detail15normal_iteratorINS9_10device_ptrIxEEEESE_xNS9_4plusIxEExEEDaPvRmT3_T4_T5_mT6_P12ihipStream_tbENKUlT_T0_E_clISt17integral_constantIbLb0EESU_EEDaSP_SQ_EUlSP_E_NS1_11comp_targetILNS1_3genE0ELNS1_11target_archE4294967295ELNS1_3gpuE0ELNS1_3repE0EEENS1_30default_config_static_selectorELNS0_4arch9wavefront6targetE1EEEvT1_
; %bb.0:
	.section	.rodata,"a",@progbits
	.p2align	6, 0x0
	.amdhsa_kernel _ZN7rocprim17ROCPRIM_400000_NS6detail17trampoline_kernelINS0_14default_configENS1_20scan_config_selectorIxEEZZNS1_9scan_implILNS1_25lookback_scan_determinismE0ELb1ELb1ES3_N6thrust23THRUST_200600_302600_NS6detail15normal_iteratorINS9_10device_ptrIxEEEESE_xNS9_4plusIxEExEEDaPvRmT3_T4_T5_mT6_P12ihipStream_tbENKUlT_T0_E_clISt17integral_constantIbLb0EESU_EEDaSP_SQ_EUlSP_E_NS1_11comp_targetILNS1_3genE0ELNS1_11target_archE4294967295ELNS1_3gpuE0ELNS1_3repE0EEENS1_30default_config_static_selectorELNS0_4arch9wavefront6targetE1EEEvT1_
		.amdhsa_group_segment_fixed_size 0
		.amdhsa_private_segment_fixed_size 0
		.amdhsa_kernarg_size 104
		.amdhsa_user_sgpr_count 6
		.amdhsa_user_sgpr_private_segment_buffer 1
		.amdhsa_user_sgpr_dispatch_ptr 0
		.amdhsa_user_sgpr_queue_ptr 0
		.amdhsa_user_sgpr_kernarg_segment_ptr 1
		.amdhsa_user_sgpr_dispatch_id 0
		.amdhsa_user_sgpr_flat_scratch_init 0
		.amdhsa_user_sgpr_kernarg_preload_length 0
		.amdhsa_user_sgpr_kernarg_preload_offset 0
		.amdhsa_user_sgpr_private_segment_size 0
		.amdhsa_uses_dynamic_stack 0
		.amdhsa_system_sgpr_private_segment_wavefront_offset 0
		.amdhsa_system_sgpr_workgroup_id_x 1
		.amdhsa_system_sgpr_workgroup_id_y 0
		.amdhsa_system_sgpr_workgroup_id_z 0
		.amdhsa_system_sgpr_workgroup_info 0
		.amdhsa_system_vgpr_workitem_id 0
		.amdhsa_next_free_vgpr 1
		.amdhsa_next_free_sgpr 0
		.amdhsa_accum_offset 4
		.amdhsa_reserve_vcc 0
		.amdhsa_reserve_flat_scratch 0
		.amdhsa_float_round_mode_32 0
		.amdhsa_float_round_mode_16_64 0
		.amdhsa_float_denorm_mode_32 3
		.amdhsa_float_denorm_mode_16_64 3
		.amdhsa_dx10_clamp 1
		.amdhsa_ieee_mode 1
		.amdhsa_fp16_overflow 0
		.amdhsa_tg_split 0
		.amdhsa_exception_fp_ieee_invalid_op 0
		.amdhsa_exception_fp_denorm_src 0
		.amdhsa_exception_fp_ieee_div_zero 0
		.amdhsa_exception_fp_ieee_overflow 0
		.amdhsa_exception_fp_ieee_underflow 0
		.amdhsa_exception_fp_ieee_inexact 0
		.amdhsa_exception_int_div_zero 0
	.end_amdhsa_kernel
	.section	.text._ZN7rocprim17ROCPRIM_400000_NS6detail17trampoline_kernelINS0_14default_configENS1_20scan_config_selectorIxEEZZNS1_9scan_implILNS1_25lookback_scan_determinismE0ELb1ELb1ES3_N6thrust23THRUST_200600_302600_NS6detail15normal_iteratorINS9_10device_ptrIxEEEESE_xNS9_4plusIxEExEEDaPvRmT3_T4_T5_mT6_P12ihipStream_tbENKUlT_T0_E_clISt17integral_constantIbLb0EESU_EEDaSP_SQ_EUlSP_E_NS1_11comp_targetILNS1_3genE0ELNS1_11target_archE4294967295ELNS1_3gpuE0ELNS1_3repE0EEENS1_30default_config_static_selectorELNS0_4arch9wavefront6targetE1EEEvT1_,"axG",@progbits,_ZN7rocprim17ROCPRIM_400000_NS6detail17trampoline_kernelINS0_14default_configENS1_20scan_config_selectorIxEEZZNS1_9scan_implILNS1_25lookback_scan_determinismE0ELb1ELb1ES3_N6thrust23THRUST_200600_302600_NS6detail15normal_iteratorINS9_10device_ptrIxEEEESE_xNS9_4plusIxEExEEDaPvRmT3_T4_T5_mT6_P12ihipStream_tbENKUlT_T0_E_clISt17integral_constantIbLb0EESU_EEDaSP_SQ_EUlSP_E_NS1_11comp_targetILNS1_3genE0ELNS1_11target_archE4294967295ELNS1_3gpuE0ELNS1_3repE0EEENS1_30default_config_static_selectorELNS0_4arch9wavefront6targetE1EEEvT1_,comdat
.Lfunc_end342:
	.size	_ZN7rocprim17ROCPRIM_400000_NS6detail17trampoline_kernelINS0_14default_configENS1_20scan_config_selectorIxEEZZNS1_9scan_implILNS1_25lookback_scan_determinismE0ELb1ELb1ES3_N6thrust23THRUST_200600_302600_NS6detail15normal_iteratorINS9_10device_ptrIxEEEESE_xNS9_4plusIxEExEEDaPvRmT3_T4_T5_mT6_P12ihipStream_tbENKUlT_T0_E_clISt17integral_constantIbLb0EESU_EEDaSP_SQ_EUlSP_E_NS1_11comp_targetILNS1_3genE0ELNS1_11target_archE4294967295ELNS1_3gpuE0ELNS1_3repE0EEENS1_30default_config_static_selectorELNS0_4arch9wavefront6targetE1EEEvT1_, .Lfunc_end342-_ZN7rocprim17ROCPRIM_400000_NS6detail17trampoline_kernelINS0_14default_configENS1_20scan_config_selectorIxEEZZNS1_9scan_implILNS1_25lookback_scan_determinismE0ELb1ELb1ES3_N6thrust23THRUST_200600_302600_NS6detail15normal_iteratorINS9_10device_ptrIxEEEESE_xNS9_4plusIxEExEEDaPvRmT3_T4_T5_mT6_P12ihipStream_tbENKUlT_T0_E_clISt17integral_constantIbLb0EESU_EEDaSP_SQ_EUlSP_E_NS1_11comp_targetILNS1_3genE0ELNS1_11target_archE4294967295ELNS1_3gpuE0ELNS1_3repE0EEENS1_30default_config_static_selectorELNS0_4arch9wavefront6targetE1EEEvT1_
                                        ; -- End function
	.section	.AMDGPU.csdata,"",@progbits
; Kernel info:
; codeLenInByte = 0
; NumSgprs: 4
; NumVgprs: 0
; NumAgprs: 0
; TotalNumVgprs: 0
; ScratchSize: 0
; MemoryBound: 0
; FloatMode: 240
; IeeeMode: 1
; LDSByteSize: 0 bytes/workgroup (compile time only)
; SGPRBlocks: 0
; VGPRBlocks: 0
; NumSGPRsForWavesPerEU: 4
; NumVGPRsForWavesPerEU: 1
; AccumOffset: 4
; Occupancy: 8
; WaveLimiterHint : 0
; COMPUTE_PGM_RSRC2:SCRATCH_EN: 0
; COMPUTE_PGM_RSRC2:USER_SGPR: 6
; COMPUTE_PGM_RSRC2:TRAP_HANDLER: 0
; COMPUTE_PGM_RSRC2:TGID_X_EN: 1
; COMPUTE_PGM_RSRC2:TGID_Y_EN: 0
; COMPUTE_PGM_RSRC2:TGID_Z_EN: 0
; COMPUTE_PGM_RSRC2:TIDIG_COMP_CNT: 0
; COMPUTE_PGM_RSRC3_GFX90A:ACCUM_OFFSET: 0
; COMPUTE_PGM_RSRC3_GFX90A:TG_SPLIT: 0
	.section	.text._ZN7rocprim17ROCPRIM_400000_NS6detail17trampoline_kernelINS0_14default_configENS1_20scan_config_selectorIxEEZZNS1_9scan_implILNS1_25lookback_scan_determinismE0ELb1ELb1ES3_N6thrust23THRUST_200600_302600_NS6detail15normal_iteratorINS9_10device_ptrIxEEEESE_xNS9_4plusIxEExEEDaPvRmT3_T4_T5_mT6_P12ihipStream_tbENKUlT_T0_E_clISt17integral_constantIbLb0EESU_EEDaSP_SQ_EUlSP_E_NS1_11comp_targetILNS1_3genE5ELNS1_11target_archE942ELNS1_3gpuE9ELNS1_3repE0EEENS1_30default_config_static_selectorELNS0_4arch9wavefront6targetE1EEEvT1_,"axG",@progbits,_ZN7rocprim17ROCPRIM_400000_NS6detail17trampoline_kernelINS0_14default_configENS1_20scan_config_selectorIxEEZZNS1_9scan_implILNS1_25lookback_scan_determinismE0ELb1ELb1ES3_N6thrust23THRUST_200600_302600_NS6detail15normal_iteratorINS9_10device_ptrIxEEEESE_xNS9_4plusIxEExEEDaPvRmT3_T4_T5_mT6_P12ihipStream_tbENKUlT_T0_E_clISt17integral_constantIbLb0EESU_EEDaSP_SQ_EUlSP_E_NS1_11comp_targetILNS1_3genE5ELNS1_11target_archE942ELNS1_3gpuE9ELNS1_3repE0EEENS1_30default_config_static_selectorELNS0_4arch9wavefront6targetE1EEEvT1_,comdat
	.protected	_ZN7rocprim17ROCPRIM_400000_NS6detail17trampoline_kernelINS0_14default_configENS1_20scan_config_selectorIxEEZZNS1_9scan_implILNS1_25lookback_scan_determinismE0ELb1ELb1ES3_N6thrust23THRUST_200600_302600_NS6detail15normal_iteratorINS9_10device_ptrIxEEEESE_xNS9_4plusIxEExEEDaPvRmT3_T4_T5_mT6_P12ihipStream_tbENKUlT_T0_E_clISt17integral_constantIbLb0EESU_EEDaSP_SQ_EUlSP_E_NS1_11comp_targetILNS1_3genE5ELNS1_11target_archE942ELNS1_3gpuE9ELNS1_3repE0EEENS1_30default_config_static_selectorELNS0_4arch9wavefront6targetE1EEEvT1_ ; -- Begin function _ZN7rocprim17ROCPRIM_400000_NS6detail17trampoline_kernelINS0_14default_configENS1_20scan_config_selectorIxEEZZNS1_9scan_implILNS1_25lookback_scan_determinismE0ELb1ELb1ES3_N6thrust23THRUST_200600_302600_NS6detail15normal_iteratorINS9_10device_ptrIxEEEESE_xNS9_4plusIxEExEEDaPvRmT3_T4_T5_mT6_P12ihipStream_tbENKUlT_T0_E_clISt17integral_constantIbLb0EESU_EEDaSP_SQ_EUlSP_E_NS1_11comp_targetILNS1_3genE5ELNS1_11target_archE942ELNS1_3gpuE9ELNS1_3repE0EEENS1_30default_config_static_selectorELNS0_4arch9wavefront6targetE1EEEvT1_
	.globl	_ZN7rocprim17ROCPRIM_400000_NS6detail17trampoline_kernelINS0_14default_configENS1_20scan_config_selectorIxEEZZNS1_9scan_implILNS1_25lookback_scan_determinismE0ELb1ELb1ES3_N6thrust23THRUST_200600_302600_NS6detail15normal_iteratorINS9_10device_ptrIxEEEESE_xNS9_4plusIxEExEEDaPvRmT3_T4_T5_mT6_P12ihipStream_tbENKUlT_T0_E_clISt17integral_constantIbLb0EESU_EEDaSP_SQ_EUlSP_E_NS1_11comp_targetILNS1_3genE5ELNS1_11target_archE942ELNS1_3gpuE9ELNS1_3repE0EEENS1_30default_config_static_selectorELNS0_4arch9wavefront6targetE1EEEvT1_
	.p2align	8
	.type	_ZN7rocprim17ROCPRIM_400000_NS6detail17trampoline_kernelINS0_14default_configENS1_20scan_config_selectorIxEEZZNS1_9scan_implILNS1_25lookback_scan_determinismE0ELb1ELb1ES3_N6thrust23THRUST_200600_302600_NS6detail15normal_iteratorINS9_10device_ptrIxEEEESE_xNS9_4plusIxEExEEDaPvRmT3_T4_T5_mT6_P12ihipStream_tbENKUlT_T0_E_clISt17integral_constantIbLb0EESU_EEDaSP_SQ_EUlSP_E_NS1_11comp_targetILNS1_3genE5ELNS1_11target_archE942ELNS1_3gpuE9ELNS1_3repE0EEENS1_30default_config_static_selectorELNS0_4arch9wavefront6targetE1EEEvT1_,@function
_ZN7rocprim17ROCPRIM_400000_NS6detail17trampoline_kernelINS0_14default_configENS1_20scan_config_selectorIxEEZZNS1_9scan_implILNS1_25lookback_scan_determinismE0ELb1ELb1ES3_N6thrust23THRUST_200600_302600_NS6detail15normal_iteratorINS9_10device_ptrIxEEEESE_xNS9_4plusIxEExEEDaPvRmT3_T4_T5_mT6_P12ihipStream_tbENKUlT_T0_E_clISt17integral_constantIbLb0EESU_EEDaSP_SQ_EUlSP_E_NS1_11comp_targetILNS1_3genE5ELNS1_11target_archE942ELNS1_3gpuE9ELNS1_3repE0EEENS1_30default_config_static_selectorELNS0_4arch9wavefront6targetE1EEEvT1_: ; @_ZN7rocprim17ROCPRIM_400000_NS6detail17trampoline_kernelINS0_14default_configENS1_20scan_config_selectorIxEEZZNS1_9scan_implILNS1_25lookback_scan_determinismE0ELb1ELb1ES3_N6thrust23THRUST_200600_302600_NS6detail15normal_iteratorINS9_10device_ptrIxEEEESE_xNS9_4plusIxEExEEDaPvRmT3_T4_T5_mT6_P12ihipStream_tbENKUlT_T0_E_clISt17integral_constantIbLb0EESU_EEDaSP_SQ_EUlSP_E_NS1_11comp_targetILNS1_3genE5ELNS1_11target_archE942ELNS1_3gpuE9ELNS1_3repE0EEENS1_30default_config_static_selectorELNS0_4arch9wavefront6targetE1EEEvT1_
; %bb.0:
	.section	.rodata,"a",@progbits
	.p2align	6, 0x0
	.amdhsa_kernel _ZN7rocprim17ROCPRIM_400000_NS6detail17trampoline_kernelINS0_14default_configENS1_20scan_config_selectorIxEEZZNS1_9scan_implILNS1_25lookback_scan_determinismE0ELb1ELb1ES3_N6thrust23THRUST_200600_302600_NS6detail15normal_iteratorINS9_10device_ptrIxEEEESE_xNS9_4plusIxEExEEDaPvRmT3_T4_T5_mT6_P12ihipStream_tbENKUlT_T0_E_clISt17integral_constantIbLb0EESU_EEDaSP_SQ_EUlSP_E_NS1_11comp_targetILNS1_3genE5ELNS1_11target_archE942ELNS1_3gpuE9ELNS1_3repE0EEENS1_30default_config_static_selectorELNS0_4arch9wavefront6targetE1EEEvT1_
		.amdhsa_group_segment_fixed_size 0
		.amdhsa_private_segment_fixed_size 0
		.amdhsa_kernarg_size 104
		.amdhsa_user_sgpr_count 6
		.amdhsa_user_sgpr_private_segment_buffer 1
		.amdhsa_user_sgpr_dispatch_ptr 0
		.amdhsa_user_sgpr_queue_ptr 0
		.amdhsa_user_sgpr_kernarg_segment_ptr 1
		.amdhsa_user_sgpr_dispatch_id 0
		.amdhsa_user_sgpr_flat_scratch_init 0
		.amdhsa_user_sgpr_kernarg_preload_length 0
		.amdhsa_user_sgpr_kernarg_preload_offset 0
		.amdhsa_user_sgpr_private_segment_size 0
		.amdhsa_uses_dynamic_stack 0
		.amdhsa_system_sgpr_private_segment_wavefront_offset 0
		.amdhsa_system_sgpr_workgroup_id_x 1
		.amdhsa_system_sgpr_workgroup_id_y 0
		.amdhsa_system_sgpr_workgroup_id_z 0
		.amdhsa_system_sgpr_workgroup_info 0
		.amdhsa_system_vgpr_workitem_id 0
		.amdhsa_next_free_vgpr 1
		.amdhsa_next_free_sgpr 0
		.amdhsa_accum_offset 4
		.amdhsa_reserve_vcc 0
		.amdhsa_reserve_flat_scratch 0
		.amdhsa_float_round_mode_32 0
		.amdhsa_float_round_mode_16_64 0
		.amdhsa_float_denorm_mode_32 3
		.amdhsa_float_denorm_mode_16_64 3
		.amdhsa_dx10_clamp 1
		.amdhsa_ieee_mode 1
		.amdhsa_fp16_overflow 0
		.amdhsa_tg_split 0
		.amdhsa_exception_fp_ieee_invalid_op 0
		.amdhsa_exception_fp_denorm_src 0
		.amdhsa_exception_fp_ieee_div_zero 0
		.amdhsa_exception_fp_ieee_overflow 0
		.amdhsa_exception_fp_ieee_underflow 0
		.amdhsa_exception_fp_ieee_inexact 0
		.amdhsa_exception_int_div_zero 0
	.end_amdhsa_kernel
	.section	.text._ZN7rocprim17ROCPRIM_400000_NS6detail17trampoline_kernelINS0_14default_configENS1_20scan_config_selectorIxEEZZNS1_9scan_implILNS1_25lookback_scan_determinismE0ELb1ELb1ES3_N6thrust23THRUST_200600_302600_NS6detail15normal_iteratorINS9_10device_ptrIxEEEESE_xNS9_4plusIxEExEEDaPvRmT3_T4_T5_mT6_P12ihipStream_tbENKUlT_T0_E_clISt17integral_constantIbLb0EESU_EEDaSP_SQ_EUlSP_E_NS1_11comp_targetILNS1_3genE5ELNS1_11target_archE942ELNS1_3gpuE9ELNS1_3repE0EEENS1_30default_config_static_selectorELNS0_4arch9wavefront6targetE1EEEvT1_,"axG",@progbits,_ZN7rocprim17ROCPRIM_400000_NS6detail17trampoline_kernelINS0_14default_configENS1_20scan_config_selectorIxEEZZNS1_9scan_implILNS1_25lookback_scan_determinismE0ELb1ELb1ES3_N6thrust23THRUST_200600_302600_NS6detail15normal_iteratorINS9_10device_ptrIxEEEESE_xNS9_4plusIxEExEEDaPvRmT3_T4_T5_mT6_P12ihipStream_tbENKUlT_T0_E_clISt17integral_constantIbLb0EESU_EEDaSP_SQ_EUlSP_E_NS1_11comp_targetILNS1_3genE5ELNS1_11target_archE942ELNS1_3gpuE9ELNS1_3repE0EEENS1_30default_config_static_selectorELNS0_4arch9wavefront6targetE1EEEvT1_,comdat
.Lfunc_end343:
	.size	_ZN7rocprim17ROCPRIM_400000_NS6detail17trampoline_kernelINS0_14default_configENS1_20scan_config_selectorIxEEZZNS1_9scan_implILNS1_25lookback_scan_determinismE0ELb1ELb1ES3_N6thrust23THRUST_200600_302600_NS6detail15normal_iteratorINS9_10device_ptrIxEEEESE_xNS9_4plusIxEExEEDaPvRmT3_T4_T5_mT6_P12ihipStream_tbENKUlT_T0_E_clISt17integral_constantIbLb0EESU_EEDaSP_SQ_EUlSP_E_NS1_11comp_targetILNS1_3genE5ELNS1_11target_archE942ELNS1_3gpuE9ELNS1_3repE0EEENS1_30default_config_static_selectorELNS0_4arch9wavefront6targetE1EEEvT1_, .Lfunc_end343-_ZN7rocprim17ROCPRIM_400000_NS6detail17trampoline_kernelINS0_14default_configENS1_20scan_config_selectorIxEEZZNS1_9scan_implILNS1_25lookback_scan_determinismE0ELb1ELb1ES3_N6thrust23THRUST_200600_302600_NS6detail15normal_iteratorINS9_10device_ptrIxEEEESE_xNS9_4plusIxEExEEDaPvRmT3_T4_T5_mT6_P12ihipStream_tbENKUlT_T0_E_clISt17integral_constantIbLb0EESU_EEDaSP_SQ_EUlSP_E_NS1_11comp_targetILNS1_3genE5ELNS1_11target_archE942ELNS1_3gpuE9ELNS1_3repE0EEENS1_30default_config_static_selectorELNS0_4arch9wavefront6targetE1EEEvT1_
                                        ; -- End function
	.section	.AMDGPU.csdata,"",@progbits
; Kernel info:
; codeLenInByte = 0
; NumSgprs: 4
; NumVgprs: 0
; NumAgprs: 0
; TotalNumVgprs: 0
; ScratchSize: 0
; MemoryBound: 0
; FloatMode: 240
; IeeeMode: 1
; LDSByteSize: 0 bytes/workgroup (compile time only)
; SGPRBlocks: 0
; VGPRBlocks: 0
; NumSGPRsForWavesPerEU: 4
; NumVGPRsForWavesPerEU: 1
; AccumOffset: 4
; Occupancy: 8
; WaveLimiterHint : 0
; COMPUTE_PGM_RSRC2:SCRATCH_EN: 0
; COMPUTE_PGM_RSRC2:USER_SGPR: 6
; COMPUTE_PGM_RSRC2:TRAP_HANDLER: 0
; COMPUTE_PGM_RSRC2:TGID_X_EN: 1
; COMPUTE_PGM_RSRC2:TGID_Y_EN: 0
; COMPUTE_PGM_RSRC2:TGID_Z_EN: 0
; COMPUTE_PGM_RSRC2:TIDIG_COMP_CNT: 0
; COMPUTE_PGM_RSRC3_GFX90A:ACCUM_OFFSET: 0
; COMPUTE_PGM_RSRC3_GFX90A:TG_SPLIT: 0
	.section	.text._ZN7rocprim17ROCPRIM_400000_NS6detail17trampoline_kernelINS0_14default_configENS1_20scan_config_selectorIxEEZZNS1_9scan_implILNS1_25lookback_scan_determinismE0ELb1ELb1ES3_N6thrust23THRUST_200600_302600_NS6detail15normal_iteratorINS9_10device_ptrIxEEEESE_xNS9_4plusIxEExEEDaPvRmT3_T4_T5_mT6_P12ihipStream_tbENKUlT_T0_E_clISt17integral_constantIbLb0EESU_EEDaSP_SQ_EUlSP_E_NS1_11comp_targetILNS1_3genE4ELNS1_11target_archE910ELNS1_3gpuE8ELNS1_3repE0EEENS1_30default_config_static_selectorELNS0_4arch9wavefront6targetE1EEEvT1_,"axG",@progbits,_ZN7rocprim17ROCPRIM_400000_NS6detail17trampoline_kernelINS0_14default_configENS1_20scan_config_selectorIxEEZZNS1_9scan_implILNS1_25lookback_scan_determinismE0ELb1ELb1ES3_N6thrust23THRUST_200600_302600_NS6detail15normal_iteratorINS9_10device_ptrIxEEEESE_xNS9_4plusIxEExEEDaPvRmT3_T4_T5_mT6_P12ihipStream_tbENKUlT_T0_E_clISt17integral_constantIbLb0EESU_EEDaSP_SQ_EUlSP_E_NS1_11comp_targetILNS1_3genE4ELNS1_11target_archE910ELNS1_3gpuE8ELNS1_3repE0EEENS1_30default_config_static_selectorELNS0_4arch9wavefront6targetE1EEEvT1_,comdat
	.protected	_ZN7rocprim17ROCPRIM_400000_NS6detail17trampoline_kernelINS0_14default_configENS1_20scan_config_selectorIxEEZZNS1_9scan_implILNS1_25lookback_scan_determinismE0ELb1ELb1ES3_N6thrust23THRUST_200600_302600_NS6detail15normal_iteratorINS9_10device_ptrIxEEEESE_xNS9_4plusIxEExEEDaPvRmT3_T4_T5_mT6_P12ihipStream_tbENKUlT_T0_E_clISt17integral_constantIbLb0EESU_EEDaSP_SQ_EUlSP_E_NS1_11comp_targetILNS1_3genE4ELNS1_11target_archE910ELNS1_3gpuE8ELNS1_3repE0EEENS1_30default_config_static_selectorELNS0_4arch9wavefront6targetE1EEEvT1_ ; -- Begin function _ZN7rocprim17ROCPRIM_400000_NS6detail17trampoline_kernelINS0_14default_configENS1_20scan_config_selectorIxEEZZNS1_9scan_implILNS1_25lookback_scan_determinismE0ELb1ELb1ES3_N6thrust23THRUST_200600_302600_NS6detail15normal_iteratorINS9_10device_ptrIxEEEESE_xNS9_4plusIxEExEEDaPvRmT3_T4_T5_mT6_P12ihipStream_tbENKUlT_T0_E_clISt17integral_constantIbLb0EESU_EEDaSP_SQ_EUlSP_E_NS1_11comp_targetILNS1_3genE4ELNS1_11target_archE910ELNS1_3gpuE8ELNS1_3repE0EEENS1_30default_config_static_selectorELNS0_4arch9wavefront6targetE1EEEvT1_
	.globl	_ZN7rocprim17ROCPRIM_400000_NS6detail17trampoline_kernelINS0_14default_configENS1_20scan_config_selectorIxEEZZNS1_9scan_implILNS1_25lookback_scan_determinismE0ELb1ELb1ES3_N6thrust23THRUST_200600_302600_NS6detail15normal_iteratorINS9_10device_ptrIxEEEESE_xNS9_4plusIxEExEEDaPvRmT3_T4_T5_mT6_P12ihipStream_tbENKUlT_T0_E_clISt17integral_constantIbLb0EESU_EEDaSP_SQ_EUlSP_E_NS1_11comp_targetILNS1_3genE4ELNS1_11target_archE910ELNS1_3gpuE8ELNS1_3repE0EEENS1_30default_config_static_selectorELNS0_4arch9wavefront6targetE1EEEvT1_
	.p2align	8
	.type	_ZN7rocprim17ROCPRIM_400000_NS6detail17trampoline_kernelINS0_14default_configENS1_20scan_config_selectorIxEEZZNS1_9scan_implILNS1_25lookback_scan_determinismE0ELb1ELb1ES3_N6thrust23THRUST_200600_302600_NS6detail15normal_iteratorINS9_10device_ptrIxEEEESE_xNS9_4plusIxEExEEDaPvRmT3_T4_T5_mT6_P12ihipStream_tbENKUlT_T0_E_clISt17integral_constantIbLb0EESU_EEDaSP_SQ_EUlSP_E_NS1_11comp_targetILNS1_3genE4ELNS1_11target_archE910ELNS1_3gpuE8ELNS1_3repE0EEENS1_30default_config_static_selectorELNS0_4arch9wavefront6targetE1EEEvT1_,@function
_ZN7rocprim17ROCPRIM_400000_NS6detail17trampoline_kernelINS0_14default_configENS1_20scan_config_selectorIxEEZZNS1_9scan_implILNS1_25lookback_scan_determinismE0ELb1ELb1ES3_N6thrust23THRUST_200600_302600_NS6detail15normal_iteratorINS9_10device_ptrIxEEEESE_xNS9_4plusIxEExEEDaPvRmT3_T4_T5_mT6_P12ihipStream_tbENKUlT_T0_E_clISt17integral_constantIbLb0EESU_EEDaSP_SQ_EUlSP_E_NS1_11comp_targetILNS1_3genE4ELNS1_11target_archE910ELNS1_3gpuE8ELNS1_3repE0EEENS1_30default_config_static_selectorELNS0_4arch9wavefront6targetE1EEEvT1_: ; @_ZN7rocprim17ROCPRIM_400000_NS6detail17trampoline_kernelINS0_14default_configENS1_20scan_config_selectorIxEEZZNS1_9scan_implILNS1_25lookback_scan_determinismE0ELb1ELb1ES3_N6thrust23THRUST_200600_302600_NS6detail15normal_iteratorINS9_10device_ptrIxEEEESE_xNS9_4plusIxEExEEDaPvRmT3_T4_T5_mT6_P12ihipStream_tbENKUlT_T0_E_clISt17integral_constantIbLb0EESU_EEDaSP_SQ_EUlSP_E_NS1_11comp_targetILNS1_3genE4ELNS1_11target_archE910ELNS1_3gpuE8ELNS1_3repE0EEENS1_30default_config_static_selectorELNS0_4arch9wavefront6targetE1EEEvT1_
; %bb.0:
	s_load_dwordx8 s[8:15], s[4:5], 0x0
	s_load_dword s1, s[4:5], 0x38
	s_mul_i32 s0, s6, 0x380
	v_lshlrev_b32_e32 v36, 3, v0
	s_waitcnt lgkmcnt(0)
	s_lshl_b64 s[16:17], s[10:11], 3
	s_add_u32 s28, s8, s16
	s_addc_u32 s29, s9, s17
	s_add_i32 s2, s1, -1
	s_mul_i32 s3, s2, 0x380
	s_sub_u32 s26, s14, s3
	s_subb_u32 s27, s15, 0
	s_mov_b32 s1, 0
	s_cmp_lg_u32 s6, s2
	s_cselect_b64 s[14:15], -1, 0
	s_lshl_b64 s[18:19], s[0:1], 3
	s_add_u32 s2, s28, s18
	s_addc_u32 s3, s29, s19
	s_mov_b64 s[0:1], -1
	s_and_b64 vcc, exec, s[14:15]
	s_cbranch_vccz .LBB344_2
; %bb.1:
	v_mov_b32_e32 v1, s3
	v_add_co_u32_e32 v2, vcc, s2, v36
	v_addc_co_u32_e32 v3, vcc, 0, v1, vcc
	flat_load_dwordx2 v[4:5], v[2:3]
	flat_load_dwordx2 v[6:7], v[2:3] offset:1024
	flat_load_dwordx2 v[8:9], v[2:3] offset:2048
	;; [unrolled: 1-line block ×3, first 2 shown]
	v_add_co_u32_e32 v2, vcc, 0x1000, v2
	v_addc_co_u32_e32 v3, vcc, 0, v3, vcc
	flat_load_dwordx2 v[12:13], v[2:3]
	flat_load_dwordx2 v[14:15], v[2:3] offset:1024
	flat_load_dwordx2 v[16:17], v[2:3] offset:2048
	s_mov_b64 s[0:1], 0
	s_waitcnt vmcnt(0) lgkmcnt(0)
	ds_write2st64_b64 v36, v[4:5], v[6:7] offset1:2
	ds_write2st64_b64 v36, v[8:9], v[10:11] offset0:4 offset1:6
	ds_write2st64_b64 v36, v[12:13], v[14:15] offset0:8 offset1:10
	ds_write_b64 v36, v[16:17] offset:6144
	s_waitcnt lgkmcnt(0)
	s_barrier
.LBB344_2:
	s_load_dwordx2 s[22:23], s[4:5], 0x20
	s_load_dwordx2 s[20:21], s[4:5], 0x30
	s_andn2_b64 vcc, exec, s[0:1]
	v_cmp_gt_u32_e64 s[0:1], s26, v0
	s_cbranch_vccnz .LBB344_18
; %bb.3:
	v_pk_mov_b32 v[2:3], s[2:3], s[2:3] op_sel:[0,1]
	flat_load_dwordx2 v[2:3], v[2:3]
	s_waitcnt vmcnt(0) lgkmcnt(0)
	v_mov_b32_e32 v4, v2
	v_mov_b32_e32 v5, v3
	v_mov_b32_e32 v6, v2
	v_mov_b32_e32 v7, v3
	v_mov_b32_e32 v8, v2
	v_mov_b32_e32 v9, v3
	v_mov_b32_e32 v10, v2
	v_mov_b32_e32 v11, v3
	v_mov_b32_e32 v12, v2
	v_mov_b32_e32 v13, v3
	v_pk_mov_b32 v[18:19], v[14:15], v[14:15] op_sel:[0,1]
	v_pk_mov_b32 v[16:17], v[12:13], v[12:13] op_sel:[0,1]
	;; [unrolled: 1-line block ×8, first 2 shown]
	s_and_saveexec_b64 s[8:9], s[0:1]
	s_cbranch_execz .LBB344_5
; %bb.4:
	v_mov_b32_e32 v1, s3
	v_add_co_u32_e32 v4, vcc, s2, v36
	v_addc_co_u32_e32 v5, vcc, 0, v1, vcc
	flat_load_dwordx2 v[20:21], v[4:5]
	v_mov_b32_e32 v4, v2
	v_mov_b32_e32 v5, v3
	;; [unrolled: 1-line block ×10, first 2 shown]
	v_pk_mov_b32 v[18:19], v[14:15], v[14:15] op_sel:[0,1]
	v_pk_mov_b32 v[16:17], v[12:13], v[12:13] op_sel:[0,1]
	;; [unrolled: 1-line block ×8, first 2 shown]
	s_waitcnt vmcnt(0) lgkmcnt(0)
	v_pk_mov_b32 v[2:3], v[20:21], v[20:21] op_sel:[0,1]
.LBB344_5:
	s_or_b64 exec, exec, s[8:9]
	v_or_b32_e32 v1, 0x80, v0
	v_cmp_gt_u32_e32 vcc, s26, v1
	s_and_saveexec_b64 s[0:1], vcc
	s_cbranch_execz .LBB344_7
; %bb.6:
	v_mov_b32_e32 v1, s3
	v_add_co_u32_e32 v4, vcc, s2, v36
	v_addc_co_u32_e32 v5, vcc, 0, v1, vcc
	flat_load_dwordx2 v[6:7], v[4:5] offset:1024
.LBB344_7:
	s_or_b64 exec, exec, s[0:1]
	v_or_b32_e32 v1, 0x100, v0
	v_cmp_gt_u32_e32 vcc, s26, v1
	s_and_saveexec_b64 s[0:1], vcc
	s_cbranch_execz .LBB344_9
; %bb.8:
	v_mov_b32_e32 v1, s3
	v_add_co_u32_e32 v4, vcc, s2, v36
	v_addc_co_u32_e32 v5, vcc, 0, v1, vcc
	flat_load_dwordx2 v[8:9], v[4:5] offset:2048
.LBB344_9:
	s_or_b64 exec, exec, s[0:1]
	v_or_b32_e32 v1, 0x180, v0
	v_cmp_gt_u32_e32 vcc, s26, v1
	s_and_saveexec_b64 s[0:1], vcc
	s_cbranch_execz .LBB344_11
; %bb.10:
	v_mov_b32_e32 v1, s3
	v_add_co_u32_e32 v4, vcc, s2, v36
	v_addc_co_u32_e32 v5, vcc, 0, v1, vcc
	flat_load_dwordx2 v[10:11], v[4:5] offset:3072
.LBB344_11:
	s_or_b64 exec, exec, s[0:1]
	v_or_b32_e32 v1, 0x200, v0
	v_cmp_gt_u32_e32 vcc, s26, v1
	s_and_saveexec_b64 s[0:1], vcc
	s_cbranch_execz .LBB344_13
; %bb.12:
	v_lshlrev_b32_e32 v1, 3, v1
	v_mov_b32_e32 v5, s3
	v_add_co_u32_e32 v4, vcc, s2, v1
	v_addc_co_u32_e32 v5, vcc, 0, v5, vcc
	flat_load_dwordx2 v[12:13], v[4:5]
.LBB344_13:
	s_or_b64 exec, exec, s[0:1]
	v_or_b32_e32 v1, 0x280, v0
	v_cmp_gt_u32_e32 vcc, s26, v1
	s_and_saveexec_b64 s[0:1], vcc
	s_cbranch_execz .LBB344_15
; %bb.14:
	v_lshlrev_b32_e32 v1, 3, v1
	v_mov_b32_e32 v5, s3
	v_add_co_u32_e32 v4, vcc, s2, v1
	v_addc_co_u32_e32 v5, vcc, 0, v5, vcc
	flat_load_dwordx2 v[14:15], v[4:5]
.LBB344_15:
	;; [unrolled: 12-line block ×3, first 2 shown]
	s_or_b64 exec, exec, s[0:1]
	s_waitcnt vmcnt(0) lgkmcnt(0)
	ds_write2st64_b64 v36, v[2:3], v[6:7] offset1:2
	ds_write2st64_b64 v36, v[8:9], v[10:11] offset0:4 offset1:6
	ds_write2st64_b64 v36, v[12:13], v[14:15] offset0:8 offset1:10
	ds_write_b64 v36, v[16:17] offset:6144
	s_waitcnt lgkmcnt(0)
	s_barrier
.LBB344_18:
	v_mul_u32_u24_e32 v37, 7, v0
	v_lshlrev_b32_e32 v1, 3, v37
	s_waitcnt lgkmcnt(0)
	ds_read2_b64 v[10:13], v1 offset1:1
	ds_read2_b64 v[6:9], v1 offset0:2 offset1:3
	ds_read2_b64 v[2:5], v1 offset0:4 offset1:5
	ds_read_b64 v[26:27], v1 offset:48
	s_cmp_lg_u32 s6, 0
	v_lshrrev_b32_e32 v38, 5, v0
	v_cmp_gt_u32_e32 vcc, 64, v0
	s_waitcnt lgkmcnt(0)
	s_barrier
	s_cbranch_scc0 .LBB344_45
; %bb.19:
	v_add_co_u32_e64 v1, s[0:1], v12, v10
	v_addc_co_u32_e64 v14, s[0:1], v13, v11, s[0:1]
	v_add_co_u32_e64 v1, s[0:1], v1, v6
	v_addc_co_u32_e64 v14, s[0:1], v14, v7, s[0:1]
	v_add_co_u32_e64 v1, s[0:1], v1, v8
	v_addc_co_u32_e64 v14, s[0:1], v14, v9, s[0:1]
	v_add_co_u32_e64 v1, s[0:1], v1, v2
	v_addc_co_u32_e64 v14, s[0:1], v14, v3, s[0:1]
	v_add_co_u32_e64 v1, s[0:1], v1, v4
	v_addc_co_u32_e64 v14, s[0:1], v14, v5, s[0:1]
	v_add_co_u32_e64 v18, s[0:1], v1, v26
	v_addc_co_u32_e64 v19, s[0:1], v14, v27, s[0:1]
	v_add_lshl_u32 v1, v38, v0, 3
	ds_write_b64 v1, v[18:19]
	s_waitcnt lgkmcnt(0)
	s_barrier
	s_and_saveexec_b64 s[8:9], vcc
	s_cbranch_execz .LBB344_23
; %bb.20:
	v_lshlrev_b32_e32 v1, 1, v0
	v_lshrrev_b32_e32 v14, 4, v0
	v_add_lshl_u32 v20, v14, v1, 3
	ds_read2_b64 v[14:17], v20 offset1:1
	v_mbcnt_lo_u32_b32 v1, -1, 0
	s_waitcnt lgkmcnt(0)
	v_add_co_u32_e64 v21, s[0:1], v16, v14
	v_addc_co_u32_e64 v22, s[0:1], v17, v15, s[0:1]
	s_nop 0
	v_mov_b32_dpp v16, v21 row_shr:1 row_mask:0xf bank_mask:0xf
	v_add_co_u32_e64 v16, s[0:1], v21, v16
	v_addc_co_u32_e64 v24, s[0:1], 0, v22, s[0:1]
	v_mbcnt_hi_u32_b32 v17, -1, v1
	v_mov_b32_dpp v23, v22 row_shr:1 row_mask:0xf bank_mask:0xf
	v_add_co_u32_e64 v25, s[0:1], 0, v16
	v_and_b32_e32 v1, 15, v17
	v_addc_co_u32_e64 v23, s[0:1], v23, v24, s[0:1]
	v_cmp_eq_u32_e64 s[0:1], 0, v1
	v_cndmask_b32_e64 v16, v16, v21, s[0:1]
	v_cndmask_b32_e64 v23, v23, v22, s[0:1]
	v_cndmask_b32_e64 v24, v25, v21, s[0:1]
	v_mov_b32_dpp v25, v16 row_shr:2 row_mask:0xf bank_mask:0xf
	v_mov_b32_dpp v28, v23 row_shr:2 row_mask:0xf bank_mask:0xf
	v_add_co_u32_e64 v25, s[0:1], v25, v24
	v_addc_co_u32_e64 v28, s[0:1], v28, v23, s[0:1]
	v_cmp_lt_u32_e64 s[0:1], 1, v1
	v_cndmask_b32_e64 v16, v16, v25, s[0:1]
	v_cndmask_b32_e64 v23, v23, v28, s[0:1]
	v_cndmask_b32_e64 v24, v24, v25, s[0:1]
	v_mov_b32_dpp v25, v16 row_shr:4 row_mask:0xf bank_mask:0xf
	v_mov_b32_dpp v28, v23 row_shr:4 row_mask:0xf bank_mask:0xf
	v_add_co_u32_e64 v25, s[0:1], v25, v24
	v_addc_co_u32_e64 v28, s[0:1], v28, v23, s[0:1]
	v_cmp_lt_u32_e64 s[0:1], 3, v1
	v_cndmask_b32_e64 v16, v16, v25, s[0:1]
	v_cndmask_b32_e64 v23, v23, v28, s[0:1]
	v_cndmask_b32_e64 v24, v24, v25, s[0:1]
	v_mov_b32_dpp v25, v16 row_shr:8 row_mask:0xf bank_mask:0xf
	v_mov_b32_dpp v28, v23 row_shr:8 row_mask:0xf bank_mask:0xf
	v_add_co_u32_e64 v25, s[0:1], v25, v24
	v_addc_co_u32_e64 v28, s[0:1], v28, v23, s[0:1]
	v_cmp_lt_u32_e64 s[0:1], 7, v1
	v_cndmask_b32_e64 v29, v16, v25, s[0:1]
	v_cndmask_b32_e64 v1, v23, v28, s[0:1]
	;; [unrolled: 1-line block ×3, first 2 shown]
	v_mov_b32_dpp v23, v29 row_bcast:15 row_mask:0xf bank_mask:0xf
	v_mov_b32_dpp v24, v1 row_bcast:15 row_mask:0xf bank_mask:0xf
	v_add_co_u32_e64 v23, s[0:1], v23, v16
	v_and_b32_e32 v28, 16, v17
	v_addc_co_u32_e64 v25, s[0:1], v24, v1, s[0:1]
	v_cmp_eq_u32_e64 s[0:1], 0, v28
	v_cndmask_b32_e64 v28, v25, v1, s[0:1]
	v_cndmask_b32_e64 v24, v23, v29, s[0:1]
	v_cmp_ne_u32_e64 s[2:3], 0, v17
	v_mov_b32_dpp v28, v28 row_bcast:31 row_mask:0xf bank_mask:0xf
	v_mov_b32_dpp v24, v24 row_bcast:31 row_mask:0xf bank_mask:0xf
	s_and_saveexec_b64 s[10:11], s[2:3]
; %bb.21:
	v_cndmask_b32_e64 v1, v25, v1, s[0:1]
	v_cndmask_b32_e64 v16, v23, v16, s[0:1]
	v_cmp_lt_u32_e64 s[0:1], 31, v17
	v_cndmask_b32_e64 v21, 0, v24, s[0:1]
	v_cndmask_b32_e64 v22, 0, v28, s[0:1]
	v_add_co_u32_e64 v21, s[0:1], v21, v16
	v_addc_co_u32_e64 v22, s[0:1], v22, v1, s[0:1]
; %bb.22:
	s_or_b64 exec, exec, s[10:11]
	v_add_u32_e32 v1, -1, v17
	v_and_b32_e32 v16, 64, v17
	v_cmp_lt_i32_e64 s[0:1], v1, v16
	v_cndmask_b32_e64 v1, v1, v17, s[0:1]
	v_lshlrev_b32_e32 v1, 2, v1
	ds_bpermute_b32 v16, v1, v21
	ds_bpermute_b32 v1, v1, v22
	; wave barrier
	s_waitcnt lgkmcnt(1)
	v_add_co_u32_e64 v14, s[0:1], v14, v16
	v_addc_co_u32_e64 v15, s[0:1], 0, v15, s[0:1]
	v_add_co_u32_e64 v14, s[0:1], 0, v14
	s_waitcnt lgkmcnt(0)
	v_addc_co_u32_e64 v1, s[0:1], v15, v1, s[0:1]
	v_cmp_eq_u32_e64 s[0:1], 0, v0
	v_cndmask_b32_e64 v15, v1, v19, s[0:1]
	v_cndmask_b32_e64 v14, v14, v18, s[0:1]
	ds_write_b64 v20, v[14:15]
	; wave barrier
	ds_read_b64 v[16:17], v20 offset:8
	s_waitcnt lgkmcnt(0)
	v_add_co_u32_e64 v14, s[0:1], v16, v14
	v_addc_co_u32_e64 v15, s[0:1], v17, v15, s[0:1]
	ds_write_b64 v20, v[14:15] offset:8
.LBB344_23:
	s_or_b64 exec, exec, s[8:9]
	v_cmp_eq_u32_e64 s[0:1], 0, v0
	v_cmp_ne_u32_e64 s[2:3], 0, v0
	v_pk_mov_b32 v[22:23], 0, 0
	s_waitcnt lgkmcnt(0)
	s_barrier
	s_and_saveexec_b64 s[8:9], s[2:3]
	s_cbranch_execz .LBB344_25
; %bb.24:
	v_add_u32_e32 v1, -1, v0
	v_lshrrev_b32_e32 v14, 5, v1
	v_add_lshl_u32 v1, v14, v1, 3
	ds_read_b64 v[22:23], v1
.LBB344_25:
	s_or_b64 exec, exec, s[8:9]
	s_and_saveexec_b64 s[24:25], vcc
	s_cbranch_execz .LBB344_44
; %bb.26:
	v_mov_b32_e32 v17, 0
	ds_read_b64 v[14:15], v17 offset:1040
	v_mbcnt_lo_u32_b32 v1, -1, 0
	v_mbcnt_hi_u32_b32 v30, -1, v1
	s_mov_b32 s11, 0
	v_cmp_eq_u32_e64 s[2:3], 0, v30
	s_and_saveexec_b64 s[8:9], s[2:3]
	s_cbranch_execz .LBB344_28
; %bb.27:
	s_add_i32 s10, s6, 64
	s_lshl_b64 s[10:11], s[10:11], 4
	s_add_u32 s10, s20, s10
	s_addc_u32 s11, s21, s11
	v_mov_b32_e32 v16, 1
	v_pk_mov_b32 v[18:19], s[10:11], s[10:11] op_sel:[0,1]
	s_waitcnt lgkmcnt(0)
	;;#ASMSTART
	global_store_dwordx4 v[18:19], v[14:17] off	
s_waitcnt vmcnt(0)
	;;#ASMEND
.LBB344_28:
	s_or_b64 exec, exec, s[8:9]
	v_xad_u32 v24, v30, -1, s6
	v_add_u32_e32 v16, 64, v24
	v_lshlrev_b64 v[18:19], 4, v[16:17]
	v_mov_b32_e32 v1, s21
	v_add_co_u32_e32 v28, vcc, s20, v18
	v_addc_co_u32_e32 v29, vcc, v1, v19, vcc
	;;#ASMSTART
	global_load_dwordx4 v[18:21], v[28:29] off glc	
s_waitcnt vmcnt(0)
	;;#ASMEND
	v_and_b32_e32 v1, 0xff, v19
	v_and_b32_e32 v16, 0xff00, v19
	v_or3_b32 v1, 0, v1, v16
	v_or3_b32 v16, v18, 0, 0
	v_and_b32_e32 v18, 0xff000000, v19
	v_and_b32_e32 v19, 0xff0000, v19
	v_or3_b32 v19, v1, v19, v18
	v_or3_b32 v18, v16, 0, 0
	v_cmp_eq_u16_sdwa s[10:11], v20, v17 src0_sel:BYTE_0 src1_sel:DWORD
	s_and_saveexec_b64 s[8:9], s[10:11]
	s_cbranch_execz .LBB344_32
; %bb.29:
	s_mov_b64 s[10:11], 0
	v_mov_b32_e32 v1, 0
.LBB344_30:                             ; =>This Inner Loop Header: Depth=1
	;;#ASMSTART
	global_load_dwordx4 v[18:21], v[28:29] off glc	
s_waitcnt vmcnt(0)
	;;#ASMEND
	v_cmp_ne_u16_sdwa s[30:31], v20, v1 src0_sel:BYTE_0 src1_sel:DWORD
	s_or_b64 s[10:11], s[30:31], s[10:11]
	s_andn2_b64 exec, exec, s[10:11]
	s_cbranch_execnz .LBB344_30
; %bb.31:
	s_or_b64 exec, exec, s[10:11]
.LBB344_32:
	s_or_b64 exec, exec, s[8:9]
	v_and_b32_e32 v32, 63, v30
	v_cmp_ne_u32_e32 vcc, 63, v32
	v_addc_co_u32_e32 v28, vcc, 0, v30, vcc
	v_lshlrev_b32_e32 v33, 2, v28
	ds_bpermute_b32 v28, v33, v18
	v_mov_b32_e32 v1, 2
	v_cmp_eq_u16_sdwa s[8:9], v20, v1 src0_sel:BYTE_0 src1_sel:DWORD
	v_lshlrev_b64 v[16:17], v30, -1
	ds_bpermute_b32 v29, v33, v19
	v_and_b32_e32 v21, s9, v17
	v_or_b32_e32 v21, 0x80000000, v21
	s_waitcnt lgkmcnt(1)
	v_add_co_u32_e32 v28, vcc, v18, v28
	v_and_b32_e32 v25, s8, v16
	v_ffbl_b32_e32 v21, v21
	v_addc_co_u32_e32 v31, vcc, 0, v19, vcc
	v_add_u32_e32 v21, 32, v21
	v_ffbl_b32_e32 v25, v25
	v_add_co_u32_e32 v35, vcc, 0, v28
	v_cmp_gt_u32_e64 s[8:9], 62, v32
	v_min_u32_e32 v21, v25, v21
	s_waitcnt lgkmcnt(0)
	v_addc_co_u32_e32 v29, vcc, v29, v31, vcc
	v_cndmask_b32_e64 v31, 0, 1, s[8:9]
	v_cmp_lt_u32_e32 vcc, v32, v21
	v_lshlrev_b32_e32 v31, 1, v31
	v_cndmask_b32_e32 v28, v18, v28, vcc
	v_add_lshl_u32 v34, v31, v30, 2
	v_cndmask_b32_e32 v29, v19, v29, vcc
	ds_bpermute_b32 v31, v34, v28
	ds_bpermute_b32 v39, v34, v29
	v_cndmask_b32_e32 v40, v18, v35, vcc
	v_add_u32_e32 v35, 2, v32
	v_cmp_gt_u32_e64 s[10:11], 60, v32
	s_waitcnt lgkmcnt(1)
	v_add_co_u32_e64 v31, s[8:9], v31, v40
	s_waitcnt lgkmcnt(0)
	v_addc_co_u32_e64 v39, s[8:9], v39, v29, s[8:9]
	v_cmp_gt_u32_e64 s[8:9], v35, v21
	v_cndmask_b32_e64 v29, v39, v29, s[8:9]
	v_cndmask_b32_e64 v39, 0, 1, s[10:11]
	v_lshlrev_b32_e32 v39, 2, v39
	v_cndmask_b32_e64 v28, v31, v28, s[8:9]
	v_add_lshl_u32 v39, v39, v30, 2
	ds_bpermute_b32 v41, v39, v28
	ds_bpermute_b32 v42, v39, v29
	v_cndmask_b32_e64 v31, v31, v40, s[8:9]
	v_add_u32_e32 v40, 4, v32
	v_cmp_gt_u32_e64 s[10:11], 56, v32
	s_waitcnt lgkmcnt(1)
	v_add_co_u32_e64 v43, s[8:9], v41, v31
	s_waitcnt lgkmcnt(0)
	v_addc_co_u32_e64 v41, s[8:9], v42, v29, s[8:9]
	v_cmp_gt_u32_e64 s[8:9], v40, v21
	v_cndmask_b32_e64 v29, v41, v29, s[8:9]
	v_cndmask_b32_e64 v41, 0, 1, s[10:11]
	v_lshlrev_b32_e32 v41, 3, v41
	v_cndmask_b32_e64 v28, v43, v28, s[8:9]
	v_add_lshl_u32 v41, v41, v30, 2
	ds_bpermute_b32 v44, v41, v28
	v_cndmask_b32_e64 v31, v43, v31, s[8:9]
	ds_bpermute_b32 v43, v41, v29
	v_add_u32_e32 v42, 8, v32
	v_cmp_gt_u32_e64 s[10:11], 48, v32
	s_waitcnt lgkmcnt(1)
	v_add_co_u32_e64 v44, s[8:9], v44, v31
	s_waitcnt lgkmcnt(0)
	v_addc_co_u32_e64 v43, s[8:9], v43, v29, s[8:9]
	v_cmp_gt_u32_e64 s[8:9], v42, v21
	v_cndmask_b32_e64 v29, v43, v29, s[8:9]
	v_cndmask_b32_e64 v43, 0, 1, s[10:11]
	v_lshlrev_b32_e32 v43, 4, v43
	v_cndmask_b32_e64 v28, v44, v28, s[8:9]
	v_add_lshl_u32 v43, v43, v30, 2
	ds_bpermute_b32 v45, v43, v28
	ds_bpermute_b32 v46, v43, v29
	v_cndmask_b32_e64 v31, v44, v31, s[8:9]
	v_cmp_gt_u32_e64 s[10:11], 32, v32
	v_add_u32_e32 v44, 16, v32
	s_waitcnt lgkmcnt(1)
	v_add_co_u32_e64 v47, s[8:9], v45, v31
	s_waitcnt lgkmcnt(0)
	v_addc_co_u32_e64 v46, s[8:9], v46, v29, s[8:9]
	v_cndmask_b32_e64 v45, 0, 1, s[10:11]
	v_cmp_gt_u32_e64 s[8:9], v44, v21
	v_lshlrev_b32_e32 v45, 5, v45
	v_cndmask_b32_e64 v28, v47, v28, s[8:9]
	v_add_lshl_u32 v45, v45, v30, 2
	v_cndmask_b32_e64 v29, v46, v29, s[8:9]
	ds_bpermute_b32 v28, v45, v28
	ds_bpermute_b32 v30, v45, v29
	v_add_u32_e32 v46, 32, v32
	v_cndmask_b32_e64 v31, v47, v31, s[8:9]
	v_cmp_le_u32_e64 s[8:9], v46, v21
	s_waitcnt lgkmcnt(1)
	v_cndmask_b32_e64 v28, 0, v28, s[8:9]
	s_waitcnt lgkmcnt(0)
	v_cndmask_b32_e64 v21, 0, v30, s[8:9]
	v_add_co_u32_e64 v28, s[8:9], v28, v31
	v_addc_co_u32_e64 v21, s[8:9], v21, v29, s[8:9]
	v_mov_b32_e32 v25, 0
	v_cndmask_b32_e32 v19, v19, v21, vcc
	v_cndmask_b32_e32 v18, v18, v28, vcc
	s_branch .LBB344_34
.LBB344_33:                             ;   in Loop: Header=BB344_34 Depth=1
	s_or_b64 exec, exec, s[8:9]
	v_cmp_eq_u16_sdwa s[8:9], v20, v1 src0_sel:BYTE_0 src1_sel:DWORD
	v_and_b32_e32 v21, s9, v17
	v_or_b32_e32 v21, 0x80000000, v21
	ds_bpermute_b32 v31, v33, v18
	v_and_b32_e32 v30, s8, v16
	v_ffbl_b32_e32 v21, v21
	v_add_u32_e32 v21, 32, v21
	v_ffbl_b32_e32 v30, v30
	v_min_u32_e32 v21, v30, v21
	ds_bpermute_b32 v30, v33, v19
	s_waitcnt lgkmcnt(1)
	v_add_co_u32_e32 v31, vcc, v18, v31
	v_addc_co_u32_e32 v47, vcc, 0, v19, vcc
	v_add_co_u32_e32 v48, vcc, 0, v31
	s_waitcnt lgkmcnt(0)
	v_addc_co_u32_e32 v30, vcc, v30, v47, vcc
	v_cmp_lt_u32_e32 vcc, v32, v21
	v_cndmask_b32_e32 v31, v18, v31, vcc
	ds_bpermute_b32 v47, v34, v31
	v_cndmask_b32_e32 v30, v19, v30, vcc
	ds_bpermute_b32 v49, v34, v30
	v_cndmask_b32_e32 v48, v18, v48, vcc
	v_subrev_u32_e32 v24, 64, v24
	s_waitcnt lgkmcnt(1)
	v_add_co_u32_e64 v47, s[8:9], v47, v48
	s_waitcnt lgkmcnt(0)
	v_addc_co_u32_e64 v49, s[8:9], v49, v30, s[8:9]
	v_cmp_gt_u32_e64 s[8:9], v35, v21
	v_cndmask_b32_e64 v31, v47, v31, s[8:9]
	ds_bpermute_b32 v50, v39, v31
	v_cndmask_b32_e64 v30, v49, v30, s[8:9]
	ds_bpermute_b32 v49, v39, v30
	v_cndmask_b32_e64 v47, v47, v48, s[8:9]
	s_waitcnt lgkmcnt(1)
	v_add_co_u32_e64 v48, s[8:9], v50, v47
	s_waitcnt lgkmcnt(0)
	v_addc_co_u32_e64 v49, s[8:9], v49, v30, s[8:9]
	v_cmp_gt_u32_e64 s[8:9], v40, v21
	v_cndmask_b32_e64 v31, v48, v31, s[8:9]
	ds_bpermute_b32 v50, v41, v31
	v_cndmask_b32_e64 v30, v49, v30, s[8:9]
	ds_bpermute_b32 v49, v41, v30
	v_cndmask_b32_e64 v47, v48, v47, s[8:9]
	;; [unrolled: 10-line block ×3, first 2 shown]
	s_waitcnt lgkmcnt(1)
	v_add_co_u32_e64 v48, s[8:9], v50, v47
	s_waitcnt lgkmcnt(0)
	v_addc_co_u32_e64 v49, s[8:9], v49, v30, s[8:9]
	v_cmp_gt_u32_e64 s[8:9], v44, v21
	v_cndmask_b32_e64 v31, v48, v31, s[8:9]
	v_cndmask_b32_e64 v30, v49, v30, s[8:9]
	ds_bpermute_b32 v31, v45, v31
	ds_bpermute_b32 v49, v45, v30
	v_cndmask_b32_e64 v47, v48, v47, s[8:9]
	v_cmp_le_u32_e64 s[8:9], v46, v21
	s_waitcnt lgkmcnt(1)
	v_cndmask_b32_e64 v31, 0, v31, s[8:9]
	s_waitcnt lgkmcnt(0)
	v_cndmask_b32_e64 v21, 0, v49, s[8:9]
	v_add_co_u32_e64 v31, s[8:9], v31, v47
	v_addc_co_u32_e64 v21, s[8:9], v21, v30, s[8:9]
	v_cndmask_b32_e32 v18, v18, v31, vcc
	v_cndmask_b32_e32 v19, v19, v21, vcc
	v_add_co_u32_e32 v18, vcc, v18, v28
	v_addc_co_u32_e32 v19, vcc, v19, v29, vcc
.LBB344_34:                             ; =>This Loop Header: Depth=1
                                        ;     Child Loop BB344_37 Depth 2
	v_cmp_ne_u16_sdwa s[8:9], v20, v1 src0_sel:BYTE_0 src1_sel:DWORD
	v_cndmask_b32_e64 v20, 0, 1, s[8:9]
	;;#ASMSTART
	;;#ASMEND
	v_cmp_ne_u32_e32 vcc, 0, v20
	s_cmp_lg_u64 vcc, exec
	v_pk_mov_b32 v[28:29], v[18:19], v[18:19] op_sel:[0,1]
	s_cbranch_scc1 .LBB344_39
; %bb.35:                               ;   in Loop: Header=BB344_34 Depth=1
	v_lshlrev_b64 v[18:19], 4, v[24:25]
	v_mov_b32_e32 v20, s21
	v_add_co_u32_e32 v30, vcc, s20, v18
	v_addc_co_u32_e32 v31, vcc, v20, v19, vcc
	;;#ASMSTART
	global_load_dwordx4 v[18:21], v[30:31] off glc	
s_waitcnt vmcnt(0)
	;;#ASMEND
	v_and_b32_e32 v21, 0xff, v19
	v_and_b32_e32 v47, 0xff00, v19
	v_or3_b32 v21, 0, v21, v47
	v_or3_b32 v18, v18, 0, 0
	v_and_b32_e32 v47, 0xff000000, v19
	v_and_b32_e32 v19, 0xff0000, v19
	v_or3_b32 v19, v21, v19, v47
	v_or3_b32 v18, v18, 0, 0
	v_cmp_eq_u16_sdwa s[10:11], v20, v25 src0_sel:BYTE_0 src1_sel:DWORD
	s_and_saveexec_b64 s[8:9], s[10:11]
	s_cbranch_execz .LBB344_33
; %bb.36:                               ;   in Loop: Header=BB344_34 Depth=1
	s_mov_b64 s[10:11], 0
.LBB344_37:                             ;   Parent Loop BB344_34 Depth=1
                                        ; =>  This Inner Loop Header: Depth=2
	;;#ASMSTART
	global_load_dwordx4 v[18:21], v[30:31] off glc	
s_waitcnt vmcnt(0)
	;;#ASMEND
	v_cmp_ne_u16_sdwa s[30:31], v20, v25 src0_sel:BYTE_0 src1_sel:DWORD
	s_or_b64 s[10:11], s[30:31], s[10:11]
	s_andn2_b64 exec, exec, s[10:11]
	s_cbranch_execnz .LBB344_37
; %bb.38:                               ;   in Loop: Header=BB344_34 Depth=1
	s_or_b64 exec, exec, s[10:11]
	s_branch .LBB344_33
.LBB344_39:                             ;   in Loop: Header=BB344_34 Depth=1
                                        ; implicit-def: $vgpr18_vgpr19
                                        ; implicit-def: $vgpr20
	s_cbranch_execz .LBB344_34
; %bb.40:
	s_and_saveexec_b64 s[8:9], s[2:3]
	s_cbranch_execz .LBB344_42
; %bb.41:
	s_add_i32 s2, s6, 64
	s_mov_b32 s3, 0
	s_lshl_b64 s[2:3], s[2:3], 4
	s_add_u32 s2, s20, s2
	v_add_co_u32_e32 v14, vcc, v28, v14
	s_addc_u32 s3, s21, s3
	v_addc_co_u32_e32 v15, vcc, v29, v15, vcc
	v_mov_b32_e32 v16, 2
	v_mov_b32_e32 v17, 0
	v_pk_mov_b32 v[18:19], s[2:3], s[2:3] op_sel:[0,1]
	;;#ASMSTART
	global_store_dwordx4 v[18:19], v[14:17] off	
s_waitcnt vmcnt(0)
	;;#ASMEND
.LBB344_42:
	s_or_b64 exec, exec, s[8:9]
	s_and_b64 exec, exec, s[0:1]
	s_cbranch_execz .LBB344_44
; %bb.43:
	v_mov_b32_e32 v1, 0
	ds_write_b64 v1, v[28:29]
.LBB344_44:
	s_or_b64 exec, exec, s[24:25]
	v_mov_b32_e32 v1, 0
	s_waitcnt lgkmcnt(0)
	s_barrier
	ds_read_b64 v[14:15], v1
	s_waitcnt lgkmcnt(0)
	v_add_co_u32_e32 v14, vcc, v14, v22
	v_addc_co_u32_e32 v15, vcc, v15, v23, vcc
	v_add_co_u32_e32 v28, vcc, v14, v10
	v_addc_co_u32_e32 v29, vcc, v15, v11, vcc
	;; [unrolled: 2-line block ×7, first 2 shown]
	s_load_dwordx8 s[0:7], s[4:5], 0x40
	s_branch .LBB344_57
.LBB344_45:
                                        ; implicit-def: $vgpr34_vgpr35
                                        ; implicit-def: $vgpr32_vgpr33
                                        ; implicit-def: $vgpr30_vgpr31
                                        ; implicit-def: $vgpr28_vgpr29
                                        ; implicit-def: $vgpr22_vgpr23_vgpr24_vgpr25
                                        ; implicit-def: $vgpr18_vgpr19_vgpr20_vgpr21
                                        ; implicit-def: $vgpr14_vgpr15_vgpr16_vgpr17
	s_load_dwordx8 s[0:7], s[4:5], 0x40
	s_cbranch_execz .LBB344_57
; %bb.46:
	s_waitcnt lgkmcnt(0)
	s_cmp_eq_u64 s[4:5], 0
	v_pk_mov_b32 v[20:21], s[22:23], s[22:23] op_sel:[0,1]
	s_cbranch_scc1 .LBB344_48
; %bb.47:
	v_mov_b32_e32 v1, 0
	v_mov_b32_e32 v15, s29
	v_add_co_u32_e64 v14, vcc, -8, s28
	v_addc_co_u32_e32 v15, vcc, -1, v15, vcc
	global_load_dwordx2 v[16:17], v1, s[0:1]
	flat_load_dwordx2 v[18:19], v[14:15]
	s_waitcnt vmcnt(0) lgkmcnt(0)
	v_add_co_u32_e32 v20, vcc, v16, v18
	v_addc_co_u32_e32 v21, vcc, v17, v19, vcc
.LBB344_48:
	v_add_co_u32_e32 v1, vcc, v12, v10
	v_addc_co_u32_e32 v14, vcc, v13, v11, vcc
	v_add_co_u32_e32 v1, vcc, v1, v6
	v_addc_co_u32_e32 v14, vcc, v14, v7, vcc
	;; [unrolled: 2-line block ×6, first 2 shown]
	v_add_lshl_u32 v1, v38, v0, 3
	v_cmp_gt_u32_e32 vcc, 64, v0
	ds_write_b64 v1, v[18:19]
	s_waitcnt lgkmcnt(0)
	s_barrier
	s_and_saveexec_b64 s[4:5], vcc
	s_cbranch_execz .LBB344_52
; %bb.49:
	v_lshlrev_b32_e32 v1, 1, v0
	v_lshrrev_b32_e32 v14, 4, v0
	v_add_lshl_u32 v22, v14, v1, 3
	ds_read2_b64 v[14:17], v22 offset1:1
	v_mbcnt_lo_u32_b32 v1, -1, 0
	s_waitcnt lgkmcnt(0)
	v_add_co_u32_e32 v23, vcc, v16, v14
	v_addc_co_u32_e32 v24, vcc, v17, v15, vcc
	s_nop 0
	v_mov_b32_dpp v16, v23 row_shr:1 row_mask:0xf bank_mask:0xf
	v_add_co_u32_e32 v16, vcc, v23, v16
	v_addc_co_u32_e32 v26, vcc, 0, v24, vcc
	v_mbcnt_hi_u32_b32 v17, -1, v1
	v_mov_b32_dpp v25, v24 row_shr:1 row_mask:0xf bank_mask:0xf
	v_add_co_u32_e32 v27, vcc, 0, v16
	v_and_b32_e32 v1, 15, v17
	v_addc_co_u32_e32 v25, vcc, v25, v26, vcc
	v_cmp_eq_u32_e32 vcc, 0, v1
	v_cndmask_b32_e32 v16, v16, v23, vcc
	v_cndmask_b32_e32 v25, v25, v24, vcc
	v_cndmask_b32_e32 v26, v27, v23, vcc
	v_mov_b32_dpp v27, v16 row_shr:2 row_mask:0xf bank_mask:0xf
	v_mov_b32_dpp v28, v25 row_shr:2 row_mask:0xf bank_mask:0xf
	v_add_co_u32_e32 v27, vcc, v27, v26
	v_addc_co_u32_e32 v28, vcc, v28, v25, vcc
	v_cmp_lt_u32_e32 vcc, 1, v1
	v_cndmask_b32_e32 v16, v16, v27, vcc
	v_cndmask_b32_e32 v25, v25, v28, vcc
	v_cndmask_b32_e32 v26, v26, v27, vcc
	v_mov_b32_dpp v27, v16 row_shr:4 row_mask:0xf bank_mask:0xf
	v_mov_b32_dpp v28, v25 row_shr:4 row_mask:0xf bank_mask:0xf
	v_add_co_u32_e32 v27, vcc, v27, v26
	v_addc_co_u32_e32 v28, vcc, v28, v25, vcc
	v_cmp_lt_u32_e32 vcc, 3, v1
	;; [unrolled: 8-line block ×3, first 2 shown]
	v_cndmask_b32_e32 v29, v16, v27, vcc
	v_cndmask_b32_e32 v1, v25, v28, vcc
	;; [unrolled: 1-line block ×3, first 2 shown]
	v_mov_b32_dpp v25, v29 row_bcast:15 row_mask:0xf bank_mask:0xf
	v_mov_b32_dpp v26, v1 row_bcast:15 row_mask:0xf bank_mask:0xf
	v_add_co_u32_e32 v25, vcc, v25, v16
	v_and_b32_e32 v28, 16, v17
	v_addc_co_u32_e32 v27, vcc, v26, v1, vcc
	v_cmp_eq_u32_e32 vcc, 0, v28
	v_cndmask_b32_e32 v28, v27, v1, vcc
	v_cndmask_b32_e32 v26, v25, v29, vcc
	v_cmp_ne_u32_e64 s[0:1], 0, v17
	v_mov_b32_dpp v28, v28 row_bcast:31 row_mask:0xf bank_mask:0xf
	v_mov_b32_dpp v26, v26 row_bcast:31 row_mask:0xf bank_mask:0xf
	s_and_saveexec_b64 s[8:9], s[0:1]
; %bb.50:
	v_cndmask_b32_e32 v1, v27, v1, vcc
	v_cndmask_b32_e32 v16, v25, v16, vcc
	v_cmp_lt_u32_e32 vcc, 31, v17
	v_cndmask_b32_e32 v23, 0, v26, vcc
	v_cndmask_b32_e32 v24, 0, v28, vcc
	v_add_co_u32_e32 v23, vcc, v23, v16
	v_addc_co_u32_e32 v24, vcc, v24, v1, vcc
; %bb.51:
	s_or_b64 exec, exec, s[8:9]
	v_add_u32_e32 v1, -1, v17
	v_and_b32_e32 v16, 64, v17
	v_cmp_lt_i32_e32 vcc, v1, v16
	v_cndmask_b32_e32 v1, v1, v17, vcc
	v_lshlrev_b32_e32 v1, 2, v1
	ds_bpermute_b32 v16, v1, v23
	ds_bpermute_b32 v1, v1, v24
	; wave barrier
	s_waitcnt lgkmcnt(1)
	v_add_co_u32_e32 v14, vcc, v14, v16
	v_addc_co_u32_e32 v15, vcc, 0, v15, vcc
	v_add_co_u32_e32 v14, vcc, 0, v14
	s_waitcnt lgkmcnt(0)
	v_addc_co_u32_e32 v1, vcc, v15, v1, vcc
	v_cmp_eq_u32_e32 vcc, 0, v0
	v_cndmask_b32_e32 v15, v1, v19, vcc
	v_cndmask_b32_e32 v14, v14, v18, vcc
	ds_write_b64 v22, v[14:15]
	; wave barrier
	ds_read_b64 v[16:17], v22 offset:8
	s_waitcnt lgkmcnt(0)
	v_add_co_u32_e32 v14, vcc, v16, v14
	v_addc_co_u32_e32 v15, vcc, v17, v15, vcc
	ds_write_b64 v22, v[14:15] offset:8
.LBB344_52:
	s_or_b64 exec, exec, s[4:5]
	v_cmp_eq_u32_e32 vcc, 0, v0
	v_cmp_ne_u32_e64 s[0:1], 0, v0
	v_pk_mov_b32 v[14:15], v[20:21], v[20:21] op_sel:[0,1]
	s_waitcnt lgkmcnt(0)
	s_barrier
	s_and_saveexec_b64 s[4:5], s[0:1]
	s_cbranch_execz .LBB344_54
; %bb.53:
	v_add_u32_e32 v1, -1, v0
	v_lshrrev_b32_e32 v14, 5, v1
	v_add_lshl_u32 v1, v14, v1, 3
	ds_read_b64 v[14:15], v1
	s_waitcnt lgkmcnt(0)
	v_add_co_u32_e64 v14, s[0:1], v14, v20
	v_addc_co_u32_e64 v15, s[0:1], v15, v21, s[0:1]
.LBB344_54:
	s_or_b64 exec, exec, s[4:5]
	v_add_co_u32_e64 v28, s[0:1], v14, v10
	v_addc_co_u32_e64 v29, s[0:1], v15, v11, s[0:1]
	v_add_co_u32_e64 v18, s[0:1], v28, v12
	v_addc_co_u32_e64 v19, s[0:1], v29, v13, s[0:1]
	v_add_co_u32_e64 v30, s[0:1], v18, v6
	v_addc_co_u32_e64 v31, s[0:1], v19, v7, s[0:1]
	v_add_co_u32_e64 v22, s[0:1], v30, v8
	v_addc_co_u32_e64 v23, s[0:1], v31, v9, s[0:1]
	v_add_co_u32_e64 v32, s[0:1], v22, v2
	v_addc_co_u32_e64 v33, s[0:1], v23, v3, s[0:1]
	v_add_co_u32_e64 v34, s[0:1], v32, v4
	v_addc_co_u32_e64 v35, s[0:1], v33, v5, s[0:1]
	s_and_saveexec_b64 s[0:1], vcc
	s_cbranch_execz .LBB344_56
; %bb.55:
	v_mov_b32_e32 v5, 0
	ds_read_b64 v[2:3], v5 offset:1040
	s_add_u32 s4, s20, 0x400
	s_addc_u32 s5, s21, 0
	v_mov_b32_e32 v4, 2
	v_pk_mov_b32 v[6:7], s[4:5], s[4:5] op_sel:[0,1]
	s_waitcnt lgkmcnt(0)
	v_add_co_u32_e32 v2, vcc, v2, v20
	v_addc_co_u32_e32 v3, vcc, v3, v21, vcc
	;;#ASMSTART
	global_store_dwordx4 v[6:7], v[2:5] off	
s_waitcnt vmcnt(0)
	;;#ASMEND
.LBB344_56:
	s_or_b64 exec, exec, s[0:1]
.LBB344_57:
	s_waitcnt lgkmcnt(0)
	s_add_u32 s0, s12, s16
	s_addc_u32 s1, s13, s17
	s_add_u32 s4, s0, s18
	s_addc_u32 s5, s1, s19
	s_mov_b64 s[0:1], -1
	s_and_b64 vcc, exec, s[14:15]
	v_mul_u32_u24_e32 v1, 56, v0
	s_barrier
	s_cbranch_vccz .LBB344_59
; %bb.58:
	v_mul_i32_i24_e32 v2, 0xffffffd0, v0
	v_mad_u32_u24 v16, v0, 56, v2
	ds_write2_b64 v1, v[14:15], v[28:29] offset1:1
	ds_write2_b64 v1, v[18:19], v[30:31] offset0:2 offset1:3
	ds_write2_b64 v1, v[22:23], v[32:33] offset0:4 offset1:5
	ds_write_b64 v1, v[34:35] offset:48
	s_waitcnt lgkmcnt(0)
	s_barrier
	ds_read2st64_b64 v[2:5], v16 offset1:2
	ds_read2st64_b64 v[6:9], v16 offset0:4 offset1:6
	ds_read2st64_b64 v[10:13], v16 offset0:8 offset1:10
	ds_read_b64 v[16:17], v16 offset:6144
	v_mov_b32_e32 v21, s5
	v_add_co_u32_e32 v20, vcc, s4, v36
	v_addc_co_u32_e32 v21, vcc, 0, v21, vcc
	s_waitcnt lgkmcnt(3)
	flat_store_dwordx2 v[20:21], v[2:3]
	flat_store_dwordx2 v[20:21], v[4:5] offset:1024
	s_waitcnt lgkmcnt(0)
	flat_store_dwordx2 v[20:21], v[6:7] offset:2048
	flat_store_dwordx2 v[20:21], v[8:9] offset:3072
	v_add_co_u32_e32 v2, vcc, 0x1000, v20
	v_addc_co_u32_e32 v3, vcc, 0, v21, vcc
	flat_store_dwordx2 v[2:3], v[10:11]
	flat_store_dwordx2 v[2:3], v[12:13] offset:1024
	flat_store_dwordx2 v[2:3], v[16:17] offset:2048
	s_mov_b64 s[0:1], 0
.LBB344_59:
	s_andn2_b64 vcc, exec, s[0:1]
	s_cbranch_vccnz .LBB344_98
; %bb.60:
	v_mul_i32_i24_e32 v2, 0xffffffd0, v0
	ds_write2_b64 v1, v[14:15], v[28:29] offset1:1
	ds_write2_b64 v1, v[18:19], v[30:31] offset0:2 offset1:3
	ds_write2_b64 v1, v[22:23], v[32:33] offset0:4 offset1:5
	ds_write_b64 v1, v[34:35] offset:48
	v_mad_u32_u24 v14, v0, 56, v2
	s_waitcnt lgkmcnt(0)
	s_barrier
	ds_read2st64_b64 v[2:5], v14 offset1:2
	ds_read2st64_b64 v[6:9], v14 offset0:4 offset1:6
	ds_read2st64_b64 v[10:13], v14 offset0:8 offset1:10
	ds_read_b64 v[14:15], v14 offset:6144
	v_mov_b32_e32 v17, s5
	v_add_co_u32_e32 v16, vcc, s4, v36
	v_addc_co_u32_e32 v17, vcc, 0, v17, vcc
	v_mov_b32_e32 v1, 0
	v_cmp_gt_u32_e32 vcc, s26, v0
	s_and_saveexec_b64 s[0:1], vcc
	s_cbranch_execz .LBB344_62
; %bb.61:
	s_waitcnt lgkmcnt(0)
	flat_store_dwordx2 v[16:17], v[2:3]
.LBB344_62:
	s_or_b64 exec, exec, s[0:1]
	v_or_b32_e32 v18, 0x80, v0
	v_cmp_gt_u32_e32 vcc, s26, v18
	s_and_saveexec_b64 s[0:1], vcc
	s_cbranch_execz .LBB344_64
; %bb.63:
	s_waitcnt lgkmcnt(0)
	flat_store_dwordx2 v[16:17], v[4:5] offset:1024
.LBB344_64:
	s_or_b64 exec, exec, s[0:1]
	v_or_b32_e32 v18, 0x100, v0
	v_cmp_gt_u32_e32 vcc, s26, v18
	s_and_saveexec_b64 s[0:1], vcc
	s_cbranch_execz .LBB344_66
; %bb.65:
	s_waitcnt lgkmcnt(0)
	flat_store_dwordx2 v[16:17], v[6:7] offset:2048
.LBB344_66:
	;; [unrolled: 9-line block ×3, first 2 shown]
	s_or_b64 exec, exec, s[0:1]
	v_or_b32_e32 v18, 0x200, v0
	v_cmp_gt_u32_e32 vcc, s26, v18
	s_and_saveexec_b64 s[0:1], vcc
	s_cbranch_execz .LBB344_70
; %bb.69:
	v_add_co_u32_e32 v18, vcc, 0x1000, v16
	v_addc_co_u32_e32 v19, vcc, 0, v17, vcc
	s_waitcnt lgkmcnt(0)
	flat_store_dwordx2 v[18:19], v[10:11]
.LBB344_70:
	s_or_b64 exec, exec, s[0:1]
	v_or_b32_e32 v18, 0x280, v0
	v_cmp_gt_u32_e32 vcc, s26, v18
	s_and_saveexec_b64 s[0:1], vcc
	s_cbranch_execz .LBB344_72
; %bb.71:
	v_add_co_u32_e32 v18, vcc, 0x1000, v16
	v_addc_co_u32_e32 v19, vcc, 0, v17, vcc
	s_waitcnt lgkmcnt(0)
	flat_store_dwordx2 v[18:19], v[12:13] offset:1024
.LBB344_72:
	s_or_b64 exec, exec, s[0:1]
	v_or_b32_e32 v18, 0x300, v0
	v_cmp_gt_u32_e32 vcc, s26, v18
	s_and_saveexec_b64 s[0:1], vcc
	s_cbranch_execz .LBB344_74
; %bb.73:
	v_add_co_u32_e32 v16, vcc, 0x1000, v16
	v_addc_co_u32_e32 v17, vcc, 0, v17, vcc
	s_waitcnt lgkmcnt(0)
	flat_store_dwordx2 v[16:17], v[14:15] offset:2048
.LBB344_74:
	s_or_b64 exec, exec, s[0:1]
	v_cmp_lt_u64_e64 s[0:1], s[6:7], 2
	s_and_b64 vcc, exec, s[0:1]
	s_cbranch_vccnz .LBB344_98
; %bb.75:
	s_add_u32 s0, s26, -1
	s_addc_u32 s1, s27, -1
	s_add_u32 s4, 0, 0x92481000
	s_addc_u32 s5, 0, 0x64
	s_add_i32 s5, s5, 0x249248c0
	s_mul_hi_u32 s9, s4, -7
	s_sub_i32 s9, s9, s4
	s_mul_i32 s10, s5, -7
	s_mul_i32 s6, s4, -7
	s_add_i32 s9, s9, s10
	s_mul_hi_u32 s7, s5, s6
	s_mul_i32 s8, s5, s6
	s_mul_i32 s11, s4, s9
	s_mul_hi_u32 s6, s4, s6
	s_mul_hi_u32 s10, s4, s9
	s_add_u32 s6, s6, s11
	s_addc_u32 s10, 0, s10
	s_add_u32 s6, s6, s8
	s_mul_hi_u32 s11, s5, s9
	s_addc_u32 s6, s10, s7
	s_addc_u32 s7, s11, 0
	s_mul_i32 s8, s5, s9
	s_add_u32 s6, s6, s8
	v_mov_b32_e32 v16, s6
	s_addc_u32 s7, 0, s7
	v_add_co_u32_e32 v16, vcc, s4, v16
	s_cmp_lg_u64 vcc, 0
	s_addc_u32 s4, s5, s7
	v_readfirstlane_b32 s7, v16
	s_mul_i32 s6, s0, s4
	s_mul_hi_u32 s8, s0, s7
	s_mul_hi_u32 s5, s0, s4
	s_add_u32 s6, s8, s6
	s_addc_u32 s5, 0, s5
	s_mul_hi_u32 s9, s1, s7
	s_mul_i32 s7, s1, s7
	s_add_u32 s6, s6, s7
	s_mul_hi_u32 s8, s1, s4
	s_addc_u32 s5, s5, s9
	s_addc_u32 s6, s8, 0
	s_mul_i32 s4, s1, s4
	s_add_u32 s4, s5, s4
	s_addc_u32 s5, 0, s6
	s_add_u32 s6, s4, 1
	s_addc_u32 s7, s5, 0
	s_add_u32 s8, s4, 2
	s_mul_i32 s10, s5, 7
	s_mul_hi_u32 s11, s4, 7
	s_addc_u32 s9, s5, 0
	s_add_i32 s11, s11, s10
	s_mul_i32 s10, s4, 7
	v_mov_b32_e32 v16, s10
	v_sub_co_u32_e32 v16, vcc, s0, v16
	s_cmp_lg_u64 vcc, 0
	s_subb_u32 s10, s1, s11
	v_subrev_co_u32_e32 v17, vcc, 7, v16
	s_cmp_lg_u64 vcc, 0
	s_subb_u32 s11, s10, 0
	v_readfirstlane_b32 s12, v17
	s_cmp_gt_u32 s12, 6
	s_cselect_b32 s12, -1, 0
	s_cmp_eq_u32 s11, 0
	s_cselect_b32 s11, s12, -1
	s_cmp_lg_u32 s11, 0
	s_cselect_b32 s6, s8, s6
	v_readfirstlane_b32 s8, v16
	s_cselect_b32 s7, s9, s7
	s_cmp_gt_u32 s8, 6
	s_cselect_b32 s8, -1, 0
	s_cmp_eq_u32 s10, 0
	s_cselect_b32 s8, s8, -1
	s_cmp_lg_u32 s8, 0
	s_cselect_b32 s5, s7, s5
	s_cselect_b32 s4, s6, s4
	v_cmp_eq_u64_e32 vcc, s[4:5], v[0:1]
	s_and_saveexec_b64 s[4:5], vcc
	s_cbranch_execz .LBB344_98
; %bb.76:
	v_mul_hi_u32_u24_e32 v1, 7, v0
	v_mov_b32_e32 v16, s1
	v_sub_co_u32_e32 v0, vcc, s0, v37
	v_subb_co_u32_e32 v1, vcc, v16, v1, vcc
	v_cmp_lt_i64_e32 vcc, 3, v[0:1]
	s_and_saveexec_b64 s[0:1], vcc
	s_xor_b64 s[0:1], exec, s[0:1]
	s_cbranch_execz .LBB344_86
; %bb.77:
	v_cmp_lt_i64_e32 vcc, 4, v[0:1]
	s_and_saveexec_b64 s[4:5], vcc
	s_xor_b64 s[4:5], exec, s[4:5]
	s_cbranch_execz .LBB344_83
; %bb.78:
	;; [unrolled: 5-line block ×3, first 2 shown]
	v_mov_b32_e32 v0, 0
	s_waitcnt lgkmcnt(0)
	global_store_dwordx2 v0, v[14:15], s[2:3]
                                        ; implicit-def: $vgpr10_vgpr11_vgpr12_vgpr13
.LBB344_80:
	s_andn2_saveexec_b64 s[6:7], s[6:7]
	s_cbranch_execz .LBB344_82
; %bb.81:
	v_mov_b32_e32 v0, 0
	s_waitcnt lgkmcnt(0)
	global_store_dwordx2 v0, v[12:13], s[2:3]
.LBB344_82:
	s_or_b64 exec, exec, s[6:7]
                                        ; implicit-def: $vgpr10_vgpr11_vgpr12_vgpr13
.LBB344_83:
	s_andn2_saveexec_b64 s[4:5], s[4:5]
	s_cbranch_execz .LBB344_85
; %bb.84:
	v_mov_b32_e32 v0, 0
	s_waitcnt lgkmcnt(0)
	global_store_dwordx2 v0, v[10:11], s[2:3]
.LBB344_85:
	s_or_b64 exec, exec, s[4:5]
                                        ; implicit-def: $vgpr0_vgpr1
                                        ; implicit-def: $vgpr2_vgpr3_vgpr4_vgpr5
                                        ; implicit-def: $vgpr6_vgpr7_vgpr8_vgpr9
.LBB344_86:
	s_andn2_saveexec_b64 s[0:1], s[0:1]
	s_cbranch_execz .LBB344_98
; %bb.87:
	v_cmp_lt_i64_e32 vcc, 1, v[0:1]
	s_and_saveexec_b64 s[0:1], vcc
	s_xor_b64 s[0:1], exec, s[0:1]
	s_cbranch_execz .LBB344_93
; %bb.88:
	v_cmp_lt_i64_e32 vcc, 2, v[0:1]
	s_and_saveexec_b64 s[4:5], vcc
	s_xor_b64 s[4:5], exec, s[4:5]
	s_cbranch_execz .LBB344_90
; %bb.89:
	v_mov_b32_e32 v0, 0
	s_waitcnt lgkmcnt(0)
	global_store_dwordx2 v0, v[8:9], s[2:3]
                                        ; implicit-def: $vgpr6_vgpr7_vgpr8_vgpr9
.LBB344_90:
	s_andn2_saveexec_b64 s[4:5], s[4:5]
	s_cbranch_execz .LBB344_92
; %bb.91:
	v_mov_b32_e32 v0, 0
	s_waitcnt lgkmcnt(0)
	global_store_dwordx2 v0, v[6:7], s[2:3]
.LBB344_92:
	s_or_b64 exec, exec, s[4:5]
                                        ; implicit-def: $vgpr2_vgpr3_vgpr4_vgpr5
                                        ; implicit-def: $vgpr0_vgpr1
.LBB344_93:
	s_andn2_saveexec_b64 s[0:1], s[0:1]
	s_cbranch_execz .LBB344_98
; %bb.94:
	v_cmp_ne_u64_e32 vcc, 1, v[0:1]
	s_and_saveexec_b64 s[0:1], vcc
	s_xor_b64 s[0:1], exec, s[0:1]
	s_cbranch_execz .LBB344_96
; %bb.95:
	v_mov_b32_e32 v0, 0
	s_waitcnt lgkmcnt(0)
	global_store_dwordx2 v0, v[2:3], s[2:3]
                                        ; implicit-def: $vgpr2_vgpr3_vgpr4_vgpr5
.LBB344_96:
	s_andn2_saveexec_b64 s[0:1], s[0:1]
	s_cbranch_execz .LBB344_98
; %bb.97:
	v_mov_b32_e32 v0, 0
	s_waitcnt lgkmcnt(0)
	global_store_dwordx2 v0, v[4:5], s[2:3]
.LBB344_98:
	s_endpgm
	.section	.rodata,"a",@progbits
	.p2align	6, 0x0
	.amdhsa_kernel _ZN7rocprim17ROCPRIM_400000_NS6detail17trampoline_kernelINS0_14default_configENS1_20scan_config_selectorIxEEZZNS1_9scan_implILNS1_25lookback_scan_determinismE0ELb1ELb1ES3_N6thrust23THRUST_200600_302600_NS6detail15normal_iteratorINS9_10device_ptrIxEEEESE_xNS9_4plusIxEExEEDaPvRmT3_T4_T5_mT6_P12ihipStream_tbENKUlT_T0_E_clISt17integral_constantIbLb0EESU_EEDaSP_SQ_EUlSP_E_NS1_11comp_targetILNS1_3genE4ELNS1_11target_archE910ELNS1_3gpuE8ELNS1_3repE0EEENS1_30default_config_static_selectorELNS0_4arch9wavefront6targetE1EEEvT1_
		.amdhsa_group_segment_fixed_size 7168
		.amdhsa_private_segment_fixed_size 0
		.amdhsa_kernarg_size 104
		.amdhsa_user_sgpr_count 6
		.amdhsa_user_sgpr_private_segment_buffer 1
		.amdhsa_user_sgpr_dispatch_ptr 0
		.amdhsa_user_sgpr_queue_ptr 0
		.amdhsa_user_sgpr_kernarg_segment_ptr 1
		.amdhsa_user_sgpr_dispatch_id 0
		.amdhsa_user_sgpr_flat_scratch_init 0
		.amdhsa_user_sgpr_kernarg_preload_length 0
		.amdhsa_user_sgpr_kernarg_preload_offset 0
		.amdhsa_user_sgpr_private_segment_size 0
		.amdhsa_uses_dynamic_stack 0
		.amdhsa_system_sgpr_private_segment_wavefront_offset 0
		.amdhsa_system_sgpr_workgroup_id_x 1
		.amdhsa_system_sgpr_workgroup_id_y 0
		.amdhsa_system_sgpr_workgroup_id_z 0
		.amdhsa_system_sgpr_workgroup_info 0
		.amdhsa_system_vgpr_workitem_id 0
		.amdhsa_next_free_vgpr 51
		.amdhsa_next_free_sgpr 32
		.amdhsa_accum_offset 52
		.amdhsa_reserve_vcc 1
		.amdhsa_reserve_flat_scratch 0
		.amdhsa_float_round_mode_32 0
		.amdhsa_float_round_mode_16_64 0
		.amdhsa_float_denorm_mode_32 3
		.amdhsa_float_denorm_mode_16_64 3
		.amdhsa_dx10_clamp 1
		.amdhsa_ieee_mode 1
		.amdhsa_fp16_overflow 0
		.amdhsa_tg_split 0
		.amdhsa_exception_fp_ieee_invalid_op 0
		.amdhsa_exception_fp_denorm_src 0
		.amdhsa_exception_fp_ieee_div_zero 0
		.amdhsa_exception_fp_ieee_overflow 0
		.amdhsa_exception_fp_ieee_underflow 0
		.amdhsa_exception_fp_ieee_inexact 0
		.amdhsa_exception_int_div_zero 0
	.end_amdhsa_kernel
	.section	.text._ZN7rocprim17ROCPRIM_400000_NS6detail17trampoline_kernelINS0_14default_configENS1_20scan_config_selectorIxEEZZNS1_9scan_implILNS1_25lookback_scan_determinismE0ELb1ELb1ES3_N6thrust23THRUST_200600_302600_NS6detail15normal_iteratorINS9_10device_ptrIxEEEESE_xNS9_4plusIxEExEEDaPvRmT3_T4_T5_mT6_P12ihipStream_tbENKUlT_T0_E_clISt17integral_constantIbLb0EESU_EEDaSP_SQ_EUlSP_E_NS1_11comp_targetILNS1_3genE4ELNS1_11target_archE910ELNS1_3gpuE8ELNS1_3repE0EEENS1_30default_config_static_selectorELNS0_4arch9wavefront6targetE1EEEvT1_,"axG",@progbits,_ZN7rocprim17ROCPRIM_400000_NS6detail17trampoline_kernelINS0_14default_configENS1_20scan_config_selectorIxEEZZNS1_9scan_implILNS1_25lookback_scan_determinismE0ELb1ELb1ES3_N6thrust23THRUST_200600_302600_NS6detail15normal_iteratorINS9_10device_ptrIxEEEESE_xNS9_4plusIxEExEEDaPvRmT3_T4_T5_mT6_P12ihipStream_tbENKUlT_T0_E_clISt17integral_constantIbLb0EESU_EEDaSP_SQ_EUlSP_E_NS1_11comp_targetILNS1_3genE4ELNS1_11target_archE910ELNS1_3gpuE8ELNS1_3repE0EEENS1_30default_config_static_selectorELNS0_4arch9wavefront6targetE1EEEvT1_,comdat
.Lfunc_end344:
	.size	_ZN7rocprim17ROCPRIM_400000_NS6detail17trampoline_kernelINS0_14default_configENS1_20scan_config_selectorIxEEZZNS1_9scan_implILNS1_25lookback_scan_determinismE0ELb1ELb1ES3_N6thrust23THRUST_200600_302600_NS6detail15normal_iteratorINS9_10device_ptrIxEEEESE_xNS9_4plusIxEExEEDaPvRmT3_T4_T5_mT6_P12ihipStream_tbENKUlT_T0_E_clISt17integral_constantIbLb0EESU_EEDaSP_SQ_EUlSP_E_NS1_11comp_targetILNS1_3genE4ELNS1_11target_archE910ELNS1_3gpuE8ELNS1_3repE0EEENS1_30default_config_static_selectorELNS0_4arch9wavefront6targetE1EEEvT1_, .Lfunc_end344-_ZN7rocprim17ROCPRIM_400000_NS6detail17trampoline_kernelINS0_14default_configENS1_20scan_config_selectorIxEEZZNS1_9scan_implILNS1_25lookback_scan_determinismE0ELb1ELb1ES3_N6thrust23THRUST_200600_302600_NS6detail15normal_iteratorINS9_10device_ptrIxEEEESE_xNS9_4plusIxEExEEDaPvRmT3_T4_T5_mT6_P12ihipStream_tbENKUlT_T0_E_clISt17integral_constantIbLb0EESU_EEDaSP_SQ_EUlSP_E_NS1_11comp_targetILNS1_3genE4ELNS1_11target_archE910ELNS1_3gpuE8ELNS1_3repE0EEENS1_30default_config_static_selectorELNS0_4arch9wavefront6targetE1EEEvT1_
                                        ; -- End function
	.section	.AMDGPU.csdata,"",@progbits
; Kernel info:
; codeLenInByte = 5660
; NumSgprs: 36
; NumVgprs: 51
; NumAgprs: 0
; TotalNumVgprs: 51
; ScratchSize: 0
; MemoryBound: 0
; FloatMode: 240
; IeeeMode: 1
; LDSByteSize: 7168 bytes/workgroup (compile time only)
; SGPRBlocks: 4
; VGPRBlocks: 6
; NumSGPRsForWavesPerEU: 36
; NumVGPRsForWavesPerEU: 51
; AccumOffset: 52
; Occupancy: 5
; WaveLimiterHint : 1
; COMPUTE_PGM_RSRC2:SCRATCH_EN: 0
; COMPUTE_PGM_RSRC2:USER_SGPR: 6
; COMPUTE_PGM_RSRC2:TRAP_HANDLER: 0
; COMPUTE_PGM_RSRC2:TGID_X_EN: 1
; COMPUTE_PGM_RSRC2:TGID_Y_EN: 0
; COMPUTE_PGM_RSRC2:TGID_Z_EN: 0
; COMPUTE_PGM_RSRC2:TIDIG_COMP_CNT: 0
; COMPUTE_PGM_RSRC3_GFX90A:ACCUM_OFFSET: 12
; COMPUTE_PGM_RSRC3_GFX90A:TG_SPLIT: 0
	.section	.text._ZN7rocprim17ROCPRIM_400000_NS6detail17trampoline_kernelINS0_14default_configENS1_20scan_config_selectorIxEEZZNS1_9scan_implILNS1_25lookback_scan_determinismE0ELb1ELb1ES3_N6thrust23THRUST_200600_302600_NS6detail15normal_iteratorINS9_10device_ptrIxEEEESE_xNS9_4plusIxEExEEDaPvRmT3_T4_T5_mT6_P12ihipStream_tbENKUlT_T0_E_clISt17integral_constantIbLb0EESU_EEDaSP_SQ_EUlSP_E_NS1_11comp_targetILNS1_3genE3ELNS1_11target_archE908ELNS1_3gpuE7ELNS1_3repE0EEENS1_30default_config_static_selectorELNS0_4arch9wavefront6targetE1EEEvT1_,"axG",@progbits,_ZN7rocprim17ROCPRIM_400000_NS6detail17trampoline_kernelINS0_14default_configENS1_20scan_config_selectorIxEEZZNS1_9scan_implILNS1_25lookback_scan_determinismE0ELb1ELb1ES3_N6thrust23THRUST_200600_302600_NS6detail15normal_iteratorINS9_10device_ptrIxEEEESE_xNS9_4plusIxEExEEDaPvRmT3_T4_T5_mT6_P12ihipStream_tbENKUlT_T0_E_clISt17integral_constantIbLb0EESU_EEDaSP_SQ_EUlSP_E_NS1_11comp_targetILNS1_3genE3ELNS1_11target_archE908ELNS1_3gpuE7ELNS1_3repE0EEENS1_30default_config_static_selectorELNS0_4arch9wavefront6targetE1EEEvT1_,comdat
	.protected	_ZN7rocprim17ROCPRIM_400000_NS6detail17trampoline_kernelINS0_14default_configENS1_20scan_config_selectorIxEEZZNS1_9scan_implILNS1_25lookback_scan_determinismE0ELb1ELb1ES3_N6thrust23THRUST_200600_302600_NS6detail15normal_iteratorINS9_10device_ptrIxEEEESE_xNS9_4plusIxEExEEDaPvRmT3_T4_T5_mT6_P12ihipStream_tbENKUlT_T0_E_clISt17integral_constantIbLb0EESU_EEDaSP_SQ_EUlSP_E_NS1_11comp_targetILNS1_3genE3ELNS1_11target_archE908ELNS1_3gpuE7ELNS1_3repE0EEENS1_30default_config_static_selectorELNS0_4arch9wavefront6targetE1EEEvT1_ ; -- Begin function _ZN7rocprim17ROCPRIM_400000_NS6detail17trampoline_kernelINS0_14default_configENS1_20scan_config_selectorIxEEZZNS1_9scan_implILNS1_25lookback_scan_determinismE0ELb1ELb1ES3_N6thrust23THRUST_200600_302600_NS6detail15normal_iteratorINS9_10device_ptrIxEEEESE_xNS9_4plusIxEExEEDaPvRmT3_T4_T5_mT6_P12ihipStream_tbENKUlT_T0_E_clISt17integral_constantIbLb0EESU_EEDaSP_SQ_EUlSP_E_NS1_11comp_targetILNS1_3genE3ELNS1_11target_archE908ELNS1_3gpuE7ELNS1_3repE0EEENS1_30default_config_static_selectorELNS0_4arch9wavefront6targetE1EEEvT1_
	.globl	_ZN7rocprim17ROCPRIM_400000_NS6detail17trampoline_kernelINS0_14default_configENS1_20scan_config_selectorIxEEZZNS1_9scan_implILNS1_25lookback_scan_determinismE0ELb1ELb1ES3_N6thrust23THRUST_200600_302600_NS6detail15normal_iteratorINS9_10device_ptrIxEEEESE_xNS9_4plusIxEExEEDaPvRmT3_T4_T5_mT6_P12ihipStream_tbENKUlT_T0_E_clISt17integral_constantIbLb0EESU_EEDaSP_SQ_EUlSP_E_NS1_11comp_targetILNS1_3genE3ELNS1_11target_archE908ELNS1_3gpuE7ELNS1_3repE0EEENS1_30default_config_static_selectorELNS0_4arch9wavefront6targetE1EEEvT1_
	.p2align	8
	.type	_ZN7rocprim17ROCPRIM_400000_NS6detail17trampoline_kernelINS0_14default_configENS1_20scan_config_selectorIxEEZZNS1_9scan_implILNS1_25lookback_scan_determinismE0ELb1ELb1ES3_N6thrust23THRUST_200600_302600_NS6detail15normal_iteratorINS9_10device_ptrIxEEEESE_xNS9_4plusIxEExEEDaPvRmT3_T4_T5_mT6_P12ihipStream_tbENKUlT_T0_E_clISt17integral_constantIbLb0EESU_EEDaSP_SQ_EUlSP_E_NS1_11comp_targetILNS1_3genE3ELNS1_11target_archE908ELNS1_3gpuE7ELNS1_3repE0EEENS1_30default_config_static_selectorELNS0_4arch9wavefront6targetE1EEEvT1_,@function
_ZN7rocprim17ROCPRIM_400000_NS6detail17trampoline_kernelINS0_14default_configENS1_20scan_config_selectorIxEEZZNS1_9scan_implILNS1_25lookback_scan_determinismE0ELb1ELb1ES3_N6thrust23THRUST_200600_302600_NS6detail15normal_iteratorINS9_10device_ptrIxEEEESE_xNS9_4plusIxEExEEDaPvRmT3_T4_T5_mT6_P12ihipStream_tbENKUlT_T0_E_clISt17integral_constantIbLb0EESU_EEDaSP_SQ_EUlSP_E_NS1_11comp_targetILNS1_3genE3ELNS1_11target_archE908ELNS1_3gpuE7ELNS1_3repE0EEENS1_30default_config_static_selectorELNS0_4arch9wavefront6targetE1EEEvT1_: ; @_ZN7rocprim17ROCPRIM_400000_NS6detail17trampoline_kernelINS0_14default_configENS1_20scan_config_selectorIxEEZZNS1_9scan_implILNS1_25lookback_scan_determinismE0ELb1ELb1ES3_N6thrust23THRUST_200600_302600_NS6detail15normal_iteratorINS9_10device_ptrIxEEEESE_xNS9_4plusIxEExEEDaPvRmT3_T4_T5_mT6_P12ihipStream_tbENKUlT_T0_E_clISt17integral_constantIbLb0EESU_EEDaSP_SQ_EUlSP_E_NS1_11comp_targetILNS1_3genE3ELNS1_11target_archE908ELNS1_3gpuE7ELNS1_3repE0EEENS1_30default_config_static_selectorELNS0_4arch9wavefront6targetE1EEEvT1_
; %bb.0:
	.section	.rodata,"a",@progbits
	.p2align	6, 0x0
	.amdhsa_kernel _ZN7rocprim17ROCPRIM_400000_NS6detail17trampoline_kernelINS0_14default_configENS1_20scan_config_selectorIxEEZZNS1_9scan_implILNS1_25lookback_scan_determinismE0ELb1ELb1ES3_N6thrust23THRUST_200600_302600_NS6detail15normal_iteratorINS9_10device_ptrIxEEEESE_xNS9_4plusIxEExEEDaPvRmT3_T4_T5_mT6_P12ihipStream_tbENKUlT_T0_E_clISt17integral_constantIbLb0EESU_EEDaSP_SQ_EUlSP_E_NS1_11comp_targetILNS1_3genE3ELNS1_11target_archE908ELNS1_3gpuE7ELNS1_3repE0EEENS1_30default_config_static_selectorELNS0_4arch9wavefront6targetE1EEEvT1_
		.amdhsa_group_segment_fixed_size 0
		.amdhsa_private_segment_fixed_size 0
		.amdhsa_kernarg_size 104
		.amdhsa_user_sgpr_count 6
		.amdhsa_user_sgpr_private_segment_buffer 1
		.amdhsa_user_sgpr_dispatch_ptr 0
		.amdhsa_user_sgpr_queue_ptr 0
		.amdhsa_user_sgpr_kernarg_segment_ptr 1
		.amdhsa_user_sgpr_dispatch_id 0
		.amdhsa_user_sgpr_flat_scratch_init 0
		.amdhsa_user_sgpr_kernarg_preload_length 0
		.amdhsa_user_sgpr_kernarg_preload_offset 0
		.amdhsa_user_sgpr_private_segment_size 0
		.amdhsa_uses_dynamic_stack 0
		.amdhsa_system_sgpr_private_segment_wavefront_offset 0
		.amdhsa_system_sgpr_workgroup_id_x 1
		.amdhsa_system_sgpr_workgroup_id_y 0
		.amdhsa_system_sgpr_workgroup_id_z 0
		.amdhsa_system_sgpr_workgroup_info 0
		.amdhsa_system_vgpr_workitem_id 0
		.amdhsa_next_free_vgpr 1
		.amdhsa_next_free_sgpr 0
		.amdhsa_accum_offset 4
		.amdhsa_reserve_vcc 0
		.amdhsa_reserve_flat_scratch 0
		.amdhsa_float_round_mode_32 0
		.amdhsa_float_round_mode_16_64 0
		.amdhsa_float_denorm_mode_32 3
		.amdhsa_float_denorm_mode_16_64 3
		.amdhsa_dx10_clamp 1
		.amdhsa_ieee_mode 1
		.amdhsa_fp16_overflow 0
		.amdhsa_tg_split 0
		.amdhsa_exception_fp_ieee_invalid_op 0
		.amdhsa_exception_fp_denorm_src 0
		.amdhsa_exception_fp_ieee_div_zero 0
		.amdhsa_exception_fp_ieee_overflow 0
		.amdhsa_exception_fp_ieee_underflow 0
		.amdhsa_exception_fp_ieee_inexact 0
		.amdhsa_exception_int_div_zero 0
	.end_amdhsa_kernel
	.section	.text._ZN7rocprim17ROCPRIM_400000_NS6detail17trampoline_kernelINS0_14default_configENS1_20scan_config_selectorIxEEZZNS1_9scan_implILNS1_25lookback_scan_determinismE0ELb1ELb1ES3_N6thrust23THRUST_200600_302600_NS6detail15normal_iteratorINS9_10device_ptrIxEEEESE_xNS9_4plusIxEExEEDaPvRmT3_T4_T5_mT6_P12ihipStream_tbENKUlT_T0_E_clISt17integral_constantIbLb0EESU_EEDaSP_SQ_EUlSP_E_NS1_11comp_targetILNS1_3genE3ELNS1_11target_archE908ELNS1_3gpuE7ELNS1_3repE0EEENS1_30default_config_static_selectorELNS0_4arch9wavefront6targetE1EEEvT1_,"axG",@progbits,_ZN7rocprim17ROCPRIM_400000_NS6detail17trampoline_kernelINS0_14default_configENS1_20scan_config_selectorIxEEZZNS1_9scan_implILNS1_25lookback_scan_determinismE0ELb1ELb1ES3_N6thrust23THRUST_200600_302600_NS6detail15normal_iteratorINS9_10device_ptrIxEEEESE_xNS9_4plusIxEExEEDaPvRmT3_T4_T5_mT6_P12ihipStream_tbENKUlT_T0_E_clISt17integral_constantIbLb0EESU_EEDaSP_SQ_EUlSP_E_NS1_11comp_targetILNS1_3genE3ELNS1_11target_archE908ELNS1_3gpuE7ELNS1_3repE0EEENS1_30default_config_static_selectorELNS0_4arch9wavefront6targetE1EEEvT1_,comdat
.Lfunc_end345:
	.size	_ZN7rocprim17ROCPRIM_400000_NS6detail17trampoline_kernelINS0_14default_configENS1_20scan_config_selectorIxEEZZNS1_9scan_implILNS1_25lookback_scan_determinismE0ELb1ELb1ES3_N6thrust23THRUST_200600_302600_NS6detail15normal_iteratorINS9_10device_ptrIxEEEESE_xNS9_4plusIxEExEEDaPvRmT3_T4_T5_mT6_P12ihipStream_tbENKUlT_T0_E_clISt17integral_constantIbLb0EESU_EEDaSP_SQ_EUlSP_E_NS1_11comp_targetILNS1_3genE3ELNS1_11target_archE908ELNS1_3gpuE7ELNS1_3repE0EEENS1_30default_config_static_selectorELNS0_4arch9wavefront6targetE1EEEvT1_, .Lfunc_end345-_ZN7rocprim17ROCPRIM_400000_NS6detail17trampoline_kernelINS0_14default_configENS1_20scan_config_selectorIxEEZZNS1_9scan_implILNS1_25lookback_scan_determinismE0ELb1ELb1ES3_N6thrust23THRUST_200600_302600_NS6detail15normal_iteratorINS9_10device_ptrIxEEEESE_xNS9_4plusIxEExEEDaPvRmT3_T4_T5_mT6_P12ihipStream_tbENKUlT_T0_E_clISt17integral_constantIbLb0EESU_EEDaSP_SQ_EUlSP_E_NS1_11comp_targetILNS1_3genE3ELNS1_11target_archE908ELNS1_3gpuE7ELNS1_3repE0EEENS1_30default_config_static_selectorELNS0_4arch9wavefront6targetE1EEEvT1_
                                        ; -- End function
	.section	.AMDGPU.csdata,"",@progbits
; Kernel info:
; codeLenInByte = 0
; NumSgprs: 4
; NumVgprs: 0
; NumAgprs: 0
; TotalNumVgprs: 0
; ScratchSize: 0
; MemoryBound: 0
; FloatMode: 240
; IeeeMode: 1
; LDSByteSize: 0 bytes/workgroup (compile time only)
; SGPRBlocks: 0
; VGPRBlocks: 0
; NumSGPRsForWavesPerEU: 4
; NumVGPRsForWavesPerEU: 1
; AccumOffset: 4
; Occupancy: 8
; WaveLimiterHint : 0
; COMPUTE_PGM_RSRC2:SCRATCH_EN: 0
; COMPUTE_PGM_RSRC2:USER_SGPR: 6
; COMPUTE_PGM_RSRC2:TRAP_HANDLER: 0
; COMPUTE_PGM_RSRC2:TGID_X_EN: 1
; COMPUTE_PGM_RSRC2:TGID_Y_EN: 0
; COMPUTE_PGM_RSRC2:TGID_Z_EN: 0
; COMPUTE_PGM_RSRC2:TIDIG_COMP_CNT: 0
; COMPUTE_PGM_RSRC3_GFX90A:ACCUM_OFFSET: 0
; COMPUTE_PGM_RSRC3_GFX90A:TG_SPLIT: 0
	.section	.text._ZN7rocprim17ROCPRIM_400000_NS6detail17trampoline_kernelINS0_14default_configENS1_20scan_config_selectorIxEEZZNS1_9scan_implILNS1_25lookback_scan_determinismE0ELb1ELb1ES3_N6thrust23THRUST_200600_302600_NS6detail15normal_iteratorINS9_10device_ptrIxEEEESE_xNS9_4plusIxEExEEDaPvRmT3_T4_T5_mT6_P12ihipStream_tbENKUlT_T0_E_clISt17integral_constantIbLb0EESU_EEDaSP_SQ_EUlSP_E_NS1_11comp_targetILNS1_3genE2ELNS1_11target_archE906ELNS1_3gpuE6ELNS1_3repE0EEENS1_30default_config_static_selectorELNS0_4arch9wavefront6targetE1EEEvT1_,"axG",@progbits,_ZN7rocprim17ROCPRIM_400000_NS6detail17trampoline_kernelINS0_14default_configENS1_20scan_config_selectorIxEEZZNS1_9scan_implILNS1_25lookback_scan_determinismE0ELb1ELb1ES3_N6thrust23THRUST_200600_302600_NS6detail15normal_iteratorINS9_10device_ptrIxEEEESE_xNS9_4plusIxEExEEDaPvRmT3_T4_T5_mT6_P12ihipStream_tbENKUlT_T0_E_clISt17integral_constantIbLb0EESU_EEDaSP_SQ_EUlSP_E_NS1_11comp_targetILNS1_3genE2ELNS1_11target_archE906ELNS1_3gpuE6ELNS1_3repE0EEENS1_30default_config_static_selectorELNS0_4arch9wavefront6targetE1EEEvT1_,comdat
	.protected	_ZN7rocprim17ROCPRIM_400000_NS6detail17trampoline_kernelINS0_14default_configENS1_20scan_config_selectorIxEEZZNS1_9scan_implILNS1_25lookback_scan_determinismE0ELb1ELb1ES3_N6thrust23THRUST_200600_302600_NS6detail15normal_iteratorINS9_10device_ptrIxEEEESE_xNS9_4plusIxEExEEDaPvRmT3_T4_T5_mT6_P12ihipStream_tbENKUlT_T0_E_clISt17integral_constantIbLb0EESU_EEDaSP_SQ_EUlSP_E_NS1_11comp_targetILNS1_3genE2ELNS1_11target_archE906ELNS1_3gpuE6ELNS1_3repE0EEENS1_30default_config_static_selectorELNS0_4arch9wavefront6targetE1EEEvT1_ ; -- Begin function _ZN7rocprim17ROCPRIM_400000_NS6detail17trampoline_kernelINS0_14default_configENS1_20scan_config_selectorIxEEZZNS1_9scan_implILNS1_25lookback_scan_determinismE0ELb1ELb1ES3_N6thrust23THRUST_200600_302600_NS6detail15normal_iteratorINS9_10device_ptrIxEEEESE_xNS9_4plusIxEExEEDaPvRmT3_T4_T5_mT6_P12ihipStream_tbENKUlT_T0_E_clISt17integral_constantIbLb0EESU_EEDaSP_SQ_EUlSP_E_NS1_11comp_targetILNS1_3genE2ELNS1_11target_archE906ELNS1_3gpuE6ELNS1_3repE0EEENS1_30default_config_static_selectorELNS0_4arch9wavefront6targetE1EEEvT1_
	.globl	_ZN7rocprim17ROCPRIM_400000_NS6detail17trampoline_kernelINS0_14default_configENS1_20scan_config_selectorIxEEZZNS1_9scan_implILNS1_25lookback_scan_determinismE0ELb1ELb1ES3_N6thrust23THRUST_200600_302600_NS6detail15normal_iteratorINS9_10device_ptrIxEEEESE_xNS9_4plusIxEExEEDaPvRmT3_T4_T5_mT6_P12ihipStream_tbENKUlT_T0_E_clISt17integral_constantIbLb0EESU_EEDaSP_SQ_EUlSP_E_NS1_11comp_targetILNS1_3genE2ELNS1_11target_archE906ELNS1_3gpuE6ELNS1_3repE0EEENS1_30default_config_static_selectorELNS0_4arch9wavefront6targetE1EEEvT1_
	.p2align	8
	.type	_ZN7rocprim17ROCPRIM_400000_NS6detail17trampoline_kernelINS0_14default_configENS1_20scan_config_selectorIxEEZZNS1_9scan_implILNS1_25lookback_scan_determinismE0ELb1ELb1ES3_N6thrust23THRUST_200600_302600_NS6detail15normal_iteratorINS9_10device_ptrIxEEEESE_xNS9_4plusIxEExEEDaPvRmT3_T4_T5_mT6_P12ihipStream_tbENKUlT_T0_E_clISt17integral_constantIbLb0EESU_EEDaSP_SQ_EUlSP_E_NS1_11comp_targetILNS1_3genE2ELNS1_11target_archE906ELNS1_3gpuE6ELNS1_3repE0EEENS1_30default_config_static_selectorELNS0_4arch9wavefront6targetE1EEEvT1_,@function
_ZN7rocprim17ROCPRIM_400000_NS6detail17trampoline_kernelINS0_14default_configENS1_20scan_config_selectorIxEEZZNS1_9scan_implILNS1_25lookback_scan_determinismE0ELb1ELb1ES3_N6thrust23THRUST_200600_302600_NS6detail15normal_iteratorINS9_10device_ptrIxEEEESE_xNS9_4plusIxEExEEDaPvRmT3_T4_T5_mT6_P12ihipStream_tbENKUlT_T0_E_clISt17integral_constantIbLb0EESU_EEDaSP_SQ_EUlSP_E_NS1_11comp_targetILNS1_3genE2ELNS1_11target_archE906ELNS1_3gpuE6ELNS1_3repE0EEENS1_30default_config_static_selectorELNS0_4arch9wavefront6targetE1EEEvT1_: ; @_ZN7rocprim17ROCPRIM_400000_NS6detail17trampoline_kernelINS0_14default_configENS1_20scan_config_selectorIxEEZZNS1_9scan_implILNS1_25lookback_scan_determinismE0ELb1ELb1ES3_N6thrust23THRUST_200600_302600_NS6detail15normal_iteratorINS9_10device_ptrIxEEEESE_xNS9_4plusIxEExEEDaPvRmT3_T4_T5_mT6_P12ihipStream_tbENKUlT_T0_E_clISt17integral_constantIbLb0EESU_EEDaSP_SQ_EUlSP_E_NS1_11comp_targetILNS1_3genE2ELNS1_11target_archE906ELNS1_3gpuE6ELNS1_3repE0EEENS1_30default_config_static_selectorELNS0_4arch9wavefront6targetE1EEEvT1_
; %bb.0:
	.section	.rodata,"a",@progbits
	.p2align	6, 0x0
	.amdhsa_kernel _ZN7rocprim17ROCPRIM_400000_NS6detail17trampoline_kernelINS0_14default_configENS1_20scan_config_selectorIxEEZZNS1_9scan_implILNS1_25lookback_scan_determinismE0ELb1ELb1ES3_N6thrust23THRUST_200600_302600_NS6detail15normal_iteratorINS9_10device_ptrIxEEEESE_xNS9_4plusIxEExEEDaPvRmT3_T4_T5_mT6_P12ihipStream_tbENKUlT_T0_E_clISt17integral_constantIbLb0EESU_EEDaSP_SQ_EUlSP_E_NS1_11comp_targetILNS1_3genE2ELNS1_11target_archE906ELNS1_3gpuE6ELNS1_3repE0EEENS1_30default_config_static_selectorELNS0_4arch9wavefront6targetE1EEEvT1_
		.amdhsa_group_segment_fixed_size 0
		.amdhsa_private_segment_fixed_size 0
		.amdhsa_kernarg_size 104
		.amdhsa_user_sgpr_count 6
		.amdhsa_user_sgpr_private_segment_buffer 1
		.amdhsa_user_sgpr_dispatch_ptr 0
		.amdhsa_user_sgpr_queue_ptr 0
		.amdhsa_user_sgpr_kernarg_segment_ptr 1
		.amdhsa_user_sgpr_dispatch_id 0
		.amdhsa_user_sgpr_flat_scratch_init 0
		.amdhsa_user_sgpr_kernarg_preload_length 0
		.amdhsa_user_sgpr_kernarg_preload_offset 0
		.amdhsa_user_sgpr_private_segment_size 0
		.amdhsa_uses_dynamic_stack 0
		.amdhsa_system_sgpr_private_segment_wavefront_offset 0
		.amdhsa_system_sgpr_workgroup_id_x 1
		.amdhsa_system_sgpr_workgroup_id_y 0
		.amdhsa_system_sgpr_workgroup_id_z 0
		.amdhsa_system_sgpr_workgroup_info 0
		.amdhsa_system_vgpr_workitem_id 0
		.amdhsa_next_free_vgpr 1
		.amdhsa_next_free_sgpr 0
		.amdhsa_accum_offset 4
		.amdhsa_reserve_vcc 0
		.amdhsa_reserve_flat_scratch 0
		.amdhsa_float_round_mode_32 0
		.amdhsa_float_round_mode_16_64 0
		.amdhsa_float_denorm_mode_32 3
		.amdhsa_float_denorm_mode_16_64 3
		.amdhsa_dx10_clamp 1
		.amdhsa_ieee_mode 1
		.amdhsa_fp16_overflow 0
		.amdhsa_tg_split 0
		.amdhsa_exception_fp_ieee_invalid_op 0
		.amdhsa_exception_fp_denorm_src 0
		.amdhsa_exception_fp_ieee_div_zero 0
		.amdhsa_exception_fp_ieee_overflow 0
		.amdhsa_exception_fp_ieee_underflow 0
		.amdhsa_exception_fp_ieee_inexact 0
		.amdhsa_exception_int_div_zero 0
	.end_amdhsa_kernel
	.section	.text._ZN7rocprim17ROCPRIM_400000_NS6detail17trampoline_kernelINS0_14default_configENS1_20scan_config_selectorIxEEZZNS1_9scan_implILNS1_25lookback_scan_determinismE0ELb1ELb1ES3_N6thrust23THRUST_200600_302600_NS6detail15normal_iteratorINS9_10device_ptrIxEEEESE_xNS9_4plusIxEExEEDaPvRmT3_T4_T5_mT6_P12ihipStream_tbENKUlT_T0_E_clISt17integral_constantIbLb0EESU_EEDaSP_SQ_EUlSP_E_NS1_11comp_targetILNS1_3genE2ELNS1_11target_archE906ELNS1_3gpuE6ELNS1_3repE0EEENS1_30default_config_static_selectorELNS0_4arch9wavefront6targetE1EEEvT1_,"axG",@progbits,_ZN7rocprim17ROCPRIM_400000_NS6detail17trampoline_kernelINS0_14default_configENS1_20scan_config_selectorIxEEZZNS1_9scan_implILNS1_25lookback_scan_determinismE0ELb1ELb1ES3_N6thrust23THRUST_200600_302600_NS6detail15normal_iteratorINS9_10device_ptrIxEEEESE_xNS9_4plusIxEExEEDaPvRmT3_T4_T5_mT6_P12ihipStream_tbENKUlT_T0_E_clISt17integral_constantIbLb0EESU_EEDaSP_SQ_EUlSP_E_NS1_11comp_targetILNS1_3genE2ELNS1_11target_archE906ELNS1_3gpuE6ELNS1_3repE0EEENS1_30default_config_static_selectorELNS0_4arch9wavefront6targetE1EEEvT1_,comdat
.Lfunc_end346:
	.size	_ZN7rocprim17ROCPRIM_400000_NS6detail17trampoline_kernelINS0_14default_configENS1_20scan_config_selectorIxEEZZNS1_9scan_implILNS1_25lookback_scan_determinismE0ELb1ELb1ES3_N6thrust23THRUST_200600_302600_NS6detail15normal_iteratorINS9_10device_ptrIxEEEESE_xNS9_4plusIxEExEEDaPvRmT3_T4_T5_mT6_P12ihipStream_tbENKUlT_T0_E_clISt17integral_constantIbLb0EESU_EEDaSP_SQ_EUlSP_E_NS1_11comp_targetILNS1_3genE2ELNS1_11target_archE906ELNS1_3gpuE6ELNS1_3repE0EEENS1_30default_config_static_selectorELNS0_4arch9wavefront6targetE1EEEvT1_, .Lfunc_end346-_ZN7rocprim17ROCPRIM_400000_NS6detail17trampoline_kernelINS0_14default_configENS1_20scan_config_selectorIxEEZZNS1_9scan_implILNS1_25lookback_scan_determinismE0ELb1ELb1ES3_N6thrust23THRUST_200600_302600_NS6detail15normal_iteratorINS9_10device_ptrIxEEEESE_xNS9_4plusIxEExEEDaPvRmT3_T4_T5_mT6_P12ihipStream_tbENKUlT_T0_E_clISt17integral_constantIbLb0EESU_EEDaSP_SQ_EUlSP_E_NS1_11comp_targetILNS1_3genE2ELNS1_11target_archE906ELNS1_3gpuE6ELNS1_3repE0EEENS1_30default_config_static_selectorELNS0_4arch9wavefront6targetE1EEEvT1_
                                        ; -- End function
	.section	.AMDGPU.csdata,"",@progbits
; Kernel info:
; codeLenInByte = 0
; NumSgprs: 4
; NumVgprs: 0
; NumAgprs: 0
; TotalNumVgprs: 0
; ScratchSize: 0
; MemoryBound: 0
; FloatMode: 240
; IeeeMode: 1
; LDSByteSize: 0 bytes/workgroup (compile time only)
; SGPRBlocks: 0
; VGPRBlocks: 0
; NumSGPRsForWavesPerEU: 4
; NumVGPRsForWavesPerEU: 1
; AccumOffset: 4
; Occupancy: 8
; WaveLimiterHint : 0
; COMPUTE_PGM_RSRC2:SCRATCH_EN: 0
; COMPUTE_PGM_RSRC2:USER_SGPR: 6
; COMPUTE_PGM_RSRC2:TRAP_HANDLER: 0
; COMPUTE_PGM_RSRC2:TGID_X_EN: 1
; COMPUTE_PGM_RSRC2:TGID_Y_EN: 0
; COMPUTE_PGM_RSRC2:TGID_Z_EN: 0
; COMPUTE_PGM_RSRC2:TIDIG_COMP_CNT: 0
; COMPUTE_PGM_RSRC3_GFX90A:ACCUM_OFFSET: 0
; COMPUTE_PGM_RSRC3_GFX90A:TG_SPLIT: 0
	.section	.text._ZN7rocprim17ROCPRIM_400000_NS6detail17trampoline_kernelINS0_14default_configENS1_20scan_config_selectorIxEEZZNS1_9scan_implILNS1_25lookback_scan_determinismE0ELb1ELb1ES3_N6thrust23THRUST_200600_302600_NS6detail15normal_iteratorINS9_10device_ptrIxEEEESE_xNS9_4plusIxEExEEDaPvRmT3_T4_T5_mT6_P12ihipStream_tbENKUlT_T0_E_clISt17integral_constantIbLb0EESU_EEDaSP_SQ_EUlSP_E_NS1_11comp_targetILNS1_3genE10ELNS1_11target_archE1201ELNS1_3gpuE5ELNS1_3repE0EEENS1_30default_config_static_selectorELNS0_4arch9wavefront6targetE1EEEvT1_,"axG",@progbits,_ZN7rocprim17ROCPRIM_400000_NS6detail17trampoline_kernelINS0_14default_configENS1_20scan_config_selectorIxEEZZNS1_9scan_implILNS1_25lookback_scan_determinismE0ELb1ELb1ES3_N6thrust23THRUST_200600_302600_NS6detail15normal_iteratorINS9_10device_ptrIxEEEESE_xNS9_4plusIxEExEEDaPvRmT3_T4_T5_mT6_P12ihipStream_tbENKUlT_T0_E_clISt17integral_constantIbLb0EESU_EEDaSP_SQ_EUlSP_E_NS1_11comp_targetILNS1_3genE10ELNS1_11target_archE1201ELNS1_3gpuE5ELNS1_3repE0EEENS1_30default_config_static_selectorELNS0_4arch9wavefront6targetE1EEEvT1_,comdat
	.protected	_ZN7rocprim17ROCPRIM_400000_NS6detail17trampoline_kernelINS0_14default_configENS1_20scan_config_selectorIxEEZZNS1_9scan_implILNS1_25lookback_scan_determinismE0ELb1ELb1ES3_N6thrust23THRUST_200600_302600_NS6detail15normal_iteratorINS9_10device_ptrIxEEEESE_xNS9_4plusIxEExEEDaPvRmT3_T4_T5_mT6_P12ihipStream_tbENKUlT_T0_E_clISt17integral_constantIbLb0EESU_EEDaSP_SQ_EUlSP_E_NS1_11comp_targetILNS1_3genE10ELNS1_11target_archE1201ELNS1_3gpuE5ELNS1_3repE0EEENS1_30default_config_static_selectorELNS0_4arch9wavefront6targetE1EEEvT1_ ; -- Begin function _ZN7rocprim17ROCPRIM_400000_NS6detail17trampoline_kernelINS0_14default_configENS1_20scan_config_selectorIxEEZZNS1_9scan_implILNS1_25lookback_scan_determinismE0ELb1ELb1ES3_N6thrust23THRUST_200600_302600_NS6detail15normal_iteratorINS9_10device_ptrIxEEEESE_xNS9_4plusIxEExEEDaPvRmT3_T4_T5_mT6_P12ihipStream_tbENKUlT_T0_E_clISt17integral_constantIbLb0EESU_EEDaSP_SQ_EUlSP_E_NS1_11comp_targetILNS1_3genE10ELNS1_11target_archE1201ELNS1_3gpuE5ELNS1_3repE0EEENS1_30default_config_static_selectorELNS0_4arch9wavefront6targetE1EEEvT1_
	.globl	_ZN7rocprim17ROCPRIM_400000_NS6detail17trampoline_kernelINS0_14default_configENS1_20scan_config_selectorIxEEZZNS1_9scan_implILNS1_25lookback_scan_determinismE0ELb1ELb1ES3_N6thrust23THRUST_200600_302600_NS6detail15normal_iteratorINS9_10device_ptrIxEEEESE_xNS9_4plusIxEExEEDaPvRmT3_T4_T5_mT6_P12ihipStream_tbENKUlT_T0_E_clISt17integral_constantIbLb0EESU_EEDaSP_SQ_EUlSP_E_NS1_11comp_targetILNS1_3genE10ELNS1_11target_archE1201ELNS1_3gpuE5ELNS1_3repE0EEENS1_30default_config_static_selectorELNS0_4arch9wavefront6targetE1EEEvT1_
	.p2align	8
	.type	_ZN7rocprim17ROCPRIM_400000_NS6detail17trampoline_kernelINS0_14default_configENS1_20scan_config_selectorIxEEZZNS1_9scan_implILNS1_25lookback_scan_determinismE0ELb1ELb1ES3_N6thrust23THRUST_200600_302600_NS6detail15normal_iteratorINS9_10device_ptrIxEEEESE_xNS9_4plusIxEExEEDaPvRmT3_T4_T5_mT6_P12ihipStream_tbENKUlT_T0_E_clISt17integral_constantIbLb0EESU_EEDaSP_SQ_EUlSP_E_NS1_11comp_targetILNS1_3genE10ELNS1_11target_archE1201ELNS1_3gpuE5ELNS1_3repE0EEENS1_30default_config_static_selectorELNS0_4arch9wavefront6targetE1EEEvT1_,@function
_ZN7rocprim17ROCPRIM_400000_NS6detail17trampoline_kernelINS0_14default_configENS1_20scan_config_selectorIxEEZZNS1_9scan_implILNS1_25lookback_scan_determinismE0ELb1ELb1ES3_N6thrust23THRUST_200600_302600_NS6detail15normal_iteratorINS9_10device_ptrIxEEEESE_xNS9_4plusIxEExEEDaPvRmT3_T4_T5_mT6_P12ihipStream_tbENKUlT_T0_E_clISt17integral_constantIbLb0EESU_EEDaSP_SQ_EUlSP_E_NS1_11comp_targetILNS1_3genE10ELNS1_11target_archE1201ELNS1_3gpuE5ELNS1_3repE0EEENS1_30default_config_static_selectorELNS0_4arch9wavefront6targetE1EEEvT1_: ; @_ZN7rocprim17ROCPRIM_400000_NS6detail17trampoline_kernelINS0_14default_configENS1_20scan_config_selectorIxEEZZNS1_9scan_implILNS1_25lookback_scan_determinismE0ELb1ELb1ES3_N6thrust23THRUST_200600_302600_NS6detail15normal_iteratorINS9_10device_ptrIxEEEESE_xNS9_4plusIxEExEEDaPvRmT3_T4_T5_mT6_P12ihipStream_tbENKUlT_T0_E_clISt17integral_constantIbLb0EESU_EEDaSP_SQ_EUlSP_E_NS1_11comp_targetILNS1_3genE10ELNS1_11target_archE1201ELNS1_3gpuE5ELNS1_3repE0EEENS1_30default_config_static_selectorELNS0_4arch9wavefront6targetE1EEEvT1_
; %bb.0:
	.section	.rodata,"a",@progbits
	.p2align	6, 0x0
	.amdhsa_kernel _ZN7rocprim17ROCPRIM_400000_NS6detail17trampoline_kernelINS0_14default_configENS1_20scan_config_selectorIxEEZZNS1_9scan_implILNS1_25lookback_scan_determinismE0ELb1ELb1ES3_N6thrust23THRUST_200600_302600_NS6detail15normal_iteratorINS9_10device_ptrIxEEEESE_xNS9_4plusIxEExEEDaPvRmT3_T4_T5_mT6_P12ihipStream_tbENKUlT_T0_E_clISt17integral_constantIbLb0EESU_EEDaSP_SQ_EUlSP_E_NS1_11comp_targetILNS1_3genE10ELNS1_11target_archE1201ELNS1_3gpuE5ELNS1_3repE0EEENS1_30default_config_static_selectorELNS0_4arch9wavefront6targetE1EEEvT1_
		.amdhsa_group_segment_fixed_size 0
		.amdhsa_private_segment_fixed_size 0
		.amdhsa_kernarg_size 104
		.amdhsa_user_sgpr_count 6
		.amdhsa_user_sgpr_private_segment_buffer 1
		.amdhsa_user_sgpr_dispatch_ptr 0
		.amdhsa_user_sgpr_queue_ptr 0
		.amdhsa_user_sgpr_kernarg_segment_ptr 1
		.amdhsa_user_sgpr_dispatch_id 0
		.amdhsa_user_sgpr_flat_scratch_init 0
		.amdhsa_user_sgpr_kernarg_preload_length 0
		.amdhsa_user_sgpr_kernarg_preload_offset 0
		.amdhsa_user_sgpr_private_segment_size 0
		.amdhsa_uses_dynamic_stack 0
		.amdhsa_system_sgpr_private_segment_wavefront_offset 0
		.amdhsa_system_sgpr_workgroup_id_x 1
		.amdhsa_system_sgpr_workgroup_id_y 0
		.amdhsa_system_sgpr_workgroup_id_z 0
		.amdhsa_system_sgpr_workgroup_info 0
		.amdhsa_system_vgpr_workitem_id 0
		.amdhsa_next_free_vgpr 1
		.amdhsa_next_free_sgpr 0
		.amdhsa_accum_offset 4
		.amdhsa_reserve_vcc 0
		.amdhsa_reserve_flat_scratch 0
		.amdhsa_float_round_mode_32 0
		.amdhsa_float_round_mode_16_64 0
		.amdhsa_float_denorm_mode_32 3
		.amdhsa_float_denorm_mode_16_64 3
		.amdhsa_dx10_clamp 1
		.amdhsa_ieee_mode 1
		.amdhsa_fp16_overflow 0
		.amdhsa_tg_split 0
		.amdhsa_exception_fp_ieee_invalid_op 0
		.amdhsa_exception_fp_denorm_src 0
		.amdhsa_exception_fp_ieee_div_zero 0
		.amdhsa_exception_fp_ieee_overflow 0
		.amdhsa_exception_fp_ieee_underflow 0
		.amdhsa_exception_fp_ieee_inexact 0
		.amdhsa_exception_int_div_zero 0
	.end_amdhsa_kernel
	.section	.text._ZN7rocprim17ROCPRIM_400000_NS6detail17trampoline_kernelINS0_14default_configENS1_20scan_config_selectorIxEEZZNS1_9scan_implILNS1_25lookback_scan_determinismE0ELb1ELb1ES3_N6thrust23THRUST_200600_302600_NS6detail15normal_iteratorINS9_10device_ptrIxEEEESE_xNS9_4plusIxEExEEDaPvRmT3_T4_T5_mT6_P12ihipStream_tbENKUlT_T0_E_clISt17integral_constantIbLb0EESU_EEDaSP_SQ_EUlSP_E_NS1_11comp_targetILNS1_3genE10ELNS1_11target_archE1201ELNS1_3gpuE5ELNS1_3repE0EEENS1_30default_config_static_selectorELNS0_4arch9wavefront6targetE1EEEvT1_,"axG",@progbits,_ZN7rocprim17ROCPRIM_400000_NS6detail17trampoline_kernelINS0_14default_configENS1_20scan_config_selectorIxEEZZNS1_9scan_implILNS1_25lookback_scan_determinismE0ELb1ELb1ES3_N6thrust23THRUST_200600_302600_NS6detail15normal_iteratorINS9_10device_ptrIxEEEESE_xNS9_4plusIxEExEEDaPvRmT3_T4_T5_mT6_P12ihipStream_tbENKUlT_T0_E_clISt17integral_constantIbLb0EESU_EEDaSP_SQ_EUlSP_E_NS1_11comp_targetILNS1_3genE10ELNS1_11target_archE1201ELNS1_3gpuE5ELNS1_3repE0EEENS1_30default_config_static_selectorELNS0_4arch9wavefront6targetE1EEEvT1_,comdat
.Lfunc_end347:
	.size	_ZN7rocprim17ROCPRIM_400000_NS6detail17trampoline_kernelINS0_14default_configENS1_20scan_config_selectorIxEEZZNS1_9scan_implILNS1_25lookback_scan_determinismE0ELb1ELb1ES3_N6thrust23THRUST_200600_302600_NS6detail15normal_iteratorINS9_10device_ptrIxEEEESE_xNS9_4plusIxEExEEDaPvRmT3_T4_T5_mT6_P12ihipStream_tbENKUlT_T0_E_clISt17integral_constantIbLb0EESU_EEDaSP_SQ_EUlSP_E_NS1_11comp_targetILNS1_3genE10ELNS1_11target_archE1201ELNS1_3gpuE5ELNS1_3repE0EEENS1_30default_config_static_selectorELNS0_4arch9wavefront6targetE1EEEvT1_, .Lfunc_end347-_ZN7rocprim17ROCPRIM_400000_NS6detail17trampoline_kernelINS0_14default_configENS1_20scan_config_selectorIxEEZZNS1_9scan_implILNS1_25lookback_scan_determinismE0ELb1ELb1ES3_N6thrust23THRUST_200600_302600_NS6detail15normal_iteratorINS9_10device_ptrIxEEEESE_xNS9_4plusIxEExEEDaPvRmT3_T4_T5_mT6_P12ihipStream_tbENKUlT_T0_E_clISt17integral_constantIbLb0EESU_EEDaSP_SQ_EUlSP_E_NS1_11comp_targetILNS1_3genE10ELNS1_11target_archE1201ELNS1_3gpuE5ELNS1_3repE0EEENS1_30default_config_static_selectorELNS0_4arch9wavefront6targetE1EEEvT1_
                                        ; -- End function
	.section	.AMDGPU.csdata,"",@progbits
; Kernel info:
; codeLenInByte = 0
; NumSgprs: 4
; NumVgprs: 0
; NumAgprs: 0
; TotalNumVgprs: 0
; ScratchSize: 0
; MemoryBound: 0
; FloatMode: 240
; IeeeMode: 1
; LDSByteSize: 0 bytes/workgroup (compile time only)
; SGPRBlocks: 0
; VGPRBlocks: 0
; NumSGPRsForWavesPerEU: 4
; NumVGPRsForWavesPerEU: 1
; AccumOffset: 4
; Occupancy: 8
; WaveLimiterHint : 0
; COMPUTE_PGM_RSRC2:SCRATCH_EN: 0
; COMPUTE_PGM_RSRC2:USER_SGPR: 6
; COMPUTE_PGM_RSRC2:TRAP_HANDLER: 0
; COMPUTE_PGM_RSRC2:TGID_X_EN: 1
; COMPUTE_PGM_RSRC2:TGID_Y_EN: 0
; COMPUTE_PGM_RSRC2:TGID_Z_EN: 0
; COMPUTE_PGM_RSRC2:TIDIG_COMP_CNT: 0
; COMPUTE_PGM_RSRC3_GFX90A:ACCUM_OFFSET: 0
; COMPUTE_PGM_RSRC3_GFX90A:TG_SPLIT: 0
	.section	.text._ZN7rocprim17ROCPRIM_400000_NS6detail17trampoline_kernelINS0_14default_configENS1_20scan_config_selectorIxEEZZNS1_9scan_implILNS1_25lookback_scan_determinismE0ELb1ELb1ES3_N6thrust23THRUST_200600_302600_NS6detail15normal_iteratorINS9_10device_ptrIxEEEESE_xNS9_4plusIxEExEEDaPvRmT3_T4_T5_mT6_P12ihipStream_tbENKUlT_T0_E_clISt17integral_constantIbLb0EESU_EEDaSP_SQ_EUlSP_E_NS1_11comp_targetILNS1_3genE10ELNS1_11target_archE1200ELNS1_3gpuE4ELNS1_3repE0EEENS1_30default_config_static_selectorELNS0_4arch9wavefront6targetE1EEEvT1_,"axG",@progbits,_ZN7rocprim17ROCPRIM_400000_NS6detail17trampoline_kernelINS0_14default_configENS1_20scan_config_selectorIxEEZZNS1_9scan_implILNS1_25lookback_scan_determinismE0ELb1ELb1ES3_N6thrust23THRUST_200600_302600_NS6detail15normal_iteratorINS9_10device_ptrIxEEEESE_xNS9_4plusIxEExEEDaPvRmT3_T4_T5_mT6_P12ihipStream_tbENKUlT_T0_E_clISt17integral_constantIbLb0EESU_EEDaSP_SQ_EUlSP_E_NS1_11comp_targetILNS1_3genE10ELNS1_11target_archE1200ELNS1_3gpuE4ELNS1_3repE0EEENS1_30default_config_static_selectorELNS0_4arch9wavefront6targetE1EEEvT1_,comdat
	.protected	_ZN7rocprim17ROCPRIM_400000_NS6detail17trampoline_kernelINS0_14default_configENS1_20scan_config_selectorIxEEZZNS1_9scan_implILNS1_25lookback_scan_determinismE0ELb1ELb1ES3_N6thrust23THRUST_200600_302600_NS6detail15normal_iteratorINS9_10device_ptrIxEEEESE_xNS9_4plusIxEExEEDaPvRmT3_T4_T5_mT6_P12ihipStream_tbENKUlT_T0_E_clISt17integral_constantIbLb0EESU_EEDaSP_SQ_EUlSP_E_NS1_11comp_targetILNS1_3genE10ELNS1_11target_archE1200ELNS1_3gpuE4ELNS1_3repE0EEENS1_30default_config_static_selectorELNS0_4arch9wavefront6targetE1EEEvT1_ ; -- Begin function _ZN7rocprim17ROCPRIM_400000_NS6detail17trampoline_kernelINS0_14default_configENS1_20scan_config_selectorIxEEZZNS1_9scan_implILNS1_25lookback_scan_determinismE0ELb1ELb1ES3_N6thrust23THRUST_200600_302600_NS6detail15normal_iteratorINS9_10device_ptrIxEEEESE_xNS9_4plusIxEExEEDaPvRmT3_T4_T5_mT6_P12ihipStream_tbENKUlT_T0_E_clISt17integral_constantIbLb0EESU_EEDaSP_SQ_EUlSP_E_NS1_11comp_targetILNS1_3genE10ELNS1_11target_archE1200ELNS1_3gpuE4ELNS1_3repE0EEENS1_30default_config_static_selectorELNS0_4arch9wavefront6targetE1EEEvT1_
	.globl	_ZN7rocprim17ROCPRIM_400000_NS6detail17trampoline_kernelINS0_14default_configENS1_20scan_config_selectorIxEEZZNS1_9scan_implILNS1_25lookback_scan_determinismE0ELb1ELb1ES3_N6thrust23THRUST_200600_302600_NS6detail15normal_iteratorINS9_10device_ptrIxEEEESE_xNS9_4plusIxEExEEDaPvRmT3_T4_T5_mT6_P12ihipStream_tbENKUlT_T0_E_clISt17integral_constantIbLb0EESU_EEDaSP_SQ_EUlSP_E_NS1_11comp_targetILNS1_3genE10ELNS1_11target_archE1200ELNS1_3gpuE4ELNS1_3repE0EEENS1_30default_config_static_selectorELNS0_4arch9wavefront6targetE1EEEvT1_
	.p2align	8
	.type	_ZN7rocprim17ROCPRIM_400000_NS6detail17trampoline_kernelINS0_14default_configENS1_20scan_config_selectorIxEEZZNS1_9scan_implILNS1_25lookback_scan_determinismE0ELb1ELb1ES3_N6thrust23THRUST_200600_302600_NS6detail15normal_iteratorINS9_10device_ptrIxEEEESE_xNS9_4plusIxEExEEDaPvRmT3_T4_T5_mT6_P12ihipStream_tbENKUlT_T0_E_clISt17integral_constantIbLb0EESU_EEDaSP_SQ_EUlSP_E_NS1_11comp_targetILNS1_3genE10ELNS1_11target_archE1200ELNS1_3gpuE4ELNS1_3repE0EEENS1_30default_config_static_selectorELNS0_4arch9wavefront6targetE1EEEvT1_,@function
_ZN7rocprim17ROCPRIM_400000_NS6detail17trampoline_kernelINS0_14default_configENS1_20scan_config_selectorIxEEZZNS1_9scan_implILNS1_25lookback_scan_determinismE0ELb1ELb1ES3_N6thrust23THRUST_200600_302600_NS6detail15normal_iteratorINS9_10device_ptrIxEEEESE_xNS9_4plusIxEExEEDaPvRmT3_T4_T5_mT6_P12ihipStream_tbENKUlT_T0_E_clISt17integral_constantIbLb0EESU_EEDaSP_SQ_EUlSP_E_NS1_11comp_targetILNS1_3genE10ELNS1_11target_archE1200ELNS1_3gpuE4ELNS1_3repE0EEENS1_30default_config_static_selectorELNS0_4arch9wavefront6targetE1EEEvT1_: ; @_ZN7rocprim17ROCPRIM_400000_NS6detail17trampoline_kernelINS0_14default_configENS1_20scan_config_selectorIxEEZZNS1_9scan_implILNS1_25lookback_scan_determinismE0ELb1ELb1ES3_N6thrust23THRUST_200600_302600_NS6detail15normal_iteratorINS9_10device_ptrIxEEEESE_xNS9_4plusIxEExEEDaPvRmT3_T4_T5_mT6_P12ihipStream_tbENKUlT_T0_E_clISt17integral_constantIbLb0EESU_EEDaSP_SQ_EUlSP_E_NS1_11comp_targetILNS1_3genE10ELNS1_11target_archE1200ELNS1_3gpuE4ELNS1_3repE0EEENS1_30default_config_static_selectorELNS0_4arch9wavefront6targetE1EEEvT1_
; %bb.0:
	.section	.rodata,"a",@progbits
	.p2align	6, 0x0
	.amdhsa_kernel _ZN7rocprim17ROCPRIM_400000_NS6detail17trampoline_kernelINS0_14default_configENS1_20scan_config_selectorIxEEZZNS1_9scan_implILNS1_25lookback_scan_determinismE0ELb1ELb1ES3_N6thrust23THRUST_200600_302600_NS6detail15normal_iteratorINS9_10device_ptrIxEEEESE_xNS9_4plusIxEExEEDaPvRmT3_T4_T5_mT6_P12ihipStream_tbENKUlT_T0_E_clISt17integral_constantIbLb0EESU_EEDaSP_SQ_EUlSP_E_NS1_11comp_targetILNS1_3genE10ELNS1_11target_archE1200ELNS1_3gpuE4ELNS1_3repE0EEENS1_30default_config_static_selectorELNS0_4arch9wavefront6targetE1EEEvT1_
		.amdhsa_group_segment_fixed_size 0
		.amdhsa_private_segment_fixed_size 0
		.amdhsa_kernarg_size 104
		.amdhsa_user_sgpr_count 6
		.amdhsa_user_sgpr_private_segment_buffer 1
		.amdhsa_user_sgpr_dispatch_ptr 0
		.amdhsa_user_sgpr_queue_ptr 0
		.amdhsa_user_sgpr_kernarg_segment_ptr 1
		.amdhsa_user_sgpr_dispatch_id 0
		.amdhsa_user_sgpr_flat_scratch_init 0
		.amdhsa_user_sgpr_kernarg_preload_length 0
		.amdhsa_user_sgpr_kernarg_preload_offset 0
		.amdhsa_user_sgpr_private_segment_size 0
		.amdhsa_uses_dynamic_stack 0
		.amdhsa_system_sgpr_private_segment_wavefront_offset 0
		.amdhsa_system_sgpr_workgroup_id_x 1
		.amdhsa_system_sgpr_workgroup_id_y 0
		.amdhsa_system_sgpr_workgroup_id_z 0
		.amdhsa_system_sgpr_workgroup_info 0
		.amdhsa_system_vgpr_workitem_id 0
		.amdhsa_next_free_vgpr 1
		.amdhsa_next_free_sgpr 0
		.amdhsa_accum_offset 4
		.amdhsa_reserve_vcc 0
		.amdhsa_reserve_flat_scratch 0
		.amdhsa_float_round_mode_32 0
		.amdhsa_float_round_mode_16_64 0
		.amdhsa_float_denorm_mode_32 3
		.amdhsa_float_denorm_mode_16_64 3
		.amdhsa_dx10_clamp 1
		.amdhsa_ieee_mode 1
		.amdhsa_fp16_overflow 0
		.amdhsa_tg_split 0
		.amdhsa_exception_fp_ieee_invalid_op 0
		.amdhsa_exception_fp_denorm_src 0
		.amdhsa_exception_fp_ieee_div_zero 0
		.amdhsa_exception_fp_ieee_overflow 0
		.amdhsa_exception_fp_ieee_underflow 0
		.amdhsa_exception_fp_ieee_inexact 0
		.amdhsa_exception_int_div_zero 0
	.end_amdhsa_kernel
	.section	.text._ZN7rocprim17ROCPRIM_400000_NS6detail17trampoline_kernelINS0_14default_configENS1_20scan_config_selectorIxEEZZNS1_9scan_implILNS1_25lookback_scan_determinismE0ELb1ELb1ES3_N6thrust23THRUST_200600_302600_NS6detail15normal_iteratorINS9_10device_ptrIxEEEESE_xNS9_4plusIxEExEEDaPvRmT3_T4_T5_mT6_P12ihipStream_tbENKUlT_T0_E_clISt17integral_constantIbLb0EESU_EEDaSP_SQ_EUlSP_E_NS1_11comp_targetILNS1_3genE10ELNS1_11target_archE1200ELNS1_3gpuE4ELNS1_3repE0EEENS1_30default_config_static_selectorELNS0_4arch9wavefront6targetE1EEEvT1_,"axG",@progbits,_ZN7rocprim17ROCPRIM_400000_NS6detail17trampoline_kernelINS0_14default_configENS1_20scan_config_selectorIxEEZZNS1_9scan_implILNS1_25lookback_scan_determinismE0ELb1ELb1ES3_N6thrust23THRUST_200600_302600_NS6detail15normal_iteratorINS9_10device_ptrIxEEEESE_xNS9_4plusIxEExEEDaPvRmT3_T4_T5_mT6_P12ihipStream_tbENKUlT_T0_E_clISt17integral_constantIbLb0EESU_EEDaSP_SQ_EUlSP_E_NS1_11comp_targetILNS1_3genE10ELNS1_11target_archE1200ELNS1_3gpuE4ELNS1_3repE0EEENS1_30default_config_static_selectorELNS0_4arch9wavefront6targetE1EEEvT1_,comdat
.Lfunc_end348:
	.size	_ZN7rocprim17ROCPRIM_400000_NS6detail17trampoline_kernelINS0_14default_configENS1_20scan_config_selectorIxEEZZNS1_9scan_implILNS1_25lookback_scan_determinismE0ELb1ELb1ES3_N6thrust23THRUST_200600_302600_NS6detail15normal_iteratorINS9_10device_ptrIxEEEESE_xNS9_4plusIxEExEEDaPvRmT3_T4_T5_mT6_P12ihipStream_tbENKUlT_T0_E_clISt17integral_constantIbLb0EESU_EEDaSP_SQ_EUlSP_E_NS1_11comp_targetILNS1_3genE10ELNS1_11target_archE1200ELNS1_3gpuE4ELNS1_3repE0EEENS1_30default_config_static_selectorELNS0_4arch9wavefront6targetE1EEEvT1_, .Lfunc_end348-_ZN7rocprim17ROCPRIM_400000_NS6detail17trampoline_kernelINS0_14default_configENS1_20scan_config_selectorIxEEZZNS1_9scan_implILNS1_25lookback_scan_determinismE0ELb1ELb1ES3_N6thrust23THRUST_200600_302600_NS6detail15normal_iteratorINS9_10device_ptrIxEEEESE_xNS9_4plusIxEExEEDaPvRmT3_T4_T5_mT6_P12ihipStream_tbENKUlT_T0_E_clISt17integral_constantIbLb0EESU_EEDaSP_SQ_EUlSP_E_NS1_11comp_targetILNS1_3genE10ELNS1_11target_archE1200ELNS1_3gpuE4ELNS1_3repE0EEENS1_30default_config_static_selectorELNS0_4arch9wavefront6targetE1EEEvT1_
                                        ; -- End function
	.section	.AMDGPU.csdata,"",@progbits
; Kernel info:
; codeLenInByte = 0
; NumSgprs: 4
; NumVgprs: 0
; NumAgprs: 0
; TotalNumVgprs: 0
; ScratchSize: 0
; MemoryBound: 0
; FloatMode: 240
; IeeeMode: 1
; LDSByteSize: 0 bytes/workgroup (compile time only)
; SGPRBlocks: 0
; VGPRBlocks: 0
; NumSGPRsForWavesPerEU: 4
; NumVGPRsForWavesPerEU: 1
; AccumOffset: 4
; Occupancy: 8
; WaveLimiterHint : 0
; COMPUTE_PGM_RSRC2:SCRATCH_EN: 0
; COMPUTE_PGM_RSRC2:USER_SGPR: 6
; COMPUTE_PGM_RSRC2:TRAP_HANDLER: 0
; COMPUTE_PGM_RSRC2:TGID_X_EN: 1
; COMPUTE_PGM_RSRC2:TGID_Y_EN: 0
; COMPUTE_PGM_RSRC2:TGID_Z_EN: 0
; COMPUTE_PGM_RSRC2:TIDIG_COMP_CNT: 0
; COMPUTE_PGM_RSRC3_GFX90A:ACCUM_OFFSET: 0
; COMPUTE_PGM_RSRC3_GFX90A:TG_SPLIT: 0
	.section	.text._ZN7rocprim17ROCPRIM_400000_NS6detail17trampoline_kernelINS0_14default_configENS1_20scan_config_selectorIxEEZZNS1_9scan_implILNS1_25lookback_scan_determinismE0ELb1ELb1ES3_N6thrust23THRUST_200600_302600_NS6detail15normal_iteratorINS9_10device_ptrIxEEEESE_xNS9_4plusIxEExEEDaPvRmT3_T4_T5_mT6_P12ihipStream_tbENKUlT_T0_E_clISt17integral_constantIbLb0EESU_EEDaSP_SQ_EUlSP_E_NS1_11comp_targetILNS1_3genE9ELNS1_11target_archE1100ELNS1_3gpuE3ELNS1_3repE0EEENS1_30default_config_static_selectorELNS0_4arch9wavefront6targetE1EEEvT1_,"axG",@progbits,_ZN7rocprim17ROCPRIM_400000_NS6detail17trampoline_kernelINS0_14default_configENS1_20scan_config_selectorIxEEZZNS1_9scan_implILNS1_25lookback_scan_determinismE0ELb1ELb1ES3_N6thrust23THRUST_200600_302600_NS6detail15normal_iteratorINS9_10device_ptrIxEEEESE_xNS9_4plusIxEExEEDaPvRmT3_T4_T5_mT6_P12ihipStream_tbENKUlT_T0_E_clISt17integral_constantIbLb0EESU_EEDaSP_SQ_EUlSP_E_NS1_11comp_targetILNS1_3genE9ELNS1_11target_archE1100ELNS1_3gpuE3ELNS1_3repE0EEENS1_30default_config_static_selectorELNS0_4arch9wavefront6targetE1EEEvT1_,comdat
	.protected	_ZN7rocprim17ROCPRIM_400000_NS6detail17trampoline_kernelINS0_14default_configENS1_20scan_config_selectorIxEEZZNS1_9scan_implILNS1_25lookback_scan_determinismE0ELb1ELb1ES3_N6thrust23THRUST_200600_302600_NS6detail15normal_iteratorINS9_10device_ptrIxEEEESE_xNS9_4plusIxEExEEDaPvRmT3_T4_T5_mT6_P12ihipStream_tbENKUlT_T0_E_clISt17integral_constantIbLb0EESU_EEDaSP_SQ_EUlSP_E_NS1_11comp_targetILNS1_3genE9ELNS1_11target_archE1100ELNS1_3gpuE3ELNS1_3repE0EEENS1_30default_config_static_selectorELNS0_4arch9wavefront6targetE1EEEvT1_ ; -- Begin function _ZN7rocprim17ROCPRIM_400000_NS6detail17trampoline_kernelINS0_14default_configENS1_20scan_config_selectorIxEEZZNS1_9scan_implILNS1_25lookback_scan_determinismE0ELb1ELb1ES3_N6thrust23THRUST_200600_302600_NS6detail15normal_iteratorINS9_10device_ptrIxEEEESE_xNS9_4plusIxEExEEDaPvRmT3_T4_T5_mT6_P12ihipStream_tbENKUlT_T0_E_clISt17integral_constantIbLb0EESU_EEDaSP_SQ_EUlSP_E_NS1_11comp_targetILNS1_3genE9ELNS1_11target_archE1100ELNS1_3gpuE3ELNS1_3repE0EEENS1_30default_config_static_selectorELNS0_4arch9wavefront6targetE1EEEvT1_
	.globl	_ZN7rocprim17ROCPRIM_400000_NS6detail17trampoline_kernelINS0_14default_configENS1_20scan_config_selectorIxEEZZNS1_9scan_implILNS1_25lookback_scan_determinismE0ELb1ELb1ES3_N6thrust23THRUST_200600_302600_NS6detail15normal_iteratorINS9_10device_ptrIxEEEESE_xNS9_4plusIxEExEEDaPvRmT3_T4_T5_mT6_P12ihipStream_tbENKUlT_T0_E_clISt17integral_constantIbLb0EESU_EEDaSP_SQ_EUlSP_E_NS1_11comp_targetILNS1_3genE9ELNS1_11target_archE1100ELNS1_3gpuE3ELNS1_3repE0EEENS1_30default_config_static_selectorELNS0_4arch9wavefront6targetE1EEEvT1_
	.p2align	8
	.type	_ZN7rocprim17ROCPRIM_400000_NS6detail17trampoline_kernelINS0_14default_configENS1_20scan_config_selectorIxEEZZNS1_9scan_implILNS1_25lookback_scan_determinismE0ELb1ELb1ES3_N6thrust23THRUST_200600_302600_NS6detail15normal_iteratorINS9_10device_ptrIxEEEESE_xNS9_4plusIxEExEEDaPvRmT3_T4_T5_mT6_P12ihipStream_tbENKUlT_T0_E_clISt17integral_constantIbLb0EESU_EEDaSP_SQ_EUlSP_E_NS1_11comp_targetILNS1_3genE9ELNS1_11target_archE1100ELNS1_3gpuE3ELNS1_3repE0EEENS1_30default_config_static_selectorELNS0_4arch9wavefront6targetE1EEEvT1_,@function
_ZN7rocprim17ROCPRIM_400000_NS6detail17trampoline_kernelINS0_14default_configENS1_20scan_config_selectorIxEEZZNS1_9scan_implILNS1_25lookback_scan_determinismE0ELb1ELb1ES3_N6thrust23THRUST_200600_302600_NS6detail15normal_iteratorINS9_10device_ptrIxEEEESE_xNS9_4plusIxEExEEDaPvRmT3_T4_T5_mT6_P12ihipStream_tbENKUlT_T0_E_clISt17integral_constantIbLb0EESU_EEDaSP_SQ_EUlSP_E_NS1_11comp_targetILNS1_3genE9ELNS1_11target_archE1100ELNS1_3gpuE3ELNS1_3repE0EEENS1_30default_config_static_selectorELNS0_4arch9wavefront6targetE1EEEvT1_: ; @_ZN7rocprim17ROCPRIM_400000_NS6detail17trampoline_kernelINS0_14default_configENS1_20scan_config_selectorIxEEZZNS1_9scan_implILNS1_25lookback_scan_determinismE0ELb1ELb1ES3_N6thrust23THRUST_200600_302600_NS6detail15normal_iteratorINS9_10device_ptrIxEEEESE_xNS9_4plusIxEExEEDaPvRmT3_T4_T5_mT6_P12ihipStream_tbENKUlT_T0_E_clISt17integral_constantIbLb0EESU_EEDaSP_SQ_EUlSP_E_NS1_11comp_targetILNS1_3genE9ELNS1_11target_archE1100ELNS1_3gpuE3ELNS1_3repE0EEENS1_30default_config_static_selectorELNS0_4arch9wavefront6targetE1EEEvT1_
; %bb.0:
	.section	.rodata,"a",@progbits
	.p2align	6, 0x0
	.amdhsa_kernel _ZN7rocprim17ROCPRIM_400000_NS6detail17trampoline_kernelINS0_14default_configENS1_20scan_config_selectorIxEEZZNS1_9scan_implILNS1_25lookback_scan_determinismE0ELb1ELb1ES3_N6thrust23THRUST_200600_302600_NS6detail15normal_iteratorINS9_10device_ptrIxEEEESE_xNS9_4plusIxEExEEDaPvRmT3_T4_T5_mT6_P12ihipStream_tbENKUlT_T0_E_clISt17integral_constantIbLb0EESU_EEDaSP_SQ_EUlSP_E_NS1_11comp_targetILNS1_3genE9ELNS1_11target_archE1100ELNS1_3gpuE3ELNS1_3repE0EEENS1_30default_config_static_selectorELNS0_4arch9wavefront6targetE1EEEvT1_
		.amdhsa_group_segment_fixed_size 0
		.amdhsa_private_segment_fixed_size 0
		.amdhsa_kernarg_size 104
		.amdhsa_user_sgpr_count 6
		.amdhsa_user_sgpr_private_segment_buffer 1
		.amdhsa_user_sgpr_dispatch_ptr 0
		.amdhsa_user_sgpr_queue_ptr 0
		.amdhsa_user_sgpr_kernarg_segment_ptr 1
		.amdhsa_user_sgpr_dispatch_id 0
		.amdhsa_user_sgpr_flat_scratch_init 0
		.amdhsa_user_sgpr_kernarg_preload_length 0
		.amdhsa_user_sgpr_kernarg_preload_offset 0
		.amdhsa_user_sgpr_private_segment_size 0
		.amdhsa_uses_dynamic_stack 0
		.amdhsa_system_sgpr_private_segment_wavefront_offset 0
		.amdhsa_system_sgpr_workgroup_id_x 1
		.amdhsa_system_sgpr_workgroup_id_y 0
		.amdhsa_system_sgpr_workgroup_id_z 0
		.amdhsa_system_sgpr_workgroup_info 0
		.amdhsa_system_vgpr_workitem_id 0
		.amdhsa_next_free_vgpr 1
		.amdhsa_next_free_sgpr 0
		.amdhsa_accum_offset 4
		.amdhsa_reserve_vcc 0
		.amdhsa_reserve_flat_scratch 0
		.amdhsa_float_round_mode_32 0
		.amdhsa_float_round_mode_16_64 0
		.amdhsa_float_denorm_mode_32 3
		.amdhsa_float_denorm_mode_16_64 3
		.amdhsa_dx10_clamp 1
		.amdhsa_ieee_mode 1
		.amdhsa_fp16_overflow 0
		.amdhsa_tg_split 0
		.amdhsa_exception_fp_ieee_invalid_op 0
		.amdhsa_exception_fp_denorm_src 0
		.amdhsa_exception_fp_ieee_div_zero 0
		.amdhsa_exception_fp_ieee_overflow 0
		.amdhsa_exception_fp_ieee_underflow 0
		.amdhsa_exception_fp_ieee_inexact 0
		.amdhsa_exception_int_div_zero 0
	.end_amdhsa_kernel
	.section	.text._ZN7rocprim17ROCPRIM_400000_NS6detail17trampoline_kernelINS0_14default_configENS1_20scan_config_selectorIxEEZZNS1_9scan_implILNS1_25lookback_scan_determinismE0ELb1ELb1ES3_N6thrust23THRUST_200600_302600_NS6detail15normal_iteratorINS9_10device_ptrIxEEEESE_xNS9_4plusIxEExEEDaPvRmT3_T4_T5_mT6_P12ihipStream_tbENKUlT_T0_E_clISt17integral_constantIbLb0EESU_EEDaSP_SQ_EUlSP_E_NS1_11comp_targetILNS1_3genE9ELNS1_11target_archE1100ELNS1_3gpuE3ELNS1_3repE0EEENS1_30default_config_static_selectorELNS0_4arch9wavefront6targetE1EEEvT1_,"axG",@progbits,_ZN7rocprim17ROCPRIM_400000_NS6detail17trampoline_kernelINS0_14default_configENS1_20scan_config_selectorIxEEZZNS1_9scan_implILNS1_25lookback_scan_determinismE0ELb1ELb1ES3_N6thrust23THRUST_200600_302600_NS6detail15normal_iteratorINS9_10device_ptrIxEEEESE_xNS9_4plusIxEExEEDaPvRmT3_T4_T5_mT6_P12ihipStream_tbENKUlT_T0_E_clISt17integral_constantIbLb0EESU_EEDaSP_SQ_EUlSP_E_NS1_11comp_targetILNS1_3genE9ELNS1_11target_archE1100ELNS1_3gpuE3ELNS1_3repE0EEENS1_30default_config_static_selectorELNS0_4arch9wavefront6targetE1EEEvT1_,comdat
.Lfunc_end349:
	.size	_ZN7rocprim17ROCPRIM_400000_NS6detail17trampoline_kernelINS0_14default_configENS1_20scan_config_selectorIxEEZZNS1_9scan_implILNS1_25lookback_scan_determinismE0ELb1ELb1ES3_N6thrust23THRUST_200600_302600_NS6detail15normal_iteratorINS9_10device_ptrIxEEEESE_xNS9_4plusIxEExEEDaPvRmT3_T4_T5_mT6_P12ihipStream_tbENKUlT_T0_E_clISt17integral_constantIbLb0EESU_EEDaSP_SQ_EUlSP_E_NS1_11comp_targetILNS1_3genE9ELNS1_11target_archE1100ELNS1_3gpuE3ELNS1_3repE0EEENS1_30default_config_static_selectorELNS0_4arch9wavefront6targetE1EEEvT1_, .Lfunc_end349-_ZN7rocprim17ROCPRIM_400000_NS6detail17trampoline_kernelINS0_14default_configENS1_20scan_config_selectorIxEEZZNS1_9scan_implILNS1_25lookback_scan_determinismE0ELb1ELb1ES3_N6thrust23THRUST_200600_302600_NS6detail15normal_iteratorINS9_10device_ptrIxEEEESE_xNS9_4plusIxEExEEDaPvRmT3_T4_T5_mT6_P12ihipStream_tbENKUlT_T0_E_clISt17integral_constantIbLb0EESU_EEDaSP_SQ_EUlSP_E_NS1_11comp_targetILNS1_3genE9ELNS1_11target_archE1100ELNS1_3gpuE3ELNS1_3repE0EEENS1_30default_config_static_selectorELNS0_4arch9wavefront6targetE1EEEvT1_
                                        ; -- End function
	.section	.AMDGPU.csdata,"",@progbits
; Kernel info:
; codeLenInByte = 0
; NumSgprs: 4
; NumVgprs: 0
; NumAgprs: 0
; TotalNumVgprs: 0
; ScratchSize: 0
; MemoryBound: 0
; FloatMode: 240
; IeeeMode: 1
; LDSByteSize: 0 bytes/workgroup (compile time only)
; SGPRBlocks: 0
; VGPRBlocks: 0
; NumSGPRsForWavesPerEU: 4
; NumVGPRsForWavesPerEU: 1
; AccumOffset: 4
; Occupancy: 8
; WaveLimiterHint : 0
; COMPUTE_PGM_RSRC2:SCRATCH_EN: 0
; COMPUTE_PGM_RSRC2:USER_SGPR: 6
; COMPUTE_PGM_RSRC2:TRAP_HANDLER: 0
; COMPUTE_PGM_RSRC2:TGID_X_EN: 1
; COMPUTE_PGM_RSRC2:TGID_Y_EN: 0
; COMPUTE_PGM_RSRC2:TGID_Z_EN: 0
; COMPUTE_PGM_RSRC2:TIDIG_COMP_CNT: 0
; COMPUTE_PGM_RSRC3_GFX90A:ACCUM_OFFSET: 0
; COMPUTE_PGM_RSRC3_GFX90A:TG_SPLIT: 0
	.section	.text._ZN7rocprim17ROCPRIM_400000_NS6detail17trampoline_kernelINS0_14default_configENS1_20scan_config_selectorIxEEZZNS1_9scan_implILNS1_25lookback_scan_determinismE0ELb1ELb1ES3_N6thrust23THRUST_200600_302600_NS6detail15normal_iteratorINS9_10device_ptrIxEEEESE_xNS9_4plusIxEExEEDaPvRmT3_T4_T5_mT6_P12ihipStream_tbENKUlT_T0_E_clISt17integral_constantIbLb0EESU_EEDaSP_SQ_EUlSP_E_NS1_11comp_targetILNS1_3genE8ELNS1_11target_archE1030ELNS1_3gpuE2ELNS1_3repE0EEENS1_30default_config_static_selectorELNS0_4arch9wavefront6targetE1EEEvT1_,"axG",@progbits,_ZN7rocprim17ROCPRIM_400000_NS6detail17trampoline_kernelINS0_14default_configENS1_20scan_config_selectorIxEEZZNS1_9scan_implILNS1_25lookback_scan_determinismE0ELb1ELb1ES3_N6thrust23THRUST_200600_302600_NS6detail15normal_iteratorINS9_10device_ptrIxEEEESE_xNS9_4plusIxEExEEDaPvRmT3_T4_T5_mT6_P12ihipStream_tbENKUlT_T0_E_clISt17integral_constantIbLb0EESU_EEDaSP_SQ_EUlSP_E_NS1_11comp_targetILNS1_3genE8ELNS1_11target_archE1030ELNS1_3gpuE2ELNS1_3repE0EEENS1_30default_config_static_selectorELNS0_4arch9wavefront6targetE1EEEvT1_,comdat
	.protected	_ZN7rocprim17ROCPRIM_400000_NS6detail17trampoline_kernelINS0_14default_configENS1_20scan_config_selectorIxEEZZNS1_9scan_implILNS1_25lookback_scan_determinismE0ELb1ELb1ES3_N6thrust23THRUST_200600_302600_NS6detail15normal_iteratorINS9_10device_ptrIxEEEESE_xNS9_4plusIxEExEEDaPvRmT3_T4_T5_mT6_P12ihipStream_tbENKUlT_T0_E_clISt17integral_constantIbLb0EESU_EEDaSP_SQ_EUlSP_E_NS1_11comp_targetILNS1_3genE8ELNS1_11target_archE1030ELNS1_3gpuE2ELNS1_3repE0EEENS1_30default_config_static_selectorELNS0_4arch9wavefront6targetE1EEEvT1_ ; -- Begin function _ZN7rocprim17ROCPRIM_400000_NS6detail17trampoline_kernelINS0_14default_configENS1_20scan_config_selectorIxEEZZNS1_9scan_implILNS1_25lookback_scan_determinismE0ELb1ELb1ES3_N6thrust23THRUST_200600_302600_NS6detail15normal_iteratorINS9_10device_ptrIxEEEESE_xNS9_4plusIxEExEEDaPvRmT3_T4_T5_mT6_P12ihipStream_tbENKUlT_T0_E_clISt17integral_constantIbLb0EESU_EEDaSP_SQ_EUlSP_E_NS1_11comp_targetILNS1_3genE8ELNS1_11target_archE1030ELNS1_3gpuE2ELNS1_3repE0EEENS1_30default_config_static_selectorELNS0_4arch9wavefront6targetE1EEEvT1_
	.globl	_ZN7rocprim17ROCPRIM_400000_NS6detail17trampoline_kernelINS0_14default_configENS1_20scan_config_selectorIxEEZZNS1_9scan_implILNS1_25lookback_scan_determinismE0ELb1ELb1ES3_N6thrust23THRUST_200600_302600_NS6detail15normal_iteratorINS9_10device_ptrIxEEEESE_xNS9_4plusIxEExEEDaPvRmT3_T4_T5_mT6_P12ihipStream_tbENKUlT_T0_E_clISt17integral_constantIbLb0EESU_EEDaSP_SQ_EUlSP_E_NS1_11comp_targetILNS1_3genE8ELNS1_11target_archE1030ELNS1_3gpuE2ELNS1_3repE0EEENS1_30default_config_static_selectorELNS0_4arch9wavefront6targetE1EEEvT1_
	.p2align	8
	.type	_ZN7rocprim17ROCPRIM_400000_NS6detail17trampoline_kernelINS0_14default_configENS1_20scan_config_selectorIxEEZZNS1_9scan_implILNS1_25lookback_scan_determinismE0ELb1ELb1ES3_N6thrust23THRUST_200600_302600_NS6detail15normal_iteratorINS9_10device_ptrIxEEEESE_xNS9_4plusIxEExEEDaPvRmT3_T4_T5_mT6_P12ihipStream_tbENKUlT_T0_E_clISt17integral_constantIbLb0EESU_EEDaSP_SQ_EUlSP_E_NS1_11comp_targetILNS1_3genE8ELNS1_11target_archE1030ELNS1_3gpuE2ELNS1_3repE0EEENS1_30default_config_static_selectorELNS0_4arch9wavefront6targetE1EEEvT1_,@function
_ZN7rocprim17ROCPRIM_400000_NS6detail17trampoline_kernelINS0_14default_configENS1_20scan_config_selectorIxEEZZNS1_9scan_implILNS1_25lookback_scan_determinismE0ELb1ELb1ES3_N6thrust23THRUST_200600_302600_NS6detail15normal_iteratorINS9_10device_ptrIxEEEESE_xNS9_4plusIxEExEEDaPvRmT3_T4_T5_mT6_P12ihipStream_tbENKUlT_T0_E_clISt17integral_constantIbLb0EESU_EEDaSP_SQ_EUlSP_E_NS1_11comp_targetILNS1_3genE8ELNS1_11target_archE1030ELNS1_3gpuE2ELNS1_3repE0EEENS1_30default_config_static_selectorELNS0_4arch9wavefront6targetE1EEEvT1_: ; @_ZN7rocprim17ROCPRIM_400000_NS6detail17trampoline_kernelINS0_14default_configENS1_20scan_config_selectorIxEEZZNS1_9scan_implILNS1_25lookback_scan_determinismE0ELb1ELb1ES3_N6thrust23THRUST_200600_302600_NS6detail15normal_iteratorINS9_10device_ptrIxEEEESE_xNS9_4plusIxEExEEDaPvRmT3_T4_T5_mT6_P12ihipStream_tbENKUlT_T0_E_clISt17integral_constantIbLb0EESU_EEDaSP_SQ_EUlSP_E_NS1_11comp_targetILNS1_3genE8ELNS1_11target_archE1030ELNS1_3gpuE2ELNS1_3repE0EEENS1_30default_config_static_selectorELNS0_4arch9wavefront6targetE1EEEvT1_
; %bb.0:
	.section	.rodata,"a",@progbits
	.p2align	6, 0x0
	.amdhsa_kernel _ZN7rocprim17ROCPRIM_400000_NS6detail17trampoline_kernelINS0_14default_configENS1_20scan_config_selectorIxEEZZNS1_9scan_implILNS1_25lookback_scan_determinismE0ELb1ELb1ES3_N6thrust23THRUST_200600_302600_NS6detail15normal_iteratorINS9_10device_ptrIxEEEESE_xNS9_4plusIxEExEEDaPvRmT3_T4_T5_mT6_P12ihipStream_tbENKUlT_T0_E_clISt17integral_constantIbLb0EESU_EEDaSP_SQ_EUlSP_E_NS1_11comp_targetILNS1_3genE8ELNS1_11target_archE1030ELNS1_3gpuE2ELNS1_3repE0EEENS1_30default_config_static_selectorELNS0_4arch9wavefront6targetE1EEEvT1_
		.amdhsa_group_segment_fixed_size 0
		.amdhsa_private_segment_fixed_size 0
		.amdhsa_kernarg_size 104
		.amdhsa_user_sgpr_count 6
		.amdhsa_user_sgpr_private_segment_buffer 1
		.amdhsa_user_sgpr_dispatch_ptr 0
		.amdhsa_user_sgpr_queue_ptr 0
		.amdhsa_user_sgpr_kernarg_segment_ptr 1
		.amdhsa_user_sgpr_dispatch_id 0
		.amdhsa_user_sgpr_flat_scratch_init 0
		.amdhsa_user_sgpr_kernarg_preload_length 0
		.amdhsa_user_sgpr_kernarg_preload_offset 0
		.amdhsa_user_sgpr_private_segment_size 0
		.amdhsa_uses_dynamic_stack 0
		.amdhsa_system_sgpr_private_segment_wavefront_offset 0
		.amdhsa_system_sgpr_workgroup_id_x 1
		.amdhsa_system_sgpr_workgroup_id_y 0
		.amdhsa_system_sgpr_workgroup_id_z 0
		.amdhsa_system_sgpr_workgroup_info 0
		.amdhsa_system_vgpr_workitem_id 0
		.amdhsa_next_free_vgpr 1
		.amdhsa_next_free_sgpr 0
		.amdhsa_accum_offset 4
		.amdhsa_reserve_vcc 0
		.amdhsa_reserve_flat_scratch 0
		.amdhsa_float_round_mode_32 0
		.amdhsa_float_round_mode_16_64 0
		.amdhsa_float_denorm_mode_32 3
		.amdhsa_float_denorm_mode_16_64 3
		.amdhsa_dx10_clamp 1
		.amdhsa_ieee_mode 1
		.amdhsa_fp16_overflow 0
		.amdhsa_tg_split 0
		.amdhsa_exception_fp_ieee_invalid_op 0
		.amdhsa_exception_fp_denorm_src 0
		.amdhsa_exception_fp_ieee_div_zero 0
		.amdhsa_exception_fp_ieee_overflow 0
		.amdhsa_exception_fp_ieee_underflow 0
		.amdhsa_exception_fp_ieee_inexact 0
		.amdhsa_exception_int_div_zero 0
	.end_amdhsa_kernel
	.section	.text._ZN7rocprim17ROCPRIM_400000_NS6detail17trampoline_kernelINS0_14default_configENS1_20scan_config_selectorIxEEZZNS1_9scan_implILNS1_25lookback_scan_determinismE0ELb1ELb1ES3_N6thrust23THRUST_200600_302600_NS6detail15normal_iteratorINS9_10device_ptrIxEEEESE_xNS9_4plusIxEExEEDaPvRmT3_T4_T5_mT6_P12ihipStream_tbENKUlT_T0_E_clISt17integral_constantIbLb0EESU_EEDaSP_SQ_EUlSP_E_NS1_11comp_targetILNS1_3genE8ELNS1_11target_archE1030ELNS1_3gpuE2ELNS1_3repE0EEENS1_30default_config_static_selectorELNS0_4arch9wavefront6targetE1EEEvT1_,"axG",@progbits,_ZN7rocprim17ROCPRIM_400000_NS6detail17trampoline_kernelINS0_14default_configENS1_20scan_config_selectorIxEEZZNS1_9scan_implILNS1_25lookback_scan_determinismE0ELb1ELb1ES3_N6thrust23THRUST_200600_302600_NS6detail15normal_iteratorINS9_10device_ptrIxEEEESE_xNS9_4plusIxEExEEDaPvRmT3_T4_T5_mT6_P12ihipStream_tbENKUlT_T0_E_clISt17integral_constantIbLb0EESU_EEDaSP_SQ_EUlSP_E_NS1_11comp_targetILNS1_3genE8ELNS1_11target_archE1030ELNS1_3gpuE2ELNS1_3repE0EEENS1_30default_config_static_selectorELNS0_4arch9wavefront6targetE1EEEvT1_,comdat
.Lfunc_end350:
	.size	_ZN7rocprim17ROCPRIM_400000_NS6detail17trampoline_kernelINS0_14default_configENS1_20scan_config_selectorIxEEZZNS1_9scan_implILNS1_25lookback_scan_determinismE0ELb1ELb1ES3_N6thrust23THRUST_200600_302600_NS6detail15normal_iteratorINS9_10device_ptrIxEEEESE_xNS9_4plusIxEExEEDaPvRmT3_T4_T5_mT6_P12ihipStream_tbENKUlT_T0_E_clISt17integral_constantIbLb0EESU_EEDaSP_SQ_EUlSP_E_NS1_11comp_targetILNS1_3genE8ELNS1_11target_archE1030ELNS1_3gpuE2ELNS1_3repE0EEENS1_30default_config_static_selectorELNS0_4arch9wavefront6targetE1EEEvT1_, .Lfunc_end350-_ZN7rocprim17ROCPRIM_400000_NS6detail17trampoline_kernelINS0_14default_configENS1_20scan_config_selectorIxEEZZNS1_9scan_implILNS1_25lookback_scan_determinismE0ELb1ELb1ES3_N6thrust23THRUST_200600_302600_NS6detail15normal_iteratorINS9_10device_ptrIxEEEESE_xNS9_4plusIxEExEEDaPvRmT3_T4_T5_mT6_P12ihipStream_tbENKUlT_T0_E_clISt17integral_constantIbLb0EESU_EEDaSP_SQ_EUlSP_E_NS1_11comp_targetILNS1_3genE8ELNS1_11target_archE1030ELNS1_3gpuE2ELNS1_3repE0EEENS1_30default_config_static_selectorELNS0_4arch9wavefront6targetE1EEEvT1_
                                        ; -- End function
	.section	.AMDGPU.csdata,"",@progbits
; Kernel info:
; codeLenInByte = 0
; NumSgprs: 4
; NumVgprs: 0
; NumAgprs: 0
; TotalNumVgprs: 0
; ScratchSize: 0
; MemoryBound: 0
; FloatMode: 240
; IeeeMode: 1
; LDSByteSize: 0 bytes/workgroup (compile time only)
; SGPRBlocks: 0
; VGPRBlocks: 0
; NumSGPRsForWavesPerEU: 4
; NumVGPRsForWavesPerEU: 1
; AccumOffset: 4
; Occupancy: 8
; WaveLimiterHint : 0
; COMPUTE_PGM_RSRC2:SCRATCH_EN: 0
; COMPUTE_PGM_RSRC2:USER_SGPR: 6
; COMPUTE_PGM_RSRC2:TRAP_HANDLER: 0
; COMPUTE_PGM_RSRC2:TGID_X_EN: 1
; COMPUTE_PGM_RSRC2:TGID_Y_EN: 0
; COMPUTE_PGM_RSRC2:TGID_Z_EN: 0
; COMPUTE_PGM_RSRC2:TIDIG_COMP_CNT: 0
; COMPUTE_PGM_RSRC3_GFX90A:ACCUM_OFFSET: 0
; COMPUTE_PGM_RSRC3_GFX90A:TG_SPLIT: 0
	.section	.text._ZN7rocprim17ROCPRIM_400000_NS6detail17trampoline_kernelINS0_14default_configENS1_20scan_config_selectorIxEEZZNS1_9scan_implILNS1_25lookback_scan_determinismE0ELb1ELb1ES3_N6thrust23THRUST_200600_302600_NS6detail15normal_iteratorINS9_10device_ptrIxEEEESE_xNS9_4plusIxEExEEDaPvRmT3_T4_T5_mT6_P12ihipStream_tbENKUlT_T0_E_clISt17integral_constantIbLb0EESU_EEDaSP_SQ_EUlSP_E0_NS1_11comp_targetILNS1_3genE0ELNS1_11target_archE4294967295ELNS1_3gpuE0ELNS1_3repE0EEENS1_30default_config_static_selectorELNS0_4arch9wavefront6targetE1EEEvT1_,"axG",@progbits,_ZN7rocprim17ROCPRIM_400000_NS6detail17trampoline_kernelINS0_14default_configENS1_20scan_config_selectorIxEEZZNS1_9scan_implILNS1_25lookback_scan_determinismE0ELb1ELb1ES3_N6thrust23THRUST_200600_302600_NS6detail15normal_iteratorINS9_10device_ptrIxEEEESE_xNS9_4plusIxEExEEDaPvRmT3_T4_T5_mT6_P12ihipStream_tbENKUlT_T0_E_clISt17integral_constantIbLb0EESU_EEDaSP_SQ_EUlSP_E0_NS1_11comp_targetILNS1_3genE0ELNS1_11target_archE4294967295ELNS1_3gpuE0ELNS1_3repE0EEENS1_30default_config_static_selectorELNS0_4arch9wavefront6targetE1EEEvT1_,comdat
	.protected	_ZN7rocprim17ROCPRIM_400000_NS6detail17trampoline_kernelINS0_14default_configENS1_20scan_config_selectorIxEEZZNS1_9scan_implILNS1_25lookback_scan_determinismE0ELb1ELb1ES3_N6thrust23THRUST_200600_302600_NS6detail15normal_iteratorINS9_10device_ptrIxEEEESE_xNS9_4plusIxEExEEDaPvRmT3_T4_T5_mT6_P12ihipStream_tbENKUlT_T0_E_clISt17integral_constantIbLb0EESU_EEDaSP_SQ_EUlSP_E0_NS1_11comp_targetILNS1_3genE0ELNS1_11target_archE4294967295ELNS1_3gpuE0ELNS1_3repE0EEENS1_30default_config_static_selectorELNS0_4arch9wavefront6targetE1EEEvT1_ ; -- Begin function _ZN7rocprim17ROCPRIM_400000_NS6detail17trampoline_kernelINS0_14default_configENS1_20scan_config_selectorIxEEZZNS1_9scan_implILNS1_25lookback_scan_determinismE0ELb1ELb1ES3_N6thrust23THRUST_200600_302600_NS6detail15normal_iteratorINS9_10device_ptrIxEEEESE_xNS9_4plusIxEExEEDaPvRmT3_T4_T5_mT6_P12ihipStream_tbENKUlT_T0_E_clISt17integral_constantIbLb0EESU_EEDaSP_SQ_EUlSP_E0_NS1_11comp_targetILNS1_3genE0ELNS1_11target_archE4294967295ELNS1_3gpuE0ELNS1_3repE0EEENS1_30default_config_static_selectorELNS0_4arch9wavefront6targetE1EEEvT1_
	.globl	_ZN7rocprim17ROCPRIM_400000_NS6detail17trampoline_kernelINS0_14default_configENS1_20scan_config_selectorIxEEZZNS1_9scan_implILNS1_25lookback_scan_determinismE0ELb1ELb1ES3_N6thrust23THRUST_200600_302600_NS6detail15normal_iteratorINS9_10device_ptrIxEEEESE_xNS9_4plusIxEExEEDaPvRmT3_T4_T5_mT6_P12ihipStream_tbENKUlT_T0_E_clISt17integral_constantIbLb0EESU_EEDaSP_SQ_EUlSP_E0_NS1_11comp_targetILNS1_3genE0ELNS1_11target_archE4294967295ELNS1_3gpuE0ELNS1_3repE0EEENS1_30default_config_static_selectorELNS0_4arch9wavefront6targetE1EEEvT1_
	.p2align	8
	.type	_ZN7rocprim17ROCPRIM_400000_NS6detail17trampoline_kernelINS0_14default_configENS1_20scan_config_selectorIxEEZZNS1_9scan_implILNS1_25lookback_scan_determinismE0ELb1ELb1ES3_N6thrust23THRUST_200600_302600_NS6detail15normal_iteratorINS9_10device_ptrIxEEEESE_xNS9_4plusIxEExEEDaPvRmT3_T4_T5_mT6_P12ihipStream_tbENKUlT_T0_E_clISt17integral_constantIbLb0EESU_EEDaSP_SQ_EUlSP_E0_NS1_11comp_targetILNS1_3genE0ELNS1_11target_archE4294967295ELNS1_3gpuE0ELNS1_3repE0EEENS1_30default_config_static_selectorELNS0_4arch9wavefront6targetE1EEEvT1_,@function
_ZN7rocprim17ROCPRIM_400000_NS6detail17trampoline_kernelINS0_14default_configENS1_20scan_config_selectorIxEEZZNS1_9scan_implILNS1_25lookback_scan_determinismE0ELb1ELb1ES3_N6thrust23THRUST_200600_302600_NS6detail15normal_iteratorINS9_10device_ptrIxEEEESE_xNS9_4plusIxEExEEDaPvRmT3_T4_T5_mT6_P12ihipStream_tbENKUlT_T0_E_clISt17integral_constantIbLb0EESU_EEDaSP_SQ_EUlSP_E0_NS1_11comp_targetILNS1_3genE0ELNS1_11target_archE4294967295ELNS1_3gpuE0ELNS1_3repE0EEENS1_30default_config_static_selectorELNS0_4arch9wavefront6targetE1EEEvT1_: ; @_ZN7rocprim17ROCPRIM_400000_NS6detail17trampoline_kernelINS0_14default_configENS1_20scan_config_selectorIxEEZZNS1_9scan_implILNS1_25lookback_scan_determinismE0ELb1ELb1ES3_N6thrust23THRUST_200600_302600_NS6detail15normal_iteratorINS9_10device_ptrIxEEEESE_xNS9_4plusIxEExEEDaPvRmT3_T4_T5_mT6_P12ihipStream_tbENKUlT_T0_E_clISt17integral_constantIbLb0EESU_EEDaSP_SQ_EUlSP_E0_NS1_11comp_targetILNS1_3genE0ELNS1_11target_archE4294967295ELNS1_3gpuE0ELNS1_3repE0EEENS1_30default_config_static_selectorELNS0_4arch9wavefront6targetE1EEEvT1_
; %bb.0:
	.section	.rodata,"a",@progbits
	.p2align	6, 0x0
	.amdhsa_kernel _ZN7rocprim17ROCPRIM_400000_NS6detail17trampoline_kernelINS0_14default_configENS1_20scan_config_selectorIxEEZZNS1_9scan_implILNS1_25lookback_scan_determinismE0ELb1ELb1ES3_N6thrust23THRUST_200600_302600_NS6detail15normal_iteratorINS9_10device_ptrIxEEEESE_xNS9_4plusIxEExEEDaPvRmT3_T4_T5_mT6_P12ihipStream_tbENKUlT_T0_E_clISt17integral_constantIbLb0EESU_EEDaSP_SQ_EUlSP_E0_NS1_11comp_targetILNS1_3genE0ELNS1_11target_archE4294967295ELNS1_3gpuE0ELNS1_3repE0EEENS1_30default_config_static_selectorELNS0_4arch9wavefront6targetE1EEEvT1_
		.amdhsa_group_segment_fixed_size 0
		.amdhsa_private_segment_fixed_size 0
		.amdhsa_kernarg_size 40
		.amdhsa_user_sgpr_count 6
		.amdhsa_user_sgpr_private_segment_buffer 1
		.amdhsa_user_sgpr_dispatch_ptr 0
		.amdhsa_user_sgpr_queue_ptr 0
		.amdhsa_user_sgpr_kernarg_segment_ptr 1
		.amdhsa_user_sgpr_dispatch_id 0
		.amdhsa_user_sgpr_flat_scratch_init 0
		.amdhsa_user_sgpr_kernarg_preload_length 0
		.amdhsa_user_sgpr_kernarg_preload_offset 0
		.amdhsa_user_sgpr_private_segment_size 0
		.amdhsa_uses_dynamic_stack 0
		.amdhsa_system_sgpr_private_segment_wavefront_offset 0
		.amdhsa_system_sgpr_workgroup_id_x 1
		.amdhsa_system_sgpr_workgroup_id_y 0
		.amdhsa_system_sgpr_workgroup_id_z 0
		.amdhsa_system_sgpr_workgroup_info 0
		.amdhsa_system_vgpr_workitem_id 0
		.amdhsa_next_free_vgpr 1
		.amdhsa_next_free_sgpr 0
		.amdhsa_accum_offset 4
		.amdhsa_reserve_vcc 0
		.amdhsa_reserve_flat_scratch 0
		.amdhsa_float_round_mode_32 0
		.amdhsa_float_round_mode_16_64 0
		.amdhsa_float_denorm_mode_32 3
		.amdhsa_float_denorm_mode_16_64 3
		.amdhsa_dx10_clamp 1
		.amdhsa_ieee_mode 1
		.amdhsa_fp16_overflow 0
		.amdhsa_tg_split 0
		.amdhsa_exception_fp_ieee_invalid_op 0
		.amdhsa_exception_fp_denorm_src 0
		.amdhsa_exception_fp_ieee_div_zero 0
		.amdhsa_exception_fp_ieee_overflow 0
		.amdhsa_exception_fp_ieee_underflow 0
		.amdhsa_exception_fp_ieee_inexact 0
		.amdhsa_exception_int_div_zero 0
	.end_amdhsa_kernel
	.section	.text._ZN7rocprim17ROCPRIM_400000_NS6detail17trampoline_kernelINS0_14default_configENS1_20scan_config_selectorIxEEZZNS1_9scan_implILNS1_25lookback_scan_determinismE0ELb1ELb1ES3_N6thrust23THRUST_200600_302600_NS6detail15normal_iteratorINS9_10device_ptrIxEEEESE_xNS9_4plusIxEExEEDaPvRmT3_T4_T5_mT6_P12ihipStream_tbENKUlT_T0_E_clISt17integral_constantIbLb0EESU_EEDaSP_SQ_EUlSP_E0_NS1_11comp_targetILNS1_3genE0ELNS1_11target_archE4294967295ELNS1_3gpuE0ELNS1_3repE0EEENS1_30default_config_static_selectorELNS0_4arch9wavefront6targetE1EEEvT1_,"axG",@progbits,_ZN7rocprim17ROCPRIM_400000_NS6detail17trampoline_kernelINS0_14default_configENS1_20scan_config_selectorIxEEZZNS1_9scan_implILNS1_25lookback_scan_determinismE0ELb1ELb1ES3_N6thrust23THRUST_200600_302600_NS6detail15normal_iteratorINS9_10device_ptrIxEEEESE_xNS9_4plusIxEExEEDaPvRmT3_T4_T5_mT6_P12ihipStream_tbENKUlT_T0_E_clISt17integral_constantIbLb0EESU_EEDaSP_SQ_EUlSP_E0_NS1_11comp_targetILNS1_3genE0ELNS1_11target_archE4294967295ELNS1_3gpuE0ELNS1_3repE0EEENS1_30default_config_static_selectorELNS0_4arch9wavefront6targetE1EEEvT1_,comdat
.Lfunc_end351:
	.size	_ZN7rocprim17ROCPRIM_400000_NS6detail17trampoline_kernelINS0_14default_configENS1_20scan_config_selectorIxEEZZNS1_9scan_implILNS1_25lookback_scan_determinismE0ELb1ELb1ES3_N6thrust23THRUST_200600_302600_NS6detail15normal_iteratorINS9_10device_ptrIxEEEESE_xNS9_4plusIxEExEEDaPvRmT3_T4_T5_mT6_P12ihipStream_tbENKUlT_T0_E_clISt17integral_constantIbLb0EESU_EEDaSP_SQ_EUlSP_E0_NS1_11comp_targetILNS1_3genE0ELNS1_11target_archE4294967295ELNS1_3gpuE0ELNS1_3repE0EEENS1_30default_config_static_selectorELNS0_4arch9wavefront6targetE1EEEvT1_, .Lfunc_end351-_ZN7rocprim17ROCPRIM_400000_NS6detail17trampoline_kernelINS0_14default_configENS1_20scan_config_selectorIxEEZZNS1_9scan_implILNS1_25lookback_scan_determinismE0ELb1ELb1ES3_N6thrust23THRUST_200600_302600_NS6detail15normal_iteratorINS9_10device_ptrIxEEEESE_xNS9_4plusIxEExEEDaPvRmT3_T4_T5_mT6_P12ihipStream_tbENKUlT_T0_E_clISt17integral_constantIbLb0EESU_EEDaSP_SQ_EUlSP_E0_NS1_11comp_targetILNS1_3genE0ELNS1_11target_archE4294967295ELNS1_3gpuE0ELNS1_3repE0EEENS1_30default_config_static_selectorELNS0_4arch9wavefront6targetE1EEEvT1_
                                        ; -- End function
	.section	.AMDGPU.csdata,"",@progbits
; Kernel info:
; codeLenInByte = 0
; NumSgprs: 4
; NumVgprs: 0
; NumAgprs: 0
; TotalNumVgprs: 0
; ScratchSize: 0
; MemoryBound: 0
; FloatMode: 240
; IeeeMode: 1
; LDSByteSize: 0 bytes/workgroup (compile time only)
; SGPRBlocks: 0
; VGPRBlocks: 0
; NumSGPRsForWavesPerEU: 4
; NumVGPRsForWavesPerEU: 1
; AccumOffset: 4
; Occupancy: 8
; WaveLimiterHint : 0
; COMPUTE_PGM_RSRC2:SCRATCH_EN: 0
; COMPUTE_PGM_RSRC2:USER_SGPR: 6
; COMPUTE_PGM_RSRC2:TRAP_HANDLER: 0
; COMPUTE_PGM_RSRC2:TGID_X_EN: 1
; COMPUTE_PGM_RSRC2:TGID_Y_EN: 0
; COMPUTE_PGM_RSRC2:TGID_Z_EN: 0
; COMPUTE_PGM_RSRC2:TIDIG_COMP_CNT: 0
; COMPUTE_PGM_RSRC3_GFX90A:ACCUM_OFFSET: 0
; COMPUTE_PGM_RSRC3_GFX90A:TG_SPLIT: 0
	.section	.text._ZN7rocprim17ROCPRIM_400000_NS6detail17trampoline_kernelINS0_14default_configENS1_20scan_config_selectorIxEEZZNS1_9scan_implILNS1_25lookback_scan_determinismE0ELb1ELb1ES3_N6thrust23THRUST_200600_302600_NS6detail15normal_iteratorINS9_10device_ptrIxEEEESE_xNS9_4plusIxEExEEDaPvRmT3_T4_T5_mT6_P12ihipStream_tbENKUlT_T0_E_clISt17integral_constantIbLb0EESU_EEDaSP_SQ_EUlSP_E0_NS1_11comp_targetILNS1_3genE5ELNS1_11target_archE942ELNS1_3gpuE9ELNS1_3repE0EEENS1_30default_config_static_selectorELNS0_4arch9wavefront6targetE1EEEvT1_,"axG",@progbits,_ZN7rocprim17ROCPRIM_400000_NS6detail17trampoline_kernelINS0_14default_configENS1_20scan_config_selectorIxEEZZNS1_9scan_implILNS1_25lookback_scan_determinismE0ELb1ELb1ES3_N6thrust23THRUST_200600_302600_NS6detail15normal_iteratorINS9_10device_ptrIxEEEESE_xNS9_4plusIxEExEEDaPvRmT3_T4_T5_mT6_P12ihipStream_tbENKUlT_T0_E_clISt17integral_constantIbLb0EESU_EEDaSP_SQ_EUlSP_E0_NS1_11comp_targetILNS1_3genE5ELNS1_11target_archE942ELNS1_3gpuE9ELNS1_3repE0EEENS1_30default_config_static_selectorELNS0_4arch9wavefront6targetE1EEEvT1_,comdat
	.protected	_ZN7rocprim17ROCPRIM_400000_NS6detail17trampoline_kernelINS0_14default_configENS1_20scan_config_selectorIxEEZZNS1_9scan_implILNS1_25lookback_scan_determinismE0ELb1ELb1ES3_N6thrust23THRUST_200600_302600_NS6detail15normal_iteratorINS9_10device_ptrIxEEEESE_xNS9_4plusIxEExEEDaPvRmT3_T4_T5_mT6_P12ihipStream_tbENKUlT_T0_E_clISt17integral_constantIbLb0EESU_EEDaSP_SQ_EUlSP_E0_NS1_11comp_targetILNS1_3genE5ELNS1_11target_archE942ELNS1_3gpuE9ELNS1_3repE0EEENS1_30default_config_static_selectorELNS0_4arch9wavefront6targetE1EEEvT1_ ; -- Begin function _ZN7rocprim17ROCPRIM_400000_NS6detail17trampoline_kernelINS0_14default_configENS1_20scan_config_selectorIxEEZZNS1_9scan_implILNS1_25lookback_scan_determinismE0ELb1ELb1ES3_N6thrust23THRUST_200600_302600_NS6detail15normal_iteratorINS9_10device_ptrIxEEEESE_xNS9_4plusIxEExEEDaPvRmT3_T4_T5_mT6_P12ihipStream_tbENKUlT_T0_E_clISt17integral_constantIbLb0EESU_EEDaSP_SQ_EUlSP_E0_NS1_11comp_targetILNS1_3genE5ELNS1_11target_archE942ELNS1_3gpuE9ELNS1_3repE0EEENS1_30default_config_static_selectorELNS0_4arch9wavefront6targetE1EEEvT1_
	.globl	_ZN7rocprim17ROCPRIM_400000_NS6detail17trampoline_kernelINS0_14default_configENS1_20scan_config_selectorIxEEZZNS1_9scan_implILNS1_25lookback_scan_determinismE0ELb1ELb1ES3_N6thrust23THRUST_200600_302600_NS6detail15normal_iteratorINS9_10device_ptrIxEEEESE_xNS9_4plusIxEExEEDaPvRmT3_T4_T5_mT6_P12ihipStream_tbENKUlT_T0_E_clISt17integral_constantIbLb0EESU_EEDaSP_SQ_EUlSP_E0_NS1_11comp_targetILNS1_3genE5ELNS1_11target_archE942ELNS1_3gpuE9ELNS1_3repE0EEENS1_30default_config_static_selectorELNS0_4arch9wavefront6targetE1EEEvT1_
	.p2align	8
	.type	_ZN7rocprim17ROCPRIM_400000_NS6detail17trampoline_kernelINS0_14default_configENS1_20scan_config_selectorIxEEZZNS1_9scan_implILNS1_25lookback_scan_determinismE0ELb1ELb1ES3_N6thrust23THRUST_200600_302600_NS6detail15normal_iteratorINS9_10device_ptrIxEEEESE_xNS9_4plusIxEExEEDaPvRmT3_T4_T5_mT6_P12ihipStream_tbENKUlT_T0_E_clISt17integral_constantIbLb0EESU_EEDaSP_SQ_EUlSP_E0_NS1_11comp_targetILNS1_3genE5ELNS1_11target_archE942ELNS1_3gpuE9ELNS1_3repE0EEENS1_30default_config_static_selectorELNS0_4arch9wavefront6targetE1EEEvT1_,@function
_ZN7rocprim17ROCPRIM_400000_NS6detail17trampoline_kernelINS0_14default_configENS1_20scan_config_selectorIxEEZZNS1_9scan_implILNS1_25lookback_scan_determinismE0ELb1ELb1ES3_N6thrust23THRUST_200600_302600_NS6detail15normal_iteratorINS9_10device_ptrIxEEEESE_xNS9_4plusIxEExEEDaPvRmT3_T4_T5_mT6_P12ihipStream_tbENKUlT_T0_E_clISt17integral_constantIbLb0EESU_EEDaSP_SQ_EUlSP_E0_NS1_11comp_targetILNS1_3genE5ELNS1_11target_archE942ELNS1_3gpuE9ELNS1_3repE0EEENS1_30default_config_static_selectorELNS0_4arch9wavefront6targetE1EEEvT1_: ; @_ZN7rocprim17ROCPRIM_400000_NS6detail17trampoline_kernelINS0_14default_configENS1_20scan_config_selectorIxEEZZNS1_9scan_implILNS1_25lookback_scan_determinismE0ELb1ELb1ES3_N6thrust23THRUST_200600_302600_NS6detail15normal_iteratorINS9_10device_ptrIxEEEESE_xNS9_4plusIxEExEEDaPvRmT3_T4_T5_mT6_P12ihipStream_tbENKUlT_T0_E_clISt17integral_constantIbLb0EESU_EEDaSP_SQ_EUlSP_E0_NS1_11comp_targetILNS1_3genE5ELNS1_11target_archE942ELNS1_3gpuE9ELNS1_3repE0EEENS1_30default_config_static_selectorELNS0_4arch9wavefront6targetE1EEEvT1_
; %bb.0:
	.section	.rodata,"a",@progbits
	.p2align	6, 0x0
	.amdhsa_kernel _ZN7rocprim17ROCPRIM_400000_NS6detail17trampoline_kernelINS0_14default_configENS1_20scan_config_selectorIxEEZZNS1_9scan_implILNS1_25lookback_scan_determinismE0ELb1ELb1ES3_N6thrust23THRUST_200600_302600_NS6detail15normal_iteratorINS9_10device_ptrIxEEEESE_xNS9_4plusIxEExEEDaPvRmT3_T4_T5_mT6_P12ihipStream_tbENKUlT_T0_E_clISt17integral_constantIbLb0EESU_EEDaSP_SQ_EUlSP_E0_NS1_11comp_targetILNS1_3genE5ELNS1_11target_archE942ELNS1_3gpuE9ELNS1_3repE0EEENS1_30default_config_static_selectorELNS0_4arch9wavefront6targetE1EEEvT1_
		.amdhsa_group_segment_fixed_size 0
		.amdhsa_private_segment_fixed_size 0
		.amdhsa_kernarg_size 40
		.amdhsa_user_sgpr_count 6
		.amdhsa_user_sgpr_private_segment_buffer 1
		.amdhsa_user_sgpr_dispatch_ptr 0
		.amdhsa_user_sgpr_queue_ptr 0
		.amdhsa_user_sgpr_kernarg_segment_ptr 1
		.amdhsa_user_sgpr_dispatch_id 0
		.amdhsa_user_sgpr_flat_scratch_init 0
		.amdhsa_user_sgpr_kernarg_preload_length 0
		.amdhsa_user_sgpr_kernarg_preload_offset 0
		.amdhsa_user_sgpr_private_segment_size 0
		.amdhsa_uses_dynamic_stack 0
		.amdhsa_system_sgpr_private_segment_wavefront_offset 0
		.amdhsa_system_sgpr_workgroup_id_x 1
		.amdhsa_system_sgpr_workgroup_id_y 0
		.amdhsa_system_sgpr_workgroup_id_z 0
		.amdhsa_system_sgpr_workgroup_info 0
		.amdhsa_system_vgpr_workitem_id 0
		.amdhsa_next_free_vgpr 1
		.amdhsa_next_free_sgpr 0
		.amdhsa_accum_offset 4
		.amdhsa_reserve_vcc 0
		.amdhsa_reserve_flat_scratch 0
		.amdhsa_float_round_mode_32 0
		.amdhsa_float_round_mode_16_64 0
		.amdhsa_float_denorm_mode_32 3
		.amdhsa_float_denorm_mode_16_64 3
		.amdhsa_dx10_clamp 1
		.amdhsa_ieee_mode 1
		.amdhsa_fp16_overflow 0
		.amdhsa_tg_split 0
		.amdhsa_exception_fp_ieee_invalid_op 0
		.amdhsa_exception_fp_denorm_src 0
		.amdhsa_exception_fp_ieee_div_zero 0
		.amdhsa_exception_fp_ieee_overflow 0
		.amdhsa_exception_fp_ieee_underflow 0
		.amdhsa_exception_fp_ieee_inexact 0
		.amdhsa_exception_int_div_zero 0
	.end_amdhsa_kernel
	.section	.text._ZN7rocprim17ROCPRIM_400000_NS6detail17trampoline_kernelINS0_14default_configENS1_20scan_config_selectorIxEEZZNS1_9scan_implILNS1_25lookback_scan_determinismE0ELb1ELb1ES3_N6thrust23THRUST_200600_302600_NS6detail15normal_iteratorINS9_10device_ptrIxEEEESE_xNS9_4plusIxEExEEDaPvRmT3_T4_T5_mT6_P12ihipStream_tbENKUlT_T0_E_clISt17integral_constantIbLb0EESU_EEDaSP_SQ_EUlSP_E0_NS1_11comp_targetILNS1_3genE5ELNS1_11target_archE942ELNS1_3gpuE9ELNS1_3repE0EEENS1_30default_config_static_selectorELNS0_4arch9wavefront6targetE1EEEvT1_,"axG",@progbits,_ZN7rocprim17ROCPRIM_400000_NS6detail17trampoline_kernelINS0_14default_configENS1_20scan_config_selectorIxEEZZNS1_9scan_implILNS1_25lookback_scan_determinismE0ELb1ELb1ES3_N6thrust23THRUST_200600_302600_NS6detail15normal_iteratorINS9_10device_ptrIxEEEESE_xNS9_4plusIxEExEEDaPvRmT3_T4_T5_mT6_P12ihipStream_tbENKUlT_T0_E_clISt17integral_constantIbLb0EESU_EEDaSP_SQ_EUlSP_E0_NS1_11comp_targetILNS1_3genE5ELNS1_11target_archE942ELNS1_3gpuE9ELNS1_3repE0EEENS1_30default_config_static_selectorELNS0_4arch9wavefront6targetE1EEEvT1_,comdat
.Lfunc_end352:
	.size	_ZN7rocprim17ROCPRIM_400000_NS6detail17trampoline_kernelINS0_14default_configENS1_20scan_config_selectorIxEEZZNS1_9scan_implILNS1_25lookback_scan_determinismE0ELb1ELb1ES3_N6thrust23THRUST_200600_302600_NS6detail15normal_iteratorINS9_10device_ptrIxEEEESE_xNS9_4plusIxEExEEDaPvRmT3_T4_T5_mT6_P12ihipStream_tbENKUlT_T0_E_clISt17integral_constantIbLb0EESU_EEDaSP_SQ_EUlSP_E0_NS1_11comp_targetILNS1_3genE5ELNS1_11target_archE942ELNS1_3gpuE9ELNS1_3repE0EEENS1_30default_config_static_selectorELNS0_4arch9wavefront6targetE1EEEvT1_, .Lfunc_end352-_ZN7rocprim17ROCPRIM_400000_NS6detail17trampoline_kernelINS0_14default_configENS1_20scan_config_selectorIxEEZZNS1_9scan_implILNS1_25lookback_scan_determinismE0ELb1ELb1ES3_N6thrust23THRUST_200600_302600_NS6detail15normal_iteratorINS9_10device_ptrIxEEEESE_xNS9_4plusIxEExEEDaPvRmT3_T4_T5_mT6_P12ihipStream_tbENKUlT_T0_E_clISt17integral_constantIbLb0EESU_EEDaSP_SQ_EUlSP_E0_NS1_11comp_targetILNS1_3genE5ELNS1_11target_archE942ELNS1_3gpuE9ELNS1_3repE0EEENS1_30default_config_static_selectorELNS0_4arch9wavefront6targetE1EEEvT1_
                                        ; -- End function
	.section	.AMDGPU.csdata,"",@progbits
; Kernel info:
; codeLenInByte = 0
; NumSgprs: 4
; NumVgprs: 0
; NumAgprs: 0
; TotalNumVgprs: 0
; ScratchSize: 0
; MemoryBound: 0
; FloatMode: 240
; IeeeMode: 1
; LDSByteSize: 0 bytes/workgroup (compile time only)
; SGPRBlocks: 0
; VGPRBlocks: 0
; NumSGPRsForWavesPerEU: 4
; NumVGPRsForWavesPerEU: 1
; AccumOffset: 4
; Occupancy: 8
; WaveLimiterHint : 0
; COMPUTE_PGM_RSRC2:SCRATCH_EN: 0
; COMPUTE_PGM_RSRC2:USER_SGPR: 6
; COMPUTE_PGM_RSRC2:TRAP_HANDLER: 0
; COMPUTE_PGM_RSRC2:TGID_X_EN: 1
; COMPUTE_PGM_RSRC2:TGID_Y_EN: 0
; COMPUTE_PGM_RSRC2:TGID_Z_EN: 0
; COMPUTE_PGM_RSRC2:TIDIG_COMP_CNT: 0
; COMPUTE_PGM_RSRC3_GFX90A:ACCUM_OFFSET: 0
; COMPUTE_PGM_RSRC3_GFX90A:TG_SPLIT: 0
	.section	.text._ZN7rocprim17ROCPRIM_400000_NS6detail17trampoline_kernelINS0_14default_configENS1_20scan_config_selectorIxEEZZNS1_9scan_implILNS1_25lookback_scan_determinismE0ELb1ELb1ES3_N6thrust23THRUST_200600_302600_NS6detail15normal_iteratorINS9_10device_ptrIxEEEESE_xNS9_4plusIxEExEEDaPvRmT3_T4_T5_mT6_P12ihipStream_tbENKUlT_T0_E_clISt17integral_constantIbLb0EESU_EEDaSP_SQ_EUlSP_E0_NS1_11comp_targetILNS1_3genE4ELNS1_11target_archE910ELNS1_3gpuE8ELNS1_3repE0EEENS1_30default_config_static_selectorELNS0_4arch9wavefront6targetE1EEEvT1_,"axG",@progbits,_ZN7rocprim17ROCPRIM_400000_NS6detail17trampoline_kernelINS0_14default_configENS1_20scan_config_selectorIxEEZZNS1_9scan_implILNS1_25lookback_scan_determinismE0ELb1ELb1ES3_N6thrust23THRUST_200600_302600_NS6detail15normal_iteratorINS9_10device_ptrIxEEEESE_xNS9_4plusIxEExEEDaPvRmT3_T4_T5_mT6_P12ihipStream_tbENKUlT_T0_E_clISt17integral_constantIbLb0EESU_EEDaSP_SQ_EUlSP_E0_NS1_11comp_targetILNS1_3genE4ELNS1_11target_archE910ELNS1_3gpuE8ELNS1_3repE0EEENS1_30default_config_static_selectorELNS0_4arch9wavefront6targetE1EEEvT1_,comdat
	.protected	_ZN7rocprim17ROCPRIM_400000_NS6detail17trampoline_kernelINS0_14default_configENS1_20scan_config_selectorIxEEZZNS1_9scan_implILNS1_25lookback_scan_determinismE0ELb1ELb1ES3_N6thrust23THRUST_200600_302600_NS6detail15normal_iteratorINS9_10device_ptrIxEEEESE_xNS9_4plusIxEExEEDaPvRmT3_T4_T5_mT6_P12ihipStream_tbENKUlT_T0_E_clISt17integral_constantIbLb0EESU_EEDaSP_SQ_EUlSP_E0_NS1_11comp_targetILNS1_3genE4ELNS1_11target_archE910ELNS1_3gpuE8ELNS1_3repE0EEENS1_30default_config_static_selectorELNS0_4arch9wavefront6targetE1EEEvT1_ ; -- Begin function _ZN7rocprim17ROCPRIM_400000_NS6detail17trampoline_kernelINS0_14default_configENS1_20scan_config_selectorIxEEZZNS1_9scan_implILNS1_25lookback_scan_determinismE0ELb1ELb1ES3_N6thrust23THRUST_200600_302600_NS6detail15normal_iteratorINS9_10device_ptrIxEEEESE_xNS9_4plusIxEExEEDaPvRmT3_T4_T5_mT6_P12ihipStream_tbENKUlT_T0_E_clISt17integral_constantIbLb0EESU_EEDaSP_SQ_EUlSP_E0_NS1_11comp_targetILNS1_3genE4ELNS1_11target_archE910ELNS1_3gpuE8ELNS1_3repE0EEENS1_30default_config_static_selectorELNS0_4arch9wavefront6targetE1EEEvT1_
	.globl	_ZN7rocprim17ROCPRIM_400000_NS6detail17trampoline_kernelINS0_14default_configENS1_20scan_config_selectorIxEEZZNS1_9scan_implILNS1_25lookback_scan_determinismE0ELb1ELb1ES3_N6thrust23THRUST_200600_302600_NS6detail15normal_iteratorINS9_10device_ptrIxEEEESE_xNS9_4plusIxEExEEDaPvRmT3_T4_T5_mT6_P12ihipStream_tbENKUlT_T0_E_clISt17integral_constantIbLb0EESU_EEDaSP_SQ_EUlSP_E0_NS1_11comp_targetILNS1_3genE4ELNS1_11target_archE910ELNS1_3gpuE8ELNS1_3repE0EEENS1_30default_config_static_selectorELNS0_4arch9wavefront6targetE1EEEvT1_
	.p2align	8
	.type	_ZN7rocprim17ROCPRIM_400000_NS6detail17trampoline_kernelINS0_14default_configENS1_20scan_config_selectorIxEEZZNS1_9scan_implILNS1_25lookback_scan_determinismE0ELb1ELb1ES3_N6thrust23THRUST_200600_302600_NS6detail15normal_iteratorINS9_10device_ptrIxEEEESE_xNS9_4plusIxEExEEDaPvRmT3_T4_T5_mT6_P12ihipStream_tbENKUlT_T0_E_clISt17integral_constantIbLb0EESU_EEDaSP_SQ_EUlSP_E0_NS1_11comp_targetILNS1_3genE4ELNS1_11target_archE910ELNS1_3gpuE8ELNS1_3repE0EEENS1_30default_config_static_selectorELNS0_4arch9wavefront6targetE1EEEvT1_,@function
_ZN7rocprim17ROCPRIM_400000_NS6detail17trampoline_kernelINS0_14default_configENS1_20scan_config_selectorIxEEZZNS1_9scan_implILNS1_25lookback_scan_determinismE0ELb1ELb1ES3_N6thrust23THRUST_200600_302600_NS6detail15normal_iteratorINS9_10device_ptrIxEEEESE_xNS9_4plusIxEExEEDaPvRmT3_T4_T5_mT6_P12ihipStream_tbENKUlT_T0_E_clISt17integral_constantIbLb0EESU_EEDaSP_SQ_EUlSP_E0_NS1_11comp_targetILNS1_3genE4ELNS1_11target_archE910ELNS1_3gpuE8ELNS1_3repE0EEENS1_30default_config_static_selectorELNS0_4arch9wavefront6targetE1EEEvT1_: ; @_ZN7rocprim17ROCPRIM_400000_NS6detail17trampoline_kernelINS0_14default_configENS1_20scan_config_selectorIxEEZZNS1_9scan_implILNS1_25lookback_scan_determinismE0ELb1ELb1ES3_N6thrust23THRUST_200600_302600_NS6detail15normal_iteratorINS9_10device_ptrIxEEEESE_xNS9_4plusIxEExEEDaPvRmT3_T4_T5_mT6_P12ihipStream_tbENKUlT_T0_E_clISt17integral_constantIbLb0EESU_EEDaSP_SQ_EUlSP_E0_NS1_11comp_targetILNS1_3genE4ELNS1_11target_archE910ELNS1_3gpuE8ELNS1_3repE0EEENS1_30default_config_static_selectorELNS0_4arch9wavefront6targetE1EEEvT1_
; %bb.0:
	s_load_dwordx4 s[16:19], s[4:5], 0x0
	v_lshlrev_b32_e32 v20, 3, v0
	s_waitcnt lgkmcnt(0)
	s_load_dwordx2 s[14:15], s[16:17], 0x0
	v_cmp_gt_u32_e32 vcc, s18, v0
	s_waitcnt lgkmcnt(0)
	v_pk_mov_b32 v[2:3], s[14:15], s[14:15] op_sel:[0,1]
	s_and_saveexec_b64 s[0:1], vcc
	s_cbranch_execz .LBB353_2
; %bb.1:
	global_load_dwordx2 v[2:3], v20, s[16:17]
.LBB353_2:
	s_or_b64 exec, exec, s[0:1]
	v_or_b32_e32 v1, 0x80, v0
	v_cmp_gt_u32_e64 s[0:1], s18, v1
	v_pk_mov_b32 v[4:5], s[14:15], s[14:15] op_sel:[0,1]
	s_and_saveexec_b64 s[2:3], s[0:1]
	s_cbranch_execz .LBB353_4
; %bb.3:
	global_load_dwordx2 v[4:5], v20, s[16:17] offset:1024
.LBB353_4:
	s_or_b64 exec, exec, s[2:3]
	v_or_b32_e32 v1, 0x100, v0
	v_cmp_gt_u32_e64 s[2:3], s18, v1
	v_pk_mov_b32 v[6:7], s[14:15], s[14:15] op_sel:[0,1]
	s_and_saveexec_b64 s[6:7], s[2:3]
	s_cbranch_execz .LBB353_6
; %bb.5:
	global_load_dwordx2 v[6:7], v20, s[16:17] offset:2048
.LBB353_6:
	;; [unrolled: 9-line block ×3, first 2 shown]
	s_or_b64 exec, exec, s[6:7]
	v_or_b32_e32 v1, 0x200, v0
	v_cmp_gt_u32_e64 s[6:7], s18, v1
	v_pk_mov_b32 v[10:11], s[14:15], s[14:15] op_sel:[0,1]
	s_and_saveexec_b64 s[8:9], s[6:7]
	s_cbranch_execz .LBB353_10
; %bb.9:
	v_lshlrev_b32_e32 v1, 3, v1
	global_load_dwordx2 v[10:11], v1, s[16:17]
.LBB353_10:
	s_or_b64 exec, exec, s[8:9]
	v_or_b32_e32 v1, 0x280, v0
	v_cmp_gt_u32_e64 s[8:9], s18, v1
	v_pk_mov_b32 v[12:13], s[14:15], s[14:15] op_sel:[0,1]
	s_and_saveexec_b64 s[10:11], s[8:9]
	s_cbranch_execz .LBB353_12
; %bb.11:
	v_lshlrev_b32_e32 v1, 3, v1
	global_load_dwordx2 v[12:13], v1, s[16:17]
.LBB353_12:
	s_or_b64 exec, exec, s[10:11]
	s_load_dwordx2 s[20:21], s[4:5], 0x10
	v_or_b32_e32 v1, 0x300, v0
	v_cmp_gt_u32_e64 s[10:11], s18, v1
	v_pk_mov_b32 v[14:15], s[14:15], s[14:15] op_sel:[0,1]
	s_and_saveexec_b64 s[14:15], s[10:11]
	s_cbranch_execz .LBB353_14
; %bb.13:
	v_lshlrev_b32_e32 v1, 3, v1
	global_load_dwordx2 v[14:15], v1, s[16:17]
.LBB353_14:
	s_or_b64 exec, exec, s[14:15]
	v_mad_u32_u24 v1, v0, 48, v20
	s_waitcnt vmcnt(0)
	ds_write2st64_b64 v20, v[2:3], v[4:5] offset1:2
	ds_write2st64_b64 v20, v[6:7], v[8:9] offset0:4 offset1:6
	ds_write2st64_b64 v20, v[10:11], v[12:13] offset0:8 offset1:10
	ds_write_b64 v20, v[14:15] offset:6144
	s_waitcnt lgkmcnt(0)
	s_barrier
	ds_read2_b64 v[2:5], v1 offset1:1
	ds_read2_b64 v[6:9], v1 offset0:2 offset1:3
	ds_read2_b64 v[10:13], v1 offset0:4 offset1:5
	ds_read_b64 v[14:15], v1 offset:48
	s_load_dwordx2 s[16:17], s[4:5], 0x20
	s_waitcnt lgkmcnt(0)
	v_add_co_u32_e64 v1, s[4:5], v4, v2
	v_addc_co_u32_e64 v16, s[4:5], v5, v3, s[4:5]
	v_add_co_u32_e64 v1, s[4:5], v1, v6
	v_addc_co_u32_e64 v16, s[4:5], v16, v7, s[4:5]
	;; [unrolled: 2-line block ×5, first 2 shown]
	v_add_co_u32_e64 v18, s[4:5], v1, v14
	v_lshrrev_b32_e32 v1, 2, v0
	v_addc_co_u32_e64 v19, s[4:5], v16, v15, s[4:5]
	v_and_b32_e32 v1, 24, v1
	v_add_u32_e32 v1, v20, v1
	v_cmp_gt_u32_e64 s[4:5], 64, v0
	s_barrier
	ds_write_b64 v1, v[18:19]
	s_waitcnt lgkmcnt(0)
	s_barrier
	s_and_saveexec_b64 s[18:19], s[4:5]
	s_cbranch_execz .LBB353_18
; %bb.15:
	v_lshlrev_b32_e32 v1, 1, v0
	v_lshrrev_b32_e32 v14, 4, v0
	v_add_lshl_u32 v21, v14, v1, 3
	ds_read2_b64 v[14:17], v21 offset1:1
	v_mbcnt_lo_u32_b32 v1, -1, 0
	s_waitcnt lgkmcnt(0)
	v_add_co_u32_e64 v22, s[4:5], v16, v14
	v_addc_co_u32_e64 v23, s[4:5], v17, v15, s[4:5]
	s_nop 0
	v_mov_b32_dpp v16, v22 row_shr:1 row_mask:0xf bank_mask:0xf
	v_add_co_u32_e64 v16, s[4:5], v22, v16
	v_addc_co_u32_e64 v25, s[4:5], 0, v23, s[4:5]
	v_mbcnt_hi_u32_b32 v17, -1, v1
	v_mov_b32_dpp v24, v23 row_shr:1 row_mask:0xf bank_mask:0xf
	v_add_co_u32_e64 v26, s[4:5], 0, v16
	v_and_b32_e32 v1, 15, v17
	v_addc_co_u32_e64 v24, s[4:5], v24, v25, s[4:5]
	v_cmp_eq_u32_e64 s[4:5], 0, v1
	v_cndmask_b32_e64 v16, v16, v22, s[4:5]
	v_cndmask_b32_e64 v24, v24, v23, s[4:5]
	v_cndmask_b32_e64 v25, v26, v22, s[4:5]
	v_mov_b32_dpp v26, v16 row_shr:2 row_mask:0xf bank_mask:0xf
	v_mov_b32_dpp v27, v24 row_shr:2 row_mask:0xf bank_mask:0xf
	v_add_co_u32_e64 v26, s[4:5], v26, v25
	v_addc_co_u32_e64 v27, s[4:5], v27, v24, s[4:5]
	v_cmp_lt_u32_e64 s[4:5], 1, v1
	v_cndmask_b32_e64 v16, v16, v26, s[4:5]
	v_cndmask_b32_e64 v24, v24, v27, s[4:5]
	v_cndmask_b32_e64 v25, v25, v26, s[4:5]
	v_mov_b32_dpp v26, v16 row_shr:4 row_mask:0xf bank_mask:0xf
	v_mov_b32_dpp v27, v24 row_shr:4 row_mask:0xf bank_mask:0xf
	v_add_co_u32_e64 v26, s[4:5], v26, v25
	v_addc_co_u32_e64 v27, s[4:5], v27, v24, s[4:5]
	v_cmp_lt_u32_e64 s[4:5], 3, v1
	;; [unrolled: 8-line block ×3, first 2 shown]
	v_cndmask_b32_e64 v28, v16, v26, s[4:5]
	v_cndmask_b32_e64 v1, v24, v27, s[4:5]
	;; [unrolled: 1-line block ×3, first 2 shown]
	v_mov_b32_dpp v24, v28 row_bcast:15 row_mask:0xf bank_mask:0xf
	v_mov_b32_dpp v25, v1 row_bcast:15 row_mask:0xf bank_mask:0xf
	v_add_co_u32_e64 v24, s[4:5], v24, v16
	v_and_b32_e32 v27, 16, v17
	v_addc_co_u32_e64 v26, s[4:5], v25, v1, s[4:5]
	v_cmp_eq_u32_e64 s[4:5], 0, v27
	v_cndmask_b32_e64 v27, v26, v1, s[4:5]
	v_cndmask_b32_e64 v25, v24, v28, s[4:5]
	v_cmp_ne_u32_e64 s[14:15], 0, v17
	v_mov_b32_dpp v27, v27 row_bcast:31 row_mask:0xf bank_mask:0xf
	v_mov_b32_dpp v25, v25 row_bcast:31 row_mask:0xf bank_mask:0xf
	s_and_saveexec_b64 s[22:23], s[14:15]
; %bb.16:
	v_cndmask_b32_e64 v1, v26, v1, s[4:5]
	v_cndmask_b32_e64 v16, v24, v16, s[4:5]
	v_cmp_lt_u32_e64 s[4:5], 31, v17
	v_cndmask_b32_e64 v22, 0, v25, s[4:5]
	v_cndmask_b32_e64 v23, 0, v27, s[4:5]
	v_add_co_u32_e64 v22, s[4:5], v22, v16
	v_addc_co_u32_e64 v23, s[4:5], v23, v1, s[4:5]
; %bb.17:
	s_or_b64 exec, exec, s[22:23]
	v_add_u32_e32 v1, -1, v17
	v_and_b32_e32 v16, 64, v17
	v_cmp_lt_i32_e64 s[4:5], v1, v16
	v_cndmask_b32_e64 v1, v1, v17, s[4:5]
	v_lshlrev_b32_e32 v1, 2, v1
	ds_bpermute_b32 v16, v1, v22
	ds_bpermute_b32 v1, v1, v23
	; wave barrier
	s_waitcnt lgkmcnt(1)
	v_add_co_u32_e64 v14, s[4:5], v14, v16
	v_addc_co_u32_e64 v15, s[4:5], 0, v15, s[4:5]
	v_add_co_u32_e64 v14, s[4:5], 0, v14
	s_waitcnt lgkmcnt(0)
	v_addc_co_u32_e64 v1, s[4:5], v15, v1, s[4:5]
	v_cmp_eq_u32_e64 s[4:5], 0, v0
	v_cndmask_b32_e64 v15, v1, v19, s[4:5]
	v_cndmask_b32_e64 v14, v14, v18, s[4:5]
	ds_write_b64 v21, v[14:15]
	; wave barrier
	ds_read_b64 v[16:17], v21 offset:8
	s_waitcnt lgkmcnt(0)
	v_add_co_u32_e64 v14, s[4:5], v16, v14
	v_addc_co_u32_e64 v15, s[4:5], v17, v15, s[4:5]
	ds_write_b64 v21, v[14:15] offset:8
.LBB353_18:
	s_or_b64 exec, exec, s[18:19]
	v_mul_u32_u24_e32 v1, 48, v0
	v_cmp_ne_u32_e64 s[4:5], 0, v0
	v_pk_mov_b32 v[14:15], s[20:21], s[20:21] op_sel:[0,1]
	s_waitcnt lgkmcnt(0)
	s_barrier
	s_and_saveexec_b64 s[14:15], s[4:5]
	s_cbranch_execz .LBB353_20
; %bb.19:
	v_add_u32_e32 v0, -1, v0
	v_lshrrev_b32_e32 v14, 5, v0
	v_add_lshl_u32 v0, v14, v0, 3
	ds_read_b64 v[14:15], v0
	v_mov_b32_e32 v0, s21
	s_waitcnt lgkmcnt(0)
	v_add_co_u32_e64 v14, s[4:5], s20, v14
	v_addc_co_u32_e64 v15, s[4:5], v15, v0, s[4:5]
.LBB353_20:
	s_or_b64 exec, exec, s[14:15]
	v_add_co_u32_e64 v2, s[4:5], v14, v2
	v_addc_co_u32_e64 v3, s[4:5], v15, v3, s[4:5]
	v_add_co_u32_e64 v4, s[4:5], v2, v4
	v_addc_co_u32_e64 v5, s[4:5], v3, v5, s[4:5]
	;; [unrolled: 2-line block ×5, first 2 shown]
	v_add_co_u32_e64 v12, s[4:5], v10, v12
	v_add_u32_e32 v0, v20, v1
	v_addc_co_u32_e64 v13, s[4:5], v11, v13, s[4:5]
	s_barrier
	ds_write2_b64 v0, v[14:15], v[2:3] offset1:1
	ds_write2_b64 v0, v[4:5], v[6:7] offset0:2 offset1:3
	ds_write2_b64 v0, v[8:9], v[10:11] offset0:4 offset1:5
	ds_write_b64 v0, v[12:13] offset:48
	s_waitcnt lgkmcnt(0)
	s_barrier
	ds_read2st64_b64 v[8:11], v20 offset0:2 offset1:4
	ds_read2st64_b64 v[4:7], v20 offset0:6 offset1:8
	ds_read2st64_b64 v[0:3], v20 offset0:10 offset1:12
	v_mov_b32_e32 v13, s17
	v_add_co_u32_e64 v12, s[4:5], s16, v20
	v_addc_co_u32_e64 v13, s[4:5], 0, v13, s[4:5]
	s_and_saveexec_b64 s[4:5], vcc
	s_cbranch_execnz .LBB353_28
; %bb.21:
	s_or_b64 exec, exec, s[4:5]
	s_and_saveexec_b64 s[4:5], s[0:1]
	s_cbranch_execnz .LBB353_29
.LBB353_22:
	s_or_b64 exec, exec, s[4:5]
	s_and_saveexec_b64 s[0:1], s[2:3]
	s_cbranch_execnz .LBB353_30
.LBB353_23:
	s_or_b64 exec, exec, s[0:1]
	s_and_saveexec_b64 s[0:1], s[12:13]
	s_cbranch_execnz .LBB353_31
.LBB353_24:
	s_or_b64 exec, exec, s[0:1]
	s_and_saveexec_b64 s[0:1], s[6:7]
	s_cbranch_execnz .LBB353_32
.LBB353_25:
	s_or_b64 exec, exec, s[0:1]
	s_and_saveexec_b64 s[0:1], s[8:9]
	s_cbranch_execnz .LBB353_33
.LBB353_26:
	s_or_b64 exec, exec, s[0:1]
	s_and_saveexec_b64 s[0:1], s[10:11]
	s_cbranch_execnz .LBB353_34
.LBB353_27:
	s_endpgm
.LBB353_28:
	ds_read_b64 v[14:15], v20
	s_waitcnt lgkmcnt(0)
	global_store_dwordx2 v[12:13], v[14:15], off
	s_or_b64 exec, exec, s[4:5]
	s_and_saveexec_b64 s[4:5], s[0:1]
	s_cbranch_execz .LBB353_22
.LBB353_29:
	s_waitcnt lgkmcnt(2)
	global_store_dwordx2 v[12:13], v[8:9], off offset:1024
	s_or_b64 exec, exec, s[4:5]
	s_and_saveexec_b64 s[0:1], s[2:3]
	s_cbranch_execz .LBB353_23
.LBB353_30:
	s_waitcnt lgkmcnt(2)
	global_store_dwordx2 v[12:13], v[10:11], off offset:2048
	s_or_b64 exec, exec, s[0:1]
	s_and_saveexec_b64 s[0:1], s[12:13]
	s_cbranch_execz .LBB353_24
.LBB353_31:
	s_waitcnt lgkmcnt(1)
	global_store_dwordx2 v[12:13], v[4:5], off offset:3072
	s_or_b64 exec, exec, s[0:1]
	s_and_saveexec_b64 s[0:1], s[6:7]
	s_cbranch_execz .LBB353_25
.LBB353_32:
	s_waitcnt lgkmcnt(1)
	v_add_co_u32_e32 v4, vcc, 0x1000, v12
	v_addc_co_u32_e32 v5, vcc, 0, v13, vcc
	global_store_dwordx2 v[4:5], v[6:7], off
	s_or_b64 exec, exec, s[0:1]
	s_and_saveexec_b64 s[0:1], s[8:9]
	s_cbranch_execz .LBB353_26
.LBB353_33:
	s_waitcnt lgkmcnt(1)
	v_add_co_u32_e32 v4, vcc, 0x1000, v12
	v_addc_co_u32_e32 v5, vcc, 0, v13, vcc
	s_waitcnt lgkmcnt(0)
	global_store_dwordx2 v[4:5], v[0:1], off offset:1024
	s_or_b64 exec, exec, s[0:1]
	s_and_saveexec_b64 s[0:1], s[10:11]
	s_cbranch_execz .LBB353_27
.LBB353_34:
	s_waitcnt lgkmcnt(0)
	v_add_co_u32_e32 v0, vcc, 0x1000, v12
	v_addc_co_u32_e32 v1, vcc, 0, v13, vcc
	global_store_dwordx2 v[0:1], v[2:3], off offset:2048
	s_endpgm
	.section	.rodata,"a",@progbits
	.p2align	6, 0x0
	.amdhsa_kernel _ZN7rocprim17ROCPRIM_400000_NS6detail17trampoline_kernelINS0_14default_configENS1_20scan_config_selectorIxEEZZNS1_9scan_implILNS1_25lookback_scan_determinismE0ELb1ELb1ES3_N6thrust23THRUST_200600_302600_NS6detail15normal_iteratorINS9_10device_ptrIxEEEESE_xNS9_4plusIxEExEEDaPvRmT3_T4_T5_mT6_P12ihipStream_tbENKUlT_T0_E_clISt17integral_constantIbLb0EESU_EEDaSP_SQ_EUlSP_E0_NS1_11comp_targetILNS1_3genE4ELNS1_11target_archE910ELNS1_3gpuE8ELNS1_3repE0EEENS1_30default_config_static_selectorELNS0_4arch9wavefront6targetE1EEEvT1_
		.amdhsa_group_segment_fixed_size 7168
		.amdhsa_private_segment_fixed_size 0
		.amdhsa_kernarg_size 40
		.amdhsa_user_sgpr_count 6
		.amdhsa_user_sgpr_private_segment_buffer 1
		.amdhsa_user_sgpr_dispatch_ptr 0
		.amdhsa_user_sgpr_queue_ptr 0
		.amdhsa_user_sgpr_kernarg_segment_ptr 1
		.amdhsa_user_sgpr_dispatch_id 0
		.amdhsa_user_sgpr_flat_scratch_init 0
		.amdhsa_user_sgpr_kernarg_preload_length 0
		.amdhsa_user_sgpr_kernarg_preload_offset 0
		.amdhsa_user_sgpr_private_segment_size 0
		.amdhsa_uses_dynamic_stack 0
		.amdhsa_system_sgpr_private_segment_wavefront_offset 0
		.amdhsa_system_sgpr_workgroup_id_x 1
		.amdhsa_system_sgpr_workgroup_id_y 0
		.amdhsa_system_sgpr_workgroup_id_z 0
		.amdhsa_system_sgpr_workgroup_info 0
		.amdhsa_system_vgpr_workitem_id 0
		.amdhsa_next_free_vgpr 29
		.amdhsa_next_free_sgpr 24
		.amdhsa_accum_offset 32
		.amdhsa_reserve_vcc 1
		.amdhsa_reserve_flat_scratch 0
		.amdhsa_float_round_mode_32 0
		.amdhsa_float_round_mode_16_64 0
		.amdhsa_float_denorm_mode_32 3
		.amdhsa_float_denorm_mode_16_64 3
		.amdhsa_dx10_clamp 1
		.amdhsa_ieee_mode 1
		.amdhsa_fp16_overflow 0
		.amdhsa_tg_split 0
		.amdhsa_exception_fp_ieee_invalid_op 0
		.amdhsa_exception_fp_denorm_src 0
		.amdhsa_exception_fp_ieee_div_zero 0
		.amdhsa_exception_fp_ieee_overflow 0
		.amdhsa_exception_fp_ieee_underflow 0
		.amdhsa_exception_fp_ieee_inexact 0
		.amdhsa_exception_int_div_zero 0
	.end_amdhsa_kernel
	.section	.text._ZN7rocprim17ROCPRIM_400000_NS6detail17trampoline_kernelINS0_14default_configENS1_20scan_config_selectorIxEEZZNS1_9scan_implILNS1_25lookback_scan_determinismE0ELb1ELb1ES3_N6thrust23THRUST_200600_302600_NS6detail15normal_iteratorINS9_10device_ptrIxEEEESE_xNS9_4plusIxEExEEDaPvRmT3_T4_T5_mT6_P12ihipStream_tbENKUlT_T0_E_clISt17integral_constantIbLb0EESU_EEDaSP_SQ_EUlSP_E0_NS1_11comp_targetILNS1_3genE4ELNS1_11target_archE910ELNS1_3gpuE8ELNS1_3repE0EEENS1_30default_config_static_selectorELNS0_4arch9wavefront6targetE1EEEvT1_,"axG",@progbits,_ZN7rocprim17ROCPRIM_400000_NS6detail17trampoline_kernelINS0_14default_configENS1_20scan_config_selectorIxEEZZNS1_9scan_implILNS1_25lookback_scan_determinismE0ELb1ELb1ES3_N6thrust23THRUST_200600_302600_NS6detail15normal_iteratorINS9_10device_ptrIxEEEESE_xNS9_4plusIxEExEEDaPvRmT3_T4_T5_mT6_P12ihipStream_tbENKUlT_T0_E_clISt17integral_constantIbLb0EESU_EEDaSP_SQ_EUlSP_E0_NS1_11comp_targetILNS1_3genE4ELNS1_11target_archE910ELNS1_3gpuE8ELNS1_3repE0EEENS1_30default_config_static_selectorELNS0_4arch9wavefront6targetE1EEEvT1_,comdat
.Lfunc_end353:
	.size	_ZN7rocprim17ROCPRIM_400000_NS6detail17trampoline_kernelINS0_14default_configENS1_20scan_config_selectorIxEEZZNS1_9scan_implILNS1_25lookback_scan_determinismE0ELb1ELb1ES3_N6thrust23THRUST_200600_302600_NS6detail15normal_iteratorINS9_10device_ptrIxEEEESE_xNS9_4plusIxEExEEDaPvRmT3_T4_T5_mT6_P12ihipStream_tbENKUlT_T0_E_clISt17integral_constantIbLb0EESU_EEDaSP_SQ_EUlSP_E0_NS1_11comp_targetILNS1_3genE4ELNS1_11target_archE910ELNS1_3gpuE8ELNS1_3repE0EEENS1_30default_config_static_selectorELNS0_4arch9wavefront6targetE1EEEvT1_, .Lfunc_end353-_ZN7rocprim17ROCPRIM_400000_NS6detail17trampoline_kernelINS0_14default_configENS1_20scan_config_selectorIxEEZZNS1_9scan_implILNS1_25lookback_scan_determinismE0ELb1ELb1ES3_N6thrust23THRUST_200600_302600_NS6detail15normal_iteratorINS9_10device_ptrIxEEEESE_xNS9_4plusIxEExEEDaPvRmT3_T4_T5_mT6_P12ihipStream_tbENKUlT_T0_E_clISt17integral_constantIbLb0EESU_EEDaSP_SQ_EUlSP_E0_NS1_11comp_targetILNS1_3genE4ELNS1_11target_archE910ELNS1_3gpuE8ELNS1_3repE0EEENS1_30default_config_static_selectorELNS0_4arch9wavefront6targetE1EEEvT1_
                                        ; -- End function
	.section	.AMDGPU.csdata,"",@progbits
; Kernel info:
; codeLenInByte = 1796
; NumSgprs: 28
; NumVgprs: 29
; NumAgprs: 0
; TotalNumVgprs: 29
; ScratchSize: 0
; MemoryBound: 0
; FloatMode: 240
; IeeeMode: 1
; LDSByteSize: 7168 bytes/workgroup (compile time only)
; SGPRBlocks: 3
; VGPRBlocks: 3
; NumSGPRsForWavesPerEU: 28
; NumVGPRsForWavesPerEU: 29
; AccumOffset: 32
; Occupancy: 5
; WaveLimiterHint : 0
; COMPUTE_PGM_RSRC2:SCRATCH_EN: 0
; COMPUTE_PGM_RSRC2:USER_SGPR: 6
; COMPUTE_PGM_RSRC2:TRAP_HANDLER: 0
; COMPUTE_PGM_RSRC2:TGID_X_EN: 1
; COMPUTE_PGM_RSRC2:TGID_Y_EN: 0
; COMPUTE_PGM_RSRC2:TGID_Z_EN: 0
; COMPUTE_PGM_RSRC2:TIDIG_COMP_CNT: 0
; COMPUTE_PGM_RSRC3_GFX90A:ACCUM_OFFSET: 7
; COMPUTE_PGM_RSRC3_GFX90A:TG_SPLIT: 0
	.section	.text._ZN7rocprim17ROCPRIM_400000_NS6detail17trampoline_kernelINS0_14default_configENS1_20scan_config_selectorIxEEZZNS1_9scan_implILNS1_25lookback_scan_determinismE0ELb1ELb1ES3_N6thrust23THRUST_200600_302600_NS6detail15normal_iteratorINS9_10device_ptrIxEEEESE_xNS9_4plusIxEExEEDaPvRmT3_T4_T5_mT6_P12ihipStream_tbENKUlT_T0_E_clISt17integral_constantIbLb0EESU_EEDaSP_SQ_EUlSP_E0_NS1_11comp_targetILNS1_3genE3ELNS1_11target_archE908ELNS1_3gpuE7ELNS1_3repE0EEENS1_30default_config_static_selectorELNS0_4arch9wavefront6targetE1EEEvT1_,"axG",@progbits,_ZN7rocprim17ROCPRIM_400000_NS6detail17trampoline_kernelINS0_14default_configENS1_20scan_config_selectorIxEEZZNS1_9scan_implILNS1_25lookback_scan_determinismE0ELb1ELb1ES3_N6thrust23THRUST_200600_302600_NS6detail15normal_iteratorINS9_10device_ptrIxEEEESE_xNS9_4plusIxEExEEDaPvRmT3_T4_T5_mT6_P12ihipStream_tbENKUlT_T0_E_clISt17integral_constantIbLb0EESU_EEDaSP_SQ_EUlSP_E0_NS1_11comp_targetILNS1_3genE3ELNS1_11target_archE908ELNS1_3gpuE7ELNS1_3repE0EEENS1_30default_config_static_selectorELNS0_4arch9wavefront6targetE1EEEvT1_,comdat
	.protected	_ZN7rocprim17ROCPRIM_400000_NS6detail17trampoline_kernelINS0_14default_configENS1_20scan_config_selectorIxEEZZNS1_9scan_implILNS1_25lookback_scan_determinismE0ELb1ELb1ES3_N6thrust23THRUST_200600_302600_NS6detail15normal_iteratorINS9_10device_ptrIxEEEESE_xNS9_4plusIxEExEEDaPvRmT3_T4_T5_mT6_P12ihipStream_tbENKUlT_T0_E_clISt17integral_constantIbLb0EESU_EEDaSP_SQ_EUlSP_E0_NS1_11comp_targetILNS1_3genE3ELNS1_11target_archE908ELNS1_3gpuE7ELNS1_3repE0EEENS1_30default_config_static_selectorELNS0_4arch9wavefront6targetE1EEEvT1_ ; -- Begin function _ZN7rocprim17ROCPRIM_400000_NS6detail17trampoline_kernelINS0_14default_configENS1_20scan_config_selectorIxEEZZNS1_9scan_implILNS1_25lookback_scan_determinismE0ELb1ELb1ES3_N6thrust23THRUST_200600_302600_NS6detail15normal_iteratorINS9_10device_ptrIxEEEESE_xNS9_4plusIxEExEEDaPvRmT3_T4_T5_mT6_P12ihipStream_tbENKUlT_T0_E_clISt17integral_constantIbLb0EESU_EEDaSP_SQ_EUlSP_E0_NS1_11comp_targetILNS1_3genE3ELNS1_11target_archE908ELNS1_3gpuE7ELNS1_3repE0EEENS1_30default_config_static_selectorELNS0_4arch9wavefront6targetE1EEEvT1_
	.globl	_ZN7rocprim17ROCPRIM_400000_NS6detail17trampoline_kernelINS0_14default_configENS1_20scan_config_selectorIxEEZZNS1_9scan_implILNS1_25lookback_scan_determinismE0ELb1ELb1ES3_N6thrust23THRUST_200600_302600_NS6detail15normal_iteratorINS9_10device_ptrIxEEEESE_xNS9_4plusIxEExEEDaPvRmT3_T4_T5_mT6_P12ihipStream_tbENKUlT_T0_E_clISt17integral_constantIbLb0EESU_EEDaSP_SQ_EUlSP_E0_NS1_11comp_targetILNS1_3genE3ELNS1_11target_archE908ELNS1_3gpuE7ELNS1_3repE0EEENS1_30default_config_static_selectorELNS0_4arch9wavefront6targetE1EEEvT1_
	.p2align	8
	.type	_ZN7rocprim17ROCPRIM_400000_NS6detail17trampoline_kernelINS0_14default_configENS1_20scan_config_selectorIxEEZZNS1_9scan_implILNS1_25lookback_scan_determinismE0ELb1ELb1ES3_N6thrust23THRUST_200600_302600_NS6detail15normal_iteratorINS9_10device_ptrIxEEEESE_xNS9_4plusIxEExEEDaPvRmT3_T4_T5_mT6_P12ihipStream_tbENKUlT_T0_E_clISt17integral_constantIbLb0EESU_EEDaSP_SQ_EUlSP_E0_NS1_11comp_targetILNS1_3genE3ELNS1_11target_archE908ELNS1_3gpuE7ELNS1_3repE0EEENS1_30default_config_static_selectorELNS0_4arch9wavefront6targetE1EEEvT1_,@function
_ZN7rocprim17ROCPRIM_400000_NS6detail17trampoline_kernelINS0_14default_configENS1_20scan_config_selectorIxEEZZNS1_9scan_implILNS1_25lookback_scan_determinismE0ELb1ELb1ES3_N6thrust23THRUST_200600_302600_NS6detail15normal_iteratorINS9_10device_ptrIxEEEESE_xNS9_4plusIxEExEEDaPvRmT3_T4_T5_mT6_P12ihipStream_tbENKUlT_T0_E_clISt17integral_constantIbLb0EESU_EEDaSP_SQ_EUlSP_E0_NS1_11comp_targetILNS1_3genE3ELNS1_11target_archE908ELNS1_3gpuE7ELNS1_3repE0EEENS1_30default_config_static_selectorELNS0_4arch9wavefront6targetE1EEEvT1_: ; @_ZN7rocprim17ROCPRIM_400000_NS6detail17trampoline_kernelINS0_14default_configENS1_20scan_config_selectorIxEEZZNS1_9scan_implILNS1_25lookback_scan_determinismE0ELb1ELb1ES3_N6thrust23THRUST_200600_302600_NS6detail15normal_iteratorINS9_10device_ptrIxEEEESE_xNS9_4plusIxEExEEDaPvRmT3_T4_T5_mT6_P12ihipStream_tbENKUlT_T0_E_clISt17integral_constantIbLb0EESU_EEDaSP_SQ_EUlSP_E0_NS1_11comp_targetILNS1_3genE3ELNS1_11target_archE908ELNS1_3gpuE7ELNS1_3repE0EEENS1_30default_config_static_selectorELNS0_4arch9wavefront6targetE1EEEvT1_
; %bb.0:
	.section	.rodata,"a",@progbits
	.p2align	6, 0x0
	.amdhsa_kernel _ZN7rocprim17ROCPRIM_400000_NS6detail17trampoline_kernelINS0_14default_configENS1_20scan_config_selectorIxEEZZNS1_9scan_implILNS1_25lookback_scan_determinismE0ELb1ELb1ES3_N6thrust23THRUST_200600_302600_NS6detail15normal_iteratorINS9_10device_ptrIxEEEESE_xNS9_4plusIxEExEEDaPvRmT3_T4_T5_mT6_P12ihipStream_tbENKUlT_T0_E_clISt17integral_constantIbLb0EESU_EEDaSP_SQ_EUlSP_E0_NS1_11comp_targetILNS1_3genE3ELNS1_11target_archE908ELNS1_3gpuE7ELNS1_3repE0EEENS1_30default_config_static_selectorELNS0_4arch9wavefront6targetE1EEEvT1_
		.amdhsa_group_segment_fixed_size 0
		.amdhsa_private_segment_fixed_size 0
		.amdhsa_kernarg_size 40
		.amdhsa_user_sgpr_count 6
		.amdhsa_user_sgpr_private_segment_buffer 1
		.amdhsa_user_sgpr_dispatch_ptr 0
		.amdhsa_user_sgpr_queue_ptr 0
		.amdhsa_user_sgpr_kernarg_segment_ptr 1
		.amdhsa_user_sgpr_dispatch_id 0
		.amdhsa_user_sgpr_flat_scratch_init 0
		.amdhsa_user_sgpr_kernarg_preload_length 0
		.amdhsa_user_sgpr_kernarg_preload_offset 0
		.amdhsa_user_sgpr_private_segment_size 0
		.amdhsa_uses_dynamic_stack 0
		.amdhsa_system_sgpr_private_segment_wavefront_offset 0
		.amdhsa_system_sgpr_workgroup_id_x 1
		.amdhsa_system_sgpr_workgroup_id_y 0
		.amdhsa_system_sgpr_workgroup_id_z 0
		.amdhsa_system_sgpr_workgroup_info 0
		.amdhsa_system_vgpr_workitem_id 0
		.amdhsa_next_free_vgpr 1
		.amdhsa_next_free_sgpr 0
		.amdhsa_accum_offset 4
		.amdhsa_reserve_vcc 0
		.amdhsa_reserve_flat_scratch 0
		.amdhsa_float_round_mode_32 0
		.amdhsa_float_round_mode_16_64 0
		.amdhsa_float_denorm_mode_32 3
		.amdhsa_float_denorm_mode_16_64 3
		.amdhsa_dx10_clamp 1
		.amdhsa_ieee_mode 1
		.amdhsa_fp16_overflow 0
		.amdhsa_tg_split 0
		.amdhsa_exception_fp_ieee_invalid_op 0
		.amdhsa_exception_fp_denorm_src 0
		.amdhsa_exception_fp_ieee_div_zero 0
		.amdhsa_exception_fp_ieee_overflow 0
		.amdhsa_exception_fp_ieee_underflow 0
		.amdhsa_exception_fp_ieee_inexact 0
		.amdhsa_exception_int_div_zero 0
	.end_amdhsa_kernel
	.section	.text._ZN7rocprim17ROCPRIM_400000_NS6detail17trampoline_kernelINS0_14default_configENS1_20scan_config_selectorIxEEZZNS1_9scan_implILNS1_25lookback_scan_determinismE0ELb1ELb1ES3_N6thrust23THRUST_200600_302600_NS6detail15normal_iteratorINS9_10device_ptrIxEEEESE_xNS9_4plusIxEExEEDaPvRmT3_T4_T5_mT6_P12ihipStream_tbENKUlT_T0_E_clISt17integral_constantIbLb0EESU_EEDaSP_SQ_EUlSP_E0_NS1_11comp_targetILNS1_3genE3ELNS1_11target_archE908ELNS1_3gpuE7ELNS1_3repE0EEENS1_30default_config_static_selectorELNS0_4arch9wavefront6targetE1EEEvT1_,"axG",@progbits,_ZN7rocprim17ROCPRIM_400000_NS6detail17trampoline_kernelINS0_14default_configENS1_20scan_config_selectorIxEEZZNS1_9scan_implILNS1_25lookback_scan_determinismE0ELb1ELb1ES3_N6thrust23THRUST_200600_302600_NS6detail15normal_iteratorINS9_10device_ptrIxEEEESE_xNS9_4plusIxEExEEDaPvRmT3_T4_T5_mT6_P12ihipStream_tbENKUlT_T0_E_clISt17integral_constantIbLb0EESU_EEDaSP_SQ_EUlSP_E0_NS1_11comp_targetILNS1_3genE3ELNS1_11target_archE908ELNS1_3gpuE7ELNS1_3repE0EEENS1_30default_config_static_selectorELNS0_4arch9wavefront6targetE1EEEvT1_,comdat
.Lfunc_end354:
	.size	_ZN7rocprim17ROCPRIM_400000_NS6detail17trampoline_kernelINS0_14default_configENS1_20scan_config_selectorIxEEZZNS1_9scan_implILNS1_25lookback_scan_determinismE0ELb1ELb1ES3_N6thrust23THRUST_200600_302600_NS6detail15normal_iteratorINS9_10device_ptrIxEEEESE_xNS9_4plusIxEExEEDaPvRmT3_T4_T5_mT6_P12ihipStream_tbENKUlT_T0_E_clISt17integral_constantIbLb0EESU_EEDaSP_SQ_EUlSP_E0_NS1_11comp_targetILNS1_3genE3ELNS1_11target_archE908ELNS1_3gpuE7ELNS1_3repE0EEENS1_30default_config_static_selectorELNS0_4arch9wavefront6targetE1EEEvT1_, .Lfunc_end354-_ZN7rocprim17ROCPRIM_400000_NS6detail17trampoline_kernelINS0_14default_configENS1_20scan_config_selectorIxEEZZNS1_9scan_implILNS1_25lookback_scan_determinismE0ELb1ELb1ES3_N6thrust23THRUST_200600_302600_NS6detail15normal_iteratorINS9_10device_ptrIxEEEESE_xNS9_4plusIxEExEEDaPvRmT3_T4_T5_mT6_P12ihipStream_tbENKUlT_T0_E_clISt17integral_constantIbLb0EESU_EEDaSP_SQ_EUlSP_E0_NS1_11comp_targetILNS1_3genE3ELNS1_11target_archE908ELNS1_3gpuE7ELNS1_3repE0EEENS1_30default_config_static_selectorELNS0_4arch9wavefront6targetE1EEEvT1_
                                        ; -- End function
	.section	.AMDGPU.csdata,"",@progbits
; Kernel info:
; codeLenInByte = 0
; NumSgprs: 4
; NumVgprs: 0
; NumAgprs: 0
; TotalNumVgprs: 0
; ScratchSize: 0
; MemoryBound: 0
; FloatMode: 240
; IeeeMode: 1
; LDSByteSize: 0 bytes/workgroup (compile time only)
; SGPRBlocks: 0
; VGPRBlocks: 0
; NumSGPRsForWavesPerEU: 4
; NumVGPRsForWavesPerEU: 1
; AccumOffset: 4
; Occupancy: 8
; WaveLimiterHint : 0
; COMPUTE_PGM_RSRC2:SCRATCH_EN: 0
; COMPUTE_PGM_RSRC2:USER_SGPR: 6
; COMPUTE_PGM_RSRC2:TRAP_HANDLER: 0
; COMPUTE_PGM_RSRC2:TGID_X_EN: 1
; COMPUTE_PGM_RSRC2:TGID_Y_EN: 0
; COMPUTE_PGM_RSRC2:TGID_Z_EN: 0
; COMPUTE_PGM_RSRC2:TIDIG_COMP_CNT: 0
; COMPUTE_PGM_RSRC3_GFX90A:ACCUM_OFFSET: 0
; COMPUTE_PGM_RSRC3_GFX90A:TG_SPLIT: 0
	.section	.text._ZN7rocprim17ROCPRIM_400000_NS6detail17trampoline_kernelINS0_14default_configENS1_20scan_config_selectorIxEEZZNS1_9scan_implILNS1_25lookback_scan_determinismE0ELb1ELb1ES3_N6thrust23THRUST_200600_302600_NS6detail15normal_iteratorINS9_10device_ptrIxEEEESE_xNS9_4plusIxEExEEDaPvRmT3_T4_T5_mT6_P12ihipStream_tbENKUlT_T0_E_clISt17integral_constantIbLb0EESU_EEDaSP_SQ_EUlSP_E0_NS1_11comp_targetILNS1_3genE2ELNS1_11target_archE906ELNS1_3gpuE6ELNS1_3repE0EEENS1_30default_config_static_selectorELNS0_4arch9wavefront6targetE1EEEvT1_,"axG",@progbits,_ZN7rocprim17ROCPRIM_400000_NS6detail17trampoline_kernelINS0_14default_configENS1_20scan_config_selectorIxEEZZNS1_9scan_implILNS1_25lookback_scan_determinismE0ELb1ELb1ES3_N6thrust23THRUST_200600_302600_NS6detail15normal_iteratorINS9_10device_ptrIxEEEESE_xNS9_4plusIxEExEEDaPvRmT3_T4_T5_mT6_P12ihipStream_tbENKUlT_T0_E_clISt17integral_constantIbLb0EESU_EEDaSP_SQ_EUlSP_E0_NS1_11comp_targetILNS1_3genE2ELNS1_11target_archE906ELNS1_3gpuE6ELNS1_3repE0EEENS1_30default_config_static_selectorELNS0_4arch9wavefront6targetE1EEEvT1_,comdat
	.protected	_ZN7rocprim17ROCPRIM_400000_NS6detail17trampoline_kernelINS0_14default_configENS1_20scan_config_selectorIxEEZZNS1_9scan_implILNS1_25lookback_scan_determinismE0ELb1ELb1ES3_N6thrust23THRUST_200600_302600_NS6detail15normal_iteratorINS9_10device_ptrIxEEEESE_xNS9_4plusIxEExEEDaPvRmT3_T4_T5_mT6_P12ihipStream_tbENKUlT_T0_E_clISt17integral_constantIbLb0EESU_EEDaSP_SQ_EUlSP_E0_NS1_11comp_targetILNS1_3genE2ELNS1_11target_archE906ELNS1_3gpuE6ELNS1_3repE0EEENS1_30default_config_static_selectorELNS0_4arch9wavefront6targetE1EEEvT1_ ; -- Begin function _ZN7rocprim17ROCPRIM_400000_NS6detail17trampoline_kernelINS0_14default_configENS1_20scan_config_selectorIxEEZZNS1_9scan_implILNS1_25lookback_scan_determinismE0ELb1ELb1ES3_N6thrust23THRUST_200600_302600_NS6detail15normal_iteratorINS9_10device_ptrIxEEEESE_xNS9_4plusIxEExEEDaPvRmT3_T4_T5_mT6_P12ihipStream_tbENKUlT_T0_E_clISt17integral_constantIbLb0EESU_EEDaSP_SQ_EUlSP_E0_NS1_11comp_targetILNS1_3genE2ELNS1_11target_archE906ELNS1_3gpuE6ELNS1_3repE0EEENS1_30default_config_static_selectorELNS0_4arch9wavefront6targetE1EEEvT1_
	.globl	_ZN7rocprim17ROCPRIM_400000_NS6detail17trampoline_kernelINS0_14default_configENS1_20scan_config_selectorIxEEZZNS1_9scan_implILNS1_25lookback_scan_determinismE0ELb1ELb1ES3_N6thrust23THRUST_200600_302600_NS6detail15normal_iteratorINS9_10device_ptrIxEEEESE_xNS9_4plusIxEExEEDaPvRmT3_T4_T5_mT6_P12ihipStream_tbENKUlT_T0_E_clISt17integral_constantIbLb0EESU_EEDaSP_SQ_EUlSP_E0_NS1_11comp_targetILNS1_3genE2ELNS1_11target_archE906ELNS1_3gpuE6ELNS1_3repE0EEENS1_30default_config_static_selectorELNS0_4arch9wavefront6targetE1EEEvT1_
	.p2align	8
	.type	_ZN7rocprim17ROCPRIM_400000_NS6detail17trampoline_kernelINS0_14default_configENS1_20scan_config_selectorIxEEZZNS1_9scan_implILNS1_25lookback_scan_determinismE0ELb1ELb1ES3_N6thrust23THRUST_200600_302600_NS6detail15normal_iteratorINS9_10device_ptrIxEEEESE_xNS9_4plusIxEExEEDaPvRmT3_T4_T5_mT6_P12ihipStream_tbENKUlT_T0_E_clISt17integral_constantIbLb0EESU_EEDaSP_SQ_EUlSP_E0_NS1_11comp_targetILNS1_3genE2ELNS1_11target_archE906ELNS1_3gpuE6ELNS1_3repE0EEENS1_30default_config_static_selectorELNS0_4arch9wavefront6targetE1EEEvT1_,@function
_ZN7rocprim17ROCPRIM_400000_NS6detail17trampoline_kernelINS0_14default_configENS1_20scan_config_selectorIxEEZZNS1_9scan_implILNS1_25lookback_scan_determinismE0ELb1ELb1ES3_N6thrust23THRUST_200600_302600_NS6detail15normal_iteratorINS9_10device_ptrIxEEEESE_xNS9_4plusIxEExEEDaPvRmT3_T4_T5_mT6_P12ihipStream_tbENKUlT_T0_E_clISt17integral_constantIbLb0EESU_EEDaSP_SQ_EUlSP_E0_NS1_11comp_targetILNS1_3genE2ELNS1_11target_archE906ELNS1_3gpuE6ELNS1_3repE0EEENS1_30default_config_static_selectorELNS0_4arch9wavefront6targetE1EEEvT1_: ; @_ZN7rocprim17ROCPRIM_400000_NS6detail17trampoline_kernelINS0_14default_configENS1_20scan_config_selectorIxEEZZNS1_9scan_implILNS1_25lookback_scan_determinismE0ELb1ELb1ES3_N6thrust23THRUST_200600_302600_NS6detail15normal_iteratorINS9_10device_ptrIxEEEESE_xNS9_4plusIxEExEEDaPvRmT3_T4_T5_mT6_P12ihipStream_tbENKUlT_T0_E_clISt17integral_constantIbLb0EESU_EEDaSP_SQ_EUlSP_E0_NS1_11comp_targetILNS1_3genE2ELNS1_11target_archE906ELNS1_3gpuE6ELNS1_3repE0EEENS1_30default_config_static_selectorELNS0_4arch9wavefront6targetE1EEEvT1_
; %bb.0:
	.section	.rodata,"a",@progbits
	.p2align	6, 0x0
	.amdhsa_kernel _ZN7rocprim17ROCPRIM_400000_NS6detail17trampoline_kernelINS0_14default_configENS1_20scan_config_selectorIxEEZZNS1_9scan_implILNS1_25lookback_scan_determinismE0ELb1ELb1ES3_N6thrust23THRUST_200600_302600_NS6detail15normal_iteratorINS9_10device_ptrIxEEEESE_xNS9_4plusIxEExEEDaPvRmT3_T4_T5_mT6_P12ihipStream_tbENKUlT_T0_E_clISt17integral_constantIbLb0EESU_EEDaSP_SQ_EUlSP_E0_NS1_11comp_targetILNS1_3genE2ELNS1_11target_archE906ELNS1_3gpuE6ELNS1_3repE0EEENS1_30default_config_static_selectorELNS0_4arch9wavefront6targetE1EEEvT1_
		.amdhsa_group_segment_fixed_size 0
		.amdhsa_private_segment_fixed_size 0
		.amdhsa_kernarg_size 40
		.amdhsa_user_sgpr_count 6
		.amdhsa_user_sgpr_private_segment_buffer 1
		.amdhsa_user_sgpr_dispatch_ptr 0
		.amdhsa_user_sgpr_queue_ptr 0
		.amdhsa_user_sgpr_kernarg_segment_ptr 1
		.amdhsa_user_sgpr_dispatch_id 0
		.amdhsa_user_sgpr_flat_scratch_init 0
		.amdhsa_user_sgpr_kernarg_preload_length 0
		.amdhsa_user_sgpr_kernarg_preload_offset 0
		.amdhsa_user_sgpr_private_segment_size 0
		.amdhsa_uses_dynamic_stack 0
		.amdhsa_system_sgpr_private_segment_wavefront_offset 0
		.amdhsa_system_sgpr_workgroup_id_x 1
		.amdhsa_system_sgpr_workgroup_id_y 0
		.amdhsa_system_sgpr_workgroup_id_z 0
		.amdhsa_system_sgpr_workgroup_info 0
		.amdhsa_system_vgpr_workitem_id 0
		.amdhsa_next_free_vgpr 1
		.amdhsa_next_free_sgpr 0
		.amdhsa_accum_offset 4
		.amdhsa_reserve_vcc 0
		.amdhsa_reserve_flat_scratch 0
		.amdhsa_float_round_mode_32 0
		.amdhsa_float_round_mode_16_64 0
		.amdhsa_float_denorm_mode_32 3
		.amdhsa_float_denorm_mode_16_64 3
		.amdhsa_dx10_clamp 1
		.amdhsa_ieee_mode 1
		.amdhsa_fp16_overflow 0
		.amdhsa_tg_split 0
		.amdhsa_exception_fp_ieee_invalid_op 0
		.amdhsa_exception_fp_denorm_src 0
		.amdhsa_exception_fp_ieee_div_zero 0
		.amdhsa_exception_fp_ieee_overflow 0
		.amdhsa_exception_fp_ieee_underflow 0
		.amdhsa_exception_fp_ieee_inexact 0
		.amdhsa_exception_int_div_zero 0
	.end_amdhsa_kernel
	.section	.text._ZN7rocprim17ROCPRIM_400000_NS6detail17trampoline_kernelINS0_14default_configENS1_20scan_config_selectorIxEEZZNS1_9scan_implILNS1_25lookback_scan_determinismE0ELb1ELb1ES3_N6thrust23THRUST_200600_302600_NS6detail15normal_iteratorINS9_10device_ptrIxEEEESE_xNS9_4plusIxEExEEDaPvRmT3_T4_T5_mT6_P12ihipStream_tbENKUlT_T0_E_clISt17integral_constantIbLb0EESU_EEDaSP_SQ_EUlSP_E0_NS1_11comp_targetILNS1_3genE2ELNS1_11target_archE906ELNS1_3gpuE6ELNS1_3repE0EEENS1_30default_config_static_selectorELNS0_4arch9wavefront6targetE1EEEvT1_,"axG",@progbits,_ZN7rocprim17ROCPRIM_400000_NS6detail17trampoline_kernelINS0_14default_configENS1_20scan_config_selectorIxEEZZNS1_9scan_implILNS1_25lookback_scan_determinismE0ELb1ELb1ES3_N6thrust23THRUST_200600_302600_NS6detail15normal_iteratorINS9_10device_ptrIxEEEESE_xNS9_4plusIxEExEEDaPvRmT3_T4_T5_mT6_P12ihipStream_tbENKUlT_T0_E_clISt17integral_constantIbLb0EESU_EEDaSP_SQ_EUlSP_E0_NS1_11comp_targetILNS1_3genE2ELNS1_11target_archE906ELNS1_3gpuE6ELNS1_3repE0EEENS1_30default_config_static_selectorELNS0_4arch9wavefront6targetE1EEEvT1_,comdat
.Lfunc_end355:
	.size	_ZN7rocprim17ROCPRIM_400000_NS6detail17trampoline_kernelINS0_14default_configENS1_20scan_config_selectorIxEEZZNS1_9scan_implILNS1_25lookback_scan_determinismE0ELb1ELb1ES3_N6thrust23THRUST_200600_302600_NS6detail15normal_iteratorINS9_10device_ptrIxEEEESE_xNS9_4plusIxEExEEDaPvRmT3_T4_T5_mT6_P12ihipStream_tbENKUlT_T0_E_clISt17integral_constantIbLb0EESU_EEDaSP_SQ_EUlSP_E0_NS1_11comp_targetILNS1_3genE2ELNS1_11target_archE906ELNS1_3gpuE6ELNS1_3repE0EEENS1_30default_config_static_selectorELNS0_4arch9wavefront6targetE1EEEvT1_, .Lfunc_end355-_ZN7rocprim17ROCPRIM_400000_NS6detail17trampoline_kernelINS0_14default_configENS1_20scan_config_selectorIxEEZZNS1_9scan_implILNS1_25lookback_scan_determinismE0ELb1ELb1ES3_N6thrust23THRUST_200600_302600_NS6detail15normal_iteratorINS9_10device_ptrIxEEEESE_xNS9_4plusIxEExEEDaPvRmT3_T4_T5_mT6_P12ihipStream_tbENKUlT_T0_E_clISt17integral_constantIbLb0EESU_EEDaSP_SQ_EUlSP_E0_NS1_11comp_targetILNS1_3genE2ELNS1_11target_archE906ELNS1_3gpuE6ELNS1_3repE0EEENS1_30default_config_static_selectorELNS0_4arch9wavefront6targetE1EEEvT1_
                                        ; -- End function
	.section	.AMDGPU.csdata,"",@progbits
; Kernel info:
; codeLenInByte = 0
; NumSgprs: 4
; NumVgprs: 0
; NumAgprs: 0
; TotalNumVgprs: 0
; ScratchSize: 0
; MemoryBound: 0
; FloatMode: 240
; IeeeMode: 1
; LDSByteSize: 0 bytes/workgroup (compile time only)
; SGPRBlocks: 0
; VGPRBlocks: 0
; NumSGPRsForWavesPerEU: 4
; NumVGPRsForWavesPerEU: 1
; AccumOffset: 4
; Occupancy: 8
; WaveLimiterHint : 0
; COMPUTE_PGM_RSRC2:SCRATCH_EN: 0
; COMPUTE_PGM_RSRC2:USER_SGPR: 6
; COMPUTE_PGM_RSRC2:TRAP_HANDLER: 0
; COMPUTE_PGM_RSRC2:TGID_X_EN: 1
; COMPUTE_PGM_RSRC2:TGID_Y_EN: 0
; COMPUTE_PGM_RSRC2:TGID_Z_EN: 0
; COMPUTE_PGM_RSRC2:TIDIG_COMP_CNT: 0
; COMPUTE_PGM_RSRC3_GFX90A:ACCUM_OFFSET: 0
; COMPUTE_PGM_RSRC3_GFX90A:TG_SPLIT: 0
	.section	.text._ZN7rocprim17ROCPRIM_400000_NS6detail17trampoline_kernelINS0_14default_configENS1_20scan_config_selectorIxEEZZNS1_9scan_implILNS1_25lookback_scan_determinismE0ELb1ELb1ES3_N6thrust23THRUST_200600_302600_NS6detail15normal_iteratorINS9_10device_ptrIxEEEESE_xNS9_4plusIxEExEEDaPvRmT3_T4_T5_mT6_P12ihipStream_tbENKUlT_T0_E_clISt17integral_constantIbLb0EESU_EEDaSP_SQ_EUlSP_E0_NS1_11comp_targetILNS1_3genE10ELNS1_11target_archE1201ELNS1_3gpuE5ELNS1_3repE0EEENS1_30default_config_static_selectorELNS0_4arch9wavefront6targetE1EEEvT1_,"axG",@progbits,_ZN7rocprim17ROCPRIM_400000_NS6detail17trampoline_kernelINS0_14default_configENS1_20scan_config_selectorIxEEZZNS1_9scan_implILNS1_25lookback_scan_determinismE0ELb1ELb1ES3_N6thrust23THRUST_200600_302600_NS6detail15normal_iteratorINS9_10device_ptrIxEEEESE_xNS9_4plusIxEExEEDaPvRmT3_T4_T5_mT6_P12ihipStream_tbENKUlT_T0_E_clISt17integral_constantIbLb0EESU_EEDaSP_SQ_EUlSP_E0_NS1_11comp_targetILNS1_3genE10ELNS1_11target_archE1201ELNS1_3gpuE5ELNS1_3repE0EEENS1_30default_config_static_selectorELNS0_4arch9wavefront6targetE1EEEvT1_,comdat
	.protected	_ZN7rocprim17ROCPRIM_400000_NS6detail17trampoline_kernelINS0_14default_configENS1_20scan_config_selectorIxEEZZNS1_9scan_implILNS1_25lookback_scan_determinismE0ELb1ELb1ES3_N6thrust23THRUST_200600_302600_NS6detail15normal_iteratorINS9_10device_ptrIxEEEESE_xNS9_4plusIxEExEEDaPvRmT3_T4_T5_mT6_P12ihipStream_tbENKUlT_T0_E_clISt17integral_constantIbLb0EESU_EEDaSP_SQ_EUlSP_E0_NS1_11comp_targetILNS1_3genE10ELNS1_11target_archE1201ELNS1_3gpuE5ELNS1_3repE0EEENS1_30default_config_static_selectorELNS0_4arch9wavefront6targetE1EEEvT1_ ; -- Begin function _ZN7rocprim17ROCPRIM_400000_NS6detail17trampoline_kernelINS0_14default_configENS1_20scan_config_selectorIxEEZZNS1_9scan_implILNS1_25lookback_scan_determinismE0ELb1ELb1ES3_N6thrust23THRUST_200600_302600_NS6detail15normal_iteratorINS9_10device_ptrIxEEEESE_xNS9_4plusIxEExEEDaPvRmT3_T4_T5_mT6_P12ihipStream_tbENKUlT_T0_E_clISt17integral_constantIbLb0EESU_EEDaSP_SQ_EUlSP_E0_NS1_11comp_targetILNS1_3genE10ELNS1_11target_archE1201ELNS1_3gpuE5ELNS1_3repE0EEENS1_30default_config_static_selectorELNS0_4arch9wavefront6targetE1EEEvT1_
	.globl	_ZN7rocprim17ROCPRIM_400000_NS6detail17trampoline_kernelINS0_14default_configENS1_20scan_config_selectorIxEEZZNS1_9scan_implILNS1_25lookback_scan_determinismE0ELb1ELb1ES3_N6thrust23THRUST_200600_302600_NS6detail15normal_iteratorINS9_10device_ptrIxEEEESE_xNS9_4plusIxEExEEDaPvRmT3_T4_T5_mT6_P12ihipStream_tbENKUlT_T0_E_clISt17integral_constantIbLb0EESU_EEDaSP_SQ_EUlSP_E0_NS1_11comp_targetILNS1_3genE10ELNS1_11target_archE1201ELNS1_3gpuE5ELNS1_3repE0EEENS1_30default_config_static_selectorELNS0_4arch9wavefront6targetE1EEEvT1_
	.p2align	8
	.type	_ZN7rocprim17ROCPRIM_400000_NS6detail17trampoline_kernelINS0_14default_configENS1_20scan_config_selectorIxEEZZNS1_9scan_implILNS1_25lookback_scan_determinismE0ELb1ELb1ES3_N6thrust23THRUST_200600_302600_NS6detail15normal_iteratorINS9_10device_ptrIxEEEESE_xNS9_4plusIxEExEEDaPvRmT3_T4_T5_mT6_P12ihipStream_tbENKUlT_T0_E_clISt17integral_constantIbLb0EESU_EEDaSP_SQ_EUlSP_E0_NS1_11comp_targetILNS1_3genE10ELNS1_11target_archE1201ELNS1_3gpuE5ELNS1_3repE0EEENS1_30default_config_static_selectorELNS0_4arch9wavefront6targetE1EEEvT1_,@function
_ZN7rocprim17ROCPRIM_400000_NS6detail17trampoline_kernelINS0_14default_configENS1_20scan_config_selectorIxEEZZNS1_9scan_implILNS1_25lookback_scan_determinismE0ELb1ELb1ES3_N6thrust23THRUST_200600_302600_NS6detail15normal_iteratorINS9_10device_ptrIxEEEESE_xNS9_4plusIxEExEEDaPvRmT3_T4_T5_mT6_P12ihipStream_tbENKUlT_T0_E_clISt17integral_constantIbLb0EESU_EEDaSP_SQ_EUlSP_E0_NS1_11comp_targetILNS1_3genE10ELNS1_11target_archE1201ELNS1_3gpuE5ELNS1_3repE0EEENS1_30default_config_static_selectorELNS0_4arch9wavefront6targetE1EEEvT1_: ; @_ZN7rocprim17ROCPRIM_400000_NS6detail17trampoline_kernelINS0_14default_configENS1_20scan_config_selectorIxEEZZNS1_9scan_implILNS1_25lookback_scan_determinismE0ELb1ELb1ES3_N6thrust23THRUST_200600_302600_NS6detail15normal_iteratorINS9_10device_ptrIxEEEESE_xNS9_4plusIxEExEEDaPvRmT3_T4_T5_mT6_P12ihipStream_tbENKUlT_T0_E_clISt17integral_constantIbLb0EESU_EEDaSP_SQ_EUlSP_E0_NS1_11comp_targetILNS1_3genE10ELNS1_11target_archE1201ELNS1_3gpuE5ELNS1_3repE0EEENS1_30default_config_static_selectorELNS0_4arch9wavefront6targetE1EEEvT1_
; %bb.0:
	.section	.rodata,"a",@progbits
	.p2align	6, 0x0
	.amdhsa_kernel _ZN7rocprim17ROCPRIM_400000_NS6detail17trampoline_kernelINS0_14default_configENS1_20scan_config_selectorIxEEZZNS1_9scan_implILNS1_25lookback_scan_determinismE0ELb1ELb1ES3_N6thrust23THRUST_200600_302600_NS6detail15normal_iteratorINS9_10device_ptrIxEEEESE_xNS9_4plusIxEExEEDaPvRmT3_T4_T5_mT6_P12ihipStream_tbENKUlT_T0_E_clISt17integral_constantIbLb0EESU_EEDaSP_SQ_EUlSP_E0_NS1_11comp_targetILNS1_3genE10ELNS1_11target_archE1201ELNS1_3gpuE5ELNS1_3repE0EEENS1_30default_config_static_selectorELNS0_4arch9wavefront6targetE1EEEvT1_
		.amdhsa_group_segment_fixed_size 0
		.amdhsa_private_segment_fixed_size 0
		.amdhsa_kernarg_size 40
		.amdhsa_user_sgpr_count 6
		.amdhsa_user_sgpr_private_segment_buffer 1
		.amdhsa_user_sgpr_dispatch_ptr 0
		.amdhsa_user_sgpr_queue_ptr 0
		.amdhsa_user_sgpr_kernarg_segment_ptr 1
		.amdhsa_user_sgpr_dispatch_id 0
		.amdhsa_user_sgpr_flat_scratch_init 0
		.amdhsa_user_sgpr_kernarg_preload_length 0
		.amdhsa_user_sgpr_kernarg_preload_offset 0
		.amdhsa_user_sgpr_private_segment_size 0
		.amdhsa_uses_dynamic_stack 0
		.amdhsa_system_sgpr_private_segment_wavefront_offset 0
		.amdhsa_system_sgpr_workgroup_id_x 1
		.amdhsa_system_sgpr_workgroup_id_y 0
		.amdhsa_system_sgpr_workgroup_id_z 0
		.amdhsa_system_sgpr_workgroup_info 0
		.amdhsa_system_vgpr_workitem_id 0
		.amdhsa_next_free_vgpr 1
		.amdhsa_next_free_sgpr 0
		.amdhsa_accum_offset 4
		.amdhsa_reserve_vcc 0
		.amdhsa_reserve_flat_scratch 0
		.amdhsa_float_round_mode_32 0
		.amdhsa_float_round_mode_16_64 0
		.amdhsa_float_denorm_mode_32 3
		.amdhsa_float_denorm_mode_16_64 3
		.amdhsa_dx10_clamp 1
		.amdhsa_ieee_mode 1
		.amdhsa_fp16_overflow 0
		.amdhsa_tg_split 0
		.amdhsa_exception_fp_ieee_invalid_op 0
		.amdhsa_exception_fp_denorm_src 0
		.amdhsa_exception_fp_ieee_div_zero 0
		.amdhsa_exception_fp_ieee_overflow 0
		.amdhsa_exception_fp_ieee_underflow 0
		.amdhsa_exception_fp_ieee_inexact 0
		.amdhsa_exception_int_div_zero 0
	.end_amdhsa_kernel
	.section	.text._ZN7rocprim17ROCPRIM_400000_NS6detail17trampoline_kernelINS0_14default_configENS1_20scan_config_selectorIxEEZZNS1_9scan_implILNS1_25lookback_scan_determinismE0ELb1ELb1ES3_N6thrust23THRUST_200600_302600_NS6detail15normal_iteratorINS9_10device_ptrIxEEEESE_xNS9_4plusIxEExEEDaPvRmT3_T4_T5_mT6_P12ihipStream_tbENKUlT_T0_E_clISt17integral_constantIbLb0EESU_EEDaSP_SQ_EUlSP_E0_NS1_11comp_targetILNS1_3genE10ELNS1_11target_archE1201ELNS1_3gpuE5ELNS1_3repE0EEENS1_30default_config_static_selectorELNS0_4arch9wavefront6targetE1EEEvT1_,"axG",@progbits,_ZN7rocprim17ROCPRIM_400000_NS6detail17trampoline_kernelINS0_14default_configENS1_20scan_config_selectorIxEEZZNS1_9scan_implILNS1_25lookback_scan_determinismE0ELb1ELb1ES3_N6thrust23THRUST_200600_302600_NS6detail15normal_iteratorINS9_10device_ptrIxEEEESE_xNS9_4plusIxEExEEDaPvRmT3_T4_T5_mT6_P12ihipStream_tbENKUlT_T0_E_clISt17integral_constantIbLb0EESU_EEDaSP_SQ_EUlSP_E0_NS1_11comp_targetILNS1_3genE10ELNS1_11target_archE1201ELNS1_3gpuE5ELNS1_3repE0EEENS1_30default_config_static_selectorELNS0_4arch9wavefront6targetE1EEEvT1_,comdat
.Lfunc_end356:
	.size	_ZN7rocprim17ROCPRIM_400000_NS6detail17trampoline_kernelINS0_14default_configENS1_20scan_config_selectorIxEEZZNS1_9scan_implILNS1_25lookback_scan_determinismE0ELb1ELb1ES3_N6thrust23THRUST_200600_302600_NS6detail15normal_iteratorINS9_10device_ptrIxEEEESE_xNS9_4plusIxEExEEDaPvRmT3_T4_T5_mT6_P12ihipStream_tbENKUlT_T0_E_clISt17integral_constantIbLb0EESU_EEDaSP_SQ_EUlSP_E0_NS1_11comp_targetILNS1_3genE10ELNS1_11target_archE1201ELNS1_3gpuE5ELNS1_3repE0EEENS1_30default_config_static_selectorELNS0_4arch9wavefront6targetE1EEEvT1_, .Lfunc_end356-_ZN7rocprim17ROCPRIM_400000_NS6detail17trampoline_kernelINS0_14default_configENS1_20scan_config_selectorIxEEZZNS1_9scan_implILNS1_25lookback_scan_determinismE0ELb1ELb1ES3_N6thrust23THRUST_200600_302600_NS6detail15normal_iteratorINS9_10device_ptrIxEEEESE_xNS9_4plusIxEExEEDaPvRmT3_T4_T5_mT6_P12ihipStream_tbENKUlT_T0_E_clISt17integral_constantIbLb0EESU_EEDaSP_SQ_EUlSP_E0_NS1_11comp_targetILNS1_3genE10ELNS1_11target_archE1201ELNS1_3gpuE5ELNS1_3repE0EEENS1_30default_config_static_selectorELNS0_4arch9wavefront6targetE1EEEvT1_
                                        ; -- End function
	.section	.AMDGPU.csdata,"",@progbits
; Kernel info:
; codeLenInByte = 0
; NumSgprs: 4
; NumVgprs: 0
; NumAgprs: 0
; TotalNumVgprs: 0
; ScratchSize: 0
; MemoryBound: 0
; FloatMode: 240
; IeeeMode: 1
; LDSByteSize: 0 bytes/workgroup (compile time only)
; SGPRBlocks: 0
; VGPRBlocks: 0
; NumSGPRsForWavesPerEU: 4
; NumVGPRsForWavesPerEU: 1
; AccumOffset: 4
; Occupancy: 8
; WaveLimiterHint : 0
; COMPUTE_PGM_RSRC2:SCRATCH_EN: 0
; COMPUTE_PGM_RSRC2:USER_SGPR: 6
; COMPUTE_PGM_RSRC2:TRAP_HANDLER: 0
; COMPUTE_PGM_RSRC2:TGID_X_EN: 1
; COMPUTE_PGM_RSRC2:TGID_Y_EN: 0
; COMPUTE_PGM_RSRC2:TGID_Z_EN: 0
; COMPUTE_PGM_RSRC2:TIDIG_COMP_CNT: 0
; COMPUTE_PGM_RSRC3_GFX90A:ACCUM_OFFSET: 0
; COMPUTE_PGM_RSRC3_GFX90A:TG_SPLIT: 0
	.section	.text._ZN7rocprim17ROCPRIM_400000_NS6detail17trampoline_kernelINS0_14default_configENS1_20scan_config_selectorIxEEZZNS1_9scan_implILNS1_25lookback_scan_determinismE0ELb1ELb1ES3_N6thrust23THRUST_200600_302600_NS6detail15normal_iteratorINS9_10device_ptrIxEEEESE_xNS9_4plusIxEExEEDaPvRmT3_T4_T5_mT6_P12ihipStream_tbENKUlT_T0_E_clISt17integral_constantIbLb0EESU_EEDaSP_SQ_EUlSP_E0_NS1_11comp_targetILNS1_3genE10ELNS1_11target_archE1200ELNS1_3gpuE4ELNS1_3repE0EEENS1_30default_config_static_selectorELNS0_4arch9wavefront6targetE1EEEvT1_,"axG",@progbits,_ZN7rocprim17ROCPRIM_400000_NS6detail17trampoline_kernelINS0_14default_configENS1_20scan_config_selectorIxEEZZNS1_9scan_implILNS1_25lookback_scan_determinismE0ELb1ELb1ES3_N6thrust23THRUST_200600_302600_NS6detail15normal_iteratorINS9_10device_ptrIxEEEESE_xNS9_4plusIxEExEEDaPvRmT3_T4_T5_mT6_P12ihipStream_tbENKUlT_T0_E_clISt17integral_constantIbLb0EESU_EEDaSP_SQ_EUlSP_E0_NS1_11comp_targetILNS1_3genE10ELNS1_11target_archE1200ELNS1_3gpuE4ELNS1_3repE0EEENS1_30default_config_static_selectorELNS0_4arch9wavefront6targetE1EEEvT1_,comdat
	.protected	_ZN7rocprim17ROCPRIM_400000_NS6detail17trampoline_kernelINS0_14default_configENS1_20scan_config_selectorIxEEZZNS1_9scan_implILNS1_25lookback_scan_determinismE0ELb1ELb1ES3_N6thrust23THRUST_200600_302600_NS6detail15normal_iteratorINS9_10device_ptrIxEEEESE_xNS9_4plusIxEExEEDaPvRmT3_T4_T5_mT6_P12ihipStream_tbENKUlT_T0_E_clISt17integral_constantIbLb0EESU_EEDaSP_SQ_EUlSP_E0_NS1_11comp_targetILNS1_3genE10ELNS1_11target_archE1200ELNS1_3gpuE4ELNS1_3repE0EEENS1_30default_config_static_selectorELNS0_4arch9wavefront6targetE1EEEvT1_ ; -- Begin function _ZN7rocprim17ROCPRIM_400000_NS6detail17trampoline_kernelINS0_14default_configENS1_20scan_config_selectorIxEEZZNS1_9scan_implILNS1_25lookback_scan_determinismE0ELb1ELb1ES3_N6thrust23THRUST_200600_302600_NS6detail15normal_iteratorINS9_10device_ptrIxEEEESE_xNS9_4plusIxEExEEDaPvRmT3_T4_T5_mT6_P12ihipStream_tbENKUlT_T0_E_clISt17integral_constantIbLb0EESU_EEDaSP_SQ_EUlSP_E0_NS1_11comp_targetILNS1_3genE10ELNS1_11target_archE1200ELNS1_3gpuE4ELNS1_3repE0EEENS1_30default_config_static_selectorELNS0_4arch9wavefront6targetE1EEEvT1_
	.globl	_ZN7rocprim17ROCPRIM_400000_NS6detail17trampoline_kernelINS0_14default_configENS1_20scan_config_selectorIxEEZZNS1_9scan_implILNS1_25lookback_scan_determinismE0ELb1ELb1ES3_N6thrust23THRUST_200600_302600_NS6detail15normal_iteratorINS9_10device_ptrIxEEEESE_xNS9_4plusIxEExEEDaPvRmT3_T4_T5_mT6_P12ihipStream_tbENKUlT_T0_E_clISt17integral_constantIbLb0EESU_EEDaSP_SQ_EUlSP_E0_NS1_11comp_targetILNS1_3genE10ELNS1_11target_archE1200ELNS1_3gpuE4ELNS1_3repE0EEENS1_30default_config_static_selectorELNS0_4arch9wavefront6targetE1EEEvT1_
	.p2align	8
	.type	_ZN7rocprim17ROCPRIM_400000_NS6detail17trampoline_kernelINS0_14default_configENS1_20scan_config_selectorIxEEZZNS1_9scan_implILNS1_25lookback_scan_determinismE0ELb1ELb1ES3_N6thrust23THRUST_200600_302600_NS6detail15normal_iteratorINS9_10device_ptrIxEEEESE_xNS9_4plusIxEExEEDaPvRmT3_T4_T5_mT6_P12ihipStream_tbENKUlT_T0_E_clISt17integral_constantIbLb0EESU_EEDaSP_SQ_EUlSP_E0_NS1_11comp_targetILNS1_3genE10ELNS1_11target_archE1200ELNS1_3gpuE4ELNS1_3repE0EEENS1_30default_config_static_selectorELNS0_4arch9wavefront6targetE1EEEvT1_,@function
_ZN7rocprim17ROCPRIM_400000_NS6detail17trampoline_kernelINS0_14default_configENS1_20scan_config_selectorIxEEZZNS1_9scan_implILNS1_25lookback_scan_determinismE0ELb1ELb1ES3_N6thrust23THRUST_200600_302600_NS6detail15normal_iteratorINS9_10device_ptrIxEEEESE_xNS9_4plusIxEExEEDaPvRmT3_T4_T5_mT6_P12ihipStream_tbENKUlT_T0_E_clISt17integral_constantIbLb0EESU_EEDaSP_SQ_EUlSP_E0_NS1_11comp_targetILNS1_3genE10ELNS1_11target_archE1200ELNS1_3gpuE4ELNS1_3repE0EEENS1_30default_config_static_selectorELNS0_4arch9wavefront6targetE1EEEvT1_: ; @_ZN7rocprim17ROCPRIM_400000_NS6detail17trampoline_kernelINS0_14default_configENS1_20scan_config_selectorIxEEZZNS1_9scan_implILNS1_25lookback_scan_determinismE0ELb1ELb1ES3_N6thrust23THRUST_200600_302600_NS6detail15normal_iteratorINS9_10device_ptrIxEEEESE_xNS9_4plusIxEExEEDaPvRmT3_T4_T5_mT6_P12ihipStream_tbENKUlT_T0_E_clISt17integral_constantIbLb0EESU_EEDaSP_SQ_EUlSP_E0_NS1_11comp_targetILNS1_3genE10ELNS1_11target_archE1200ELNS1_3gpuE4ELNS1_3repE0EEENS1_30default_config_static_selectorELNS0_4arch9wavefront6targetE1EEEvT1_
; %bb.0:
	.section	.rodata,"a",@progbits
	.p2align	6, 0x0
	.amdhsa_kernel _ZN7rocprim17ROCPRIM_400000_NS6detail17trampoline_kernelINS0_14default_configENS1_20scan_config_selectorIxEEZZNS1_9scan_implILNS1_25lookback_scan_determinismE0ELb1ELb1ES3_N6thrust23THRUST_200600_302600_NS6detail15normal_iteratorINS9_10device_ptrIxEEEESE_xNS9_4plusIxEExEEDaPvRmT3_T4_T5_mT6_P12ihipStream_tbENKUlT_T0_E_clISt17integral_constantIbLb0EESU_EEDaSP_SQ_EUlSP_E0_NS1_11comp_targetILNS1_3genE10ELNS1_11target_archE1200ELNS1_3gpuE4ELNS1_3repE0EEENS1_30default_config_static_selectorELNS0_4arch9wavefront6targetE1EEEvT1_
		.amdhsa_group_segment_fixed_size 0
		.amdhsa_private_segment_fixed_size 0
		.amdhsa_kernarg_size 40
		.amdhsa_user_sgpr_count 6
		.amdhsa_user_sgpr_private_segment_buffer 1
		.amdhsa_user_sgpr_dispatch_ptr 0
		.amdhsa_user_sgpr_queue_ptr 0
		.amdhsa_user_sgpr_kernarg_segment_ptr 1
		.amdhsa_user_sgpr_dispatch_id 0
		.amdhsa_user_sgpr_flat_scratch_init 0
		.amdhsa_user_sgpr_kernarg_preload_length 0
		.amdhsa_user_sgpr_kernarg_preload_offset 0
		.amdhsa_user_sgpr_private_segment_size 0
		.amdhsa_uses_dynamic_stack 0
		.amdhsa_system_sgpr_private_segment_wavefront_offset 0
		.amdhsa_system_sgpr_workgroup_id_x 1
		.amdhsa_system_sgpr_workgroup_id_y 0
		.amdhsa_system_sgpr_workgroup_id_z 0
		.amdhsa_system_sgpr_workgroup_info 0
		.amdhsa_system_vgpr_workitem_id 0
		.amdhsa_next_free_vgpr 1
		.amdhsa_next_free_sgpr 0
		.amdhsa_accum_offset 4
		.amdhsa_reserve_vcc 0
		.amdhsa_reserve_flat_scratch 0
		.amdhsa_float_round_mode_32 0
		.amdhsa_float_round_mode_16_64 0
		.amdhsa_float_denorm_mode_32 3
		.amdhsa_float_denorm_mode_16_64 3
		.amdhsa_dx10_clamp 1
		.amdhsa_ieee_mode 1
		.amdhsa_fp16_overflow 0
		.amdhsa_tg_split 0
		.amdhsa_exception_fp_ieee_invalid_op 0
		.amdhsa_exception_fp_denorm_src 0
		.amdhsa_exception_fp_ieee_div_zero 0
		.amdhsa_exception_fp_ieee_overflow 0
		.amdhsa_exception_fp_ieee_underflow 0
		.amdhsa_exception_fp_ieee_inexact 0
		.amdhsa_exception_int_div_zero 0
	.end_amdhsa_kernel
	.section	.text._ZN7rocprim17ROCPRIM_400000_NS6detail17trampoline_kernelINS0_14default_configENS1_20scan_config_selectorIxEEZZNS1_9scan_implILNS1_25lookback_scan_determinismE0ELb1ELb1ES3_N6thrust23THRUST_200600_302600_NS6detail15normal_iteratorINS9_10device_ptrIxEEEESE_xNS9_4plusIxEExEEDaPvRmT3_T4_T5_mT6_P12ihipStream_tbENKUlT_T0_E_clISt17integral_constantIbLb0EESU_EEDaSP_SQ_EUlSP_E0_NS1_11comp_targetILNS1_3genE10ELNS1_11target_archE1200ELNS1_3gpuE4ELNS1_3repE0EEENS1_30default_config_static_selectorELNS0_4arch9wavefront6targetE1EEEvT1_,"axG",@progbits,_ZN7rocprim17ROCPRIM_400000_NS6detail17trampoline_kernelINS0_14default_configENS1_20scan_config_selectorIxEEZZNS1_9scan_implILNS1_25lookback_scan_determinismE0ELb1ELb1ES3_N6thrust23THRUST_200600_302600_NS6detail15normal_iteratorINS9_10device_ptrIxEEEESE_xNS9_4plusIxEExEEDaPvRmT3_T4_T5_mT6_P12ihipStream_tbENKUlT_T0_E_clISt17integral_constantIbLb0EESU_EEDaSP_SQ_EUlSP_E0_NS1_11comp_targetILNS1_3genE10ELNS1_11target_archE1200ELNS1_3gpuE4ELNS1_3repE0EEENS1_30default_config_static_selectorELNS0_4arch9wavefront6targetE1EEEvT1_,comdat
.Lfunc_end357:
	.size	_ZN7rocprim17ROCPRIM_400000_NS6detail17trampoline_kernelINS0_14default_configENS1_20scan_config_selectorIxEEZZNS1_9scan_implILNS1_25lookback_scan_determinismE0ELb1ELb1ES3_N6thrust23THRUST_200600_302600_NS6detail15normal_iteratorINS9_10device_ptrIxEEEESE_xNS9_4plusIxEExEEDaPvRmT3_T4_T5_mT6_P12ihipStream_tbENKUlT_T0_E_clISt17integral_constantIbLb0EESU_EEDaSP_SQ_EUlSP_E0_NS1_11comp_targetILNS1_3genE10ELNS1_11target_archE1200ELNS1_3gpuE4ELNS1_3repE0EEENS1_30default_config_static_selectorELNS0_4arch9wavefront6targetE1EEEvT1_, .Lfunc_end357-_ZN7rocprim17ROCPRIM_400000_NS6detail17trampoline_kernelINS0_14default_configENS1_20scan_config_selectorIxEEZZNS1_9scan_implILNS1_25lookback_scan_determinismE0ELb1ELb1ES3_N6thrust23THRUST_200600_302600_NS6detail15normal_iteratorINS9_10device_ptrIxEEEESE_xNS9_4plusIxEExEEDaPvRmT3_T4_T5_mT6_P12ihipStream_tbENKUlT_T0_E_clISt17integral_constantIbLb0EESU_EEDaSP_SQ_EUlSP_E0_NS1_11comp_targetILNS1_3genE10ELNS1_11target_archE1200ELNS1_3gpuE4ELNS1_3repE0EEENS1_30default_config_static_selectorELNS0_4arch9wavefront6targetE1EEEvT1_
                                        ; -- End function
	.section	.AMDGPU.csdata,"",@progbits
; Kernel info:
; codeLenInByte = 0
; NumSgprs: 4
; NumVgprs: 0
; NumAgprs: 0
; TotalNumVgprs: 0
; ScratchSize: 0
; MemoryBound: 0
; FloatMode: 240
; IeeeMode: 1
; LDSByteSize: 0 bytes/workgroup (compile time only)
; SGPRBlocks: 0
; VGPRBlocks: 0
; NumSGPRsForWavesPerEU: 4
; NumVGPRsForWavesPerEU: 1
; AccumOffset: 4
; Occupancy: 8
; WaveLimiterHint : 0
; COMPUTE_PGM_RSRC2:SCRATCH_EN: 0
; COMPUTE_PGM_RSRC2:USER_SGPR: 6
; COMPUTE_PGM_RSRC2:TRAP_HANDLER: 0
; COMPUTE_PGM_RSRC2:TGID_X_EN: 1
; COMPUTE_PGM_RSRC2:TGID_Y_EN: 0
; COMPUTE_PGM_RSRC2:TGID_Z_EN: 0
; COMPUTE_PGM_RSRC2:TIDIG_COMP_CNT: 0
; COMPUTE_PGM_RSRC3_GFX90A:ACCUM_OFFSET: 0
; COMPUTE_PGM_RSRC3_GFX90A:TG_SPLIT: 0
	.section	.text._ZN7rocprim17ROCPRIM_400000_NS6detail17trampoline_kernelINS0_14default_configENS1_20scan_config_selectorIxEEZZNS1_9scan_implILNS1_25lookback_scan_determinismE0ELb1ELb1ES3_N6thrust23THRUST_200600_302600_NS6detail15normal_iteratorINS9_10device_ptrIxEEEESE_xNS9_4plusIxEExEEDaPvRmT3_T4_T5_mT6_P12ihipStream_tbENKUlT_T0_E_clISt17integral_constantIbLb0EESU_EEDaSP_SQ_EUlSP_E0_NS1_11comp_targetILNS1_3genE9ELNS1_11target_archE1100ELNS1_3gpuE3ELNS1_3repE0EEENS1_30default_config_static_selectorELNS0_4arch9wavefront6targetE1EEEvT1_,"axG",@progbits,_ZN7rocprim17ROCPRIM_400000_NS6detail17trampoline_kernelINS0_14default_configENS1_20scan_config_selectorIxEEZZNS1_9scan_implILNS1_25lookback_scan_determinismE0ELb1ELb1ES3_N6thrust23THRUST_200600_302600_NS6detail15normal_iteratorINS9_10device_ptrIxEEEESE_xNS9_4plusIxEExEEDaPvRmT3_T4_T5_mT6_P12ihipStream_tbENKUlT_T0_E_clISt17integral_constantIbLb0EESU_EEDaSP_SQ_EUlSP_E0_NS1_11comp_targetILNS1_3genE9ELNS1_11target_archE1100ELNS1_3gpuE3ELNS1_3repE0EEENS1_30default_config_static_selectorELNS0_4arch9wavefront6targetE1EEEvT1_,comdat
	.protected	_ZN7rocprim17ROCPRIM_400000_NS6detail17trampoline_kernelINS0_14default_configENS1_20scan_config_selectorIxEEZZNS1_9scan_implILNS1_25lookback_scan_determinismE0ELb1ELb1ES3_N6thrust23THRUST_200600_302600_NS6detail15normal_iteratorINS9_10device_ptrIxEEEESE_xNS9_4plusIxEExEEDaPvRmT3_T4_T5_mT6_P12ihipStream_tbENKUlT_T0_E_clISt17integral_constantIbLb0EESU_EEDaSP_SQ_EUlSP_E0_NS1_11comp_targetILNS1_3genE9ELNS1_11target_archE1100ELNS1_3gpuE3ELNS1_3repE0EEENS1_30default_config_static_selectorELNS0_4arch9wavefront6targetE1EEEvT1_ ; -- Begin function _ZN7rocprim17ROCPRIM_400000_NS6detail17trampoline_kernelINS0_14default_configENS1_20scan_config_selectorIxEEZZNS1_9scan_implILNS1_25lookback_scan_determinismE0ELb1ELb1ES3_N6thrust23THRUST_200600_302600_NS6detail15normal_iteratorINS9_10device_ptrIxEEEESE_xNS9_4plusIxEExEEDaPvRmT3_T4_T5_mT6_P12ihipStream_tbENKUlT_T0_E_clISt17integral_constantIbLb0EESU_EEDaSP_SQ_EUlSP_E0_NS1_11comp_targetILNS1_3genE9ELNS1_11target_archE1100ELNS1_3gpuE3ELNS1_3repE0EEENS1_30default_config_static_selectorELNS0_4arch9wavefront6targetE1EEEvT1_
	.globl	_ZN7rocprim17ROCPRIM_400000_NS6detail17trampoline_kernelINS0_14default_configENS1_20scan_config_selectorIxEEZZNS1_9scan_implILNS1_25lookback_scan_determinismE0ELb1ELb1ES3_N6thrust23THRUST_200600_302600_NS6detail15normal_iteratorINS9_10device_ptrIxEEEESE_xNS9_4plusIxEExEEDaPvRmT3_T4_T5_mT6_P12ihipStream_tbENKUlT_T0_E_clISt17integral_constantIbLb0EESU_EEDaSP_SQ_EUlSP_E0_NS1_11comp_targetILNS1_3genE9ELNS1_11target_archE1100ELNS1_3gpuE3ELNS1_3repE0EEENS1_30default_config_static_selectorELNS0_4arch9wavefront6targetE1EEEvT1_
	.p2align	8
	.type	_ZN7rocprim17ROCPRIM_400000_NS6detail17trampoline_kernelINS0_14default_configENS1_20scan_config_selectorIxEEZZNS1_9scan_implILNS1_25lookback_scan_determinismE0ELb1ELb1ES3_N6thrust23THRUST_200600_302600_NS6detail15normal_iteratorINS9_10device_ptrIxEEEESE_xNS9_4plusIxEExEEDaPvRmT3_T4_T5_mT6_P12ihipStream_tbENKUlT_T0_E_clISt17integral_constantIbLb0EESU_EEDaSP_SQ_EUlSP_E0_NS1_11comp_targetILNS1_3genE9ELNS1_11target_archE1100ELNS1_3gpuE3ELNS1_3repE0EEENS1_30default_config_static_selectorELNS0_4arch9wavefront6targetE1EEEvT1_,@function
_ZN7rocprim17ROCPRIM_400000_NS6detail17trampoline_kernelINS0_14default_configENS1_20scan_config_selectorIxEEZZNS1_9scan_implILNS1_25lookback_scan_determinismE0ELb1ELb1ES3_N6thrust23THRUST_200600_302600_NS6detail15normal_iteratorINS9_10device_ptrIxEEEESE_xNS9_4plusIxEExEEDaPvRmT3_T4_T5_mT6_P12ihipStream_tbENKUlT_T0_E_clISt17integral_constantIbLb0EESU_EEDaSP_SQ_EUlSP_E0_NS1_11comp_targetILNS1_3genE9ELNS1_11target_archE1100ELNS1_3gpuE3ELNS1_3repE0EEENS1_30default_config_static_selectorELNS0_4arch9wavefront6targetE1EEEvT1_: ; @_ZN7rocprim17ROCPRIM_400000_NS6detail17trampoline_kernelINS0_14default_configENS1_20scan_config_selectorIxEEZZNS1_9scan_implILNS1_25lookback_scan_determinismE0ELb1ELb1ES3_N6thrust23THRUST_200600_302600_NS6detail15normal_iteratorINS9_10device_ptrIxEEEESE_xNS9_4plusIxEExEEDaPvRmT3_T4_T5_mT6_P12ihipStream_tbENKUlT_T0_E_clISt17integral_constantIbLb0EESU_EEDaSP_SQ_EUlSP_E0_NS1_11comp_targetILNS1_3genE9ELNS1_11target_archE1100ELNS1_3gpuE3ELNS1_3repE0EEENS1_30default_config_static_selectorELNS0_4arch9wavefront6targetE1EEEvT1_
; %bb.0:
	.section	.rodata,"a",@progbits
	.p2align	6, 0x0
	.amdhsa_kernel _ZN7rocprim17ROCPRIM_400000_NS6detail17trampoline_kernelINS0_14default_configENS1_20scan_config_selectorIxEEZZNS1_9scan_implILNS1_25lookback_scan_determinismE0ELb1ELb1ES3_N6thrust23THRUST_200600_302600_NS6detail15normal_iteratorINS9_10device_ptrIxEEEESE_xNS9_4plusIxEExEEDaPvRmT3_T4_T5_mT6_P12ihipStream_tbENKUlT_T0_E_clISt17integral_constantIbLb0EESU_EEDaSP_SQ_EUlSP_E0_NS1_11comp_targetILNS1_3genE9ELNS1_11target_archE1100ELNS1_3gpuE3ELNS1_3repE0EEENS1_30default_config_static_selectorELNS0_4arch9wavefront6targetE1EEEvT1_
		.amdhsa_group_segment_fixed_size 0
		.amdhsa_private_segment_fixed_size 0
		.amdhsa_kernarg_size 40
		.amdhsa_user_sgpr_count 6
		.amdhsa_user_sgpr_private_segment_buffer 1
		.amdhsa_user_sgpr_dispatch_ptr 0
		.amdhsa_user_sgpr_queue_ptr 0
		.amdhsa_user_sgpr_kernarg_segment_ptr 1
		.amdhsa_user_sgpr_dispatch_id 0
		.amdhsa_user_sgpr_flat_scratch_init 0
		.amdhsa_user_sgpr_kernarg_preload_length 0
		.amdhsa_user_sgpr_kernarg_preload_offset 0
		.amdhsa_user_sgpr_private_segment_size 0
		.amdhsa_uses_dynamic_stack 0
		.amdhsa_system_sgpr_private_segment_wavefront_offset 0
		.amdhsa_system_sgpr_workgroup_id_x 1
		.amdhsa_system_sgpr_workgroup_id_y 0
		.amdhsa_system_sgpr_workgroup_id_z 0
		.amdhsa_system_sgpr_workgroup_info 0
		.amdhsa_system_vgpr_workitem_id 0
		.amdhsa_next_free_vgpr 1
		.amdhsa_next_free_sgpr 0
		.amdhsa_accum_offset 4
		.amdhsa_reserve_vcc 0
		.amdhsa_reserve_flat_scratch 0
		.amdhsa_float_round_mode_32 0
		.amdhsa_float_round_mode_16_64 0
		.amdhsa_float_denorm_mode_32 3
		.amdhsa_float_denorm_mode_16_64 3
		.amdhsa_dx10_clamp 1
		.amdhsa_ieee_mode 1
		.amdhsa_fp16_overflow 0
		.amdhsa_tg_split 0
		.amdhsa_exception_fp_ieee_invalid_op 0
		.amdhsa_exception_fp_denorm_src 0
		.amdhsa_exception_fp_ieee_div_zero 0
		.amdhsa_exception_fp_ieee_overflow 0
		.amdhsa_exception_fp_ieee_underflow 0
		.amdhsa_exception_fp_ieee_inexact 0
		.amdhsa_exception_int_div_zero 0
	.end_amdhsa_kernel
	.section	.text._ZN7rocprim17ROCPRIM_400000_NS6detail17trampoline_kernelINS0_14default_configENS1_20scan_config_selectorIxEEZZNS1_9scan_implILNS1_25lookback_scan_determinismE0ELb1ELb1ES3_N6thrust23THRUST_200600_302600_NS6detail15normal_iteratorINS9_10device_ptrIxEEEESE_xNS9_4plusIxEExEEDaPvRmT3_T4_T5_mT6_P12ihipStream_tbENKUlT_T0_E_clISt17integral_constantIbLb0EESU_EEDaSP_SQ_EUlSP_E0_NS1_11comp_targetILNS1_3genE9ELNS1_11target_archE1100ELNS1_3gpuE3ELNS1_3repE0EEENS1_30default_config_static_selectorELNS0_4arch9wavefront6targetE1EEEvT1_,"axG",@progbits,_ZN7rocprim17ROCPRIM_400000_NS6detail17trampoline_kernelINS0_14default_configENS1_20scan_config_selectorIxEEZZNS1_9scan_implILNS1_25lookback_scan_determinismE0ELb1ELb1ES3_N6thrust23THRUST_200600_302600_NS6detail15normal_iteratorINS9_10device_ptrIxEEEESE_xNS9_4plusIxEExEEDaPvRmT3_T4_T5_mT6_P12ihipStream_tbENKUlT_T0_E_clISt17integral_constantIbLb0EESU_EEDaSP_SQ_EUlSP_E0_NS1_11comp_targetILNS1_3genE9ELNS1_11target_archE1100ELNS1_3gpuE3ELNS1_3repE0EEENS1_30default_config_static_selectorELNS0_4arch9wavefront6targetE1EEEvT1_,comdat
.Lfunc_end358:
	.size	_ZN7rocprim17ROCPRIM_400000_NS6detail17trampoline_kernelINS0_14default_configENS1_20scan_config_selectorIxEEZZNS1_9scan_implILNS1_25lookback_scan_determinismE0ELb1ELb1ES3_N6thrust23THRUST_200600_302600_NS6detail15normal_iteratorINS9_10device_ptrIxEEEESE_xNS9_4plusIxEExEEDaPvRmT3_T4_T5_mT6_P12ihipStream_tbENKUlT_T0_E_clISt17integral_constantIbLb0EESU_EEDaSP_SQ_EUlSP_E0_NS1_11comp_targetILNS1_3genE9ELNS1_11target_archE1100ELNS1_3gpuE3ELNS1_3repE0EEENS1_30default_config_static_selectorELNS0_4arch9wavefront6targetE1EEEvT1_, .Lfunc_end358-_ZN7rocprim17ROCPRIM_400000_NS6detail17trampoline_kernelINS0_14default_configENS1_20scan_config_selectorIxEEZZNS1_9scan_implILNS1_25lookback_scan_determinismE0ELb1ELb1ES3_N6thrust23THRUST_200600_302600_NS6detail15normal_iteratorINS9_10device_ptrIxEEEESE_xNS9_4plusIxEExEEDaPvRmT3_T4_T5_mT6_P12ihipStream_tbENKUlT_T0_E_clISt17integral_constantIbLb0EESU_EEDaSP_SQ_EUlSP_E0_NS1_11comp_targetILNS1_3genE9ELNS1_11target_archE1100ELNS1_3gpuE3ELNS1_3repE0EEENS1_30default_config_static_selectorELNS0_4arch9wavefront6targetE1EEEvT1_
                                        ; -- End function
	.section	.AMDGPU.csdata,"",@progbits
; Kernel info:
; codeLenInByte = 0
; NumSgprs: 4
; NumVgprs: 0
; NumAgprs: 0
; TotalNumVgprs: 0
; ScratchSize: 0
; MemoryBound: 0
; FloatMode: 240
; IeeeMode: 1
; LDSByteSize: 0 bytes/workgroup (compile time only)
; SGPRBlocks: 0
; VGPRBlocks: 0
; NumSGPRsForWavesPerEU: 4
; NumVGPRsForWavesPerEU: 1
; AccumOffset: 4
; Occupancy: 8
; WaveLimiterHint : 0
; COMPUTE_PGM_RSRC2:SCRATCH_EN: 0
; COMPUTE_PGM_RSRC2:USER_SGPR: 6
; COMPUTE_PGM_RSRC2:TRAP_HANDLER: 0
; COMPUTE_PGM_RSRC2:TGID_X_EN: 1
; COMPUTE_PGM_RSRC2:TGID_Y_EN: 0
; COMPUTE_PGM_RSRC2:TGID_Z_EN: 0
; COMPUTE_PGM_RSRC2:TIDIG_COMP_CNT: 0
; COMPUTE_PGM_RSRC3_GFX90A:ACCUM_OFFSET: 0
; COMPUTE_PGM_RSRC3_GFX90A:TG_SPLIT: 0
	.section	.text._ZN7rocprim17ROCPRIM_400000_NS6detail17trampoline_kernelINS0_14default_configENS1_20scan_config_selectorIxEEZZNS1_9scan_implILNS1_25lookback_scan_determinismE0ELb1ELb1ES3_N6thrust23THRUST_200600_302600_NS6detail15normal_iteratorINS9_10device_ptrIxEEEESE_xNS9_4plusIxEExEEDaPvRmT3_T4_T5_mT6_P12ihipStream_tbENKUlT_T0_E_clISt17integral_constantIbLb0EESU_EEDaSP_SQ_EUlSP_E0_NS1_11comp_targetILNS1_3genE8ELNS1_11target_archE1030ELNS1_3gpuE2ELNS1_3repE0EEENS1_30default_config_static_selectorELNS0_4arch9wavefront6targetE1EEEvT1_,"axG",@progbits,_ZN7rocprim17ROCPRIM_400000_NS6detail17trampoline_kernelINS0_14default_configENS1_20scan_config_selectorIxEEZZNS1_9scan_implILNS1_25lookback_scan_determinismE0ELb1ELb1ES3_N6thrust23THRUST_200600_302600_NS6detail15normal_iteratorINS9_10device_ptrIxEEEESE_xNS9_4plusIxEExEEDaPvRmT3_T4_T5_mT6_P12ihipStream_tbENKUlT_T0_E_clISt17integral_constantIbLb0EESU_EEDaSP_SQ_EUlSP_E0_NS1_11comp_targetILNS1_3genE8ELNS1_11target_archE1030ELNS1_3gpuE2ELNS1_3repE0EEENS1_30default_config_static_selectorELNS0_4arch9wavefront6targetE1EEEvT1_,comdat
	.protected	_ZN7rocprim17ROCPRIM_400000_NS6detail17trampoline_kernelINS0_14default_configENS1_20scan_config_selectorIxEEZZNS1_9scan_implILNS1_25lookback_scan_determinismE0ELb1ELb1ES3_N6thrust23THRUST_200600_302600_NS6detail15normal_iteratorINS9_10device_ptrIxEEEESE_xNS9_4plusIxEExEEDaPvRmT3_T4_T5_mT6_P12ihipStream_tbENKUlT_T0_E_clISt17integral_constantIbLb0EESU_EEDaSP_SQ_EUlSP_E0_NS1_11comp_targetILNS1_3genE8ELNS1_11target_archE1030ELNS1_3gpuE2ELNS1_3repE0EEENS1_30default_config_static_selectorELNS0_4arch9wavefront6targetE1EEEvT1_ ; -- Begin function _ZN7rocprim17ROCPRIM_400000_NS6detail17trampoline_kernelINS0_14default_configENS1_20scan_config_selectorIxEEZZNS1_9scan_implILNS1_25lookback_scan_determinismE0ELb1ELb1ES3_N6thrust23THRUST_200600_302600_NS6detail15normal_iteratorINS9_10device_ptrIxEEEESE_xNS9_4plusIxEExEEDaPvRmT3_T4_T5_mT6_P12ihipStream_tbENKUlT_T0_E_clISt17integral_constantIbLb0EESU_EEDaSP_SQ_EUlSP_E0_NS1_11comp_targetILNS1_3genE8ELNS1_11target_archE1030ELNS1_3gpuE2ELNS1_3repE0EEENS1_30default_config_static_selectorELNS0_4arch9wavefront6targetE1EEEvT1_
	.globl	_ZN7rocprim17ROCPRIM_400000_NS6detail17trampoline_kernelINS0_14default_configENS1_20scan_config_selectorIxEEZZNS1_9scan_implILNS1_25lookback_scan_determinismE0ELb1ELb1ES3_N6thrust23THRUST_200600_302600_NS6detail15normal_iteratorINS9_10device_ptrIxEEEESE_xNS9_4plusIxEExEEDaPvRmT3_T4_T5_mT6_P12ihipStream_tbENKUlT_T0_E_clISt17integral_constantIbLb0EESU_EEDaSP_SQ_EUlSP_E0_NS1_11comp_targetILNS1_3genE8ELNS1_11target_archE1030ELNS1_3gpuE2ELNS1_3repE0EEENS1_30default_config_static_selectorELNS0_4arch9wavefront6targetE1EEEvT1_
	.p2align	8
	.type	_ZN7rocprim17ROCPRIM_400000_NS6detail17trampoline_kernelINS0_14default_configENS1_20scan_config_selectorIxEEZZNS1_9scan_implILNS1_25lookback_scan_determinismE0ELb1ELb1ES3_N6thrust23THRUST_200600_302600_NS6detail15normal_iteratorINS9_10device_ptrIxEEEESE_xNS9_4plusIxEExEEDaPvRmT3_T4_T5_mT6_P12ihipStream_tbENKUlT_T0_E_clISt17integral_constantIbLb0EESU_EEDaSP_SQ_EUlSP_E0_NS1_11comp_targetILNS1_3genE8ELNS1_11target_archE1030ELNS1_3gpuE2ELNS1_3repE0EEENS1_30default_config_static_selectorELNS0_4arch9wavefront6targetE1EEEvT1_,@function
_ZN7rocprim17ROCPRIM_400000_NS6detail17trampoline_kernelINS0_14default_configENS1_20scan_config_selectorIxEEZZNS1_9scan_implILNS1_25lookback_scan_determinismE0ELb1ELb1ES3_N6thrust23THRUST_200600_302600_NS6detail15normal_iteratorINS9_10device_ptrIxEEEESE_xNS9_4plusIxEExEEDaPvRmT3_T4_T5_mT6_P12ihipStream_tbENKUlT_T0_E_clISt17integral_constantIbLb0EESU_EEDaSP_SQ_EUlSP_E0_NS1_11comp_targetILNS1_3genE8ELNS1_11target_archE1030ELNS1_3gpuE2ELNS1_3repE0EEENS1_30default_config_static_selectorELNS0_4arch9wavefront6targetE1EEEvT1_: ; @_ZN7rocprim17ROCPRIM_400000_NS6detail17trampoline_kernelINS0_14default_configENS1_20scan_config_selectorIxEEZZNS1_9scan_implILNS1_25lookback_scan_determinismE0ELb1ELb1ES3_N6thrust23THRUST_200600_302600_NS6detail15normal_iteratorINS9_10device_ptrIxEEEESE_xNS9_4plusIxEExEEDaPvRmT3_T4_T5_mT6_P12ihipStream_tbENKUlT_T0_E_clISt17integral_constantIbLb0EESU_EEDaSP_SQ_EUlSP_E0_NS1_11comp_targetILNS1_3genE8ELNS1_11target_archE1030ELNS1_3gpuE2ELNS1_3repE0EEENS1_30default_config_static_selectorELNS0_4arch9wavefront6targetE1EEEvT1_
; %bb.0:
	.section	.rodata,"a",@progbits
	.p2align	6, 0x0
	.amdhsa_kernel _ZN7rocprim17ROCPRIM_400000_NS6detail17trampoline_kernelINS0_14default_configENS1_20scan_config_selectorIxEEZZNS1_9scan_implILNS1_25lookback_scan_determinismE0ELb1ELb1ES3_N6thrust23THRUST_200600_302600_NS6detail15normal_iteratorINS9_10device_ptrIxEEEESE_xNS9_4plusIxEExEEDaPvRmT3_T4_T5_mT6_P12ihipStream_tbENKUlT_T0_E_clISt17integral_constantIbLb0EESU_EEDaSP_SQ_EUlSP_E0_NS1_11comp_targetILNS1_3genE8ELNS1_11target_archE1030ELNS1_3gpuE2ELNS1_3repE0EEENS1_30default_config_static_selectorELNS0_4arch9wavefront6targetE1EEEvT1_
		.amdhsa_group_segment_fixed_size 0
		.amdhsa_private_segment_fixed_size 0
		.amdhsa_kernarg_size 40
		.amdhsa_user_sgpr_count 6
		.amdhsa_user_sgpr_private_segment_buffer 1
		.amdhsa_user_sgpr_dispatch_ptr 0
		.amdhsa_user_sgpr_queue_ptr 0
		.amdhsa_user_sgpr_kernarg_segment_ptr 1
		.amdhsa_user_sgpr_dispatch_id 0
		.amdhsa_user_sgpr_flat_scratch_init 0
		.amdhsa_user_sgpr_kernarg_preload_length 0
		.amdhsa_user_sgpr_kernarg_preload_offset 0
		.amdhsa_user_sgpr_private_segment_size 0
		.amdhsa_uses_dynamic_stack 0
		.amdhsa_system_sgpr_private_segment_wavefront_offset 0
		.amdhsa_system_sgpr_workgroup_id_x 1
		.amdhsa_system_sgpr_workgroup_id_y 0
		.amdhsa_system_sgpr_workgroup_id_z 0
		.amdhsa_system_sgpr_workgroup_info 0
		.amdhsa_system_vgpr_workitem_id 0
		.amdhsa_next_free_vgpr 1
		.amdhsa_next_free_sgpr 0
		.amdhsa_accum_offset 4
		.amdhsa_reserve_vcc 0
		.amdhsa_reserve_flat_scratch 0
		.amdhsa_float_round_mode_32 0
		.amdhsa_float_round_mode_16_64 0
		.amdhsa_float_denorm_mode_32 3
		.amdhsa_float_denorm_mode_16_64 3
		.amdhsa_dx10_clamp 1
		.amdhsa_ieee_mode 1
		.amdhsa_fp16_overflow 0
		.amdhsa_tg_split 0
		.amdhsa_exception_fp_ieee_invalid_op 0
		.amdhsa_exception_fp_denorm_src 0
		.amdhsa_exception_fp_ieee_div_zero 0
		.amdhsa_exception_fp_ieee_overflow 0
		.amdhsa_exception_fp_ieee_underflow 0
		.amdhsa_exception_fp_ieee_inexact 0
		.amdhsa_exception_int_div_zero 0
	.end_amdhsa_kernel
	.section	.text._ZN7rocprim17ROCPRIM_400000_NS6detail17trampoline_kernelINS0_14default_configENS1_20scan_config_selectorIxEEZZNS1_9scan_implILNS1_25lookback_scan_determinismE0ELb1ELb1ES3_N6thrust23THRUST_200600_302600_NS6detail15normal_iteratorINS9_10device_ptrIxEEEESE_xNS9_4plusIxEExEEDaPvRmT3_T4_T5_mT6_P12ihipStream_tbENKUlT_T0_E_clISt17integral_constantIbLb0EESU_EEDaSP_SQ_EUlSP_E0_NS1_11comp_targetILNS1_3genE8ELNS1_11target_archE1030ELNS1_3gpuE2ELNS1_3repE0EEENS1_30default_config_static_selectorELNS0_4arch9wavefront6targetE1EEEvT1_,"axG",@progbits,_ZN7rocprim17ROCPRIM_400000_NS6detail17trampoline_kernelINS0_14default_configENS1_20scan_config_selectorIxEEZZNS1_9scan_implILNS1_25lookback_scan_determinismE0ELb1ELb1ES3_N6thrust23THRUST_200600_302600_NS6detail15normal_iteratorINS9_10device_ptrIxEEEESE_xNS9_4plusIxEExEEDaPvRmT3_T4_T5_mT6_P12ihipStream_tbENKUlT_T0_E_clISt17integral_constantIbLb0EESU_EEDaSP_SQ_EUlSP_E0_NS1_11comp_targetILNS1_3genE8ELNS1_11target_archE1030ELNS1_3gpuE2ELNS1_3repE0EEENS1_30default_config_static_selectorELNS0_4arch9wavefront6targetE1EEEvT1_,comdat
.Lfunc_end359:
	.size	_ZN7rocprim17ROCPRIM_400000_NS6detail17trampoline_kernelINS0_14default_configENS1_20scan_config_selectorIxEEZZNS1_9scan_implILNS1_25lookback_scan_determinismE0ELb1ELb1ES3_N6thrust23THRUST_200600_302600_NS6detail15normal_iteratorINS9_10device_ptrIxEEEESE_xNS9_4plusIxEExEEDaPvRmT3_T4_T5_mT6_P12ihipStream_tbENKUlT_T0_E_clISt17integral_constantIbLb0EESU_EEDaSP_SQ_EUlSP_E0_NS1_11comp_targetILNS1_3genE8ELNS1_11target_archE1030ELNS1_3gpuE2ELNS1_3repE0EEENS1_30default_config_static_selectorELNS0_4arch9wavefront6targetE1EEEvT1_, .Lfunc_end359-_ZN7rocprim17ROCPRIM_400000_NS6detail17trampoline_kernelINS0_14default_configENS1_20scan_config_selectorIxEEZZNS1_9scan_implILNS1_25lookback_scan_determinismE0ELb1ELb1ES3_N6thrust23THRUST_200600_302600_NS6detail15normal_iteratorINS9_10device_ptrIxEEEESE_xNS9_4plusIxEExEEDaPvRmT3_T4_T5_mT6_P12ihipStream_tbENKUlT_T0_E_clISt17integral_constantIbLb0EESU_EEDaSP_SQ_EUlSP_E0_NS1_11comp_targetILNS1_3genE8ELNS1_11target_archE1030ELNS1_3gpuE2ELNS1_3repE0EEENS1_30default_config_static_selectorELNS0_4arch9wavefront6targetE1EEEvT1_
                                        ; -- End function
	.section	.AMDGPU.csdata,"",@progbits
; Kernel info:
; codeLenInByte = 0
; NumSgprs: 4
; NumVgprs: 0
; NumAgprs: 0
; TotalNumVgprs: 0
; ScratchSize: 0
; MemoryBound: 0
; FloatMode: 240
; IeeeMode: 1
; LDSByteSize: 0 bytes/workgroup (compile time only)
; SGPRBlocks: 0
; VGPRBlocks: 0
; NumSGPRsForWavesPerEU: 4
; NumVGPRsForWavesPerEU: 1
; AccumOffset: 4
; Occupancy: 8
; WaveLimiterHint : 0
; COMPUTE_PGM_RSRC2:SCRATCH_EN: 0
; COMPUTE_PGM_RSRC2:USER_SGPR: 6
; COMPUTE_PGM_RSRC2:TRAP_HANDLER: 0
; COMPUTE_PGM_RSRC2:TGID_X_EN: 1
; COMPUTE_PGM_RSRC2:TGID_Y_EN: 0
; COMPUTE_PGM_RSRC2:TGID_Z_EN: 0
; COMPUTE_PGM_RSRC2:TIDIG_COMP_CNT: 0
; COMPUTE_PGM_RSRC3_GFX90A:ACCUM_OFFSET: 0
; COMPUTE_PGM_RSRC3_GFX90A:TG_SPLIT: 0
	.section	.text._ZN7rocprim17ROCPRIM_400000_NS6detail17trampoline_kernelINS0_14default_configENS1_20scan_config_selectorIxEEZZNS1_9scan_implILNS1_25lookback_scan_determinismE0ELb1ELb1ES3_N6thrust23THRUST_200600_302600_NS6detail15normal_iteratorINS9_10device_ptrIxEEEESE_xNS9_4plusIxEExEEDaPvRmT3_T4_T5_mT6_P12ihipStream_tbENKUlT_T0_E_clISt17integral_constantIbLb1EESU_EEDaSP_SQ_EUlSP_E_NS1_11comp_targetILNS1_3genE0ELNS1_11target_archE4294967295ELNS1_3gpuE0ELNS1_3repE0EEENS1_30default_config_static_selectorELNS0_4arch9wavefront6targetE1EEEvT1_,"axG",@progbits,_ZN7rocprim17ROCPRIM_400000_NS6detail17trampoline_kernelINS0_14default_configENS1_20scan_config_selectorIxEEZZNS1_9scan_implILNS1_25lookback_scan_determinismE0ELb1ELb1ES3_N6thrust23THRUST_200600_302600_NS6detail15normal_iteratorINS9_10device_ptrIxEEEESE_xNS9_4plusIxEExEEDaPvRmT3_T4_T5_mT6_P12ihipStream_tbENKUlT_T0_E_clISt17integral_constantIbLb1EESU_EEDaSP_SQ_EUlSP_E_NS1_11comp_targetILNS1_3genE0ELNS1_11target_archE4294967295ELNS1_3gpuE0ELNS1_3repE0EEENS1_30default_config_static_selectorELNS0_4arch9wavefront6targetE1EEEvT1_,comdat
	.protected	_ZN7rocprim17ROCPRIM_400000_NS6detail17trampoline_kernelINS0_14default_configENS1_20scan_config_selectorIxEEZZNS1_9scan_implILNS1_25lookback_scan_determinismE0ELb1ELb1ES3_N6thrust23THRUST_200600_302600_NS6detail15normal_iteratorINS9_10device_ptrIxEEEESE_xNS9_4plusIxEExEEDaPvRmT3_T4_T5_mT6_P12ihipStream_tbENKUlT_T0_E_clISt17integral_constantIbLb1EESU_EEDaSP_SQ_EUlSP_E_NS1_11comp_targetILNS1_3genE0ELNS1_11target_archE4294967295ELNS1_3gpuE0ELNS1_3repE0EEENS1_30default_config_static_selectorELNS0_4arch9wavefront6targetE1EEEvT1_ ; -- Begin function _ZN7rocprim17ROCPRIM_400000_NS6detail17trampoline_kernelINS0_14default_configENS1_20scan_config_selectorIxEEZZNS1_9scan_implILNS1_25lookback_scan_determinismE0ELb1ELb1ES3_N6thrust23THRUST_200600_302600_NS6detail15normal_iteratorINS9_10device_ptrIxEEEESE_xNS9_4plusIxEExEEDaPvRmT3_T4_T5_mT6_P12ihipStream_tbENKUlT_T0_E_clISt17integral_constantIbLb1EESU_EEDaSP_SQ_EUlSP_E_NS1_11comp_targetILNS1_3genE0ELNS1_11target_archE4294967295ELNS1_3gpuE0ELNS1_3repE0EEENS1_30default_config_static_selectorELNS0_4arch9wavefront6targetE1EEEvT1_
	.globl	_ZN7rocprim17ROCPRIM_400000_NS6detail17trampoline_kernelINS0_14default_configENS1_20scan_config_selectorIxEEZZNS1_9scan_implILNS1_25lookback_scan_determinismE0ELb1ELb1ES3_N6thrust23THRUST_200600_302600_NS6detail15normal_iteratorINS9_10device_ptrIxEEEESE_xNS9_4plusIxEExEEDaPvRmT3_T4_T5_mT6_P12ihipStream_tbENKUlT_T0_E_clISt17integral_constantIbLb1EESU_EEDaSP_SQ_EUlSP_E_NS1_11comp_targetILNS1_3genE0ELNS1_11target_archE4294967295ELNS1_3gpuE0ELNS1_3repE0EEENS1_30default_config_static_selectorELNS0_4arch9wavefront6targetE1EEEvT1_
	.p2align	8
	.type	_ZN7rocprim17ROCPRIM_400000_NS6detail17trampoline_kernelINS0_14default_configENS1_20scan_config_selectorIxEEZZNS1_9scan_implILNS1_25lookback_scan_determinismE0ELb1ELb1ES3_N6thrust23THRUST_200600_302600_NS6detail15normal_iteratorINS9_10device_ptrIxEEEESE_xNS9_4plusIxEExEEDaPvRmT3_T4_T5_mT6_P12ihipStream_tbENKUlT_T0_E_clISt17integral_constantIbLb1EESU_EEDaSP_SQ_EUlSP_E_NS1_11comp_targetILNS1_3genE0ELNS1_11target_archE4294967295ELNS1_3gpuE0ELNS1_3repE0EEENS1_30default_config_static_selectorELNS0_4arch9wavefront6targetE1EEEvT1_,@function
_ZN7rocprim17ROCPRIM_400000_NS6detail17trampoline_kernelINS0_14default_configENS1_20scan_config_selectorIxEEZZNS1_9scan_implILNS1_25lookback_scan_determinismE0ELb1ELb1ES3_N6thrust23THRUST_200600_302600_NS6detail15normal_iteratorINS9_10device_ptrIxEEEESE_xNS9_4plusIxEExEEDaPvRmT3_T4_T5_mT6_P12ihipStream_tbENKUlT_T0_E_clISt17integral_constantIbLb1EESU_EEDaSP_SQ_EUlSP_E_NS1_11comp_targetILNS1_3genE0ELNS1_11target_archE4294967295ELNS1_3gpuE0ELNS1_3repE0EEENS1_30default_config_static_selectorELNS0_4arch9wavefront6targetE1EEEvT1_: ; @_ZN7rocprim17ROCPRIM_400000_NS6detail17trampoline_kernelINS0_14default_configENS1_20scan_config_selectorIxEEZZNS1_9scan_implILNS1_25lookback_scan_determinismE0ELb1ELb1ES3_N6thrust23THRUST_200600_302600_NS6detail15normal_iteratorINS9_10device_ptrIxEEEESE_xNS9_4plusIxEExEEDaPvRmT3_T4_T5_mT6_P12ihipStream_tbENKUlT_T0_E_clISt17integral_constantIbLb1EESU_EEDaSP_SQ_EUlSP_E_NS1_11comp_targetILNS1_3genE0ELNS1_11target_archE4294967295ELNS1_3gpuE0ELNS1_3repE0EEENS1_30default_config_static_selectorELNS0_4arch9wavefront6targetE1EEEvT1_
; %bb.0:
	.section	.rodata,"a",@progbits
	.p2align	6, 0x0
	.amdhsa_kernel _ZN7rocprim17ROCPRIM_400000_NS6detail17trampoline_kernelINS0_14default_configENS1_20scan_config_selectorIxEEZZNS1_9scan_implILNS1_25lookback_scan_determinismE0ELb1ELb1ES3_N6thrust23THRUST_200600_302600_NS6detail15normal_iteratorINS9_10device_ptrIxEEEESE_xNS9_4plusIxEExEEDaPvRmT3_T4_T5_mT6_P12ihipStream_tbENKUlT_T0_E_clISt17integral_constantIbLb1EESU_EEDaSP_SQ_EUlSP_E_NS1_11comp_targetILNS1_3genE0ELNS1_11target_archE4294967295ELNS1_3gpuE0ELNS1_3repE0EEENS1_30default_config_static_selectorELNS0_4arch9wavefront6targetE1EEEvT1_
		.amdhsa_group_segment_fixed_size 0
		.amdhsa_private_segment_fixed_size 0
		.amdhsa_kernarg_size 104
		.amdhsa_user_sgpr_count 6
		.amdhsa_user_sgpr_private_segment_buffer 1
		.amdhsa_user_sgpr_dispatch_ptr 0
		.amdhsa_user_sgpr_queue_ptr 0
		.amdhsa_user_sgpr_kernarg_segment_ptr 1
		.amdhsa_user_sgpr_dispatch_id 0
		.amdhsa_user_sgpr_flat_scratch_init 0
		.amdhsa_user_sgpr_kernarg_preload_length 0
		.amdhsa_user_sgpr_kernarg_preload_offset 0
		.amdhsa_user_sgpr_private_segment_size 0
		.amdhsa_uses_dynamic_stack 0
		.amdhsa_system_sgpr_private_segment_wavefront_offset 0
		.amdhsa_system_sgpr_workgroup_id_x 1
		.amdhsa_system_sgpr_workgroup_id_y 0
		.amdhsa_system_sgpr_workgroup_id_z 0
		.amdhsa_system_sgpr_workgroup_info 0
		.amdhsa_system_vgpr_workitem_id 0
		.amdhsa_next_free_vgpr 1
		.amdhsa_next_free_sgpr 0
		.amdhsa_accum_offset 4
		.amdhsa_reserve_vcc 0
		.amdhsa_reserve_flat_scratch 0
		.amdhsa_float_round_mode_32 0
		.amdhsa_float_round_mode_16_64 0
		.amdhsa_float_denorm_mode_32 3
		.amdhsa_float_denorm_mode_16_64 3
		.amdhsa_dx10_clamp 1
		.amdhsa_ieee_mode 1
		.amdhsa_fp16_overflow 0
		.amdhsa_tg_split 0
		.amdhsa_exception_fp_ieee_invalid_op 0
		.amdhsa_exception_fp_denorm_src 0
		.amdhsa_exception_fp_ieee_div_zero 0
		.amdhsa_exception_fp_ieee_overflow 0
		.amdhsa_exception_fp_ieee_underflow 0
		.amdhsa_exception_fp_ieee_inexact 0
		.amdhsa_exception_int_div_zero 0
	.end_amdhsa_kernel
	.section	.text._ZN7rocprim17ROCPRIM_400000_NS6detail17trampoline_kernelINS0_14default_configENS1_20scan_config_selectorIxEEZZNS1_9scan_implILNS1_25lookback_scan_determinismE0ELb1ELb1ES3_N6thrust23THRUST_200600_302600_NS6detail15normal_iteratorINS9_10device_ptrIxEEEESE_xNS9_4plusIxEExEEDaPvRmT3_T4_T5_mT6_P12ihipStream_tbENKUlT_T0_E_clISt17integral_constantIbLb1EESU_EEDaSP_SQ_EUlSP_E_NS1_11comp_targetILNS1_3genE0ELNS1_11target_archE4294967295ELNS1_3gpuE0ELNS1_3repE0EEENS1_30default_config_static_selectorELNS0_4arch9wavefront6targetE1EEEvT1_,"axG",@progbits,_ZN7rocprim17ROCPRIM_400000_NS6detail17trampoline_kernelINS0_14default_configENS1_20scan_config_selectorIxEEZZNS1_9scan_implILNS1_25lookback_scan_determinismE0ELb1ELb1ES3_N6thrust23THRUST_200600_302600_NS6detail15normal_iteratorINS9_10device_ptrIxEEEESE_xNS9_4plusIxEExEEDaPvRmT3_T4_T5_mT6_P12ihipStream_tbENKUlT_T0_E_clISt17integral_constantIbLb1EESU_EEDaSP_SQ_EUlSP_E_NS1_11comp_targetILNS1_3genE0ELNS1_11target_archE4294967295ELNS1_3gpuE0ELNS1_3repE0EEENS1_30default_config_static_selectorELNS0_4arch9wavefront6targetE1EEEvT1_,comdat
.Lfunc_end360:
	.size	_ZN7rocprim17ROCPRIM_400000_NS6detail17trampoline_kernelINS0_14default_configENS1_20scan_config_selectorIxEEZZNS1_9scan_implILNS1_25lookback_scan_determinismE0ELb1ELb1ES3_N6thrust23THRUST_200600_302600_NS6detail15normal_iteratorINS9_10device_ptrIxEEEESE_xNS9_4plusIxEExEEDaPvRmT3_T4_T5_mT6_P12ihipStream_tbENKUlT_T0_E_clISt17integral_constantIbLb1EESU_EEDaSP_SQ_EUlSP_E_NS1_11comp_targetILNS1_3genE0ELNS1_11target_archE4294967295ELNS1_3gpuE0ELNS1_3repE0EEENS1_30default_config_static_selectorELNS0_4arch9wavefront6targetE1EEEvT1_, .Lfunc_end360-_ZN7rocprim17ROCPRIM_400000_NS6detail17trampoline_kernelINS0_14default_configENS1_20scan_config_selectorIxEEZZNS1_9scan_implILNS1_25lookback_scan_determinismE0ELb1ELb1ES3_N6thrust23THRUST_200600_302600_NS6detail15normal_iteratorINS9_10device_ptrIxEEEESE_xNS9_4plusIxEExEEDaPvRmT3_T4_T5_mT6_P12ihipStream_tbENKUlT_T0_E_clISt17integral_constantIbLb1EESU_EEDaSP_SQ_EUlSP_E_NS1_11comp_targetILNS1_3genE0ELNS1_11target_archE4294967295ELNS1_3gpuE0ELNS1_3repE0EEENS1_30default_config_static_selectorELNS0_4arch9wavefront6targetE1EEEvT1_
                                        ; -- End function
	.section	.AMDGPU.csdata,"",@progbits
; Kernel info:
; codeLenInByte = 0
; NumSgprs: 4
; NumVgprs: 0
; NumAgprs: 0
; TotalNumVgprs: 0
; ScratchSize: 0
; MemoryBound: 0
; FloatMode: 240
; IeeeMode: 1
; LDSByteSize: 0 bytes/workgroup (compile time only)
; SGPRBlocks: 0
; VGPRBlocks: 0
; NumSGPRsForWavesPerEU: 4
; NumVGPRsForWavesPerEU: 1
; AccumOffset: 4
; Occupancy: 8
; WaveLimiterHint : 0
; COMPUTE_PGM_RSRC2:SCRATCH_EN: 0
; COMPUTE_PGM_RSRC2:USER_SGPR: 6
; COMPUTE_PGM_RSRC2:TRAP_HANDLER: 0
; COMPUTE_PGM_RSRC2:TGID_X_EN: 1
; COMPUTE_PGM_RSRC2:TGID_Y_EN: 0
; COMPUTE_PGM_RSRC2:TGID_Z_EN: 0
; COMPUTE_PGM_RSRC2:TIDIG_COMP_CNT: 0
; COMPUTE_PGM_RSRC3_GFX90A:ACCUM_OFFSET: 0
; COMPUTE_PGM_RSRC3_GFX90A:TG_SPLIT: 0
	.section	.text._ZN7rocprim17ROCPRIM_400000_NS6detail17trampoline_kernelINS0_14default_configENS1_20scan_config_selectorIxEEZZNS1_9scan_implILNS1_25lookback_scan_determinismE0ELb1ELb1ES3_N6thrust23THRUST_200600_302600_NS6detail15normal_iteratorINS9_10device_ptrIxEEEESE_xNS9_4plusIxEExEEDaPvRmT3_T4_T5_mT6_P12ihipStream_tbENKUlT_T0_E_clISt17integral_constantIbLb1EESU_EEDaSP_SQ_EUlSP_E_NS1_11comp_targetILNS1_3genE5ELNS1_11target_archE942ELNS1_3gpuE9ELNS1_3repE0EEENS1_30default_config_static_selectorELNS0_4arch9wavefront6targetE1EEEvT1_,"axG",@progbits,_ZN7rocprim17ROCPRIM_400000_NS6detail17trampoline_kernelINS0_14default_configENS1_20scan_config_selectorIxEEZZNS1_9scan_implILNS1_25lookback_scan_determinismE0ELb1ELb1ES3_N6thrust23THRUST_200600_302600_NS6detail15normal_iteratorINS9_10device_ptrIxEEEESE_xNS9_4plusIxEExEEDaPvRmT3_T4_T5_mT6_P12ihipStream_tbENKUlT_T0_E_clISt17integral_constantIbLb1EESU_EEDaSP_SQ_EUlSP_E_NS1_11comp_targetILNS1_3genE5ELNS1_11target_archE942ELNS1_3gpuE9ELNS1_3repE0EEENS1_30default_config_static_selectorELNS0_4arch9wavefront6targetE1EEEvT1_,comdat
	.protected	_ZN7rocprim17ROCPRIM_400000_NS6detail17trampoline_kernelINS0_14default_configENS1_20scan_config_selectorIxEEZZNS1_9scan_implILNS1_25lookback_scan_determinismE0ELb1ELb1ES3_N6thrust23THRUST_200600_302600_NS6detail15normal_iteratorINS9_10device_ptrIxEEEESE_xNS9_4plusIxEExEEDaPvRmT3_T4_T5_mT6_P12ihipStream_tbENKUlT_T0_E_clISt17integral_constantIbLb1EESU_EEDaSP_SQ_EUlSP_E_NS1_11comp_targetILNS1_3genE5ELNS1_11target_archE942ELNS1_3gpuE9ELNS1_3repE0EEENS1_30default_config_static_selectorELNS0_4arch9wavefront6targetE1EEEvT1_ ; -- Begin function _ZN7rocprim17ROCPRIM_400000_NS6detail17trampoline_kernelINS0_14default_configENS1_20scan_config_selectorIxEEZZNS1_9scan_implILNS1_25lookback_scan_determinismE0ELb1ELb1ES3_N6thrust23THRUST_200600_302600_NS6detail15normal_iteratorINS9_10device_ptrIxEEEESE_xNS9_4plusIxEExEEDaPvRmT3_T4_T5_mT6_P12ihipStream_tbENKUlT_T0_E_clISt17integral_constantIbLb1EESU_EEDaSP_SQ_EUlSP_E_NS1_11comp_targetILNS1_3genE5ELNS1_11target_archE942ELNS1_3gpuE9ELNS1_3repE0EEENS1_30default_config_static_selectorELNS0_4arch9wavefront6targetE1EEEvT1_
	.globl	_ZN7rocprim17ROCPRIM_400000_NS6detail17trampoline_kernelINS0_14default_configENS1_20scan_config_selectorIxEEZZNS1_9scan_implILNS1_25lookback_scan_determinismE0ELb1ELb1ES3_N6thrust23THRUST_200600_302600_NS6detail15normal_iteratorINS9_10device_ptrIxEEEESE_xNS9_4plusIxEExEEDaPvRmT3_T4_T5_mT6_P12ihipStream_tbENKUlT_T0_E_clISt17integral_constantIbLb1EESU_EEDaSP_SQ_EUlSP_E_NS1_11comp_targetILNS1_3genE5ELNS1_11target_archE942ELNS1_3gpuE9ELNS1_3repE0EEENS1_30default_config_static_selectorELNS0_4arch9wavefront6targetE1EEEvT1_
	.p2align	8
	.type	_ZN7rocprim17ROCPRIM_400000_NS6detail17trampoline_kernelINS0_14default_configENS1_20scan_config_selectorIxEEZZNS1_9scan_implILNS1_25lookback_scan_determinismE0ELb1ELb1ES3_N6thrust23THRUST_200600_302600_NS6detail15normal_iteratorINS9_10device_ptrIxEEEESE_xNS9_4plusIxEExEEDaPvRmT3_T4_T5_mT6_P12ihipStream_tbENKUlT_T0_E_clISt17integral_constantIbLb1EESU_EEDaSP_SQ_EUlSP_E_NS1_11comp_targetILNS1_3genE5ELNS1_11target_archE942ELNS1_3gpuE9ELNS1_3repE0EEENS1_30default_config_static_selectorELNS0_4arch9wavefront6targetE1EEEvT1_,@function
_ZN7rocprim17ROCPRIM_400000_NS6detail17trampoline_kernelINS0_14default_configENS1_20scan_config_selectorIxEEZZNS1_9scan_implILNS1_25lookback_scan_determinismE0ELb1ELb1ES3_N6thrust23THRUST_200600_302600_NS6detail15normal_iteratorINS9_10device_ptrIxEEEESE_xNS9_4plusIxEExEEDaPvRmT3_T4_T5_mT6_P12ihipStream_tbENKUlT_T0_E_clISt17integral_constantIbLb1EESU_EEDaSP_SQ_EUlSP_E_NS1_11comp_targetILNS1_3genE5ELNS1_11target_archE942ELNS1_3gpuE9ELNS1_3repE0EEENS1_30default_config_static_selectorELNS0_4arch9wavefront6targetE1EEEvT1_: ; @_ZN7rocprim17ROCPRIM_400000_NS6detail17trampoline_kernelINS0_14default_configENS1_20scan_config_selectorIxEEZZNS1_9scan_implILNS1_25lookback_scan_determinismE0ELb1ELb1ES3_N6thrust23THRUST_200600_302600_NS6detail15normal_iteratorINS9_10device_ptrIxEEEESE_xNS9_4plusIxEExEEDaPvRmT3_T4_T5_mT6_P12ihipStream_tbENKUlT_T0_E_clISt17integral_constantIbLb1EESU_EEDaSP_SQ_EUlSP_E_NS1_11comp_targetILNS1_3genE5ELNS1_11target_archE942ELNS1_3gpuE9ELNS1_3repE0EEENS1_30default_config_static_selectorELNS0_4arch9wavefront6targetE1EEEvT1_
; %bb.0:
	.section	.rodata,"a",@progbits
	.p2align	6, 0x0
	.amdhsa_kernel _ZN7rocprim17ROCPRIM_400000_NS6detail17trampoline_kernelINS0_14default_configENS1_20scan_config_selectorIxEEZZNS1_9scan_implILNS1_25lookback_scan_determinismE0ELb1ELb1ES3_N6thrust23THRUST_200600_302600_NS6detail15normal_iteratorINS9_10device_ptrIxEEEESE_xNS9_4plusIxEExEEDaPvRmT3_T4_T5_mT6_P12ihipStream_tbENKUlT_T0_E_clISt17integral_constantIbLb1EESU_EEDaSP_SQ_EUlSP_E_NS1_11comp_targetILNS1_3genE5ELNS1_11target_archE942ELNS1_3gpuE9ELNS1_3repE0EEENS1_30default_config_static_selectorELNS0_4arch9wavefront6targetE1EEEvT1_
		.amdhsa_group_segment_fixed_size 0
		.amdhsa_private_segment_fixed_size 0
		.amdhsa_kernarg_size 104
		.amdhsa_user_sgpr_count 6
		.amdhsa_user_sgpr_private_segment_buffer 1
		.amdhsa_user_sgpr_dispatch_ptr 0
		.amdhsa_user_sgpr_queue_ptr 0
		.amdhsa_user_sgpr_kernarg_segment_ptr 1
		.amdhsa_user_sgpr_dispatch_id 0
		.amdhsa_user_sgpr_flat_scratch_init 0
		.amdhsa_user_sgpr_kernarg_preload_length 0
		.amdhsa_user_sgpr_kernarg_preload_offset 0
		.amdhsa_user_sgpr_private_segment_size 0
		.amdhsa_uses_dynamic_stack 0
		.amdhsa_system_sgpr_private_segment_wavefront_offset 0
		.amdhsa_system_sgpr_workgroup_id_x 1
		.amdhsa_system_sgpr_workgroup_id_y 0
		.amdhsa_system_sgpr_workgroup_id_z 0
		.amdhsa_system_sgpr_workgroup_info 0
		.amdhsa_system_vgpr_workitem_id 0
		.amdhsa_next_free_vgpr 1
		.amdhsa_next_free_sgpr 0
		.amdhsa_accum_offset 4
		.amdhsa_reserve_vcc 0
		.amdhsa_reserve_flat_scratch 0
		.amdhsa_float_round_mode_32 0
		.amdhsa_float_round_mode_16_64 0
		.amdhsa_float_denorm_mode_32 3
		.amdhsa_float_denorm_mode_16_64 3
		.amdhsa_dx10_clamp 1
		.amdhsa_ieee_mode 1
		.amdhsa_fp16_overflow 0
		.amdhsa_tg_split 0
		.amdhsa_exception_fp_ieee_invalid_op 0
		.amdhsa_exception_fp_denorm_src 0
		.amdhsa_exception_fp_ieee_div_zero 0
		.amdhsa_exception_fp_ieee_overflow 0
		.amdhsa_exception_fp_ieee_underflow 0
		.amdhsa_exception_fp_ieee_inexact 0
		.amdhsa_exception_int_div_zero 0
	.end_amdhsa_kernel
	.section	.text._ZN7rocprim17ROCPRIM_400000_NS6detail17trampoline_kernelINS0_14default_configENS1_20scan_config_selectorIxEEZZNS1_9scan_implILNS1_25lookback_scan_determinismE0ELb1ELb1ES3_N6thrust23THRUST_200600_302600_NS6detail15normal_iteratorINS9_10device_ptrIxEEEESE_xNS9_4plusIxEExEEDaPvRmT3_T4_T5_mT6_P12ihipStream_tbENKUlT_T0_E_clISt17integral_constantIbLb1EESU_EEDaSP_SQ_EUlSP_E_NS1_11comp_targetILNS1_3genE5ELNS1_11target_archE942ELNS1_3gpuE9ELNS1_3repE0EEENS1_30default_config_static_selectorELNS0_4arch9wavefront6targetE1EEEvT1_,"axG",@progbits,_ZN7rocprim17ROCPRIM_400000_NS6detail17trampoline_kernelINS0_14default_configENS1_20scan_config_selectorIxEEZZNS1_9scan_implILNS1_25lookback_scan_determinismE0ELb1ELb1ES3_N6thrust23THRUST_200600_302600_NS6detail15normal_iteratorINS9_10device_ptrIxEEEESE_xNS9_4plusIxEExEEDaPvRmT3_T4_T5_mT6_P12ihipStream_tbENKUlT_T0_E_clISt17integral_constantIbLb1EESU_EEDaSP_SQ_EUlSP_E_NS1_11comp_targetILNS1_3genE5ELNS1_11target_archE942ELNS1_3gpuE9ELNS1_3repE0EEENS1_30default_config_static_selectorELNS0_4arch9wavefront6targetE1EEEvT1_,comdat
.Lfunc_end361:
	.size	_ZN7rocprim17ROCPRIM_400000_NS6detail17trampoline_kernelINS0_14default_configENS1_20scan_config_selectorIxEEZZNS1_9scan_implILNS1_25lookback_scan_determinismE0ELb1ELb1ES3_N6thrust23THRUST_200600_302600_NS6detail15normal_iteratorINS9_10device_ptrIxEEEESE_xNS9_4plusIxEExEEDaPvRmT3_T4_T5_mT6_P12ihipStream_tbENKUlT_T0_E_clISt17integral_constantIbLb1EESU_EEDaSP_SQ_EUlSP_E_NS1_11comp_targetILNS1_3genE5ELNS1_11target_archE942ELNS1_3gpuE9ELNS1_3repE0EEENS1_30default_config_static_selectorELNS0_4arch9wavefront6targetE1EEEvT1_, .Lfunc_end361-_ZN7rocprim17ROCPRIM_400000_NS6detail17trampoline_kernelINS0_14default_configENS1_20scan_config_selectorIxEEZZNS1_9scan_implILNS1_25lookback_scan_determinismE0ELb1ELb1ES3_N6thrust23THRUST_200600_302600_NS6detail15normal_iteratorINS9_10device_ptrIxEEEESE_xNS9_4plusIxEExEEDaPvRmT3_T4_T5_mT6_P12ihipStream_tbENKUlT_T0_E_clISt17integral_constantIbLb1EESU_EEDaSP_SQ_EUlSP_E_NS1_11comp_targetILNS1_3genE5ELNS1_11target_archE942ELNS1_3gpuE9ELNS1_3repE0EEENS1_30default_config_static_selectorELNS0_4arch9wavefront6targetE1EEEvT1_
                                        ; -- End function
	.section	.AMDGPU.csdata,"",@progbits
; Kernel info:
; codeLenInByte = 0
; NumSgprs: 4
; NumVgprs: 0
; NumAgprs: 0
; TotalNumVgprs: 0
; ScratchSize: 0
; MemoryBound: 0
; FloatMode: 240
; IeeeMode: 1
; LDSByteSize: 0 bytes/workgroup (compile time only)
; SGPRBlocks: 0
; VGPRBlocks: 0
; NumSGPRsForWavesPerEU: 4
; NumVGPRsForWavesPerEU: 1
; AccumOffset: 4
; Occupancy: 8
; WaveLimiterHint : 0
; COMPUTE_PGM_RSRC2:SCRATCH_EN: 0
; COMPUTE_PGM_RSRC2:USER_SGPR: 6
; COMPUTE_PGM_RSRC2:TRAP_HANDLER: 0
; COMPUTE_PGM_RSRC2:TGID_X_EN: 1
; COMPUTE_PGM_RSRC2:TGID_Y_EN: 0
; COMPUTE_PGM_RSRC2:TGID_Z_EN: 0
; COMPUTE_PGM_RSRC2:TIDIG_COMP_CNT: 0
; COMPUTE_PGM_RSRC3_GFX90A:ACCUM_OFFSET: 0
; COMPUTE_PGM_RSRC3_GFX90A:TG_SPLIT: 0
	.section	.text._ZN7rocprim17ROCPRIM_400000_NS6detail17trampoline_kernelINS0_14default_configENS1_20scan_config_selectorIxEEZZNS1_9scan_implILNS1_25lookback_scan_determinismE0ELb1ELb1ES3_N6thrust23THRUST_200600_302600_NS6detail15normal_iteratorINS9_10device_ptrIxEEEESE_xNS9_4plusIxEExEEDaPvRmT3_T4_T5_mT6_P12ihipStream_tbENKUlT_T0_E_clISt17integral_constantIbLb1EESU_EEDaSP_SQ_EUlSP_E_NS1_11comp_targetILNS1_3genE4ELNS1_11target_archE910ELNS1_3gpuE8ELNS1_3repE0EEENS1_30default_config_static_selectorELNS0_4arch9wavefront6targetE1EEEvT1_,"axG",@progbits,_ZN7rocprim17ROCPRIM_400000_NS6detail17trampoline_kernelINS0_14default_configENS1_20scan_config_selectorIxEEZZNS1_9scan_implILNS1_25lookback_scan_determinismE0ELb1ELb1ES3_N6thrust23THRUST_200600_302600_NS6detail15normal_iteratorINS9_10device_ptrIxEEEESE_xNS9_4plusIxEExEEDaPvRmT3_T4_T5_mT6_P12ihipStream_tbENKUlT_T0_E_clISt17integral_constantIbLb1EESU_EEDaSP_SQ_EUlSP_E_NS1_11comp_targetILNS1_3genE4ELNS1_11target_archE910ELNS1_3gpuE8ELNS1_3repE0EEENS1_30default_config_static_selectorELNS0_4arch9wavefront6targetE1EEEvT1_,comdat
	.protected	_ZN7rocprim17ROCPRIM_400000_NS6detail17trampoline_kernelINS0_14default_configENS1_20scan_config_selectorIxEEZZNS1_9scan_implILNS1_25lookback_scan_determinismE0ELb1ELb1ES3_N6thrust23THRUST_200600_302600_NS6detail15normal_iteratorINS9_10device_ptrIxEEEESE_xNS9_4plusIxEExEEDaPvRmT3_T4_T5_mT6_P12ihipStream_tbENKUlT_T0_E_clISt17integral_constantIbLb1EESU_EEDaSP_SQ_EUlSP_E_NS1_11comp_targetILNS1_3genE4ELNS1_11target_archE910ELNS1_3gpuE8ELNS1_3repE0EEENS1_30default_config_static_selectorELNS0_4arch9wavefront6targetE1EEEvT1_ ; -- Begin function _ZN7rocprim17ROCPRIM_400000_NS6detail17trampoline_kernelINS0_14default_configENS1_20scan_config_selectorIxEEZZNS1_9scan_implILNS1_25lookback_scan_determinismE0ELb1ELb1ES3_N6thrust23THRUST_200600_302600_NS6detail15normal_iteratorINS9_10device_ptrIxEEEESE_xNS9_4plusIxEExEEDaPvRmT3_T4_T5_mT6_P12ihipStream_tbENKUlT_T0_E_clISt17integral_constantIbLb1EESU_EEDaSP_SQ_EUlSP_E_NS1_11comp_targetILNS1_3genE4ELNS1_11target_archE910ELNS1_3gpuE8ELNS1_3repE0EEENS1_30default_config_static_selectorELNS0_4arch9wavefront6targetE1EEEvT1_
	.globl	_ZN7rocprim17ROCPRIM_400000_NS6detail17trampoline_kernelINS0_14default_configENS1_20scan_config_selectorIxEEZZNS1_9scan_implILNS1_25lookback_scan_determinismE0ELb1ELb1ES3_N6thrust23THRUST_200600_302600_NS6detail15normal_iteratorINS9_10device_ptrIxEEEESE_xNS9_4plusIxEExEEDaPvRmT3_T4_T5_mT6_P12ihipStream_tbENKUlT_T0_E_clISt17integral_constantIbLb1EESU_EEDaSP_SQ_EUlSP_E_NS1_11comp_targetILNS1_3genE4ELNS1_11target_archE910ELNS1_3gpuE8ELNS1_3repE0EEENS1_30default_config_static_selectorELNS0_4arch9wavefront6targetE1EEEvT1_
	.p2align	8
	.type	_ZN7rocprim17ROCPRIM_400000_NS6detail17trampoline_kernelINS0_14default_configENS1_20scan_config_selectorIxEEZZNS1_9scan_implILNS1_25lookback_scan_determinismE0ELb1ELb1ES3_N6thrust23THRUST_200600_302600_NS6detail15normal_iteratorINS9_10device_ptrIxEEEESE_xNS9_4plusIxEExEEDaPvRmT3_T4_T5_mT6_P12ihipStream_tbENKUlT_T0_E_clISt17integral_constantIbLb1EESU_EEDaSP_SQ_EUlSP_E_NS1_11comp_targetILNS1_3genE4ELNS1_11target_archE910ELNS1_3gpuE8ELNS1_3repE0EEENS1_30default_config_static_selectorELNS0_4arch9wavefront6targetE1EEEvT1_,@function
_ZN7rocprim17ROCPRIM_400000_NS6detail17trampoline_kernelINS0_14default_configENS1_20scan_config_selectorIxEEZZNS1_9scan_implILNS1_25lookback_scan_determinismE0ELb1ELb1ES3_N6thrust23THRUST_200600_302600_NS6detail15normal_iteratorINS9_10device_ptrIxEEEESE_xNS9_4plusIxEExEEDaPvRmT3_T4_T5_mT6_P12ihipStream_tbENKUlT_T0_E_clISt17integral_constantIbLb1EESU_EEDaSP_SQ_EUlSP_E_NS1_11comp_targetILNS1_3genE4ELNS1_11target_archE910ELNS1_3gpuE8ELNS1_3repE0EEENS1_30default_config_static_selectorELNS0_4arch9wavefront6targetE1EEEvT1_: ; @_ZN7rocprim17ROCPRIM_400000_NS6detail17trampoline_kernelINS0_14default_configENS1_20scan_config_selectorIxEEZZNS1_9scan_implILNS1_25lookback_scan_determinismE0ELb1ELb1ES3_N6thrust23THRUST_200600_302600_NS6detail15normal_iteratorINS9_10device_ptrIxEEEESE_xNS9_4plusIxEExEEDaPvRmT3_T4_T5_mT6_P12ihipStream_tbENKUlT_T0_E_clISt17integral_constantIbLb1EESU_EEDaSP_SQ_EUlSP_E_NS1_11comp_targetILNS1_3genE4ELNS1_11target_archE910ELNS1_3gpuE8ELNS1_3repE0EEENS1_30default_config_static_selectorELNS0_4arch9wavefront6targetE1EEEvT1_
; %bb.0:
	s_load_dwordx8 s[20:27], s[4:5], 0x0
	s_load_dwordx2 s[28:29], s[4:5], 0x20
	s_load_dwordx2 s[10:11], s[4:5], 0x30
	v_cmp_ne_u32_e64 s[2:3], 0, v0
	v_cmp_eq_u32_e64 s[0:1], 0, v0
	s_and_saveexec_b64 s[6:7], s[0:1]
	s_cbranch_execz .LBB362_4
; %bb.1:
	s_mov_b64 s[12:13], exec
	v_mbcnt_lo_u32_b32 v1, s12, 0
	v_mbcnt_hi_u32_b32 v1, s13, v1
	v_cmp_eq_u32_e32 vcc, 0, v1
                                        ; implicit-def: $vgpr2
	s_and_saveexec_b64 s[8:9], vcc
	s_cbranch_execz .LBB362_3
; %bb.2:
	s_load_dwordx2 s[14:15], s[4:5], 0x60
	s_bcnt1_i32_b64 s12, s[12:13]
	v_mov_b32_e32 v2, 0
	v_mov_b32_e32 v3, s12
	s_waitcnt lgkmcnt(0)
	global_atomic_add v2, v2, v3, s[14:15] glc
.LBB362_3:
	s_or_b64 exec, exec, s[8:9]
	s_waitcnt vmcnt(0)
	v_readfirstlane_b32 s8, v2
	v_add_u32_e32 v1, s8, v1
	v_mov_b32_e32 v2, 0
	ds_write_b32 v2, v1
.LBB362_4:
	s_or_b64 exec, exec, s[6:7]
	s_load_dword s6, s[4:5], 0x38
	s_load_dwordx8 s[12:19], s[4:5], 0x40
	v_mov_b32_e32 v1, 0
	s_waitcnt lgkmcnt(0)
	s_barrier
	ds_read_b32 v1, v1
	s_lshl_b64 s[22:23], s[22:23], 3
	s_add_u32 s35, s20, s22
	s_addc_u32 s36, s21, s23
	s_add_i32 s6, s6, -1
	s_mul_i32 s7, s6, 0x380
	s_sub_u32 s33, s26, s7
	s_waitcnt lgkmcnt(0)
	v_readfirstlane_b32 s37, v1
	s_subb_u32 s34, s27, 0
	s_mul_i32 s4, s37, 0x380
	s_mov_b32 s5, 0
	s_cmp_lg_u32 s37, s6
	s_cselect_b64 s[20:21], -1, 0
	s_lshl_b64 s[26:27], s[4:5], 3
	s_add_u32 s6, s35, s26
	s_addc_u32 s7, s36, s27
	s_mov_b64 s[4:5], -1
	s_and_b64 vcc, exec, s[20:21]
	v_lshlrev_b32_e32 v36, 3, v0
	s_barrier
	s_cbranch_vccz .LBB362_6
; %bb.5:
	v_mov_b32_e32 v1, s7
	v_add_co_u32_e32 v2, vcc, s6, v36
	v_addc_co_u32_e32 v3, vcc, 0, v1, vcc
	flat_load_dwordx2 v[4:5], v[2:3]
	flat_load_dwordx2 v[6:7], v[2:3] offset:1024
	flat_load_dwordx2 v[8:9], v[2:3] offset:2048
	;; [unrolled: 1-line block ×3, first 2 shown]
	v_add_co_u32_e32 v2, vcc, 0x1000, v2
	v_addc_co_u32_e32 v3, vcc, 0, v3, vcc
	flat_load_dwordx2 v[12:13], v[2:3]
	flat_load_dwordx2 v[14:15], v[2:3] offset:1024
	flat_load_dwordx2 v[16:17], v[2:3] offset:2048
	s_mov_b64 s[4:5], 0
	s_waitcnt vmcnt(0) lgkmcnt(0)
	ds_write2st64_b64 v36, v[4:5], v[6:7] offset1:2
	ds_write2st64_b64 v36, v[8:9], v[10:11] offset0:4 offset1:6
	ds_write2st64_b64 v36, v[12:13], v[14:15] offset0:8 offset1:10
	ds_write_b64 v36, v[16:17] offset:6144
	s_waitcnt lgkmcnt(0)
	s_barrier
.LBB362_6:
	s_andn2_b64 vcc, exec, s[4:5]
	v_cmp_gt_u32_e64 s[4:5], s33, v0
	s_cbranch_vccnz .LBB362_22
; %bb.7:
	v_pk_mov_b32 v[2:3], s[6:7], s[6:7] op_sel:[0,1]
	flat_load_dwordx2 v[2:3], v[2:3]
	s_waitcnt vmcnt(0) lgkmcnt(0)
	v_mov_b32_e32 v4, v2
	v_mov_b32_e32 v5, v3
	;; [unrolled: 1-line block ×10, first 2 shown]
	v_pk_mov_b32 v[18:19], v[14:15], v[14:15] op_sel:[0,1]
	v_pk_mov_b32 v[16:17], v[12:13], v[12:13] op_sel:[0,1]
	;; [unrolled: 1-line block ×8, first 2 shown]
	s_and_saveexec_b64 s[8:9], s[4:5]
	s_cbranch_execz .LBB362_9
; %bb.8:
	v_mov_b32_e32 v1, s7
	v_add_co_u32_e32 v4, vcc, s6, v36
	v_addc_co_u32_e32 v5, vcc, 0, v1, vcc
	flat_load_dwordx2 v[20:21], v[4:5]
	v_mov_b32_e32 v4, v2
	v_mov_b32_e32 v5, v3
	;; [unrolled: 1-line block ×10, first 2 shown]
	v_pk_mov_b32 v[18:19], v[14:15], v[14:15] op_sel:[0,1]
	v_pk_mov_b32 v[16:17], v[12:13], v[12:13] op_sel:[0,1]
	;; [unrolled: 1-line block ×8, first 2 shown]
	s_waitcnt vmcnt(0) lgkmcnt(0)
	v_pk_mov_b32 v[2:3], v[20:21], v[20:21] op_sel:[0,1]
.LBB362_9:
	s_or_b64 exec, exec, s[8:9]
	v_or_b32_e32 v1, 0x80, v0
	v_cmp_gt_u32_e32 vcc, s33, v1
	s_and_saveexec_b64 s[4:5], vcc
	s_cbranch_execz .LBB362_11
; %bb.10:
	v_mov_b32_e32 v1, s7
	v_add_co_u32_e32 v4, vcc, s6, v36
	v_addc_co_u32_e32 v5, vcc, 0, v1, vcc
	flat_load_dwordx2 v[6:7], v[4:5] offset:1024
.LBB362_11:
	s_or_b64 exec, exec, s[4:5]
	v_or_b32_e32 v1, 0x100, v0
	v_cmp_gt_u32_e32 vcc, s33, v1
	s_and_saveexec_b64 s[4:5], vcc
	s_cbranch_execz .LBB362_13
; %bb.12:
	v_mov_b32_e32 v1, s7
	v_add_co_u32_e32 v4, vcc, s6, v36
	v_addc_co_u32_e32 v5, vcc, 0, v1, vcc
	flat_load_dwordx2 v[8:9], v[4:5] offset:2048
.LBB362_13:
	;; [unrolled: 11-line block ×3, first 2 shown]
	s_or_b64 exec, exec, s[4:5]
	v_or_b32_e32 v1, 0x200, v0
	v_cmp_gt_u32_e32 vcc, s33, v1
	s_and_saveexec_b64 s[4:5], vcc
	s_cbranch_execz .LBB362_17
; %bb.16:
	v_lshlrev_b32_e32 v1, 3, v1
	v_mov_b32_e32 v5, s7
	v_add_co_u32_e32 v4, vcc, s6, v1
	v_addc_co_u32_e32 v5, vcc, 0, v5, vcc
	flat_load_dwordx2 v[12:13], v[4:5]
.LBB362_17:
	s_or_b64 exec, exec, s[4:5]
	v_or_b32_e32 v1, 0x280, v0
	v_cmp_gt_u32_e32 vcc, s33, v1
	s_and_saveexec_b64 s[4:5], vcc
	s_cbranch_execz .LBB362_19
; %bb.18:
	v_lshlrev_b32_e32 v1, 3, v1
	v_mov_b32_e32 v5, s7
	v_add_co_u32_e32 v4, vcc, s6, v1
	v_addc_co_u32_e32 v5, vcc, 0, v5, vcc
	flat_load_dwordx2 v[14:15], v[4:5]
.LBB362_19:
	;; [unrolled: 12-line block ×3, first 2 shown]
	s_or_b64 exec, exec, s[4:5]
	s_waitcnt vmcnt(0) lgkmcnt(0)
	ds_write2st64_b64 v36, v[2:3], v[6:7] offset1:2
	ds_write2st64_b64 v36, v[8:9], v[10:11] offset0:4 offset1:6
	ds_write2st64_b64 v36, v[12:13], v[14:15] offset0:8 offset1:10
	ds_write_b64 v36, v[16:17] offset:6144
	s_waitcnt lgkmcnt(0)
	s_barrier
.LBB362_22:
	v_mul_u32_u24_e32 v37, 7, v0
	v_lshlrev_b32_e32 v1, 3, v37
	ds_read2_b64 v[10:13], v1 offset1:1
	ds_read2_b64 v[6:9], v1 offset0:2 offset1:3
	ds_read2_b64 v[2:5], v1 offset0:4 offset1:5
	ds_read_b64 v[26:27], v1 offset:48
	s_cmp_lg_u32 s37, 0
	v_lshrrev_b32_e32 v38, 5, v0
	v_cmp_gt_u32_e32 vcc, 64, v0
	s_waitcnt lgkmcnt(0)
	s_barrier
	s_cbranch_scc0 .LBB362_53
; %bb.23:
	v_add_co_u32_e64 v1, s[4:5], v12, v10
	v_addc_co_u32_e64 v14, s[4:5], v13, v11, s[4:5]
	v_add_co_u32_e64 v1, s[4:5], v1, v6
	v_addc_co_u32_e64 v14, s[4:5], v14, v7, s[4:5]
	;; [unrolled: 2-line block ×6, first 2 shown]
	v_add_lshl_u32 v1, v38, v0, 3
	ds_write_b64 v1, v[18:19]
	s_waitcnt lgkmcnt(0)
	s_barrier
	s_and_saveexec_b64 s[8:9], vcc
	s_cbranch_execz .LBB362_27
; %bb.24:
	v_lshlrev_b32_e32 v1, 1, v0
	v_lshrrev_b32_e32 v14, 4, v0
	v_add_lshl_u32 v20, v14, v1, 3
	ds_read2_b64 v[14:17], v20 offset1:1
	v_mbcnt_lo_u32_b32 v1, -1, 0
	s_waitcnt lgkmcnt(0)
	v_add_co_u32_e64 v21, s[4:5], v16, v14
	v_addc_co_u32_e64 v22, s[4:5], v17, v15, s[4:5]
	s_nop 0
	v_mov_b32_dpp v16, v21 row_shr:1 row_mask:0xf bank_mask:0xf
	v_add_co_u32_e64 v16, s[4:5], v21, v16
	v_addc_co_u32_e64 v24, s[4:5], 0, v22, s[4:5]
	v_mbcnt_hi_u32_b32 v17, -1, v1
	v_mov_b32_dpp v23, v22 row_shr:1 row_mask:0xf bank_mask:0xf
	v_add_co_u32_e64 v25, s[4:5], 0, v16
	v_and_b32_e32 v1, 15, v17
	v_addc_co_u32_e64 v23, s[4:5], v23, v24, s[4:5]
	v_cmp_eq_u32_e64 s[4:5], 0, v1
	v_cndmask_b32_e64 v16, v16, v21, s[4:5]
	v_cndmask_b32_e64 v23, v23, v22, s[4:5]
	v_cndmask_b32_e64 v24, v25, v21, s[4:5]
	v_mov_b32_dpp v25, v16 row_shr:2 row_mask:0xf bank_mask:0xf
	v_mov_b32_dpp v28, v23 row_shr:2 row_mask:0xf bank_mask:0xf
	v_add_co_u32_e64 v25, s[4:5], v25, v24
	v_addc_co_u32_e64 v28, s[4:5], v28, v23, s[4:5]
	v_cmp_lt_u32_e64 s[4:5], 1, v1
	v_cndmask_b32_e64 v16, v16, v25, s[4:5]
	v_cndmask_b32_e64 v23, v23, v28, s[4:5]
	v_cndmask_b32_e64 v24, v24, v25, s[4:5]
	v_mov_b32_dpp v25, v16 row_shr:4 row_mask:0xf bank_mask:0xf
	v_mov_b32_dpp v28, v23 row_shr:4 row_mask:0xf bank_mask:0xf
	v_add_co_u32_e64 v25, s[4:5], v25, v24
	v_addc_co_u32_e64 v28, s[4:5], v28, v23, s[4:5]
	v_cmp_lt_u32_e64 s[4:5], 3, v1
	;; [unrolled: 8-line block ×3, first 2 shown]
	v_cndmask_b32_e64 v29, v16, v25, s[4:5]
	v_cndmask_b32_e64 v1, v23, v28, s[4:5]
	;; [unrolled: 1-line block ×3, first 2 shown]
	v_mov_b32_dpp v23, v29 row_bcast:15 row_mask:0xf bank_mask:0xf
	v_mov_b32_dpp v24, v1 row_bcast:15 row_mask:0xf bank_mask:0xf
	v_add_co_u32_e64 v23, s[4:5], v23, v16
	v_and_b32_e32 v28, 16, v17
	v_addc_co_u32_e64 v25, s[4:5], v24, v1, s[4:5]
	v_cmp_eq_u32_e64 s[4:5], 0, v28
	v_cndmask_b32_e64 v28, v25, v1, s[4:5]
	v_cndmask_b32_e64 v24, v23, v29, s[4:5]
	v_cmp_ne_u32_e64 s[6:7], 0, v17
	v_mov_b32_dpp v28, v28 row_bcast:31 row_mask:0xf bank_mask:0xf
	v_mov_b32_dpp v24, v24 row_bcast:31 row_mask:0xf bank_mask:0xf
	s_and_saveexec_b64 s[30:31], s[6:7]
; %bb.25:
	v_cndmask_b32_e64 v1, v25, v1, s[4:5]
	v_cndmask_b32_e64 v16, v23, v16, s[4:5]
	v_cmp_lt_u32_e64 s[4:5], 31, v17
	v_cndmask_b32_e64 v21, 0, v24, s[4:5]
	v_cndmask_b32_e64 v22, 0, v28, s[4:5]
	v_add_co_u32_e64 v21, s[4:5], v21, v16
	v_addc_co_u32_e64 v22, s[4:5], v22, v1, s[4:5]
; %bb.26:
	s_or_b64 exec, exec, s[30:31]
	v_add_u32_e32 v1, -1, v17
	v_and_b32_e32 v16, 64, v17
	v_cmp_lt_i32_e64 s[4:5], v1, v16
	v_cndmask_b32_e64 v1, v1, v17, s[4:5]
	v_lshlrev_b32_e32 v1, 2, v1
	ds_bpermute_b32 v16, v1, v21
	ds_bpermute_b32 v1, v1, v22
	; wave barrier
	s_waitcnt lgkmcnt(1)
	v_add_co_u32_e64 v14, s[4:5], v14, v16
	v_addc_co_u32_e64 v15, s[4:5], 0, v15, s[4:5]
	v_add_co_u32_e64 v14, s[4:5], 0, v14
	s_waitcnt lgkmcnt(0)
	v_addc_co_u32_e64 v1, s[4:5], v15, v1, s[4:5]
	v_cndmask_b32_e64 v15, v1, v19, s[0:1]
	v_cndmask_b32_e64 v14, v14, v18, s[0:1]
	ds_write_b64 v20, v[14:15]
	; wave barrier
	ds_read_b64 v[16:17], v20 offset:8
	s_waitcnt lgkmcnt(0)
	v_add_co_u32_e64 v14, s[4:5], v16, v14
	v_addc_co_u32_e64 v15, s[4:5], v17, v15, s[4:5]
	ds_write_b64 v20, v[14:15] offset:8
.LBB362_27:
	s_or_b64 exec, exec, s[8:9]
	v_pk_mov_b32 v[22:23], 0, 0
	s_waitcnt lgkmcnt(0)
	s_barrier
	s_and_saveexec_b64 s[4:5], s[2:3]
	s_cbranch_execz .LBB362_29
; %bb.28:
	v_add_u32_e32 v1, -1, v0
	v_lshrrev_b32_e32 v14, 5, v1
	v_add_lshl_u32 v1, v14, v1, 3
	ds_read_b64 v[22:23], v1
.LBB362_29:
	s_or_b64 exec, exec, s[4:5]
	s_and_saveexec_b64 s[30:31], vcc
	s_cbranch_execz .LBB362_52
; %bb.30:
	v_mov_b32_e32 v17, 0
	ds_read_b64 v[14:15], v17 offset:1040
	v_mbcnt_lo_u32_b32 v1, -1, 0
	v_mbcnt_hi_u32_b32 v30, -1, v1
	s_mov_b32 s9, 0
	v_cmp_eq_u32_e64 s[4:5], 0, v30
	s_and_saveexec_b64 s[6:7], s[4:5]
	s_cbranch_execz .LBB362_32
; %bb.31:
	s_add_i32 s8, s37, 64
	s_lshl_b64 s[8:9], s[8:9], 4
	s_add_u32 s8, s10, s8
	s_addc_u32 s9, s11, s9
	v_mov_b32_e32 v16, 1
	v_pk_mov_b32 v[18:19], s[8:9], s[8:9] op_sel:[0,1]
	s_waitcnt lgkmcnt(0)
	;;#ASMSTART
	global_store_dwordx4 v[18:19], v[14:17] off	
s_waitcnt vmcnt(0)
	;;#ASMEND
.LBB362_32:
	s_or_b64 exec, exec, s[6:7]
	v_xad_u32 v24, v30, -1, s37
	v_add_u32_e32 v16, 64, v24
	v_lshlrev_b64 v[18:19], 4, v[16:17]
	v_mov_b32_e32 v1, s11
	v_add_co_u32_e32 v28, vcc, s10, v18
	v_addc_co_u32_e32 v29, vcc, v1, v19, vcc
	;;#ASMSTART
	global_load_dwordx4 v[18:21], v[28:29] off glc	
s_waitcnt vmcnt(0)
	;;#ASMEND
	v_and_b32_e32 v1, 0xff, v19
	v_and_b32_e32 v16, 0xff00, v19
	v_or3_b32 v1, 0, v1, v16
	v_or3_b32 v16, v18, 0, 0
	v_and_b32_e32 v18, 0xff000000, v19
	v_and_b32_e32 v19, 0xff0000, v19
	v_or3_b32 v19, v1, v19, v18
	v_or3_b32 v18, v16, 0, 0
	v_cmp_eq_u16_sdwa s[8:9], v20, v17 src0_sel:BYTE_0 src1_sel:DWORD
	s_and_saveexec_b64 s[6:7], s[8:9]
	s_cbranch_execz .LBB362_38
; %bb.33:
	s_mov_b32 s38, 1
	s_mov_b64 s[8:9], 0
	v_mov_b32_e32 v1, 0
.LBB362_34:                             ; =>This Loop Header: Depth=1
                                        ;     Child Loop BB362_35 Depth 2
	s_max_u32 s39, s38, 1
.LBB362_35:                             ;   Parent Loop BB362_34 Depth=1
                                        ; =>  This Inner Loop Header: Depth=2
	s_add_i32 s39, s39, -1
	s_cmp_eq_u32 s39, 0
	s_sleep 1
	s_cbranch_scc0 .LBB362_35
; %bb.36:                               ;   in Loop: Header=BB362_34 Depth=1
	s_cmp_lt_u32 s38, 32
	s_cselect_b64 s[40:41], -1, 0
	s_cmp_lg_u64 s[40:41], 0
	s_addc_u32 s38, s38, 0
	;;#ASMSTART
	global_load_dwordx4 v[18:21], v[28:29] off glc	
s_waitcnt vmcnt(0)
	;;#ASMEND
	v_cmp_ne_u16_sdwa s[40:41], v20, v1 src0_sel:BYTE_0 src1_sel:DWORD
	s_or_b64 s[8:9], s[40:41], s[8:9]
	s_andn2_b64 exec, exec, s[8:9]
	s_cbranch_execnz .LBB362_34
; %bb.37:
	s_or_b64 exec, exec, s[8:9]
.LBB362_38:
	s_or_b64 exec, exec, s[6:7]
	v_and_b32_e32 v32, 63, v30
	v_cmp_ne_u32_e32 vcc, 63, v32
	v_addc_co_u32_e32 v28, vcc, 0, v30, vcc
	v_lshlrev_b32_e32 v33, 2, v28
	ds_bpermute_b32 v28, v33, v18
	v_mov_b32_e32 v1, 2
	v_cmp_eq_u16_sdwa s[6:7], v20, v1 src0_sel:BYTE_0 src1_sel:DWORD
	v_lshlrev_b64 v[16:17], v30, -1
	ds_bpermute_b32 v29, v33, v19
	v_and_b32_e32 v21, s7, v17
	v_or_b32_e32 v21, 0x80000000, v21
	s_waitcnt lgkmcnt(1)
	v_add_co_u32_e32 v28, vcc, v18, v28
	v_and_b32_e32 v25, s6, v16
	v_ffbl_b32_e32 v21, v21
	v_addc_co_u32_e32 v31, vcc, 0, v19, vcc
	v_add_u32_e32 v21, 32, v21
	v_ffbl_b32_e32 v25, v25
	v_add_co_u32_e32 v35, vcc, 0, v28
	v_cmp_gt_u32_e64 s[6:7], 62, v32
	v_min_u32_e32 v21, v25, v21
	s_waitcnt lgkmcnt(0)
	v_addc_co_u32_e32 v29, vcc, v29, v31, vcc
	v_cndmask_b32_e64 v31, 0, 1, s[6:7]
	v_cmp_lt_u32_e32 vcc, v32, v21
	v_lshlrev_b32_e32 v31, 1, v31
	v_cndmask_b32_e32 v28, v18, v28, vcc
	v_add_lshl_u32 v34, v31, v30, 2
	v_cndmask_b32_e32 v29, v19, v29, vcc
	ds_bpermute_b32 v31, v34, v28
	ds_bpermute_b32 v39, v34, v29
	v_cndmask_b32_e32 v40, v18, v35, vcc
	v_add_u32_e32 v35, 2, v32
	v_cmp_gt_u32_e64 s[8:9], 60, v32
	s_waitcnt lgkmcnt(1)
	v_add_co_u32_e64 v31, s[6:7], v31, v40
	s_waitcnt lgkmcnt(0)
	v_addc_co_u32_e64 v39, s[6:7], v39, v29, s[6:7]
	v_cmp_gt_u32_e64 s[6:7], v35, v21
	v_cndmask_b32_e64 v29, v39, v29, s[6:7]
	v_cndmask_b32_e64 v39, 0, 1, s[8:9]
	v_lshlrev_b32_e32 v39, 2, v39
	v_cndmask_b32_e64 v28, v31, v28, s[6:7]
	v_add_lshl_u32 v39, v39, v30, 2
	ds_bpermute_b32 v41, v39, v28
	ds_bpermute_b32 v42, v39, v29
	v_cndmask_b32_e64 v31, v31, v40, s[6:7]
	v_add_u32_e32 v40, 4, v32
	v_cmp_gt_u32_e64 s[8:9], 56, v32
	s_waitcnt lgkmcnt(1)
	v_add_co_u32_e64 v43, s[6:7], v41, v31
	s_waitcnt lgkmcnt(0)
	v_addc_co_u32_e64 v41, s[6:7], v42, v29, s[6:7]
	v_cmp_gt_u32_e64 s[6:7], v40, v21
	v_cndmask_b32_e64 v29, v41, v29, s[6:7]
	v_cndmask_b32_e64 v41, 0, 1, s[8:9]
	v_lshlrev_b32_e32 v41, 3, v41
	v_cndmask_b32_e64 v28, v43, v28, s[6:7]
	v_add_lshl_u32 v41, v41, v30, 2
	ds_bpermute_b32 v44, v41, v28
	v_cndmask_b32_e64 v31, v43, v31, s[6:7]
	ds_bpermute_b32 v43, v41, v29
	v_add_u32_e32 v42, 8, v32
	v_cmp_gt_u32_e64 s[8:9], 48, v32
	s_waitcnt lgkmcnt(1)
	v_add_co_u32_e64 v44, s[6:7], v44, v31
	s_waitcnt lgkmcnt(0)
	v_addc_co_u32_e64 v43, s[6:7], v43, v29, s[6:7]
	v_cmp_gt_u32_e64 s[6:7], v42, v21
	v_cndmask_b32_e64 v29, v43, v29, s[6:7]
	v_cndmask_b32_e64 v43, 0, 1, s[8:9]
	v_lshlrev_b32_e32 v43, 4, v43
	v_cndmask_b32_e64 v28, v44, v28, s[6:7]
	v_add_lshl_u32 v43, v43, v30, 2
	ds_bpermute_b32 v45, v43, v28
	ds_bpermute_b32 v46, v43, v29
	v_cndmask_b32_e64 v31, v44, v31, s[6:7]
	v_cmp_gt_u32_e64 s[8:9], 32, v32
	v_add_u32_e32 v44, 16, v32
	s_waitcnt lgkmcnt(1)
	v_add_co_u32_e64 v47, s[6:7], v45, v31
	s_waitcnt lgkmcnt(0)
	v_addc_co_u32_e64 v46, s[6:7], v46, v29, s[6:7]
	v_cndmask_b32_e64 v45, 0, 1, s[8:9]
	v_cmp_gt_u32_e64 s[6:7], v44, v21
	v_lshlrev_b32_e32 v45, 5, v45
	v_cndmask_b32_e64 v28, v47, v28, s[6:7]
	v_add_lshl_u32 v45, v45, v30, 2
	v_cndmask_b32_e64 v29, v46, v29, s[6:7]
	ds_bpermute_b32 v28, v45, v28
	ds_bpermute_b32 v30, v45, v29
	v_add_u32_e32 v46, 32, v32
	v_cndmask_b32_e64 v31, v47, v31, s[6:7]
	v_cmp_le_u32_e64 s[6:7], v46, v21
	s_waitcnt lgkmcnt(1)
	v_cndmask_b32_e64 v28, 0, v28, s[6:7]
	s_waitcnt lgkmcnt(0)
	v_cndmask_b32_e64 v21, 0, v30, s[6:7]
	v_add_co_u32_e64 v28, s[6:7], v28, v31
	v_addc_co_u32_e64 v21, s[6:7], v21, v29, s[6:7]
	v_mov_b32_e32 v25, 0
	v_cndmask_b32_e32 v19, v19, v21, vcc
	v_cndmask_b32_e32 v18, v18, v28, vcc
	s_branch .LBB362_40
.LBB362_39:                             ;   in Loop: Header=BB362_40 Depth=1
	s_or_b64 exec, exec, s[6:7]
	v_cmp_eq_u16_sdwa s[6:7], v20, v1 src0_sel:BYTE_0 src1_sel:DWORD
	v_and_b32_e32 v21, s7, v17
	v_or_b32_e32 v21, 0x80000000, v21
	ds_bpermute_b32 v31, v33, v18
	v_and_b32_e32 v30, s6, v16
	v_ffbl_b32_e32 v21, v21
	v_add_u32_e32 v21, 32, v21
	v_ffbl_b32_e32 v30, v30
	v_min_u32_e32 v21, v30, v21
	ds_bpermute_b32 v30, v33, v19
	s_waitcnt lgkmcnt(1)
	v_add_co_u32_e32 v31, vcc, v18, v31
	v_addc_co_u32_e32 v47, vcc, 0, v19, vcc
	v_add_co_u32_e32 v48, vcc, 0, v31
	s_waitcnt lgkmcnt(0)
	v_addc_co_u32_e32 v30, vcc, v30, v47, vcc
	v_cmp_lt_u32_e32 vcc, v32, v21
	v_cndmask_b32_e32 v31, v18, v31, vcc
	ds_bpermute_b32 v47, v34, v31
	v_cndmask_b32_e32 v30, v19, v30, vcc
	ds_bpermute_b32 v49, v34, v30
	v_cndmask_b32_e32 v48, v18, v48, vcc
	v_subrev_u32_e32 v24, 64, v24
	s_waitcnt lgkmcnt(1)
	v_add_co_u32_e64 v47, s[6:7], v47, v48
	s_waitcnt lgkmcnt(0)
	v_addc_co_u32_e64 v49, s[6:7], v49, v30, s[6:7]
	v_cmp_gt_u32_e64 s[6:7], v35, v21
	v_cndmask_b32_e64 v31, v47, v31, s[6:7]
	ds_bpermute_b32 v50, v39, v31
	v_cndmask_b32_e64 v30, v49, v30, s[6:7]
	ds_bpermute_b32 v49, v39, v30
	v_cndmask_b32_e64 v47, v47, v48, s[6:7]
	s_waitcnt lgkmcnt(1)
	v_add_co_u32_e64 v48, s[6:7], v50, v47
	s_waitcnt lgkmcnt(0)
	v_addc_co_u32_e64 v49, s[6:7], v49, v30, s[6:7]
	v_cmp_gt_u32_e64 s[6:7], v40, v21
	v_cndmask_b32_e64 v31, v48, v31, s[6:7]
	ds_bpermute_b32 v50, v41, v31
	v_cndmask_b32_e64 v30, v49, v30, s[6:7]
	ds_bpermute_b32 v49, v41, v30
	v_cndmask_b32_e64 v47, v48, v47, s[6:7]
	;; [unrolled: 10-line block ×3, first 2 shown]
	s_waitcnt lgkmcnt(1)
	v_add_co_u32_e64 v48, s[6:7], v50, v47
	s_waitcnt lgkmcnt(0)
	v_addc_co_u32_e64 v49, s[6:7], v49, v30, s[6:7]
	v_cmp_gt_u32_e64 s[6:7], v44, v21
	v_cndmask_b32_e64 v31, v48, v31, s[6:7]
	v_cndmask_b32_e64 v30, v49, v30, s[6:7]
	ds_bpermute_b32 v31, v45, v31
	ds_bpermute_b32 v49, v45, v30
	v_cndmask_b32_e64 v47, v48, v47, s[6:7]
	v_cmp_le_u32_e64 s[6:7], v46, v21
	s_waitcnt lgkmcnt(1)
	v_cndmask_b32_e64 v31, 0, v31, s[6:7]
	s_waitcnt lgkmcnt(0)
	v_cndmask_b32_e64 v21, 0, v49, s[6:7]
	v_add_co_u32_e64 v31, s[6:7], v31, v47
	v_addc_co_u32_e64 v21, s[6:7], v21, v30, s[6:7]
	v_cndmask_b32_e32 v18, v18, v31, vcc
	v_cndmask_b32_e32 v19, v19, v21, vcc
	v_add_co_u32_e32 v18, vcc, v18, v28
	v_addc_co_u32_e32 v19, vcc, v19, v29, vcc
.LBB362_40:                             ; =>This Loop Header: Depth=1
                                        ;     Child Loop BB362_43 Depth 2
                                        ;       Child Loop BB362_44 Depth 3
	v_cmp_ne_u16_sdwa s[6:7], v20, v1 src0_sel:BYTE_0 src1_sel:DWORD
	v_cndmask_b32_e64 v20, 0, 1, s[6:7]
	;;#ASMSTART
	;;#ASMEND
	v_cmp_ne_u32_e32 vcc, 0, v20
	s_cmp_lg_u64 vcc, exec
	v_pk_mov_b32 v[28:29], v[18:19], v[18:19] op_sel:[0,1]
	s_cbranch_scc1 .LBB362_47
; %bb.41:                               ;   in Loop: Header=BB362_40 Depth=1
	v_lshlrev_b64 v[18:19], 4, v[24:25]
	v_mov_b32_e32 v20, s11
	v_add_co_u32_e32 v30, vcc, s10, v18
	v_addc_co_u32_e32 v31, vcc, v20, v19, vcc
	;;#ASMSTART
	global_load_dwordx4 v[18:21], v[30:31] off glc	
s_waitcnt vmcnt(0)
	;;#ASMEND
	v_and_b32_e32 v21, 0xff, v19
	v_and_b32_e32 v47, 0xff00, v19
	v_or3_b32 v21, 0, v21, v47
	v_or3_b32 v18, v18, 0, 0
	v_and_b32_e32 v47, 0xff000000, v19
	v_and_b32_e32 v19, 0xff0000, v19
	v_or3_b32 v19, v21, v19, v47
	v_or3_b32 v18, v18, 0, 0
	v_cmp_eq_u16_sdwa s[8:9], v20, v25 src0_sel:BYTE_0 src1_sel:DWORD
	s_and_saveexec_b64 s[6:7], s[8:9]
	s_cbranch_execz .LBB362_39
; %bb.42:                               ;   in Loop: Header=BB362_40 Depth=1
	s_mov_b32 s38, 1
	s_mov_b64 s[8:9], 0
.LBB362_43:                             ;   Parent Loop BB362_40 Depth=1
                                        ; =>  This Loop Header: Depth=2
                                        ;       Child Loop BB362_44 Depth 3
	s_max_u32 s39, s38, 1
.LBB362_44:                             ;   Parent Loop BB362_40 Depth=1
                                        ;     Parent Loop BB362_43 Depth=2
                                        ; =>    This Inner Loop Header: Depth=3
	s_add_i32 s39, s39, -1
	s_cmp_eq_u32 s39, 0
	s_sleep 1
	s_cbranch_scc0 .LBB362_44
; %bb.45:                               ;   in Loop: Header=BB362_43 Depth=2
	s_cmp_lt_u32 s38, 32
	s_cselect_b64 s[40:41], -1, 0
	s_cmp_lg_u64 s[40:41], 0
	s_addc_u32 s38, s38, 0
	;;#ASMSTART
	global_load_dwordx4 v[18:21], v[30:31] off glc	
s_waitcnt vmcnt(0)
	;;#ASMEND
	v_cmp_ne_u16_sdwa s[40:41], v20, v25 src0_sel:BYTE_0 src1_sel:DWORD
	s_or_b64 s[8:9], s[40:41], s[8:9]
	s_andn2_b64 exec, exec, s[8:9]
	s_cbranch_execnz .LBB362_43
; %bb.46:                               ;   in Loop: Header=BB362_40 Depth=1
	s_or_b64 exec, exec, s[8:9]
	s_branch .LBB362_39
.LBB362_47:                             ;   in Loop: Header=BB362_40 Depth=1
                                        ; implicit-def: $vgpr18_vgpr19
                                        ; implicit-def: $vgpr20
	s_cbranch_execz .LBB362_40
; %bb.48:
	s_and_saveexec_b64 s[6:7], s[4:5]
	s_cbranch_execz .LBB362_50
; %bb.49:
	s_add_i32 s4, s37, 64
	s_mov_b32 s5, 0
	s_lshl_b64 s[4:5], s[4:5], 4
	s_add_u32 s4, s10, s4
	v_add_co_u32_e32 v14, vcc, v28, v14
	s_addc_u32 s5, s11, s5
	v_addc_co_u32_e32 v15, vcc, v29, v15, vcc
	v_mov_b32_e32 v16, 2
	v_mov_b32_e32 v17, 0
	v_pk_mov_b32 v[18:19], s[4:5], s[4:5] op_sel:[0,1]
	;;#ASMSTART
	global_store_dwordx4 v[18:19], v[14:17] off	
s_waitcnt vmcnt(0)
	;;#ASMEND
.LBB362_50:
	s_or_b64 exec, exec, s[6:7]
	s_and_b64 exec, exec, s[0:1]
	s_cbranch_execz .LBB362_52
; %bb.51:
	v_mov_b32_e32 v1, 0
	ds_write_b64 v1, v[28:29]
.LBB362_52:
	s_or_b64 exec, exec, s[30:31]
	v_mov_b32_e32 v1, 0
	s_waitcnt lgkmcnt(0)
	s_barrier
	ds_read_b64 v[14:15], v1
	s_waitcnt lgkmcnt(0)
	v_add_co_u32_e32 v14, vcc, v14, v22
	v_addc_co_u32_e32 v15, vcc, v15, v23, vcc
	v_add_co_u32_e32 v28, vcc, v14, v10
	v_addc_co_u32_e32 v29, vcc, v15, v11, vcc
	v_add_co_u32_e32 v18, vcc, v28, v12
	v_addc_co_u32_e32 v19, vcc, v29, v13, vcc
	v_add_co_u32_e32 v30, vcc, v18, v6
	v_addc_co_u32_e32 v31, vcc, v19, v7, vcc
	v_add_co_u32_e32 v22, vcc, v30, v8
	v_addc_co_u32_e32 v23, vcc, v31, v9, vcc
	v_add_co_u32_e32 v32, vcc, v22, v2
	v_addc_co_u32_e32 v33, vcc, v23, v3, vcc
	v_add_co_u32_e32 v34, vcc, v32, v4
	v_addc_co_u32_e32 v35, vcc, v33, v5, vcc
	s_branch .LBB362_65
.LBB362_53:
                                        ; implicit-def: $vgpr34_vgpr35
                                        ; implicit-def: $vgpr32_vgpr33
                                        ; implicit-def: $vgpr30_vgpr31
                                        ; implicit-def: $vgpr28_vgpr29
                                        ; implicit-def: $vgpr22_vgpr23_vgpr24_vgpr25
                                        ; implicit-def: $vgpr18_vgpr19_vgpr20_vgpr21
                                        ; implicit-def: $vgpr14_vgpr15_vgpr16_vgpr17
	s_cbranch_execz .LBB362_65
; %bb.54:
	s_cmp_eq_u64 s[16:17], 0
	v_pk_mov_b32 v[20:21], s[28:29], s[28:29] op_sel:[0,1]
	s_cbranch_scc1 .LBB362_56
; %bb.55:
	v_mov_b32_e32 v1, 0
	v_mov_b32_e32 v15, s36
	v_add_co_u32_e64 v14, vcc, -8, s35
	v_addc_co_u32_e32 v15, vcc, -1, v15, vcc
	global_load_dwordx2 v[16:17], v1, s[12:13]
	flat_load_dwordx2 v[18:19], v[14:15]
	s_waitcnt vmcnt(0) lgkmcnt(0)
	v_add_co_u32_e32 v20, vcc, v16, v18
	v_addc_co_u32_e32 v21, vcc, v17, v19, vcc
.LBB362_56:
	v_add_co_u32_e32 v1, vcc, v12, v10
	v_addc_co_u32_e32 v14, vcc, v13, v11, vcc
	v_add_co_u32_e32 v1, vcc, v1, v6
	v_addc_co_u32_e32 v14, vcc, v14, v7, vcc
	;; [unrolled: 2-line block ×6, first 2 shown]
	v_add_lshl_u32 v1, v38, v0, 3
	v_cmp_gt_u32_e32 vcc, 64, v0
	ds_write_b64 v1, v[18:19]
	s_waitcnt lgkmcnt(0)
	s_barrier
	s_and_saveexec_b64 s[6:7], vcc
	s_cbranch_execz .LBB362_60
; %bb.57:
	v_lshlrev_b32_e32 v1, 1, v0
	v_lshrrev_b32_e32 v14, 4, v0
	v_add_lshl_u32 v22, v14, v1, 3
	ds_read2_b64 v[14:17], v22 offset1:1
	v_mbcnt_lo_u32_b32 v1, -1, 0
	s_waitcnt lgkmcnt(0)
	v_add_co_u32_e32 v23, vcc, v16, v14
	v_addc_co_u32_e32 v24, vcc, v17, v15, vcc
	s_nop 0
	v_mov_b32_dpp v16, v23 row_shr:1 row_mask:0xf bank_mask:0xf
	v_add_co_u32_e32 v16, vcc, v23, v16
	v_addc_co_u32_e32 v26, vcc, 0, v24, vcc
	v_mbcnt_hi_u32_b32 v17, -1, v1
	v_mov_b32_dpp v25, v24 row_shr:1 row_mask:0xf bank_mask:0xf
	v_add_co_u32_e32 v27, vcc, 0, v16
	v_and_b32_e32 v1, 15, v17
	v_addc_co_u32_e32 v25, vcc, v25, v26, vcc
	v_cmp_eq_u32_e32 vcc, 0, v1
	v_cndmask_b32_e32 v16, v16, v23, vcc
	v_cndmask_b32_e32 v25, v25, v24, vcc
	v_cndmask_b32_e32 v26, v27, v23, vcc
	v_mov_b32_dpp v27, v16 row_shr:2 row_mask:0xf bank_mask:0xf
	v_mov_b32_dpp v28, v25 row_shr:2 row_mask:0xf bank_mask:0xf
	v_add_co_u32_e32 v27, vcc, v27, v26
	v_addc_co_u32_e32 v28, vcc, v28, v25, vcc
	v_cmp_lt_u32_e32 vcc, 1, v1
	v_cndmask_b32_e32 v16, v16, v27, vcc
	v_cndmask_b32_e32 v25, v25, v28, vcc
	v_cndmask_b32_e32 v26, v26, v27, vcc
	v_mov_b32_dpp v27, v16 row_shr:4 row_mask:0xf bank_mask:0xf
	v_mov_b32_dpp v28, v25 row_shr:4 row_mask:0xf bank_mask:0xf
	v_add_co_u32_e32 v27, vcc, v27, v26
	v_addc_co_u32_e32 v28, vcc, v28, v25, vcc
	v_cmp_lt_u32_e32 vcc, 3, v1
	;; [unrolled: 8-line block ×3, first 2 shown]
	v_cndmask_b32_e32 v29, v16, v27, vcc
	v_cndmask_b32_e32 v1, v25, v28, vcc
	;; [unrolled: 1-line block ×3, first 2 shown]
	v_mov_b32_dpp v25, v29 row_bcast:15 row_mask:0xf bank_mask:0xf
	v_mov_b32_dpp v26, v1 row_bcast:15 row_mask:0xf bank_mask:0xf
	v_add_co_u32_e32 v25, vcc, v25, v16
	v_and_b32_e32 v28, 16, v17
	v_addc_co_u32_e32 v27, vcc, v26, v1, vcc
	v_cmp_eq_u32_e32 vcc, 0, v28
	v_cndmask_b32_e32 v28, v27, v1, vcc
	v_cndmask_b32_e32 v26, v25, v29, vcc
	v_cmp_ne_u32_e64 s[4:5], 0, v17
	v_mov_b32_dpp v28, v28 row_bcast:31 row_mask:0xf bank_mask:0xf
	v_mov_b32_dpp v26, v26 row_bcast:31 row_mask:0xf bank_mask:0xf
	s_and_saveexec_b64 s[8:9], s[4:5]
; %bb.58:
	v_cndmask_b32_e32 v1, v27, v1, vcc
	v_cndmask_b32_e32 v16, v25, v16, vcc
	v_cmp_lt_u32_e32 vcc, 31, v17
	v_cndmask_b32_e32 v23, 0, v26, vcc
	v_cndmask_b32_e32 v24, 0, v28, vcc
	v_add_co_u32_e32 v23, vcc, v23, v16
	v_addc_co_u32_e32 v24, vcc, v24, v1, vcc
; %bb.59:
	s_or_b64 exec, exec, s[8:9]
	v_add_u32_e32 v1, -1, v17
	v_and_b32_e32 v16, 64, v17
	v_cmp_lt_i32_e32 vcc, v1, v16
	v_cndmask_b32_e32 v1, v1, v17, vcc
	v_lshlrev_b32_e32 v1, 2, v1
	ds_bpermute_b32 v16, v1, v23
	ds_bpermute_b32 v1, v1, v24
	; wave barrier
	s_waitcnt lgkmcnt(1)
	v_add_co_u32_e32 v14, vcc, v14, v16
	v_addc_co_u32_e32 v15, vcc, 0, v15, vcc
	v_add_co_u32_e32 v14, vcc, 0, v14
	s_waitcnt lgkmcnt(0)
	v_addc_co_u32_e32 v1, vcc, v15, v1, vcc
	v_cndmask_b32_e64 v15, v1, v19, s[0:1]
	v_cndmask_b32_e64 v14, v14, v18, s[0:1]
	ds_write_b64 v22, v[14:15]
	; wave barrier
	ds_read_b64 v[16:17], v22 offset:8
	s_waitcnt lgkmcnt(0)
	v_add_co_u32_e32 v14, vcc, v16, v14
	v_addc_co_u32_e32 v15, vcc, v17, v15, vcc
	ds_write_b64 v22, v[14:15] offset:8
.LBB362_60:
	s_or_b64 exec, exec, s[6:7]
	v_pk_mov_b32 v[14:15], v[20:21], v[20:21] op_sel:[0,1]
	s_waitcnt lgkmcnt(0)
	s_barrier
	s_and_saveexec_b64 s[4:5], s[2:3]
	s_cbranch_execz .LBB362_62
; %bb.61:
	v_add_u32_e32 v1, -1, v0
	v_lshrrev_b32_e32 v14, 5, v1
	v_add_lshl_u32 v1, v14, v1, 3
	ds_read_b64 v[14:15], v1
	s_waitcnt lgkmcnt(0)
	v_add_co_u32_e32 v14, vcc, v14, v20
	v_addc_co_u32_e32 v15, vcc, v15, v21, vcc
.LBB362_62:
	s_or_b64 exec, exec, s[4:5]
	v_add_co_u32_e32 v28, vcc, v14, v10
	v_addc_co_u32_e32 v29, vcc, v15, v11, vcc
	v_add_co_u32_e32 v18, vcc, v28, v12
	v_addc_co_u32_e32 v19, vcc, v29, v13, vcc
	v_add_co_u32_e32 v30, vcc, v18, v6
	v_addc_co_u32_e32 v31, vcc, v19, v7, vcc
	v_add_co_u32_e32 v22, vcc, v30, v8
	v_addc_co_u32_e32 v23, vcc, v31, v9, vcc
	v_add_co_u32_e32 v32, vcc, v22, v2
	v_addc_co_u32_e32 v33, vcc, v23, v3, vcc
	v_add_co_u32_e32 v34, vcc, v32, v4
	v_addc_co_u32_e32 v35, vcc, v33, v5, vcc
	s_and_saveexec_b64 s[2:3], s[0:1]
	s_cbranch_execz .LBB362_64
; %bb.63:
	v_mov_b32_e32 v5, 0
	ds_read_b64 v[2:3], v5 offset:1040
	s_add_u32 s0, s10, 0x400
	s_addc_u32 s1, s11, 0
	v_mov_b32_e32 v4, 2
	v_pk_mov_b32 v[6:7], s[0:1], s[0:1] op_sel:[0,1]
	s_waitcnt lgkmcnt(0)
	v_add_co_u32_e32 v2, vcc, v2, v20
	v_addc_co_u32_e32 v3, vcc, v3, v21, vcc
	;;#ASMSTART
	global_store_dwordx4 v[6:7], v[2:5] off	
s_waitcnt vmcnt(0)
	;;#ASMEND
.LBB362_64:
	s_or_b64 exec, exec, s[2:3]
.LBB362_65:
	s_add_u32 s0, s24, s22
	s_addc_u32 s1, s25, s23
	s_add_u32 s2, s0, s26
	s_addc_u32 s3, s1, s27
	s_mov_b64 s[0:1], -1
	s_and_b64 vcc, exec, s[20:21]
	v_mul_u32_u24_e32 v1, 56, v0
	s_barrier
	s_cbranch_vccz .LBB362_67
; %bb.66:
	v_mul_i32_i24_e32 v2, 0xffffffd0, v0
	v_mad_u32_u24 v16, v0, 56, v2
	ds_write2_b64 v1, v[14:15], v[28:29] offset1:1
	ds_write2_b64 v1, v[18:19], v[30:31] offset0:2 offset1:3
	ds_write2_b64 v1, v[22:23], v[32:33] offset0:4 offset1:5
	ds_write_b64 v1, v[34:35] offset:48
	s_waitcnt lgkmcnt(0)
	s_barrier
	ds_read2st64_b64 v[2:5], v16 offset1:2
	ds_read2st64_b64 v[6:9], v16 offset0:4 offset1:6
	ds_read2st64_b64 v[10:13], v16 offset0:8 offset1:10
	ds_read_b64 v[16:17], v16 offset:6144
	v_mov_b32_e32 v21, s3
	v_add_co_u32_e32 v20, vcc, s2, v36
	v_addc_co_u32_e32 v21, vcc, 0, v21, vcc
	s_waitcnt lgkmcnt(3)
	flat_store_dwordx2 v[20:21], v[2:3]
	flat_store_dwordx2 v[20:21], v[4:5] offset:1024
	s_waitcnt lgkmcnt(0)
	flat_store_dwordx2 v[20:21], v[6:7] offset:2048
	flat_store_dwordx2 v[20:21], v[8:9] offset:3072
	v_add_co_u32_e32 v2, vcc, 0x1000, v20
	v_addc_co_u32_e32 v3, vcc, 0, v21, vcc
	flat_store_dwordx2 v[2:3], v[10:11]
	flat_store_dwordx2 v[2:3], v[12:13] offset:1024
	flat_store_dwordx2 v[2:3], v[16:17] offset:2048
	s_mov_b64 s[0:1], 0
.LBB362_67:
	s_andn2_b64 vcc, exec, s[0:1]
	s_cbranch_vccnz .LBB362_106
; %bb.68:
	v_mul_i32_i24_e32 v2, 0xffffffd0, v0
	ds_write2_b64 v1, v[14:15], v[28:29] offset1:1
	ds_write2_b64 v1, v[18:19], v[30:31] offset0:2 offset1:3
	ds_write2_b64 v1, v[22:23], v[32:33] offset0:4 offset1:5
	ds_write_b64 v1, v[34:35] offset:48
	v_mad_u32_u24 v14, v0, 56, v2
	s_waitcnt lgkmcnt(0)
	s_barrier
	ds_read2st64_b64 v[2:5], v14 offset1:2
	ds_read2st64_b64 v[6:9], v14 offset0:4 offset1:6
	ds_read2st64_b64 v[10:13], v14 offset0:8 offset1:10
	ds_read_b64 v[14:15], v14 offset:6144
	v_mov_b32_e32 v17, s3
	v_add_co_u32_e32 v16, vcc, s2, v36
	v_addc_co_u32_e32 v17, vcc, 0, v17, vcc
	v_mov_b32_e32 v1, 0
	v_cmp_gt_u32_e32 vcc, s33, v0
	s_and_saveexec_b64 s[0:1], vcc
	s_cbranch_execz .LBB362_70
; %bb.69:
	s_waitcnt lgkmcnt(0)
	flat_store_dwordx2 v[16:17], v[2:3]
.LBB362_70:
	s_or_b64 exec, exec, s[0:1]
	v_or_b32_e32 v18, 0x80, v0
	v_cmp_gt_u32_e32 vcc, s33, v18
	s_and_saveexec_b64 s[0:1], vcc
	s_cbranch_execz .LBB362_72
; %bb.71:
	s_waitcnt lgkmcnt(0)
	flat_store_dwordx2 v[16:17], v[4:5] offset:1024
.LBB362_72:
	s_or_b64 exec, exec, s[0:1]
	v_or_b32_e32 v18, 0x100, v0
	v_cmp_gt_u32_e32 vcc, s33, v18
	s_and_saveexec_b64 s[0:1], vcc
	s_cbranch_execz .LBB362_74
; %bb.73:
	s_waitcnt lgkmcnt(0)
	flat_store_dwordx2 v[16:17], v[6:7] offset:2048
.LBB362_74:
	s_or_b64 exec, exec, s[0:1]
	v_or_b32_e32 v18, 0x180, v0
	v_cmp_gt_u32_e32 vcc, s33, v18
	s_and_saveexec_b64 s[0:1], vcc
	s_cbranch_execz .LBB362_76
; %bb.75:
	s_waitcnt lgkmcnt(0)
	flat_store_dwordx2 v[16:17], v[8:9] offset:3072
.LBB362_76:
	s_or_b64 exec, exec, s[0:1]
	v_or_b32_e32 v18, 0x200, v0
	v_cmp_gt_u32_e32 vcc, s33, v18
	s_and_saveexec_b64 s[0:1], vcc
	s_cbranch_execz .LBB362_78
; %bb.77:
	v_add_co_u32_e32 v18, vcc, 0x1000, v16
	v_addc_co_u32_e32 v19, vcc, 0, v17, vcc
	s_waitcnt lgkmcnt(0)
	flat_store_dwordx2 v[18:19], v[10:11]
.LBB362_78:
	s_or_b64 exec, exec, s[0:1]
	v_or_b32_e32 v18, 0x280, v0
	v_cmp_gt_u32_e32 vcc, s33, v18
	s_and_saveexec_b64 s[0:1], vcc
	s_cbranch_execz .LBB362_80
; %bb.79:
	v_add_co_u32_e32 v18, vcc, 0x1000, v16
	v_addc_co_u32_e32 v19, vcc, 0, v17, vcc
	s_waitcnt lgkmcnt(0)
	flat_store_dwordx2 v[18:19], v[12:13] offset:1024
.LBB362_80:
	s_or_b64 exec, exec, s[0:1]
	v_or_b32_e32 v18, 0x300, v0
	v_cmp_gt_u32_e32 vcc, s33, v18
	s_and_saveexec_b64 s[0:1], vcc
	s_cbranch_execz .LBB362_82
; %bb.81:
	v_add_co_u32_e32 v16, vcc, 0x1000, v16
	v_addc_co_u32_e32 v17, vcc, 0, v17, vcc
	s_waitcnt lgkmcnt(0)
	flat_store_dwordx2 v[16:17], v[14:15] offset:2048
.LBB362_82:
	s_or_b64 exec, exec, s[0:1]
	v_cmp_lt_u64_e64 s[0:1], s[18:19], 2
	s_and_b64 vcc, exec, s[0:1]
	s_cbranch_vccnz .LBB362_106
; %bb.83:
	s_add_u32 s0, s33, -1
	s_addc_u32 s1, s34, -1
	s_add_u32 s2, 0, 0x92481000
	s_addc_u32 s3, 0, 0x64
	s_add_i32 s3, s3, 0x249248c0
	s_mul_hi_u32 s7, s2, -7
	s_sub_i32 s7, s7, s2
	s_mul_i32 s8, s3, -7
	s_mul_i32 s4, s2, -7
	s_add_i32 s7, s7, s8
	s_mul_hi_u32 s5, s3, s4
	s_mul_i32 s6, s3, s4
	s_mul_i32 s9, s2, s7
	s_mul_hi_u32 s4, s2, s4
	s_mul_hi_u32 s8, s2, s7
	s_add_u32 s4, s4, s9
	s_addc_u32 s8, 0, s8
	s_add_u32 s4, s4, s6
	s_mul_hi_u32 s9, s3, s7
	s_addc_u32 s4, s8, s5
	s_addc_u32 s5, s9, 0
	s_mul_i32 s6, s3, s7
	s_add_u32 s4, s4, s6
	v_mov_b32_e32 v16, s4
	s_addc_u32 s5, 0, s5
	v_add_co_u32_e32 v16, vcc, s2, v16
	s_cmp_lg_u64 vcc, 0
	s_addc_u32 s2, s3, s5
	v_readfirstlane_b32 s5, v16
	s_mul_i32 s4, s0, s2
	s_mul_hi_u32 s6, s0, s5
	s_mul_hi_u32 s3, s0, s2
	s_add_u32 s4, s6, s4
	s_addc_u32 s3, 0, s3
	s_mul_hi_u32 s7, s1, s5
	s_mul_i32 s5, s1, s5
	s_add_u32 s4, s4, s5
	s_mul_hi_u32 s6, s1, s2
	s_addc_u32 s3, s3, s7
	s_addc_u32 s4, s6, 0
	s_mul_i32 s2, s1, s2
	s_add_u32 s2, s3, s2
	s_addc_u32 s3, 0, s4
	s_add_u32 s4, s2, 1
	s_addc_u32 s5, s3, 0
	s_add_u32 s6, s2, 2
	s_mul_i32 s8, s3, 7
	s_mul_hi_u32 s9, s2, 7
	s_addc_u32 s7, s3, 0
	s_add_i32 s9, s9, s8
	s_mul_i32 s8, s2, 7
	v_mov_b32_e32 v16, s8
	v_sub_co_u32_e32 v16, vcc, s0, v16
	s_cmp_lg_u64 vcc, 0
	s_subb_u32 s8, s1, s9
	v_subrev_co_u32_e32 v17, vcc, 7, v16
	s_cmp_lg_u64 vcc, 0
	s_subb_u32 s9, s8, 0
	v_readfirstlane_b32 s10, v17
	s_cmp_gt_u32 s10, 6
	s_cselect_b32 s10, -1, 0
	s_cmp_eq_u32 s9, 0
	s_cselect_b32 s9, s10, -1
	s_cmp_lg_u32 s9, 0
	s_cselect_b32 s4, s6, s4
	v_readfirstlane_b32 s6, v16
	s_cselect_b32 s5, s7, s5
	s_cmp_gt_u32 s6, 6
	s_cselect_b32 s6, -1, 0
	s_cmp_eq_u32 s8, 0
	s_cselect_b32 s6, s6, -1
	s_cmp_lg_u32 s6, 0
	s_cselect_b32 s3, s5, s3
	s_cselect_b32 s2, s4, s2
	v_cmp_eq_u64_e32 vcc, s[2:3], v[0:1]
	s_and_saveexec_b64 s[2:3], vcc
	s_cbranch_execz .LBB362_106
; %bb.84:
	v_mul_hi_u32_u24_e32 v1, 7, v0
	v_mov_b32_e32 v16, s1
	v_sub_co_u32_e32 v0, vcc, s0, v37
	v_subb_co_u32_e32 v1, vcc, v16, v1, vcc
	v_cmp_lt_i64_e32 vcc, 3, v[0:1]
	s_and_saveexec_b64 s[0:1], vcc
	s_xor_b64 s[0:1], exec, s[0:1]
	s_cbranch_execz .LBB362_94
; %bb.85:
	v_cmp_lt_i64_e32 vcc, 4, v[0:1]
	s_and_saveexec_b64 s[2:3], vcc
	s_xor_b64 s[2:3], exec, s[2:3]
	s_cbranch_execz .LBB362_91
; %bb.86:
	;; [unrolled: 5-line block ×3, first 2 shown]
	v_mov_b32_e32 v0, 0
	s_waitcnt lgkmcnt(0)
	global_store_dwordx2 v0, v[14:15], s[14:15]
                                        ; implicit-def: $vgpr10_vgpr11_vgpr12_vgpr13
.LBB362_88:
	s_andn2_saveexec_b64 s[4:5], s[4:5]
	s_cbranch_execz .LBB362_90
; %bb.89:
	v_mov_b32_e32 v0, 0
	s_waitcnt lgkmcnt(0)
	global_store_dwordx2 v0, v[12:13], s[14:15]
.LBB362_90:
	s_or_b64 exec, exec, s[4:5]
                                        ; implicit-def: $vgpr10_vgpr11_vgpr12_vgpr13
.LBB362_91:
	s_andn2_saveexec_b64 s[2:3], s[2:3]
	s_cbranch_execz .LBB362_93
; %bb.92:
	v_mov_b32_e32 v0, 0
	s_waitcnt lgkmcnt(0)
	global_store_dwordx2 v0, v[10:11], s[14:15]
.LBB362_93:
	s_or_b64 exec, exec, s[2:3]
                                        ; implicit-def: $vgpr0_vgpr1
                                        ; implicit-def: $vgpr2_vgpr3_vgpr4_vgpr5
                                        ; implicit-def: $vgpr6_vgpr7_vgpr8_vgpr9
.LBB362_94:
	s_andn2_saveexec_b64 s[0:1], s[0:1]
	s_cbranch_execz .LBB362_106
; %bb.95:
	v_cmp_lt_i64_e32 vcc, 1, v[0:1]
	s_and_saveexec_b64 s[0:1], vcc
	s_xor_b64 s[0:1], exec, s[0:1]
	s_cbranch_execz .LBB362_101
; %bb.96:
	v_cmp_lt_i64_e32 vcc, 2, v[0:1]
	s_and_saveexec_b64 s[2:3], vcc
	s_xor_b64 s[2:3], exec, s[2:3]
	s_cbranch_execz .LBB362_98
; %bb.97:
	v_mov_b32_e32 v0, 0
	s_waitcnt lgkmcnt(0)
	global_store_dwordx2 v0, v[8:9], s[14:15]
                                        ; implicit-def: $vgpr6_vgpr7_vgpr8_vgpr9
.LBB362_98:
	s_andn2_saveexec_b64 s[2:3], s[2:3]
	s_cbranch_execz .LBB362_100
; %bb.99:
	v_mov_b32_e32 v0, 0
	s_waitcnt lgkmcnt(0)
	global_store_dwordx2 v0, v[6:7], s[14:15]
.LBB362_100:
	s_or_b64 exec, exec, s[2:3]
                                        ; implicit-def: $vgpr2_vgpr3_vgpr4_vgpr5
                                        ; implicit-def: $vgpr0_vgpr1
.LBB362_101:
	s_andn2_saveexec_b64 s[0:1], s[0:1]
	s_cbranch_execz .LBB362_106
; %bb.102:
	v_cmp_ne_u64_e32 vcc, 1, v[0:1]
	s_and_saveexec_b64 s[0:1], vcc
	s_xor_b64 s[0:1], exec, s[0:1]
	s_cbranch_execz .LBB362_104
; %bb.103:
	v_mov_b32_e32 v0, 0
	s_waitcnt lgkmcnt(0)
	global_store_dwordx2 v0, v[2:3], s[14:15]
                                        ; implicit-def: $vgpr2_vgpr3_vgpr4_vgpr5
.LBB362_104:
	s_andn2_saveexec_b64 s[0:1], s[0:1]
	s_cbranch_execz .LBB362_106
; %bb.105:
	v_mov_b32_e32 v0, 0
	s_waitcnt lgkmcnt(0)
	global_store_dwordx2 v0, v[4:5], s[14:15]
.LBB362_106:
	s_endpgm
	.section	.rodata,"a",@progbits
	.p2align	6, 0x0
	.amdhsa_kernel _ZN7rocprim17ROCPRIM_400000_NS6detail17trampoline_kernelINS0_14default_configENS1_20scan_config_selectorIxEEZZNS1_9scan_implILNS1_25lookback_scan_determinismE0ELb1ELb1ES3_N6thrust23THRUST_200600_302600_NS6detail15normal_iteratorINS9_10device_ptrIxEEEESE_xNS9_4plusIxEExEEDaPvRmT3_T4_T5_mT6_P12ihipStream_tbENKUlT_T0_E_clISt17integral_constantIbLb1EESU_EEDaSP_SQ_EUlSP_E_NS1_11comp_targetILNS1_3genE4ELNS1_11target_archE910ELNS1_3gpuE8ELNS1_3repE0EEENS1_30default_config_static_selectorELNS0_4arch9wavefront6targetE1EEEvT1_
		.amdhsa_group_segment_fixed_size 7168
		.amdhsa_private_segment_fixed_size 0
		.amdhsa_kernarg_size 104
		.amdhsa_user_sgpr_count 6
		.amdhsa_user_sgpr_private_segment_buffer 1
		.amdhsa_user_sgpr_dispatch_ptr 0
		.amdhsa_user_sgpr_queue_ptr 0
		.amdhsa_user_sgpr_kernarg_segment_ptr 1
		.amdhsa_user_sgpr_dispatch_id 0
		.amdhsa_user_sgpr_flat_scratch_init 0
		.amdhsa_user_sgpr_kernarg_preload_length 0
		.amdhsa_user_sgpr_kernarg_preload_offset 0
		.amdhsa_user_sgpr_private_segment_size 0
		.amdhsa_uses_dynamic_stack 0
		.amdhsa_system_sgpr_private_segment_wavefront_offset 0
		.amdhsa_system_sgpr_workgroup_id_x 1
		.amdhsa_system_sgpr_workgroup_id_y 0
		.amdhsa_system_sgpr_workgroup_id_z 0
		.amdhsa_system_sgpr_workgroup_info 0
		.amdhsa_system_vgpr_workitem_id 0
		.amdhsa_next_free_vgpr 51
		.amdhsa_next_free_sgpr 42
		.amdhsa_accum_offset 52
		.amdhsa_reserve_vcc 1
		.amdhsa_reserve_flat_scratch 0
		.amdhsa_float_round_mode_32 0
		.amdhsa_float_round_mode_16_64 0
		.amdhsa_float_denorm_mode_32 3
		.amdhsa_float_denorm_mode_16_64 3
		.amdhsa_dx10_clamp 1
		.amdhsa_ieee_mode 1
		.amdhsa_fp16_overflow 0
		.amdhsa_tg_split 0
		.amdhsa_exception_fp_ieee_invalid_op 0
		.amdhsa_exception_fp_denorm_src 0
		.amdhsa_exception_fp_ieee_div_zero 0
		.amdhsa_exception_fp_ieee_overflow 0
		.amdhsa_exception_fp_ieee_underflow 0
		.amdhsa_exception_fp_ieee_inexact 0
		.amdhsa_exception_int_div_zero 0
	.end_amdhsa_kernel
	.section	.text._ZN7rocprim17ROCPRIM_400000_NS6detail17trampoline_kernelINS0_14default_configENS1_20scan_config_selectorIxEEZZNS1_9scan_implILNS1_25lookback_scan_determinismE0ELb1ELb1ES3_N6thrust23THRUST_200600_302600_NS6detail15normal_iteratorINS9_10device_ptrIxEEEESE_xNS9_4plusIxEExEEDaPvRmT3_T4_T5_mT6_P12ihipStream_tbENKUlT_T0_E_clISt17integral_constantIbLb1EESU_EEDaSP_SQ_EUlSP_E_NS1_11comp_targetILNS1_3genE4ELNS1_11target_archE910ELNS1_3gpuE8ELNS1_3repE0EEENS1_30default_config_static_selectorELNS0_4arch9wavefront6targetE1EEEvT1_,"axG",@progbits,_ZN7rocprim17ROCPRIM_400000_NS6detail17trampoline_kernelINS0_14default_configENS1_20scan_config_selectorIxEEZZNS1_9scan_implILNS1_25lookback_scan_determinismE0ELb1ELb1ES3_N6thrust23THRUST_200600_302600_NS6detail15normal_iteratorINS9_10device_ptrIxEEEESE_xNS9_4plusIxEExEEDaPvRmT3_T4_T5_mT6_P12ihipStream_tbENKUlT_T0_E_clISt17integral_constantIbLb1EESU_EEDaSP_SQ_EUlSP_E_NS1_11comp_targetILNS1_3genE4ELNS1_11target_archE910ELNS1_3gpuE8ELNS1_3repE0EEENS1_30default_config_static_selectorELNS0_4arch9wavefront6targetE1EEEvT1_,comdat
.Lfunc_end362:
	.size	_ZN7rocprim17ROCPRIM_400000_NS6detail17trampoline_kernelINS0_14default_configENS1_20scan_config_selectorIxEEZZNS1_9scan_implILNS1_25lookback_scan_determinismE0ELb1ELb1ES3_N6thrust23THRUST_200600_302600_NS6detail15normal_iteratorINS9_10device_ptrIxEEEESE_xNS9_4plusIxEExEEDaPvRmT3_T4_T5_mT6_P12ihipStream_tbENKUlT_T0_E_clISt17integral_constantIbLb1EESU_EEDaSP_SQ_EUlSP_E_NS1_11comp_targetILNS1_3genE4ELNS1_11target_archE910ELNS1_3gpuE8ELNS1_3repE0EEENS1_30default_config_static_selectorELNS0_4arch9wavefront6targetE1EEEvT1_, .Lfunc_end362-_ZN7rocprim17ROCPRIM_400000_NS6detail17trampoline_kernelINS0_14default_configENS1_20scan_config_selectorIxEEZZNS1_9scan_implILNS1_25lookback_scan_determinismE0ELb1ELb1ES3_N6thrust23THRUST_200600_302600_NS6detail15normal_iteratorINS9_10device_ptrIxEEEESE_xNS9_4plusIxEExEEDaPvRmT3_T4_T5_mT6_P12ihipStream_tbENKUlT_T0_E_clISt17integral_constantIbLb1EESU_EEDaSP_SQ_EUlSP_E_NS1_11comp_targetILNS1_3genE4ELNS1_11target_archE910ELNS1_3gpuE8ELNS1_3repE0EEENS1_30default_config_static_selectorELNS0_4arch9wavefront6targetE1EEEvT1_
                                        ; -- End function
	.section	.AMDGPU.csdata,"",@progbits
; Kernel info:
; codeLenInByte = 5780
; NumSgprs: 46
; NumVgprs: 51
; NumAgprs: 0
; TotalNumVgprs: 51
; ScratchSize: 0
; MemoryBound: 0
; FloatMode: 240
; IeeeMode: 1
; LDSByteSize: 7168 bytes/workgroup (compile time only)
; SGPRBlocks: 5
; VGPRBlocks: 6
; NumSGPRsForWavesPerEU: 46
; NumVGPRsForWavesPerEU: 51
; AccumOffset: 52
; Occupancy: 5
; WaveLimiterHint : 1
; COMPUTE_PGM_RSRC2:SCRATCH_EN: 0
; COMPUTE_PGM_RSRC2:USER_SGPR: 6
; COMPUTE_PGM_RSRC2:TRAP_HANDLER: 0
; COMPUTE_PGM_RSRC2:TGID_X_EN: 1
; COMPUTE_PGM_RSRC2:TGID_Y_EN: 0
; COMPUTE_PGM_RSRC2:TGID_Z_EN: 0
; COMPUTE_PGM_RSRC2:TIDIG_COMP_CNT: 0
; COMPUTE_PGM_RSRC3_GFX90A:ACCUM_OFFSET: 12
; COMPUTE_PGM_RSRC3_GFX90A:TG_SPLIT: 0
	.section	.text._ZN7rocprim17ROCPRIM_400000_NS6detail17trampoline_kernelINS0_14default_configENS1_20scan_config_selectorIxEEZZNS1_9scan_implILNS1_25lookback_scan_determinismE0ELb1ELb1ES3_N6thrust23THRUST_200600_302600_NS6detail15normal_iteratorINS9_10device_ptrIxEEEESE_xNS9_4plusIxEExEEDaPvRmT3_T4_T5_mT6_P12ihipStream_tbENKUlT_T0_E_clISt17integral_constantIbLb1EESU_EEDaSP_SQ_EUlSP_E_NS1_11comp_targetILNS1_3genE3ELNS1_11target_archE908ELNS1_3gpuE7ELNS1_3repE0EEENS1_30default_config_static_selectorELNS0_4arch9wavefront6targetE1EEEvT1_,"axG",@progbits,_ZN7rocprim17ROCPRIM_400000_NS6detail17trampoline_kernelINS0_14default_configENS1_20scan_config_selectorIxEEZZNS1_9scan_implILNS1_25lookback_scan_determinismE0ELb1ELb1ES3_N6thrust23THRUST_200600_302600_NS6detail15normal_iteratorINS9_10device_ptrIxEEEESE_xNS9_4plusIxEExEEDaPvRmT3_T4_T5_mT6_P12ihipStream_tbENKUlT_T0_E_clISt17integral_constantIbLb1EESU_EEDaSP_SQ_EUlSP_E_NS1_11comp_targetILNS1_3genE3ELNS1_11target_archE908ELNS1_3gpuE7ELNS1_3repE0EEENS1_30default_config_static_selectorELNS0_4arch9wavefront6targetE1EEEvT1_,comdat
	.protected	_ZN7rocprim17ROCPRIM_400000_NS6detail17trampoline_kernelINS0_14default_configENS1_20scan_config_selectorIxEEZZNS1_9scan_implILNS1_25lookback_scan_determinismE0ELb1ELb1ES3_N6thrust23THRUST_200600_302600_NS6detail15normal_iteratorINS9_10device_ptrIxEEEESE_xNS9_4plusIxEExEEDaPvRmT3_T4_T5_mT6_P12ihipStream_tbENKUlT_T0_E_clISt17integral_constantIbLb1EESU_EEDaSP_SQ_EUlSP_E_NS1_11comp_targetILNS1_3genE3ELNS1_11target_archE908ELNS1_3gpuE7ELNS1_3repE0EEENS1_30default_config_static_selectorELNS0_4arch9wavefront6targetE1EEEvT1_ ; -- Begin function _ZN7rocprim17ROCPRIM_400000_NS6detail17trampoline_kernelINS0_14default_configENS1_20scan_config_selectorIxEEZZNS1_9scan_implILNS1_25lookback_scan_determinismE0ELb1ELb1ES3_N6thrust23THRUST_200600_302600_NS6detail15normal_iteratorINS9_10device_ptrIxEEEESE_xNS9_4plusIxEExEEDaPvRmT3_T4_T5_mT6_P12ihipStream_tbENKUlT_T0_E_clISt17integral_constantIbLb1EESU_EEDaSP_SQ_EUlSP_E_NS1_11comp_targetILNS1_3genE3ELNS1_11target_archE908ELNS1_3gpuE7ELNS1_3repE0EEENS1_30default_config_static_selectorELNS0_4arch9wavefront6targetE1EEEvT1_
	.globl	_ZN7rocprim17ROCPRIM_400000_NS6detail17trampoline_kernelINS0_14default_configENS1_20scan_config_selectorIxEEZZNS1_9scan_implILNS1_25lookback_scan_determinismE0ELb1ELb1ES3_N6thrust23THRUST_200600_302600_NS6detail15normal_iteratorINS9_10device_ptrIxEEEESE_xNS9_4plusIxEExEEDaPvRmT3_T4_T5_mT6_P12ihipStream_tbENKUlT_T0_E_clISt17integral_constantIbLb1EESU_EEDaSP_SQ_EUlSP_E_NS1_11comp_targetILNS1_3genE3ELNS1_11target_archE908ELNS1_3gpuE7ELNS1_3repE0EEENS1_30default_config_static_selectorELNS0_4arch9wavefront6targetE1EEEvT1_
	.p2align	8
	.type	_ZN7rocprim17ROCPRIM_400000_NS6detail17trampoline_kernelINS0_14default_configENS1_20scan_config_selectorIxEEZZNS1_9scan_implILNS1_25lookback_scan_determinismE0ELb1ELb1ES3_N6thrust23THRUST_200600_302600_NS6detail15normal_iteratorINS9_10device_ptrIxEEEESE_xNS9_4plusIxEExEEDaPvRmT3_T4_T5_mT6_P12ihipStream_tbENKUlT_T0_E_clISt17integral_constantIbLb1EESU_EEDaSP_SQ_EUlSP_E_NS1_11comp_targetILNS1_3genE3ELNS1_11target_archE908ELNS1_3gpuE7ELNS1_3repE0EEENS1_30default_config_static_selectorELNS0_4arch9wavefront6targetE1EEEvT1_,@function
_ZN7rocprim17ROCPRIM_400000_NS6detail17trampoline_kernelINS0_14default_configENS1_20scan_config_selectorIxEEZZNS1_9scan_implILNS1_25lookback_scan_determinismE0ELb1ELb1ES3_N6thrust23THRUST_200600_302600_NS6detail15normal_iteratorINS9_10device_ptrIxEEEESE_xNS9_4plusIxEExEEDaPvRmT3_T4_T5_mT6_P12ihipStream_tbENKUlT_T0_E_clISt17integral_constantIbLb1EESU_EEDaSP_SQ_EUlSP_E_NS1_11comp_targetILNS1_3genE3ELNS1_11target_archE908ELNS1_3gpuE7ELNS1_3repE0EEENS1_30default_config_static_selectorELNS0_4arch9wavefront6targetE1EEEvT1_: ; @_ZN7rocprim17ROCPRIM_400000_NS6detail17trampoline_kernelINS0_14default_configENS1_20scan_config_selectorIxEEZZNS1_9scan_implILNS1_25lookback_scan_determinismE0ELb1ELb1ES3_N6thrust23THRUST_200600_302600_NS6detail15normal_iteratorINS9_10device_ptrIxEEEESE_xNS9_4plusIxEExEEDaPvRmT3_T4_T5_mT6_P12ihipStream_tbENKUlT_T0_E_clISt17integral_constantIbLb1EESU_EEDaSP_SQ_EUlSP_E_NS1_11comp_targetILNS1_3genE3ELNS1_11target_archE908ELNS1_3gpuE7ELNS1_3repE0EEENS1_30default_config_static_selectorELNS0_4arch9wavefront6targetE1EEEvT1_
; %bb.0:
	.section	.rodata,"a",@progbits
	.p2align	6, 0x0
	.amdhsa_kernel _ZN7rocprim17ROCPRIM_400000_NS6detail17trampoline_kernelINS0_14default_configENS1_20scan_config_selectorIxEEZZNS1_9scan_implILNS1_25lookback_scan_determinismE0ELb1ELb1ES3_N6thrust23THRUST_200600_302600_NS6detail15normal_iteratorINS9_10device_ptrIxEEEESE_xNS9_4plusIxEExEEDaPvRmT3_T4_T5_mT6_P12ihipStream_tbENKUlT_T0_E_clISt17integral_constantIbLb1EESU_EEDaSP_SQ_EUlSP_E_NS1_11comp_targetILNS1_3genE3ELNS1_11target_archE908ELNS1_3gpuE7ELNS1_3repE0EEENS1_30default_config_static_selectorELNS0_4arch9wavefront6targetE1EEEvT1_
		.amdhsa_group_segment_fixed_size 0
		.amdhsa_private_segment_fixed_size 0
		.amdhsa_kernarg_size 104
		.amdhsa_user_sgpr_count 6
		.amdhsa_user_sgpr_private_segment_buffer 1
		.amdhsa_user_sgpr_dispatch_ptr 0
		.amdhsa_user_sgpr_queue_ptr 0
		.amdhsa_user_sgpr_kernarg_segment_ptr 1
		.amdhsa_user_sgpr_dispatch_id 0
		.amdhsa_user_sgpr_flat_scratch_init 0
		.amdhsa_user_sgpr_kernarg_preload_length 0
		.amdhsa_user_sgpr_kernarg_preload_offset 0
		.amdhsa_user_sgpr_private_segment_size 0
		.amdhsa_uses_dynamic_stack 0
		.amdhsa_system_sgpr_private_segment_wavefront_offset 0
		.amdhsa_system_sgpr_workgroup_id_x 1
		.amdhsa_system_sgpr_workgroup_id_y 0
		.amdhsa_system_sgpr_workgroup_id_z 0
		.amdhsa_system_sgpr_workgroup_info 0
		.amdhsa_system_vgpr_workitem_id 0
		.amdhsa_next_free_vgpr 1
		.amdhsa_next_free_sgpr 0
		.amdhsa_accum_offset 4
		.amdhsa_reserve_vcc 0
		.amdhsa_reserve_flat_scratch 0
		.amdhsa_float_round_mode_32 0
		.amdhsa_float_round_mode_16_64 0
		.amdhsa_float_denorm_mode_32 3
		.amdhsa_float_denorm_mode_16_64 3
		.amdhsa_dx10_clamp 1
		.amdhsa_ieee_mode 1
		.amdhsa_fp16_overflow 0
		.amdhsa_tg_split 0
		.amdhsa_exception_fp_ieee_invalid_op 0
		.amdhsa_exception_fp_denorm_src 0
		.amdhsa_exception_fp_ieee_div_zero 0
		.amdhsa_exception_fp_ieee_overflow 0
		.amdhsa_exception_fp_ieee_underflow 0
		.amdhsa_exception_fp_ieee_inexact 0
		.amdhsa_exception_int_div_zero 0
	.end_amdhsa_kernel
	.section	.text._ZN7rocprim17ROCPRIM_400000_NS6detail17trampoline_kernelINS0_14default_configENS1_20scan_config_selectorIxEEZZNS1_9scan_implILNS1_25lookback_scan_determinismE0ELb1ELb1ES3_N6thrust23THRUST_200600_302600_NS6detail15normal_iteratorINS9_10device_ptrIxEEEESE_xNS9_4plusIxEExEEDaPvRmT3_T4_T5_mT6_P12ihipStream_tbENKUlT_T0_E_clISt17integral_constantIbLb1EESU_EEDaSP_SQ_EUlSP_E_NS1_11comp_targetILNS1_3genE3ELNS1_11target_archE908ELNS1_3gpuE7ELNS1_3repE0EEENS1_30default_config_static_selectorELNS0_4arch9wavefront6targetE1EEEvT1_,"axG",@progbits,_ZN7rocprim17ROCPRIM_400000_NS6detail17trampoline_kernelINS0_14default_configENS1_20scan_config_selectorIxEEZZNS1_9scan_implILNS1_25lookback_scan_determinismE0ELb1ELb1ES3_N6thrust23THRUST_200600_302600_NS6detail15normal_iteratorINS9_10device_ptrIxEEEESE_xNS9_4plusIxEExEEDaPvRmT3_T4_T5_mT6_P12ihipStream_tbENKUlT_T0_E_clISt17integral_constantIbLb1EESU_EEDaSP_SQ_EUlSP_E_NS1_11comp_targetILNS1_3genE3ELNS1_11target_archE908ELNS1_3gpuE7ELNS1_3repE0EEENS1_30default_config_static_selectorELNS0_4arch9wavefront6targetE1EEEvT1_,comdat
.Lfunc_end363:
	.size	_ZN7rocprim17ROCPRIM_400000_NS6detail17trampoline_kernelINS0_14default_configENS1_20scan_config_selectorIxEEZZNS1_9scan_implILNS1_25lookback_scan_determinismE0ELb1ELb1ES3_N6thrust23THRUST_200600_302600_NS6detail15normal_iteratorINS9_10device_ptrIxEEEESE_xNS9_4plusIxEExEEDaPvRmT3_T4_T5_mT6_P12ihipStream_tbENKUlT_T0_E_clISt17integral_constantIbLb1EESU_EEDaSP_SQ_EUlSP_E_NS1_11comp_targetILNS1_3genE3ELNS1_11target_archE908ELNS1_3gpuE7ELNS1_3repE0EEENS1_30default_config_static_selectorELNS0_4arch9wavefront6targetE1EEEvT1_, .Lfunc_end363-_ZN7rocprim17ROCPRIM_400000_NS6detail17trampoline_kernelINS0_14default_configENS1_20scan_config_selectorIxEEZZNS1_9scan_implILNS1_25lookback_scan_determinismE0ELb1ELb1ES3_N6thrust23THRUST_200600_302600_NS6detail15normal_iteratorINS9_10device_ptrIxEEEESE_xNS9_4plusIxEExEEDaPvRmT3_T4_T5_mT6_P12ihipStream_tbENKUlT_T0_E_clISt17integral_constantIbLb1EESU_EEDaSP_SQ_EUlSP_E_NS1_11comp_targetILNS1_3genE3ELNS1_11target_archE908ELNS1_3gpuE7ELNS1_3repE0EEENS1_30default_config_static_selectorELNS0_4arch9wavefront6targetE1EEEvT1_
                                        ; -- End function
	.section	.AMDGPU.csdata,"",@progbits
; Kernel info:
; codeLenInByte = 0
; NumSgprs: 4
; NumVgprs: 0
; NumAgprs: 0
; TotalNumVgprs: 0
; ScratchSize: 0
; MemoryBound: 0
; FloatMode: 240
; IeeeMode: 1
; LDSByteSize: 0 bytes/workgroup (compile time only)
; SGPRBlocks: 0
; VGPRBlocks: 0
; NumSGPRsForWavesPerEU: 4
; NumVGPRsForWavesPerEU: 1
; AccumOffset: 4
; Occupancy: 8
; WaveLimiterHint : 0
; COMPUTE_PGM_RSRC2:SCRATCH_EN: 0
; COMPUTE_PGM_RSRC2:USER_SGPR: 6
; COMPUTE_PGM_RSRC2:TRAP_HANDLER: 0
; COMPUTE_PGM_RSRC2:TGID_X_EN: 1
; COMPUTE_PGM_RSRC2:TGID_Y_EN: 0
; COMPUTE_PGM_RSRC2:TGID_Z_EN: 0
; COMPUTE_PGM_RSRC2:TIDIG_COMP_CNT: 0
; COMPUTE_PGM_RSRC3_GFX90A:ACCUM_OFFSET: 0
; COMPUTE_PGM_RSRC3_GFX90A:TG_SPLIT: 0
	.section	.text._ZN7rocprim17ROCPRIM_400000_NS6detail17trampoline_kernelINS0_14default_configENS1_20scan_config_selectorIxEEZZNS1_9scan_implILNS1_25lookback_scan_determinismE0ELb1ELb1ES3_N6thrust23THRUST_200600_302600_NS6detail15normal_iteratorINS9_10device_ptrIxEEEESE_xNS9_4plusIxEExEEDaPvRmT3_T4_T5_mT6_P12ihipStream_tbENKUlT_T0_E_clISt17integral_constantIbLb1EESU_EEDaSP_SQ_EUlSP_E_NS1_11comp_targetILNS1_3genE2ELNS1_11target_archE906ELNS1_3gpuE6ELNS1_3repE0EEENS1_30default_config_static_selectorELNS0_4arch9wavefront6targetE1EEEvT1_,"axG",@progbits,_ZN7rocprim17ROCPRIM_400000_NS6detail17trampoline_kernelINS0_14default_configENS1_20scan_config_selectorIxEEZZNS1_9scan_implILNS1_25lookback_scan_determinismE0ELb1ELb1ES3_N6thrust23THRUST_200600_302600_NS6detail15normal_iteratorINS9_10device_ptrIxEEEESE_xNS9_4plusIxEExEEDaPvRmT3_T4_T5_mT6_P12ihipStream_tbENKUlT_T0_E_clISt17integral_constantIbLb1EESU_EEDaSP_SQ_EUlSP_E_NS1_11comp_targetILNS1_3genE2ELNS1_11target_archE906ELNS1_3gpuE6ELNS1_3repE0EEENS1_30default_config_static_selectorELNS0_4arch9wavefront6targetE1EEEvT1_,comdat
	.protected	_ZN7rocprim17ROCPRIM_400000_NS6detail17trampoline_kernelINS0_14default_configENS1_20scan_config_selectorIxEEZZNS1_9scan_implILNS1_25lookback_scan_determinismE0ELb1ELb1ES3_N6thrust23THRUST_200600_302600_NS6detail15normal_iteratorINS9_10device_ptrIxEEEESE_xNS9_4plusIxEExEEDaPvRmT3_T4_T5_mT6_P12ihipStream_tbENKUlT_T0_E_clISt17integral_constantIbLb1EESU_EEDaSP_SQ_EUlSP_E_NS1_11comp_targetILNS1_3genE2ELNS1_11target_archE906ELNS1_3gpuE6ELNS1_3repE0EEENS1_30default_config_static_selectorELNS0_4arch9wavefront6targetE1EEEvT1_ ; -- Begin function _ZN7rocprim17ROCPRIM_400000_NS6detail17trampoline_kernelINS0_14default_configENS1_20scan_config_selectorIxEEZZNS1_9scan_implILNS1_25lookback_scan_determinismE0ELb1ELb1ES3_N6thrust23THRUST_200600_302600_NS6detail15normal_iteratorINS9_10device_ptrIxEEEESE_xNS9_4plusIxEExEEDaPvRmT3_T4_T5_mT6_P12ihipStream_tbENKUlT_T0_E_clISt17integral_constantIbLb1EESU_EEDaSP_SQ_EUlSP_E_NS1_11comp_targetILNS1_3genE2ELNS1_11target_archE906ELNS1_3gpuE6ELNS1_3repE0EEENS1_30default_config_static_selectorELNS0_4arch9wavefront6targetE1EEEvT1_
	.globl	_ZN7rocprim17ROCPRIM_400000_NS6detail17trampoline_kernelINS0_14default_configENS1_20scan_config_selectorIxEEZZNS1_9scan_implILNS1_25lookback_scan_determinismE0ELb1ELb1ES3_N6thrust23THRUST_200600_302600_NS6detail15normal_iteratorINS9_10device_ptrIxEEEESE_xNS9_4plusIxEExEEDaPvRmT3_T4_T5_mT6_P12ihipStream_tbENKUlT_T0_E_clISt17integral_constantIbLb1EESU_EEDaSP_SQ_EUlSP_E_NS1_11comp_targetILNS1_3genE2ELNS1_11target_archE906ELNS1_3gpuE6ELNS1_3repE0EEENS1_30default_config_static_selectorELNS0_4arch9wavefront6targetE1EEEvT1_
	.p2align	8
	.type	_ZN7rocprim17ROCPRIM_400000_NS6detail17trampoline_kernelINS0_14default_configENS1_20scan_config_selectorIxEEZZNS1_9scan_implILNS1_25lookback_scan_determinismE0ELb1ELb1ES3_N6thrust23THRUST_200600_302600_NS6detail15normal_iteratorINS9_10device_ptrIxEEEESE_xNS9_4plusIxEExEEDaPvRmT3_T4_T5_mT6_P12ihipStream_tbENKUlT_T0_E_clISt17integral_constantIbLb1EESU_EEDaSP_SQ_EUlSP_E_NS1_11comp_targetILNS1_3genE2ELNS1_11target_archE906ELNS1_3gpuE6ELNS1_3repE0EEENS1_30default_config_static_selectorELNS0_4arch9wavefront6targetE1EEEvT1_,@function
_ZN7rocprim17ROCPRIM_400000_NS6detail17trampoline_kernelINS0_14default_configENS1_20scan_config_selectorIxEEZZNS1_9scan_implILNS1_25lookback_scan_determinismE0ELb1ELb1ES3_N6thrust23THRUST_200600_302600_NS6detail15normal_iteratorINS9_10device_ptrIxEEEESE_xNS9_4plusIxEExEEDaPvRmT3_T4_T5_mT6_P12ihipStream_tbENKUlT_T0_E_clISt17integral_constantIbLb1EESU_EEDaSP_SQ_EUlSP_E_NS1_11comp_targetILNS1_3genE2ELNS1_11target_archE906ELNS1_3gpuE6ELNS1_3repE0EEENS1_30default_config_static_selectorELNS0_4arch9wavefront6targetE1EEEvT1_: ; @_ZN7rocprim17ROCPRIM_400000_NS6detail17trampoline_kernelINS0_14default_configENS1_20scan_config_selectorIxEEZZNS1_9scan_implILNS1_25lookback_scan_determinismE0ELb1ELb1ES3_N6thrust23THRUST_200600_302600_NS6detail15normal_iteratorINS9_10device_ptrIxEEEESE_xNS9_4plusIxEExEEDaPvRmT3_T4_T5_mT6_P12ihipStream_tbENKUlT_T0_E_clISt17integral_constantIbLb1EESU_EEDaSP_SQ_EUlSP_E_NS1_11comp_targetILNS1_3genE2ELNS1_11target_archE906ELNS1_3gpuE6ELNS1_3repE0EEENS1_30default_config_static_selectorELNS0_4arch9wavefront6targetE1EEEvT1_
; %bb.0:
	.section	.rodata,"a",@progbits
	.p2align	6, 0x0
	.amdhsa_kernel _ZN7rocprim17ROCPRIM_400000_NS6detail17trampoline_kernelINS0_14default_configENS1_20scan_config_selectorIxEEZZNS1_9scan_implILNS1_25lookback_scan_determinismE0ELb1ELb1ES3_N6thrust23THRUST_200600_302600_NS6detail15normal_iteratorINS9_10device_ptrIxEEEESE_xNS9_4plusIxEExEEDaPvRmT3_T4_T5_mT6_P12ihipStream_tbENKUlT_T0_E_clISt17integral_constantIbLb1EESU_EEDaSP_SQ_EUlSP_E_NS1_11comp_targetILNS1_3genE2ELNS1_11target_archE906ELNS1_3gpuE6ELNS1_3repE0EEENS1_30default_config_static_selectorELNS0_4arch9wavefront6targetE1EEEvT1_
		.amdhsa_group_segment_fixed_size 0
		.amdhsa_private_segment_fixed_size 0
		.amdhsa_kernarg_size 104
		.amdhsa_user_sgpr_count 6
		.amdhsa_user_sgpr_private_segment_buffer 1
		.amdhsa_user_sgpr_dispatch_ptr 0
		.amdhsa_user_sgpr_queue_ptr 0
		.amdhsa_user_sgpr_kernarg_segment_ptr 1
		.amdhsa_user_sgpr_dispatch_id 0
		.amdhsa_user_sgpr_flat_scratch_init 0
		.amdhsa_user_sgpr_kernarg_preload_length 0
		.amdhsa_user_sgpr_kernarg_preload_offset 0
		.amdhsa_user_sgpr_private_segment_size 0
		.amdhsa_uses_dynamic_stack 0
		.amdhsa_system_sgpr_private_segment_wavefront_offset 0
		.amdhsa_system_sgpr_workgroup_id_x 1
		.amdhsa_system_sgpr_workgroup_id_y 0
		.amdhsa_system_sgpr_workgroup_id_z 0
		.amdhsa_system_sgpr_workgroup_info 0
		.amdhsa_system_vgpr_workitem_id 0
		.amdhsa_next_free_vgpr 1
		.amdhsa_next_free_sgpr 0
		.amdhsa_accum_offset 4
		.amdhsa_reserve_vcc 0
		.amdhsa_reserve_flat_scratch 0
		.amdhsa_float_round_mode_32 0
		.amdhsa_float_round_mode_16_64 0
		.amdhsa_float_denorm_mode_32 3
		.amdhsa_float_denorm_mode_16_64 3
		.amdhsa_dx10_clamp 1
		.amdhsa_ieee_mode 1
		.amdhsa_fp16_overflow 0
		.amdhsa_tg_split 0
		.amdhsa_exception_fp_ieee_invalid_op 0
		.amdhsa_exception_fp_denorm_src 0
		.amdhsa_exception_fp_ieee_div_zero 0
		.amdhsa_exception_fp_ieee_overflow 0
		.amdhsa_exception_fp_ieee_underflow 0
		.amdhsa_exception_fp_ieee_inexact 0
		.amdhsa_exception_int_div_zero 0
	.end_amdhsa_kernel
	.section	.text._ZN7rocprim17ROCPRIM_400000_NS6detail17trampoline_kernelINS0_14default_configENS1_20scan_config_selectorIxEEZZNS1_9scan_implILNS1_25lookback_scan_determinismE0ELb1ELb1ES3_N6thrust23THRUST_200600_302600_NS6detail15normal_iteratorINS9_10device_ptrIxEEEESE_xNS9_4plusIxEExEEDaPvRmT3_T4_T5_mT6_P12ihipStream_tbENKUlT_T0_E_clISt17integral_constantIbLb1EESU_EEDaSP_SQ_EUlSP_E_NS1_11comp_targetILNS1_3genE2ELNS1_11target_archE906ELNS1_3gpuE6ELNS1_3repE0EEENS1_30default_config_static_selectorELNS0_4arch9wavefront6targetE1EEEvT1_,"axG",@progbits,_ZN7rocprim17ROCPRIM_400000_NS6detail17trampoline_kernelINS0_14default_configENS1_20scan_config_selectorIxEEZZNS1_9scan_implILNS1_25lookback_scan_determinismE0ELb1ELb1ES3_N6thrust23THRUST_200600_302600_NS6detail15normal_iteratorINS9_10device_ptrIxEEEESE_xNS9_4plusIxEExEEDaPvRmT3_T4_T5_mT6_P12ihipStream_tbENKUlT_T0_E_clISt17integral_constantIbLb1EESU_EEDaSP_SQ_EUlSP_E_NS1_11comp_targetILNS1_3genE2ELNS1_11target_archE906ELNS1_3gpuE6ELNS1_3repE0EEENS1_30default_config_static_selectorELNS0_4arch9wavefront6targetE1EEEvT1_,comdat
.Lfunc_end364:
	.size	_ZN7rocprim17ROCPRIM_400000_NS6detail17trampoline_kernelINS0_14default_configENS1_20scan_config_selectorIxEEZZNS1_9scan_implILNS1_25lookback_scan_determinismE0ELb1ELb1ES3_N6thrust23THRUST_200600_302600_NS6detail15normal_iteratorINS9_10device_ptrIxEEEESE_xNS9_4plusIxEExEEDaPvRmT3_T4_T5_mT6_P12ihipStream_tbENKUlT_T0_E_clISt17integral_constantIbLb1EESU_EEDaSP_SQ_EUlSP_E_NS1_11comp_targetILNS1_3genE2ELNS1_11target_archE906ELNS1_3gpuE6ELNS1_3repE0EEENS1_30default_config_static_selectorELNS0_4arch9wavefront6targetE1EEEvT1_, .Lfunc_end364-_ZN7rocprim17ROCPRIM_400000_NS6detail17trampoline_kernelINS0_14default_configENS1_20scan_config_selectorIxEEZZNS1_9scan_implILNS1_25lookback_scan_determinismE0ELb1ELb1ES3_N6thrust23THRUST_200600_302600_NS6detail15normal_iteratorINS9_10device_ptrIxEEEESE_xNS9_4plusIxEExEEDaPvRmT3_T4_T5_mT6_P12ihipStream_tbENKUlT_T0_E_clISt17integral_constantIbLb1EESU_EEDaSP_SQ_EUlSP_E_NS1_11comp_targetILNS1_3genE2ELNS1_11target_archE906ELNS1_3gpuE6ELNS1_3repE0EEENS1_30default_config_static_selectorELNS0_4arch9wavefront6targetE1EEEvT1_
                                        ; -- End function
	.section	.AMDGPU.csdata,"",@progbits
; Kernel info:
; codeLenInByte = 0
; NumSgprs: 4
; NumVgprs: 0
; NumAgprs: 0
; TotalNumVgprs: 0
; ScratchSize: 0
; MemoryBound: 0
; FloatMode: 240
; IeeeMode: 1
; LDSByteSize: 0 bytes/workgroup (compile time only)
; SGPRBlocks: 0
; VGPRBlocks: 0
; NumSGPRsForWavesPerEU: 4
; NumVGPRsForWavesPerEU: 1
; AccumOffset: 4
; Occupancy: 8
; WaveLimiterHint : 0
; COMPUTE_PGM_RSRC2:SCRATCH_EN: 0
; COMPUTE_PGM_RSRC2:USER_SGPR: 6
; COMPUTE_PGM_RSRC2:TRAP_HANDLER: 0
; COMPUTE_PGM_RSRC2:TGID_X_EN: 1
; COMPUTE_PGM_RSRC2:TGID_Y_EN: 0
; COMPUTE_PGM_RSRC2:TGID_Z_EN: 0
; COMPUTE_PGM_RSRC2:TIDIG_COMP_CNT: 0
; COMPUTE_PGM_RSRC3_GFX90A:ACCUM_OFFSET: 0
; COMPUTE_PGM_RSRC3_GFX90A:TG_SPLIT: 0
	.section	.text._ZN7rocprim17ROCPRIM_400000_NS6detail17trampoline_kernelINS0_14default_configENS1_20scan_config_selectorIxEEZZNS1_9scan_implILNS1_25lookback_scan_determinismE0ELb1ELb1ES3_N6thrust23THRUST_200600_302600_NS6detail15normal_iteratorINS9_10device_ptrIxEEEESE_xNS9_4plusIxEExEEDaPvRmT3_T4_T5_mT6_P12ihipStream_tbENKUlT_T0_E_clISt17integral_constantIbLb1EESU_EEDaSP_SQ_EUlSP_E_NS1_11comp_targetILNS1_3genE10ELNS1_11target_archE1201ELNS1_3gpuE5ELNS1_3repE0EEENS1_30default_config_static_selectorELNS0_4arch9wavefront6targetE1EEEvT1_,"axG",@progbits,_ZN7rocprim17ROCPRIM_400000_NS6detail17trampoline_kernelINS0_14default_configENS1_20scan_config_selectorIxEEZZNS1_9scan_implILNS1_25lookback_scan_determinismE0ELb1ELb1ES3_N6thrust23THRUST_200600_302600_NS6detail15normal_iteratorINS9_10device_ptrIxEEEESE_xNS9_4plusIxEExEEDaPvRmT3_T4_T5_mT6_P12ihipStream_tbENKUlT_T0_E_clISt17integral_constantIbLb1EESU_EEDaSP_SQ_EUlSP_E_NS1_11comp_targetILNS1_3genE10ELNS1_11target_archE1201ELNS1_3gpuE5ELNS1_3repE0EEENS1_30default_config_static_selectorELNS0_4arch9wavefront6targetE1EEEvT1_,comdat
	.protected	_ZN7rocprim17ROCPRIM_400000_NS6detail17trampoline_kernelINS0_14default_configENS1_20scan_config_selectorIxEEZZNS1_9scan_implILNS1_25lookback_scan_determinismE0ELb1ELb1ES3_N6thrust23THRUST_200600_302600_NS6detail15normal_iteratorINS9_10device_ptrIxEEEESE_xNS9_4plusIxEExEEDaPvRmT3_T4_T5_mT6_P12ihipStream_tbENKUlT_T0_E_clISt17integral_constantIbLb1EESU_EEDaSP_SQ_EUlSP_E_NS1_11comp_targetILNS1_3genE10ELNS1_11target_archE1201ELNS1_3gpuE5ELNS1_3repE0EEENS1_30default_config_static_selectorELNS0_4arch9wavefront6targetE1EEEvT1_ ; -- Begin function _ZN7rocprim17ROCPRIM_400000_NS6detail17trampoline_kernelINS0_14default_configENS1_20scan_config_selectorIxEEZZNS1_9scan_implILNS1_25lookback_scan_determinismE0ELb1ELb1ES3_N6thrust23THRUST_200600_302600_NS6detail15normal_iteratorINS9_10device_ptrIxEEEESE_xNS9_4plusIxEExEEDaPvRmT3_T4_T5_mT6_P12ihipStream_tbENKUlT_T0_E_clISt17integral_constantIbLb1EESU_EEDaSP_SQ_EUlSP_E_NS1_11comp_targetILNS1_3genE10ELNS1_11target_archE1201ELNS1_3gpuE5ELNS1_3repE0EEENS1_30default_config_static_selectorELNS0_4arch9wavefront6targetE1EEEvT1_
	.globl	_ZN7rocprim17ROCPRIM_400000_NS6detail17trampoline_kernelINS0_14default_configENS1_20scan_config_selectorIxEEZZNS1_9scan_implILNS1_25lookback_scan_determinismE0ELb1ELb1ES3_N6thrust23THRUST_200600_302600_NS6detail15normal_iteratorINS9_10device_ptrIxEEEESE_xNS9_4plusIxEExEEDaPvRmT3_T4_T5_mT6_P12ihipStream_tbENKUlT_T0_E_clISt17integral_constantIbLb1EESU_EEDaSP_SQ_EUlSP_E_NS1_11comp_targetILNS1_3genE10ELNS1_11target_archE1201ELNS1_3gpuE5ELNS1_3repE0EEENS1_30default_config_static_selectorELNS0_4arch9wavefront6targetE1EEEvT1_
	.p2align	8
	.type	_ZN7rocprim17ROCPRIM_400000_NS6detail17trampoline_kernelINS0_14default_configENS1_20scan_config_selectorIxEEZZNS1_9scan_implILNS1_25lookback_scan_determinismE0ELb1ELb1ES3_N6thrust23THRUST_200600_302600_NS6detail15normal_iteratorINS9_10device_ptrIxEEEESE_xNS9_4plusIxEExEEDaPvRmT3_T4_T5_mT6_P12ihipStream_tbENKUlT_T0_E_clISt17integral_constantIbLb1EESU_EEDaSP_SQ_EUlSP_E_NS1_11comp_targetILNS1_3genE10ELNS1_11target_archE1201ELNS1_3gpuE5ELNS1_3repE0EEENS1_30default_config_static_selectorELNS0_4arch9wavefront6targetE1EEEvT1_,@function
_ZN7rocprim17ROCPRIM_400000_NS6detail17trampoline_kernelINS0_14default_configENS1_20scan_config_selectorIxEEZZNS1_9scan_implILNS1_25lookback_scan_determinismE0ELb1ELb1ES3_N6thrust23THRUST_200600_302600_NS6detail15normal_iteratorINS9_10device_ptrIxEEEESE_xNS9_4plusIxEExEEDaPvRmT3_T4_T5_mT6_P12ihipStream_tbENKUlT_T0_E_clISt17integral_constantIbLb1EESU_EEDaSP_SQ_EUlSP_E_NS1_11comp_targetILNS1_3genE10ELNS1_11target_archE1201ELNS1_3gpuE5ELNS1_3repE0EEENS1_30default_config_static_selectorELNS0_4arch9wavefront6targetE1EEEvT1_: ; @_ZN7rocprim17ROCPRIM_400000_NS6detail17trampoline_kernelINS0_14default_configENS1_20scan_config_selectorIxEEZZNS1_9scan_implILNS1_25lookback_scan_determinismE0ELb1ELb1ES3_N6thrust23THRUST_200600_302600_NS6detail15normal_iteratorINS9_10device_ptrIxEEEESE_xNS9_4plusIxEExEEDaPvRmT3_T4_T5_mT6_P12ihipStream_tbENKUlT_T0_E_clISt17integral_constantIbLb1EESU_EEDaSP_SQ_EUlSP_E_NS1_11comp_targetILNS1_3genE10ELNS1_11target_archE1201ELNS1_3gpuE5ELNS1_3repE0EEENS1_30default_config_static_selectorELNS0_4arch9wavefront6targetE1EEEvT1_
; %bb.0:
	.section	.rodata,"a",@progbits
	.p2align	6, 0x0
	.amdhsa_kernel _ZN7rocprim17ROCPRIM_400000_NS6detail17trampoline_kernelINS0_14default_configENS1_20scan_config_selectorIxEEZZNS1_9scan_implILNS1_25lookback_scan_determinismE0ELb1ELb1ES3_N6thrust23THRUST_200600_302600_NS6detail15normal_iteratorINS9_10device_ptrIxEEEESE_xNS9_4plusIxEExEEDaPvRmT3_T4_T5_mT6_P12ihipStream_tbENKUlT_T0_E_clISt17integral_constantIbLb1EESU_EEDaSP_SQ_EUlSP_E_NS1_11comp_targetILNS1_3genE10ELNS1_11target_archE1201ELNS1_3gpuE5ELNS1_3repE0EEENS1_30default_config_static_selectorELNS0_4arch9wavefront6targetE1EEEvT1_
		.amdhsa_group_segment_fixed_size 0
		.amdhsa_private_segment_fixed_size 0
		.amdhsa_kernarg_size 104
		.amdhsa_user_sgpr_count 6
		.amdhsa_user_sgpr_private_segment_buffer 1
		.amdhsa_user_sgpr_dispatch_ptr 0
		.amdhsa_user_sgpr_queue_ptr 0
		.amdhsa_user_sgpr_kernarg_segment_ptr 1
		.amdhsa_user_sgpr_dispatch_id 0
		.amdhsa_user_sgpr_flat_scratch_init 0
		.amdhsa_user_sgpr_kernarg_preload_length 0
		.amdhsa_user_sgpr_kernarg_preload_offset 0
		.amdhsa_user_sgpr_private_segment_size 0
		.amdhsa_uses_dynamic_stack 0
		.amdhsa_system_sgpr_private_segment_wavefront_offset 0
		.amdhsa_system_sgpr_workgroup_id_x 1
		.amdhsa_system_sgpr_workgroup_id_y 0
		.amdhsa_system_sgpr_workgroup_id_z 0
		.amdhsa_system_sgpr_workgroup_info 0
		.amdhsa_system_vgpr_workitem_id 0
		.amdhsa_next_free_vgpr 1
		.amdhsa_next_free_sgpr 0
		.amdhsa_accum_offset 4
		.amdhsa_reserve_vcc 0
		.amdhsa_reserve_flat_scratch 0
		.amdhsa_float_round_mode_32 0
		.amdhsa_float_round_mode_16_64 0
		.amdhsa_float_denorm_mode_32 3
		.amdhsa_float_denorm_mode_16_64 3
		.amdhsa_dx10_clamp 1
		.amdhsa_ieee_mode 1
		.amdhsa_fp16_overflow 0
		.amdhsa_tg_split 0
		.amdhsa_exception_fp_ieee_invalid_op 0
		.amdhsa_exception_fp_denorm_src 0
		.amdhsa_exception_fp_ieee_div_zero 0
		.amdhsa_exception_fp_ieee_overflow 0
		.amdhsa_exception_fp_ieee_underflow 0
		.amdhsa_exception_fp_ieee_inexact 0
		.amdhsa_exception_int_div_zero 0
	.end_amdhsa_kernel
	.section	.text._ZN7rocprim17ROCPRIM_400000_NS6detail17trampoline_kernelINS0_14default_configENS1_20scan_config_selectorIxEEZZNS1_9scan_implILNS1_25lookback_scan_determinismE0ELb1ELb1ES3_N6thrust23THRUST_200600_302600_NS6detail15normal_iteratorINS9_10device_ptrIxEEEESE_xNS9_4plusIxEExEEDaPvRmT3_T4_T5_mT6_P12ihipStream_tbENKUlT_T0_E_clISt17integral_constantIbLb1EESU_EEDaSP_SQ_EUlSP_E_NS1_11comp_targetILNS1_3genE10ELNS1_11target_archE1201ELNS1_3gpuE5ELNS1_3repE0EEENS1_30default_config_static_selectorELNS0_4arch9wavefront6targetE1EEEvT1_,"axG",@progbits,_ZN7rocprim17ROCPRIM_400000_NS6detail17trampoline_kernelINS0_14default_configENS1_20scan_config_selectorIxEEZZNS1_9scan_implILNS1_25lookback_scan_determinismE0ELb1ELb1ES3_N6thrust23THRUST_200600_302600_NS6detail15normal_iteratorINS9_10device_ptrIxEEEESE_xNS9_4plusIxEExEEDaPvRmT3_T4_T5_mT6_P12ihipStream_tbENKUlT_T0_E_clISt17integral_constantIbLb1EESU_EEDaSP_SQ_EUlSP_E_NS1_11comp_targetILNS1_3genE10ELNS1_11target_archE1201ELNS1_3gpuE5ELNS1_3repE0EEENS1_30default_config_static_selectorELNS0_4arch9wavefront6targetE1EEEvT1_,comdat
.Lfunc_end365:
	.size	_ZN7rocprim17ROCPRIM_400000_NS6detail17trampoline_kernelINS0_14default_configENS1_20scan_config_selectorIxEEZZNS1_9scan_implILNS1_25lookback_scan_determinismE0ELb1ELb1ES3_N6thrust23THRUST_200600_302600_NS6detail15normal_iteratorINS9_10device_ptrIxEEEESE_xNS9_4plusIxEExEEDaPvRmT3_T4_T5_mT6_P12ihipStream_tbENKUlT_T0_E_clISt17integral_constantIbLb1EESU_EEDaSP_SQ_EUlSP_E_NS1_11comp_targetILNS1_3genE10ELNS1_11target_archE1201ELNS1_3gpuE5ELNS1_3repE0EEENS1_30default_config_static_selectorELNS0_4arch9wavefront6targetE1EEEvT1_, .Lfunc_end365-_ZN7rocprim17ROCPRIM_400000_NS6detail17trampoline_kernelINS0_14default_configENS1_20scan_config_selectorIxEEZZNS1_9scan_implILNS1_25lookback_scan_determinismE0ELb1ELb1ES3_N6thrust23THRUST_200600_302600_NS6detail15normal_iteratorINS9_10device_ptrIxEEEESE_xNS9_4plusIxEExEEDaPvRmT3_T4_T5_mT6_P12ihipStream_tbENKUlT_T0_E_clISt17integral_constantIbLb1EESU_EEDaSP_SQ_EUlSP_E_NS1_11comp_targetILNS1_3genE10ELNS1_11target_archE1201ELNS1_3gpuE5ELNS1_3repE0EEENS1_30default_config_static_selectorELNS0_4arch9wavefront6targetE1EEEvT1_
                                        ; -- End function
	.section	.AMDGPU.csdata,"",@progbits
; Kernel info:
; codeLenInByte = 0
; NumSgprs: 4
; NumVgprs: 0
; NumAgprs: 0
; TotalNumVgprs: 0
; ScratchSize: 0
; MemoryBound: 0
; FloatMode: 240
; IeeeMode: 1
; LDSByteSize: 0 bytes/workgroup (compile time only)
; SGPRBlocks: 0
; VGPRBlocks: 0
; NumSGPRsForWavesPerEU: 4
; NumVGPRsForWavesPerEU: 1
; AccumOffset: 4
; Occupancy: 8
; WaveLimiterHint : 0
; COMPUTE_PGM_RSRC2:SCRATCH_EN: 0
; COMPUTE_PGM_RSRC2:USER_SGPR: 6
; COMPUTE_PGM_RSRC2:TRAP_HANDLER: 0
; COMPUTE_PGM_RSRC2:TGID_X_EN: 1
; COMPUTE_PGM_RSRC2:TGID_Y_EN: 0
; COMPUTE_PGM_RSRC2:TGID_Z_EN: 0
; COMPUTE_PGM_RSRC2:TIDIG_COMP_CNT: 0
; COMPUTE_PGM_RSRC3_GFX90A:ACCUM_OFFSET: 0
; COMPUTE_PGM_RSRC3_GFX90A:TG_SPLIT: 0
	.section	.text._ZN7rocprim17ROCPRIM_400000_NS6detail17trampoline_kernelINS0_14default_configENS1_20scan_config_selectorIxEEZZNS1_9scan_implILNS1_25lookback_scan_determinismE0ELb1ELb1ES3_N6thrust23THRUST_200600_302600_NS6detail15normal_iteratorINS9_10device_ptrIxEEEESE_xNS9_4plusIxEExEEDaPvRmT3_T4_T5_mT6_P12ihipStream_tbENKUlT_T0_E_clISt17integral_constantIbLb1EESU_EEDaSP_SQ_EUlSP_E_NS1_11comp_targetILNS1_3genE10ELNS1_11target_archE1200ELNS1_3gpuE4ELNS1_3repE0EEENS1_30default_config_static_selectorELNS0_4arch9wavefront6targetE1EEEvT1_,"axG",@progbits,_ZN7rocprim17ROCPRIM_400000_NS6detail17trampoline_kernelINS0_14default_configENS1_20scan_config_selectorIxEEZZNS1_9scan_implILNS1_25lookback_scan_determinismE0ELb1ELb1ES3_N6thrust23THRUST_200600_302600_NS6detail15normal_iteratorINS9_10device_ptrIxEEEESE_xNS9_4plusIxEExEEDaPvRmT3_T4_T5_mT6_P12ihipStream_tbENKUlT_T0_E_clISt17integral_constantIbLb1EESU_EEDaSP_SQ_EUlSP_E_NS1_11comp_targetILNS1_3genE10ELNS1_11target_archE1200ELNS1_3gpuE4ELNS1_3repE0EEENS1_30default_config_static_selectorELNS0_4arch9wavefront6targetE1EEEvT1_,comdat
	.protected	_ZN7rocprim17ROCPRIM_400000_NS6detail17trampoline_kernelINS0_14default_configENS1_20scan_config_selectorIxEEZZNS1_9scan_implILNS1_25lookback_scan_determinismE0ELb1ELb1ES3_N6thrust23THRUST_200600_302600_NS6detail15normal_iteratorINS9_10device_ptrIxEEEESE_xNS9_4plusIxEExEEDaPvRmT3_T4_T5_mT6_P12ihipStream_tbENKUlT_T0_E_clISt17integral_constantIbLb1EESU_EEDaSP_SQ_EUlSP_E_NS1_11comp_targetILNS1_3genE10ELNS1_11target_archE1200ELNS1_3gpuE4ELNS1_3repE0EEENS1_30default_config_static_selectorELNS0_4arch9wavefront6targetE1EEEvT1_ ; -- Begin function _ZN7rocprim17ROCPRIM_400000_NS6detail17trampoline_kernelINS0_14default_configENS1_20scan_config_selectorIxEEZZNS1_9scan_implILNS1_25lookback_scan_determinismE0ELb1ELb1ES3_N6thrust23THRUST_200600_302600_NS6detail15normal_iteratorINS9_10device_ptrIxEEEESE_xNS9_4plusIxEExEEDaPvRmT3_T4_T5_mT6_P12ihipStream_tbENKUlT_T0_E_clISt17integral_constantIbLb1EESU_EEDaSP_SQ_EUlSP_E_NS1_11comp_targetILNS1_3genE10ELNS1_11target_archE1200ELNS1_3gpuE4ELNS1_3repE0EEENS1_30default_config_static_selectorELNS0_4arch9wavefront6targetE1EEEvT1_
	.globl	_ZN7rocprim17ROCPRIM_400000_NS6detail17trampoline_kernelINS0_14default_configENS1_20scan_config_selectorIxEEZZNS1_9scan_implILNS1_25lookback_scan_determinismE0ELb1ELb1ES3_N6thrust23THRUST_200600_302600_NS6detail15normal_iteratorINS9_10device_ptrIxEEEESE_xNS9_4plusIxEExEEDaPvRmT3_T4_T5_mT6_P12ihipStream_tbENKUlT_T0_E_clISt17integral_constantIbLb1EESU_EEDaSP_SQ_EUlSP_E_NS1_11comp_targetILNS1_3genE10ELNS1_11target_archE1200ELNS1_3gpuE4ELNS1_3repE0EEENS1_30default_config_static_selectorELNS0_4arch9wavefront6targetE1EEEvT1_
	.p2align	8
	.type	_ZN7rocprim17ROCPRIM_400000_NS6detail17trampoline_kernelINS0_14default_configENS1_20scan_config_selectorIxEEZZNS1_9scan_implILNS1_25lookback_scan_determinismE0ELb1ELb1ES3_N6thrust23THRUST_200600_302600_NS6detail15normal_iteratorINS9_10device_ptrIxEEEESE_xNS9_4plusIxEExEEDaPvRmT3_T4_T5_mT6_P12ihipStream_tbENKUlT_T0_E_clISt17integral_constantIbLb1EESU_EEDaSP_SQ_EUlSP_E_NS1_11comp_targetILNS1_3genE10ELNS1_11target_archE1200ELNS1_3gpuE4ELNS1_3repE0EEENS1_30default_config_static_selectorELNS0_4arch9wavefront6targetE1EEEvT1_,@function
_ZN7rocprim17ROCPRIM_400000_NS6detail17trampoline_kernelINS0_14default_configENS1_20scan_config_selectorIxEEZZNS1_9scan_implILNS1_25lookback_scan_determinismE0ELb1ELb1ES3_N6thrust23THRUST_200600_302600_NS6detail15normal_iteratorINS9_10device_ptrIxEEEESE_xNS9_4plusIxEExEEDaPvRmT3_T4_T5_mT6_P12ihipStream_tbENKUlT_T0_E_clISt17integral_constantIbLb1EESU_EEDaSP_SQ_EUlSP_E_NS1_11comp_targetILNS1_3genE10ELNS1_11target_archE1200ELNS1_3gpuE4ELNS1_3repE0EEENS1_30default_config_static_selectorELNS0_4arch9wavefront6targetE1EEEvT1_: ; @_ZN7rocprim17ROCPRIM_400000_NS6detail17trampoline_kernelINS0_14default_configENS1_20scan_config_selectorIxEEZZNS1_9scan_implILNS1_25lookback_scan_determinismE0ELb1ELb1ES3_N6thrust23THRUST_200600_302600_NS6detail15normal_iteratorINS9_10device_ptrIxEEEESE_xNS9_4plusIxEExEEDaPvRmT3_T4_T5_mT6_P12ihipStream_tbENKUlT_T0_E_clISt17integral_constantIbLb1EESU_EEDaSP_SQ_EUlSP_E_NS1_11comp_targetILNS1_3genE10ELNS1_11target_archE1200ELNS1_3gpuE4ELNS1_3repE0EEENS1_30default_config_static_selectorELNS0_4arch9wavefront6targetE1EEEvT1_
; %bb.0:
	.section	.rodata,"a",@progbits
	.p2align	6, 0x0
	.amdhsa_kernel _ZN7rocprim17ROCPRIM_400000_NS6detail17trampoline_kernelINS0_14default_configENS1_20scan_config_selectorIxEEZZNS1_9scan_implILNS1_25lookback_scan_determinismE0ELb1ELb1ES3_N6thrust23THRUST_200600_302600_NS6detail15normal_iteratorINS9_10device_ptrIxEEEESE_xNS9_4plusIxEExEEDaPvRmT3_T4_T5_mT6_P12ihipStream_tbENKUlT_T0_E_clISt17integral_constantIbLb1EESU_EEDaSP_SQ_EUlSP_E_NS1_11comp_targetILNS1_3genE10ELNS1_11target_archE1200ELNS1_3gpuE4ELNS1_3repE0EEENS1_30default_config_static_selectorELNS0_4arch9wavefront6targetE1EEEvT1_
		.amdhsa_group_segment_fixed_size 0
		.amdhsa_private_segment_fixed_size 0
		.amdhsa_kernarg_size 104
		.amdhsa_user_sgpr_count 6
		.amdhsa_user_sgpr_private_segment_buffer 1
		.amdhsa_user_sgpr_dispatch_ptr 0
		.amdhsa_user_sgpr_queue_ptr 0
		.amdhsa_user_sgpr_kernarg_segment_ptr 1
		.amdhsa_user_sgpr_dispatch_id 0
		.amdhsa_user_sgpr_flat_scratch_init 0
		.amdhsa_user_sgpr_kernarg_preload_length 0
		.amdhsa_user_sgpr_kernarg_preload_offset 0
		.amdhsa_user_sgpr_private_segment_size 0
		.amdhsa_uses_dynamic_stack 0
		.amdhsa_system_sgpr_private_segment_wavefront_offset 0
		.amdhsa_system_sgpr_workgroup_id_x 1
		.amdhsa_system_sgpr_workgroup_id_y 0
		.amdhsa_system_sgpr_workgroup_id_z 0
		.amdhsa_system_sgpr_workgroup_info 0
		.amdhsa_system_vgpr_workitem_id 0
		.amdhsa_next_free_vgpr 1
		.amdhsa_next_free_sgpr 0
		.amdhsa_accum_offset 4
		.amdhsa_reserve_vcc 0
		.amdhsa_reserve_flat_scratch 0
		.amdhsa_float_round_mode_32 0
		.amdhsa_float_round_mode_16_64 0
		.amdhsa_float_denorm_mode_32 3
		.amdhsa_float_denorm_mode_16_64 3
		.amdhsa_dx10_clamp 1
		.amdhsa_ieee_mode 1
		.amdhsa_fp16_overflow 0
		.amdhsa_tg_split 0
		.amdhsa_exception_fp_ieee_invalid_op 0
		.amdhsa_exception_fp_denorm_src 0
		.amdhsa_exception_fp_ieee_div_zero 0
		.amdhsa_exception_fp_ieee_overflow 0
		.amdhsa_exception_fp_ieee_underflow 0
		.amdhsa_exception_fp_ieee_inexact 0
		.amdhsa_exception_int_div_zero 0
	.end_amdhsa_kernel
	.section	.text._ZN7rocprim17ROCPRIM_400000_NS6detail17trampoline_kernelINS0_14default_configENS1_20scan_config_selectorIxEEZZNS1_9scan_implILNS1_25lookback_scan_determinismE0ELb1ELb1ES3_N6thrust23THRUST_200600_302600_NS6detail15normal_iteratorINS9_10device_ptrIxEEEESE_xNS9_4plusIxEExEEDaPvRmT3_T4_T5_mT6_P12ihipStream_tbENKUlT_T0_E_clISt17integral_constantIbLb1EESU_EEDaSP_SQ_EUlSP_E_NS1_11comp_targetILNS1_3genE10ELNS1_11target_archE1200ELNS1_3gpuE4ELNS1_3repE0EEENS1_30default_config_static_selectorELNS0_4arch9wavefront6targetE1EEEvT1_,"axG",@progbits,_ZN7rocprim17ROCPRIM_400000_NS6detail17trampoline_kernelINS0_14default_configENS1_20scan_config_selectorIxEEZZNS1_9scan_implILNS1_25lookback_scan_determinismE0ELb1ELb1ES3_N6thrust23THRUST_200600_302600_NS6detail15normal_iteratorINS9_10device_ptrIxEEEESE_xNS9_4plusIxEExEEDaPvRmT3_T4_T5_mT6_P12ihipStream_tbENKUlT_T0_E_clISt17integral_constantIbLb1EESU_EEDaSP_SQ_EUlSP_E_NS1_11comp_targetILNS1_3genE10ELNS1_11target_archE1200ELNS1_3gpuE4ELNS1_3repE0EEENS1_30default_config_static_selectorELNS0_4arch9wavefront6targetE1EEEvT1_,comdat
.Lfunc_end366:
	.size	_ZN7rocprim17ROCPRIM_400000_NS6detail17trampoline_kernelINS0_14default_configENS1_20scan_config_selectorIxEEZZNS1_9scan_implILNS1_25lookback_scan_determinismE0ELb1ELb1ES3_N6thrust23THRUST_200600_302600_NS6detail15normal_iteratorINS9_10device_ptrIxEEEESE_xNS9_4plusIxEExEEDaPvRmT3_T4_T5_mT6_P12ihipStream_tbENKUlT_T0_E_clISt17integral_constantIbLb1EESU_EEDaSP_SQ_EUlSP_E_NS1_11comp_targetILNS1_3genE10ELNS1_11target_archE1200ELNS1_3gpuE4ELNS1_3repE0EEENS1_30default_config_static_selectorELNS0_4arch9wavefront6targetE1EEEvT1_, .Lfunc_end366-_ZN7rocprim17ROCPRIM_400000_NS6detail17trampoline_kernelINS0_14default_configENS1_20scan_config_selectorIxEEZZNS1_9scan_implILNS1_25lookback_scan_determinismE0ELb1ELb1ES3_N6thrust23THRUST_200600_302600_NS6detail15normal_iteratorINS9_10device_ptrIxEEEESE_xNS9_4plusIxEExEEDaPvRmT3_T4_T5_mT6_P12ihipStream_tbENKUlT_T0_E_clISt17integral_constantIbLb1EESU_EEDaSP_SQ_EUlSP_E_NS1_11comp_targetILNS1_3genE10ELNS1_11target_archE1200ELNS1_3gpuE4ELNS1_3repE0EEENS1_30default_config_static_selectorELNS0_4arch9wavefront6targetE1EEEvT1_
                                        ; -- End function
	.section	.AMDGPU.csdata,"",@progbits
; Kernel info:
; codeLenInByte = 0
; NumSgprs: 4
; NumVgprs: 0
; NumAgprs: 0
; TotalNumVgprs: 0
; ScratchSize: 0
; MemoryBound: 0
; FloatMode: 240
; IeeeMode: 1
; LDSByteSize: 0 bytes/workgroup (compile time only)
; SGPRBlocks: 0
; VGPRBlocks: 0
; NumSGPRsForWavesPerEU: 4
; NumVGPRsForWavesPerEU: 1
; AccumOffset: 4
; Occupancy: 8
; WaveLimiterHint : 0
; COMPUTE_PGM_RSRC2:SCRATCH_EN: 0
; COMPUTE_PGM_RSRC2:USER_SGPR: 6
; COMPUTE_PGM_RSRC2:TRAP_HANDLER: 0
; COMPUTE_PGM_RSRC2:TGID_X_EN: 1
; COMPUTE_PGM_RSRC2:TGID_Y_EN: 0
; COMPUTE_PGM_RSRC2:TGID_Z_EN: 0
; COMPUTE_PGM_RSRC2:TIDIG_COMP_CNT: 0
; COMPUTE_PGM_RSRC3_GFX90A:ACCUM_OFFSET: 0
; COMPUTE_PGM_RSRC3_GFX90A:TG_SPLIT: 0
	.section	.text._ZN7rocprim17ROCPRIM_400000_NS6detail17trampoline_kernelINS0_14default_configENS1_20scan_config_selectorIxEEZZNS1_9scan_implILNS1_25lookback_scan_determinismE0ELb1ELb1ES3_N6thrust23THRUST_200600_302600_NS6detail15normal_iteratorINS9_10device_ptrIxEEEESE_xNS9_4plusIxEExEEDaPvRmT3_T4_T5_mT6_P12ihipStream_tbENKUlT_T0_E_clISt17integral_constantIbLb1EESU_EEDaSP_SQ_EUlSP_E_NS1_11comp_targetILNS1_3genE9ELNS1_11target_archE1100ELNS1_3gpuE3ELNS1_3repE0EEENS1_30default_config_static_selectorELNS0_4arch9wavefront6targetE1EEEvT1_,"axG",@progbits,_ZN7rocprim17ROCPRIM_400000_NS6detail17trampoline_kernelINS0_14default_configENS1_20scan_config_selectorIxEEZZNS1_9scan_implILNS1_25lookback_scan_determinismE0ELb1ELb1ES3_N6thrust23THRUST_200600_302600_NS6detail15normal_iteratorINS9_10device_ptrIxEEEESE_xNS9_4plusIxEExEEDaPvRmT3_T4_T5_mT6_P12ihipStream_tbENKUlT_T0_E_clISt17integral_constantIbLb1EESU_EEDaSP_SQ_EUlSP_E_NS1_11comp_targetILNS1_3genE9ELNS1_11target_archE1100ELNS1_3gpuE3ELNS1_3repE0EEENS1_30default_config_static_selectorELNS0_4arch9wavefront6targetE1EEEvT1_,comdat
	.protected	_ZN7rocprim17ROCPRIM_400000_NS6detail17trampoline_kernelINS0_14default_configENS1_20scan_config_selectorIxEEZZNS1_9scan_implILNS1_25lookback_scan_determinismE0ELb1ELb1ES3_N6thrust23THRUST_200600_302600_NS6detail15normal_iteratorINS9_10device_ptrIxEEEESE_xNS9_4plusIxEExEEDaPvRmT3_T4_T5_mT6_P12ihipStream_tbENKUlT_T0_E_clISt17integral_constantIbLb1EESU_EEDaSP_SQ_EUlSP_E_NS1_11comp_targetILNS1_3genE9ELNS1_11target_archE1100ELNS1_3gpuE3ELNS1_3repE0EEENS1_30default_config_static_selectorELNS0_4arch9wavefront6targetE1EEEvT1_ ; -- Begin function _ZN7rocprim17ROCPRIM_400000_NS6detail17trampoline_kernelINS0_14default_configENS1_20scan_config_selectorIxEEZZNS1_9scan_implILNS1_25lookback_scan_determinismE0ELb1ELb1ES3_N6thrust23THRUST_200600_302600_NS6detail15normal_iteratorINS9_10device_ptrIxEEEESE_xNS9_4plusIxEExEEDaPvRmT3_T4_T5_mT6_P12ihipStream_tbENKUlT_T0_E_clISt17integral_constantIbLb1EESU_EEDaSP_SQ_EUlSP_E_NS1_11comp_targetILNS1_3genE9ELNS1_11target_archE1100ELNS1_3gpuE3ELNS1_3repE0EEENS1_30default_config_static_selectorELNS0_4arch9wavefront6targetE1EEEvT1_
	.globl	_ZN7rocprim17ROCPRIM_400000_NS6detail17trampoline_kernelINS0_14default_configENS1_20scan_config_selectorIxEEZZNS1_9scan_implILNS1_25lookback_scan_determinismE0ELb1ELb1ES3_N6thrust23THRUST_200600_302600_NS6detail15normal_iteratorINS9_10device_ptrIxEEEESE_xNS9_4plusIxEExEEDaPvRmT3_T4_T5_mT6_P12ihipStream_tbENKUlT_T0_E_clISt17integral_constantIbLb1EESU_EEDaSP_SQ_EUlSP_E_NS1_11comp_targetILNS1_3genE9ELNS1_11target_archE1100ELNS1_3gpuE3ELNS1_3repE0EEENS1_30default_config_static_selectorELNS0_4arch9wavefront6targetE1EEEvT1_
	.p2align	8
	.type	_ZN7rocprim17ROCPRIM_400000_NS6detail17trampoline_kernelINS0_14default_configENS1_20scan_config_selectorIxEEZZNS1_9scan_implILNS1_25lookback_scan_determinismE0ELb1ELb1ES3_N6thrust23THRUST_200600_302600_NS6detail15normal_iteratorINS9_10device_ptrIxEEEESE_xNS9_4plusIxEExEEDaPvRmT3_T4_T5_mT6_P12ihipStream_tbENKUlT_T0_E_clISt17integral_constantIbLb1EESU_EEDaSP_SQ_EUlSP_E_NS1_11comp_targetILNS1_3genE9ELNS1_11target_archE1100ELNS1_3gpuE3ELNS1_3repE0EEENS1_30default_config_static_selectorELNS0_4arch9wavefront6targetE1EEEvT1_,@function
_ZN7rocprim17ROCPRIM_400000_NS6detail17trampoline_kernelINS0_14default_configENS1_20scan_config_selectorIxEEZZNS1_9scan_implILNS1_25lookback_scan_determinismE0ELb1ELb1ES3_N6thrust23THRUST_200600_302600_NS6detail15normal_iteratorINS9_10device_ptrIxEEEESE_xNS9_4plusIxEExEEDaPvRmT3_T4_T5_mT6_P12ihipStream_tbENKUlT_T0_E_clISt17integral_constantIbLb1EESU_EEDaSP_SQ_EUlSP_E_NS1_11comp_targetILNS1_3genE9ELNS1_11target_archE1100ELNS1_3gpuE3ELNS1_3repE0EEENS1_30default_config_static_selectorELNS0_4arch9wavefront6targetE1EEEvT1_: ; @_ZN7rocprim17ROCPRIM_400000_NS6detail17trampoline_kernelINS0_14default_configENS1_20scan_config_selectorIxEEZZNS1_9scan_implILNS1_25lookback_scan_determinismE0ELb1ELb1ES3_N6thrust23THRUST_200600_302600_NS6detail15normal_iteratorINS9_10device_ptrIxEEEESE_xNS9_4plusIxEExEEDaPvRmT3_T4_T5_mT6_P12ihipStream_tbENKUlT_T0_E_clISt17integral_constantIbLb1EESU_EEDaSP_SQ_EUlSP_E_NS1_11comp_targetILNS1_3genE9ELNS1_11target_archE1100ELNS1_3gpuE3ELNS1_3repE0EEENS1_30default_config_static_selectorELNS0_4arch9wavefront6targetE1EEEvT1_
; %bb.0:
	.section	.rodata,"a",@progbits
	.p2align	6, 0x0
	.amdhsa_kernel _ZN7rocprim17ROCPRIM_400000_NS6detail17trampoline_kernelINS0_14default_configENS1_20scan_config_selectorIxEEZZNS1_9scan_implILNS1_25lookback_scan_determinismE0ELb1ELb1ES3_N6thrust23THRUST_200600_302600_NS6detail15normal_iteratorINS9_10device_ptrIxEEEESE_xNS9_4plusIxEExEEDaPvRmT3_T4_T5_mT6_P12ihipStream_tbENKUlT_T0_E_clISt17integral_constantIbLb1EESU_EEDaSP_SQ_EUlSP_E_NS1_11comp_targetILNS1_3genE9ELNS1_11target_archE1100ELNS1_3gpuE3ELNS1_3repE0EEENS1_30default_config_static_selectorELNS0_4arch9wavefront6targetE1EEEvT1_
		.amdhsa_group_segment_fixed_size 0
		.amdhsa_private_segment_fixed_size 0
		.amdhsa_kernarg_size 104
		.amdhsa_user_sgpr_count 6
		.amdhsa_user_sgpr_private_segment_buffer 1
		.amdhsa_user_sgpr_dispatch_ptr 0
		.amdhsa_user_sgpr_queue_ptr 0
		.amdhsa_user_sgpr_kernarg_segment_ptr 1
		.amdhsa_user_sgpr_dispatch_id 0
		.amdhsa_user_sgpr_flat_scratch_init 0
		.amdhsa_user_sgpr_kernarg_preload_length 0
		.amdhsa_user_sgpr_kernarg_preload_offset 0
		.amdhsa_user_sgpr_private_segment_size 0
		.amdhsa_uses_dynamic_stack 0
		.amdhsa_system_sgpr_private_segment_wavefront_offset 0
		.amdhsa_system_sgpr_workgroup_id_x 1
		.amdhsa_system_sgpr_workgroup_id_y 0
		.amdhsa_system_sgpr_workgroup_id_z 0
		.amdhsa_system_sgpr_workgroup_info 0
		.amdhsa_system_vgpr_workitem_id 0
		.amdhsa_next_free_vgpr 1
		.amdhsa_next_free_sgpr 0
		.amdhsa_accum_offset 4
		.amdhsa_reserve_vcc 0
		.amdhsa_reserve_flat_scratch 0
		.amdhsa_float_round_mode_32 0
		.amdhsa_float_round_mode_16_64 0
		.amdhsa_float_denorm_mode_32 3
		.amdhsa_float_denorm_mode_16_64 3
		.amdhsa_dx10_clamp 1
		.amdhsa_ieee_mode 1
		.amdhsa_fp16_overflow 0
		.amdhsa_tg_split 0
		.amdhsa_exception_fp_ieee_invalid_op 0
		.amdhsa_exception_fp_denorm_src 0
		.amdhsa_exception_fp_ieee_div_zero 0
		.amdhsa_exception_fp_ieee_overflow 0
		.amdhsa_exception_fp_ieee_underflow 0
		.amdhsa_exception_fp_ieee_inexact 0
		.amdhsa_exception_int_div_zero 0
	.end_amdhsa_kernel
	.section	.text._ZN7rocprim17ROCPRIM_400000_NS6detail17trampoline_kernelINS0_14default_configENS1_20scan_config_selectorIxEEZZNS1_9scan_implILNS1_25lookback_scan_determinismE0ELb1ELb1ES3_N6thrust23THRUST_200600_302600_NS6detail15normal_iteratorINS9_10device_ptrIxEEEESE_xNS9_4plusIxEExEEDaPvRmT3_T4_T5_mT6_P12ihipStream_tbENKUlT_T0_E_clISt17integral_constantIbLb1EESU_EEDaSP_SQ_EUlSP_E_NS1_11comp_targetILNS1_3genE9ELNS1_11target_archE1100ELNS1_3gpuE3ELNS1_3repE0EEENS1_30default_config_static_selectorELNS0_4arch9wavefront6targetE1EEEvT1_,"axG",@progbits,_ZN7rocprim17ROCPRIM_400000_NS6detail17trampoline_kernelINS0_14default_configENS1_20scan_config_selectorIxEEZZNS1_9scan_implILNS1_25lookback_scan_determinismE0ELb1ELb1ES3_N6thrust23THRUST_200600_302600_NS6detail15normal_iteratorINS9_10device_ptrIxEEEESE_xNS9_4plusIxEExEEDaPvRmT3_T4_T5_mT6_P12ihipStream_tbENKUlT_T0_E_clISt17integral_constantIbLb1EESU_EEDaSP_SQ_EUlSP_E_NS1_11comp_targetILNS1_3genE9ELNS1_11target_archE1100ELNS1_3gpuE3ELNS1_3repE0EEENS1_30default_config_static_selectorELNS0_4arch9wavefront6targetE1EEEvT1_,comdat
.Lfunc_end367:
	.size	_ZN7rocprim17ROCPRIM_400000_NS6detail17trampoline_kernelINS0_14default_configENS1_20scan_config_selectorIxEEZZNS1_9scan_implILNS1_25lookback_scan_determinismE0ELb1ELb1ES3_N6thrust23THRUST_200600_302600_NS6detail15normal_iteratorINS9_10device_ptrIxEEEESE_xNS9_4plusIxEExEEDaPvRmT3_T4_T5_mT6_P12ihipStream_tbENKUlT_T0_E_clISt17integral_constantIbLb1EESU_EEDaSP_SQ_EUlSP_E_NS1_11comp_targetILNS1_3genE9ELNS1_11target_archE1100ELNS1_3gpuE3ELNS1_3repE0EEENS1_30default_config_static_selectorELNS0_4arch9wavefront6targetE1EEEvT1_, .Lfunc_end367-_ZN7rocprim17ROCPRIM_400000_NS6detail17trampoline_kernelINS0_14default_configENS1_20scan_config_selectorIxEEZZNS1_9scan_implILNS1_25lookback_scan_determinismE0ELb1ELb1ES3_N6thrust23THRUST_200600_302600_NS6detail15normal_iteratorINS9_10device_ptrIxEEEESE_xNS9_4plusIxEExEEDaPvRmT3_T4_T5_mT6_P12ihipStream_tbENKUlT_T0_E_clISt17integral_constantIbLb1EESU_EEDaSP_SQ_EUlSP_E_NS1_11comp_targetILNS1_3genE9ELNS1_11target_archE1100ELNS1_3gpuE3ELNS1_3repE0EEENS1_30default_config_static_selectorELNS0_4arch9wavefront6targetE1EEEvT1_
                                        ; -- End function
	.section	.AMDGPU.csdata,"",@progbits
; Kernel info:
; codeLenInByte = 0
; NumSgprs: 4
; NumVgprs: 0
; NumAgprs: 0
; TotalNumVgprs: 0
; ScratchSize: 0
; MemoryBound: 0
; FloatMode: 240
; IeeeMode: 1
; LDSByteSize: 0 bytes/workgroup (compile time only)
; SGPRBlocks: 0
; VGPRBlocks: 0
; NumSGPRsForWavesPerEU: 4
; NumVGPRsForWavesPerEU: 1
; AccumOffset: 4
; Occupancy: 8
; WaveLimiterHint : 0
; COMPUTE_PGM_RSRC2:SCRATCH_EN: 0
; COMPUTE_PGM_RSRC2:USER_SGPR: 6
; COMPUTE_PGM_RSRC2:TRAP_HANDLER: 0
; COMPUTE_PGM_RSRC2:TGID_X_EN: 1
; COMPUTE_PGM_RSRC2:TGID_Y_EN: 0
; COMPUTE_PGM_RSRC2:TGID_Z_EN: 0
; COMPUTE_PGM_RSRC2:TIDIG_COMP_CNT: 0
; COMPUTE_PGM_RSRC3_GFX90A:ACCUM_OFFSET: 0
; COMPUTE_PGM_RSRC3_GFX90A:TG_SPLIT: 0
	.section	.text._ZN7rocprim17ROCPRIM_400000_NS6detail17trampoline_kernelINS0_14default_configENS1_20scan_config_selectorIxEEZZNS1_9scan_implILNS1_25lookback_scan_determinismE0ELb1ELb1ES3_N6thrust23THRUST_200600_302600_NS6detail15normal_iteratorINS9_10device_ptrIxEEEESE_xNS9_4plusIxEExEEDaPvRmT3_T4_T5_mT6_P12ihipStream_tbENKUlT_T0_E_clISt17integral_constantIbLb1EESU_EEDaSP_SQ_EUlSP_E_NS1_11comp_targetILNS1_3genE8ELNS1_11target_archE1030ELNS1_3gpuE2ELNS1_3repE0EEENS1_30default_config_static_selectorELNS0_4arch9wavefront6targetE1EEEvT1_,"axG",@progbits,_ZN7rocprim17ROCPRIM_400000_NS6detail17trampoline_kernelINS0_14default_configENS1_20scan_config_selectorIxEEZZNS1_9scan_implILNS1_25lookback_scan_determinismE0ELb1ELb1ES3_N6thrust23THRUST_200600_302600_NS6detail15normal_iteratorINS9_10device_ptrIxEEEESE_xNS9_4plusIxEExEEDaPvRmT3_T4_T5_mT6_P12ihipStream_tbENKUlT_T0_E_clISt17integral_constantIbLb1EESU_EEDaSP_SQ_EUlSP_E_NS1_11comp_targetILNS1_3genE8ELNS1_11target_archE1030ELNS1_3gpuE2ELNS1_3repE0EEENS1_30default_config_static_selectorELNS0_4arch9wavefront6targetE1EEEvT1_,comdat
	.protected	_ZN7rocprim17ROCPRIM_400000_NS6detail17trampoline_kernelINS0_14default_configENS1_20scan_config_selectorIxEEZZNS1_9scan_implILNS1_25lookback_scan_determinismE0ELb1ELb1ES3_N6thrust23THRUST_200600_302600_NS6detail15normal_iteratorINS9_10device_ptrIxEEEESE_xNS9_4plusIxEExEEDaPvRmT3_T4_T5_mT6_P12ihipStream_tbENKUlT_T0_E_clISt17integral_constantIbLb1EESU_EEDaSP_SQ_EUlSP_E_NS1_11comp_targetILNS1_3genE8ELNS1_11target_archE1030ELNS1_3gpuE2ELNS1_3repE0EEENS1_30default_config_static_selectorELNS0_4arch9wavefront6targetE1EEEvT1_ ; -- Begin function _ZN7rocprim17ROCPRIM_400000_NS6detail17trampoline_kernelINS0_14default_configENS1_20scan_config_selectorIxEEZZNS1_9scan_implILNS1_25lookback_scan_determinismE0ELb1ELb1ES3_N6thrust23THRUST_200600_302600_NS6detail15normal_iteratorINS9_10device_ptrIxEEEESE_xNS9_4plusIxEExEEDaPvRmT3_T4_T5_mT6_P12ihipStream_tbENKUlT_T0_E_clISt17integral_constantIbLb1EESU_EEDaSP_SQ_EUlSP_E_NS1_11comp_targetILNS1_3genE8ELNS1_11target_archE1030ELNS1_3gpuE2ELNS1_3repE0EEENS1_30default_config_static_selectorELNS0_4arch9wavefront6targetE1EEEvT1_
	.globl	_ZN7rocprim17ROCPRIM_400000_NS6detail17trampoline_kernelINS0_14default_configENS1_20scan_config_selectorIxEEZZNS1_9scan_implILNS1_25lookback_scan_determinismE0ELb1ELb1ES3_N6thrust23THRUST_200600_302600_NS6detail15normal_iteratorINS9_10device_ptrIxEEEESE_xNS9_4plusIxEExEEDaPvRmT3_T4_T5_mT6_P12ihipStream_tbENKUlT_T0_E_clISt17integral_constantIbLb1EESU_EEDaSP_SQ_EUlSP_E_NS1_11comp_targetILNS1_3genE8ELNS1_11target_archE1030ELNS1_3gpuE2ELNS1_3repE0EEENS1_30default_config_static_selectorELNS0_4arch9wavefront6targetE1EEEvT1_
	.p2align	8
	.type	_ZN7rocprim17ROCPRIM_400000_NS6detail17trampoline_kernelINS0_14default_configENS1_20scan_config_selectorIxEEZZNS1_9scan_implILNS1_25lookback_scan_determinismE0ELb1ELb1ES3_N6thrust23THRUST_200600_302600_NS6detail15normal_iteratorINS9_10device_ptrIxEEEESE_xNS9_4plusIxEExEEDaPvRmT3_T4_T5_mT6_P12ihipStream_tbENKUlT_T0_E_clISt17integral_constantIbLb1EESU_EEDaSP_SQ_EUlSP_E_NS1_11comp_targetILNS1_3genE8ELNS1_11target_archE1030ELNS1_3gpuE2ELNS1_3repE0EEENS1_30default_config_static_selectorELNS0_4arch9wavefront6targetE1EEEvT1_,@function
_ZN7rocprim17ROCPRIM_400000_NS6detail17trampoline_kernelINS0_14default_configENS1_20scan_config_selectorIxEEZZNS1_9scan_implILNS1_25lookback_scan_determinismE0ELb1ELb1ES3_N6thrust23THRUST_200600_302600_NS6detail15normal_iteratorINS9_10device_ptrIxEEEESE_xNS9_4plusIxEExEEDaPvRmT3_T4_T5_mT6_P12ihipStream_tbENKUlT_T0_E_clISt17integral_constantIbLb1EESU_EEDaSP_SQ_EUlSP_E_NS1_11comp_targetILNS1_3genE8ELNS1_11target_archE1030ELNS1_3gpuE2ELNS1_3repE0EEENS1_30default_config_static_selectorELNS0_4arch9wavefront6targetE1EEEvT1_: ; @_ZN7rocprim17ROCPRIM_400000_NS6detail17trampoline_kernelINS0_14default_configENS1_20scan_config_selectorIxEEZZNS1_9scan_implILNS1_25lookback_scan_determinismE0ELb1ELb1ES3_N6thrust23THRUST_200600_302600_NS6detail15normal_iteratorINS9_10device_ptrIxEEEESE_xNS9_4plusIxEExEEDaPvRmT3_T4_T5_mT6_P12ihipStream_tbENKUlT_T0_E_clISt17integral_constantIbLb1EESU_EEDaSP_SQ_EUlSP_E_NS1_11comp_targetILNS1_3genE8ELNS1_11target_archE1030ELNS1_3gpuE2ELNS1_3repE0EEENS1_30default_config_static_selectorELNS0_4arch9wavefront6targetE1EEEvT1_
; %bb.0:
	.section	.rodata,"a",@progbits
	.p2align	6, 0x0
	.amdhsa_kernel _ZN7rocprim17ROCPRIM_400000_NS6detail17trampoline_kernelINS0_14default_configENS1_20scan_config_selectorIxEEZZNS1_9scan_implILNS1_25lookback_scan_determinismE0ELb1ELb1ES3_N6thrust23THRUST_200600_302600_NS6detail15normal_iteratorINS9_10device_ptrIxEEEESE_xNS9_4plusIxEExEEDaPvRmT3_T4_T5_mT6_P12ihipStream_tbENKUlT_T0_E_clISt17integral_constantIbLb1EESU_EEDaSP_SQ_EUlSP_E_NS1_11comp_targetILNS1_3genE8ELNS1_11target_archE1030ELNS1_3gpuE2ELNS1_3repE0EEENS1_30default_config_static_selectorELNS0_4arch9wavefront6targetE1EEEvT1_
		.amdhsa_group_segment_fixed_size 0
		.amdhsa_private_segment_fixed_size 0
		.amdhsa_kernarg_size 104
		.amdhsa_user_sgpr_count 6
		.amdhsa_user_sgpr_private_segment_buffer 1
		.amdhsa_user_sgpr_dispatch_ptr 0
		.amdhsa_user_sgpr_queue_ptr 0
		.amdhsa_user_sgpr_kernarg_segment_ptr 1
		.amdhsa_user_sgpr_dispatch_id 0
		.amdhsa_user_sgpr_flat_scratch_init 0
		.amdhsa_user_sgpr_kernarg_preload_length 0
		.amdhsa_user_sgpr_kernarg_preload_offset 0
		.amdhsa_user_sgpr_private_segment_size 0
		.amdhsa_uses_dynamic_stack 0
		.amdhsa_system_sgpr_private_segment_wavefront_offset 0
		.amdhsa_system_sgpr_workgroup_id_x 1
		.amdhsa_system_sgpr_workgroup_id_y 0
		.amdhsa_system_sgpr_workgroup_id_z 0
		.amdhsa_system_sgpr_workgroup_info 0
		.amdhsa_system_vgpr_workitem_id 0
		.amdhsa_next_free_vgpr 1
		.amdhsa_next_free_sgpr 0
		.amdhsa_accum_offset 4
		.amdhsa_reserve_vcc 0
		.amdhsa_reserve_flat_scratch 0
		.amdhsa_float_round_mode_32 0
		.amdhsa_float_round_mode_16_64 0
		.amdhsa_float_denorm_mode_32 3
		.amdhsa_float_denorm_mode_16_64 3
		.amdhsa_dx10_clamp 1
		.amdhsa_ieee_mode 1
		.amdhsa_fp16_overflow 0
		.amdhsa_tg_split 0
		.amdhsa_exception_fp_ieee_invalid_op 0
		.amdhsa_exception_fp_denorm_src 0
		.amdhsa_exception_fp_ieee_div_zero 0
		.amdhsa_exception_fp_ieee_overflow 0
		.amdhsa_exception_fp_ieee_underflow 0
		.amdhsa_exception_fp_ieee_inexact 0
		.amdhsa_exception_int_div_zero 0
	.end_amdhsa_kernel
	.section	.text._ZN7rocprim17ROCPRIM_400000_NS6detail17trampoline_kernelINS0_14default_configENS1_20scan_config_selectorIxEEZZNS1_9scan_implILNS1_25lookback_scan_determinismE0ELb1ELb1ES3_N6thrust23THRUST_200600_302600_NS6detail15normal_iteratorINS9_10device_ptrIxEEEESE_xNS9_4plusIxEExEEDaPvRmT3_T4_T5_mT6_P12ihipStream_tbENKUlT_T0_E_clISt17integral_constantIbLb1EESU_EEDaSP_SQ_EUlSP_E_NS1_11comp_targetILNS1_3genE8ELNS1_11target_archE1030ELNS1_3gpuE2ELNS1_3repE0EEENS1_30default_config_static_selectorELNS0_4arch9wavefront6targetE1EEEvT1_,"axG",@progbits,_ZN7rocprim17ROCPRIM_400000_NS6detail17trampoline_kernelINS0_14default_configENS1_20scan_config_selectorIxEEZZNS1_9scan_implILNS1_25lookback_scan_determinismE0ELb1ELb1ES3_N6thrust23THRUST_200600_302600_NS6detail15normal_iteratorINS9_10device_ptrIxEEEESE_xNS9_4plusIxEExEEDaPvRmT3_T4_T5_mT6_P12ihipStream_tbENKUlT_T0_E_clISt17integral_constantIbLb1EESU_EEDaSP_SQ_EUlSP_E_NS1_11comp_targetILNS1_3genE8ELNS1_11target_archE1030ELNS1_3gpuE2ELNS1_3repE0EEENS1_30default_config_static_selectorELNS0_4arch9wavefront6targetE1EEEvT1_,comdat
.Lfunc_end368:
	.size	_ZN7rocprim17ROCPRIM_400000_NS6detail17trampoline_kernelINS0_14default_configENS1_20scan_config_selectorIxEEZZNS1_9scan_implILNS1_25lookback_scan_determinismE0ELb1ELb1ES3_N6thrust23THRUST_200600_302600_NS6detail15normal_iteratorINS9_10device_ptrIxEEEESE_xNS9_4plusIxEExEEDaPvRmT3_T4_T5_mT6_P12ihipStream_tbENKUlT_T0_E_clISt17integral_constantIbLb1EESU_EEDaSP_SQ_EUlSP_E_NS1_11comp_targetILNS1_3genE8ELNS1_11target_archE1030ELNS1_3gpuE2ELNS1_3repE0EEENS1_30default_config_static_selectorELNS0_4arch9wavefront6targetE1EEEvT1_, .Lfunc_end368-_ZN7rocprim17ROCPRIM_400000_NS6detail17trampoline_kernelINS0_14default_configENS1_20scan_config_selectorIxEEZZNS1_9scan_implILNS1_25lookback_scan_determinismE0ELb1ELb1ES3_N6thrust23THRUST_200600_302600_NS6detail15normal_iteratorINS9_10device_ptrIxEEEESE_xNS9_4plusIxEExEEDaPvRmT3_T4_T5_mT6_P12ihipStream_tbENKUlT_T0_E_clISt17integral_constantIbLb1EESU_EEDaSP_SQ_EUlSP_E_NS1_11comp_targetILNS1_3genE8ELNS1_11target_archE1030ELNS1_3gpuE2ELNS1_3repE0EEENS1_30default_config_static_selectorELNS0_4arch9wavefront6targetE1EEEvT1_
                                        ; -- End function
	.section	.AMDGPU.csdata,"",@progbits
; Kernel info:
; codeLenInByte = 0
; NumSgprs: 4
; NumVgprs: 0
; NumAgprs: 0
; TotalNumVgprs: 0
; ScratchSize: 0
; MemoryBound: 0
; FloatMode: 240
; IeeeMode: 1
; LDSByteSize: 0 bytes/workgroup (compile time only)
; SGPRBlocks: 0
; VGPRBlocks: 0
; NumSGPRsForWavesPerEU: 4
; NumVGPRsForWavesPerEU: 1
; AccumOffset: 4
; Occupancy: 8
; WaveLimiterHint : 0
; COMPUTE_PGM_RSRC2:SCRATCH_EN: 0
; COMPUTE_PGM_RSRC2:USER_SGPR: 6
; COMPUTE_PGM_RSRC2:TRAP_HANDLER: 0
; COMPUTE_PGM_RSRC2:TGID_X_EN: 1
; COMPUTE_PGM_RSRC2:TGID_Y_EN: 0
; COMPUTE_PGM_RSRC2:TGID_Z_EN: 0
; COMPUTE_PGM_RSRC2:TIDIG_COMP_CNT: 0
; COMPUTE_PGM_RSRC3_GFX90A:ACCUM_OFFSET: 0
; COMPUTE_PGM_RSRC3_GFX90A:TG_SPLIT: 0
	.section	.text._ZN7rocprim17ROCPRIM_400000_NS6detail17trampoline_kernelINS0_14default_configENS1_20scan_config_selectorIxEEZZNS1_9scan_implILNS1_25lookback_scan_determinismE0ELb1ELb1ES3_N6thrust23THRUST_200600_302600_NS6detail15normal_iteratorINS9_10device_ptrIxEEEESE_xNS9_4plusIxEExEEDaPvRmT3_T4_T5_mT6_P12ihipStream_tbENKUlT_T0_E_clISt17integral_constantIbLb1EESU_EEDaSP_SQ_EUlSP_E0_NS1_11comp_targetILNS1_3genE0ELNS1_11target_archE4294967295ELNS1_3gpuE0ELNS1_3repE0EEENS1_30default_config_static_selectorELNS0_4arch9wavefront6targetE1EEEvT1_,"axG",@progbits,_ZN7rocprim17ROCPRIM_400000_NS6detail17trampoline_kernelINS0_14default_configENS1_20scan_config_selectorIxEEZZNS1_9scan_implILNS1_25lookback_scan_determinismE0ELb1ELb1ES3_N6thrust23THRUST_200600_302600_NS6detail15normal_iteratorINS9_10device_ptrIxEEEESE_xNS9_4plusIxEExEEDaPvRmT3_T4_T5_mT6_P12ihipStream_tbENKUlT_T0_E_clISt17integral_constantIbLb1EESU_EEDaSP_SQ_EUlSP_E0_NS1_11comp_targetILNS1_3genE0ELNS1_11target_archE4294967295ELNS1_3gpuE0ELNS1_3repE0EEENS1_30default_config_static_selectorELNS0_4arch9wavefront6targetE1EEEvT1_,comdat
	.protected	_ZN7rocprim17ROCPRIM_400000_NS6detail17trampoline_kernelINS0_14default_configENS1_20scan_config_selectorIxEEZZNS1_9scan_implILNS1_25lookback_scan_determinismE0ELb1ELb1ES3_N6thrust23THRUST_200600_302600_NS6detail15normal_iteratorINS9_10device_ptrIxEEEESE_xNS9_4plusIxEExEEDaPvRmT3_T4_T5_mT6_P12ihipStream_tbENKUlT_T0_E_clISt17integral_constantIbLb1EESU_EEDaSP_SQ_EUlSP_E0_NS1_11comp_targetILNS1_3genE0ELNS1_11target_archE4294967295ELNS1_3gpuE0ELNS1_3repE0EEENS1_30default_config_static_selectorELNS0_4arch9wavefront6targetE1EEEvT1_ ; -- Begin function _ZN7rocprim17ROCPRIM_400000_NS6detail17trampoline_kernelINS0_14default_configENS1_20scan_config_selectorIxEEZZNS1_9scan_implILNS1_25lookback_scan_determinismE0ELb1ELb1ES3_N6thrust23THRUST_200600_302600_NS6detail15normal_iteratorINS9_10device_ptrIxEEEESE_xNS9_4plusIxEExEEDaPvRmT3_T4_T5_mT6_P12ihipStream_tbENKUlT_T0_E_clISt17integral_constantIbLb1EESU_EEDaSP_SQ_EUlSP_E0_NS1_11comp_targetILNS1_3genE0ELNS1_11target_archE4294967295ELNS1_3gpuE0ELNS1_3repE0EEENS1_30default_config_static_selectorELNS0_4arch9wavefront6targetE1EEEvT1_
	.globl	_ZN7rocprim17ROCPRIM_400000_NS6detail17trampoline_kernelINS0_14default_configENS1_20scan_config_selectorIxEEZZNS1_9scan_implILNS1_25lookback_scan_determinismE0ELb1ELb1ES3_N6thrust23THRUST_200600_302600_NS6detail15normal_iteratorINS9_10device_ptrIxEEEESE_xNS9_4plusIxEExEEDaPvRmT3_T4_T5_mT6_P12ihipStream_tbENKUlT_T0_E_clISt17integral_constantIbLb1EESU_EEDaSP_SQ_EUlSP_E0_NS1_11comp_targetILNS1_3genE0ELNS1_11target_archE4294967295ELNS1_3gpuE0ELNS1_3repE0EEENS1_30default_config_static_selectorELNS0_4arch9wavefront6targetE1EEEvT1_
	.p2align	8
	.type	_ZN7rocprim17ROCPRIM_400000_NS6detail17trampoline_kernelINS0_14default_configENS1_20scan_config_selectorIxEEZZNS1_9scan_implILNS1_25lookback_scan_determinismE0ELb1ELb1ES3_N6thrust23THRUST_200600_302600_NS6detail15normal_iteratorINS9_10device_ptrIxEEEESE_xNS9_4plusIxEExEEDaPvRmT3_T4_T5_mT6_P12ihipStream_tbENKUlT_T0_E_clISt17integral_constantIbLb1EESU_EEDaSP_SQ_EUlSP_E0_NS1_11comp_targetILNS1_3genE0ELNS1_11target_archE4294967295ELNS1_3gpuE0ELNS1_3repE0EEENS1_30default_config_static_selectorELNS0_4arch9wavefront6targetE1EEEvT1_,@function
_ZN7rocprim17ROCPRIM_400000_NS6detail17trampoline_kernelINS0_14default_configENS1_20scan_config_selectorIxEEZZNS1_9scan_implILNS1_25lookback_scan_determinismE0ELb1ELb1ES3_N6thrust23THRUST_200600_302600_NS6detail15normal_iteratorINS9_10device_ptrIxEEEESE_xNS9_4plusIxEExEEDaPvRmT3_T4_T5_mT6_P12ihipStream_tbENKUlT_T0_E_clISt17integral_constantIbLb1EESU_EEDaSP_SQ_EUlSP_E0_NS1_11comp_targetILNS1_3genE0ELNS1_11target_archE4294967295ELNS1_3gpuE0ELNS1_3repE0EEENS1_30default_config_static_selectorELNS0_4arch9wavefront6targetE1EEEvT1_: ; @_ZN7rocprim17ROCPRIM_400000_NS6detail17trampoline_kernelINS0_14default_configENS1_20scan_config_selectorIxEEZZNS1_9scan_implILNS1_25lookback_scan_determinismE0ELb1ELb1ES3_N6thrust23THRUST_200600_302600_NS6detail15normal_iteratorINS9_10device_ptrIxEEEESE_xNS9_4plusIxEExEEDaPvRmT3_T4_T5_mT6_P12ihipStream_tbENKUlT_T0_E_clISt17integral_constantIbLb1EESU_EEDaSP_SQ_EUlSP_E0_NS1_11comp_targetILNS1_3genE0ELNS1_11target_archE4294967295ELNS1_3gpuE0ELNS1_3repE0EEENS1_30default_config_static_selectorELNS0_4arch9wavefront6targetE1EEEvT1_
; %bb.0:
	.section	.rodata,"a",@progbits
	.p2align	6, 0x0
	.amdhsa_kernel _ZN7rocprim17ROCPRIM_400000_NS6detail17trampoline_kernelINS0_14default_configENS1_20scan_config_selectorIxEEZZNS1_9scan_implILNS1_25lookback_scan_determinismE0ELb1ELb1ES3_N6thrust23THRUST_200600_302600_NS6detail15normal_iteratorINS9_10device_ptrIxEEEESE_xNS9_4plusIxEExEEDaPvRmT3_T4_T5_mT6_P12ihipStream_tbENKUlT_T0_E_clISt17integral_constantIbLb1EESU_EEDaSP_SQ_EUlSP_E0_NS1_11comp_targetILNS1_3genE0ELNS1_11target_archE4294967295ELNS1_3gpuE0ELNS1_3repE0EEENS1_30default_config_static_selectorELNS0_4arch9wavefront6targetE1EEEvT1_
		.amdhsa_group_segment_fixed_size 0
		.amdhsa_private_segment_fixed_size 0
		.amdhsa_kernarg_size 40
		.amdhsa_user_sgpr_count 6
		.amdhsa_user_sgpr_private_segment_buffer 1
		.amdhsa_user_sgpr_dispatch_ptr 0
		.amdhsa_user_sgpr_queue_ptr 0
		.amdhsa_user_sgpr_kernarg_segment_ptr 1
		.amdhsa_user_sgpr_dispatch_id 0
		.amdhsa_user_sgpr_flat_scratch_init 0
		.amdhsa_user_sgpr_kernarg_preload_length 0
		.amdhsa_user_sgpr_kernarg_preload_offset 0
		.amdhsa_user_sgpr_private_segment_size 0
		.amdhsa_uses_dynamic_stack 0
		.amdhsa_system_sgpr_private_segment_wavefront_offset 0
		.amdhsa_system_sgpr_workgroup_id_x 1
		.amdhsa_system_sgpr_workgroup_id_y 0
		.amdhsa_system_sgpr_workgroup_id_z 0
		.amdhsa_system_sgpr_workgroup_info 0
		.amdhsa_system_vgpr_workitem_id 0
		.amdhsa_next_free_vgpr 1
		.amdhsa_next_free_sgpr 0
		.amdhsa_accum_offset 4
		.amdhsa_reserve_vcc 0
		.amdhsa_reserve_flat_scratch 0
		.amdhsa_float_round_mode_32 0
		.amdhsa_float_round_mode_16_64 0
		.amdhsa_float_denorm_mode_32 3
		.amdhsa_float_denorm_mode_16_64 3
		.amdhsa_dx10_clamp 1
		.amdhsa_ieee_mode 1
		.amdhsa_fp16_overflow 0
		.amdhsa_tg_split 0
		.amdhsa_exception_fp_ieee_invalid_op 0
		.amdhsa_exception_fp_denorm_src 0
		.amdhsa_exception_fp_ieee_div_zero 0
		.amdhsa_exception_fp_ieee_overflow 0
		.amdhsa_exception_fp_ieee_underflow 0
		.amdhsa_exception_fp_ieee_inexact 0
		.amdhsa_exception_int_div_zero 0
	.end_amdhsa_kernel
	.section	.text._ZN7rocprim17ROCPRIM_400000_NS6detail17trampoline_kernelINS0_14default_configENS1_20scan_config_selectorIxEEZZNS1_9scan_implILNS1_25lookback_scan_determinismE0ELb1ELb1ES3_N6thrust23THRUST_200600_302600_NS6detail15normal_iteratorINS9_10device_ptrIxEEEESE_xNS9_4plusIxEExEEDaPvRmT3_T4_T5_mT6_P12ihipStream_tbENKUlT_T0_E_clISt17integral_constantIbLb1EESU_EEDaSP_SQ_EUlSP_E0_NS1_11comp_targetILNS1_3genE0ELNS1_11target_archE4294967295ELNS1_3gpuE0ELNS1_3repE0EEENS1_30default_config_static_selectorELNS0_4arch9wavefront6targetE1EEEvT1_,"axG",@progbits,_ZN7rocprim17ROCPRIM_400000_NS6detail17trampoline_kernelINS0_14default_configENS1_20scan_config_selectorIxEEZZNS1_9scan_implILNS1_25lookback_scan_determinismE0ELb1ELb1ES3_N6thrust23THRUST_200600_302600_NS6detail15normal_iteratorINS9_10device_ptrIxEEEESE_xNS9_4plusIxEExEEDaPvRmT3_T4_T5_mT6_P12ihipStream_tbENKUlT_T0_E_clISt17integral_constantIbLb1EESU_EEDaSP_SQ_EUlSP_E0_NS1_11comp_targetILNS1_3genE0ELNS1_11target_archE4294967295ELNS1_3gpuE0ELNS1_3repE0EEENS1_30default_config_static_selectorELNS0_4arch9wavefront6targetE1EEEvT1_,comdat
.Lfunc_end369:
	.size	_ZN7rocprim17ROCPRIM_400000_NS6detail17trampoline_kernelINS0_14default_configENS1_20scan_config_selectorIxEEZZNS1_9scan_implILNS1_25lookback_scan_determinismE0ELb1ELb1ES3_N6thrust23THRUST_200600_302600_NS6detail15normal_iteratorINS9_10device_ptrIxEEEESE_xNS9_4plusIxEExEEDaPvRmT3_T4_T5_mT6_P12ihipStream_tbENKUlT_T0_E_clISt17integral_constantIbLb1EESU_EEDaSP_SQ_EUlSP_E0_NS1_11comp_targetILNS1_3genE0ELNS1_11target_archE4294967295ELNS1_3gpuE0ELNS1_3repE0EEENS1_30default_config_static_selectorELNS0_4arch9wavefront6targetE1EEEvT1_, .Lfunc_end369-_ZN7rocprim17ROCPRIM_400000_NS6detail17trampoline_kernelINS0_14default_configENS1_20scan_config_selectorIxEEZZNS1_9scan_implILNS1_25lookback_scan_determinismE0ELb1ELb1ES3_N6thrust23THRUST_200600_302600_NS6detail15normal_iteratorINS9_10device_ptrIxEEEESE_xNS9_4plusIxEExEEDaPvRmT3_T4_T5_mT6_P12ihipStream_tbENKUlT_T0_E_clISt17integral_constantIbLb1EESU_EEDaSP_SQ_EUlSP_E0_NS1_11comp_targetILNS1_3genE0ELNS1_11target_archE4294967295ELNS1_3gpuE0ELNS1_3repE0EEENS1_30default_config_static_selectorELNS0_4arch9wavefront6targetE1EEEvT1_
                                        ; -- End function
	.section	.AMDGPU.csdata,"",@progbits
; Kernel info:
; codeLenInByte = 0
; NumSgprs: 4
; NumVgprs: 0
; NumAgprs: 0
; TotalNumVgprs: 0
; ScratchSize: 0
; MemoryBound: 0
; FloatMode: 240
; IeeeMode: 1
; LDSByteSize: 0 bytes/workgroup (compile time only)
; SGPRBlocks: 0
; VGPRBlocks: 0
; NumSGPRsForWavesPerEU: 4
; NumVGPRsForWavesPerEU: 1
; AccumOffset: 4
; Occupancy: 8
; WaveLimiterHint : 0
; COMPUTE_PGM_RSRC2:SCRATCH_EN: 0
; COMPUTE_PGM_RSRC2:USER_SGPR: 6
; COMPUTE_PGM_RSRC2:TRAP_HANDLER: 0
; COMPUTE_PGM_RSRC2:TGID_X_EN: 1
; COMPUTE_PGM_RSRC2:TGID_Y_EN: 0
; COMPUTE_PGM_RSRC2:TGID_Z_EN: 0
; COMPUTE_PGM_RSRC2:TIDIG_COMP_CNT: 0
; COMPUTE_PGM_RSRC3_GFX90A:ACCUM_OFFSET: 0
; COMPUTE_PGM_RSRC3_GFX90A:TG_SPLIT: 0
	.section	.text._ZN7rocprim17ROCPRIM_400000_NS6detail17trampoline_kernelINS0_14default_configENS1_20scan_config_selectorIxEEZZNS1_9scan_implILNS1_25lookback_scan_determinismE0ELb1ELb1ES3_N6thrust23THRUST_200600_302600_NS6detail15normal_iteratorINS9_10device_ptrIxEEEESE_xNS9_4plusIxEExEEDaPvRmT3_T4_T5_mT6_P12ihipStream_tbENKUlT_T0_E_clISt17integral_constantIbLb1EESU_EEDaSP_SQ_EUlSP_E0_NS1_11comp_targetILNS1_3genE5ELNS1_11target_archE942ELNS1_3gpuE9ELNS1_3repE0EEENS1_30default_config_static_selectorELNS0_4arch9wavefront6targetE1EEEvT1_,"axG",@progbits,_ZN7rocprim17ROCPRIM_400000_NS6detail17trampoline_kernelINS0_14default_configENS1_20scan_config_selectorIxEEZZNS1_9scan_implILNS1_25lookback_scan_determinismE0ELb1ELb1ES3_N6thrust23THRUST_200600_302600_NS6detail15normal_iteratorINS9_10device_ptrIxEEEESE_xNS9_4plusIxEExEEDaPvRmT3_T4_T5_mT6_P12ihipStream_tbENKUlT_T0_E_clISt17integral_constantIbLb1EESU_EEDaSP_SQ_EUlSP_E0_NS1_11comp_targetILNS1_3genE5ELNS1_11target_archE942ELNS1_3gpuE9ELNS1_3repE0EEENS1_30default_config_static_selectorELNS0_4arch9wavefront6targetE1EEEvT1_,comdat
	.protected	_ZN7rocprim17ROCPRIM_400000_NS6detail17trampoline_kernelINS0_14default_configENS1_20scan_config_selectorIxEEZZNS1_9scan_implILNS1_25lookback_scan_determinismE0ELb1ELb1ES3_N6thrust23THRUST_200600_302600_NS6detail15normal_iteratorINS9_10device_ptrIxEEEESE_xNS9_4plusIxEExEEDaPvRmT3_T4_T5_mT6_P12ihipStream_tbENKUlT_T0_E_clISt17integral_constantIbLb1EESU_EEDaSP_SQ_EUlSP_E0_NS1_11comp_targetILNS1_3genE5ELNS1_11target_archE942ELNS1_3gpuE9ELNS1_3repE0EEENS1_30default_config_static_selectorELNS0_4arch9wavefront6targetE1EEEvT1_ ; -- Begin function _ZN7rocprim17ROCPRIM_400000_NS6detail17trampoline_kernelINS0_14default_configENS1_20scan_config_selectorIxEEZZNS1_9scan_implILNS1_25lookback_scan_determinismE0ELb1ELb1ES3_N6thrust23THRUST_200600_302600_NS6detail15normal_iteratorINS9_10device_ptrIxEEEESE_xNS9_4plusIxEExEEDaPvRmT3_T4_T5_mT6_P12ihipStream_tbENKUlT_T0_E_clISt17integral_constantIbLb1EESU_EEDaSP_SQ_EUlSP_E0_NS1_11comp_targetILNS1_3genE5ELNS1_11target_archE942ELNS1_3gpuE9ELNS1_3repE0EEENS1_30default_config_static_selectorELNS0_4arch9wavefront6targetE1EEEvT1_
	.globl	_ZN7rocprim17ROCPRIM_400000_NS6detail17trampoline_kernelINS0_14default_configENS1_20scan_config_selectorIxEEZZNS1_9scan_implILNS1_25lookback_scan_determinismE0ELb1ELb1ES3_N6thrust23THRUST_200600_302600_NS6detail15normal_iteratorINS9_10device_ptrIxEEEESE_xNS9_4plusIxEExEEDaPvRmT3_T4_T5_mT6_P12ihipStream_tbENKUlT_T0_E_clISt17integral_constantIbLb1EESU_EEDaSP_SQ_EUlSP_E0_NS1_11comp_targetILNS1_3genE5ELNS1_11target_archE942ELNS1_3gpuE9ELNS1_3repE0EEENS1_30default_config_static_selectorELNS0_4arch9wavefront6targetE1EEEvT1_
	.p2align	8
	.type	_ZN7rocprim17ROCPRIM_400000_NS6detail17trampoline_kernelINS0_14default_configENS1_20scan_config_selectorIxEEZZNS1_9scan_implILNS1_25lookback_scan_determinismE0ELb1ELb1ES3_N6thrust23THRUST_200600_302600_NS6detail15normal_iteratorINS9_10device_ptrIxEEEESE_xNS9_4plusIxEExEEDaPvRmT3_T4_T5_mT6_P12ihipStream_tbENKUlT_T0_E_clISt17integral_constantIbLb1EESU_EEDaSP_SQ_EUlSP_E0_NS1_11comp_targetILNS1_3genE5ELNS1_11target_archE942ELNS1_3gpuE9ELNS1_3repE0EEENS1_30default_config_static_selectorELNS0_4arch9wavefront6targetE1EEEvT1_,@function
_ZN7rocprim17ROCPRIM_400000_NS6detail17trampoline_kernelINS0_14default_configENS1_20scan_config_selectorIxEEZZNS1_9scan_implILNS1_25lookback_scan_determinismE0ELb1ELb1ES3_N6thrust23THRUST_200600_302600_NS6detail15normal_iteratorINS9_10device_ptrIxEEEESE_xNS9_4plusIxEExEEDaPvRmT3_T4_T5_mT6_P12ihipStream_tbENKUlT_T0_E_clISt17integral_constantIbLb1EESU_EEDaSP_SQ_EUlSP_E0_NS1_11comp_targetILNS1_3genE5ELNS1_11target_archE942ELNS1_3gpuE9ELNS1_3repE0EEENS1_30default_config_static_selectorELNS0_4arch9wavefront6targetE1EEEvT1_: ; @_ZN7rocprim17ROCPRIM_400000_NS6detail17trampoline_kernelINS0_14default_configENS1_20scan_config_selectorIxEEZZNS1_9scan_implILNS1_25lookback_scan_determinismE0ELb1ELb1ES3_N6thrust23THRUST_200600_302600_NS6detail15normal_iteratorINS9_10device_ptrIxEEEESE_xNS9_4plusIxEExEEDaPvRmT3_T4_T5_mT6_P12ihipStream_tbENKUlT_T0_E_clISt17integral_constantIbLb1EESU_EEDaSP_SQ_EUlSP_E0_NS1_11comp_targetILNS1_3genE5ELNS1_11target_archE942ELNS1_3gpuE9ELNS1_3repE0EEENS1_30default_config_static_selectorELNS0_4arch9wavefront6targetE1EEEvT1_
; %bb.0:
	.section	.rodata,"a",@progbits
	.p2align	6, 0x0
	.amdhsa_kernel _ZN7rocprim17ROCPRIM_400000_NS6detail17trampoline_kernelINS0_14default_configENS1_20scan_config_selectorIxEEZZNS1_9scan_implILNS1_25lookback_scan_determinismE0ELb1ELb1ES3_N6thrust23THRUST_200600_302600_NS6detail15normal_iteratorINS9_10device_ptrIxEEEESE_xNS9_4plusIxEExEEDaPvRmT3_T4_T5_mT6_P12ihipStream_tbENKUlT_T0_E_clISt17integral_constantIbLb1EESU_EEDaSP_SQ_EUlSP_E0_NS1_11comp_targetILNS1_3genE5ELNS1_11target_archE942ELNS1_3gpuE9ELNS1_3repE0EEENS1_30default_config_static_selectorELNS0_4arch9wavefront6targetE1EEEvT1_
		.amdhsa_group_segment_fixed_size 0
		.amdhsa_private_segment_fixed_size 0
		.amdhsa_kernarg_size 40
		.amdhsa_user_sgpr_count 6
		.amdhsa_user_sgpr_private_segment_buffer 1
		.amdhsa_user_sgpr_dispatch_ptr 0
		.amdhsa_user_sgpr_queue_ptr 0
		.amdhsa_user_sgpr_kernarg_segment_ptr 1
		.amdhsa_user_sgpr_dispatch_id 0
		.amdhsa_user_sgpr_flat_scratch_init 0
		.amdhsa_user_sgpr_kernarg_preload_length 0
		.amdhsa_user_sgpr_kernarg_preload_offset 0
		.amdhsa_user_sgpr_private_segment_size 0
		.amdhsa_uses_dynamic_stack 0
		.amdhsa_system_sgpr_private_segment_wavefront_offset 0
		.amdhsa_system_sgpr_workgroup_id_x 1
		.amdhsa_system_sgpr_workgroup_id_y 0
		.amdhsa_system_sgpr_workgroup_id_z 0
		.amdhsa_system_sgpr_workgroup_info 0
		.amdhsa_system_vgpr_workitem_id 0
		.amdhsa_next_free_vgpr 1
		.amdhsa_next_free_sgpr 0
		.amdhsa_accum_offset 4
		.amdhsa_reserve_vcc 0
		.amdhsa_reserve_flat_scratch 0
		.amdhsa_float_round_mode_32 0
		.amdhsa_float_round_mode_16_64 0
		.amdhsa_float_denorm_mode_32 3
		.amdhsa_float_denorm_mode_16_64 3
		.amdhsa_dx10_clamp 1
		.amdhsa_ieee_mode 1
		.amdhsa_fp16_overflow 0
		.amdhsa_tg_split 0
		.amdhsa_exception_fp_ieee_invalid_op 0
		.amdhsa_exception_fp_denorm_src 0
		.amdhsa_exception_fp_ieee_div_zero 0
		.amdhsa_exception_fp_ieee_overflow 0
		.amdhsa_exception_fp_ieee_underflow 0
		.amdhsa_exception_fp_ieee_inexact 0
		.amdhsa_exception_int_div_zero 0
	.end_amdhsa_kernel
	.section	.text._ZN7rocprim17ROCPRIM_400000_NS6detail17trampoline_kernelINS0_14default_configENS1_20scan_config_selectorIxEEZZNS1_9scan_implILNS1_25lookback_scan_determinismE0ELb1ELb1ES3_N6thrust23THRUST_200600_302600_NS6detail15normal_iteratorINS9_10device_ptrIxEEEESE_xNS9_4plusIxEExEEDaPvRmT3_T4_T5_mT6_P12ihipStream_tbENKUlT_T0_E_clISt17integral_constantIbLb1EESU_EEDaSP_SQ_EUlSP_E0_NS1_11comp_targetILNS1_3genE5ELNS1_11target_archE942ELNS1_3gpuE9ELNS1_3repE0EEENS1_30default_config_static_selectorELNS0_4arch9wavefront6targetE1EEEvT1_,"axG",@progbits,_ZN7rocprim17ROCPRIM_400000_NS6detail17trampoline_kernelINS0_14default_configENS1_20scan_config_selectorIxEEZZNS1_9scan_implILNS1_25lookback_scan_determinismE0ELb1ELb1ES3_N6thrust23THRUST_200600_302600_NS6detail15normal_iteratorINS9_10device_ptrIxEEEESE_xNS9_4plusIxEExEEDaPvRmT3_T4_T5_mT6_P12ihipStream_tbENKUlT_T0_E_clISt17integral_constantIbLb1EESU_EEDaSP_SQ_EUlSP_E0_NS1_11comp_targetILNS1_3genE5ELNS1_11target_archE942ELNS1_3gpuE9ELNS1_3repE0EEENS1_30default_config_static_selectorELNS0_4arch9wavefront6targetE1EEEvT1_,comdat
.Lfunc_end370:
	.size	_ZN7rocprim17ROCPRIM_400000_NS6detail17trampoline_kernelINS0_14default_configENS1_20scan_config_selectorIxEEZZNS1_9scan_implILNS1_25lookback_scan_determinismE0ELb1ELb1ES3_N6thrust23THRUST_200600_302600_NS6detail15normal_iteratorINS9_10device_ptrIxEEEESE_xNS9_4plusIxEExEEDaPvRmT3_T4_T5_mT6_P12ihipStream_tbENKUlT_T0_E_clISt17integral_constantIbLb1EESU_EEDaSP_SQ_EUlSP_E0_NS1_11comp_targetILNS1_3genE5ELNS1_11target_archE942ELNS1_3gpuE9ELNS1_3repE0EEENS1_30default_config_static_selectorELNS0_4arch9wavefront6targetE1EEEvT1_, .Lfunc_end370-_ZN7rocprim17ROCPRIM_400000_NS6detail17trampoline_kernelINS0_14default_configENS1_20scan_config_selectorIxEEZZNS1_9scan_implILNS1_25lookback_scan_determinismE0ELb1ELb1ES3_N6thrust23THRUST_200600_302600_NS6detail15normal_iteratorINS9_10device_ptrIxEEEESE_xNS9_4plusIxEExEEDaPvRmT3_T4_T5_mT6_P12ihipStream_tbENKUlT_T0_E_clISt17integral_constantIbLb1EESU_EEDaSP_SQ_EUlSP_E0_NS1_11comp_targetILNS1_3genE5ELNS1_11target_archE942ELNS1_3gpuE9ELNS1_3repE0EEENS1_30default_config_static_selectorELNS0_4arch9wavefront6targetE1EEEvT1_
                                        ; -- End function
	.section	.AMDGPU.csdata,"",@progbits
; Kernel info:
; codeLenInByte = 0
; NumSgprs: 4
; NumVgprs: 0
; NumAgprs: 0
; TotalNumVgprs: 0
; ScratchSize: 0
; MemoryBound: 0
; FloatMode: 240
; IeeeMode: 1
; LDSByteSize: 0 bytes/workgroup (compile time only)
; SGPRBlocks: 0
; VGPRBlocks: 0
; NumSGPRsForWavesPerEU: 4
; NumVGPRsForWavesPerEU: 1
; AccumOffset: 4
; Occupancy: 8
; WaveLimiterHint : 0
; COMPUTE_PGM_RSRC2:SCRATCH_EN: 0
; COMPUTE_PGM_RSRC2:USER_SGPR: 6
; COMPUTE_PGM_RSRC2:TRAP_HANDLER: 0
; COMPUTE_PGM_RSRC2:TGID_X_EN: 1
; COMPUTE_PGM_RSRC2:TGID_Y_EN: 0
; COMPUTE_PGM_RSRC2:TGID_Z_EN: 0
; COMPUTE_PGM_RSRC2:TIDIG_COMP_CNT: 0
; COMPUTE_PGM_RSRC3_GFX90A:ACCUM_OFFSET: 0
; COMPUTE_PGM_RSRC3_GFX90A:TG_SPLIT: 0
	.section	.text._ZN7rocprim17ROCPRIM_400000_NS6detail17trampoline_kernelINS0_14default_configENS1_20scan_config_selectorIxEEZZNS1_9scan_implILNS1_25lookback_scan_determinismE0ELb1ELb1ES3_N6thrust23THRUST_200600_302600_NS6detail15normal_iteratorINS9_10device_ptrIxEEEESE_xNS9_4plusIxEExEEDaPvRmT3_T4_T5_mT6_P12ihipStream_tbENKUlT_T0_E_clISt17integral_constantIbLb1EESU_EEDaSP_SQ_EUlSP_E0_NS1_11comp_targetILNS1_3genE4ELNS1_11target_archE910ELNS1_3gpuE8ELNS1_3repE0EEENS1_30default_config_static_selectorELNS0_4arch9wavefront6targetE1EEEvT1_,"axG",@progbits,_ZN7rocprim17ROCPRIM_400000_NS6detail17trampoline_kernelINS0_14default_configENS1_20scan_config_selectorIxEEZZNS1_9scan_implILNS1_25lookback_scan_determinismE0ELb1ELb1ES3_N6thrust23THRUST_200600_302600_NS6detail15normal_iteratorINS9_10device_ptrIxEEEESE_xNS9_4plusIxEExEEDaPvRmT3_T4_T5_mT6_P12ihipStream_tbENKUlT_T0_E_clISt17integral_constantIbLb1EESU_EEDaSP_SQ_EUlSP_E0_NS1_11comp_targetILNS1_3genE4ELNS1_11target_archE910ELNS1_3gpuE8ELNS1_3repE0EEENS1_30default_config_static_selectorELNS0_4arch9wavefront6targetE1EEEvT1_,comdat
	.protected	_ZN7rocprim17ROCPRIM_400000_NS6detail17trampoline_kernelINS0_14default_configENS1_20scan_config_selectorIxEEZZNS1_9scan_implILNS1_25lookback_scan_determinismE0ELb1ELb1ES3_N6thrust23THRUST_200600_302600_NS6detail15normal_iteratorINS9_10device_ptrIxEEEESE_xNS9_4plusIxEExEEDaPvRmT3_T4_T5_mT6_P12ihipStream_tbENKUlT_T0_E_clISt17integral_constantIbLb1EESU_EEDaSP_SQ_EUlSP_E0_NS1_11comp_targetILNS1_3genE4ELNS1_11target_archE910ELNS1_3gpuE8ELNS1_3repE0EEENS1_30default_config_static_selectorELNS0_4arch9wavefront6targetE1EEEvT1_ ; -- Begin function _ZN7rocprim17ROCPRIM_400000_NS6detail17trampoline_kernelINS0_14default_configENS1_20scan_config_selectorIxEEZZNS1_9scan_implILNS1_25lookback_scan_determinismE0ELb1ELb1ES3_N6thrust23THRUST_200600_302600_NS6detail15normal_iteratorINS9_10device_ptrIxEEEESE_xNS9_4plusIxEExEEDaPvRmT3_T4_T5_mT6_P12ihipStream_tbENKUlT_T0_E_clISt17integral_constantIbLb1EESU_EEDaSP_SQ_EUlSP_E0_NS1_11comp_targetILNS1_3genE4ELNS1_11target_archE910ELNS1_3gpuE8ELNS1_3repE0EEENS1_30default_config_static_selectorELNS0_4arch9wavefront6targetE1EEEvT1_
	.globl	_ZN7rocprim17ROCPRIM_400000_NS6detail17trampoline_kernelINS0_14default_configENS1_20scan_config_selectorIxEEZZNS1_9scan_implILNS1_25lookback_scan_determinismE0ELb1ELb1ES3_N6thrust23THRUST_200600_302600_NS6detail15normal_iteratorINS9_10device_ptrIxEEEESE_xNS9_4plusIxEExEEDaPvRmT3_T4_T5_mT6_P12ihipStream_tbENKUlT_T0_E_clISt17integral_constantIbLb1EESU_EEDaSP_SQ_EUlSP_E0_NS1_11comp_targetILNS1_3genE4ELNS1_11target_archE910ELNS1_3gpuE8ELNS1_3repE0EEENS1_30default_config_static_selectorELNS0_4arch9wavefront6targetE1EEEvT1_
	.p2align	8
	.type	_ZN7rocprim17ROCPRIM_400000_NS6detail17trampoline_kernelINS0_14default_configENS1_20scan_config_selectorIxEEZZNS1_9scan_implILNS1_25lookback_scan_determinismE0ELb1ELb1ES3_N6thrust23THRUST_200600_302600_NS6detail15normal_iteratorINS9_10device_ptrIxEEEESE_xNS9_4plusIxEExEEDaPvRmT3_T4_T5_mT6_P12ihipStream_tbENKUlT_T0_E_clISt17integral_constantIbLb1EESU_EEDaSP_SQ_EUlSP_E0_NS1_11comp_targetILNS1_3genE4ELNS1_11target_archE910ELNS1_3gpuE8ELNS1_3repE0EEENS1_30default_config_static_selectorELNS0_4arch9wavefront6targetE1EEEvT1_,@function
_ZN7rocprim17ROCPRIM_400000_NS6detail17trampoline_kernelINS0_14default_configENS1_20scan_config_selectorIxEEZZNS1_9scan_implILNS1_25lookback_scan_determinismE0ELb1ELb1ES3_N6thrust23THRUST_200600_302600_NS6detail15normal_iteratorINS9_10device_ptrIxEEEESE_xNS9_4plusIxEExEEDaPvRmT3_T4_T5_mT6_P12ihipStream_tbENKUlT_T0_E_clISt17integral_constantIbLb1EESU_EEDaSP_SQ_EUlSP_E0_NS1_11comp_targetILNS1_3genE4ELNS1_11target_archE910ELNS1_3gpuE8ELNS1_3repE0EEENS1_30default_config_static_selectorELNS0_4arch9wavefront6targetE1EEEvT1_: ; @_ZN7rocprim17ROCPRIM_400000_NS6detail17trampoline_kernelINS0_14default_configENS1_20scan_config_selectorIxEEZZNS1_9scan_implILNS1_25lookback_scan_determinismE0ELb1ELb1ES3_N6thrust23THRUST_200600_302600_NS6detail15normal_iteratorINS9_10device_ptrIxEEEESE_xNS9_4plusIxEExEEDaPvRmT3_T4_T5_mT6_P12ihipStream_tbENKUlT_T0_E_clISt17integral_constantIbLb1EESU_EEDaSP_SQ_EUlSP_E0_NS1_11comp_targetILNS1_3genE4ELNS1_11target_archE910ELNS1_3gpuE8ELNS1_3repE0EEENS1_30default_config_static_selectorELNS0_4arch9wavefront6targetE1EEEvT1_
; %bb.0:
	s_load_dwordx4 s[16:19], s[4:5], 0x0
	v_lshlrev_b32_e32 v20, 3, v0
	s_waitcnt lgkmcnt(0)
	s_load_dwordx2 s[14:15], s[16:17], 0x0
	v_cmp_gt_u32_e32 vcc, s18, v0
	s_waitcnt lgkmcnt(0)
	v_pk_mov_b32 v[2:3], s[14:15], s[14:15] op_sel:[0,1]
	s_and_saveexec_b64 s[0:1], vcc
	s_cbranch_execz .LBB371_2
; %bb.1:
	global_load_dwordx2 v[2:3], v20, s[16:17]
.LBB371_2:
	s_or_b64 exec, exec, s[0:1]
	v_or_b32_e32 v1, 0x80, v0
	v_cmp_gt_u32_e64 s[0:1], s18, v1
	v_pk_mov_b32 v[4:5], s[14:15], s[14:15] op_sel:[0,1]
	s_and_saveexec_b64 s[2:3], s[0:1]
	s_cbranch_execz .LBB371_4
; %bb.3:
	global_load_dwordx2 v[4:5], v20, s[16:17] offset:1024
.LBB371_4:
	s_or_b64 exec, exec, s[2:3]
	v_or_b32_e32 v1, 0x100, v0
	v_cmp_gt_u32_e64 s[2:3], s18, v1
	v_pk_mov_b32 v[6:7], s[14:15], s[14:15] op_sel:[0,1]
	s_and_saveexec_b64 s[6:7], s[2:3]
	s_cbranch_execz .LBB371_6
; %bb.5:
	global_load_dwordx2 v[6:7], v20, s[16:17] offset:2048
.LBB371_6:
	;; [unrolled: 9-line block ×3, first 2 shown]
	s_or_b64 exec, exec, s[6:7]
	v_or_b32_e32 v1, 0x200, v0
	v_cmp_gt_u32_e64 s[6:7], s18, v1
	v_pk_mov_b32 v[10:11], s[14:15], s[14:15] op_sel:[0,1]
	s_and_saveexec_b64 s[8:9], s[6:7]
	s_cbranch_execz .LBB371_10
; %bb.9:
	v_lshlrev_b32_e32 v1, 3, v1
	global_load_dwordx2 v[10:11], v1, s[16:17]
.LBB371_10:
	s_or_b64 exec, exec, s[8:9]
	v_or_b32_e32 v1, 0x280, v0
	v_cmp_gt_u32_e64 s[8:9], s18, v1
	v_pk_mov_b32 v[12:13], s[14:15], s[14:15] op_sel:[0,1]
	s_and_saveexec_b64 s[10:11], s[8:9]
	s_cbranch_execz .LBB371_12
; %bb.11:
	v_lshlrev_b32_e32 v1, 3, v1
	global_load_dwordx2 v[12:13], v1, s[16:17]
.LBB371_12:
	s_or_b64 exec, exec, s[10:11]
	s_load_dwordx2 s[20:21], s[4:5], 0x10
	v_or_b32_e32 v1, 0x300, v0
	v_cmp_gt_u32_e64 s[10:11], s18, v1
	v_pk_mov_b32 v[14:15], s[14:15], s[14:15] op_sel:[0,1]
	s_and_saveexec_b64 s[14:15], s[10:11]
	s_cbranch_execz .LBB371_14
; %bb.13:
	v_lshlrev_b32_e32 v1, 3, v1
	global_load_dwordx2 v[14:15], v1, s[16:17]
.LBB371_14:
	s_or_b64 exec, exec, s[14:15]
	v_mad_u32_u24 v1, v0, 48, v20
	s_waitcnt vmcnt(0)
	ds_write2st64_b64 v20, v[2:3], v[4:5] offset1:2
	ds_write2st64_b64 v20, v[6:7], v[8:9] offset0:4 offset1:6
	ds_write2st64_b64 v20, v[10:11], v[12:13] offset0:8 offset1:10
	ds_write_b64 v20, v[14:15] offset:6144
	s_waitcnt lgkmcnt(0)
	s_barrier
	ds_read2_b64 v[2:5], v1 offset1:1
	ds_read2_b64 v[6:9], v1 offset0:2 offset1:3
	ds_read2_b64 v[10:13], v1 offset0:4 offset1:5
	ds_read_b64 v[14:15], v1 offset:48
	s_load_dwordx2 s[16:17], s[4:5], 0x20
	s_waitcnt lgkmcnt(0)
	v_add_co_u32_e64 v1, s[4:5], v4, v2
	v_addc_co_u32_e64 v16, s[4:5], v5, v3, s[4:5]
	v_add_co_u32_e64 v1, s[4:5], v1, v6
	v_addc_co_u32_e64 v16, s[4:5], v16, v7, s[4:5]
	;; [unrolled: 2-line block ×5, first 2 shown]
	v_add_co_u32_e64 v18, s[4:5], v1, v14
	v_lshrrev_b32_e32 v1, 2, v0
	v_addc_co_u32_e64 v19, s[4:5], v16, v15, s[4:5]
	v_and_b32_e32 v1, 24, v1
	v_add_u32_e32 v1, v20, v1
	v_cmp_gt_u32_e64 s[4:5], 64, v0
	s_barrier
	ds_write_b64 v1, v[18:19]
	s_waitcnt lgkmcnt(0)
	s_barrier
	s_and_saveexec_b64 s[18:19], s[4:5]
	s_cbranch_execz .LBB371_18
; %bb.15:
	v_lshlrev_b32_e32 v1, 1, v0
	v_lshrrev_b32_e32 v14, 4, v0
	v_add_lshl_u32 v21, v14, v1, 3
	ds_read2_b64 v[14:17], v21 offset1:1
	v_mbcnt_lo_u32_b32 v1, -1, 0
	s_waitcnt lgkmcnt(0)
	v_add_co_u32_e64 v22, s[4:5], v16, v14
	v_addc_co_u32_e64 v23, s[4:5], v17, v15, s[4:5]
	s_nop 0
	v_mov_b32_dpp v16, v22 row_shr:1 row_mask:0xf bank_mask:0xf
	v_add_co_u32_e64 v16, s[4:5], v22, v16
	v_addc_co_u32_e64 v25, s[4:5], 0, v23, s[4:5]
	v_mbcnt_hi_u32_b32 v17, -1, v1
	v_mov_b32_dpp v24, v23 row_shr:1 row_mask:0xf bank_mask:0xf
	v_add_co_u32_e64 v26, s[4:5], 0, v16
	v_and_b32_e32 v1, 15, v17
	v_addc_co_u32_e64 v24, s[4:5], v24, v25, s[4:5]
	v_cmp_eq_u32_e64 s[4:5], 0, v1
	v_cndmask_b32_e64 v16, v16, v22, s[4:5]
	v_cndmask_b32_e64 v24, v24, v23, s[4:5]
	v_cndmask_b32_e64 v25, v26, v22, s[4:5]
	v_mov_b32_dpp v26, v16 row_shr:2 row_mask:0xf bank_mask:0xf
	v_mov_b32_dpp v27, v24 row_shr:2 row_mask:0xf bank_mask:0xf
	v_add_co_u32_e64 v26, s[4:5], v26, v25
	v_addc_co_u32_e64 v27, s[4:5], v27, v24, s[4:5]
	v_cmp_lt_u32_e64 s[4:5], 1, v1
	v_cndmask_b32_e64 v16, v16, v26, s[4:5]
	v_cndmask_b32_e64 v24, v24, v27, s[4:5]
	v_cndmask_b32_e64 v25, v25, v26, s[4:5]
	v_mov_b32_dpp v26, v16 row_shr:4 row_mask:0xf bank_mask:0xf
	v_mov_b32_dpp v27, v24 row_shr:4 row_mask:0xf bank_mask:0xf
	v_add_co_u32_e64 v26, s[4:5], v26, v25
	v_addc_co_u32_e64 v27, s[4:5], v27, v24, s[4:5]
	v_cmp_lt_u32_e64 s[4:5], 3, v1
	v_cndmask_b32_e64 v16, v16, v26, s[4:5]
	v_cndmask_b32_e64 v24, v24, v27, s[4:5]
	v_cndmask_b32_e64 v25, v25, v26, s[4:5]
	v_mov_b32_dpp v26, v16 row_shr:8 row_mask:0xf bank_mask:0xf
	v_mov_b32_dpp v27, v24 row_shr:8 row_mask:0xf bank_mask:0xf
	v_add_co_u32_e64 v26, s[4:5], v26, v25
	v_addc_co_u32_e64 v27, s[4:5], v27, v24, s[4:5]
	v_cmp_lt_u32_e64 s[4:5], 7, v1
	v_cndmask_b32_e64 v28, v16, v26, s[4:5]
	v_cndmask_b32_e64 v1, v24, v27, s[4:5]
	;; [unrolled: 1-line block ×3, first 2 shown]
	v_mov_b32_dpp v24, v28 row_bcast:15 row_mask:0xf bank_mask:0xf
	v_mov_b32_dpp v25, v1 row_bcast:15 row_mask:0xf bank_mask:0xf
	v_add_co_u32_e64 v24, s[4:5], v24, v16
	v_and_b32_e32 v27, 16, v17
	v_addc_co_u32_e64 v26, s[4:5], v25, v1, s[4:5]
	v_cmp_eq_u32_e64 s[4:5], 0, v27
	v_cndmask_b32_e64 v27, v26, v1, s[4:5]
	v_cndmask_b32_e64 v25, v24, v28, s[4:5]
	v_cmp_ne_u32_e64 s[14:15], 0, v17
	v_mov_b32_dpp v27, v27 row_bcast:31 row_mask:0xf bank_mask:0xf
	v_mov_b32_dpp v25, v25 row_bcast:31 row_mask:0xf bank_mask:0xf
	s_and_saveexec_b64 s[22:23], s[14:15]
; %bb.16:
	v_cndmask_b32_e64 v1, v26, v1, s[4:5]
	v_cndmask_b32_e64 v16, v24, v16, s[4:5]
	v_cmp_lt_u32_e64 s[4:5], 31, v17
	v_cndmask_b32_e64 v22, 0, v25, s[4:5]
	v_cndmask_b32_e64 v23, 0, v27, s[4:5]
	v_add_co_u32_e64 v22, s[4:5], v22, v16
	v_addc_co_u32_e64 v23, s[4:5], v23, v1, s[4:5]
; %bb.17:
	s_or_b64 exec, exec, s[22:23]
	v_add_u32_e32 v1, -1, v17
	v_and_b32_e32 v16, 64, v17
	v_cmp_lt_i32_e64 s[4:5], v1, v16
	v_cndmask_b32_e64 v1, v1, v17, s[4:5]
	v_lshlrev_b32_e32 v1, 2, v1
	ds_bpermute_b32 v16, v1, v22
	ds_bpermute_b32 v1, v1, v23
	; wave barrier
	s_waitcnt lgkmcnt(1)
	v_add_co_u32_e64 v14, s[4:5], v14, v16
	v_addc_co_u32_e64 v15, s[4:5], 0, v15, s[4:5]
	v_add_co_u32_e64 v14, s[4:5], 0, v14
	s_waitcnt lgkmcnt(0)
	v_addc_co_u32_e64 v1, s[4:5], v15, v1, s[4:5]
	v_cmp_eq_u32_e64 s[4:5], 0, v0
	v_cndmask_b32_e64 v15, v1, v19, s[4:5]
	v_cndmask_b32_e64 v14, v14, v18, s[4:5]
	ds_write_b64 v21, v[14:15]
	; wave barrier
	ds_read_b64 v[16:17], v21 offset:8
	s_waitcnt lgkmcnt(0)
	v_add_co_u32_e64 v14, s[4:5], v16, v14
	v_addc_co_u32_e64 v15, s[4:5], v17, v15, s[4:5]
	ds_write_b64 v21, v[14:15] offset:8
.LBB371_18:
	s_or_b64 exec, exec, s[18:19]
	v_mul_u32_u24_e32 v1, 48, v0
	v_cmp_ne_u32_e64 s[4:5], 0, v0
	v_pk_mov_b32 v[14:15], s[20:21], s[20:21] op_sel:[0,1]
	s_waitcnt lgkmcnt(0)
	s_barrier
	s_and_saveexec_b64 s[14:15], s[4:5]
	s_cbranch_execz .LBB371_20
; %bb.19:
	v_add_u32_e32 v0, -1, v0
	v_lshrrev_b32_e32 v14, 5, v0
	v_add_lshl_u32 v0, v14, v0, 3
	ds_read_b64 v[14:15], v0
	v_mov_b32_e32 v0, s21
	s_waitcnt lgkmcnt(0)
	v_add_co_u32_e64 v14, s[4:5], s20, v14
	v_addc_co_u32_e64 v15, s[4:5], v15, v0, s[4:5]
.LBB371_20:
	s_or_b64 exec, exec, s[14:15]
	v_add_co_u32_e64 v2, s[4:5], v14, v2
	v_addc_co_u32_e64 v3, s[4:5], v15, v3, s[4:5]
	v_add_co_u32_e64 v4, s[4:5], v2, v4
	v_addc_co_u32_e64 v5, s[4:5], v3, v5, s[4:5]
	;; [unrolled: 2-line block ×5, first 2 shown]
	v_add_co_u32_e64 v12, s[4:5], v10, v12
	v_add_u32_e32 v0, v20, v1
	v_addc_co_u32_e64 v13, s[4:5], v11, v13, s[4:5]
	s_barrier
	ds_write2_b64 v0, v[14:15], v[2:3] offset1:1
	ds_write2_b64 v0, v[4:5], v[6:7] offset0:2 offset1:3
	ds_write2_b64 v0, v[8:9], v[10:11] offset0:4 offset1:5
	ds_write_b64 v0, v[12:13] offset:48
	s_waitcnt lgkmcnt(0)
	s_barrier
	ds_read2st64_b64 v[8:11], v20 offset0:2 offset1:4
	ds_read2st64_b64 v[4:7], v20 offset0:6 offset1:8
	;; [unrolled: 1-line block ×3, first 2 shown]
	v_mov_b32_e32 v13, s17
	v_add_co_u32_e64 v12, s[4:5], s16, v20
	v_addc_co_u32_e64 v13, s[4:5], 0, v13, s[4:5]
	s_and_saveexec_b64 s[4:5], vcc
	s_cbranch_execnz .LBB371_28
; %bb.21:
	s_or_b64 exec, exec, s[4:5]
	s_and_saveexec_b64 s[4:5], s[0:1]
	s_cbranch_execnz .LBB371_29
.LBB371_22:
	s_or_b64 exec, exec, s[4:5]
	s_and_saveexec_b64 s[0:1], s[2:3]
	s_cbranch_execnz .LBB371_30
.LBB371_23:
	s_or_b64 exec, exec, s[0:1]
	s_and_saveexec_b64 s[0:1], s[12:13]
	s_cbranch_execnz .LBB371_31
.LBB371_24:
	s_or_b64 exec, exec, s[0:1]
	s_and_saveexec_b64 s[0:1], s[6:7]
	s_cbranch_execnz .LBB371_32
.LBB371_25:
	s_or_b64 exec, exec, s[0:1]
	s_and_saveexec_b64 s[0:1], s[8:9]
	s_cbranch_execnz .LBB371_33
.LBB371_26:
	s_or_b64 exec, exec, s[0:1]
	s_and_saveexec_b64 s[0:1], s[10:11]
	s_cbranch_execnz .LBB371_34
.LBB371_27:
	s_endpgm
.LBB371_28:
	ds_read_b64 v[14:15], v20
	s_waitcnt lgkmcnt(0)
	global_store_dwordx2 v[12:13], v[14:15], off
	s_or_b64 exec, exec, s[4:5]
	s_and_saveexec_b64 s[4:5], s[0:1]
	s_cbranch_execz .LBB371_22
.LBB371_29:
	s_waitcnt lgkmcnt(2)
	global_store_dwordx2 v[12:13], v[8:9], off offset:1024
	s_or_b64 exec, exec, s[4:5]
	s_and_saveexec_b64 s[0:1], s[2:3]
	s_cbranch_execz .LBB371_23
.LBB371_30:
	s_waitcnt lgkmcnt(2)
	global_store_dwordx2 v[12:13], v[10:11], off offset:2048
	s_or_b64 exec, exec, s[0:1]
	s_and_saveexec_b64 s[0:1], s[12:13]
	s_cbranch_execz .LBB371_24
.LBB371_31:
	s_waitcnt lgkmcnt(1)
	global_store_dwordx2 v[12:13], v[4:5], off offset:3072
	s_or_b64 exec, exec, s[0:1]
	s_and_saveexec_b64 s[0:1], s[6:7]
	s_cbranch_execz .LBB371_25
.LBB371_32:
	s_waitcnt lgkmcnt(1)
	v_add_co_u32_e32 v4, vcc, 0x1000, v12
	v_addc_co_u32_e32 v5, vcc, 0, v13, vcc
	global_store_dwordx2 v[4:5], v[6:7], off
	s_or_b64 exec, exec, s[0:1]
	s_and_saveexec_b64 s[0:1], s[8:9]
	s_cbranch_execz .LBB371_26
.LBB371_33:
	s_waitcnt lgkmcnt(1)
	v_add_co_u32_e32 v4, vcc, 0x1000, v12
	v_addc_co_u32_e32 v5, vcc, 0, v13, vcc
	s_waitcnt lgkmcnt(0)
	global_store_dwordx2 v[4:5], v[0:1], off offset:1024
	s_or_b64 exec, exec, s[0:1]
	s_and_saveexec_b64 s[0:1], s[10:11]
	s_cbranch_execz .LBB371_27
.LBB371_34:
	s_waitcnt lgkmcnt(0)
	v_add_co_u32_e32 v0, vcc, 0x1000, v12
	v_addc_co_u32_e32 v1, vcc, 0, v13, vcc
	global_store_dwordx2 v[0:1], v[2:3], off offset:2048
	s_endpgm
	.section	.rodata,"a",@progbits
	.p2align	6, 0x0
	.amdhsa_kernel _ZN7rocprim17ROCPRIM_400000_NS6detail17trampoline_kernelINS0_14default_configENS1_20scan_config_selectorIxEEZZNS1_9scan_implILNS1_25lookback_scan_determinismE0ELb1ELb1ES3_N6thrust23THRUST_200600_302600_NS6detail15normal_iteratorINS9_10device_ptrIxEEEESE_xNS9_4plusIxEExEEDaPvRmT3_T4_T5_mT6_P12ihipStream_tbENKUlT_T0_E_clISt17integral_constantIbLb1EESU_EEDaSP_SQ_EUlSP_E0_NS1_11comp_targetILNS1_3genE4ELNS1_11target_archE910ELNS1_3gpuE8ELNS1_3repE0EEENS1_30default_config_static_selectorELNS0_4arch9wavefront6targetE1EEEvT1_
		.amdhsa_group_segment_fixed_size 7168
		.amdhsa_private_segment_fixed_size 0
		.amdhsa_kernarg_size 40
		.amdhsa_user_sgpr_count 6
		.amdhsa_user_sgpr_private_segment_buffer 1
		.amdhsa_user_sgpr_dispatch_ptr 0
		.amdhsa_user_sgpr_queue_ptr 0
		.amdhsa_user_sgpr_kernarg_segment_ptr 1
		.amdhsa_user_sgpr_dispatch_id 0
		.amdhsa_user_sgpr_flat_scratch_init 0
		.amdhsa_user_sgpr_kernarg_preload_length 0
		.amdhsa_user_sgpr_kernarg_preload_offset 0
		.amdhsa_user_sgpr_private_segment_size 0
		.amdhsa_uses_dynamic_stack 0
		.amdhsa_system_sgpr_private_segment_wavefront_offset 0
		.amdhsa_system_sgpr_workgroup_id_x 1
		.amdhsa_system_sgpr_workgroup_id_y 0
		.amdhsa_system_sgpr_workgroup_id_z 0
		.amdhsa_system_sgpr_workgroup_info 0
		.amdhsa_system_vgpr_workitem_id 0
		.amdhsa_next_free_vgpr 29
		.amdhsa_next_free_sgpr 24
		.amdhsa_accum_offset 32
		.amdhsa_reserve_vcc 1
		.amdhsa_reserve_flat_scratch 0
		.amdhsa_float_round_mode_32 0
		.amdhsa_float_round_mode_16_64 0
		.amdhsa_float_denorm_mode_32 3
		.amdhsa_float_denorm_mode_16_64 3
		.amdhsa_dx10_clamp 1
		.amdhsa_ieee_mode 1
		.amdhsa_fp16_overflow 0
		.amdhsa_tg_split 0
		.amdhsa_exception_fp_ieee_invalid_op 0
		.amdhsa_exception_fp_denorm_src 0
		.amdhsa_exception_fp_ieee_div_zero 0
		.amdhsa_exception_fp_ieee_overflow 0
		.amdhsa_exception_fp_ieee_underflow 0
		.amdhsa_exception_fp_ieee_inexact 0
		.amdhsa_exception_int_div_zero 0
	.end_amdhsa_kernel
	.section	.text._ZN7rocprim17ROCPRIM_400000_NS6detail17trampoline_kernelINS0_14default_configENS1_20scan_config_selectorIxEEZZNS1_9scan_implILNS1_25lookback_scan_determinismE0ELb1ELb1ES3_N6thrust23THRUST_200600_302600_NS6detail15normal_iteratorINS9_10device_ptrIxEEEESE_xNS9_4plusIxEExEEDaPvRmT3_T4_T5_mT6_P12ihipStream_tbENKUlT_T0_E_clISt17integral_constantIbLb1EESU_EEDaSP_SQ_EUlSP_E0_NS1_11comp_targetILNS1_3genE4ELNS1_11target_archE910ELNS1_3gpuE8ELNS1_3repE0EEENS1_30default_config_static_selectorELNS0_4arch9wavefront6targetE1EEEvT1_,"axG",@progbits,_ZN7rocprim17ROCPRIM_400000_NS6detail17trampoline_kernelINS0_14default_configENS1_20scan_config_selectorIxEEZZNS1_9scan_implILNS1_25lookback_scan_determinismE0ELb1ELb1ES3_N6thrust23THRUST_200600_302600_NS6detail15normal_iteratorINS9_10device_ptrIxEEEESE_xNS9_4plusIxEExEEDaPvRmT3_T4_T5_mT6_P12ihipStream_tbENKUlT_T0_E_clISt17integral_constantIbLb1EESU_EEDaSP_SQ_EUlSP_E0_NS1_11comp_targetILNS1_3genE4ELNS1_11target_archE910ELNS1_3gpuE8ELNS1_3repE0EEENS1_30default_config_static_selectorELNS0_4arch9wavefront6targetE1EEEvT1_,comdat
.Lfunc_end371:
	.size	_ZN7rocprim17ROCPRIM_400000_NS6detail17trampoline_kernelINS0_14default_configENS1_20scan_config_selectorIxEEZZNS1_9scan_implILNS1_25lookback_scan_determinismE0ELb1ELb1ES3_N6thrust23THRUST_200600_302600_NS6detail15normal_iteratorINS9_10device_ptrIxEEEESE_xNS9_4plusIxEExEEDaPvRmT3_T4_T5_mT6_P12ihipStream_tbENKUlT_T0_E_clISt17integral_constantIbLb1EESU_EEDaSP_SQ_EUlSP_E0_NS1_11comp_targetILNS1_3genE4ELNS1_11target_archE910ELNS1_3gpuE8ELNS1_3repE0EEENS1_30default_config_static_selectorELNS0_4arch9wavefront6targetE1EEEvT1_, .Lfunc_end371-_ZN7rocprim17ROCPRIM_400000_NS6detail17trampoline_kernelINS0_14default_configENS1_20scan_config_selectorIxEEZZNS1_9scan_implILNS1_25lookback_scan_determinismE0ELb1ELb1ES3_N6thrust23THRUST_200600_302600_NS6detail15normal_iteratorINS9_10device_ptrIxEEEESE_xNS9_4plusIxEExEEDaPvRmT3_T4_T5_mT6_P12ihipStream_tbENKUlT_T0_E_clISt17integral_constantIbLb1EESU_EEDaSP_SQ_EUlSP_E0_NS1_11comp_targetILNS1_3genE4ELNS1_11target_archE910ELNS1_3gpuE8ELNS1_3repE0EEENS1_30default_config_static_selectorELNS0_4arch9wavefront6targetE1EEEvT1_
                                        ; -- End function
	.section	.AMDGPU.csdata,"",@progbits
; Kernel info:
; codeLenInByte = 1796
; NumSgprs: 28
; NumVgprs: 29
; NumAgprs: 0
; TotalNumVgprs: 29
; ScratchSize: 0
; MemoryBound: 0
; FloatMode: 240
; IeeeMode: 1
; LDSByteSize: 7168 bytes/workgroup (compile time only)
; SGPRBlocks: 3
; VGPRBlocks: 3
; NumSGPRsForWavesPerEU: 28
; NumVGPRsForWavesPerEU: 29
; AccumOffset: 32
; Occupancy: 5
; WaveLimiterHint : 0
; COMPUTE_PGM_RSRC2:SCRATCH_EN: 0
; COMPUTE_PGM_RSRC2:USER_SGPR: 6
; COMPUTE_PGM_RSRC2:TRAP_HANDLER: 0
; COMPUTE_PGM_RSRC2:TGID_X_EN: 1
; COMPUTE_PGM_RSRC2:TGID_Y_EN: 0
; COMPUTE_PGM_RSRC2:TGID_Z_EN: 0
; COMPUTE_PGM_RSRC2:TIDIG_COMP_CNT: 0
; COMPUTE_PGM_RSRC3_GFX90A:ACCUM_OFFSET: 7
; COMPUTE_PGM_RSRC3_GFX90A:TG_SPLIT: 0
	.section	.text._ZN7rocprim17ROCPRIM_400000_NS6detail17trampoline_kernelINS0_14default_configENS1_20scan_config_selectorIxEEZZNS1_9scan_implILNS1_25lookback_scan_determinismE0ELb1ELb1ES3_N6thrust23THRUST_200600_302600_NS6detail15normal_iteratorINS9_10device_ptrIxEEEESE_xNS9_4plusIxEExEEDaPvRmT3_T4_T5_mT6_P12ihipStream_tbENKUlT_T0_E_clISt17integral_constantIbLb1EESU_EEDaSP_SQ_EUlSP_E0_NS1_11comp_targetILNS1_3genE3ELNS1_11target_archE908ELNS1_3gpuE7ELNS1_3repE0EEENS1_30default_config_static_selectorELNS0_4arch9wavefront6targetE1EEEvT1_,"axG",@progbits,_ZN7rocprim17ROCPRIM_400000_NS6detail17trampoline_kernelINS0_14default_configENS1_20scan_config_selectorIxEEZZNS1_9scan_implILNS1_25lookback_scan_determinismE0ELb1ELb1ES3_N6thrust23THRUST_200600_302600_NS6detail15normal_iteratorINS9_10device_ptrIxEEEESE_xNS9_4plusIxEExEEDaPvRmT3_T4_T5_mT6_P12ihipStream_tbENKUlT_T0_E_clISt17integral_constantIbLb1EESU_EEDaSP_SQ_EUlSP_E0_NS1_11comp_targetILNS1_3genE3ELNS1_11target_archE908ELNS1_3gpuE7ELNS1_3repE0EEENS1_30default_config_static_selectorELNS0_4arch9wavefront6targetE1EEEvT1_,comdat
	.protected	_ZN7rocprim17ROCPRIM_400000_NS6detail17trampoline_kernelINS0_14default_configENS1_20scan_config_selectorIxEEZZNS1_9scan_implILNS1_25lookback_scan_determinismE0ELb1ELb1ES3_N6thrust23THRUST_200600_302600_NS6detail15normal_iteratorINS9_10device_ptrIxEEEESE_xNS9_4plusIxEExEEDaPvRmT3_T4_T5_mT6_P12ihipStream_tbENKUlT_T0_E_clISt17integral_constantIbLb1EESU_EEDaSP_SQ_EUlSP_E0_NS1_11comp_targetILNS1_3genE3ELNS1_11target_archE908ELNS1_3gpuE7ELNS1_3repE0EEENS1_30default_config_static_selectorELNS0_4arch9wavefront6targetE1EEEvT1_ ; -- Begin function _ZN7rocprim17ROCPRIM_400000_NS6detail17trampoline_kernelINS0_14default_configENS1_20scan_config_selectorIxEEZZNS1_9scan_implILNS1_25lookback_scan_determinismE0ELb1ELb1ES3_N6thrust23THRUST_200600_302600_NS6detail15normal_iteratorINS9_10device_ptrIxEEEESE_xNS9_4plusIxEExEEDaPvRmT3_T4_T5_mT6_P12ihipStream_tbENKUlT_T0_E_clISt17integral_constantIbLb1EESU_EEDaSP_SQ_EUlSP_E0_NS1_11comp_targetILNS1_3genE3ELNS1_11target_archE908ELNS1_3gpuE7ELNS1_3repE0EEENS1_30default_config_static_selectorELNS0_4arch9wavefront6targetE1EEEvT1_
	.globl	_ZN7rocprim17ROCPRIM_400000_NS6detail17trampoline_kernelINS0_14default_configENS1_20scan_config_selectorIxEEZZNS1_9scan_implILNS1_25lookback_scan_determinismE0ELb1ELb1ES3_N6thrust23THRUST_200600_302600_NS6detail15normal_iteratorINS9_10device_ptrIxEEEESE_xNS9_4plusIxEExEEDaPvRmT3_T4_T5_mT6_P12ihipStream_tbENKUlT_T0_E_clISt17integral_constantIbLb1EESU_EEDaSP_SQ_EUlSP_E0_NS1_11comp_targetILNS1_3genE3ELNS1_11target_archE908ELNS1_3gpuE7ELNS1_3repE0EEENS1_30default_config_static_selectorELNS0_4arch9wavefront6targetE1EEEvT1_
	.p2align	8
	.type	_ZN7rocprim17ROCPRIM_400000_NS6detail17trampoline_kernelINS0_14default_configENS1_20scan_config_selectorIxEEZZNS1_9scan_implILNS1_25lookback_scan_determinismE0ELb1ELb1ES3_N6thrust23THRUST_200600_302600_NS6detail15normal_iteratorINS9_10device_ptrIxEEEESE_xNS9_4plusIxEExEEDaPvRmT3_T4_T5_mT6_P12ihipStream_tbENKUlT_T0_E_clISt17integral_constantIbLb1EESU_EEDaSP_SQ_EUlSP_E0_NS1_11comp_targetILNS1_3genE3ELNS1_11target_archE908ELNS1_3gpuE7ELNS1_3repE0EEENS1_30default_config_static_selectorELNS0_4arch9wavefront6targetE1EEEvT1_,@function
_ZN7rocprim17ROCPRIM_400000_NS6detail17trampoline_kernelINS0_14default_configENS1_20scan_config_selectorIxEEZZNS1_9scan_implILNS1_25lookback_scan_determinismE0ELb1ELb1ES3_N6thrust23THRUST_200600_302600_NS6detail15normal_iteratorINS9_10device_ptrIxEEEESE_xNS9_4plusIxEExEEDaPvRmT3_T4_T5_mT6_P12ihipStream_tbENKUlT_T0_E_clISt17integral_constantIbLb1EESU_EEDaSP_SQ_EUlSP_E0_NS1_11comp_targetILNS1_3genE3ELNS1_11target_archE908ELNS1_3gpuE7ELNS1_3repE0EEENS1_30default_config_static_selectorELNS0_4arch9wavefront6targetE1EEEvT1_: ; @_ZN7rocprim17ROCPRIM_400000_NS6detail17trampoline_kernelINS0_14default_configENS1_20scan_config_selectorIxEEZZNS1_9scan_implILNS1_25lookback_scan_determinismE0ELb1ELb1ES3_N6thrust23THRUST_200600_302600_NS6detail15normal_iteratorINS9_10device_ptrIxEEEESE_xNS9_4plusIxEExEEDaPvRmT3_T4_T5_mT6_P12ihipStream_tbENKUlT_T0_E_clISt17integral_constantIbLb1EESU_EEDaSP_SQ_EUlSP_E0_NS1_11comp_targetILNS1_3genE3ELNS1_11target_archE908ELNS1_3gpuE7ELNS1_3repE0EEENS1_30default_config_static_selectorELNS0_4arch9wavefront6targetE1EEEvT1_
; %bb.0:
	.section	.rodata,"a",@progbits
	.p2align	6, 0x0
	.amdhsa_kernel _ZN7rocprim17ROCPRIM_400000_NS6detail17trampoline_kernelINS0_14default_configENS1_20scan_config_selectorIxEEZZNS1_9scan_implILNS1_25lookback_scan_determinismE0ELb1ELb1ES3_N6thrust23THRUST_200600_302600_NS6detail15normal_iteratorINS9_10device_ptrIxEEEESE_xNS9_4plusIxEExEEDaPvRmT3_T4_T5_mT6_P12ihipStream_tbENKUlT_T0_E_clISt17integral_constantIbLb1EESU_EEDaSP_SQ_EUlSP_E0_NS1_11comp_targetILNS1_3genE3ELNS1_11target_archE908ELNS1_3gpuE7ELNS1_3repE0EEENS1_30default_config_static_selectorELNS0_4arch9wavefront6targetE1EEEvT1_
		.amdhsa_group_segment_fixed_size 0
		.amdhsa_private_segment_fixed_size 0
		.amdhsa_kernarg_size 40
		.amdhsa_user_sgpr_count 6
		.amdhsa_user_sgpr_private_segment_buffer 1
		.amdhsa_user_sgpr_dispatch_ptr 0
		.amdhsa_user_sgpr_queue_ptr 0
		.amdhsa_user_sgpr_kernarg_segment_ptr 1
		.amdhsa_user_sgpr_dispatch_id 0
		.amdhsa_user_sgpr_flat_scratch_init 0
		.amdhsa_user_sgpr_kernarg_preload_length 0
		.amdhsa_user_sgpr_kernarg_preload_offset 0
		.amdhsa_user_sgpr_private_segment_size 0
		.amdhsa_uses_dynamic_stack 0
		.amdhsa_system_sgpr_private_segment_wavefront_offset 0
		.amdhsa_system_sgpr_workgroup_id_x 1
		.amdhsa_system_sgpr_workgroup_id_y 0
		.amdhsa_system_sgpr_workgroup_id_z 0
		.amdhsa_system_sgpr_workgroup_info 0
		.amdhsa_system_vgpr_workitem_id 0
		.amdhsa_next_free_vgpr 1
		.amdhsa_next_free_sgpr 0
		.amdhsa_accum_offset 4
		.amdhsa_reserve_vcc 0
		.amdhsa_reserve_flat_scratch 0
		.amdhsa_float_round_mode_32 0
		.amdhsa_float_round_mode_16_64 0
		.amdhsa_float_denorm_mode_32 3
		.amdhsa_float_denorm_mode_16_64 3
		.amdhsa_dx10_clamp 1
		.amdhsa_ieee_mode 1
		.amdhsa_fp16_overflow 0
		.amdhsa_tg_split 0
		.amdhsa_exception_fp_ieee_invalid_op 0
		.amdhsa_exception_fp_denorm_src 0
		.amdhsa_exception_fp_ieee_div_zero 0
		.amdhsa_exception_fp_ieee_overflow 0
		.amdhsa_exception_fp_ieee_underflow 0
		.amdhsa_exception_fp_ieee_inexact 0
		.amdhsa_exception_int_div_zero 0
	.end_amdhsa_kernel
	.section	.text._ZN7rocprim17ROCPRIM_400000_NS6detail17trampoline_kernelINS0_14default_configENS1_20scan_config_selectorIxEEZZNS1_9scan_implILNS1_25lookback_scan_determinismE0ELb1ELb1ES3_N6thrust23THRUST_200600_302600_NS6detail15normal_iteratorINS9_10device_ptrIxEEEESE_xNS9_4plusIxEExEEDaPvRmT3_T4_T5_mT6_P12ihipStream_tbENKUlT_T0_E_clISt17integral_constantIbLb1EESU_EEDaSP_SQ_EUlSP_E0_NS1_11comp_targetILNS1_3genE3ELNS1_11target_archE908ELNS1_3gpuE7ELNS1_3repE0EEENS1_30default_config_static_selectorELNS0_4arch9wavefront6targetE1EEEvT1_,"axG",@progbits,_ZN7rocprim17ROCPRIM_400000_NS6detail17trampoline_kernelINS0_14default_configENS1_20scan_config_selectorIxEEZZNS1_9scan_implILNS1_25lookback_scan_determinismE0ELb1ELb1ES3_N6thrust23THRUST_200600_302600_NS6detail15normal_iteratorINS9_10device_ptrIxEEEESE_xNS9_4plusIxEExEEDaPvRmT3_T4_T5_mT6_P12ihipStream_tbENKUlT_T0_E_clISt17integral_constantIbLb1EESU_EEDaSP_SQ_EUlSP_E0_NS1_11comp_targetILNS1_3genE3ELNS1_11target_archE908ELNS1_3gpuE7ELNS1_3repE0EEENS1_30default_config_static_selectorELNS0_4arch9wavefront6targetE1EEEvT1_,comdat
.Lfunc_end372:
	.size	_ZN7rocprim17ROCPRIM_400000_NS6detail17trampoline_kernelINS0_14default_configENS1_20scan_config_selectorIxEEZZNS1_9scan_implILNS1_25lookback_scan_determinismE0ELb1ELb1ES3_N6thrust23THRUST_200600_302600_NS6detail15normal_iteratorINS9_10device_ptrIxEEEESE_xNS9_4plusIxEExEEDaPvRmT3_T4_T5_mT6_P12ihipStream_tbENKUlT_T0_E_clISt17integral_constantIbLb1EESU_EEDaSP_SQ_EUlSP_E0_NS1_11comp_targetILNS1_3genE3ELNS1_11target_archE908ELNS1_3gpuE7ELNS1_3repE0EEENS1_30default_config_static_selectorELNS0_4arch9wavefront6targetE1EEEvT1_, .Lfunc_end372-_ZN7rocprim17ROCPRIM_400000_NS6detail17trampoline_kernelINS0_14default_configENS1_20scan_config_selectorIxEEZZNS1_9scan_implILNS1_25lookback_scan_determinismE0ELb1ELb1ES3_N6thrust23THRUST_200600_302600_NS6detail15normal_iteratorINS9_10device_ptrIxEEEESE_xNS9_4plusIxEExEEDaPvRmT3_T4_T5_mT6_P12ihipStream_tbENKUlT_T0_E_clISt17integral_constantIbLb1EESU_EEDaSP_SQ_EUlSP_E0_NS1_11comp_targetILNS1_3genE3ELNS1_11target_archE908ELNS1_3gpuE7ELNS1_3repE0EEENS1_30default_config_static_selectorELNS0_4arch9wavefront6targetE1EEEvT1_
                                        ; -- End function
	.section	.AMDGPU.csdata,"",@progbits
; Kernel info:
; codeLenInByte = 0
; NumSgprs: 4
; NumVgprs: 0
; NumAgprs: 0
; TotalNumVgprs: 0
; ScratchSize: 0
; MemoryBound: 0
; FloatMode: 240
; IeeeMode: 1
; LDSByteSize: 0 bytes/workgroup (compile time only)
; SGPRBlocks: 0
; VGPRBlocks: 0
; NumSGPRsForWavesPerEU: 4
; NumVGPRsForWavesPerEU: 1
; AccumOffset: 4
; Occupancy: 8
; WaveLimiterHint : 0
; COMPUTE_PGM_RSRC2:SCRATCH_EN: 0
; COMPUTE_PGM_RSRC2:USER_SGPR: 6
; COMPUTE_PGM_RSRC2:TRAP_HANDLER: 0
; COMPUTE_PGM_RSRC2:TGID_X_EN: 1
; COMPUTE_PGM_RSRC2:TGID_Y_EN: 0
; COMPUTE_PGM_RSRC2:TGID_Z_EN: 0
; COMPUTE_PGM_RSRC2:TIDIG_COMP_CNT: 0
; COMPUTE_PGM_RSRC3_GFX90A:ACCUM_OFFSET: 0
; COMPUTE_PGM_RSRC3_GFX90A:TG_SPLIT: 0
	.section	.text._ZN7rocprim17ROCPRIM_400000_NS6detail17trampoline_kernelINS0_14default_configENS1_20scan_config_selectorIxEEZZNS1_9scan_implILNS1_25lookback_scan_determinismE0ELb1ELb1ES3_N6thrust23THRUST_200600_302600_NS6detail15normal_iteratorINS9_10device_ptrIxEEEESE_xNS9_4plusIxEExEEDaPvRmT3_T4_T5_mT6_P12ihipStream_tbENKUlT_T0_E_clISt17integral_constantIbLb1EESU_EEDaSP_SQ_EUlSP_E0_NS1_11comp_targetILNS1_3genE2ELNS1_11target_archE906ELNS1_3gpuE6ELNS1_3repE0EEENS1_30default_config_static_selectorELNS0_4arch9wavefront6targetE1EEEvT1_,"axG",@progbits,_ZN7rocprim17ROCPRIM_400000_NS6detail17trampoline_kernelINS0_14default_configENS1_20scan_config_selectorIxEEZZNS1_9scan_implILNS1_25lookback_scan_determinismE0ELb1ELb1ES3_N6thrust23THRUST_200600_302600_NS6detail15normal_iteratorINS9_10device_ptrIxEEEESE_xNS9_4plusIxEExEEDaPvRmT3_T4_T5_mT6_P12ihipStream_tbENKUlT_T0_E_clISt17integral_constantIbLb1EESU_EEDaSP_SQ_EUlSP_E0_NS1_11comp_targetILNS1_3genE2ELNS1_11target_archE906ELNS1_3gpuE6ELNS1_3repE0EEENS1_30default_config_static_selectorELNS0_4arch9wavefront6targetE1EEEvT1_,comdat
	.protected	_ZN7rocprim17ROCPRIM_400000_NS6detail17trampoline_kernelINS0_14default_configENS1_20scan_config_selectorIxEEZZNS1_9scan_implILNS1_25lookback_scan_determinismE0ELb1ELb1ES3_N6thrust23THRUST_200600_302600_NS6detail15normal_iteratorINS9_10device_ptrIxEEEESE_xNS9_4plusIxEExEEDaPvRmT3_T4_T5_mT6_P12ihipStream_tbENKUlT_T0_E_clISt17integral_constantIbLb1EESU_EEDaSP_SQ_EUlSP_E0_NS1_11comp_targetILNS1_3genE2ELNS1_11target_archE906ELNS1_3gpuE6ELNS1_3repE0EEENS1_30default_config_static_selectorELNS0_4arch9wavefront6targetE1EEEvT1_ ; -- Begin function _ZN7rocprim17ROCPRIM_400000_NS6detail17trampoline_kernelINS0_14default_configENS1_20scan_config_selectorIxEEZZNS1_9scan_implILNS1_25lookback_scan_determinismE0ELb1ELb1ES3_N6thrust23THRUST_200600_302600_NS6detail15normal_iteratorINS9_10device_ptrIxEEEESE_xNS9_4plusIxEExEEDaPvRmT3_T4_T5_mT6_P12ihipStream_tbENKUlT_T0_E_clISt17integral_constantIbLb1EESU_EEDaSP_SQ_EUlSP_E0_NS1_11comp_targetILNS1_3genE2ELNS1_11target_archE906ELNS1_3gpuE6ELNS1_3repE0EEENS1_30default_config_static_selectorELNS0_4arch9wavefront6targetE1EEEvT1_
	.globl	_ZN7rocprim17ROCPRIM_400000_NS6detail17trampoline_kernelINS0_14default_configENS1_20scan_config_selectorIxEEZZNS1_9scan_implILNS1_25lookback_scan_determinismE0ELb1ELb1ES3_N6thrust23THRUST_200600_302600_NS6detail15normal_iteratorINS9_10device_ptrIxEEEESE_xNS9_4plusIxEExEEDaPvRmT3_T4_T5_mT6_P12ihipStream_tbENKUlT_T0_E_clISt17integral_constantIbLb1EESU_EEDaSP_SQ_EUlSP_E0_NS1_11comp_targetILNS1_3genE2ELNS1_11target_archE906ELNS1_3gpuE6ELNS1_3repE0EEENS1_30default_config_static_selectorELNS0_4arch9wavefront6targetE1EEEvT1_
	.p2align	8
	.type	_ZN7rocprim17ROCPRIM_400000_NS6detail17trampoline_kernelINS0_14default_configENS1_20scan_config_selectorIxEEZZNS1_9scan_implILNS1_25lookback_scan_determinismE0ELb1ELb1ES3_N6thrust23THRUST_200600_302600_NS6detail15normal_iteratorINS9_10device_ptrIxEEEESE_xNS9_4plusIxEExEEDaPvRmT3_T4_T5_mT6_P12ihipStream_tbENKUlT_T0_E_clISt17integral_constantIbLb1EESU_EEDaSP_SQ_EUlSP_E0_NS1_11comp_targetILNS1_3genE2ELNS1_11target_archE906ELNS1_3gpuE6ELNS1_3repE0EEENS1_30default_config_static_selectorELNS0_4arch9wavefront6targetE1EEEvT1_,@function
_ZN7rocprim17ROCPRIM_400000_NS6detail17trampoline_kernelINS0_14default_configENS1_20scan_config_selectorIxEEZZNS1_9scan_implILNS1_25lookback_scan_determinismE0ELb1ELb1ES3_N6thrust23THRUST_200600_302600_NS6detail15normal_iteratorINS9_10device_ptrIxEEEESE_xNS9_4plusIxEExEEDaPvRmT3_T4_T5_mT6_P12ihipStream_tbENKUlT_T0_E_clISt17integral_constantIbLb1EESU_EEDaSP_SQ_EUlSP_E0_NS1_11comp_targetILNS1_3genE2ELNS1_11target_archE906ELNS1_3gpuE6ELNS1_3repE0EEENS1_30default_config_static_selectorELNS0_4arch9wavefront6targetE1EEEvT1_: ; @_ZN7rocprim17ROCPRIM_400000_NS6detail17trampoline_kernelINS0_14default_configENS1_20scan_config_selectorIxEEZZNS1_9scan_implILNS1_25lookback_scan_determinismE0ELb1ELb1ES3_N6thrust23THRUST_200600_302600_NS6detail15normal_iteratorINS9_10device_ptrIxEEEESE_xNS9_4plusIxEExEEDaPvRmT3_T4_T5_mT6_P12ihipStream_tbENKUlT_T0_E_clISt17integral_constantIbLb1EESU_EEDaSP_SQ_EUlSP_E0_NS1_11comp_targetILNS1_3genE2ELNS1_11target_archE906ELNS1_3gpuE6ELNS1_3repE0EEENS1_30default_config_static_selectorELNS0_4arch9wavefront6targetE1EEEvT1_
; %bb.0:
	.section	.rodata,"a",@progbits
	.p2align	6, 0x0
	.amdhsa_kernel _ZN7rocprim17ROCPRIM_400000_NS6detail17trampoline_kernelINS0_14default_configENS1_20scan_config_selectorIxEEZZNS1_9scan_implILNS1_25lookback_scan_determinismE0ELb1ELb1ES3_N6thrust23THRUST_200600_302600_NS6detail15normal_iteratorINS9_10device_ptrIxEEEESE_xNS9_4plusIxEExEEDaPvRmT3_T4_T5_mT6_P12ihipStream_tbENKUlT_T0_E_clISt17integral_constantIbLb1EESU_EEDaSP_SQ_EUlSP_E0_NS1_11comp_targetILNS1_3genE2ELNS1_11target_archE906ELNS1_3gpuE6ELNS1_3repE0EEENS1_30default_config_static_selectorELNS0_4arch9wavefront6targetE1EEEvT1_
		.amdhsa_group_segment_fixed_size 0
		.amdhsa_private_segment_fixed_size 0
		.amdhsa_kernarg_size 40
		.amdhsa_user_sgpr_count 6
		.amdhsa_user_sgpr_private_segment_buffer 1
		.amdhsa_user_sgpr_dispatch_ptr 0
		.amdhsa_user_sgpr_queue_ptr 0
		.amdhsa_user_sgpr_kernarg_segment_ptr 1
		.amdhsa_user_sgpr_dispatch_id 0
		.amdhsa_user_sgpr_flat_scratch_init 0
		.amdhsa_user_sgpr_kernarg_preload_length 0
		.amdhsa_user_sgpr_kernarg_preload_offset 0
		.amdhsa_user_sgpr_private_segment_size 0
		.amdhsa_uses_dynamic_stack 0
		.amdhsa_system_sgpr_private_segment_wavefront_offset 0
		.amdhsa_system_sgpr_workgroup_id_x 1
		.amdhsa_system_sgpr_workgroup_id_y 0
		.amdhsa_system_sgpr_workgroup_id_z 0
		.amdhsa_system_sgpr_workgroup_info 0
		.amdhsa_system_vgpr_workitem_id 0
		.amdhsa_next_free_vgpr 1
		.amdhsa_next_free_sgpr 0
		.amdhsa_accum_offset 4
		.amdhsa_reserve_vcc 0
		.amdhsa_reserve_flat_scratch 0
		.amdhsa_float_round_mode_32 0
		.amdhsa_float_round_mode_16_64 0
		.amdhsa_float_denorm_mode_32 3
		.amdhsa_float_denorm_mode_16_64 3
		.amdhsa_dx10_clamp 1
		.amdhsa_ieee_mode 1
		.amdhsa_fp16_overflow 0
		.amdhsa_tg_split 0
		.amdhsa_exception_fp_ieee_invalid_op 0
		.amdhsa_exception_fp_denorm_src 0
		.amdhsa_exception_fp_ieee_div_zero 0
		.amdhsa_exception_fp_ieee_overflow 0
		.amdhsa_exception_fp_ieee_underflow 0
		.amdhsa_exception_fp_ieee_inexact 0
		.amdhsa_exception_int_div_zero 0
	.end_amdhsa_kernel
	.section	.text._ZN7rocprim17ROCPRIM_400000_NS6detail17trampoline_kernelINS0_14default_configENS1_20scan_config_selectorIxEEZZNS1_9scan_implILNS1_25lookback_scan_determinismE0ELb1ELb1ES3_N6thrust23THRUST_200600_302600_NS6detail15normal_iteratorINS9_10device_ptrIxEEEESE_xNS9_4plusIxEExEEDaPvRmT3_T4_T5_mT6_P12ihipStream_tbENKUlT_T0_E_clISt17integral_constantIbLb1EESU_EEDaSP_SQ_EUlSP_E0_NS1_11comp_targetILNS1_3genE2ELNS1_11target_archE906ELNS1_3gpuE6ELNS1_3repE0EEENS1_30default_config_static_selectorELNS0_4arch9wavefront6targetE1EEEvT1_,"axG",@progbits,_ZN7rocprim17ROCPRIM_400000_NS6detail17trampoline_kernelINS0_14default_configENS1_20scan_config_selectorIxEEZZNS1_9scan_implILNS1_25lookback_scan_determinismE0ELb1ELb1ES3_N6thrust23THRUST_200600_302600_NS6detail15normal_iteratorINS9_10device_ptrIxEEEESE_xNS9_4plusIxEExEEDaPvRmT3_T4_T5_mT6_P12ihipStream_tbENKUlT_T0_E_clISt17integral_constantIbLb1EESU_EEDaSP_SQ_EUlSP_E0_NS1_11comp_targetILNS1_3genE2ELNS1_11target_archE906ELNS1_3gpuE6ELNS1_3repE0EEENS1_30default_config_static_selectorELNS0_4arch9wavefront6targetE1EEEvT1_,comdat
.Lfunc_end373:
	.size	_ZN7rocprim17ROCPRIM_400000_NS6detail17trampoline_kernelINS0_14default_configENS1_20scan_config_selectorIxEEZZNS1_9scan_implILNS1_25lookback_scan_determinismE0ELb1ELb1ES3_N6thrust23THRUST_200600_302600_NS6detail15normal_iteratorINS9_10device_ptrIxEEEESE_xNS9_4plusIxEExEEDaPvRmT3_T4_T5_mT6_P12ihipStream_tbENKUlT_T0_E_clISt17integral_constantIbLb1EESU_EEDaSP_SQ_EUlSP_E0_NS1_11comp_targetILNS1_3genE2ELNS1_11target_archE906ELNS1_3gpuE6ELNS1_3repE0EEENS1_30default_config_static_selectorELNS0_4arch9wavefront6targetE1EEEvT1_, .Lfunc_end373-_ZN7rocprim17ROCPRIM_400000_NS6detail17trampoline_kernelINS0_14default_configENS1_20scan_config_selectorIxEEZZNS1_9scan_implILNS1_25lookback_scan_determinismE0ELb1ELb1ES3_N6thrust23THRUST_200600_302600_NS6detail15normal_iteratorINS9_10device_ptrIxEEEESE_xNS9_4plusIxEExEEDaPvRmT3_T4_T5_mT6_P12ihipStream_tbENKUlT_T0_E_clISt17integral_constantIbLb1EESU_EEDaSP_SQ_EUlSP_E0_NS1_11comp_targetILNS1_3genE2ELNS1_11target_archE906ELNS1_3gpuE6ELNS1_3repE0EEENS1_30default_config_static_selectorELNS0_4arch9wavefront6targetE1EEEvT1_
                                        ; -- End function
	.section	.AMDGPU.csdata,"",@progbits
; Kernel info:
; codeLenInByte = 0
; NumSgprs: 4
; NumVgprs: 0
; NumAgprs: 0
; TotalNumVgprs: 0
; ScratchSize: 0
; MemoryBound: 0
; FloatMode: 240
; IeeeMode: 1
; LDSByteSize: 0 bytes/workgroup (compile time only)
; SGPRBlocks: 0
; VGPRBlocks: 0
; NumSGPRsForWavesPerEU: 4
; NumVGPRsForWavesPerEU: 1
; AccumOffset: 4
; Occupancy: 8
; WaveLimiterHint : 0
; COMPUTE_PGM_RSRC2:SCRATCH_EN: 0
; COMPUTE_PGM_RSRC2:USER_SGPR: 6
; COMPUTE_PGM_RSRC2:TRAP_HANDLER: 0
; COMPUTE_PGM_RSRC2:TGID_X_EN: 1
; COMPUTE_PGM_RSRC2:TGID_Y_EN: 0
; COMPUTE_PGM_RSRC2:TGID_Z_EN: 0
; COMPUTE_PGM_RSRC2:TIDIG_COMP_CNT: 0
; COMPUTE_PGM_RSRC3_GFX90A:ACCUM_OFFSET: 0
; COMPUTE_PGM_RSRC3_GFX90A:TG_SPLIT: 0
	.section	.text._ZN7rocprim17ROCPRIM_400000_NS6detail17trampoline_kernelINS0_14default_configENS1_20scan_config_selectorIxEEZZNS1_9scan_implILNS1_25lookback_scan_determinismE0ELb1ELb1ES3_N6thrust23THRUST_200600_302600_NS6detail15normal_iteratorINS9_10device_ptrIxEEEESE_xNS9_4plusIxEExEEDaPvRmT3_T4_T5_mT6_P12ihipStream_tbENKUlT_T0_E_clISt17integral_constantIbLb1EESU_EEDaSP_SQ_EUlSP_E0_NS1_11comp_targetILNS1_3genE10ELNS1_11target_archE1201ELNS1_3gpuE5ELNS1_3repE0EEENS1_30default_config_static_selectorELNS0_4arch9wavefront6targetE1EEEvT1_,"axG",@progbits,_ZN7rocprim17ROCPRIM_400000_NS6detail17trampoline_kernelINS0_14default_configENS1_20scan_config_selectorIxEEZZNS1_9scan_implILNS1_25lookback_scan_determinismE0ELb1ELb1ES3_N6thrust23THRUST_200600_302600_NS6detail15normal_iteratorINS9_10device_ptrIxEEEESE_xNS9_4plusIxEExEEDaPvRmT3_T4_T5_mT6_P12ihipStream_tbENKUlT_T0_E_clISt17integral_constantIbLb1EESU_EEDaSP_SQ_EUlSP_E0_NS1_11comp_targetILNS1_3genE10ELNS1_11target_archE1201ELNS1_3gpuE5ELNS1_3repE0EEENS1_30default_config_static_selectorELNS0_4arch9wavefront6targetE1EEEvT1_,comdat
	.protected	_ZN7rocprim17ROCPRIM_400000_NS6detail17trampoline_kernelINS0_14default_configENS1_20scan_config_selectorIxEEZZNS1_9scan_implILNS1_25lookback_scan_determinismE0ELb1ELb1ES3_N6thrust23THRUST_200600_302600_NS6detail15normal_iteratorINS9_10device_ptrIxEEEESE_xNS9_4plusIxEExEEDaPvRmT3_T4_T5_mT6_P12ihipStream_tbENKUlT_T0_E_clISt17integral_constantIbLb1EESU_EEDaSP_SQ_EUlSP_E0_NS1_11comp_targetILNS1_3genE10ELNS1_11target_archE1201ELNS1_3gpuE5ELNS1_3repE0EEENS1_30default_config_static_selectorELNS0_4arch9wavefront6targetE1EEEvT1_ ; -- Begin function _ZN7rocprim17ROCPRIM_400000_NS6detail17trampoline_kernelINS0_14default_configENS1_20scan_config_selectorIxEEZZNS1_9scan_implILNS1_25lookback_scan_determinismE0ELb1ELb1ES3_N6thrust23THRUST_200600_302600_NS6detail15normal_iteratorINS9_10device_ptrIxEEEESE_xNS9_4plusIxEExEEDaPvRmT3_T4_T5_mT6_P12ihipStream_tbENKUlT_T0_E_clISt17integral_constantIbLb1EESU_EEDaSP_SQ_EUlSP_E0_NS1_11comp_targetILNS1_3genE10ELNS1_11target_archE1201ELNS1_3gpuE5ELNS1_3repE0EEENS1_30default_config_static_selectorELNS0_4arch9wavefront6targetE1EEEvT1_
	.globl	_ZN7rocprim17ROCPRIM_400000_NS6detail17trampoline_kernelINS0_14default_configENS1_20scan_config_selectorIxEEZZNS1_9scan_implILNS1_25lookback_scan_determinismE0ELb1ELb1ES3_N6thrust23THRUST_200600_302600_NS6detail15normal_iteratorINS9_10device_ptrIxEEEESE_xNS9_4plusIxEExEEDaPvRmT3_T4_T5_mT6_P12ihipStream_tbENKUlT_T0_E_clISt17integral_constantIbLb1EESU_EEDaSP_SQ_EUlSP_E0_NS1_11comp_targetILNS1_3genE10ELNS1_11target_archE1201ELNS1_3gpuE5ELNS1_3repE0EEENS1_30default_config_static_selectorELNS0_4arch9wavefront6targetE1EEEvT1_
	.p2align	8
	.type	_ZN7rocprim17ROCPRIM_400000_NS6detail17trampoline_kernelINS0_14default_configENS1_20scan_config_selectorIxEEZZNS1_9scan_implILNS1_25lookback_scan_determinismE0ELb1ELb1ES3_N6thrust23THRUST_200600_302600_NS6detail15normal_iteratorINS9_10device_ptrIxEEEESE_xNS9_4plusIxEExEEDaPvRmT3_T4_T5_mT6_P12ihipStream_tbENKUlT_T0_E_clISt17integral_constantIbLb1EESU_EEDaSP_SQ_EUlSP_E0_NS1_11comp_targetILNS1_3genE10ELNS1_11target_archE1201ELNS1_3gpuE5ELNS1_3repE0EEENS1_30default_config_static_selectorELNS0_4arch9wavefront6targetE1EEEvT1_,@function
_ZN7rocprim17ROCPRIM_400000_NS6detail17trampoline_kernelINS0_14default_configENS1_20scan_config_selectorIxEEZZNS1_9scan_implILNS1_25lookback_scan_determinismE0ELb1ELb1ES3_N6thrust23THRUST_200600_302600_NS6detail15normal_iteratorINS9_10device_ptrIxEEEESE_xNS9_4plusIxEExEEDaPvRmT3_T4_T5_mT6_P12ihipStream_tbENKUlT_T0_E_clISt17integral_constantIbLb1EESU_EEDaSP_SQ_EUlSP_E0_NS1_11comp_targetILNS1_3genE10ELNS1_11target_archE1201ELNS1_3gpuE5ELNS1_3repE0EEENS1_30default_config_static_selectorELNS0_4arch9wavefront6targetE1EEEvT1_: ; @_ZN7rocprim17ROCPRIM_400000_NS6detail17trampoline_kernelINS0_14default_configENS1_20scan_config_selectorIxEEZZNS1_9scan_implILNS1_25lookback_scan_determinismE0ELb1ELb1ES3_N6thrust23THRUST_200600_302600_NS6detail15normal_iteratorINS9_10device_ptrIxEEEESE_xNS9_4plusIxEExEEDaPvRmT3_T4_T5_mT6_P12ihipStream_tbENKUlT_T0_E_clISt17integral_constantIbLb1EESU_EEDaSP_SQ_EUlSP_E0_NS1_11comp_targetILNS1_3genE10ELNS1_11target_archE1201ELNS1_3gpuE5ELNS1_3repE0EEENS1_30default_config_static_selectorELNS0_4arch9wavefront6targetE1EEEvT1_
; %bb.0:
	.section	.rodata,"a",@progbits
	.p2align	6, 0x0
	.amdhsa_kernel _ZN7rocprim17ROCPRIM_400000_NS6detail17trampoline_kernelINS0_14default_configENS1_20scan_config_selectorIxEEZZNS1_9scan_implILNS1_25lookback_scan_determinismE0ELb1ELb1ES3_N6thrust23THRUST_200600_302600_NS6detail15normal_iteratorINS9_10device_ptrIxEEEESE_xNS9_4plusIxEExEEDaPvRmT3_T4_T5_mT6_P12ihipStream_tbENKUlT_T0_E_clISt17integral_constantIbLb1EESU_EEDaSP_SQ_EUlSP_E0_NS1_11comp_targetILNS1_3genE10ELNS1_11target_archE1201ELNS1_3gpuE5ELNS1_3repE0EEENS1_30default_config_static_selectorELNS0_4arch9wavefront6targetE1EEEvT1_
		.amdhsa_group_segment_fixed_size 0
		.amdhsa_private_segment_fixed_size 0
		.amdhsa_kernarg_size 40
		.amdhsa_user_sgpr_count 6
		.amdhsa_user_sgpr_private_segment_buffer 1
		.amdhsa_user_sgpr_dispatch_ptr 0
		.amdhsa_user_sgpr_queue_ptr 0
		.amdhsa_user_sgpr_kernarg_segment_ptr 1
		.amdhsa_user_sgpr_dispatch_id 0
		.amdhsa_user_sgpr_flat_scratch_init 0
		.amdhsa_user_sgpr_kernarg_preload_length 0
		.amdhsa_user_sgpr_kernarg_preload_offset 0
		.amdhsa_user_sgpr_private_segment_size 0
		.amdhsa_uses_dynamic_stack 0
		.amdhsa_system_sgpr_private_segment_wavefront_offset 0
		.amdhsa_system_sgpr_workgroup_id_x 1
		.amdhsa_system_sgpr_workgroup_id_y 0
		.amdhsa_system_sgpr_workgroup_id_z 0
		.amdhsa_system_sgpr_workgroup_info 0
		.amdhsa_system_vgpr_workitem_id 0
		.amdhsa_next_free_vgpr 1
		.amdhsa_next_free_sgpr 0
		.amdhsa_accum_offset 4
		.amdhsa_reserve_vcc 0
		.amdhsa_reserve_flat_scratch 0
		.amdhsa_float_round_mode_32 0
		.amdhsa_float_round_mode_16_64 0
		.amdhsa_float_denorm_mode_32 3
		.amdhsa_float_denorm_mode_16_64 3
		.amdhsa_dx10_clamp 1
		.amdhsa_ieee_mode 1
		.amdhsa_fp16_overflow 0
		.amdhsa_tg_split 0
		.amdhsa_exception_fp_ieee_invalid_op 0
		.amdhsa_exception_fp_denorm_src 0
		.amdhsa_exception_fp_ieee_div_zero 0
		.amdhsa_exception_fp_ieee_overflow 0
		.amdhsa_exception_fp_ieee_underflow 0
		.amdhsa_exception_fp_ieee_inexact 0
		.amdhsa_exception_int_div_zero 0
	.end_amdhsa_kernel
	.section	.text._ZN7rocprim17ROCPRIM_400000_NS6detail17trampoline_kernelINS0_14default_configENS1_20scan_config_selectorIxEEZZNS1_9scan_implILNS1_25lookback_scan_determinismE0ELb1ELb1ES3_N6thrust23THRUST_200600_302600_NS6detail15normal_iteratorINS9_10device_ptrIxEEEESE_xNS9_4plusIxEExEEDaPvRmT3_T4_T5_mT6_P12ihipStream_tbENKUlT_T0_E_clISt17integral_constantIbLb1EESU_EEDaSP_SQ_EUlSP_E0_NS1_11comp_targetILNS1_3genE10ELNS1_11target_archE1201ELNS1_3gpuE5ELNS1_3repE0EEENS1_30default_config_static_selectorELNS0_4arch9wavefront6targetE1EEEvT1_,"axG",@progbits,_ZN7rocprim17ROCPRIM_400000_NS6detail17trampoline_kernelINS0_14default_configENS1_20scan_config_selectorIxEEZZNS1_9scan_implILNS1_25lookback_scan_determinismE0ELb1ELb1ES3_N6thrust23THRUST_200600_302600_NS6detail15normal_iteratorINS9_10device_ptrIxEEEESE_xNS9_4plusIxEExEEDaPvRmT3_T4_T5_mT6_P12ihipStream_tbENKUlT_T0_E_clISt17integral_constantIbLb1EESU_EEDaSP_SQ_EUlSP_E0_NS1_11comp_targetILNS1_3genE10ELNS1_11target_archE1201ELNS1_3gpuE5ELNS1_3repE0EEENS1_30default_config_static_selectorELNS0_4arch9wavefront6targetE1EEEvT1_,comdat
.Lfunc_end374:
	.size	_ZN7rocprim17ROCPRIM_400000_NS6detail17trampoline_kernelINS0_14default_configENS1_20scan_config_selectorIxEEZZNS1_9scan_implILNS1_25lookback_scan_determinismE0ELb1ELb1ES3_N6thrust23THRUST_200600_302600_NS6detail15normal_iteratorINS9_10device_ptrIxEEEESE_xNS9_4plusIxEExEEDaPvRmT3_T4_T5_mT6_P12ihipStream_tbENKUlT_T0_E_clISt17integral_constantIbLb1EESU_EEDaSP_SQ_EUlSP_E0_NS1_11comp_targetILNS1_3genE10ELNS1_11target_archE1201ELNS1_3gpuE5ELNS1_3repE0EEENS1_30default_config_static_selectorELNS0_4arch9wavefront6targetE1EEEvT1_, .Lfunc_end374-_ZN7rocprim17ROCPRIM_400000_NS6detail17trampoline_kernelINS0_14default_configENS1_20scan_config_selectorIxEEZZNS1_9scan_implILNS1_25lookback_scan_determinismE0ELb1ELb1ES3_N6thrust23THRUST_200600_302600_NS6detail15normal_iteratorINS9_10device_ptrIxEEEESE_xNS9_4plusIxEExEEDaPvRmT3_T4_T5_mT6_P12ihipStream_tbENKUlT_T0_E_clISt17integral_constantIbLb1EESU_EEDaSP_SQ_EUlSP_E0_NS1_11comp_targetILNS1_3genE10ELNS1_11target_archE1201ELNS1_3gpuE5ELNS1_3repE0EEENS1_30default_config_static_selectorELNS0_4arch9wavefront6targetE1EEEvT1_
                                        ; -- End function
	.section	.AMDGPU.csdata,"",@progbits
; Kernel info:
; codeLenInByte = 0
; NumSgprs: 4
; NumVgprs: 0
; NumAgprs: 0
; TotalNumVgprs: 0
; ScratchSize: 0
; MemoryBound: 0
; FloatMode: 240
; IeeeMode: 1
; LDSByteSize: 0 bytes/workgroup (compile time only)
; SGPRBlocks: 0
; VGPRBlocks: 0
; NumSGPRsForWavesPerEU: 4
; NumVGPRsForWavesPerEU: 1
; AccumOffset: 4
; Occupancy: 8
; WaveLimiterHint : 0
; COMPUTE_PGM_RSRC2:SCRATCH_EN: 0
; COMPUTE_PGM_RSRC2:USER_SGPR: 6
; COMPUTE_PGM_RSRC2:TRAP_HANDLER: 0
; COMPUTE_PGM_RSRC2:TGID_X_EN: 1
; COMPUTE_PGM_RSRC2:TGID_Y_EN: 0
; COMPUTE_PGM_RSRC2:TGID_Z_EN: 0
; COMPUTE_PGM_RSRC2:TIDIG_COMP_CNT: 0
; COMPUTE_PGM_RSRC3_GFX90A:ACCUM_OFFSET: 0
; COMPUTE_PGM_RSRC3_GFX90A:TG_SPLIT: 0
	.section	.text._ZN7rocprim17ROCPRIM_400000_NS6detail17trampoline_kernelINS0_14default_configENS1_20scan_config_selectorIxEEZZNS1_9scan_implILNS1_25lookback_scan_determinismE0ELb1ELb1ES3_N6thrust23THRUST_200600_302600_NS6detail15normal_iteratorINS9_10device_ptrIxEEEESE_xNS9_4plusIxEExEEDaPvRmT3_T4_T5_mT6_P12ihipStream_tbENKUlT_T0_E_clISt17integral_constantIbLb1EESU_EEDaSP_SQ_EUlSP_E0_NS1_11comp_targetILNS1_3genE10ELNS1_11target_archE1200ELNS1_3gpuE4ELNS1_3repE0EEENS1_30default_config_static_selectorELNS0_4arch9wavefront6targetE1EEEvT1_,"axG",@progbits,_ZN7rocprim17ROCPRIM_400000_NS6detail17trampoline_kernelINS0_14default_configENS1_20scan_config_selectorIxEEZZNS1_9scan_implILNS1_25lookback_scan_determinismE0ELb1ELb1ES3_N6thrust23THRUST_200600_302600_NS6detail15normal_iteratorINS9_10device_ptrIxEEEESE_xNS9_4plusIxEExEEDaPvRmT3_T4_T5_mT6_P12ihipStream_tbENKUlT_T0_E_clISt17integral_constantIbLb1EESU_EEDaSP_SQ_EUlSP_E0_NS1_11comp_targetILNS1_3genE10ELNS1_11target_archE1200ELNS1_3gpuE4ELNS1_3repE0EEENS1_30default_config_static_selectorELNS0_4arch9wavefront6targetE1EEEvT1_,comdat
	.protected	_ZN7rocprim17ROCPRIM_400000_NS6detail17trampoline_kernelINS0_14default_configENS1_20scan_config_selectorIxEEZZNS1_9scan_implILNS1_25lookback_scan_determinismE0ELb1ELb1ES3_N6thrust23THRUST_200600_302600_NS6detail15normal_iteratorINS9_10device_ptrIxEEEESE_xNS9_4plusIxEExEEDaPvRmT3_T4_T5_mT6_P12ihipStream_tbENKUlT_T0_E_clISt17integral_constantIbLb1EESU_EEDaSP_SQ_EUlSP_E0_NS1_11comp_targetILNS1_3genE10ELNS1_11target_archE1200ELNS1_3gpuE4ELNS1_3repE0EEENS1_30default_config_static_selectorELNS0_4arch9wavefront6targetE1EEEvT1_ ; -- Begin function _ZN7rocprim17ROCPRIM_400000_NS6detail17trampoline_kernelINS0_14default_configENS1_20scan_config_selectorIxEEZZNS1_9scan_implILNS1_25lookback_scan_determinismE0ELb1ELb1ES3_N6thrust23THRUST_200600_302600_NS6detail15normal_iteratorINS9_10device_ptrIxEEEESE_xNS9_4plusIxEExEEDaPvRmT3_T4_T5_mT6_P12ihipStream_tbENKUlT_T0_E_clISt17integral_constantIbLb1EESU_EEDaSP_SQ_EUlSP_E0_NS1_11comp_targetILNS1_3genE10ELNS1_11target_archE1200ELNS1_3gpuE4ELNS1_3repE0EEENS1_30default_config_static_selectorELNS0_4arch9wavefront6targetE1EEEvT1_
	.globl	_ZN7rocprim17ROCPRIM_400000_NS6detail17trampoline_kernelINS0_14default_configENS1_20scan_config_selectorIxEEZZNS1_9scan_implILNS1_25lookback_scan_determinismE0ELb1ELb1ES3_N6thrust23THRUST_200600_302600_NS6detail15normal_iteratorINS9_10device_ptrIxEEEESE_xNS9_4plusIxEExEEDaPvRmT3_T4_T5_mT6_P12ihipStream_tbENKUlT_T0_E_clISt17integral_constantIbLb1EESU_EEDaSP_SQ_EUlSP_E0_NS1_11comp_targetILNS1_3genE10ELNS1_11target_archE1200ELNS1_3gpuE4ELNS1_3repE0EEENS1_30default_config_static_selectorELNS0_4arch9wavefront6targetE1EEEvT1_
	.p2align	8
	.type	_ZN7rocprim17ROCPRIM_400000_NS6detail17trampoline_kernelINS0_14default_configENS1_20scan_config_selectorIxEEZZNS1_9scan_implILNS1_25lookback_scan_determinismE0ELb1ELb1ES3_N6thrust23THRUST_200600_302600_NS6detail15normal_iteratorINS9_10device_ptrIxEEEESE_xNS9_4plusIxEExEEDaPvRmT3_T4_T5_mT6_P12ihipStream_tbENKUlT_T0_E_clISt17integral_constantIbLb1EESU_EEDaSP_SQ_EUlSP_E0_NS1_11comp_targetILNS1_3genE10ELNS1_11target_archE1200ELNS1_3gpuE4ELNS1_3repE0EEENS1_30default_config_static_selectorELNS0_4arch9wavefront6targetE1EEEvT1_,@function
_ZN7rocprim17ROCPRIM_400000_NS6detail17trampoline_kernelINS0_14default_configENS1_20scan_config_selectorIxEEZZNS1_9scan_implILNS1_25lookback_scan_determinismE0ELb1ELb1ES3_N6thrust23THRUST_200600_302600_NS6detail15normal_iteratorINS9_10device_ptrIxEEEESE_xNS9_4plusIxEExEEDaPvRmT3_T4_T5_mT6_P12ihipStream_tbENKUlT_T0_E_clISt17integral_constantIbLb1EESU_EEDaSP_SQ_EUlSP_E0_NS1_11comp_targetILNS1_3genE10ELNS1_11target_archE1200ELNS1_3gpuE4ELNS1_3repE0EEENS1_30default_config_static_selectorELNS0_4arch9wavefront6targetE1EEEvT1_: ; @_ZN7rocprim17ROCPRIM_400000_NS6detail17trampoline_kernelINS0_14default_configENS1_20scan_config_selectorIxEEZZNS1_9scan_implILNS1_25lookback_scan_determinismE0ELb1ELb1ES3_N6thrust23THRUST_200600_302600_NS6detail15normal_iteratorINS9_10device_ptrIxEEEESE_xNS9_4plusIxEExEEDaPvRmT3_T4_T5_mT6_P12ihipStream_tbENKUlT_T0_E_clISt17integral_constantIbLb1EESU_EEDaSP_SQ_EUlSP_E0_NS1_11comp_targetILNS1_3genE10ELNS1_11target_archE1200ELNS1_3gpuE4ELNS1_3repE0EEENS1_30default_config_static_selectorELNS0_4arch9wavefront6targetE1EEEvT1_
; %bb.0:
	.section	.rodata,"a",@progbits
	.p2align	6, 0x0
	.amdhsa_kernel _ZN7rocprim17ROCPRIM_400000_NS6detail17trampoline_kernelINS0_14default_configENS1_20scan_config_selectorIxEEZZNS1_9scan_implILNS1_25lookback_scan_determinismE0ELb1ELb1ES3_N6thrust23THRUST_200600_302600_NS6detail15normal_iteratorINS9_10device_ptrIxEEEESE_xNS9_4plusIxEExEEDaPvRmT3_T4_T5_mT6_P12ihipStream_tbENKUlT_T0_E_clISt17integral_constantIbLb1EESU_EEDaSP_SQ_EUlSP_E0_NS1_11comp_targetILNS1_3genE10ELNS1_11target_archE1200ELNS1_3gpuE4ELNS1_3repE0EEENS1_30default_config_static_selectorELNS0_4arch9wavefront6targetE1EEEvT1_
		.amdhsa_group_segment_fixed_size 0
		.amdhsa_private_segment_fixed_size 0
		.amdhsa_kernarg_size 40
		.amdhsa_user_sgpr_count 6
		.amdhsa_user_sgpr_private_segment_buffer 1
		.amdhsa_user_sgpr_dispatch_ptr 0
		.amdhsa_user_sgpr_queue_ptr 0
		.amdhsa_user_sgpr_kernarg_segment_ptr 1
		.amdhsa_user_sgpr_dispatch_id 0
		.amdhsa_user_sgpr_flat_scratch_init 0
		.amdhsa_user_sgpr_kernarg_preload_length 0
		.amdhsa_user_sgpr_kernarg_preload_offset 0
		.amdhsa_user_sgpr_private_segment_size 0
		.amdhsa_uses_dynamic_stack 0
		.amdhsa_system_sgpr_private_segment_wavefront_offset 0
		.amdhsa_system_sgpr_workgroup_id_x 1
		.amdhsa_system_sgpr_workgroup_id_y 0
		.amdhsa_system_sgpr_workgroup_id_z 0
		.amdhsa_system_sgpr_workgroup_info 0
		.amdhsa_system_vgpr_workitem_id 0
		.amdhsa_next_free_vgpr 1
		.amdhsa_next_free_sgpr 0
		.amdhsa_accum_offset 4
		.amdhsa_reserve_vcc 0
		.amdhsa_reserve_flat_scratch 0
		.amdhsa_float_round_mode_32 0
		.amdhsa_float_round_mode_16_64 0
		.amdhsa_float_denorm_mode_32 3
		.amdhsa_float_denorm_mode_16_64 3
		.amdhsa_dx10_clamp 1
		.amdhsa_ieee_mode 1
		.amdhsa_fp16_overflow 0
		.amdhsa_tg_split 0
		.amdhsa_exception_fp_ieee_invalid_op 0
		.amdhsa_exception_fp_denorm_src 0
		.amdhsa_exception_fp_ieee_div_zero 0
		.amdhsa_exception_fp_ieee_overflow 0
		.amdhsa_exception_fp_ieee_underflow 0
		.amdhsa_exception_fp_ieee_inexact 0
		.amdhsa_exception_int_div_zero 0
	.end_amdhsa_kernel
	.section	.text._ZN7rocprim17ROCPRIM_400000_NS6detail17trampoline_kernelINS0_14default_configENS1_20scan_config_selectorIxEEZZNS1_9scan_implILNS1_25lookback_scan_determinismE0ELb1ELb1ES3_N6thrust23THRUST_200600_302600_NS6detail15normal_iteratorINS9_10device_ptrIxEEEESE_xNS9_4plusIxEExEEDaPvRmT3_T4_T5_mT6_P12ihipStream_tbENKUlT_T0_E_clISt17integral_constantIbLb1EESU_EEDaSP_SQ_EUlSP_E0_NS1_11comp_targetILNS1_3genE10ELNS1_11target_archE1200ELNS1_3gpuE4ELNS1_3repE0EEENS1_30default_config_static_selectorELNS0_4arch9wavefront6targetE1EEEvT1_,"axG",@progbits,_ZN7rocprim17ROCPRIM_400000_NS6detail17trampoline_kernelINS0_14default_configENS1_20scan_config_selectorIxEEZZNS1_9scan_implILNS1_25lookback_scan_determinismE0ELb1ELb1ES3_N6thrust23THRUST_200600_302600_NS6detail15normal_iteratorINS9_10device_ptrIxEEEESE_xNS9_4plusIxEExEEDaPvRmT3_T4_T5_mT6_P12ihipStream_tbENKUlT_T0_E_clISt17integral_constantIbLb1EESU_EEDaSP_SQ_EUlSP_E0_NS1_11comp_targetILNS1_3genE10ELNS1_11target_archE1200ELNS1_3gpuE4ELNS1_3repE0EEENS1_30default_config_static_selectorELNS0_4arch9wavefront6targetE1EEEvT1_,comdat
.Lfunc_end375:
	.size	_ZN7rocprim17ROCPRIM_400000_NS6detail17trampoline_kernelINS0_14default_configENS1_20scan_config_selectorIxEEZZNS1_9scan_implILNS1_25lookback_scan_determinismE0ELb1ELb1ES3_N6thrust23THRUST_200600_302600_NS6detail15normal_iteratorINS9_10device_ptrIxEEEESE_xNS9_4plusIxEExEEDaPvRmT3_T4_T5_mT6_P12ihipStream_tbENKUlT_T0_E_clISt17integral_constantIbLb1EESU_EEDaSP_SQ_EUlSP_E0_NS1_11comp_targetILNS1_3genE10ELNS1_11target_archE1200ELNS1_3gpuE4ELNS1_3repE0EEENS1_30default_config_static_selectorELNS0_4arch9wavefront6targetE1EEEvT1_, .Lfunc_end375-_ZN7rocprim17ROCPRIM_400000_NS6detail17trampoline_kernelINS0_14default_configENS1_20scan_config_selectorIxEEZZNS1_9scan_implILNS1_25lookback_scan_determinismE0ELb1ELb1ES3_N6thrust23THRUST_200600_302600_NS6detail15normal_iteratorINS9_10device_ptrIxEEEESE_xNS9_4plusIxEExEEDaPvRmT3_T4_T5_mT6_P12ihipStream_tbENKUlT_T0_E_clISt17integral_constantIbLb1EESU_EEDaSP_SQ_EUlSP_E0_NS1_11comp_targetILNS1_3genE10ELNS1_11target_archE1200ELNS1_3gpuE4ELNS1_3repE0EEENS1_30default_config_static_selectorELNS0_4arch9wavefront6targetE1EEEvT1_
                                        ; -- End function
	.section	.AMDGPU.csdata,"",@progbits
; Kernel info:
; codeLenInByte = 0
; NumSgprs: 4
; NumVgprs: 0
; NumAgprs: 0
; TotalNumVgprs: 0
; ScratchSize: 0
; MemoryBound: 0
; FloatMode: 240
; IeeeMode: 1
; LDSByteSize: 0 bytes/workgroup (compile time only)
; SGPRBlocks: 0
; VGPRBlocks: 0
; NumSGPRsForWavesPerEU: 4
; NumVGPRsForWavesPerEU: 1
; AccumOffset: 4
; Occupancy: 8
; WaveLimiterHint : 0
; COMPUTE_PGM_RSRC2:SCRATCH_EN: 0
; COMPUTE_PGM_RSRC2:USER_SGPR: 6
; COMPUTE_PGM_RSRC2:TRAP_HANDLER: 0
; COMPUTE_PGM_RSRC2:TGID_X_EN: 1
; COMPUTE_PGM_RSRC2:TGID_Y_EN: 0
; COMPUTE_PGM_RSRC2:TGID_Z_EN: 0
; COMPUTE_PGM_RSRC2:TIDIG_COMP_CNT: 0
; COMPUTE_PGM_RSRC3_GFX90A:ACCUM_OFFSET: 0
; COMPUTE_PGM_RSRC3_GFX90A:TG_SPLIT: 0
	.section	.text._ZN7rocprim17ROCPRIM_400000_NS6detail17trampoline_kernelINS0_14default_configENS1_20scan_config_selectorIxEEZZNS1_9scan_implILNS1_25lookback_scan_determinismE0ELb1ELb1ES3_N6thrust23THRUST_200600_302600_NS6detail15normal_iteratorINS9_10device_ptrIxEEEESE_xNS9_4plusIxEExEEDaPvRmT3_T4_T5_mT6_P12ihipStream_tbENKUlT_T0_E_clISt17integral_constantIbLb1EESU_EEDaSP_SQ_EUlSP_E0_NS1_11comp_targetILNS1_3genE9ELNS1_11target_archE1100ELNS1_3gpuE3ELNS1_3repE0EEENS1_30default_config_static_selectorELNS0_4arch9wavefront6targetE1EEEvT1_,"axG",@progbits,_ZN7rocprim17ROCPRIM_400000_NS6detail17trampoline_kernelINS0_14default_configENS1_20scan_config_selectorIxEEZZNS1_9scan_implILNS1_25lookback_scan_determinismE0ELb1ELb1ES3_N6thrust23THRUST_200600_302600_NS6detail15normal_iteratorINS9_10device_ptrIxEEEESE_xNS9_4plusIxEExEEDaPvRmT3_T4_T5_mT6_P12ihipStream_tbENKUlT_T0_E_clISt17integral_constantIbLb1EESU_EEDaSP_SQ_EUlSP_E0_NS1_11comp_targetILNS1_3genE9ELNS1_11target_archE1100ELNS1_3gpuE3ELNS1_3repE0EEENS1_30default_config_static_selectorELNS0_4arch9wavefront6targetE1EEEvT1_,comdat
	.protected	_ZN7rocprim17ROCPRIM_400000_NS6detail17trampoline_kernelINS0_14default_configENS1_20scan_config_selectorIxEEZZNS1_9scan_implILNS1_25lookback_scan_determinismE0ELb1ELb1ES3_N6thrust23THRUST_200600_302600_NS6detail15normal_iteratorINS9_10device_ptrIxEEEESE_xNS9_4plusIxEExEEDaPvRmT3_T4_T5_mT6_P12ihipStream_tbENKUlT_T0_E_clISt17integral_constantIbLb1EESU_EEDaSP_SQ_EUlSP_E0_NS1_11comp_targetILNS1_3genE9ELNS1_11target_archE1100ELNS1_3gpuE3ELNS1_3repE0EEENS1_30default_config_static_selectorELNS0_4arch9wavefront6targetE1EEEvT1_ ; -- Begin function _ZN7rocprim17ROCPRIM_400000_NS6detail17trampoline_kernelINS0_14default_configENS1_20scan_config_selectorIxEEZZNS1_9scan_implILNS1_25lookback_scan_determinismE0ELb1ELb1ES3_N6thrust23THRUST_200600_302600_NS6detail15normal_iteratorINS9_10device_ptrIxEEEESE_xNS9_4plusIxEExEEDaPvRmT3_T4_T5_mT6_P12ihipStream_tbENKUlT_T0_E_clISt17integral_constantIbLb1EESU_EEDaSP_SQ_EUlSP_E0_NS1_11comp_targetILNS1_3genE9ELNS1_11target_archE1100ELNS1_3gpuE3ELNS1_3repE0EEENS1_30default_config_static_selectorELNS0_4arch9wavefront6targetE1EEEvT1_
	.globl	_ZN7rocprim17ROCPRIM_400000_NS6detail17trampoline_kernelINS0_14default_configENS1_20scan_config_selectorIxEEZZNS1_9scan_implILNS1_25lookback_scan_determinismE0ELb1ELb1ES3_N6thrust23THRUST_200600_302600_NS6detail15normal_iteratorINS9_10device_ptrIxEEEESE_xNS9_4plusIxEExEEDaPvRmT3_T4_T5_mT6_P12ihipStream_tbENKUlT_T0_E_clISt17integral_constantIbLb1EESU_EEDaSP_SQ_EUlSP_E0_NS1_11comp_targetILNS1_3genE9ELNS1_11target_archE1100ELNS1_3gpuE3ELNS1_3repE0EEENS1_30default_config_static_selectorELNS0_4arch9wavefront6targetE1EEEvT1_
	.p2align	8
	.type	_ZN7rocprim17ROCPRIM_400000_NS6detail17trampoline_kernelINS0_14default_configENS1_20scan_config_selectorIxEEZZNS1_9scan_implILNS1_25lookback_scan_determinismE0ELb1ELb1ES3_N6thrust23THRUST_200600_302600_NS6detail15normal_iteratorINS9_10device_ptrIxEEEESE_xNS9_4plusIxEExEEDaPvRmT3_T4_T5_mT6_P12ihipStream_tbENKUlT_T0_E_clISt17integral_constantIbLb1EESU_EEDaSP_SQ_EUlSP_E0_NS1_11comp_targetILNS1_3genE9ELNS1_11target_archE1100ELNS1_3gpuE3ELNS1_3repE0EEENS1_30default_config_static_selectorELNS0_4arch9wavefront6targetE1EEEvT1_,@function
_ZN7rocprim17ROCPRIM_400000_NS6detail17trampoline_kernelINS0_14default_configENS1_20scan_config_selectorIxEEZZNS1_9scan_implILNS1_25lookback_scan_determinismE0ELb1ELb1ES3_N6thrust23THRUST_200600_302600_NS6detail15normal_iteratorINS9_10device_ptrIxEEEESE_xNS9_4plusIxEExEEDaPvRmT3_T4_T5_mT6_P12ihipStream_tbENKUlT_T0_E_clISt17integral_constantIbLb1EESU_EEDaSP_SQ_EUlSP_E0_NS1_11comp_targetILNS1_3genE9ELNS1_11target_archE1100ELNS1_3gpuE3ELNS1_3repE0EEENS1_30default_config_static_selectorELNS0_4arch9wavefront6targetE1EEEvT1_: ; @_ZN7rocprim17ROCPRIM_400000_NS6detail17trampoline_kernelINS0_14default_configENS1_20scan_config_selectorIxEEZZNS1_9scan_implILNS1_25lookback_scan_determinismE0ELb1ELb1ES3_N6thrust23THRUST_200600_302600_NS6detail15normal_iteratorINS9_10device_ptrIxEEEESE_xNS9_4plusIxEExEEDaPvRmT3_T4_T5_mT6_P12ihipStream_tbENKUlT_T0_E_clISt17integral_constantIbLb1EESU_EEDaSP_SQ_EUlSP_E0_NS1_11comp_targetILNS1_3genE9ELNS1_11target_archE1100ELNS1_3gpuE3ELNS1_3repE0EEENS1_30default_config_static_selectorELNS0_4arch9wavefront6targetE1EEEvT1_
; %bb.0:
	.section	.rodata,"a",@progbits
	.p2align	6, 0x0
	.amdhsa_kernel _ZN7rocprim17ROCPRIM_400000_NS6detail17trampoline_kernelINS0_14default_configENS1_20scan_config_selectorIxEEZZNS1_9scan_implILNS1_25lookback_scan_determinismE0ELb1ELb1ES3_N6thrust23THRUST_200600_302600_NS6detail15normal_iteratorINS9_10device_ptrIxEEEESE_xNS9_4plusIxEExEEDaPvRmT3_T4_T5_mT6_P12ihipStream_tbENKUlT_T0_E_clISt17integral_constantIbLb1EESU_EEDaSP_SQ_EUlSP_E0_NS1_11comp_targetILNS1_3genE9ELNS1_11target_archE1100ELNS1_3gpuE3ELNS1_3repE0EEENS1_30default_config_static_selectorELNS0_4arch9wavefront6targetE1EEEvT1_
		.amdhsa_group_segment_fixed_size 0
		.amdhsa_private_segment_fixed_size 0
		.amdhsa_kernarg_size 40
		.amdhsa_user_sgpr_count 6
		.amdhsa_user_sgpr_private_segment_buffer 1
		.amdhsa_user_sgpr_dispatch_ptr 0
		.amdhsa_user_sgpr_queue_ptr 0
		.amdhsa_user_sgpr_kernarg_segment_ptr 1
		.amdhsa_user_sgpr_dispatch_id 0
		.amdhsa_user_sgpr_flat_scratch_init 0
		.amdhsa_user_sgpr_kernarg_preload_length 0
		.amdhsa_user_sgpr_kernarg_preload_offset 0
		.amdhsa_user_sgpr_private_segment_size 0
		.amdhsa_uses_dynamic_stack 0
		.amdhsa_system_sgpr_private_segment_wavefront_offset 0
		.amdhsa_system_sgpr_workgroup_id_x 1
		.amdhsa_system_sgpr_workgroup_id_y 0
		.amdhsa_system_sgpr_workgroup_id_z 0
		.amdhsa_system_sgpr_workgroup_info 0
		.amdhsa_system_vgpr_workitem_id 0
		.amdhsa_next_free_vgpr 1
		.amdhsa_next_free_sgpr 0
		.amdhsa_accum_offset 4
		.amdhsa_reserve_vcc 0
		.amdhsa_reserve_flat_scratch 0
		.amdhsa_float_round_mode_32 0
		.amdhsa_float_round_mode_16_64 0
		.amdhsa_float_denorm_mode_32 3
		.amdhsa_float_denorm_mode_16_64 3
		.amdhsa_dx10_clamp 1
		.amdhsa_ieee_mode 1
		.amdhsa_fp16_overflow 0
		.amdhsa_tg_split 0
		.amdhsa_exception_fp_ieee_invalid_op 0
		.amdhsa_exception_fp_denorm_src 0
		.amdhsa_exception_fp_ieee_div_zero 0
		.amdhsa_exception_fp_ieee_overflow 0
		.amdhsa_exception_fp_ieee_underflow 0
		.amdhsa_exception_fp_ieee_inexact 0
		.amdhsa_exception_int_div_zero 0
	.end_amdhsa_kernel
	.section	.text._ZN7rocprim17ROCPRIM_400000_NS6detail17trampoline_kernelINS0_14default_configENS1_20scan_config_selectorIxEEZZNS1_9scan_implILNS1_25lookback_scan_determinismE0ELb1ELb1ES3_N6thrust23THRUST_200600_302600_NS6detail15normal_iteratorINS9_10device_ptrIxEEEESE_xNS9_4plusIxEExEEDaPvRmT3_T4_T5_mT6_P12ihipStream_tbENKUlT_T0_E_clISt17integral_constantIbLb1EESU_EEDaSP_SQ_EUlSP_E0_NS1_11comp_targetILNS1_3genE9ELNS1_11target_archE1100ELNS1_3gpuE3ELNS1_3repE0EEENS1_30default_config_static_selectorELNS0_4arch9wavefront6targetE1EEEvT1_,"axG",@progbits,_ZN7rocprim17ROCPRIM_400000_NS6detail17trampoline_kernelINS0_14default_configENS1_20scan_config_selectorIxEEZZNS1_9scan_implILNS1_25lookback_scan_determinismE0ELb1ELb1ES3_N6thrust23THRUST_200600_302600_NS6detail15normal_iteratorINS9_10device_ptrIxEEEESE_xNS9_4plusIxEExEEDaPvRmT3_T4_T5_mT6_P12ihipStream_tbENKUlT_T0_E_clISt17integral_constantIbLb1EESU_EEDaSP_SQ_EUlSP_E0_NS1_11comp_targetILNS1_3genE9ELNS1_11target_archE1100ELNS1_3gpuE3ELNS1_3repE0EEENS1_30default_config_static_selectorELNS0_4arch9wavefront6targetE1EEEvT1_,comdat
.Lfunc_end376:
	.size	_ZN7rocprim17ROCPRIM_400000_NS6detail17trampoline_kernelINS0_14default_configENS1_20scan_config_selectorIxEEZZNS1_9scan_implILNS1_25lookback_scan_determinismE0ELb1ELb1ES3_N6thrust23THRUST_200600_302600_NS6detail15normal_iteratorINS9_10device_ptrIxEEEESE_xNS9_4plusIxEExEEDaPvRmT3_T4_T5_mT6_P12ihipStream_tbENKUlT_T0_E_clISt17integral_constantIbLb1EESU_EEDaSP_SQ_EUlSP_E0_NS1_11comp_targetILNS1_3genE9ELNS1_11target_archE1100ELNS1_3gpuE3ELNS1_3repE0EEENS1_30default_config_static_selectorELNS0_4arch9wavefront6targetE1EEEvT1_, .Lfunc_end376-_ZN7rocprim17ROCPRIM_400000_NS6detail17trampoline_kernelINS0_14default_configENS1_20scan_config_selectorIxEEZZNS1_9scan_implILNS1_25lookback_scan_determinismE0ELb1ELb1ES3_N6thrust23THRUST_200600_302600_NS6detail15normal_iteratorINS9_10device_ptrIxEEEESE_xNS9_4plusIxEExEEDaPvRmT3_T4_T5_mT6_P12ihipStream_tbENKUlT_T0_E_clISt17integral_constantIbLb1EESU_EEDaSP_SQ_EUlSP_E0_NS1_11comp_targetILNS1_3genE9ELNS1_11target_archE1100ELNS1_3gpuE3ELNS1_3repE0EEENS1_30default_config_static_selectorELNS0_4arch9wavefront6targetE1EEEvT1_
                                        ; -- End function
	.section	.AMDGPU.csdata,"",@progbits
; Kernel info:
; codeLenInByte = 0
; NumSgprs: 4
; NumVgprs: 0
; NumAgprs: 0
; TotalNumVgprs: 0
; ScratchSize: 0
; MemoryBound: 0
; FloatMode: 240
; IeeeMode: 1
; LDSByteSize: 0 bytes/workgroup (compile time only)
; SGPRBlocks: 0
; VGPRBlocks: 0
; NumSGPRsForWavesPerEU: 4
; NumVGPRsForWavesPerEU: 1
; AccumOffset: 4
; Occupancy: 8
; WaveLimiterHint : 0
; COMPUTE_PGM_RSRC2:SCRATCH_EN: 0
; COMPUTE_PGM_RSRC2:USER_SGPR: 6
; COMPUTE_PGM_RSRC2:TRAP_HANDLER: 0
; COMPUTE_PGM_RSRC2:TGID_X_EN: 1
; COMPUTE_PGM_RSRC2:TGID_Y_EN: 0
; COMPUTE_PGM_RSRC2:TGID_Z_EN: 0
; COMPUTE_PGM_RSRC2:TIDIG_COMP_CNT: 0
; COMPUTE_PGM_RSRC3_GFX90A:ACCUM_OFFSET: 0
; COMPUTE_PGM_RSRC3_GFX90A:TG_SPLIT: 0
	.section	.text._ZN7rocprim17ROCPRIM_400000_NS6detail17trampoline_kernelINS0_14default_configENS1_20scan_config_selectorIxEEZZNS1_9scan_implILNS1_25lookback_scan_determinismE0ELb1ELb1ES3_N6thrust23THRUST_200600_302600_NS6detail15normal_iteratorINS9_10device_ptrIxEEEESE_xNS9_4plusIxEExEEDaPvRmT3_T4_T5_mT6_P12ihipStream_tbENKUlT_T0_E_clISt17integral_constantIbLb1EESU_EEDaSP_SQ_EUlSP_E0_NS1_11comp_targetILNS1_3genE8ELNS1_11target_archE1030ELNS1_3gpuE2ELNS1_3repE0EEENS1_30default_config_static_selectorELNS0_4arch9wavefront6targetE1EEEvT1_,"axG",@progbits,_ZN7rocprim17ROCPRIM_400000_NS6detail17trampoline_kernelINS0_14default_configENS1_20scan_config_selectorIxEEZZNS1_9scan_implILNS1_25lookback_scan_determinismE0ELb1ELb1ES3_N6thrust23THRUST_200600_302600_NS6detail15normal_iteratorINS9_10device_ptrIxEEEESE_xNS9_4plusIxEExEEDaPvRmT3_T4_T5_mT6_P12ihipStream_tbENKUlT_T0_E_clISt17integral_constantIbLb1EESU_EEDaSP_SQ_EUlSP_E0_NS1_11comp_targetILNS1_3genE8ELNS1_11target_archE1030ELNS1_3gpuE2ELNS1_3repE0EEENS1_30default_config_static_selectorELNS0_4arch9wavefront6targetE1EEEvT1_,comdat
	.protected	_ZN7rocprim17ROCPRIM_400000_NS6detail17trampoline_kernelINS0_14default_configENS1_20scan_config_selectorIxEEZZNS1_9scan_implILNS1_25lookback_scan_determinismE0ELb1ELb1ES3_N6thrust23THRUST_200600_302600_NS6detail15normal_iteratorINS9_10device_ptrIxEEEESE_xNS9_4plusIxEExEEDaPvRmT3_T4_T5_mT6_P12ihipStream_tbENKUlT_T0_E_clISt17integral_constantIbLb1EESU_EEDaSP_SQ_EUlSP_E0_NS1_11comp_targetILNS1_3genE8ELNS1_11target_archE1030ELNS1_3gpuE2ELNS1_3repE0EEENS1_30default_config_static_selectorELNS0_4arch9wavefront6targetE1EEEvT1_ ; -- Begin function _ZN7rocprim17ROCPRIM_400000_NS6detail17trampoline_kernelINS0_14default_configENS1_20scan_config_selectorIxEEZZNS1_9scan_implILNS1_25lookback_scan_determinismE0ELb1ELb1ES3_N6thrust23THRUST_200600_302600_NS6detail15normal_iteratorINS9_10device_ptrIxEEEESE_xNS9_4plusIxEExEEDaPvRmT3_T4_T5_mT6_P12ihipStream_tbENKUlT_T0_E_clISt17integral_constantIbLb1EESU_EEDaSP_SQ_EUlSP_E0_NS1_11comp_targetILNS1_3genE8ELNS1_11target_archE1030ELNS1_3gpuE2ELNS1_3repE0EEENS1_30default_config_static_selectorELNS0_4arch9wavefront6targetE1EEEvT1_
	.globl	_ZN7rocprim17ROCPRIM_400000_NS6detail17trampoline_kernelINS0_14default_configENS1_20scan_config_selectorIxEEZZNS1_9scan_implILNS1_25lookback_scan_determinismE0ELb1ELb1ES3_N6thrust23THRUST_200600_302600_NS6detail15normal_iteratorINS9_10device_ptrIxEEEESE_xNS9_4plusIxEExEEDaPvRmT3_T4_T5_mT6_P12ihipStream_tbENKUlT_T0_E_clISt17integral_constantIbLb1EESU_EEDaSP_SQ_EUlSP_E0_NS1_11comp_targetILNS1_3genE8ELNS1_11target_archE1030ELNS1_3gpuE2ELNS1_3repE0EEENS1_30default_config_static_selectorELNS0_4arch9wavefront6targetE1EEEvT1_
	.p2align	8
	.type	_ZN7rocprim17ROCPRIM_400000_NS6detail17trampoline_kernelINS0_14default_configENS1_20scan_config_selectorIxEEZZNS1_9scan_implILNS1_25lookback_scan_determinismE0ELb1ELb1ES3_N6thrust23THRUST_200600_302600_NS6detail15normal_iteratorINS9_10device_ptrIxEEEESE_xNS9_4plusIxEExEEDaPvRmT3_T4_T5_mT6_P12ihipStream_tbENKUlT_T0_E_clISt17integral_constantIbLb1EESU_EEDaSP_SQ_EUlSP_E0_NS1_11comp_targetILNS1_3genE8ELNS1_11target_archE1030ELNS1_3gpuE2ELNS1_3repE0EEENS1_30default_config_static_selectorELNS0_4arch9wavefront6targetE1EEEvT1_,@function
_ZN7rocprim17ROCPRIM_400000_NS6detail17trampoline_kernelINS0_14default_configENS1_20scan_config_selectorIxEEZZNS1_9scan_implILNS1_25lookback_scan_determinismE0ELb1ELb1ES3_N6thrust23THRUST_200600_302600_NS6detail15normal_iteratorINS9_10device_ptrIxEEEESE_xNS9_4plusIxEExEEDaPvRmT3_T4_T5_mT6_P12ihipStream_tbENKUlT_T0_E_clISt17integral_constantIbLb1EESU_EEDaSP_SQ_EUlSP_E0_NS1_11comp_targetILNS1_3genE8ELNS1_11target_archE1030ELNS1_3gpuE2ELNS1_3repE0EEENS1_30default_config_static_selectorELNS0_4arch9wavefront6targetE1EEEvT1_: ; @_ZN7rocprim17ROCPRIM_400000_NS6detail17trampoline_kernelINS0_14default_configENS1_20scan_config_selectorIxEEZZNS1_9scan_implILNS1_25lookback_scan_determinismE0ELb1ELb1ES3_N6thrust23THRUST_200600_302600_NS6detail15normal_iteratorINS9_10device_ptrIxEEEESE_xNS9_4plusIxEExEEDaPvRmT3_T4_T5_mT6_P12ihipStream_tbENKUlT_T0_E_clISt17integral_constantIbLb1EESU_EEDaSP_SQ_EUlSP_E0_NS1_11comp_targetILNS1_3genE8ELNS1_11target_archE1030ELNS1_3gpuE2ELNS1_3repE0EEENS1_30default_config_static_selectorELNS0_4arch9wavefront6targetE1EEEvT1_
; %bb.0:
	.section	.rodata,"a",@progbits
	.p2align	6, 0x0
	.amdhsa_kernel _ZN7rocprim17ROCPRIM_400000_NS6detail17trampoline_kernelINS0_14default_configENS1_20scan_config_selectorIxEEZZNS1_9scan_implILNS1_25lookback_scan_determinismE0ELb1ELb1ES3_N6thrust23THRUST_200600_302600_NS6detail15normal_iteratorINS9_10device_ptrIxEEEESE_xNS9_4plusIxEExEEDaPvRmT3_T4_T5_mT6_P12ihipStream_tbENKUlT_T0_E_clISt17integral_constantIbLb1EESU_EEDaSP_SQ_EUlSP_E0_NS1_11comp_targetILNS1_3genE8ELNS1_11target_archE1030ELNS1_3gpuE2ELNS1_3repE0EEENS1_30default_config_static_selectorELNS0_4arch9wavefront6targetE1EEEvT1_
		.amdhsa_group_segment_fixed_size 0
		.amdhsa_private_segment_fixed_size 0
		.amdhsa_kernarg_size 40
		.amdhsa_user_sgpr_count 6
		.amdhsa_user_sgpr_private_segment_buffer 1
		.amdhsa_user_sgpr_dispatch_ptr 0
		.amdhsa_user_sgpr_queue_ptr 0
		.amdhsa_user_sgpr_kernarg_segment_ptr 1
		.amdhsa_user_sgpr_dispatch_id 0
		.amdhsa_user_sgpr_flat_scratch_init 0
		.amdhsa_user_sgpr_kernarg_preload_length 0
		.amdhsa_user_sgpr_kernarg_preload_offset 0
		.amdhsa_user_sgpr_private_segment_size 0
		.amdhsa_uses_dynamic_stack 0
		.amdhsa_system_sgpr_private_segment_wavefront_offset 0
		.amdhsa_system_sgpr_workgroup_id_x 1
		.amdhsa_system_sgpr_workgroup_id_y 0
		.amdhsa_system_sgpr_workgroup_id_z 0
		.amdhsa_system_sgpr_workgroup_info 0
		.amdhsa_system_vgpr_workitem_id 0
		.amdhsa_next_free_vgpr 1
		.amdhsa_next_free_sgpr 0
		.amdhsa_accum_offset 4
		.amdhsa_reserve_vcc 0
		.amdhsa_reserve_flat_scratch 0
		.amdhsa_float_round_mode_32 0
		.amdhsa_float_round_mode_16_64 0
		.amdhsa_float_denorm_mode_32 3
		.amdhsa_float_denorm_mode_16_64 3
		.amdhsa_dx10_clamp 1
		.amdhsa_ieee_mode 1
		.amdhsa_fp16_overflow 0
		.amdhsa_tg_split 0
		.amdhsa_exception_fp_ieee_invalid_op 0
		.amdhsa_exception_fp_denorm_src 0
		.amdhsa_exception_fp_ieee_div_zero 0
		.amdhsa_exception_fp_ieee_overflow 0
		.amdhsa_exception_fp_ieee_underflow 0
		.amdhsa_exception_fp_ieee_inexact 0
		.amdhsa_exception_int_div_zero 0
	.end_amdhsa_kernel
	.section	.text._ZN7rocprim17ROCPRIM_400000_NS6detail17trampoline_kernelINS0_14default_configENS1_20scan_config_selectorIxEEZZNS1_9scan_implILNS1_25lookback_scan_determinismE0ELb1ELb1ES3_N6thrust23THRUST_200600_302600_NS6detail15normal_iteratorINS9_10device_ptrIxEEEESE_xNS9_4plusIxEExEEDaPvRmT3_T4_T5_mT6_P12ihipStream_tbENKUlT_T0_E_clISt17integral_constantIbLb1EESU_EEDaSP_SQ_EUlSP_E0_NS1_11comp_targetILNS1_3genE8ELNS1_11target_archE1030ELNS1_3gpuE2ELNS1_3repE0EEENS1_30default_config_static_selectorELNS0_4arch9wavefront6targetE1EEEvT1_,"axG",@progbits,_ZN7rocprim17ROCPRIM_400000_NS6detail17trampoline_kernelINS0_14default_configENS1_20scan_config_selectorIxEEZZNS1_9scan_implILNS1_25lookback_scan_determinismE0ELb1ELb1ES3_N6thrust23THRUST_200600_302600_NS6detail15normal_iteratorINS9_10device_ptrIxEEEESE_xNS9_4plusIxEExEEDaPvRmT3_T4_T5_mT6_P12ihipStream_tbENKUlT_T0_E_clISt17integral_constantIbLb1EESU_EEDaSP_SQ_EUlSP_E0_NS1_11comp_targetILNS1_3genE8ELNS1_11target_archE1030ELNS1_3gpuE2ELNS1_3repE0EEENS1_30default_config_static_selectorELNS0_4arch9wavefront6targetE1EEEvT1_,comdat
.Lfunc_end377:
	.size	_ZN7rocprim17ROCPRIM_400000_NS6detail17trampoline_kernelINS0_14default_configENS1_20scan_config_selectorIxEEZZNS1_9scan_implILNS1_25lookback_scan_determinismE0ELb1ELb1ES3_N6thrust23THRUST_200600_302600_NS6detail15normal_iteratorINS9_10device_ptrIxEEEESE_xNS9_4plusIxEExEEDaPvRmT3_T4_T5_mT6_P12ihipStream_tbENKUlT_T0_E_clISt17integral_constantIbLb1EESU_EEDaSP_SQ_EUlSP_E0_NS1_11comp_targetILNS1_3genE8ELNS1_11target_archE1030ELNS1_3gpuE2ELNS1_3repE0EEENS1_30default_config_static_selectorELNS0_4arch9wavefront6targetE1EEEvT1_, .Lfunc_end377-_ZN7rocprim17ROCPRIM_400000_NS6detail17trampoline_kernelINS0_14default_configENS1_20scan_config_selectorIxEEZZNS1_9scan_implILNS1_25lookback_scan_determinismE0ELb1ELb1ES3_N6thrust23THRUST_200600_302600_NS6detail15normal_iteratorINS9_10device_ptrIxEEEESE_xNS9_4plusIxEExEEDaPvRmT3_T4_T5_mT6_P12ihipStream_tbENKUlT_T0_E_clISt17integral_constantIbLb1EESU_EEDaSP_SQ_EUlSP_E0_NS1_11comp_targetILNS1_3genE8ELNS1_11target_archE1030ELNS1_3gpuE2ELNS1_3repE0EEENS1_30default_config_static_selectorELNS0_4arch9wavefront6targetE1EEEvT1_
                                        ; -- End function
	.section	.AMDGPU.csdata,"",@progbits
; Kernel info:
; codeLenInByte = 0
; NumSgprs: 4
; NumVgprs: 0
; NumAgprs: 0
; TotalNumVgprs: 0
; ScratchSize: 0
; MemoryBound: 0
; FloatMode: 240
; IeeeMode: 1
; LDSByteSize: 0 bytes/workgroup (compile time only)
; SGPRBlocks: 0
; VGPRBlocks: 0
; NumSGPRsForWavesPerEU: 4
; NumVGPRsForWavesPerEU: 1
; AccumOffset: 4
; Occupancy: 8
; WaveLimiterHint : 0
; COMPUTE_PGM_RSRC2:SCRATCH_EN: 0
; COMPUTE_PGM_RSRC2:USER_SGPR: 6
; COMPUTE_PGM_RSRC2:TRAP_HANDLER: 0
; COMPUTE_PGM_RSRC2:TGID_X_EN: 1
; COMPUTE_PGM_RSRC2:TGID_Y_EN: 0
; COMPUTE_PGM_RSRC2:TGID_Z_EN: 0
; COMPUTE_PGM_RSRC2:TIDIG_COMP_CNT: 0
; COMPUTE_PGM_RSRC3_GFX90A:ACCUM_OFFSET: 0
; COMPUTE_PGM_RSRC3_GFX90A:TG_SPLIT: 0
	.section	.text._ZN7rocprim17ROCPRIM_400000_NS6detail17trampoline_kernelINS0_14default_configENS1_20scan_config_selectorIxEEZZNS1_9scan_implILNS1_25lookback_scan_determinismE0ELb1ELb1ES3_N6thrust23THRUST_200600_302600_NS6detail15normal_iteratorINS9_10device_ptrIxEEEESE_xNS9_4plusIxEExEEDaPvRmT3_T4_T5_mT6_P12ihipStream_tbENKUlT_T0_E_clISt17integral_constantIbLb1EEST_IbLb0EEEEDaSP_SQ_EUlSP_E_NS1_11comp_targetILNS1_3genE0ELNS1_11target_archE4294967295ELNS1_3gpuE0ELNS1_3repE0EEENS1_30default_config_static_selectorELNS0_4arch9wavefront6targetE1EEEvT1_,"axG",@progbits,_ZN7rocprim17ROCPRIM_400000_NS6detail17trampoline_kernelINS0_14default_configENS1_20scan_config_selectorIxEEZZNS1_9scan_implILNS1_25lookback_scan_determinismE0ELb1ELb1ES3_N6thrust23THRUST_200600_302600_NS6detail15normal_iteratorINS9_10device_ptrIxEEEESE_xNS9_4plusIxEExEEDaPvRmT3_T4_T5_mT6_P12ihipStream_tbENKUlT_T0_E_clISt17integral_constantIbLb1EEST_IbLb0EEEEDaSP_SQ_EUlSP_E_NS1_11comp_targetILNS1_3genE0ELNS1_11target_archE4294967295ELNS1_3gpuE0ELNS1_3repE0EEENS1_30default_config_static_selectorELNS0_4arch9wavefront6targetE1EEEvT1_,comdat
	.protected	_ZN7rocprim17ROCPRIM_400000_NS6detail17trampoline_kernelINS0_14default_configENS1_20scan_config_selectorIxEEZZNS1_9scan_implILNS1_25lookback_scan_determinismE0ELb1ELb1ES3_N6thrust23THRUST_200600_302600_NS6detail15normal_iteratorINS9_10device_ptrIxEEEESE_xNS9_4plusIxEExEEDaPvRmT3_T4_T5_mT6_P12ihipStream_tbENKUlT_T0_E_clISt17integral_constantIbLb1EEST_IbLb0EEEEDaSP_SQ_EUlSP_E_NS1_11comp_targetILNS1_3genE0ELNS1_11target_archE4294967295ELNS1_3gpuE0ELNS1_3repE0EEENS1_30default_config_static_selectorELNS0_4arch9wavefront6targetE1EEEvT1_ ; -- Begin function _ZN7rocprim17ROCPRIM_400000_NS6detail17trampoline_kernelINS0_14default_configENS1_20scan_config_selectorIxEEZZNS1_9scan_implILNS1_25lookback_scan_determinismE0ELb1ELb1ES3_N6thrust23THRUST_200600_302600_NS6detail15normal_iteratorINS9_10device_ptrIxEEEESE_xNS9_4plusIxEExEEDaPvRmT3_T4_T5_mT6_P12ihipStream_tbENKUlT_T0_E_clISt17integral_constantIbLb1EEST_IbLb0EEEEDaSP_SQ_EUlSP_E_NS1_11comp_targetILNS1_3genE0ELNS1_11target_archE4294967295ELNS1_3gpuE0ELNS1_3repE0EEENS1_30default_config_static_selectorELNS0_4arch9wavefront6targetE1EEEvT1_
	.globl	_ZN7rocprim17ROCPRIM_400000_NS6detail17trampoline_kernelINS0_14default_configENS1_20scan_config_selectorIxEEZZNS1_9scan_implILNS1_25lookback_scan_determinismE0ELb1ELb1ES3_N6thrust23THRUST_200600_302600_NS6detail15normal_iteratorINS9_10device_ptrIxEEEESE_xNS9_4plusIxEExEEDaPvRmT3_T4_T5_mT6_P12ihipStream_tbENKUlT_T0_E_clISt17integral_constantIbLb1EEST_IbLb0EEEEDaSP_SQ_EUlSP_E_NS1_11comp_targetILNS1_3genE0ELNS1_11target_archE4294967295ELNS1_3gpuE0ELNS1_3repE0EEENS1_30default_config_static_selectorELNS0_4arch9wavefront6targetE1EEEvT1_
	.p2align	8
	.type	_ZN7rocprim17ROCPRIM_400000_NS6detail17trampoline_kernelINS0_14default_configENS1_20scan_config_selectorIxEEZZNS1_9scan_implILNS1_25lookback_scan_determinismE0ELb1ELb1ES3_N6thrust23THRUST_200600_302600_NS6detail15normal_iteratorINS9_10device_ptrIxEEEESE_xNS9_4plusIxEExEEDaPvRmT3_T4_T5_mT6_P12ihipStream_tbENKUlT_T0_E_clISt17integral_constantIbLb1EEST_IbLb0EEEEDaSP_SQ_EUlSP_E_NS1_11comp_targetILNS1_3genE0ELNS1_11target_archE4294967295ELNS1_3gpuE0ELNS1_3repE0EEENS1_30default_config_static_selectorELNS0_4arch9wavefront6targetE1EEEvT1_,@function
_ZN7rocprim17ROCPRIM_400000_NS6detail17trampoline_kernelINS0_14default_configENS1_20scan_config_selectorIxEEZZNS1_9scan_implILNS1_25lookback_scan_determinismE0ELb1ELb1ES3_N6thrust23THRUST_200600_302600_NS6detail15normal_iteratorINS9_10device_ptrIxEEEESE_xNS9_4plusIxEExEEDaPvRmT3_T4_T5_mT6_P12ihipStream_tbENKUlT_T0_E_clISt17integral_constantIbLb1EEST_IbLb0EEEEDaSP_SQ_EUlSP_E_NS1_11comp_targetILNS1_3genE0ELNS1_11target_archE4294967295ELNS1_3gpuE0ELNS1_3repE0EEENS1_30default_config_static_selectorELNS0_4arch9wavefront6targetE1EEEvT1_: ; @_ZN7rocprim17ROCPRIM_400000_NS6detail17trampoline_kernelINS0_14default_configENS1_20scan_config_selectorIxEEZZNS1_9scan_implILNS1_25lookback_scan_determinismE0ELb1ELb1ES3_N6thrust23THRUST_200600_302600_NS6detail15normal_iteratorINS9_10device_ptrIxEEEESE_xNS9_4plusIxEExEEDaPvRmT3_T4_T5_mT6_P12ihipStream_tbENKUlT_T0_E_clISt17integral_constantIbLb1EEST_IbLb0EEEEDaSP_SQ_EUlSP_E_NS1_11comp_targetILNS1_3genE0ELNS1_11target_archE4294967295ELNS1_3gpuE0ELNS1_3repE0EEENS1_30default_config_static_selectorELNS0_4arch9wavefront6targetE1EEEvT1_
; %bb.0:
	.section	.rodata,"a",@progbits
	.p2align	6, 0x0
	.amdhsa_kernel _ZN7rocprim17ROCPRIM_400000_NS6detail17trampoline_kernelINS0_14default_configENS1_20scan_config_selectorIxEEZZNS1_9scan_implILNS1_25lookback_scan_determinismE0ELb1ELb1ES3_N6thrust23THRUST_200600_302600_NS6detail15normal_iteratorINS9_10device_ptrIxEEEESE_xNS9_4plusIxEExEEDaPvRmT3_T4_T5_mT6_P12ihipStream_tbENKUlT_T0_E_clISt17integral_constantIbLb1EEST_IbLb0EEEEDaSP_SQ_EUlSP_E_NS1_11comp_targetILNS1_3genE0ELNS1_11target_archE4294967295ELNS1_3gpuE0ELNS1_3repE0EEENS1_30default_config_static_selectorELNS0_4arch9wavefront6targetE1EEEvT1_
		.amdhsa_group_segment_fixed_size 0
		.amdhsa_private_segment_fixed_size 0
		.amdhsa_kernarg_size 104
		.amdhsa_user_sgpr_count 6
		.amdhsa_user_sgpr_private_segment_buffer 1
		.amdhsa_user_sgpr_dispatch_ptr 0
		.amdhsa_user_sgpr_queue_ptr 0
		.amdhsa_user_sgpr_kernarg_segment_ptr 1
		.amdhsa_user_sgpr_dispatch_id 0
		.amdhsa_user_sgpr_flat_scratch_init 0
		.amdhsa_user_sgpr_kernarg_preload_length 0
		.amdhsa_user_sgpr_kernarg_preload_offset 0
		.amdhsa_user_sgpr_private_segment_size 0
		.amdhsa_uses_dynamic_stack 0
		.amdhsa_system_sgpr_private_segment_wavefront_offset 0
		.amdhsa_system_sgpr_workgroup_id_x 1
		.amdhsa_system_sgpr_workgroup_id_y 0
		.amdhsa_system_sgpr_workgroup_id_z 0
		.amdhsa_system_sgpr_workgroup_info 0
		.amdhsa_system_vgpr_workitem_id 0
		.amdhsa_next_free_vgpr 1
		.amdhsa_next_free_sgpr 0
		.amdhsa_accum_offset 4
		.amdhsa_reserve_vcc 0
		.amdhsa_reserve_flat_scratch 0
		.amdhsa_float_round_mode_32 0
		.amdhsa_float_round_mode_16_64 0
		.amdhsa_float_denorm_mode_32 3
		.amdhsa_float_denorm_mode_16_64 3
		.amdhsa_dx10_clamp 1
		.amdhsa_ieee_mode 1
		.amdhsa_fp16_overflow 0
		.amdhsa_tg_split 0
		.amdhsa_exception_fp_ieee_invalid_op 0
		.amdhsa_exception_fp_denorm_src 0
		.amdhsa_exception_fp_ieee_div_zero 0
		.amdhsa_exception_fp_ieee_overflow 0
		.amdhsa_exception_fp_ieee_underflow 0
		.amdhsa_exception_fp_ieee_inexact 0
		.amdhsa_exception_int_div_zero 0
	.end_amdhsa_kernel
	.section	.text._ZN7rocprim17ROCPRIM_400000_NS6detail17trampoline_kernelINS0_14default_configENS1_20scan_config_selectorIxEEZZNS1_9scan_implILNS1_25lookback_scan_determinismE0ELb1ELb1ES3_N6thrust23THRUST_200600_302600_NS6detail15normal_iteratorINS9_10device_ptrIxEEEESE_xNS9_4plusIxEExEEDaPvRmT3_T4_T5_mT6_P12ihipStream_tbENKUlT_T0_E_clISt17integral_constantIbLb1EEST_IbLb0EEEEDaSP_SQ_EUlSP_E_NS1_11comp_targetILNS1_3genE0ELNS1_11target_archE4294967295ELNS1_3gpuE0ELNS1_3repE0EEENS1_30default_config_static_selectorELNS0_4arch9wavefront6targetE1EEEvT1_,"axG",@progbits,_ZN7rocprim17ROCPRIM_400000_NS6detail17trampoline_kernelINS0_14default_configENS1_20scan_config_selectorIxEEZZNS1_9scan_implILNS1_25lookback_scan_determinismE0ELb1ELb1ES3_N6thrust23THRUST_200600_302600_NS6detail15normal_iteratorINS9_10device_ptrIxEEEESE_xNS9_4plusIxEExEEDaPvRmT3_T4_T5_mT6_P12ihipStream_tbENKUlT_T0_E_clISt17integral_constantIbLb1EEST_IbLb0EEEEDaSP_SQ_EUlSP_E_NS1_11comp_targetILNS1_3genE0ELNS1_11target_archE4294967295ELNS1_3gpuE0ELNS1_3repE0EEENS1_30default_config_static_selectorELNS0_4arch9wavefront6targetE1EEEvT1_,comdat
.Lfunc_end378:
	.size	_ZN7rocprim17ROCPRIM_400000_NS6detail17trampoline_kernelINS0_14default_configENS1_20scan_config_selectorIxEEZZNS1_9scan_implILNS1_25lookback_scan_determinismE0ELb1ELb1ES3_N6thrust23THRUST_200600_302600_NS6detail15normal_iteratorINS9_10device_ptrIxEEEESE_xNS9_4plusIxEExEEDaPvRmT3_T4_T5_mT6_P12ihipStream_tbENKUlT_T0_E_clISt17integral_constantIbLb1EEST_IbLb0EEEEDaSP_SQ_EUlSP_E_NS1_11comp_targetILNS1_3genE0ELNS1_11target_archE4294967295ELNS1_3gpuE0ELNS1_3repE0EEENS1_30default_config_static_selectorELNS0_4arch9wavefront6targetE1EEEvT1_, .Lfunc_end378-_ZN7rocprim17ROCPRIM_400000_NS6detail17trampoline_kernelINS0_14default_configENS1_20scan_config_selectorIxEEZZNS1_9scan_implILNS1_25lookback_scan_determinismE0ELb1ELb1ES3_N6thrust23THRUST_200600_302600_NS6detail15normal_iteratorINS9_10device_ptrIxEEEESE_xNS9_4plusIxEExEEDaPvRmT3_T4_T5_mT6_P12ihipStream_tbENKUlT_T0_E_clISt17integral_constantIbLb1EEST_IbLb0EEEEDaSP_SQ_EUlSP_E_NS1_11comp_targetILNS1_3genE0ELNS1_11target_archE4294967295ELNS1_3gpuE0ELNS1_3repE0EEENS1_30default_config_static_selectorELNS0_4arch9wavefront6targetE1EEEvT1_
                                        ; -- End function
	.section	.AMDGPU.csdata,"",@progbits
; Kernel info:
; codeLenInByte = 0
; NumSgprs: 4
; NumVgprs: 0
; NumAgprs: 0
; TotalNumVgprs: 0
; ScratchSize: 0
; MemoryBound: 0
; FloatMode: 240
; IeeeMode: 1
; LDSByteSize: 0 bytes/workgroup (compile time only)
; SGPRBlocks: 0
; VGPRBlocks: 0
; NumSGPRsForWavesPerEU: 4
; NumVGPRsForWavesPerEU: 1
; AccumOffset: 4
; Occupancy: 8
; WaveLimiterHint : 0
; COMPUTE_PGM_RSRC2:SCRATCH_EN: 0
; COMPUTE_PGM_RSRC2:USER_SGPR: 6
; COMPUTE_PGM_RSRC2:TRAP_HANDLER: 0
; COMPUTE_PGM_RSRC2:TGID_X_EN: 1
; COMPUTE_PGM_RSRC2:TGID_Y_EN: 0
; COMPUTE_PGM_RSRC2:TGID_Z_EN: 0
; COMPUTE_PGM_RSRC2:TIDIG_COMP_CNT: 0
; COMPUTE_PGM_RSRC3_GFX90A:ACCUM_OFFSET: 0
; COMPUTE_PGM_RSRC3_GFX90A:TG_SPLIT: 0
	.section	.text._ZN7rocprim17ROCPRIM_400000_NS6detail17trampoline_kernelINS0_14default_configENS1_20scan_config_selectorIxEEZZNS1_9scan_implILNS1_25lookback_scan_determinismE0ELb1ELb1ES3_N6thrust23THRUST_200600_302600_NS6detail15normal_iteratorINS9_10device_ptrIxEEEESE_xNS9_4plusIxEExEEDaPvRmT3_T4_T5_mT6_P12ihipStream_tbENKUlT_T0_E_clISt17integral_constantIbLb1EEST_IbLb0EEEEDaSP_SQ_EUlSP_E_NS1_11comp_targetILNS1_3genE5ELNS1_11target_archE942ELNS1_3gpuE9ELNS1_3repE0EEENS1_30default_config_static_selectorELNS0_4arch9wavefront6targetE1EEEvT1_,"axG",@progbits,_ZN7rocprim17ROCPRIM_400000_NS6detail17trampoline_kernelINS0_14default_configENS1_20scan_config_selectorIxEEZZNS1_9scan_implILNS1_25lookback_scan_determinismE0ELb1ELb1ES3_N6thrust23THRUST_200600_302600_NS6detail15normal_iteratorINS9_10device_ptrIxEEEESE_xNS9_4plusIxEExEEDaPvRmT3_T4_T5_mT6_P12ihipStream_tbENKUlT_T0_E_clISt17integral_constantIbLb1EEST_IbLb0EEEEDaSP_SQ_EUlSP_E_NS1_11comp_targetILNS1_3genE5ELNS1_11target_archE942ELNS1_3gpuE9ELNS1_3repE0EEENS1_30default_config_static_selectorELNS0_4arch9wavefront6targetE1EEEvT1_,comdat
	.protected	_ZN7rocprim17ROCPRIM_400000_NS6detail17trampoline_kernelINS0_14default_configENS1_20scan_config_selectorIxEEZZNS1_9scan_implILNS1_25lookback_scan_determinismE0ELb1ELb1ES3_N6thrust23THRUST_200600_302600_NS6detail15normal_iteratorINS9_10device_ptrIxEEEESE_xNS9_4plusIxEExEEDaPvRmT3_T4_T5_mT6_P12ihipStream_tbENKUlT_T0_E_clISt17integral_constantIbLb1EEST_IbLb0EEEEDaSP_SQ_EUlSP_E_NS1_11comp_targetILNS1_3genE5ELNS1_11target_archE942ELNS1_3gpuE9ELNS1_3repE0EEENS1_30default_config_static_selectorELNS0_4arch9wavefront6targetE1EEEvT1_ ; -- Begin function _ZN7rocprim17ROCPRIM_400000_NS6detail17trampoline_kernelINS0_14default_configENS1_20scan_config_selectorIxEEZZNS1_9scan_implILNS1_25lookback_scan_determinismE0ELb1ELb1ES3_N6thrust23THRUST_200600_302600_NS6detail15normal_iteratorINS9_10device_ptrIxEEEESE_xNS9_4plusIxEExEEDaPvRmT3_T4_T5_mT6_P12ihipStream_tbENKUlT_T0_E_clISt17integral_constantIbLb1EEST_IbLb0EEEEDaSP_SQ_EUlSP_E_NS1_11comp_targetILNS1_3genE5ELNS1_11target_archE942ELNS1_3gpuE9ELNS1_3repE0EEENS1_30default_config_static_selectorELNS0_4arch9wavefront6targetE1EEEvT1_
	.globl	_ZN7rocprim17ROCPRIM_400000_NS6detail17trampoline_kernelINS0_14default_configENS1_20scan_config_selectorIxEEZZNS1_9scan_implILNS1_25lookback_scan_determinismE0ELb1ELb1ES3_N6thrust23THRUST_200600_302600_NS6detail15normal_iteratorINS9_10device_ptrIxEEEESE_xNS9_4plusIxEExEEDaPvRmT3_T4_T5_mT6_P12ihipStream_tbENKUlT_T0_E_clISt17integral_constantIbLb1EEST_IbLb0EEEEDaSP_SQ_EUlSP_E_NS1_11comp_targetILNS1_3genE5ELNS1_11target_archE942ELNS1_3gpuE9ELNS1_3repE0EEENS1_30default_config_static_selectorELNS0_4arch9wavefront6targetE1EEEvT1_
	.p2align	8
	.type	_ZN7rocprim17ROCPRIM_400000_NS6detail17trampoline_kernelINS0_14default_configENS1_20scan_config_selectorIxEEZZNS1_9scan_implILNS1_25lookback_scan_determinismE0ELb1ELb1ES3_N6thrust23THRUST_200600_302600_NS6detail15normal_iteratorINS9_10device_ptrIxEEEESE_xNS9_4plusIxEExEEDaPvRmT3_T4_T5_mT6_P12ihipStream_tbENKUlT_T0_E_clISt17integral_constantIbLb1EEST_IbLb0EEEEDaSP_SQ_EUlSP_E_NS1_11comp_targetILNS1_3genE5ELNS1_11target_archE942ELNS1_3gpuE9ELNS1_3repE0EEENS1_30default_config_static_selectorELNS0_4arch9wavefront6targetE1EEEvT1_,@function
_ZN7rocprim17ROCPRIM_400000_NS6detail17trampoline_kernelINS0_14default_configENS1_20scan_config_selectorIxEEZZNS1_9scan_implILNS1_25lookback_scan_determinismE0ELb1ELb1ES3_N6thrust23THRUST_200600_302600_NS6detail15normal_iteratorINS9_10device_ptrIxEEEESE_xNS9_4plusIxEExEEDaPvRmT3_T4_T5_mT6_P12ihipStream_tbENKUlT_T0_E_clISt17integral_constantIbLb1EEST_IbLb0EEEEDaSP_SQ_EUlSP_E_NS1_11comp_targetILNS1_3genE5ELNS1_11target_archE942ELNS1_3gpuE9ELNS1_3repE0EEENS1_30default_config_static_selectorELNS0_4arch9wavefront6targetE1EEEvT1_: ; @_ZN7rocprim17ROCPRIM_400000_NS6detail17trampoline_kernelINS0_14default_configENS1_20scan_config_selectorIxEEZZNS1_9scan_implILNS1_25lookback_scan_determinismE0ELb1ELb1ES3_N6thrust23THRUST_200600_302600_NS6detail15normal_iteratorINS9_10device_ptrIxEEEESE_xNS9_4plusIxEExEEDaPvRmT3_T4_T5_mT6_P12ihipStream_tbENKUlT_T0_E_clISt17integral_constantIbLb1EEST_IbLb0EEEEDaSP_SQ_EUlSP_E_NS1_11comp_targetILNS1_3genE5ELNS1_11target_archE942ELNS1_3gpuE9ELNS1_3repE0EEENS1_30default_config_static_selectorELNS0_4arch9wavefront6targetE1EEEvT1_
; %bb.0:
	.section	.rodata,"a",@progbits
	.p2align	6, 0x0
	.amdhsa_kernel _ZN7rocprim17ROCPRIM_400000_NS6detail17trampoline_kernelINS0_14default_configENS1_20scan_config_selectorIxEEZZNS1_9scan_implILNS1_25lookback_scan_determinismE0ELb1ELb1ES3_N6thrust23THRUST_200600_302600_NS6detail15normal_iteratorINS9_10device_ptrIxEEEESE_xNS9_4plusIxEExEEDaPvRmT3_T4_T5_mT6_P12ihipStream_tbENKUlT_T0_E_clISt17integral_constantIbLb1EEST_IbLb0EEEEDaSP_SQ_EUlSP_E_NS1_11comp_targetILNS1_3genE5ELNS1_11target_archE942ELNS1_3gpuE9ELNS1_3repE0EEENS1_30default_config_static_selectorELNS0_4arch9wavefront6targetE1EEEvT1_
		.amdhsa_group_segment_fixed_size 0
		.amdhsa_private_segment_fixed_size 0
		.amdhsa_kernarg_size 104
		.amdhsa_user_sgpr_count 6
		.amdhsa_user_sgpr_private_segment_buffer 1
		.amdhsa_user_sgpr_dispatch_ptr 0
		.amdhsa_user_sgpr_queue_ptr 0
		.amdhsa_user_sgpr_kernarg_segment_ptr 1
		.amdhsa_user_sgpr_dispatch_id 0
		.amdhsa_user_sgpr_flat_scratch_init 0
		.amdhsa_user_sgpr_kernarg_preload_length 0
		.amdhsa_user_sgpr_kernarg_preload_offset 0
		.amdhsa_user_sgpr_private_segment_size 0
		.amdhsa_uses_dynamic_stack 0
		.amdhsa_system_sgpr_private_segment_wavefront_offset 0
		.amdhsa_system_sgpr_workgroup_id_x 1
		.amdhsa_system_sgpr_workgroup_id_y 0
		.amdhsa_system_sgpr_workgroup_id_z 0
		.amdhsa_system_sgpr_workgroup_info 0
		.amdhsa_system_vgpr_workitem_id 0
		.amdhsa_next_free_vgpr 1
		.amdhsa_next_free_sgpr 0
		.amdhsa_accum_offset 4
		.amdhsa_reserve_vcc 0
		.amdhsa_reserve_flat_scratch 0
		.amdhsa_float_round_mode_32 0
		.amdhsa_float_round_mode_16_64 0
		.amdhsa_float_denorm_mode_32 3
		.amdhsa_float_denorm_mode_16_64 3
		.amdhsa_dx10_clamp 1
		.amdhsa_ieee_mode 1
		.amdhsa_fp16_overflow 0
		.amdhsa_tg_split 0
		.amdhsa_exception_fp_ieee_invalid_op 0
		.amdhsa_exception_fp_denorm_src 0
		.amdhsa_exception_fp_ieee_div_zero 0
		.amdhsa_exception_fp_ieee_overflow 0
		.amdhsa_exception_fp_ieee_underflow 0
		.amdhsa_exception_fp_ieee_inexact 0
		.amdhsa_exception_int_div_zero 0
	.end_amdhsa_kernel
	.section	.text._ZN7rocprim17ROCPRIM_400000_NS6detail17trampoline_kernelINS0_14default_configENS1_20scan_config_selectorIxEEZZNS1_9scan_implILNS1_25lookback_scan_determinismE0ELb1ELb1ES3_N6thrust23THRUST_200600_302600_NS6detail15normal_iteratorINS9_10device_ptrIxEEEESE_xNS9_4plusIxEExEEDaPvRmT3_T4_T5_mT6_P12ihipStream_tbENKUlT_T0_E_clISt17integral_constantIbLb1EEST_IbLb0EEEEDaSP_SQ_EUlSP_E_NS1_11comp_targetILNS1_3genE5ELNS1_11target_archE942ELNS1_3gpuE9ELNS1_3repE0EEENS1_30default_config_static_selectorELNS0_4arch9wavefront6targetE1EEEvT1_,"axG",@progbits,_ZN7rocprim17ROCPRIM_400000_NS6detail17trampoline_kernelINS0_14default_configENS1_20scan_config_selectorIxEEZZNS1_9scan_implILNS1_25lookback_scan_determinismE0ELb1ELb1ES3_N6thrust23THRUST_200600_302600_NS6detail15normal_iteratorINS9_10device_ptrIxEEEESE_xNS9_4plusIxEExEEDaPvRmT3_T4_T5_mT6_P12ihipStream_tbENKUlT_T0_E_clISt17integral_constantIbLb1EEST_IbLb0EEEEDaSP_SQ_EUlSP_E_NS1_11comp_targetILNS1_3genE5ELNS1_11target_archE942ELNS1_3gpuE9ELNS1_3repE0EEENS1_30default_config_static_selectorELNS0_4arch9wavefront6targetE1EEEvT1_,comdat
.Lfunc_end379:
	.size	_ZN7rocprim17ROCPRIM_400000_NS6detail17trampoline_kernelINS0_14default_configENS1_20scan_config_selectorIxEEZZNS1_9scan_implILNS1_25lookback_scan_determinismE0ELb1ELb1ES3_N6thrust23THRUST_200600_302600_NS6detail15normal_iteratorINS9_10device_ptrIxEEEESE_xNS9_4plusIxEExEEDaPvRmT3_T4_T5_mT6_P12ihipStream_tbENKUlT_T0_E_clISt17integral_constantIbLb1EEST_IbLb0EEEEDaSP_SQ_EUlSP_E_NS1_11comp_targetILNS1_3genE5ELNS1_11target_archE942ELNS1_3gpuE9ELNS1_3repE0EEENS1_30default_config_static_selectorELNS0_4arch9wavefront6targetE1EEEvT1_, .Lfunc_end379-_ZN7rocprim17ROCPRIM_400000_NS6detail17trampoline_kernelINS0_14default_configENS1_20scan_config_selectorIxEEZZNS1_9scan_implILNS1_25lookback_scan_determinismE0ELb1ELb1ES3_N6thrust23THRUST_200600_302600_NS6detail15normal_iteratorINS9_10device_ptrIxEEEESE_xNS9_4plusIxEExEEDaPvRmT3_T4_T5_mT6_P12ihipStream_tbENKUlT_T0_E_clISt17integral_constantIbLb1EEST_IbLb0EEEEDaSP_SQ_EUlSP_E_NS1_11comp_targetILNS1_3genE5ELNS1_11target_archE942ELNS1_3gpuE9ELNS1_3repE0EEENS1_30default_config_static_selectorELNS0_4arch9wavefront6targetE1EEEvT1_
                                        ; -- End function
	.section	.AMDGPU.csdata,"",@progbits
; Kernel info:
; codeLenInByte = 0
; NumSgprs: 4
; NumVgprs: 0
; NumAgprs: 0
; TotalNumVgprs: 0
; ScratchSize: 0
; MemoryBound: 0
; FloatMode: 240
; IeeeMode: 1
; LDSByteSize: 0 bytes/workgroup (compile time only)
; SGPRBlocks: 0
; VGPRBlocks: 0
; NumSGPRsForWavesPerEU: 4
; NumVGPRsForWavesPerEU: 1
; AccumOffset: 4
; Occupancy: 8
; WaveLimiterHint : 0
; COMPUTE_PGM_RSRC2:SCRATCH_EN: 0
; COMPUTE_PGM_RSRC2:USER_SGPR: 6
; COMPUTE_PGM_RSRC2:TRAP_HANDLER: 0
; COMPUTE_PGM_RSRC2:TGID_X_EN: 1
; COMPUTE_PGM_RSRC2:TGID_Y_EN: 0
; COMPUTE_PGM_RSRC2:TGID_Z_EN: 0
; COMPUTE_PGM_RSRC2:TIDIG_COMP_CNT: 0
; COMPUTE_PGM_RSRC3_GFX90A:ACCUM_OFFSET: 0
; COMPUTE_PGM_RSRC3_GFX90A:TG_SPLIT: 0
	.section	.text._ZN7rocprim17ROCPRIM_400000_NS6detail17trampoline_kernelINS0_14default_configENS1_20scan_config_selectorIxEEZZNS1_9scan_implILNS1_25lookback_scan_determinismE0ELb1ELb1ES3_N6thrust23THRUST_200600_302600_NS6detail15normal_iteratorINS9_10device_ptrIxEEEESE_xNS9_4plusIxEExEEDaPvRmT3_T4_T5_mT6_P12ihipStream_tbENKUlT_T0_E_clISt17integral_constantIbLb1EEST_IbLb0EEEEDaSP_SQ_EUlSP_E_NS1_11comp_targetILNS1_3genE4ELNS1_11target_archE910ELNS1_3gpuE8ELNS1_3repE0EEENS1_30default_config_static_selectorELNS0_4arch9wavefront6targetE1EEEvT1_,"axG",@progbits,_ZN7rocprim17ROCPRIM_400000_NS6detail17trampoline_kernelINS0_14default_configENS1_20scan_config_selectorIxEEZZNS1_9scan_implILNS1_25lookback_scan_determinismE0ELb1ELb1ES3_N6thrust23THRUST_200600_302600_NS6detail15normal_iteratorINS9_10device_ptrIxEEEESE_xNS9_4plusIxEExEEDaPvRmT3_T4_T5_mT6_P12ihipStream_tbENKUlT_T0_E_clISt17integral_constantIbLb1EEST_IbLb0EEEEDaSP_SQ_EUlSP_E_NS1_11comp_targetILNS1_3genE4ELNS1_11target_archE910ELNS1_3gpuE8ELNS1_3repE0EEENS1_30default_config_static_selectorELNS0_4arch9wavefront6targetE1EEEvT1_,comdat
	.protected	_ZN7rocprim17ROCPRIM_400000_NS6detail17trampoline_kernelINS0_14default_configENS1_20scan_config_selectorIxEEZZNS1_9scan_implILNS1_25lookback_scan_determinismE0ELb1ELb1ES3_N6thrust23THRUST_200600_302600_NS6detail15normal_iteratorINS9_10device_ptrIxEEEESE_xNS9_4plusIxEExEEDaPvRmT3_T4_T5_mT6_P12ihipStream_tbENKUlT_T0_E_clISt17integral_constantIbLb1EEST_IbLb0EEEEDaSP_SQ_EUlSP_E_NS1_11comp_targetILNS1_3genE4ELNS1_11target_archE910ELNS1_3gpuE8ELNS1_3repE0EEENS1_30default_config_static_selectorELNS0_4arch9wavefront6targetE1EEEvT1_ ; -- Begin function _ZN7rocprim17ROCPRIM_400000_NS6detail17trampoline_kernelINS0_14default_configENS1_20scan_config_selectorIxEEZZNS1_9scan_implILNS1_25lookback_scan_determinismE0ELb1ELb1ES3_N6thrust23THRUST_200600_302600_NS6detail15normal_iteratorINS9_10device_ptrIxEEEESE_xNS9_4plusIxEExEEDaPvRmT3_T4_T5_mT6_P12ihipStream_tbENKUlT_T0_E_clISt17integral_constantIbLb1EEST_IbLb0EEEEDaSP_SQ_EUlSP_E_NS1_11comp_targetILNS1_3genE4ELNS1_11target_archE910ELNS1_3gpuE8ELNS1_3repE0EEENS1_30default_config_static_selectorELNS0_4arch9wavefront6targetE1EEEvT1_
	.globl	_ZN7rocprim17ROCPRIM_400000_NS6detail17trampoline_kernelINS0_14default_configENS1_20scan_config_selectorIxEEZZNS1_9scan_implILNS1_25lookback_scan_determinismE0ELb1ELb1ES3_N6thrust23THRUST_200600_302600_NS6detail15normal_iteratorINS9_10device_ptrIxEEEESE_xNS9_4plusIxEExEEDaPvRmT3_T4_T5_mT6_P12ihipStream_tbENKUlT_T0_E_clISt17integral_constantIbLb1EEST_IbLb0EEEEDaSP_SQ_EUlSP_E_NS1_11comp_targetILNS1_3genE4ELNS1_11target_archE910ELNS1_3gpuE8ELNS1_3repE0EEENS1_30default_config_static_selectorELNS0_4arch9wavefront6targetE1EEEvT1_
	.p2align	8
	.type	_ZN7rocprim17ROCPRIM_400000_NS6detail17trampoline_kernelINS0_14default_configENS1_20scan_config_selectorIxEEZZNS1_9scan_implILNS1_25lookback_scan_determinismE0ELb1ELb1ES3_N6thrust23THRUST_200600_302600_NS6detail15normal_iteratorINS9_10device_ptrIxEEEESE_xNS9_4plusIxEExEEDaPvRmT3_T4_T5_mT6_P12ihipStream_tbENKUlT_T0_E_clISt17integral_constantIbLb1EEST_IbLb0EEEEDaSP_SQ_EUlSP_E_NS1_11comp_targetILNS1_3genE4ELNS1_11target_archE910ELNS1_3gpuE8ELNS1_3repE0EEENS1_30default_config_static_selectorELNS0_4arch9wavefront6targetE1EEEvT1_,@function
_ZN7rocprim17ROCPRIM_400000_NS6detail17trampoline_kernelINS0_14default_configENS1_20scan_config_selectorIxEEZZNS1_9scan_implILNS1_25lookback_scan_determinismE0ELb1ELb1ES3_N6thrust23THRUST_200600_302600_NS6detail15normal_iteratorINS9_10device_ptrIxEEEESE_xNS9_4plusIxEExEEDaPvRmT3_T4_T5_mT6_P12ihipStream_tbENKUlT_T0_E_clISt17integral_constantIbLb1EEST_IbLb0EEEEDaSP_SQ_EUlSP_E_NS1_11comp_targetILNS1_3genE4ELNS1_11target_archE910ELNS1_3gpuE8ELNS1_3repE0EEENS1_30default_config_static_selectorELNS0_4arch9wavefront6targetE1EEEvT1_: ; @_ZN7rocprim17ROCPRIM_400000_NS6detail17trampoline_kernelINS0_14default_configENS1_20scan_config_selectorIxEEZZNS1_9scan_implILNS1_25lookback_scan_determinismE0ELb1ELb1ES3_N6thrust23THRUST_200600_302600_NS6detail15normal_iteratorINS9_10device_ptrIxEEEESE_xNS9_4plusIxEExEEDaPvRmT3_T4_T5_mT6_P12ihipStream_tbENKUlT_T0_E_clISt17integral_constantIbLb1EEST_IbLb0EEEEDaSP_SQ_EUlSP_E_NS1_11comp_targetILNS1_3genE4ELNS1_11target_archE910ELNS1_3gpuE8ELNS1_3repE0EEENS1_30default_config_static_selectorELNS0_4arch9wavefront6targetE1EEEvT1_
; %bb.0:
	s_load_dwordx8 s[8:15], s[4:5], 0x0
	s_load_dword s1, s[4:5], 0x38
	s_mul_i32 s0, s6, 0x380
	v_lshlrev_b32_e32 v36, 3, v0
	s_waitcnt lgkmcnt(0)
	s_lshl_b64 s[16:17], s[10:11], 3
	s_add_u32 s28, s8, s16
	s_addc_u32 s29, s9, s17
	s_add_i32 s2, s1, -1
	s_mul_i32 s3, s2, 0x380
	s_sub_u32 s26, s14, s3
	s_subb_u32 s27, s15, 0
	s_mov_b32 s1, 0
	s_cmp_lg_u32 s6, s2
	s_cselect_b64 s[14:15], -1, 0
	s_lshl_b64 s[18:19], s[0:1], 3
	s_add_u32 s2, s28, s18
	s_addc_u32 s3, s29, s19
	s_mov_b64 s[0:1], -1
	s_and_b64 vcc, exec, s[14:15]
	s_cbranch_vccz .LBB380_2
; %bb.1:
	v_mov_b32_e32 v1, s3
	v_add_co_u32_e32 v2, vcc, s2, v36
	v_addc_co_u32_e32 v3, vcc, 0, v1, vcc
	flat_load_dwordx2 v[4:5], v[2:3]
	flat_load_dwordx2 v[6:7], v[2:3] offset:1024
	flat_load_dwordx2 v[8:9], v[2:3] offset:2048
	;; [unrolled: 1-line block ×3, first 2 shown]
	v_add_co_u32_e32 v2, vcc, 0x1000, v2
	v_addc_co_u32_e32 v3, vcc, 0, v3, vcc
	flat_load_dwordx2 v[12:13], v[2:3]
	flat_load_dwordx2 v[14:15], v[2:3] offset:1024
	flat_load_dwordx2 v[16:17], v[2:3] offset:2048
	s_mov_b64 s[0:1], 0
	s_waitcnt vmcnt(0) lgkmcnt(0)
	ds_write2st64_b64 v36, v[4:5], v[6:7] offset1:2
	ds_write2st64_b64 v36, v[8:9], v[10:11] offset0:4 offset1:6
	ds_write2st64_b64 v36, v[12:13], v[14:15] offset0:8 offset1:10
	ds_write_b64 v36, v[16:17] offset:6144
	s_waitcnt lgkmcnt(0)
	s_barrier
.LBB380_2:
	s_load_dwordx2 s[22:23], s[4:5], 0x20
	s_load_dwordx2 s[20:21], s[4:5], 0x30
	s_andn2_b64 vcc, exec, s[0:1]
	v_cmp_gt_u32_e64 s[0:1], s26, v0
	s_cbranch_vccnz .LBB380_18
; %bb.3:
	v_pk_mov_b32 v[2:3], s[2:3], s[2:3] op_sel:[0,1]
	flat_load_dwordx2 v[2:3], v[2:3]
	s_waitcnt vmcnt(0) lgkmcnt(0)
	v_mov_b32_e32 v4, v2
	v_mov_b32_e32 v5, v3
	;; [unrolled: 1-line block ×10, first 2 shown]
	v_pk_mov_b32 v[18:19], v[14:15], v[14:15] op_sel:[0,1]
	v_pk_mov_b32 v[16:17], v[12:13], v[12:13] op_sel:[0,1]
	;; [unrolled: 1-line block ×8, first 2 shown]
	s_and_saveexec_b64 s[8:9], s[0:1]
	s_cbranch_execz .LBB380_5
; %bb.4:
	v_mov_b32_e32 v1, s3
	v_add_co_u32_e32 v4, vcc, s2, v36
	v_addc_co_u32_e32 v5, vcc, 0, v1, vcc
	flat_load_dwordx2 v[20:21], v[4:5]
	v_mov_b32_e32 v4, v2
	v_mov_b32_e32 v5, v3
	;; [unrolled: 1-line block ×10, first 2 shown]
	v_pk_mov_b32 v[18:19], v[14:15], v[14:15] op_sel:[0,1]
	v_pk_mov_b32 v[16:17], v[12:13], v[12:13] op_sel:[0,1]
	;; [unrolled: 1-line block ×8, first 2 shown]
	s_waitcnt vmcnt(0) lgkmcnt(0)
	v_pk_mov_b32 v[2:3], v[20:21], v[20:21] op_sel:[0,1]
.LBB380_5:
	s_or_b64 exec, exec, s[8:9]
	v_or_b32_e32 v1, 0x80, v0
	v_cmp_gt_u32_e32 vcc, s26, v1
	s_and_saveexec_b64 s[0:1], vcc
	s_cbranch_execz .LBB380_7
; %bb.6:
	v_mov_b32_e32 v1, s3
	v_add_co_u32_e32 v4, vcc, s2, v36
	v_addc_co_u32_e32 v5, vcc, 0, v1, vcc
	flat_load_dwordx2 v[6:7], v[4:5] offset:1024
.LBB380_7:
	s_or_b64 exec, exec, s[0:1]
	v_or_b32_e32 v1, 0x100, v0
	v_cmp_gt_u32_e32 vcc, s26, v1
	s_and_saveexec_b64 s[0:1], vcc
	s_cbranch_execz .LBB380_9
; %bb.8:
	v_mov_b32_e32 v1, s3
	v_add_co_u32_e32 v4, vcc, s2, v36
	v_addc_co_u32_e32 v5, vcc, 0, v1, vcc
	flat_load_dwordx2 v[8:9], v[4:5] offset:2048
.LBB380_9:
	;; [unrolled: 11-line block ×3, first 2 shown]
	s_or_b64 exec, exec, s[0:1]
	v_or_b32_e32 v1, 0x200, v0
	v_cmp_gt_u32_e32 vcc, s26, v1
	s_and_saveexec_b64 s[0:1], vcc
	s_cbranch_execz .LBB380_13
; %bb.12:
	v_lshlrev_b32_e32 v1, 3, v1
	v_mov_b32_e32 v5, s3
	v_add_co_u32_e32 v4, vcc, s2, v1
	v_addc_co_u32_e32 v5, vcc, 0, v5, vcc
	flat_load_dwordx2 v[12:13], v[4:5]
.LBB380_13:
	s_or_b64 exec, exec, s[0:1]
	v_or_b32_e32 v1, 0x280, v0
	v_cmp_gt_u32_e32 vcc, s26, v1
	s_and_saveexec_b64 s[0:1], vcc
	s_cbranch_execz .LBB380_15
; %bb.14:
	v_lshlrev_b32_e32 v1, 3, v1
	v_mov_b32_e32 v5, s3
	v_add_co_u32_e32 v4, vcc, s2, v1
	v_addc_co_u32_e32 v5, vcc, 0, v5, vcc
	flat_load_dwordx2 v[14:15], v[4:5]
.LBB380_15:
	;; [unrolled: 12-line block ×3, first 2 shown]
	s_or_b64 exec, exec, s[0:1]
	s_waitcnt vmcnt(0) lgkmcnt(0)
	ds_write2st64_b64 v36, v[2:3], v[6:7] offset1:2
	ds_write2st64_b64 v36, v[8:9], v[10:11] offset0:4 offset1:6
	ds_write2st64_b64 v36, v[12:13], v[14:15] offset0:8 offset1:10
	ds_write_b64 v36, v[16:17] offset:6144
	s_waitcnt lgkmcnt(0)
	s_barrier
.LBB380_18:
	v_mul_u32_u24_e32 v37, 7, v0
	v_lshlrev_b32_e32 v1, 3, v37
	s_waitcnt lgkmcnt(0)
	ds_read2_b64 v[10:13], v1 offset1:1
	ds_read2_b64 v[6:9], v1 offset0:2 offset1:3
	ds_read2_b64 v[2:5], v1 offset0:4 offset1:5
	ds_read_b64 v[26:27], v1 offset:48
	s_cmp_lg_u32 s6, 0
	v_lshrrev_b32_e32 v38, 5, v0
	v_cmp_gt_u32_e32 vcc, 64, v0
	s_waitcnt lgkmcnt(0)
	s_barrier
	s_cbranch_scc0 .LBB380_49
; %bb.19:
	v_add_co_u32_e64 v1, s[0:1], v12, v10
	v_addc_co_u32_e64 v14, s[0:1], v13, v11, s[0:1]
	v_add_co_u32_e64 v1, s[0:1], v1, v6
	v_addc_co_u32_e64 v14, s[0:1], v14, v7, s[0:1]
	;; [unrolled: 2-line block ×6, first 2 shown]
	v_add_lshl_u32 v1, v38, v0, 3
	ds_write_b64 v1, v[18:19]
	s_waitcnt lgkmcnt(0)
	s_barrier
	s_and_saveexec_b64 s[8:9], vcc
	s_cbranch_execz .LBB380_23
; %bb.20:
	v_lshlrev_b32_e32 v1, 1, v0
	v_lshrrev_b32_e32 v14, 4, v0
	v_add_lshl_u32 v20, v14, v1, 3
	ds_read2_b64 v[14:17], v20 offset1:1
	v_mbcnt_lo_u32_b32 v1, -1, 0
	s_waitcnt lgkmcnt(0)
	v_add_co_u32_e64 v21, s[0:1], v16, v14
	v_addc_co_u32_e64 v22, s[0:1], v17, v15, s[0:1]
	s_nop 0
	v_mov_b32_dpp v16, v21 row_shr:1 row_mask:0xf bank_mask:0xf
	v_add_co_u32_e64 v16, s[0:1], v21, v16
	v_addc_co_u32_e64 v24, s[0:1], 0, v22, s[0:1]
	v_mbcnt_hi_u32_b32 v17, -1, v1
	v_mov_b32_dpp v23, v22 row_shr:1 row_mask:0xf bank_mask:0xf
	v_add_co_u32_e64 v25, s[0:1], 0, v16
	v_and_b32_e32 v1, 15, v17
	v_addc_co_u32_e64 v23, s[0:1], v23, v24, s[0:1]
	v_cmp_eq_u32_e64 s[0:1], 0, v1
	v_cndmask_b32_e64 v16, v16, v21, s[0:1]
	v_cndmask_b32_e64 v23, v23, v22, s[0:1]
	v_cndmask_b32_e64 v24, v25, v21, s[0:1]
	v_mov_b32_dpp v25, v16 row_shr:2 row_mask:0xf bank_mask:0xf
	v_mov_b32_dpp v28, v23 row_shr:2 row_mask:0xf bank_mask:0xf
	v_add_co_u32_e64 v25, s[0:1], v25, v24
	v_addc_co_u32_e64 v28, s[0:1], v28, v23, s[0:1]
	v_cmp_lt_u32_e64 s[0:1], 1, v1
	v_cndmask_b32_e64 v16, v16, v25, s[0:1]
	v_cndmask_b32_e64 v23, v23, v28, s[0:1]
	v_cndmask_b32_e64 v24, v24, v25, s[0:1]
	v_mov_b32_dpp v25, v16 row_shr:4 row_mask:0xf bank_mask:0xf
	v_mov_b32_dpp v28, v23 row_shr:4 row_mask:0xf bank_mask:0xf
	v_add_co_u32_e64 v25, s[0:1], v25, v24
	v_addc_co_u32_e64 v28, s[0:1], v28, v23, s[0:1]
	v_cmp_lt_u32_e64 s[0:1], 3, v1
	;; [unrolled: 8-line block ×3, first 2 shown]
	v_cndmask_b32_e64 v29, v16, v25, s[0:1]
	v_cndmask_b32_e64 v1, v23, v28, s[0:1]
	v_cndmask_b32_e64 v16, v24, v25, s[0:1]
	v_mov_b32_dpp v23, v29 row_bcast:15 row_mask:0xf bank_mask:0xf
	v_mov_b32_dpp v24, v1 row_bcast:15 row_mask:0xf bank_mask:0xf
	v_add_co_u32_e64 v23, s[0:1], v23, v16
	v_and_b32_e32 v28, 16, v17
	v_addc_co_u32_e64 v25, s[0:1], v24, v1, s[0:1]
	v_cmp_eq_u32_e64 s[0:1], 0, v28
	v_cndmask_b32_e64 v28, v25, v1, s[0:1]
	v_cndmask_b32_e64 v24, v23, v29, s[0:1]
	v_cmp_ne_u32_e64 s[2:3], 0, v17
	v_mov_b32_dpp v28, v28 row_bcast:31 row_mask:0xf bank_mask:0xf
	v_mov_b32_dpp v24, v24 row_bcast:31 row_mask:0xf bank_mask:0xf
	s_and_saveexec_b64 s[10:11], s[2:3]
; %bb.21:
	v_cndmask_b32_e64 v1, v25, v1, s[0:1]
	v_cndmask_b32_e64 v16, v23, v16, s[0:1]
	v_cmp_lt_u32_e64 s[0:1], 31, v17
	v_cndmask_b32_e64 v21, 0, v24, s[0:1]
	v_cndmask_b32_e64 v22, 0, v28, s[0:1]
	v_add_co_u32_e64 v21, s[0:1], v21, v16
	v_addc_co_u32_e64 v22, s[0:1], v22, v1, s[0:1]
; %bb.22:
	s_or_b64 exec, exec, s[10:11]
	v_add_u32_e32 v1, -1, v17
	v_and_b32_e32 v16, 64, v17
	v_cmp_lt_i32_e64 s[0:1], v1, v16
	v_cndmask_b32_e64 v1, v1, v17, s[0:1]
	v_lshlrev_b32_e32 v1, 2, v1
	ds_bpermute_b32 v16, v1, v21
	ds_bpermute_b32 v1, v1, v22
	; wave barrier
	s_waitcnt lgkmcnt(1)
	v_add_co_u32_e64 v14, s[0:1], v14, v16
	v_addc_co_u32_e64 v15, s[0:1], 0, v15, s[0:1]
	v_add_co_u32_e64 v14, s[0:1], 0, v14
	s_waitcnt lgkmcnt(0)
	v_addc_co_u32_e64 v1, s[0:1], v15, v1, s[0:1]
	v_cmp_eq_u32_e64 s[0:1], 0, v0
	v_cndmask_b32_e64 v15, v1, v19, s[0:1]
	v_cndmask_b32_e64 v14, v14, v18, s[0:1]
	ds_write_b64 v20, v[14:15]
	; wave barrier
	ds_read_b64 v[16:17], v20 offset:8
	s_waitcnt lgkmcnt(0)
	v_add_co_u32_e64 v14, s[0:1], v16, v14
	v_addc_co_u32_e64 v15, s[0:1], v17, v15, s[0:1]
	ds_write_b64 v20, v[14:15] offset:8
.LBB380_23:
	s_or_b64 exec, exec, s[8:9]
	v_cmp_eq_u32_e64 s[0:1], 0, v0
	v_cmp_ne_u32_e64 s[2:3], 0, v0
	v_pk_mov_b32 v[22:23], 0, 0
	s_waitcnt lgkmcnt(0)
	s_barrier
	s_and_saveexec_b64 s[8:9], s[2:3]
	s_cbranch_execz .LBB380_25
; %bb.24:
	v_add_u32_e32 v1, -1, v0
	v_lshrrev_b32_e32 v14, 5, v1
	v_add_lshl_u32 v1, v14, v1, 3
	ds_read_b64 v[22:23], v1
.LBB380_25:
	s_or_b64 exec, exec, s[8:9]
	s_and_saveexec_b64 s[24:25], vcc
	s_cbranch_execz .LBB380_48
; %bb.26:
	v_mov_b32_e32 v17, 0
	ds_read_b64 v[14:15], v17 offset:1040
	v_mbcnt_lo_u32_b32 v1, -1, 0
	v_mbcnt_hi_u32_b32 v30, -1, v1
	s_mov_b32 s11, 0
	v_cmp_eq_u32_e64 s[2:3], 0, v30
	s_and_saveexec_b64 s[8:9], s[2:3]
	s_cbranch_execz .LBB380_28
; %bb.27:
	s_add_i32 s10, s6, 64
	s_lshl_b64 s[10:11], s[10:11], 4
	s_add_u32 s10, s20, s10
	s_addc_u32 s11, s21, s11
	v_mov_b32_e32 v16, 1
	v_pk_mov_b32 v[18:19], s[10:11], s[10:11] op_sel:[0,1]
	s_waitcnt lgkmcnt(0)
	;;#ASMSTART
	global_store_dwordx4 v[18:19], v[14:17] off	
s_waitcnt vmcnt(0)
	;;#ASMEND
.LBB380_28:
	s_or_b64 exec, exec, s[8:9]
	v_xad_u32 v24, v30, -1, s6
	v_add_u32_e32 v16, 64, v24
	v_lshlrev_b64 v[18:19], 4, v[16:17]
	v_mov_b32_e32 v1, s21
	v_add_co_u32_e32 v28, vcc, s20, v18
	v_addc_co_u32_e32 v29, vcc, v1, v19, vcc
	;;#ASMSTART
	global_load_dwordx4 v[18:21], v[28:29] off glc	
s_waitcnt vmcnt(0)
	;;#ASMEND
	v_and_b32_e32 v1, 0xff, v19
	v_and_b32_e32 v16, 0xff00, v19
	v_or3_b32 v1, 0, v1, v16
	v_or3_b32 v16, v18, 0, 0
	v_and_b32_e32 v18, 0xff000000, v19
	v_and_b32_e32 v19, 0xff0000, v19
	v_or3_b32 v19, v1, v19, v18
	v_or3_b32 v18, v16, 0, 0
	v_cmp_eq_u16_sdwa s[10:11], v20, v17 src0_sel:BYTE_0 src1_sel:DWORD
	s_and_saveexec_b64 s[8:9], s[10:11]
	s_cbranch_execz .LBB380_34
; %bb.29:
	s_mov_b32 s7, 1
	s_mov_b64 s[10:11], 0
	v_mov_b32_e32 v1, 0
.LBB380_30:                             ; =>This Loop Header: Depth=1
                                        ;     Child Loop BB380_31 Depth 2
	s_max_u32 s30, s7, 1
.LBB380_31:                             ;   Parent Loop BB380_30 Depth=1
                                        ; =>  This Inner Loop Header: Depth=2
	s_add_i32 s30, s30, -1
	s_cmp_eq_u32 s30, 0
	s_sleep 1
	s_cbranch_scc0 .LBB380_31
; %bb.32:                               ;   in Loop: Header=BB380_30 Depth=1
	s_cmp_lt_u32 s7, 32
	s_cselect_b64 s[30:31], -1, 0
	s_cmp_lg_u64 s[30:31], 0
	s_addc_u32 s7, s7, 0
	;;#ASMSTART
	global_load_dwordx4 v[18:21], v[28:29] off glc	
s_waitcnt vmcnt(0)
	;;#ASMEND
	v_cmp_ne_u16_sdwa s[30:31], v20, v1 src0_sel:BYTE_0 src1_sel:DWORD
	s_or_b64 s[10:11], s[30:31], s[10:11]
	s_andn2_b64 exec, exec, s[10:11]
	s_cbranch_execnz .LBB380_30
; %bb.33:
	s_or_b64 exec, exec, s[10:11]
.LBB380_34:
	s_or_b64 exec, exec, s[8:9]
	v_and_b32_e32 v32, 63, v30
	v_cmp_ne_u32_e32 vcc, 63, v32
	v_addc_co_u32_e32 v28, vcc, 0, v30, vcc
	v_lshlrev_b32_e32 v33, 2, v28
	ds_bpermute_b32 v28, v33, v18
	v_mov_b32_e32 v1, 2
	v_cmp_eq_u16_sdwa s[8:9], v20, v1 src0_sel:BYTE_0 src1_sel:DWORD
	v_lshlrev_b64 v[16:17], v30, -1
	ds_bpermute_b32 v29, v33, v19
	v_and_b32_e32 v21, s9, v17
	v_or_b32_e32 v21, 0x80000000, v21
	s_waitcnt lgkmcnt(1)
	v_add_co_u32_e32 v28, vcc, v18, v28
	v_and_b32_e32 v25, s8, v16
	v_ffbl_b32_e32 v21, v21
	v_addc_co_u32_e32 v31, vcc, 0, v19, vcc
	v_add_u32_e32 v21, 32, v21
	v_ffbl_b32_e32 v25, v25
	v_add_co_u32_e32 v35, vcc, 0, v28
	v_cmp_gt_u32_e64 s[8:9], 62, v32
	v_min_u32_e32 v21, v25, v21
	s_waitcnt lgkmcnt(0)
	v_addc_co_u32_e32 v29, vcc, v29, v31, vcc
	v_cndmask_b32_e64 v31, 0, 1, s[8:9]
	v_cmp_lt_u32_e32 vcc, v32, v21
	v_lshlrev_b32_e32 v31, 1, v31
	v_cndmask_b32_e32 v28, v18, v28, vcc
	v_add_lshl_u32 v34, v31, v30, 2
	v_cndmask_b32_e32 v29, v19, v29, vcc
	ds_bpermute_b32 v31, v34, v28
	ds_bpermute_b32 v39, v34, v29
	v_cndmask_b32_e32 v40, v18, v35, vcc
	v_add_u32_e32 v35, 2, v32
	v_cmp_gt_u32_e64 s[10:11], 60, v32
	s_waitcnt lgkmcnt(1)
	v_add_co_u32_e64 v31, s[8:9], v31, v40
	s_waitcnt lgkmcnt(0)
	v_addc_co_u32_e64 v39, s[8:9], v39, v29, s[8:9]
	v_cmp_gt_u32_e64 s[8:9], v35, v21
	v_cndmask_b32_e64 v29, v39, v29, s[8:9]
	v_cndmask_b32_e64 v39, 0, 1, s[10:11]
	v_lshlrev_b32_e32 v39, 2, v39
	v_cndmask_b32_e64 v28, v31, v28, s[8:9]
	v_add_lshl_u32 v39, v39, v30, 2
	ds_bpermute_b32 v41, v39, v28
	ds_bpermute_b32 v42, v39, v29
	v_cndmask_b32_e64 v31, v31, v40, s[8:9]
	v_add_u32_e32 v40, 4, v32
	v_cmp_gt_u32_e64 s[10:11], 56, v32
	s_waitcnt lgkmcnt(1)
	v_add_co_u32_e64 v43, s[8:9], v41, v31
	s_waitcnt lgkmcnt(0)
	v_addc_co_u32_e64 v41, s[8:9], v42, v29, s[8:9]
	v_cmp_gt_u32_e64 s[8:9], v40, v21
	v_cndmask_b32_e64 v29, v41, v29, s[8:9]
	v_cndmask_b32_e64 v41, 0, 1, s[10:11]
	v_lshlrev_b32_e32 v41, 3, v41
	v_cndmask_b32_e64 v28, v43, v28, s[8:9]
	v_add_lshl_u32 v41, v41, v30, 2
	ds_bpermute_b32 v44, v41, v28
	v_cndmask_b32_e64 v31, v43, v31, s[8:9]
	ds_bpermute_b32 v43, v41, v29
	v_add_u32_e32 v42, 8, v32
	v_cmp_gt_u32_e64 s[10:11], 48, v32
	s_waitcnt lgkmcnt(1)
	v_add_co_u32_e64 v44, s[8:9], v44, v31
	s_waitcnt lgkmcnt(0)
	v_addc_co_u32_e64 v43, s[8:9], v43, v29, s[8:9]
	v_cmp_gt_u32_e64 s[8:9], v42, v21
	v_cndmask_b32_e64 v29, v43, v29, s[8:9]
	v_cndmask_b32_e64 v43, 0, 1, s[10:11]
	v_lshlrev_b32_e32 v43, 4, v43
	v_cndmask_b32_e64 v28, v44, v28, s[8:9]
	v_add_lshl_u32 v43, v43, v30, 2
	ds_bpermute_b32 v45, v43, v28
	ds_bpermute_b32 v46, v43, v29
	v_cndmask_b32_e64 v31, v44, v31, s[8:9]
	v_cmp_gt_u32_e64 s[10:11], 32, v32
	v_add_u32_e32 v44, 16, v32
	s_waitcnt lgkmcnt(1)
	v_add_co_u32_e64 v47, s[8:9], v45, v31
	s_waitcnt lgkmcnt(0)
	v_addc_co_u32_e64 v46, s[8:9], v46, v29, s[8:9]
	v_cndmask_b32_e64 v45, 0, 1, s[10:11]
	v_cmp_gt_u32_e64 s[8:9], v44, v21
	v_lshlrev_b32_e32 v45, 5, v45
	v_cndmask_b32_e64 v28, v47, v28, s[8:9]
	v_add_lshl_u32 v45, v45, v30, 2
	v_cndmask_b32_e64 v29, v46, v29, s[8:9]
	ds_bpermute_b32 v28, v45, v28
	ds_bpermute_b32 v30, v45, v29
	v_add_u32_e32 v46, 32, v32
	v_cndmask_b32_e64 v31, v47, v31, s[8:9]
	v_cmp_le_u32_e64 s[8:9], v46, v21
	s_waitcnt lgkmcnt(1)
	v_cndmask_b32_e64 v28, 0, v28, s[8:9]
	s_waitcnt lgkmcnt(0)
	v_cndmask_b32_e64 v21, 0, v30, s[8:9]
	v_add_co_u32_e64 v28, s[8:9], v28, v31
	v_addc_co_u32_e64 v21, s[8:9], v21, v29, s[8:9]
	v_mov_b32_e32 v25, 0
	v_cndmask_b32_e32 v19, v19, v21, vcc
	v_cndmask_b32_e32 v18, v18, v28, vcc
	s_branch .LBB380_36
.LBB380_35:                             ;   in Loop: Header=BB380_36 Depth=1
	s_or_b64 exec, exec, s[8:9]
	v_cmp_eq_u16_sdwa s[8:9], v20, v1 src0_sel:BYTE_0 src1_sel:DWORD
	v_and_b32_e32 v21, s9, v17
	v_or_b32_e32 v21, 0x80000000, v21
	ds_bpermute_b32 v31, v33, v18
	v_and_b32_e32 v30, s8, v16
	v_ffbl_b32_e32 v21, v21
	v_add_u32_e32 v21, 32, v21
	v_ffbl_b32_e32 v30, v30
	v_min_u32_e32 v21, v30, v21
	ds_bpermute_b32 v30, v33, v19
	s_waitcnt lgkmcnt(1)
	v_add_co_u32_e32 v31, vcc, v18, v31
	v_addc_co_u32_e32 v47, vcc, 0, v19, vcc
	v_add_co_u32_e32 v48, vcc, 0, v31
	s_waitcnt lgkmcnt(0)
	v_addc_co_u32_e32 v30, vcc, v30, v47, vcc
	v_cmp_lt_u32_e32 vcc, v32, v21
	v_cndmask_b32_e32 v31, v18, v31, vcc
	ds_bpermute_b32 v47, v34, v31
	v_cndmask_b32_e32 v30, v19, v30, vcc
	ds_bpermute_b32 v49, v34, v30
	v_cndmask_b32_e32 v48, v18, v48, vcc
	v_subrev_u32_e32 v24, 64, v24
	s_waitcnt lgkmcnt(1)
	v_add_co_u32_e64 v47, s[8:9], v47, v48
	s_waitcnt lgkmcnt(0)
	v_addc_co_u32_e64 v49, s[8:9], v49, v30, s[8:9]
	v_cmp_gt_u32_e64 s[8:9], v35, v21
	v_cndmask_b32_e64 v31, v47, v31, s[8:9]
	ds_bpermute_b32 v50, v39, v31
	v_cndmask_b32_e64 v30, v49, v30, s[8:9]
	ds_bpermute_b32 v49, v39, v30
	v_cndmask_b32_e64 v47, v47, v48, s[8:9]
	s_waitcnt lgkmcnt(1)
	v_add_co_u32_e64 v48, s[8:9], v50, v47
	s_waitcnt lgkmcnt(0)
	v_addc_co_u32_e64 v49, s[8:9], v49, v30, s[8:9]
	v_cmp_gt_u32_e64 s[8:9], v40, v21
	v_cndmask_b32_e64 v31, v48, v31, s[8:9]
	ds_bpermute_b32 v50, v41, v31
	v_cndmask_b32_e64 v30, v49, v30, s[8:9]
	ds_bpermute_b32 v49, v41, v30
	v_cndmask_b32_e64 v47, v48, v47, s[8:9]
	;; [unrolled: 10-line block ×3, first 2 shown]
	s_waitcnt lgkmcnt(1)
	v_add_co_u32_e64 v48, s[8:9], v50, v47
	s_waitcnt lgkmcnt(0)
	v_addc_co_u32_e64 v49, s[8:9], v49, v30, s[8:9]
	v_cmp_gt_u32_e64 s[8:9], v44, v21
	v_cndmask_b32_e64 v31, v48, v31, s[8:9]
	v_cndmask_b32_e64 v30, v49, v30, s[8:9]
	ds_bpermute_b32 v31, v45, v31
	ds_bpermute_b32 v49, v45, v30
	v_cndmask_b32_e64 v47, v48, v47, s[8:9]
	v_cmp_le_u32_e64 s[8:9], v46, v21
	s_waitcnt lgkmcnt(1)
	v_cndmask_b32_e64 v31, 0, v31, s[8:9]
	s_waitcnt lgkmcnt(0)
	v_cndmask_b32_e64 v21, 0, v49, s[8:9]
	v_add_co_u32_e64 v31, s[8:9], v31, v47
	v_addc_co_u32_e64 v21, s[8:9], v21, v30, s[8:9]
	v_cndmask_b32_e32 v18, v18, v31, vcc
	v_cndmask_b32_e32 v19, v19, v21, vcc
	v_add_co_u32_e32 v18, vcc, v18, v28
	v_addc_co_u32_e32 v19, vcc, v19, v29, vcc
.LBB380_36:                             ; =>This Loop Header: Depth=1
                                        ;     Child Loop BB380_39 Depth 2
                                        ;       Child Loop BB380_40 Depth 3
	v_cmp_ne_u16_sdwa s[8:9], v20, v1 src0_sel:BYTE_0 src1_sel:DWORD
	v_cndmask_b32_e64 v20, 0, 1, s[8:9]
	;;#ASMSTART
	;;#ASMEND
	v_cmp_ne_u32_e32 vcc, 0, v20
	s_cmp_lg_u64 vcc, exec
	v_pk_mov_b32 v[28:29], v[18:19], v[18:19] op_sel:[0,1]
	s_cbranch_scc1 .LBB380_43
; %bb.37:                               ;   in Loop: Header=BB380_36 Depth=1
	v_lshlrev_b64 v[18:19], 4, v[24:25]
	v_mov_b32_e32 v20, s21
	v_add_co_u32_e32 v30, vcc, s20, v18
	v_addc_co_u32_e32 v31, vcc, v20, v19, vcc
	;;#ASMSTART
	global_load_dwordx4 v[18:21], v[30:31] off glc	
s_waitcnt vmcnt(0)
	;;#ASMEND
	v_and_b32_e32 v21, 0xff, v19
	v_and_b32_e32 v47, 0xff00, v19
	v_or3_b32 v21, 0, v21, v47
	v_or3_b32 v18, v18, 0, 0
	v_and_b32_e32 v47, 0xff000000, v19
	v_and_b32_e32 v19, 0xff0000, v19
	v_or3_b32 v19, v21, v19, v47
	v_or3_b32 v18, v18, 0, 0
	v_cmp_eq_u16_sdwa s[10:11], v20, v25 src0_sel:BYTE_0 src1_sel:DWORD
	s_and_saveexec_b64 s[8:9], s[10:11]
	s_cbranch_execz .LBB380_35
; %bb.38:                               ;   in Loop: Header=BB380_36 Depth=1
	s_mov_b32 s7, 1
	s_mov_b64 s[10:11], 0
.LBB380_39:                             ;   Parent Loop BB380_36 Depth=1
                                        ; =>  This Loop Header: Depth=2
                                        ;       Child Loop BB380_40 Depth 3
	s_max_u32 s30, s7, 1
.LBB380_40:                             ;   Parent Loop BB380_36 Depth=1
                                        ;     Parent Loop BB380_39 Depth=2
                                        ; =>    This Inner Loop Header: Depth=3
	s_add_i32 s30, s30, -1
	s_cmp_eq_u32 s30, 0
	s_sleep 1
	s_cbranch_scc0 .LBB380_40
; %bb.41:                               ;   in Loop: Header=BB380_39 Depth=2
	s_cmp_lt_u32 s7, 32
	s_cselect_b64 s[30:31], -1, 0
	s_cmp_lg_u64 s[30:31], 0
	s_addc_u32 s7, s7, 0
	;;#ASMSTART
	global_load_dwordx4 v[18:21], v[30:31] off glc	
s_waitcnt vmcnt(0)
	;;#ASMEND
	v_cmp_ne_u16_sdwa s[30:31], v20, v25 src0_sel:BYTE_0 src1_sel:DWORD
	s_or_b64 s[10:11], s[30:31], s[10:11]
	s_andn2_b64 exec, exec, s[10:11]
	s_cbranch_execnz .LBB380_39
; %bb.42:                               ;   in Loop: Header=BB380_36 Depth=1
	s_or_b64 exec, exec, s[10:11]
	s_branch .LBB380_35
.LBB380_43:                             ;   in Loop: Header=BB380_36 Depth=1
                                        ; implicit-def: $vgpr18_vgpr19
                                        ; implicit-def: $vgpr20
	s_cbranch_execz .LBB380_36
; %bb.44:
	s_and_saveexec_b64 s[8:9], s[2:3]
	s_cbranch_execz .LBB380_46
; %bb.45:
	s_add_i32 s2, s6, 64
	s_mov_b32 s3, 0
	s_lshl_b64 s[2:3], s[2:3], 4
	s_add_u32 s2, s20, s2
	v_add_co_u32_e32 v14, vcc, v28, v14
	s_addc_u32 s3, s21, s3
	v_addc_co_u32_e32 v15, vcc, v29, v15, vcc
	v_mov_b32_e32 v16, 2
	v_mov_b32_e32 v17, 0
	v_pk_mov_b32 v[18:19], s[2:3], s[2:3] op_sel:[0,1]
	;;#ASMSTART
	global_store_dwordx4 v[18:19], v[14:17] off	
s_waitcnt vmcnt(0)
	;;#ASMEND
.LBB380_46:
	s_or_b64 exec, exec, s[8:9]
	s_and_b64 exec, exec, s[0:1]
	s_cbranch_execz .LBB380_48
; %bb.47:
	v_mov_b32_e32 v1, 0
	ds_write_b64 v1, v[28:29]
.LBB380_48:
	s_or_b64 exec, exec, s[24:25]
	v_mov_b32_e32 v1, 0
	s_waitcnt lgkmcnt(0)
	s_barrier
	ds_read_b64 v[14:15], v1
	s_waitcnt lgkmcnt(0)
	v_add_co_u32_e32 v14, vcc, v14, v22
	v_addc_co_u32_e32 v15, vcc, v15, v23, vcc
	v_add_co_u32_e32 v28, vcc, v14, v10
	v_addc_co_u32_e32 v29, vcc, v15, v11, vcc
	;; [unrolled: 2-line block ×7, first 2 shown]
	s_load_dwordx8 s[0:7], s[4:5], 0x40
	s_branch .LBB380_61
.LBB380_49:
                                        ; implicit-def: $vgpr34_vgpr35
                                        ; implicit-def: $vgpr32_vgpr33
                                        ; implicit-def: $vgpr30_vgpr31
                                        ; implicit-def: $vgpr28_vgpr29
                                        ; implicit-def: $vgpr22_vgpr23_vgpr24_vgpr25
                                        ; implicit-def: $vgpr18_vgpr19_vgpr20_vgpr21
                                        ; implicit-def: $vgpr14_vgpr15_vgpr16_vgpr17
	s_load_dwordx8 s[0:7], s[4:5], 0x40
	s_cbranch_execz .LBB380_61
; %bb.50:
	s_waitcnt lgkmcnt(0)
	s_cmp_eq_u64 s[4:5], 0
	v_pk_mov_b32 v[20:21], s[22:23], s[22:23] op_sel:[0,1]
	s_cbranch_scc1 .LBB380_52
; %bb.51:
	v_mov_b32_e32 v1, 0
	v_mov_b32_e32 v15, s29
	v_add_co_u32_e64 v14, vcc, -8, s28
	v_addc_co_u32_e32 v15, vcc, -1, v15, vcc
	global_load_dwordx2 v[16:17], v1, s[0:1]
	flat_load_dwordx2 v[18:19], v[14:15]
	s_waitcnt vmcnt(0) lgkmcnt(0)
	v_add_co_u32_e32 v20, vcc, v16, v18
	v_addc_co_u32_e32 v21, vcc, v17, v19, vcc
.LBB380_52:
	v_add_co_u32_e32 v1, vcc, v12, v10
	v_addc_co_u32_e32 v14, vcc, v13, v11, vcc
	v_add_co_u32_e32 v1, vcc, v1, v6
	v_addc_co_u32_e32 v14, vcc, v14, v7, vcc
	;; [unrolled: 2-line block ×6, first 2 shown]
	v_add_lshl_u32 v1, v38, v0, 3
	v_cmp_gt_u32_e32 vcc, 64, v0
	ds_write_b64 v1, v[18:19]
	s_waitcnt lgkmcnt(0)
	s_barrier
	s_and_saveexec_b64 s[4:5], vcc
	s_cbranch_execz .LBB380_56
; %bb.53:
	v_lshlrev_b32_e32 v1, 1, v0
	v_lshrrev_b32_e32 v14, 4, v0
	v_add_lshl_u32 v22, v14, v1, 3
	ds_read2_b64 v[14:17], v22 offset1:1
	v_mbcnt_lo_u32_b32 v1, -1, 0
	s_waitcnt lgkmcnt(0)
	v_add_co_u32_e32 v23, vcc, v16, v14
	v_addc_co_u32_e32 v24, vcc, v17, v15, vcc
	s_nop 0
	v_mov_b32_dpp v16, v23 row_shr:1 row_mask:0xf bank_mask:0xf
	v_add_co_u32_e32 v16, vcc, v23, v16
	v_addc_co_u32_e32 v26, vcc, 0, v24, vcc
	v_mbcnt_hi_u32_b32 v17, -1, v1
	v_mov_b32_dpp v25, v24 row_shr:1 row_mask:0xf bank_mask:0xf
	v_add_co_u32_e32 v27, vcc, 0, v16
	v_and_b32_e32 v1, 15, v17
	v_addc_co_u32_e32 v25, vcc, v25, v26, vcc
	v_cmp_eq_u32_e32 vcc, 0, v1
	v_cndmask_b32_e32 v16, v16, v23, vcc
	v_cndmask_b32_e32 v25, v25, v24, vcc
	v_cndmask_b32_e32 v26, v27, v23, vcc
	v_mov_b32_dpp v27, v16 row_shr:2 row_mask:0xf bank_mask:0xf
	v_mov_b32_dpp v28, v25 row_shr:2 row_mask:0xf bank_mask:0xf
	v_add_co_u32_e32 v27, vcc, v27, v26
	v_addc_co_u32_e32 v28, vcc, v28, v25, vcc
	v_cmp_lt_u32_e32 vcc, 1, v1
	v_cndmask_b32_e32 v16, v16, v27, vcc
	v_cndmask_b32_e32 v25, v25, v28, vcc
	v_cndmask_b32_e32 v26, v26, v27, vcc
	v_mov_b32_dpp v27, v16 row_shr:4 row_mask:0xf bank_mask:0xf
	v_mov_b32_dpp v28, v25 row_shr:4 row_mask:0xf bank_mask:0xf
	v_add_co_u32_e32 v27, vcc, v27, v26
	v_addc_co_u32_e32 v28, vcc, v28, v25, vcc
	v_cmp_lt_u32_e32 vcc, 3, v1
	;; [unrolled: 8-line block ×3, first 2 shown]
	v_cndmask_b32_e32 v29, v16, v27, vcc
	v_cndmask_b32_e32 v1, v25, v28, vcc
	;; [unrolled: 1-line block ×3, first 2 shown]
	v_mov_b32_dpp v25, v29 row_bcast:15 row_mask:0xf bank_mask:0xf
	v_mov_b32_dpp v26, v1 row_bcast:15 row_mask:0xf bank_mask:0xf
	v_add_co_u32_e32 v25, vcc, v25, v16
	v_and_b32_e32 v28, 16, v17
	v_addc_co_u32_e32 v27, vcc, v26, v1, vcc
	v_cmp_eq_u32_e32 vcc, 0, v28
	v_cndmask_b32_e32 v28, v27, v1, vcc
	v_cndmask_b32_e32 v26, v25, v29, vcc
	v_cmp_ne_u32_e64 s[0:1], 0, v17
	v_mov_b32_dpp v28, v28 row_bcast:31 row_mask:0xf bank_mask:0xf
	v_mov_b32_dpp v26, v26 row_bcast:31 row_mask:0xf bank_mask:0xf
	s_and_saveexec_b64 s[8:9], s[0:1]
; %bb.54:
	v_cndmask_b32_e32 v1, v27, v1, vcc
	v_cndmask_b32_e32 v16, v25, v16, vcc
	v_cmp_lt_u32_e32 vcc, 31, v17
	v_cndmask_b32_e32 v23, 0, v26, vcc
	v_cndmask_b32_e32 v24, 0, v28, vcc
	v_add_co_u32_e32 v23, vcc, v23, v16
	v_addc_co_u32_e32 v24, vcc, v24, v1, vcc
; %bb.55:
	s_or_b64 exec, exec, s[8:9]
	v_add_u32_e32 v1, -1, v17
	v_and_b32_e32 v16, 64, v17
	v_cmp_lt_i32_e32 vcc, v1, v16
	v_cndmask_b32_e32 v1, v1, v17, vcc
	v_lshlrev_b32_e32 v1, 2, v1
	ds_bpermute_b32 v16, v1, v23
	ds_bpermute_b32 v1, v1, v24
	; wave barrier
	s_waitcnt lgkmcnt(1)
	v_add_co_u32_e32 v14, vcc, v14, v16
	v_addc_co_u32_e32 v15, vcc, 0, v15, vcc
	v_add_co_u32_e32 v14, vcc, 0, v14
	s_waitcnt lgkmcnt(0)
	v_addc_co_u32_e32 v1, vcc, v15, v1, vcc
	v_cmp_eq_u32_e32 vcc, 0, v0
	v_cndmask_b32_e32 v15, v1, v19, vcc
	v_cndmask_b32_e32 v14, v14, v18, vcc
	ds_write_b64 v22, v[14:15]
	; wave barrier
	ds_read_b64 v[16:17], v22 offset:8
	s_waitcnt lgkmcnt(0)
	v_add_co_u32_e32 v14, vcc, v16, v14
	v_addc_co_u32_e32 v15, vcc, v17, v15, vcc
	ds_write_b64 v22, v[14:15] offset:8
.LBB380_56:
	s_or_b64 exec, exec, s[4:5]
	v_cmp_eq_u32_e32 vcc, 0, v0
	v_cmp_ne_u32_e64 s[0:1], 0, v0
	v_pk_mov_b32 v[14:15], v[20:21], v[20:21] op_sel:[0,1]
	s_waitcnt lgkmcnt(0)
	s_barrier
	s_and_saveexec_b64 s[4:5], s[0:1]
	s_cbranch_execz .LBB380_58
; %bb.57:
	v_add_u32_e32 v1, -1, v0
	v_lshrrev_b32_e32 v14, 5, v1
	v_add_lshl_u32 v1, v14, v1, 3
	ds_read_b64 v[14:15], v1
	s_waitcnt lgkmcnt(0)
	v_add_co_u32_e64 v14, s[0:1], v14, v20
	v_addc_co_u32_e64 v15, s[0:1], v15, v21, s[0:1]
.LBB380_58:
	s_or_b64 exec, exec, s[4:5]
	v_add_co_u32_e64 v28, s[0:1], v14, v10
	v_addc_co_u32_e64 v29, s[0:1], v15, v11, s[0:1]
	v_add_co_u32_e64 v18, s[0:1], v28, v12
	v_addc_co_u32_e64 v19, s[0:1], v29, v13, s[0:1]
	;; [unrolled: 2-line block ×6, first 2 shown]
	s_and_saveexec_b64 s[0:1], vcc
	s_cbranch_execz .LBB380_60
; %bb.59:
	v_mov_b32_e32 v5, 0
	ds_read_b64 v[2:3], v5 offset:1040
	s_add_u32 s4, s20, 0x400
	s_addc_u32 s5, s21, 0
	v_mov_b32_e32 v4, 2
	v_pk_mov_b32 v[6:7], s[4:5], s[4:5] op_sel:[0,1]
	s_waitcnt lgkmcnt(0)
	v_add_co_u32_e32 v2, vcc, v2, v20
	v_addc_co_u32_e32 v3, vcc, v3, v21, vcc
	;;#ASMSTART
	global_store_dwordx4 v[6:7], v[2:5] off	
s_waitcnt vmcnt(0)
	;;#ASMEND
.LBB380_60:
	s_or_b64 exec, exec, s[0:1]
.LBB380_61:
	s_waitcnt lgkmcnt(0)
	s_add_u32 s0, s12, s16
	s_addc_u32 s1, s13, s17
	s_add_u32 s4, s0, s18
	s_addc_u32 s5, s1, s19
	s_mov_b64 s[0:1], -1
	s_and_b64 vcc, exec, s[14:15]
	v_mul_u32_u24_e32 v1, 56, v0
	s_barrier
	s_cbranch_vccz .LBB380_63
; %bb.62:
	v_mul_i32_i24_e32 v2, 0xffffffd0, v0
	v_mad_u32_u24 v16, v0, 56, v2
	ds_write2_b64 v1, v[14:15], v[28:29] offset1:1
	ds_write2_b64 v1, v[18:19], v[30:31] offset0:2 offset1:3
	ds_write2_b64 v1, v[22:23], v[32:33] offset0:4 offset1:5
	ds_write_b64 v1, v[34:35] offset:48
	s_waitcnt lgkmcnt(0)
	s_barrier
	ds_read2st64_b64 v[2:5], v16 offset1:2
	ds_read2st64_b64 v[6:9], v16 offset0:4 offset1:6
	ds_read2st64_b64 v[10:13], v16 offset0:8 offset1:10
	ds_read_b64 v[16:17], v16 offset:6144
	v_mov_b32_e32 v21, s5
	v_add_co_u32_e32 v20, vcc, s4, v36
	v_addc_co_u32_e32 v21, vcc, 0, v21, vcc
	s_waitcnt lgkmcnt(3)
	flat_store_dwordx2 v[20:21], v[2:3]
	flat_store_dwordx2 v[20:21], v[4:5] offset:1024
	s_waitcnt lgkmcnt(0)
	flat_store_dwordx2 v[20:21], v[6:7] offset:2048
	flat_store_dwordx2 v[20:21], v[8:9] offset:3072
	v_add_co_u32_e32 v2, vcc, 0x1000, v20
	v_addc_co_u32_e32 v3, vcc, 0, v21, vcc
	flat_store_dwordx2 v[2:3], v[10:11]
	flat_store_dwordx2 v[2:3], v[12:13] offset:1024
	flat_store_dwordx2 v[2:3], v[16:17] offset:2048
	s_mov_b64 s[0:1], 0
.LBB380_63:
	s_andn2_b64 vcc, exec, s[0:1]
	s_cbranch_vccnz .LBB380_102
; %bb.64:
	v_mul_i32_i24_e32 v2, 0xffffffd0, v0
	ds_write2_b64 v1, v[14:15], v[28:29] offset1:1
	ds_write2_b64 v1, v[18:19], v[30:31] offset0:2 offset1:3
	ds_write2_b64 v1, v[22:23], v[32:33] offset0:4 offset1:5
	ds_write_b64 v1, v[34:35] offset:48
	v_mad_u32_u24 v14, v0, 56, v2
	s_waitcnt lgkmcnt(0)
	s_barrier
	ds_read2st64_b64 v[2:5], v14 offset1:2
	ds_read2st64_b64 v[6:9], v14 offset0:4 offset1:6
	ds_read2st64_b64 v[10:13], v14 offset0:8 offset1:10
	ds_read_b64 v[14:15], v14 offset:6144
	v_mov_b32_e32 v17, s5
	v_add_co_u32_e32 v16, vcc, s4, v36
	v_addc_co_u32_e32 v17, vcc, 0, v17, vcc
	v_mov_b32_e32 v1, 0
	v_cmp_gt_u32_e32 vcc, s26, v0
	s_and_saveexec_b64 s[0:1], vcc
	s_cbranch_execz .LBB380_66
; %bb.65:
	s_waitcnt lgkmcnt(0)
	flat_store_dwordx2 v[16:17], v[2:3]
.LBB380_66:
	s_or_b64 exec, exec, s[0:1]
	v_or_b32_e32 v18, 0x80, v0
	v_cmp_gt_u32_e32 vcc, s26, v18
	s_and_saveexec_b64 s[0:1], vcc
	s_cbranch_execz .LBB380_68
; %bb.67:
	s_waitcnt lgkmcnt(0)
	flat_store_dwordx2 v[16:17], v[4:5] offset:1024
.LBB380_68:
	s_or_b64 exec, exec, s[0:1]
	v_or_b32_e32 v18, 0x100, v0
	v_cmp_gt_u32_e32 vcc, s26, v18
	s_and_saveexec_b64 s[0:1], vcc
	s_cbranch_execz .LBB380_70
; %bb.69:
	s_waitcnt lgkmcnt(0)
	flat_store_dwordx2 v[16:17], v[6:7] offset:2048
.LBB380_70:
	;; [unrolled: 9-line block ×3, first 2 shown]
	s_or_b64 exec, exec, s[0:1]
	v_or_b32_e32 v18, 0x200, v0
	v_cmp_gt_u32_e32 vcc, s26, v18
	s_and_saveexec_b64 s[0:1], vcc
	s_cbranch_execz .LBB380_74
; %bb.73:
	v_add_co_u32_e32 v18, vcc, 0x1000, v16
	v_addc_co_u32_e32 v19, vcc, 0, v17, vcc
	s_waitcnt lgkmcnt(0)
	flat_store_dwordx2 v[18:19], v[10:11]
.LBB380_74:
	s_or_b64 exec, exec, s[0:1]
	v_or_b32_e32 v18, 0x280, v0
	v_cmp_gt_u32_e32 vcc, s26, v18
	s_and_saveexec_b64 s[0:1], vcc
	s_cbranch_execz .LBB380_76
; %bb.75:
	v_add_co_u32_e32 v18, vcc, 0x1000, v16
	v_addc_co_u32_e32 v19, vcc, 0, v17, vcc
	s_waitcnt lgkmcnt(0)
	flat_store_dwordx2 v[18:19], v[12:13] offset:1024
.LBB380_76:
	s_or_b64 exec, exec, s[0:1]
	v_or_b32_e32 v18, 0x300, v0
	v_cmp_gt_u32_e32 vcc, s26, v18
	s_and_saveexec_b64 s[0:1], vcc
	s_cbranch_execz .LBB380_78
; %bb.77:
	v_add_co_u32_e32 v16, vcc, 0x1000, v16
	v_addc_co_u32_e32 v17, vcc, 0, v17, vcc
	s_waitcnt lgkmcnt(0)
	flat_store_dwordx2 v[16:17], v[14:15] offset:2048
.LBB380_78:
	s_or_b64 exec, exec, s[0:1]
	v_cmp_lt_u64_e64 s[0:1], s[6:7], 2
	s_and_b64 vcc, exec, s[0:1]
	s_cbranch_vccnz .LBB380_102
; %bb.79:
	s_add_u32 s0, s26, -1
	s_addc_u32 s1, s27, -1
	s_add_u32 s4, 0, 0x92481000
	s_addc_u32 s5, 0, 0x64
	s_add_i32 s5, s5, 0x249248c0
	s_mul_hi_u32 s9, s4, -7
	s_sub_i32 s9, s9, s4
	s_mul_i32 s10, s5, -7
	s_mul_i32 s6, s4, -7
	s_add_i32 s9, s9, s10
	s_mul_hi_u32 s7, s5, s6
	s_mul_i32 s8, s5, s6
	s_mul_i32 s11, s4, s9
	s_mul_hi_u32 s6, s4, s6
	s_mul_hi_u32 s10, s4, s9
	s_add_u32 s6, s6, s11
	s_addc_u32 s10, 0, s10
	s_add_u32 s6, s6, s8
	s_mul_hi_u32 s11, s5, s9
	s_addc_u32 s6, s10, s7
	s_addc_u32 s7, s11, 0
	s_mul_i32 s8, s5, s9
	s_add_u32 s6, s6, s8
	v_mov_b32_e32 v16, s6
	s_addc_u32 s7, 0, s7
	v_add_co_u32_e32 v16, vcc, s4, v16
	s_cmp_lg_u64 vcc, 0
	s_addc_u32 s4, s5, s7
	v_readfirstlane_b32 s7, v16
	s_mul_i32 s6, s0, s4
	s_mul_hi_u32 s8, s0, s7
	s_mul_hi_u32 s5, s0, s4
	s_add_u32 s6, s8, s6
	s_addc_u32 s5, 0, s5
	s_mul_hi_u32 s9, s1, s7
	s_mul_i32 s7, s1, s7
	s_add_u32 s6, s6, s7
	s_mul_hi_u32 s8, s1, s4
	s_addc_u32 s5, s5, s9
	s_addc_u32 s6, s8, 0
	s_mul_i32 s4, s1, s4
	s_add_u32 s4, s5, s4
	s_addc_u32 s5, 0, s6
	s_add_u32 s6, s4, 1
	s_addc_u32 s7, s5, 0
	s_add_u32 s8, s4, 2
	s_mul_i32 s10, s5, 7
	s_mul_hi_u32 s11, s4, 7
	s_addc_u32 s9, s5, 0
	s_add_i32 s11, s11, s10
	s_mul_i32 s10, s4, 7
	v_mov_b32_e32 v16, s10
	v_sub_co_u32_e32 v16, vcc, s0, v16
	s_cmp_lg_u64 vcc, 0
	s_subb_u32 s10, s1, s11
	v_subrev_co_u32_e32 v17, vcc, 7, v16
	s_cmp_lg_u64 vcc, 0
	s_subb_u32 s11, s10, 0
	v_readfirstlane_b32 s12, v17
	s_cmp_gt_u32 s12, 6
	s_cselect_b32 s12, -1, 0
	s_cmp_eq_u32 s11, 0
	s_cselect_b32 s11, s12, -1
	s_cmp_lg_u32 s11, 0
	s_cselect_b32 s6, s8, s6
	v_readfirstlane_b32 s8, v16
	s_cselect_b32 s7, s9, s7
	s_cmp_gt_u32 s8, 6
	s_cselect_b32 s8, -1, 0
	s_cmp_eq_u32 s10, 0
	s_cselect_b32 s8, s8, -1
	s_cmp_lg_u32 s8, 0
	s_cselect_b32 s5, s7, s5
	s_cselect_b32 s4, s6, s4
	v_cmp_eq_u64_e32 vcc, s[4:5], v[0:1]
	s_and_saveexec_b64 s[4:5], vcc
	s_cbranch_execz .LBB380_102
; %bb.80:
	v_mul_hi_u32_u24_e32 v1, 7, v0
	v_mov_b32_e32 v16, s1
	v_sub_co_u32_e32 v0, vcc, s0, v37
	v_subb_co_u32_e32 v1, vcc, v16, v1, vcc
	v_cmp_lt_i64_e32 vcc, 3, v[0:1]
	s_and_saveexec_b64 s[0:1], vcc
	s_xor_b64 s[0:1], exec, s[0:1]
	s_cbranch_execz .LBB380_90
; %bb.81:
	v_cmp_lt_i64_e32 vcc, 4, v[0:1]
	s_and_saveexec_b64 s[4:5], vcc
	s_xor_b64 s[4:5], exec, s[4:5]
	s_cbranch_execz .LBB380_87
; %bb.82:
	;; [unrolled: 5-line block ×3, first 2 shown]
	v_mov_b32_e32 v0, 0
	s_waitcnt lgkmcnt(0)
	global_store_dwordx2 v0, v[14:15], s[2:3]
                                        ; implicit-def: $vgpr10_vgpr11_vgpr12_vgpr13
.LBB380_84:
	s_andn2_saveexec_b64 s[6:7], s[6:7]
	s_cbranch_execz .LBB380_86
; %bb.85:
	v_mov_b32_e32 v0, 0
	s_waitcnt lgkmcnt(0)
	global_store_dwordx2 v0, v[12:13], s[2:3]
.LBB380_86:
	s_or_b64 exec, exec, s[6:7]
                                        ; implicit-def: $vgpr10_vgpr11_vgpr12_vgpr13
.LBB380_87:
	s_andn2_saveexec_b64 s[4:5], s[4:5]
	s_cbranch_execz .LBB380_89
; %bb.88:
	v_mov_b32_e32 v0, 0
	s_waitcnt lgkmcnt(0)
	global_store_dwordx2 v0, v[10:11], s[2:3]
.LBB380_89:
	s_or_b64 exec, exec, s[4:5]
                                        ; implicit-def: $vgpr0_vgpr1
                                        ; implicit-def: $vgpr2_vgpr3_vgpr4_vgpr5
                                        ; implicit-def: $vgpr6_vgpr7_vgpr8_vgpr9
.LBB380_90:
	s_andn2_saveexec_b64 s[0:1], s[0:1]
	s_cbranch_execz .LBB380_102
; %bb.91:
	v_cmp_lt_i64_e32 vcc, 1, v[0:1]
	s_and_saveexec_b64 s[0:1], vcc
	s_xor_b64 s[0:1], exec, s[0:1]
	s_cbranch_execz .LBB380_97
; %bb.92:
	v_cmp_lt_i64_e32 vcc, 2, v[0:1]
	s_and_saveexec_b64 s[4:5], vcc
	s_xor_b64 s[4:5], exec, s[4:5]
	s_cbranch_execz .LBB380_94
; %bb.93:
	v_mov_b32_e32 v0, 0
	s_waitcnt lgkmcnt(0)
	global_store_dwordx2 v0, v[8:9], s[2:3]
                                        ; implicit-def: $vgpr6_vgpr7_vgpr8_vgpr9
.LBB380_94:
	s_andn2_saveexec_b64 s[4:5], s[4:5]
	s_cbranch_execz .LBB380_96
; %bb.95:
	v_mov_b32_e32 v0, 0
	s_waitcnt lgkmcnt(0)
	global_store_dwordx2 v0, v[6:7], s[2:3]
.LBB380_96:
	s_or_b64 exec, exec, s[4:5]
                                        ; implicit-def: $vgpr2_vgpr3_vgpr4_vgpr5
                                        ; implicit-def: $vgpr0_vgpr1
.LBB380_97:
	s_andn2_saveexec_b64 s[0:1], s[0:1]
	s_cbranch_execz .LBB380_102
; %bb.98:
	v_cmp_ne_u64_e32 vcc, 1, v[0:1]
	s_and_saveexec_b64 s[0:1], vcc
	s_xor_b64 s[0:1], exec, s[0:1]
	s_cbranch_execz .LBB380_100
; %bb.99:
	v_mov_b32_e32 v0, 0
	s_waitcnt lgkmcnt(0)
	global_store_dwordx2 v0, v[2:3], s[2:3]
                                        ; implicit-def: $vgpr2_vgpr3_vgpr4_vgpr5
.LBB380_100:
	s_andn2_saveexec_b64 s[0:1], s[0:1]
	s_cbranch_execz .LBB380_102
; %bb.101:
	v_mov_b32_e32 v0, 0
	s_waitcnt lgkmcnt(0)
	global_store_dwordx2 v0, v[4:5], s[2:3]
.LBB380_102:
	s_endpgm
	.section	.rodata,"a",@progbits
	.p2align	6, 0x0
	.amdhsa_kernel _ZN7rocprim17ROCPRIM_400000_NS6detail17trampoline_kernelINS0_14default_configENS1_20scan_config_selectorIxEEZZNS1_9scan_implILNS1_25lookback_scan_determinismE0ELb1ELb1ES3_N6thrust23THRUST_200600_302600_NS6detail15normal_iteratorINS9_10device_ptrIxEEEESE_xNS9_4plusIxEExEEDaPvRmT3_T4_T5_mT6_P12ihipStream_tbENKUlT_T0_E_clISt17integral_constantIbLb1EEST_IbLb0EEEEDaSP_SQ_EUlSP_E_NS1_11comp_targetILNS1_3genE4ELNS1_11target_archE910ELNS1_3gpuE8ELNS1_3repE0EEENS1_30default_config_static_selectorELNS0_4arch9wavefront6targetE1EEEvT1_
		.amdhsa_group_segment_fixed_size 7168
		.amdhsa_private_segment_fixed_size 0
		.amdhsa_kernarg_size 104
		.amdhsa_user_sgpr_count 6
		.amdhsa_user_sgpr_private_segment_buffer 1
		.amdhsa_user_sgpr_dispatch_ptr 0
		.amdhsa_user_sgpr_queue_ptr 0
		.amdhsa_user_sgpr_kernarg_segment_ptr 1
		.amdhsa_user_sgpr_dispatch_id 0
		.amdhsa_user_sgpr_flat_scratch_init 0
		.amdhsa_user_sgpr_kernarg_preload_length 0
		.amdhsa_user_sgpr_kernarg_preload_offset 0
		.amdhsa_user_sgpr_private_segment_size 0
		.amdhsa_uses_dynamic_stack 0
		.amdhsa_system_sgpr_private_segment_wavefront_offset 0
		.amdhsa_system_sgpr_workgroup_id_x 1
		.amdhsa_system_sgpr_workgroup_id_y 0
		.amdhsa_system_sgpr_workgroup_id_z 0
		.amdhsa_system_sgpr_workgroup_info 0
		.amdhsa_system_vgpr_workitem_id 0
		.amdhsa_next_free_vgpr 51
		.amdhsa_next_free_sgpr 32
		.amdhsa_accum_offset 52
		.amdhsa_reserve_vcc 1
		.amdhsa_reserve_flat_scratch 0
		.amdhsa_float_round_mode_32 0
		.amdhsa_float_round_mode_16_64 0
		.amdhsa_float_denorm_mode_32 3
		.amdhsa_float_denorm_mode_16_64 3
		.amdhsa_dx10_clamp 1
		.amdhsa_ieee_mode 1
		.amdhsa_fp16_overflow 0
		.amdhsa_tg_split 0
		.amdhsa_exception_fp_ieee_invalid_op 0
		.amdhsa_exception_fp_denorm_src 0
		.amdhsa_exception_fp_ieee_div_zero 0
		.amdhsa_exception_fp_ieee_overflow 0
		.amdhsa_exception_fp_ieee_underflow 0
		.amdhsa_exception_fp_ieee_inexact 0
		.amdhsa_exception_int_div_zero 0
	.end_amdhsa_kernel
	.section	.text._ZN7rocprim17ROCPRIM_400000_NS6detail17trampoline_kernelINS0_14default_configENS1_20scan_config_selectorIxEEZZNS1_9scan_implILNS1_25lookback_scan_determinismE0ELb1ELb1ES3_N6thrust23THRUST_200600_302600_NS6detail15normal_iteratorINS9_10device_ptrIxEEEESE_xNS9_4plusIxEExEEDaPvRmT3_T4_T5_mT6_P12ihipStream_tbENKUlT_T0_E_clISt17integral_constantIbLb1EEST_IbLb0EEEEDaSP_SQ_EUlSP_E_NS1_11comp_targetILNS1_3genE4ELNS1_11target_archE910ELNS1_3gpuE8ELNS1_3repE0EEENS1_30default_config_static_selectorELNS0_4arch9wavefront6targetE1EEEvT1_,"axG",@progbits,_ZN7rocprim17ROCPRIM_400000_NS6detail17trampoline_kernelINS0_14default_configENS1_20scan_config_selectorIxEEZZNS1_9scan_implILNS1_25lookback_scan_determinismE0ELb1ELb1ES3_N6thrust23THRUST_200600_302600_NS6detail15normal_iteratorINS9_10device_ptrIxEEEESE_xNS9_4plusIxEExEEDaPvRmT3_T4_T5_mT6_P12ihipStream_tbENKUlT_T0_E_clISt17integral_constantIbLb1EEST_IbLb0EEEEDaSP_SQ_EUlSP_E_NS1_11comp_targetILNS1_3genE4ELNS1_11target_archE910ELNS1_3gpuE8ELNS1_3repE0EEENS1_30default_config_static_selectorELNS0_4arch9wavefront6targetE1EEEvT1_,comdat
.Lfunc_end380:
	.size	_ZN7rocprim17ROCPRIM_400000_NS6detail17trampoline_kernelINS0_14default_configENS1_20scan_config_selectorIxEEZZNS1_9scan_implILNS1_25lookback_scan_determinismE0ELb1ELb1ES3_N6thrust23THRUST_200600_302600_NS6detail15normal_iteratorINS9_10device_ptrIxEEEESE_xNS9_4plusIxEExEEDaPvRmT3_T4_T5_mT6_P12ihipStream_tbENKUlT_T0_E_clISt17integral_constantIbLb1EEST_IbLb0EEEEDaSP_SQ_EUlSP_E_NS1_11comp_targetILNS1_3genE4ELNS1_11target_archE910ELNS1_3gpuE8ELNS1_3repE0EEENS1_30default_config_static_selectorELNS0_4arch9wavefront6targetE1EEEvT1_, .Lfunc_end380-_ZN7rocprim17ROCPRIM_400000_NS6detail17trampoline_kernelINS0_14default_configENS1_20scan_config_selectorIxEEZZNS1_9scan_implILNS1_25lookback_scan_determinismE0ELb1ELb1ES3_N6thrust23THRUST_200600_302600_NS6detail15normal_iteratorINS9_10device_ptrIxEEEESE_xNS9_4plusIxEExEEDaPvRmT3_T4_T5_mT6_P12ihipStream_tbENKUlT_T0_E_clISt17integral_constantIbLb1EEST_IbLb0EEEEDaSP_SQ_EUlSP_E_NS1_11comp_targetILNS1_3genE4ELNS1_11target_archE910ELNS1_3gpuE8ELNS1_3repE0EEENS1_30default_config_static_selectorELNS0_4arch9wavefront6targetE1EEEvT1_
                                        ; -- End function
	.section	.AMDGPU.csdata,"",@progbits
; Kernel info:
; codeLenInByte = 5740
; NumSgprs: 36
; NumVgprs: 51
; NumAgprs: 0
; TotalNumVgprs: 51
; ScratchSize: 0
; MemoryBound: 0
; FloatMode: 240
; IeeeMode: 1
; LDSByteSize: 7168 bytes/workgroup (compile time only)
; SGPRBlocks: 4
; VGPRBlocks: 6
; NumSGPRsForWavesPerEU: 36
; NumVGPRsForWavesPerEU: 51
; AccumOffset: 52
; Occupancy: 5
; WaveLimiterHint : 1
; COMPUTE_PGM_RSRC2:SCRATCH_EN: 0
; COMPUTE_PGM_RSRC2:USER_SGPR: 6
; COMPUTE_PGM_RSRC2:TRAP_HANDLER: 0
; COMPUTE_PGM_RSRC2:TGID_X_EN: 1
; COMPUTE_PGM_RSRC2:TGID_Y_EN: 0
; COMPUTE_PGM_RSRC2:TGID_Z_EN: 0
; COMPUTE_PGM_RSRC2:TIDIG_COMP_CNT: 0
; COMPUTE_PGM_RSRC3_GFX90A:ACCUM_OFFSET: 12
; COMPUTE_PGM_RSRC3_GFX90A:TG_SPLIT: 0
	.section	.text._ZN7rocprim17ROCPRIM_400000_NS6detail17trampoline_kernelINS0_14default_configENS1_20scan_config_selectorIxEEZZNS1_9scan_implILNS1_25lookback_scan_determinismE0ELb1ELb1ES3_N6thrust23THRUST_200600_302600_NS6detail15normal_iteratorINS9_10device_ptrIxEEEESE_xNS9_4plusIxEExEEDaPvRmT3_T4_T5_mT6_P12ihipStream_tbENKUlT_T0_E_clISt17integral_constantIbLb1EEST_IbLb0EEEEDaSP_SQ_EUlSP_E_NS1_11comp_targetILNS1_3genE3ELNS1_11target_archE908ELNS1_3gpuE7ELNS1_3repE0EEENS1_30default_config_static_selectorELNS0_4arch9wavefront6targetE1EEEvT1_,"axG",@progbits,_ZN7rocprim17ROCPRIM_400000_NS6detail17trampoline_kernelINS0_14default_configENS1_20scan_config_selectorIxEEZZNS1_9scan_implILNS1_25lookback_scan_determinismE0ELb1ELb1ES3_N6thrust23THRUST_200600_302600_NS6detail15normal_iteratorINS9_10device_ptrIxEEEESE_xNS9_4plusIxEExEEDaPvRmT3_T4_T5_mT6_P12ihipStream_tbENKUlT_T0_E_clISt17integral_constantIbLb1EEST_IbLb0EEEEDaSP_SQ_EUlSP_E_NS1_11comp_targetILNS1_3genE3ELNS1_11target_archE908ELNS1_3gpuE7ELNS1_3repE0EEENS1_30default_config_static_selectorELNS0_4arch9wavefront6targetE1EEEvT1_,comdat
	.protected	_ZN7rocprim17ROCPRIM_400000_NS6detail17trampoline_kernelINS0_14default_configENS1_20scan_config_selectorIxEEZZNS1_9scan_implILNS1_25lookback_scan_determinismE0ELb1ELb1ES3_N6thrust23THRUST_200600_302600_NS6detail15normal_iteratorINS9_10device_ptrIxEEEESE_xNS9_4plusIxEExEEDaPvRmT3_T4_T5_mT6_P12ihipStream_tbENKUlT_T0_E_clISt17integral_constantIbLb1EEST_IbLb0EEEEDaSP_SQ_EUlSP_E_NS1_11comp_targetILNS1_3genE3ELNS1_11target_archE908ELNS1_3gpuE7ELNS1_3repE0EEENS1_30default_config_static_selectorELNS0_4arch9wavefront6targetE1EEEvT1_ ; -- Begin function _ZN7rocprim17ROCPRIM_400000_NS6detail17trampoline_kernelINS0_14default_configENS1_20scan_config_selectorIxEEZZNS1_9scan_implILNS1_25lookback_scan_determinismE0ELb1ELb1ES3_N6thrust23THRUST_200600_302600_NS6detail15normal_iteratorINS9_10device_ptrIxEEEESE_xNS9_4plusIxEExEEDaPvRmT3_T4_T5_mT6_P12ihipStream_tbENKUlT_T0_E_clISt17integral_constantIbLb1EEST_IbLb0EEEEDaSP_SQ_EUlSP_E_NS1_11comp_targetILNS1_3genE3ELNS1_11target_archE908ELNS1_3gpuE7ELNS1_3repE0EEENS1_30default_config_static_selectorELNS0_4arch9wavefront6targetE1EEEvT1_
	.globl	_ZN7rocprim17ROCPRIM_400000_NS6detail17trampoline_kernelINS0_14default_configENS1_20scan_config_selectorIxEEZZNS1_9scan_implILNS1_25lookback_scan_determinismE0ELb1ELb1ES3_N6thrust23THRUST_200600_302600_NS6detail15normal_iteratorINS9_10device_ptrIxEEEESE_xNS9_4plusIxEExEEDaPvRmT3_T4_T5_mT6_P12ihipStream_tbENKUlT_T0_E_clISt17integral_constantIbLb1EEST_IbLb0EEEEDaSP_SQ_EUlSP_E_NS1_11comp_targetILNS1_3genE3ELNS1_11target_archE908ELNS1_3gpuE7ELNS1_3repE0EEENS1_30default_config_static_selectorELNS0_4arch9wavefront6targetE1EEEvT1_
	.p2align	8
	.type	_ZN7rocprim17ROCPRIM_400000_NS6detail17trampoline_kernelINS0_14default_configENS1_20scan_config_selectorIxEEZZNS1_9scan_implILNS1_25lookback_scan_determinismE0ELb1ELb1ES3_N6thrust23THRUST_200600_302600_NS6detail15normal_iteratorINS9_10device_ptrIxEEEESE_xNS9_4plusIxEExEEDaPvRmT3_T4_T5_mT6_P12ihipStream_tbENKUlT_T0_E_clISt17integral_constantIbLb1EEST_IbLb0EEEEDaSP_SQ_EUlSP_E_NS1_11comp_targetILNS1_3genE3ELNS1_11target_archE908ELNS1_3gpuE7ELNS1_3repE0EEENS1_30default_config_static_selectorELNS0_4arch9wavefront6targetE1EEEvT1_,@function
_ZN7rocprim17ROCPRIM_400000_NS6detail17trampoline_kernelINS0_14default_configENS1_20scan_config_selectorIxEEZZNS1_9scan_implILNS1_25lookback_scan_determinismE0ELb1ELb1ES3_N6thrust23THRUST_200600_302600_NS6detail15normal_iteratorINS9_10device_ptrIxEEEESE_xNS9_4plusIxEExEEDaPvRmT3_T4_T5_mT6_P12ihipStream_tbENKUlT_T0_E_clISt17integral_constantIbLb1EEST_IbLb0EEEEDaSP_SQ_EUlSP_E_NS1_11comp_targetILNS1_3genE3ELNS1_11target_archE908ELNS1_3gpuE7ELNS1_3repE0EEENS1_30default_config_static_selectorELNS0_4arch9wavefront6targetE1EEEvT1_: ; @_ZN7rocprim17ROCPRIM_400000_NS6detail17trampoline_kernelINS0_14default_configENS1_20scan_config_selectorIxEEZZNS1_9scan_implILNS1_25lookback_scan_determinismE0ELb1ELb1ES3_N6thrust23THRUST_200600_302600_NS6detail15normal_iteratorINS9_10device_ptrIxEEEESE_xNS9_4plusIxEExEEDaPvRmT3_T4_T5_mT6_P12ihipStream_tbENKUlT_T0_E_clISt17integral_constantIbLb1EEST_IbLb0EEEEDaSP_SQ_EUlSP_E_NS1_11comp_targetILNS1_3genE3ELNS1_11target_archE908ELNS1_3gpuE7ELNS1_3repE0EEENS1_30default_config_static_selectorELNS0_4arch9wavefront6targetE1EEEvT1_
; %bb.0:
	.section	.rodata,"a",@progbits
	.p2align	6, 0x0
	.amdhsa_kernel _ZN7rocprim17ROCPRIM_400000_NS6detail17trampoline_kernelINS0_14default_configENS1_20scan_config_selectorIxEEZZNS1_9scan_implILNS1_25lookback_scan_determinismE0ELb1ELb1ES3_N6thrust23THRUST_200600_302600_NS6detail15normal_iteratorINS9_10device_ptrIxEEEESE_xNS9_4plusIxEExEEDaPvRmT3_T4_T5_mT6_P12ihipStream_tbENKUlT_T0_E_clISt17integral_constantIbLb1EEST_IbLb0EEEEDaSP_SQ_EUlSP_E_NS1_11comp_targetILNS1_3genE3ELNS1_11target_archE908ELNS1_3gpuE7ELNS1_3repE0EEENS1_30default_config_static_selectorELNS0_4arch9wavefront6targetE1EEEvT1_
		.amdhsa_group_segment_fixed_size 0
		.amdhsa_private_segment_fixed_size 0
		.amdhsa_kernarg_size 104
		.amdhsa_user_sgpr_count 6
		.amdhsa_user_sgpr_private_segment_buffer 1
		.amdhsa_user_sgpr_dispatch_ptr 0
		.amdhsa_user_sgpr_queue_ptr 0
		.amdhsa_user_sgpr_kernarg_segment_ptr 1
		.amdhsa_user_sgpr_dispatch_id 0
		.amdhsa_user_sgpr_flat_scratch_init 0
		.amdhsa_user_sgpr_kernarg_preload_length 0
		.amdhsa_user_sgpr_kernarg_preload_offset 0
		.amdhsa_user_sgpr_private_segment_size 0
		.amdhsa_uses_dynamic_stack 0
		.amdhsa_system_sgpr_private_segment_wavefront_offset 0
		.amdhsa_system_sgpr_workgroup_id_x 1
		.amdhsa_system_sgpr_workgroup_id_y 0
		.amdhsa_system_sgpr_workgroup_id_z 0
		.amdhsa_system_sgpr_workgroup_info 0
		.amdhsa_system_vgpr_workitem_id 0
		.amdhsa_next_free_vgpr 1
		.amdhsa_next_free_sgpr 0
		.amdhsa_accum_offset 4
		.amdhsa_reserve_vcc 0
		.amdhsa_reserve_flat_scratch 0
		.amdhsa_float_round_mode_32 0
		.amdhsa_float_round_mode_16_64 0
		.amdhsa_float_denorm_mode_32 3
		.amdhsa_float_denorm_mode_16_64 3
		.amdhsa_dx10_clamp 1
		.amdhsa_ieee_mode 1
		.amdhsa_fp16_overflow 0
		.amdhsa_tg_split 0
		.amdhsa_exception_fp_ieee_invalid_op 0
		.amdhsa_exception_fp_denorm_src 0
		.amdhsa_exception_fp_ieee_div_zero 0
		.amdhsa_exception_fp_ieee_overflow 0
		.amdhsa_exception_fp_ieee_underflow 0
		.amdhsa_exception_fp_ieee_inexact 0
		.amdhsa_exception_int_div_zero 0
	.end_amdhsa_kernel
	.section	.text._ZN7rocprim17ROCPRIM_400000_NS6detail17trampoline_kernelINS0_14default_configENS1_20scan_config_selectorIxEEZZNS1_9scan_implILNS1_25lookback_scan_determinismE0ELb1ELb1ES3_N6thrust23THRUST_200600_302600_NS6detail15normal_iteratorINS9_10device_ptrIxEEEESE_xNS9_4plusIxEExEEDaPvRmT3_T4_T5_mT6_P12ihipStream_tbENKUlT_T0_E_clISt17integral_constantIbLb1EEST_IbLb0EEEEDaSP_SQ_EUlSP_E_NS1_11comp_targetILNS1_3genE3ELNS1_11target_archE908ELNS1_3gpuE7ELNS1_3repE0EEENS1_30default_config_static_selectorELNS0_4arch9wavefront6targetE1EEEvT1_,"axG",@progbits,_ZN7rocprim17ROCPRIM_400000_NS6detail17trampoline_kernelINS0_14default_configENS1_20scan_config_selectorIxEEZZNS1_9scan_implILNS1_25lookback_scan_determinismE0ELb1ELb1ES3_N6thrust23THRUST_200600_302600_NS6detail15normal_iteratorINS9_10device_ptrIxEEEESE_xNS9_4plusIxEExEEDaPvRmT3_T4_T5_mT6_P12ihipStream_tbENKUlT_T0_E_clISt17integral_constantIbLb1EEST_IbLb0EEEEDaSP_SQ_EUlSP_E_NS1_11comp_targetILNS1_3genE3ELNS1_11target_archE908ELNS1_3gpuE7ELNS1_3repE0EEENS1_30default_config_static_selectorELNS0_4arch9wavefront6targetE1EEEvT1_,comdat
.Lfunc_end381:
	.size	_ZN7rocprim17ROCPRIM_400000_NS6detail17trampoline_kernelINS0_14default_configENS1_20scan_config_selectorIxEEZZNS1_9scan_implILNS1_25lookback_scan_determinismE0ELb1ELb1ES3_N6thrust23THRUST_200600_302600_NS6detail15normal_iteratorINS9_10device_ptrIxEEEESE_xNS9_4plusIxEExEEDaPvRmT3_T4_T5_mT6_P12ihipStream_tbENKUlT_T0_E_clISt17integral_constantIbLb1EEST_IbLb0EEEEDaSP_SQ_EUlSP_E_NS1_11comp_targetILNS1_3genE3ELNS1_11target_archE908ELNS1_3gpuE7ELNS1_3repE0EEENS1_30default_config_static_selectorELNS0_4arch9wavefront6targetE1EEEvT1_, .Lfunc_end381-_ZN7rocprim17ROCPRIM_400000_NS6detail17trampoline_kernelINS0_14default_configENS1_20scan_config_selectorIxEEZZNS1_9scan_implILNS1_25lookback_scan_determinismE0ELb1ELb1ES3_N6thrust23THRUST_200600_302600_NS6detail15normal_iteratorINS9_10device_ptrIxEEEESE_xNS9_4plusIxEExEEDaPvRmT3_T4_T5_mT6_P12ihipStream_tbENKUlT_T0_E_clISt17integral_constantIbLb1EEST_IbLb0EEEEDaSP_SQ_EUlSP_E_NS1_11comp_targetILNS1_3genE3ELNS1_11target_archE908ELNS1_3gpuE7ELNS1_3repE0EEENS1_30default_config_static_selectorELNS0_4arch9wavefront6targetE1EEEvT1_
                                        ; -- End function
	.section	.AMDGPU.csdata,"",@progbits
; Kernel info:
; codeLenInByte = 0
; NumSgprs: 4
; NumVgprs: 0
; NumAgprs: 0
; TotalNumVgprs: 0
; ScratchSize: 0
; MemoryBound: 0
; FloatMode: 240
; IeeeMode: 1
; LDSByteSize: 0 bytes/workgroup (compile time only)
; SGPRBlocks: 0
; VGPRBlocks: 0
; NumSGPRsForWavesPerEU: 4
; NumVGPRsForWavesPerEU: 1
; AccumOffset: 4
; Occupancy: 8
; WaveLimiterHint : 0
; COMPUTE_PGM_RSRC2:SCRATCH_EN: 0
; COMPUTE_PGM_RSRC2:USER_SGPR: 6
; COMPUTE_PGM_RSRC2:TRAP_HANDLER: 0
; COMPUTE_PGM_RSRC2:TGID_X_EN: 1
; COMPUTE_PGM_RSRC2:TGID_Y_EN: 0
; COMPUTE_PGM_RSRC2:TGID_Z_EN: 0
; COMPUTE_PGM_RSRC2:TIDIG_COMP_CNT: 0
; COMPUTE_PGM_RSRC3_GFX90A:ACCUM_OFFSET: 0
; COMPUTE_PGM_RSRC3_GFX90A:TG_SPLIT: 0
	.section	.text._ZN7rocprim17ROCPRIM_400000_NS6detail17trampoline_kernelINS0_14default_configENS1_20scan_config_selectorIxEEZZNS1_9scan_implILNS1_25lookback_scan_determinismE0ELb1ELb1ES3_N6thrust23THRUST_200600_302600_NS6detail15normal_iteratorINS9_10device_ptrIxEEEESE_xNS9_4plusIxEExEEDaPvRmT3_T4_T5_mT6_P12ihipStream_tbENKUlT_T0_E_clISt17integral_constantIbLb1EEST_IbLb0EEEEDaSP_SQ_EUlSP_E_NS1_11comp_targetILNS1_3genE2ELNS1_11target_archE906ELNS1_3gpuE6ELNS1_3repE0EEENS1_30default_config_static_selectorELNS0_4arch9wavefront6targetE1EEEvT1_,"axG",@progbits,_ZN7rocprim17ROCPRIM_400000_NS6detail17trampoline_kernelINS0_14default_configENS1_20scan_config_selectorIxEEZZNS1_9scan_implILNS1_25lookback_scan_determinismE0ELb1ELb1ES3_N6thrust23THRUST_200600_302600_NS6detail15normal_iteratorINS9_10device_ptrIxEEEESE_xNS9_4plusIxEExEEDaPvRmT3_T4_T5_mT6_P12ihipStream_tbENKUlT_T0_E_clISt17integral_constantIbLb1EEST_IbLb0EEEEDaSP_SQ_EUlSP_E_NS1_11comp_targetILNS1_3genE2ELNS1_11target_archE906ELNS1_3gpuE6ELNS1_3repE0EEENS1_30default_config_static_selectorELNS0_4arch9wavefront6targetE1EEEvT1_,comdat
	.protected	_ZN7rocprim17ROCPRIM_400000_NS6detail17trampoline_kernelINS0_14default_configENS1_20scan_config_selectorIxEEZZNS1_9scan_implILNS1_25lookback_scan_determinismE0ELb1ELb1ES3_N6thrust23THRUST_200600_302600_NS6detail15normal_iteratorINS9_10device_ptrIxEEEESE_xNS9_4plusIxEExEEDaPvRmT3_T4_T5_mT6_P12ihipStream_tbENKUlT_T0_E_clISt17integral_constantIbLb1EEST_IbLb0EEEEDaSP_SQ_EUlSP_E_NS1_11comp_targetILNS1_3genE2ELNS1_11target_archE906ELNS1_3gpuE6ELNS1_3repE0EEENS1_30default_config_static_selectorELNS0_4arch9wavefront6targetE1EEEvT1_ ; -- Begin function _ZN7rocprim17ROCPRIM_400000_NS6detail17trampoline_kernelINS0_14default_configENS1_20scan_config_selectorIxEEZZNS1_9scan_implILNS1_25lookback_scan_determinismE0ELb1ELb1ES3_N6thrust23THRUST_200600_302600_NS6detail15normal_iteratorINS9_10device_ptrIxEEEESE_xNS9_4plusIxEExEEDaPvRmT3_T4_T5_mT6_P12ihipStream_tbENKUlT_T0_E_clISt17integral_constantIbLb1EEST_IbLb0EEEEDaSP_SQ_EUlSP_E_NS1_11comp_targetILNS1_3genE2ELNS1_11target_archE906ELNS1_3gpuE6ELNS1_3repE0EEENS1_30default_config_static_selectorELNS0_4arch9wavefront6targetE1EEEvT1_
	.globl	_ZN7rocprim17ROCPRIM_400000_NS6detail17trampoline_kernelINS0_14default_configENS1_20scan_config_selectorIxEEZZNS1_9scan_implILNS1_25lookback_scan_determinismE0ELb1ELb1ES3_N6thrust23THRUST_200600_302600_NS6detail15normal_iteratorINS9_10device_ptrIxEEEESE_xNS9_4plusIxEExEEDaPvRmT3_T4_T5_mT6_P12ihipStream_tbENKUlT_T0_E_clISt17integral_constantIbLb1EEST_IbLb0EEEEDaSP_SQ_EUlSP_E_NS1_11comp_targetILNS1_3genE2ELNS1_11target_archE906ELNS1_3gpuE6ELNS1_3repE0EEENS1_30default_config_static_selectorELNS0_4arch9wavefront6targetE1EEEvT1_
	.p2align	8
	.type	_ZN7rocprim17ROCPRIM_400000_NS6detail17trampoline_kernelINS0_14default_configENS1_20scan_config_selectorIxEEZZNS1_9scan_implILNS1_25lookback_scan_determinismE0ELb1ELb1ES3_N6thrust23THRUST_200600_302600_NS6detail15normal_iteratorINS9_10device_ptrIxEEEESE_xNS9_4plusIxEExEEDaPvRmT3_T4_T5_mT6_P12ihipStream_tbENKUlT_T0_E_clISt17integral_constantIbLb1EEST_IbLb0EEEEDaSP_SQ_EUlSP_E_NS1_11comp_targetILNS1_3genE2ELNS1_11target_archE906ELNS1_3gpuE6ELNS1_3repE0EEENS1_30default_config_static_selectorELNS0_4arch9wavefront6targetE1EEEvT1_,@function
_ZN7rocprim17ROCPRIM_400000_NS6detail17trampoline_kernelINS0_14default_configENS1_20scan_config_selectorIxEEZZNS1_9scan_implILNS1_25lookback_scan_determinismE0ELb1ELb1ES3_N6thrust23THRUST_200600_302600_NS6detail15normal_iteratorINS9_10device_ptrIxEEEESE_xNS9_4plusIxEExEEDaPvRmT3_T4_T5_mT6_P12ihipStream_tbENKUlT_T0_E_clISt17integral_constantIbLb1EEST_IbLb0EEEEDaSP_SQ_EUlSP_E_NS1_11comp_targetILNS1_3genE2ELNS1_11target_archE906ELNS1_3gpuE6ELNS1_3repE0EEENS1_30default_config_static_selectorELNS0_4arch9wavefront6targetE1EEEvT1_: ; @_ZN7rocprim17ROCPRIM_400000_NS6detail17trampoline_kernelINS0_14default_configENS1_20scan_config_selectorIxEEZZNS1_9scan_implILNS1_25lookback_scan_determinismE0ELb1ELb1ES3_N6thrust23THRUST_200600_302600_NS6detail15normal_iteratorINS9_10device_ptrIxEEEESE_xNS9_4plusIxEExEEDaPvRmT3_T4_T5_mT6_P12ihipStream_tbENKUlT_T0_E_clISt17integral_constantIbLb1EEST_IbLb0EEEEDaSP_SQ_EUlSP_E_NS1_11comp_targetILNS1_3genE2ELNS1_11target_archE906ELNS1_3gpuE6ELNS1_3repE0EEENS1_30default_config_static_selectorELNS0_4arch9wavefront6targetE1EEEvT1_
; %bb.0:
	.section	.rodata,"a",@progbits
	.p2align	6, 0x0
	.amdhsa_kernel _ZN7rocprim17ROCPRIM_400000_NS6detail17trampoline_kernelINS0_14default_configENS1_20scan_config_selectorIxEEZZNS1_9scan_implILNS1_25lookback_scan_determinismE0ELb1ELb1ES3_N6thrust23THRUST_200600_302600_NS6detail15normal_iteratorINS9_10device_ptrIxEEEESE_xNS9_4plusIxEExEEDaPvRmT3_T4_T5_mT6_P12ihipStream_tbENKUlT_T0_E_clISt17integral_constantIbLb1EEST_IbLb0EEEEDaSP_SQ_EUlSP_E_NS1_11comp_targetILNS1_3genE2ELNS1_11target_archE906ELNS1_3gpuE6ELNS1_3repE0EEENS1_30default_config_static_selectorELNS0_4arch9wavefront6targetE1EEEvT1_
		.amdhsa_group_segment_fixed_size 0
		.amdhsa_private_segment_fixed_size 0
		.amdhsa_kernarg_size 104
		.amdhsa_user_sgpr_count 6
		.amdhsa_user_sgpr_private_segment_buffer 1
		.amdhsa_user_sgpr_dispatch_ptr 0
		.amdhsa_user_sgpr_queue_ptr 0
		.amdhsa_user_sgpr_kernarg_segment_ptr 1
		.amdhsa_user_sgpr_dispatch_id 0
		.amdhsa_user_sgpr_flat_scratch_init 0
		.amdhsa_user_sgpr_kernarg_preload_length 0
		.amdhsa_user_sgpr_kernarg_preload_offset 0
		.amdhsa_user_sgpr_private_segment_size 0
		.amdhsa_uses_dynamic_stack 0
		.amdhsa_system_sgpr_private_segment_wavefront_offset 0
		.amdhsa_system_sgpr_workgroup_id_x 1
		.amdhsa_system_sgpr_workgroup_id_y 0
		.amdhsa_system_sgpr_workgroup_id_z 0
		.amdhsa_system_sgpr_workgroup_info 0
		.amdhsa_system_vgpr_workitem_id 0
		.amdhsa_next_free_vgpr 1
		.amdhsa_next_free_sgpr 0
		.amdhsa_accum_offset 4
		.amdhsa_reserve_vcc 0
		.amdhsa_reserve_flat_scratch 0
		.amdhsa_float_round_mode_32 0
		.amdhsa_float_round_mode_16_64 0
		.amdhsa_float_denorm_mode_32 3
		.amdhsa_float_denorm_mode_16_64 3
		.amdhsa_dx10_clamp 1
		.amdhsa_ieee_mode 1
		.amdhsa_fp16_overflow 0
		.amdhsa_tg_split 0
		.amdhsa_exception_fp_ieee_invalid_op 0
		.amdhsa_exception_fp_denorm_src 0
		.amdhsa_exception_fp_ieee_div_zero 0
		.amdhsa_exception_fp_ieee_overflow 0
		.amdhsa_exception_fp_ieee_underflow 0
		.amdhsa_exception_fp_ieee_inexact 0
		.amdhsa_exception_int_div_zero 0
	.end_amdhsa_kernel
	.section	.text._ZN7rocprim17ROCPRIM_400000_NS6detail17trampoline_kernelINS0_14default_configENS1_20scan_config_selectorIxEEZZNS1_9scan_implILNS1_25lookback_scan_determinismE0ELb1ELb1ES3_N6thrust23THRUST_200600_302600_NS6detail15normal_iteratorINS9_10device_ptrIxEEEESE_xNS9_4plusIxEExEEDaPvRmT3_T4_T5_mT6_P12ihipStream_tbENKUlT_T0_E_clISt17integral_constantIbLb1EEST_IbLb0EEEEDaSP_SQ_EUlSP_E_NS1_11comp_targetILNS1_3genE2ELNS1_11target_archE906ELNS1_3gpuE6ELNS1_3repE0EEENS1_30default_config_static_selectorELNS0_4arch9wavefront6targetE1EEEvT1_,"axG",@progbits,_ZN7rocprim17ROCPRIM_400000_NS6detail17trampoline_kernelINS0_14default_configENS1_20scan_config_selectorIxEEZZNS1_9scan_implILNS1_25lookback_scan_determinismE0ELb1ELb1ES3_N6thrust23THRUST_200600_302600_NS6detail15normal_iteratorINS9_10device_ptrIxEEEESE_xNS9_4plusIxEExEEDaPvRmT3_T4_T5_mT6_P12ihipStream_tbENKUlT_T0_E_clISt17integral_constantIbLb1EEST_IbLb0EEEEDaSP_SQ_EUlSP_E_NS1_11comp_targetILNS1_3genE2ELNS1_11target_archE906ELNS1_3gpuE6ELNS1_3repE0EEENS1_30default_config_static_selectorELNS0_4arch9wavefront6targetE1EEEvT1_,comdat
.Lfunc_end382:
	.size	_ZN7rocprim17ROCPRIM_400000_NS6detail17trampoline_kernelINS0_14default_configENS1_20scan_config_selectorIxEEZZNS1_9scan_implILNS1_25lookback_scan_determinismE0ELb1ELb1ES3_N6thrust23THRUST_200600_302600_NS6detail15normal_iteratorINS9_10device_ptrIxEEEESE_xNS9_4plusIxEExEEDaPvRmT3_T4_T5_mT6_P12ihipStream_tbENKUlT_T0_E_clISt17integral_constantIbLb1EEST_IbLb0EEEEDaSP_SQ_EUlSP_E_NS1_11comp_targetILNS1_3genE2ELNS1_11target_archE906ELNS1_3gpuE6ELNS1_3repE0EEENS1_30default_config_static_selectorELNS0_4arch9wavefront6targetE1EEEvT1_, .Lfunc_end382-_ZN7rocprim17ROCPRIM_400000_NS6detail17trampoline_kernelINS0_14default_configENS1_20scan_config_selectorIxEEZZNS1_9scan_implILNS1_25lookback_scan_determinismE0ELb1ELb1ES3_N6thrust23THRUST_200600_302600_NS6detail15normal_iteratorINS9_10device_ptrIxEEEESE_xNS9_4plusIxEExEEDaPvRmT3_T4_T5_mT6_P12ihipStream_tbENKUlT_T0_E_clISt17integral_constantIbLb1EEST_IbLb0EEEEDaSP_SQ_EUlSP_E_NS1_11comp_targetILNS1_3genE2ELNS1_11target_archE906ELNS1_3gpuE6ELNS1_3repE0EEENS1_30default_config_static_selectorELNS0_4arch9wavefront6targetE1EEEvT1_
                                        ; -- End function
	.section	.AMDGPU.csdata,"",@progbits
; Kernel info:
; codeLenInByte = 0
; NumSgprs: 4
; NumVgprs: 0
; NumAgprs: 0
; TotalNumVgprs: 0
; ScratchSize: 0
; MemoryBound: 0
; FloatMode: 240
; IeeeMode: 1
; LDSByteSize: 0 bytes/workgroup (compile time only)
; SGPRBlocks: 0
; VGPRBlocks: 0
; NumSGPRsForWavesPerEU: 4
; NumVGPRsForWavesPerEU: 1
; AccumOffset: 4
; Occupancy: 8
; WaveLimiterHint : 0
; COMPUTE_PGM_RSRC2:SCRATCH_EN: 0
; COMPUTE_PGM_RSRC2:USER_SGPR: 6
; COMPUTE_PGM_RSRC2:TRAP_HANDLER: 0
; COMPUTE_PGM_RSRC2:TGID_X_EN: 1
; COMPUTE_PGM_RSRC2:TGID_Y_EN: 0
; COMPUTE_PGM_RSRC2:TGID_Z_EN: 0
; COMPUTE_PGM_RSRC2:TIDIG_COMP_CNT: 0
; COMPUTE_PGM_RSRC3_GFX90A:ACCUM_OFFSET: 0
; COMPUTE_PGM_RSRC3_GFX90A:TG_SPLIT: 0
	.section	.text._ZN7rocprim17ROCPRIM_400000_NS6detail17trampoline_kernelINS0_14default_configENS1_20scan_config_selectorIxEEZZNS1_9scan_implILNS1_25lookback_scan_determinismE0ELb1ELb1ES3_N6thrust23THRUST_200600_302600_NS6detail15normal_iteratorINS9_10device_ptrIxEEEESE_xNS9_4plusIxEExEEDaPvRmT3_T4_T5_mT6_P12ihipStream_tbENKUlT_T0_E_clISt17integral_constantIbLb1EEST_IbLb0EEEEDaSP_SQ_EUlSP_E_NS1_11comp_targetILNS1_3genE10ELNS1_11target_archE1201ELNS1_3gpuE5ELNS1_3repE0EEENS1_30default_config_static_selectorELNS0_4arch9wavefront6targetE1EEEvT1_,"axG",@progbits,_ZN7rocprim17ROCPRIM_400000_NS6detail17trampoline_kernelINS0_14default_configENS1_20scan_config_selectorIxEEZZNS1_9scan_implILNS1_25lookback_scan_determinismE0ELb1ELb1ES3_N6thrust23THRUST_200600_302600_NS6detail15normal_iteratorINS9_10device_ptrIxEEEESE_xNS9_4plusIxEExEEDaPvRmT3_T4_T5_mT6_P12ihipStream_tbENKUlT_T0_E_clISt17integral_constantIbLb1EEST_IbLb0EEEEDaSP_SQ_EUlSP_E_NS1_11comp_targetILNS1_3genE10ELNS1_11target_archE1201ELNS1_3gpuE5ELNS1_3repE0EEENS1_30default_config_static_selectorELNS0_4arch9wavefront6targetE1EEEvT1_,comdat
	.protected	_ZN7rocprim17ROCPRIM_400000_NS6detail17trampoline_kernelINS0_14default_configENS1_20scan_config_selectorIxEEZZNS1_9scan_implILNS1_25lookback_scan_determinismE0ELb1ELb1ES3_N6thrust23THRUST_200600_302600_NS6detail15normal_iteratorINS9_10device_ptrIxEEEESE_xNS9_4plusIxEExEEDaPvRmT3_T4_T5_mT6_P12ihipStream_tbENKUlT_T0_E_clISt17integral_constantIbLb1EEST_IbLb0EEEEDaSP_SQ_EUlSP_E_NS1_11comp_targetILNS1_3genE10ELNS1_11target_archE1201ELNS1_3gpuE5ELNS1_3repE0EEENS1_30default_config_static_selectorELNS0_4arch9wavefront6targetE1EEEvT1_ ; -- Begin function _ZN7rocprim17ROCPRIM_400000_NS6detail17trampoline_kernelINS0_14default_configENS1_20scan_config_selectorIxEEZZNS1_9scan_implILNS1_25lookback_scan_determinismE0ELb1ELb1ES3_N6thrust23THRUST_200600_302600_NS6detail15normal_iteratorINS9_10device_ptrIxEEEESE_xNS9_4plusIxEExEEDaPvRmT3_T4_T5_mT6_P12ihipStream_tbENKUlT_T0_E_clISt17integral_constantIbLb1EEST_IbLb0EEEEDaSP_SQ_EUlSP_E_NS1_11comp_targetILNS1_3genE10ELNS1_11target_archE1201ELNS1_3gpuE5ELNS1_3repE0EEENS1_30default_config_static_selectorELNS0_4arch9wavefront6targetE1EEEvT1_
	.globl	_ZN7rocprim17ROCPRIM_400000_NS6detail17trampoline_kernelINS0_14default_configENS1_20scan_config_selectorIxEEZZNS1_9scan_implILNS1_25lookback_scan_determinismE0ELb1ELb1ES3_N6thrust23THRUST_200600_302600_NS6detail15normal_iteratorINS9_10device_ptrIxEEEESE_xNS9_4plusIxEExEEDaPvRmT3_T4_T5_mT6_P12ihipStream_tbENKUlT_T0_E_clISt17integral_constantIbLb1EEST_IbLb0EEEEDaSP_SQ_EUlSP_E_NS1_11comp_targetILNS1_3genE10ELNS1_11target_archE1201ELNS1_3gpuE5ELNS1_3repE0EEENS1_30default_config_static_selectorELNS0_4arch9wavefront6targetE1EEEvT1_
	.p2align	8
	.type	_ZN7rocprim17ROCPRIM_400000_NS6detail17trampoline_kernelINS0_14default_configENS1_20scan_config_selectorIxEEZZNS1_9scan_implILNS1_25lookback_scan_determinismE0ELb1ELb1ES3_N6thrust23THRUST_200600_302600_NS6detail15normal_iteratorINS9_10device_ptrIxEEEESE_xNS9_4plusIxEExEEDaPvRmT3_T4_T5_mT6_P12ihipStream_tbENKUlT_T0_E_clISt17integral_constantIbLb1EEST_IbLb0EEEEDaSP_SQ_EUlSP_E_NS1_11comp_targetILNS1_3genE10ELNS1_11target_archE1201ELNS1_3gpuE5ELNS1_3repE0EEENS1_30default_config_static_selectorELNS0_4arch9wavefront6targetE1EEEvT1_,@function
_ZN7rocprim17ROCPRIM_400000_NS6detail17trampoline_kernelINS0_14default_configENS1_20scan_config_selectorIxEEZZNS1_9scan_implILNS1_25lookback_scan_determinismE0ELb1ELb1ES3_N6thrust23THRUST_200600_302600_NS6detail15normal_iteratorINS9_10device_ptrIxEEEESE_xNS9_4plusIxEExEEDaPvRmT3_T4_T5_mT6_P12ihipStream_tbENKUlT_T0_E_clISt17integral_constantIbLb1EEST_IbLb0EEEEDaSP_SQ_EUlSP_E_NS1_11comp_targetILNS1_3genE10ELNS1_11target_archE1201ELNS1_3gpuE5ELNS1_3repE0EEENS1_30default_config_static_selectorELNS0_4arch9wavefront6targetE1EEEvT1_: ; @_ZN7rocprim17ROCPRIM_400000_NS6detail17trampoline_kernelINS0_14default_configENS1_20scan_config_selectorIxEEZZNS1_9scan_implILNS1_25lookback_scan_determinismE0ELb1ELb1ES3_N6thrust23THRUST_200600_302600_NS6detail15normal_iteratorINS9_10device_ptrIxEEEESE_xNS9_4plusIxEExEEDaPvRmT3_T4_T5_mT6_P12ihipStream_tbENKUlT_T0_E_clISt17integral_constantIbLb1EEST_IbLb0EEEEDaSP_SQ_EUlSP_E_NS1_11comp_targetILNS1_3genE10ELNS1_11target_archE1201ELNS1_3gpuE5ELNS1_3repE0EEENS1_30default_config_static_selectorELNS0_4arch9wavefront6targetE1EEEvT1_
; %bb.0:
	.section	.rodata,"a",@progbits
	.p2align	6, 0x0
	.amdhsa_kernel _ZN7rocprim17ROCPRIM_400000_NS6detail17trampoline_kernelINS0_14default_configENS1_20scan_config_selectorIxEEZZNS1_9scan_implILNS1_25lookback_scan_determinismE0ELb1ELb1ES3_N6thrust23THRUST_200600_302600_NS6detail15normal_iteratorINS9_10device_ptrIxEEEESE_xNS9_4plusIxEExEEDaPvRmT3_T4_T5_mT6_P12ihipStream_tbENKUlT_T0_E_clISt17integral_constantIbLb1EEST_IbLb0EEEEDaSP_SQ_EUlSP_E_NS1_11comp_targetILNS1_3genE10ELNS1_11target_archE1201ELNS1_3gpuE5ELNS1_3repE0EEENS1_30default_config_static_selectorELNS0_4arch9wavefront6targetE1EEEvT1_
		.amdhsa_group_segment_fixed_size 0
		.amdhsa_private_segment_fixed_size 0
		.amdhsa_kernarg_size 104
		.amdhsa_user_sgpr_count 6
		.amdhsa_user_sgpr_private_segment_buffer 1
		.amdhsa_user_sgpr_dispatch_ptr 0
		.amdhsa_user_sgpr_queue_ptr 0
		.amdhsa_user_sgpr_kernarg_segment_ptr 1
		.amdhsa_user_sgpr_dispatch_id 0
		.amdhsa_user_sgpr_flat_scratch_init 0
		.amdhsa_user_sgpr_kernarg_preload_length 0
		.amdhsa_user_sgpr_kernarg_preload_offset 0
		.amdhsa_user_sgpr_private_segment_size 0
		.amdhsa_uses_dynamic_stack 0
		.amdhsa_system_sgpr_private_segment_wavefront_offset 0
		.amdhsa_system_sgpr_workgroup_id_x 1
		.amdhsa_system_sgpr_workgroup_id_y 0
		.amdhsa_system_sgpr_workgroup_id_z 0
		.amdhsa_system_sgpr_workgroup_info 0
		.amdhsa_system_vgpr_workitem_id 0
		.amdhsa_next_free_vgpr 1
		.amdhsa_next_free_sgpr 0
		.amdhsa_accum_offset 4
		.amdhsa_reserve_vcc 0
		.amdhsa_reserve_flat_scratch 0
		.amdhsa_float_round_mode_32 0
		.amdhsa_float_round_mode_16_64 0
		.amdhsa_float_denorm_mode_32 3
		.amdhsa_float_denorm_mode_16_64 3
		.amdhsa_dx10_clamp 1
		.amdhsa_ieee_mode 1
		.amdhsa_fp16_overflow 0
		.amdhsa_tg_split 0
		.amdhsa_exception_fp_ieee_invalid_op 0
		.amdhsa_exception_fp_denorm_src 0
		.amdhsa_exception_fp_ieee_div_zero 0
		.amdhsa_exception_fp_ieee_overflow 0
		.amdhsa_exception_fp_ieee_underflow 0
		.amdhsa_exception_fp_ieee_inexact 0
		.amdhsa_exception_int_div_zero 0
	.end_amdhsa_kernel
	.section	.text._ZN7rocprim17ROCPRIM_400000_NS6detail17trampoline_kernelINS0_14default_configENS1_20scan_config_selectorIxEEZZNS1_9scan_implILNS1_25lookback_scan_determinismE0ELb1ELb1ES3_N6thrust23THRUST_200600_302600_NS6detail15normal_iteratorINS9_10device_ptrIxEEEESE_xNS9_4plusIxEExEEDaPvRmT3_T4_T5_mT6_P12ihipStream_tbENKUlT_T0_E_clISt17integral_constantIbLb1EEST_IbLb0EEEEDaSP_SQ_EUlSP_E_NS1_11comp_targetILNS1_3genE10ELNS1_11target_archE1201ELNS1_3gpuE5ELNS1_3repE0EEENS1_30default_config_static_selectorELNS0_4arch9wavefront6targetE1EEEvT1_,"axG",@progbits,_ZN7rocprim17ROCPRIM_400000_NS6detail17trampoline_kernelINS0_14default_configENS1_20scan_config_selectorIxEEZZNS1_9scan_implILNS1_25lookback_scan_determinismE0ELb1ELb1ES3_N6thrust23THRUST_200600_302600_NS6detail15normal_iteratorINS9_10device_ptrIxEEEESE_xNS9_4plusIxEExEEDaPvRmT3_T4_T5_mT6_P12ihipStream_tbENKUlT_T0_E_clISt17integral_constantIbLb1EEST_IbLb0EEEEDaSP_SQ_EUlSP_E_NS1_11comp_targetILNS1_3genE10ELNS1_11target_archE1201ELNS1_3gpuE5ELNS1_3repE0EEENS1_30default_config_static_selectorELNS0_4arch9wavefront6targetE1EEEvT1_,comdat
.Lfunc_end383:
	.size	_ZN7rocprim17ROCPRIM_400000_NS6detail17trampoline_kernelINS0_14default_configENS1_20scan_config_selectorIxEEZZNS1_9scan_implILNS1_25lookback_scan_determinismE0ELb1ELb1ES3_N6thrust23THRUST_200600_302600_NS6detail15normal_iteratorINS9_10device_ptrIxEEEESE_xNS9_4plusIxEExEEDaPvRmT3_T4_T5_mT6_P12ihipStream_tbENKUlT_T0_E_clISt17integral_constantIbLb1EEST_IbLb0EEEEDaSP_SQ_EUlSP_E_NS1_11comp_targetILNS1_3genE10ELNS1_11target_archE1201ELNS1_3gpuE5ELNS1_3repE0EEENS1_30default_config_static_selectorELNS0_4arch9wavefront6targetE1EEEvT1_, .Lfunc_end383-_ZN7rocprim17ROCPRIM_400000_NS6detail17trampoline_kernelINS0_14default_configENS1_20scan_config_selectorIxEEZZNS1_9scan_implILNS1_25lookback_scan_determinismE0ELb1ELb1ES3_N6thrust23THRUST_200600_302600_NS6detail15normal_iteratorINS9_10device_ptrIxEEEESE_xNS9_4plusIxEExEEDaPvRmT3_T4_T5_mT6_P12ihipStream_tbENKUlT_T0_E_clISt17integral_constantIbLb1EEST_IbLb0EEEEDaSP_SQ_EUlSP_E_NS1_11comp_targetILNS1_3genE10ELNS1_11target_archE1201ELNS1_3gpuE5ELNS1_3repE0EEENS1_30default_config_static_selectorELNS0_4arch9wavefront6targetE1EEEvT1_
                                        ; -- End function
	.section	.AMDGPU.csdata,"",@progbits
; Kernel info:
; codeLenInByte = 0
; NumSgprs: 4
; NumVgprs: 0
; NumAgprs: 0
; TotalNumVgprs: 0
; ScratchSize: 0
; MemoryBound: 0
; FloatMode: 240
; IeeeMode: 1
; LDSByteSize: 0 bytes/workgroup (compile time only)
; SGPRBlocks: 0
; VGPRBlocks: 0
; NumSGPRsForWavesPerEU: 4
; NumVGPRsForWavesPerEU: 1
; AccumOffset: 4
; Occupancy: 8
; WaveLimiterHint : 0
; COMPUTE_PGM_RSRC2:SCRATCH_EN: 0
; COMPUTE_PGM_RSRC2:USER_SGPR: 6
; COMPUTE_PGM_RSRC2:TRAP_HANDLER: 0
; COMPUTE_PGM_RSRC2:TGID_X_EN: 1
; COMPUTE_PGM_RSRC2:TGID_Y_EN: 0
; COMPUTE_PGM_RSRC2:TGID_Z_EN: 0
; COMPUTE_PGM_RSRC2:TIDIG_COMP_CNT: 0
; COMPUTE_PGM_RSRC3_GFX90A:ACCUM_OFFSET: 0
; COMPUTE_PGM_RSRC3_GFX90A:TG_SPLIT: 0
	.section	.text._ZN7rocprim17ROCPRIM_400000_NS6detail17trampoline_kernelINS0_14default_configENS1_20scan_config_selectorIxEEZZNS1_9scan_implILNS1_25lookback_scan_determinismE0ELb1ELb1ES3_N6thrust23THRUST_200600_302600_NS6detail15normal_iteratorINS9_10device_ptrIxEEEESE_xNS9_4plusIxEExEEDaPvRmT3_T4_T5_mT6_P12ihipStream_tbENKUlT_T0_E_clISt17integral_constantIbLb1EEST_IbLb0EEEEDaSP_SQ_EUlSP_E_NS1_11comp_targetILNS1_3genE10ELNS1_11target_archE1200ELNS1_3gpuE4ELNS1_3repE0EEENS1_30default_config_static_selectorELNS0_4arch9wavefront6targetE1EEEvT1_,"axG",@progbits,_ZN7rocprim17ROCPRIM_400000_NS6detail17trampoline_kernelINS0_14default_configENS1_20scan_config_selectorIxEEZZNS1_9scan_implILNS1_25lookback_scan_determinismE0ELb1ELb1ES3_N6thrust23THRUST_200600_302600_NS6detail15normal_iteratorINS9_10device_ptrIxEEEESE_xNS9_4plusIxEExEEDaPvRmT3_T4_T5_mT6_P12ihipStream_tbENKUlT_T0_E_clISt17integral_constantIbLb1EEST_IbLb0EEEEDaSP_SQ_EUlSP_E_NS1_11comp_targetILNS1_3genE10ELNS1_11target_archE1200ELNS1_3gpuE4ELNS1_3repE0EEENS1_30default_config_static_selectorELNS0_4arch9wavefront6targetE1EEEvT1_,comdat
	.protected	_ZN7rocprim17ROCPRIM_400000_NS6detail17trampoline_kernelINS0_14default_configENS1_20scan_config_selectorIxEEZZNS1_9scan_implILNS1_25lookback_scan_determinismE0ELb1ELb1ES3_N6thrust23THRUST_200600_302600_NS6detail15normal_iteratorINS9_10device_ptrIxEEEESE_xNS9_4plusIxEExEEDaPvRmT3_T4_T5_mT6_P12ihipStream_tbENKUlT_T0_E_clISt17integral_constantIbLb1EEST_IbLb0EEEEDaSP_SQ_EUlSP_E_NS1_11comp_targetILNS1_3genE10ELNS1_11target_archE1200ELNS1_3gpuE4ELNS1_3repE0EEENS1_30default_config_static_selectorELNS0_4arch9wavefront6targetE1EEEvT1_ ; -- Begin function _ZN7rocprim17ROCPRIM_400000_NS6detail17trampoline_kernelINS0_14default_configENS1_20scan_config_selectorIxEEZZNS1_9scan_implILNS1_25lookback_scan_determinismE0ELb1ELb1ES3_N6thrust23THRUST_200600_302600_NS6detail15normal_iteratorINS9_10device_ptrIxEEEESE_xNS9_4plusIxEExEEDaPvRmT3_T4_T5_mT6_P12ihipStream_tbENKUlT_T0_E_clISt17integral_constantIbLb1EEST_IbLb0EEEEDaSP_SQ_EUlSP_E_NS1_11comp_targetILNS1_3genE10ELNS1_11target_archE1200ELNS1_3gpuE4ELNS1_3repE0EEENS1_30default_config_static_selectorELNS0_4arch9wavefront6targetE1EEEvT1_
	.globl	_ZN7rocprim17ROCPRIM_400000_NS6detail17trampoline_kernelINS0_14default_configENS1_20scan_config_selectorIxEEZZNS1_9scan_implILNS1_25lookback_scan_determinismE0ELb1ELb1ES3_N6thrust23THRUST_200600_302600_NS6detail15normal_iteratorINS9_10device_ptrIxEEEESE_xNS9_4plusIxEExEEDaPvRmT3_T4_T5_mT6_P12ihipStream_tbENKUlT_T0_E_clISt17integral_constantIbLb1EEST_IbLb0EEEEDaSP_SQ_EUlSP_E_NS1_11comp_targetILNS1_3genE10ELNS1_11target_archE1200ELNS1_3gpuE4ELNS1_3repE0EEENS1_30default_config_static_selectorELNS0_4arch9wavefront6targetE1EEEvT1_
	.p2align	8
	.type	_ZN7rocprim17ROCPRIM_400000_NS6detail17trampoline_kernelINS0_14default_configENS1_20scan_config_selectorIxEEZZNS1_9scan_implILNS1_25lookback_scan_determinismE0ELb1ELb1ES3_N6thrust23THRUST_200600_302600_NS6detail15normal_iteratorINS9_10device_ptrIxEEEESE_xNS9_4plusIxEExEEDaPvRmT3_T4_T5_mT6_P12ihipStream_tbENKUlT_T0_E_clISt17integral_constantIbLb1EEST_IbLb0EEEEDaSP_SQ_EUlSP_E_NS1_11comp_targetILNS1_3genE10ELNS1_11target_archE1200ELNS1_3gpuE4ELNS1_3repE0EEENS1_30default_config_static_selectorELNS0_4arch9wavefront6targetE1EEEvT1_,@function
_ZN7rocprim17ROCPRIM_400000_NS6detail17trampoline_kernelINS0_14default_configENS1_20scan_config_selectorIxEEZZNS1_9scan_implILNS1_25lookback_scan_determinismE0ELb1ELb1ES3_N6thrust23THRUST_200600_302600_NS6detail15normal_iteratorINS9_10device_ptrIxEEEESE_xNS9_4plusIxEExEEDaPvRmT3_T4_T5_mT6_P12ihipStream_tbENKUlT_T0_E_clISt17integral_constantIbLb1EEST_IbLb0EEEEDaSP_SQ_EUlSP_E_NS1_11comp_targetILNS1_3genE10ELNS1_11target_archE1200ELNS1_3gpuE4ELNS1_3repE0EEENS1_30default_config_static_selectorELNS0_4arch9wavefront6targetE1EEEvT1_: ; @_ZN7rocprim17ROCPRIM_400000_NS6detail17trampoline_kernelINS0_14default_configENS1_20scan_config_selectorIxEEZZNS1_9scan_implILNS1_25lookback_scan_determinismE0ELb1ELb1ES3_N6thrust23THRUST_200600_302600_NS6detail15normal_iteratorINS9_10device_ptrIxEEEESE_xNS9_4plusIxEExEEDaPvRmT3_T4_T5_mT6_P12ihipStream_tbENKUlT_T0_E_clISt17integral_constantIbLb1EEST_IbLb0EEEEDaSP_SQ_EUlSP_E_NS1_11comp_targetILNS1_3genE10ELNS1_11target_archE1200ELNS1_3gpuE4ELNS1_3repE0EEENS1_30default_config_static_selectorELNS0_4arch9wavefront6targetE1EEEvT1_
; %bb.0:
	.section	.rodata,"a",@progbits
	.p2align	6, 0x0
	.amdhsa_kernel _ZN7rocprim17ROCPRIM_400000_NS6detail17trampoline_kernelINS0_14default_configENS1_20scan_config_selectorIxEEZZNS1_9scan_implILNS1_25lookback_scan_determinismE0ELb1ELb1ES3_N6thrust23THRUST_200600_302600_NS6detail15normal_iteratorINS9_10device_ptrIxEEEESE_xNS9_4plusIxEExEEDaPvRmT3_T4_T5_mT6_P12ihipStream_tbENKUlT_T0_E_clISt17integral_constantIbLb1EEST_IbLb0EEEEDaSP_SQ_EUlSP_E_NS1_11comp_targetILNS1_3genE10ELNS1_11target_archE1200ELNS1_3gpuE4ELNS1_3repE0EEENS1_30default_config_static_selectorELNS0_4arch9wavefront6targetE1EEEvT1_
		.amdhsa_group_segment_fixed_size 0
		.amdhsa_private_segment_fixed_size 0
		.amdhsa_kernarg_size 104
		.amdhsa_user_sgpr_count 6
		.amdhsa_user_sgpr_private_segment_buffer 1
		.amdhsa_user_sgpr_dispatch_ptr 0
		.amdhsa_user_sgpr_queue_ptr 0
		.amdhsa_user_sgpr_kernarg_segment_ptr 1
		.amdhsa_user_sgpr_dispatch_id 0
		.amdhsa_user_sgpr_flat_scratch_init 0
		.amdhsa_user_sgpr_kernarg_preload_length 0
		.amdhsa_user_sgpr_kernarg_preload_offset 0
		.amdhsa_user_sgpr_private_segment_size 0
		.amdhsa_uses_dynamic_stack 0
		.amdhsa_system_sgpr_private_segment_wavefront_offset 0
		.amdhsa_system_sgpr_workgroup_id_x 1
		.amdhsa_system_sgpr_workgroup_id_y 0
		.amdhsa_system_sgpr_workgroup_id_z 0
		.amdhsa_system_sgpr_workgroup_info 0
		.amdhsa_system_vgpr_workitem_id 0
		.amdhsa_next_free_vgpr 1
		.amdhsa_next_free_sgpr 0
		.amdhsa_accum_offset 4
		.amdhsa_reserve_vcc 0
		.amdhsa_reserve_flat_scratch 0
		.amdhsa_float_round_mode_32 0
		.amdhsa_float_round_mode_16_64 0
		.amdhsa_float_denorm_mode_32 3
		.amdhsa_float_denorm_mode_16_64 3
		.amdhsa_dx10_clamp 1
		.amdhsa_ieee_mode 1
		.amdhsa_fp16_overflow 0
		.amdhsa_tg_split 0
		.amdhsa_exception_fp_ieee_invalid_op 0
		.amdhsa_exception_fp_denorm_src 0
		.amdhsa_exception_fp_ieee_div_zero 0
		.amdhsa_exception_fp_ieee_overflow 0
		.amdhsa_exception_fp_ieee_underflow 0
		.amdhsa_exception_fp_ieee_inexact 0
		.amdhsa_exception_int_div_zero 0
	.end_amdhsa_kernel
	.section	.text._ZN7rocprim17ROCPRIM_400000_NS6detail17trampoline_kernelINS0_14default_configENS1_20scan_config_selectorIxEEZZNS1_9scan_implILNS1_25lookback_scan_determinismE0ELb1ELb1ES3_N6thrust23THRUST_200600_302600_NS6detail15normal_iteratorINS9_10device_ptrIxEEEESE_xNS9_4plusIxEExEEDaPvRmT3_T4_T5_mT6_P12ihipStream_tbENKUlT_T0_E_clISt17integral_constantIbLb1EEST_IbLb0EEEEDaSP_SQ_EUlSP_E_NS1_11comp_targetILNS1_3genE10ELNS1_11target_archE1200ELNS1_3gpuE4ELNS1_3repE0EEENS1_30default_config_static_selectorELNS0_4arch9wavefront6targetE1EEEvT1_,"axG",@progbits,_ZN7rocprim17ROCPRIM_400000_NS6detail17trampoline_kernelINS0_14default_configENS1_20scan_config_selectorIxEEZZNS1_9scan_implILNS1_25lookback_scan_determinismE0ELb1ELb1ES3_N6thrust23THRUST_200600_302600_NS6detail15normal_iteratorINS9_10device_ptrIxEEEESE_xNS9_4plusIxEExEEDaPvRmT3_T4_T5_mT6_P12ihipStream_tbENKUlT_T0_E_clISt17integral_constantIbLb1EEST_IbLb0EEEEDaSP_SQ_EUlSP_E_NS1_11comp_targetILNS1_3genE10ELNS1_11target_archE1200ELNS1_3gpuE4ELNS1_3repE0EEENS1_30default_config_static_selectorELNS0_4arch9wavefront6targetE1EEEvT1_,comdat
.Lfunc_end384:
	.size	_ZN7rocprim17ROCPRIM_400000_NS6detail17trampoline_kernelINS0_14default_configENS1_20scan_config_selectorIxEEZZNS1_9scan_implILNS1_25lookback_scan_determinismE0ELb1ELb1ES3_N6thrust23THRUST_200600_302600_NS6detail15normal_iteratorINS9_10device_ptrIxEEEESE_xNS9_4plusIxEExEEDaPvRmT3_T4_T5_mT6_P12ihipStream_tbENKUlT_T0_E_clISt17integral_constantIbLb1EEST_IbLb0EEEEDaSP_SQ_EUlSP_E_NS1_11comp_targetILNS1_3genE10ELNS1_11target_archE1200ELNS1_3gpuE4ELNS1_3repE0EEENS1_30default_config_static_selectorELNS0_4arch9wavefront6targetE1EEEvT1_, .Lfunc_end384-_ZN7rocprim17ROCPRIM_400000_NS6detail17trampoline_kernelINS0_14default_configENS1_20scan_config_selectorIxEEZZNS1_9scan_implILNS1_25lookback_scan_determinismE0ELb1ELb1ES3_N6thrust23THRUST_200600_302600_NS6detail15normal_iteratorINS9_10device_ptrIxEEEESE_xNS9_4plusIxEExEEDaPvRmT3_T4_T5_mT6_P12ihipStream_tbENKUlT_T0_E_clISt17integral_constantIbLb1EEST_IbLb0EEEEDaSP_SQ_EUlSP_E_NS1_11comp_targetILNS1_3genE10ELNS1_11target_archE1200ELNS1_3gpuE4ELNS1_3repE0EEENS1_30default_config_static_selectorELNS0_4arch9wavefront6targetE1EEEvT1_
                                        ; -- End function
	.section	.AMDGPU.csdata,"",@progbits
; Kernel info:
; codeLenInByte = 0
; NumSgprs: 4
; NumVgprs: 0
; NumAgprs: 0
; TotalNumVgprs: 0
; ScratchSize: 0
; MemoryBound: 0
; FloatMode: 240
; IeeeMode: 1
; LDSByteSize: 0 bytes/workgroup (compile time only)
; SGPRBlocks: 0
; VGPRBlocks: 0
; NumSGPRsForWavesPerEU: 4
; NumVGPRsForWavesPerEU: 1
; AccumOffset: 4
; Occupancy: 8
; WaveLimiterHint : 0
; COMPUTE_PGM_RSRC2:SCRATCH_EN: 0
; COMPUTE_PGM_RSRC2:USER_SGPR: 6
; COMPUTE_PGM_RSRC2:TRAP_HANDLER: 0
; COMPUTE_PGM_RSRC2:TGID_X_EN: 1
; COMPUTE_PGM_RSRC2:TGID_Y_EN: 0
; COMPUTE_PGM_RSRC2:TGID_Z_EN: 0
; COMPUTE_PGM_RSRC2:TIDIG_COMP_CNT: 0
; COMPUTE_PGM_RSRC3_GFX90A:ACCUM_OFFSET: 0
; COMPUTE_PGM_RSRC3_GFX90A:TG_SPLIT: 0
	.section	.text._ZN7rocprim17ROCPRIM_400000_NS6detail17trampoline_kernelINS0_14default_configENS1_20scan_config_selectorIxEEZZNS1_9scan_implILNS1_25lookback_scan_determinismE0ELb1ELb1ES3_N6thrust23THRUST_200600_302600_NS6detail15normal_iteratorINS9_10device_ptrIxEEEESE_xNS9_4plusIxEExEEDaPvRmT3_T4_T5_mT6_P12ihipStream_tbENKUlT_T0_E_clISt17integral_constantIbLb1EEST_IbLb0EEEEDaSP_SQ_EUlSP_E_NS1_11comp_targetILNS1_3genE9ELNS1_11target_archE1100ELNS1_3gpuE3ELNS1_3repE0EEENS1_30default_config_static_selectorELNS0_4arch9wavefront6targetE1EEEvT1_,"axG",@progbits,_ZN7rocprim17ROCPRIM_400000_NS6detail17trampoline_kernelINS0_14default_configENS1_20scan_config_selectorIxEEZZNS1_9scan_implILNS1_25lookback_scan_determinismE0ELb1ELb1ES3_N6thrust23THRUST_200600_302600_NS6detail15normal_iteratorINS9_10device_ptrIxEEEESE_xNS9_4plusIxEExEEDaPvRmT3_T4_T5_mT6_P12ihipStream_tbENKUlT_T0_E_clISt17integral_constantIbLb1EEST_IbLb0EEEEDaSP_SQ_EUlSP_E_NS1_11comp_targetILNS1_3genE9ELNS1_11target_archE1100ELNS1_3gpuE3ELNS1_3repE0EEENS1_30default_config_static_selectorELNS0_4arch9wavefront6targetE1EEEvT1_,comdat
	.protected	_ZN7rocprim17ROCPRIM_400000_NS6detail17trampoline_kernelINS0_14default_configENS1_20scan_config_selectorIxEEZZNS1_9scan_implILNS1_25lookback_scan_determinismE0ELb1ELb1ES3_N6thrust23THRUST_200600_302600_NS6detail15normal_iteratorINS9_10device_ptrIxEEEESE_xNS9_4plusIxEExEEDaPvRmT3_T4_T5_mT6_P12ihipStream_tbENKUlT_T0_E_clISt17integral_constantIbLb1EEST_IbLb0EEEEDaSP_SQ_EUlSP_E_NS1_11comp_targetILNS1_3genE9ELNS1_11target_archE1100ELNS1_3gpuE3ELNS1_3repE0EEENS1_30default_config_static_selectorELNS0_4arch9wavefront6targetE1EEEvT1_ ; -- Begin function _ZN7rocprim17ROCPRIM_400000_NS6detail17trampoline_kernelINS0_14default_configENS1_20scan_config_selectorIxEEZZNS1_9scan_implILNS1_25lookback_scan_determinismE0ELb1ELb1ES3_N6thrust23THRUST_200600_302600_NS6detail15normal_iteratorINS9_10device_ptrIxEEEESE_xNS9_4plusIxEExEEDaPvRmT3_T4_T5_mT6_P12ihipStream_tbENKUlT_T0_E_clISt17integral_constantIbLb1EEST_IbLb0EEEEDaSP_SQ_EUlSP_E_NS1_11comp_targetILNS1_3genE9ELNS1_11target_archE1100ELNS1_3gpuE3ELNS1_3repE0EEENS1_30default_config_static_selectorELNS0_4arch9wavefront6targetE1EEEvT1_
	.globl	_ZN7rocprim17ROCPRIM_400000_NS6detail17trampoline_kernelINS0_14default_configENS1_20scan_config_selectorIxEEZZNS1_9scan_implILNS1_25lookback_scan_determinismE0ELb1ELb1ES3_N6thrust23THRUST_200600_302600_NS6detail15normal_iteratorINS9_10device_ptrIxEEEESE_xNS9_4plusIxEExEEDaPvRmT3_T4_T5_mT6_P12ihipStream_tbENKUlT_T0_E_clISt17integral_constantIbLb1EEST_IbLb0EEEEDaSP_SQ_EUlSP_E_NS1_11comp_targetILNS1_3genE9ELNS1_11target_archE1100ELNS1_3gpuE3ELNS1_3repE0EEENS1_30default_config_static_selectorELNS0_4arch9wavefront6targetE1EEEvT1_
	.p2align	8
	.type	_ZN7rocprim17ROCPRIM_400000_NS6detail17trampoline_kernelINS0_14default_configENS1_20scan_config_selectorIxEEZZNS1_9scan_implILNS1_25lookback_scan_determinismE0ELb1ELb1ES3_N6thrust23THRUST_200600_302600_NS6detail15normal_iteratorINS9_10device_ptrIxEEEESE_xNS9_4plusIxEExEEDaPvRmT3_T4_T5_mT6_P12ihipStream_tbENKUlT_T0_E_clISt17integral_constantIbLb1EEST_IbLb0EEEEDaSP_SQ_EUlSP_E_NS1_11comp_targetILNS1_3genE9ELNS1_11target_archE1100ELNS1_3gpuE3ELNS1_3repE0EEENS1_30default_config_static_selectorELNS0_4arch9wavefront6targetE1EEEvT1_,@function
_ZN7rocprim17ROCPRIM_400000_NS6detail17trampoline_kernelINS0_14default_configENS1_20scan_config_selectorIxEEZZNS1_9scan_implILNS1_25lookback_scan_determinismE0ELb1ELb1ES3_N6thrust23THRUST_200600_302600_NS6detail15normal_iteratorINS9_10device_ptrIxEEEESE_xNS9_4plusIxEExEEDaPvRmT3_T4_T5_mT6_P12ihipStream_tbENKUlT_T0_E_clISt17integral_constantIbLb1EEST_IbLb0EEEEDaSP_SQ_EUlSP_E_NS1_11comp_targetILNS1_3genE9ELNS1_11target_archE1100ELNS1_3gpuE3ELNS1_3repE0EEENS1_30default_config_static_selectorELNS0_4arch9wavefront6targetE1EEEvT1_: ; @_ZN7rocprim17ROCPRIM_400000_NS6detail17trampoline_kernelINS0_14default_configENS1_20scan_config_selectorIxEEZZNS1_9scan_implILNS1_25lookback_scan_determinismE0ELb1ELb1ES3_N6thrust23THRUST_200600_302600_NS6detail15normal_iteratorINS9_10device_ptrIxEEEESE_xNS9_4plusIxEExEEDaPvRmT3_T4_T5_mT6_P12ihipStream_tbENKUlT_T0_E_clISt17integral_constantIbLb1EEST_IbLb0EEEEDaSP_SQ_EUlSP_E_NS1_11comp_targetILNS1_3genE9ELNS1_11target_archE1100ELNS1_3gpuE3ELNS1_3repE0EEENS1_30default_config_static_selectorELNS0_4arch9wavefront6targetE1EEEvT1_
; %bb.0:
	.section	.rodata,"a",@progbits
	.p2align	6, 0x0
	.amdhsa_kernel _ZN7rocprim17ROCPRIM_400000_NS6detail17trampoline_kernelINS0_14default_configENS1_20scan_config_selectorIxEEZZNS1_9scan_implILNS1_25lookback_scan_determinismE0ELb1ELb1ES3_N6thrust23THRUST_200600_302600_NS6detail15normal_iteratorINS9_10device_ptrIxEEEESE_xNS9_4plusIxEExEEDaPvRmT3_T4_T5_mT6_P12ihipStream_tbENKUlT_T0_E_clISt17integral_constantIbLb1EEST_IbLb0EEEEDaSP_SQ_EUlSP_E_NS1_11comp_targetILNS1_3genE9ELNS1_11target_archE1100ELNS1_3gpuE3ELNS1_3repE0EEENS1_30default_config_static_selectorELNS0_4arch9wavefront6targetE1EEEvT1_
		.amdhsa_group_segment_fixed_size 0
		.amdhsa_private_segment_fixed_size 0
		.amdhsa_kernarg_size 104
		.amdhsa_user_sgpr_count 6
		.amdhsa_user_sgpr_private_segment_buffer 1
		.amdhsa_user_sgpr_dispatch_ptr 0
		.amdhsa_user_sgpr_queue_ptr 0
		.amdhsa_user_sgpr_kernarg_segment_ptr 1
		.amdhsa_user_sgpr_dispatch_id 0
		.amdhsa_user_sgpr_flat_scratch_init 0
		.amdhsa_user_sgpr_kernarg_preload_length 0
		.amdhsa_user_sgpr_kernarg_preload_offset 0
		.amdhsa_user_sgpr_private_segment_size 0
		.amdhsa_uses_dynamic_stack 0
		.amdhsa_system_sgpr_private_segment_wavefront_offset 0
		.amdhsa_system_sgpr_workgroup_id_x 1
		.amdhsa_system_sgpr_workgroup_id_y 0
		.amdhsa_system_sgpr_workgroup_id_z 0
		.amdhsa_system_sgpr_workgroup_info 0
		.amdhsa_system_vgpr_workitem_id 0
		.amdhsa_next_free_vgpr 1
		.amdhsa_next_free_sgpr 0
		.amdhsa_accum_offset 4
		.amdhsa_reserve_vcc 0
		.amdhsa_reserve_flat_scratch 0
		.amdhsa_float_round_mode_32 0
		.amdhsa_float_round_mode_16_64 0
		.amdhsa_float_denorm_mode_32 3
		.amdhsa_float_denorm_mode_16_64 3
		.amdhsa_dx10_clamp 1
		.amdhsa_ieee_mode 1
		.amdhsa_fp16_overflow 0
		.amdhsa_tg_split 0
		.amdhsa_exception_fp_ieee_invalid_op 0
		.amdhsa_exception_fp_denorm_src 0
		.amdhsa_exception_fp_ieee_div_zero 0
		.amdhsa_exception_fp_ieee_overflow 0
		.amdhsa_exception_fp_ieee_underflow 0
		.amdhsa_exception_fp_ieee_inexact 0
		.amdhsa_exception_int_div_zero 0
	.end_amdhsa_kernel
	.section	.text._ZN7rocprim17ROCPRIM_400000_NS6detail17trampoline_kernelINS0_14default_configENS1_20scan_config_selectorIxEEZZNS1_9scan_implILNS1_25lookback_scan_determinismE0ELb1ELb1ES3_N6thrust23THRUST_200600_302600_NS6detail15normal_iteratorINS9_10device_ptrIxEEEESE_xNS9_4plusIxEExEEDaPvRmT3_T4_T5_mT6_P12ihipStream_tbENKUlT_T0_E_clISt17integral_constantIbLb1EEST_IbLb0EEEEDaSP_SQ_EUlSP_E_NS1_11comp_targetILNS1_3genE9ELNS1_11target_archE1100ELNS1_3gpuE3ELNS1_3repE0EEENS1_30default_config_static_selectorELNS0_4arch9wavefront6targetE1EEEvT1_,"axG",@progbits,_ZN7rocprim17ROCPRIM_400000_NS6detail17trampoline_kernelINS0_14default_configENS1_20scan_config_selectorIxEEZZNS1_9scan_implILNS1_25lookback_scan_determinismE0ELb1ELb1ES3_N6thrust23THRUST_200600_302600_NS6detail15normal_iteratorINS9_10device_ptrIxEEEESE_xNS9_4plusIxEExEEDaPvRmT3_T4_T5_mT6_P12ihipStream_tbENKUlT_T0_E_clISt17integral_constantIbLb1EEST_IbLb0EEEEDaSP_SQ_EUlSP_E_NS1_11comp_targetILNS1_3genE9ELNS1_11target_archE1100ELNS1_3gpuE3ELNS1_3repE0EEENS1_30default_config_static_selectorELNS0_4arch9wavefront6targetE1EEEvT1_,comdat
.Lfunc_end385:
	.size	_ZN7rocprim17ROCPRIM_400000_NS6detail17trampoline_kernelINS0_14default_configENS1_20scan_config_selectorIxEEZZNS1_9scan_implILNS1_25lookback_scan_determinismE0ELb1ELb1ES3_N6thrust23THRUST_200600_302600_NS6detail15normal_iteratorINS9_10device_ptrIxEEEESE_xNS9_4plusIxEExEEDaPvRmT3_T4_T5_mT6_P12ihipStream_tbENKUlT_T0_E_clISt17integral_constantIbLb1EEST_IbLb0EEEEDaSP_SQ_EUlSP_E_NS1_11comp_targetILNS1_3genE9ELNS1_11target_archE1100ELNS1_3gpuE3ELNS1_3repE0EEENS1_30default_config_static_selectorELNS0_4arch9wavefront6targetE1EEEvT1_, .Lfunc_end385-_ZN7rocprim17ROCPRIM_400000_NS6detail17trampoline_kernelINS0_14default_configENS1_20scan_config_selectorIxEEZZNS1_9scan_implILNS1_25lookback_scan_determinismE0ELb1ELb1ES3_N6thrust23THRUST_200600_302600_NS6detail15normal_iteratorINS9_10device_ptrIxEEEESE_xNS9_4plusIxEExEEDaPvRmT3_T4_T5_mT6_P12ihipStream_tbENKUlT_T0_E_clISt17integral_constantIbLb1EEST_IbLb0EEEEDaSP_SQ_EUlSP_E_NS1_11comp_targetILNS1_3genE9ELNS1_11target_archE1100ELNS1_3gpuE3ELNS1_3repE0EEENS1_30default_config_static_selectorELNS0_4arch9wavefront6targetE1EEEvT1_
                                        ; -- End function
	.section	.AMDGPU.csdata,"",@progbits
; Kernel info:
; codeLenInByte = 0
; NumSgprs: 4
; NumVgprs: 0
; NumAgprs: 0
; TotalNumVgprs: 0
; ScratchSize: 0
; MemoryBound: 0
; FloatMode: 240
; IeeeMode: 1
; LDSByteSize: 0 bytes/workgroup (compile time only)
; SGPRBlocks: 0
; VGPRBlocks: 0
; NumSGPRsForWavesPerEU: 4
; NumVGPRsForWavesPerEU: 1
; AccumOffset: 4
; Occupancy: 8
; WaveLimiterHint : 0
; COMPUTE_PGM_RSRC2:SCRATCH_EN: 0
; COMPUTE_PGM_RSRC2:USER_SGPR: 6
; COMPUTE_PGM_RSRC2:TRAP_HANDLER: 0
; COMPUTE_PGM_RSRC2:TGID_X_EN: 1
; COMPUTE_PGM_RSRC2:TGID_Y_EN: 0
; COMPUTE_PGM_RSRC2:TGID_Z_EN: 0
; COMPUTE_PGM_RSRC2:TIDIG_COMP_CNT: 0
; COMPUTE_PGM_RSRC3_GFX90A:ACCUM_OFFSET: 0
; COMPUTE_PGM_RSRC3_GFX90A:TG_SPLIT: 0
	.section	.text._ZN7rocprim17ROCPRIM_400000_NS6detail17trampoline_kernelINS0_14default_configENS1_20scan_config_selectorIxEEZZNS1_9scan_implILNS1_25lookback_scan_determinismE0ELb1ELb1ES3_N6thrust23THRUST_200600_302600_NS6detail15normal_iteratorINS9_10device_ptrIxEEEESE_xNS9_4plusIxEExEEDaPvRmT3_T4_T5_mT6_P12ihipStream_tbENKUlT_T0_E_clISt17integral_constantIbLb1EEST_IbLb0EEEEDaSP_SQ_EUlSP_E_NS1_11comp_targetILNS1_3genE8ELNS1_11target_archE1030ELNS1_3gpuE2ELNS1_3repE0EEENS1_30default_config_static_selectorELNS0_4arch9wavefront6targetE1EEEvT1_,"axG",@progbits,_ZN7rocprim17ROCPRIM_400000_NS6detail17trampoline_kernelINS0_14default_configENS1_20scan_config_selectorIxEEZZNS1_9scan_implILNS1_25lookback_scan_determinismE0ELb1ELb1ES3_N6thrust23THRUST_200600_302600_NS6detail15normal_iteratorINS9_10device_ptrIxEEEESE_xNS9_4plusIxEExEEDaPvRmT3_T4_T5_mT6_P12ihipStream_tbENKUlT_T0_E_clISt17integral_constantIbLb1EEST_IbLb0EEEEDaSP_SQ_EUlSP_E_NS1_11comp_targetILNS1_3genE8ELNS1_11target_archE1030ELNS1_3gpuE2ELNS1_3repE0EEENS1_30default_config_static_selectorELNS0_4arch9wavefront6targetE1EEEvT1_,comdat
	.protected	_ZN7rocprim17ROCPRIM_400000_NS6detail17trampoline_kernelINS0_14default_configENS1_20scan_config_selectorIxEEZZNS1_9scan_implILNS1_25lookback_scan_determinismE0ELb1ELb1ES3_N6thrust23THRUST_200600_302600_NS6detail15normal_iteratorINS9_10device_ptrIxEEEESE_xNS9_4plusIxEExEEDaPvRmT3_T4_T5_mT6_P12ihipStream_tbENKUlT_T0_E_clISt17integral_constantIbLb1EEST_IbLb0EEEEDaSP_SQ_EUlSP_E_NS1_11comp_targetILNS1_3genE8ELNS1_11target_archE1030ELNS1_3gpuE2ELNS1_3repE0EEENS1_30default_config_static_selectorELNS0_4arch9wavefront6targetE1EEEvT1_ ; -- Begin function _ZN7rocprim17ROCPRIM_400000_NS6detail17trampoline_kernelINS0_14default_configENS1_20scan_config_selectorIxEEZZNS1_9scan_implILNS1_25lookback_scan_determinismE0ELb1ELb1ES3_N6thrust23THRUST_200600_302600_NS6detail15normal_iteratorINS9_10device_ptrIxEEEESE_xNS9_4plusIxEExEEDaPvRmT3_T4_T5_mT6_P12ihipStream_tbENKUlT_T0_E_clISt17integral_constantIbLb1EEST_IbLb0EEEEDaSP_SQ_EUlSP_E_NS1_11comp_targetILNS1_3genE8ELNS1_11target_archE1030ELNS1_3gpuE2ELNS1_3repE0EEENS1_30default_config_static_selectorELNS0_4arch9wavefront6targetE1EEEvT1_
	.globl	_ZN7rocprim17ROCPRIM_400000_NS6detail17trampoline_kernelINS0_14default_configENS1_20scan_config_selectorIxEEZZNS1_9scan_implILNS1_25lookback_scan_determinismE0ELb1ELb1ES3_N6thrust23THRUST_200600_302600_NS6detail15normal_iteratorINS9_10device_ptrIxEEEESE_xNS9_4plusIxEExEEDaPvRmT3_T4_T5_mT6_P12ihipStream_tbENKUlT_T0_E_clISt17integral_constantIbLb1EEST_IbLb0EEEEDaSP_SQ_EUlSP_E_NS1_11comp_targetILNS1_3genE8ELNS1_11target_archE1030ELNS1_3gpuE2ELNS1_3repE0EEENS1_30default_config_static_selectorELNS0_4arch9wavefront6targetE1EEEvT1_
	.p2align	8
	.type	_ZN7rocprim17ROCPRIM_400000_NS6detail17trampoline_kernelINS0_14default_configENS1_20scan_config_selectorIxEEZZNS1_9scan_implILNS1_25lookback_scan_determinismE0ELb1ELb1ES3_N6thrust23THRUST_200600_302600_NS6detail15normal_iteratorINS9_10device_ptrIxEEEESE_xNS9_4plusIxEExEEDaPvRmT3_T4_T5_mT6_P12ihipStream_tbENKUlT_T0_E_clISt17integral_constantIbLb1EEST_IbLb0EEEEDaSP_SQ_EUlSP_E_NS1_11comp_targetILNS1_3genE8ELNS1_11target_archE1030ELNS1_3gpuE2ELNS1_3repE0EEENS1_30default_config_static_selectorELNS0_4arch9wavefront6targetE1EEEvT1_,@function
_ZN7rocprim17ROCPRIM_400000_NS6detail17trampoline_kernelINS0_14default_configENS1_20scan_config_selectorIxEEZZNS1_9scan_implILNS1_25lookback_scan_determinismE0ELb1ELb1ES3_N6thrust23THRUST_200600_302600_NS6detail15normal_iteratorINS9_10device_ptrIxEEEESE_xNS9_4plusIxEExEEDaPvRmT3_T4_T5_mT6_P12ihipStream_tbENKUlT_T0_E_clISt17integral_constantIbLb1EEST_IbLb0EEEEDaSP_SQ_EUlSP_E_NS1_11comp_targetILNS1_3genE8ELNS1_11target_archE1030ELNS1_3gpuE2ELNS1_3repE0EEENS1_30default_config_static_selectorELNS0_4arch9wavefront6targetE1EEEvT1_: ; @_ZN7rocprim17ROCPRIM_400000_NS6detail17trampoline_kernelINS0_14default_configENS1_20scan_config_selectorIxEEZZNS1_9scan_implILNS1_25lookback_scan_determinismE0ELb1ELb1ES3_N6thrust23THRUST_200600_302600_NS6detail15normal_iteratorINS9_10device_ptrIxEEEESE_xNS9_4plusIxEExEEDaPvRmT3_T4_T5_mT6_P12ihipStream_tbENKUlT_T0_E_clISt17integral_constantIbLb1EEST_IbLb0EEEEDaSP_SQ_EUlSP_E_NS1_11comp_targetILNS1_3genE8ELNS1_11target_archE1030ELNS1_3gpuE2ELNS1_3repE0EEENS1_30default_config_static_selectorELNS0_4arch9wavefront6targetE1EEEvT1_
; %bb.0:
	.section	.rodata,"a",@progbits
	.p2align	6, 0x0
	.amdhsa_kernel _ZN7rocprim17ROCPRIM_400000_NS6detail17trampoline_kernelINS0_14default_configENS1_20scan_config_selectorIxEEZZNS1_9scan_implILNS1_25lookback_scan_determinismE0ELb1ELb1ES3_N6thrust23THRUST_200600_302600_NS6detail15normal_iteratorINS9_10device_ptrIxEEEESE_xNS9_4plusIxEExEEDaPvRmT3_T4_T5_mT6_P12ihipStream_tbENKUlT_T0_E_clISt17integral_constantIbLb1EEST_IbLb0EEEEDaSP_SQ_EUlSP_E_NS1_11comp_targetILNS1_3genE8ELNS1_11target_archE1030ELNS1_3gpuE2ELNS1_3repE0EEENS1_30default_config_static_selectorELNS0_4arch9wavefront6targetE1EEEvT1_
		.amdhsa_group_segment_fixed_size 0
		.amdhsa_private_segment_fixed_size 0
		.amdhsa_kernarg_size 104
		.amdhsa_user_sgpr_count 6
		.amdhsa_user_sgpr_private_segment_buffer 1
		.amdhsa_user_sgpr_dispatch_ptr 0
		.amdhsa_user_sgpr_queue_ptr 0
		.amdhsa_user_sgpr_kernarg_segment_ptr 1
		.amdhsa_user_sgpr_dispatch_id 0
		.amdhsa_user_sgpr_flat_scratch_init 0
		.amdhsa_user_sgpr_kernarg_preload_length 0
		.amdhsa_user_sgpr_kernarg_preload_offset 0
		.amdhsa_user_sgpr_private_segment_size 0
		.amdhsa_uses_dynamic_stack 0
		.amdhsa_system_sgpr_private_segment_wavefront_offset 0
		.amdhsa_system_sgpr_workgroup_id_x 1
		.amdhsa_system_sgpr_workgroup_id_y 0
		.amdhsa_system_sgpr_workgroup_id_z 0
		.amdhsa_system_sgpr_workgroup_info 0
		.amdhsa_system_vgpr_workitem_id 0
		.amdhsa_next_free_vgpr 1
		.amdhsa_next_free_sgpr 0
		.amdhsa_accum_offset 4
		.amdhsa_reserve_vcc 0
		.amdhsa_reserve_flat_scratch 0
		.amdhsa_float_round_mode_32 0
		.amdhsa_float_round_mode_16_64 0
		.amdhsa_float_denorm_mode_32 3
		.amdhsa_float_denorm_mode_16_64 3
		.amdhsa_dx10_clamp 1
		.amdhsa_ieee_mode 1
		.amdhsa_fp16_overflow 0
		.amdhsa_tg_split 0
		.amdhsa_exception_fp_ieee_invalid_op 0
		.amdhsa_exception_fp_denorm_src 0
		.amdhsa_exception_fp_ieee_div_zero 0
		.amdhsa_exception_fp_ieee_overflow 0
		.amdhsa_exception_fp_ieee_underflow 0
		.amdhsa_exception_fp_ieee_inexact 0
		.amdhsa_exception_int_div_zero 0
	.end_amdhsa_kernel
	.section	.text._ZN7rocprim17ROCPRIM_400000_NS6detail17trampoline_kernelINS0_14default_configENS1_20scan_config_selectorIxEEZZNS1_9scan_implILNS1_25lookback_scan_determinismE0ELb1ELb1ES3_N6thrust23THRUST_200600_302600_NS6detail15normal_iteratorINS9_10device_ptrIxEEEESE_xNS9_4plusIxEExEEDaPvRmT3_T4_T5_mT6_P12ihipStream_tbENKUlT_T0_E_clISt17integral_constantIbLb1EEST_IbLb0EEEEDaSP_SQ_EUlSP_E_NS1_11comp_targetILNS1_3genE8ELNS1_11target_archE1030ELNS1_3gpuE2ELNS1_3repE0EEENS1_30default_config_static_selectorELNS0_4arch9wavefront6targetE1EEEvT1_,"axG",@progbits,_ZN7rocprim17ROCPRIM_400000_NS6detail17trampoline_kernelINS0_14default_configENS1_20scan_config_selectorIxEEZZNS1_9scan_implILNS1_25lookback_scan_determinismE0ELb1ELb1ES3_N6thrust23THRUST_200600_302600_NS6detail15normal_iteratorINS9_10device_ptrIxEEEESE_xNS9_4plusIxEExEEDaPvRmT3_T4_T5_mT6_P12ihipStream_tbENKUlT_T0_E_clISt17integral_constantIbLb1EEST_IbLb0EEEEDaSP_SQ_EUlSP_E_NS1_11comp_targetILNS1_3genE8ELNS1_11target_archE1030ELNS1_3gpuE2ELNS1_3repE0EEENS1_30default_config_static_selectorELNS0_4arch9wavefront6targetE1EEEvT1_,comdat
.Lfunc_end386:
	.size	_ZN7rocprim17ROCPRIM_400000_NS6detail17trampoline_kernelINS0_14default_configENS1_20scan_config_selectorIxEEZZNS1_9scan_implILNS1_25lookback_scan_determinismE0ELb1ELb1ES3_N6thrust23THRUST_200600_302600_NS6detail15normal_iteratorINS9_10device_ptrIxEEEESE_xNS9_4plusIxEExEEDaPvRmT3_T4_T5_mT6_P12ihipStream_tbENKUlT_T0_E_clISt17integral_constantIbLb1EEST_IbLb0EEEEDaSP_SQ_EUlSP_E_NS1_11comp_targetILNS1_3genE8ELNS1_11target_archE1030ELNS1_3gpuE2ELNS1_3repE0EEENS1_30default_config_static_selectorELNS0_4arch9wavefront6targetE1EEEvT1_, .Lfunc_end386-_ZN7rocprim17ROCPRIM_400000_NS6detail17trampoline_kernelINS0_14default_configENS1_20scan_config_selectorIxEEZZNS1_9scan_implILNS1_25lookback_scan_determinismE0ELb1ELb1ES3_N6thrust23THRUST_200600_302600_NS6detail15normal_iteratorINS9_10device_ptrIxEEEESE_xNS9_4plusIxEExEEDaPvRmT3_T4_T5_mT6_P12ihipStream_tbENKUlT_T0_E_clISt17integral_constantIbLb1EEST_IbLb0EEEEDaSP_SQ_EUlSP_E_NS1_11comp_targetILNS1_3genE8ELNS1_11target_archE1030ELNS1_3gpuE2ELNS1_3repE0EEENS1_30default_config_static_selectorELNS0_4arch9wavefront6targetE1EEEvT1_
                                        ; -- End function
	.section	.AMDGPU.csdata,"",@progbits
; Kernel info:
; codeLenInByte = 0
; NumSgprs: 4
; NumVgprs: 0
; NumAgprs: 0
; TotalNumVgprs: 0
; ScratchSize: 0
; MemoryBound: 0
; FloatMode: 240
; IeeeMode: 1
; LDSByteSize: 0 bytes/workgroup (compile time only)
; SGPRBlocks: 0
; VGPRBlocks: 0
; NumSGPRsForWavesPerEU: 4
; NumVGPRsForWavesPerEU: 1
; AccumOffset: 4
; Occupancy: 8
; WaveLimiterHint : 0
; COMPUTE_PGM_RSRC2:SCRATCH_EN: 0
; COMPUTE_PGM_RSRC2:USER_SGPR: 6
; COMPUTE_PGM_RSRC2:TRAP_HANDLER: 0
; COMPUTE_PGM_RSRC2:TGID_X_EN: 1
; COMPUTE_PGM_RSRC2:TGID_Y_EN: 0
; COMPUTE_PGM_RSRC2:TGID_Z_EN: 0
; COMPUTE_PGM_RSRC2:TIDIG_COMP_CNT: 0
; COMPUTE_PGM_RSRC3_GFX90A:ACCUM_OFFSET: 0
; COMPUTE_PGM_RSRC3_GFX90A:TG_SPLIT: 0
	.section	.text._ZN7rocprim17ROCPRIM_400000_NS6detail17trampoline_kernelINS0_14default_configENS1_20scan_config_selectorIxEEZZNS1_9scan_implILNS1_25lookback_scan_determinismE0ELb1ELb1ES3_N6thrust23THRUST_200600_302600_NS6detail15normal_iteratorINS9_10device_ptrIxEEEESE_xNS9_4plusIxEExEEDaPvRmT3_T4_T5_mT6_P12ihipStream_tbENKUlT_T0_E_clISt17integral_constantIbLb1EEST_IbLb0EEEEDaSP_SQ_EUlSP_E0_NS1_11comp_targetILNS1_3genE0ELNS1_11target_archE4294967295ELNS1_3gpuE0ELNS1_3repE0EEENS1_30default_config_static_selectorELNS0_4arch9wavefront6targetE1EEEvT1_,"axG",@progbits,_ZN7rocprim17ROCPRIM_400000_NS6detail17trampoline_kernelINS0_14default_configENS1_20scan_config_selectorIxEEZZNS1_9scan_implILNS1_25lookback_scan_determinismE0ELb1ELb1ES3_N6thrust23THRUST_200600_302600_NS6detail15normal_iteratorINS9_10device_ptrIxEEEESE_xNS9_4plusIxEExEEDaPvRmT3_T4_T5_mT6_P12ihipStream_tbENKUlT_T0_E_clISt17integral_constantIbLb1EEST_IbLb0EEEEDaSP_SQ_EUlSP_E0_NS1_11comp_targetILNS1_3genE0ELNS1_11target_archE4294967295ELNS1_3gpuE0ELNS1_3repE0EEENS1_30default_config_static_selectorELNS0_4arch9wavefront6targetE1EEEvT1_,comdat
	.protected	_ZN7rocprim17ROCPRIM_400000_NS6detail17trampoline_kernelINS0_14default_configENS1_20scan_config_selectorIxEEZZNS1_9scan_implILNS1_25lookback_scan_determinismE0ELb1ELb1ES3_N6thrust23THRUST_200600_302600_NS6detail15normal_iteratorINS9_10device_ptrIxEEEESE_xNS9_4plusIxEExEEDaPvRmT3_T4_T5_mT6_P12ihipStream_tbENKUlT_T0_E_clISt17integral_constantIbLb1EEST_IbLb0EEEEDaSP_SQ_EUlSP_E0_NS1_11comp_targetILNS1_3genE0ELNS1_11target_archE4294967295ELNS1_3gpuE0ELNS1_3repE0EEENS1_30default_config_static_selectorELNS0_4arch9wavefront6targetE1EEEvT1_ ; -- Begin function _ZN7rocprim17ROCPRIM_400000_NS6detail17trampoline_kernelINS0_14default_configENS1_20scan_config_selectorIxEEZZNS1_9scan_implILNS1_25lookback_scan_determinismE0ELb1ELb1ES3_N6thrust23THRUST_200600_302600_NS6detail15normal_iteratorINS9_10device_ptrIxEEEESE_xNS9_4plusIxEExEEDaPvRmT3_T4_T5_mT6_P12ihipStream_tbENKUlT_T0_E_clISt17integral_constantIbLb1EEST_IbLb0EEEEDaSP_SQ_EUlSP_E0_NS1_11comp_targetILNS1_3genE0ELNS1_11target_archE4294967295ELNS1_3gpuE0ELNS1_3repE0EEENS1_30default_config_static_selectorELNS0_4arch9wavefront6targetE1EEEvT1_
	.globl	_ZN7rocprim17ROCPRIM_400000_NS6detail17trampoline_kernelINS0_14default_configENS1_20scan_config_selectorIxEEZZNS1_9scan_implILNS1_25lookback_scan_determinismE0ELb1ELb1ES3_N6thrust23THRUST_200600_302600_NS6detail15normal_iteratorINS9_10device_ptrIxEEEESE_xNS9_4plusIxEExEEDaPvRmT3_T4_T5_mT6_P12ihipStream_tbENKUlT_T0_E_clISt17integral_constantIbLb1EEST_IbLb0EEEEDaSP_SQ_EUlSP_E0_NS1_11comp_targetILNS1_3genE0ELNS1_11target_archE4294967295ELNS1_3gpuE0ELNS1_3repE0EEENS1_30default_config_static_selectorELNS0_4arch9wavefront6targetE1EEEvT1_
	.p2align	8
	.type	_ZN7rocprim17ROCPRIM_400000_NS6detail17trampoline_kernelINS0_14default_configENS1_20scan_config_selectorIxEEZZNS1_9scan_implILNS1_25lookback_scan_determinismE0ELb1ELb1ES3_N6thrust23THRUST_200600_302600_NS6detail15normal_iteratorINS9_10device_ptrIxEEEESE_xNS9_4plusIxEExEEDaPvRmT3_T4_T5_mT6_P12ihipStream_tbENKUlT_T0_E_clISt17integral_constantIbLb1EEST_IbLb0EEEEDaSP_SQ_EUlSP_E0_NS1_11comp_targetILNS1_3genE0ELNS1_11target_archE4294967295ELNS1_3gpuE0ELNS1_3repE0EEENS1_30default_config_static_selectorELNS0_4arch9wavefront6targetE1EEEvT1_,@function
_ZN7rocprim17ROCPRIM_400000_NS6detail17trampoline_kernelINS0_14default_configENS1_20scan_config_selectorIxEEZZNS1_9scan_implILNS1_25lookback_scan_determinismE0ELb1ELb1ES3_N6thrust23THRUST_200600_302600_NS6detail15normal_iteratorINS9_10device_ptrIxEEEESE_xNS9_4plusIxEExEEDaPvRmT3_T4_T5_mT6_P12ihipStream_tbENKUlT_T0_E_clISt17integral_constantIbLb1EEST_IbLb0EEEEDaSP_SQ_EUlSP_E0_NS1_11comp_targetILNS1_3genE0ELNS1_11target_archE4294967295ELNS1_3gpuE0ELNS1_3repE0EEENS1_30default_config_static_selectorELNS0_4arch9wavefront6targetE1EEEvT1_: ; @_ZN7rocprim17ROCPRIM_400000_NS6detail17trampoline_kernelINS0_14default_configENS1_20scan_config_selectorIxEEZZNS1_9scan_implILNS1_25lookback_scan_determinismE0ELb1ELb1ES3_N6thrust23THRUST_200600_302600_NS6detail15normal_iteratorINS9_10device_ptrIxEEEESE_xNS9_4plusIxEExEEDaPvRmT3_T4_T5_mT6_P12ihipStream_tbENKUlT_T0_E_clISt17integral_constantIbLb1EEST_IbLb0EEEEDaSP_SQ_EUlSP_E0_NS1_11comp_targetILNS1_3genE0ELNS1_11target_archE4294967295ELNS1_3gpuE0ELNS1_3repE0EEENS1_30default_config_static_selectorELNS0_4arch9wavefront6targetE1EEEvT1_
; %bb.0:
	.section	.rodata,"a",@progbits
	.p2align	6, 0x0
	.amdhsa_kernel _ZN7rocprim17ROCPRIM_400000_NS6detail17trampoline_kernelINS0_14default_configENS1_20scan_config_selectorIxEEZZNS1_9scan_implILNS1_25lookback_scan_determinismE0ELb1ELb1ES3_N6thrust23THRUST_200600_302600_NS6detail15normal_iteratorINS9_10device_ptrIxEEEESE_xNS9_4plusIxEExEEDaPvRmT3_T4_T5_mT6_P12ihipStream_tbENKUlT_T0_E_clISt17integral_constantIbLb1EEST_IbLb0EEEEDaSP_SQ_EUlSP_E0_NS1_11comp_targetILNS1_3genE0ELNS1_11target_archE4294967295ELNS1_3gpuE0ELNS1_3repE0EEENS1_30default_config_static_selectorELNS0_4arch9wavefront6targetE1EEEvT1_
		.amdhsa_group_segment_fixed_size 0
		.amdhsa_private_segment_fixed_size 0
		.amdhsa_kernarg_size 40
		.amdhsa_user_sgpr_count 6
		.amdhsa_user_sgpr_private_segment_buffer 1
		.amdhsa_user_sgpr_dispatch_ptr 0
		.amdhsa_user_sgpr_queue_ptr 0
		.amdhsa_user_sgpr_kernarg_segment_ptr 1
		.amdhsa_user_sgpr_dispatch_id 0
		.amdhsa_user_sgpr_flat_scratch_init 0
		.amdhsa_user_sgpr_kernarg_preload_length 0
		.amdhsa_user_sgpr_kernarg_preload_offset 0
		.amdhsa_user_sgpr_private_segment_size 0
		.amdhsa_uses_dynamic_stack 0
		.amdhsa_system_sgpr_private_segment_wavefront_offset 0
		.amdhsa_system_sgpr_workgroup_id_x 1
		.amdhsa_system_sgpr_workgroup_id_y 0
		.amdhsa_system_sgpr_workgroup_id_z 0
		.amdhsa_system_sgpr_workgroup_info 0
		.amdhsa_system_vgpr_workitem_id 0
		.amdhsa_next_free_vgpr 1
		.amdhsa_next_free_sgpr 0
		.amdhsa_accum_offset 4
		.amdhsa_reserve_vcc 0
		.amdhsa_reserve_flat_scratch 0
		.amdhsa_float_round_mode_32 0
		.amdhsa_float_round_mode_16_64 0
		.amdhsa_float_denorm_mode_32 3
		.amdhsa_float_denorm_mode_16_64 3
		.amdhsa_dx10_clamp 1
		.amdhsa_ieee_mode 1
		.amdhsa_fp16_overflow 0
		.amdhsa_tg_split 0
		.amdhsa_exception_fp_ieee_invalid_op 0
		.amdhsa_exception_fp_denorm_src 0
		.amdhsa_exception_fp_ieee_div_zero 0
		.amdhsa_exception_fp_ieee_overflow 0
		.amdhsa_exception_fp_ieee_underflow 0
		.amdhsa_exception_fp_ieee_inexact 0
		.amdhsa_exception_int_div_zero 0
	.end_amdhsa_kernel
	.section	.text._ZN7rocprim17ROCPRIM_400000_NS6detail17trampoline_kernelINS0_14default_configENS1_20scan_config_selectorIxEEZZNS1_9scan_implILNS1_25lookback_scan_determinismE0ELb1ELb1ES3_N6thrust23THRUST_200600_302600_NS6detail15normal_iteratorINS9_10device_ptrIxEEEESE_xNS9_4plusIxEExEEDaPvRmT3_T4_T5_mT6_P12ihipStream_tbENKUlT_T0_E_clISt17integral_constantIbLb1EEST_IbLb0EEEEDaSP_SQ_EUlSP_E0_NS1_11comp_targetILNS1_3genE0ELNS1_11target_archE4294967295ELNS1_3gpuE0ELNS1_3repE0EEENS1_30default_config_static_selectorELNS0_4arch9wavefront6targetE1EEEvT1_,"axG",@progbits,_ZN7rocprim17ROCPRIM_400000_NS6detail17trampoline_kernelINS0_14default_configENS1_20scan_config_selectorIxEEZZNS1_9scan_implILNS1_25lookback_scan_determinismE0ELb1ELb1ES3_N6thrust23THRUST_200600_302600_NS6detail15normal_iteratorINS9_10device_ptrIxEEEESE_xNS9_4plusIxEExEEDaPvRmT3_T4_T5_mT6_P12ihipStream_tbENKUlT_T0_E_clISt17integral_constantIbLb1EEST_IbLb0EEEEDaSP_SQ_EUlSP_E0_NS1_11comp_targetILNS1_3genE0ELNS1_11target_archE4294967295ELNS1_3gpuE0ELNS1_3repE0EEENS1_30default_config_static_selectorELNS0_4arch9wavefront6targetE1EEEvT1_,comdat
.Lfunc_end387:
	.size	_ZN7rocprim17ROCPRIM_400000_NS6detail17trampoline_kernelINS0_14default_configENS1_20scan_config_selectorIxEEZZNS1_9scan_implILNS1_25lookback_scan_determinismE0ELb1ELb1ES3_N6thrust23THRUST_200600_302600_NS6detail15normal_iteratorINS9_10device_ptrIxEEEESE_xNS9_4plusIxEExEEDaPvRmT3_T4_T5_mT6_P12ihipStream_tbENKUlT_T0_E_clISt17integral_constantIbLb1EEST_IbLb0EEEEDaSP_SQ_EUlSP_E0_NS1_11comp_targetILNS1_3genE0ELNS1_11target_archE4294967295ELNS1_3gpuE0ELNS1_3repE0EEENS1_30default_config_static_selectorELNS0_4arch9wavefront6targetE1EEEvT1_, .Lfunc_end387-_ZN7rocprim17ROCPRIM_400000_NS6detail17trampoline_kernelINS0_14default_configENS1_20scan_config_selectorIxEEZZNS1_9scan_implILNS1_25lookback_scan_determinismE0ELb1ELb1ES3_N6thrust23THRUST_200600_302600_NS6detail15normal_iteratorINS9_10device_ptrIxEEEESE_xNS9_4plusIxEExEEDaPvRmT3_T4_T5_mT6_P12ihipStream_tbENKUlT_T0_E_clISt17integral_constantIbLb1EEST_IbLb0EEEEDaSP_SQ_EUlSP_E0_NS1_11comp_targetILNS1_3genE0ELNS1_11target_archE4294967295ELNS1_3gpuE0ELNS1_3repE0EEENS1_30default_config_static_selectorELNS0_4arch9wavefront6targetE1EEEvT1_
                                        ; -- End function
	.section	.AMDGPU.csdata,"",@progbits
; Kernel info:
; codeLenInByte = 0
; NumSgprs: 4
; NumVgprs: 0
; NumAgprs: 0
; TotalNumVgprs: 0
; ScratchSize: 0
; MemoryBound: 0
; FloatMode: 240
; IeeeMode: 1
; LDSByteSize: 0 bytes/workgroup (compile time only)
; SGPRBlocks: 0
; VGPRBlocks: 0
; NumSGPRsForWavesPerEU: 4
; NumVGPRsForWavesPerEU: 1
; AccumOffset: 4
; Occupancy: 8
; WaveLimiterHint : 0
; COMPUTE_PGM_RSRC2:SCRATCH_EN: 0
; COMPUTE_PGM_RSRC2:USER_SGPR: 6
; COMPUTE_PGM_RSRC2:TRAP_HANDLER: 0
; COMPUTE_PGM_RSRC2:TGID_X_EN: 1
; COMPUTE_PGM_RSRC2:TGID_Y_EN: 0
; COMPUTE_PGM_RSRC2:TGID_Z_EN: 0
; COMPUTE_PGM_RSRC2:TIDIG_COMP_CNT: 0
; COMPUTE_PGM_RSRC3_GFX90A:ACCUM_OFFSET: 0
; COMPUTE_PGM_RSRC3_GFX90A:TG_SPLIT: 0
	.section	.text._ZN7rocprim17ROCPRIM_400000_NS6detail17trampoline_kernelINS0_14default_configENS1_20scan_config_selectorIxEEZZNS1_9scan_implILNS1_25lookback_scan_determinismE0ELb1ELb1ES3_N6thrust23THRUST_200600_302600_NS6detail15normal_iteratorINS9_10device_ptrIxEEEESE_xNS9_4plusIxEExEEDaPvRmT3_T4_T5_mT6_P12ihipStream_tbENKUlT_T0_E_clISt17integral_constantIbLb1EEST_IbLb0EEEEDaSP_SQ_EUlSP_E0_NS1_11comp_targetILNS1_3genE5ELNS1_11target_archE942ELNS1_3gpuE9ELNS1_3repE0EEENS1_30default_config_static_selectorELNS0_4arch9wavefront6targetE1EEEvT1_,"axG",@progbits,_ZN7rocprim17ROCPRIM_400000_NS6detail17trampoline_kernelINS0_14default_configENS1_20scan_config_selectorIxEEZZNS1_9scan_implILNS1_25lookback_scan_determinismE0ELb1ELb1ES3_N6thrust23THRUST_200600_302600_NS6detail15normal_iteratorINS9_10device_ptrIxEEEESE_xNS9_4plusIxEExEEDaPvRmT3_T4_T5_mT6_P12ihipStream_tbENKUlT_T0_E_clISt17integral_constantIbLb1EEST_IbLb0EEEEDaSP_SQ_EUlSP_E0_NS1_11comp_targetILNS1_3genE5ELNS1_11target_archE942ELNS1_3gpuE9ELNS1_3repE0EEENS1_30default_config_static_selectorELNS0_4arch9wavefront6targetE1EEEvT1_,comdat
	.protected	_ZN7rocprim17ROCPRIM_400000_NS6detail17trampoline_kernelINS0_14default_configENS1_20scan_config_selectorIxEEZZNS1_9scan_implILNS1_25lookback_scan_determinismE0ELb1ELb1ES3_N6thrust23THRUST_200600_302600_NS6detail15normal_iteratorINS9_10device_ptrIxEEEESE_xNS9_4plusIxEExEEDaPvRmT3_T4_T5_mT6_P12ihipStream_tbENKUlT_T0_E_clISt17integral_constantIbLb1EEST_IbLb0EEEEDaSP_SQ_EUlSP_E0_NS1_11comp_targetILNS1_3genE5ELNS1_11target_archE942ELNS1_3gpuE9ELNS1_3repE0EEENS1_30default_config_static_selectorELNS0_4arch9wavefront6targetE1EEEvT1_ ; -- Begin function _ZN7rocprim17ROCPRIM_400000_NS6detail17trampoline_kernelINS0_14default_configENS1_20scan_config_selectorIxEEZZNS1_9scan_implILNS1_25lookback_scan_determinismE0ELb1ELb1ES3_N6thrust23THRUST_200600_302600_NS6detail15normal_iteratorINS9_10device_ptrIxEEEESE_xNS9_4plusIxEExEEDaPvRmT3_T4_T5_mT6_P12ihipStream_tbENKUlT_T0_E_clISt17integral_constantIbLb1EEST_IbLb0EEEEDaSP_SQ_EUlSP_E0_NS1_11comp_targetILNS1_3genE5ELNS1_11target_archE942ELNS1_3gpuE9ELNS1_3repE0EEENS1_30default_config_static_selectorELNS0_4arch9wavefront6targetE1EEEvT1_
	.globl	_ZN7rocprim17ROCPRIM_400000_NS6detail17trampoline_kernelINS0_14default_configENS1_20scan_config_selectorIxEEZZNS1_9scan_implILNS1_25lookback_scan_determinismE0ELb1ELb1ES3_N6thrust23THRUST_200600_302600_NS6detail15normal_iteratorINS9_10device_ptrIxEEEESE_xNS9_4plusIxEExEEDaPvRmT3_T4_T5_mT6_P12ihipStream_tbENKUlT_T0_E_clISt17integral_constantIbLb1EEST_IbLb0EEEEDaSP_SQ_EUlSP_E0_NS1_11comp_targetILNS1_3genE5ELNS1_11target_archE942ELNS1_3gpuE9ELNS1_3repE0EEENS1_30default_config_static_selectorELNS0_4arch9wavefront6targetE1EEEvT1_
	.p2align	8
	.type	_ZN7rocprim17ROCPRIM_400000_NS6detail17trampoline_kernelINS0_14default_configENS1_20scan_config_selectorIxEEZZNS1_9scan_implILNS1_25lookback_scan_determinismE0ELb1ELb1ES3_N6thrust23THRUST_200600_302600_NS6detail15normal_iteratorINS9_10device_ptrIxEEEESE_xNS9_4plusIxEExEEDaPvRmT3_T4_T5_mT6_P12ihipStream_tbENKUlT_T0_E_clISt17integral_constantIbLb1EEST_IbLb0EEEEDaSP_SQ_EUlSP_E0_NS1_11comp_targetILNS1_3genE5ELNS1_11target_archE942ELNS1_3gpuE9ELNS1_3repE0EEENS1_30default_config_static_selectorELNS0_4arch9wavefront6targetE1EEEvT1_,@function
_ZN7rocprim17ROCPRIM_400000_NS6detail17trampoline_kernelINS0_14default_configENS1_20scan_config_selectorIxEEZZNS1_9scan_implILNS1_25lookback_scan_determinismE0ELb1ELb1ES3_N6thrust23THRUST_200600_302600_NS6detail15normal_iteratorINS9_10device_ptrIxEEEESE_xNS9_4plusIxEExEEDaPvRmT3_T4_T5_mT6_P12ihipStream_tbENKUlT_T0_E_clISt17integral_constantIbLb1EEST_IbLb0EEEEDaSP_SQ_EUlSP_E0_NS1_11comp_targetILNS1_3genE5ELNS1_11target_archE942ELNS1_3gpuE9ELNS1_3repE0EEENS1_30default_config_static_selectorELNS0_4arch9wavefront6targetE1EEEvT1_: ; @_ZN7rocprim17ROCPRIM_400000_NS6detail17trampoline_kernelINS0_14default_configENS1_20scan_config_selectorIxEEZZNS1_9scan_implILNS1_25lookback_scan_determinismE0ELb1ELb1ES3_N6thrust23THRUST_200600_302600_NS6detail15normal_iteratorINS9_10device_ptrIxEEEESE_xNS9_4plusIxEExEEDaPvRmT3_T4_T5_mT6_P12ihipStream_tbENKUlT_T0_E_clISt17integral_constantIbLb1EEST_IbLb0EEEEDaSP_SQ_EUlSP_E0_NS1_11comp_targetILNS1_3genE5ELNS1_11target_archE942ELNS1_3gpuE9ELNS1_3repE0EEENS1_30default_config_static_selectorELNS0_4arch9wavefront6targetE1EEEvT1_
; %bb.0:
	.section	.rodata,"a",@progbits
	.p2align	6, 0x0
	.amdhsa_kernel _ZN7rocprim17ROCPRIM_400000_NS6detail17trampoline_kernelINS0_14default_configENS1_20scan_config_selectorIxEEZZNS1_9scan_implILNS1_25lookback_scan_determinismE0ELb1ELb1ES3_N6thrust23THRUST_200600_302600_NS6detail15normal_iteratorINS9_10device_ptrIxEEEESE_xNS9_4plusIxEExEEDaPvRmT3_T4_T5_mT6_P12ihipStream_tbENKUlT_T0_E_clISt17integral_constantIbLb1EEST_IbLb0EEEEDaSP_SQ_EUlSP_E0_NS1_11comp_targetILNS1_3genE5ELNS1_11target_archE942ELNS1_3gpuE9ELNS1_3repE0EEENS1_30default_config_static_selectorELNS0_4arch9wavefront6targetE1EEEvT1_
		.amdhsa_group_segment_fixed_size 0
		.amdhsa_private_segment_fixed_size 0
		.amdhsa_kernarg_size 40
		.amdhsa_user_sgpr_count 6
		.amdhsa_user_sgpr_private_segment_buffer 1
		.amdhsa_user_sgpr_dispatch_ptr 0
		.amdhsa_user_sgpr_queue_ptr 0
		.amdhsa_user_sgpr_kernarg_segment_ptr 1
		.amdhsa_user_sgpr_dispatch_id 0
		.amdhsa_user_sgpr_flat_scratch_init 0
		.amdhsa_user_sgpr_kernarg_preload_length 0
		.amdhsa_user_sgpr_kernarg_preload_offset 0
		.amdhsa_user_sgpr_private_segment_size 0
		.amdhsa_uses_dynamic_stack 0
		.amdhsa_system_sgpr_private_segment_wavefront_offset 0
		.amdhsa_system_sgpr_workgroup_id_x 1
		.amdhsa_system_sgpr_workgroup_id_y 0
		.amdhsa_system_sgpr_workgroup_id_z 0
		.amdhsa_system_sgpr_workgroup_info 0
		.amdhsa_system_vgpr_workitem_id 0
		.amdhsa_next_free_vgpr 1
		.amdhsa_next_free_sgpr 0
		.amdhsa_accum_offset 4
		.amdhsa_reserve_vcc 0
		.amdhsa_reserve_flat_scratch 0
		.amdhsa_float_round_mode_32 0
		.amdhsa_float_round_mode_16_64 0
		.amdhsa_float_denorm_mode_32 3
		.amdhsa_float_denorm_mode_16_64 3
		.amdhsa_dx10_clamp 1
		.amdhsa_ieee_mode 1
		.amdhsa_fp16_overflow 0
		.amdhsa_tg_split 0
		.amdhsa_exception_fp_ieee_invalid_op 0
		.amdhsa_exception_fp_denorm_src 0
		.amdhsa_exception_fp_ieee_div_zero 0
		.amdhsa_exception_fp_ieee_overflow 0
		.amdhsa_exception_fp_ieee_underflow 0
		.amdhsa_exception_fp_ieee_inexact 0
		.amdhsa_exception_int_div_zero 0
	.end_amdhsa_kernel
	.section	.text._ZN7rocprim17ROCPRIM_400000_NS6detail17trampoline_kernelINS0_14default_configENS1_20scan_config_selectorIxEEZZNS1_9scan_implILNS1_25lookback_scan_determinismE0ELb1ELb1ES3_N6thrust23THRUST_200600_302600_NS6detail15normal_iteratorINS9_10device_ptrIxEEEESE_xNS9_4plusIxEExEEDaPvRmT3_T4_T5_mT6_P12ihipStream_tbENKUlT_T0_E_clISt17integral_constantIbLb1EEST_IbLb0EEEEDaSP_SQ_EUlSP_E0_NS1_11comp_targetILNS1_3genE5ELNS1_11target_archE942ELNS1_3gpuE9ELNS1_3repE0EEENS1_30default_config_static_selectorELNS0_4arch9wavefront6targetE1EEEvT1_,"axG",@progbits,_ZN7rocprim17ROCPRIM_400000_NS6detail17trampoline_kernelINS0_14default_configENS1_20scan_config_selectorIxEEZZNS1_9scan_implILNS1_25lookback_scan_determinismE0ELb1ELb1ES3_N6thrust23THRUST_200600_302600_NS6detail15normal_iteratorINS9_10device_ptrIxEEEESE_xNS9_4plusIxEExEEDaPvRmT3_T4_T5_mT6_P12ihipStream_tbENKUlT_T0_E_clISt17integral_constantIbLb1EEST_IbLb0EEEEDaSP_SQ_EUlSP_E0_NS1_11comp_targetILNS1_3genE5ELNS1_11target_archE942ELNS1_3gpuE9ELNS1_3repE0EEENS1_30default_config_static_selectorELNS0_4arch9wavefront6targetE1EEEvT1_,comdat
.Lfunc_end388:
	.size	_ZN7rocprim17ROCPRIM_400000_NS6detail17trampoline_kernelINS0_14default_configENS1_20scan_config_selectorIxEEZZNS1_9scan_implILNS1_25lookback_scan_determinismE0ELb1ELb1ES3_N6thrust23THRUST_200600_302600_NS6detail15normal_iteratorINS9_10device_ptrIxEEEESE_xNS9_4plusIxEExEEDaPvRmT3_T4_T5_mT6_P12ihipStream_tbENKUlT_T0_E_clISt17integral_constantIbLb1EEST_IbLb0EEEEDaSP_SQ_EUlSP_E0_NS1_11comp_targetILNS1_3genE5ELNS1_11target_archE942ELNS1_3gpuE9ELNS1_3repE0EEENS1_30default_config_static_selectorELNS0_4arch9wavefront6targetE1EEEvT1_, .Lfunc_end388-_ZN7rocprim17ROCPRIM_400000_NS6detail17trampoline_kernelINS0_14default_configENS1_20scan_config_selectorIxEEZZNS1_9scan_implILNS1_25lookback_scan_determinismE0ELb1ELb1ES3_N6thrust23THRUST_200600_302600_NS6detail15normal_iteratorINS9_10device_ptrIxEEEESE_xNS9_4plusIxEExEEDaPvRmT3_T4_T5_mT6_P12ihipStream_tbENKUlT_T0_E_clISt17integral_constantIbLb1EEST_IbLb0EEEEDaSP_SQ_EUlSP_E0_NS1_11comp_targetILNS1_3genE5ELNS1_11target_archE942ELNS1_3gpuE9ELNS1_3repE0EEENS1_30default_config_static_selectorELNS0_4arch9wavefront6targetE1EEEvT1_
                                        ; -- End function
	.section	.AMDGPU.csdata,"",@progbits
; Kernel info:
; codeLenInByte = 0
; NumSgprs: 4
; NumVgprs: 0
; NumAgprs: 0
; TotalNumVgprs: 0
; ScratchSize: 0
; MemoryBound: 0
; FloatMode: 240
; IeeeMode: 1
; LDSByteSize: 0 bytes/workgroup (compile time only)
; SGPRBlocks: 0
; VGPRBlocks: 0
; NumSGPRsForWavesPerEU: 4
; NumVGPRsForWavesPerEU: 1
; AccumOffset: 4
; Occupancy: 8
; WaveLimiterHint : 0
; COMPUTE_PGM_RSRC2:SCRATCH_EN: 0
; COMPUTE_PGM_RSRC2:USER_SGPR: 6
; COMPUTE_PGM_RSRC2:TRAP_HANDLER: 0
; COMPUTE_PGM_RSRC2:TGID_X_EN: 1
; COMPUTE_PGM_RSRC2:TGID_Y_EN: 0
; COMPUTE_PGM_RSRC2:TGID_Z_EN: 0
; COMPUTE_PGM_RSRC2:TIDIG_COMP_CNT: 0
; COMPUTE_PGM_RSRC3_GFX90A:ACCUM_OFFSET: 0
; COMPUTE_PGM_RSRC3_GFX90A:TG_SPLIT: 0
	.section	.text._ZN7rocprim17ROCPRIM_400000_NS6detail17trampoline_kernelINS0_14default_configENS1_20scan_config_selectorIxEEZZNS1_9scan_implILNS1_25lookback_scan_determinismE0ELb1ELb1ES3_N6thrust23THRUST_200600_302600_NS6detail15normal_iteratorINS9_10device_ptrIxEEEESE_xNS9_4plusIxEExEEDaPvRmT3_T4_T5_mT6_P12ihipStream_tbENKUlT_T0_E_clISt17integral_constantIbLb1EEST_IbLb0EEEEDaSP_SQ_EUlSP_E0_NS1_11comp_targetILNS1_3genE4ELNS1_11target_archE910ELNS1_3gpuE8ELNS1_3repE0EEENS1_30default_config_static_selectorELNS0_4arch9wavefront6targetE1EEEvT1_,"axG",@progbits,_ZN7rocprim17ROCPRIM_400000_NS6detail17trampoline_kernelINS0_14default_configENS1_20scan_config_selectorIxEEZZNS1_9scan_implILNS1_25lookback_scan_determinismE0ELb1ELb1ES3_N6thrust23THRUST_200600_302600_NS6detail15normal_iteratorINS9_10device_ptrIxEEEESE_xNS9_4plusIxEExEEDaPvRmT3_T4_T5_mT6_P12ihipStream_tbENKUlT_T0_E_clISt17integral_constantIbLb1EEST_IbLb0EEEEDaSP_SQ_EUlSP_E0_NS1_11comp_targetILNS1_3genE4ELNS1_11target_archE910ELNS1_3gpuE8ELNS1_3repE0EEENS1_30default_config_static_selectorELNS0_4arch9wavefront6targetE1EEEvT1_,comdat
	.protected	_ZN7rocprim17ROCPRIM_400000_NS6detail17trampoline_kernelINS0_14default_configENS1_20scan_config_selectorIxEEZZNS1_9scan_implILNS1_25lookback_scan_determinismE0ELb1ELb1ES3_N6thrust23THRUST_200600_302600_NS6detail15normal_iteratorINS9_10device_ptrIxEEEESE_xNS9_4plusIxEExEEDaPvRmT3_T4_T5_mT6_P12ihipStream_tbENKUlT_T0_E_clISt17integral_constantIbLb1EEST_IbLb0EEEEDaSP_SQ_EUlSP_E0_NS1_11comp_targetILNS1_3genE4ELNS1_11target_archE910ELNS1_3gpuE8ELNS1_3repE0EEENS1_30default_config_static_selectorELNS0_4arch9wavefront6targetE1EEEvT1_ ; -- Begin function _ZN7rocprim17ROCPRIM_400000_NS6detail17trampoline_kernelINS0_14default_configENS1_20scan_config_selectorIxEEZZNS1_9scan_implILNS1_25lookback_scan_determinismE0ELb1ELb1ES3_N6thrust23THRUST_200600_302600_NS6detail15normal_iteratorINS9_10device_ptrIxEEEESE_xNS9_4plusIxEExEEDaPvRmT3_T4_T5_mT6_P12ihipStream_tbENKUlT_T0_E_clISt17integral_constantIbLb1EEST_IbLb0EEEEDaSP_SQ_EUlSP_E0_NS1_11comp_targetILNS1_3genE4ELNS1_11target_archE910ELNS1_3gpuE8ELNS1_3repE0EEENS1_30default_config_static_selectorELNS0_4arch9wavefront6targetE1EEEvT1_
	.globl	_ZN7rocprim17ROCPRIM_400000_NS6detail17trampoline_kernelINS0_14default_configENS1_20scan_config_selectorIxEEZZNS1_9scan_implILNS1_25lookback_scan_determinismE0ELb1ELb1ES3_N6thrust23THRUST_200600_302600_NS6detail15normal_iteratorINS9_10device_ptrIxEEEESE_xNS9_4plusIxEExEEDaPvRmT3_T4_T5_mT6_P12ihipStream_tbENKUlT_T0_E_clISt17integral_constantIbLb1EEST_IbLb0EEEEDaSP_SQ_EUlSP_E0_NS1_11comp_targetILNS1_3genE4ELNS1_11target_archE910ELNS1_3gpuE8ELNS1_3repE0EEENS1_30default_config_static_selectorELNS0_4arch9wavefront6targetE1EEEvT1_
	.p2align	8
	.type	_ZN7rocprim17ROCPRIM_400000_NS6detail17trampoline_kernelINS0_14default_configENS1_20scan_config_selectorIxEEZZNS1_9scan_implILNS1_25lookback_scan_determinismE0ELb1ELb1ES3_N6thrust23THRUST_200600_302600_NS6detail15normal_iteratorINS9_10device_ptrIxEEEESE_xNS9_4plusIxEExEEDaPvRmT3_T4_T5_mT6_P12ihipStream_tbENKUlT_T0_E_clISt17integral_constantIbLb1EEST_IbLb0EEEEDaSP_SQ_EUlSP_E0_NS1_11comp_targetILNS1_3genE4ELNS1_11target_archE910ELNS1_3gpuE8ELNS1_3repE0EEENS1_30default_config_static_selectorELNS0_4arch9wavefront6targetE1EEEvT1_,@function
_ZN7rocprim17ROCPRIM_400000_NS6detail17trampoline_kernelINS0_14default_configENS1_20scan_config_selectorIxEEZZNS1_9scan_implILNS1_25lookback_scan_determinismE0ELb1ELb1ES3_N6thrust23THRUST_200600_302600_NS6detail15normal_iteratorINS9_10device_ptrIxEEEESE_xNS9_4plusIxEExEEDaPvRmT3_T4_T5_mT6_P12ihipStream_tbENKUlT_T0_E_clISt17integral_constantIbLb1EEST_IbLb0EEEEDaSP_SQ_EUlSP_E0_NS1_11comp_targetILNS1_3genE4ELNS1_11target_archE910ELNS1_3gpuE8ELNS1_3repE0EEENS1_30default_config_static_selectorELNS0_4arch9wavefront6targetE1EEEvT1_: ; @_ZN7rocprim17ROCPRIM_400000_NS6detail17trampoline_kernelINS0_14default_configENS1_20scan_config_selectorIxEEZZNS1_9scan_implILNS1_25lookback_scan_determinismE0ELb1ELb1ES3_N6thrust23THRUST_200600_302600_NS6detail15normal_iteratorINS9_10device_ptrIxEEEESE_xNS9_4plusIxEExEEDaPvRmT3_T4_T5_mT6_P12ihipStream_tbENKUlT_T0_E_clISt17integral_constantIbLb1EEST_IbLb0EEEEDaSP_SQ_EUlSP_E0_NS1_11comp_targetILNS1_3genE4ELNS1_11target_archE910ELNS1_3gpuE8ELNS1_3repE0EEENS1_30default_config_static_selectorELNS0_4arch9wavefront6targetE1EEEvT1_
; %bb.0:
	s_load_dwordx4 s[16:19], s[4:5], 0x0
	v_lshlrev_b32_e32 v20, 3, v0
	s_waitcnt lgkmcnt(0)
	s_load_dwordx2 s[14:15], s[16:17], 0x0
	v_cmp_gt_u32_e32 vcc, s18, v0
	s_waitcnt lgkmcnt(0)
	v_pk_mov_b32 v[2:3], s[14:15], s[14:15] op_sel:[0,1]
	s_and_saveexec_b64 s[0:1], vcc
	s_cbranch_execz .LBB389_2
; %bb.1:
	global_load_dwordx2 v[2:3], v20, s[16:17]
.LBB389_2:
	s_or_b64 exec, exec, s[0:1]
	v_or_b32_e32 v1, 0x80, v0
	v_cmp_gt_u32_e64 s[0:1], s18, v1
	v_pk_mov_b32 v[4:5], s[14:15], s[14:15] op_sel:[0,1]
	s_and_saveexec_b64 s[2:3], s[0:1]
	s_cbranch_execz .LBB389_4
; %bb.3:
	global_load_dwordx2 v[4:5], v20, s[16:17] offset:1024
.LBB389_4:
	s_or_b64 exec, exec, s[2:3]
	v_or_b32_e32 v1, 0x100, v0
	v_cmp_gt_u32_e64 s[2:3], s18, v1
	v_pk_mov_b32 v[6:7], s[14:15], s[14:15] op_sel:[0,1]
	s_and_saveexec_b64 s[6:7], s[2:3]
	s_cbranch_execz .LBB389_6
; %bb.5:
	global_load_dwordx2 v[6:7], v20, s[16:17] offset:2048
.LBB389_6:
	;; [unrolled: 9-line block ×3, first 2 shown]
	s_or_b64 exec, exec, s[6:7]
	v_or_b32_e32 v1, 0x200, v0
	v_cmp_gt_u32_e64 s[6:7], s18, v1
	v_pk_mov_b32 v[10:11], s[14:15], s[14:15] op_sel:[0,1]
	s_and_saveexec_b64 s[8:9], s[6:7]
	s_cbranch_execz .LBB389_10
; %bb.9:
	v_lshlrev_b32_e32 v1, 3, v1
	global_load_dwordx2 v[10:11], v1, s[16:17]
.LBB389_10:
	s_or_b64 exec, exec, s[8:9]
	v_or_b32_e32 v1, 0x280, v0
	v_cmp_gt_u32_e64 s[8:9], s18, v1
	v_pk_mov_b32 v[12:13], s[14:15], s[14:15] op_sel:[0,1]
	s_and_saveexec_b64 s[10:11], s[8:9]
	s_cbranch_execz .LBB389_12
; %bb.11:
	v_lshlrev_b32_e32 v1, 3, v1
	global_load_dwordx2 v[12:13], v1, s[16:17]
.LBB389_12:
	s_or_b64 exec, exec, s[10:11]
	s_load_dwordx2 s[20:21], s[4:5], 0x10
	v_or_b32_e32 v1, 0x300, v0
	v_cmp_gt_u32_e64 s[10:11], s18, v1
	v_pk_mov_b32 v[14:15], s[14:15], s[14:15] op_sel:[0,1]
	s_and_saveexec_b64 s[14:15], s[10:11]
	s_cbranch_execz .LBB389_14
; %bb.13:
	v_lshlrev_b32_e32 v1, 3, v1
	global_load_dwordx2 v[14:15], v1, s[16:17]
.LBB389_14:
	s_or_b64 exec, exec, s[14:15]
	v_mad_u32_u24 v1, v0, 48, v20
	s_waitcnt vmcnt(0)
	ds_write2st64_b64 v20, v[2:3], v[4:5] offset1:2
	ds_write2st64_b64 v20, v[6:7], v[8:9] offset0:4 offset1:6
	ds_write2st64_b64 v20, v[10:11], v[12:13] offset0:8 offset1:10
	ds_write_b64 v20, v[14:15] offset:6144
	s_waitcnt lgkmcnt(0)
	s_barrier
	ds_read2_b64 v[2:5], v1 offset1:1
	ds_read2_b64 v[6:9], v1 offset0:2 offset1:3
	ds_read2_b64 v[10:13], v1 offset0:4 offset1:5
	ds_read_b64 v[14:15], v1 offset:48
	s_load_dwordx2 s[16:17], s[4:5], 0x20
	s_waitcnt lgkmcnt(0)
	v_add_co_u32_e64 v1, s[4:5], v4, v2
	v_addc_co_u32_e64 v16, s[4:5], v5, v3, s[4:5]
	v_add_co_u32_e64 v1, s[4:5], v1, v6
	v_addc_co_u32_e64 v16, s[4:5], v16, v7, s[4:5]
	;; [unrolled: 2-line block ×5, first 2 shown]
	v_add_co_u32_e64 v18, s[4:5], v1, v14
	v_lshrrev_b32_e32 v1, 2, v0
	v_addc_co_u32_e64 v19, s[4:5], v16, v15, s[4:5]
	v_and_b32_e32 v1, 24, v1
	v_add_u32_e32 v1, v20, v1
	v_cmp_gt_u32_e64 s[4:5], 64, v0
	s_barrier
	ds_write_b64 v1, v[18:19]
	s_waitcnt lgkmcnt(0)
	s_barrier
	s_and_saveexec_b64 s[18:19], s[4:5]
	s_cbranch_execz .LBB389_18
; %bb.15:
	v_lshlrev_b32_e32 v1, 1, v0
	v_lshrrev_b32_e32 v14, 4, v0
	v_add_lshl_u32 v21, v14, v1, 3
	ds_read2_b64 v[14:17], v21 offset1:1
	v_mbcnt_lo_u32_b32 v1, -1, 0
	s_waitcnt lgkmcnt(0)
	v_add_co_u32_e64 v22, s[4:5], v16, v14
	v_addc_co_u32_e64 v23, s[4:5], v17, v15, s[4:5]
	s_nop 0
	v_mov_b32_dpp v16, v22 row_shr:1 row_mask:0xf bank_mask:0xf
	v_add_co_u32_e64 v16, s[4:5], v22, v16
	v_addc_co_u32_e64 v25, s[4:5], 0, v23, s[4:5]
	v_mbcnt_hi_u32_b32 v17, -1, v1
	v_mov_b32_dpp v24, v23 row_shr:1 row_mask:0xf bank_mask:0xf
	v_add_co_u32_e64 v26, s[4:5], 0, v16
	v_and_b32_e32 v1, 15, v17
	v_addc_co_u32_e64 v24, s[4:5], v24, v25, s[4:5]
	v_cmp_eq_u32_e64 s[4:5], 0, v1
	v_cndmask_b32_e64 v16, v16, v22, s[4:5]
	v_cndmask_b32_e64 v24, v24, v23, s[4:5]
	v_cndmask_b32_e64 v25, v26, v22, s[4:5]
	v_mov_b32_dpp v26, v16 row_shr:2 row_mask:0xf bank_mask:0xf
	v_mov_b32_dpp v27, v24 row_shr:2 row_mask:0xf bank_mask:0xf
	v_add_co_u32_e64 v26, s[4:5], v26, v25
	v_addc_co_u32_e64 v27, s[4:5], v27, v24, s[4:5]
	v_cmp_lt_u32_e64 s[4:5], 1, v1
	v_cndmask_b32_e64 v16, v16, v26, s[4:5]
	v_cndmask_b32_e64 v24, v24, v27, s[4:5]
	v_cndmask_b32_e64 v25, v25, v26, s[4:5]
	v_mov_b32_dpp v26, v16 row_shr:4 row_mask:0xf bank_mask:0xf
	v_mov_b32_dpp v27, v24 row_shr:4 row_mask:0xf bank_mask:0xf
	v_add_co_u32_e64 v26, s[4:5], v26, v25
	v_addc_co_u32_e64 v27, s[4:5], v27, v24, s[4:5]
	v_cmp_lt_u32_e64 s[4:5], 3, v1
	;; [unrolled: 8-line block ×3, first 2 shown]
	v_cndmask_b32_e64 v28, v16, v26, s[4:5]
	v_cndmask_b32_e64 v1, v24, v27, s[4:5]
	;; [unrolled: 1-line block ×3, first 2 shown]
	v_mov_b32_dpp v24, v28 row_bcast:15 row_mask:0xf bank_mask:0xf
	v_mov_b32_dpp v25, v1 row_bcast:15 row_mask:0xf bank_mask:0xf
	v_add_co_u32_e64 v24, s[4:5], v24, v16
	v_and_b32_e32 v27, 16, v17
	v_addc_co_u32_e64 v26, s[4:5], v25, v1, s[4:5]
	v_cmp_eq_u32_e64 s[4:5], 0, v27
	v_cndmask_b32_e64 v27, v26, v1, s[4:5]
	v_cndmask_b32_e64 v25, v24, v28, s[4:5]
	v_cmp_ne_u32_e64 s[14:15], 0, v17
	v_mov_b32_dpp v27, v27 row_bcast:31 row_mask:0xf bank_mask:0xf
	v_mov_b32_dpp v25, v25 row_bcast:31 row_mask:0xf bank_mask:0xf
	s_and_saveexec_b64 s[22:23], s[14:15]
; %bb.16:
	v_cndmask_b32_e64 v1, v26, v1, s[4:5]
	v_cndmask_b32_e64 v16, v24, v16, s[4:5]
	v_cmp_lt_u32_e64 s[4:5], 31, v17
	v_cndmask_b32_e64 v22, 0, v25, s[4:5]
	v_cndmask_b32_e64 v23, 0, v27, s[4:5]
	v_add_co_u32_e64 v22, s[4:5], v22, v16
	v_addc_co_u32_e64 v23, s[4:5], v23, v1, s[4:5]
; %bb.17:
	s_or_b64 exec, exec, s[22:23]
	v_add_u32_e32 v1, -1, v17
	v_and_b32_e32 v16, 64, v17
	v_cmp_lt_i32_e64 s[4:5], v1, v16
	v_cndmask_b32_e64 v1, v1, v17, s[4:5]
	v_lshlrev_b32_e32 v1, 2, v1
	ds_bpermute_b32 v16, v1, v22
	ds_bpermute_b32 v1, v1, v23
	; wave barrier
	s_waitcnt lgkmcnt(1)
	v_add_co_u32_e64 v14, s[4:5], v14, v16
	v_addc_co_u32_e64 v15, s[4:5], 0, v15, s[4:5]
	v_add_co_u32_e64 v14, s[4:5], 0, v14
	s_waitcnt lgkmcnt(0)
	v_addc_co_u32_e64 v1, s[4:5], v15, v1, s[4:5]
	v_cmp_eq_u32_e64 s[4:5], 0, v0
	v_cndmask_b32_e64 v15, v1, v19, s[4:5]
	v_cndmask_b32_e64 v14, v14, v18, s[4:5]
	ds_write_b64 v21, v[14:15]
	; wave barrier
	ds_read_b64 v[16:17], v21 offset:8
	s_waitcnt lgkmcnt(0)
	v_add_co_u32_e64 v14, s[4:5], v16, v14
	v_addc_co_u32_e64 v15, s[4:5], v17, v15, s[4:5]
	ds_write_b64 v21, v[14:15] offset:8
.LBB389_18:
	s_or_b64 exec, exec, s[18:19]
	v_mul_u32_u24_e32 v1, 48, v0
	v_cmp_ne_u32_e64 s[4:5], 0, v0
	v_pk_mov_b32 v[14:15], s[20:21], s[20:21] op_sel:[0,1]
	s_waitcnt lgkmcnt(0)
	s_barrier
	s_and_saveexec_b64 s[14:15], s[4:5]
	s_cbranch_execz .LBB389_20
; %bb.19:
	v_add_u32_e32 v0, -1, v0
	v_lshrrev_b32_e32 v14, 5, v0
	v_add_lshl_u32 v0, v14, v0, 3
	ds_read_b64 v[14:15], v0
	v_mov_b32_e32 v0, s21
	s_waitcnt lgkmcnt(0)
	v_add_co_u32_e64 v14, s[4:5], s20, v14
	v_addc_co_u32_e64 v15, s[4:5], v15, v0, s[4:5]
.LBB389_20:
	s_or_b64 exec, exec, s[14:15]
	v_add_co_u32_e64 v2, s[4:5], v14, v2
	v_addc_co_u32_e64 v3, s[4:5], v15, v3, s[4:5]
	v_add_co_u32_e64 v4, s[4:5], v2, v4
	v_addc_co_u32_e64 v5, s[4:5], v3, v5, s[4:5]
	;; [unrolled: 2-line block ×5, first 2 shown]
	v_add_co_u32_e64 v12, s[4:5], v10, v12
	v_add_u32_e32 v0, v20, v1
	v_addc_co_u32_e64 v13, s[4:5], v11, v13, s[4:5]
	s_barrier
	ds_write2_b64 v0, v[14:15], v[2:3] offset1:1
	ds_write2_b64 v0, v[4:5], v[6:7] offset0:2 offset1:3
	ds_write2_b64 v0, v[8:9], v[10:11] offset0:4 offset1:5
	ds_write_b64 v0, v[12:13] offset:48
	s_waitcnt lgkmcnt(0)
	s_barrier
	ds_read2st64_b64 v[8:11], v20 offset0:2 offset1:4
	ds_read2st64_b64 v[4:7], v20 offset0:6 offset1:8
	;; [unrolled: 1-line block ×3, first 2 shown]
	v_mov_b32_e32 v13, s17
	v_add_co_u32_e64 v12, s[4:5], s16, v20
	v_addc_co_u32_e64 v13, s[4:5], 0, v13, s[4:5]
	s_and_saveexec_b64 s[4:5], vcc
	s_cbranch_execnz .LBB389_28
; %bb.21:
	s_or_b64 exec, exec, s[4:5]
	s_and_saveexec_b64 s[4:5], s[0:1]
	s_cbranch_execnz .LBB389_29
.LBB389_22:
	s_or_b64 exec, exec, s[4:5]
	s_and_saveexec_b64 s[0:1], s[2:3]
	s_cbranch_execnz .LBB389_30
.LBB389_23:
	s_or_b64 exec, exec, s[0:1]
	s_and_saveexec_b64 s[0:1], s[12:13]
	s_cbranch_execnz .LBB389_31
.LBB389_24:
	s_or_b64 exec, exec, s[0:1]
	s_and_saveexec_b64 s[0:1], s[6:7]
	s_cbranch_execnz .LBB389_32
.LBB389_25:
	s_or_b64 exec, exec, s[0:1]
	s_and_saveexec_b64 s[0:1], s[8:9]
	s_cbranch_execnz .LBB389_33
.LBB389_26:
	s_or_b64 exec, exec, s[0:1]
	s_and_saveexec_b64 s[0:1], s[10:11]
	s_cbranch_execnz .LBB389_34
.LBB389_27:
	s_endpgm
.LBB389_28:
	ds_read_b64 v[14:15], v20
	s_waitcnt lgkmcnt(0)
	global_store_dwordx2 v[12:13], v[14:15], off
	s_or_b64 exec, exec, s[4:5]
	s_and_saveexec_b64 s[4:5], s[0:1]
	s_cbranch_execz .LBB389_22
.LBB389_29:
	s_waitcnt lgkmcnt(2)
	global_store_dwordx2 v[12:13], v[8:9], off offset:1024
	s_or_b64 exec, exec, s[4:5]
	s_and_saveexec_b64 s[0:1], s[2:3]
	s_cbranch_execz .LBB389_23
.LBB389_30:
	s_waitcnt lgkmcnt(2)
	global_store_dwordx2 v[12:13], v[10:11], off offset:2048
	s_or_b64 exec, exec, s[0:1]
	s_and_saveexec_b64 s[0:1], s[12:13]
	s_cbranch_execz .LBB389_24
.LBB389_31:
	s_waitcnt lgkmcnt(1)
	global_store_dwordx2 v[12:13], v[4:5], off offset:3072
	s_or_b64 exec, exec, s[0:1]
	s_and_saveexec_b64 s[0:1], s[6:7]
	s_cbranch_execz .LBB389_25
.LBB389_32:
	s_waitcnt lgkmcnt(1)
	v_add_co_u32_e32 v4, vcc, 0x1000, v12
	v_addc_co_u32_e32 v5, vcc, 0, v13, vcc
	global_store_dwordx2 v[4:5], v[6:7], off
	s_or_b64 exec, exec, s[0:1]
	s_and_saveexec_b64 s[0:1], s[8:9]
	s_cbranch_execz .LBB389_26
.LBB389_33:
	s_waitcnt lgkmcnt(1)
	v_add_co_u32_e32 v4, vcc, 0x1000, v12
	v_addc_co_u32_e32 v5, vcc, 0, v13, vcc
	s_waitcnt lgkmcnt(0)
	global_store_dwordx2 v[4:5], v[0:1], off offset:1024
	s_or_b64 exec, exec, s[0:1]
	s_and_saveexec_b64 s[0:1], s[10:11]
	s_cbranch_execz .LBB389_27
.LBB389_34:
	s_waitcnt lgkmcnt(0)
	v_add_co_u32_e32 v0, vcc, 0x1000, v12
	v_addc_co_u32_e32 v1, vcc, 0, v13, vcc
	global_store_dwordx2 v[0:1], v[2:3], off offset:2048
	s_endpgm
	.section	.rodata,"a",@progbits
	.p2align	6, 0x0
	.amdhsa_kernel _ZN7rocprim17ROCPRIM_400000_NS6detail17trampoline_kernelINS0_14default_configENS1_20scan_config_selectorIxEEZZNS1_9scan_implILNS1_25lookback_scan_determinismE0ELb1ELb1ES3_N6thrust23THRUST_200600_302600_NS6detail15normal_iteratorINS9_10device_ptrIxEEEESE_xNS9_4plusIxEExEEDaPvRmT3_T4_T5_mT6_P12ihipStream_tbENKUlT_T0_E_clISt17integral_constantIbLb1EEST_IbLb0EEEEDaSP_SQ_EUlSP_E0_NS1_11comp_targetILNS1_3genE4ELNS1_11target_archE910ELNS1_3gpuE8ELNS1_3repE0EEENS1_30default_config_static_selectorELNS0_4arch9wavefront6targetE1EEEvT1_
		.amdhsa_group_segment_fixed_size 7168
		.amdhsa_private_segment_fixed_size 0
		.amdhsa_kernarg_size 40
		.amdhsa_user_sgpr_count 6
		.amdhsa_user_sgpr_private_segment_buffer 1
		.amdhsa_user_sgpr_dispatch_ptr 0
		.amdhsa_user_sgpr_queue_ptr 0
		.amdhsa_user_sgpr_kernarg_segment_ptr 1
		.amdhsa_user_sgpr_dispatch_id 0
		.amdhsa_user_sgpr_flat_scratch_init 0
		.amdhsa_user_sgpr_kernarg_preload_length 0
		.amdhsa_user_sgpr_kernarg_preload_offset 0
		.amdhsa_user_sgpr_private_segment_size 0
		.amdhsa_uses_dynamic_stack 0
		.amdhsa_system_sgpr_private_segment_wavefront_offset 0
		.amdhsa_system_sgpr_workgroup_id_x 1
		.amdhsa_system_sgpr_workgroup_id_y 0
		.amdhsa_system_sgpr_workgroup_id_z 0
		.amdhsa_system_sgpr_workgroup_info 0
		.amdhsa_system_vgpr_workitem_id 0
		.amdhsa_next_free_vgpr 29
		.amdhsa_next_free_sgpr 24
		.amdhsa_accum_offset 32
		.amdhsa_reserve_vcc 1
		.amdhsa_reserve_flat_scratch 0
		.amdhsa_float_round_mode_32 0
		.amdhsa_float_round_mode_16_64 0
		.amdhsa_float_denorm_mode_32 3
		.amdhsa_float_denorm_mode_16_64 3
		.amdhsa_dx10_clamp 1
		.amdhsa_ieee_mode 1
		.amdhsa_fp16_overflow 0
		.amdhsa_tg_split 0
		.amdhsa_exception_fp_ieee_invalid_op 0
		.amdhsa_exception_fp_denorm_src 0
		.amdhsa_exception_fp_ieee_div_zero 0
		.amdhsa_exception_fp_ieee_overflow 0
		.amdhsa_exception_fp_ieee_underflow 0
		.amdhsa_exception_fp_ieee_inexact 0
		.amdhsa_exception_int_div_zero 0
	.end_amdhsa_kernel
	.section	.text._ZN7rocprim17ROCPRIM_400000_NS6detail17trampoline_kernelINS0_14default_configENS1_20scan_config_selectorIxEEZZNS1_9scan_implILNS1_25lookback_scan_determinismE0ELb1ELb1ES3_N6thrust23THRUST_200600_302600_NS6detail15normal_iteratorINS9_10device_ptrIxEEEESE_xNS9_4plusIxEExEEDaPvRmT3_T4_T5_mT6_P12ihipStream_tbENKUlT_T0_E_clISt17integral_constantIbLb1EEST_IbLb0EEEEDaSP_SQ_EUlSP_E0_NS1_11comp_targetILNS1_3genE4ELNS1_11target_archE910ELNS1_3gpuE8ELNS1_3repE0EEENS1_30default_config_static_selectorELNS0_4arch9wavefront6targetE1EEEvT1_,"axG",@progbits,_ZN7rocprim17ROCPRIM_400000_NS6detail17trampoline_kernelINS0_14default_configENS1_20scan_config_selectorIxEEZZNS1_9scan_implILNS1_25lookback_scan_determinismE0ELb1ELb1ES3_N6thrust23THRUST_200600_302600_NS6detail15normal_iteratorINS9_10device_ptrIxEEEESE_xNS9_4plusIxEExEEDaPvRmT3_T4_T5_mT6_P12ihipStream_tbENKUlT_T0_E_clISt17integral_constantIbLb1EEST_IbLb0EEEEDaSP_SQ_EUlSP_E0_NS1_11comp_targetILNS1_3genE4ELNS1_11target_archE910ELNS1_3gpuE8ELNS1_3repE0EEENS1_30default_config_static_selectorELNS0_4arch9wavefront6targetE1EEEvT1_,comdat
.Lfunc_end389:
	.size	_ZN7rocprim17ROCPRIM_400000_NS6detail17trampoline_kernelINS0_14default_configENS1_20scan_config_selectorIxEEZZNS1_9scan_implILNS1_25lookback_scan_determinismE0ELb1ELb1ES3_N6thrust23THRUST_200600_302600_NS6detail15normal_iteratorINS9_10device_ptrIxEEEESE_xNS9_4plusIxEExEEDaPvRmT3_T4_T5_mT6_P12ihipStream_tbENKUlT_T0_E_clISt17integral_constantIbLb1EEST_IbLb0EEEEDaSP_SQ_EUlSP_E0_NS1_11comp_targetILNS1_3genE4ELNS1_11target_archE910ELNS1_3gpuE8ELNS1_3repE0EEENS1_30default_config_static_selectorELNS0_4arch9wavefront6targetE1EEEvT1_, .Lfunc_end389-_ZN7rocprim17ROCPRIM_400000_NS6detail17trampoline_kernelINS0_14default_configENS1_20scan_config_selectorIxEEZZNS1_9scan_implILNS1_25lookback_scan_determinismE0ELb1ELb1ES3_N6thrust23THRUST_200600_302600_NS6detail15normal_iteratorINS9_10device_ptrIxEEEESE_xNS9_4plusIxEExEEDaPvRmT3_T4_T5_mT6_P12ihipStream_tbENKUlT_T0_E_clISt17integral_constantIbLb1EEST_IbLb0EEEEDaSP_SQ_EUlSP_E0_NS1_11comp_targetILNS1_3genE4ELNS1_11target_archE910ELNS1_3gpuE8ELNS1_3repE0EEENS1_30default_config_static_selectorELNS0_4arch9wavefront6targetE1EEEvT1_
                                        ; -- End function
	.section	.AMDGPU.csdata,"",@progbits
; Kernel info:
; codeLenInByte = 1796
; NumSgprs: 28
; NumVgprs: 29
; NumAgprs: 0
; TotalNumVgprs: 29
; ScratchSize: 0
; MemoryBound: 0
; FloatMode: 240
; IeeeMode: 1
; LDSByteSize: 7168 bytes/workgroup (compile time only)
; SGPRBlocks: 3
; VGPRBlocks: 3
; NumSGPRsForWavesPerEU: 28
; NumVGPRsForWavesPerEU: 29
; AccumOffset: 32
; Occupancy: 5
; WaveLimiterHint : 0
; COMPUTE_PGM_RSRC2:SCRATCH_EN: 0
; COMPUTE_PGM_RSRC2:USER_SGPR: 6
; COMPUTE_PGM_RSRC2:TRAP_HANDLER: 0
; COMPUTE_PGM_RSRC2:TGID_X_EN: 1
; COMPUTE_PGM_RSRC2:TGID_Y_EN: 0
; COMPUTE_PGM_RSRC2:TGID_Z_EN: 0
; COMPUTE_PGM_RSRC2:TIDIG_COMP_CNT: 0
; COMPUTE_PGM_RSRC3_GFX90A:ACCUM_OFFSET: 7
; COMPUTE_PGM_RSRC3_GFX90A:TG_SPLIT: 0
	.section	.text._ZN7rocprim17ROCPRIM_400000_NS6detail17trampoline_kernelINS0_14default_configENS1_20scan_config_selectorIxEEZZNS1_9scan_implILNS1_25lookback_scan_determinismE0ELb1ELb1ES3_N6thrust23THRUST_200600_302600_NS6detail15normal_iteratorINS9_10device_ptrIxEEEESE_xNS9_4plusIxEExEEDaPvRmT3_T4_T5_mT6_P12ihipStream_tbENKUlT_T0_E_clISt17integral_constantIbLb1EEST_IbLb0EEEEDaSP_SQ_EUlSP_E0_NS1_11comp_targetILNS1_3genE3ELNS1_11target_archE908ELNS1_3gpuE7ELNS1_3repE0EEENS1_30default_config_static_selectorELNS0_4arch9wavefront6targetE1EEEvT1_,"axG",@progbits,_ZN7rocprim17ROCPRIM_400000_NS6detail17trampoline_kernelINS0_14default_configENS1_20scan_config_selectorIxEEZZNS1_9scan_implILNS1_25lookback_scan_determinismE0ELb1ELb1ES3_N6thrust23THRUST_200600_302600_NS6detail15normal_iteratorINS9_10device_ptrIxEEEESE_xNS9_4plusIxEExEEDaPvRmT3_T4_T5_mT6_P12ihipStream_tbENKUlT_T0_E_clISt17integral_constantIbLb1EEST_IbLb0EEEEDaSP_SQ_EUlSP_E0_NS1_11comp_targetILNS1_3genE3ELNS1_11target_archE908ELNS1_3gpuE7ELNS1_3repE0EEENS1_30default_config_static_selectorELNS0_4arch9wavefront6targetE1EEEvT1_,comdat
	.protected	_ZN7rocprim17ROCPRIM_400000_NS6detail17trampoline_kernelINS0_14default_configENS1_20scan_config_selectorIxEEZZNS1_9scan_implILNS1_25lookback_scan_determinismE0ELb1ELb1ES3_N6thrust23THRUST_200600_302600_NS6detail15normal_iteratorINS9_10device_ptrIxEEEESE_xNS9_4plusIxEExEEDaPvRmT3_T4_T5_mT6_P12ihipStream_tbENKUlT_T0_E_clISt17integral_constantIbLb1EEST_IbLb0EEEEDaSP_SQ_EUlSP_E0_NS1_11comp_targetILNS1_3genE3ELNS1_11target_archE908ELNS1_3gpuE7ELNS1_3repE0EEENS1_30default_config_static_selectorELNS0_4arch9wavefront6targetE1EEEvT1_ ; -- Begin function _ZN7rocprim17ROCPRIM_400000_NS6detail17trampoline_kernelINS0_14default_configENS1_20scan_config_selectorIxEEZZNS1_9scan_implILNS1_25lookback_scan_determinismE0ELb1ELb1ES3_N6thrust23THRUST_200600_302600_NS6detail15normal_iteratorINS9_10device_ptrIxEEEESE_xNS9_4plusIxEExEEDaPvRmT3_T4_T5_mT6_P12ihipStream_tbENKUlT_T0_E_clISt17integral_constantIbLb1EEST_IbLb0EEEEDaSP_SQ_EUlSP_E0_NS1_11comp_targetILNS1_3genE3ELNS1_11target_archE908ELNS1_3gpuE7ELNS1_3repE0EEENS1_30default_config_static_selectorELNS0_4arch9wavefront6targetE1EEEvT1_
	.globl	_ZN7rocprim17ROCPRIM_400000_NS6detail17trampoline_kernelINS0_14default_configENS1_20scan_config_selectorIxEEZZNS1_9scan_implILNS1_25lookback_scan_determinismE0ELb1ELb1ES3_N6thrust23THRUST_200600_302600_NS6detail15normal_iteratorINS9_10device_ptrIxEEEESE_xNS9_4plusIxEExEEDaPvRmT3_T4_T5_mT6_P12ihipStream_tbENKUlT_T0_E_clISt17integral_constantIbLb1EEST_IbLb0EEEEDaSP_SQ_EUlSP_E0_NS1_11comp_targetILNS1_3genE3ELNS1_11target_archE908ELNS1_3gpuE7ELNS1_3repE0EEENS1_30default_config_static_selectorELNS0_4arch9wavefront6targetE1EEEvT1_
	.p2align	8
	.type	_ZN7rocprim17ROCPRIM_400000_NS6detail17trampoline_kernelINS0_14default_configENS1_20scan_config_selectorIxEEZZNS1_9scan_implILNS1_25lookback_scan_determinismE0ELb1ELb1ES3_N6thrust23THRUST_200600_302600_NS6detail15normal_iteratorINS9_10device_ptrIxEEEESE_xNS9_4plusIxEExEEDaPvRmT3_T4_T5_mT6_P12ihipStream_tbENKUlT_T0_E_clISt17integral_constantIbLb1EEST_IbLb0EEEEDaSP_SQ_EUlSP_E0_NS1_11comp_targetILNS1_3genE3ELNS1_11target_archE908ELNS1_3gpuE7ELNS1_3repE0EEENS1_30default_config_static_selectorELNS0_4arch9wavefront6targetE1EEEvT1_,@function
_ZN7rocprim17ROCPRIM_400000_NS6detail17trampoline_kernelINS0_14default_configENS1_20scan_config_selectorIxEEZZNS1_9scan_implILNS1_25lookback_scan_determinismE0ELb1ELb1ES3_N6thrust23THRUST_200600_302600_NS6detail15normal_iteratorINS9_10device_ptrIxEEEESE_xNS9_4plusIxEExEEDaPvRmT3_T4_T5_mT6_P12ihipStream_tbENKUlT_T0_E_clISt17integral_constantIbLb1EEST_IbLb0EEEEDaSP_SQ_EUlSP_E0_NS1_11comp_targetILNS1_3genE3ELNS1_11target_archE908ELNS1_3gpuE7ELNS1_3repE0EEENS1_30default_config_static_selectorELNS0_4arch9wavefront6targetE1EEEvT1_: ; @_ZN7rocprim17ROCPRIM_400000_NS6detail17trampoline_kernelINS0_14default_configENS1_20scan_config_selectorIxEEZZNS1_9scan_implILNS1_25lookback_scan_determinismE0ELb1ELb1ES3_N6thrust23THRUST_200600_302600_NS6detail15normal_iteratorINS9_10device_ptrIxEEEESE_xNS9_4plusIxEExEEDaPvRmT3_T4_T5_mT6_P12ihipStream_tbENKUlT_T0_E_clISt17integral_constantIbLb1EEST_IbLb0EEEEDaSP_SQ_EUlSP_E0_NS1_11comp_targetILNS1_3genE3ELNS1_11target_archE908ELNS1_3gpuE7ELNS1_3repE0EEENS1_30default_config_static_selectorELNS0_4arch9wavefront6targetE1EEEvT1_
; %bb.0:
	.section	.rodata,"a",@progbits
	.p2align	6, 0x0
	.amdhsa_kernel _ZN7rocprim17ROCPRIM_400000_NS6detail17trampoline_kernelINS0_14default_configENS1_20scan_config_selectorIxEEZZNS1_9scan_implILNS1_25lookback_scan_determinismE0ELb1ELb1ES3_N6thrust23THRUST_200600_302600_NS6detail15normal_iteratorINS9_10device_ptrIxEEEESE_xNS9_4plusIxEExEEDaPvRmT3_T4_T5_mT6_P12ihipStream_tbENKUlT_T0_E_clISt17integral_constantIbLb1EEST_IbLb0EEEEDaSP_SQ_EUlSP_E0_NS1_11comp_targetILNS1_3genE3ELNS1_11target_archE908ELNS1_3gpuE7ELNS1_3repE0EEENS1_30default_config_static_selectorELNS0_4arch9wavefront6targetE1EEEvT1_
		.amdhsa_group_segment_fixed_size 0
		.amdhsa_private_segment_fixed_size 0
		.amdhsa_kernarg_size 40
		.amdhsa_user_sgpr_count 6
		.amdhsa_user_sgpr_private_segment_buffer 1
		.amdhsa_user_sgpr_dispatch_ptr 0
		.amdhsa_user_sgpr_queue_ptr 0
		.amdhsa_user_sgpr_kernarg_segment_ptr 1
		.amdhsa_user_sgpr_dispatch_id 0
		.amdhsa_user_sgpr_flat_scratch_init 0
		.amdhsa_user_sgpr_kernarg_preload_length 0
		.amdhsa_user_sgpr_kernarg_preload_offset 0
		.amdhsa_user_sgpr_private_segment_size 0
		.amdhsa_uses_dynamic_stack 0
		.amdhsa_system_sgpr_private_segment_wavefront_offset 0
		.amdhsa_system_sgpr_workgroup_id_x 1
		.amdhsa_system_sgpr_workgroup_id_y 0
		.amdhsa_system_sgpr_workgroup_id_z 0
		.amdhsa_system_sgpr_workgroup_info 0
		.amdhsa_system_vgpr_workitem_id 0
		.amdhsa_next_free_vgpr 1
		.amdhsa_next_free_sgpr 0
		.amdhsa_accum_offset 4
		.amdhsa_reserve_vcc 0
		.amdhsa_reserve_flat_scratch 0
		.amdhsa_float_round_mode_32 0
		.amdhsa_float_round_mode_16_64 0
		.amdhsa_float_denorm_mode_32 3
		.amdhsa_float_denorm_mode_16_64 3
		.amdhsa_dx10_clamp 1
		.amdhsa_ieee_mode 1
		.amdhsa_fp16_overflow 0
		.amdhsa_tg_split 0
		.amdhsa_exception_fp_ieee_invalid_op 0
		.amdhsa_exception_fp_denorm_src 0
		.amdhsa_exception_fp_ieee_div_zero 0
		.amdhsa_exception_fp_ieee_overflow 0
		.amdhsa_exception_fp_ieee_underflow 0
		.amdhsa_exception_fp_ieee_inexact 0
		.amdhsa_exception_int_div_zero 0
	.end_amdhsa_kernel
	.section	.text._ZN7rocprim17ROCPRIM_400000_NS6detail17trampoline_kernelINS0_14default_configENS1_20scan_config_selectorIxEEZZNS1_9scan_implILNS1_25lookback_scan_determinismE0ELb1ELb1ES3_N6thrust23THRUST_200600_302600_NS6detail15normal_iteratorINS9_10device_ptrIxEEEESE_xNS9_4plusIxEExEEDaPvRmT3_T4_T5_mT6_P12ihipStream_tbENKUlT_T0_E_clISt17integral_constantIbLb1EEST_IbLb0EEEEDaSP_SQ_EUlSP_E0_NS1_11comp_targetILNS1_3genE3ELNS1_11target_archE908ELNS1_3gpuE7ELNS1_3repE0EEENS1_30default_config_static_selectorELNS0_4arch9wavefront6targetE1EEEvT1_,"axG",@progbits,_ZN7rocprim17ROCPRIM_400000_NS6detail17trampoline_kernelINS0_14default_configENS1_20scan_config_selectorIxEEZZNS1_9scan_implILNS1_25lookback_scan_determinismE0ELb1ELb1ES3_N6thrust23THRUST_200600_302600_NS6detail15normal_iteratorINS9_10device_ptrIxEEEESE_xNS9_4plusIxEExEEDaPvRmT3_T4_T5_mT6_P12ihipStream_tbENKUlT_T0_E_clISt17integral_constantIbLb1EEST_IbLb0EEEEDaSP_SQ_EUlSP_E0_NS1_11comp_targetILNS1_3genE3ELNS1_11target_archE908ELNS1_3gpuE7ELNS1_3repE0EEENS1_30default_config_static_selectorELNS0_4arch9wavefront6targetE1EEEvT1_,comdat
.Lfunc_end390:
	.size	_ZN7rocprim17ROCPRIM_400000_NS6detail17trampoline_kernelINS0_14default_configENS1_20scan_config_selectorIxEEZZNS1_9scan_implILNS1_25lookback_scan_determinismE0ELb1ELb1ES3_N6thrust23THRUST_200600_302600_NS6detail15normal_iteratorINS9_10device_ptrIxEEEESE_xNS9_4plusIxEExEEDaPvRmT3_T4_T5_mT6_P12ihipStream_tbENKUlT_T0_E_clISt17integral_constantIbLb1EEST_IbLb0EEEEDaSP_SQ_EUlSP_E0_NS1_11comp_targetILNS1_3genE3ELNS1_11target_archE908ELNS1_3gpuE7ELNS1_3repE0EEENS1_30default_config_static_selectorELNS0_4arch9wavefront6targetE1EEEvT1_, .Lfunc_end390-_ZN7rocprim17ROCPRIM_400000_NS6detail17trampoline_kernelINS0_14default_configENS1_20scan_config_selectorIxEEZZNS1_9scan_implILNS1_25lookback_scan_determinismE0ELb1ELb1ES3_N6thrust23THRUST_200600_302600_NS6detail15normal_iteratorINS9_10device_ptrIxEEEESE_xNS9_4plusIxEExEEDaPvRmT3_T4_T5_mT6_P12ihipStream_tbENKUlT_T0_E_clISt17integral_constantIbLb1EEST_IbLb0EEEEDaSP_SQ_EUlSP_E0_NS1_11comp_targetILNS1_3genE3ELNS1_11target_archE908ELNS1_3gpuE7ELNS1_3repE0EEENS1_30default_config_static_selectorELNS0_4arch9wavefront6targetE1EEEvT1_
                                        ; -- End function
	.section	.AMDGPU.csdata,"",@progbits
; Kernel info:
; codeLenInByte = 0
; NumSgprs: 4
; NumVgprs: 0
; NumAgprs: 0
; TotalNumVgprs: 0
; ScratchSize: 0
; MemoryBound: 0
; FloatMode: 240
; IeeeMode: 1
; LDSByteSize: 0 bytes/workgroup (compile time only)
; SGPRBlocks: 0
; VGPRBlocks: 0
; NumSGPRsForWavesPerEU: 4
; NumVGPRsForWavesPerEU: 1
; AccumOffset: 4
; Occupancy: 8
; WaveLimiterHint : 0
; COMPUTE_PGM_RSRC2:SCRATCH_EN: 0
; COMPUTE_PGM_RSRC2:USER_SGPR: 6
; COMPUTE_PGM_RSRC2:TRAP_HANDLER: 0
; COMPUTE_PGM_RSRC2:TGID_X_EN: 1
; COMPUTE_PGM_RSRC2:TGID_Y_EN: 0
; COMPUTE_PGM_RSRC2:TGID_Z_EN: 0
; COMPUTE_PGM_RSRC2:TIDIG_COMP_CNT: 0
; COMPUTE_PGM_RSRC3_GFX90A:ACCUM_OFFSET: 0
; COMPUTE_PGM_RSRC3_GFX90A:TG_SPLIT: 0
	.section	.text._ZN7rocprim17ROCPRIM_400000_NS6detail17trampoline_kernelINS0_14default_configENS1_20scan_config_selectorIxEEZZNS1_9scan_implILNS1_25lookback_scan_determinismE0ELb1ELb1ES3_N6thrust23THRUST_200600_302600_NS6detail15normal_iteratorINS9_10device_ptrIxEEEESE_xNS9_4plusIxEExEEDaPvRmT3_T4_T5_mT6_P12ihipStream_tbENKUlT_T0_E_clISt17integral_constantIbLb1EEST_IbLb0EEEEDaSP_SQ_EUlSP_E0_NS1_11comp_targetILNS1_3genE2ELNS1_11target_archE906ELNS1_3gpuE6ELNS1_3repE0EEENS1_30default_config_static_selectorELNS0_4arch9wavefront6targetE1EEEvT1_,"axG",@progbits,_ZN7rocprim17ROCPRIM_400000_NS6detail17trampoline_kernelINS0_14default_configENS1_20scan_config_selectorIxEEZZNS1_9scan_implILNS1_25lookback_scan_determinismE0ELb1ELb1ES3_N6thrust23THRUST_200600_302600_NS6detail15normal_iteratorINS9_10device_ptrIxEEEESE_xNS9_4plusIxEExEEDaPvRmT3_T4_T5_mT6_P12ihipStream_tbENKUlT_T0_E_clISt17integral_constantIbLb1EEST_IbLb0EEEEDaSP_SQ_EUlSP_E0_NS1_11comp_targetILNS1_3genE2ELNS1_11target_archE906ELNS1_3gpuE6ELNS1_3repE0EEENS1_30default_config_static_selectorELNS0_4arch9wavefront6targetE1EEEvT1_,comdat
	.protected	_ZN7rocprim17ROCPRIM_400000_NS6detail17trampoline_kernelINS0_14default_configENS1_20scan_config_selectorIxEEZZNS1_9scan_implILNS1_25lookback_scan_determinismE0ELb1ELb1ES3_N6thrust23THRUST_200600_302600_NS6detail15normal_iteratorINS9_10device_ptrIxEEEESE_xNS9_4plusIxEExEEDaPvRmT3_T4_T5_mT6_P12ihipStream_tbENKUlT_T0_E_clISt17integral_constantIbLb1EEST_IbLb0EEEEDaSP_SQ_EUlSP_E0_NS1_11comp_targetILNS1_3genE2ELNS1_11target_archE906ELNS1_3gpuE6ELNS1_3repE0EEENS1_30default_config_static_selectorELNS0_4arch9wavefront6targetE1EEEvT1_ ; -- Begin function _ZN7rocprim17ROCPRIM_400000_NS6detail17trampoline_kernelINS0_14default_configENS1_20scan_config_selectorIxEEZZNS1_9scan_implILNS1_25lookback_scan_determinismE0ELb1ELb1ES3_N6thrust23THRUST_200600_302600_NS6detail15normal_iteratorINS9_10device_ptrIxEEEESE_xNS9_4plusIxEExEEDaPvRmT3_T4_T5_mT6_P12ihipStream_tbENKUlT_T0_E_clISt17integral_constantIbLb1EEST_IbLb0EEEEDaSP_SQ_EUlSP_E0_NS1_11comp_targetILNS1_3genE2ELNS1_11target_archE906ELNS1_3gpuE6ELNS1_3repE0EEENS1_30default_config_static_selectorELNS0_4arch9wavefront6targetE1EEEvT1_
	.globl	_ZN7rocprim17ROCPRIM_400000_NS6detail17trampoline_kernelINS0_14default_configENS1_20scan_config_selectorIxEEZZNS1_9scan_implILNS1_25lookback_scan_determinismE0ELb1ELb1ES3_N6thrust23THRUST_200600_302600_NS6detail15normal_iteratorINS9_10device_ptrIxEEEESE_xNS9_4plusIxEExEEDaPvRmT3_T4_T5_mT6_P12ihipStream_tbENKUlT_T0_E_clISt17integral_constantIbLb1EEST_IbLb0EEEEDaSP_SQ_EUlSP_E0_NS1_11comp_targetILNS1_3genE2ELNS1_11target_archE906ELNS1_3gpuE6ELNS1_3repE0EEENS1_30default_config_static_selectorELNS0_4arch9wavefront6targetE1EEEvT1_
	.p2align	8
	.type	_ZN7rocprim17ROCPRIM_400000_NS6detail17trampoline_kernelINS0_14default_configENS1_20scan_config_selectorIxEEZZNS1_9scan_implILNS1_25lookback_scan_determinismE0ELb1ELb1ES3_N6thrust23THRUST_200600_302600_NS6detail15normal_iteratorINS9_10device_ptrIxEEEESE_xNS9_4plusIxEExEEDaPvRmT3_T4_T5_mT6_P12ihipStream_tbENKUlT_T0_E_clISt17integral_constantIbLb1EEST_IbLb0EEEEDaSP_SQ_EUlSP_E0_NS1_11comp_targetILNS1_3genE2ELNS1_11target_archE906ELNS1_3gpuE6ELNS1_3repE0EEENS1_30default_config_static_selectorELNS0_4arch9wavefront6targetE1EEEvT1_,@function
_ZN7rocprim17ROCPRIM_400000_NS6detail17trampoline_kernelINS0_14default_configENS1_20scan_config_selectorIxEEZZNS1_9scan_implILNS1_25lookback_scan_determinismE0ELb1ELb1ES3_N6thrust23THRUST_200600_302600_NS6detail15normal_iteratorINS9_10device_ptrIxEEEESE_xNS9_4plusIxEExEEDaPvRmT3_T4_T5_mT6_P12ihipStream_tbENKUlT_T0_E_clISt17integral_constantIbLb1EEST_IbLb0EEEEDaSP_SQ_EUlSP_E0_NS1_11comp_targetILNS1_3genE2ELNS1_11target_archE906ELNS1_3gpuE6ELNS1_3repE0EEENS1_30default_config_static_selectorELNS0_4arch9wavefront6targetE1EEEvT1_: ; @_ZN7rocprim17ROCPRIM_400000_NS6detail17trampoline_kernelINS0_14default_configENS1_20scan_config_selectorIxEEZZNS1_9scan_implILNS1_25lookback_scan_determinismE0ELb1ELb1ES3_N6thrust23THRUST_200600_302600_NS6detail15normal_iteratorINS9_10device_ptrIxEEEESE_xNS9_4plusIxEExEEDaPvRmT3_T4_T5_mT6_P12ihipStream_tbENKUlT_T0_E_clISt17integral_constantIbLb1EEST_IbLb0EEEEDaSP_SQ_EUlSP_E0_NS1_11comp_targetILNS1_3genE2ELNS1_11target_archE906ELNS1_3gpuE6ELNS1_3repE0EEENS1_30default_config_static_selectorELNS0_4arch9wavefront6targetE1EEEvT1_
; %bb.0:
	.section	.rodata,"a",@progbits
	.p2align	6, 0x0
	.amdhsa_kernel _ZN7rocprim17ROCPRIM_400000_NS6detail17trampoline_kernelINS0_14default_configENS1_20scan_config_selectorIxEEZZNS1_9scan_implILNS1_25lookback_scan_determinismE0ELb1ELb1ES3_N6thrust23THRUST_200600_302600_NS6detail15normal_iteratorINS9_10device_ptrIxEEEESE_xNS9_4plusIxEExEEDaPvRmT3_T4_T5_mT6_P12ihipStream_tbENKUlT_T0_E_clISt17integral_constantIbLb1EEST_IbLb0EEEEDaSP_SQ_EUlSP_E0_NS1_11comp_targetILNS1_3genE2ELNS1_11target_archE906ELNS1_3gpuE6ELNS1_3repE0EEENS1_30default_config_static_selectorELNS0_4arch9wavefront6targetE1EEEvT1_
		.amdhsa_group_segment_fixed_size 0
		.amdhsa_private_segment_fixed_size 0
		.amdhsa_kernarg_size 40
		.amdhsa_user_sgpr_count 6
		.amdhsa_user_sgpr_private_segment_buffer 1
		.amdhsa_user_sgpr_dispatch_ptr 0
		.amdhsa_user_sgpr_queue_ptr 0
		.amdhsa_user_sgpr_kernarg_segment_ptr 1
		.amdhsa_user_sgpr_dispatch_id 0
		.amdhsa_user_sgpr_flat_scratch_init 0
		.amdhsa_user_sgpr_kernarg_preload_length 0
		.amdhsa_user_sgpr_kernarg_preload_offset 0
		.amdhsa_user_sgpr_private_segment_size 0
		.amdhsa_uses_dynamic_stack 0
		.amdhsa_system_sgpr_private_segment_wavefront_offset 0
		.amdhsa_system_sgpr_workgroup_id_x 1
		.amdhsa_system_sgpr_workgroup_id_y 0
		.amdhsa_system_sgpr_workgroup_id_z 0
		.amdhsa_system_sgpr_workgroup_info 0
		.amdhsa_system_vgpr_workitem_id 0
		.amdhsa_next_free_vgpr 1
		.amdhsa_next_free_sgpr 0
		.amdhsa_accum_offset 4
		.amdhsa_reserve_vcc 0
		.amdhsa_reserve_flat_scratch 0
		.amdhsa_float_round_mode_32 0
		.amdhsa_float_round_mode_16_64 0
		.amdhsa_float_denorm_mode_32 3
		.amdhsa_float_denorm_mode_16_64 3
		.amdhsa_dx10_clamp 1
		.amdhsa_ieee_mode 1
		.amdhsa_fp16_overflow 0
		.amdhsa_tg_split 0
		.amdhsa_exception_fp_ieee_invalid_op 0
		.amdhsa_exception_fp_denorm_src 0
		.amdhsa_exception_fp_ieee_div_zero 0
		.amdhsa_exception_fp_ieee_overflow 0
		.amdhsa_exception_fp_ieee_underflow 0
		.amdhsa_exception_fp_ieee_inexact 0
		.amdhsa_exception_int_div_zero 0
	.end_amdhsa_kernel
	.section	.text._ZN7rocprim17ROCPRIM_400000_NS6detail17trampoline_kernelINS0_14default_configENS1_20scan_config_selectorIxEEZZNS1_9scan_implILNS1_25lookback_scan_determinismE0ELb1ELb1ES3_N6thrust23THRUST_200600_302600_NS6detail15normal_iteratorINS9_10device_ptrIxEEEESE_xNS9_4plusIxEExEEDaPvRmT3_T4_T5_mT6_P12ihipStream_tbENKUlT_T0_E_clISt17integral_constantIbLb1EEST_IbLb0EEEEDaSP_SQ_EUlSP_E0_NS1_11comp_targetILNS1_3genE2ELNS1_11target_archE906ELNS1_3gpuE6ELNS1_3repE0EEENS1_30default_config_static_selectorELNS0_4arch9wavefront6targetE1EEEvT1_,"axG",@progbits,_ZN7rocprim17ROCPRIM_400000_NS6detail17trampoline_kernelINS0_14default_configENS1_20scan_config_selectorIxEEZZNS1_9scan_implILNS1_25lookback_scan_determinismE0ELb1ELb1ES3_N6thrust23THRUST_200600_302600_NS6detail15normal_iteratorINS9_10device_ptrIxEEEESE_xNS9_4plusIxEExEEDaPvRmT3_T4_T5_mT6_P12ihipStream_tbENKUlT_T0_E_clISt17integral_constantIbLb1EEST_IbLb0EEEEDaSP_SQ_EUlSP_E0_NS1_11comp_targetILNS1_3genE2ELNS1_11target_archE906ELNS1_3gpuE6ELNS1_3repE0EEENS1_30default_config_static_selectorELNS0_4arch9wavefront6targetE1EEEvT1_,comdat
.Lfunc_end391:
	.size	_ZN7rocprim17ROCPRIM_400000_NS6detail17trampoline_kernelINS0_14default_configENS1_20scan_config_selectorIxEEZZNS1_9scan_implILNS1_25lookback_scan_determinismE0ELb1ELb1ES3_N6thrust23THRUST_200600_302600_NS6detail15normal_iteratorINS9_10device_ptrIxEEEESE_xNS9_4plusIxEExEEDaPvRmT3_T4_T5_mT6_P12ihipStream_tbENKUlT_T0_E_clISt17integral_constantIbLb1EEST_IbLb0EEEEDaSP_SQ_EUlSP_E0_NS1_11comp_targetILNS1_3genE2ELNS1_11target_archE906ELNS1_3gpuE6ELNS1_3repE0EEENS1_30default_config_static_selectorELNS0_4arch9wavefront6targetE1EEEvT1_, .Lfunc_end391-_ZN7rocprim17ROCPRIM_400000_NS6detail17trampoline_kernelINS0_14default_configENS1_20scan_config_selectorIxEEZZNS1_9scan_implILNS1_25lookback_scan_determinismE0ELb1ELb1ES3_N6thrust23THRUST_200600_302600_NS6detail15normal_iteratorINS9_10device_ptrIxEEEESE_xNS9_4plusIxEExEEDaPvRmT3_T4_T5_mT6_P12ihipStream_tbENKUlT_T0_E_clISt17integral_constantIbLb1EEST_IbLb0EEEEDaSP_SQ_EUlSP_E0_NS1_11comp_targetILNS1_3genE2ELNS1_11target_archE906ELNS1_3gpuE6ELNS1_3repE0EEENS1_30default_config_static_selectorELNS0_4arch9wavefront6targetE1EEEvT1_
                                        ; -- End function
	.section	.AMDGPU.csdata,"",@progbits
; Kernel info:
; codeLenInByte = 0
; NumSgprs: 4
; NumVgprs: 0
; NumAgprs: 0
; TotalNumVgprs: 0
; ScratchSize: 0
; MemoryBound: 0
; FloatMode: 240
; IeeeMode: 1
; LDSByteSize: 0 bytes/workgroup (compile time only)
; SGPRBlocks: 0
; VGPRBlocks: 0
; NumSGPRsForWavesPerEU: 4
; NumVGPRsForWavesPerEU: 1
; AccumOffset: 4
; Occupancy: 8
; WaveLimiterHint : 0
; COMPUTE_PGM_RSRC2:SCRATCH_EN: 0
; COMPUTE_PGM_RSRC2:USER_SGPR: 6
; COMPUTE_PGM_RSRC2:TRAP_HANDLER: 0
; COMPUTE_PGM_RSRC2:TGID_X_EN: 1
; COMPUTE_PGM_RSRC2:TGID_Y_EN: 0
; COMPUTE_PGM_RSRC2:TGID_Z_EN: 0
; COMPUTE_PGM_RSRC2:TIDIG_COMP_CNT: 0
; COMPUTE_PGM_RSRC3_GFX90A:ACCUM_OFFSET: 0
; COMPUTE_PGM_RSRC3_GFX90A:TG_SPLIT: 0
	.section	.text._ZN7rocprim17ROCPRIM_400000_NS6detail17trampoline_kernelINS0_14default_configENS1_20scan_config_selectorIxEEZZNS1_9scan_implILNS1_25lookback_scan_determinismE0ELb1ELb1ES3_N6thrust23THRUST_200600_302600_NS6detail15normal_iteratorINS9_10device_ptrIxEEEESE_xNS9_4plusIxEExEEDaPvRmT3_T4_T5_mT6_P12ihipStream_tbENKUlT_T0_E_clISt17integral_constantIbLb1EEST_IbLb0EEEEDaSP_SQ_EUlSP_E0_NS1_11comp_targetILNS1_3genE10ELNS1_11target_archE1201ELNS1_3gpuE5ELNS1_3repE0EEENS1_30default_config_static_selectorELNS0_4arch9wavefront6targetE1EEEvT1_,"axG",@progbits,_ZN7rocprim17ROCPRIM_400000_NS6detail17trampoline_kernelINS0_14default_configENS1_20scan_config_selectorIxEEZZNS1_9scan_implILNS1_25lookback_scan_determinismE0ELb1ELb1ES3_N6thrust23THRUST_200600_302600_NS6detail15normal_iteratorINS9_10device_ptrIxEEEESE_xNS9_4plusIxEExEEDaPvRmT3_T4_T5_mT6_P12ihipStream_tbENKUlT_T0_E_clISt17integral_constantIbLb1EEST_IbLb0EEEEDaSP_SQ_EUlSP_E0_NS1_11comp_targetILNS1_3genE10ELNS1_11target_archE1201ELNS1_3gpuE5ELNS1_3repE0EEENS1_30default_config_static_selectorELNS0_4arch9wavefront6targetE1EEEvT1_,comdat
	.protected	_ZN7rocprim17ROCPRIM_400000_NS6detail17trampoline_kernelINS0_14default_configENS1_20scan_config_selectorIxEEZZNS1_9scan_implILNS1_25lookback_scan_determinismE0ELb1ELb1ES3_N6thrust23THRUST_200600_302600_NS6detail15normal_iteratorINS9_10device_ptrIxEEEESE_xNS9_4plusIxEExEEDaPvRmT3_T4_T5_mT6_P12ihipStream_tbENKUlT_T0_E_clISt17integral_constantIbLb1EEST_IbLb0EEEEDaSP_SQ_EUlSP_E0_NS1_11comp_targetILNS1_3genE10ELNS1_11target_archE1201ELNS1_3gpuE5ELNS1_3repE0EEENS1_30default_config_static_selectorELNS0_4arch9wavefront6targetE1EEEvT1_ ; -- Begin function _ZN7rocprim17ROCPRIM_400000_NS6detail17trampoline_kernelINS0_14default_configENS1_20scan_config_selectorIxEEZZNS1_9scan_implILNS1_25lookback_scan_determinismE0ELb1ELb1ES3_N6thrust23THRUST_200600_302600_NS6detail15normal_iteratorINS9_10device_ptrIxEEEESE_xNS9_4plusIxEExEEDaPvRmT3_T4_T5_mT6_P12ihipStream_tbENKUlT_T0_E_clISt17integral_constantIbLb1EEST_IbLb0EEEEDaSP_SQ_EUlSP_E0_NS1_11comp_targetILNS1_3genE10ELNS1_11target_archE1201ELNS1_3gpuE5ELNS1_3repE0EEENS1_30default_config_static_selectorELNS0_4arch9wavefront6targetE1EEEvT1_
	.globl	_ZN7rocprim17ROCPRIM_400000_NS6detail17trampoline_kernelINS0_14default_configENS1_20scan_config_selectorIxEEZZNS1_9scan_implILNS1_25lookback_scan_determinismE0ELb1ELb1ES3_N6thrust23THRUST_200600_302600_NS6detail15normal_iteratorINS9_10device_ptrIxEEEESE_xNS9_4plusIxEExEEDaPvRmT3_T4_T5_mT6_P12ihipStream_tbENKUlT_T0_E_clISt17integral_constantIbLb1EEST_IbLb0EEEEDaSP_SQ_EUlSP_E0_NS1_11comp_targetILNS1_3genE10ELNS1_11target_archE1201ELNS1_3gpuE5ELNS1_3repE0EEENS1_30default_config_static_selectorELNS0_4arch9wavefront6targetE1EEEvT1_
	.p2align	8
	.type	_ZN7rocprim17ROCPRIM_400000_NS6detail17trampoline_kernelINS0_14default_configENS1_20scan_config_selectorIxEEZZNS1_9scan_implILNS1_25lookback_scan_determinismE0ELb1ELb1ES3_N6thrust23THRUST_200600_302600_NS6detail15normal_iteratorINS9_10device_ptrIxEEEESE_xNS9_4plusIxEExEEDaPvRmT3_T4_T5_mT6_P12ihipStream_tbENKUlT_T0_E_clISt17integral_constantIbLb1EEST_IbLb0EEEEDaSP_SQ_EUlSP_E0_NS1_11comp_targetILNS1_3genE10ELNS1_11target_archE1201ELNS1_3gpuE5ELNS1_3repE0EEENS1_30default_config_static_selectorELNS0_4arch9wavefront6targetE1EEEvT1_,@function
_ZN7rocprim17ROCPRIM_400000_NS6detail17trampoline_kernelINS0_14default_configENS1_20scan_config_selectorIxEEZZNS1_9scan_implILNS1_25lookback_scan_determinismE0ELb1ELb1ES3_N6thrust23THRUST_200600_302600_NS6detail15normal_iteratorINS9_10device_ptrIxEEEESE_xNS9_4plusIxEExEEDaPvRmT3_T4_T5_mT6_P12ihipStream_tbENKUlT_T0_E_clISt17integral_constantIbLb1EEST_IbLb0EEEEDaSP_SQ_EUlSP_E0_NS1_11comp_targetILNS1_3genE10ELNS1_11target_archE1201ELNS1_3gpuE5ELNS1_3repE0EEENS1_30default_config_static_selectorELNS0_4arch9wavefront6targetE1EEEvT1_: ; @_ZN7rocprim17ROCPRIM_400000_NS6detail17trampoline_kernelINS0_14default_configENS1_20scan_config_selectorIxEEZZNS1_9scan_implILNS1_25lookback_scan_determinismE0ELb1ELb1ES3_N6thrust23THRUST_200600_302600_NS6detail15normal_iteratorINS9_10device_ptrIxEEEESE_xNS9_4plusIxEExEEDaPvRmT3_T4_T5_mT6_P12ihipStream_tbENKUlT_T0_E_clISt17integral_constantIbLb1EEST_IbLb0EEEEDaSP_SQ_EUlSP_E0_NS1_11comp_targetILNS1_3genE10ELNS1_11target_archE1201ELNS1_3gpuE5ELNS1_3repE0EEENS1_30default_config_static_selectorELNS0_4arch9wavefront6targetE1EEEvT1_
; %bb.0:
	.section	.rodata,"a",@progbits
	.p2align	6, 0x0
	.amdhsa_kernel _ZN7rocprim17ROCPRIM_400000_NS6detail17trampoline_kernelINS0_14default_configENS1_20scan_config_selectorIxEEZZNS1_9scan_implILNS1_25lookback_scan_determinismE0ELb1ELb1ES3_N6thrust23THRUST_200600_302600_NS6detail15normal_iteratorINS9_10device_ptrIxEEEESE_xNS9_4plusIxEExEEDaPvRmT3_T4_T5_mT6_P12ihipStream_tbENKUlT_T0_E_clISt17integral_constantIbLb1EEST_IbLb0EEEEDaSP_SQ_EUlSP_E0_NS1_11comp_targetILNS1_3genE10ELNS1_11target_archE1201ELNS1_3gpuE5ELNS1_3repE0EEENS1_30default_config_static_selectorELNS0_4arch9wavefront6targetE1EEEvT1_
		.amdhsa_group_segment_fixed_size 0
		.amdhsa_private_segment_fixed_size 0
		.amdhsa_kernarg_size 40
		.amdhsa_user_sgpr_count 6
		.amdhsa_user_sgpr_private_segment_buffer 1
		.amdhsa_user_sgpr_dispatch_ptr 0
		.amdhsa_user_sgpr_queue_ptr 0
		.amdhsa_user_sgpr_kernarg_segment_ptr 1
		.amdhsa_user_sgpr_dispatch_id 0
		.amdhsa_user_sgpr_flat_scratch_init 0
		.amdhsa_user_sgpr_kernarg_preload_length 0
		.amdhsa_user_sgpr_kernarg_preload_offset 0
		.amdhsa_user_sgpr_private_segment_size 0
		.amdhsa_uses_dynamic_stack 0
		.amdhsa_system_sgpr_private_segment_wavefront_offset 0
		.amdhsa_system_sgpr_workgroup_id_x 1
		.amdhsa_system_sgpr_workgroup_id_y 0
		.amdhsa_system_sgpr_workgroup_id_z 0
		.amdhsa_system_sgpr_workgroup_info 0
		.amdhsa_system_vgpr_workitem_id 0
		.amdhsa_next_free_vgpr 1
		.amdhsa_next_free_sgpr 0
		.amdhsa_accum_offset 4
		.amdhsa_reserve_vcc 0
		.amdhsa_reserve_flat_scratch 0
		.amdhsa_float_round_mode_32 0
		.amdhsa_float_round_mode_16_64 0
		.amdhsa_float_denorm_mode_32 3
		.amdhsa_float_denorm_mode_16_64 3
		.amdhsa_dx10_clamp 1
		.amdhsa_ieee_mode 1
		.amdhsa_fp16_overflow 0
		.amdhsa_tg_split 0
		.amdhsa_exception_fp_ieee_invalid_op 0
		.amdhsa_exception_fp_denorm_src 0
		.amdhsa_exception_fp_ieee_div_zero 0
		.amdhsa_exception_fp_ieee_overflow 0
		.amdhsa_exception_fp_ieee_underflow 0
		.amdhsa_exception_fp_ieee_inexact 0
		.amdhsa_exception_int_div_zero 0
	.end_amdhsa_kernel
	.section	.text._ZN7rocprim17ROCPRIM_400000_NS6detail17trampoline_kernelINS0_14default_configENS1_20scan_config_selectorIxEEZZNS1_9scan_implILNS1_25lookback_scan_determinismE0ELb1ELb1ES3_N6thrust23THRUST_200600_302600_NS6detail15normal_iteratorINS9_10device_ptrIxEEEESE_xNS9_4plusIxEExEEDaPvRmT3_T4_T5_mT6_P12ihipStream_tbENKUlT_T0_E_clISt17integral_constantIbLb1EEST_IbLb0EEEEDaSP_SQ_EUlSP_E0_NS1_11comp_targetILNS1_3genE10ELNS1_11target_archE1201ELNS1_3gpuE5ELNS1_3repE0EEENS1_30default_config_static_selectorELNS0_4arch9wavefront6targetE1EEEvT1_,"axG",@progbits,_ZN7rocprim17ROCPRIM_400000_NS6detail17trampoline_kernelINS0_14default_configENS1_20scan_config_selectorIxEEZZNS1_9scan_implILNS1_25lookback_scan_determinismE0ELb1ELb1ES3_N6thrust23THRUST_200600_302600_NS6detail15normal_iteratorINS9_10device_ptrIxEEEESE_xNS9_4plusIxEExEEDaPvRmT3_T4_T5_mT6_P12ihipStream_tbENKUlT_T0_E_clISt17integral_constantIbLb1EEST_IbLb0EEEEDaSP_SQ_EUlSP_E0_NS1_11comp_targetILNS1_3genE10ELNS1_11target_archE1201ELNS1_3gpuE5ELNS1_3repE0EEENS1_30default_config_static_selectorELNS0_4arch9wavefront6targetE1EEEvT1_,comdat
.Lfunc_end392:
	.size	_ZN7rocprim17ROCPRIM_400000_NS6detail17trampoline_kernelINS0_14default_configENS1_20scan_config_selectorIxEEZZNS1_9scan_implILNS1_25lookback_scan_determinismE0ELb1ELb1ES3_N6thrust23THRUST_200600_302600_NS6detail15normal_iteratorINS9_10device_ptrIxEEEESE_xNS9_4plusIxEExEEDaPvRmT3_T4_T5_mT6_P12ihipStream_tbENKUlT_T0_E_clISt17integral_constantIbLb1EEST_IbLb0EEEEDaSP_SQ_EUlSP_E0_NS1_11comp_targetILNS1_3genE10ELNS1_11target_archE1201ELNS1_3gpuE5ELNS1_3repE0EEENS1_30default_config_static_selectorELNS0_4arch9wavefront6targetE1EEEvT1_, .Lfunc_end392-_ZN7rocprim17ROCPRIM_400000_NS6detail17trampoline_kernelINS0_14default_configENS1_20scan_config_selectorIxEEZZNS1_9scan_implILNS1_25lookback_scan_determinismE0ELb1ELb1ES3_N6thrust23THRUST_200600_302600_NS6detail15normal_iteratorINS9_10device_ptrIxEEEESE_xNS9_4plusIxEExEEDaPvRmT3_T4_T5_mT6_P12ihipStream_tbENKUlT_T0_E_clISt17integral_constantIbLb1EEST_IbLb0EEEEDaSP_SQ_EUlSP_E0_NS1_11comp_targetILNS1_3genE10ELNS1_11target_archE1201ELNS1_3gpuE5ELNS1_3repE0EEENS1_30default_config_static_selectorELNS0_4arch9wavefront6targetE1EEEvT1_
                                        ; -- End function
	.section	.AMDGPU.csdata,"",@progbits
; Kernel info:
; codeLenInByte = 0
; NumSgprs: 4
; NumVgprs: 0
; NumAgprs: 0
; TotalNumVgprs: 0
; ScratchSize: 0
; MemoryBound: 0
; FloatMode: 240
; IeeeMode: 1
; LDSByteSize: 0 bytes/workgroup (compile time only)
; SGPRBlocks: 0
; VGPRBlocks: 0
; NumSGPRsForWavesPerEU: 4
; NumVGPRsForWavesPerEU: 1
; AccumOffset: 4
; Occupancy: 8
; WaveLimiterHint : 0
; COMPUTE_PGM_RSRC2:SCRATCH_EN: 0
; COMPUTE_PGM_RSRC2:USER_SGPR: 6
; COMPUTE_PGM_RSRC2:TRAP_HANDLER: 0
; COMPUTE_PGM_RSRC2:TGID_X_EN: 1
; COMPUTE_PGM_RSRC2:TGID_Y_EN: 0
; COMPUTE_PGM_RSRC2:TGID_Z_EN: 0
; COMPUTE_PGM_RSRC2:TIDIG_COMP_CNT: 0
; COMPUTE_PGM_RSRC3_GFX90A:ACCUM_OFFSET: 0
; COMPUTE_PGM_RSRC3_GFX90A:TG_SPLIT: 0
	.section	.text._ZN7rocprim17ROCPRIM_400000_NS6detail17trampoline_kernelINS0_14default_configENS1_20scan_config_selectorIxEEZZNS1_9scan_implILNS1_25lookback_scan_determinismE0ELb1ELb1ES3_N6thrust23THRUST_200600_302600_NS6detail15normal_iteratorINS9_10device_ptrIxEEEESE_xNS9_4plusIxEExEEDaPvRmT3_T4_T5_mT6_P12ihipStream_tbENKUlT_T0_E_clISt17integral_constantIbLb1EEST_IbLb0EEEEDaSP_SQ_EUlSP_E0_NS1_11comp_targetILNS1_3genE10ELNS1_11target_archE1200ELNS1_3gpuE4ELNS1_3repE0EEENS1_30default_config_static_selectorELNS0_4arch9wavefront6targetE1EEEvT1_,"axG",@progbits,_ZN7rocprim17ROCPRIM_400000_NS6detail17trampoline_kernelINS0_14default_configENS1_20scan_config_selectorIxEEZZNS1_9scan_implILNS1_25lookback_scan_determinismE0ELb1ELb1ES3_N6thrust23THRUST_200600_302600_NS6detail15normal_iteratorINS9_10device_ptrIxEEEESE_xNS9_4plusIxEExEEDaPvRmT3_T4_T5_mT6_P12ihipStream_tbENKUlT_T0_E_clISt17integral_constantIbLb1EEST_IbLb0EEEEDaSP_SQ_EUlSP_E0_NS1_11comp_targetILNS1_3genE10ELNS1_11target_archE1200ELNS1_3gpuE4ELNS1_3repE0EEENS1_30default_config_static_selectorELNS0_4arch9wavefront6targetE1EEEvT1_,comdat
	.protected	_ZN7rocprim17ROCPRIM_400000_NS6detail17trampoline_kernelINS0_14default_configENS1_20scan_config_selectorIxEEZZNS1_9scan_implILNS1_25lookback_scan_determinismE0ELb1ELb1ES3_N6thrust23THRUST_200600_302600_NS6detail15normal_iteratorINS9_10device_ptrIxEEEESE_xNS9_4plusIxEExEEDaPvRmT3_T4_T5_mT6_P12ihipStream_tbENKUlT_T0_E_clISt17integral_constantIbLb1EEST_IbLb0EEEEDaSP_SQ_EUlSP_E0_NS1_11comp_targetILNS1_3genE10ELNS1_11target_archE1200ELNS1_3gpuE4ELNS1_3repE0EEENS1_30default_config_static_selectorELNS0_4arch9wavefront6targetE1EEEvT1_ ; -- Begin function _ZN7rocprim17ROCPRIM_400000_NS6detail17trampoline_kernelINS0_14default_configENS1_20scan_config_selectorIxEEZZNS1_9scan_implILNS1_25lookback_scan_determinismE0ELb1ELb1ES3_N6thrust23THRUST_200600_302600_NS6detail15normal_iteratorINS9_10device_ptrIxEEEESE_xNS9_4plusIxEExEEDaPvRmT3_T4_T5_mT6_P12ihipStream_tbENKUlT_T0_E_clISt17integral_constantIbLb1EEST_IbLb0EEEEDaSP_SQ_EUlSP_E0_NS1_11comp_targetILNS1_3genE10ELNS1_11target_archE1200ELNS1_3gpuE4ELNS1_3repE0EEENS1_30default_config_static_selectorELNS0_4arch9wavefront6targetE1EEEvT1_
	.globl	_ZN7rocprim17ROCPRIM_400000_NS6detail17trampoline_kernelINS0_14default_configENS1_20scan_config_selectorIxEEZZNS1_9scan_implILNS1_25lookback_scan_determinismE0ELb1ELb1ES3_N6thrust23THRUST_200600_302600_NS6detail15normal_iteratorINS9_10device_ptrIxEEEESE_xNS9_4plusIxEExEEDaPvRmT3_T4_T5_mT6_P12ihipStream_tbENKUlT_T0_E_clISt17integral_constantIbLb1EEST_IbLb0EEEEDaSP_SQ_EUlSP_E0_NS1_11comp_targetILNS1_3genE10ELNS1_11target_archE1200ELNS1_3gpuE4ELNS1_3repE0EEENS1_30default_config_static_selectorELNS0_4arch9wavefront6targetE1EEEvT1_
	.p2align	8
	.type	_ZN7rocprim17ROCPRIM_400000_NS6detail17trampoline_kernelINS0_14default_configENS1_20scan_config_selectorIxEEZZNS1_9scan_implILNS1_25lookback_scan_determinismE0ELb1ELb1ES3_N6thrust23THRUST_200600_302600_NS6detail15normal_iteratorINS9_10device_ptrIxEEEESE_xNS9_4plusIxEExEEDaPvRmT3_T4_T5_mT6_P12ihipStream_tbENKUlT_T0_E_clISt17integral_constantIbLb1EEST_IbLb0EEEEDaSP_SQ_EUlSP_E0_NS1_11comp_targetILNS1_3genE10ELNS1_11target_archE1200ELNS1_3gpuE4ELNS1_3repE0EEENS1_30default_config_static_selectorELNS0_4arch9wavefront6targetE1EEEvT1_,@function
_ZN7rocprim17ROCPRIM_400000_NS6detail17trampoline_kernelINS0_14default_configENS1_20scan_config_selectorIxEEZZNS1_9scan_implILNS1_25lookback_scan_determinismE0ELb1ELb1ES3_N6thrust23THRUST_200600_302600_NS6detail15normal_iteratorINS9_10device_ptrIxEEEESE_xNS9_4plusIxEExEEDaPvRmT3_T4_T5_mT6_P12ihipStream_tbENKUlT_T0_E_clISt17integral_constantIbLb1EEST_IbLb0EEEEDaSP_SQ_EUlSP_E0_NS1_11comp_targetILNS1_3genE10ELNS1_11target_archE1200ELNS1_3gpuE4ELNS1_3repE0EEENS1_30default_config_static_selectorELNS0_4arch9wavefront6targetE1EEEvT1_: ; @_ZN7rocprim17ROCPRIM_400000_NS6detail17trampoline_kernelINS0_14default_configENS1_20scan_config_selectorIxEEZZNS1_9scan_implILNS1_25lookback_scan_determinismE0ELb1ELb1ES3_N6thrust23THRUST_200600_302600_NS6detail15normal_iteratorINS9_10device_ptrIxEEEESE_xNS9_4plusIxEExEEDaPvRmT3_T4_T5_mT6_P12ihipStream_tbENKUlT_T0_E_clISt17integral_constantIbLb1EEST_IbLb0EEEEDaSP_SQ_EUlSP_E0_NS1_11comp_targetILNS1_3genE10ELNS1_11target_archE1200ELNS1_3gpuE4ELNS1_3repE0EEENS1_30default_config_static_selectorELNS0_4arch9wavefront6targetE1EEEvT1_
; %bb.0:
	.section	.rodata,"a",@progbits
	.p2align	6, 0x0
	.amdhsa_kernel _ZN7rocprim17ROCPRIM_400000_NS6detail17trampoline_kernelINS0_14default_configENS1_20scan_config_selectorIxEEZZNS1_9scan_implILNS1_25lookback_scan_determinismE0ELb1ELb1ES3_N6thrust23THRUST_200600_302600_NS6detail15normal_iteratorINS9_10device_ptrIxEEEESE_xNS9_4plusIxEExEEDaPvRmT3_T4_T5_mT6_P12ihipStream_tbENKUlT_T0_E_clISt17integral_constantIbLb1EEST_IbLb0EEEEDaSP_SQ_EUlSP_E0_NS1_11comp_targetILNS1_3genE10ELNS1_11target_archE1200ELNS1_3gpuE4ELNS1_3repE0EEENS1_30default_config_static_selectorELNS0_4arch9wavefront6targetE1EEEvT1_
		.amdhsa_group_segment_fixed_size 0
		.amdhsa_private_segment_fixed_size 0
		.amdhsa_kernarg_size 40
		.amdhsa_user_sgpr_count 6
		.amdhsa_user_sgpr_private_segment_buffer 1
		.amdhsa_user_sgpr_dispatch_ptr 0
		.amdhsa_user_sgpr_queue_ptr 0
		.amdhsa_user_sgpr_kernarg_segment_ptr 1
		.amdhsa_user_sgpr_dispatch_id 0
		.amdhsa_user_sgpr_flat_scratch_init 0
		.amdhsa_user_sgpr_kernarg_preload_length 0
		.amdhsa_user_sgpr_kernarg_preload_offset 0
		.amdhsa_user_sgpr_private_segment_size 0
		.amdhsa_uses_dynamic_stack 0
		.amdhsa_system_sgpr_private_segment_wavefront_offset 0
		.amdhsa_system_sgpr_workgroup_id_x 1
		.amdhsa_system_sgpr_workgroup_id_y 0
		.amdhsa_system_sgpr_workgroup_id_z 0
		.amdhsa_system_sgpr_workgroup_info 0
		.amdhsa_system_vgpr_workitem_id 0
		.amdhsa_next_free_vgpr 1
		.amdhsa_next_free_sgpr 0
		.amdhsa_accum_offset 4
		.amdhsa_reserve_vcc 0
		.amdhsa_reserve_flat_scratch 0
		.amdhsa_float_round_mode_32 0
		.amdhsa_float_round_mode_16_64 0
		.amdhsa_float_denorm_mode_32 3
		.amdhsa_float_denorm_mode_16_64 3
		.amdhsa_dx10_clamp 1
		.amdhsa_ieee_mode 1
		.amdhsa_fp16_overflow 0
		.amdhsa_tg_split 0
		.amdhsa_exception_fp_ieee_invalid_op 0
		.amdhsa_exception_fp_denorm_src 0
		.amdhsa_exception_fp_ieee_div_zero 0
		.amdhsa_exception_fp_ieee_overflow 0
		.amdhsa_exception_fp_ieee_underflow 0
		.amdhsa_exception_fp_ieee_inexact 0
		.amdhsa_exception_int_div_zero 0
	.end_amdhsa_kernel
	.section	.text._ZN7rocprim17ROCPRIM_400000_NS6detail17trampoline_kernelINS0_14default_configENS1_20scan_config_selectorIxEEZZNS1_9scan_implILNS1_25lookback_scan_determinismE0ELb1ELb1ES3_N6thrust23THRUST_200600_302600_NS6detail15normal_iteratorINS9_10device_ptrIxEEEESE_xNS9_4plusIxEExEEDaPvRmT3_T4_T5_mT6_P12ihipStream_tbENKUlT_T0_E_clISt17integral_constantIbLb1EEST_IbLb0EEEEDaSP_SQ_EUlSP_E0_NS1_11comp_targetILNS1_3genE10ELNS1_11target_archE1200ELNS1_3gpuE4ELNS1_3repE0EEENS1_30default_config_static_selectorELNS0_4arch9wavefront6targetE1EEEvT1_,"axG",@progbits,_ZN7rocprim17ROCPRIM_400000_NS6detail17trampoline_kernelINS0_14default_configENS1_20scan_config_selectorIxEEZZNS1_9scan_implILNS1_25lookback_scan_determinismE0ELb1ELb1ES3_N6thrust23THRUST_200600_302600_NS6detail15normal_iteratorINS9_10device_ptrIxEEEESE_xNS9_4plusIxEExEEDaPvRmT3_T4_T5_mT6_P12ihipStream_tbENKUlT_T0_E_clISt17integral_constantIbLb1EEST_IbLb0EEEEDaSP_SQ_EUlSP_E0_NS1_11comp_targetILNS1_3genE10ELNS1_11target_archE1200ELNS1_3gpuE4ELNS1_3repE0EEENS1_30default_config_static_selectorELNS0_4arch9wavefront6targetE1EEEvT1_,comdat
.Lfunc_end393:
	.size	_ZN7rocprim17ROCPRIM_400000_NS6detail17trampoline_kernelINS0_14default_configENS1_20scan_config_selectorIxEEZZNS1_9scan_implILNS1_25lookback_scan_determinismE0ELb1ELb1ES3_N6thrust23THRUST_200600_302600_NS6detail15normal_iteratorINS9_10device_ptrIxEEEESE_xNS9_4plusIxEExEEDaPvRmT3_T4_T5_mT6_P12ihipStream_tbENKUlT_T0_E_clISt17integral_constantIbLb1EEST_IbLb0EEEEDaSP_SQ_EUlSP_E0_NS1_11comp_targetILNS1_3genE10ELNS1_11target_archE1200ELNS1_3gpuE4ELNS1_3repE0EEENS1_30default_config_static_selectorELNS0_4arch9wavefront6targetE1EEEvT1_, .Lfunc_end393-_ZN7rocprim17ROCPRIM_400000_NS6detail17trampoline_kernelINS0_14default_configENS1_20scan_config_selectorIxEEZZNS1_9scan_implILNS1_25lookback_scan_determinismE0ELb1ELb1ES3_N6thrust23THRUST_200600_302600_NS6detail15normal_iteratorINS9_10device_ptrIxEEEESE_xNS9_4plusIxEExEEDaPvRmT3_T4_T5_mT6_P12ihipStream_tbENKUlT_T0_E_clISt17integral_constantIbLb1EEST_IbLb0EEEEDaSP_SQ_EUlSP_E0_NS1_11comp_targetILNS1_3genE10ELNS1_11target_archE1200ELNS1_3gpuE4ELNS1_3repE0EEENS1_30default_config_static_selectorELNS0_4arch9wavefront6targetE1EEEvT1_
                                        ; -- End function
	.section	.AMDGPU.csdata,"",@progbits
; Kernel info:
; codeLenInByte = 0
; NumSgprs: 4
; NumVgprs: 0
; NumAgprs: 0
; TotalNumVgprs: 0
; ScratchSize: 0
; MemoryBound: 0
; FloatMode: 240
; IeeeMode: 1
; LDSByteSize: 0 bytes/workgroup (compile time only)
; SGPRBlocks: 0
; VGPRBlocks: 0
; NumSGPRsForWavesPerEU: 4
; NumVGPRsForWavesPerEU: 1
; AccumOffset: 4
; Occupancy: 8
; WaveLimiterHint : 0
; COMPUTE_PGM_RSRC2:SCRATCH_EN: 0
; COMPUTE_PGM_RSRC2:USER_SGPR: 6
; COMPUTE_PGM_RSRC2:TRAP_HANDLER: 0
; COMPUTE_PGM_RSRC2:TGID_X_EN: 1
; COMPUTE_PGM_RSRC2:TGID_Y_EN: 0
; COMPUTE_PGM_RSRC2:TGID_Z_EN: 0
; COMPUTE_PGM_RSRC2:TIDIG_COMP_CNT: 0
; COMPUTE_PGM_RSRC3_GFX90A:ACCUM_OFFSET: 0
; COMPUTE_PGM_RSRC3_GFX90A:TG_SPLIT: 0
	.section	.text._ZN7rocprim17ROCPRIM_400000_NS6detail17trampoline_kernelINS0_14default_configENS1_20scan_config_selectorIxEEZZNS1_9scan_implILNS1_25lookback_scan_determinismE0ELb1ELb1ES3_N6thrust23THRUST_200600_302600_NS6detail15normal_iteratorINS9_10device_ptrIxEEEESE_xNS9_4plusIxEExEEDaPvRmT3_T4_T5_mT6_P12ihipStream_tbENKUlT_T0_E_clISt17integral_constantIbLb1EEST_IbLb0EEEEDaSP_SQ_EUlSP_E0_NS1_11comp_targetILNS1_3genE9ELNS1_11target_archE1100ELNS1_3gpuE3ELNS1_3repE0EEENS1_30default_config_static_selectorELNS0_4arch9wavefront6targetE1EEEvT1_,"axG",@progbits,_ZN7rocprim17ROCPRIM_400000_NS6detail17trampoline_kernelINS0_14default_configENS1_20scan_config_selectorIxEEZZNS1_9scan_implILNS1_25lookback_scan_determinismE0ELb1ELb1ES3_N6thrust23THRUST_200600_302600_NS6detail15normal_iteratorINS9_10device_ptrIxEEEESE_xNS9_4plusIxEExEEDaPvRmT3_T4_T5_mT6_P12ihipStream_tbENKUlT_T0_E_clISt17integral_constantIbLb1EEST_IbLb0EEEEDaSP_SQ_EUlSP_E0_NS1_11comp_targetILNS1_3genE9ELNS1_11target_archE1100ELNS1_3gpuE3ELNS1_3repE0EEENS1_30default_config_static_selectorELNS0_4arch9wavefront6targetE1EEEvT1_,comdat
	.protected	_ZN7rocprim17ROCPRIM_400000_NS6detail17trampoline_kernelINS0_14default_configENS1_20scan_config_selectorIxEEZZNS1_9scan_implILNS1_25lookback_scan_determinismE0ELb1ELb1ES3_N6thrust23THRUST_200600_302600_NS6detail15normal_iteratorINS9_10device_ptrIxEEEESE_xNS9_4plusIxEExEEDaPvRmT3_T4_T5_mT6_P12ihipStream_tbENKUlT_T0_E_clISt17integral_constantIbLb1EEST_IbLb0EEEEDaSP_SQ_EUlSP_E0_NS1_11comp_targetILNS1_3genE9ELNS1_11target_archE1100ELNS1_3gpuE3ELNS1_3repE0EEENS1_30default_config_static_selectorELNS0_4arch9wavefront6targetE1EEEvT1_ ; -- Begin function _ZN7rocprim17ROCPRIM_400000_NS6detail17trampoline_kernelINS0_14default_configENS1_20scan_config_selectorIxEEZZNS1_9scan_implILNS1_25lookback_scan_determinismE0ELb1ELb1ES3_N6thrust23THRUST_200600_302600_NS6detail15normal_iteratorINS9_10device_ptrIxEEEESE_xNS9_4plusIxEExEEDaPvRmT3_T4_T5_mT6_P12ihipStream_tbENKUlT_T0_E_clISt17integral_constantIbLb1EEST_IbLb0EEEEDaSP_SQ_EUlSP_E0_NS1_11comp_targetILNS1_3genE9ELNS1_11target_archE1100ELNS1_3gpuE3ELNS1_3repE0EEENS1_30default_config_static_selectorELNS0_4arch9wavefront6targetE1EEEvT1_
	.globl	_ZN7rocprim17ROCPRIM_400000_NS6detail17trampoline_kernelINS0_14default_configENS1_20scan_config_selectorIxEEZZNS1_9scan_implILNS1_25lookback_scan_determinismE0ELb1ELb1ES3_N6thrust23THRUST_200600_302600_NS6detail15normal_iteratorINS9_10device_ptrIxEEEESE_xNS9_4plusIxEExEEDaPvRmT3_T4_T5_mT6_P12ihipStream_tbENKUlT_T0_E_clISt17integral_constantIbLb1EEST_IbLb0EEEEDaSP_SQ_EUlSP_E0_NS1_11comp_targetILNS1_3genE9ELNS1_11target_archE1100ELNS1_3gpuE3ELNS1_3repE0EEENS1_30default_config_static_selectorELNS0_4arch9wavefront6targetE1EEEvT1_
	.p2align	8
	.type	_ZN7rocprim17ROCPRIM_400000_NS6detail17trampoline_kernelINS0_14default_configENS1_20scan_config_selectorIxEEZZNS1_9scan_implILNS1_25lookback_scan_determinismE0ELb1ELb1ES3_N6thrust23THRUST_200600_302600_NS6detail15normal_iteratorINS9_10device_ptrIxEEEESE_xNS9_4plusIxEExEEDaPvRmT3_T4_T5_mT6_P12ihipStream_tbENKUlT_T0_E_clISt17integral_constantIbLb1EEST_IbLb0EEEEDaSP_SQ_EUlSP_E0_NS1_11comp_targetILNS1_3genE9ELNS1_11target_archE1100ELNS1_3gpuE3ELNS1_3repE0EEENS1_30default_config_static_selectorELNS0_4arch9wavefront6targetE1EEEvT1_,@function
_ZN7rocprim17ROCPRIM_400000_NS6detail17trampoline_kernelINS0_14default_configENS1_20scan_config_selectorIxEEZZNS1_9scan_implILNS1_25lookback_scan_determinismE0ELb1ELb1ES3_N6thrust23THRUST_200600_302600_NS6detail15normal_iteratorINS9_10device_ptrIxEEEESE_xNS9_4plusIxEExEEDaPvRmT3_T4_T5_mT6_P12ihipStream_tbENKUlT_T0_E_clISt17integral_constantIbLb1EEST_IbLb0EEEEDaSP_SQ_EUlSP_E0_NS1_11comp_targetILNS1_3genE9ELNS1_11target_archE1100ELNS1_3gpuE3ELNS1_3repE0EEENS1_30default_config_static_selectorELNS0_4arch9wavefront6targetE1EEEvT1_: ; @_ZN7rocprim17ROCPRIM_400000_NS6detail17trampoline_kernelINS0_14default_configENS1_20scan_config_selectorIxEEZZNS1_9scan_implILNS1_25lookback_scan_determinismE0ELb1ELb1ES3_N6thrust23THRUST_200600_302600_NS6detail15normal_iteratorINS9_10device_ptrIxEEEESE_xNS9_4plusIxEExEEDaPvRmT3_T4_T5_mT6_P12ihipStream_tbENKUlT_T0_E_clISt17integral_constantIbLb1EEST_IbLb0EEEEDaSP_SQ_EUlSP_E0_NS1_11comp_targetILNS1_3genE9ELNS1_11target_archE1100ELNS1_3gpuE3ELNS1_3repE0EEENS1_30default_config_static_selectorELNS0_4arch9wavefront6targetE1EEEvT1_
; %bb.0:
	.section	.rodata,"a",@progbits
	.p2align	6, 0x0
	.amdhsa_kernel _ZN7rocprim17ROCPRIM_400000_NS6detail17trampoline_kernelINS0_14default_configENS1_20scan_config_selectorIxEEZZNS1_9scan_implILNS1_25lookback_scan_determinismE0ELb1ELb1ES3_N6thrust23THRUST_200600_302600_NS6detail15normal_iteratorINS9_10device_ptrIxEEEESE_xNS9_4plusIxEExEEDaPvRmT3_T4_T5_mT6_P12ihipStream_tbENKUlT_T0_E_clISt17integral_constantIbLb1EEST_IbLb0EEEEDaSP_SQ_EUlSP_E0_NS1_11comp_targetILNS1_3genE9ELNS1_11target_archE1100ELNS1_3gpuE3ELNS1_3repE0EEENS1_30default_config_static_selectorELNS0_4arch9wavefront6targetE1EEEvT1_
		.amdhsa_group_segment_fixed_size 0
		.amdhsa_private_segment_fixed_size 0
		.amdhsa_kernarg_size 40
		.amdhsa_user_sgpr_count 6
		.amdhsa_user_sgpr_private_segment_buffer 1
		.amdhsa_user_sgpr_dispatch_ptr 0
		.amdhsa_user_sgpr_queue_ptr 0
		.amdhsa_user_sgpr_kernarg_segment_ptr 1
		.amdhsa_user_sgpr_dispatch_id 0
		.amdhsa_user_sgpr_flat_scratch_init 0
		.amdhsa_user_sgpr_kernarg_preload_length 0
		.amdhsa_user_sgpr_kernarg_preload_offset 0
		.amdhsa_user_sgpr_private_segment_size 0
		.amdhsa_uses_dynamic_stack 0
		.amdhsa_system_sgpr_private_segment_wavefront_offset 0
		.amdhsa_system_sgpr_workgroup_id_x 1
		.amdhsa_system_sgpr_workgroup_id_y 0
		.amdhsa_system_sgpr_workgroup_id_z 0
		.amdhsa_system_sgpr_workgroup_info 0
		.amdhsa_system_vgpr_workitem_id 0
		.amdhsa_next_free_vgpr 1
		.amdhsa_next_free_sgpr 0
		.amdhsa_accum_offset 4
		.amdhsa_reserve_vcc 0
		.amdhsa_reserve_flat_scratch 0
		.amdhsa_float_round_mode_32 0
		.amdhsa_float_round_mode_16_64 0
		.amdhsa_float_denorm_mode_32 3
		.amdhsa_float_denorm_mode_16_64 3
		.amdhsa_dx10_clamp 1
		.amdhsa_ieee_mode 1
		.amdhsa_fp16_overflow 0
		.amdhsa_tg_split 0
		.amdhsa_exception_fp_ieee_invalid_op 0
		.amdhsa_exception_fp_denorm_src 0
		.amdhsa_exception_fp_ieee_div_zero 0
		.amdhsa_exception_fp_ieee_overflow 0
		.amdhsa_exception_fp_ieee_underflow 0
		.amdhsa_exception_fp_ieee_inexact 0
		.amdhsa_exception_int_div_zero 0
	.end_amdhsa_kernel
	.section	.text._ZN7rocprim17ROCPRIM_400000_NS6detail17trampoline_kernelINS0_14default_configENS1_20scan_config_selectorIxEEZZNS1_9scan_implILNS1_25lookback_scan_determinismE0ELb1ELb1ES3_N6thrust23THRUST_200600_302600_NS6detail15normal_iteratorINS9_10device_ptrIxEEEESE_xNS9_4plusIxEExEEDaPvRmT3_T4_T5_mT6_P12ihipStream_tbENKUlT_T0_E_clISt17integral_constantIbLb1EEST_IbLb0EEEEDaSP_SQ_EUlSP_E0_NS1_11comp_targetILNS1_3genE9ELNS1_11target_archE1100ELNS1_3gpuE3ELNS1_3repE0EEENS1_30default_config_static_selectorELNS0_4arch9wavefront6targetE1EEEvT1_,"axG",@progbits,_ZN7rocprim17ROCPRIM_400000_NS6detail17trampoline_kernelINS0_14default_configENS1_20scan_config_selectorIxEEZZNS1_9scan_implILNS1_25lookback_scan_determinismE0ELb1ELb1ES3_N6thrust23THRUST_200600_302600_NS6detail15normal_iteratorINS9_10device_ptrIxEEEESE_xNS9_4plusIxEExEEDaPvRmT3_T4_T5_mT6_P12ihipStream_tbENKUlT_T0_E_clISt17integral_constantIbLb1EEST_IbLb0EEEEDaSP_SQ_EUlSP_E0_NS1_11comp_targetILNS1_3genE9ELNS1_11target_archE1100ELNS1_3gpuE3ELNS1_3repE0EEENS1_30default_config_static_selectorELNS0_4arch9wavefront6targetE1EEEvT1_,comdat
.Lfunc_end394:
	.size	_ZN7rocprim17ROCPRIM_400000_NS6detail17trampoline_kernelINS0_14default_configENS1_20scan_config_selectorIxEEZZNS1_9scan_implILNS1_25lookback_scan_determinismE0ELb1ELb1ES3_N6thrust23THRUST_200600_302600_NS6detail15normal_iteratorINS9_10device_ptrIxEEEESE_xNS9_4plusIxEExEEDaPvRmT3_T4_T5_mT6_P12ihipStream_tbENKUlT_T0_E_clISt17integral_constantIbLb1EEST_IbLb0EEEEDaSP_SQ_EUlSP_E0_NS1_11comp_targetILNS1_3genE9ELNS1_11target_archE1100ELNS1_3gpuE3ELNS1_3repE0EEENS1_30default_config_static_selectorELNS0_4arch9wavefront6targetE1EEEvT1_, .Lfunc_end394-_ZN7rocprim17ROCPRIM_400000_NS6detail17trampoline_kernelINS0_14default_configENS1_20scan_config_selectorIxEEZZNS1_9scan_implILNS1_25lookback_scan_determinismE0ELb1ELb1ES3_N6thrust23THRUST_200600_302600_NS6detail15normal_iteratorINS9_10device_ptrIxEEEESE_xNS9_4plusIxEExEEDaPvRmT3_T4_T5_mT6_P12ihipStream_tbENKUlT_T0_E_clISt17integral_constantIbLb1EEST_IbLb0EEEEDaSP_SQ_EUlSP_E0_NS1_11comp_targetILNS1_3genE9ELNS1_11target_archE1100ELNS1_3gpuE3ELNS1_3repE0EEENS1_30default_config_static_selectorELNS0_4arch9wavefront6targetE1EEEvT1_
                                        ; -- End function
	.section	.AMDGPU.csdata,"",@progbits
; Kernel info:
; codeLenInByte = 0
; NumSgprs: 4
; NumVgprs: 0
; NumAgprs: 0
; TotalNumVgprs: 0
; ScratchSize: 0
; MemoryBound: 0
; FloatMode: 240
; IeeeMode: 1
; LDSByteSize: 0 bytes/workgroup (compile time only)
; SGPRBlocks: 0
; VGPRBlocks: 0
; NumSGPRsForWavesPerEU: 4
; NumVGPRsForWavesPerEU: 1
; AccumOffset: 4
; Occupancy: 8
; WaveLimiterHint : 0
; COMPUTE_PGM_RSRC2:SCRATCH_EN: 0
; COMPUTE_PGM_RSRC2:USER_SGPR: 6
; COMPUTE_PGM_RSRC2:TRAP_HANDLER: 0
; COMPUTE_PGM_RSRC2:TGID_X_EN: 1
; COMPUTE_PGM_RSRC2:TGID_Y_EN: 0
; COMPUTE_PGM_RSRC2:TGID_Z_EN: 0
; COMPUTE_PGM_RSRC2:TIDIG_COMP_CNT: 0
; COMPUTE_PGM_RSRC3_GFX90A:ACCUM_OFFSET: 0
; COMPUTE_PGM_RSRC3_GFX90A:TG_SPLIT: 0
	.section	.text._ZN7rocprim17ROCPRIM_400000_NS6detail17trampoline_kernelINS0_14default_configENS1_20scan_config_selectorIxEEZZNS1_9scan_implILNS1_25lookback_scan_determinismE0ELb1ELb1ES3_N6thrust23THRUST_200600_302600_NS6detail15normal_iteratorINS9_10device_ptrIxEEEESE_xNS9_4plusIxEExEEDaPvRmT3_T4_T5_mT6_P12ihipStream_tbENKUlT_T0_E_clISt17integral_constantIbLb1EEST_IbLb0EEEEDaSP_SQ_EUlSP_E0_NS1_11comp_targetILNS1_3genE8ELNS1_11target_archE1030ELNS1_3gpuE2ELNS1_3repE0EEENS1_30default_config_static_selectorELNS0_4arch9wavefront6targetE1EEEvT1_,"axG",@progbits,_ZN7rocprim17ROCPRIM_400000_NS6detail17trampoline_kernelINS0_14default_configENS1_20scan_config_selectorIxEEZZNS1_9scan_implILNS1_25lookback_scan_determinismE0ELb1ELb1ES3_N6thrust23THRUST_200600_302600_NS6detail15normal_iteratorINS9_10device_ptrIxEEEESE_xNS9_4plusIxEExEEDaPvRmT3_T4_T5_mT6_P12ihipStream_tbENKUlT_T0_E_clISt17integral_constantIbLb1EEST_IbLb0EEEEDaSP_SQ_EUlSP_E0_NS1_11comp_targetILNS1_3genE8ELNS1_11target_archE1030ELNS1_3gpuE2ELNS1_3repE0EEENS1_30default_config_static_selectorELNS0_4arch9wavefront6targetE1EEEvT1_,comdat
	.protected	_ZN7rocprim17ROCPRIM_400000_NS6detail17trampoline_kernelINS0_14default_configENS1_20scan_config_selectorIxEEZZNS1_9scan_implILNS1_25lookback_scan_determinismE0ELb1ELb1ES3_N6thrust23THRUST_200600_302600_NS6detail15normal_iteratorINS9_10device_ptrIxEEEESE_xNS9_4plusIxEExEEDaPvRmT3_T4_T5_mT6_P12ihipStream_tbENKUlT_T0_E_clISt17integral_constantIbLb1EEST_IbLb0EEEEDaSP_SQ_EUlSP_E0_NS1_11comp_targetILNS1_3genE8ELNS1_11target_archE1030ELNS1_3gpuE2ELNS1_3repE0EEENS1_30default_config_static_selectorELNS0_4arch9wavefront6targetE1EEEvT1_ ; -- Begin function _ZN7rocprim17ROCPRIM_400000_NS6detail17trampoline_kernelINS0_14default_configENS1_20scan_config_selectorIxEEZZNS1_9scan_implILNS1_25lookback_scan_determinismE0ELb1ELb1ES3_N6thrust23THRUST_200600_302600_NS6detail15normal_iteratorINS9_10device_ptrIxEEEESE_xNS9_4plusIxEExEEDaPvRmT3_T4_T5_mT6_P12ihipStream_tbENKUlT_T0_E_clISt17integral_constantIbLb1EEST_IbLb0EEEEDaSP_SQ_EUlSP_E0_NS1_11comp_targetILNS1_3genE8ELNS1_11target_archE1030ELNS1_3gpuE2ELNS1_3repE0EEENS1_30default_config_static_selectorELNS0_4arch9wavefront6targetE1EEEvT1_
	.globl	_ZN7rocprim17ROCPRIM_400000_NS6detail17trampoline_kernelINS0_14default_configENS1_20scan_config_selectorIxEEZZNS1_9scan_implILNS1_25lookback_scan_determinismE0ELb1ELb1ES3_N6thrust23THRUST_200600_302600_NS6detail15normal_iteratorINS9_10device_ptrIxEEEESE_xNS9_4plusIxEExEEDaPvRmT3_T4_T5_mT6_P12ihipStream_tbENKUlT_T0_E_clISt17integral_constantIbLb1EEST_IbLb0EEEEDaSP_SQ_EUlSP_E0_NS1_11comp_targetILNS1_3genE8ELNS1_11target_archE1030ELNS1_3gpuE2ELNS1_3repE0EEENS1_30default_config_static_selectorELNS0_4arch9wavefront6targetE1EEEvT1_
	.p2align	8
	.type	_ZN7rocprim17ROCPRIM_400000_NS6detail17trampoline_kernelINS0_14default_configENS1_20scan_config_selectorIxEEZZNS1_9scan_implILNS1_25lookback_scan_determinismE0ELb1ELb1ES3_N6thrust23THRUST_200600_302600_NS6detail15normal_iteratorINS9_10device_ptrIxEEEESE_xNS9_4plusIxEExEEDaPvRmT3_T4_T5_mT6_P12ihipStream_tbENKUlT_T0_E_clISt17integral_constantIbLb1EEST_IbLb0EEEEDaSP_SQ_EUlSP_E0_NS1_11comp_targetILNS1_3genE8ELNS1_11target_archE1030ELNS1_3gpuE2ELNS1_3repE0EEENS1_30default_config_static_selectorELNS0_4arch9wavefront6targetE1EEEvT1_,@function
_ZN7rocprim17ROCPRIM_400000_NS6detail17trampoline_kernelINS0_14default_configENS1_20scan_config_selectorIxEEZZNS1_9scan_implILNS1_25lookback_scan_determinismE0ELb1ELb1ES3_N6thrust23THRUST_200600_302600_NS6detail15normal_iteratorINS9_10device_ptrIxEEEESE_xNS9_4plusIxEExEEDaPvRmT3_T4_T5_mT6_P12ihipStream_tbENKUlT_T0_E_clISt17integral_constantIbLb1EEST_IbLb0EEEEDaSP_SQ_EUlSP_E0_NS1_11comp_targetILNS1_3genE8ELNS1_11target_archE1030ELNS1_3gpuE2ELNS1_3repE0EEENS1_30default_config_static_selectorELNS0_4arch9wavefront6targetE1EEEvT1_: ; @_ZN7rocprim17ROCPRIM_400000_NS6detail17trampoline_kernelINS0_14default_configENS1_20scan_config_selectorIxEEZZNS1_9scan_implILNS1_25lookback_scan_determinismE0ELb1ELb1ES3_N6thrust23THRUST_200600_302600_NS6detail15normal_iteratorINS9_10device_ptrIxEEEESE_xNS9_4plusIxEExEEDaPvRmT3_T4_T5_mT6_P12ihipStream_tbENKUlT_T0_E_clISt17integral_constantIbLb1EEST_IbLb0EEEEDaSP_SQ_EUlSP_E0_NS1_11comp_targetILNS1_3genE8ELNS1_11target_archE1030ELNS1_3gpuE2ELNS1_3repE0EEENS1_30default_config_static_selectorELNS0_4arch9wavefront6targetE1EEEvT1_
; %bb.0:
	.section	.rodata,"a",@progbits
	.p2align	6, 0x0
	.amdhsa_kernel _ZN7rocprim17ROCPRIM_400000_NS6detail17trampoline_kernelINS0_14default_configENS1_20scan_config_selectorIxEEZZNS1_9scan_implILNS1_25lookback_scan_determinismE0ELb1ELb1ES3_N6thrust23THRUST_200600_302600_NS6detail15normal_iteratorINS9_10device_ptrIxEEEESE_xNS9_4plusIxEExEEDaPvRmT3_T4_T5_mT6_P12ihipStream_tbENKUlT_T0_E_clISt17integral_constantIbLb1EEST_IbLb0EEEEDaSP_SQ_EUlSP_E0_NS1_11comp_targetILNS1_3genE8ELNS1_11target_archE1030ELNS1_3gpuE2ELNS1_3repE0EEENS1_30default_config_static_selectorELNS0_4arch9wavefront6targetE1EEEvT1_
		.amdhsa_group_segment_fixed_size 0
		.amdhsa_private_segment_fixed_size 0
		.amdhsa_kernarg_size 40
		.amdhsa_user_sgpr_count 6
		.amdhsa_user_sgpr_private_segment_buffer 1
		.amdhsa_user_sgpr_dispatch_ptr 0
		.amdhsa_user_sgpr_queue_ptr 0
		.amdhsa_user_sgpr_kernarg_segment_ptr 1
		.amdhsa_user_sgpr_dispatch_id 0
		.amdhsa_user_sgpr_flat_scratch_init 0
		.amdhsa_user_sgpr_kernarg_preload_length 0
		.amdhsa_user_sgpr_kernarg_preload_offset 0
		.amdhsa_user_sgpr_private_segment_size 0
		.amdhsa_uses_dynamic_stack 0
		.amdhsa_system_sgpr_private_segment_wavefront_offset 0
		.amdhsa_system_sgpr_workgroup_id_x 1
		.amdhsa_system_sgpr_workgroup_id_y 0
		.amdhsa_system_sgpr_workgroup_id_z 0
		.amdhsa_system_sgpr_workgroup_info 0
		.amdhsa_system_vgpr_workitem_id 0
		.amdhsa_next_free_vgpr 1
		.amdhsa_next_free_sgpr 0
		.amdhsa_accum_offset 4
		.amdhsa_reserve_vcc 0
		.amdhsa_reserve_flat_scratch 0
		.amdhsa_float_round_mode_32 0
		.amdhsa_float_round_mode_16_64 0
		.amdhsa_float_denorm_mode_32 3
		.amdhsa_float_denorm_mode_16_64 3
		.amdhsa_dx10_clamp 1
		.amdhsa_ieee_mode 1
		.amdhsa_fp16_overflow 0
		.amdhsa_tg_split 0
		.amdhsa_exception_fp_ieee_invalid_op 0
		.amdhsa_exception_fp_denorm_src 0
		.amdhsa_exception_fp_ieee_div_zero 0
		.amdhsa_exception_fp_ieee_overflow 0
		.amdhsa_exception_fp_ieee_underflow 0
		.amdhsa_exception_fp_ieee_inexact 0
		.amdhsa_exception_int_div_zero 0
	.end_amdhsa_kernel
	.section	.text._ZN7rocprim17ROCPRIM_400000_NS6detail17trampoline_kernelINS0_14default_configENS1_20scan_config_selectorIxEEZZNS1_9scan_implILNS1_25lookback_scan_determinismE0ELb1ELb1ES3_N6thrust23THRUST_200600_302600_NS6detail15normal_iteratorINS9_10device_ptrIxEEEESE_xNS9_4plusIxEExEEDaPvRmT3_T4_T5_mT6_P12ihipStream_tbENKUlT_T0_E_clISt17integral_constantIbLb1EEST_IbLb0EEEEDaSP_SQ_EUlSP_E0_NS1_11comp_targetILNS1_3genE8ELNS1_11target_archE1030ELNS1_3gpuE2ELNS1_3repE0EEENS1_30default_config_static_selectorELNS0_4arch9wavefront6targetE1EEEvT1_,"axG",@progbits,_ZN7rocprim17ROCPRIM_400000_NS6detail17trampoline_kernelINS0_14default_configENS1_20scan_config_selectorIxEEZZNS1_9scan_implILNS1_25lookback_scan_determinismE0ELb1ELb1ES3_N6thrust23THRUST_200600_302600_NS6detail15normal_iteratorINS9_10device_ptrIxEEEESE_xNS9_4plusIxEExEEDaPvRmT3_T4_T5_mT6_P12ihipStream_tbENKUlT_T0_E_clISt17integral_constantIbLb1EEST_IbLb0EEEEDaSP_SQ_EUlSP_E0_NS1_11comp_targetILNS1_3genE8ELNS1_11target_archE1030ELNS1_3gpuE2ELNS1_3repE0EEENS1_30default_config_static_selectorELNS0_4arch9wavefront6targetE1EEEvT1_,comdat
.Lfunc_end395:
	.size	_ZN7rocprim17ROCPRIM_400000_NS6detail17trampoline_kernelINS0_14default_configENS1_20scan_config_selectorIxEEZZNS1_9scan_implILNS1_25lookback_scan_determinismE0ELb1ELb1ES3_N6thrust23THRUST_200600_302600_NS6detail15normal_iteratorINS9_10device_ptrIxEEEESE_xNS9_4plusIxEExEEDaPvRmT3_T4_T5_mT6_P12ihipStream_tbENKUlT_T0_E_clISt17integral_constantIbLb1EEST_IbLb0EEEEDaSP_SQ_EUlSP_E0_NS1_11comp_targetILNS1_3genE8ELNS1_11target_archE1030ELNS1_3gpuE2ELNS1_3repE0EEENS1_30default_config_static_selectorELNS0_4arch9wavefront6targetE1EEEvT1_, .Lfunc_end395-_ZN7rocprim17ROCPRIM_400000_NS6detail17trampoline_kernelINS0_14default_configENS1_20scan_config_selectorIxEEZZNS1_9scan_implILNS1_25lookback_scan_determinismE0ELb1ELb1ES3_N6thrust23THRUST_200600_302600_NS6detail15normal_iteratorINS9_10device_ptrIxEEEESE_xNS9_4plusIxEExEEDaPvRmT3_T4_T5_mT6_P12ihipStream_tbENKUlT_T0_E_clISt17integral_constantIbLb1EEST_IbLb0EEEEDaSP_SQ_EUlSP_E0_NS1_11comp_targetILNS1_3genE8ELNS1_11target_archE1030ELNS1_3gpuE2ELNS1_3repE0EEENS1_30default_config_static_selectorELNS0_4arch9wavefront6targetE1EEEvT1_
                                        ; -- End function
	.section	.AMDGPU.csdata,"",@progbits
; Kernel info:
; codeLenInByte = 0
; NumSgprs: 4
; NumVgprs: 0
; NumAgprs: 0
; TotalNumVgprs: 0
; ScratchSize: 0
; MemoryBound: 0
; FloatMode: 240
; IeeeMode: 1
; LDSByteSize: 0 bytes/workgroup (compile time only)
; SGPRBlocks: 0
; VGPRBlocks: 0
; NumSGPRsForWavesPerEU: 4
; NumVGPRsForWavesPerEU: 1
; AccumOffset: 4
; Occupancy: 8
; WaveLimiterHint : 0
; COMPUTE_PGM_RSRC2:SCRATCH_EN: 0
; COMPUTE_PGM_RSRC2:USER_SGPR: 6
; COMPUTE_PGM_RSRC2:TRAP_HANDLER: 0
; COMPUTE_PGM_RSRC2:TGID_X_EN: 1
; COMPUTE_PGM_RSRC2:TGID_Y_EN: 0
; COMPUTE_PGM_RSRC2:TGID_Z_EN: 0
; COMPUTE_PGM_RSRC2:TIDIG_COMP_CNT: 0
; COMPUTE_PGM_RSRC3_GFX90A:ACCUM_OFFSET: 0
; COMPUTE_PGM_RSRC3_GFX90A:TG_SPLIT: 0
	.section	.text._ZN7rocprim17ROCPRIM_400000_NS6detail17trampoline_kernelINS0_14default_configENS1_20scan_config_selectorIxEEZZNS1_9scan_implILNS1_25lookback_scan_determinismE0ELb1ELb1ES3_N6thrust23THRUST_200600_302600_NS6detail15normal_iteratorINS9_10device_ptrIxEEEESE_xNS9_4plusIxEExEEDaPvRmT3_T4_T5_mT6_P12ihipStream_tbENKUlT_T0_E_clISt17integral_constantIbLb0EEST_IbLb1EEEEDaSP_SQ_EUlSP_E_NS1_11comp_targetILNS1_3genE0ELNS1_11target_archE4294967295ELNS1_3gpuE0ELNS1_3repE0EEENS1_30default_config_static_selectorELNS0_4arch9wavefront6targetE1EEEvT1_,"axG",@progbits,_ZN7rocprim17ROCPRIM_400000_NS6detail17trampoline_kernelINS0_14default_configENS1_20scan_config_selectorIxEEZZNS1_9scan_implILNS1_25lookback_scan_determinismE0ELb1ELb1ES3_N6thrust23THRUST_200600_302600_NS6detail15normal_iteratorINS9_10device_ptrIxEEEESE_xNS9_4plusIxEExEEDaPvRmT3_T4_T5_mT6_P12ihipStream_tbENKUlT_T0_E_clISt17integral_constantIbLb0EEST_IbLb1EEEEDaSP_SQ_EUlSP_E_NS1_11comp_targetILNS1_3genE0ELNS1_11target_archE4294967295ELNS1_3gpuE0ELNS1_3repE0EEENS1_30default_config_static_selectorELNS0_4arch9wavefront6targetE1EEEvT1_,comdat
	.protected	_ZN7rocprim17ROCPRIM_400000_NS6detail17trampoline_kernelINS0_14default_configENS1_20scan_config_selectorIxEEZZNS1_9scan_implILNS1_25lookback_scan_determinismE0ELb1ELb1ES3_N6thrust23THRUST_200600_302600_NS6detail15normal_iteratorINS9_10device_ptrIxEEEESE_xNS9_4plusIxEExEEDaPvRmT3_T4_T5_mT6_P12ihipStream_tbENKUlT_T0_E_clISt17integral_constantIbLb0EEST_IbLb1EEEEDaSP_SQ_EUlSP_E_NS1_11comp_targetILNS1_3genE0ELNS1_11target_archE4294967295ELNS1_3gpuE0ELNS1_3repE0EEENS1_30default_config_static_selectorELNS0_4arch9wavefront6targetE1EEEvT1_ ; -- Begin function _ZN7rocprim17ROCPRIM_400000_NS6detail17trampoline_kernelINS0_14default_configENS1_20scan_config_selectorIxEEZZNS1_9scan_implILNS1_25lookback_scan_determinismE0ELb1ELb1ES3_N6thrust23THRUST_200600_302600_NS6detail15normal_iteratorINS9_10device_ptrIxEEEESE_xNS9_4plusIxEExEEDaPvRmT3_T4_T5_mT6_P12ihipStream_tbENKUlT_T0_E_clISt17integral_constantIbLb0EEST_IbLb1EEEEDaSP_SQ_EUlSP_E_NS1_11comp_targetILNS1_3genE0ELNS1_11target_archE4294967295ELNS1_3gpuE0ELNS1_3repE0EEENS1_30default_config_static_selectorELNS0_4arch9wavefront6targetE1EEEvT1_
	.globl	_ZN7rocprim17ROCPRIM_400000_NS6detail17trampoline_kernelINS0_14default_configENS1_20scan_config_selectorIxEEZZNS1_9scan_implILNS1_25lookback_scan_determinismE0ELb1ELb1ES3_N6thrust23THRUST_200600_302600_NS6detail15normal_iteratorINS9_10device_ptrIxEEEESE_xNS9_4plusIxEExEEDaPvRmT3_T4_T5_mT6_P12ihipStream_tbENKUlT_T0_E_clISt17integral_constantIbLb0EEST_IbLb1EEEEDaSP_SQ_EUlSP_E_NS1_11comp_targetILNS1_3genE0ELNS1_11target_archE4294967295ELNS1_3gpuE0ELNS1_3repE0EEENS1_30default_config_static_selectorELNS0_4arch9wavefront6targetE1EEEvT1_
	.p2align	8
	.type	_ZN7rocprim17ROCPRIM_400000_NS6detail17trampoline_kernelINS0_14default_configENS1_20scan_config_selectorIxEEZZNS1_9scan_implILNS1_25lookback_scan_determinismE0ELb1ELb1ES3_N6thrust23THRUST_200600_302600_NS6detail15normal_iteratorINS9_10device_ptrIxEEEESE_xNS9_4plusIxEExEEDaPvRmT3_T4_T5_mT6_P12ihipStream_tbENKUlT_T0_E_clISt17integral_constantIbLb0EEST_IbLb1EEEEDaSP_SQ_EUlSP_E_NS1_11comp_targetILNS1_3genE0ELNS1_11target_archE4294967295ELNS1_3gpuE0ELNS1_3repE0EEENS1_30default_config_static_selectorELNS0_4arch9wavefront6targetE1EEEvT1_,@function
_ZN7rocprim17ROCPRIM_400000_NS6detail17trampoline_kernelINS0_14default_configENS1_20scan_config_selectorIxEEZZNS1_9scan_implILNS1_25lookback_scan_determinismE0ELb1ELb1ES3_N6thrust23THRUST_200600_302600_NS6detail15normal_iteratorINS9_10device_ptrIxEEEESE_xNS9_4plusIxEExEEDaPvRmT3_T4_T5_mT6_P12ihipStream_tbENKUlT_T0_E_clISt17integral_constantIbLb0EEST_IbLb1EEEEDaSP_SQ_EUlSP_E_NS1_11comp_targetILNS1_3genE0ELNS1_11target_archE4294967295ELNS1_3gpuE0ELNS1_3repE0EEENS1_30default_config_static_selectorELNS0_4arch9wavefront6targetE1EEEvT1_: ; @_ZN7rocprim17ROCPRIM_400000_NS6detail17trampoline_kernelINS0_14default_configENS1_20scan_config_selectorIxEEZZNS1_9scan_implILNS1_25lookback_scan_determinismE0ELb1ELb1ES3_N6thrust23THRUST_200600_302600_NS6detail15normal_iteratorINS9_10device_ptrIxEEEESE_xNS9_4plusIxEExEEDaPvRmT3_T4_T5_mT6_P12ihipStream_tbENKUlT_T0_E_clISt17integral_constantIbLb0EEST_IbLb1EEEEDaSP_SQ_EUlSP_E_NS1_11comp_targetILNS1_3genE0ELNS1_11target_archE4294967295ELNS1_3gpuE0ELNS1_3repE0EEENS1_30default_config_static_selectorELNS0_4arch9wavefront6targetE1EEEvT1_
; %bb.0:
	.section	.rodata,"a",@progbits
	.p2align	6, 0x0
	.amdhsa_kernel _ZN7rocprim17ROCPRIM_400000_NS6detail17trampoline_kernelINS0_14default_configENS1_20scan_config_selectorIxEEZZNS1_9scan_implILNS1_25lookback_scan_determinismE0ELb1ELb1ES3_N6thrust23THRUST_200600_302600_NS6detail15normal_iteratorINS9_10device_ptrIxEEEESE_xNS9_4plusIxEExEEDaPvRmT3_T4_T5_mT6_P12ihipStream_tbENKUlT_T0_E_clISt17integral_constantIbLb0EEST_IbLb1EEEEDaSP_SQ_EUlSP_E_NS1_11comp_targetILNS1_3genE0ELNS1_11target_archE4294967295ELNS1_3gpuE0ELNS1_3repE0EEENS1_30default_config_static_selectorELNS0_4arch9wavefront6targetE1EEEvT1_
		.amdhsa_group_segment_fixed_size 0
		.amdhsa_private_segment_fixed_size 0
		.amdhsa_kernarg_size 104
		.amdhsa_user_sgpr_count 6
		.amdhsa_user_sgpr_private_segment_buffer 1
		.amdhsa_user_sgpr_dispatch_ptr 0
		.amdhsa_user_sgpr_queue_ptr 0
		.amdhsa_user_sgpr_kernarg_segment_ptr 1
		.amdhsa_user_sgpr_dispatch_id 0
		.amdhsa_user_sgpr_flat_scratch_init 0
		.amdhsa_user_sgpr_kernarg_preload_length 0
		.amdhsa_user_sgpr_kernarg_preload_offset 0
		.amdhsa_user_sgpr_private_segment_size 0
		.amdhsa_uses_dynamic_stack 0
		.amdhsa_system_sgpr_private_segment_wavefront_offset 0
		.amdhsa_system_sgpr_workgroup_id_x 1
		.amdhsa_system_sgpr_workgroup_id_y 0
		.amdhsa_system_sgpr_workgroup_id_z 0
		.amdhsa_system_sgpr_workgroup_info 0
		.amdhsa_system_vgpr_workitem_id 0
		.amdhsa_next_free_vgpr 1
		.amdhsa_next_free_sgpr 0
		.amdhsa_accum_offset 4
		.amdhsa_reserve_vcc 0
		.amdhsa_reserve_flat_scratch 0
		.amdhsa_float_round_mode_32 0
		.amdhsa_float_round_mode_16_64 0
		.amdhsa_float_denorm_mode_32 3
		.amdhsa_float_denorm_mode_16_64 3
		.amdhsa_dx10_clamp 1
		.amdhsa_ieee_mode 1
		.amdhsa_fp16_overflow 0
		.amdhsa_tg_split 0
		.amdhsa_exception_fp_ieee_invalid_op 0
		.amdhsa_exception_fp_denorm_src 0
		.amdhsa_exception_fp_ieee_div_zero 0
		.amdhsa_exception_fp_ieee_overflow 0
		.amdhsa_exception_fp_ieee_underflow 0
		.amdhsa_exception_fp_ieee_inexact 0
		.amdhsa_exception_int_div_zero 0
	.end_amdhsa_kernel
	.section	.text._ZN7rocprim17ROCPRIM_400000_NS6detail17trampoline_kernelINS0_14default_configENS1_20scan_config_selectorIxEEZZNS1_9scan_implILNS1_25lookback_scan_determinismE0ELb1ELb1ES3_N6thrust23THRUST_200600_302600_NS6detail15normal_iteratorINS9_10device_ptrIxEEEESE_xNS9_4plusIxEExEEDaPvRmT3_T4_T5_mT6_P12ihipStream_tbENKUlT_T0_E_clISt17integral_constantIbLb0EEST_IbLb1EEEEDaSP_SQ_EUlSP_E_NS1_11comp_targetILNS1_3genE0ELNS1_11target_archE4294967295ELNS1_3gpuE0ELNS1_3repE0EEENS1_30default_config_static_selectorELNS0_4arch9wavefront6targetE1EEEvT1_,"axG",@progbits,_ZN7rocprim17ROCPRIM_400000_NS6detail17trampoline_kernelINS0_14default_configENS1_20scan_config_selectorIxEEZZNS1_9scan_implILNS1_25lookback_scan_determinismE0ELb1ELb1ES3_N6thrust23THRUST_200600_302600_NS6detail15normal_iteratorINS9_10device_ptrIxEEEESE_xNS9_4plusIxEExEEDaPvRmT3_T4_T5_mT6_P12ihipStream_tbENKUlT_T0_E_clISt17integral_constantIbLb0EEST_IbLb1EEEEDaSP_SQ_EUlSP_E_NS1_11comp_targetILNS1_3genE0ELNS1_11target_archE4294967295ELNS1_3gpuE0ELNS1_3repE0EEENS1_30default_config_static_selectorELNS0_4arch9wavefront6targetE1EEEvT1_,comdat
.Lfunc_end396:
	.size	_ZN7rocprim17ROCPRIM_400000_NS6detail17trampoline_kernelINS0_14default_configENS1_20scan_config_selectorIxEEZZNS1_9scan_implILNS1_25lookback_scan_determinismE0ELb1ELb1ES3_N6thrust23THRUST_200600_302600_NS6detail15normal_iteratorINS9_10device_ptrIxEEEESE_xNS9_4plusIxEExEEDaPvRmT3_T4_T5_mT6_P12ihipStream_tbENKUlT_T0_E_clISt17integral_constantIbLb0EEST_IbLb1EEEEDaSP_SQ_EUlSP_E_NS1_11comp_targetILNS1_3genE0ELNS1_11target_archE4294967295ELNS1_3gpuE0ELNS1_3repE0EEENS1_30default_config_static_selectorELNS0_4arch9wavefront6targetE1EEEvT1_, .Lfunc_end396-_ZN7rocprim17ROCPRIM_400000_NS6detail17trampoline_kernelINS0_14default_configENS1_20scan_config_selectorIxEEZZNS1_9scan_implILNS1_25lookback_scan_determinismE0ELb1ELb1ES3_N6thrust23THRUST_200600_302600_NS6detail15normal_iteratorINS9_10device_ptrIxEEEESE_xNS9_4plusIxEExEEDaPvRmT3_T4_T5_mT6_P12ihipStream_tbENKUlT_T0_E_clISt17integral_constantIbLb0EEST_IbLb1EEEEDaSP_SQ_EUlSP_E_NS1_11comp_targetILNS1_3genE0ELNS1_11target_archE4294967295ELNS1_3gpuE0ELNS1_3repE0EEENS1_30default_config_static_selectorELNS0_4arch9wavefront6targetE1EEEvT1_
                                        ; -- End function
	.section	.AMDGPU.csdata,"",@progbits
; Kernel info:
; codeLenInByte = 0
; NumSgprs: 4
; NumVgprs: 0
; NumAgprs: 0
; TotalNumVgprs: 0
; ScratchSize: 0
; MemoryBound: 0
; FloatMode: 240
; IeeeMode: 1
; LDSByteSize: 0 bytes/workgroup (compile time only)
; SGPRBlocks: 0
; VGPRBlocks: 0
; NumSGPRsForWavesPerEU: 4
; NumVGPRsForWavesPerEU: 1
; AccumOffset: 4
; Occupancy: 8
; WaveLimiterHint : 0
; COMPUTE_PGM_RSRC2:SCRATCH_EN: 0
; COMPUTE_PGM_RSRC2:USER_SGPR: 6
; COMPUTE_PGM_RSRC2:TRAP_HANDLER: 0
; COMPUTE_PGM_RSRC2:TGID_X_EN: 1
; COMPUTE_PGM_RSRC2:TGID_Y_EN: 0
; COMPUTE_PGM_RSRC2:TGID_Z_EN: 0
; COMPUTE_PGM_RSRC2:TIDIG_COMP_CNT: 0
; COMPUTE_PGM_RSRC3_GFX90A:ACCUM_OFFSET: 0
; COMPUTE_PGM_RSRC3_GFX90A:TG_SPLIT: 0
	.section	.text._ZN7rocprim17ROCPRIM_400000_NS6detail17trampoline_kernelINS0_14default_configENS1_20scan_config_selectorIxEEZZNS1_9scan_implILNS1_25lookback_scan_determinismE0ELb1ELb1ES3_N6thrust23THRUST_200600_302600_NS6detail15normal_iteratorINS9_10device_ptrIxEEEESE_xNS9_4plusIxEExEEDaPvRmT3_T4_T5_mT6_P12ihipStream_tbENKUlT_T0_E_clISt17integral_constantIbLb0EEST_IbLb1EEEEDaSP_SQ_EUlSP_E_NS1_11comp_targetILNS1_3genE5ELNS1_11target_archE942ELNS1_3gpuE9ELNS1_3repE0EEENS1_30default_config_static_selectorELNS0_4arch9wavefront6targetE1EEEvT1_,"axG",@progbits,_ZN7rocprim17ROCPRIM_400000_NS6detail17trampoline_kernelINS0_14default_configENS1_20scan_config_selectorIxEEZZNS1_9scan_implILNS1_25lookback_scan_determinismE0ELb1ELb1ES3_N6thrust23THRUST_200600_302600_NS6detail15normal_iteratorINS9_10device_ptrIxEEEESE_xNS9_4plusIxEExEEDaPvRmT3_T4_T5_mT6_P12ihipStream_tbENKUlT_T0_E_clISt17integral_constantIbLb0EEST_IbLb1EEEEDaSP_SQ_EUlSP_E_NS1_11comp_targetILNS1_3genE5ELNS1_11target_archE942ELNS1_3gpuE9ELNS1_3repE0EEENS1_30default_config_static_selectorELNS0_4arch9wavefront6targetE1EEEvT1_,comdat
	.protected	_ZN7rocprim17ROCPRIM_400000_NS6detail17trampoline_kernelINS0_14default_configENS1_20scan_config_selectorIxEEZZNS1_9scan_implILNS1_25lookback_scan_determinismE0ELb1ELb1ES3_N6thrust23THRUST_200600_302600_NS6detail15normal_iteratorINS9_10device_ptrIxEEEESE_xNS9_4plusIxEExEEDaPvRmT3_T4_T5_mT6_P12ihipStream_tbENKUlT_T0_E_clISt17integral_constantIbLb0EEST_IbLb1EEEEDaSP_SQ_EUlSP_E_NS1_11comp_targetILNS1_3genE5ELNS1_11target_archE942ELNS1_3gpuE9ELNS1_3repE0EEENS1_30default_config_static_selectorELNS0_4arch9wavefront6targetE1EEEvT1_ ; -- Begin function _ZN7rocprim17ROCPRIM_400000_NS6detail17trampoline_kernelINS0_14default_configENS1_20scan_config_selectorIxEEZZNS1_9scan_implILNS1_25lookback_scan_determinismE0ELb1ELb1ES3_N6thrust23THRUST_200600_302600_NS6detail15normal_iteratorINS9_10device_ptrIxEEEESE_xNS9_4plusIxEExEEDaPvRmT3_T4_T5_mT6_P12ihipStream_tbENKUlT_T0_E_clISt17integral_constantIbLb0EEST_IbLb1EEEEDaSP_SQ_EUlSP_E_NS1_11comp_targetILNS1_3genE5ELNS1_11target_archE942ELNS1_3gpuE9ELNS1_3repE0EEENS1_30default_config_static_selectorELNS0_4arch9wavefront6targetE1EEEvT1_
	.globl	_ZN7rocprim17ROCPRIM_400000_NS6detail17trampoline_kernelINS0_14default_configENS1_20scan_config_selectorIxEEZZNS1_9scan_implILNS1_25lookback_scan_determinismE0ELb1ELb1ES3_N6thrust23THRUST_200600_302600_NS6detail15normal_iteratorINS9_10device_ptrIxEEEESE_xNS9_4plusIxEExEEDaPvRmT3_T4_T5_mT6_P12ihipStream_tbENKUlT_T0_E_clISt17integral_constantIbLb0EEST_IbLb1EEEEDaSP_SQ_EUlSP_E_NS1_11comp_targetILNS1_3genE5ELNS1_11target_archE942ELNS1_3gpuE9ELNS1_3repE0EEENS1_30default_config_static_selectorELNS0_4arch9wavefront6targetE1EEEvT1_
	.p2align	8
	.type	_ZN7rocprim17ROCPRIM_400000_NS6detail17trampoline_kernelINS0_14default_configENS1_20scan_config_selectorIxEEZZNS1_9scan_implILNS1_25lookback_scan_determinismE0ELb1ELb1ES3_N6thrust23THRUST_200600_302600_NS6detail15normal_iteratorINS9_10device_ptrIxEEEESE_xNS9_4plusIxEExEEDaPvRmT3_T4_T5_mT6_P12ihipStream_tbENKUlT_T0_E_clISt17integral_constantIbLb0EEST_IbLb1EEEEDaSP_SQ_EUlSP_E_NS1_11comp_targetILNS1_3genE5ELNS1_11target_archE942ELNS1_3gpuE9ELNS1_3repE0EEENS1_30default_config_static_selectorELNS0_4arch9wavefront6targetE1EEEvT1_,@function
_ZN7rocprim17ROCPRIM_400000_NS6detail17trampoline_kernelINS0_14default_configENS1_20scan_config_selectorIxEEZZNS1_9scan_implILNS1_25lookback_scan_determinismE0ELb1ELb1ES3_N6thrust23THRUST_200600_302600_NS6detail15normal_iteratorINS9_10device_ptrIxEEEESE_xNS9_4plusIxEExEEDaPvRmT3_T4_T5_mT6_P12ihipStream_tbENKUlT_T0_E_clISt17integral_constantIbLb0EEST_IbLb1EEEEDaSP_SQ_EUlSP_E_NS1_11comp_targetILNS1_3genE5ELNS1_11target_archE942ELNS1_3gpuE9ELNS1_3repE0EEENS1_30default_config_static_selectorELNS0_4arch9wavefront6targetE1EEEvT1_: ; @_ZN7rocprim17ROCPRIM_400000_NS6detail17trampoline_kernelINS0_14default_configENS1_20scan_config_selectorIxEEZZNS1_9scan_implILNS1_25lookback_scan_determinismE0ELb1ELb1ES3_N6thrust23THRUST_200600_302600_NS6detail15normal_iteratorINS9_10device_ptrIxEEEESE_xNS9_4plusIxEExEEDaPvRmT3_T4_T5_mT6_P12ihipStream_tbENKUlT_T0_E_clISt17integral_constantIbLb0EEST_IbLb1EEEEDaSP_SQ_EUlSP_E_NS1_11comp_targetILNS1_3genE5ELNS1_11target_archE942ELNS1_3gpuE9ELNS1_3repE0EEENS1_30default_config_static_selectorELNS0_4arch9wavefront6targetE1EEEvT1_
; %bb.0:
	.section	.rodata,"a",@progbits
	.p2align	6, 0x0
	.amdhsa_kernel _ZN7rocprim17ROCPRIM_400000_NS6detail17trampoline_kernelINS0_14default_configENS1_20scan_config_selectorIxEEZZNS1_9scan_implILNS1_25lookback_scan_determinismE0ELb1ELb1ES3_N6thrust23THRUST_200600_302600_NS6detail15normal_iteratorINS9_10device_ptrIxEEEESE_xNS9_4plusIxEExEEDaPvRmT3_T4_T5_mT6_P12ihipStream_tbENKUlT_T0_E_clISt17integral_constantIbLb0EEST_IbLb1EEEEDaSP_SQ_EUlSP_E_NS1_11comp_targetILNS1_3genE5ELNS1_11target_archE942ELNS1_3gpuE9ELNS1_3repE0EEENS1_30default_config_static_selectorELNS0_4arch9wavefront6targetE1EEEvT1_
		.amdhsa_group_segment_fixed_size 0
		.amdhsa_private_segment_fixed_size 0
		.amdhsa_kernarg_size 104
		.amdhsa_user_sgpr_count 6
		.amdhsa_user_sgpr_private_segment_buffer 1
		.amdhsa_user_sgpr_dispatch_ptr 0
		.amdhsa_user_sgpr_queue_ptr 0
		.amdhsa_user_sgpr_kernarg_segment_ptr 1
		.amdhsa_user_sgpr_dispatch_id 0
		.amdhsa_user_sgpr_flat_scratch_init 0
		.amdhsa_user_sgpr_kernarg_preload_length 0
		.amdhsa_user_sgpr_kernarg_preload_offset 0
		.amdhsa_user_sgpr_private_segment_size 0
		.amdhsa_uses_dynamic_stack 0
		.amdhsa_system_sgpr_private_segment_wavefront_offset 0
		.amdhsa_system_sgpr_workgroup_id_x 1
		.amdhsa_system_sgpr_workgroup_id_y 0
		.amdhsa_system_sgpr_workgroup_id_z 0
		.amdhsa_system_sgpr_workgroup_info 0
		.amdhsa_system_vgpr_workitem_id 0
		.amdhsa_next_free_vgpr 1
		.amdhsa_next_free_sgpr 0
		.amdhsa_accum_offset 4
		.amdhsa_reserve_vcc 0
		.amdhsa_reserve_flat_scratch 0
		.amdhsa_float_round_mode_32 0
		.amdhsa_float_round_mode_16_64 0
		.amdhsa_float_denorm_mode_32 3
		.amdhsa_float_denorm_mode_16_64 3
		.amdhsa_dx10_clamp 1
		.amdhsa_ieee_mode 1
		.amdhsa_fp16_overflow 0
		.amdhsa_tg_split 0
		.amdhsa_exception_fp_ieee_invalid_op 0
		.amdhsa_exception_fp_denorm_src 0
		.amdhsa_exception_fp_ieee_div_zero 0
		.amdhsa_exception_fp_ieee_overflow 0
		.amdhsa_exception_fp_ieee_underflow 0
		.amdhsa_exception_fp_ieee_inexact 0
		.amdhsa_exception_int_div_zero 0
	.end_amdhsa_kernel
	.section	.text._ZN7rocprim17ROCPRIM_400000_NS6detail17trampoline_kernelINS0_14default_configENS1_20scan_config_selectorIxEEZZNS1_9scan_implILNS1_25lookback_scan_determinismE0ELb1ELb1ES3_N6thrust23THRUST_200600_302600_NS6detail15normal_iteratorINS9_10device_ptrIxEEEESE_xNS9_4plusIxEExEEDaPvRmT3_T4_T5_mT6_P12ihipStream_tbENKUlT_T0_E_clISt17integral_constantIbLb0EEST_IbLb1EEEEDaSP_SQ_EUlSP_E_NS1_11comp_targetILNS1_3genE5ELNS1_11target_archE942ELNS1_3gpuE9ELNS1_3repE0EEENS1_30default_config_static_selectorELNS0_4arch9wavefront6targetE1EEEvT1_,"axG",@progbits,_ZN7rocprim17ROCPRIM_400000_NS6detail17trampoline_kernelINS0_14default_configENS1_20scan_config_selectorIxEEZZNS1_9scan_implILNS1_25lookback_scan_determinismE0ELb1ELb1ES3_N6thrust23THRUST_200600_302600_NS6detail15normal_iteratorINS9_10device_ptrIxEEEESE_xNS9_4plusIxEExEEDaPvRmT3_T4_T5_mT6_P12ihipStream_tbENKUlT_T0_E_clISt17integral_constantIbLb0EEST_IbLb1EEEEDaSP_SQ_EUlSP_E_NS1_11comp_targetILNS1_3genE5ELNS1_11target_archE942ELNS1_3gpuE9ELNS1_3repE0EEENS1_30default_config_static_selectorELNS0_4arch9wavefront6targetE1EEEvT1_,comdat
.Lfunc_end397:
	.size	_ZN7rocprim17ROCPRIM_400000_NS6detail17trampoline_kernelINS0_14default_configENS1_20scan_config_selectorIxEEZZNS1_9scan_implILNS1_25lookback_scan_determinismE0ELb1ELb1ES3_N6thrust23THRUST_200600_302600_NS6detail15normal_iteratorINS9_10device_ptrIxEEEESE_xNS9_4plusIxEExEEDaPvRmT3_T4_T5_mT6_P12ihipStream_tbENKUlT_T0_E_clISt17integral_constantIbLb0EEST_IbLb1EEEEDaSP_SQ_EUlSP_E_NS1_11comp_targetILNS1_3genE5ELNS1_11target_archE942ELNS1_3gpuE9ELNS1_3repE0EEENS1_30default_config_static_selectorELNS0_4arch9wavefront6targetE1EEEvT1_, .Lfunc_end397-_ZN7rocprim17ROCPRIM_400000_NS6detail17trampoline_kernelINS0_14default_configENS1_20scan_config_selectorIxEEZZNS1_9scan_implILNS1_25lookback_scan_determinismE0ELb1ELb1ES3_N6thrust23THRUST_200600_302600_NS6detail15normal_iteratorINS9_10device_ptrIxEEEESE_xNS9_4plusIxEExEEDaPvRmT3_T4_T5_mT6_P12ihipStream_tbENKUlT_T0_E_clISt17integral_constantIbLb0EEST_IbLb1EEEEDaSP_SQ_EUlSP_E_NS1_11comp_targetILNS1_3genE5ELNS1_11target_archE942ELNS1_3gpuE9ELNS1_3repE0EEENS1_30default_config_static_selectorELNS0_4arch9wavefront6targetE1EEEvT1_
                                        ; -- End function
	.section	.AMDGPU.csdata,"",@progbits
; Kernel info:
; codeLenInByte = 0
; NumSgprs: 4
; NumVgprs: 0
; NumAgprs: 0
; TotalNumVgprs: 0
; ScratchSize: 0
; MemoryBound: 0
; FloatMode: 240
; IeeeMode: 1
; LDSByteSize: 0 bytes/workgroup (compile time only)
; SGPRBlocks: 0
; VGPRBlocks: 0
; NumSGPRsForWavesPerEU: 4
; NumVGPRsForWavesPerEU: 1
; AccumOffset: 4
; Occupancy: 8
; WaveLimiterHint : 0
; COMPUTE_PGM_RSRC2:SCRATCH_EN: 0
; COMPUTE_PGM_RSRC2:USER_SGPR: 6
; COMPUTE_PGM_RSRC2:TRAP_HANDLER: 0
; COMPUTE_PGM_RSRC2:TGID_X_EN: 1
; COMPUTE_PGM_RSRC2:TGID_Y_EN: 0
; COMPUTE_PGM_RSRC2:TGID_Z_EN: 0
; COMPUTE_PGM_RSRC2:TIDIG_COMP_CNT: 0
; COMPUTE_PGM_RSRC3_GFX90A:ACCUM_OFFSET: 0
; COMPUTE_PGM_RSRC3_GFX90A:TG_SPLIT: 0
	.section	.text._ZN7rocprim17ROCPRIM_400000_NS6detail17trampoline_kernelINS0_14default_configENS1_20scan_config_selectorIxEEZZNS1_9scan_implILNS1_25lookback_scan_determinismE0ELb1ELb1ES3_N6thrust23THRUST_200600_302600_NS6detail15normal_iteratorINS9_10device_ptrIxEEEESE_xNS9_4plusIxEExEEDaPvRmT3_T4_T5_mT6_P12ihipStream_tbENKUlT_T0_E_clISt17integral_constantIbLb0EEST_IbLb1EEEEDaSP_SQ_EUlSP_E_NS1_11comp_targetILNS1_3genE4ELNS1_11target_archE910ELNS1_3gpuE8ELNS1_3repE0EEENS1_30default_config_static_selectorELNS0_4arch9wavefront6targetE1EEEvT1_,"axG",@progbits,_ZN7rocprim17ROCPRIM_400000_NS6detail17trampoline_kernelINS0_14default_configENS1_20scan_config_selectorIxEEZZNS1_9scan_implILNS1_25lookback_scan_determinismE0ELb1ELb1ES3_N6thrust23THRUST_200600_302600_NS6detail15normal_iteratorINS9_10device_ptrIxEEEESE_xNS9_4plusIxEExEEDaPvRmT3_T4_T5_mT6_P12ihipStream_tbENKUlT_T0_E_clISt17integral_constantIbLb0EEST_IbLb1EEEEDaSP_SQ_EUlSP_E_NS1_11comp_targetILNS1_3genE4ELNS1_11target_archE910ELNS1_3gpuE8ELNS1_3repE0EEENS1_30default_config_static_selectorELNS0_4arch9wavefront6targetE1EEEvT1_,comdat
	.protected	_ZN7rocprim17ROCPRIM_400000_NS6detail17trampoline_kernelINS0_14default_configENS1_20scan_config_selectorIxEEZZNS1_9scan_implILNS1_25lookback_scan_determinismE0ELb1ELb1ES3_N6thrust23THRUST_200600_302600_NS6detail15normal_iteratorINS9_10device_ptrIxEEEESE_xNS9_4plusIxEExEEDaPvRmT3_T4_T5_mT6_P12ihipStream_tbENKUlT_T0_E_clISt17integral_constantIbLb0EEST_IbLb1EEEEDaSP_SQ_EUlSP_E_NS1_11comp_targetILNS1_3genE4ELNS1_11target_archE910ELNS1_3gpuE8ELNS1_3repE0EEENS1_30default_config_static_selectorELNS0_4arch9wavefront6targetE1EEEvT1_ ; -- Begin function _ZN7rocprim17ROCPRIM_400000_NS6detail17trampoline_kernelINS0_14default_configENS1_20scan_config_selectorIxEEZZNS1_9scan_implILNS1_25lookback_scan_determinismE0ELb1ELb1ES3_N6thrust23THRUST_200600_302600_NS6detail15normal_iteratorINS9_10device_ptrIxEEEESE_xNS9_4plusIxEExEEDaPvRmT3_T4_T5_mT6_P12ihipStream_tbENKUlT_T0_E_clISt17integral_constantIbLb0EEST_IbLb1EEEEDaSP_SQ_EUlSP_E_NS1_11comp_targetILNS1_3genE4ELNS1_11target_archE910ELNS1_3gpuE8ELNS1_3repE0EEENS1_30default_config_static_selectorELNS0_4arch9wavefront6targetE1EEEvT1_
	.globl	_ZN7rocprim17ROCPRIM_400000_NS6detail17trampoline_kernelINS0_14default_configENS1_20scan_config_selectorIxEEZZNS1_9scan_implILNS1_25lookback_scan_determinismE0ELb1ELb1ES3_N6thrust23THRUST_200600_302600_NS6detail15normal_iteratorINS9_10device_ptrIxEEEESE_xNS9_4plusIxEExEEDaPvRmT3_T4_T5_mT6_P12ihipStream_tbENKUlT_T0_E_clISt17integral_constantIbLb0EEST_IbLb1EEEEDaSP_SQ_EUlSP_E_NS1_11comp_targetILNS1_3genE4ELNS1_11target_archE910ELNS1_3gpuE8ELNS1_3repE0EEENS1_30default_config_static_selectorELNS0_4arch9wavefront6targetE1EEEvT1_
	.p2align	8
	.type	_ZN7rocprim17ROCPRIM_400000_NS6detail17trampoline_kernelINS0_14default_configENS1_20scan_config_selectorIxEEZZNS1_9scan_implILNS1_25lookback_scan_determinismE0ELb1ELb1ES3_N6thrust23THRUST_200600_302600_NS6detail15normal_iteratorINS9_10device_ptrIxEEEESE_xNS9_4plusIxEExEEDaPvRmT3_T4_T5_mT6_P12ihipStream_tbENKUlT_T0_E_clISt17integral_constantIbLb0EEST_IbLb1EEEEDaSP_SQ_EUlSP_E_NS1_11comp_targetILNS1_3genE4ELNS1_11target_archE910ELNS1_3gpuE8ELNS1_3repE0EEENS1_30default_config_static_selectorELNS0_4arch9wavefront6targetE1EEEvT1_,@function
_ZN7rocprim17ROCPRIM_400000_NS6detail17trampoline_kernelINS0_14default_configENS1_20scan_config_selectorIxEEZZNS1_9scan_implILNS1_25lookback_scan_determinismE0ELb1ELb1ES3_N6thrust23THRUST_200600_302600_NS6detail15normal_iteratorINS9_10device_ptrIxEEEESE_xNS9_4plusIxEExEEDaPvRmT3_T4_T5_mT6_P12ihipStream_tbENKUlT_T0_E_clISt17integral_constantIbLb0EEST_IbLb1EEEEDaSP_SQ_EUlSP_E_NS1_11comp_targetILNS1_3genE4ELNS1_11target_archE910ELNS1_3gpuE8ELNS1_3repE0EEENS1_30default_config_static_selectorELNS0_4arch9wavefront6targetE1EEEvT1_: ; @_ZN7rocprim17ROCPRIM_400000_NS6detail17trampoline_kernelINS0_14default_configENS1_20scan_config_selectorIxEEZZNS1_9scan_implILNS1_25lookback_scan_determinismE0ELb1ELb1ES3_N6thrust23THRUST_200600_302600_NS6detail15normal_iteratorINS9_10device_ptrIxEEEESE_xNS9_4plusIxEExEEDaPvRmT3_T4_T5_mT6_P12ihipStream_tbENKUlT_T0_E_clISt17integral_constantIbLb0EEST_IbLb1EEEEDaSP_SQ_EUlSP_E_NS1_11comp_targetILNS1_3genE4ELNS1_11target_archE910ELNS1_3gpuE8ELNS1_3repE0EEENS1_30default_config_static_selectorELNS0_4arch9wavefront6targetE1EEEvT1_
; %bb.0:
	s_load_dwordx8 s[20:27], s[4:5], 0x0
	s_load_dwordx2 s[28:29], s[4:5], 0x20
	s_load_dwordx2 s[10:11], s[4:5], 0x30
	v_cmp_ne_u32_e64 s[2:3], 0, v0
	v_cmp_eq_u32_e64 s[0:1], 0, v0
	s_and_saveexec_b64 s[6:7], s[0:1]
	s_cbranch_execz .LBB398_4
; %bb.1:
	s_mov_b64 s[12:13], exec
	v_mbcnt_lo_u32_b32 v1, s12, 0
	v_mbcnt_hi_u32_b32 v1, s13, v1
	v_cmp_eq_u32_e32 vcc, 0, v1
                                        ; implicit-def: $vgpr2
	s_and_saveexec_b64 s[8:9], vcc
	s_cbranch_execz .LBB398_3
; %bb.2:
	s_load_dwordx2 s[14:15], s[4:5], 0x60
	s_bcnt1_i32_b64 s12, s[12:13]
	v_mov_b32_e32 v2, 0
	v_mov_b32_e32 v3, s12
	s_waitcnt lgkmcnt(0)
	global_atomic_add v2, v2, v3, s[14:15] glc
.LBB398_3:
	s_or_b64 exec, exec, s[8:9]
	s_waitcnt vmcnt(0)
	v_readfirstlane_b32 s8, v2
	v_add_u32_e32 v1, s8, v1
	v_mov_b32_e32 v2, 0
	ds_write_b32 v2, v1
.LBB398_4:
	s_or_b64 exec, exec, s[6:7]
	s_load_dword s6, s[4:5], 0x38
	s_load_dwordx8 s[12:19], s[4:5], 0x40
	v_mov_b32_e32 v1, 0
	s_waitcnt lgkmcnt(0)
	s_barrier
	ds_read_b32 v1, v1
	s_lshl_b64 s[22:23], s[22:23], 3
	s_add_u32 s35, s20, s22
	s_addc_u32 s36, s21, s23
	s_add_i32 s6, s6, -1
	s_mul_i32 s7, s6, 0x380
	s_sub_u32 s33, s26, s7
	s_waitcnt lgkmcnt(0)
	v_readfirstlane_b32 s37, v1
	s_subb_u32 s34, s27, 0
	s_mul_i32 s4, s37, 0x380
	s_mov_b32 s5, 0
	s_cmp_lg_u32 s37, s6
	s_cselect_b64 s[20:21], -1, 0
	s_lshl_b64 s[26:27], s[4:5], 3
	s_add_u32 s6, s35, s26
	s_addc_u32 s7, s36, s27
	s_mov_b64 s[4:5], -1
	s_and_b64 vcc, exec, s[20:21]
	v_lshlrev_b32_e32 v36, 3, v0
	s_barrier
	s_cbranch_vccz .LBB398_6
; %bb.5:
	v_mov_b32_e32 v1, s7
	v_add_co_u32_e32 v2, vcc, s6, v36
	v_addc_co_u32_e32 v3, vcc, 0, v1, vcc
	flat_load_dwordx2 v[4:5], v[2:3]
	flat_load_dwordx2 v[6:7], v[2:3] offset:1024
	flat_load_dwordx2 v[8:9], v[2:3] offset:2048
	flat_load_dwordx2 v[10:11], v[2:3] offset:3072
	v_add_co_u32_e32 v2, vcc, 0x1000, v2
	v_addc_co_u32_e32 v3, vcc, 0, v3, vcc
	flat_load_dwordx2 v[12:13], v[2:3]
	flat_load_dwordx2 v[14:15], v[2:3] offset:1024
	flat_load_dwordx2 v[16:17], v[2:3] offset:2048
	s_mov_b64 s[4:5], 0
	s_waitcnt vmcnt(0) lgkmcnt(0)
	ds_write2st64_b64 v36, v[4:5], v[6:7] offset1:2
	ds_write2st64_b64 v36, v[8:9], v[10:11] offset0:4 offset1:6
	ds_write2st64_b64 v36, v[12:13], v[14:15] offset0:8 offset1:10
	ds_write_b64 v36, v[16:17] offset:6144
	s_waitcnt lgkmcnt(0)
	s_barrier
.LBB398_6:
	s_andn2_b64 vcc, exec, s[4:5]
	v_cmp_gt_u32_e64 s[4:5], s33, v0
	s_cbranch_vccnz .LBB398_22
; %bb.7:
	v_pk_mov_b32 v[2:3], s[6:7], s[6:7] op_sel:[0,1]
	flat_load_dwordx2 v[2:3], v[2:3]
	s_waitcnt vmcnt(0) lgkmcnt(0)
	v_mov_b32_e32 v4, v2
	v_mov_b32_e32 v5, v3
	;; [unrolled: 1-line block ×10, first 2 shown]
	v_pk_mov_b32 v[18:19], v[14:15], v[14:15] op_sel:[0,1]
	v_pk_mov_b32 v[16:17], v[12:13], v[12:13] op_sel:[0,1]
	;; [unrolled: 1-line block ×8, first 2 shown]
	s_and_saveexec_b64 s[8:9], s[4:5]
	s_cbranch_execz .LBB398_9
; %bb.8:
	v_mov_b32_e32 v1, s7
	v_add_co_u32_e32 v4, vcc, s6, v36
	v_addc_co_u32_e32 v5, vcc, 0, v1, vcc
	flat_load_dwordx2 v[20:21], v[4:5]
	v_mov_b32_e32 v4, v2
	v_mov_b32_e32 v5, v3
	;; [unrolled: 1-line block ×10, first 2 shown]
	v_pk_mov_b32 v[18:19], v[14:15], v[14:15] op_sel:[0,1]
	v_pk_mov_b32 v[16:17], v[12:13], v[12:13] op_sel:[0,1]
	;; [unrolled: 1-line block ×8, first 2 shown]
	s_waitcnt vmcnt(0) lgkmcnt(0)
	v_pk_mov_b32 v[2:3], v[20:21], v[20:21] op_sel:[0,1]
.LBB398_9:
	s_or_b64 exec, exec, s[8:9]
	v_or_b32_e32 v1, 0x80, v0
	v_cmp_gt_u32_e32 vcc, s33, v1
	s_and_saveexec_b64 s[4:5], vcc
	s_cbranch_execz .LBB398_11
; %bb.10:
	v_mov_b32_e32 v1, s7
	v_add_co_u32_e32 v4, vcc, s6, v36
	v_addc_co_u32_e32 v5, vcc, 0, v1, vcc
	flat_load_dwordx2 v[6:7], v[4:5] offset:1024
.LBB398_11:
	s_or_b64 exec, exec, s[4:5]
	v_or_b32_e32 v1, 0x100, v0
	v_cmp_gt_u32_e32 vcc, s33, v1
	s_and_saveexec_b64 s[4:5], vcc
	s_cbranch_execz .LBB398_13
; %bb.12:
	v_mov_b32_e32 v1, s7
	v_add_co_u32_e32 v4, vcc, s6, v36
	v_addc_co_u32_e32 v5, vcc, 0, v1, vcc
	flat_load_dwordx2 v[8:9], v[4:5] offset:2048
.LBB398_13:
	;; [unrolled: 11-line block ×3, first 2 shown]
	s_or_b64 exec, exec, s[4:5]
	v_or_b32_e32 v1, 0x200, v0
	v_cmp_gt_u32_e32 vcc, s33, v1
	s_and_saveexec_b64 s[4:5], vcc
	s_cbranch_execz .LBB398_17
; %bb.16:
	v_lshlrev_b32_e32 v1, 3, v1
	v_mov_b32_e32 v5, s7
	v_add_co_u32_e32 v4, vcc, s6, v1
	v_addc_co_u32_e32 v5, vcc, 0, v5, vcc
	flat_load_dwordx2 v[12:13], v[4:5]
.LBB398_17:
	s_or_b64 exec, exec, s[4:5]
	v_or_b32_e32 v1, 0x280, v0
	v_cmp_gt_u32_e32 vcc, s33, v1
	s_and_saveexec_b64 s[4:5], vcc
	s_cbranch_execz .LBB398_19
; %bb.18:
	v_lshlrev_b32_e32 v1, 3, v1
	v_mov_b32_e32 v5, s7
	v_add_co_u32_e32 v4, vcc, s6, v1
	v_addc_co_u32_e32 v5, vcc, 0, v5, vcc
	flat_load_dwordx2 v[14:15], v[4:5]
.LBB398_19:
	;; [unrolled: 12-line block ×3, first 2 shown]
	s_or_b64 exec, exec, s[4:5]
	s_waitcnt vmcnt(0) lgkmcnt(0)
	ds_write2st64_b64 v36, v[2:3], v[6:7] offset1:2
	ds_write2st64_b64 v36, v[8:9], v[10:11] offset0:4 offset1:6
	ds_write2st64_b64 v36, v[12:13], v[14:15] offset0:8 offset1:10
	ds_write_b64 v36, v[16:17] offset:6144
	s_waitcnt lgkmcnt(0)
	s_barrier
.LBB398_22:
	v_mul_u32_u24_e32 v37, 7, v0
	v_lshlrev_b32_e32 v1, 3, v37
	ds_read2_b64 v[10:13], v1 offset1:1
	ds_read2_b64 v[6:9], v1 offset0:2 offset1:3
	ds_read2_b64 v[2:5], v1 offset0:4 offset1:5
	ds_read_b64 v[26:27], v1 offset:48
	s_cmp_lg_u32 s37, 0
	v_lshrrev_b32_e32 v38, 5, v0
	v_cmp_gt_u32_e32 vcc, 64, v0
	s_waitcnt lgkmcnt(0)
	s_barrier
	s_cbranch_scc0 .LBB398_49
; %bb.23:
	v_add_co_u32_e64 v1, s[4:5], v12, v10
	v_addc_co_u32_e64 v14, s[4:5], v13, v11, s[4:5]
	v_add_co_u32_e64 v1, s[4:5], v1, v6
	v_addc_co_u32_e64 v14, s[4:5], v14, v7, s[4:5]
	;; [unrolled: 2-line block ×6, first 2 shown]
	v_add_lshl_u32 v1, v38, v0, 3
	ds_write_b64 v1, v[18:19]
	s_waitcnt lgkmcnt(0)
	s_barrier
	s_and_saveexec_b64 s[8:9], vcc
	s_cbranch_execz .LBB398_27
; %bb.24:
	v_lshlrev_b32_e32 v1, 1, v0
	v_lshrrev_b32_e32 v14, 4, v0
	v_add_lshl_u32 v20, v14, v1, 3
	ds_read2_b64 v[14:17], v20 offset1:1
	v_mbcnt_lo_u32_b32 v1, -1, 0
	s_waitcnt lgkmcnt(0)
	v_add_co_u32_e64 v21, s[4:5], v16, v14
	v_addc_co_u32_e64 v22, s[4:5], v17, v15, s[4:5]
	s_nop 0
	v_mov_b32_dpp v16, v21 row_shr:1 row_mask:0xf bank_mask:0xf
	v_add_co_u32_e64 v16, s[4:5], v21, v16
	v_addc_co_u32_e64 v24, s[4:5], 0, v22, s[4:5]
	v_mbcnt_hi_u32_b32 v17, -1, v1
	v_mov_b32_dpp v23, v22 row_shr:1 row_mask:0xf bank_mask:0xf
	v_add_co_u32_e64 v25, s[4:5], 0, v16
	v_and_b32_e32 v1, 15, v17
	v_addc_co_u32_e64 v23, s[4:5], v23, v24, s[4:5]
	v_cmp_eq_u32_e64 s[4:5], 0, v1
	v_cndmask_b32_e64 v16, v16, v21, s[4:5]
	v_cndmask_b32_e64 v23, v23, v22, s[4:5]
	v_cndmask_b32_e64 v24, v25, v21, s[4:5]
	v_mov_b32_dpp v25, v16 row_shr:2 row_mask:0xf bank_mask:0xf
	v_mov_b32_dpp v28, v23 row_shr:2 row_mask:0xf bank_mask:0xf
	v_add_co_u32_e64 v25, s[4:5], v25, v24
	v_addc_co_u32_e64 v28, s[4:5], v28, v23, s[4:5]
	v_cmp_lt_u32_e64 s[4:5], 1, v1
	v_cndmask_b32_e64 v16, v16, v25, s[4:5]
	v_cndmask_b32_e64 v23, v23, v28, s[4:5]
	v_cndmask_b32_e64 v24, v24, v25, s[4:5]
	v_mov_b32_dpp v25, v16 row_shr:4 row_mask:0xf bank_mask:0xf
	v_mov_b32_dpp v28, v23 row_shr:4 row_mask:0xf bank_mask:0xf
	v_add_co_u32_e64 v25, s[4:5], v25, v24
	v_addc_co_u32_e64 v28, s[4:5], v28, v23, s[4:5]
	v_cmp_lt_u32_e64 s[4:5], 3, v1
	;; [unrolled: 8-line block ×3, first 2 shown]
	v_cndmask_b32_e64 v29, v16, v25, s[4:5]
	v_cndmask_b32_e64 v1, v23, v28, s[4:5]
	;; [unrolled: 1-line block ×3, first 2 shown]
	v_mov_b32_dpp v23, v29 row_bcast:15 row_mask:0xf bank_mask:0xf
	v_mov_b32_dpp v24, v1 row_bcast:15 row_mask:0xf bank_mask:0xf
	v_add_co_u32_e64 v23, s[4:5], v23, v16
	v_and_b32_e32 v28, 16, v17
	v_addc_co_u32_e64 v25, s[4:5], v24, v1, s[4:5]
	v_cmp_eq_u32_e64 s[4:5], 0, v28
	v_cndmask_b32_e64 v28, v25, v1, s[4:5]
	v_cndmask_b32_e64 v24, v23, v29, s[4:5]
	v_cmp_ne_u32_e64 s[6:7], 0, v17
	v_mov_b32_dpp v28, v28 row_bcast:31 row_mask:0xf bank_mask:0xf
	v_mov_b32_dpp v24, v24 row_bcast:31 row_mask:0xf bank_mask:0xf
	s_and_saveexec_b64 s[30:31], s[6:7]
; %bb.25:
	v_cndmask_b32_e64 v1, v25, v1, s[4:5]
	v_cndmask_b32_e64 v16, v23, v16, s[4:5]
	v_cmp_lt_u32_e64 s[4:5], 31, v17
	v_cndmask_b32_e64 v21, 0, v24, s[4:5]
	v_cndmask_b32_e64 v22, 0, v28, s[4:5]
	v_add_co_u32_e64 v21, s[4:5], v21, v16
	v_addc_co_u32_e64 v22, s[4:5], v22, v1, s[4:5]
; %bb.26:
	s_or_b64 exec, exec, s[30:31]
	v_add_u32_e32 v1, -1, v17
	v_and_b32_e32 v16, 64, v17
	v_cmp_lt_i32_e64 s[4:5], v1, v16
	v_cndmask_b32_e64 v1, v1, v17, s[4:5]
	v_lshlrev_b32_e32 v1, 2, v1
	ds_bpermute_b32 v16, v1, v21
	ds_bpermute_b32 v1, v1, v22
	; wave barrier
	s_waitcnt lgkmcnt(1)
	v_add_co_u32_e64 v14, s[4:5], v14, v16
	v_addc_co_u32_e64 v15, s[4:5], 0, v15, s[4:5]
	v_add_co_u32_e64 v14, s[4:5], 0, v14
	s_waitcnt lgkmcnt(0)
	v_addc_co_u32_e64 v1, s[4:5], v15, v1, s[4:5]
	v_cndmask_b32_e64 v15, v1, v19, s[0:1]
	v_cndmask_b32_e64 v14, v14, v18, s[0:1]
	ds_write_b64 v20, v[14:15]
	; wave barrier
	ds_read_b64 v[16:17], v20 offset:8
	s_waitcnt lgkmcnt(0)
	v_add_co_u32_e64 v14, s[4:5], v16, v14
	v_addc_co_u32_e64 v15, s[4:5], v17, v15, s[4:5]
	ds_write_b64 v20, v[14:15] offset:8
.LBB398_27:
	s_or_b64 exec, exec, s[8:9]
	v_pk_mov_b32 v[22:23], 0, 0
	s_waitcnt lgkmcnt(0)
	s_barrier
	s_and_saveexec_b64 s[4:5], s[2:3]
	s_cbranch_execz .LBB398_29
; %bb.28:
	v_add_u32_e32 v1, -1, v0
	v_lshrrev_b32_e32 v14, 5, v1
	v_add_lshl_u32 v1, v14, v1, 3
	ds_read_b64 v[22:23], v1
.LBB398_29:
	s_or_b64 exec, exec, s[4:5]
	s_and_saveexec_b64 s[30:31], vcc
	s_cbranch_execz .LBB398_48
; %bb.30:
	v_mov_b32_e32 v17, 0
	ds_read_b64 v[14:15], v17 offset:1040
	v_mbcnt_lo_u32_b32 v1, -1, 0
	v_mbcnt_hi_u32_b32 v30, -1, v1
	s_mov_b32 s9, 0
	v_cmp_eq_u32_e64 s[4:5], 0, v30
	s_and_saveexec_b64 s[6:7], s[4:5]
	s_cbranch_execz .LBB398_32
; %bb.31:
	s_add_i32 s8, s37, 64
	s_lshl_b64 s[8:9], s[8:9], 4
	s_add_u32 s8, s10, s8
	s_addc_u32 s9, s11, s9
	v_mov_b32_e32 v16, 1
	v_pk_mov_b32 v[18:19], s[8:9], s[8:9] op_sel:[0,1]
	s_waitcnt lgkmcnt(0)
	;;#ASMSTART
	global_store_dwordx4 v[18:19], v[14:17] off	
s_waitcnt vmcnt(0)
	;;#ASMEND
.LBB398_32:
	s_or_b64 exec, exec, s[6:7]
	v_xad_u32 v24, v30, -1, s37
	v_add_u32_e32 v16, 64, v24
	v_lshlrev_b64 v[18:19], 4, v[16:17]
	v_mov_b32_e32 v1, s11
	v_add_co_u32_e32 v28, vcc, s10, v18
	v_addc_co_u32_e32 v29, vcc, v1, v19, vcc
	;;#ASMSTART
	global_load_dwordx4 v[18:21], v[28:29] off glc	
s_waitcnt vmcnt(0)
	;;#ASMEND
	v_and_b32_e32 v1, 0xff, v19
	v_and_b32_e32 v16, 0xff00, v19
	v_or3_b32 v1, 0, v1, v16
	v_or3_b32 v16, v18, 0, 0
	v_and_b32_e32 v18, 0xff000000, v19
	v_and_b32_e32 v19, 0xff0000, v19
	v_or3_b32 v19, v1, v19, v18
	v_or3_b32 v18, v16, 0, 0
	v_cmp_eq_u16_sdwa s[8:9], v20, v17 src0_sel:BYTE_0 src1_sel:DWORD
	s_and_saveexec_b64 s[6:7], s[8:9]
	s_cbranch_execz .LBB398_36
; %bb.33:
	s_mov_b64 s[8:9], 0
	v_mov_b32_e32 v1, 0
.LBB398_34:                             ; =>This Inner Loop Header: Depth=1
	;;#ASMSTART
	global_load_dwordx4 v[18:21], v[28:29] off glc	
s_waitcnt vmcnt(0)
	;;#ASMEND
	v_cmp_ne_u16_sdwa s[38:39], v20, v1 src0_sel:BYTE_0 src1_sel:DWORD
	s_or_b64 s[8:9], s[38:39], s[8:9]
	s_andn2_b64 exec, exec, s[8:9]
	s_cbranch_execnz .LBB398_34
; %bb.35:
	s_or_b64 exec, exec, s[8:9]
.LBB398_36:
	s_or_b64 exec, exec, s[6:7]
	v_and_b32_e32 v32, 63, v30
	v_cmp_ne_u32_e32 vcc, 63, v32
	v_addc_co_u32_e32 v28, vcc, 0, v30, vcc
	v_lshlrev_b32_e32 v33, 2, v28
	ds_bpermute_b32 v28, v33, v18
	v_mov_b32_e32 v1, 2
	v_cmp_eq_u16_sdwa s[6:7], v20, v1 src0_sel:BYTE_0 src1_sel:DWORD
	v_lshlrev_b64 v[16:17], v30, -1
	ds_bpermute_b32 v29, v33, v19
	v_and_b32_e32 v21, s7, v17
	v_or_b32_e32 v21, 0x80000000, v21
	s_waitcnt lgkmcnt(1)
	v_add_co_u32_e32 v28, vcc, v18, v28
	v_and_b32_e32 v25, s6, v16
	v_ffbl_b32_e32 v21, v21
	v_addc_co_u32_e32 v31, vcc, 0, v19, vcc
	v_add_u32_e32 v21, 32, v21
	v_ffbl_b32_e32 v25, v25
	v_add_co_u32_e32 v35, vcc, 0, v28
	v_cmp_gt_u32_e64 s[6:7], 62, v32
	v_min_u32_e32 v21, v25, v21
	s_waitcnt lgkmcnt(0)
	v_addc_co_u32_e32 v29, vcc, v29, v31, vcc
	v_cndmask_b32_e64 v31, 0, 1, s[6:7]
	v_cmp_lt_u32_e32 vcc, v32, v21
	v_lshlrev_b32_e32 v31, 1, v31
	v_cndmask_b32_e32 v28, v18, v28, vcc
	v_add_lshl_u32 v34, v31, v30, 2
	v_cndmask_b32_e32 v29, v19, v29, vcc
	ds_bpermute_b32 v31, v34, v28
	ds_bpermute_b32 v39, v34, v29
	v_cndmask_b32_e32 v40, v18, v35, vcc
	v_add_u32_e32 v35, 2, v32
	v_cmp_gt_u32_e64 s[8:9], 60, v32
	s_waitcnt lgkmcnt(1)
	v_add_co_u32_e64 v31, s[6:7], v31, v40
	s_waitcnt lgkmcnt(0)
	v_addc_co_u32_e64 v39, s[6:7], v39, v29, s[6:7]
	v_cmp_gt_u32_e64 s[6:7], v35, v21
	v_cndmask_b32_e64 v29, v39, v29, s[6:7]
	v_cndmask_b32_e64 v39, 0, 1, s[8:9]
	v_lshlrev_b32_e32 v39, 2, v39
	v_cndmask_b32_e64 v28, v31, v28, s[6:7]
	v_add_lshl_u32 v39, v39, v30, 2
	ds_bpermute_b32 v41, v39, v28
	ds_bpermute_b32 v42, v39, v29
	v_cndmask_b32_e64 v31, v31, v40, s[6:7]
	v_add_u32_e32 v40, 4, v32
	v_cmp_gt_u32_e64 s[8:9], 56, v32
	s_waitcnt lgkmcnt(1)
	v_add_co_u32_e64 v43, s[6:7], v41, v31
	s_waitcnt lgkmcnt(0)
	v_addc_co_u32_e64 v41, s[6:7], v42, v29, s[6:7]
	v_cmp_gt_u32_e64 s[6:7], v40, v21
	v_cndmask_b32_e64 v29, v41, v29, s[6:7]
	v_cndmask_b32_e64 v41, 0, 1, s[8:9]
	v_lshlrev_b32_e32 v41, 3, v41
	v_cndmask_b32_e64 v28, v43, v28, s[6:7]
	v_add_lshl_u32 v41, v41, v30, 2
	ds_bpermute_b32 v44, v41, v28
	v_cndmask_b32_e64 v31, v43, v31, s[6:7]
	ds_bpermute_b32 v43, v41, v29
	v_add_u32_e32 v42, 8, v32
	v_cmp_gt_u32_e64 s[8:9], 48, v32
	s_waitcnt lgkmcnt(1)
	v_add_co_u32_e64 v44, s[6:7], v44, v31
	s_waitcnt lgkmcnt(0)
	v_addc_co_u32_e64 v43, s[6:7], v43, v29, s[6:7]
	v_cmp_gt_u32_e64 s[6:7], v42, v21
	v_cndmask_b32_e64 v29, v43, v29, s[6:7]
	v_cndmask_b32_e64 v43, 0, 1, s[8:9]
	v_lshlrev_b32_e32 v43, 4, v43
	v_cndmask_b32_e64 v28, v44, v28, s[6:7]
	v_add_lshl_u32 v43, v43, v30, 2
	ds_bpermute_b32 v45, v43, v28
	ds_bpermute_b32 v46, v43, v29
	v_cndmask_b32_e64 v31, v44, v31, s[6:7]
	v_cmp_gt_u32_e64 s[8:9], 32, v32
	v_add_u32_e32 v44, 16, v32
	s_waitcnt lgkmcnt(1)
	v_add_co_u32_e64 v47, s[6:7], v45, v31
	s_waitcnt lgkmcnt(0)
	v_addc_co_u32_e64 v46, s[6:7], v46, v29, s[6:7]
	v_cndmask_b32_e64 v45, 0, 1, s[8:9]
	v_cmp_gt_u32_e64 s[6:7], v44, v21
	v_lshlrev_b32_e32 v45, 5, v45
	v_cndmask_b32_e64 v28, v47, v28, s[6:7]
	v_add_lshl_u32 v45, v45, v30, 2
	v_cndmask_b32_e64 v29, v46, v29, s[6:7]
	ds_bpermute_b32 v28, v45, v28
	ds_bpermute_b32 v30, v45, v29
	v_add_u32_e32 v46, 32, v32
	v_cndmask_b32_e64 v31, v47, v31, s[6:7]
	v_cmp_le_u32_e64 s[6:7], v46, v21
	s_waitcnt lgkmcnt(1)
	v_cndmask_b32_e64 v28, 0, v28, s[6:7]
	s_waitcnt lgkmcnt(0)
	v_cndmask_b32_e64 v21, 0, v30, s[6:7]
	v_add_co_u32_e64 v28, s[6:7], v28, v31
	v_addc_co_u32_e64 v21, s[6:7], v21, v29, s[6:7]
	v_mov_b32_e32 v25, 0
	v_cndmask_b32_e32 v19, v19, v21, vcc
	v_cndmask_b32_e32 v18, v18, v28, vcc
	s_branch .LBB398_38
.LBB398_37:                             ;   in Loop: Header=BB398_38 Depth=1
	s_or_b64 exec, exec, s[6:7]
	v_cmp_eq_u16_sdwa s[6:7], v20, v1 src0_sel:BYTE_0 src1_sel:DWORD
	v_and_b32_e32 v21, s7, v17
	v_or_b32_e32 v21, 0x80000000, v21
	ds_bpermute_b32 v31, v33, v18
	v_and_b32_e32 v30, s6, v16
	v_ffbl_b32_e32 v21, v21
	v_add_u32_e32 v21, 32, v21
	v_ffbl_b32_e32 v30, v30
	v_min_u32_e32 v21, v30, v21
	ds_bpermute_b32 v30, v33, v19
	s_waitcnt lgkmcnt(1)
	v_add_co_u32_e32 v31, vcc, v18, v31
	v_addc_co_u32_e32 v47, vcc, 0, v19, vcc
	v_add_co_u32_e32 v48, vcc, 0, v31
	s_waitcnt lgkmcnt(0)
	v_addc_co_u32_e32 v30, vcc, v30, v47, vcc
	v_cmp_lt_u32_e32 vcc, v32, v21
	v_cndmask_b32_e32 v31, v18, v31, vcc
	ds_bpermute_b32 v47, v34, v31
	v_cndmask_b32_e32 v30, v19, v30, vcc
	ds_bpermute_b32 v49, v34, v30
	v_cndmask_b32_e32 v48, v18, v48, vcc
	v_subrev_u32_e32 v24, 64, v24
	s_waitcnt lgkmcnt(1)
	v_add_co_u32_e64 v47, s[6:7], v47, v48
	s_waitcnt lgkmcnt(0)
	v_addc_co_u32_e64 v49, s[6:7], v49, v30, s[6:7]
	v_cmp_gt_u32_e64 s[6:7], v35, v21
	v_cndmask_b32_e64 v31, v47, v31, s[6:7]
	ds_bpermute_b32 v50, v39, v31
	v_cndmask_b32_e64 v30, v49, v30, s[6:7]
	ds_bpermute_b32 v49, v39, v30
	v_cndmask_b32_e64 v47, v47, v48, s[6:7]
	s_waitcnt lgkmcnt(1)
	v_add_co_u32_e64 v48, s[6:7], v50, v47
	s_waitcnt lgkmcnt(0)
	v_addc_co_u32_e64 v49, s[6:7], v49, v30, s[6:7]
	v_cmp_gt_u32_e64 s[6:7], v40, v21
	v_cndmask_b32_e64 v31, v48, v31, s[6:7]
	ds_bpermute_b32 v50, v41, v31
	v_cndmask_b32_e64 v30, v49, v30, s[6:7]
	ds_bpermute_b32 v49, v41, v30
	v_cndmask_b32_e64 v47, v48, v47, s[6:7]
	;; [unrolled: 10-line block ×3, first 2 shown]
	s_waitcnt lgkmcnt(1)
	v_add_co_u32_e64 v48, s[6:7], v50, v47
	s_waitcnt lgkmcnt(0)
	v_addc_co_u32_e64 v49, s[6:7], v49, v30, s[6:7]
	v_cmp_gt_u32_e64 s[6:7], v44, v21
	v_cndmask_b32_e64 v31, v48, v31, s[6:7]
	v_cndmask_b32_e64 v30, v49, v30, s[6:7]
	ds_bpermute_b32 v31, v45, v31
	ds_bpermute_b32 v49, v45, v30
	v_cndmask_b32_e64 v47, v48, v47, s[6:7]
	v_cmp_le_u32_e64 s[6:7], v46, v21
	s_waitcnt lgkmcnt(1)
	v_cndmask_b32_e64 v31, 0, v31, s[6:7]
	s_waitcnt lgkmcnt(0)
	v_cndmask_b32_e64 v21, 0, v49, s[6:7]
	v_add_co_u32_e64 v31, s[6:7], v31, v47
	v_addc_co_u32_e64 v21, s[6:7], v21, v30, s[6:7]
	v_cndmask_b32_e32 v18, v18, v31, vcc
	v_cndmask_b32_e32 v19, v19, v21, vcc
	v_add_co_u32_e32 v18, vcc, v18, v28
	v_addc_co_u32_e32 v19, vcc, v19, v29, vcc
.LBB398_38:                             ; =>This Loop Header: Depth=1
                                        ;     Child Loop BB398_41 Depth 2
	v_cmp_ne_u16_sdwa s[6:7], v20, v1 src0_sel:BYTE_0 src1_sel:DWORD
	v_cndmask_b32_e64 v20, 0, 1, s[6:7]
	;;#ASMSTART
	;;#ASMEND
	v_cmp_ne_u32_e32 vcc, 0, v20
	s_cmp_lg_u64 vcc, exec
	v_pk_mov_b32 v[28:29], v[18:19], v[18:19] op_sel:[0,1]
	s_cbranch_scc1 .LBB398_43
; %bb.39:                               ;   in Loop: Header=BB398_38 Depth=1
	v_lshlrev_b64 v[18:19], 4, v[24:25]
	v_mov_b32_e32 v20, s11
	v_add_co_u32_e32 v30, vcc, s10, v18
	v_addc_co_u32_e32 v31, vcc, v20, v19, vcc
	;;#ASMSTART
	global_load_dwordx4 v[18:21], v[30:31] off glc	
s_waitcnt vmcnt(0)
	;;#ASMEND
	v_and_b32_e32 v21, 0xff, v19
	v_and_b32_e32 v47, 0xff00, v19
	v_or3_b32 v21, 0, v21, v47
	v_or3_b32 v18, v18, 0, 0
	v_and_b32_e32 v47, 0xff000000, v19
	v_and_b32_e32 v19, 0xff0000, v19
	v_or3_b32 v19, v21, v19, v47
	v_or3_b32 v18, v18, 0, 0
	v_cmp_eq_u16_sdwa s[8:9], v20, v25 src0_sel:BYTE_0 src1_sel:DWORD
	s_and_saveexec_b64 s[6:7], s[8:9]
	s_cbranch_execz .LBB398_37
; %bb.40:                               ;   in Loop: Header=BB398_38 Depth=1
	s_mov_b64 s[8:9], 0
.LBB398_41:                             ;   Parent Loop BB398_38 Depth=1
                                        ; =>  This Inner Loop Header: Depth=2
	;;#ASMSTART
	global_load_dwordx4 v[18:21], v[30:31] off glc	
s_waitcnt vmcnt(0)
	;;#ASMEND
	v_cmp_ne_u16_sdwa s[38:39], v20, v25 src0_sel:BYTE_0 src1_sel:DWORD
	s_or_b64 s[8:9], s[38:39], s[8:9]
	s_andn2_b64 exec, exec, s[8:9]
	s_cbranch_execnz .LBB398_41
; %bb.42:                               ;   in Loop: Header=BB398_38 Depth=1
	s_or_b64 exec, exec, s[8:9]
	s_branch .LBB398_37
.LBB398_43:                             ;   in Loop: Header=BB398_38 Depth=1
                                        ; implicit-def: $vgpr18_vgpr19
                                        ; implicit-def: $vgpr20
	s_cbranch_execz .LBB398_38
; %bb.44:
	s_and_saveexec_b64 s[6:7], s[4:5]
	s_cbranch_execz .LBB398_46
; %bb.45:
	s_add_i32 s4, s37, 64
	s_mov_b32 s5, 0
	s_lshl_b64 s[4:5], s[4:5], 4
	s_add_u32 s4, s10, s4
	v_add_co_u32_e32 v14, vcc, v28, v14
	s_addc_u32 s5, s11, s5
	v_addc_co_u32_e32 v15, vcc, v29, v15, vcc
	v_mov_b32_e32 v16, 2
	v_mov_b32_e32 v17, 0
	v_pk_mov_b32 v[18:19], s[4:5], s[4:5] op_sel:[0,1]
	;;#ASMSTART
	global_store_dwordx4 v[18:19], v[14:17] off	
s_waitcnt vmcnt(0)
	;;#ASMEND
.LBB398_46:
	s_or_b64 exec, exec, s[6:7]
	s_and_b64 exec, exec, s[0:1]
	s_cbranch_execz .LBB398_48
; %bb.47:
	v_mov_b32_e32 v1, 0
	ds_write_b64 v1, v[28:29]
.LBB398_48:
	s_or_b64 exec, exec, s[30:31]
	v_mov_b32_e32 v1, 0
	s_waitcnt lgkmcnt(0)
	s_barrier
	ds_read_b64 v[14:15], v1
	s_waitcnt lgkmcnt(0)
	v_add_co_u32_e32 v14, vcc, v14, v22
	v_addc_co_u32_e32 v15, vcc, v15, v23, vcc
	v_add_co_u32_e32 v28, vcc, v14, v10
	v_addc_co_u32_e32 v29, vcc, v15, v11, vcc
	;; [unrolled: 2-line block ×7, first 2 shown]
	s_branch .LBB398_61
.LBB398_49:
                                        ; implicit-def: $vgpr34_vgpr35
                                        ; implicit-def: $vgpr32_vgpr33
                                        ; implicit-def: $vgpr30_vgpr31
                                        ; implicit-def: $vgpr28_vgpr29
                                        ; implicit-def: $vgpr22_vgpr23_vgpr24_vgpr25
                                        ; implicit-def: $vgpr18_vgpr19_vgpr20_vgpr21
                                        ; implicit-def: $vgpr14_vgpr15_vgpr16_vgpr17
	s_cbranch_execz .LBB398_61
; %bb.50:
	s_cmp_eq_u64 s[16:17], 0
	v_pk_mov_b32 v[20:21], s[28:29], s[28:29] op_sel:[0,1]
	s_cbranch_scc1 .LBB398_52
; %bb.51:
	v_mov_b32_e32 v1, 0
	v_mov_b32_e32 v15, s36
	v_add_co_u32_e64 v14, vcc, -8, s35
	v_addc_co_u32_e32 v15, vcc, -1, v15, vcc
	global_load_dwordx2 v[16:17], v1, s[12:13]
	flat_load_dwordx2 v[18:19], v[14:15]
	s_waitcnt vmcnt(0) lgkmcnt(0)
	v_add_co_u32_e32 v20, vcc, v16, v18
	v_addc_co_u32_e32 v21, vcc, v17, v19, vcc
.LBB398_52:
	v_add_co_u32_e32 v1, vcc, v12, v10
	v_addc_co_u32_e32 v14, vcc, v13, v11, vcc
	v_add_co_u32_e32 v1, vcc, v1, v6
	v_addc_co_u32_e32 v14, vcc, v14, v7, vcc
	v_add_co_u32_e32 v1, vcc, v1, v8
	v_addc_co_u32_e32 v14, vcc, v14, v9, vcc
	v_add_co_u32_e32 v1, vcc, v1, v2
	v_addc_co_u32_e32 v14, vcc, v14, v3, vcc
	v_add_co_u32_e32 v1, vcc, v1, v4
	v_addc_co_u32_e32 v14, vcc, v14, v5, vcc
	v_add_co_u32_e32 v18, vcc, v1, v26
	v_addc_co_u32_e32 v19, vcc, v14, v27, vcc
	v_add_lshl_u32 v1, v38, v0, 3
	v_cmp_gt_u32_e32 vcc, 64, v0
	ds_write_b64 v1, v[18:19]
	s_waitcnt lgkmcnt(0)
	s_barrier
	s_and_saveexec_b64 s[6:7], vcc
	s_cbranch_execz .LBB398_56
; %bb.53:
	v_lshlrev_b32_e32 v1, 1, v0
	v_lshrrev_b32_e32 v14, 4, v0
	v_add_lshl_u32 v22, v14, v1, 3
	ds_read2_b64 v[14:17], v22 offset1:1
	v_mbcnt_lo_u32_b32 v1, -1, 0
	s_waitcnt lgkmcnt(0)
	v_add_co_u32_e32 v23, vcc, v16, v14
	v_addc_co_u32_e32 v24, vcc, v17, v15, vcc
	s_nop 0
	v_mov_b32_dpp v16, v23 row_shr:1 row_mask:0xf bank_mask:0xf
	v_add_co_u32_e32 v16, vcc, v23, v16
	v_addc_co_u32_e32 v26, vcc, 0, v24, vcc
	v_mbcnt_hi_u32_b32 v17, -1, v1
	v_mov_b32_dpp v25, v24 row_shr:1 row_mask:0xf bank_mask:0xf
	v_add_co_u32_e32 v27, vcc, 0, v16
	v_and_b32_e32 v1, 15, v17
	v_addc_co_u32_e32 v25, vcc, v25, v26, vcc
	v_cmp_eq_u32_e32 vcc, 0, v1
	v_cndmask_b32_e32 v16, v16, v23, vcc
	v_cndmask_b32_e32 v25, v25, v24, vcc
	v_cndmask_b32_e32 v26, v27, v23, vcc
	v_mov_b32_dpp v27, v16 row_shr:2 row_mask:0xf bank_mask:0xf
	v_mov_b32_dpp v28, v25 row_shr:2 row_mask:0xf bank_mask:0xf
	v_add_co_u32_e32 v27, vcc, v27, v26
	v_addc_co_u32_e32 v28, vcc, v28, v25, vcc
	v_cmp_lt_u32_e32 vcc, 1, v1
	v_cndmask_b32_e32 v16, v16, v27, vcc
	v_cndmask_b32_e32 v25, v25, v28, vcc
	v_cndmask_b32_e32 v26, v26, v27, vcc
	v_mov_b32_dpp v27, v16 row_shr:4 row_mask:0xf bank_mask:0xf
	v_mov_b32_dpp v28, v25 row_shr:4 row_mask:0xf bank_mask:0xf
	v_add_co_u32_e32 v27, vcc, v27, v26
	v_addc_co_u32_e32 v28, vcc, v28, v25, vcc
	v_cmp_lt_u32_e32 vcc, 3, v1
	;; [unrolled: 8-line block ×3, first 2 shown]
	v_cndmask_b32_e32 v29, v16, v27, vcc
	v_cndmask_b32_e32 v1, v25, v28, vcc
	;; [unrolled: 1-line block ×3, first 2 shown]
	v_mov_b32_dpp v25, v29 row_bcast:15 row_mask:0xf bank_mask:0xf
	v_mov_b32_dpp v26, v1 row_bcast:15 row_mask:0xf bank_mask:0xf
	v_add_co_u32_e32 v25, vcc, v25, v16
	v_and_b32_e32 v28, 16, v17
	v_addc_co_u32_e32 v27, vcc, v26, v1, vcc
	v_cmp_eq_u32_e32 vcc, 0, v28
	v_cndmask_b32_e32 v28, v27, v1, vcc
	v_cndmask_b32_e32 v26, v25, v29, vcc
	v_cmp_ne_u32_e64 s[4:5], 0, v17
	v_mov_b32_dpp v28, v28 row_bcast:31 row_mask:0xf bank_mask:0xf
	v_mov_b32_dpp v26, v26 row_bcast:31 row_mask:0xf bank_mask:0xf
	s_and_saveexec_b64 s[8:9], s[4:5]
; %bb.54:
	v_cndmask_b32_e32 v1, v27, v1, vcc
	v_cndmask_b32_e32 v16, v25, v16, vcc
	v_cmp_lt_u32_e32 vcc, 31, v17
	v_cndmask_b32_e32 v23, 0, v26, vcc
	v_cndmask_b32_e32 v24, 0, v28, vcc
	v_add_co_u32_e32 v23, vcc, v23, v16
	v_addc_co_u32_e32 v24, vcc, v24, v1, vcc
; %bb.55:
	s_or_b64 exec, exec, s[8:9]
	v_add_u32_e32 v1, -1, v17
	v_and_b32_e32 v16, 64, v17
	v_cmp_lt_i32_e32 vcc, v1, v16
	v_cndmask_b32_e32 v1, v1, v17, vcc
	v_lshlrev_b32_e32 v1, 2, v1
	ds_bpermute_b32 v16, v1, v23
	ds_bpermute_b32 v1, v1, v24
	; wave barrier
	s_waitcnt lgkmcnt(1)
	v_add_co_u32_e32 v14, vcc, v14, v16
	v_addc_co_u32_e32 v15, vcc, 0, v15, vcc
	v_add_co_u32_e32 v14, vcc, 0, v14
	s_waitcnt lgkmcnt(0)
	v_addc_co_u32_e32 v1, vcc, v15, v1, vcc
	v_cndmask_b32_e64 v15, v1, v19, s[0:1]
	v_cndmask_b32_e64 v14, v14, v18, s[0:1]
	ds_write_b64 v22, v[14:15]
	; wave barrier
	ds_read_b64 v[16:17], v22 offset:8
	s_waitcnt lgkmcnt(0)
	v_add_co_u32_e32 v14, vcc, v16, v14
	v_addc_co_u32_e32 v15, vcc, v17, v15, vcc
	ds_write_b64 v22, v[14:15] offset:8
.LBB398_56:
	s_or_b64 exec, exec, s[6:7]
	v_pk_mov_b32 v[14:15], v[20:21], v[20:21] op_sel:[0,1]
	s_waitcnt lgkmcnt(0)
	s_barrier
	s_and_saveexec_b64 s[4:5], s[2:3]
	s_cbranch_execz .LBB398_58
; %bb.57:
	v_add_u32_e32 v1, -1, v0
	v_lshrrev_b32_e32 v14, 5, v1
	v_add_lshl_u32 v1, v14, v1, 3
	ds_read_b64 v[14:15], v1
	s_waitcnt lgkmcnt(0)
	v_add_co_u32_e32 v14, vcc, v14, v20
	v_addc_co_u32_e32 v15, vcc, v15, v21, vcc
.LBB398_58:
	s_or_b64 exec, exec, s[4:5]
	v_add_co_u32_e32 v28, vcc, v14, v10
	v_addc_co_u32_e32 v29, vcc, v15, v11, vcc
	v_add_co_u32_e32 v18, vcc, v28, v12
	v_addc_co_u32_e32 v19, vcc, v29, v13, vcc
	;; [unrolled: 2-line block ×6, first 2 shown]
	s_and_saveexec_b64 s[2:3], s[0:1]
	s_cbranch_execz .LBB398_60
; %bb.59:
	v_mov_b32_e32 v5, 0
	ds_read_b64 v[2:3], v5 offset:1040
	s_add_u32 s0, s10, 0x400
	s_addc_u32 s1, s11, 0
	v_mov_b32_e32 v4, 2
	v_pk_mov_b32 v[6:7], s[0:1], s[0:1] op_sel:[0,1]
	s_waitcnt lgkmcnt(0)
	v_add_co_u32_e32 v2, vcc, v2, v20
	v_addc_co_u32_e32 v3, vcc, v3, v21, vcc
	;;#ASMSTART
	global_store_dwordx4 v[6:7], v[2:5] off	
s_waitcnt vmcnt(0)
	;;#ASMEND
.LBB398_60:
	s_or_b64 exec, exec, s[2:3]
.LBB398_61:
	s_add_u32 s0, s24, s22
	s_addc_u32 s1, s25, s23
	s_add_u32 s2, s0, s26
	s_addc_u32 s3, s1, s27
	s_mov_b64 s[0:1], -1
	s_and_b64 vcc, exec, s[20:21]
	v_mul_u32_u24_e32 v1, 56, v0
	s_barrier
	s_cbranch_vccz .LBB398_63
; %bb.62:
	v_mul_i32_i24_e32 v2, 0xffffffd0, v0
	v_mad_u32_u24 v16, v0, 56, v2
	ds_write2_b64 v1, v[14:15], v[28:29] offset1:1
	ds_write2_b64 v1, v[18:19], v[30:31] offset0:2 offset1:3
	ds_write2_b64 v1, v[22:23], v[32:33] offset0:4 offset1:5
	ds_write_b64 v1, v[34:35] offset:48
	s_waitcnt lgkmcnt(0)
	s_barrier
	ds_read2st64_b64 v[2:5], v16 offset1:2
	ds_read2st64_b64 v[6:9], v16 offset0:4 offset1:6
	ds_read2st64_b64 v[10:13], v16 offset0:8 offset1:10
	ds_read_b64 v[16:17], v16 offset:6144
	v_mov_b32_e32 v21, s3
	v_add_co_u32_e32 v20, vcc, s2, v36
	v_addc_co_u32_e32 v21, vcc, 0, v21, vcc
	s_waitcnt lgkmcnt(3)
	flat_store_dwordx2 v[20:21], v[2:3]
	flat_store_dwordx2 v[20:21], v[4:5] offset:1024
	s_waitcnt lgkmcnt(0)
	flat_store_dwordx2 v[20:21], v[6:7] offset:2048
	flat_store_dwordx2 v[20:21], v[8:9] offset:3072
	v_add_co_u32_e32 v2, vcc, 0x1000, v20
	v_addc_co_u32_e32 v3, vcc, 0, v21, vcc
	flat_store_dwordx2 v[2:3], v[10:11]
	flat_store_dwordx2 v[2:3], v[12:13] offset:1024
	flat_store_dwordx2 v[2:3], v[16:17] offset:2048
	s_mov_b64 s[0:1], 0
.LBB398_63:
	s_andn2_b64 vcc, exec, s[0:1]
	s_cbranch_vccnz .LBB398_102
; %bb.64:
	v_mul_i32_i24_e32 v2, 0xffffffd0, v0
	ds_write2_b64 v1, v[14:15], v[28:29] offset1:1
	ds_write2_b64 v1, v[18:19], v[30:31] offset0:2 offset1:3
	ds_write2_b64 v1, v[22:23], v[32:33] offset0:4 offset1:5
	ds_write_b64 v1, v[34:35] offset:48
	v_mad_u32_u24 v14, v0, 56, v2
	s_waitcnt lgkmcnt(0)
	s_barrier
	ds_read2st64_b64 v[2:5], v14 offset1:2
	ds_read2st64_b64 v[6:9], v14 offset0:4 offset1:6
	ds_read2st64_b64 v[10:13], v14 offset0:8 offset1:10
	ds_read_b64 v[14:15], v14 offset:6144
	v_mov_b32_e32 v17, s3
	v_add_co_u32_e32 v16, vcc, s2, v36
	v_addc_co_u32_e32 v17, vcc, 0, v17, vcc
	v_mov_b32_e32 v1, 0
	v_cmp_gt_u32_e32 vcc, s33, v0
	s_and_saveexec_b64 s[0:1], vcc
	s_cbranch_execz .LBB398_66
; %bb.65:
	s_waitcnt lgkmcnt(0)
	flat_store_dwordx2 v[16:17], v[2:3]
.LBB398_66:
	s_or_b64 exec, exec, s[0:1]
	v_or_b32_e32 v18, 0x80, v0
	v_cmp_gt_u32_e32 vcc, s33, v18
	s_and_saveexec_b64 s[0:1], vcc
	s_cbranch_execz .LBB398_68
; %bb.67:
	s_waitcnt lgkmcnt(0)
	flat_store_dwordx2 v[16:17], v[4:5] offset:1024
.LBB398_68:
	s_or_b64 exec, exec, s[0:1]
	v_or_b32_e32 v18, 0x100, v0
	v_cmp_gt_u32_e32 vcc, s33, v18
	s_and_saveexec_b64 s[0:1], vcc
	s_cbranch_execz .LBB398_70
; %bb.69:
	s_waitcnt lgkmcnt(0)
	flat_store_dwordx2 v[16:17], v[6:7] offset:2048
.LBB398_70:
	;; [unrolled: 9-line block ×3, first 2 shown]
	s_or_b64 exec, exec, s[0:1]
	v_or_b32_e32 v18, 0x200, v0
	v_cmp_gt_u32_e32 vcc, s33, v18
	s_and_saveexec_b64 s[0:1], vcc
	s_cbranch_execz .LBB398_74
; %bb.73:
	v_add_co_u32_e32 v18, vcc, 0x1000, v16
	v_addc_co_u32_e32 v19, vcc, 0, v17, vcc
	s_waitcnt lgkmcnt(0)
	flat_store_dwordx2 v[18:19], v[10:11]
.LBB398_74:
	s_or_b64 exec, exec, s[0:1]
	v_or_b32_e32 v18, 0x280, v0
	v_cmp_gt_u32_e32 vcc, s33, v18
	s_and_saveexec_b64 s[0:1], vcc
	s_cbranch_execz .LBB398_76
; %bb.75:
	v_add_co_u32_e32 v18, vcc, 0x1000, v16
	v_addc_co_u32_e32 v19, vcc, 0, v17, vcc
	s_waitcnt lgkmcnt(0)
	flat_store_dwordx2 v[18:19], v[12:13] offset:1024
.LBB398_76:
	s_or_b64 exec, exec, s[0:1]
	v_or_b32_e32 v18, 0x300, v0
	v_cmp_gt_u32_e32 vcc, s33, v18
	s_and_saveexec_b64 s[0:1], vcc
	s_cbranch_execz .LBB398_78
; %bb.77:
	v_add_co_u32_e32 v16, vcc, 0x1000, v16
	v_addc_co_u32_e32 v17, vcc, 0, v17, vcc
	s_waitcnt lgkmcnt(0)
	flat_store_dwordx2 v[16:17], v[14:15] offset:2048
.LBB398_78:
	s_or_b64 exec, exec, s[0:1]
	v_cmp_lt_u64_e64 s[0:1], s[18:19], 2
	s_and_b64 vcc, exec, s[0:1]
	s_cbranch_vccnz .LBB398_102
; %bb.79:
	s_add_u32 s0, s33, -1
	s_addc_u32 s1, s34, -1
	s_add_u32 s2, 0, 0x92481000
	s_addc_u32 s3, 0, 0x64
	s_add_i32 s3, s3, 0x249248c0
	s_mul_hi_u32 s7, s2, -7
	s_sub_i32 s7, s7, s2
	s_mul_i32 s8, s3, -7
	s_mul_i32 s4, s2, -7
	s_add_i32 s7, s7, s8
	s_mul_hi_u32 s5, s3, s4
	s_mul_i32 s6, s3, s4
	s_mul_i32 s9, s2, s7
	s_mul_hi_u32 s4, s2, s4
	s_mul_hi_u32 s8, s2, s7
	s_add_u32 s4, s4, s9
	s_addc_u32 s8, 0, s8
	s_add_u32 s4, s4, s6
	s_mul_hi_u32 s9, s3, s7
	s_addc_u32 s4, s8, s5
	s_addc_u32 s5, s9, 0
	s_mul_i32 s6, s3, s7
	s_add_u32 s4, s4, s6
	v_mov_b32_e32 v16, s4
	s_addc_u32 s5, 0, s5
	v_add_co_u32_e32 v16, vcc, s2, v16
	s_cmp_lg_u64 vcc, 0
	s_addc_u32 s2, s3, s5
	v_readfirstlane_b32 s5, v16
	s_mul_i32 s4, s0, s2
	s_mul_hi_u32 s6, s0, s5
	s_mul_hi_u32 s3, s0, s2
	s_add_u32 s4, s6, s4
	s_addc_u32 s3, 0, s3
	s_mul_hi_u32 s7, s1, s5
	s_mul_i32 s5, s1, s5
	s_add_u32 s4, s4, s5
	s_mul_hi_u32 s6, s1, s2
	s_addc_u32 s3, s3, s7
	s_addc_u32 s4, s6, 0
	s_mul_i32 s2, s1, s2
	s_add_u32 s2, s3, s2
	s_addc_u32 s3, 0, s4
	s_add_u32 s4, s2, 1
	s_addc_u32 s5, s3, 0
	s_add_u32 s6, s2, 2
	s_mul_i32 s8, s3, 7
	s_mul_hi_u32 s9, s2, 7
	s_addc_u32 s7, s3, 0
	s_add_i32 s9, s9, s8
	s_mul_i32 s8, s2, 7
	v_mov_b32_e32 v16, s8
	v_sub_co_u32_e32 v16, vcc, s0, v16
	s_cmp_lg_u64 vcc, 0
	s_subb_u32 s8, s1, s9
	v_subrev_co_u32_e32 v17, vcc, 7, v16
	s_cmp_lg_u64 vcc, 0
	s_subb_u32 s9, s8, 0
	v_readfirstlane_b32 s10, v17
	s_cmp_gt_u32 s10, 6
	s_cselect_b32 s10, -1, 0
	s_cmp_eq_u32 s9, 0
	s_cselect_b32 s9, s10, -1
	s_cmp_lg_u32 s9, 0
	s_cselect_b32 s4, s6, s4
	v_readfirstlane_b32 s6, v16
	s_cselect_b32 s5, s7, s5
	s_cmp_gt_u32 s6, 6
	s_cselect_b32 s6, -1, 0
	s_cmp_eq_u32 s8, 0
	s_cselect_b32 s6, s6, -1
	s_cmp_lg_u32 s6, 0
	s_cselect_b32 s3, s5, s3
	s_cselect_b32 s2, s4, s2
	v_cmp_eq_u64_e32 vcc, s[2:3], v[0:1]
	s_and_saveexec_b64 s[2:3], vcc
	s_cbranch_execz .LBB398_102
; %bb.80:
	v_mul_hi_u32_u24_e32 v1, 7, v0
	v_mov_b32_e32 v16, s1
	v_sub_co_u32_e32 v0, vcc, s0, v37
	v_subb_co_u32_e32 v1, vcc, v16, v1, vcc
	v_cmp_lt_i64_e32 vcc, 3, v[0:1]
	s_and_saveexec_b64 s[0:1], vcc
	s_xor_b64 s[0:1], exec, s[0:1]
	s_cbranch_execz .LBB398_90
; %bb.81:
	v_cmp_lt_i64_e32 vcc, 4, v[0:1]
	s_and_saveexec_b64 s[2:3], vcc
	s_xor_b64 s[2:3], exec, s[2:3]
	s_cbranch_execz .LBB398_87
; %bb.82:
	;; [unrolled: 5-line block ×3, first 2 shown]
	v_mov_b32_e32 v0, 0
	s_waitcnt lgkmcnt(0)
	global_store_dwordx2 v0, v[14:15], s[14:15]
                                        ; implicit-def: $vgpr10_vgpr11_vgpr12_vgpr13
.LBB398_84:
	s_andn2_saveexec_b64 s[4:5], s[4:5]
	s_cbranch_execz .LBB398_86
; %bb.85:
	v_mov_b32_e32 v0, 0
	s_waitcnt lgkmcnt(0)
	global_store_dwordx2 v0, v[12:13], s[14:15]
.LBB398_86:
	s_or_b64 exec, exec, s[4:5]
                                        ; implicit-def: $vgpr10_vgpr11_vgpr12_vgpr13
.LBB398_87:
	s_andn2_saveexec_b64 s[2:3], s[2:3]
	s_cbranch_execz .LBB398_89
; %bb.88:
	v_mov_b32_e32 v0, 0
	s_waitcnt lgkmcnt(0)
	global_store_dwordx2 v0, v[10:11], s[14:15]
.LBB398_89:
	s_or_b64 exec, exec, s[2:3]
                                        ; implicit-def: $vgpr0_vgpr1
                                        ; implicit-def: $vgpr2_vgpr3_vgpr4_vgpr5
                                        ; implicit-def: $vgpr6_vgpr7_vgpr8_vgpr9
.LBB398_90:
	s_andn2_saveexec_b64 s[0:1], s[0:1]
	s_cbranch_execz .LBB398_102
; %bb.91:
	v_cmp_lt_i64_e32 vcc, 1, v[0:1]
	s_and_saveexec_b64 s[0:1], vcc
	s_xor_b64 s[0:1], exec, s[0:1]
	s_cbranch_execz .LBB398_97
; %bb.92:
	v_cmp_lt_i64_e32 vcc, 2, v[0:1]
	s_and_saveexec_b64 s[2:3], vcc
	s_xor_b64 s[2:3], exec, s[2:3]
	s_cbranch_execz .LBB398_94
; %bb.93:
	v_mov_b32_e32 v0, 0
	s_waitcnt lgkmcnt(0)
	global_store_dwordx2 v0, v[8:9], s[14:15]
                                        ; implicit-def: $vgpr6_vgpr7_vgpr8_vgpr9
.LBB398_94:
	s_andn2_saveexec_b64 s[2:3], s[2:3]
	s_cbranch_execz .LBB398_96
; %bb.95:
	v_mov_b32_e32 v0, 0
	s_waitcnt lgkmcnt(0)
	global_store_dwordx2 v0, v[6:7], s[14:15]
.LBB398_96:
	s_or_b64 exec, exec, s[2:3]
                                        ; implicit-def: $vgpr2_vgpr3_vgpr4_vgpr5
                                        ; implicit-def: $vgpr0_vgpr1
.LBB398_97:
	s_andn2_saveexec_b64 s[0:1], s[0:1]
	s_cbranch_execz .LBB398_102
; %bb.98:
	v_cmp_ne_u64_e32 vcc, 1, v[0:1]
	s_and_saveexec_b64 s[0:1], vcc
	s_xor_b64 s[0:1], exec, s[0:1]
	s_cbranch_execz .LBB398_100
; %bb.99:
	v_mov_b32_e32 v0, 0
	s_waitcnt lgkmcnt(0)
	global_store_dwordx2 v0, v[2:3], s[14:15]
                                        ; implicit-def: $vgpr2_vgpr3_vgpr4_vgpr5
.LBB398_100:
	s_andn2_saveexec_b64 s[0:1], s[0:1]
	s_cbranch_execz .LBB398_102
; %bb.101:
	v_mov_b32_e32 v0, 0
	s_waitcnt lgkmcnt(0)
	global_store_dwordx2 v0, v[4:5], s[14:15]
.LBB398_102:
	s_endpgm
	.section	.rodata,"a",@progbits
	.p2align	6, 0x0
	.amdhsa_kernel _ZN7rocprim17ROCPRIM_400000_NS6detail17trampoline_kernelINS0_14default_configENS1_20scan_config_selectorIxEEZZNS1_9scan_implILNS1_25lookback_scan_determinismE0ELb1ELb1ES3_N6thrust23THRUST_200600_302600_NS6detail15normal_iteratorINS9_10device_ptrIxEEEESE_xNS9_4plusIxEExEEDaPvRmT3_T4_T5_mT6_P12ihipStream_tbENKUlT_T0_E_clISt17integral_constantIbLb0EEST_IbLb1EEEEDaSP_SQ_EUlSP_E_NS1_11comp_targetILNS1_3genE4ELNS1_11target_archE910ELNS1_3gpuE8ELNS1_3repE0EEENS1_30default_config_static_selectorELNS0_4arch9wavefront6targetE1EEEvT1_
		.amdhsa_group_segment_fixed_size 7168
		.amdhsa_private_segment_fixed_size 0
		.amdhsa_kernarg_size 104
		.amdhsa_user_sgpr_count 6
		.amdhsa_user_sgpr_private_segment_buffer 1
		.amdhsa_user_sgpr_dispatch_ptr 0
		.amdhsa_user_sgpr_queue_ptr 0
		.amdhsa_user_sgpr_kernarg_segment_ptr 1
		.amdhsa_user_sgpr_dispatch_id 0
		.amdhsa_user_sgpr_flat_scratch_init 0
		.amdhsa_user_sgpr_kernarg_preload_length 0
		.amdhsa_user_sgpr_kernarg_preload_offset 0
		.amdhsa_user_sgpr_private_segment_size 0
		.amdhsa_uses_dynamic_stack 0
		.amdhsa_system_sgpr_private_segment_wavefront_offset 0
		.amdhsa_system_sgpr_workgroup_id_x 1
		.amdhsa_system_sgpr_workgroup_id_y 0
		.amdhsa_system_sgpr_workgroup_id_z 0
		.amdhsa_system_sgpr_workgroup_info 0
		.amdhsa_system_vgpr_workitem_id 0
		.amdhsa_next_free_vgpr 51
		.amdhsa_next_free_sgpr 40
		.amdhsa_accum_offset 52
		.amdhsa_reserve_vcc 1
		.amdhsa_reserve_flat_scratch 0
		.amdhsa_float_round_mode_32 0
		.amdhsa_float_round_mode_16_64 0
		.amdhsa_float_denorm_mode_32 3
		.amdhsa_float_denorm_mode_16_64 3
		.amdhsa_dx10_clamp 1
		.amdhsa_ieee_mode 1
		.amdhsa_fp16_overflow 0
		.amdhsa_tg_split 0
		.amdhsa_exception_fp_ieee_invalid_op 0
		.amdhsa_exception_fp_denorm_src 0
		.amdhsa_exception_fp_ieee_div_zero 0
		.amdhsa_exception_fp_ieee_overflow 0
		.amdhsa_exception_fp_ieee_underflow 0
		.amdhsa_exception_fp_ieee_inexact 0
		.amdhsa_exception_int_div_zero 0
	.end_amdhsa_kernel
	.section	.text._ZN7rocprim17ROCPRIM_400000_NS6detail17trampoline_kernelINS0_14default_configENS1_20scan_config_selectorIxEEZZNS1_9scan_implILNS1_25lookback_scan_determinismE0ELb1ELb1ES3_N6thrust23THRUST_200600_302600_NS6detail15normal_iteratorINS9_10device_ptrIxEEEESE_xNS9_4plusIxEExEEDaPvRmT3_T4_T5_mT6_P12ihipStream_tbENKUlT_T0_E_clISt17integral_constantIbLb0EEST_IbLb1EEEEDaSP_SQ_EUlSP_E_NS1_11comp_targetILNS1_3genE4ELNS1_11target_archE910ELNS1_3gpuE8ELNS1_3repE0EEENS1_30default_config_static_selectorELNS0_4arch9wavefront6targetE1EEEvT1_,"axG",@progbits,_ZN7rocprim17ROCPRIM_400000_NS6detail17trampoline_kernelINS0_14default_configENS1_20scan_config_selectorIxEEZZNS1_9scan_implILNS1_25lookback_scan_determinismE0ELb1ELb1ES3_N6thrust23THRUST_200600_302600_NS6detail15normal_iteratorINS9_10device_ptrIxEEEESE_xNS9_4plusIxEExEEDaPvRmT3_T4_T5_mT6_P12ihipStream_tbENKUlT_T0_E_clISt17integral_constantIbLb0EEST_IbLb1EEEEDaSP_SQ_EUlSP_E_NS1_11comp_targetILNS1_3genE4ELNS1_11target_archE910ELNS1_3gpuE8ELNS1_3repE0EEENS1_30default_config_static_selectorELNS0_4arch9wavefront6targetE1EEEvT1_,comdat
.Lfunc_end398:
	.size	_ZN7rocprim17ROCPRIM_400000_NS6detail17trampoline_kernelINS0_14default_configENS1_20scan_config_selectorIxEEZZNS1_9scan_implILNS1_25lookback_scan_determinismE0ELb1ELb1ES3_N6thrust23THRUST_200600_302600_NS6detail15normal_iteratorINS9_10device_ptrIxEEEESE_xNS9_4plusIxEExEEDaPvRmT3_T4_T5_mT6_P12ihipStream_tbENKUlT_T0_E_clISt17integral_constantIbLb0EEST_IbLb1EEEEDaSP_SQ_EUlSP_E_NS1_11comp_targetILNS1_3genE4ELNS1_11target_archE910ELNS1_3gpuE8ELNS1_3repE0EEENS1_30default_config_static_selectorELNS0_4arch9wavefront6targetE1EEEvT1_, .Lfunc_end398-_ZN7rocprim17ROCPRIM_400000_NS6detail17trampoline_kernelINS0_14default_configENS1_20scan_config_selectorIxEEZZNS1_9scan_implILNS1_25lookback_scan_determinismE0ELb1ELb1ES3_N6thrust23THRUST_200600_302600_NS6detail15normal_iteratorINS9_10device_ptrIxEEEESE_xNS9_4plusIxEExEEDaPvRmT3_T4_T5_mT6_P12ihipStream_tbENKUlT_T0_E_clISt17integral_constantIbLb0EEST_IbLb1EEEEDaSP_SQ_EUlSP_E_NS1_11comp_targetILNS1_3genE4ELNS1_11target_archE910ELNS1_3gpuE8ELNS1_3repE0EEENS1_30default_config_static_selectorELNS0_4arch9wavefront6targetE1EEEvT1_
                                        ; -- End function
	.section	.AMDGPU.csdata,"",@progbits
; Kernel info:
; codeLenInByte = 5700
; NumSgprs: 44
; NumVgprs: 51
; NumAgprs: 0
; TotalNumVgprs: 51
; ScratchSize: 0
; MemoryBound: 0
; FloatMode: 240
; IeeeMode: 1
; LDSByteSize: 7168 bytes/workgroup (compile time only)
; SGPRBlocks: 5
; VGPRBlocks: 6
; NumSGPRsForWavesPerEU: 44
; NumVGPRsForWavesPerEU: 51
; AccumOffset: 52
; Occupancy: 5
; WaveLimiterHint : 1
; COMPUTE_PGM_RSRC2:SCRATCH_EN: 0
; COMPUTE_PGM_RSRC2:USER_SGPR: 6
; COMPUTE_PGM_RSRC2:TRAP_HANDLER: 0
; COMPUTE_PGM_RSRC2:TGID_X_EN: 1
; COMPUTE_PGM_RSRC2:TGID_Y_EN: 0
; COMPUTE_PGM_RSRC2:TGID_Z_EN: 0
; COMPUTE_PGM_RSRC2:TIDIG_COMP_CNT: 0
; COMPUTE_PGM_RSRC3_GFX90A:ACCUM_OFFSET: 12
; COMPUTE_PGM_RSRC3_GFX90A:TG_SPLIT: 0
	.section	.text._ZN7rocprim17ROCPRIM_400000_NS6detail17trampoline_kernelINS0_14default_configENS1_20scan_config_selectorIxEEZZNS1_9scan_implILNS1_25lookback_scan_determinismE0ELb1ELb1ES3_N6thrust23THRUST_200600_302600_NS6detail15normal_iteratorINS9_10device_ptrIxEEEESE_xNS9_4plusIxEExEEDaPvRmT3_T4_T5_mT6_P12ihipStream_tbENKUlT_T0_E_clISt17integral_constantIbLb0EEST_IbLb1EEEEDaSP_SQ_EUlSP_E_NS1_11comp_targetILNS1_3genE3ELNS1_11target_archE908ELNS1_3gpuE7ELNS1_3repE0EEENS1_30default_config_static_selectorELNS0_4arch9wavefront6targetE1EEEvT1_,"axG",@progbits,_ZN7rocprim17ROCPRIM_400000_NS6detail17trampoline_kernelINS0_14default_configENS1_20scan_config_selectorIxEEZZNS1_9scan_implILNS1_25lookback_scan_determinismE0ELb1ELb1ES3_N6thrust23THRUST_200600_302600_NS6detail15normal_iteratorINS9_10device_ptrIxEEEESE_xNS9_4plusIxEExEEDaPvRmT3_T4_T5_mT6_P12ihipStream_tbENKUlT_T0_E_clISt17integral_constantIbLb0EEST_IbLb1EEEEDaSP_SQ_EUlSP_E_NS1_11comp_targetILNS1_3genE3ELNS1_11target_archE908ELNS1_3gpuE7ELNS1_3repE0EEENS1_30default_config_static_selectorELNS0_4arch9wavefront6targetE1EEEvT1_,comdat
	.protected	_ZN7rocprim17ROCPRIM_400000_NS6detail17trampoline_kernelINS0_14default_configENS1_20scan_config_selectorIxEEZZNS1_9scan_implILNS1_25lookback_scan_determinismE0ELb1ELb1ES3_N6thrust23THRUST_200600_302600_NS6detail15normal_iteratorINS9_10device_ptrIxEEEESE_xNS9_4plusIxEExEEDaPvRmT3_T4_T5_mT6_P12ihipStream_tbENKUlT_T0_E_clISt17integral_constantIbLb0EEST_IbLb1EEEEDaSP_SQ_EUlSP_E_NS1_11comp_targetILNS1_3genE3ELNS1_11target_archE908ELNS1_3gpuE7ELNS1_3repE0EEENS1_30default_config_static_selectorELNS0_4arch9wavefront6targetE1EEEvT1_ ; -- Begin function _ZN7rocprim17ROCPRIM_400000_NS6detail17trampoline_kernelINS0_14default_configENS1_20scan_config_selectorIxEEZZNS1_9scan_implILNS1_25lookback_scan_determinismE0ELb1ELb1ES3_N6thrust23THRUST_200600_302600_NS6detail15normal_iteratorINS9_10device_ptrIxEEEESE_xNS9_4plusIxEExEEDaPvRmT3_T4_T5_mT6_P12ihipStream_tbENKUlT_T0_E_clISt17integral_constantIbLb0EEST_IbLb1EEEEDaSP_SQ_EUlSP_E_NS1_11comp_targetILNS1_3genE3ELNS1_11target_archE908ELNS1_3gpuE7ELNS1_3repE0EEENS1_30default_config_static_selectorELNS0_4arch9wavefront6targetE1EEEvT1_
	.globl	_ZN7rocprim17ROCPRIM_400000_NS6detail17trampoline_kernelINS0_14default_configENS1_20scan_config_selectorIxEEZZNS1_9scan_implILNS1_25lookback_scan_determinismE0ELb1ELb1ES3_N6thrust23THRUST_200600_302600_NS6detail15normal_iteratorINS9_10device_ptrIxEEEESE_xNS9_4plusIxEExEEDaPvRmT3_T4_T5_mT6_P12ihipStream_tbENKUlT_T0_E_clISt17integral_constantIbLb0EEST_IbLb1EEEEDaSP_SQ_EUlSP_E_NS1_11comp_targetILNS1_3genE3ELNS1_11target_archE908ELNS1_3gpuE7ELNS1_3repE0EEENS1_30default_config_static_selectorELNS0_4arch9wavefront6targetE1EEEvT1_
	.p2align	8
	.type	_ZN7rocprim17ROCPRIM_400000_NS6detail17trampoline_kernelINS0_14default_configENS1_20scan_config_selectorIxEEZZNS1_9scan_implILNS1_25lookback_scan_determinismE0ELb1ELb1ES3_N6thrust23THRUST_200600_302600_NS6detail15normal_iteratorINS9_10device_ptrIxEEEESE_xNS9_4plusIxEExEEDaPvRmT3_T4_T5_mT6_P12ihipStream_tbENKUlT_T0_E_clISt17integral_constantIbLb0EEST_IbLb1EEEEDaSP_SQ_EUlSP_E_NS1_11comp_targetILNS1_3genE3ELNS1_11target_archE908ELNS1_3gpuE7ELNS1_3repE0EEENS1_30default_config_static_selectorELNS0_4arch9wavefront6targetE1EEEvT1_,@function
_ZN7rocprim17ROCPRIM_400000_NS6detail17trampoline_kernelINS0_14default_configENS1_20scan_config_selectorIxEEZZNS1_9scan_implILNS1_25lookback_scan_determinismE0ELb1ELb1ES3_N6thrust23THRUST_200600_302600_NS6detail15normal_iteratorINS9_10device_ptrIxEEEESE_xNS9_4plusIxEExEEDaPvRmT3_T4_T5_mT6_P12ihipStream_tbENKUlT_T0_E_clISt17integral_constantIbLb0EEST_IbLb1EEEEDaSP_SQ_EUlSP_E_NS1_11comp_targetILNS1_3genE3ELNS1_11target_archE908ELNS1_3gpuE7ELNS1_3repE0EEENS1_30default_config_static_selectorELNS0_4arch9wavefront6targetE1EEEvT1_: ; @_ZN7rocprim17ROCPRIM_400000_NS6detail17trampoline_kernelINS0_14default_configENS1_20scan_config_selectorIxEEZZNS1_9scan_implILNS1_25lookback_scan_determinismE0ELb1ELb1ES3_N6thrust23THRUST_200600_302600_NS6detail15normal_iteratorINS9_10device_ptrIxEEEESE_xNS9_4plusIxEExEEDaPvRmT3_T4_T5_mT6_P12ihipStream_tbENKUlT_T0_E_clISt17integral_constantIbLb0EEST_IbLb1EEEEDaSP_SQ_EUlSP_E_NS1_11comp_targetILNS1_3genE3ELNS1_11target_archE908ELNS1_3gpuE7ELNS1_3repE0EEENS1_30default_config_static_selectorELNS0_4arch9wavefront6targetE1EEEvT1_
; %bb.0:
	.section	.rodata,"a",@progbits
	.p2align	6, 0x0
	.amdhsa_kernel _ZN7rocprim17ROCPRIM_400000_NS6detail17trampoline_kernelINS0_14default_configENS1_20scan_config_selectorIxEEZZNS1_9scan_implILNS1_25lookback_scan_determinismE0ELb1ELb1ES3_N6thrust23THRUST_200600_302600_NS6detail15normal_iteratorINS9_10device_ptrIxEEEESE_xNS9_4plusIxEExEEDaPvRmT3_T4_T5_mT6_P12ihipStream_tbENKUlT_T0_E_clISt17integral_constantIbLb0EEST_IbLb1EEEEDaSP_SQ_EUlSP_E_NS1_11comp_targetILNS1_3genE3ELNS1_11target_archE908ELNS1_3gpuE7ELNS1_3repE0EEENS1_30default_config_static_selectorELNS0_4arch9wavefront6targetE1EEEvT1_
		.amdhsa_group_segment_fixed_size 0
		.amdhsa_private_segment_fixed_size 0
		.amdhsa_kernarg_size 104
		.amdhsa_user_sgpr_count 6
		.amdhsa_user_sgpr_private_segment_buffer 1
		.amdhsa_user_sgpr_dispatch_ptr 0
		.amdhsa_user_sgpr_queue_ptr 0
		.amdhsa_user_sgpr_kernarg_segment_ptr 1
		.amdhsa_user_sgpr_dispatch_id 0
		.amdhsa_user_sgpr_flat_scratch_init 0
		.amdhsa_user_sgpr_kernarg_preload_length 0
		.amdhsa_user_sgpr_kernarg_preload_offset 0
		.amdhsa_user_sgpr_private_segment_size 0
		.amdhsa_uses_dynamic_stack 0
		.amdhsa_system_sgpr_private_segment_wavefront_offset 0
		.amdhsa_system_sgpr_workgroup_id_x 1
		.amdhsa_system_sgpr_workgroup_id_y 0
		.amdhsa_system_sgpr_workgroup_id_z 0
		.amdhsa_system_sgpr_workgroup_info 0
		.amdhsa_system_vgpr_workitem_id 0
		.amdhsa_next_free_vgpr 1
		.amdhsa_next_free_sgpr 0
		.amdhsa_accum_offset 4
		.amdhsa_reserve_vcc 0
		.amdhsa_reserve_flat_scratch 0
		.amdhsa_float_round_mode_32 0
		.amdhsa_float_round_mode_16_64 0
		.amdhsa_float_denorm_mode_32 3
		.amdhsa_float_denorm_mode_16_64 3
		.amdhsa_dx10_clamp 1
		.amdhsa_ieee_mode 1
		.amdhsa_fp16_overflow 0
		.amdhsa_tg_split 0
		.amdhsa_exception_fp_ieee_invalid_op 0
		.amdhsa_exception_fp_denorm_src 0
		.amdhsa_exception_fp_ieee_div_zero 0
		.amdhsa_exception_fp_ieee_overflow 0
		.amdhsa_exception_fp_ieee_underflow 0
		.amdhsa_exception_fp_ieee_inexact 0
		.amdhsa_exception_int_div_zero 0
	.end_amdhsa_kernel
	.section	.text._ZN7rocprim17ROCPRIM_400000_NS6detail17trampoline_kernelINS0_14default_configENS1_20scan_config_selectorIxEEZZNS1_9scan_implILNS1_25lookback_scan_determinismE0ELb1ELb1ES3_N6thrust23THRUST_200600_302600_NS6detail15normal_iteratorINS9_10device_ptrIxEEEESE_xNS9_4plusIxEExEEDaPvRmT3_T4_T5_mT6_P12ihipStream_tbENKUlT_T0_E_clISt17integral_constantIbLb0EEST_IbLb1EEEEDaSP_SQ_EUlSP_E_NS1_11comp_targetILNS1_3genE3ELNS1_11target_archE908ELNS1_3gpuE7ELNS1_3repE0EEENS1_30default_config_static_selectorELNS0_4arch9wavefront6targetE1EEEvT1_,"axG",@progbits,_ZN7rocprim17ROCPRIM_400000_NS6detail17trampoline_kernelINS0_14default_configENS1_20scan_config_selectorIxEEZZNS1_9scan_implILNS1_25lookback_scan_determinismE0ELb1ELb1ES3_N6thrust23THRUST_200600_302600_NS6detail15normal_iteratorINS9_10device_ptrIxEEEESE_xNS9_4plusIxEExEEDaPvRmT3_T4_T5_mT6_P12ihipStream_tbENKUlT_T0_E_clISt17integral_constantIbLb0EEST_IbLb1EEEEDaSP_SQ_EUlSP_E_NS1_11comp_targetILNS1_3genE3ELNS1_11target_archE908ELNS1_3gpuE7ELNS1_3repE0EEENS1_30default_config_static_selectorELNS0_4arch9wavefront6targetE1EEEvT1_,comdat
.Lfunc_end399:
	.size	_ZN7rocprim17ROCPRIM_400000_NS6detail17trampoline_kernelINS0_14default_configENS1_20scan_config_selectorIxEEZZNS1_9scan_implILNS1_25lookback_scan_determinismE0ELb1ELb1ES3_N6thrust23THRUST_200600_302600_NS6detail15normal_iteratorINS9_10device_ptrIxEEEESE_xNS9_4plusIxEExEEDaPvRmT3_T4_T5_mT6_P12ihipStream_tbENKUlT_T0_E_clISt17integral_constantIbLb0EEST_IbLb1EEEEDaSP_SQ_EUlSP_E_NS1_11comp_targetILNS1_3genE3ELNS1_11target_archE908ELNS1_3gpuE7ELNS1_3repE0EEENS1_30default_config_static_selectorELNS0_4arch9wavefront6targetE1EEEvT1_, .Lfunc_end399-_ZN7rocprim17ROCPRIM_400000_NS6detail17trampoline_kernelINS0_14default_configENS1_20scan_config_selectorIxEEZZNS1_9scan_implILNS1_25lookback_scan_determinismE0ELb1ELb1ES3_N6thrust23THRUST_200600_302600_NS6detail15normal_iteratorINS9_10device_ptrIxEEEESE_xNS9_4plusIxEExEEDaPvRmT3_T4_T5_mT6_P12ihipStream_tbENKUlT_T0_E_clISt17integral_constantIbLb0EEST_IbLb1EEEEDaSP_SQ_EUlSP_E_NS1_11comp_targetILNS1_3genE3ELNS1_11target_archE908ELNS1_3gpuE7ELNS1_3repE0EEENS1_30default_config_static_selectorELNS0_4arch9wavefront6targetE1EEEvT1_
                                        ; -- End function
	.section	.AMDGPU.csdata,"",@progbits
; Kernel info:
; codeLenInByte = 0
; NumSgprs: 4
; NumVgprs: 0
; NumAgprs: 0
; TotalNumVgprs: 0
; ScratchSize: 0
; MemoryBound: 0
; FloatMode: 240
; IeeeMode: 1
; LDSByteSize: 0 bytes/workgroup (compile time only)
; SGPRBlocks: 0
; VGPRBlocks: 0
; NumSGPRsForWavesPerEU: 4
; NumVGPRsForWavesPerEU: 1
; AccumOffset: 4
; Occupancy: 8
; WaveLimiterHint : 0
; COMPUTE_PGM_RSRC2:SCRATCH_EN: 0
; COMPUTE_PGM_RSRC2:USER_SGPR: 6
; COMPUTE_PGM_RSRC2:TRAP_HANDLER: 0
; COMPUTE_PGM_RSRC2:TGID_X_EN: 1
; COMPUTE_PGM_RSRC2:TGID_Y_EN: 0
; COMPUTE_PGM_RSRC2:TGID_Z_EN: 0
; COMPUTE_PGM_RSRC2:TIDIG_COMP_CNT: 0
; COMPUTE_PGM_RSRC3_GFX90A:ACCUM_OFFSET: 0
; COMPUTE_PGM_RSRC3_GFX90A:TG_SPLIT: 0
	.section	.text._ZN7rocprim17ROCPRIM_400000_NS6detail17trampoline_kernelINS0_14default_configENS1_20scan_config_selectorIxEEZZNS1_9scan_implILNS1_25lookback_scan_determinismE0ELb1ELb1ES3_N6thrust23THRUST_200600_302600_NS6detail15normal_iteratorINS9_10device_ptrIxEEEESE_xNS9_4plusIxEExEEDaPvRmT3_T4_T5_mT6_P12ihipStream_tbENKUlT_T0_E_clISt17integral_constantIbLb0EEST_IbLb1EEEEDaSP_SQ_EUlSP_E_NS1_11comp_targetILNS1_3genE2ELNS1_11target_archE906ELNS1_3gpuE6ELNS1_3repE0EEENS1_30default_config_static_selectorELNS0_4arch9wavefront6targetE1EEEvT1_,"axG",@progbits,_ZN7rocprim17ROCPRIM_400000_NS6detail17trampoline_kernelINS0_14default_configENS1_20scan_config_selectorIxEEZZNS1_9scan_implILNS1_25lookback_scan_determinismE0ELb1ELb1ES3_N6thrust23THRUST_200600_302600_NS6detail15normal_iteratorINS9_10device_ptrIxEEEESE_xNS9_4plusIxEExEEDaPvRmT3_T4_T5_mT6_P12ihipStream_tbENKUlT_T0_E_clISt17integral_constantIbLb0EEST_IbLb1EEEEDaSP_SQ_EUlSP_E_NS1_11comp_targetILNS1_3genE2ELNS1_11target_archE906ELNS1_3gpuE6ELNS1_3repE0EEENS1_30default_config_static_selectorELNS0_4arch9wavefront6targetE1EEEvT1_,comdat
	.protected	_ZN7rocprim17ROCPRIM_400000_NS6detail17trampoline_kernelINS0_14default_configENS1_20scan_config_selectorIxEEZZNS1_9scan_implILNS1_25lookback_scan_determinismE0ELb1ELb1ES3_N6thrust23THRUST_200600_302600_NS6detail15normal_iteratorINS9_10device_ptrIxEEEESE_xNS9_4plusIxEExEEDaPvRmT3_T4_T5_mT6_P12ihipStream_tbENKUlT_T0_E_clISt17integral_constantIbLb0EEST_IbLb1EEEEDaSP_SQ_EUlSP_E_NS1_11comp_targetILNS1_3genE2ELNS1_11target_archE906ELNS1_3gpuE6ELNS1_3repE0EEENS1_30default_config_static_selectorELNS0_4arch9wavefront6targetE1EEEvT1_ ; -- Begin function _ZN7rocprim17ROCPRIM_400000_NS6detail17trampoline_kernelINS0_14default_configENS1_20scan_config_selectorIxEEZZNS1_9scan_implILNS1_25lookback_scan_determinismE0ELb1ELb1ES3_N6thrust23THRUST_200600_302600_NS6detail15normal_iteratorINS9_10device_ptrIxEEEESE_xNS9_4plusIxEExEEDaPvRmT3_T4_T5_mT6_P12ihipStream_tbENKUlT_T0_E_clISt17integral_constantIbLb0EEST_IbLb1EEEEDaSP_SQ_EUlSP_E_NS1_11comp_targetILNS1_3genE2ELNS1_11target_archE906ELNS1_3gpuE6ELNS1_3repE0EEENS1_30default_config_static_selectorELNS0_4arch9wavefront6targetE1EEEvT1_
	.globl	_ZN7rocprim17ROCPRIM_400000_NS6detail17trampoline_kernelINS0_14default_configENS1_20scan_config_selectorIxEEZZNS1_9scan_implILNS1_25lookback_scan_determinismE0ELb1ELb1ES3_N6thrust23THRUST_200600_302600_NS6detail15normal_iteratorINS9_10device_ptrIxEEEESE_xNS9_4plusIxEExEEDaPvRmT3_T4_T5_mT6_P12ihipStream_tbENKUlT_T0_E_clISt17integral_constantIbLb0EEST_IbLb1EEEEDaSP_SQ_EUlSP_E_NS1_11comp_targetILNS1_3genE2ELNS1_11target_archE906ELNS1_3gpuE6ELNS1_3repE0EEENS1_30default_config_static_selectorELNS0_4arch9wavefront6targetE1EEEvT1_
	.p2align	8
	.type	_ZN7rocprim17ROCPRIM_400000_NS6detail17trampoline_kernelINS0_14default_configENS1_20scan_config_selectorIxEEZZNS1_9scan_implILNS1_25lookback_scan_determinismE0ELb1ELb1ES3_N6thrust23THRUST_200600_302600_NS6detail15normal_iteratorINS9_10device_ptrIxEEEESE_xNS9_4plusIxEExEEDaPvRmT3_T4_T5_mT6_P12ihipStream_tbENKUlT_T0_E_clISt17integral_constantIbLb0EEST_IbLb1EEEEDaSP_SQ_EUlSP_E_NS1_11comp_targetILNS1_3genE2ELNS1_11target_archE906ELNS1_3gpuE6ELNS1_3repE0EEENS1_30default_config_static_selectorELNS0_4arch9wavefront6targetE1EEEvT1_,@function
_ZN7rocprim17ROCPRIM_400000_NS6detail17trampoline_kernelINS0_14default_configENS1_20scan_config_selectorIxEEZZNS1_9scan_implILNS1_25lookback_scan_determinismE0ELb1ELb1ES3_N6thrust23THRUST_200600_302600_NS6detail15normal_iteratorINS9_10device_ptrIxEEEESE_xNS9_4plusIxEExEEDaPvRmT3_T4_T5_mT6_P12ihipStream_tbENKUlT_T0_E_clISt17integral_constantIbLb0EEST_IbLb1EEEEDaSP_SQ_EUlSP_E_NS1_11comp_targetILNS1_3genE2ELNS1_11target_archE906ELNS1_3gpuE6ELNS1_3repE0EEENS1_30default_config_static_selectorELNS0_4arch9wavefront6targetE1EEEvT1_: ; @_ZN7rocprim17ROCPRIM_400000_NS6detail17trampoline_kernelINS0_14default_configENS1_20scan_config_selectorIxEEZZNS1_9scan_implILNS1_25lookback_scan_determinismE0ELb1ELb1ES3_N6thrust23THRUST_200600_302600_NS6detail15normal_iteratorINS9_10device_ptrIxEEEESE_xNS9_4plusIxEExEEDaPvRmT3_T4_T5_mT6_P12ihipStream_tbENKUlT_T0_E_clISt17integral_constantIbLb0EEST_IbLb1EEEEDaSP_SQ_EUlSP_E_NS1_11comp_targetILNS1_3genE2ELNS1_11target_archE906ELNS1_3gpuE6ELNS1_3repE0EEENS1_30default_config_static_selectorELNS0_4arch9wavefront6targetE1EEEvT1_
; %bb.0:
	.section	.rodata,"a",@progbits
	.p2align	6, 0x0
	.amdhsa_kernel _ZN7rocprim17ROCPRIM_400000_NS6detail17trampoline_kernelINS0_14default_configENS1_20scan_config_selectorIxEEZZNS1_9scan_implILNS1_25lookback_scan_determinismE0ELb1ELb1ES3_N6thrust23THRUST_200600_302600_NS6detail15normal_iteratorINS9_10device_ptrIxEEEESE_xNS9_4plusIxEExEEDaPvRmT3_T4_T5_mT6_P12ihipStream_tbENKUlT_T0_E_clISt17integral_constantIbLb0EEST_IbLb1EEEEDaSP_SQ_EUlSP_E_NS1_11comp_targetILNS1_3genE2ELNS1_11target_archE906ELNS1_3gpuE6ELNS1_3repE0EEENS1_30default_config_static_selectorELNS0_4arch9wavefront6targetE1EEEvT1_
		.amdhsa_group_segment_fixed_size 0
		.amdhsa_private_segment_fixed_size 0
		.amdhsa_kernarg_size 104
		.amdhsa_user_sgpr_count 6
		.amdhsa_user_sgpr_private_segment_buffer 1
		.amdhsa_user_sgpr_dispatch_ptr 0
		.amdhsa_user_sgpr_queue_ptr 0
		.amdhsa_user_sgpr_kernarg_segment_ptr 1
		.amdhsa_user_sgpr_dispatch_id 0
		.amdhsa_user_sgpr_flat_scratch_init 0
		.amdhsa_user_sgpr_kernarg_preload_length 0
		.amdhsa_user_sgpr_kernarg_preload_offset 0
		.amdhsa_user_sgpr_private_segment_size 0
		.amdhsa_uses_dynamic_stack 0
		.amdhsa_system_sgpr_private_segment_wavefront_offset 0
		.amdhsa_system_sgpr_workgroup_id_x 1
		.amdhsa_system_sgpr_workgroup_id_y 0
		.amdhsa_system_sgpr_workgroup_id_z 0
		.amdhsa_system_sgpr_workgroup_info 0
		.amdhsa_system_vgpr_workitem_id 0
		.amdhsa_next_free_vgpr 1
		.amdhsa_next_free_sgpr 0
		.amdhsa_accum_offset 4
		.amdhsa_reserve_vcc 0
		.amdhsa_reserve_flat_scratch 0
		.amdhsa_float_round_mode_32 0
		.amdhsa_float_round_mode_16_64 0
		.amdhsa_float_denorm_mode_32 3
		.amdhsa_float_denorm_mode_16_64 3
		.amdhsa_dx10_clamp 1
		.amdhsa_ieee_mode 1
		.amdhsa_fp16_overflow 0
		.amdhsa_tg_split 0
		.amdhsa_exception_fp_ieee_invalid_op 0
		.amdhsa_exception_fp_denorm_src 0
		.amdhsa_exception_fp_ieee_div_zero 0
		.amdhsa_exception_fp_ieee_overflow 0
		.amdhsa_exception_fp_ieee_underflow 0
		.amdhsa_exception_fp_ieee_inexact 0
		.amdhsa_exception_int_div_zero 0
	.end_amdhsa_kernel
	.section	.text._ZN7rocprim17ROCPRIM_400000_NS6detail17trampoline_kernelINS0_14default_configENS1_20scan_config_selectorIxEEZZNS1_9scan_implILNS1_25lookback_scan_determinismE0ELb1ELb1ES3_N6thrust23THRUST_200600_302600_NS6detail15normal_iteratorINS9_10device_ptrIxEEEESE_xNS9_4plusIxEExEEDaPvRmT3_T4_T5_mT6_P12ihipStream_tbENKUlT_T0_E_clISt17integral_constantIbLb0EEST_IbLb1EEEEDaSP_SQ_EUlSP_E_NS1_11comp_targetILNS1_3genE2ELNS1_11target_archE906ELNS1_3gpuE6ELNS1_3repE0EEENS1_30default_config_static_selectorELNS0_4arch9wavefront6targetE1EEEvT1_,"axG",@progbits,_ZN7rocprim17ROCPRIM_400000_NS6detail17trampoline_kernelINS0_14default_configENS1_20scan_config_selectorIxEEZZNS1_9scan_implILNS1_25lookback_scan_determinismE0ELb1ELb1ES3_N6thrust23THRUST_200600_302600_NS6detail15normal_iteratorINS9_10device_ptrIxEEEESE_xNS9_4plusIxEExEEDaPvRmT3_T4_T5_mT6_P12ihipStream_tbENKUlT_T0_E_clISt17integral_constantIbLb0EEST_IbLb1EEEEDaSP_SQ_EUlSP_E_NS1_11comp_targetILNS1_3genE2ELNS1_11target_archE906ELNS1_3gpuE6ELNS1_3repE0EEENS1_30default_config_static_selectorELNS0_4arch9wavefront6targetE1EEEvT1_,comdat
.Lfunc_end400:
	.size	_ZN7rocprim17ROCPRIM_400000_NS6detail17trampoline_kernelINS0_14default_configENS1_20scan_config_selectorIxEEZZNS1_9scan_implILNS1_25lookback_scan_determinismE0ELb1ELb1ES3_N6thrust23THRUST_200600_302600_NS6detail15normal_iteratorINS9_10device_ptrIxEEEESE_xNS9_4plusIxEExEEDaPvRmT3_T4_T5_mT6_P12ihipStream_tbENKUlT_T0_E_clISt17integral_constantIbLb0EEST_IbLb1EEEEDaSP_SQ_EUlSP_E_NS1_11comp_targetILNS1_3genE2ELNS1_11target_archE906ELNS1_3gpuE6ELNS1_3repE0EEENS1_30default_config_static_selectorELNS0_4arch9wavefront6targetE1EEEvT1_, .Lfunc_end400-_ZN7rocprim17ROCPRIM_400000_NS6detail17trampoline_kernelINS0_14default_configENS1_20scan_config_selectorIxEEZZNS1_9scan_implILNS1_25lookback_scan_determinismE0ELb1ELb1ES3_N6thrust23THRUST_200600_302600_NS6detail15normal_iteratorINS9_10device_ptrIxEEEESE_xNS9_4plusIxEExEEDaPvRmT3_T4_T5_mT6_P12ihipStream_tbENKUlT_T0_E_clISt17integral_constantIbLb0EEST_IbLb1EEEEDaSP_SQ_EUlSP_E_NS1_11comp_targetILNS1_3genE2ELNS1_11target_archE906ELNS1_3gpuE6ELNS1_3repE0EEENS1_30default_config_static_selectorELNS0_4arch9wavefront6targetE1EEEvT1_
                                        ; -- End function
	.section	.AMDGPU.csdata,"",@progbits
; Kernel info:
; codeLenInByte = 0
; NumSgprs: 4
; NumVgprs: 0
; NumAgprs: 0
; TotalNumVgprs: 0
; ScratchSize: 0
; MemoryBound: 0
; FloatMode: 240
; IeeeMode: 1
; LDSByteSize: 0 bytes/workgroup (compile time only)
; SGPRBlocks: 0
; VGPRBlocks: 0
; NumSGPRsForWavesPerEU: 4
; NumVGPRsForWavesPerEU: 1
; AccumOffset: 4
; Occupancy: 8
; WaveLimiterHint : 0
; COMPUTE_PGM_RSRC2:SCRATCH_EN: 0
; COMPUTE_PGM_RSRC2:USER_SGPR: 6
; COMPUTE_PGM_RSRC2:TRAP_HANDLER: 0
; COMPUTE_PGM_RSRC2:TGID_X_EN: 1
; COMPUTE_PGM_RSRC2:TGID_Y_EN: 0
; COMPUTE_PGM_RSRC2:TGID_Z_EN: 0
; COMPUTE_PGM_RSRC2:TIDIG_COMP_CNT: 0
; COMPUTE_PGM_RSRC3_GFX90A:ACCUM_OFFSET: 0
; COMPUTE_PGM_RSRC3_GFX90A:TG_SPLIT: 0
	.section	.text._ZN7rocprim17ROCPRIM_400000_NS6detail17trampoline_kernelINS0_14default_configENS1_20scan_config_selectorIxEEZZNS1_9scan_implILNS1_25lookback_scan_determinismE0ELb1ELb1ES3_N6thrust23THRUST_200600_302600_NS6detail15normal_iteratorINS9_10device_ptrIxEEEESE_xNS9_4plusIxEExEEDaPvRmT3_T4_T5_mT6_P12ihipStream_tbENKUlT_T0_E_clISt17integral_constantIbLb0EEST_IbLb1EEEEDaSP_SQ_EUlSP_E_NS1_11comp_targetILNS1_3genE10ELNS1_11target_archE1201ELNS1_3gpuE5ELNS1_3repE0EEENS1_30default_config_static_selectorELNS0_4arch9wavefront6targetE1EEEvT1_,"axG",@progbits,_ZN7rocprim17ROCPRIM_400000_NS6detail17trampoline_kernelINS0_14default_configENS1_20scan_config_selectorIxEEZZNS1_9scan_implILNS1_25lookback_scan_determinismE0ELb1ELb1ES3_N6thrust23THRUST_200600_302600_NS6detail15normal_iteratorINS9_10device_ptrIxEEEESE_xNS9_4plusIxEExEEDaPvRmT3_T4_T5_mT6_P12ihipStream_tbENKUlT_T0_E_clISt17integral_constantIbLb0EEST_IbLb1EEEEDaSP_SQ_EUlSP_E_NS1_11comp_targetILNS1_3genE10ELNS1_11target_archE1201ELNS1_3gpuE5ELNS1_3repE0EEENS1_30default_config_static_selectorELNS0_4arch9wavefront6targetE1EEEvT1_,comdat
	.protected	_ZN7rocprim17ROCPRIM_400000_NS6detail17trampoline_kernelINS0_14default_configENS1_20scan_config_selectorIxEEZZNS1_9scan_implILNS1_25lookback_scan_determinismE0ELb1ELb1ES3_N6thrust23THRUST_200600_302600_NS6detail15normal_iteratorINS9_10device_ptrIxEEEESE_xNS9_4plusIxEExEEDaPvRmT3_T4_T5_mT6_P12ihipStream_tbENKUlT_T0_E_clISt17integral_constantIbLb0EEST_IbLb1EEEEDaSP_SQ_EUlSP_E_NS1_11comp_targetILNS1_3genE10ELNS1_11target_archE1201ELNS1_3gpuE5ELNS1_3repE0EEENS1_30default_config_static_selectorELNS0_4arch9wavefront6targetE1EEEvT1_ ; -- Begin function _ZN7rocprim17ROCPRIM_400000_NS6detail17trampoline_kernelINS0_14default_configENS1_20scan_config_selectorIxEEZZNS1_9scan_implILNS1_25lookback_scan_determinismE0ELb1ELb1ES3_N6thrust23THRUST_200600_302600_NS6detail15normal_iteratorINS9_10device_ptrIxEEEESE_xNS9_4plusIxEExEEDaPvRmT3_T4_T5_mT6_P12ihipStream_tbENKUlT_T0_E_clISt17integral_constantIbLb0EEST_IbLb1EEEEDaSP_SQ_EUlSP_E_NS1_11comp_targetILNS1_3genE10ELNS1_11target_archE1201ELNS1_3gpuE5ELNS1_3repE0EEENS1_30default_config_static_selectorELNS0_4arch9wavefront6targetE1EEEvT1_
	.globl	_ZN7rocprim17ROCPRIM_400000_NS6detail17trampoline_kernelINS0_14default_configENS1_20scan_config_selectorIxEEZZNS1_9scan_implILNS1_25lookback_scan_determinismE0ELb1ELb1ES3_N6thrust23THRUST_200600_302600_NS6detail15normal_iteratorINS9_10device_ptrIxEEEESE_xNS9_4plusIxEExEEDaPvRmT3_T4_T5_mT6_P12ihipStream_tbENKUlT_T0_E_clISt17integral_constantIbLb0EEST_IbLb1EEEEDaSP_SQ_EUlSP_E_NS1_11comp_targetILNS1_3genE10ELNS1_11target_archE1201ELNS1_3gpuE5ELNS1_3repE0EEENS1_30default_config_static_selectorELNS0_4arch9wavefront6targetE1EEEvT1_
	.p2align	8
	.type	_ZN7rocprim17ROCPRIM_400000_NS6detail17trampoline_kernelINS0_14default_configENS1_20scan_config_selectorIxEEZZNS1_9scan_implILNS1_25lookback_scan_determinismE0ELb1ELb1ES3_N6thrust23THRUST_200600_302600_NS6detail15normal_iteratorINS9_10device_ptrIxEEEESE_xNS9_4plusIxEExEEDaPvRmT3_T4_T5_mT6_P12ihipStream_tbENKUlT_T0_E_clISt17integral_constantIbLb0EEST_IbLb1EEEEDaSP_SQ_EUlSP_E_NS1_11comp_targetILNS1_3genE10ELNS1_11target_archE1201ELNS1_3gpuE5ELNS1_3repE0EEENS1_30default_config_static_selectorELNS0_4arch9wavefront6targetE1EEEvT1_,@function
_ZN7rocprim17ROCPRIM_400000_NS6detail17trampoline_kernelINS0_14default_configENS1_20scan_config_selectorIxEEZZNS1_9scan_implILNS1_25lookback_scan_determinismE0ELb1ELb1ES3_N6thrust23THRUST_200600_302600_NS6detail15normal_iteratorINS9_10device_ptrIxEEEESE_xNS9_4plusIxEExEEDaPvRmT3_T4_T5_mT6_P12ihipStream_tbENKUlT_T0_E_clISt17integral_constantIbLb0EEST_IbLb1EEEEDaSP_SQ_EUlSP_E_NS1_11comp_targetILNS1_3genE10ELNS1_11target_archE1201ELNS1_3gpuE5ELNS1_3repE0EEENS1_30default_config_static_selectorELNS0_4arch9wavefront6targetE1EEEvT1_: ; @_ZN7rocprim17ROCPRIM_400000_NS6detail17trampoline_kernelINS0_14default_configENS1_20scan_config_selectorIxEEZZNS1_9scan_implILNS1_25lookback_scan_determinismE0ELb1ELb1ES3_N6thrust23THRUST_200600_302600_NS6detail15normal_iteratorINS9_10device_ptrIxEEEESE_xNS9_4plusIxEExEEDaPvRmT3_T4_T5_mT6_P12ihipStream_tbENKUlT_T0_E_clISt17integral_constantIbLb0EEST_IbLb1EEEEDaSP_SQ_EUlSP_E_NS1_11comp_targetILNS1_3genE10ELNS1_11target_archE1201ELNS1_3gpuE5ELNS1_3repE0EEENS1_30default_config_static_selectorELNS0_4arch9wavefront6targetE1EEEvT1_
; %bb.0:
	.section	.rodata,"a",@progbits
	.p2align	6, 0x0
	.amdhsa_kernel _ZN7rocprim17ROCPRIM_400000_NS6detail17trampoline_kernelINS0_14default_configENS1_20scan_config_selectorIxEEZZNS1_9scan_implILNS1_25lookback_scan_determinismE0ELb1ELb1ES3_N6thrust23THRUST_200600_302600_NS6detail15normal_iteratorINS9_10device_ptrIxEEEESE_xNS9_4plusIxEExEEDaPvRmT3_T4_T5_mT6_P12ihipStream_tbENKUlT_T0_E_clISt17integral_constantIbLb0EEST_IbLb1EEEEDaSP_SQ_EUlSP_E_NS1_11comp_targetILNS1_3genE10ELNS1_11target_archE1201ELNS1_3gpuE5ELNS1_3repE0EEENS1_30default_config_static_selectorELNS0_4arch9wavefront6targetE1EEEvT1_
		.amdhsa_group_segment_fixed_size 0
		.amdhsa_private_segment_fixed_size 0
		.amdhsa_kernarg_size 104
		.amdhsa_user_sgpr_count 6
		.amdhsa_user_sgpr_private_segment_buffer 1
		.amdhsa_user_sgpr_dispatch_ptr 0
		.amdhsa_user_sgpr_queue_ptr 0
		.amdhsa_user_sgpr_kernarg_segment_ptr 1
		.amdhsa_user_sgpr_dispatch_id 0
		.amdhsa_user_sgpr_flat_scratch_init 0
		.amdhsa_user_sgpr_kernarg_preload_length 0
		.amdhsa_user_sgpr_kernarg_preload_offset 0
		.amdhsa_user_sgpr_private_segment_size 0
		.amdhsa_uses_dynamic_stack 0
		.amdhsa_system_sgpr_private_segment_wavefront_offset 0
		.amdhsa_system_sgpr_workgroup_id_x 1
		.amdhsa_system_sgpr_workgroup_id_y 0
		.amdhsa_system_sgpr_workgroup_id_z 0
		.amdhsa_system_sgpr_workgroup_info 0
		.amdhsa_system_vgpr_workitem_id 0
		.amdhsa_next_free_vgpr 1
		.amdhsa_next_free_sgpr 0
		.amdhsa_accum_offset 4
		.amdhsa_reserve_vcc 0
		.amdhsa_reserve_flat_scratch 0
		.amdhsa_float_round_mode_32 0
		.amdhsa_float_round_mode_16_64 0
		.amdhsa_float_denorm_mode_32 3
		.amdhsa_float_denorm_mode_16_64 3
		.amdhsa_dx10_clamp 1
		.amdhsa_ieee_mode 1
		.amdhsa_fp16_overflow 0
		.amdhsa_tg_split 0
		.amdhsa_exception_fp_ieee_invalid_op 0
		.amdhsa_exception_fp_denorm_src 0
		.amdhsa_exception_fp_ieee_div_zero 0
		.amdhsa_exception_fp_ieee_overflow 0
		.amdhsa_exception_fp_ieee_underflow 0
		.amdhsa_exception_fp_ieee_inexact 0
		.amdhsa_exception_int_div_zero 0
	.end_amdhsa_kernel
	.section	.text._ZN7rocprim17ROCPRIM_400000_NS6detail17trampoline_kernelINS0_14default_configENS1_20scan_config_selectorIxEEZZNS1_9scan_implILNS1_25lookback_scan_determinismE0ELb1ELb1ES3_N6thrust23THRUST_200600_302600_NS6detail15normal_iteratorINS9_10device_ptrIxEEEESE_xNS9_4plusIxEExEEDaPvRmT3_T4_T5_mT6_P12ihipStream_tbENKUlT_T0_E_clISt17integral_constantIbLb0EEST_IbLb1EEEEDaSP_SQ_EUlSP_E_NS1_11comp_targetILNS1_3genE10ELNS1_11target_archE1201ELNS1_3gpuE5ELNS1_3repE0EEENS1_30default_config_static_selectorELNS0_4arch9wavefront6targetE1EEEvT1_,"axG",@progbits,_ZN7rocprim17ROCPRIM_400000_NS6detail17trampoline_kernelINS0_14default_configENS1_20scan_config_selectorIxEEZZNS1_9scan_implILNS1_25lookback_scan_determinismE0ELb1ELb1ES3_N6thrust23THRUST_200600_302600_NS6detail15normal_iteratorINS9_10device_ptrIxEEEESE_xNS9_4plusIxEExEEDaPvRmT3_T4_T5_mT6_P12ihipStream_tbENKUlT_T0_E_clISt17integral_constantIbLb0EEST_IbLb1EEEEDaSP_SQ_EUlSP_E_NS1_11comp_targetILNS1_3genE10ELNS1_11target_archE1201ELNS1_3gpuE5ELNS1_3repE0EEENS1_30default_config_static_selectorELNS0_4arch9wavefront6targetE1EEEvT1_,comdat
.Lfunc_end401:
	.size	_ZN7rocprim17ROCPRIM_400000_NS6detail17trampoline_kernelINS0_14default_configENS1_20scan_config_selectorIxEEZZNS1_9scan_implILNS1_25lookback_scan_determinismE0ELb1ELb1ES3_N6thrust23THRUST_200600_302600_NS6detail15normal_iteratorINS9_10device_ptrIxEEEESE_xNS9_4plusIxEExEEDaPvRmT3_T4_T5_mT6_P12ihipStream_tbENKUlT_T0_E_clISt17integral_constantIbLb0EEST_IbLb1EEEEDaSP_SQ_EUlSP_E_NS1_11comp_targetILNS1_3genE10ELNS1_11target_archE1201ELNS1_3gpuE5ELNS1_3repE0EEENS1_30default_config_static_selectorELNS0_4arch9wavefront6targetE1EEEvT1_, .Lfunc_end401-_ZN7rocprim17ROCPRIM_400000_NS6detail17trampoline_kernelINS0_14default_configENS1_20scan_config_selectorIxEEZZNS1_9scan_implILNS1_25lookback_scan_determinismE0ELb1ELb1ES3_N6thrust23THRUST_200600_302600_NS6detail15normal_iteratorINS9_10device_ptrIxEEEESE_xNS9_4plusIxEExEEDaPvRmT3_T4_T5_mT6_P12ihipStream_tbENKUlT_T0_E_clISt17integral_constantIbLb0EEST_IbLb1EEEEDaSP_SQ_EUlSP_E_NS1_11comp_targetILNS1_3genE10ELNS1_11target_archE1201ELNS1_3gpuE5ELNS1_3repE0EEENS1_30default_config_static_selectorELNS0_4arch9wavefront6targetE1EEEvT1_
                                        ; -- End function
	.section	.AMDGPU.csdata,"",@progbits
; Kernel info:
; codeLenInByte = 0
; NumSgprs: 4
; NumVgprs: 0
; NumAgprs: 0
; TotalNumVgprs: 0
; ScratchSize: 0
; MemoryBound: 0
; FloatMode: 240
; IeeeMode: 1
; LDSByteSize: 0 bytes/workgroup (compile time only)
; SGPRBlocks: 0
; VGPRBlocks: 0
; NumSGPRsForWavesPerEU: 4
; NumVGPRsForWavesPerEU: 1
; AccumOffset: 4
; Occupancy: 8
; WaveLimiterHint : 0
; COMPUTE_PGM_RSRC2:SCRATCH_EN: 0
; COMPUTE_PGM_RSRC2:USER_SGPR: 6
; COMPUTE_PGM_RSRC2:TRAP_HANDLER: 0
; COMPUTE_PGM_RSRC2:TGID_X_EN: 1
; COMPUTE_PGM_RSRC2:TGID_Y_EN: 0
; COMPUTE_PGM_RSRC2:TGID_Z_EN: 0
; COMPUTE_PGM_RSRC2:TIDIG_COMP_CNT: 0
; COMPUTE_PGM_RSRC3_GFX90A:ACCUM_OFFSET: 0
; COMPUTE_PGM_RSRC3_GFX90A:TG_SPLIT: 0
	.section	.text._ZN7rocprim17ROCPRIM_400000_NS6detail17trampoline_kernelINS0_14default_configENS1_20scan_config_selectorIxEEZZNS1_9scan_implILNS1_25lookback_scan_determinismE0ELb1ELb1ES3_N6thrust23THRUST_200600_302600_NS6detail15normal_iteratorINS9_10device_ptrIxEEEESE_xNS9_4plusIxEExEEDaPvRmT3_T4_T5_mT6_P12ihipStream_tbENKUlT_T0_E_clISt17integral_constantIbLb0EEST_IbLb1EEEEDaSP_SQ_EUlSP_E_NS1_11comp_targetILNS1_3genE10ELNS1_11target_archE1200ELNS1_3gpuE4ELNS1_3repE0EEENS1_30default_config_static_selectorELNS0_4arch9wavefront6targetE1EEEvT1_,"axG",@progbits,_ZN7rocprim17ROCPRIM_400000_NS6detail17trampoline_kernelINS0_14default_configENS1_20scan_config_selectorIxEEZZNS1_9scan_implILNS1_25lookback_scan_determinismE0ELb1ELb1ES3_N6thrust23THRUST_200600_302600_NS6detail15normal_iteratorINS9_10device_ptrIxEEEESE_xNS9_4plusIxEExEEDaPvRmT3_T4_T5_mT6_P12ihipStream_tbENKUlT_T0_E_clISt17integral_constantIbLb0EEST_IbLb1EEEEDaSP_SQ_EUlSP_E_NS1_11comp_targetILNS1_3genE10ELNS1_11target_archE1200ELNS1_3gpuE4ELNS1_3repE0EEENS1_30default_config_static_selectorELNS0_4arch9wavefront6targetE1EEEvT1_,comdat
	.protected	_ZN7rocprim17ROCPRIM_400000_NS6detail17trampoline_kernelINS0_14default_configENS1_20scan_config_selectorIxEEZZNS1_9scan_implILNS1_25lookback_scan_determinismE0ELb1ELb1ES3_N6thrust23THRUST_200600_302600_NS6detail15normal_iteratorINS9_10device_ptrIxEEEESE_xNS9_4plusIxEExEEDaPvRmT3_T4_T5_mT6_P12ihipStream_tbENKUlT_T0_E_clISt17integral_constantIbLb0EEST_IbLb1EEEEDaSP_SQ_EUlSP_E_NS1_11comp_targetILNS1_3genE10ELNS1_11target_archE1200ELNS1_3gpuE4ELNS1_3repE0EEENS1_30default_config_static_selectorELNS0_4arch9wavefront6targetE1EEEvT1_ ; -- Begin function _ZN7rocprim17ROCPRIM_400000_NS6detail17trampoline_kernelINS0_14default_configENS1_20scan_config_selectorIxEEZZNS1_9scan_implILNS1_25lookback_scan_determinismE0ELb1ELb1ES3_N6thrust23THRUST_200600_302600_NS6detail15normal_iteratorINS9_10device_ptrIxEEEESE_xNS9_4plusIxEExEEDaPvRmT3_T4_T5_mT6_P12ihipStream_tbENKUlT_T0_E_clISt17integral_constantIbLb0EEST_IbLb1EEEEDaSP_SQ_EUlSP_E_NS1_11comp_targetILNS1_3genE10ELNS1_11target_archE1200ELNS1_3gpuE4ELNS1_3repE0EEENS1_30default_config_static_selectorELNS0_4arch9wavefront6targetE1EEEvT1_
	.globl	_ZN7rocprim17ROCPRIM_400000_NS6detail17trampoline_kernelINS0_14default_configENS1_20scan_config_selectorIxEEZZNS1_9scan_implILNS1_25lookback_scan_determinismE0ELb1ELb1ES3_N6thrust23THRUST_200600_302600_NS6detail15normal_iteratorINS9_10device_ptrIxEEEESE_xNS9_4plusIxEExEEDaPvRmT3_T4_T5_mT6_P12ihipStream_tbENKUlT_T0_E_clISt17integral_constantIbLb0EEST_IbLb1EEEEDaSP_SQ_EUlSP_E_NS1_11comp_targetILNS1_3genE10ELNS1_11target_archE1200ELNS1_3gpuE4ELNS1_3repE0EEENS1_30default_config_static_selectorELNS0_4arch9wavefront6targetE1EEEvT1_
	.p2align	8
	.type	_ZN7rocprim17ROCPRIM_400000_NS6detail17trampoline_kernelINS0_14default_configENS1_20scan_config_selectorIxEEZZNS1_9scan_implILNS1_25lookback_scan_determinismE0ELb1ELb1ES3_N6thrust23THRUST_200600_302600_NS6detail15normal_iteratorINS9_10device_ptrIxEEEESE_xNS9_4plusIxEExEEDaPvRmT3_T4_T5_mT6_P12ihipStream_tbENKUlT_T0_E_clISt17integral_constantIbLb0EEST_IbLb1EEEEDaSP_SQ_EUlSP_E_NS1_11comp_targetILNS1_3genE10ELNS1_11target_archE1200ELNS1_3gpuE4ELNS1_3repE0EEENS1_30default_config_static_selectorELNS0_4arch9wavefront6targetE1EEEvT1_,@function
_ZN7rocprim17ROCPRIM_400000_NS6detail17trampoline_kernelINS0_14default_configENS1_20scan_config_selectorIxEEZZNS1_9scan_implILNS1_25lookback_scan_determinismE0ELb1ELb1ES3_N6thrust23THRUST_200600_302600_NS6detail15normal_iteratorINS9_10device_ptrIxEEEESE_xNS9_4plusIxEExEEDaPvRmT3_T4_T5_mT6_P12ihipStream_tbENKUlT_T0_E_clISt17integral_constantIbLb0EEST_IbLb1EEEEDaSP_SQ_EUlSP_E_NS1_11comp_targetILNS1_3genE10ELNS1_11target_archE1200ELNS1_3gpuE4ELNS1_3repE0EEENS1_30default_config_static_selectorELNS0_4arch9wavefront6targetE1EEEvT1_: ; @_ZN7rocprim17ROCPRIM_400000_NS6detail17trampoline_kernelINS0_14default_configENS1_20scan_config_selectorIxEEZZNS1_9scan_implILNS1_25lookback_scan_determinismE0ELb1ELb1ES3_N6thrust23THRUST_200600_302600_NS6detail15normal_iteratorINS9_10device_ptrIxEEEESE_xNS9_4plusIxEExEEDaPvRmT3_T4_T5_mT6_P12ihipStream_tbENKUlT_T0_E_clISt17integral_constantIbLb0EEST_IbLb1EEEEDaSP_SQ_EUlSP_E_NS1_11comp_targetILNS1_3genE10ELNS1_11target_archE1200ELNS1_3gpuE4ELNS1_3repE0EEENS1_30default_config_static_selectorELNS0_4arch9wavefront6targetE1EEEvT1_
; %bb.0:
	.section	.rodata,"a",@progbits
	.p2align	6, 0x0
	.amdhsa_kernel _ZN7rocprim17ROCPRIM_400000_NS6detail17trampoline_kernelINS0_14default_configENS1_20scan_config_selectorIxEEZZNS1_9scan_implILNS1_25lookback_scan_determinismE0ELb1ELb1ES3_N6thrust23THRUST_200600_302600_NS6detail15normal_iteratorINS9_10device_ptrIxEEEESE_xNS9_4plusIxEExEEDaPvRmT3_T4_T5_mT6_P12ihipStream_tbENKUlT_T0_E_clISt17integral_constantIbLb0EEST_IbLb1EEEEDaSP_SQ_EUlSP_E_NS1_11comp_targetILNS1_3genE10ELNS1_11target_archE1200ELNS1_3gpuE4ELNS1_3repE0EEENS1_30default_config_static_selectorELNS0_4arch9wavefront6targetE1EEEvT1_
		.amdhsa_group_segment_fixed_size 0
		.amdhsa_private_segment_fixed_size 0
		.amdhsa_kernarg_size 104
		.amdhsa_user_sgpr_count 6
		.amdhsa_user_sgpr_private_segment_buffer 1
		.amdhsa_user_sgpr_dispatch_ptr 0
		.amdhsa_user_sgpr_queue_ptr 0
		.amdhsa_user_sgpr_kernarg_segment_ptr 1
		.amdhsa_user_sgpr_dispatch_id 0
		.amdhsa_user_sgpr_flat_scratch_init 0
		.amdhsa_user_sgpr_kernarg_preload_length 0
		.amdhsa_user_sgpr_kernarg_preload_offset 0
		.amdhsa_user_sgpr_private_segment_size 0
		.amdhsa_uses_dynamic_stack 0
		.amdhsa_system_sgpr_private_segment_wavefront_offset 0
		.amdhsa_system_sgpr_workgroup_id_x 1
		.amdhsa_system_sgpr_workgroup_id_y 0
		.amdhsa_system_sgpr_workgroup_id_z 0
		.amdhsa_system_sgpr_workgroup_info 0
		.amdhsa_system_vgpr_workitem_id 0
		.amdhsa_next_free_vgpr 1
		.amdhsa_next_free_sgpr 0
		.amdhsa_accum_offset 4
		.amdhsa_reserve_vcc 0
		.amdhsa_reserve_flat_scratch 0
		.amdhsa_float_round_mode_32 0
		.amdhsa_float_round_mode_16_64 0
		.amdhsa_float_denorm_mode_32 3
		.amdhsa_float_denorm_mode_16_64 3
		.amdhsa_dx10_clamp 1
		.amdhsa_ieee_mode 1
		.amdhsa_fp16_overflow 0
		.amdhsa_tg_split 0
		.amdhsa_exception_fp_ieee_invalid_op 0
		.amdhsa_exception_fp_denorm_src 0
		.amdhsa_exception_fp_ieee_div_zero 0
		.amdhsa_exception_fp_ieee_overflow 0
		.amdhsa_exception_fp_ieee_underflow 0
		.amdhsa_exception_fp_ieee_inexact 0
		.amdhsa_exception_int_div_zero 0
	.end_amdhsa_kernel
	.section	.text._ZN7rocprim17ROCPRIM_400000_NS6detail17trampoline_kernelINS0_14default_configENS1_20scan_config_selectorIxEEZZNS1_9scan_implILNS1_25lookback_scan_determinismE0ELb1ELb1ES3_N6thrust23THRUST_200600_302600_NS6detail15normal_iteratorINS9_10device_ptrIxEEEESE_xNS9_4plusIxEExEEDaPvRmT3_T4_T5_mT6_P12ihipStream_tbENKUlT_T0_E_clISt17integral_constantIbLb0EEST_IbLb1EEEEDaSP_SQ_EUlSP_E_NS1_11comp_targetILNS1_3genE10ELNS1_11target_archE1200ELNS1_3gpuE4ELNS1_3repE0EEENS1_30default_config_static_selectorELNS0_4arch9wavefront6targetE1EEEvT1_,"axG",@progbits,_ZN7rocprim17ROCPRIM_400000_NS6detail17trampoline_kernelINS0_14default_configENS1_20scan_config_selectorIxEEZZNS1_9scan_implILNS1_25lookback_scan_determinismE0ELb1ELb1ES3_N6thrust23THRUST_200600_302600_NS6detail15normal_iteratorINS9_10device_ptrIxEEEESE_xNS9_4plusIxEExEEDaPvRmT3_T4_T5_mT6_P12ihipStream_tbENKUlT_T0_E_clISt17integral_constantIbLb0EEST_IbLb1EEEEDaSP_SQ_EUlSP_E_NS1_11comp_targetILNS1_3genE10ELNS1_11target_archE1200ELNS1_3gpuE4ELNS1_3repE0EEENS1_30default_config_static_selectorELNS0_4arch9wavefront6targetE1EEEvT1_,comdat
.Lfunc_end402:
	.size	_ZN7rocprim17ROCPRIM_400000_NS6detail17trampoline_kernelINS0_14default_configENS1_20scan_config_selectorIxEEZZNS1_9scan_implILNS1_25lookback_scan_determinismE0ELb1ELb1ES3_N6thrust23THRUST_200600_302600_NS6detail15normal_iteratorINS9_10device_ptrIxEEEESE_xNS9_4plusIxEExEEDaPvRmT3_T4_T5_mT6_P12ihipStream_tbENKUlT_T0_E_clISt17integral_constantIbLb0EEST_IbLb1EEEEDaSP_SQ_EUlSP_E_NS1_11comp_targetILNS1_3genE10ELNS1_11target_archE1200ELNS1_3gpuE4ELNS1_3repE0EEENS1_30default_config_static_selectorELNS0_4arch9wavefront6targetE1EEEvT1_, .Lfunc_end402-_ZN7rocprim17ROCPRIM_400000_NS6detail17trampoline_kernelINS0_14default_configENS1_20scan_config_selectorIxEEZZNS1_9scan_implILNS1_25lookback_scan_determinismE0ELb1ELb1ES3_N6thrust23THRUST_200600_302600_NS6detail15normal_iteratorINS9_10device_ptrIxEEEESE_xNS9_4plusIxEExEEDaPvRmT3_T4_T5_mT6_P12ihipStream_tbENKUlT_T0_E_clISt17integral_constantIbLb0EEST_IbLb1EEEEDaSP_SQ_EUlSP_E_NS1_11comp_targetILNS1_3genE10ELNS1_11target_archE1200ELNS1_3gpuE4ELNS1_3repE0EEENS1_30default_config_static_selectorELNS0_4arch9wavefront6targetE1EEEvT1_
                                        ; -- End function
	.section	.AMDGPU.csdata,"",@progbits
; Kernel info:
; codeLenInByte = 0
; NumSgprs: 4
; NumVgprs: 0
; NumAgprs: 0
; TotalNumVgprs: 0
; ScratchSize: 0
; MemoryBound: 0
; FloatMode: 240
; IeeeMode: 1
; LDSByteSize: 0 bytes/workgroup (compile time only)
; SGPRBlocks: 0
; VGPRBlocks: 0
; NumSGPRsForWavesPerEU: 4
; NumVGPRsForWavesPerEU: 1
; AccumOffset: 4
; Occupancy: 8
; WaveLimiterHint : 0
; COMPUTE_PGM_RSRC2:SCRATCH_EN: 0
; COMPUTE_PGM_RSRC2:USER_SGPR: 6
; COMPUTE_PGM_RSRC2:TRAP_HANDLER: 0
; COMPUTE_PGM_RSRC2:TGID_X_EN: 1
; COMPUTE_PGM_RSRC2:TGID_Y_EN: 0
; COMPUTE_PGM_RSRC2:TGID_Z_EN: 0
; COMPUTE_PGM_RSRC2:TIDIG_COMP_CNT: 0
; COMPUTE_PGM_RSRC3_GFX90A:ACCUM_OFFSET: 0
; COMPUTE_PGM_RSRC3_GFX90A:TG_SPLIT: 0
	.section	.text._ZN7rocprim17ROCPRIM_400000_NS6detail17trampoline_kernelINS0_14default_configENS1_20scan_config_selectorIxEEZZNS1_9scan_implILNS1_25lookback_scan_determinismE0ELb1ELb1ES3_N6thrust23THRUST_200600_302600_NS6detail15normal_iteratorINS9_10device_ptrIxEEEESE_xNS9_4plusIxEExEEDaPvRmT3_T4_T5_mT6_P12ihipStream_tbENKUlT_T0_E_clISt17integral_constantIbLb0EEST_IbLb1EEEEDaSP_SQ_EUlSP_E_NS1_11comp_targetILNS1_3genE9ELNS1_11target_archE1100ELNS1_3gpuE3ELNS1_3repE0EEENS1_30default_config_static_selectorELNS0_4arch9wavefront6targetE1EEEvT1_,"axG",@progbits,_ZN7rocprim17ROCPRIM_400000_NS6detail17trampoline_kernelINS0_14default_configENS1_20scan_config_selectorIxEEZZNS1_9scan_implILNS1_25lookback_scan_determinismE0ELb1ELb1ES3_N6thrust23THRUST_200600_302600_NS6detail15normal_iteratorINS9_10device_ptrIxEEEESE_xNS9_4plusIxEExEEDaPvRmT3_T4_T5_mT6_P12ihipStream_tbENKUlT_T0_E_clISt17integral_constantIbLb0EEST_IbLb1EEEEDaSP_SQ_EUlSP_E_NS1_11comp_targetILNS1_3genE9ELNS1_11target_archE1100ELNS1_3gpuE3ELNS1_3repE0EEENS1_30default_config_static_selectorELNS0_4arch9wavefront6targetE1EEEvT1_,comdat
	.protected	_ZN7rocprim17ROCPRIM_400000_NS6detail17trampoline_kernelINS0_14default_configENS1_20scan_config_selectorIxEEZZNS1_9scan_implILNS1_25lookback_scan_determinismE0ELb1ELb1ES3_N6thrust23THRUST_200600_302600_NS6detail15normal_iteratorINS9_10device_ptrIxEEEESE_xNS9_4plusIxEExEEDaPvRmT3_T4_T5_mT6_P12ihipStream_tbENKUlT_T0_E_clISt17integral_constantIbLb0EEST_IbLb1EEEEDaSP_SQ_EUlSP_E_NS1_11comp_targetILNS1_3genE9ELNS1_11target_archE1100ELNS1_3gpuE3ELNS1_3repE0EEENS1_30default_config_static_selectorELNS0_4arch9wavefront6targetE1EEEvT1_ ; -- Begin function _ZN7rocprim17ROCPRIM_400000_NS6detail17trampoline_kernelINS0_14default_configENS1_20scan_config_selectorIxEEZZNS1_9scan_implILNS1_25lookback_scan_determinismE0ELb1ELb1ES3_N6thrust23THRUST_200600_302600_NS6detail15normal_iteratorINS9_10device_ptrIxEEEESE_xNS9_4plusIxEExEEDaPvRmT3_T4_T5_mT6_P12ihipStream_tbENKUlT_T0_E_clISt17integral_constantIbLb0EEST_IbLb1EEEEDaSP_SQ_EUlSP_E_NS1_11comp_targetILNS1_3genE9ELNS1_11target_archE1100ELNS1_3gpuE3ELNS1_3repE0EEENS1_30default_config_static_selectorELNS0_4arch9wavefront6targetE1EEEvT1_
	.globl	_ZN7rocprim17ROCPRIM_400000_NS6detail17trampoline_kernelINS0_14default_configENS1_20scan_config_selectorIxEEZZNS1_9scan_implILNS1_25lookback_scan_determinismE0ELb1ELb1ES3_N6thrust23THRUST_200600_302600_NS6detail15normal_iteratorINS9_10device_ptrIxEEEESE_xNS9_4plusIxEExEEDaPvRmT3_T4_T5_mT6_P12ihipStream_tbENKUlT_T0_E_clISt17integral_constantIbLb0EEST_IbLb1EEEEDaSP_SQ_EUlSP_E_NS1_11comp_targetILNS1_3genE9ELNS1_11target_archE1100ELNS1_3gpuE3ELNS1_3repE0EEENS1_30default_config_static_selectorELNS0_4arch9wavefront6targetE1EEEvT1_
	.p2align	8
	.type	_ZN7rocprim17ROCPRIM_400000_NS6detail17trampoline_kernelINS0_14default_configENS1_20scan_config_selectorIxEEZZNS1_9scan_implILNS1_25lookback_scan_determinismE0ELb1ELb1ES3_N6thrust23THRUST_200600_302600_NS6detail15normal_iteratorINS9_10device_ptrIxEEEESE_xNS9_4plusIxEExEEDaPvRmT3_T4_T5_mT6_P12ihipStream_tbENKUlT_T0_E_clISt17integral_constantIbLb0EEST_IbLb1EEEEDaSP_SQ_EUlSP_E_NS1_11comp_targetILNS1_3genE9ELNS1_11target_archE1100ELNS1_3gpuE3ELNS1_3repE0EEENS1_30default_config_static_selectorELNS0_4arch9wavefront6targetE1EEEvT1_,@function
_ZN7rocprim17ROCPRIM_400000_NS6detail17trampoline_kernelINS0_14default_configENS1_20scan_config_selectorIxEEZZNS1_9scan_implILNS1_25lookback_scan_determinismE0ELb1ELb1ES3_N6thrust23THRUST_200600_302600_NS6detail15normal_iteratorINS9_10device_ptrIxEEEESE_xNS9_4plusIxEExEEDaPvRmT3_T4_T5_mT6_P12ihipStream_tbENKUlT_T0_E_clISt17integral_constantIbLb0EEST_IbLb1EEEEDaSP_SQ_EUlSP_E_NS1_11comp_targetILNS1_3genE9ELNS1_11target_archE1100ELNS1_3gpuE3ELNS1_3repE0EEENS1_30default_config_static_selectorELNS0_4arch9wavefront6targetE1EEEvT1_: ; @_ZN7rocprim17ROCPRIM_400000_NS6detail17trampoline_kernelINS0_14default_configENS1_20scan_config_selectorIxEEZZNS1_9scan_implILNS1_25lookback_scan_determinismE0ELb1ELb1ES3_N6thrust23THRUST_200600_302600_NS6detail15normal_iteratorINS9_10device_ptrIxEEEESE_xNS9_4plusIxEExEEDaPvRmT3_T4_T5_mT6_P12ihipStream_tbENKUlT_T0_E_clISt17integral_constantIbLb0EEST_IbLb1EEEEDaSP_SQ_EUlSP_E_NS1_11comp_targetILNS1_3genE9ELNS1_11target_archE1100ELNS1_3gpuE3ELNS1_3repE0EEENS1_30default_config_static_selectorELNS0_4arch9wavefront6targetE1EEEvT1_
; %bb.0:
	.section	.rodata,"a",@progbits
	.p2align	6, 0x0
	.amdhsa_kernel _ZN7rocprim17ROCPRIM_400000_NS6detail17trampoline_kernelINS0_14default_configENS1_20scan_config_selectorIxEEZZNS1_9scan_implILNS1_25lookback_scan_determinismE0ELb1ELb1ES3_N6thrust23THRUST_200600_302600_NS6detail15normal_iteratorINS9_10device_ptrIxEEEESE_xNS9_4plusIxEExEEDaPvRmT3_T4_T5_mT6_P12ihipStream_tbENKUlT_T0_E_clISt17integral_constantIbLb0EEST_IbLb1EEEEDaSP_SQ_EUlSP_E_NS1_11comp_targetILNS1_3genE9ELNS1_11target_archE1100ELNS1_3gpuE3ELNS1_3repE0EEENS1_30default_config_static_selectorELNS0_4arch9wavefront6targetE1EEEvT1_
		.amdhsa_group_segment_fixed_size 0
		.amdhsa_private_segment_fixed_size 0
		.amdhsa_kernarg_size 104
		.amdhsa_user_sgpr_count 6
		.amdhsa_user_sgpr_private_segment_buffer 1
		.amdhsa_user_sgpr_dispatch_ptr 0
		.amdhsa_user_sgpr_queue_ptr 0
		.amdhsa_user_sgpr_kernarg_segment_ptr 1
		.amdhsa_user_sgpr_dispatch_id 0
		.amdhsa_user_sgpr_flat_scratch_init 0
		.amdhsa_user_sgpr_kernarg_preload_length 0
		.amdhsa_user_sgpr_kernarg_preload_offset 0
		.amdhsa_user_sgpr_private_segment_size 0
		.amdhsa_uses_dynamic_stack 0
		.amdhsa_system_sgpr_private_segment_wavefront_offset 0
		.amdhsa_system_sgpr_workgroup_id_x 1
		.amdhsa_system_sgpr_workgroup_id_y 0
		.amdhsa_system_sgpr_workgroup_id_z 0
		.amdhsa_system_sgpr_workgroup_info 0
		.amdhsa_system_vgpr_workitem_id 0
		.amdhsa_next_free_vgpr 1
		.amdhsa_next_free_sgpr 0
		.amdhsa_accum_offset 4
		.amdhsa_reserve_vcc 0
		.amdhsa_reserve_flat_scratch 0
		.amdhsa_float_round_mode_32 0
		.amdhsa_float_round_mode_16_64 0
		.amdhsa_float_denorm_mode_32 3
		.amdhsa_float_denorm_mode_16_64 3
		.amdhsa_dx10_clamp 1
		.amdhsa_ieee_mode 1
		.amdhsa_fp16_overflow 0
		.amdhsa_tg_split 0
		.amdhsa_exception_fp_ieee_invalid_op 0
		.amdhsa_exception_fp_denorm_src 0
		.amdhsa_exception_fp_ieee_div_zero 0
		.amdhsa_exception_fp_ieee_overflow 0
		.amdhsa_exception_fp_ieee_underflow 0
		.amdhsa_exception_fp_ieee_inexact 0
		.amdhsa_exception_int_div_zero 0
	.end_amdhsa_kernel
	.section	.text._ZN7rocprim17ROCPRIM_400000_NS6detail17trampoline_kernelINS0_14default_configENS1_20scan_config_selectorIxEEZZNS1_9scan_implILNS1_25lookback_scan_determinismE0ELb1ELb1ES3_N6thrust23THRUST_200600_302600_NS6detail15normal_iteratorINS9_10device_ptrIxEEEESE_xNS9_4plusIxEExEEDaPvRmT3_T4_T5_mT6_P12ihipStream_tbENKUlT_T0_E_clISt17integral_constantIbLb0EEST_IbLb1EEEEDaSP_SQ_EUlSP_E_NS1_11comp_targetILNS1_3genE9ELNS1_11target_archE1100ELNS1_3gpuE3ELNS1_3repE0EEENS1_30default_config_static_selectorELNS0_4arch9wavefront6targetE1EEEvT1_,"axG",@progbits,_ZN7rocprim17ROCPRIM_400000_NS6detail17trampoline_kernelINS0_14default_configENS1_20scan_config_selectorIxEEZZNS1_9scan_implILNS1_25lookback_scan_determinismE0ELb1ELb1ES3_N6thrust23THRUST_200600_302600_NS6detail15normal_iteratorINS9_10device_ptrIxEEEESE_xNS9_4plusIxEExEEDaPvRmT3_T4_T5_mT6_P12ihipStream_tbENKUlT_T0_E_clISt17integral_constantIbLb0EEST_IbLb1EEEEDaSP_SQ_EUlSP_E_NS1_11comp_targetILNS1_3genE9ELNS1_11target_archE1100ELNS1_3gpuE3ELNS1_3repE0EEENS1_30default_config_static_selectorELNS0_4arch9wavefront6targetE1EEEvT1_,comdat
.Lfunc_end403:
	.size	_ZN7rocprim17ROCPRIM_400000_NS6detail17trampoline_kernelINS0_14default_configENS1_20scan_config_selectorIxEEZZNS1_9scan_implILNS1_25lookback_scan_determinismE0ELb1ELb1ES3_N6thrust23THRUST_200600_302600_NS6detail15normal_iteratorINS9_10device_ptrIxEEEESE_xNS9_4plusIxEExEEDaPvRmT3_T4_T5_mT6_P12ihipStream_tbENKUlT_T0_E_clISt17integral_constantIbLb0EEST_IbLb1EEEEDaSP_SQ_EUlSP_E_NS1_11comp_targetILNS1_3genE9ELNS1_11target_archE1100ELNS1_3gpuE3ELNS1_3repE0EEENS1_30default_config_static_selectorELNS0_4arch9wavefront6targetE1EEEvT1_, .Lfunc_end403-_ZN7rocprim17ROCPRIM_400000_NS6detail17trampoline_kernelINS0_14default_configENS1_20scan_config_selectorIxEEZZNS1_9scan_implILNS1_25lookback_scan_determinismE0ELb1ELb1ES3_N6thrust23THRUST_200600_302600_NS6detail15normal_iteratorINS9_10device_ptrIxEEEESE_xNS9_4plusIxEExEEDaPvRmT3_T4_T5_mT6_P12ihipStream_tbENKUlT_T0_E_clISt17integral_constantIbLb0EEST_IbLb1EEEEDaSP_SQ_EUlSP_E_NS1_11comp_targetILNS1_3genE9ELNS1_11target_archE1100ELNS1_3gpuE3ELNS1_3repE0EEENS1_30default_config_static_selectorELNS0_4arch9wavefront6targetE1EEEvT1_
                                        ; -- End function
	.section	.AMDGPU.csdata,"",@progbits
; Kernel info:
; codeLenInByte = 0
; NumSgprs: 4
; NumVgprs: 0
; NumAgprs: 0
; TotalNumVgprs: 0
; ScratchSize: 0
; MemoryBound: 0
; FloatMode: 240
; IeeeMode: 1
; LDSByteSize: 0 bytes/workgroup (compile time only)
; SGPRBlocks: 0
; VGPRBlocks: 0
; NumSGPRsForWavesPerEU: 4
; NumVGPRsForWavesPerEU: 1
; AccumOffset: 4
; Occupancy: 8
; WaveLimiterHint : 0
; COMPUTE_PGM_RSRC2:SCRATCH_EN: 0
; COMPUTE_PGM_RSRC2:USER_SGPR: 6
; COMPUTE_PGM_RSRC2:TRAP_HANDLER: 0
; COMPUTE_PGM_RSRC2:TGID_X_EN: 1
; COMPUTE_PGM_RSRC2:TGID_Y_EN: 0
; COMPUTE_PGM_RSRC2:TGID_Z_EN: 0
; COMPUTE_PGM_RSRC2:TIDIG_COMP_CNT: 0
; COMPUTE_PGM_RSRC3_GFX90A:ACCUM_OFFSET: 0
; COMPUTE_PGM_RSRC3_GFX90A:TG_SPLIT: 0
	.section	.text._ZN7rocprim17ROCPRIM_400000_NS6detail17trampoline_kernelINS0_14default_configENS1_20scan_config_selectorIxEEZZNS1_9scan_implILNS1_25lookback_scan_determinismE0ELb1ELb1ES3_N6thrust23THRUST_200600_302600_NS6detail15normal_iteratorINS9_10device_ptrIxEEEESE_xNS9_4plusIxEExEEDaPvRmT3_T4_T5_mT6_P12ihipStream_tbENKUlT_T0_E_clISt17integral_constantIbLb0EEST_IbLb1EEEEDaSP_SQ_EUlSP_E_NS1_11comp_targetILNS1_3genE8ELNS1_11target_archE1030ELNS1_3gpuE2ELNS1_3repE0EEENS1_30default_config_static_selectorELNS0_4arch9wavefront6targetE1EEEvT1_,"axG",@progbits,_ZN7rocprim17ROCPRIM_400000_NS6detail17trampoline_kernelINS0_14default_configENS1_20scan_config_selectorIxEEZZNS1_9scan_implILNS1_25lookback_scan_determinismE0ELb1ELb1ES3_N6thrust23THRUST_200600_302600_NS6detail15normal_iteratorINS9_10device_ptrIxEEEESE_xNS9_4plusIxEExEEDaPvRmT3_T4_T5_mT6_P12ihipStream_tbENKUlT_T0_E_clISt17integral_constantIbLb0EEST_IbLb1EEEEDaSP_SQ_EUlSP_E_NS1_11comp_targetILNS1_3genE8ELNS1_11target_archE1030ELNS1_3gpuE2ELNS1_3repE0EEENS1_30default_config_static_selectorELNS0_4arch9wavefront6targetE1EEEvT1_,comdat
	.protected	_ZN7rocprim17ROCPRIM_400000_NS6detail17trampoline_kernelINS0_14default_configENS1_20scan_config_selectorIxEEZZNS1_9scan_implILNS1_25lookback_scan_determinismE0ELb1ELb1ES3_N6thrust23THRUST_200600_302600_NS6detail15normal_iteratorINS9_10device_ptrIxEEEESE_xNS9_4plusIxEExEEDaPvRmT3_T4_T5_mT6_P12ihipStream_tbENKUlT_T0_E_clISt17integral_constantIbLb0EEST_IbLb1EEEEDaSP_SQ_EUlSP_E_NS1_11comp_targetILNS1_3genE8ELNS1_11target_archE1030ELNS1_3gpuE2ELNS1_3repE0EEENS1_30default_config_static_selectorELNS0_4arch9wavefront6targetE1EEEvT1_ ; -- Begin function _ZN7rocprim17ROCPRIM_400000_NS6detail17trampoline_kernelINS0_14default_configENS1_20scan_config_selectorIxEEZZNS1_9scan_implILNS1_25lookback_scan_determinismE0ELb1ELb1ES3_N6thrust23THRUST_200600_302600_NS6detail15normal_iteratorINS9_10device_ptrIxEEEESE_xNS9_4plusIxEExEEDaPvRmT3_T4_T5_mT6_P12ihipStream_tbENKUlT_T0_E_clISt17integral_constantIbLb0EEST_IbLb1EEEEDaSP_SQ_EUlSP_E_NS1_11comp_targetILNS1_3genE8ELNS1_11target_archE1030ELNS1_3gpuE2ELNS1_3repE0EEENS1_30default_config_static_selectorELNS0_4arch9wavefront6targetE1EEEvT1_
	.globl	_ZN7rocprim17ROCPRIM_400000_NS6detail17trampoline_kernelINS0_14default_configENS1_20scan_config_selectorIxEEZZNS1_9scan_implILNS1_25lookback_scan_determinismE0ELb1ELb1ES3_N6thrust23THRUST_200600_302600_NS6detail15normal_iteratorINS9_10device_ptrIxEEEESE_xNS9_4plusIxEExEEDaPvRmT3_T4_T5_mT6_P12ihipStream_tbENKUlT_T0_E_clISt17integral_constantIbLb0EEST_IbLb1EEEEDaSP_SQ_EUlSP_E_NS1_11comp_targetILNS1_3genE8ELNS1_11target_archE1030ELNS1_3gpuE2ELNS1_3repE0EEENS1_30default_config_static_selectorELNS0_4arch9wavefront6targetE1EEEvT1_
	.p2align	8
	.type	_ZN7rocprim17ROCPRIM_400000_NS6detail17trampoline_kernelINS0_14default_configENS1_20scan_config_selectorIxEEZZNS1_9scan_implILNS1_25lookback_scan_determinismE0ELb1ELb1ES3_N6thrust23THRUST_200600_302600_NS6detail15normal_iteratorINS9_10device_ptrIxEEEESE_xNS9_4plusIxEExEEDaPvRmT3_T4_T5_mT6_P12ihipStream_tbENKUlT_T0_E_clISt17integral_constantIbLb0EEST_IbLb1EEEEDaSP_SQ_EUlSP_E_NS1_11comp_targetILNS1_3genE8ELNS1_11target_archE1030ELNS1_3gpuE2ELNS1_3repE0EEENS1_30default_config_static_selectorELNS0_4arch9wavefront6targetE1EEEvT1_,@function
_ZN7rocprim17ROCPRIM_400000_NS6detail17trampoline_kernelINS0_14default_configENS1_20scan_config_selectorIxEEZZNS1_9scan_implILNS1_25lookback_scan_determinismE0ELb1ELb1ES3_N6thrust23THRUST_200600_302600_NS6detail15normal_iteratorINS9_10device_ptrIxEEEESE_xNS9_4plusIxEExEEDaPvRmT3_T4_T5_mT6_P12ihipStream_tbENKUlT_T0_E_clISt17integral_constantIbLb0EEST_IbLb1EEEEDaSP_SQ_EUlSP_E_NS1_11comp_targetILNS1_3genE8ELNS1_11target_archE1030ELNS1_3gpuE2ELNS1_3repE0EEENS1_30default_config_static_selectorELNS0_4arch9wavefront6targetE1EEEvT1_: ; @_ZN7rocprim17ROCPRIM_400000_NS6detail17trampoline_kernelINS0_14default_configENS1_20scan_config_selectorIxEEZZNS1_9scan_implILNS1_25lookback_scan_determinismE0ELb1ELb1ES3_N6thrust23THRUST_200600_302600_NS6detail15normal_iteratorINS9_10device_ptrIxEEEESE_xNS9_4plusIxEExEEDaPvRmT3_T4_T5_mT6_P12ihipStream_tbENKUlT_T0_E_clISt17integral_constantIbLb0EEST_IbLb1EEEEDaSP_SQ_EUlSP_E_NS1_11comp_targetILNS1_3genE8ELNS1_11target_archE1030ELNS1_3gpuE2ELNS1_3repE0EEENS1_30default_config_static_selectorELNS0_4arch9wavefront6targetE1EEEvT1_
; %bb.0:
	.section	.rodata,"a",@progbits
	.p2align	6, 0x0
	.amdhsa_kernel _ZN7rocprim17ROCPRIM_400000_NS6detail17trampoline_kernelINS0_14default_configENS1_20scan_config_selectorIxEEZZNS1_9scan_implILNS1_25lookback_scan_determinismE0ELb1ELb1ES3_N6thrust23THRUST_200600_302600_NS6detail15normal_iteratorINS9_10device_ptrIxEEEESE_xNS9_4plusIxEExEEDaPvRmT3_T4_T5_mT6_P12ihipStream_tbENKUlT_T0_E_clISt17integral_constantIbLb0EEST_IbLb1EEEEDaSP_SQ_EUlSP_E_NS1_11comp_targetILNS1_3genE8ELNS1_11target_archE1030ELNS1_3gpuE2ELNS1_3repE0EEENS1_30default_config_static_selectorELNS0_4arch9wavefront6targetE1EEEvT1_
		.amdhsa_group_segment_fixed_size 0
		.amdhsa_private_segment_fixed_size 0
		.amdhsa_kernarg_size 104
		.amdhsa_user_sgpr_count 6
		.amdhsa_user_sgpr_private_segment_buffer 1
		.amdhsa_user_sgpr_dispatch_ptr 0
		.amdhsa_user_sgpr_queue_ptr 0
		.amdhsa_user_sgpr_kernarg_segment_ptr 1
		.amdhsa_user_sgpr_dispatch_id 0
		.amdhsa_user_sgpr_flat_scratch_init 0
		.amdhsa_user_sgpr_kernarg_preload_length 0
		.amdhsa_user_sgpr_kernarg_preload_offset 0
		.amdhsa_user_sgpr_private_segment_size 0
		.amdhsa_uses_dynamic_stack 0
		.amdhsa_system_sgpr_private_segment_wavefront_offset 0
		.amdhsa_system_sgpr_workgroup_id_x 1
		.amdhsa_system_sgpr_workgroup_id_y 0
		.amdhsa_system_sgpr_workgroup_id_z 0
		.amdhsa_system_sgpr_workgroup_info 0
		.amdhsa_system_vgpr_workitem_id 0
		.amdhsa_next_free_vgpr 1
		.amdhsa_next_free_sgpr 0
		.amdhsa_accum_offset 4
		.amdhsa_reserve_vcc 0
		.amdhsa_reserve_flat_scratch 0
		.amdhsa_float_round_mode_32 0
		.amdhsa_float_round_mode_16_64 0
		.amdhsa_float_denorm_mode_32 3
		.amdhsa_float_denorm_mode_16_64 3
		.amdhsa_dx10_clamp 1
		.amdhsa_ieee_mode 1
		.amdhsa_fp16_overflow 0
		.amdhsa_tg_split 0
		.amdhsa_exception_fp_ieee_invalid_op 0
		.amdhsa_exception_fp_denorm_src 0
		.amdhsa_exception_fp_ieee_div_zero 0
		.amdhsa_exception_fp_ieee_overflow 0
		.amdhsa_exception_fp_ieee_underflow 0
		.amdhsa_exception_fp_ieee_inexact 0
		.amdhsa_exception_int_div_zero 0
	.end_amdhsa_kernel
	.section	.text._ZN7rocprim17ROCPRIM_400000_NS6detail17trampoline_kernelINS0_14default_configENS1_20scan_config_selectorIxEEZZNS1_9scan_implILNS1_25lookback_scan_determinismE0ELb1ELb1ES3_N6thrust23THRUST_200600_302600_NS6detail15normal_iteratorINS9_10device_ptrIxEEEESE_xNS9_4plusIxEExEEDaPvRmT3_T4_T5_mT6_P12ihipStream_tbENKUlT_T0_E_clISt17integral_constantIbLb0EEST_IbLb1EEEEDaSP_SQ_EUlSP_E_NS1_11comp_targetILNS1_3genE8ELNS1_11target_archE1030ELNS1_3gpuE2ELNS1_3repE0EEENS1_30default_config_static_selectorELNS0_4arch9wavefront6targetE1EEEvT1_,"axG",@progbits,_ZN7rocprim17ROCPRIM_400000_NS6detail17trampoline_kernelINS0_14default_configENS1_20scan_config_selectorIxEEZZNS1_9scan_implILNS1_25lookback_scan_determinismE0ELb1ELb1ES3_N6thrust23THRUST_200600_302600_NS6detail15normal_iteratorINS9_10device_ptrIxEEEESE_xNS9_4plusIxEExEEDaPvRmT3_T4_T5_mT6_P12ihipStream_tbENKUlT_T0_E_clISt17integral_constantIbLb0EEST_IbLb1EEEEDaSP_SQ_EUlSP_E_NS1_11comp_targetILNS1_3genE8ELNS1_11target_archE1030ELNS1_3gpuE2ELNS1_3repE0EEENS1_30default_config_static_selectorELNS0_4arch9wavefront6targetE1EEEvT1_,comdat
.Lfunc_end404:
	.size	_ZN7rocprim17ROCPRIM_400000_NS6detail17trampoline_kernelINS0_14default_configENS1_20scan_config_selectorIxEEZZNS1_9scan_implILNS1_25lookback_scan_determinismE0ELb1ELb1ES3_N6thrust23THRUST_200600_302600_NS6detail15normal_iteratorINS9_10device_ptrIxEEEESE_xNS9_4plusIxEExEEDaPvRmT3_T4_T5_mT6_P12ihipStream_tbENKUlT_T0_E_clISt17integral_constantIbLb0EEST_IbLb1EEEEDaSP_SQ_EUlSP_E_NS1_11comp_targetILNS1_3genE8ELNS1_11target_archE1030ELNS1_3gpuE2ELNS1_3repE0EEENS1_30default_config_static_selectorELNS0_4arch9wavefront6targetE1EEEvT1_, .Lfunc_end404-_ZN7rocprim17ROCPRIM_400000_NS6detail17trampoline_kernelINS0_14default_configENS1_20scan_config_selectorIxEEZZNS1_9scan_implILNS1_25lookback_scan_determinismE0ELb1ELb1ES3_N6thrust23THRUST_200600_302600_NS6detail15normal_iteratorINS9_10device_ptrIxEEEESE_xNS9_4plusIxEExEEDaPvRmT3_T4_T5_mT6_P12ihipStream_tbENKUlT_T0_E_clISt17integral_constantIbLb0EEST_IbLb1EEEEDaSP_SQ_EUlSP_E_NS1_11comp_targetILNS1_3genE8ELNS1_11target_archE1030ELNS1_3gpuE2ELNS1_3repE0EEENS1_30default_config_static_selectorELNS0_4arch9wavefront6targetE1EEEvT1_
                                        ; -- End function
	.section	.AMDGPU.csdata,"",@progbits
; Kernel info:
; codeLenInByte = 0
; NumSgprs: 4
; NumVgprs: 0
; NumAgprs: 0
; TotalNumVgprs: 0
; ScratchSize: 0
; MemoryBound: 0
; FloatMode: 240
; IeeeMode: 1
; LDSByteSize: 0 bytes/workgroup (compile time only)
; SGPRBlocks: 0
; VGPRBlocks: 0
; NumSGPRsForWavesPerEU: 4
; NumVGPRsForWavesPerEU: 1
; AccumOffset: 4
; Occupancy: 8
; WaveLimiterHint : 0
; COMPUTE_PGM_RSRC2:SCRATCH_EN: 0
; COMPUTE_PGM_RSRC2:USER_SGPR: 6
; COMPUTE_PGM_RSRC2:TRAP_HANDLER: 0
; COMPUTE_PGM_RSRC2:TGID_X_EN: 1
; COMPUTE_PGM_RSRC2:TGID_Y_EN: 0
; COMPUTE_PGM_RSRC2:TGID_Z_EN: 0
; COMPUTE_PGM_RSRC2:TIDIG_COMP_CNT: 0
; COMPUTE_PGM_RSRC3_GFX90A:ACCUM_OFFSET: 0
; COMPUTE_PGM_RSRC3_GFX90A:TG_SPLIT: 0
	.section	.text._ZN7rocprim17ROCPRIM_400000_NS6detail17trampoline_kernelINS0_14default_configENS1_20scan_config_selectorIxEEZZNS1_9scan_implILNS1_25lookback_scan_determinismE0ELb1ELb1ES3_N6thrust23THRUST_200600_302600_NS6detail15normal_iteratorINS9_10device_ptrIxEEEESE_xNS9_4plusIxEExEEDaPvRmT3_T4_T5_mT6_P12ihipStream_tbENKUlT_T0_E_clISt17integral_constantIbLb0EEST_IbLb1EEEEDaSP_SQ_EUlSP_E0_NS1_11comp_targetILNS1_3genE0ELNS1_11target_archE4294967295ELNS1_3gpuE0ELNS1_3repE0EEENS1_30default_config_static_selectorELNS0_4arch9wavefront6targetE1EEEvT1_,"axG",@progbits,_ZN7rocprim17ROCPRIM_400000_NS6detail17trampoline_kernelINS0_14default_configENS1_20scan_config_selectorIxEEZZNS1_9scan_implILNS1_25lookback_scan_determinismE0ELb1ELb1ES3_N6thrust23THRUST_200600_302600_NS6detail15normal_iteratorINS9_10device_ptrIxEEEESE_xNS9_4plusIxEExEEDaPvRmT3_T4_T5_mT6_P12ihipStream_tbENKUlT_T0_E_clISt17integral_constantIbLb0EEST_IbLb1EEEEDaSP_SQ_EUlSP_E0_NS1_11comp_targetILNS1_3genE0ELNS1_11target_archE4294967295ELNS1_3gpuE0ELNS1_3repE0EEENS1_30default_config_static_selectorELNS0_4arch9wavefront6targetE1EEEvT1_,comdat
	.protected	_ZN7rocprim17ROCPRIM_400000_NS6detail17trampoline_kernelINS0_14default_configENS1_20scan_config_selectorIxEEZZNS1_9scan_implILNS1_25lookback_scan_determinismE0ELb1ELb1ES3_N6thrust23THRUST_200600_302600_NS6detail15normal_iteratorINS9_10device_ptrIxEEEESE_xNS9_4plusIxEExEEDaPvRmT3_T4_T5_mT6_P12ihipStream_tbENKUlT_T0_E_clISt17integral_constantIbLb0EEST_IbLb1EEEEDaSP_SQ_EUlSP_E0_NS1_11comp_targetILNS1_3genE0ELNS1_11target_archE4294967295ELNS1_3gpuE0ELNS1_3repE0EEENS1_30default_config_static_selectorELNS0_4arch9wavefront6targetE1EEEvT1_ ; -- Begin function _ZN7rocprim17ROCPRIM_400000_NS6detail17trampoline_kernelINS0_14default_configENS1_20scan_config_selectorIxEEZZNS1_9scan_implILNS1_25lookback_scan_determinismE0ELb1ELb1ES3_N6thrust23THRUST_200600_302600_NS6detail15normal_iteratorINS9_10device_ptrIxEEEESE_xNS9_4plusIxEExEEDaPvRmT3_T4_T5_mT6_P12ihipStream_tbENKUlT_T0_E_clISt17integral_constantIbLb0EEST_IbLb1EEEEDaSP_SQ_EUlSP_E0_NS1_11comp_targetILNS1_3genE0ELNS1_11target_archE4294967295ELNS1_3gpuE0ELNS1_3repE0EEENS1_30default_config_static_selectorELNS0_4arch9wavefront6targetE1EEEvT1_
	.globl	_ZN7rocprim17ROCPRIM_400000_NS6detail17trampoline_kernelINS0_14default_configENS1_20scan_config_selectorIxEEZZNS1_9scan_implILNS1_25lookback_scan_determinismE0ELb1ELb1ES3_N6thrust23THRUST_200600_302600_NS6detail15normal_iteratorINS9_10device_ptrIxEEEESE_xNS9_4plusIxEExEEDaPvRmT3_T4_T5_mT6_P12ihipStream_tbENKUlT_T0_E_clISt17integral_constantIbLb0EEST_IbLb1EEEEDaSP_SQ_EUlSP_E0_NS1_11comp_targetILNS1_3genE0ELNS1_11target_archE4294967295ELNS1_3gpuE0ELNS1_3repE0EEENS1_30default_config_static_selectorELNS0_4arch9wavefront6targetE1EEEvT1_
	.p2align	8
	.type	_ZN7rocprim17ROCPRIM_400000_NS6detail17trampoline_kernelINS0_14default_configENS1_20scan_config_selectorIxEEZZNS1_9scan_implILNS1_25lookback_scan_determinismE0ELb1ELb1ES3_N6thrust23THRUST_200600_302600_NS6detail15normal_iteratorINS9_10device_ptrIxEEEESE_xNS9_4plusIxEExEEDaPvRmT3_T4_T5_mT6_P12ihipStream_tbENKUlT_T0_E_clISt17integral_constantIbLb0EEST_IbLb1EEEEDaSP_SQ_EUlSP_E0_NS1_11comp_targetILNS1_3genE0ELNS1_11target_archE4294967295ELNS1_3gpuE0ELNS1_3repE0EEENS1_30default_config_static_selectorELNS0_4arch9wavefront6targetE1EEEvT1_,@function
_ZN7rocprim17ROCPRIM_400000_NS6detail17trampoline_kernelINS0_14default_configENS1_20scan_config_selectorIxEEZZNS1_9scan_implILNS1_25lookback_scan_determinismE0ELb1ELb1ES3_N6thrust23THRUST_200600_302600_NS6detail15normal_iteratorINS9_10device_ptrIxEEEESE_xNS9_4plusIxEExEEDaPvRmT3_T4_T5_mT6_P12ihipStream_tbENKUlT_T0_E_clISt17integral_constantIbLb0EEST_IbLb1EEEEDaSP_SQ_EUlSP_E0_NS1_11comp_targetILNS1_3genE0ELNS1_11target_archE4294967295ELNS1_3gpuE0ELNS1_3repE0EEENS1_30default_config_static_selectorELNS0_4arch9wavefront6targetE1EEEvT1_: ; @_ZN7rocprim17ROCPRIM_400000_NS6detail17trampoline_kernelINS0_14default_configENS1_20scan_config_selectorIxEEZZNS1_9scan_implILNS1_25lookback_scan_determinismE0ELb1ELb1ES3_N6thrust23THRUST_200600_302600_NS6detail15normal_iteratorINS9_10device_ptrIxEEEESE_xNS9_4plusIxEExEEDaPvRmT3_T4_T5_mT6_P12ihipStream_tbENKUlT_T0_E_clISt17integral_constantIbLb0EEST_IbLb1EEEEDaSP_SQ_EUlSP_E0_NS1_11comp_targetILNS1_3genE0ELNS1_11target_archE4294967295ELNS1_3gpuE0ELNS1_3repE0EEENS1_30default_config_static_selectorELNS0_4arch9wavefront6targetE1EEEvT1_
; %bb.0:
	.section	.rodata,"a",@progbits
	.p2align	6, 0x0
	.amdhsa_kernel _ZN7rocprim17ROCPRIM_400000_NS6detail17trampoline_kernelINS0_14default_configENS1_20scan_config_selectorIxEEZZNS1_9scan_implILNS1_25lookback_scan_determinismE0ELb1ELb1ES3_N6thrust23THRUST_200600_302600_NS6detail15normal_iteratorINS9_10device_ptrIxEEEESE_xNS9_4plusIxEExEEDaPvRmT3_T4_T5_mT6_P12ihipStream_tbENKUlT_T0_E_clISt17integral_constantIbLb0EEST_IbLb1EEEEDaSP_SQ_EUlSP_E0_NS1_11comp_targetILNS1_3genE0ELNS1_11target_archE4294967295ELNS1_3gpuE0ELNS1_3repE0EEENS1_30default_config_static_selectorELNS0_4arch9wavefront6targetE1EEEvT1_
		.amdhsa_group_segment_fixed_size 0
		.amdhsa_private_segment_fixed_size 0
		.amdhsa_kernarg_size 40
		.amdhsa_user_sgpr_count 6
		.amdhsa_user_sgpr_private_segment_buffer 1
		.amdhsa_user_sgpr_dispatch_ptr 0
		.amdhsa_user_sgpr_queue_ptr 0
		.amdhsa_user_sgpr_kernarg_segment_ptr 1
		.amdhsa_user_sgpr_dispatch_id 0
		.amdhsa_user_sgpr_flat_scratch_init 0
		.amdhsa_user_sgpr_kernarg_preload_length 0
		.amdhsa_user_sgpr_kernarg_preload_offset 0
		.amdhsa_user_sgpr_private_segment_size 0
		.amdhsa_uses_dynamic_stack 0
		.amdhsa_system_sgpr_private_segment_wavefront_offset 0
		.amdhsa_system_sgpr_workgroup_id_x 1
		.amdhsa_system_sgpr_workgroup_id_y 0
		.amdhsa_system_sgpr_workgroup_id_z 0
		.amdhsa_system_sgpr_workgroup_info 0
		.amdhsa_system_vgpr_workitem_id 0
		.amdhsa_next_free_vgpr 1
		.amdhsa_next_free_sgpr 0
		.amdhsa_accum_offset 4
		.amdhsa_reserve_vcc 0
		.amdhsa_reserve_flat_scratch 0
		.amdhsa_float_round_mode_32 0
		.amdhsa_float_round_mode_16_64 0
		.amdhsa_float_denorm_mode_32 3
		.amdhsa_float_denorm_mode_16_64 3
		.amdhsa_dx10_clamp 1
		.amdhsa_ieee_mode 1
		.amdhsa_fp16_overflow 0
		.amdhsa_tg_split 0
		.amdhsa_exception_fp_ieee_invalid_op 0
		.amdhsa_exception_fp_denorm_src 0
		.amdhsa_exception_fp_ieee_div_zero 0
		.amdhsa_exception_fp_ieee_overflow 0
		.amdhsa_exception_fp_ieee_underflow 0
		.amdhsa_exception_fp_ieee_inexact 0
		.amdhsa_exception_int_div_zero 0
	.end_amdhsa_kernel
	.section	.text._ZN7rocprim17ROCPRIM_400000_NS6detail17trampoline_kernelINS0_14default_configENS1_20scan_config_selectorIxEEZZNS1_9scan_implILNS1_25lookback_scan_determinismE0ELb1ELb1ES3_N6thrust23THRUST_200600_302600_NS6detail15normal_iteratorINS9_10device_ptrIxEEEESE_xNS9_4plusIxEExEEDaPvRmT3_T4_T5_mT6_P12ihipStream_tbENKUlT_T0_E_clISt17integral_constantIbLb0EEST_IbLb1EEEEDaSP_SQ_EUlSP_E0_NS1_11comp_targetILNS1_3genE0ELNS1_11target_archE4294967295ELNS1_3gpuE0ELNS1_3repE0EEENS1_30default_config_static_selectorELNS0_4arch9wavefront6targetE1EEEvT1_,"axG",@progbits,_ZN7rocprim17ROCPRIM_400000_NS6detail17trampoline_kernelINS0_14default_configENS1_20scan_config_selectorIxEEZZNS1_9scan_implILNS1_25lookback_scan_determinismE0ELb1ELb1ES3_N6thrust23THRUST_200600_302600_NS6detail15normal_iteratorINS9_10device_ptrIxEEEESE_xNS9_4plusIxEExEEDaPvRmT3_T4_T5_mT6_P12ihipStream_tbENKUlT_T0_E_clISt17integral_constantIbLb0EEST_IbLb1EEEEDaSP_SQ_EUlSP_E0_NS1_11comp_targetILNS1_3genE0ELNS1_11target_archE4294967295ELNS1_3gpuE0ELNS1_3repE0EEENS1_30default_config_static_selectorELNS0_4arch9wavefront6targetE1EEEvT1_,comdat
.Lfunc_end405:
	.size	_ZN7rocprim17ROCPRIM_400000_NS6detail17trampoline_kernelINS0_14default_configENS1_20scan_config_selectorIxEEZZNS1_9scan_implILNS1_25lookback_scan_determinismE0ELb1ELb1ES3_N6thrust23THRUST_200600_302600_NS6detail15normal_iteratorINS9_10device_ptrIxEEEESE_xNS9_4plusIxEExEEDaPvRmT3_T4_T5_mT6_P12ihipStream_tbENKUlT_T0_E_clISt17integral_constantIbLb0EEST_IbLb1EEEEDaSP_SQ_EUlSP_E0_NS1_11comp_targetILNS1_3genE0ELNS1_11target_archE4294967295ELNS1_3gpuE0ELNS1_3repE0EEENS1_30default_config_static_selectorELNS0_4arch9wavefront6targetE1EEEvT1_, .Lfunc_end405-_ZN7rocprim17ROCPRIM_400000_NS6detail17trampoline_kernelINS0_14default_configENS1_20scan_config_selectorIxEEZZNS1_9scan_implILNS1_25lookback_scan_determinismE0ELb1ELb1ES3_N6thrust23THRUST_200600_302600_NS6detail15normal_iteratorINS9_10device_ptrIxEEEESE_xNS9_4plusIxEExEEDaPvRmT3_T4_T5_mT6_P12ihipStream_tbENKUlT_T0_E_clISt17integral_constantIbLb0EEST_IbLb1EEEEDaSP_SQ_EUlSP_E0_NS1_11comp_targetILNS1_3genE0ELNS1_11target_archE4294967295ELNS1_3gpuE0ELNS1_3repE0EEENS1_30default_config_static_selectorELNS0_4arch9wavefront6targetE1EEEvT1_
                                        ; -- End function
	.section	.AMDGPU.csdata,"",@progbits
; Kernel info:
; codeLenInByte = 0
; NumSgprs: 4
; NumVgprs: 0
; NumAgprs: 0
; TotalNumVgprs: 0
; ScratchSize: 0
; MemoryBound: 0
; FloatMode: 240
; IeeeMode: 1
; LDSByteSize: 0 bytes/workgroup (compile time only)
; SGPRBlocks: 0
; VGPRBlocks: 0
; NumSGPRsForWavesPerEU: 4
; NumVGPRsForWavesPerEU: 1
; AccumOffset: 4
; Occupancy: 8
; WaveLimiterHint : 0
; COMPUTE_PGM_RSRC2:SCRATCH_EN: 0
; COMPUTE_PGM_RSRC2:USER_SGPR: 6
; COMPUTE_PGM_RSRC2:TRAP_HANDLER: 0
; COMPUTE_PGM_RSRC2:TGID_X_EN: 1
; COMPUTE_PGM_RSRC2:TGID_Y_EN: 0
; COMPUTE_PGM_RSRC2:TGID_Z_EN: 0
; COMPUTE_PGM_RSRC2:TIDIG_COMP_CNT: 0
; COMPUTE_PGM_RSRC3_GFX90A:ACCUM_OFFSET: 0
; COMPUTE_PGM_RSRC3_GFX90A:TG_SPLIT: 0
	.section	.text._ZN7rocprim17ROCPRIM_400000_NS6detail17trampoline_kernelINS0_14default_configENS1_20scan_config_selectorIxEEZZNS1_9scan_implILNS1_25lookback_scan_determinismE0ELb1ELb1ES3_N6thrust23THRUST_200600_302600_NS6detail15normal_iteratorINS9_10device_ptrIxEEEESE_xNS9_4plusIxEExEEDaPvRmT3_T4_T5_mT6_P12ihipStream_tbENKUlT_T0_E_clISt17integral_constantIbLb0EEST_IbLb1EEEEDaSP_SQ_EUlSP_E0_NS1_11comp_targetILNS1_3genE5ELNS1_11target_archE942ELNS1_3gpuE9ELNS1_3repE0EEENS1_30default_config_static_selectorELNS0_4arch9wavefront6targetE1EEEvT1_,"axG",@progbits,_ZN7rocprim17ROCPRIM_400000_NS6detail17trampoline_kernelINS0_14default_configENS1_20scan_config_selectorIxEEZZNS1_9scan_implILNS1_25lookback_scan_determinismE0ELb1ELb1ES3_N6thrust23THRUST_200600_302600_NS6detail15normal_iteratorINS9_10device_ptrIxEEEESE_xNS9_4plusIxEExEEDaPvRmT3_T4_T5_mT6_P12ihipStream_tbENKUlT_T0_E_clISt17integral_constantIbLb0EEST_IbLb1EEEEDaSP_SQ_EUlSP_E0_NS1_11comp_targetILNS1_3genE5ELNS1_11target_archE942ELNS1_3gpuE9ELNS1_3repE0EEENS1_30default_config_static_selectorELNS0_4arch9wavefront6targetE1EEEvT1_,comdat
	.protected	_ZN7rocprim17ROCPRIM_400000_NS6detail17trampoline_kernelINS0_14default_configENS1_20scan_config_selectorIxEEZZNS1_9scan_implILNS1_25lookback_scan_determinismE0ELb1ELb1ES3_N6thrust23THRUST_200600_302600_NS6detail15normal_iteratorINS9_10device_ptrIxEEEESE_xNS9_4plusIxEExEEDaPvRmT3_T4_T5_mT6_P12ihipStream_tbENKUlT_T0_E_clISt17integral_constantIbLb0EEST_IbLb1EEEEDaSP_SQ_EUlSP_E0_NS1_11comp_targetILNS1_3genE5ELNS1_11target_archE942ELNS1_3gpuE9ELNS1_3repE0EEENS1_30default_config_static_selectorELNS0_4arch9wavefront6targetE1EEEvT1_ ; -- Begin function _ZN7rocprim17ROCPRIM_400000_NS6detail17trampoline_kernelINS0_14default_configENS1_20scan_config_selectorIxEEZZNS1_9scan_implILNS1_25lookback_scan_determinismE0ELb1ELb1ES3_N6thrust23THRUST_200600_302600_NS6detail15normal_iteratorINS9_10device_ptrIxEEEESE_xNS9_4plusIxEExEEDaPvRmT3_T4_T5_mT6_P12ihipStream_tbENKUlT_T0_E_clISt17integral_constantIbLb0EEST_IbLb1EEEEDaSP_SQ_EUlSP_E0_NS1_11comp_targetILNS1_3genE5ELNS1_11target_archE942ELNS1_3gpuE9ELNS1_3repE0EEENS1_30default_config_static_selectorELNS0_4arch9wavefront6targetE1EEEvT1_
	.globl	_ZN7rocprim17ROCPRIM_400000_NS6detail17trampoline_kernelINS0_14default_configENS1_20scan_config_selectorIxEEZZNS1_9scan_implILNS1_25lookback_scan_determinismE0ELb1ELb1ES3_N6thrust23THRUST_200600_302600_NS6detail15normal_iteratorINS9_10device_ptrIxEEEESE_xNS9_4plusIxEExEEDaPvRmT3_T4_T5_mT6_P12ihipStream_tbENKUlT_T0_E_clISt17integral_constantIbLb0EEST_IbLb1EEEEDaSP_SQ_EUlSP_E0_NS1_11comp_targetILNS1_3genE5ELNS1_11target_archE942ELNS1_3gpuE9ELNS1_3repE0EEENS1_30default_config_static_selectorELNS0_4arch9wavefront6targetE1EEEvT1_
	.p2align	8
	.type	_ZN7rocprim17ROCPRIM_400000_NS6detail17trampoline_kernelINS0_14default_configENS1_20scan_config_selectorIxEEZZNS1_9scan_implILNS1_25lookback_scan_determinismE0ELb1ELb1ES3_N6thrust23THRUST_200600_302600_NS6detail15normal_iteratorINS9_10device_ptrIxEEEESE_xNS9_4plusIxEExEEDaPvRmT3_T4_T5_mT6_P12ihipStream_tbENKUlT_T0_E_clISt17integral_constantIbLb0EEST_IbLb1EEEEDaSP_SQ_EUlSP_E0_NS1_11comp_targetILNS1_3genE5ELNS1_11target_archE942ELNS1_3gpuE9ELNS1_3repE0EEENS1_30default_config_static_selectorELNS0_4arch9wavefront6targetE1EEEvT1_,@function
_ZN7rocprim17ROCPRIM_400000_NS6detail17trampoline_kernelINS0_14default_configENS1_20scan_config_selectorIxEEZZNS1_9scan_implILNS1_25lookback_scan_determinismE0ELb1ELb1ES3_N6thrust23THRUST_200600_302600_NS6detail15normal_iteratorINS9_10device_ptrIxEEEESE_xNS9_4plusIxEExEEDaPvRmT3_T4_T5_mT6_P12ihipStream_tbENKUlT_T0_E_clISt17integral_constantIbLb0EEST_IbLb1EEEEDaSP_SQ_EUlSP_E0_NS1_11comp_targetILNS1_3genE5ELNS1_11target_archE942ELNS1_3gpuE9ELNS1_3repE0EEENS1_30default_config_static_selectorELNS0_4arch9wavefront6targetE1EEEvT1_: ; @_ZN7rocprim17ROCPRIM_400000_NS6detail17trampoline_kernelINS0_14default_configENS1_20scan_config_selectorIxEEZZNS1_9scan_implILNS1_25lookback_scan_determinismE0ELb1ELb1ES3_N6thrust23THRUST_200600_302600_NS6detail15normal_iteratorINS9_10device_ptrIxEEEESE_xNS9_4plusIxEExEEDaPvRmT3_T4_T5_mT6_P12ihipStream_tbENKUlT_T0_E_clISt17integral_constantIbLb0EEST_IbLb1EEEEDaSP_SQ_EUlSP_E0_NS1_11comp_targetILNS1_3genE5ELNS1_11target_archE942ELNS1_3gpuE9ELNS1_3repE0EEENS1_30default_config_static_selectorELNS0_4arch9wavefront6targetE1EEEvT1_
; %bb.0:
	.section	.rodata,"a",@progbits
	.p2align	6, 0x0
	.amdhsa_kernel _ZN7rocprim17ROCPRIM_400000_NS6detail17trampoline_kernelINS0_14default_configENS1_20scan_config_selectorIxEEZZNS1_9scan_implILNS1_25lookback_scan_determinismE0ELb1ELb1ES3_N6thrust23THRUST_200600_302600_NS6detail15normal_iteratorINS9_10device_ptrIxEEEESE_xNS9_4plusIxEExEEDaPvRmT3_T4_T5_mT6_P12ihipStream_tbENKUlT_T0_E_clISt17integral_constantIbLb0EEST_IbLb1EEEEDaSP_SQ_EUlSP_E0_NS1_11comp_targetILNS1_3genE5ELNS1_11target_archE942ELNS1_3gpuE9ELNS1_3repE0EEENS1_30default_config_static_selectorELNS0_4arch9wavefront6targetE1EEEvT1_
		.amdhsa_group_segment_fixed_size 0
		.amdhsa_private_segment_fixed_size 0
		.amdhsa_kernarg_size 40
		.amdhsa_user_sgpr_count 6
		.amdhsa_user_sgpr_private_segment_buffer 1
		.amdhsa_user_sgpr_dispatch_ptr 0
		.amdhsa_user_sgpr_queue_ptr 0
		.amdhsa_user_sgpr_kernarg_segment_ptr 1
		.amdhsa_user_sgpr_dispatch_id 0
		.amdhsa_user_sgpr_flat_scratch_init 0
		.amdhsa_user_sgpr_kernarg_preload_length 0
		.amdhsa_user_sgpr_kernarg_preload_offset 0
		.amdhsa_user_sgpr_private_segment_size 0
		.amdhsa_uses_dynamic_stack 0
		.amdhsa_system_sgpr_private_segment_wavefront_offset 0
		.amdhsa_system_sgpr_workgroup_id_x 1
		.amdhsa_system_sgpr_workgroup_id_y 0
		.amdhsa_system_sgpr_workgroup_id_z 0
		.amdhsa_system_sgpr_workgroup_info 0
		.amdhsa_system_vgpr_workitem_id 0
		.amdhsa_next_free_vgpr 1
		.amdhsa_next_free_sgpr 0
		.amdhsa_accum_offset 4
		.amdhsa_reserve_vcc 0
		.amdhsa_reserve_flat_scratch 0
		.amdhsa_float_round_mode_32 0
		.amdhsa_float_round_mode_16_64 0
		.amdhsa_float_denorm_mode_32 3
		.amdhsa_float_denorm_mode_16_64 3
		.amdhsa_dx10_clamp 1
		.amdhsa_ieee_mode 1
		.amdhsa_fp16_overflow 0
		.amdhsa_tg_split 0
		.amdhsa_exception_fp_ieee_invalid_op 0
		.amdhsa_exception_fp_denorm_src 0
		.amdhsa_exception_fp_ieee_div_zero 0
		.amdhsa_exception_fp_ieee_overflow 0
		.amdhsa_exception_fp_ieee_underflow 0
		.amdhsa_exception_fp_ieee_inexact 0
		.amdhsa_exception_int_div_zero 0
	.end_amdhsa_kernel
	.section	.text._ZN7rocprim17ROCPRIM_400000_NS6detail17trampoline_kernelINS0_14default_configENS1_20scan_config_selectorIxEEZZNS1_9scan_implILNS1_25lookback_scan_determinismE0ELb1ELb1ES3_N6thrust23THRUST_200600_302600_NS6detail15normal_iteratorINS9_10device_ptrIxEEEESE_xNS9_4plusIxEExEEDaPvRmT3_T4_T5_mT6_P12ihipStream_tbENKUlT_T0_E_clISt17integral_constantIbLb0EEST_IbLb1EEEEDaSP_SQ_EUlSP_E0_NS1_11comp_targetILNS1_3genE5ELNS1_11target_archE942ELNS1_3gpuE9ELNS1_3repE0EEENS1_30default_config_static_selectorELNS0_4arch9wavefront6targetE1EEEvT1_,"axG",@progbits,_ZN7rocprim17ROCPRIM_400000_NS6detail17trampoline_kernelINS0_14default_configENS1_20scan_config_selectorIxEEZZNS1_9scan_implILNS1_25lookback_scan_determinismE0ELb1ELb1ES3_N6thrust23THRUST_200600_302600_NS6detail15normal_iteratorINS9_10device_ptrIxEEEESE_xNS9_4plusIxEExEEDaPvRmT3_T4_T5_mT6_P12ihipStream_tbENKUlT_T0_E_clISt17integral_constantIbLb0EEST_IbLb1EEEEDaSP_SQ_EUlSP_E0_NS1_11comp_targetILNS1_3genE5ELNS1_11target_archE942ELNS1_3gpuE9ELNS1_3repE0EEENS1_30default_config_static_selectorELNS0_4arch9wavefront6targetE1EEEvT1_,comdat
.Lfunc_end406:
	.size	_ZN7rocprim17ROCPRIM_400000_NS6detail17trampoline_kernelINS0_14default_configENS1_20scan_config_selectorIxEEZZNS1_9scan_implILNS1_25lookback_scan_determinismE0ELb1ELb1ES3_N6thrust23THRUST_200600_302600_NS6detail15normal_iteratorINS9_10device_ptrIxEEEESE_xNS9_4plusIxEExEEDaPvRmT3_T4_T5_mT6_P12ihipStream_tbENKUlT_T0_E_clISt17integral_constantIbLb0EEST_IbLb1EEEEDaSP_SQ_EUlSP_E0_NS1_11comp_targetILNS1_3genE5ELNS1_11target_archE942ELNS1_3gpuE9ELNS1_3repE0EEENS1_30default_config_static_selectorELNS0_4arch9wavefront6targetE1EEEvT1_, .Lfunc_end406-_ZN7rocprim17ROCPRIM_400000_NS6detail17trampoline_kernelINS0_14default_configENS1_20scan_config_selectorIxEEZZNS1_9scan_implILNS1_25lookback_scan_determinismE0ELb1ELb1ES3_N6thrust23THRUST_200600_302600_NS6detail15normal_iteratorINS9_10device_ptrIxEEEESE_xNS9_4plusIxEExEEDaPvRmT3_T4_T5_mT6_P12ihipStream_tbENKUlT_T0_E_clISt17integral_constantIbLb0EEST_IbLb1EEEEDaSP_SQ_EUlSP_E0_NS1_11comp_targetILNS1_3genE5ELNS1_11target_archE942ELNS1_3gpuE9ELNS1_3repE0EEENS1_30default_config_static_selectorELNS0_4arch9wavefront6targetE1EEEvT1_
                                        ; -- End function
	.section	.AMDGPU.csdata,"",@progbits
; Kernel info:
; codeLenInByte = 0
; NumSgprs: 4
; NumVgprs: 0
; NumAgprs: 0
; TotalNumVgprs: 0
; ScratchSize: 0
; MemoryBound: 0
; FloatMode: 240
; IeeeMode: 1
; LDSByteSize: 0 bytes/workgroup (compile time only)
; SGPRBlocks: 0
; VGPRBlocks: 0
; NumSGPRsForWavesPerEU: 4
; NumVGPRsForWavesPerEU: 1
; AccumOffset: 4
; Occupancy: 8
; WaveLimiterHint : 0
; COMPUTE_PGM_RSRC2:SCRATCH_EN: 0
; COMPUTE_PGM_RSRC2:USER_SGPR: 6
; COMPUTE_PGM_RSRC2:TRAP_HANDLER: 0
; COMPUTE_PGM_RSRC2:TGID_X_EN: 1
; COMPUTE_PGM_RSRC2:TGID_Y_EN: 0
; COMPUTE_PGM_RSRC2:TGID_Z_EN: 0
; COMPUTE_PGM_RSRC2:TIDIG_COMP_CNT: 0
; COMPUTE_PGM_RSRC3_GFX90A:ACCUM_OFFSET: 0
; COMPUTE_PGM_RSRC3_GFX90A:TG_SPLIT: 0
	.section	.text._ZN7rocprim17ROCPRIM_400000_NS6detail17trampoline_kernelINS0_14default_configENS1_20scan_config_selectorIxEEZZNS1_9scan_implILNS1_25lookback_scan_determinismE0ELb1ELb1ES3_N6thrust23THRUST_200600_302600_NS6detail15normal_iteratorINS9_10device_ptrIxEEEESE_xNS9_4plusIxEExEEDaPvRmT3_T4_T5_mT6_P12ihipStream_tbENKUlT_T0_E_clISt17integral_constantIbLb0EEST_IbLb1EEEEDaSP_SQ_EUlSP_E0_NS1_11comp_targetILNS1_3genE4ELNS1_11target_archE910ELNS1_3gpuE8ELNS1_3repE0EEENS1_30default_config_static_selectorELNS0_4arch9wavefront6targetE1EEEvT1_,"axG",@progbits,_ZN7rocprim17ROCPRIM_400000_NS6detail17trampoline_kernelINS0_14default_configENS1_20scan_config_selectorIxEEZZNS1_9scan_implILNS1_25lookback_scan_determinismE0ELb1ELb1ES3_N6thrust23THRUST_200600_302600_NS6detail15normal_iteratorINS9_10device_ptrIxEEEESE_xNS9_4plusIxEExEEDaPvRmT3_T4_T5_mT6_P12ihipStream_tbENKUlT_T0_E_clISt17integral_constantIbLb0EEST_IbLb1EEEEDaSP_SQ_EUlSP_E0_NS1_11comp_targetILNS1_3genE4ELNS1_11target_archE910ELNS1_3gpuE8ELNS1_3repE0EEENS1_30default_config_static_selectorELNS0_4arch9wavefront6targetE1EEEvT1_,comdat
	.protected	_ZN7rocprim17ROCPRIM_400000_NS6detail17trampoline_kernelINS0_14default_configENS1_20scan_config_selectorIxEEZZNS1_9scan_implILNS1_25lookback_scan_determinismE0ELb1ELb1ES3_N6thrust23THRUST_200600_302600_NS6detail15normal_iteratorINS9_10device_ptrIxEEEESE_xNS9_4plusIxEExEEDaPvRmT3_T4_T5_mT6_P12ihipStream_tbENKUlT_T0_E_clISt17integral_constantIbLb0EEST_IbLb1EEEEDaSP_SQ_EUlSP_E0_NS1_11comp_targetILNS1_3genE4ELNS1_11target_archE910ELNS1_3gpuE8ELNS1_3repE0EEENS1_30default_config_static_selectorELNS0_4arch9wavefront6targetE1EEEvT1_ ; -- Begin function _ZN7rocprim17ROCPRIM_400000_NS6detail17trampoline_kernelINS0_14default_configENS1_20scan_config_selectorIxEEZZNS1_9scan_implILNS1_25lookback_scan_determinismE0ELb1ELb1ES3_N6thrust23THRUST_200600_302600_NS6detail15normal_iteratorINS9_10device_ptrIxEEEESE_xNS9_4plusIxEExEEDaPvRmT3_T4_T5_mT6_P12ihipStream_tbENKUlT_T0_E_clISt17integral_constantIbLb0EEST_IbLb1EEEEDaSP_SQ_EUlSP_E0_NS1_11comp_targetILNS1_3genE4ELNS1_11target_archE910ELNS1_3gpuE8ELNS1_3repE0EEENS1_30default_config_static_selectorELNS0_4arch9wavefront6targetE1EEEvT1_
	.globl	_ZN7rocprim17ROCPRIM_400000_NS6detail17trampoline_kernelINS0_14default_configENS1_20scan_config_selectorIxEEZZNS1_9scan_implILNS1_25lookback_scan_determinismE0ELb1ELb1ES3_N6thrust23THRUST_200600_302600_NS6detail15normal_iteratorINS9_10device_ptrIxEEEESE_xNS9_4plusIxEExEEDaPvRmT3_T4_T5_mT6_P12ihipStream_tbENKUlT_T0_E_clISt17integral_constantIbLb0EEST_IbLb1EEEEDaSP_SQ_EUlSP_E0_NS1_11comp_targetILNS1_3genE4ELNS1_11target_archE910ELNS1_3gpuE8ELNS1_3repE0EEENS1_30default_config_static_selectorELNS0_4arch9wavefront6targetE1EEEvT1_
	.p2align	8
	.type	_ZN7rocprim17ROCPRIM_400000_NS6detail17trampoline_kernelINS0_14default_configENS1_20scan_config_selectorIxEEZZNS1_9scan_implILNS1_25lookback_scan_determinismE0ELb1ELb1ES3_N6thrust23THRUST_200600_302600_NS6detail15normal_iteratorINS9_10device_ptrIxEEEESE_xNS9_4plusIxEExEEDaPvRmT3_T4_T5_mT6_P12ihipStream_tbENKUlT_T0_E_clISt17integral_constantIbLb0EEST_IbLb1EEEEDaSP_SQ_EUlSP_E0_NS1_11comp_targetILNS1_3genE4ELNS1_11target_archE910ELNS1_3gpuE8ELNS1_3repE0EEENS1_30default_config_static_selectorELNS0_4arch9wavefront6targetE1EEEvT1_,@function
_ZN7rocprim17ROCPRIM_400000_NS6detail17trampoline_kernelINS0_14default_configENS1_20scan_config_selectorIxEEZZNS1_9scan_implILNS1_25lookback_scan_determinismE0ELb1ELb1ES3_N6thrust23THRUST_200600_302600_NS6detail15normal_iteratorINS9_10device_ptrIxEEEESE_xNS9_4plusIxEExEEDaPvRmT3_T4_T5_mT6_P12ihipStream_tbENKUlT_T0_E_clISt17integral_constantIbLb0EEST_IbLb1EEEEDaSP_SQ_EUlSP_E0_NS1_11comp_targetILNS1_3genE4ELNS1_11target_archE910ELNS1_3gpuE8ELNS1_3repE0EEENS1_30default_config_static_selectorELNS0_4arch9wavefront6targetE1EEEvT1_: ; @_ZN7rocprim17ROCPRIM_400000_NS6detail17trampoline_kernelINS0_14default_configENS1_20scan_config_selectorIxEEZZNS1_9scan_implILNS1_25lookback_scan_determinismE0ELb1ELb1ES3_N6thrust23THRUST_200600_302600_NS6detail15normal_iteratorINS9_10device_ptrIxEEEESE_xNS9_4plusIxEExEEDaPvRmT3_T4_T5_mT6_P12ihipStream_tbENKUlT_T0_E_clISt17integral_constantIbLb0EEST_IbLb1EEEEDaSP_SQ_EUlSP_E0_NS1_11comp_targetILNS1_3genE4ELNS1_11target_archE910ELNS1_3gpuE8ELNS1_3repE0EEENS1_30default_config_static_selectorELNS0_4arch9wavefront6targetE1EEEvT1_
; %bb.0:
	s_load_dwordx4 s[16:19], s[4:5], 0x0
	v_lshlrev_b32_e32 v20, 3, v0
	s_waitcnt lgkmcnt(0)
	s_load_dwordx2 s[14:15], s[16:17], 0x0
	v_cmp_gt_u32_e32 vcc, s18, v0
	s_waitcnt lgkmcnt(0)
	v_pk_mov_b32 v[2:3], s[14:15], s[14:15] op_sel:[0,1]
	s_and_saveexec_b64 s[0:1], vcc
	s_cbranch_execz .LBB407_2
; %bb.1:
	global_load_dwordx2 v[2:3], v20, s[16:17]
.LBB407_2:
	s_or_b64 exec, exec, s[0:1]
	v_or_b32_e32 v1, 0x80, v0
	v_cmp_gt_u32_e64 s[0:1], s18, v1
	v_pk_mov_b32 v[4:5], s[14:15], s[14:15] op_sel:[0,1]
	s_and_saveexec_b64 s[2:3], s[0:1]
	s_cbranch_execz .LBB407_4
; %bb.3:
	global_load_dwordx2 v[4:5], v20, s[16:17] offset:1024
.LBB407_4:
	s_or_b64 exec, exec, s[2:3]
	v_or_b32_e32 v1, 0x100, v0
	v_cmp_gt_u32_e64 s[2:3], s18, v1
	v_pk_mov_b32 v[6:7], s[14:15], s[14:15] op_sel:[0,1]
	s_and_saveexec_b64 s[6:7], s[2:3]
	s_cbranch_execz .LBB407_6
; %bb.5:
	global_load_dwordx2 v[6:7], v20, s[16:17] offset:2048
.LBB407_6:
	;; [unrolled: 9-line block ×3, first 2 shown]
	s_or_b64 exec, exec, s[6:7]
	v_or_b32_e32 v1, 0x200, v0
	v_cmp_gt_u32_e64 s[6:7], s18, v1
	v_pk_mov_b32 v[10:11], s[14:15], s[14:15] op_sel:[0,1]
	s_and_saveexec_b64 s[8:9], s[6:7]
	s_cbranch_execz .LBB407_10
; %bb.9:
	v_lshlrev_b32_e32 v1, 3, v1
	global_load_dwordx2 v[10:11], v1, s[16:17]
.LBB407_10:
	s_or_b64 exec, exec, s[8:9]
	v_or_b32_e32 v1, 0x280, v0
	v_cmp_gt_u32_e64 s[8:9], s18, v1
	v_pk_mov_b32 v[12:13], s[14:15], s[14:15] op_sel:[0,1]
	s_and_saveexec_b64 s[10:11], s[8:9]
	s_cbranch_execz .LBB407_12
; %bb.11:
	v_lshlrev_b32_e32 v1, 3, v1
	global_load_dwordx2 v[12:13], v1, s[16:17]
.LBB407_12:
	s_or_b64 exec, exec, s[10:11]
	s_load_dwordx2 s[20:21], s[4:5], 0x10
	v_or_b32_e32 v1, 0x300, v0
	v_cmp_gt_u32_e64 s[10:11], s18, v1
	v_pk_mov_b32 v[14:15], s[14:15], s[14:15] op_sel:[0,1]
	s_and_saveexec_b64 s[14:15], s[10:11]
	s_cbranch_execz .LBB407_14
; %bb.13:
	v_lshlrev_b32_e32 v1, 3, v1
	global_load_dwordx2 v[14:15], v1, s[16:17]
.LBB407_14:
	s_or_b64 exec, exec, s[14:15]
	v_mad_u32_u24 v1, v0, 48, v20
	s_waitcnt vmcnt(0)
	ds_write2st64_b64 v20, v[2:3], v[4:5] offset1:2
	ds_write2st64_b64 v20, v[6:7], v[8:9] offset0:4 offset1:6
	ds_write2st64_b64 v20, v[10:11], v[12:13] offset0:8 offset1:10
	ds_write_b64 v20, v[14:15] offset:6144
	s_waitcnt lgkmcnt(0)
	s_barrier
	ds_read2_b64 v[2:5], v1 offset1:1
	ds_read2_b64 v[6:9], v1 offset0:2 offset1:3
	ds_read2_b64 v[10:13], v1 offset0:4 offset1:5
	ds_read_b64 v[14:15], v1 offset:48
	s_load_dwordx2 s[16:17], s[4:5], 0x20
	s_waitcnt lgkmcnt(0)
	v_add_co_u32_e64 v1, s[4:5], v4, v2
	v_addc_co_u32_e64 v16, s[4:5], v5, v3, s[4:5]
	v_add_co_u32_e64 v1, s[4:5], v1, v6
	v_addc_co_u32_e64 v16, s[4:5], v16, v7, s[4:5]
	;; [unrolled: 2-line block ×5, first 2 shown]
	v_add_co_u32_e64 v18, s[4:5], v1, v14
	v_lshrrev_b32_e32 v1, 2, v0
	v_addc_co_u32_e64 v19, s[4:5], v16, v15, s[4:5]
	v_and_b32_e32 v1, 24, v1
	v_add_u32_e32 v1, v20, v1
	v_cmp_gt_u32_e64 s[4:5], 64, v0
	s_barrier
	ds_write_b64 v1, v[18:19]
	s_waitcnt lgkmcnt(0)
	s_barrier
	s_and_saveexec_b64 s[18:19], s[4:5]
	s_cbranch_execz .LBB407_18
; %bb.15:
	v_lshlrev_b32_e32 v1, 1, v0
	v_lshrrev_b32_e32 v14, 4, v0
	v_add_lshl_u32 v21, v14, v1, 3
	ds_read2_b64 v[14:17], v21 offset1:1
	v_mbcnt_lo_u32_b32 v1, -1, 0
	s_waitcnt lgkmcnt(0)
	v_add_co_u32_e64 v22, s[4:5], v16, v14
	v_addc_co_u32_e64 v23, s[4:5], v17, v15, s[4:5]
	s_nop 0
	v_mov_b32_dpp v16, v22 row_shr:1 row_mask:0xf bank_mask:0xf
	v_add_co_u32_e64 v16, s[4:5], v22, v16
	v_addc_co_u32_e64 v25, s[4:5], 0, v23, s[4:5]
	v_mbcnt_hi_u32_b32 v17, -1, v1
	v_mov_b32_dpp v24, v23 row_shr:1 row_mask:0xf bank_mask:0xf
	v_add_co_u32_e64 v26, s[4:5], 0, v16
	v_and_b32_e32 v1, 15, v17
	v_addc_co_u32_e64 v24, s[4:5], v24, v25, s[4:5]
	v_cmp_eq_u32_e64 s[4:5], 0, v1
	v_cndmask_b32_e64 v16, v16, v22, s[4:5]
	v_cndmask_b32_e64 v24, v24, v23, s[4:5]
	v_cndmask_b32_e64 v25, v26, v22, s[4:5]
	v_mov_b32_dpp v26, v16 row_shr:2 row_mask:0xf bank_mask:0xf
	v_mov_b32_dpp v27, v24 row_shr:2 row_mask:0xf bank_mask:0xf
	v_add_co_u32_e64 v26, s[4:5], v26, v25
	v_addc_co_u32_e64 v27, s[4:5], v27, v24, s[4:5]
	v_cmp_lt_u32_e64 s[4:5], 1, v1
	v_cndmask_b32_e64 v16, v16, v26, s[4:5]
	v_cndmask_b32_e64 v24, v24, v27, s[4:5]
	v_cndmask_b32_e64 v25, v25, v26, s[4:5]
	v_mov_b32_dpp v26, v16 row_shr:4 row_mask:0xf bank_mask:0xf
	v_mov_b32_dpp v27, v24 row_shr:4 row_mask:0xf bank_mask:0xf
	v_add_co_u32_e64 v26, s[4:5], v26, v25
	v_addc_co_u32_e64 v27, s[4:5], v27, v24, s[4:5]
	v_cmp_lt_u32_e64 s[4:5], 3, v1
	;; [unrolled: 8-line block ×3, first 2 shown]
	v_cndmask_b32_e64 v28, v16, v26, s[4:5]
	v_cndmask_b32_e64 v1, v24, v27, s[4:5]
	;; [unrolled: 1-line block ×3, first 2 shown]
	v_mov_b32_dpp v24, v28 row_bcast:15 row_mask:0xf bank_mask:0xf
	v_mov_b32_dpp v25, v1 row_bcast:15 row_mask:0xf bank_mask:0xf
	v_add_co_u32_e64 v24, s[4:5], v24, v16
	v_and_b32_e32 v27, 16, v17
	v_addc_co_u32_e64 v26, s[4:5], v25, v1, s[4:5]
	v_cmp_eq_u32_e64 s[4:5], 0, v27
	v_cndmask_b32_e64 v27, v26, v1, s[4:5]
	v_cndmask_b32_e64 v25, v24, v28, s[4:5]
	v_cmp_ne_u32_e64 s[14:15], 0, v17
	v_mov_b32_dpp v27, v27 row_bcast:31 row_mask:0xf bank_mask:0xf
	v_mov_b32_dpp v25, v25 row_bcast:31 row_mask:0xf bank_mask:0xf
	s_and_saveexec_b64 s[22:23], s[14:15]
; %bb.16:
	v_cndmask_b32_e64 v1, v26, v1, s[4:5]
	v_cndmask_b32_e64 v16, v24, v16, s[4:5]
	v_cmp_lt_u32_e64 s[4:5], 31, v17
	v_cndmask_b32_e64 v22, 0, v25, s[4:5]
	v_cndmask_b32_e64 v23, 0, v27, s[4:5]
	v_add_co_u32_e64 v22, s[4:5], v22, v16
	v_addc_co_u32_e64 v23, s[4:5], v23, v1, s[4:5]
; %bb.17:
	s_or_b64 exec, exec, s[22:23]
	v_add_u32_e32 v1, -1, v17
	v_and_b32_e32 v16, 64, v17
	v_cmp_lt_i32_e64 s[4:5], v1, v16
	v_cndmask_b32_e64 v1, v1, v17, s[4:5]
	v_lshlrev_b32_e32 v1, 2, v1
	ds_bpermute_b32 v16, v1, v22
	ds_bpermute_b32 v1, v1, v23
	; wave barrier
	s_waitcnt lgkmcnt(1)
	v_add_co_u32_e64 v14, s[4:5], v14, v16
	v_addc_co_u32_e64 v15, s[4:5], 0, v15, s[4:5]
	v_add_co_u32_e64 v14, s[4:5], 0, v14
	s_waitcnt lgkmcnt(0)
	v_addc_co_u32_e64 v1, s[4:5], v15, v1, s[4:5]
	v_cmp_eq_u32_e64 s[4:5], 0, v0
	v_cndmask_b32_e64 v15, v1, v19, s[4:5]
	v_cndmask_b32_e64 v14, v14, v18, s[4:5]
	ds_write_b64 v21, v[14:15]
	; wave barrier
	ds_read_b64 v[16:17], v21 offset:8
	s_waitcnt lgkmcnt(0)
	v_add_co_u32_e64 v14, s[4:5], v16, v14
	v_addc_co_u32_e64 v15, s[4:5], v17, v15, s[4:5]
	ds_write_b64 v21, v[14:15] offset:8
.LBB407_18:
	s_or_b64 exec, exec, s[18:19]
	v_mul_u32_u24_e32 v1, 48, v0
	v_cmp_ne_u32_e64 s[4:5], 0, v0
	v_pk_mov_b32 v[14:15], s[20:21], s[20:21] op_sel:[0,1]
	s_waitcnt lgkmcnt(0)
	s_barrier
	s_and_saveexec_b64 s[14:15], s[4:5]
	s_cbranch_execz .LBB407_20
; %bb.19:
	v_add_u32_e32 v0, -1, v0
	v_lshrrev_b32_e32 v14, 5, v0
	v_add_lshl_u32 v0, v14, v0, 3
	ds_read_b64 v[14:15], v0
	v_mov_b32_e32 v0, s21
	s_waitcnt lgkmcnt(0)
	v_add_co_u32_e64 v14, s[4:5], s20, v14
	v_addc_co_u32_e64 v15, s[4:5], v15, v0, s[4:5]
.LBB407_20:
	s_or_b64 exec, exec, s[14:15]
	v_add_co_u32_e64 v2, s[4:5], v14, v2
	v_addc_co_u32_e64 v3, s[4:5], v15, v3, s[4:5]
	v_add_co_u32_e64 v4, s[4:5], v2, v4
	v_addc_co_u32_e64 v5, s[4:5], v3, v5, s[4:5]
	;; [unrolled: 2-line block ×5, first 2 shown]
	v_add_co_u32_e64 v12, s[4:5], v10, v12
	v_add_u32_e32 v0, v20, v1
	v_addc_co_u32_e64 v13, s[4:5], v11, v13, s[4:5]
	s_barrier
	ds_write2_b64 v0, v[14:15], v[2:3] offset1:1
	ds_write2_b64 v0, v[4:5], v[6:7] offset0:2 offset1:3
	ds_write2_b64 v0, v[8:9], v[10:11] offset0:4 offset1:5
	ds_write_b64 v0, v[12:13] offset:48
	s_waitcnt lgkmcnt(0)
	s_barrier
	ds_read2st64_b64 v[8:11], v20 offset0:2 offset1:4
	ds_read2st64_b64 v[4:7], v20 offset0:6 offset1:8
	;; [unrolled: 1-line block ×3, first 2 shown]
	v_mov_b32_e32 v13, s17
	v_add_co_u32_e64 v12, s[4:5], s16, v20
	v_addc_co_u32_e64 v13, s[4:5], 0, v13, s[4:5]
	s_and_saveexec_b64 s[4:5], vcc
	s_cbranch_execnz .LBB407_28
; %bb.21:
	s_or_b64 exec, exec, s[4:5]
	s_and_saveexec_b64 s[4:5], s[0:1]
	s_cbranch_execnz .LBB407_29
.LBB407_22:
	s_or_b64 exec, exec, s[4:5]
	s_and_saveexec_b64 s[0:1], s[2:3]
	s_cbranch_execnz .LBB407_30
.LBB407_23:
	s_or_b64 exec, exec, s[0:1]
	s_and_saveexec_b64 s[0:1], s[12:13]
	s_cbranch_execnz .LBB407_31
.LBB407_24:
	s_or_b64 exec, exec, s[0:1]
	s_and_saveexec_b64 s[0:1], s[6:7]
	s_cbranch_execnz .LBB407_32
.LBB407_25:
	s_or_b64 exec, exec, s[0:1]
	s_and_saveexec_b64 s[0:1], s[8:9]
	s_cbranch_execnz .LBB407_33
.LBB407_26:
	s_or_b64 exec, exec, s[0:1]
	s_and_saveexec_b64 s[0:1], s[10:11]
	s_cbranch_execnz .LBB407_34
.LBB407_27:
	s_endpgm
.LBB407_28:
	ds_read_b64 v[14:15], v20
	s_waitcnt lgkmcnt(0)
	global_store_dwordx2 v[12:13], v[14:15], off
	s_or_b64 exec, exec, s[4:5]
	s_and_saveexec_b64 s[4:5], s[0:1]
	s_cbranch_execz .LBB407_22
.LBB407_29:
	s_waitcnt lgkmcnt(2)
	global_store_dwordx2 v[12:13], v[8:9], off offset:1024
	s_or_b64 exec, exec, s[4:5]
	s_and_saveexec_b64 s[0:1], s[2:3]
	s_cbranch_execz .LBB407_23
.LBB407_30:
	s_waitcnt lgkmcnt(2)
	global_store_dwordx2 v[12:13], v[10:11], off offset:2048
	s_or_b64 exec, exec, s[0:1]
	s_and_saveexec_b64 s[0:1], s[12:13]
	s_cbranch_execz .LBB407_24
.LBB407_31:
	s_waitcnt lgkmcnt(1)
	global_store_dwordx2 v[12:13], v[4:5], off offset:3072
	s_or_b64 exec, exec, s[0:1]
	s_and_saveexec_b64 s[0:1], s[6:7]
	s_cbranch_execz .LBB407_25
.LBB407_32:
	s_waitcnt lgkmcnt(1)
	v_add_co_u32_e32 v4, vcc, 0x1000, v12
	v_addc_co_u32_e32 v5, vcc, 0, v13, vcc
	global_store_dwordx2 v[4:5], v[6:7], off
	s_or_b64 exec, exec, s[0:1]
	s_and_saveexec_b64 s[0:1], s[8:9]
	s_cbranch_execz .LBB407_26
.LBB407_33:
	s_waitcnt lgkmcnt(1)
	v_add_co_u32_e32 v4, vcc, 0x1000, v12
	v_addc_co_u32_e32 v5, vcc, 0, v13, vcc
	s_waitcnt lgkmcnt(0)
	global_store_dwordx2 v[4:5], v[0:1], off offset:1024
	s_or_b64 exec, exec, s[0:1]
	s_and_saveexec_b64 s[0:1], s[10:11]
	s_cbranch_execz .LBB407_27
.LBB407_34:
	s_waitcnt lgkmcnt(0)
	v_add_co_u32_e32 v0, vcc, 0x1000, v12
	v_addc_co_u32_e32 v1, vcc, 0, v13, vcc
	global_store_dwordx2 v[0:1], v[2:3], off offset:2048
	s_endpgm
	.section	.rodata,"a",@progbits
	.p2align	6, 0x0
	.amdhsa_kernel _ZN7rocprim17ROCPRIM_400000_NS6detail17trampoline_kernelINS0_14default_configENS1_20scan_config_selectorIxEEZZNS1_9scan_implILNS1_25lookback_scan_determinismE0ELb1ELb1ES3_N6thrust23THRUST_200600_302600_NS6detail15normal_iteratorINS9_10device_ptrIxEEEESE_xNS9_4plusIxEExEEDaPvRmT3_T4_T5_mT6_P12ihipStream_tbENKUlT_T0_E_clISt17integral_constantIbLb0EEST_IbLb1EEEEDaSP_SQ_EUlSP_E0_NS1_11comp_targetILNS1_3genE4ELNS1_11target_archE910ELNS1_3gpuE8ELNS1_3repE0EEENS1_30default_config_static_selectorELNS0_4arch9wavefront6targetE1EEEvT1_
		.amdhsa_group_segment_fixed_size 7168
		.amdhsa_private_segment_fixed_size 0
		.amdhsa_kernarg_size 40
		.amdhsa_user_sgpr_count 6
		.amdhsa_user_sgpr_private_segment_buffer 1
		.amdhsa_user_sgpr_dispatch_ptr 0
		.amdhsa_user_sgpr_queue_ptr 0
		.amdhsa_user_sgpr_kernarg_segment_ptr 1
		.amdhsa_user_sgpr_dispatch_id 0
		.amdhsa_user_sgpr_flat_scratch_init 0
		.amdhsa_user_sgpr_kernarg_preload_length 0
		.amdhsa_user_sgpr_kernarg_preload_offset 0
		.amdhsa_user_sgpr_private_segment_size 0
		.amdhsa_uses_dynamic_stack 0
		.amdhsa_system_sgpr_private_segment_wavefront_offset 0
		.amdhsa_system_sgpr_workgroup_id_x 1
		.amdhsa_system_sgpr_workgroup_id_y 0
		.amdhsa_system_sgpr_workgroup_id_z 0
		.amdhsa_system_sgpr_workgroup_info 0
		.amdhsa_system_vgpr_workitem_id 0
		.amdhsa_next_free_vgpr 29
		.amdhsa_next_free_sgpr 24
		.amdhsa_accum_offset 32
		.amdhsa_reserve_vcc 1
		.amdhsa_reserve_flat_scratch 0
		.amdhsa_float_round_mode_32 0
		.amdhsa_float_round_mode_16_64 0
		.amdhsa_float_denorm_mode_32 3
		.amdhsa_float_denorm_mode_16_64 3
		.amdhsa_dx10_clamp 1
		.amdhsa_ieee_mode 1
		.amdhsa_fp16_overflow 0
		.amdhsa_tg_split 0
		.amdhsa_exception_fp_ieee_invalid_op 0
		.amdhsa_exception_fp_denorm_src 0
		.amdhsa_exception_fp_ieee_div_zero 0
		.amdhsa_exception_fp_ieee_overflow 0
		.amdhsa_exception_fp_ieee_underflow 0
		.amdhsa_exception_fp_ieee_inexact 0
		.amdhsa_exception_int_div_zero 0
	.end_amdhsa_kernel
	.section	.text._ZN7rocprim17ROCPRIM_400000_NS6detail17trampoline_kernelINS0_14default_configENS1_20scan_config_selectorIxEEZZNS1_9scan_implILNS1_25lookback_scan_determinismE0ELb1ELb1ES3_N6thrust23THRUST_200600_302600_NS6detail15normal_iteratorINS9_10device_ptrIxEEEESE_xNS9_4plusIxEExEEDaPvRmT3_T4_T5_mT6_P12ihipStream_tbENKUlT_T0_E_clISt17integral_constantIbLb0EEST_IbLb1EEEEDaSP_SQ_EUlSP_E0_NS1_11comp_targetILNS1_3genE4ELNS1_11target_archE910ELNS1_3gpuE8ELNS1_3repE0EEENS1_30default_config_static_selectorELNS0_4arch9wavefront6targetE1EEEvT1_,"axG",@progbits,_ZN7rocprim17ROCPRIM_400000_NS6detail17trampoline_kernelINS0_14default_configENS1_20scan_config_selectorIxEEZZNS1_9scan_implILNS1_25lookback_scan_determinismE0ELb1ELb1ES3_N6thrust23THRUST_200600_302600_NS6detail15normal_iteratorINS9_10device_ptrIxEEEESE_xNS9_4plusIxEExEEDaPvRmT3_T4_T5_mT6_P12ihipStream_tbENKUlT_T0_E_clISt17integral_constantIbLb0EEST_IbLb1EEEEDaSP_SQ_EUlSP_E0_NS1_11comp_targetILNS1_3genE4ELNS1_11target_archE910ELNS1_3gpuE8ELNS1_3repE0EEENS1_30default_config_static_selectorELNS0_4arch9wavefront6targetE1EEEvT1_,comdat
.Lfunc_end407:
	.size	_ZN7rocprim17ROCPRIM_400000_NS6detail17trampoline_kernelINS0_14default_configENS1_20scan_config_selectorIxEEZZNS1_9scan_implILNS1_25lookback_scan_determinismE0ELb1ELb1ES3_N6thrust23THRUST_200600_302600_NS6detail15normal_iteratorINS9_10device_ptrIxEEEESE_xNS9_4plusIxEExEEDaPvRmT3_T4_T5_mT6_P12ihipStream_tbENKUlT_T0_E_clISt17integral_constantIbLb0EEST_IbLb1EEEEDaSP_SQ_EUlSP_E0_NS1_11comp_targetILNS1_3genE4ELNS1_11target_archE910ELNS1_3gpuE8ELNS1_3repE0EEENS1_30default_config_static_selectorELNS0_4arch9wavefront6targetE1EEEvT1_, .Lfunc_end407-_ZN7rocprim17ROCPRIM_400000_NS6detail17trampoline_kernelINS0_14default_configENS1_20scan_config_selectorIxEEZZNS1_9scan_implILNS1_25lookback_scan_determinismE0ELb1ELb1ES3_N6thrust23THRUST_200600_302600_NS6detail15normal_iteratorINS9_10device_ptrIxEEEESE_xNS9_4plusIxEExEEDaPvRmT3_T4_T5_mT6_P12ihipStream_tbENKUlT_T0_E_clISt17integral_constantIbLb0EEST_IbLb1EEEEDaSP_SQ_EUlSP_E0_NS1_11comp_targetILNS1_3genE4ELNS1_11target_archE910ELNS1_3gpuE8ELNS1_3repE0EEENS1_30default_config_static_selectorELNS0_4arch9wavefront6targetE1EEEvT1_
                                        ; -- End function
	.section	.AMDGPU.csdata,"",@progbits
; Kernel info:
; codeLenInByte = 1796
; NumSgprs: 28
; NumVgprs: 29
; NumAgprs: 0
; TotalNumVgprs: 29
; ScratchSize: 0
; MemoryBound: 0
; FloatMode: 240
; IeeeMode: 1
; LDSByteSize: 7168 bytes/workgroup (compile time only)
; SGPRBlocks: 3
; VGPRBlocks: 3
; NumSGPRsForWavesPerEU: 28
; NumVGPRsForWavesPerEU: 29
; AccumOffset: 32
; Occupancy: 5
; WaveLimiterHint : 0
; COMPUTE_PGM_RSRC2:SCRATCH_EN: 0
; COMPUTE_PGM_RSRC2:USER_SGPR: 6
; COMPUTE_PGM_RSRC2:TRAP_HANDLER: 0
; COMPUTE_PGM_RSRC2:TGID_X_EN: 1
; COMPUTE_PGM_RSRC2:TGID_Y_EN: 0
; COMPUTE_PGM_RSRC2:TGID_Z_EN: 0
; COMPUTE_PGM_RSRC2:TIDIG_COMP_CNT: 0
; COMPUTE_PGM_RSRC3_GFX90A:ACCUM_OFFSET: 7
; COMPUTE_PGM_RSRC3_GFX90A:TG_SPLIT: 0
	.section	.text._ZN7rocprim17ROCPRIM_400000_NS6detail17trampoline_kernelINS0_14default_configENS1_20scan_config_selectorIxEEZZNS1_9scan_implILNS1_25lookback_scan_determinismE0ELb1ELb1ES3_N6thrust23THRUST_200600_302600_NS6detail15normal_iteratorINS9_10device_ptrIxEEEESE_xNS9_4plusIxEExEEDaPvRmT3_T4_T5_mT6_P12ihipStream_tbENKUlT_T0_E_clISt17integral_constantIbLb0EEST_IbLb1EEEEDaSP_SQ_EUlSP_E0_NS1_11comp_targetILNS1_3genE3ELNS1_11target_archE908ELNS1_3gpuE7ELNS1_3repE0EEENS1_30default_config_static_selectorELNS0_4arch9wavefront6targetE1EEEvT1_,"axG",@progbits,_ZN7rocprim17ROCPRIM_400000_NS6detail17trampoline_kernelINS0_14default_configENS1_20scan_config_selectorIxEEZZNS1_9scan_implILNS1_25lookback_scan_determinismE0ELb1ELb1ES3_N6thrust23THRUST_200600_302600_NS6detail15normal_iteratorINS9_10device_ptrIxEEEESE_xNS9_4plusIxEExEEDaPvRmT3_T4_T5_mT6_P12ihipStream_tbENKUlT_T0_E_clISt17integral_constantIbLb0EEST_IbLb1EEEEDaSP_SQ_EUlSP_E0_NS1_11comp_targetILNS1_3genE3ELNS1_11target_archE908ELNS1_3gpuE7ELNS1_3repE0EEENS1_30default_config_static_selectorELNS0_4arch9wavefront6targetE1EEEvT1_,comdat
	.protected	_ZN7rocprim17ROCPRIM_400000_NS6detail17trampoline_kernelINS0_14default_configENS1_20scan_config_selectorIxEEZZNS1_9scan_implILNS1_25lookback_scan_determinismE0ELb1ELb1ES3_N6thrust23THRUST_200600_302600_NS6detail15normal_iteratorINS9_10device_ptrIxEEEESE_xNS9_4plusIxEExEEDaPvRmT3_T4_T5_mT6_P12ihipStream_tbENKUlT_T0_E_clISt17integral_constantIbLb0EEST_IbLb1EEEEDaSP_SQ_EUlSP_E0_NS1_11comp_targetILNS1_3genE3ELNS1_11target_archE908ELNS1_3gpuE7ELNS1_3repE0EEENS1_30default_config_static_selectorELNS0_4arch9wavefront6targetE1EEEvT1_ ; -- Begin function _ZN7rocprim17ROCPRIM_400000_NS6detail17trampoline_kernelINS0_14default_configENS1_20scan_config_selectorIxEEZZNS1_9scan_implILNS1_25lookback_scan_determinismE0ELb1ELb1ES3_N6thrust23THRUST_200600_302600_NS6detail15normal_iteratorINS9_10device_ptrIxEEEESE_xNS9_4plusIxEExEEDaPvRmT3_T4_T5_mT6_P12ihipStream_tbENKUlT_T0_E_clISt17integral_constantIbLb0EEST_IbLb1EEEEDaSP_SQ_EUlSP_E0_NS1_11comp_targetILNS1_3genE3ELNS1_11target_archE908ELNS1_3gpuE7ELNS1_3repE0EEENS1_30default_config_static_selectorELNS0_4arch9wavefront6targetE1EEEvT1_
	.globl	_ZN7rocprim17ROCPRIM_400000_NS6detail17trampoline_kernelINS0_14default_configENS1_20scan_config_selectorIxEEZZNS1_9scan_implILNS1_25lookback_scan_determinismE0ELb1ELb1ES3_N6thrust23THRUST_200600_302600_NS6detail15normal_iteratorINS9_10device_ptrIxEEEESE_xNS9_4plusIxEExEEDaPvRmT3_T4_T5_mT6_P12ihipStream_tbENKUlT_T0_E_clISt17integral_constantIbLb0EEST_IbLb1EEEEDaSP_SQ_EUlSP_E0_NS1_11comp_targetILNS1_3genE3ELNS1_11target_archE908ELNS1_3gpuE7ELNS1_3repE0EEENS1_30default_config_static_selectorELNS0_4arch9wavefront6targetE1EEEvT1_
	.p2align	8
	.type	_ZN7rocprim17ROCPRIM_400000_NS6detail17trampoline_kernelINS0_14default_configENS1_20scan_config_selectorIxEEZZNS1_9scan_implILNS1_25lookback_scan_determinismE0ELb1ELb1ES3_N6thrust23THRUST_200600_302600_NS6detail15normal_iteratorINS9_10device_ptrIxEEEESE_xNS9_4plusIxEExEEDaPvRmT3_T4_T5_mT6_P12ihipStream_tbENKUlT_T0_E_clISt17integral_constantIbLb0EEST_IbLb1EEEEDaSP_SQ_EUlSP_E0_NS1_11comp_targetILNS1_3genE3ELNS1_11target_archE908ELNS1_3gpuE7ELNS1_3repE0EEENS1_30default_config_static_selectorELNS0_4arch9wavefront6targetE1EEEvT1_,@function
_ZN7rocprim17ROCPRIM_400000_NS6detail17trampoline_kernelINS0_14default_configENS1_20scan_config_selectorIxEEZZNS1_9scan_implILNS1_25lookback_scan_determinismE0ELb1ELb1ES3_N6thrust23THRUST_200600_302600_NS6detail15normal_iteratorINS9_10device_ptrIxEEEESE_xNS9_4plusIxEExEEDaPvRmT3_T4_T5_mT6_P12ihipStream_tbENKUlT_T0_E_clISt17integral_constantIbLb0EEST_IbLb1EEEEDaSP_SQ_EUlSP_E0_NS1_11comp_targetILNS1_3genE3ELNS1_11target_archE908ELNS1_3gpuE7ELNS1_3repE0EEENS1_30default_config_static_selectorELNS0_4arch9wavefront6targetE1EEEvT1_: ; @_ZN7rocprim17ROCPRIM_400000_NS6detail17trampoline_kernelINS0_14default_configENS1_20scan_config_selectorIxEEZZNS1_9scan_implILNS1_25lookback_scan_determinismE0ELb1ELb1ES3_N6thrust23THRUST_200600_302600_NS6detail15normal_iteratorINS9_10device_ptrIxEEEESE_xNS9_4plusIxEExEEDaPvRmT3_T4_T5_mT6_P12ihipStream_tbENKUlT_T0_E_clISt17integral_constantIbLb0EEST_IbLb1EEEEDaSP_SQ_EUlSP_E0_NS1_11comp_targetILNS1_3genE3ELNS1_11target_archE908ELNS1_3gpuE7ELNS1_3repE0EEENS1_30default_config_static_selectorELNS0_4arch9wavefront6targetE1EEEvT1_
; %bb.0:
	.section	.rodata,"a",@progbits
	.p2align	6, 0x0
	.amdhsa_kernel _ZN7rocprim17ROCPRIM_400000_NS6detail17trampoline_kernelINS0_14default_configENS1_20scan_config_selectorIxEEZZNS1_9scan_implILNS1_25lookback_scan_determinismE0ELb1ELb1ES3_N6thrust23THRUST_200600_302600_NS6detail15normal_iteratorINS9_10device_ptrIxEEEESE_xNS9_4plusIxEExEEDaPvRmT3_T4_T5_mT6_P12ihipStream_tbENKUlT_T0_E_clISt17integral_constantIbLb0EEST_IbLb1EEEEDaSP_SQ_EUlSP_E0_NS1_11comp_targetILNS1_3genE3ELNS1_11target_archE908ELNS1_3gpuE7ELNS1_3repE0EEENS1_30default_config_static_selectorELNS0_4arch9wavefront6targetE1EEEvT1_
		.amdhsa_group_segment_fixed_size 0
		.amdhsa_private_segment_fixed_size 0
		.amdhsa_kernarg_size 40
		.amdhsa_user_sgpr_count 6
		.amdhsa_user_sgpr_private_segment_buffer 1
		.amdhsa_user_sgpr_dispatch_ptr 0
		.amdhsa_user_sgpr_queue_ptr 0
		.amdhsa_user_sgpr_kernarg_segment_ptr 1
		.amdhsa_user_sgpr_dispatch_id 0
		.amdhsa_user_sgpr_flat_scratch_init 0
		.amdhsa_user_sgpr_kernarg_preload_length 0
		.amdhsa_user_sgpr_kernarg_preload_offset 0
		.amdhsa_user_sgpr_private_segment_size 0
		.amdhsa_uses_dynamic_stack 0
		.amdhsa_system_sgpr_private_segment_wavefront_offset 0
		.amdhsa_system_sgpr_workgroup_id_x 1
		.amdhsa_system_sgpr_workgroup_id_y 0
		.amdhsa_system_sgpr_workgroup_id_z 0
		.amdhsa_system_sgpr_workgroup_info 0
		.amdhsa_system_vgpr_workitem_id 0
		.amdhsa_next_free_vgpr 1
		.amdhsa_next_free_sgpr 0
		.amdhsa_accum_offset 4
		.amdhsa_reserve_vcc 0
		.amdhsa_reserve_flat_scratch 0
		.amdhsa_float_round_mode_32 0
		.amdhsa_float_round_mode_16_64 0
		.amdhsa_float_denorm_mode_32 3
		.amdhsa_float_denorm_mode_16_64 3
		.amdhsa_dx10_clamp 1
		.amdhsa_ieee_mode 1
		.amdhsa_fp16_overflow 0
		.amdhsa_tg_split 0
		.amdhsa_exception_fp_ieee_invalid_op 0
		.amdhsa_exception_fp_denorm_src 0
		.amdhsa_exception_fp_ieee_div_zero 0
		.amdhsa_exception_fp_ieee_overflow 0
		.amdhsa_exception_fp_ieee_underflow 0
		.amdhsa_exception_fp_ieee_inexact 0
		.amdhsa_exception_int_div_zero 0
	.end_amdhsa_kernel
	.section	.text._ZN7rocprim17ROCPRIM_400000_NS6detail17trampoline_kernelINS0_14default_configENS1_20scan_config_selectorIxEEZZNS1_9scan_implILNS1_25lookback_scan_determinismE0ELb1ELb1ES3_N6thrust23THRUST_200600_302600_NS6detail15normal_iteratorINS9_10device_ptrIxEEEESE_xNS9_4plusIxEExEEDaPvRmT3_T4_T5_mT6_P12ihipStream_tbENKUlT_T0_E_clISt17integral_constantIbLb0EEST_IbLb1EEEEDaSP_SQ_EUlSP_E0_NS1_11comp_targetILNS1_3genE3ELNS1_11target_archE908ELNS1_3gpuE7ELNS1_3repE0EEENS1_30default_config_static_selectorELNS0_4arch9wavefront6targetE1EEEvT1_,"axG",@progbits,_ZN7rocprim17ROCPRIM_400000_NS6detail17trampoline_kernelINS0_14default_configENS1_20scan_config_selectorIxEEZZNS1_9scan_implILNS1_25lookback_scan_determinismE0ELb1ELb1ES3_N6thrust23THRUST_200600_302600_NS6detail15normal_iteratorINS9_10device_ptrIxEEEESE_xNS9_4plusIxEExEEDaPvRmT3_T4_T5_mT6_P12ihipStream_tbENKUlT_T0_E_clISt17integral_constantIbLb0EEST_IbLb1EEEEDaSP_SQ_EUlSP_E0_NS1_11comp_targetILNS1_3genE3ELNS1_11target_archE908ELNS1_3gpuE7ELNS1_3repE0EEENS1_30default_config_static_selectorELNS0_4arch9wavefront6targetE1EEEvT1_,comdat
.Lfunc_end408:
	.size	_ZN7rocprim17ROCPRIM_400000_NS6detail17trampoline_kernelINS0_14default_configENS1_20scan_config_selectorIxEEZZNS1_9scan_implILNS1_25lookback_scan_determinismE0ELb1ELb1ES3_N6thrust23THRUST_200600_302600_NS6detail15normal_iteratorINS9_10device_ptrIxEEEESE_xNS9_4plusIxEExEEDaPvRmT3_T4_T5_mT6_P12ihipStream_tbENKUlT_T0_E_clISt17integral_constantIbLb0EEST_IbLb1EEEEDaSP_SQ_EUlSP_E0_NS1_11comp_targetILNS1_3genE3ELNS1_11target_archE908ELNS1_3gpuE7ELNS1_3repE0EEENS1_30default_config_static_selectorELNS0_4arch9wavefront6targetE1EEEvT1_, .Lfunc_end408-_ZN7rocprim17ROCPRIM_400000_NS6detail17trampoline_kernelINS0_14default_configENS1_20scan_config_selectorIxEEZZNS1_9scan_implILNS1_25lookback_scan_determinismE0ELb1ELb1ES3_N6thrust23THRUST_200600_302600_NS6detail15normal_iteratorINS9_10device_ptrIxEEEESE_xNS9_4plusIxEExEEDaPvRmT3_T4_T5_mT6_P12ihipStream_tbENKUlT_T0_E_clISt17integral_constantIbLb0EEST_IbLb1EEEEDaSP_SQ_EUlSP_E0_NS1_11comp_targetILNS1_3genE3ELNS1_11target_archE908ELNS1_3gpuE7ELNS1_3repE0EEENS1_30default_config_static_selectorELNS0_4arch9wavefront6targetE1EEEvT1_
                                        ; -- End function
	.section	.AMDGPU.csdata,"",@progbits
; Kernel info:
; codeLenInByte = 0
; NumSgprs: 4
; NumVgprs: 0
; NumAgprs: 0
; TotalNumVgprs: 0
; ScratchSize: 0
; MemoryBound: 0
; FloatMode: 240
; IeeeMode: 1
; LDSByteSize: 0 bytes/workgroup (compile time only)
; SGPRBlocks: 0
; VGPRBlocks: 0
; NumSGPRsForWavesPerEU: 4
; NumVGPRsForWavesPerEU: 1
; AccumOffset: 4
; Occupancy: 8
; WaveLimiterHint : 0
; COMPUTE_PGM_RSRC2:SCRATCH_EN: 0
; COMPUTE_PGM_RSRC2:USER_SGPR: 6
; COMPUTE_PGM_RSRC2:TRAP_HANDLER: 0
; COMPUTE_PGM_RSRC2:TGID_X_EN: 1
; COMPUTE_PGM_RSRC2:TGID_Y_EN: 0
; COMPUTE_PGM_RSRC2:TGID_Z_EN: 0
; COMPUTE_PGM_RSRC2:TIDIG_COMP_CNT: 0
; COMPUTE_PGM_RSRC3_GFX90A:ACCUM_OFFSET: 0
; COMPUTE_PGM_RSRC3_GFX90A:TG_SPLIT: 0
	.section	.text._ZN7rocprim17ROCPRIM_400000_NS6detail17trampoline_kernelINS0_14default_configENS1_20scan_config_selectorIxEEZZNS1_9scan_implILNS1_25lookback_scan_determinismE0ELb1ELb1ES3_N6thrust23THRUST_200600_302600_NS6detail15normal_iteratorINS9_10device_ptrIxEEEESE_xNS9_4plusIxEExEEDaPvRmT3_T4_T5_mT6_P12ihipStream_tbENKUlT_T0_E_clISt17integral_constantIbLb0EEST_IbLb1EEEEDaSP_SQ_EUlSP_E0_NS1_11comp_targetILNS1_3genE2ELNS1_11target_archE906ELNS1_3gpuE6ELNS1_3repE0EEENS1_30default_config_static_selectorELNS0_4arch9wavefront6targetE1EEEvT1_,"axG",@progbits,_ZN7rocprim17ROCPRIM_400000_NS6detail17trampoline_kernelINS0_14default_configENS1_20scan_config_selectorIxEEZZNS1_9scan_implILNS1_25lookback_scan_determinismE0ELb1ELb1ES3_N6thrust23THRUST_200600_302600_NS6detail15normal_iteratorINS9_10device_ptrIxEEEESE_xNS9_4plusIxEExEEDaPvRmT3_T4_T5_mT6_P12ihipStream_tbENKUlT_T0_E_clISt17integral_constantIbLb0EEST_IbLb1EEEEDaSP_SQ_EUlSP_E0_NS1_11comp_targetILNS1_3genE2ELNS1_11target_archE906ELNS1_3gpuE6ELNS1_3repE0EEENS1_30default_config_static_selectorELNS0_4arch9wavefront6targetE1EEEvT1_,comdat
	.protected	_ZN7rocprim17ROCPRIM_400000_NS6detail17trampoline_kernelINS0_14default_configENS1_20scan_config_selectorIxEEZZNS1_9scan_implILNS1_25lookback_scan_determinismE0ELb1ELb1ES3_N6thrust23THRUST_200600_302600_NS6detail15normal_iteratorINS9_10device_ptrIxEEEESE_xNS9_4plusIxEExEEDaPvRmT3_T4_T5_mT6_P12ihipStream_tbENKUlT_T0_E_clISt17integral_constantIbLb0EEST_IbLb1EEEEDaSP_SQ_EUlSP_E0_NS1_11comp_targetILNS1_3genE2ELNS1_11target_archE906ELNS1_3gpuE6ELNS1_3repE0EEENS1_30default_config_static_selectorELNS0_4arch9wavefront6targetE1EEEvT1_ ; -- Begin function _ZN7rocprim17ROCPRIM_400000_NS6detail17trampoline_kernelINS0_14default_configENS1_20scan_config_selectorIxEEZZNS1_9scan_implILNS1_25lookback_scan_determinismE0ELb1ELb1ES3_N6thrust23THRUST_200600_302600_NS6detail15normal_iteratorINS9_10device_ptrIxEEEESE_xNS9_4plusIxEExEEDaPvRmT3_T4_T5_mT6_P12ihipStream_tbENKUlT_T0_E_clISt17integral_constantIbLb0EEST_IbLb1EEEEDaSP_SQ_EUlSP_E0_NS1_11comp_targetILNS1_3genE2ELNS1_11target_archE906ELNS1_3gpuE6ELNS1_3repE0EEENS1_30default_config_static_selectorELNS0_4arch9wavefront6targetE1EEEvT1_
	.globl	_ZN7rocprim17ROCPRIM_400000_NS6detail17trampoline_kernelINS0_14default_configENS1_20scan_config_selectorIxEEZZNS1_9scan_implILNS1_25lookback_scan_determinismE0ELb1ELb1ES3_N6thrust23THRUST_200600_302600_NS6detail15normal_iteratorINS9_10device_ptrIxEEEESE_xNS9_4plusIxEExEEDaPvRmT3_T4_T5_mT6_P12ihipStream_tbENKUlT_T0_E_clISt17integral_constantIbLb0EEST_IbLb1EEEEDaSP_SQ_EUlSP_E0_NS1_11comp_targetILNS1_3genE2ELNS1_11target_archE906ELNS1_3gpuE6ELNS1_3repE0EEENS1_30default_config_static_selectorELNS0_4arch9wavefront6targetE1EEEvT1_
	.p2align	8
	.type	_ZN7rocprim17ROCPRIM_400000_NS6detail17trampoline_kernelINS0_14default_configENS1_20scan_config_selectorIxEEZZNS1_9scan_implILNS1_25lookback_scan_determinismE0ELb1ELb1ES3_N6thrust23THRUST_200600_302600_NS6detail15normal_iteratorINS9_10device_ptrIxEEEESE_xNS9_4plusIxEExEEDaPvRmT3_T4_T5_mT6_P12ihipStream_tbENKUlT_T0_E_clISt17integral_constantIbLb0EEST_IbLb1EEEEDaSP_SQ_EUlSP_E0_NS1_11comp_targetILNS1_3genE2ELNS1_11target_archE906ELNS1_3gpuE6ELNS1_3repE0EEENS1_30default_config_static_selectorELNS0_4arch9wavefront6targetE1EEEvT1_,@function
_ZN7rocprim17ROCPRIM_400000_NS6detail17trampoline_kernelINS0_14default_configENS1_20scan_config_selectorIxEEZZNS1_9scan_implILNS1_25lookback_scan_determinismE0ELb1ELb1ES3_N6thrust23THRUST_200600_302600_NS6detail15normal_iteratorINS9_10device_ptrIxEEEESE_xNS9_4plusIxEExEEDaPvRmT3_T4_T5_mT6_P12ihipStream_tbENKUlT_T0_E_clISt17integral_constantIbLb0EEST_IbLb1EEEEDaSP_SQ_EUlSP_E0_NS1_11comp_targetILNS1_3genE2ELNS1_11target_archE906ELNS1_3gpuE6ELNS1_3repE0EEENS1_30default_config_static_selectorELNS0_4arch9wavefront6targetE1EEEvT1_: ; @_ZN7rocprim17ROCPRIM_400000_NS6detail17trampoline_kernelINS0_14default_configENS1_20scan_config_selectorIxEEZZNS1_9scan_implILNS1_25lookback_scan_determinismE0ELb1ELb1ES3_N6thrust23THRUST_200600_302600_NS6detail15normal_iteratorINS9_10device_ptrIxEEEESE_xNS9_4plusIxEExEEDaPvRmT3_T4_T5_mT6_P12ihipStream_tbENKUlT_T0_E_clISt17integral_constantIbLb0EEST_IbLb1EEEEDaSP_SQ_EUlSP_E0_NS1_11comp_targetILNS1_3genE2ELNS1_11target_archE906ELNS1_3gpuE6ELNS1_3repE0EEENS1_30default_config_static_selectorELNS0_4arch9wavefront6targetE1EEEvT1_
; %bb.0:
	.section	.rodata,"a",@progbits
	.p2align	6, 0x0
	.amdhsa_kernel _ZN7rocprim17ROCPRIM_400000_NS6detail17trampoline_kernelINS0_14default_configENS1_20scan_config_selectorIxEEZZNS1_9scan_implILNS1_25lookback_scan_determinismE0ELb1ELb1ES3_N6thrust23THRUST_200600_302600_NS6detail15normal_iteratorINS9_10device_ptrIxEEEESE_xNS9_4plusIxEExEEDaPvRmT3_T4_T5_mT6_P12ihipStream_tbENKUlT_T0_E_clISt17integral_constantIbLb0EEST_IbLb1EEEEDaSP_SQ_EUlSP_E0_NS1_11comp_targetILNS1_3genE2ELNS1_11target_archE906ELNS1_3gpuE6ELNS1_3repE0EEENS1_30default_config_static_selectorELNS0_4arch9wavefront6targetE1EEEvT1_
		.amdhsa_group_segment_fixed_size 0
		.amdhsa_private_segment_fixed_size 0
		.amdhsa_kernarg_size 40
		.amdhsa_user_sgpr_count 6
		.amdhsa_user_sgpr_private_segment_buffer 1
		.amdhsa_user_sgpr_dispatch_ptr 0
		.amdhsa_user_sgpr_queue_ptr 0
		.amdhsa_user_sgpr_kernarg_segment_ptr 1
		.amdhsa_user_sgpr_dispatch_id 0
		.amdhsa_user_sgpr_flat_scratch_init 0
		.amdhsa_user_sgpr_kernarg_preload_length 0
		.amdhsa_user_sgpr_kernarg_preload_offset 0
		.amdhsa_user_sgpr_private_segment_size 0
		.amdhsa_uses_dynamic_stack 0
		.amdhsa_system_sgpr_private_segment_wavefront_offset 0
		.amdhsa_system_sgpr_workgroup_id_x 1
		.amdhsa_system_sgpr_workgroup_id_y 0
		.amdhsa_system_sgpr_workgroup_id_z 0
		.amdhsa_system_sgpr_workgroup_info 0
		.amdhsa_system_vgpr_workitem_id 0
		.amdhsa_next_free_vgpr 1
		.amdhsa_next_free_sgpr 0
		.amdhsa_accum_offset 4
		.amdhsa_reserve_vcc 0
		.amdhsa_reserve_flat_scratch 0
		.amdhsa_float_round_mode_32 0
		.amdhsa_float_round_mode_16_64 0
		.amdhsa_float_denorm_mode_32 3
		.amdhsa_float_denorm_mode_16_64 3
		.amdhsa_dx10_clamp 1
		.amdhsa_ieee_mode 1
		.amdhsa_fp16_overflow 0
		.amdhsa_tg_split 0
		.amdhsa_exception_fp_ieee_invalid_op 0
		.amdhsa_exception_fp_denorm_src 0
		.amdhsa_exception_fp_ieee_div_zero 0
		.amdhsa_exception_fp_ieee_overflow 0
		.amdhsa_exception_fp_ieee_underflow 0
		.amdhsa_exception_fp_ieee_inexact 0
		.amdhsa_exception_int_div_zero 0
	.end_amdhsa_kernel
	.section	.text._ZN7rocprim17ROCPRIM_400000_NS6detail17trampoline_kernelINS0_14default_configENS1_20scan_config_selectorIxEEZZNS1_9scan_implILNS1_25lookback_scan_determinismE0ELb1ELb1ES3_N6thrust23THRUST_200600_302600_NS6detail15normal_iteratorINS9_10device_ptrIxEEEESE_xNS9_4plusIxEExEEDaPvRmT3_T4_T5_mT6_P12ihipStream_tbENKUlT_T0_E_clISt17integral_constantIbLb0EEST_IbLb1EEEEDaSP_SQ_EUlSP_E0_NS1_11comp_targetILNS1_3genE2ELNS1_11target_archE906ELNS1_3gpuE6ELNS1_3repE0EEENS1_30default_config_static_selectorELNS0_4arch9wavefront6targetE1EEEvT1_,"axG",@progbits,_ZN7rocprim17ROCPRIM_400000_NS6detail17trampoline_kernelINS0_14default_configENS1_20scan_config_selectorIxEEZZNS1_9scan_implILNS1_25lookback_scan_determinismE0ELb1ELb1ES3_N6thrust23THRUST_200600_302600_NS6detail15normal_iteratorINS9_10device_ptrIxEEEESE_xNS9_4plusIxEExEEDaPvRmT3_T4_T5_mT6_P12ihipStream_tbENKUlT_T0_E_clISt17integral_constantIbLb0EEST_IbLb1EEEEDaSP_SQ_EUlSP_E0_NS1_11comp_targetILNS1_3genE2ELNS1_11target_archE906ELNS1_3gpuE6ELNS1_3repE0EEENS1_30default_config_static_selectorELNS0_4arch9wavefront6targetE1EEEvT1_,comdat
.Lfunc_end409:
	.size	_ZN7rocprim17ROCPRIM_400000_NS6detail17trampoline_kernelINS0_14default_configENS1_20scan_config_selectorIxEEZZNS1_9scan_implILNS1_25lookback_scan_determinismE0ELb1ELb1ES3_N6thrust23THRUST_200600_302600_NS6detail15normal_iteratorINS9_10device_ptrIxEEEESE_xNS9_4plusIxEExEEDaPvRmT3_T4_T5_mT6_P12ihipStream_tbENKUlT_T0_E_clISt17integral_constantIbLb0EEST_IbLb1EEEEDaSP_SQ_EUlSP_E0_NS1_11comp_targetILNS1_3genE2ELNS1_11target_archE906ELNS1_3gpuE6ELNS1_3repE0EEENS1_30default_config_static_selectorELNS0_4arch9wavefront6targetE1EEEvT1_, .Lfunc_end409-_ZN7rocprim17ROCPRIM_400000_NS6detail17trampoline_kernelINS0_14default_configENS1_20scan_config_selectorIxEEZZNS1_9scan_implILNS1_25lookback_scan_determinismE0ELb1ELb1ES3_N6thrust23THRUST_200600_302600_NS6detail15normal_iteratorINS9_10device_ptrIxEEEESE_xNS9_4plusIxEExEEDaPvRmT3_T4_T5_mT6_P12ihipStream_tbENKUlT_T0_E_clISt17integral_constantIbLb0EEST_IbLb1EEEEDaSP_SQ_EUlSP_E0_NS1_11comp_targetILNS1_3genE2ELNS1_11target_archE906ELNS1_3gpuE6ELNS1_3repE0EEENS1_30default_config_static_selectorELNS0_4arch9wavefront6targetE1EEEvT1_
                                        ; -- End function
	.section	.AMDGPU.csdata,"",@progbits
; Kernel info:
; codeLenInByte = 0
; NumSgprs: 4
; NumVgprs: 0
; NumAgprs: 0
; TotalNumVgprs: 0
; ScratchSize: 0
; MemoryBound: 0
; FloatMode: 240
; IeeeMode: 1
; LDSByteSize: 0 bytes/workgroup (compile time only)
; SGPRBlocks: 0
; VGPRBlocks: 0
; NumSGPRsForWavesPerEU: 4
; NumVGPRsForWavesPerEU: 1
; AccumOffset: 4
; Occupancy: 8
; WaveLimiterHint : 0
; COMPUTE_PGM_RSRC2:SCRATCH_EN: 0
; COMPUTE_PGM_RSRC2:USER_SGPR: 6
; COMPUTE_PGM_RSRC2:TRAP_HANDLER: 0
; COMPUTE_PGM_RSRC2:TGID_X_EN: 1
; COMPUTE_PGM_RSRC2:TGID_Y_EN: 0
; COMPUTE_PGM_RSRC2:TGID_Z_EN: 0
; COMPUTE_PGM_RSRC2:TIDIG_COMP_CNT: 0
; COMPUTE_PGM_RSRC3_GFX90A:ACCUM_OFFSET: 0
; COMPUTE_PGM_RSRC3_GFX90A:TG_SPLIT: 0
	.section	.text._ZN7rocprim17ROCPRIM_400000_NS6detail17trampoline_kernelINS0_14default_configENS1_20scan_config_selectorIxEEZZNS1_9scan_implILNS1_25lookback_scan_determinismE0ELb1ELb1ES3_N6thrust23THRUST_200600_302600_NS6detail15normal_iteratorINS9_10device_ptrIxEEEESE_xNS9_4plusIxEExEEDaPvRmT3_T4_T5_mT6_P12ihipStream_tbENKUlT_T0_E_clISt17integral_constantIbLb0EEST_IbLb1EEEEDaSP_SQ_EUlSP_E0_NS1_11comp_targetILNS1_3genE10ELNS1_11target_archE1201ELNS1_3gpuE5ELNS1_3repE0EEENS1_30default_config_static_selectorELNS0_4arch9wavefront6targetE1EEEvT1_,"axG",@progbits,_ZN7rocprim17ROCPRIM_400000_NS6detail17trampoline_kernelINS0_14default_configENS1_20scan_config_selectorIxEEZZNS1_9scan_implILNS1_25lookback_scan_determinismE0ELb1ELb1ES3_N6thrust23THRUST_200600_302600_NS6detail15normal_iteratorINS9_10device_ptrIxEEEESE_xNS9_4plusIxEExEEDaPvRmT3_T4_T5_mT6_P12ihipStream_tbENKUlT_T0_E_clISt17integral_constantIbLb0EEST_IbLb1EEEEDaSP_SQ_EUlSP_E0_NS1_11comp_targetILNS1_3genE10ELNS1_11target_archE1201ELNS1_3gpuE5ELNS1_3repE0EEENS1_30default_config_static_selectorELNS0_4arch9wavefront6targetE1EEEvT1_,comdat
	.protected	_ZN7rocprim17ROCPRIM_400000_NS6detail17trampoline_kernelINS0_14default_configENS1_20scan_config_selectorIxEEZZNS1_9scan_implILNS1_25lookback_scan_determinismE0ELb1ELb1ES3_N6thrust23THRUST_200600_302600_NS6detail15normal_iteratorINS9_10device_ptrIxEEEESE_xNS9_4plusIxEExEEDaPvRmT3_T4_T5_mT6_P12ihipStream_tbENKUlT_T0_E_clISt17integral_constantIbLb0EEST_IbLb1EEEEDaSP_SQ_EUlSP_E0_NS1_11comp_targetILNS1_3genE10ELNS1_11target_archE1201ELNS1_3gpuE5ELNS1_3repE0EEENS1_30default_config_static_selectorELNS0_4arch9wavefront6targetE1EEEvT1_ ; -- Begin function _ZN7rocprim17ROCPRIM_400000_NS6detail17trampoline_kernelINS0_14default_configENS1_20scan_config_selectorIxEEZZNS1_9scan_implILNS1_25lookback_scan_determinismE0ELb1ELb1ES3_N6thrust23THRUST_200600_302600_NS6detail15normal_iteratorINS9_10device_ptrIxEEEESE_xNS9_4plusIxEExEEDaPvRmT3_T4_T5_mT6_P12ihipStream_tbENKUlT_T0_E_clISt17integral_constantIbLb0EEST_IbLb1EEEEDaSP_SQ_EUlSP_E0_NS1_11comp_targetILNS1_3genE10ELNS1_11target_archE1201ELNS1_3gpuE5ELNS1_3repE0EEENS1_30default_config_static_selectorELNS0_4arch9wavefront6targetE1EEEvT1_
	.globl	_ZN7rocprim17ROCPRIM_400000_NS6detail17trampoline_kernelINS0_14default_configENS1_20scan_config_selectorIxEEZZNS1_9scan_implILNS1_25lookback_scan_determinismE0ELb1ELb1ES3_N6thrust23THRUST_200600_302600_NS6detail15normal_iteratorINS9_10device_ptrIxEEEESE_xNS9_4plusIxEExEEDaPvRmT3_T4_T5_mT6_P12ihipStream_tbENKUlT_T0_E_clISt17integral_constantIbLb0EEST_IbLb1EEEEDaSP_SQ_EUlSP_E0_NS1_11comp_targetILNS1_3genE10ELNS1_11target_archE1201ELNS1_3gpuE5ELNS1_3repE0EEENS1_30default_config_static_selectorELNS0_4arch9wavefront6targetE1EEEvT1_
	.p2align	8
	.type	_ZN7rocprim17ROCPRIM_400000_NS6detail17trampoline_kernelINS0_14default_configENS1_20scan_config_selectorIxEEZZNS1_9scan_implILNS1_25lookback_scan_determinismE0ELb1ELb1ES3_N6thrust23THRUST_200600_302600_NS6detail15normal_iteratorINS9_10device_ptrIxEEEESE_xNS9_4plusIxEExEEDaPvRmT3_T4_T5_mT6_P12ihipStream_tbENKUlT_T0_E_clISt17integral_constantIbLb0EEST_IbLb1EEEEDaSP_SQ_EUlSP_E0_NS1_11comp_targetILNS1_3genE10ELNS1_11target_archE1201ELNS1_3gpuE5ELNS1_3repE0EEENS1_30default_config_static_selectorELNS0_4arch9wavefront6targetE1EEEvT1_,@function
_ZN7rocprim17ROCPRIM_400000_NS6detail17trampoline_kernelINS0_14default_configENS1_20scan_config_selectorIxEEZZNS1_9scan_implILNS1_25lookback_scan_determinismE0ELb1ELb1ES3_N6thrust23THRUST_200600_302600_NS6detail15normal_iteratorINS9_10device_ptrIxEEEESE_xNS9_4plusIxEExEEDaPvRmT3_T4_T5_mT6_P12ihipStream_tbENKUlT_T0_E_clISt17integral_constantIbLb0EEST_IbLb1EEEEDaSP_SQ_EUlSP_E0_NS1_11comp_targetILNS1_3genE10ELNS1_11target_archE1201ELNS1_3gpuE5ELNS1_3repE0EEENS1_30default_config_static_selectorELNS0_4arch9wavefront6targetE1EEEvT1_: ; @_ZN7rocprim17ROCPRIM_400000_NS6detail17trampoline_kernelINS0_14default_configENS1_20scan_config_selectorIxEEZZNS1_9scan_implILNS1_25lookback_scan_determinismE0ELb1ELb1ES3_N6thrust23THRUST_200600_302600_NS6detail15normal_iteratorINS9_10device_ptrIxEEEESE_xNS9_4plusIxEExEEDaPvRmT3_T4_T5_mT6_P12ihipStream_tbENKUlT_T0_E_clISt17integral_constantIbLb0EEST_IbLb1EEEEDaSP_SQ_EUlSP_E0_NS1_11comp_targetILNS1_3genE10ELNS1_11target_archE1201ELNS1_3gpuE5ELNS1_3repE0EEENS1_30default_config_static_selectorELNS0_4arch9wavefront6targetE1EEEvT1_
; %bb.0:
	.section	.rodata,"a",@progbits
	.p2align	6, 0x0
	.amdhsa_kernel _ZN7rocprim17ROCPRIM_400000_NS6detail17trampoline_kernelINS0_14default_configENS1_20scan_config_selectorIxEEZZNS1_9scan_implILNS1_25lookback_scan_determinismE0ELb1ELb1ES3_N6thrust23THRUST_200600_302600_NS6detail15normal_iteratorINS9_10device_ptrIxEEEESE_xNS9_4plusIxEExEEDaPvRmT3_T4_T5_mT6_P12ihipStream_tbENKUlT_T0_E_clISt17integral_constantIbLb0EEST_IbLb1EEEEDaSP_SQ_EUlSP_E0_NS1_11comp_targetILNS1_3genE10ELNS1_11target_archE1201ELNS1_3gpuE5ELNS1_3repE0EEENS1_30default_config_static_selectorELNS0_4arch9wavefront6targetE1EEEvT1_
		.amdhsa_group_segment_fixed_size 0
		.amdhsa_private_segment_fixed_size 0
		.amdhsa_kernarg_size 40
		.amdhsa_user_sgpr_count 6
		.amdhsa_user_sgpr_private_segment_buffer 1
		.amdhsa_user_sgpr_dispatch_ptr 0
		.amdhsa_user_sgpr_queue_ptr 0
		.amdhsa_user_sgpr_kernarg_segment_ptr 1
		.amdhsa_user_sgpr_dispatch_id 0
		.amdhsa_user_sgpr_flat_scratch_init 0
		.amdhsa_user_sgpr_kernarg_preload_length 0
		.amdhsa_user_sgpr_kernarg_preload_offset 0
		.amdhsa_user_sgpr_private_segment_size 0
		.amdhsa_uses_dynamic_stack 0
		.amdhsa_system_sgpr_private_segment_wavefront_offset 0
		.amdhsa_system_sgpr_workgroup_id_x 1
		.amdhsa_system_sgpr_workgroup_id_y 0
		.amdhsa_system_sgpr_workgroup_id_z 0
		.amdhsa_system_sgpr_workgroup_info 0
		.amdhsa_system_vgpr_workitem_id 0
		.amdhsa_next_free_vgpr 1
		.amdhsa_next_free_sgpr 0
		.amdhsa_accum_offset 4
		.amdhsa_reserve_vcc 0
		.amdhsa_reserve_flat_scratch 0
		.amdhsa_float_round_mode_32 0
		.amdhsa_float_round_mode_16_64 0
		.amdhsa_float_denorm_mode_32 3
		.amdhsa_float_denorm_mode_16_64 3
		.amdhsa_dx10_clamp 1
		.amdhsa_ieee_mode 1
		.amdhsa_fp16_overflow 0
		.amdhsa_tg_split 0
		.amdhsa_exception_fp_ieee_invalid_op 0
		.amdhsa_exception_fp_denorm_src 0
		.amdhsa_exception_fp_ieee_div_zero 0
		.amdhsa_exception_fp_ieee_overflow 0
		.amdhsa_exception_fp_ieee_underflow 0
		.amdhsa_exception_fp_ieee_inexact 0
		.amdhsa_exception_int_div_zero 0
	.end_amdhsa_kernel
	.section	.text._ZN7rocprim17ROCPRIM_400000_NS6detail17trampoline_kernelINS0_14default_configENS1_20scan_config_selectorIxEEZZNS1_9scan_implILNS1_25lookback_scan_determinismE0ELb1ELb1ES3_N6thrust23THRUST_200600_302600_NS6detail15normal_iteratorINS9_10device_ptrIxEEEESE_xNS9_4plusIxEExEEDaPvRmT3_T4_T5_mT6_P12ihipStream_tbENKUlT_T0_E_clISt17integral_constantIbLb0EEST_IbLb1EEEEDaSP_SQ_EUlSP_E0_NS1_11comp_targetILNS1_3genE10ELNS1_11target_archE1201ELNS1_3gpuE5ELNS1_3repE0EEENS1_30default_config_static_selectorELNS0_4arch9wavefront6targetE1EEEvT1_,"axG",@progbits,_ZN7rocprim17ROCPRIM_400000_NS6detail17trampoline_kernelINS0_14default_configENS1_20scan_config_selectorIxEEZZNS1_9scan_implILNS1_25lookback_scan_determinismE0ELb1ELb1ES3_N6thrust23THRUST_200600_302600_NS6detail15normal_iteratorINS9_10device_ptrIxEEEESE_xNS9_4plusIxEExEEDaPvRmT3_T4_T5_mT6_P12ihipStream_tbENKUlT_T0_E_clISt17integral_constantIbLb0EEST_IbLb1EEEEDaSP_SQ_EUlSP_E0_NS1_11comp_targetILNS1_3genE10ELNS1_11target_archE1201ELNS1_3gpuE5ELNS1_3repE0EEENS1_30default_config_static_selectorELNS0_4arch9wavefront6targetE1EEEvT1_,comdat
.Lfunc_end410:
	.size	_ZN7rocprim17ROCPRIM_400000_NS6detail17trampoline_kernelINS0_14default_configENS1_20scan_config_selectorIxEEZZNS1_9scan_implILNS1_25lookback_scan_determinismE0ELb1ELb1ES3_N6thrust23THRUST_200600_302600_NS6detail15normal_iteratorINS9_10device_ptrIxEEEESE_xNS9_4plusIxEExEEDaPvRmT3_T4_T5_mT6_P12ihipStream_tbENKUlT_T0_E_clISt17integral_constantIbLb0EEST_IbLb1EEEEDaSP_SQ_EUlSP_E0_NS1_11comp_targetILNS1_3genE10ELNS1_11target_archE1201ELNS1_3gpuE5ELNS1_3repE0EEENS1_30default_config_static_selectorELNS0_4arch9wavefront6targetE1EEEvT1_, .Lfunc_end410-_ZN7rocprim17ROCPRIM_400000_NS6detail17trampoline_kernelINS0_14default_configENS1_20scan_config_selectorIxEEZZNS1_9scan_implILNS1_25lookback_scan_determinismE0ELb1ELb1ES3_N6thrust23THRUST_200600_302600_NS6detail15normal_iteratorINS9_10device_ptrIxEEEESE_xNS9_4plusIxEExEEDaPvRmT3_T4_T5_mT6_P12ihipStream_tbENKUlT_T0_E_clISt17integral_constantIbLb0EEST_IbLb1EEEEDaSP_SQ_EUlSP_E0_NS1_11comp_targetILNS1_3genE10ELNS1_11target_archE1201ELNS1_3gpuE5ELNS1_3repE0EEENS1_30default_config_static_selectorELNS0_4arch9wavefront6targetE1EEEvT1_
                                        ; -- End function
	.section	.AMDGPU.csdata,"",@progbits
; Kernel info:
; codeLenInByte = 0
; NumSgprs: 4
; NumVgprs: 0
; NumAgprs: 0
; TotalNumVgprs: 0
; ScratchSize: 0
; MemoryBound: 0
; FloatMode: 240
; IeeeMode: 1
; LDSByteSize: 0 bytes/workgroup (compile time only)
; SGPRBlocks: 0
; VGPRBlocks: 0
; NumSGPRsForWavesPerEU: 4
; NumVGPRsForWavesPerEU: 1
; AccumOffset: 4
; Occupancy: 8
; WaveLimiterHint : 0
; COMPUTE_PGM_RSRC2:SCRATCH_EN: 0
; COMPUTE_PGM_RSRC2:USER_SGPR: 6
; COMPUTE_PGM_RSRC2:TRAP_HANDLER: 0
; COMPUTE_PGM_RSRC2:TGID_X_EN: 1
; COMPUTE_PGM_RSRC2:TGID_Y_EN: 0
; COMPUTE_PGM_RSRC2:TGID_Z_EN: 0
; COMPUTE_PGM_RSRC2:TIDIG_COMP_CNT: 0
; COMPUTE_PGM_RSRC3_GFX90A:ACCUM_OFFSET: 0
; COMPUTE_PGM_RSRC3_GFX90A:TG_SPLIT: 0
	.section	.text._ZN7rocprim17ROCPRIM_400000_NS6detail17trampoline_kernelINS0_14default_configENS1_20scan_config_selectorIxEEZZNS1_9scan_implILNS1_25lookback_scan_determinismE0ELb1ELb1ES3_N6thrust23THRUST_200600_302600_NS6detail15normal_iteratorINS9_10device_ptrIxEEEESE_xNS9_4plusIxEExEEDaPvRmT3_T4_T5_mT6_P12ihipStream_tbENKUlT_T0_E_clISt17integral_constantIbLb0EEST_IbLb1EEEEDaSP_SQ_EUlSP_E0_NS1_11comp_targetILNS1_3genE10ELNS1_11target_archE1200ELNS1_3gpuE4ELNS1_3repE0EEENS1_30default_config_static_selectorELNS0_4arch9wavefront6targetE1EEEvT1_,"axG",@progbits,_ZN7rocprim17ROCPRIM_400000_NS6detail17trampoline_kernelINS0_14default_configENS1_20scan_config_selectorIxEEZZNS1_9scan_implILNS1_25lookback_scan_determinismE0ELb1ELb1ES3_N6thrust23THRUST_200600_302600_NS6detail15normal_iteratorINS9_10device_ptrIxEEEESE_xNS9_4plusIxEExEEDaPvRmT3_T4_T5_mT6_P12ihipStream_tbENKUlT_T0_E_clISt17integral_constantIbLb0EEST_IbLb1EEEEDaSP_SQ_EUlSP_E0_NS1_11comp_targetILNS1_3genE10ELNS1_11target_archE1200ELNS1_3gpuE4ELNS1_3repE0EEENS1_30default_config_static_selectorELNS0_4arch9wavefront6targetE1EEEvT1_,comdat
	.protected	_ZN7rocprim17ROCPRIM_400000_NS6detail17trampoline_kernelINS0_14default_configENS1_20scan_config_selectorIxEEZZNS1_9scan_implILNS1_25lookback_scan_determinismE0ELb1ELb1ES3_N6thrust23THRUST_200600_302600_NS6detail15normal_iteratorINS9_10device_ptrIxEEEESE_xNS9_4plusIxEExEEDaPvRmT3_T4_T5_mT6_P12ihipStream_tbENKUlT_T0_E_clISt17integral_constantIbLb0EEST_IbLb1EEEEDaSP_SQ_EUlSP_E0_NS1_11comp_targetILNS1_3genE10ELNS1_11target_archE1200ELNS1_3gpuE4ELNS1_3repE0EEENS1_30default_config_static_selectorELNS0_4arch9wavefront6targetE1EEEvT1_ ; -- Begin function _ZN7rocprim17ROCPRIM_400000_NS6detail17trampoline_kernelINS0_14default_configENS1_20scan_config_selectorIxEEZZNS1_9scan_implILNS1_25lookback_scan_determinismE0ELb1ELb1ES3_N6thrust23THRUST_200600_302600_NS6detail15normal_iteratorINS9_10device_ptrIxEEEESE_xNS9_4plusIxEExEEDaPvRmT3_T4_T5_mT6_P12ihipStream_tbENKUlT_T0_E_clISt17integral_constantIbLb0EEST_IbLb1EEEEDaSP_SQ_EUlSP_E0_NS1_11comp_targetILNS1_3genE10ELNS1_11target_archE1200ELNS1_3gpuE4ELNS1_3repE0EEENS1_30default_config_static_selectorELNS0_4arch9wavefront6targetE1EEEvT1_
	.globl	_ZN7rocprim17ROCPRIM_400000_NS6detail17trampoline_kernelINS0_14default_configENS1_20scan_config_selectorIxEEZZNS1_9scan_implILNS1_25lookback_scan_determinismE0ELb1ELb1ES3_N6thrust23THRUST_200600_302600_NS6detail15normal_iteratorINS9_10device_ptrIxEEEESE_xNS9_4plusIxEExEEDaPvRmT3_T4_T5_mT6_P12ihipStream_tbENKUlT_T0_E_clISt17integral_constantIbLb0EEST_IbLb1EEEEDaSP_SQ_EUlSP_E0_NS1_11comp_targetILNS1_3genE10ELNS1_11target_archE1200ELNS1_3gpuE4ELNS1_3repE0EEENS1_30default_config_static_selectorELNS0_4arch9wavefront6targetE1EEEvT1_
	.p2align	8
	.type	_ZN7rocprim17ROCPRIM_400000_NS6detail17trampoline_kernelINS0_14default_configENS1_20scan_config_selectorIxEEZZNS1_9scan_implILNS1_25lookback_scan_determinismE0ELb1ELb1ES3_N6thrust23THRUST_200600_302600_NS6detail15normal_iteratorINS9_10device_ptrIxEEEESE_xNS9_4plusIxEExEEDaPvRmT3_T4_T5_mT6_P12ihipStream_tbENKUlT_T0_E_clISt17integral_constantIbLb0EEST_IbLb1EEEEDaSP_SQ_EUlSP_E0_NS1_11comp_targetILNS1_3genE10ELNS1_11target_archE1200ELNS1_3gpuE4ELNS1_3repE0EEENS1_30default_config_static_selectorELNS0_4arch9wavefront6targetE1EEEvT1_,@function
_ZN7rocprim17ROCPRIM_400000_NS6detail17trampoline_kernelINS0_14default_configENS1_20scan_config_selectorIxEEZZNS1_9scan_implILNS1_25lookback_scan_determinismE0ELb1ELb1ES3_N6thrust23THRUST_200600_302600_NS6detail15normal_iteratorINS9_10device_ptrIxEEEESE_xNS9_4plusIxEExEEDaPvRmT3_T4_T5_mT6_P12ihipStream_tbENKUlT_T0_E_clISt17integral_constantIbLb0EEST_IbLb1EEEEDaSP_SQ_EUlSP_E0_NS1_11comp_targetILNS1_3genE10ELNS1_11target_archE1200ELNS1_3gpuE4ELNS1_3repE0EEENS1_30default_config_static_selectorELNS0_4arch9wavefront6targetE1EEEvT1_: ; @_ZN7rocprim17ROCPRIM_400000_NS6detail17trampoline_kernelINS0_14default_configENS1_20scan_config_selectorIxEEZZNS1_9scan_implILNS1_25lookback_scan_determinismE0ELb1ELb1ES3_N6thrust23THRUST_200600_302600_NS6detail15normal_iteratorINS9_10device_ptrIxEEEESE_xNS9_4plusIxEExEEDaPvRmT3_T4_T5_mT6_P12ihipStream_tbENKUlT_T0_E_clISt17integral_constantIbLb0EEST_IbLb1EEEEDaSP_SQ_EUlSP_E0_NS1_11comp_targetILNS1_3genE10ELNS1_11target_archE1200ELNS1_3gpuE4ELNS1_3repE0EEENS1_30default_config_static_selectorELNS0_4arch9wavefront6targetE1EEEvT1_
; %bb.0:
	.section	.rodata,"a",@progbits
	.p2align	6, 0x0
	.amdhsa_kernel _ZN7rocprim17ROCPRIM_400000_NS6detail17trampoline_kernelINS0_14default_configENS1_20scan_config_selectorIxEEZZNS1_9scan_implILNS1_25lookback_scan_determinismE0ELb1ELb1ES3_N6thrust23THRUST_200600_302600_NS6detail15normal_iteratorINS9_10device_ptrIxEEEESE_xNS9_4plusIxEExEEDaPvRmT3_T4_T5_mT6_P12ihipStream_tbENKUlT_T0_E_clISt17integral_constantIbLb0EEST_IbLb1EEEEDaSP_SQ_EUlSP_E0_NS1_11comp_targetILNS1_3genE10ELNS1_11target_archE1200ELNS1_3gpuE4ELNS1_3repE0EEENS1_30default_config_static_selectorELNS0_4arch9wavefront6targetE1EEEvT1_
		.amdhsa_group_segment_fixed_size 0
		.amdhsa_private_segment_fixed_size 0
		.amdhsa_kernarg_size 40
		.amdhsa_user_sgpr_count 6
		.amdhsa_user_sgpr_private_segment_buffer 1
		.amdhsa_user_sgpr_dispatch_ptr 0
		.amdhsa_user_sgpr_queue_ptr 0
		.amdhsa_user_sgpr_kernarg_segment_ptr 1
		.amdhsa_user_sgpr_dispatch_id 0
		.amdhsa_user_sgpr_flat_scratch_init 0
		.amdhsa_user_sgpr_kernarg_preload_length 0
		.amdhsa_user_sgpr_kernarg_preload_offset 0
		.amdhsa_user_sgpr_private_segment_size 0
		.amdhsa_uses_dynamic_stack 0
		.amdhsa_system_sgpr_private_segment_wavefront_offset 0
		.amdhsa_system_sgpr_workgroup_id_x 1
		.amdhsa_system_sgpr_workgroup_id_y 0
		.amdhsa_system_sgpr_workgroup_id_z 0
		.amdhsa_system_sgpr_workgroup_info 0
		.amdhsa_system_vgpr_workitem_id 0
		.amdhsa_next_free_vgpr 1
		.amdhsa_next_free_sgpr 0
		.amdhsa_accum_offset 4
		.amdhsa_reserve_vcc 0
		.amdhsa_reserve_flat_scratch 0
		.amdhsa_float_round_mode_32 0
		.amdhsa_float_round_mode_16_64 0
		.amdhsa_float_denorm_mode_32 3
		.amdhsa_float_denorm_mode_16_64 3
		.amdhsa_dx10_clamp 1
		.amdhsa_ieee_mode 1
		.amdhsa_fp16_overflow 0
		.amdhsa_tg_split 0
		.amdhsa_exception_fp_ieee_invalid_op 0
		.amdhsa_exception_fp_denorm_src 0
		.amdhsa_exception_fp_ieee_div_zero 0
		.amdhsa_exception_fp_ieee_overflow 0
		.amdhsa_exception_fp_ieee_underflow 0
		.amdhsa_exception_fp_ieee_inexact 0
		.amdhsa_exception_int_div_zero 0
	.end_amdhsa_kernel
	.section	.text._ZN7rocprim17ROCPRIM_400000_NS6detail17trampoline_kernelINS0_14default_configENS1_20scan_config_selectorIxEEZZNS1_9scan_implILNS1_25lookback_scan_determinismE0ELb1ELb1ES3_N6thrust23THRUST_200600_302600_NS6detail15normal_iteratorINS9_10device_ptrIxEEEESE_xNS9_4plusIxEExEEDaPvRmT3_T4_T5_mT6_P12ihipStream_tbENKUlT_T0_E_clISt17integral_constantIbLb0EEST_IbLb1EEEEDaSP_SQ_EUlSP_E0_NS1_11comp_targetILNS1_3genE10ELNS1_11target_archE1200ELNS1_3gpuE4ELNS1_3repE0EEENS1_30default_config_static_selectorELNS0_4arch9wavefront6targetE1EEEvT1_,"axG",@progbits,_ZN7rocprim17ROCPRIM_400000_NS6detail17trampoline_kernelINS0_14default_configENS1_20scan_config_selectorIxEEZZNS1_9scan_implILNS1_25lookback_scan_determinismE0ELb1ELb1ES3_N6thrust23THRUST_200600_302600_NS6detail15normal_iteratorINS9_10device_ptrIxEEEESE_xNS9_4plusIxEExEEDaPvRmT3_T4_T5_mT6_P12ihipStream_tbENKUlT_T0_E_clISt17integral_constantIbLb0EEST_IbLb1EEEEDaSP_SQ_EUlSP_E0_NS1_11comp_targetILNS1_3genE10ELNS1_11target_archE1200ELNS1_3gpuE4ELNS1_3repE0EEENS1_30default_config_static_selectorELNS0_4arch9wavefront6targetE1EEEvT1_,comdat
.Lfunc_end411:
	.size	_ZN7rocprim17ROCPRIM_400000_NS6detail17trampoline_kernelINS0_14default_configENS1_20scan_config_selectorIxEEZZNS1_9scan_implILNS1_25lookback_scan_determinismE0ELb1ELb1ES3_N6thrust23THRUST_200600_302600_NS6detail15normal_iteratorINS9_10device_ptrIxEEEESE_xNS9_4plusIxEExEEDaPvRmT3_T4_T5_mT6_P12ihipStream_tbENKUlT_T0_E_clISt17integral_constantIbLb0EEST_IbLb1EEEEDaSP_SQ_EUlSP_E0_NS1_11comp_targetILNS1_3genE10ELNS1_11target_archE1200ELNS1_3gpuE4ELNS1_3repE0EEENS1_30default_config_static_selectorELNS0_4arch9wavefront6targetE1EEEvT1_, .Lfunc_end411-_ZN7rocprim17ROCPRIM_400000_NS6detail17trampoline_kernelINS0_14default_configENS1_20scan_config_selectorIxEEZZNS1_9scan_implILNS1_25lookback_scan_determinismE0ELb1ELb1ES3_N6thrust23THRUST_200600_302600_NS6detail15normal_iteratorINS9_10device_ptrIxEEEESE_xNS9_4plusIxEExEEDaPvRmT3_T4_T5_mT6_P12ihipStream_tbENKUlT_T0_E_clISt17integral_constantIbLb0EEST_IbLb1EEEEDaSP_SQ_EUlSP_E0_NS1_11comp_targetILNS1_3genE10ELNS1_11target_archE1200ELNS1_3gpuE4ELNS1_3repE0EEENS1_30default_config_static_selectorELNS0_4arch9wavefront6targetE1EEEvT1_
                                        ; -- End function
	.section	.AMDGPU.csdata,"",@progbits
; Kernel info:
; codeLenInByte = 0
; NumSgprs: 4
; NumVgprs: 0
; NumAgprs: 0
; TotalNumVgprs: 0
; ScratchSize: 0
; MemoryBound: 0
; FloatMode: 240
; IeeeMode: 1
; LDSByteSize: 0 bytes/workgroup (compile time only)
; SGPRBlocks: 0
; VGPRBlocks: 0
; NumSGPRsForWavesPerEU: 4
; NumVGPRsForWavesPerEU: 1
; AccumOffset: 4
; Occupancy: 8
; WaveLimiterHint : 0
; COMPUTE_PGM_RSRC2:SCRATCH_EN: 0
; COMPUTE_PGM_RSRC2:USER_SGPR: 6
; COMPUTE_PGM_RSRC2:TRAP_HANDLER: 0
; COMPUTE_PGM_RSRC2:TGID_X_EN: 1
; COMPUTE_PGM_RSRC2:TGID_Y_EN: 0
; COMPUTE_PGM_RSRC2:TGID_Z_EN: 0
; COMPUTE_PGM_RSRC2:TIDIG_COMP_CNT: 0
; COMPUTE_PGM_RSRC3_GFX90A:ACCUM_OFFSET: 0
; COMPUTE_PGM_RSRC3_GFX90A:TG_SPLIT: 0
	.section	.text._ZN7rocprim17ROCPRIM_400000_NS6detail17trampoline_kernelINS0_14default_configENS1_20scan_config_selectorIxEEZZNS1_9scan_implILNS1_25lookback_scan_determinismE0ELb1ELb1ES3_N6thrust23THRUST_200600_302600_NS6detail15normal_iteratorINS9_10device_ptrIxEEEESE_xNS9_4plusIxEExEEDaPvRmT3_T4_T5_mT6_P12ihipStream_tbENKUlT_T0_E_clISt17integral_constantIbLb0EEST_IbLb1EEEEDaSP_SQ_EUlSP_E0_NS1_11comp_targetILNS1_3genE9ELNS1_11target_archE1100ELNS1_3gpuE3ELNS1_3repE0EEENS1_30default_config_static_selectorELNS0_4arch9wavefront6targetE1EEEvT1_,"axG",@progbits,_ZN7rocprim17ROCPRIM_400000_NS6detail17trampoline_kernelINS0_14default_configENS1_20scan_config_selectorIxEEZZNS1_9scan_implILNS1_25lookback_scan_determinismE0ELb1ELb1ES3_N6thrust23THRUST_200600_302600_NS6detail15normal_iteratorINS9_10device_ptrIxEEEESE_xNS9_4plusIxEExEEDaPvRmT3_T4_T5_mT6_P12ihipStream_tbENKUlT_T0_E_clISt17integral_constantIbLb0EEST_IbLb1EEEEDaSP_SQ_EUlSP_E0_NS1_11comp_targetILNS1_3genE9ELNS1_11target_archE1100ELNS1_3gpuE3ELNS1_3repE0EEENS1_30default_config_static_selectorELNS0_4arch9wavefront6targetE1EEEvT1_,comdat
	.protected	_ZN7rocprim17ROCPRIM_400000_NS6detail17trampoline_kernelINS0_14default_configENS1_20scan_config_selectorIxEEZZNS1_9scan_implILNS1_25lookback_scan_determinismE0ELb1ELb1ES3_N6thrust23THRUST_200600_302600_NS6detail15normal_iteratorINS9_10device_ptrIxEEEESE_xNS9_4plusIxEExEEDaPvRmT3_T4_T5_mT6_P12ihipStream_tbENKUlT_T0_E_clISt17integral_constantIbLb0EEST_IbLb1EEEEDaSP_SQ_EUlSP_E0_NS1_11comp_targetILNS1_3genE9ELNS1_11target_archE1100ELNS1_3gpuE3ELNS1_3repE0EEENS1_30default_config_static_selectorELNS0_4arch9wavefront6targetE1EEEvT1_ ; -- Begin function _ZN7rocprim17ROCPRIM_400000_NS6detail17trampoline_kernelINS0_14default_configENS1_20scan_config_selectorIxEEZZNS1_9scan_implILNS1_25lookback_scan_determinismE0ELb1ELb1ES3_N6thrust23THRUST_200600_302600_NS6detail15normal_iteratorINS9_10device_ptrIxEEEESE_xNS9_4plusIxEExEEDaPvRmT3_T4_T5_mT6_P12ihipStream_tbENKUlT_T0_E_clISt17integral_constantIbLb0EEST_IbLb1EEEEDaSP_SQ_EUlSP_E0_NS1_11comp_targetILNS1_3genE9ELNS1_11target_archE1100ELNS1_3gpuE3ELNS1_3repE0EEENS1_30default_config_static_selectorELNS0_4arch9wavefront6targetE1EEEvT1_
	.globl	_ZN7rocprim17ROCPRIM_400000_NS6detail17trampoline_kernelINS0_14default_configENS1_20scan_config_selectorIxEEZZNS1_9scan_implILNS1_25lookback_scan_determinismE0ELb1ELb1ES3_N6thrust23THRUST_200600_302600_NS6detail15normal_iteratorINS9_10device_ptrIxEEEESE_xNS9_4plusIxEExEEDaPvRmT3_T4_T5_mT6_P12ihipStream_tbENKUlT_T0_E_clISt17integral_constantIbLb0EEST_IbLb1EEEEDaSP_SQ_EUlSP_E0_NS1_11comp_targetILNS1_3genE9ELNS1_11target_archE1100ELNS1_3gpuE3ELNS1_3repE0EEENS1_30default_config_static_selectorELNS0_4arch9wavefront6targetE1EEEvT1_
	.p2align	8
	.type	_ZN7rocprim17ROCPRIM_400000_NS6detail17trampoline_kernelINS0_14default_configENS1_20scan_config_selectorIxEEZZNS1_9scan_implILNS1_25lookback_scan_determinismE0ELb1ELb1ES3_N6thrust23THRUST_200600_302600_NS6detail15normal_iteratorINS9_10device_ptrIxEEEESE_xNS9_4plusIxEExEEDaPvRmT3_T4_T5_mT6_P12ihipStream_tbENKUlT_T0_E_clISt17integral_constantIbLb0EEST_IbLb1EEEEDaSP_SQ_EUlSP_E0_NS1_11comp_targetILNS1_3genE9ELNS1_11target_archE1100ELNS1_3gpuE3ELNS1_3repE0EEENS1_30default_config_static_selectorELNS0_4arch9wavefront6targetE1EEEvT1_,@function
_ZN7rocprim17ROCPRIM_400000_NS6detail17trampoline_kernelINS0_14default_configENS1_20scan_config_selectorIxEEZZNS1_9scan_implILNS1_25lookback_scan_determinismE0ELb1ELb1ES3_N6thrust23THRUST_200600_302600_NS6detail15normal_iteratorINS9_10device_ptrIxEEEESE_xNS9_4plusIxEExEEDaPvRmT3_T4_T5_mT6_P12ihipStream_tbENKUlT_T0_E_clISt17integral_constantIbLb0EEST_IbLb1EEEEDaSP_SQ_EUlSP_E0_NS1_11comp_targetILNS1_3genE9ELNS1_11target_archE1100ELNS1_3gpuE3ELNS1_3repE0EEENS1_30default_config_static_selectorELNS0_4arch9wavefront6targetE1EEEvT1_: ; @_ZN7rocprim17ROCPRIM_400000_NS6detail17trampoline_kernelINS0_14default_configENS1_20scan_config_selectorIxEEZZNS1_9scan_implILNS1_25lookback_scan_determinismE0ELb1ELb1ES3_N6thrust23THRUST_200600_302600_NS6detail15normal_iteratorINS9_10device_ptrIxEEEESE_xNS9_4plusIxEExEEDaPvRmT3_T4_T5_mT6_P12ihipStream_tbENKUlT_T0_E_clISt17integral_constantIbLb0EEST_IbLb1EEEEDaSP_SQ_EUlSP_E0_NS1_11comp_targetILNS1_3genE9ELNS1_11target_archE1100ELNS1_3gpuE3ELNS1_3repE0EEENS1_30default_config_static_selectorELNS0_4arch9wavefront6targetE1EEEvT1_
; %bb.0:
	.section	.rodata,"a",@progbits
	.p2align	6, 0x0
	.amdhsa_kernel _ZN7rocprim17ROCPRIM_400000_NS6detail17trampoline_kernelINS0_14default_configENS1_20scan_config_selectorIxEEZZNS1_9scan_implILNS1_25lookback_scan_determinismE0ELb1ELb1ES3_N6thrust23THRUST_200600_302600_NS6detail15normal_iteratorINS9_10device_ptrIxEEEESE_xNS9_4plusIxEExEEDaPvRmT3_T4_T5_mT6_P12ihipStream_tbENKUlT_T0_E_clISt17integral_constantIbLb0EEST_IbLb1EEEEDaSP_SQ_EUlSP_E0_NS1_11comp_targetILNS1_3genE9ELNS1_11target_archE1100ELNS1_3gpuE3ELNS1_3repE0EEENS1_30default_config_static_selectorELNS0_4arch9wavefront6targetE1EEEvT1_
		.amdhsa_group_segment_fixed_size 0
		.amdhsa_private_segment_fixed_size 0
		.amdhsa_kernarg_size 40
		.amdhsa_user_sgpr_count 6
		.amdhsa_user_sgpr_private_segment_buffer 1
		.amdhsa_user_sgpr_dispatch_ptr 0
		.amdhsa_user_sgpr_queue_ptr 0
		.amdhsa_user_sgpr_kernarg_segment_ptr 1
		.amdhsa_user_sgpr_dispatch_id 0
		.amdhsa_user_sgpr_flat_scratch_init 0
		.amdhsa_user_sgpr_kernarg_preload_length 0
		.amdhsa_user_sgpr_kernarg_preload_offset 0
		.amdhsa_user_sgpr_private_segment_size 0
		.amdhsa_uses_dynamic_stack 0
		.amdhsa_system_sgpr_private_segment_wavefront_offset 0
		.amdhsa_system_sgpr_workgroup_id_x 1
		.amdhsa_system_sgpr_workgroup_id_y 0
		.amdhsa_system_sgpr_workgroup_id_z 0
		.amdhsa_system_sgpr_workgroup_info 0
		.amdhsa_system_vgpr_workitem_id 0
		.amdhsa_next_free_vgpr 1
		.amdhsa_next_free_sgpr 0
		.amdhsa_accum_offset 4
		.amdhsa_reserve_vcc 0
		.amdhsa_reserve_flat_scratch 0
		.amdhsa_float_round_mode_32 0
		.amdhsa_float_round_mode_16_64 0
		.amdhsa_float_denorm_mode_32 3
		.amdhsa_float_denorm_mode_16_64 3
		.amdhsa_dx10_clamp 1
		.amdhsa_ieee_mode 1
		.amdhsa_fp16_overflow 0
		.amdhsa_tg_split 0
		.amdhsa_exception_fp_ieee_invalid_op 0
		.amdhsa_exception_fp_denorm_src 0
		.amdhsa_exception_fp_ieee_div_zero 0
		.amdhsa_exception_fp_ieee_overflow 0
		.amdhsa_exception_fp_ieee_underflow 0
		.amdhsa_exception_fp_ieee_inexact 0
		.amdhsa_exception_int_div_zero 0
	.end_amdhsa_kernel
	.section	.text._ZN7rocprim17ROCPRIM_400000_NS6detail17trampoline_kernelINS0_14default_configENS1_20scan_config_selectorIxEEZZNS1_9scan_implILNS1_25lookback_scan_determinismE0ELb1ELb1ES3_N6thrust23THRUST_200600_302600_NS6detail15normal_iteratorINS9_10device_ptrIxEEEESE_xNS9_4plusIxEExEEDaPvRmT3_T4_T5_mT6_P12ihipStream_tbENKUlT_T0_E_clISt17integral_constantIbLb0EEST_IbLb1EEEEDaSP_SQ_EUlSP_E0_NS1_11comp_targetILNS1_3genE9ELNS1_11target_archE1100ELNS1_3gpuE3ELNS1_3repE0EEENS1_30default_config_static_selectorELNS0_4arch9wavefront6targetE1EEEvT1_,"axG",@progbits,_ZN7rocprim17ROCPRIM_400000_NS6detail17trampoline_kernelINS0_14default_configENS1_20scan_config_selectorIxEEZZNS1_9scan_implILNS1_25lookback_scan_determinismE0ELb1ELb1ES3_N6thrust23THRUST_200600_302600_NS6detail15normal_iteratorINS9_10device_ptrIxEEEESE_xNS9_4plusIxEExEEDaPvRmT3_T4_T5_mT6_P12ihipStream_tbENKUlT_T0_E_clISt17integral_constantIbLb0EEST_IbLb1EEEEDaSP_SQ_EUlSP_E0_NS1_11comp_targetILNS1_3genE9ELNS1_11target_archE1100ELNS1_3gpuE3ELNS1_3repE0EEENS1_30default_config_static_selectorELNS0_4arch9wavefront6targetE1EEEvT1_,comdat
.Lfunc_end412:
	.size	_ZN7rocprim17ROCPRIM_400000_NS6detail17trampoline_kernelINS0_14default_configENS1_20scan_config_selectorIxEEZZNS1_9scan_implILNS1_25lookback_scan_determinismE0ELb1ELb1ES3_N6thrust23THRUST_200600_302600_NS6detail15normal_iteratorINS9_10device_ptrIxEEEESE_xNS9_4plusIxEExEEDaPvRmT3_T4_T5_mT6_P12ihipStream_tbENKUlT_T0_E_clISt17integral_constantIbLb0EEST_IbLb1EEEEDaSP_SQ_EUlSP_E0_NS1_11comp_targetILNS1_3genE9ELNS1_11target_archE1100ELNS1_3gpuE3ELNS1_3repE0EEENS1_30default_config_static_selectorELNS0_4arch9wavefront6targetE1EEEvT1_, .Lfunc_end412-_ZN7rocprim17ROCPRIM_400000_NS6detail17trampoline_kernelINS0_14default_configENS1_20scan_config_selectorIxEEZZNS1_9scan_implILNS1_25lookback_scan_determinismE0ELb1ELb1ES3_N6thrust23THRUST_200600_302600_NS6detail15normal_iteratorINS9_10device_ptrIxEEEESE_xNS9_4plusIxEExEEDaPvRmT3_T4_T5_mT6_P12ihipStream_tbENKUlT_T0_E_clISt17integral_constantIbLb0EEST_IbLb1EEEEDaSP_SQ_EUlSP_E0_NS1_11comp_targetILNS1_3genE9ELNS1_11target_archE1100ELNS1_3gpuE3ELNS1_3repE0EEENS1_30default_config_static_selectorELNS0_4arch9wavefront6targetE1EEEvT1_
                                        ; -- End function
	.section	.AMDGPU.csdata,"",@progbits
; Kernel info:
; codeLenInByte = 0
; NumSgprs: 4
; NumVgprs: 0
; NumAgprs: 0
; TotalNumVgprs: 0
; ScratchSize: 0
; MemoryBound: 0
; FloatMode: 240
; IeeeMode: 1
; LDSByteSize: 0 bytes/workgroup (compile time only)
; SGPRBlocks: 0
; VGPRBlocks: 0
; NumSGPRsForWavesPerEU: 4
; NumVGPRsForWavesPerEU: 1
; AccumOffset: 4
; Occupancy: 8
; WaveLimiterHint : 0
; COMPUTE_PGM_RSRC2:SCRATCH_EN: 0
; COMPUTE_PGM_RSRC2:USER_SGPR: 6
; COMPUTE_PGM_RSRC2:TRAP_HANDLER: 0
; COMPUTE_PGM_RSRC2:TGID_X_EN: 1
; COMPUTE_PGM_RSRC2:TGID_Y_EN: 0
; COMPUTE_PGM_RSRC2:TGID_Z_EN: 0
; COMPUTE_PGM_RSRC2:TIDIG_COMP_CNT: 0
; COMPUTE_PGM_RSRC3_GFX90A:ACCUM_OFFSET: 0
; COMPUTE_PGM_RSRC3_GFX90A:TG_SPLIT: 0
	.section	.text._ZN7rocprim17ROCPRIM_400000_NS6detail17trampoline_kernelINS0_14default_configENS1_20scan_config_selectorIxEEZZNS1_9scan_implILNS1_25lookback_scan_determinismE0ELb1ELb1ES3_N6thrust23THRUST_200600_302600_NS6detail15normal_iteratorINS9_10device_ptrIxEEEESE_xNS9_4plusIxEExEEDaPvRmT3_T4_T5_mT6_P12ihipStream_tbENKUlT_T0_E_clISt17integral_constantIbLb0EEST_IbLb1EEEEDaSP_SQ_EUlSP_E0_NS1_11comp_targetILNS1_3genE8ELNS1_11target_archE1030ELNS1_3gpuE2ELNS1_3repE0EEENS1_30default_config_static_selectorELNS0_4arch9wavefront6targetE1EEEvT1_,"axG",@progbits,_ZN7rocprim17ROCPRIM_400000_NS6detail17trampoline_kernelINS0_14default_configENS1_20scan_config_selectorIxEEZZNS1_9scan_implILNS1_25lookback_scan_determinismE0ELb1ELb1ES3_N6thrust23THRUST_200600_302600_NS6detail15normal_iteratorINS9_10device_ptrIxEEEESE_xNS9_4plusIxEExEEDaPvRmT3_T4_T5_mT6_P12ihipStream_tbENKUlT_T0_E_clISt17integral_constantIbLb0EEST_IbLb1EEEEDaSP_SQ_EUlSP_E0_NS1_11comp_targetILNS1_3genE8ELNS1_11target_archE1030ELNS1_3gpuE2ELNS1_3repE0EEENS1_30default_config_static_selectorELNS0_4arch9wavefront6targetE1EEEvT1_,comdat
	.protected	_ZN7rocprim17ROCPRIM_400000_NS6detail17trampoline_kernelINS0_14default_configENS1_20scan_config_selectorIxEEZZNS1_9scan_implILNS1_25lookback_scan_determinismE0ELb1ELb1ES3_N6thrust23THRUST_200600_302600_NS6detail15normal_iteratorINS9_10device_ptrIxEEEESE_xNS9_4plusIxEExEEDaPvRmT3_T4_T5_mT6_P12ihipStream_tbENKUlT_T0_E_clISt17integral_constantIbLb0EEST_IbLb1EEEEDaSP_SQ_EUlSP_E0_NS1_11comp_targetILNS1_3genE8ELNS1_11target_archE1030ELNS1_3gpuE2ELNS1_3repE0EEENS1_30default_config_static_selectorELNS0_4arch9wavefront6targetE1EEEvT1_ ; -- Begin function _ZN7rocprim17ROCPRIM_400000_NS6detail17trampoline_kernelINS0_14default_configENS1_20scan_config_selectorIxEEZZNS1_9scan_implILNS1_25lookback_scan_determinismE0ELb1ELb1ES3_N6thrust23THRUST_200600_302600_NS6detail15normal_iteratorINS9_10device_ptrIxEEEESE_xNS9_4plusIxEExEEDaPvRmT3_T4_T5_mT6_P12ihipStream_tbENKUlT_T0_E_clISt17integral_constantIbLb0EEST_IbLb1EEEEDaSP_SQ_EUlSP_E0_NS1_11comp_targetILNS1_3genE8ELNS1_11target_archE1030ELNS1_3gpuE2ELNS1_3repE0EEENS1_30default_config_static_selectorELNS0_4arch9wavefront6targetE1EEEvT1_
	.globl	_ZN7rocprim17ROCPRIM_400000_NS6detail17trampoline_kernelINS0_14default_configENS1_20scan_config_selectorIxEEZZNS1_9scan_implILNS1_25lookback_scan_determinismE0ELb1ELb1ES3_N6thrust23THRUST_200600_302600_NS6detail15normal_iteratorINS9_10device_ptrIxEEEESE_xNS9_4plusIxEExEEDaPvRmT3_T4_T5_mT6_P12ihipStream_tbENKUlT_T0_E_clISt17integral_constantIbLb0EEST_IbLb1EEEEDaSP_SQ_EUlSP_E0_NS1_11comp_targetILNS1_3genE8ELNS1_11target_archE1030ELNS1_3gpuE2ELNS1_3repE0EEENS1_30default_config_static_selectorELNS0_4arch9wavefront6targetE1EEEvT1_
	.p2align	8
	.type	_ZN7rocprim17ROCPRIM_400000_NS6detail17trampoline_kernelINS0_14default_configENS1_20scan_config_selectorIxEEZZNS1_9scan_implILNS1_25lookback_scan_determinismE0ELb1ELb1ES3_N6thrust23THRUST_200600_302600_NS6detail15normal_iteratorINS9_10device_ptrIxEEEESE_xNS9_4plusIxEExEEDaPvRmT3_T4_T5_mT6_P12ihipStream_tbENKUlT_T0_E_clISt17integral_constantIbLb0EEST_IbLb1EEEEDaSP_SQ_EUlSP_E0_NS1_11comp_targetILNS1_3genE8ELNS1_11target_archE1030ELNS1_3gpuE2ELNS1_3repE0EEENS1_30default_config_static_selectorELNS0_4arch9wavefront6targetE1EEEvT1_,@function
_ZN7rocprim17ROCPRIM_400000_NS6detail17trampoline_kernelINS0_14default_configENS1_20scan_config_selectorIxEEZZNS1_9scan_implILNS1_25lookback_scan_determinismE0ELb1ELb1ES3_N6thrust23THRUST_200600_302600_NS6detail15normal_iteratorINS9_10device_ptrIxEEEESE_xNS9_4plusIxEExEEDaPvRmT3_T4_T5_mT6_P12ihipStream_tbENKUlT_T0_E_clISt17integral_constantIbLb0EEST_IbLb1EEEEDaSP_SQ_EUlSP_E0_NS1_11comp_targetILNS1_3genE8ELNS1_11target_archE1030ELNS1_3gpuE2ELNS1_3repE0EEENS1_30default_config_static_selectorELNS0_4arch9wavefront6targetE1EEEvT1_: ; @_ZN7rocprim17ROCPRIM_400000_NS6detail17trampoline_kernelINS0_14default_configENS1_20scan_config_selectorIxEEZZNS1_9scan_implILNS1_25lookback_scan_determinismE0ELb1ELb1ES3_N6thrust23THRUST_200600_302600_NS6detail15normal_iteratorINS9_10device_ptrIxEEEESE_xNS9_4plusIxEExEEDaPvRmT3_T4_T5_mT6_P12ihipStream_tbENKUlT_T0_E_clISt17integral_constantIbLb0EEST_IbLb1EEEEDaSP_SQ_EUlSP_E0_NS1_11comp_targetILNS1_3genE8ELNS1_11target_archE1030ELNS1_3gpuE2ELNS1_3repE0EEENS1_30default_config_static_selectorELNS0_4arch9wavefront6targetE1EEEvT1_
; %bb.0:
	.section	.rodata,"a",@progbits
	.p2align	6, 0x0
	.amdhsa_kernel _ZN7rocprim17ROCPRIM_400000_NS6detail17trampoline_kernelINS0_14default_configENS1_20scan_config_selectorIxEEZZNS1_9scan_implILNS1_25lookback_scan_determinismE0ELb1ELb1ES3_N6thrust23THRUST_200600_302600_NS6detail15normal_iteratorINS9_10device_ptrIxEEEESE_xNS9_4plusIxEExEEDaPvRmT3_T4_T5_mT6_P12ihipStream_tbENKUlT_T0_E_clISt17integral_constantIbLb0EEST_IbLb1EEEEDaSP_SQ_EUlSP_E0_NS1_11comp_targetILNS1_3genE8ELNS1_11target_archE1030ELNS1_3gpuE2ELNS1_3repE0EEENS1_30default_config_static_selectorELNS0_4arch9wavefront6targetE1EEEvT1_
		.amdhsa_group_segment_fixed_size 0
		.amdhsa_private_segment_fixed_size 0
		.amdhsa_kernarg_size 40
		.amdhsa_user_sgpr_count 6
		.amdhsa_user_sgpr_private_segment_buffer 1
		.amdhsa_user_sgpr_dispatch_ptr 0
		.amdhsa_user_sgpr_queue_ptr 0
		.amdhsa_user_sgpr_kernarg_segment_ptr 1
		.amdhsa_user_sgpr_dispatch_id 0
		.amdhsa_user_sgpr_flat_scratch_init 0
		.amdhsa_user_sgpr_kernarg_preload_length 0
		.amdhsa_user_sgpr_kernarg_preload_offset 0
		.amdhsa_user_sgpr_private_segment_size 0
		.amdhsa_uses_dynamic_stack 0
		.amdhsa_system_sgpr_private_segment_wavefront_offset 0
		.amdhsa_system_sgpr_workgroup_id_x 1
		.amdhsa_system_sgpr_workgroup_id_y 0
		.amdhsa_system_sgpr_workgroup_id_z 0
		.amdhsa_system_sgpr_workgroup_info 0
		.amdhsa_system_vgpr_workitem_id 0
		.amdhsa_next_free_vgpr 1
		.amdhsa_next_free_sgpr 0
		.amdhsa_accum_offset 4
		.amdhsa_reserve_vcc 0
		.amdhsa_reserve_flat_scratch 0
		.amdhsa_float_round_mode_32 0
		.amdhsa_float_round_mode_16_64 0
		.amdhsa_float_denorm_mode_32 3
		.amdhsa_float_denorm_mode_16_64 3
		.amdhsa_dx10_clamp 1
		.amdhsa_ieee_mode 1
		.amdhsa_fp16_overflow 0
		.amdhsa_tg_split 0
		.amdhsa_exception_fp_ieee_invalid_op 0
		.amdhsa_exception_fp_denorm_src 0
		.amdhsa_exception_fp_ieee_div_zero 0
		.amdhsa_exception_fp_ieee_overflow 0
		.amdhsa_exception_fp_ieee_underflow 0
		.amdhsa_exception_fp_ieee_inexact 0
		.amdhsa_exception_int_div_zero 0
	.end_amdhsa_kernel
	.section	.text._ZN7rocprim17ROCPRIM_400000_NS6detail17trampoline_kernelINS0_14default_configENS1_20scan_config_selectorIxEEZZNS1_9scan_implILNS1_25lookback_scan_determinismE0ELb1ELb1ES3_N6thrust23THRUST_200600_302600_NS6detail15normal_iteratorINS9_10device_ptrIxEEEESE_xNS9_4plusIxEExEEDaPvRmT3_T4_T5_mT6_P12ihipStream_tbENKUlT_T0_E_clISt17integral_constantIbLb0EEST_IbLb1EEEEDaSP_SQ_EUlSP_E0_NS1_11comp_targetILNS1_3genE8ELNS1_11target_archE1030ELNS1_3gpuE2ELNS1_3repE0EEENS1_30default_config_static_selectorELNS0_4arch9wavefront6targetE1EEEvT1_,"axG",@progbits,_ZN7rocprim17ROCPRIM_400000_NS6detail17trampoline_kernelINS0_14default_configENS1_20scan_config_selectorIxEEZZNS1_9scan_implILNS1_25lookback_scan_determinismE0ELb1ELb1ES3_N6thrust23THRUST_200600_302600_NS6detail15normal_iteratorINS9_10device_ptrIxEEEESE_xNS9_4plusIxEExEEDaPvRmT3_T4_T5_mT6_P12ihipStream_tbENKUlT_T0_E_clISt17integral_constantIbLb0EEST_IbLb1EEEEDaSP_SQ_EUlSP_E0_NS1_11comp_targetILNS1_3genE8ELNS1_11target_archE1030ELNS1_3gpuE2ELNS1_3repE0EEENS1_30default_config_static_selectorELNS0_4arch9wavefront6targetE1EEEvT1_,comdat
.Lfunc_end413:
	.size	_ZN7rocprim17ROCPRIM_400000_NS6detail17trampoline_kernelINS0_14default_configENS1_20scan_config_selectorIxEEZZNS1_9scan_implILNS1_25lookback_scan_determinismE0ELb1ELb1ES3_N6thrust23THRUST_200600_302600_NS6detail15normal_iteratorINS9_10device_ptrIxEEEESE_xNS9_4plusIxEExEEDaPvRmT3_T4_T5_mT6_P12ihipStream_tbENKUlT_T0_E_clISt17integral_constantIbLb0EEST_IbLb1EEEEDaSP_SQ_EUlSP_E0_NS1_11comp_targetILNS1_3genE8ELNS1_11target_archE1030ELNS1_3gpuE2ELNS1_3repE0EEENS1_30default_config_static_selectorELNS0_4arch9wavefront6targetE1EEEvT1_, .Lfunc_end413-_ZN7rocprim17ROCPRIM_400000_NS6detail17trampoline_kernelINS0_14default_configENS1_20scan_config_selectorIxEEZZNS1_9scan_implILNS1_25lookback_scan_determinismE0ELb1ELb1ES3_N6thrust23THRUST_200600_302600_NS6detail15normal_iteratorINS9_10device_ptrIxEEEESE_xNS9_4plusIxEExEEDaPvRmT3_T4_T5_mT6_P12ihipStream_tbENKUlT_T0_E_clISt17integral_constantIbLb0EEST_IbLb1EEEEDaSP_SQ_EUlSP_E0_NS1_11comp_targetILNS1_3genE8ELNS1_11target_archE1030ELNS1_3gpuE2ELNS1_3repE0EEENS1_30default_config_static_selectorELNS0_4arch9wavefront6targetE1EEEvT1_
                                        ; -- End function
	.section	.AMDGPU.csdata,"",@progbits
; Kernel info:
; codeLenInByte = 0
; NumSgprs: 4
; NumVgprs: 0
; NumAgprs: 0
; TotalNumVgprs: 0
; ScratchSize: 0
; MemoryBound: 0
; FloatMode: 240
; IeeeMode: 1
; LDSByteSize: 0 bytes/workgroup (compile time only)
; SGPRBlocks: 0
; VGPRBlocks: 0
; NumSGPRsForWavesPerEU: 4
; NumVGPRsForWavesPerEU: 1
; AccumOffset: 4
; Occupancy: 8
; WaveLimiterHint : 0
; COMPUTE_PGM_RSRC2:SCRATCH_EN: 0
; COMPUTE_PGM_RSRC2:USER_SGPR: 6
; COMPUTE_PGM_RSRC2:TRAP_HANDLER: 0
; COMPUTE_PGM_RSRC2:TGID_X_EN: 1
; COMPUTE_PGM_RSRC2:TGID_Y_EN: 0
; COMPUTE_PGM_RSRC2:TGID_Z_EN: 0
; COMPUTE_PGM_RSRC2:TIDIG_COMP_CNT: 0
; COMPUTE_PGM_RSRC3_GFX90A:ACCUM_OFFSET: 0
; COMPUTE_PGM_RSRC3_GFX90A:TG_SPLIT: 0
	.section	.text._ZN7rocprim17ROCPRIM_400000_NS6detail17trampoline_kernelINS0_14default_configENS1_20scan_config_selectorIxEEZZNS1_9scan_implILNS1_25lookback_scan_determinismE0ELb0ELb1ES3_N6thrust23THRUST_200600_302600_NS6detail15normal_iteratorINS9_10device_ptrIxEEEESE_xNS9_4plusIxEExEEDaPvRmT3_T4_T5_mT6_P12ihipStream_tbENKUlT_T0_E_clISt17integral_constantIbLb0EESU_EEDaSP_SQ_EUlSP_E_NS1_11comp_targetILNS1_3genE0ELNS1_11target_archE4294967295ELNS1_3gpuE0ELNS1_3repE0EEENS1_30default_config_static_selectorELNS0_4arch9wavefront6targetE1EEEvT1_,"axG",@progbits,_ZN7rocprim17ROCPRIM_400000_NS6detail17trampoline_kernelINS0_14default_configENS1_20scan_config_selectorIxEEZZNS1_9scan_implILNS1_25lookback_scan_determinismE0ELb0ELb1ES3_N6thrust23THRUST_200600_302600_NS6detail15normal_iteratorINS9_10device_ptrIxEEEESE_xNS9_4plusIxEExEEDaPvRmT3_T4_T5_mT6_P12ihipStream_tbENKUlT_T0_E_clISt17integral_constantIbLb0EESU_EEDaSP_SQ_EUlSP_E_NS1_11comp_targetILNS1_3genE0ELNS1_11target_archE4294967295ELNS1_3gpuE0ELNS1_3repE0EEENS1_30default_config_static_selectorELNS0_4arch9wavefront6targetE1EEEvT1_,comdat
	.protected	_ZN7rocprim17ROCPRIM_400000_NS6detail17trampoline_kernelINS0_14default_configENS1_20scan_config_selectorIxEEZZNS1_9scan_implILNS1_25lookback_scan_determinismE0ELb0ELb1ES3_N6thrust23THRUST_200600_302600_NS6detail15normal_iteratorINS9_10device_ptrIxEEEESE_xNS9_4plusIxEExEEDaPvRmT3_T4_T5_mT6_P12ihipStream_tbENKUlT_T0_E_clISt17integral_constantIbLb0EESU_EEDaSP_SQ_EUlSP_E_NS1_11comp_targetILNS1_3genE0ELNS1_11target_archE4294967295ELNS1_3gpuE0ELNS1_3repE0EEENS1_30default_config_static_selectorELNS0_4arch9wavefront6targetE1EEEvT1_ ; -- Begin function _ZN7rocprim17ROCPRIM_400000_NS6detail17trampoline_kernelINS0_14default_configENS1_20scan_config_selectorIxEEZZNS1_9scan_implILNS1_25lookback_scan_determinismE0ELb0ELb1ES3_N6thrust23THRUST_200600_302600_NS6detail15normal_iteratorINS9_10device_ptrIxEEEESE_xNS9_4plusIxEExEEDaPvRmT3_T4_T5_mT6_P12ihipStream_tbENKUlT_T0_E_clISt17integral_constantIbLb0EESU_EEDaSP_SQ_EUlSP_E_NS1_11comp_targetILNS1_3genE0ELNS1_11target_archE4294967295ELNS1_3gpuE0ELNS1_3repE0EEENS1_30default_config_static_selectorELNS0_4arch9wavefront6targetE1EEEvT1_
	.globl	_ZN7rocprim17ROCPRIM_400000_NS6detail17trampoline_kernelINS0_14default_configENS1_20scan_config_selectorIxEEZZNS1_9scan_implILNS1_25lookback_scan_determinismE0ELb0ELb1ES3_N6thrust23THRUST_200600_302600_NS6detail15normal_iteratorINS9_10device_ptrIxEEEESE_xNS9_4plusIxEExEEDaPvRmT3_T4_T5_mT6_P12ihipStream_tbENKUlT_T0_E_clISt17integral_constantIbLb0EESU_EEDaSP_SQ_EUlSP_E_NS1_11comp_targetILNS1_3genE0ELNS1_11target_archE4294967295ELNS1_3gpuE0ELNS1_3repE0EEENS1_30default_config_static_selectorELNS0_4arch9wavefront6targetE1EEEvT1_
	.p2align	8
	.type	_ZN7rocprim17ROCPRIM_400000_NS6detail17trampoline_kernelINS0_14default_configENS1_20scan_config_selectorIxEEZZNS1_9scan_implILNS1_25lookback_scan_determinismE0ELb0ELb1ES3_N6thrust23THRUST_200600_302600_NS6detail15normal_iteratorINS9_10device_ptrIxEEEESE_xNS9_4plusIxEExEEDaPvRmT3_T4_T5_mT6_P12ihipStream_tbENKUlT_T0_E_clISt17integral_constantIbLb0EESU_EEDaSP_SQ_EUlSP_E_NS1_11comp_targetILNS1_3genE0ELNS1_11target_archE4294967295ELNS1_3gpuE0ELNS1_3repE0EEENS1_30default_config_static_selectorELNS0_4arch9wavefront6targetE1EEEvT1_,@function
_ZN7rocprim17ROCPRIM_400000_NS6detail17trampoline_kernelINS0_14default_configENS1_20scan_config_selectorIxEEZZNS1_9scan_implILNS1_25lookback_scan_determinismE0ELb0ELb1ES3_N6thrust23THRUST_200600_302600_NS6detail15normal_iteratorINS9_10device_ptrIxEEEESE_xNS9_4plusIxEExEEDaPvRmT3_T4_T5_mT6_P12ihipStream_tbENKUlT_T0_E_clISt17integral_constantIbLb0EESU_EEDaSP_SQ_EUlSP_E_NS1_11comp_targetILNS1_3genE0ELNS1_11target_archE4294967295ELNS1_3gpuE0ELNS1_3repE0EEENS1_30default_config_static_selectorELNS0_4arch9wavefront6targetE1EEEvT1_: ; @_ZN7rocprim17ROCPRIM_400000_NS6detail17trampoline_kernelINS0_14default_configENS1_20scan_config_selectorIxEEZZNS1_9scan_implILNS1_25lookback_scan_determinismE0ELb0ELb1ES3_N6thrust23THRUST_200600_302600_NS6detail15normal_iteratorINS9_10device_ptrIxEEEESE_xNS9_4plusIxEExEEDaPvRmT3_T4_T5_mT6_P12ihipStream_tbENKUlT_T0_E_clISt17integral_constantIbLb0EESU_EEDaSP_SQ_EUlSP_E_NS1_11comp_targetILNS1_3genE0ELNS1_11target_archE4294967295ELNS1_3gpuE0ELNS1_3repE0EEENS1_30default_config_static_selectorELNS0_4arch9wavefront6targetE1EEEvT1_
; %bb.0:
	.section	.rodata,"a",@progbits
	.p2align	6, 0x0
	.amdhsa_kernel _ZN7rocprim17ROCPRIM_400000_NS6detail17trampoline_kernelINS0_14default_configENS1_20scan_config_selectorIxEEZZNS1_9scan_implILNS1_25lookback_scan_determinismE0ELb0ELb1ES3_N6thrust23THRUST_200600_302600_NS6detail15normal_iteratorINS9_10device_ptrIxEEEESE_xNS9_4plusIxEExEEDaPvRmT3_T4_T5_mT6_P12ihipStream_tbENKUlT_T0_E_clISt17integral_constantIbLb0EESU_EEDaSP_SQ_EUlSP_E_NS1_11comp_targetILNS1_3genE0ELNS1_11target_archE4294967295ELNS1_3gpuE0ELNS1_3repE0EEENS1_30default_config_static_selectorELNS0_4arch9wavefront6targetE1EEEvT1_
		.amdhsa_group_segment_fixed_size 0
		.amdhsa_private_segment_fixed_size 0
		.amdhsa_kernarg_size 104
		.amdhsa_user_sgpr_count 6
		.amdhsa_user_sgpr_private_segment_buffer 1
		.amdhsa_user_sgpr_dispatch_ptr 0
		.amdhsa_user_sgpr_queue_ptr 0
		.amdhsa_user_sgpr_kernarg_segment_ptr 1
		.amdhsa_user_sgpr_dispatch_id 0
		.amdhsa_user_sgpr_flat_scratch_init 0
		.amdhsa_user_sgpr_kernarg_preload_length 0
		.amdhsa_user_sgpr_kernarg_preload_offset 0
		.amdhsa_user_sgpr_private_segment_size 0
		.amdhsa_uses_dynamic_stack 0
		.amdhsa_system_sgpr_private_segment_wavefront_offset 0
		.amdhsa_system_sgpr_workgroup_id_x 1
		.amdhsa_system_sgpr_workgroup_id_y 0
		.amdhsa_system_sgpr_workgroup_id_z 0
		.amdhsa_system_sgpr_workgroup_info 0
		.amdhsa_system_vgpr_workitem_id 0
		.amdhsa_next_free_vgpr 1
		.amdhsa_next_free_sgpr 0
		.amdhsa_accum_offset 4
		.amdhsa_reserve_vcc 0
		.amdhsa_reserve_flat_scratch 0
		.amdhsa_float_round_mode_32 0
		.amdhsa_float_round_mode_16_64 0
		.amdhsa_float_denorm_mode_32 3
		.amdhsa_float_denorm_mode_16_64 3
		.amdhsa_dx10_clamp 1
		.amdhsa_ieee_mode 1
		.amdhsa_fp16_overflow 0
		.amdhsa_tg_split 0
		.amdhsa_exception_fp_ieee_invalid_op 0
		.amdhsa_exception_fp_denorm_src 0
		.amdhsa_exception_fp_ieee_div_zero 0
		.amdhsa_exception_fp_ieee_overflow 0
		.amdhsa_exception_fp_ieee_underflow 0
		.amdhsa_exception_fp_ieee_inexact 0
		.amdhsa_exception_int_div_zero 0
	.end_amdhsa_kernel
	.section	.text._ZN7rocprim17ROCPRIM_400000_NS6detail17trampoline_kernelINS0_14default_configENS1_20scan_config_selectorIxEEZZNS1_9scan_implILNS1_25lookback_scan_determinismE0ELb0ELb1ES3_N6thrust23THRUST_200600_302600_NS6detail15normal_iteratorINS9_10device_ptrIxEEEESE_xNS9_4plusIxEExEEDaPvRmT3_T4_T5_mT6_P12ihipStream_tbENKUlT_T0_E_clISt17integral_constantIbLb0EESU_EEDaSP_SQ_EUlSP_E_NS1_11comp_targetILNS1_3genE0ELNS1_11target_archE4294967295ELNS1_3gpuE0ELNS1_3repE0EEENS1_30default_config_static_selectorELNS0_4arch9wavefront6targetE1EEEvT1_,"axG",@progbits,_ZN7rocprim17ROCPRIM_400000_NS6detail17trampoline_kernelINS0_14default_configENS1_20scan_config_selectorIxEEZZNS1_9scan_implILNS1_25lookback_scan_determinismE0ELb0ELb1ES3_N6thrust23THRUST_200600_302600_NS6detail15normal_iteratorINS9_10device_ptrIxEEEESE_xNS9_4plusIxEExEEDaPvRmT3_T4_T5_mT6_P12ihipStream_tbENKUlT_T0_E_clISt17integral_constantIbLb0EESU_EEDaSP_SQ_EUlSP_E_NS1_11comp_targetILNS1_3genE0ELNS1_11target_archE4294967295ELNS1_3gpuE0ELNS1_3repE0EEENS1_30default_config_static_selectorELNS0_4arch9wavefront6targetE1EEEvT1_,comdat
.Lfunc_end414:
	.size	_ZN7rocprim17ROCPRIM_400000_NS6detail17trampoline_kernelINS0_14default_configENS1_20scan_config_selectorIxEEZZNS1_9scan_implILNS1_25lookback_scan_determinismE0ELb0ELb1ES3_N6thrust23THRUST_200600_302600_NS6detail15normal_iteratorINS9_10device_ptrIxEEEESE_xNS9_4plusIxEExEEDaPvRmT3_T4_T5_mT6_P12ihipStream_tbENKUlT_T0_E_clISt17integral_constantIbLb0EESU_EEDaSP_SQ_EUlSP_E_NS1_11comp_targetILNS1_3genE0ELNS1_11target_archE4294967295ELNS1_3gpuE0ELNS1_3repE0EEENS1_30default_config_static_selectorELNS0_4arch9wavefront6targetE1EEEvT1_, .Lfunc_end414-_ZN7rocprim17ROCPRIM_400000_NS6detail17trampoline_kernelINS0_14default_configENS1_20scan_config_selectorIxEEZZNS1_9scan_implILNS1_25lookback_scan_determinismE0ELb0ELb1ES3_N6thrust23THRUST_200600_302600_NS6detail15normal_iteratorINS9_10device_ptrIxEEEESE_xNS9_4plusIxEExEEDaPvRmT3_T4_T5_mT6_P12ihipStream_tbENKUlT_T0_E_clISt17integral_constantIbLb0EESU_EEDaSP_SQ_EUlSP_E_NS1_11comp_targetILNS1_3genE0ELNS1_11target_archE4294967295ELNS1_3gpuE0ELNS1_3repE0EEENS1_30default_config_static_selectorELNS0_4arch9wavefront6targetE1EEEvT1_
                                        ; -- End function
	.section	.AMDGPU.csdata,"",@progbits
; Kernel info:
; codeLenInByte = 0
; NumSgprs: 4
; NumVgprs: 0
; NumAgprs: 0
; TotalNumVgprs: 0
; ScratchSize: 0
; MemoryBound: 0
; FloatMode: 240
; IeeeMode: 1
; LDSByteSize: 0 bytes/workgroup (compile time only)
; SGPRBlocks: 0
; VGPRBlocks: 0
; NumSGPRsForWavesPerEU: 4
; NumVGPRsForWavesPerEU: 1
; AccumOffset: 4
; Occupancy: 8
; WaveLimiterHint : 0
; COMPUTE_PGM_RSRC2:SCRATCH_EN: 0
; COMPUTE_PGM_RSRC2:USER_SGPR: 6
; COMPUTE_PGM_RSRC2:TRAP_HANDLER: 0
; COMPUTE_PGM_RSRC2:TGID_X_EN: 1
; COMPUTE_PGM_RSRC2:TGID_Y_EN: 0
; COMPUTE_PGM_RSRC2:TGID_Z_EN: 0
; COMPUTE_PGM_RSRC2:TIDIG_COMP_CNT: 0
; COMPUTE_PGM_RSRC3_GFX90A:ACCUM_OFFSET: 0
; COMPUTE_PGM_RSRC3_GFX90A:TG_SPLIT: 0
	.section	.text._ZN7rocprim17ROCPRIM_400000_NS6detail17trampoline_kernelINS0_14default_configENS1_20scan_config_selectorIxEEZZNS1_9scan_implILNS1_25lookback_scan_determinismE0ELb0ELb1ES3_N6thrust23THRUST_200600_302600_NS6detail15normal_iteratorINS9_10device_ptrIxEEEESE_xNS9_4plusIxEExEEDaPvRmT3_T4_T5_mT6_P12ihipStream_tbENKUlT_T0_E_clISt17integral_constantIbLb0EESU_EEDaSP_SQ_EUlSP_E_NS1_11comp_targetILNS1_3genE5ELNS1_11target_archE942ELNS1_3gpuE9ELNS1_3repE0EEENS1_30default_config_static_selectorELNS0_4arch9wavefront6targetE1EEEvT1_,"axG",@progbits,_ZN7rocprim17ROCPRIM_400000_NS6detail17trampoline_kernelINS0_14default_configENS1_20scan_config_selectorIxEEZZNS1_9scan_implILNS1_25lookback_scan_determinismE0ELb0ELb1ES3_N6thrust23THRUST_200600_302600_NS6detail15normal_iteratorINS9_10device_ptrIxEEEESE_xNS9_4plusIxEExEEDaPvRmT3_T4_T5_mT6_P12ihipStream_tbENKUlT_T0_E_clISt17integral_constantIbLb0EESU_EEDaSP_SQ_EUlSP_E_NS1_11comp_targetILNS1_3genE5ELNS1_11target_archE942ELNS1_3gpuE9ELNS1_3repE0EEENS1_30default_config_static_selectorELNS0_4arch9wavefront6targetE1EEEvT1_,comdat
	.protected	_ZN7rocprim17ROCPRIM_400000_NS6detail17trampoline_kernelINS0_14default_configENS1_20scan_config_selectorIxEEZZNS1_9scan_implILNS1_25lookback_scan_determinismE0ELb0ELb1ES3_N6thrust23THRUST_200600_302600_NS6detail15normal_iteratorINS9_10device_ptrIxEEEESE_xNS9_4plusIxEExEEDaPvRmT3_T4_T5_mT6_P12ihipStream_tbENKUlT_T0_E_clISt17integral_constantIbLb0EESU_EEDaSP_SQ_EUlSP_E_NS1_11comp_targetILNS1_3genE5ELNS1_11target_archE942ELNS1_3gpuE9ELNS1_3repE0EEENS1_30default_config_static_selectorELNS0_4arch9wavefront6targetE1EEEvT1_ ; -- Begin function _ZN7rocprim17ROCPRIM_400000_NS6detail17trampoline_kernelINS0_14default_configENS1_20scan_config_selectorIxEEZZNS1_9scan_implILNS1_25lookback_scan_determinismE0ELb0ELb1ES3_N6thrust23THRUST_200600_302600_NS6detail15normal_iteratorINS9_10device_ptrIxEEEESE_xNS9_4plusIxEExEEDaPvRmT3_T4_T5_mT6_P12ihipStream_tbENKUlT_T0_E_clISt17integral_constantIbLb0EESU_EEDaSP_SQ_EUlSP_E_NS1_11comp_targetILNS1_3genE5ELNS1_11target_archE942ELNS1_3gpuE9ELNS1_3repE0EEENS1_30default_config_static_selectorELNS0_4arch9wavefront6targetE1EEEvT1_
	.globl	_ZN7rocprim17ROCPRIM_400000_NS6detail17trampoline_kernelINS0_14default_configENS1_20scan_config_selectorIxEEZZNS1_9scan_implILNS1_25lookback_scan_determinismE0ELb0ELb1ES3_N6thrust23THRUST_200600_302600_NS6detail15normal_iteratorINS9_10device_ptrIxEEEESE_xNS9_4plusIxEExEEDaPvRmT3_T4_T5_mT6_P12ihipStream_tbENKUlT_T0_E_clISt17integral_constantIbLb0EESU_EEDaSP_SQ_EUlSP_E_NS1_11comp_targetILNS1_3genE5ELNS1_11target_archE942ELNS1_3gpuE9ELNS1_3repE0EEENS1_30default_config_static_selectorELNS0_4arch9wavefront6targetE1EEEvT1_
	.p2align	8
	.type	_ZN7rocprim17ROCPRIM_400000_NS6detail17trampoline_kernelINS0_14default_configENS1_20scan_config_selectorIxEEZZNS1_9scan_implILNS1_25lookback_scan_determinismE0ELb0ELb1ES3_N6thrust23THRUST_200600_302600_NS6detail15normal_iteratorINS9_10device_ptrIxEEEESE_xNS9_4plusIxEExEEDaPvRmT3_T4_T5_mT6_P12ihipStream_tbENKUlT_T0_E_clISt17integral_constantIbLb0EESU_EEDaSP_SQ_EUlSP_E_NS1_11comp_targetILNS1_3genE5ELNS1_11target_archE942ELNS1_3gpuE9ELNS1_3repE0EEENS1_30default_config_static_selectorELNS0_4arch9wavefront6targetE1EEEvT1_,@function
_ZN7rocprim17ROCPRIM_400000_NS6detail17trampoline_kernelINS0_14default_configENS1_20scan_config_selectorIxEEZZNS1_9scan_implILNS1_25lookback_scan_determinismE0ELb0ELb1ES3_N6thrust23THRUST_200600_302600_NS6detail15normal_iteratorINS9_10device_ptrIxEEEESE_xNS9_4plusIxEExEEDaPvRmT3_T4_T5_mT6_P12ihipStream_tbENKUlT_T0_E_clISt17integral_constantIbLb0EESU_EEDaSP_SQ_EUlSP_E_NS1_11comp_targetILNS1_3genE5ELNS1_11target_archE942ELNS1_3gpuE9ELNS1_3repE0EEENS1_30default_config_static_selectorELNS0_4arch9wavefront6targetE1EEEvT1_: ; @_ZN7rocprim17ROCPRIM_400000_NS6detail17trampoline_kernelINS0_14default_configENS1_20scan_config_selectorIxEEZZNS1_9scan_implILNS1_25lookback_scan_determinismE0ELb0ELb1ES3_N6thrust23THRUST_200600_302600_NS6detail15normal_iteratorINS9_10device_ptrIxEEEESE_xNS9_4plusIxEExEEDaPvRmT3_T4_T5_mT6_P12ihipStream_tbENKUlT_T0_E_clISt17integral_constantIbLb0EESU_EEDaSP_SQ_EUlSP_E_NS1_11comp_targetILNS1_3genE5ELNS1_11target_archE942ELNS1_3gpuE9ELNS1_3repE0EEENS1_30default_config_static_selectorELNS0_4arch9wavefront6targetE1EEEvT1_
; %bb.0:
	.section	.rodata,"a",@progbits
	.p2align	6, 0x0
	.amdhsa_kernel _ZN7rocprim17ROCPRIM_400000_NS6detail17trampoline_kernelINS0_14default_configENS1_20scan_config_selectorIxEEZZNS1_9scan_implILNS1_25lookback_scan_determinismE0ELb0ELb1ES3_N6thrust23THRUST_200600_302600_NS6detail15normal_iteratorINS9_10device_ptrIxEEEESE_xNS9_4plusIxEExEEDaPvRmT3_T4_T5_mT6_P12ihipStream_tbENKUlT_T0_E_clISt17integral_constantIbLb0EESU_EEDaSP_SQ_EUlSP_E_NS1_11comp_targetILNS1_3genE5ELNS1_11target_archE942ELNS1_3gpuE9ELNS1_3repE0EEENS1_30default_config_static_selectorELNS0_4arch9wavefront6targetE1EEEvT1_
		.amdhsa_group_segment_fixed_size 0
		.amdhsa_private_segment_fixed_size 0
		.amdhsa_kernarg_size 104
		.amdhsa_user_sgpr_count 6
		.amdhsa_user_sgpr_private_segment_buffer 1
		.amdhsa_user_sgpr_dispatch_ptr 0
		.amdhsa_user_sgpr_queue_ptr 0
		.amdhsa_user_sgpr_kernarg_segment_ptr 1
		.amdhsa_user_sgpr_dispatch_id 0
		.amdhsa_user_sgpr_flat_scratch_init 0
		.amdhsa_user_sgpr_kernarg_preload_length 0
		.amdhsa_user_sgpr_kernarg_preload_offset 0
		.amdhsa_user_sgpr_private_segment_size 0
		.amdhsa_uses_dynamic_stack 0
		.amdhsa_system_sgpr_private_segment_wavefront_offset 0
		.amdhsa_system_sgpr_workgroup_id_x 1
		.amdhsa_system_sgpr_workgroup_id_y 0
		.amdhsa_system_sgpr_workgroup_id_z 0
		.amdhsa_system_sgpr_workgroup_info 0
		.amdhsa_system_vgpr_workitem_id 0
		.amdhsa_next_free_vgpr 1
		.amdhsa_next_free_sgpr 0
		.amdhsa_accum_offset 4
		.amdhsa_reserve_vcc 0
		.amdhsa_reserve_flat_scratch 0
		.amdhsa_float_round_mode_32 0
		.amdhsa_float_round_mode_16_64 0
		.amdhsa_float_denorm_mode_32 3
		.amdhsa_float_denorm_mode_16_64 3
		.amdhsa_dx10_clamp 1
		.amdhsa_ieee_mode 1
		.amdhsa_fp16_overflow 0
		.amdhsa_tg_split 0
		.amdhsa_exception_fp_ieee_invalid_op 0
		.amdhsa_exception_fp_denorm_src 0
		.amdhsa_exception_fp_ieee_div_zero 0
		.amdhsa_exception_fp_ieee_overflow 0
		.amdhsa_exception_fp_ieee_underflow 0
		.amdhsa_exception_fp_ieee_inexact 0
		.amdhsa_exception_int_div_zero 0
	.end_amdhsa_kernel
	.section	.text._ZN7rocprim17ROCPRIM_400000_NS6detail17trampoline_kernelINS0_14default_configENS1_20scan_config_selectorIxEEZZNS1_9scan_implILNS1_25lookback_scan_determinismE0ELb0ELb1ES3_N6thrust23THRUST_200600_302600_NS6detail15normal_iteratorINS9_10device_ptrIxEEEESE_xNS9_4plusIxEExEEDaPvRmT3_T4_T5_mT6_P12ihipStream_tbENKUlT_T0_E_clISt17integral_constantIbLb0EESU_EEDaSP_SQ_EUlSP_E_NS1_11comp_targetILNS1_3genE5ELNS1_11target_archE942ELNS1_3gpuE9ELNS1_3repE0EEENS1_30default_config_static_selectorELNS0_4arch9wavefront6targetE1EEEvT1_,"axG",@progbits,_ZN7rocprim17ROCPRIM_400000_NS6detail17trampoline_kernelINS0_14default_configENS1_20scan_config_selectorIxEEZZNS1_9scan_implILNS1_25lookback_scan_determinismE0ELb0ELb1ES3_N6thrust23THRUST_200600_302600_NS6detail15normal_iteratorINS9_10device_ptrIxEEEESE_xNS9_4plusIxEExEEDaPvRmT3_T4_T5_mT6_P12ihipStream_tbENKUlT_T0_E_clISt17integral_constantIbLb0EESU_EEDaSP_SQ_EUlSP_E_NS1_11comp_targetILNS1_3genE5ELNS1_11target_archE942ELNS1_3gpuE9ELNS1_3repE0EEENS1_30default_config_static_selectorELNS0_4arch9wavefront6targetE1EEEvT1_,comdat
.Lfunc_end415:
	.size	_ZN7rocprim17ROCPRIM_400000_NS6detail17trampoline_kernelINS0_14default_configENS1_20scan_config_selectorIxEEZZNS1_9scan_implILNS1_25lookback_scan_determinismE0ELb0ELb1ES3_N6thrust23THRUST_200600_302600_NS6detail15normal_iteratorINS9_10device_ptrIxEEEESE_xNS9_4plusIxEExEEDaPvRmT3_T4_T5_mT6_P12ihipStream_tbENKUlT_T0_E_clISt17integral_constantIbLb0EESU_EEDaSP_SQ_EUlSP_E_NS1_11comp_targetILNS1_3genE5ELNS1_11target_archE942ELNS1_3gpuE9ELNS1_3repE0EEENS1_30default_config_static_selectorELNS0_4arch9wavefront6targetE1EEEvT1_, .Lfunc_end415-_ZN7rocprim17ROCPRIM_400000_NS6detail17trampoline_kernelINS0_14default_configENS1_20scan_config_selectorIxEEZZNS1_9scan_implILNS1_25lookback_scan_determinismE0ELb0ELb1ES3_N6thrust23THRUST_200600_302600_NS6detail15normal_iteratorINS9_10device_ptrIxEEEESE_xNS9_4plusIxEExEEDaPvRmT3_T4_T5_mT6_P12ihipStream_tbENKUlT_T0_E_clISt17integral_constantIbLb0EESU_EEDaSP_SQ_EUlSP_E_NS1_11comp_targetILNS1_3genE5ELNS1_11target_archE942ELNS1_3gpuE9ELNS1_3repE0EEENS1_30default_config_static_selectorELNS0_4arch9wavefront6targetE1EEEvT1_
                                        ; -- End function
	.section	.AMDGPU.csdata,"",@progbits
; Kernel info:
; codeLenInByte = 0
; NumSgprs: 4
; NumVgprs: 0
; NumAgprs: 0
; TotalNumVgprs: 0
; ScratchSize: 0
; MemoryBound: 0
; FloatMode: 240
; IeeeMode: 1
; LDSByteSize: 0 bytes/workgroup (compile time only)
; SGPRBlocks: 0
; VGPRBlocks: 0
; NumSGPRsForWavesPerEU: 4
; NumVGPRsForWavesPerEU: 1
; AccumOffset: 4
; Occupancy: 8
; WaveLimiterHint : 0
; COMPUTE_PGM_RSRC2:SCRATCH_EN: 0
; COMPUTE_PGM_RSRC2:USER_SGPR: 6
; COMPUTE_PGM_RSRC2:TRAP_HANDLER: 0
; COMPUTE_PGM_RSRC2:TGID_X_EN: 1
; COMPUTE_PGM_RSRC2:TGID_Y_EN: 0
; COMPUTE_PGM_RSRC2:TGID_Z_EN: 0
; COMPUTE_PGM_RSRC2:TIDIG_COMP_CNT: 0
; COMPUTE_PGM_RSRC3_GFX90A:ACCUM_OFFSET: 0
; COMPUTE_PGM_RSRC3_GFX90A:TG_SPLIT: 0
	.section	.text._ZN7rocprim17ROCPRIM_400000_NS6detail17trampoline_kernelINS0_14default_configENS1_20scan_config_selectorIxEEZZNS1_9scan_implILNS1_25lookback_scan_determinismE0ELb0ELb1ES3_N6thrust23THRUST_200600_302600_NS6detail15normal_iteratorINS9_10device_ptrIxEEEESE_xNS9_4plusIxEExEEDaPvRmT3_T4_T5_mT6_P12ihipStream_tbENKUlT_T0_E_clISt17integral_constantIbLb0EESU_EEDaSP_SQ_EUlSP_E_NS1_11comp_targetILNS1_3genE4ELNS1_11target_archE910ELNS1_3gpuE8ELNS1_3repE0EEENS1_30default_config_static_selectorELNS0_4arch9wavefront6targetE1EEEvT1_,"axG",@progbits,_ZN7rocprim17ROCPRIM_400000_NS6detail17trampoline_kernelINS0_14default_configENS1_20scan_config_selectorIxEEZZNS1_9scan_implILNS1_25lookback_scan_determinismE0ELb0ELb1ES3_N6thrust23THRUST_200600_302600_NS6detail15normal_iteratorINS9_10device_ptrIxEEEESE_xNS9_4plusIxEExEEDaPvRmT3_T4_T5_mT6_P12ihipStream_tbENKUlT_T0_E_clISt17integral_constantIbLb0EESU_EEDaSP_SQ_EUlSP_E_NS1_11comp_targetILNS1_3genE4ELNS1_11target_archE910ELNS1_3gpuE8ELNS1_3repE0EEENS1_30default_config_static_selectorELNS0_4arch9wavefront6targetE1EEEvT1_,comdat
	.protected	_ZN7rocprim17ROCPRIM_400000_NS6detail17trampoline_kernelINS0_14default_configENS1_20scan_config_selectorIxEEZZNS1_9scan_implILNS1_25lookback_scan_determinismE0ELb0ELb1ES3_N6thrust23THRUST_200600_302600_NS6detail15normal_iteratorINS9_10device_ptrIxEEEESE_xNS9_4plusIxEExEEDaPvRmT3_T4_T5_mT6_P12ihipStream_tbENKUlT_T0_E_clISt17integral_constantIbLb0EESU_EEDaSP_SQ_EUlSP_E_NS1_11comp_targetILNS1_3genE4ELNS1_11target_archE910ELNS1_3gpuE8ELNS1_3repE0EEENS1_30default_config_static_selectorELNS0_4arch9wavefront6targetE1EEEvT1_ ; -- Begin function _ZN7rocprim17ROCPRIM_400000_NS6detail17trampoline_kernelINS0_14default_configENS1_20scan_config_selectorIxEEZZNS1_9scan_implILNS1_25lookback_scan_determinismE0ELb0ELb1ES3_N6thrust23THRUST_200600_302600_NS6detail15normal_iteratorINS9_10device_ptrIxEEEESE_xNS9_4plusIxEExEEDaPvRmT3_T4_T5_mT6_P12ihipStream_tbENKUlT_T0_E_clISt17integral_constantIbLb0EESU_EEDaSP_SQ_EUlSP_E_NS1_11comp_targetILNS1_3genE4ELNS1_11target_archE910ELNS1_3gpuE8ELNS1_3repE0EEENS1_30default_config_static_selectorELNS0_4arch9wavefront6targetE1EEEvT1_
	.globl	_ZN7rocprim17ROCPRIM_400000_NS6detail17trampoline_kernelINS0_14default_configENS1_20scan_config_selectorIxEEZZNS1_9scan_implILNS1_25lookback_scan_determinismE0ELb0ELb1ES3_N6thrust23THRUST_200600_302600_NS6detail15normal_iteratorINS9_10device_ptrIxEEEESE_xNS9_4plusIxEExEEDaPvRmT3_T4_T5_mT6_P12ihipStream_tbENKUlT_T0_E_clISt17integral_constantIbLb0EESU_EEDaSP_SQ_EUlSP_E_NS1_11comp_targetILNS1_3genE4ELNS1_11target_archE910ELNS1_3gpuE8ELNS1_3repE0EEENS1_30default_config_static_selectorELNS0_4arch9wavefront6targetE1EEEvT1_
	.p2align	8
	.type	_ZN7rocprim17ROCPRIM_400000_NS6detail17trampoline_kernelINS0_14default_configENS1_20scan_config_selectorIxEEZZNS1_9scan_implILNS1_25lookback_scan_determinismE0ELb0ELb1ES3_N6thrust23THRUST_200600_302600_NS6detail15normal_iteratorINS9_10device_ptrIxEEEESE_xNS9_4plusIxEExEEDaPvRmT3_T4_T5_mT6_P12ihipStream_tbENKUlT_T0_E_clISt17integral_constantIbLb0EESU_EEDaSP_SQ_EUlSP_E_NS1_11comp_targetILNS1_3genE4ELNS1_11target_archE910ELNS1_3gpuE8ELNS1_3repE0EEENS1_30default_config_static_selectorELNS0_4arch9wavefront6targetE1EEEvT1_,@function
_ZN7rocprim17ROCPRIM_400000_NS6detail17trampoline_kernelINS0_14default_configENS1_20scan_config_selectorIxEEZZNS1_9scan_implILNS1_25lookback_scan_determinismE0ELb0ELb1ES3_N6thrust23THRUST_200600_302600_NS6detail15normal_iteratorINS9_10device_ptrIxEEEESE_xNS9_4plusIxEExEEDaPvRmT3_T4_T5_mT6_P12ihipStream_tbENKUlT_T0_E_clISt17integral_constantIbLb0EESU_EEDaSP_SQ_EUlSP_E_NS1_11comp_targetILNS1_3genE4ELNS1_11target_archE910ELNS1_3gpuE8ELNS1_3repE0EEENS1_30default_config_static_selectorELNS0_4arch9wavefront6targetE1EEEvT1_: ; @_ZN7rocprim17ROCPRIM_400000_NS6detail17trampoline_kernelINS0_14default_configENS1_20scan_config_selectorIxEEZZNS1_9scan_implILNS1_25lookback_scan_determinismE0ELb0ELb1ES3_N6thrust23THRUST_200600_302600_NS6detail15normal_iteratorINS9_10device_ptrIxEEEESE_xNS9_4plusIxEExEEDaPvRmT3_T4_T5_mT6_P12ihipStream_tbENKUlT_T0_E_clISt17integral_constantIbLb0EESU_EEDaSP_SQ_EUlSP_E_NS1_11comp_targetILNS1_3genE4ELNS1_11target_archE910ELNS1_3gpuE8ELNS1_3repE0EEENS1_30default_config_static_selectorELNS0_4arch9wavefront6targetE1EEEvT1_
; %bb.0:
	s_load_dwordx8 s[8:15], s[4:5], 0x0
	s_load_dword s1, s[4:5], 0x38
	s_mul_i32 s0, s6, 0x380
	v_lshlrev_b32_e32 v48, 3, v0
	s_waitcnt lgkmcnt(0)
	s_lshl_b64 s[24:25], s[10:11], 3
	s_add_u32 s2, s8, s24
	s_addc_u32 s3, s9, s25
	s_add_i32 s7, s1, -1
	s_mul_i32 s8, s7, 0x380
	s_sub_u32 s33, s14, s8
	s_subb_u32 s34, s15, 0
	s_mov_b32 s1, 0
	s_cmp_lg_u32 s6, s7
	s_cselect_b64 s[14:15], -1, 0
	s_lshl_b64 s[26:27], s[0:1], 3
	s_add_u32 s2, s2, s26
	s_addc_u32 s3, s3, s27
	s_mov_b64 s[0:1], -1
	s_and_b64 vcc, exec, s[14:15]
	s_cbranch_vccz .LBB416_2
; %bb.1:
	v_mov_b32_e32 v1, s3
	v_add_co_u32_e32 v2, vcc, s2, v48
	v_addc_co_u32_e32 v3, vcc, 0, v1, vcc
	flat_load_dwordx2 v[4:5], v[2:3]
	flat_load_dwordx2 v[6:7], v[2:3] offset:1024
	flat_load_dwordx2 v[8:9], v[2:3] offset:2048
	;; [unrolled: 1-line block ×3, first 2 shown]
	v_add_co_u32_e32 v2, vcc, 0x1000, v2
	v_addc_co_u32_e32 v3, vcc, 0, v3, vcc
	flat_load_dwordx2 v[12:13], v[2:3]
	flat_load_dwordx2 v[14:15], v[2:3] offset:1024
	flat_load_dwordx2 v[16:17], v[2:3] offset:2048
	s_mov_b64 s[0:1], 0
	s_waitcnt vmcnt(0) lgkmcnt(0)
	ds_write2st64_b64 v48, v[4:5], v[6:7] offset1:2
	ds_write2st64_b64 v48, v[8:9], v[10:11] offset0:4 offset1:6
	ds_write2st64_b64 v48, v[12:13], v[14:15] offset0:8 offset1:10
	ds_write_b64 v48, v[16:17] offset:6144
	s_waitcnt lgkmcnt(0)
	s_barrier
.LBB416_2:
	s_load_dwordx2 s[30:31], s[4:5], 0x20
	s_load_dwordx2 s[28:29], s[4:5], 0x30
	s_andn2_b64 vcc, exec, s[0:1]
	v_cmp_gt_u32_e64 s[0:1], s33, v0
	s_cbranch_vccnz .LBB416_18
; %bb.3:
	v_pk_mov_b32 v[2:3], s[2:3], s[2:3] op_sel:[0,1]
	flat_load_dwordx2 v[2:3], v[2:3]
	s_waitcnt vmcnt(0) lgkmcnt(0)
	v_mov_b32_e32 v4, v2
	v_mov_b32_e32 v5, v3
	;; [unrolled: 1-line block ×10, first 2 shown]
	v_pk_mov_b32 v[18:19], v[14:15], v[14:15] op_sel:[0,1]
	v_pk_mov_b32 v[16:17], v[12:13], v[12:13] op_sel:[0,1]
	;; [unrolled: 1-line block ×8, first 2 shown]
	s_and_saveexec_b64 s[8:9], s[0:1]
	s_cbranch_execz .LBB416_5
; %bb.4:
	v_mov_b32_e32 v1, s3
	v_add_co_u32_e32 v4, vcc, s2, v48
	v_addc_co_u32_e32 v5, vcc, 0, v1, vcc
	flat_load_dwordx2 v[20:21], v[4:5]
	v_mov_b32_e32 v4, v2
	v_mov_b32_e32 v5, v3
	;; [unrolled: 1-line block ×10, first 2 shown]
	v_pk_mov_b32 v[18:19], v[14:15], v[14:15] op_sel:[0,1]
	v_pk_mov_b32 v[16:17], v[12:13], v[12:13] op_sel:[0,1]
	;; [unrolled: 1-line block ×8, first 2 shown]
	s_waitcnt vmcnt(0) lgkmcnt(0)
	v_pk_mov_b32 v[2:3], v[20:21], v[20:21] op_sel:[0,1]
.LBB416_5:
	s_or_b64 exec, exec, s[8:9]
	v_or_b32_e32 v1, 0x80, v0
	v_cmp_gt_u32_e32 vcc, s33, v1
	s_and_saveexec_b64 s[0:1], vcc
	s_cbranch_execz .LBB416_7
; %bb.6:
	v_mov_b32_e32 v1, s3
	v_add_co_u32_e32 v4, vcc, s2, v48
	v_addc_co_u32_e32 v5, vcc, 0, v1, vcc
	flat_load_dwordx2 v[6:7], v[4:5] offset:1024
.LBB416_7:
	s_or_b64 exec, exec, s[0:1]
	v_or_b32_e32 v1, 0x100, v0
	v_cmp_gt_u32_e32 vcc, s33, v1
	s_and_saveexec_b64 s[0:1], vcc
	s_cbranch_execz .LBB416_9
; %bb.8:
	v_mov_b32_e32 v1, s3
	v_add_co_u32_e32 v4, vcc, s2, v48
	v_addc_co_u32_e32 v5, vcc, 0, v1, vcc
	flat_load_dwordx2 v[8:9], v[4:5] offset:2048
.LBB416_9:
	;; [unrolled: 11-line block ×3, first 2 shown]
	s_or_b64 exec, exec, s[0:1]
	v_or_b32_e32 v1, 0x200, v0
	v_cmp_gt_u32_e32 vcc, s33, v1
	s_and_saveexec_b64 s[0:1], vcc
	s_cbranch_execz .LBB416_13
; %bb.12:
	v_lshlrev_b32_e32 v1, 3, v1
	v_mov_b32_e32 v5, s3
	v_add_co_u32_e32 v4, vcc, s2, v1
	v_addc_co_u32_e32 v5, vcc, 0, v5, vcc
	flat_load_dwordx2 v[12:13], v[4:5]
.LBB416_13:
	s_or_b64 exec, exec, s[0:1]
	v_or_b32_e32 v1, 0x280, v0
	v_cmp_gt_u32_e32 vcc, s33, v1
	s_and_saveexec_b64 s[0:1], vcc
	s_cbranch_execz .LBB416_15
; %bb.14:
	v_lshlrev_b32_e32 v1, 3, v1
	v_mov_b32_e32 v5, s3
	v_add_co_u32_e32 v4, vcc, s2, v1
	v_addc_co_u32_e32 v5, vcc, 0, v5, vcc
	flat_load_dwordx2 v[14:15], v[4:5]
.LBB416_15:
	;; [unrolled: 12-line block ×3, first 2 shown]
	s_or_b64 exec, exec, s[0:1]
	s_waitcnt vmcnt(0) lgkmcnt(0)
	ds_write2st64_b64 v48, v[2:3], v[6:7] offset1:2
	ds_write2st64_b64 v48, v[8:9], v[10:11] offset0:4 offset1:6
	ds_write2st64_b64 v48, v[12:13], v[14:15] offset0:8 offset1:10
	ds_write_b64 v48, v[16:17] offset:6144
	s_waitcnt lgkmcnt(0)
	s_barrier
.LBB416_18:
	v_mul_u32_u24_e32 v49, 7, v0
	v_lshlrev_b32_e32 v1, 3, v49
	s_waitcnt lgkmcnt(0)
	ds_read2_b64 v[2:5], v1 offset1:1
	ds_read2_b64 v[10:13], v1 offset0:2 offset1:3
	ds_read2_b64 v[6:9], v1 offset0:4 offset1:5
	ds_read_b64 v[28:29], v1 offset:48
	s_cmp_lg_u32 s6, 0
	v_lshrrev_b32_e32 v50, 5, v0
	v_cmp_gt_u32_e32 vcc, 64, v0
	s_waitcnt lgkmcnt(0)
	s_barrier
	s_cbranch_scc0 .LBB416_45
; %bb.19:
	v_add_co_u32_e64 v1, s[0:1], v4, v2
	v_addc_co_u32_e64 v14, s[0:1], v5, v3, s[0:1]
	v_add_co_u32_e64 v1, s[0:1], v1, v10
	v_addc_co_u32_e64 v14, s[0:1], v14, v11, s[0:1]
	;; [unrolled: 2-line block ×6, first 2 shown]
	v_add_lshl_u32 v1, v50, v0, 3
	ds_write_b64 v1, v[18:19]
	s_waitcnt lgkmcnt(0)
	s_barrier
	s_and_saveexec_b64 s[8:9], vcc
	s_cbranch_execz .LBB416_23
; %bb.20:
	v_lshlrev_b32_e32 v1, 1, v0
	v_lshrrev_b32_e32 v14, 4, v0
	v_add_lshl_u32 v20, v14, v1, 3
	ds_read2_b64 v[14:17], v20 offset1:1
	v_mbcnt_lo_u32_b32 v1, -1, 0
	s_waitcnt lgkmcnt(0)
	v_add_co_u32_e64 v21, s[0:1], v16, v14
	v_addc_co_u32_e64 v22, s[0:1], v17, v15, s[0:1]
	s_nop 0
	v_mov_b32_dpp v16, v21 row_shr:1 row_mask:0xf bank_mask:0xf
	v_add_co_u32_e64 v16, s[0:1], v21, v16
	v_addc_co_u32_e64 v24, s[0:1], 0, v22, s[0:1]
	v_mbcnt_hi_u32_b32 v17, -1, v1
	v_mov_b32_dpp v23, v22 row_shr:1 row_mask:0xf bank_mask:0xf
	v_add_co_u32_e64 v25, s[0:1], 0, v16
	v_and_b32_e32 v1, 15, v17
	v_addc_co_u32_e64 v23, s[0:1], v23, v24, s[0:1]
	v_cmp_eq_u32_e64 s[0:1], 0, v1
	v_cndmask_b32_e64 v16, v16, v21, s[0:1]
	v_cndmask_b32_e64 v23, v23, v22, s[0:1]
	v_cndmask_b32_e64 v24, v25, v21, s[0:1]
	v_mov_b32_dpp v25, v16 row_shr:2 row_mask:0xf bank_mask:0xf
	v_mov_b32_dpp v26, v23 row_shr:2 row_mask:0xf bank_mask:0xf
	v_add_co_u32_e64 v25, s[0:1], v25, v24
	v_addc_co_u32_e64 v26, s[0:1], v26, v23, s[0:1]
	v_cmp_lt_u32_e64 s[0:1], 1, v1
	v_cndmask_b32_e64 v16, v16, v25, s[0:1]
	v_cndmask_b32_e64 v23, v23, v26, s[0:1]
	v_cndmask_b32_e64 v24, v24, v25, s[0:1]
	v_mov_b32_dpp v25, v16 row_shr:4 row_mask:0xf bank_mask:0xf
	v_mov_b32_dpp v26, v23 row_shr:4 row_mask:0xf bank_mask:0xf
	v_add_co_u32_e64 v25, s[0:1], v25, v24
	v_addc_co_u32_e64 v26, s[0:1], v26, v23, s[0:1]
	v_cmp_lt_u32_e64 s[0:1], 3, v1
	;; [unrolled: 8-line block ×3, first 2 shown]
	v_cndmask_b32_e64 v27, v16, v25, s[0:1]
	v_cndmask_b32_e64 v1, v23, v26, s[0:1]
	;; [unrolled: 1-line block ×3, first 2 shown]
	v_mov_b32_dpp v23, v27 row_bcast:15 row_mask:0xf bank_mask:0xf
	v_mov_b32_dpp v24, v1 row_bcast:15 row_mask:0xf bank_mask:0xf
	v_add_co_u32_e64 v23, s[0:1], v23, v16
	v_and_b32_e32 v26, 16, v17
	v_addc_co_u32_e64 v25, s[0:1], v24, v1, s[0:1]
	v_cmp_eq_u32_e64 s[0:1], 0, v26
	v_cndmask_b32_e64 v26, v25, v1, s[0:1]
	v_cndmask_b32_e64 v24, v23, v27, s[0:1]
	v_cmp_ne_u32_e64 s[2:3], 0, v17
	v_mov_b32_dpp v26, v26 row_bcast:31 row_mask:0xf bank_mask:0xf
	v_mov_b32_dpp v24, v24 row_bcast:31 row_mask:0xf bank_mask:0xf
	s_and_saveexec_b64 s[10:11], s[2:3]
; %bb.21:
	v_cndmask_b32_e64 v1, v25, v1, s[0:1]
	v_cndmask_b32_e64 v16, v23, v16, s[0:1]
	v_cmp_lt_u32_e64 s[0:1], 31, v17
	v_cndmask_b32_e64 v21, 0, v24, s[0:1]
	v_cndmask_b32_e64 v22, 0, v26, s[0:1]
	v_add_co_u32_e64 v21, s[0:1], v21, v16
	v_addc_co_u32_e64 v22, s[0:1], v22, v1, s[0:1]
; %bb.22:
	s_or_b64 exec, exec, s[10:11]
	v_add_u32_e32 v1, -1, v17
	v_and_b32_e32 v16, 64, v17
	v_cmp_lt_i32_e64 s[0:1], v1, v16
	v_cndmask_b32_e64 v1, v1, v17, s[0:1]
	v_lshlrev_b32_e32 v1, 2, v1
	ds_bpermute_b32 v16, v1, v21
	ds_bpermute_b32 v1, v1, v22
	; wave barrier
	s_waitcnt lgkmcnt(1)
	v_add_co_u32_e64 v14, s[0:1], v14, v16
	v_addc_co_u32_e64 v15, s[0:1], 0, v15, s[0:1]
	v_add_co_u32_e64 v14, s[0:1], 0, v14
	s_waitcnt lgkmcnt(0)
	v_addc_co_u32_e64 v1, s[0:1], v15, v1, s[0:1]
	v_cmp_eq_u32_e64 s[0:1], 0, v0
	v_cndmask_b32_e64 v15, v1, v19, s[0:1]
	v_cndmask_b32_e64 v14, v14, v18, s[0:1]
	ds_write_b64 v20, v[14:15]
	; wave barrier
	ds_read_b64 v[16:17], v20 offset:8
	s_waitcnt lgkmcnt(0)
	v_add_co_u32_e64 v14, s[0:1], v16, v14
	v_addc_co_u32_e64 v15, s[0:1], v17, v15, s[0:1]
	ds_write_b64 v20, v[14:15] offset:8
.LBB416_23:
	s_or_b64 exec, exec, s[8:9]
	v_cmp_eq_u32_e64 s[0:1], 0, v0
	v_cmp_ne_u32_e64 s[2:3], 0, v0
	v_pk_mov_b32 v[22:23], 0, 0
	s_waitcnt lgkmcnt(0)
	s_barrier
	s_and_saveexec_b64 s[8:9], s[2:3]
	s_cbranch_execz .LBB416_25
; %bb.24:
	v_add_u32_e32 v1, -1, v0
	v_lshrrev_b32_e32 v14, 5, v1
	v_add_lshl_u32 v1, v14, v1, 3
	ds_read_b64 v[22:23], v1
.LBB416_25:
	s_or_b64 exec, exec, s[8:9]
	s_and_saveexec_b64 s[16:17], vcc
	s_cbranch_execz .LBB416_44
; %bb.26:
	v_mov_b32_e32 v17, 0
	ds_read_b64 v[14:15], v17 offset:1040
	v_mbcnt_lo_u32_b32 v1, -1, 0
	v_mbcnt_hi_u32_b32 v30, -1, v1
	s_mov_b32 s11, 0
	v_cmp_eq_u32_e64 s[2:3], 0, v30
	s_and_saveexec_b64 s[8:9], s[2:3]
	s_cbranch_execz .LBB416_28
; %bb.27:
	s_add_i32 s10, s6, 64
	s_lshl_b64 s[10:11], s[10:11], 4
	s_add_u32 s10, s28, s10
	s_addc_u32 s11, s29, s11
	v_mov_b32_e32 v16, 1
	v_pk_mov_b32 v[18:19], s[10:11], s[10:11] op_sel:[0,1]
	s_waitcnt lgkmcnt(0)
	;;#ASMSTART
	global_store_dwordx4 v[18:19], v[14:17] off	
s_waitcnt vmcnt(0)
	;;#ASMEND
.LBB416_28:
	s_or_b64 exec, exec, s[8:9]
	v_xad_u32 v24, v30, -1, s6
	v_add_u32_e32 v16, 64, v24
	v_lshlrev_b64 v[18:19], 4, v[16:17]
	v_mov_b32_e32 v1, s29
	v_add_co_u32_e32 v26, vcc, s28, v18
	v_addc_co_u32_e32 v27, vcc, v1, v19, vcc
	;;#ASMSTART
	global_load_dwordx4 v[18:21], v[26:27] off glc	
s_waitcnt vmcnt(0)
	;;#ASMEND
	v_and_b32_e32 v1, 0xff, v19
	v_and_b32_e32 v16, 0xff00, v19
	v_or3_b32 v1, 0, v1, v16
	v_or3_b32 v16, v18, 0, 0
	v_and_b32_e32 v18, 0xff000000, v19
	v_and_b32_e32 v19, 0xff0000, v19
	v_or3_b32 v19, v1, v19, v18
	v_or3_b32 v18, v16, 0, 0
	v_cmp_eq_u16_sdwa s[10:11], v20, v17 src0_sel:BYTE_0 src1_sel:DWORD
	s_and_saveexec_b64 s[8:9], s[10:11]
	s_cbranch_execz .LBB416_32
; %bb.29:
	s_mov_b64 s[10:11], 0
	v_mov_b32_e32 v1, 0
.LBB416_30:                             ; =>This Inner Loop Header: Depth=1
	;;#ASMSTART
	global_load_dwordx4 v[18:21], v[26:27] off glc	
s_waitcnt vmcnt(0)
	;;#ASMEND
	v_cmp_ne_u16_sdwa s[18:19], v20, v1 src0_sel:BYTE_0 src1_sel:DWORD
	s_or_b64 s[10:11], s[18:19], s[10:11]
	s_andn2_b64 exec, exec, s[10:11]
	s_cbranch_execnz .LBB416_30
; %bb.31:
	s_or_b64 exec, exec, s[10:11]
.LBB416_32:
	s_or_b64 exec, exec, s[8:9]
	v_and_b32_e32 v32, 63, v30
	v_cmp_ne_u32_e32 vcc, 63, v32
	v_addc_co_u32_e32 v26, vcc, 0, v30, vcc
	v_lshlrev_b32_e32 v33, 2, v26
	ds_bpermute_b32 v26, v33, v18
	v_mov_b32_e32 v1, 2
	v_cmp_eq_u16_sdwa s[8:9], v20, v1 src0_sel:BYTE_0 src1_sel:DWORD
	v_lshlrev_b64 v[16:17], v30, -1
	ds_bpermute_b32 v27, v33, v19
	v_and_b32_e32 v21, s9, v17
	v_or_b32_e32 v21, 0x80000000, v21
	s_waitcnt lgkmcnt(1)
	v_add_co_u32_e32 v26, vcc, v18, v26
	v_and_b32_e32 v25, s8, v16
	v_ffbl_b32_e32 v21, v21
	v_addc_co_u32_e32 v31, vcc, 0, v19, vcc
	v_add_u32_e32 v21, 32, v21
	v_ffbl_b32_e32 v25, v25
	v_add_co_u32_e32 v35, vcc, 0, v26
	v_cmp_gt_u32_e64 s[8:9], 62, v32
	v_min_u32_e32 v21, v25, v21
	s_waitcnt lgkmcnt(0)
	v_addc_co_u32_e32 v27, vcc, v27, v31, vcc
	v_cndmask_b32_e64 v31, 0, 1, s[8:9]
	v_cmp_lt_u32_e32 vcc, v32, v21
	v_lshlrev_b32_e32 v31, 1, v31
	v_cndmask_b32_e32 v26, v18, v26, vcc
	v_add_lshl_u32 v34, v31, v30, 2
	v_cndmask_b32_e32 v27, v19, v27, vcc
	ds_bpermute_b32 v31, v34, v26
	ds_bpermute_b32 v36, v34, v27
	v_cndmask_b32_e32 v37, v18, v35, vcc
	v_add_u32_e32 v35, 2, v32
	v_cmp_gt_u32_e64 s[10:11], 60, v32
	s_waitcnt lgkmcnt(1)
	v_add_co_u32_e64 v31, s[8:9], v31, v37
	s_waitcnt lgkmcnt(0)
	v_addc_co_u32_e64 v36, s[8:9], v36, v27, s[8:9]
	v_cmp_gt_u32_e64 s[8:9], v35, v21
	v_cndmask_b32_e64 v27, v36, v27, s[8:9]
	v_cndmask_b32_e64 v36, 0, 1, s[10:11]
	v_lshlrev_b32_e32 v36, 2, v36
	v_cndmask_b32_e64 v26, v31, v26, s[8:9]
	v_add_lshl_u32 v36, v36, v30, 2
	ds_bpermute_b32 v38, v36, v26
	ds_bpermute_b32 v39, v36, v27
	v_cndmask_b32_e64 v31, v31, v37, s[8:9]
	v_add_u32_e32 v37, 4, v32
	v_cmp_gt_u32_e64 s[10:11], 56, v32
	s_waitcnt lgkmcnt(1)
	v_add_co_u32_e64 v40, s[8:9], v38, v31
	s_waitcnt lgkmcnt(0)
	v_addc_co_u32_e64 v38, s[8:9], v39, v27, s[8:9]
	v_cmp_gt_u32_e64 s[8:9], v37, v21
	v_cndmask_b32_e64 v27, v38, v27, s[8:9]
	v_cndmask_b32_e64 v38, 0, 1, s[10:11]
	v_lshlrev_b32_e32 v38, 3, v38
	v_cndmask_b32_e64 v26, v40, v26, s[8:9]
	v_add_lshl_u32 v38, v38, v30, 2
	ds_bpermute_b32 v41, v38, v26
	v_cndmask_b32_e64 v31, v40, v31, s[8:9]
	ds_bpermute_b32 v40, v38, v27
	v_add_u32_e32 v39, 8, v32
	v_cmp_gt_u32_e64 s[10:11], 48, v32
	s_waitcnt lgkmcnt(1)
	v_add_co_u32_e64 v41, s[8:9], v41, v31
	s_waitcnt lgkmcnt(0)
	v_addc_co_u32_e64 v40, s[8:9], v40, v27, s[8:9]
	v_cmp_gt_u32_e64 s[8:9], v39, v21
	v_cndmask_b32_e64 v27, v40, v27, s[8:9]
	v_cndmask_b32_e64 v40, 0, 1, s[10:11]
	v_lshlrev_b32_e32 v40, 4, v40
	v_cndmask_b32_e64 v26, v41, v26, s[8:9]
	v_add_lshl_u32 v40, v40, v30, 2
	ds_bpermute_b32 v42, v40, v26
	ds_bpermute_b32 v43, v40, v27
	v_cndmask_b32_e64 v31, v41, v31, s[8:9]
	v_cmp_gt_u32_e64 s[10:11], 32, v32
	v_add_u32_e32 v41, 16, v32
	s_waitcnt lgkmcnt(1)
	v_add_co_u32_e64 v44, s[8:9], v42, v31
	s_waitcnt lgkmcnt(0)
	v_addc_co_u32_e64 v43, s[8:9], v43, v27, s[8:9]
	v_cndmask_b32_e64 v42, 0, 1, s[10:11]
	v_cmp_gt_u32_e64 s[8:9], v41, v21
	v_lshlrev_b32_e32 v42, 5, v42
	v_cndmask_b32_e64 v26, v44, v26, s[8:9]
	v_add_lshl_u32 v42, v42, v30, 2
	v_cndmask_b32_e64 v27, v43, v27, s[8:9]
	ds_bpermute_b32 v26, v42, v26
	ds_bpermute_b32 v30, v42, v27
	v_add_u32_e32 v43, 32, v32
	v_cndmask_b32_e64 v31, v44, v31, s[8:9]
	v_cmp_le_u32_e64 s[8:9], v43, v21
	s_waitcnt lgkmcnt(1)
	v_cndmask_b32_e64 v26, 0, v26, s[8:9]
	s_waitcnt lgkmcnt(0)
	v_cndmask_b32_e64 v21, 0, v30, s[8:9]
	v_add_co_u32_e64 v26, s[8:9], v26, v31
	v_addc_co_u32_e64 v21, s[8:9], v21, v27, s[8:9]
	v_mov_b32_e32 v25, 0
	v_cndmask_b32_e32 v19, v19, v21, vcc
	v_cndmask_b32_e32 v18, v18, v26, vcc
	s_branch .LBB416_34
.LBB416_33:                             ;   in Loop: Header=BB416_34 Depth=1
	s_or_b64 exec, exec, s[8:9]
	v_cmp_eq_u16_sdwa s[8:9], v20, v1 src0_sel:BYTE_0 src1_sel:DWORD
	v_and_b32_e32 v21, s9, v17
	v_or_b32_e32 v21, 0x80000000, v21
	ds_bpermute_b32 v31, v33, v18
	v_and_b32_e32 v30, s8, v16
	v_ffbl_b32_e32 v21, v21
	v_add_u32_e32 v21, 32, v21
	v_ffbl_b32_e32 v30, v30
	v_min_u32_e32 v21, v30, v21
	ds_bpermute_b32 v30, v33, v19
	s_waitcnt lgkmcnt(1)
	v_add_co_u32_e32 v31, vcc, v18, v31
	v_addc_co_u32_e32 v44, vcc, 0, v19, vcc
	v_add_co_u32_e32 v45, vcc, 0, v31
	s_waitcnt lgkmcnt(0)
	v_addc_co_u32_e32 v30, vcc, v30, v44, vcc
	v_cmp_lt_u32_e32 vcc, v32, v21
	v_cndmask_b32_e32 v31, v18, v31, vcc
	ds_bpermute_b32 v44, v34, v31
	v_cndmask_b32_e32 v30, v19, v30, vcc
	ds_bpermute_b32 v46, v34, v30
	v_cndmask_b32_e32 v45, v18, v45, vcc
	v_subrev_u32_e32 v24, 64, v24
	s_waitcnt lgkmcnt(1)
	v_add_co_u32_e64 v44, s[8:9], v44, v45
	s_waitcnt lgkmcnt(0)
	v_addc_co_u32_e64 v46, s[8:9], v46, v30, s[8:9]
	v_cmp_gt_u32_e64 s[8:9], v35, v21
	v_cndmask_b32_e64 v31, v44, v31, s[8:9]
	ds_bpermute_b32 v47, v36, v31
	v_cndmask_b32_e64 v30, v46, v30, s[8:9]
	ds_bpermute_b32 v46, v36, v30
	v_cndmask_b32_e64 v44, v44, v45, s[8:9]
	s_waitcnt lgkmcnt(1)
	v_add_co_u32_e64 v45, s[8:9], v47, v44
	s_waitcnt lgkmcnt(0)
	v_addc_co_u32_e64 v46, s[8:9], v46, v30, s[8:9]
	v_cmp_gt_u32_e64 s[8:9], v37, v21
	v_cndmask_b32_e64 v31, v45, v31, s[8:9]
	ds_bpermute_b32 v47, v38, v31
	v_cndmask_b32_e64 v30, v46, v30, s[8:9]
	ds_bpermute_b32 v46, v38, v30
	v_cndmask_b32_e64 v44, v45, v44, s[8:9]
	;; [unrolled: 10-line block ×3, first 2 shown]
	s_waitcnt lgkmcnt(1)
	v_add_co_u32_e64 v45, s[8:9], v47, v44
	s_waitcnt lgkmcnt(0)
	v_addc_co_u32_e64 v46, s[8:9], v46, v30, s[8:9]
	v_cmp_gt_u32_e64 s[8:9], v41, v21
	v_cndmask_b32_e64 v31, v45, v31, s[8:9]
	v_cndmask_b32_e64 v30, v46, v30, s[8:9]
	ds_bpermute_b32 v31, v42, v31
	ds_bpermute_b32 v46, v42, v30
	v_cndmask_b32_e64 v44, v45, v44, s[8:9]
	v_cmp_le_u32_e64 s[8:9], v43, v21
	s_waitcnt lgkmcnt(1)
	v_cndmask_b32_e64 v31, 0, v31, s[8:9]
	s_waitcnt lgkmcnt(0)
	v_cndmask_b32_e64 v21, 0, v46, s[8:9]
	v_add_co_u32_e64 v31, s[8:9], v31, v44
	v_addc_co_u32_e64 v21, s[8:9], v21, v30, s[8:9]
	v_cndmask_b32_e32 v18, v18, v31, vcc
	v_cndmask_b32_e32 v19, v19, v21, vcc
	v_add_co_u32_e32 v18, vcc, v18, v26
	v_addc_co_u32_e32 v19, vcc, v19, v27, vcc
.LBB416_34:                             ; =>This Loop Header: Depth=1
                                        ;     Child Loop BB416_37 Depth 2
	v_cmp_ne_u16_sdwa s[8:9], v20, v1 src0_sel:BYTE_0 src1_sel:DWORD
	v_cndmask_b32_e64 v20, 0, 1, s[8:9]
	;;#ASMSTART
	;;#ASMEND
	v_cmp_ne_u32_e32 vcc, 0, v20
	s_cmp_lg_u64 vcc, exec
	v_pk_mov_b32 v[26:27], v[18:19], v[18:19] op_sel:[0,1]
	s_cbranch_scc1 .LBB416_39
; %bb.35:                               ;   in Loop: Header=BB416_34 Depth=1
	v_lshlrev_b64 v[18:19], 4, v[24:25]
	v_mov_b32_e32 v20, s29
	v_add_co_u32_e32 v30, vcc, s28, v18
	v_addc_co_u32_e32 v31, vcc, v20, v19, vcc
	;;#ASMSTART
	global_load_dwordx4 v[18:21], v[30:31] off glc	
s_waitcnt vmcnt(0)
	;;#ASMEND
	v_and_b32_e32 v21, 0xff, v19
	v_and_b32_e32 v44, 0xff00, v19
	v_or3_b32 v21, 0, v21, v44
	v_or3_b32 v18, v18, 0, 0
	v_and_b32_e32 v44, 0xff000000, v19
	v_and_b32_e32 v19, 0xff0000, v19
	v_or3_b32 v19, v21, v19, v44
	v_or3_b32 v18, v18, 0, 0
	v_cmp_eq_u16_sdwa s[10:11], v20, v25 src0_sel:BYTE_0 src1_sel:DWORD
	s_and_saveexec_b64 s[8:9], s[10:11]
	s_cbranch_execz .LBB416_33
; %bb.36:                               ;   in Loop: Header=BB416_34 Depth=1
	s_mov_b64 s[10:11], 0
.LBB416_37:                             ;   Parent Loop BB416_34 Depth=1
                                        ; =>  This Inner Loop Header: Depth=2
	;;#ASMSTART
	global_load_dwordx4 v[18:21], v[30:31] off glc	
s_waitcnt vmcnt(0)
	;;#ASMEND
	v_cmp_ne_u16_sdwa s[18:19], v20, v25 src0_sel:BYTE_0 src1_sel:DWORD
	s_or_b64 s[10:11], s[18:19], s[10:11]
	s_andn2_b64 exec, exec, s[10:11]
	s_cbranch_execnz .LBB416_37
; %bb.38:                               ;   in Loop: Header=BB416_34 Depth=1
	s_or_b64 exec, exec, s[10:11]
	s_branch .LBB416_33
.LBB416_39:                             ;   in Loop: Header=BB416_34 Depth=1
                                        ; implicit-def: $vgpr18_vgpr19
                                        ; implicit-def: $vgpr20
	s_cbranch_execz .LBB416_34
; %bb.40:
	s_and_saveexec_b64 s[8:9], s[2:3]
	s_cbranch_execz .LBB416_42
; %bb.41:
	s_add_i32 s2, s6, 64
	s_mov_b32 s3, 0
	s_lshl_b64 s[2:3], s[2:3], 4
	s_add_u32 s2, s28, s2
	v_add_co_u32_e32 v14, vcc, v26, v14
	s_addc_u32 s3, s29, s3
	v_addc_co_u32_e32 v15, vcc, v27, v15, vcc
	v_mov_b32_e32 v16, 2
	v_mov_b32_e32 v17, 0
	v_pk_mov_b32 v[18:19], s[2:3], s[2:3] op_sel:[0,1]
	;;#ASMSTART
	global_store_dwordx4 v[18:19], v[14:17] off	
s_waitcnt vmcnt(0)
	;;#ASMEND
.LBB416_42:
	s_or_b64 exec, exec, s[8:9]
	s_and_b64 exec, exec, s[0:1]
	s_cbranch_execz .LBB416_44
; %bb.43:
	v_mov_b32_e32 v1, 0
	ds_write_b64 v1, v[26:27]
.LBB416_44:
	s_or_b64 exec, exec, s[16:17]
	v_mov_b32_e32 v1, 0
	s_waitcnt lgkmcnt(0)
	s_barrier
	ds_read_b64 v[14:15], v1
	v_add_co_u32_e32 v1, vcc, v22, v2
	v_addc_co_u32_e32 v16, vcc, v23, v3, vcc
	s_waitcnt lgkmcnt(0)
	v_add_co_u32_e32 v14, vcc, v1, v14
	v_addc_co_u32_e32 v15, vcc, v16, v15, vcc
	v_add_co_u32_e32 v42, vcc, v14, v4
	v_addc_co_u32_e32 v43, vcc, v15, v5, vcc
	;; [unrolled: 2-line block ×7, first 2 shown]
	s_load_dwordx8 s[16:23], s[4:5], 0x40
	s_branch .LBB416_71
.LBB416_45:
                                        ; implicit-def: $vgpr26_vgpr27
                                        ; implicit-def: $vgpr46_vgpr47
                                        ; implicit-def: $vgpr44_vgpr45
                                        ; implicit-def: $vgpr42_vgpr43
                                        ; implicit-def: $vgpr22_vgpr23_vgpr24_vgpr25
                                        ; implicit-def: $vgpr18_vgpr19_vgpr20_vgpr21
                                        ; implicit-def: $vgpr14_vgpr15_vgpr16_vgpr17
	s_load_dwordx8 s[16:23], s[4:5], 0x40
	s_cbranch_execz .LBB416_71
; %bb.46:
	s_waitcnt lgkmcnt(0)
	s_cmp_lg_u64 s[20:21], 0
	s_cselect_b64 s[6:7], -1, 0
	s_cmp_eq_u64 s[20:21], 0
	v_cmp_eq_u32_e64 s[2:3], 0, v0
	s_cselect_b64 s[4:5], -1, 0
	v_cmp_ne_u32_e64 s[0:1], 0, v0
	s_and_b64 s[8:9], s[2:3], s[6:7]
	s_and_saveexec_b64 s[6:7], s[8:9]
	s_cbranch_execz .LBB416_48
; %bb.47:
	v_mov_b32_e32 v1, 0
	global_load_dwordx2 v[14:15], v1, s[16:17]
	s_waitcnt vmcnt(0)
	v_add_co_u32_e32 v2, vcc, v14, v2
	v_addc_co_u32_e32 v3, vcc, v15, v3, vcc
.LBB416_48:
	s_or_b64 exec, exec, s[6:7]
	v_add_co_u32_e32 v30, vcc, v4, v2
	v_addc_co_u32_e32 v31, vcc, v5, v3, vcc
	v_add_co_u32_e32 v32, vcc, v30, v10
	v_addc_co_u32_e32 v33, vcc, v31, v11, vcc
	;; [unrolled: 2-line block ×6, first 2 shown]
	v_add_lshl_u32 v1, v50, v0, 3
	s_andn2_b64 vcc, exec, s[4:5]
	v_cmp_gt_u32_e64 s[4:5], 64, v0
	ds_write_b64 v1, v[40:41]
	s_waitcnt lgkmcnt(0)
	s_cbranch_vccnz .LBB416_58
; %bb.49:
	s_barrier
	s_and_saveexec_b64 s[8:9], s[4:5]
	s_cbranch_execz .LBB416_53
; %bb.50:
	v_lshlrev_b32_e32 v1, 1, v0
	v_lshrrev_b32_e32 v14, 4, v0
	v_add_lshl_u32 v18, v14, v1, 3
	ds_read2_b64 v[14:17], v18 offset1:1
	v_mbcnt_lo_u32_b32 v1, -1, 0
	s_waitcnt lgkmcnt(0)
	v_add_co_u32_e32 v19, vcc, v16, v14
	v_addc_co_u32_e32 v20, vcc, v17, v15, vcc
	s_nop 0
	v_mov_b32_dpp v16, v19 row_shr:1 row_mask:0xf bank_mask:0xf
	v_add_co_u32_e32 v16, vcc, v19, v16
	v_addc_co_u32_e32 v22, vcc, 0, v20, vcc
	v_mbcnt_hi_u32_b32 v17, -1, v1
	v_mov_b32_dpp v21, v20 row_shr:1 row_mask:0xf bank_mask:0xf
	v_add_co_u32_e32 v23, vcc, 0, v16
	v_and_b32_e32 v1, 15, v17
	v_addc_co_u32_e32 v21, vcc, v21, v22, vcc
	v_cmp_eq_u32_e32 vcc, 0, v1
	v_cndmask_b32_e32 v16, v16, v19, vcc
	v_cndmask_b32_e32 v21, v21, v20, vcc
	v_cndmask_b32_e32 v22, v23, v19, vcc
	v_mov_b32_dpp v23, v16 row_shr:2 row_mask:0xf bank_mask:0xf
	v_mov_b32_dpp v24, v21 row_shr:2 row_mask:0xf bank_mask:0xf
	v_add_co_u32_e32 v23, vcc, v23, v22
	v_addc_co_u32_e32 v24, vcc, v24, v21, vcc
	v_cmp_lt_u32_e32 vcc, 1, v1
	v_cndmask_b32_e32 v16, v16, v23, vcc
	v_cndmask_b32_e32 v21, v21, v24, vcc
	v_cndmask_b32_e32 v22, v22, v23, vcc
	v_mov_b32_dpp v23, v16 row_shr:4 row_mask:0xf bank_mask:0xf
	v_mov_b32_dpp v24, v21 row_shr:4 row_mask:0xf bank_mask:0xf
	v_add_co_u32_e32 v23, vcc, v23, v22
	v_addc_co_u32_e32 v24, vcc, v24, v21, vcc
	v_cmp_lt_u32_e32 vcc, 3, v1
	;; [unrolled: 8-line block ×3, first 2 shown]
	v_cndmask_b32_e32 v25, v16, v23, vcc
	v_cndmask_b32_e32 v1, v21, v24, vcc
	;; [unrolled: 1-line block ×3, first 2 shown]
	v_mov_b32_dpp v21, v25 row_bcast:15 row_mask:0xf bank_mask:0xf
	v_mov_b32_dpp v22, v1 row_bcast:15 row_mask:0xf bank_mask:0xf
	v_add_co_u32_e32 v21, vcc, v21, v16
	v_and_b32_e32 v24, 16, v17
	v_addc_co_u32_e32 v23, vcc, v22, v1, vcc
	v_cmp_eq_u32_e32 vcc, 0, v24
	v_cndmask_b32_e32 v24, v23, v1, vcc
	v_cndmask_b32_e32 v22, v21, v25, vcc
	v_cmp_ne_u32_e64 s[6:7], 0, v17
	v_mov_b32_dpp v24, v24 row_bcast:31 row_mask:0xf bank_mask:0xf
	v_mov_b32_dpp v22, v22 row_bcast:31 row_mask:0xf bank_mask:0xf
	s_and_saveexec_b64 s[10:11], s[6:7]
; %bb.51:
	v_cndmask_b32_e32 v1, v23, v1, vcc
	v_cndmask_b32_e32 v16, v21, v16, vcc
	v_cmp_lt_u32_e32 vcc, 31, v17
	v_cndmask_b32_e32 v19, 0, v22, vcc
	v_cndmask_b32_e32 v20, 0, v24, vcc
	v_add_co_u32_e32 v19, vcc, v19, v16
	v_addc_co_u32_e32 v20, vcc, v20, v1, vcc
; %bb.52:
	s_or_b64 exec, exec, s[10:11]
	v_add_u32_e32 v1, -1, v17
	v_and_b32_e32 v16, 64, v17
	v_cmp_lt_i32_e32 vcc, v1, v16
	v_cndmask_b32_e32 v1, v1, v17, vcc
	v_lshlrev_b32_e32 v1, 2, v1
	ds_bpermute_b32 v16, v1, v19
	ds_bpermute_b32 v1, v1, v20
	; wave barrier
	s_waitcnt lgkmcnt(1)
	v_add_co_u32_e32 v14, vcc, v14, v16
	v_addc_co_u32_e32 v15, vcc, 0, v15, vcc
	v_add_co_u32_e32 v14, vcc, 0, v14
	s_waitcnt lgkmcnt(0)
	v_addc_co_u32_e32 v1, vcc, v15, v1, vcc
	v_cndmask_b32_e64 v15, v1, v41, s[2:3]
	v_cndmask_b32_e64 v14, v14, v40, s[2:3]
	ds_write_b64 v18, v[14:15]
	; wave barrier
	ds_read_b64 v[16:17], v18 offset:8
	s_waitcnt lgkmcnt(0)
	v_add_co_u32_e32 v14, vcc, v16, v14
	v_addc_co_u32_e32 v15, vcc, v17, v15, vcc
	ds_write_b64 v18, v[14:15] offset:8
.LBB416_53:
	s_or_b64 exec, exec, s[8:9]
	v_pk_mov_b32 v[26:27], v[40:41], v[40:41] op_sel:[0,1]
	s_waitcnt lgkmcnt(0)
	s_barrier
	s_and_saveexec_b64 s[6:7], s[0:1]
	s_cbranch_execz .LBB416_55
; %bb.54:
	v_add_u32_e32 v1, -1, v0
	v_lshrrev_b32_e32 v14, 5, v1
	v_add_lshl_u32 v1, v14, v1, 3
	ds_read_b64 v[26:27], v1
.LBB416_55:
	s_or_b64 exec, exec, s[6:7]
	v_pk_mov_b32 v[16:17], v[38:39], v[38:39] op_sel:[0,1]
	v_pk_mov_b32 v[20:21], v[36:37], v[36:37] op_sel:[0,1]
	v_pk_mov_b32 v[22:23], v[34:35], v[34:35] op_sel:[0,1]
	v_pk_mov_b32 v[18:19], v[32:33], v[32:33] op_sel:[0,1]
	v_pk_mov_b32 v[24:25], v[30:31], v[30:31] op_sel:[0,1]
	v_pk_mov_b32 v[14:15], v[2:3], v[2:3] op_sel:[0,1]
	s_and_saveexec_b64 s[6:7], s[0:1]
	s_cbranch_execz .LBB416_57
; %bb.56:
	s_waitcnt lgkmcnt(0)
	v_add_co_u32_e32 v14, vcc, v26, v2
	v_addc_co_u32_e32 v15, vcc, v27, v3, vcc
	v_add_co_u32_e32 v24, vcc, v14, v4
	v_addc_co_u32_e32 v25, vcc, v15, v5, vcc
	;; [unrolled: 2-line block ×6, first 2 shown]
	;;#ASMSTART
	;;#ASMEND
.LBB416_57:
	s_or_b64 exec, exec, s[6:7]
	v_mov_b32_e32 v1, s31
	v_add_co_u32_e32 v14, vcc, s30, v14
	v_addc_co_u32_e32 v15, vcc, v15, v1, vcc
	v_add_co_u32_e32 v42, vcc, s30, v24
	v_addc_co_u32_e32 v43, vcc, v25, v1, vcc
	;; [unrolled: 2-line block ×6, first 2 shown]
	s_waitcnt lgkmcnt(0)
	v_add_co_u32_e32 v26, vcc, v46, v28
	v_addc_co_u32_e32 v27, vcc, v47, v29, vcc
	s_branch .LBB416_68
.LBB416_58:
                                        ; implicit-def: $vgpr26_vgpr27
                                        ; implicit-def: $vgpr46_vgpr47
                                        ; implicit-def: $vgpr44_vgpr45
                                        ; implicit-def: $vgpr42_vgpr43
                                        ; implicit-def: $vgpr22_vgpr23_vgpr24_vgpr25
                                        ; implicit-def: $vgpr18_vgpr19_vgpr20_vgpr21
                                        ; implicit-def: $vgpr14_vgpr15_vgpr16_vgpr17
	s_cbranch_execz .LBB416_68
; %bb.59:
	s_barrier
	s_and_saveexec_b64 s[6:7], s[4:5]
	s_cbranch_execz .LBB416_63
; %bb.60:
	v_lshlrev_b32_e32 v1, 1, v0
	v_lshrrev_b32_e32 v14, 4, v0
	v_add_lshl_u32 v18, v14, v1, 3
	ds_read2_b64 v[14:17], v18 offset1:1
	v_mbcnt_lo_u32_b32 v1, -1, 0
	s_waitcnt lgkmcnt(0)
	v_add_co_u32_e32 v19, vcc, v16, v14
	v_addc_co_u32_e32 v20, vcc, v17, v15, vcc
	s_nop 0
	v_mov_b32_dpp v16, v19 row_shr:1 row_mask:0xf bank_mask:0xf
	v_add_co_u32_e32 v16, vcc, v19, v16
	v_addc_co_u32_e32 v22, vcc, 0, v20, vcc
	v_mbcnt_hi_u32_b32 v17, -1, v1
	v_mov_b32_dpp v21, v20 row_shr:1 row_mask:0xf bank_mask:0xf
	v_add_co_u32_e32 v23, vcc, 0, v16
	v_and_b32_e32 v1, 15, v17
	v_addc_co_u32_e32 v21, vcc, v21, v22, vcc
	v_cmp_eq_u32_e32 vcc, 0, v1
	v_cndmask_b32_e32 v16, v16, v19, vcc
	v_cndmask_b32_e32 v21, v21, v20, vcc
	v_cndmask_b32_e32 v22, v23, v19, vcc
	v_mov_b32_dpp v23, v16 row_shr:2 row_mask:0xf bank_mask:0xf
	v_mov_b32_dpp v24, v21 row_shr:2 row_mask:0xf bank_mask:0xf
	v_add_co_u32_e32 v23, vcc, v23, v22
	v_addc_co_u32_e32 v24, vcc, v24, v21, vcc
	v_cmp_lt_u32_e32 vcc, 1, v1
	v_cndmask_b32_e32 v16, v16, v23, vcc
	v_cndmask_b32_e32 v21, v21, v24, vcc
	v_cndmask_b32_e32 v22, v22, v23, vcc
	v_mov_b32_dpp v23, v16 row_shr:4 row_mask:0xf bank_mask:0xf
	v_mov_b32_dpp v24, v21 row_shr:4 row_mask:0xf bank_mask:0xf
	v_add_co_u32_e32 v23, vcc, v23, v22
	v_addc_co_u32_e32 v24, vcc, v24, v21, vcc
	v_cmp_lt_u32_e32 vcc, 3, v1
	;; [unrolled: 8-line block ×3, first 2 shown]
	v_cndmask_b32_e32 v25, v16, v23, vcc
	v_cndmask_b32_e32 v1, v21, v24, vcc
	v_cndmask_b32_e32 v16, v22, v23, vcc
	v_mov_b32_dpp v21, v25 row_bcast:15 row_mask:0xf bank_mask:0xf
	v_mov_b32_dpp v22, v1 row_bcast:15 row_mask:0xf bank_mask:0xf
	v_add_co_u32_e32 v21, vcc, v21, v16
	v_and_b32_e32 v24, 16, v17
	v_addc_co_u32_e32 v23, vcc, v22, v1, vcc
	v_cmp_eq_u32_e32 vcc, 0, v24
	v_cndmask_b32_e32 v24, v23, v1, vcc
	v_cndmask_b32_e32 v22, v21, v25, vcc
	v_cmp_ne_u32_e64 s[4:5], 0, v17
	v_mov_b32_dpp v24, v24 row_bcast:31 row_mask:0xf bank_mask:0xf
	v_mov_b32_dpp v22, v22 row_bcast:31 row_mask:0xf bank_mask:0xf
	s_and_saveexec_b64 s[8:9], s[4:5]
; %bb.61:
	v_cndmask_b32_e32 v1, v23, v1, vcc
	v_cndmask_b32_e32 v16, v21, v16, vcc
	v_cmp_lt_u32_e32 vcc, 31, v17
	v_cndmask_b32_e32 v19, 0, v22, vcc
	v_cndmask_b32_e32 v20, 0, v24, vcc
	v_add_co_u32_e32 v19, vcc, v19, v16
	v_addc_co_u32_e32 v20, vcc, v20, v1, vcc
; %bb.62:
	s_or_b64 exec, exec, s[8:9]
	v_add_u32_e32 v1, -1, v17
	v_and_b32_e32 v16, 64, v17
	v_cmp_lt_i32_e32 vcc, v1, v16
	v_cndmask_b32_e32 v1, v1, v17, vcc
	v_lshlrev_b32_e32 v1, 2, v1
	ds_bpermute_b32 v16, v1, v19
	ds_bpermute_b32 v1, v1, v20
	; wave barrier
	s_waitcnt lgkmcnt(1)
	v_add_co_u32_e32 v14, vcc, v14, v16
	v_addc_co_u32_e32 v15, vcc, 0, v15, vcc
	v_add_co_u32_e32 v14, vcc, 0, v14
	s_waitcnt lgkmcnt(0)
	v_addc_co_u32_e32 v1, vcc, v15, v1, vcc
	v_cndmask_b32_e64 v15, v1, v41, s[2:3]
	v_cndmask_b32_e64 v14, v14, v40, s[2:3]
	ds_write_b64 v18, v[14:15]
	; wave barrier
	ds_read_b64 v[16:17], v18 offset:8
	s_waitcnt lgkmcnt(0)
	v_add_co_u32_e32 v14, vcc, v16, v14
	v_addc_co_u32_e32 v15, vcc, v17, v15, vcc
	ds_write_b64 v18, v[14:15] offset:8
.LBB416_63:
	s_or_b64 exec, exec, s[6:7]
	v_pk_mov_b32 v[14:15], v[40:41], v[40:41] op_sel:[0,1]
	s_waitcnt lgkmcnt(0)
	s_barrier
	s_and_saveexec_b64 s[2:3], s[0:1]
	s_cbranch_execz .LBB416_65
; %bb.64:
	v_add_u32_e32 v1, -1, v0
	v_lshrrev_b32_e32 v14, 5, v1
	v_add_lshl_u32 v1, v14, v1, 3
	ds_read_b64 v[14:15], v1
.LBB416_65:
	s_or_b64 exec, exec, s[2:3]
	s_and_saveexec_b64 s[2:3], s[0:1]
	s_cbranch_execz .LBB416_67
; %bb.66:
	s_waitcnt lgkmcnt(0)
	v_add_co_u32_e32 v2, vcc, v14, v2
	v_addc_co_u32_e32 v3, vcc, v15, v3, vcc
	v_add_co_u32_e32 v30, vcc, v2, v4
	v_addc_co_u32_e32 v31, vcc, v3, v5, vcc
	;; [unrolled: 2-line block ×7, first 2 shown]
	;;#ASMSTART
	;;#ASMEND
.LBB416_67:
	s_or_b64 exec, exec, s[2:3]
	v_pk_mov_b32 v[26:27], v[40:41], v[40:41] op_sel:[0,1]
	v_pk_mov_b32 v[46:47], v[38:39], v[38:39] op_sel:[0,1]
	;; [unrolled: 1-line block ×6, first 2 shown]
	s_waitcnt lgkmcnt(0)
	v_pk_mov_b32 v[14:15], v[2:3], v[2:3] op_sel:[0,1]
.LBB416_68:
	s_movk_i32 s0, 0x7f
	v_cmp_eq_u32_e32 vcc, s0, v0
	s_and_saveexec_b64 s[0:1], vcc
	s_cbranch_execz .LBB416_70
; %bb.69:
	s_add_u32 s2, s28, 0x400
	s_addc_u32 s3, s29, 0
	v_mov_b32_e32 v28, 2
	v_mov_b32_e32 v29, 0
	v_pk_mov_b32 v[2:3], s[2:3], s[2:3] op_sel:[0,1]
	;;#ASMSTART
	global_store_dwordx4 v[2:3], v[26:29] off	
s_waitcnt vmcnt(0)
	;;#ASMEND
.LBB416_70:
	s_or_b64 exec, exec, s[0:1]
.LBB416_71:
	s_add_u32 s0, s12, s24
	s_addc_u32 s1, s13, s25
	s_add_u32 s2, s0, s26
	s_addc_u32 s3, s1, s27
	s_mov_b64 s[0:1], -1
	s_and_b64 vcc, exec, s[14:15]
	v_mul_u32_u24_e32 v1, 56, v0
	s_waitcnt lgkmcnt(0)
	s_barrier
	s_cbranch_vccz .LBB416_73
; %bb.72:
	v_mul_i32_i24_e32 v2, 0xffffffd0, v0
	v_mad_u32_u24 v16, v0, 56, v2
	ds_write2_b64 v1, v[14:15], v[42:43] offset1:1
	ds_write2_b64 v1, v[18:19], v[44:45] offset0:2 offset1:3
	ds_write2_b64 v1, v[22:23], v[46:47] offset0:4 offset1:5
	ds_write_b64 v1, v[26:27] offset:48
	s_waitcnt lgkmcnt(0)
	s_barrier
	ds_read2st64_b64 v[2:5], v16 offset1:2
	ds_read2st64_b64 v[6:9], v16 offset0:4 offset1:6
	ds_read2st64_b64 v[10:13], v16 offset0:8 offset1:10
	ds_read_b64 v[16:17], v16 offset:6144
	v_mov_b32_e32 v21, s3
	v_add_co_u32_e32 v20, vcc, s2, v48
	v_addc_co_u32_e32 v21, vcc, 0, v21, vcc
	s_waitcnt lgkmcnt(3)
	flat_store_dwordx2 v[20:21], v[2:3]
	flat_store_dwordx2 v[20:21], v[4:5] offset:1024
	s_waitcnt lgkmcnt(0)
	flat_store_dwordx2 v[20:21], v[6:7] offset:2048
	flat_store_dwordx2 v[20:21], v[8:9] offset:3072
	v_add_co_u32_e32 v2, vcc, 0x1000, v20
	v_addc_co_u32_e32 v3, vcc, 0, v21, vcc
	flat_store_dwordx2 v[2:3], v[10:11]
	flat_store_dwordx2 v[2:3], v[12:13] offset:1024
	flat_store_dwordx2 v[2:3], v[16:17] offset:2048
	s_mov_b64 s[0:1], 0
.LBB416_73:
	s_andn2_b64 vcc, exec, s[0:1]
	s_cbranch_vccnz .LBB416_112
; %bb.74:
	v_mul_i32_i24_e32 v2, 0xffffffd0, v0
	ds_write2_b64 v1, v[14:15], v[42:43] offset1:1
	ds_write2_b64 v1, v[18:19], v[44:45] offset0:2 offset1:3
	ds_write2_b64 v1, v[22:23], v[46:47] offset0:4 offset1:5
	ds_write_b64 v1, v[26:27] offset:48
	v_mad_u32_u24 v14, v0, 56, v2
	s_waitcnt lgkmcnt(0)
	s_barrier
	ds_read2st64_b64 v[2:5], v14 offset1:2
	ds_read2st64_b64 v[6:9], v14 offset0:4 offset1:6
	ds_read2st64_b64 v[10:13], v14 offset0:8 offset1:10
	ds_read_b64 v[14:15], v14 offset:6144
	v_mov_b32_e32 v17, s3
	v_add_co_u32_e32 v16, vcc, s2, v48
	v_addc_co_u32_e32 v17, vcc, 0, v17, vcc
	v_mov_b32_e32 v1, 0
	v_cmp_gt_u32_e32 vcc, s33, v0
	s_and_saveexec_b64 s[0:1], vcc
	s_cbranch_execz .LBB416_76
; %bb.75:
	s_waitcnt lgkmcnt(0)
	flat_store_dwordx2 v[16:17], v[2:3]
.LBB416_76:
	s_or_b64 exec, exec, s[0:1]
	v_or_b32_e32 v18, 0x80, v0
	v_cmp_gt_u32_e32 vcc, s33, v18
	s_and_saveexec_b64 s[0:1], vcc
	s_cbranch_execz .LBB416_78
; %bb.77:
	s_waitcnt lgkmcnt(0)
	flat_store_dwordx2 v[16:17], v[4:5] offset:1024
.LBB416_78:
	s_or_b64 exec, exec, s[0:1]
	v_or_b32_e32 v18, 0x100, v0
	v_cmp_gt_u32_e32 vcc, s33, v18
	s_and_saveexec_b64 s[0:1], vcc
	s_cbranch_execz .LBB416_80
; %bb.79:
	s_waitcnt lgkmcnt(0)
	flat_store_dwordx2 v[16:17], v[6:7] offset:2048
.LBB416_80:
	;; [unrolled: 9-line block ×3, first 2 shown]
	s_or_b64 exec, exec, s[0:1]
	v_or_b32_e32 v18, 0x200, v0
	v_cmp_gt_u32_e32 vcc, s33, v18
	s_and_saveexec_b64 s[0:1], vcc
	s_cbranch_execz .LBB416_84
; %bb.83:
	v_add_co_u32_e32 v18, vcc, 0x1000, v16
	v_addc_co_u32_e32 v19, vcc, 0, v17, vcc
	s_waitcnt lgkmcnt(0)
	flat_store_dwordx2 v[18:19], v[10:11]
.LBB416_84:
	s_or_b64 exec, exec, s[0:1]
	v_or_b32_e32 v18, 0x280, v0
	v_cmp_gt_u32_e32 vcc, s33, v18
	s_and_saveexec_b64 s[0:1], vcc
	s_cbranch_execz .LBB416_86
; %bb.85:
	v_add_co_u32_e32 v18, vcc, 0x1000, v16
	v_addc_co_u32_e32 v19, vcc, 0, v17, vcc
	s_waitcnt lgkmcnt(0)
	flat_store_dwordx2 v[18:19], v[12:13] offset:1024
.LBB416_86:
	s_or_b64 exec, exec, s[0:1]
	v_or_b32_e32 v18, 0x300, v0
	v_cmp_gt_u32_e32 vcc, s33, v18
	s_and_saveexec_b64 s[0:1], vcc
	s_cbranch_execz .LBB416_88
; %bb.87:
	v_add_co_u32_e32 v16, vcc, 0x1000, v16
	v_addc_co_u32_e32 v17, vcc, 0, v17, vcc
	s_waitcnt lgkmcnt(0)
	flat_store_dwordx2 v[16:17], v[14:15] offset:2048
.LBB416_88:
	s_or_b64 exec, exec, s[0:1]
	v_cmp_lt_u64_e64 s[0:1], s[22:23], 2
	s_and_b64 vcc, exec, s[0:1]
	s_cbranch_vccnz .LBB416_112
; %bb.89:
	s_add_u32 s0, s33, -1
	s_addc_u32 s1, s34, -1
	s_add_u32 s2, 0, 0x92481000
	s_addc_u32 s3, 0, 0x64
	s_add_i32 s3, s3, 0x249248c0
	s_mul_hi_u32 s7, s2, -7
	s_sub_i32 s7, s7, s2
	s_mul_i32 s8, s3, -7
	s_mul_i32 s4, s2, -7
	s_add_i32 s7, s7, s8
	s_mul_hi_u32 s5, s3, s4
	s_mul_i32 s6, s3, s4
	s_mul_i32 s9, s2, s7
	s_mul_hi_u32 s4, s2, s4
	s_mul_hi_u32 s8, s2, s7
	s_add_u32 s4, s4, s9
	s_addc_u32 s8, 0, s8
	s_add_u32 s4, s4, s6
	s_mul_hi_u32 s9, s3, s7
	s_addc_u32 s4, s8, s5
	s_addc_u32 s5, s9, 0
	s_mul_i32 s6, s3, s7
	s_add_u32 s4, s4, s6
	v_mov_b32_e32 v16, s4
	s_addc_u32 s5, 0, s5
	v_add_co_u32_e32 v16, vcc, s2, v16
	s_cmp_lg_u64 vcc, 0
	s_addc_u32 s2, s3, s5
	v_readfirstlane_b32 s5, v16
	s_mul_i32 s4, s0, s2
	s_mul_hi_u32 s6, s0, s5
	s_mul_hi_u32 s3, s0, s2
	s_add_u32 s4, s6, s4
	s_addc_u32 s3, 0, s3
	s_mul_hi_u32 s7, s1, s5
	s_mul_i32 s5, s1, s5
	s_add_u32 s4, s4, s5
	s_mul_hi_u32 s6, s1, s2
	s_addc_u32 s3, s3, s7
	s_addc_u32 s4, s6, 0
	s_mul_i32 s2, s1, s2
	s_add_u32 s2, s3, s2
	s_addc_u32 s3, 0, s4
	s_add_u32 s4, s2, 1
	s_addc_u32 s5, s3, 0
	s_add_u32 s6, s2, 2
	s_mul_i32 s8, s3, 7
	s_mul_hi_u32 s9, s2, 7
	s_addc_u32 s7, s3, 0
	s_add_i32 s9, s9, s8
	s_mul_i32 s8, s2, 7
	v_mov_b32_e32 v16, s8
	v_sub_co_u32_e32 v16, vcc, s0, v16
	s_cmp_lg_u64 vcc, 0
	s_subb_u32 s8, s1, s9
	v_subrev_co_u32_e32 v17, vcc, 7, v16
	s_cmp_lg_u64 vcc, 0
	s_subb_u32 s9, s8, 0
	v_readfirstlane_b32 s10, v17
	s_cmp_gt_u32 s10, 6
	s_cselect_b32 s10, -1, 0
	s_cmp_eq_u32 s9, 0
	s_cselect_b32 s9, s10, -1
	s_cmp_lg_u32 s9, 0
	s_cselect_b32 s4, s6, s4
	v_readfirstlane_b32 s6, v16
	s_cselect_b32 s5, s7, s5
	s_cmp_gt_u32 s6, 6
	s_cselect_b32 s6, -1, 0
	s_cmp_eq_u32 s8, 0
	s_cselect_b32 s6, s6, -1
	s_cmp_lg_u32 s6, 0
	s_cselect_b32 s3, s5, s3
	s_cselect_b32 s2, s4, s2
	v_cmp_eq_u64_e32 vcc, s[2:3], v[0:1]
	s_and_saveexec_b64 s[2:3], vcc
	s_cbranch_execz .LBB416_112
; %bb.90:
	v_mul_hi_u32_u24_e32 v1, 7, v0
	v_mov_b32_e32 v16, s1
	v_sub_co_u32_e32 v0, vcc, s0, v49
	v_subb_co_u32_e32 v1, vcc, v16, v1, vcc
	v_cmp_lt_i64_e32 vcc, 3, v[0:1]
	s_and_saveexec_b64 s[0:1], vcc
	s_xor_b64 s[0:1], exec, s[0:1]
	s_cbranch_execz .LBB416_100
; %bb.91:
	v_cmp_lt_i64_e32 vcc, 4, v[0:1]
	s_and_saveexec_b64 s[2:3], vcc
	s_xor_b64 s[2:3], exec, s[2:3]
	s_cbranch_execz .LBB416_97
; %bb.92:
	;; [unrolled: 5-line block ×3, first 2 shown]
	v_mov_b32_e32 v0, 0
	s_waitcnt lgkmcnt(0)
	global_store_dwordx2 v0, v[14:15], s[18:19]
                                        ; implicit-def: $vgpr10_vgpr11_vgpr12_vgpr13
.LBB416_94:
	s_andn2_saveexec_b64 s[4:5], s[4:5]
	s_cbranch_execz .LBB416_96
; %bb.95:
	v_mov_b32_e32 v0, 0
	s_waitcnt lgkmcnt(0)
	global_store_dwordx2 v0, v[12:13], s[18:19]
.LBB416_96:
	s_or_b64 exec, exec, s[4:5]
                                        ; implicit-def: $vgpr10_vgpr11_vgpr12_vgpr13
.LBB416_97:
	s_andn2_saveexec_b64 s[2:3], s[2:3]
	s_cbranch_execz .LBB416_99
; %bb.98:
	v_mov_b32_e32 v0, 0
	s_waitcnt lgkmcnt(0)
	global_store_dwordx2 v0, v[10:11], s[18:19]
.LBB416_99:
	s_or_b64 exec, exec, s[2:3]
                                        ; implicit-def: $vgpr0_vgpr1
                                        ; implicit-def: $vgpr2_vgpr3_vgpr4_vgpr5
                                        ; implicit-def: $vgpr6_vgpr7_vgpr8_vgpr9
.LBB416_100:
	s_andn2_saveexec_b64 s[0:1], s[0:1]
	s_cbranch_execz .LBB416_112
; %bb.101:
	v_cmp_lt_i64_e32 vcc, 1, v[0:1]
	s_and_saveexec_b64 s[0:1], vcc
	s_xor_b64 s[0:1], exec, s[0:1]
	s_cbranch_execz .LBB416_107
; %bb.102:
	v_cmp_lt_i64_e32 vcc, 2, v[0:1]
	s_and_saveexec_b64 s[2:3], vcc
	s_xor_b64 s[2:3], exec, s[2:3]
	s_cbranch_execz .LBB416_104
; %bb.103:
	v_mov_b32_e32 v0, 0
	s_waitcnt lgkmcnt(0)
	global_store_dwordx2 v0, v[8:9], s[18:19]
                                        ; implicit-def: $vgpr6_vgpr7_vgpr8_vgpr9
.LBB416_104:
	s_andn2_saveexec_b64 s[2:3], s[2:3]
	s_cbranch_execz .LBB416_106
; %bb.105:
	v_mov_b32_e32 v0, 0
	s_waitcnt lgkmcnt(0)
	global_store_dwordx2 v0, v[6:7], s[18:19]
.LBB416_106:
	s_or_b64 exec, exec, s[2:3]
                                        ; implicit-def: $vgpr2_vgpr3_vgpr4_vgpr5
                                        ; implicit-def: $vgpr0_vgpr1
.LBB416_107:
	s_andn2_saveexec_b64 s[0:1], s[0:1]
	s_cbranch_execz .LBB416_112
; %bb.108:
	v_cmp_ne_u64_e32 vcc, 1, v[0:1]
	s_and_saveexec_b64 s[0:1], vcc
	s_xor_b64 s[0:1], exec, s[0:1]
	s_cbranch_execz .LBB416_110
; %bb.109:
	v_mov_b32_e32 v0, 0
	s_waitcnt lgkmcnt(0)
	global_store_dwordx2 v0, v[2:3], s[18:19]
                                        ; implicit-def: $vgpr2_vgpr3_vgpr4_vgpr5
.LBB416_110:
	s_andn2_saveexec_b64 s[0:1], s[0:1]
	s_cbranch_execz .LBB416_112
; %bb.111:
	v_mov_b32_e32 v0, 0
	s_waitcnt lgkmcnt(0)
	global_store_dwordx2 v0, v[4:5], s[18:19]
.LBB416_112:
	s_endpgm
	.section	.rodata,"a",@progbits
	.p2align	6, 0x0
	.amdhsa_kernel _ZN7rocprim17ROCPRIM_400000_NS6detail17trampoline_kernelINS0_14default_configENS1_20scan_config_selectorIxEEZZNS1_9scan_implILNS1_25lookback_scan_determinismE0ELb0ELb1ES3_N6thrust23THRUST_200600_302600_NS6detail15normal_iteratorINS9_10device_ptrIxEEEESE_xNS9_4plusIxEExEEDaPvRmT3_T4_T5_mT6_P12ihipStream_tbENKUlT_T0_E_clISt17integral_constantIbLb0EESU_EEDaSP_SQ_EUlSP_E_NS1_11comp_targetILNS1_3genE4ELNS1_11target_archE910ELNS1_3gpuE8ELNS1_3repE0EEENS1_30default_config_static_selectorELNS0_4arch9wavefront6targetE1EEEvT1_
		.amdhsa_group_segment_fixed_size 7168
		.amdhsa_private_segment_fixed_size 0
		.amdhsa_kernarg_size 104
		.amdhsa_user_sgpr_count 6
		.amdhsa_user_sgpr_private_segment_buffer 1
		.amdhsa_user_sgpr_dispatch_ptr 0
		.amdhsa_user_sgpr_queue_ptr 0
		.amdhsa_user_sgpr_kernarg_segment_ptr 1
		.amdhsa_user_sgpr_dispatch_id 0
		.amdhsa_user_sgpr_flat_scratch_init 0
		.amdhsa_user_sgpr_kernarg_preload_length 0
		.amdhsa_user_sgpr_kernarg_preload_offset 0
		.amdhsa_user_sgpr_private_segment_size 0
		.amdhsa_uses_dynamic_stack 0
		.amdhsa_system_sgpr_private_segment_wavefront_offset 0
		.amdhsa_system_sgpr_workgroup_id_x 1
		.amdhsa_system_sgpr_workgroup_id_y 0
		.amdhsa_system_sgpr_workgroup_id_z 0
		.amdhsa_system_sgpr_workgroup_info 0
		.amdhsa_system_vgpr_workitem_id 0
		.amdhsa_next_free_vgpr 51
		.amdhsa_next_free_sgpr 35
		.amdhsa_accum_offset 52
		.amdhsa_reserve_vcc 1
		.amdhsa_reserve_flat_scratch 0
		.amdhsa_float_round_mode_32 0
		.amdhsa_float_round_mode_16_64 0
		.amdhsa_float_denorm_mode_32 3
		.amdhsa_float_denorm_mode_16_64 3
		.amdhsa_dx10_clamp 1
		.amdhsa_ieee_mode 1
		.amdhsa_fp16_overflow 0
		.amdhsa_tg_split 0
		.amdhsa_exception_fp_ieee_invalid_op 0
		.amdhsa_exception_fp_denorm_src 0
		.amdhsa_exception_fp_ieee_div_zero 0
		.amdhsa_exception_fp_ieee_overflow 0
		.amdhsa_exception_fp_ieee_underflow 0
		.amdhsa_exception_fp_ieee_inexact 0
		.amdhsa_exception_int_div_zero 0
	.end_amdhsa_kernel
	.section	.text._ZN7rocprim17ROCPRIM_400000_NS6detail17trampoline_kernelINS0_14default_configENS1_20scan_config_selectorIxEEZZNS1_9scan_implILNS1_25lookback_scan_determinismE0ELb0ELb1ES3_N6thrust23THRUST_200600_302600_NS6detail15normal_iteratorINS9_10device_ptrIxEEEESE_xNS9_4plusIxEExEEDaPvRmT3_T4_T5_mT6_P12ihipStream_tbENKUlT_T0_E_clISt17integral_constantIbLb0EESU_EEDaSP_SQ_EUlSP_E_NS1_11comp_targetILNS1_3genE4ELNS1_11target_archE910ELNS1_3gpuE8ELNS1_3repE0EEENS1_30default_config_static_selectorELNS0_4arch9wavefront6targetE1EEEvT1_,"axG",@progbits,_ZN7rocprim17ROCPRIM_400000_NS6detail17trampoline_kernelINS0_14default_configENS1_20scan_config_selectorIxEEZZNS1_9scan_implILNS1_25lookback_scan_determinismE0ELb0ELb1ES3_N6thrust23THRUST_200600_302600_NS6detail15normal_iteratorINS9_10device_ptrIxEEEESE_xNS9_4plusIxEExEEDaPvRmT3_T4_T5_mT6_P12ihipStream_tbENKUlT_T0_E_clISt17integral_constantIbLb0EESU_EEDaSP_SQ_EUlSP_E_NS1_11comp_targetILNS1_3genE4ELNS1_11target_archE910ELNS1_3gpuE8ELNS1_3repE0EEENS1_30default_config_static_selectorELNS0_4arch9wavefront6targetE1EEEvT1_,comdat
.Lfunc_end416:
	.size	_ZN7rocprim17ROCPRIM_400000_NS6detail17trampoline_kernelINS0_14default_configENS1_20scan_config_selectorIxEEZZNS1_9scan_implILNS1_25lookback_scan_determinismE0ELb0ELb1ES3_N6thrust23THRUST_200600_302600_NS6detail15normal_iteratorINS9_10device_ptrIxEEEESE_xNS9_4plusIxEExEEDaPvRmT3_T4_T5_mT6_P12ihipStream_tbENKUlT_T0_E_clISt17integral_constantIbLb0EESU_EEDaSP_SQ_EUlSP_E_NS1_11comp_targetILNS1_3genE4ELNS1_11target_archE910ELNS1_3gpuE8ELNS1_3repE0EEENS1_30default_config_static_selectorELNS0_4arch9wavefront6targetE1EEEvT1_, .Lfunc_end416-_ZN7rocprim17ROCPRIM_400000_NS6detail17trampoline_kernelINS0_14default_configENS1_20scan_config_selectorIxEEZZNS1_9scan_implILNS1_25lookback_scan_determinismE0ELb0ELb1ES3_N6thrust23THRUST_200600_302600_NS6detail15normal_iteratorINS9_10device_ptrIxEEEESE_xNS9_4plusIxEExEEDaPvRmT3_T4_T5_mT6_P12ihipStream_tbENKUlT_T0_E_clISt17integral_constantIbLb0EESU_EEDaSP_SQ_EUlSP_E_NS1_11comp_targetILNS1_3genE4ELNS1_11target_archE910ELNS1_3gpuE8ELNS1_3repE0EEENS1_30default_config_static_selectorELNS0_4arch9wavefront6targetE1EEEvT1_
                                        ; -- End function
	.section	.AMDGPU.csdata,"",@progbits
; Kernel info:
; codeLenInByte = 6376
; NumSgprs: 39
; NumVgprs: 51
; NumAgprs: 0
; TotalNumVgprs: 51
; ScratchSize: 0
; MemoryBound: 0
; FloatMode: 240
; IeeeMode: 1
; LDSByteSize: 7168 bytes/workgroup (compile time only)
; SGPRBlocks: 4
; VGPRBlocks: 6
; NumSGPRsForWavesPerEU: 39
; NumVGPRsForWavesPerEU: 51
; AccumOffset: 52
; Occupancy: 5
; WaveLimiterHint : 1
; COMPUTE_PGM_RSRC2:SCRATCH_EN: 0
; COMPUTE_PGM_RSRC2:USER_SGPR: 6
; COMPUTE_PGM_RSRC2:TRAP_HANDLER: 0
; COMPUTE_PGM_RSRC2:TGID_X_EN: 1
; COMPUTE_PGM_RSRC2:TGID_Y_EN: 0
; COMPUTE_PGM_RSRC2:TGID_Z_EN: 0
; COMPUTE_PGM_RSRC2:TIDIG_COMP_CNT: 0
; COMPUTE_PGM_RSRC3_GFX90A:ACCUM_OFFSET: 12
; COMPUTE_PGM_RSRC3_GFX90A:TG_SPLIT: 0
	.section	.text._ZN7rocprim17ROCPRIM_400000_NS6detail17trampoline_kernelINS0_14default_configENS1_20scan_config_selectorIxEEZZNS1_9scan_implILNS1_25lookback_scan_determinismE0ELb0ELb1ES3_N6thrust23THRUST_200600_302600_NS6detail15normal_iteratorINS9_10device_ptrIxEEEESE_xNS9_4plusIxEExEEDaPvRmT3_T4_T5_mT6_P12ihipStream_tbENKUlT_T0_E_clISt17integral_constantIbLb0EESU_EEDaSP_SQ_EUlSP_E_NS1_11comp_targetILNS1_3genE3ELNS1_11target_archE908ELNS1_3gpuE7ELNS1_3repE0EEENS1_30default_config_static_selectorELNS0_4arch9wavefront6targetE1EEEvT1_,"axG",@progbits,_ZN7rocprim17ROCPRIM_400000_NS6detail17trampoline_kernelINS0_14default_configENS1_20scan_config_selectorIxEEZZNS1_9scan_implILNS1_25lookback_scan_determinismE0ELb0ELb1ES3_N6thrust23THRUST_200600_302600_NS6detail15normal_iteratorINS9_10device_ptrIxEEEESE_xNS9_4plusIxEExEEDaPvRmT3_T4_T5_mT6_P12ihipStream_tbENKUlT_T0_E_clISt17integral_constantIbLb0EESU_EEDaSP_SQ_EUlSP_E_NS1_11comp_targetILNS1_3genE3ELNS1_11target_archE908ELNS1_3gpuE7ELNS1_3repE0EEENS1_30default_config_static_selectorELNS0_4arch9wavefront6targetE1EEEvT1_,comdat
	.protected	_ZN7rocprim17ROCPRIM_400000_NS6detail17trampoline_kernelINS0_14default_configENS1_20scan_config_selectorIxEEZZNS1_9scan_implILNS1_25lookback_scan_determinismE0ELb0ELb1ES3_N6thrust23THRUST_200600_302600_NS6detail15normal_iteratorINS9_10device_ptrIxEEEESE_xNS9_4plusIxEExEEDaPvRmT3_T4_T5_mT6_P12ihipStream_tbENKUlT_T0_E_clISt17integral_constantIbLb0EESU_EEDaSP_SQ_EUlSP_E_NS1_11comp_targetILNS1_3genE3ELNS1_11target_archE908ELNS1_3gpuE7ELNS1_3repE0EEENS1_30default_config_static_selectorELNS0_4arch9wavefront6targetE1EEEvT1_ ; -- Begin function _ZN7rocprim17ROCPRIM_400000_NS6detail17trampoline_kernelINS0_14default_configENS1_20scan_config_selectorIxEEZZNS1_9scan_implILNS1_25lookback_scan_determinismE0ELb0ELb1ES3_N6thrust23THRUST_200600_302600_NS6detail15normal_iteratorINS9_10device_ptrIxEEEESE_xNS9_4plusIxEExEEDaPvRmT3_T4_T5_mT6_P12ihipStream_tbENKUlT_T0_E_clISt17integral_constantIbLb0EESU_EEDaSP_SQ_EUlSP_E_NS1_11comp_targetILNS1_3genE3ELNS1_11target_archE908ELNS1_3gpuE7ELNS1_3repE0EEENS1_30default_config_static_selectorELNS0_4arch9wavefront6targetE1EEEvT1_
	.globl	_ZN7rocprim17ROCPRIM_400000_NS6detail17trampoline_kernelINS0_14default_configENS1_20scan_config_selectorIxEEZZNS1_9scan_implILNS1_25lookback_scan_determinismE0ELb0ELb1ES3_N6thrust23THRUST_200600_302600_NS6detail15normal_iteratorINS9_10device_ptrIxEEEESE_xNS9_4plusIxEExEEDaPvRmT3_T4_T5_mT6_P12ihipStream_tbENKUlT_T0_E_clISt17integral_constantIbLb0EESU_EEDaSP_SQ_EUlSP_E_NS1_11comp_targetILNS1_3genE3ELNS1_11target_archE908ELNS1_3gpuE7ELNS1_3repE0EEENS1_30default_config_static_selectorELNS0_4arch9wavefront6targetE1EEEvT1_
	.p2align	8
	.type	_ZN7rocprim17ROCPRIM_400000_NS6detail17trampoline_kernelINS0_14default_configENS1_20scan_config_selectorIxEEZZNS1_9scan_implILNS1_25lookback_scan_determinismE0ELb0ELb1ES3_N6thrust23THRUST_200600_302600_NS6detail15normal_iteratorINS9_10device_ptrIxEEEESE_xNS9_4plusIxEExEEDaPvRmT3_T4_T5_mT6_P12ihipStream_tbENKUlT_T0_E_clISt17integral_constantIbLb0EESU_EEDaSP_SQ_EUlSP_E_NS1_11comp_targetILNS1_3genE3ELNS1_11target_archE908ELNS1_3gpuE7ELNS1_3repE0EEENS1_30default_config_static_selectorELNS0_4arch9wavefront6targetE1EEEvT1_,@function
_ZN7rocprim17ROCPRIM_400000_NS6detail17trampoline_kernelINS0_14default_configENS1_20scan_config_selectorIxEEZZNS1_9scan_implILNS1_25lookback_scan_determinismE0ELb0ELb1ES3_N6thrust23THRUST_200600_302600_NS6detail15normal_iteratorINS9_10device_ptrIxEEEESE_xNS9_4plusIxEExEEDaPvRmT3_T4_T5_mT6_P12ihipStream_tbENKUlT_T0_E_clISt17integral_constantIbLb0EESU_EEDaSP_SQ_EUlSP_E_NS1_11comp_targetILNS1_3genE3ELNS1_11target_archE908ELNS1_3gpuE7ELNS1_3repE0EEENS1_30default_config_static_selectorELNS0_4arch9wavefront6targetE1EEEvT1_: ; @_ZN7rocprim17ROCPRIM_400000_NS6detail17trampoline_kernelINS0_14default_configENS1_20scan_config_selectorIxEEZZNS1_9scan_implILNS1_25lookback_scan_determinismE0ELb0ELb1ES3_N6thrust23THRUST_200600_302600_NS6detail15normal_iteratorINS9_10device_ptrIxEEEESE_xNS9_4plusIxEExEEDaPvRmT3_T4_T5_mT6_P12ihipStream_tbENKUlT_T0_E_clISt17integral_constantIbLb0EESU_EEDaSP_SQ_EUlSP_E_NS1_11comp_targetILNS1_3genE3ELNS1_11target_archE908ELNS1_3gpuE7ELNS1_3repE0EEENS1_30default_config_static_selectorELNS0_4arch9wavefront6targetE1EEEvT1_
; %bb.0:
	.section	.rodata,"a",@progbits
	.p2align	6, 0x0
	.amdhsa_kernel _ZN7rocprim17ROCPRIM_400000_NS6detail17trampoline_kernelINS0_14default_configENS1_20scan_config_selectorIxEEZZNS1_9scan_implILNS1_25lookback_scan_determinismE0ELb0ELb1ES3_N6thrust23THRUST_200600_302600_NS6detail15normal_iteratorINS9_10device_ptrIxEEEESE_xNS9_4plusIxEExEEDaPvRmT3_T4_T5_mT6_P12ihipStream_tbENKUlT_T0_E_clISt17integral_constantIbLb0EESU_EEDaSP_SQ_EUlSP_E_NS1_11comp_targetILNS1_3genE3ELNS1_11target_archE908ELNS1_3gpuE7ELNS1_3repE0EEENS1_30default_config_static_selectorELNS0_4arch9wavefront6targetE1EEEvT1_
		.amdhsa_group_segment_fixed_size 0
		.amdhsa_private_segment_fixed_size 0
		.amdhsa_kernarg_size 104
		.amdhsa_user_sgpr_count 6
		.amdhsa_user_sgpr_private_segment_buffer 1
		.amdhsa_user_sgpr_dispatch_ptr 0
		.amdhsa_user_sgpr_queue_ptr 0
		.amdhsa_user_sgpr_kernarg_segment_ptr 1
		.amdhsa_user_sgpr_dispatch_id 0
		.amdhsa_user_sgpr_flat_scratch_init 0
		.amdhsa_user_sgpr_kernarg_preload_length 0
		.amdhsa_user_sgpr_kernarg_preload_offset 0
		.amdhsa_user_sgpr_private_segment_size 0
		.amdhsa_uses_dynamic_stack 0
		.amdhsa_system_sgpr_private_segment_wavefront_offset 0
		.amdhsa_system_sgpr_workgroup_id_x 1
		.amdhsa_system_sgpr_workgroup_id_y 0
		.amdhsa_system_sgpr_workgroup_id_z 0
		.amdhsa_system_sgpr_workgroup_info 0
		.amdhsa_system_vgpr_workitem_id 0
		.amdhsa_next_free_vgpr 1
		.amdhsa_next_free_sgpr 0
		.amdhsa_accum_offset 4
		.amdhsa_reserve_vcc 0
		.amdhsa_reserve_flat_scratch 0
		.amdhsa_float_round_mode_32 0
		.amdhsa_float_round_mode_16_64 0
		.amdhsa_float_denorm_mode_32 3
		.amdhsa_float_denorm_mode_16_64 3
		.amdhsa_dx10_clamp 1
		.amdhsa_ieee_mode 1
		.amdhsa_fp16_overflow 0
		.amdhsa_tg_split 0
		.amdhsa_exception_fp_ieee_invalid_op 0
		.amdhsa_exception_fp_denorm_src 0
		.amdhsa_exception_fp_ieee_div_zero 0
		.amdhsa_exception_fp_ieee_overflow 0
		.amdhsa_exception_fp_ieee_underflow 0
		.amdhsa_exception_fp_ieee_inexact 0
		.amdhsa_exception_int_div_zero 0
	.end_amdhsa_kernel
	.section	.text._ZN7rocprim17ROCPRIM_400000_NS6detail17trampoline_kernelINS0_14default_configENS1_20scan_config_selectorIxEEZZNS1_9scan_implILNS1_25lookback_scan_determinismE0ELb0ELb1ES3_N6thrust23THRUST_200600_302600_NS6detail15normal_iteratorINS9_10device_ptrIxEEEESE_xNS9_4plusIxEExEEDaPvRmT3_T4_T5_mT6_P12ihipStream_tbENKUlT_T0_E_clISt17integral_constantIbLb0EESU_EEDaSP_SQ_EUlSP_E_NS1_11comp_targetILNS1_3genE3ELNS1_11target_archE908ELNS1_3gpuE7ELNS1_3repE0EEENS1_30default_config_static_selectorELNS0_4arch9wavefront6targetE1EEEvT1_,"axG",@progbits,_ZN7rocprim17ROCPRIM_400000_NS6detail17trampoline_kernelINS0_14default_configENS1_20scan_config_selectorIxEEZZNS1_9scan_implILNS1_25lookback_scan_determinismE0ELb0ELb1ES3_N6thrust23THRUST_200600_302600_NS6detail15normal_iteratorINS9_10device_ptrIxEEEESE_xNS9_4plusIxEExEEDaPvRmT3_T4_T5_mT6_P12ihipStream_tbENKUlT_T0_E_clISt17integral_constantIbLb0EESU_EEDaSP_SQ_EUlSP_E_NS1_11comp_targetILNS1_3genE3ELNS1_11target_archE908ELNS1_3gpuE7ELNS1_3repE0EEENS1_30default_config_static_selectorELNS0_4arch9wavefront6targetE1EEEvT1_,comdat
.Lfunc_end417:
	.size	_ZN7rocprim17ROCPRIM_400000_NS6detail17trampoline_kernelINS0_14default_configENS1_20scan_config_selectorIxEEZZNS1_9scan_implILNS1_25lookback_scan_determinismE0ELb0ELb1ES3_N6thrust23THRUST_200600_302600_NS6detail15normal_iteratorINS9_10device_ptrIxEEEESE_xNS9_4plusIxEExEEDaPvRmT3_T4_T5_mT6_P12ihipStream_tbENKUlT_T0_E_clISt17integral_constantIbLb0EESU_EEDaSP_SQ_EUlSP_E_NS1_11comp_targetILNS1_3genE3ELNS1_11target_archE908ELNS1_3gpuE7ELNS1_3repE0EEENS1_30default_config_static_selectorELNS0_4arch9wavefront6targetE1EEEvT1_, .Lfunc_end417-_ZN7rocprim17ROCPRIM_400000_NS6detail17trampoline_kernelINS0_14default_configENS1_20scan_config_selectorIxEEZZNS1_9scan_implILNS1_25lookback_scan_determinismE0ELb0ELb1ES3_N6thrust23THRUST_200600_302600_NS6detail15normal_iteratorINS9_10device_ptrIxEEEESE_xNS9_4plusIxEExEEDaPvRmT3_T4_T5_mT6_P12ihipStream_tbENKUlT_T0_E_clISt17integral_constantIbLb0EESU_EEDaSP_SQ_EUlSP_E_NS1_11comp_targetILNS1_3genE3ELNS1_11target_archE908ELNS1_3gpuE7ELNS1_3repE0EEENS1_30default_config_static_selectorELNS0_4arch9wavefront6targetE1EEEvT1_
                                        ; -- End function
	.section	.AMDGPU.csdata,"",@progbits
; Kernel info:
; codeLenInByte = 0
; NumSgprs: 4
; NumVgprs: 0
; NumAgprs: 0
; TotalNumVgprs: 0
; ScratchSize: 0
; MemoryBound: 0
; FloatMode: 240
; IeeeMode: 1
; LDSByteSize: 0 bytes/workgroup (compile time only)
; SGPRBlocks: 0
; VGPRBlocks: 0
; NumSGPRsForWavesPerEU: 4
; NumVGPRsForWavesPerEU: 1
; AccumOffset: 4
; Occupancy: 8
; WaveLimiterHint : 0
; COMPUTE_PGM_RSRC2:SCRATCH_EN: 0
; COMPUTE_PGM_RSRC2:USER_SGPR: 6
; COMPUTE_PGM_RSRC2:TRAP_HANDLER: 0
; COMPUTE_PGM_RSRC2:TGID_X_EN: 1
; COMPUTE_PGM_RSRC2:TGID_Y_EN: 0
; COMPUTE_PGM_RSRC2:TGID_Z_EN: 0
; COMPUTE_PGM_RSRC2:TIDIG_COMP_CNT: 0
; COMPUTE_PGM_RSRC3_GFX90A:ACCUM_OFFSET: 0
; COMPUTE_PGM_RSRC3_GFX90A:TG_SPLIT: 0
	.section	.text._ZN7rocprim17ROCPRIM_400000_NS6detail17trampoline_kernelINS0_14default_configENS1_20scan_config_selectorIxEEZZNS1_9scan_implILNS1_25lookback_scan_determinismE0ELb0ELb1ES3_N6thrust23THRUST_200600_302600_NS6detail15normal_iteratorINS9_10device_ptrIxEEEESE_xNS9_4plusIxEExEEDaPvRmT3_T4_T5_mT6_P12ihipStream_tbENKUlT_T0_E_clISt17integral_constantIbLb0EESU_EEDaSP_SQ_EUlSP_E_NS1_11comp_targetILNS1_3genE2ELNS1_11target_archE906ELNS1_3gpuE6ELNS1_3repE0EEENS1_30default_config_static_selectorELNS0_4arch9wavefront6targetE1EEEvT1_,"axG",@progbits,_ZN7rocprim17ROCPRIM_400000_NS6detail17trampoline_kernelINS0_14default_configENS1_20scan_config_selectorIxEEZZNS1_9scan_implILNS1_25lookback_scan_determinismE0ELb0ELb1ES3_N6thrust23THRUST_200600_302600_NS6detail15normal_iteratorINS9_10device_ptrIxEEEESE_xNS9_4plusIxEExEEDaPvRmT3_T4_T5_mT6_P12ihipStream_tbENKUlT_T0_E_clISt17integral_constantIbLb0EESU_EEDaSP_SQ_EUlSP_E_NS1_11comp_targetILNS1_3genE2ELNS1_11target_archE906ELNS1_3gpuE6ELNS1_3repE0EEENS1_30default_config_static_selectorELNS0_4arch9wavefront6targetE1EEEvT1_,comdat
	.protected	_ZN7rocprim17ROCPRIM_400000_NS6detail17trampoline_kernelINS0_14default_configENS1_20scan_config_selectorIxEEZZNS1_9scan_implILNS1_25lookback_scan_determinismE0ELb0ELb1ES3_N6thrust23THRUST_200600_302600_NS6detail15normal_iteratorINS9_10device_ptrIxEEEESE_xNS9_4plusIxEExEEDaPvRmT3_T4_T5_mT6_P12ihipStream_tbENKUlT_T0_E_clISt17integral_constantIbLb0EESU_EEDaSP_SQ_EUlSP_E_NS1_11comp_targetILNS1_3genE2ELNS1_11target_archE906ELNS1_3gpuE6ELNS1_3repE0EEENS1_30default_config_static_selectorELNS0_4arch9wavefront6targetE1EEEvT1_ ; -- Begin function _ZN7rocprim17ROCPRIM_400000_NS6detail17trampoline_kernelINS0_14default_configENS1_20scan_config_selectorIxEEZZNS1_9scan_implILNS1_25lookback_scan_determinismE0ELb0ELb1ES3_N6thrust23THRUST_200600_302600_NS6detail15normal_iteratorINS9_10device_ptrIxEEEESE_xNS9_4plusIxEExEEDaPvRmT3_T4_T5_mT6_P12ihipStream_tbENKUlT_T0_E_clISt17integral_constantIbLb0EESU_EEDaSP_SQ_EUlSP_E_NS1_11comp_targetILNS1_3genE2ELNS1_11target_archE906ELNS1_3gpuE6ELNS1_3repE0EEENS1_30default_config_static_selectorELNS0_4arch9wavefront6targetE1EEEvT1_
	.globl	_ZN7rocprim17ROCPRIM_400000_NS6detail17trampoline_kernelINS0_14default_configENS1_20scan_config_selectorIxEEZZNS1_9scan_implILNS1_25lookback_scan_determinismE0ELb0ELb1ES3_N6thrust23THRUST_200600_302600_NS6detail15normal_iteratorINS9_10device_ptrIxEEEESE_xNS9_4plusIxEExEEDaPvRmT3_T4_T5_mT6_P12ihipStream_tbENKUlT_T0_E_clISt17integral_constantIbLb0EESU_EEDaSP_SQ_EUlSP_E_NS1_11comp_targetILNS1_3genE2ELNS1_11target_archE906ELNS1_3gpuE6ELNS1_3repE0EEENS1_30default_config_static_selectorELNS0_4arch9wavefront6targetE1EEEvT1_
	.p2align	8
	.type	_ZN7rocprim17ROCPRIM_400000_NS6detail17trampoline_kernelINS0_14default_configENS1_20scan_config_selectorIxEEZZNS1_9scan_implILNS1_25lookback_scan_determinismE0ELb0ELb1ES3_N6thrust23THRUST_200600_302600_NS6detail15normal_iteratorINS9_10device_ptrIxEEEESE_xNS9_4plusIxEExEEDaPvRmT3_T4_T5_mT6_P12ihipStream_tbENKUlT_T0_E_clISt17integral_constantIbLb0EESU_EEDaSP_SQ_EUlSP_E_NS1_11comp_targetILNS1_3genE2ELNS1_11target_archE906ELNS1_3gpuE6ELNS1_3repE0EEENS1_30default_config_static_selectorELNS0_4arch9wavefront6targetE1EEEvT1_,@function
_ZN7rocprim17ROCPRIM_400000_NS6detail17trampoline_kernelINS0_14default_configENS1_20scan_config_selectorIxEEZZNS1_9scan_implILNS1_25lookback_scan_determinismE0ELb0ELb1ES3_N6thrust23THRUST_200600_302600_NS6detail15normal_iteratorINS9_10device_ptrIxEEEESE_xNS9_4plusIxEExEEDaPvRmT3_T4_T5_mT6_P12ihipStream_tbENKUlT_T0_E_clISt17integral_constantIbLb0EESU_EEDaSP_SQ_EUlSP_E_NS1_11comp_targetILNS1_3genE2ELNS1_11target_archE906ELNS1_3gpuE6ELNS1_3repE0EEENS1_30default_config_static_selectorELNS0_4arch9wavefront6targetE1EEEvT1_: ; @_ZN7rocprim17ROCPRIM_400000_NS6detail17trampoline_kernelINS0_14default_configENS1_20scan_config_selectorIxEEZZNS1_9scan_implILNS1_25lookback_scan_determinismE0ELb0ELb1ES3_N6thrust23THRUST_200600_302600_NS6detail15normal_iteratorINS9_10device_ptrIxEEEESE_xNS9_4plusIxEExEEDaPvRmT3_T4_T5_mT6_P12ihipStream_tbENKUlT_T0_E_clISt17integral_constantIbLb0EESU_EEDaSP_SQ_EUlSP_E_NS1_11comp_targetILNS1_3genE2ELNS1_11target_archE906ELNS1_3gpuE6ELNS1_3repE0EEENS1_30default_config_static_selectorELNS0_4arch9wavefront6targetE1EEEvT1_
; %bb.0:
	.section	.rodata,"a",@progbits
	.p2align	6, 0x0
	.amdhsa_kernel _ZN7rocprim17ROCPRIM_400000_NS6detail17trampoline_kernelINS0_14default_configENS1_20scan_config_selectorIxEEZZNS1_9scan_implILNS1_25lookback_scan_determinismE0ELb0ELb1ES3_N6thrust23THRUST_200600_302600_NS6detail15normal_iteratorINS9_10device_ptrIxEEEESE_xNS9_4plusIxEExEEDaPvRmT3_T4_T5_mT6_P12ihipStream_tbENKUlT_T0_E_clISt17integral_constantIbLb0EESU_EEDaSP_SQ_EUlSP_E_NS1_11comp_targetILNS1_3genE2ELNS1_11target_archE906ELNS1_3gpuE6ELNS1_3repE0EEENS1_30default_config_static_selectorELNS0_4arch9wavefront6targetE1EEEvT1_
		.amdhsa_group_segment_fixed_size 0
		.amdhsa_private_segment_fixed_size 0
		.amdhsa_kernarg_size 104
		.amdhsa_user_sgpr_count 6
		.amdhsa_user_sgpr_private_segment_buffer 1
		.amdhsa_user_sgpr_dispatch_ptr 0
		.amdhsa_user_sgpr_queue_ptr 0
		.amdhsa_user_sgpr_kernarg_segment_ptr 1
		.amdhsa_user_sgpr_dispatch_id 0
		.amdhsa_user_sgpr_flat_scratch_init 0
		.amdhsa_user_sgpr_kernarg_preload_length 0
		.amdhsa_user_sgpr_kernarg_preload_offset 0
		.amdhsa_user_sgpr_private_segment_size 0
		.amdhsa_uses_dynamic_stack 0
		.amdhsa_system_sgpr_private_segment_wavefront_offset 0
		.amdhsa_system_sgpr_workgroup_id_x 1
		.amdhsa_system_sgpr_workgroup_id_y 0
		.amdhsa_system_sgpr_workgroup_id_z 0
		.amdhsa_system_sgpr_workgroup_info 0
		.amdhsa_system_vgpr_workitem_id 0
		.amdhsa_next_free_vgpr 1
		.amdhsa_next_free_sgpr 0
		.amdhsa_accum_offset 4
		.amdhsa_reserve_vcc 0
		.amdhsa_reserve_flat_scratch 0
		.amdhsa_float_round_mode_32 0
		.amdhsa_float_round_mode_16_64 0
		.amdhsa_float_denorm_mode_32 3
		.amdhsa_float_denorm_mode_16_64 3
		.amdhsa_dx10_clamp 1
		.amdhsa_ieee_mode 1
		.amdhsa_fp16_overflow 0
		.amdhsa_tg_split 0
		.amdhsa_exception_fp_ieee_invalid_op 0
		.amdhsa_exception_fp_denorm_src 0
		.amdhsa_exception_fp_ieee_div_zero 0
		.amdhsa_exception_fp_ieee_overflow 0
		.amdhsa_exception_fp_ieee_underflow 0
		.amdhsa_exception_fp_ieee_inexact 0
		.amdhsa_exception_int_div_zero 0
	.end_amdhsa_kernel
	.section	.text._ZN7rocprim17ROCPRIM_400000_NS6detail17trampoline_kernelINS0_14default_configENS1_20scan_config_selectorIxEEZZNS1_9scan_implILNS1_25lookback_scan_determinismE0ELb0ELb1ES3_N6thrust23THRUST_200600_302600_NS6detail15normal_iteratorINS9_10device_ptrIxEEEESE_xNS9_4plusIxEExEEDaPvRmT3_T4_T5_mT6_P12ihipStream_tbENKUlT_T0_E_clISt17integral_constantIbLb0EESU_EEDaSP_SQ_EUlSP_E_NS1_11comp_targetILNS1_3genE2ELNS1_11target_archE906ELNS1_3gpuE6ELNS1_3repE0EEENS1_30default_config_static_selectorELNS0_4arch9wavefront6targetE1EEEvT1_,"axG",@progbits,_ZN7rocprim17ROCPRIM_400000_NS6detail17trampoline_kernelINS0_14default_configENS1_20scan_config_selectorIxEEZZNS1_9scan_implILNS1_25lookback_scan_determinismE0ELb0ELb1ES3_N6thrust23THRUST_200600_302600_NS6detail15normal_iteratorINS9_10device_ptrIxEEEESE_xNS9_4plusIxEExEEDaPvRmT3_T4_T5_mT6_P12ihipStream_tbENKUlT_T0_E_clISt17integral_constantIbLb0EESU_EEDaSP_SQ_EUlSP_E_NS1_11comp_targetILNS1_3genE2ELNS1_11target_archE906ELNS1_3gpuE6ELNS1_3repE0EEENS1_30default_config_static_selectorELNS0_4arch9wavefront6targetE1EEEvT1_,comdat
.Lfunc_end418:
	.size	_ZN7rocprim17ROCPRIM_400000_NS6detail17trampoline_kernelINS0_14default_configENS1_20scan_config_selectorIxEEZZNS1_9scan_implILNS1_25lookback_scan_determinismE0ELb0ELb1ES3_N6thrust23THRUST_200600_302600_NS6detail15normal_iteratorINS9_10device_ptrIxEEEESE_xNS9_4plusIxEExEEDaPvRmT3_T4_T5_mT6_P12ihipStream_tbENKUlT_T0_E_clISt17integral_constantIbLb0EESU_EEDaSP_SQ_EUlSP_E_NS1_11comp_targetILNS1_3genE2ELNS1_11target_archE906ELNS1_3gpuE6ELNS1_3repE0EEENS1_30default_config_static_selectorELNS0_4arch9wavefront6targetE1EEEvT1_, .Lfunc_end418-_ZN7rocprim17ROCPRIM_400000_NS6detail17trampoline_kernelINS0_14default_configENS1_20scan_config_selectorIxEEZZNS1_9scan_implILNS1_25lookback_scan_determinismE0ELb0ELb1ES3_N6thrust23THRUST_200600_302600_NS6detail15normal_iteratorINS9_10device_ptrIxEEEESE_xNS9_4plusIxEExEEDaPvRmT3_T4_T5_mT6_P12ihipStream_tbENKUlT_T0_E_clISt17integral_constantIbLb0EESU_EEDaSP_SQ_EUlSP_E_NS1_11comp_targetILNS1_3genE2ELNS1_11target_archE906ELNS1_3gpuE6ELNS1_3repE0EEENS1_30default_config_static_selectorELNS0_4arch9wavefront6targetE1EEEvT1_
                                        ; -- End function
	.section	.AMDGPU.csdata,"",@progbits
; Kernel info:
; codeLenInByte = 0
; NumSgprs: 4
; NumVgprs: 0
; NumAgprs: 0
; TotalNumVgprs: 0
; ScratchSize: 0
; MemoryBound: 0
; FloatMode: 240
; IeeeMode: 1
; LDSByteSize: 0 bytes/workgroup (compile time only)
; SGPRBlocks: 0
; VGPRBlocks: 0
; NumSGPRsForWavesPerEU: 4
; NumVGPRsForWavesPerEU: 1
; AccumOffset: 4
; Occupancy: 8
; WaveLimiterHint : 0
; COMPUTE_PGM_RSRC2:SCRATCH_EN: 0
; COMPUTE_PGM_RSRC2:USER_SGPR: 6
; COMPUTE_PGM_RSRC2:TRAP_HANDLER: 0
; COMPUTE_PGM_RSRC2:TGID_X_EN: 1
; COMPUTE_PGM_RSRC2:TGID_Y_EN: 0
; COMPUTE_PGM_RSRC2:TGID_Z_EN: 0
; COMPUTE_PGM_RSRC2:TIDIG_COMP_CNT: 0
; COMPUTE_PGM_RSRC3_GFX90A:ACCUM_OFFSET: 0
; COMPUTE_PGM_RSRC3_GFX90A:TG_SPLIT: 0
	.section	.text._ZN7rocprim17ROCPRIM_400000_NS6detail17trampoline_kernelINS0_14default_configENS1_20scan_config_selectorIxEEZZNS1_9scan_implILNS1_25lookback_scan_determinismE0ELb0ELb1ES3_N6thrust23THRUST_200600_302600_NS6detail15normal_iteratorINS9_10device_ptrIxEEEESE_xNS9_4plusIxEExEEDaPvRmT3_T4_T5_mT6_P12ihipStream_tbENKUlT_T0_E_clISt17integral_constantIbLb0EESU_EEDaSP_SQ_EUlSP_E_NS1_11comp_targetILNS1_3genE10ELNS1_11target_archE1201ELNS1_3gpuE5ELNS1_3repE0EEENS1_30default_config_static_selectorELNS0_4arch9wavefront6targetE1EEEvT1_,"axG",@progbits,_ZN7rocprim17ROCPRIM_400000_NS6detail17trampoline_kernelINS0_14default_configENS1_20scan_config_selectorIxEEZZNS1_9scan_implILNS1_25lookback_scan_determinismE0ELb0ELb1ES3_N6thrust23THRUST_200600_302600_NS6detail15normal_iteratorINS9_10device_ptrIxEEEESE_xNS9_4plusIxEExEEDaPvRmT3_T4_T5_mT6_P12ihipStream_tbENKUlT_T0_E_clISt17integral_constantIbLb0EESU_EEDaSP_SQ_EUlSP_E_NS1_11comp_targetILNS1_3genE10ELNS1_11target_archE1201ELNS1_3gpuE5ELNS1_3repE0EEENS1_30default_config_static_selectorELNS0_4arch9wavefront6targetE1EEEvT1_,comdat
	.protected	_ZN7rocprim17ROCPRIM_400000_NS6detail17trampoline_kernelINS0_14default_configENS1_20scan_config_selectorIxEEZZNS1_9scan_implILNS1_25lookback_scan_determinismE0ELb0ELb1ES3_N6thrust23THRUST_200600_302600_NS6detail15normal_iteratorINS9_10device_ptrIxEEEESE_xNS9_4plusIxEExEEDaPvRmT3_T4_T5_mT6_P12ihipStream_tbENKUlT_T0_E_clISt17integral_constantIbLb0EESU_EEDaSP_SQ_EUlSP_E_NS1_11comp_targetILNS1_3genE10ELNS1_11target_archE1201ELNS1_3gpuE5ELNS1_3repE0EEENS1_30default_config_static_selectorELNS0_4arch9wavefront6targetE1EEEvT1_ ; -- Begin function _ZN7rocprim17ROCPRIM_400000_NS6detail17trampoline_kernelINS0_14default_configENS1_20scan_config_selectorIxEEZZNS1_9scan_implILNS1_25lookback_scan_determinismE0ELb0ELb1ES3_N6thrust23THRUST_200600_302600_NS6detail15normal_iteratorINS9_10device_ptrIxEEEESE_xNS9_4plusIxEExEEDaPvRmT3_T4_T5_mT6_P12ihipStream_tbENKUlT_T0_E_clISt17integral_constantIbLb0EESU_EEDaSP_SQ_EUlSP_E_NS1_11comp_targetILNS1_3genE10ELNS1_11target_archE1201ELNS1_3gpuE5ELNS1_3repE0EEENS1_30default_config_static_selectorELNS0_4arch9wavefront6targetE1EEEvT1_
	.globl	_ZN7rocprim17ROCPRIM_400000_NS6detail17trampoline_kernelINS0_14default_configENS1_20scan_config_selectorIxEEZZNS1_9scan_implILNS1_25lookback_scan_determinismE0ELb0ELb1ES3_N6thrust23THRUST_200600_302600_NS6detail15normal_iteratorINS9_10device_ptrIxEEEESE_xNS9_4plusIxEExEEDaPvRmT3_T4_T5_mT6_P12ihipStream_tbENKUlT_T0_E_clISt17integral_constantIbLb0EESU_EEDaSP_SQ_EUlSP_E_NS1_11comp_targetILNS1_3genE10ELNS1_11target_archE1201ELNS1_3gpuE5ELNS1_3repE0EEENS1_30default_config_static_selectorELNS0_4arch9wavefront6targetE1EEEvT1_
	.p2align	8
	.type	_ZN7rocprim17ROCPRIM_400000_NS6detail17trampoline_kernelINS0_14default_configENS1_20scan_config_selectorIxEEZZNS1_9scan_implILNS1_25lookback_scan_determinismE0ELb0ELb1ES3_N6thrust23THRUST_200600_302600_NS6detail15normal_iteratorINS9_10device_ptrIxEEEESE_xNS9_4plusIxEExEEDaPvRmT3_T4_T5_mT6_P12ihipStream_tbENKUlT_T0_E_clISt17integral_constantIbLb0EESU_EEDaSP_SQ_EUlSP_E_NS1_11comp_targetILNS1_3genE10ELNS1_11target_archE1201ELNS1_3gpuE5ELNS1_3repE0EEENS1_30default_config_static_selectorELNS0_4arch9wavefront6targetE1EEEvT1_,@function
_ZN7rocprim17ROCPRIM_400000_NS6detail17trampoline_kernelINS0_14default_configENS1_20scan_config_selectorIxEEZZNS1_9scan_implILNS1_25lookback_scan_determinismE0ELb0ELb1ES3_N6thrust23THRUST_200600_302600_NS6detail15normal_iteratorINS9_10device_ptrIxEEEESE_xNS9_4plusIxEExEEDaPvRmT3_T4_T5_mT6_P12ihipStream_tbENKUlT_T0_E_clISt17integral_constantIbLb0EESU_EEDaSP_SQ_EUlSP_E_NS1_11comp_targetILNS1_3genE10ELNS1_11target_archE1201ELNS1_3gpuE5ELNS1_3repE0EEENS1_30default_config_static_selectorELNS0_4arch9wavefront6targetE1EEEvT1_: ; @_ZN7rocprim17ROCPRIM_400000_NS6detail17trampoline_kernelINS0_14default_configENS1_20scan_config_selectorIxEEZZNS1_9scan_implILNS1_25lookback_scan_determinismE0ELb0ELb1ES3_N6thrust23THRUST_200600_302600_NS6detail15normal_iteratorINS9_10device_ptrIxEEEESE_xNS9_4plusIxEExEEDaPvRmT3_T4_T5_mT6_P12ihipStream_tbENKUlT_T0_E_clISt17integral_constantIbLb0EESU_EEDaSP_SQ_EUlSP_E_NS1_11comp_targetILNS1_3genE10ELNS1_11target_archE1201ELNS1_3gpuE5ELNS1_3repE0EEENS1_30default_config_static_selectorELNS0_4arch9wavefront6targetE1EEEvT1_
; %bb.0:
	.section	.rodata,"a",@progbits
	.p2align	6, 0x0
	.amdhsa_kernel _ZN7rocprim17ROCPRIM_400000_NS6detail17trampoline_kernelINS0_14default_configENS1_20scan_config_selectorIxEEZZNS1_9scan_implILNS1_25lookback_scan_determinismE0ELb0ELb1ES3_N6thrust23THRUST_200600_302600_NS6detail15normal_iteratorINS9_10device_ptrIxEEEESE_xNS9_4plusIxEExEEDaPvRmT3_T4_T5_mT6_P12ihipStream_tbENKUlT_T0_E_clISt17integral_constantIbLb0EESU_EEDaSP_SQ_EUlSP_E_NS1_11comp_targetILNS1_3genE10ELNS1_11target_archE1201ELNS1_3gpuE5ELNS1_3repE0EEENS1_30default_config_static_selectorELNS0_4arch9wavefront6targetE1EEEvT1_
		.amdhsa_group_segment_fixed_size 0
		.amdhsa_private_segment_fixed_size 0
		.amdhsa_kernarg_size 104
		.amdhsa_user_sgpr_count 6
		.amdhsa_user_sgpr_private_segment_buffer 1
		.amdhsa_user_sgpr_dispatch_ptr 0
		.amdhsa_user_sgpr_queue_ptr 0
		.amdhsa_user_sgpr_kernarg_segment_ptr 1
		.amdhsa_user_sgpr_dispatch_id 0
		.amdhsa_user_sgpr_flat_scratch_init 0
		.amdhsa_user_sgpr_kernarg_preload_length 0
		.amdhsa_user_sgpr_kernarg_preload_offset 0
		.amdhsa_user_sgpr_private_segment_size 0
		.amdhsa_uses_dynamic_stack 0
		.amdhsa_system_sgpr_private_segment_wavefront_offset 0
		.amdhsa_system_sgpr_workgroup_id_x 1
		.amdhsa_system_sgpr_workgroup_id_y 0
		.amdhsa_system_sgpr_workgroup_id_z 0
		.amdhsa_system_sgpr_workgroup_info 0
		.amdhsa_system_vgpr_workitem_id 0
		.amdhsa_next_free_vgpr 1
		.amdhsa_next_free_sgpr 0
		.amdhsa_accum_offset 4
		.amdhsa_reserve_vcc 0
		.amdhsa_reserve_flat_scratch 0
		.amdhsa_float_round_mode_32 0
		.amdhsa_float_round_mode_16_64 0
		.amdhsa_float_denorm_mode_32 3
		.amdhsa_float_denorm_mode_16_64 3
		.amdhsa_dx10_clamp 1
		.amdhsa_ieee_mode 1
		.amdhsa_fp16_overflow 0
		.amdhsa_tg_split 0
		.amdhsa_exception_fp_ieee_invalid_op 0
		.amdhsa_exception_fp_denorm_src 0
		.amdhsa_exception_fp_ieee_div_zero 0
		.amdhsa_exception_fp_ieee_overflow 0
		.amdhsa_exception_fp_ieee_underflow 0
		.amdhsa_exception_fp_ieee_inexact 0
		.amdhsa_exception_int_div_zero 0
	.end_amdhsa_kernel
	.section	.text._ZN7rocprim17ROCPRIM_400000_NS6detail17trampoline_kernelINS0_14default_configENS1_20scan_config_selectorIxEEZZNS1_9scan_implILNS1_25lookback_scan_determinismE0ELb0ELb1ES3_N6thrust23THRUST_200600_302600_NS6detail15normal_iteratorINS9_10device_ptrIxEEEESE_xNS9_4plusIxEExEEDaPvRmT3_T4_T5_mT6_P12ihipStream_tbENKUlT_T0_E_clISt17integral_constantIbLb0EESU_EEDaSP_SQ_EUlSP_E_NS1_11comp_targetILNS1_3genE10ELNS1_11target_archE1201ELNS1_3gpuE5ELNS1_3repE0EEENS1_30default_config_static_selectorELNS0_4arch9wavefront6targetE1EEEvT1_,"axG",@progbits,_ZN7rocprim17ROCPRIM_400000_NS6detail17trampoline_kernelINS0_14default_configENS1_20scan_config_selectorIxEEZZNS1_9scan_implILNS1_25lookback_scan_determinismE0ELb0ELb1ES3_N6thrust23THRUST_200600_302600_NS6detail15normal_iteratorINS9_10device_ptrIxEEEESE_xNS9_4plusIxEExEEDaPvRmT3_T4_T5_mT6_P12ihipStream_tbENKUlT_T0_E_clISt17integral_constantIbLb0EESU_EEDaSP_SQ_EUlSP_E_NS1_11comp_targetILNS1_3genE10ELNS1_11target_archE1201ELNS1_3gpuE5ELNS1_3repE0EEENS1_30default_config_static_selectorELNS0_4arch9wavefront6targetE1EEEvT1_,comdat
.Lfunc_end419:
	.size	_ZN7rocprim17ROCPRIM_400000_NS6detail17trampoline_kernelINS0_14default_configENS1_20scan_config_selectorIxEEZZNS1_9scan_implILNS1_25lookback_scan_determinismE0ELb0ELb1ES3_N6thrust23THRUST_200600_302600_NS6detail15normal_iteratorINS9_10device_ptrIxEEEESE_xNS9_4plusIxEExEEDaPvRmT3_T4_T5_mT6_P12ihipStream_tbENKUlT_T0_E_clISt17integral_constantIbLb0EESU_EEDaSP_SQ_EUlSP_E_NS1_11comp_targetILNS1_3genE10ELNS1_11target_archE1201ELNS1_3gpuE5ELNS1_3repE0EEENS1_30default_config_static_selectorELNS0_4arch9wavefront6targetE1EEEvT1_, .Lfunc_end419-_ZN7rocprim17ROCPRIM_400000_NS6detail17trampoline_kernelINS0_14default_configENS1_20scan_config_selectorIxEEZZNS1_9scan_implILNS1_25lookback_scan_determinismE0ELb0ELb1ES3_N6thrust23THRUST_200600_302600_NS6detail15normal_iteratorINS9_10device_ptrIxEEEESE_xNS9_4plusIxEExEEDaPvRmT3_T4_T5_mT6_P12ihipStream_tbENKUlT_T0_E_clISt17integral_constantIbLb0EESU_EEDaSP_SQ_EUlSP_E_NS1_11comp_targetILNS1_3genE10ELNS1_11target_archE1201ELNS1_3gpuE5ELNS1_3repE0EEENS1_30default_config_static_selectorELNS0_4arch9wavefront6targetE1EEEvT1_
                                        ; -- End function
	.section	.AMDGPU.csdata,"",@progbits
; Kernel info:
; codeLenInByte = 0
; NumSgprs: 4
; NumVgprs: 0
; NumAgprs: 0
; TotalNumVgprs: 0
; ScratchSize: 0
; MemoryBound: 0
; FloatMode: 240
; IeeeMode: 1
; LDSByteSize: 0 bytes/workgroup (compile time only)
; SGPRBlocks: 0
; VGPRBlocks: 0
; NumSGPRsForWavesPerEU: 4
; NumVGPRsForWavesPerEU: 1
; AccumOffset: 4
; Occupancy: 8
; WaveLimiterHint : 0
; COMPUTE_PGM_RSRC2:SCRATCH_EN: 0
; COMPUTE_PGM_RSRC2:USER_SGPR: 6
; COMPUTE_PGM_RSRC2:TRAP_HANDLER: 0
; COMPUTE_PGM_RSRC2:TGID_X_EN: 1
; COMPUTE_PGM_RSRC2:TGID_Y_EN: 0
; COMPUTE_PGM_RSRC2:TGID_Z_EN: 0
; COMPUTE_PGM_RSRC2:TIDIG_COMP_CNT: 0
; COMPUTE_PGM_RSRC3_GFX90A:ACCUM_OFFSET: 0
; COMPUTE_PGM_RSRC3_GFX90A:TG_SPLIT: 0
	.section	.text._ZN7rocprim17ROCPRIM_400000_NS6detail17trampoline_kernelINS0_14default_configENS1_20scan_config_selectorIxEEZZNS1_9scan_implILNS1_25lookback_scan_determinismE0ELb0ELb1ES3_N6thrust23THRUST_200600_302600_NS6detail15normal_iteratorINS9_10device_ptrIxEEEESE_xNS9_4plusIxEExEEDaPvRmT3_T4_T5_mT6_P12ihipStream_tbENKUlT_T0_E_clISt17integral_constantIbLb0EESU_EEDaSP_SQ_EUlSP_E_NS1_11comp_targetILNS1_3genE10ELNS1_11target_archE1200ELNS1_3gpuE4ELNS1_3repE0EEENS1_30default_config_static_selectorELNS0_4arch9wavefront6targetE1EEEvT1_,"axG",@progbits,_ZN7rocprim17ROCPRIM_400000_NS6detail17trampoline_kernelINS0_14default_configENS1_20scan_config_selectorIxEEZZNS1_9scan_implILNS1_25lookback_scan_determinismE0ELb0ELb1ES3_N6thrust23THRUST_200600_302600_NS6detail15normal_iteratorINS9_10device_ptrIxEEEESE_xNS9_4plusIxEExEEDaPvRmT3_T4_T5_mT6_P12ihipStream_tbENKUlT_T0_E_clISt17integral_constantIbLb0EESU_EEDaSP_SQ_EUlSP_E_NS1_11comp_targetILNS1_3genE10ELNS1_11target_archE1200ELNS1_3gpuE4ELNS1_3repE0EEENS1_30default_config_static_selectorELNS0_4arch9wavefront6targetE1EEEvT1_,comdat
	.protected	_ZN7rocprim17ROCPRIM_400000_NS6detail17trampoline_kernelINS0_14default_configENS1_20scan_config_selectorIxEEZZNS1_9scan_implILNS1_25lookback_scan_determinismE0ELb0ELb1ES3_N6thrust23THRUST_200600_302600_NS6detail15normal_iteratorINS9_10device_ptrIxEEEESE_xNS9_4plusIxEExEEDaPvRmT3_T4_T5_mT6_P12ihipStream_tbENKUlT_T0_E_clISt17integral_constantIbLb0EESU_EEDaSP_SQ_EUlSP_E_NS1_11comp_targetILNS1_3genE10ELNS1_11target_archE1200ELNS1_3gpuE4ELNS1_3repE0EEENS1_30default_config_static_selectorELNS0_4arch9wavefront6targetE1EEEvT1_ ; -- Begin function _ZN7rocprim17ROCPRIM_400000_NS6detail17trampoline_kernelINS0_14default_configENS1_20scan_config_selectorIxEEZZNS1_9scan_implILNS1_25lookback_scan_determinismE0ELb0ELb1ES3_N6thrust23THRUST_200600_302600_NS6detail15normal_iteratorINS9_10device_ptrIxEEEESE_xNS9_4plusIxEExEEDaPvRmT3_T4_T5_mT6_P12ihipStream_tbENKUlT_T0_E_clISt17integral_constantIbLb0EESU_EEDaSP_SQ_EUlSP_E_NS1_11comp_targetILNS1_3genE10ELNS1_11target_archE1200ELNS1_3gpuE4ELNS1_3repE0EEENS1_30default_config_static_selectorELNS0_4arch9wavefront6targetE1EEEvT1_
	.globl	_ZN7rocprim17ROCPRIM_400000_NS6detail17trampoline_kernelINS0_14default_configENS1_20scan_config_selectorIxEEZZNS1_9scan_implILNS1_25lookback_scan_determinismE0ELb0ELb1ES3_N6thrust23THRUST_200600_302600_NS6detail15normal_iteratorINS9_10device_ptrIxEEEESE_xNS9_4plusIxEExEEDaPvRmT3_T4_T5_mT6_P12ihipStream_tbENKUlT_T0_E_clISt17integral_constantIbLb0EESU_EEDaSP_SQ_EUlSP_E_NS1_11comp_targetILNS1_3genE10ELNS1_11target_archE1200ELNS1_3gpuE4ELNS1_3repE0EEENS1_30default_config_static_selectorELNS0_4arch9wavefront6targetE1EEEvT1_
	.p2align	8
	.type	_ZN7rocprim17ROCPRIM_400000_NS6detail17trampoline_kernelINS0_14default_configENS1_20scan_config_selectorIxEEZZNS1_9scan_implILNS1_25lookback_scan_determinismE0ELb0ELb1ES3_N6thrust23THRUST_200600_302600_NS6detail15normal_iteratorINS9_10device_ptrIxEEEESE_xNS9_4plusIxEExEEDaPvRmT3_T4_T5_mT6_P12ihipStream_tbENKUlT_T0_E_clISt17integral_constantIbLb0EESU_EEDaSP_SQ_EUlSP_E_NS1_11comp_targetILNS1_3genE10ELNS1_11target_archE1200ELNS1_3gpuE4ELNS1_3repE0EEENS1_30default_config_static_selectorELNS0_4arch9wavefront6targetE1EEEvT1_,@function
_ZN7rocprim17ROCPRIM_400000_NS6detail17trampoline_kernelINS0_14default_configENS1_20scan_config_selectorIxEEZZNS1_9scan_implILNS1_25lookback_scan_determinismE0ELb0ELb1ES3_N6thrust23THRUST_200600_302600_NS6detail15normal_iteratorINS9_10device_ptrIxEEEESE_xNS9_4plusIxEExEEDaPvRmT3_T4_T5_mT6_P12ihipStream_tbENKUlT_T0_E_clISt17integral_constantIbLb0EESU_EEDaSP_SQ_EUlSP_E_NS1_11comp_targetILNS1_3genE10ELNS1_11target_archE1200ELNS1_3gpuE4ELNS1_3repE0EEENS1_30default_config_static_selectorELNS0_4arch9wavefront6targetE1EEEvT1_: ; @_ZN7rocprim17ROCPRIM_400000_NS6detail17trampoline_kernelINS0_14default_configENS1_20scan_config_selectorIxEEZZNS1_9scan_implILNS1_25lookback_scan_determinismE0ELb0ELb1ES3_N6thrust23THRUST_200600_302600_NS6detail15normal_iteratorINS9_10device_ptrIxEEEESE_xNS9_4plusIxEExEEDaPvRmT3_T4_T5_mT6_P12ihipStream_tbENKUlT_T0_E_clISt17integral_constantIbLb0EESU_EEDaSP_SQ_EUlSP_E_NS1_11comp_targetILNS1_3genE10ELNS1_11target_archE1200ELNS1_3gpuE4ELNS1_3repE0EEENS1_30default_config_static_selectorELNS0_4arch9wavefront6targetE1EEEvT1_
; %bb.0:
	.section	.rodata,"a",@progbits
	.p2align	6, 0x0
	.amdhsa_kernel _ZN7rocprim17ROCPRIM_400000_NS6detail17trampoline_kernelINS0_14default_configENS1_20scan_config_selectorIxEEZZNS1_9scan_implILNS1_25lookback_scan_determinismE0ELb0ELb1ES3_N6thrust23THRUST_200600_302600_NS6detail15normal_iteratorINS9_10device_ptrIxEEEESE_xNS9_4plusIxEExEEDaPvRmT3_T4_T5_mT6_P12ihipStream_tbENKUlT_T0_E_clISt17integral_constantIbLb0EESU_EEDaSP_SQ_EUlSP_E_NS1_11comp_targetILNS1_3genE10ELNS1_11target_archE1200ELNS1_3gpuE4ELNS1_3repE0EEENS1_30default_config_static_selectorELNS0_4arch9wavefront6targetE1EEEvT1_
		.amdhsa_group_segment_fixed_size 0
		.amdhsa_private_segment_fixed_size 0
		.amdhsa_kernarg_size 104
		.amdhsa_user_sgpr_count 6
		.amdhsa_user_sgpr_private_segment_buffer 1
		.amdhsa_user_sgpr_dispatch_ptr 0
		.amdhsa_user_sgpr_queue_ptr 0
		.amdhsa_user_sgpr_kernarg_segment_ptr 1
		.amdhsa_user_sgpr_dispatch_id 0
		.amdhsa_user_sgpr_flat_scratch_init 0
		.amdhsa_user_sgpr_kernarg_preload_length 0
		.amdhsa_user_sgpr_kernarg_preload_offset 0
		.amdhsa_user_sgpr_private_segment_size 0
		.amdhsa_uses_dynamic_stack 0
		.amdhsa_system_sgpr_private_segment_wavefront_offset 0
		.amdhsa_system_sgpr_workgroup_id_x 1
		.amdhsa_system_sgpr_workgroup_id_y 0
		.amdhsa_system_sgpr_workgroup_id_z 0
		.amdhsa_system_sgpr_workgroup_info 0
		.amdhsa_system_vgpr_workitem_id 0
		.amdhsa_next_free_vgpr 1
		.amdhsa_next_free_sgpr 0
		.amdhsa_accum_offset 4
		.amdhsa_reserve_vcc 0
		.amdhsa_reserve_flat_scratch 0
		.amdhsa_float_round_mode_32 0
		.amdhsa_float_round_mode_16_64 0
		.amdhsa_float_denorm_mode_32 3
		.amdhsa_float_denorm_mode_16_64 3
		.amdhsa_dx10_clamp 1
		.amdhsa_ieee_mode 1
		.amdhsa_fp16_overflow 0
		.amdhsa_tg_split 0
		.amdhsa_exception_fp_ieee_invalid_op 0
		.amdhsa_exception_fp_denorm_src 0
		.amdhsa_exception_fp_ieee_div_zero 0
		.amdhsa_exception_fp_ieee_overflow 0
		.amdhsa_exception_fp_ieee_underflow 0
		.amdhsa_exception_fp_ieee_inexact 0
		.amdhsa_exception_int_div_zero 0
	.end_amdhsa_kernel
	.section	.text._ZN7rocprim17ROCPRIM_400000_NS6detail17trampoline_kernelINS0_14default_configENS1_20scan_config_selectorIxEEZZNS1_9scan_implILNS1_25lookback_scan_determinismE0ELb0ELb1ES3_N6thrust23THRUST_200600_302600_NS6detail15normal_iteratorINS9_10device_ptrIxEEEESE_xNS9_4plusIxEExEEDaPvRmT3_T4_T5_mT6_P12ihipStream_tbENKUlT_T0_E_clISt17integral_constantIbLb0EESU_EEDaSP_SQ_EUlSP_E_NS1_11comp_targetILNS1_3genE10ELNS1_11target_archE1200ELNS1_3gpuE4ELNS1_3repE0EEENS1_30default_config_static_selectorELNS0_4arch9wavefront6targetE1EEEvT1_,"axG",@progbits,_ZN7rocprim17ROCPRIM_400000_NS6detail17trampoline_kernelINS0_14default_configENS1_20scan_config_selectorIxEEZZNS1_9scan_implILNS1_25lookback_scan_determinismE0ELb0ELb1ES3_N6thrust23THRUST_200600_302600_NS6detail15normal_iteratorINS9_10device_ptrIxEEEESE_xNS9_4plusIxEExEEDaPvRmT3_T4_T5_mT6_P12ihipStream_tbENKUlT_T0_E_clISt17integral_constantIbLb0EESU_EEDaSP_SQ_EUlSP_E_NS1_11comp_targetILNS1_3genE10ELNS1_11target_archE1200ELNS1_3gpuE4ELNS1_3repE0EEENS1_30default_config_static_selectorELNS0_4arch9wavefront6targetE1EEEvT1_,comdat
.Lfunc_end420:
	.size	_ZN7rocprim17ROCPRIM_400000_NS6detail17trampoline_kernelINS0_14default_configENS1_20scan_config_selectorIxEEZZNS1_9scan_implILNS1_25lookback_scan_determinismE0ELb0ELb1ES3_N6thrust23THRUST_200600_302600_NS6detail15normal_iteratorINS9_10device_ptrIxEEEESE_xNS9_4plusIxEExEEDaPvRmT3_T4_T5_mT6_P12ihipStream_tbENKUlT_T0_E_clISt17integral_constantIbLb0EESU_EEDaSP_SQ_EUlSP_E_NS1_11comp_targetILNS1_3genE10ELNS1_11target_archE1200ELNS1_3gpuE4ELNS1_3repE0EEENS1_30default_config_static_selectorELNS0_4arch9wavefront6targetE1EEEvT1_, .Lfunc_end420-_ZN7rocprim17ROCPRIM_400000_NS6detail17trampoline_kernelINS0_14default_configENS1_20scan_config_selectorIxEEZZNS1_9scan_implILNS1_25lookback_scan_determinismE0ELb0ELb1ES3_N6thrust23THRUST_200600_302600_NS6detail15normal_iteratorINS9_10device_ptrIxEEEESE_xNS9_4plusIxEExEEDaPvRmT3_T4_T5_mT6_P12ihipStream_tbENKUlT_T0_E_clISt17integral_constantIbLb0EESU_EEDaSP_SQ_EUlSP_E_NS1_11comp_targetILNS1_3genE10ELNS1_11target_archE1200ELNS1_3gpuE4ELNS1_3repE0EEENS1_30default_config_static_selectorELNS0_4arch9wavefront6targetE1EEEvT1_
                                        ; -- End function
	.section	.AMDGPU.csdata,"",@progbits
; Kernel info:
; codeLenInByte = 0
; NumSgprs: 4
; NumVgprs: 0
; NumAgprs: 0
; TotalNumVgprs: 0
; ScratchSize: 0
; MemoryBound: 0
; FloatMode: 240
; IeeeMode: 1
; LDSByteSize: 0 bytes/workgroup (compile time only)
; SGPRBlocks: 0
; VGPRBlocks: 0
; NumSGPRsForWavesPerEU: 4
; NumVGPRsForWavesPerEU: 1
; AccumOffset: 4
; Occupancy: 8
; WaveLimiterHint : 0
; COMPUTE_PGM_RSRC2:SCRATCH_EN: 0
; COMPUTE_PGM_RSRC2:USER_SGPR: 6
; COMPUTE_PGM_RSRC2:TRAP_HANDLER: 0
; COMPUTE_PGM_RSRC2:TGID_X_EN: 1
; COMPUTE_PGM_RSRC2:TGID_Y_EN: 0
; COMPUTE_PGM_RSRC2:TGID_Z_EN: 0
; COMPUTE_PGM_RSRC2:TIDIG_COMP_CNT: 0
; COMPUTE_PGM_RSRC3_GFX90A:ACCUM_OFFSET: 0
; COMPUTE_PGM_RSRC3_GFX90A:TG_SPLIT: 0
	.section	.text._ZN7rocprim17ROCPRIM_400000_NS6detail17trampoline_kernelINS0_14default_configENS1_20scan_config_selectorIxEEZZNS1_9scan_implILNS1_25lookback_scan_determinismE0ELb0ELb1ES3_N6thrust23THRUST_200600_302600_NS6detail15normal_iteratorINS9_10device_ptrIxEEEESE_xNS9_4plusIxEExEEDaPvRmT3_T4_T5_mT6_P12ihipStream_tbENKUlT_T0_E_clISt17integral_constantIbLb0EESU_EEDaSP_SQ_EUlSP_E_NS1_11comp_targetILNS1_3genE9ELNS1_11target_archE1100ELNS1_3gpuE3ELNS1_3repE0EEENS1_30default_config_static_selectorELNS0_4arch9wavefront6targetE1EEEvT1_,"axG",@progbits,_ZN7rocprim17ROCPRIM_400000_NS6detail17trampoline_kernelINS0_14default_configENS1_20scan_config_selectorIxEEZZNS1_9scan_implILNS1_25lookback_scan_determinismE0ELb0ELb1ES3_N6thrust23THRUST_200600_302600_NS6detail15normal_iteratorINS9_10device_ptrIxEEEESE_xNS9_4plusIxEExEEDaPvRmT3_T4_T5_mT6_P12ihipStream_tbENKUlT_T0_E_clISt17integral_constantIbLb0EESU_EEDaSP_SQ_EUlSP_E_NS1_11comp_targetILNS1_3genE9ELNS1_11target_archE1100ELNS1_3gpuE3ELNS1_3repE0EEENS1_30default_config_static_selectorELNS0_4arch9wavefront6targetE1EEEvT1_,comdat
	.protected	_ZN7rocprim17ROCPRIM_400000_NS6detail17trampoline_kernelINS0_14default_configENS1_20scan_config_selectorIxEEZZNS1_9scan_implILNS1_25lookback_scan_determinismE0ELb0ELb1ES3_N6thrust23THRUST_200600_302600_NS6detail15normal_iteratorINS9_10device_ptrIxEEEESE_xNS9_4plusIxEExEEDaPvRmT3_T4_T5_mT6_P12ihipStream_tbENKUlT_T0_E_clISt17integral_constantIbLb0EESU_EEDaSP_SQ_EUlSP_E_NS1_11comp_targetILNS1_3genE9ELNS1_11target_archE1100ELNS1_3gpuE3ELNS1_3repE0EEENS1_30default_config_static_selectorELNS0_4arch9wavefront6targetE1EEEvT1_ ; -- Begin function _ZN7rocprim17ROCPRIM_400000_NS6detail17trampoline_kernelINS0_14default_configENS1_20scan_config_selectorIxEEZZNS1_9scan_implILNS1_25lookback_scan_determinismE0ELb0ELb1ES3_N6thrust23THRUST_200600_302600_NS6detail15normal_iteratorINS9_10device_ptrIxEEEESE_xNS9_4plusIxEExEEDaPvRmT3_T4_T5_mT6_P12ihipStream_tbENKUlT_T0_E_clISt17integral_constantIbLb0EESU_EEDaSP_SQ_EUlSP_E_NS1_11comp_targetILNS1_3genE9ELNS1_11target_archE1100ELNS1_3gpuE3ELNS1_3repE0EEENS1_30default_config_static_selectorELNS0_4arch9wavefront6targetE1EEEvT1_
	.globl	_ZN7rocprim17ROCPRIM_400000_NS6detail17trampoline_kernelINS0_14default_configENS1_20scan_config_selectorIxEEZZNS1_9scan_implILNS1_25lookback_scan_determinismE0ELb0ELb1ES3_N6thrust23THRUST_200600_302600_NS6detail15normal_iteratorINS9_10device_ptrIxEEEESE_xNS9_4plusIxEExEEDaPvRmT3_T4_T5_mT6_P12ihipStream_tbENKUlT_T0_E_clISt17integral_constantIbLb0EESU_EEDaSP_SQ_EUlSP_E_NS1_11comp_targetILNS1_3genE9ELNS1_11target_archE1100ELNS1_3gpuE3ELNS1_3repE0EEENS1_30default_config_static_selectorELNS0_4arch9wavefront6targetE1EEEvT1_
	.p2align	8
	.type	_ZN7rocprim17ROCPRIM_400000_NS6detail17trampoline_kernelINS0_14default_configENS1_20scan_config_selectorIxEEZZNS1_9scan_implILNS1_25lookback_scan_determinismE0ELb0ELb1ES3_N6thrust23THRUST_200600_302600_NS6detail15normal_iteratorINS9_10device_ptrIxEEEESE_xNS9_4plusIxEExEEDaPvRmT3_T4_T5_mT6_P12ihipStream_tbENKUlT_T0_E_clISt17integral_constantIbLb0EESU_EEDaSP_SQ_EUlSP_E_NS1_11comp_targetILNS1_3genE9ELNS1_11target_archE1100ELNS1_3gpuE3ELNS1_3repE0EEENS1_30default_config_static_selectorELNS0_4arch9wavefront6targetE1EEEvT1_,@function
_ZN7rocprim17ROCPRIM_400000_NS6detail17trampoline_kernelINS0_14default_configENS1_20scan_config_selectorIxEEZZNS1_9scan_implILNS1_25lookback_scan_determinismE0ELb0ELb1ES3_N6thrust23THRUST_200600_302600_NS6detail15normal_iteratorINS9_10device_ptrIxEEEESE_xNS9_4plusIxEExEEDaPvRmT3_T4_T5_mT6_P12ihipStream_tbENKUlT_T0_E_clISt17integral_constantIbLb0EESU_EEDaSP_SQ_EUlSP_E_NS1_11comp_targetILNS1_3genE9ELNS1_11target_archE1100ELNS1_3gpuE3ELNS1_3repE0EEENS1_30default_config_static_selectorELNS0_4arch9wavefront6targetE1EEEvT1_: ; @_ZN7rocprim17ROCPRIM_400000_NS6detail17trampoline_kernelINS0_14default_configENS1_20scan_config_selectorIxEEZZNS1_9scan_implILNS1_25lookback_scan_determinismE0ELb0ELb1ES3_N6thrust23THRUST_200600_302600_NS6detail15normal_iteratorINS9_10device_ptrIxEEEESE_xNS9_4plusIxEExEEDaPvRmT3_T4_T5_mT6_P12ihipStream_tbENKUlT_T0_E_clISt17integral_constantIbLb0EESU_EEDaSP_SQ_EUlSP_E_NS1_11comp_targetILNS1_3genE9ELNS1_11target_archE1100ELNS1_3gpuE3ELNS1_3repE0EEENS1_30default_config_static_selectorELNS0_4arch9wavefront6targetE1EEEvT1_
; %bb.0:
	.section	.rodata,"a",@progbits
	.p2align	6, 0x0
	.amdhsa_kernel _ZN7rocprim17ROCPRIM_400000_NS6detail17trampoline_kernelINS0_14default_configENS1_20scan_config_selectorIxEEZZNS1_9scan_implILNS1_25lookback_scan_determinismE0ELb0ELb1ES3_N6thrust23THRUST_200600_302600_NS6detail15normal_iteratorINS9_10device_ptrIxEEEESE_xNS9_4plusIxEExEEDaPvRmT3_T4_T5_mT6_P12ihipStream_tbENKUlT_T0_E_clISt17integral_constantIbLb0EESU_EEDaSP_SQ_EUlSP_E_NS1_11comp_targetILNS1_3genE9ELNS1_11target_archE1100ELNS1_3gpuE3ELNS1_3repE0EEENS1_30default_config_static_selectorELNS0_4arch9wavefront6targetE1EEEvT1_
		.amdhsa_group_segment_fixed_size 0
		.amdhsa_private_segment_fixed_size 0
		.amdhsa_kernarg_size 104
		.amdhsa_user_sgpr_count 6
		.amdhsa_user_sgpr_private_segment_buffer 1
		.amdhsa_user_sgpr_dispatch_ptr 0
		.amdhsa_user_sgpr_queue_ptr 0
		.amdhsa_user_sgpr_kernarg_segment_ptr 1
		.amdhsa_user_sgpr_dispatch_id 0
		.amdhsa_user_sgpr_flat_scratch_init 0
		.amdhsa_user_sgpr_kernarg_preload_length 0
		.amdhsa_user_sgpr_kernarg_preload_offset 0
		.amdhsa_user_sgpr_private_segment_size 0
		.amdhsa_uses_dynamic_stack 0
		.amdhsa_system_sgpr_private_segment_wavefront_offset 0
		.amdhsa_system_sgpr_workgroup_id_x 1
		.amdhsa_system_sgpr_workgroup_id_y 0
		.amdhsa_system_sgpr_workgroup_id_z 0
		.amdhsa_system_sgpr_workgroup_info 0
		.amdhsa_system_vgpr_workitem_id 0
		.amdhsa_next_free_vgpr 1
		.amdhsa_next_free_sgpr 0
		.amdhsa_accum_offset 4
		.amdhsa_reserve_vcc 0
		.amdhsa_reserve_flat_scratch 0
		.amdhsa_float_round_mode_32 0
		.amdhsa_float_round_mode_16_64 0
		.amdhsa_float_denorm_mode_32 3
		.amdhsa_float_denorm_mode_16_64 3
		.amdhsa_dx10_clamp 1
		.amdhsa_ieee_mode 1
		.amdhsa_fp16_overflow 0
		.amdhsa_tg_split 0
		.amdhsa_exception_fp_ieee_invalid_op 0
		.amdhsa_exception_fp_denorm_src 0
		.amdhsa_exception_fp_ieee_div_zero 0
		.amdhsa_exception_fp_ieee_overflow 0
		.amdhsa_exception_fp_ieee_underflow 0
		.amdhsa_exception_fp_ieee_inexact 0
		.amdhsa_exception_int_div_zero 0
	.end_amdhsa_kernel
	.section	.text._ZN7rocprim17ROCPRIM_400000_NS6detail17trampoline_kernelINS0_14default_configENS1_20scan_config_selectorIxEEZZNS1_9scan_implILNS1_25lookback_scan_determinismE0ELb0ELb1ES3_N6thrust23THRUST_200600_302600_NS6detail15normal_iteratorINS9_10device_ptrIxEEEESE_xNS9_4plusIxEExEEDaPvRmT3_T4_T5_mT6_P12ihipStream_tbENKUlT_T0_E_clISt17integral_constantIbLb0EESU_EEDaSP_SQ_EUlSP_E_NS1_11comp_targetILNS1_3genE9ELNS1_11target_archE1100ELNS1_3gpuE3ELNS1_3repE0EEENS1_30default_config_static_selectorELNS0_4arch9wavefront6targetE1EEEvT1_,"axG",@progbits,_ZN7rocprim17ROCPRIM_400000_NS6detail17trampoline_kernelINS0_14default_configENS1_20scan_config_selectorIxEEZZNS1_9scan_implILNS1_25lookback_scan_determinismE0ELb0ELb1ES3_N6thrust23THRUST_200600_302600_NS6detail15normal_iteratorINS9_10device_ptrIxEEEESE_xNS9_4plusIxEExEEDaPvRmT3_T4_T5_mT6_P12ihipStream_tbENKUlT_T0_E_clISt17integral_constantIbLb0EESU_EEDaSP_SQ_EUlSP_E_NS1_11comp_targetILNS1_3genE9ELNS1_11target_archE1100ELNS1_3gpuE3ELNS1_3repE0EEENS1_30default_config_static_selectorELNS0_4arch9wavefront6targetE1EEEvT1_,comdat
.Lfunc_end421:
	.size	_ZN7rocprim17ROCPRIM_400000_NS6detail17trampoline_kernelINS0_14default_configENS1_20scan_config_selectorIxEEZZNS1_9scan_implILNS1_25lookback_scan_determinismE0ELb0ELb1ES3_N6thrust23THRUST_200600_302600_NS6detail15normal_iteratorINS9_10device_ptrIxEEEESE_xNS9_4plusIxEExEEDaPvRmT3_T4_T5_mT6_P12ihipStream_tbENKUlT_T0_E_clISt17integral_constantIbLb0EESU_EEDaSP_SQ_EUlSP_E_NS1_11comp_targetILNS1_3genE9ELNS1_11target_archE1100ELNS1_3gpuE3ELNS1_3repE0EEENS1_30default_config_static_selectorELNS0_4arch9wavefront6targetE1EEEvT1_, .Lfunc_end421-_ZN7rocprim17ROCPRIM_400000_NS6detail17trampoline_kernelINS0_14default_configENS1_20scan_config_selectorIxEEZZNS1_9scan_implILNS1_25lookback_scan_determinismE0ELb0ELb1ES3_N6thrust23THRUST_200600_302600_NS6detail15normal_iteratorINS9_10device_ptrIxEEEESE_xNS9_4plusIxEExEEDaPvRmT3_T4_T5_mT6_P12ihipStream_tbENKUlT_T0_E_clISt17integral_constantIbLb0EESU_EEDaSP_SQ_EUlSP_E_NS1_11comp_targetILNS1_3genE9ELNS1_11target_archE1100ELNS1_3gpuE3ELNS1_3repE0EEENS1_30default_config_static_selectorELNS0_4arch9wavefront6targetE1EEEvT1_
                                        ; -- End function
	.section	.AMDGPU.csdata,"",@progbits
; Kernel info:
; codeLenInByte = 0
; NumSgprs: 4
; NumVgprs: 0
; NumAgprs: 0
; TotalNumVgprs: 0
; ScratchSize: 0
; MemoryBound: 0
; FloatMode: 240
; IeeeMode: 1
; LDSByteSize: 0 bytes/workgroup (compile time only)
; SGPRBlocks: 0
; VGPRBlocks: 0
; NumSGPRsForWavesPerEU: 4
; NumVGPRsForWavesPerEU: 1
; AccumOffset: 4
; Occupancy: 8
; WaveLimiterHint : 0
; COMPUTE_PGM_RSRC2:SCRATCH_EN: 0
; COMPUTE_PGM_RSRC2:USER_SGPR: 6
; COMPUTE_PGM_RSRC2:TRAP_HANDLER: 0
; COMPUTE_PGM_RSRC2:TGID_X_EN: 1
; COMPUTE_PGM_RSRC2:TGID_Y_EN: 0
; COMPUTE_PGM_RSRC2:TGID_Z_EN: 0
; COMPUTE_PGM_RSRC2:TIDIG_COMP_CNT: 0
; COMPUTE_PGM_RSRC3_GFX90A:ACCUM_OFFSET: 0
; COMPUTE_PGM_RSRC3_GFX90A:TG_SPLIT: 0
	.section	.text._ZN7rocprim17ROCPRIM_400000_NS6detail17trampoline_kernelINS0_14default_configENS1_20scan_config_selectorIxEEZZNS1_9scan_implILNS1_25lookback_scan_determinismE0ELb0ELb1ES3_N6thrust23THRUST_200600_302600_NS6detail15normal_iteratorINS9_10device_ptrIxEEEESE_xNS9_4plusIxEExEEDaPvRmT3_T4_T5_mT6_P12ihipStream_tbENKUlT_T0_E_clISt17integral_constantIbLb0EESU_EEDaSP_SQ_EUlSP_E_NS1_11comp_targetILNS1_3genE8ELNS1_11target_archE1030ELNS1_3gpuE2ELNS1_3repE0EEENS1_30default_config_static_selectorELNS0_4arch9wavefront6targetE1EEEvT1_,"axG",@progbits,_ZN7rocprim17ROCPRIM_400000_NS6detail17trampoline_kernelINS0_14default_configENS1_20scan_config_selectorIxEEZZNS1_9scan_implILNS1_25lookback_scan_determinismE0ELb0ELb1ES3_N6thrust23THRUST_200600_302600_NS6detail15normal_iteratorINS9_10device_ptrIxEEEESE_xNS9_4plusIxEExEEDaPvRmT3_T4_T5_mT6_P12ihipStream_tbENKUlT_T0_E_clISt17integral_constantIbLb0EESU_EEDaSP_SQ_EUlSP_E_NS1_11comp_targetILNS1_3genE8ELNS1_11target_archE1030ELNS1_3gpuE2ELNS1_3repE0EEENS1_30default_config_static_selectorELNS0_4arch9wavefront6targetE1EEEvT1_,comdat
	.protected	_ZN7rocprim17ROCPRIM_400000_NS6detail17trampoline_kernelINS0_14default_configENS1_20scan_config_selectorIxEEZZNS1_9scan_implILNS1_25lookback_scan_determinismE0ELb0ELb1ES3_N6thrust23THRUST_200600_302600_NS6detail15normal_iteratorINS9_10device_ptrIxEEEESE_xNS9_4plusIxEExEEDaPvRmT3_T4_T5_mT6_P12ihipStream_tbENKUlT_T0_E_clISt17integral_constantIbLb0EESU_EEDaSP_SQ_EUlSP_E_NS1_11comp_targetILNS1_3genE8ELNS1_11target_archE1030ELNS1_3gpuE2ELNS1_3repE0EEENS1_30default_config_static_selectorELNS0_4arch9wavefront6targetE1EEEvT1_ ; -- Begin function _ZN7rocprim17ROCPRIM_400000_NS6detail17trampoline_kernelINS0_14default_configENS1_20scan_config_selectorIxEEZZNS1_9scan_implILNS1_25lookback_scan_determinismE0ELb0ELb1ES3_N6thrust23THRUST_200600_302600_NS6detail15normal_iteratorINS9_10device_ptrIxEEEESE_xNS9_4plusIxEExEEDaPvRmT3_T4_T5_mT6_P12ihipStream_tbENKUlT_T0_E_clISt17integral_constantIbLb0EESU_EEDaSP_SQ_EUlSP_E_NS1_11comp_targetILNS1_3genE8ELNS1_11target_archE1030ELNS1_3gpuE2ELNS1_3repE0EEENS1_30default_config_static_selectorELNS0_4arch9wavefront6targetE1EEEvT1_
	.globl	_ZN7rocprim17ROCPRIM_400000_NS6detail17trampoline_kernelINS0_14default_configENS1_20scan_config_selectorIxEEZZNS1_9scan_implILNS1_25lookback_scan_determinismE0ELb0ELb1ES3_N6thrust23THRUST_200600_302600_NS6detail15normal_iteratorINS9_10device_ptrIxEEEESE_xNS9_4plusIxEExEEDaPvRmT3_T4_T5_mT6_P12ihipStream_tbENKUlT_T0_E_clISt17integral_constantIbLb0EESU_EEDaSP_SQ_EUlSP_E_NS1_11comp_targetILNS1_3genE8ELNS1_11target_archE1030ELNS1_3gpuE2ELNS1_3repE0EEENS1_30default_config_static_selectorELNS0_4arch9wavefront6targetE1EEEvT1_
	.p2align	8
	.type	_ZN7rocprim17ROCPRIM_400000_NS6detail17trampoline_kernelINS0_14default_configENS1_20scan_config_selectorIxEEZZNS1_9scan_implILNS1_25lookback_scan_determinismE0ELb0ELb1ES3_N6thrust23THRUST_200600_302600_NS6detail15normal_iteratorINS9_10device_ptrIxEEEESE_xNS9_4plusIxEExEEDaPvRmT3_T4_T5_mT6_P12ihipStream_tbENKUlT_T0_E_clISt17integral_constantIbLb0EESU_EEDaSP_SQ_EUlSP_E_NS1_11comp_targetILNS1_3genE8ELNS1_11target_archE1030ELNS1_3gpuE2ELNS1_3repE0EEENS1_30default_config_static_selectorELNS0_4arch9wavefront6targetE1EEEvT1_,@function
_ZN7rocprim17ROCPRIM_400000_NS6detail17trampoline_kernelINS0_14default_configENS1_20scan_config_selectorIxEEZZNS1_9scan_implILNS1_25lookback_scan_determinismE0ELb0ELb1ES3_N6thrust23THRUST_200600_302600_NS6detail15normal_iteratorINS9_10device_ptrIxEEEESE_xNS9_4plusIxEExEEDaPvRmT3_T4_T5_mT6_P12ihipStream_tbENKUlT_T0_E_clISt17integral_constantIbLb0EESU_EEDaSP_SQ_EUlSP_E_NS1_11comp_targetILNS1_3genE8ELNS1_11target_archE1030ELNS1_3gpuE2ELNS1_3repE0EEENS1_30default_config_static_selectorELNS0_4arch9wavefront6targetE1EEEvT1_: ; @_ZN7rocprim17ROCPRIM_400000_NS6detail17trampoline_kernelINS0_14default_configENS1_20scan_config_selectorIxEEZZNS1_9scan_implILNS1_25lookback_scan_determinismE0ELb0ELb1ES3_N6thrust23THRUST_200600_302600_NS6detail15normal_iteratorINS9_10device_ptrIxEEEESE_xNS9_4plusIxEExEEDaPvRmT3_T4_T5_mT6_P12ihipStream_tbENKUlT_T0_E_clISt17integral_constantIbLb0EESU_EEDaSP_SQ_EUlSP_E_NS1_11comp_targetILNS1_3genE8ELNS1_11target_archE1030ELNS1_3gpuE2ELNS1_3repE0EEENS1_30default_config_static_selectorELNS0_4arch9wavefront6targetE1EEEvT1_
; %bb.0:
	.section	.rodata,"a",@progbits
	.p2align	6, 0x0
	.amdhsa_kernel _ZN7rocprim17ROCPRIM_400000_NS6detail17trampoline_kernelINS0_14default_configENS1_20scan_config_selectorIxEEZZNS1_9scan_implILNS1_25lookback_scan_determinismE0ELb0ELb1ES3_N6thrust23THRUST_200600_302600_NS6detail15normal_iteratorINS9_10device_ptrIxEEEESE_xNS9_4plusIxEExEEDaPvRmT3_T4_T5_mT6_P12ihipStream_tbENKUlT_T0_E_clISt17integral_constantIbLb0EESU_EEDaSP_SQ_EUlSP_E_NS1_11comp_targetILNS1_3genE8ELNS1_11target_archE1030ELNS1_3gpuE2ELNS1_3repE0EEENS1_30default_config_static_selectorELNS0_4arch9wavefront6targetE1EEEvT1_
		.amdhsa_group_segment_fixed_size 0
		.amdhsa_private_segment_fixed_size 0
		.amdhsa_kernarg_size 104
		.amdhsa_user_sgpr_count 6
		.amdhsa_user_sgpr_private_segment_buffer 1
		.amdhsa_user_sgpr_dispatch_ptr 0
		.amdhsa_user_sgpr_queue_ptr 0
		.amdhsa_user_sgpr_kernarg_segment_ptr 1
		.amdhsa_user_sgpr_dispatch_id 0
		.amdhsa_user_sgpr_flat_scratch_init 0
		.amdhsa_user_sgpr_kernarg_preload_length 0
		.amdhsa_user_sgpr_kernarg_preload_offset 0
		.amdhsa_user_sgpr_private_segment_size 0
		.amdhsa_uses_dynamic_stack 0
		.amdhsa_system_sgpr_private_segment_wavefront_offset 0
		.amdhsa_system_sgpr_workgroup_id_x 1
		.amdhsa_system_sgpr_workgroup_id_y 0
		.amdhsa_system_sgpr_workgroup_id_z 0
		.amdhsa_system_sgpr_workgroup_info 0
		.amdhsa_system_vgpr_workitem_id 0
		.amdhsa_next_free_vgpr 1
		.amdhsa_next_free_sgpr 0
		.amdhsa_accum_offset 4
		.amdhsa_reserve_vcc 0
		.amdhsa_reserve_flat_scratch 0
		.amdhsa_float_round_mode_32 0
		.amdhsa_float_round_mode_16_64 0
		.amdhsa_float_denorm_mode_32 3
		.amdhsa_float_denorm_mode_16_64 3
		.amdhsa_dx10_clamp 1
		.amdhsa_ieee_mode 1
		.amdhsa_fp16_overflow 0
		.amdhsa_tg_split 0
		.amdhsa_exception_fp_ieee_invalid_op 0
		.amdhsa_exception_fp_denorm_src 0
		.amdhsa_exception_fp_ieee_div_zero 0
		.amdhsa_exception_fp_ieee_overflow 0
		.amdhsa_exception_fp_ieee_underflow 0
		.amdhsa_exception_fp_ieee_inexact 0
		.amdhsa_exception_int_div_zero 0
	.end_amdhsa_kernel
	.section	.text._ZN7rocprim17ROCPRIM_400000_NS6detail17trampoline_kernelINS0_14default_configENS1_20scan_config_selectorIxEEZZNS1_9scan_implILNS1_25lookback_scan_determinismE0ELb0ELb1ES3_N6thrust23THRUST_200600_302600_NS6detail15normal_iteratorINS9_10device_ptrIxEEEESE_xNS9_4plusIxEExEEDaPvRmT3_T4_T5_mT6_P12ihipStream_tbENKUlT_T0_E_clISt17integral_constantIbLb0EESU_EEDaSP_SQ_EUlSP_E_NS1_11comp_targetILNS1_3genE8ELNS1_11target_archE1030ELNS1_3gpuE2ELNS1_3repE0EEENS1_30default_config_static_selectorELNS0_4arch9wavefront6targetE1EEEvT1_,"axG",@progbits,_ZN7rocprim17ROCPRIM_400000_NS6detail17trampoline_kernelINS0_14default_configENS1_20scan_config_selectorIxEEZZNS1_9scan_implILNS1_25lookback_scan_determinismE0ELb0ELb1ES3_N6thrust23THRUST_200600_302600_NS6detail15normal_iteratorINS9_10device_ptrIxEEEESE_xNS9_4plusIxEExEEDaPvRmT3_T4_T5_mT6_P12ihipStream_tbENKUlT_T0_E_clISt17integral_constantIbLb0EESU_EEDaSP_SQ_EUlSP_E_NS1_11comp_targetILNS1_3genE8ELNS1_11target_archE1030ELNS1_3gpuE2ELNS1_3repE0EEENS1_30default_config_static_selectorELNS0_4arch9wavefront6targetE1EEEvT1_,comdat
.Lfunc_end422:
	.size	_ZN7rocprim17ROCPRIM_400000_NS6detail17trampoline_kernelINS0_14default_configENS1_20scan_config_selectorIxEEZZNS1_9scan_implILNS1_25lookback_scan_determinismE0ELb0ELb1ES3_N6thrust23THRUST_200600_302600_NS6detail15normal_iteratorINS9_10device_ptrIxEEEESE_xNS9_4plusIxEExEEDaPvRmT3_T4_T5_mT6_P12ihipStream_tbENKUlT_T0_E_clISt17integral_constantIbLb0EESU_EEDaSP_SQ_EUlSP_E_NS1_11comp_targetILNS1_3genE8ELNS1_11target_archE1030ELNS1_3gpuE2ELNS1_3repE0EEENS1_30default_config_static_selectorELNS0_4arch9wavefront6targetE1EEEvT1_, .Lfunc_end422-_ZN7rocprim17ROCPRIM_400000_NS6detail17trampoline_kernelINS0_14default_configENS1_20scan_config_selectorIxEEZZNS1_9scan_implILNS1_25lookback_scan_determinismE0ELb0ELb1ES3_N6thrust23THRUST_200600_302600_NS6detail15normal_iteratorINS9_10device_ptrIxEEEESE_xNS9_4plusIxEExEEDaPvRmT3_T4_T5_mT6_P12ihipStream_tbENKUlT_T0_E_clISt17integral_constantIbLb0EESU_EEDaSP_SQ_EUlSP_E_NS1_11comp_targetILNS1_3genE8ELNS1_11target_archE1030ELNS1_3gpuE2ELNS1_3repE0EEENS1_30default_config_static_selectorELNS0_4arch9wavefront6targetE1EEEvT1_
                                        ; -- End function
	.section	.AMDGPU.csdata,"",@progbits
; Kernel info:
; codeLenInByte = 0
; NumSgprs: 4
; NumVgprs: 0
; NumAgprs: 0
; TotalNumVgprs: 0
; ScratchSize: 0
; MemoryBound: 0
; FloatMode: 240
; IeeeMode: 1
; LDSByteSize: 0 bytes/workgroup (compile time only)
; SGPRBlocks: 0
; VGPRBlocks: 0
; NumSGPRsForWavesPerEU: 4
; NumVGPRsForWavesPerEU: 1
; AccumOffset: 4
; Occupancy: 8
; WaveLimiterHint : 0
; COMPUTE_PGM_RSRC2:SCRATCH_EN: 0
; COMPUTE_PGM_RSRC2:USER_SGPR: 6
; COMPUTE_PGM_RSRC2:TRAP_HANDLER: 0
; COMPUTE_PGM_RSRC2:TGID_X_EN: 1
; COMPUTE_PGM_RSRC2:TGID_Y_EN: 0
; COMPUTE_PGM_RSRC2:TGID_Z_EN: 0
; COMPUTE_PGM_RSRC2:TIDIG_COMP_CNT: 0
; COMPUTE_PGM_RSRC3_GFX90A:ACCUM_OFFSET: 0
; COMPUTE_PGM_RSRC3_GFX90A:TG_SPLIT: 0
	.section	.text._ZN7rocprim17ROCPRIM_400000_NS6detail17trampoline_kernelINS0_14default_configENS1_20scan_config_selectorIxEEZZNS1_9scan_implILNS1_25lookback_scan_determinismE0ELb0ELb1ES3_N6thrust23THRUST_200600_302600_NS6detail15normal_iteratorINS9_10device_ptrIxEEEESE_xNS9_4plusIxEExEEDaPvRmT3_T4_T5_mT6_P12ihipStream_tbENKUlT_T0_E_clISt17integral_constantIbLb0EESU_EEDaSP_SQ_EUlSP_E0_NS1_11comp_targetILNS1_3genE0ELNS1_11target_archE4294967295ELNS1_3gpuE0ELNS1_3repE0EEENS1_30default_config_static_selectorELNS0_4arch9wavefront6targetE1EEEvT1_,"axG",@progbits,_ZN7rocprim17ROCPRIM_400000_NS6detail17trampoline_kernelINS0_14default_configENS1_20scan_config_selectorIxEEZZNS1_9scan_implILNS1_25lookback_scan_determinismE0ELb0ELb1ES3_N6thrust23THRUST_200600_302600_NS6detail15normal_iteratorINS9_10device_ptrIxEEEESE_xNS9_4plusIxEExEEDaPvRmT3_T4_T5_mT6_P12ihipStream_tbENKUlT_T0_E_clISt17integral_constantIbLb0EESU_EEDaSP_SQ_EUlSP_E0_NS1_11comp_targetILNS1_3genE0ELNS1_11target_archE4294967295ELNS1_3gpuE0ELNS1_3repE0EEENS1_30default_config_static_selectorELNS0_4arch9wavefront6targetE1EEEvT1_,comdat
	.protected	_ZN7rocprim17ROCPRIM_400000_NS6detail17trampoline_kernelINS0_14default_configENS1_20scan_config_selectorIxEEZZNS1_9scan_implILNS1_25lookback_scan_determinismE0ELb0ELb1ES3_N6thrust23THRUST_200600_302600_NS6detail15normal_iteratorINS9_10device_ptrIxEEEESE_xNS9_4plusIxEExEEDaPvRmT3_T4_T5_mT6_P12ihipStream_tbENKUlT_T0_E_clISt17integral_constantIbLb0EESU_EEDaSP_SQ_EUlSP_E0_NS1_11comp_targetILNS1_3genE0ELNS1_11target_archE4294967295ELNS1_3gpuE0ELNS1_3repE0EEENS1_30default_config_static_selectorELNS0_4arch9wavefront6targetE1EEEvT1_ ; -- Begin function _ZN7rocprim17ROCPRIM_400000_NS6detail17trampoline_kernelINS0_14default_configENS1_20scan_config_selectorIxEEZZNS1_9scan_implILNS1_25lookback_scan_determinismE0ELb0ELb1ES3_N6thrust23THRUST_200600_302600_NS6detail15normal_iteratorINS9_10device_ptrIxEEEESE_xNS9_4plusIxEExEEDaPvRmT3_T4_T5_mT6_P12ihipStream_tbENKUlT_T0_E_clISt17integral_constantIbLb0EESU_EEDaSP_SQ_EUlSP_E0_NS1_11comp_targetILNS1_3genE0ELNS1_11target_archE4294967295ELNS1_3gpuE0ELNS1_3repE0EEENS1_30default_config_static_selectorELNS0_4arch9wavefront6targetE1EEEvT1_
	.globl	_ZN7rocprim17ROCPRIM_400000_NS6detail17trampoline_kernelINS0_14default_configENS1_20scan_config_selectorIxEEZZNS1_9scan_implILNS1_25lookback_scan_determinismE0ELb0ELb1ES3_N6thrust23THRUST_200600_302600_NS6detail15normal_iteratorINS9_10device_ptrIxEEEESE_xNS9_4plusIxEExEEDaPvRmT3_T4_T5_mT6_P12ihipStream_tbENKUlT_T0_E_clISt17integral_constantIbLb0EESU_EEDaSP_SQ_EUlSP_E0_NS1_11comp_targetILNS1_3genE0ELNS1_11target_archE4294967295ELNS1_3gpuE0ELNS1_3repE0EEENS1_30default_config_static_selectorELNS0_4arch9wavefront6targetE1EEEvT1_
	.p2align	8
	.type	_ZN7rocprim17ROCPRIM_400000_NS6detail17trampoline_kernelINS0_14default_configENS1_20scan_config_selectorIxEEZZNS1_9scan_implILNS1_25lookback_scan_determinismE0ELb0ELb1ES3_N6thrust23THRUST_200600_302600_NS6detail15normal_iteratorINS9_10device_ptrIxEEEESE_xNS9_4plusIxEExEEDaPvRmT3_T4_T5_mT6_P12ihipStream_tbENKUlT_T0_E_clISt17integral_constantIbLb0EESU_EEDaSP_SQ_EUlSP_E0_NS1_11comp_targetILNS1_3genE0ELNS1_11target_archE4294967295ELNS1_3gpuE0ELNS1_3repE0EEENS1_30default_config_static_selectorELNS0_4arch9wavefront6targetE1EEEvT1_,@function
_ZN7rocprim17ROCPRIM_400000_NS6detail17trampoline_kernelINS0_14default_configENS1_20scan_config_selectorIxEEZZNS1_9scan_implILNS1_25lookback_scan_determinismE0ELb0ELb1ES3_N6thrust23THRUST_200600_302600_NS6detail15normal_iteratorINS9_10device_ptrIxEEEESE_xNS9_4plusIxEExEEDaPvRmT3_T4_T5_mT6_P12ihipStream_tbENKUlT_T0_E_clISt17integral_constantIbLb0EESU_EEDaSP_SQ_EUlSP_E0_NS1_11comp_targetILNS1_3genE0ELNS1_11target_archE4294967295ELNS1_3gpuE0ELNS1_3repE0EEENS1_30default_config_static_selectorELNS0_4arch9wavefront6targetE1EEEvT1_: ; @_ZN7rocprim17ROCPRIM_400000_NS6detail17trampoline_kernelINS0_14default_configENS1_20scan_config_selectorIxEEZZNS1_9scan_implILNS1_25lookback_scan_determinismE0ELb0ELb1ES3_N6thrust23THRUST_200600_302600_NS6detail15normal_iteratorINS9_10device_ptrIxEEEESE_xNS9_4plusIxEExEEDaPvRmT3_T4_T5_mT6_P12ihipStream_tbENKUlT_T0_E_clISt17integral_constantIbLb0EESU_EEDaSP_SQ_EUlSP_E0_NS1_11comp_targetILNS1_3genE0ELNS1_11target_archE4294967295ELNS1_3gpuE0ELNS1_3repE0EEENS1_30default_config_static_selectorELNS0_4arch9wavefront6targetE1EEEvT1_
; %bb.0:
	.section	.rodata,"a",@progbits
	.p2align	6, 0x0
	.amdhsa_kernel _ZN7rocprim17ROCPRIM_400000_NS6detail17trampoline_kernelINS0_14default_configENS1_20scan_config_selectorIxEEZZNS1_9scan_implILNS1_25lookback_scan_determinismE0ELb0ELb1ES3_N6thrust23THRUST_200600_302600_NS6detail15normal_iteratorINS9_10device_ptrIxEEEESE_xNS9_4plusIxEExEEDaPvRmT3_T4_T5_mT6_P12ihipStream_tbENKUlT_T0_E_clISt17integral_constantIbLb0EESU_EEDaSP_SQ_EUlSP_E0_NS1_11comp_targetILNS1_3genE0ELNS1_11target_archE4294967295ELNS1_3gpuE0ELNS1_3repE0EEENS1_30default_config_static_selectorELNS0_4arch9wavefront6targetE1EEEvT1_
		.amdhsa_group_segment_fixed_size 0
		.amdhsa_private_segment_fixed_size 0
		.amdhsa_kernarg_size 40
		.amdhsa_user_sgpr_count 6
		.amdhsa_user_sgpr_private_segment_buffer 1
		.amdhsa_user_sgpr_dispatch_ptr 0
		.amdhsa_user_sgpr_queue_ptr 0
		.amdhsa_user_sgpr_kernarg_segment_ptr 1
		.amdhsa_user_sgpr_dispatch_id 0
		.amdhsa_user_sgpr_flat_scratch_init 0
		.amdhsa_user_sgpr_kernarg_preload_length 0
		.amdhsa_user_sgpr_kernarg_preload_offset 0
		.amdhsa_user_sgpr_private_segment_size 0
		.amdhsa_uses_dynamic_stack 0
		.amdhsa_system_sgpr_private_segment_wavefront_offset 0
		.amdhsa_system_sgpr_workgroup_id_x 1
		.amdhsa_system_sgpr_workgroup_id_y 0
		.amdhsa_system_sgpr_workgroup_id_z 0
		.amdhsa_system_sgpr_workgroup_info 0
		.amdhsa_system_vgpr_workitem_id 0
		.amdhsa_next_free_vgpr 1
		.amdhsa_next_free_sgpr 0
		.amdhsa_accum_offset 4
		.amdhsa_reserve_vcc 0
		.amdhsa_reserve_flat_scratch 0
		.amdhsa_float_round_mode_32 0
		.amdhsa_float_round_mode_16_64 0
		.amdhsa_float_denorm_mode_32 3
		.amdhsa_float_denorm_mode_16_64 3
		.amdhsa_dx10_clamp 1
		.amdhsa_ieee_mode 1
		.amdhsa_fp16_overflow 0
		.amdhsa_tg_split 0
		.amdhsa_exception_fp_ieee_invalid_op 0
		.amdhsa_exception_fp_denorm_src 0
		.amdhsa_exception_fp_ieee_div_zero 0
		.amdhsa_exception_fp_ieee_overflow 0
		.amdhsa_exception_fp_ieee_underflow 0
		.amdhsa_exception_fp_ieee_inexact 0
		.amdhsa_exception_int_div_zero 0
	.end_amdhsa_kernel
	.section	.text._ZN7rocprim17ROCPRIM_400000_NS6detail17trampoline_kernelINS0_14default_configENS1_20scan_config_selectorIxEEZZNS1_9scan_implILNS1_25lookback_scan_determinismE0ELb0ELb1ES3_N6thrust23THRUST_200600_302600_NS6detail15normal_iteratorINS9_10device_ptrIxEEEESE_xNS9_4plusIxEExEEDaPvRmT3_T4_T5_mT6_P12ihipStream_tbENKUlT_T0_E_clISt17integral_constantIbLb0EESU_EEDaSP_SQ_EUlSP_E0_NS1_11comp_targetILNS1_3genE0ELNS1_11target_archE4294967295ELNS1_3gpuE0ELNS1_3repE0EEENS1_30default_config_static_selectorELNS0_4arch9wavefront6targetE1EEEvT1_,"axG",@progbits,_ZN7rocprim17ROCPRIM_400000_NS6detail17trampoline_kernelINS0_14default_configENS1_20scan_config_selectorIxEEZZNS1_9scan_implILNS1_25lookback_scan_determinismE0ELb0ELb1ES3_N6thrust23THRUST_200600_302600_NS6detail15normal_iteratorINS9_10device_ptrIxEEEESE_xNS9_4plusIxEExEEDaPvRmT3_T4_T5_mT6_P12ihipStream_tbENKUlT_T0_E_clISt17integral_constantIbLb0EESU_EEDaSP_SQ_EUlSP_E0_NS1_11comp_targetILNS1_3genE0ELNS1_11target_archE4294967295ELNS1_3gpuE0ELNS1_3repE0EEENS1_30default_config_static_selectorELNS0_4arch9wavefront6targetE1EEEvT1_,comdat
.Lfunc_end423:
	.size	_ZN7rocprim17ROCPRIM_400000_NS6detail17trampoline_kernelINS0_14default_configENS1_20scan_config_selectorIxEEZZNS1_9scan_implILNS1_25lookback_scan_determinismE0ELb0ELb1ES3_N6thrust23THRUST_200600_302600_NS6detail15normal_iteratorINS9_10device_ptrIxEEEESE_xNS9_4plusIxEExEEDaPvRmT3_T4_T5_mT6_P12ihipStream_tbENKUlT_T0_E_clISt17integral_constantIbLb0EESU_EEDaSP_SQ_EUlSP_E0_NS1_11comp_targetILNS1_3genE0ELNS1_11target_archE4294967295ELNS1_3gpuE0ELNS1_3repE0EEENS1_30default_config_static_selectorELNS0_4arch9wavefront6targetE1EEEvT1_, .Lfunc_end423-_ZN7rocprim17ROCPRIM_400000_NS6detail17trampoline_kernelINS0_14default_configENS1_20scan_config_selectorIxEEZZNS1_9scan_implILNS1_25lookback_scan_determinismE0ELb0ELb1ES3_N6thrust23THRUST_200600_302600_NS6detail15normal_iteratorINS9_10device_ptrIxEEEESE_xNS9_4plusIxEExEEDaPvRmT3_T4_T5_mT6_P12ihipStream_tbENKUlT_T0_E_clISt17integral_constantIbLb0EESU_EEDaSP_SQ_EUlSP_E0_NS1_11comp_targetILNS1_3genE0ELNS1_11target_archE4294967295ELNS1_3gpuE0ELNS1_3repE0EEENS1_30default_config_static_selectorELNS0_4arch9wavefront6targetE1EEEvT1_
                                        ; -- End function
	.section	.AMDGPU.csdata,"",@progbits
; Kernel info:
; codeLenInByte = 0
; NumSgprs: 4
; NumVgprs: 0
; NumAgprs: 0
; TotalNumVgprs: 0
; ScratchSize: 0
; MemoryBound: 0
; FloatMode: 240
; IeeeMode: 1
; LDSByteSize: 0 bytes/workgroup (compile time only)
; SGPRBlocks: 0
; VGPRBlocks: 0
; NumSGPRsForWavesPerEU: 4
; NumVGPRsForWavesPerEU: 1
; AccumOffset: 4
; Occupancy: 8
; WaveLimiterHint : 0
; COMPUTE_PGM_RSRC2:SCRATCH_EN: 0
; COMPUTE_PGM_RSRC2:USER_SGPR: 6
; COMPUTE_PGM_RSRC2:TRAP_HANDLER: 0
; COMPUTE_PGM_RSRC2:TGID_X_EN: 1
; COMPUTE_PGM_RSRC2:TGID_Y_EN: 0
; COMPUTE_PGM_RSRC2:TGID_Z_EN: 0
; COMPUTE_PGM_RSRC2:TIDIG_COMP_CNT: 0
; COMPUTE_PGM_RSRC3_GFX90A:ACCUM_OFFSET: 0
; COMPUTE_PGM_RSRC3_GFX90A:TG_SPLIT: 0
	.section	.text._ZN7rocprim17ROCPRIM_400000_NS6detail17trampoline_kernelINS0_14default_configENS1_20scan_config_selectorIxEEZZNS1_9scan_implILNS1_25lookback_scan_determinismE0ELb0ELb1ES3_N6thrust23THRUST_200600_302600_NS6detail15normal_iteratorINS9_10device_ptrIxEEEESE_xNS9_4plusIxEExEEDaPvRmT3_T4_T5_mT6_P12ihipStream_tbENKUlT_T0_E_clISt17integral_constantIbLb0EESU_EEDaSP_SQ_EUlSP_E0_NS1_11comp_targetILNS1_3genE5ELNS1_11target_archE942ELNS1_3gpuE9ELNS1_3repE0EEENS1_30default_config_static_selectorELNS0_4arch9wavefront6targetE1EEEvT1_,"axG",@progbits,_ZN7rocprim17ROCPRIM_400000_NS6detail17trampoline_kernelINS0_14default_configENS1_20scan_config_selectorIxEEZZNS1_9scan_implILNS1_25lookback_scan_determinismE0ELb0ELb1ES3_N6thrust23THRUST_200600_302600_NS6detail15normal_iteratorINS9_10device_ptrIxEEEESE_xNS9_4plusIxEExEEDaPvRmT3_T4_T5_mT6_P12ihipStream_tbENKUlT_T0_E_clISt17integral_constantIbLb0EESU_EEDaSP_SQ_EUlSP_E0_NS1_11comp_targetILNS1_3genE5ELNS1_11target_archE942ELNS1_3gpuE9ELNS1_3repE0EEENS1_30default_config_static_selectorELNS0_4arch9wavefront6targetE1EEEvT1_,comdat
	.protected	_ZN7rocprim17ROCPRIM_400000_NS6detail17trampoline_kernelINS0_14default_configENS1_20scan_config_selectorIxEEZZNS1_9scan_implILNS1_25lookback_scan_determinismE0ELb0ELb1ES3_N6thrust23THRUST_200600_302600_NS6detail15normal_iteratorINS9_10device_ptrIxEEEESE_xNS9_4plusIxEExEEDaPvRmT3_T4_T5_mT6_P12ihipStream_tbENKUlT_T0_E_clISt17integral_constantIbLb0EESU_EEDaSP_SQ_EUlSP_E0_NS1_11comp_targetILNS1_3genE5ELNS1_11target_archE942ELNS1_3gpuE9ELNS1_3repE0EEENS1_30default_config_static_selectorELNS0_4arch9wavefront6targetE1EEEvT1_ ; -- Begin function _ZN7rocprim17ROCPRIM_400000_NS6detail17trampoline_kernelINS0_14default_configENS1_20scan_config_selectorIxEEZZNS1_9scan_implILNS1_25lookback_scan_determinismE0ELb0ELb1ES3_N6thrust23THRUST_200600_302600_NS6detail15normal_iteratorINS9_10device_ptrIxEEEESE_xNS9_4plusIxEExEEDaPvRmT3_T4_T5_mT6_P12ihipStream_tbENKUlT_T0_E_clISt17integral_constantIbLb0EESU_EEDaSP_SQ_EUlSP_E0_NS1_11comp_targetILNS1_3genE5ELNS1_11target_archE942ELNS1_3gpuE9ELNS1_3repE0EEENS1_30default_config_static_selectorELNS0_4arch9wavefront6targetE1EEEvT1_
	.globl	_ZN7rocprim17ROCPRIM_400000_NS6detail17trampoline_kernelINS0_14default_configENS1_20scan_config_selectorIxEEZZNS1_9scan_implILNS1_25lookback_scan_determinismE0ELb0ELb1ES3_N6thrust23THRUST_200600_302600_NS6detail15normal_iteratorINS9_10device_ptrIxEEEESE_xNS9_4plusIxEExEEDaPvRmT3_T4_T5_mT6_P12ihipStream_tbENKUlT_T0_E_clISt17integral_constantIbLb0EESU_EEDaSP_SQ_EUlSP_E0_NS1_11comp_targetILNS1_3genE5ELNS1_11target_archE942ELNS1_3gpuE9ELNS1_3repE0EEENS1_30default_config_static_selectorELNS0_4arch9wavefront6targetE1EEEvT1_
	.p2align	8
	.type	_ZN7rocprim17ROCPRIM_400000_NS6detail17trampoline_kernelINS0_14default_configENS1_20scan_config_selectorIxEEZZNS1_9scan_implILNS1_25lookback_scan_determinismE0ELb0ELb1ES3_N6thrust23THRUST_200600_302600_NS6detail15normal_iteratorINS9_10device_ptrIxEEEESE_xNS9_4plusIxEExEEDaPvRmT3_T4_T5_mT6_P12ihipStream_tbENKUlT_T0_E_clISt17integral_constantIbLb0EESU_EEDaSP_SQ_EUlSP_E0_NS1_11comp_targetILNS1_3genE5ELNS1_11target_archE942ELNS1_3gpuE9ELNS1_3repE0EEENS1_30default_config_static_selectorELNS0_4arch9wavefront6targetE1EEEvT1_,@function
_ZN7rocprim17ROCPRIM_400000_NS6detail17trampoline_kernelINS0_14default_configENS1_20scan_config_selectorIxEEZZNS1_9scan_implILNS1_25lookback_scan_determinismE0ELb0ELb1ES3_N6thrust23THRUST_200600_302600_NS6detail15normal_iteratorINS9_10device_ptrIxEEEESE_xNS9_4plusIxEExEEDaPvRmT3_T4_T5_mT6_P12ihipStream_tbENKUlT_T0_E_clISt17integral_constantIbLb0EESU_EEDaSP_SQ_EUlSP_E0_NS1_11comp_targetILNS1_3genE5ELNS1_11target_archE942ELNS1_3gpuE9ELNS1_3repE0EEENS1_30default_config_static_selectorELNS0_4arch9wavefront6targetE1EEEvT1_: ; @_ZN7rocprim17ROCPRIM_400000_NS6detail17trampoline_kernelINS0_14default_configENS1_20scan_config_selectorIxEEZZNS1_9scan_implILNS1_25lookback_scan_determinismE0ELb0ELb1ES3_N6thrust23THRUST_200600_302600_NS6detail15normal_iteratorINS9_10device_ptrIxEEEESE_xNS9_4plusIxEExEEDaPvRmT3_T4_T5_mT6_P12ihipStream_tbENKUlT_T0_E_clISt17integral_constantIbLb0EESU_EEDaSP_SQ_EUlSP_E0_NS1_11comp_targetILNS1_3genE5ELNS1_11target_archE942ELNS1_3gpuE9ELNS1_3repE0EEENS1_30default_config_static_selectorELNS0_4arch9wavefront6targetE1EEEvT1_
; %bb.0:
	.section	.rodata,"a",@progbits
	.p2align	6, 0x0
	.amdhsa_kernel _ZN7rocprim17ROCPRIM_400000_NS6detail17trampoline_kernelINS0_14default_configENS1_20scan_config_selectorIxEEZZNS1_9scan_implILNS1_25lookback_scan_determinismE0ELb0ELb1ES3_N6thrust23THRUST_200600_302600_NS6detail15normal_iteratorINS9_10device_ptrIxEEEESE_xNS9_4plusIxEExEEDaPvRmT3_T4_T5_mT6_P12ihipStream_tbENKUlT_T0_E_clISt17integral_constantIbLb0EESU_EEDaSP_SQ_EUlSP_E0_NS1_11comp_targetILNS1_3genE5ELNS1_11target_archE942ELNS1_3gpuE9ELNS1_3repE0EEENS1_30default_config_static_selectorELNS0_4arch9wavefront6targetE1EEEvT1_
		.amdhsa_group_segment_fixed_size 0
		.amdhsa_private_segment_fixed_size 0
		.amdhsa_kernarg_size 40
		.amdhsa_user_sgpr_count 6
		.amdhsa_user_sgpr_private_segment_buffer 1
		.amdhsa_user_sgpr_dispatch_ptr 0
		.amdhsa_user_sgpr_queue_ptr 0
		.amdhsa_user_sgpr_kernarg_segment_ptr 1
		.amdhsa_user_sgpr_dispatch_id 0
		.amdhsa_user_sgpr_flat_scratch_init 0
		.amdhsa_user_sgpr_kernarg_preload_length 0
		.amdhsa_user_sgpr_kernarg_preload_offset 0
		.amdhsa_user_sgpr_private_segment_size 0
		.amdhsa_uses_dynamic_stack 0
		.amdhsa_system_sgpr_private_segment_wavefront_offset 0
		.amdhsa_system_sgpr_workgroup_id_x 1
		.amdhsa_system_sgpr_workgroup_id_y 0
		.amdhsa_system_sgpr_workgroup_id_z 0
		.amdhsa_system_sgpr_workgroup_info 0
		.amdhsa_system_vgpr_workitem_id 0
		.amdhsa_next_free_vgpr 1
		.amdhsa_next_free_sgpr 0
		.amdhsa_accum_offset 4
		.amdhsa_reserve_vcc 0
		.amdhsa_reserve_flat_scratch 0
		.amdhsa_float_round_mode_32 0
		.amdhsa_float_round_mode_16_64 0
		.amdhsa_float_denorm_mode_32 3
		.amdhsa_float_denorm_mode_16_64 3
		.amdhsa_dx10_clamp 1
		.amdhsa_ieee_mode 1
		.amdhsa_fp16_overflow 0
		.amdhsa_tg_split 0
		.amdhsa_exception_fp_ieee_invalid_op 0
		.amdhsa_exception_fp_denorm_src 0
		.amdhsa_exception_fp_ieee_div_zero 0
		.amdhsa_exception_fp_ieee_overflow 0
		.amdhsa_exception_fp_ieee_underflow 0
		.amdhsa_exception_fp_ieee_inexact 0
		.amdhsa_exception_int_div_zero 0
	.end_amdhsa_kernel
	.section	.text._ZN7rocprim17ROCPRIM_400000_NS6detail17trampoline_kernelINS0_14default_configENS1_20scan_config_selectorIxEEZZNS1_9scan_implILNS1_25lookback_scan_determinismE0ELb0ELb1ES3_N6thrust23THRUST_200600_302600_NS6detail15normal_iteratorINS9_10device_ptrIxEEEESE_xNS9_4plusIxEExEEDaPvRmT3_T4_T5_mT6_P12ihipStream_tbENKUlT_T0_E_clISt17integral_constantIbLb0EESU_EEDaSP_SQ_EUlSP_E0_NS1_11comp_targetILNS1_3genE5ELNS1_11target_archE942ELNS1_3gpuE9ELNS1_3repE0EEENS1_30default_config_static_selectorELNS0_4arch9wavefront6targetE1EEEvT1_,"axG",@progbits,_ZN7rocprim17ROCPRIM_400000_NS6detail17trampoline_kernelINS0_14default_configENS1_20scan_config_selectorIxEEZZNS1_9scan_implILNS1_25lookback_scan_determinismE0ELb0ELb1ES3_N6thrust23THRUST_200600_302600_NS6detail15normal_iteratorINS9_10device_ptrIxEEEESE_xNS9_4plusIxEExEEDaPvRmT3_T4_T5_mT6_P12ihipStream_tbENKUlT_T0_E_clISt17integral_constantIbLb0EESU_EEDaSP_SQ_EUlSP_E0_NS1_11comp_targetILNS1_3genE5ELNS1_11target_archE942ELNS1_3gpuE9ELNS1_3repE0EEENS1_30default_config_static_selectorELNS0_4arch9wavefront6targetE1EEEvT1_,comdat
.Lfunc_end424:
	.size	_ZN7rocprim17ROCPRIM_400000_NS6detail17trampoline_kernelINS0_14default_configENS1_20scan_config_selectorIxEEZZNS1_9scan_implILNS1_25lookback_scan_determinismE0ELb0ELb1ES3_N6thrust23THRUST_200600_302600_NS6detail15normal_iteratorINS9_10device_ptrIxEEEESE_xNS9_4plusIxEExEEDaPvRmT3_T4_T5_mT6_P12ihipStream_tbENKUlT_T0_E_clISt17integral_constantIbLb0EESU_EEDaSP_SQ_EUlSP_E0_NS1_11comp_targetILNS1_3genE5ELNS1_11target_archE942ELNS1_3gpuE9ELNS1_3repE0EEENS1_30default_config_static_selectorELNS0_4arch9wavefront6targetE1EEEvT1_, .Lfunc_end424-_ZN7rocprim17ROCPRIM_400000_NS6detail17trampoline_kernelINS0_14default_configENS1_20scan_config_selectorIxEEZZNS1_9scan_implILNS1_25lookback_scan_determinismE0ELb0ELb1ES3_N6thrust23THRUST_200600_302600_NS6detail15normal_iteratorINS9_10device_ptrIxEEEESE_xNS9_4plusIxEExEEDaPvRmT3_T4_T5_mT6_P12ihipStream_tbENKUlT_T0_E_clISt17integral_constantIbLb0EESU_EEDaSP_SQ_EUlSP_E0_NS1_11comp_targetILNS1_3genE5ELNS1_11target_archE942ELNS1_3gpuE9ELNS1_3repE0EEENS1_30default_config_static_selectorELNS0_4arch9wavefront6targetE1EEEvT1_
                                        ; -- End function
	.section	.AMDGPU.csdata,"",@progbits
; Kernel info:
; codeLenInByte = 0
; NumSgprs: 4
; NumVgprs: 0
; NumAgprs: 0
; TotalNumVgprs: 0
; ScratchSize: 0
; MemoryBound: 0
; FloatMode: 240
; IeeeMode: 1
; LDSByteSize: 0 bytes/workgroup (compile time only)
; SGPRBlocks: 0
; VGPRBlocks: 0
; NumSGPRsForWavesPerEU: 4
; NumVGPRsForWavesPerEU: 1
; AccumOffset: 4
; Occupancy: 8
; WaveLimiterHint : 0
; COMPUTE_PGM_RSRC2:SCRATCH_EN: 0
; COMPUTE_PGM_RSRC2:USER_SGPR: 6
; COMPUTE_PGM_RSRC2:TRAP_HANDLER: 0
; COMPUTE_PGM_RSRC2:TGID_X_EN: 1
; COMPUTE_PGM_RSRC2:TGID_Y_EN: 0
; COMPUTE_PGM_RSRC2:TGID_Z_EN: 0
; COMPUTE_PGM_RSRC2:TIDIG_COMP_CNT: 0
; COMPUTE_PGM_RSRC3_GFX90A:ACCUM_OFFSET: 0
; COMPUTE_PGM_RSRC3_GFX90A:TG_SPLIT: 0
	.section	.text._ZN7rocprim17ROCPRIM_400000_NS6detail17trampoline_kernelINS0_14default_configENS1_20scan_config_selectorIxEEZZNS1_9scan_implILNS1_25lookback_scan_determinismE0ELb0ELb1ES3_N6thrust23THRUST_200600_302600_NS6detail15normal_iteratorINS9_10device_ptrIxEEEESE_xNS9_4plusIxEExEEDaPvRmT3_T4_T5_mT6_P12ihipStream_tbENKUlT_T0_E_clISt17integral_constantIbLb0EESU_EEDaSP_SQ_EUlSP_E0_NS1_11comp_targetILNS1_3genE4ELNS1_11target_archE910ELNS1_3gpuE8ELNS1_3repE0EEENS1_30default_config_static_selectorELNS0_4arch9wavefront6targetE1EEEvT1_,"axG",@progbits,_ZN7rocprim17ROCPRIM_400000_NS6detail17trampoline_kernelINS0_14default_configENS1_20scan_config_selectorIxEEZZNS1_9scan_implILNS1_25lookback_scan_determinismE0ELb0ELb1ES3_N6thrust23THRUST_200600_302600_NS6detail15normal_iteratorINS9_10device_ptrIxEEEESE_xNS9_4plusIxEExEEDaPvRmT3_T4_T5_mT6_P12ihipStream_tbENKUlT_T0_E_clISt17integral_constantIbLb0EESU_EEDaSP_SQ_EUlSP_E0_NS1_11comp_targetILNS1_3genE4ELNS1_11target_archE910ELNS1_3gpuE8ELNS1_3repE0EEENS1_30default_config_static_selectorELNS0_4arch9wavefront6targetE1EEEvT1_,comdat
	.protected	_ZN7rocprim17ROCPRIM_400000_NS6detail17trampoline_kernelINS0_14default_configENS1_20scan_config_selectorIxEEZZNS1_9scan_implILNS1_25lookback_scan_determinismE0ELb0ELb1ES3_N6thrust23THRUST_200600_302600_NS6detail15normal_iteratorINS9_10device_ptrIxEEEESE_xNS9_4plusIxEExEEDaPvRmT3_T4_T5_mT6_P12ihipStream_tbENKUlT_T0_E_clISt17integral_constantIbLb0EESU_EEDaSP_SQ_EUlSP_E0_NS1_11comp_targetILNS1_3genE4ELNS1_11target_archE910ELNS1_3gpuE8ELNS1_3repE0EEENS1_30default_config_static_selectorELNS0_4arch9wavefront6targetE1EEEvT1_ ; -- Begin function _ZN7rocprim17ROCPRIM_400000_NS6detail17trampoline_kernelINS0_14default_configENS1_20scan_config_selectorIxEEZZNS1_9scan_implILNS1_25lookback_scan_determinismE0ELb0ELb1ES3_N6thrust23THRUST_200600_302600_NS6detail15normal_iteratorINS9_10device_ptrIxEEEESE_xNS9_4plusIxEExEEDaPvRmT3_T4_T5_mT6_P12ihipStream_tbENKUlT_T0_E_clISt17integral_constantIbLb0EESU_EEDaSP_SQ_EUlSP_E0_NS1_11comp_targetILNS1_3genE4ELNS1_11target_archE910ELNS1_3gpuE8ELNS1_3repE0EEENS1_30default_config_static_selectorELNS0_4arch9wavefront6targetE1EEEvT1_
	.globl	_ZN7rocprim17ROCPRIM_400000_NS6detail17trampoline_kernelINS0_14default_configENS1_20scan_config_selectorIxEEZZNS1_9scan_implILNS1_25lookback_scan_determinismE0ELb0ELb1ES3_N6thrust23THRUST_200600_302600_NS6detail15normal_iteratorINS9_10device_ptrIxEEEESE_xNS9_4plusIxEExEEDaPvRmT3_T4_T5_mT6_P12ihipStream_tbENKUlT_T0_E_clISt17integral_constantIbLb0EESU_EEDaSP_SQ_EUlSP_E0_NS1_11comp_targetILNS1_3genE4ELNS1_11target_archE910ELNS1_3gpuE8ELNS1_3repE0EEENS1_30default_config_static_selectorELNS0_4arch9wavefront6targetE1EEEvT1_
	.p2align	8
	.type	_ZN7rocprim17ROCPRIM_400000_NS6detail17trampoline_kernelINS0_14default_configENS1_20scan_config_selectorIxEEZZNS1_9scan_implILNS1_25lookback_scan_determinismE0ELb0ELb1ES3_N6thrust23THRUST_200600_302600_NS6detail15normal_iteratorINS9_10device_ptrIxEEEESE_xNS9_4plusIxEExEEDaPvRmT3_T4_T5_mT6_P12ihipStream_tbENKUlT_T0_E_clISt17integral_constantIbLb0EESU_EEDaSP_SQ_EUlSP_E0_NS1_11comp_targetILNS1_3genE4ELNS1_11target_archE910ELNS1_3gpuE8ELNS1_3repE0EEENS1_30default_config_static_selectorELNS0_4arch9wavefront6targetE1EEEvT1_,@function
_ZN7rocprim17ROCPRIM_400000_NS6detail17trampoline_kernelINS0_14default_configENS1_20scan_config_selectorIxEEZZNS1_9scan_implILNS1_25lookback_scan_determinismE0ELb0ELb1ES3_N6thrust23THRUST_200600_302600_NS6detail15normal_iteratorINS9_10device_ptrIxEEEESE_xNS9_4plusIxEExEEDaPvRmT3_T4_T5_mT6_P12ihipStream_tbENKUlT_T0_E_clISt17integral_constantIbLb0EESU_EEDaSP_SQ_EUlSP_E0_NS1_11comp_targetILNS1_3genE4ELNS1_11target_archE910ELNS1_3gpuE8ELNS1_3repE0EEENS1_30default_config_static_selectorELNS0_4arch9wavefront6targetE1EEEvT1_: ; @_ZN7rocprim17ROCPRIM_400000_NS6detail17trampoline_kernelINS0_14default_configENS1_20scan_config_selectorIxEEZZNS1_9scan_implILNS1_25lookback_scan_determinismE0ELb0ELb1ES3_N6thrust23THRUST_200600_302600_NS6detail15normal_iteratorINS9_10device_ptrIxEEEESE_xNS9_4plusIxEExEEDaPvRmT3_T4_T5_mT6_P12ihipStream_tbENKUlT_T0_E_clISt17integral_constantIbLb0EESU_EEDaSP_SQ_EUlSP_E0_NS1_11comp_targetILNS1_3genE4ELNS1_11target_archE910ELNS1_3gpuE8ELNS1_3repE0EEENS1_30default_config_static_selectorELNS0_4arch9wavefront6targetE1EEEvT1_
; %bb.0:
	s_load_dwordx4 s[16:19], s[4:5], 0x0
	v_lshlrev_b32_e32 v27, 3, v0
	s_waitcnt lgkmcnt(0)
	s_load_dwordx2 s[14:15], s[16:17], 0x0
	v_cmp_gt_u32_e32 vcc, s18, v0
	s_waitcnt lgkmcnt(0)
	v_pk_mov_b32 v[2:3], s[14:15], s[14:15] op_sel:[0,1]
	s_and_saveexec_b64 s[0:1], vcc
	s_cbranch_execz .LBB425_2
; %bb.1:
	global_load_dwordx2 v[2:3], v27, s[16:17]
.LBB425_2:
	s_or_b64 exec, exec, s[0:1]
	v_or_b32_e32 v1, 0x80, v0
	v_cmp_gt_u32_e64 s[0:1], s18, v1
	v_pk_mov_b32 v[4:5], s[14:15], s[14:15] op_sel:[0,1]
	s_and_saveexec_b64 s[2:3], s[0:1]
	s_cbranch_execz .LBB425_4
; %bb.3:
	global_load_dwordx2 v[4:5], v27, s[16:17] offset:1024
.LBB425_4:
	s_or_b64 exec, exec, s[2:3]
	v_or_b32_e32 v1, 0x100, v0
	v_cmp_gt_u32_e64 s[2:3], s18, v1
	v_pk_mov_b32 v[6:7], s[14:15], s[14:15] op_sel:[0,1]
	s_and_saveexec_b64 s[6:7], s[2:3]
	s_cbranch_execz .LBB425_6
; %bb.5:
	global_load_dwordx2 v[6:7], v27, s[16:17] offset:2048
.LBB425_6:
	;; [unrolled: 9-line block ×3, first 2 shown]
	s_or_b64 exec, exec, s[6:7]
	v_or_b32_e32 v1, 0x200, v0
	v_cmp_gt_u32_e64 s[6:7], s18, v1
	v_pk_mov_b32 v[10:11], s[14:15], s[14:15] op_sel:[0,1]
	s_and_saveexec_b64 s[8:9], s[6:7]
	s_cbranch_execz .LBB425_10
; %bb.9:
	v_lshlrev_b32_e32 v1, 3, v1
	global_load_dwordx2 v[10:11], v1, s[16:17]
.LBB425_10:
	s_or_b64 exec, exec, s[8:9]
	v_or_b32_e32 v1, 0x280, v0
	v_cmp_gt_u32_e64 s[8:9], s18, v1
	v_pk_mov_b32 v[12:13], s[14:15], s[14:15] op_sel:[0,1]
	s_and_saveexec_b64 s[10:11], s[8:9]
	s_cbranch_execz .LBB425_12
; %bb.11:
	v_lshlrev_b32_e32 v1, 3, v1
	global_load_dwordx2 v[12:13], v1, s[16:17]
.LBB425_12:
	s_or_b64 exec, exec, s[10:11]
	s_load_dwordx2 s[20:21], s[4:5], 0x10
	v_or_b32_e32 v1, 0x300, v0
	v_cmp_gt_u32_e64 s[10:11], s18, v1
	v_pk_mov_b32 v[14:15], s[14:15], s[14:15] op_sel:[0,1]
	s_and_saveexec_b64 s[14:15], s[10:11]
	s_cbranch_execz .LBB425_14
; %bb.13:
	v_lshlrev_b32_e32 v1, 3, v1
	global_load_dwordx2 v[14:15], v1, s[16:17]
.LBB425_14:
	s_or_b64 exec, exec, s[14:15]
	v_mad_u32_u24 v1, v0, 48, v27
	s_waitcnt vmcnt(0)
	ds_write2st64_b64 v27, v[2:3], v[4:5] offset1:2
	ds_write2st64_b64 v27, v[6:7], v[8:9] offset0:4 offset1:6
	ds_write2st64_b64 v27, v[10:11], v[12:13] offset0:8 offset1:10
	ds_write_b64 v27, v[14:15] offset:6144
	s_waitcnt lgkmcnt(0)
	s_barrier
	ds_read2_b64 v[2:5], v1 offset1:1
	ds_read2_b64 v[10:13], v1 offset0:2 offset1:3
	ds_read2_b64 v[6:9], v1 offset0:4 offset1:5
	ds_read_b64 v[18:19], v1 offset:48
	s_load_dwordx2 s[16:17], s[4:5], 0x20
	s_waitcnt lgkmcnt(0)
	v_add_co_u32_e64 v20, s[4:5], v4, v2
	v_addc_co_u32_e64 v1, s[4:5], v5, v3, s[4:5]
	v_add_co_u32_e64 v22, s[4:5], v20, v10
	v_addc_co_u32_e64 v21, s[4:5], v1, v11, s[4:5]
	;; [unrolled: 2-line block ×5, first 2 shown]
	v_add_co_u32_e64 v28, s[4:5], v14, v18
	v_lshrrev_b32_e32 v14, 2, v0
	v_addc_co_u32_e64 v29, s[4:5], v15, v19, s[4:5]
	v_and_b32_e32 v14, 24, v14
	v_add_u32_e32 v14, v27, v14
	v_cmp_gt_u32_e64 s[4:5], 64, v0
	s_barrier
	ds_write_b64 v14, v[28:29]
	s_waitcnt lgkmcnt(0)
	s_barrier
	s_and_saveexec_b64 s[18:19], s[4:5]
	s_cbranch_execz .LBB425_18
; %bb.15:
	v_lshlrev_b32_e32 v14, 1, v0
	v_lshrrev_b32_e32 v15, 4, v0
	v_add_lshl_u32 v30, v15, v14, 3
	ds_read2_b64 v[14:17], v30 offset1:1
	s_waitcnt lgkmcnt(0)
	v_add_co_u32_e64 v32, s[4:5], v16, v14
	v_addc_co_u32_e64 v33, s[4:5], v17, v15, s[4:5]
	s_nop 0
	v_mov_b32_dpp v17, v32 row_shr:1 row_mask:0xf bank_mask:0xf
	v_add_co_u32_e64 v17, s[4:5], v32, v17
	v_mbcnt_lo_u32_b32 v16, -1, 0
	v_addc_co_u32_e64 v35, s[4:5], 0, v33, s[4:5]
	v_mbcnt_hi_u32_b32 v31, -1, v16
	v_mov_b32_dpp v34, v33 row_shr:1 row_mask:0xf bank_mask:0xf
	v_add_co_u32_e64 v36, s[4:5], 0, v17
	v_and_b32_e32 v16, 15, v31
	v_addc_co_u32_e64 v34, s[4:5], v34, v35, s[4:5]
	v_cmp_eq_u32_e64 s[4:5], 0, v16
	v_cndmask_b32_e64 v17, v17, v32, s[4:5]
	v_cndmask_b32_e64 v34, v34, v33, s[4:5]
	v_cndmask_b32_e64 v35, v36, v32, s[4:5]
	v_mov_b32_dpp v36, v17 row_shr:2 row_mask:0xf bank_mask:0xf
	v_mov_b32_dpp v37, v34 row_shr:2 row_mask:0xf bank_mask:0xf
	v_add_co_u32_e64 v36, s[4:5], v36, v35
	v_addc_co_u32_e64 v37, s[4:5], v37, v34, s[4:5]
	v_cmp_lt_u32_e64 s[4:5], 1, v16
	v_cndmask_b32_e64 v17, v17, v36, s[4:5]
	v_cndmask_b32_e64 v34, v34, v37, s[4:5]
	v_cndmask_b32_e64 v35, v35, v36, s[4:5]
	v_mov_b32_dpp v36, v17 row_shr:4 row_mask:0xf bank_mask:0xf
	v_mov_b32_dpp v37, v34 row_shr:4 row_mask:0xf bank_mask:0xf
	v_add_co_u32_e64 v36, s[4:5], v36, v35
	v_addc_co_u32_e64 v37, s[4:5], v37, v34, s[4:5]
	v_cmp_lt_u32_e64 s[4:5], 3, v16
	v_cndmask_b32_e64 v17, v17, v36, s[4:5]
	v_cndmask_b32_e64 v34, v34, v37, s[4:5]
	v_cndmask_b32_e64 v35, v35, v36, s[4:5]
	v_mov_b32_dpp v36, v17 row_shr:8 row_mask:0xf bank_mask:0xf
	v_mov_b32_dpp v37, v34 row_shr:8 row_mask:0xf bank_mask:0xf
	v_add_co_u32_e64 v36, s[4:5], v36, v35
	v_addc_co_u32_e64 v37, s[4:5], v37, v34, s[4:5]
	v_cmp_lt_u32_e64 s[4:5], 7, v16
	v_cndmask_b32_e64 v38, v17, v36, s[4:5]
	v_cndmask_b32_e64 v17, v34, v37, s[4:5]
	v_cndmask_b32_e64 v16, v35, v36, s[4:5]
	v_mov_b32_dpp v34, v38 row_bcast:15 row_mask:0xf bank_mask:0xf
	v_mov_b32_dpp v35, v17 row_bcast:15 row_mask:0xf bank_mask:0xf
	v_add_co_u32_e64 v34, s[4:5], v34, v16
	v_and_b32_e32 v37, 16, v31
	v_addc_co_u32_e64 v36, s[4:5], v35, v17, s[4:5]
	v_cmp_eq_u32_e64 s[4:5], 0, v37
	v_cndmask_b32_e64 v37, v36, v17, s[4:5]
	v_cndmask_b32_e64 v35, v34, v38, s[4:5]
	v_cmp_ne_u32_e64 s[14:15], 0, v31
	v_mov_b32_dpp v37, v37 row_bcast:31 row_mask:0xf bank_mask:0xf
	v_mov_b32_dpp v35, v35 row_bcast:31 row_mask:0xf bank_mask:0xf
	s_and_saveexec_b64 s[22:23], s[14:15]
; %bb.16:
	v_cndmask_b32_e64 v17, v36, v17, s[4:5]
	v_cndmask_b32_e64 v16, v34, v16, s[4:5]
	v_cmp_lt_u32_e64 s[4:5], 31, v31
	v_cndmask_b32_e64 v32, 0, v35, s[4:5]
	v_cndmask_b32_e64 v33, 0, v37, s[4:5]
	v_add_co_u32_e64 v32, s[4:5], v32, v16
	v_addc_co_u32_e64 v33, s[4:5], v33, v17, s[4:5]
; %bb.17:
	s_or_b64 exec, exec, s[22:23]
	v_add_u32_e32 v16, -1, v31
	v_and_b32_e32 v17, 64, v31
	v_cmp_lt_i32_e64 s[4:5], v16, v17
	v_cndmask_b32_e64 v16, v16, v31, s[4:5]
	v_lshlrev_b32_e32 v16, 2, v16
	ds_bpermute_b32 v17, v16, v32
	ds_bpermute_b32 v16, v16, v33
	; wave barrier
	s_waitcnt lgkmcnt(1)
	v_add_co_u32_e64 v14, s[4:5], v14, v17
	v_addc_co_u32_e64 v15, s[4:5], 0, v15, s[4:5]
	v_add_co_u32_e64 v14, s[4:5], 0, v14
	s_waitcnt lgkmcnt(0)
	v_addc_co_u32_e64 v15, s[4:5], v15, v16, s[4:5]
	v_cmp_eq_u32_e64 s[4:5], 0, v0
	v_cndmask_b32_e64 v15, v15, v29, s[4:5]
	v_cndmask_b32_e64 v14, v14, v28, s[4:5]
	ds_write_b64 v30, v[14:15]
	; wave barrier
	ds_read_b64 v[16:17], v30 offset:8
	s_waitcnt lgkmcnt(0)
	v_add_co_u32_e64 v14, s[4:5], v16, v14
	v_addc_co_u32_e64 v15, s[4:5], v17, v15, s[4:5]
	ds_write_b64 v30, v[14:15] offset:8
.LBB425_18:
	s_or_b64 exec, exec, s[18:19]
	v_mul_u32_u24_e32 v14, 48, v0
	v_cmp_ne_u32_e64 s[4:5], 0, v0
	s_waitcnt lgkmcnt(0)
	s_barrier
	s_and_saveexec_b64 s[14:15], s[4:5]
	s_cbranch_execz .LBB425_20
; %bb.19:
	v_add_u32_e32 v0, -1, v0
	v_lshrrev_b32_e32 v15, 5, v0
	v_add_lshl_u32 v0, v15, v0, 3
	ds_read_b64 v[28:29], v0
.LBB425_20:
	s_or_b64 exec, exec, s[14:15]
	s_and_saveexec_b64 s[14:15], s[4:5]
	s_cbranch_execz .LBB425_22
; %bb.21:
	s_waitcnt lgkmcnt(0)
	v_add_co_u32_e64 v2, s[4:5], v28, v2
	v_addc_co_u32_e64 v3, s[4:5], v29, v3, s[4:5]
	v_add_co_u32_e64 v20, s[4:5], v2, v4
	v_addc_co_u32_e64 v1, s[4:5], v3, v5, s[4:5]
	v_add_co_u32_e64 v22, s[4:5], v20, v10
	v_addc_co_u32_e64 v21, s[4:5], v1, v11, s[4:5]
	v_add_co_u32_e64 v24, s[4:5], v22, v12
	v_addc_co_u32_e64 v23, s[4:5], v21, v13, s[4:5]
	v_add_co_u32_e64 v26, s[4:5], v24, v6
	v_addc_co_u32_e64 v25, s[4:5], v23, v7, s[4:5]
	;;#ASMSTART
	;;#ASMEND
.LBB425_22:
	s_or_b64 exec, exec, s[14:15]
	v_mov_b32_e32 v11, s21
	v_add_co_u32_e64 v2, s[4:5], s20, v2
	v_addc_co_u32_e64 v3, s[4:5], v3, v11, s[4:5]
	v_add_co_u32_e64 v0, s[4:5], s20, v20
	v_addc_co_u32_e64 v1, s[4:5], v1, v11, s[4:5]
	;; [unrolled: 2-line block ×6, first 2 shown]
	v_add_co_u32_e64 v12, s[4:5], v8, v18
	v_add_u32_e32 v14, v27, v14
	v_addc_co_u32_e64 v13, s[4:5], v9, v19, s[4:5]
	s_waitcnt lgkmcnt(0)
	s_barrier
	ds_write2_b64 v14, v[2:3], v[0:1] offset1:1
	ds_write2_b64 v14, v[4:5], v[6:7] offset0:2 offset1:3
	ds_write2_b64 v14, v[10:11], v[8:9] offset0:4 offset1:5
	ds_write_b64 v14, v[12:13] offset:48
	s_waitcnt lgkmcnt(0)
	s_barrier
	ds_read2st64_b64 v[8:11], v27 offset0:2 offset1:4
	ds_read2st64_b64 v[4:7], v27 offset0:6 offset1:8
	;; [unrolled: 1-line block ×3, first 2 shown]
	v_mov_b32_e32 v13, s17
	v_add_co_u32_e64 v12, s[4:5], s16, v27
	v_addc_co_u32_e64 v13, s[4:5], 0, v13, s[4:5]
	s_and_saveexec_b64 s[4:5], vcc
	s_cbranch_execnz .LBB425_30
; %bb.23:
	s_or_b64 exec, exec, s[4:5]
	s_and_saveexec_b64 s[4:5], s[0:1]
	s_cbranch_execnz .LBB425_31
.LBB425_24:
	s_or_b64 exec, exec, s[4:5]
	s_and_saveexec_b64 s[0:1], s[2:3]
	s_cbranch_execnz .LBB425_32
.LBB425_25:
	s_or_b64 exec, exec, s[0:1]
	s_and_saveexec_b64 s[0:1], s[12:13]
	s_cbranch_execnz .LBB425_33
.LBB425_26:
	s_or_b64 exec, exec, s[0:1]
	s_and_saveexec_b64 s[0:1], s[6:7]
	s_cbranch_execnz .LBB425_34
.LBB425_27:
	s_or_b64 exec, exec, s[0:1]
	s_and_saveexec_b64 s[0:1], s[8:9]
	s_cbranch_execnz .LBB425_35
.LBB425_28:
	s_or_b64 exec, exec, s[0:1]
	s_and_saveexec_b64 s[0:1], s[10:11]
	s_cbranch_execnz .LBB425_36
.LBB425_29:
	s_endpgm
.LBB425_30:
	ds_read_b64 v[14:15], v27
	s_waitcnt lgkmcnt(0)
	global_store_dwordx2 v[12:13], v[14:15], off
	s_or_b64 exec, exec, s[4:5]
	s_and_saveexec_b64 s[4:5], s[0:1]
	s_cbranch_execz .LBB425_24
.LBB425_31:
	s_waitcnt lgkmcnt(2)
	global_store_dwordx2 v[12:13], v[8:9], off offset:1024
	s_or_b64 exec, exec, s[4:5]
	s_and_saveexec_b64 s[0:1], s[2:3]
	s_cbranch_execz .LBB425_25
.LBB425_32:
	s_waitcnt lgkmcnt(2)
	global_store_dwordx2 v[12:13], v[10:11], off offset:2048
	s_or_b64 exec, exec, s[0:1]
	s_and_saveexec_b64 s[0:1], s[12:13]
	s_cbranch_execz .LBB425_26
.LBB425_33:
	s_waitcnt lgkmcnt(1)
	global_store_dwordx2 v[12:13], v[4:5], off offset:3072
	s_or_b64 exec, exec, s[0:1]
	s_and_saveexec_b64 s[0:1], s[6:7]
	s_cbranch_execz .LBB425_27
.LBB425_34:
	s_waitcnt lgkmcnt(1)
	v_add_co_u32_e32 v4, vcc, 0x1000, v12
	v_addc_co_u32_e32 v5, vcc, 0, v13, vcc
	global_store_dwordx2 v[4:5], v[6:7], off
	s_or_b64 exec, exec, s[0:1]
	s_and_saveexec_b64 s[0:1], s[8:9]
	s_cbranch_execz .LBB425_28
.LBB425_35:
	s_waitcnt lgkmcnt(1)
	v_add_co_u32_e32 v4, vcc, 0x1000, v12
	v_addc_co_u32_e32 v5, vcc, 0, v13, vcc
	s_waitcnt lgkmcnt(0)
	global_store_dwordx2 v[4:5], v[0:1], off offset:1024
	s_or_b64 exec, exec, s[0:1]
	s_and_saveexec_b64 s[0:1], s[10:11]
	s_cbranch_execz .LBB425_29
.LBB425_36:
	s_waitcnt lgkmcnt(0)
	v_add_co_u32_e32 v0, vcc, 0x1000, v12
	v_addc_co_u32_e32 v1, vcc, 0, v13, vcc
	global_store_dwordx2 v[0:1], v[2:3], off offset:2048
	s_endpgm
	.section	.rodata,"a",@progbits
	.p2align	6, 0x0
	.amdhsa_kernel _ZN7rocprim17ROCPRIM_400000_NS6detail17trampoline_kernelINS0_14default_configENS1_20scan_config_selectorIxEEZZNS1_9scan_implILNS1_25lookback_scan_determinismE0ELb0ELb1ES3_N6thrust23THRUST_200600_302600_NS6detail15normal_iteratorINS9_10device_ptrIxEEEESE_xNS9_4plusIxEExEEDaPvRmT3_T4_T5_mT6_P12ihipStream_tbENKUlT_T0_E_clISt17integral_constantIbLb0EESU_EEDaSP_SQ_EUlSP_E0_NS1_11comp_targetILNS1_3genE4ELNS1_11target_archE910ELNS1_3gpuE8ELNS1_3repE0EEENS1_30default_config_static_selectorELNS0_4arch9wavefront6targetE1EEEvT1_
		.amdhsa_group_segment_fixed_size 7168
		.amdhsa_private_segment_fixed_size 0
		.amdhsa_kernarg_size 40
		.amdhsa_user_sgpr_count 6
		.amdhsa_user_sgpr_private_segment_buffer 1
		.amdhsa_user_sgpr_dispatch_ptr 0
		.amdhsa_user_sgpr_queue_ptr 0
		.amdhsa_user_sgpr_kernarg_segment_ptr 1
		.amdhsa_user_sgpr_dispatch_id 0
		.amdhsa_user_sgpr_flat_scratch_init 0
		.amdhsa_user_sgpr_kernarg_preload_length 0
		.amdhsa_user_sgpr_kernarg_preload_offset 0
		.amdhsa_user_sgpr_private_segment_size 0
		.amdhsa_uses_dynamic_stack 0
		.amdhsa_system_sgpr_private_segment_wavefront_offset 0
		.amdhsa_system_sgpr_workgroup_id_x 1
		.amdhsa_system_sgpr_workgroup_id_y 0
		.amdhsa_system_sgpr_workgroup_id_z 0
		.amdhsa_system_sgpr_workgroup_info 0
		.amdhsa_system_vgpr_workitem_id 0
		.amdhsa_next_free_vgpr 39
		.amdhsa_next_free_sgpr 24
		.amdhsa_accum_offset 40
		.amdhsa_reserve_vcc 1
		.amdhsa_reserve_flat_scratch 0
		.amdhsa_float_round_mode_32 0
		.amdhsa_float_round_mode_16_64 0
		.amdhsa_float_denorm_mode_32 3
		.amdhsa_float_denorm_mode_16_64 3
		.amdhsa_dx10_clamp 1
		.amdhsa_ieee_mode 1
		.amdhsa_fp16_overflow 0
		.amdhsa_tg_split 0
		.amdhsa_exception_fp_ieee_invalid_op 0
		.amdhsa_exception_fp_denorm_src 0
		.amdhsa_exception_fp_ieee_div_zero 0
		.amdhsa_exception_fp_ieee_overflow 0
		.amdhsa_exception_fp_ieee_underflow 0
		.amdhsa_exception_fp_ieee_inexact 0
		.amdhsa_exception_int_div_zero 0
	.end_amdhsa_kernel
	.section	.text._ZN7rocprim17ROCPRIM_400000_NS6detail17trampoline_kernelINS0_14default_configENS1_20scan_config_selectorIxEEZZNS1_9scan_implILNS1_25lookback_scan_determinismE0ELb0ELb1ES3_N6thrust23THRUST_200600_302600_NS6detail15normal_iteratorINS9_10device_ptrIxEEEESE_xNS9_4plusIxEExEEDaPvRmT3_T4_T5_mT6_P12ihipStream_tbENKUlT_T0_E_clISt17integral_constantIbLb0EESU_EEDaSP_SQ_EUlSP_E0_NS1_11comp_targetILNS1_3genE4ELNS1_11target_archE910ELNS1_3gpuE8ELNS1_3repE0EEENS1_30default_config_static_selectorELNS0_4arch9wavefront6targetE1EEEvT1_,"axG",@progbits,_ZN7rocprim17ROCPRIM_400000_NS6detail17trampoline_kernelINS0_14default_configENS1_20scan_config_selectorIxEEZZNS1_9scan_implILNS1_25lookback_scan_determinismE0ELb0ELb1ES3_N6thrust23THRUST_200600_302600_NS6detail15normal_iteratorINS9_10device_ptrIxEEEESE_xNS9_4plusIxEExEEDaPvRmT3_T4_T5_mT6_P12ihipStream_tbENKUlT_T0_E_clISt17integral_constantIbLb0EESU_EEDaSP_SQ_EUlSP_E0_NS1_11comp_targetILNS1_3genE4ELNS1_11target_archE910ELNS1_3gpuE8ELNS1_3repE0EEENS1_30default_config_static_selectorELNS0_4arch9wavefront6targetE1EEEvT1_,comdat
.Lfunc_end425:
	.size	_ZN7rocprim17ROCPRIM_400000_NS6detail17trampoline_kernelINS0_14default_configENS1_20scan_config_selectorIxEEZZNS1_9scan_implILNS1_25lookback_scan_determinismE0ELb0ELb1ES3_N6thrust23THRUST_200600_302600_NS6detail15normal_iteratorINS9_10device_ptrIxEEEESE_xNS9_4plusIxEExEEDaPvRmT3_T4_T5_mT6_P12ihipStream_tbENKUlT_T0_E_clISt17integral_constantIbLb0EESU_EEDaSP_SQ_EUlSP_E0_NS1_11comp_targetILNS1_3genE4ELNS1_11target_archE910ELNS1_3gpuE8ELNS1_3repE0EEENS1_30default_config_static_selectorELNS0_4arch9wavefront6targetE1EEEvT1_, .Lfunc_end425-_ZN7rocprim17ROCPRIM_400000_NS6detail17trampoline_kernelINS0_14default_configENS1_20scan_config_selectorIxEEZZNS1_9scan_implILNS1_25lookback_scan_determinismE0ELb0ELb1ES3_N6thrust23THRUST_200600_302600_NS6detail15normal_iteratorINS9_10device_ptrIxEEEESE_xNS9_4plusIxEExEEDaPvRmT3_T4_T5_mT6_P12ihipStream_tbENKUlT_T0_E_clISt17integral_constantIbLb0EESU_EEDaSP_SQ_EUlSP_E0_NS1_11comp_targetILNS1_3genE4ELNS1_11target_archE910ELNS1_3gpuE8ELNS1_3repE0EEENS1_30default_config_static_selectorELNS0_4arch9wavefront6targetE1EEEvT1_
                                        ; -- End function
	.section	.AMDGPU.csdata,"",@progbits
; Kernel info:
; codeLenInByte = 1884
; NumSgprs: 28
; NumVgprs: 39
; NumAgprs: 0
; TotalNumVgprs: 39
; ScratchSize: 0
; MemoryBound: 0
; FloatMode: 240
; IeeeMode: 1
; LDSByteSize: 7168 bytes/workgroup (compile time only)
; SGPRBlocks: 3
; VGPRBlocks: 4
; NumSGPRsForWavesPerEU: 28
; NumVGPRsForWavesPerEU: 39
; AccumOffset: 40
; Occupancy: 5
; WaveLimiterHint : 0
; COMPUTE_PGM_RSRC2:SCRATCH_EN: 0
; COMPUTE_PGM_RSRC2:USER_SGPR: 6
; COMPUTE_PGM_RSRC2:TRAP_HANDLER: 0
; COMPUTE_PGM_RSRC2:TGID_X_EN: 1
; COMPUTE_PGM_RSRC2:TGID_Y_EN: 0
; COMPUTE_PGM_RSRC2:TGID_Z_EN: 0
; COMPUTE_PGM_RSRC2:TIDIG_COMP_CNT: 0
; COMPUTE_PGM_RSRC3_GFX90A:ACCUM_OFFSET: 9
; COMPUTE_PGM_RSRC3_GFX90A:TG_SPLIT: 0
	.section	.text._ZN7rocprim17ROCPRIM_400000_NS6detail17trampoline_kernelINS0_14default_configENS1_20scan_config_selectorIxEEZZNS1_9scan_implILNS1_25lookback_scan_determinismE0ELb0ELb1ES3_N6thrust23THRUST_200600_302600_NS6detail15normal_iteratorINS9_10device_ptrIxEEEESE_xNS9_4plusIxEExEEDaPvRmT3_T4_T5_mT6_P12ihipStream_tbENKUlT_T0_E_clISt17integral_constantIbLb0EESU_EEDaSP_SQ_EUlSP_E0_NS1_11comp_targetILNS1_3genE3ELNS1_11target_archE908ELNS1_3gpuE7ELNS1_3repE0EEENS1_30default_config_static_selectorELNS0_4arch9wavefront6targetE1EEEvT1_,"axG",@progbits,_ZN7rocprim17ROCPRIM_400000_NS6detail17trampoline_kernelINS0_14default_configENS1_20scan_config_selectorIxEEZZNS1_9scan_implILNS1_25lookback_scan_determinismE0ELb0ELb1ES3_N6thrust23THRUST_200600_302600_NS6detail15normal_iteratorINS9_10device_ptrIxEEEESE_xNS9_4plusIxEExEEDaPvRmT3_T4_T5_mT6_P12ihipStream_tbENKUlT_T0_E_clISt17integral_constantIbLb0EESU_EEDaSP_SQ_EUlSP_E0_NS1_11comp_targetILNS1_3genE3ELNS1_11target_archE908ELNS1_3gpuE7ELNS1_3repE0EEENS1_30default_config_static_selectorELNS0_4arch9wavefront6targetE1EEEvT1_,comdat
	.protected	_ZN7rocprim17ROCPRIM_400000_NS6detail17trampoline_kernelINS0_14default_configENS1_20scan_config_selectorIxEEZZNS1_9scan_implILNS1_25lookback_scan_determinismE0ELb0ELb1ES3_N6thrust23THRUST_200600_302600_NS6detail15normal_iteratorINS9_10device_ptrIxEEEESE_xNS9_4plusIxEExEEDaPvRmT3_T4_T5_mT6_P12ihipStream_tbENKUlT_T0_E_clISt17integral_constantIbLb0EESU_EEDaSP_SQ_EUlSP_E0_NS1_11comp_targetILNS1_3genE3ELNS1_11target_archE908ELNS1_3gpuE7ELNS1_3repE0EEENS1_30default_config_static_selectorELNS0_4arch9wavefront6targetE1EEEvT1_ ; -- Begin function _ZN7rocprim17ROCPRIM_400000_NS6detail17trampoline_kernelINS0_14default_configENS1_20scan_config_selectorIxEEZZNS1_9scan_implILNS1_25lookback_scan_determinismE0ELb0ELb1ES3_N6thrust23THRUST_200600_302600_NS6detail15normal_iteratorINS9_10device_ptrIxEEEESE_xNS9_4plusIxEExEEDaPvRmT3_T4_T5_mT6_P12ihipStream_tbENKUlT_T0_E_clISt17integral_constantIbLb0EESU_EEDaSP_SQ_EUlSP_E0_NS1_11comp_targetILNS1_3genE3ELNS1_11target_archE908ELNS1_3gpuE7ELNS1_3repE0EEENS1_30default_config_static_selectorELNS0_4arch9wavefront6targetE1EEEvT1_
	.globl	_ZN7rocprim17ROCPRIM_400000_NS6detail17trampoline_kernelINS0_14default_configENS1_20scan_config_selectorIxEEZZNS1_9scan_implILNS1_25lookback_scan_determinismE0ELb0ELb1ES3_N6thrust23THRUST_200600_302600_NS6detail15normal_iteratorINS9_10device_ptrIxEEEESE_xNS9_4plusIxEExEEDaPvRmT3_T4_T5_mT6_P12ihipStream_tbENKUlT_T0_E_clISt17integral_constantIbLb0EESU_EEDaSP_SQ_EUlSP_E0_NS1_11comp_targetILNS1_3genE3ELNS1_11target_archE908ELNS1_3gpuE7ELNS1_3repE0EEENS1_30default_config_static_selectorELNS0_4arch9wavefront6targetE1EEEvT1_
	.p2align	8
	.type	_ZN7rocprim17ROCPRIM_400000_NS6detail17trampoline_kernelINS0_14default_configENS1_20scan_config_selectorIxEEZZNS1_9scan_implILNS1_25lookback_scan_determinismE0ELb0ELb1ES3_N6thrust23THRUST_200600_302600_NS6detail15normal_iteratorINS9_10device_ptrIxEEEESE_xNS9_4plusIxEExEEDaPvRmT3_T4_T5_mT6_P12ihipStream_tbENKUlT_T0_E_clISt17integral_constantIbLb0EESU_EEDaSP_SQ_EUlSP_E0_NS1_11comp_targetILNS1_3genE3ELNS1_11target_archE908ELNS1_3gpuE7ELNS1_3repE0EEENS1_30default_config_static_selectorELNS0_4arch9wavefront6targetE1EEEvT1_,@function
_ZN7rocprim17ROCPRIM_400000_NS6detail17trampoline_kernelINS0_14default_configENS1_20scan_config_selectorIxEEZZNS1_9scan_implILNS1_25lookback_scan_determinismE0ELb0ELb1ES3_N6thrust23THRUST_200600_302600_NS6detail15normal_iteratorINS9_10device_ptrIxEEEESE_xNS9_4plusIxEExEEDaPvRmT3_T4_T5_mT6_P12ihipStream_tbENKUlT_T0_E_clISt17integral_constantIbLb0EESU_EEDaSP_SQ_EUlSP_E0_NS1_11comp_targetILNS1_3genE3ELNS1_11target_archE908ELNS1_3gpuE7ELNS1_3repE0EEENS1_30default_config_static_selectorELNS0_4arch9wavefront6targetE1EEEvT1_: ; @_ZN7rocprim17ROCPRIM_400000_NS6detail17trampoline_kernelINS0_14default_configENS1_20scan_config_selectorIxEEZZNS1_9scan_implILNS1_25lookback_scan_determinismE0ELb0ELb1ES3_N6thrust23THRUST_200600_302600_NS6detail15normal_iteratorINS9_10device_ptrIxEEEESE_xNS9_4plusIxEExEEDaPvRmT3_T4_T5_mT6_P12ihipStream_tbENKUlT_T0_E_clISt17integral_constantIbLb0EESU_EEDaSP_SQ_EUlSP_E0_NS1_11comp_targetILNS1_3genE3ELNS1_11target_archE908ELNS1_3gpuE7ELNS1_3repE0EEENS1_30default_config_static_selectorELNS0_4arch9wavefront6targetE1EEEvT1_
; %bb.0:
	.section	.rodata,"a",@progbits
	.p2align	6, 0x0
	.amdhsa_kernel _ZN7rocprim17ROCPRIM_400000_NS6detail17trampoline_kernelINS0_14default_configENS1_20scan_config_selectorIxEEZZNS1_9scan_implILNS1_25lookback_scan_determinismE0ELb0ELb1ES3_N6thrust23THRUST_200600_302600_NS6detail15normal_iteratorINS9_10device_ptrIxEEEESE_xNS9_4plusIxEExEEDaPvRmT3_T4_T5_mT6_P12ihipStream_tbENKUlT_T0_E_clISt17integral_constantIbLb0EESU_EEDaSP_SQ_EUlSP_E0_NS1_11comp_targetILNS1_3genE3ELNS1_11target_archE908ELNS1_3gpuE7ELNS1_3repE0EEENS1_30default_config_static_selectorELNS0_4arch9wavefront6targetE1EEEvT1_
		.amdhsa_group_segment_fixed_size 0
		.amdhsa_private_segment_fixed_size 0
		.amdhsa_kernarg_size 40
		.amdhsa_user_sgpr_count 6
		.amdhsa_user_sgpr_private_segment_buffer 1
		.amdhsa_user_sgpr_dispatch_ptr 0
		.amdhsa_user_sgpr_queue_ptr 0
		.amdhsa_user_sgpr_kernarg_segment_ptr 1
		.amdhsa_user_sgpr_dispatch_id 0
		.amdhsa_user_sgpr_flat_scratch_init 0
		.amdhsa_user_sgpr_kernarg_preload_length 0
		.amdhsa_user_sgpr_kernarg_preload_offset 0
		.amdhsa_user_sgpr_private_segment_size 0
		.amdhsa_uses_dynamic_stack 0
		.amdhsa_system_sgpr_private_segment_wavefront_offset 0
		.amdhsa_system_sgpr_workgroup_id_x 1
		.amdhsa_system_sgpr_workgroup_id_y 0
		.amdhsa_system_sgpr_workgroup_id_z 0
		.amdhsa_system_sgpr_workgroup_info 0
		.amdhsa_system_vgpr_workitem_id 0
		.amdhsa_next_free_vgpr 1
		.amdhsa_next_free_sgpr 0
		.amdhsa_accum_offset 4
		.amdhsa_reserve_vcc 0
		.amdhsa_reserve_flat_scratch 0
		.amdhsa_float_round_mode_32 0
		.amdhsa_float_round_mode_16_64 0
		.amdhsa_float_denorm_mode_32 3
		.amdhsa_float_denorm_mode_16_64 3
		.amdhsa_dx10_clamp 1
		.amdhsa_ieee_mode 1
		.amdhsa_fp16_overflow 0
		.amdhsa_tg_split 0
		.amdhsa_exception_fp_ieee_invalid_op 0
		.amdhsa_exception_fp_denorm_src 0
		.amdhsa_exception_fp_ieee_div_zero 0
		.amdhsa_exception_fp_ieee_overflow 0
		.amdhsa_exception_fp_ieee_underflow 0
		.amdhsa_exception_fp_ieee_inexact 0
		.amdhsa_exception_int_div_zero 0
	.end_amdhsa_kernel
	.section	.text._ZN7rocprim17ROCPRIM_400000_NS6detail17trampoline_kernelINS0_14default_configENS1_20scan_config_selectorIxEEZZNS1_9scan_implILNS1_25lookback_scan_determinismE0ELb0ELb1ES3_N6thrust23THRUST_200600_302600_NS6detail15normal_iteratorINS9_10device_ptrIxEEEESE_xNS9_4plusIxEExEEDaPvRmT3_T4_T5_mT6_P12ihipStream_tbENKUlT_T0_E_clISt17integral_constantIbLb0EESU_EEDaSP_SQ_EUlSP_E0_NS1_11comp_targetILNS1_3genE3ELNS1_11target_archE908ELNS1_3gpuE7ELNS1_3repE0EEENS1_30default_config_static_selectorELNS0_4arch9wavefront6targetE1EEEvT1_,"axG",@progbits,_ZN7rocprim17ROCPRIM_400000_NS6detail17trampoline_kernelINS0_14default_configENS1_20scan_config_selectorIxEEZZNS1_9scan_implILNS1_25lookback_scan_determinismE0ELb0ELb1ES3_N6thrust23THRUST_200600_302600_NS6detail15normal_iteratorINS9_10device_ptrIxEEEESE_xNS9_4plusIxEExEEDaPvRmT3_T4_T5_mT6_P12ihipStream_tbENKUlT_T0_E_clISt17integral_constantIbLb0EESU_EEDaSP_SQ_EUlSP_E0_NS1_11comp_targetILNS1_3genE3ELNS1_11target_archE908ELNS1_3gpuE7ELNS1_3repE0EEENS1_30default_config_static_selectorELNS0_4arch9wavefront6targetE1EEEvT1_,comdat
.Lfunc_end426:
	.size	_ZN7rocprim17ROCPRIM_400000_NS6detail17trampoline_kernelINS0_14default_configENS1_20scan_config_selectorIxEEZZNS1_9scan_implILNS1_25lookback_scan_determinismE0ELb0ELb1ES3_N6thrust23THRUST_200600_302600_NS6detail15normal_iteratorINS9_10device_ptrIxEEEESE_xNS9_4plusIxEExEEDaPvRmT3_T4_T5_mT6_P12ihipStream_tbENKUlT_T0_E_clISt17integral_constantIbLb0EESU_EEDaSP_SQ_EUlSP_E0_NS1_11comp_targetILNS1_3genE3ELNS1_11target_archE908ELNS1_3gpuE7ELNS1_3repE0EEENS1_30default_config_static_selectorELNS0_4arch9wavefront6targetE1EEEvT1_, .Lfunc_end426-_ZN7rocprim17ROCPRIM_400000_NS6detail17trampoline_kernelINS0_14default_configENS1_20scan_config_selectorIxEEZZNS1_9scan_implILNS1_25lookback_scan_determinismE0ELb0ELb1ES3_N6thrust23THRUST_200600_302600_NS6detail15normal_iteratorINS9_10device_ptrIxEEEESE_xNS9_4plusIxEExEEDaPvRmT3_T4_T5_mT6_P12ihipStream_tbENKUlT_T0_E_clISt17integral_constantIbLb0EESU_EEDaSP_SQ_EUlSP_E0_NS1_11comp_targetILNS1_3genE3ELNS1_11target_archE908ELNS1_3gpuE7ELNS1_3repE0EEENS1_30default_config_static_selectorELNS0_4arch9wavefront6targetE1EEEvT1_
                                        ; -- End function
	.section	.AMDGPU.csdata,"",@progbits
; Kernel info:
; codeLenInByte = 0
; NumSgprs: 4
; NumVgprs: 0
; NumAgprs: 0
; TotalNumVgprs: 0
; ScratchSize: 0
; MemoryBound: 0
; FloatMode: 240
; IeeeMode: 1
; LDSByteSize: 0 bytes/workgroup (compile time only)
; SGPRBlocks: 0
; VGPRBlocks: 0
; NumSGPRsForWavesPerEU: 4
; NumVGPRsForWavesPerEU: 1
; AccumOffset: 4
; Occupancy: 8
; WaveLimiterHint : 0
; COMPUTE_PGM_RSRC2:SCRATCH_EN: 0
; COMPUTE_PGM_RSRC2:USER_SGPR: 6
; COMPUTE_PGM_RSRC2:TRAP_HANDLER: 0
; COMPUTE_PGM_RSRC2:TGID_X_EN: 1
; COMPUTE_PGM_RSRC2:TGID_Y_EN: 0
; COMPUTE_PGM_RSRC2:TGID_Z_EN: 0
; COMPUTE_PGM_RSRC2:TIDIG_COMP_CNT: 0
; COMPUTE_PGM_RSRC3_GFX90A:ACCUM_OFFSET: 0
; COMPUTE_PGM_RSRC3_GFX90A:TG_SPLIT: 0
	.section	.text._ZN7rocprim17ROCPRIM_400000_NS6detail17trampoline_kernelINS0_14default_configENS1_20scan_config_selectorIxEEZZNS1_9scan_implILNS1_25lookback_scan_determinismE0ELb0ELb1ES3_N6thrust23THRUST_200600_302600_NS6detail15normal_iteratorINS9_10device_ptrIxEEEESE_xNS9_4plusIxEExEEDaPvRmT3_T4_T5_mT6_P12ihipStream_tbENKUlT_T0_E_clISt17integral_constantIbLb0EESU_EEDaSP_SQ_EUlSP_E0_NS1_11comp_targetILNS1_3genE2ELNS1_11target_archE906ELNS1_3gpuE6ELNS1_3repE0EEENS1_30default_config_static_selectorELNS0_4arch9wavefront6targetE1EEEvT1_,"axG",@progbits,_ZN7rocprim17ROCPRIM_400000_NS6detail17trampoline_kernelINS0_14default_configENS1_20scan_config_selectorIxEEZZNS1_9scan_implILNS1_25lookback_scan_determinismE0ELb0ELb1ES3_N6thrust23THRUST_200600_302600_NS6detail15normal_iteratorINS9_10device_ptrIxEEEESE_xNS9_4plusIxEExEEDaPvRmT3_T4_T5_mT6_P12ihipStream_tbENKUlT_T0_E_clISt17integral_constantIbLb0EESU_EEDaSP_SQ_EUlSP_E0_NS1_11comp_targetILNS1_3genE2ELNS1_11target_archE906ELNS1_3gpuE6ELNS1_3repE0EEENS1_30default_config_static_selectorELNS0_4arch9wavefront6targetE1EEEvT1_,comdat
	.protected	_ZN7rocprim17ROCPRIM_400000_NS6detail17trampoline_kernelINS0_14default_configENS1_20scan_config_selectorIxEEZZNS1_9scan_implILNS1_25lookback_scan_determinismE0ELb0ELb1ES3_N6thrust23THRUST_200600_302600_NS6detail15normal_iteratorINS9_10device_ptrIxEEEESE_xNS9_4plusIxEExEEDaPvRmT3_T4_T5_mT6_P12ihipStream_tbENKUlT_T0_E_clISt17integral_constantIbLb0EESU_EEDaSP_SQ_EUlSP_E0_NS1_11comp_targetILNS1_3genE2ELNS1_11target_archE906ELNS1_3gpuE6ELNS1_3repE0EEENS1_30default_config_static_selectorELNS0_4arch9wavefront6targetE1EEEvT1_ ; -- Begin function _ZN7rocprim17ROCPRIM_400000_NS6detail17trampoline_kernelINS0_14default_configENS1_20scan_config_selectorIxEEZZNS1_9scan_implILNS1_25lookback_scan_determinismE0ELb0ELb1ES3_N6thrust23THRUST_200600_302600_NS6detail15normal_iteratorINS9_10device_ptrIxEEEESE_xNS9_4plusIxEExEEDaPvRmT3_T4_T5_mT6_P12ihipStream_tbENKUlT_T0_E_clISt17integral_constantIbLb0EESU_EEDaSP_SQ_EUlSP_E0_NS1_11comp_targetILNS1_3genE2ELNS1_11target_archE906ELNS1_3gpuE6ELNS1_3repE0EEENS1_30default_config_static_selectorELNS0_4arch9wavefront6targetE1EEEvT1_
	.globl	_ZN7rocprim17ROCPRIM_400000_NS6detail17trampoline_kernelINS0_14default_configENS1_20scan_config_selectorIxEEZZNS1_9scan_implILNS1_25lookback_scan_determinismE0ELb0ELb1ES3_N6thrust23THRUST_200600_302600_NS6detail15normal_iteratorINS9_10device_ptrIxEEEESE_xNS9_4plusIxEExEEDaPvRmT3_T4_T5_mT6_P12ihipStream_tbENKUlT_T0_E_clISt17integral_constantIbLb0EESU_EEDaSP_SQ_EUlSP_E0_NS1_11comp_targetILNS1_3genE2ELNS1_11target_archE906ELNS1_3gpuE6ELNS1_3repE0EEENS1_30default_config_static_selectorELNS0_4arch9wavefront6targetE1EEEvT1_
	.p2align	8
	.type	_ZN7rocprim17ROCPRIM_400000_NS6detail17trampoline_kernelINS0_14default_configENS1_20scan_config_selectorIxEEZZNS1_9scan_implILNS1_25lookback_scan_determinismE0ELb0ELb1ES3_N6thrust23THRUST_200600_302600_NS6detail15normal_iteratorINS9_10device_ptrIxEEEESE_xNS9_4plusIxEExEEDaPvRmT3_T4_T5_mT6_P12ihipStream_tbENKUlT_T0_E_clISt17integral_constantIbLb0EESU_EEDaSP_SQ_EUlSP_E0_NS1_11comp_targetILNS1_3genE2ELNS1_11target_archE906ELNS1_3gpuE6ELNS1_3repE0EEENS1_30default_config_static_selectorELNS0_4arch9wavefront6targetE1EEEvT1_,@function
_ZN7rocprim17ROCPRIM_400000_NS6detail17trampoline_kernelINS0_14default_configENS1_20scan_config_selectorIxEEZZNS1_9scan_implILNS1_25lookback_scan_determinismE0ELb0ELb1ES3_N6thrust23THRUST_200600_302600_NS6detail15normal_iteratorINS9_10device_ptrIxEEEESE_xNS9_4plusIxEExEEDaPvRmT3_T4_T5_mT6_P12ihipStream_tbENKUlT_T0_E_clISt17integral_constantIbLb0EESU_EEDaSP_SQ_EUlSP_E0_NS1_11comp_targetILNS1_3genE2ELNS1_11target_archE906ELNS1_3gpuE6ELNS1_3repE0EEENS1_30default_config_static_selectorELNS0_4arch9wavefront6targetE1EEEvT1_: ; @_ZN7rocprim17ROCPRIM_400000_NS6detail17trampoline_kernelINS0_14default_configENS1_20scan_config_selectorIxEEZZNS1_9scan_implILNS1_25lookback_scan_determinismE0ELb0ELb1ES3_N6thrust23THRUST_200600_302600_NS6detail15normal_iteratorINS9_10device_ptrIxEEEESE_xNS9_4plusIxEExEEDaPvRmT3_T4_T5_mT6_P12ihipStream_tbENKUlT_T0_E_clISt17integral_constantIbLb0EESU_EEDaSP_SQ_EUlSP_E0_NS1_11comp_targetILNS1_3genE2ELNS1_11target_archE906ELNS1_3gpuE6ELNS1_3repE0EEENS1_30default_config_static_selectorELNS0_4arch9wavefront6targetE1EEEvT1_
; %bb.0:
	.section	.rodata,"a",@progbits
	.p2align	6, 0x0
	.amdhsa_kernel _ZN7rocprim17ROCPRIM_400000_NS6detail17trampoline_kernelINS0_14default_configENS1_20scan_config_selectorIxEEZZNS1_9scan_implILNS1_25lookback_scan_determinismE0ELb0ELb1ES3_N6thrust23THRUST_200600_302600_NS6detail15normal_iteratorINS9_10device_ptrIxEEEESE_xNS9_4plusIxEExEEDaPvRmT3_T4_T5_mT6_P12ihipStream_tbENKUlT_T0_E_clISt17integral_constantIbLb0EESU_EEDaSP_SQ_EUlSP_E0_NS1_11comp_targetILNS1_3genE2ELNS1_11target_archE906ELNS1_3gpuE6ELNS1_3repE0EEENS1_30default_config_static_selectorELNS0_4arch9wavefront6targetE1EEEvT1_
		.amdhsa_group_segment_fixed_size 0
		.amdhsa_private_segment_fixed_size 0
		.amdhsa_kernarg_size 40
		.amdhsa_user_sgpr_count 6
		.amdhsa_user_sgpr_private_segment_buffer 1
		.amdhsa_user_sgpr_dispatch_ptr 0
		.amdhsa_user_sgpr_queue_ptr 0
		.amdhsa_user_sgpr_kernarg_segment_ptr 1
		.amdhsa_user_sgpr_dispatch_id 0
		.amdhsa_user_sgpr_flat_scratch_init 0
		.amdhsa_user_sgpr_kernarg_preload_length 0
		.amdhsa_user_sgpr_kernarg_preload_offset 0
		.amdhsa_user_sgpr_private_segment_size 0
		.amdhsa_uses_dynamic_stack 0
		.amdhsa_system_sgpr_private_segment_wavefront_offset 0
		.amdhsa_system_sgpr_workgroup_id_x 1
		.amdhsa_system_sgpr_workgroup_id_y 0
		.amdhsa_system_sgpr_workgroup_id_z 0
		.amdhsa_system_sgpr_workgroup_info 0
		.amdhsa_system_vgpr_workitem_id 0
		.amdhsa_next_free_vgpr 1
		.amdhsa_next_free_sgpr 0
		.amdhsa_accum_offset 4
		.amdhsa_reserve_vcc 0
		.amdhsa_reserve_flat_scratch 0
		.amdhsa_float_round_mode_32 0
		.amdhsa_float_round_mode_16_64 0
		.amdhsa_float_denorm_mode_32 3
		.amdhsa_float_denorm_mode_16_64 3
		.amdhsa_dx10_clamp 1
		.amdhsa_ieee_mode 1
		.amdhsa_fp16_overflow 0
		.amdhsa_tg_split 0
		.amdhsa_exception_fp_ieee_invalid_op 0
		.amdhsa_exception_fp_denorm_src 0
		.amdhsa_exception_fp_ieee_div_zero 0
		.amdhsa_exception_fp_ieee_overflow 0
		.amdhsa_exception_fp_ieee_underflow 0
		.amdhsa_exception_fp_ieee_inexact 0
		.amdhsa_exception_int_div_zero 0
	.end_amdhsa_kernel
	.section	.text._ZN7rocprim17ROCPRIM_400000_NS6detail17trampoline_kernelINS0_14default_configENS1_20scan_config_selectorIxEEZZNS1_9scan_implILNS1_25lookback_scan_determinismE0ELb0ELb1ES3_N6thrust23THRUST_200600_302600_NS6detail15normal_iteratorINS9_10device_ptrIxEEEESE_xNS9_4plusIxEExEEDaPvRmT3_T4_T5_mT6_P12ihipStream_tbENKUlT_T0_E_clISt17integral_constantIbLb0EESU_EEDaSP_SQ_EUlSP_E0_NS1_11comp_targetILNS1_3genE2ELNS1_11target_archE906ELNS1_3gpuE6ELNS1_3repE0EEENS1_30default_config_static_selectorELNS0_4arch9wavefront6targetE1EEEvT1_,"axG",@progbits,_ZN7rocprim17ROCPRIM_400000_NS6detail17trampoline_kernelINS0_14default_configENS1_20scan_config_selectorIxEEZZNS1_9scan_implILNS1_25lookback_scan_determinismE0ELb0ELb1ES3_N6thrust23THRUST_200600_302600_NS6detail15normal_iteratorINS9_10device_ptrIxEEEESE_xNS9_4plusIxEExEEDaPvRmT3_T4_T5_mT6_P12ihipStream_tbENKUlT_T0_E_clISt17integral_constantIbLb0EESU_EEDaSP_SQ_EUlSP_E0_NS1_11comp_targetILNS1_3genE2ELNS1_11target_archE906ELNS1_3gpuE6ELNS1_3repE0EEENS1_30default_config_static_selectorELNS0_4arch9wavefront6targetE1EEEvT1_,comdat
.Lfunc_end427:
	.size	_ZN7rocprim17ROCPRIM_400000_NS6detail17trampoline_kernelINS0_14default_configENS1_20scan_config_selectorIxEEZZNS1_9scan_implILNS1_25lookback_scan_determinismE0ELb0ELb1ES3_N6thrust23THRUST_200600_302600_NS6detail15normal_iteratorINS9_10device_ptrIxEEEESE_xNS9_4plusIxEExEEDaPvRmT3_T4_T5_mT6_P12ihipStream_tbENKUlT_T0_E_clISt17integral_constantIbLb0EESU_EEDaSP_SQ_EUlSP_E0_NS1_11comp_targetILNS1_3genE2ELNS1_11target_archE906ELNS1_3gpuE6ELNS1_3repE0EEENS1_30default_config_static_selectorELNS0_4arch9wavefront6targetE1EEEvT1_, .Lfunc_end427-_ZN7rocprim17ROCPRIM_400000_NS6detail17trampoline_kernelINS0_14default_configENS1_20scan_config_selectorIxEEZZNS1_9scan_implILNS1_25lookback_scan_determinismE0ELb0ELb1ES3_N6thrust23THRUST_200600_302600_NS6detail15normal_iteratorINS9_10device_ptrIxEEEESE_xNS9_4plusIxEExEEDaPvRmT3_T4_T5_mT6_P12ihipStream_tbENKUlT_T0_E_clISt17integral_constantIbLb0EESU_EEDaSP_SQ_EUlSP_E0_NS1_11comp_targetILNS1_3genE2ELNS1_11target_archE906ELNS1_3gpuE6ELNS1_3repE0EEENS1_30default_config_static_selectorELNS0_4arch9wavefront6targetE1EEEvT1_
                                        ; -- End function
	.section	.AMDGPU.csdata,"",@progbits
; Kernel info:
; codeLenInByte = 0
; NumSgprs: 4
; NumVgprs: 0
; NumAgprs: 0
; TotalNumVgprs: 0
; ScratchSize: 0
; MemoryBound: 0
; FloatMode: 240
; IeeeMode: 1
; LDSByteSize: 0 bytes/workgroup (compile time only)
; SGPRBlocks: 0
; VGPRBlocks: 0
; NumSGPRsForWavesPerEU: 4
; NumVGPRsForWavesPerEU: 1
; AccumOffset: 4
; Occupancy: 8
; WaveLimiterHint : 0
; COMPUTE_PGM_RSRC2:SCRATCH_EN: 0
; COMPUTE_PGM_RSRC2:USER_SGPR: 6
; COMPUTE_PGM_RSRC2:TRAP_HANDLER: 0
; COMPUTE_PGM_RSRC2:TGID_X_EN: 1
; COMPUTE_PGM_RSRC2:TGID_Y_EN: 0
; COMPUTE_PGM_RSRC2:TGID_Z_EN: 0
; COMPUTE_PGM_RSRC2:TIDIG_COMP_CNT: 0
; COMPUTE_PGM_RSRC3_GFX90A:ACCUM_OFFSET: 0
; COMPUTE_PGM_RSRC3_GFX90A:TG_SPLIT: 0
	.section	.text._ZN7rocprim17ROCPRIM_400000_NS6detail17trampoline_kernelINS0_14default_configENS1_20scan_config_selectorIxEEZZNS1_9scan_implILNS1_25lookback_scan_determinismE0ELb0ELb1ES3_N6thrust23THRUST_200600_302600_NS6detail15normal_iteratorINS9_10device_ptrIxEEEESE_xNS9_4plusIxEExEEDaPvRmT3_T4_T5_mT6_P12ihipStream_tbENKUlT_T0_E_clISt17integral_constantIbLb0EESU_EEDaSP_SQ_EUlSP_E0_NS1_11comp_targetILNS1_3genE10ELNS1_11target_archE1201ELNS1_3gpuE5ELNS1_3repE0EEENS1_30default_config_static_selectorELNS0_4arch9wavefront6targetE1EEEvT1_,"axG",@progbits,_ZN7rocprim17ROCPRIM_400000_NS6detail17trampoline_kernelINS0_14default_configENS1_20scan_config_selectorIxEEZZNS1_9scan_implILNS1_25lookback_scan_determinismE0ELb0ELb1ES3_N6thrust23THRUST_200600_302600_NS6detail15normal_iteratorINS9_10device_ptrIxEEEESE_xNS9_4plusIxEExEEDaPvRmT3_T4_T5_mT6_P12ihipStream_tbENKUlT_T0_E_clISt17integral_constantIbLb0EESU_EEDaSP_SQ_EUlSP_E0_NS1_11comp_targetILNS1_3genE10ELNS1_11target_archE1201ELNS1_3gpuE5ELNS1_3repE0EEENS1_30default_config_static_selectorELNS0_4arch9wavefront6targetE1EEEvT1_,comdat
	.protected	_ZN7rocprim17ROCPRIM_400000_NS6detail17trampoline_kernelINS0_14default_configENS1_20scan_config_selectorIxEEZZNS1_9scan_implILNS1_25lookback_scan_determinismE0ELb0ELb1ES3_N6thrust23THRUST_200600_302600_NS6detail15normal_iteratorINS9_10device_ptrIxEEEESE_xNS9_4plusIxEExEEDaPvRmT3_T4_T5_mT6_P12ihipStream_tbENKUlT_T0_E_clISt17integral_constantIbLb0EESU_EEDaSP_SQ_EUlSP_E0_NS1_11comp_targetILNS1_3genE10ELNS1_11target_archE1201ELNS1_3gpuE5ELNS1_3repE0EEENS1_30default_config_static_selectorELNS0_4arch9wavefront6targetE1EEEvT1_ ; -- Begin function _ZN7rocprim17ROCPRIM_400000_NS6detail17trampoline_kernelINS0_14default_configENS1_20scan_config_selectorIxEEZZNS1_9scan_implILNS1_25lookback_scan_determinismE0ELb0ELb1ES3_N6thrust23THRUST_200600_302600_NS6detail15normal_iteratorINS9_10device_ptrIxEEEESE_xNS9_4plusIxEExEEDaPvRmT3_T4_T5_mT6_P12ihipStream_tbENKUlT_T0_E_clISt17integral_constantIbLb0EESU_EEDaSP_SQ_EUlSP_E0_NS1_11comp_targetILNS1_3genE10ELNS1_11target_archE1201ELNS1_3gpuE5ELNS1_3repE0EEENS1_30default_config_static_selectorELNS0_4arch9wavefront6targetE1EEEvT1_
	.globl	_ZN7rocprim17ROCPRIM_400000_NS6detail17trampoline_kernelINS0_14default_configENS1_20scan_config_selectorIxEEZZNS1_9scan_implILNS1_25lookback_scan_determinismE0ELb0ELb1ES3_N6thrust23THRUST_200600_302600_NS6detail15normal_iteratorINS9_10device_ptrIxEEEESE_xNS9_4plusIxEExEEDaPvRmT3_T4_T5_mT6_P12ihipStream_tbENKUlT_T0_E_clISt17integral_constantIbLb0EESU_EEDaSP_SQ_EUlSP_E0_NS1_11comp_targetILNS1_3genE10ELNS1_11target_archE1201ELNS1_3gpuE5ELNS1_3repE0EEENS1_30default_config_static_selectorELNS0_4arch9wavefront6targetE1EEEvT1_
	.p2align	8
	.type	_ZN7rocprim17ROCPRIM_400000_NS6detail17trampoline_kernelINS0_14default_configENS1_20scan_config_selectorIxEEZZNS1_9scan_implILNS1_25lookback_scan_determinismE0ELb0ELb1ES3_N6thrust23THRUST_200600_302600_NS6detail15normal_iteratorINS9_10device_ptrIxEEEESE_xNS9_4plusIxEExEEDaPvRmT3_T4_T5_mT6_P12ihipStream_tbENKUlT_T0_E_clISt17integral_constantIbLb0EESU_EEDaSP_SQ_EUlSP_E0_NS1_11comp_targetILNS1_3genE10ELNS1_11target_archE1201ELNS1_3gpuE5ELNS1_3repE0EEENS1_30default_config_static_selectorELNS0_4arch9wavefront6targetE1EEEvT1_,@function
_ZN7rocprim17ROCPRIM_400000_NS6detail17trampoline_kernelINS0_14default_configENS1_20scan_config_selectorIxEEZZNS1_9scan_implILNS1_25lookback_scan_determinismE0ELb0ELb1ES3_N6thrust23THRUST_200600_302600_NS6detail15normal_iteratorINS9_10device_ptrIxEEEESE_xNS9_4plusIxEExEEDaPvRmT3_T4_T5_mT6_P12ihipStream_tbENKUlT_T0_E_clISt17integral_constantIbLb0EESU_EEDaSP_SQ_EUlSP_E0_NS1_11comp_targetILNS1_3genE10ELNS1_11target_archE1201ELNS1_3gpuE5ELNS1_3repE0EEENS1_30default_config_static_selectorELNS0_4arch9wavefront6targetE1EEEvT1_: ; @_ZN7rocprim17ROCPRIM_400000_NS6detail17trampoline_kernelINS0_14default_configENS1_20scan_config_selectorIxEEZZNS1_9scan_implILNS1_25lookback_scan_determinismE0ELb0ELb1ES3_N6thrust23THRUST_200600_302600_NS6detail15normal_iteratorINS9_10device_ptrIxEEEESE_xNS9_4plusIxEExEEDaPvRmT3_T4_T5_mT6_P12ihipStream_tbENKUlT_T0_E_clISt17integral_constantIbLb0EESU_EEDaSP_SQ_EUlSP_E0_NS1_11comp_targetILNS1_3genE10ELNS1_11target_archE1201ELNS1_3gpuE5ELNS1_3repE0EEENS1_30default_config_static_selectorELNS0_4arch9wavefront6targetE1EEEvT1_
; %bb.0:
	.section	.rodata,"a",@progbits
	.p2align	6, 0x0
	.amdhsa_kernel _ZN7rocprim17ROCPRIM_400000_NS6detail17trampoline_kernelINS0_14default_configENS1_20scan_config_selectorIxEEZZNS1_9scan_implILNS1_25lookback_scan_determinismE0ELb0ELb1ES3_N6thrust23THRUST_200600_302600_NS6detail15normal_iteratorINS9_10device_ptrIxEEEESE_xNS9_4plusIxEExEEDaPvRmT3_T4_T5_mT6_P12ihipStream_tbENKUlT_T0_E_clISt17integral_constantIbLb0EESU_EEDaSP_SQ_EUlSP_E0_NS1_11comp_targetILNS1_3genE10ELNS1_11target_archE1201ELNS1_3gpuE5ELNS1_3repE0EEENS1_30default_config_static_selectorELNS0_4arch9wavefront6targetE1EEEvT1_
		.amdhsa_group_segment_fixed_size 0
		.amdhsa_private_segment_fixed_size 0
		.amdhsa_kernarg_size 40
		.amdhsa_user_sgpr_count 6
		.amdhsa_user_sgpr_private_segment_buffer 1
		.amdhsa_user_sgpr_dispatch_ptr 0
		.amdhsa_user_sgpr_queue_ptr 0
		.amdhsa_user_sgpr_kernarg_segment_ptr 1
		.amdhsa_user_sgpr_dispatch_id 0
		.amdhsa_user_sgpr_flat_scratch_init 0
		.amdhsa_user_sgpr_kernarg_preload_length 0
		.amdhsa_user_sgpr_kernarg_preload_offset 0
		.amdhsa_user_sgpr_private_segment_size 0
		.amdhsa_uses_dynamic_stack 0
		.amdhsa_system_sgpr_private_segment_wavefront_offset 0
		.amdhsa_system_sgpr_workgroup_id_x 1
		.amdhsa_system_sgpr_workgroup_id_y 0
		.amdhsa_system_sgpr_workgroup_id_z 0
		.amdhsa_system_sgpr_workgroup_info 0
		.amdhsa_system_vgpr_workitem_id 0
		.amdhsa_next_free_vgpr 1
		.amdhsa_next_free_sgpr 0
		.amdhsa_accum_offset 4
		.amdhsa_reserve_vcc 0
		.amdhsa_reserve_flat_scratch 0
		.amdhsa_float_round_mode_32 0
		.amdhsa_float_round_mode_16_64 0
		.amdhsa_float_denorm_mode_32 3
		.amdhsa_float_denorm_mode_16_64 3
		.amdhsa_dx10_clamp 1
		.amdhsa_ieee_mode 1
		.amdhsa_fp16_overflow 0
		.amdhsa_tg_split 0
		.amdhsa_exception_fp_ieee_invalid_op 0
		.amdhsa_exception_fp_denorm_src 0
		.amdhsa_exception_fp_ieee_div_zero 0
		.amdhsa_exception_fp_ieee_overflow 0
		.amdhsa_exception_fp_ieee_underflow 0
		.amdhsa_exception_fp_ieee_inexact 0
		.amdhsa_exception_int_div_zero 0
	.end_amdhsa_kernel
	.section	.text._ZN7rocprim17ROCPRIM_400000_NS6detail17trampoline_kernelINS0_14default_configENS1_20scan_config_selectorIxEEZZNS1_9scan_implILNS1_25lookback_scan_determinismE0ELb0ELb1ES3_N6thrust23THRUST_200600_302600_NS6detail15normal_iteratorINS9_10device_ptrIxEEEESE_xNS9_4plusIxEExEEDaPvRmT3_T4_T5_mT6_P12ihipStream_tbENKUlT_T0_E_clISt17integral_constantIbLb0EESU_EEDaSP_SQ_EUlSP_E0_NS1_11comp_targetILNS1_3genE10ELNS1_11target_archE1201ELNS1_3gpuE5ELNS1_3repE0EEENS1_30default_config_static_selectorELNS0_4arch9wavefront6targetE1EEEvT1_,"axG",@progbits,_ZN7rocprim17ROCPRIM_400000_NS6detail17trampoline_kernelINS0_14default_configENS1_20scan_config_selectorIxEEZZNS1_9scan_implILNS1_25lookback_scan_determinismE0ELb0ELb1ES3_N6thrust23THRUST_200600_302600_NS6detail15normal_iteratorINS9_10device_ptrIxEEEESE_xNS9_4plusIxEExEEDaPvRmT3_T4_T5_mT6_P12ihipStream_tbENKUlT_T0_E_clISt17integral_constantIbLb0EESU_EEDaSP_SQ_EUlSP_E0_NS1_11comp_targetILNS1_3genE10ELNS1_11target_archE1201ELNS1_3gpuE5ELNS1_3repE0EEENS1_30default_config_static_selectorELNS0_4arch9wavefront6targetE1EEEvT1_,comdat
.Lfunc_end428:
	.size	_ZN7rocprim17ROCPRIM_400000_NS6detail17trampoline_kernelINS0_14default_configENS1_20scan_config_selectorIxEEZZNS1_9scan_implILNS1_25lookback_scan_determinismE0ELb0ELb1ES3_N6thrust23THRUST_200600_302600_NS6detail15normal_iteratorINS9_10device_ptrIxEEEESE_xNS9_4plusIxEExEEDaPvRmT3_T4_T5_mT6_P12ihipStream_tbENKUlT_T0_E_clISt17integral_constantIbLb0EESU_EEDaSP_SQ_EUlSP_E0_NS1_11comp_targetILNS1_3genE10ELNS1_11target_archE1201ELNS1_3gpuE5ELNS1_3repE0EEENS1_30default_config_static_selectorELNS0_4arch9wavefront6targetE1EEEvT1_, .Lfunc_end428-_ZN7rocprim17ROCPRIM_400000_NS6detail17trampoline_kernelINS0_14default_configENS1_20scan_config_selectorIxEEZZNS1_9scan_implILNS1_25lookback_scan_determinismE0ELb0ELb1ES3_N6thrust23THRUST_200600_302600_NS6detail15normal_iteratorINS9_10device_ptrIxEEEESE_xNS9_4plusIxEExEEDaPvRmT3_T4_T5_mT6_P12ihipStream_tbENKUlT_T0_E_clISt17integral_constantIbLb0EESU_EEDaSP_SQ_EUlSP_E0_NS1_11comp_targetILNS1_3genE10ELNS1_11target_archE1201ELNS1_3gpuE5ELNS1_3repE0EEENS1_30default_config_static_selectorELNS0_4arch9wavefront6targetE1EEEvT1_
                                        ; -- End function
	.section	.AMDGPU.csdata,"",@progbits
; Kernel info:
; codeLenInByte = 0
; NumSgprs: 4
; NumVgprs: 0
; NumAgprs: 0
; TotalNumVgprs: 0
; ScratchSize: 0
; MemoryBound: 0
; FloatMode: 240
; IeeeMode: 1
; LDSByteSize: 0 bytes/workgroup (compile time only)
; SGPRBlocks: 0
; VGPRBlocks: 0
; NumSGPRsForWavesPerEU: 4
; NumVGPRsForWavesPerEU: 1
; AccumOffset: 4
; Occupancy: 8
; WaveLimiterHint : 0
; COMPUTE_PGM_RSRC2:SCRATCH_EN: 0
; COMPUTE_PGM_RSRC2:USER_SGPR: 6
; COMPUTE_PGM_RSRC2:TRAP_HANDLER: 0
; COMPUTE_PGM_RSRC2:TGID_X_EN: 1
; COMPUTE_PGM_RSRC2:TGID_Y_EN: 0
; COMPUTE_PGM_RSRC2:TGID_Z_EN: 0
; COMPUTE_PGM_RSRC2:TIDIG_COMP_CNT: 0
; COMPUTE_PGM_RSRC3_GFX90A:ACCUM_OFFSET: 0
; COMPUTE_PGM_RSRC3_GFX90A:TG_SPLIT: 0
	.section	.text._ZN7rocprim17ROCPRIM_400000_NS6detail17trampoline_kernelINS0_14default_configENS1_20scan_config_selectorIxEEZZNS1_9scan_implILNS1_25lookback_scan_determinismE0ELb0ELb1ES3_N6thrust23THRUST_200600_302600_NS6detail15normal_iteratorINS9_10device_ptrIxEEEESE_xNS9_4plusIxEExEEDaPvRmT3_T4_T5_mT6_P12ihipStream_tbENKUlT_T0_E_clISt17integral_constantIbLb0EESU_EEDaSP_SQ_EUlSP_E0_NS1_11comp_targetILNS1_3genE10ELNS1_11target_archE1200ELNS1_3gpuE4ELNS1_3repE0EEENS1_30default_config_static_selectorELNS0_4arch9wavefront6targetE1EEEvT1_,"axG",@progbits,_ZN7rocprim17ROCPRIM_400000_NS6detail17trampoline_kernelINS0_14default_configENS1_20scan_config_selectorIxEEZZNS1_9scan_implILNS1_25lookback_scan_determinismE0ELb0ELb1ES3_N6thrust23THRUST_200600_302600_NS6detail15normal_iteratorINS9_10device_ptrIxEEEESE_xNS9_4plusIxEExEEDaPvRmT3_T4_T5_mT6_P12ihipStream_tbENKUlT_T0_E_clISt17integral_constantIbLb0EESU_EEDaSP_SQ_EUlSP_E0_NS1_11comp_targetILNS1_3genE10ELNS1_11target_archE1200ELNS1_3gpuE4ELNS1_3repE0EEENS1_30default_config_static_selectorELNS0_4arch9wavefront6targetE1EEEvT1_,comdat
	.protected	_ZN7rocprim17ROCPRIM_400000_NS6detail17trampoline_kernelINS0_14default_configENS1_20scan_config_selectorIxEEZZNS1_9scan_implILNS1_25lookback_scan_determinismE0ELb0ELb1ES3_N6thrust23THRUST_200600_302600_NS6detail15normal_iteratorINS9_10device_ptrIxEEEESE_xNS9_4plusIxEExEEDaPvRmT3_T4_T5_mT6_P12ihipStream_tbENKUlT_T0_E_clISt17integral_constantIbLb0EESU_EEDaSP_SQ_EUlSP_E0_NS1_11comp_targetILNS1_3genE10ELNS1_11target_archE1200ELNS1_3gpuE4ELNS1_3repE0EEENS1_30default_config_static_selectorELNS0_4arch9wavefront6targetE1EEEvT1_ ; -- Begin function _ZN7rocprim17ROCPRIM_400000_NS6detail17trampoline_kernelINS0_14default_configENS1_20scan_config_selectorIxEEZZNS1_9scan_implILNS1_25lookback_scan_determinismE0ELb0ELb1ES3_N6thrust23THRUST_200600_302600_NS6detail15normal_iteratorINS9_10device_ptrIxEEEESE_xNS9_4plusIxEExEEDaPvRmT3_T4_T5_mT6_P12ihipStream_tbENKUlT_T0_E_clISt17integral_constantIbLb0EESU_EEDaSP_SQ_EUlSP_E0_NS1_11comp_targetILNS1_3genE10ELNS1_11target_archE1200ELNS1_3gpuE4ELNS1_3repE0EEENS1_30default_config_static_selectorELNS0_4arch9wavefront6targetE1EEEvT1_
	.globl	_ZN7rocprim17ROCPRIM_400000_NS6detail17trampoline_kernelINS0_14default_configENS1_20scan_config_selectorIxEEZZNS1_9scan_implILNS1_25lookback_scan_determinismE0ELb0ELb1ES3_N6thrust23THRUST_200600_302600_NS6detail15normal_iteratorINS9_10device_ptrIxEEEESE_xNS9_4plusIxEExEEDaPvRmT3_T4_T5_mT6_P12ihipStream_tbENKUlT_T0_E_clISt17integral_constantIbLb0EESU_EEDaSP_SQ_EUlSP_E0_NS1_11comp_targetILNS1_3genE10ELNS1_11target_archE1200ELNS1_3gpuE4ELNS1_3repE0EEENS1_30default_config_static_selectorELNS0_4arch9wavefront6targetE1EEEvT1_
	.p2align	8
	.type	_ZN7rocprim17ROCPRIM_400000_NS6detail17trampoline_kernelINS0_14default_configENS1_20scan_config_selectorIxEEZZNS1_9scan_implILNS1_25lookback_scan_determinismE0ELb0ELb1ES3_N6thrust23THRUST_200600_302600_NS6detail15normal_iteratorINS9_10device_ptrIxEEEESE_xNS9_4plusIxEExEEDaPvRmT3_T4_T5_mT6_P12ihipStream_tbENKUlT_T0_E_clISt17integral_constantIbLb0EESU_EEDaSP_SQ_EUlSP_E0_NS1_11comp_targetILNS1_3genE10ELNS1_11target_archE1200ELNS1_3gpuE4ELNS1_3repE0EEENS1_30default_config_static_selectorELNS0_4arch9wavefront6targetE1EEEvT1_,@function
_ZN7rocprim17ROCPRIM_400000_NS6detail17trampoline_kernelINS0_14default_configENS1_20scan_config_selectorIxEEZZNS1_9scan_implILNS1_25lookback_scan_determinismE0ELb0ELb1ES3_N6thrust23THRUST_200600_302600_NS6detail15normal_iteratorINS9_10device_ptrIxEEEESE_xNS9_4plusIxEExEEDaPvRmT3_T4_T5_mT6_P12ihipStream_tbENKUlT_T0_E_clISt17integral_constantIbLb0EESU_EEDaSP_SQ_EUlSP_E0_NS1_11comp_targetILNS1_3genE10ELNS1_11target_archE1200ELNS1_3gpuE4ELNS1_3repE0EEENS1_30default_config_static_selectorELNS0_4arch9wavefront6targetE1EEEvT1_: ; @_ZN7rocprim17ROCPRIM_400000_NS6detail17trampoline_kernelINS0_14default_configENS1_20scan_config_selectorIxEEZZNS1_9scan_implILNS1_25lookback_scan_determinismE0ELb0ELb1ES3_N6thrust23THRUST_200600_302600_NS6detail15normal_iteratorINS9_10device_ptrIxEEEESE_xNS9_4plusIxEExEEDaPvRmT3_T4_T5_mT6_P12ihipStream_tbENKUlT_T0_E_clISt17integral_constantIbLb0EESU_EEDaSP_SQ_EUlSP_E0_NS1_11comp_targetILNS1_3genE10ELNS1_11target_archE1200ELNS1_3gpuE4ELNS1_3repE0EEENS1_30default_config_static_selectorELNS0_4arch9wavefront6targetE1EEEvT1_
; %bb.0:
	.section	.rodata,"a",@progbits
	.p2align	6, 0x0
	.amdhsa_kernel _ZN7rocprim17ROCPRIM_400000_NS6detail17trampoline_kernelINS0_14default_configENS1_20scan_config_selectorIxEEZZNS1_9scan_implILNS1_25lookback_scan_determinismE0ELb0ELb1ES3_N6thrust23THRUST_200600_302600_NS6detail15normal_iteratorINS9_10device_ptrIxEEEESE_xNS9_4plusIxEExEEDaPvRmT3_T4_T5_mT6_P12ihipStream_tbENKUlT_T0_E_clISt17integral_constantIbLb0EESU_EEDaSP_SQ_EUlSP_E0_NS1_11comp_targetILNS1_3genE10ELNS1_11target_archE1200ELNS1_3gpuE4ELNS1_3repE0EEENS1_30default_config_static_selectorELNS0_4arch9wavefront6targetE1EEEvT1_
		.amdhsa_group_segment_fixed_size 0
		.amdhsa_private_segment_fixed_size 0
		.amdhsa_kernarg_size 40
		.amdhsa_user_sgpr_count 6
		.amdhsa_user_sgpr_private_segment_buffer 1
		.amdhsa_user_sgpr_dispatch_ptr 0
		.amdhsa_user_sgpr_queue_ptr 0
		.amdhsa_user_sgpr_kernarg_segment_ptr 1
		.amdhsa_user_sgpr_dispatch_id 0
		.amdhsa_user_sgpr_flat_scratch_init 0
		.amdhsa_user_sgpr_kernarg_preload_length 0
		.amdhsa_user_sgpr_kernarg_preload_offset 0
		.amdhsa_user_sgpr_private_segment_size 0
		.amdhsa_uses_dynamic_stack 0
		.amdhsa_system_sgpr_private_segment_wavefront_offset 0
		.amdhsa_system_sgpr_workgroup_id_x 1
		.amdhsa_system_sgpr_workgroup_id_y 0
		.amdhsa_system_sgpr_workgroup_id_z 0
		.amdhsa_system_sgpr_workgroup_info 0
		.amdhsa_system_vgpr_workitem_id 0
		.amdhsa_next_free_vgpr 1
		.amdhsa_next_free_sgpr 0
		.amdhsa_accum_offset 4
		.amdhsa_reserve_vcc 0
		.amdhsa_reserve_flat_scratch 0
		.amdhsa_float_round_mode_32 0
		.amdhsa_float_round_mode_16_64 0
		.amdhsa_float_denorm_mode_32 3
		.amdhsa_float_denorm_mode_16_64 3
		.amdhsa_dx10_clamp 1
		.amdhsa_ieee_mode 1
		.amdhsa_fp16_overflow 0
		.amdhsa_tg_split 0
		.amdhsa_exception_fp_ieee_invalid_op 0
		.amdhsa_exception_fp_denorm_src 0
		.amdhsa_exception_fp_ieee_div_zero 0
		.amdhsa_exception_fp_ieee_overflow 0
		.amdhsa_exception_fp_ieee_underflow 0
		.amdhsa_exception_fp_ieee_inexact 0
		.amdhsa_exception_int_div_zero 0
	.end_amdhsa_kernel
	.section	.text._ZN7rocprim17ROCPRIM_400000_NS6detail17trampoline_kernelINS0_14default_configENS1_20scan_config_selectorIxEEZZNS1_9scan_implILNS1_25lookback_scan_determinismE0ELb0ELb1ES3_N6thrust23THRUST_200600_302600_NS6detail15normal_iteratorINS9_10device_ptrIxEEEESE_xNS9_4plusIxEExEEDaPvRmT3_T4_T5_mT6_P12ihipStream_tbENKUlT_T0_E_clISt17integral_constantIbLb0EESU_EEDaSP_SQ_EUlSP_E0_NS1_11comp_targetILNS1_3genE10ELNS1_11target_archE1200ELNS1_3gpuE4ELNS1_3repE0EEENS1_30default_config_static_selectorELNS0_4arch9wavefront6targetE1EEEvT1_,"axG",@progbits,_ZN7rocprim17ROCPRIM_400000_NS6detail17trampoline_kernelINS0_14default_configENS1_20scan_config_selectorIxEEZZNS1_9scan_implILNS1_25lookback_scan_determinismE0ELb0ELb1ES3_N6thrust23THRUST_200600_302600_NS6detail15normal_iteratorINS9_10device_ptrIxEEEESE_xNS9_4plusIxEExEEDaPvRmT3_T4_T5_mT6_P12ihipStream_tbENKUlT_T0_E_clISt17integral_constantIbLb0EESU_EEDaSP_SQ_EUlSP_E0_NS1_11comp_targetILNS1_3genE10ELNS1_11target_archE1200ELNS1_3gpuE4ELNS1_3repE0EEENS1_30default_config_static_selectorELNS0_4arch9wavefront6targetE1EEEvT1_,comdat
.Lfunc_end429:
	.size	_ZN7rocprim17ROCPRIM_400000_NS6detail17trampoline_kernelINS0_14default_configENS1_20scan_config_selectorIxEEZZNS1_9scan_implILNS1_25lookback_scan_determinismE0ELb0ELb1ES3_N6thrust23THRUST_200600_302600_NS6detail15normal_iteratorINS9_10device_ptrIxEEEESE_xNS9_4plusIxEExEEDaPvRmT3_T4_T5_mT6_P12ihipStream_tbENKUlT_T0_E_clISt17integral_constantIbLb0EESU_EEDaSP_SQ_EUlSP_E0_NS1_11comp_targetILNS1_3genE10ELNS1_11target_archE1200ELNS1_3gpuE4ELNS1_3repE0EEENS1_30default_config_static_selectorELNS0_4arch9wavefront6targetE1EEEvT1_, .Lfunc_end429-_ZN7rocprim17ROCPRIM_400000_NS6detail17trampoline_kernelINS0_14default_configENS1_20scan_config_selectorIxEEZZNS1_9scan_implILNS1_25lookback_scan_determinismE0ELb0ELb1ES3_N6thrust23THRUST_200600_302600_NS6detail15normal_iteratorINS9_10device_ptrIxEEEESE_xNS9_4plusIxEExEEDaPvRmT3_T4_T5_mT6_P12ihipStream_tbENKUlT_T0_E_clISt17integral_constantIbLb0EESU_EEDaSP_SQ_EUlSP_E0_NS1_11comp_targetILNS1_3genE10ELNS1_11target_archE1200ELNS1_3gpuE4ELNS1_3repE0EEENS1_30default_config_static_selectorELNS0_4arch9wavefront6targetE1EEEvT1_
                                        ; -- End function
	.section	.AMDGPU.csdata,"",@progbits
; Kernel info:
; codeLenInByte = 0
; NumSgprs: 4
; NumVgprs: 0
; NumAgprs: 0
; TotalNumVgprs: 0
; ScratchSize: 0
; MemoryBound: 0
; FloatMode: 240
; IeeeMode: 1
; LDSByteSize: 0 bytes/workgroup (compile time only)
; SGPRBlocks: 0
; VGPRBlocks: 0
; NumSGPRsForWavesPerEU: 4
; NumVGPRsForWavesPerEU: 1
; AccumOffset: 4
; Occupancy: 8
; WaveLimiterHint : 0
; COMPUTE_PGM_RSRC2:SCRATCH_EN: 0
; COMPUTE_PGM_RSRC2:USER_SGPR: 6
; COMPUTE_PGM_RSRC2:TRAP_HANDLER: 0
; COMPUTE_PGM_RSRC2:TGID_X_EN: 1
; COMPUTE_PGM_RSRC2:TGID_Y_EN: 0
; COMPUTE_PGM_RSRC2:TGID_Z_EN: 0
; COMPUTE_PGM_RSRC2:TIDIG_COMP_CNT: 0
; COMPUTE_PGM_RSRC3_GFX90A:ACCUM_OFFSET: 0
; COMPUTE_PGM_RSRC3_GFX90A:TG_SPLIT: 0
	.section	.text._ZN7rocprim17ROCPRIM_400000_NS6detail17trampoline_kernelINS0_14default_configENS1_20scan_config_selectorIxEEZZNS1_9scan_implILNS1_25lookback_scan_determinismE0ELb0ELb1ES3_N6thrust23THRUST_200600_302600_NS6detail15normal_iteratorINS9_10device_ptrIxEEEESE_xNS9_4plusIxEExEEDaPvRmT3_T4_T5_mT6_P12ihipStream_tbENKUlT_T0_E_clISt17integral_constantIbLb0EESU_EEDaSP_SQ_EUlSP_E0_NS1_11comp_targetILNS1_3genE9ELNS1_11target_archE1100ELNS1_3gpuE3ELNS1_3repE0EEENS1_30default_config_static_selectorELNS0_4arch9wavefront6targetE1EEEvT1_,"axG",@progbits,_ZN7rocprim17ROCPRIM_400000_NS6detail17trampoline_kernelINS0_14default_configENS1_20scan_config_selectorIxEEZZNS1_9scan_implILNS1_25lookback_scan_determinismE0ELb0ELb1ES3_N6thrust23THRUST_200600_302600_NS6detail15normal_iteratorINS9_10device_ptrIxEEEESE_xNS9_4plusIxEExEEDaPvRmT3_T4_T5_mT6_P12ihipStream_tbENKUlT_T0_E_clISt17integral_constantIbLb0EESU_EEDaSP_SQ_EUlSP_E0_NS1_11comp_targetILNS1_3genE9ELNS1_11target_archE1100ELNS1_3gpuE3ELNS1_3repE0EEENS1_30default_config_static_selectorELNS0_4arch9wavefront6targetE1EEEvT1_,comdat
	.protected	_ZN7rocprim17ROCPRIM_400000_NS6detail17trampoline_kernelINS0_14default_configENS1_20scan_config_selectorIxEEZZNS1_9scan_implILNS1_25lookback_scan_determinismE0ELb0ELb1ES3_N6thrust23THRUST_200600_302600_NS6detail15normal_iteratorINS9_10device_ptrIxEEEESE_xNS9_4plusIxEExEEDaPvRmT3_T4_T5_mT6_P12ihipStream_tbENKUlT_T0_E_clISt17integral_constantIbLb0EESU_EEDaSP_SQ_EUlSP_E0_NS1_11comp_targetILNS1_3genE9ELNS1_11target_archE1100ELNS1_3gpuE3ELNS1_3repE0EEENS1_30default_config_static_selectorELNS0_4arch9wavefront6targetE1EEEvT1_ ; -- Begin function _ZN7rocprim17ROCPRIM_400000_NS6detail17trampoline_kernelINS0_14default_configENS1_20scan_config_selectorIxEEZZNS1_9scan_implILNS1_25lookback_scan_determinismE0ELb0ELb1ES3_N6thrust23THRUST_200600_302600_NS6detail15normal_iteratorINS9_10device_ptrIxEEEESE_xNS9_4plusIxEExEEDaPvRmT3_T4_T5_mT6_P12ihipStream_tbENKUlT_T0_E_clISt17integral_constantIbLb0EESU_EEDaSP_SQ_EUlSP_E0_NS1_11comp_targetILNS1_3genE9ELNS1_11target_archE1100ELNS1_3gpuE3ELNS1_3repE0EEENS1_30default_config_static_selectorELNS0_4arch9wavefront6targetE1EEEvT1_
	.globl	_ZN7rocprim17ROCPRIM_400000_NS6detail17trampoline_kernelINS0_14default_configENS1_20scan_config_selectorIxEEZZNS1_9scan_implILNS1_25lookback_scan_determinismE0ELb0ELb1ES3_N6thrust23THRUST_200600_302600_NS6detail15normal_iteratorINS9_10device_ptrIxEEEESE_xNS9_4plusIxEExEEDaPvRmT3_T4_T5_mT6_P12ihipStream_tbENKUlT_T0_E_clISt17integral_constantIbLb0EESU_EEDaSP_SQ_EUlSP_E0_NS1_11comp_targetILNS1_3genE9ELNS1_11target_archE1100ELNS1_3gpuE3ELNS1_3repE0EEENS1_30default_config_static_selectorELNS0_4arch9wavefront6targetE1EEEvT1_
	.p2align	8
	.type	_ZN7rocprim17ROCPRIM_400000_NS6detail17trampoline_kernelINS0_14default_configENS1_20scan_config_selectorIxEEZZNS1_9scan_implILNS1_25lookback_scan_determinismE0ELb0ELb1ES3_N6thrust23THRUST_200600_302600_NS6detail15normal_iteratorINS9_10device_ptrIxEEEESE_xNS9_4plusIxEExEEDaPvRmT3_T4_T5_mT6_P12ihipStream_tbENKUlT_T0_E_clISt17integral_constantIbLb0EESU_EEDaSP_SQ_EUlSP_E0_NS1_11comp_targetILNS1_3genE9ELNS1_11target_archE1100ELNS1_3gpuE3ELNS1_3repE0EEENS1_30default_config_static_selectorELNS0_4arch9wavefront6targetE1EEEvT1_,@function
_ZN7rocprim17ROCPRIM_400000_NS6detail17trampoline_kernelINS0_14default_configENS1_20scan_config_selectorIxEEZZNS1_9scan_implILNS1_25lookback_scan_determinismE0ELb0ELb1ES3_N6thrust23THRUST_200600_302600_NS6detail15normal_iteratorINS9_10device_ptrIxEEEESE_xNS9_4plusIxEExEEDaPvRmT3_T4_T5_mT6_P12ihipStream_tbENKUlT_T0_E_clISt17integral_constantIbLb0EESU_EEDaSP_SQ_EUlSP_E0_NS1_11comp_targetILNS1_3genE9ELNS1_11target_archE1100ELNS1_3gpuE3ELNS1_3repE0EEENS1_30default_config_static_selectorELNS0_4arch9wavefront6targetE1EEEvT1_: ; @_ZN7rocprim17ROCPRIM_400000_NS6detail17trampoline_kernelINS0_14default_configENS1_20scan_config_selectorIxEEZZNS1_9scan_implILNS1_25lookback_scan_determinismE0ELb0ELb1ES3_N6thrust23THRUST_200600_302600_NS6detail15normal_iteratorINS9_10device_ptrIxEEEESE_xNS9_4plusIxEExEEDaPvRmT3_T4_T5_mT6_P12ihipStream_tbENKUlT_T0_E_clISt17integral_constantIbLb0EESU_EEDaSP_SQ_EUlSP_E0_NS1_11comp_targetILNS1_3genE9ELNS1_11target_archE1100ELNS1_3gpuE3ELNS1_3repE0EEENS1_30default_config_static_selectorELNS0_4arch9wavefront6targetE1EEEvT1_
; %bb.0:
	.section	.rodata,"a",@progbits
	.p2align	6, 0x0
	.amdhsa_kernel _ZN7rocprim17ROCPRIM_400000_NS6detail17trampoline_kernelINS0_14default_configENS1_20scan_config_selectorIxEEZZNS1_9scan_implILNS1_25lookback_scan_determinismE0ELb0ELb1ES3_N6thrust23THRUST_200600_302600_NS6detail15normal_iteratorINS9_10device_ptrIxEEEESE_xNS9_4plusIxEExEEDaPvRmT3_T4_T5_mT6_P12ihipStream_tbENKUlT_T0_E_clISt17integral_constantIbLb0EESU_EEDaSP_SQ_EUlSP_E0_NS1_11comp_targetILNS1_3genE9ELNS1_11target_archE1100ELNS1_3gpuE3ELNS1_3repE0EEENS1_30default_config_static_selectorELNS0_4arch9wavefront6targetE1EEEvT1_
		.amdhsa_group_segment_fixed_size 0
		.amdhsa_private_segment_fixed_size 0
		.amdhsa_kernarg_size 40
		.amdhsa_user_sgpr_count 6
		.amdhsa_user_sgpr_private_segment_buffer 1
		.amdhsa_user_sgpr_dispatch_ptr 0
		.amdhsa_user_sgpr_queue_ptr 0
		.amdhsa_user_sgpr_kernarg_segment_ptr 1
		.amdhsa_user_sgpr_dispatch_id 0
		.amdhsa_user_sgpr_flat_scratch_init 0
		.amdhsa_user_sgpr_kernarg_preload_length 0
		.amdhsa_user_sgpr_kernarg_preload_offset 0
		.amdhsa_user_sgpr_private_segment_size 0
		.amdhsa_uses_dynamic_stack 0
		.amdhsa_system_sgpr_private_segment_wavefront_offset 0
		.amdhsa_system_sgpr_workgroup_id_x 1
		.amdhsa_system_sgpr_workgroup_id_y 0
		.amdhsa_system_sgpr_workgroup_id_z 0
		.amdhsa_system_sgpr_workgroup_info 0
		.amdhsa_system_vgpr_workitem_id 0
		.amdhsa_next_free_vgpr 1
		.amdhsa_next_free_sgpr 0
		.amdhsa_accum_offset 4
		.amdhsa_reserve_vcc 0
		.amdhsa_reserve_flat_scratch 0
		.amdhsa_float_round_mode_32 0
		.amdhsa_float_round_mode_16_64 0
		.amdhsa_float_denorm_mode_32 3
		.amdhsa_float_denorm_mode_16_64 3
		.amdhsa_dx10_clamp 1
		.amdhsa_ieee_mode 1
		.amdhsa_fp16_overflow 0
		.amdhsa_tg_split 0
		.amdhsa_exception_fp_ieee_invalid_op 0
		.amdhsa_exception_fp_denorm_src 0
		.amdhsa_exception_fp_ieee_div_zero 0
		.amdhsa_exception_fp_ieee_overflow 0
		.amdhsa_exception_fp_ieee_underflow 0
		.amdhsa_exception_fp_ieee_inexact 0
		.amdhsa_exception_int_div_zero 0
	.end_amdhsa_kernel
	.section	.text._ZN7rocprim17ROCPRIM_400000_NS6detail17trampoline_kernelINS0_14default_configENS1_20scan_config_selectorIxEEZZNS1_9scan_implILNS1_25lookback_scan_determinismE0ELb0ELb1ES3_N6thrust23THRUST_200600_302600_NS6detail15normal_iteratorINS9_10device_ptrIxEEEESE_xNS9_4plusIxEExEEDaPvRmT3_T4_T5_mT6_P12ihipStream_tbENKUlT_T0_E_clISt17integral_constantIbLb0EESU_EEDaSP_SQ_EUlSP_E0_NS1_11comp_targetILNS1_3genE9ELNS1_11target_archE1100ELNS1_3gpuE3ELNS1_3repE0EEENS1_30default_config_static_selectorELNS0_4arch9wavefront6targetE1EEEvT1_,"axG",@progbits,_ZN7rocprim17ROCPRIM_400000_NS6detail17trampoline_kernelINS0_14default_configENS1_20scan_config_selectorIxEEZZNS1_9scan_implILNS1_25lookback_scan_determinismE0ELb0ELb1ES3_N6thrust23THRUST_200600_302600_NS6detail15normal_iteratorINS9_10device_ptrIxEEEESE_xNS9_4plusIxEExEEDaPvRmT3_T4_T5_mT6_P12ihipStream_tbENKUlT_T0_E_clISt17integral_constantIbLb0EESU_EEDaSP_SQ_EUlSP_E0_NS1_11comp_targetILNS1_3genE9ELNS1_11target_archE1100ELNS1_3gpuE3ELNS1_3repE0EEENS1_30default_config_static_selectorELNS0_4arch9wavefront6targetE1EEEvT1_,comdat
.Lfunc_end430:
	.size	_ZN7rocprim17ROCPRIM_400000_NS6detail17trampoline_kernelINS0_14default_configENS1_20scan_config_selectorIxEEZZNS1_9scan_implILNS1_25lookback_scan_determinismE0ELb0ELb1ES3_N6thrust23THRUST_200600_302600_NS6detail15normal_iteratorINS9_10device_ptrIxEEEESE_xNS9_4plusIxEExEEDaPvRmT3_T4_T5_mT6_P12ihipStream_tbENKUlT_T0_E_clISt17integral_constantIbLb0EESU_EEDaSP_SQ_EUlSP_E0_NS1_11comp_targetILNS1_3genE9ELNS1_11target_archE1100ELNS1_3gpuE3ELNS1_3repE0EEENS1_30default_config_static_selectorELNS0_4arch9wavefront6targetE1EEEvT1_, .Lfunc_end430-_ZN7rocprim17ROCPRIM_400000_NS6detail17trampoline_kernelINS0_14default_configENS1_20scan_config_selectorIxEEZZNS1_9scan_implILNS1_25lookback_scan_determinismE0ELb0ELb1ES3_N6thrust23THRUST_200600_302600_NS6detail15normal_iteratorINS9_10device_ptrIxEEEESE_xNS9_4plusIxEExEEDaPvRmT3_T4_T5_mT6_P12ihipStream_tbENKUlT_T0_E_clISt17integral_constantIbLb0EESU_EEDaSP_SQ_EUlSP_E0_NS1_11comp_targetILNS1_3genE9ELNS1_11target_archE1100ELNS1_3gpuE3ELNS1_3repE0EEENS1_30default_config_static_selectorELNS0_4arch9wavefront6targetE1EEEvT1_
                                        ; -- End function
	.section	.AMDGPU.csdata,"",@progbits
; Kernel info:
; codeLenInByte = 0
; NumSgprs: 4
; NumVgprs: 0
; NumAgprs: 0
; TotalNumVgprs: 0
; ScratchSize: 0
; MemoryBound: 0
; FloatMode: 240
; IeeeMode: 1
; LDSByteSize: 0 bytes/workgroup (compile time only)
; SGPRBlocks: 0
; VGPRBlocks: 0
; NumSGPRsForWavesPerEU: 4
; NumVGPRsForWavesPerEU: 1
; AccumOffset: 4
; Occupancy: 8
; WaveLimiterHint : 0
; COMPUTE_PGM_RSRC2:SCRATCH_EN: 0
; COMPUTE_PGM_RSRC2:USER_SGPR: 6
; COMPUTE_PGM_RSRC2:TRAP_HANDLER: 0
; COMPUTE_PGM_RSRC2:TGID_X_EN: 1
; COMPUTE_PGM_RSRC2:TGID_Y_EN: 0
; COMPUTE_PGM_RSRC2:TGID_Z_EN: 0
; COMPUTE_PGM_RSRC2:TIDIG_COMP_CNT: 0
; COMPUTE_PGM_RSRC3_GFX90A:ACCUM_OFFSET: 0
; COMPUTE_PGM_RSRC3_GFX90A:TG_SPLIT: 0
	.section	.text._ZN7rocprim17ROCPRIM_400000_NS6detail17trampoline_kernelINS0_14default_configENS1_20scan_config_selectorIxEEZZNS1_9scan_implILNS1_25lookback_scan_determinismE0ELb0ELb1ES3_N6thrust23THRUST_200600_302600_NS6detail15normal_iteratorINS9_10device_ptrIxEEEESE_xNS9_4plusIxEExEEDaPvRmT3_T4_T5_mT6_P12ihipStream_tbENKUlT_T0_E_clISt17integral_constantIbLb0EESU_EEDaSP_SQ_EUlSP_E0_NS1_11comp_targetILNS1_3genE8ELNS1_11target_archE1030ELNS1_3gpuE2ELNS1_3repE0EEENS1_30default_config_static_selectorELNS0_4arch9wavefront6targetE1EEEvT1_,"axG",@progbits,_ZN7rocprim17ROCPRIM_400000_NS6detail17trampoline_kernelINS0_14default_configENS1_20scan_config_selectorIxEEZZNS1_9scan_implILNS1_25lookback_scan_determinismE0ELb0ELb1ES3_N6thrust23THRUST_200600_302600_NS6detail15normal_iteratorINS9_10device_ptrIxEEEESE_xNS9_4plusIxEExEEDaPvRmT3_T4_T5_mT6_P12ihipStream_tbENKUlT_T0_E_clISt17integral_constantIbLb0EESU_EEDaSP_SQ_EUlSP_E0_NS1_11comp_targetILNS1_3genE8ELNS1_11target_archE1030ELNS1_3gpuE2ELNS1_3repE0EEENS1_30default_config_static_selectorELNS0_4arch9wavefront6targetE1EEEvT1_,comdat
	.protected	_ZN7rocprim17ROCPRIM_400000_NS6detail17trampoline_kernelINS0_14default_configENS1_20scan_config_selectorIxEEZZNS1_9scan_implILNS1_25lookback_scan_determinismE0ELb0ELb1ES3_N6thrust23THRUST_200600_302600_NS6detail15normal_iteratorINS9_10device_ptrIxEEEESE_xNS9_4plusIxEExEEDaPvRmT3_T4_T5_mT6_P12ihipStream_tbENKUlT_T0_E_clISt17integral_constantIbLb0EESU_EEDaSP_SQ_EUlSP_E0_NS1_11comp_targetILNS1_3genE8ELNS1_11target_archE1030ELNS1_3gpuE2ELNS1_3repE0EEENS1_30default_config_static_selectorELNS0_4arch9wavefront6targetE1EEEvT1_ ; -- Begin function _ZN7rocprim17ROCPRIM_400000_NS6detail17trampoline_kernelINS0_14default_configENS1_20scan_config_selectorIxEEZZNS1_9scan_implILNS1_25lookback_scan_determinismE0ELb0ELb1ES3_N6thrust23THRUST_200600_302600_NS6detail15normal_iteratorINS9_10device_ptrIxEEEESE_xNS9_4plusIxEExEEDaPvRmT3_T4_T5_mT6_P12ihipStream_tbENKUlT_T0_E_clISt17integral_constantIbLb0EESU_EEDaSP_SQ_EUlSP_E0_NS1_11comp_targetILNS1_3genE8ELNS1_11target_archE1030ELNS1_3gpuE2ELNS1_3repE0EEENS1_30default_config_static_selectorELNS0_4arch9wavefront6targetE1EEEvT1_
	.globl	_ZN7rocprim17ROCPRIM_400000_NS6detail17trampoline_kernelINS0_14default_configENS1_20scan_config_selectorIxEEZZNS1_9scan_implILNS1_25lookback_scan_determinismE0ELb0ELb1ES3_N6thrust23THRUST_200600_302600_NS6detail15normal_iteratorINS9_10device_ptrIxEEEESE_xNS9_4plusIxEExEEDaPvRmT3_T4_T5_mT6_P12ihipStream_tbENKUlT_T0_E_clISt17integral_constantIbLb0EESU_EEDaSP_SQ_EUlSP_E0_NS1_11comp_targetILNS1_3genE8ELNS1_11target_archE1030ELNS1_3gpuE2ELNS1_3repE0EEENS1_30default_config_static_selectorELNS0_4arch9wavefront6targetE1EEEvT1_
	.p2align	8
	.type	_ZN7rocprim17ROCPRIM_400000_NS6detail17trampoline_kernelINS0_14default_configENS1_20scan_config_selectorIxEEZZNS1_9scan_implILNS1_25lookback_scan_determinismE0ELb0ELb1ES3_N6thrust23THRUST_200600_302600_NS6detail15normal_iteratorINS9_10device_ptrIxEEEESE_xNS9_4plusIxEExEEDaPvRmT3_T4_T5_mT6_P12ihipStream_tbENKUlT_T0_E_clISt17integral_constantIbLb0EESU_EEDaSP_SQ_EUlSP_E0_NS1_11comp_targetILNS1_3genE8ELNS1_11target_archE1030ELNS1_3gpuE2ELNS1_3repE0EEENS1_30default_config_static_selectorELNS0_4arch9wavefront6targetE1EEEvT1_,@function
_ZN7rocprim17ROCPRIM_400000_NS6detail17trampoline_kernelINS0_14default_configENS1_20scan_config_selectorIxEEZZNS1_9scan_implILNS1_25lookback_scan_determinismE0ELb0ELb1ES3_N6thrust23THRUST_200600_302600_NS6detail15normal_iteratorINS9_10device_ptrIxEEEESE_xNS9_4plusIxEExEEDaPvRmT3_T4_T5_mT6_P12ihipStream_tbENKUlT_T0_E_clISt17integral_constantIbLb0EESU_EEDaSP_SQ_EUlSP_E0_NS1_11comp_targetILNS1_3genE8ELNS1_11target_archE1030ELNS1_3gpuE2ELNS1_3repE0EEENS1_30default_config_static_selectorELNS0_4arch9wavefront6targetE1EEEvT1_: ; @_ZN7rocprim17ROCPRIM_400000_NS6detail17trampoline_kernelINS0_14default_configENS1_20scan_config_selectorIxEEZZNS1_9scan_implILNS1_25lookback_scan_determinismE0ELb0ELb1ES3_N6thrust23THRUST_200600_302600_NS6detail15normal_iteratorINS9_10device_ptrIxEEEESE_xNS9_4plusIxEExEEDaPvRmT3_T4_T5_mT6_P12ihipStream_tbENKUlT_T0_E_clISt17integral_constantIbLb0EESU_EEDaSP_SQ_EUlSP_E0_NS1_11comp_targetILNS1_3genE8ELNS1_11target_archE1030ELNS1_3gpuE2ELNS1_3repE0EEENS1_30default_config_static_selectorELNS0_4arch9wavefront6targetE1EEEvT1_
; %bb.0:
	.section	.rodata,"a",@progbits
	.p2align	6, 0x0
	.amdhsa_kernel _ZN7rocprim17ROCPRIM_400000_NS6detail17trampoline_kernelINS0_14default_configENS1_20scan_config_selectorIxEEZZNS1_9scan_implILNS1_25lookback_scan_determinismE0ELb0ELb1ES3_N6thrust23THRUST_200600_302600_NS6detail15normal_iteratorINS9_10device_ptrIxEEEESE_xNS9_4plusIxEExEEDaPvRmT3_T4_T5_mT6_P12ihipStream_tbENKUlT_T0_E_clISt17integral_constantIbLb0EESU_EEDaSP_SQ_EUlSP_E0_NS1_11comp_targetILNS1_3genE8ELNS1_11target_archE1030ELNS1_3gpuE2ELNS1_3repE0EEENS1_30default_config_static_selectorELNS0_4arch9wavefront6targetE1EEEvT1_
		.amdhsa_group_segment_fixed_size 0
		.amdhsa_private_segment_fixed_size 0
		.amdhsa_kernarg_size 40
		.amdhsa_user_sgpr_count 6
		.amdhsa_user_sgpr_private_segment_buffer 1
		.amdhsa_user_sgpr_dispatch_ptr 0
		.amdhsa_user_sgpr_queue_ptr 0
		.amdhsa_user_sgpr_kernarg_segment_ptr 1
		.amdhsa_user_sgpr_dispatch_id 0
		.amdhsa_user_sgpr_flat_scratch_init 0
		.amdhsa_user_sgpr_kernarg_preload_length 0
		.amdhsa_user_sgpr_kernarg_preload_offset 0
		.amdhsa_user_sgpr_private_segment_size 0
		.amdhsa_uses_dynamic_stack 0
		.amdhsa_system_sgpr_private_segment_wavefront_offset 0
		.amdhsa_system_sgpr_workgroup_id_x 1
		.amdhsa_system_sgpr_workgroup_id_y 0
		.amdhsa_system_sgpr_workgroup_id_z 0
		.amdhsa_system_sgpr_workgroup_info 0
		.amdhsa_system_vgpr_workitem_id 0
		.amdhsa_next_free_vgpr 1
		.amdhsa_next_free_sgpr 0
		.amdhsa_accum_offset 4
		.amdhsa_reserve_vcc 0
		.amdhsa_reserve_flat_scratch 0
		.amdhsa_float_round_mode_32 0
		.amdhsa_float_round_mode_16_64 0
		.amdhsa_float_denorm_mode_32 3
		.amdhsa_float_denorm_mode_16_64 3
		.amdhsa_dx10_clamp 1
		.amdhsa_ieee_mode 1
		.amdhsa_fp16_overflow 0
		.amdhsa_tg_split 0
		.amdhsa_exception_fp_ieee_invalid_op 0
		.amdhsa_exception_fp_denorm_src 0
		.amdhsa_exception_fp_ieee_div_zero 0
		.amdhsa_exception_fp_ieee_overflow 0
		.amdhsa_exception_fp_ieee_underflow 0
		.amdhsa_exception_fp_ieee_inexact 0
		.amdhsa_exception_int_div_zero 0
	.end_amdhsa_kernel
	.section	.text._ZN7rocprim17ROCPRIM_400000_NS6detail17trampoline_kernelINS0_14default_configENS1_20scan_config_selectorIxEEZZNS1_9scan_implILNS1_25lookback_scan_determinismE0ELb0ELb1ES3_N6thrust23THRUST_200600_302600_NS6detail15normal_iteratorINS9_10device_ptrIxEEEESE_xNS9_4plusIxEExEEDaPvRmT3_T4_T5_mT6_P12ihipStream_tbENKUlT_T0_E_clISt17integral_constantIbLb0EESU_EEDaSP_SQ_EUlSP_E0_NS1_11comp_targetILNS1_3genE8ELNS1_11target_archE1030ELNS1_3gpuE2ELNS1_3repE0EEENS1_30default_config_static_selectorELNS0_4arch9wavefront6targetE1EEEvT1_,"axG",@progbits,_ZN7rocprim17ROCPRIM_400000_NS6detail17trampoline_kernelINS0_14default_configENS1_20scan_config_selectorIxEEZZNS1_9scan_implILNS1_25lookback_scan_determinismE0ELb0ELb1ES3_N6thrust23THRUST_200600_302600_NS6detail15normal_iteratorINS9_10device_ptrIxEEEESE_xNS9_4plusIxEExEEDaPvRmT3_T4_T5_mT6_P12ihipStream_tbENKUlT_T0_E_clISt17integral_constantIbLb0EESU_EEDaSP_SQ_EUlSP_E0_NS1_11comp_targetILNS1_3genE8ELNS1_11target_archE1030ELNS1_3gpuE2ELNS1_3repE0EEENS1_30default_config_static_selectorELNS0_4arch9wavefront6targetE1EEEvT1_,comdat
.Lfunc_end431:
	.size	_ZN7rocprim17ROCPRIM_400000_NS6detail17trampoline_kernelINS0_14default_configENS1_20scan_config_selectorIxEEZZNS1_9scan_implILNS1_25lookback_scan_determinismE0ELb0ELb1ES3_N6thrust23THRUST_200600_302600_NS6detail15normal_iteratorINS9_10device_ptrIxEEEESE_xNS9_4plusIxEExEEDaPvRmT3_T4_T5_mT6_P12ihipStream_tbENKUlT_T0_E_clISt17integral_constantIbLb0EESU_EEDaSP_SQ_EUlSP_E0_NS1_11comp_targetILNS1_3genE8ELNS1_11target_archE1030ELNS1_3gpuE2ELNS1_3repE0EEENS1_30default_config_static_selectorELNS0_4arch9wavefront6targetE1EEEvT1_, .Lfunc_end431-_ZN7rocprim17ROCPRIM_400000_NS6detail17trampoline_kernelINS0_14default_configENS1_20scan_config_selectorIxEEZZNS1_9scan_implILNS1_25lookback_scan_determinismE0ELb0ELb1ES3_N6thrust23THRUST_200600_302600_NS6detail15normal_iteratorINS9_10device_ptrIxEEEESE_xNS9_4plusIxEExEEDaPvRmT3_T4_T5_mT6_P12ihipStream_tbENKUlT_T0_E_clISt17integral_constantIbLb0EESU_EEDaSP_SQ_EUlSP_E0_NS1_11comp_targetILNS1_3genE8ELNS1_11target_archE1030ELNS1_3gpuE2ELNS1_3repE0EEENS1_30default_config_static_selectorELNS0_4arch9wavefront6targetE1EEEvT1_
                                        ; -- End function
	.section	.AMDGPU.csdata,"",@progbits
; Kernel info:
; codeLenInByte = 0
; NumSgprs: 4
; NumVgprs: 0
; NumAgprs: 0
; TotalNumVgprs: 0
; ScratchSize: 0
; MemoryBound: 0
; FloatMode: 240
; IeeeMode: 1
; LDSByteSize: 0 bytes/workgroup (compile time only)
; SGPRBlocks: 0
; VGPRBlocks: 0
; NumSGPRsForWavesPerEU: 4
; NumVGPRsForWavesPerEU: 1
; AccumOffset: 4
; Occupancy: 8
; WaveLimiterHint : 0
; COMPUTE_PGM_RSRC2:SCRATCH_EN: 0
; COMPUTE_PGM_RSRC2:USER_SGPR: 6
; COMPUTE_PGM_RSRC2:TRAP_HANDLER: 0
; COMPUTE_PGM_RSRC2:TGID_X_EN: 1
; COMPUTE_PGM_RSRC2:TGID_Y_EN: 0
; COMPUTE_PGM_RSRC2:TGID_Z_EN: 0
; COMPUTE_PGM_RSRC2:TIDIG_COMP_CNT: 0
; COMPUTE_PGM_RSRC3_GFX90A:ACCUM_OFFSET: 0
; COMPUTE_PGM_RSRC3_GFX90A:TG_SPLIT: 0
	.section	.text._ZN7rocprim17ROCPRIM_400000_NS6detail17trampoline_kernelINS0_14default_configENS1_20scan_config_selectorIxEEZZNS1_9scan_implILNS1_25lookback_scan_determinismE0ELb0ELb1ES3_N6thrust23THRUST_200600_302600_NS6detail15normal_iteratorINS9_10device_ptrIxEEEESE_xNS9_4plusIxEExEEDaPvRmT3_T4_T5_mT6_P12ihipStream_tbENKUlT_T0_E_clISt17integral_constantIbLb1EESU_EEDaSP_SQ_EUlSP_E_NS1_11comp_targetILNS1_3genE0ELNS1_11target_archE4294967295ELNS1_3gpuE0ELNS1_3repE0EEENS1_30default_config_static_selectorELNS0_4arch9wavefront6targetE1EEEvT1_,"axG",@progbits,_ZN7rocprim17ROCPRIM_400000_NS6detail17trampoline_kernelINS0_14default_configENS1_20scan_config_selectorIxEEZZNS1_9scan_implILNS1_25lookback_scan_determinismE0ELb0ELb1ES3_N6thrust23THRUST_200600_302600_NS6detail15normal_iteratorINS9_10device_ptrIxEEEESE_xNS9_4plusIxEExEEDaPvRmT3_T4_T5_mT6_P12ihipStream_tbENKUlT_T0_E_clISt17integral_constantIbLb1EESU_EEDaSP_SQ_EUlSP_E_NS1_11comp_targetILNS1_3genE0ELNS1_11target_archE4294967295ELNS1_3gpuE0ELNS1_3repE0EEENS1_30default_config_static_selectorELNS0_4arch9wavefront6targetE1EEEvT1_,comdat
	.protected	_ZN7rocprim17ROCPRIM_400000_NS6detail17trampoline_kernelINS0_14default_configENS1_20scan_config_selectorIxEEZZNS1_9scan_implILNS1_25lookback_scan_determinismE0ELb0ELb1ES3_N6thrust23THRUST_200600_302600_NS6detail15normal_iteratorINS9_10device_ptrIxEEEESE_xNS9_4plusIxEExEEDaPvRmT3_T4_T5_mT6_P12ihipStream_tbENKUlT_T0_E_clISt17integral_constantIbLb1EESU_EEDaSP_SQ_EUlSP_E_NS1_11comp_targetILNS1_3genE0ELNS1_11target_archE4294967295ELNS1_3gpuE0ELNS1_3repE0EEENS1_30default_config_static_selectorELNS0_4arch9wavefront6targetE1EEEvT1_ ; -- Begin function _ZN7rocprim17ROCPRIM_400000_NS6detail17trampoline_kernelINS0_14default_configENS1_20scan_config_selectorIxEEZZNS1_9scan_implILNS1_25lookback_scan_determinismE0ELb0ELb1ES3_N6thrust23THRUST_200600_302600_NS6detail15normal_iteratorINS9_10device_ptrIxEEEESE_xNS9_4plusIxEExEEDaPvRmT3_T4_T5_mT6_P12ihipStream_tbENKUlT_T0_E_clISt17integral_constantIbLb1EESU_EEDaSP_SQ_EUlSP_E_NS1_11comp_targetILNS1_3genE0ELNS1_11target_archE4294967295ELNS1_3gpuE0ELNS1_3repE0EEENS1_30default_config_static_selectorELNS0_4arch9wavefront6targetE1EEEvT1_
	.globl	_ZN7rocprim17ROCPRIM_400000_NS6detail17trampoline_kernelINS0_14default_configENS1_20scan_config_selectorIxEEZZNS1_9scan_implILNS1_25lookback_scan_determinismE0ELb0ELb1ES3_N6thrust23THRUST_200600_302600_NS6detail15normal_iteratorINS9_10device_ptrIxEEEESE_xNS9_4plusIxEExEEDaPvRmT3_T4_T5_mT6_P12ihipStream_tbENKUlT_T0_E_clISt17integral_constantIbLb1EESU_EEDaSP_SQ_EUlSP_E_NS1_11comp_targetILNS1_3genE0ELNS1_11target_archE4294967295ELNS1_3gpuE0ELNS1_3repE0EEENS1_30default_config_static_selectorELNS0_4arch9wavefront6targetE1EEEvT1_
	.p2align	8
	.type	_ZN7rocprim17ROCPRIM_400000_NS6detail17trampoline_kernelINS0_14default_configENS1_20scan_config_selectorIxEEZZNS1_9scan_implILNS1_25lookback_scan_determinismE0ELb0ELb1ES3_N6thrust23THRUST_200600_302600_NS6detail15normal_iteratorINS9_10device_ptrIxEEEESE_xNS9_4plusIxEExEEDaPvRmT3_T4_T5_mT6_P12ihipStream_tbENKUlT_T0_E_clISt17integral_constantIbLb1EESU_EEDaSP_SQ_EUlSP_E_NS1_11comp_targetILNS1_3genE0ELNS1_11target_archE4294967295ELNS1_3gpuE0ELNS1_3repE0EEENS1_30default_config_static_selectorELNS0_4arch9wavefront6targetE1EEEvT1_,@function
_ZN7rocprim17ROCPRIM_400000_NS6detail17trampoline_kernelINS0_14default_configENS1_20scan_config_selectorIxEEZZNS1_9scan_implILNS1_25lookback_scan_determinismE0ELb0ELb1ES3_N6thrust23THRUST_200600_302600_NS6detail15normal_iteratorINS9_10device_ptrIxEEEESE_xNS9_4plusIxEExEEDaPvRmT3_T4_T5_mT6_P12ihipStream_tbENKUlT_T0_E_clISt17integral_constantIbLb1EESU_EEDaSP_SQ_EUlSP_E_NS1_11comp_targetILNS1_3genE0ELNS1_11target_archE4294967295ELNS1_3gpuE0ELNS1_3repE0EEENS1_30default_config_static_selectorELNS0_4arch9wavefront6targetE1EEEvT1_: ; @_ZN7rocprim17ROCPRIM_400000_NS6detail17trampoline_kernelINS0_14default_configENS1_20scan_config_selectorIxEEZZNS1_9scan_implILNS1_25lookback_scan_determinismE0ELb0ELb1ES3_N6thrust23THRUST_200600_302600_NS6detail15normal_iteratorINS9_10device_ptrIxEEEESE_xNS9_4plusIxEExEEDaPvRmT3_T4_T5_mT6_P12ihipStream_tbENKUlT_T0_E_clISt17integral_constantIbLb1EESU_EEDaSP_SQ_EUlSP_E_NS1_11comp_targetILNS1_3genE0ELNS1_11target_archE4294967295ELNS1_3gpuE0ELNS1_3repE0EEENS1_30default_config_static_selectorELNS0_4arch9wavefront6targetE1EEEvT1_
; %bb.0:
	.section	.rodata,"a",@progbits
	.p2align	6, 0x0
	.amdhsa_kernel _ZN7rocprim17ROCPRIM_400000_NS6detail17trampoline_kernelINS0_14default_configENS1_20scan_config_selectorIxEEZZNS1_9scan_implILNS1_25lookback_scan_determinismE0ELb0ELb1ES3_N6thrust23THRUST_200600_302600_NS6detail15normal_iteratorINS9_10device_ptrIxEEEESE_xNS9_4plusIxEExEEDaPvRmT3_T4_T5_mT6_P12ihipStream_tbENKUlT_T0_E_clISt17integral_constantIbLb1EESU_EEDaSP_SQ_EUlSP_E_NS1_11comp_targetILNS1_3genE0ELNS1_11target_archE4294967295ELNS1_3gpuE0ELNS1_3repE0EEENS1_30default_config_static_selectorELNS0_4arch9wavefront6targetE1EEEvT1_
		.amdhsa_group_segment_fixed_size 0
		.amdhsa_private_segment_fixed_size 0
		.amdhsa_kernarg_size 104
		.amdhsa_user_sgpr_count 6
		.amdhsa_user_sgpr_private_segment_buffer 1
		.amdhsa_user_sgpr_dispatch_ptr 0
		.amdhsa_user_sgpr_queue_ptr 0
		.amdhsa_user_sgpr_kernarg_segment_ptr 1
		.amdhsa_user_sgpr_dispatch_id 0
		.amdhsa_user_sgpr_flat_scratch_init 0
		.amdhsa_user_sgpr_kernarg_preload_length 0
		.amdhsa_user_sgpr_kernarg_preload_offset 0
		.amdhsa_user_sgpr_private_segment_size 0
		.amdhsa_uses_dynamic_stack 0
		.amdhsa_system_sgpr_private_segment_wavefront_offset 0
		.amdhsa_system_sgpr_workgroup_id_x 1
		.amdhsa_system_sgpr_workgroup_id_y 0
		.amdhsa_system_sgpr_workgroup_id_z 0
		.amdhsa_system_sgpr_workgroup_info 0
		.amdhsa_system_vgpr_workitem_id 0
		.amdhsa_next_free_vgpr 1
		.amdhsa_next_free_sgpr 0
		.amdhsa_accum_offset 4
		.amdhsa_reserve_vcc 0
		.amdhsa_reserve_flat_scratch 0
		.amdhsa_float_round_mode_32 0
		.amdhsa_float_round_mode_16_64 0
		.amdhsa_float_denorm_mode_32 3
		.amdhsa_float_denorm_mode_16_64 3
		.amdhsa_dx10_clamp 1
		.amdhsa_ieee_mode 1
		.amdhsa_fp16_overflow 0
		.amdhsa_tg_split 0
		.amdhsa_exception_fp_ieee_invalid_op 0
		.amdhsa_exception_fp_denorm_src 0
		.amdhsa_exception_fp_ieee_div_zero 0
		.amdhsa_exception_fp_ieee_overflow 0
		.amdhsa_exception_fp_ieee_underflow 0
		.amdhsa_exception_fp_ieee_inexact 0
		.amdhsa_exception_int_div_zero 0
	.end_amdhsa_kernel
	.section	.text._ZN7rocprim17ROCPRIM_400000_NS6detail17trampoline_kernelINS0_14default_configENS1_20scan_config_selectorIxEEZZNS1_9scan_implILNS1_25lookback_scan_determinismE0ELb0ELb1ES3_N6thrust23THRUST_200600_302600_NS6detail15normal_iteratorINS9_10device_ptrIxEEEESE_xNS9_4plusIxEExEEDaPvRmT3_T4_T5_mT6_P12ihipStream_tbENKUlT_T0_E_clISt17integral_constantIbLb1EESU_EEDaSP_SQ_EUlSP_E_NS1_11comp_targetILNS1_3genE0ELNS1_11target_archE4294967295ELNS1_3gpuE0ELNS1_3repE0EEENS1_30default_config_static_selectorELNS0_4arch9wavefront6targetE1EEEvT1_,"axG",@progbits,_ZN7rocprim17ROCPRIM_400000_NS6detail17trampoline_kernelINS0_14default_configENS1_20scan_config_selectorIxEEZZNS1_9scan_implILNS1_25lookback_scan_determinismE0ELb0ELb1ES3_N6thrust23THRUST_200600_302600_NS6detail15normal_iteratorINS9_10device_ptrIxEEEESE_xNS9_4plusIxEExEEDaPvRmT3_T4_T5_mT6_P12ihipStream_tbENKUlT_T0_E_clISt17integral_constantIbLb1EESU_EEDaSP_SQ_EUlSP_E_NS1_11comp_targetILNS1_3genE0ELNS1_11target_archE4294967295ELNS1_3gpuE0ELNS1_3repE0EEENS1_30default_config_static_selectorELNS0_4arch9wavefront6targetE1EEEvT1_,comdat
.Lfunc_end432:
	.size	_ZN7rocprim17ROCPRIM_400000_NS6detail17trampoline_kernelINS0_14default_configENS1_20scan_config_selectorIxEEZZNS1_9scan_implILNS1_25lookback_scan_determinismE0ELb0ELb1ES3_N6thrust23THRUST_200600_302600_NS6detail15normal_iteratorINS9_10device_ptrIxEEEESE_xNS9_4plusIxEExEEDaPvRmT3_T4_T5_mT6_P12ihipStream_tbENKUlT_T0_E_clISt17integral_constantIbLb1EESU_EEDaSP_SQ_EUlSP_E_NS1_11comp_targetILNS1_3genE0ELNS1_11target_archE4294967295ELNS1_3gpuE0ELNS1_3repE0EEENS1_30default_config_static_selectorELNS0_4arch9wavefront6targetE1EEEvT1_, .Lfunc_end432-_ZN7rocprim17ROCPRIM_400000_NS6detail17trampoline_kernelINS0_14default_configENS1_20scan_config_selectorIxEEZZNS1_9scan_implILNS1_25lookback_scan_determinismE0ELb0ELb1ES3_N6thrust23THRUST_200600_302600_NS6detail15normal_iteratorINS9_10device_ptrIxEEEESE_xNS9_4plusIxEExEEDaPvRmT3_T4_T5_mT6_P12ihipStream_tbENKUlT_T0_E_clISt17integral_constantIbLb1EESU_EEDaSP_SQ_EUlSP_E_NS1_11comp_targetILNS1_3genE0ELNS1_11target_archE4294967295ELNS1_3gpuE0ELNS1_3repE0EEENS1_30default_config_static_selectorELNS0_4arch9wavefront6targetE1EEEvT1_
                                        ; -- End function
	.section	.AMDGPU.csdata,"",@progbits
; Kernel info:
; codeLenInByte = 0
; NumSgprs: 4
; NumVgprs: 0
; NumAgprs: 0
; TotalNumVgprs: 0
; ScratchSize: 0
; MemoryBound: 0
; FloatMode: 240
; IeeeMode: 1
; LDSByteSize: 0 bytes/workgroup (compile time only)
; SGPRBlocks: 0
; VGPRBlocks: 0
; NumSGPRsForWavesPerEU: 4
; NumVGPRsForWavesPerEU: 1
; AccumOffset: 4
; Occupancy: 8
; WaveLimiterHint : 0
; COMPUTE_PGM_RSRC2:SCRATCH_EN: 0
; COMPUTE_PGM_RSRC2:USER_SGPR: 6
; COMPUTE_PGM_RSRC2:TRAP_HANDLER: 0
; COMPUTE_PGM_RSRC2:TGID_X_EN: 1
; COMPUTE_PGM_RSRC2:TGID_Y_EN: 0
; COMPUTE_PGM_RSRC2:TGID_Z_EN: 0
; COMPUTE_PGM_RSRC2:TIDIG_COMP_CNT: 0
; COMPUTE_PGM_RSRC3_GFX90A:ACCUM_OFFSET: 0
; COMPUTE_PGM_RSRC3_GFX90A:TG_SPLIT: 0
	.section	.text._ZN7rocprim17ROCPRIM_400000_NS6detail17trampoline_kernelINS0_14default_configENS1_20scan_config_selectorIxEEZZNS1_9scan_implILNS1_25lookback_scan_determinismE0ELb0ELb1ES3_N6thrust23THRUST_200600_302600_NS6detail15normal_iteratorINS9_10device_ptrIxEEEESE_xNS9_4plusIxEExEEDaPvRmT3_T4_T5_mT6_P12ihipStream_tbENKUlT_T0_E_clISt17integral_constantIbLb1EESU_EEDaSP_SQ_EUlSP_E_NS1_11comp_targetILNS1_3genE5ELNS1_11target_archE942ELNS1_3gpuE9ELNS1_3repE0EEENS1_30default_config_static_selectorELNS0_4arch9wavefront6targetE1EEEvT1_,"axG",@progbits,_ZN7rocprim17ROCPRIM_400000_NS6detail17trampoline_kernelINS0_14default_configENS1_20scan_config_selectorIxEEZZNS1_9scan_implILNS1_25lookback_scan_determinismE0ELb0ELb1ES3_N6thrust23THRUST_200600_302600_NS6detail15normal_iteratorINS9_10device_ptrIxEEEESE_xNS9_4plusIxEExEEDaPvRmT3_T4_T5_mT6_P12ihipStream_tbENKUlT_T0_E_clISt17integral_constantIbLb1EESU_EEDaSP_SQ_EUlSP_E_NS1_11comp_targetILNS1_3genE5ELNS1_11target_archE942ELNS1_3gpuE9ELNS1_3repE0EEENS1_30default_config_static_selectorELNS0_4arch9wavefront6targetE1EEEvT1_,comdat
	.protected	_ZN7rocprim17ROCPRIM_400000_NS6detail17trampoline_kernelINS0_14default_configENS1_20scan_config_selectorIxEEZZNS1_9scan_implILNS1_25lookback_scan_determinismE0ELb0ELb1ES3_N6thrust23THRUST_200600_302600_NS6detail15normal_iteratorINS9_10device_ptrIxEEEESE_xNS9_4plusIxEExEEDaPvRmT3_T4_T5_mT6_P12ihipStream_tbENKUlT_T0_E_clISt17integral_constantIbLb1EESU_EEDaSP_SQ_EUlSP_E_NS1_11comp_targetILNS1_3genE5ELNS1_11target_archE942ELNS1_3gpuE9ELNS1_3repE0EEENS1_30default_config_static_selectorELNS0_4arch9wavefront6targetE1EEEvT1_ ; -- Begin function _ZN7rocprim17ROCPRIM_400000_NS6detail17trampoline_kernelINS0_14default_configENS1_20scan_config_selectorIxEEZZNS1_9scan_implILNS1_25lookback_scan_determinismE0ELb0ELb1ES3_N6thrust23THRUST_200600_302600_NS6detail15normal_iteratorINS9_10device_ptrIxEEEESE_xNS9_4plusIxEExEEDaPvRmT3_T4_T5_mT6_P12ihipStream_tbENKUlT_T0_E_clISt17integral_constantIbLb1EESU_EEDaSP_SQ_EUlSP_E_NS1_11comp_targetILNS1_3genE5ELNS1_11target_archE942ELNS1_3gpuE9ELNS1_3repE0EEENS1_30default_config_static_selectorELNS0_4arch9wavefront6targetE1EEEvT1_
	.globl	_ZN7rocprim17ROCPRIM_400000_NS6detail17trampoline_kernelINS0_14default_configENS1_20scan_config_selectorIxEEZZNS1_9scan_implILNS1_25lookback_scan_determinismE0ELb0ELb1ES3_N6thrust23THRUST_200600_302600_NS6detail15normal_iteratorINS9_10device_ptrIxEEEESE_xNS9_4plusIxEExEEDaPvRmT3_T4_T5_mT6_P12ihipStream_tbENKUlT_T0_E_clISt17integral_constantIbLb1EESU_EEDaSP_SQ_EUlSP_E_NS1_11comp_targetILNS1_3genE5ELNS1_11target_archE942ELNS1_3gpuE9ELNS1_3repE0EEENS1_30default_config_static_selectorELNS0_4arch9wavefront6targetE1EEEvT1_
	.p2align	8
	.type	_ZN7rocprim17ROCPRIM_400000_NS6detail17trampoline_kernelINS0_14default_configENS1_20scan_config_selectorIxEEZZNS1_9scan_implILNS1_25lookback_scan_determinismE0ELb0ELb1ES3_N6thrust23THRUST_200600_302600_NS6detail15normal_iteratorINS9_10device_ptrIxEEEESE_xNS9_4plusIxEExEEDaPvRmT3_T4_T5_mT6_P12ihipStream_tbENKUlT_T0_E_clISt17integral_constantIbLb1EESU_EEDaSP_SQ_EUlSP_E_NS1_11comp_targetILNS1_3genE5ELNS1_11target_archE942ELNS1_3gpuE9ELNS1_3repE0EEENS1_30default_config_static_selectorELNS0_4arch9wavefront6targetE1EEEvT1_,@function
_ZN7rocprim17ROCPRIM_400000_NS6detail17trampoline_kernelINS0_14default_configENS1_20scan_config_selectorIxEEZZNS1_9scan_implILNS1_25lookback_scan_determinismE0ELb0ELb1ES3_N6thrust23THRUST_200600_302600_NS6detail15normal_iteratorINS9_10device_ptrIxEEEESE_xNS9_4plusIxEExEEDaPvRmT3_T4_T5_mT6_P12ihipStream_tbENKUlT_T0_E_clISt17integral_constantIbLb1EESU_EEDaSP_SQ_EUlSP_E_NS1_11comp_targetILNS1_3genE5ELNS1_11target_archE942ELNS1_3gpuE9ELNS1_3repE0EEENS1_30default_config_static_selectorELNS0_4arch9wavefront6targetE1EEEvT1_: ; @_ZN7rocprim17ROCPRIM_400000_NS6detail17trampoline_kernelINS0_14default_configENS1_20scan_config_selectorIxEEZZNS1_9scan_implILNS1_25lookback_scan_determinismE0ELb0ELb1ES3_N6thrust23THRUST_200600_302600_NS6detail15normal_iteratorINS9_10device_ptrIxEEEESE_xNS9_4plusIxEExEEDaPvRmT3_T4_T5_mT6_P12ihipStream_tbENKUlT_T0_E_clISt17integral_constantIbLb1EESU_EEDaSP_SQ_EUlSP_E_NS1_11comp_targetILNS1_3genE5ELNS1_11target_archE942ELNS1_3gpuE9ELNS1_3repE0EEENS1_30default_config_static_selectorELNS0_4arch9wavefront6targetE1EEEvT1_
; %bb.0:
	.section	.rodata,"a",@progbits
	.p2align	6, 0x0
	.amdhsa_kernel _ZN7rocprim17ROCPRIM_400000_NS6detail17trampoline_kernelINS0_14default_configENS1_20scan_config_selectorIxEEZZNS1_9scan_implILNS1_25lookback_scan_determinismE0ELb0ELb1ES3_N6thrust23THRUST_200600_302600_NS6detail15normal_iteratorINS9_10device_ptrIxEEEESE_xNS9_4plusIxEExEEDaPvRmT3_T4_T5_mT6_P12ihipStream_tbENKUlT_T0_E_clISt17integral_constantIbLb1EESU_EEDaSP_SQ_EUlSP_E_NS1_11comp_targetILNS1_3genE5ELNS1_11target_archE942ELNS1_3gpuE9ELNS1_3repE0EEENS1_30default_config_static_selectorELNS0_4arch9wavefront6targetE1EEEvT1_
		.amdhsa_group_segment_fixed_size 0
		.amdhsa_private_segment_fixed_size 0
		.amdhsa_kernarg_size 104
		.amdhsa_user_sgpr_count 6
		.amdhsa_user_sgpr_private_segment_buffer 1
		.amdhsa_user_sgpr_dispatch_ptr 0
		.amdhsa_user_sgpr_queue_ptr 0
		.amdhsa_user_sgpr_kernarg_segment_ptr 1
		.amdhsa_user_sgpr_dispatch_id 0
		.amdhsa_user_sgpr_flat_scratch_init 0
		.amdhsa_user_sgpr_kernarg_preload_length 0
		.amdhsa_user_sgpr_kernarg_preload_offset 0
		.amdhsa_user_sgpr_private_segment_size 0
		.amdhsa_uses_dynamic_stack 0
		.amdhsa_system_sgpr_private_segment_wavefront_offset 0
		.amdhsa_system_sgpr_workgroup_id_x 1
		.amdhsa_system_sgpr_workgroup_id_y 0
		.amdhsa_system_sgpr_workgroup_id_z 0
		.amdhsa_system_sgpr_workgroup_info 0
		.amdhsa_system_vgpr_workitem_id 0
		.amdhsa_next_free_vgpr 1
		.amdhsa_next_free_sgpr 0
		.amdhsa_accum_offset 4
		.amdhsa_reserve_vcc 0
		.amdhsa_reserve_flat_scratch 0
		.amdhsa_float_round_mode_32 0
		.amdhsa_float_round_mode_16_64 0
		.amdhsa_float_denorm_mode_32 3
		.amdhsa_float_denorm_mode_16_64 3
		.amdhsa_dx10_clamp 1
		.amdhsa_ieee_mode 1
		.amdhsa_fp16_overflow 0
		.amdhsa_tg_split 0
		.amdhsa_exception_fp_ieee_invalid_op 0
		.amdhsa_exception_fp_denorm_src 0
		.amdhsa_exception_fp_ieee_div_zero 0
		.amdhsa_exception_fp_ieee_overflow 0
		.amdhsa_exception_fp_ieee_underflow 0
		.amdhsa_exception_fp_ieee_inexact 0
		.amdhsa_exception_int_div_zero 0
	.end_amdhsa_kernel
	.section	.text._ZN7rocprim17ROCPRIM_400000_NS6detail17trampoline_kernelINS0_14default_configENS1_20scan_config_selectorIxEEZZNS1_9scan_implILNS1_25lookback_scan_determinismE0ELb0ELb1ES3_N6thrust23THRUST_200600_302600_NS6detail15normal_iteratorINS9_10device_ptrIxEEEESE_xNS9_4plusIxEExEEDaPvRmT3_T4_T5_mT6_P12ihipStream_tbENKUlT_T0_E_clISt17integral_constantIbLb1EESU_EEDaSP_SQ_EUlSP_E_NS1_11comp_targetILNS1_3genE5ELNS1_11target_archE942ELNS1_3gpuE9ELNS1_3repE0EEENS1_30default_config_static_selectorELNS0_4arch9wavefront6targetE1EEEvT1_,"axG",@progbits,_ZN7rocprim17ROCPRIM_400000_NS6detail17trampoline_kernelINS0_14default_configENS1_20scan_config_selectorIxEEZZNS1_9scan_implILNS1_25lookback_scan_determinismE0ELb0ELb1ES3_N6thrust23THRUST_200600_302600_NS6detail15normal_iteratorINS9_10device_ptrIxEEEESE_xNS9_4plusIxEExEEDaPvRmT3_T4_T5_mT6_P12ihipStream_tbENKUlT_T0_E_clISt17integral_constantIbLb1EESU_EEDaSP_SQ_EUlSP_E_NS1_11comp_targetILNS1_3genE5ELNS1_11target_archE942ELNS1_3gpuE9ELNS1_3repE0EEENS1_30default_config_static_selectorELNS0_4arch9wavefront6targetE1EEEvT1_,comdat
.Lfunc_end433:
	.size	_ZN7rocprim17ROCPRIM_400000_NS6detail17trampoline_kernelINS0_14default_configENS1_20scan_config_selectorIxEEZZNS1_9scan_implILNS1_25lookback_scan_determinismE0ELb0ELb1ES3_N6thrust23THRUST_200600_302600_NS6detail15normal_iteratorINS9_10device_ptrIxEEEESE_xNS9_4plusIxEExEEDaPvRmT3_T4_T5_mT6_P12ihipStream_tbENKUlT_T0_E_clISt17integral_constantIbLb1EESU_EEDaSP_SQ_EUlSP_E_NS1_11comp_targetILNS1_3genE5ELNS1_11target_archE942ELNS1_3gpuE9ELNS1_3repE0EEENS1_30default_config_static_selectorELNS0_4arch9wavefront6targetE1EEEvT1_, .Lfunc_end433-_ZN7rocprim17ROCPRIM_400000_NS6detail17trampoline_kernelINS0_14default_configENS1_20scan_config_selectorIxEEZZNS1_9scan_implILNS1_25lookback_scan_determinismE0ELb0ELb1ES3_N6thrust23THRUST_200600_302600_NS6detail15normal_iteratorINS9_10device_ptrIxEEEESE_xNS9_4plusIxEExEEDaPvRmT3_T4_T5_mT6_P12ihipStream_tbENKUlT_T0_E_clISt17integral_constantIbLb1EESU_EEDaSP_SQ_EUlSP_E_NS1_11comp_targetILNS1_3genE5ELNS1_11target_archE942ELNS1_3gpuE9ELNS1_3repE0EEENS1_30default_config_static_selectorELNS0_4arch9wavefront6targetE1EEEvT1_
                                        ; -- End function
	.section	.AMDGPU.csdata,"",@progbits
; Kernel info:
; codeLenInByte = 0
; NumSgprs: 4
; NumVgprs: 0
; NumAgprs: 0
; TotalNumVgprs: 0
; ScratchSize: 0
; MemoryBound: 0
; FloatMode: 240
; IeeeMode: 1
; LDSByteSize: 0 bytes/workgroup (compile time only)
; SGPRBlocks: 0
; VGPRBlocks: 0
; NumSGPRsForWavesPerEU: 4
; NumVGPRsForWavesPerEU: 1
; AccumOffset: 4
; Occupancy: 8
; WaveLimiterHint : 0
; COMPUTE_PGM_RSRC2:SCRATCH_EN: 0
; COMPUTE_PGM_RSRC2:USER_SGPR: 6
; COMPUTE_PGM_RSRC2:TRAP_HANDLER: 0
; COMPUTE_PGM_RSRC2:TGID_X_EN: 1
; COMPUTE_PGM_RSRC2:TGID_Y_EN: 0
; COMPUTE_PGM_RSRC2:TGID_Z_EN: 0
; COMPUTE_PGM_RSRC2:TIDIG_COMP_CNT: 0
; COMPUTE_PGM_RSRC3_GFX90A:ACCUM_OFFSET: 0
; COMPUTE_PGM_RSRC3_GFX90A:TG_SPLIT: 0
	.section	.text._ZN7rocprim17ROCPRIM_400000_NS6detail17trampoline_kernelINS0_14default_configENS1_20scan_config_selectorIxEEZZNS1_9scan_implILNS1_25lookback_scan_determinismE0ELb0ELb1ES3_N6thrust23THRUST_200600_302600_NS6detail15normal_iteratorINS9_10device_ptrIxEEEESE_xNS9_4plusIxEExEEDaPvRmT3_T4_T5_mT6_P12ihipStream_tbENKUlT_T0_E_clISt17integral_constantIbLb1EESU_EEDaSP_SQ_EUlSP_E_NS1_11comp_targetILNS1_3genE4ELNS1_11target_archE910ELNS1_3gpuE8ELNS1_3repE0EEENS1_30default_config_static_selectorELNS0_4arch9wavefront6targetE1EEEvT1_,"axG",@progbits,_ZN7rocprim17ROCPRIM_400000_NS6detail17trampoline_kernelINS0_14default_configENS1_20scan_config_selectorIxEEZZNS1_9scan_implILNS1_25lookback_scan_determinismE0ELb0ELb1ES3_N6thrust23THRUST_200600_302600_NS6detail15normal_iteratorINS9_10device_ptrIxEEEESE_xNS9_4plusIxEExEEDaPvRmT3_T4_T5_mT6_P12ihipStream_tbENKUlT_T0_E_clISt17integral_constantIbLb1EESU_EEDaSP_SQ_EUlSP_E_NS1_11comp_targetILNS1_3genE4ELNS1_11target_archE910ELNS1_3gpuE8ELNS1_3repE0EEENS1_30default_config_static_selectorELNS0_4arch9wavefront6targetE1EEEvT1_,comdat
	.protected	_ZN7rocprim17ROCPRIM_400000_NS6detail17trampoline_kernelINS0_14default_configENS1_20scan_config_selectorIxEEZZNS1_9scan_implILNS1_25lookback_scan_determinismE0ELb0ELb1ES3_N6thrust23THRUST_200600_302600_NS6detail15normal_iteratorINS9_10device_ptrIxEEEESE_xNS9_4plusIxEExEEDaPvRmT3_T4_T5_mT6_P12ihipStream_tbENKUlT_T0_E_clISt17integral_constantIbLb1EESU_EEDaSP_SQ_EUlSP_E_NS1_11comp_targetILNS1_3genE4ELNS1_11target_archE910ELNS1_3gpuE8ELNS1_3repE0EEENS1_30default_config_static_selectorELNS0_4arch9wavefront6targetE1EEEvT1_ ; -- Begin function _ZN7rocprim17ROCPRIM_400000_NS6detail17trampoline_kernelINS0_14default_configENS1_20scan_config_selectorIxEEZZNS1_9scan_implILNS1_25lookback_scan_determinismE0ELb0ELb1ES3_N6thrust23THRUST_200600_302600_NS6detail15normal_iteratorINS9_10device_ptrIxEEEESE_xNS9_4plusIxEExEEDaPvRmT3_T4_T5_mT6_P12ihipStream_tbENKUlT_T0_E_clISt17integral_constantIbLb1EESU_EEDaSP_SQ_EUlSP_E_NS1_11comp_targetILNS1_3genE4ELNS1_11target_archE910ELNS1_3gpuE8ELNS1_3repE0EEENS1_30default_config_static_selectorELNS0_4arch9wavefront6targetE1EEEvT1_
	.globl	_ZN7rocprim17ROCPRIM_400000_NS6detail17trampoline_kernelINS0_14default_configENS1_20scan_config_selectorIxEEZZNS1_9scan_implILNS1_25lookback_scan_determinismE0ELb0ELb1ES3_N6thrust23THRUST_200600_302600_NS6detail15normal_iteratorINS9_10device_ptrIxEEEESE_xNS9_4plusIxEExEEDaPvRmT3_T4_T5_mT6_P12ihipStream_tbENKUlT_T0_E_clISt17integral_constantIbLb1EESU_EEDaSP_SQ_EUlSP_E_NS1_11comp_targetILNS1_3genE4ELNS1_11target_archE910ELNS1_3gpuE8ELNS1_3repE0EEENS1_30default_config_static_selectorELNS0_4arch9wavefront6targetE1EEEvT1_
	.p2align	8
	.type	_ZN7rocprim17ROCPRIM_400000_NS6detail17trampoline_kernelINS0_14default_configENS1_20scan_config_selectorIxEEZZNS1_9scan_implILNS1_25lookback_scan_determinismE0ELb0ELb1ES3_N6thrust23THRUST_200600_302600_NS6detail15normal_iteratorINS9_10device_ptrIxEEEESE_xNS9_4plusIxEExEEDaPvRmT3_T4_T5_mT6_P12ihipStream_tbENKUlT_T0_E_clISt17integral_constantIbLb1EESU_EEDaSP_SQ_EUlSP_E_NS1_11comp_targetILNS1_3genE4ELNS1_11target_archE910ELNS1_3gpuE8ELNS1_3repE0EEENS1_30default_config_static_selectorELNS0_4arch9wavefront6targetE1EEEvT1_,@function
_ZN7rocprim17ROCPRIM_400000_NS6detail17trampoline_kernelINS0_14default_configENS1_20scan_config_selectorIxEEZZNS1_9scan_implILNS1_25lookback_scan_determinismE0ELb0ELb1ES3_N6thrust23THRUST_200600_302600_NS6detail15normal_iteratorINS9_10device_ptrIxEEEESE_xNS9_4plusIxEExEEDaPvRmT3_T4_T5_mT6_P12ihipStream_tbENKUlT_T0_E_clISt17integral_constantIbLb1EESU_EEDaSP_SQ_EUlSP_E_NS1_11comp_targetILNS1_3genE4ELNS1_11target_archE910ELNS1_3gpuE8ELNS1_3repE0EEENS1_30default_config_static_selectorELNS0_4arch9wavefront6targetE1EEEvT1_: ; @_ZN7rocprim17ROCPRIM_400000_NS6detail17trampoline_kernelINS0_14default_configENS1_20scan_config_selectorIxEEZZNS1_9scan_implILNS1_25lookback_scan_determinismE0ELb0ELb1ES3_N6thrust23THRUST_200600_302600_NS6detail15normal_iteratorINS9_10device_ptrIxEEEESE_xNS9_4plusIxEExEEDaPvRmT3_T4_T5_mT6_P12ihipStream_tbENKUlT_T0_E_clISt17integral_constantIbLb1EESU_EEDaSP_SQ_EUlSP_E_NS1_11comp_targetILNS1_3genE4ELNS1_11target_archE910ELNS1_3gpuE8ELNS1_3repE0EEENS1_30default_config_static_selectorELNS0_4arch9wavefront6targetE1EEEvT1_
; %bb.0:
	s_load_dwordx8 s[20:27], s[4:5], 0x0
	s_load_dwordx2 s[28:29], s[4:5], 0x20
	s_load_dwordx2 s[10:11], s[4:5], 0x30
	v_cmp_ne_u32_e64 s[0:1], 0, v0
	v_cmp_eq_u32_e64 s[2:3], 0, v0
	s_and_saveexec_b64 s[6:7], s[2:3]
	s_cbranch_execz .LBB434_4
; %bb.1:
	s_mov_b64 s[12:13], exec
	v_mbcnt_lo_u32_b32 v1, s12, 0
	v_mbcnt_hi_u32_b32 v1, s13, v1
	v_cmp_eq_u32_e32 vcc, 0, v1
                                        ; implicit-def: $vgpr2
	s_and_saveexec_b64 s[8:9], vcc
	s_cbranch_execz .LBB434_3
; %bb.2:
	s_load_dwordx2 s[14:15], s[4:5], 0x60
	s_bcnt1_i32_b64 s12, s[12:13]
	v_mov_b32_e32 v2, 0
	v_mov_b32_e32 v3, s12
	s_waitcnt lgkmcnt(0)
	global_atomic_add v2, v2, v3, s[14:15] glc
.LBB434_3:
	s_or_b64 exec, exec, s[8:9]
	s_waitcnt vmcnt(0)
	v_readfirstlane_b32 s8, v2
	v_add_u32_e32 v1, s8, v1
	v_mov_b32_e32 v2, 0
	ds_write_b32 v2, v1
.LBB434_4:
	s_or_b64 exec, exec, s[6:7]
	s_load_dword s6, s[4:5], 0x38
	s_load_dwordx8 s[12:19], s[4:5], 0x40
	v_mov_b32_e32 v1, 0
	s_waitcnt lgkmcnt(0)
	s_barrier
	ds_read_b32 v1, v1
	s_lshl_b64 s[22:23], s[22:23], 3
	s_add_u32 s7, s20, s22
	s_addc_u32 s8, s21, s23
	s_add_i32 s6, s6, -1
	s_mul_i32 s9, s6, 0x380
	s_sub_u32 s33, s26, s9
	s_waitcnt lgkmcnt(0)
	v_readfirstlane_b32 s35, v1
	s_subb_u32 s34, s27, 0
	s_mul_i32 s4, s35, 0x380
	s_mov_b32 s5, 0
	s_cmp_lg_u32 s35, s6
	s_cselect_b64 s[20:21], -1, 0
	s_lshl_b64 s[26:27], s[4:5], 3
	s_add_u32 s6, s7, s26
	s_addc_u32 s7, s8, s27
	s_mov_b64 s[4:5], -1
	s_and_b64 vcc, exec, s[20:21]
	v_lshlrev_b32_e32 v48, 3, v0
	s_barrier
	s_cbranch_vccz .LBB434_6
; %bb.5:
	v_mov_b32_e32 v1, s7
	v_add_co_u32_e32 v2, vcc, s6, v48
	v_addc_co_u32_e32 v3, vcc, 0, v1, vcc
	flat_load_dwordx2 v[4:5], v[2:3]
	flat_load_dwordx2 v[6:7], v[2:3] offset:1024
	flat_load_dwordx2 v[8:9], v[2:3] offset:2048
	;; [unrolled: 1-line block ×3, first 2 shown]
	v_add_co_u32_e32 v2, vcc, 0x1000, v2
	v_addc_co_u32_e32 v3, vcc, 0, v3, vcc
	flat_load_dwordx2 v[12:13], v[2:3]
	flat_load_dwordx2 v[14:15], v[2:3] offset:1024
	flat_load_dwordx2 v[16:17], v[2:3] offset:2048
	s_mov_b64 s[4:5], 0
	s_waitcnt vmcnt(0) lgkmcnt(0)
	ds_write2st64_b64 v48, v[4:5], v[6:7] offset1:2
	ds_write2st64_b64 v48, v[8:9], v[10:11] offset0:4 offset1:6
	ds_write2st64_b64 v48, v[12:13], v[14:15] offset0:8 offset1:10
	ds_write_b64 v48, v[16:17] offset:6144
	s_waitcnt lgkmcnt(0)
	s_barrier
.LBB434_6:
	s_andn2_b64 vcc, exec, s[4:5]
	v_cmp_gt_u32_e64 s[4:5], s33, v0
	s_cbranch_vccnz .LBB434_22
; %bb.7:
	v_pk_mov_b32 v[2:3], s[6:7], s[6:7] op_sel:[0,1]
	flat_load_dwordx2 v[2:3], v[2:3]
	s_waitcnt vmcnt(0) lgkmcnt(0)
	v_mov_b32_e32 v4, v2
	v_mov_b32_e32 v5, v3
	;; [unrolled: 1-line block ×10, first 2 shown]
	v_pk_mov_b32 v[18:19], v[14:15], v[14:15] op_sel:[0,1]
	v_pk_mov_b32 v[16:17], v[12:13], v[12:13] op_sel:[0,1]
	;; [unrolled: 1-line block ×8, first 2 shown]
	s_and_saveexec_b64 s[8:9], s[4:5]
	s_cbranch_execz .LBB434_9
; %bb.8:
	v_mov_b32_e32 v1, s7
	v_add_co_u32_e32 v4, vcc, s6, v48
	v_addc_co_u32_e32 v5, vcc, 0, v1, vcc
	flat_load_dwordx2 v[20:21], v[4:5]
	v_mov_b32_e32 v4, v2
	v_mov_b32_e32 v5, v3
	;; [unrolled: 1-line block ×10, first 2 shown]
	v_pk_mov_b32 v[18:19], v[14:15], v[14:15] op_sel:[0,1]
	v_pk_mov_b32 v[16:17], v[12:13], v[12:13] op_sel:[0,1]
	;; [unrolled: 1-line block ×8, first 2 shown]
	s_waitcnt vmcnt(0) lgkmcnt(0)
	v_pk_mov_b32 v[2:3], v[20:21], v[20:21] op_sel:[0,1]
.LBB434_9:
	s_or_b64 exec, exec, s[8:9]
	v_or_b32_e32 v1, 0x80, v0
	v_cmp_gt_u32_e32 vcc, s33, v1
	s_and_saveexec_b64 s[4:5], vcc
	s_cbranch_execz .LBB434_11
; %bb.10:
	v_mov_b32_e32 v1, s7
	v_add_co_u32_e32 v4, vcc, s6, v48
	v_addc_co_u32_e32 v5, vcc, 0, v1, vcc
	flat_load_dwordx2 v[6:7], v[4:5] offset:1024
.LBB434_11:
	s_or_b64 exec, exec, s[4:5]
	v_or_b32_e32 v1, 0x100, v0
	v_cmp_gt_u32_e32 vcc, s33, v1
	s_and_saveexec_b64 s[4:5], vcc
	s_cbranch_execz .LBB434_13
; %bb.12:
	v_mov_b32_e32 v1, s7
	v_add_co_u32_e32 v4, vcc, s6, v48
	v_addc_co_u32_e32 v5, vcc, 0, v1, vcc
	flat_load_dwordx2 v[8:9], v[4:5] offset:2048
.LBB434_13:
	;; [unrolled: 11-line block ×3, first 2 shown]
	s_or_b64 exec, exec, s[4:5]
	v_or_b32_e32 v1, 0x200, v0
	v_cmp_gt_u32_e32 vcc, s33, v1
	s_and_saveexec_b64 s[4:5], vcc
	s_cbranch_execz .LBB434_17
; %bb.16:
	v_lshlrev_b32_e32 v1, 3, v1
	v_mov_b32_e32 v5, s7
	v_add_co_u32_e32 v4, vcc, s6, v1
	v_addc_co_u32_e32 v5, vcc, 0, v5, vcc
	flat_load_dwordx2 v[12:13], v[4:5]
.LBB434_17:
	s_or_b64 exec, exec, s[4:5]
	v_or_b32_e32 v1, 0x280, v0
	v_cmp_gt_u32_e32 vcc, s33, v1
	s_and_saveexec_b64 s[4:5], vcc
	s_cbranch_execz .LBB434_19
; %bb.18:
	v_lshlrev_b32_e32 v1, 3, v1
	v_mov_b32_e32 v5, s7
	v_add_co_u32_e32 v4, vcc, s6, v1
	v_addc_co_u32_e32 v5, vcc, 0, v5, vcc
	flat_load_dwordx2 v[14:15], v[4:5]
.LBB434_19:
	s_or_b64 exec, exec, s[4:5]
	v_or_b32_e32 v1, 0x300, v0
	v_cmp_gt_u32_e32 vcc, s33, v1
	s_and_saveexec_b64 s[4:5], vcc
	s_cbranch_execz .LBB434_21
; %bb.20:
	v_lshlrev_b32_e32 v1, 3, v1
	v_mov_b32_e32 v5, s7
	v_add_co_u32_e32 v4, vcc, s6, v1
	v_addc_co_u32_e32 v5, vcc, 0, v5, vcc
	flat_load_dwordx2 v[16:17], v[4:5]
.LBB434_21:
	s_or_b64 exec, exec, s[4:5]
	s_waitcnt vmcnt(0) lgkmcnt(0)
	ds_write2st64_b64 v48, v[2:3], v[6:7] offset1:2
	ds_write2st64_b64 v48, v[8:9], v[10:11] offset0:4 offset1:6
	ds_write2st64_b64 v48, v[12:13], v[14:15] offset0:8 offset1:10
	ds_write_b64 v48, v[16:17] offset:6144
	s_waitcnt lgkmcnt(0)
	s_barrier
.LBB434_22:
	v_mul_u32_u24_e32 v49, 7, v0
	v_lshlrev_b32_e32 v1, 3, v49
	ds_read2_b64 v[2:5], v1 offset1:1
	ds_read2_b64 v[10:13], v1 offset0:2 offset1:3
	ds_read2_b64 v[6:9], v1 offset0:4 offset1:5
	ds_read_b64 v[28:29], v1 offset:48
	s_cmp_lg_u32 s35, 0
	v_lshrrev_b32_e32 v50, 5, v0
	v_cmp_gt_u32_e32 vcc, 64, v0
	s_waitcnt lgkmcnt(0)
	s_barrier
	s_cbranch_scc0 .LBB434_53
; %bb.23:
	v_add_co_u32_e64 v1, s[4:5], v4, v2
	v_addc_co_u32_e64 v14, s[4:5], v5, v3, s[4:5]
	v_add_co_u32_e64 v1, s[4:5], v1, v10
	v_addc_co_u32_e64 v14, s[4:5], v14, v11, s[4:5]
	;; [unrolled: 2-line block ×6, first 2 shown]
	v_add_lshl_u32 v1, v50, v0, 3
	ds_write_b64 v1, v[18:19]
	s_waitcnt lgkmcnt(0)
	s_barrier
	s_and_saveexec_b64 s[8:9], vcc
	s_cbranch_execz .LBB434_27
; %bb.24:
	v_lshlrev_b32_e32 v1, 1, v0
	v_lshrrev_b32_e32 v14, 4, v0
	v_add_lshl_u32 v20, v14, v1, 3
	ds_read2_b64 v[14:17], v20 offset1:1
	v_mbcnt_lo_u32_b32 v1, -1, 0
	s_waitcnt lgkmcnt(0)
	v_add_co_u32_e64 v21, s[4:5], v16, v14
	v_addc_co_u32_e64 v22, s[4:5], v17, v15, s[4:5]
	s_nop 0
	v_mov_b32_dpp v16, v21 row_shr:1 row_mask:0xf bank_mask:0xf
	v_add_co_u32_e64 v16, s[4:5], v21, v16
	v_addc_co_u32_e64 v24, s[4:5], 0, v22, s[4:5]
	v_mbcnt_hi_u32_b32 v17, -1, v1
	v_mov_b32_dpp v23, v22 row_shr:1 row_mask:0xf bank_mask:0xf
	v_add_co_u32_e64 v25, s[4:5], 0, v16
	v_and_b32_e32 v1, 15, v17
	v_addc_co_u32_e64 v23, s[4:5], v23, v24, s[4:5]
	v_cmp_eq_u32_e64 s[4:5], 0, v1
	v_cndmask_b32_e64 v16, v16, v21, s[4:5]
	v_cndmask_b32_e64 v23, v23, v22, s[4:5]
	v_cndmask_b32_e64 v24, v25, v21, s[4:5]
	v_mov_b32_dpp v25, v16 row_shr:2 row_mask:0xf bank_mask:0xf
	v_mov_b32_dpp v26, v23 row_shr:2 row_mask:0xf bank_mask:0xf
	v_add_co_u32_e64 v25, s[4:5], v25, v24
	v_addc_co_u32_e64 v26, s[4:5], v26, v23, s[4:5]
	v_cmp_lt_u32_e64 s[4:5], 1, v1
	v_cndmask_b32_e64 v16, v16, v25, s[4:5]
	v_cndmask_b32_e64 v23, v23, v26, s[4:5]
	v_cndmask_b32_e64 v24, v24, v25, s[4:5]
	v_mov_b32_dpp v25, v16 row_shr:4 row_mask:0xf bank_mask:0xf
	v_mov_b32_dpp v26, v23 row_shr:4 row_mask:0xf bank_mask:0xf
	v_add_co_u32_e64 v25, s[4:5], v25, v24
	v_addc_co_u32_e64 v26, s[4:5], v26, v23, s[4:5]
	v_cmp_lt_u32_e64 s[4:5], 3, v1
	;; [unrolled: 8-line block ×3, first 2 shown]
	v_cndmask_b32_e64 v27, v16, v25, s[4:5]
	v_cndmask_b32_e64 v1, v23, v26, s[4:5]
	;; [unrolled: 1-line block ×3, first 2 shown]
	v_mov_b32_dpp v23, v27 row_bcast:15 row_mask:0xf bank_mask:0xf
	v_mov_b32_dpp v24, v1 row_bcast:15 row_mask:0xf bank_mask:0xf
	v_add_co_u32_e64 v23, s[4:5], v23, v16
	v_and_b32_e32 v26, 16, v17
	v_addc_co_u32_e64 v25, s[4:5], v24, v1, s[4:5]
	v_cmp_eq_u32_e64 s[4:5], 0, v26
	v_cndmask_b32_e64 v26, v25, v1, s[4:5]
	v_cndmask_b32_e64 v24, v23, v27, s[4:5]
	v_cmp_ne_u32_e64 s[6:7], 0, v17
	v_mov_b32_dpp v26, v26 row_bcast:31 row_mask:0xf bank_mask:0xf
	v_mov_b32_dpp v24, v24 row_bcast:31 row_mask:0xf bank_mask:0xf
	s_and_saveexec_b64 s[30:31], s[6:7]
; %bb.25:
	v_cndmask_b32_e64 v1, v25, v1, s[4:5]
	v_cndmask_b32_e64 v16, v23, v16, s[4:5]
	v_cmp_lt_u32_e64 s[4:5], 31, v17
	v_cndmask_b32_e64 v21, 0, v24, s[4:5]
	v_cndmask_b32_e64 v22, 0, v26, s[4:5]
	v_add_co_u32_e64 v21, s[4:5], v21, v16
	v_addc_co_u32_e64 v22, s[4:5], v22, v1, s[4:5]
; %bb.26:
	s_or_b64 exec, exec, s[30:31]
	v_add_u32_e32 v1, -1, v17
	v_and_b32_e32 v16, 64, v17
	v_cmp_lt_i32_e64 s[4:5], v1, v16
	v_cndmask_b32_e64 v1, v1, v17, s[4:5]
	v_lshlrev_b32_e32 v1, 2, v1
	ds_bpermute_b32 v16, v1, v21
	ds_bpermute_b32 v1, v1, v22
	; wave barrier
	s_waitcnt lgkmcnt(1)
	v_add_co_u32_e64 v14, s[4:5], v14, v16
	v_addc_co_u32_e64 v15, s[4:5], 0, v15, s[4:5]
	v_add_co_u32_e64 v14, s[4:5], 0, v14
	s_waitcnt lgkmcnt(0)
	v_addc_co_u32_e64 v1, s[4:5], v15, v1, s[4:5]
	v_cndmask_b32_e64 v15, v1, v19, s[2:3]
	v_cndmask_b32_e64 v14, v14, v18, s[2:3]
	ds_write_b64 v20, v[14:15]
	; wave barrier
	ds_read_b64 v[16:17], v20 offset:8
	s_waitcnt lgkmcnt(0)
	v_add_co_u32_e64 v14, s[4:5], v16, v14
	v_addc_co_u32_e64 v15, s[4:5], v17, v15, s[4:5]
	ds_write_b64 v20, v[14:15] offset:8
.LBB434_27:
	s_or_b64 exec, exec, s[8:9]
	v_pk_mov_b32 v[22:23], 0, 0
	s_waitcnt lgkmcnt(0)
	s_barrier
	s_and_saveexec_b64 s[4:5], s[0:1]
	s_cbranch_execz .LBB434_29
; %bb.28:
	v_add_u32_e32 v1, -1, v0
	v_lshrrev_b32_e32 v14, 5, v1
	v_add_lshl_u32 v1, v14, v1, 3
	ds_read_b64 v[22:23], v1
.LBB434_29:
	s_or_b64 exec, exec, s[4:5]
	s_and_saveexec_b64 s[30:31], vcc
	s_cbranch_execz .LBB434_52
; %bb.30:
	v_mov_b32_e32 v17, 0
	ds_read_b64 v[14:15], v17 offset:1040
	v_mbcnt_lo_u32_b32 v1, -1, 0
	v_mbcnt_hi_u32_b32 v30, -1, v1
	s_mov_b32 s9, 0
	v_cmp_eq_u32_e64 s[4:5], 0, v30
	s_and_saveexec_b64 s[6:7], s[4:5]
	s_cbranch_execz .LBB434_32
; %bb.31:
	s_add_i32 s8, s35, 64
	s_lshl_b64 s[8:9], s[8:9], 4
	s_add_u32 s8, s10, s8
	s_addc_u32 s9, s11, s9
	v_mov_b32_e32 v16, 1
	v_pk_mov_b32 v[18:19], s[8:9], s[8:9] op_sel:[0,1]
	s_waitcnt lgkmcnt(0)
	;;#ASMSTART
	global_store_dwordx4 v[18:19], v[14:17] off	
s_waitcnt vmcnt(0)
	;;#ASMEND
.LBB434_32:
	s_or_b64 exec, exec, s[6:7]
	v_xad_u32 v24, v30, -1, s35
	v_add_u32_e32 v16, 64, v24
	v_lshlrev_b64 v[18:19], 4, v[16:17]
	v_mov_b32_e32 v1, s11
	v_add_co_u32_e32 v26, vcc, s10, v18
	v_addc_co_u32_e32 v27, vcc, v1, v19, vcc
	;;#ASMSTART
	global_load_dwordx4 v[18:21], v[26:27] off glc	
s_waitcnt vmcnt(0)
	;;#ASMEND
	v_and_b32_e32 v1, 0xff, v19
	v_and_b32_e32 v16, 0xff00, v19
	v_or3_b32 v1, 0, v1, v16
	v_or3_b32 v16, v18, 0, 0
	v_and_b32_e32 v18, 0xff000000, v19
	v_and_b32_e32 v19, 0xff0000, v19
	v_or3_b32 v19, v1, v19, v18
	v_or3_b32 v18, v16, 0, 0
	v_cmp_eq_u16_sdwa s[8:9], v20, v17 src0_sel:BYTE_0 src1_sel:DWORD
	s_and_saveexec_b64 s[6:7], s[8:9]
	s_cbranch_execz .LBB434_38
; %bb.33:
	s_mov_b32 s36, 1
	s_mov_b64 s[8:9], 0
	v_mov_b32_e32 v1, 0
.LBB434_34:                             ; =>This Loop Header: Depth=1
                                        ;     Child Loop BB434_35 Depth 2
	s_max_u32 s37, s36, 1
.LBB434_35:                             ;   Parent Loop BB434_34 Depth=1
                                        ; =>  This Inner Loop Header: Depth=2
	s_add_i32 s37, s37, -1
	s_cmp_eq_u32 s37, 0
	s_sleep 1
	s_cbranch_scc0 .LBB434_35
; %bb.36:                               ;   in Loop: Header=BB434_34 Depth=1
	s_cmp_lt_u32 s36, 32
	s_cselect_b64 s[38:39], -1, 0
	s_cmp_lg_u64 s[38:39], 0
	s_addc_u32 s36, s36, 0
	;;#ASMSTART
	global_load_dwordx4 v[18:21], v[26:27] off glc	
s_waitcnt vmcnt(0)
	;;#ASMEND
	v_cmp_ne_u16_sdwa s[38:39], v20, v1 src0_sel:BYTE_0 src1_sel:DWORD
	s_or_b64 s[8:9], s[38:39], s[8:9]
	s_andn2_b64 exec, exec, s[8:9]
	s_cbranch_execnz .LBB434_34
; %bb.37:
	s_or_b64 exec, exec, s[8:9]
.LBB434_38:
	s_or_b64 exec, exec, s[6:7]
	v_and_b32_e32 v32, 63, v30
	v_cmp_ne_u32_e32 vcc, 63, v32
	v_addc_co_u32_e32 v26, vcc, 0, v30, vcc
	v_lshlrev_b32_e32 v33, 2, v26
	ds_bpermute_b32 v26, v33, v18
	v_mov_b32_e32 v1, 2
	v_cmp_eq_u16_sdwa s[6:7], v20, v1 src0_sel:BYTE_0 src1_sel:DWORD
	v_lshlrev_b64 v[16:17], v30, -1
	ds_bpermute_b32 v27, v33, v19
	v_and_b32_e32 v21, s7, v17
	v_or_b32_e32 v21, 0x80000000, v21
	s_waitcnt lgkmcnt(1)
	v_add_co_u32_e32 v26, vcc, v18, v26
	v_and_b32_e32 v25, s6, v16
	v_ffbl_b32_e32 v21, v21
	v_addc_co_u32_e32 v31, vcc, 0, v19, vcc
	v_add_u32_e32 v21, 32, v21
	v_ffbl_b32_e32 v25, v25
	v_add_co_u32_e32 v35, vcc, 0, v26
	v_cmp_gt_u32_e64 s[6:7], 62, v32
	v_min_u32_e32 v21, v25, v21
	s_waitcnt lgkmcnt(0)
	v_addc_co_u32_e32 v27, vcc, v27, v31, vcc
	v_cndmask_b32_e64 v31, 0, 1, s[6:7]
	v_cmp_lt_u32_e32 vcc, v32, v21
	v_lshlrev_b32_e32 v31, 1, v31
	v_cndmask_b32_e32 v26, v18, v26, vcc
	v_add_lshl_u32 v34, v31, v30, 2
	v_cndmask_b32_e32 v27, v19, v27, vcc
	ds_bpermute_b32 v31, v34, v26
	ds_bpermute_b32 v36, v34, v27
	v_cndmask_b32_e32 v37, v18, v35, vcc
	v_add_u32_e32 v35, 2, v32
	v_cmp_gt_u32_e64 s[8:9], 60, v32
	s_waitcnt lgkmcnt(1)
	v_add_co_u32_e64 v31, s[6:7], v31, v37
	s_waitcnt lgkmcnt(0)
	v_addc_co_u32_e64 v36, s[6:7], v36, v27, s[6:7]
	v_cmp_gt_u32_e64 s[6:7], v35, v21
	v_cndmask_b32_e64 v27, v36, v27, s[6:7]
	v_cndmask_b32_e64 v36, 0, 1, s[8:9]
	v_lshlrev_b32_e32 v36, 2, v36
	v_cndmask_b32_e64 v26, v31, v26, s[6:7]
	v_add_lshl_u32 v36, v36, v30, 2
	ds_bpermute_b32 v38, v36, v26
	ds_bpermute_b32 v39, v36, v27
	v_cndmask_b32_e64 v31, v31, v37, s[6:7]
	v_add_u32_e32 v37, 4, v32
	v_cmp_gt_u32_e64 s[8:9], 56, v32
	s_waitcnt lgkmcnt(1)
	v_add_co_u32_e64 v40, s[6:7], v38, v31
	s_waitcnt lgkmcnt(0)
	v_addc_co_u32_e64 v38, s[6:7], v39, v27, s[6:7]
	v_cmp_gt_u32_e64 s[6:7], v37, v21
	v_cndmask_b32_e64 v27, v38, v27, s[6:7]
	v_cndmask_b32_e64 v38, 0, 1, s[8:9]
	v_lshlrev_b32_e32 v38, 3, v38
	v_cndmask_b32_e64 v26, v40, v26, s[6:7]
	v_add_lshl_u32 v38, v38, v30, 2
	ds_bpermute_b32 v41, v38, v26
	v_cndmask_b32_e64 v31, v40, v31, s[6:7]
	ds_bpermute_b32 v40, v38, v27
	v_add_u32_e32 v39, 8, v32
	v_cmp_gt_u32_e64 s[8:9], 48, v32
	s_waitcnt lgkmcnt(1)
	v_add_co_u32_e64 v41, s[6:7], v41, v31
	s_waitcnt lgkmcnt(0)
	v_addc_co_u32_e64 v40, s[6:7], v40, v27, s[6:7]
	v_cmp_gt_u32_e64 s[6:7], v39, v21
	v_cndmask_b32_e64 v27, v40, v27, s[6:7]
	v_cndmask_b32_e64 v40, 0, 1, s[8:9]
	v_lshlrev_b32_e32 v40, 4, v40
	v_cndmask_b32_e64 v26, v41, v26, s[6:7]
	v_add_lshl_u32 v40, v40, v30, 2
	ds_bpermute_b32 v42, v40, v26
	ds_bpermute_b32 v43, v40, v27
	v_cndmask_b32_e64 v31, v41, v31, s[6:7]
	v_cmp_gt_u32_e64 s[8:9], 32, v32
	v_add_u32_e32 v41, 16, v32
	s_waitcnt lgkmcnt(1)
	v_add_co_u32_e64 v44, s[6:7], v42, v31
	s_waitcnt lgkmcnt(0)
	v_addc_co_u32_e64 v43, s[6:7], v43, v27, s[6:7]
	v_cndmask_b32_e64 v42, 0, 1, s[8:9]
	v_cmp_gt_u32_e64 s[6:7], v41, v21
	v_lshlrev_b32_e32 v42, 5, v42
	v_cndmask_b32_e64 v26, v44, v26, s[6:7]
	v_add_lshl_u32 v42, v42, v30, 2
	v_cndmask_b32_e64 v27, v43, v27, s[6:7]
	ds_bpermute_b32 v26, v42, v26
	ds_bpermute_b32 v30, v42, v27
	v_add_u32_e32 v43, 32, v32
	v_cndmask_b32_e64 v31, v44, v31, s[6:7]
	v_cmp_le_u32_e64 s[6:7], v43, v21
	s_waitcnt lgkmcnt(1)
	v_cndmask_b32_e64 v26, 0, v26, s[6:7]
	s_waitcnt lgkmcnt(0)
	v_cndmask_b32_e64 v21, 0, v30, s[6:7]
	v_add_co_u32_e64 v26, s[6:7], v26, v31
	v_addc_co_u32_e64 v21, s[6:7], v21, v27, s[6:7]
	v_mov_b32_e32 v25, 0
	v_cndmask_b32_e32 v19, v19, v21, vcc
	v_cndmask_b32_e32 v18, v18, v26, vcc
	s_branch .LBB434_40
.LBB434_39:                             ;   in Loop: Header=BB434_40 Depth=1
	s_or_b64 exec, exec, s[6:7]
	v_cmp_eq_u16_sdwa s[6:7], v20, v1 src0_sel:BYTE_0 src1_sel:DWORD
	v_and_b32_e32 v21, s7, v17
	v_or_b32_e32 v21, 0x80000000, v21
	ds_bpermute_b32 v31, v33, v18
	v_and_b32_e32 v30, s6, v16
	v_ffbl_b32_e32 v21, v21
	v_add_u32_e32 v21, 32, v21
	v_ffbl_b32_e32 v30, v30
	v_min_u32_e32 v21, v30, v21
	ds_bpermute_b32 v30, v33, v19
	s_waitcnt lgkmcnt(1)
	v_add_co_u32_e32 v31, vcc, v18, v31
	v_addc_co_u32_e32 v44, vcc, 0, v19, vcc
	v_add_co_u32_e32 v45, vcc, 0, v31
	s_waitcnt lgkmcnt(0)
	v_addc_co_u32_e32 v30, vcc, v30, v44, vcc
	v_cmp_lt_u32_e32 vcc, v32, v21
	v_cndmask_b32_e32 v31, v18, v31, vcc
	ds_bpermute_b32 v44, v34, v31
	v_cndmask_b32_e32 v30, v19, v30, vcc
	ds_bpermute_b32 v46, v34, v30
	v_cndmask_b32_e32 v45, v18, v45, vcc
	v_subrev_u32_e32 v24, 64, v24
	s_waitcnt lgkmcnt(1)
	v_add_co_u32_e64 v44, s[6:7], v44, v45
	s_waitcnt lgkmcnt(0)
	v_addc_co_u32_e64 v46, s[6:7], v46, v30, s[6:7]
	v_cmp_gt_u32_e64 s[6:7], v35, v21
	v_cndmask_b32_e64 v31, v44, v31, s[6:7]
	ds_bpermute_b32 v47, v36, v31
	v_cndmask_b32_e64 v30, v46, v30, s[6:7]
	ds_bpermute_b32 v46, v36, v30
	v_cndmask_b32_e64 v44, v44, v45, s[6:7]
	s_waitcnt lgkmcnt(1)
	v_add_co_u32_e64 v45, s[6:7], v47, v44
	s_waitcnt lgkmcnt(0)
	v_addc_co_u32_e64 v46, s[6:7], v46, v30, s[6:7]
	v_cmp_gt_u32_e64 s[6:7], v37, v21
	v_cndmask_b32_e64 v31, v45, v31, s[6:7]
	ds_bpermute_b32 v47, v38, v31
	v_cndmask_b32_e64 v30, v46, v30, s[6:7]
	ds_bpermute_b32 v46, v38, v30
	v_cndmask_b32_e64 v44, v45, v44, s[6:7]
	;; [unrolled: 10-line block ×3, first 2 shown]
	s_waitcnt lgkmcnt(1)
	v_add_co_u32_e64 v45, s[6:7], v47, v44
	s_waitcnt lgkmcnt(0)
	v_addc_co_u32_e64 v46, s[6:7], v46, v30, s[6:7]
	v_cmp_gt_u32_e64 s[6:7], v41, v21
	v_cndmask_b32_e64 v31, v45, v31, s[6:7]
	v_cndmask_b32_e64 v30, v46, v30, s[6:7]
	ds_bpermute_b32 v31, v42, v31
	ds_bpermute_b32 v46, v42, v30
	v_cndmask_b32_e64 v44, v45, v44, s[6:7]
	v_cmp_le_u32_e64 s[6:7], v43, v21
	s_waitcnt lgkmcnt(1)
	v_cndmask_b32_e64 v31, 0, v31, s[6:7]
	s_waitcnt lgkmcnt(0)
	v_cndmask_b32_e64 v21, 0, v46, s[6:7]
	v_add_co_u32_e64 v31, s[6:7], v31, v44
	v_addc_co_u32_e64 v21, s[6:7], v21, v30, s[6:7]
	v_cndmask_b32_e32 v18, v18, v31, vcc
	v_cndmask_b32_e32 v19, v19, v21, vcc
	v_add_co_u32_e32 v18, vcc, v18, v26
	v_addc_co_u32_e32 v19, vcc, v19, v27, vcc
.LBB434_40:                             ; =>This Loop Header: Depth=1
                                        ;     Child Loop BB434_43 Depth 2
                                        ;       Child Loop BB434_44 Depth 3
	v_cmp_ne_u16_sdwa s[6:7], v20, v1 src0_sel:BYTE_0 src1_sel:DWORD
	v_cndmask_b32_e64 v20, 0, 1, s[6:7]
	;;#ASMSTART
	;;#ASMEND
	v_cmp_ne_u32_e32 vcc, 0, v20
	s_cmp_lg_u64 vcc, exec
	v_pk_mov_b32 v[26:27], v[18:19], v[18:19] op_sel:[0,1]
	s_cbranch_scc1 .LBB434_47
; %bb.41:                               ;   in Loop: Header=BB434_40 Depth=1
	v_lshlrev_b64 v[18:19], 4, v[24:25]
	v_mov_b32_e32 v20, s11
	v_add_co_u32_e32 v30, vcc, s10, v18
	v_addc_co_u32_e32 v31, vcc, v20, v19, vcc
	;;#ASMSTART
	global_load_dwordx4 v[18:21], v[30:31] off glc	
s_waitcnt vmcnt(0)
	;;#ASMEND
	v_and_b32_e32 v21, 0xff, v19
	v_and_b32_e32 v44, 0xff00, v19
	v_or3_b32 v21, 0, v21, v44
	v_or3_b32 v18, v18, 0, 0
	v_and_b32_e32 v44, 0xff000000, v19
	v_and_b32_e32 v19, 0xff0000, v19
	v_or3_b32 v19, v21, v19, v44
	v_or3_b32 v18, v18, 0, 0
	v_cmp_eq_u16_sdwa s[8:9], v20, v25 src0_sel:BYTE_0 src1_sel:DWORD
	s_and_saveexec_b64 s[6:7], s[8:9]
	s_cbranch_execz .LBB434_39
; %bb.42:                               ;   in Loop: Header=BB434_40 Depth=1
	s_mov_b32 s36, 1
	s_mov_b64 s[8:9], 0
.LBB434_43:                             ;   Parent Loop BB434_40 Depth=1
                                        ; =>  This Loop Header: Depth=2
                                        ;       Child Loop BB434_44 Depth 3
	s_max_u32 s37, s36, 1
.LBB434_44:                             ;   Parent Loop BB434_40 Depth=1
                                        ;     Parent Loop BB434_43 Depth=2
                                        ; =>    This Inner Loop Header: Depth=3
	s_add_i32 s37, s37, -1
	s_cmp_eq_u32 s37, 0
	s_sleep 1
	s_cbranch_scc0 .LBB434_44
; %bb.45:                               ;   in Loop: Header=BB434_43 Depth=2
	s_cmp_lt_u32 s36, 32
	s_cselect_b64 s[38:39], -1, 0
	s_cmp_lg_u64 s[38:39], 0
	s_addc_u32 s36, s36, 0
	;;#ASMSTART
	global_load_dwordx4 v[18:21], v[30:31] off glc	
s_waitcnt vmcnt(0)
	;;#ASMEND
	v_cmp_ne_u16_sdwa s[38:39], v20, v25 src0_sel:BYTE_0 src1_sel:DWORD
	s_or_b64 s[8:9], s[38:39], s[8:9]
	s_andn2_b64 exec, exec, s[8:9]
	s_cbranch_execnz .LBB434_43
; %bb.46:                               ;   in Loop: Header=BB434_40 Depth=1
	s_or_b64 exec, exec, s[8:9]
	s_branch .LBB434_39
.LBB434_47:                             ;   in Loop: Header=BB434_40 Depth=1
                                        ; implicit-def: $vgpr18_vgpr19
                                        ; implicit-def: $vgpr20
	s_cbranch_execz .LBB434_40
; %bb.48:
	s_and_saveexec_b64 s[6:7], s[4:5]
	s_cbranch_execz .LBB434_50
; %bb.49:
	s_add_i32 s4, s35, 64
	s_mov_b32 s5, 0
	s_lshl_b64 s[4:5], s[4:5], 4
	s_add_u32 s4, s10, s4
	v_add_co_u32_e32 v14, vcc, v26, v14
	s_addc_u32 s5, s11, s5
	v_addc_co_u32_e32 v15, vcc, v27, v15, vcc
	v_mov_b32_e32 v16, 2
	v_mov_b32_e32 v17, 0
	v_pk_mov_b32 v[18:19], s[4:5], s[4:5] op_sel:[0,1]
	;;#ASMSTART
	global_store_dwordx4 v[18:19], v[14:17] off	
s_waitcnt vmcnt(0)
	;;#ASMEND
.LBB434_50:
	s_or_b64 exec, exec, s[6:7]
	s_and_b64 exec, exec, s[2:3]
	s_cbranch_execz .LBB434_52
; %bb.51:
	v_mov_b32_e32 v1, 0
	ds_write_b64 v1, v[26:27]
.LBB434_52:
	s_or_b64 exec, exec, s[30:31]
	v_mov_b32_e32 v1, 0
	s_waitcnt lgkmcnt(0)
	s_barrier
	ds_read_b64 v[14:15], v1
	v_add_co_u32_e32 v1, vcc, v22, v2
	v_addc_co_u32_e32 v16, vcc, v23, v3, vcc
	s_waitcnt lgkmcnt(0)
	v_add_co_u32_e32 v14, vcc, v1, v14
	v_addc_co_u32_e32 v15, vcc, v16, v15, vcc
	v_add_co_u32_e32 v42, vcc, v14, v4
	v_addc_co_u32_e32 v43, vcc, v15, v5, vcc
	;; [unrolled: 2-line block ×7, first 2 shown]
	s_branch .LBB434_79
.LBB434_53:
                                        ; implicit-def: $vgpr26_vgpr27
                                        ; implicit-def: $vgpr46_vgpr47
                                        ; implicit-def: $vgpr44_vgpr45
                                        ; implicit-def: $vgpr42_vgpr43
                                        ; implicit-def: $vgpr22_vgpr23_vgpr24_vgpr25
                                        ; implicit-def: $vgpr18_vgpr19_vgpr20_vgpr21
                                        ; implicit-def: $vgpr14_vgpr15_vgpr16_vgpr17
	s_cbranch_execz .LBB434_79
; %bb.54:
	s_cmp_lg_u64 s[16:17], 0
	s_cselect_b64 s[6:7], -1, 0
	s_cmp_eq_u64 s[16:17], 0
	s_cselect_b64 s[4:5], -1, 0
	s_and_b64 s[8:9], s[2:3], s[6:7]
	s_and_saveexec_b64 s[6:7], s[8:9]
	s_cbranch_execz .LBB434_56
; %bb.55:
	v_mov_b32_e32 v1, 0
	global_load_dwordx2 v[14:15], v1, s[12:13]
	s_waitcnt vmcnt(0)
	v_add_co_u32_e32 v2, vcc, v14, v2
	v_addc_co_u32_e32 v3, vcc, v15, v3, vcc
.LBB434_56:
	s_or_b64 exec, exec, s[6:7]
	v_add_co_u32_e32 v30, vcc, v4, v2
	v_addc_co_u32_e32 v31, vcc, v5, v3, vcc
	v_add_co_u32_e32 v32, vcc, v30, v10
	v_addc_co_u32_e32 v33, vcc, v31, v11, vcc
	v_add_co_u32_e32 v34, vcc, v32, v12
	v_addc_co_u32_e32 v35, vcc, v33, v13, vcc
	v_add_co_u32_e32 v36, vcc, v34, v6
	v_addc_co_u32_e32 v37, vcc, v35, v7, vcc
	v_add_co_u32_e32 v38, vcc, v36, v8
	v_addc_co_u32_e32 v39, vcc, v37, v9, vcc
	v_add_co_u32_e32 v40, vcc, v38, v28
	v_addc_co_u32_e32 v41, vcc, v39, v29, vcc
	v_add_lshl_u32 v1, v50, v0, 3
	s_andn2_b64 vcc, exec, s[4:5]
	v_cmp_gt_u32_e64 s[4:5], 64, v0
	ds_write_b64 v1, v[40:41]
	s_waitcnt lgkmcnt(0)
	s_cbranch_vccnz .LBB434_66
; %bb.57:
	s_barrier
	s_and_saveexec_b64 s[8:9], s[4:5]
	s_cbranch_execz .LBB434_61
; %bb.58:
	v_lshlrev_b32_e32 v1, 1, v0
	v_lshrrev_b32_e32 v14, 4, v0
	v_add_lshl_u32 v18, v14, v1, 3
	ds_read2_b64 v[14:17], v18 offset1:1
	v_mbcnt_lo_u32_b32 v1, -1, 0
	s_waitcnt lgkmcnt(0)
	v_add_co_u32_e32 v19, vcc, v16, v14
	v_addc_co_u32_e32 v20, vcc, v17, v15, vcc
	s_nop 0
	v_mov_b32_dpp v16, v19 row_shr:1 row_mask:0xf bank_mask:0xf
	v_add_co_u32_e32 v16, vcc, v19, v16
	v_addc_co_u32_e32 v22, vcc, 0, v20, vcc
	v_mbcnt_hi_u32_b32 v17, -1, v1
	v_mov_b32_dpp v21, v20 row_shr:1 row_mask:0xf bank_mask:0xf
	v_add_co_u32_e32 v23, vcc, 0, v16
	v_and_b32_e32 v1, 15, v17
	v_addc_co_u32_e32 v21, vcc, v21, v22, vcc
	v_cmp_eq_u32_e32 vcc, 0, v1
	v_cndmask_b32_e32 v16, v16, v19, vcc
	v_cndmask_b32_e32 v21, v21, v20, vcc
	v_cndmask_b32_e32 v22, v23, v19, vcc
	v_mov_b32_dpp v23, v16 row_shr:2 row_mask:0xf bank_mask:0xf
	v_mov_b32_dpp v24, v21 row_shr:2 row_mask:0xf bank_mask:0xf
	v_add_co_u32_e32 v23, vcc, v23, v22
	v_addc_co_u32_e32 v24, vcc, v24, v21, vcc
	v_cmp_lt_u32_e32 vcc, 1, v1
	v_cndmask_b32_e32 v16, v16, v23, vcc
	v_cndmask_b32_e32 v21, v21, v24, vcc
	v_cndmask_b32_e32 v22, v22, v23, vcc
	v_mov_b32_dpp v23, v16 row_shr:4 row_mask:0xf bank_mask:0xf
	v_mov_b32_dpp v24, v21 row_shr:4 row_mask:0xf bank_mask:0xf
	v_add_co_u32_e32 v23, vcc, v23, v22
	v_addc_co_u32_e32 v24, vcc, v24, v21, vcc
	v_cmp_lt_u32_e32 vcc, 3, v1
	;; [unrolled: 8-line block ×3, first 2 shown]
	v_cndmask_b32_e32 v25, v16, v23, vcc
	v_cndmask_b32_e32 v1, v21, v24, vcc
	;; [unrolled: 1-line block ×3, first 2 shown]
	v_mov_b32_dpp v21, v25 row_bcast:15 row_mask:0xf bank_mask:0xf
	v_mov_b32_dpp v22, v1 row_bcast:15 row_mask:0xf bank_mask:0xf
	v_add_co_u32_e32 v21, vcc, v21, v16
	v_and_b32_e32 v24, 16, v17
	v_addc_co_u32_e32 v23, vcc, v22, v1, vcc
	v_cmp_eq_u32_e32 vcc, 0, v24
	v_cndmask_b32_e32 v24, v23, v1, vcc
	v_cndmask_b32_e32 v22, v21, v25, vcc
	v_cmp_ne_u32_e64 s[6:7], 0, v17
	v_mov_b32_dpp v24, v24 row_bcast:31 row_mask:0xf bank_mask:0xf
	v_mov_b32_dpp v22, v22 row_bcast:31 row_mask:0xf bank_mask:0xf
	s_and_saveexec_b64 s[12:13], s[6:7]
; %bb.59:
	v_cndmask_b32_e32 v1, v23, v1, vcc
	v_cndmask_b32_e32 v16, v21, v16, vcc
	v_cmp_lt_u32_e32 vcc, 31, v17
	v_cndmask_b32_e32 v19, 0, v22, vcc
	v_cndmask_b32_e32 v20, 0, v24, vcc
	v_add_co_u32_e32 v19, vcc, v19, v16
	v_addc_co_u32_e32 v20, vcc, v20, v1, vcc
; %bb.60:
	s_or_b64 exec, exec, s[12:13]
	v_add_u32_e32 v1, -1, v17
	v_and_b32_e32 v16, 64, v17
	v_cmp_lt_i32_e32 vcc, v1, v16
	v_cndmask_b32_e32 v1, v1, v17, vcc
	v_lshlrev_b32_e32 v1, 2, v1
	ds_bpermute_b32 v16, v1, v19
	ds_bpermute_b32 v1, v1, v20
	; wave barrier
	s_waitcnt lgkmcnt(1)
	v_add_co_u32_e32 v14, vcc, v14, v16
	v_addc_co_u32_e32 v15, vcc, 0, v15, vcc
	v_add_co_u32_e32 v14, vcc, 0, v14
	s_waitcnt lgkmcnt(0)
	v_addc_co_u32_e32 v1, vcc, v15, v1, vcc
	v_cndmask_b32_e64 v15, v1, v41, s[2:3]
	v_cndmask_b32_e64 v14, v14, v40, s[2:3]
	ds_write_b64 v18, v[14:15]
	; wave barrier
	ds_read_b64 v[16:17], v18 offset:8
	s_waitcnt lgkmcnt(0)
	v_add_co_u32_e32 v14, vcc, v16, v14
	v_addc_co_u32_e32 v15, vcc, v17, v15, vcc
	ds_write_b64 v18, v[14:15] offset:8
.LBB434_61:
	s_or_b64 exec, exec, s[8:9]
	v_pk_mov_b32 v[26:27], v[40:41], v[40:41] op_sel:[0,1]
	s_waitcnt lgkmcnt(0)
	s_barrier
	s_and_saveexec_b64 s[6:7], s[0:1]
	s_cbranch_execz .LBB434_63
; %bb.62:
	v_add_u32_e32 v1, -1, v0
	v_lshrrev_b32_e32 v14, 5, v1
	v_add_lshl_u32 v1, v14, v1, 3
	ds_read_b64 v[26:27], v1
.LBB434_63:
	s_or_b64 exec, exec, s[6:7]
	v_pk_mov_b32 v[16:17], v[38:39], v[38:39] op_sel:[0,1]
	v_pk_mov_b32 v[20:21], v[36:37], v[36:37] op_sel:[0,1]
	v_pk_mov_b32 v[22:23], v[34:35], v[34:35] op_sel:[0,1]
	v_pk_mov_b32 v[18:19], v[32:33], v[32:33] op_sel:[0,1]
	v_pk_mov_b32 v[24:25], v[30:31], v[30:31] op_sel:[0,1]
	v_pk_mov_b32 v[14:15], v[2:3], v[2:3] op_sel:[0,1]
	s_and_saveexec_b64 s[6:7], s[0:1]
	s_cbranch_execz .LBB434_65
; %bb.64:
	s_waitcnt lgkmcnt(0)
	v_add_co_u32_e32 v14, vcc, v26, v2
	v_addc_co_u32_e32 v15, vcc, v27, v3, vcc
	v_add_co_u32_e32 v24, vcc, v14, v4
	v_addc_co_u32_e32 v25, vcc, v15, v5, vcc
	;; [unrolled: 2-line block ×6, first 2 shown]
	;;#ASMSTART
	;;#ASMEND
.LBB434_65:
	s_or_b64 exec, exec, s[6:7]
	v_mov_b32_e32 v1, s29
	v_add_co_u32_e32 v14, vcc, s28, v14
	v_addc_co_u32_e32 v15, vcc, v15, v1, vcc
	v_add_co_u32_e32 v42, vcc, s28, v24
	v_addc_co_u32_e32 v43, vcc, v25, v1, vcc
	;; [unrolled: 2-line block ×6, first 2 shown]
	s_waitcnt lgkmcnt(0)
	v_add_co_u32_e32 v26, vcc, v46, v28
	v_addc_co_u32_e32 v27, vcc, v47, v29, vcc
	s_branch .LBB434_76
.LBB434_66:
                                        ; implicit-def: $vgpr26_vgpr27
                                        ; implicit-def: $vgpr46_vgpr47
                                        ; implicit-def: $vgpr44_vgpr45
                                        ; implicit-def: $vgpr42_vgpr43
                                        ; implicit-def: $vgpr22_vgpr23_vgpr24_vgpr25
                                        ; implicit-def: $vgpr18_vgpr19_vgpr20_vgpr21
                                        ; implicit-def: $vgpr14_vgpr15_vgpr16_vgpr17
	s_cbranch_execz .LBB434_76
; %bb.67:
	s_barrier
	s_and_saveexec_b64 s[6:7], s[4:5]
	s_cbranch_execz .LBB434_71
; %bb.68:
	v_lshlrev_b32_e32 v1, 1, v0
	v_lshrrev_b32_e32 v14, 4, v0
	v_add_lshl_u32 v18, v14, v1, 3
	ds_read2_b64 v[14:17], v18 offset1:1
	v_mbcnt_lo_u32_b32 v1, -1, 0
	s_waitcnt lgkmcnt(0)
	v_add_co_u32_e32 v19, vcc, v16, v14
	v_addc_co_u32_e32 v20, vcc, v17, v15, vcc
	s_nop 0
	v_mov_b32_dpp v16, v19 row_shr:1 row_mask:0xf bank_mask:0xf
	v_add_co_u32_e32 v16, vcc, v19, v16
	v_addc_co_u32_e32 v22, vcc, 0, v20, vcc
	v_mbcnt_hi_u32_b32 v17, -1, v1
	v_mov_b32_dpp v21, v20 row_shr:1 row_mask:0xf bank_mask:0xf
	v_add_co_u32_e32 v23, vcc, 0, v16
	v_and_b32_e32 v1, 15, v17
	v_addc_co_u32_e32 v21, vcc, v21, v22, vcc
	v_cmp_eq_u32_e32 vcc, 0, v1
	v_cndmask_b32_e32 v16, v16, v19, vcc
	v_cndmask_b32_e32 v21, v21, v20, vcc
	v_cndmask_b32_e32 v22, v23, v19, vcc
	v_mov_b32_dpp v23, v16 row_shr:2 row_mask:0xf bank_mask:0xf
	v_mov_b32_dpp v24, v21 row_shr:2 row_mask:0xf bank_mask:0xf
	v_add_co_u32_e32 v23, vcc, v23, v22
	v_addc_co_u32_e32 v24, vcc, v24, v21, vcc
	v_cmp_lt_u32_e32 vcc, 1, v1
	v_cndmask_b32_e32 v16, v16, v23, vcc
	v_cndmask_b32_e32 v21, v21, v24, vcc
	v_cndmask_b32_e32 v22, v22, v23, vcc
	v_mov_b32_dpp v23, v16 row_shr:4 row_mask:0xf bank_mask:0xf
	v_mov_b32_dpp v24, v21 row_shr:4 row_mask:0xf bank_mask:0xf
	v_add_co_u32_e32 v23, vcc, v23, v22
	v_addc_co_u32_e32 v24, vcc, v24, v21, vcc
	v_cmp_lt_u32_e32 vcc, 3, v1
	;; [unrolled: 8-line block ×3, first 2 shown]
	v_cndmask_b32_e32 v25, v16, v23, vcc
	v_cndmask_b32_e32 v1, v21, v24, vcc
	;; [unrolled: 1-line block ×3, first 2 shown]
	v_mov_b32_dpp v21, v25 row_bcast:15 row_mask:0xf bank_mask:0xf
	v_mov_b32_dpp v22, v1 row_bcast:15 row_mask:0xf bank_mask:0xf
	v_add_co_u32_e32 v21, vcc, v21, v16
	v_and_b32_e32 v24, 16, v17
	v_addc_co_u32_e32 v23, vcc, v22, v1, vcc
	v_cmp_eq_u32_e32 vcc, 0, v24
	v_cndmask_b32_e32 v24, v23, v1, vcc
	v_cndmask_b32_e32 v22, v21, v25, vcc
	v_cmp_ne_u32_e64 s[4:5], 0, v17
	v_mov_b32_dpp v24, v24 row_bcast:31 row_mask:0xf bank_mask:0xf
	v_mov_b32_dpp v22, v22 row_bcast:31 row_mask:0xf bank_mask:0xf
	s_and_saveexec_b64 s[8:9], s[4:5]
; %bb.69:
	v_cndmask_b32_e32 v1, v23, v1, vcc
	v_cndmask_b32_e32 v16, v21, v16, vcc
	v_cmp_lt_u32_e32 vcc, 31, v17
	v_cndmask_b32_e32 v19, 0, v22, vcc
	v_cndmask_b32_e32 v20, 0, v24, vcc
	v_add_co_u32_e32 v19, vcc, v19, v16
	v_addc_co_u32_e32 v20, vcc, v20, v1, vcc
; %bb.70:
	s_or_b64 exec, exec, s[8:9]
	v_add_u32_e32 v1, -1, v17
	v_and_b32_e32 v16, 64, v17
	v_cmp_lt_i32_e32 vcc, v1, v16
	v_cndmask_b32_e32 v1, v1, v17, vcc
	v_lshlrev_b32_e32 v1, 2, v1
	ds_bpermute_b32 v16, v1, v19
	ds_bpermute_b32 v1, v1, v20
	; wave barrier
	s_waitcnt lgkmcnt(1)
	v_add_co_u32_e32 v14, vcc, v14, v16
	v_addc_co_u32_e32 v15, vcc, 0, v15, vcc
	v_add_co_u32_e32 v14, vcc, 0, v14
	s_waitcnt lgkmcnt(0)
	v_addc_co_u32_e32 v1, vcc, v15, v1, vcc
	v_cndmask_b32_e64 v15, v1, v41, s[2:3]
	v_cndmask_b32_e64 v14, v14, v40, s[2:3]
	ds_write_b64 v18, v[14:15]
	; wave barrier
	ds_read_b64 v[16:17], v18 offset:8
	s_waitcnt lgkmcnt(0)
	v_add_co_u32_e32 v14, vcc, v16, v14
	v_addc_co_u32_e32 v15, vcc, v17, v15, vcc
	ds_write_b64 v18, v[14:15] offset:8
.LBB434_71:
	s_or_b64 exec, exec, s[6:7]
	v_pk_mov_b32 v[14:15], v[40:41], v[40:41] op_sel:[0,1]
	s_waitcnt lgkmcnt(0)
	s_barrier
	s_and_saveexec_b64 s[2:3], s[0:1]
	s_cbranch_execz .LBB434_73
; %bb.72:
	v_add_u32_e32 v1, -1, v0
	v_lshrrev_b32_e32 v14, 5, v1
	v_add_lshl_u32 v1, v14, v1, 3
	ds_read_b64 v[14:15], v1
.LBB434_73:
	s_or_b64 exec, exec, s[2:3]
	s_and_saveexec_b64 s[2:3], s[0:1]
	s_cbranch_execz .LBB434_75
; %bb.74:
	s_waitcnt lgkmcnt(0)
	v_add_co_u32_e32 v2, vcc, v14, v2
	v_addc_co_u32_e32 v3, vcc, v15, v3, vcc
	v_add_co_u32_e32 v30, vcc, v2, v4
	v_addc_co_u32_e32 v31, vcc, v3, v5, vcc
	v_add_co_u32_e32 v32, vcc, v30, v10
	v_addc_co_u32_e32 v33, vcc, v31, v11, vcc
	v_add_co_u32_e32 v34, vcc, v32, v12
	v_addc_co_u32_e32 v35, vcc, v33, v13, vcc
	v_add_co_u32_e32 v36, vcc, v34, v6
	v_addc_co_u32_e32 v37, vcc, v35, v7, vcc
	v_add_co_u32_e32 v38, vcc, v36, v8
	v_addc_co_u32_e32 v39, vcc, v37, v9, vcc
	v_add_co_u32_e32 v40, vcc, v38, v28
	v_addc_co_u32_e32 v41, vcc, v39, v29, vcc
	;;#ASMSTART
	;;#ASMEND
.LBB434_75:
	s_or_b64 exec, exec, s[2:3]
	v_pk_mov_b32 v[26:27], v[40:41], v[40:41] op_sel:[0,1]
	v_pk_mov_b32 v[46:47], v[38:39], v[38:39] op_sel:[0,1]
	;; [unrolled: 1-line block ×6, first 2 shown]
	s_waitcnt lgkmcnt(0)
	v_pk_mov_b32 v[14:15], v[2:3], v[2:3] op_sel:[0,1]
.LBB434_76:
	s_movk_i32 s0, 0x7f
	v_cmp_eq_u32_e32 vcc, s0, v0
	s_and_saveexec_b64 s[0:1], vcc
	s_cbranch_execz .LBB434_78
; %bb.77:
	s_add_u32 s2, s10, 0x400
	s_addc_u32 s3, s11, 0
	v_mov_b32_e32 v28, 2
	v_mov_b32_e32 v29, 0
	v_pk_mov_b32 v[2:3], s[2:3], s[2:3] op_sel:[0,1]
	;;#ASMSTART
	global_store_dwordx4 v[2:3], v[26:29] off	
s_waitcnt vmcnt(0)
	;;#ASMEND
.LBB434_78:
	s_or_b64 exec, exec, s[0:1]
.LBB434_79:
	s_add_u32 s0, s24, s22
	s_addc_u32 s1, s25, s23
	s_add_u32 s2, s0, s26
	s_addc_u32 s3, s1, s27
	s_mov_b64 s[0:1], -1
	s_and_b64 vcc, exec, s[20:21]
	v_mul_u32_u24_e32 v1, 56, v0
	s_barrier
	s_cbranch_vccz .LBB434_81
; %bb.80:
	v_mul_i32_i24_e32 v2, 0xffffffd0, v0
	v_mad_u32_u24 v16, v0, 56, v2
	ds_write2_b64 v1, v[14:15], v[42:43] offset1:1
	ds_write2_b64 v1, v[18:19], v[44:45] offset0:2 offset1:3
	ds_write2_b64 v1, v[22:23], v[46:47] offset0:4 offset1:5
	ds_write_b64 v1, v[26:27] offset:48
	s_waitcnt lgkmcnt(0)
	s_barrier
	ds_read2st64_b64 v[2:5], v16 offset1:2
	ds_read2st64_b64 v[6:9], v16 offset0:4 offset1:6
	ds_read2st64_b64 v[10:13], v16 offset0:8 offset1:10
	ds_read_b64 v[16:17], v16 offset:6144
	v_mov_b32_e32 v21, s3
	v_add_co_u32_e32 v20, vcc, s2, v48
	v_addc_co_u32_e32 v21, vcc, 0, v21, vcc
	s_waitcnt lgkmcnt(3)
	flat_store_dwordx2 v[20:21], v[2:3]
	flat_store_dwordx2 v[20:21], v[4:5] offset:1024
	s_waitcnt lgkmcnt(0)
	flat_store_dwordx2 v[20:21], v[6:7] offset:2048
	flat_store_dwordx2 v[20:21], v[8:9] offset:3072
	v_add_co_u32_e32 v2, vcc, 0x1000, v20
	v_addc_co_u32_e32 v3, vcc, 0, v21, vcc
	flat_store_dwordx2 v[2:3], v[10:11]
	flat_store_dwordx2 v[2:3], v[12:13] offset:1024
	flat_store_dwordx2 v[2:3], v[16:17] offset:2048
	s_mov_b64 s[0:1], 0
.LBB434_81:
	s_andn2_b64 vcc, exec, s[0:1]
	s_cbranch_vccnz .LBB434_120
; %bb.82:
	v_mul_i32_i24_e32 v2, 0xffffffd0, v0
	ds_write2_b64 v1, v[14:15], v[42:43] offset1:1
	ds_write2_b64 v1, v[18:19], v[44:45] offset0:2 offset1:3
	ds_write2_b64 v1, v[22:23], v[46:47] offset0:4 offset1:5
	ds_write_b64 v1, v[26:27] offset:48
	v_mad_u32_u24 v14, v0, 56, v2
	s_waitcnt lgkmcnt(0)
	s_barrier
	ds_read2st64_b64 v[2:5], v14 offset1:2
	ds_read2st64_b64 v[6:9], v14 offset0:4 offset1:6
	ds_read2st64_b64 v[10:13], v14 offset0:8 offset1:10
	ds_read_b64 v[14:15], v14 offset:6144
	v_mov_b32_e32 v17, s3
	v_add_co_u32_e32 v16, vcc, s2, v48
	v_addc_co_u32_e32 v17, vcc, 0, v17, vcc
	v_mov_b32_e32 v1, 0
	v_cmp_gt_u32_e32 vcc, s33, v0
	s_and_saveexec_b64 s[0:1], vcc
	s_cbranch_execz .LBB434_84
; %bb.83:
	s_waitcnt lgkmcnt(0)
	flat_store_dwordx2 v[16:17], v[2:3]
.LBB434_84:
	s_or_b64 exec, exec, s[0:1]
	v_or_b32_e32 v18, 0x80, v0
	v_cmp_gt_u32_e32 vcc, s33, v18
	s_and_saveexec_b64 s[0:1], vcc
	s_cbranch_execz .LBB434_86
; %bb.85:
	s_waitcnt lgkmcnt(0)
	flat_store_dwordx2 v[16:17], v[4:5] offset:1024
.LBB434_86:
	s_or_b64 exec, exec, s[0:1]
	v_or_b32_e32 v18, 0x100, v0
	v_cmp_gt_u32_e32 vcc, s33, v18
	s_and_saveexec_b64 s[0:1], vcc
	s_cbranch_execz .LBB434_88
; %bb.87:
	s_waitcnt lgkmcnt(0)
	flat_store_dwordx2 v[16:17], v[6:7] offset:2048
.LBB434_88:
	;; [unrolled: 9-line block ×3, first 2 shown]
	s_or_b64 exec, exec, s[0:1]
	v_or_b32_e32 v18, 0x200, v0
	v_cmp_gt_u32_e32 vcc, s33, v18
	s_and_saveexec_b64 s[0:1], vcc
	s_cbranch_execz .LBB434_92
; %bb.91:
	v_add_co_u32_e32 v18, vcc, 0x1000, v16
	v_addc_co_u32_e32 v19, vcc, 0, v17, vcc
	s_waitcnt lgkmcnt(0)
	flat_store_dwordx2 v[18:19], v[10:11]
.LBB434_92:
	s_or_b64 exec, exec, s[0:1]
	v_or_b32_e32 v18, 0x280, v0
	v_cmp_gt_u32_e32 vcc, s33, v18
	s_and_saveexec_b64 s[0:1], vcc
	s_cbranch_execz .LBB434_94
; %bb.93:
	v_add_co_u32_e32 v18, vcc, 0x1000, v16
	v_addc_co_u32_e32 v19, vcc, 0, v17, vcc
	s_waitcnt lgkmcnt(0)
	flat_store_dwordx2 v[18:19], v[12:13] offset:1024
.LBB434_94:
	s_or_b64 exec, exec, s[0:1]
	v_or_b32_e32 v18, 0x300, v0
	v_cmp_gt_u32_e32 vcc, s33, v18
	s_and_saveexec_b64 s[0:1], vcc
	s_cbranch_execz .LBB434_96
; %bb.95:
	v_add_co_u32_e32 v16, vcc, 0x1000, v16
	v_addc_co_u32_e32 v17, vcc, 0, v17, vcc
	s_waitcnt lgkmcnt(0)
	flat_store_dwordx2 v[16:17], v[14:15] offset:2048
.LBB434_96:
	s_or_b64 exec, exec, s[0:1]
	v_cmp_lt_u64_e64 s[0:1], s[18:19], 2
	s_and_b64 vcc, exec, s[0:1]
	s_cbranch_vccnz .LBB434_120
; %bb.97:
	s_add_u32 s0, s33, -1
	s_addc_u32 s1, s34, -1
	s_add_u32 s2, 0, 0x92481000
	s_addc_u32 s3, 0, 0x64
	s_add_i32 s3, s3, 0x249248c0
	s_mul_hi_u32 s7, s2, -7
	s_sub_i32 s7, s7, s2
	s_mul_i32 s8, s3, -7
	s_mul_i32 s4, s2, -7
	s_add_i32 s7, s7, s8
	s_mul_hi_u32 s5, s3, s4
	s_mul_i32 s6, s3, s4
	s_mul_i32 s9, s2, s7
	s_mul_hi_u32 s4, s2, s4
	s_mul_hi_u32 s8, s2, s7
	s_add_u32 s4, s4, s9
	s_addc_u32 s8, 0, s8
	s_add_u32 s4, s4, s6
	s_mul_hi_u32 s9, s3, s7
	s_addc_u32 s4, s8, s5
	s_addc_u32 s5, s9, 0
	s_mul_i32 s6, s3, s7
	s_add_u32 s4, s4, s6
	v_mov_b32_e32 v16, s4
	s_addc_u32 s5, 0, s5
	v_add_co_u32_e32 v16, vcc, s2, v16
	s_cmp_lg_u64 vcc, 0
	s_addc_u32 s2, s3, s5
	v_readfirstlane_b32 s5, v16
	s_mul_i32 s4, s0, s2
	s_mul_hi_u32 s6, s0, s5
	s_mul_hi_u32 s3, s0, s2
	s_add_u32 s4, s6, s4
	s_addc_u32 s3, 0, s3
	s_mul_hi_u32 s7, s1, s5
	s_mul_i32 s5, s1, s5
	s_add_u32 s4, s4, s5
	s_mul_hi_u32 s6, s1, s2
	s_addc_u32 s3, s3, s7
	s_addc_u32 s4, s6, 0
	s_mul_i32 s2, s1, s2
	s_add_u32 s2, s3, s2
	s_addc_u32 s3, 0, s4
	s_add_u32 s4, s2, 1
	s_addc_u32 s5, s3, 0
	s_add_u32 s6, s2, 2
	s_mul_i32 s8, s3, 7
	s_mul_hi_u32 s9, s2, 7
	s_addc_u32 s7, s3, 0
	s_add_i32 s9, s9, s8
	s_mul_i32 s8, s2, 7
	v_mov_b32_e32 v16, s8
	v_sub_co_u32_e32 v16, vcc, s0, v16
	s_cmp_lg_u64 vcc, 0
	s_subb_u32 s8, s1, s9
	v_subrev_co_u32_e32 v17, vcc, 7, v16
	s_cmp_lg_u64 vcc, 0
	s_subb_u32 s9, s8, 0
	v_readfirstlane_b32 s10, v17
	s_cmp_gt_u32 s10, 6
	s_cselect_b32 s10, -1, 0
	s_cmp_eq_u32 s9, 0
	s_cselect_b32 s9, s10, -1
	s_cmp_lg_u32 s9, 0
	s_cselect_b32 s4, s6, s4
	v_readfirstlane_b32 s6, v16
	s_cselect_b32 s5, s7, s5
	s_cmp_gt_u32 s6, 6
	s_cselect_b32 s6, -1, 0
	s_cmp_eq_u32 s8, 0
	s_cselect_b32 s6, s6, -1
	s_cmp_lg_u32 s6, 0
	s_cselect_b32 s3, s5, s3
	s_cselect_b32 s2, s4, s2
	v_cmp_eq_u64_e32 vcc, s[2:3], v[0:1]
	s_and_saveexec_b64 s[2:3], vcc
	s_cbranch_execz .LBB434_120
; %bb.98:
	v_mul_hi_u32_u24_e32 v1, 7, v0
	v_mov_b32_e32 v16, s1
	v_sub_co_u32_e32 v0, vcc, s0, v49
	v_subb_co_u32_e32 v1, vcc, v16, v1, vcc
	v_cmp_lt_i64_e32 vcc, 3, v[0:1]
	s_and_saveexec_b64 s[0:1], vcc
	s_xor_b64 s[0:1], exec, s[0:1]
	s_cbranch_execz .LBB434_108
; %bb.99:
	v_cmp_lt_i64_e32 vcc, 4, v[0:1]
	s_and_saveexec_b64 s[2:3], vcc
	s_xor_b64 s[2:3], exec, s[2:3]
	s_cbranch_execz .LBB434_105
; %bb.100:
	;; [unrolled: 5-line block ×3, first 2 shown]
	v_mov_b32_e32 v0, 0
	s_waitcnt lgkmcnt(0)
	global_store_dwordx2 v0, v[14:15], s[14:15]
                                        ; implicit-def: $vgpr10_vgpr11_vgpr12_vgpr13
.LBB434_102:
	s_andn2_saveexec_b64 s[4:5], s[4:5]
	s_cbranch_execz .LBB434_104
; %bb.103:
	v_mov_b32_e32 v0, 0
	s_waitcnt lgkmcnt(0)
	global_store_dwordx2 v0, v[12:13], s[14:15]
.LBB434_104:
	s_or_b64 exec, exec, s[4:5]
                                        ; implicit-def: $vgpr10_vgpr11_vgpr12_vgpr13
.LBB434_105:
	s_andn2_saveexec_b64 s[2:3], s[2:3]
	s_cbranch_execz .LBB434_107
; %bb.106:
	v_mov_b32_e32 v0, 0
	s_waitcnt lgkmcnt(0)
	global_store_dwordx2 v0, v[10:11], s[14:15]
.LBB434_107:
	s_or_b64 exec, exec, s[2:3]
                                        ; implicit-def: $vgpr0_vgpr1
                                        ; implicit-def: $vgpr2_vgpr3_vgpr4_vgpr5
                                        ; implicit-def: $vgpr6_vgpr7_vgpr8_vgpr9
.LBB434_108:
	s_andn2_saveexec_b64 s[0:1], s[0:1]
	s_cbranch_execz .LBB434_120
; %bb.109:
	v_cmp_lt_i64_e32 vcc, 1, v[0:1]
	s_and_saveexec_b64 s[0:1], vcc
	s_xor_b64 s[0:1], exec, s[0:1]
	s_cbranch_execz .LBB434_115
; %bb.110:
	v_cmp_lt_i64_e32 vcc, 2, v[0:1]
	s_and_saveexec_b64 s[2:3], vcc
	s_xor_b64 s[2:3], exec, s[2:3]
	s_cbranch_execz .LBB434_112
; %bb.111:
	v_mov_b32_e32 v0, 0
	s_waitcnt lgkmcnt(0)
	global_store_dwordx2 v0, v[8:9], s[14:15]
                                        ; implicit-def: $vgpr6_vgpr7_vgpr8_vgpr9
.LBB434_112:
	s_andn2_saveexec_b64 s[2:3], s[2:3]
	s_cbranch_execz .LBB434_114
; %bb.113:
	v_mov_b32_e32 v0, 0
	s_waitcnt lgkmcnt(0)
	global_store_dwordx2 v0, v[6:7], s[14:15]
.LBB434_114:
	s_or_b64 exec, exec, s[2:3]
                                        ; implicit-def: $vgpr2_vgpr3_vgpr4_vgpr5
                                        ; implicit-def: $vgpr0_vgpr1
.LBB434_115:
	s_andn2_saveexec_b64 s[0:1], s[0:1]
	s_cbranch_execz .LBB434_120
; %bb.116:
	v_cmp_ne_u64_e32 vcc, 1, v[0:1]
	s_and_saveexec_b64 s[0:1], vcc
	s_xor_b64 s[0:1], exec, s[0:1]
	s_cbranch_execz .LBB434_118
; %bb.117:
	v_mov_b32_e32 v0, 0
	s_waitcnt lgkmcnt(0)
	global_store_dwordx2 v0, v[2:3], s[14:15]
                                        ; implicit-def: $vgpr2_vgpr3_vgpr4_vgpr5
.LBB434_118:
	s_andn2_saveexec_b64 s[0:1], s[0:1]
	s_cbranch_execz .LBB434_120
; %bb.119:
	v_mov_b32_e32 v0, 0
	s_waitcnt lgkmcnt(0)
	global_store_dwordx2 v0, v[4:5], s[14:15]
.LBB434_120:
	s_endpgm
	.section	.rodata,"a",@progbits
	.p2align	6, 0x0
	.amdhsa_kernel _ZN7rocprim17ROCPRIM_400000_NS6detail17trampoline_kernelINS0_14default_configENS1_20scan_config_selectorIxEEZZNS1_9scan_implILNS1_25lookback_scan_determinismE0ELb0ELb1ES3_N6thrust23THRUST_200600_302600_NS6detail15normal_iteratorINS9_10device_ptrIxEEEESE_xNS9_4plusIxEExEEDaPvRmT3_T4_T5_mT6_P12ihipStream_tbENKUlT_T0_E_clISt17integral_constantIbLb1EESU_EEDaSP_SQ_EUlSP_E_NS1_11comp_targetILNS1_3genE4ELNS1_11target_archE910ELNS1_3gpuE8ELNS1_3repE0EEENS1_30default_config_static_selectorELNS0_4arch9wavefront6targetE1EEEvT1_
		.amdhsa_group_segment_fixed_size 7168
		.amdhsa_private_segment_fixed_size 0
		.amdhsa_kernarg_size 104
		.amdhsa_user_sgpr_count 6
		.amdhsa_user_sgpr_private_segment_buffer 1
		.amdhsa_user_sgpr_dispatch_ptr 0
		.amdhsa_user_sgpr_queue_ptr 0
		.amdhsa_user_sgpr_kernarg_segment_ptr 1
		.amdhsa_user_sgpr_dispatch_id 0
		.amdhsa_user_sgpr_flat_scratch_init 0
		.amdhsa_user_sgpr_kernarg_preload_length 0
		.amdhsa_user_sgpr_kernarg_preload_offset 0
		.amdhsa_user_sgpr_private_segment_size 0
		.amdhsa_uses_dynamic_stack 0
		.amdhsa_system_sgpr_private_segment_wavefront_offset 0
		.amdhsa_system_sgpr_workgroup_id_x 1
		.amdhsa_system_sgpr_workgroup_id_y 0
		.amdhsa_system_sgpr_workgroup_id_z 0
		.amdhsa_system_sgpr_workgroup_info 0
		.amdhsa_system_vgpr_workitem_id 0
		.amdhsa_next_free_vgpr 51
		.amdhsa_next_free_sgpr 40
		.amdhsa_accum_offset 52
		.amdhsa_reserve_vcc 1
		.amdhsa_reserve_flat_scratch 0
		.amdhsa_float_round_mode_32 0
		.amdhsa_float_round_mode_16_64 0
		.amdhsa_float_denorm_mode_32 3
		.amdhsa_float_denorm_mode_16_64 3
		.amdhsa_dx10_clamp 1
		.amdhsa_ieee_mode 1
		.amdhsa_fp16_overflow 0
		.amdhsa_tg_split 0
		.amdhsa_exception_fp_ieee_invalid_op 0
		.amdhsa_exception_fp_denorm_src 0
		.amdhsa_exception_fp_ieee_div_zero 0
		.amdhsa_exception_fp_ieee_overflow 0
		.amdhsa_exception_fp_ieee_underflow 0
		.amdhsa_exception_fp_ieee_inexact 0
		.amdhsa_exception_int_div_zero 0
	.end_amdhsa_kernel
	.section	.text._ZN7rocprim17ROCPRIM_400000_NS6detail17trampoline_kernelINS0_14default_configENS1_20scan_config_selectorIxEEZZNS1_9scan_implILNS1_25lookback_scan_determinismE0ELb0ELb1ES3_N6thrust23THRUST_200600_302600_NS6detail15normal_iteratorINS9_10device_ptrIxEEEESE_xNS9_4plusIxEExEEDaPvRmT3_T4_T5_mT6_P12ihipStream_tbENKUlT_T0_E_clISt17integral_constantIbLb1EESU_EEDaSP_SQ_EUlSP_E_NS1_11comp_targetILNS1_3genE4ELNS1_11target_archE910ELNS1_3gpuE8ELNS1_3repE0EEENS1_30default_config_static_selectorELNS0_4arch9wavefront6targetE1EEEvT1_,"axG",@progbits,_ZN7rocprim17ROCPRIM_400000_NS6detail17trampoline_kernelINS0_14default_configENS1_20scan_config_selectorIxEEZZNS1_9scan_implILNS1_25lookback_scan_determinismE0ELb0ELb1ES3_N6thrust23THRUST_200600_302600_NS6detail15normal_iteratorINS9_10device_ptrIxEEEESE_xNS9_4plusIxEExEEDaPvRmT3_T4_T5_mT6_P12ihipStream_tbENKUlT_T0_E_clISt17integral_constantIbLb1EESU_EEDaSP_SQ_EUlSP_E_NS1_11comp_targetILNS1_3genE4ELNS1_11target_archE910ELNS1_3gpuE8ELNS1_3repE0EEENS1_30default_config_static_selectorELNS0_4arch9wavefront6targetE1EEEvT1_,comdat
.Lfunc_end434:
	.size	_ZN7rocprim17ROCPRIM_400000_NS6detail17trampoline_kernelINS0_14default_configENS1_20scan_config_selectorIxEEZZNS1_9scan_implILNS1_25lookback_scan_determinismE0ELb0ELb1ES3_N6thrust23THRUST_200600_302600_NS6detail15normal_iteratorINS9_10device_ptrIxEEEESE_xNS9_4plusIxEExEEDaPvRmT3_T4_T5_mT6_P12ihipStream_tbENKUlT_T0_E_clISt17integral_constantIbLb1EESU_EEDaSP_SQ_EUlSP_E_NS1_11comp_targetILNS1_3genE4ELNS1_11target_archE910ELNS1_3gpuE8ELNS1_3repE0EEENS1_30default_config_static_selectorELNS0_4arch9wavefront6targetE1EEEvT1_, .Lfunc_end434-_ZN7rocprim17ROCPRIM_400000_NS6detail17trampoline_kernelINS0_14default_configENS1_20scan_config_selectorIxEEZZNS1_9scan_implILNS1_25lookback_scan_determinismE0ELb0ELb1ES3_N6thrust23THRUST_200600_302600_NS6detail15normal_iteratorINS9_10device_ptrIxEEEESE_xNS9_4plusIxEExEEDaPvRmT3_T4_T5_mT6_P12ihipStream_tbENKUlT_T0_E_clISt17integral_constantIbLb1EESU_EEDaSP_SQ_EUlSP_E_NS1_11comp_targetILNS1_3genE4ELNS1_11target_archE910ELNS1_3gpuE8ELNS1_3repE0EEENS1_30default_config_static_selectorELNS0_4arch9wavefront6targetE1EEEvT1_
                                        ; -- End function
	.section	.AMDGPU.csdata,"",@progbits
; Kernel info:
; codeLenInByte = 6544
; NumSgprs: 44
; NumVgprs: 51
; NumAgprs: 0
; TotalNumVgprs: 51
; ScratchSize: 0
; MemoryBound: 0
; FloatMode: 240
; IeeeMode: 1
; LDSByteSize: 7168 bytes/workgroup (compile time only)
; SGPRBlocks: 5
; VGPRBlocks: 6
; NumSGPRsForWavesPerEU: 44
; NumVGPRsForWavesPerEU: 51
; AccumOffset: 52
; Occupancy: 5
; WaveLimiterHint : 1
; COMPUTE_PGM_RSRC2:SCRATCH_EN: 0
; COMPUTE_PGM_RSRC2:USER_SGPR: 6
; COMPUTE_PGM_RSRC2:TRAP_HANDLER: 0
; COMPUTE_PGM_RSRC2:TGID_X_EN: 1
; COMPUTE_PGM_RSRC2:TGID_Y_EN: 0
; COMPUTE_PGM_RSRC2:TGID_Z_EN: 0
; COMPUTE_PGM_RSRC2:TIDIG_COMP_CNT: 0
; COMPUTE_PGM_RSRC3_GFX90A:ACCUM_OFFSET: 12
; COMPUTE_PGM_RSRC3_GFX90A:TG_SPLIT: 0
	.section	.text._ZN7rocprim17ROCPRIM_400000_NS6detail17trampoline_kernelINS0_14default_configENS1_20scan_config_selectorIxEEZZNS1_9scan_implILNS1_25lookback_scan_determinismE0ELb0ELb1ES3_N6thrust23THRUST_200600_302600_NS6detail15normal_iteratorINS9_10device_ptrIxEEEESE_xNS9_4plusIxEExEEDaPvRmT3_T4_T5_mT6_P12ihipStream_tbENKUlT_T0_E_clISt17integral_constantIbLb1EESU_EEDaSP_SQ_EUlSP_E_NS1_11comp_targetILNS1_3genE3ELNS1_11target_archE908ELNS1_3gpuE7ELNS1_3repE0EEENS1_30default_config_static_selectorELNS0_4arch9wavefront6targetE1EEEvT1_,"axG",@progbits,_ZN7rocprim17ROCPRIM_400000_NS6detail17trampoline_kernelINS0_14default_configENS1_20scan_config_selectorIxEEZZNS1_9scan_implILNS1_25lookback_scan_determinismE0ELb0ELb1ES3_N6thrust23THRUST_200600_302600_NS6detail15normal_iteratorINS9_10device_ptrIxEEEESE_xNS9_4plusIxEExEEDaPvRmT3_T4_T5_mT6_P12ihipStream_tbENKUlT_T0_E_clISt17integral_constantIbLb1EESU_EEDaSP_SQ_EUlSP_E_NS1_11comp_targetILNS1_3genE3ELNS1_11target_archE908ELNS1_3gpuE7ELNS1_3repE0EEENS1_30default_config_static_selectorELNS0_4arch9wavefront6targetE1EEEvT1_,comdat
	.protected	_ZN7rocprim17ROCPRIM_400000_NS6detail17trampoline_kernelINS0_14default_configENS1_20scan_config_selectorIxEEZZNS1_9scan_implILNS1_25lookback_scan_determinismE0ELb0ELb1ES3_N6thrust23THRUST_200600_302600_NS6detail15normal_iteratorINS9_10device_ptrIxEEEESE_xNS9_4plusIxEExEEDaPvRmT3_T4_T5_mT6_P12ihipStream_tbENKUlT_T0_E_clISt17integral_constantIbLb1EESU_EEDaSP_SQ_EUlSP_E_NS1_11comp_targetILNS1_3genE3ELNS1_11target_archE908ELNS1_3gpuE7ELNS1_3repE0EEENS1_30default_config_static_selectorELNS0_4arch9wavefront6targetE1EEEvT1_ ; -- Begin function _ZN7rocprim17ROCPRIM_400000_NS6detail17trampoline_kernelINS0_14default_configENS1_20scan_config_selectorIxEEZZNS1_9scan_implILNS1_25lookback_scan_determinismE0ELb0ELb1ES3_N6thrust23THRUST_200600_302600_NS6detail15normal_iteratorINS9_10device_ptrIxEEEESE_xNS9_4plusIxEExEEDaPvRmT3_T4_T5_mT6_P12ihipStream_tbENKUlT_T0_E_clISt17integral_constantIbLb1EESU_EEDaSP_SQ_EUlSP_E_NS1_11comp_targetILNS1_3genE3ELNS1_11target_archE908ELNS1_3gpuE7ELNS1_3repE0EEENS1_30default_config_static_selectorELNS0_4arch9wavefront6targetE1EEEvT1_
	.globl	_ZN7rocprim17ROCPRIM_400000_NS6detail17trampoline_kernelINS0_14default_configENS1_20scan_config_selectorIxEEZZNS1_9scan_implILNS1_25lookback_scan_determinismE0ELb0ELb1ES3_N6thrust23THRUST_200600_302600_NS6detail15normal_iteratorINS9_10device_ptrIxEEEESE_xNS9_4plusIxEExEEDaPvRmT3_T4_T5_mT6_P12ihipStream_tbENKUlT_T0_E_clISt17integral_constantIbLb1EESU_EEDaSP_SQ_EUlSP_E_NS1_11comp_targetILNS1_3genE3ELNS1_11target_archE908ELNS1_3gpuE7ELNS1_3repE0EEENS1_30default_config_static_selectorELNS0_4arch9wavefront6targetE1EEEvT1_
	.p2align	8
	.type	_ZN7rocprim17ROCPRIM_400000_NS6detail17trampoline_kernelINS0_14default_configENS1_20scan_config_selectorIxEEZZNS1_9scan_implILNS1_25lookback_scan_determinismE0ELb0ELb1ES3_N6thrust23THRUST_200600_302600_NS6detail15normal_iteratorINS9_10device_ptrIxEEEESE_xNS9_4plusIxEExEEDaPvRmT3_T4_T5_mT6_P12ihipStream_tbENKUlT_T0_E_clISt17integral_constantIbLb1EESU_EEDaSP_SQ_EUlSP_E_NS1_11comp_targetILNS1_3genE3ELNS1_11target_archE908ELNS1_3gpuE7ELNS1_3repE0EEENS1_30default_config_static_selectorELNS0_4arch9wavefront6targetE1EEEvT1_,@function
_ZN7rocprim17ROCPRIM_400000_NS6detail17trampoline_kernelINS0_14default_configENS1_20scan_config_selectorIxEEZZNS1_9scan_implILNS1_25lookback_scan_determinismE0ELb0ELb1ES3_N6thrust23THRUST_200600_302600_NS6detail15normal_iteratorINS9_10device_ptrIxEEEESE_xNS9_4plusIxEExEEDaPvRmT3_T4_T5_mT6_P12ihipStream_tbENKUlT_T0_E_clISt17integral_constantIbLb1EESU_EEDaSP_SQ_EUlSP_E_NS1_11comp_targetILNS1_3genE3ELNS1_11target_archE908ELNS1_3gpuE7ELNS1_3repE0EEENS1_30default_config_static_selectorELNS0_4arch9wavefront6targetE1EEEvT1_: ; @_ZN7rocprim17ROCPRIM_400000_NS6detail17trampoline_kernelINS0_14default_configENS1_20scan_config_selectorIxEEZZNS1_9scan_implILNS1_25lookback_scan_determinismE0ELb0ELb1ES3_N6thrust23THRUST_200600_302600_NS6detail15normal_iteratorINS9_10device_ptrIxEEEESE_xNS9_4plusIxEExEEDaPvRmT3_T4_T5_mT6_P12ihipStream_tbENKUlT_T0_E_clISt17integral_constantIbLb1EESU_EEDaSP_SQ_EUlSP_E_NS1_11comp_targetILNS1_3genE3ELNS1_11target_archE908ELNS1_3gpuE7ELNS1_3repE0EEENS1_30default_config_static_selectorELNS0_4arch9wavefront6targetE1EEEvT1_
; %bb.0:
	.section	.rodata,"a",@progbits
	.p2align	6, 0x0
	.amdhsa_kernel _ZN7rocprim17ROCPRIM_400000_NS6detail17trampoline_kernelINS0_14default_configENS1_20scan_config_selectorIxEEZZNS1_9scan_implILNS1_25lookback_scan_determinismE0ELb0ELb1ES3_N6thrust23THRUST_200600_302600_NS6detail15normal_iteratorINS9_10device_ptrIxEEEESE_xNS9_4plusIxEExEEDaPvRmT3_T4_T5_mT6_P12ihipStream_tbENKUlT_T0_E_clISt17integral_constantIbLb1EESU_EEDaSP_SQ_EUlSP_E_NS1_11comp_targetILNS1_3genE3ELNS1_11target_archE908ELNS1_3gpuE7ELNS1_3repE0EEENS1_30default_config_static_selectorELNS0_4arch9wavefront6targetE1EEEvT1_
		.amdhsa_group_segment_fixed_size 0
		.amdhsa_private_segment_fixed_size 0
		.amdhsa_kernarg_size 104
		.amdhsa_user_sgpr_count 6
		.amdhsa_user_sgpr_private_segment_buffer 1
		.amdhsa_user_sgpr_dispatch_ptr 0
		.amdhsa_user_sgpr_queue_ptr 0
		.amdhsa_user_sgpr_kernarg_segment_ptr 1
		.amdhsa_user_sgpr_dispatch_id 0
		.amdhsa_user_sgpr_flat_scratch_init 0
		.amdhsa_user_sgpr_kernarg_preload_length 0
		.amdhsa_user_sgpr_kernarg_preload_offset 0
		.amdhsa_user_sgpr_private_segment_size 0
		.amdhsa_uses_dynamic_stack 0
		.amdhsa_system_sgpr_private_segment_wavefront_offset 0
		.amdhsa_system_sgpr_workgroup_id_x 1
		.amdhsa_system_sgpr_workgroup_id_y 0
		.amdhsa_system_sgpr_workgroup_id_z 0
		.amdhsa_system_sgpr_workgroup_info 0
		.amdhsa_system_vgpr_workitem_id 0
		.amdhsa_next_free_vgpr 1
		.amdhsa_next_free_sgpr 0
		.amdhsa_accum_offset 4
		.amdhsa_reserve_vcc 0
		.amdhsa_reserve_flat_scratch 0
		.amdhsa_float_round_mode_32 0
		.amdhsa_float_round_mode_16_64 0
		.amdhsa_float_denorm_mode_32 3
		.amdhsa_float_denorm_mode_16_64 3
		.amdhsa_dx10_clamp 1
		.amdhsa_ieee_mode 1
		.amdhsa_fp16_overflow 0
		.amdhsa_tg_split 0
		.amdhsa_exception_fp_ieee_invalid_op 0
		.amdhsa_exception_fp_denorm_src 0
		.amdhsa_exception_fp_ieee_div_zero 0
		.amdhsa_exception_fp_ieee_overflow 0
		.amdhsa_exception_fp_ieee_underflow 0
		.amdhsa_exception_fp_ieee_inexact 0
		.amdhsa_exception_int_div_zero 0
	.end_amdhsa_kernel
	.section	.text._ZN7rocprim17ROCPRIM_400000_NS6detail17trampoline_kernelINS0_14default_configENS1_20scan_config_selectorIxEEZZNS1_9scan_implILNS1_25lookback_scan_determinismE0ELb0ELb1ES3_N6thrust23THRUST_200600_302600_NS6detail15normal_iteratorINS9_10device_ptrIxEEEESE_xNS9_4plusIxEExEEDaPvRmT3_T4_T5_mT6_P12ihipStream_tbENKUlT_T0_E_clISt17integral_constantIbLb1EESU_EEDaSP_SQ_EUlSP_E_NS1_11comp_targetILNS1_3genE3ELNS1_11target_archE908ELNS1_3gpuE7ELNS1_3repE0EEENS1_30default_config_static_selectorELNS0_4arch9wavefront6targetE1EEEvT1_,"axG",@progbits,_ZN7rocprim17ROCPRIM_400000_NS6detail17trampoline_kernelINS0_14default_configENS1_20scan_config_selectorIxEEZZNS1_9scan_implILNS1_25lookback_scan_determinismE0ELb0ELb1ES3_N6thrust23THRUST_200600_302600_NS6detail15normal_iteratorINS9_10device_ptrIxEEEESE_xNS9_4plusIxEExEEDaPvRmT3_T4_T5_mT6_P12ihipStream_tbENKUlT_T0_E_clISt17integral_constantIbLb1EESU_EEDaSP_SQ_EUlSP_E_NS1_11comp_targetILNS1_3genE3ELNS1_11target_archE908ELNS1_3gpuE7ELNS1_3repE0EEENS1_30default_config_static_selectorELNS0_4arch9wavefront6targetE1EEEvT1_,comdat
.Lfunc_end435:
	.size	_ZN7rocprim17ROCPRIM_400000_NS6detail17trampoline_kernelINS0_14default_configENS1_20scan_config_selectorIxEEZZNS1_9scan_implILNS1_25lookback_scan_determinismE0ELb0ELb1ES3_N6thrust23THRUST_200600_302600_NS6detail15normal_iteratorINS9_10device_ptrIxEEEESE_xNS9_4plusIxEExEEDaPvRmT3_T4_T5_mT6_P12ihipStream_tbENKUlT_T0_E_clISt17integral_constantIbLb1EESU_EEDaSP_SQ_EUlSP_E_NS1_11comp_targetILNS1_3genE3ELNS1_11target_archE908ELNS1_3gpuE7ELNS1_3repE0EEENS1_30default_config_static_selectorELNS0_4arch9wavefront6targetE1EEEvT1_, .Lfunc_end435-_ZN7rocprim17ROCPRIM_400000_NS6detail17trampoline_kernelINS0_14default_configENS1_20scan_config_selectorIxEEZZNS1_9scan_implILNS1_25lookback_scan_determinismE0ELb0ELb1ES3_N6thrust23THRUST_200600_302600_NS6detail15normal_iteratorINS9_10device_ptrIxEEEESE_xNS9_4plusIxEExEEDaPvRmT3_T4_T5_mT6_P12ihipStream_tbENKUlT_T0_E_clISt17integral_constantIbLb1EESU_EEDaSP_SQ_EUlSP_E_NS1_11comp_targetILNS1_3genE3ELNS1_11target_archE908ELNS1_3gpuE7ELNS1_3repE0EEENS1_30default_config_static_selectorELNS0_4arch9wavefront6targetE1EEEvT1_
                                        ; -- End function
	.section	.AMDGPU.csdata,"",@progbits
; Kernel info:
; codeLenInByte = 0
; NumSgprs: 4
; NumVgprs: 0
; NumAgprs: 0
; TotalNumVgprs: 0
; ScratchSize: 0
; MemoryBound: 0
; FloatMode: 240
; IeeeMode: 1
; LDSByteSize: 0 bytes/workgroup (compile time only)
; SGPRBlocks: 0
; VGPRBlocks: 0
; NumSGPRsForWavesPerEU: 4
; NumVGPRsForWavesPerEU: 1
; AccumOffset: 4
; Occupancy: 8
; WaveLimiterHint : 0
; COMPUTE_PGM_RSRC2:SCRATCH_EN: 0
; COMPUTE_PGM_RSRC2:USER_SGPR: 6
; COMPUTE_PGM_RSRC2:TRAP_HANDLER: 0
; COMPUTE_PGM_RSRC2:TGID_X_EN: 1
; COMPUTE_PGM_RSRC2:TGID_Y_EN: 0
; COMPUTE_PGM_RSRC2:TGID_Z_EN: 0
; COMPUTE_PGM_RSRC2:TIDIG_COMP_CNT: 0
; COMPUTE_PGM_RSRC3_GFX90A:ACCUM_OFFSET: 0
; COMPUTE_PGM_RSRC3_GFX90A:TG_SPLIT: 0
	.section	.text._ZN7rocprim17ROCPRIM_400000_NS6detail17trampoline_kernelINS0_14default_configENS1_20scan_config_selectorIxEEZZNS1_9scan_implILNS1_25lookback_scan_determinismE0ELb0ELb1ES3_N6thrust23THRUST_200600_302600_NS6detail15normal_iteratorINS9_10device_ptrIxEEEESE_xNS9_4plusIxEExEEDaPvRmT3_T4_T5_mT6_P12ihipStream_tbENKUlT_T0_E_clISt17integral_constantIbLb1EESU_EEDaSP_SQ_EUlSP_E_NS1_11comp_targetILNS1_3genE2ELNS1_11target_archE906ELNS1_3gpuE6ELNS1_3repE0EEENS1_30default_config_static_selectorELNS0_4arch9wavefront6targetE1EEEvT1_,"axG",@progbits,_ZN7rocprim17ROCPRIM_400000_NS6detail17trampoline_kernelINS0_14default_configENS1_20scan_config_selectorIxEEZZNS1_9scan_implILNS1_25lookback_scan_determinismE0ELb0ELb1ES3_N6thrust23THRUST_200600_302600_NS6detail15normal_iteratorINS9_10device_ptrIxEEEESE_xNS9_4plusIxEExEEDaPvRmT3_T4_T5_mT6_P12ihipStream_tbENKUlT_T0_E_clISt17integral_constantIbLb1EESU_EEDaSP_SQ_EUlSP_E_NS1_11comp_targetILNS1_3genE2ELNS1_11target_archE906ELNS1_3gpuE6ELNS1_3repE0EEENS1_30default_config_static_selectorELNS0_4arch9wavefront6targetE1EEEvT1_,comdat
	.protected	_ZN7rocprim17ROCPRIM_400000_NS6detail17trampoline_kernelINS0_14default_configENS1_20scan_config_selectorIxEEZZNS1_9scan_implILNS1_25lookback_scan_determinismE0ELb0ELb1ES3_N6thrust23THRUST_200600_302600_NS6detail15normal_iteratorINS9_10device_ptrIxEEEESE_xNS9_4plusIxEExEEDaPvRmT3_T4_T5_mT6_P12ihipStream_tbENKUlT_T0_E_clISt17integral_constantIbLb1EESU_EEDaSP_SQ_EUlSP_E_NS1_11comp_targetILNS1_3genE2ELNS1_11target_archE906ELNS1_3gpuE6ELNS1_3repE0EEENS1_30default_config_static_selectorELNS0_4arch9wavefront6targetE1EEEvT1_ ; -- Begin function _ZN7rocprim17ROCPRIM_400000_NS6detail17trampoline_kernelINS0_14default_configENS1_20scan_config_selectorIxEEZZNS1_9scan_implILNS1_25lookback_scan_determinismE0ELb0ELb1ES3_N6thrust23THRUST_200600_302600_NS6detail15normal_iteratorINS9_10device_ptrIxEEEESE_xNS9_4plusIxEExEEDaPvRmT3_T4_T5_mT6_P12ihipStream_tbENKUlT_T0_E_clISt17integral_constantIbLb1EESU_EEDaSP_SQ_EUlSP_E_NS1_11comp_targetILNS1_3genE2ELNS1_11target_archE906ELNS1_3gpuE6ELNS1_3repE0EEENS1_30default_config_static_selectorELNS0_4arch9wavefront6targetE1EEEvT1_
	.globl	_ZN7rocprim17ROCPRIM_400000_NS6detail17trampoline_kernelINS0_14default_configENS1_20scan_config_selectorIxEEZZNS1_9scan_implILNS1_25lookback_scan_determinismE0ELb0ELb1ES3_N6thrust23THRUST_200600_302600_NS6detail15normal_iteratorINS9_10device_ptrIxEEEESE_xNS9_4plusIxEExEEDaPvRmT3_T4_T5_mT6_P12ihipStream_tbENKUlT_T0_E_clISt17integral_constantIbLb1EESU_EEDaSP_SQ_EUlSP_E_NS1_11comp_targetILNS1_3genE2ELNS1_11target_archE906ELNS1_3gpuE6ELNS1_3repE0EEENS1_30default_config_static_selectorELNS0_4arch9wavefront6targetE1EEEvT1_
	.p2align	8
	.type	_ZN7rocprim17ROCPRIM_400000_NS6detail17trampoline_kernelINS0_14default_configENS1_20scan_config_selectorIxEEZZNS1_9scan_implILNS1_25lookback_scan_determinismE0ELb0ELb1ES3_N6thrust23THRUST_200600_302600_NS6detail15normal_iteratorINS9_10device_ptrIxEEEESE_xNS9_4plusIxEExEEDaPvRmT3_T4_T5_mT6_P12ihipStream_tbENKUlT_T0_E_clISt17integral_constantIbLb1EESU_EEDaSP_SQ_EUlSP_E_NS1_11comp_targetILNS1_3genE2ELNS1_11target_archE906ELNS1_3gpuE6ELNS1_3repE0EEENS1_30default_config_static_selectorELNS0_4arch9wavefront6targetE1EEEvT1_,@function
_ZN7rocprim17ROCPRIM_400000_NS6detail17trampoline_kernelINS0_14default_configENS1_20scan_config_selectorIxEEZZNS1_9scan_implILNS1_25lookback_scan_determinismE0ELb0ELb1ES3_N6thrust23THRUST_200600_302600_NS6detail15normal_iteratorINS9_10device_ptrIxEEEESE_xNS9_4plusIxEExEEDaPvRmT3_T4_T5_mT6_P12ihipStream_tbENKUlT_T0_E_clISt17integral_constantIbLb1EESU_EEDaSP_SQ_EUlSP_E_NS1_11comp_targetILNS1_3genE2ELNS1_11target_archE906ELNS1_3gpuE6ELNS1_3repE0EEENS1_30default_config_static_selectorELNS0_4arch9wavefront6targetE1EEEvT1_: ; @_ZN7rocprim17ROCPRIM_400000_NS6detail17trampoline_kernelINS0_14default_configENS1_20scan_config_selectorIxEEZZNS1_9scan_implILNS1_25lookback_scan_determinismE0ELb0ELb1ES3_N6thrust23THRUST_200600_302600_NS6detail15normal_iteratorINS9_10device_ptrIxEEEESE_xNS9_4plusIxEExEEDaPvRmT3_T4_T5_mT6_P12ihipStream_tbENKUlT_T0_E_clISt17integral_constantIbLb1EESU_EEDaSP_SQ_EUlSP_E_NS1_11comp_targetILNS1_3genE2ELNS1_11target_archE906ELNS1_3gpuE6ELNS1_3repE0EEENS1_30default_config_static_selectorELNS0_4arch9wavefront6targetE1EEEvT1_
; %bb.0:
	.section	.rodata,"a",@progbits
	.p2align	6, 0x0
	.amdhsa_kernel _ZN7rocprim17ROCPRIM_400000_NS6detail17trampoline_kernelINS0_14default_configENS1_20scan_config_selectorIxEEZZNS1_9scan_implILNS1_25lookback_scan_determinismE0ELb0ELb1ES3_N6thrust23THRUST_200600_302600_NS6detail15normal_iteratorINS9_10device_ptrIxEEEESE_xNS9_4plusIxEExEEDaPvRmT3_T4_T5_mT6_P12ihipStream_tbENKUlT_T0_E_clISt17integral_constantIbLb1EESU_EEDaSP_SQ_EUlSP_E_NS1_11comp_targetILNS1_3genE2ELNS1_11target_archE906ELNS1_3gpuE6ELNS1_3repE0EEENS1_30default_config_static_selectorELNS0_4arch9wavefront6targetE1EEEvT1_
		.amdhsa_group_segment_fixed_size 0
		.amdhsa_private_segment_fixed_size 0
		.amdhsa_kernarg_size 104
		.amdhsa_user_sgpr_count 6
		.amdhsa_user_sgpr_private_segment_buffer 1
		.amdhsa_user_sgpr_dispatch_ptr 0
		.amdhsa_user_sgpr_queue_ptr 0
		.amdhsa_user_sgpr_kernarg_segment_ptr 1
		.amdhsa_user_sgpr_dispatch_id 0
		.amdhsa_user_sgpr_flat_scratch_init 0
		.amdhsa_user_sgpr_kernarg_preload_length 0
		.amdhsa_user_sgpr_kernarg_preload_offset 0
		.amdhsa_user_sgpr_private_segment_size 0
		.amdhsa_uses_dynamic_stack 0
		.amdhsa_system_sgpr_private_segment_wavefront_offset 0
		.amdhsa_system_sgpr_workgroup_id_x 1
		.amdhsa_system_sgpr_workgroup_id_y 0
		.amdhsa_system_sgpr_workgroup_id_z 0
		.amdhsa_system_sgpr_workgroup_info 0
		.amdhsa_system_vgpr_workitem_id 0
		.amdhsa_next_free_vgpr 1
		.amdhsa_next_free_sgpr 0
		.amdhsa_accum_offset 4
		.amdhsa_reserve_vcc 0
		.amdhsa_reserve_flat_scratch 0
		.amdhsa_float_round_mode_32 0
		.amdhsa_float_round_mode_16_64 0
		.amdhsa_float_denorm_mode_32 3
		.amdhsa_float_denorm_mode_16_64 3
		.amdhsa_dx10_clamp 1
		.amdhsa_ieee_mode 1
		.amdhsa_fp16_overflow 0
		.amdhsa_tg_split 0
		.amdhsa_exception_fp_ieee_invalid_op 0
		.amdhsa_exception_fp_denorm_src 0
		.amdhsa_exception_fp_ieee_div_zero 0
		.amdhsa_exception_fp_ieee_overflow 0
		.amdhsa_exception_fp_ieee_underflow 0
		.amdhsa_exception_fp_ieee_inexact 0
		.amdhsa_exception_int_div_zero 0
	.end_amdhsa_kernel
	.section	.text._ZN7rocprim17ROCPRIM_400000_NS6detail17trampoline_kernelINS0_14default_configENS1_20scan_config_selectorIxEEZZNS1_9scan_implILNS1_25lookback_scan_determinismE0ELb0ELb1ES3_N6thrust23THRUST_200600_302600_NS6detail15normal_iteratorINS9_10device_ptrIxEEEESE_xNS9_4plusIxEExEEDaPvRmT3_T4_T5_mT6_P12ihipStream_tbENKUlT_T0_E_clISt17integral_constantIbLb1EESU_EEDaSP_SQ_EUlSP_E_NS1_11comp_targetILNS1_3genE2ELNS1_11target_archE906ELNS1_3gpuE6ELNS1_3repE0EEENS1_30default_config_static_selectorELNS0_4arch9wavefront6targetE1EEEvT1_,"axG",@progbits,_ZN7rocprim17ROCPRIM_400000_NS6detail17trampoline_kernelINS0_14default_configENS1_20scan_config_selectorIxEEZZNS1_9scan_implILNS1_25lookback_scan_determinismE0ELb0ELb1ES3_N6thrust23THRUST_200600_302600_NS6detail15normal_iteratorINS9_10device_ptrIxEEEESE_xNS9_4plusIxEExEEDaPvRmT3_T4_T5_mT6_P12ihipStream_tbENKUlT_T0_E_clISt17integral_constantIbLb1EESU_EEDaSP_SQ_EUlSP_E_NS1_11comp_targetILNS1_3genE2ELNS1_11target_archE906ELNS1_3gpuE6ELNS1_3repE0EEENS1_30default_config_static_selectorELNS0_4arch9wavefront6targetE1EEEvT1_,comdat
.Lfunc_end436:
	.size	_ZN7rocprim17ROCPRIM_400000_NS6detail17trampoline_kernelINS0_14default_configENS1_20scan_config_selectorIxEEZZNS1_9scan_implILNS1_25lookback_scan_determinismE0ELb0ELb1ES3_N6thrust23THRUST_200600_302600_NS6detail15normal_iteratorINS9_10device_ptrIxEEEESE_xNS9_4plusIxEExEEDaPvRmT3_T4_T5_mT6_P12ihipStream_tbENKUlT_T0_E_clISt17integral_constantIbLb1EESU_EEDaSP_SQ_EUlSP_E_NS1_11comp_targetILNS1_3genE2ELNS1_11target_archE906ELNS1_3gpuE6ELNS1_3repE0EEENS1_30default_config_static_selectorELNS0_4arch9wavefront6targetE1EEEvT1_, .Lfunc_end436-_ZN7rocprim17ROCPRIM_400000_NS6detail17trampoline_kernelINS0_14default_configENS1_20scan_config_selectorIxEEZZNS1_9scan_implILNS1_25lookback_scan_determinismE0ELb0ELb1ES3_N6thrust23THRUST_200600_302600_NS6detail15normal_iteratorINS9_10device_ptrIxEEEESE_xNS9_4plusIxEExEEDaPvRmT3_T4_T5_mT6_P12ihipStream_tbENKUlT_T0_E_clISt17integral_constantIbLb1EESU_EEDaSP_SQ_EUlSP_E_NS1_11comp_targetILNS1_3genE2ELNS1_11target_archE906ELNS1_3gpuE6ELNS1_3repE0EEENS1_30default_config_static_selectorELNS0_4arch9wavefront6targetE1EEEvT1_
                                        ; -- End function
	.section	.AMDGPU.csdata,"",@progbits
; Kernel info:
; codeLenInByte = 0
; NumSgprs: 4
; NumVgprs: 0
; NumAgprs: 0
; TotalNumVgprs: 0
; ScratchSize: 0
; MemoryBound: 0
; FloatMode: 240
; IeeeMode: 1
; LDSByteSize: 0 bytes/workgroup (compile time only)
; SGPRBlocks: 0
; VGPRBlocks: 0
; NumSGPRsForWavesPerEU: 4
; NumVGPRsForWavesPerEU: 1
; AccumOffset: 4
; Occupancy: 8
; WaveLimiterHint : 0
; COMPUTE_PGM_RSRC2:SCRATCH_EN: 0
; COMPUTE_PGM_RSRC2:USER_SGPR: 6
; COMPUTE_PGM_RSRC2:TRAP_HANDLER: 0
; COMPUTE_PGM_RSRC2:TGID_X_EN: 1
; COMPUTE_PGM_RSRC2:TGID_Y_EN: 0
; COMPUTE_PGM_RSRC2:TGID_Z_EN: 0
; COMPUTE_PGM_RSRC2:TIDIG_COMP_CNT: 0
; COMPUTE_PGM_RSRC3_GFX90A:ACCUM_OFFSET: 0
; COMPUTE_PGM_RSRC3_GFX90A:TG_SPLIT: 0
	.section	.text._ZN7rocprim17ROCPRIM_400000_NS6detail17trampoline_kernelINS0_14default_configENS1_20scan_config_selectorIxEEZZNS1_9scan_implILNS1_25lookback_scan_determinismE0ELb0ELb1ES3_N6thrust23THRUST_200600_302600_NS6detail15normal_iteratorINS9_10device_ptrIxEEEESE_xNS9_4plusIxEExEEDaPvRmT3_T4_T5_mT6_P12ihipStream_tbENKUlT_T0_E_clISt17integral_constantIbLb1EESU_EEDaSP_SQ_EUlSP_E_NS1_11comp_targetILNS1_3genE10ELNS1_11target_archE1201ELNS1_3gpuE5ELNS1_3repE0EEENS1_30default_config_static_selectorELNS0_4arch9wavefront6targetE1EEEvT1_,"axG",@progbits,_ZN7rocprim17ROCPRIM_400000_NS6detail17trampoline_kernelINS0_14default_configENS1_20scan_config_selectorIxEEZZNS1_9scan_implILNS1_25lookback_scan_determinismE0ELb0ELb1ES3_N6thrust23THRUST_200600_302600_NS6detail15normal_iteratorINS9_10device_ptrIxEEEESE_xNS9_4plusIxEExEEDaPvRmT3_T4_T5_mT6_P12ihipStream_tbENKUlT_T0_E_clISt17integral_constantIbLb1EESU_EEDaSP_SQ_EUlSP_E_NS1_11comp_targetILNS1_3genE10ELNS1_11target_archE1201ELNS1_3gpuE5ELNS1_3repE0EEENS1_30default_config_static_selectorELNS0_4arch9wavefront6targetE1EEEvT1_,comdat
	.protected	_ZN7rocprim17ROCPRIM_400000_NS6detail17trampoline_kernelINS0_14default_configENS1_20scan_config_selectorIxEEZZNS1_9scan_implILNS1_25lookback_scan_determinismE0ELb0ELb1ES3_N6thrust23THRUST_200600_302600_NS6detail15normal_iteratorINS9_10device_ptrIxEEEESE_xNS9_4plusIxEExEEDaPvRmT3_T4_T5_mT6_P12ihipStream_tbENKUlT_T0_E_clISt17integral_constantIbLb1EESU_EEDaSP_SQ_EUlSP_E_NS1_11comp_targetILNS1_3genE10ELNS1_11target_archE1201ELNS1_3gpuE5ELNS1_3repE0EEENS1_30default_config_static_selectorELNS0_4arch9wavefront6targetE1EEEvT1_ ; -- Begin function _ZN7rocprim17ROCPRIM_400000_NS6detail17trampoline_kernelINS0_14default_configENS1_20scan_config_selectorIxEEZZNS1_9scan_implILNS1_25lookback_scan_determinismE0ELb0ELb1ES3_N6thrust23THRUST_200600_302600_NS6detail15normal_iteratorINS9_10device_ptrIxEEEESE_xNS9_4plusIxEExEEDaPvRmT3_T4_T5_mT6_P12ihipStream_tbENKUlT_T0_E_clISt17integral_constantIbLb1EESU_EEDaSP_SQ_EUlSP_E_NS1_11comp_targetILNS1_3genE10ELNS1_11target_archE1201ELNS1_3gpuE5ELNS1_3repE0EEENS1_30default_config_static_selectorELNS0_4arch9wavefront6targetE1EEEvT1_
	.globl	_ZN7rocprim17ROCPRIM_400000_NS6detail17trampoline_kernelINS0_14default_configENS1_20scan_config_selectorIxEEZZNS1_9scan_implILNS1_25lookback_scan_determinismE0ELb0ELb1ES3_N6thrust23THRUST_200600_302600_NS6detail15normal_iteratorINS9_10device_ptrIxEEEESE_xNS9_4plusIxEExEEDaPvRmT3_T4_T5_mT6_P12ihipStream_tbENKUlT_T0_E_clISt17integral_constantIbLb1EESU_EEDaSP_SQ_EUlSP_E_NS1_11comp_targetILNS1_3genE10ELNS1_11target_archE1201ELNS1_3gpuE5ELNS1_3repE0EEENS1_30default_config_static_selectorELNS0_4arch9wavefront6targetE1EEEvT1_
	.p2align	8
	.type	_ZN7rocprim17ROCPRIM_400000_NS6detail17trampoline_kernelINS0_14default_configENS1_20scan_config_selectorIxEEZZNS1_9scan_implILNS1_25lookback_scan_determinismE0ELb0ELb1ES3_N6thrust23THRUST_200600_302600_NS6detail15normal_iteratorINS9_10device_ptrIxEEEESE_xNS9_4plusIxEExEEDaPvRmT3_T4_T5_mT6_P12ihipStream_tbENKUlT_T0_E_clISt17integral_constantIbLb1EESU_EEDaSP_SQ_EUlSP_E_NS1_11comp_targetILNS1_3genE10ELNS1_11target_archE1201ELNS1_3gpuE5ELNS1_3repE0EEENS1_30default_config_static_selectorELNS0_4arch9wavefront6targetE1EEEvT1_,@function
_ZN7rocprim17ROCPRIM_400000_NS6detail17trampoline_kernelINS0_14default_configENS1_20scan_config_selectorIxEEZZNS1_9scan_implILNS1_25lookback_scan_determinismE0ELb0ELb1ES3_N6thrust23THRUST_200600_302600_NS6detail15normal_iteratorINS9_10device_ptrIxEEEESE_xNS9_4plusIxEExEEDaPvRmT3_T4_T5_mT6_P12ihipStream_tbENKUlT_T0_E_clISt17integral_constantIbLb1EESU_EEDaSP_SQ_EUlSP_E_NS1_11comp_targetILNS1_3genE10ELNS1_11target_archE1201ELNS1_3gpuE5ELNS1_3repE0EEENS1_30default_config_static_selectorELNS0_4arch9wavefront6targetE1EEEvT1_: ; @_ZN7rocprim17ROCPRIM_400000_NS6detail17trampoline_kernelINS0_14default_configENS1_20scan_config_selectorIxEEZZNS1_9scan_implILNS1_25lookback_scan_determinismE0ELb0ELb1ES3_N6thrust23THRUST_200600_302600_NS6detail15normal_iteratorINS9_10device_ptrIxEEEESE_xNS9_4plusIxEExEEDaPvRmT3_T4_T5_mT6_P12ihipStream_tbENKUlT_T0_E_clISt17integral_constantIbLb1EESU_EEDaSP_SQ_EUlSP_E_NS1_11comp_targetILNS1_3genE10ELNS1_11target_archE1201ELNS1_3gpuE5ELNS1_3repE0EEENS1_30default_config_static_selectorELNS0_4arch9wavefront6targetE1EEEvT1_
; %bb.0:
	.section	.rodata,"a",@progbits
	.p2align	6, 0x0
	.amdhsa_kernel _ZN7rocprim17ROCPRIM_400000_NS6detail17trampoline_kernelINS0_14default_configENS1_20scan_config_selectorIxEEZZNS1_9scan_implILNS1_25lookback_scan_determinismE0ELb0ELb1ES3_N6thrust23THRUST_200600_302600_NS6detail15normal_iteratorINS9_10device_ptrIxEEEESE_xNS9_4plusIxEExEEDaPvRmT3_T4_T5_mT6_P12ihipStream_tbENKUlT_T0_E_clISt17integral_constantIbLb1EESU_EEDaSP_SQ_EUlSP_E_NS1_11comp_targetILNS1_3genE10ELNS1_11target_archE1201ELNS1_3gpuE5ELNS1_3repE0EEENS1_30default_config_static_selectorELNS0_4arch9wavefront6targetE1EEEvT1_
		.amdhsa_group_segment_fixed_size 0
		.amdhsa_private_segment_fixed_size 0
		.amdhsa_kernarg_size 104
		.amdhsa_user_sgpr_count 6
		.amdhsa_user_sgpr_private_segment_buffer 1
		.amdhsa_user_sgpr_dispatch_ptr 0
		.amdhsa_user_sgpr_queue_ptr 0
		.amdhsa_user_sgpr_kernarg_segment_ptr 1
		.amdhsa_user_sgpr_dispatch_id 0
		.amdhsa_user_sgpr_flat_scratch_init 0
		.amdhsa_user_sgpr_kernarg_preload_length 0
		.amdhsa_user_sgpr_kernarg_preload_offset 0
		.amdhsa_user_sgpr_private_segment_size 0
		.amdhsa_uses_dynamic_stack 0
		.amdhsa_system_sgpr_private_segment_wavefront_offset 0
		.amdhsa_system_sgpr_workgroup_id_x 1
		.amdhsa_system_sgpr_workgroup_id_y 0
		.amdhsa_system_sgpr_workgroup_id_z 0
		.amdhsa_system_sgpr_workgroup_info 0
		.amdhsa_system_vgpr_workitem_id 0
		.amdhsa_next_free_vgpr 1
		.amdhsa_next_free_sgpr 0
		.amdhsa_accum_offset 4
		.amdhsa_reserve_vcc 0
		.amdhsa_reserve_flat_scratch 0
		.amdhsa_float_round_mode_32 0
		.amdhsa_float_round_mode_16_64 0
		.amdhsa_float_denorm_mode_32 3
		.amdhsa_float_denorm_mode_16_64 3
		.amdhsa_dx10_clamp 1
		.amdhsa_ieee_mode 1
		.amdhsa_fp16_overflow 0
		.amdhsa_tg_split 0
		.amdhsa_exception_fp_ieee_invalid_op 0
		.amdhsa_exception_fp_denorm_src 0
		.amdhsa_exception_fp_ieee_div_zero 0
		.amdhsa_exception_fp_ieee_overflow 0
		.amdhsa_exception_fp_ieee_underflow 0
		.amdhsa_exception_fp_ieee_inexact 0
		.amdhsa_exception_int_div_zero 0
	.end_amdhsa_kernel
	.section	.text._ZN7rocprim17ROCPRIM_400000_NS6detail17trampoline_kernelINS0_14default_configENS1_20scan_config_selectorIxEEZZNS1_9scan_implILNS1_25lookback_scan_determinismE0ELb0ELb1ES3_N6thrust23THRUST_200600_302600_NS6detail15normal_iteratorINS9_10device_ptrIxEEEESE_xNS9_4plusIxEExEEDaPvRmT3_T4_T5_mT6_P12ihipStream_tbENKUlT_T0_E_clISt17integral_constantIbLb1EESU_EEDaSP_SQ_EUlSP_E_NS1_11comp_targetILNS1_3genE10ELNS1_11target_archE1201ELNS1_3gpuE5ELNS1_3repE0EEENS1_30default_config_static_selectorELNS0_4arch9wavefront6targetE1EEEvT1_,"axG",@progbits,_ZN7rocprim17ROCPRIM_400000_NS6detail17trampoline_kernelINS0_14default_configENS1_20scan_config_selectorIxEEZZNS1_9scan_implILNS1_25lookback_scan_determinismE0ELb0ELb1ES3_N6thrust23THRUST_200600_302600_NS6detail15normal_iteratorINS9_10device_ptrIxEEEESE_xNS9_4plusIxEExEEDaPvRmT3_T4_T5_mT6_P12ihipStream_tbENKUlT_T0_E_clISt17integral_constantIbLb1EESU_EEDaSP_SQ_EUlSP_E_NS1_11comp_targetILNS1_3genE10ELNS1_11target_archE1201ELNS1_3gpuE5ELNS1_3repE0EEENS1_30default_config_static_selectorELNS0_4arch9wavefront6targetE1EEEvT1_,comdat
.Lfunc_end437:
	.size	_ZN7rocprim17ROCPRIM_400000_NS6detail17trampoline_kernelINS0_14default_configENS1_20scan_config_selectorIxEEZZNS1_9scan_implILNS1_25lookback_scan_determinismE0ELb0ELb1ES3_N6thrust23THRUST_200600_302600_NS6detail15normal_iteratorINS9_10device_ptrIxEEEESE_xNS9_4plusIxEExEEDaPvRmT3_T4_T5_mT6_P12ihipStream_tbENKUlT_T0_E_clISt17integral_constantIbLb1EESU_EEDaSP_SQ_EUlSP_E_NS1_11comp_targetILNS1_3genE10ELNS1_11target_archE1201ELNS1_3gpuE5ELNS1_3repE0EEENS1_30default_config_static_selectorELNS0_4arch9wavefront6targetE1EEEvT1_, .Lfunc_end437-_ZN7rocprim17ROCPRIM_400000_NS6detail17trampoline_kernelINS0_14default_configENS1_20scan_config_selectorIxEEZZNS1_9scan_implILNS1_25lookback_scan_determinismE0ELb0ELb1ES3_N6thrust23THRUST_200600_302600_NS6detail15normal_iteratorINS9_10device_ptrIxEEEESE_xNS9_4plusIxEExEEDaPvRmT3_T4_T5_mT6_P12ihipStream_tbENKUlT_T0_E_clISt17integral_constantIbLb1EESU_EEDaSP_SQ_EUlSP_E_NS1_11comp_targetILNS1_3genE10ELNS1_11target_archE1201ELNS1_3gpuE5ELNS1_3repE0EEENS1_30default_config_static_selectorELNS0_4arch9wavefront6targetE1EEEvT1_
                                        ; -- End function
	.section	.AMDGPU.csdata,"",@progbits
; Kernel info:
; codeLenInByte = 0
; NumSgprs: 4
; NumVgprs: 0
; NumAgprs: 0
; TotalNumVgprs: 0
; ScratchSize: 0
; MemoryBound: 0
; FloatMode: 240
; IeeeMode: 1
; LDSByteSize: 0 bytes/workgroup (compile time only)
; SGPRBlocks: 0
; VGPRBlocks: 0
; NumSGPRsForWavesPerEU: 4
; NumVGPRsForWavesPerEU: 1
; AccumOffset: 4
; Occupancy: 8
; WaveLimiterHint : 0
; COMPUTE_PGM_RSRC2:SCRATCH_EN: 0
; COMPUTE_PGM_RSRC2:USER_SGPR: 6
; COMPUTE_PGM_RSRC2:TRAP_HANDLER: 0
; COMPUTE_PGM_RSRC2:TGID_X_EN: 1
; COMPUTE_PGM_RSRC2:TGID_Y_EN: 0
; COMPUTE_PGM_RSRC2:TGID_Z_EN: 0
; COMPUTE_PGM_RSRC2:TIDIG_COMP_CNT: 0
; COMPUTE_PGM_RSRC3_GFX90A:ACCUM_OFFSET: 0
; COMPUTE_PGM_RSRC3_GFX90A:TG_SPLIT: 0
	.section	.text._ZN7rocprim17ROCPRIM_400000_NS6detail17trampoline_kernelINS0_14default_configENS1_20scan_config_selectorIxEEZZNS1_9scan_implILNS1_25lookback_scan_determinismE0ELb0ELb1ES3_N6thrust23THRUST_200600_302600_NS6detail15normal_iteratorINS9_10device_ptrIxEEEESE_xNS9_4plusIxEExEEDaPvRmT3_T4_T5_mT6_P12ihipStream_tbENKUlT_T0_E_clISt17integral_constantIbLb1EESU_EEDaSP_SQ_EUlSP_E_NS1_11comp_targetILNS1_3genE10ELNS1_11target_archE1200ELNS1_3gpuE4ELNS1_3repE0EEENS1_30default_config_static_selectorELNS0_4arch9wavefront6targetE1EEEvT1_,"axG",@progbits,_ZN7rocprim17ROCPRIM_400000_NS6detail17trampoline_kernelINS0_14default_configENS1_20scan_config_selectorIxEEZZNS1_9scan_implILNS1_25lookback_scan_determinismE0ELb0ELb1ES3_N6thrust23THRUST_200600_302600_NS6detail15normal_iteratorINS9_10device_ptrIxEEEESE_xNS9_4plusIxEExEEDaPvRmT3_T4_T5_mT6_P12ihipStream_tbENKUlT_T0_E_clISt17integral_constantIbLb1EESU_EEDaSP_SQ_EUlSP_E_NS1_11comp_targetILNS1_3genE10ELNS1_11target_archE1200ELNS1_3gpuE4ELNS1_3repE0EEENS1_30default_config_static_selectorELNS0_4arch9wavefront6targetE1EEEvT1_,comdat
	.protected	_ZN7rocprim17ROCPRIM_400000_NS6detail17trampoline_kernelINS0_14default_configENS1_20scan_config_selectorIxEEZZNS1_9scan_implILNS1_25lookback_scan_determinismE0ELb0ELb1ES3_N6thrust23THRUST_200600_302600_NS6detail15normal_iteratorINS9_10device_ptrIxEEEESE_xNS9_4plusIxEExEEDaPvRmT3_T4_T5_mT6_P12ihipStream_tbENKUlT_T0_E_clISt17integral_constantIbLb1EESU_EEDaSP_SQ_EUlSP_E_NS1_11comp_targetILNS1_3genE10ELNS1_11target_archE1200ELNS1_3gpuE4ELNS1_3repE0EEENS1_30default_config_static_selectorELNS0_4arch9wavefront6targetE1EEEvT1_ ; -- Begin function _ZN7rocprim17ROCPRIM_400000_NS6detail17trampoline_kernelINS0_14default_configENS1_20scan_config_selectorIxEEZZNS1_9scan_implILNS1_25lookback_scan_determinismE0ELb0ELb1ES3_N6thrust23THRUST_200600_302600_NS6detail15normal_iteratorINS9_10device_ptrIxEEEESE_xNS9_4plusIxEExEEDaPvRmT3_T4_T5_mT6_P12ihipStream_tbENKUlT_T0_E_clISt17integral_constantIbLb1EESU_EEDaSP_SQ_EUlSP_E_NS1_11comp_targetILNS1_3genE10ELNS1_11target_archE1200ELNS1_3gpuE4ELNS1_3repE0EEENS1_30default_config_static_selectorELNS0_4arch9wavefront6targetE1EEEvT1_
	.globl	_ZN7rocprim17ROCPRIM_400000_NS6detail17trampoline_kernelINS0_14default_configENS1_20scan_config_selectorIxEEZZNS1_9scan_implILNS1_25lookback_scan_determinismE0ELb0ELb1ES3_N6thrust23THRUST_200600_302600_NS6detail15normal_iteratorINS9_10device_ptrIxEEEESE_xNS9_4plusIxEExEEDaPvRmT3_T4_T5_mT6_P12ihipStream_tbENKUlT_T0_E_clISt17integral_constantIbLb1EESU_EEDaSP_SQ_EUlSP_E_NS1_11comp_targetILNS1_3genE10ELNS1_11target_archE1200ELNS1_3gpuE4ELNS1_3repE0EEENS1_30default_config_static_selectorELNS0_4arch9wavefront6targetE1EEEvT1_
	.p2align	8
	.type	_ZN7rocprim17ROCPRIM_400000_NS6detail17trampoline_kernelINS0_14default_configENS1_20scan_config_selectorIxEEZZNS1_9scan_implILNS1_25lookback_scan_determinismE0ELb0ELb1ES3_N6thrust23THRUST_200600_302600_NS6detail15normal_iteratorINS9_10device_ptrIxEEEESE_xNS9_4plusIxEExEEDaPvRmT3_T4_T5_mT6_P12ihipStream_tbENKUlT_T0_E_clISt17integral_constantIbLb1EESU_EEDaSP_SQ_EUlSP_E_NS1_11comp_targetILNS1_3genE10ELNS1_11target_archE1200ELNS1_3gpuE4ELNS1_3repE0EEENS1_30default_config_static_selectorELNS0_4arch9wavefront6targetE1EEEvT1_,@function
_ZN7rocprim17ROCPRIM_400000_NS6detail17trampoline_kernelINS0_14default_configENS1_20scan_config_selectorIxEEZZNS1_9scan_implILNS1_25lookback_scan_determinismE0ELb0ELb1ES3_N6thrust23THRUST_200600_302600_NS6detail15normal_iteratorINS9_10device_ptrIxEEEESE_xNS9_4plusIxEExEEDaPvRmT3_T4_T5_mT6_P12ihipStream_tbENKUlT_T0_E_clISt17integral_constantIbLb1EESU_EEDaSP_SQ_EUlSP_E_NS1_11comp_targetILNS1_3genE10ELNS1_11target_archE1200ELNS1_3gpuE4ELNS1_3repE0EEENS1_30default_config_static_selectorELNS0_4arch9wavefront6targetE1EEEvT1_: ; @_ZN7rocprim17ROCPRIM_400000_NS6detail17trampoline_kernelINS0_14default_configENS1_20scan_config_selectorIxEEZZNS1_9scan_implILNS1_25lookback_scan_determinismE0ELb0ELb1ES3_N6thrust23THRUST_200600_302600_NS6detail15normal_iteratorINS9_10device_ptrIxEEEESE_xNS9_4plusIxEExEEDaPvRmT3_T4_T5_mT6_P12ihipStream_tbENKUlT_T0_E_clISt17integral_constantIbLb1EESU_EEDaSP_SQ_EUlSP_E_NS1_11comp_targetILNS1_3genE10ELNS1_11target_archE1200ELNS1_3gpuE4ELNS1_3repE0EEENS1_30default_config_static_selectorELNS0_4arch9wavefront6targetE1EEEvT1_
; %bb.0:
	.section	.rodata,"a",@progbits
	.p2align	6, 0x0
	.amdhsa_kernel _ZN7rocprim17ROCPRIM_400000_NS6detail17trampoline_kernelINS0_14default_configENS1_20scan_config_selectorIxEEZZNS1_9scan_implILNS1_25lookback_scan_determinismE0ELb0ELb1ES3_N6thrust23THRUST_200600_302600_NS6detail15normal_iteratorINS9_10device_ptrIxEEEESE_xNS9_4plusIxEExEEDaPvRmT3_T4_T5_mT6_P12ihipStream_tbENKUlT_T0_E_clISt17integral_constantIbLb1EESU_EEDaSP_SQ_EUlSP_E_NS1_11comp_targetILNS1_3genE10ELNS1_11target_archE1200ELNS1_3gpuE4ELNS1_3repE0EEENS1_30default_config_static_selectorELNS0_4arch9wavefront6targetE1EEEvT1_
		.amdhsa_group_segment_fixed_size 0
		.amdhsa_private_segment_fixed_size 0
		.amdhsa_kernarg_size 104
		.amdhsa_user_sgpr_count 6
		.amdhsa_user_sgpr_private_segment_buffer 1
		.amdhsa_user_sgpr_dispatch_ptr 0
		.amdhsa_user_sgpr_queue_ptr 0
		.amdhsa_user_sgpr_kernarg_segment_ptr 1
		.amdhsa_user_sgpr_dispatch_id 0
		.amdhsa_user_sgpr_flat_scratch_init 0
		.amdhsa_user_sgpr_kernarg_preload_length 0
		.amdhsa_user_sgpr_kernarg_preload_offset 0
		.amdhsa_user_sgpr_private_segment_size 0
		.amdhsa_uses_dynamic_stack 0
		.amdhsa_system_sgpr_private_segment_wavefront_offset 0
		.amdhsa_system_sgpr_workgroup_id_x 1
		.amdhsa_system_sgpr_workgroup_id_y 0
		.amdhsa_system_sgpr_workgroup_id_z 0
		.amdhsa_system_sgpr_workgroup_info 0
		.amdhsa_system_vgpr_workitem_id 0
		.amdhsa_next_free_vgpr 1
		.amdhsa_next_free_sgpr 0
		.amdhsa_accum_offset 4
		.amdhsa_reserve_vcc 0
		.amdhsa_reserve_flat_scratch 0
		.amdhsa_float_round_mode_32 0
		.amdhsa_float_round_mode_16_64 0
		.amdhsa_float_denorm_mode_32 3
		.amdhsa_float_denorm_mode_16_64 3
		.amdhsa_dx10_clamp 1
		.amdhsa_ieee_mode 1
		.amdhsa_fp16_overflow 0
		.amdhsa_tg_split 0
		.amdhsa_exception_fp_ieee_invalid_op 0
		.amdhsa_exception_fp_denorm_src 0
		.amdhsa_exception_fp_ieee_div_zero 0
		.amdhsa_exception_fp_ieee_overflow 0
		.amdhsa_exception_fp_ieee_underflow 0
		.amdhsa_exception_fp_ieee_inexact 0
		.amdhsa_exception_int_div_zero 0
	.end_amdhsa_kernel
	.section	.text._ZN7rocprim17ROCPRIM_400000_NS6detail17trampoline_kernelINS0_14default_configENS1_20scan_config_selectorIxEEZZNS1_9scan_implILNS1_25lookback_scan_determinismE0ELb0ELb1ES3_N6thrust23THRUST_200600_302600_NS6detail15normal_iteratorINS9_10device_ptrIxEEEESE_xNS9_4plusIxEExEEDaPvRmT3_T4_T5_mT6_P12ihipStream_tbENKUlT_T0_E_clISt17integral_constantIbLb1EESU_EEDaSP_SQ_EUlSP_E_NS1_11comp_targetILNS1_3genE10ELNS1_11target_archE1200ELNS1_3gpuE4ELNS1_3repE0EEENS1_30default_config_static_selectorELNS0_4arch9wavefront6targetE1EEEvT1_,"axG",@progbits,_ZN7rocprim17ROCPRIM_400000_NS6detail17trampoline_kernelINS0_14default_configENS1_20scan_config_selectorIxEEZZNS1_9scan_implILNS1_25lookback_scan_determinismE0ELb0ELb1ES3_N6thrust23THRUST_200600_302600_NS6detail15normal_iteratorINS9_10device_ptrIxEEEESE_xNS9_4plusIxEExEEDaPvRmT3_T4_T5_mT6_P12ihipStream_tbENKUlT_T0_E_clISt17integral_constantIbLb1EESU_EEDaSP_SQ_EUlSP_E_NS1_11comp_targetILNS1_3genE10ELNS1_11target_archE1200ELNS1_3gpuE4ELNS1_3repE0EEENS1_30default_config_static_selectorELNS0_4arch9wavefront6targetE1EEEvT1_,comdat
.Lfunc_end438:
	.size	_ZN7rocprim17ROCPRIM_400000_NS6detail17trampoline_kernelINS0_14default_configENS1_20scan_config_selectorIxEEZZNS1_9scan_implILNS1_25lookback_scan_determinismE0ELb0ELb1ES3_N6thrust23THRUST_200600_302600_NS6detail15normal_iteratorINS9_10device_ptrIxEEEESE_xNS9_4plusIxEExEEDaPvRmT3_T4_T5_mT6_P12ihipStream_tbENKUlT_T0_E_clISt17integral_constantIbLb1EESU_EEDaSP_SQ_EUlSP_E_NS1_11comp_targetILNS1_3genE10ELNS1_11target_archE1200ELNS1_3gpuE4ELNS1_3repE0EEENS1_30default_config_static_selectorELNS0_4arch9wavefront6targetE1EEEvT1_, .Lfunc_end438-_ZN7rocprim17ROCPRIM_400000_NS6detail17trampoline_kernelINS0_14default_configENS1_20scan_config_selectorIxEEZZNS1_9scan_implILNS1_25lookback_scan_determinismE0ELb0ELb1ES3_N6thrust23THRUST_200600_302600_NS6detail15normal_iteratorINS9_10device_ptrIxEEEESE_xNS9_4plusIxEExEEDaPvRmT3_T4_T5_mT6_P12ihipStream_tbENKUlT_T0_E_clISt17integral_constantIbLb1EESU_EEDaSP_SQ_EUlSP_E_NS1_11comp_targetILNS1_3genE10ELNS1_11target_archE1200ELNS1_3gpuE4ELNS1_3repE0EEENS1_30default_config_static_selectorELNS0_4arch9wavefront6targetE1EEEvT1_
                                        ; -- End function
	.section	.AMDGPU.csdata,"",@progbits
; Kernel info:
; codeLenInByte = 0
; NumSgprs: 4
; NumVgprs: 0
; NumAgprs: 0
; TotalNumVgprs: 0
; ScratchSize: 0
; MemoryBound: 0
; FloatMode: 240
; IeeeMode: 1
; LDSByteSize: 0 bytes/workgroup (compile time only)
; SGPRBlocks: 0
; VGPRBlocks: 0
; NumSGPRsForWavesPerEU: 4
; NumVGPRsForWavesPerEU: 1
; AccumOffset: 4
; Occupancy: 8
; WaveLimiterHint : 0
; COMPUTE_PGM_RSRC2:SCRATCH_EN: 0
; COMPUTE_PGM_RSRC2:USER_SGPR: 6
; COMPUTE_PGM_RSRC2:TRAP_HANDLER: 0
; COMPUTE_PGM_RSRC2:TGID_X_EN: 1
; COMPUTE_PGM_RSRC2:TGID_Y_EN: 0
; COMPUTE_PGM_RSRC2:TGID_Z_EN: 0
; COMPUTE_PGM_RSRC2:TIDIG_COMP_CNT: 0
; COMPUTE_PGM_RSRC3_GFX90A:ACCUM_OFFSET: 0
; COMPUTE_PGM_RSRC3_GFX90A:TG_SPLIT: 0
	.section	.text._ZN7rocprim17ROCPRIM_400000_NS6detail17trampoline_kernelINS0_14default_configENS1_20scan_config_selectorIxEEZZNS1_9scan_implILNS1_25lookback_scan_determinismE0ELb0ELb1ES3_N6thrust23THRUST_200600_302600_NS6detail15normal_iteratorINS9_10device_ptrIxEEEESE_xNS9_4plusIxEExEEDaPvRmT3_T4_T5_mT6_P12ihipStream_tbENKUlT_T0_E_clISt17integral_constantIbLb1EESU_EEDaSP_SQ_EUlSP_E_NS1_11comp_targetILNS1_3genE9ELNS1_11target_archE1100ELNS1_3gpuE3ELNS1_3repE0EEENS1_30default_config_static_selectorELNS0_4arch9wavefront6targetE1EEEvT1_,"axG",@progbits,_ZN7rocprim17ROCPRIM_400000_NS6detail17trampoline_kernelINS0_14default_configENS1_20scan_config_selectorIxEEZZNS1_9scan_implILNS1_25lookback_scan_determinismE0ELb0ELb1ES3_N6thrust23THRUST_200600_302600_NS6detail15normal_iteratorINS9_10device_ptrIxEEEESE_xNS9_4plusIxEExEEDaPvRmT3_T4_T5_mT6_P12ihipStream_tbENKUlT_T0_E_clISt17integral_constantIbLb1EESU_EEDaSP_SQ_EUlSP_E_NS1_11comp_targetILNS1_3genE9ELNS1_11target_archE1100ELNS1_3gpuE3ELNS1_3repE0EEENS1_30default_config_static_selectorELNS0_4arch9wavefront6targetE1EEEvT1_,comdat
	.protected	_ZN7rocprim17ROCPRIM_400000_NS6detail17trampoline_kernelINS0_14default_configENS1_20scan_config_selectorIxEEZZNS1_9scan_implILNS1_25lookback_scan_determinismE0ELb0ELb1ES3_N6thrust23THRUST_200600_302600_NS6detail15normal_iteratorINS9_10device_ptrIxEEEESE_xNS9_4plusIxEExEEDaPvRmT3_T4_T5_mT6_P12ihipStream_tbENKUlT_T0_E_clISt17integral_constantIbLb1EESU_EEDaSP_SQ_EUlSP_E_NS1_11comp_targetILNS1_3genE9ELNS1_11target_archE1100ELNS1_3gpuE3ELNS1_3repE0EEENS1_30default_config_static_selectorELNS0_4arch9wavefront6targetE1EEEvT1_ ; -- Begin function _ZN7rocprim17ROCPRIM_400000_NS6detail17trampoline_kernelINS0_14default_configENS1_20scan_config_selectorIxEEZZNS1_9scan_implILNS1_25lookback_scan_determinismE0ELb0ELb1ES3_N6thrust23THRUST_200600_302600_NS6detail15normal_iteratorINS9_10device_ptrIxEEEESE_xNS9_4plusIxEExEEDaPvRmT3_T4_T5_mT6_P12ihipStream_tbENKUlT_T0_E_clISt17integral_constantIbLb1EESU_EEDaSP_SQ_EUlSP_E_NS1_11comp_targetILNS1_3genE9ELNS1_11target_archE1100ELNS1_3gpuE3ELNS1_3repE0EEENS1_30default_config_static_selectorELNS0_4arch9wavefront6targetE1EEEvT1_
	.globl	_ZN7rocprim17ROCPRIM_400000_NS6detail17trampoline_kernelINS0_14default_configENS1_20scan_config_selectorIxEEZZNS1_9scan_implILNS1_25lookback_scan_determinismE0ELb0ELb1ES3_N6thrust23THRUST_200600_302600_NS6detail15normal_iteratorINS9_10device_ptrIxEEEESE_xNS9_4plusIxEExEEDaPvRmT3_T4_T5_mT6_P12ihipStream_tbENKUlT_T0_E_clISt17integral_constantIbLb1EESU_EEDaSP_SQ_EUlSP_E_NS1_11comp_targetILNS1_3genE9ELNS1_11target_archE1100ELNS1_3gpuE3ELNS1_3repE0EEENS1_30default_config_static_selectorELNS0_4arch9wavefront6targetE1EEEvT1_
	.p2align	8
	.type	_ZN7rocprim17ROCPRIM_400000_NS6detail17trampoline_kernelINS0_14default_configENS1_20scan_config_selectorIxEEZZNS1_9scan_implILNS1_25lookback_scan_determinismE0ELb0ELb1ES3_N6thrust23THRUST_200600_302600_NS6detail15normal_iteratorINS9_10device_ptrIxEEEESE_xNS9_4plusIxEExEEDaPvRmT3_T4_T5_mT6_P12ihipStream_tbENKUlT_T0_E_clISt17integral_constantIbLb1EESU_EEDaSP_SQ_EUlSP_E_NS1_11comp_targetILNS1_3genE9ELNS1_11target_archE1100ELNS1_3gpuE3ELNS1_3repE0EEENS1_30default_config_static_selectorELNS0_4arch9wavefront6targetE1EEEvT1_,@function
_ZN7rocprim17ROCPRIM_400000_NS6detail17trampoline_kernelINS0_14default_configENS1_20scan_config_selectorIxEEZZNS1_9scan_implILNS1_25lookback_scan_determinismE0ELb0ELb1ES3_N6thrust23THRUST_200600_302600_NS6detail15normal_iteratorINS9_10device_ptrIxEEEESE_xNS9_4plusIxEExEEDaPvRmT3_T4_T5_mT6_P12ihipStream_tbENKUlT_T0_E_clISt17integral_constantIbLb1EESU_EEDaSP_SQ_EUlSP_E_NS1_11comp_targetILNS1_3genE9ELNS1_11target_archE1100ELNS1_3gpuE3ELNS1_3repE0EEENS1_30default_config_static_selectorELNS0_4arch9wavefront6targetE1EEEvT1_: ; @_ZN7rocprim17ROCPRIM_400000_NS6detail17trampoline_kernelINS0_14default_configENS1_20scan_config_selectorIxEEZZNS1_9scan_implILNS1_25lookback_scan_determinismE0ELb0ELb1ES3_N6thrust23THRUST_200600_302600_NS6detail15normal_iteratorINS9_10device_ptrIxEEEESE_xNS9_4plusIxEExEEDaPvRmT3_T4_T5_mT6_P12ihipStream_tbENKUlT_T0_E_clISt17integral_constantIbLb1EESU_EEDaSP_SQ_EUlSP_E_NS1_11comp_targetILNS1_3genE9ELNS1_11target_archE1100ELNS1_3gpuE3ELNS1_3repE0EEENS1_30default_config_static_selectorELNS0_4arch9wavefront6targetE1EEEvT1_
; %bb.0:
	.section	.rodata,"a",@progbits
	.p2align	6, 0x0
	.amdhsa_kernel _ZN7rocprim17ROCPRIM_400000_NS6detail17trampoline_kernelINS0_14default_configENS1_20scan_config_selectorIxEEZZNS1_9scan_implILNS1_25lookback_scan_determinismE0ELb0ELb1ES3_N6thrust23THRUST_200600_302600_NS6detail15normal_iteratorINS9_10device_ptrIxEEEESE_xNS9_4plusIxEExEEDaPvRmT3_T4_T5_mT6_P12ihipStream_tbENKUlT_T0_E_clISt17integral_constantIbLb1EESU_EEDaSP_SQ_EUlSP_E_NS1_11comp_targetILNS1_3genE9ELNS1_11target_archE1100ELNS1_3gpuE3ELNS1_3repE0EEENS1_30default_config_static_selectorELNS0_4arch9wavefront6targetE1EEEvT1_
		.amdhsa_group_segment_fixed_size 0
		.amdhsa_private_segment_fixed_size 0
		.amdhsa_kernarg_size 104
		.amdhsa_user_sgpr_count 6
		.amdhsa_user_sgpr_private_segment_buffer 1
		.amdhsa_user_sgpr_dispatch_ptr 0
		.amdhsa_user_sgpr_queue_ptr 0
		.amdhsa_user_sgpr_kernarg_segment_ptr 1
		.amdhsa_user_sgpr_dispatch_id 0
		.amdhsa_user_sgpr_flat_scratch_init 0
		.amdhsa_user_sgpr_kernarg_preload_length 0
		.amdhsa_user_sgpr_kernarg_preload_offset 0
		.amdhsa_user_sgpr_private_segment_size 0
		.amdhsa_uses_dynamic_stack 0
		.amdhsa_system_sgpr_private_segment_wavefront_offset 0
		.amdhsa_system_sgpr_workgroup_id_x 1
		.amdhsa_system_sgpr_workgroup_id_y 0
		.amdhsa_system_sgpr_workgroup_id_z 0
		.amdhsa_system_sgpr_workgroup_info 0
		.amdhsa_system_vgpr_workitem_id 0
		.amdhsa_next_free_vgpr 1
		.amdhsa_next_free_sgpr 0
		.amdhsa_accum_offset 4
		.amdhsa_reserve_vcc 0
		.amdhsa_reserve_flat_scratch 0
		.amdhsa_float_round_mode_32 0
		.amdhsa_float_round_mode_16_64 0
		.amdhsa_float_denorm_mode_32 3
		.amdhsa_float_denorm_mode_16_64 3
		.amdhsa_dx10_clamp 1
		.amdhsa_ieee_mode 1
		.amdhsa_fp16_overflow 0
		.amdhsa_tg_split 0
		.amdhsa_exception_fp_ieee_invalid_op 0
		.amdhsa_exception_fp_denorm_src 0
		.amdhsa_exception_fp_ieee_div_zero 0
		.amdhsa_exception_fp_ieee_overflow 0
		.amdhsa_exception_fp_ieee_underflow 0
		.amdhsa_exception_fp_ieee_inexact 0
		.amdhsa_exception_int_div_zero 0
	.end_amdhsa_kernel
	.section	.text._ZN7rocprim17ROCPRIM_400000_NS6detail17trampoline_kernelINS0_14default_configENS1_20scan_config_selectorIxEEZZNS1_9scan_implILNS1_25lookback_scan_determinismE0ELb0ELb1ES3_N6thrust23THRUST_200600_302600_NS6detail15normal_iteratorINS9_10device_ptrIxEEEESE_xNS9_4plusIxEExEEDaPvRmT3_T4_T5_mT6_P12ihipStream_tbENKUlT_T0_E_clISt17integral_constantIbLb1EESU_EEDaSP_SQ_EUlSP_E_NS1_11comp_targetILNS1_3genE9ELNS1_11target_archE1100ELNS1_3gpuE3ELNS1_3repE0EEENS1_30default_config_static_selectorELNS0_4arch9wavefront6targetE1EEEvT1_,"axG",@progbits,_ZN7rocprim17ROCPRIM_400000_NS6detail17trampoline_kernelINS0_14default_configENS1_20scan_config_selectorIxEEZZNS1_9scan_implILNS1_25lookback_scan_determinismE0ELb0ELb1ES3_N6thrust23THRUST_200600_302600_NS6detail15normal_iteratorINS9_10device_ptrIxEEEESE_xNS9_4plusIxEExEEDaPvRmT3_T4_T5_mT6_P12ihipStream_tbENKUlT_T0_E_clISt17integral_constantIbLb1EESU_EEDaSP_SQ_EUlSP_E_NS1_11comp_targetILNS1_3genE9ELNS1_11target_archE1100ELNS1_3gpuE3ELNS1_3repE0EEENS1_30default_config_static_selectorELNS0_4arch9wavefront6targetE1EEEvT1_,comdat
.Lfunc_end439:
	.size	_ZN7rocprim17ROCPRIM_400000_NS6detail17trampoline_kernelINS0_14default_configENS1_20scan_config_selectorIxEEZZNS1_9scan_implILNS1_25lookback_scan_determinismE0ELb0ELb1ES3_N6thrust23THRUST_200600_302600_NS6detail15normal_iteratorINS9_10device_ptrIxEEEESE_xNS9_4plusIxEExEEDaPvRmT3_T4_T5_mT6_P12ihipStream_tbENKUlT_T0_E_clISt17integral_constantIbLb1EESU_EEDaSP_SQ_EUlSP_E_NS1_11comp_targetILNS1_3genE9ELNS1_11target_archE1100ELNS1_3gpuE3ELNS1_3repE0EEENS1_30default_config_static_selectorELNS0_4arch9wavefront6targetE1EEEvT1_, .Lfunc_end439-_ZN7rocprim17ROCPRIM_400000_NS6detail17trampoline_kernelINS0_14default_configENS1_20scan_config_selectorIxEEZZNS1_9scan_implILNS1_25lookback_scan_determinismE0ELb0ELb1ES3_N6thrust23THRUST_200600_302600_NS6detail15normal_iteratorINS9_10device_ptrIxEEEESE_xNS9_4plusIxEExEEDaPvRmT3_T4_T5_mT6_P12ihipStream_tbENKUlT_T0_E_clISt17integral_constantIbLb1EESU_EEDaSP_SQ_EUlSP_E_NS1_11comp_targetILNS1_3genE9ELNS1_11target_archE1100ELNS1_3gpuE3ELNS1_3repE0EEENS1_30default_config_static_selectorELNS0_4arch9wavefront6targetE1EEEvT1_
                                        ; -- End function
	.section	.AMDGPU.csdata,"",@progbits
; Kernel info:
; codeLenInByte = 0
; NumSgprs: 4
; NumVgprs: 0
; NumAgprs: 0
; TotalNumVgprs: 0
; ScratchSize: 0
; MemoryBound: 0
; FloatMode: 240
; IeeeMode: 1
; LDSByteSize: 0 bytes/workgroup (compile time only)
; SGPRBlocks: 0
; VGPRBlocks: 0
; NumSGPRsForWavesPerEU: 4
; NumVGPRsForWavesPerEU: 1
; AccumOffset: 4
; Occupancy: 8
; WaveLimiterHint : 0
; COMPUTE_PGM_RSRC2:SCRATCH_EN: 0
; COMPUTE_PGM_RSRC2:USER_SGPR: 6
; COMPUTE_PGM_RSRC2:TRAP_HANDLER: 0
; COMPUTE_PGM_RSRC2:TGID_X_EN: 1
; COMPUTE_PGM_RSRC2:TGID_Y_EN: 0
; COMPUTE_PGM_RSRC2:TGID_Z_EN: 0
; COMPUTE_PGM_RSRC2:TIDIG_COMP_CNT: 0
; COMPUTE_PGM_RSRC3_GFX90A:ACCUM_OFFSET: 0
; COMPUTE_PGM_RSRC3_GFX90A:TG_SPLIT: 0
	.section	.text._ZN7rocprim17ROCPRIM_400000_NS6detail17trampoline_kernelINS0_14default_configENS1_20scan_config_selectorIxEEZZNS1_9scan_implILNS1_25lookback_scan_determinismE0ELb0ELb1ES3_N6thrust23THRUST_200600_302600_NS6detail15normal_iteratorINS9_10device_ptrIxEEEESE_xNS9_4plusIxEExEEDaPvRmT3_T4_T5_mT6_P12ihipStream_tbENKUlT_T0_E_clISt17integral_constantIbLb1EESU_EEDaSP_SQ_EUlSP_E_NS1_11comp_targetILNS1_3genE8ELNS1_11target_archE1030ELNS1_3gpuE2ELNS1_3repE0EEENS1_30default_config_static_selectorELNS0_4arch9wavefront6targetE1EEEvT1_,"axG",@progbits,_ZN7rocprim17ROCPRIM_400000_NS6detail17trampoline_kernelINS0_14default_configENS1_20scan_config_selectorIxEEZZNS1_9scan_implILNS1_25lookback_scan_determinismE0ELb0ELb1ES3_N6thrust23THRUST_200600_302600_NS6detail15normal_iteratorINS9_10device_ptrIxEEEESE_xNS9_4plusIxEExEEDaPvRmT3_T4_T5_mT6_P12ihipStream_tbENKUlT_T0_E_clISt17integral_constantIbLb1EESU_EEDaSP_SQ_EUlSP_E_NS1_11comp_targetILNS1_3genE8ELNS1_11target_archE1030ELNS1_3gpuE2ELNS1_3repE0EEENS1_30default_config_static_selectorELNS0_4arch9wavefront6targetE1EEEvT1_,comdat
	.protected	_ZN7rocprim17ROCPRIM_400000_NS6detail17trampoline_kernelINS0_14default_configENS1_20scan_config_selectorIxEEZZNS1_9scan_implILNS1_25lookback_scan_determinismE0ELb0ELb1ES3_N6thrust23THRUST_200600_302600_NS6detail15normal_iteratorINS9_10device_ptrIxEEEESE_xNS9_4plusIxEExEEDaPvRmT3_T4_T5_mT6_P12ihipStream_tbENKUlT_T0_E_clISt17integral_constantIbLb1EESU_EEDaSP_SQ_EUlSP_E_NS1_11comp_targetILNS1_3genE8ELNS1_11target_archE1030ELNS1_3gpuE2ELNS1_3repE0EEENS1_30default_config_static_selectorELNS0_4arch9wavefront6targetE1EEEvT1_ ; -- Begin function _ZN7rocprim17ROCPRIM_400000_NS6detail17trampoline_kernelINS0_14default_configENS1_20scan_config_selectorIxEEZZNS1_9scan_implILNS1_25lookback_scan_determinismE0ELb0ELb1ES3_N6thrust23THRUST_200600_302600_NS6detail15normal_iteratorINS9_10device_ptrIxEEEESE_xNS9_4plusIxEExEEDaPvRmT3_T4_T5_mT6_P12ihipStream_tbENKUlT_T0_E_clISt17integral_constantIbLb1EESU_EEDaSP_SQ_EUlSP_E_NS1_11comp_targetILNS1_3genE8ELNS1_11target_archE1030ELNS1_3gpuE2ELNS1_3repE0EEENS1_30default_config_static_selectorELNS0_4arch9wavefront6targetE1EEEvT1_
	.globl	_ZN7rocprim17ROCPRIM_400000_NS6detail17trampoline_kernelINS0_14default_configENS1_20scan_config_selectorIxEEZZNS1_9scan_implILNS1_25lookback_scan_determinismE0ELb0ELb1ES3_N6thrust23THRUST_200600_302600_NS6detail15normal_iteratorINS9_10device_ptrIxEEEESE_xNS9_4plusIxEExEEDaPvRmT3_T4_T5_mT6_P12ihipStream_tbENKUlT_T0_E_clISt17integral_constantIbLb1EESU_EEDaSP_SQ_EUlSP_E_NS1_11comp_targetILNS1_3genE8ELNS1_11target_archE1030ELNS1_3gpuE2ELNS1_3repE0EEENS1_30default_config_static_selectorELNS0_4arch9wavefront6targetE1EEEvT1_
	.p2align	8
	.type	_ZN7rocprim17ROCPRIM_400000_NS6detail17trampoline_kernelINS0_14default_configENS1_20scan_config_selectorIxEEZZNS1_9scan_implILNS1_25lookback_scan_determinismE0ELb0ELb1ES3_N6thrust23THRUST_200600_302600_NS6detail15normal_iteratorINS9_10device_ptrIxEEEESE_xNS9_4plusIxEExEEDaPvRmT3_T4_T5_mT6_P12ihipStream_tbENKUlT_T0_E_clISt17integral_constantIbLb1EESU_EEDaSP_SQ_EUlSP_E_NS1_11comp_targetILNS1_3genE8ELNS1_11target_archE1030ELNS1_3gpuE2ELNS1_3repE0EEENS1_30default_config_static_selectorELNS0_4arch9wavefront6targetE1EEEvT1_,@function
_ZN7rocprim17ROCPRIM_400000_NS6detail17trampoline_kernelINS0_14default_configENS1_20scan_config_selectorIxEEZZNS1_9scan_implILNS1_25lookback_scan_determinismE0ELb0ELb1ES3_N6thrust23THRUST_200600_302600_NS6detail15normal_iteratorINS9_10device_ptrIxEEEESE_xNS9_4plusIxEExEEDaPvRmT3_T4_T5_mT6_P12ihipStream_tbENKUlT_T0_E_clISt17integral_constantIbLb1EESU_EEDaSP_SQ_EUlSP_E_NS1_11comp_targetILNS1_3genE8ELNS1_11target_archE1030ELNS1_3gpuE2ELNS1_3repE0EEENS1_30default_config_static_selectorELNS0_4arch9wavefront6targetE1EEEvT1_: ; @_ZN7rocprim17ROCPRIM_400000_NS6detail17trampoline_kernelINS0_14default_configENS1_20scan_config_selectorIxEEZZNS1_9scan_implILNS1_25lookback_scan_determinismE0ELb0ELb1ES3_N6thrust23THRUST_200600_302600_NS6detail15normal_iteratorINS9_10device_ptrIxEEEESE_xNS9_4plusIxEExEEDaPvRmT3_T4_T5_mT6_P12ihipStream_tbENKUlT_T0_E_clISt17integral_constantIbLb1EESU_EEDaSP_SQ_EUlSP_E_NS1_11comp_targetILNS1_3genE8ELNS1_11target_archE1030ELNS1_3gpuE2ELNS1_3repE0EEENS1_30default_config_static_selectorELNS0_4arch9wavefront6targetE1EEEvT1_
; %bb.0:
	.section	.rodata,"a",@progbits
	.p2align	6, 0x0
	.amdhsa_kernel _ZN7rocprim17ROCPRIM_400000_NS6detail17trampoline_kernelINS0_14default_configENS1_20scan_config_selectorIxEEZZNS1_9scan_implILNS1_25lookback_scan_determinismE0ELb0ELb1ES3_N6thrust23THRUST_200600_302600_NS6detail15normal_iteratorINS9_10device_ptrIxEEEESE_xNS9_4plusIxEExEEDaPvRmT3_T4_T5_mT6_P12ihipStream_tbENKUlT_T0_E_clISt17integral_constantIbLb1EESU_EEDaSP_SQ_EUlSP_E_NS1_11comp_targetILNS1_3genE8ELNS1_11target_archE1030ELNS1_3gpuE2ELNS1_3repE0EEENS1_30default_config_static_selectorELNS0_4arch9wavefront6targetE1EEEvT1_
		.amdhsa_group_segment_fixed_size 0
		.amdhsa_private_segment_fixed_size 0
		.amdhsa_kernarg_size 104
		.amdhsa_user_sgpr_count 6
		.amdhsa_user_sgpr_private_segment_buffer 1
		.amdhsa_user_sgpr_dispatch_ptr 0
		.amdhsa_user_sgpr_queue_ptr 0
		.amdhsa_user_sgpr_kernarg_segment_ptr 1
		.amdhsa_user_sgpr_dispatch_id 0
		.amdhsa_user_sgpr_flat_scratch_init 0
		.amdhsa_user_sgpr_kernarg_preload_length 0
		.amdhsa_user_sgpr_kernarg_preload_offset 0
		.amdhsa_user_sgpr_private_segment_size 0
		.amdhsa_uses_dynamic_stack 0
		.amdhsa_system_sgpr_private_segment_wavefront_offset 0
		.amdhsa_system_sgpr_workgroup_id_x 1
		.amdhsa_system_sgpr_workgroup_id_y 0
		.amdhsa_system_sgpr_workgroup_id_z 0
		.amdhsa_system_sgpr_workgroup_info 0
		.amdhsa_system_vgpr_workitem_id 0
		.amdhsa_next_free_vgpr 1
		.amdhsa_next_free_sgpr 0
		.amdhsa_accum_offset 4
		.amdhsa_reserve_vcc 0
		.amdhsa_reserve_flat_scratch 0
		.amdhsa_float_round_mode_32 0
		.amdhsa_float_round_mode_16_64 0
		.amdhsa_float_denorm_mode_32 3
		.amdhsa_float_denorm_mode_16_64 3
		.amdhsa_dx10_clamp 1
		.amdhsa_ieee_mode 1
		.amdhsa_fp16_overflow 0
		.amdhsa_tg_split 0
		.amdhsa_exception_fp_ieee_invalid_op 0
		.amdhsa_exception_fp_denorm_src 0
		.amdhsa_exception_fp_ieee_div_zero 0
		.amdhsa_exception_fp_ieee_overflow 0
		.amdhsa_exception_fp_ieee_underflow 0
		.amdhsa_exception_fp_ieee_inexact 0
		.amdhsa_exception_int_div_zero 0
	.end_amdhsa_kernel
	.section	.text._ZN7rocprim17ROCPRIM_400000_NS6detail17trampoline_kernelINS0_14default_configENS1_20scan_config_selectorIxEEZZNS1_9scan_implILNS1_25lookback_scan_determinismE0ELb0ELb1ES3_N6thrust23THRUST_200600_302600_NS6detail15normal_iteratorINS9_10device_ptrIxEEEESE_xNS9_4plusIxEExEEDaPvRmT3_T4_T5_mT6_P12ihipStream_tbENKUlT_T0_E_clISt17integral_constantIbLb1EESU_EEDaSP_SQ_EUlSP_E_NS1_11comp_targetILNS1_3genE8ELNS1_11target_archE1030ELNS1_3gpuE2ELNS1_3repE0EEENS1_30default_config_static_selectorELNS0_4arch9wavefront6targetE1EEEvT1_,"axG",@progbits,_ZN7rocprim17ROCPRIM_400000_NS6detail17trampoline_kernelINS0_14default_configENS1_20scan_config_selectorIxEEZZNS1_9scan_implILNS1_25lookback_scan_determinismE0ELb0ELb1ES3_N6thrust23THRUST_200600_302600_NS6detail15normal_iteratorINS9_10device_ptrIxEEEESE_xNS9_4plusIxEExEEDaPvRmT3_T4_T5_mT6_P12ihipStream_tbENKUlT_T0_E_clISt17integral_constantIbLb1EESU_EEDaSP_SQ_EUlSP_E_NS1_11comp_targetILNS1_3genE8ELNS1_11target_archE1030ELNS1_3gpuE2ELNS1_3repE0EEENS1_30default_config_static_selectorELNS0_4arch9wavefront6targetE1EEEvT1_,comdat
.Lfunc_end440:
	.size	_ZN7rocprim17ROCPRIM_400000_NS6detail17trampoline_kernelINS0_14default_configENS1_20scan_config_selectorIxEEZZNS1_9scan_implILNS1_25lookback_scan_determinismE0ELb0ELb1ES3_N6thrust23THRUST_200600_302600_NS6detail15normal_iteratorINS9_10device_ptrIxEEEESE_xNS9_4plusIxEExEEDaPvRmT3_T4_T5_mT6_P12ihipStream_tbENKUlT_T0_E_clISt17integral_constantIbLb1EESU_EEDaSP_SQ_EUlSP_E_NS1_11comp_targetILNS1_3genE8ELNS1_11target_archE1030ELNS1_3gpuE2ELNS1_3repE0EEENS1_30default_config_static_selectorELNS0_4arch9wavefront6targetE1EEEvT1_, .Lfunc_end440-_ZN7rocprim17ROCPRIM_400000_NS6detail17trampoline_kernelINS0_14default_configENS1_20scan_config_selectorIxEEZZNS1_9scan_implILNS1_25lookback_scan_determinismE0ELb0ELb1ES3_N6thrust23THRUST_200600_302600_NS6detail15normal_iteratorINS9_10device_ptrIxEEEESE_xNS9_4plusIxEExEEDaPvRmT3_T4_T5_mT6_P12ihipStream_tbENKUlT_T0_E_clISt17integral_constantIbLb1EESU_EEDaSP_SQ_EUlSP_E_NS1_11comp_targetILNS1_3genE8ELNS1_11target_archE1030ELNS1_3gpuE2ELNS1_3repE0EEENS1_30default_config_static_selectorELNS0_4arch9wavefront6targetE1EEEvT1_
                                        ; -- End function
	.section	.AMDGPU.csdata,"",@progbits
; Kernel info:
; codeLenInByte = 0
; NumSgprs: 4
; NumVgprs: 0
; NumAgprs: 0
; TotalNumVgprs: 0
; ScratchSize: 0
; MemoryBound: 0
; FloatMode: 240
; IeeeMode: 1
; LDSByteSize: 0 bytes/workgroup (compile time only)
; SGPRBlocks: 0
; VGPRBlocks: 0
; NumSGPRsForWavesPerEU: 4
; NumVGPRsForWavesPerEU: 1
; AccumOffset: 4
; Occupancy: 8
; WaveLimiterHint : 0
; COMPUTE_PGM_RSRC2:SCRATCH_EN: 0
; COMPUTE_PGM_RSRC2:USER_SGPR: 6
; COMPUTE_PGM_RSRC2:TRAP_HANDLER: 0
; COMPUTE_PGM_RSRC2:TGID_X_EN: 1
; COMPUTE_PGM_RSRC2:TGID_Y_EN: 0
; COMPUTE_PGM_RSRC2:TGID_Z_EN: 0
; COMPUTE_PGM_RSRC2:TIDIG_COMP_CNT: 0
; COMPUTE_PGM_RSRC3_GFX90A:ACCUM_OFFSET: 0
; COMPUTE_PGM_RSRC3_GFX90A:TG_SPLIT: 0
	.section	.text._ZN7rocprim17ROCPRIM_400000_NS6detail17trampoline_kernelINS0_14default_configENS1_20scan_config_selectorIxEEZZNS1_9scan_implILNS1_25lookback_scan_determinismE0ELb0ELb1ES3_N6thrust23THRUST_200600_302600_NS6detail15normal_iteratorINS9_10device_ptrIxEEEESE_xNS9_4plusIxEExEEDaPvRmT3_T4_T5_mT6_P12ihipStream_tbENKUlT_T0_E_clISt17integral_constantIbLb1EESU_EEDaSP_SQ_EUlSP_E0_NS1_11comp_targetILNS1_3genE0ELNS1_11target_archE4294967295ELNS1_3gpuE0ELNS1_3repE0EEENS1_30default_config_static_selectorELNS0_4arch9wavefront6targetE1EEEvT1_,"axG",@progbits,_ZN7rocprim17ROCPRIM_400000_NS6detail17trampoline_kernelINS0_14default_configENS1_20scan_config_selectorIxEEZZNS1_9scan_implILNS1_25lookback_scan_determinismE0ELb0ELb1ES3_N6thrust23THRUST_200600_302600_NS6detail15normal_iteratorINS9_10device_ptrIxEEEESE_xNS9_4plusIxEExEEDaPvRmT3_T4_T5_mT6_P12ihipStream_tbENKUlT_T0_E_clISt17integral_constantIbLb1EESU_EEDaSP_SQ_EUlSP_E0_NS1_11comp_targetILNS1_3genE0ELNS1_11target_archE4294967295ELNS1_3gpuE0ELNS1_3repE0EEENS1_30default_config_static_selectorELNS0_4arch9wavefront6targetE1EEEvT1_,comdat
	.protected	_ZN7rocprim17ROCPRIM_400000_NS6detail17trampoline_kernelINS0_14default_configENS1_20scan_config_selectorIxEEZZNS1_9scan_implILNS1_25lookback_scan_determinismE0ELb0ELb1ES3_N6thrust23THRUST_200600_302600_NS6detail15normal_iteratorINS9_10device_ptrIxEEEESE_xNS9_4plusIxEExEEDaPvRmT3_T4_T5_mT6_P12ihipStream_tbENKUlT_T0_E_clISt17integral_constantIbLb1EESU_EEDaSP_SQ_EUlSP_E0_NS1_11comp_targetILNS1_3genE0ELNS1_11target_archE4294967295ELNS1_3gpuE0ELNS1_3repE0EEENS1_30default_config_static_selectorELNS0_4arch9wavefront6targetE1EEEvT1_ ; -- Begin function _ZN7rocprim17ROCPRIM_400000_NS6detail17trampoline_kernelINS0_14default_configENS1_20scan_config_selectorIxEEZZNS1_9scan_implILNS1_25lookback_scan_determinismE0ELb0ELb1ES3_N6thrust23THRUST_200600_302600_NS6detail15normal_iteratorINS9_10device_ptrIxEEEESE_xNS9_4plusIxEExEEDaPvRmT3_T4_T5_mT6_P12ihipStream_tbENKUlT_T0_E_clISt17integral_constantIbLb1EESU_EEDaSP_SQ_EUlSP_E0_NS1_11comp_targetILNS1_3genE0ELNS1_11target_archE4294967295ELNS1_3gpuE0ELNS1_3repE0EEENS1_30default_config_static_selectorELNS0_4arch9wavefront6targetE1EEEvT1_
	.globl	_ZN7rocprim17ROCPRIM_400000_NS6detail17trampoline_kernelINS0_14default_configENS1_20scan_config_selectorIxEEZZNS1_9scan_implILNS1_25lookback_scan_determinismE0ELb0ELb1ES3_N6thrust23THRUST_200600_302600_NS6detail15normal_iteratorINS9_10device_ptrIxEEEESE_xNS9_4plusIxEExEEDaPvRmT3_T4_T5_mT6_P12ihipStream_tbENKUlT_T0_E_clISt17integral_constantIbLb1EESU_EEDaSP_SQ_EUlSP_E0_NS1_11comp_targetILNS1_3genE0ELNS1_11target_archE4294967295ELNS1_3gpuE0ELNS1_3repE0EEENS1_30default_config_static_selectorELNS0_4arch9wavefront6targetE1EEEvT1_
	.p2align	8
	.type	_ZN7rocprim17ROCPRIM_400000_NS6detail17trampoline_kernelINS0_14default_configENS1_20scan_config_selectorIxEEZZNS1_9scan_implILNS1_25lookback_scan_determinismE0ELb0ELb1ES3_N6thrust23THRUST_200600_302600_NS6detail15normal_iteratorINS9_10device_ptrIxEEEESE_xNS9_4plusIxEExEEDaPvRmT3_T4_T5_mT6_P12ihipStream_tbENKUlT_T0_E_clISt17integral_constantIbLb1EESU_EEDaSP_SQ_EUlSP_E0_NS1_11comp_targetILNS1_3genE0ELNS1_11target_archE4294967295ELNS1_3gpuE0ELNS1_3repE0EEENS1_30default_config_static_selectorELNS0_4arch9wavefront6targetE1EEEvT1_,@function
_ZN7rocprim17ROCPRIM_400000_NS6detail17trampoline_kernelINS0_14default_configENS1_20scan_config_selectorIxEEZZNS1_9scan_implILNS1_25lookback_scan_determinismE0ELb0ELb1ES3_N6thrust23THRUST_200600_302600_NS6detail15normal_iteratorINS9_10device_ptrIxEEEESE_xNS9_4plusIxEExEEDaPvRmT3_T4_T5_mT6_P12ihipStream_tbENKUlT_T0_E_clISt17integral_constantIbLb1EESU_EEDaSP_SQ_EUlSP_E0_NS1_11comp_targetILNS1_3genE0ELNS1_11target_archE4294967295ELNS1_3gpuE0ELNS1_3repE0EEENS1_30default_config_static_selectorELNS0_4arch9wavefront6targetE1EEEvT1_: ; @_ZN7rocprim17ROCPRIM_400000_NS6detail17trampoline_kernelINS0_14default_configENS1_20scan_config_selectorIxEEZZNS1_9scan_implILNS1_25lookback_scan_determinismE0ELb0ELb1ES3_N6thrust23THRUST_200600_302600_NS6detail15normal_iteratorINS9_10device_ptrIxEEEESE_xNS9_4plusIxEExEEDaPvRmT3_T4_T5_mT6_P12ihipStream_tbENKUlT_T0_E_clISt17integral_constantIbLb1EESU_EEDaSP_SQ_EUlSP_E0_NS1_11comp_targetILNS1_3genE0ELNS1_11target_archE4294967295ELNS1_3gpuE0ELNS1_3repE0EEENS1_30default_config_static_selectorELNS0_4arch9wavefront6targetE1EEEvT1_
; %bb.0:
	.section	.rodata,"a",@progbits
	.p2align	6, 0x0
	.amdhsa_kernel _ZN7rocprim17ROCPRIM_400000_NS6detail17trampoline_kernelINS0_14default_configENS1_20scan_config_selectorIxEEZZNS1_9scan_implILNS1_25lookback_scan_determinismE0ELb0ELb1ES3_N6thrust23THRUST_200600_302600_NS6detail15normal_iteratorINS9_10device_ptrIxEEEESE_xNS9_4plusIxEExEEDaPvRmT3_T4_T5_mT6_P12ihipStream_tbENKUlT_T0_E_clISt17integral_constantIbLb1EESU_EEDaSP_SQ_EUlSP_E0_NS1_11comp_targetILNS1_3genE0ELNS1_11target_archE4294967295ELNS1_3gpuE0ELNS1_3repE0EEENS1_30default_config_static_selectorELNS0_4arch9wavefront6targetE1EEEvT1_
		.amdhsa_group_segment_fixed_size 0
		.amdhsa_private_segment_fixed_size 0
		.amdhsa_kernarg_size 40
		.amdhsa_user_sgpr_count 6
		.amdhsa_user_sgpr_private_segment_buffer 1
		.amdhsa_user_sgpr_dispatch_ptr 0
		.amdhsa_user_sgpr_queue_ptr 0
		.amdhsa_user_sgpr_kernarg_segment_ptr 1
		.amdhsa_user_sgpr_dispatch_id 0
		.amdhsa_user_sgpr_flat_scratch_init 0
		.amdhsa_user_sgpr_kernarg_preload_length 0
		.amdhsa_user_sgpr_kernarg_preload_offset 0
		.amdhsa_user_sgpr_private_segment_size 0
		.amdhsa_uses_dynamic_stack 0
		.amdhsa_system_sgpr_private_segment_wavefront_offset 0
		.amdhsa_system_sgpr_workgroup_id_x 1
		.amdhsa_system_sgpr_workgroup_id_y 0
		.amdhsa_system_sgpr_workgroup_id_z 0
		.amdhsa_system_sgpr_workgroup_info 0
		.amdhsa_system_vgpr_workitem_id 0
		.amdhsa_next_free_vgpr 1
		.amdhsa_next_free_sgpr 0
		.amdhsa_accum_offset 4
		.amdhsa_reserve_vcc 0
		.amdhsa_reserve_flat_scratch 0
		.amdhsa_float_round_mode_32 0
		.amdhsa_float_round_mode_16_64 0
		.amdhsa_float_denorm_mode_32 3
		.amdhsa_float_denorm_mode_16_64 3
		.amdhsa_dx10_clamp 1
		.amdhsa_ieee_mode 1
		.amdhsa_fp16_overflow 0
		.amdhsa_tg_split 0
		.amdhsa_exception_fp_ieee_invalid_op 0
		.amdhsa_exception_fp_denorm_src 0
		.amdhsa_exception_fp_ieee_div_zero 0
		.amdhsa_exception_fp_ieee_overflow 0
		.amdhsa_exception_fp_ieee_underflow 0
		.amdhsa_exception_fp_ieee_inexact 0
		.amdhsa_exception_int_div_zero 0
	.end_amdhsa_kernel
	.section	.text._ZN7rocprim17ROCPRIM_400000_NS6detail17trampoline_kernelINS0_14default_configENS1_20scan_config_selectorIxEEZZNS1_9scan_implILNS1_25lookback_scan_determinismE0ELb0ELb1ES3_N6thrust23THRUST_200600_302600_NS6detail15normal_iteratorINS9_10device_ptrIxEEEESE_xNS9_4plusIxEExEEDaPvRmT3_T4_T5_mT6_P12ihipStream_tbENKUlT_T0_E_clISt17integral_constantIbLb1EESU_EEDaSP_SQ_EUlSP_E0_NS1_11comp_targetILNS1_3genE0ELNS1_11target_archE4294967295ELNS1_3gpuE0ELNS1_3repE0EEENS1_30default_config_static_selectorELNS0_4arch9wavefront6targetE1EEEvT1_,"axG",@progbits,_ZN7rocprim17ROCPRIM_400000_NS6detail17trampoline_kernelINS0_14default_configENS1_20scan_config_selectorIxEEZZNS1_9scan_implILNS1_25lookback_scan_determinismE0ELb0ELb1ES3_N6thrust23THRUST_200600_302600_NS6detail15normal_iteratorINS9_10device_ptrIxEEEESE_xNS9_4plusIxEExEEDaPvRmT3_T4_T5_mT6_P12ihipStream_tbENKUlT_T0_E_clISt17integral_constantIbLb1EESU_EEDaSP_SQ_EUlSP_E0_NS1_11comp_targetILNS1_3genE0ELNS1_11target_archE4294967295ELNS1_3gpuE0ELNS1_3repE0EEENS1_30default_config_static_selectorELNS0_4arch9wavefront6targetE1EEEvT1_,comdat
.Lfunc_end441:
	.size	_ZN7rocprim17ROCPRIM_400000_NS6detail17trampoline_kernelINS0_14default_configENS1_20scan_config_selectorIxEEZZNS1_9scan_implILNS1_25lookback_scan_determinismE0ELb0ELb1ES3_N6thrust23THRUST_200600_302600_NS6detail15normal_iteratorINS9_10device_ptrIxEEEESE_xNS9_4plusIxEExEEDaPvRmT3_T4_T5_mT6_P12ihipStream_tbENKUlT_T0_E_clISt17integral_constantIbLb1EESU_EEDaSP_SQ_EUlSP_E0_NS1_11comp_targetILNS1_3genE0ELNS1_11target_archE4294967295ELNS1_3gpuE0ELNS1_3repE0EEENS1_30default_config_static_selectorELNS0_4arch9wavefront6targetE1EEEvT1_, .Lfunc_end441-_ZN7rocprim17ROCPRIM_400000_NS6detail17trampoline_kernelINS0_14default_configENS1_20scan_config_selectorIxEEZZNS1_9scan_implILNS1_25lookback_scan_determinismE0ELb0ELb1ES3_N6thrust23THRUST_200600_302600_NS6detail15normal_iteratorINS9_10device_ptrIxEEEESE_xNS9_4plusIxEExEEDaPvRmT3_T4_T5_mT6_P12ihipStream_tbENKUlT_T0_E_clISt17integral_constantIbLb1EESU_EEDaSP_SQ_EUlSP_E0_NS1_11comp_targetILNS1_3genE0ELNS1_11target_archE4294967295ELNS1_3gpuE0ELNS1_3repE0EEENS1_30default_config_static_selectorELNS0_4arch9wavefront6targetE1EEEvT1_
                                        ; -- End function
	.section	.AMDGPU.csdata,"",@progbits
; Kernel info:
; codeLenInByte = 0
; NumSgprs: 4
; NumVgprs: 0
; NumAgprs: 0
; TotalNumVgprs: 0
; ScratchSize: 0
; MemoryBound: 0
; FloatMode: 240
; IeeeMode: 1
; LDSByteSize: 0 bytes/workgroup (compile time only)
; SGPRBlocks: 0
; VGPRBlocks: 0
; NumSGPRsForWavesPerEU: 4
; NumVGPRsForWavesPerEU: 1
; AccumOffset: 4
; Occupancy: 8
; WaveLimiterHint : 0
; COMPUTE_PGM_RSRC2:SCRATCH_EN: 0
; COMPUTE_PGM_RSRC2:USER_SGPR: 6
; COMPUTE_PGM_RSRC2:TRAP_HANDLER: 0
; COMPUTE_PGM_RSRC2:TGID_X_EN: 1
; COMPUTE_PGM_RSRC2:TGID_Y_EN: 0
; COMPUTE_PGM_RSRC2:TGID_Z_EN: 0
; COMPUTE_PGM_RSRC2:TIDIG_COMP_CNT: 0
; COMPUTE_PGM_RSRC3_GFX90A:ACCUM_OFFSET: 0
; COMPUTE_PGM_RSRC3_GFX90A:TG_SPLIT: 0
	.section	.text._ZN7rocprim17ROCPRIM_400000_NS6detail17trampoline_kernelINS0_14default_configENS1_20scan_config_selectorIxEEZZNS1_9scan_implILNS1_25lookback_scan_determinismE0ELb0ELb1ES3_N6thrust23THRUST_200600_302600_NS6detail15normal_iteratorINS9_10device_ptrIxEEEESE_xNS9_4plusIxEExEEDaPvRmT3_T4_T5_mT6_P12ihipStream_tbENKUlT_T0_E_clISt17integral_constantIbLb1EESU_EEDaSP_SQ_EUlSP_E0_NS1_11comp_targetILNS1_3genE5ELNS1_11target_archE942ELNS1_3gpuE9ELNS1_3repE0EEENS1_30default_config_static_selectorELNS0_4arch9wavefront6targetE1EEEvT1_,"axG",@progbits,_ZN7rocprim17ROCPRIM_400000_NS6detail17trampoline_kernelINS0_14default_configENS1_20scan_config_selectorIxEEZZNS1_9scan_implILNS1_25lookback_scan_determinismE0ELb0ELb1ES3_N6thrust23THRUST_200600_302600_NS6detail15normal_iteratorINS9_10device_ptrIxEEEESE_xNS9_4plusIxEExEEDaPvRmT3_T4_T5_mT6_P12ihipStream_tbENKUlT_T0_E_clISt17integral_constantIbLb1EESU_EEDaSP_SQ_EUlSP_E0_NS1_11comp_targetILNS1_3genE5ELNS1_11target_archE942ELNS1_3gpuE9ELNS1_3repE0EEENS1_30default_config_static_selectorELNS0_4arch9wavefront6targetE1EEEvT1_,comdat
	.protected	_ZN7rocprim17ROCPRIM_400000_NS6detail17trampoline_kernelINS0_14default_configENS1_20scan_config_selectorIxEEZZNS1_9scan_implILNS1_25lookback_scan_determinismE0ELb0ELb1ES3_N6thrust23THRUST_200600_302600_NS6detail15normal_iteratorINS9_10device_ptrIxEEEESE_xNS9_4plusIxEExEEDaPvRmT3_T4_T5_mT6_P12ihipStream_tbENKUlT_T0_E_clISt17integral_constantIbLb1EESU_EEDaSP_SQ_EUlSP_E0_NS1_11comp_targetILNS1_3genE5ELNS1_11target_archE942ELNS1_3gpuE9ELNS1_3repE0EEENS1_30default_config_static_selectorELNS0_4arch9wavefront6targetE1EEEvT1_ ; -- Begin function _ZN7rocprim17ROCPRIM_400000_NS6detail17trampoline_kernelINS0_14default_configENS1_20scan_config_selectorIxEEZZNS1_9scan_implILNS1_25lookback_scan_determinismE0ELb0ELb1ES3_N6thrust23THRUST_200600_302600_NS6detail15normal_iteratorINS9_10device_ptrIxEEEESE_xNS9_4plusIxEExEEDaPvRmT3_T4_T5_mT6_P12ihipStream_tbENKUlT_T0_E_clISt17integral_constantIbLb1EESU_EEDaSP_SQ_EUlSP_E0_NS1_11comp_targetILNS1_3genE5ELNS1_11target_archE942ELNS1_3gpuE9ELNS1_3repE0EEENS1_30default_config_static_selectorELNS0_4arch9wavefront6targetE1EEEvT1_
	.globl	_ZN7rocprim17ROCPRIM_400000_NS6detail17trampoline_kernelINS0_14default_configENS1_20scan_config_selectorIxEEZZNS1_9scan_implILNS1_25lookback_scan_determinismE0ELb0ELb1ES3_N6thrust23THRUST_200600_302600_NS6detail15normal_iteratorINS9_10device_ptrIxEEEESE_xNS9_4plusIxEExEEDaPvRmT3_T4_T5_mT6_P12ihipStream_tbENKUlT_T0_E_clISt17integral_constantIbLb1EESU_EEDaSP_SQ_EUlSP_E0_NS1_11comp_targetILNS1_3genE5ELNS1_11target_archE942ELNS1_3gpuE9ELNS1_3repE0EEENS1_30default_config_static_selectorELNS0_4arch9wavefront6targetE1EEEvT1_
	.p2align	8
	.type	_ZN7rocprim17ROCPRIM_400000_NS6detail17trampoline_kernelINS0_14default_configENS1_20scan_config_selectorIxEEZZNS1_9scan_implILNS1_25lookback_scan_determinismE0ELb0ELb1ES3_N6thrust23THRUST_200600_302600_NS6detail15normal_iteratorINS9_10device_ptrIxEEEESE_xNS9_4plusIxEExEEDaPvRmT3_T4_T5_mT6_P12ihipStream_tbENKUlT_T0_E_clISt17integral_constantIbLb1EESU_EEDaSP_SQ_EUlSP_E0_NS1_11comp_targetILNS1_3genE5ELNS1_11target_archE942ELNS1_3gpuE9ELNS1_3repE0EEENS1_30default_config_static_selectorELNS0_4arch9wavefront6targetE1EEEvT1_,@function
_ZN7rocprim17ROCPRIM_400000_NS6detail17trampoline_kernelINS0_14default_configENS1_20scan_config_selectorIxEEZZNS1_9scan_implILNS1_25lookback_scan_determinismE0ELb0ELb1ES3_N6thrust23THRUST_200600_302600_NS6detail15normal_iteratorINS9_10device_ptrIxEEEESE_xNS9_4plusIxEExEEDaPvRmT3_T4_T5_mT6_P12ihipStream_tbENKUlT_T0_E_clISt17integral_constantIbLb1EESU_EEDaSP_SQ_EUlSP_E0_NS1_11comp_targetILNS1_3genE5ELNS1_11target_archE942ELNS1_3gpuE9ELNS1_3repE0EEENS1_30default_config_static_selectorELNS0_4arch9wavefront6targetE1EEEvT1_: ; @_ZN7rocprim17ROCPRIM_400000_NS6detail17trampoline_kernelINS0_14default_configENS1_20scan_config_selectorIxEEZZNS1_9scan_implILNS1_25lookback_scan_determinismE0ELb0ELb1ES3_N6thrust23THRUST_200600_302600_NS6detail15normal_iteratorINS9_10device_ptrIxEEEESE_xNS9_4plusIxEExEEDaPvRmT3_T4_T5_mT6_P12ihipStream_tbENKUlT_T0_E_clISt17integral_constantIbLb1EESU_EEDaSP_SQ_EUlSP_E0_NS1_11comp_targetILNS1_3genE5ELNS1_11target_archE942ELNS1_3gpuE9ELNS1_3repE0EEENS1_30default_config_static_selectorELNS0_4arch9wavefront6targetE1EEEvT1_
; %bb.0:
	.section	.rodata,"a",@progbits
	.p2align	6, 0x0
	.amdhsa_kernel _ZN7rocprim17ROCPRIM_400000_NS6detail17trampoline_kernelINS0_14default_configENS1_20scan_config_selectorIxEEZZNS1_9scan_implILNS1_25lookback_scan_determinismE0ELb0ELb1ES3_N6thrust23THRUST_200600_302600_NS6detail15normal_iteratorINS9_10device_ptrIxEEEESE_xNS9_4plusIxEExEEDaPvRmT3_T4_T5_mT6_P12ihipStream_tbENKUlT_T0_E_clISt17integral_constantIbLb1EESU_EEDaSP_SQ_EUlSP_E0_NS1_11comp_targetILNS1_3genE5ELNS1_11target_archE942ELNS1_3gpuE9ELNS1_3repE0EEENS1_30default_config_static_selectorELNS0_4arch9wavefront6targetE1EEEvT1_
		.amdhsa_group_segment_fixed_size 0
		.amdhsa_private_segment_fixed_size 0
		.amdhsa_kernarg_size 40
		.amdhsa_user_sgpr_count 6
		.amdhsa_user_sgpr_private_segment_buffer 1
		.amdhsa_user_sgpr_dispatch_ptr 0
		.amdhsa_user_sgpr_queue_ptr 0
		.amdhsa_user_sgpr_kernarg_segment_ptr 1
		.amdhsa_user_sgpr_dispatch_id 0
		.amdhsa_user_sgpr_flat_scratch_init 0
		.amdhsa_user_sgpr_kernarg_preload_length 0
		.amdhsa_user_sgpr_kernarg_preload_offset 0
		.amdhsa_user_sgpr_private_segment_size 0
		.amdhsa_uses_dynamic_stack 0
		.amdhsa_system_sgpr_private_segment_wavefront_offset 0
		.amdhsa_system_sgpr_workgroup_id_x 1
		.amdhsa_system_sgpr_workgroup_id_y 0
		.amdhsa_system_sgpr_workgroup_id_z 0
		.amdhsa_system_sgpr_workgroup_info 0
		.amdhsa_system_vgpr_workitem_id 0
		.amdhsa_next_free_vgpr 1
		.amdhsa_next_free_sgpr 0
		.amdhsa_accum_offset 4
		.amdhsa_reserve_vcc 0
		.amdhsa_reserve_flat_scratch 0
		.amdhsa_float_round_mode_32 0
		.amdhsa_float_round_mode_16_64 0
		.amdhsa_float_denorm_mode_32 3
		.amdhsa_float_denorm_mode_16_64 3
		.amdhsa_dx10_clamp 1
		.amdhsa_ieee_mode 1
		.amdhsa_fp16_overflow 0
		.amdhsa_tg_split 0
		.amdhsa_exception_fp_ieee_invalid_op 0
		.amdhsa_exception_fp_denorm_src 0
		.amdhsa_exception_fp_ieee_div_zero 0
		.amdhsa_exception_fp_ieee_overflow 0
		.amdhsa_exception_fp_ieee_underflow 0
		.amdhsa_exception_fp_ieee_inexact 0
		.amdhsa_exception_int_div_zero 0
	.end_amdhsa_kernel
	.section	.text._ZN7rocprim17ROCPRIM_400000_NS6detail17trampoline_kernelINS0_14default_configENS1_20scan_config_selectorIxEEZZNS1_9scan_implILNS1_25lookback_scan_determinismE0ELb0ELb1ES3_N6thrust23THRUST_200600_302600_NS6detail15normal_iteratorINS9_10device_ptrIxEEEESE_xNS9_4plusIxEExEEDaPvRmT3_T4_T5_mT6_P12ihipStream_tbENKUlT_T0_E_clISt17integral_constantIbLb1EESU_EEDaSP_SQ_EUlSP_E0_NS1_11comp_targetILNS1_3genE5ELNS1_11target_archE942ELNS1_3gpuE9ELNS1_3repE0EEENS1_30default_config_static_selectorELNS0_4arch9wavefront6targetE1EEEvT1_,"axG",@progbits,_ZN7rocprim17ROCPRIM_400000_NS6detail17trampoline_kernelINS0_14default_configENS1_20scan_config_selectorIxEEZZNS1_9scan_implILNS1_25lookback_scan_determinismE0ELb0ELb1ES3_N6thrust23THRUST_200600_302600_NS6detail15normal_iteratorINS9_10device_ptrIxEEEESE_xNS9_4plusIxEExEEDaPvRmT3_T4_T5_mT6_P12ihipStream_tbENKUlT_T0_E_clISt17integral_constantIbLb1EESU_EEDaSP_SQ_EUlSP_E0_NS1_11comp_targetILNS1_3genE5ELNS1_11target_archE942ELNS1_3gpuE9ELNS1_3repE0EEENS1_30default_config_static_selectorELNS0_4arch9wavefront6targetE1EEEvT1_,comdat
.Lfunc_end442:
	.size	_ZN7rocprim17ROCPRIM_400000_NS6detail17trampoline_kernelINS0_14default_configENS1_20scan_config_selectorIxEEZZNS1_9scan_implILNS1_25lookback_scan_determinismE0ELb0ELb1ES3_N6thrust23THRUST_200600_302600_NS6detail15normal_iteratorINS9_10device_ptrIxEEEESE_xNS9_4plusIxEExEEDaPvRmT3_T4_T5_mT6_P12ihipStream_tbENKUlT_T0_E_clISt17integral_constantIbLb1EESU_EEDaSP_SQ_EUlSP_E0_NS1_11comp_targetILNS1_3genE5ELNS1_11target_archE942ELNS1_3gpuE9ELNS1_3repE0EEENS1_30default_config_static_selectorELNS0_4arch9wavefront6targetE1EEEvT1_, .Lfunc_end442-_ZN7rocprim17ROCPRIM_400000_NS6detail17trampoline_kernelINS0_14default_configENS1_20scan_config_selectorIxEEZZNS1_9scan_implILNS1_25lookback_scan_determinismE0ELb0ELb1ES3_N6thrust23THRUST_200600_302600_NS6detail15normal_iteratorINS9_10device_ptrIxEEEESE_xNS9_4plusIxEExEEDaPvRmT3_T4_T5_mT6_P12ihipStream_tbENKUlT_T0_E_clISt17integral_constantIbLb1EESU_EEDaSP_SQ_EUlSP_E0_NS1_11comp_targetILNS1_3genE5ELNS1_11target_archE942ELNS1_3gpuE9ELNS1_3repE0EEENS1_30default_config_static_selectorELNS0_4arch9wavefront6targetE1EEEvT1_
                                        ; -- End function
	.section	.AMDGPU.csdata,"",@progbits
; Kernel info:
; codeLenInByte = 0
; NumSgprs: 4
; NumVgprs: 0
; NumAgprs: 0
; TotalNumVgprs: 0
; ScratchSize: 0
; MemoryBound: 0
; FloatMode: 240
; IeeeMode: 1
; LDSByteSize: 0 bytes/workgroup (compile time only)
; SGPRBlocks: 0
; VGPRBlocks: 0
; NumSGPRsForWavesPerEU: 4
; NumVGPRsForWavesPerEU: 1
; AccumOffset: 4
; Occupancy: 8
; WaveLimiterHint : 0
; COMPUTE_PGM_RSRC2:SCRATCH_EN: 0
; COMPUTE_PGM_RSRC2:USER_SGPR: 6
; COMPUTE_PGM_RSRC2:TRAP_HANDLER: 0
; COMPUTE_PGM_RSRC2:TGID_X_EN: 1
; COMPUTE_PGM_RSRC2:TGID_Y_EN: 0
; COMPUTE_PGM_RSRC2:TGID_Z_EN: 0
; COMPUTE_PGM_RSRC2:TIDIG_COMP_CNT: 0
; COMPUTE_PGM_RSRC3_GFX90A:ACCUM_OFFSET: 0
; COMPUTE_PGM_RSRC3_GFX90A:TG_SPLIT: 0
	.section	.text._ZN7rocprim17ROCPRIM_400000_NS6detail17trampoline_kernelINS0_14default_configENS1_20scan_config_selectorIxEEZZNS1_9scan_implILNS1_25lookback_scan_determinismE0ELb0ELb1ES3_N6thrust23THRUST_200600_302600_NS6detail15normal_iteratorINS9_10device_ptrIxEEEESE_xNS9_4plusIxEExEEDaPvRmT3_T4_T5_mT6_P12ihipStream_tbENKUlT_T0_E_clISt17integral_constantIbLb1EESU_EEDaSP_SQ_EUlSP_E0_NS1_11comp_targetILNS1_3genE4ELNS1_11target_archE910ELNS1_3gpuE8ELNS1_3repE0EEENS1_30default_config_static_selectorELNS0_4arch9wavefront6targetE1EEEvT1_,"axG",@progbits,_ZN7rocprim17ROCPRIM_400000_NS6detail17trampoline_kernelINS0_14default_configENS1_20scan_config_selectorIxEEZZNS1_9scan_implILNS1_25lookback_scan_determinismE0ELb0ELb1ES3_N6thrust23THRUST_200600_302600_NS6detail15normal_iteratorINS9_10device_ptrIxEEEESE_xNS9_4plusIxEExEEDaPvRmT3_T4_T5_mT6_P12ihipStream_tbENKUlT_T0_E_clISt17integral_constantIbLb1EESU_EEDaSP_SQ_EUlSP_E0_NS1_11comp_targetILNS1_3genE4ELNS1_11target_archE910ELNS1_3gpuE8ELNS1_3repE0EEENS1_30default_config_static_selectorELNS0_4arch9wavefront6targetE1EEEvT1_,comdat
	.protected	_ZN7rocprim17ROCPRIM_400000_NS6detail17trampoline_kernelINS0_14default_configENS1_20scan_config_selectorIxEEZZNS1_9scan_implILNS1_25lookback_scan_determinismE0ELb0ELb1ES3_N6thrust23THRUST_200600_302600_NS6detail15normal_iteratorINS9_10device_ptrIxEEEESE_xNS9_4plusIxEExEEDaPvRmT3_T4_T5_mT6_P12ihipStream_tbENKUlT_T0_E_clISt17integral_constantIbLb1EESU_EEDaSP_SQ_EUlSP_E0_NS1_11comp_targetILNS1_3genE4ELNS1_11target_archE910ELNS1_3gpuE8ELNS1_3repE0EEENS1_30default_config_static_selectorELNS0_4arch9wavefront6targetE1EEEvT1_ ; -- Begin function _ZN7rocprim17ROCPRIM_400000_NS6detail17trampoline_kernelINS0_14default_configENS1_20scan_config_selectorIxEEZZNS1_9scan_implILNS1_25lookback_scan_determinismE0ELb0ELb1ES3_N6thrust23THRUST_200600_302600_NS6detail15normal_iteratorINS9_10device_ptrIxEEEESE_xNS9_4plusIxEExEEDaPvRmT3_T4_T5_mT6_P12ihipStream_tbENKUlT_T0_E_clISt17integral_constantIbLb1EESU_EEDaSP_SQ_EUlSP_E0_NS1_11comp_targetILNS1_3genE4ELNS1_11target_archE910ELNS1_3gpuE8ELNS1_3repE0EEENS1_30default_config_static_selectorELNS0_4arch9wavefront6targetE1EEEvT1_
	.globl	_ZN7rocprim17ROCPRIM_400000_NS6detail17trampoline_kernelINS0_14default_configENS1_20scan_config_selectorIxEEZZNS1_9scan_implILNS1_25lookback_scan_determinismE0ELb0ELb1ES3_N6thrust23THRUST_200600_302600_NS6detail15normal_iteratorINS9_10device_ptrIxEEEESE_xNS9_4plusIxEExEEDaPvRmT3_T4_T5_mT6_P12ihipStream_tbENKUlT_T0_E_clISt17integral_constantIbLb1EESU_EEDaSP_SQ_EUlSP_E0_NS1_11comp_targetILNS1_3genE4ELNS1_11target_archE910ELNS1_3gpuE8ELNS1_3repE0EEENS1_30default_config_static_selectorELNS0_4arch9wavefront6targetE1EEEvT1_
	.p2align	8
	.type	_ZN7rocprim17ROCPRIM_400000_NS6detail17trampoline_kernelINS0_14default_configENS1_20scan_config_selectorIxEEZZNS1_9scan_implILNS1_25lookback_scan_determinismE0ELb0ELb1ES3_N6thrust23THRUST_200600_302600_NS6detail15normal_iteratorINS9_10device_ptrIxEEEESE_xNS9_4plusIxEExEEDaPvRmT3_T4_T5_mT6_P12ihipStream_tbENKUlT_T0_E_clISt17integral_constantIbLb1EESU_EEDaSP_SQ_EUlSP_E0_NS1_11comp_targetILNS1_3genE4ELNS1_11target_archE910ELNS1_3gpuE8ELNS1_3repE0EEENS1_30default_config_static_selectorELNS0_4arch9wavefront6targetE1EEEvT1_,@function
_ZN7rocprim17ROCPRIM_400000_NS6detail17trampoline_kernelINS0_14default_configENS1_20scan_config_selectorIxEEZZNS1_9scan_implILNS1_25lookback_scan_determinismE0ELb0ELb1ES3_N6thrust23THRUST_200600_302600_NS6detail15normal_iteratorINS9_10device_ptrIxEEEESE_xNS9_4plusIxEExEEDaPvRmT3_T4_T5_mT6_P12ihipStream_tbENKUlT_T0_E_clISt17integral_constantIbLb1EESU_EEDaSP_SQ_EUlSP_E0_NS1_11comp_targetILNS1_3genE4ELNS1_11target_archE910ELNS1_3gpuE8ELNS1_3repE0EEENS1_30default_config_static_selectorELNS0_4arch9wavefront6targetE1EEEvT1_: ; @_ZN7rocprim17ROCPRIM_400000_NS6detail17trampoline_kernelINS0_14default_configENS1_20scan_config_selectorIxEEZZNS1_9scan_implILNS1_25lookback_scan_determinismE0ELb0ELb1ES3_N6thrust23THRUST_200600_302600_NS6detail15normal_iteratorINS9_10device_ptrIxEEEESE_xNS9_4plusIxEExEEDaPvRmT3_T4_T5_mT6_P12ihipStream_tbENKUlT_T0_E_clISt17integral_constantIbLb1EESU_EEDaSP_SQ_EUlSP_E0_NS1_11comp_targetILNS1_3genE4ELNS1_11target_archE910ELNS1_3gpuE8ELNS1_3repE0EEENS1_30default_config_static_selectorELNS0_4arch9wavefront6targetE1EEEvT1_
; %bb.0:
	s_load_dwordx4 s[16:19], s[4:5], 0x0
	v_lshlrev_b32_e32 v27, 3, v0
	s_waitcnt lgkmcnt(0)
	s_load_dwordx2 s[14:15], s[16:17], 0x0
	v_cmp_gt_u32_e32 vcc, s18, v0
	s_waitcnt lgkmcnt(0)
	v_pk_mov_b32 v[2:3], s[14:15], s[14:15] op_sel:[0,1]
	s_and_saveexec_b64 s[0:1], vcc
	s_cbranch_execz .LBB443_2
; %bb.1:
	global_load_dwordx2 v[2:3], v27, s[16:17]
.LBB443_2:
	s_or_b64 exec, exec, s[0:1]
	v_or_b32_e32 v1, 0x80, v0
	v_cmp_gt_u32_e64 s[0:1], s18, v1
	v_pk_mov_b32 v[4:5], s[14:15], s[14:15] op_sel:[0,1]
	s_and_saveexec_b64 s[2:3], s[0:1]
	s_cbranch_execz .LBB443_4
; %bb.3:
	global_load_dwordx2 v[4:5], v27, s[16:17] offset:1024
.LBB443_4:
	s_or_b64 exec, exec, s[2:3]
	v_or_b32_e32 v1, 0x100, v0
	v_cmp_gt_u32_e64 s[2:3], s18, v1
	v_pk_mov_b32 v[6:7], s[14:15], s[14:15] op_sel:[0,1]
	s_and_saveexec_b64 s[6:7], s[2:3]
	s_cbranch_execz .LBB443_6
; %bb.5:
	global_load_dwordx2 v[6:7], v27, s[16:17] offset:2048
.LBB443_6:
	;; [unrolled: 9-line block ×3, first 2 shown]
	s_or_b64 exec, exec, s[6:7]
	v_or_b32_e32 v1, 0x200, v0
	v_cmp_gt_u32_e64 s[6:7], s18, v1
	v_pk_mov_b32 v[10:11], s[14:15], s[14:15] op_sel:[0,1]
	s_and_saveexec_b64 s[8:9], s[6:7]
	s_cbranch_execz .LBB443_10
; %bb.9:
	v_lshlrev_b32_e32 v1, 3, v1
	global_load_dwordx2 v[10:11], v1, s[16:17]
.LBB443_10:
	s_or_b64 exec, exec, s[8:9]
	v_or_b32_e32 v1, 0x280, v0
	v_cmp_gt_u32_e64 s[8:9], s18, v1
	v_pk_mov_b32 v[12:13], s[14:15], s[14:15] op_sel:[0,1]
	s_and_saveexec_b64 s[10:11], s[8:9]
	s_cbranch_execz .LBB443_12
; %bb.11:
	v_lshlrev_b32_e32 v1, 3, v1
	global_load_dwordx2 v[12:13], v1, s[16:17]
.LBB443_12:
	s_or_b64 exec, exec, s[10:11]
	s_load_dwordx2 s[20:21], s[4:5], 0x10
	v_or_b32_e32 v1, 0x300, v0
	v_cmp_gt_u32_e64 s[10:11], s18, v1
	v_pk_mov_b32 v[14:15], s[14:15], s[14:15] op_sel:[0,1]
	s_and_saveexec_b64 s[14:15], s[10:11]
	s_cbranch_execz .LBB443_14
; %bb.13:
	v_lshlrev_b32_e32 v1, 3, v1
	global_load_dwordx2 v[14:15], v1, s[16:17]
.LBB443_14:
	s_or_b64 exec, exec, s[14:15]
	v_mad_u32_u24 v1, v0, 48, v27
	s_waitcnt vmcnt(0)
	ds_write2st64_b64 v27, v[2:3], v[4:5] offset1:2
	ds_write2st64_b64 v27, v[6:7], v[8:9] offset0:4 offset1:6
	ds_write2st64_b64 v27, v[10:11], v[12:13] offset0:8 offset1:10
	ds_write_b64 v27, v[14:15] offset:6144
	s_waitcnt lgkmcnt(0)
	s_barrier
	ds_read2_b64 v[2:5], v1 offset1:1
	ds_read2_b64 v[10:13], v1 offset0:2 offset1:3
	ds_read2_b64 v[6:9], v1 offset0:4 offset1:5
	ds_read_b64 v[18:19], v1 offset:48
	s_load_dwordx2 s[16:17], s[4:5], 0x20
	s_waitcnt lgkmcnt(0)
	v_add_co_u32_e64 v20, s[4:5], v4, v2
	v_addc_co_u32_e64 v1, s[4:5], v5, v3, s[4:5]
	v_add_co_u32_e64 v22, s[4:5], v20, v10
	v_addc_co_u32_e64 v21, s[4:5], v1, v11, s[4:5]
	;; [unrolled: 2-line block ×5, first 2 shown]
	v_add_co_u32_e64 v28, s[4:5], v14, v18
	v_lshrrev_b32_e32 v14, 2, v0
	v_addc_co_u32_e64 v29, s[4:5], v15, v19, s[4:5]
	v_and_b32_e32 v14, 24, v14
	v_add_u32_e32 v14, v27, v14
	v_cmp_gt_u32_e64 s[4:5], 64, v0
	s_barrier
	ds_write_b64 v14, v[28:29]
	s_waitcnt lgkmcnt(0)
	s_barrier
	s_and_saveexec_b64 s[18:19], s[4:5]
	s_cbranch_execz .LBB443_18
; %bb.15:
	v_lshlrev_b32_e32 v14, 1, v0
	v_lshrrev_b32_e32 v15, 4, v0
	v_add_lshl_u32 v30, v15, v14, 3
	ds_read2_b64 v[14:17], v30 offset1:1
	s_waitcnt lgkmcnt(0)
	v_add_co_u32_e64 v32, s[4:5], v16, v14
	v_addc_co_u32_e64 v33, s[4:5], v17, v15, s[4:5]
	s_nop 0
	v_mov_b32_dpp v17, v32 row_shr:1 row_mask:0xf bank_mask:0xf
	v_add_co_u32_e64 v17, s[4:5], v32, v17
	v_mbcnt_lo_u32_b32 v16, -1, 0
	v_addc_co_u32_e64 v35, s[4:5], 0, v33, s[4:5]
	v_mbcnt_hi_u32_b32 v31, -1, v16
	v_mov_b32_dpp v34, v33 row_shr:1 row_mask:0xf bank_mask:0xf
	v_add_co_u32_e64 v36, s[4:5], 0, v17
	v_and_b32_e32 v16, 15, v31
	v_addc_co_u32_e64 v34, s[4:5], v34, v35, s[4:5]
	v_cmp_eq_u32_e64 s[4:5], 0, v16
	v_cndmask_b32_e64 v17, v17, v32, s[4:5]
	v_cndmask_b32_e64 v34, v34, v33, s[4:5]
	v_cndmask_b32_e64 v35, v36, v32, s[4:5]
	v_mov_b32_dpp v36, v17 row_shr:2 row_mask:0xf bank_mask:0xf
	v_mov_b32_dpp v37, v34 row_shr:2 row_mask:0xf bank_mask:0xf
	v_add_co_u32_e64 v36, s[4:5], v36, v35
	v_addc_co_u32_e64 v37, s[4:5], v37, v34, s[4:5]
	v_cmp_lt_u32_e64 s[4:5], 1, v16
	v_cndmask_b32_e64 v17, v17, v36, s[4:5]
	v_cndmask_b32_e64 v34, v34, v37, s[4:5]
	v_cndmask_b32_e64 v35, v35, v36, s[4:5]
	v_mov_b32_dpp v36, v17 row_shr:4 row_mask:0xf bank_mask:0xf
	v_mov_b32_dpp v37, v34 row_shr:4 row_mask:0xf bank_mask:0xf
	v_add_co_u32_e64 v36, s[4:5], v36, v35
	v_addc_co_u32_e64 v37, s[4:5], v37, v34, s[4:5]
	v_cmp_lt_u32_e64 s[4:5], 3, v16
	v_cndmask_b32_e64 v17, v17, v36, s[4:5]
	v_cndmask_b32_e64 v34, v34, v37, s[4:5]
	v_cndmask_b32_e64 v35, v35, v36, s[4:5]
	v_mov_b32_dpp v36, v17 row_shr:8 row_mask:0xf bank_mask:0xf
	v_mov_b32_dpp v37, v34 row_shr:8 row_mask:0xf bank_mask:0xf
	v_add_co_u32_e64 v36, s[4:5], v36, v35
	v_addc_co_u32_e64 v37, s[4:5], v37, v34, s[4:5]
	v_cmp_lt_u32_e64 s[4:5], 7, v16
	v_cndmask_b32_e64 v38, v17, v36, s[4:5]
	v_cndmask_b32_e64 v17, v34, v37, s[4:5]
	;; [unrolled: 1-line block ×3, first 2 shown]
	v_mov_b32_dpp v34, v38 row_bcast:15 row_mask:0xf bank_mask:0xf
	v_mov_b32_dpp v35, v17 row_bcast:15 row_mask:0xf bank_mask:0xf
	v_add_co_u32_e64 v34, s[4:5], v34, v16
	v_and_b32_e32 v37, 16, v31
	v_addc_co_u32_e64 v36, s[4:5], v35, v17, s[4:5]
	v_cmp_eq_u32_e64 s[4:5], 0, v37
	v_cndmask_b32_e64 v37, v36, v17, s[4:5]
	v_cndmask_b32_e64 v35, v34, v38, s[4:5]
	v_cmp_ne_u32_e64 s[14:15], 0, v31
	v_mov_b32_dpp v37, v37 row_bcast:31 row_mask:0xf bank_mask:0xf
	v_mov_b32_dpp v35, v35 row_bcast:31 row_mask:0xf bank_mask:0xf
	s_and_saveexec_b64 s[22:23], s[14:15]
; %bb.16:
	v_cndmask_b32_e64 v17, v36, v17, s[4:5]
	v_cndmask_b32_e64 v16, v34, v16, s[4:5]
	v_cmp_lt_u32_e64 s[4:5], 31, v31
	v_cndmask_b32_e64 v32, 0, v35, s[4:5]
	v_cndmask_b32_e64 v33, 0, v37, s[4:5]
	v_add_co_u32_e64 v32, s[4:5], v32, v16
	v_addc_co_u32_e64 v33, s[4:5], v33, v17, s[4:5]
; %bb.17:
	s_or_b64 exec, exec, s[22:23]
	v_add_u32_e32 v16, -1, v31
	v_and_b32_e32 v17, 64, v31
	v_cmp_lt_i32_e64 s[4:5], v16, v17
	v_cndmask_b32_e64 v16, v16, v31, s[4:5]
	v_lshlrev_b32_e32 v16, 2, v16
	ds_bpermute_b32 v17, v16, v32
	ds_bpermute_b32 v16, v16, v33
	; wave barrier
	s_waitcnt lgkmcnt(1)
	v_add_co_u32_e64 v14, s[4:5], v14, v17
	v_addc_co_u32_e64 v15, s[4:5], 0, v15, s[4:5]
	v_add_co_u32_e64 v14, s[4:5], 0, v14
	s_waitcnt lgkmcnt(0)
	v_addc_co_u32_e64 v15, s[4:5], v15, v16, s[4:5]
	v_cmp_eq_u32_e64 s[4:5], 0, v0
	v_cndmask_b32_e64 v15, v15, v29, s[4:5]
	v_cndmask_b32_e64 v14, v14, v28, s[4:5]
	ds_write_b64 v30, v[14:15]
	; wave barrier
	ds_read_b64 v[16:17], v30 offset:8
	s_waitcnt lgkmcnt(0)
	v_add_co_u32_e64 v14, s[4:5], v16, v14
	v_addc_co_u32_e64 v15, s[4:5], v17, v15, s[4:5]
	ds_write_b64 v30, v[14:15] offset:8
.LBB443_18:
	s_or_b64 exec, exec, s[18:19]
	v_mul_u32_u24_e32 v14, 48, v0
	v_cmp_ne_u32_e64 s[4:5], 0, v0
	s_waitcnt lgkmcnt(0)
	s_barrier
	s_and_saveexec_b64 s[14:15], s[4:5]
	s_cbranch_execz .LBB443_20
; %bb.19:
	v_add_u32_e32 v0, -1, v0
	v_lshrrev_b32_e32 v15, 5, v0
	v_add_lshl_u32 v0, v15, v0, 3
	ds_read_b64 v[28:29], v0
.LBB443_20:
	s_or_b64 exec, exec, s[14:15]
	s_and_saveexec_b64 s[14:15], s[4:5]
	s_cbranch_execz .LBB443_22
; %bb.21:
	s_waitcnt lgkmcnt(0)
	v_add_co_u32_e64 v2, s[4:5], v28, v2
	v_addc_co_u32_e64 v3, s[4:5], v29, v3, s[4:5]
	v_add_co_u32_e64 v20, s[4:5], v2, v4
	v_addc_co_u32_e64 v1, s[4:5], v3, v5, s[4:5]
	;; [unrolled: 2-line block ×5, first 2 shown]
	;;#ASMSTART
	;;#ASMEND
.LBB443_22:
	s_or_b64 exec, exec, s[14:15]
	v_mov_b32_e32 v11, s21
	v_add_co_u32_e64 v2, s[4:5], s20, v2
	v_addc_co_u32_e64 v3, s[4:5], v3, v11, s[4:5]
	v_add_co_u32_e64 v0, s[4:5], s20, v20
	v_addc_co_u32_e64 v1, s[4:5], v1, v11, s[4:5]
	;; [unrolled: 2-line block ×6, first 2 shown]
	v_add_co_u32_e64 v12, s[4:5], v8, v18
	v_add_u32_e32 v14, v27, v14
	v_addc_co_u32_e64 v13, s[4:5], v9, v19, s[4:5]
	s_waitcnt lgkmcnt(0)
	s_barrier
	ds_write2_b64 v14, v[2:3], v[0:1] offset1:1
	ds_write2_b64 v14, v[4:5], v[6:7] offset0:2 offset1:3
	ds_write2_b64 v14, v[10:11], v[8:9] offset0:4 offset1:5
	ds_write_b64 v14, v[12:13] offset:48
	s_waitcnt lgkmcnt(0)
	s_barrier
	ds_read2st64_b64 v[8:11], v27 offset0:2 offset1:4
	ds_read2st64_b64 v[4:7], v27 offset0:6 offset1:8
	;; [unrolled: 1-line block ×3, first 2 shown]
	v_mov_b32_e32 v13, s17
	v_add_co_u32_e64 v12, s[4:5], s16, v27
	v_addc_co_u32_e64 v13, s[4:5], 0, v13, s[4:5]
	s_and_saveexec_b64 s[4:5], vcc
	s_cbranch_execnz .LBB443_30
; %bb.23:
	s_or_b64 exec, exec, s[4:5]
	s_and_saveexec_b64 s[4:5], s[0:1]
	s_cbranch_execnz .LBB443_31
.LBB443_24:
	s_or_b64 exec, exec, s[4:5]
	s_and_saveexec_b64 s[0:1], s[2:3]
	s_cbranch_execnz .LBB443_32
.LBB443_25:
	s_or_b64 exec, exec, s[0:1]
	s_and_saveexec_b64 s[0:1], s[12:13]
	s_cbranch_execnz .LBB443_33
.LBB443_26:
	s_or_b64 exec, exec, s[0:1]
	s_and_saveexec_b64 s[0:1], s[6:7]
	s_cbranch_execnz .LBB443_34
.LBB443_27:
	s_or_b64 exec, exec, s[0:1]
	s_and_saveexec_b64 s[0:1], s[8:9]
	s_cbranch_execnz .LBB443_35
.LBB443_28:
	s_or_b64 exec, exec, s[0:1]
	s_and_saveexec_b64 s[0:1], s[10:11]
	s_cbranch_execnz .LBB443_36
.LBB443_29:
	s_endpgm
.LBB443_30:
	ds_read_b64 v[14:15], v27
	s_waitcnt lgkmcnt(0)
	global_store_dwordx2 v[12:13], v[14:15], off
	s_or_b64 exec, exec, s[4:5]
	s_and_saveexec_b64 s[4:5], s[0:1]
	s_cbranch_execz .LBB443_24
.LBB443_31:
	s_waitcnt lgkmcnt(2)
	global_store_dwordx2 v[12:13], v[8:9], off offset:1024
	s_or_b64 exec, exec, s[4:5]
	s_and_saveexec_b64 s[0:1], s[2:3]
	s_cbranch_execz .LBB443_25
.LBB443_32:
	s_waitcnt lgkmcnt(2)
	global_store_dwordx2 v[12:13], v[10:11], off offset:2048
	s_or_b64 exec, exec, s[0:1]
	s_and_saveexec_b64 s[0:1], s[12:13]
	s_cbranch_execz .LBB443_26
.LBB443_33:
	s_waitcnt lgkmcnt(1)
	global_store_dwordx2 v[12:13], v[4:5], off offset:3072
	s_or_b64 exec, exec, s[0:1]
	s_and_saveexec_b64 s[0:1], s[6:7]
	s_cbranch_execz .LBB443_27
.LBB443_34:
	s_waitcnt lgkmcnt(1)
	v_add_co_u32_e32 v4, vcc, 0x1000, v12
	v_addc_co_u32_e32 v5, vcc, 0, v13, vcc
	global_store_dwordx2 v[4:5], v[6:7], off
	s_or_b64 exec, exec, s[0:1]
	s_and_saveexec_b64 s[0:1], s[8:9]
	s_cbranch_execz .LBB443_28
.LBB443_35:
	s_waitcnt lgkmcnt(1)
	v_add_co_u32_e32 v4, vcc, 0x1000, v12
	v_addc_co_u32_e32 v5, vcc, 0, v13, vcc
	s_waitcnt lgkmcnt(0)
	global_store_dwordx2 v[4:5], v[0:1], off offset:1024
	s_or_b64 exec, exec, s[0:1]
	s_and_saveexec_b64 s[0:1], s[10:11]
	s_cbranch_execz .LBB443_29
.LBB443_36:
	s_waitcnt lgkmcnt(0)
	v_add_co_u32_e32 v0, vcc, 0x1000, v12
	v_addc_co_u32_e32 v1, vcc, 0, v13, vcc
	global_store_dwordx2 v[0:1], v[2:3], off offset:2048
	s_endpgm
	.section	.rodata,"a",@progbits
	.p2align	6, 0x0
	.amdhsa_kernel _ZN7rocprim17ROCPRIM_400000_NS6detail17trampoline_kernelINS0_14default_configENS1_20scan_config_selectorIxEEZZNS1_9scan_implILNS1_25lookback_scan_determinismE0ELb0ELb1ES3_N6thrust23THRUST_200600_302600_NS6detail15normal_iteratorINS9_10device_ptrIxEEEESE_xNS9_4plusIxEExEEDaPvRmT3_T4_T5_mT6_P12ihipStream_tbENKUlT_T0_E_clISt17integral_constantIbLb1EESU_EEDaSP_SQ_EUlSP_E0_NS1_11comp_targetILNS1_3genE4ELNS1_11target_archE910ELNS1_3gpuE8ELNS1_3repE0EEENS1_30default_config_static_selectorELNS0_4arch9wavefront6targetE1EEEvT1_
		.amdhsa_group_segment_fixed_size 7168
		.amdhsa_private_segment_fixed_size 0
		.amdhsa_kernarg_size 40
		.amdhsa_user_sgpr_count 6
		.amdhsa_user_sgpr_private_segment_buffer 1
		.amdhsa_user_sgpr_dispatch_ptr 0
		.amdhsa_user_sgpr_queue_ptr 0
		.amdhsa_user_sgpr_kernarg_segment_ptr 1
		.amdhsa_user_sgpr_dispatch_id 0
		.amdhsa_user_sgpr_flat_scratch_init 0
		.amdhsa_user_sgpr_kernarg_preload_length 0
		.amdhsa_user_sgpr_kernarg_preload_offset 0
		.amdhsa_user_sgpr_private_segment_size 0
		.amdhsa_uses_dynamic_stack 0
		.amdhsa_system_sgpr_private_segment_wavefront_offset 0
		.amdhsa_system_sgpr_workgroup_id_x 1
		.amdhsa_system_sgpr_workgroup_id_y 0
		.amdhsa_system_sgpr_workgroup_id_z 0
		.amdhsa_system_sgpr_workgroup_info 0
		.amdhsa_system_vgpr_workitem_id 0
		.amdhsa_next_free_vgpr 39
		.amdhsa_next_free_sgpr 24
		.amdhsa_accum_offset 40
		.amdhsa_reserve_vcc 1
		.amdhsa_reserve_flat_scratch 0
		.amdhsa_float_round_mode_32 0
		.amdhsa_float_round_mode_16_64 0
		.amdhsa_float_denorm_mode_32 3
		.amdhsa_float_denorm_mode_16_64 3
		.amdhsa_dx10_clamp 1
		.amdhsa_ieee_mode 1
		.amdhsa_fp16_overflow 0
		.amdhsa_tg_split 0
		.amdhsa_exception_fp_ieee_invalid_op 0
		.amdhsa_exception_fp_denorm_src 0
		.amdhsa_exception_fp_ieee_div_zero 0
		.amdhsa_exception_fp_ieee_overflow 0
		.amdhsa_exception_fp_ieee_underflow 0
		.amdhsa_exception_fp_ieee_inexact 0
		.amdhsa_exception_int_div_zero 0
	.end_amdhsa_kernel
	.section	.text._ZN7rocprim17ROCPRIM_400000_NS6detail17trampoline_kernelINS0_14default_configENS1_20scan_config_selectorIxEEZZNS1_9scan_implILNS1_25lookback_scan_determinismE0ELb0ELb1ES3_N6thrust23THRUST_200600_302600_NS6detail15normal_iteratorINS9_10device_ptrIxEEEESE_xNS9_4plusIxEExEEDaPvRmT3_T4_T5_mT6_P12ihipStream_tbENKUlT_T0_E_clISt17integral_constantIbLb1EESU_EEDaSP_SQ_EUlSP_E0_NS1_11comp_targetILNS1_3genE4ELNS1_11target_archE910ELNS1_3gpuE8ELNS1_3repE0EEENS1_30default_config_static_selectorELNS0_4arch9wavefront6targetE1EEEvT1_,"axG",@progbits,_ZN7rocprim17ROCPRIM_400000_NS6detail17trampoline_kernelINS0_14default_configENS1_20scan_config_selectorIxEEZZNS1_9scan_implILNS1_25lookback_scan_determinismE0ELb0ELb1ES3_N6thrust23THRUST_200600_302600_NS6detail15normal_iteratorINS9_10device_ptrIxEEEESE_xNS9_4plusIxEExEEDaPvRmT3_T4_T5_mT6_P12ihipStream_tbENKUlT_T0_E_clISt17integral_constantIbLb1EESU_EEDaSP_SQ_EUlSP_E0_NS1_11comp_targetILNS1_3genE4ELNS1_11target_archE910ELNS1_3gpuE8ELNS1_3repE0EEENS1_30default_config_static_selectorELNS0_4arch9wavefront6targetE1EEEvT1_,comdat
.Lfunc_end443:
	.size	_ZN7rocprim17ROCPRIM_400000_NS6detail17trampoline_kernelINS0_14default_configENS1_20scan_config_selectorIxEEZZNS1_9scan_implILNS1_25lookback_scan_determinismE0ELb0ELb1ES3_N6thrust23THRUST_200600_302600_NS6detail15normal_iteratorINS9_10device_ptrIxEEEESE_xNS9_4plusIxEExEEDaPvRmT3_T4_T5_mT6_P12ihipStream_tbENKUlT_T0_E_clISt17integral_constantIbLb1EESU_EEDaSP_SQ_EUlSP_E0_NS1_11comp_targetILNS1_3genE4ELNS1_11target_archE910ELNS1_3gpuE8ELNS1_3repE0EEENS1_30default_config_static_selectorELNS0_4arch9wavefront6targetE1EEEvT1_, .Lfunc_end443-_ZN7rocprim17ROCPRIM_400000_NS6detail17trampoline_kernelINS0_14default_configENS1_20scan_config_selectorIxEEZZNS1_9scan_implILNS1_25lookback_scan_determinismE0ELb0ELb1ES3_N6thrust23THRUST_200600_302600_NS6detail15normal_iteratorINS9_10device_ptrIxEEEESE_xNS9_4plusIxEExEEDaPvRmT3_T4_T5_mT6_P12ihipStream_tbENKUlT_T0_E_clISt17integral_constantIbLb1EESU_EEDaSP_SQ_EUlSP_E0_NS1_11comp_targetILNS1_3genE4ELNS1_11target_archE910ELNS1_3gpuE8ELNS1_3repE0EEENS1_30default_config_static_selectorELNS0_4arch9wavefront6targetE1EEEvT1_
                                        ; -- End function
	.section	.AMDGPU.csdata,"",@progbits
; Kernel info:
; codeLenInByte = 1884
; NumSgprs: 28
; NumVgprs: 39
; NumAgprs: 0
; TotalNumVgprs: 39
; ScratchSize: 0
; MemoryBound: 0
; FloatMode: 240
; IeeeMode: 1
; LDSByteSize: 7168 bytes/workgroup (compile time only)
; SGPRBlocks: 3
; VGPRBlocks: 4
; NumSGPRsForWavesPerEU: 28
; NumVGPRsForWavesPerEU: 39
; AccumOffset: 40
; Occupancy: 5
; WaveLimiterHint : 0
; COMPUTE_PGM_RSRC2:SCRATCH_EN: 0
; COMPUTE_PGM_RSRC2:USER_SGPR: 6
; COMPUTE_PGM_RSRC2:TRAP_HANDLER: 0
; COMPUTE_PGM_RSRC2:TGID_X_EN: 1
; COMPUTE_PGM_RSRC2:TGID_Y_EN: 0
; COMPUTE_PGM_RSRC2:TGID_Z_EN: 0
; COMPUTE_PGM_RSRC2:TIDIG_COMP_CNT: 0
; COMPUTE_PGM_RSRC3_GFX90A:ACCUM_OFFSET: 9
; COMPUTE_PGM_RSRC3_GFX90A:TG_SPLIT: 0
	.section	.text._ZN7rocprim17ROCPRIM_400000_NS6detail17trampoline_kernelINS0_14default_configENS1_20scan_config_selectorIxEEZZNS1_9scan_implILNS1_25lookback_scan_determinismE0ELb0ELb1ES3_N6thrust23THRUST_200600_302600_NS6detail15normal_iteratorINS9_10device_ptrIxEEEESE_xNS9_4plusIxEExEEDaPvRmT3_T4_T5_mT6_P12ihipStream_tbENKUlT_T0_E_clISt17integral_constantIbLb1EESU_EEDaSP_SQ_EUlSP_E0_NS1_11comp_targetILNS1_3genE3ELNS1_11target_archE908ELNS1_3gpuE7ELNS1_3repE0EEENS1_30default_config_static_selectorELNS0_4arch9wavefront6targetE1EEEvT1_,"axG",@progbits,_ZN7rocprim17ROCPRIM_400000_NS6detail17trampoline_kernelINS0_14default_configENS1_20scan_config_selectorIxEEZZNS1_9scan_implILNS1_25lookback_scan_determinismE0ELb0ELb1ES3_N6thrust23THRUST_200600_302600_NS6detail15normal_iteratorINS9_10device_ptrIxEEEESE_xNS9_4plusIxEExEEDaPvRmT3_T4_T5_mT6_P12ihipStream_tbENKUlT_T0_E_clISt17integral_constantIbLb1EESU_EEDaSP_SQ_EUlSP_E0_NS1_11comp_targetILNS1_3genE3ELNS1_11target_archE908ELNS1_3gpuE7ELNS1_3repE0EEENS1_30default_config_static_selectorELNS0_4arch9wavefront6targetE1EEEvT1_,comdat
	.protected	_ZN7rocprim17ROCPRIM_400000_NS6detail17trampoline_kernelINS0_14default_configENS1_20scan_config_selectorIxEEZZNS1_9scan_implILNS1_25lookback_scan_determinismE0ELb0ELb1ES3_N6thrust23THRUST_200600_302600_NS6detail15normal_iteratorINS9_10device_ptrIxEEEESE_xNS9_4plusIxEExEEDaPvRmT3_T4_T5_mT6_P12ihipStream_tbENKUlT_T0_E_clISt17integral_constantIbLb1EESU_EEDaSP_SQ_EUlSP_E0_NS1_11comp_targetILNS1_3genE3ELNS1_11target_archE908ELNS1_3gpuE7ELNS1_3repE0EEENS1_30default_config_static_selectorELNS0_4arch9wavefront6targetE1EEEvT1_ ; -- Begin function _ZN7rocprim17ROCPRIM_400000_NS6detail17trampoline_kernelINS0_14default_configENS1_20scan_config_selectorIxEEZZNS1_9scan_implILNS1_25lookback_scan_determinismE0ELb0ELb1ES3_N6thrust23THRUST_200600_302600_NS6detail15normal_iteratorINS9_10device_ptrIxEEEESE_xNS9_4plusIxEExEEDaPvRmT3_T4_T5_mT6_P12ihipStream_tbENKUlT_T0_E_clISt17integral_constantIbLb1EESU_EEDaSP_SQ_EUlSP_E0_NS1_11comp_targetILNS1_3genE3ELNS1_11target_archE908ELNS1_3gpuE7ELNS1_3repE0EEENS1_30default_config_static_selectorELNS0_4arch9wavefront6targetE1EEEvT1_
	.globl	_ZN7rocprim17ROCPRIM_400000_NS6detail17trampoline_kernelINS0_14default_configENS1_20scan_config_selectorIxEEZZNS1_9scan_implILNS1_25lookback_scan_determinismE0ELb0ELb1ES3_N6thrust23THRUST_200600_302600_NS6detail15normal_iteratorINS9_10device_ptrIxEEEESE_xNS9_4plusIxEExEEDaPvRmT3_T4_T5_mT6_P12ihipStream_tbENKUlT_T0_E_clISt17integral_constantIbLb1EESU_EEDaSP_SQ_EUlSP_E0_NS1_11comp_targetILNS1_3genE3ELNS1_11target_archE908ELNS1_3gpuE7ELNS1_3repE0EEENS1_30default_config_static_selectorELNS0_4arch9wavefront6targetE1EEEvT1_
	.p2align	8
	.type	_ZN7rocprim17ROCPRIM_400000_NS6detail17trampoline_kernelINS0_14default_configENS1_20scan_config_selectorIxEEZZNS1_9scan_implILNS1_25lookback_scan_determinismE0ELb0ELb1ES3_N6thrust23THRUST_200600_302600_NS6detail15normal_iteratorINS9_10device_ptrIxEEEESE_xNS9_4plusIxEExEEDaPvRmT3_T4_T5_mT6_P12ihipStream_tbENKUlT_T0_E_clISt17integral_constantIbLb1EESU_EEDaSP_SQ_EUlSP_E0_NS1_11comp_targetILNS1_3genE3ELNS1_11target_archE908ELNS1_3gpuE7ELNS1_3repE0EEENS1_30default_config_static_selectorELNS0_4arch9wavefront6targetE1EEEvT1_,@function
_ZN7rocprim17ROCPRIM_400000_NS6detail17trampoline_kernelINS0_14default_configENS1_20scan_config_selectorIxEEZZNS1_9scan_implILNS1_25lookback_scan_determinismE0ELb0ELb1ES3_N6thrust23THRUST_200600_302600_NS6detail15normal_iteratorINS9_10device_ptrIxEEEESE_xNS9_4plusIxEExEEDaPvRmT3_T4_T5_mT6_P12ihipStream_tbENKUlT_T0_E_clISt17integral_constantIbLb1EESU_EEDaSP_SQ_EUlSP_E0_NS1_11comp_targetILNS1_3genE3ELNS1_11target_archE908ELNS1_3gpuE7ELNS1_3repE0EEENS1_30default_config_static_selectorELNS0_4arch9wavefront6targetE1EEEvT1_: ; @_ZN7rocprim17ROCPRIM_400000_NS6detail17trampoline_kernelINS0_14default_configENS1_20scan_config_selectorIxEEZZNS1_9scan_implILNS1_25lookback_scan_determinismE0ELb0ELb1ES3_N6thrust23THRUST_200600_302600_NS6detail15normal_iteratorINS9_10device_ptrIxEEEESE_xNS9_4plusIxEExEEDaPvRmT3_T4_T5_mT6_P12ihipStream_tbENKUlT_T0_E_clISt17integral_constantIbLb1EESU_EEDaSP_SQ_EUlSP_E0_NS1_11comp_targetILNS1_3genE3ELNS1_11target_archE908ELNS1_3gpuE7ELNS1_3repE0EEENS1_30default_config_static_selectorELNS0_4arch9wavefront6targetE1EEEvT1_
; %bb.0:
	.section	.rodata,"a",@progbits
	.p2align	6, 0x0
	.amdhsa_kernel _ZN7rocprim17ROCPRIM_400000_NS6detail17trampoline_kernelINS0_14default_configENS1_20scan_config_selectorIxEEZZNS1_9scan_implILNS1_25lookback_scan_determinismE0ELb0ELb1ES3_N6thrust23THRUST_200600_302600_NS6detail15normal_iteratorINS9_10device_ptrIxEEEESE_xNS9_4plusIxEExEEDaPvRmT3_T4_T5_mT6_P12ihipStream_tbENKUlT_T0_E_clISt17integral_constantIbLb1EESU_EEDaSP_SQ_EUlSP_E0_NS1_11comp_targetILNS1_3genE3ELNS1_11target_archE908ELNS1_3gpuE7ELNS1_3repE0EEENS1_30default_config_static_selectorELNS0_4arch9wavefront6targetE1EEEvT1_
		.amdhsa_group_segment_fixed_size 0
		.amdhsa_private_segment_fixed_size 0
		.amdhsa_kernarg_size 40
		.amdhsa_user_sgpr_count 6
		.amdhsa_user_sgpr_private_segment_buffer 1
		.amdhsa_user_sgpr_dispatch_ptr 0
		.amdhsa_user_sgpr_queue_ptr 0
		.amdhsa_user_sgpr_kernarg_segment_ptr 1
		.amdhsa_user_sgpr_dispatch_id 0
		.amdhsa_user_sgpr_flat_scratch_init 0
		.amdhsa_user_sgpr_kernarg_preload_length 0
		.amdhsa_user_sgpr_kernarg_preload_offset 0
		.amdhsa_user_sgpr_private_segment_size 0
		.amdhsa_uses_dynamic_stack 0
		.amdhsa_system_sgpr_private_segment_wavefront_offset 0
		.amdhsa_system_sgpr_workgroup_id_x 1
		.amdhsa_system_sgpr_workgroup_id_y 0
		.amdhsa_system_sgpr_workgroup_id_z 0
		.amdhsa_system_sgpr_workgroup_info 0
		.amdhsa_system_vgpr_workitem_id 0
		.amdhsa_next_free_vgpr 1
		.amdhsa_next_free_sgpr 0
		.amdhsa_accum_offset 4
		.amdhsa_reserve_vcc 0
		.amdhsa_reserve_flat_scratch 0
		.amdhsa_float_round_mode_32 0
		.amdhsa_float_round_mode_16_64 0
		.amdhsa_float_denorm_mode_32 3
		.amdhsa_float_denorm_mode_16_64 3
		.amdhsa_dx10_clamp 1
		.amdhsa_ieee_mode 1
		.amdhsa_fp16_overflow 0
		.amdhsa_tg_split 0
		.amdhsa_exception_fp_ieee_invalid_op 0
		.amdhsa_exception_fp_denorm_src 0
		.amdhsa_exception_fp_ieee_div_zero 0
		.amdhsa_exception_fp_ieee_overflow 0
		.amdhsa_exception_fp_ieee_underflow 0
		.amdhsa_exception_fp_ieee_inexact 0
		.amdhsa_exception_int_div_zero 0
	.end_amdhsa_kernel
	.section	.text._ZN7rocprim17ROCPRIM_400000_NS6detail17trampoline_kernelINS0_14default_configENS1_20scan_config_selectorIxEEZZNS1_9scan_implILNS1_25lookback_scan_determinismE0ELb0ELb1ES3_N6thrust23THRUST_200600_302600_NS6detail15normal_iteratorINS9_10device_ptrIxEEEESE_xNS9_4plusIxEExEEDaPvRmT3_T4_T5_mT6_P12ihipStream_tbENKUlT_T0_E_clISt17integral_constantIbLb1EESU_EEDaSP_SQ_EUlSP_E0_NS1_11comp_targetILNS1_3genE3ELNS1_11target_archE908ELNS1_3gpuE7ELNS1_3repE0EEENS1_30default_config_static_selectorELNS0_4arch9wavefront6targetE1EEEvT1_,"axG",@progbits,_ZN7rocprim17ROCPRIM_400000_NS6detail17trampoline_kernelINS0_14default_configENS1_20scan_config_selectorIxEEZZNS1_9scan_implILNS1_25lookback_scan_determinismE0ELb0ELb1ES3_N6thrust23THRUST_200600_302600_NS6detail15normal_iteratorINS9_10device_ptrIxEEEESE_xNS9_4plusIxEExEEDaPvRmT3_T4_T5_mT6_P12ihipStream_tbENKUlT_T0_E_clISt17integral_constantIbLb1EESU_EEDaSP_SQ_EUlSP_E0_NS1_11comp_targetILNS1_3genE3ELNS1_11target_archE908ELNS1_3gpuE7ELNS1_3repE0EEENS1_30default_config_static_selectorELNS0_4arch9wavefront6targetE1EEEvT1_,comdat
.Lfunc_end444:
	.size	_ZN7rocprim17ROCPRIM_400000_NS6detail17trampoline_kernelINS0_14default_configENS1_20scan_config_selectorIxEEZZNS1_9scan_implILNS1_25lookback_scan_determinismE0ELb0ELb1ES3_N6thrust23THRUST_200600_302600_NS6detail15normal_iteratorINS9_10device_ptrIxEEEESE_xNS9_4plusIxEExEEDaPvRmT3_T4_T5_mT6_P12ihipStream_tbENKUlT_T0_E_clISt17integral_constantIbLb1EESU_EEDaSP_SQ_EUlSP_E0_NS1_11comp_targetILNS1_3genE3ELNS1_11target_archE908ELNS1_3gpuE7ELNS1_3repE0EEENS1_30default_config_static_selectorELNS0_4arch9wavefront6targetE1EEEvT1_, .Lfunc_end444-_ZN7rocprim17ROCPRIM_400000_NS6detail17trampoline_kernelINS0_14default_configENS1_20scan_config_selectorIxEEZZNS1_9scan_implILNS1_25lookback_scan_determinismE0ELb0ELb1ES3_N6thrust23THRUST_200600_302600_NS6detail15normal_iteratorINS9_10device_ptrIxEEEESE_xNS9_4plusIxEExEEDaPvRmT3_T4_T5_mT6_P12ihipStream_tbENKUlT_T0_E_clISt17integral_constantIbLb1EESU_EEDaSP_SQ_EUlSP_E0_NS1_11comp_targetILNS1_3genE3ELNS1_11target_archE908ELNS1_3gpuE7ELNS1_3repE0EEENS1_30default_config_static_selectorELNS0_4arch9wavefront6targetE1EEEvT1_
                                        ; -- End function
	.section	.AMDGPU.csdata,"",@progbits
; Kernel info:
; codeLenInByte = 0
; NumSgprs: 4
; NumVgprs: 0
; NumAgprs: 0
; TotalNumVgprs: 0
; ScratchSize: 0
; MemoryBound: 0
; FloatMode: 240
; IeeeMode: 1
; LDSByteSize: 0 bytes/workgroup (compile time only)
; SGPRBlocks: 0
; VGPRBlocks: 0
; NumSGPRsForWavesPerEU: 4
; NumVGPRsForWavesPerEU: 1
; AccumOffset: 4
; Occupancy: 8
; WaveLimiterHint : 0
; COMPUTE_PGM_RSRC2:SCRATCH_EN: 0
; COMPUTE_PGM_RSRC2:USER_SGPR: 6
; COMPUTE_PGM_RSRC2:TRAP_HANDLER: 0
; COMPUTE_PGM_RSRC2:TGID_X_EN: 1
; COMPUTE_PGM_RSRC2:TGID_Y_EN: 0
; COMPUTE_PGM_RSRC2:TGID_Z_EN: 0
; COMPUTE_PGM_RSRC2:TIDIG_COMP_CNT: 0
; COMPUTE_PGM_RSRC3_GFX90A:ACCUM_OFFSET: 0
; COMPUTE_PGM_RSRC3_GFX90A:TG_SPLIT: 0
	.section	.text._ZN7rocprim17ROCPRIM_400000_NS6detail17trampoline_kernelINS0_14default_configENS1_20scan_config_selectorIxEEZZNS1_9scan_implILNS1_25lookback_scan_determinismE0ELb0ELb1ES3_N6thrust23THRUST_200600_302600_NS6detail15normal_iteratorINS9_10device_ptrIxEEEESE_xNS9_4plusIxEExEEDaPvRmT3_T4_T5_mT6_P12ihipStream_tbENKUlT_T0_E_clISt17integral_constantIbLb1EESU_EEDaSP_SQ_EUlSP_E0_NS1_11comp_targetILNS1_3genE2ELNS1_11target_archE906ELNS1_3gpuE6ELNS1_3repE0EEENS1_30default_config_static_selectorELNS0_4arch9wavefront6targetE1EEEvT1_,"axG",@progbits,_ZN7rocprim17ROCPRIM_400000_NS6detail17trampoline_kernelINS0_14default_configENS1_20scan_config_selectorIxEEZZNS1_9scan_implILNS1_25lookback_scan_determinismE0ELb0ELb1ES3_N6thrust23THRUST_200600_302600_NS6detail15normal_iteratorINS9_10device_ptrIxEEEESE_xNS9_4plusIxEExEEDaPvRmT3_T4_T5_mT6_P12ihipStream_tbENKUlT_T0_E_clISt17integral_constantIbLb1EESU_EEDaSP_SQ_EUlSP_E0_NS1_11comp_targetILNS1_3genE2ELNS1_11target_archE906ELNS1_3gpuE6ELNS1_3repE0EEENS1_30default_config_static_selectorELNS0_4arch9wavefront6targetE1EEEvT1_,comdat
	.protected	_ZN7rocprim17ROCPRIM_400000_NS6detail17trampoline_kernelINS0_14default_configENS1_20scan_config_selectorIxEEZZNS1_9scan_implILNS1_25lookback_scan_determinismE0ELb0ELb1ES3_N6thrust23THRUST_200600_302600_NS6detail15normal_iteratorINS9_10device_ptrIxEEEESE_xNS9_4plusIxEExEEDaPvRmT3_T4_T5_mT6_P12ihipStream_tbENKUlT_T0_E_clISt17integral_constantIbLb1EESU_EEDaSP_SQ_EUlSP_E0_NS1_11comp_targetILNS1_3genE2ELNS1_11target_archE906ELNS1_3gpuE6ELNS1_3repE0EEENS1_30default_config_static_selectorELNS0_4arch9wavefront6targetE1EEEvT1_ ; -- Begin function _ZN7rocprim17ROCPRIM_400000_NS6detail17trampoline_kernelINS0_14default_configENS1_20scan_config_selectorIxEEZZNS1_9scan_implILNS1_25lookback_scan_determinismE0ELb0ELb1ES3_N6thrust23THRUST_200600_302600_NS6detail15normal_iteratorINS9_10device_ptrIxEEEESE_xNS9_4plusIxEExEEDaPvRmT3_T4_T5_mT6_P12ihipStream_tbENKUlT_T0_E_clISt17integral_constantIbLb1EESU_EEDaSP_SQ_EUlSP_E0_NS1_11comp_targetILNS1_3genE2ELNS1_11target_archE906ELNS1_3gpuE6ELNS1_3repE0EEENS1_30default_config_static_selectorELNS0_4arch9wavefront6targetE1EEEvT1_
	.globl	_ZN7rocprim17ROCPRIM_400000_NS6detail17trampoline_kernelINS0_14default_configENS1_20scan_config_selectorIxEEZZNS1_9scan_implILNS1_25lookback_scan_determinismE0ELb0ELb1ES3_N6thrust23THRUST_200600_302600_NS6detail15normal_iteratorINS9_10device_ptrIxEEEESE_xNS9_4plusIxEExEEDaPvRmT3_T4_T5_mT6_P12ihipStream_tbENKUlT_T0_E_clISt17integral_constantIbLb1EESU_EEDaSP_SQ_EUlSP_E0_NS1_11comp_targetILNS1_3genE2ELNS1_11target_archE906ELNS1_3gpuE6ELNS1_3repE0EEENS1_30default_config_static_selectorELNS0_4arch9wavefront6targetE1EEEvT1_
	.p2align	8
	.type	_ZN7rocprim17ROCPRIM_400000_NS6detail17trampoline_kernelINS0_14default_configENS1_20scan_config_selectorIxEEZZNS1_9scan_implILNS1_25lookback_scan_determinismE0ELb0ELb1ES3_N6thrust23THRUST_200600_302600_NS6detail15normal_iteratorINS9_10device_ptrIxEEEESE_xNS9_4plusIxEExEEDaPvRmT3_T4_T5_mT6_P12ihipStream_tbENKUlT_T0_E_clISt17integral_constantIbLb1EESU_EEDaSP_SQ_EUlSP_E0_NS1_11comp_targetILNS1_3genE2ELNS1_11target_archE906ELNS1_3gpuE6ELNS1_3repE0EEENS1_30default_config_static_selectorELNS0_4arch9wavefront6targetE1EEEvT1_,@function
_ZN7rocprim17ROCPRIM_400000_NS6detail17trampoline_kernelINS0_14default_configENS1_20scan_config_selectorIxEEZZNS1_9scan_implILNS1_25lookback_scan_determinismE0ELb0ELb1ES3_N6thrust23THRUST_200600_302600_NS6detail15normal_iteratorINS9_10device_ptrIxEEEESE_xNS9_4plusIxEExEEDaPvRmT3_T4_T5_mT6_P12ihipStream_tbENKUlT_T0_E_clISt17integral_constantIbLb1EESU_EEDaSP_SQ_EUlSP_E0_NS1_11comp_targetILNS1_3genE2ELNS1_11target_archE906ELNS1_3gpuE6ELNS1_3repE0EEENS1_30default_config_static_selectorELNS0_4arch9wavefront6targetE1EEEvT1_: ; @_ZN7rocprim17ROCPRIM_400000_NS6detail17trampoline_kernelINS0_14default_configENS1_20scan_config_selectorIxEEZZNS1_9scan_implILNS1_25lookback_scan_determinismE0ELb0ELb1ES3_N6thrust23THRUST_200600_302600_NS6detail15normal_iteratorINS9_10device_ptrIxEEEESE_xNS9_4plusIxEExEEDaPvRmT3_T4_T5_mT6_P12ihipStream_tbENKUlT_T0_E_clISt17integral_constantIbLb1EESU_EEDaSP_SQ_EUlSP_E0_NS1_11comp_targetILNS1_3genE2ELNS1_11target_archE906ELNS1_3gpuE6ELNS1_3repE0EEENS1_30default_config_static_selectorELNS0_4arch9wavefront6targetE1EEEvT1_
; %bb.0:
	.section	.rodata,"a",@progbits
	.p2align	6, 0x0
	.amdhsa_kernel _ZN7rocprim17ROCPRIM_400000_NS6detail17trampoline_kernelINS0_14default_configENS1_20scan_config_selectorIxEEZZNS1_9scan_implILNS1_25lookback_scan_determinismE0ELb0ELb1ES3_N6thrust23THRUST_200600_302600_NS6detail15normal_iteratorINS9_10device_ptrIxEEEESE_xNS9_4plusIxEExEEDaPvRmT3_T4_T5_mT6_P12ihipStream_tbENKUlT_T0_E_clISt17integral_constantIbLb1EESU_EEDaSP_SQ_EUlSP_E0_NS1_11comp_targetILNS1_3genE2ELNS1_11target_archE906ELNS1_3gpuE6ELNS1_3repE0EEENS1_30default_config_static_selectorELNS0_4arch9wavefront6targetE1EEEvT1_
		.amdhsa_group_segment_fixed_size 0
		.amdhsa_private_segment_fixed_size 0
		.amdhsa_kernarg_size 40
		.amdhsa_user_sgpr_count 6
		.amdhsa_user_sgpr_private_segment_buffer 1
		.amdhsa_user_sgpr_dispatch_ptr 0
		.amdhsa_user_sgpr_queue_ptr 0
		.amdhsa_user_sgpr_kernarg_segment_ptr 1
		.amdhsa_user_sgpr_dispatch_id 0
		.amdhsa_user_sgpr_flat_scratch_init 0
		.amdhsa_user_sgpr_kernarg_preload_length 0
		.amdhsa_user_sgpr_kernarg_preload_offset 0
		.amdhsa_user_sgpr_private_segment_size 0
		.amdhsa_uses_dynamic_stack 0
		.amdhsa_system_sgpr_private_segment_wavefront_offset 0
		.amdhsa_system_sgpr_workgroup_id_x 1
		.amdhsa_system_sgpr_workgroup_id_y 0
		.amdhsa_system_sgpr_workgroup_id_z 0
		.amdhsa_system_sgpr_workgroup_info 0
		.amdhsa_system_vgpr_workitem_id 0
		.amdhsa_next_free_vgpr 1
		.amdhsa_next_free_sgpr 0
		.amdhsa_accum_offset 4
		.amdhsa_reserve_vcc 0
		.amdhsa_reserve_flat_scratch 0
		.amdhsa_float_round_mode_32 0
		.amdhsa_float_round_mode_16_64 0
		.amdhsa_float_denorm_mode_32 3
		.amdhsa_float_denorm_mode_16_64 3
		.amdhsa_dx10_clamp 1
		.amdhsa_ieee_mode 1
		.amdhsa_fp16_overflow 0
		.amdhsa_tg_split 0
		.amdhsa_exception_fp_ieee_invalid_op 0
		.amdhsa_exception_fp_denorm_src 0
		.amdhsa_exception_fp_ieee_div_zero 0
		.amdhsa_exception_fp_ieee_overflow 0
		.amdhsa_exception_fp_ieee_underflow 0
		.amdhsa_exception_fp_ieee_inexact 0
		.amdhsa_exception_int_div_zero 0
	.end_amdhsa_kernel
	.section	.text._ZN7rocprim17ROCPRIM_400000_NS6detail17trampoline_kernelINS0_14default_configENS1_20scan_config_selectorIxEEZZNS1_9scan_implILNS1_25lookback_scan_determinismE0ELb0ELb1ES3_N6thrust23THRUST_200600_302600_NS6detail15normal_iteratorINS9_10device_ptrIxEEEESE_xNS9_4plusIxEExEEDaPvRmT3_T4_T5_mT6_P12ihipStream_tbENKUlT_T0_E_clISt17integral_constantIbLb1EESU_EEDaSP_SQ_EUlSP_E0_NS1_11comp_targetILNS1_3genE2ELNS1_11target_archE906ELNS1_3gpuE6ELNS1_3repE0EEENS1_30default_config_static_selectorELNS0_4arch9wavefront6targetE1EEEvT1_,"axG",@progbits,_ZN7rocprim17ROCPRIM_400000_NS6detail17trampoline_kernelINS0_14default_configENS1_20scan_config_selectorIxEEZZNS1_9scan_implILNS1_25lookback_scan_determinismE0ELb0ELb1ES3_N6thrust23THRUST_200600_302600_NS6detail15normal_iteratorINS9_10device_ptrIxEEEESE_xNS9_4plusIxEExEEDaPvRmT3_T4_T5_mT6_P12ihipStream_tbENKUlT_T0_E_clISt17integral_constantIbLb1EESU_EEDaSP_SQ_EUlSP_E0_NS1_11comp_targetILNS1_3genE2ELNS1_11target_archE906ELNS1_3gpuE6ELNS1_3repE0EEENS1_30default_config_static_selectorELNS0_4arch9wavefront6targetE1EEEvT1_,comdat
.Lfunc_end445:
	.size	_ZN7rocprim17ROCPRIM_400000_NS6detail17trampoline_kernelINS0_14default_configENS1_20scan_config_selectorIxEEZZNS1_9scan_implILNS1_25lookback_scan_determinismE0ELb0ELb1ES3_N6thrust23THRUST_200600_302600_NS6detail15normal_iteratorINS9_10device_ptrIxEEEESE_xNS9_4plusIxEExEEDaPvRmT3_T4_T5_mT6_P12ihipStream_tbENKUlT_T0_E_clISt17integral_constantIbLb1EESU_EEDaSP_SQ_EUlSP_E0_NS1_11comp_targetILNS1_3genE2ELNS1_11target_archE906ELNS1_3gpuE6ELNS1_3repE0EEENS1_30default_config_static_selectorELNS0_4arch9wavefront6targetE1EEEvT1_, .Lfunc_end445-_ZN7rocprim17ROCPRIM_400000_NS6detail17trampoline_kernelINS0_14default_configENS1_20scan_config_selectorIxEEZZNS1_9scan_implILNS1_25lookback_scan_determinismE0ELb0ELb1ES3_N6thrust23THRUST_200600_302600_NS6detail15normal_iteratorINS9_10device_ptrIxEEEESE_xNS9_4plusIxEExEEDaPvRmT3_T4_T5_mT6_P12ihipStream_tbENKUlT_T0_E_clISt17integral_constantIbLb1EESU_EEDaSP_SQ_EUlSP_E0_NS1_11comp_targetILNS1_3genE2ELNS1_11target_archE906ELNS1_3gpuE6ELNS1_3repE0EEENS1_30default_config_static_selectorELNS0_4arch9wavefront6targetE1EEEvT1_
                                        ; -- End function
	.section	.AMDGPU.csdata,"",@progbits
; Kernel info:
; codeLenInByte = 0
; NumSgprs: 4
; NumVgprs: 0
; NumAgprs: 0
; TotalNumVgprs: 0
; ScratchSize: 0
; MemoryBound: 0
; FloatMode: 240
; IeeeMode: 1
; LDSByteSize: 0 bytes/workgroup (compile time only)
; SGPRBlocks: 0
; VGPRBlocks: 0
; NumSGPRsForWavesPerEU: 4
; NumVGPRsForWavesPerEU: 1
; AccumOffset: 4
; Occupancy: 8
; WaveLimiterHint : 0
; COMPUTE_PGM_RSRC2:SCRATCH_EN: 0
; COMPUTE_PGM_RSRC2:USER_SGPR: 6
; COMPUTE_PGM_RSRC2:TRAP_HANDLER: 0
; COMPUTE_PGM_RSRC2:TGID_X_EN: 1
; COMPUTE_PGM_RSRC2:TGID_Y_EN: 0
; COMPUTE_PGM_RSRC2:TGID_Z_EN: 0
; COMPUTE_PGM_RSRC2:TIDIG_COMP_CNT: 0
; COMPUTE_PGM_RSRC3_GFX90A:ACCUM_OFFSET: 0
; COMPUTE_PGM_RSRC3_GFX90A:TG_SPLIT: 0
	.section	.text._ZN7rocprim17ROCPRIM_400000_NS6detail17trampoline_kernelINS0_14default_configENS1_20scan_config_selectorIxEEZZNS1_9scan_implILNS1_25lookback_scan_determinismE0ELb0ELb1ES3_N6thrust23THRUST_200600_302600_NS6detail15normal_iteratorINS9_10device_ptrIxEEEESE_xNS9_4plusIxEExEEDaPvRmT3_T4_T5_mT6_P12ihipStream_tbENKUlT_T0_E_clISt17integral_constantIbLb1EESU_EEDaSP_SQ_EUlSP_E0_NS1_11comp_targetILNS1_3genE10ELNS1_11target_archE1201ELNS1_3gpuE5ELNS1_3repE0EEENS1_30default_config_static_selectorELNS0_4arch9wavefront6targetE1EEEvT1_,"axG",@progbits,_ZN7rocprim17ROCPRIM_400000_NS6detail17trampoline_kernelINS0_14default_configENS1_20scan_config_selectorIxEEZZNS1_9scan_implILNS1_25lookback_scan_determinismE0ELb0ELb1ES3_N6thrust23THRUST_200600_302600_NS6detail15normal_iteratorINS9_10device_ptrIxEEEESE_xNS9_4plusIxEExEEDaPvRmT3_T4_T5_mT6_P12ihipStream_tbENKUlT_T0_E_clISt17integral_constantIbLb1EESU_EEDaSP_SQ_EUlSP_E0_NS1_11comp_targetILNS1_3genE10ELNS1_11target_archE1201ELNS1_3gpuE5ELNS1_3repE0EEENS1_30default_config_static_selectorELNS0_4arch9wavefront6targetE1EEEvT1_,comdat
	.protected	_ZN7rocprim17ROCPRIM_400000_NS6detail17trampoline_kernelINS0_14default_configENS1_20scan_config_selectorIxEEZZNS1_9scan_implILNS1_25lookback_scan_determinismE0ELb0ELb1ES3_N6thrust23THRUST_200600_302600_NS6detail15normal_iteratorINS9_10device_ptrIxEEEESE_xNS9_4plusIxEExEEDaPvRmT3_T4_T5_mT6_P12ihipStream_tbENKUlT_T0_E_clISt17integral_constantIbLb1EESU_EEDaSP_SQ_EUlSP_E0_NS1_11comp_targetILNS1_3genE10ELNS1_11target_archE1201ELNS1_3gpuE5ELNS1_3repE0EEENS1_30default_config_static_selectorELNS0_4arch9wavefront6targetE1EEEvT1_ ; -- Begin function _ZN7rocprim17ROCPRIM_400000_NS6detail17trampoline_kernelINS0_14default_configENS1_20scan_config_selectorIxEEZZNS1_9scan_implILNS1_25lookback_scan_determinismE0ELb0ELb1ES3_N6thrust23THRUST_200600_302600_NS6detail15normal_iteratorINS9_10device_ptrIxEEEESE_xNS9_4plusIxEExEEDaPvRmT3_T4_T5_mT6_P12ihipStream_tbENKUlT_T0_E_clISt17integral_constantIbLb1EESU_EEDaSP_SQ_EUlSP_E0_NS1_11comp_targetILNS1_3genE10ELNS1_11target_archE1201ELNS1_3gpuE5ELNS1_3repE0EEENS1_30default_config_static_selectorELNS0_4arch9wavefront6targetE1EEEvT1_
	.globl	_ZN7rocprim17ROCPRIM_400000_NS6detail17trampoline_kernelINS0_14default_configENS1_20scan_config_selectorIxEEZZNS1_9scan_implILNS1_25lookback_scan_determinismE0ELb0ELb1ES3_N6thrust23THRUST_200600_302600_NS6detail15normal_iteratorINS9_10device_ptrIxEEEESE_xNS9_4plusIxEExEEDaPvRmT3_T4_T5_mT6_P12ihipStream_tbENKUlT_T0_E_clISt17integral_constantIbLb1EESU_EEDaSP_SQ_EUlSP_E0_NS1_11comp_targetILNS1_3genE10ELNS1_11target_archE1201ELNS1_3gpuE5ELNS1_3repE0EEENS1_30default_config_static_selectorELNS0_4arch9wavefront6targetE1EEEvT1_
	.p2align	8
	.type	_ZN7rocprim17ROCPRIM_400000_NS6detail17trampoline_kernelINS0_14default_configENS1_20scan_config_selectorIxEEZZNS1_9scan_implILNS1_25lookback_scan_determinismE0ELb0ELb1ES3_N6thrust23THRUST_200600_302600_NS6detail15normal_iteratorINS9_10device_ptrIxEEEESE_xNS9_4plusIxEExEEDaPvRmT3_T4_T5_mT6_P12ihipStream_tbENKUlT_T0_E_clISt17integral_constantIbLb1EESU_EEDaSP_SQ_EUlSP_E0_NS1_11comp_targetILNS1_3genE10ELNS1_11target_archE1201ELNS1_3gpuE5ELNS1_3repE0EEENS1_30default_config_static_selectorELNS0_4arch9wavefront6targetE1EEEvT1_,@function
_ZN7rocprim17ROCPRIM_400000_NS6detail17trampoline_kernelINS0_14default_configENS1_20scan_config_selectorIxEEZZNS1_9scan_implILNS1_25lookback_scan_determinismE0ELb0ELb1ES3_N6thrust23THRUST_200600_302600_NS6detail15normal_iteratorINS9_10device_ptrIxEEEESE_xNS9_4plusIxEExEEDaPvRmT3_T4_T5_mT6_P12ihipStream_tbENKUlT_T0_E_clISt17integral_constantIbLb1EESU_EEDaSP_SQ_EUlSP_E0_NS1_11comp_targetILNS1_3genE10ELNS1_11target_archE1201ELNS1_3gpuE5ELNS1_3repE0EEENS1_30default_config_static_selectorELNS0_4arch9wavefront6targetE1EEEvT1_: ; @_ZN7rocprim17ROCPRIM_400000_NS6detail17trampoline_kernelINS0_14default_configENS1_20scan_config_selectorIxEEZZNS1_9scan_implILNS1_25lookback_scan_determinismE0ELb0ELb1ES3_N6thrust23THRUST_200600_302600_NS6detail15normal_iteratorINS9_10device_ptrIxEEEESE_xNS9_4plusIxEExEEDaPvRmT3_T4_T5_mT6_P12ihipStream_tbENKUlT_T0_E_clISt17integral_constantIbLb1EESU_EEDaSP_SQ_EUlSP_E0_NS1_11comp_targetILNS1_3genE10ELNS1_11target_archE1201ELNS1_3gpuE5ELNS1_3repE0EEENS1_30default_config_static_selectorELNS0_4arch9wavefront6targetE1EEEvT1_
; %bb.0:
	.section	.rodata,"a",@progbits
	.p2align	6, 0x0
	.amdhsa_kernel _ZN7rocprim17ROCPRIM_400000_NS6detail17trampoline_kernelINS0_14default_configENS1_20scan_config_selectorIxEEZZNS1_9scan_implILNS1_25lookback_scan_determinismE0ELb0ELb1ES3_N6thrust23THRUST_200600_302600_NS6detail15normal_iteratorINS9_10device_ptrIxEEEESE_xNS9_4plusIxEExEEDaPvRmT3_T4_T5_mT6_P12ihipStream_tbENKUlT_T0_E_clISt17integral_constantIbLb1EESU_EEDaSP_SQ_EUlSP_E0_NS1_11comp_targetILNS1_3genE10ELNS1_11target_archE1201ELNS1_3gpuE5ELNS1_3repE0EEENS1_30default_config_static_selectorELNS0_4arch9wavefront6targetE1EEEvT1_
		.amdhsa_group_segment_fixed_size 0
		.amdhsa_private_segment_fixed_size 0
		.amdhsa_kernarg_size 40
		.amdhsa_user_sgpr_count 6
		.amdhsa_user_sgpr_private_segment_buffer 1
		.amdhsa_user_sgpr_dispatch_ptr 0
		.amdhsa_user_sgpr_queue_ptr 0
		.amdhsa_user_sgpr_kernarg_segment_ptr 1
		.amdhsa_user_sgpr_dispatch_id 0
		.amdhsa_user_sgpr_flat_scratch_init 0
		.amdhsa_user_sgpr_kernarg_preload_length 0
		.amdhsa_user_sgpr_kernarg_preload_offset 0
		.amdhsa_user_sgpr_private_segment_size 0
		.amdhsa_uses_dynamic_stack 0
		.amdhsa_system_sgpr_private_segment_wavefront_offset 0
		.amdhsa_system_sgpr_workgroup_id_x 1
		.amdhsa_system_sgpr_workgroup_id_y 0
		.amdhsa_system_sgpr_workgroup_id_z 0
		.amdhsa_system_sgpr_workgroup_info 0
		.amdhsa_system_vgpr_workitem_id 0
		.amdhsa_next_free_vgpr 1
		.amdhsa_next_free_sgpr 0
		.amdhsa_accum_offset 4
		.amdhsa_reserve_vcc 0
		.amdhsa_reserve_flat_scratch 0
		.amdhsa_float_round_mode_32 0
		.amdhsa_float_round_mode_16_64 0
		.amdhsa_float_denorm_mode_32 3
		.amdhsa_float_denorm_mode_16_64 3
		.amdhsa_dx10_clamp 1
		.amdhsa_ieee_mode 1
		.amdhsa_fp16_overflow 0
		.amdhsa_tg_split 0
		.amdhsa_exception_fp_ieee_invalid_op 0
		.amdhsa_exception_fp_denorm_src 0
		.amdhsa_exception_fp_ieee_div_zero 0
		.amdhsa_exception_fp_ieee_overflow 0
		.amdhsa_exception_fp_ieee_underflow 0
		.amdhsa_exception_fp_ieee_inexact 0
		.amdhsa_exception_int_div_zero 0
	.end_amdhsa_kernel
	.section	.text._ZN7rocprim17ROCPRIM_400000_NS6detail17trampoline_kernelINS0_14default_configENS1_20scan_config_selectorIxEEZZNS1_9scan_implILNS1_25lookback_scan_determinismE0ELb0ELb1ES3_N6thrust23THRUST_200600_302600_NS6detail15normal_iteratorINS9_10device_ptrIxEEEESE_xNS9_4plusIxEExEEDaPvRmT3_T4_T5_mT6_P12ihipStream_tbENKUlT_T0_E_clISt17integral_constantIbLb1EESU_EEDaSP_SQ_EUlSP_E0_NS1_11comp_targetILNS1_3genE10ELNS1_11target_archE1201ELNS1_3gpuE5ELNS1_3repE0EEENS1_30default_config_static_selectorELNS0_4arch9wavefront6targetE1EEEvT1_,"axG",@progbits,_ZN7rocprim17ROCPRIM_400000_NS6detail17trampoline_kernelINS0_14default_configENS1_20scan_config_selectorIxEEZZNS1_9scan_implILNS1_25lookback_scan_determinismE0ELb0ELb1ES3_N6thrust23THRUST_200600_302600_NS6detail15normal_iteratorINS9_10device_ptrIxEEEESE_xNS9_4plusIxEExEEDaPvRmT3_T4_T5_mT6_P12ihipStream_tbENKUlT_T0_E_clISt17integral_constantIbLb1EESU_EEDaSP_SQ_EUlSP_E0_NS1_11comp_targetILNS1_3genE10ELNS1_11target_archE1201ELNS1_3gpuE5ELNS1_3repE0EEENS1_30default_config_static_selectorELNS0_4arch9wavefront6targetE1EEEvT1_,comdat
.Lfunc_end446:
	.size	_ZN7rocprim17ROCPRIM_400000_NS6detail17trampoline_kernelINS0_14default_configENS1_20scan_config_selectorIxEEZZNS1_9scan_implILNS1_25lookback_scan_determinismE0ELb0ELb1ES3_N6thrust23THRUST_200600_302600_NS6detail15normal_iteratorINS9_10device_ptrIxEEEESE_xNS9_4plusIxEExEEDaPvRmT3_T4_T5_mT6_P12ihipStream_tbENKUlT_T0_E_clISt17integral_constantIbLb1EESU_EEDaSP_SQ_EUlSP_E0_NS1_11comp_targetILNS1_3genE10ELNS1_11target_archE1201ELNS1_3gpuE5ELNS1_3repE0EEENS1_30default_config_static_selectorELNS0_4arch9wavefront6targetE1EEEvT1_, .Lfunc_end446-_ZN7rocprim17ROCPRIM_400000_NS6detail17trampoline_kernelINS0_14default_configENS1_20scan_config_selectorIxEEZZNS1_9scan_implILNS1_25lookback_scan_determinismE0ELb0ELb1ES3_N6thrust23THRUST_200600_302600_NS6detail15normal_iteratorINS9_10device_ptrIxEEEESE_xNS9_4plusIxEExEEDaPvRmT3_T4_T5_mT6_P12ihipStream_tbENKUlT_T0_E_clISt17integral_constantIbLb1EESU_EEDaSP_SQ_EUlSP_E0_NS1_11comp_targetILNS1_3genE10ELNS1_11target_archE1201ELNS1_3gpuE5ELNS1_3repE0EEENS1_30default_config_static_selectorELNS0_4arch9wavefront6targetE1EEEvT1_
                                        ; -- End function
	.section	.AMDGPU.csdata,"",@progbits
; Kernel info:
; codeLenInByte = 0
; NumSgprs: 4
; NumVgprs: 0
; NumAgprs: 0
; TotalNumVgprs: 0
; ScratchSize: 0
; MemoryBound: 0
; FloatMode: 240
; IeeeMode: 1
; LDSByteSize: 0 bytes/workgroup (compile time only)
; SGPRBlocks: 0
; VGPRBlocks: 0
; NumSGPRsForWavesPerEU: 4
; NumVGPRsForWavesPerEU: 1
; AccumOffset: 4
; Occupancy: 8
; WaveLimiterHint : 0
; COMPUTE_PGM_RSRC2:SCRATCH_EN: 0
; COMPUTE_PGM_RSRC2:USER_SGPR: 6
; COMPUTE_PGM_RSRC2:TRAP_HANDLER: 0
; COMPUTE_PGM_RSRC2:TGID_X_EN: 1
; COMPUTE_PGM_RSRC2:TGID_Y_EN: 0
; COMPUTE_PGM_RSRC2:TGID_Z_EN: 0
; COMPUTE_PGM_RSRC2:TIDIG_COMP_CNT: 0
; COMPUTE_PGM_RSRC3_GFX90A:ACCUM_OFFSET: 0
; COMPUTE_PGM_RSRC3_GFX90A:TG_SPLIT: 0
	.section	.text._ZN7rocprim17ROCPRIM_400000_NS6detail17trampoline_kernelINS0_14default_configENS1_20scan_config_selectorIxEEZZNS1_9scan_implILNS1_25lookback_scan_determinismE0ELb0ELb1ES3_N6thrust23THRUST_200600_302600_NS6detail15normal_iteratorINS9_10device_ptrIxEEEESE_xNS9_4plusIxEExEEDaPvRmT3_T4_T5_mT6_P12ihipStream_tbENKUlT_T0_E_clISt17integral_constantIbLb1EESU_EEDaSP_SQ_EUlSP_E0_NS1_11comp_targetILNS1_3genE10ELNS1_11target_archE1200ELNS1_3gpuE4ELNS1_3repE0EEENS1_30default_config_static_selectorELNS0_4arch9wavefront6targetE1EEEvT1_,"axG",@progbits,_ZN7rocprim17ROCPRIM_400000_NS6detail17trampoline_kernelINS0_14default_configENS1_20scan_config_selectorIxEEZZNS1_9scan_implILNS1_25lookback_scan_determinismE0ELb0ELb1ES3_N6thrust23THRUST_200600_302600_NS6detail15normal_iteratorINS9_10device_ptrIxEEEESE_xNS9_4plusIxEExEEDaPvRmT3_T4_T5_mT6_P12ihipStream_tbENKUlT_T0_E_clISt17integral_constantIbLb1EESU_EEDaSP_SQ_EUlSP_E0_NS1_11comp_targetILNS1_3genE10ELNS1_11target_archE1200ELNS1_3gpuE4ELNS1_3repE0EEENS1_30default_config_static_selectorELNS0_4arch9wavefront6targetE1EEEvT1_,comdat
	.protected	_ZN7rocprim17ROCPRIM_400000_NS6detail17trampoline_kernelINS0_14default_configENS1_20scan_config_selectorIxEEZZNS1_9scan_implILNS1_25lookback_scan_determinismE0ELb0ELb1ES3_N6thrust23THRUST_200600_302600_NS6detail15normal_iteratorINS9_10device_ptrIxEEEESE_xNS9_4plusIxEExEEDaPvRmT3_T4_T5_mT6_P12ihipStream_tbENKUlT_T0_E_clISt17integral_constantIbLb1EESU_EEDaSP_SQ_EUlSP_E0_NS1_11comp_targetILNS1_3genE10ELNS1_11target_archE1200ELNS1_3gpuE4ELNS1_3repE0EEENS1_30default_config_static_selectorELNS0_4arch9wavefront6targetE1EEEvT1_ ; -- Begin function _ZN7rocprim17ROCPRIM_400000_NS6detail17trampoline_kernelINS0_14default_configENS1_20scan_config_selectorIxEEZZNS1_9scan_implILNS1_25lookback_scan_determinismE0ELb0ELb1ES3_N6thrust23THRUST_200600_302600_NS6detail15normal_iteratorINS9_10device_ptrIxEEEESE_xNS9_4plusIxEExEEDaPvRmT3_T4_T5_mT6_P12ihipStream_tbENKUlT_T0_E_clISt17integral_constantIbLb1EESU_EEDaSP_SQ_EUlSP_E0_NS1_11comp_targetILNS1_3genE10ELNS1_11target_archE1200ELNS1_3gpuE4ELNS1_3repE0EEENS1_30default_config_static_selectorELNS0_4arch9wavefront6targetE1EEEvT1_
	.globl	_ZN7rocprim17ROCPRIM_400000_NS6detail17trampoline_kernelINS0_14default_configENS1_20scan_config_selectorIxEEZZNS1_9scan_implILNS1_25lookback_scan_determinismE0ELb0ELb1ES3_N6thrust23THRUST_200600_302600_NS6detail15normal_iteratorINS9_10device_ptrIxEEEESE_xNS9_4plusIxEExEEDaPvRmT3_T4_T5_mT6_P12ihipStream_tbENKUlT_T0_E_clISt17integral_constantIbLb1EESU_EEDaSP_SQ_EUlSP_E0_NS1_11comp_targetILNS1_3genE10ELNS1_11target_archE1200ELNS1_3gpuE4ELNS1_3repE0EEENS1_30default_config_static_selectorELNS0_4arch9wavefront6targetE1EEEvT1_
	.p2align	8
	.type	_ZN7rocprim17ROCPRIM_400000_NS6detail17trampoline_kernelINS0_14default_configENS1_20scan_config_selectorIxEEZZNS1_9scan_implILNS1_25lookback_scan_determinismE0ELb0ELb1ES3_N6thrust23THRUST_200600_302600_NS6detail15normal_iteratorINS9_10device_ptrIxEEEESE_xNS9_4plusIxEExEEDaPvRmT3_T4_T5_mT6_P12ihipStream_tbENKUlT_T0_E_clISt17integral_constantIbLb1EESU_EEDaSP_SQ_EUlSP_E0_NS1_11comp_targetILNS1_3genE10ELNS1_11target_archE1200ELNS1_3gpuE4ELNS1_3repE0EEENS1_30default_config_static_selectorELNS0_4arch9wavefront6targetE1EEEvT1_,@function
_ZN7rocprim17ROCPRIM_400000_NS6detail17trampoline_kernelINS0_14default_configENS1_20scan_config_selectorIxEEZZNS1_9scan_implILNS1_25lookback_scan_determinismE0ELb0ELb1ES3_N6thrust23THRUST_200600_302600_NS6detail15normal_iteratorINS9_10device_ptrIxEEEESE_xNS9_4plusIxEExEEDaPvRmT3_T4_T5_mT6_P12ihipStream_tbENKUlT_T0_E_clISt17integral_constantIbLb1EESU_EEDaSP_SQ_EUlSP_E0_NS1_11comp_targetILNS1_3genE10ELNS1_11target_archE1200ELNS1_3gpuE4ELNS1_3repE0EEENS1_30default_config_static_selectorELNS0_4arch9wavefront6targetE1EEEvT1_: ; @_ZN7rocprim17ROCPRIM_400000_NS6detail17trampoline_kernelINS0_14default_configENS1_20scan_config_selectorIxEEZZNS1_9scan_implILNS1_25lookback_scan_determinismE0ELb0ELb1ES3_N6thrust23THRUST_200600_302600_NS6detail15normal_iteratorINS9_10device_ptrIxEEEESE_xNS9_4plusIxEExEEDaPvRmT3_T4_T5_mT6_P12ihipStream_tbENKUlT_T0_E_clISt17integral_constantIbLb1EESU_EEDaSP_SQ_EUlSP_E0_NS1_11comp_targetILNS1_3genE10ELNS1_11target_archE1200ELNS1_3gpuE4ELNS1_3repE0EEENS1_30default_config_static_selectorELNS0_4arch9wavefront6targetE1EEEvT1_
; %bb.0:
	.section	.rodata,"a",@progbits
	.p2align	6, 0x0
	.amdhsa_kernel _ZN7rocprim17ROCPRIM_400000_NS6detail17trampoline_kernelINS0_14default_configENS1_20scan_config_selectorIxEEZZNS1_9scan_implILNS1_25lookback_scan_determinismE0ELb0ELb1ES3_N6thrust23THRUST_200600_302600_NS6detail15normal_iteratorINS9_10device_ptrIxEEEESE_xNS9_4plusIxEExEEDaPvRmT3_T4_T5_mT6_P12ihipStream_tbENKUlT_T0_E_clISt17integral_constantIbLb1EESU_EEDaSP_SQ_EUlSP_E0_NS1_11comp_targetILNS1_3genE10ELNS1_11target_archE1200ELNS1_3gpuE4ELNS1_3repE0EEENS1_30default_config_static_selectorELNS0_4arch9wavefront6targetE1EEEvT1_
		.amdhsa_group_segment_fixed_size 0
		.amdhsa_private_segment_fixed_size 0
		.amdhsa_kernarg_size 40
		.amdhsa_user_sgpr_count 6
		.amdhsa_user_sgpr_private_segment_buffer 1
		.amdhsa_user_sgpr_dispatch_ptr 0
		.amdhsa_user_sgpr_queue_ptr 0
		.amdhsa_user_sgpr_kernarg_segment_ptr 1
		.amdhsa_user_sgpr_dispatch_id 0
		.amdhsa_user_sgpr_flat_scratch_init 0
		.amdhsa_user_sgpr_kernarg_preload_length 0
		.amdhsa_user_sgpr_kernarg_preload_offset 0
		.amdhsa_user_sgpr_private_segment_size 0
		.amdhsa_uses_dynamic_stack 0
		.amdhsa_system_sgpr_private_segment_wavefront_offset 0
		.amdhsa_system_sgpr_workgroup_id_x 1
		.amdhsa_system_sgpr_workgroup_id_y 0
		.amdhsa_system_sgpr_workgroup_id_z 0
		.amdhsa_system_sgpr_workgroup_info 0
		.amdhsa_system_vgpr_workitem_id 0
		.amdhsa_next_free_vgpr 1
		.amdhsa_next_free_sgpr 0
		.amdhsa_accum_offset 4
		.amdhsa_reserve_vcc 0
		.amdhsa_reserve_flat_scratch 0
		.amdhsa_float_round_mode_32 0
		.amdhsa_float_round_mode_16_64 0
		.amdhsa_float_denorm_mode_32 3
		.amdhsa_float_denorm_mode_16_64 3
		.amdhsa_dx10_clamp 1
		.amdhsa_ieee_mode 1
		.amdhsa_fp16_overflow 0
		.amdhsa_tg_split 0
		.amdhsa_exception_fp_ieee_invalid_op 0
		.amdhsa_exception_fp_denorm_src 0
		.amdhsa_exception_fp_ieee_div_zero 0
		.amdhsa_exception_fp_ieee_overflow 0
		.amdhsa_exception_fp_ieee_underflow 0
		.amdhsa_exception_fp_ieee_inexact 0
		.amdhsa_exception_int_div_zero 0
	.end_amdhsa_kernel
	.section	.text._ZN7rocprim17ROCPRIM_400000_NS6detail17trampoline_kernelINS0_14default_configENS1_20scan_config_selectorIxEEZZNS1_9scan_implILNS1_25lookback_scan_determinismE0ELb0ELb1ES3_N6thrust23THRUST_200600_302600_NS6detail15normal_iteratorINS9_10device_ptrIxEEEESE_xNS9_4plusIxEExEEDaPvRmT3_T4_T5_mT6_P12ihipStream_tbENKUlT_T0_E_clISt17integral_constantIbLb1EESU_EEDaSP_SQ_EUlSP_E0_NS1_11comp_targetILNS1_3genE10ELNS1_11target_archE1200ELNS1_3gpuE4ELNS1_3repE0EEENS1_30default_config_static_selectorELNS0_4arch9wavefront6targetE1EEEvT1_,"axG",@progbits,_ZN7rocprim17ROCPRIM_400000_NS6detail17trampoline_kernelINS0_14default_configENS1_20scan_config_selectorIxEEZZNS1_9scan_implILNS1_25lookback_scan_determinismE0ELb0ELb1ES3_N6thrust23THRUST_200600_302600_NS6detail15normal_iteratorINS9_10device_ptrIxEEEESE_xNS9_4plusIxEExEEDaPvRmT3_T4_T5_mT6_P12ihipStream_tbENKUlT_T0_E_clISt17integral_constantIbLb1EESU_EEDaSP_SQ_EUlSP_E0_NS1_11comp_targetILNS1_3genE10ELNS1_11target_archE1200ELNS1_3gpuE4ELNS1_3repE0EEENS1_30default_config_static_selectorELNS0_4arch9wavefront6targetE1EEEvT1_,comdat
.Lfunc_end447:
	.size	_ZN7rocprim17ROCPRIM_400000_NS6detail17trampoline_kernelINS0_14default_configENS1_20scan_config_selectorIxEEZZNS1_9scan_implILNS1_25lookback_scan_determinismE0ELb0ELb1ES3_N6thrust23THRUST_200600_302600_NS6detail15normal_iteratorINS9_10device_ptrIxEEEESE_xNS9_4plusIxEExEEDaPvRmT3_T4_T5_mT6_P12ihipStream_tbENKUlT_T0_E_clISt17integral_constantIbLb1EESU_EEDaSP_SQ_EUlSP_E0_NS1_11comp_targetILNS1_3genE10ELNS1_11target_archE1200ELNS1_3gpuE4ELNS1_3repE0EEENS1_30default_config_static_selectorELNS0_4arch9wavefront6targetE1EEEvT1_, .Lfunc_end447-_ZN7rocprim17ROCPRIM_400000_NS6detail17trampoline_kernelINS0_14default_configENS1_20scan_config_selectorIxEEZZNS1_9scan_implILNS1_25lookback_scan_determinismE0ELb0ELb1ES3_N6thrust23THRUST_200600_302600_NS6detail15normal_iteratorINS9_10device_ptrIxEEEESE_xNS9_4plusIxEExEEDaPvRmT3_T4_T5_mT6_P12ihipStream_tbENKUlT_T0_E_clISt17integral_constantIbLb1EESU_EEDaSP_SQ_EUlSP_E0_NS1_11comp_targetILNS1_3genE10ELNS1_11target_archE1200ELNS1_3gpuE4ELNS1_3repE0EEENS1_30default_config_static_selectorELNS0_4arch9wavefront6targetE1EEEvT1_
                                        ; -- End function
	.section	.AMDGPU.csdata,"",@progbits
; Kernel info:
; codeLenInByte = 0
; NumSgprs: 4
; NumVgprs: 0
; NumAgprs: 0
; TotalNumVgprs: 0
; ScratchSize: 0
; MemoryBound: 0
; FloatMode: 240
; IeeeMode: 1
; LDSByteSize: 0 bytes/workgroup (compile time only)
; SGPRBlocks: 0
; VGPRBlocks: 0
; NumSGPRsForWavesPerEU: 4
; NumVGPRsForWavesPerEU: 1
; AccumOffset: 4
; Occupancy: 8
; WaveLimiterHint : 0
; COMPUTE_PGM_RSRC2:SCRATCH_EN: 0
; COMPUTE_PGM_RSRC2:USER_SGPR: 6
; COMPUTE_PGM_RSRC2:TRAP_HANDLER: 0
; COMPUTE_PGM_RSRC2:TGID_X_EN: 1
; COMPUTE_PGM_RSRC2:TGID_Y_EN: 0
; COMPUTE_PGM_RSRC2:TGID_Z_EN: 0
; COMPUTE_PGM_RSRC2:TIDIG_COMP_CNT: 0
; COMPUTE_PGM_RSRC3_GFX90A:ACCUM_OFFSET: 0
; COMPUTE_PGM_RSRC3_GFX90A:TG_SPLIT: 0
	.section	.text._ZN7rocprim17ROCPRIM_400000_NS6detail17trampoline_kernelINS0_14default_configENS1_20scan_config_selectorIxEEZZNS1_9scan_implILNS1_25lookback_scan_determinismE0ELb0ELb1ES3_N6thrust23THRUST_200600_302600_NS6detail15normal_iteratorINS9_10device_ptrIxEEEESE_xNS9_4plusIxEExEEDaPvRmT3_T4_T5_mT6_P12ihipStream_tbENKUlT_T0_E_clISt17integral_constantIbLb1EESU_EEDaSP_SQ_EUlSP_E0_NS1_11comp_targetILNS1_3genE9ELNS1_11target_archE1100ELNS1_3gpuE3ELNS1_3repE0EEENS1_30default_config_static_selectorELNS0_4arch9wavefront6targetE1EEEvT1_,"axG",@progbits,_ZN7rocprim17ROCPRIM_400000_NS6detail17trampoline_kernelINS0_14default_configENS1_20scan_config_selectorIxEEZZNS1_9scan_implILNS1_25lookback_scan_determinismE0ELb0ELb1ES3_N6thrust23THRUST_200600_302600_NS6detail15normal_iteratorINS9_10device_ptrIxEEEESE_xNS9_4plusIxEExEEDaPvRmT3_T4_T5_mT6_P12ihipStream_tbENKUlT_T0_E_clISt17integral_constantIbLb1EESU_EEDaSP_SQ_EUlSP_E0_NS1_11comp_targetILNS1_3genE9ELNS1_11target_archE1100ELNS1_3gpuE3ELNS1_3repE0EEENS1_30default_config_static_selectorELNS0_4arch9wavefront6targetE1EEEvT1_,comdat
	.protected	_ZN7rocprim17ROCPRIM_400000_NS6detail17trampoline_kernelINS0_14default_configENS1_20scan_config_selectorIxEEZZNS1_9scan_implILNS1_25lookback_scan_determinismE0ELb0ELb1ES3_N6thrust23THRUST_200600_302600_NS6detail15normal_iteratorINS9_10device_ptrIxEEEESE_xNS9_4plusIxEExEEDaPvRmT3_T4_T5_mT6_P12ihipStream_tbENKUlT_T0_E_clISt17integral_constantIbLb1EESU_EEDaSP_SQ_EUlSP_E0_NS1_11comp_targetILNS1_3genE9ELNS1_11target_archE1100ELNS1_3gpuE3ELNS1_3repE0EEENS1_30default_config_static_selectorELNS0_4arch9wavefront6targetE1EEEvT1_ ; -- Begin function _ZN7rocprim17ROCPRIM_400000_NS6detail17trampoline_kernelINS0_14default_configENS1_20scan_config_selectorIxEEZZNS1_9scan_implILNS1_25lookback_scan_determinismE0ELb0ELb1ES3_N6thrust23THRUST_200600_302600_NS6detail15normal_iteratorINS9_10device_ptrIxEEEESE_xNS9_4plusIxEExEEDaPvRmT3_T4_T5_mT6_P12ihipStream_tbENKUlT_T0_E_clISt17integral_constantIbLb1EESU_EEDaSP_SQ_EUlSP_E0_NS1_11comp_targetILNS1_3genE9ELNS1_11target_archE1100ELNS1_3gpuE3ELNS1_3repE0EEENS1_30default_config_static_selectorELNS0_4arch9wavefront6targetE1EEEvT1_
	.globl	_ZN7rocprim17ROCPRIM_400000_NS6detail17trampoline_kernelINS0_14default_configENS1_20scan_config_selectorIxEEZZNS1_9scan_implILNS1_25lookback_scan_determinismE0ELb0ELb1ES3_N6thrust23THRUST_200600_302600_NS6detail15normal_iteratorINS9_10device_ptrIxEEEESE_xNS9_4plusIxEExEEDaPvRmT3_T4_T5_mT6_P12ihipStream_tbENKUlT_T0_E_clISt17integral_constantIbLb1EESU_EEDaSP_SQ_EUlSP_E0_NS1_11comp_targetILNS1_3genE9ELNS1_11target_archE1100ELNS1_3gpuE3ELNS1_3repE0EEENS1_30default_config_static_selectorELNS0_4arch9wavefront6targetE1EEEvT1_
	.p2align	8
	.type	_ZN7rocprim17ROCPRIM_400000_NS6detail17trampoline_kernelINS0_14default_configENS1_20scan_config_selectorIxEEZZNS1_9scan_implILNS1_25lookback_scan_determinismE0ELb0ELb1ES3_N6thrust23THRUST_200600_302600_NS6detail15normal_iteratorINS9_10device_ptrIxEEEESE_xNS9_4plusIxEExEEDaPvRmT3_T4_T5_mT6_P12ihipStream_tbENKUlT_T0_E_clISt17integral_constantIbLb1EESU_EEDaSP_SQ_EUlSP_E0_NS1_11comp_targetILNS1_3genE9ELNS1_11target_archE1100ELNS1_3gpuE3ELNS1_3repE0EEENS1_30default_config_static_selectorELNS0_4arch9wavefront6targetE1EEEvT1_,@function
_ZN7rocprim17ROCPRIM_400000_NS6detail17trampoline_kernelINS0_14default_configENS1_20scan_config_selectorIxEEZZNS1_9scan_implILNS1_25lookback_scan_determinismE0ELb0ELb1ES3_N6thrust23THRUST_200600_302600_NS6detail15normal_iteratorINS9_10device_ptrIxEEEESE_xNS9_4plusIxEExEEDaPvRmT3_T4_T5_mT6_P12ihipStream_tbENKUlT_T0_E_clISt17integral_constantIbLb1EESU_EEDaSP_SQ_EUlSP_E0_NS1_11comp_targetILNS1_3genE9ELNS1_11target_archE1100ELNS1_3gpuE3ELNS1_3repE0EEENS1_30default_config_static_selectorELNS0_4arch9wavefront6targetE1EEEvT1_: ; @_ZN7rocprim17ROCPRIM_400000_NS6detail17trampoline_kernelINS0_14default_configENS1_20scan_config_selectorIxEEZZNS1_9scan_implILNS1_25lookback_scan_determinismE0ELb0ELb1ES3_N6thrust23THRUST_200600_302600_NS6detail15normal_iteratorINS9_10device_ptrIxEEEESE_xNS9_4plusIxEExEEDaPvRmT3_T4_T5_mT6_P12ihipStream_tbENKUlT_T0_E_clISt17integral_constantIbLb1EESU_EEDaSP_SQ_EUlSP_E0_NS1_11comp_targetILNS1_3genE9ELNS1_11target_archE1100ELNS1_3gpuE3ELNS1_3repE0EEENS1_30default_config_static_selectorELNS0_4arch9wavefront6targetE1EEEvT1_
; %bb.0:
	.section	.rodata,"a",@progbits
	.p2align	6, 0x0
	.amdhsa_kernel _ZN7rocprim17ROCPRIM_400000_NS6detail17trampoline_kernelINS0_14default_configENS1_20scan_config_selectorIxEEZZNS1_9scan_implILNS1_25lookback_scan_determinismE0ELb0ELb1ES3_N6thrust23THRUST_200600_302600_NS6detail15normal_iteratorINS9_10device_ptrIxEEEESE_xNS9_4plusIxEExEEDaPvRmT3_T4_T5_mT6_P12ihipStream_tbENKUlT_T0_E_clISt17integral_constantIbLb1EESU_EEDaSP_SQ_EUlSP_E0_NS1_11comp_targetILNS1_3genE9ELNS1_11target_archE1100ELNS1_3gpuE3ELNS1_3repE0EEENS1_30default_config_static_selectorELNS0_4arch9wavefront6targetE1EEEvT1_
		.amdhsa_group_segment_fixed_size 0
		.amdhsa_private_segment_fixed_size 0
		.amdhsa_kernarg_size 40
		.amdhsa_user_sgpr_count 6
		.amdhsa_user_sgpr_private_segment_buffer 1
		.amdhsa_user_sgpr_dispatch_ptr 0
		.amdhsa_user_sgpr_queue_ptr 0
		.amdhsa_user_sgpr_kernarg_segment_ptr 1
		.amdhsa_user_sgpr_dispatch_id 0
		.amdhsa_user_sgpr_flat_scratch_init 0
		.amdhsa_user_sgpr_kernarg_preload_length 0
		.amdhsa_user_sgpr_kernarg_preload_offset 0
		.amdhsa_user_sgpr_private_segment_size 0
		.amdhsa_uses_dynamic_stack 0
		.amdhsa_system_sgpr_private_segment_wavefront_offset 0
		.amdhsa_system_sgpr_workgroup_id_x 1
		.amdhsa_system_sgpr_workgroup_id_y 0
		.amdhsa_system_sgpr_workgroup_id_z 0
		.amdhsa_system_sgpr_workgroup_info 0
		.amdhsa_system_vgpr_workitem_id 0
		.amdhsa_next_free_vgpr 1
		.amdhsa_next_free_sgpr 0
		.amdhsa_accum_offset 4
		.amdhsa_reserve_vcc 0
		.amdhsa_reserve_flat_scratch 0
		.amdhsa_float_round_mode_32 0
		.amdhsa_float_round_mode_16_64 0
		.amdhsa_float_denorm_mode_32 3
		.amdhsa_float_denorm_mode_16_64 3
		.amdhsa_dx10_clamp 1
		.amdhsa_ieee_mode 1
		.amdhsa_fp16_overflow 0
		.amdhsa_tg_split 0
		.amdhsa_exception_fp_ieee_invalid_op 0
		.amdhsa_exception_fp_denorm_src 0
		.amdhsa_exception_fp_ieee_div_zero 0
		.amdhsa_exception_fp_ieee_overflow 0
		.amdhsa_exception_fp_ieee_underflow 0
		.amdhsa_exception_fp_ieee_inexact 0
		.amdhsa_exception_int_div_zero 0
	.end_amdhsa_kernel
	.section	.text._ZN7rocprim17ROCPRIM_400000_NS6detail17trampoline_kernelINS0_14default_configENS1_20scan_config_selectorIxEEZZNS1_9scan_implILNS1_25lookback_scan_determinismE0ELb0ELb1ES3_N6thrust23THRUST_200600_302600_NS6detail15normal_iteratorINS9_10device_ptrIxEEEESE_xNS9_4plusIxEExEEDaPvRmT3_T4_T5_mT6_P12ihipStream_tbENKUlT_T0_E_clISt17integral_constantIbLb1EESU_EEDaSP_SQ_EUlSP_E0_NS1_11comp_targetILNS1_3genE9ELNS1_11target_archE1100ELNS1_3gpuE3ELNS1_3repE0EEENS1_30default_config_static_selectorELNS0_4arch9wavefront6targetE1EEEvT1_,"axG",@progbits,_ZN7rocprim17ROCPRIM_400000_NS6detail17trampoline_kernelINS0_14default_configENS1_20scan_config_selectorIxEEZZNS1_9scan_implILNS1_25lookback_scan_determinismE0ELb0ELb1ES3_N6thrust23THRUST_200600_302600_NS6detail15normal_iteratorINS9_10device_ptrIxEEEESE_xNS9_4plusIxEExEEDaPvRmT3_T4_T5_mT6_P12ihipStream_tbENKUlT_T0_E_clISt17integral_constantIbLb1EESU_EEDaSP_SQ_EUlSP_E0_NS1_11comp_targetILNS1_3genE9ELNS1_11target_archE1100ELNS1_3gpuE3ELNS1_3repE0EEENS1_30default_config_static_selectorELNS0_4arch9wavefront6targetE1EEEvT1_,comdat
.Lfunc_end448:
	.size	_ZN7rocprim17ROCPRIM_400000_NS6detail17trampoline_kernelINS0_14default_configENS1_20scan_config_selectorIxEEZZNS1_9scan_implILNS1_25lookback_scan_determinismE0ELb0ELb1ES3_N6thrust23THRUST_200600_302600_NS6detail15normal_iteratorINS9_10device_ptrIxEEEESE_xNS9_4plusIxEExEEDaPvRmT3_T4_T5_mT6_P12ihipStream_tbENKUlT_T0_E_clISt17integral_constantIbLb1EESU_EEDaSP_SQ_EUlSP_E0_NS1_11comp_targetILNS1_3genE9ELNS1_11target_archE1100ELNS1_3gpuE3ELNS1_3repE0EEENS1_30default_config_static_selectorELNS0_4arch9wavefront6targetE1EEEvT1_, .Lfunc_end448-_ZN7rocprim17ROCPRIM_400000_NS6detail17trampoline_kernelINS0_14default_configENS1_20scan_config_selectorIxEEZZNS1_9scan_implILNS1_25lookback_scan_determinismE0ELb0ELb1ES3_N6thrust23THRUST_200600_302600_NS6detail15normal_iteratorINS9_10device_ptrIxEEEESE_xNS9_4plusIxEExEEDaPvRmT3_T4_T5_mT6_P12ihipStream_tbENKUlT_T0_E_clISt17integral_constantIbLb1EESU_EEDaSP_SQ_EUlSP_E0_NS1_11comp_targetILNS1_3genE9ELNS1_11target_archE1100ELNS1_3gpuE3ELNS1_3repE0EEENS1_30default_config_static_selectorELNS0_4arch9wavefront6targetE1EEEvT1_
                                        ; -- End function
	.section	.AMDGPU.csdata,"",@progbits
; Kernel info:
; codeLenInByte = 0
; NumSgprs: 4
; NumVgprs: 0
; NumAgprs: 0
; TotalNumVgprs: 0
; ScratchSize: 0
; MemoryBound: 0
; FloatMode: 240
; IeeeMode: 1
; LDSByteSize: 0 bytes/workgroup (compile time only)
; SGPRBlocks: 0
; VGPRBlocks: 0
; NumSGPRsForWavesPerEU: 4
; NumVGPRsForWavesPerEU: 1
; AccumOffset: 4
; Occupancy: 8
; WaveLimiterHint : 0
; COMPUTE_PGM_RSRC2:SCRATCH_EN: 0
; COMPUTE_PGM_RSRC2:USER_SGPR: 6
; COMPUTE_PGM_RSRC2:TRAP_HANDLER: 0
; COMPUTE_PGM_RSRC2:TGID_X_EN: 1
; COMPUTE_PGM_RSRC2:TGID_Y_EN: 0
; COMPUTE_PGM_RSRC2:TGID_Z_EN: 0
; COMPUTE_PGM_RSRC2:TIDIG_COMP_CNT: 0
; COMPUTE_PGM_RSRC3_GFX90A:ACCUM_OFFSET: 0
; COMPUTE_PGM_RSRC3_GFX90A:TG_SPLIT: 0
	.section	.text._ZN7rocprim17ROCPRIM_400000_NS6detail17trampoline_kernelINS0_14default_configENS1_20scan_config_selectorIxEEZZNS1_9scan_implILNS1_25lookback_scan_determinismE0ELb0ELb1ES3_N6thrust23THRUST_200600_302600_NS6detail15normal_iteratorINS9_10device_ptrIxEEEESE_xNS9_4plusIxEExEEDaPvRmT3_T4_T5_mT6_P12ihipStream_tbENKUlT_T0_E_clISt17integral_constantIbLb1EESU_EEDaSP_SQ_EUlSP_E0_NS1_11comp_targetILNS1_3genE8ELNS1_11target_archE1030ELNS1_3gpuE2ELNS1_3repE0EEENS1_30default_config_static_selectorELNS0_4arch9wavefront6targetE1EEEvT1_,"axG",@progbits,_ZN7rocprim17ROCPRIM_400000_NS6detail17trampoline_kernelINS0_14default_configENS1_20scan_config_selectorIxEEZZNS1_9scan_implILNS1_25lookback_scan_determinismE0ELb0ELb1ES3_N6thrust23THRUST_200600_302600_NS6detail15normal_iteratorINS9_10device_ptrIxEEEESE_xNS9_4plusIxEExEEDaPvRmT3_T4_T5_mT6_P12ihipStream_tbENKUlT_T0_E_clISt17integral_constantIbLb1EESU_EEDaSP_SQ_EUlSP_E0_NS1_11comp_targetILNS1_3genE8ELNS1_11target_archE1030ELNS1_3gpuE2ELNS1_3repE0EEENS1_30default_config_static_selectorELNS0_4arch9wavefront6targetE1EEEvT1_,comdat
	.protected	_ZN7rocprim17ROCPRIM_400000_NS6detail17trampoline_kernelINS0_14default_configENS1_20scan_config_selectorIxEEZZNS1_9scan_implILNS1_25lookback_scan_determinismE0ELb0ELb1ES3_N6thrust23THRUST_200600_302600_NS6detail15normal_iteratorINS9_10device_ptrIxEEEESE_xNS9_4plusIxEExEEDaPvRmT3_T4_T5_mT6_P12ihipStream_tbENKUlT_T0_E_clISt17integral_constantIbLb1EESU_EEDaSP_SQ_EUlSP_E0_NS1_11comp_targetILNS1_3genE8ELNS1_11target_archE1030ELNS1_3gpuE2ELNS1_3repE0EEENS1_30default_config_static_selectorELNS0_4arch9wavefront6targetE1EEEvT1_ ; -- Begin function _ZN7rocprim17ROCPRIM_400000_NS6detail17trampoline_kernelINS0_14default_configENS1_20scan_config_selectorIxEEZZNS1_9scan_implILNS1_25lookback_scan_determinismE0ELb0ELb1ES3_N6thrust23THRUST_200600_302600_NS6detail15normal_iteratorINS9_10device_ptrIxEEEESE_xNS9_4plusIxEExEEDaPvRmT3_T4_T5_mT6_P12ihipStream_tbENKUlT_T0_E_clISt17integral_constantIbLb1EESU_EEDaSP_SQ_EUlSP_E0_NS1_11comp_targetILNS1_3genE8ELNS1_11target_archE1030ELNS1_3gpuE2ELNS1_3repE0EEENS1_30default_config_static_selectorELNS0_4arch9wavefront6targetE1EEEvT1_
	.globl	_ZN7rocprim17ROCPRIM_400000_NS6detail17trampoline_kernelINS0_14default_configENS1_20scan_config_selectorIxEEZZNS1_9scan_implILNS1_25lookback_scan_determinismE0ELb0ELb1ES3_N6thrust23THRUST_200600_302600_NS6detail15normal_iteratorINS9_10device_ptrIxEEEESE_xNS9_4plusIxEExEEDaPvRmT3_T4_T5_mT6_P12ihipStream_tbENKUlT_T0_E_clISt17integral_constantIbLb1EESU_EEDaSP_SQ_EUlSP_E0_NS1_11comp_targetILNS1_3genE8ELNS1_11target_archE1030ELNS1_3gpuE2ELNS1_3repE0EEENS1_30default_config_static_selectorELNS0_4arch9wavefront6targetE1EEEvT1_
	.p2align	8
	.type	_ZN7rocprim17ROCPRIM_400000_NS6detail17trampoline_kernelINS0_14default_configENS1_20scan_config_selectorIxEEZZNS1_9scan_implILNS1_25lookback_scan_determinismE0ELb0ELb1ES3_N6thrust23THRUST_200600_302600_NS6detail15normal_iteratorINS9_10device_ptrIxEEEESE_xNS9_4plusIxEExEEDaPvRmT3_T4_T5_mT6_P12ihipStream_tbENKUlT_T0_E_clISt17integral_constantIbLb1EESU_EEDaSP_SQ_EUlSP_E0_NS1_11comp_targetILNS1_3genE8ELNS1_11target_archE1030ELNS1_3gpuE2ELNS1_3repE0EEENS1_30default_config_static_selectorELNS0_4arch9wavefront6targetE1EEEvT1_,@function
_ZN7rocprim17ROCPRIM_400000_NS6detail17trampoline_kernelINS0_14default_configENS1_20scan_config_selectorIxEEZZNS1_9scan_implILNS1_25lookback_scan_determinismE0ELb0ELb1ES3_N6thrust23THRUST_200600_302600_NS6detail15normal_iteratorINS9_10device_ptrIxEEEESE_xNS9_4plusIxEExEEDaPvRmT3_T4_T5_mT6_P12ihipStream_tbENKUlT_T0_E_clISt17integral_constantIbLb1EESU_EEDaSP_SQ_EUlSP_E0_NS1_11comp_targetILNS1_3genE8ELNS1_11target_archE1030ELNS1_3gpuE2ELNS1_3repE0EEENS1_30default_config_static_selectorELNS0_4arch9wavefront6targetE1EEEvT1_: ; @_ZN7rocprim17ROCPRIM_400000_NS6detail17trampoline_kernelINS0_14default_configENS1_20scan_config_selectorIxEEZZNS1_9scan_implILNS1_25lookback_scan_determinismE0ELb0ELb1ES3_N6thrust23THRUST_200600_302600_NS6detail15normal_iteratorINS9_10device_ptrIxEEEESE_xNS9_4plusIxEExEEDaPvRmT3_T4_T5_mT6_P12ihipStream_tbENKUlT_T0_E_clISt17integral_constantIbLb1EESU_EEDaSP_SQ_EUlSP_E0_NS1_11comp_targetILNS1_3genE8ELNS1_11target_archE1030ELNS1_3gpuE2ELNS1_3repE0EEENS1_30default_config_static_selectorELNS0_4arch9wavefront6targetE1EEEvT1_
; %bb.0:
	.section	.rodata,"a",@progbits
	.p2align	6, 0x0
	.amdhsa_kernel _ZN7rocprim17ROCPRIM_400000_NS6detail17trampoline_kernelINS0_14default_configENS1_20scan_config_selectorIxEEZZNS1_9scan_implILNS1_25lookback_scan_determinismE0ELb0ELb1ES3_N6thrust23THRUST_200600_302600_NS6detail15normal_iteratorINS9_10device_ptrIxEEEESE_xNS9_4plusIxEExEEDaPvRmT3_T4_T5_mT6_P12ihipStream_tbENKUlT_T0_E_clISt17integral_constantIbLb1EESU_EEDaSP_SQ_EUlSP_E0_NS1_11comp_targetILNS1_3genE8ELNS1_11target_archE1030ELNS1_3gpuE2ELNS1_3repE0EEENS1_30default_config_static_selectorELNS0_4arch9wavefront6targetE1EEEvT1_
		.amdhsa_group_segment_fixed_size 0
		.amdhsa_private_segment_fixed_size 0
		.amdhsa_kernarg_size 40
		.amdhsa_user_sgpr_count 6
		.amdhsa_user_sgpr_private_segment_buffer 1
		.amdhsa_user_sgpr_dispatch_ptr 0
		.amdhsa_user_sgpr_queue_ptr 0
		.amdhsa_user_sgpr_kernarg_segment_ptr 1
		.amdhsa_user_sgpr_dispatch_id 0
		.amdhsa_user_sgpr_flat_scratch_init 0
		.amdhsa_user_sgpr_kernarg_preload_length 0
		.amdhsa_user_sgpr_kernarg_preload_offset 0
		.amdhsa_user_sgpr_private_segment_size 0
		.amdhsa_uses_dynamic_stack 0
		.amdhsa_system_sgpr_private_segment_wavefront_offset 0
		.amdhsa_system_sgpr_workgroup_id_x 1
		.amdhsa_system_sgpr_workgroup_id_y 0
		.amdhsa_system_sgpr_workgroup_id_z 0
		.amdhsa_system_sgpr_workgroup_info 0
		.amdhsa_system_vgpr_workitem_id 0
		.amdhsa_next_free_vgpr 1
		.amdhsa_next_free_sgpr 0
		.amdhsa_accum_offset 4
		.amdhsa_reserve_vcc 0
		.amdhsa_reserve_flat_scratch 0
		.amdhsa_float_round_mode_32 0
		.amdhsa_float_round_mode_16_64 0
		.amdhsa_float_denorm_mode_32 3
		.amdhsa_float_denorm_mode_16_64 3
		.amdhsa_dx10_clamp 1
		.amdhsa_ieee_mode 1
		.amdhsa_fp16_overflow 0
		.amdhsa_tg_split 0
		.amdhsa_exception_fp_ieee_invalid_op 0
		.amdhsa_exception_fp_denorm_src 0
		.amdhsa_exception_fp_ieee_div_zero 0
		.amdhsa_exception_fp_ieee_overflow 0
		.amdhsa_exception_fp_ieee_underflow 0
		.amdhsa_exception_fp_ieee_inexact 0
		.amdhsa_exception_int_div_zero 0
	.end_amdhsa_kernel
	.section	.text._ZN7rocprim17ROCPRIM_400000_NS6detail17trampoline_kernelINS0_14default_configENS1_20scan_config_selectorIxEEZZNS1_9scan_implILNS1_25lookback_scan_determinismE0ELb0ELb1ES3_N6thrust23THRUST_200600_302600_NS6detail15normal_iteratorINS9_10device_ptrIxEEEESE_xNS9_4plusIxEExEEDaPvRmT3_T4_T5_mT6_P12ihipStream_tbENKUlT_T0_E_clISt17integral_constantIbLb1EESU_EEDaSP_SQ_EUlSP_E0_NS1_11comp_targetILNS1_3genE8ELNS1_11target_archE1030ELNS1_3gpuE2ELNS1_3repE0EEENS1_30default_config_static_selectorELNS0_4arch9wavefront6targetE1EEEvT1_,"axG",@progbits,_ZN7rocprim17ROCPRIM_400000_NS6detail17trampoline_kernelINS0_14default_configENS1_20scan_config_selectorIxEEZZNS1_9scan_implILNS1_25lookback_scan_determinismE0ELb0ELb1ES3_N6thrust23THRUST_200600_302600_NS6detail15normal_iteratorINS9_10device_ptrIxEEEESE_xNS9_4plusIxEExEEDaPvRmT3_T4_T5_mT6_P12ihipStream_tbENKUlT_T0_E_clISt17integral_constantIbLb1EESU_EEDaSP_SQ_EUlSP_E0_NS1_11comp_targetILNS1_3genE8ELNS1_11target_archE1030ELNS1_3gpuE2ELNS1_3repE0EEENS1_30default_config_static_selectorELNS0_4arch9wavefront6targetE1EEEvT1_,comdat
.Lfunc_end449:
	.size	_ZN7rocprim17ROCPRIM_400000_NS6detail17trampoline_kernelINS0_14default_configENS1_20scan_config_selectorIxEEZZNS1_9scan_implILNS1_25lookback_scan_determinismE0ELb0ELb1ES3_N6thrust23THRUST_200600_302600_NS6detail15normal_iteratorINS9_10device_ptrIxEEEESE_xNS9_4plusIxEExEEDaPvRmT3_T4_T5_mT6_P12ihipStream_tbENKUlT_T0_E_clISt17integral_constantIbLb1EESU_EEDaSP_SQ_EUlSP_E0_NS1_11comp_targetILNS1_3genE8ELNS1_11target_archE1030ELNS1_3gpuE2ELNS1_3repE0EEENS1_30default_config_static_selectorELNS0_4arch9wavefront6targetE1EEEvT1_, .Lfunc_end449-_ZN7rocprim17ROCPRIM_400000_NS6detail17trampoline_kernelINS0_14default_configENS1_20scan_config_selectorIxEEZZNS1_9scan_implILNS1_25lookback_scan_determinismE0ELb0ELb1ES3_N6thrust23THRUST_200600_302600_NS6detail15normal_iteratorINS9_10device_ptrIxEEEESE_xNS9_4plusIxEExEEDaPvRmT3_T4_T5_mT6_P12ihipStream_tbENKUlT_T0_E_clISt17integral_constantIbLb1EESU_EEDaSP_SQ_EUlSP_E0_NS1_11comp_targetILNS1_3genE8ELNS1_11target_archE1030ELNS1_3gpuE2ELNS1_3repE0EEENS1_30default_config_static_selectorELNS0_4arch9wavefront6targetE1EEEvT1_
                                        ; -- End function
	.section	.AMDGPU.csdata,"",@progbits
; Kernel info:
; codeLenInByte = 0
; NumSgprs: 4
; NumVgprs: 0
; NumAgprs: 0
; TotalNumVgprs: 0
; ScratchSize: 0
; MemoryBound: 0
; FloatMode: 240
; IeeeMode: 1
; LDSByteSize: 0 bytes/workgroup (compile time only)
; SGPRBlocks: 0
; VGPRBlocks: 0
; NumSGPRsForWavesPerEU: 4
; NumVGPRsForWavesPerEU: 1
; AccumOffset: 4
; Occupancy: 8
; WaveLimiterHint : 0
; COMPUTE_PGM_RSRC2:SCRATCH_EN: 0
; COMPUTE_PGM_RSRC2:USER_SGPR: 6
; COMPUTE_PGM_RSRC2:TRAP_HANDLER: 0
; COMPUTE_PGM_RSRC2:TGID_X_EN: 1
; COMPUTE_PGM_RSRC2:TGID_Y_EN: 0
; COMPUTE_PGM_RSRC2:TGID_Z_EN: 0
; COMPUTE_PGM_RSRC2:TIDIG_COMP_CNT: 0
; COMPUTE_PGM_RSRC3_GFX90A:ACCUM_OFFSET: 0
; COMPUTE_PGM_RSRC3_GFX90A:TG_SPLIT: 0
	.section	.text._ZN7rocprim17ROCPRIM_400000_NS6detail17trampoline_kernelINS0_14default_configENS1_20scan_config_selectorIxEEZZNS1_9scan_implILNS1_25lookback_scan_determinismE0ELb0ELb1ES3_N6thrust23THRUST_200600_302600_NS6detail15normal_iteratorINS9_10device_ptrIxEEEESE_xNS9_4plusIxEExEEDaPvRmT3_T4_T5_mT6_P12ihipStream_tbENKUlT_T0_E_clISt17integral_constantIbLb1EEST_IbLb0EEEEDaSP_SQ_EUlSP_E_NS1_11comp_targetILNS1_3genE0ELNS1_11target_archE4294967295ELNS1_3gpuE0ELNS1_3repE0EEENS1_30default_config_static_selectorELNS0_4arch9wavefront6targetE1EEEvT1_,"axG",@progbits,_ZN7rocprim17ROCPRIM_400000_NS6detail17trampoline_kernelINS0_14default_configENS1_20scan_config_selectorIxEEZZNS1_9scan_implILNS1_25lookback_scan_determinismE0ELb0ELb1ES3_N6thrust23THRUST_200600_302600_NS6detail15normal_iteratorINS9_10device_ptrIxEEEESE_xNS9_4plusIxEExEEDaPvRmT3_T4_T5_mT6_P12ihipStream_tbENKUlT_T0_E_clISt17integral_constantIbLb1EEST_IbLb0EEEEDaSP_SQ_EUlSP_E_NS1_11comp_targetILNS1_3genE0ELNS1_11target_archE4294967295ELNS1_3gpuE0ELNS1_3repE0EEENS1_30default_config_static_selectorELNS0_4arch9wavefront6targetE1EEEvT1_,comdat
	.protected	_ZN7rocprim17ROCPRIM_400000_NS6detail17trampoline_kernelINS0_14default_configENS1_20scan_config_selectorIxEEZZNS1_9scan_implILNS1_25lookback_scan_determinismE0ELb0ELb1ES3_N6thrust23THRUST_200600_302600_NS6detail15normal_iteratorINS9_10device_ptrIxEEEESE_xNS9_4plusIxEExEEDaPvRmT3_T4_T5_mT6_P12ihipStream_tbENKUlT_T0_E_clISt17integral_constantIbLb1EEST_IbLb0EEEEDaSP_SQ_EUlSP_E_NS1_11comp_targetILNS1_3genE0ELNS1_11target_archE4294967295ELNS1_3gpuE0ELNS1_3repE0EEENS1_30default_config_static_selectorELNS0_4arch9wavefront6targetE1EEEvT1_ ; -- Begin function _ZN7rocprim17ROCPRIM_400000_NS6detail17trampoline_kernelINS0_14default_configENS1_20scan_config_selectorIxEEZZNS1_9scan_implILNS1_25lookback_scan_determinismE0ELb0ELb1ES3_N6thrust23THRUST_200600_302600_NS6detail15normal_iteratorINS9_10device_ptrIxEEEESE_xNS9_4plusIxEExEEDaPvRmT3_T4_T5_mT6_P12ihipStream_tbENKUlT_T0_E_clISt17integral_constantIbLb1EEST_IbLb0EEEEDaSP_SQ_EUlSP_E_NS1_11comp_targetILNS1_3genE0ELNS1_11target_archE4294967295ELNS1_3gpuE0ELNS1_3repE0EEENS1_30default_config_static_selectorELNS0_4arch9wavefront6targetE1EEEvT1_
	.globl	_ZN7rocprim17ROCPRIM_400000_NS6detail17trampoline_kernelINS0_14default_configENS1_20scan_config_selectorIxEEZZNS1_9scan_implILNS1_25lookback_scan_determinismE0ELb0ELb1ES3_N6thrust23THRUST_200600_302600_NS6detail15normal_iteratorINS9_10device_ptrIxEEEESE_xNS9_4plusIxEExEEDaPvRmT3_T4_T5_mT6_P12ihipStream_tbENKUlT_T0_E_clISt17integral_constantIbLb1EEST_IbLb0EEEEDaSP_SQ_EUlSP_E_NS1_11comp_targetILNS1_3genE0ELNS1_11target_archE4294967295ELNS1_3gpuE0ELNS1_3repE0EEENS1_30default_config_static_selectorELNS0_4arch9wavefront6targetE1EEEvT1_
	.p2align	8
	.type	_ZN7rocprim17ROCPRIM_400000_NS6detail17trampoline_kernelINS0_14default_configENS1_20scan_config_selectorIxEEZZNS1_9scan_implILNS1_25lookback_scan_determinismE0ELb0ELb1ES3_N6thrust23THRUST_200600_302600_NS6detail15normal_iteratorINS9_10device_ptrIxEEEESE_xNS9_4plusIxEExEEDaPvRmT3_T4_T5_mT6_P12ihipStream_tbENKUlT_T0_E_clISt17integral_constantIbLb1EEST_IbLb0EEEEDaSP_SQ_EUlSP_E_NS1_11comp_targetILNS1_3genE0ELNS1_11target_archE4294967295ELNS1_3gpuE0ELNS1_3repE0EEENS1_30default_config_static_selectorELNS0_4arch9wavefront6targetE1EEEvT1_,@function
_ZN7rocprim17ROCPRIM_400000_NS6detail17trampoline_kernelINS0_14default_configENS1_20scan_config_selectorIxEEZZNS1_9scan_implILNS1_25lookback_scan_determinismE0ELb0ELb1ES3_N6thrust23THRUST_200600_302600_NS6detail15normal_iteratorINS9_10device_ptrIxEEEESE_xNS9_4plusIxEExEEDaPvRmT3_T4_T5_mT6_P12ihipStream_tbENKUlT_T0_E_clISt17integral_constantIbLb1EEST_IbLb0EEEEDaSP_SQ_EUlSP_E_NS1_11comp_targetILNS1_3genE0ELNS1_11target_archE4294967295ELNS1_3gpuE0ELNS1_3repE0EEENS1_30default_config_static_selectorELNS0_4arch9wavefront6targetE1EEEvT1_: ; @_ZN7rocprim17ROCPRIM_400000_NS6detail17trampoline_kernelINS0_14default_configENS1_20scan_config_selectorIxEEZZNS1_9scan_implILNS1_25lookback_scan_determinismE0ELb0ELb1ES3_N6thrust23THRUST_200600_302600_NS6detail15normal_iteratorINS9_10device_ptrIxEEEESE_xNS9_4plusIxEExEEDaPvRmT3_T4_T5_mT6_P12ihipStream_tbENKUlT_T0_E_clISt17integral_constantIbLb1EEST_IbLb0EEEEDaSP_SQ_EUlSP_E_NS1_11comp_targetILNS1_3genE0ELNS1_11target_archE4294967295ELNS1_3gpuE0ELNS1_3repE0EEENS1_30default_config_static_selectorELNS0_4arch9wavefront6targetE1EEEvT1_
; %bb.0:
	.section	.rodata,"a",@progbits
	.p2align	6, 0x0
	.amdhsa_kernel _ZN7rocprim17ROCPRIM_400000_NS6detail17trampoline_kernelINS0_14default_configENS1_20scan_config_selectorIxEEZZNS1_9scan_implILNS1_25lookback_scan_determinismE0ELb0ELb1ES3_N6thrust23THRUST_200600_302600_NS6detail15normal_iteratorINS9_10device_ptrIxEEEESE_xNS9_4plusIxEExEEDaPvRmT3_T4_T5_mT6_P12ihipStream_tbENKUlT_T0_E_clISt17integral_constantIbLb1EEST_IbLb0EEEEDaSP_SQ_EUlSP_E_NS1_11comp_targetILNS1_3genE0ELNS1_11target_archE4294967295ELNS1_3gpuE0ELNS1_3repE0EEENS1_30default_config_static_selectorELNS0_4arch9wavefront6targetE1EEEvT1_
		.amdhsa_group_segment_fixed_size 0
		.amdhsa_private_segment_fixed_size 0
		.amdhsa_kernarg_size 104
		.amdhsa_user_sgpr_count 6
		.amdhsa_user_sgpr_private_segment_buffer 1
		.amdhsa_user_sgpr_dispatch_ptr 0
		.amdhsa_user_sgpr_queue_ptr 0
		.amdhsa_user_sgpr_kernarg_segment_ptr 1
		.amdhsa_user_sgpr_dispatch_id 0
		.amdhsa_user_sgpr_flat_scratch_init 0
		.amdhsa_user_sgpr_kernarg_preload_length 0
		.amdhsa_user_sgpr_kernarg_preload_offset 0
		.amdhsa_user_sgpr_private_segment_size 0
		.amdhsa_uses_dynamic_stack 0
		.amdhsa_system_sgpr_private_segment_wavefront_offset 0
		.amdhsa_system_sgpr_workgroup_id_x 1
		.amdhsa_system_sgpr_workgroup_id_y 0
		.amdhsa_system_sgpr_workgroup_id_z 0
		.amdhsa_system_sgpr_workgroup_info 0
		.amdhsa_system_vgpr_workitem_id 0
		.amdhsa_next_free_vgpr 1
		.amdhsa_next_free_sgpr 0
		.amdhsa_accum_offset 4
		.amdhsa_reserve_vcc 0
		.amdhsa_reserve_flat_scratch 0
		.amdhsa_float_round_mode_32 0
		.amdhsa_float_round_mode_16_64 0
		.amdhsa_float_denorm_mode_32 3
		.amdhsa_float_denorm_mode_16_64 3
		.amdhsa_dx10_clamp 1
		.amdhsa_ieee_mode 1
		.amdhsa_fp16_overflow 0
		.amdhsa_tg_split 0
		.amdhsa_exception_fp_ieee_invalid_op 0
		.amdhsa_exception_fp_denorm_src 0
		.amdhsa_exception_fp_ieee_div_zero 0
		.amdhsa_exception_fp_ieee_overflow 0
		.amdhsa_exception_fp_ieee_underflow 0
		.amdhsa_exception_fp_ieee_inexact 0
		.amdhsa_exception_int_div_zero 0
	.end_amdhsa_kernel
	.section	.text._ZN7rocprim17ROCPRIM_400000_NS6detail17trampoline_kernelINS0_14default_configENS1_20scan_config_selectorIxEEZZNS1_9scan_implILNS1_25lookback_scan_determinismE0ELb0ELb1ES3_N6thrust23THRUST_200600_302600_NS6detail15normal_iteratorINS9_10device_ptrIxEEEESE_xNS9_4plusIxEExEEDaPvRmT3_T4_T5_mT6_P12ihipStream_tbENKUlT_T0_E_clISt17integral_constantIbLb1EEST_IbLb0EEEEDaSP_SQ_EUlSP_E_NS1_11comp_targetILNS1_3genE0ELNS1_11target_archE4294967295ELNS1_3gpuE0ELNS1_3repE0EEENS1_30default_config_static_selectorELNS0_4arch9wavefront6targetE1EEEvT1_,"axG",@progbits,_ZN7rocprim17ROCPRIM_400000_NS6detail17trampoline_kernelINS0_14default_configENS1_20scan_config_selectorIxEEZZNS1_9scan_implILNS1_25lookback_scan_determinismE0ELb0ELb1ES3_N6thrust23THRUST_200600_302600_NS6detail15normal_iteratorINS9_10device_ptrIxEEEESE_xNS9_4plusIxEExEEDaPvRmT3_T4_T5_mT6_P12ihipStream_tbENKUlT_T0_E_clISt17integral_constantIbLb1EEST_IbLb0EEEEDaSP_SQ_EUlSP_E_NS1_11comp_targetILNS1_3genE0ELNS1_11target_archE4294967295ELNS1_3gpuE0ELNS1_3repE0EEENS1_30default_config_static_selectorELNS0_4arch9wavefront6targetE1EEEvT1_,comdat
.Lfunc_end450:
	.size	_ZN7rocprim17ROCPRIM_400000_NS6detail17trampoline_kernelINS0_14default_configENS1_20scan_config_selectorIxEEZZNS1_9scan_implILNS1_25lookback_scan_determinismE0ELb0ELb1ES3_N6thrust23THRUST_200600_302600_NS6detail15normal_iteratorINS9_10device_ptrIxEEEESE_xNS9_4plusIxEExEEDaPvRmT3_T4_T5_mT6_P12ihipStream_tbENKUlT_T0_E_clISt17integral_constantIbLb1EEST_IbLb0EEEEDaSP_SQ_EUlSP_E_NS1_11comp_targetILNS1_3genE0ELNS1_11target_archE4294967295ELNS1_3gpuE0ELNS1_3repE0EEENS1_30default_config_static_selectorELNS0_4arch9wavefront6targetE1EEEvT1_, .Lfunc_end450-_ZN7rocprim17ROCPRIM_400000_NS6detail17trampoline_kernelINS0_14default_configENS1_20scan_config_selectorIxEEZZNS1_9scan_implILNS1_25lookback_scan_determinismE0ELb0ELb1ES3_N6thrust23THRUST_200600_302600_NS6detail15normal_iteratorINS9_10device_ptrIxEEEESE_xNS9_4plusIxEExEEDaPvRmT3_T4_T5_mT6_P12ihipStream_tbENKUlT_T0_E_clISt17integral_constantIbLb1EEST_IbLb0EEEEDaSP_SQ_EUlSP_E_NS1_11comp_targetILNS1_3genE0ELNS1_11target_archE4294967295ELNS1_3gpuE0ELNS1_3repE0EEENS1_30default_config_static_selectorELNS0_4arch9wavefront6targetE1EEEvT1_
                                        ; -- End function
	.section	.AMDGPU.csdata,"",@progbits
; Kernel info:
; codeLenInByte = 0
; NumSgprs: 4
; NumVgprs: 0
; NumAgprs: 0
; TotalNumVgprs: 0
; ScratchSize: 0
; MemoryBound: 0
; FloatMode: 240
; IeeeMode: 1
; LDSByteSize: 0 bytes/workgroup (compile time only)
; SGPRBlocks: 0
; VGPRBlocks: 0
; NumSGPRsForWavesPerEU: 4
; NumVGPRsForWavesPerEU: 1
; AccumOffset: 4
; Occupancy: 8
; WaveLimiterHint : 0
; COMPUTE_PGM_RSRC2:SCRATCH_EN: 0
; COMPUTE_PGM_RSRC2:USER_SGPR: 6
; COMPUTE_PGM_RSRC2:TRAP_HANDLER: 0
; COMPUTE_PGM_RSRC2:TGID_X_EN: 1
; COMPUTE_PGM_RSRC2:TGID_Y_EN: 0
; COMPUTE_PGM_RSRC2:TGID_Z_EN: 0
; COMPUTE_PGM_RSRC2:TIDIG_COMP_CNT: 0
; COMPUTE_PGM_RSRC3_GFX90A:ACCUM_OFFSET: 0
; COMPUTE_PGM_RSRC3_GFX90A:TG_SPLIT: 0
	.section	.text._ZN7rocprim17ROCPRIM_400000_NS6detail17trampoline_kernelINS0_14default_configENS1_20scan_config_selectorIxEEZZNS1_9scan_implILNS1_25lookback_scan_determinismE0ELb0ELb1ES3_N6thrust23THRUST_200600_302600_NS6detail15normal_iteratorINS9_10device_ptrIxEEEESE_xNS9_4plusIxEExEEDaPvRmT3_T4_T5_mT6_P12ihipStream_tbENKUlT_T0_E_clISt17integral_constantIbLb1EEST_IbLb0EEEEDaSP_SQ_EUlSP_E_NS1_11comp_targetILNS1_3genE5ELNS1_11target_archE942ELNS1_3gpuE9ELNS1_3repE0EEENS1_30default_config_static_selectorELNS0_4arch9wavefront6targetE1EEEvT1_,"axG",@progbits,_ZN7rocprim17ROCPRIM_400000_NS6detail17trampoline_kernelINS0_14default_configENS1_20scan_config_selectorIxEEZZNS1_9scan_implILNS1_25lookback_scan_determinismE0ELb0ELb1ES3_N6thrust23THRUST_200600_302600_NS6detail15normal_iteratorINS9_10device_ptrIxEEEESE_xNS9_4plusIxEExEEDaPvRmT3_T4_T5_mT6_P12ihipStream_tbENKUlT_T0_E_clISt17integral_constantIbLb1EEST_IbLb0EEEEDaSP_SQ_EUlSP_E_NS1_11comp_targetILNS1_3genE5ELNS1_11target_archE942ELNS1_3gpuE9ELNS1_3repE0EEENS1_30default_config_static_selectorELNS0_4arch9wavefront6targetE1EEEvT1_,comdat
	.protected	_ZN7rocprim17ROCPRIM_400000_NS6detail17trampoline_kernelINS0_14default_configENS1_20scan_config_selectorIxEEZZNS1_9scan_implILNS1_25lookback_scan_determinismE0ELb0ELb1ES3_N6thrust23THRUST_200600_302600_NS6detail15normal_iteratorINS9_10device_ptrIxEEEESE_xNS9_4plusIxEExEEDaPvRmT3_T4_T5_mT6_P12ihipStream_tbENKUlT_T0_E_clISt17integral_constantIbLb1EEST_IbLb0EEEEDaSP_SQ_EUlSP_E_NS1_11comp_targetILNS1_3genE5ELNS1_11target_archE942ELNS1_3gpuE9ELNS1_3repE0EEENS1_30default_config_static_selectorELNS0_4arch9wavefront6targetE1EEEvT1_ ; -- Begin function _ZN7rocprim17ROCPRIM_400000_NS6detail17trampoline_kernelINS0_14default_configENS1_20scan_config_selectorIxEEZZNS1_9scan_implILNS1_25lookback_scan_determinismE0ELb0ELb1ES3_N6thrust23THRUST_200600_302600_NS6detail15normal_iteratorINS9_10device_ptrIxEEEESE_xNS9_4plusIxEExEEDaPvRmT3_T4_T5_mT6_P12ihipStream_tbENKUlT_T0_E_clISt17integral_constantIbLb1EEST_IbLb0EEEEDaSP_SQ_EUlSP_E_NS1_11comp_targetILNS1_3genE5ELNS1_11target_archE942ELNS1_3gpuE9ELNS1_3repE0EEENS1_30default_config_static_selectorELNS0_4arch9wavefront6targetE1EEEvT1_
	.globl	_ZN7rocprim17ROCPRIM_400000_NS6detail17trampoline_kernelINS0_14default_configENS1_20scan_config_selectorIxEEZZNS1_9scan_implILNS1_25lookback_scan_determinismE0ELb0ELb1ES3_N6thrust23THRUST_200600_302600_NS6detail15normal_iteratorINS9_10device_ptrIxEEEESE_xNS9_4plusIxEExEEDaPvRmT3_T4_T5_mT6_P12ihipStream_tbENKUlT_T0_E_clISt17integral_constantIbLb1EEST_IbLb0EEEEDaSP_SQ_EUlSP_E_NS1_11comp_targetILNS1_3genE5ELNS1_11target_archE942ELNS1_3gpuE9ELNS1_3repE0EEENS1_30default_config_static_selectorELNS0_4arch9wavefront6targetE1EEEvT1_
	.p2align	8
	.type	_ZN7rocprim17ROCPRIM_400000_NS6detail17trampoline_kernelINS0_14default_configENS1_20scan_config_selectorIxEEZZNS1_9scan_implILNS1_25lookback_scan_determinismE0ELb0ELb1ES3_N6thrust23THRUST_200600_302600_NS6detail15normal_iteratorINS9_10device_ptrIxEEEESE_xNS9_4plusIxEExEEDaPvRmT3_T4_T5_mT6_P12ihipStream_tbENKUlT_T0_E_clISt17integral_constantIbLb1EEST_IbLb0EEEEDaSP_SQ_EUlSP_E_NS1_11comp_targetILNS1_3genE5ELNS1_11target_archE942ELNS1_3gpuE9ELNS1_3repE0EEENS1_30default_config_static_selectorELNS0_4arch9wavefront6targetE1EEEvT1_,@function
_ZN7rocprim17ROCPRIM_400000_NS6detail17trampoline_kernelINS0_14default_configENS1_20scan_config_selectorIxEEZZNS1_9scan_implILNS1_25lookback_scan_determinismE0ELb0ELb1ES3_N6thrust23THRUST_200600_302600_NS6detail15normal_iteratorINS9_10device_ptrIxEEEESE_xNS9_4plusIxEExEEDaPvRmT3_T4_T5_mT6_P12ihipStream_tbENKUlT_T0_E_clISt17integral_constantIbLb1EEST_IbLb0EEEEDaSP_SQ_EUlSP_E_NS1_11comp_targetILNS1_3genE5ELNS1_11target_archE942ELNS1_3gpuE9ELNS1_3repE0EEENS1_30default_config_static_selectorELNS0_4arch9wavefront6targetE1EEEvT1_: ; @_ZN7rocprim17ROCPRIM_400000_NS6detail17trampoline_kernelINS0_14default_configENS1_20scan_config_selectorIxEEZZNS1_9scan_implILNS1_25lookback_scan_determinismE0ELb0ELb1ES3_N6thrust23THRUST_200600_302600_NS6detail15normal_iteratorINS9_10device_ptrIxEEEESE_xNS9_4plusIxEExEEDaPvRmT3_T4_T5_mT6_P12ihipStream_tbENKUlT_T0_E_clISt17integral_constantIbLb1EEST_IbLb0EEEEDaSP_SQ_EUlSP_E_NS1_11comp_targetILNS1_3genE5ELNS1_11target_archE942ELNS1_3gpuE9ELNS1_3repE0EEENS1_30default_config_static_selectorELNS0_4arch9wavefront6targetE1EEEvT1_
; %bb.0:
	.section	.rodata,"a",@progbits
	.p2align	6, 0x0
	.amdhsa_kernel _ZN7rocprim17ROCPRIM_400000_NS6detail17trampoline_kernelINS0_14default_configENS1_20scan_config_selectorIxEEZZNS1_9scan_implILNS1_25lookback_scan_determinismE0ELb0ELb1ES3_N6thrust23THRUST_200600_302600_NS6detail15normal_iteratorINS9_10device_ptrIxEEEESE_xNS9_4plusIxEExEEDaPvRmT3_T4_T5_mT6_P12ihipStream_tbENKUlT_T0_E_clISt17integral_constantIbLb1EEST_IbLb0EEEEDaSP_SQ_EUlSP_E_NS1_11comp_targetILNS1_3genE5ELNS1_11target_archE942ELNS1_3gpuE9ELNS1_3repE0EEENS1_30default_config_static_selectorELNS0_4arch9wavefront6targetE1EEEvT1_
		.amdhsa_group_segment_fixed_size 0
		.amdhsa_private_segment_fixed_size 0
		.amdhsa_kernarg_size 104
		.amdhsa_user_sgpr_count 6
		.amdhsa_user_sgpr_private_segment_buffer 1
		.amdhsa_user_sgpr_dispatch_ptr 0
		.amdhsa_user_sgpr_queue_ptr 0
		.amdhsa_user_sgpr_kernarg_segment_ptr 1
		.amdhsa_user_sgpr_dispatch_id 0
		.amdhsa_user_sgpr_flat_scratch_init 0
		.amdhsa_user_sgpr_kernarg_preload_length 0
		.amdhsa_user_sgpr_kernarg_preload_offset 0
		.amdhsa_user_sgpr_private_segment_size 0
		.amdhsa_uses_dynamic_stack 0
		.amdhsa_system_sgpr_private_segment_wavefront_offset 0
		.amdhsa_system_sgpr_workgroup_id_x 1
		.amdhsa_system_sgpr_workgroup_id_y 0
		.amdhsa_system_sgpr_workgroup_id_z 0
		.amdhsa_system_sgpr_workgroup_info 0
		.amdhsa_system_vgpr_workitem_id 0
		.amdhsa_next_free_vgpr 1
		.amdhsa_next_free_sgpr 0
		.amdhsa_accum_offset 4
		.amdhsa_reserve_vcc 0
		.amdhsa_reserve_flat_scratch 0
		.amdhsa_float_round_mode_32 0
		.amdhsa_float_round_mode_16_64 0
		.amdhsa_float_denorm_mode_32 3
		.amdhsa_float_denorm_mode_16_64 3
		.amdhsa_dx10_clamp 1
		.amdhsa_ieee_mode 1
		.amdhsa_fp16_overflow 0
		.amdhsa_tg_split 0
		.amdhsa_exception_fp_ieee_invalid_op 0
		.amdhsa_exception_fp_denorm_src 0
		.amdhsa_exception_fp_ieee_div_zero 0
		.amdhsa_exception_fp_ieee_overflow 0
		.amdhsa_exception_fp_ieee_underflow 0
		.amdhsa_exception_fp_ieee_inexact 0
		.amdhsa_exception_int_div_zero 0
	.end_amdhsa_kernel
	.section	.text._ZN7rocprim17ROCPRIM_400000_NS6detail17trampoline_kernelINS0_14default_configENS1_20scan_config_selectorIxEEZZNS1_9scan_implILNS1_25lookback_scan_determinismE0ELb0ELb1ES3_N6thrust23THRUST_200600_302600_NS6detail15normal_iteratorINS9_10device_ptrIxEEEESE_xNS9_4plusIxEExEEDaPvRmT3_T4_T5_mT6_P12ihipStream_tbENKUlT_T0_E_clISt17integral_constantIbLb1EEST_IbLb0EEEEDaSP_SQ_EUlSP_E_NS1_11comp_targetILNS1_3genE5ELNS1_11target_archE942ELNS1_3gpuE9ELNS1_3repE0EEENS1_30default_config_static_selectorELNS0_4arch9wavefront6targetE1EEEvT1_,"axG",@progbits,_ZN7rocprim17ROCPRIM_400000_NS6detail17trampoline_kernelINS0_14default_configENS1_20scan_config_selectorIxEEZZNS1_9scan_implILNS1_25lookback_scan_determinismE0ELb0ELb1ES3_N6thrust23THRUST_200600_302600_NS6detail15normal_iteratorINS9_10device_ptrIxEEEESE_xNS9_4plusIxEExEEDaPvRmT3_T4_T5_mT6_P12ihipStream_tbENKUlT_T0_E_clISt17integral_constantIbLb1EEST_IbLb0EEEEDaSP_SQ_EUlSP_E_NS1_11comp_targetILNS1_3genE5ELNS1_11target_archE942ELNS1_3gpuE9ELNS1_3repE0EEENS1_30default_config_static_selectorELNS0_4arch9wavefront6targetE1EEEvT1_,comdat
.Lfunc_end451:
	.size	_ZN7rocprim17ROCPRIM_400000_NS6detail17trampoline_kernelINS0_14default_configENS1_20scan_config_selectorIxEEZZNS1_9scan_implILNS1_25lookback_scan_determinismE0ELb0ELb1ES3_N6thrust23THRUST_200600_302600_NS6detail15normal_iteratorINS9_10device_ptrIxEEEESE_xNS9_4plusIxEExEEDaPvRmT3_T4_T5_mT6_P12ihipStream_tbENKUlT_T0_E_clISt17integral_constantIbLb1EEST_IbLb0EEEEDaSP_SQ_EUlSP_E_NS1_11comp_targetILNS1_3genE5ELNS1_11target_archE942ELNS1_3gpuE9ELNS1_3repE0EEENS1_30default_config_static_selectorELNS0_4arch9wavefront6targetE1EEEvT1_, .Lfunc_end451-_ZN7rocprim17ROCPRIM_400000_NS6detail17trampoline_kernelINS0_14default_configENS1_20scan_config_selectorIxEEZZNS1_9scan_implILNS1_25lookback_scan_determinismE0ELb0ELb1ES3_N6thrust23THRUST_200600_302600_NS6detail15normal_iteratorINS9_10device_ptrIxEEEESE_xNS9_4plusIxEExEEDaPvRmT3_T4_T5_mT6_P12ihipStream_tbENKUlT_T0_E_clISt17integral_constantIbLb1EEST_IbLb0EEEEDaSP_SQ_EUlSP_E_NS1_11comp_targetILNS1_3genE5ELNS1_11target_archE942ELNS1_3gpuE9ELNS1_3repE0EEENS1_30default_config_static_selectorELNS0_4arch9wavefront6targetE1EEEvT1_
                                        ; -- End function
	.section	.AMDGPU.csdata,"",@progbits
; Kernel info:
; codeLenInByte = 0
; NumSgprs: 4
; NumVgprs: 0
; NumAgprs: 0
; TotalNumVgprs: 0
; ScratchSize: 0
; MemoryBound: 0
; FloatMode: 240
; IeeeMode: 1
; LDSByteSize: 0 bytes/workgroup (compile time only)
; SGPRBlocks: 0
; VGPRBlocks: 0
; NumSGPRsForWavesPerEU: 4
; NumVGPRsForWavesPerEU: 1
; AccumOffset: 4
; Occupancy: 8
; WaveLimiterHint : 0
; COMPUTE_PGM_RSRC2:SCRATCH_EN: 0
; COMPUTE_PGM_RSRC2:USER_SGPR: 6
; COMPUTE_PGM_RSRC2:TRAP_HANDLER: 0
; COMPUTE_PGM_RSRC2:TGID_X_EN: 1
; COMPUTE_PGM_RSRC2:TGID_Y_EN: 0
; COMPUTE_PGM_RSRC2:TGID_Z_EN: 0
; COMPUTE_PGM_RSRC2:TIDIG_COMP_CNT: 0
; COMPUTE_PGM_RSRC3_GFX90A:ACCUM_OFFSET: 0
; COMPUTE_PGM_RSRC3_GFX90A:TG_SPLIT: 0
	.section	.text._ZN7rocprim17ROCPRIM_400000_NS6detail17trampoline_kernelINS0_14default_configENS1_20scan_config_selectorIxEEZZNS1_9scan_implILNS1_25lookback_scan_determinismE0ELb0ELb1ES3_N6thrust23THRUST_200600_302600_NS6detail15normal_iteratorINS9_10device_ptrIxEEEESE_xNS9_4plusIxEExEEDaPvRmT3_T4_T5_mT6_P12ihipStream_tbENKUlT_T0_E_clISt17integral_constantIbLb1EEST_IbLb0EEEEDaSP_SQ_EUlSP_E_NS1_11comp_targetILNS1_3genE4ELNS1_11target_archE910ELNS1_3gpuE8ELNS1_3repE0EEENS1_30default_config_static_selectorELNS0_4arch9wavefront6targetE1EEEvT1_,"axG",@progbits,_ZN7rocprim17ROCPRIM_400000_NS6detail17trampoline_kernelINS0_14default_configENS1_20scan_config_selectorIxEEZZNS1_9scan_implILNS1_25lookback_scan_determinismE0ELb0ELb1ES3_N6thrust23THRUST_200600_302600_NS6detail15normal_iteratorINS9_10device_ptrIxEEEESE_xNS9_4plusIxEExEEDaPvRmT3_T4_T5_mT6_P12ihipStream_tbENKUlT_T0_E_clISt17integral_constantIbLb1EEST_IbLb0EEEEDaSP_SQ_EUlSP_E_NS1_11comp_targetILNS1_3genE4ELNS1_11target_archE910ELNS1_3gpuE8ELNS1_3repE0EEENS1_30default_config_static_selectorELNS0_4arch9wavefront6targetE1EEEvT1_,comdat
	.protected	_ZN7rocprim17ROCPRIM_400000_NS6detail17trampoline_kernelINS0_14default_configENS1_20scan_config_selectorIxEEZZNS1_9scan_implILNS1_25lookback_scan_determinismE0ELb0ELb1ES3_N6thrust23THRUST_200600_302600_NS6detail15normal_iteratorINS9_10device_ptrIxEEEESE_xNS9_4plusIxEExEEDaPvRmT3_T4_T5_mT6_P12ihipStream_tbENKUlT_T0_E_clISt17integral_constantIbLb1EEST_IbLb0EEEEDaSP_SQ_EUlSP_E_NS1_11comp_targetILNS1_3genE4ELNS1_11target_archE910ELNS1_3gpuE8ELNS1_3repE0EEENS1_30default_config_static_selectorELNS0_4arch9wavefront6targetE1EEEvT1_ ; -- Begin function _ZN7rocprim17ROCPRIM_400000_NS6detail17trampoline_kernelINS0_14default_configENS1_20scan_config_selectorIxEEZZNS1_9scan_implILNS1_25lookback_scan_determinismE0ELb0ELb1ES3_N6thrust23THRUST_200600_302600_NS6detail15normal_iteratorINS9_10device_ptrIxEEEESE_xNS9_4plusIxEExEEDaPvRmT3_T4_T5_mT6_P12ihipStream_tbENKUlT_T0_E_clISt17integral_constantIbLb1EEST_IbLb0EEEEDaSP_SQ_EUlSP_E_NS1_11comp_targetILNS1_3genE4ELNS1_11target_archE910ELNS1_3gpuE8ELNS1_3repE0EEENS1_30default_config_static_selectorELNS0_4arch9wavefront6targetE1EEEvT1_
	.globl	_ZN7rocprim17ROCPRIM_400000_NS6detail17trampoline_kernelINS0_14default_configENS1_20scan_config_selectorIxEEZZNS1_9scan_implILNS1_25lookback_scan_determinismE0ELb0ELb1ES3_N6thrust23THRUST_200600_302600_NS6detail15normal_iteratorINS9_10device_ptrIxEEEESE_xNS9_4plusIxEExEEDaPvRmT3_T4_T5_mT6_P12ihipStream_tbENKUlT_T0_E_clISt17integral_constantIbLb1EEST_IbLb0EEEEDaSP_SQ_EUlSP_E_NS1_11comp_targetILNS1_3genE4ELNS1_11target_archE910ELNS1_3gpuE8ELNS1_3repE0EEENS1_30default_config_static_selectorELNS0_4arch9wavefront6targetE1EEEvT1_
	.p2align	8
	.type	_ZN7rocprim17ROCPRIM_400000_NS6detail17trampoline_kernelINS0_14default_configENS1_20scan_config_selectorIxEEZZNS1_9scan_implILNS1_25lookback_scan_determinismE0ELb0ELb1ES3_N6thrust23THRUST_200600_302600_NS6detail15normal_iteratorINS9_10device_ptrIxEEEESE_xNS9_4plusIxEExEEDaPvRmT3_T4_T5_mT6_P12ihipStream_tbENKUlT_T0_E_clISt17integral_constantIbLb1EEST_IbLb0EEEEDaSP_SQ_EUlSP_E_NS1_11comp_targetILNS1_3genE4ELNS1_11target_archE910ELNS1_3gpuE8ELNS1_3repE0EEENS1_30default_config_static_selectorELNS0_4arch9wavefront6targetE1EEEvT1_,@function
_ZN7rocprim17ROCPRIM_400000_NS6detail17trampoline_kernelINS0_14default_configENS1_20scan_config_selectorIxEEZZNS1_9scan_implILNS1_25lookback_scan_determinismE0ELb0ELb1ES3_N6thrust23THRUST_200600_302600_NS6detail15normal_iteratorINS9_10device_ptrIxEEEESE_xNS9_4plusIxEExEEDaPvRmT3_T4_T5_mT6_P12ihipStream_tbENKUlT_T0_E_clISt17integral_constantIbLb1EEST_IbLb0EEEEDaSP_SQ_EUlSP_E_NS1_11comp_targetILNS1_3genE4ELNS1_11target_archE910ELNS1_3gpuE8ELNS1_3repE0EEENS1_30default_config_static_selectorELNS0_4arch9wavefront6targetE1EEEvT1_: ; @_ZN7rocprim17ROCPRIM_400000_NS6detail17trampoline_kernelINS0_14default_configENS1_20scan_config_selectorIxEEZZNS1_9scan_implILNS1_25lookback_scan_determinismE0ELb0ELb1ES3_N6thrust23THRUST_200600_302600_NS6detail15normal_iteratorINS9_10device_ptrIxEEEESE_xNS9_4plusIxEExEEDaPvRmT3_T4_T5_mT6_P12ihipStream_tbENKUlT_T0_E_clISt17integral_constantIbLb1EEST_IbLb0EEEEDaSP_SQ_EUlSP_E_NS1_11comp_targetILNS1_3genE4ELNS1_11target_archE910ELNS1_3gpuE8ELNS1_3repE0EEENS1_30default_config_static_selectorELNS0_4arch9wavefront6targetE1EEEvT1_
; %bb.0:
	s_load_dwordx8 s[8:15], s[4:5], 0x0
	s_load_dword s1, s[4:5], 0x38
	s_mul_i32 s0, s6, 0x380
	v_lshlrev_b32_e32 v48, 3, v0
	s_waitcnt lgkmcnt(0)
	s_lshl_b64 s[24:25], s[10:11], 3
	s_add_u32 s2, s8, s24
	s_addc_u32 s3, s9, s25
	s_add_i32 s7, s1, -1
	s_mul_i32 s8, s7, 0x380
	s_sub_u32 s33, s14, s8
	s_subb_u32 s34, s15, 0
	s_mov_b32 s1, 0
	s_cmp_lg_u32 s6, s7
	s_cselect_b64 s[14:15], -1, 0
	s_lshl_b64 s[26:27], s[0:1], 3
	s_add_u32 s2, s2, s26
	s_addc_u32 s3, s3, s27
	s_mov_b64 s[0:1], -1
	s_and_b64 vcc, exec, s[14:15]
	s_cbranch_vccz .LBB452_2
; %bb.1:
	v_mov_b32_e32 v1, s3
	v_add_co_u32_e32 v2, vcc, s2, v48
	v_addc_co_u32_e32 v3, vcc, 0, v1, vcc
	flat_load_dwordx2 v[4:5], v[2:3]
	flat_load_dwordx2 v[6:7], v[2:3] offset:1024
	flat_load_dwordx2 v[8:9], v[2:3] offset:2048
	;; [unrolled: 1-line block ×3, first 2 shown]
	v_add_co_u32_e32 v2, vcc, 0x1000, v2
	v_addc_co_u32_e32 v3, vcc, 0, v3, vcc
	flat_load_dwordx2 v[12:13], v[2:3]
	flat_load_dwordx2 v[14:15], v[2:3] offset:1024
	flat_load_dwordx2 v[16:17], v[2:3] offset:2048
	s_mov_b64 s[0:1], 0
	s_waitcnt vmcnt(0) lgkmcnt(0)
	ds_write2st64_b64 v48, v[4:5], v[6:7] offset1:2
	ds_write2st64_b64 v48, v[8:9], v[10:11] offset0:4 offset1:6
	ds_write2st64_b64 v48, v[12:13], v[14:15] offset0:8 offset1:10
	ds_write_b64 v48, v[16:17] offset:6144
	s_waitcnt lgkmcnt(0)
	s_barrier
.LBB452_2:
	s_load_dwordx2 s[30:31], s[4:5], 0x20
	s_load_dwordx2 s[28:29], s[4:5], 0x30
	s_andn2_b64 vcc, exec, s[0:1]
	v_cmp_gt_u32_e64 s[0:1], s33, v0
	s_cbranch_vccnz .LBB452_18
; %bb.3:
	v_pk_mov_b32 v[2:3], s[2:3], s[2:3] op_sel:[0,1]
	flat_load_dwordx2 v[2:3], v[2:3]
	s_waitcnt vmcnt(0) lgkmcnt(0)
	v_mov_b32_e32 v4, v2
	v_mov_b32_e32 v5, v3
	;; [unrolled: 1-line block ×10, first 2 shown]
	v_pk_mov_b32 v[18:19], v[14:15], v[14:15] op_sel:[0,1]
	v_pk_mov_b32 v[16:17], v[12:13], v[12:13] op_sel:[0,1]
	;; [unrolled: 1-line block ×8, first 2 shown]
	s_and_saveexec_b64 s[8:9], s[0:1]
	s_cbranch_execz .LBB452_5
; %bb.4:
	v_mov_b32_e32 v1, s3
	v_add_co_u32_e32 v4, vcc, s2, v48
	v_addc_co_u32_e32 v5, vcc, 0, v1, vcc
	flat_load_dwordx2 v[20:21], v[4:5]
	v_mov_b32_e32 v4, v2
	v_mov_b32_e32 v5, v3
	;; [unrolled: 1-line block ×10, first 2 shown]
	v_pk_mov_b32 v[18:19], v[14:15], v[14:15] op_sel:[0,1]
	v_pk_mov_b32 v[16:17], v[12:13], v[12:13] op_sel:[0,1]
	;; [unrolled: 1-line block ×8, first 2 shown]
	s_waitcnt vmcnt(0) lgkmcnt(0)
	v_pk_mov_b32 v[2:3], v[20:21], v[20:21] op_sel:[0,1]
.LBB452_5:
	s_or_b64 exec, exec, s[8:9]
	v_or_b32_e32 v1, 0x80, v0
	v_cmp_gt_u32_e32 vcc, s33, v1
	s_and_saveexec_b64 s[0:1], vcc
	s_cbranch_execz .LBB452_7
; %bb.6:
	v_mov_b32_e32 v1, s3
	v_add_co_u32_e32 v4, vcc, s2, v48
	v_addc_co_u32_e32 v5, vcc, 0, v1, vcc
	flat_load_dwordx2 v[6:7], v[4:5] offset:1024
.LBB452_7:
	s_or_b64 exec, exec, s[0:1]
	v_or_b32_e32 v1, 0x100, v0
	v_cmp_gt_u32_e32 vcc, s33, v1
	s_and_saveexec_b64 s[0:1], vcc
	s_cbranch_execz .LBB452_9
; %bb.8:
	v_mov_b32_e32 v1, s3
	v_add_co_u32_e32 v4, vcc, s2, v48
	v_addc_co_u32_e32 v5, vcc, 0, v1, vcc
	flat_load_dwordx2 v[8:9], v[4:5] offset:2048
.LBB452_9:
	;; [unrolled: 11-line block ×3, first 2 shown]
	s_or_b64 exec, exec, s[0:1]
	v_or_b32_e32 v1, 0x200, v0
	v_cmp_gt_u32_e32 vcc, s33, v1
	s_and_saveexec_b64 s[0:1], vcc
	s_cbranch_execz .LBB452_13
; %bb.12:
	v_lshlrev_b32_e32 v1, 3, v1
	v_mov_b32_e32 v5, s3
	v_add_co_u32_e32 v4, vcc, s2, v1
	v_addc_co_u32_e32 v5, vcc, 0, v5, vcc
	flat_load_dwordx2 v[12:13], v[4:5]
.LBB452_13:
	s_or_b64 exec, exec, s[0:1]
	v_or_b32_e32 v1, 0x280, v0
	v_cmp_gt_u32_e32 vcc, s33, v1
	s_and_saveexec_b64 s[0:1], vcc
	s_cbranch_execz .LBB452_15
; %bb.14:
	v_lshlrev_b32_e32 v1, 3, v1
	v_mov_b32_e32 v5, s3
	v_add_co_u32_e32 v4, vcc, s2, v1
	v_addc_co_u32_e32 v5, vcc, 0, v5, vcc
	flat_load_dwordx2 v[14:15], v[4:5]
.LBB452_15:
	;; [unrolled: 12-line block ×3, first 2 shown]
	s_or_b64 exec, exec, s[0:1]
	s_waitcnt vmcnt(0) lgkmcnt(0)
	ds_write2st64_b64 v48, v[2:3], v[6:7] offset1:2
	ds_write2st64_b64 v48, v[8:9], v[10:11] offset0:4 offset1:6
	ds_write2st64_b64 v48, v[12:13], v[14:15] offset0:8 offset1:10
	ds_write_b64 v48, v[16:17] offset:6144
	s_waitcnt lgkmcnt(0)
	s_barrier
.LBB452_18:
	v_mul_u32_u24_e32 v49, 7, v0
	v_lshlrev_b32_e32 v1, 3, v49
	s_waitcnt lgkmcnt(0)
	ds_read2_b64 v[2:5], v1 offset1:1
	ds_read2_b64 v[10:13], v1 offset0:2 offset1:3
	ds_read2_b64 v[6:9], v1 offset0:4 offset1:5
	ds_read_b64 v[28:29], v1 offset:48
	s_cmp_lg_u32 s6, 0
	v_lshrrev_b32_e32 v50, 5, v0
	v_cmp_gt_u32_e32 vcc, 64, v0
	s_waitcnt lgkmcnt(0)
	s_barrier
	s_cbranch_scc0 .LBB452_49
; %bb.19:
	v_add_co_u32_e64 v1, s[0:1], v4, v2
	v_addc_co_u32_e64 v14, s[0:1], v5, v3, s[0:1]
	v_add_co_u32_e64 v1, s[0:1], v1, v10
	v_addc_co_u32_e64 v14, s[0:1], v14, v11, s[0:1]
	;; [unrolled: 2-line block ×6, first 2 shown]
	v_add_lshl_u32 v1, v50, v0, 3
	ds_write_b64 v1, v[18:19]
	s_waitcnt lgkmcnt(0)
	s_barrier
	s_and_saveexec_b64 s[8:9], vcc
	s_cbranch_execz .LBB452_23
; %bb.20:
	v_lshlrev_b32_e32 v1, 1, v0
	v_lshrrev_b32_e32 v14, 4, v0
	v_add_lshl_u32 v20, v14, v1, 3
	ds_read2_b64 v[14:17], v20 offset1:1
	v_mbcnt_lo_u32_b32 v1, -1, 0
	s_waitcnt lgkmcnt(0)
	v_add_co_u32_e64 v21, s[0:1], v16, v14
	v_addc_co_u32_e64 v22, s[0:1], v17, v15, s[0:1]
	s_nop 0
	v_mov_b32_dpp v16, v21 row_shr:1 row_mask:0xf bank_mask:0xf
	v_add_co_u32_e64 v16, s[0:1], v21, v16
	v_addc_co_u32_e64 v24, s[0:1], 0, v22, s[0:1]
	v_mbcnt_hi_u32_b32 v17, -1, v1
	v_mov_b32_dpp v23, v22 row_shr:1 row_mask:0xf bank_mask:0xf
	v_add_co_u32_e64 v25, s[0:1], 0, v16
	v_and_b32_e32 v1, 15, v17
	v_addc_co_u32_e64 v23, s[0:1], v23, v24, s[0:1]
	v_cmp_eq_u32_e64 s[0:1], 0, v1
	v_cndmask_b32_e64 v16, v16, v21, s[0:1]
	v_cndmask_b32_e64 v23, v23, v22, s[0:1]
	v_cndmask_b32_e64 v24, v25, v21, s[0:1]
	v_mov_b32_dpp v25, v16 row_shr:2 row_mask:0xf bank_mask:0xf
	v_mov_b32_dpp v26, v23 row_shr:2 row_mask:0xf bank_mask:0xf
	v_add_co_u32_e64 v25, s[0:1], v25, v24
	v_addc_co_u32_e64 v26, s[0:1], v26, v23, s[0:1]
	v_cmp_lt_u32_e64 s[0:1], 1, v1
	v_cndmask_b32_e64 v16, v16, v25, s[0:1]
	v_cndmask_b32_e64 v23, v23, v26, s[0:1]
	v_cndmask_b32_e64 v24, v24, v25, s[0:1]
	v_mov_b32_dpp v25, v16 row_shr:4 row_mask:0xf bank_mask:0xf
	v_mov_b32_dpp v26, v23 row_shr:4 row_mask:0xf bank_mask:0xf
	v_add_co_u32_e64 v25, s[0:1], v25, v24
	v_addc_co_u32_e64 v26, s[0:1], v26, v23, s[0:1]
	v_cmp_lt_u32_e64 s[0:1], 3, v1
	v_cndmask_b32_e64 v16, v16, v25, s[0:1]
	v_cndmask_b32_e64 v23, v23, v26, s[0:1]
	v_cndmask_b32_e64 v24, v24, v25, s[0:1]
	v_mov_b32_dpp v25, v16 row_shr:8 row_mask:0xf bank_mask:0xf
	v_mov_b32_dpp v26, v23 row_shr:8 row_mask:0xf bank_mask:0xf
	v_add_co_u32_e64 v25, s[0:1], v25, v24
	v_addc_co_u32_e64 v26, s[0:1], v26, v23, s[0:1]
	v_cmp_lt_u32_e64 s[0:1], 7, v1
	v_cndmask_b32_e64 v27, v16, v25, s[0:1]
	v_cndmask_b32_e64 v1, v23, v26, s[0:1]
	;; [unrolled: 1-line block ×3, first 2 shown]
	v_mov_b32_dpp v23, v27 row_bcast:15 row_mask:0xf bank_mask:0xf
	v_mov_b32_dpp v24, v1 row_bcast:15 row_mask:0xf bank_mask:0xf
	v_add_co_u32_e64 v23, s[0:1], v23, v16
	v_and_b32_e32 v26, 16, v17
	v_addc_co_u32_e64 v25, s[0:1], v24, v1, s[0:1]
	v_cmp_eq_u32_e64 s[0:1], 0, v26
	v_cndmask_b32_e64 v26, v25, v1, s[0:1]
	v_cndmask_b32_e64 v24, v23, v27, s[0:1]
	v_cmp_ne_u32_e64 s[2:3], 0, v17
	v_mov_b32_dpp v26, v26 row_bcast:31 row_mask:0xf bank_mask:0xf
	v_mov_b32_dpp v24, v24 row_bcast:31 row_mask:0xf bank_mask:0xf
	s_and_saveexec_b64 s[10:11], s[2:3]
; %bb.21:
	v_cndmask_b32_e64 v1, v25, v1, s[0:1]
	v_cndmask_b32_e64 v16, v23, v16, s[0:1]
	v_cmp_lt_u32_e64 s[0:1], 31, v17
	v_cndmask_b32_e64 v21, 0, v24, s[0:1]
	v_cndmask_b32_e64 v22, 0, v26, s[0:1]
	v_add_co_u32_e64 v21, s[0:1], v21, v16
	v_addc_co_u32_e64 v22, s[0:1], v22, v1, s[0:1]
; %bb.22:
	s_or_b64 exec, exec, s[10:11]
	v_add_u32_e32 v1, -1, v17
	v_and_b32_e32 v16, 64, v17
	v_cmp_lt_i32_e64 s[0:1], v1, v16
	v_cndmask_b32_e64 v1, v1, v17, s[0:1]
	v_lshlrev_b32_e32 v1, 2, v1
	ds_bpermute_b32 v16, v1, v21
	ds_bpermute_b32 v1, v1, v22
	; wave barrier
	s_waitcnt lgkmcnt(1)
	v_add_co_u32_e64 v14, s[0:1], v14, v16
	v_addc_co_u32_e64 v15, s[0:1], 0, v15, s[0:1]
	v_add_co_u32_e64 v14, s[0:1], 0, v14
	s_waitcnt lgkmcnt(0)
	v_addc_co_u32_e64 v1, s[0:1], v15, v1, s[0:1]
	v_cmp_eq_u32_e64 s[0:1], 0, v0
	v_cndmask_b32_e64 v15, v1, v19, s[0:1]
	v_cndmask_b32_e64 v14, v14, v18, s[0:1]
	ds_write_b64 v20, v[14:15]
	; wave barrier
	ds_read_b64 v[16:17], v20 offset:8
	s_waitcnt lgkmcnt(0)
	v_add_co_u32_e64 v14, s[0:1], v16, v14
	v_addc_co_u32_e64 v15, s[0:1], v17, v15, s[0:1]
	ds_write_b64 v20, v[14:15] offset:8
.LBB452_23:
	s_or_b64 exec, exec, s[8:9]
	v_cmp_eq_u32_e64 s[0:1], 0, v0
	v_cmp_ne_u32_e64 s[2:3], 0, v0
	v_pk_mov_b32 v[22:23], 0, 0
	s_waitcnt lgkmcnt(0)
	s_barrier
	s_and_saveexec_b64 s[8:9], s[2:3]
	s_cbranch_execz .LBB452_25
; %bb.24:
	v_add_u32_e32 v1, -1, v0
	v_lshrrev_b32_e32 v14, 5, v1
	v_add_lshl_u32 v1, v14, v1, 3
	ds_read_b64 v[22:23], v1
.LBB452_25:
	s_or_b64 exec, exec, s[8:9]
	s_and_saveexec_b64 s[16:17], vcc
	s_cbranch_execz .LBB452_48
; %bb.26:
	v_mov_b32_e32 v17, 0
	ds_read_b64 v[14:15], v17 offset:1040
	v_mbcnt_lo_u32_b32 v1, -1, 0
	v_mbcnt_hi_u32_b32 v30, -1, v1
	s_mov_b32 s11, 0
	v_cmp_eq_u32_e64 s[2:3], 0, v30
	s_and_saveexec_b64 s[8:9], s[2:3]
	s_cbranch_execz .LBB452_28
; %bb.27:
	s_add_i32 s10, s6, 64
	s_lshl_b64 s[10:11], s[10:11], 4
	s_add_u32 s10, s28, s10
	s_addc_u32 s11, s29, s11
	v_mov_b32_e32 v16, 1
	v_pk_mov_b32 v[18:19], s[10:11], s[10:11] op_sel:[0,1]
	s_waitcnt lgkmcnt(0)
	;;#ASMSTART
	global_store_dwordx4 v[18:19], v[14:17] off	
s_waitcnt vmcnt(0)
	;;#ASMEND
.LBB452_28:
	s_or_b64 exec, exec, s[8:9]
	v_xad_u32 v24, v30, -1, s6
	v_add_u32_e32 v16, 64, v24
	v_lshlrev_b64 v[18:19], 4, v[16:17]
	v_mov_b32_e32 v1, s29
	v_add_co_u32_e32 v26, vcc, s28, v18
	v_addc_co_u32_e32 v27, vcc, v1, v19, vcc
	;;#ASMSTART
	global_load_dwordx4 v[18:21], v[26:27] off glc	
s_waitcnt vmcnt(0)
	;;#ASMEND
	v_and_b32_e32 v1, 0xff, v19
	v_and_b32_e32 v16, 0xff00, v19
	v_or3_b32 v1, 0, v1, v16
	v_or3_b32 v16, v18, 0, 0
	v_and_b32_e32 v18, 0xff000000, v19
	v_and_b32_e32 v19, 0xff0000, v19
	v_or3_b32 v19, v1, v19, v18
	v_or3_b32 v18, v16, 0, 0
	v_cmp_eq_u16_sdwa s[10:11], v20, v17 src0_sel:BYTE_0 src1_sel:DWORD
	s_and_saveexec_b64 s[8:9], s[10:11]
	s_cbranch_execz .LBB452_34
; %bb.29:
	s_mov_b32 s7, 1
	s_mov_b64 s[10:11], 0
	v_mov_b32_e32 v1, 0
.LBB452_30:                             ; =>This Loop Header: Depth=1
                                        ;     Child Loop BB452_31 Depth 2
	s_max_u32 s18, s7, 1
.LBB452_31:                             ;   Parent Loop BB452_30 Depth=1
                                        ; =>  This Inner Loop Header: Depth=2
	s_add_i32 s18, s18, -1
	s_cmp_eq_u32 s18, 0
	s_sleep 1
	s_cbranch_scc0 .LBB452_31
; %bb.32:                               ;   in Loop: Header=BB452_30 Depth=1
	s_cmp_lt_u32 s7, 32
	s_cselect_b64 s[18:19], -1, 0
	s_cmp_lg_u64 s[18:19], 0
	s_addc_u32 s7, s7, 0
	;;#ASMSTART
	global_load_dwordx4 v[18:21], v[26:27] off glc	
s_waitcnt vmcnt(0)
	;;#ASMEND
	v_cmp_ne_u16_sdwa s[18:19], v20, v1 src0_sel:BYTE_0 src1_sel:DWORD
	s_or_b64 s[10:11], s[18:19], s[10:11]
	s_andn2_b64 exec, exec, s[10:11]
	s_cbranch_execnz .LBB452_30
; %bb.33:
	s_or_b64 exec, exec, s[10:11]
.LBB452_34:
	s_or_b64 exec, exec, s[8:9]
	v_and_b32_e32 v32, 63, v30
	v_cmp_ne_u32_e32 vcc, 63, v32
	v_addc_co_u32_e32 v26, vcc, 0, v30, vcc
	v_lshlrev_b32_e32 v33, 2, v26
	ds_bpermute_b32 v26, v33, v18
	v_mov_b32_e32 v1, 2
	v_cmp_eq_u16_sdwa s[8:9], v20, v1 src0_sel:BYTE_0 src1_sel:DWORD
	v_lshlrev_b64 v[16:17], v30, -1
	ds_bpermute_b32 v27, v33, v19
	v_and_b32_e32 v21, s9, v17
	v_or_b32_e32 v21, 0x80000000, v21
	s_waitcnt lgkmcnt(1)
	v_add_co_u32_e32 v26, vcc, v18, v26
	v_and_b32_e32 v25, s8, v16
	v_ffbl_b32_e32 v21, v21
	v_addc_co_u32_e32 v31, vcc, 0, v19, vcc
	v_add_u32_e32 v21, 32, v21
	v_ffbl_b32_e32 v25, v25
	v_add_co_u32_e32 v35, vcc, 0, v26
	v_cmp_gt_u32_e64 s[8:9], 62, v32
	v_min_u32_e32 v21, v25, v21
	s_waitcnt lgkmcnt(0)
	v_addc_co_u32_e32 v27, vcc, v27, v31, vcc
	v_cndmask_b32_e64 v31, 0, 1, s[8:9]
	v_cmp_lt_u32_e32 vcc, v32, v21
	v_lshlrev_b32_e32 v31, 1, v31
	v_cndmask_b32_e32 v26, v18, v26, vcc
	v_add_lshl_u32 v34, v31, v30, 2
	v_cndmask_b32_e32 v27, v19, v27, vcc
	ds_bpermute_b32 v31, v34, v26
	ds_bpermute_b32 v36, v34, v27
	v_cndmask_b32_e32 v37, v18, v35, vcc
	v_add_u32_e32 v35, 2, v32
	v_cmp_gt_u32_e64 s[10:11], 60, v32
	s_waitcnt lgkmcnt(1)
	v_add_co_u32_e64 v31, s[8:9], v31, v37
	s_waitcnt lgkmcnt(0)
	v_addc_co_u32_e64 v36, s[8:9], v36, v27, s[8:9]
	v_cmp_gt_u32_e64 s[8:9], v35, v21
	v_cndmask_b32_e64 v27, v36, v27, s[8:9]
	v_cndmask_b32_e64 v36, 0, 1, s[10:11]
	v_lshlrev_b32_e32 v36, 2, v36
	v_cndmask_b32_e64 v26, v31, v26, s[8:9]
	v_add_lshl_u32 v36, v36, v30, 2
	ds_bpermute_b32 v38, v36, v26
	ds_bpermute_b32 v39, v36, v27
	v_cndmask_b32_e64 v31, v31, v37, s[8:9]
	v_add_u32_e32 v37, 4, v32
	v_cmp_gt_u32_e64 s[10:11], 56, v32
	s_waitcnt lgkmcnt(1)
	v_add_co_u32_e64 v40, s[8:9], v38, v31
	s_waitcnt lgkmcnt(0)
	v_addc_co_u32_e64 v38, s[8:9], v39, v27, s[8:9]
	v_cmp_gt_u32_e64 s[8:9], v37, v21
	v_cndmask_b32_e64 v27, v38, v27, s[8:9]
	v_cndmask_b32_e64 v38, 0, 1, s[10:11]
	v_lshlrev_b32_e32 v38, 3, v38
	v_cndmask_b32_e64 v26, v40, v26, s[8:9]
	v_add_lshl_u32 v38, v38, v30, 2
	ds_bpermute_b32 v41, v38, v26
	v_cndmask_b32_e64 v31, v40, v31, s[8:9]
	ds_bpermute_b32 v40, v38, v27
	v_add_u32_e32 v39, 8, v32
	v_cmp_gt_u32_e64 s[10:11], 48, v32
	s_waitcnt lgkmcnt(1)
	v_add_co_u32_e64 v41, s[8:9], v41, v31
	s_waitcnt lgkmcnt(0)
	v_addc_co_u32_e64 v40, s[8:9], v40, v27, s[8:9]
	v_cmp_gt_u32_e64 s[8:9], v39, v21
	v_cndmask_b32_e64 v27, v40, v27, s[8:9]
	v_cndmask_b32_e64 v40, 0, 1, s[10:11]
	v_lshlrev_b32_e32 v40, 4, v40
	v_cndmask_b32_e64 v26, v41, v26, s[8:9]
	v_add_lshl_u32 v40, v40, v30, 2
	ds_bpermute_b32 v42, v40, v26
	ds_bpermute_b32 v43, v40, v27
	v_cndmask_b32_e64 v31, v41, v31, s[8:9]
	v_cmp_gt_u32_e64 s[10:11], 32, v32
	v_add_u32_e32 v41, 16, v32
	s_waitcnt lgkmcnt(1)
	v_add_co_u32_e64 v44, s[8:9], v42, v31
	s_waitcnt lgkmcnt(0)
	v_addc_co_u32_e64 v43, s[8:9], v43, v27, s[8:9]
	v_cndmask_b32_e64 v42, 0, 1, s[10:11]
	v_cmp_gt_u32_e64 s[8:9], v41, v21
	v_lshlrev_b32_e32 v42, 5, v42
	v_cndmask_b32_e64 v26, v44, v26, s[8:9]
	v_add_lshl_u32 v42, v42, v30, 2
	v_cndmask_b32_e64 v27, v43, v27, s[8:9]
	ds_bpermute_b32 v26, v42, v26
	ds_bpermute_b32 v30, v42, v27
	v_add_u32_e32 v43, 32, v32
	v_cndmask_b32_e64 v31, v44, v31, s[8:9]
	v_cmp_le_u32_e64 s[8:9], v43, v21
	s_waitcnt lgkmcnt(1)
	v_cndmask_b32_e64 v26, 0, v26, s[8:9]
	s_waitcnt lgkmcnt(0)
	v_cndmask_b32_e64 v21, 0, v30, s[8:9]
	v_add_co_u32_e64 v26, s[8:9], v26, v31
	v_addc_co_u32_e64 v21, s[8:9], v21, v27, s[8:9]
	v_mov_b32_e32 v25, 0
	v_cndmask_b32_e32 v19, v19, v21, vcc
	v_cndmask_b32_e32 v18, v18, v26, vcc
	s_branch .LBB452_36
.LBB452_35:                             ;   in Loop: Header=BB452_36 Depth=1
	s_or_b64 exec, exec, s[8:9]
	v_cmp_eq_u16_sdwa s[8:9], v20, v1 src0_sel:BYTE_0 src1_sel:DWORD
	v_and_b32_e32 v21, s9, v17
	v_or_b32_e32 v21, 0x80000000, v21
	ds_bpermute_b32 v31, v33, v18
	v_and_b32_e32 v30, s8, v16
	v_ffbl_b32_e32 v21, v21
	v_add_u32_e32 v21, 32, v21
	v_ffbl_b32_e32 v30, v30
	v_min_u32_e32 v21, v30, v21
	ds_bpermute_b32 v30, v33, v19
	s_waitcnt lgkmcnt(1)
	v_add_co_u32_e32 v31, vcc, v18, v31
	v_addc_co_u32_e32 v44, vcc, 0, v19, vcc
	v_add_co_u32_e32 v45, vcc, 0, v31
	s_waitcnt lgkmcnt(0)
	v_addc_co_u32_e32 v30, vcc, v30, v44, vcc
	v_cmp_lt_u32_e32 vcc, v32, v21
	v_cndmask_b32_e32 v31, v18, v31, vcc
	ds_bpermute_b32 v44, v34, v31
	v_cndmask_b32_e32 v30, v19, v30, vcc
	ds_bpermute_b32 v46, v34, v30
	v_cndmask_b32_e32 v45, v18, v45, vcc
	v_subrev_u32_e32 v24, 64, v24
	s_waitcnt lgkmcnt(1)
	v_add_co_u32_e64 v44, s[8:9], v44, v45
	s_waitcnt lgkmcnt(0)
	v_addc_co_u32_e64 v46, s[8:9], v46, v30, s[8:9]
	v_cmp_gt_u32_e64 s[8:9], v35, v21
	v_cndmask_b32_e64 v31, v44, v31, s[8:9]
	ds_bpermute_b32 v47, v36, v31
	v_cndmask_b32_e64 v30, v46, v30, s[8:9]
	ds_bpermute_b32 v46, v36, v30
	v_cndmask_b32_e64 v44, v44, v45, s[8:9]
	s_waitcnt lgkmcnt(1)
	v_add_co_u32_e64 v45, s[8:9], v47, v44
	s_waitcnt lgkmcnt(0)
	v_addc_co_u32_e64 v46, s[8:9], v46, v30, s[8:9]
	v_cmp_gt_u32_e64 s[8:9], v37, v21
	v_cndmask_b32_e64 v31, v45, v31, s[8:9]
	ds_bpermute_b32 v47, v38, v31
	v_cndmask_b32_e64 v30, v46, v30, s[8:9]
	ds_bpermute_b32 v46, v38, v30
	v_cndmask_b32_e64 v44, v45, v44, s[8:9]
	;; [unrolled: 10-line block ×3, first 2 shown]
	s_waitcnt lgkmcnt(1)
	v_add_co_u32_e64 v45, s[8:9], v47, v44
	s_waitcnt lgkmcnt(0)
	v_addc_co_u32_e64 v46, s[8:9], v46, v30, s[8:9]
	v_cmp_gt_u32_e64 s[8:9], v41, v21
	v_cndmask_b32_e64 v31, v45, v31, s[8:9]
	v_cndmask_b32_e64 v30, v46, v30, s[8:9]
	ds_bpermute_b32 v31, v42, v31
	ds_bpermute_b32 v46, v42, v30
	v_cndmask_b32_e64 v44, v45, v44, s[8:9]
	v_cmp_le_u32_e64 s[8:9], v43, v21
	s_waitcnt lgkmcnt(1)
	v_cndmask_b32_e64 v31, 0, v31, s[8:9]
	s_waitcnt lgkmcnt(0)
	v_cndmask_b32_e64 v21, 0, v46, s[8:9]
	v_add_co_u32_e64 v31, s[8:9], v31, v44
	v_addc_co_u32_e64 v21, s[8:9], v21, v30, s[8:9]
	v_cndmask_b32_e32 v18, v18, v31, vcc
	v_cndmask_b32_e32 v19, v19, v21, vcc
	v_add_co_u32_e32 v18, vcc, v18, v26
	v_addc_co_u32_e32 v19, vcc, v19, v27, vcc
.LBB452_36:                             ; =>This Loop Header: Depth=1
                                        ;     Child Loop BB452_39 Depth 2
                                        ;       Child Loop BB452_40 Depth 3
	v_cmp_ne_u16_sdwa s[8:9], v20, v1 src0_sel:BYTE_0 src1_sel:DWORD
	v_cndmask_b32_e64 v20, 0, 1, s[8:9]
	;;#ASMSTART
	;;#ASMEND
	v_cmp_ne_u32_e32 vcc, 0, v20
	s_cmp_lg_u64 vcc, exec
	v_pk_mov_b32 v[26:27], v[18:19], v[18:19] op_sel:[0,1]
	s_cbranch_scc1 .LBB452_43
; %bb.37:                               ;   in Loop: Header=BB452_36 Depth=1
	v_lshlrev_b64 v[18:19], 4, v[24:25]
	v_mov_b32_e32 v20, s29
	v_add_co_u32_e32 v30, vcc, s28, v18
	v_addc_co_u32_e32 v31, vcc, v20, v19, vcc
	;;#ASMSTART
	global_load_dwordx4 v[18:21], v[30:31] off glc	
s_waitcnt vmcnt(0)
	;;#ASMEND
	v_and_b32_e32 v21, 0xff, v19
	v_and_b32_e32 v44, 0xff00, v19
	v_or3_b32 v21, 0, v21, v44
	v_or3_b32 v18, v18, 0, 0
	v_and_b32_e32 v44, 0xff000000, v19
	v_and_b32_e32 v19, 0xff0000, v19
	v_or3_b32 v19, v21, v19, v44
	v_or3_b32 v18, v18, 0, 0
	v_cmp_eq_u16_sdwa s[10:11], v20, v25 src0_sel:BYTE_0 src1_sel:DWORD
	s_and_saveexec_b64 s[8:9], s[10:11]
	s_cbranch_execz .LBB452_35
; %bb.38:                               ;   in Loop: Header=BB452_36 Depth=1
	s_mov_b32 s7, 1
	s_mov_b64 s[10:11], 0
.LBB452_39:                             ;   Parent Loop BB452_36 Depth=1
                                        ; =>  This Loop Header: Depth=2
                                        ;       Child Loop BB452_40 Depth 3
	s_max_u32 s18, s7, 1
.LBB452_40:                             ;   Parent Loop BB452_36 Depth=1
                                        ;     Parent Loop BB452_39 Depth=2
                                        ; =>    This Inner Loop Header: Depth=3
	s_add_i32 s18, s18, -1
	s_cmp_eq_u32 s18, 0
	s_sleep 1
	s_cbranch_scc0 .LBB452_40
; %bb.41:                               ;   in Loop: Header=BB452_39 Depth=2
	s_cmp_lt_u32 s7, 32
	s_cselect_b64 s[18:19], -1, 0
	s_cmp_lg_u64 s[18:19], 0
	s_addc_u32 s7, s7, 0
	;;#ASMSTART
	global_load_dwordx4 v[18:21], v[30:31] off glc	
s_waitcnt vmcnt(0)
	;;#ASMEND
	v_cmp_ne_u16_sdwa s[18:19], v20, v25 src0_sel:BYTE_0 src1_sel:DWORD
	s_or_b64 s[10:11], s[18:19], s[10:11]
	s_andn2_b64 exec, exec, s[10:11]
	s_cbranch_execnz .LBB452_39
; %bb.42:                               ;   in Loop: Header=BB452_36 Depth=1
	s_or_b64 exec, exec, s[10:11]
	s_branch .LBB452_35
.LBB452_43:                             ;   in Loop: Header=BB452_36 Depth=1
                                        ; implicit-def: $vgpr18_vgpr19
                                        ; implicit-def: $vgpr20
	s_cbranch_execz .LBB452_36
; %bb.44:
	s_and_saveexec_b64 s[8:9], s[2:3]
	s_cbranch_execz .LBB452_46
; %bb.45:
	s_add_i32 s2, s6, 64
	s_mov_b32 s3, 0
	s_lshl_b64 s[2:3], s[2:3], 4
	s_add_u32 s2, s28, s2
	v_add_co_u32_e32 v14, vcc, v26, v14
	s_addc_u32 s3, s29, s3
	v_addc_co_u32_e32 v15, vcc, v27, v15, vcc
	v_mov_b32_e32 v16, 2
	v_mov_b32_e32 v17, 0
	v_pk_mov_b32 v[18:19], s[2:3], s[2:3] op_sel:[0,1]
	;;#ASMSTART
	global_store_dwordx4 v[18:19], v[14:17] off	
s_waitcnt vmcnt(0)
	;;#ASMEND
.LBB452_46:
	s_or_b64 exec, exec, s[8:9]
	s_and_b64 exec, exec, s[0:1]
	s_cbranch_execz .LBB452_48
; %bb.47:
	v_mov_b32_e32 v1, 0
	ds_write_b64 v1, v[26:27]
.LBB452_48:
	s_or_b64 exec, exec, s[16:17]
	v_mov_b32_e32 v1, 0
	s_waitcnt lgkmcnt(0)
	s_barrier
	ds_read_b64 v[14:15], v1
	v_add_co_u32_e32 v1, vcc, v22, v2
	v_addc_co_u32_e32 v16, vcc, v23, v3, vcc
	s_waitcnt lgkmcnt(0)
	v_add_co_u32_e32 v14, vcc, v1, v14
	v_addc_co_u32_e32 v15, vcc, v16, v15, vcc
	v_add_co_u32_e32 v42, vcc, v14, v4
	v_addc_co_u32_e32 v43, vcc, v15, v5, vcc
	;; [unrolled: 2-line block ×7, first 2 shown]
	s_load_dwordx8 s[16:23], s[4:5], 0x40
	s_branch .LBB452_75
.LBB452_49:
                                        ; implicit-def: $vgpr26_vgpr27
                                        ; implicit-def: $vgpr46_vgpr47
                                        ; implicit-def: $vgpr44_vgpr45
                                        ; implicit-def: $vgpr42_vgpr43
                                        ; implicit-def: $vgpr22_vgpr23_vgpr24_vgpr25
                                        ; implicit-def: $vgpr18_vgpr19_vgpr20_vgpr21
                                        ; implicit-def: $vgpr14_vgpr15_vgpr16_vgpr17
	s_load_dwordx8 s[16:23], s[4:5], 0x40
	s_cbranch_execz .LBB452_75
; %bb.50:
	s_waitcnt lgkmcnt(0)
	s_cmp_lg_u64 s[20:21], 0
	s_cselect_b64 s[6:7], -1, 0
	s_cmp_eq_u64 s[20:21], 0
	v_cmp_eq_u32_e64 s[2:3], 0, v0
	s_cselect_b64 s[4:5], -1, 0
	v_cmp_ne_u32_e64 s[0:1], 0, v0
	s_and_b64 s[8:9], s[2:3], s[6:7]
	s_and_saveexec_b64 s[6:7], s[8:9]
	s_cbranch_execz .LBB452_52
; %bb.51:
	v_mov_b32_e32 v1, 0
	global_load_dwordx2 v[14:15], v1, s[16:17]
	s_waitcnt vmcnt(0)
	v_add_co_u32_e32 v2, vcc, v14, v2
	v_addc_co_u32_e32 v3, vcc, v15, v3, vcc
.LBB452_52:
	s_or_b64 exec, exec, s[6:7]
	v_add_co_u32_e32 v30, vcc, v4, v2
	v_addc_co_u32_e32 v31, vcc, v5, v3, vcc
	v_add_co_u32_e32 v32, vcc, v30, v10
	v_addc_co_u32_e32 v33, vcc, v31, v11, vcc
	;; [unrolled: 2-line block ×6, first 2 shown]
	v_add_lshl_u32 v1, v50, v0, 3
	s_andn2_b64 vcc, exec, s[4:5]
	v_cmp_gt_u32_e64 s[4:5], 64, v0
	ds_write_b64 v1, v[40:41]
	s_waitcnt lgkmcnt(0)
	s_cbranch_vccnz .LBB452_62
; %bb.53:
	s_barrier
	s_and_saveexec_b64 s[8:9], s[4:5]
	s_cbranch_execz .LBB452_57
; %bb.54:
	v_lshlrev_b32_e32 v1, 1, v0
	v_lshrrev_b32_e32 v14, 4, v0
	v_add_lshl_u32 v18, v14, v1, 3
	ds_read2_b64 v[14:17], v18 offset1:1
	v_mbcnt_lo_u32_b32 v1, -1, 0
	s_waitcnt lgkmcnt(0)
	v_add_co_u32_e32 v19, vcc, v16, v14
	v_addc_co_u32_e32 v20, vcc, v17, v15, vcc
	s_nop 0
	v_mov_b32_dpp v16, v19 row_shr:1 row_mask:0xf bank_mask:0xf
	v_add_co_u32_e32 v16, vcc, v19, v16
	v_addc_co_u32_e32 v22, vcc, 0, v20, vcc
	v_mbcnt_hi_u32_b32 v17, -1, v1
	v_mov_b32_dpp v21, v20 row_shr:1 row_mask:0xf bank_mask:0xf
	v_add_co_u32_e32 v23, vcc, 0, v16
	v_and_b32_e32 v1, 15, v17
	v_addc_co_u32_e32 v21, vcc, v21, v22, vcc
	v_cmp_eq_u32_e32 vcc, 0, v1
	v_cndmask_b32_e32 v16, v16, v19, vcc
	v_cndmask_b32_e32 v21, v21, v20, vcc
	v_cndmask_b32_e32 v22, v23, v19, vcc
	v_mov_b32_dpp v23, v16 row_shr:2 row_mask:0xf bank_mask:0xf
	v_mov_b32_dpp v24, v21 row_shr:2 row_mask:0xf bank_mask:0xf
	v_add_co_u32_e32 v23, vcc, v23, v22
	v_addc_co_u32_e32 v24, vcc, v24, v21, vcc
	v_cmp_lt_u32_e32 vcc, 1, v1
	v_cndmask_b32_e32 v16, v16, v23, vcc
	v_cndmask_b32_e32 v21, v21, v24, vcc
	v_cndmask_b32_e32 v22, v22, v23, vcc
	v_mov_b32_dpp v23, v16 row_shr:4 row_mask:0xf bank_mask:0xf
	v_mov_b32_dpp v24, v21 row_shr:4 row_mask:0xf bank_mask:0xf
	v_add_co_u32_e32 v23, vcc, v23, v22
	v_addc_co_u32_e32 v24, vcc, v24, v21, vcc
	v_cmp_lt_u32_e32 vcc, 3, v1
	;; [unrolled: 8-line block ×3, first 2 shown]
	v_cndmask_b32_e32 v25, v16, v23, vcc
	v_cndmask_b32_e32 v1, v21, v24, vcc
	;; [unrolled: 1-line block ×3, first 2 shown]
	v_mov_b32_dpp v21, v25 row_bcast:15 row_mask:0xf bank_mask:0xf
	v_mov_b32_dpp v22, v1 row_bcast:15 row_mask:0xf bank_mask:0xf
	v_add_co_u32_e32 v21, vcc, v21, v16
	v_and_b32_e32 v24, 16, v17
	v_addc_co_u32_e32 v23, vcc, v22, v1, vcc
	v_cmp_eq_u32_e32 vcc, 0, v24
	v_cndmask_b32_e32 v24, v23, v1, vcc
	v_cndmask_b32_e32 v22, v21, v25, vcc
	v_cmp_ne_u32_e64 s[6:7], 0, v17
	v_mov_b32_dpp v24, v24 row_bcast:31 row_mask:0xf bank_mask:0xf
	v_mov_b32_dpp v22, v22 row_bcast:31 row_mask:0xf bank_mask:0xf
	s_and_saveexec_b64 s[10:11], s[6:7]
; %bb.55:
	v_cndmask_b32_e32 v1, v23, v1, vcc
	v_cndmask_b32_e32 v16, v21, v16, vcc
	v_cmp_lt_u32_e32 vcc, 31, v17
	v_cndmask_b32_e32 v19, 0, v22, vcc
	v_cndmask_b32_e32 v20, 0, v24, vcc
	v_add_co_u32_e32 v19, vcc, v19, v16
	v_addc_co_u32_e32 v20, vcc, v20, v1, vcc
; %bb.56:
	s_or_b64 exec, exec, s[10:11]
	v_add_u32_e32 v1, -1, v17
	v_and_b32_e32 v16, 64, v17
	v_cmp_lt_i32_e32 vcc, v1, v16
	v_cndmask_b32_e32 v1, v1, v17, vcc
	v_lshlrev_b32_e32 v1, 2, v1
	ds_bpermute_b32 v16, v1, v19
	ds_bpermute_b32 v1, v1, v20
	; wave barrier
	s_waitcnt lgkmcnt(1)
	v_add_co_u32_e32 v14, vcc, v14, v16
	v_addc_co_u32_e32 v15, vcc, 0, v15, vcc
	v_add_co_u32_e32 v14, vcc, 0, v14
	s_waitcnt lgkmcnt(0)
	v_addc_co_u32_e32 v1, vcc, v15, v1, vcc
	v_cndmask_b32_e64 v15, v1, v41, s[2:3]
	v_cndmask_b32_e64 v14, v14, v40, s[2:3]
	ds_write_b64 v18, v[14:15]
	; wave barrier
	ds_read_b64 v[16:17], v18 offset:8
	s_waitcnt lgkmcnt(0)
	v_add_co_u32_e32 v14, vcc, v16, v14
	v_addc_co_u32_e32 v15, vcc, v17, v15, vcc
	ds_write_b64 v18, v[14:15] offset:8
.LBB452_57:
	s_or_b64 exec, exec, s[8:9]
	v_pk_mov_b32 v[26:27], v[40:41], v[40:41] op_sel:[0,1]
	s_waitcnt lgkmcnt(0)
	s_barrier
	s_and_saveexec_b64 s[6:7], s[0:1]
	s_cbranch_execz .LBB452_59
; %bb.58:
	v_add_u32_e32 v1, -1, v0
	v_lshrrev_b32_e32 v14, 5, v1
	v_add_lshl_u32 v1, v14, v1, 3
	ds_read_b64 v[26:27], v1
.LBB452_59:
	s_or_b64 exec, exec, s[6:7]
	v_pk_mov_b32 v[16:17], v[38:39], v[38:39] op_sel:[0,1]
	v_pk_mov_b32 v[20:21], v[36:37], v[36:37] op_sel:[0,1]
	;; [unrolled: 1-line block ×6, first 2 shown]
	s_and_saveexec_b64 s[6:7], s[0:1]
	s_cbranch_execz .LBB452_61
; %bb.60:
	s_waitcnt lgkmcnt(0)
	v_add_co_u32_e32 v14, vcc, v26, v2
	v_addc_co_u32_e32 v15, vcc, v27, v3, vcc
	v_add_co_u32_e32 v24, vcc, v14, v4
	v_addc_co_u32_e32 v25, vcc, v15, v5, vcc
	;; [unrolled: 2-line block ×6, first 2 shown]
	;;#ASMSTART
	;;#ASMEND
.LBB452_61:
	s_or_b64 exec, exec, s[6:7]
	v_mov_b32_e32 v1, s31
	v_add_co_u32_e32 v14, vcc, s30, v14
	v_addc_co_u32_e32 v15, vcc, v15, v1, vcc
	v_add_co_u32_e32 v42, vcc, s30, v24
	v_addc_co_u32_e32 v43, vcc, v25, v1, vcc
	;; [unrolled: 2-line block ×6, first 2 shown]
	s_waitcnt lgkmcnt(0)
	v_add_co_u32_e32 v26, vcc, v46, v28
	v_addc_co_u32_e32 v27, vcc, v47, v29, vcc
	s_branch .LBB452_72
.LBB452_62:
                                        ; implicit-def: $vgpr26_vgpr27
                                        ; implicit-def: $vgpr46_vgpr47
                                        ; implicit-def: $vgpr44_vgpr45
                                        ; implicit-def: $vgpr42_vgpr43
                                        ; implicit-def: $vgpr22_vgpr23_vgpr24_vgpr25
                                        ; implicit-def: $vgpr18_vgpr19_vgpr20_vgpr21
                                        ; implicit-def: $vgpr14_vgpr15_vgpr16_vgpr17
	s_cbranch_execz .LBB452_72
; %bb.63:
	s_barrier
	s_and_saveexec_b64 s[6:7], s[4:5]
	s_cbranch_execz .LBB452_67
; %bb.64:
	v_lshlrev_b32_e32 v1, 1, v0
	v_lshrrev_b32_e32 v14, 4, v0
	v_add_lshl_u32 v18, v14, v1, 3
	ds_read2_b64 v[14:17], v18 offset1:1
	v_mbcnt_lo_u32_b32 v1, -1, 0
	s_waitcnt lgkmcnt(0)
	v_add_co_u32_e32 v19, vcc, v16, v14
	v_addc_co_u32_e32 v20, vcc, v17, v15, vcc
	s_nop 0
	v_mov_b32_dpp v16, v19 row_shr:1 row_mask:0xf bank_mask:0xf
	v_add_co_u32_e32 v16, vcc, v19, v16
	v_addc_co_u32_e32 v22, vcc, 0, v20, vcc
	v_mbcnt_hi_u32_b32 v17, -1, v1
	v_mov_b32_dpp v21, v20 row_shr:1 row_mask:0xf bank_mask:0xf
	v_add_co_u32_e32 v23, vcc, 0, v16
	v_and_b32_e32 v1, 15, v17
	v_addc_co_u32_e32 v21, vcc, v21, v22, vcc
	v_cmp_eq_u32_e32 vcc, 0, v1
	v_cndmask_b32_e32 v16, v16, v19, vcc
	v_cndmask_b32_e32 v21, v21, v20, vcc
	v_cndmask_b32_e32 v22, v23, v19, vcc
	v_mov_b32_dpp v23, v16 row_shr:2 row_mask:0xf bank_mask:0xf
	v_mov_b32_dpp v24, v21 row_shr:2 row_mask:0xf bank_mask:0xf
	v_add_co_u32_e32 v23, vcc, v23, v22
	v_addc_co_u32_e32 v24, vcc, v24, v21, vcc
	v_cmp_lt_u32_e32 vcc, 1, v1
	v_cndmask_b32_e32 v16, v16, v23, vcc
	v_cndmask_b32_e32 v21, v21, v24, vcc
	v_cndmask_b32_e32 v22, v22, v23, vcc
	v_mov_b32_dpp v23, v16 row_shr:4 row_mask:0xf bank_mask:0xf
	v_mov_b32_dpp v24, v21 row_shr:4 row_mask:0xf bank_mask:0xf
	v_add_co_u32_e32 v23, vcc, v23, v22
	v_addc_co_u32_e32 v24, vcc, v24, v21, vcc
	v_cmp_lt_u32_e32 vcc, 3, v1
	;; [unrolled: 8-line block ×3, first 2 shown]
	v_cndmask_b32_e32 v25, v16, v23, vcc
	v_cndmask_b32_e32 v1, v21, v24, vcc
	;; [unrolled: 1-line block ×3, first 2 shown]
	v_mov_b32_dpp v21, v25 row_bcast:15 row_mask:0xf bank_mask:0xf
	v_mov_b32_dpp v22, v1 row_bcast:15 row_mask:0xf bank_mask:0xf
	v_add_co_u32_e32 v21, vcc, v21, v16
	v_and_b32_e32 v24, 16, v17
	v_addc_co_u32_e32 v23, vcc, v22, v1, vcc
	v_cmp_eq_u32_e32 vcc, 0, v24
	v_cndmask_b32_e32 v24, v23, v1, vcc
	v_cndmask_b32_e32 v22, v21, v25, vcc
	v_cmp_ne_u32_e64 s[4:5], 0, v17
	v_mov_b32_dpp v24, v24 row_bcast:31 row_mask:0xf bank_mask:0xf
	v_mov_b32_dpp v22, v22 row_bcast:31 row_mask:0xf bank_mask:0xf
	s_and_saveexec_b64 s[8:9], s[4:5]
; %bb.65:
	v_cndmask_b32_e32 v1, v23, v1, vcc
	v_cndmask_b32_e32 v16, v21, v16, vcc
	v_cmp_lt_u32_e32 vcc, 31, v17
	v_cndmask_b32_e32 v19, 0, v22, vcc
	v_cndmask_b32_e32 v20, 0, v24, vcc
	v_add_co_u32_e32 v19, vcc, v19, v16
	v_addc_co_u32_e32 v20, vcc, v20, v1, vcc
; %bb.66:
	s_or_b64 exec, exec, s[8:9]
	v_add_u32_e32 v1, -1, v17
	v_and_b32_e32 v16, 64, v17
	v_cmp_lt_i32_e32 vcc, v1, v16
	v_cndmask_b32_e32 v1, v1, v17, vcc
	v_lshlrev_b32_e32 v1, 2, v1
	ds_bpermute_b32 v16, v1, v19
	ds_bpermute_b32 v1, v1, v20
	; wave barrier
	s_waitcnt lgkmcnt(1)
	v_add_co_u32_e32 v14, vcc, v14, v16
	v_addc_co_u32_e32 v15, vcc, 0, v15, vcc
	v_add_co_u32_e32 v14, vcc, 0, v14
	s_waitcnt lgkmcnt(0)
	v_addc_co_u32_e32 v1, vcc, v15, v1, vcc
	v_cndmask_b32_e64 v15, v1, v41, s[2:3]
	v_cndmask_b32_e64 v14, v14, v40, s[2:3]
	ds_write_b64 v18, v[14:15]
	; wave barrier
	ds_read_b64 v[16:17], v18 offset:8
	s_waitcnt lgkmcnt(0)
	v_add_co_u32_e32 v14, vcc, v16, v14
	v_addc_co_u32_e32 v15, vcc, v17, v15, vcc
	ds_write_b64 v18, v[14:15] offset:8
.LBB452_67:
	s_or_b64 exec, exec, s[6:7]
	v_pk_mov_b32 v[14:15], v[40:41], v[40:41] op_sel:[0,1]
	s_waitcnt lgkmcnt(0)
	s_barrier
	s_and_saveexec_b64 s[2:3], s[0:1]
	s_cbranch_execz .LBB452_69
; %bb.68:
	v_add_u32_e32 v1, -1, v0
	v_lshrrev_b32_e32 v14, 5, v1
	v_add_lshl_u32 v1, v14, v1, 3
	ds_read_b64 v[14:15], v1
.LBB452_69:
	s_or_b64 exec, exec, s[2:3]
	s_and_saveexec_b64 s[2:3], s[0:1]
	s_cbranch_execz .LBB452_71
; %bb.70:
	s_waitcnt lgkmcnt(0)
	v_add_co_u32_e32 v2, vcc, v14, v2
	v_addc_co_u32_e32 v3, vcc, v15, v3, vcc
	v_add_co_u32_e32 v30, vcc, v2, v4
	v_addc_co_u32_e32 v31, vcc, v3, v5, vcc
	;; [unrolled: 2-line block ×7, first 2 shown]
	;;#ASMSTART
	;;#ASMEND
.LBB452_71:
	s_or_b64 exec, exec, s[2:3]
	v_pk_mov_b32 v[26:27], v[40:41], v[40:41] op_sel:[0,1]
	v_pk_mov_b32 v[46:47], v[38:39], v[38:39] op_sel:[0,1]
	;; [unrolled: 1-line block ×6, first 2 shown]
	s_waitcnt lgkmcnt(0)
	v_pk_mov_b32 v[14:15], v[2:3], v[2:3] op_sel:[0,1]
.LBB452_72:
	s_movk_i32 s0, 0x7f
	v_cmp_eq_u32_e32 vcc, s0, v0
	s_and_saveexec_b64 s[0:1], vcc
	s_cbranch_execz .LBB452_74
; %bb.73:
	s_add_u32 s2, s28, 0x400
	s_addc_u32 s3, s29, 0
	v_mov_b32_e32 v28, 2
	v_mov_b32_e32 v29, 0
	v_pk_mov_b32 v[2:3], s[2:3], s[2:3] op_sel:[0,1]
	;;#ASMSTART
	global_store_dwordx4 v[2:3], v[26:29] off	
s_waitcnt vmcnt(0)
	;;#ASMEND
.LBB452_74:
	s_or_b64 exec, exec, s[0:1]
.LBB452_75:
	s_add_u32 s0, s12, s24
	s_addc_u32 s1, s13, s25
	s_add_u32 s2, s0, s26
	s_addc_u32 s3, s1, s27
	s_mov_b64 s[0:1], -1
	s_and_b64 vcc, exec, s[14:15]
	v_mul_u32_u24_e32 v1, 56, v0
	s_waitcnt lgkmcnt(0)
	s_barrier
	s_cbranch_vccz .LBB452_77
; %bb.76:
	v_mul_i32_i24_e32 v2, 0xffffffd0, v0
	v_mad_u32_u24 v16, v0, 56, v2
	ds_write2_b64 v1, v[14:15], v[42:43] offset1:1
	ds_write2_b64 v1, v[18:19], v[44:45] offset0:2 offset1:3
	ds_write2_b64 v1, v[22:23], v[46:47] offset0:4 offset1:5
	ds_write_b64 v1, v[26:27] offset:48
	s_waitcnt lgkmcnt(0)
	s_barrier
	ds_read2st64_b64 v[2:5], v16 offset1:2
	ds_read2st64_b64 v[6:9], v16 offset0:4 offset1:6
	ds_read2st64_b64 v[10:13], v16 offset0:8 offset1:10
	ds_read_b64 v[16:17], v16 offset:6144
	v_mov_b32_e32 v21, s3
	v_add_co_u32_e32 v20, vcc, s2, v48
	v_addc_co_u32_e32 v21, vcc, 0, v21, vcc
	s_waitcnt lgkmcnt(3)
	flat_store_dwordx2 v[20:21], v[2:3]
	flat_store_dwordx2 v[20:21], v[4:5] offset:1024
	s_waitcnt lgkmcnt(0)
	flat_store_dwordx2 v[20:21], v[6:7] offset:2048
	flat_store_dwordx2 v[20:21], v[8:9] offset:3072
	v_add_co_u32_e32 v2, vcc, 0x1000, v20
	v_addc_co_u32_e32 v3, vcc, 0, v21, vcc
	flat_store_dwordx2 v[2:3], v[10:11]
	flat_store_dwordx2 v[2:3], v[12:13] offset:1024
	flat_store_dwordx2 v[2:3], v[16:17] offset:2048
	s_mov_b64 s[0:1], 0
.LBB452_77:
	s_andn2_b64 vcc, exec, s[0:1]
	s_cbranch_vccnz .LBB452_116
; %bb.78:
	v_mul_i32_i24_e32 v2, 0xffffffd0, v0
	ds_write2_b64 v1, v[14:15], v[42:43] offset1:1
	ds_write2_b64 v1, v[18:19], v[44:45] offset0:2 offset1:3
	ds_write2_b64 v1, v[22:23], v[46:47] offset0:4 offset1:5
	ds_write_b64 v1, v[26:27] offset:48
	v_mad_u32_u24 v14, v0, 56, v2
	s_waitcnt lgkmcnt(0)
	s_barrier
	ds_read2st64_b64 v[2:5], v14 offset1:2
	ds_read2st64_b64 v[6:9], v14 offset0:4 offset1:6
	ds_read2st64_b64 v[10:13], v14 offset0:8 offset1:10
	ds_read_b64 v[14:15], v14 offset:6144
	v_mov_b32_e32 v17, s3
	v_add_co_u32_e32 v16, vcc, s2, v48
	v_addc_co_u32_e32 v17, vcc, 0, v17, vcc
	v_mov_b32_e32 v1, 0
	v_cmp_gt_u32_e32 vcc, s33, v0
	s_and_saveexec_b64 s[0:1], vcc
	s_cbranch_execz .LBB452_80
; %bb.79:
	s_waitcnt lgkmcnt(0)
	flat_store_dwordx2 v[16:17], v[2:3]
.LBB452_80:
	s_or_b64 exec, exec, s[0:1]
	v_or_b32_e32 v18, 0x80, v0
	v_cmp_gt_u32_e32 vcc, s33, v18
	s_and_saveexec_b64 s[0:1], vcc
	s_cbranch_execz .LBB452_82
; %bb.81:
	s_waitcnt lgkmcnt(0)
	flat_store_dwordx2 v[16:17], v[4:5] offset:1024
.LBB452_82:
	s_or_b64 exec, exec, s[0:1]
	v_or_b32_e32 v18, 0x100, v0
	v_cmp_gt_u32_e32 vcc, s33, v18
	s_and_saveexec_b64 s[0:1], vcc
	s_cbranch_execz .LBB452_84
; %bb.83:
	s_waitcnt lgkmcnt(0)
	flat_store_dwordx2 v[16:17], v[6:7] offset:2048
.LBB452_84:
	;; [unrolled: 9-line block ×3, first 2 shown]
	s_or_b64 exec, exec, s[0:1]
	v_or_b32_e32 v18, 0x200, v0
	v_cmp_gt_u32_e32 vcc, s33, v18
	s_and_saveexec_b64 s[0:1], vcc
	s_cbranch_execz .LBB452_88
; %bb.87:
	v_add_co_u32_e32 v18, vcc, 0x1000, v16
	v_addc_co_u32_e32 v19, vcc, 0, v17, vcc
	s_waitcnt lgkmcnt(0)
	flat_store_dwordx2 v[18:19], v[10:11]
.LBB452_88:
	s_or_b64 exec, exec, s[0:1]
	v_or_b32_e32 v18, 0x280, v0
	v_cmp_gt_u32_e32 vcc, s33, v18
	s_and_saveexec_b64 s[0:1], vcc
	s_cbranch_execz .LBB452_90
; %bb.89:
	v_add_co_u32_e32 v18, vcc, 0x1000, v16
	v_addc_co_u32_e32 v19, vcc, 0, v17, vcc
	s_waitcnt lgkmcnt(0)
	flat_store_dwordx2 v[18:19], v[12:13] offset:1024
.LBB452_90:
	s_or_b64 exec, exec, s[0:1]
	v_or_b32_e32 v18, 0x300, v0
	v_cmp_gt_u32_e32 vcc, s33, v18
	s_and_saveexec_b64 s[0:1], vcc
	s_cbranch_execz .LBB452_92
; %bb.91:
	v_add_co_u32_e32 v16, vcc, 0x1000, v16
	v_addc_co_u32_e32 v17, vcc, 0, v17, vcc
	s_waitcnt lgkmcnt(0)
	flat_store_dwordx2 v[16:17], v[14:15] offset:2048
.LBB452_92:
	s_or_b64 exec, exec, s[0:1]
	v_cmp_lt_u64_e64 s[0:1], s[22:23], 2
	s_and_b64 vcc, exec, s[0:1]
	s_cbranch_vccnz .LBB452_116
; %bb.93:
	s_add_u32 s0, s33, -1
	s_addc_u32 s1, s34, -1
	s_add_u32 s2, 0, 0x92481000
	s_addc_u32 s3, 0, 0x64
	s_add_i32 s3, s3, 0x249248c0
	s_mul_hi_u32 s7, s2, -7
	s_sub_i32 s7, s7, s2
	s_mul_i32 s8, s3, -7
	s_mul_i32 s4, s2, -7
	s_add_i32 s7, s7, s8
	s_mul_hi_u32 s5, s3, s4
	s_mul_i32 s6, s3, s4
	s_mul_i32 s9, s2, s7
	s_mul_hi_u32 s4, s2, s4
	s_mul_hi_u32 s8, s2, s7
	s_add_u32 s4, s4, s9
	s_addc_u32 s8, 0, s8
	s_add_u32 s4, s4, s6
	s_mul_hi_u32 s9, s3, s7
	s_addc_u32 s4, s8, s5
	s_addc_u32 s5, s9, 0
	s_mul_i32 s6, s3, s7
	s_add_u32 s4, s4, s6
	v_mov_b32_e32 v16, s4
	s_addc_u32 s5, 0, s5
	v_add_co_u32_e32 v16, vcc, s2, v16
	s_cmp_lg_u64 vcc, 0
	s_addc_u32 s2, s3, s5
	v_readfirstlane_b32 s5, v16
	s_mul_i32 s4, s0, s2
	s_mul_hi_u32 s6, s0, s5
	s_mul_hi_u32 s3, s0, s2
	s_add_u32 s4, s6, s4
	s_addc_u32 s3, 0, s3
	s_mul_hi_u32 s7, s1, s5
	s_mul_i32 s5, s1, s5
	s_add_u32 s4, s4, s5
	s_mul_hi_u32 s6, s1, s2
	s_addc_u32 s3, s3, s7
	s_addc_u32 s4, s6, 0
	s_mul_i32 s2, s1, s2
	s_add_u32 s2, s3, s2
	s_addc_u32 s3, 0, s4
	s_add_u32 s4, s2, 1
	s_addc_u32 s5, s3, 0
	s_add_u32 s6, s2, 2
	s_mul_i32 s8, s3, 7
	s_mul_hi_u32 s9, s2, 7
	s_addc_u32 s7, s3, 0
	s_add_i32 s9, s9, s8
	s_mul_i32 s8, s2, 7
	v_mov_b32_e32 v16, s8
	v_sub_co_u32_e32 v16, vcc, s0, v16
	s_cmp_lg_u64 vcc, 0
	s_subb_u32 s8, s1, s9
	v_subrev_co_u32_e32 v17, vcc, 7, v16
	s_cmp_lg_u64 vcc, 0
	s_subb_u32 s9, s8, 0
	v_readfirstlane_b32 s10, v17
	s_cmp_gt_u32 s10, 6
	s_cselect_b32 s10, -1, 0
	s_cmp_eq_u32 s9, 0
	s_cselect_b32 s9, s10, -1
	s_cmp_lg_u32 s9, 0
	s_cselect_b32 s4, s6, s4
	v_readfirstlane_b32 s6, v16
	s_cselect_b32 s5, s7, s5
	s_cmp_gt_u32 s6, 6
	s_cselect_b32 s6, -1, 0
	s_cmp_eq_u32 s8, 0
	s_cselect_b32 s6, s6, -1
	s_cmp_lg_u32 s6, 0
	s_cselect_b32 s3, s5, s3
	s_cselect_b32 s2, s4, s2
	v_cmp_eq_u64_e32 vcc, s[2:3], v[0:1]
	s_and_saveexec_b64 s[2:3], vcc
	s_cbranch_execz .LBB452_116
; %bb.94:
	v_mul_hi_u32_u24_e32 v1, 7, v0
	v_mov_b32_e32 v16, s1
	v_sub_co_u32_e32 v0, vcc, s0, v49
	v_subb_co_u32_e32 v1, vcc, v16, v1, vcc
	v_cmp_lt_i64_e32 vcc, 3, v[0:1]
	s_and_saveexec_b64 s[0:1], vcc
	s_xor_b64 s[0:1], exec, s[0:1]
	s_cbranch_execz .LBB452_104
; %bb.95:
	v_cmp_lt_i64_e32 vcc, 4, v[0:1]
	s_and_saveexec_b64 s[2:3], vcc
	s_xor_b64 s[2:3], exec, s[2:3]
	s_cbranch_execz .LBB452_101
; %bb.96:
	;; [unrolled: 5-line block ×3, first 2 shown]
	v_mov_b32_e32 v0, 0
	s_waitcnt lgkmcnt(0)
	global_store_dwordx2 v0, v[14:15], s[18:19]
                                        ; implicit-def: $vgpr10_vgpr11_vgpr12_vgpr13
.LBB452_98:
	s_andn2_saveexec_b64 s[4:5], s[4:5]
	s_cbranch_execz .LBB452_100
; %bb.99:
	v_mov_b32_e32 v0, 0
	s_waitcnt lgkmcnt(0)
	global_store_dwordx2 v0, v[12:13], s[18:19]
.LBB452_100:
	s_or_b64 exec, exec, s[4:5]
                                        ; implicit-def: $vgpr10_vgpr11_vgpr12_vgpr13
.LBB452_101:
	s_andn2_saveexec_b64 s[2:3], s[2:3]
	s_cbranch_execz .LBB452_103
; %bb.102:
	v_mov_b32_e32 v0, 0
	s_waitcnt lgkmcnt(0)
	global_store_dwordx2 v0, v[10:11], s[18:19]
.LBB452_103:
	s_or_b64 exec, exec, s[2:3]
                                        ; implicit-def: $vgpr0_vgpr1
                                        ; implicit-def: $vgpr2_vgpr3_vgpr4_vgpr5
                                        ; implicit-def: $vgpr6_vgpr7_vgpr8_vgpr9
.LBB452_104:
	s_andn2_saveexec_b64 s[0:1], s[0:1]
	s_cbranch_execz .LBB452_116
; %bb.105:
	v_cmp_lt_i64_e32 vcc, 1, v[0:1]
	s_and_saveexec_b64 s[0:1], vcc
	s_xor_b64 s[0:1], exec, s[0:1]
	s_cbranch_execz .LBB452_111
; %bb.106:
	v_cmp_lt_i64_e32 vcc, 2, v[0:1]
	s_and_saveexec_b64 s[2:3], vcc
	s_xor_b64 s[2:3], exec, s[2:3]
	s_cbranch_execz .LBB452_108
; %bb.107:
	v_mov_b32_e32 v0, 0
	s_waitcnt lgkmcnt(0)
	global_store_dwordx2 v0, v[8:9], s[18:19]
                                        ; implicit-def: $vgpr6_vgpr7_vgpr8_vgpr9
.LBB452_108:
	s_andn2_saveexec_b64 s[2:3], s[2:3]
	s_cbranch_execz .LBB452_110
; %bb.109:
	v_mov_b32_e32 v0, 0
	s_waitcnt lgkmcnt(0)
	global_store_dwordx2 v0, v[6:7], s[18:19]
.LBB452_110:
	s_or_b64 exec, exec, s[2:3]
                                        ; implicit-def: $vgpr2_vgpr3_vgpr4_vgpr5
                                        ; implicit-def: $vgpr0_vgpr1
.LBB452_111:
	s_andn2_saveexec_b64 s[0:1], s[0:1]
	s_cbranch_execz .LBB452_116
; %bb.112:
	v_cmp_ne_u64_e32 vcc, 1, v[0:1]
	s_and_saveexec_b64 s[0:1], vcc
	s_xor_b64 s[0:1], exec, s[0:1]
	s_cbranch_execz .LBB452_114
; %bb.113:
	v_mov_b32_e32 v0, 0
	s_waitcnt lgkmcnt(0)
	global_store_dwordx2 v0, v[2:3], s[18:19]
                                        ; implicit-def: $vgpr2_vgpr3_vgpr4_vgpr5
.LBB452_114:
	s_andn2_saveexec_b64 s[0:1], s[0:1]
	s_cbranch_execz .LBB452_116
; %bb.115:
	v_mov_b32_e32 v0, 0
	s_waitcnt lgkmcnt(0)
	global_store_dwordx2 v0, v[4:5], s[18:19]
.LBB452_116:
	s_endpgm
	.section	.rodata,"a",@progbits
	.p2align	6, 0x0
	.amdhsa_kernel _ZN7rocprim17ROCPRIM_400000_NS6detail17trampoline_kernelINS0_14default_configENS1_20scan_config_selectorIxEEZZNS1_9scan_implILNS1_25lookback_scan_determinismE0ELb0ELb1ES3_N6thrust23THRUST_200600_302600_NS6detail15normal_iteratorINS9_10device_ptrIxEEEESE_xNS9_4plusIxEExEEDaPvRmT3_T4_T5_mT6_P12ihipStream_tbENKUlT_T0_E_clISt17integral_constantIbLb1EEST_IbLb0EEEEDaSP_SQ_EUlSP_E_NS1_11comp_targetILNS1_3genE4ELNS1_11target_archE910ELNS1_3gpuE8ELNS1_3repE0EEENS1_30default_config_static_selectorELNS0_4arch9wavefront6targetE1EEEvT1_
		.amdhsa_group_segment_fixed_size 7168
		.amdhsa_private_segment_fixed_size 0
		.amdhsa_kernarg_size 104
		.amdhsa_user_sgpr_count 6
		.amdhsa_user_sgpr_private_segment_buffer 1
		.amdhsa_user_sgpr_dispatch_ptr 0
		.amdhsa_user_sgpr_queue_ptr 0
		.amdhsa_user_sgpr_kernarg_segment_ptr 1
		.amdhsa_user_sgpr_dispatch_id 0
		.amdhsa_user_sgpr_flat_scratch_init 0
		.amdhsa_user_sgpr_kernarg_preload_length 0
		.amdhsa_user_sgpr_kernarg_preload_offset 0
		.amdhsa_user_sgpr_private_segment_size 0
		.amdhsa_uses_dynamic_stack 0
		.amdhsa_system_sgpr_private_segment_wavefront_offset 0
		.amdhsa_system_sgpr_workgroup_id_x 1
		.amdhsa_system_sgpr_workgroup_id_y 0
		.amdhsa_system_sgpr_workgroup_id_z 0
		.amdhsa_system_sgpr_workgroup_info 0
		.amdhsa_system_vgpr_workitem_id 0
		.amdhsa_next_free_vgpr 51
		.amdhsa_next_free_sgpr 35
		.amdhsa_accum_offset 52
		.amdhsa_reserve_vcc 1
		.amdhsa_reserve_flat_scratch 0
		.amdhsa_float_round_mode_32 0
		.amdhsa_float_round_mode_16_64 0
		.amdhsa_float_denorm_mode_32 3
		.amdhsa_float_denorm_mode_16_64 3
		.amdhsa_dx10_clamp 1
		.amdhsa_ieee_mode 1
		.amdhsa_fp16_overflow 0
		.amdhsa_tg_split 0
		.amdhsa_exception_fp_ieee_invalid_op 0
		.amdhsa_exception_fp_denorm_src 0
		.amdhsa_exception_fp_ieee_div_zero 0
		.amdhsa_exception_fp_ieee_overflow 0
		.amdhsa_exception_fp_ieee_underflow 0
		.amdhsa_exception_fp_ieee_inexact 0
		.amdhsa_exception_int_div_zero 0
	.end_amdhsa_kernel
	.section	.text._ZN7rocprim17ROCPRIM_400000_NS6detail17trampoline_kernelINS0_14default_configENS1_20scan_config_selectorIxEEZZNS1_9scan_implILNS1_25lookback_scan_determinismE0ELb0ELb1ES3_N6thrust23THRUST_200600_302600_NS6detail15normal_iteratorINS9_10device_ptrIxEEEESE_xNS9_4plusIxEExEEDaPvRmT3_T4_T5_mT6_P12ihipStream_tbENKUlT_T0_E_clISt17integral_constantIbLb1EEST_IbLb0EEEEDaSP_SQ_EUlSP_E_NS1_11comp_targetILNS1_3genE4ELNS1_11target_archE910ELNS1_3gpuE8ELNS1_3repE0EEENS1_30default_config_static_selectorELNS0_4arch9wavefront6targetE1EEEvT1_,"axG",@progbits,_ZN7rocprim17ROCPRIM_400000_NS6detail17trampoline_kernelINS0_14default_configENS1_20scan_config_selectorIxEEZZNS1_9scan_implILNS1_25lookback_scan_determinismE0ELb0ELb1ES3_N6thrust23THRUST_200600_302600_NS6detail15normal_iteratorINS9_10device_ptrIxEEEESE_xNS9_4plusIxEExEEDaPvRmT3_T4_T5_mT6_P12ihipStream_tbENKUlT_T0_E_clISt17integral_constantIbLb1EEST_IbLb0EEEEDaSP_SQ_EUlSP_E_NS1_11comp_targetILNS1_3genE4ELNS1_11target_archE910ELNS1_3gpuE8ELNS1_3repE0EEENS1_30default_config_static_selectorELNS0_4arch9wavefront6targetE1EEEvT1_,comdat
.Lfunc_end452:
	.size	_ZN7rocprim17ROCPRIM_400000_NS6detail17trampoline_kernelINS0_14default_configENS1_20scan_config_selectorIxEEZZNS1_9scan_implILNS1_25lookback_scan_determinismE0ELb0ELb1ES3_N6thrust23THRUST_200600_302600_NS6detail15normal_iteratorINS9_10device_ptrIxEEEESE_xNS9_4plusIxEExEEDaPvRmT3_T4_T5_mT6_P12ihipStream_tbENKUlT_T0_E_clISt17integral_constantIbLb1EEST_IbLb0EEEEDaSP_SQ_EUlSP_E_NS1_11comp_targetILNS1_3genE4ELNS1_11target_archE910ELNS1_3gpuE8ELNS1_3repE0EEENS1_30default_config_static_selectorELNS0_4arch9wavefront6targetE1EEEvT1_, .Lfunc_end452-_ZN7rocprim17ROCPRIM_400000_NS6detail17trampoline_kernelINS0_14default_configENS1_20scan_config_selectorIxEEZZNS1_9scan_implILNS1_25lookback_scan_determinismE0ELb0ELb1ES3_N6thrust23THRUST_200600_302600_NS6detail15normal_iteratorINS9_10device_ptrIxEEEESE_xNS9_4plusIxEExEEDaPvRmT3_T4_T5_mT6_P12ihipStream_tbENKUlT_T0_E_clISt17integral_constantIbLb1EEST_IbLb0EEEEDaSP_SQ_EUlSP_E_NS1_11comp_targetILNS1_3genE4ELNS1_11target_archE910ELNS1_3gpuE8ELNS1_3repE0EEENS1_30default_config_static_selectorELNS0_4arch9wavefront6targetE1EEEvT1_
                                        ; -- End function
	.section	.AMDGPU.csdata,"",@progbits
; Kernel info:
; codeLenInByte = 6456
; NumSgprs: 39
; NumVgprs: 51
; NumAgprs: 0
; TotalNumVgprs: 51
; ScratchSize: 0
; MemoryBound: 0
; FloatMode: 240
; IeeeMode: 1
; LDSByteSize: 7168 bytes/workgroup (compile time only)
; SGPRBlocks: 4
; VGPRBlocks: 6
; NumSGPRsForWavesPerEU: 39
; NumVGPRsForWavesPerEU: 51
; AccumOffset: 52
; Occupancy: 5
; WaveLimiterHint : 1
; COMPUTE_PGM_RSRC2:SCRATCH_EN: 0
; COMPUTE_PGM_RSRC2:USER_SGPR: 6
; COMPUTE_PGM_RSRC2:TRAP_HANDLER: 0
; COMPUTE_PGM_RSRC2:TGID_X_EN: 1
; COMPUTE_PGM_RSRC2:TGID_Y_EN: 0
; COMPUTE_PGM_RSRC2:TGID_Z_EN: 0
; COMPUTE_PGM_RSRC2:TIDIG_COMP_CNT: 0
; COMPUTE_PGM_RSRC3_GFX90A:ACCUM_OFFSET: 12
; COMPUTE_PGM_RSRC3_GFX90A:TG_SPLIT: 0
	.section	.text._ZN7rocprim17ROCPRIM_400000_NS6detail17trampoline_kernelINS0_14default_configENS1_20scan_config_selectorIxEEZZNS1_9scan_implILNS1_25lookback_scan_determinismE0ELb0ELb1ES3_N6thrust23THRUST_200600_302600_NS6detail15normal_iteratorINS9_10device_ptrIxEEEESE_xNS9_4plusIxEExEEDaPvRmT3_T4_T5_mT6_P12ihipStream_tbENKUlT_T0_E_clISt17integral_constantIbLb1EEST_IbLb0EEEEDaSP_SQ_EUlSP_E_NS1_11comp_targetILNS1_3genE3ELNS1_11target_archE908ELNS1_3gpuE7ELNS1_3repE0EEENS1_30default_config_static_selectorELNS0_4arch9wavefront6targetE1EEEvT1_,"axG",@progbits,_ZN7rocprim17ROCPRIM_400000_NS6detail17trampoline_kernelINS0_14default_configENS1_20scan_config_selectorIxEEZZNS1_9scan_implILNS1_25lookback_scan_determinismE0ELb0ELb1ES3_N6thrust23THRUST_200600_302600_NS6detail15normal_iteratorINS9_10device_ptrIxEEEESE_xNS9_4plusIxEExEEDaPvRmT3_T4_T5_mT6_P12ihipStream_tbENKUlT_T0_E_clISt17integral_constantIbLb1EEST_IbLb0EEEEDaSP_SQ_EUlSP_E_NS1_11comp_targetILNS1_3genE3ELNS1_11target_archE908ELNS1_3gpuE7ELNS1_3repE0EEENS1_30default_config_static_selectorELNS0_4arch9wavefront6targetE1EEEvT1_,comdat
	.protected	_ZN7rocprim17ROCPRIM_400000_NS6detail17trampoline_kernelINS0_14default_configENS1_20scan_config_selectorIxEEZZNS1_9scan_implILNS1_25lookback_scan_determinismE0ELb0ELb1ES3_N6thrust23THRUST_200600_302600_NS6detail15normal_iteratorINS9_10device_ptrIxEEEESE_xNS9_4plusIxEExEEDaPvRmT3_T4_T5_mT6_P12ihipStream_tbENKUlT_T0_E_clISt17integral_constantIbLb1EEST_IbLb0EEEEDaSP_SQ_EUlSP_E_NS1_11comp_targetILNS1_3genE3ELNS1_11target_archE908ELNS1_3gpuE7ELNS1_3repE0EEENS1_30default_config_static_selectorELNS0_4arch9wavefront6targetE1EEEvT1_ ; -- Begin function _ZN7rocprim17ROCPRIM_400000_NS6detail17trampoline_kernelINS0_14default_configENS1_20scan_config_selectorIxEEZZNS1_9scan_implILNS1_25lookback_scan_determinismE0ELb0ELb1ES3_N6thrust23THRUST_200600_302600_NS6detail15normal_iteratorINS9_10device_ptrIxEEEESE_xNS9_4plusIxEExEEDaPvRmT3_T4_T5_mT6_P12ihipStream_tbENKUlT_T0_E_clISt17integral_constantIbLb1EEST_IbLb0EEEEDaSP_SQ_EUlSP_E_NS1_11comp_targetILNS1_3genE3ELNS1_11target_archE908ELNS1_3gpuE7ELNS1_3repE0EEENS1_30default_config_static_selectorELNS0_4arch9wavefront6targetE1EEEvT1_
	.globl	_ZN7rocprim17ROCPRIM_400000_NS6detail17trampoline_kernelINS0_14default_configENS1_20scan_config_selectorIxEEZZNS1_9scan_implILNS1_25lookback_scan_determinismE0ELb0ELb1ES3_N6thrust23THRUST_200600_302600_NS6detail15normal_iteratorINS9_10device_ptrIxEEEESE_xNS9_4plusIxEExEEDaPvRmT3_T4_T5_mT6_P12ihipStream_tbENKUlT_T0_E_clISt17integral_constantIbLb1EEST_IbLb0EEEEDaSP_SQ_EUlSP_E_NS1_11comp_targetILNS1_3genE3ELNS1_11target_archE908ELNS1_3gpuE7ELNS1_3repE0EEENS1_30default_config_static_selectorELNS0_4arch9wavefront6targetE1EEEvT1_
	.p2align	8
	.type	_ZN7rocprim17ROCPRIM_400000_NS6detail17trampoline_kernelINS0_14default_configENS1_20scan_config_selectorIxEEZZNS1_9scan_implILNS1_25lookback_scan_determinismE0ELb0ELb1ES3_N6thrust23THRUST_200600_302600_NS6detail15normal_iteratorINS9_10device_ptrIxEEEESE_xNS9_4plusIxEExEEDaPvRmT3_T4_T5_mT6_P12ihipStream_tbENKUlT_T0_E_clISt17integral_constantIbLb1EEST_IbLb0EEEEDaSP_SQ_EUlSP_E_NS1_11comp_targetILNS1_3genE3ELNS1_11target_archE908ELNS1_3gpuE7ELNS1_3repE0EEENS1_30default_config_static_selectorELNS0_4arch9wavefront6targetE1EEEvT1_,@function
_ZN7rocprim17ROCPRIM_400000_NS6detail17trampoline_kernelINS0_14default_configENS1_20scan_config_selectorIxEEZZNS1_9scan_implILNS1_25lookback_scan_determinismE0ELb0ELb1ES3_N6thrust23THRUST_200600_302600_NS6detail15normal_iteratorINS9_10device_ptrIxEEEESE_xNS9_4plusIxEExEEDaPvRmT3_T4_T5_mT6_P12ihipStream_tbENKUlT_T0_E_clISt17integral_constantIbLb1EEST_IbLb0EEEEDaSP_SQ_EUlSP_E_NS1_11comp_targetILNS1_3genE3ELNS1_11target_archE908ELNS1_3gpuE7ELNS1_3repE0EEENS1_30default_config_static_selectorELNS0_4arch9wavefront6targetE1EEEvT1_: ; @_ZN7rocprim17ROCPRIM_400000_NS6detail17trampoline_kernelINS0_14default_configENS1_20scan_config_selectorIxEEZZNS1_9scan_implILNS1_25lookback_scan_determinismE0ELb0ELb1ES3_N6thrust23THRUST_200600_302600_NS6detail15normal_iteratorINS9_10device_ptrIxEEEESE_xNS9_4plusIxEExEEDaPvRmT3_T4_T5_mT6_P12ihipStream_tbENKUlT_T0_E_clISt17integral_constantIbLb1EEST_IbLb0EEEEDaSP_SQ_EUlSP_E_NS1_11comp_targetILNS1_3genE3ELNS1_11target_archE908ELNS1_3gpuE7ELNS1_3repE0EEENS1_30default_config_static_selectorELNS0_4arch9wavefront6targetE1EEEvT1_
; %bb.0:
	.section	.rodata,"a",@progbits
	.p2align	6, 0x0
	.amdhsa_kernel _ZN7rocprim17ROCPRIM_400000_NS6detail17trampoline_kernelINS0_14default_configENS1_20scan_config_selectorIxEEZZNS1_9scan_implILNS1_25lookback_scan_determinismE0ELb0ELb1ES3_N6thrust23THRUST_200600_302600_NS6detail15normal_iteratorINS9_10device_ptrIxEEEESE_xNS9_4plusIxEExEEDaPvRmT3_T4_T5_mT6_P12ihipStream_tbENKUlT_T0_E_clISt17integral_constantIbLb1EEST_IbLb0EEEEDaSP_SQ_EUlSP_E_NS1_11comp_targetILNS1_3genE3ELNS1_11target_archE908ELNS1_3gpuE7ELNS1_3repE0EEENS1_30default_config_static_selectorELNS0_4arch9wavefront6targetE1EEEvT1_
		.amdhsa_group_segment_fixed_size 0
		.amdhsa_private_segment_fixed_size 0
		.amdhsa_kernarg_size 104
		.amdhsa_user_sgpr_count 6
		.amdhsa_user_sgpr_private_segment_buffer 1
		.amdhsa_user_sgpr_dispatch_ptr 0
		.amdhsa_user_sgpr_queue_ptr 0
		.amdhsa_user_sgpr_kernarg_segment_ptr 1
		.amdhsa_user_sgpr_dispatch_id 0
		.amdhsa_user_sgpr_flat_scratch_init 0
		.amdhsa_user_sgpr_kernarg_preload_length 0
		.amdhsa_user_sgpr_kernarg_preload_offset 0
		.amdhsa_user_sgpr_private_segment_size 0
		.amdhsa_uses_dynamic_stack 0
		.amdhsa_system_sgpr_private_segment_wavefront_offset 0
		.amdhsa_system_sgpr_workgroup_id_x 1
		.amdhsa_system_sgpr_workgroup_id_y 0
		.amdhsa_system_sgpr_workgroup_id_z 0
		.amdhsa_system_sgpr_workgroup_info 0
		.amdhsa_system_vgpr_workitem_id 0
		.amdhsa_next_free_vgpr 1
		.amdhsa_next_free_sgpr 0
		.amdhsa_accum_offset 4
		.amdhsa_reserve_vcc 0
		.amdhsa_reserve_flat_scratch 0
		.amdhsa_float_round_mode_32 0
		.amdhsa_float_round_mode_16_64 0
		.amdhsa_float_denorm_mode_32 3
		.amdhsa_float_denorm_mode_16_64 3
		.amdhsa_dx10_clamp 1
		.amdhsa_ieee_mode 1
		.amdhsa_fp16_overflow 0
		.amdhsa_tg_split 0
		.amdhsa_exception_fp_ieee_invalid_op 0
		.amdhsa_exception_fp_denorm_src 0
		.amdhsa_exception_fp_ieee_div_zero 0
		.amdhsa_exception_fp_ieee_overflow 0
		.amdhsa_exception_fp_ieee_underflow 0
		.amdhsa_exception_fp_ieee_inexact 0
		.amdhsa_exception_int_div_zero 0
	.end_amdhsa_kernel
	.section	.text._ZN7rocprim17ROCPRIM_400000_NS6detail17trampoline_kernelINS0_14default_configENS1_20scan_config_selectorIxEEZZNS1_9scan_implILNS1_25lookback_scan_determinismE0ELb0ELb1ES3_N6thrust23THRUST_200600_302600_NS6detail15normal_iteratorINS9_10device_ptrIxEEEESE_xNS9_4plusIxEExEEDaPvRmT3_T4_T5_mT6_P12ihipStream_tbENKUlT_T0_E_clISt17integral_constantIbLb1EEST_IbLb0EEEEDaSP_SQ_EUlSP_E_NS1_11comp_targetILNS1_3genE3ELNS1_11target_archE908ELNS1_3gpuE7ELNS1_3repE0EEENS1_30default_config_static_selectorELNS0_4arch9wavefront6targetE1EEEvT1_,"axG",@progbits,_ZN7rocprim17ROCPRIM_400000_NS6detail17trampoline_kernelINS0_14default_configENS1_20scan_config_selectorIxEEZZNS1_9scan_implILNS1_25lookback_scan_determinismE0ELb0ELb1ES3_N6thrust23THRUST_200600_302600_NS6detail15normal_iteratorINS9_10device_ptrIxEEEESE_xNS9_4plusIxEExEEDaPvRmT3_T4_T5_mT6_P12ihipStream_tbENKUlT_T0_E_clISt17integral_constantIbLb1EEST_IbLb0EEEEDaSP_SQ_EUlSP_E_NS1_11comp_targetILNS1_3genE3ELNS1_11target_archE908ELNS1_3gpuE7ELNS1_3repE0EEENS1_30default_config_static_selectorELNS0_4arch9wavefront6targetE1EEEvT1_,comdat
.Lfunc_end453:
	.size	_ZN7rocprim17ROCPRIM_400000_NS6detail17trampoline_kernelINS0_14default_configENS1_20scan_config_selectorIxEEZZNS1_9scan_implILNS1_25lookback_scan_determinismE0ELb0ELb1ES3_N6thrust23THRUST_200600_302600_NS6detail15normal_iteratorINS9_10device_ptrIxEEEESE_xNS9_4plusIxEExEEDaPvRmT3_T4_T5_mT6_P12ihipStream_tbENKUlT_T0_E_clISt17integral_constantIbLb1EEST_IbLb0EEEEDaSP_SQ_EUlSP_E_NS1_11comp_targetILNS1_3genE3ELNS1_11target_archE908ELNS1_3gpuE7ELNS1_3repE0EEENS1_30default_config_static_selectorELNS0_4arch9wavefront6targetE1EEEvT1_, .Lfunc_end453-_ZN7rocprim17ROCPRIM_400000_NS6detail17trampoline_kernelINS0_14default_configENS1_20scan_config_selectorIxEEZZNS1_9scan_implILNS1_25lookback_scan_determinismE0ELb0ELb1ES3_N6thrust23THRUST_200600_302600_NS6detail15normal_iteratorINS9_10device_ptrIxEEEESE_xNS9_4plusIxEExEEDaPvRmT3_T4_T5_mT6_P12ihipStream_tbENKUlT_T0_E_clISt17integral_constantIbLb1EEST_IbLb0EEEEDaSP_SQ_EUlSP_E_NS1_11comp_targetILNS1_3genE3ELNS1_11target_archE908ELNS1_3gpuE7ELNS1_3repE0EEENS1_30default_config_static_selectorELNS0_4arch9wavefront6targetE1EEEvT1_
                                        ; -- End function
	.section	.AMDGPU.csdata,"",@progbits
; Kernel info:
; codeLenInByte = 0
; NumSgprs: 4
; NumVgprs: 0
; NumAgprs: 0
; TotalNumVgprs: 0
; ScratchSize: 0
; MemoryBound: 0
; FloatMode: 240
; IeeeMode: 1
; LDSByteSize: 0 bytes/workgroup (compile time only)
; SGPRBlocks: 0
; VGPRBlocks: 0
; NumSGPRsForWavesPerEU: 4
; NumVGPRsForWavesPerEU: 1
; AccumOffset: 4
; Occupancy: 8
; WaveLimiterHint : 0
; COMPUTE_PGM_RSRC2:SCRATCH_EN: 0
; COMPUTE_PGM_RSRC2:USER_SGPR: 6
; COMPUTE_PGM_RSRC2:TRAP_HANDLER: 0
; COMPUTE_PGM_RSRC2:TGID_X_EN: 1
; COMPUTE_PGM_RSRC2:TGID_Y_EN: 0
; COMPUTE_PGM_RSRC2:TGID_Z_EN: 0
; COMPUTE_PGM_RSRC2:TIDIG_COMP_CNT: 0
; COMPUTE_PGM_RSRC3_GFX90A:ACCUM_OFFSET: 0
; COMPUTE_PGM_RSRC3_GFX90A:TG_SPLIT: 0
	.section	.text._ZN7rocprim17ROCPRIM_400000_NS6detail17trampoline_kernelINS0_14default_configENS1_20scan_config_selectorIxEEZZNS1_9scan_implILNS1_25lookback_scan_determinismE0ELb0ELb1ES3_N6thrust23THRUST_200600_302600_NS6detail15normal_iteratorINS9_10device_ptrIxEEEESE_xNS9_4plusIxEExEEDaPvRmT3_T4_T5_mT6_P12ihipStream_tbENKUlT_T0_E_clISt17integral_constantIbLb1EEST_IbLb0EEEEDaSP_SQ_EUlSP_E_NS1_11comp_targetILNS1_3genE2ELNS1_11target_archE906ELNS1_3gpuE6ELNS1_3repE0EEENS1_30default_config_static_selectorELNS0_4arch9wavefront6targetE1EEEvT1_,"axG",@progbits,_ZN7rocprim17ROCPRIM_400000_NS6detail17trampoline_kernelINS0_14default_configENS1_20scan_config_selectorIxEEZZNS1_9scan_implILNS1_25lookback_scan_determinismE0ELb0ELb1ES3_N6thrust23THRUST_200600_302600_NS6detail15normal_iteratorINS9_10device_ptrIxEEEESE_xNS9_4plusIxEExEEDaPvRmT3_T4_T5_mT6_P12ihipStream_tbENKUlT_T0_E_clISt17integral_constantIbLb1EEST_IbLb0EEEEDaSP_SQ_EUlSP_E_NS1_11comp_targetILNS1_3genE2ELNS1_11target_archE906ELNS1_3gpuE6ELNS1_3repE0EEENS1_30default_config_static_selectorELNS0_4arch9wavefront6targetE1EEEvT1_,comdat
	.protected	_ZN7rocprim17ROCPRIM_400000_NS6detail17trampoline_kernelINS0_14default_configENS1_20scan_config_selectorIxEEZZNS1_9scan_implILNS1_25lookback_scan_determinismE0ELb0ELb1ES3_N6thrust23THRUST_200600_302600_NS6detail15normal_iteratorINS9_10device_ptrIxEEEESE_xNS9_4plusIxEExEEDaPvRmT3_T4_T5_mT6_P12ihipStream_tbENKUlT_T0_E_clISt17integral_constantIbLb1EEST_IbLb0EEEEDaSP_SQ_EUlSP_E_NS1_11comp_targetILNS1_3genE2ELNS1_11target_archE906ELNS1_3gpuE6ELNS1_3repE0EEENS1_30default_config_static_selectorELNS0_4arch9wavefront6targetE1EEEvT1_ ; -- Begin function _ZN7rocprim17ROCPRIM_400000_NS6detail17trampoline_kernelINS0_14default_configENS1_20scan_config_selectorIxEEZZNS1_9scan_implILNS1_25lookback_scan_determinismE0ELb0ELb1ES3_N6thrust23THRUST_200600_302600_NS6detail15normal_iteratorINS9_10device_ptrIxEEEESE_xNS9_4plusIxEExEEDaPvRmT3_T4_T5_mT6_P12ihipStream_tbENKUlT_T0_E_clISt17integral_constantIbLb1EEST_IbLb0EEEEDaSP_SQ_EUlSP_E_NS1_11comp_targetILNS1_3genE2ELNS1_11target_archE906ELNS1_3gpuE6ELNS1_3repE0EEENS1_30default_config_static_selectorELNS0_4arch9wavefront6targetE1EEEvT1_
	.globl	_ZN7rocprim17ROCPRIM_400000_NS6detail17trampoline_kernelINS0_14default_configENS1_20scan_config_selectorIxEEZZNS1_9scan_implILNS1_25lookback_scan_determinismE0ELb0ELb1ES3_N6thrust23THRUST_200600_302600_NS6detail15normal_iteratorINS9_10device_ptrIxEEEESE_xNS9_4plusIxEExEEDaPvRmT3_T4_T5_mT6_P12ihipStream_tbENKUlT_T0_E_clISt17integral_constantIbLb1EEST_IbLb0EEEEDaSP_SQ_EUlSP_E_NS1_11comp_targetILNS1_3genE2ELNS1_11target_archE906ELNS1_3gpuE6ELNS1_3repE0EEENS1_30default_config_static_selectorELNS0_4arch9wavefront6targetE1EEEvT1_
	.p2align	8
	.type	_ZN7rocprim17ROCPRIM_400000_NS6detail17trampoline_kernelINS0_14default_configENS1_20scan_config_selectorIxEEZZNS1_9scan_implILNS1_25lookback_scan_determinismE0ELb0ELb1ES3_N6thrust23THRUST_200600_302600_NS6detail15normal_iteratorINS9_10device_ptrIxEEEESE_xNS9_4plusIxEExEEDaPvRmT3_T4_T5_mT6_P12ihipStream_tbENKUlT_T0_E_clISt17integral_constantIbLb1EEST_IbLb0EEEEDaSP_SQ_EUlSP_E_NS1_11comp_targetILNS1_3genE2ELNS1_11target_archE906ELNS1_3gpuE6ELNS1_3repE0EEENS1_30default_config_static_selectorELNS0_4arch9wavefront6targetE1EEEvT1_,@function
_ZN7rocprim17ROCPRIM_400000_NS6detail17trampoline_kernelINS0_14default_configENS1_20scan_config_selectorIxEEZZNS1_9scan_implILNS1_25lookback_scan_determinismE0ELb0ELb1ES3_N6thrust23THRUST_200600_302600_NS6detail15normal_iteratorINS9_10device_ptrIxEEEESE_xNS9_4plusIxEExEEDaPvRmT3_T4_T5_mT6_P12ihipStream_tbENKUlT_T0_E_clISt17integral_constantIbLb1EEST_IbLb0EEEEDaSP_SQ_EUlSP_E_NS1_11comp_targetILNS1_3genE2ELNS1_11target_archE906ELNS1_3gpuE6ELNS1_3repE0EEENS1_30default_config_static_selectorELNS0_4arch9wavefront6targetE1EEEvT1_: ; @_ZN7rocprim17ROCPRIM_400000_NS6detail17trampoline_kernelINS0_14default_configENS1_20scan_config_selectorIxEEZZNS1_9scan_implILNS1_25lookback_scan_determinismE0ELb0ELb1ES3_N6thrust23THRUST_200600_302600_NS6detail15normal_iteratorINS9_10device_ptrIxEEEESE_xNS9_4plusIxEExEEDaPvRmT3_T4_T5_mT6_P12ihipStream_tbENKUlT_T0_E_clISt17integral_constantIbLb1EEST_IbLb0EEEEDaSP_SQ_EUlSP_E_NS1_11comp_targetILNS1_3genE2ELNS1_11target_archE906ELNS1_3gpuE6ELNS1_3repE0EEENS1_30default_config_static_selectorELNS0_4arch9wavefront6targetE1EEEvT1_
; %bb.0:
	.section	.rodata,"a",@progbits
	.p2align	6, 0x0
	.amdhsa_kernel _ZN7rocprim17ROCPRIM_400000_NS6detail17trampoline_kernelINS0_14default_configENS1_20scan_config_selectorIxEEZZNS1_9scan_implILNS1_25lookback_scan_determinismE0ELb0ELb1ES3_N6thrust23THRUST_200600_302600_NS6detail15normal_iteratorINS9_10device_ptrIxEEEESE_xNS9_4plusIxEExEEDaPvRmT3_T4_T5_mT6_P12ihipStream_tbENKUlT_T0_E_clISt17integral_constantIbLb1EEST_IbLb0EEEEDaSP_SQ_EUlSP_E_NS1_11comp_targetILNS1_3genE2ELNS1_11target_archE906ELNS1_3gpuE6ELNS1_3repE0EEENS1_30default_config_static_selectorELNS0_4arch9wavefront6targetE1EEEvT1_
		.amdhsa_group_segment_fixed_size 0
		.amdhsa_private_segment_fixed_size 0
		.amdhsa_kernarg_size 104
		.amdhsa_user_sgpr_count 6
		.amdhsa_user_sgpr_private_segment_buffer 1
		.amdhsa_user_sgpr_dispatch_ptr 0
		.amdhsa_user_sgpr_queue_ptr 0
		.amdhsa_user_sgpr_kernarg_segment_ptr 1
		.amdhsa_user_sgpr_dispatch_id 0
		.amdhsa_user_sgpr_flat_scratch_init 0
		.amdhsa_user_sgpr_kernarg_preload_length 0
		.amdhsa_user_sgpr_kernarg_preload_offset 0
		.amdhsa_user_sgpr_private_segment_size 0
		.amdhsa_uses_dynamic_stack 0
		.amdhsa_system_sgpr_private_segment_wavefront_offset 0
		.amdhsa_system_sgpr_workgroup_id_x 1
		.amdhsa_system_sgpr_workgroup_id_y 0
		.amdhsa_system_sgpr_workgroup_id_z 0
		.amdhsa_system_sgpr_workgroup_info 0
		.amdhsa_system_vgpr_workitem_id 0
		.amdhsa_next_free_vgpr 1
		.amdhsa_next_free_sgpr 0
		.amdhsa_accum_offset 4
		.amdhsa_reserve_vcc 0
		.amdhsa_reserve_flat_scratch 0
		.amdhsa_float_round_mode_32 0
		.amdhsa_float_round_mode_16_64 0
		.amdhsa_float_denorm_mode_32 3
		.amdhsa_float_denorm_mode_16_64 3
		.amdhsa_dx10_clamp 1
		.amdhsa_ieee_mode 1
		.amdhsa_fp16_overflow 0
		.amdhsa_tg_split 0
		.amdhsa_exception_fp_ieee_invalid_op 0
		.amdhsa_exception_fp_denorm_src 0
		.amdhsa_exception_fp_ieee_div_zero 0
		.amdhsa_exception_fp_ieee_overflow 0
		.amdhsa_exception_fp_ieee_underflow 0
		.amdhsa_exception_fp_ieee_inexact 0
		.amdhsa_exception_int_div_zero 0
	.end_amdhsa_kernel
	.section	.text._ZN7rocprim17ROCPRIM_400000_NS6detail17trampoline_kernelINS0_14default_configENS1_20scan_config_selectorIxEEZZNS1_9scan_implILNS1_25lookback_scan_determinismE0ELb0ELb1ES3_N6thrust23THRUST_200600_302600_NS6detail15normal_iteratorINS9_10device_ptrIxEEEESE_xNS9_4plusIxEExEEDaPvRmT3_T4_T5_mT6_P12ihipStream_tbENKUlT_T0_E_clISt17integral_constantIbLb1EEST_IbLb0EEEEDaSP_SQ_EUlSP_E_NS1_11comp_targetILNS1_3genE2ELNS1_11target_archE906ELNS1_3gpuE6ELNS1_3repE0EEENS1_30default_config_static_selectorELNS0_4arch9wavefront6targetE1EEEvT1_,"axG",@progbits,_ZN7rocprim17ROCPRIM_400000_NS6detail17trampoline_kernelINS0_14default_configENS1_20scan_config_selectorIxEEZZNS1_9scan_implILNS1_25lookback_scan_determinismE0ELb0ELb1ES3_N6thrust23THRUST_200600_302600_NS6detail15normal_iteratorINS9_10device_ptrIxEEEESE_xNS9_4plusIxEExEEDaPvRmT3_T4_T5_mT6_P12ihipStream_tbENKUlT_T0_E_clISt17integral_constantIbLb1EEST_IbLb0EEEEDaSP_SQ_EUlSP_E_NS1_11comp_targetILNS1_3genE2ELNS1_11target_archE906ELNS1_3gpuE6ELNS1_3repE0EEENS1_30default_config_static_selectorELNS0_4arch9wavefront6targetE1EEEvT1_,comdat
.Lfunc_end454:
	.size	_ZN7rocprim17ROCPRIM_400000_NS6detail17trampoline_kernelINS0_14default_configENS1_20scan_config_selectorIxEEZZNS1_9scan_implILNS1_25lookback_scan_determinismE0ELb0ELb1ES3_N6thrust23THRUST_200600_302600_NS6detail15normal_iteratorINS9_10device_ptrIxEEEESE_xNS9_4plusIxEExEEDaPvRmT3_T4_T5_mT6_P12ihipStream_tbENKUlT_T0_E_clISt17integral_constantIbLb1EEST_IbLb0EEEEDaSP_SQ_EUlSP_E_NS1_11comp_targetILNS1_3genE2ELNS1_11target_archE906ELNS1_3gpuE6ELNS1_3repE0EEENS1_30default_config_static_selectorELNS0_4arch9wavefront6targetE1EEEvT1_, .Lfunc_end454-_ZN7rocprim17ROCPRIM_400000_NS6detail17trampoline_kernelINS0_14default_configENS1_20scan_config_selectorIxEEZZNS1_9scan_implILNS1_25lookback_scan_determinismE0ELb0ELb1ES3_N6thrust23THRUST_200600_302600_NS6detail15normal_iteratorINS9_10device_ptrIxEEEESE_xNS9_4plusIxEExEEDaPvRmT3_T4_T5_mT6_P12ihipStream_tbENKUlT_T0_E_clISt17integral_constantIbLb1EEST_IbLb0EEEEDaSP_SQ_EUlSP_E_NS1_11comp_targetILNS1_3genE2ELNS1_11target_archE906ELNS1_3gpuE6ELNS1_3repE0EEENS1_30default_config_static_selectorELNS0_4arch9wavefront6targetE1EEEvT1_
                                        ; -- End function
	.section	.AMDGPU.csdata,"",@progbits
; Kernel info:
; codeLenInByte = 0
; NumSgprs: 4
; NumVgprs: 0
; NumAgprs: 0
; TotalNumVgprs: 0
; ScratchSize: 0
; MemoryBound: 0
; FloatMode: 240
; IeeeMode: 1
; LDSByteSize: 0 bytes/workgroup (compile time only)
; SGPRBlocks: 0
; VGPRBlocks: 0
; NumSGPRsForWavesPerEU: 4
; NumVGPRsForWavesPerEU: 1
; AccumOffset: 4
; Occupancy: 8
; WaveLimiterHint : 0
; COMPUTE_PGM_RSRC2:SCRATCH_EN: 0
; COMPUTE_PGM_RSRC2:USER_SGPR: 6
; COMPUTE_PGM_RSRC2:TRAP_HANDLER: 0
; COMPUTE_PGM_RSRC2:TGID_X_EN: 1
; COMPUTE_PGM_RSRC2:TGID_Y_EN: 0
; COMPUTE_PGM_RSRC2:TGID_Z_EN: 0
; COMPUTE_PGM_RSRC2:TIDIG_COMP_CNT: 0
; COMPUTE_PGM_RSRC3_GFX90A:ACCUM_OFFSET: 0
; COMPUTE_PGM_RSRC3_GFX90A:TG_SPLIT: 0
	.section	.text._ZN7rocprim17ROCPRIM_400000_NS6detail17trampoline_kernelINS0_14default_configENS1_20scan_config_selectorIxEEZZNS1_9scan_implILNS1_25lookback_scan_determinismE0ELb0ELb1ES3_N6thrust23THRUST_200600_302600_NS6detail15normal_iteratorINS9_10device_ptrIxEEEESE_xNS9_4plusIxEExEEDaPvRmT3_T4_T5_mT6_P12ihipStream_tbENKUlT_T0_E_clISt17integral_constantIbLb1EEST_IbLb0EEEEDaSP_SQ_EUlSP_E_NS1_11comp_targetILNS1_3genE10ELNS1_11target_archE1201ELNS1_3gpuE5ELNS1_3repE0EEENS1_30default_config_static_selectorELNS0_4arch9wavefront6targetE1EEEvT1_,"axG",@progbits,_ZN7rocprim17ROCPRIM_400000_NS6detail17trampoline_kernelINS0_14default_configENS1_20scan_config_selectorIxEEZZNS1_9scan_implILNS1_25lookback_scan_determinismE0ELb0ELb1ES3_N6thrust23THRUST_200600_302600_NS6detail15normal_iteratorINS9_10device_ptrIxEEEESE_xNS9_4plusIxEExEEDaPvRmT3_T4_T5_mT6_P12ihipStream_tbENKUlT_T0_E_clISt17integral_constantIbLb1EEST_IbLb0EEEEDaSP_SQ_EUlSP_E_NS1_11comp_targetILNS1_3genE10ELNS1_11target_archE1201ELNS1_3gpuE5ELNS1_3repE0EEENS1_30default_config_static_selectorELNS0_4arch9wavefront6targetE1EEEvT1_,comdat
	.protected	_ZN7rocprim17ROCPRIM_400000_NS6detail17trampoline_kernelINS0_14default_configENS1_20scan_config_selectorIxEEZZNS1_9scan_implILNS1_25lookback_scan_determinismE0ELb0ELb1ES3_N6thrust23THRUST_200600_302600_NS6detail15normal_iteratorINS9_10device_ptrIxEEEESE_xNS9_4plusIxEExEEDaPvRmT3_T4_T5_mT6_P12ihipStream_tbENKUlT_T0_E_clISt17integral_constantIbLb1EEST_IbLb0EEEEDaSP_SQ_EUlSP_E_NS1_11comp_targetILNS1_3genE10ELNS1_11target_archE1201ELNS1_3gpuE5ELNS1_3repE0EEENS1_30default_config_static_selectorELNS0_4arch9wavefront6targetE1EEEvT1_ ; -- Begin function _ZN7rocprim17ROCPRIM_400000_NS6detail17trampoline_kernelINS0_14default_configENS1_20scan_config_selectorIxEEZZNS1_9scan_implILNS1_25lookback_scan_determinismE0ELb0ELb1ES3_N6thrust23THRUST_200600_302600_NS6detail15normal_iteratorINS9_10device_ptrIxEEEESE_xNS9_4plusIxEExEEDaPvRmT3_T4_T5_mT6_P12ihipStream_tbENKUlT_T0_E_clISt17integral_constantIbLb1EEST_IbLb0EEEEDaSP_SQ_EUlSP_E_NS1_11comp_targetILNS1_3genE10ELNS1_11target_archE1201ELNS1_3gpuE5ELNS1_3repE0EEENS1_30default_config_static_selectorELNS0_4arch9wavefront6targetE1EEEvT1_
	.globl	_ZN7rocprim17ROCPRIM_400000_NS6detail17trampoline_kernelINS0_14default_configENS1_20scan_config_selectorIxEEZZNS1_9scan_implILNS1_25lookback_scan_determinismE0ELb0ELb1ES3_N6thrust23THRUST_200600_302600_NS6detail15normal_iteratorINS9_10device_ptrIxEEEESE_xNS9_4plusIxEExEEDaPvRmT3_T4_T5_mT6_P12ihipStream_tbENKUlT_T0_E_clISt17integral_constantIbLb1EEST_IbLb0EEEEDaSP_SQ_EUlSP_E_NS1_11comp_targetILNS1_3genE10ELNS1_11target_archE1201ELNS1_3gpuE5ELNS1_3repE0EEENS1_30default_config_static_selectorELNS0_4arch9wavefront6targetE1EEEvT1_
	.p2align	8
	.type	_ZN7rocprim17ROCPRIM_400000_NS6detail17trampoline_kernelINS0_14default_configENS1_20scan_config_selectorIxEEZZNS1_9scan_implILNS1_25lookback_scan_determinismE0ELb0ELb1ES3_N6thrust23THRUST_200600_302600_NS6detail15normal_iteratorINS9_10device_ptrIxEEEESE_xNS9_4plusIxEExEEDaPvRmT3_T4_T5_mT6_P12ihipStream_tbENKUlT_T0_E_clISt17integral_constantIbLb1EEST_IbLb0EEEEDaSP_SQ_EUlSP_E_NS1_11comp_targetILNS1_3genE10ELNS1_11target_archE1201ELNS1_3gpuE5ELNS1_3repE0EEENS1_30default_config_static_selectorELNS0_4arch9wavefront6targetE1EEEvT1_,@function
_ZN7rocprim17ROCPRIM_400000_NS6detail17trampoline_kernelINS0_14default_configENS1_20scan_config_selectorIxEEZZNS1_9scan_implILNS1_25lookback_scan_determinismE0ELb0ELb1ES3_N6thrust23THRUST_200600_302600_NS6detail15normal_iteratorINS9_10device_ptrIxEEEESE_xNS9_4plusIxEExEEDaPvRmT3_T4_T5_mT6_P12ihipStream_tbENKUlT_T0_E_clISt17integral_constantIbLb1EEST_IbLb0EEEEDaSP_SQ_EUlSP_E_NS1_11comp_targetILNS1_3genE10ELNS1_11target_archE1201ELNS1_3gpuE5ELNS1_3repE0EEENS1_30default_config_static_selectorELNS0_4arch9wavefront6targetE1EEEvT1_: ; @_ZN7rocprim17ROCPRIM_400000_NS6detail17trampoline_kernelINS0_14default_configENS1_20scan_config_selectorIxEEZZNS1_9scan_implILNS1_25lookback_scan_determinismE0ELb0ELb1ES3_N6thrust23THRUST_200600_302600_NS6detail15normal_iteratorINS9_10device_ptrIxEEEESE_xNS9_4plusIxEExEEDaPvRmT3_T4_T5_mT6_P12ihipStream_tbENKUlT_T0_E_clISt17integral_constantIbLb1EEST_IbLb0EEEEDaSP_SQ_EUlSP_E_NS1_11comp_targetILNS1_3genE10ELNS1_11target_archE1201ELNS1_3gpuE5ELNS1_3repE0EEENS1_30default_config_static_selectorELNS0_4arch9wavefront6targetE1EEEvT1_
; %bb.0:
	.section	.rodata,"a",@progbits
	.p2align	6, 0x0
	.amdhsa_kernel _ZN7rocprim17ROCPRIM_400000_NS6detail17trampoline_kernelINS0_14default_configENS1_20scan_config_selectorIxEEZZNS1_9scan_implILNS1_25lookback_scan_determinismE0ELb0ELb1ES3_N6thrust23THRUST_200600_302600_NS6detail15normal_iteratorINS9_10device_ptrIxEEEESE_xNS9_4plusIxEExEEDaPvRmT3_T4_T5_mT6_P12ihipStream_tbENKUlT_T0_E_clISt17integral_constantIbLb1EEST_IbLb0EEEEDaSP_SQ_EUlSP_E_NS1_11comp_targetILNS1_3genE10ELNS1_11target_archE1201ELNS1_3gpuE5ELNS1_3repE0EEENS1_30default_config_static_selectorELNS0_4arch9wavefront6targetE1EEEvT1_
		.amdhsa_group_segment_fixed_size 0
		.amdhsa_private_segment_fixed_size 0
		.amdhsa_kernarg_size 104
		.amdhsa_user_sgpr_count 6
		.amdhsa_user_sgpr_private_segment_buffer 1
		.amdhsa_user_sgpr_dispatch_ptr 0
		.amdhsa_user_sgpr_queue_ptr 0
		.amdhsa_user_sgpr_kernarg_segment_ptr 1
		.amdhsa_user_sgpr_dispatch_id 0
		.amdhsa_user_sgpr_flat_scratch_init 0
		.amdhsa_user_sgpr_kernarg_preload_length 0
		.amdhsa_user_sgpr_kernarg_preload_offset 0
		.amdhsa_user_sgpr_private_segment_size 0
		.amdhsa_uses_dynamic_stack 0
		.amdhsa_system_sgpr_private_segment_wavefront_offset 0
		.amdhsa_system_sgpr_workgroup_id_x 1
		.amdhsa_system_sgpr_workgroup_id_y 0
		.amdhsa_system_sgpr_workgroup_id_z 0
		.amdhsa_system_sgpr_workgroup_info 0
		.amdhsa_system_vgpr_workitem_id 0
		.amdhsa_next_free_vgpr 1
		.amdhsa_next_free_sgpr 0
		.amdhsa_accum_offset 4
		.amdhsa_reserve_vcc 0
		.amdhsa_reserve_flat_scratch 0
		.amdhsa_float_round_mode_32 0
		.amdhsa_float_round_mode_16_64 0
		.amdhsa_float_denorm_mode_32 3
		.amdhsa_float_denorm_mode_16_64 3
		.amdhsa_dx10_clamp 1
		.amdhsa_ieee_mode 1
		.amdhsa_fp16_overflow 0
		.amdhsa_tg_split 0
		.amdhsa_exception_fp_ieee_invalid_op 0
		.amdhsa_exception_fp_denorm_src 0
		.amdhsa_exception_fp_ieee_div_zero 0
		.amdhsa_exception_fp_ieee_overflow 0
		.amdhsa_exception_fp_ieee_underflow 0
		.amdhsa_exception_fp_ieee_inexact 0
		.amdhsa_exception_int_div_zero 0
	.end_amdhsa_kernel
	.section	.text._ZN7rocprim17ROCPRIM_400000_NS6detail17trampoline_kernelINS0_14default_configENS1_20scan_config_selectorIxEEZZNS1_9scan_implILNS1_25lookback_scan_determinismE0ELb0ELb1ES3_N6thrust23THRUST_200600_302600_NS6detail15normal_iteratorINS9_10device_ptrIxEEEESE_xNS9_4plusIxEExEEDaPvRmT3_T4_T5_mT6_P12ihipStream_tbENKUlT_T0_E_clISt17integral_constantIbLb1EEST_IbLb0EEEEDaSP_SQ_EUlSP_E_NS1_11comp_targetILNS1_3genE10ELNS1_11target_archE1201ELNS1_3gpuE5ELNS1_3repE0EEENS1_30default_config_static_selectorELNS0_4arch9wavefront6targetE1EEEvT1_,"axG",@progbits,_ZN7rocprim17ROCPRIM_400000_NS6detail17trampoline_kernelINS0_14default_configENS1_20scan_config_selectorIxEEZZNS1_9scan_implILNS1_25lookback_scan_determinismE0ELb0ELb1ES3_N6thrust23THRUST_200600_302600_NS6detail15normal_iteratorINS9_10device_ptrIxEEEESE_xNS9_4plusIxEExEEDaPvRmT3_T4_T5_mT6_P12ihipStream_tbENKUlT_T0_E_clISt17integral_constantIbLb1EEST_IbLb0EEEEDaSP_SQ_EUlSP_E_NS1_11comp_targetILNS1_3genE10ELNS1_11target_archE1201ELNS1_3gpuE5ELNS1_3repE0EEENS1_30default_config_static_selectorELNS0_4arch9wavefront6targetE1EEEvT1_,comdat
.Lfunc_end455:
	.size	_ZN7rocprim17ROCPRIM_400000_NS6detail17trampoline_kernelINS0_14default_configENS1_20scan_config_selectorIxEEZZNS1_9scan_implILNS1_25lookback_scan_determinismE0ELb0ELb1ES3_N6thrust23THRUST_200600_302600_NS6detail15normal_iteratorINS9_10device_ptrIxEEEESE_xNS9_4plusIxEExEEDaPvRmT3_T4_T5_mT6_P12ihipStream_tbENKUlT_T0_E_clISt17integral_constantIbLb1EEST_IbLb0EEEEDaSP_SQ_EUlSP_E_NS1_11comp_targetILNS1_3genE10ELNS1_11target_archE1201ELNS1_3gpuE5ELNS1_3repE0EEENS1_30default_config_static_selectorELNS0_4arch9wavefront6targetE1EEEvT1_, .Lfunc_end455-_ZN7rocprim17ROCPRIM_400000_NS6detail17trampoline_kernelINS0_14default_configENS1_20scan_config_selectorIxEEZZNS1_9scan_implILNS1_25lookback_scan_determinismE0ELb0ELb1ES3_N6thrust23THRUST_200600_302600_NS6detail15normal_iteratorINS9_10device_ptrIxEEEESE_xNS9_4plusIxEExEEDaPvRmT3_T4_T5_mT6_P12ihipStream_tbENKUlT_T0_E_clISt17integral_constantIbLb1EEST_IbLb0EEEEDaSP_SQ_EUlSP_E_NS1_11comp_targetILNS1_3genE10ELNS1_11target_archE1201ELNS1_3gpuE5ELNS1_3repE0EEENS1_30default_config_static_selectorELNS0_4arch9wavefront6targetE1EEEvT1_
                                        ; -- End function
	.section	.AMDGPU.csdata,"",@progbits
; Kernel info:
; codeLenInByte = 0
; NumSgprs: 4
; NumVgprs: 0
; NumAgprs: 0
; TotalNumVgprs: 0
; ScratchSize: 0
; MemoryBound: 0
; FloatMode: 240
; IeeeMode: 1
; LDSByteSize: 0 bytes/workgroup (compile time only)
; SGPRBlocks: 0
; VGPRBlocks: 0
; NumSGPRsForWavesPerEU: 4
; NumVGPRsForWavesPerEU: 1
; AccumOffset: 4
; Occupancy: 8
; WaveLimiterHint : 0
; COMPUTE_PGM_RSRC2:SCRATCH_EN: 0
; COMPUTE_PGM_RSRC2:USER_SGPR: 6
; COMPUTE_PGM_RSRC2:TRAP_HANDLER: 0
; COMPUTE_PGM_RSRC2:TGID_X_EN: 1
; COMPUTE_PGM_RSRC2:TGID_Y_EN: 0
; COMPUTE_PGM_RSRC2:TGID_Z_EN: 0
; COMPUTE_PGM_RSRC2:TIDIG_COMP_CNT: 0
; COMPUTE_PGM_RSRC3_GFX90A:ACCUM_OFFSET: 0
; COMPUTE_PGM_RSRC3_GFX90A:TG_SPLIT: 0
	.section	.text._ZN7rocprim17ROCPRIM_400000_NS6detail17trampoline_kernelINS0_14default_configENS1_20scan_config_selectorIxEEZZNS1_9scan_implILNS1_25lookback_scan_determinismE0ELb0ELb1ES3_N6thrust23THRUST_200600_302600_NS6detail15normal_iteratorINS9_10device_ptrIxEEEESE_xNS9_4plusIxEExEEDaPvRmT3_T4_T5_mT6_P12ihipStream_tbENKUlT_T0_E_clISt17integral_constantIbLb1EEST_IbLb0EEEEDaSP_SQ_EUlSP_E_NS1_11comp_targetILNS1_3genE10ELNS1_11target_archE1200ELNS1_3gpuE4ELNS1_3repE0EEENS1_30default_config_static_selectorELNS0_4arch9wavefront6targetE1EEEvT1_,"axG",@progbits,_ZN7rocprim17ROCPRIM_400000_NS6detail17trampoline_kernelINS0_14default_configENS1_20scan_config_selectorIxEEZZNS1_9scan_implILNS1_25lookback_scan_determinismE0ELb0ELb1ES3_N6thrust23THRUST_200600_302600_NS6detail15normal_iteratorINS9_10device_ptrIxEEEESE_xNS9_4plusIxEExEEDaPvRmT3_T4_T5_mT6_P12ihipStream_tbENKUlT_T0_E_clISt17integral_constantIbLb1EEST_IbLb0EEEEDaSP_SQ_EUlSP_E_NS1_11comp_targetILNS1_3genE10ELNS1_11target_archE1200ELNS1_3gpuE4ELNS1_3repE0EEENS1_30default_config_static_selectorELNS0_4arch9wavefront6targetE1EEEvT1_,comdat
	.protected	_ZN7rocprim17ROCPRIM_400000_NS6detail17trampoline_kernelINS0_14default_configENS1_20scan_config_selectorIxEEZZNS1_9scan_implILNS1_25lookback_scan_determinismE0ELb0ELb1ES3_N6thrust23THRUST_200600_302600_NS6detail15normal_iteratorINS9_10device_ptrIxEEEESE_xNS9_4plusIxEExEEDaPvRmT3_T4_T5_mT6_P12ihipStream_tbENKUlT_T0_E_clISt17integral_constantIbLb1EEST_IbLb0EEEEDaSP_SQ_EUlSP_E_NS1_11comp_targetILNS1_3genE10ELNS1_11target_archE1200ELNS1_3gpuE4ELNS1_3repE0EEENS1_30default_config_static_selectorELNS0_4arch9wavefront6targetE1EEEvT1_ ; -- Begin function _ZN7rocprim17ROCPRIM_400000_NS6detail17trampoline_kernelINS0_14default_configENS1_20scan_config_selectorIxEEZZNS1_9scan_implILNS1_25lookback_scan_determinismE0ELb0ELb1ES3_N6thrust23THRUST_200600_302600_NS6detail15normal_iteratorINS9_10device_ptrIxEEEESE_xNS9_4plusIxEExEEDaPvRmT3_T4_T5_mT6_P12ihipStream_tbENKUlT_T0_E_clISt17integral_constantIbLb1EEST_IbLb0EEEEDaSP_SQ_EUlSP_E_NS1_11comp_targetILNS1_3genE10ELNS1_11target_archE1200ELNS1_3gpuE4ELNS1_3repE0EEENS1_30default_config_static_selectorELNS0_4arch9wavefront6targetE1EEEvT1_
	.globl	_ZN7rocprim17ROCPRIM_400000_NS6detail17trampoline_kernelINS0_14default_configENS1_20scan_config_selectorIxEEZZNS1_9scan_implILNS1_25lookback_scan_determinismE0ELb0ELb1ES3_N6thrust23THRUST_200600_302600_NS6detail15normal_iteratorINS9_10device_ptrIxEEEESE_xNS9_4plusIxEExEEDaPvRmT3_T4_T5_mT6_P12ihipStream_tbENKUlT_T0_E_clISt17integral_constantIbLb1EEST_IbLb0EEEEDaSP_SQ_EUlSP_E_NS1_11comp_targetILNS1_3genE10ELNS1_11target_archE1200ELNS1_3gpuE4ELNS1_3repE0EEENS1_30default_config_static_selectorELNS0_4arch9wavefront6targetE1EEEvT1_
	.p2align	8
	.type	_ZN7rocprim17ROCPRIM_400000_NS6detail17trampoline_kernelINS0_14default_configENS1_20scan_config_selectorIxEEZZNS1_9scan_implILNS1_25lookback_scan_determinismE0ELb0ELb1ES3_N6thrust23THRUST_200600_302600_NS6detail15normal_iteratorINS9_10device_ptrIxEEEESE_xNS9_4plusIxEExEEDaPvRmT3_T4_T5_mT6_P12ihipStream_tbENKUlT_T0_E_clISt17integral_constantIbLb1EEST_IbLb0EEEEDaSP_SQ_EUlSP_E_NS1_11comp_targetILNS1_3genE10ELNS1_11target_archE1200ELNS1_3gpuE4ELNS1_3repE0EEENS1_30default_config_static_selectorELNS0_4arch9wavefront6targetE1EEEvT1_,@function
_ZN7rocprim17ROCPRIM_400000_NS6detail17trampoline_kernelINS0_14default_configENS1_20scan_config_selectorIxEEZZNS1_9scan_implILNS1_25lookback_scan_determinismE0ELb0ELb1ES3_N6thrust23THRUST_200600_302600_NS6detail15normal_iteratorINS9_10device_ptrIxEEEESE_xNS9_4plusIxEExEEDaPvRmT3_T4_T5_mT6_P12ihipStream_tbENKUlT_T0_E_clISt17integral_constantIbLb1EEST_IbLb0EEEEDaSP_SQ_EUlSP_E_NS1_11comp_targetILNS1_3genE10ELNS1_11target_archE1200ELNS1_3gpuE4ELNS1_3repE0EEENS1_30default_config_static_selectorELNS0_4arch9wavefront6targetE1EEEvT1_: ; @_ZN7rocprim17ROCPRIM_400000_NS6detail17trampoline_kernelINS0_14default_configENS1_20scan_config_selectorIxEEZZNS1_9scan_implILNS1_25lookback_scan_determinismE0ELb0ELb1ES3_N6thrust23THRUST_200600_302600_NS6detail15normal_iteratorINS9_10device_ptrIxEEEESE_xNS9_4plusIxEExEEDaPvRmT3_T4_T5_mT6_P12ihipStream_tbENKUlT_T0_E_clISt17integral_constantIbLb1EEST_IbLb0EEEEDaSP_SQ_EUlSP_E_NS1_11comp_targetILNS1_3genE10ELNS1_11target_archE1200ELNS1_3gpuE4ELNS1_3repE0EEENS1_30default_config_static_selectorELNS0_4arch9wavefront6targetE1EEEvT1_
; %bb.0:
	.section	.rodata,"a",@progbits
	.p2align	6, 0x0
	.amdhsa_kernel _ZN7rocprim17ROCPRIM_400000_NS6detail17trampoline_kernelINS0_14default_configENS1_20scan_config_selectorIxEEZZNS1_9scan_implILNS1_25lookback_scan_determinismE0ELb0ELb1ES3_N6thrust23THRUST_200600_302600_NS6detail15normal_iteratorINS9_10device_ptrIxEEEESE_xNS9_4plusIxEExEEDaPvRmT3_T4_T5_mT6_P12ihipStream_tbENKUlT_T0_E_clISt17integral_constantIbLb1EEST_IbLb0EEEEDaSP_SQ_EUlSP_E_NS1_11comp_targetILNS1_3genE10ELNS1_11target_archE1200ELNS1_3gpuE4ELNS1_3repE0EEENS1_30default_config_static_selectorELNS0_4arch9wavefront6targetE1EEEvT1_
		.amdhsa_group_segment_fixed_size 0
		.amdhsa_private_segment_fixed_size 0
		.amdhsa_kernarg_size 104
		.amdhsa_user_sgpr_count 6
		.amdhsa_user_sgpr_private_segment_buffer 1
		.amdhsa_user_sgpr_dispatch_ptr 0
		.amdhsa_user_sgpr_queue_ptr 0
		.amdhsa_user_sgpr_kernarg_segment_ptr 1
		.amdhsa_user_sgpr_dispatch_id 0
		.amdhsa_user_sgpr_flat_scratch_init 0
		.amdhsa_user_sgpr_kernarg_preload_length 0
		.amdhsa_user_sgpr_kernarg_preload_offset 0
		.amdhsa_user_sgpr_private_segment_size 0
		.amdhsa_uses_dynamic_stack 0
		.amdhsa_system_sgpr_private_segment_wavefront_offset 0
		.amdhsa_system_sgpr_workgroup_id_x 1
		.amdhsa_system_sgpr_workgroup_id_y 0
		.amdhsa_system_sgpr_workgroup_id_z 0
		.amdhsa_system_sgpr_workgroup_info 0
		.amdhsa_system_vgpr_workitem_id 0
		.amdhsa_next_free_vgpr 1
		.amdhsa_next_free_sgpr 0
		.amdhsa_accum_offset 4
		.amdhsa_reserve_vcc 0
		.amdhsa_reserve_flat_scratch 0
		.amdhsa_float_round_mode_32 0
		.amdhsa_float_round_mode_16_64 0
		.amdhsa_float_denorm_mode_32 3
		.amdhsa_float_denorm_mode_16_64 3
		.amdhsa_dx10_clamp 1
		.amdhsa_ieee_mode 1
		.amdhsa_fp16_overflow 0
		.amdhsa_tg_split 0
		.amdhsa_exception_fp_ieee_invalid_op 0
		.amdhsa_exception_fp_denorm_src 0
		.amdhsa_exception_fp_ieee_div_zero 0
		.amdhsa_exception_fp_ieee_overflow 0
		.amdhsa_exception_fp_ieee_underflow 0
		.amdhsa_exception_fp_ieee_inexact 0
		.amdhsa_exception_int_div_zero 0
	.end_amdhsa_kernel
	.section	.text._ZN7rocprim17ROCPRIM_400000_NS6detail17trampoline_kernelINS0_14default_configENS1_20scan_config_selectorIxEEZZNS1_9scan_implILNS1_25lookback_scan_determinismE0ELb0ELb1ES3_N6thrust23THRUST_200600_302600_NS6detail15normal_iteratorINS9_10device_ptrIxEEEESE_xNS9_4plusIxEExEEDaPvRmT3_T4_T5_mT6_P12ihipStream_tbENKUlT_T0_E_clISt17integral_constantIbLb1EEST_IbLb0EEEEDaSP_SQ_EUlSP_E_NS1_11comp_targetILNS1_3genE10ELNS1_11target_archE1200ELNS1_3gpuE4ELNS1_3repE0EEENS1_30default_config_static_selectorELNS0_4arch9wavefront6targetE1EEEvT1_,"axG",@progbits,_ZN7rocprim17ROCPRIM_400000_NS6detail17trampoline_kernelINS0_14default_configENS1_20scan_config_selectorIxEEZZNS1_9scan_implILNS1_25lookback_scan_determinismE0ELb0ELb1ES3_N6thrust23THRUST_200600_302600_NS6detail15normal_iteratorINS9_10device_ptrIxEEEESE_xNS9_4plusIxEExEEDaPvRmT3_T4_T5_mT6_P12ihipStream_tbENKUlT_T0_E_clISt17integral_constantIbLb1EEST_IbLb0EEEEDaSP_SQ_EUlSP_E_NS1_11comp_targetILNS1_3genE10ELNS1_11target_archE1200ELNS1_3gpuE4ELNS1_3repE0EEENS1_30default_config_static_selectorELNS0_4arch9wavefront6targetE1EEEvT1_,comdat
.Lfunc_end456:
	.size	_ZN7rocprim17ROCPRIM_400000_NS6detail17trampoline_kernelINS0_14default_configENS1_20scan_config_selectorIxEEZZNS1_9scan_implILNS1_25lookback_scan_determinismE0ELb0ELb1ES3_N6thrust23THRUST_200600_302600_NS6detail15normal_iteratorINS9_10device_ptrIxEEEESE_xNS9_4plusIxEExEEDaPvRmT3_T4_T5_mT6_P12ihipStream_tbENKUlT_T0_E_clISt17integral_constantIbLb1EEST_IbLb0EEEEDaSP_SQ_EUlSP_E_NS1_11comp_targetILNS1_3genE10ELNS1_11target_archE1200ELNS1_3gpuE4ELNS1_3repE0EEENS1_30default_config_static_selectorELNS0_4arch9wavefront6targetE1EEEvT1_, .Lfunc_end456-_ZN7rocprim17ROCPRIM_400000_NS6detail17trampoline_kernelINS0_14default_configENS1_20scan_config_selectorIxEEZZNS1_9scan_implILNS1_25lookback_scan_determinismE0ELb0ELb1ES3_N6thrust23THRUST_200600_302600_NS6detail15normal_iteratorINS9_10device_ptrIxEEEESE_xNS9_4plusIxEExEEDaPvRmT3_T4_T5_mT6_P12ihipStream_tbENKUlT_T0_E_clISt17integral_constantIbLb1EEST_IbLb0EEEEDaSP_SQ_EUlSP_E_NS1_11comp_targetILNS1_3genE10ELNS1_11target_archE1200ELNS1_3gpuE4ELNS1_3repE0EEENS1_30default_config_static_selectorELNS0_4arch9wavefront6targetE1EEEvT1_
                                        ; -- End function
	.section	.AMDGPU.csdata,"",@progbits
; Kernel info:
; codeLenInByte = 0
; NumSgprs: 4
; NumVgprs: 0
; NumAgprs: 0
; TotalNumVgprs: 0
; ScratchSize: 0
; MemoryBound: 0
; FloatMode: 240
; IeeeMode: 1
; LDSByteSize: 0 bytes/workgroup (compile time only)
; SGPRBlocks: 0
; VGPRBlocks: 0
; NumSGPRsForWavesPerEU: 4
; NumVGPRsForWavesPerEU: 1
; AccumOffset: 4
; Occupancy: 8
; WaveLimiterHint : 0
; COMPUTE_PGM_RSRC2:SCRATCH_EN: 0
; COMPUTE_PGM_RSRC2:USER_SGPR: 6
; COMPUTE_PGM_RSRC2:TRAP_HANDLER: 0
; COMPUTE_PGM_RSRC2:TGID_X_EN: 1
; COMPUTE_PGM_RSRC2:TGID_Y_EN: 0
; COMPUTE_PGM_RSRC2:TGID_Z_EN: 0
; COMPUTE_PGM_RSRC2:TIDIG_COMP_CNT: 0
; COMPUTE_PGM_RSRC3_GFX90A:ACCUM_OFFSET: 0
; COMPUTE_PGM_RSRC3_GFX90A:TG_SPLIT: 0
	.section	.text._ZN7rocprim17ROCPRIM_400000_NS6detail17trampoline_kernelINS0_14default_configENS1_20scan_config_selectorIxEEZZNS1_9scan_implILNS1_25lookback_scan_determinismE0ELb0ELb1ES3_N6thrust23THRUST_200600_302600_NS6detail15normal_iteratorINS9_10device_ptrIxEEEESE_xNS9_4plusIxEExEEDaPvRmT3_T4_T5_mT6_P12ihipStream_tbENKUlT_T0_E_clISt17integral_constantIbLb1EEST_IbLb0EEEEDaSP_SQ_EUlSP_E_NS1_11comp_targetILNS1_3genE9ELNS1_11target_archE1100ELNS1_3gpuE3ELNS1_3repE0EEENS1_30default_config_static_selectorELNS0_4arch9wavefront6targetE1EEEvT1_,"axG",@progbits,_ZN7rocprim17ROCPRIM_400000_NS6detail17trampoline_kernelINS0_14default_configENS1_20scan_config_selectorIxEEZZNS1_9scan_implILNS1_25lookback_scan_determinismE0ELb0ELb1ES3_N6thrust23THRUST_200600_302600_NS6detail15normal_iteratorINS9_10device_ptrIxEEEESE_xNS9_4plusIxEExEEDaPvRmT3_T4_T5_mT6_P12ihipStream_tbENKUlT_T0_E_clISt17integral_constantIbLb1EEST_IbLb0EEEEDaSP_SQ_EUlSP_E_NS1_11comp_targetILNS1_3genE9ELNS1_11target_archE1100ELNS1_3gpuE3ELNS1_3repE0EEENS1_30default_config_static_selectorELNS0_4arch9wavefront6targetE1EEEvT1_,comdat
	.protected	_ZN7rocprim17ROCPRIM_400000_NS6detail17trampoline_kernelINS0_14default_configENS1_20scan_config_selectorIxEEZZNS1_9scan_implILNS1_25lookback_scan_determinismE0ELb0ELb1ES3_N6thrust23THRUST_200600_302600_NS6detail15normal_iteratorINS9_10device_ptrIxEEEESE_xNS9_4plusIxEExEEDaPvRmT3_T4_T5_mT6_P12ihipStream_tbENKUlT_T0_E_clISt17integral_constantIbLb1EEST_IbLb0EEEEDaSP_SQ_EUlSP_E_NS1_11comp_targetILNS1_3genE9ELNS1_11target_archE1100ELNS1_3gpuE3ELNS1_3repE0EEENS1_30default_config_static_selectorELNS0_4arch9wavefront6targetE1EEEvT1_ ; -- Begin function _ZN7rocprim17ROCPRIM_400000_NS6detail17trampoline_kernelINS0_14default_configENS1_20scan_config_selectorIxEEZZNS1_9scan_implILNS1_25lookback_scan_determinismE0ELb0ELb1ES3_N6thrust23THRUST_200600_302600_NS6detail15normal_iteratorINS9_10device_ptrIxEEEESE_xNS9_4plusIxEExEEDaPvRmT3_T4_T5_mT6_P12ihipStream_tbENKUlT_T0_E_clISt17integral_constantIbLb1EEST_IbLb0EEEEDaSP_SQ_EUlSP_E_NS1_11comp_targetILNS1_3genE9ELNS1_11target_archE1100ELNS1_3gpuE3ELNS1_3repE0EEENS1_30default_config_static_selectorELNS0_4arch9wavefront6targetE1EEEvT1_
	.globl	_ZN7rocprim17ROCPRIM_400000_NS6detail17trampoline_kernelINS0_14default_configENS1_20scan_config_selectorIxEEZZNS1_9scan_implILNS1_25lookback_scan_determinismE0ELb0ELb1ES3_N6thrust23THRUST_200600_302600_NS6detail15normal_iteratorINS9_10device_ptrIxEEEESE_xNS9_4plusIxEExEEDaPvRmT3_T4_T5_mT6_P12ihipStream_tbENKUlT_T0_E_clISt17integral_constantIbLb1EEST_IbLb0EEEEDaSP_SQ_EUlSP_E_NS1_11comp_targetILNS1_3genE9ELNS1_11target_archE1100ELNS1_3gpuE3ELNS1_3repE0EEENS1_30default_config_static_selectorELNS0_4arch9wavefront6targetE1EEEvT1_
	.p2align	8
	.type	_ZN7rocprim17ROCPRIM_400000_NS6detail17trampoline_kernelINS0_14default_configENS1_20scan_config_selectorIxEEZZNS1_9scan_implILNS1_25lookback_scan_determinismE0ELb0ELb1ES3_N6thrust23THRUST_200600_302600_NS6detail15normal_iteratorINS9_10device_ptrIxEEEESE_xNS9_4plusIxEExEEDaPvRmT3_T4_T5_mT6_P12ihipStream_tbENKUlT_T0_E_clISt17integral_constantIbLb1EEST_IbLb0EEEEDaSP_SQ_EUlSP_E_NS1_11comp_targetILNS1_3genE9ELNS1_11target_archE1100ELNS1_3gpuE3ELNS1_3repE0EEENS1_30default_config_static_selectorELNS0_4arch9wavefront6targetE1EEEvT1_,@function
_ZN7rocprim17ROCPRIM_400000_NS6detail17trampoline_kernelINS0_14default_configENS1_20scan_config_selectorIxEEZZNS1_9scan_implILNS1_25lookback_scan_determinismE0ELb0ELb1ES3_N6thrust23THRUST_200600_302600_NS6detail15normal_iteratorINS9_10device_ptrIxEEEESE_xNS9_4plusIxEExEEDaPvRmT3_T4_T5_mT6_P12ihipStream_tbENKUlT_T0_E_clISt17integral_constantIbLb1EEST_IbLb0EEEEDaSP_SQ_EUlSP_E_NS1_11comp_targetILNS1_3genE9ELNS1_11target_archE1100ELNS1_3gpuE3ELNS1_3repE0EEENS1_30default_config_static_selectorELNS0_4arch9wavefront6targetE1EEEvT1_: ; @_ZN7rocprim17ROCPRIM_400000_NS6detail17trampoline_kernelINS0_14default_configENS1_20scan_config_selectorIxEEZZNS1_9scan_implILNS1_25lookback_scan_determinismE0ELb0ELb1ES3_N6thrust23THRUST_200600_302600_NS6detail15normal_iteratorINS9_10device_ptrIxEEEESE_xNS9_4plusIxEExEEDaPvRmT3_T4_T5_mT6_P12ihipStream_tbENKUlT_T0_E_clISt17integral_constantIbLb1EEST_IbLb0EEEEDaSP_SQ_EUlSP_E_NS1_11comp_targetILNS1_3genE9ELNS1_11target_archE1100ELNS1_3gpuE3ELNS1_3repE0EEENS1_30default_config_static_selectorELNS0_4arch9wavefront6targetE1EEEvT1_
; %bb.0:
	.section	.rodata,"a",@progbits
	.p2align	6, 0x0
	.amdhsa_kernel _ZN7rocprim17ROCPRIM_400000_NS6detail17trampoline_kernelINS0_14default_configENS1_20scan_config_selectorIxEEZZNS1_9scan_implILNS1_25lookback_scan_determinismE0ELb0ELb1ES3_N6thrust23THRUST_200600_302600_NS6detail15normal_iteratorINS9_10device_ptrIxEEEESE_xNS9_4plusIxEExEEDaPvRmT3_T4_T5_mT6_P12ihipStream_tbENKUlT_T0_E_clISt17integral_constantIbLb1EEST_IbLb0EEEEDaSP_SQ_EUlSP_E_NS1_11comp_targetILNS1_3genE9ELNS1_11target_archE1100ELNS1_3gpuE3ELNS1_3repE0EEENS1_30default_config_static_selectorELNS0_4arch9wavefront6targetE1EEEvT1_
		.amdhsa_group_segment_fixed_size 0
		.amdhsa_private_segment_fixed_size 0
		.amdhsa_kernarg_size 104
		.amdhsa_user_sgpr_count 6
		.amdhsa_user_sgpr_private_segment_buffer 1
		.amdhsa_user_sgpr_dispatch_ptr 0
		.amdhsa_user_sgpr_queue_ptr 0
		.amdhsa_user_sgpr_kernarg_segment_ptr 1
		.amdhsa_user_sgpr_dispatch_id 0
		.amdhsa_user_sgpr_flat_scratch_init 0
		.amdhsa_user_sgpr_kernarg_preload_length 0
		.amdhsa_user_sgpr_kernarg_preload_offset 0
		.amdhsa_user_sgpr_private_segment_size 0
		.amdhsa_uses_dynamic_stack 0
		.amdhsa_system_sgpr_private_segment_wavefront_offset 0
		.amdhsa_system_sgpr_workgroup_id_x 1
		.amdhsa_system_sgpr_workgroup_id_y 0
		.amdhsa_system_sgpr_workgroup_id_z 0
		.amdhsa_system_sgpr_workgroup_info 0
		.amdhsa_system_vgpr_workitem_id 0
		.amdhsa_next_free_vgpr 1
		.amdhsa_next_free_sgpr 0
		.amdhsa_accum_offset 4
		.amdhsa_reserve_vcc 0
		.amdhsa_reserve_flat_scratch 0
		.amdhsa_float_round_mode_32 0
		.amdhsa_float_round_mode_16_64 0
		.amdhsa_float_denorm_mode_32 3
		.amdhsa_float_denorm_mode_16_64 3
		.amdhsa_dx10_clamp 1
		.amdhsa_ieee_mode 1
		.amdhsa_fp16_overflow 0
		.amdhsa_tg_split 0
		.amdhsa_exception_fp_ieee_invalid_op 0
		.amdhsa_exception_fp_denorm_src 0
		.amdhsa_exception_fp_ieee_div_zero 0
		.amdhsa_exception_fp_ieee_overflow 0
		.amdhsa_exception_fp_ieee_underflow 0
		.amdhsa_exception_fp_ieee_inexact 0
		.amdhsa_exception_int_div_zero 0
	.end_amdhsa_kernel
	.section	.text._ZN7rocprim17ROCPRIM_400000_NS6detail17trampoline_kernelINS0_14default_configENS1_20scan_config_selectorIxEEZZNS1_9scan_implILNS1_25lookback_scan_determinismE0ELb0ELb1ES3_N6thrust23THRUST_200600_302600_NS6detail15normal_iteratorINS9_10device_ptrIxEEEESE_xNS9_4plusIxEExEEDaPvRmT3_T4_T5_mT6_P12ihipStream_tbENKUlT_T0_E_clISt17integral_constantIbLb1EEST_IbLb0EEEEDaSP_SQ_EUlSP_E_NS1_11comp_targetILNS1_3genE9ELNS1_11target_archE1100ELNS1_3gpuE3ELNS1_3repE0EEENS1_30default_config_static_selectorELNS0_4arch9wavefront6targetE1EEEvT1_,"axG",@progbits,_ZN7rocprim17ROCPRIM_400000_NS6detail17trampoline_kernelINS0_14default_configENS1_20scan_config_selectorIxEEZZNS1_9scan_implILNS1_25lookback_scan_determinismE0ELb0ELb1ES3_N6thrust23THRUST_200600_302600_NS6detail15normal_iteratorINS9_10device_ptrIxEEEESE_xNS9_4plusIxEExEEDaPvRmT3_T4_T5_mT6_P12ihipStream_tbENKUlT_T0_E_clISt17integral_constantIbLb1EEST_IbLb0EEEEDaSP_SQ_EUlSP_E_NS1_11comp_targetILNS1_3genE9ELNS1_11target_archE1100ELNS1_3gpuE3ELNS1_3repE0EEENS1_30default_config_static_selectorELNS0_4arch9wavefront6targetE1EEEvT1_,comdat
.Lfunc_end457:
	.size	_ZN7rocprim17ROCPRIM_400000_NS6detail17trampoline_kernelINS0_14default_configENS1_20scan_config_selectorIxEEZZNS1_9scan_implILNS1_25lookback_scan_determinismE0ELb0ELb1ES3_N6thrust23THRUST_200600_302600_NS6detail15normal_iteratorINS9_10device_ptrIxEEEESE_xNS9_4plusIxEExEEDaPvRmT3_T4_T5_mT6_P12ihipStream_tbENKUlT_T0_E_clISt17integral_constantIbLb1EEST_IbLb0EEEEDaSP_SQ_EUlSP_E_NS1_11comp_targetILNS1_3genE9ELNS1_11target_archE1100ELNS1_3gpuE3ELNS1_3repE0EEENS1_30default_config_static_selectorELNS0_4arch9wavefront6targetE1EEEvT1_, .Lfunc_end457-_ZN7rocprim17ROCPRIM_400000_NS6detail17trampoline_kernelINS0_14default_configENS1_20scan_config_selectorIxEEZZNS1_9scan_implILNS1_25lookback_scan_determinismE0ELb0ELb1ES3_N6thrust23THRUST_200600_302600_NS6detail15normal_iteratorINS9_10device_ptrIxEEEESE_xNS9_4plusIxEExEEDaPvRmT3_T4_T5_mT6_P12ihipStream_tbENKUlT_T0_E_clISt17integral_constantIbLb1EEST_IbLb0EEEEDaSP_SQ_EUlSP_E_NS1_11comp_targetILNS1_3genE9ELNS1_11target_archE1100ELNS1_3gpuE3ELNS1_3repE0EEENS1_30default_config_static_selectorELNS0_4arch9wavefront6targetE1EEEvT1_
                                        ; -- End function
	.section	.AMDGPU.csdata,"",@progbits
; Kernel info:
; codeLenInByte = 0
; NumSgprs: 4
; NumVgprs: 0
; NumAgprs: 0
; TotalNumVgprs: 0
; ScratchSize: 0
; MemoryBound: 0
; FloatMode: 240
; IeeeMode: 1
; LDSByteSize: 0 bytes/workgroup (compile time only)
; SGPRBlocks: 0
; VGPRBlocks: 0
; NumSGPRsForWavesPerEU: 4
; NumVGPRsForWavesPerEU: 1
; AccumOffset: 4
; Occupancy: 8
; WaveLimiterHint : 0
; COMPUTE_PGM_RSRC2:SCRATCH_EN: 0
; COMPUTE_PGM_RSRC2:USER_SGPR: 6
; COMPUTE_PGM_RSRC2:TRAP_HANDLER: 0
; COMPUTE_PGM_RSRC2:TGID_X_EN: 1
; COMPUTE_PGM_RSRC2:TGID_Y_EN: 0
; COMPUTE_PGM_RSRC2:TGID_Z_EN: 0
; COMPUTE_PGM_RSRC2:TIDIG_COMP_CNT: 0
; COMPUTE_PGM_RSRC3_GFX90A:ACCUM_OFFSET: 0
; COMPUTE_PGM_RSRC3_GFX90A:TG_SPLIT: 0
	.section	.text._ZN7rocprim17ROCPRIM_400000_NS6detail17trampoline_kernelINS0_14default_configENS1_20scan_config_selectorIxEEZZNS1_9scan_implILNS1_25lookback_scan_determinismE0ELb0ELb1ES3_N6thrust23THRUST_200600_302600_NS6detail15normal_iteratorINS9_10device_ptrIxEEEESE_xNS9_4plusIxEExEEDaPvRmT3_T4_T5_mT6_P12ihipStream_tbENKUlT_T0_E_clISt17integral_constantIbLb1EEST_IbLb0EEEEDaSP_SQ_EUlSP_E_NS1_11comp_targetILNS1_3genE8ELNS1_11target_archE1030ELNS1_3gpuE2ELNS1_3repE0EEENS1_30default_config_static_selectorELNS0_4arch9wavefront6targetE1EEEvT1_,"axG",@progbits,_ZN7rocprim17ROCPRIM_400000_NS6detail17trampoline_kernelINS0_14default_configENS1_20scan_config_selectorIxEEZZNS1_9scan_implILNS1_25lookback_scan_determinismE0ELb0ELb1ES3_N6thrust23THRUST_200600_302600_NS6detail15normal_iteratorINS9_10device_ptrIxEEEESE_xNS9_4plusIxEExEEDaPvRmT3_T4_T5_mT6_P12ihipStream_tbENKUlT_T0_E_clISt17integral_constantIbLb1EEST_IbLb0EEEEDaSP_SQ_EUlSP_E_NS1_11comp_targetILNS1_3genE8ELNS1_11target_archE1030ELNS1_3gpuE2ELNS1_3repE0EEENS1_30default_config_static_selectorELNS0_4arch9wavefront6targetE1EEEvT1_,comdat
	.protected	_ZN7rocprim17ROCPRIM_400000_NS6detail17trampoline_kernelINS0_14default_configENS1_20scan_config_selectorIxEEZZNS1_9scan_implILNS1_25lookback_scan_determinismE0ELb0ELb1ES3_N6thrust23THRUST_200600_302600_NS6detail15normal_iteratorINS9_10device_ptrIxEEEESE_xNS9_4plusIxEExEEDaPvRmT3_T4_T5_mT6_P12ihipStream_tbENKUlT_T0_E_clISt17integral_constantIbLb1EEST_IbLb0EEEEDaSP_SQ_EUlSP_E_NS1_11comp_targetILNS1_3genE8ELNS1_11target_archE1030ELNS1_3gpuE2ELNS1_3repE0EEENS1_30default_config_static_selectorELNS0_4arch9wavefront6targetE1EEEvT1_ ; -- Begin function _ZN7rocprim17ROCPRIM_400000_NS6detail17trampoline_kernelINS0_14default_configENS1_20scan_config_selectorIxEEZZNS1_9scan_implILNS1_25lookback_scan_determinismE0ELb0ELb1ES3_N6thrust23THRUST_200600_302600_NS6detail15normal_iteratorINS9_10device_ptrIxEEEESE_xNS9_4plusIxEExEEDaPvRmT3_T4_T5_mT6_P12ihipStream_tbENKUlT_T0_E_clISt17integral_constantIbLb1EEST_IbLb0EEEEDaSP_SQ_EUlSP_E_NS1_11comp_targetILNS1_3genE8ELNS1_11target_archE1030ELNS1_3gpuE2ELNS1_3repE0EEENS1_30default_config_static_selectorELNS0_4arch9wavefront6targetE1EEEvT1_
	.globl	_ZN7rocprim17ROCPRIM_400000_NS6detail17trampoline_kernelINS0_14default_configENS1_20scan_config_selectorIxEEZZNS1_9scan_implILNS1_25lookback_scan_determinismE0ELb0ELb1ES3_N6thrust23THRUST_200600_302600_NS6detail15normal_iteratorINS9_10device_ptrIxEEEESE_xNS9_4plusIxEExEEDaPvRmT3_T4_T5_mT6_P12ihipStream_tbENKUlT_T0_E_clISt17integral_constantIbLb1EEST_IbLb0EEEEDaSP_SQ_EUlSP_E_NS1_11comp_targetILNS1_3genE8ELNS1_11target_archE1030ELNS1_3gpuE2ELNS1_3repE0EEENS1_30default_config_static_selectorELNS0_4arch9wavefront6targetE1EEEvT1_
	.p2align	8
	.type	_ZN7rocprim17ROCPRIM_400000_NS6detail17trampoline_kernelINS0_14default_configENS1_20scan_config_selectorIxEEZZNS1_9scan_implILNS1_25lookback_scan_determinismE0ELb0ELb1ES3_N6thrust23THRUST_200600_302600_NS6detail15normal_iteratorINS9_10device_ptrIxEEEESE_xNS9_4plusIxEExEEDaPvRmT3_T4_T5_mT6_P12ihipStream_tbENKUlT_T0_E_clISt17integral_constantIbLb1EEST_IbLb0EEEEDaSP_SQ_EUlSP_E_NS1_11comp_targetILNS1_3genE8ELNS1_11target_archE1030ELNS1_3gpuE2ELNS1_3repE0EEENS1_30default_config_static_selectorELNS0_4arch9wavefront6targetE1EEEvT1_,@function
_ZN7rocprim17ROCPRIM_400000_NS6detail17trampoline_kernelINS0_14default_configENS1_20scan_config_selectorIxEEZZNS1_9scan_implILNS1_25lookback_scan_determinismE0ELb0ELb1ES3_N6thrust23THRUST_200600_302600_NS6detail15normal_iteratorINS9_10device_ptrIxEEEESE_xNS9_4plusIxEExEEDaPvRmT3_T4_T5_mT6_P12ihipStream_tbENKUlT_T0_E_clISt17integral_constantIbLb1EEST_IbLb0EEEEDaSP_SQ_EUlSP_E_NS1_11comp_targetILNS1_3genE8ELNS1_11target_archE1030ELNS1_3gpuE2ELNS1_3repE0EEENS1_30default_config_static_selectorELNS0_4arch9wavefront6targetE1EEEvT1_: ; @_ZN7rocprim17ROCPRIM_400000_NS6detail17trampoline_kernelINS0_14default_configENS1_20scan_config_selectorIxEEZZNS1_9scan_implILNS1_25lookback_scan_determinismE0ELb0ELb1ES3_N6thrust23THRUST_200600_302600_NS6detail15normal_iteratorINS9_10device_ptrIxEEEESE_xNS9_4plusIxEExEEDaPvRmT3_T4_T5_mT6_P12ihipStream_tbENKUlT_T0_E_clISt17integral_constantIbLb1EEST_IbLb0EEEEDaSP_SQ_EUlSP_E_NS1_11comp_targetILNS1_3genE8ELNS1_11target_archE1030ELNS1_3gpuE2ELNS1_3repE0EEENS1_30default_config_static_selectorELNS0_4arch9wavefront6targetE1EEEvT1_
; %bb.0:
	.section	.rodata,"a",@progbits
	.p2align	6, 0x0
	.amdhsa_kernel _ZN7rocprim17ROCPRIM_400000_NS6detail17trampoline_kernelINS0_14default_configENS1_20scan_config_selectorIxEEZZNS1_9scan_implILNS1_25lookback_scan_determinismE0ELb0ELb1ES3_N6thrust23THRUST_200600_302600_NS6detail15normal_iteratorINS9_10device_ptrIxEEEESE_xNS9_4plusIxEExEEDaPvRmT3_T4_T5_mT6_P12ihipStream_tbENKUlT_T0_E_clISt17integral_constantIbLb1EEST_IbLb0EEEEDaSP_SQ_EUlSP_E_NS1_11comp_targetILNS1_3genE8ELNS1_11target_archE1030ELNS1_3gpuE2ELNS1_3repE0EEENS1_30default_config_static_selectorELNS0_4arch9wavefront6targetE1EEEvT1_
		.amdhsa_group_segment_fixed_size 0
		.amdhsa_private_segment_fixed_size 0
		.amdhsa_kernarg_size 104
		.amdhsa_user_sgpr_count 6
		.amdhsa_user_sgpr_private_segment_buffer 1
		.amdhsa_user_sgpr_dispatch_ptr 0
		.amdhsa_user_sgpr_queue_ptr 0
		.amdhsa_user_sgpr_kernarg_segment_ptr 1
		.amdhsa_user_sgpr_dispatch_id 0
		.amdhsa_user_sgpr_flat_scratch_init 0
		.amdhsa_user_sgpr_kernarg_preload_length 0
		.amdhsa_user_sgpr_kernarg_preload_offset 0
		.amdhsa_user_sgpr_private_segment_size 0
		.amdhsa_uses_dynamic_stack 0
		.amdhsa_system_sgpr_private_segment_wavefront_offset 0
		.amdhsa_system_sgpr_workgroup_id_x 1
		.amdhsa_system_sgpr_workgroup_id_y 0
		.amdhsa_system_sgpr_workgroup_id_z 0
		.amdhsa_system_sgpr_workgroup_info 0
		.amdhsa_system_vgpr_workitem_id 0
		.amdhsa_next_free_vgpr 1
		.amdhsa_next_free_sgpr 0
		.amdhsa_accum_offset 4
		.amdhsa_reserve_vcc 0
		.amdhsa_reserve_flat_scratch 0
		.amdhsa_float_round_mode_32 0
		.amdhsa_float_round_mode_16_64 0
		.amdhsa_float_denorm_mode_32 3
		.amdhsa_float_denorm_mode_16_64 3
		.amdhsa_dx10_clamp 1
		.amdhsa_ieee_mode 1
		.amdhsa_fp16_overflow 0
		.amdhsa_tg_split 0
		.amdhsa_exception_fp_ieee_invalid_op 0
		.amdhsa_exception_fp_denorm_src 0
		.amdhsa_exception_fp_ieee_div_zero 0
		.amdhsa_exception_fp_ieee_overflow 0
		.amdhsa_exception_fp_ieee_underflow 0
		.amdhsa_exception_fp_ieee_inexact 0
		.amdhsa_exception_int_div_zero 0
	.end_amdhsa_kernel
	.section	.text._ZN7rocprim17ROCPRIM_400000_NS6detail17trampoline_kernelINS0_14default_configENS1_20scan_config_selectorIxEEZZNS1_9scan_implILNS1_25lookback_scan_determinismE0ELb0ELb1ES3_N6thrust23THRUST_200600_302600_NS6detail15normal_iteratorINS9_10device_ptrIxEEEESE_xNS9_4plusIxEExEEDaPvRmT3_T4_T5_mT6_P12ihipStream_tbENKUlT_T0_E_clISt17integral_constantIbLb1EEST_IbLb0EEEEDaSP_SQ_EUlSP_E_NS1_11comp_targetILNS1_3genE8ELNS1_11target_archE1030ELNS1_3gpuE2ELNS1_3repE0EEENS1_30default_config_static_selectorELNS0_4arch9wavefront6targetE1EEEvT1_,"axG",@progbits,_ZN7rocprim17ROCPRIM_400000_NS6detail17trampoline_kernelINS0_14default_configENS1_20scan_config_selectorIxEEZZNS1_9scan_implILNS1_25lookback_scan_determinismE0ELb0ELb1ES3_N6thrust23THRUST_200600_302600_NS6detail15normal_iteratorINS9_10device_ptrIxEEEESE_xNS9_4plusIxEExEEDaPvRmT3_T4_T5_mT6_P12ihipStream_tbENKUlT_T0_E_clISt17integral_constantIbLb1EEST_IbLb0EEEEDaSP_SQ_EUlSP_E_NS1_11comp_targetILNS1_3genE8ELNS1_11target_archE1030ELNS1_3gpuE2ELNS1_3repE0EEENS1_30default_config_static_selectorELNS0_4arch9wavefront6targetE1EEEvT1_,comdat
.Lfunc_end458:
	.size	_ZN7rocprim17ROCPRIM_400000_NS6detail17trampoline_kernelINS0_14default_configENS1_20scan_config_selectorIxEEZZNS1_9scan_implILNS1_25lookback_scan_determinismE0ELb0ELb1ES3_N6thrust23THRUST_200600_302600_NS6detail15normal_iteratorINS9_10device_ptrIxEEEESE_xNS9_4plusIxEExEEDaPvRmT3_T4_T5_mT6_P12ihipStream_tbENKUlT_T0_E_clISt17integral_constantIbLb1EEST_IbLb0EEEEDaSP_SQ_EUlSP_E_NS1_11comp_targetILNS1_3genE8ELNS1_11target_archE1030ELNS1_3gpuE2ELNS1_3repE0EEENS1_30default_config_static_selectorELNS0_4arch9wavefront6targetE1EEEvT1_, .Lfunc_end458-_ZN7rocprim17ROCPRIM_400000_NS6detail17trampoline_kernelINS0_14default_configENS1_20scan_config_selectorIxEEZZNS1_9scan_implILNS1_25lookback_scan_determinismE0ELb0ELb1ES3_N6thrust23THRUST_200600_302600_NS6detail15normal_iteratorINS9_10device_ptrIxEEEESE_xNS9_4plusIxEExEEDaPvRmT3_T4_T5_mT6_P12ihipStream_tbENKUlT_T0_E_clISt17integral_constantIbLb1EEST_IbLb0EEEEDaSP_SQ_EUlSP_E_NS1_11comp_targetILNS1_3genE8ELNS1_11target_archE1030ELNS1_3gpuE2ELNS1_3repE0EEENS1_30default_config_static_selectorELNS0_4arch9wavefront6targetE1EEEvT1_
                                        ; -- End function
	.section	.AMDGPU.csdata,"",@progbits
; Kernel info:
; codeLenInByte = 0
; NumSgprs: 4
; NumVgprs: 0
; NumAgprs: 0
; TotalNumVgprs: 0
; ScratchSize: 0
; MemoryBound: 0
; FloatMode: 240
; IeeeMode: 1
; LDSByteSize: 0 bytes/workgroup (compile time only)
; SGPRBlocks: 0
; VGPRBlocks: 0
; NumSGPRsForWavesPerEU: 4
; NumVGPRsForWavesPerEU: 1
; AccumOffset: 4
; Occupancy: 8
; WaveLimiterHint : 0
; COMPUTE_PGM_RSRC2:SCRATCH_EN: 0
; COMPUTE_PGM_RSRC2:USER_SGPR: 6
; COMPUTE_PGM_RSRC2:TRAP_HANDLER: 0
; COMPUTE_PGM_RSRC2:TGID_X_EN: 1
; COMPUTE_PGM_RSRC2:TGID_Y_EN: 0
; COMPUTE_PGM_RSRC2:TGID_Z_EN: 0
; COMPUTE_PGM_RSRC2:TIDIG_COMP_CNT: 0
; COMPUTE_PGM_RSRC3_GFX90A:ACCUM_OFFSET: 0
; COMPUTE_PGM_RSRC3_GFX90A:TG_SPLIT: 0
	.section	.text._ZN7rocprim17ROCPRIM_400000_NS6detail17trampoline_kernelINS0_14default_configENS1_20scan_config_selectorIxEEZZNS1_9scan_implILNS1_25lookback_scan_determinismE0ELb0ELb1ES3_N6thrust23THRUST_200600_302600_NS6detail15normal_iteratorINS9_10device_ptrIxEEEESE_xNS9_4plusIxEExEEDaPvRmT3_T4_T5_mT6_P12ihipStream_tbENKUlT_T0_E_clISt17integral_constantIbLb1EEST_IbLb0EEEEDaSP_SQ_EUlSP_E0_NS1_11comp_targetILNS1_3genE0ELNS1_11target_archE4294967295ELNS1_3gpuE0ELNS1_3repE0EEENS1_30default_config_static_selectorELNS0_4arch9wavefront6targetE1EEEvT1_,"axG",@progbits,_ZN7rocprim17ROCPRIM_400000_NS6detail17trampoline_kernelINS0_14default_configENS1_20scan_config_selectorIxEEZZNS1_9scan_implILNS1_25lookback_scan_determinismE0ELb0ELb1ES3_N6thrust23THRUST_200600_302600_NS6detail15normal_iteratorINS9_10device_ptrIxEEEESE_xNS9_4plusIxEExEEDaPvRmT3_T4_T5_mT6_P12ihipStream_tbENKUlT_T0_E_clISt17integral_constantIbLb1EEST_IbLb0EEEEDaSP_SQ_EUlSP_E0_NS1_11comp_targetILNS1_3genE0ELNS1_11target_archE4294967295ELNS1_3gpuE0ELNS1_3repE0EEENS1_30default_config_static_selectorELNS0_4arch9wavefront6targetE1EEEvT1_,comdat
	.protected	_ZN7rocprim17ROCPRIM_400000_NS6detail17trampoline_kernelINS0_14default_configENS1_20scan_config_selectorIxEEZZNS1_9scan_implILNS1_25lookback_scan_determinismE0ELb0ELb1ES3_N6thrust23THRUST_200600_302600_NS6detail15normal_iteratorINS9_10device_ptrIxEEEESE_xNS9_4plusIxEExEEDaPvRmT3_T4_T5_mT6_P12ihipStream_tbENKUlT_T0_E_clISt17integral_constantIbLb1EEST_IbLb0EEEEDaSP_SQ_EUlSP_E0_NS1_11comp_targetILNS1_3genE0ELNS1_11target_archE4294967295ELNS1_3gpuE0ELNS1_3repE0EEENS1_30default_config_static_selectorELNS0_4arch9wavefront6targetE1EEEvT1_ ; -- Begin function _ZN7rocprim17ROCPRIM_400000_NS6detail17trampoline_kernelINS0_14default_configENS1_20scan_config_selectorIxEEZZNS1_9scan_implILNS1_25lookback_scan_determinismE0ELb0ELb1ES3_N6thrust23THRUST_200600_302600_NS6detail15normal_iteratorINS9_10device_ptrIxEEEESE_xNS9_4plusIxEExEEDaPvRmT3_T4_T5_mT6_P12ihipStream_tbENKUlT_T0_E_clISt17integral_constantIbLb1EEST_IbLb0EEEEDaSP_SQ_EUlSP_E0_NS1_11comp_targetILNS1_3genE0ELNS1_11target_archE4294967295ELNS1_3gpuE0ELNS1_3repE0EEENS1_30default_config_static_selectorELNS0_4arch9wavefront6targetE1EEEvT1_
	.globl	_ZN7rocprim17ROCPRIM_400000_NS6detail17trampoline_kernelINS0_14default_configENS1_20scan_config_selectorIxEEZZNS1_9scan_implILNS1_25lookback_scan_determinismE0ELb0ELb1ES3_N6thrust23THRUST_200600_302600_NS6detail15normal_iteratorINS9_10device_ptrIxEEEESE_xNS9_4plusIxEExEEDaPvRmT3_T4_T5_mT6_P12ihipStream_tbENKUlT_T0_E_clISt17integral_constantIbLb1EEST_IbLb0EEEEDaSP_SQ_EUlSP_E0_NS1_11comp_targetILNS1_3genE0ELNS1_11target_archE4294967295ELNS1_3gpuE0ELNS1_3repE0EEENS1_30default_config_static_selectorELNS0_4arch9wavefront6targetE1EEEvT1_
	.p2align	8
	.type	_ZN7rocprim17ROCPRIM_400000_NS6detail17trampoline_kernelINS0_14default_configENS1_20scan_config_selectorIxEEZZNS1_9scan_implILNS1_25lookback_scan_determinismE0ELb0ELb1ES3_N6thrust23THRUST_200600_302600_NS6detail15normal_iteratorINS9_10device_ptrIxEEEESE_xNS9_4plusIxEExEEDaPvRmT3_T4_T5_mT6_P12ihipStream_tbENKUlT_T0_E_clISt17integral_constantIbLb1EEST_IbLb0EEEEDaSP_SQ_EUlSP_E0_NS1_11comp_targetILNS1_3genE0ELNS1_11target_archE4294967295ELNS1_3gpuE0ELNS1_3repE0EEENS1_30default_config_static_selectorELNS0_4arch9wavefront6targetE1EEEvT1_,@function
_ZN7rocprim17ROCPRIM_400000_NS6detail17trampoline_kernelINS0_14default_configENS1_20scan_config_selectorIxEEZZNS1_9scan_implILNS1_25lookback_scan_determinismE0ELb0ELb1ES3_N6thrust23THRUST_200600_302600_NS6detail15normal_iteratorINS9_10device_ptrIxEEEESE_xNS9_4plusIxEExEEDaPvRmT3_T4_T5_mT6_P12ihipStream_tbENKUlT_T0_E_clISt17integral_constantIbLb1EEST_IbLb0EEEEDaSP_SQ_EUlSP_E0_NS1_11comp_targetILNS1_3genE0ELNS1_11target_archE4294967295ELNS1_3gpuE0ELNS1_3repE0EEENS1_30default_config_static_selectorELNS0_4arch9wavefront6targetE1EEEvT1_: ; @_ZN7rocprim17ROCPRIM_400000_NS6detail17trampoline_kernelINS0_14default_configENS1_20scan_config_selectorIxEEZZNS1_9scan_implILNS1_25lookback_scan_determinismE0ELb0ELb1ES3_N6thrust23THRUST_200600_302600_NS6detail15normal_iteratorINS9_10device_ptrIxEEEESE_xNS9_4plusIxEExEEDaPvRmT3_T4_T5_mT6_P12ihipStream_tbENKUlT_T0_E_clISt17integral_constantIbLb1EEST_IbLb0EEEEDaSP_SQ_EUlSP_E0_NS1_11comp_targetILNS1_3genE0ELNS1_11target_archE4294967295ELNS1_3gpuE0ELNS1_3repE0EEENS1_30default_config_static_selectorELNS0_4arch9wavefront6targetE1EEEvT1_
; %bb.0:
	.section	.rodata,"a",@progbits
	.p2align	6, 0x0
	.amdhsa_kernel _ZN7rocprim17ROCPRIM_400000_NS6detail17trampoline_kernelINS0_14default_configENS1_20scan_config_selectorIxEEZZNS1_9scan_implILNS1_25lookback_scan_determinismE0ELb0ELb1ES3_N6thrust23THRUST_200600_302600_NS6detail15normal_iteratorINS9_10device_ptrIxEEEESE_xNS9_4plusIxEExEEDaPvRmT3_T4_T5_mT6_P12ihipStream_tbENKUlT_T0_E_clISt17integral_constantIbLb1EEST_IbLb0EEEEDaSP_SQ_EUlSP_E0_NS1_11comp_targetILNS1_3genE0ELNS1_11target_archE4294967295ELNS1_3gpuE0ELNS1_3repE0EEENS1_30default_config_static_selectorELNS0_4arch9wavefront6targetE1EEEvT1_
		.amdhsa_group_segment_fixed_size 0
		.amdhsa_private_segment_fixed_size 0
		.amdhsa_kernarg_size 40
		.amdhsa_user_sgpr_count 6
		.amdhsa_user_sgpr_private_segment_buffer 1
		.amdhsa_user_sgpr_dispatch_ptr 0
		.amdhsa_user_sgpr_queue_ptr 0
		.amdhsa_user_sgpr_kernarg_segment_ptr 1
		.amdhsa_user_sgpr_dispatch_id 0
		.amdhsa_user_sgpr_flat_scratch_init 0
		.amdhsa_user_sgpr_kernarg_preload_length 0
		.amdhsa_user_sgpr_kernarg_preload_offset 0
		.amdhsa_user_sgpr_private_segment_size 0
		.amdhsa_uses_dynamic_stack 0
		.amdhsa_system_sgpr_private_segment_wavefront_offset 0
		.amdhsa_system_sgpr_workgroup_id_x 1
		.amdhsa_system_sgpr_workgroup_id_y 0
		.amdhsa_system_sgpr_workgroup_id_z 0
		.amdhsa_system_sgpr_workgroup_info 0
		.amdhsa_system_vgpr_workitem_id 0
		.amdhsa_next_free_vgpr 1
		.amdhsa_next_free_sgpr 0
		.amdhsa_accum_offset 4
		.amdhsa_reserve_vcc 0
		.amdhsa_reserve_flat_scratch 0
		.amdhsa_float_round_mode_32 0
		.amdhsa_float_round_mode_16_64 0
		.amdhsa_float_denorm_mode_32 3
		.amdhsa_float_denorm_mode_16_64 3
		.amdhsa_dx10_clamp 1
		.amdhsa_ieee_mode 1
		.amdhsa_fp16_overflow 0
		.amdhsa_tg_split 0
		.amdhsa_exception_fp_ieee_invalid_op 0
		.amdhsa_exception_fp_denorm_src 0
		.amdhsa_exception_fp_ieee_div_zero 0
		.amdhsa_exception_fp_ieee_overflow 0
		.amdhsa_exception_fp_ieee_underflow 0
		.amdhsa_exception_fp_ieee_inexact 0
		.amdhsa_exception_int_div_zero 0
	.end_amdhsa_kernel
	.section	.text._ZN7rocprim17ROCPRIM_400000_NS6detail17trampoline_kernelINS0_14default_configENS1_20scan_config_selectorIxEEZZNS1_9scan_implILNS1_25lookback_scan_determinismE0ELb0ELb1ES3_N6thrust23THRUST_200600_302600_NS6detail15normal_iteratorINS9_10device_ptrIxEEEESE_xNS9_4plusIxEExEEDaPvRmT3_T4_T5_mT6_P12ihipStream_tbENKUlT_T0_E_clISt17integral_constantIbLb1EEST_IbLb0EEEEDaSP_SQ_EUlSP_E0_NS1_11comp_targetILNS1_3genE0ELNS1_11target_archE4294967295ELNS1_3gpuE0ELNS1_3repE0EEENS1_30default_config_static_selectorELNS0_4arch9wavefront6targetE1EEEvT1_,"axG",@progbits,_ZN7rocprim17ROCPRIM_400000_NS6detail17trampoline_kernelINS0_14default_configENS1_20scan_config_selectorIxEEZZNS1_9scan_implILNS1_25lookback_scan_determinismE0ELb0ELb1ES3_N6thrust23THRUST_200600_302600_NS6detail15normal_iteratorINS9_10device_ptrIxEEEESE_xNS9_4plusIxEExEEDaPvRmT3_T4_T5_mT6_P12ihipStream_tbENKUlT_T0_E_clISt17integral_constantIbLb1EEST_IbLb0EEEEDaSP_SQ_EUlSP_E0_NS1_11comp_targetILNS1_3genE0ELNS1_11target_archE4294967295ELNS1_3gpuE0ELNS1_3repE0EEENS1_30default_config_static_selectorELNS0_4arch9wavefront6targetE1EEEvT1_,comdat
.Lfunc_end459:
	.size	_ZN7rocprim17ROCPRIM_400000_NS6detail17trampoline_kernelINS0_14default_configENS1_20scan_config_selectorIxEEZZNS1_9scan_implILNS1_25lookback_scan_determinismE0ELb0ELb1ES3_N6thrust23THRUST_200600_302600_NS6detail15normal_iteratorINS9_10device_ptrIxEEEESE_xNS9_4plusIxEExEEDaPvRmT3_T4_T5_mT6_P12ihipStream_tbENKUlT_T0_E_clISt17integral_constantIbLb1EEST_IbLb0EEEEDaSP_SQ_EUlSP_E0_NS1_11comp_targetILNS1_3genE0ELNS1_11target_archE4294967295ELNS1_3gpuE0ELNS1_3repE0EEENS1_30default_config_static_selectorELNS0_4arch9wavefront6targetE1EEEvT1_, .Lfunc_end459-_ZN7rocprim17ROCPRIM_400000_NS6detail17trampoline_kernelINS0_14default_configENS1_20scan_config_selectorIxEEZZNS1_9scan_implILNS1_25lookback_scan_determinismE0ELb0ELb1ES3_N6thrust23THRUST_200600_302600_NS6detail15normal_iteratorINS9_10device_ptrIxEEEESE_xNS9_4plusIxEExEEDaPvRmT3_T4_T5_mT6_P12ihipStream_tbENKUlT_T0_E_clISt17integral_constantIbLb1EEST_IbLb0EEEEDaSP_SQ_EUlSP_E0_NS1_11comp_targetILNS1_3genE0ELNS1_11target_archE4294967295ELNS1_3gpuE0ELNS1_3repE0EEENS1_30default_config_static_selectorELNS0_4arch9wavefront6targetE1EEEvT1_
                                        ; -- End function
	.section	.AMDGPU.csdata,"",@progbits
; Kernel info:
; codeLenInByte = 0
; NumSgprs: 4
; NumVgprs: 0
; NumAgprs: 0
; TotalNumVgprs: 0
; ScratchSize: 0
; MemoryBound: 0
; FloatMode: 240
; IeeeMode: 1
; LDSByteSize: 0 bytes/workgroup (compile time only)
; SGPRBlocks: 0
; VGPRBlocks: 0
; NumSGPRsForWavesPerEU: 4
; NumVGPRsForWavesPerEU: 1
; AccumOffset: 4
; Occupancy: 8
; WaveLimiterHint : 0
; COMPUTE_PGM_RSRC2:SCRATCH_EN: 0
; COMPUTE_PGM_RSRC2:USER_SGPR: 6
; COMPUTE_PGM_RSRC2:TRAP_HANDLER: 0
; COMPUTE_PGM_RSRC2:TGID_X_EN: 1
; COMPUTE_PGM_RSRC2:TGID_Y_EN: 0
; COMPUTE_PGM_RSRC2:TGID_Z_EN: 0
; COMPUTE_PGM_RSRC2:TIDIG_COMP_CNT: 0
; COMPUTE_PGM_RSRC3_GFX90A:ACCUM_OFFSET: 0
; COMPUTE_PGM_RSRC3_GFX90A:TG_SPLIT: 0
	.section	.text._ZN7rocprim17ROCPRIM_400000_NS6detail17trampoline_kernelINS0_14default_configENS1_20scan_config_selectorIxEEZZNS1_9scan_implILNS1_25lookback_scan_determinismE0ELb0ELb1ES3_N6thrust23THRUST_200600_302600_NS6detail15normal_iteratorINS9_10device_ptrIxEEEESE_xNS9_4plusIxEExEEDaPvRmT3_T4_T5_mT6_P12ihipStream_tbENKUlT_T0_E_clISt17integral_constantIbLb1EEST_IbLb0EEEEDaSP_SQ_EUlSP_E0_NS1_11comp_targetILNS1_3genE5ELNS1_11target_archE942ELNS1_3gpuE9ELNS1_3repE0EEENS1_30default_config_static_selectorELNS0_4arch9wavefront6targetE1EEEvT1_,"axG",@progbits,_ZN7rocprim17ROCPRIM_400000_NS6detail17trampoline_kernelINS0_14default_configENS1_20scan_config_selectorIxEEZZNS1_9scan_implILNS1_25lookback_scan_determinismE0ELb0ELb1ES3_N6thrust23THRUST_200600_302600_NS6detail15normal_iteratorINS9_10device_ptrIxEEEESE_xNS9_4plusIxEExEEDaPvRmT3_T4_T5_mT6_P12ihipStream_tbENKUlT_T0_E_clISt17integral_constantIbLb1EEST_IbLb0EEEEDaSP_SQ_EUlSP_E0_NS1_11comp_targetILNS1_3genE5ELNS1_11target_archE942ELNS1_3gpuE9ELNS1_3repE0EEENS1_30default_config_static_selectorELNS0_4arch9wavefront6targetE1EEEvT1_,comdat
	.protected	_ZN7rocprim17ROCPRIM_400000_NS6detail17trampoline_kernelINS0_14default_configENS1_20scan_config_selectorIxEEZZNS1_9scan_implILNS1_25lookback_scan_determinismE0ELb0ELb1ES3_N6thrust23THRUST_200600_302600_NS6detail15normal_iteratorINS9_10device_ptrIxEEEESE_xNS9_4plusIxEExEEDaPvRmT3_T4_T5_mT6_P12ihipStream_tbENKUlT_T0_E_clISt17integral_constantIbLb1EEST_IbLb0EEEEDaSP_SQ_EUlSP_E0_NS1_11comp_targetILNS1_3genE5ELNS1_11target_archE942ELNS1_3gpuE9ELNS1_3repE0EEENS1_30default_config_static_selectorELNS0_4arch9wavefront6targetE1EEEvT1_ ; -- Begin function _ZN7rocprim17ROCPRIM_400000_NS6detail17trampoline_kernelINS0_14default_configENS1_20scan_config_selectorIxEEZZNS1_9scan_implILNS1_25lookback_scan_determinismE0ELb0ELb1ES3_N6thrust23THRUST_200600_302600_NS6detail15normal_iteratorINS9_10device_ptrIxEEEESE_xNS9_4plusIxEExEEDaPvRmT3_T4_T5_mT6_P12ihipStream_tbENKUlT_T0_E_clISt17integral_constantIbLb1EEST_IbLb0EEEEDaSP_SQ_EUlSP_E0_NS1_11comp_targetILNS1_3genE5ELNS1_11target_archE942ELNS1_3gpuE9ELNS1_3repE0EEENS1_30default_config_static_selectorELNS0_4arch9wavefront6targetE1EEEvT1_
	.globl	_ZN7rocprim17ROCPRIM_400000_NS6detail17trampoline_kernelINS0_14default_configENS1_20scan_config_selectorIxEEZZNS1_9scan_implILNS1_25lookback_scan_determinismE0ELb0ELb1ES3_N6thrust23THRUST_200600_302600_NS6detail15normal_iteratorINS9_10device_ptrIxEEEESE_xNS9_4plusIxEExEEDaPvRmT3_T4_T5_mT6_P12ihipStream_tbENKUlT_T0_E_clISt17integral_constantIbLb1EEST_IbLb0EEEEDaSP_SQ_EUlSP_E0_NS1_11comp_targetILNS1_3genE5ELNS1_11target_archE942ELNS1_3gpuE9ELNS1_3repE0EEENS1_30default_config_static_selectorELNS0_4arch9wavefront6targetE1EEEvT1_
	.p2align	8
	.type	_ZN7rocprim17ROCPRIM_400000_NS6detail17trampoline_kernelINS0_14default_configENS1_20scan_config_selectorIxEEZZNS1_9scan_implILNS1_25lookback_scan_determinismE0ELb0ELb1ES3_N6thrust23THRUST_200600_302600_NS6detail15normal_iteratorINS9_10device_ptrIxEEEESE_xNS9_4plusIxEExEEDaPvRmT3_T4_T5_mT6_P12ihipStream_tbENKUlT_T0_E_clISt17integral_constantIbLb1EEST_IbLb0EEEEDaSP_SQ_EUlSP_E0_NS1_11comp_targetILNS1_3genE5ELNS1_11target_archE942ELNS1_3gpuE9ELNS1_3repE0EEENS1_30default_config_static_selectorELNS0_4arch9wavefront6targetE1EEEvT1_,@function
_ZN7rocprim17ROCPRIM_400000_NS6detail17trampoline_kernelINS0_14default_configENS1_20scan_config_selectorIxEEZZNS1_9scan_implILNS1_25lookback_scan_determinismE0ELb0ELb1ES3_N6thrust23THRUST_200600_302600_NS6detail15normal_iteratorINS9_10device_ptrIxEEEESE_xNS9_4plusIxEExEEDaPvRmT3_T4_T5_mT6_P12ihipStream_tbENKUlT_T0_E_clISt17integral_constantIbLb1EEST_IbLb0EEEEDaSP_SQ_EUlSP_E0_NS1_11comp_targetILNS1_3genE5ELNS1_11target_archE942ELNS1_3gpuE9ELNS1_3repE0EEENS1_30default_config_static_selectorELNS0_4arch9wavefront6targetE1EEEvT1_: ; @_ZN7rocprim17ROCPRIM_400000_NS6detail17trampoline_kernelINS0_14default_configENS1_20scan_config_selectorIxEEZZNS1_9scan_implILNS1_25lookback_scan_determinismE0ELb0ELb1ES3_N6thrust23THRUST_200600_302600_NS6detail15normal_iteratorINS9_10device_ptrIxEEEESE_xNS9_4plusIxEExEEDaPvRmT3_T4_T5_mT6_P12ihipStream_tbENKUlT_T0_E_clISt17integral_constantIbLb1EEST_IbLb0EEEEDaSP_SQ_EUlSP_E0_NS1_11comp_targetILNS1_3genE5ELNS1_11target_archE942ELNS1_3gpuE9ELNS1_3repE0EEENS1_30default_config_static_selectorELNS0_4arch9wavefront6targetE1EEEvT1_
; %bb.0:
	.section	.rodata,"a",@progbits
	.p2align	6, 0x0
	.amdhsa_kernel _ZN7rocprim17ROCPRIM_400000_NS6detail17trampoline_kernelINS0_14default_configENS1_20scan_config_selectorIxEEZZNS1_9scan_implILNS1_25lookback_scan_determinismE0ELb0ELb1ES3_N6thrust23THRUST_200600_302600_NS6detail15normal_iteratorINS9_10device_ptrIxEEEESE_xNS9_4plusIxEExEEDaPvRmT3_T4_T5_mT6_P12ihipStream_tbENKUlT_T0_E_clISt17integral_constantIbLb1EEST_IbLb0EEEEDaSP_SQ_EUlSP_E0_NS1_11comp_targetILNS1_3genE5ELNS1_11target_archE942ELNS1_3gpuE9ELNS1_3repE0EEENS1_30default_config_static_selectorELNS0_4arch9wavefront6targetE1EEEvT1_
		.amdhsa_group_segment_fixed_size 0
		.amdhsa_private_segment_fixed_size 0
		.amdhsa_kernarg_size 40
		.amdhsa_user_sgpr_count 6
		.amdhsa_user_sgpr_private_segment_buffer 1
		.amdhsa_user_sgpr_dispatch_ptr 0
		.amdhsa_user_sgpr_queue_ptr 0
		.amdhsa_user_sgpr_kernarg_segment_ptr 1
		.amdhsa_user_sgpr_dispatch_id 0
		.amdhsa_user_sgpr_flat_scratch_init 0
		.amdhsa_user_sgpr_kernarg_preload_length 0
		.amdhsa_user_sgpr_kernarg_preload_offset 0
		.amdhsa_user_sgpr_private_segment_size 0
		.amdhsa_uses_dynamic_stack 0
		.amdhsa_system_sgpr_private_segment_wavefront_offset 0
		.amdhsa_system_sgpr_workgroup_id_x 1
		.amdhsa_system_sgpr_workgroup_id_y 0
		.amdhsa_system_sgpr_workgroup_id_z 0
		.amdhsa_system_sgpr_workgroup_info 0
		.amdhsa_system_vgpr_workitem_id 0
		.amdhsa_next_free_vgpr 1
		.amdhsa_next_free_sgpr 0
		.amdhsa_accum_offset 4
		.amdhsa_reserve_vcc 0
		.amdhsa_reserve_flat_scratch 0
		.amdhsa_float_round_mode_32 0
		.amdhsa_float_round_mode_16_64 0
		.amdhsa_float_denorm_mode_32 3
		.amdhsa_float_denorm_mode_16_64 3
		.amdhsa_dx10_clamp 1
		.amdhsa_ieee_mode 1
		.amdhsa_fp16_overflow 0
		.amdhsa_tg_split 0
		.amdhsa_exception_fp_ieee_invalid_op 0
		.amdhsa_exception_fp_denorm_src 0
		.amdhsa_exception_fp_ieee_div_zero 0
		.amdhsa_exception_fp_ieee_overflow 0
		.amdhsa_exception_fp_ieee_underflow 0
		.amdhsa_exception_fp_ieee_inexact 0
		.amdhsa_exception_int_div_zero 0
	.end_amdhsa_kernel
	.section	.text._ZN7rocprim17ROCPRIM_400000_NS6detail17trampoline_kernelINS0_14default_configENS1_20scan_config_selectorIxEEZZNS1_9scan_implILNS1_25lookback_scan_determinismE0ELb0ELb1ES3_N6thrust23THRUST_200600_302600_NS6detail15normal_iteratorINS9_10device_ptrIxEEEESE_xNS9_4plusIxEExEEDaPvRmT3_T4_T5_mT6_P12ihipStream_tbENKUlT_T0_E_clISt17integral_constantIbLb1EEST_IbLb0EEEEDaSP_SQ_EUlSP_E0_NS1_11comp_targetILNS1_3genE5ELNS1_11target_archE942ELNS1_3gpuE9ELNS1_3repE0EEENS1_30default_config_static_selectorELNS0_4arch9wavefront6targetE1EEEvT1_,"axG",@progbits,_ZN7rocprim17ROCPRIM_400000_NS6detail17trampoline_kernelINS0_14default_configENS1_20scan_config_selectorIxEEZZNS1_9scan_implILNS1_25lookback_scan_determinismE0ELb0ELb1ES3_N6thrust23THRUST_200600_302600_NS6detail15normal_iteratorINS9_10device_ptrIxEEEESE_xNS9_4plusIxEExEEDaPvRmT3_T4_T5_mT6_P12ihipStream_tbENKUlT_T0_E_clISt17integral_constantIbLb1EEST_IbLb0EEEEDaSP_SQ_EUlSP_E0_NS1_11comp_targetILNS1_3genE5ELNS1_11target_archE942ELNS1_3gpuE9ELNS1_3repE0EEENS1_30default_config_static_selectorELNS0_4arch9wavefront6targetE1EEEvT1_,comdat
.Lfunc_end460:
	.size	_ZN7rocprim17ROCPRIM_400000_NS6detail17trampoline_kernelINS0_14default_configENS1_20scan_config_selectorIxEEZZNS1_9scan_implILNS1_25lookback_scan_determinismE0ELb0ELb1ES3_N6thrust23THRUST_200600_302600_NS6detail15normal_iteratorINS9_10device_ptrIxEEEESE_xNS9_4plusIxEExEEDaPvRmT3_T4_T5_mT6_P12ihipStream_tbENKUlT_T0_E_clISt17integral_constantIbLb1EEST_IbLb0EEEEDaSP_SQ_EUlSP_E0_NS1_11comp_targetILNS1_3genE5ELNS1_11target_archE942ELNS1_3gpuE9ELNS1_3repE0EEENS1_30default_config_static_selectorELNS0_4arch9wavefront6targetE1EEEvT1_, .Lfunc_end460-_ZN7rocprim17ROCPRIM_400000_NS6detail17trampoline_kernelINS0_14default_configENS1_20scan_config_selectorIxEEZZNS1_9scan_implILNS1_25lookback_scan_determinismE0ELb0ELb1ES3_N6thrust23THRUST_200600_302600_NS6detail15normal_iteratorINS9_10device_ptrIxEEEESE_xNS9_4plusIxEExEEDaPvRmT3_T4_T5_mT6_P12ihipStream_tbENKUlT_T0_E_clISt17integral_constantIbLb1EEST_IbLb0EEEEDaSP_SQ_EUlSP_E0_NS1_11comp_targetILNS1_3genE5ELNS1_11target_archE942ELNS1_3gpuE9ELNS1_3repE0EEENS1_30default_config_static_selectorELNS0_4arch9wavefront6targetE1EEEvT1_
                                        ; -- End function
	.section	.AMDGPU.csdata,"",@progbits
; Kernel info:
; codeLenInByte = 0
; NumSgprs: 4
; NumVgprs: 0
; NumAgprs: 0
; TotalNumVgprs: 0
; ScratchSize: 0
; MemoryBound: 0
; FloatMode: 240
; IeeeMode: 1
; LDSByteSize: 0 bytes/workgroup (compile time only)
; SGPRBlocks: 0
; VGPRBlocks: 0
; NumSGPRsForWavesPerEU: 4
; NumVGPRsForWavesPerEU: 1
; AccumOffset: 4
; Occupancy: 8
; WaveLimiterHint : 0
; COMPUTE_PGM_RSRC2:SCRATCH_EN: 0
; COMPUTE_PGM_RSRC2:USER_SGPR: 6
; COMPUTE_PGM_RSRC2:TRAP_HANDLER: 0
; COMPUTE_PGM_RSRC2:TGID_X_EN: 1
; COMPUTE_PGM_RSRC2:TGID_Y_EN: 0
; COMPUTE_PGM_RSRC2:TGID_Z_EN: 0
; COMPUTE_PGM_RSRC2:TIDIG_COMP_CNT: 0
; COMPUTE_PGM_RSRC3_GFX90A:ACCUM_OFFSET: 0
; COMPUTE_PGM_RSRC3_GFX90A:TG_SPLIT: 0
	.section	.text._ZN7rocprim17ROCPRIM_400000_NS6detail17trampoline_kernelINS0_14default_configENS1_20scan_config_selectorIxEEZZNS1_9scan_implILNS1_25lookback_scan_determinismE0ELb0ELb1ES3_N6thrust23THRUST_200600_302600_NS6detail15normal_iteratorINS9_10device_ptrIxEEEESE_xNS9_4plusIxEExEEDaPvRmT3_T4_T5_mT6_P12ihipStream_tbENKUlT_T0_E_clISt17integral_constantIbLb1EEST_IbLb0EEEEDaSP_SQ_EUlSP_E0_NS1_11comp_targetILNS1_3genE4ELNS1_11target_archE910ELNS1_3gpuE8ELNS1_3repE0EEENS1_30default_config_static_selectorELNS0_4arch9wavefront6targetE1EEEvT1_,"axG",@progbits,_ZN7rocprim17ROCPRIM_400000_NS6detail17trampoline_kernelINS0_14default_configENS1_20scan_config_selectorIxEEZZNS1_9scan_implILNS1_25lookback_scan_determinismE0ELb0ELb1ES3_N6thrust23THRUST_200600_302600_NS6detail15normal_iteratorINS9_10device_ptrIxEEEESE_xNS9_4plusIxEExEEDaPvRmT3_T4_T5_mT6_P12ihipStream_tbENKUlT_T0_E_clISt17integral_constantIbLb1EEST_IbLb0EEEEDaSP_SQ_EUlSP_E0_NS1_11comp_targetILNS1_3genE4ELNS1_11target_archE910ELNS1_3gpuE8ELNS1_3repE0EEENS1_30default_config_static_selectorELNS0_4arch9wavefront6targetE1EEEvT1_,comdat
	.protected	_ZN7rocprim17ROCPRIM_400000_NS6detail17trampoline_kernelINS0_14default_configENS1_20scan_config_selectorIxEEZZNS1_9scan_implILNS1_25lookback_scan_determinismE0ELb0ELb1ES3_N6thrust23THRUST_200600_302600_NS6detail15normal_iteratorINS9_10device_ptrIxEEEESE_xNS9_4plusIxEExEEDaPvRmT3_T4_T5_mT6_P12ihipStream_tbENKUlT_T0_E_clISt17integral_constantIbLb1EEST_IbLb0EEEEDaSP_SQ_EUlSP_E0_NS1_11comp_targetILNS1_3genE4ELNS1_11target_archE910ELNS1_3gpuE8ELNS1_3repE0EEENS1_30default_config_static_selectorELNS0_4arch9wavefront6targetE1EEEvT1_ ; -- Begin function _ZN7rocprim17ROCPRIM_400000_NS6detail17trampoline_kernelINS0_14default_configENS1_20scan_config_selectorIxEEZZNS1_9scan_implILNS1_25lookback_scan_determinismE0ELb0ELb1ES3_N6thrust23THRUST_200600_302600_NS6detail15normal_iteratorINS9_10device_ptrIxEEEESE_xNS9_4plusIxEExEEDaPvRmT3_T4_T5_mT6_P12ihipStream_tbENKUlT_T0_E_clISt17integral_constantIbLb1EEST_IbLb0EEEEDaSP_SQ_EUlSP_E0_NS1_11comp_targetILNS1_3genE4ELNS1_11target_archE910ELNS1_3gpuE8ELNS1_3repE0EEENS1_30default_config_static_selectorELNS0_4arch9wavefront6targetE1EEEvT1_
	.globl	_ZN7rocprim17ROCPRIM_400000_NS6detail17trampoline_kernelINS0_14default_configENS1_20scan_config_selectorIxEEZZNS1_9scan_implILNS1_25lookback_scan_determinismE0ELb0ELb1ES3_N6thrust23THRUST_200600_302600_NS6detail15normal_iteratorINS9_10device_ptrIxEEEESE_xNS9_4plusIxEExEEDaPvRmT3_T4_T5_mT6_P12ihipStream_tbENKUlT_T0_E_clISt17integral_constantIbLb1EEST_IbLb0EEEEDaSP_SQ_EUlSP_E0_NS1_11comp_targetILNS1_3genE4ELNS1_11target_archE910ELNS1_3gpuE8ELNS1_3repE0EEENS1_30default_config_static_selectorELNS0_4arch9wavefront6targetE1EEEvT1_
	.p2align	8
	.type	_ZN7rocprim17ROCPRIM_400000_NS6detail17trampoline_kernelINS0_14default_configENS1_20scan_config_selectorIxEEZZNS1_9scan_implILNS1_25lookback_scan_determinismE0ELb0ELb1ES3_N6thrust23THRUST_200600_302600_NS6detail15normal_iteratorINS9_10device_ptrIxEEEESE_xNS9_4plusIxEExEEDaPvRmT3_T4_T5_mT6_P12ihipStream_tbENKUlT_T0_E_clISt17integral_constantIbLb1EEST_IbLb0EEEEDaSP_SQ_EUlSP_E0_NS1_11comp_targetILNS1_3genE4ELNS1_11target_archE910ELNS1_3gpuE8ELNS1_3repE0EEENS1_30default_config_static_selectorELNS0_4arch9wavefront6targetE1EEEvT1_,@function
_ZN7rocprim17ROCPRIM_400000_NS6detail17trampoline_kernelINS0_14default_configENS1_20scan_config_selectorIxEEZZNS1_9scan_implILNS1_25lookback_scan_determinismE0ELb0ELb1ES3_N6thrust23THRUST_200600_302600_NS6detail15normal_iteratorINS9_10device_ptrIxEEEESE_xNS9_4plusIxEExEEDaPvRmT3_T4_T5_mT6_P12ihipStream_tbENKUlT_T0_E_clISt17integral_constantIbLb1EEST_IbLb0EEEEDaSP_SQ_EUlSP_E0_NS1_11comp_targetILNS1_3genE4ELNS1_11target_archE910ELNS1_3gpuE8ELNS1_3repE0EEENS1_30default_config_static_selectorELNS0_4arch9wavefront6targetE1EEEvT1_: ; @_ZN7rocprim17ROCPRIM_400000_NS6detail17trampoline_kernelINS0_14default_configENS1_20scan_config_selectorIxEEZZNS1_9scan_implILNS1_25lookback_scan_determinismE0ELb0ELb1ES3_N6thrust23THRUST_200600_302600_NS6detail15normal_iteratorINS9_10device_ptrIxEEEESE_xNS9_4plusIxEExEEDaPvRmT3_T4_T5_mT6_P12ihipStream_tbENKUlT_T0_E_clISt17integral_constantIbLb1EEST_IbLb0EEEEDaSP_SQ_EUlSP_E0_NS1_11comp_targetILNS1_3genE4ELNS1_11target_archE910ELNS1_3gpuE8ELNS1_3repE0EEENS1_30default_config_static_selectorELNS0_4arch9wavefront6targetE1EEEvT1_
; %bb.0:
	s_load_dwordx4 s[16:19], s[4:5], 0x0
	v_lshlrev_b32_e32 v27, 3, v0
	s_waitcnt lgkmcnt(0)
	s_load_dwordx2 s[14:15], s[16:17], 0x0
	v_cmp_gt_u32_e32 vcc, s18, v0
	s_waitcnt lgkmcnt(0)
	v_pk_mov_b32 v[2:3], s[14:15], s[14:15] op_sel:[0,1]
	s_and_saveexec_b64 s[0:1], vcc
	s_cbranch_execz .LBB461_2
; %bb.1:
	global_load_dwordx2 v[2:3], v27, s[16:17]
.LBB461_2:
	s_or_b64 exec, exec, s[0:1]
	v_or_b32_e32 v1, 0x80, v0
	v_cmp_gt_u32_e64 s[0:1], s18, v1
	v_pk_mov_b32 v[4:5], s[14:15], s[14:15] op_sel:[0,1]
	s_and_saveexec_b64 s[2:3], s[0:1]
	s_cbranch_execz .LBB461_4
; %bb.3:
	global_load_dwordx2 v[4:5], v27, s[16:17] offset:1024
.LBB461_4:
	s_or_b64 exec, exec, s[2:3]
	v_or_b32_e32 v1, 0x100, v0
	v_cmp_gt_u32_e64 s[2:3], s18, v1
	v_pk_mov_b32 v[6:7], s[14:15], s[14:15] op_sel:[0,1]
	s_and_saveexec_b64 s[6:7], s[2:3]
	s_cbranch_execz .LBB461_6
; %bb.5:
	global_load_dwordx2 v[6:7], v27, s[16:17] offset:2048
.LBB461_6:
	;; [unrolled: 9-line block ×3, first 2 shown]
	s_or_b64 exec, exec, s[6:7]
	v_or_b32_e32 v1, 0x200, v0
	v_cmp_gt_u32_e64 s[6:7], s18, v1
	v_pk_mov_b32 v[10:11], s[14:15], s[14:15] op_sel:[0,1]
	s_and_saveexec_b64 s[8:9], s[6:7]
	s_cbranch_execz .LBB461_10
; %bb.9:
	v_lshlrev_b32_e32 v1, 3, v1
	global_load_dwordx2 v[10:11], v1, s[16:17]
.LBB461_10:
	s_or_b64 exec, exec, s[8:9]
	v_or_b32_e32 v1, 0x280, v0
	v_cmp_gt_u32_e64 s[8:9], s18, v1
	v_pk_mov_b32 v[12:13], s[14:15], s[14:15] op_sel:[0,1]
	s_and_saveexec_b64 s[10:11], s[8:9]
	s_cbranch_execz .LBB461_12
; %bb.11:
	v_lshlrev_b32_e32 v1, 3, v1
	global_load_dwordx2 v[12:13], v1, s[16:17]
.LBB461_12:
	s_or_b64 exec, exec, s[10:11]
	s_load_dwordx2 s[20:21], s[4:5], 0x10
	v_or_b32_e32 v1, 0x300, v0
	v_cmp_gt_u32_e64 s[10:11], s18, v1
	v_pk_mov_b32 v[14:15], s[14:15], s[14:15] op_sel:[0,1]
	s_and_saveexec_b64 s[14:15], s[10:11]
	s_cbranch_execz .LBB461_14
; %bb.13:
	v_lshlrev_b32_e32 v1, 3, v1
	global_load_dwordx2 v[14:15], v1, s[16:17]
.LBB461_14:
	s_or_b64 exec, exec, s[14:15]
	v_mad_u32_u24 v1, v0, 48, v27
	s_waitcnt vmcnt(0)
	ds_write2st64_b64 v27, v[2:3], v[4:5] offset1:2
	ds_write2st64_b64 v27, v[6:7], v[8:9] offset0:4 offset1:6
	ds_write2st64_b64 v27, v[10:11], v[12:13] offset0:8 offset1:10
	ds_write_b64 v27, v[14:15] offset:6144
	s_waitcnt lgkmcnt(0)
	s_barrier
	ds_read2_b64 v[2:5], v1 offset1:1
	ds_read2_b64 v[10:13], v1 offset0:2 offset1:3
	ds_read2_b64 v[6:9], v1 offset0:4 offset1:5
	ds_read_b64 v[18:19], v1 offset:48
	s_load_dwordx2 s[16:17], s[4:5], 0x20
	s_waitcnt lgkmcnt(0)
	v_add_co_u32_e64 v20, s[4:5], v4, v2
	v_addc_co_u32_e64 v1, s[4:5], v5, v3, s[4:5]
	v_add_co_u32_e64 v22, s[4:5], v20, v10
	v_addc_co_u32_e64 v21, s[4:5], v1, v11, s[4:5]
	;; [unrolled: 2-line block ×5, first 2 shown]
	v_add_co_u32_e64 v28, s[4:5], v14, v18
	v_lshrrev_b32_e32 v14, 2, v0
	v_addc_co_u32_e64 v29, s[4:5], v15, v19, s[4:5]
	v_and_b32_e32 v14, 24, v14
	v_add_u32_e32 v14, v27, v14
	v_cmp_gt_u32_e64 s[4:5], 64, v0
	s_barrier
	ds_write_b64 v14, v[28:29]
	s_waitcnt lgkmcnt(0)
	s_barrier
	s_and_saveexec_b64 s[18:19], s[4:5]
	s_cbranch_execz .LBB461_18
; %bb.15:
	v_lshlrev_b32_e32 v14, 1, v0
	v_lshrrev_b32_e32 v15, 4, v0
	v_add_lshl_u32 v30, v15, v14, 3
	ds_read2_b64 v[14:17], v30 offset1:1
	s_waitcnt lgkmcnt(0)
	v_add_co_u32_e64 v32, s[4:5], v16, v14
	v_addc_co_u32_e64 v33, s[4:5], v17, v15, s[4:5]
	s_nop 0
	v_mov_b32_dpp v17, v32 row_shr:1 row_mask:0xf bank_mask:0xf
	v_add_co_u32_e64 v17, s[4:5], v32, v17
	v_mbcnt_lo_u32_b32 v16, -1, 0
	v_addc_co_u32_e64 v35, s[4:5], 0, v33, s[4:5]
	v_mbcnt_hi_u32_b32 v31, -1, v16
	v_mov_b32_dpp v34, v33 row_shr:1 row_mask:0xf bank_mask:0xf
	v_add_co_u32_e64 v36, s[4:5], 0, v17
	v_and_b32_e32 v16, 15, v31
	v_addc_co_u32_e64 v34, s[4:5], v34, v35, s[4:5]
	v_cmp_eq_u32_e64 s[4:5], 0, v16
	v_cndmask_b32_e64 v17, v17, v32, s[4:5]
	v_cndmask_b32_e64 v34, v34, v33, s[4:5]
	v_cndmask_b32_e64 v35, v36, v32, s[4:5]
	v_mov_b32_dpp v36, v17 row_shr:2 row_mask:0xf bank_mask:0xf
	v_mov_b32_dpp v37, v34 row_shr:2 row_mask:0xf bank_mask:0xf
	v_add_co_u32_e64 v36, s[4:5], v36, v35
	v_addc_co_u32_e64 v37, s[4:5], v37, v34, s[4:5]
	v_cmp_lt_u32_e64 s[4:5], 1, v16
	v_cndmask_b32_e64 v17, v17, v36, s[4:5]
	v_cndmask_b32_e64 v34, v34, v37, s[4:5]
	v_cndmask_b32_e64 v35, v35, v36, s[4:5]
	v_mov_b32_dpp v36, v17 row_shr:4 row_mask:0xf bank_mask:0xf
	v_mov_b32_dpp v37, v34 row_shr:4 row_mask:0xf bank_mask:0xf
	v_add_co_u32_e64 v36, s[4:5], v36, v35
	v_addc_co_u32_e64 v37, s[4:5], v37, v34, s[4:5]
	v_cmp_lt_u32_e64 s[4:5], 3, v16
	;; [unrolled: 8-line block ×3, first 2 shown]
	v_cndmask_b32_e64 v38, v17, v36, s[4:5]
	v_cndmask_b32_e64 v17, v34, v37, s[4:5]
	;; [unrolled: 1-line block ×3, first 2 shown]
	v_mov_b32_dpp v34, v38 row_bcast:15 row_mask:0xf bank_mask:0xf
	v_mov_b32_dpp v35, v17 row_bcast:15 row_mask:0xf bank_mask:0xf
	v_add_co_u32_e64 v34, s[4:5], v34, v16
	v_and_b32_e32 v37, 16, v31
	v_addc_co_u32_e64 v36, s[4:5], v35, v17, s[4:5]
	v_cmp_eq_u32_e64 s[4:5], 0, v37
	v_cndmask_b32_e64 v37, v36, v17, s[4:5]
	v_cndmask_b32_e64 v35, v34, v38, s[4:5]
	v_cmp_ne_u32_e64 s[14:15], 0, v31
	v_mov_b32_dpp v37, v37 row_bcast:31 row_mask:0xf bank_mask:0xf
	v_mov_b32_dpp v35, v35 row_bcast:31 row_mask:0xf bank_mask:0xf
	s_and_saveexec_b64 s[22:23], s[14:15]
; %bb.16:
	v_cndmask_b32_e64 v17, v36, v17, s[4:5]
	v_cndmask_b32_e64 v16, v34, v16, s[4:5]
	v_cmp_lt_u32_e64 s[4:5], 31, v31
	v_cndmask_b32_e64 v32, 0, v35, s[4:5]
	v_cndmask_b32_e64 v33, 0, v37, s[4:5]
	v_add_co_u32_e64 v32, s[4:5], v32, v16
	v_addc_co_u32_e64 v33, s[4:5], v33, v17, s[4:5]
; %bb.17:
	s_or_b64 exec, exec, s[22:23]
	v_add_u32_e32 v16, -1, v31
	v_and_b32_e32 v17, 64, v31
	v_cmp_lt_i32_e64 s[4:5], v16, v17
	v_cndmask_b32_e64 v16, v16, v31, s[4:5]
	v_lshlrev_b32_e32 v16, 2, v16
	ds_bpermute_b32 v17, v16, v32
	ds_bpermute_b32 v16, v16, v33
	; wave barrier
	s_waitcnt lgkmcnt(1)
	v_add_co_u32_e64 v14, s[4:5], v14, v17
	v_addc_co_u32_e64 v15, s[4:5], 0, v15, s[4:5]
	v_add_co_u32_e64 v14, s[4:5], 0, v14
	s_waitcnt lgkmcnt(0)
	v_addc_co_u32_e64 v15, s[4:5], v15, v16, s[4:5]
	v_cmp_eq_u32_e64 s[4:5], 0, v0
	v_cndmask_b32_e64 v15, v15, v29, s[4:5]
	v_cndmask_b32_e64 v14, v14, v28, s[4:5]
	ds_write_b64 v30, v[14:15]
	; wave barrier
	ds_read_b64 v[16:17], v30 offset:8
	s_waitcnt lgkmcnt(0)
	v_add_co_u32_e64 v14, s[4:5], v16, v14
	v_addc_co_u32_e64 v15, s[4:5], v17, v15, s[4:5]
	ds_write_b64 v30, v[14:15] offset:8
.LBB461_18:
	s_or_b64 exec, exec, s[18:19]
	v_mul_u32_u24_e32 v14, 48, v0
	v_cmp_ne_u32_e64 s[4:5], 0, v0
	s_waitcnt lgkmcnt(0)
	s_barrier
	s_and_saveexec_b64 s[14:15], s[4:5]
	s_cbranch_execz .LBB461_20
; %bb.19:
	v_add_u32_e32 v0, -1, v0
	v_lshrrev_b32_e32 v15, 5, v0
	v_add_lshl_u32 v0, v15, v0, 3
	ds_read_b64 v[28:29], v0
.LBB461_20:
	s_or_b64 exec, exec, s[14:15]
	s_and_saveexec_b64 s[14:15], s[4:5]
	s_cbranch_execz .LBB461_22
; %bb.21:
	s_waitcnt lgkmcnt(0)
	v_add_co_u32_e64 v2, s[4:5], v28, v2
	v_addc_co_u32_e64 v3, s[4:5], v29, v3, s[4:5]
	v_add_co_u32_e64 v20, s[4:5], v2, v4
	v_addc_co_u32_e64 v1, s[4:5], v3, v5, s[4:5]
	;; [unrolled: 2-line block ×5, first 2 shown]
	;;#ASMSTART
	;;#ASMEND
.LBB461_22:
	s_or_b64 exec, exec, s[14:15]
	v_mov_b32_e32 v11, s21
	v_add_co_u32_e64 v2, s[4:5], s20, v2
	v_addc_co_u32_e64 v3, s[4:5], v3, v11, s[4:5]
	v_add_co_u32_e64 v0, s[4:5], s20, v20
	v_addc_co_u32_e64 v1, s[4:5], v1, v11, s[4:5]
	;; [unrolled: 2-line block ×6, first 2 shown]
	v_add_co_u32_e64 v12, s[4:5], v8, v18
	v_add_u32_e32 v14, v27, v14
	v_addc_co_u32_e64 v13, s[4:5], v9, v19, s[4:5]
	s_waitcnt lgkmcnt(0)
	s_barrier
	ds_write2_b64 v14, v[2:3], v[0:1] offset1:1
	ds_write2_b64 v14, v[4:5], v[6:7] offset0:2 offset1:3
	ds_write2_b64 v14, v[10:11], v[8:9] offset0:4 offset1:5
	ds_write_b64 v14, v[12:13] offset:48
	s_waitcnt lgkmcnt(0)
	s_barrier
	ds_read2st64_b64 v[8:11], v27 offset0:2 offset1:4
	ds_read2st64_b64 v[4:7], v27 offset0:6 offset1:8
	;; [unrolled: 1-line block ×3, first 2 shown]
	v_mov_b32_e32 v13, s17
	v_add_co_u32_e64 v12, s[4:5], s16, v27
	v_addc_co_u32_e64 v13, s[4:5], 0, v13, s[4:5]
	s_and_saveexec_b64 s[4:5], vcc
	s_cbranch_execnz .LBB461_30
; %bb.23:
	s_or_b64 exec, exec, s[4:5]
	s_and_saveexec_b64 s[4:5], s[0:1]
	s_cbranch_execnz .LBB461_31
.LBB461_24:
	s_or_b64 exec, exec, s[4:5]
	s_and_saveexec_b64 s[0:1], s[2:3]
	s_cbranch_execnz .LBB461_32
.LBB461_25:
	s_or_b64 exec, exec, s[0:1]
	s_and_saveexec_b64 s[0:1], s[12:13]
	s_cbranch_execnz .LBB461_33
.LBB461_26:
	s_or_b64 exec, exec, s[0:1]
	s_and_saveexec_b64 s[0:1], s[6:7]
	s_cbranch_execnz .LBB461_34
.LBB461_27:
	s_or_b64 exec, exec, s[0:1]
	s_and_saveexec_b64 s[0:1], s[8:9]
	s_cbranch_execnz .LBB461_35
.LBB461_28:
	s_or_b64 exec, exec, s[0:1]
	s_and_saveexec_b64 s[0:1], s[10:11]
	s_cbranch_execnz .LBB461_36
.LBB461_29:
	s_endpgm
.LBB461_30:
	ds_read_b64 v[14:15], v27
	s_waitcnt lgkmcnt(0)
	global_store_dwordx2 v[12:13], v[14:15], off
	s_or_b64 exec, exec, s[4:5]
	s_and_saveexec_b64 s[4:5], s[0:1]
	s_cbranch_execz .LBB461_24
.LBB461_31:
	s_waitcnt lgkmcnt(2)
	global_store_dwordx2 v[12:13], v[8:9], off offset:1024
	s_or_b64 exec, exec, s[4:5]
	s_and_saveexec_b64 s[0:1], s[2:3]
	s_cbranch_execz .LBB461_25
.LBB461_32:
	s_waitcnt lgkmcnt(2)
	global_store_dwordx2 v[12:13], v[10:11], off offset:2048
	s_or_b64 exec, exec, s[0:1]
	s_and_saveexec_b64 s[0:1], s[12:13]
	s_cbranch_execz .LBB461_26
.LBB461_33:
	s_waitcnt lgkmcnt(1)
	global_store_dwordx2 v[12:13], v[4:5], off offset:3072
	s_or_b64 exec, exec, s[0:1]
	s_and_saveexec_b64 s[0:1], s[6:7]
	s_cbranch_execz .LBB461_27
.LBB461_34:
	s_waitcnt lgkmcnt(1)
	v_add_co_u32_e32 v4, vcc, 0x1000, v12
	v_addc_co_u32_e32 v5, vcc, 0, v13, vcc
	global_store_dwordx2 v[4:5], v[6:7], off
	s_or_b64 exec, exec, s[0:1]
	s_and_saveexec_b64 s[0:1], s[8:9]
	s_cbranch_execz .LBB461_28
.LBB461_35:
	s_waitcnt lgkmcnt(1)
	v_add_co_u32_e32 v4, vcc, 0x1000, v12
	v_addc_co_u32_e32 v5, vcc, 0, v13, vcc
	s_waitcnt lgkmcnt(0)
	global_store_dwordx2 v[4:5], v[0:1], off offset:1024
	s_or_b64 exec, exec, s[0:1]
	s_and_saveexec_b64 s[0:1], s[10:11]
	s_cbranch_execz .LBB461_29
.LBB461_36:
	s_waitcnt lgkmcnt(0)
	v_add_co_u32_e32 v0, vcc, 0x1000, v12
	v_addc_co_u32_e32 v1, vcc, 0, v13, vcc
	global_store_dwordx2 v[0:1], v[2:3], off offset:2048
	s_endpgm
	.section	.rodata,"a",@progbits
	.p2align	6, 0x0
	.amdhsa_kernel _ZN7rocprim17ROCPRIM_400000_NS6detail17trampoline_kernelINS0_14default_configENS1_20scan_config_selectorIxEEZZNS1_9scan_implILNS1_25lookback_scan_determinismE0ELb0ELb1ES3_N6thrust23THRUST_200600_302600_NS6detail15normal_iteratorINS9_10device_ptrIxEEEESE_xNS9_4plusIxEExEEDaPvRmT3_T4_T5_mT6_P12ihipStream_tbENKUlT_T0_E_clISt17integral_constantIbLb1EEST_IbLb0EEEEDaSP_SQ_EUlSP_E0_NS1_11comp_targetILNS1_3genE4ELNS1_11target_archE910ELNS1_3gpuE8ELNS1_3repE0EEENS1_30default_config_static_selectorELNS0_4arch9wavefront6targetE1EEEvT1_
		.amdhsa_group_segment_fixed_size 7168
		.amdhsa_private_segment_fixed_size 0
		.amdhsa_kernarg_size 40
		.amdhsa_user_sgpr_count 6
		.amdhsa_user_sgpr_private_segment_buffer 1
		.amdhsa_user_sgpr_dispatch_ptr 0
		.amdhsa_user_sgpr_queue_ptr 0
		.amdhsa_user_sgpr_kernarg_segment_ptr 1
		.amdhsa_user_sgpr_dispatch_id 0
		.amdhsa_user_sgpr_flat_scratch_init 0
		.amdhsa_user_sgpr_kernarg_preload_length 0
		.amdhsa_user_sgpr_kernarg_preload_offset 0
		.amdhsa_user_sgpr_private_segment_size 0
		.amdhsa_uses_dynamic_stack 0
		.amdhsa_system_sgpr_private_segment_wavefront_offset 0
		.amdhsa_system_sgpr_workgroup_id_x 1
		.amdhsa_system_sgpr_workgroup_id_y 0
		.amdhsa_system_sgpr_workgroup_id_z 0
		.amdhsa_system_sgpr_workgroup_info 0
		.amdhsa_system_vgpr_workitem_id 0
		.amdhsa_next_free_vgpr 39
		.amdhsa_next_free_sgpr 24
		.amdhsa_accum_offset 40
		.amdhsa_reserve_vcc 1
		.amdhsa_reserve_flat_scratch 0
		.amdhsa_float_round_mode_32 0
		.amdhsa_float_round_mode_16_64 0
		.amdhsa_float_denorm_mode_32 3
		.amdhsa_float_denorm_mode_16_64 3
		.amdhsa_dx10_clamp 1
		.amdhsa_ieee_mode 1
		.amdhsa_fp16_overflow 0
		.amdhsa_tg_split 0
		.amdhsa_exception_fp_ieee_invalid_op 0
		.amdhsa_exception_fp_denorm_src 0
		.amdhsa_exception_fp_ieee_div_zero 0
		.amdhsa_exception_fp_ieee_overflow 0
		.amdhsa_exception_fp_ieee_underflow 0
		.amdhsa_exception_fp_ieee_inexact 0
		.amdhsa_exception_int_div_zero 0
	.end_amdhsa_kernel
	.section	.text._ZN7rocprim17ROCPRIM_400000_NS6detail17trampoline_kernelINS0_14default_configENS1_20scan_config_selectorIxEEZZNS1_9scan_implILNS1_25lookback_scan_determinismE0ELb0ELb1ES3_N6thrust23THRUST_200600_302600_NS6detail15normal_iteratorINS9_10device_ptrIxEEEESE_xNS9_4plusIxEExEEDaPvRmT3_T4_T5_mT6_P12ihipStream_tbENKUlT_T0_E_clISt17integral_constantIbLb1EEST_IbLb0EEEEDaSP_SQ_EUlSP_E0_NS1_11comp_targetILNS1_3genE4ELNS1_11target_archE910ELNS1_3gpuE8ELNS1_3repE0EEENS1_30default_config_static_selectorELNS0_4arch9wavefront6targetE1EEEvT1_,"axG",@progbits,_ZN7rocprim17ROCPRIM_400000_NS6detail17trampoline_kernelINS0_14default_configENS1_20scan_config_selectorIxEEZZNS1_9scan_implILNS1_25lookback_scan_determinismE0ELb0ELb1ES3_N6thrust23THRUST_200600_302600_NS6detail15normal_iteratorINS9_10device_ptrIxEEEESE_xNS9_4plusIxEExEEDaPvRmT3_T4_T5_mT6_P12ihipStream_tbENKUlT_T0_E_clISt17integral_constantIbLb1EEST_IbLb0EEEEDaSP_SQ_EUlSP_E0_NS1_11comp_targetILNS1_3genE4ELNS1_11target_archE910ELNS1_3gpuE8ELNS1_3repE0EEENS1_30default_config_static_selectorELNS0_4arch9wavefront6targetE1EEEvT1_,comdat
.Lfunc_end461:
	.size	_ZN7rocprim17ROCPRIM_400000_NS6detail17trampoline_kernelINS0_14default_configENS1_20scan_config_selectorIxEEZZNS1_9scan_implILNS1_25lookback_scan_determinismE0ELb0ELb1ES3_N6thrust23THRUST_200600_302600_NS6detail15normal_iteratorINS9_10device_ptrIxEEEESE_xNS9_4plusIxEExEEDaPvRmT3_T4_T5_mT6_P12ihipStream_tbENKUlT_T0_E_clISt17integral_constantIbLb1EEST_IbLb0EEEEDaSP_SQ_EUlSP_E0_NS1_11comp_targetILNS1_3genE4ELNS1_11target_archE910ELNS1_3gpuE8ELNS1_3repE0EEENS1_30default_config_static_selectorELNS0_4arch9wavefront6targetE1EEEvT1_, .Lfunc_end461-_ZN7rocprim17ROCPRIM_400000_NS6detail17trampoline_kernelINS0_14default_configENS1_20scan_config_selectorIxEEZZNS1_9scan_implILNS1_25lookback_scan_determinismE0ELb0ELb1ES3_N6thrust23THRUST_200600_302600_NS6detail15normal_iteratorINS9_10device_ptrIxEEEESE_xNS9_4plusIxEExEEDaPvRmT3_T4_T5_mT6_P12ihipStream_tbENKUlT_T0_E_clISt17integral_constantIbLb1EEST_IbLb0EEEEDaSP_SQ_EUlSP_E0_NS1_11comp_targetILNS1_3genE4ELNS1_11target_archE910ELNS1_3gpuE8ELNS1_3repE0EEENS1_30default_config_static_selectorELNS0_4arch9wavefront6targetE1EEEvT1_
                                        ; -- End function
	.section	.AMDGPU.csdata,"",@progbits
; Kernel info:
; codeLenInByte = 1884
; NumSgprs: 28
; NumVgprs: 39
; NumAgprs: 0
; TotalNumVgprs: 39
; ScratchSize: 0
; MemoryBound: 0
; FloatMode: 240
; IeeeMode: 1
; LDSByteSize: 7168 bytes/workgroup (compile time only)
; SGPRBlocks: 3
; VGPRBlocks: 4
; NumSGPRsForWavesPerEU: 28
; NumVGPRsForWavesPerEU: 39
; AccumOffset: 40
; Occupancy: 5
; WaveLimiterHint : 0
; COMPUTE_PGM_RSRC2:SCRATCH_EN: 0
; COMPUTE_PGM_RSRC2:USER_SGPR: 6
; COMPUTE_PGM_RSRC2:TRAP_HANDLER: 0
; COMPUTE_PGM_RSRC2:TGID_X_EN: 1
; COMPUTE_PGM_RSRC2:TGID_Y_EN: 0
; COMPUTE_PGM_RSRC2:TGID_Z_EN: 0
; COMPUTE_PGM_RSRC2:TIDIG_COMP_CNT: 0
; COMPUTE_PGM_RSRC3_GFX90A:ACCUM_OFFSET: 9
; COMPUTE_PGM_RSRC3_GFX90A:TG_SPLIT: 0
	.section	.text._ZN7rocprim17ROCPRIM_400000_NS6detail17trampoline_kernelINS0_14default_configENS1_20scan_config_selectorIxEEZZNS1_9scan_implILNS1_25lookback_scan_determinismE0ELb0ELb1ES3_N6thrust23THRUST_200600_302600_NS6detail15normal_iteratorINS9_10device_ptrIxEEEESE_xNS9_4plusIxEExEEDaPvRmT3_T4_T5_mT6_P12ihipStream_tbENKUlT_T0_E_clISt17integral_constantIbLb1EEST_IbLb0EEEEDaSP_SQ_EUlSP_E0_NS1_11comp_targetILNS1_3genE3ELNS1_11target_archE908ELNS1_3gpuE7ELNS1_3repE0EEENS1_30default_config_static_selectorELNS0_4arch9wavefront6targetE1EEEvT1_,"axG",@progbits,_ZN7rocprim17ROCPRIM_400000_NS6detail17trampoline_kernelINS0_14default_configENS1_20scan_config_selectorIxEEZZNS1_9scan_implILNS1_25lookback_scan_determinismE0ELb0ELb1ES3_N6thrust23THRUST_200600_302600_NS6detail15normal_iteratorINS9_10device_ptrIxEEEESE_xNS9_4plusIxEExEEDaPvRmT3_T4_T5_mT6_P12ihipStream_tbENKUlT_T0_E_clISt17integral_constantIbLb1EEST_IbLb0EEEEDaSP_SQ_EUlSP_E0_NS1_11comp_targetILNS1_3genE3ELNS1_11target_archE908ELNS1_3gpuE7ELNS1_3repE0EEENS1_30default_config_static_selectorELNS0_4arch9wavefront6targetE1EEEvT1_,comdat
	.protected	_ZN7rocprim17ROCPRIM_400000_NS6detail17trampoline_kernelINS0_14default_configENS1_20scan_config_selectorIxEEZZNS1_9scan_implILNS1_25lookback_scan_determinismE0ELb0ELb1ES3_N6thrust23THRUST_200600_302600_NS6detail15normal_iteratorINS9_10device_ptrIxEEEESE_xNS9_4plusIxEExEEDaPvRmT3_T4_T5_mT6_P12ihipStream_tbENKUlT_T0_E_clISt17integral_constantIbLb1EEST_IbLb0EEEEDaSP_SQ_EUlSP_E0_NS1_11comp_targetILNS1_3genE3ELNS1_11target_archE908ELNS1_3gpuE7ELNS1_3repE0EEENS1_30default_config_static_selectorELNS0_4arch9wavefront6targetE1EEEvT1_ ; -- Begin function _ZN7rocprim17ROCPRIM_400000_NS6detail17trampoline_kernelINS0_14default_configENS1_20scan_config_selectorIxEEZZNS1_9scan_implILNS1_25lookback_scan_determinismE0ELb0ELb1ES3_N6thrust23THRUST_200600_302600_NS6detail15normal_iteratorINS9_10device_ptrIxEEEESE_xNS9_4plusIxEExEEDaPvRmT3_T4_T5_mT6_P12ihipStream_tbENKUlT_T0_E_clISt17integral_constantIbLb1EEST_IbLb0EEEEDaSP_SQ_EUlSP_E0_NS1_11comp_targetILNS1_3genE3ELNS1_11target_archE908ELNS1_3gpuE7ELNS1_3repE0EEENS1_30default_config_static_selectorELNS0_4arch9wavefront6targetE1EEEvT1_
	.globl	_ZN7rocprim17ROCPRIM_400000_NS6detail17trampoline_kernelINS0_14default_configENS1_20scan_config_selectorIxEEZZNS1_9scan_implILNS1_25lookback_scan_determinismE0ELb0ELb1ES3_N6thrust23THRUST_200600_302600_NS6detail15normal_iteratorINS9_10device_ptrIxEEEESE_xNS9_4plusIxEExEEDaPvRmT3_T4_T5_mT6_P12ihipStream_tbENKUlT_T0_E_clISt17integral_constantIbLb1EEST_IbLb0EEEEDaSP_SQ_EUlSP_E0_NS1_11comp_targetILNS1_3genE3ELNS1_11target_archE908ELNS1_3gpuE7ELNS1_3repE0EEENS1_30default_config_static_selectorELNS0_4arch9wavefront6targetE1EEEvT1_
	.p2align	8
	.type	_ZN7rocprim17ROCPRIM_400000_NS6detail17trampoline_kernelINS0_14default_configENS1_20scan_config_selectorIxEEZZNS1_9scan_implILNS1_25lookback_scan_determinismE0ELb0ELb1ES3_N6thrust23THRUST_200600_302600_NS6detail15normal_iteratorINS9_10device_ptrIxEEEESE_xNS9_4plusIxEExEEDaPvRmT3_T4_T5_mT6_P12ihipStream_tbENKUlT_T0_E_clISt17integral_constantIbLb1EEST_IbLb0EEEEDaSP_SQ_EUlSP_E0_NS1_11comp_targetILNS1_3genE3ELNS1_11target_archE908ELNS1_3gpuE7ELNS1_3repE0EEENS1_30default_config_static_selectorELNS0_4arch9wavefront6targetE1EEEvT1_,@function
_ZN7rocprim17ROCPRIM_400000_NS6detail17trampoline_kernelINS0_14default_configENS1_20scan_config_selectorIxEEZZNS1_9scan_implILNS1_25lookback_scan_determinismE0ELb0ELb1ES3_N6thrust23THRUST_200600_302600_NS6detail15normal_iteratorINS9_10device_ptrIxEEEESE_xNS9_4plusIxEExEEDaPvRmT3_T4_T5_mT6_P12ihipStream_tbENKUlT_T0_E_clISt17integral_constantIbLb1EEST_IbLb0EEEEDaSP_SQ_EUlSP_E0_NS1_11comp_targetILNS1_3genE3ELNS1_11target_archE908ELNS1_3gpuE7ELNS1_3repE0EEENS1_30default_config_static_selectorELNS0_4arch9wavefront6targetE1EEEvT1_: ; @_ZN7rocprim17ROCPRIM_400000_NS6detail17trampoline_kernelINS0_14default_configENS1_20scan_config_selectorIxEEZZNS1_9scan_implILNS1_25lookback_scan_determinismE0ELb0ELb1ES3_N6thrust23THRUST_200600_302600_NS6detail15normal_iteratorINS9_10device_ptrIxEEEESE_xNS9_4plusIxEExEEDaPvRmT3_T4_T5_mT6_P12ihipStream_tbENKUlT_T0_E_clISt17integral_constantIbLb1EEST_IbLb0EEEEDaSP_SQ_EUlSP_E0_NS1_11comp_targetILNS1_3genE3ELNS1_11target_archE908ELNS1_3gpuE7ELNS1_3repE0EEENS1_30default_config_static_selectorELNS0_4arch9wavefront6targetE1EEEvT1_
; %bb.0:
	.section	.rodata,"a",@progbits
	.p2align	6, 0x0
	.amdhsa_kernel _ZN7rocprim17ROCPRIM_400000_NS6detail17trampoline_kernelINS0_14default_configENS1_20scan_config_selectorIxEEZZNS1_9scan_implILNS1_25lookback_scan_determinismE0ELb0ELb1ES3_N6thrust23THRUST_200600_302600_NS6detail15normal_iteratorINS9_10device_ptrIxEEEESE_xNS9_4plusIxEExEEDaPvRmT3_T4_T5_mT6_P12ihipStream_tbENKUlT_T0_E_clISt17integral_constantIbLb1EEST_IbLb0EEEEDaSP_SQ_EUlSP_E0_NS1_11comp_targetILNS1_3genE3ELNS1_11target_archE908ELNS1_3gpuE7ELNS1_3repE0EEENS1_30default_config_static_selectorELNS0_4arch9wavefront6targetE1EEEvT1_
		.amdhsa_group_segment_fixed_size 0
		.amdhsa_private_segment_fixed_size 0
		.amdhsa_kernarg_size 40
		.amdhsa_user_sgpr_count 6
		.amdhsa_user_sgpr_private_segment_buffer 1
		.amdhsa_user_sgpr_dispatch_ptr 0
		.amdhsa_user_sgpr_queue_ptr 0
		.amdhsa_user_sgpr_kernarg_segment_ptr 1
		.amdhsa_user_sgpr_dispatch_id 0
		.amdhsa_user_sgpr_flat_scratch_init 0
		.amdhsa_user_sgpr_kernarg_preload_length 0
		.amdhsa_user_sgpr_kernarg_preload_offset 0
		.amdhsa_user_sgpr_private_segment_size 0
		.amdhsa_uses_dynamic_stack 0
		.amdhsa_system_sgpr_private_segment_wavefront_offset 0
		.amdhsa_system_sgpr_workgroup_id_x 1
		.amdhsa_system_sgpr_workgroup_id_y 0
		.amdhsa_system_sgpr_workgroup_id_z 0
		.amdhsa_system_sgpr_workgroup_info 0
		.amdhsa_system_vgpr_workitem_id 0
		.amdhsa_next_free_vgpr 1
		.amdhsa_next_free_sgpr 0
		.amdhsa_accum_offset 4
		.amdhsa_reserve_vcc 0
		.amdhsa_reserve_flat_scratch 0
		.amdhsa_float_round_mode_32 0
		.amdhsa_float_round_mode_16_64 0
		.amdhsa_float_denorm_mode_32 3
		.amdhsa_float_denorm_mode_16_64 3
		.amdhsa_dx10_clamp 1
		.amdhsa_ieee_mode 1
		.amdhsa_fp16_overflow 0
		.amdhsa_tg_split 0
		.amdhsa_exception_fp_ieee_invalid_op 0
		.amdhsa_exception_fp_denorm_src 0
		.amdhsa_exception_fp_ieee_div_zero 0
		.amdhsa_exception_fp_ieee_overflow 0
		.amdhsa_exception_fp_ieee_underflow 0
		.amdhsa_exception_fp_ieee_inexact 0
		.amdhsa_exception_int_div_zero 0
	.end_amdhsa_kernel
	.section	.text._ZN7rocprim17ROCPRIM_400000_NS6detail17trampoline_kernelINS0_14default_configENS1_20scan_config_selectorIxEEZZNS1_9scan_implILNS1_25lookback_scan_determinismE0ELb0ELb1ES3_N6thrust23THRUST_200600_302600_NS6detail15normal_iteratorINS9_10device_ptrIxEEEESE_xNS9_4plusIxEExEEDaPvRmT3_T4_T5_mT6_P12ihipStream_tbENKUlT_T0_E_clISt17integral_constantIbLb1EEST_IbLb0EEEEDaSP_SQ_EUlSP_E0_NS1_11comp_targetILNS1_3genE3ELNS1_11target_archE908ELNS1_3gpuE7ELNS1_3repE0EEENS1_30default_config_static_selectorELNS0_4arch9wavefront6targetE1EEEvT1_,"axG",@progbits,_ZN7rocprim17ROCPRIM_400000_NS6detail17trampoline_kernelINS0_14default_configENS1_20scan_config_selectorIxEEZZNS1_9scan_implILNS1_25lookback_scan_determinismE0ELb0ELb1ES3_N6thrust23THRUST_200600_302600_NS6detail15normal_iteratorINS9_10device_ptrIxEEEESE_xNS9_4plusIxEExEEDaPvRmT3_T4_T5_mT6_P12ihipStream_tbENKUlT_T0_E_clISt17integral_constantIbLb1EEST_IbLb0EEEEDaSP_SQ_EUlSP_E0_NS1_11comp_targetILNS1_3genE3ELNS1_11target_archE908ELNS1_3gpuE7ELNS1_3repE0EEENS1_30default_config_static_selectorELNS0_4arch9wavefront6targetE1EEEvT1_,comdat
.Lfunc_end462:
	.size	_ZN7rocprim17ROCPRIM_400000_NS6detail17trampoline_kernelINS0_14default_configENS1_20scan_config_selectorIxEEZZNS1_9scan_implILNS1_25lookback_scan_determinismE0ELb0ELb1ES3_N6thrust23THRUST_200600_302600_NS6detail15normal_iteratorINS9_10device_ptrIxEEEESE_xNS9_4plusIxEExEEDaPvRmT3_T4_T5_mT6_P12ihipStream_tbENKUlT_T0_E_clISt17integral_constantIbLb1EEST_IbLb0EEEEDaSP_SQ_EUlSP_E0_NS1_11comp_targetILNS1_3genE3ELNS1_11target_archE908ELNS1_3gpuE7ELNS1_3repE0EEENS1_30default_config_static_selectorELNS0_4arch9wavefront6targetE1EEEvT1_, .Lfunc_end462-_ZN7rocprim17ROCPRIM_400000_NS6detail17trampoline_kernelINS0_14default_configENS1_20scan_config_selectorIxEEZZNS1_9scan_implILNS1_25lookback_scan_determinismE0ELb0ELb1ES3_N6thrust23THRUST_200600_302600_NS6detail15normal_iteratorINS9_10device_ptrIxEEEESE_xNS9_4plusIxEExEEDaPvRmT3_T4_T5_mT6_P12ihipStream_tbENKUlT_T0_E_clISt17integral_constantIbLb1EEST_IbLb0EEEEDaSP_SQ_EUlSP_E0_NS1_11comp_targetILNS1_3genE3ELNS1_11target_archE908ELNS1_3gpuE7ELNS1_3repE0EEENS1_30default_config_static_selectorELNS0_4arch9wavefront6targetE1EEEvT1_
                                        ; -- End function
	.section	.AMDGPU.csdata,"",@progbits
; Kernel info:
; codeLenInByte = 0
; NumSgprs: 4
; NumVgprs: 0
; NumAgprs: 0
; TotalNumVgprs: 0
; ScratchSize: 0
; MemoryBound: 0
; FloatMode: 240
; IeeeMode: 1
; LDSByteSize: 0 bytes/workgroup (compile time only)
; SGPRBlocks: 0
; VGPRBlocks: 0
; NumSGPRsForWavesPerEU: 4
; NumVGPRsForWavesPerEU: 1
; AccumOffset: 4
; Occupancy: 8
; WaveLimiterHint : 0
; COMPUTE_PGM_RSRC2:SCRATCH_EN: 0
; COMPUTE_PGM_RSRC2:USER_SGPR: 6
; COMPUTE_PGM_RSRC2:TRAP_HANDLER: 0
; COMPUTE_PGM_RSRC2:TGID_X_EN: 1
; COMPUTE_PGM_RSRC2:TGID_Y_EN: 0
; COMPUTE_PGM_RSRC2:TGID_Z_EN: 0
; COMPUTE_PGM_RSRC2:TIDIG_COMP_CNT: 0
; COMPUTE_PGM_RSRC3_GFX90A:ACCUM_OFFSET: 0
; COMPUTE_PGM_RSRC3_GFX90A:TG_SPLIT: 0
	.section	.text._ZN7rocprim17ROCPRIM_400000_NS6detail17trampoline_kernelINS0_14default_configENS1_20scan_config_selectorIxEEZZNS1_9scan_implILNS1_25lookback_scan_determinismE0ELb0ELb1ES3_N6thrust23THRUST_200600_302600_NS6detail15normal_iteratorINS9_10device_ptrIxEEEESE_xNS9_4plusIxEExEEDaPvRmT3_T4_T5_mT6_P12ihipStream_tbENKUlT_T0_E_clISt17integral_constantIbLb1EEST_IbLb0EEEEDaSP_SQ_EUlSP_E0_NS1_11comp_targetILNS1_3genE2ELNS1_11target_archE906ELNS1_3gpuE6ELNS1_3repE0EEENS1_30default_config_static_selectorELNS0_4arch9wavefront6targetE1EEEvT1_,"axG",@progbits,_ZN7rocprim17ROCPRIM_400000_NS6detail17trampoline_kernelINS0_14default_configENS1_20scan_config_selectorIxEEZZNS1_9scan_implILNS1_25lookback_scan_determinismE0ELb0ELb1ES3_N6thrust23THRUST_200600_302600_NS6detail15normal_iteratorINS9_10device_ptrIxEEEESE_xNS9_4plusIxEExEEDaPvRmT3_T4_T5_mT6_P12ihipStream_tbENKUlT_T0_E_clISt17integral_constantIbLb1EEST_IbLb0EEEEDaSP_SQ_EUlSP_E0_NS1_11comp_targetILNS1_3genE2ELNS1_11target_archE906ELNS1_3gpuE6ELNS1_3repE0EEENS1_30default_config_static_selectorELNS0_4arch9wavefront6targetE1EEEvT1_,comdat
	.protected	_ZN7rocprim17ROCPRIM_400000_NS6detail17trampoline_kernelINS0_14default_configENS1_20scan_config_selectorIxEEZZNS1_9scan_implILNS1_25lookback_scan_determinismE0ELb0ELb1ES3_N6thrust23THRUST_200600_302600_NS6detail15normal_iteratorINS9_10device_ptrIxEEEESE_xNS9_4plusIxEExEEDaPvRmT3_T4_T5_mT6_P12ihipStream_tbENKUlT_T0_E_clISt17integral_constantIbLb1EEST_IbLb0EEEEDaSP_SQ_EUlSP_E0_NS1_11comp_targetILNS1_3genE2ELNS1_11target_archE906ELNS1_3gpuE6ELNS1_3repE0EEENS1_30default_config_static_selectorELNS0_4arch9wavefront6targetE1EEEvT1_ ; -- Begin function _ZN7rocprim17ROCPRIM_400000_NS6detail17trampoline_kernelINS0_14default_configENS1_20scan_config_selectorIxEEZZNS1_9scan_implILNS1_25lookback_scan_determinismE0ELb0ELb1ES3_N6thrust23THRUST_200600_302600_NS6detail15normal_iteratorINS9_10device_ptrIxEEEESE_xNS9_4plusIxEExEEDaPvRmT3_T4_T5_mT6_P12ihipStream_tbENKUlT_T0_E_clISt17integral_constantIbLb1EEST_IbLb0EEEEDaSP_SQ_EUlSP_E0_NS1_11comp_targetILNS1_3genE2ELNS1_11target_archE906ELNS1_3gpuE6ELNS1_3repE0EEENS1_30default_config_static_selectorELNS0_4arch9wavefront6targetE1EEEvT1_
	.globl	_ZN7rocprim17ROCPRIM_400000_NS6detail17trampoline_kernelINS0_14default_configENS1_20scan_config_selectorIxEEZZNS1_9scan_implILNS1_25lookback_scan_determinismE0ELb0ELb1ES3_N6thrust23THRUST_200600_302600_NS6detail15normal_iteratorINS9_10device_ptrIxEEEESE_xNS9_4plusIxEExEEDaPvRmT3_T4_T5_mT6_P12ihipStream_tbENKUlT_T0_E_clISt17integral_constantIbLb1EEST_IbLb0EEEEDaSP_SQ_EUlSP_E0_NS1_11comp_targetILNS1_3genE2ELNS1_11target_archE906ELNS1_3gpuE6ELNS1_3repE0EEENS1_30default_config_static_selectorELNS0_4arch9wavefront6targetE1EEEvT1_
	.p2align	8
	.type	_ZN7rocprim17ROCPRIM_400000_NS6detail17trampoline_kernelINS0_14default_configENS1_20scan_config_selectorIxEEZZNS1_9scan_implILNS1_25lookback_scan_determinismE0ELb0ELb1ES3_N6thrust23THRUST_200600_302600_NS6detail15normal_iteratorINS9_10device_ptrIxEEEESE_xNS9_4plusIxEExEEDaPvRmT3_T4_T5_mT6_P12ihipStream_tbENKUlT_T0_E_clISt17integral_constantIbLb1EEST_IbLb0EEEEDaSP_SQ_EUlSP_E0_NS1_11comp_targetILNS1_3genE2ELNS1_11target_archE906ELNS1_3gpuE6ELNS1_3repE0EEENS1_30default_config_static_selectorELNS0_4arch9wavefront6targetE1EEEvT1_,@function
_ZN7rocprim17ROCPRIM_400000_NS6detail17trampoline_kernelINS0_14default_configENS1_20scan_config_selectorIxEEZZNS1_9scan_implILNS1_25lookback_scan_determinismE0ELb0ELb1ES3_N6thrust23THRUST_200600_302600_NS6detail15normal_iteratorINS9_10device_ptrIxEEEESE_xNS9_4plusIxEExEEDaPvRmT3_T4_T5_mT6_P12ihipStream_tbENKUlT_T0_E_clISt17integral_constantIbLb1EEST_IbLb0EEEEDaSP_SQ_EUlSP_E0_NS1_11comp_targetILNS1_3genE2ELNS1_11target_archE906ELNS1_3gpuE6ELNS1_3repE0EEENS1_30default_config_static_selectorELNS0_4arch9wavefront6targetE1EEEvT1_: ; @_ZN7rocprim17ROCPRIM_400000_NS6detail17trampoline_kernelINS0_14default_configENS1_20scan_config_selectorIxEEZZNS1_9scan_implILNS1_25lookback_scan_determinismE0ELb0ELb1ES3_N6thrust23THRUST_200600_302600_NS6detail15normal_iteratorINS9_10device_ptrIxEEEESE_xNS9_4plusIxEExEEDaPvRmT3_T4_T5_mT6_P12ihipStream_tbENKUlT_T0_E_clISt17integral_constantIbLb1EEST_IbLb0EEEEDaSP_SQ_EUlSP_E0_NS1_11comp_targetILNS1_3genE2ELNS1_11target_archE906ELNS1_3gpuE6ELNS1_3repE0EEENS1_30default_config_static_selectorELNS0_4arch9wavefront6targetE1EEEvT1_
; %bb.0:
	.section	.rodata,"a",@progbits
	.p2align	6, 0x0
	.amdhsa_kernel _ZN7rocprim17ROCPRIM_400000_NS6detail17trampoline_kernelINS0_14default_configENS1_20scan_config_selectorIxEEZZNS1_9scan_implILNS1_25lookback_scan_determinismE0ELb0ELb1ES3_N6thrust23THRUST_200600_302600_NS6detail15normal_iteratorINS9_10device_ptrIxEEEESE_xNS9_4plusIxEExEEDaPvRmT3_T4_T5_mT6_P12ihipStream_tbENKUlT_T0_E_clISt17integral_constantIbLb1EEST_IbLb0EEEEDaSP_SQ_EUlSP_E0_NS1_11comp_targetILNS1_3genE2ELNS1_11target_archE906ELNS1_3gpuE6ELNS1_3repE0EEENS1_30default_config_static_selectorELNS0_4arch9wavefront6targetE1EEEvT1_
		.amdhsa_group_segment_fixed_size 0
		.amdhsa_private_segment_fixed_size 0
		.amdhsa_kernarg_size 40
		.amdhsa_user_sgpr_count 6
		.amdhsa_user_sgpr_private_segment_buffer 1
		.amdhsa_user_sgpr_dispatch_ptr 0
		.amdhsa_user_sgpr_queue_ptr 0
		.amdhsa_user_sgpr_kernarg_segment_ptr 1
		.amdhsa_user_sgpr_dispatch_id 0
		.amdhsa_user_sgpr_flat_scratch_init 0
		.amdhsa_user_sgpr_kernarg_preload_length 0
		.amdhsa_user_sgpr_kernarg_preload_offset 0
		.amdhsa_user_sgpr_private_segment_size 0
		.amdhsa_uses_dynamic_stack 0
		.amdhsa_system_sgpr_private_segment_wavefront_offset 0
		.amdhsa_system_sgpr_workgroup_id_x 1
		.amdhsa_system_sgpr_workgroup_id_y 0
		.amdhsa_system_sgpr_workgroup_id_z 0
		.amdhsa_system_sgpr_workgroup_info 0
		.amdhsa_system_vgpr_workitem_id 0
		.amdhsa_next_free_vgpr 1
		.amdhsa_next_free_sgpr 0
		.amdhsa_accum_offset 4
		.amdhsa_reserve_vcc 0
		.amdhsa_reserve_flat_scratch 0
		.amdhsa_float_round_mode_32 0
		.amdhsa_float_round_mode_16_64 0
		.amdhsa_float_denorm_mode_32 3
		.amdhsa_float_denorm_mode_16_64 3
		.amdhsa_dx10_clamp 1
		.amdhsa_ieee_mode 1
		.amdhsa_fp16_overflow 0
		.amdhsa_tg_split 0
		.amdhsa_exception_fp_ieee_invalid_op 0
		.amdhsa_exception_fp_denorm_src 0
		.amdhsa_exception_fp_ieee_div_zero 0
		.amdhsa_exception_fp_ieee_overflow 0
		.amdhsa_exception_fp_ieee_underflow 0
		.amdhsa_exception_fp_ieee_inexact 0
		.amdhsa_exception_int_div_zero 0
	.end_amdhsa_kernel
	.section	.text._ZN7rocprim17ROCPRIM_400000_NS6detail17trampoline_kernelINS0_14default_configENS1_20scan_config_selectorIxEEZZNS1_9scan_implILNS1_25lookback_scan_determinismE0ELb0ELb1ES3_N6thrust23THRUST_200600_302600_NS6detail15normal_iteratorINS9_10device_ptrIxEEEESE_xNS9_4plusIxEExEEDaPvRmT3_T4_T5_mT6_P12ihipStream_tbENKUlT_T0_E_clISt17integral_constantIbLb1EEST_IbLb0EEEEDaSP_SQ_EUlSP_E0_NS1_11comp_targetILNS1_3genE2ELNS1_11target_archE906ELNS1_3gpuE6ELNS1_3repE0EEENS1_30default_config_static_selectorELNS0_4arch9wavefront6targetE1EEEvT1_,"axG",@progbits,_ZN7rocprim17ROCPRIM_400000_NS6detail17trampoline_kernelINS0_14default_configENS1_20scan_config_selectorIxEEZZNS1_9scan_implILNS1_25lookback_scan_determinismE0ELb0ELb1ES3_N6thrust23THRUST_200600_302600_NS6detail15normal_iteratorINS9_10device_ptrIxEEEESE_xNS9_4plusIxEExEEDaPvRmT3_T4_T5_mT6_P12ihipStream_tbENKUlT_T0_E_clISt17integral_constantIbLb1EEST_IbLb0EEEEDaSP_SQ_EUlSP_E0_NS1_11comp_targetILNS1_3genE2ELNS1_11target_archE906ELNS1_3gpuE6ELNS1_3repE0EEENS1_30default_config_static_selectorELNS0_4arch9wavefront6targetE1EEEvT1_,comdat
.Lfunc_end463:
	.size	_ZN7rocprim17ROCPRIM_400000_NS6detail17trampoline_kernelINS0_14default_configENS1_20scan_config_selectorIxEEZZNS1_9scan_implILNS1_25lookback_scan_determinismE0ELb0ELb1ES3_N6thrust23THRUST_200600_302600_NS6detail15normal_iteratorINS9_10device_ptrIxEEEESE_xNS9_4plusIxEExEEDaPvRmT3_T4_T5_mT6_P12ihipStream_tbENKUlT_T0_E_clISt17integral_constantIbLb1EEST_IbLb0EEEEDaSP_SQ_EUlSP_E0_NS1_11comp_targetILNS1_3genE2ELNS1_11target_archE906ELNS1_3gpuE6ELNS1_3repE0EEENS1_30default_config_static_selectorELNS0_4arch9wavefront6targetE1EEEvT1_, .Lfunc_end463-_ZN7rocprim17ROCPRIM_400000_NS6detail17trampoline_kernelINS0_14default_configENS1_20scan_config_selectorIxEEZZNS1_9scan_implILNS1_25lookback_scan_determinismE0ELb0ELb1ES3_N6thrust23THRUST_200600_302600_NS6detail15normal_iteratorINS9_10device_ptrIxEEEESE_xNS9_4plusIxEExEEDaPvRmT3_T4_T5_mT6_P12ihipStream_tbENKUlT_T0_E_clISt17integral_constantIbLb1EEST_IbLb0EEEEDaSP_SQ_EUlSP_E0_NS1_11comp_targetILNS1_3genE2ELNS1_11target_archE906ELNS1_3gpuE6ELNS1_3repE0EEENS1_30default_config_static_selectorELNS0_4arch9wavefront6targetE1EEEvT1_
                                        ; -- End function
	.section	.AMDGPU.csdata,"",@progbits
; Kernel info:
; codeLenInByte = 0
; NumSgprs: 4
; NumVgprs: 0
; NumAgprs: 0
; TotalNumVgprs: 0
; ScratchSize: 0
; MemoryBound: 0
; FloatMode: 240
; IeeeMode: 1
; LDSByteSize: 0 bytes/workgroup (compile time only)
; SGPRBlocks: 0
; VGPRBlocks: 0
; NumSGPRsForWavesPerEU: 4
; NumVGPRsForWavesPerEU: 1
; AccumOffset: 4
; Occupancy: 8
; WaveLimiterHint : 0
; COMPUTE_PGM_RSRC2:SCRATCH_EN: 0
; COMPUTE_PGM_RSRC2:USER_SGPR: 6
; COMPUTE_PGM_RSRC2:TRAP_HANDLER: 0
; COMPUTE_PGM_RSRC2:TGID_X_EN: 1
; COMPUTE_PGM_RSRC2:TGID_Y_EN: 0
; COMPUTE_PGM_RSRC2:TGID_Z_EN: 0
; COMPUTE_PGM_RSRC2:TIDIG_COMP_CNT: 0
; COMPUTE_PGM_RSRC3_GFX90A:ACCUM_OFFSET: 0
; COMPUTE_PGM_RSRC3_GFX90A:TG_SPLIT: 0
	.section	.text._ZN7rocprim17ROCPRIM_400000_NS6detail17trampoline_kernelINS0_14default_configENS1_20scan_config_selectorIxEEZZNS1_9scan_implILNS1_25lookback_scan_determinismE0ELb0ELb1ES3_N6thrust23THRUST_200600_302600_NS6detail15normal_iteratorINS9_10device_ptrIxEEEESE_xNS9_4plusIxEExEEDaPvRmT3_T4_T5_mT6_P12ihipStream_tbENKUlT_T0_E_clISt17integral_constantIbLb1EEST_IbLb0EEEEDaSP_SQ_EUlSP_E0_NS1_11comp_targetILNS1_3genE10ELNS1_11target_archE1201ELNS1_3gpuE5ELNS1_3repE0EEENS1_30default_config_static_selectorELNS0_4arch9wavefront6targetE1EEEvT1_,"axG",@progbits,_ZN7rocprim17ROCPRIM_400000_NS6detail17trampoline_kernelINS0_14default_configENS1_20scan_config_selectorIxEEZZNS1_9scan_implILNS1_25lookback_scan_determinismE0ELb0ELb1ES3_N6thrust23THRUST_200600_302600_NS6detail15normal_iteratorINS9_10device_ptrIxEEEESE_xNS9_4plusIxEExEEDaPvRmT3_T4_T5_mT6_P12ihipStream_tbENKUlT_T0_E_clISt17integral_constantIbLb1EEST_IbLb0EEEEDaSP_SQ_EUlSP_E0_NS1_11comp_targetILNS1_3genE10ELNS1_11target_archE1201ELNS1_3gpuE5ELNS1_3repE0EEENS1_30default_config_static_selectorELNS0_4arch9wavefront6targetE1EEEvT1_,comdat
	.protected	_ZN7rocprim17ROCPRIM_400000_NS6detail17trampoline_kernelINS0_14default_configENS1_20scan_config_selectorIxEEZZNS1_9scan_implILNS1_25lookback_scan_determinismE0ELb0ELb1ES3_N6thrust23THRUST_200600_302600_NS6detail15normal_iteratorINS9_10device_ptrIxEEEESE_xNS9_4plusIxEExEEDaPvRmT3_T4_T5_mT6_P12ihipStream_tbENKUlT_T0_E_clISt17integral_constantIbLb1EEST_IbLb0EEEEDaSP_SQ_EUlSP_E0_NS1_11comp_targetILNS1_3genE10ELNS1_11target_archE1201ELNS1_3gpuE5ELNS1_3repE0EEENS1_30default_config_static_selectorELNS0_4arch9wavefront6targetE1EEEvT1_ ; -- Begin function _ZN7rocprim17ROCPRIM_400000_NS6detail17trampoline_kernelINS0_14default_configENS1_20scan_config_selectorIxEEZZNS1_9scan_implILNS1_25lookback_scan_determinismE0ELb0ELb1ES3_N6thrust23THRUST_200600_302600_NS6detail15normal_iteratorINS9_10device_ptrIxEEEESE_xNS9_4plusIxEExEEDaPvRmT3_T4_T5_mT6_P12ihipStream_tbENKUlT_T0_E_clISt17integral_constantIbLb1EEST_IbLb0EEEEDaSP_SQ_EUlSP_E0_NS1_11comp_targetILNS1_3genE10ELNS1_11target_archE1201ELNS1_3gpuE5ELNS1_3repE0EEENS1_30default_config_static_selectorELNS0_4arch9wavefront6targetE1EEEvT1_
	.globl	_ZN7rocprim17ROCPRIM_400000_NS6detail17trampoline_kernelINS0_14default_configENS1_20scan_config_selectorIxEEZZNS1_9scan_implILNS1_25lookback_scan_determinismE0ELb0ELb1ES3_N6thrust23THRUST_200600_302600_NS6detail15normal_iteratorINS9_10device_ptrIxEEEESE_xNS9_4plusIxEExEEDaPvRmT3_T4_T5_mT6_P12ihipStream_tbENKUlT_T0_E_clISt17integral_constantIbLb1EEST_IbLb0EEEEDaSP_SQ_EUlSP_E0_NS1_11comp_targetILNS1_3genE10ELNS1_11target_archE1201ELNS1_3gpuE5ELNS1_3repE0EEENS1_30default_config_static_selectorELNS0_4arch9wavefront6targetE1EEEvT1_
	.p2align	8
	.type	_ZN7rocprim17ROCPRIM_400000_NS6detail17trampoline_kernelINS0_14default_configENS1_20scan_config_selectorIxEEZZNS1_9scan_implILNS1_25lookback_scan_determinismE0ELb0ELb1ES3_N6thrust23THRUST_200600_302600_NS6detail15normal_iteratorINS9_10device_ptrIxEEEESE_xNS9_4plusIxEExEEDaPvRmT3_T4_T5_mT6_P12ihipStream_tbENKUlT_T0_E_clISt17integral_constantIbLb1EEST_IbLb0EEEEDaSP_SQ_EUlSP_E0_NS1_11comp_targetILNS1_3genE10ELNS1_11target_archE1201ELNS1_3gpuE5ELNS1_3repE0EEENS1_30default_config_static_selectorELNS0_4arch9wavefront6targetE1EEEvT1_,@function
_ZN7rocprim17ROCPRIM_400000_NS6detail17trampoline_kernelINS0_14default_configENS1_20scan_config_selectorIxEEZZNS1_9scan_implILNS1_25lookback_scan_determinismE0ELb0ELb1ES3_N6thrust23THRUST_200600_302600_NS6detail15normal_iteratorINS9_10device_ptrIxEEEESE_xNS9_4plusIxEExEEDaPvRmT3_T4_T5_mT6_P12ihipStream_tbENKUlT_T0_E_clISt17integral_constantIbLb1EEST_IbLb0EEEEDaSP_SQ_EUlSP_E0_NS1_11comp_targetILNS1_3genE10ELNS1_11target_archE1201ELNS1_3gpuE5ELNS1_3repE0EEENS1_30default_config_static_selectorELNS0_4arch9wavefront6targetE1EEEvT1_: ; @_ZN7rocprim17ROCPRIM_400000_NS6detail17trampoline_kernelINS0_14default_configENS1_20scan_config_selectorIxEEZZNS1_9scan_implILNS1_25lookback_scan_determinismE0ELb0ELb1ES3_N6thrust23THRUST_200600_302600_NS6detail15normal_iteratorINS9_10device_ptrIxEEEESE_xNS9_4plusIxEExEEDaPvRmT3_T4_T5_mT6_P12ihipStream_tbENKUlT_T0_E_clISt17integral_constantIbLb1EEST_IbLb0EEEEDaSP_SQ_EUlSP_E0_NS1_11comp_targetILNS1_3genE10ELNS1_11target_archE1201ELNS1_3gpuE5ELNS1_3repE0EEENS1_30default_config_static_selectorELNS0_4arch9wavefront6targetE1EEEvT1_
; %bb.0:
	.section	.rodata,"a",@progbits
	.p2align	6, 0x0
	.amdhsa_kernel _ZN7rocprim17ROCPRIM_400000_NS6detail17trampoline_kernelINS0_14default_configENS1_20scan_config_selectorIxEEZZNS1_9scan_implILNS1_25lookback_scan_determinismE0ELb0ELb1ES3_N6thrust23THRUST_200600_302600_NS6detail15normal_iteratorINS9_10device_ptrIxEEEESE_xNS9_4plusIxEExEEDaPvRmT3_T4_T5_mT6_P12ihipStream_tbENKUlT_T0_E_clISt17integral_constantIbLb1EEST_IbLb0EEEEDaSP_SQ_EUlSP_E0_NS1_11comp_targetILNS1_3genE10ELNS1_11target_archE1201ELNS1_3gpuE5ELNS1_3repE0EEENS1_30default_config_static_selectorELNS0_4arch9wavefront6targetE1EEEvT1_
		.amdhsa_group_segment_fixed_size 0
		.amdhsa_private_segment_fixed_size 0
		.amdhsa_kernarg_size 40
		.amdhsa_user_sgpr_count 6
		.amdhsa_user_sgpr_private_segment_buffer 1
		.amdhsa_user_sgpr_dispatch_ptr 0
		.amdhsa_user_sgpr_queue_ptr 0
		.amdhsa_user_sgpr_kernarg_segment_ptr 1
		.amdhsa_user_sgpr_dispatch_id 0
		.amdhsa_user_sgpr_flat_scratch_init 0
		.amdhsa_user_sgpr_kernarg_preload_length 0
		.amdhsa_user_sgpr_kernarg_preload_offset 0
		.amdhsa_user_sgpr_private_segment_size 0
		.amdhsa_uses_dynamic_stack 0
		.amdhsa_system_sgpr_private_segment_wavefront_offset 0
		.amdhsa_system_sgpr_workgroup_id_x 1
		.amdhsa_system_sgpr_workgroup_id_y 0
		.amdhsa_system_sgpr_workgroup_id_z 0
		.amdhsa_system_sgpr_workgroup_info 0
		.amdhsa_system_vgpr_workitem_id 0
		.amdhsa_next_free_vgpr 1
		.amdhsa_next_free_sgpr 0
		.amdhsa_accum_offset 4
		.amdhsa_reserve_vcc 0
		.amdhsa_reserve_flat_scratch 0
		.amdhsa_float_round_mode_32 0
		.amdhsa_float_round_mode_16_64 0
		.amdhsa_float_denorm_mode_32 3
		.amdhsa_float_denorm_mode_16_64 3
		.amdhsa_dx10_clamp 1
		.amdhsa_ieee_mode 1
		.amdhsa_fp16_overflow 0
		.amdhsa_tg_split 0
		.amdhsa_exception_fp_ieee_invalid_op 0
		.amdhsa_exception_fp_denorm_src 0
		.amdhsa_exception_fp_ieee_div_zero 0
		.amdhsa_exception_fp_ieee_overflow 0
		.amdhsa_exception_fp_ieee_underflow 0
		.amdhsa_exception_fp_ieee_inexact 0
		.amdhsa_exception_int_div_zero 0
	.end_amdhsa_kernel
	.section	.text._ZN7rocprim17ROCPRIM_400000_NS6detail17trampoline_kernelINS0_14default_configENS1_20scan_config_selectorIxEEZZNS1_9scan_implILNS1_25lookback_scan_determinismE0ELb0ELb1ES3_N6thrust23THRUST_200600_302600_NS6detail15normal_iteratorINS9_10device_ptrIxEEEESE_xNS9_4plusIxEExEEDaPvRmT3_T4_T5_mT6_P12ihipStream_tbENKUlT_T0_E_clISt17integral_constantIbLb1EEST_IbLb0EEEEDaSP_SQ_EUlSP_E0_NS1_11comp_targetILNS1_3genE10ELNS1_11target_archE1201ELNS1_3gpuE5ELNS1_3repE0EEENS1_30default_config_static_selectorELNS0_4arch9wavefront6targetE1EEEvT1_,"axG",@progbits,_ZN7rocprim17ROCPRIM_400000_NS6detail17trampoline_kernelINS0_14default_configENS1_20scan_config_selectorIxEEZZNS1_9scan_implILNS1_25lookback_scan_determinismE0ELb0ELb1ES3_N6thrust23THRUST_200600_302600_NS6detail15normal_iteratorINS9_10device_ptrIxEEEESE_xNS9_4plusIxEExEEDaPvRmT3_T4_T5_mT6_P12ihipStream_tbENKUlT_T0_E_clISt17integral_constantIbLb1EEST_IbLb0EEEEDaSP_SQ_EUlSP_E0_NS1_11comp_targetILNS1_3genE10ELNS1_11target_archE1201ELNS1_3gpuE5ELNS1_3repE0EEENS1_30default_config_static_selectorELNS0_4arch9wavefront6targetE1EEEvT1_,comdat
.Lfunc_end464:
	.size	_ZN7rocprim17ROCPRIM_400000_NS6detail17trampoline_kernelINS0_14default_configENS1_20scan_config_selectorIxEEZZNS1_9scan_implILNS1_25lookback_scan_determinismE0ELb0ELb1ES3_N6thrust23THRUST_200600_302600_NS6detail15normal_iteratorINS9_10device_ptrIxEEEESE_xNS9_4plusIxEExEEDaPvRmT3_T4_T5_mT6_P12ihipStream_tbENKUlT_T0_E_clISt17integral_constantIbLb1EEST_IbLb0EEEEDaSP_SQ_EUlSP_E0_NS1_11comp_targetILNS1_3genE10ELNS1_11target_archE1201ELNS1_3gpuE5ELNS1_3repE0EEENS1_30default_config_static_selectorELNS0_4arch9wavefront6targetE1EEEvT1_, .Lfunc_end464-_ZN7rocprim17ROCPRIM_400000_NS6detail17trampoline_kernelINS0_14default_configENS1_20scan_config_selectorIxEEZZNS1_9scan_implILNS1_25lookback_scan_determinismE0ELb0ELb1ES3_N6thrust23THRUST_200600_302600_NS6detail15normal_iteratorINS9_10device_ptrIxEEEESE_xNS9_4plusIxEExEEDaPvRmT3_T4_T5_mT6_P12ihipStream_tbENKUlT_T0_E_clISt17integral_constantIbLb1EEST_IbLb0EEEEDaSP_SQ_EUlSP_E0_NS1_11comp_targetILNS1_3genE10ELNS1_11target_archE1201ELNS1_3gpuE5ELNS1_3repE0EEENS1_30default_config_static_selectorELNS0_4arch9wavefront6targetE1EEEvT1_
                                        ; -- End function
	.section	.AMDGPU.csdata,"",@progbits
; Kernel info:
; codeLenInByte = 0
; NumSgprs: 4
; NumVgprs: 0
; NumAgprs: 0
; TotalNumVgprs: 0
; ScratchSize: 0
; MemoryBound: 0
; FloatMode: 240
; IeeeMode: 1
; LDSByteSize: 0 bytes/workgroup (compile time only)
; SGPRBlocks: 0
; VGPRBlocks: 0
; NumSGPRsForWavesPerEU: 4
; NumVGPRsForWavesPerEU: 1
; AccumOffset: 4
; Occupancy: 8
; WaveLimiterHint : 0
; COMPUTE_PGM_RSRC2:SCRATCH_EN: 0
; COMPUTE_PGM_RSRC2:USER_SGPR: 6
; COMPUTE_PGM_RSRC2:TRAP_HANDLER: 0
; COMPUTE_PGM_RSRC2:TGID_X_EN: 1
; COMPUTE_PGM_RSRC2:TGID_Y_EN: 0
; COMPUTE_PGM_RSRC2:TGID_Z_EN: 0
; COMPUTE_PGM_RSRC2:TIDIG_COMP_CNT: 0
; COMPUTE_PGM_RSRC3_GFX90A:ACCUM_OFFSET: 0
; COMPUTE_PGM_RSRC3_GFX90A:TG_SPLIT: 0
	.section	.text._ZN7rocprim17ROCPRIM_400000_NS6detail17trampoline_kernelINS0_14default_configENS1_20scan_config_selectorIxEEZZNS1_9scan_implILNS1_25lookback_scan_determinismE0ELb0ELb1ES3_N6thrust23THRUST_200600_302600_NS6detail15normal_iteratorINS9_10device_ptrIxEEEESE_xNS9_4plusIxEExEEDaPvRmT3_T4_T5_mT6_P12ihipStream_tbENKUlT_T0_E_clISt17integral_constantIbLb1EEST_IbLb0EEEEDaSP_SQ_EUlSP_E0_NS1_11comp_targetILNS1_3genE10ELNS1_11target_archE1200ELNS1_3gpuE4ELNS1_3repE0EEENS1_30default_config_static_selectorELNS0_4arch9wavefront6targetE1EEEvT1_,"axG",@progbits,_ZN7rocprim17ROCPRIM_400000_NS6detail17trampoline_kernelINS0_14default_configENS1_20scan_config_selectorIxEEZZNS1_9scan_implILNS1_25lookback_scan_determinismE0ELb0ELb1ES3_N6thrust23THRUST_200600_302600_NS6detail15normal_iteratorINS9_10device_ptrIxEEEESE_xNS9_4plusIxEExEEDaPvRmT3_T4_T5_mT6_P12ihipStream_tbENKUlT_T0_E_clISt17integral_constantIbLb1EEST_IbLb0EEEEDaSP_SQ_EUlSP_E0_NS1_11comp_targetILNS1_3genE10ELNS1_11target_archE1200ELNS1_3gpuE4ELNS1_3repE0EEENS1_30default_config_static_selectorELNS0_4arch9wavefront6targetE1EEEvT1_,comdat
	.protected	_ZN7rocprim17ROCPRIM_400000_NS6detail17trampoline_kernelINS0_14default_configENS1_20scan_config_selectorIxEEZZNS1_9scan_implILNS1_25lookback_scan_determinismE0ELb0ELb1ES3_N6thrust23THRUST_200600_302600_NS6detail15normal_iteratorINS9_10device_ptrIxEEEESE_xNS9_4plusIxEExEEDaPvRmT3_T4_T5_mT6_P12ihipStream_tbENKUlT_T0_E_clISt17integral_constantIbLb1EEST_IbLb0EEEEDaSP_SQ_EUlSP_E0_NS1_11comp_targetILNS1_3genE10ELNS1_11target_archE1200ELNS1_3gpuE4ELNS1_3repE0EEENS1_30default_config_static_selectorELNS0_4arch9wavefront6targetE1EEEvT1_ ; -- Begin function _ZN7rocprim17ROCPRIM_400000_NS6detail17trampoline_kernelINS0_14default_configENS1_20scan_config_selectorIxEEZZNS1_9scan_implILNS1_25lookback_scan_determinismE0ELb0ELb1ES3_N6thrust23THRUST_200600_302600_NS6detail15normal_iteratorINS9_10device_ptrIxEEEESE_xNS9_4plusIxEExEEDaPvRmT3_T4_T5_mT6_P12ihipStream_tbENKUlT_T0_E_clISt17integral_constantIbLb1EEST_IbLb0EEEEDaSP_SQ_EUlSP_E0_NS1_11comp_targetILNS1_3genE10ELNS1_11target_archE1200ELNS1_3gpuE4ELNS1_3repE0EEENS1_30default_config_static_selectorELNS0_4arch9wavefront6targetE1EEEvT1_
	.globl	_ZN7rocprim17ROCPRIM_400000_NS6detail17trampoline_kernelINS0_14default_configENS1_20scan_config_selectorIxEEZZNS1_9scan_implILNS1_25lookback_scan_determinismE0ELb0ELb1ES3_N6thrust23THRUST_200600_302600_NS6detail15normal_iteratorINS9_10device_ptrIxEEEESE_xNS9_4plusIxEExEEDaPvRmT3_T4_T5_mT6_P12ihipStream_tbENKUlT_T0_E_clISt17integral_constantIbLb1EEST_IbLb0EEEEDaSP_SQ_EUlSP_E0_NS1_11comp_targetILNS1_3genE10ELNS1_11target_archE1200ELNS1_3gpuE4ELNS1_3repE0EEENS1_30default_config_static_selectorELNS0_4arch9wavefront6targetE1EEEvT1_
	.p2align	8
	.type	_ZN7rocprim17ROCPRIM_400000_NS6detail17trampoline_kernelINS0_14default_configENS1_20scan_config_selectorIxEEZZNS1_9scan_implILNS1_25lookback_scan_determinismE0ELb0ELb1ES3_N6thrust23THRUST_200600_302600_NS6detail15normal_iteratorINS9_10device_ptrIxEEEESE_xNS9_4plusIxEExEEDaPvRmT3_T4_T5_mT6_P12ihipStream_tbENKUlT_T0_E_clISt17integral_constantIbLb1EEST_IbLb0EEEEDaSP_SQ_EUlSP_E0_NS1_11comp_targetILNS1_3genE10ELNS1_11target_archE1200ELNS1_3gpuE4ELNS1_3repE0EEENS1_30default_config_static_selectorELNS0_4arch9wavefront6targetE1EEEvT1_,@function
_ZN7rocprim17ROCPRIM_400000_NS6detail17trampoline_kernelINS0_14default_configENS1_20scan_config_selectorIxEEZZNS1_9scan_implILNS1_25lookback_scan_determinismE0ELb0ELb1ES3_N6thrust23THRUST_200600_302600_NS6detail15normal_iteratorINS9_10device_ptrIxEEEESE_xNS9_4plusIxEExEEDaPvRmT3_T4_T5_mT6_P12ihipStream_tbENKUlT_T0_E_clISt17integral_constantIbLb1EEST_IbLb0EEEEDaSP_SQ_EUlSP_E0_NS1_11comp_targetILNS1_3genE10ELNS1_11target_archE1200ELNS1_3gpuE4ELNS1_3repE0EEENS1_30default_config_static_selectorELNS0_4arch9wavefront6targetE1EEEvT1_: ; @_ZN7rocprim17ROCPRIM_400000_NS6detail17trampoline_kernelINS0_14default_configENS1_20scan_config_selectorIxEEZZNS1_9scan_implILNS1_25lookback_scan_determinismE0ELb0ELb1ES3_N6thrust23THRUST_200600_302600_NS6detail15normal_iteratorINS9_10device_ptrIxEEEESE_xNS9_4plusIxEExEEDaPvRmT3_T4_T5_mT6_P12ihipStream_tbENKUlT_T0_E_clISt17integral_constantIbLb1EEST_IbLb0EEEEDaSP_SQ_EUlSP_E0_NS1_11comp_targetILNS1_3genE10ELNS1_11target_archE1200ELNS1_3gpuE4ELNS1_3repE0EEENS1_30default_config_static_selectorELNS0_4arch9wavefront6targetE1EEEvT1_
; %bb.0:
	.section	.rodata,"a",@progbits
	.p2align	6, 0x0
	.amdhsa_kernel _ZN7rocprim17ROCPRIM_400000_NS6detail17trampoline_kernelINS0_14default_configENS1_20scan_config_selectorIxEEZZNS1_9scan_implILNS1_25lookback_scan_determinismE0ELb0ELb1ES3_N6thrust23THRUST_200600_302600_NS6detail15normal_iteratorINS9_10device_ptrIxEEEESE_xNS9_4plusIxEExEEDaPvRmT3_T4_T5_mT6_P12ihipStream_tbENKUlT_T0_E_clISt17integral_constantIbLb1EEST_IbLb0EEEEDaSP_SQ_EUlSP_E0_NS1_11comp_targetILNS1_3genE10ELNS1_11target_archE1200ELNS1_3gpuE4ELNS1_3repE0EEENS1_30default_config_static_selectorELNS0_4arch9wavefront6targetE1EEEvT1_
		.amdhsa_group_segment_fixed_size 0
		.amdhsa_private_segment_fixed_size 0
		.amdhsa_kernarg_size 40
		.amdhsa_user_sgpr_count 6
		.amdhsa_user_sgpr_private_segment_buffer 1
		.amdhsa_user_sgpr_dispatch_ptr 0
		.amdhsa_user_sgpr_queue_ptr 0
		.amdhsa_user_sgpr_kernarg_segment_ptr 1
		.amdhsa_user_sgpr_dispatch_id 0
		.amdhsa_user_sgpr_flat_scratch_init 0
		.amdhsa_user_sgpr_kernarg_preload_length 0
		.amdhsa_user_sgpr_kernarg_preload_offset 0
		.amdhsa_user_sgpr_private_segment_size 0
		.amdhsa_uses_dynamic_stack 0
		.amdhsa_system_sgpr_private_segment_wavefront_offset 0
		.amdhsa_system_sgpr_workgroup_id_x 1
		.amdhsa_system_sgpr_workgroup_id_y 0
		.amdhsa_system_sgpr_workgroup_id_z 0
		.amdhsa_system_sgpr_workgroup_info 0
		.amdhsa_system_vgpr_workitem_id 0
		.amdhsa_next_free_vgpr 1
		.amdhsa_next_free_sgpr 0
		.amdhsa_accum_offset 4
		.amdhsa_reserve_vcc 0
		.amdhsa_reserve_flat_scratch 0
		.amdhsa_float_round_mode_32 0
		.amdhsa_float_round_mode_16_64 0
		.amdhsa_float_denorm_mode_32 3
		.amdhsa_float_denorm_mode_16_64 3
		.amdhsa_dx10_clamp 1
		.amdhsa_ieee_mode 1
		.amdhsa_fp16_overflow 0
		.amdhsa_tg_split 0
		.amdhsa_exception_fp_ieee_invalid_op 0
		.amdhsa_exception_fp_denorm_src 0
		.amdhsa_exception_fp_ieee_div_zero 0
		.amdhsa_exception_fp_ieee_overflow 0
		.amdhsa_exception_fp_ieee_underflow 0
		.amdhsa_exception_fp_ieee_inexact 0
		.amdhsa_exception_int_div_zero 0
	.end_amdhsa_kernel
	.section	.text._ZN7rocprim17ROCPRIM_400000_NS6detail17trampoline_kernelINS0_14default_configENS1_20scan_config_selectorIxEEZZNS1_9scan_implILNS1_25lookback_scan_determinismE0ELb0ELb1ES3_N6thrust23THRUST_200600_302600_NS6detail15normal_iteratorINS9_10device_ptrIxEEEESE_xNS9_4plusIxEExEEDaPvRmT3_T4_T5_mT6_P12ihipStream_tbENKUlT_T0_E_clISt17integral_constantIbLb1EEST_IbLb0EEEEDaSP_SQ_EUlSP_E0_NS1_11comp_targetILNS1_3genE10ELNS1_11target_archE1200ELNS1_3gpuE4ELNS1_3repE0EEENS1_30default_config_static_selectorELNS0_4arch9wavefront6targetE1EEEvT1_,"axG",@progbits,_ZN7rocprim17ROCPRIM_400000_NS6detail17trampoline_kernelINS0_14default_configENS1_20scan_config_selectorIxEEZZNS1_9scan_implILNS1_25lookback_scan_determinismE0ELb0ELb1ES3_N6thrust23THRUST_200600_302600_NS6detail15normal_iteratorINS9_10device_ptrIxEEEESE_xNS9_4plusIxEExEEDaPvRmT3_T4_T5_mT6_P12ihipStream_tbENKUlT_T0_E_clISt17integral_constantIbLb1EEST_IbLb0EEEEDaSP_SQ_EUlSP_E0_NS1_11comp_targetILNS1_3genE10ELNS1_11target_archE1200ELNS1_3gpuE4ELNS1_3repE0EEENS1_30default_config_static_selectorELNS0_4arch9wavefront6targetE1EEEvT1_,comdat
.Lfunc_end465:
	.size	_ZN7rocprim17ROCPRIM_400000_NS6detail17trampoline_kernelINS0_14default_configENS1_20scan_config_selectorIxEEZZNS1_9scan_implILNS1_25lookback_scan_determinismE0ELb0ELb1ES3_N6thrust23THRUST_200600_302600_NS6detail15normal_iteratorINS9_10device_ptrIxEEEESE_xNS9_4plusIxEExEEDaPvRmT3_T4_T5_mT6_P12ihipStream_tbENKUlT_T0_E_clISt17integral_constantIbLb1EEST_IbLb0EEEEDaSP_SQ_EUlSP_E0_NS1_11comp_targetILNS1_3genE10ELNS1_11target_archE1200ELNS1_3gpuE4ELNS1_3repE0EEENS1_30default_config_static_selectorELNS0_4arch9wavefront6targetE1EEEvT1_, .Lfunc_end465-_ZN7rocprim17ROCPRIM_400000_NS6detail17trampoline_kernelINS0_14default_configENS1_20scan_config_selectorIxEEZZNS1_9scan_implILNS1_25lookback_scan_determinismE0ELb0ELb1ES3_N6thrust23THRUST_200600_302600_NS6detail15normal_iteratorINS9_10device_ptrIxEEEESE_xNS9_4plusIxEExEEDaPvRmT3_T4_T5_mT6_P12ihipStream_tbENKUlT_T0_E_clISt17integral_constantIbLb1EEST_IbLb0EEEEDaSP_SQ_EUlSP_E0_NS1_11comp_targetILNS1_3genE10ELNS1_11target_archE1200ELNS1_3gpuE4ELNS1_3repE0EEENS1_30default_config_static_selectorELNS0_4arch9wavefront6targetE1EEEvT1_
                                        ; -- End function
	.section	.AMDGPU.csdata,"",@progbits
; Kernel info:
; codeLenInByte = 0
; NumSgprs: 4
; NumVgprs: 0
; NumAgprs: 0
; TotalNumVgprs: 0
; ScratchSize: 0
; MemoryBound: 0
; FloatMode: 240
; IeeeMode: 1
; LDSByteSize: 0 bytes/workgroup (compile time only)
; SGPRBlocks: 0
; VGPRBlocks: 0
; NumSGPRsForWavesPerEU: 4
; NumVGPRsForWavesPerEU: 1
; AccumOffset: 4
; Occupancy: 8
; WaveLimiterHint : 0
; COMPUTE_PGM_RSRC2:SCRATCH_EN: 0
; COMPUTE_PGM_RSRC2:USER_SGPR: 6
; COMPUTE_PGM_RSRC2:TRAP_HANDLER: 0
; COMPUTE_PGM_RSRC2:TGID_X_EN: 1
; COMPUTE_PGM_RSRC2:TGID_Y_EN: 0
; COMPUTE_PGM_RSRC2:TGID_Z_EN: 0
; COMPUTE_PGM_RSRC2:TIDIG_COMP_CNT: 0
; COMPUTE_PGM_RSRC3_GFX90A:ACCUM_OFFSET: 0
; COMPUTE_PGM_RSRC3_GFX90A:TG_SPLIT: 0
	.section	.text._ZN7rocprim17ROCPRIM_400000_NS6detail17trampoline_kernelINS0_14default_configENS1_20scan_config_selectorIxEEZZNS1_9scan_implILNS1_25lookback_scan_determinismE0ELb0ELb1ES3_N6thrust23THRUST_200600_302600_NS6detail15normal_iteratorINS9_10device_ptrIxEEEESE_xNS9_4plusIxEExEEDaPvRmT3_T4_T5_mT6_P12ihipStream_tbENKUlT_T0_E_clISt17integral_constantIbLb1EEST_IbLb0EEEEDaSP_SQ_EUlSP_E0_NS1_11comp_targetILNS1_3genE9ELNS1_11target_archE1100ELNS1_3gpuE3ELNS1_3repE0EEENS1_30default_config_static_selectorELNS0_4arch9wavefront6targetE1EEEvT1_,"axG",@progbits,_ZN7rocprim17ROCPRIM_400000_NS6detail17trampoline_kernelINS0_14default_configENS1_20scan_config_selectorIxEEZZNS1_9scan_implILNS1_25lookback_scan_determinismE0ELb0ELb1ES3_N6thrust23THRUST_200600_302600_NS6detail15normal_iteratorINS9_10device_ptrIxEEEESE_xNS9_4plusIxEExEEDaPvRmT3_T4_T5_mT6_P12ihipStream_tbENKUlT_T0_E_clISt17integral_constantIbLb1EEST_IbLb0EEEEDaSP_SQ_EUlSP_E0_NS1_11comp_targetILNS1_3genE9ELNS1_11target_archE1100ELNS1_3gpuE3ELNS1_3repE0EEENS1_30default_config_static_selectorELNS0_4arch9wavefront6targetE1EEEvT1_,comdat
	.protected	_ZN7rocprim17ROCPRIM_400000_NS6detail17trampoline_kernelINS0_14default_configENS1_20scan_config_selectorIxEEZZNS1_9scan_implILNS1_25lookback_scan_determinismE0ELb0ELb1ES3_N6thrust23THRUST_200600_302600_NS6detail15normal_iteratorINS9_10device_ptrIxEEEESE_xNS9_4plusIxEExEEDaPvRmT3_T4_T5_mT6_P12ihipStream_tbENKUlT_T0_E_clISt17integral_constantIbLb1EEST_IbLb0EEEEDaSP_SQ_EUlSP_E0_NS1_11comp_targetILNS1_3genE9ELNS1_11target_archE1100ELNS1_3gpuE3ELNS1_3repE0EEENS1_30default_config_static_selectorELNS0_4arch9wavefront6targetE1EEEvT1_ ; -- Begin function _ZN7rocprim17ROCPRIM_400000_NS6detail17trampoline_kernelINS0_14default_configENS1_20scan_config_selectorIxEEZZNS1_9scan_implILNS1_25lookback_scan_determinismE0ELb0ELb1ES3_N6thrust23THRUST_200600_302600_NS6detail15normal_iteratorINS9_10device_ptrIxEEEESE_xNS9_4plusIxEExEEDaPvRmT3_T4_T5_mT6_P12ihipStream_tbENKUlT_T0_E_clISt17integral_constantIbLb1EEST_IbLb0EEEEDaSP_SQ_EUlSP_E0_NS1_11comp_targetILNS1_3genE9ELNS1_11target_archE1100ELNS1_3gpuE3ELNS1_3repE0EEENS1_30default_config_static_selectorELNS0_4arch9wavefront6targetE1EEEvT1_
	.globl	_ZN7rocprim17ROCPRIM_400000_NS6detail17trampoline_kernelINS0_14default_configENS1_20scan_config_selectorIxEEZZNS1_9scan_implILNS1_25lookback_scan_determinismE0ELb0ELb1ES3_N6thrust23THRUST_200600_302600_NS6detail15normal_iteratorINS9_10device_ptrIxEEEESE_xNS9_4plusIxEExEEDaPvRmT3_T4_T5_mT6_P12ihipStream_tbENKUlT_T0_E_clISt17integral_constantIbLb1EEST_IbLb0EEEEDaSP_SQ_EUlSP_E0_NS1_11comp_targetILNS1_3genE9ELNS1_11target_archE1100ELNS1_3gpuE3ELNS1_3repE0EEENS1_30default_config_static_selectorELNS0_4arch9wavefront6targetE1EEEvT1_
	.p2align	8
	.type	_ZN7rocprim17ROCPRIM_400000_NS6detail17trampoline_kernelINS0_14default_configENS1_20scan_config_selectorIxEEZZNS1_9scan_implILNS1_25lookback_scan_determinismE0ELb0ELb1ES3_N6thrust23THRUST_200600_302600_NS6detail15normal_iteratorINS9_10device_ptrIxEEEESE_xNS9_4plusIxEExEEDaPvRmT3_T4_T5_mT6_P12ihipStream_tbENKUlT_T0_E_clISt17integral_constantIbLb1EEST_IbLb0EEEEDaSP_SQ_EUlSP_E0_NS1_11comp_targetILNS1_3genE9ELNS1_11target_archE1100ELNS1_3gpuE3ELNS1_3repE0EEENS1_30default_config_static_selectorELNS0_4arch9wavefront6targetE1EEEvT1_,@function
_ZN7rocprim17ROCPRIM_400000_NS6detail17trampoline_kernelINS0_14default_configENS1_20scan_config_selectorIxEEZZNS1_9scan_implILNS1_25lookback_scan_determinismE0ELb0ELb1ES3_N6thrust23THRUST_200600_302600_NS6detail15normal_iteratorINS9_10device_ptrIxEEEESE_xNS9_4plusIxEExEEDaPvRmT3_T4_T5_mT6_P12ihipStream_tbENKUlT_T0_E_clISt17integral_constantIbLb1EEST_IbLb0EEEEDaSP_SQ_EUlSP_E0_NS1_11comp_targetILNS1_3genE9ELNS1_11target_archE1100ELNS1_3gpuE3ELNS1_3repE0EEENS1_30default_config_static_selectorELNS0_4arch9wavefront6targetE1EEEvT1_: ; @_ZN7rocprim17ROCPRIM_400000_NS6detail17trampoline_kernelINS0_14default_configENS1_20scan_config_selectorIxEEZZNS1_9scan_implILNS1_25lookback_scan_determinismE0ELb0ELb1ES3_N6thrust23THRUST_200600_302600_NS6detail15normal_iteratorINS9_10device_ptrIxEEEESE_xNS9_4plusIxEExEEDaPvRmT3_T4_T5_mT6_P12ihipStream_tbENKUlT_T0_E_clISt17integral_constantIbLb1EEST_IbLb0EEEEDaSP_SQ_EUlSP_E0_NS1_11comp_targetILNS1_3genE9ELNS1_11target_archE1100ELNS1_3gpuE3ELNS1_3repE0EEENS1_30default_config_static_selectorELNS0_4arch9wavefront6targetE1EEEvT1_
; %bb.0:
	.section	.rodata,"a",@progbits
	.p2align	6, 0x0
	.amdhsa_kernel _ZN7rocprim17ROCPRIM_400000_NS6detail17trampoline_kernelINS0_14default_configENS1_20scan_config_selectorIxEEZZNS1_9scan_implILNS1_25lookback_scan_determinismE0ELb0ELb1ES3_N6thrust23THRUST_200600_302600_NS6detail15normal_iteratorINS9_10device_ptrIxEEEESE_xNS9_4plusIxEExEEDaPvRmT3_T4_T5_mT6_P12ihipStream_tbENKUlT_T0_E_clISt17integral_constantIbLb1EEST_IbLb0EEEEDaSP_SQ_EUlSP_E0_NS1_11comp_targetILNS1_3genE9ELNS1_11target_archE1100ELNS1_3gpuE3ELNS1_3repE0EEENS1_30default_config_static_selectorELNS0_4arch9wavefront6targetE1EEEvT1_
		.amdhsa_group_segment_fixed_size 0
		.amdhsa_private_segment_fixed_size 0
		.amdhsa_kernarg_size 40
		.amdhsa_user_sgpr_count 6
		.amdhsa_user_sgpr_private_segment_buffer 1
		.amdhsa_user_sgpr_dispatch_ptr 0
		.amdhsa_user_sgpr_queue_ptr 0
		.amdhsa_user_sgpr_kernarg_segment_ptr 1
		.amdhsa_user_sgpr_dispatch_id 0
		.amdhsa_user_sgpr_flat_scratch_init 0
		.amdhsa_user_sgpr_kernarg_preload_length 0
		.amdhsa_user_sgpr_kernarg_preload_offset 0
		.amdhsa_user_sgpr_private_segment_size 0
		.amdhsa_uses_dynamic_stack 0
		.amdhsa_system_sgpr_private_segment_wavefront_offset 0
		.amdhsa_system_sgpr_workgroup_id_x 1
		.amdhsa_system_sgpr_workgroup_id_y 0
		.amdhsa_system_sgpr_workgroup_id_z 0
		.amdhsa_system_sgpr_workgroup_info 0
		.amdhsa_system_vgpr_workitem_id 0
		.amdhsa_next_free_vgpr 1
		.amdhsa_next_free_sgpr 0
		.amdhsa_accum_offset 4
		.amdhsa_reserve_vcc 0
		.amdhsa_reserve_flat_scratch 0
		.amdhsa_float_round_mode_32 0
		.amdhsa_float_round_mode_16_64 0
		.amdhsa_float_denorm_mode_32 3
		.amdhsa_float_denorm_mode_16_64 3
		.amdhsa_dx10_clamp 1
		.amdhsa_ieee_mode 1
		.amdhsa_fp16_overflow 0
		.amdhsa_tg_split 0
		.amdhsa_exception_fp_ieee_invalid_op 0
		.amdhsa_exception_fp_denorm_src 0
		.amdhsa_exception_fp_ieee_div_zero 0
		.amdhsa_exception_fp_ieee_overflow 0
		.amdhsa_exception_fp_ieee_underflow 0
		.amdhsa_exception_fp_ieee_inexact 0
		.amdhsa_exception_int_div_zero 0
	.end_amdhsa_kernel
	.section	.text._ZN7rocprim17ROCPRIM_400000_NS6detail17trampoline_kernelINS0_14default_configENS1_20scan_config_selectorIxEEZZNS1_9scan_implILNS1_25lookback_scan_determinismE0ELb0ELb1ES3_N6thrust23THRUST_200600_302600_NS6detail15normal_iteratorINS9_10device_ptrIxEEEESE_xNS9_4plusIxEExEEDaPvRmT3_T4_T5_mT6_P12ihipStream_tbENKUlT_T0_E_clISt17integral_constantIbLb1EEST_IbLb0EEEEDaSP_SQ_EUlSP_E0_NS1_11comp_targetILNS1_3genE9ELNS1_11target_archE1100ELNS1_3gpuE3ELNS1_3repE0EEENS1_30default_config_static_selectorELNS0_4arch9wavefront6targetE1EEEvT1_,"axG",@progbits,_ZN7rocprim17ROCPRIM_400000_NS6detail17trampoline_kernelINS0_14default_configENS1_20scan_config_selectorIxEEZZNS1_9scan_implILNS1_25lookback_scan_determinismE0ELb0ELb1ES3_N6thrust23THRUST_200600_302600_NS6detail15normal_iteratorINS9_10device_ptrIxEEEESE_xNS9_4plusIxEExEEDaPvRmT3_T4_T5_mT6_P12ihipStream_tbENKUlT_T0_E_clISt17integral_constantIbLb1EEST_IbLb0EEEEDaSP_SQ_EUlSP_E0_NS1_11comp_targetILNS1_3genE9ELNS1_11target_archE1100ELNS1_3gpuE3ELNS1_3repE0EEENS1_30default_config_static_selectorELNS0_4arch9wavefront6targetE1EEEvT1_,comdat
.Lfunc_end466:
	.size	_ZN7rocprim17ROCPRIM_400000_NS6detail17trampoline_kernelINS0_14default_configENS1_20scan_config_selectorIxEEZZNS1_9scan_implILNS1_25lookback_scan_determinismE0ELb0ELb1ES3_N6thrust23THRUST_200600_302600_NS6detail15normal_iteratorINS9_10device_ptrIxEEEESE_xNS9_4plusIxEExEEDaPvRmT3_T4_T5_mT6_P12ihipStream_tbENKUlT_T0_E_clISt17integral_constantIbLb1EEST_IbLb0EEEEDaSP_SQ_EUlSP_E0_NS1_11comp_targetILNS1_3genE9ELNS1_11target_archE1100ELNS1_3gpuE3ELNS1_3repE0EEENS1_30default_config_static_selectorELNS0_4arch9wavefront6targetE1EEEvT1_, .Lfunc_end466-_ZN7rocprim17ROCPRIM_400000_NS6detail17trampoline_kernelINS0_14default_configENS1_20scan_config_selectorIxEEZZNS1_9scan_implILNS1_25lookback_scan_determinismE0ELb0ELb1ES3_N6thrust23THRUST_200600_302600_NS6detail15normal_iteratorINS9_10device_ptrIxEEEESE_xNS9_4plusIxEExEEDaPvRmT3_T4_T5_mT6_P12ihipStream_tbENKUlT_T0_E_clISt17integral_constantIbLb1EEST_IbLb0EEEEDaSP_SQ_EUlSP_E0_NS1_11comp_targetILNS1_3genE9ELNS1_11target_archE1100ELNS1_3gpuE3ELNS1_3repE0EEENS1_30default_config_static_selectorELNS0_4arch9wavefront6targetE1EEEvT1_
                                        ; -- End function
	.section	.AMDGPU.csdata,"",@progbits
; Kernel info:
; codeLenInByte = 0
; NumSgprs: 4
; NumVgprs: 0
; NumAgprs: 0
; TotalNumVgprs: 0
; ScratchSize: 0
; MemoryBound: 0
; FloatMode: 240
; IeeeMode: 1
; LDSByteSize: 0 bytes/workgroup (compile time only)
; SGPRBlocks: 0
; VGPRBlocks: 0
; NumSGPRsForWavesPerEU: 4
; NumVGPRsForWavesPerEU: 1
; AccumOffset: 4
; Occupancy: 8
; WaveLimiterHint : 0
; COMPUTE_PGM_RSRC2:SCRATCH_EN: 0
; COMPUTE_PGM_RSRC2:USER_SGPR: 6
; COMPUTE_PGM_RSRC2:TRAP_HANDLER: 0
; COMPUTE_PGM_RSRC2:TGID_X_EN: 1
; COMPUTE_PGM_RSRC2:TGID_Y_EN: 0
; COMPUTE_PGM_RSRC2:TGID_Z_EN: 0
; COMPUTE_PGM_RSRC2:TIDIG_COMP_CNT: 0
; COMPUTE_PGM_RSRC3_GFX90A:ACCUM_OFFSET: 0
; COMPUTE_PGM_RSRC3_GFX90A:TG_SPLIT: 0
	.section	.text._ZN7rocprim17ROCPRIM_400000_NS6detail17trampoline_kernelINS0_14default_configENS1_20scan_config_selectorIxEEZZNS1_9scan_implILNS1_25lookback_scan_determinismE0ELb0ELb1ES3_N6thrust23THRUST_200600_302600_NS6detail15normal_iteratorINS9_10device_ptrIxEEEESE_xNS9_4plusIxEExEEDaPvRmT3_T4_T5_mT6_P12ihipStream_tbENKUlT_T0_E_clISt17integral_constantIbLb1EEST_IbLb0EEEEDaSP_SQ_EUlSP_E0_NS1_11comp_targetILNS1_3genE8ELNS1_11target_archE1030ELNS1_3gpuE2ELNS1_3repE0EEENS1_30default_config_static_selectorELNS0_4arch9wavefront6targetE1EEEvT1_,"axG",@progbits,_ZN7rocprim17ROCPRIM_400000_NS6detail17trampoline_kernelINS0_14default_configENS1_20scan_config_selectorIxEEZZNS1_9scan_implILNS1_25lookback_scan_determinismE0ELb0ELb1ES3_N6thrust23THRUST_200600_302600_NS6detail15normal_iteratorINS9_10device_ptrIxEEEESE_xNS9_4plusIxEExEEDaPvRmT3_T4_T5_mT6_P12ihipStream_tbENKUlT_T0_E_clISt17integral_constantIbLb1EEST_IbLb0EEEEDaSP_SQ_EUlSP_E0_NS1_11comp_targetILNS1_3genE8ELNS1_11target_archE1030ELNS1_3gpuE2ELNS1_3repE0EEENS1_30default_config_static_selectorELNS0_4arch9wavefront6targetE1EEEvT1_,comdat
	.protected	_ZN7rocprim17ROCPRIM_400000_NS6detail17trampoline_kernelINS0_14default_configENS1_20scan_config_selectorIxEEZZNS1_9scan_implILNS1_25lookback_scan_determinismE0ELb0ELb1ES3_N6thrust23THRUST_200600_302600_NS6detail15normal_iteratorINS9_10device_ptrIxEEEESE_xNS9_4plusIxEExEEDaPvRmT3_T4_T5_mT6_P12ihipStream_tbENKUlT_T0_E_clISt17integral_constantIbLb1EEST_IbLb0EEEEDaSP_SQ_EUlSP_E0_NS1_11comp_targetILNS1_3genE8ELNS1_11target_archE1030ELNS1_3gpuE2ELNS1_3repE0EEENS1_30default_config_static_selectorELNS0_4arch9wavefront6targetE1EEEvT1_ ; -- Begin function _ZN7rocprim17ROCPRIM_400000_NS6detail17trampoline_kernelINS0_14default_configENS1_20scan_config_selectorIxEEZZNS1_9scan_implILNS1_25lookback_scan_determinismE0ELb0ELb1ES3_N6thrust23THRUST_200600_302600_NS6detail15normal_iteratorINS9_10device_ptrIxEEEESE_xNS9_4plusIxEExEEDaPvRmT3_T4_T5_mT6_P12ihipStream_tbENKUlT_T0_E_clISt17integral_constantIbLb1EEST_IbLb0EEEEDaSP_SQ_EUlSP_E0_NS1_11comp_targetILNS1_3genE8ELNS1_11target_archE1030ELNS1_3gpuE2ELNS1_3repE0EEENS1_30default_config_static_selectorELNS0_4arch9wavefront6targetE1EEEvT1_
	.globl	_ZN7rocprim17ROCPRIM_400000_NS6detail17trampoline_kernelINS0_14default_configENS1_20scan_config_selectorIxEEZZNS1_9scan_implILNS1_25lookback_scan_determinismE0ELb0ELb1ES3_N6thrust23THRUST_200600_302600_NS6detail15normal_iteratorINS9_10device_ptrIxEEEESE_xNS9_4plusIxEExEEDaPvRmT3_T4_T5_mT6_P12ihipStream_tbENKUlT_T0_E_clISt17integral_constantIbLb1EEST_IbLb0EEEEDaSP_SQ_EUlSP_E0_NS1_11comp_targetILNS1_3genE8ELNS1_11target_archE1030ELNS1_3gpuE2ELNS1_3repE0EEENS1_30default_config_static_selectorELNS0_4arch9wavefront6targetE1EEEvT1_
	.p2align	8
	.type	_ZN7rocprim17ROCPRIM_400000_NS6detail17trampoline_kernelINS0_14default_configENS1_20scan_config_selectorIxEEZZNS1_9scan_implILNS1_25lookback_scan_determinismE0ELb0ELb1ES3_N6thrust23THRUST_200600_302600_NS6detail15normal_iteratorINS9_10device_ptrIxEEEESE_xNS9_4plusIxEExEEDaPvRmT3_T4_T5_mT6_P12ihipStream_tbENKUlT_T0_E_clISt17integral_constantIbLb1EEST_IbLb0EEEEDaSP_SQ_EUlSP_E0_NS1_11comp_targetILNS1_3genE8ELNS1_11target_archE1030ELNS1_3gpuE2ELNS1_3repE0EEENS1_30default_config_static_selectorELNS0_4arch9wavefront6targetE1EEEvT1_,@function
_ZN7rocprim17ROCPRIM_400000_NS6detail17trampoline_kernelINS0_14default_configENS1_20scan_config_selectorIxEEZZNS1_9scan_implILNS1_25lookback_scan_determinismE0ELb0ELb1ES3_N6thrust23THRUST_200600_302600_NS6detail15normal_iteratorINS9_10device_ptrIxEEEESE_xNS9_4plusIxEExEEDaPvRmT3_T4_T5_mT6_P12ihipStream_tbENKUlT_T0_E_clISt17integral_constantIbLb1EEST_IbLb0EEEEDaSP_SQ_EUlSP_E0_NS1_11comp_targetILNS1_3genE8ELNS1_11target_archE1030ELNS1_3gpuE2ELNS1_3repE0EEENS1_30default_config_static_selectorELNS0_4arch9wavefront6targetE1EEEvT1_: ; @_ZN7rocprim17ROCPRIM_400000_NS6detail17trampoline_kernelINS0_14default_configENS1_20scan_config_selectorIxEEZZNS1_9scan_implILNS1_25lookback_scan_determinismE0ELb0ELb1ES3_N6thrust23THRUST_200600_302600_NS6detail15normal_iteratorINS9_10device_ptrIxEEEESE_xNS9_4plusIxEExEEDaPvRmT3_T4_T5_mT6_P12ihipStream_tbENKUlT_T0_E_clISt17integral_constantIbLb1EEST_IbLb0EEEEDaSP_SQ_EUlSP_E0_NS1_11comp_targetILNS1_3genE8ELNS1_11target_archE1030ELNS1_3gpuE2ELNS1_3repE0EEENS1_30default_config_static_selectorELNS0_4arch9wavefront6targetE1EEEvT1_
; %bb.0:
	.section	.rodata,"a",@progbits
	.p2align	6, 0x0
	.amdhsa_kernel _ZN7rocprim17ROCPRIM_400000_NS6detail17trampoline_kernelINS0_14default_configENS1_20scan_config_selectorIxEEZZNS1_9scan_implILNS1_25lookback_scan_determinismE0ELb0ELb1ES3_N6thrust23THRUST_200600_302600_NS6detail15normal_iteratorINS9_10device_ptrIxEEEESE_xNS9_4plusIxEExEEDaPvRmT3_T4_T5_mT6_P12ihipStream_tbENKUlT_T0_E_clISt17integral_constantIbLb1EEST_IbLb0EEEEDaSP_SQ_EUlSP_E0_NS1_11comp_targetILNS1_3genE8ELNS1_11target_archE1030ELNS1_3gpuE2ELNS1_3repE0EEENS1_30default_config_static_selectorELNS0_4arch9wavefront6targetE1EEEvT1_
		.amdhsa_group_segment_fixed_size 0
		.amdhsa_private_segment_fixed_size 0
		.amdhsa_kernarg_size 40
		.amdhsa_user_sgpr_count 6
		.amdhsa_user_sgpr_private_segment_buffer 1
		.amdhsa_user_sgpr_dispatch_ptr 0
		.amdhsa_user_sgpr_queue_ptr 0
		.amdhsa_user_sgpr_kernarg_segment_ptr 1
		.amdhsa_user_sgpr_dispatch_id 0
		.amdhsa_user_sgpr_flat_scratch_init 0
		.amdhsa_user_sgpr_kernarg_preload_length 0
		.amdhsa_user_sgpr_kernarg_preload_offset 0
		.amdhsa_user_sgpr_private_segment_size 0
		.amdhsa_uses_dynamic_stack 0
		.amdhsa_system_sgpr_private_segment_wavefront_offset 0
		.amdhsa_system_sgpr_workgroup_id_x 1
		.amdhsa_system_sgpr_workgroup_id_y 0
		.amdhsa_system_sgpr_workgroup_id_z 0
		.amdhsa_system_sgpr_workgroup_info 0
		.amdhsa_system_vgpr_workitem_id 0
		.amdhsa_next_free_vgpr 1
		.amdhsa_next_free_sgpr 0
		.amdhsa_accum_offset 4
		.amdhsa_reserve_vcc 0
		.amdhsa_reserve_flat_scratch 0
		.amdhsa_float_round_mode_32 0
		.amdhsa_float_round_mode_16_64 0
		.amdhsa_float_denorm_mode_32 3
		.amdhsa_float_denorm_mode_16_64 3
		.amdhsa_dx10_clamp 1
		.amdhsa_ieee_mode 1
		.amdhsa_fp16_overflow 0
		.amdhsa_tg_split 0
		.amdhsa_exception_fp_ieee_invalid_op 0
		.amdhsa_exception_fp_denorm_src 0
		.amdhsa_exception_fp_ieee_div_zero 0
		.amdhsa_exception_fp_ieee_overflow 0
		.amdhsa_exception_fp_ieee_underflow 0
		.amdhsa_exception_fp_ieee_inexact 0
		.amdhsa_exception_int_div_zero 0
	.end_amdhsa_kernel
	.section	.text._ZN7rocprim17ROCPRIM_400000_NS6detail17trampoline_kernelINS0_14default_configENS1_20scan_config_selectorIxEEZZNS1_9scan_implILNS1_25lookback_scan_determinismE0ELb0ELb1ES3_N6thrust23THRUST_200600_302600_NS6detail15normal_iteratorINS9_10device_ptrIxEEEESE_xNS9_4plusIxEExEEDaPvRmT3_T4_T5_mT6_P12ihipStream_tbENKUlT_T0_E_clISt17integral_constantIbLb1EEST_IbLb0EEEEDaSP_SQ_EUlSP_E0_NS1_11comp_targetILNS1_3genE8ELNS1_11target_archE1030ELNS1_3gpuE2ELNS1_3repE0EEENS1_30default_config_static_selectorELNS0_4arch9wavefront6targetE1EEEvT1_,"axG",@progbits,_ZN7rocprim17ROCPRIM_400000_NS6detail17trampoline_kernelINS0_14default_configENS1_20scan_config_selectorIxEEZZNS1_9scan_implILNS1_25lookback_scan_determinismE0ELb0ELb1ES3_N6thrust23THRUST_200600_302600_NS6detail15normal_iteratorINS9_10device_ptrIxEEEESE_xNS9_4plusIxEExEEDaPvRmT3_T4_T5_mT6_P12ihipStream_tbENKUlT_T0_E_clISt17integral_constantIbLb1EEST_IbLb0EEEEDaSP_SQ_EUlSP_E0_NS1_11comp_targetILNS1_3genE8ELNS1_11target_archE1030ELNS1_3gpuE2ELNS1_3repE0EEENS1_30default_config_static_selectorELNS0_4arch9wavefront6targetE1EEEvT1_,comdat
.Lfunc_end467:
	.size	_ZN7rocprim17ROCPRIM_400000_NS6detail17trampoline_kernelINS0_14default_configENS1_20scan_config_selectorIxEEZZNS1_9scan_implILNS1_25lookback_scan_determinismE0ELb0ELb1ES3_N6thrust23THRUST_200600_302600_NS6detail15normal_iteratorINS9_10device_ptrIxEEEESE_xNS9_4plusIxEExEEDaPvRmT3_T4_T5_mT6_P12ihipStream_tbENKUlT_T0_E_clISt17integral_constantIbLb1EEST_IbLb0EEEEDaSP_SQ_EUlSP_E0_NS1_11comp_targetILNS1_3genE8ELNS1_11target_archE1030ELNS1_3gpuE2ELNS1_3repE0EEENS1_30default_config_static_selectorELNS0_4arch9wavefront6targetE1EEEvT1_, .Lfunc_end467-_ZN7rocprim17ROCPRIM_400000_NS6detail17trampoline_kernelINS0_14default_configENS1_20scan_config_selectorIxEEZZNS1_9scan_implILNS1_25lookback_scan_determinismE0ELb0ELb1ES3_N6thrust23THRUST_200600_302600_NS6detail15normal_iteratorINS9_10device_ptrIxEEEESE_xNS9_4plusIxEExEEDaPvRmT3_T4_T5_mT6_P12ihipStream_tbENKUlT_T0_E_clISt17integral_constantIbLb1EEST_IbLb0EEEEDaSP_SQ_EUlSP_E0_NS1_11comp_targetILNS1_3genE8ELNS1_11target_archE1030ELNS1_3gpuE2ELNS1_3repE0EEENS1_30default_config_static_selectorELNS0_4arch9wavefront6targetE1EEEvT1_
                                        ; -- End function
	.section	.AMDGPU.csdata,"",@progbits
; Kernel info:
; codeLenInByte = 0
; NumSgprs: 4
; NumVgprs: 0
; NumAgprs: 0
; TotalNumVgprs: 0
; ScratchSize: 0
; MemoryBound: 0
; FloatMode: 240
; IeeeMode: 1
; LDSByteSize: 0 bytes/workgroup (compile time only)
; SGPRBlocks: 0
; VGPRBlocks: 0
; NumSGPRsForWavesPerEU: 4
; NumVGPRsForWavesPerEU: 1
; AccumOffset: 4
; Occupancy: 8
; WaveLimiterHint : 0
; COMPUTE_PGM_RSRC2:SCRATCH_EN: 0
; COMPUTE_PGM_RSRC2:USER_SGPR: 6
; COMPUTE_PGM_RSRC2:TRAP_HANDLER: 0
; COMPUTE_PGM_RSRC2:TGID_X_EN: 1
; COMPUTE_PGM_RSRC2:TGID_Y_EN: 0
; COMPUTE_PGM_RSRC2:TGID_Z_EN: 0
; COMPUTE_PGM_RSRC2:TIDIG_COMP_CNT: 0
; COMPUTE_PGM_RSRC3_GFX90A:ACCUM_OFFSET: 0
; COMPUTE_PGM_RSRC3_GFX90A:TG_SPLIT: 0
	.section	.text._ZN7rocprim17ROCPRIM_400000_NS6detail17trampoline_kernelINS0_14default_configENS1_20scan_config_selectorIxEEZZNS1_9scan_implILNS1_25lookback_scan_determinismE0ELb0ELb1ES3_N6thrust23THRUST_200600_302600_NS6detail15normal_iteratorINS9_10device_ptrIxEEEESE_xNS9_4plusIxEExEEDaPvRmT3_T4_T5_mT6_P12ihipStream_tbENKUlT_T0_E_clISt17integral_constantIbLb0EEST_IbLb1EEEEDaSP_SQ_EUlSP_E_NS1_11comp_targetILNS1_3genE0ELNS1_11target_archE4294967295ELNS1_3gpuE0ELNS1_3repE0EEENS1_30default_config_static_selectorELNS0_4arch9wavefront6targetE1EEEvT1_,"axG",@progbits,_ZN7rocprim17ROCPRIM_400000_NS6detail17trampoline_kernelINS0_14default_configENS1_20scan_config_selectorIxEEZZNS1_9scan_implILNS1_25lookback_scan_determinismE0ELb0ELb1ES3_N6thrust23THRUST_200600_302600_NS6detail15normal_iteratorINS9_10device_ptrIxEEEESE_xNS9_4plusIxEExEEDaPvRmT3_T4_T5_mT6_P12ihipStream_tbENKUlT_T0_E_clISt17integral_constantIbLb0EEST_IbLb1EEEEDaSP_SQ_EUlSP_E_NS1_11comp_targetILNS1_3genE0ELNS1_11target_archE4294967295ELNS1_3gpuE0ELNS1_3repE0EEENS1_30default_config_static_selectorELNS0_4arch9wavefront6targetE1EEEvT1_,comdat
	.protected	_ZN7rocprim17ROCPRIM_400000_NS6detail17trampoline_kernelINS0_14default_configENS1_20scan_config_selectorIxEEZZNS1_9scan_implILNS1_25lookback_scan_determinismE0ELb0ELb1ES3_N6thrust23THRUST_200600_302600_NS6detail15normal_iteratorINS9_10device_ptrIxEEEESE_xNS9_4plusIxEExEEDaPvRmT3_T4_T5_mT6_P12ihipStream_tbENKUlT_T0_E_clISt17integral_constantIbLb0EEST_IbLb1EEEEDaSP_SQ_EUlSP_E_NS1_11comp_targetILNS1_3genE0ELNS1_11target_archE4294967295ELNS1_3gpuE0ELNS1_3repE0EEENS1_30default_config_static_selectorELNS0_4arch9wavefront6targetE1EEEvT1_ ; -- Begin function _ZN7rocprim17ROCPRIM_400000_NS6detail17trampoline_kernelINS0_14default_configENS1_20scan_config_selectorIxEEZZNS1_9scan_implILNS1_25lookback_scan_determinismE0ELb0ELb1ES3_N6thrust23THRUST_200600_302600_NS6detail15normal_iteratorINS9_10device_ptrIxEEEESE_xNS9_4plusIxEExEEDaPvRmT3_T4_T5_mT6_P12ihipStream_tbENKUlT_T0_E_clISt17integral_constantIbLb0EEST_IbLb1EEEEDaSP_SQ_EUlSP_E_NS1_11comp_targetILNS1_3genE0ELNS1_11target_archE4294967295ELNS1_3gpuE0ELNS1_3repE0EEENS1_30default_config_static_selectorELNS0_4arch9wavefront6targetE1EEEvT1_
	.globl	_ZN7rocprim17ROCPRIM_400000_NS6detail17trampoline_kernelINS0_14default_configENS1_20scan_config_selectorIxEEZZNS1_9scan_implILNS1_25lookback_scan_determinismE0ELb0ELb1ES3_N6thrust23THRUST_200600_302600_NS6detail15normal_iteratorINS9_10device_ptrIxEEEESE_xNS9_4plusIxEExEEDaPvRmT3_T4_T5_mT6_P12ihipStream_tbENKUlT_T0_E_clISt17integral_constantIbLb0EEST_IbLb1EEEEDaSP_SQ_EUlSP_E_NS1_11comp_targetILNS1_3genE0ELNS1_11target_archE4294967295ELNS1_3gpuE0ELNS1_3repE0EEENS1_30default_config_static_selectorELNS0_4arch9wavefront6targetE1EEEvT1_
	.p2align	8
	.type	_ZN7rocprim17ROCPRIM_400000_NS6detail17trampoline_kernelINS0_14default_configENS1_20scan_config_selectorIxEEZZNS1_9scan_implILNS1_25lookback_scan_determinismE0ELb0ELb1ES3_N6thrust23THRUST_200600_302600_NS6detail15normal_iteratorINS9_10device_ptrIxEEEESE_xNS9_4plusIxEExEEDaPvRmT3_T4_T5_mT6_P12ihipStream_tbENKUlT_T0_E_clISt17integral_constantIbLb0EEST_IbLb1EEEEDaSP_SQ_EUlSP_E_NS1_11comp_targetILNS1_3genE0ELNS1_11target_archE4294967295ELNS1_3gpuE0ELNS1_3repE0EEENS1_30default_config_static_selectorELNS0_4arch9wavefront6targetE1EEEvT1_,@function
_ZN7rocprim17ROCPRIM_400000_NS6detail17trampoline_kernelINS0_14default_configENS1_20scan_config_selectorIxEEZZNS1_9scan_implILNS1_25lookback_scan_determinismE0ELb0ELb1ES3_N6thrust23THRUST_200600_302600_NS6detail15normal_iteratorINS9_10device_ptrIxEEEESE_xNS9_4plusIxEExEEDaPvRmT3_T4_T5_mT6_P12ihipStream_tbENKUlT_T0_E_clISt17integral_constantIbLb0EEST_IbLb1EEEEDaSP_SQ_EUlSP_E_NS1_11comp_targetILNS1_3genE0ELNS1_11target_archE4294967295ELNS1_3gpuE0ELNS1_3repE0EEENS1_30default_config_static_selectorELNS0_4arch9wavefront6targetE1EEEvT1_: ; @_ZN7rocprim17ROCPRIM_400000_NS6detail17trampoline_kernelINS0_14default_configENS1_20scan_config_selectorIxEEZZNS1_9scan_implILNS1_25lookback_scan_determinismE0ELb0ELb1ES3_N6thrust23THRUST_200600_302600_NS6detail15normal_iteratorINS9_10device_ptrIxEEEESE_xNS9_4plusIxEExEEDaPvRmT3_T4_T5_mT6_P12ihipStream_tbENKUlT_T0_E_clISt17integral_constantIbLb0EEST_IbLb1EEEEDaSP_SQ_EUlSP_E_NS1_11comp_targetILNS1_3genE0ELNS1_11target_archE4294967295ELNS1_3gpuE0ELNS1_3repE0EEENS1_30default_config_static_selectorELNS0_4arch9wavefront6targetE1EEEvT1_
; %bb.0:
	.section	.rodata,"a",@progbits
	.p2align	6, 0x0
	.amdhsa_kernel _ZN7rocprim17ROCPRIM_400000_NS6detail17trampoline_kernelINS0_14default_configENS1_20scan_config_selectorIxEEZZNS1_9scan_implILNS1_25lookback_scan_determinismE0ELb0ELb1ES3_N6thrust23THRUST_200600_302600_NS6detail15normal_iteratorINS9_10device_ptrIxEEEESE_xNS9_4plusIxEExEEDaPvRmT3_T4_T5_mT6_P12ihipStream_tbENKUlT_T0_E_clISt17integral_constantIbLb0EEST_IbLb1EEEEDaSP_SQ_EUlSP_E_NS1_11comp_targetILNS1_3genE0ELNS1_11target_archE4294967295ELNS1_3gpuE0ELNS1_3repE0EEENS1_30default_config_static_selectorELNS0_4arch9wavefront6targetE1EEEvT1_
		.amdhsa_group_segment_fixed_size 0
		.amdhsa_private_segment_fixed_size 0
		.amdhsa_kernarg_size 104
		.amdhsa_user_sgpr_count 6
		.amdhsa_user_sgpr_private_segment_buffer 1
		.amdhsa_user_sgpr_dispatch_ptr 0
		.amdhsa_user_sgpr_queue_ptr 0
		.amdhsa_user_sgpr_kernarg_segment_ptr 1
		.amdhsa_user_sgpr_dispatch_id 0
		.amdhsa_user_sgpr_flat_scratch_init 0
		.amdhsa_user_sgpr_kernarg_preload_length 0
		.amdhsa_user_sgpr_kernarg_preload_offset 0
		.amdhsa_user_sgpr_private_segment_size 0
		.amdhsa_uses_dynamic_stack 0
		.amdhsa_system_sgpr_private_segment_wavefront_offset 0
		.amdhsa_system_sgpr_workgroup_id_x 1
		.amdhsa_system_sgpr_workgroup_id_y 0
		.amdhsa_system_sgpr_workgroup_id_z 0
		.amdhsa_system_sgpr_workgroup_info 0
		.amdhsa_system_vgpr_workitem_id 0
		.amdhsa_next_free_vgpr 1
		.amdhsa_next_free_sgpr 0
		.amdhsa_accum_offset 4
		.amdhsa_reserve_vcc 0
		.amdhsa_reserve_flat_scratch 0
		.amdhsa_float_round_mode_32 0
		.amdhsa_float_round_mode_16_64 0
		.amdhsa_float_denorm_mode_32 3
		.amdhsa_float_denorm_mode_16_64 3
		.amdhsa_dx10_clamp 1
		.amdhsa_ieee_mode 1
		.amdhsa_fp16_overflow 0
		.amdhsa_tg_split 0
		.amdhsa_exception_fp_ieee_invalid_op 0
		.amdhsa_exception_fp_denorm_src 0
		.amdhsa_exception_fp_ieee_div_zero 0
		.amdhsa_exception_fp_ieee_overflow 0
		.amdhsa_exception_fp_ieee_underflow 0
		.amdhsa_exception_fp_ieee_inexact 0
		.amdhsa_exception_int_div_zero 0
	.end_amdhsa_kernel
	.section	.text._ZN7rocprim17ROCPRIM_400000_NS6detail17trampoline_kernelINS0_14default_configENS1_20scan_config_selectorIxEEZZNS1_9scan_implILNS1_25lookback_scan_determinismE0ELb0ELb1ES3_N6thrust23THRUST_200600_302600_NS6detail15normal_iteratorINS9_10device_ptrIxEEEESE_xNS9_4plusIxEExEEDaPvRmT3_T4_T5_mT6_P12ihipStream_tbENKUlT_T0_E_clISt17integral_constantIbLb0EEST_IbLb1EEEEDaSP_SQ_EUlSP_E_NS1_11comp_targetILNS1_3genE0ELNS1_11target_archE4294967295ELNS1_3gpuE0ELNS1_3repE0EEENS1_30default_config_static_selectorELNS0_4arch9wavefront6targetE1EEEvT1_,"axG",@progbits,_ZN7rocprim17ROCPRIM_400000_NS6detail17trampoline_kernelINS0_14default_configENS1_20scan_config_selectorIxEEZZNS1_9scan_implILNS1_25lookback_scan_determinismE0ELb0ELb1ES3_N6thrust23THRUST_200600_302600_NS6detail15normal_iteratorINS9_10device_ptrIxEEEESE_xNS9_4plusIxEExEEDaPvRmT3_T4_T5_mT6_P12ihipStream_tbENKUlT_T0_E_clISt17integral_constantIbLb0EEST_IbLb1EEEEDaSP_SQ_EUlSP_E_NS1_11comp_targetILNS1_3genE0ELNS1_11target_archE4294967295ELNS1_3gpuE0ELNS1_3repE0EEENS1_30default_config_static_selectorELNS0_4arch9wavefront6targetE1EEEvT1_,comdat
.Lfunc_end468:
	.size	_ZN7rocprim17ROCPRIM_400000_NS6detail17trampoline_kernelINS0_14default_configENS1_20scan_config_selectorIxEEZZNS1_9scan_implILNS1_25lookback_scan_determinismE0ELb0ELb1ES3_N6thrust23THRUST_200600_302600_NS6detail15normal_iteratorINS9_10device_ptrIxEEEESE_xNS9_4plusIxEExEEDaPvRmT3_T4_T5_mT6_P12ihipStream_tbENKUlT_T0_E_clISt17integral_constantIbLb0EEST_IbLb1EEEEDaSP_SQ_EUlSP_E_NS1_11comp_targetILNS1_3genE0ELNS1_11target_archE4294967295ELNS1_3gpuE0ELNS1_3repE0EEENS1_30default_config_static_selectorELNS0_4arch9wavefront6targetE1EEEvT1_, .Lfunc_end468-_ZN7rocprim17ROCPRIM_400000_NS6detail17trampoline_kernelINS0_14default_configENS1_20scan_config_selectorIxEEZZNS1_9scan_implILNS1_25lookback_scan_determinismE0ELb0ELb1ES3_N6thrust23THRUST_200600_302600_NS6detail15normal_iteratorINS9_10device_ptrIxEEEESE_xNS9_4plusIxEExEEDaPvRmT3_T4_T5_mT6_P12ihipStream_tbENKUlT_T0_E_clISt17integral_constantIbLb0EEST_IbLb1EEEEDaSP_SQ_EUlSP_E_NS1_11comp_targetILNS1_3genE0ELNS1_11target_archE4294967295ELNS1_3gpuE0ELNS1_3repE0EEENS1_30default_config_static_selectorELNS0_4arch9wavefront6targetE1EEEvT1_
                                        ; -- End function
	.section	.AMDGPU.csdata,"",@progbits
; Kernel info:
; codeLenInByte = 0
; NumSgprs: 4
; NumVgprs: 0
; NumAgprs: 0
; TotalNumVgprs: 0
; ScratchSize: 0
; MemoryBound: 0
; FloatMode: 240
; IeeeMode: 1
; LDSByteSize: 0 bytes/workgroup (compile time only)
; SGPRBlocks: 0
; VGPRBlocks: 0
; NumSGPRsForWavesPerEU: 4
; NumVGPRsForWavesPerEU: 1
; AccumOffset: 4
; Occupancy: 8
; WaveLimiterHint : 0
; COMPUTE_PGM_RSRC2:SCRATCH_EN: 0
; COMPUTE_PGM_RSRC2:USER_SGPR: 6
; COMPUTE_PGM_RSRC2:TRAP_HANDLER: 0
; COMPUTE_PGM_RSRC2:TGID_X_EN: 1
; COMPUTE_PGM_RSRC2:TGID_Y_EN: 0
; COMPUTE_PGM_RSRC2:TGID_Z_EN: 0
; COMPUTE_PGM_RSRC2:TIDIG_COMP_CNT: 0
; COMPUTE_PGM_RSRC3_GFX90A:ACCUM_OFFSET: 0
; COMPUTE_PGM_RSRC3_GFX90A:TG_SPLIT: 0
	.section	.text._ZN7rocprim17ROCPRIM_400000_NS6detail17trampoline_kernelINS0_14default_configENS1_20scan_config_selectorIxEEZZNS1_9scan_implILNS1_25lookback_scan_determinismE0ELb0ELb1ES3_N6thrust23THRUST_200600_302600_NS6detail15normal_iteratorINS9_10device_ptrIxEEEESE_xNS9_4plusIxEExEEDaPvRmT3_T4_T5_mT6_P12ihipStream_tbENKUlT_T0_E_clISt17integral_constantIbLb0EEST_IbLb1EEEEDaSP_SQ_EUlSP_E_NS1_11comp_targetILNS1_3genE5ELNS1_11target_archE942ELNS1_3gpuE9ELNS1_3repE0EEENS1_30default_config_static_selectorELNS0_4arch9wavefront6targetE1EEEvT1_,"axG",@progbits,_ZN7rocprim17ROCPRIM_400000_NS6detail17trampoline_kernelINS0_14default_configENS1_20scan_config_selectorIxEEZZNS1_9scan_implILNS1_25lookback_scan_determinismE0ELb0ELb1ES3_N6thrust23THRUST_200600_302600_NS6detail15normal_iteratorINS9_10device_ptrIxEEEESE_xNS9_4plusIxEExEEDaPvRmT3_T4_T5_mT6_P12ihipStream_tbENKUlT_T0_E_clISt17integral_constantIbLb0EEST_IbLb1EEEEDaSP_SQ_EUlSP_E_NS1_11comp_targetILNS1_3genE5ELNS1_11target_archE942ELNS1_3gpuE9ELNS1_3repE0EEENS1_30default_config_static_selectorELNS0_4arch9wavefront6targetE1EEEvT1_,comdat
	.protected	_ZN7rocprim17ROCPRIM_400000_NS6detail17trampoline_kernelINS0_14default_configENS1_20scan_config_selectorIxEEZZNS1_9scan_implILNS1_25lookback_scan_determinismE0ELb0ELb1ES3_N6thrust23THRUST_200600_302600_NS6detail15normal_iteratorINS9_10device_ptrIxEEEESE_xNS9_4plusIxEExEEDaPvRmT3_T4_T5_mT6_P12ihipStream_tbENKUlT_T0_E_clISt17integral_constantIbLb0EEST_IbLb1EEEEDaSP_SQ_EUlSP_E_NS1_11comp_targetILNS1_3genE5ELNS1_11target_archE942ELNS1_3gpuE9ELNS1_3repE0EEENS1_30default_config_static_selectorELNS0_4arch9wavefront6targetE1EEEvT1_ ; -- Begin function _ZN7rocprim17ROCPRIM_400000_NS6detail17trampoline_kernelINS0_14default_configENS1_20scan_config_selectorIxEEZZNS1_9scan_implILNS1_25lookback_scan_determinismE0ELb0ELb1ES3_N6thrust23THRUST_200600_302600_NS6detail15normal_iteratorINS9_10device_ptrIxEEEESE_xNS9_4plusIxEExEEDaPvRmT3_T4_T5_mT6_P12ihipStream_tbENKUlT_T0_E_clISt17integral_constantIbLb0EEST_IbLb1EEEEDaSP_SQ_EUlSP_E_NS1_11comp_targetILNS1_3genE5ELNS1_11target_archE942ELNS1_3gpuE9ELNS1_3repE0EEENS1_30default_config_static_selectorELNS0_4arch9wavefront6targetE1EEEvT1_
	.globl	_ZN7rocprim17ROCPRIM_400000_NS6detail17trampoline_kernelINS0_14default_configENS1_20scan_config_selectorIxEEZZNS1_9scan_implILNS1_25lookback_scan_determinismE0ELb0ELb1ES3_N6thrust23THRUST_200600_302600_NS6detail15normal_iteratorINS9_10device_ptrIxEEEESE_xNS9_4plusIxEExEEDaPvRmT3_T4_T5_mT6_P12ihipStream_tbENKUlT_T0_E_clISt17integral_constantIbLb0EEST_IbLb1EEEEDaSP_SQ_EUlSP_E_NS1_11comp_targetILNS1_3genE5ELNS1_11target_archE942ELNS1_3gpuE9ELNS1_3repE0EEENS1_30default_config_static_selectorELNS0_4arch9wavefront6targetE1EEEvT1_
	.p2align	8
	.type	_ZN7rocprim17ROCPRIM_400000_NS6detail17trampoline_kernelINS0_14default_configENS1_20scan_config_selectorIxEEZZNS1_9scan_implILNS1_25lookback_scan_determinismE0ELb0ELb1ES3_N6thrust23THRUST_200600_302600_NS6detail15normal_iteratorINS9_10device_ptrIxEEEESE_xNS9_4plusIxEExEEDaPvRmT3_T4_T5_mT6_P12ihipStream_tbENKUlT_T0_E_clISt17integral_constantIbLb0EEST_IbLb1EEEEDaSP_SQ_EUlSP_E_NS1_11comp_targetILNS1_3genE5ELNS1_11target_archE942ELNS1_3gpuE9ELNS1_3repE0EEENS1_30default_config_static_selectorELNS0_4arch9wavefront6targetE1EEEvT1_,@function
_ZN7rocprim17ROCPRIM_400000_NS6detail17trampoline_kernelINS0_14default_configENS1_20scan_config_selectorIxEEZZNS1_9scan_implILNS1_25lookback_scan_determinismE0ELb0ELb1ES3_N6thrust23THRUST_200600_302600_NS6detail15normal_iteratorINS9_10device_ptrIxEEEESE_xNS9_4plusIxEExEEDaPvRmT3_T4_T5_mT6_P12ihipStream_tbENKUlT_T0_E_clISt17integral_constantIbLb0EEST_IbLb1EEEEDaSP_SQ_EUlSP_E_NS1_11comp_targetILNS1_3genE5ELNS1_11target_archE942ELNS1_3gpuE9ELNS1_3repE0EEENS1_30default_config_static_selectorELNS0_4arch9wavefront6targetE1EEEvT1_: ; @_ZN7rocprim17ROCPRIM_400000_NS6detail17trampoline_kernelINS0_14default_configENS1_20scan_config_selectorIxEEZZNS1_9scan_implILNS1_25lookback_scan_determinismE0ELb0ELb1ES3_N6thrust23THRUST_200600_302600_NS6detail15normal_iteratorINS9_10device_ptrIxEEEESE_xNS9_4plusIxEExEEDaPvRmT3_T4_T5_mT6_P12ihipStream_tbENKUlT_T0_E_clISt17integral_constantIbLb0EEST_IbLb1EEEEDaSP_SQ_EUlSP_E_NS1_11comp_targetILNS1_3genE5ELNS1_11target_archE942ELNS1_3gpuE9ELNS1_3repE0EEENS1_30default_config_static_selectorELNS0_4arch9wavefront6targetE1EEEvT1_
; %bb.0:
	.section	.rodata,"a",@progbits
	.p2align	6, 0x0
	.amdhsa_kernel _ZN7rocprim17ROCPRIM_400000_NS6detail17trampoline_kernelINS0_14default_configENS1_20scan_config_selectorIxEEZZNS1_9scan_implILNS1_25lookback_scan_determinismE0ELb0ELb1ES3_N6thrust23THRUST_200600_302600_NS6detail15normal_iteratorINS9_10device_ptrIxEEEESE_xNS9_4plusIxEExEEDaPvRmT3_T4_T5_mT6_P12ihipStream_tbENKUlT_T0_E_clISt17integral_constantIbLb0EEST_IbLb1EEEEDaSP_SQ_EUlSP_E_NS1_11comp_targetILNS1_3genE5ELNS1_11target_archE942ELNS1_3gpuE9ELNS1_3repE0EEENS1_30default_config_static_selectorELNS0_4arch9wavefront6targetE1EEEvT1_
		.amdhsa_group_segment_fixed_size 0
		.amdhsa_private_segment_fixed_size 0
		.amdhsa_kernarg_size 104
		.amdhsa_user_sgpr_count 6
		.amdhsa_user_sgpr_private_segment_buffer 1
		.amdhsa_user_sgpr_dispatch_ptr 0
		.amdhsa_user_sgpr_queue_ptr 0
		.amdhsa_user_sgpr_kernarg_segment_ptr 1
		.amdhsa_user_sgpr_dispatch_id 0
		.amdhsa_user_sgpr_flat_scratch_init 0
		.amdhsa_user_sgpr_kernarg_preload_length 0
		.amdhsa_user_sgpr_kernarg_preload_offset 0
		.amdhsa_user_sgpr_private_segment_size 0
		.amdhsa_uses_dynamic_stack 0
		.amdhsa_system_sgpr_private_segment_wavefront_offset 0
		.amdhsa_system_sgpr_workgroup_id_x 1
		.amdhsa_system_sgpr_workgroup_id_y 0
		.amdhsa_system_sgpr_workgroup_id_z 0
		.amdhsa_system_sgpr_workgroup_info 0
		.amdhsa_system_vgpr_workitem_id 0
		.amdhsa_next_free_vgpr 1
		.amdhsa_next_free_sgpr 0
		.amdhsa_accum_offset 4
		.amdhsa_reserve_vcc 0
		.amdhsa_reserve_flat_scratch 0
		.amdhsa_float_round_mode_32 0
		.amdhsa_float_round_mode_16_64 0
		.amdhsa_float_denorm_mode_32 3
		.amdhsa_float_denorm_mode_16_64 3
		.amdhsa_dx10_clamp 1
		.amdhsa_ieee_mode 1
		.amdhsa_fp16_overflow 0
		.amdhsa_tg_split 0
		.amdhsa_exception_fp_ieee_invalid_op 0
		.amdhsa_exception_fp_denorm_src 0
		.amdhsa_exception_fp_ieee_div_zero 0
		.amdhsa_exception_fp_ieee_overflow 0
		.amdhsa_exception_fp_ieee_underflow 0
		.amdhsa_exception_fp_ieee_inexact 0
		.amdhsa_exception_int_div_zero 0
	.end_amdhsa_kernel
	.section	.text._ZN7rocprim17ROCPRIM_400000_NS6detail17trampoline_kernelINS0_14default_configENS1_20scan_config_selectorIxEEZZNS1_9scan_implILNS1_25lookback_scan_determinismE0ELb0ELb1ES3_N6thrust23THRUST_200600_302600_NS6detail15normal_iteratorINS9_10device_ptrIxEEEESE_xNS9_4plusIxEExEEDaPvRmT3_T4_T5_mT6_P12ihipStream_tbENKUlT_T0_E_clISt17integral_constantIbLb0EEST_IbLb1EEEEDaSP_SQ_EUlSP_E_NS1_11comp_targetILNS1_3genE5ELNS1_11target_archE942ELNS1_3gpuE9ELNS1_3repE0EEENS1_30default_config_static_selectorELNS0_4arch9wavefront6targetE1EEEvT1_,"axG",@progbits,_ZN7rocprim17ROCPRIM_400000_NS6detail17trampoline_kernelINS0_14default_configENS1_20scan_config_selectorIxEEZZNS1_9scan_implILNS1_25lookback_scan_determinismE0ELb0ELb1ES3_N6thrust23THRUST_200600_302600_NS6detail15normal_iteratorINS9_10device_ptrIxEEEESE_xNS9_4plusIxEExEEDaPvRmT3_T4_T5_mT6_P12ihipStream_tbENKUlT_T0_E_clISt17integral_constantIbLb0EEST_IbLb1EEEEDaSP_SQ_EUlSP_E_NS1_11comp_targetILNS1_3genE5ELNS1_11target_archE942ELNS1_3gpuE9ELNS1_3repE0EEENS1_30default_config_static_selectorELNS0_4arch9wavefront6targetE1EEEvT1_,comdat
.Lfunc_end469:
	.size	_ZN7rocprim17ROCPRIM_400000_NS6detail17trampoline_kernelINS0_14default_configENS1_20scan_config_selectorIxEEZZNS1_9scan_implILNS1_25lookback_scan_determinismE0ELb0ELb1ES3_N6thrust23THRUST_200600_302600_NS6detail15normal_iteratorINS9_10device_ptrIxEEEESE_xNS9_4plusIxEExEEDaPvRmT3_T4_T5_mT6_P12ihipStream_tbENKUlT_T0_E_clISt17integral_constantIbLb0EEST_IbLb1EEEEDaSP_SQ_EUlSP_E_NS1_11comp_targetILNS1_3genE5ELNS1_11target_archE942ELNS1_3gpuE9ELNS1_3repE0EEENS1_30default_config_static_selectorELNS0_4arch9wavefront6targetE1EEEvT1_, .Lfunc_end469-_ZN7rocprim17ROCPRIM_400000_NS6detail17trampoline_kernelINS0_14default_configENS1_20scan_config_selectorIxEEZZNS1_9scan_implILNS1_25lookback_scan_determinismE0ELb0ELb1ES3_N6thrust23THRUST_200600_302600_NS6detail15normal_iteratorINS9_10device_ptrIxEEEESE_xNS9_4plusIxEExEEDaPvRmT3_T4_T5_mT6_P12ihipStream_tbENKUlT_T0_E_clISt17integral_constantIbLb0EEST_IbLb1EEEEDaSP_SQ_EUlSP_E_NS1_11comp_targetILNS1_3genE5ELNS1_11target_archE942ELNS1_3gpuE9ELNS1_3repE0EEENS1_30default_config_static_selectorELNS0_4arch9wavefront6targetE1EEEvT1_
                                        ; -- End function
	.section	.AMDGPU.csdata,"",@progbits
; Kernel info:
; codeLenInByte = 0
; NumSgprs: 4
; NumVgprs: 0
; NumAgprs: 0
; TotalNumVgprs: 0
; ScratchSize: 0
; MemoryBound: 0
; FloatMode: 240
; IeeeMode: 1
; LDSByteSize: 0 bytes/workgroup (compile time only)
; SGPRBlocks: 0
; VGPRBlocks: 0
; NumSGPRsForWavesPerEU: 4
; NumVGPRsForWavesPerEU: 1
; AccumOffset: 4
; Occupancy: 8
; WaveLimiterHint : 0
; COMPUTE_PGM_RSRC2:SCRATCH_EN: 0
; COMPUTE_PGM_RSRC2:USER_SGPR: 6
; COMPUTE_PGM_RSRC2:TRAP_HANDLER: 0
; COMPUTE_PGM_RSRC2:TGID_X_EN: 1
; COMPUTE_PGM_RSRC2:TGID_Y_EN: 0
; COMPUTE_PGM_RSRC2:TGID_Z_EN: 0
; COMPUTE_PGM_RSRC2:TIDIG_COMP_CNT: 0
; COMPUTE_PGM_RSRC3_GFX90A:ACCUM_OFFSET: 0
; COMPUTE_PGM_RSRC3_GFX90A:TG_SPLIT: 0
	.section	.text._ZN7rocprim17ROCPRIM_400000_NS6detail17trampoline_kernelINS0_14default_configENS1_20scan_config_selectorIxEEZZNS1_9scan_implILNS1_25lookback_scan_determinismE0ELb0ELb1ES3_N6thrust23THRUST_200600_302600_NS6detail15normal_iteratorINS9_10device_ptrIxEEEESE_xNS9_4plusIxEExEEDaPvRmT3_T4_T5_mT6_P12ihipStream_tbENKUlT_T0_E_clISt17integral_constantIbLb0EEST_IbLb1EEEEDaSP_SQ_EUlSP_E_NS1_11comp_targetILNS1_3genE4ELNS1_11target_archE910ELNS1_3gpuE8ELNS1_3repE0EEENS1_30default_config_static_selectorELNS0_4arch9wavefront6targetE1EEEvT1_,"axG",@progbits,_ZN7rocprim17ROCPRIM_400000_NS6detail17trampoline_kernelINS0_14default_configENS1_20scan_config_selectorIxEEZZNS1_9scan_implILNS1_25lookback_scan_determinismE0ELb0ELb1ES3_N6thrust23THRUST_200600_302600_NS6detail15normal_iteratorINS9_10device_ptrIxEEEESE_xNS9_4plusIxEExEEDaPvRmT3_T4_T5_mT6_P12ihipStream_tbENKUlT_T0_E_clISt17integral_constantIbLb0EEST_IbLb1EEEEDaSP_SQ_EUlSP_E_NS1_11comp_targetILNS1_3genE4ELNS1_11target_archE910ELNS1_3gpuE8ELNS1_3repE0EEENS1_30default_config_static_selectorELNS0_4arch9wavefront6targetE1EEEvT1_,comdat
	.protected	_ZN7rocprim17ROCPRIM_400000_NS6detail17trampoline_kernelINS0_14default_configENS1_20scan_config_selectorIxEEZZNS1_9scan_implILNS1_25lookback_scan_determinismE0ELb0ELb1ES3_N6thrust23THRUST_200600_302600_NS6detail15normal_iteratorINS9_10device_ptrIxEEEESE_xNS9_4plusIxEExEEDaPvRmT3_T4_T5_mT6_P12ihipStream_tbENKUlT_T0_E_clISt17integral_constantIbLb0EEST_IbLb1EEEEDaSP_SQ_EUlSP_E_NS1_11comp_targetILNS1_3genE4ELNS1_11target_archE910ELNS1_3gpuE8ELNS1_3repE0EEENS1_30default_config_static_selectorELNS0_4arch9wavefront6targetE1EEEvT1_ ; -- Begin function _ZN7rocprim17ROCPRIM_400000_NS6detail17trampoline_kernelINS0_14default_configENS1_20scan_config_selectorIxEEZZNS1_9scan_implILNS1_25lookback_scan_determinismE0ELb0ELb1ES3_N6thrust23THRUST_200600_302600_NS6detail15normal_iteratorINS9_10device_ptrIxEEEESE_xNS9_4plusIxEExEEDaPvRmT3_T4_T5_mT6_P12ihipStream_tbENKUlT_T0_E_clISt17integral_constantIbLb0EEST_IbLb1EEEEDaSP_SQ_EUlSP_E_NS1_11comp_targetILNS1_3genE4ELNS1_11target_archE910ELNS1_3gpuE8ELNS1_3repE0EEENS1_30default_config_static_selectorELNS0_4arch9wavefront6targetE1EEEvT1_
	.globl	_ZN7rocprim17ROCPRIM_400000_NS6detail17trampoline_kernelINS0_14default_configENS1_20scan_config_selectorIxEEZZNS1_9scan_implILNS1_25lookback_scan_determinismE0ELb0ELb1ES3_N6thrust23THRUST_200600_302600_NS6detail15normal_iteratorINS9_10device_ptrIxEEEESE_xNS9_4plusIxEExEEDaPvRmT3_T4_T5_mT6_P12ihipStream_tbENKUlT_T0_E_clISt17integral_constantIbLb0EEST_IbLb1EEEEDaSP_SQ_EUlSP_E_NS1_11comp_targetILNS1_3genE4ELNS1_11target_archE910ELNS1_3gpuE8ELNS1_3repE0EEENS1_30default_config_static_selectorELNS0_4arch9wavefront6targetE1EEEvT1_
	.p2align	8
	.type	_ZN7rocprim17ROCPRIM_400000_NS6detail17trampoline_kernelINS0_14default_configENS1_20scan_config_selectorIxEEZZNS1_9scan_implILNS1_25lookback_scan_determinismE0ELb0ELb1ES3_N6thrust23THRUST_200600_302600_NS6detail15normal_iteratorINS9_10device_ptrIxEEEESE_xNS9_4plusIxEExEEDaPvRmT3_T4_T5_mT6_P12ihipStream_tbENKUlT_T0_E_clISt17integral_constantIbLb0EEST_IbLb1EEEEDaSP_SQ_EUlSP_E_NS1_11comp_targetILNS1_3genE4ELNS1_11target_archE910ELNS1_3gpuE8ELNS1_3repE0EEENS1_30default_config_static_selectorELNS0_4arch9wavefront6targetE1EEEvT1_,@function
_ZN7rocprim17ROCPRIM_400000_NS6detail17trampoline_kernelINS0_14default_configENS1_20scan_config_selectorIxEEZZNS1_9scan_implILNS1_25lookback_scan_determinismE0ELb0ELb1ES3_N6thrust23THRUST_200600_302600_NS6detail15normal_iteratorINS9_10device_ptrIxEEEESE_xNS9_4plusIxEExEEDaPvRmT3_T4_T5_mT6_P12ihipStream_tbENKUlT_T0_E_clISt17integral_constantIbLb0EEST_IbLb1EEEEDaSP_SQ_EUlSP_E_NS1_11comp_targetILNS1_3genE4ELNS1_11target_archE910ELNS1_3gpuE8ELNS1_3repE0EEENS1_30default_config_static_selectorELNS0_4arch9wavefront6targetE1EEEvT1_: ; @_ZN7rocprim17ROCPRIM_400000_NS6detail17trampoline_kernelINS0_14default_configENS1_20scan_config_selectorIxEEZZNS1_9scan_implILNS1_25lookback_scan_determinismE0ELb0ELb1ES3_N6thrust23THRUST_200600_302600_NS6detail15normal_iteratorINS9_10device_ptrIxEEEESE_xNS9_4plusIxEExEEDaPvRmT3_T4_T5_mT6_P12ihipStream_tbENKUlT_T0_E_clISt17integral_constantIbLb0EEST_IbLb1EEEEDaSP_SQ_EUlSP_E_NS1_11comp_targetILNS1_3genE4ELNS1_11target_archE910ELNS1_3gpuE8ELNS1_3repE0EEENS1_30default_config_static_selectorELNS0_4arch9wavefront6targetE1EEEvT1_
; %bb.0:
	s_load_dwordx8 s[20:27], s[4:5], 0x0
	s_load_dwordx2 s[28:29], s[4:5], 0x20
	s_load_dwordx2 s[10:11], s[4:5], 0x30
	v_cmp_ne_u32_e64 s[0:1], 0, v0
	v_cmp_eq_u32_e64 s[2:3], 0, v0
	s_and_saveexec_b64 s[6:7], s[2:3]
	s_cbranch_execz .LBB470_4
; %bb.1:
	s_mov_b64 s[12:13], exec
	v_mbcnt_lo_u32_b32 v1, s12, 0
	v_mbcnt_hi_u32_b32 v1, s13, v1
	v_cmp_eq_u32_e32 vcc, 0, v1
                                        ; implicit-def: $vgpr2
	s_and_saveexec_b64 s[8:9], vcc
	s_cbranch_execz .LBB470_3
; %bb.2:
	s_load_dwordx2 s[14:15], s[4:5], 0x60
	s_bcnt1_i32_b64 s12, s[12:13]
	v_mov_b32_e32 v2, 0
	v_mov_b32_e32 v3, s12
	s_waitcnt lgkmcnt(0)
	global_atomic_add v2, v2, v3, s[14:15] glc
.LBB470_3:
	s_or_b64 exec, exec, s[8:9]
	s_waitcnt vmcnt(0)
	v_readfirstlane_b32 s8, v2
	v_add_u32_e32 v1, s8, v1
	v_mov_b32_e32 v2, 0
	ds_write_b32 v2, v1
.LBB470_4:
	s_or_b64 exec, exec, s[6:7]
	s_load_dword s6, s[4:5], 0x38
	s_load_dwordx8 s[12:19], s[4:5], 0x40
	v_mov_b32_e32 v1, 0
	s_waitcnt lgkmcnt(0)
	s_barrier
	ds_read_b32 v1, v1
	s_lshl_b64 s[22:23], s[22:23], 3
	s_add_u32 s7, s20, s22
	s_addc_u32 s8, s21, s23
	s_add_i32 s6, s6, -1
	s_mul_i32 s9, s6, 0x380
	s_sub_u32 s33, s26, s9
	s_waitcnt lgkmcnt(0)
	v_readfirstlane_b32 s35, v1
	s_subb_u32 s34, s27, 0
	s_mul_i32 s4, s35, 0x380
	s_mov_b32 s5, 0
	s_cmp_lg_u32 s35, s6
	s_cselect_b64 s[20:21], -1, 0
	s_lshl_b64 s[26:27], s[4:5], 3
	s_add_u32 s6, s7, s26
	s_addc_u32 s7, s8, s27
	s_mov_b64 s[4:5], -1
	s_and_b64 vcc, exec, s[20:21]
	v_lshlrev_b32_e32 v48, 3, v0
	s_barrier
	s_cbranch_vccz .LBB470_6
; %bb.5:
	v_mov_b32_e32 v1, s7
	v_add_co_u32_e32 v2, vcc, s6, v48
	v_addc_co_u32_e32 v3, vcc, 0, v1, vcc
	flat_load_dwordx2 v[4:5], v[2:3]
	flat_load_dwordx2 v[6:7], v[2:3] offset:1024
	flat_load_dwordx2 v[8:9], v[2:3] offset:2048
	;; [unrolled: 1-line block ×3, first 2 shown]
	v_add_co_u32_e32 v2, vcc, 0x1000, v2
	v_addc_co_u32_e32 v3, vcc, 0, v3, vcc
	flat_load_dwordx2 v[12:13], v[2:3]
	flat_load_dwordx2 v[14:15], v[2:3] offset:1024
	flat_load_dwordx2 v[16:17], v[2:3] offset:2048
	s_mov_b64 s[4:5], 0
	s_waitcnt vmcnt(0) lgkmcnt(0)
	ds_write2st64_b64 v48, v[4:5], v[6:7] offset1:2
	ds_write2st64_b64 v48, v[8:9], v[10:11] offset0:4 offset1:6
	ds_write2st64_b64 v48, v[12:13], v[14:15] offset0:8 offset1:10
	ds_write_b64 v48, v[16:17] offset:6144
	s_waitcnt lgkmcnt(0)
	s_barrier
.LBB470_6:
	s_andn2_b64 vcc, exec, s[4:5]
	v_cmp_gt_u32_e64 s[4:5], s33, v0
	s_cbranch_vccnz .LBB470_22
; %bb.7:
	v_pk_mov_b32 v[2:3], s[6:7], s[6:7] op_sel:[0,1]
	flat_load_dwordx2 v[2:3], v[2:3]
	s_waitcnt vmcnt(0) lgkmcnt(0)
	v_mov_b32_e32 v4, v2
	v_mov_b32_e32 v5, v3
	;; [unrolled: 1-line block ×10, first 2 shown]
	v_pk_mov_b32 v[18:19], v[14:15], v[14:15] op_sel:[0,1]
	v_pk_mov_b32 v[16:17], v[12:13], v[12:13] op_sel:[0,1]
	;; [unrolled: 1-line block ×8, first 2 shown]
	s_and_saveexec_b64 s[8:9], s[4:5]
	s_cbranch_execz .LBB470_9
; %bb.8:
	v_mov_b32_e32 v1, s7
	v_add_co_u32_e32 v4, vcc, s6, v48
	v_addc_co_u32_e32 v5, vcc, 0, v1, vcc
	flat_load_dwordx2 v[20:21], v[4:5]
	v_mov_b32_e32 v4, v2
	v_mov_b32_e32 v5, v3
	;; [unrolled: 1-line block ×10, first 2 shown]
	v_pk_mov_b32 v[18:19], v[14:15], v[14:15] op_sel:[0,1]
	v_pk_mov_b32 v[16:17], v[12:13], v[12:13] op_sel:[0,1]
	;; [unrolled: 1-line block ×8, first 2 shown]
	s_waitcnt vmcnt(0) lgkmcnt(0)
	v_pk_mov_b32 v[2:3], v[20:21], v[20:21] op_sel:[0,1]
.LBB470_9:
	s_or_b64 exec, exec, s[8:9]
	v_or_b32_e32 v1, 0x80, v0
	v_cmp_gt_u32_e32 vcc, s33, v1
	s_and_saveexec_b64 s[4:5], vcc
	s_cbranch_execz .LBB470_11
; %bb.10:
	v_mov_b32_e32 v1, s7
	v_add_co_u32_e32 v4, vcc, s6, v48
	v_addc_co_u32_e32 v5, vcc, 0, v1, vcc
	flat_load_dwordx2 v[6:7], v[4:5] offset:1024
.LBB470_11:
	s_or_b64 exec, exec, s[4:5]
	v_or_b32_e32 v1, 0x100, v0
	v_cmp_gt_u32_e32 vcc, s33, v1
	s_and_saveexec_b64 s[4:5], vcc
	s_cbranch_execz .LBB470_13
; %bb.12:
	v_mov_b32_e32 v1, s7
	v_add_co_u32_e32 v4, vcc, s6, v48
	v_addc_co_u32_e32 v5, vcc, 0, v1, vcc
	flat_load_dwordx2 v[8:9], v[4:5] offset:2048
.LBB470_13:
	;; [unrolled: 11-line block ×3, first 2 shown]
	s_or_b64 exec, exec, s[4:5]
	v_or_b32_e32 v1, 0x200, v0
	v_cmp_gt_u32_e32 vcc, s33, v1
	s_and_saveexec_b64 s[4:5], vcc
	s_cbranch_execz .LBB470_17
; %bb.16:
	v_lshlrev_b32_e32 v1, 3, v1
	v_mov_b32_e32 v5, s7
	v_add_co_u32_e32 v4, vcc, s6, v1
	v_addc_co_u32_e32 v5, vcc, 0, v5, vcc
	flat_load_dwordx2 v[12:13], v[4:5]
.LBB470_17:
	s_or_b64 exec, exec, s[4:5]
	v_or_b32_e32 v1, 0x280, v0
	v_cmp_gt_u32_e32 vcc, s33, v1
	s_and_saveexec_b64 s[4:5], vcc
	s_cbranch_execz .LBB470_19
; %bb.18:
	v_lshlrev_b32_e32 v1, 3, v1
	v_mov_b32_e32 v5, s7
	v_add_co_u32_e32 v4, vcc, s6, v1
	v_addc_co_u32_e32 v5, vcc, 0, v5, vcc
	flat_load_dwordx2 v[14:15], v[4:5]
.LBB470_19:
	s_or_b64 exec, exec, s[4:5]
	v_or_b32_e32 v1, 0x300, v0
	v_cmp_gt_u32_e32 vcc, s33, v1
	s_and_saveexec_b64 s[4:5], vcc
	s_cbranch_execz .LBB470_21
; %bb.20:
	v_lshlrev_b32_e32 v1, 3, v1
	v_mov_b32_e32 v5, s7
	v_add_co_u32_e32 v4, vcc, s6, v1
	v_addc_co_u32_e32 v5, vcc, 0, v5, vcc
	flat_load_dwordx2 v[16:17], v[4:5]
.LBB470_21:
	s_or_b64 exec, exec, s[4:5]
	s_waitcnt vmcnt(0) lgkmcnt(0)
	ds_write2st64_b64 v48, v[2:3], v[6:7] offset1:2
	ds_write2st64_b64 v48, v[8:9], v[10:11] offset0:4 offset1:6
	ds_write2st64_b64 v48, v[12:13], v[14:15] offset0:8 offset1:10
	ds_write_b64 v48, v[16:17] offset:6144
	s_waitcnt lgkmcnt(0)
	s_barrier
.LBB470_22:
	v_mul_u32_u24_e32 v49, 7, v0
	v_lshlrev_b32_e32 v1, 3, v49
	ds_read2_b64 v[2:5], v1 offset1:1
	ds_read2_b64 v[10:13], v1 offset0:2 offset1:3
	ds_read2_b64 v[6:9], v1 offset0:4 offset1:5
	ds_read_b64 v[28:29], v1 offset:48
	s_cmp_lg_u32 s35, 0
	v_lshrrev_b32_e32 v50, 5, v0
	v_cmp_gt_u32_e32 vcc, 64, v0
	s_waitcnt lgkmcnt(0)
	s_barrier
	s_cbranch_scc0 .LBB470_49
; %bb.23:
	v_add_co_u32_e64 v1, s[4:5], v4, v2
	v_addc_co_u32_e64 v14, s[4:5], v5, v3, s[4:5]
	v_add_co_u32_e64 v1, s[4:5], v1, v10
	v_addc_co_u32_e64 v14, s[4:5], v14, v11, s[4:5]
	;; [unrolled: 2-line block ×6, first 2 shown]
	v_add_lshl_u32 v1, v50, v0, 3
	ds_write_b64 v1, v[18:19]
	s_waitcnt lgkmcnt(0)
	s_barrier
	s_and_saveexec_b64 s[8:9], vcc
	s_cbranch_execz .LBB470_27
; %bb.24:
	v_lshlrev_b32_e32 v1, 1, v0
	v_lshrrev_b32_e32 v14, 4, v0
	v_add_lshl_u32 v20, v14, v1, 3
	ds_read2_b64 v[14:17], v20 offset1:1
	v_mbcnt_lo_u32_b32 v1, -1, 0
	s_waitcnt lgkmcnt(0)
	v_add_co_u32_e64 v21, s[4:5], v16, v14
	v_addc_co_u32_e64 v22, s[4:5], v17, v15, s[4:5]
	s_nop 0
	v_mov_b32_dpp v16, v21 row_shr:1 row_mask:0xf bank_mask:0xf
	v_add_co_u32_e64 v16, s[4:5], v21, v16
	v_addc_co_u32_e64 v24, s[4:5], 0, v22, s[4:5]
	v_mbcnt_hi_u32_b32 v17, -1, v1
	v_mov_b32_dpp v23, v22 row_shr:1 row_mask:0xf bank_mask:0xf
	v_add_co_u32_e64 v25, s[4:5], 0, v16
	v_and_b32_e32 v1, 15, v17
	v_addc_co_u32_e64 v23, s[4:5], v23, v24, s[4:5]
	v_cmp_eq_u32_e64 s[4:5], 0, v1
	v_cndmask_b32_e64 v16, v16, v21, s[4:5]
	v_cndmask_b32_e64 v23, v23, v22, s[4:5]
	v_cndmask_b32_e64 v24, v25, v21, s[4:5]
	v_mov_b32_dpp v25, v16 row_shr:2 row_mask:0xf bank_mask:0xf
	v_mov_b32_dpp v26, v23 row_shr:2 row_mask:0xf bank_mask:0xf
	v_add_co_u32_e64 v25, s[4:5], v25, v24
	v_addc_co_u32_e64 v26, s[4:5], v26, v23, s[4:5]
	v_cmp_lt_u32_e64 s[4:5], 1, v1
	v_cndmask_b32_e64 v16, v16, v25, s[4:5]
	v_cndmask_b32_e64 v23, v23, v26, s[4:5]
	v_cndmask_b32_e64 v24, v24, v25, s[4:5]
	v_mov_b32_dpp v25, v16 row_shr:4 row_mask:0xf bank_mask:0xf
	v_mov_b32_dpp v26, v23 row_shr:4 row_mask:0xf bank_mask:0xf
	v_add_co_u32_e64 v25, s[4:5], v25, v24
	v_addc_co_u32_e64 v26, s[4:5], v26, v23, s[4:5]
	v_cmp_lt_u32_e64 s[4:5], 3, v1
	;; [unrolled: 8-line block ×3, first 2 shown]
	v_cndmask_b32_e64 v27, v16, v25, s[4:5]
	v_cndmask_b32_e64 v1, v23, v26, s[4:5]
	;; [unrolled: 1-line block ×3, first 2 shown]
	v_mov_b32_dpp v23, v27 row_bcast:15 row_mask:0xf bank_mask:0xf
	v_mov_b32_dpp v24, v1 row_bcast:15 row_mask:0xf bank_mask:0xf
	v_add_co_u32_e64 v23, s[4:5], v23, v16
	v_and_b32_e32 v26, 16, v17
	v_addc_co_u32_e64 v25, s[4:5], v24, v1, s[4:5]
	v_cmp_eq_u32_e64 s[4:5], 0, v26
	v_cndmask_b32_e64 v26, v25, v1, s[4:5]
	v_cndmask_b32_e64 v24, v23, v27, s[4:5]
	v_cmp_ne_u32_e64 s[6:7], 0, v17
	v_mov_b32_dpp v26, v26 row_bcast:31 row_mask:0xf bank_mask:0xf
	v_mov_b32_dpp v24, v24 row_bcast:31 row_mask:0xf bank_mask:0xf
	s_and_saveexec_b64 s[30:31], s[6:7]
; %bb.25:
	v_cndmask_b32_e64 v1, v25, v1, s[4:5]
	v_cndmask_b32_e64 v16, v23, v16, s[4:5]
	v_cmp_lt_u32_e64 s[4:5], 31, v17
	v_cndmask_b32_e64 v21, 0, v24, s[4:5]
	v_cndmask_b32_e64 v22, 0, v26, s[4:5]
	v_add_co_u32_e64 v21, s[4:5], v21, v16
	v_addc_co_u32_e64 v22, s[4:5], v22, v1, s[4:5]
; %bb.26:
	s_or_b64 exec, exec, s[30:31]
	v_add_u32_e32 v1, -1, v17
	v_and_b32_e32 v16, 64, v17
	v_cmp_lt_i32_e64 s[4:5], v1, v16
	v_cndmask_b32_e64 v1, v1, v17, s[4:5]
	v_lshlrev_b32_e32 v1, 2, v1
	ds_bpermute_b32 v16, v1, v21
	ds_bpermute_b32 v1, v1, v22
	; wave barrier
	s_waitcnt lgkmcnt(1)
	v_add_co_u32_e64 v14, s[4:5], v14, v16
	v_addc_co_u32_e64 v15, s[4:5], 0, v15, s[4:5]
	v_add_co_u32_e64 v14, s[4:5], 0, v14
	s_waitcnt lgkmcnt(0)
	v_addc_co_u32_e64 v1, s[4:5], v15, v1, s[4:5]
	v_cndmask_b32_e64 v15, v1, v19, s[2:3]
	v_cndmask_b32_e64 v14, v14, v18, s[2:3]
	ds_write_b64 v20, v[14:15]
	; wave barrier
	ds_read_b64 v[16:17], v20 offset:8
	s_waitcnt lgkmcnt(0)
	v_add_co_u32_e64 v14, s[4:5], v16, v14
	v_addc_co_u32_e64 v15, s[4:5], v17, v15, s[4:5]
	ds_write_b64 v20, v[14:15] offset:8
.LBB470_27:
	s_or_b64 exec, exec, s[8:9]
	v_pk_mov_b32 v[22:23], 0, 0
	s_waitcnt lgkmcnt(0)
	s_barrier
	s_and_saveexec_b64 s[4:5], s[0:1]
	s_cbranch_execz .LBB470_29
; %bb.28:
	v_add_u32_e32 v1, -1, v0
	v_lshrrev_b32_e32 v14, 5, v1
	v_add_lshl_u32 v1, v14, v1, 3
	ds_read_b64 v[22:23], v1
.LBB470_29:
	s_or_b64 exec, exec, s[4:5]
	s_and_saveexec_b64 s[30:31], vcc
	s_cbranch_execz .LBB470_48
; %bb.30:
	v_mov_b32_e32 v17, 0
	ds_read_b64 v[14:15], v17 offset:1040
	v_mbcnt_lo_u32_b32 v1, -1, 0
	v_mbcnt_hi_u32_b32 v30, -1, v1
	s_mov_b32 s9, 0
	v_cmp_eq_u32_e64 s[4:5], 0, v30
	s_and_saveexec_b64 s[6:7], s[4:5]
	s_cbranch_execz .LBB470_32
; %bb.31:
	s_add_i32 s8, s35, 64
	s_lshl_b64 s[8:9], s[8:9], 4
	s_add_u32 s8, s10, s8
	s_addc_u32 s9, s11, s9
	v_mov_b32_e32 v16, 1
	v_pk_mov_b32 v[18:19], s[8:9], s[8:9] op_sel:[0,1]
	s_waitcnt lgkmcnt(0)
	;;#ASMSTART
	global_store_dwordx4 v[18:19], v[14:17] off	
s_waitcnt vmcnt(0)
	;;#ASMEND
.LBB470_32:
	s_or_b64 exec, exec, s[6:7]
	v_xad_u32 v24, v30, -1, s35
	v_add_u32_e32 v16, 64, v24
	v_lshlrev_b64 v[18:19], 4, v[16:17]
	v_mov_b32_e32 v1, s11
	v_add_co_u32_e32 v26, vcc, s10, v18
	v_addc_co_u32_e32 v27, vcc, v1, v19, vcc
	;;#ASMSTART
	global_load_dwordx4 v[18:21], v[26:27] off glc	
s_waitcnt vmcnt(0)
	;;#ASMEND
	v_and_b32_e32 v1, 0xff, v19
	v_and_b32_e32 v16, 0xff00, v19
	v_or3_b32 v1, 0, v1, v16
	v_or3_b32 v16, v18, 0, 0
	v_and_b32_e32 v18, 0xff000000, v19
	v_and_b32_e32 v19, 0xff0000, v19
	v_or3_b32 v19, v1, v19, v18
	v_or3_b32 v18, v16, 0, 0
	v_cmp_eq_u16_sdwa s[8:9], v20, v17 src0_sel:BYTE_0 src1_sel:DWORD
	s_and_saveexec_b64 s[6:7], s[8:9]
	s_cbranch_execz .LBB470_36
; %bb.33:
	s_mov_b64 s[8:9], 0
	v_mov_b32_e32 v1, 0
.LBB470_34:                             ; =>This Inner Loop Header: Depth=1
	;;#ASMSTART
	global_load_dwordx4 v[18:21], v[26:27] off glc	
s_waitcnt vmcnt(0)
	;;#ASMEND
	v_cmp_ne_u16_sdwa s[36:37], v20, v1 src0_sel:BYTE_0 src1_sel:DWORD
	s_or_b64 s[8:9], s[36:37], s[8:9]
	s_andn2_b64 exec, exec, s[8:9]
	s_cbranch_execnz .LBB470_34
; %bb.35:
	s_or_b64 exec, exec, s[8:9]
.LBB470_36:
	s_or_b64 exec, exec, s[6:7]
	v_and_b32_e32 v32, 63, v30
	v_cmp_ne_u32_e32 vcc, 63, v32
	v_addc_co_u32_e32 v26, vcc, 0, v30, vcc
	v_lshlrev_b32_e32 v33, 2, v26
	ds_bpermute_b32 v26, v33, v18
	v_mov_b32_e32 v1, 2
	v_cmp_eq_u16_sdwa s[6:7], v20, v1 src0_sel:BYTE_0 src1_sel:DWORD
	v_lshlrev_b64 v[16:17], v30, -1
	ds_bpermute_b32 v27, v33, v19
	v_and_b32_e32 v21, s7, v17
	v_or_b32_e32 v21, 0x80000000, v21
	s_waitcnt lgkmcnt(1)
	v_add_co_u32_e32 v26, vcc, v18, v26
	v_and_b32_e32 v25, s6, v16
	v_ffbl_b32_e32 v21, v21
	v_addc_co_u32_e32 v31, vcc, 0, v19, vcc
	v_add_u32_e32 v21, 32, v21
	v_ffbl_b32_e32 v25, v25
	v_add_co_u32_e32 v35, vcc, 0, v26
	v_cmp_gt_u32_e64 s[6:7], 62, v32
	v_min_u32_e32 v21, v25, v21
	s_waitcnt lgkmcnt(0)
	v_addc_co_u32_e32 v27, vcc, v27, v31, vcc
	v_cndmask_b32_e64 v31, 0, 1, s[6:7]
	v_cmp_lt_u32_e32 vcc, v32, v21
	v_lshlrev_b32_e32 v31, 1, v31
	v_cndmask_b32_e32 v26, v18, v26, vcc
	v_add_lshl_u32 v34, v31, v30, 2
	v_cndmask_b32_e32 v27, v19, v27, vcc
	ds_bpermute_b32 v31, v34, v26
	ds_bpermute_b32 v36, v34, v27
	v_cndmask_b32_e32 v37, v18, v35, vcc
	v_add_u32_e32 v35, 2, v32
	v_cmp_gt_u32_e64 s[8:9], 60, v32
	s_waitcnt lgkmcnt(1)
	v_add_co_u32_e64 v31, s[6:7], v31, v37
	s_waitcnt lgkmcnt(0)
	v_addc_co_u32_e64 v36, s[6:7], v36, v27, s[6:7]
	v_cmp_gt_u32_e64 s[6:7], v35, v21
	v_cndmask_b32_e64 v27, v36, v27, s[6:7]
	v_cndmask_b32_e64 v36, 0, 1, s[8:9]
	v_lshlrev_b32_e32 v36, 2, v36
	v_cndmask_b32_e64 v26, v31, v26, s[6:7]
	v_add_lshl_u32 v36, v36, v30, 2
	ds_bpermute_b32 v38, v36, v26
	ds_bpermute_b32 v39, v36, v27
	v_cndmask_b32_e64 v31, v31, v37, s[6:7]
	v_add_u32_e32 v37, 4, v32
	v_cmp_gt_u32_e64 s[8:9], 56, v32
	s_waitcnt lgkmcnt(1)
	v_add_co_u32_e64 v40, s[6:7], v38, v31
	s_waitcnt lgkmcnt(0)
	v_addc_co_u32_e64 v38, s[6:7], v39, v27, s[6:7]
	v_cmp_gt_u32_e64 s[6:7], v37, v21
	v_cndmask_b32_e64 v27, v38, v27, s[6:7]
	v_cndmask_b32_e64 v38, 0, 1, s[8:9]
	v_lshlrev_b32_e32 v38, 3, v38
	v_cndmask_b32_e64 v26, v40, v26, s[6:7]
	v_add_lshl_u32 v38, v38, v30, 2
	ds_bpermute_b32 v41, v38, v26
	v_cndmask_b32_e64 v31, v40, v31, s[6:7]
	ds_bpermute_b32 v40, v38, v27
	v_add_u32_e32 v39, 8, v32
	v_cmp_gt_u32_e64 s[8:9], 48, v32
	s_waitcnt lgkmcnt(1)
	v_add_co_u32_e64 v41, s[6:7], v41, v31
	s_waitcnt lgkmcnt(0)
	v_addc_co_u32_e64 v40, s[6:7], v40, v27, s[6:7]
	v_cmp_gt_u32_e64 s[6:7], v39, v21
	v_cndmask_b32_e64 v27, v40, v27, s[6:7]
	v_cndmask_b32_e64 v40, 0, 1, s[8:9]
	v_lshlrev_b32_e32 v40, 4, v40
	v_cndmask_b32_e64 v26, v41, v26, s[6:7]
	v_add_lshl_u32 v40, v40, v30, 2
	ds_bpermute_b32 v42, v40, v26
	ds_bpermute_b32 v43, v40, v27
	v_cndmask_b32_e64 v31, v41, v31, s[6:7]
	v_cmp_gt_u32_e64 s[8:9], 32, v32
	v_add_u32_e32 v41, 16, v32
	s_waitcnt lgkmcnt(1)
	v_add_co_u32_e64 v44, s[6:7], v42, v31
	s_waitcnt lgkmcnt(0)
	v_addc_co_u32_e64 v43, s[6:7], v43, v27, s[6:7]
	v_cndmask_b32_e64 v42, 0, 1, s[8:9]
	v_cmp_gt_u32_e64 s[6:7], v41, v21
	v_lshlrev_b32_e32 v42, 5, v42
	v_cndmask_b32_e64 v26, v44, v26, s[6:7]
	v_add_lshl_u32 v42, v42, v30, 2
	v_cndmask_b32_e64 v27, v43, v27, s[6:7]
	ds_bpermute_b32 v26, v42, v26
	ds_bpermute_b32 v30, v42, v27
	v_add_u32_e32 v43, 32, v32
	v_cndmask_b32_e64 v31, v44, v31, s[6:7]
	v_cmp_le_u32_e64 s[6:7], v43, v21
	s_waitcnt lgkmcnt(1)
	v_cndmask_b32_e64 v26, 0, v26, s[6:7]
	s_waitcnt lgkmcnt(0)
	v_cndmask_b32_e64 v21, 0, v30, s[6:7]
	v_add_co_u32_e64 v26, s[6:7], v26, v31
	v_addc_co_u32_e64 v21, s[6:7], v21, v27, s[6:7]
	v_mov_b32_e32 v25, 0
	v_cndmask_b32_e32 v19, v19, v21, vcc
	v_cndmask_b32_e32 v18, v18, v26, vcc
	s_branch .LBB470_38
.LBB470_37:                             ;   in Loop: Header=BB470_38 Depth=1
	s_or_b64 exec, exec, s[6:7]
	v_cmp_eq_u16_sdwa s[6:7], v20, v1 src0_sel:BYTE_0 src1_sel:DWORD
	v_and_b32_e32 v21, s7, v17
	v_or_b32_e32 v21, 0x80000000, v21
	ds_bpermute_b32 v31, v33, v18
	v_and_b32_e32 v30, s6, v16
	v_ffbl_b32_e32 v21, v21
	v_add_u32_e32 v21, 32, v21
	v_ffbl_b32_e32 v30, v30
	v_min_u32_e32 v21, v30, v21
	ds_bpermute_b32 v30, v33, v19
	s_waitcnt lgkmcnt(1)
	v_add_co_u32_e32 v31, vcc, v18, v31
	v_addc_co_u32_e32 v44, vcc, 0, v19, vcc
	v_add_co_u32_e32 v45, vcc, 0, v31
	s_waitcnt lgkmcnt(0)
	v_addc_co_u32_e32 v30, vcc, v30, v44, vcc
	v_cmp_lt_u32_e32 vcc, v32, v21
	v_cndmask_b32_e32 v31, v18, v31, vcc
	ds_bpermute_b32 v44, v34, v31
	v_cndmask_b32_e32 v30, v19, v30, vcc
	ds_bpermute_b32 v46, v34, v30
	v_cndmask_b32_e32 v45, v18, v45, vcc
	v_subrev_u32_e32 v24, 64, v24
	s_waitcnt lgkmcnt(1)
	v_add_co_u32_e64 v44, s[6:7], v44, v45
	s_waitcnt lgkmcnt(0)
	v_addc_co_u32_e64 v46, s[6:7], v46, v30, s[6:7]
	v_cmp_gt_u32_e64 s[6:7], v35, v21
	v_cndmask_b32_e64 v31, v44, v31, s[6:7]
	ds_bpermute_b32 v47, v36, v31
	v_cndmask_b32_e64 v30, v46, v30, s[6:7]
	ds_bpermute_b32 v46, v36, v30
	v_cndmask_b32_e64 v44, v44, v45, s[6:7]
	s_waitcnt lgkmcnt(1)
	v_add_co_u32_e64 v45, s[6:7], v47, v44
	s_waitcnt lgkmcnt(0)
	v_addc_co_u32_e64 v46, s[6:7], v46, v30, s[6:7]
	v_cmp_gt_u32_e64 s[6:7], v37, v21
	v_cndmask_b32_e64 v31, v45, v31, s[6:7]
	ds_bpermute_b32 v47, v38, v31
	v_cndmask_b32_e64 v30, v46, v30, s[6:7]
	ds_bpermute_b32 v46, v38, v30
	v_cndmask_b32_e64 v44, v45, v44, s[6:7]
	;; [unrolled: 10-line block ×3, first 2 shown]
	s_waitcnt lgkmcnt(1)
	v_add_co_u32_e64 v45, s[6:7], v47, v44
	s_waitcnt lgkmcnt(0)
	v_addc_co_u32_e64 v46, s[6:7], v46, v30, s[6:7]
	v_cmp_gt_u32_e64 s[6:7], v41, v21
	v_cndmask_b32_e64 v31, v45, v31, s[6:7]
	v_cndmask_b32_e64 v30, v46, v30, s[6:7]
	ds_bpermute_b32 v31, v42, v31
	ds_bpermute_b32 v46, v42, v30
	v_cndmask_b32_e64 v44, v45, v44, s[6:7]
	v_cmp_le_u32_e64 s[6:7], v43, v21
	s_waitcnt lgkmcnt(1)
	v_cndmask_b32_e64 v31, 0, v31, s[6:7]
	s_waitcnt lgkmcnt(0)
	v_cndmask_b32_e64 v21, 0, v46, s[6:7]
	v_add_co_u32_e64 v31, s[6:7], v31, v44
	v_addc_co_u32_e64 v21, s[6:7], v21, v30, s[6:7]
	v_cndmask_b32_e32 v18, v18, v31, vcc
	v_cndmask_b32_e32 v19, v19, v21, vcc
	v_add_co_u32_e32 v18, vcc, v18, v26
	v_addc_co_u32_e32 v19, vcc, v19, v27, vcc
.LBB470_38:                             ; =>This Loop Header: Depth=1
                                        ;     Child Loop BB470_41 Depth 2
	v_cmp_ne_u16_sdwa s[6:7], v20, v1 src0_sel:BYTE_0 src1_sel:DWORD
	v_cndmask_b32_e64 v20, 0, 1, s[6:7]
	;;#ASMSTART
	;;#ASMEND
	v_cmp_ne_u32_e32 vcc, 0, v20
	s_cmp_lg_u64 vcc, exec
	v_pk_mov_b32 v[26:27], v[18:19], v[18:19] op_sel:[0,1]
	s_cbranch_scc1 .LBB470_43
; %bb.39:                               ;   in Loop: Header=BB470_38 Depth=1
	v_lshlrev_b64 v[18:19], 4, v[24:25]
	v_mov_b32_e32 v20, s11
	v_add_co_u32_e32 v30, vcc, s10, v18
	v_addc_co_u32_e32 v31, vcc, v20, v19, vcc
	;;#ASMSTART
	global_load_dwordx4 v[18:21], v[30:31] off glc	
s_waitcnt vmcnt(0)
	;;#ASMEND
	v_and_b32_e32 v21, 0xff, v19
	v_and_b32_e32 v44, 0xff00, v19
	v_or3_b32 v21, 0, v21, v44
	v_or3_b32 v18, v18, 0, 0
	v_and_b32_e32 v44, 0xff000000, v19
	v_and_b32_e32 v19, 0xff0000, v19
	v_or3_b32 v19, v21, v19, v44
	v_or3_b32 v18, v18, 0, 0
	v_cmp_eq_u16_sdwa s[8:9], v20, v25 src0_sel:BYTE_0 src1_sel:DWORD
	s_and_saveexec_b64 s[6:7], s[8:9]
	s_cbranch_execz .LBB470_37
; %bb.40:                               ;   in Loop: Header=BB470_38 Depth=1
	s_mov_b64 s[8:9], 0
.LBB470_41:                             ;   Parent Loop BB470_38 Depth=1
                                        ; =>  This Inner Loop Header: Depth=2
	;;#ASMSTART
	global_load_dwordx4 v[18:21], v[30:31] off glc	
s_waitcnt vmcnt(0)
	;;#ASMEND
	v_cmp_ne_u16_sdwa s[36:37], v20, v25 src0_sel:BYTE_0 src1_sel:DWORD
	s_or_b64 s[8:9], s[36:37], s[8:9]
	s_andn2_b64 exec, exec, s[8:9]
	s_cbranch_execnz .LBB470_41
; %bb.42:                               ;   in Loop: Header=BB470_38 Depth=1
	s_or_b64 exec, exec, s[8:9]
	s_branch .LBB470_37
.LBB470_43:                             ;   in Loop: Header=BB470_38 Depth=1
                                        ; implicit-def: $vgpr18_vgpr19
                                        ; implicit-def: $vgpr20
	s_cbranch_execz .LBB470_38
; %bb.44:
	s_and_saveexec_b64 s[6:7], s[4:5]
	s_cbranch_execz .LBB470_46
; %bb.45:
	s_add_i32 s4, s35, 64
	s_mov_b32 s5, 0
	s_lshl_b64 s[4:5], s[4:5], 4
	s_add_u32 s4, s10, s4
	v_add_co_u32_e32 v14, vcc, v26, v14
	s_addc_u32 s5, s11, s5
	v_addc_co_u32_e32 v15, vcc, v27, v15, vcc
	v_mov_b32_e32 v16, 2
	v_mov_b32_e32 v17, 0
	v_pk_mov_b32 v[18:19], s[4:5], s[4:5] op_sel:[0,1]
	;;#ASMSTART
	global_store_dwordx4 v[18:19], v[14:17] off	
s_waitcnt vmcnt(0)
	;;#ASMEND
.LBB470_46:
	s_or_b64 exec, exec, s[6:7]
	s_and_b64 exec, exec, s[2:3]
	s_cbranch_execz .LBB470_48
; %bb.47:
	v_mov_b32_e32 v1, 0
	ds_write_b64 v1, v[26:27]
.LBB470_48:
	s_or_b64 exec, exec, s[30:31]
	v_mov_b32_e32 v1, 0
	s_waitcnt lgkmcnt(0)
	s_barrier
	ds_read_b64 v[14:15], v1
	v_add_co_u32_e32 v1, vcc, v22, v2
	v_addc_co_u32_e32 v16, vcc, v23, v3, vcc
	s_waitcnt lgkmcnt(0)
	v_add_co_u32_e32 v14, vcc, v1, v14
	v_addc_co_u32_e32 v15, vcc, v16, v15, vcc
	v_add_co_u32_e32 v42, vcc, v14, v4
	v_addc_co_u32_e32 v43, vcc, v15, v5, vcc
	;; [unrolled: 2-line block ×7, first 2 shown]
	s_branch .LBB470_75
.LBB470_49:
                                        ; implicit-def: $vgpr26_vgpr27
                                        ; implicit-def: $vgpr46_vgpr47
                                        ; implicit-def: $vgpr44_vgpr45
                                        ; implicit-def: $vgpr42_vgpr43
                                        ; implicit-def: $vgpr22_vgpr23_vgpr24_vgpr25
                                        ; implicit-def: $vgpr18_vgpr19_vgpr20_vgpr21
                                        ; implicit-def: $vgpr14_vgpr15_vgpr16_vgpr17
	s_cbranch_execz .LBB470_75
; %bb.50:
	s_cmp_lg_u64 s[16:17], 0
	s_cselect_b64 s[6:7], -1, 0
	s_cmp_eq_u64 s[16:17], 0
	s_cselect_b64 s[4:5], -1, 0
	s_and_b64 s[8:9], s[2:3], s[6:7]
	s_and_saveexec_b64 s[6:7], s[8:9]
	s_cbranch_execz .LBB470_52
; %bb.51:
	v_mov_b32_e32 v1, 0
	global_load_dwordx2 v[14:15], v1, s[12:13]
	s_waitcnt vmcnt(0)
	v_add_co_u32_e32 v2, vcc, v14, v2
	v_addc_co_u32_e32 v3, vcc, v15, v3, vcc
.LBB470_52:
	s_or_b64 exec, exec, s[6:7]
	v_add_co_u32_e32 v30, vcc, v4, v2
	v_addc_co_u32_e32 v31, vcc, v5, v3, vcc
	v_add_co_u32_e32 v32, vcc, v30, v10
	v_addc_co_u32_e32 v33, vcc, v31, v11, vcc
	;; [unrolled: 2-line block ×6, first 2 shown]
	v_add_lshl_u32 v1, v50, v0, 3
	s_andn2_b64 vcc, exec, s[4:5]
	v_cmp_gt_u32_e64 s[4:5], 64, v0
	ds_write_b64 v1, v[40:41]
	s_waitcnt lgkmcnt(0)
	s_cbranch_vccnz .LBB470_62
; %bb.53:
	s_barrier
	s_and_saveexec_b64 s[8:9], s[4:5]
	s_cbranch_execz .LBB470_57
; %bb.54:
	v_lshlrev_b32_e32 v1, 1, v0
	v_lshrrev_b32_e32 v14, 4, v0
	v_add_lshl_u32 v18, v14, v1, 3
	ds_read2_b64 v[14:17], v18 offset1:1
	v_mbcnt_lo_u32_b32 v1, -1, 0
	s_waitcnt lgkmcnt(0)
	v_add_co_u32_e32 v19, vcc, v16, v14
	v_addc_co_u32_e32 v20, vcc, v17, v15, vcc
	s_nop 0
	v_mov_b32_dpp v16, v19 row_shr:1 row_mask:0xf bank_mask:0xf
	v_add_co_u32_e32 v16, vcc, v19, v16
	v_addc_co_u32_e32 v22, vcc, 0, v20, vcc
	v_mbcnt_hi_u32_b32 v17, -1, v1
	v_mov_b32_dpp v21, v20 row_shr:1 row_mask:0xf bank_mask:0xf
	v_add_co_u32_e32 v23, vcc, 0, v16
	v_and_b32_e32 v1, 15, v17
	v_addc_co_u32_e32 v21, vcc, v21, v22, vcc
	v_cmp_eq_u32_e32 vcc, 0, v1
	v_cndmask_b32_e32 v16, v16, v19, vcc
	v_cndmask_b32_e32 v21, v21, v20, vcc
	v_cndmask_b32_e32 v22, v23, v19, vcc
	v_mov_b32_dpp v23, v16 row_shr:2 row_mask:0xf bank_mask:0xf
	v_mov_b32_dpp v24, v21 row_shr:2 row_mask:0xf bank_mask:0xf
	v_add_co_u32_e32 v23, vcc, v23, v22
	v_addc_co_u32_e32 v24, vcc, v24, v21, vcc
	v_cmp_lt_u32_e32 vcc, 1, v1
	v_cndmask_b32_e32 v16, v16, v23, vcc
	v_cndmask_b32_e32 v21, v21, v24, vcc
	v_cndmask_b32_e32 v22, v22, v23, vcc
	v_mov_b32_dpp v23, v16 row_shr:4 row_mask:0xf bank_mask:0xf
	v_mov_b32_dpp v24, v21 row_shr:4 row_mask:0xf bank_mask:0xf
	v_add_co_u32_e32 v23, vcc, v23, v22
	v_addc_co_u32_e32 v24, vcc, v24, v21, vcc
	v_cmp_lt_u32_e32 vcc, 3, v1
	;; [unrolled: 8-line block ×3, first 2 shown]
	v_cndmask_b32_e32 v25, v16, v23, vcc
	v_cndmask_b32_e32 v1, v21, v24, vcc
	;; [unrolled: 1-line block ×3, first 2 shown]
	v_mov_b32_dpp v21, v25 row_bcast:15 row_mask:0xf bank_mask:0xf
	v_mov_b32_dpp v22, v1 row_bcast:15 row_mask:0xf bank_mask:0xf
	v_add_co_u32_e32 v21, vcc, v21, v16
	v_and_b32_e32 v24, 16, v17
	v_addc_co_u32_e32 v23, vcc, v22, v1, vcc
	v_cmp_eq_u32_e32 vcc, 0, v24
	v_cndmask_b32_e32 v24, v23, v1, vcc
	v_cndmask_b32_e32 v22, v21, v25, vcc
	v_cmp_ne_u32_e64 s[6:7], 0, v17
	v_mov_b32_dpp v24, v24 row_bcast:31 row_mask:0xf bank_mask:0xf
	v_mov_b32_dpp v22, v22 row_bcast:31 row_mask:0xf bank_mask:0xf
	s_and_saveexec_b64 s[12:13], s[6:7]
; %bb.55:
	v_cndmask_b32_e32 v1, v23, v1, vcc
	v_cndmask_b32_e32 v16, v21, v16, vcc
	v_cmp_lt_u32_e32 vcc, 31, v17
	v_cndmask_b32_e32 v19, 0, v22, vcc
	v_cndmask_b32_e32 v20, 0, v24, vcc
	v_add_co_u32_e32 v19, vcc, v19, v16
	v_addc_co_u32_e32 v20, vcc, v20, v1, vcc
; %bb.56:
	s_or_b64 exec, exec, s[12:13]
	v_add_u32_e32 v1, -1, v17
	v_and_b32_e32 v16, 64, v17
	v_cmp_lt_i32_e32 vcc, v1, v16
	v_cndmask_b32_e32 v1, v1, v17, vcc
	v_lshlrev_b32_e32 v1, 2, v1
	ds_bpermute_b32 v16, v1, v19
	ds_bpermute_b32 v1, v1, v20
	; wave barrier
	s_waitcnt lgkmcnt(1)
	v_add_co_u32_e32 v14, vcc, v14, v16
	v_addc_co_u32_e32 v15, vcc, 0, v15, vcc
	v_add_co_u32_e32 v14, vcc, 0, v14
	s_waitcnt lgkmcnt(0)
	v_addc_co_u32_e32 v1, vcc, v15, v1, vcc
	v_cndmask_b32_e64 v15, v1, v41, s[2:3]
	v_cndmask_b32_e64 v14, v14, v40, s[2:3]
	ds_write_b64 v18, v[14:15]
	; wave barrier
	ds_read_b64 v[16:17], v18 offset:8
	s_waitcnt lgkmcnt(0)
	v_add_co_u32_e32 v14, vcc, v16, v14
	v_addc_co_u32_e32 v15, vcc, v17, v15, vcc
	ds_write_b64 v18, v[14:15] offset:8
.LBB470_57:
	s_or_b64 exec, exec, s[8:9]
	v_pk_mov_b32 v[26:27], v[40:41], v[40:41] op_sel:[0,1]
	s_waitcnt lgkmcnt(0)
	s_barrier
	s_and_saveexec_b64 s[6:7], s[0:1]
	s_cbranch_execz .LBB470_59
; %bb.58:
	v_add_u32_e32 v1, -1, v0
	v_lshrrev_b32_e32 v14, 5, v1
	v_add_lshl_u32 v1, v14, v1, 3
	ds_read_b64 v[26:27], v1
.LBB470_59:
	s_or_b64 exec, exec, s[6:7]
	v_pk_mov_b32 v[16:17], v[38:39], v[38:39] op_sel:[0,1]
	v_pk_mov_b32 v[20:21], v[36:37], v[36:37] op_sel:[0,1]
	;; [unrolled: 1-line block ×6, first 2 shown]
	s_and_saveexec_b64 s[6:7], s[0:1]
	s_cbranch_execz .LBB470_61
; %bb.60:
	s_waitcnt lgkmcnt(0)
	v_add_co_u32_e32 v14, vcc, v26, v2
	v_addc_co_u32_e32 v15, vcc, v27, v3, vcc
	v_add_co_u32_e32 v24, vcc, v14, v4
	v_addc_co_u32_e32 v25, vcc, v15, v5, vcc
	;; [unrolled: 2-line block ×6, first 2 shown]
	;;#ASMSTART
	;;#ASMEND
.LBB470_61:
	s_or_b64 exec, exec, s[6:7]
	v_mov_b32_e32 v1, s29
	v_add_co_u32_e32 v14, vcc, s28, v14
	v_addc_co_u32_e32 v15, vcc, v15, v1, vcc
	v_add_co_u32_e32 v42, vcc, s28, v24
	v_addc_co_u32_e32 v43, vcc, v25, v1, vcc
	;; [unrolled: 2-line block ×6, first 2 shown]
	s_waitcnt lgkmcnt(0)
	v_add_co_u32_e32 v26, vcc, v46, v28
	v_addc_co_u32_e32 v27, vcc, v47, v29, vcc
	s_branch .LBB470_72
.LBB470_62:
                                        ; implicit-def: $vgpr26_vgpr27
                                        ; implicit-def: $vgpr46_vgpr47
                                        ; implicit-def: $vgpr44_vgpr45
                                        ; implicit-def: $vgpr42_vgpr43
                                        ; implicit-def: $vgpr22_vgpr23_vgpr24_vgpr25
                                        ; implicit-def: $vgpr18_vgpr19_vgpr20_vgpr21
                                        ; implicit-def: $vgpr14_vgpr15_vgpr16_vgpr17
	s_cbranch_execz .LBB470_72
; %bb.63:
	s_barrier
	s_and_saveexec_b64 s[6:7], s[4:5]
	s_cbranch_execz .LBB470_67
; %bb.64:
	v_lshlrev_b32_e32 v1, 1, v0
	v_lshrrev_b32_e32 v14, 4, v0
	v_add_lshl_u32 v18, v14, v1, 3
	ds_read2_b64 v[14:17], v18 offset1:1
	v_mbcnt_lo_u32_b32 v1, -1, 0
	s_waitcnt lgkmcnt(0)
	v_add_co_u32_e32 v19, vcc, v16, v14
	v_addc_co_u32_e32 v20, vcc, v17, v15, vcc
	s_nop 0
	v_mov_b32_dpp v16, v19 row_shr:1 row_mask:0xf bank_mask:0xf
	v_add_co_u32_e32 v16, vcc, v19, v16
	v_addc_co_u32_e32 v22, vcc, 0, v20, vcc
	v_mbcnt_hi_u32_b32 v17, -1, v1
	v_mov_b32_dpp v21, v20 row_shr:1 row_mask:0xf bank_mask:0xf
	v_add_co_u32_e32 v23, vcc, 0, v16
	v_and_b32_e32 v1, 15, v17
	v_addc_co_u32_e32 v21, vcc, v21, v22, vcc
	v_cmp_eq_u32_e32 vcc, 0, v1
	v_cndmask_b32_e32 v16, v16, v19, vcc
	v_cndmask_b32_e32 v21, v21, v20, vcc
	v_cndmask_b32_e32 v22, v23, v19, vcc
	v_mov_b32_dpp v23, v16 row_shr:2 row_mask:0xf bank_mask:0xf
	v_mov_b32_dpp v24, v21 row_shr:2 row_mask:0xf bank_mask:0xf
	v_add_co_u32_e32 v23, vcc, v23, v22
	v_addc_co_u32_e32 v24, vcc, v24, v21, vcc
	v_cmp_lt_u32_e32 vcc, 1, v1
	v_cndmask_b32_e32 v16, v16, v23, vcc
	v_cndmask_b32_e32 v21, v21, v24, vcc
	v_cndmask_b32_e32 v22, v22, v23, vcc
	v_mov_b32_dpp v23, v16 row_shr:4 row_mask:0xf bank_mask:0xf
	v_mov_b32_dpp v24, v21 row_shr:4 row_mask:0xf bank_mask:0xf
	v_add_co_u32_e32 v23, vcc, v23, v22
	v_addc_co_u32_e32 v24, vcc, v24, v21, vcc
	v_cmp_lt_u32_e32 vcc, 3, v1
	;; [unrolled: 8-line block ×3, first 2 shown]
	v_cndmask_b32_e32 v25, v16, v23, vcc
	v_cndmask_b32_e32 v1, v21, v24, vcc
	;; [unrolled: 1-line block ×3, first 2 shown]
	v_mov_b32_dpp v21, v25 row_bcast:15 row_mask:0xf bank_mask:0xf
	v_mov_b32_dpp v22, v1 row_bcast:15 row_mask:0xf bank_mask:0xf
	v_add_co_u32_e32 v21, vcc, v21, v16
	v_and_b32_e32 v24, 16, v17
	v_addc_co_u32_e32 v23, vcc, v22, v1, vcc
	v_cmp_eq_u32_e32 vcc, 0, v24
	v_cndmask_b32_e32 v24, v23, v1, vcc
	v_cndmask_b32_e32 v22, v21, v25, vcc
	v_cmp_ne_u32_e64 s[4:5], 0, v17
	v_mov_b32_dpp v24, v24 row_bcast:31 row_mask:0xf bank_mask:0xf
	v_mov_b32_dpp v22, v22 row_bcast:31 row_mask:0xf bank_mask:0xf
	s_and_saveexec_b64 s[8:9], s[4:5]
; %bb.65:
	v_cndmask_b32_e32 v1, v23, v1, vcc
	v_cndmask_b32_e32 v16, v21, v16, vcc
	v_cmp_lt_u32_e32 vcc, 31, v17
	v_cndmask_b32_e32 v19, 0, v22, vcc
	v_cndmask_b32_e32 v20, 0, v24, vcc
	v_add_co_u32_e32 v19, vcc, v19, v16
	v_addc_co_u32_e32 v20, vcc, v20, v1, vcc
; %bb.66:
	s_or_b64 exec, exec, s[8:9]
	v_add_u32_e32 v1, -1, v17
	v_and_b32_e32 v16, 64, v17
	v_cmp_lt_i32_e32 vcc, v1, v16
	v_cndmask_b32_e32 v1, v1, v17, vcc
	v_lshlrev_b32_e32 v1, 2, v1
	ds_bpermute_b32 v16, v1, v19
	ds_bpermute_b32 v1, v1, v20
	; wave barrier
	s_waitcnt lgkmcnt(1)
	v_add_co_u32_e32 v14, vcc, v14, v16
	v_addc_co_u32_e32 v15, vcc, 0, v15, vcc
	v_add_co_u32_e32 v14, vcc, 0, v14
	s_waitcnt lgkmcnt(0)
	v_addc_co_u32_e32 v1, vcc, v15, v1, vcc
	v_cndmask_b32_e64 v15, v1, v41, s[2:3]
	v_cndmask_b32_e64 v14, v14, v40, s[2:3]
	ds_write_b64 v18, v[14:15]
	; wave barrier
	ds_read_b64 v[16:17], v18 offset:8
	s_waitcnt lgkmcnt(0)
	v_add_co_u32_e32 v14, vcc, v16, v14
	v_addc_co_u32_e32 v15, vcc, v17, v15, vcc
	ds_write_b64 v18, v[14:15] offset:8
.LBB470_67:
	s_or_b64 exec, exec, s[6:7]
	v_pk_mov_b32 v[14:15], v[40:41], v[40:41] op_sel:[0,1]
	s_waitcnt lgkmcnt(0)
	s_barrier
	s_and_saveexec_b64 s[2:3], s[0:1]
	s_cbranch_execz .LBB470_69
; %bb.68:
	v_add_u32_e32 v1, -1, v0
	v_lshrrev_b32_e32 v14, 5, v1
	v_add_lshl_u32 v1, v14, v1, 3
	ds_read_b64 v[14:15], v1
.LBB470_69:
	s_or_b64 exec, exec, s[2:3]
	s_and_saveexec_b64 s[2:3], s[0:1]
	s_cbranch_execz .LBB470_71
; %bb.70:
	s_waitcnt lgkmcnt(0)
	v_add_co_u32_e32 v2, vcc, v14, v2
	v_addc_co_u32_e32 v3, vcc, v15, v3, vcc
	v_add_co_u32_e32 v30, vcc, v2, v4
	v_addc_co_u32_e32 v31, vcc, v3, v5, vcc
	;; [unrolled: 2-line block ×7, first 2 shown]
	;;#ASMSTART
	;;#ASMEND
.LBB470_71:
	s_or_b64 exec, exec, s[2:3]
	v_pk_mov_b32 v[26:27], v[40:41], v[40:41] op_sel:[0,1]
	v_pk_mov_b32 v[46:47], v[38:39], v[38:39] op_sel:[0,1]
	;; [unrolled: 1-line block ×6, first 2 shown]
	s_waitcnt lgkmcnt(0)
	v_pk_mov_b32 v[14:15], v[2:3], v[2:3] op_sel:[0,1]
.LBB470_72:
	s_movk_i32 s0, 0x7f
	v_cmp_eq_u32_e32 vcc, s0, v0
	s_and_saveexec_b64 s[0:1], vcc
	s_cbranch_execz .LBB470_74
; %bb.73:
	s_add_u32 s2, s10, 0x400
	s_addc_u32 s3, s11, 0
	v_mov_b32_e32 v28, 2
	v_mov_b32_e32 v29, 0
	v_pk_mov_b32 v[2:3], s[2:3], s[2:3] op_sel:[0,1]
	;;#ASMSTART
	global_store_dwordx4 v[2:3], v[26:29] off	
s_waitcnt vmcnt(0)
	;;#ASMEND
.LBB470_74:
	s_or_b64 exec, exec, s[0:1]
.LBB470_75:
	s_add_u32 s0, s24, s22
	s_addc_u32 s1, s25, s23
	s_add_u32 s2, s0, s26
	s_addc_u32 s3, s1, s27
	s_mov_b64 s[0:1], -1
	s_and_b64 vcc, exec, s[20:21]
	v_mul_u32_u24_e32 v1, 56, v0
	s_barrier
	s_cbranch_vccz .LBB470_77
; %bb.76:
	v_mul_i32_i24_e32 v2, 0xffffffd0, v0
	v_mad_u32_u24 v16, v0, 56, v2
	ds_write2_b64 v1, v[14:15], v[42:43] offset1:1
	ds_write2_b64 v1, v[18:19], v[44:45] offset0:2 offset1:3
	ds_write2_b64 v1, v[22:23], v[46:47] offset0:4 offset1:5
	ds_write_b64 v1, v[26:27] offset:48
	s_waitcnt lgkmcnt(0)
	s_barrier
	ds_read2st64_b64 v[2:5], v16 offset1:2
	ds_read2st64_b64 v[6:9], v16 offset0:4 offset1:6
	ds_read2st64_b64 v[10:13], v16 offset0:8 offset1:10
	ds_read_b64 v[16:17], v16 offset:6144
	v_mov_b32_e32 v21, s3
	v_add_co_u32_e32 v20, vcc, s2, v48
	v_addc_co_u32_e32 v21, vcc, 0, v21, vcc
	s_waitcnt lgkmcnt(3)
	flat_store_dwordx2 v[20:21], v[2:3]
	flat_store_dwordx2 v[20:21], v[4:5] offset:1024
	s_waitcnt lgkmcnt(0)
	flat_store_dwordx2 v[20:21], v[6:7] offset:2048
	flat_store_dwordx2 v[20:21], v[8:9] offset:3072
	v_add_co_u32_e32 v2, vcc, 0x1000, v20
	v_addc_co_u32_e32 v3, vcc, 0, v21, vcc
	flat_store_dwordx2 v[2:3], v[10:11]
	flat_store_dwordx2 v[2:3], v[12:13] offset:1024
	flat_store_dwordx2 v[2:3], v[16:17] offset:2048
	s_mov_b64 s[0:1], 0
.LBB470_77:
	s_andn2_b64 vcc, exec, s[0:1]
	s_cbranch_vccnz .LBB470_116
; %bb.78:
	v_mul_i32_i24_e32 v2, 0xffffffd0, v0
	ds_write2_b64 v1, v[14:15], v[42:43] offset1:1
	ds_write2_b64 v1, v[18:19], v[44:45] offset0:2 offset1:3
	ds_write2_b64 v1, v[22:23], v[46:47] offset0:4 offset1:5
	ds_write_b64 v1, v[26:27] offset:48
	v_mad_u32_u24 v14, v0, 56, v2
	s_waitcnt lgkmcnt(0)
	s_barrier
	ds_read2st64_b64 v[2:5], v14 offset1:2
	ds_read2st64_b64 v[6:9], v14 offset0:4 offset1:6
	ds_read2st64_b64 v[10:13], v14 offset0:8 offset1:10
	ds_read_b64 v[14:15], v14 offset:6144
	v_mov_b32_e32 v17, s3
	v_add_co_u32_e32 v16, vcc, s2, v48
	v_addc_co_u32_e32 v17, vcc, 0, v17, vcc
	v_mov_b32_e32 v1, 0
	v_cmp_gt_u32_e32 vcc, s33, v0
	s_and_saveexec_b64 s[0:1], vcc
	s_cbranch_execz .LBB470_80
; %bb.79:
	s_waitcnt lgkmcnt(0)
	flat_store_dwordx2 v[16:17], v[2:3]
.LBB470_80:
	s_or_b64 exec, exec, s[0:1]
	v_or_b32_e32 v18, 0x80, v0
	v_cmp_gt_u32_e32 vcc, s33, v18
	s_and_saveexec_b64 s[0:1], vcc
	s_cbranch_execz .LBB470_82
; %bb.81:
	s_waitcnt lgkmcnt(0)
	flat_store_dwordx2 v[16:17], v[4:5] offset:1024
.LBB470_82:
	s_or_b64 exec, exec, s[0:1]
	v_or_b32_e32 v18, 0x100, v0
	v_cmp_gt_u32_e32 vcc, s33, v18
	s_and_saveexec_b64 s[0:1], vcc
	s_cbranch_execz .LBB470_84
; %bb.83:
	s_waitcnt lgkmcnt(0)
	flat_store_dwordx2 v[16:17], v[6:7] offset:2048
.LBB470_84:
	;; [unrolled: 9-line block ×3, first 2 shown]
	s_or_b64 exec, exec, s[0:1]
	v_or_b32_e32 v18, 0x200, v0
	v_cmp_gt_u32_e32 vcc, s33, v18
	s_and_saveexec_b64 s[0:1], vcc
	s_cbranch_execz .LBB470_88
; %bb.87:
	v_add_co_u32_e32 v18, vcc, 0x1000, v16
	v_addc_co_u32_e32 v19, vcc, 0, v17, vcc
	s_waitcnt lgkmcnt(0)
	flat_store_dwordx2 v[18:19], v[10:11]
.LBB470_88:
	s_or_b64 exec, exec, s[0:1]
	v_or_b32_e32 v18, 0x280, v0
	v_cmp_gt_u32_e32 vcc, s33, v18
	s_and_saveexec_b64 s[0:1], vcc
	s_cbranch_execz .LBB470_90
; %bb.89:
	v_add_co_u32_e32 v18, vcc, 0x1000, v16
	v_addc_co_u32_e32 v19, vcc, 0, v17, vcc
	s_waitcnt lgkmcnt(0)
	flat_store_dwordx2 v[18:19], v[12:13] offset:1024
.LBB470_90:
	s_or_b64 exec, exec, s[0:1]
	v_or_b32_e32 v18, 0x300, v0
	v_cmp_gt_u32_e32 vcc, s33, v18
	s_and_saveexec_b64 s[0:1], vcc
	s_cbranch_execz .LBB470_92
; %bb.91:
	v_add_co_u32_e32 v16, vcc, 0x1000, v16
	v_addc_co_u32_e32 v17, vcc, 0, v17, vcc
	s_waitcnt lgkmcnt(0)
	flat_store_dwordx2 v[16:17], v[14:15] offset:2048
.LBB470_92:
	s_or_b64 exec, exec, s[0:1]
	v_cmp_lt_u64_e64 s[0:1], s[18:19], 2
	s_and_b64 vcc, exec, s[0:1]
	s_cbranch_vccnz .LBB470_116
; %bb.93:
	s_add_u32 s0, s33, -1
	s_addc_u32 s1, s34, -1
	s_add_u32 s2, 0, 0x92481000
	s_addc_u32 s3, 0, 0x64
	s_add_i32 s3, s3, 0x249248c0
	s_mul_hi_u32 s7, s2, -7
	s_sub_i32 s7, s7, s2
	s_mul_i32 s8, s3, -7
	s_mul_i32 s4, s2, -7
	s_add_i32 s7, s7, s8
	s_mul_hi_u32 s5, s3, s4
	s_mul_i32 s6, s3, s4
	s_mul_i32 s9, s2, s7
	s_mul_hi_u32 s4, s2, s4
	s_mul_hi_u32 s8, s2, s7
	s_add_u32 s4, s4, s9
	s_addc_u32 s8, 0, s8
	s_add_u32 s4, s4, s6
	s_mul_hi_u32 s9, s3, s7
	s_addc_u32 s4, s8, s5
	s_addc_u32 s5, s9, 0
	s_mul_i32 s6, s3, s7
	s_add_u32 s4, s4, s6
	v_mov_b32_e32 v16, s4
	s_addc_u32 s5, 0, s5
	v_add_co_u32_e32 v16, vcc, s2, v16
	s_cmp_lg_u64 vcc, 0
	s_addc_u32 s2, s3, s5
	v_readfirstlane_b32 s5, v16
	s_mul_i32 s4, s0, s2
	s_mul_hi_u32 s6, s0, s5
	s_mul_hi_u32 s3, s0, s2
	s_add_u32 s4, s6, s4
	s_addc_u32 s3, 0, s3
	s_mul_hi_u32 s7, s1, s5
	s_mul_i32 s5, s1, s5
	s_add_u32 s4, s4, s5
	s_mul_hi_u32 s6, s1, s2
	s_addc_u32 s3, s3, s7
	s_addc_u32 s4, s6, 0
	s_mul_i32 s2, s1, s2
	s_add_u32 s2, s3, s2
	s_addc_u32 s3, 0, s4
	s_add_u32 s4, s2, 1
	s_addc_u32 s5, s3, 0
	s_add_u32 s6, s2, 2
	s_mul_i32 s8, s3, 7
	s_mul_hi_u32 s9, s2, 7
	s_addc_u32 s7, s3, 0
	s_add_i32 s9, s9, s8
	s_mul_i32 s8, s2, 7
	v_mov_b32_e32 v16, s8
	v_sub_co_u32_e32 v16, vcc, s0, v16
	s_cmp_lg_u64 vcc, 0
	s_subb_u32 s8, s1, s9
	v_subrev_co_u32_e32 v17, vcc, 7, v16
	s_cmp_lg_u64 vcc, 0
	s_subb_u32 s9, s8, 0
	v_readfirstlane_b32 s10, v17
	s_cmp_gt_u32 s10, 6
	s_cselect_b32 s10, -1, 0
	s_cmp_eq_u32 s9, 0
	s_cselect_b32 s9, s10, -1
	s_cmp_lg_u32 s9, 0
	s_cselect_b32 s4, s6, s4
	v_readfirstlane_b32 s6, v16
	s_cselect_b32 s5, s7, s5
	s_cmp_gt_u32 s6, 6
	s_cselect_b32 s6, -1, 0
	s_cmp_eq_u32 s8, 0
	s_cselect_b32 s6, s6, -1
	s_cmp_lg_u32 s6, 0
	s_cselect_b32 s3, s5, s3
	s_cselect_b32 s2, s4, s2
	v_cmp_eq_u64_e32 vcc, s[2:3], v[0:1]
	s_and_saveexec_b64 s[2:3], vcc
	s_cbranch_execz .LBB470_116
; %bb.94:
	v_mul_hi_u32_u24_e32 v1, 7, v0
	v_mov_b32_e32 v16, s1
	v_sub_co_u32_e32 v0, vcc, s0, v49
	v_subb_co_u32_e32 v1, vcc, v16, v1, vcc
	v_cmp_lt_i64_e32 vcc, 3, v[0:1]
	s_and_saveexec_b64 s[0:1], vcc
	s_xor_b64 s[0:1], exec, s[0:1]
	s_cbranch_execz .LBB470_104
; %bb.95:
	v_cmp_lt_i64_e32 vcc, 4, v[0:1]
	s_and_saveexec_b64 s[2:3], vcc
	s_xor_b64 s[2:3], exec, s[2:3]
	s_cbranch_execz .LBB470_101
; %bb.96:
	;; [unrolled: 5-line block ×3, first 2 shown]
	v_mov_b32_e32 v0, 0
	s_waitcnt lgkmcnt(0)
	global_store_dwordx2 v0, v[14:15], s[14:15]
                                        ; implicit-def: $vgpr10_vgpr11_vgpr12_vgpr13
.LBB470_98:
	s_andn2_saveexec_b64 s[4:5], s[4:5]
	s_cbranch_execz .LBB470_100
; %bb.99:
	v_mov_b32_e32 v0, 0
	s_waitcnt lgkmcnt(0)
	global_store_dwordx2 v0, v[12:13], s[14:15]
.LBB470_100:
	s_or_b64 exec, exec, s[4:5]
                                        ; implicit-def: $vgpr10_vgpr11_vgpr12_vgpr13
.LBB470_101:
	s_andn2_saveexec_b64 s[2:3], s[2:3]
	s_cbranch_execz .LBB470_103
; %bb.102:
	v_mov_b32_e32 v0, 0
	s_waitcnt lgkmcnt(0)
	global_store_dwordx2 v0, v[10:11], s[14:15]
.LBB470_103:
	s_or_b64 exec, exec, s[2:3]
                                        ; implicit-def: $vgpr0_vgpr1
                                        ; implicit-def: $vgpr2_vgpr3_vgpr4_vgpr5
                                        ; implicit-def: $vgpr6_vgpr7_vgpr8_vgpr9
.LBB470_104:
	s_andn2_saveexec_b64 s[0:1], s[0:1]
	s_cbranch_execz .LBB470_116
; %bb.105:
	v_cmp_lt_i64_e32 vcc, 1, v[0:1]
	s_and_saveexec_b64 s[0:1], vcc
	s_xor_b64 s[0:1], exec, s[0:1]
	s_cbranch_execz .LBB470_111
; %bb.106:
	v_cmp_lt_i64_e32 vcc, 2, v[0:1]
	s_and_saveexec_b64 s[2:3], vcc
	s_xor_b64 s[2:3], exec, s[2:3]
	s_cbranch_execz .LBB470_108
; %bb.107:
	v_mov_b32_e32 v0, 0
	s_waitcnt lgkmcnt(0)
	global_store_dwordx2 v0, v[8:9], s[14:15]
                                        ; implicit-def: $vgpr6_vgpr7_vgpr8_vgpr9
.LBB470_108:
	s_andn2_saveexec_b64 s[2:3], s[2:3]
	s_cbranch_execz .LBB470_110
; %bb.109:
	v_mov_b32_e32 v0, 0
	s_waitcnt lgkmcnt(0)
	global_store_dwordx2 v0, v[6:7], s[14:15]
.LBB470_110:
	s_or_b64 exec, exec, s[2:3]
                                        ; implicit-def: $vgpr2_vgpr3_vgpr4_vgpr5
                                        ; implicit-def: $vgpr0_vgpr1
.LBB470_111:
	s_andn2_saveexec_b64 s[0:1], s[0:1]
	s_cbranch_execz .LBB470_116
; %bb.112:
	v_cmp_ne_u64_e32 vcc, 1, v[0:1]
	s_and_saveexec_b64 s[0:1], vcc
	s_xor_b64 s[0:1], exec, s[0:1]
	s_cbranch_execz .LBB470_114
; %bb.113:
	v_mov_b32_e32 v0, 0
	s_waitcnt lgkmcnt(0)
	global_store_dwordx2 v0, v[2:3], s[14:15]
                                        ; implicit-def: $vgpr2_vgpr3_vgpr4_vgpr5
.LBB470_114:
	s_andn2_saveexec_b64 s[0:1], s[0:1]
	s_cbranch_execz .LBB470_116
; %bb.115:
	v_mov_b32_e32 v0, 0
	s_waitcnt lgkmcnt(0)
	global_store_dwordx2 v0, v[4:5], s[14:15]
.LBB470_116:
	s_endpgm
	.section	.rodata,"a",@progbits
	.p2align	6, 0x0
	.amdhsa_kernel _ZN7rocprim17ROCPRIM_400000_NS6detail17trampoline_kernelINS0_14default_configENS1_20scan_config_selectorIxEEZZNS1_9scan_implILNS1_25lookback_scan_determinismE0ELb0ELb1ES3_N6thrust23THRUST_200600_302600_NS6detail15normal_iteratorINS9_10device_ptrIxEEEESE_xNS9_4plusIxEExEEDaPvRmT3_T4_T5_mT6_P12ihipStream_tbENKUlT_T0_E_clISt17integral_constantIbLb0EEST_IbLb1EEEEDaSP_SQ_EUlSP_E_NS1_11comp_targetILNS1_3genE4ELNS1_11target_archE910ELNS1_3gpuE8ELNS1_3repE0EEENS1_30default_config_static_selectorELNS0_4arch9wavefront6targetE1EEEvT1_
		.amdhsa_group_segment_fixed_size 7168
		.amdhsa_private_segment_fixed_size 0
		.amdhsa_kernarg_size 104
		.amdhsa_user_sgpr_count 6
		.amdhsa_user_sgpr_private_segment_buffer 1
		.amdhsa_user_sgpr_dispatch_ptr 0
		.amdhsa_user_sgpr_queue_ptr 0
		.amdhsa_user_sgpr_kernarg_segment_ptr 1
		.amdhsa_user_sgpr_dispatch_id 0
		.amdhsa_user_sgpr_flat_scratch_init 0
		.amdhsa_user_sgpr_kernarg_preload_length 0
		.amdhsa_user_sgpr_kernarg_preload_offset 0
		.amdhsa_user_sgpr_private_segment_size 0
		.amdhsa_uses_dynamic_stack 0
		.amdhsa_system_sgpr_private_segment_wavefront_offset 0
		.amdhsa_system_sgpr_workgroup_id_x 1
		.amdhsa_system_sgpr_workgroup_id_y 0
		.amdhsa_system_sgpr_workgroup_id_z 0
		.amdhsa_system_sgpr_workgroup_info 0
		.amdhsa_system_vgpr_workitem_id 0
		.amdhsa_next_free_vgpr 51
		.amdhsa_next_free_sgpr 38
		.amdhsa_accum_offset 52
		.amdhsa_reserve_vcc 1
		.amdhsa_reserve_flat_scratch 0
		.amdhsa_float_round_mode_32 0
		.amdhsa_float_round_mode_16_64 0
		.amdhsa_float_denorm_mode_32 3
		.amdhsa_float_denorm_mode_16_64 3
		.amdhsa_dx10_clamp 1
		.amdhsa_ieee_mode 1
		.amdhsa_fp16_overflow 0
		.amdhsa_tg_split 0
		.amdhsa_exception_fp_ieee_invalid_op 0
		.amdhsa_exception_fp_denorm_src 0
		.amdhsa_exception_fp_ieee_div_zero 0
		.amdhsa_exception_fp_ieee_overflow 0
		.amdhsa_exception_fp_ieee_underflow 0
		.amdhsa_exception_fp_ieee_inexact 0
		.amdhsa_exception_int_div_zero 0
	.end_amdhsa_kernel
	.section	.text._ZN7rocprim17ROCPRIM_400000_NS6detail17trampoline_kernelINS0_14default_configENS1_20scan_config_selectorIxEEZZNS1_9scan_implILNS1_25lookback_scan_determinismE0ELb0ELb1ES3_N6thrust23THRUST_200600_302600_NS6detail15normal_iteratorINS9_10device_ptrIxEEEESE_xNS9_4plusIxEExEEDaPvRmT3_T4_T5_mT6_P12ihipStream_tbENKUlT_T0_E_clISt17integral_constantIbLb0EEST_IbLb1EEEEDaSP_SQ_EUlSP_E_NS1_11comp_targetILNS1_3genE4ELNS1_11target_archE910ELNS1_3gpuE8ELNS1_3repE0EEENS1_30default_config_static_selectorELNS0_4arch9wavefront6targetE1EEEvT1_,"axG",@progbits,_ZN7rocprim17ROCPRIM_400000_NS6detail17trampoline_kernelINS0_14default_configENS1_20scan_config_selectorIxEEZZNS1_9scan_implILNS1_25lookback_scan_determinismE0ELb0ELb1ES3_N6thrust23THRUST_200600_302600_NS6detail15normal_iteratorINS9_10device_ptrIxEEEESE_xNS9_4plusIxEExEEDaPvRmT3_T4_T5_mT6_P12ihipStream_tbENKUlT_T0_E_clISt17integral_constantIbLb0EEST_IbLb1EEEEDaSP_SQ_EUlSP_E_NS1_11comp_targetILNS1_3genE4ELNS1_11target_archE910ELNS1_3gpuE8ELNS1_3repE0EEENS1_30default_config_static_selectorELNS0_4arch9wavefront6targetE1EEEvT1_,comdat
.Lfunc_end470:
	.size	_ZN7rocprim17ROCPRIM_400000_NS6detail17trampoline_kernelINS0_14default_configENS1_20scan_config_selectorIxEEZZNS1_9scan_implILNS1_25lookback_scan_determinismE0ELb0ELb1ES3_N6thrust23THRUST_200600_302600_NS6detail15normal_iteratorINS9_10device_ptrIxEEEESE_xNS9_4plusIxEExEEDaPvRmT3_T4_T5_mT6_P12ihipStream_tbENKUlT_T0_E_clISt17integral_constantIbLb0EEST_IbLb1EEEEDaSP_SQ_EUlSP_E_NS1_11comp_targetILNS1_3genE4ELNS1_11target_archE910ELNS1_3gpuE8ELNS1_3repE0EEENS1_30default_config_static_selectorELNS0_4arch9wavefront6targetE1EEEvT1_, .Lfunc_end470-_ZN7rocprim17ROCPRIM_400000_NS6detail17trampoline_kernelINS0_14default_configENS1_20scan_config_selectorIxEEZZNS1_9scan_implILNS1_25lookback_scan_determinismE0ELb0ELb1ES3_N6thrust23THRUST_200600_302600_NS6detail15normal_iteratorINS9_10device_ptrIxEEEESE_xNS9_4plusIxEExEEDaPvRmT3_T4_T5_mT6_P12ihipStream_tbENKUlT_T0_E_clISt17integral_constantIbLb0EEST_IbLb1EEEEDaSP_SQ_EUlSP_E_NS1_11comp_targetILNS1_3genE4ELNS1_11target_archE910ELNS1_3gpuE8ELNS1_3repE0EEENS1_30default_config_static_selectorELNS0_4arch9wavefront6targetE1EEEvT1_
                                        ; -- End function
	.section	.AMDGPU.csdata,"",@progbits
; Kernel info:
; codeLenInByte = 6464
; NumSgprs: 42
; NumVgprs: 51
; NumAgprs: 0
; TotalNumVgprs: 51
; ScratchSize: 0
; MemoryBound: 0
; FloatMode: 240
; IeeeMode: 1
; LDSByteSize: 7168 bytes/workgroup (compile time only)
; SGPRBlocks: 5
; VGPRBlocks: 6
; NumSGPRsForWavesPerEU: 42
; NumVGPRsForWavesPerEU: 51
; AccumOffset: 52
; Occupancy: 5
; WaveLimiterHint : 1
; COMPUTE_PGM_RSRC2:SCRATCH_EN: 0
; COMPUTE_PGM_RSRC2:USER_SGPR: 6
; COMPUTE_PGM_RSRC2:TRAP_HANDLER: 0
; COMPUTE_PGM_RSRC2:TGID_X_EN: 1
; COMPUTE_PGM_RSRC2:TGID_Y_EN: 0
; COMPUTE_PGM_RSRC2:TGID_Z_EN: 0
; COMPUTE_PGM_RSRC2:TIDIG_COMP_CNT: 0
; COMPUTE_PGM_RSRC3_GFX90A:ACCUM_OFFSET: 12
; COMPUTE_PGM_RSRC3_GFX90A:TG_SPLIT: 0
	.section	.text._ZN7rocprim17ROCPRIM_400000_NS6detail17trampoline_kernelINS0_14default_configENS1_20scan_config_selectorIxEEZZNS1_9scan_implILNS1_25lookback_scan_determinismE0ELb0ELb1ES3_N6thrust23THRUST_200600_302600_NS6detail15normal_iteratorINS9_10device_ptrIxEEEESE_xNS9_4plusIxEExEEDaPvRmT3_T4_T5_mT6_P12ihipStream_tbENKUlT_T0_E_clISt17integral_constantIbLb0EEST_IbLb1EEEEDaSP_SQ_EUlSP_E_NS1_11comp_targetILNS1_3genE3ELNS1_11target_archE908ELNS1_3gpuE7ELNS1_3repE0EEENS1_30default_config_static_selectorELNS0_4arch9wavefront6targetE1EEEvT1_,"axG",@progbits,_ZN7rocprim17ROCPRIM_400000_NS6detail17trampoline_kernelINS0_14default_configENS1_20scan_config_selectorIxEEZZNS1_9scan_implILNS1_25lookback_scan_determinismE0ELb0ELb1ES3_N6thrust23THRUST_200600_302600_NS6detail15normal_iteratorINS9_10device_ptrIxEEEESE_xNS9_4plusIxEExEEDaPvRmT3_T4_T5_mT6_P12ihipStream_tbENKUlT_T0_E_clISt17integral_constantIbLb0EEST_IbLb1EEEEDaSP_SQ_EUlSP_E_NS1_11comp_targetILNS1_3genE3ELNS1_11target_archE908ELNS1_3gpuE7ELNS1_3repE0EEENS1_30default_config_static_selectorELNS0_4arch9wavefront6targetE1EEEvT1_,comdat
	.protected	_ZN7rocprim17ROCPRIM_400000_NS6detail17trampoline_kernelINS0_14default_configENS1_20scan_config_selectorIxEEZZNS1_9scan_implILNS1_25lookback_scan_determinismE0ELb0ELb1ES3_N6thrust23THRUST_200600_302600_NS6detail15normal_iteratorINS9_10device_ptrIxEEEESE_xNS9_4plusIxEExEEDaPvRmT3_T4_T5_mT6_P12ihipStream_tbENKUlT_T0_E_clISt17integral_constantIbLb0EEST_IbLb1EEEEDaSP_SQ_EUlSP_E_NS1_11comp_targetILNS1_3genE3ELNS1_11target_archE908ELNS1_3gpuE7ELNS1_3repE0EEENS1_30default_config_static_selectorELNS0_4arch9wavefront6targetE1EEEvT1_ ; -- Begin function _ZN7rocprim17ROCPRIM_400000_NS6detail17trampoline_kernelINS0_14default_configENS1_20scan_config_selectorIxEEZZNS1_9scan_implILNS1_25lookback_scan_determinismE0ELb0ELb1ES3_N6thrust23THRUST_200600_302600_NS6detail15normal_iteratorINS9_10device_ptrIxEEEESE_xNS9_4plusIxEExEEDaPvRmT3_T4_T5_mT6_P12ihipStream_tbENKUlT_T0_E_clISt17integral_constantIbLb0EEST_IbLb1EEEEDaSP_SQ_EUlSP_E_NS1_11comp_targetILNS1_3genE3ELNS1_11target_archE908ELNS1_3gpuE7ELNS1_3repE0EEENS1_30default_config_static_selectorELNS0_4arch9wavefront6targetE1EEEvT1_
	.globl	_ZN7rocprim17ROCPRIM_400000_NS6detail17trampoline_kernelINS0_14default_configENS1_20scan_config_selectorIxEEZZNS1_9scan_implILNS1_25lookback_scan_determinismE0ELb0ELb1ES3_N6thrust23THRUST_200600_302600_NS6detail15normal_iteratorINS9_10device_ptrIxEEEESE_xNS9_4plusIxEExEEDaPvRmT3_T4_T5_mT6_P12ihipStream_tbENKUlT_T0_E_clISt17integral_constantIbLb0EEST_IbLb1EEEEDaSP_SQ_EUlSP_E_NS1_11comp_targetILNS1_3genE3ELNS1_11target_archE908ELNS1_3gpuE7ELNS1_3repE0EEENS1_30default_config_static_selectorELNS0_4arch9wavefront6targetE1EEEvT1_
	.p2align	8
	.type	_ZN7rocprim17ROCPRIM_400000_NS6detail17trampoline_kernelINS0_14default_configENS1_20scan_config_selectorIxEEZZNS1_9scan_implILNS1_25lookback_scan_determinismE0ELb0ELb1ES3_N6thrust23THRUST_200600_302600_NS6detail15normal_iteratorINS9_10device_ptrIxEEEESE_xNS9_4plusIxEExEEDaPvRmT3_T4_T5_mT6_P12ihipStream_tbENKUlT_T0_E_clISt17integral_constantIbLb0EEST_IbLb1EEEEDaSP_SQ_EUlSP_E_NS1_11comp_targetILNS1_3genE3ELNS1_11target_archE908ELNS1_3gpuE7ELNS1_3repE0EEENS1_30default_config_static_selectorELNS0_4arch9wavefront6targetE1EEEvT1_,@function
_ZN7rocprim17ROCPRIM_400000_NS6detail17trampoline_kernelINS0_14default_configENS1_20scan_config_selectorIxEEZZNS1_9scan_implILNS1_25lookback_scan_determinismE0ELb0ELb1ES3_N6thrust23THRUST_200600_302600_NS6detail15normal_iteratorINS9_10device_ptrIxEEEESE_xNS9_4plusIxEExEEDaPvRmT3_T4_T5_mT6_P12ihipStream_tbENKUlT_T0_E_clISt17integral_constantIbLb0EEST_IbLb1EEEEDaSP_SQ_EUlSP_E_NS1_11comp_targetILNS1_3genE3ELNS1_11target_archE908ELNS1_3gpuE7ELNS1_3repE0EEENS1_30default_config_static_selectorELNS0_4arch9wavefront6targetE1EEEvT1_: ; @_ZN7rocprim17ROCPRIM_400000_NS6detail17trampoline_kernelINS0_14default_configENS1_20scan_config_selectorIxEEZZNS1_9scan_implILNS1_25lookback_scan_determinismE0ELb0ELb1ES3_N6thrust23THRUST_200600_302600_NS6detail15normal_iteratorINS9_10device_ptrIxEEEESE_xNS9_4plusIxEExEEDaPvRmT3_T4_T5_mT6_P12ihipStream_tbENKUlT_T0_E_clISt17integral_constantIbLb0EEST_IbLb1EEEEDaSP_SQ_EUlSP_E_NS1_11comp_targetILNS1_3genE3ELNS1_11target_archE908ELNS1_3gpuE7ELNS1_3repE0EEENS1_30default_config_static_selectorELNS0_4arch9wavefront6targetE1EEEvT1_
; %bb.0:
	.section	.rodata,"a",@progbits
	.p2align	6, 0x0
	.amdhsa_kernel _ZN7rocprim17ROCPRIM_400000_NS6detail17trampoline_kernelINS0_14default_configENS1_20scan_config_selectorIxEEZZNS1_9scan_implILNS1_25lookback_scan_determinismE0ELb0ELb1ES3_N6thrust23THRUST_200600_302600_NS6detail15normal_iteratorINS9_10device_ptrIxEEEESE_xNS9_4plusIxEExEEDaPvRmT3_T4_T5_mT6_P12ihipStream_tbENKUlT_T0_E_clISt17integral_constantIbLb0EEST_IbLb1EEEEDaSP_SQ_EUlSP_E_NS1_11comp_targetILNS1_3genE3ELNS1_11target_archE908ELNS1_3gpuE7ELNS1_3repE0EEENS1_30default_config_static_selectorELNS0_4arch9wavefront6targetE1EEEvT1_
		.amdhsa_group_segment_fixed_size 0
		.amdhsa_private_segment_fixed_size 0
		.amdhsa_kernarg_size 104
		.amdhsa_user_sgpr_count 6
		.amdhsa_user_sgpr_private_segment_buffer 1
		.amdhsa_user_sgpr_dispatch_ptr 0
		.amdhsa_user_sgpr_queue_ptr 0
		.amdhsa_user_sgpr_kernarg_segment_ptr 1
		.amdhsa_user_sgpr_dispatch_id 0
		.amdhsa_user_sgpr_flat_scratch_init 0
		.amdhsa_user_sgpr_kernarg_preload_length 0
		.amdhsa_user_sgpr_kernarg_preload_offset 0
		.amdhsa_user_sgpr_private_segment_size 0
		.amdhsa_uses_dynamic_stack 0
		.amdhsa_system_sgpr_private_segment_wavefront_offset 0
		.amdhsa_system_sgpr_workgroup_id_x 1
		.amdhsa_system_sgpr_workgroup_id_y 0
		.amdhsa_system_sgpr_workgroup_id_z 0
		.amdhsa_system_sgpr_workgroup_info 0
		.amdhsa_system_vgpr_workitem_id 0
		.amdhsa_next_free_vgpr 1
		.amdhsa_next_free_sgpr 0
		.amdhsa_accum_offset 4
		.amdhsa_reserve_vcc 0
		.amdhsa_reserve_flat_scratch 0
		.amdhsa_float_round_mode_32 0
		.amdhsa_float_round_mode_16_64 0
		.amdhsa_float_denorm_mode_32 3
		.amdhsa_float_denorm_mode_16_64 3
		.amdhsa_dx10_clamp 1
		.amdhsa_ieee_mode 1
		.amdhsa_fp16_overflow 0
		.amdhsa_tg_split 0
		.amdhsa_exception_fp_ieee_invalid_op 0
		.amdhsa_exception_fp_denorm_src 0
		.amdhsa_exception_fp_ieee_div_zero 0
		.amdhsa_exception_fp_ieee_overflow 0
		.amdhsa_exception_fp_ieee_underflow 0
		.amdhsa_exception_fp_ieee_inexact 0
		.amdhsa_exception_int_div_zero 0
	.end_amdhsa_kernel
	.section	.text._ZN7rocprim17ROCPRIM_400000_NS6detail17trampoline_kernelINS0_14default_configENS1_20scan_config_selectorIxEEZZNS1_9scan_implILNS1_25lookback_scan_determinismE0ELb0ELb1ES3_N6thrust23THRUST_200600_302600_NS6detail15normal_iteratorINS9_10device_ptrIxEEEESE_xNS9_4plusIxEExEEDaPvRmT3_T4_T5_mT6_P12ihipStream_tbENKUlT_T0_E_clISt17integral_constantIbLb0EEST_IbLb1EEEEDaSP_SQ_EUlSP_E_NS1_11comp_targetILNS1_3genE3ELNS1_11target_archE908ELNS1_3gpuE7ELNS1_3repE0EEENS1_30default_config_static_selectorELNS0_4arch9wavefront6targetE1EEEvT1_,"axG",@progbits,_ZN7rocprim17ROCPRIM_400000_NS6detail17trampoline_kernelINS0_14default_configENS1_20scan_config_selectorIxEEZZNS1_9scan_implILNS1_25lookback_scan_determinismE0ELb0ELb1ES3_N6thrust23THRUST_200600_302600_NS6detail15normal_iteratorINS9_10device_ptrIxEEEESE_xNS9_4plusIxEExEEDaPvRmT3_T4_T5_mT6_P12ihipStream_tbENKUlT_T0_E_clISt17integral_constantIbLb0EEST_IbLb1EEEEDaSP_SQ_EUlSP_E_NS1_11comp_targetILNS1_3genE3ELNS1_11target_archE908ELNS1_3gpuE7ELNS1_3repE0EEENS1_30default_config_static_selectorELNS0_4arch9wavefront6targetE1EEEvT1_,comdat
.Lfunc_end471:
	.size	_ZN7rocprim17ROCPRIM_400000_NS6detail17trampoline_kernelINS0_14default_configENS1_20scan_config_selectorIxEEZZNS1_9scan_implILNS1_25lookback_scan_determinismE0ELb0ELb1ES3_N6thrust23THRUST_200600_302600_NS6detail15normal_iteratorINS9_10device_ptrIxEEEESE_xNS9_4plusIxEExEEDaPvRmT3_T4_T5_mT6_P12ihipStream_tbENKUlT_T0_E_clISt17integral_constantIbLb0EEST_IbLb1EEEEDaSP_SQ_EUlSP_E_NS1_11comp_targetILNS1_3genE3ELNS1_11target_archE908ELNS1_3gpuE7ELNS1_3repE0EEENS1_30default_config_static_selectorELNS0_4arch9wavefront6targetE1EEEvT1_, .Lfunc_end471-_ZN7rocprim17ROCPRIM_400000_NS6detail17trampoline_kernelINS0_14default_configENS1_20scan_config_selectorIxEEZZNS1_9scan_implILNS1_25lookback_scan_determinismE0ELb0ELb1ES3_N6thrust23THRUST_200600_302600_NS6detail15normal_iteratorINS9_10device_ptrIxEEEESE_xNS9_4plusIxEExEEDaPvRmT3_T4_T5_mT6_P12ihipStream_tbENKUlT_T0_E_clISt17integral_constantIbLb0EEST_IbLb1EEEEDaSP_SQ_EUlSP_E_NS1_11comp_targetILNS1_3genE3ELNS1_11target_archE908ELNS1_3gpuE7ELNS1_3repE0EEENS1_30default_config_static_selectorELNS0_4arch9wavefront6targetE1EEEvT1_
                                        ; -- End function
	.section	.AMDGPU.csdata,"",@progbits
; Kernel info:
; codeLenInByte = 0
; NumSgprs: 4
; NumVgprs: 0
; NumAgprs: 0
; TotalNumVgprs: 0
; ScratchSize: 0
; MemoryBound: 0
; FloatMode: 240
; IeeeMode: 1
; LDSByteSize: 0 bytes/workgroup (compile time only)
; SGPRBlocks: 0
; VGPRBlocks: 0
; NumSGPRsForWavesPerEU: 4
; NumVGPRsForWavesPerEU: 1
; AccumOffset: 4
; Occupancy: 8
; WaveLimiterHint : 0
; COMPUTE_PGM_RSRC2:SCRATCH_EN: 0
; COMPUTE_PGM_RSRC2:USER_SGPR: 6
; COMPUTE_PGM_RSRC2:TRAP_HANDLER: 0
; COMPUTE_PGM_RSRC2:TGID_X_EN: 1
; COMPUTE_PGM_RSRC2:TGID_Y_EN: 0
; COMPUTE_PGM_RSRC2:TGID_Z_EN: 0
; COMPUTE_PGM_RSRC2:TIDIG_COMP_CNT: 0
; COMPUTE_PGM_RSRC3_GFX90A:ACCUM_OFFSET: 0
; COMPUTE_PGM_RSRC3_GFX90A:TG_SPLIT: 0
	.section	.text._ZN7rocprim17ROCPRIM_400000_NS6detail17trampoline_kernelINS0_14default_configENS1_20scan_config_selectorIxEEZZNS1_9scan_implILNS1_25lookback_scan_determinismE0ELb0ELb1ES3_N6thrust23THRUST_200600_302600_NS6detail15normal_iteratorINS9_10device_ptrIxEEEESE_xNS9_4plusIxEExEEDaPvRmT3_T4_T5_mT6_P12ihipStream_tbENKUlT_T0_E_clISt17integral_constantIbLb0EEST_IbLb1EEEEDaSP_SQ_EUlSP_E_NS1_11comp_targetILNS1_3genE2ELNS1_11target_archE906ELNS1_3gpuE6ELNS1_3repE0EEENS1_30default_config_static_selectorELNS0_4arch9wavefront6targetE1EEEvT1_,"axG",@progbits,_ZN7rocprim17ROCPRIM_400000_NS6detail17trampoline_kernelINS0_14default_configENS1_20scan_config_selectorIxEEZZNS1_9scan_implILNS1_25lookback_scan_determinismE0ELb0ELb1ES3_N6thrust23THRUST_200600_302600_NS6detail15normal_iteratorINS9_10device_ptrIxEEEESE_xNS9_4plusIxEExEEDaPvRmT3_T4_T5_mT6_P12ihipStream_tbENKUlT_T0_E_clISt17integral_constantIbLb0EEST_IbLb1EEEEDaSP_SQ_EUlSP_E_NS1_11comp_targetILNS1_3genE2ELNS1_11target_archE906ELNS1_3gpuE6ELNS1_3repE0EEENS1_30default_config_static_selectorELNS0_4arch9wavefront6targetE1EEEvT1_,comdat
	.protected	_ZN7rocprim17ROCPRIM_400000_NS6detail17trampoline_kernelINS0_14default_configENS1_20scan_config_selectorIxEEZZNS1_9scan_implILNS1_25lookback_scan_determinismE0ELb0ELb1ES3_N6thrust23THRUST_200600_302600_NS6detail15normal_iteratorINS9_10device_ptrIxEEEESE_xNS9_4plusIxEExEEDaPvRmT3_T4_T5_mT6_P12ihipStream_tbENKUlT_T0_E_clISt17integral_constantIbLb0EEST_IbLb1EEEEDaSP_SQ_EUlSP_E_NS1_11comp_targetILNS1_3genE2ELNS1_11target_archE906ELNS1_3gpuE6ELNS1_3repE0EEENS1_30default_config_static_selectorELNS0_4arch9wavefront6targetE1EEEvT1_ ; -- Begin function _ZN7rocprim17ROCPRIM_400000_NS6detail17trampoline_kernelINS0_14default_configENS1_20scan_config_selectorIxEEZZNS1_9scan_implILNS1_25lookback_scan_determinismE0ELb0ELb1ES3_N6thrust23THRUST_200600_302600_NS6detail15normal_iteratorINS9_10device_ptrIxEEEESE_xNS9_4plusIxEExEEDaPvRmT3_T4_T5_mT6_P12ihipStream_tbENKUlT_T0_E_clISt17integral_constantIbLb0EEST_IbLb1EEEEDaSP_SQ_EUlSP_E_NS1_11comp_targetILNS1_3genE2ELNS1_11target_archE906ELNS1_3gpuE6ELNS1_3repE0EEENS1_30default_config_static_selectorELNS0_4arch9wavefront6targetE1EEEvT1_
	.globl	_ZN7rocprim17ROCPRIM_400000_NS6detail17trampoline_kernelINS0_14default_configENS1_20scan_config_selectorIxEEZZNS1_9scan_implILNS1_25lookback_scan_determinismE0ELb0ELb1ES3_N6thrust23THRUST_200600_302600_NS6detail15normal_iteratorINS9_10device_ptrIxEEEESE_xNS9_4plusIxEExEEDaPvRmT3_T4_T5_mT6_P12ihipStream_tbENKUlT_T0_E_clISt17integral_constantIbLb0EEST_IbLb1EEEEDaSP_SQ_EUlSP_E_NS1_11comp_targetILNS1_3genE2ELNS1_11target_archE906ELNS1_3gpuE6ELNS1_3repE0EEENS1_30default_config_static_selectorELNS0_4arch9wavefront6targetE1EEEvT1_
	.p2align	8
	.type	_ZN7rocprim17ROCPRIM_400000_NS6detail17trampoline_kernelINS0_14default_configENS1_20scan_config_selectorIxEEZZNS1_9scan_implILNS1_25lookback_scan_determinismE0ELb0ELb1ES3_N6thrust23THRUST_200600_302600_NS6detail15normal_iteratorINS9_10device_ptrIxEEEESE_xNS9_4plusIxEExEEDaPvRmT3_T4_T5_mT6_P12ihipStream_tbENKUlT_T0_E_clISt17integral_constantIbLb0EEST_IbLb1EEEEDaSP_SQ_EUlSP_E_NS1_11comp_targetILNS1_3genE2ELNS1_11target_archE906ELNS1_3gpuE6ELNS1_3repE0EEENS1_30default_config_static_selectorELNS0_4arch9wavefront6targetE1EEEvT1_,@function
_ZN7rocprim17ROCPRIM_400000_NS6detail17trampoline_kernelINS0_14default_configENS1_20scan_config_selectorIxEEZZNS1_9scan_implILNS1_25lookback_scan_determinismE0ELb0ELb1ES3_N6thrust23THRUST_200600_302600_NS6detail15normal_iteratorINS9_10device_ptrIxEEEESE_xNS9_4plusIxEExEEDaPvRmT3_T4_T5_mT6_P12ihipStream_tbENKUlT_T0_E_clISt17integral_constantIbLb0EEST_IbLb1EEEEDaSP_SQ_EUlSP_E_NS1_11comp_targetILNS1_3genE2ELNS1_11target_archE906ELNS1_3gpuE6ELNS1_3repE0EEENS1_30default_config_static_selectorELNS0_4arch9wavefront6targetE1EEEvT1_: ; @_ZN7rocprim17ROCPRIM_400000_NS6detail17trampoline_kernelINS0_14default_configENS1_20scan_config_selectorIxEEZZNS1_9scan_implILNS1_25lookback_scan_determinismE0ELb0ELb1ES3_N6thrust23THRUST_200600_302600_NS6detail15normal_iteratorINS9_10device_ptrIxEEEESE_xNS9_4plusIxEExEEDaPvRmT3_T4_T5_mT6_P12ihipStream_tbENKUlT_T0_E_clISt17integral_constantIbLb0EEST_IbLb1EEEEDaSP_SQ_EUlSP_E_NS1_11comp_targetILNS1_3genE2ELNS1_11target_archE906ELNS1_3gpuE6ELNS1_3repE0EEENS1_30default_config_static_selectorELNS0_4arch9wavefront6targetE1EEEvT1_
; %bb.0:
	.section	.rodata,"a",@progbits
	.p2align	6, 0x0
	.amdhsa_kernel _ZN7rocprim17ROCPRIM_400000_NS6detail17trampoline_kernelINS0_14default_configENS1_20scan_config_selectorIxEEZZNS1_9scan_implILNS1_25lookback_scan_determinismE0ELb0ELb1ES3_N6thrust23THRUST_200600_302600_NS6detail15normal_iteratorINS9_10device_ptrIxEEEESE_xNS9_4plusIxEExEEDaPvRmT3_T4_T5_mT6_P12ihipStream_tbENKUlT_T0_E_clISt17integral_constantIbLb0EEST_IbLb1EEEEDaSP_SQ_EUlSP_E_NS1_11comp_targetILNS1_3genE2ELNS1_11target_archE906ELNS1_3gpuE6ELNS1_3repE0EEENS1_30default_config_static_selectorELNS0_4arch9wavefront6targetE1EEEvT1_
		.amdhsa_group_segment_fixed_size 0
		.amdhsa_private_segment_fixed_size 0
		.amdhsa_kernarg_size 104
		.amdhsa_user_sgpr_count 6
		.amdhsa_user_sgpr_private_segment_buffer 1
		.amdhsa_user_sgpr_dispatch_ptr 0
		.amdhsa_user_sgpr_queue_ptr 0
		.amdhsa_user_sgpr_kernarg_segment_ptr 1
		.amdhsa_user_sgpr_dispatch_id 0
		.amdhsa_user_sgpr_flat_scratch_init 0
		.amdhsa_user_sgpr_kernarg_preload_length 0
		.amdhsa_user_sgpr_kernarg_preload_offset 0
		.amdhsa_user_sgpr_private_segment_size 0
		.amdhsa_uses_dynamic_stack 0
		.amdhsa_system_sgpr_private_segment_wavefront_offset 0
		.amdhsa_system_sgpr_workgroup_id_x 1
		.amdhsa_system_sgpr_workgroup_id_y 0
		.amdhsa_system_sgpr_workgroup_id_z 0
		.amdhsa_system_sgpr_workgroup_info 0
		.amdhsa_system_vgpr_workitem_id 0
		.amdhsa_next_free_vgpr 1
		.amdhsa_next_free_sgpr 0
		.amdhsa_accum_offset 4
		.amdhsa_reserve_vcc 0
		.amdhsa_reserve_flat_scratch 0
		.amdhsa_float_round_mode_32 0
		.amdhsa_float_round_mode_16_64 0
		.amdhsa_float_denorm_mode_32 3
		.amdhsa_float_denorm_mode_16_64 3
		.amdhsa_dx10_clamp 1
		.amdhsa_ieee_mode 1
		.amdhsa_fp16_overflow 0
		.amdhsa_tg_split 0
		.amdhsa_exception_fp_ieee_invalid_op 0
		.amdhsa_exception_fp_denorm_src 0
		.amdhsa_exception_fp_ieee_div_zero 0
		.amdhsa_exception_fp_ieee_overflow 0
		.amdhsa_exception_fp_ieee_underflow 0
		.amdhsa_exception_fp_ieee_inexact 0
		.amdhsa_exception_int_div_zero 0
	.end_amdhsa_kernel
	.section	.text._ZN7rocprim17ROCPRIM_400000_NS6detail17trampoline_kernelINS0_14default_configENS1_20scan_config_selectorIxEEZZNS1_9scan_implILNS1_25lookback_scan_determinismE0ELb0ELb1ES3_N6thrust23THRUST_200600_302600_NS6detail15normal_iteratorINS9_10device_ptrIxEEEESE_xNS9_4plusIxEExEEDaPvRmT3_T4_T5_mT6_P12ihipStream_tbENKUlT_T0_E_clISt17integral_constantIbLb0EEST_IbLb1EEEEDaSP_SQ_EUlSP_E_NS1_11comp_targetILNS1_3genE2ELNS1_11target_archE906ELNS1_3gpuE6ELNS1_3repE0EEENS1_30default_config_static_selectorELNS0_4arch9wavefront6targetE1EEEvT1_,"axG",@progbits,_ZN7rocprim17ROCPRIM_400000_NS6detail17trampoline_kernelINS0_14default_configENS1_20scan_config_selectorIxEEZZNS1_9scan_implILNS1_25lookback_scan_determinismE0ELb0ELb1ES3_N6thrust23THRUST_200600_302600_NS6detail15normal_iteratorINS9_10device_ptrIxEEEESE_xNS9_4plusIxEExEEDaPvRmT3_T4_T5_mT6_P12ihipStream_tbENKUlT_T0_E_clISt17integral_constantIbLb0EEST_IbLb1EEEEDaSP_SQ_EUlSP_E_NS1_11comp_targetILNS1_3genE2ELNS1_11target_archE906ELNS1_3gpuE6ELNS1_3repE0EEENS1_30default_config_static_selectorELNS0_4arch9wavefront6targetE1EEEvT1_,comdat
.Lfunc_end472:
	.size	_ZN7rocprim17ROCPRIM_400000_NS6detail17trampoline_kernelINS0_14default_configENS1_20scan_config_selectorIxEEZZNS1_9scan_implILNS1_25lookback_scan_determinismE0ELb0ELb1ES3_N6thrust23THRUST_200600_302600_NS6detail15normal_iteratorINS9_10device_ptrIxEEEESE_xNS9_4plusIxEExEEDaPvRmT3_T4_T5_mT6_P12ihipStream_tbENKUlT_T0_E_clISt17integral_constantIbLb0EEST_IbLb1EEEEDaSP_SQ_EUlSP_E_NS1_11comp_targetILNS1_3genE2ELNS1_11target_archE906ELNS1_3gpuE6ELNS1_3repE0EEENS1_30default_config_static_selectorELNS0_4arch9wavefront6targetE1EEEvT1_, .Lfunc_end472-_ZN7rocprim17ROCPRIM_400000_NS6detail17trampoline_kernelINS0_14default_configENS1_20scan_config_selectorIxEEZZNS1_9scan_implILNS1_25lookback_scan_determinismE0ELb0ELb1ES3_N6thrust23THRUST_200600_302600_NS6detail15normal_iteratorINS9_10device_ptrIxEEEESE_xNS9_4plusIxEExEEDaPvRmT3_T4_T5_mT6_P12ihipStream_tbENKUlT_T0_E_clISt17integral_constantIbLb0EEST_IbLb1EEEEDaSP_SQ_EUlSP_E_NS1_11comp_targetILNS1_3genE2ELNS1_11target_archE906ELNS1_3gpuE6ELNS1_3repE0EEENS1_30default_config_static_selectorELNS0_4arch9wavefront6targetE1EEEvT1_
                                        ; -- End function
	.section	.AMDGPU.csdata,"",@progbits
; Kernel info:
; codeLenInByte = 0
; NumSgprs: 4
; NumVgprs: 0
; NumAgprs: 0
; TotalNumVgprs: 0
; ScratchSize: 0
; MemoryBound: 0
; FloatMode: 240
; IeeeMode: 1
; LDSByteSize: 0 bytes/workgroup (compile time only)
; SGPRBlocks: 0
; VGPRBlocks: 0
; NumSGPRsForWavesPerEU: 4
; NumVGPRsForWavesPerEU: 1
; AccumOffset: 4
; Occupancy: 8
; WaveLimiterHint : 0
; COMPUTE_PGM_RSRC2:SCRATCH_EN: 0
; COMPUTE_PGM_RSRC2:USER_SGPR: 6
; COMPUTE_PGM_RSRC2:TRAP_HANDLER: 0
; COMPUTE_PGM_RSRC2:TGID_X_EN: 1
; COMPUTE_PGM_RSRC2:TGID_Y_EN: 0
; COMPUTE_PGM_RSRC2:TGID_Z_EN: 0
; COMPUTE_PGM_RSRC2:TIDIG_COMP_CNT: 0
; COMPUTE_PGM_RSRC3_GFX90A:ACCUM_OFFSET: 0
; COMPUTE_PGM_RSRC3_GFX90A:TG_SPLIT: 0
	.section	.text._ZN7rocprim17ROCPRIM_400000_NS6detail17trampoline_kernelINS0_14default_configENS1_20scan_config_selectorIxEEZZNS1_9scan_implILNS1_25lookback_scan_determinismE0ELb0ELb1ES3_N6thrust23THRUST_200600_302600_NS6detail15normal_iteratorINS9_10device_ptrIxEEEESE_xNS9_4plusIxEExEEDaPvRmT3_T4_T5_mT6_P12ihipStream_tbENKUlT_T0_E_clISt17integral_constantIbLb0EEST_IbLb1EEEEDaSP_SQ_EUlSP_E_NS1_11comp_targetILNS1_3genE10ELNS1_11target_archE1201ELNS1_3gpuE5ELNS1_3repE0EEENS1_30default_config_static_selectorELNS0_4arch9wavefront6targetE1EEEvT1_,"axG",@progbits,_ZN7rocprim17ROCPRIM_400000_NS6detail17trampoline_kernelINS0_14default_configENS1_20scan_config_selectorIxEEZZNS1_9scan_implILNS1_25lookback_scan_determinismE0ELb0ELb1ES3_N6thrust23THRUST_200600_302600_NS6detail15normal_iteratorINS9_10device_ptrIxEEEESE_xNS9_4plusIxEExEEDaPvRmT3_T4_T5_mT6_P12ihipStream_tbENKUlT_T0_E_clISt17integral_constantIbLb0EEST_IbLb1EEEEDaSP_SQ_EUlSP_E_NS1_11comp_targetILNS1_3genE10ELNS1_11target_archE1201ELNS1_3gpuE5ELNS1_3repE0EEENS1_30default_config_static_selectorELNS0_4arch9wavefront6targetE1EEEvT1_,comdat
	.protected	_ZN7rocprim17ROCPRIM_400000_NS6detail17trampoline_kernelINS0_14default_configENS1_20scan_config_selectorIxEEZZNS1_9scan_implILNS1_25lookback_scan_determinismE0ELb0ELb1ES3_N6thrust23THRUST_200600_302600_NS6detail15normal_iteratorINS9_10device_ptrIxEEEESE_xNS9_4plusIxEExEEDaPvRmT3_T4_T5_mT6_P12ihipStream_tbENKUlT_T0_E_clISt17integral_constantIbLb0EEST_IbLb1EEEEDaSP_SQ_EUlSP_E_NS1_11comp_targetILNS1_3genE10ELNS1_11target_archE1201ELNS1_3gpuE5ELNS1_3repE0EEENS1_30default_config_static_selectorELNS0_4arch9wavefront6targetE1EEEvT1_ ; -- Begin function _ZN7rocprim17ROCPRIM_400000_NS6detail17trampoline_kernelINS0_14default_configENS1_20scan_config_selectorIxEEZZNS1_9scan_implILNS1_25lookback_scan_determinismE0ELb0ELb1ES3_N6thrust23THRUST_200600_302600_NS6detail15normal_iteratorINS9_10device_ptrIxEEEESE_xNS9_4plusIxEExEEDaPvRmT3_T4_T5_mT6_P12ihipStream_tbENKUlT_T0_E_clISt17integral_constantIbLb0EEST_IbLb1EEEEDaSP_SQ_EUlSP_E_NS1_11comp_targetILNS1_3genE10ELNS1_11target_archE1201ELNS1_3gpuE5ELNS1_3repE0EEENS1_30default_config_static_selectorELNS0_4arch9wavefront6targetE1EEEvT1_
	.globl	_ZN7rocprim17ROCPRIM_400000_NS6detail17trampoline_kernelINS0_14default_configENS1_20scan_config_selectorIxEEZZNS1_9scan_implILNS1_25lookback_scan_determinismE0ELb0ELb1ES3_N6thrust23THRUST_200600_302600_NS6detail15normal_iteratorINS9_10device_ptrIxEEEESE_xNS9_4plusIxEExEEDaPvRmT3_T4_T5_mT6_P12ihipStream_tbENKUlT_T0_E_clISt17integral_constantIbLb0EEST_IbLb1EEEEDaSP_SQ_EUlSP_E_NS1_11comp_targetILNS1_3genE10ELNS1_11target_archE1201ELNS1_3gpuE5ELNS1_3repE0EEENS1_30default_config_static_selectorELNS0_4arch9wavefront6targetE1EEEvT1_
	.p2align	8
	.type	_ZN7rocprim17ROCPRIM_400000_NS6detail17trampoline_kernelINS0_14default_configENS1_20scan_config_selectorIxEEZZNS1_9scan_implILNS1_25lookback_scan_determinismE0ELb0ELb1ES3_N6thrust23THRUST_200600_302600_NS6detail15normal_iteratorINS9_10device_ptrIxEEEESE_xNS9_4plusIxEExEEDaPvRmT3_T4_T5_mT6_P12ihipStream_tbENKUlT_T0_E_clISt17integral_constantIbLb0EEST_IbLb1EEEEDaSP_SQ_EUlSP_E_NS1_11comp_targetILNS1_3genE10ELNS1_11target_archE1201ELNS1_3gpuE5ELNS1_3repE0EEENS1_30default_config_static_selectorELNS0_4arch9wavefront6targetE1EEEvT1_,@function
_ZN7rocprim17ROCPRIM_400000_NS6detail17trampoline_kernelINS0_14default_configENS1_20scan_config_selectorIxEEZZNS1_9scan_implILNS1_25lookback_scan_determinismE0ELb0ELb1ES3_N6thrust23THRUST_200600_302600_NS6detail15normal_iteratorINS9_10device_ptrIxEEEESE_xNS9_4plusIxEExEEDaPvRmT3_T4_T5_mT6_P12ihipStream_tbENKUlT_T0_E_clISt17integral_constantIbLb0EEST_IbLb1EEEEDaSP_SQ_EUlSP_E_NS1_11comp_targetILNS1_3genE10ELNS1_11target_archE1201ELNS1_3gpuE5ELNS1_3repE0EEENS1_30default_config_static_selectorELNS0_4arch9wavefront6targetE1EEEvT1_: ; @_ZN7rocprim17ROCPRIM_400000_NS6detail17trampoline_kernelINS0_14default_configENS1_20scan_config_selectorIxEEZZNS1_9scan_implILNS1_25lookback_scan_determinismE0ELb0ELb1ES3_N6thrust23THRUST_200600_302600_NS6detail15normal_iteratorINS9_10device_ptrIxEEEESE_xNS9_4plusIxEExEEDaPvRmT3_T4_T5_mT6_P12ihipStream_tbENKUlT_T0_E_clISt17integral_constantIbLb0EEST_IbLb1EEEEDaSP_SQ_EUlSP_E_NS1_11comp_targetILNS1_3genE10ELNS1_11target_archE1201ELNS1_3gpuE5ELNS1_3repE0EEENS1_30default_config_static_selectorELNS0_4arch9wavefront6targetE1EEEvT1_
; %bb.0:
	.section	.rodata,"a",@progbits
	.p2align	6, 0x0
	.amdhsa_kernel _ZN7rocprim17ROCPRIM_400000_NS6detail17trampoline_kernelINS0_14default_configENS1_20scan_config_selectorIxEEZZNS1_9scan_implILNS1_25lookback_scan_determinismE0ELb0ELb1ES3_N6thrust23THRUST_200600_302600_NS6detail15normal_iteratorINS9_10device_ptrIxEEEESE_xNS9_4plusIxEExEEDaPvRmT3_T4_T5_mT6_P12ihipStream_tbENKUlT_T0_E_clISt17integral_constantIbLb0EEST_IbLb1EEEEDaSP_SQ_EUlSP_E_NS1_11comp_targetILNS1_3genE10ELNS1_11target_archE1201ELNS1_3gpuE5ELNS1_3repE0EEENS1_30default_config_static_selectorELNS0_4arch9wavefront6targetE1EEEvT1_
		.amdhsa_group_segment_fixed_size 0
		.amdhsa_private_segment_fixed_size 0
		.amdhsa_kernarg_size 104
		.amdhsa_user_sgpr_count 6
		.amdhsa_user_sgpr_private_segment_buffer 1
		.amdhsa_user_sgpr_dispatch_ptr 0
		.amdhsa_user_sgpr_queue_ptr 0
		.amdhsa_user_sgpr_kernarg_segment_ptr 1
		.amdhsa_user_sgpr_dispatch_id 0
		.amdhsa_user_sgpr_flat_scratch_init 0
		.amdhsa_user_sgpr_kernarg_preload_length 0
		.amdhsa_user_sgpr_kernarg_preload_offset 0
		.amdhsa_user_sgpr_private_segment_size 0
		.amdhsa_uses_dynamic_stack 0
		.amdhsa_system_sgpr_private_segment_wavefront_offset 0
		.amdhsa_system_sgpr_workgroup_id_x 1
		.amdhsa_system_sgpr_workgroup_id_y 0
		.amdhsa_system_sgpr_workgroup_id_z 0
		.amdhsa_system_sgpr_workgroup_info 0
		.amdhsa_system_vgpr_workitem_id 0
		.amdhsa_next_free_vgpr 1
		.amdhsa_next_free_sgpr 0
		.amdhsa_accum_offset 4
		.amdhsa_reserve_vcc 0
		.amdhsa_reserve_flat_scratch 0
		.amdhsa_float_round_mode_32 0
		.amdhsa_float_round_mode_16_64 0
		.amdhsa_float_denorm_mode_32 3
		.amdhsa_float_denorm_mode_16_64 3
		.amdhsa_dx10_clamp 1
		.amdhsa_ieee_mode 1
		.amdhsa_fp16_overflow 0
		.amdhsa_tg_split 0
		.amdhsa_exception_fp_ieee_invalid_op 0
		.amdhsa_exception_fp_denorm_src 0
		.amdhsa_exception_fp_ieee_div_zero 0
		.amdhsa_exception_fp_ieee_overflow 0
		.amdhsa_exception_fp_ieee_underflow 0
		.amdhsa_exception_fp_ieee_inexact 0
		.amdhsa_exception_int_div_zero 0
	.end_amdhsa_kernel
	.section	.text._ZN7rocprim17ROCPRIM_400000_NS6detail17trampoline_kernelINS0_14default_configENS1_20scan_config_selectorIxEEZZNS1_9scan_implILNS1_25lookback_scan_determinismE0ELb0ELb1ES3_N6thrust23THRUST_200600_302600_NS6detail15normal_iteratorINS9_10device_ptrIxEEEESE_xNS9_4plusIxEExEEDaPvRmT3_T4_T5_mT6_P12ihipStream_tbENKUlT_T0_E_clISt17integral_constantIbLb0EEST_IbLb1EEEEDaSP_SQ_EUlSP_E_NS1_11comp_targetILNS1_3genE10ELNS1_11target_archE1201ELNS1_3gpuE5ELNS1_3repE0EEENS1_30default_config_static_selectorELNS0_4arch9wavefront6targetE1EEEvT1_,"axG",@progbits,_ZN7rocprim17ROCPRIM_400000_NS6detail17trampoline_kernelINS0_14default_configENS1_20scan_config_selectorIxEEZZNS1_9scan_implILNS1_25lookback_scan_determinismE0ELb0ELb1ES3_N6thrust23THRUST_200600_302600_NS6detail15normal_iteratorINS9_10device_ptrIxEEEESE_xNS9_4plusIxEExEEDaPvRmT3_T4_T5_mT6_P12ihipStream_tbENKUlT_T0_E_clISt17integral_constantIbLb0EEST_IbLb1EEEEDaSP_SQ_EUlSP_E_NS1_11comp_targetILNS1_3genE10ELNS1_11target_archE1201ELNS1_3gpuE5ELNS1_3repE0EEENS1_30default_config_static_selectorELNS0_4arch9wavefront6targetE1EEEvT1_,comdat
.Lfunc_end473:
	.size	_ZN7rocprim17ROCPRIM_400000_NS6detail17trampoline_kernelINS0_14default_configENS1_20scan_config_selectorIxEEZZNS1_9scan_implILNS1_25lookback_scan_determinismE0ELb0ELb1ES3_N6thrust23THRUST_200600_302600_NS6detail15normal_iteratorINS9_10device_ptrIxEEEESE_xNS9_4plusIxEExEEDaPvRmT3_T4_T5_mT6_P12ihipStream_tbENKUlT_T0_E_clISt17integral_constantIbLb0EEST_IbLb1EEEEDaSP_SQ_EUlSP_E_NS1_11comp_targetILNS1_3genE10ELNS1_11target_archE1201ELNS1_3gpuE5ELNS1_3repE0EEENS1_30default_config_static_selectorELNS0_4arch9wavefront6targetE1EEEvT1_, .Lfunc_end473-_ZN7rocprim17ROCPRIM_400000_NS6detail17trampoline_kernelINS0_14default_configENS1_20scan_config_selectorIxEEZZNS1_9scan_implILNS1_25lookback_scan_determinismE0ELb0ELb1ES3_N6thrust23THRUST_200600_302600_NS6detail15normal_iteratorINS9_10device_ptrIxEEEESE_xNS9_4plusIxEExEEDaPvRmT3_T4_T5_mT6_P12ihipStream_tbENKUlT_T0_E_clISt17integral_constantIbLb0EEST_IbLb1EEEEDaSP_SQ_EUlSP_E_NS1_11comp_targetILNS1_3genE10ELNS1_11target_archE1201ELNS1_3gpuE5ELNS1_3repE0EEENS1_30default_config_static_selectorELNS0_4arch9wavefront6targetE1EEEvT1_
                                        ; -- End function
	.section	.AMDGPU.csdata,"",@progbits
; Kernel info:
; codeLenInByte = 0
; NumSgprs: 4
; NumVgprs: 0
; NumAgprs: 0
; TotalNumVgprs: 0
; ScratchSize: 0
; MemoryBound: 0
; FloatMode: 240
; IeeeMode: 1
; LDSByteSize: 0 bytes/workgroup (compile time only)
; SGPRBlocks: 0
; VGPRBlocks: 0
; NumSGPRsForWavesPerEU: 4
; NumVGPRsForWavesPerEU: 1
; AccumOffset: 4
; Occupancy: 8
; WaveLimiterHint : 0
; COMPUTE_PGM_RSRC2:SCRATCH_EN: 0
; COMPUTE_PGM_RSRC2:USER_SGPR: 6
; COMPUTE_PGM_RSRC2:TRAP_HANDLER: 0
; COMPUTE_PGM_RSRC2:TGID_X_EN: 1
; COMPUTE_PGM_RSRC2:TGID_Y_EN: 0
; COMPUTE_PGM_RSRC2:TGID_Z_EN: 0
; COMPUTE_PGM_RSRC2:TIDIG_COMP_CNT: 0
; COMPUTE_PGM_RSRC3_GFX90A:ACCUM_OFFSET: 0
; COMPUTE_PGM_RSRC3_GFX90A:TG_SPLIT: 0
	.section	.text._ZN7rocprim17ROCPRIM_400000_NS6detail17trampoline_kernelINS0_14default_configENS1_20scan_config_selectorIxEEZZNS1_9scan_implILNS1_25lookback_scan_determinismE0ELb0ELb1ES3_N6thrust23THRUST_200600_302600_NS6detail15normal_iteratorINS9_10device_ptrIxEEEESE_xNS9_4plusIxEExEEDaPvRmT3_T4_T5_mT6_P12ihipStream_tbENKUlT_T0_E_clISt17integral_constantIbLb0EEST_IbLb1EEEEDaSP_SQ_EUlSP_E_NS1_11comp_targetILNS1_3genE10ELNS1_11target_archE1200ELNS1_3gpuE4ELNS1_3repE0EEENS1_30default_config_static_selectorELNS0_4arch9wavefront6targetE1EEEvT1_,"axG",@progbits,_ZN7rocprim17ROCPRIM_400000_NS6detail17trampoline_kernelINS0_14default_configENS1_20scan_config_selectorIxEEZZNS1_9scan_implILNS1_25lookback_scan_determinismE0ELb0ELb1ES3_N6thrust23THRUST_200600_302600_NS6detail15normal_iteratorINS9_10device_ptrIxEEEESE_xNS9_4plusIxEExEEDaPvRmT3_T4_T5_mT6_P12ihipStream_tbENKUlT_T0_E_clISt17integral_constantIbLb0EEST_IbLb1EEEEDaSP_SQ_EUlSP_E_NS1_11comp_targetILNS1_3genE10ELNS1_11target_archE1200ELNS1_3gpuE4ELNS1_3repE0EEENS1_30default_config_static_selectorELNS0_4arch9wavefront6targetE1EEEvT1_,comdat
	.protected	_ZN7rocprim17ROCPRIM_400000_NS6detail17trampoline_kernelINS0_14default_configENS1_20scan_config_selectorIxEEZZNS1_9scan_implILNS1_25lookback_scan_determinismE0ELb0ELb1ES3_N6thrust23THRUST_200600_302600_NS6detail15normal_iteratorINS9_10device_ptrIxEEEESE_xNS9_4plusIxEExEEDaPvRmT3_T4_T5_mT6_P12ihipStream_tbENKUlT_T0_E_clISt17integral_constantIbLb0EEST_IbLb1EEEEDaSP_SQ_EUlSP_E_NS1_11comp_targetILNS1_3genE10ELNS1_11target_archE1200ELNS1_3gpuE4ELNS1_3repE0EEENS1_30default_config_static_selectorELNS0_4arch9wavefront6targetE1EEEvT1_ ; -- Begin function _ZN7rocprim17ROCPRIM_400000_NS6detail17trampoline_kernelINS0_14default_configENS1_20scan_config_selectorIxEEZZNS1_9scan_implILNS1_25lookback_scan_determinismE0ELb0ELb1ES3_N6thrust23THRUST_200600_302600_NS6detail15normal_iteratorINS9_10device_ptrIxEEEESE_xNS9_4plusIxEExEEDaPvRmT3_T4_T5_mT6_P12ihipStream_tbENKUlT_T0_E_clISt17integral_constantIbLb0EEST_IbLb1EEEEDaSP_SQ_EUlSP_E_NS1_11comp_targetILNS1_3genE10ELNS1_11target_archE1200ELNS1_3gpuE4ELNS1_3repE0EEENS1_30default_config_static_selectorELNS0_4arch9wavefront6targetE1EEEvT1_
	.globl	_ZN7rocprim17ROCPRIM_400000_NS6detail17trampoline_kernelINS0_14default_configENS1_20scan_config_selectorIxEEZZNS1_9scan_implILNS1_25lookback_scan_determinismE0ELb0ELb1ES3_N6thrust23THRUST_200600_302600_NS6detail15normal_iteratorINS9_10device_ptrIxEEEESE_xNS9_4plusIxEExEEDaPvRmT3_T4_T5_mT6_P12ihipStream_tbENKUlT_T0_E_clISt17integral_constantIbLb0EEST_IbLb1EEEEDaSP_SQ_EUlSP_E_NS1_11comp_targetILNS1_3genE10ELNS1_11target_archE1200ELNS1_3gpuE4ELNS1_3repE0EEENS1_30default_config_static_selectorELNS0_4arch9wavefront6targetE1EEEvT1_
	.p2align	8
	.type	_ZN7rocprim17ROCPRIM_400000_NS6detail17trampoline_kernelINS0_14default_configENS1_20scan_config_selectorIxEEZZNS1_9scan_implILNS1_25lookback_scan_determinismE0ELb0ELb1ES3_N6thrust23THRUST_200600_302600_NS6detail15normal_iteratorINS9_10device_ptrIxEEEESE_xNS9_4plusIxEExEEDaPvRmT3_T4_T5_mT6_P12ihipStream_tbENKUlT_T0_E_clISt17integral_constantIbLb0EEST_IbLb1EEEEDaSP_SQ_EUlSP_E_NS1_11comp_targetILNS1_3genE10ELNS1_11target_archE1200ELNS1_3gpuE4ELNS1_3repE0EEENS1_30default_config_static_selectorELNS0_4arch9wavefront6targetE1EEEvT1_,@function
_ZN7rocprim17ROCPRIM_400000_NS6detail17trampoline_kernelINS0_14default_configENS1_20scan_config_selectorIxEEZZNS1_9scan_implILNS1_25lookback_scan_determinismE0ELb0ELb1ES3_N6thrust23THRUST_200600_302600_NS6detail15normal_iteratorINS9_10device_ptrIxEEEESE_xNS9_4plusIxEExEEDaPvRmT3_T4_T5_mT6_P12ihipStream_tbENKUlT_T0_E_clISt17integral_constantIbLb0EEST_IbLb1EEEEDaSP_SQ_EUlSP_E_NS1_11comp_targetILNS1_3genE10ELNS1_11target_archE1200ELNS1_3gpuE4ELNS1_3repE0EEENS1_30default_config_static_selectorELNS0_4arch9wavefront6targetE1EEEvT1_: ; @_ZN7rocprim17ROCPRIM_400000_NS6detail17trampoline_kernelINS0_14default_configENS1_20scan_config_selectorIxEEZZNS1_9scan_implILNS1_25lookback_scan_determinismE0ELb0ELb1ES3_N6thrust23THRUST_200600_302600_NS6detail15normal_iteratorINS9_10device_ptrIxEEEESE_xNS9_4plusIxEExEEDaPvRmT3_T4_T5_mT6_P12ihipStream_tbENKUlT_T0_E_clISt17integral_constantIbLb0EEST_IbLb1EEEEDaSP_SQ_EUlSP_E_NS1_11comp_targetILNS1_3genE10ELNS1_11target_archE1200ELNS1_3gpuE4ELNS1_3repE0EEENS1_30default_config_static_selectorELNS0_4arch9wavefront6targetE1EEEvT1_
; %bb.0:
	.section	.rodata,"a",@progbits
	.p2align	6, 0x0
	.amdhsa_kernel _ZN7rocprim17ROCPRIM_400000_NS6detail17trampoline_kernelINS0_14default_configENS1_20scan_config_selectorIxEEZZNS1_9scan_implILNS1_25lookback_scan_determinismE0ELb0ELb1ES3_N6thrust23THRUST_200600_302600_NS6detail15normal_iteratorINS9_10device_ptrIxEEEESE_xNS9_4plusIxEExEEDaPvRmT3_T4_T5_mT6_P12ihipStream_tbENKUlT_T0_E_clISt17integral_constantIbLb0EEST_IbLb1EEEEDaSP_SQ_EUlSP_E_NS1_11comp_targetILNS1_3genE10ELNS1_11target_archE1200ELNS1_3gpuE4ELNS1_3repE0EEENS1_30default_config_static_selectorELNS0_4arch9wavefront6targetE1EEEvT1_
		.amdhsa_group_segment_fixed_size 0
		.amdhsa_private_segment_fixed_size 0
		.amdhsa_kernarg_size 104
		.amdhsa_user_sgpr_count 6
		.amdhsa_user_sgpr_private_segment_buffer 1
		.amdhsa_user_sgpr_dispatch_ptr 0
		.amdhsa_user_sgpr_queue_ptr 0
		.amdhsa_user_sgpr_kernarg_segment_ptr 1
		.amdhsa_user_sgpr_dispatch_id 0
		.amdhsa_user_sgpr_flat_scratch_init 0
		.amdhsa_user_sgpr_kernarg_preload_length 0
		.amdhsa_user_sgpr_kernarg_preload_offset 0
		.amdhsa_user_sgpr_private_segment_size 0
		.amdhsa_uses_dynamic_stack 0
		.amdhsa_system_sgpr_private_segment_wavefront_offset 0
		.amdhsa_system_sgpr_workgroup_id_x 1
		.amdhsa_system_sgpr_workgroup_id_y 0
		.amdhsa_system_sgpr_workgroup_id_z 0
		.amdhsa_system_sgpr_workgroup_info 0
		.amdhsa_system_vgpr_workitem_id 0
		.amdhsa_next_free_vgpr 1
		.amdhsa_next_free_sgpr 0
		.amdhsa_accum_offset 4
		.amdhsa_reserve_vcc 0
		.amdhsa_reserve_flat_scratch 0
		.amdhsa_float_round_mode_32 0
		.amdhsa_float_round_mode_16_64 0
		.amdhsa_float_denorm_mode_32 3
		.amdhsa_float_denorm_mode_16_64 3
		.amdhsa_dx10_clamp 1
		.amdhsa_ieee_mode 1
		.amdhsa_fp16_overflow 0
		.amdhsa_tg_split 0
		.amdhsa_exception_fp_ieee_invalid_op 0
		.amdhsa_exception_fp_denorm_src 0
		.amdhsa_exception_fp_ieee_div_zero 0
		.amdhsa_exception_fp_ieee_overflow 0
		.amdhsa_exception_fp_ieee_underflow 0
		.amdhsa_exception_fp_ieee_inexact 0
		.amdhsa_exception_int_div_zero 0
	.end_amdhsa_kernel
	.section	.text._ZN7rocprim17ROCPRIM_400000_NS6detail17trampoline_kernelINS0_14default_configENS1_20scan_config_selectorIxEEZZNS1_9scan_implILNS1_25lookback_scan_determinismE0ELb0ELb1ES3_N6thrust23THRUST_200600_302600_NS6detail15normal_iteratorINS9_10device_ptrIxEEEESE_xNS9_4plusIxEExEEDaPvRmT3_T4_T5_mT6_P12ihipStream_tbENKUlT_T0_E_clISt17integral_constantIbLb0EEST_IbLb1EEEEDaSP_SQ_EUlSP_E_NS1_11comp_targetILNS1_3genE10ELNS1_11target_archE1200ELNS1_3gpuE4ELNS1_3repE0EEENS1_30default_config_static_selectorELNS0_4arch9wavefront6targetE1EEEvT1_,"axG",@progbits,_ZN7rocprim17ROCPRIM_400000_NS6detail17trampoline_kernelINS0_14default_configENS1_20scan_config_selectorIxEEZZNS1_9scan_implILNS1_25lookback_scan_determinismE0ELb0ELb1ES3_N6thrust23THRUST_200600_302600_NS6detail15normal_iteratorINS9_10device_ptrIxEEEESE_xNS9_4plusIxEExEEDaPvRmT3_T4_T5_mT6_P12ihipStream_tbENKUlT_T0_E_clISt17integral_constantIbLb0EEST_IbLb1EEEEDaSP_SQ_EUlSP_E_NS1_11comp_targetILNS1_3genE10ELNS1_11target_archE1200ELNS1_3gpuE4ELNS1_3repE0EEENS1_30default_config_static_selectorELNS0_4arch9wavefront6targetE1EEEvT1_,comdat
.Lfunc_end474:
	.size	_ZN7rocprim17ROCPRIM_400000_NS6detail17trampoline_kernelINS0_14default_configENS1_20scan_config_selectorIxEEZZNS1_9scan_implILNS1_25lookback_scan_determinismE0ELb0ELb1ES3_N6thrust23THRUST_200600_302600_NS6detail15normal_iteratorINS9_10device_ptrIxEEEESE_xNS9_4plusIxEExEEDaPvRmT3_T4_T5_mT6_P12ihipStream_tbENKUlT_T0_E_clISt17integral_constantIbLb0EEST_IbLb1EEEEDaSP_SQ_EUlSP_E_NS1_11comp_targetILNS1_3genE10ELNS1_11target_archE1200ELNS1_3gpuE4ELNS1_3repE0EEENS1_30default_config_static_selectorELNS0_4arch9wavefront6targetE1EEEvT1_, .Lfunc_end474-_ZN7rocprim17ROCPRIM_400000_NS6detail17trampoline_kernelINS0_14default_configENS1_20scan_config_selectorIxEEZZNS1_9scan_implILNS1_25lookback_scan_determinismE0ELb0ELb1ES3_N6thrust23THRUST_200600_302600_NS6detail15normal_iteratorINS9_10device_ptrIxEEEESE_xNS9_4plusIxEExEEDaPvRmT3_T4_T5_mT6_P12ihipStream_tbENKUlT_T0_E_clISt17integral_constantIbLb0EEST_IbLb1EEEEDaSP_SQ_EUlSP_E_NS1_11comp_targetILNS1_3genE10ELNS1_11target_archE1200ELNS1_3gpuE4ELNS1_3repE0EEENS1_30default_config_static_selectorELNS0_4arch9wavefront6targetE1EEEvT1_
                                        ; -- End function
	.section	.AMDGPU.csdata,"",@progbits
; Kernel info:
; codeLenInByte = 0
; NumSgprs: 4
; NumVgprs: 0
; NumAgprs: 0
; TotalNumVgprs: 0
; ScratchSize: 0
; MemoryBound: 0
; FloatMode: 240
; IeeeMode: 1
; LDSByteSize: 0 bytes/workgroup (compile time only)
; SGPRBlocks: 0
; VGPRBlocks: 0
; NumSGPRsForWavesPerEU: 4
; NumVGPRsForWavesPerEU: 1
; AccumOffset: 4
; Occupancy: 8
; WaveLimiterHint : 0
; COMPUTE_PGM_RSRC2:SCRATCH_EN: 0
; COMPUTE_PGM_RSRC2:USER_SGPR: 6
; COMPUTE_PGM_RSRC2:TRAP_HANDLER: 0
; COMPUTE_PGM_RSRC2:TGID_X_EN: 1
; COMPUTE_PGM_RSRC2:TGID_Y_EN: 0
; COMPUTE_PGM_RSRC2:TGID_Z_EN: 0
; COMPUTE_PGM_RSRC2:TIDIG_COMP_CNT: 0
; COMPUTE_PGM_RSRC3_GFX90A:ACCUM_OFFSET: 0
; COMPUTE_PGM_RSRC3_GFX90A:TG_SPLIT: 0
	.section	.text._ZN7rocprim17ROCPRIM_400000_NS6detail17trampoline_kernelINS0_14default_configENS1_20scan_config_selectorIxEEZZNS1_9scan_implILNS1_25lookback_scan_determinismE0ELb0ELb1ES3_N6thrust23THRUST_200600_302600_NS6detail15normal_iteratorINS9_10device_ptrIxEEEESE_xNS9_4plusIxEExEEDaPvRmT3_T4_T5_mT6_P12ihipStream_tbENKUlT_T0_E_clISt17integral_constantIbLb0EEST_IbLb1EEEEDaSP_SQ_EUlSP_E_NS1_11comp_targetILNS1_3genE9ELNS1_11target_archE1100ELNS1_3gpuE3ELNS1_3repE0EEENS1_30default_config_static_selectorELNS0_4arch9wavefront6targetE1EEEvT1_,"axG",@progbits,_ZN7rocprim17ROCPRIM_400000_NS6detail17trampoline_kernelINS0_14default_configENS1_20scan_config_selectorIxEEZZNS1_9scan_implILNS1_25lookback_scan_determinismE0ELb0ELb1ES3_N6thrust23THRUST_200600_302600_NS6detail15normal_iteratorINS9_10device_ptrIxEEEESE_xNS9_4plusIxEExEEDaPvRmT3_T4_T5_mT6_P12ihipStream_tbENKUlT_T0_E_clISt17integral_constantIbLb0EEST_IbLb1EEEEDaSP_SQ_EUlSP_E_NS1_11comp_targetILNS1_3genE9ELNS1_11target_archE1100ELNS1_3gpuE3ELNS1_3repE0EEENS1_30default_config_static_selectorELNS0_4arch9wavefront6targetE1EEEvT1_,comdat
	.protected	_ZN7rocprim17ROCPRIM_400000_NS6detail17trampoline_kernelINS0_14default_configENS1_20scan_config_selectorIxEEZZNS1_9scan_implILNS1_25lookback_scan_determinismE0ELb0ELb1ES3_N6thrust23THRUST_200600_302600_NS6detail15normal_iteratorINS9_10device_ptrIxEEEESE_xNS9_4plusIxEExEEDaPvRmT3_T4_T5_mT6_P12ihipStream_tbENKUlT_T0_E_clISt17integral_constantIbLb0EEST_IbLb1EEEEDaSP_SQ_EUlSP_E_NS1_11comp_targetILNS1_3genE9ELNS1_11target_archE1100ELNS1_3gpuE3ELNS1_3repE0EEENS1_30default_config_static_selectorELNS0_4arch9wavefront6targetE1EEEvT1_ ; -- Begin function _ZN7rocprim17ROCPRIM_400000_NS6detail17trampoline_kernelINS0_14default_configENS1_20scan_config_selectorIxEEZZNS1_9scan_implILNS1_25lookback_scan_determinismE0ELb0ELb1ES3_N6thrust23THRUST_200600_302600_NS6detail15normal_iteratorINS9_10device_ptrIxEEEESE_xNS9_4plusIxEExEEDaPvRmT3_T4_T5_mT6_P12ihipStream_tbENKUlT_T0_E_clISt17integral_constantIbLb0EEST_IbLb1EEEEDaSP_SQ_EUlSP_E_NS1_11comp_targetILNS1_3genE9ELNS1_11target_archE1100ELNS1_3gpuE3ELNS1_3repE0EEENS1_30default_config_static_selectorELNS0_4arch9wavefront6targetE1EEEvT1_
	.globl	_ZN7rocprim17ROCPRIM_400000_NS6detail17trampoline_kernelINS0_14default_configENS1_20scan_config_selectorIxEEZZNS1_9scan_implILNS1_25lookback_scan_determinismE0ELb0ELb1ES3_N6thrust23THRUST_200600_302600_NS6detail15normal_iteratorINS9_10device_ptrIxEEEESE_xNS9_4plusIxEExEEDaPvRmT3_T4_T5_mT6_P12ihipStream_tbENKUlT_T0_E_clISt17integral_constantIbLb0EEST_IbLb1EEEEDaSP_SQ_EUlSP_E_NS1_11comp_targetILNS1_3genE9ELNS1_11target_archE1100ELNS1_3gpuE3ELNS1_3repE0EEENS1_30default_config_static_selectorELNS0_4arch9wavefront6targetE1EEEvT1_
	.p2align	8
	.type	_ZN7rocprim17ROCPRIM_400000_NS6detail17trampoline_kernelINS0_14default_configENS1_20scan_config_selectorIxEEZZNS1_9scan_implILNS1_25lookback_scan_determinismE0ELb0ELb1ES3_N6thrust23THRUST_200600_302600_NS6detail15normal_iteratorINS9_10device_ptrIxEEEESE_xNS9_4plusIxEExEEDaPvRmT3_T4_T5_mT6_P12ihipStream_tbENKUlT_T0_E_clISt17integral_constantIbLb0EEST_IbLb1EEEEDaSP_SQ_EUlSP_E_NS1_11comp_targetILNS1_3genE9ELNS1_11target_archE1100ELNS1_3gpuE3ELNS1_3repE0EEENS1_30default_config_static_selectorELNS0_4arch9wavefront6targetE1EEEvT1_,@function
_ZN7rocprim17ROCPRIM_400000_NS6detail17trampoline_kernelINS0_14default_configENS1_20scan_config_selectorIxEEZZNS1_9scan_implILNS1_25lookback_scan_determinismE0ELb0ELb1ES3_N6thrust23THRUST_200600_302600_NS6detail15normal_iteratorINS9_10device_ptrIxEEEESE_xNS9_4plusIxEExEEDaPvRmT3_T4_T5_mT6_P12ihipStream_tbENKUlT_T0_E_clISt17integral_constantIbLb0EEST_IbLb1EEEEDaSP_SQ_EUlSP_E_NS1_11comp_targetILNS1_3genE9ELNS1_11target_archE1100ELNS1_3gpuE3ELNS1_3repE0EEENS1_30default_config_static_selectorELNS0_4arch9wavefront6targetE1EEEvT1_: ; @_ZN7rocprim17ROCPRIM_400000_NS6detail17trampoline_kernelINS0_14default_configENS1_20scan_config_selectorIxEEZZNS1_9scan_implILNS1_25lookback_scan_determinismE0ELb0ELb1ES3_N6thrust23THRUST_200600_302600_NS6detail15normal_iteratorINS9_10device_ptrIxEEEESE_xNS9_4plusIxEExEEDaPvRmT3_T4_T5_mT6_P12ihipStream_tbENKUlT_T0_E_clISt17integral_constantIbLb0EEST_IbLb1EEEEDaSP_SQ_EUlSP_E_NS1_11comp_targetILNS1_3genE9ELNS1_11target_archE1100ELNS1_3gpuE3ELNS1_3repE0EEENS1_30default_config_static_selectorELNS0_4arch9wavefront6targetE1EEEvT1_
; %bb.0:
	.section	.rodata,"a",@progbits
	.p2align	6, 0x0
	.amdhsa_kernel _ZN7rocprim17ROCPRIM_400000_NS6detail17trampoline_kernelINS0_14default_configENS1_20scan_config_selectorIxEEZZNS1_9scan_implILNS1_25lookback_scan_determinismE0ELb0ELb1ES3_N6thrust23THRUST_200600_302600_NS6detail15normal_iteratorINS9_10device_ptrIxEEEESE_xNS9_4plusIxEExEEDaPvRmT3_T4_T5_mT6_P12ihipStream_tbENKUlT_T0_E_clISt17integral_constantIbLb0EEST_IbLb1EEEEDaSP_SQ_EUlSP_E_NS1_11comp_targetILNS1_3genE9ELNS1_11target_archE1100ELNS1_3gpuE3ELNS1_3repE0EEENS1_30default_config_static_selectorELNS0_4arch9wavefront6targetE1EEEvT1_
		.amdhsa_group_segment_fixed_size 0
		.amdhsa_private_segment_fixed_size 0
		.amdhsa_kernarg_size 104
		.amdhsa_user_sgpr_count 6
		.amdhsa_user_sgpr_private_segment_buffer 1
		.amdhsa_user_sgpr_dispatch_ptr 0
		.amdhsa_user_sgpr_queue_ptr 0
		.amdhsa_user_sgpr_kernarg_segment_ptr 1
		.amdhsa_user_sgpr_dispatch_id 0
		.amdhsa_user_sgpr_flat_scratch_init 0
		.amdhsa_user_sgpr_kernarg_preload_length 0
		.amdhsa_user_sgpr_kernarg_preload_offset 0
		.amdhsa_user_sgpr_private_segment_size 0
		.amdhsa_uses_dynamic_stack 0
		.amdhsa_system_sgpr_private_segment_wavefront_offset 0
		.amdhsa_system_sgpr_workgroup_id_x 1
		.amdhsa_system_sgpr_workgroup_id_y 0
		.amdhsa_system_sgpr_workgroup_id_z 0
		.amdhsa_system_sgpr_workgroup_info 0
		.amdhsa_system_vgpr_workitem_id 0
		.amdhsa_next_free_vgpr 1
		.amdhsa_next_free_sgpr 0
		.amdhsa_accum_offset 4
		.amdhsa_reserve_vcc 0
		.amdhsa_reserve_flat_scratch 0
		.amdhsa_float_round_mode_32 0
		.amdhsa_float_round_mode_16_64 0
		.amdhsa_float_denorm_mode_32 3
		.amdhsa_float_denorm_mode_16_64 3
		.amdhsa_dx10_clamp 1
		.amdhsa_ieee_mode 1
		.amdhsa_fp16_overflow 0
		.amdhsa_tg_split 0
		.amdhsa_exception_fp_ieee_invalid_op 0
		.amdhsa_exception_fp_denorm_src 0
		.amdhsa_exception_fp_ieee_div_zero 0
		.amdhsa_exception_fp_ieee_overflow 0
		.amdhsa_exception_fp_ieee_underflow 0
		.amdhsa_exception_fp_ieee_inexact 0
		.amdhsa_exception_int_div_zero 0
	.end_amdhsa_kernel
	.section	.text._ZN7rocprim17ROCPRIM_400000_NS6detail17trampoline_kernelINS0_14default_configENS1_20scan_config_selectorIxEEZZNS1_9scan_implILNS1_25lookback_scan_determinismE0ELb0ELb1ES3_N6thrust23THRUST_200600_302600_NS6detail15normal_iteratorINS9_10device_ptrIxEEEESE_xNS9_4plusIxEExEEDaPvRmT3_T4_T5_mT6_P12ihipStream_tbENKUlT_T0_E_clISt17integral_constantIbLb0EEST_IbLb1EEEEDaSP_SQ_EUlSP_E_NS1_11comp_targetILNS1_3genE9ELNS1_11target_archE1100ELNS1_3gpuE3ELNS1_3repE0EEENS1_30default_config_static_selectorELNS0_4arch9wavefront6targetE1EEEvT1_,"axG",@progbits,_ZN7rocprim17ROCPRIM_400000_NS6detail17trampoline_kernelINS0_14default_configENS1_20scan_config_selectorIxEEZZNS1_9scan_implILNS1_25lookback_scan_determinismE0ELb0ELb1ES3_N6thrust23THRUST_200600_302600_NS6detail15normal_iteratorINS9_10device_ptrIxEEEESE_xNS9_4plusIxEExEEDaPvRmT3_T4_T5_mT6_P12ihipStream_tbENKUlT_T0_E_clISt17integral_constantIbLb0EEST_IbLb1EEEEDaSP_SQ_EUlSP_E_NS1_11comp_targetILNS1_3genE9ELNS1_11target_archE1100ELNS1_3gpuE3ELNS1_3repE0EEENS1_30default_config_static_selectorELNS0_4arch9wavefront6targetE1EEEvT1_,comdat
.Lfunc_end475:
	.size	_ZN7rocprim17ROCPRIM_400000_NS6detail17trampoline_kernelINS0_14default_configENS1_20scan_config_selectorIxEEZZNS1_9scan_implILNS1_25lookback_scan_determinismE0ELb0ELb1ES3_N6thrust23THRUST_200600_302600_NS6detail15normal_iteratorINS9_10device_ptrIxEEEESE_xNS9_4plusIxEExEEDaPvRmT3_T4_T5_mT6_P12ihipStream_tbENKUlT_T0_E_clISt17integral_constantIbLb0EEST_IbLb1EEEEDaSP_SQ_EUlSP_E_NS1_11comp_targetILNS1_3genE9ELNS1_11target_archE1100ELNS1_3gpuE3ELNS1_3repE0EEENS1_30default_config_static_selectorELNS0_4arch9wavefront6targetE1EEEvT1_, .Lfunc_end475-_ZN7rocprim17ROCPRIM_400000_NS6detail17trampoline_kernelINS0_14default_configENS1_20scan_config_selectorIxEEZZNS1_9scan_implILNS1_25lookback_scan_determinismE0ELb0ELb1ES3_N6thrust23THRUST_200600_302600_NS6detail15normal_iteratorINS9_10device_ptrIxEEEESE_xNS9_4plusIxEExEEDaPvRmT3_T4_T5_mT6_P12ihipStream_tbENKUlT_T0_E_clISt17integral_constantIbLb0EEST_IbLb1EEEEDaSP_SQ_EUlSP_E_NS1_11comp_targetILNS1_3genE9ELNS1_11target_archE1100ELNS1_3gpuE3ELNS1_3repE0EEENS1_30default_config_static_selectorELNS0_4arch9wavefront6targetE1EEEvT1_
                                        ; -- End function
	.section	.AMDGPU.csdata,"",@progbits
; Kernel info:
; codeLenInByte = 0
; NumSgprs: 4
; NumVgprs: 0
; NumAgprs: 0
; TotalNumVgprs: 0
; ScratchSize: 0
; MemoryBound: 0
; FloatMode: 240
; IeeeMode: 1
; LDSByteSize: 0 bytes/workgroup (compile time only)
; SGPRBlocks: 0
; VGPRBlocks: 0
; NumSGPRsForWavesPerEU: 4
; NumVGPRsForWavesPerEU: 1
; AccumOffset: 4
; Occupancy: 8
; WaveLimiterHint : 0
; COMPUTE_PGM_RSRC2:SCRATCH_EN: 0
; COMPUTE_PGM_RSRC2:USER_SGPR: 6
; COMPUTE_PGM_RSRC2:TRAP_HANDLER: 0
; COMPUTE_PGM_RSRC2:TGID_X_EN: 1
; COMPUTE_PGM_RSRC2:TGID_Y_EN: 0
; COMPUTE_PGM_RSRC2:TGID_Z_EN: 0
; COMPUTE_PGM_RSRC2:TIDIG_COMP_CNT: 0
; COMPUTE_PGM_RSRC3_GFX90A:ACCUM_OFFSET: 0
; COMPUTE_PGM_RSRC3_GFX90A:TG_SPLIT: 0
	.section	.text._ZN7rocprim17ROCPRIM_400000_NS6detail17trampoline_kernelINS0_14default_configENS1_20scan_config_selectorIxEEZZNS1_9scan_implILNS1_25lookback_scan_determinismE0ELb0ELb1ES3_N6thrust23THRUST_200600_302600_NS6detail15normal_iteratorINS9_10device_ptrIxEEEESE_xNS9_4plusIxEExEEDaPvRmT3_T4_T5_mT6_P12ihipStream_tbENKUlT_T0_E_clISt17integral_constantIbLb0EEST_IbLb1EEEEDaSP_SQ_EUlSP_E_NS1_11comp_targetILNS1_3genE8ELNS1_11target_archE1030ELNS1_3gpuE2ELNS1_3repE0EEENS1_30default_config_static_selectorELNS0_4arch9wavefront6targetE1EEEvT1_,"axG",@progbits,_ZN7rocprim17ROCPRIM_400000_NS6detail17trampoline_kernelINS0_14default_configENS1_20scan_config_selectorIxEEZZNS1_9scan_implILNS1_25lookback_scan_determinismE0ELb0ELb1ES3_N6thrust23THRUST_200600_302600_NS6detail15normal_iteratorINS9_10device_ptrIxEEEESE_xNS9_4plusIxEExEEDaPvRmT3_T4_T5_mT6_P12ihipStream_tbENKUlT_T0_E_clISt17integral_constantIbLb0EEST_IbLb1EEEEDaSP_SQ_EUlSP_E_NS1_11comp_targetILNS1_3genE8ELNS1_11target_archE1030ELNS1_3gpuE2ELNS1_3repE0EEENS1_30default_config_static_selectorELNS0_4arch9wavefront6targetE1EEEvT1_,comdat
	.protected	_ZN7rocprim17ROCPRIM_400000_NS6detail17trampoline_kernelINS0_14default_configENS1_20scan_config_selectorIxEEZZNS1_9scan_implILNS1_25lookback_scan_determinismE0ELb0ELb1ES3_N6thrust23THRUST_200600_302600_NS6detail15normal_iteratorINS9_10device_ptrIxEEEESE_xNS9_4plusIxEExEEDaPvRmT3_T4_T5_mT6_P12ihipStream_tbENKUlT_T0_E_clISt17integral_constantIbLb0EEST_IbLb1EEEEDaSP_SQ_EUlSP_E_NS1_11comp_targetILNS1_3genE8ELNS1_11target_archE1030ELNS1_3gpuE2ELNS1_3repE0EEENS1_30default_config_static_selectorELNS0_4arch9wavefront6targetE1EEEvT1_ ; -- Begin function _ZN7rocprim17ROCPRIM_400000_NS6detail17trampoline_kernelINS0_14default_configENS1_20scan_config_selectorIxEEZZNS1_9scan_implILNS1_25lookback_scan_determinismE0ELb0ELb1ES3_N6thrust23THRUST_200600_302600_NS6detail15normal_iteratorINS9_10device_ptrIxEEEESE_xNS9_4plusIxEExEEDaPvRmT3_T4_T5_mT6_P12ihipStream_tbENKUlT_T0_E_clISt17integral_constantIbLb0EEST_IbLb1EEEEDaSP_SQ_EUlSP_E_NS1_11comp_targetILNS1_3genE8ELNS1_11target_archE1030ELNS1_3gpuE2ELNS1_3repE0EEENS1_30default_config_static_selectorELNS0_4arch9wavefront6targetE1EEEvT1_
	.globl	_ZN7rocprim17ROCPRIM_400000_NS6detail17trampoline_kernelINS0_14default_configENS1_20scan_config_selectorIxEEZZNS1_9scan_implILNS1_25lookback_scan_determinismE0ELb0ELb1ES3_N6thrust23THRUST_200600_302600_NS6detail15normal_iteratorINS9_10device_ptrIxEEEESE_xNS9_4plusIxEExEEDaPvRmT3_T4_T5_mT6_P12ihipStream_tbENKUlT_T0_E_clISt17integral_constantIbLb0EEST_IbLb1EEEEDaSP_SQ_EUlSP_E_NS1_11comp_targetILNS1_3genE8ELNS1_11target_archE1030ELNS1_3gpuE2ELNS1_3repE0EEENS1_30default_config_static_selectorELNS0_4arch9wavefront6targetE1EEEvT1_
	.p2align	8
	.type	_ZN7rocprim17ROCPRIM_400000_NS6detail17trampoline_kernelINS0_14default_configENS1_20scan_config_selectorIxEEZZNS1_9scan_implILNS1_25lookback_scan_determinismE0ELb0ELb1ES3_N6thrust23THRUST_200600_302600_NS6detail15normal_iteratorINS9_10device_ptrIxEEEESE_xNS9_4plusIxEExEEDaPvRmT3_T4_T5_mT6_P12ihipStream_tbENKUlT_T0_E_clISt17integral_constantIbLb0EEST_IbLb1EEEEDaSP_SQ_EUlSP_E_NS1_11comp_targetILNS1_3genE8ELNS1_11target_archE1030ELNS1_3gpuE2ELNS1_3repE0EEENS1_30default_config_static_selectorELNS0_4arch9wavefront6targetE1EEEvT1_,@function
_ZN7rocprim17ROCPRIM_400000_NS6detail17trampoline_kernelINS0_14default_configENS1_20scan_config_selectorIxEEZZNS1_9scan_implILNS1_25lookback_scan_determinismE0ELb0ELb1ES3_N6thrust23THRUST_200600_302600_NS6detail15normal_iteratorINS9_10device_ptrIxEEEESE_xNS9_4plusIxEExEEDaPvRmT3_T4_T5_mT6_P12ihipStream_tbENKUlT_T0_E_clISt17integral_constantIbLb0EEST_IbLb1EEEEDaSP_SQ_EUlSP_E_NS1_11comp_targetILNS1_3genE8ELNS1_11target_archE1030ELNS1_3gpuE2ELNS1_3repE0EEENS1_30default_config_static_selectorELNS0_4arch9wavefront6targetE1EEEvT1_: ; @_ZN7rocprim17ROCPRIM_400000_NS6detail17trampoline_kernelINS0_14default_configENS1_20scan_config_selectorIxEEZZNS1_9scan_implILNS1_25lookback_scan_determinismE0ELb0ELb1ES3_N6thrust23THRUST_200600_302600_NS6detail15normal_iteratorINS9_10device_ptrIxEEEESE_xNS9_4plusIxEExEEDaPvRmT3_T4_T5_mT6_P12ihipStream_tbENKUlT_T0_E_clISt17integral_constantIbLb0EEST_IbLb1EEEEDaSP_SQ_EUlSP_E_NS1_11comp_targetILNS1_3genE8ELNS1_11target_archE1030ELNS1_3gpuE2ELNS1_3repE0EEENS1_30default_config_static_selectorELNS0_4arch9wavefront6targetE1EEEvT1_
; %bb.0:
	.section	.rodata,"a",@progbits
	.p2align	6, 0x0
	.amdhsa_kernel _ZN7rocprim17ROCPRIM_400000_NS6detail17trampoline_kernelINS0_14default_configENS1_20scan_config_selectorIxEEZZNS1_9scan_implILNS1_25lookback_scan_determinismE0ELb0ELb1ES3_N6thrust23THRUST_200600_302600_NS6detail15normal_iteratorINS9_10device_ptrIxEEEESE_xNS9_4plusIxEExEEDaPvRmT3_T4_T5_mT6_P12ihipStream_tbENKUlT_T0_E_clISt17integral_constantIbLb0EEST_IbLb1EEEEDaSP_SQ_EUlSP_E_NS1_11comp_targetILNS1_3genE8ELNS1_11target_archE1030ELNS1_3gpuE2ELNS1_3repE0EEENS1_30default_config_static_selectorELNS0_4arch9wavefront6targetE1EEEvT1_
		.amdhsa_group_segment_fixed_size 0
		.amdhsa_private_segment_fixed_size 0
		.amdhsa_kernarg_size 104
		.amdhsa_user_sgpr_count 6
		.amdhsa_user_sgpr_private_segment_buffer 1
		.amdhsa_user_sgpr_dispatch_ptr 0
		.amdhsa_user_sgpr_queue_ptr 0
		.amdhsa_user_sgpr_kernarg_segment_ptr 1
		.amdhsa_user_sgpr_dispatch_id 0
		.amdhsa_user_sgpr_flat_scratch_init 0
		.amdhsa_user_sgpr_kernarg_preload_length 0
		.amdhsa_user_sgpr_kernarg_preload_offset 0
		.amdhsa_user_sgpr_private_segment_size 0
		.amdhsa_uses_dynamic_stack 0
		.amdhsa_system_sgpr_private_segment_wavefront_offset 0
		.amdhsa_system_sgpr_workgroup_id_x 1
		.amdhsa_system_sgpr_workgroup_id_y 0
		.amdhsa_system_sgpr_workgroup_id_z 0
		.amdhsa_system_sgpr_workgroup_info 0
		.amdhsa_system_vgpr_workitem_id 0
		.amdhsa_next_free_vgpr 1
		.amdhsa_next_free_sgpr 0
		.amdhsa_accum_offset 4
		.amdhsa_reserve_vcc 0
		.amdhsa_reserve_flat_scratch 0
		.amdhsa_float_round_mode_32 0
		.amdhsa_float_round_mode_16_64 0
		.amdhsa_float_denorm_mode_32 3
		.amdhsa_float_denorm_mode_16_64 3
		.amdhsa_dx10_clamp 1
		.amdhsa_ieee_mode 1
		.amdhsa_fp16_overflow 0
		.amdhsa_tg_split 0
		.amdhsa_exception_fp_ieee_invalid_op 0
		.amdhsa_exception_fp_denorm_src 0
		.amdhsa_exception_fp_ieee_div_zero 0
		.amdhsa_exception_fp_ieee_overflow 0
		.amdhsa_exception_fp_ieee_underflow 0
		.amdhsa_exception_fp_ieee_inexact 0
		.amdhsa_exception_int_div_zero 0
	.end_amdhsa_kernel
	.section	.text._ZN7rocprim17ROCPRIM_400000_NS6detail17trampoline_kernelINS0_14default_configENS1_20scan_config_selectorIxEEZZNS1_9scan_implILNS1_25lookback_scan_determinismE0ELb0ELb1ES3_N6thrust23THRUST_200600_302600_NS6detail15normal_iteratorINS9_10device_ptrIxEEEESE_xNS9_4plusIxEExEEDaPvRmT3_T4_T5_mT6_P12ihipStream_tbENKUlT_T0_E_clISt17integral_constantIbLb0EEST_IbLb1EEEEDaSP_SQ_EUlSP_E_NS1_11comp_targetILNS1_3genE8ELNS1_11target_archE1030ELNS1_3gpuE2ELNS1_3repE0EEENS1_30default_config_static_selectorELNS0_4arch9wavefront6targetE1EEEvT1_,"axG",@progbits,_ZN7rocprim17ROCPRIM_400000_NS6detail17trampoline_kernelINS0_14default_configENS1_20scan_config_selectorIxEEZZNS1_9scan_implILNS1_25lookback_scan_determinismE0ELb0ELb1ES3_N6thrust23THRUST_200600_302600_NS6detail15normal_iteratorINS9_10device_ptrIxEEEESE_xNS9_4plusIxEExEEDaPvRmT3_T4_T5_mT6_P12ihipStream_tbENKUlT_T0_E_clISt17integral_constantIbLb0EEST_IbLb1EEEEDaSP_SQ_EUlSP_E_NS1_11comp_targetILNS1_3genE8ELNS1_11target_archE1030ELNS1_3gpuE2ELNS1_3repE0EEENS1_30default_config_static_selectorELNS0_4arch9wavefront6targetE1EEEvT1_,comdat
.Lfunc_end476:
	.size	_ZN7rocprim17ROCPRIM_400000_NS6detail17trampoline_kernelINS0_14default_configENS1_20scan_config_selectorIxEEZZNS1_9scan_implILNS1_25lookback_scan_determinismE0ELb0ELb1ES3_N6thrust23THRUST_200600_302600_NS6detail15normal_iteratorINS9_10device_ptrIxEEEESE_xNS9_4plusIxEExEEDaPvRmT3_T4_T5_mT6_P12ihipStream_tbENKUlT_T0_E_clISt17integral_constantIbLb0EEST_IbLb1EEEEDaSP_SQ_EUlSP_E_NS1_11comp_targetILNS1_3genE8ELNS1_11target_archE1030ELNS1_3gpuE2ELNS1_3repE0EEENS1_30default_config_static_selectorELNS0_4arch9wavefront6targetE1EEEvT1_, .Lfunc_end476-_ZN7rocprim17ROCPRIM_400000_NS6detail17trampoline_kernelINS0_14default_configENS1_20scan_config_selectorIxEEZZNS1_9scan_implILNS1_25lookback_scan_determinismE0ELb0ELb1ES3_N6thrust23THRUST_200600_302600_NS6detail15normal_iteratorINS9_10device_ptrIxEEEESE_xNS9_4plusIxEExEEDaPvRmT3_T4_T5_mT6_P12ihipStream_tbENKUlT_T0_E_clISt17integral_constantIbLb0EEST_IbLb1EEEEDaSP_SQ_EUlSP_E_NS1_11comp_targetILNS1_3genE8ELNS1_11target_archE1030ELNS1_3gpuE2ELNS1_3repE0EEENS1_30default_config_static_selectorELNS0_4arch9wavefront6targetE1EEEvT1_
                                        ; -- End function
	.section	.AMDGPU.csdata,"",@progbits
; Kernel info:
; codeLenInByte = 0
; NumSgprs: 4
; NumVgprs: 0
; NumAgprs: 0
; TotalNumVgprs: 0
; ScratchSize: 0
; MemoryBound: 0
; FloatMode: 240
; IeeeMode: 1
; LDSByteSize: 0 bytes/workgroup (compile time only)
; SGPRBlocks: 0
; VGPRBlocks: 0
; NumSGPRsForWavesPerEU: 4
; NumVGPRsForWavesPerEU: 1
; AccumOffset: 4
; Occupancy: 8
; WaveLimiterHint : 0
; COMPUTE_PGM_RSRC2:SCRATCH_EN: 0
; COMPUTE_PGM_RSRC2:USER_SGPR: 6
; COMPUTE_PGM_RSRC2:TRAP_HANDLER: 0
; COMPUTE_PGM_RSRC2:TGID_X_EN: 1
; COMPUTE_PGM_RSRC2:TGID_Y_EN: 0
; COMPUTE_PGM_RSRC2:TGID_Z_EN: 0
; COMPUTE_PGM_RSRC2:TIDIG_COMP_CNT: 0
; COMPUTE_PGM_RSRC3_GFX90A:ACCUM_OFFSET: 0
; COMPUTE_PGM_RSRC3_GFX90A:TG_SPLIT: 0
	.section	.text._ZN7rocprim17ROCPRIM_400000_NS6detail17trampoline_kernelINS0_14default_configENS1_20scan_config_selectorIxEEZZNS1_9scan_implILNS1_25lookback_scan_determinismE0ELb0ELb1ES3_N6thrust23THRUST_200600_302600_NS6detail15normal_iteratorINS9_10device_ptrIxEEEESE_xNS9_4plusIxEExEEDaPvRmT3_T4_T5_mT6_P12ihipStream_tbENKUlT_T0_E_clISt17integral_constantIbLb0EEST_IbLb1EEEEDaSP_SQ_EUlSP_E0_NS1_11comp_targetILNS1_3genE0ELNS1_11target_archE4294967295ELNS1_3gpuE0ELNS1_3repE0EEENS1_30default_config_static_selectorELNS0_4arch9wavefront6targetE1EEEvT1_,"axG",@progbits,_ZN7rocprim17ROCPRIM_400000_NS6detail17trampoline_kernelINS0_14default_configENS1_20scan_config_selectorIxEEZZNS1_9scan_implILNS1_25lookback_scan_determinismE0ELb0ELb1ES3_N6thrust23THRUST_200600_302600_NS6detail15normal_iteratorINS9_10device_ptrIxEEEESE_xNS9_4plusIxEExEEDaPvRmT3_T4_T5_mT6_P12ihipStream_tbENKUlT_T0_E_clISt17integral_constantIbLb0EEST_IbLb1EEEEDaSP_SQ_EUlSP_E0_NS1_11comp_targetILNS1_3genE0ELNS1_11target_archE4294967295ELNS1_3gpuE0ELNS1_3repE0EEENS1_30default_config_static_selectorELNS0_4arch9wavefront6targetE1EEEvT1_,comdat
	.protected	_ZN7rocprim17ROCPRIM_400000_NS6detail17trampoline_kernelINS0_14default_configENS1_20scan_config_selectorIxEEZZNS1_9scan_implILNS1_25lookback_scan_determinismE0ELb0ELb1ES3_N6thrust23THRUST_200600_302600_NS6detail15normal_iteratorINS9_10device_ptrIxEEEESE_xNS9_4plusIxEExEEDaPvRmT3_T4_T5_mT6_P12ihipStream_tbENKUlT_T0_E_clISt17integral_constantIbLb0EEST_IbLb1EEEEDaSP_SQ_EUlSP_E0_NS1_11comp_targetILNS1_3genE0ELNS1_11target_archE4294967295ELNS1_3gpuE0ELNS1_3repE0EEENS1_30default_config_static_selectorELNS0_4arch9wavefront6targetE1EEEvT1_ ; -- Begin function _ZN7rocprim17ROCPRIM_400000_NS6detail17trampoline_kernelINS0_14default_configENS1_20scan_config_selectorIxEEZZNS1_9scan_implILNS1_25lookback_scan_determinismE0ELb0ELb1ES3_N6thrust23THRUST_200600_302600_NS6detail15normal_iteratorINS9_10device_ptrIxEEEESE_xNS9_4plusIxEExEEDaPvRmT3_T4_T5_mT6_P12ihipStream_tbENKUlT_T0_E_clISt17integral_constantIbLb0EEST_IbLb1EEEEDaSP_SQ_EUlSP_E0_NS1_11comp_targetILNS1_3genE0ELNS1_11target_archE4294967295ELNS1_3gpuE0ELNS1_3repE0EEENS1_30default_config_static_selectorELNS0_4arch9wavefront6targetE1EEEvT1_
	.globl	_ZN7rocprim17ROCPRIM_400000_NS6detail17trampoline_kernelINS0_14default_configENS1_20scan_config_selectorIxEEZZNS1_9scan_implILNS1_25lookback_scan_determinismE0ELb0ELb1ES3_N6thrust23THRUST_200600_302600_NS6detail15normal_iteratorINS9_10device_ptrIxEEEESE_xNS9_4plusIxEExEEDaPvRmT3_T4_T5_mT6_P12ihipStream_tbENKUlT_T0_E_clISt17integral_constantIbLb0EEST_IbLb1EEEEDaSP_SQ_EUlSP_E0_NS1_11comp_targetILNS1_3genE0ELNS1_11target_archE4294967295ELNS1_3gpuE0ELNS1_3repE0EEENS1_30default_config_static_selectorELNS0_4arch9wavefront6targetE1EEEvT1_
	.p2align	8
	.type	_ZN7rocprim17ROCPRIM_400000_NS6detail17trampoline_kernelINS0_14default_configENS1_20scan_config_selectorIxEEZZNS1_9scan_implILNS1_25lookback_scan_determinismE0ELb0ELb1ES3_N6thrust23THRUST_200600_302600_NS6detail15normal_iteratorINS9_10device_ptrIxEEEESE_xNS9_4plusIxEExEEDaPvRmT3_T4_T5_mT6_P12ihipStream_tbENKUlT_T0_E_clISt17integral_constantIbLb0EEST_IbLb1EEEEDaSP_SQ_EUlSP_E0_NS1_11comp_targetILNS1_3genE0ELNS1_11target_archE4294967295ELNS1_3gpuE0ELNS1_3repE0EEENS1_30default_config_static_selectorELNS0_4arch9wavefront6targetE1EEEvT1_,@function
_ZN7rocprim17ROCPRIM_400000_NS6detail17trampoline_kernelINS0_14default_configENS1_20scan_config_selectorIxEEZZNS1_9scan_implILNS1_25lookback_scan_determinismE0ELb0ELb1ES3_N6thrust23THRUST_200600_302600_NS6detail15normal_iteratorINS9_10device_ptrIxEEEESE_xNS9_4plusIxEExEEDaPvRmT3_T4_T5_mT6_P12ihipStream_tbENKUlT_T0_E_clISt17integral_constantIbLb0EEST_IbLb1EEEEDaSP_SQ_EUlSP_E0_NS1_11comp_targetILNS1_3genE0ELNS1_11target_archE4294967295ELNS1_3gpuE0ELNS1_3repE0EEENS1_30default_config_static_selectorELNS0_4arch9wavefront6targetE1EEEvT1_: ; @_ZN7rocprim17ROCPRIM_400000_NS6detail17trampoline_kernelINS0_14default_configENS1_20scan_config_selectorIxEEZZNS1_9scan_implILNS1_25lookback_scan_determinismE0ELb0ELb1ES3_N6thrust23THRUST_200600_302600_NS6detail15normal_iteratorINS9_10device_ptrIxEEEESE_xNS9_4plusIxEExEEDaPvRmT3_T4_T5_mT6_P12ihipStream_tbENKUlT_T0_E_clISt17integral_constantIbLb0EEST_IbLb1EEEEDaSP_SQ_EUlSP_E0_NS1_11comp_targetILNS1_3genE0ELNS1_11target_archE4294967295ELNS1_3gpuE0ELNS1_3repE0EEENS1_30default_config_static_selectorELNS0_4arch9wavefront6targetE1EEEvT1_
; %bb.0:
	.section	.rodata,"a",@progbits
	.p2align	6, 0x0
	.amdhsa_kernel _ZN7rocprim17ROCPRIM_400000_NS6detail17trampoline_kernelINS0_14default_configENS1_20scan_config_selectorIxEEZZNS1_9scan_implILNS1_25lookback_scan_determinismE0ELb0ELb1ES3_N6thrust23THRUST_200600_302600_NS6detail15normal_iteratorINS9_10device_ptrIxEEEESE_xNS9_4plusIxEExEEDaPvRmT3_T4_T5_mT6_P12ihipStream_tbENKUlT_T0_E_clISt17integral_constantIbLb0EEST_IbLb1EEEEDaSP_SQ_EUlSP_E0_NS1_11comp_targetILNS1_3genE0ELNS1_11target_archE4294967295ELNS1_3gpuE0ELNS1_3repE0EEENS1_30default_config_static_selectorELNS0_4arch9wavefront6targetE1EEEvT1_
		.amdhsa_group_segment_fixed_size 0
		.amdhsa_private_segment_fixed_size 0
		.amdhsa_kernarg_size 40
		.amdhsa_user_sgpr_count 6
		.amdhsa_user_sgpr_private_segment_buffer 1
		.amdhsa_user_sgpr_dispatch_ptr 0
		.amdhsa_user_sgpr_queue_ptr 0
		.amdhsa_user_sgpr_kernarg_segment_ptr 1
		.amdhsa_user_sgpr_dispatch_id 0
		.amdhsa_user_sgpr_flat_scratch_init 0
		.amdhsa_user_sgpr_kernarg_preload_length 0
		.amdhsa_user_sgpr_kernarg_preload_offset 0
		.amdhsa_user_sgpr_private_segment_size 0
		.amdhsa_uses_dynamic_stack 0
		.amdhsa_system_sgpr_private_segment_wavefront_offset 0
		.amdhsa_system_sgpr_workgroup_id_x 1
		.amdhsa_system_sgpr_workgroup_id_y 0
		.amdhsa_system_sgpr_workgroup_id_z 0
		.amdhsa_system_sgpr_workgroup_info 0
		.amdhsa_system_vgpr_workitem_id 0
		.amdhsa_next_free_vgpr 1
		.amdhsa_next_free_sgpr 0
		.amdhsa_accum_offset 4
		.amdhsa_reserve_vcc 0
		.amdhsa_reserve_flat_scratch 0
		.amdhsa_float_round_mode_32 0
		.amdhsa_float_round_mode_16_64 0
		.amdhsa_float_denorm_mode_32 3
		.amdhsa_float_denorm_mode_16_64 3
		.amdhsa_dx10_clamp 1
		.amdhsa_ieee_mode 1
		.amdhsa_fp16_overflow 0
		.amdhsa_tg_split 0
		.amdhsa_exception_fp_ieee_invalid_op 0
		.amdhsa_exception_fp_denorm_src 0
		.amdhsa_exception_fp_ieee_div_zero 0
		.amdhsa_exception_fp_ieee_overflow 0
		.amdhsa_exception_fp_ieee_underflow 0
		.amdhsa_exception_fp_ieee_inexact 0
		.amdhsa_exception_int_div_zero 0
	.end_amdhsa_kernel
	.section	.text._ZN7rocprim17ROCPRIM_400000_NS6detail17trampoline_kernelINS0_14default_configENS1_20scan_config_selectorIxEEZZNS1_9scan_implILNS1_25lookback_scan_determinismE0ELb0ELb1ES3_N6thrust23THRUST_200600_302600_NS6detail15normal_iteratorINS9_10device_ptrIxEEEESE_xNS9_4plusIxEExEEDaPvRmT3_T4_T5_mT6_P12ihipStream_tbENKUlT_T0_E_clISt17integral_constantIbLb0EEST_IbLb1EEEEDaSP_SQ_EUlSP_E0_NS1_11comp_targetILNS1_3genE0ELNS1_11target_archE4294967295ELNS1_3gpuE0ELNS1_3repE0EEENS1_30default_config_static_selectorELNS0_4arch9wavefront6targetE1EEEvT1_,"axG",@progbits,_ZN7rocprim17ROCPRIM_400000_NS6detail17trampoline_kernelINS0_14default_configENS1_20scan_config_selectorIxEEZZNS1_9scan_implILNS1_25lookback_scan_determinismE0ELb0ELb1ES3_N6thrust23THRUST_200600_302600_NS6detail15normal_iteratorINS9_10device_ptrIxEEEESE_xNS9_4plusIxEExEEDaPvRmT3_T4_T5_mT6_P12ihipStream_tbENKUlT_T0_E_clISt17integral_constantIbLb0EEST_IbLb1EEEEDaSP_SQ_EUlSP_E0_NS1_11comp_targetILNS1_3genE0ELNS1_11target_archE4294967295ELNS1_3gpuE0ELNS1_3repE0EEENS1_30default_config_static_selectorELNS0_4arch9wavefront6targetE1EEEvT1_,comdat
.Lfunc_end477:
	.size	_ZN7rocprim17ROCPRIM_400000_NS6detail17trampoline_kernelINS0_14default_configENS1_20scan_config_selectorIxEEZZNS1_9scan_implILNS1_25lookback_scan_determinismE0ELb0ELb1ES3_N6thrust23THRUST_200600_302600_NS6detail15normal_iteratorINS9_10device_ptrIxEEEESE_xNS9_4plusIxEExEEDaPvRmT3_T4_T5_mT6_P12ihipStream_tbENKUlT_T0_E_clISt17integral_constantIbLb0EEST_IbLb1EEEEDaSP_SQ_EUlSP_E0_NS1_11comp_targetILNS1_3genE0ELNS1_11target_archE4294967295ELNS1_3gpuE0ELNS1_3repE0EEENS1_30default_config_static_selectorELNS0_4arch9wavefront6targetE1EEEvT1_, .Lfunc_end477-_ZN7rocprim17ROCPRIM_400000_NS6detail17trampoline_kernelINS0_14default_configENS1_20scan_config_selectorIxEEZZNS1_9scan_implILNS1_25lookback_scan_determinismE0ELb0ELb1ES3_N6thrust23THRUST_200600_302600_NS6detail15normal_iteratorINS9_10device_ptrIxEEEESE_xNS9_4plusIxEExEEDaPvRmT3_T4_T5_mT6_P12ihipStream_tbENKUlT_T0_E_clISt17integral_constantIbLb0EEST_IbLb1EEEEDaSP_SQ_EUlSP_E0_NS1_11comp_targetILNS1_3genE0ELNS1_11target_archE4294967295ELNS1_3gpuE0ELNS1_3repE0EEENS1_30default_config_static_selectorELNS0_4arch9wavefront6targetE1EEEvT1_
                                        ; -- End function
	.section	.AMDGPU.csdata,"",@progbits
; Kernel info:
; codeLenInByte = 0
; NumSgprs: 4
; NumVgprs: 0
; NumAgprs: 0
; TotalNumVgprs: 0
; ScratchSize: 0
; MemoryBound: 0
; FloatMode: 240
; IeeeMode: 1
; LDSByteSize: 0 bytes/workgroup (compile time only)
; SGPRBlocks: 0
; VGPRBlocks: 0
; NumSGPRsForWavesPerEU: 4
; NumVGPRsForWavesPerEU: 1
; AccumOffset: 4
; Occupancy: 8
; WaveLimiterHint : 0
; COMPUTE_PGM_RSRC2:SCRATCH_EN: 0
; COMPUTE_PGM_RSRC2:USER_SGPR: 6
; COMPUTE_PGM_RSRC2:TRAP_HANDLER: 0
; COMPUTE_PGM_RSRC2:TGID_X_EN: 1
; COMPUTE_PGM_RSRC2:TGID_Y_EN: 0
; COMPUTE_PGM_RSRC2:TGID_Z_EN: 0
; COMPUTE_PGM_RSRC2:TIDIG_COMP_CNT: 0
; COMPUTE_PGM_RSRC3_GFX90A:ACCUM_OFFSET: 0
; COMPUTE_PGM_RSRC3_GFX90A:TG_SPLIT: 0
	.section	.text._ZN7rocprim17ROCPRIM_400000_NS6detail17trampoline_kernelINS0_14default_configENS1_20scan_config_selectorIxEEZZNS1_9scan_implILNS1_25lookback_scan_determinismE0ELb0ELb1ES3_N6thrust23THRUST_200600_302600_NS6detail15normal_iteratorINS9_10device_ptrIxEEEESE_xNS9_4plusIxEExEEDaPvRmT3_T4_T5_mT6_P12ihipStream_tbENKUlT_T0_E_clISt17integral_constantIbLb0EEST_IbLb1EEEEDaSP_SQ_EUlSP_E0_NS1_11comp_targetILNS1_3genE5ELNS1_11target_archE942ELNS1_3gpuE9ELNS1_3repE0EEENS1_30default_config_static_selectorELNS0_4arch9wavefront6targetE1EEEvT1_,"axG",@progbits,_ZN7rocprim17ROCPRIM_400000_NS6detail17trampoline_kernelINS0_14default_configENS1_20scan_config_selectorIxEEZZNS1_9scan_implILNS1_25lookback_scan_determinismE0ELb0ELb1ES3_N6thrust23THRUST_200600_302600_NS6detail15normal_iteratorINS9_10device_ptrIxEEEESE_xNS9_4plusIxEExEEDaPvRmT3_T4_T5_mT6_P12ihipStream_tbENKUlT_T0_E_clISt17integral_constantIbLb0EEST_IbLb1EEEEDaSP_SQ_EUlSP_E0_NS1_11comp_targetILNS1_3genE5ELNS1_11target_archE942ELNS1_3gpuE9ELNS1_3repE0EEENS1_30default_config_static_selectorELNS0_4arch9wavefront6targetE1EEEvT1_,comdat
	.protected	_ZN7rocprim17ROCPRIM_400000_NS6detail17trampoline_kernelINS0_14default_configENS1_20scan_config_selectorIxEEZZNS1_9scan_implILNS1_25lookback_scan_determinismE0ELb0ELb1ES3_N6thrust23THRUST_200600_302600_NS6detail15normal_iteratorINS9_10device_ptrIxEEEESE_xNS9_4plusIxEExEEDaPvRmT3_T4_T5_mT6_P12ihipStream_tbENKUlT_T0_E_clISt17integral_constantIbLb0EEST_IbLb1EEEEDaSP_SQ_EUlSP_E0_NS1_11comp_targetILNS1_3genE5ELNS1_11target_archE942ELNS1_3gpuE9ELNS1_3repE0EEENS1_30default_config_static_selectorELNS0_4arch9wavefront6targetE1EEEvT1_ ; -- Begin function _ZN7rocprim17ROCPRIM_400000_NS6detail17trampoline_kernelINS0_14default_configENS1_20scan_config_selectorIxEEZZNS1_9scan_implILNS1_25lookback_scan_determinismE0ELb0ELb1ES3_N6thrust23THRUST_200600_302600_NS6detail15normal_iteratorINS9_10device_ptrIxEEEESE_xNS9_4plusIxEExEEDaPvRmT3_T4_T5_mT6_P12ihipStream_tbENKUlT_T0_E_clISt17integral_constantIbLb0EEST_IbLb1EEEEDaSP_SQ_EUlSP_E0_NS1_11comp_targetILNS1_3genE5ELNS1_11target_archE942ELNS1_3gpuE9ELNS1_3repE0EEENS1_30default_config_static_selectorELNS0_4arch9wavefront6targetE1EEEvT1_
	.globl	_ZN7rocprim17ROCPRIM_400000_NS6detail17trampoline_kernelINS0_14default_configENS1_20scan_config_selectorIxEEZZNS1_9scan_implILNS1_25lookback_scan_determinismE0ELb0ELb1ES3_N6thrust23THRUST_200600_302600_NS6detail15normal_iteratorINS9_10device_ptrIxEEEESE_xNS9_4plusIxEExEEDaPvRmT3_T4_T5_mT6_P12ihipStream_tbENKUlT_T0_E_clISt17integral_constantIbLb0EEST_IbLb1EEEEDaSP_SQ_EUlSP_E0_NS1_11comp_targetILNS1_3genE5ELNS1_11target_archE942ELNS1_3gpuE9ELNS1_3repE0EEENS1_30default_config_static_selectorELNS0_4arch9wavefront6targetE1EEEvT1_
	.p2align	8
	.type	_ZN7rocprim17ROCPRIM_400000_NS6detail17trampoline_kernelINS0_14default_configENS1_20scan_config_selectorIxEEZZNS1_9scan_implILNS1_25lookback_scan_determinismE0ELb0ELb1ES3_N6thrust23THRUST_200600_302600_NS6detail15normal_iteratorINS9_10device_ptrIxEEEESE_xNS9_4plusIxEExEEDaPvRmT3_T4_T5_mT6_P12ihipStream_tbENKUlT_T0_E_clISt17integral_constantIbLb0EEST_IbLb1EEEEDaSP_SQ_EUlSP_E0_NS1_11comp_targetILNS1_3genE5ELNS1_11target_archE942ELNS1_3gpuE9ELNS1_3repE0EEENS1_30default_config_static_selectorELNS0_4arch9wavefront6targetE1EEEvT1_,@function
_ZN7rocprim17ROCPRIM_400000_NS6detail17trampoline_kernelINS0_14default_configENS1_20scan_config_selectorIxEEZZNS1_9scan_implILNS1_25lookback_scan_determinismE0ELb0ELb1ES3_N6thrust23THRUST_200600_302600_NS6detail15normal_iteratorINS9_10device_ptrIxEEEESE_xNS9_4plusIxEExEEDaPvRmT3_T4_T5_mT6_P12ihipStream_tbENKUlT_T0_E_clISt17integral_constantIbLb0EEST_IbLb1EEEEDaSP_SQ_EUlSP_E0_NS1_11comp_targetILNS1_3genE5ELNS1_11target_archE942ELNS1_3gpuE9ELNS1_3repE0EEENS1_30default_config_static_selectorELNS0_4arch9wavefront6targetE1EEEvT1_: ; @_ZN7rocprim17ROCPRIM_400000_NS6detail17trampoline_kernelINS0_14default_configENS1_20scan_config_selectorIxEEZZNS1_9scan_implILNS1_25lookback_scan_determinismE0ELb0ELb1ES3_N6thrust23THRUST_200600_302600_NS6detail15normal_iteratorINS9_10device_ptrIxEEEESE_xNS9_4plusIxEExEEDaPvRmT3_T4_T5_mT6_P12ihipStream_tbENKUlT_T0_E_clISt17integral_constantIbLb0EEST_IbLb1EEEEDaSP_SQ_EUlSP_E0_NS1_11comp_targetILNS1_3genE5ELNS1_11target_archE942ELNS1_3gpuE9ELNS1_3repE0EEENS1_30default_config_static_selectorELNS0_4arch9wavefront6targetE1EEEvT1_
; %bb.0:
	.section	.rodata,"a",@progbits
	.p2align	6, 0x0
	.amdhsa_kernel _ZN7rocprim17ROCPRIM_400000_NS6detail17trampoline_kernelINS0_14default_configENS1_20scan_config_selectorIxEEZZNS1_9scan_implILNS1_25lookback_scan_determinismE0ELb0ELb1ES3_N6thrust23THRUST_200600_302600_NS6detail15normal_iteratorINS9_10device_ptrIxEEEESE_xNS9_4plusIxEExEEDaPvRmT3_T4_T5_mT6_P12ihipStream_tbENKUlT_T0_E_clISt17integral_constantIbLb0EEST_IbLb1EEEEDaSP_SQ_EUlSP_E0_NS1_11comp_targetILNS1_3genE5ELNS1_11target_archE942ELNS1_3gpuE9ELNS1_3repE0EEENS1_30default_config_static_selectorELNS0_4arch9wavefront6targetE1EEEvT1_
		.amdhsa_group_segment_fixed_size 0
		.amdhsa_private_segment_fixed_size 0
		.amdhsa_kernarg_size 40
		.amdhsa_user_sgpr_count 6
		.amdhsa_user_sgpr_private_segment_buffer 1
		.amdhsa_user_sgpr_dispatch_ptr 0
		.amdhsa_user_sgpr_queue_ptr 0
		.amdhsa_user_sgpr_kernarg_segment_ptr 1
		.amdhsa_user_sgpr_dispatch_id 0
		.amdhsa_user_sgpr_flat_scratch_init 0
		.amdhsa_user_sgpr_kernarg_preload_length 0
		.amdhsa_user_sgpr_kernarg_preload_offset 0
		.amdhsa_user_sgpr_private_segment_size 0
		.amdhsa_uses_dynamic_stack 0
		.amdhsa_system_sgpr_private_segment_wavefront_offset 0
		.amdhsa_system_sgpr_workgroup_id_x 1
		.amdhsa_system_sgpr_workgroup_id_y 0
		.amdhsa_system_sgpr_workgroup_id_z 0
		.amdhsa_system_sgpr_workgroup_info 0
		.amdhsa_system_vgpr_workitem_id 0
		.amdhsa_next_free_vgpr 1
		.amdhsa_next_free_sgpr 0
		.amdhsa_accum_offset 4
		.amdhsa_reserve_vcc 0
		.amdhsa_reserve_flat_scratch 0
		.amdhsa_float_round_mode_32 0
		.amdhsa_float_round_mode_16_64 0
		.amdhsa_float_denorm_mode_32 3
		.amdhsa_float_denorm_mode_16_64 3
		.amdhsa_dx10_clamp 1
		.amdhsa_ieee_mode 1
		.amdhsa_fp16_overflow 0
		.amdhsa_tg_split 0
		.amdhsa_exception_fp_ieee_invalid_op 0
		.amdhsa_exception_fp_denorm_src 0
		.amdhsa_exception_fp_ieee_div_zero 0
		.amdhsa_exception_fp_ieee_overflow 0
		.amdhsa_exception_fp_ieee_underflow 0
		.amdhsa_exception_fp_ieee_inexact 0
		.amdhsa_exception_int_div_zero 0
	.end_amdhsa_kernel
	.section	.text._ZN7rocprim17ROCPRIM_400000_NS6detail17trampoline_kernelINS0_14default_configENS1_20scan_config_selectorIxEEZZNS1_9scan_implILNS1_25lookback_scan_determinismE0ELb0ELb1ES3_N6thrust23THRUST_200600_302600_NS6detail15normal_iteratorINS9_10device_ptrIxEEEESE_xNS9_4plusIxEExEEDaPvRmT3_T4_T5_mT6_P12ihipStream_tbENKUlT_T0_E_clISt17integral_constantIbLb0EEST_IbLb1EEEEDaSP_SQ_EUlSP_E0_NS1_11comp_targetILNS1_3genE5ELNS1_11target_archE942ELNS1_3gpuE9ELNS1_3repE0EEENS1_30default_config_static_selectorELNS0_4arch9wavefront6targetE1EEEvT1_,"axG",@progbits,_ZN7rocprim17ROCPRIM_400000_NS6detail17trampoline_kernelINS0_14default_configENS1_20scan_config_selectorIxEEZZNS1_9scan_implILNS1_25lookback_scan_determinismE0ELb0ELb1ES3_N6thrust23THRUST_200600_302600_NS6detail15normal_iteratorINS9_10device_ptrIxEEEESE_xNS9_4plusIxEExEEDaPvRmT3_T4_T5_mT6_P12ihipStream_tbENKUlT_T0_E_clISt17integral_constantIbLb0EEST_IbLb1EEEEDaSP_SQ_EUlSP_E0_NS1_11comp_targetILNS1_3genE5ELNS1_11target_archE942ELNS1_3gpuE9ELNS1_3repE0EEENS1_30default_config_static_selectorELNS0_4arch9wavefront6targetE1EEEvT1_,comdat
.Lfunc_end478:
	.size	_ZN7rocprim17ROCPRIM_400000_NS6detail17trampoline_kernelINS0_14default_configENS1_20scan_config_selectorIxEEZZNS1_9scan_implILNS1_25lookback_scan_determinismE0ELb0ELb1ES3_N6thrust23THRUST_200600_302600_NS6detail15normal_iteratorINS9_10device_ptrIxEEEESE_xNS9_4plusIxEExEEDaPvRmT3_T4_T5_mT6_P12ihipStream_tbENKUlT_T0_E_clISt17integral_constantIbLb0EEST_IbLb1EEEEDaSP_SQ_EUlSP_E0_NS1_11comp_targetILNS1_3genE5ELNS1_11target_archE942ELNS1_3gpuE9ELNS1_3repE0EEENS1_30default_config_static_selectorELNS0_4arch9wavefront6targetE1EEEvT1_, .Lfunc_end478-_ZN7rocprim17ROCPRIM_400000_NS6detail17trampoline_kernelINS0_14default_configENS1_20scan_config_selectorIxEEZZNS1_9scan_implILNS1_25lookback_scan_determinismE0ELb0ELb1ES3_N6thrust23THRUST_200600_302600_NS6detail15normal_iteratorINS9_10device_ptrIxEEEESE_xNS9_4plusIxEExEEDaPvRmT3_T4_T5_mT6_P12ihipStream_tbENKUlT_T0_E_clISt17integral_constantIbLb0EEST_IbLb1EEEEDaSP_SQ_EUlSP_E0_NS1_11comp_targetILNS1_3genE5ELNS1_11target_archE942ELNS1_3gpuE9ELNS1_3repE0EEENS1_30default_config_static_selectorELNS0_4arch9wavefront6targetE1EEEvT1_
                                        ; -- End function
	.section	.AMDGPU.csdata,"",@progbits
; Kernel info:
; codeLenInByte = 0
; NumSgprs: 4
; NumVgprs: 0
; NumAgprs: 0
; TotalNumVgprs: 0
; ScratchSize: 0
; MemoryBound: 0
; FloatMode: 240
; IeeeMode: 1
; LDSByteSize: 0 bytes/workgroup (compile time only)
; SGPRBlocks: 0
; VGPRBlocks: 0
; NumSGPRsForWavesPerEU: 4
; NumVGPRsForWavesPerEU: 1
; AccumOffset: 4
; Occupancy: 8
; WaveLimiterHint : 0
; COMPUTE_PGM_RSRC2:SCRATCH_EN: 0
; COMPUTE_PGM_RSRC2:USER_SGPR: 6
; COMPUTE_PGM_RSRC2:TRAP_HANDLER: 0
; COMPUTE_PGM_RSRC2:TGID_X_EN: 1
; COMPUTE_PGM_RSRC2:TGID_Y_EN: 0
; COMPUTE_PGM_RSRC2:TGID_Z_EN: 0
; COMPUTE_PGM_RSRC2:TIDIG_COMP_CNT: 0
; COMPUTE_PGM_RSRC3_GFX90A:ACCUM_OFFSET: 0
; COMPUTE_PGM_RSRC3_GFX90A:TG_SPLIT: 0
	.section	.text._ZN7rocprim17ROCPRIM_400000_NS6detail17trampoline_kernelINS0_14default_configENS1_20scan_config_selectorIxEEZZNS1_9scan_implILNS1_25lookback_scan_determinismE0ELb0ELb1ES3_N6thrust23THRUST_200600_302600_NS6detail15normal_iteratorINS9_10device_ptrIxEEEESE_xNS9_4plusIxEExEEDaPvRmT3_T4_T5_mT6_P12ihipStream_tbENKUlT_T0_E_clISt17integral_constantIbLb0EEST_IbLb1EEEEDaSP_SQ_EUlSP_E0_NS1_11comp_targetILNS1_3genE4ELNS1_11target_archE910ELNS1_3gpuE8ELNS1_3repE0EEENS1_30default_config_static_selectorELNS0_4arch9wavefront6targetE1EEEvT1_,"axG",@progbits,_ZN7rocprim17ROCPRIM_400000_NS6detail17trampoline_kernelINS0_14default_configENS1_20scan_config_selectorIxEEZZNS1_9scan_implILNS1_25lookback_scan_determinismE0ELb0ELb1ES3_N6thrust23THRUST_200600_302600_NS6detail15normal_iteratorINS9_10device_ptrIxEEEESE_xNS9_4plusIxEExEEDaPvRmT3_T4_T5_mT6_P12ihipStream_tbENKUlT_T0_E_clISt17integral_constantIbLb0EEST_IbLb1EEEEDaSP_SQ_EUlSP_E0_NS1_11comp_targetILNS1_3genE4ELNS1_11target_archE910ELNS1_3gpuE8ELNS1_3repE0EEENS1_30default_config_static_selectorELNS0_4arch9wavefront6targetE1EEEvT1_,comdat
	.protected	_ZN7rocprim17ROCPRIM_400000_NS6detail17trampoline_kernelINS0_14default_configENS1_20scan_config_selectorIxEEZZNS1_9scan_implILNS1_25lookback_scan_determinismE0ELb0ELb1ES3_N6thrust23THRUST_200600_302600_NS6detail15normal_iteratorINS9_10device_ptrIxEEEESE_xNS9_4plusIxEExEEDaPvRmT3_T4_T5_mT6_P12ihipStream_tbENKUlT_T0_E_clISt17integral_constantIbLb0EEST_IbLb1EEEEDaSP_SQ_EUlSP_E0_NS1_11comp_targetILNS1_3genE4ELNS1_11target_archE910ELNS1_3gpuE8ELNS1_3repE0EEENS1_30default_config_static_selectorELNS0_4arch9wavefront6targetE1EEEvT1_ ; -- Begin function _ZN7rocprim17ROCPRIM_400000_NS6detail17trampoline_kernelINS0_14default_configENS1_20scan_config_selectorIxEEZZNS1_9scan_implILNS1_25lookback_scan_determinismE0ELb0ELb1ES3_N6thrust23THRUST_200600_302600_NS6detail15normal_iteratorINS9_10device_ptrIxEEEESE_xNS9_4plusIxEExEEDaPvRmT3_T4_T5_mT6_P12ihipStream_tbENKUlT_T0_E_clISt17integral_constantIbLb0EEST_IbLb1EEEEDaSP_SQ_EUlSP_E0_NS1_11comp_targetILNS1_3genE4ELNS1_11target_archE910ELNS1_3gpuE8ELNS1_3repE0EEENS1_30default_config_static_selectorELNS0_4arch9wavefront6targetE1EEEvT1_
	.globl	_ZN7rocprim17ROCPRIM_400000_NS6detail17trampoline_kernelINS0_14default_configENS1_20scan_config_selectorIxEEZZNS1_9scan_implILNS1_25lookback_scan_determinismE0ELb0ELb1ES3_N6thrust23THRUST_200600_302600_NS6detail15normal_iteratorINS9_10device_ptrIxEEEESE_xNS9_4plusIxEExEEDaPvRmT3_T4_T5_mT6_P12ihipStream_tbENKUlT_T0_E_clISt17integral_constantIbLb0EEST_IbLb1EEEEDaSP_SQ_EUlSP_E0_NS1_11comp_targetILNS1_3genE4ELNS1_11target_archE910ELNS1_3gpuE8ELNS1_3repE0EEENS1_30default_config_static_selectorELNS0_4arch9wavefront6targetE1EEEvT1_
	.p2align	8
	.type	_ZN7rocprim17ROCPRIM_400000_NS6detail17trampoline_kernelINS0_14default_configENS1_20scan_config_selectorIxEEZZNS1_9scan_implILNS1_25lookback_scan_determinismE0ELb0ELb1ES3_N6thrust23THRUST_200600_302600_NS6detail15normal_iteratorINS9_10device_ptrIxEEEESE_xNS9_4plusIxEExEEDaPvRmT3_T4_T5_mT6_P12ihipStream_tbENKUlT_T0_E_clISt17integral_constantIbLb0EEST_IbLb1EEEEDaSP_SQ_EUlSP_E0_NS1_11comp_targetILNS1_3genE4ELNS1_11target_archE910ELNS1_3gpuE8ELNS1_3repE0EEENS1_30default_config_static_selectorELNS0_4arch9wavefront6targetE1EEEvT1_,@function
_ZN7rocprim17ROCPRIM_400000_NS6detail17trampoline_kernelINS0_14default_configENS1_20scan_config_selectorIxEEZZNS1_9scan_implILNS1_25lookback_scan_determinismE0ELb0ELb1ES3_N6thrust23THRUST_200600_302600_NS6detail15normal_iteratorINS9_10device_ptrIxEEEESE_xNS9_4plusIxEExEEDaPvRmT3_T4_T5_mT6_P12ihipStream_tbENKUlT_T0_E_clISt17integral_constantIbLb0EEST_IbLb1EEEEDaSP_SQ_EUlSP_E0_NS1_11comp_targetILNS1_3genE4ELNS1_11target_archE910ELNS1_3gpuE8ELNS1_3repE0EEENS1_30default_config_static_selectorELNS0_4arch9wavefront6targetE1EEEvT1_: ; @_ZN7rocprim17ROCPRIM_400000_NS6detail17trampoline_kernelINS0_14default_configENS1_20scan_config_selectorIxEEZZNS1_9scan_implILNS1_25lookback_scan_determinismE0ELb0ELb1ES3_N6thrust23THRUST_200600_302600_NS6detail15normal_iteratorINS9_10device_ptrIxEEEESE_xNS9_4plusIxEExEEDaPvRmT3_T4_T5_mT6_P12ihipStream_tbENKUlT_T0_E_clISt17integral_constantIbLb0EEST_IbLb1EEEEDaSP_SQ_EUlSP_E0_NS1_11comp_targetILNS1_3genE4ELNS1_11target_archE910ELNS1_3gpuE8ELNS1_3repE0EEENS1_30default_config_static_selectorELNS0_4arch9wavefront6targetE1EEEvT1_
; %bb.0:
	s_load_dwordx4 s[16:19], s[4:5], 0x0
	v_lshlrev_b32_e32 v27, 3, v0
	s_waitcnt lgkmcnt(0)
	s_load_dwordx2 s[14:15], s[16:17], 0x0
	v_cmp_gt_u32_e32 vcc, s18, v0
	s_waitcnt lgkmcnt(0)
	v_pk_mov_b32 v[2:3], s[14:15], s[14:15] op_sel:[0,1]
	s_and_saveexec_b64 s[0:1], vcc
	s_cbranch_execz .LBB479_2
; %bb.1:
	global_load_dwordx2 v[2:3], v27, s[16:17]
.LBB479_2:
	s_or_b64 exec, exec, s[0:1]
	v_or_b32_e32 v1, 0x80, v0
	v_cmp_gt_u32_e64 s[0:1], s18, v1
	v_pk_mov_b32 v[4:5], s[14:15], s[14:15] op_sel:[0,1]
	s_and_saveexec_b64 s[2:3], s[0:1]
	s_cbranch_execz .LBB479_4
; %bb.3:
	global_load_dwordx2 v[4:5], v27, s[16:17] offset:1024
.LBB479_4:
	s_or_b64 exec, exec, s[2:3]
	v_or_b32_e32 v1, 0x100, v0
	v_cmp_gt_u32_e64 s[2:3], s18, v1
	v_pk_mov_b32 v[6:7], s[14:15], s[14:15] op_sel:[0,1]
	s_and_saveexec_b64 s[6:7], s[2:3]
	s_cbranch_execz .LBB479_6
; %bb.5:
	global_load_dwordx2 v[6:7], v27, s[16:17] offset:2048
.LBB479_6:
	;; [unrolled: 9-line block ×3, first 2 shown]
	s_or_b64 exec, exec, s[6:7]
	v_or_b32_e32 v1, 0x200, v0
	v_cmp_gt_u32_e64 s[6:7], s18, v1
	v_pk_mov_b32 v[10:11], s[14:15], s[14:15] op_sel:[0,1]
	s_and_saveexec_b64 s[8:9], s[6:7]
	s_cbranch_execz .LBB479_10
; %bb.9:
	v_lshlrev_b32_e32 v1, 3, v1
	global_load_dwordx2 v[10:11], v1, s[16:17]
.LBB479_10:
	s_or_b64 exec, exec, s[8:9]
	v_or_b32_e32 v1, 0x280, v0
	v_cmp_gt_u32_e64 s[8:9], s18, v1
	v_pk_mov_b32 v[12:13], s[14:15], s[14:15] op_sel:[0,1]
	s_and_saveexec_b64 s[10:11], s[8:9]
	s_cbranch_execz .LBB479_12
; %bb.11:
	v_lshlrev_b32_e32 v1, 3, v1
	global_load_dwordx2 v[12:13], v1, s[16:17]
.LBB479_12:
	s_or_b64 exec, exec, s[10:11]
	s_load_dwordx2 s[20:21], s[4:5], 0x10
	v_or_b32_e32 v1, 0x300, v0
	v_cmp_gt_u32_e64 s[10:11], s18, v1
	v_pk_mov_b32 v[14:15], s[14:15], s[14:15] op_sel:[0,1]
	s_and_saveexec_b64 s[14:15], s[10:11]
	s_cbranch_execz .LBB479_14
; %bb.13:
	v_lshlrev_b32_e32 v1, 3, v1
	global_load_dwordx2 v[14:15], v1, s[16:17]
.LBB479_14:
	s_or_b64 exec, exec, s[14:15]
	v_mad_u32_u24 v1, v0, 48, v27
	s_waitcnt vmcnt(0)
	ds_write2st64_b64 v27, v[2:3], v[4:5] offset1:2
	ds_write2st64_b64 v27, v[6:7], v[8:9] offset0:4 offset1:6
	ds_write2st64_b64 v27, v[10:11], v[12:13] offset0:8 offset1:10
	ds_write_b64 v27, v[14:15] offset:6144
	s_waitcnt lgkmcnt(0)
	s_barrier
	ds_read2_b64 v[2:5], v1 offset1:1
	ds_read2_b64 v[10:13], v1 offset0:2 offset1:3
	ds_read2_b64 v[6:9], v1 offset0:4 offset1:5
	ds_read_b64 v[18:19], v1 offset:48
	s_load_dwordx2 s[16:17], s[4:5], 0x20
	s_waitcnt lgkmcnt(0)
	v_add_co_u32_e64 v20, s[4:5], v4, v2
	v_addc_co_u32_e64 v1, s[4:5], v5, v3, s[4:5]
	v_add_co_u32_e64 v22, s[4:5], v20, v10
	v_addc_co_u32_e64 v21, s[4:5], v1, v11, s[4:5]
	v_add_co_u32_e64 v24, s[4:5], v22, v12
	v_addc_co_u32_e64 v23, s[4:5], v21, v13, s[4:5]
	v_add_co_u32_e64 v26, s[4:5], v24, v6
	v_addc_co_u32_e64 v25, s[4:5], v23, v7, s[4:5]
	v_add_co_u32_e64 v14, s[4:5], v26, v8
	v_addc_co_u32_e64 v15, s[4:5], v25, v9, s[4:5]
	v_add_co_u32_e64 v28, s[4:5], v14, v18
	v_lshrrev_b32_e32 v14, 2, v0
	v_addc_co_u32_e64 v29, s[4:5], v15, v19, s[4:5]
	v_and_b32_e32 v14, 24, v14
	v_add_u32_e32 v14, v27, v14
	v_cmp_gt_u32_e64 s[4:5], 64, v0
	s_barrier
	ds_write_b64 v14, v[28:29]
	s_waitcnt lgkmcnt(0)
	s_barrier
	s_and_saveexec_b64 s[18:19], s[4:5]
	s_cbranch_execz .LBB479_18
; %bb.15:
	v_lshlrev_b32_e32 v14, 1, v0
	v_lshrrev_b32_e32 v15, 4, v0
	v_add_lshl_u32 v30, v15, v14, 3
	ds_read2_b64 v[14:17], v30 offset1:1
	s_waitcnt lgkmcnt(0)
	v_add_co_u32_e64 v32, s[4:5], v16, v14
	v_addc_co_u32_e64 v33, s[4:5], v17, v15, s[4:5]
	s_nop 0
	v_mov_b32_dpp v17, v32 row_shr:1 row_mask:0xf bank_mask:0xf
	v_add_co_u32_e64 v17, s[4:5], v32, v17
	v_mbcnt_lo_u32_b32 v16, -1, 0
	v_addc_co_u32_e64 v35, s[4:5], 0, v33, s[4:5]
	v_mbcnt_hi_u32_b32 v31, -1, v16
	v_mov_b32_dpp v34, v33 row_shr:1 row_mask:0xf bank_mask:0xf
	v_add_co_u32_e64 v36, s[4:5], 0, v17
	v_and_b32_e32 v16, 15, v31
	v_addc_co_u32_e64 v34, s[4:5], v34, v35, s[4:5]
	v_cmp_eq_u32_e64 s[4:5], 0, v16
	v_cndmask_b32_e64 v17, v17, v32, s[4:5]
	v_cndmask_b32_e64 v34, v34, v33, s[4:5]
	v_cndmask_b32_e64 v35, v36, v32, s[4:5]
	v_mov_b32_dpp v36, v17 row_shr:2 row_mask:0xf bank_mask:0xf
	v_mov_b32_dpp v37, v34 row_shr:2 row_mask:0xf bank_mask:0xf
	v_add_co_u32_e64 v36, s[4:5], v36, v35
	v_addc_co_u32_e64 v37, s[4:5], v37, v34, s[4:5]
	v_cmp_lt_u32_e64 s[4:5], 1, v16
	v_cndmask_b32_e64 v17, v17, v36, s[4:5]
	v_cndmask_b32_e64 v34, v34, v37, s[4:5]
	v_cndmask_b32_e64 v35, v35, v36, s[4:5]
	v_mov_b32_dpp v36, v17 row_shr:4 row_mask:0xf bank_mask:0xf
	v_mov_b32_dpp v37, v34 row_shr:4 row_mask:0xf bank_mask:0xf
	v_add_co_u32_e64 v36, s[4:5], v36, v35
	v_addc_co_u32_e64 v37, s[4:5], v37, v34, s[4:5]
	v_cmp_lt_u32_e64 s[4:5], 3, v16
	;; [unrolled: 8-line block ×3, first 2 shown]
	v_cndmask_b32_e64 v38, v17, v36, s[4:5]
	v_cndmask_b32_e64 v17, v34, v37, s[4:5]
	;; [unrolled: 1-line block ×3, first 2 shown]
	v_mov_b32_dpp v34, v38 row_bcast:15 row_mask:0xf bank_mask:0xf
	v_mov_b32_dpp v35, v17 row_bcast:15 row_mask:0xf bank_mask:0xf
	v_add_co_u32_e64 v34, s[4:5], v34, v16
	v_and_b32_e32 v37, 16, v31
	v_addc_co_u32_e64 v36, s[4:5], v35, v17, s[4:5]
	v_cmp_eq_u32_e64 s[4:5], 0, v37
	v_cndmask_b32_e64 v37, v36, v17, s[4:5]
	v_cndmask_b32_e64 v35, v34, v38, s[4:5]
	v_cmp_ne_u32_e64 s[14:15], 0, v31
	v_mov_b32_dpp v37, v37 row_bcast:31 row_mask:0xf bank_mask:0xf
	v_mov_b32_dpp v35, v35 row_bcast:31 row_mask:0xf bank_mask:0xf
	s_and_saveexec_b64 s[22:23], s[14:15]
; %bb.16:
	v_cndmask_b32_e64 v17, v36, v17, s[4:5]
	v_cndmask_b32_e64 v16, v34, v16, s[4:5]
	v_cmp_lt_u32_e64 s[4:5], 31, v31
	v_cndmask_b32_e64 v32, 0, v35, s[4:5]
	v_cndmask_b32_e64 v33, 0, v37, s[4:5]
	v_add_co_u32_e64 v32, s[4:5], v32, v16
	v_addc_co_u32_e64 v33, s[4:5], v33, v17, s[4:5]
; %bb.17:
	s_or_b64 exec, exec, s[22:23]
	v_add_u32_e32 v16, -1, v31
	v_and_b32_e32 v17, 64, v31
	v_cmp_lt_i32_e64 s[4:5], v16, v17
	v_cndmask_b32_e64 v16, v16, v31, s[4:5]
	v_lshlrev_b32_e32 v16, 2, v16
	ds_bpermute_b32 v17, v16, v32
	ds_bpermute_b32 v16, v16, v33
	; wave barrier
	s_waitcnt lgkmcnt(1)
	v_add_co_u32_e64 v14, s[4:5], v14, v17
	v_addc_co_u32_e64 v15, s[4:5], 0, v15, s[4:5]
	v_add_co_u32_e64 v14, s[4:5], 0, v14
	s_waitcnt lgkmcnt(0)
	v_addc_co_u32_e64 v15, s[4:5], v15, v16, s[4:5]
	v_cmp_eq_u32_e64 s[4:5], 0, v0
	v_cndmask_b32_e64 v15, v15, v29, s[4:5]
	v_cndmask_b32_e64 v14, v14, v28, s[4:5]
	ds_write_b64 v30, v[14:15]
	; wave barrier
	ds_read_b64 v[16:17], v30 offset:8
	s_waitcnt lgkmcnt(0)
	v_add_co_u32_e64 v14, s[4:5], v16, v14
	v_addc_co_u32_e64 v15, s[4:5], v17, v15, s[4:5]
	ds_write_b64 v30, v[14:15] offset:8
.LBB479_18:
	s_or_b64 exec, exec, s[18:19]
	v_mul_u32_u24_e32 v14, 48, v0
	v_cmp_ne_u32_e64 s[4:5], 0, v0
	s_waitcnt lgkmcnt(0)
	s_barrier
	s_and_saveexec_b64 s[14:15], s[4:5]
	s_cbranch_execz .LBB479_20
; %bb.19:
	v_add_u32_e32 v0, -1, v0
	v_lshrrev_b32_e32 v15, 5, v0
	v_add_lshl_u32 v0, v15, v0, 3
	ds_read_b64 v[28:29], v0
.LBB479_20:
	s_or_b64 exec, exec, s[14:15]
	s_and_saveexec_b64 s[14:15], s[4:5]
	s_cbranch_execz .LBB479_22
; %bb.21:
	s_waitcnt lgkmcnt(0)
	v_add_co_u32_e64 v2, s[4:5], v28, v2
	v_addc_co_u32_e64 v3, s[4:5], v29, v3, s[4:5]
	v_add_co_u32_e64 v20, s[4:5], v2, v4
	v_addc_co_u32_e64 v1, s[4:5], v3, v5, s[4:5]
	;; [unrolled: 2-line block ×5, first 2 shown]
	;;#ASMSTART
	;;#ASMEND
.LBB479_22:
	s_or_b64 exec, exec, s[14:15]
	v_mov_b32_e32 v11, s21
	v_add_co_u32_e64 v2, s[4:5], s20, v2
	v_addc_co_u32_e64 v3, s[4:5], v3, v11, s[4:5]
	v_add_co_u32_e64 v0, s[4:5], s20, v20
	v_addc_co_u32_e64 v1, s[4:5], v1, v11, s[4:5]
	;; [unrolled: 2-line block ×6, first 2 shown]
	v_add_co_u32_e64 v12, s[4:5], v8, v18
	v_add_u32_e32 v14, v27, v14
	v_addc_co_u32_e64 v13, s[4:5], v9, v19, s[4:5]
	s_waitcnt lgkmcnt(0)
	s_barrier
	ds_write2_b64 v14, v[2:3], v[0:1] offset1:1
	ds_write2_b64 v14, v[4:5], v[6:7] offset0:2 offset1:3
	ds_write2_b64 v14, v[10:11], v[8:9] offset0:4 offset1:5
	ds_write_b64 v14, v[12:13] offset:48
	s_waitcnt lgkmcnt(0)
	s_barrier
	ds_read2st64_b64 v[8:11], v27 offset0:2 offset1:4
	ds_read2st64_b64 v[4:7], v27 offset0:6 offset1:8
	;; [unrolled: 1-line block ×3, first 2 shown]
	v_mov_b32_e32 v13, s17
	v_add_co_u32_e64 v12, s[4:5], s16, v27
	v_addc_co_u32_e64 v13, s[4:5], 0, v13, s[4:5]
	s_and_saveexec_b64 s[4:5], vcc
	s_cbranch_execnz .LBB479_30
; %bb.23:
	s_or_b64 exec, exec, s[4:5]
	s_and_saveexec_b64 s[4:5], s[0:1]
	s_cbranch_execnz .LBB479_31
.LBB479_24:
	s_or_b64 exec, exec, s[4:5]
	s_and_saveexec_b64 s[0:1], s[2:3]
	s_cbranch_execnz .LBB479_32
.LBB479_25:
	s_or_b64 exec, exec, s[0:1]
	s_and_saveexec_b64 s[0:1], s[12:13]
	s_cbranch_execnz .LBB479_33
.LBB479_26:
	s_or_b64 exec, exec, s[0:1]
	s_and_saveexec_b64 s[0:1], s[6:7]
	s_cbranch_execnz .LBB479_34
.LBB479_27:
	s_or_b64 exec, exec, s[0:1]
	s_and_saveexec_b64 s[0:1], s[8:9]
	s_cbranch_execnz .LBB479_35
.LBB479_28:
	s_or_b64 exec, exec, s[0:1]
	s_and_saveexec_b64 s[0:1], s[10:11]
	s_cbranch_execnz .LBB479_36
.LBB479_29:
	s_endpgm
.LBB479_30:
	ds_read_b64 v[14:15], v27
	s_waitcnt lgkmcnt(0)
	global_store_dwordx2 v[12:13], v[14:15], off
	s_or_b64 exec, exec, s[4:5]
	s_and_saveexec_b64 s[4:5], s[0:1]
	s_cbranch_execz .LBB479_24
.LBB479_31:
	s_waitcnt lgkmcnt(2)
	global_store_dwordx2 v[12:13], v[8:9], off offset:1024
	s_or_b64 exec, exec, s[4:5]
	s_and_saveexec_b64 s[0:1], s[2:3]
	s_cbranch_execz .LBB479_25
.LBB479_32:
	s_waitcnt lgkmcnt(2)
	global_store_dwordx2 v[12:13], v[10:11], off offset:2048
	s_or_b64 exec, exec, s[0:1]
	s_and_saveexec_b64 s[0:1], s[12:13]
	s_cbranch_execz .LBB479_26
.LBB479_33:
	s_waitcnt lgkmcnt(1)
	global_store_dwordx2 v[12:13], v[4:5], off offset:3072
	s_or_b64 exec, exec, s[0:1]
	s_and_saveexec_b64 s[0:1], s[6:7]
	s_cbranch_execz .LBB479_27
.LBB479_34:
	s_waitcnt lgkmcnt(1)
	v_add_co_u32_e32 v4, vcc, 0x1000, v12
	v_addc_co_u32_e32 v5, vcc, 0, v13, vcc
	global_store_dwordx2 v[4:5], v[6:7], off
	s_or_b64 exec, exec, s[0:1]
	s_and_saveexec_b64 s[0:1], s[8:9]
	s_cbranch_execz .LBB479_28
.LBB479_35:
	s_waitcnt lgkmcnt(1)
	v_add_co_u32_e32 v4, vcc, 0x1000, v12
	v_addc_co_u32_e32 v5, vcc, 0, v13, vcc
	s_waitcnt lgkmcnt(0)
	global_store_dwordx2 v[4:5], v[0:1], off offset:1024
	s_or_b64 exec, exec, s[0:1]
	s_and_saveexec_b64 s[0:1], s[10:11]
	s_cbranch_execz .LBB479_29
.LBB479_36:
	s_waitcnt lgkmcnt(0)
	v_add_co_u32_e32 v0, vcc, 0x1000, v12
	v_addc_co_u32_e32 v1, vcc, 0, v13, vcc
	global_store_dwordx2 v[0:1], v[2:3], off offset:2048
	s_endpgm
	.section	.rodata,"a",@progbits
	.p2align	6, 0x0
	.amdhsa_kernel _ZN7rocprim17ROCPRIM_400000_NS6detail17trampoline_kernelINS0_14default_configENS1_20scan_config_selectorIxEEZZNS1_9scan_implILNS1_25lookback_scan_determinismE0ELb0ELb1ES3_N6thrust23THRUST_200600_302600_NS6detail15normal_iteratorINS9_10device_ptrIxEEEESE_xNS9_4plusIxEExEEDaPvRmT3_T4_T5_mT6_P12ihipStream_tbENKUlT_T0_E_clISt17integral_constantIbLb0EEST_IbLb1EEEEDaSP_SQ_EUlSP_E0_NS1_11comp_targetILNS1_3genE4ELNS1_11target_archE910ELNS1_3gpuE8ELNS1_3repE0EEENS1_30default_config_static_selectorELNS0_4arch9wavefront6targetE1EEEvT1_
		.amdhsa_group_segment_fixed_size 7168
		.amdhsa_private_segment_fixed_size 0
		.amdhsa_kernarg_size 40
		.amdhsa_user_sgpr_count 6
		.amdhsa_user_sgpr_private_segment_buffer 1
		.amdhsa_user_sgpr_dispatch_ptr 0
		.amdhsa_user_sgpr_queue_ptr 0
		.amdhsa_user_sgpr_kernarg_segment_ptr 1
		.amdhsa_user_sgpr_dispatch_id 0
		.amdhsa_user_sgpr_flat_scratch_init 0
		.amdhsa_user_sgpr_kernarg_preload_length 0
		.amdhsa_user_sgpr_kernarg_preload_offset 0
		.amdhsa_user_sgpr_private_segment_size 0
		.amdhsa_uses_dynamic_stack 0
		.amdhsa_system_sgpr_private_segment_wavefront_offset 0
		.amdhsa_system_sgpr_workgroup_id_x 1
		.amdhsa_system_sgpr_workgroup_id_y 0
		.amdhsa_system_sgpr_workgroup_id_z 0
		.amdhsa_system_sgpr_workgroup_info 0
		.amdhsa_system_vgpr_workitem_id 0
		.amdhsa_next_free_vgpr 39
		.amdhsa_next_free_sgpr 24
		.amdhsa_accum_offset 40
		.amdhsa_reserve_vcc 1
		.amdhsa_reserve_flat_scratch 0
		.amdhsa_float_round_mode_32 0
		.amdhsa_float_round_mode_16_64 0
		.amdhsa_float_denorm_mode_32 3
		.amdhsa_float_denorm_mode_16_64 3
		.amdhsa_dx10_clamp 1
		.amdhsa_ieee_mode 1
		.amdhsa_fp16_overflow 0
		.amdhsa_tg_split 0
		.amdhsa_exception_fp_ieee_invalid_op 0
		.amdhsa_exception_fp_denorm_src 0
		.amdhsa_exception_fp_ieee_div_zero 0
		.amdhsa_exception_fp_ieee_overflow 0
		.amdhsa_exception_fp_ieee_underflow 0
		.amdhsa_exception_fp_ieee_inexact 0
		.amdhsa_exception_int_div_zero 0
	.end_amdhsa_kernel
	.section	.text._ZN7rocprim17ROCPRIM_400000_NS6detail17trampoline_kernelINS0_14default_configENS1_20scan_config_selectorIxEEZZNS1_9scan_implILNS1_25lookback_scan_determinismE0ELb0ELb1ES3_N6thrust23THRUST_200600_302600_NS6detail15normal_iteratorINS9_10device_ptrIxEEEESE_xNS9_4plusIxEExEEDaPvRmT3_T4_T5_mT6_P12ihipStream_tbENKUlT_T0_E_clISt17integral_constantIbLb0EEST_IbLb1EEEEDaSP_SQ_EUlSP_E0_NS1_11comp_targetILNS1_3genE4ELNS1_11target_archE910ELNS1_3gpuE8ELNS1_3repE0EEENS1_30default_config_static_selectorELNS0_4arch9wavefront6targetE1EEEvT1_,"axG",@progbits,_ZN7rocprim17ROCPRIM_400000_NS6detail17trampoline_kernelINS0_14default_configENS1_20scan_config_selectorIxEEZZNS1_9scan_implILNS1_25lookback_scan_determinismE0ELb0ELb1ES3_N6thrust23THRUST_200600_302600_NS6detail15normal_iteratorINS9_10device_ptrIxEEEESE_xNS9_4plusIxEExEEDaPvRmT3_T4_T5_mT6_P12ihipStream_tbENKUlT_T0_E_clISt17integral_constantIbLb0EEST_IbLb1EEEEDaSP_SQ_EUlSP_E0_NS1_11comp_targetILNS1_3genE4ELNS1_11target_archE910ELNS1_3gpuE8ELNS1_3repE0EEENS1_30default_config_static_selectorELNS0_4arch9wavefront6targetE1EEEvT1_,comdat
.Lfunc_end479:
	.size	_ZN7rocprim17ROCPRIM_400000_NS6detail17trampoline_kernelINS0_14default_configENS1_20scan_config_selectorIxEEZZNS1_9scan_implILNS1_25lookback_scan_determinismE0ELb0ELb1ES3_N6thrust23THRUST_200600_302600_NS6detail15normal_iteratorINS9_10device_ptrIxEEEESE_xNS9_4plusIxEExEEDaPvRmT3_T4_T5_mT6_P12ihipStream_tbENKUlT_T0_E_clISt17integral_constantIbLb0EEST_IbLb1EEEEDaSP_SQ_EUlSP_E0_NS1_11comp_targetILNS1_3genE4ELNS1_11target_archE910ELNS1_3gpuE8ELNS1_3repE0EEENS1_30default_config_static_selectorELNS0_4arch9wavefront6targetE1EEEvT1_, .Lfunc_end479-_ZN7rocprim17ROCPRIM_400000_NS6detail17trampoline_kernelINS0_14default_configENS1_20scan_config_selectorIxEEZZNS1_9scan_implILNS1_25lookback_scan_determinismE0ELb0ELb1ES3_N6thrust23THRUST_200600_302600_NS6detail15normal_iteratorINS9_10device_ptrIxEEEESE_xNS9_4plusIxEExEEDaPvRmT3_T4_T5_mT6_P12ihipStream_tbENKUlT_T0_E_clISt17integral_constantIbLb0EEST_IbLb1EEEEDaSP_SQ_EUlSP_E0_NS1_11comp_targetILNS1_3genE4ELNS1_11target_archE910ELNS1_3gpuE8ELNS1_3repE0EEENS1_30default_config_static_selectorELNS0_4arch9wavefront6targetE1EEEvT1_
                                        ; -- End function
	.section	.AMDGPU.csdata,"",@progbits
; Kernel info:
; codeLenInByte = 1884
; NumSgprs: 28
; NumVgprs: 39
; NumAgprs: 0
; TotalNumVgprs: 39
; ScratchSize: 0
; MemoryBound: 0
; FloatMode: 240
; IeeeMode: 1
; LDSByteSize: 7168 bytes/workgroup (compile time only)
; SGPRBlocks: 3
; VGPRBlocks: 4
; NumSGPRsForWavesPerEU: 28
; NumVGPRsForWavesPerEU: 39
; AccumOffset: 40
; Occupancy: 5
; WaveLimiterHint : 0
; COMPUTE_PGM_RSRC2:SCRATCH_EN: 0
; COMPUTE_PGM_RSRC2:USER_SGPR: 6
; COMPUTE_PGM_RSRC2:TRAP_HANDLER: 0
; COMPUTE_PGM_RSRC2:TGID_X_EN: 1
; COMPUTE_PGM_RSRC2:TGID_Y_EN: 0
; COMPUTE_PGM_RSRC2:TGID_Z_EN: 0
; COMPUTE_PGM_RSRC2:TIDIG_COMP_CNT: 0
; COMPUTE_PGM_RSRC3_GFX90A:ACCUM_OFFSET: 9
; COMPUTE_PGM_RSRC3_GFX90A:TG_SPLIT: 0
	.section	.text._ZN7rocprim17ROCPRIM_400000_NS6detail17trampoline_kernelINS0_14default_configENS1_20scan_config_selectorIxEEZZNS1_9scan_implILNS1_25lookback_scan_determinismE0ELb0ELb1ES3_N6thrust23THRUST_200600_302600_NS6detail15normal_iteratorINS9_10device_ptrIxEEEESE_xNS9_4plusIxEExEEDaPvRmT3_T4_T5_mT6_P12ihipStream_tbENKUlT_T0_E_clISt17integral_constantIbLb0EEST_IbLb1EEEEDaSP_SQ_EUlSP_E0_NS1_11comp_targetILNS1_3genE3ELNS1_11target_archE908ELNS1_3gpuE7ELNS1_3repE0EEENS1_30default_config_static_selectorELNS0_4arch9wavefront6targetE1EEEvT1_,"axG",@progbits,_ZN7rocprim17ROCPRIM_400000_NS6detail17trampoline_kernelINS0_14default_configENS1_20scan_config_selectorIxEEZZNS1_9scan_implILNS1_25lookback_scan_determinismE0ELb0ELb1ES3_N6thrust23THRUST_200600_302600_NS6detail15normal_iteratorINS9_10device_ptrIxEEEESE_xNS9_4plusIxEExEEDaPvRmT3_T4_T5_mT6_P12ihipStream_tbENKUlT_T0_E_clISt17integral_constantIbLb0EEST_IbLb1EEEEDaSP_SQ_EUlSP_E0_NS1_11comp_targetILNS1_3genE3ELNS1_11target_archE908ELNS1_3gpuE7ELNS1_3repE0EEENS1_30default_config_static_selectorELNS0_4arch9wavefront6targetE1EEEvT1_,comdat
	.protected	_ZN7rocprim17ROCPRIM_400000_NS6detail17trampoline_kernelINS0_14default_configENS1_20scan_config_selectorIxEEZZNS1_9scan_implILNS1_25lookback_scan_determinismE0ELb0ELb1ES3_N6thrust23THRUST_200600_302600_NS6detail15normal_iteratorINS9_10device_ptrIxEEEESE_xNS9_4plusIxEExEEDaPvRmT3_T4_T5_mT6_P12ihipStream_tbENKUlT_T0_E_clISt17integral_constantIbLb0EEST_IbLb1EEEEDaSP_SQ_EUlSP_E0_NS1_11comp_targetILNS1_3genE3ELNS1_11target_archE908ELNS1_3gpuE7ELNS1_3repE0EEENS1_30default_config_static_selectorELNS0_4arch9wavefront6targetE1EEEvT1_ ; -- Begin function _ZN7rocprim17ROCPRIM_400000_NS6detail17trampoline_kernelINS0_14default_configENS1_20scan_config_selectorIxEEZZNS1_9scan_implILNS1_25lookback_scan_determinismE0ELb0ELb1ES3_N6thrust23THRUST_200600_302600_NS6detail15normal_iteratorINS9_10device_ptrIxEEEESE_xNS9_4plusIxEExEEDaPvRmT3_T4_T5_mT6_P12ihipStream_tbENKUlT_T0_E_clISt17integral_constantIbLb0EEST_IbLb1EEEEDaSP_SQ_EUlSP_E0_NS1_11comp_targetILNS1_3genE3ELNS1_11target_archE908ELNS1_3gpuE7ELNS1_3repE0EEENS1_30default_config_static_selectorELNS0_4arch9wavefront6targetE1EEEvT1_
	.globl	_ZN7rocprim17ROCPRIM_400000_NS6detail17trampoline_kernelINS0_14default_configENS1_20scan_config_selectorIxEEZZNS1_9scan_implILNS1_25lookback_scan_determinismE0ELb0ELb1ES3_N6thrust23THRUST_200600_302600_NS6detail15normal_iteratorINS9_10device_ptrIxEEEESE_xNS9_4plusIxEExEEDaPvRmT3_T4_T5_mT6_P12ihipStream_tbENKUlT_T0_E_clISt17integral_constantIbLb0EEST_IbLb1EEEEDaSP_SQ_EUlSP_E0_NS1_11comp_targetILNS1_3genE3ELNS1_11target_archE908ELNS1_3gpuE7ELNS1_3repE0EEENS1_30default_config_static_selectorELNS0_4arch9wavefront6targetE1EEEvT1_
	.p2align	8
	.type	_ZN7rocprim17ROCPRIM_400000_NS6detail17trampoline_kernelINS0_14default_configENS1_20scan_config_selectorIxEEZZNS1_9scan_implILNS1_25lookback_scan_determinismE0ELb0ELb1ES3_N6thrust23THRUST_200600_302600_NS6detail15normal_iteratorINS9_10device_ptrIxEEEESE_xNS9_4plusIxEExEEDaPvRmT3_T4_T5_mT6_P12ihipStream_tbENKUlT_T0_E_clISt17integral_constantIbLb0EEST_IbLb1EEEEDaSP_SQ_EUlSP_E0_NS1_11comp_targetILNS1_3genE3ELNS1_11target_archE908ELNS1_3gpuE7ELNS1_3repE0EEENS1_30default_config_static_selectorELNS0_4arch9wavefront6targetE1EEEvT1_,@function
_ZN7rocprim17ROCPRIM_400000_NS6detail17trampoline_kernelINS0_14default_configENS1_20scan_config_selectorIxEEZZNS1_9scan_implILNS1_25lookback_scan_determinismE0ELb0ELb1ES3_N6thrust23THRUST_200600_302600_NS6detail15normal_iteratorINS9_10device_ptrIxEEEESE_xNS9_4plusIxEExEEDaPvRmT3_T4_T5_mT6_P12ihipStream_tbENKUlT_T0_E_clISt17integral_constantIbLb0EEST_IbLb1EEEEDaSP_SQ_EUlSP_E0_NS1_11comp_targetILNS1_3genE3ELNS1_11target_archE908ELNS1_3gpuE7ELNS1_3repE0EEENS1_30default_config_static_selectorELNS0_4arch9wavefront6targetE1EEEvT1_: ; @_ZN7rocprim17ROCPRIM_400000_NS6detail17trampoline_kernelINS0_14default_configENS1_20scan_config_selectorIxEEZZNS1_9scan_implILNS1_25lookback_scan_determinismE0ELb0ELb1ES3_N6thrust23THRUST_200600_302600_NS6detail15normal_iteratorINS9_10device_ptrIxEEEESE_xNS9_4plusIxEExEEDaPvRmT3_T4_T5_mT6_P12ihipStream_tbENKUlT_T0_E_clISt17integral_constantIbLb0EEST_IbLb1EEEEDaSP_SQ_EUlSP_E0_NS1_11comp_targetILNS1_3genE3ELNS1_11target_archE908ELNS1_3gpuE7ELNS1_3repE0EEENS1_30default_config_static_selectorELNS0_4arch9wavefront6targetE1EEEvT1_
; %bb.0:
	.section	.rodata,"a",@progbits
	.p2align	6, 0x0
	.amdhsa_kernel _ZN7rocprim17ROCPRIM_400000_NS6detail17trampoline_kernelINS0_14default_configENS1_20scan_config_selectorIxEEZZNS1_9scan_implILNS1_25lookback_scan_determinismE0ELb0ELb1ES3_N6thrust23THRUST_200600_302600_NS6detail15normal_iteratorINS9_10device_ptrIxEEEESE_xNS9_4plusIxEExEEDaPvRmT3_T4_T5_mT6_P12ihipStream_tbENKUlT_T0_E_clISt17integral_constantIbLb0EEST_IbLb1EEEEDaSP_SQ_EUlSP_E0_NS1_11comp_targetILNS1_3genE3ELNS1_11target_archE908ELNS1_3gpuE7ELNS1_3repE0EEENS1_30default_config_static_selectorELNS0_4arch9wavefront6targetE1EEEvT1_
		.amdhsa_group_segment_fixed_size 0
		.amdhsa_private_segment_fixed_size 0
		.amdhsa_kernarg_size 40
		.amdhsa_user_sgpr_count 6
		.amdhsa_user_sgpr_private_segment_buffer 1
		.amdhsa_user_sgpr_dispatch_ptr 0
		.amdhsa_user_sgpr_queue_ptr 0
		.amdhsa_user_sgpr_kernarg_segment_ptr 1
		.amdhsa_user_sgpr_dispatch_id 0
		.amdhsa_user_sgpr_flat_scratch_init 0
		.amdhsa_user_sgpr_kernarg_preload_length 0
		.amdhsa_user_sgpr_kernarg_preload_offset 0
		.amdhsa_user_sgpr_private_segment_size 0
		.amdhsa_uses_dynamic_stack 0
		.amdhsa_system_sgpr_private_segment_wavefront_offset 0
		.amdhsa_system_sgpr_workgroup_id_x 1
		.amdhsa_system_sgpr_workgroup_id_y 0
		.amdhsa_system_sgpr_workgroup_id_z 0
		.amdhsa_system_sgpr_workgroup_info 0
		.amdhsa_system_vgpr_workitem_id 0
		.amdhsa_next_free_vgpr 1
		.amdhsa_next_free_sgpr 0
		.amdhsa_accum_offset 4
		.amdhsa_reserve_vcc 0
		.amdhsa_reserve_flat_scratch 0
		.amdhsa_float_round_mode_32 0
		.amdhsa_float_round_mode_16_64 0
		.amdhsa_float_denorm_mode_32 3
		.amdhsa_float_denorm_mode_16_64 3
		.amdhsa_dx10_clamp 1
		.amdhsa_ieee_mode 1
		.amdhsa_fp16_overflow 0
		.amdhsa_tg_split 0
		.amdhsa_exception_fp_ieee_invalid_op 0
		.amdhsa_exception_fp_denorm_src 0
		.amdhsa_exception_fp_ieee_div_zero 0
		.amdhsa_exception_fp_ieee_overflow 0
		.amdhsa_exception_fp_ieee_underflow 0
		.amdhsa_exception_fp_ieee_inexact 0
		.amdhsa_exception_int_div_zero 0
	.end_amdhsa_kernel
	.section	.text._ZN7rocprim17ROCPRIM_400000_NS6detail17trampoline_kernelINS0_14default_configENS1_20scan_config_selectorIxEEZZNS1_9scan_implILNS1_25lookback_scan_determinismE0ELb0ELb1ES3_N6thrust23THRUST_200600_302600_NS6detail15normal_iteratorINS9_10device_ptrIxEEEESE_xNS9_4plusIxEExEEDaPvRmT3_T4_T5_mT6_P12ihipStream_tbENKUlT_T0_E_clISt17integral_constantIbLb0EEST_IbLb1EEEEDaSP_SQ_EUlSP_E0_NS1_11comp_targetILNS1_3genE3ELNS1_11target_archE908ELNS1_3gpuE7ELNS1_3repE0EEENS1_30default_config_static_selectorELNS0_4arch9wavefront6targetE1EEEvT1_,"axG",@progbits,_ZN7rocprim17ROCPRIM_400000_NS6detail17trampoline_kernelINS0_14default_configENS1_20scan_config_selectorIxEEZZNS1_9scan_implILNS1_25lookback_scan_determinismE0ELb0ELb1ES3_N6thrust23THRUST_200600_302600_NS6detail15normal_iteratorINS9_10device_ptrIxEEEESE_xNS9_4plusIxEExEEDaPvRmT3_T4_T5_mT6_P12ihipStream_tbENKUlT_T0_E_clISt17integral_constantIbLb0EEST_IbLb1EEEEDaSP_SQ_EUlSP_E0_NS1_11comp_targetILNS1_3genE3ELNS1_11target_archE908ELNS1_3gpuE7ELNS1_3repE0EEENS1_30default_config_static_selectorELNS0_4arch9wavefront6targetE1EEEvT1_,comdat
.Lfunc_end480:
	.size	_ZN7rocprim17ROCPRIM_400000_NS6detail17trampoline_kernelINS0_14default_configENS1_20scan_config_selectorIxEEZZNS1_9scan_implILNS1_25lookback_scan_determinismE0ELb0ELb1ES3_N6thrust23THRUST_200600_302600_NS6detail15normal_iteratorINS9_10device_ptrIxEEEESE_xNS9_4plusIxEExEEDaPvRmT3_T4_T5_mT6_P12ihipStream_tbENKUlT_T0_E_clISt17integral_constantIbLb0EEST_IbLb1EEEEDaSP_SQ_EUlSP_E0_NS1_11comp_targetILNS1_3genE3ELNS1_11target_archE908ELNS1_3gpuE7ELNS1_3repE0EEENS1_30default_config_static_selectorELNS0_4arch9wavefront6targetE1EEEvT1_, .Lfunc_end480-_ZN7rocprim17ROCPRIM_400000_NS6detail17trampoline_kernelINS0_14default_configENS1_20scan_config_selectorIxEEZZNS1_9scan_implILNS1_25lookback_scan_determinismE0ELb0ELb1ES3_N6thrust23THRUST_200600_302600_NS6detail15normal_iteratorINS9_10device_ptrIxEEEESE_xNS9_4plusIxEExEEDaPvRmT3_T4_T5_mT6_P12ihipStream_tbENKUlT_T0_E_clISt17integral_constantIbLb0EEST_IbLb1EEEEDaSP_SQ_EUlSP_E0_NS1_11comp_targetILNS1_3genE3ELNS1_11target_archE908ELNS1_3gpuE7ELNS1_3repE0EEENS1_30default_config_static_selectorELNS0_4arch9wavefront6targetE1EEEvT1_
                                        ; -- End function
	.section	.AMDGPU.csdata,"",@progbits
; Kernel info:
; codeLenInByte = 0
; NumSgprs: 4
; NumVgprs: 0
; NumAgprs: 0
; TotalNumVgprs: 0
; ScratchSize: 0
; MemoryBound: 0
; FloatMode: 240
; IeeeMode: 1
; LDSByteSize: 0 bytes/workgroup (compile time only)
; SGPRBlocks: 0
; VGPRBlocks: 0
; NumSGPRsForWavesPerEU: 4
; NumVGPRsForWavesPerEU: 1
; AccumOffset: 4
; Occupancy: 8
; WaveLimiterHint : 0
; COMPUTE_PGM_RSRC2:SCRATCH_EN: 0
; COMPUTE_PGM_RSRC2:USER_SGPR: 6
; COMPUTE_PGM_RSRC2:TRAP_HANDLER: 0
; COMPUTE_PGM_RSRC2:TGID_X_EN: 1
; COMPUTE_PGM_RSRC2:TGID_Y_EN: 0
; COMPUTE_PGM_RSRC2:TGID_Z_EN: 0
; COMPUTE_PGM_RSRC2:TIDIG_COMP_CNT: 0
; COMPUTE_PGM_RSRC3_GFX90A:ACCUM_OFFSET: 0
; COMPUTE_PGM_RSRC3_GFX90A:TG_SPLIT: 0
	.section	.text._ZN7rocprim17ROCPRIM_400000_NS6detail17trampoline_kernelINS0_14default_configENS1_20scan_config_selectorIxEEZZNS1_9scan_implILNS1_25lookback_scan_determinismE0ELb0ELb1ES3_N6thrust23THRUST_200600_302600_NS6detail15normal_iteratorINS9_10device_ptrIxEEEESE_xNS9_4plusIxEExEEDaPvRmT3_T4_T5_mT6_P12ihipStream_tbENKUlT_T0_E_clISt17integral_constantIbLb0EEST_IbLb1EEEEDaSP_SQ_EUlSP_E0_NS1_11comp_targetILNS1_3genE2ELNS1_11target_archE906ELNS1_3gpuE6ELNS1_3repE0EEENS1_30default_config_static_selectorELNS0_4arch9wavefront6targetE1EEEvT1_,"axG",@progbits,_ZN7rocprim17ROCPRIM_400000_NS6detail17trampoline_kernelINS0_14default_configENS1_20scan_config_selectorIxEEZZNS1_9scan_implILNS1_25lookback_scan_determinismE0ELb0ELb1ES3_N6thrust23THRUST_200600_302600_NS6detail15normal_iteratorINS9_10device_ptrIxEEEESE_xNS9_4plusIxEExEEDaPvRmT3_T4_T5_mT6_P12ihipStream_tbENKUlT_T0_E_clISt17integral_constantIbLb0EEST_IbLb1EEEEDaSP_SQ_EUlSP_E0_NS1_11comp_targetILNS1_3genE2ELNS1_11target_archE906ELNS1_3gpuE6ELNS1_3repE0EEENS1_30default_config_static_selectorELNS0_4arch9wavefront6targetE1EEEvT1_,comdat
	.protected	_ZN7rocprim17ROCPRIM_400000_NS6detail17trampoline_kernelINS0_14default_configENS1_20scan_config_selectorIxEEZZNS1_9scan_implILNS1_25lookback_scan_determinismE0ELb0ELb1ES3_N6thrust23THRUST_200600_302600_NS6detail15normal_iteratorINS9_10device_ptrIxEEEESE_xNS9_4plusIxEExEEDaPvRmT3_T4_T5_mT6_P12ihipStream_tbENKUlT_T0_E_clISt17integral_constantIbLb0EEST_IbLb1EEEEDaSP_SQ_EUlSP_E0_NS1_11comp_targetILNS1_3genE2ELNS1_11target_archE906ELNS1_3gpuE6ELNS1_3repE0EEENS1_30default_config_static_selectorELNS0_4arch9wavefront6targetE1EEEvT1_ ; -- Begin function _ZN7rocprim17ROCPRIM_400000_NS6detail17trampoline_kernelINS0_14default_configENS1_20scan_config_selectorIxEEZZNS1_9scan_implILNS1_25lookback_scan_determinismE0ELb0ELb1ES3_N6thrust23THRUST_200600_302600_NS6detail15normal_iteratorINS9_10device_ptrIxEEEESE_xNS9_4plusIxEExEEDaPvRmT3_T4_T5_mT6_P12ihipStream_tbENKUlT_T0_E_clISt17integral_constantIbLb0EEST_IbLb1EEEEDaSP_SQ_EUlSP_E0_NS1_11comp_targetILNS1_3genE2ELNS1_11target_archE906ELNS1_3gpuE6ELNS1_3repE0EEENS1_30default_config_static_selectorELNS0_4arch9wavefront6targetE1EEEvT1_
	.globl	_ZN7rocprim17ROCPRIM_400000_NS6detail17trampoline_kernelINS0_14default_configENS1_20scan_config_selectorIxEEZZNS1_9scan_implILNS1_25lookback_scan_determinismE0ELb0ELb1ES3_N6thrust23THRUST_200600_302600_NS6detail15normal_iteratorINS9_10device_ptrIxEEEESE_xNS9_4plusIxEExEEDaPvRmT3_T4_T5_mT6_P12ihipStream_tbENKUlT_T0_E_clISt17integral_constantIbLb0EEST_IbLb1EEEEDaSP_SQ_EUlSP_E0_NS1_11comp_targetILNS1_3genE2ELNS1_11target_archE906ELNS1_3gpuE6ELNS1_3repE0EEENS1_30default_config_static_selectorELNS0_4arch9wavefront6targetE1EEEvT1_
	.p2align	8
	.type	_ZN7rocprim17ROCPRIM_400000_NS6detail17trampoline_kernelINS0_14default_configENS1_20scan_config_selectorIxEEZZNS1_9scan_implILNS1_25lookback_scan_determinismE0ELb0ELb1ES3_N6thrust23THRUST_200600_302600_NS6detail15normal_iteratorINS9_10device_ptrIxEEEESE_xNS9_4plusIxEExEEDaPvRmT3_T4_T5_mT6_P12ihipStream_tbENKUlT_T0_E_clISt17integral_constantIbLb0EEST_IbLb1EEEEDaSP_SQ_EUlSP_E0_NS1_11comp_targetILNS1_3genE2ELNS1_11target_archE906ELNS1_3gpuE6ELNS1_3repE0EEENS1_30default_config_static_selectorELNS0_4arch9wavefront6targetE1EEEvT1_,@function
_ZN7rocprim17ROCPRIM_400000_NS6detail17trampoline_kernelINS0_14default_configENS1_20scan_config_selectorIxEEZZNS1_9scan_implILNS1_25lookback_scan_determinismE0ELb0ELb1ES3_N6thrust23THRUST_200600_302600_NS6detail15normal_iteratorINS9_10device_ptrIxEEEESE_xNS9_4plusIxEExEEDaPvRmT3_T4_T5_mT6_P12ihipStream_tbENKUlT_T0_E_clISt17integral_constantIbLb0EEST_IbLb1EEEEDaSP_SQ_EUlSP_E0_NS1_11comp_targetILNS1_3genE2ELNS1_11target_archE906ELNS1_3gpuE6ELNS1_3repE0EEENS1_30default_config_static_selectorELNS0_4arch9wavefront6targetE1EEEvT1_: ; @_ZN7rocprim17ROCPRIM_400000_NS6detail17trampoline_kernelINS0_14default_configENS1_20scan_config_selectorIxEEZZNS1_9scan_implILNS1_25lookback_scan_determinismE0ELb0ELb1ES3_N6thrust23THRUST_200600_302600_NS6detail15normal_iteratorINS9_10device_ptrIxEEEESE_xNS9_4plusIxEExEEDaPvRmT3_T4_T5_mT6_P12ihipStream_tbENKUlT_T0_E_clISt17integral_constantIbLb0EEST_IbLb1EEEEDaSP_SQ_EUlSP_E0_NS1_11comp_targetILNS1_3genE2ELNS1_11target_archE906ELNS1_3gpuE6ELNS1_3repE0EEENS1_30default_config_static_selectorELNS0_4arch9wavefront6targetE1EEEvT1_
; %bb.0:
	.section	.rodata,"a",@progbits
	.p2align	6, 0x0
	.amdhsa_kernel _ZN7rocprim17ROCPRIM_400000_NS6detail17trampoline_kernelINS0_14default_configENS1_20scan_config_selectorIxEEZZNS1_9scan_implILNS1_25lookback_scan_determinismE0ELb0ELb1ES3_N6thrust23THRUST_200600_302600_NS6detail15normal_iteratorINS9_10device_ptrIxEEEESE_xNS9_4plusIxEExEEDaPvRmT3_T4_T5_mT6_P12ihipStream_tbENKUlT_T0_E_clISt17integral_constantIbLb0EEST_IbLb1EEEEDaSP_SQ_EUlSP_E0_NS1_11comp_targetILNS1_3genE2ELNS1_11target_archE906ELNS1_3gpuE6ELNS1_3repE0EEENS1_30default_config_static_selectorELNS0_4arch9wavefront6targetE1EEEvT1_
		.amdhsa_group_segment_fixed_size 0
		.amdhsa_private_segment_fixed_size 0
		.amdhsa_kernarg_size 40
		.amdhsa_user_sgpr_count 6
		.amdhsa_user_sgpr_private_segment_buffer 1
		.amdhsa_user_sgpr_dispatch_ptr 0
		.amdhsa_user_sgpr_queue_ptr 0
		.amdhsa_user_sgpr_kernarg_segment_ptr 1
		.amdhsa_user_sgpr_dispatch_id 0
		.amdhsa_user_sgpr_flat_scratch_init 0
		.amdhsa_user_sgpr_kernarg_preload_length 0
		.amdhsa_user_sgpr_kernarg_preload_offset 0
		.amdhsa_user_sgpr_private_segment_size 0
		.amdhsa_uses_dynamic_stack 0
		.amdhsa_system_sgpr_private_segment_wavefront_offset 0
		.amdhsa_system_sgpr_workgroup_id_x 1
		.amdhsa_system_sgpr_workgroup_id_y 0
		.amdhsa_system_sgpr_workgroup_id_z 0
		.amdhsa_system_sgpr_workgroup_info 0
		.amdhsa_system_vgpr_workitem_id 0
		.amdhsa_next_free_vgpr 1
		.amdhsa_next_free_sgpr 0
		.amdhsa_accum_offset 4
		.amdhsa_reserve_vcc 0
		.amdhsa_reserve_flat_scratch 0
		.amdhsa_float_round_mode_32 0
		.amdhsa_float_round_mode_16_64 0
		.amdhsa_float_denorm_mode_32 3
		.amdhsa_float_denorm_mode_16_64 3
		.amdhsa_dx10_clamp 1
		.amdhsa_ieee_mode 1
		.amdhsa_fp16_overflow 0
		.amdhsa_tg_split 0
		.amdhsa_exception_fp_ieee_invalid_op 0
		.amdhsa_exception_fp_denorm_src 0
		.amdhsa_exception_fp_ieee_div_zero 0
		.amdhsa_exception_fp_ieee_overflow 0
		.amdhsa_exception_fp_ieee_underflow 0
		.amdhsa_exception_fp_ieee_inexact 0
		.amdhsa_exception_int_div_zero 0
	.end_amdhsa_kernel
	.section	.text._ZN7rocprim17ROCPRIM_400000_NS6detail17trampoline_kernelINS0_14default_configENS1_20scan_config_selectorIxEEZZNS1_9scan_implILNS1_25lookback_scan_determinismE0ELb0ELb1ES3_N6thrust23THRUST_200600_302600_NS6detail15normal_iteratorINS9_10device_ptrIxEEEESE_xNS9_4plusIxEExEEDaPvRmT3_T4_T5_mT6_P12ihipStream_tbENKUlT_T0_E_clISt17integral_constantIbLb0EEST_IbLb1EEEEDaSP_SQ_EUlSP_E0_NS1_11comp_targetILNS1_3genE2ELNS1_11target_archE906ELNS1_3gpuE6ELNS1_3repE0EEENS1_30default_config_static_selectorELNS0_4arch9wavefront6targetE1EEEvT1_,"axG",@progbits,_ZN7rocprim17ROCPRIM_400000_NS6detail17trampoline_kernelINS0_14default_configENS1_20scan_config_selectorIxEEZZNS1_9scan_implILNS1_25lookback_scan_determinismE0ELb0ELb1ES3_N6thrust23THRUST_200600_302600_NS6detail15normal_iteratorINS9_10device_ptrIxEEEESE_xNS9_4plusIxEExEEDaPvRmT3_T4_T5_mT6_P12ihipStream_tbENKUlT_T0_E_clISt17integral_constantIbLb0EEST_IbLb1EEEEDaSP_SQ_EUlSP_E0_NS1_11comp_targetILNS1_3genE2ELNS1_11target_archE906ELNS1_3gpuE6ELNS1_3repE0EEENS1_30default_config_static_selectorELNS0_4arch9wavefront6targetE1EEEvT1_,comdat
.Lfunc_end481:
	.size	_ZN7rocprim17ROCPRIM_400000_NS6detail17trampoline_kernelINS0_14default_configENS1_20scan_config_selectorIxEEZZNS1_9scan_implILNS1_25lookback_scan_determinismE0ELb0ELb1ES3_N6thrust23THRUST_200600_302600_NS6detail15normal_iteratorINS9_10device_ptrIxEEEESE_xNS9_4plusIxEExEEDaPvRmT3_T4_T5_mT6_P12ihipStream_tbENKUlT_T0_E_clISt17integral_constantIbLb0EEST_IbLb1EEEEDaSP_SQ_EUlSP_E0_NS1_11comp_targetILNS1_3genE2ELNS1_11target_archE906ELNS1_3gpuE6ELNS1_3repE0EEENS1_30default_config_static_selectorELNS0_4arch9wavefront6targetE1EEEvT1_, .Lfunc_end481-_ZN7rocprim17ROCPRIM_400000_NS6detail17trampoline_kernelINS0_14default_configENS1_20scan_config_selectorIxEEZZNS1_9scan_implILNS1_25lookback_scan_determinismE0ELb0ELb1ES3_N6thrust23THRUST_200600_302600_NS6detail15normal_iteratorINS9_10device_ptrIxEEEESE_xNS9_4plusIxEExEEDaPvRmT3_T4_T5_mT6_P12ihipStream_tbENKUlT_T0_E_clISt17integral_constantIbLb0EEST_IbLb1EEEEDaSP_SQ_EUlSP_E0_NS1_11comp_targetILNS1_3genE2ELNS1_11target_archE906ELNS1_3gpuE6ELNS1_3repE0EEENS1_30default_config_static_selectorELNS0_4arch9wavefront6targetE1EEEvT1_
                                        ; -- End function
	.section	.AMDGPU.csdata,"",@progbits
; Kernel info:
; codeLenInByte = 0
; NumSgprs: 4
; NumVgprs: 0
; NumAgprs: 0
; TotalNumVgprs: 0
; ScratchSize: 0
; MemoryBound: 0
; FloatMode: 240
; IeeeMode: 1
; LDSByteSize: 0 bytes/workgroup (compile time only)
; SGPRBlocks: 0
; VGPRBlocks: 0
; NumSGPRsForWavesPerEU: 4
; NumVGPRsForWavesPerEU: 1
; AccumOffset: 4
; Occupancy: 8
; WaveLimiterHint : 0
; COMPUTE_PGM_RSRC2:SCRATCH_EN: 0
; COMPUTE_PGM_RSRC2:USER_SGPR: 6
; COMPUTE_PGM_RSRC2:TRAP_HANDLER: 0
; COMPUTE_PGM_RSRC2:TGID_X_EN: 1
; COMPUTE_PGM_RSRC2:TGID_Y_EN: 0
; COMPUTE_PGM_RSRC2:TGID_Z_EN: 0
; COMPUTE_PGM_RSRC2:TIDIG_COMP_CNT: 0
; COMPUTE_PGM_RSRC3_GFX90A:ACCUM_OFFSET: 0
; COMPUTE_PGM_RSRC3_GFX90A:TG_SPLIT: 0
	.section	.text._ZN7rocprim17ROCPRIM_400000_NS6detail17trampoline_kernelINS0_14default_configENS1_20scan_config_selectorIxEEZZNS1_9scan_implILNS1_25lookback_scan_determinismE0ELb0ELb1ES3_N6thrust23THRUST_200600_302600_NS6detail15normal_iteratorINS9_10device_ptrIxEEEESE_xNS9_4plusIxEExEEDaPvRmT3_T4_T5_mT6_P12ihipStream_tbENKUlT_T0_E_clISt17integral_constantIbLb0EEST_IbLb1EEEEDaSP_SQ_EUlSP_E0_NS1_11comp_targetILNS1_3genE10ELNS1_11target_archE1201ELNS1_3gpuE5ELNS1_3repE0EEENS1_30default_config_static_selectorELNS0_4arch9wavefront6targetE1EEEvT1_,"axG",@progbits,_ZN7rocprim17ROCPRIM_400000_NS6detail17trampoline_kernelINS0_14default_configENS1_20scan_config_selectorIxEEZZNS1_9scan_implILNS1_25lookback_scan_determinismE0ELb0ELb1ES3_N6thrust23THRUST_200600_302600_NS6detail15normal_iteratorINS9_10device_ptrIxEEEESE_xNS9_4plusIxEExEEDaPvRmT3_T4_T5_mT6_P12ihipStream_tbENKUlT_T0_E_clISt17integral_constantIbLb0EEST_IbLb1EEEEDaSP_SQ_EUlSP_E0_NS1_11comp_targetILNS1_3genE10ELNS1_11target_archE1201ELNS1_3gpuE5ELNS1_3repE0EEENS1_30default_config_static_selectorELNS0_4arch9wavefront6targetE1EEEvT1_,comdat
	.protected	_ZN7rocprim17ROCPRIM_400000_NS6detail17trampoline_kernelINS0_14default_configENS1_20scan_config_selectorIxEEZZNS1_9scan_implILNS1_25lookback_scan_determinismE0ELb0ELb1ES3_N6thrust23THRUST_200600_302600_NS6detail15normal_iteratorINS9_10device_ptrIxEEEESE_xNS9_4plusIxEExEEDaPvRmT3_T4_T5_mT6_P12ihipStream_tbENKUlT_T0_E_clISt17integral_constantIbLb0EEST_IbLb1EEEEDaSP_SQ_EUlSP_E0_NS1_11comp_targetILNS1_3genE10ELNS1_11target_archE1201ELNS1_3gpuE5ELNS1_3repE0EEENS1_30default_config_static_selectorELNS0_4arch9wavefront6targetE1EEEvT1_ ; -- Begin function _ZN7rocprim17ROCPRIM_400000_NS6detail17trampoline_kernelINS0_14default_configENS1_20scan_config_selectorIxEEZZNS1_9scan_implILNS1_25lookback_scan_determinismE0ELb0ELb1ES3_N6thrust23THRUST_200600_302600_NS6detail15normal_iteratorINS9_10device_ptrIxEEEESE_xNS9_4plusIxEExEEDaPvRmT3_T4_T5_mT6_P12ihipStream_tbENKUlT_T0_E_clISt17integral_constantIbLb0EEST_IbLb1EEEEDaSP_SQ_EUlSP_E0_NS1_11comp_targetILNS1_3genE10ELNS1_11target_archE1201ELNS1_3gpuE5ELNS1_3repE0EEENS1_30default_config_static_selectorELNS0_4arch9wavefront6targetE1EEEvT1_
	.globl	_ZN7rocprim17ROCPRIM_400000_NS6detail17trampoline_kernelINS0_14default_configENS1_20scan_config_selectorIxEEZZNS1_9scan_implILNS1_25lookback_scan_determinismE0ELb0ELb1ES3_N6thrust23THRUST_200600_302600_NS6detail15normal_iteratorINS9_10device_ptrIxEEEESE_xNS9_4plusIxEExEEDaPvRmT3_T4_T5_mT6_P12ihipStream_tbENKUlT_T0_E_clISt17integral_constantIbLb0EEST_IbLb1EEEEDaSP_SQ_EUlSP_E0_NS1_11comp_targetILNS1_3genE10ELNS1_11target_archE1201ELNS1_3gpuE5ELNS1_3repE0EEENS1_30default_config_static_selectorELNS0_4arch9wavefront6targetE1EEEvT1_
	.p2align	8
	.type	_ZN7rocprim17ROCPRIM_400000_NS6detail17trampoline_kernelINS0_14default_configENS1_20scan_config_selectorIxEEZZNS1_9scan_implILNS1_25lookback_scan_determinismE0ELb0ELb1ES3_N6thrust23THRUST_200600_302600_NS6detail15normal_iteratorINS9_10device_ptrIxEEEESE_xNS9_4plusIxEExEEDaPvRmT3_T4_T5_mT6_P12ihipStream_tbENKUlT_T0_E_clISt17integral_constantIbLb0EEST_IbLb1EEEEDaSP_SQ_EUlSP_E0_NS1_11comp_targetILNS1_3genE10ELNS1_11target_archE1201ELNS1_3gpuE5ELNS1_3repE0EEENS1_30default_config_static_selectorELNS0_4arch9wavefront6targetE1EEEvT1_,@function
_ZN7rocprim17ROCPRIM_400000_NS6detail17trampoline_kernelINS0_14default_configENS1_20scan_config_selectorIxEEZZNS1_9scan_implILNS1_25lookback_scan_determinismE0ELb0ELb1ES3_N6thrust23THRUST_200600_302600_NS6detail15normal_iteratorINS9_10device_ptrIxEEEESE_xNS9_4plusIxEExEEDaPvRmT3_T4_T5_mT6_P12ihipStream_tbENKUlT_T0_E_clISt17integral_constantIbLb0EEST_IbLb1EEEEDaSP_SQ_EUlSP_E0_NS1_11comp_targetILNS1_3genE10ELNS1_11target_archE1201ELNS1_3gpuE5ELNS1_3repE0EEENS1_30default_config_static_selectorELNS0_4arch9wavefront6targetE1EEEvT1_: ; @_ZN7rocprim17ROCPRIM_400000_NS6detail17trampoline_kernelINS0_14default_configENS1_20scan_config_selectorIxEEZZNS1_9scan_implILNS1_25lookback_scan_determinismE0ELb0ELb1ES3_N6thrust23THRUST_200600_302600_NS6detail15normal_iteratorINS9_10device_ptrIxEEEESE_xNS9_4plusIxEExEEDaPvRmT3_T4_T5_mT6_P12ihipStream_tbENKUlT_T0_E_clISt17integral_constantIbLb0EEST_IbLb1EEEEDaSP_SQ_EUlSP_E0_NS1_11comp_targetILNS1_3genE10ELNS1_11target_archE1201ELNS1_3gpuE5ELNS1_3repE0EEENS1_30default_config_static_selectorELNS0_4arch9wavefront6targetE1EEEvT1_
; %bb.0:
	.section	.rodata,"a",@progbits
	.p2align	6, 0x0
	.amdhsa_kernel _ZN7rocprim17ROCPRIM_400000_NS6detail17trampoline_kernelINS0_14default_configENS1_20scan_config_selectorIxEEZZNS1_9scan_implILNS1_25lookback_scan_determinismE0ELb0ELb1ES3_N6thrust23THRUST_200600_302600_NS6detail15normal_iteratorINS9_10device_ptrIxEEEESE_xNS9_4plusIxEExEEDaPvRmT3_T4_T5_mT6_P12ihipStream_tbENKUlT_T0_E_clISt17integral_constantIbLb0EEST_IbLb1EEEEDaSP_SQ_EUlSP_E0_NS1_11comp_targetILNS1_3genE10ELNS1_11target_archE1201ELNS1_3gpuE5ELNS1_3repE0EEENS1_30default_config_static_selectorELNS0_4arch9wavefront6targetE1EEEvT1_
		.amdhsa_group_segment_fixed_size 0
		.amdhsa_private_segment_fixed_size 0
		.amdhsa_kernarg_size 40
		.amdhsa_user_sgpr_count 6
		.amdhsa_user_sgpr_private_segment_buffer 1
		.amdhsa_user_sgpr_dispatch_ptr 0
		.amdhsa_user_sgpr_queue_ptr 0
		.amdhsa_user_sgpr_kernarg_segment_ptr 1
		.amdhsa_user_sgpr_dispatch_id 0
		.amdhsa_user_sgpr_flat_scratch_init 0
		.amdhsa_user_sgpr_kernarg_preload_length 0
		.amdhsa_user_sgpr_kernarg_preload_offset 0
		.amdhsa_user_sgpr_private_segment_size 0
		.amdhsa_uses_dynamic_stack 0
		.amdhsa_system_sgpr_private_segment_wavefront_offset 0
		.amdhsa_system_sgpr_workgroup_id_x 1
		.amdhsa_system_sgpr_workgroup_id_y 0
		.amdhsa_system_sgpr_workgroup_id_z 0
		.amdhsa_system_sgpr_workgroup_info 0
		.amdhsa_system_vgpr_workitem_id 0
		.amdhsa_next_free_vgpr 1
		.amdhsa_next_free_sgpr 0
		.amdhsa_accum_offset 4
		.amdhsa_reserve_vcc 0
		.amdhsa_reserve_flat_scratch 0
		.amdhsa_float_round_mode_32 0
		.amdhsa_float_round_mode_16_64 0
		.amdhsa_float_denorm_mode_32 3
		.amdhsa_float_denorm_mode_16_64 3
		.amdhsa_dx10_clamp 1
		.amdhsa_ieee_mode 1
		.amdhsa_fp16_overflow 0
		.amdhsa_tg_split 0
		.amdhsa_exception_fp_ieee_invalid_op 0
		.amdhsa_exception_fp_denorm_src 0
		.amdhsa_exception_fp_ieee_div_zero 0
		.amdhsa_exception_fp_ieee_overflow 0
		.amdhsa_exception_fp_ieee_underflow 0
		.amdhsa_exception_fp_ieee_inexact 0
		.amdhsa_exception_int_div_zero 0
	.end_amdhsa_kernel
	.section	.text._ZN7rocprim17ROCPRIM_400000_NS6detail17trampoline_kernelINS0_14default_configENS1_20scan_config_selectorIxEEZZNS1_9scan_implILNS1_25lookback_scan_determinismE0ELb0ELb1ES3_N6thrust23THRUST_200600_302600_NS6detail15normal_iteratorINS9_10device_ptrIxEEEESE_xNS9_4plusIxEExEEDaPvRmT3_T4_T5_mT6_P12ihipStream_tbENKUlT_T0_E_clISt17integral_constantIbLb0EEST_IbLb1EEEEDaSP_SQ_EUlSP_E0_NS1_11comp_targetILNS1_3genE10ELNS1_11target_archE1201ELNS1_3gpuE5ELNS1_3repE0EEENS1_30default_config_static_selectorELNS0_4arch9wavefront6targetE1EEEvT1_,"axG",@progbits,_ZN7rocprim17ROCPRIM_400000_NS6detail17trampoline_kernelINS0_14default_configENS1_20scan_config_selectorIxEEZZNS1_9scan_implILNS1_25lookback_scan_determinismE0ELb0ELb1ES3_N6thrust23THRUST_200600_302600_NS6detail15normal_iteratorINS9_10device_ptrIxEEEESE_xNS9_4plusIxEExEEDaPvRmT3_T4_T5_mT6_P12ihipStream_tbENKUlT_T0_E_clISt17integral_constantIbLb0EEST_IbLb1EEEEDaSP_SQ_EUlSP_E0_NS1_11comp_targetILNS1_3genE10ELNS1_11target_archE1201ELNS1_3gpuE5ELNS1_3repE0EEENS1_30default_config_static_selectorELNS0_4arch9wavefront6targetE1EEEvT1_,comdat
.Lfunc_end482:
	.size	_ZN7rocprim17ROCPRIM_400000_NS6detail17trampoline_kernelINS0_14default_configENS1_20scan_config_selectorIxEEZZNS1_9scan_implILNS1_25lookback_scan_determinismE0ELb0ELb1ES3_N6thrust23THRUST_200600_302600_NS6detail15normal_iteratorINS9_10device_ptrIxEEEESE_xNS9_4plusIxEExEEDaPvRmT3_T4_T5_mT6_P12ihipStream_tbENKUlT_T0_E_clISt17integral_constantIbLb0EEST_IbLb1EEEEDaSP_SQ_EUlSP_E0_NS1_11comp_targetILNS1_3genE10ELNS1_11target_archE1201ELNS1_3gpuE5ELNS1_3repE0EEENS1_30default_config_static_selectorELNS0_4arch9wavefront6targetE1EEEvT1_, .Lfunc_end482-_ZN7rocprim17ROCPRIM_400000_NS6detail17trampoline_kernelINS0_14default_configENS1_20scan_config_selectorIxEEZZNS1_9scan_implILNS1_25lookback_scan_determinismE0ELb0ELb1ES3_N6thrust23THRUST_200600_302600_NS6detail15normal_iteratorINS9_10device_ptrIxEEEESE_xNS9_4plusIxEExEEDaPvRmT3_T4_T5_mT6_P12ihipStream_tbENKUlT_T0_E_clISt17integral_constantIbLb0EEST_IbLb1EEEEDaSP_SQ_EUlSP_E0_NS1_11comp_targetILNS1_3genE10ELNS1_11target_archE1201ELNS1_3gpuE5ELNS1_3repE0EEENS1_30default_config_static_selectorELNS0_4arch9wavefront6targetE1EEEvT1_
                                        ; -- End function
	.section	.AMDGPU.csdata,"",@progbits
; Kernel info:
; codeLenInByte = 0
; NumSgprs: 4
; NumVgprs: 0
; NumAgprs: 0
; TotalNumVgprs: 0
; ScratchSize: 0
; MemoryBound: 0
; FloatMode: 240
; IeeeMode: 1
; LDSByteSize: 0 bytes/workgroup (compile time only)
; SGPRBlocks: 0
; VGPRBlocks: 0
; NumSGPRsForWavesPerEU: 4
; NumVGPRsForWavesPerEU: 1
; AccumOffset: 4
; Occupancy: 8
; WaveLimiterHint : 0
; COMPUTE_PGM_RSRC2:SCRATCH_EN: 0
; COMPUTE_PGM_RSRC2:USER_SGPR: 6
; COMPUTE_PGM_RSRC2:TRAP_HANDLER: 0
; COMPUTE_PGM_RSRC2:TGID_X_EN: 1
; COMPUTE_PGM_RSRC2:TGID_Y_EN: 0
; COMPUTE_PGM_RSRC2:TGID_Z_EN: 0
; COMPUTE_PGM_RSRC2:TIDIG_COMP_CNT: 0
; COMPUTE_PGM_RSRC3_GFX90A:ACCUM_OFFSET: 0
; COMPUTE_PGM_RSRC3_GFX90A:TG_SPLIT: 0
	.section	.text._ZN7rocprim17ROCPRIM_400000_NS6detail17trampoline_kernelINS0_14default_configENS1_20scan_config_selectorIxEEZZNS1_9scan_implILNS1_25lookback_scan_determinismE0ELb0ELb1ES3_N6thrust23THRUST_200600_302600_NS6detail15normal_iteratorINS9_10device_ptrIxEEEESE_xNS9_4plusIxEExEEDaPvRmT3_T4_T5_mT6_P12ihipStream_tbENKUlT_T0_E_clISt17integral_constantIbLb0EEST_IbLb1EEEEDaSP_SQ_EUlSP_E0_NS1_11comp_targetILNS1_3genE10ELNS1_11target_archE1200ELNS1_3gpuE4ELNS1_3repE0EEENS1_30default_config_static_selectorELNS0_4arch9wavefront6targetE1EEEvT1_,"axG",@progbits,_ZN7rocprim17ROCPRIM_400000_NS6detail17trampoline_kernelINS0_14default_configENS1_20scan_config_selectorIxEEZZNS1_9scan_implILNS1_25lookback_scan_determinismE0ELb0ELb1ES3_N6thrust23THRUST_200600_302600_NS6detail15normal_iteratorINS9_10device_ptrIxEEEESE_xNS9_4plusIxEExEEDaPvRmT3_T4_T5_mT6_P12ihipStream_tbENKUlT_T0_E_clISt17integral_constantIbLb0EEST_IbLb1EEEEDaSP_SQ_EUlSP_E0_NS1_11comp_targetILNS1_3genE10ELNS1_11target_archE1200ELNS1_3gpuE4ELNS1_3repE0EEENS1_30default_config_static_selectorELNS0_4arch9wavefront6targetE1EEEvT1_,comdat
	.protected	_ZN7rocprim17ROCPRIM_400000_NS6detail17trampoline_kernelINS0_14default_configENS1_20scan_config_selectorIxEEZZNS1_9scan_implILNS1_25lookback_scan_determinismE0ELb0ELb1ES3_N6thrust23THRUST_200600_302600_NS6detail15normal_iteratorINS9_10device_ptrIxEEEESE_xNS9_4plusIxEExEEDaPvRmT3_T4_T5_mT6_P12ihipStream_tbENKUlT_T0_E_clISt17integral_constantIbLb0EEST_IbLb1EEEEDaSP_SQ_EUlSP_E0_NS1_11comp_targetILNS1_3genE10ELNS1_11target_archE1200ELNS1_3gpuE4ELNS1_3repE0EEENS1_30default_config_static_selectorELNS0_4arch9wavefront6targetE1EEEvT1_ ; -- Begin function _ZN7rocprim17ROCPRIM_400000_NS6detail17trampoline_kernelINS0_14default_configENS1_20scan_config_selectorIxEEZZNS1_9scan_implILNS1_25lookback_scan_determinismE0ELb0ELb1ES3_N6thrust23THRUST_200600_302600_NS6detail15normal_iteratorINS9_10device_ptrIxEEEESE_xNS9_4plusIxEExEEDaPvRmT3_T4_T5_mT6_P12ihipStream_tbENKUlT_T0_E_clISt17integral_constantIbLb0EEST_IbLb1EEEEDaSP_SQ_EUlSP_E0_NS1_11comp_targetILNS1_3genE10ELNS1_11target_archE1200ELNS1_3gpuE4ELNS1_3repE0EEENS1_30default_config_static_selectorELNS0_4arch9wavefront6targetE1EEEvT1_
	.globl	_ZN7rocprim17ROCPRIM_400000_NS6detail17trampoline_kernelINS0_14default_configENS1_20scan_config_selectorIxEEZZNS1_9scan_implILNS1_25lookback_scan_determinismE0ELb0ELb1ES3_N6thrust23THRUST_200600_302600_NS6detail15normal_iteratorINS9_10device_ptrIxEEEESE_xNS9_4plusIxEExEEDaPvRmT3_T4_T5_mT6_P12ihipStream_tbENKUlT_T0_E_clISt17integral_constantIbLb0EEST_IbLb1EEEEDaSP_SQ_EUlSP_E0_NS1_11comp_targetILNS1_3genE10ELNS1_11target_archE1200ELNS1_3gpuE4ELNS1_3repE0EEENS1_30default_config_static_selectorELNS0_4arch9wavefront6targetE1EEEvT1_
	.p2align	8
	.type	_ZN7rocprim17ROCPRIM_400000_NS6detail17trampoline_kernelINS0_14default_configENS1_20scan_config_selectorIxEEZZNS1_9scan_implILNS1_25lookback_scan_determinismE0ELb0ELb1ES3_N6thrust23THRUST_200600_302600_NS6detail15normal_iteratorINS9_10device_ptrIxEEEESE_xNS9_4plusIxEExEEDaPvRmT3_T4_T5_mT6_P12ihipStream_tbENKUlT_T0_E_clISt17integral_constantIbLb0EEST_IbLb1EEEEDaSP_SQ_EUlSP_E0_NS1_11comp_targetILNS1_3genE10ELNS1_11target_archE1200ELNS1_3gpuE4ELNS1_3repE0EEENS1_30default_config_static_selectorELNS0_4arch9wavefront6targetE1EEEvT1_,@function
_ZN7rocprim17ROCPRIM_400000_NS6detail17trampoline_kernelINS0_14default_configENS1_20scan_config_selectorIxEEZZNS1_9scan_implILNS1_25lookback_scan_determinismE0ELb0ELb1ES3_N6thrust23THRUST_200600_302600_NS6detail15normal_iteratorINS9_10device_ptrIxEEEESE_xNS9_4plusIxEExEEDaPvRmT3_T4_T5_mT6_P12ihipStream_tbENKUlT_T0_E_clISt17integral_constantIbLb0EEST_IbLb1EEEEDaSP_SQ_EUlSP_E0_NS1_11comp_targetILNS1_3genE10ELNS1_11target_archE1200ELNS1_3gpuE4ELNS1_3repE0EEENS1_30default_config_static_selectorELNS0_4arch9wavefront6targetE1EEEvT1_: ; @_ZN7rocprim17ROCPRIM_400000_NS6detail17trampoline_kernelINS0_14default_configENS1_20scan_config_selectorIxEEZZNS1_9scan_implILNS1_25lookback_scan_determinismE0ELb0ELb1ES3_N6thrust23THRUST_200600_302600_NS6detail15normal_iteratorINS9_10device_ptrIxEEEESE_xNS9_4plusIxEExEEDaPvRmT3_T4_T5_mT6_P12ihipStream_tbENKUlT_T0_E_clISt17integral_constantIbLb0EEST_IbLb1EEEEDaSP_SQ_EUlSP_E0_NS1_11comp_targetILNS1_3genE10ELNS1_11target_archE1200ELNS1_3gpuE4ELNS1_3repE0EEENS1_30default_config_static_selectorELNS0_4arch9wavefront6targetE1EEEvT1_
; %bb.0:
	.section	.rodata,"a",@progbits
	.p2align	6, 0x0
	.amdhsa_kernel _ZN7rocprim17ROCPRIM_400000_NS6detail17trampoline_kernelINS0_14default_configENS1_20scan_config_selectorIxEEZZNS1_9scan_implILNS1_25lookback_scan_determinismE0ELb0ELb1ES3_N6thrust23THRUST_200600_302600_NS6detail15normal_iteratorINS9_10device_ptrIxEEEESE_xNS9_4plusIxEExEEDaPvRmT3_T4_T5_mT6_P12ihipStream_tbENKUlT_T0_E_clISt17integral_constantIbLb0EEST_IbLb1EEEEDaSP_SQ_EUlSP_E0_NS1_11comp_targetILNS1_3genE10ELNS1_11target_archE1200ELNS1_3gpuE4ELNS1_3repE0EEENS1_30default_config_static_selectorELNS0_4arch9wavefront6targetE1EEEvT1_
		.amdhsa_group_segment_fixed_size 0
		.amdhsa_private_segment_fixed_size 0
		.amdhsa_kernarg_size 40
		.amdhsa_user_sgpr_count 6
		.amdhsa_user_sgpr_private_segment_buffer 1
		.amdhsa_user_sgpr_dispatch_ptr 0
		.amdhsa_user_sgpr_queue_ptr 0
		.amdhsa_user_sgpr_kernarg_segment_ptr 1
		.amdhsa_user_sgpr_dispatch_id 0
		.amdhsa_user_sgpr_flat_scratch_init 0
		.amdhsa_user_sgpr_kernarg_preload_length 0
		.amdhsa_user_sgpr_kernarg_preload_offset 0
		.amdhsa_user_sgpr_private_segment_size 0
		.amdhsa_uses_dynamic_stack 0
		.amdhsa_system_sgpr_private_segment_wavefront_offset 0
		.amdhsa_system_sgpr_workgroup_id_x 1
		.amdhsa_system_sgpr_workgroup_id_y 0
		.amdhsa_system_sgpr_workgroup_id_z 0
		.amdhsa_system_sgpr_workgroup_info 0
		.amdhsa_system_vgpr_workitem_id 0
		.amdhsa_next_free_vgpr 1
		.amdhsa_next_free_sgpr 0
		.amdhsa_accum_offset 4
		.amdhsa_reserve_vcc 0
		.amdhsa_reserve_flat_scratch 0
		.amdhsa_float_round_mode_32 0
		.amdhsa_float_round_mode_16_64 0
		.amdhsa_float_denorm_mode_32 3
		.amdhsa_float_denorm_mode_16_64 3
		.amdhsa_dx10_clamp 1
		.amdhsa_ieee_mode 1
		.amdhsa_fp16_overflow 0
		.amdhsa_tg_split 0
		.amdhsa_exception_fp_ieee_invalid_op 0
		.amdhsa_exception_fp_denorm_src 0
		.amdhsa_exception_fp_ieee_div_zero 0
		.amdhsa_exception_fp_ieee_overflow 0
		.amdhsa_exception_fp_ieee_underflow 0
		.amdhsa_exception_fp_ieee_inexact 0
		.amdhsa_exception_int_div_zero 0
	.end_amdhsa_kernel
	.section	.text._ZN7rocprim17ROCPRIM_400000_NS6detail17trampoline_kernelINS0_14default_configENS1_20scan_config_selectorIxEEZZNS1_9scan_implILNS1_25lookback_scan_determinismE0ELb0ELb1ES3_N6thrust23THRUST_200600_302600_NS6detail15normal_iteratorINS9_10device_ptrIxEEEESE_xNS9_4plusIxEExEEDaPvRmT3_T4_T5_mT6_P12ihipStream_tbENKUlT_T0_E_clISt17integral_constantIbLb0EEST_IbLb1EEEEDaSP_SQ_EUlSP_E0_NS1_11comp_targetILNS1_3genE10ELNS1_11target_archE1200ELNS1_3gpuE4ELNS1_3repE0EEENS1_30default_config_static_selectorELNS0_4arch9wavefront6targetE1EEEvT1_,"axG",@progbits,_ZN7rocprim17ROCPRIM_400000_NS6detail17trampoline_kernelINS0_14default_configENS1_20scan_config_selectorIxEEZZNS1_9scan_implILNS1_25lookback_scan_determinismE0ELb0ELb1ES3_N6thrust23THRUST_200600_302600_NS6detail15normal_iteratorINS9_10device_ptrIxEEEESE_xNS9_4plusIxEExEEDaPvRmT3_T4_T5_mT6_P12ihipStream_tbENKUlT_T0_E_clISt17integral_constantIbLb0EEST_IbLb1EEEEDaSP_SQ_EUlSP_E0_NS1_11comp_targetILNS1_3genE10ELNS1_11target_archE1200ELNS1_3gpuE4ELNS1_3repE0EEENS1_30default_config_static_selectorELNS0_4arch9wavefront6targetE1EEEvT1_,comdat
.Lfunc_end483:
	.size	_ZN7rocprim17ROCPRIM_400000_NS6detail17trampoline_kernelINS0_14default_configENS1_20scan_config_selectorIxEEZZNS1_9scan_implILNS1_25lookback_scan_determinismE0ELb0ELb1ES3_N6thrust23THRUST_200600_302600_NS6detail15normal_iteratorINS9_10device_ptrIxEEEESE_xNS9_4plusIxEExEEDaPvRmT3_T4_T5_mT6_P12ihipStream_tbENKUlT_T0_E_clISt17integral_constantIbLb0EEST_IbLb1EEEEDaSP_SQ_EUlSP_E0_NS1_11comp_targetILNS1_3genE10ELNS1_11target_archE1200ELNS1_3gpuE4ELNS1_3repE0EEENS1_30default_config_static_selectorELNS0_4arch9wavefront6targetE1EEEvT1_, .Lfunc_end483-_ZN7rocprim17ROCPRIM_400000_NS6detail17trampoline_kernelINS0_14default_configENS1_20scan_config_selectorIxEEZZNS1_9scan_implILNS1_25lookback_scan_determinismE0ELb0ELb1ES3_N6thrust23THRUST_200600_302600_NS6detail15normal_iteratorINS9_10device_ptrIxEEEESE_xNS9_4plusIxEExEEDaPvRmT3_T4_T5_mT6_P12ihipStream_tbENKUlT_T0_E_clISt17integral_constantIbLb0EEST_IbLb1EEEEDaSP_SQ_EUlSP_E0_NS1_11comp_targetILNS1_3genE10ELNS1_11target_archE1200ELNS1_3gpuE4ELNS1_3repE0EEENS1_30default_config_static_selectorELNS0_4arch9wavefront6targetE1EEEvT1_
                                        ; -- End function
	.section	.AMDGPU.csdata,"",@progbits
; Kernel info:
; codeLenInByte = 0
; NumSgprs: 4
; NumVgprs: 0
; NumAgprs: 0
; TotalNumVgprs: 0
; ScratchSize: 0
; MemoryBound: 0
; FloatMode: 240
; IeeeMode: 1
; LDSByteSize: 0 bytes/workgroup (compile time only)
; SGPRBlocks: 0
; VGPRBlocks: 0
; NumSGPRsForWavesPerEU: 4
; NumVGPRsForWavesPerEU: 1
; AccumOffset: 4
; Occupancy: 8
; WaveLimiterHint : 0
; COMPUTE_PGM_RSRC2:SCRATCH_EN: 0
; COMPUTE_PGM_RSRC2:USER_SGPR: 6
; COMPUTE_PGM_RSRC2:TRAP_HANDLER: 0
; COMPUTE_PGM_RSRC2:TGID_X_EN: 1
; COMPUTE_PGM_RSRC2:TGID_Y_EN: 0
; COMPUTE_PGM_RSRC2:TGID_Z_EN: 0
; COMPUTE_PGM_RSRC2:TIDIG_COMP_CNT: 0
; COMPUTE_PGM_RSRC3_GFX90A:ACCUM_OFFSET: 0
; COMPUTE_PGM_RSRC3_GFX90A:TG_SPLIT: 0
	.section	.text._ZN7rocprim17ROCPRIM_400000_NS6detail17trampoline_kernelINS0_14default_configENS1_20scan_config_selectorIxEEZZNS1_9scan_implILNS1_25lookback_scan_determinismE0ELb0ELb1ES3_N6thrust23THRUST_200600_302600_NS6detail15normal_iteratorINS9_10device_ptrIxEEEESE_xNS9_4plusIxEExEEDaPvRmT3_T4_T5_mT6_P12ihipStream_tbENKUlT_T0_E_clISt17integral_constantIbLb0EEST_IbLb1EEEEDaSP_SQ_EUlSP_E0_NS1_11comp_targetILNS1_3genE9ELNS1_11target_archE1100ELNS1_3gpuE3ELNS1_3repE0EEENS1_30default_config_static_selectorELNS0_4arch9wavefront6targetE1EEEvT1_,"axG",@progbits,_ZN7rocprim17ROCPRIM_400000_NS6detail17trampoline_kernelINS0_14default_configENS1_20scan_config_selectorIxEEZZNS1_9scan_implILNS1_25lookback_scan_determinismE0ELb0ELb1ES3_N6thrust23THRUST_200600_302600_NS6detail15normal_iteratorINS9_10device_ptrIxEEEESE_xNS9_4plusIxEExEEDaPvRmT3_T4_T5_mT6_P12ihipStream_tbENKUlT_T0_E_clISt17integral_constantIbLb0EEST_IbLb1EEEEDaSP_SQ_EUlSP_E0_NS1_11comp_targetILNS1_3genE9ELNS1_11target_archE1100ELNS1_3gpuE3ELNS1_3repE0EEENS1_30default_config_static_selectorELNS0_4arch9wavefront6targetE1EEEvT1_,comdat
	.protected	_ZN7rocprim17ROCPRIM_400000_NS6detail17trampoline_kernelINS0_14default_configENS1_20scan_config_selectorIxEEZZNS1_9scan_implILNS1_25lookback_scan_determinismE0ELb0ELb1ES3_N6thrust23THRUST_200600_302600_NS6detail15normal_iteratorINS9_10device_ptrIxEEEESE_xNS9_4plusIxEExEEDaPvRmT3_T4_T5_mT6_P12ihipStream_tbENKUlT_T0_E_clISt17integral_constantIbLb0EEST_IbLb1EEEEDaSP_SQ_EUlSP_E0_NS1_11comp_targetILNS1_3genE9ELNS1_11target_archE1100ELNS1_3gpuE3ELNS1_3repE0EEENS1_30default_config_static_selectorELNS0_4arch9wavefront6targetE1EEEvT1_ ; -- Begin function _ZN7rocprim17ROCPRIM_400000_NS6detail17trampoline_kernelINS0_14default_configENS1_20scan_config_selectorIxEEZZNS1_9scan_implILNS1_25lookback_scan_determinismE0ELb0ELb1ES3_N6thrust23THRUST_200600_302600_NS6detail15normal_iteratorINS9_10device_ptrIxEEEESE_xNS9_4plusIxEExEEDaPvRmT3_T4_T5_mT6_P12ihipStream_tbENKUlT_T0_E_clISt17integral_constantIbLb0EEST_IbLb1EEEEDaSP_SQ_EUlSP_E0_NS1_11comp_targetILNS1_3genE9ELNS1_11target_archE1100ELNS1_3gpuE3ELNS1_3repE0EEENS1_30default_config_static_selectorELNS0_4arch9wavefront6targetE1EEEvT1_
	.globl	_ZN7rocprim17ROCPRIM_400000_NS6detail17trampoline_kernelINS0_14default_configENS1_20scan_config_selectorIxEEZZNS1_9scan_implILNS1_25lookback_scan_determinismE0ELb0ELb1ES3_N6thrust23THRUST_200600_302600_NS6detail15normal_iteratorINS9_10device_ptrIxEEEESE_xNS9_4plusIxEExEEDaPvRmT3_T4_T5_mT6_P12ihipStream_tbENKUlT_T0_E_clISt17integral_constantIbLb0EEST_IbLb1EEEEDaSP_SQ_EUlSP_E0_NS1_11comp_targetILNS1_3genE9ELNS1_11target_archE1100ELNS1_3gpuE3ELNS1_3repE0EEENS1_30default_config_static_selectorELNS0_4arch9wavefront6targetE1EEEvT1_
	.p2align	8
	.type	_ZN7rocprim17ROCPRIM_400000_NS6detail17trampoline_kernelINS0_14default_configENS1_20scan_config_selectorIxEEZZNS1_9scan_implILNS1_25lookback_scan_determinismE0ELb0ELb1ES3_N6thrust23THRUST_200600_302600_NS6detail15normal_iteratorINS9_10device_ptrIxEEEESE_xNS9_4plusIxEExEEDaPvRmT3_T4_T5_mT6_P12ihipStream_tbENKUlT_T0_E_clISt17integral_constantIbLb0EEST_IbLb1EEEEDaSP_SQ_EUlSP_E0_NS1_11comp_targetILNS1_3genE9ELNS1_11target_archE1100ELNS1_3gpuE3ELNS1_3repE0EEENS1_30default_config_static_selectorELNS0_4arch9wavefront6targetE1EEEvT1_,@function
_ZN7rocprim17ROCPRIM_400000_NS6detail17trampoline_kernelINS0_14default_configENS1_20scan_config_selectorIxEEZZNS1_9scan_implILNS1_25lookback_scan_determinismE0ELb0ELb1ES3_N6thrust23THRUST_200600_302600_NS6detail15normal_iteratorINS9_10device_ptrIxEEEESE_xNS9_4plusIxEExEEDaPvRmT3_T4_T5_mT6_P12ihipStream_tbENKUlT_T0_E_clISt17integral_constantIbLb0EEST_IbLb1EEEEDaSP_SQ_EUlSP_E0_NS1_11comp_targetILNS1_3genE9ELNS1_11target_archE1100ELNS1_3gpuE3ELNS1_3repE0EEENS1_30default_config_static_selectorELNS0_4arch9wavefront6targetE1EEEvT1_: ; @_ZN7rocprim17ROCPRIM_400000_NS6detail17trampoline_kernelINS0_14default_configENS1_20scan_config_selectorIxEEZZNS1_9scan_implILNS1_25lookback_scan_determinismE0ELb0ELb1ES3_N6thrust23THRUST_200600_302600_NS6detail15normal_iteratorINS9_10device_ptrIxEEEESE_xNS9_4plusIxEExEEDaPvRmT3_T4_T5_mT6_P12ihipStream_tbENKUlT_T0_E_clISt17integral_constantIbLb0EEST_IbLb1EEEEDaSP_SQ_EUlSP_E0_NS1_11comp_targetILNS1_3genE9ELNS1_11target_archE1100ELNS1_3gpuE3ELNS1_3repE0EEENS1_30default_config_static_selectorELNS0_4arch9wavefront6targetE1EEEvT1_
; %bb.0:
	.section	.rodata,"a",@progbits
	.p2align	6, 0x0
	.amdhsa_kernel _ZN7rocprim17ROCPRIM_400000_NS6detail17trampoline_kernelINS0_14default_configENS1_20scan_config_selectorIxEEZZNS1_9scan_implILNS1_25lookback_scan_determinismE0ELb0ELb1ES3_N6thrust23THRUST_200600_302600_NS6detail15normal_iteratorINS9_10device_ptrIxEEEESE_xNS9_4plusIxEExEEDaPvRmT3_T4_T5_mT6_P12ihipStream_tbENKUlT_T0_E_clISt17integral_constantIbLb0EEST_IbLb1EEEEDaSP_SQ_EUlSP_E0_NS1_11comp_targetILNS1_3genE9ELNS1_11target_archE1100ELNS1_3gpuE3ELNS1_3repE0EEENS1_30default_config_static_selectorELNS0_4arch9wavefront6targetE1EEEvT1_
		.amdhsa_group_segment_fixed_size 0
		.amdhsa_private_segment_fixed_size 0
		.amdhsa_kernarg_size 40
		.amdhsa_user_sgpr_count 6
		.amdhsa_user_sgpr_private_segment_buffer 1
		.amdhsa_user_sgpr_dispatch_ptr 0
		.amdhsa_user_sgpr_queue_ptr 0
		.amdhsa_user_sgpr_kernarg_segment_ptr 1
		.amdhsa_user_sgpr_dispatch_id 0
		.amdhsa_user_sgpr_flat_scratch_init 0
		.amdhsa_user_sgpr_kernarg_preload_length 0
		.amdhsa_user_sgpr_kernarg_preload_offset 0
		.amdhsa_user_sgpr_private_segment_size 0
		.amdhsa_uses_dynamic_stack 0
		.amdhsa_system_sgpr_private_segment_wavefront_offset 0
		.amdhsa_system_sgpr_workgroup_id_x 1
		.amdhsa_system_sgpr_workgroup_id_y 0
		.amdhsa_system_sgpr_workgroup_id_z 0
		.amdhsa_system_sgpr_workgroup_info 0
		.amdhsa_system_vgpr_workitem_id 0
		.amdhsa_next_free_vgpr 1
		.amdhsa_next_free_sgpr 0
		.amdhsa_accum_offset 4
		.amdhsa_reserve_vcc 0
		.amdhsa_reserve_flat_scratch 0
		.amdhsa_float_round_mode_32 0
		.amdhsa_float_round_mode_16_64 0
		.amdhsa_float_denorm_mode_32 3
		.amdhsa_float_denorm_mode_16_64 3
		.amdhsa_dx10_clamp 1
		.amdhsa_ieee_mode 1
		.amdhsa_fp16_overflow 0
		.amdhsa_tg_split 0
		.amdhsa_exception_fp_ieee_invalid_op 0
		.amdhsa_exception_fp_denorm_src 0
		.amdhsa_exception_fp_ieee_div_zero 0
		.amdhsa_exception_fp_ieee_overflow 0
		.amdhsa_exception_fp_ieee_underflow 0
		.amdhsa_exception_fp_ieee_inexact 0
		.amdhsa_exception_int_div_zero 0
	.end_amdhsa_kernel
	.section	.text._ZN7rocprim17ROCPRIM_400000_NS6detail17trampoline_kernelINS0_14default_configENS1_20scan_config_selectorIxEEZZNS1_9scan_implILNS1_25lookback_scan_determinismE0ELb0ELb1ES3_N6thrust23THRUST_200600_302600_NS6detail15normal_iteratorINS9_10device_ptrIxEEEESE_xNS9_4plusIxEExEEDaPvRmT3_T4_T5_mT6_P12ihipStream_tbENKUlT_T0_E_clISt17integral_constantIbLb0EEST_IbLb1EEEEDaSP_SQ_EUlSP_E0_NS1_11comp_targetILNS1_3genE9ELNS1_11target_archE1100ELNS1_3gpuE3ELNS1_3repE0EEENS1_30default_config_static_selectorELNS0_4arch9wavefront6targetE1EEEvT1_,"axG",@progbits,_ZN7rocprim17ROCPRIM_400000_NS6detail17trampoline_kernelINS0_14default_configENS1_20scan_config_selectorIxEEZZNS1_9scan_implILNS1_25lookback_scan_determinismE0ELb0ELb1ES3_N6thrust23THRUST_200600_302600_NS6detail15normal_iteratorINS9_10device_ptrIxEEEESE_xNS9_4plusIxEExEEDaPvRmT3_T4_T5_mT6_P12ihipStream_tbENKUlT_T0_E_clISt17integral_constantIbLb0EEST_IbLb1EEEEDaSP_SQ_EUlSP_E0_NS1_11comp_targetILNS1_3genE9ELNS1_11target_archE1100ELNS1_3gpuE3ELNS1_3repE0EEENS1_30default_config_static_selectorELNS0_4arch9wavefront6targetE1EEEvT1_,comdat
.Lfunc_end484:
	.size	_ZN7rocprim17ROCPRIM_400000_NS6detail17trampoline_kernelINS0_14default_configENS1_20scan_config_selectorIxEEZZNS1_9scan_implILNS1_25lookback_scan_determinismE0ELb0ELb1ES3_N6thrust23THRUST_200600_302600_NS6detail15normal_iteratorINS9_10device_ptrIxEEEESE_xNS9_4plusIxEExEEDaPvRmT3_T4_T5_mT6_P12ihipStream_tbENKUlT_T0_E_clISt17integral_constantIbLb0EEST_IbLb1EEEEDaSP_SQ_EUlSP_E0_NS1_11comp_targetILNS1_3genE9ELNS1_11target_archE1100ELNS1_3gpuE3ELNS1_3repE0EEENS1_30default_config_static_selectorELNS0_4arch9wavefront6targetE1EEEvT1_, .Lfunc_end484-_ZN7rocprim17ROCPRIM_400000_NS6detail17trampoline_kernelINS0_14default_configENS1_20scan_config_selectorIxEEZZNS1_9scan_implILNS1_25lookback_scan_determinismE0ELb0ELb1ES3_N6thrust23THRUST_200600_302600_NS6detail15normal_iteratorINS9_10device_ptrIxEEEESE_xNS9_4plusIxEExEEDaPvRmT3_T4_T5_mT6_P12ihipStream_tbENKUlT_T0_E_clISt17integral_constantIbLb0EEST_IbLb1EEEEDaSP_SQ_EUlSP_E0_NS1_11comp_targetILNS1_3genE9ELNS1_11target_archE1100ELNS1_3gpuE3ELNS1_3repE0EEENS1_30default_config_static_selectorELNS0_4arch9wavefront6targetE1EEEvT1_
                                        ; -- End function
	.section	.AMDGPU.csdata,"",@progbits
; Kernel info:
; codeLenInByte = 0
; NumSgprs: 4
; NumVgprs: 0
; NumAgprs: 0
; TotalNumVgprs: 0
; ScratchSize: 0
; MemoryBound: 0
; FloatMode: 240
; IeeeMode: 1
; LDSByteSize: 0 bytes/workgroup (compile time only)
; SGPRBlocks: 0
; VGPRBlocks: 0
; NumSGPRsForWavesPerEU: 4
; NumVGPRsForWavesPerEU: 1
; AccumOffset: 4
; Occupancy: 8
; WaveLimiterHint : 0
; COMPUTE_PGM_RSRC2:SCRATCH_EN: 0
; COMPUTE_PGM_RSRC2:USER_SGPR: 6
; COMPUTE_PGM_RSRC2:TRAP_HANDLER: 0
; COMPUTE_PGM_RSRC2:TGID_X_EN: 1
; COMPUTE_PGM_RSRC2:TGID_Y_EN: 0
; COMPUTE_PGM_RSRC2:TGID_Z_EN: 0
; COMPUTE_PGM_RSRC2:TIDIG_COMP_CNT: 0
; COMPUTE_PGM_RSRC3_GFX90A:ACCUM_OFFSET: 0
; COMPUTE_PGM_RSRC3_GFX90A:TG_SPLIT: 0
	.section	.text._ZN7rocprim17ROCPRIM_400000_NS6detail17trampoline_kernelINS0_14default_configENS1_20scan_config_selectorIxEEZZNS1_9scan_implILNS1_25lookback_scan_determinismE0ELb0ELb1ES3_N6thrust23THRUST_200600_302600_NS6detail15normal_iteratorINS9_10device_ptrIxEEEESE_xNS9_4plusIxEExEEDaPvRmT3_T4_T5_mT6_P12ihipStream_tbENKUlT_T0_E_clISt17integral_constantIbLb0EEST_IbLb1EEEEDaSP_SQ_EUlSP_E0_NS1_11comp_targetILNS1_3genE8ELNS1_11target_archE1030ELNS1_3gpuE2ELNS1_3repE0EEENS1_30default_config_static_selectorELNS0_4arch9wavefront6targetE1EEEvT1_,"axG",@progbits,_ZN7rocprim17ROCPRIM_400000_NS6detail17trampoline_kernelINS0_14default_configENS1_20scan_config_selectorIxEEZZNS1_9scan_implILNS1_25lookback_scan_determinismE0ELb0ELb1ES3_N6thrust23THRUST_200600_302600_NS6detail15normal_iteratorINS9_10device_ptrIxEEEESE_xNS9_4plusIxEExEEDaPvRmT3_T4_T5_mT6_P12ihipStream_tbENKUlT_T0_E_clISt17integral_constantIbLb0EEST_IbLb1EEEEDaSP_SQ_EUlSP_E0_NS1_11comp_targetILNS1_3genE8ELNS1_11target_archE1030ELNS1_3gpuE2ELNS1_3repE0EEENS1_30default_config_static_selectorELNS0_4arch9wavefront6targetE1EEEvT1_,comdat
	.protected	_ZN7rocprim17ROCPRIM_400000_NS6detail17trampoline_kernelINS0_14default_configENS1_20scan_config_selectorIxEEZZNS1_9scan_implILNS1_25lookback_scan_determinismE0ELb0ELb1ES3_N6thrust23THRUST_200600_302600_NS6detail15normal_iteratorINS9_10device_ptrIxEEEESE_xNS9_4plusIxEExEEDaPvRmT3_T4_T5_mT6_P12ihipStream_tbENKUlT_T0_E_clISt17integral_constantIbLb0EEST_IbLb1EEEEDaSP_SQ_EUlSP_E0_NS1_11comp_targetILNS1_3genE8ELNS1_11target_archE1030ELNS1_3gpuE2ELNS1_3repE0EEENS1_30default_config_static_selectorELNS0_4arch9wavefront6targetE1EEEvT1_ ; -- Begin function _ZN7rocprim17ROCPRIM_400000_NS6detail17trampoline_kernelINS0_14default_configENS1_20scan_config_selectorIxEEZZNS1_9scan_implILNS1_25lookback_scan_determinismE0ELb0ELb1ES3_N6thrust23THRUST_200600_302600_NS6detail15normal_iteratorINS9_10device_ptrIxEEEESE_xNS9_4plusIxEExEEDaPvRmT3_T4_T5_mT6_P12ihipStream_tbENKUlT_T0_E_clISt17integral_constantIbLb0EEST_IbLb1EEEEDaSP_SQ_EUlSP_E0_NS1_11comp_targetILNS1_3genE8ELNS1_11target_archE1030ELNS1_3gpuE2ELNS1_3repE0EEENS1_30default_config_static_selectorELNS0_4arch9wavefront6targetE1EEEvT1_
	.globl	_ZN7rocprim17ROCPRIM_400000_NS6detail17trampoline_kernelINS0_14default_configENS1_20scan_config_selectorIxEEZZNS1_9scan_implILNS1_25lookback_scan_determinismE0ELb0ELb1ES3_N6thrust23THRUST_200600_302600_NS6detail15normal_iteratorINS9_10device_ptrIxEEEESE_xNS9_4plusIxEExEEDaPvRmT3_T4_T5_mT6_P12ihipStream_tbENKUlT_T0_E_clISt17integral_constantIbLb0EEST_IbLb1EEEEDaSP_SQ_EUlSP_E0_NS1_11comp_targetILNS1_3genE8ELNS1_11target_archE1030ELNS1_3gpuE2ELNS1_3repE0EEENS1_30default_config_static_selectorELNS0_4arch9wavefront6targetE1EEEvT1_
	.p2align	8
	.type	_ZN7rocprim17ROCPRIM_400000_NS6detail17trampoline_kernelINS0_14default_configENS1_20scan_config_selectorIxEEZZNS1_9scan_implILNS1_25lookback_scan_determinismE0ELb0ELb1ES3_N6thrust23THRUST_200600_302600_NS6detail15normal_iteratorINS9_10device_ptrIxEEEESE_xNS9_4plusIxEExEEDaPvRmT3_T4_T5_mT6_P12ihipStream_tbENKUlT_T0_E_clISt17integral_constantIbLb0EEST_IbLb1EEEEDaSP_SQ_EUlSP_E0_NS1_11comp_targetILNS1_3genE8ELNS1_11target_archE1030ELNS1_3gpuE2ELNS1_3repE0EEENS1_30default_config_static_selectorELNS0_4arch9wavefront6targetE1EEEvT1_,@function
_ZN7rocprim17ROCPRIM_400000_NS6detail17trampoline_kernelINS0_14default_configENS1_20scan_config_selectorIxEEZZNS1_9scan_implILNS1_25lookback_scan_determinismE0ELb0ELb1ES3_N6thrust23THRUST_200600_302600_NS6detail15normal_iteratorINS9_10device_ptrIxEEEESE_xNS9_4plusIxEExEEDaPvRmT3_T4_T5_mT6_P12ihipStream_tbENKUlT_T0_E_clISt17integral_constantIbLb0EEST_IbLb1EEEEDaSP_SQ_EUlSP_E0_NS1_11comp_targetILNS1_3genE8ELNS1_11target_archE1030ELNS1_3gpuE2ELNS1_3repE0EEENS1_30default_config_static_selectorELNS0_4arch9wavefront6targetE1EEEvT1_: ; @_ZN7rocprim17ROCPRIM_400000_NS6detail17trampoline_kernelINS0_14default_configENS1_20scan_config_selectorIxEEZZNS1_9scan_implILNS1_25lookback_scan_determinismE0ELb0ELb1ES3_N6thrust23THRUST_200600_302600_NS6detail15normal_iteratorINS9_10device_ptrIxEEEESE_xNS9_4plusIxEExEEDaPvRmT3_T4_T5_mT6_P12ihipStream_tbENKUlT_T0_E_clISt17integral_constantIbLb0EEST_IbLb1EEEEDaSP_SQ_EUlSP_E0_NS1_11comp_targetILNS1_3genE8ELNS1_11target_archE1030ELNS1_3gpuE2ELNS1_3repE0EEENS1_30default_config_static_selectorELNS0_4arch9wavefront6targetE1EEEvT1_
; %bb.0:
	.section	.rodata,"a",@progbits
	.p2align	6, 0x0
	.amdhsa_kernel _ZN7rocprim17ROCPRIM_400000_NS6detail17trampoline_kernelINS0_14default_configENS1_20scan_config_selectorIxEEZZNS1_9scan_implILNS1_25lookback_scan_determinismE0ELb0ELb1ES3_N6thrust23THRUST_200600_302600_NS6detail15normal_iteratorINS9_10device_ptrIxEEEESE_xNS9_4plusIxEExEEDaPvRmT3_T4_T5_mT6_P12ihipStream_tbENKUlT_T0_E_clISt17integral_constantIbLb0EEST_IbLb1EEEEDaSP_SQ_EUlSP_E0_NS1_11comp_targetILNS1_3genE8ELNS1_11target_archE1030ELNS1_3gpuE2ELNS1_3repE0EEENS1_30default_config_static_selectorELNS0_4arch9wavefront6targetE1EEEvT1_
		.amdhsa_group_segment_fixed_size 0
		.amdhsa_private_segment_fixed_size 0
		.amdhsa_kernarg_size 40
		.amdhsa_user_sgpr_count 6
		.amdhsa_user_sgpr_private_segment_buffer 1
		.amdhsa_user_sgpr_dispatch_ptr 0
		.amdhsa_user_sgpr_queue_ptr 0
		.amdhsa_user_sgpr_kernarg_segment_ptr 1
		.amdhsa_user_sgpr_dispatch_id 0
		.amdhsa_user_sgpr_flat_scratch_init 0
		.amdhsa_user_sgpr_kernarg_preload_length 0
		.amdhsa_user_sgpr_kernarg_preload_offset 0
		.amdhsa_user_sgpr_private_segment_size 0
		.amdhsa_uses_dynamic_stack 0
		.amdhsa_system_sgpr_private_segment_wavefront_offset 0
		.amdhsa_system_sgpr_workgroup_id_x 1
		.amdhsa_system_sgpr_workgroup_id_y 0
		.amdhsa_system_sgpr_workgroup_id_z 0
		.amdhsa_system_sgpr_workgroup_info 0
		.amdhsa_system_vgpr_workitem_id 0
		.amdhsa_next_free_vgpr 1
		.amdhsa_next_free_sgpr 0
		.amdhsa_accum_offset 4
		.amdhsa_reserve_vcc 0
		.amdhsa_reserve_flat_scratch 0
		.amdhsa_float_round_mode_32 0
		.amdhsa_float_round_mode_16_64 0
		.amdhsa_float_denorm_mode_32 3
		.amdhsa_float_denorm_mode_16_64 3
		.amdhsa_dx10_clamp 1
		.amdhsa_ieee_mode 1
		.amdhsa_fp16_overflow 0
		.amdhsa_tg_split 0
		.amdhsa_exception_fp_ieee_invalid_op 0
		.amdhsa_exception_fp_denorm_src 0
		.amdhsa_exception_fp_ieee_div_zero 0
		.amdhsa_exception_fp_ieee_overflow 0
		.amdhsa_exception_fp_ieee_underflow 0
		.amdhsa_exception_fp_ieee_inexact 0
		.amdhsa_exception_int_div_zero 0
	.end_amdhsa_kernel
	.section	.text._ZN7rocprim17ROCPRIM_400000_NS6detail17trampoline_kernelINS0_14default_configENS1_20scan_config_selectorIxEEZZNS1_9scan_implILNS1_25lookback_scan_determinismE0ELb0ELb1ES3_N6thrust23THRUST_200600_302600_NS6detail15normal_iteratorINS9_10device_ptrIxEEEESE_xNS9_4plusIxEExEEDaPvRmT3_T4_T5_mT6_P12ihipStream_tbENKUlT_T0_E_clISt17integral_constantIbLb0EEST_IbLb1EEEEDaSP_SQ_EUlSP_E0_NS1_11comp_targetILNS1_3genE8ELNS1_11target_archE1030ELNS1_3gpuE2ELNS1_3repE0EEENS1_30default_config_static_selectorELNS0_4arch9wavefront6targetE1EEEvT1_,"axG",@progbits,_ZN7rocprim17ROCPRIM_400000_NS6detail17trampoline_kernelINS0_14default_configENS1_20scan_config_selectorIxEEZZNS1_9scan_implILNS1_25lookback_scan_determinismE0ELb0ELb1ES3_N6thrust23THRUST_200600_302600_NS6detail15normal_iteratorINS9_10device_ptrIxEEEESE_xNS9_4plusIxEExEEDaPvRmT3_T4_T5_mT6_P12ihipStream_tbENKUlT_T0_E_clISt17integral_constantIbLb0EEST_IbLb1EEEEDaSP_SQ_EUlSP_E0_NS1_11comp_targetILNS1_3genE8ELNS1_11target_archE1030ELNS1_3gpuE2ELNS1_3repE0EEENS1_30default_config_static_selectorELNS0_4arch9wavefront6targetE1EEEvT1_,comdat
.Lfunc_end485:
	.size	_ZN7rocprim17ROCPRIM_400000_NS6detail17trampoline_kernelINS0_14default_configENS1_20scan_config_selectorIxEEZZNS1_9scan_implILNS1_25lookback_scan_determinismE0ELb0ELb1ES3_N6thrust23THRUST_200600_302600_NS6detail15normal_iteratorINS9_10device_ptrIxEEEESE_xNS9_4plusIxEExEEDaPvRmT3_T4_T5_mT6_P12ihipStream_tbENKUlT_T0_E_clISt17integral_constantIbLb0EEST_IbLb1EEEEDaSP_SQ_EUlSP_E0_NS1_11comp_targetILNS1_3genE8ELNS1_11target_archE1030ELNS1_3gpuE2ELNS1_3repE0EEENS1_30default_config_static_selectorELNS0_4arch9wavefront6targetE1EEEvT1_, .Lfunc_end485-_ZN7rocprim17ROCPRIM_400000_NS6detail17trampoline_kernelINS0_14default_configENS1_20scan_config_selectorIxEEZZNS1_9scan_implILNS1_25lookback_scan_determinismE0ELb0ELb1ES3_N6thrust23THRUST_200600_302600_NS6detail15normal_iteratorINS9_10device_ptrIxEEEESE_xNS9_4plusIxEExEEDaPvRmT3_T4_T5_mT6_P12ihipStream_tbENKUlT_T0_E_clISt17integral_constantIbLb0EEST_IbLb1EEEEDaSP_SQ_EUlSP_E0_NS1_11comp_targetILNS1_3genE8ELNS1_11target_archE1030ELNS1_3gpuE2ELNS1_3repE0EEENS1_30default_config_static_selectorELNS0_4arch9wavefront6targetE1EEEvT1_
                                        ; -- End function
	.section	.AMDGPU.csdata,"",@progbits
; Kernel info:
; codeLenInByte = 0
; NumSgprs: 4
; NumVgprs: 0
; NumAgprs: 0
; TotalNumVgprs: 0
; ScratchSize: 0
; MemoryBound: 0
; FloatMode: 240
; IeeeMode: 1
; LDSByteSize: 0 bytes/workgroup (compile time only)
; SGPRBlocks: 0
; VGPRBlocks: 0
; NumSGPRsForWavesPerEU: 4
; NumVGPRsForWavesPerEU: 1
; AccumOffset: 4
; Occupancy: 8
; WaveLimiterHint : 0
; COMPUTE_PGM_RSRC2:SCRATCH_EN: 0
; COMPUTE_PGM_RSRC2:USER_SGPR: 6
; COMPUTE_PGM_RSRC2:TRAP_HANDLER: 0
; COMPUTE_PGM_RSRC2:TGID_X_EN: 1
; COMPUTE_PGM_RSRC2:TGID_Y_EN: 0
; COMPUTE_PGM_RSRC2:TGID_Z_EN: 0
; COMPUTE_PGM_RSRC2:TIDIG_COMP_CNT: 0
; COMPUTE_PGM_RSRC3_GFX90A:ACCUM_OFFSET: 0
; COMPUTE_PGM_RSRC3_GFX90A:TG_SPLIT: 0
	.section	.text._ZN7rocprim17ROCPRIM_400000_NS6detail17trampoline_kernelINS0_14default_configENS1_22reduce_config_selectorIN6thrust23THRUST_200600_302600_NS5tupleIblNS6_9null_typeES8_S8_S8_S8_S8_S8_S8_EEEEZNS1_11reduce_implILb1ES3_NS6_12zip_iteratorINS7_INS6_11hip_rocprim26transform_input_iterator_tIbNSD_35transform_pair_of_input_iterators_tIbNS6_6detail15normal_iteratorINS6_10device_ptrIKiEEEESL_NS6_8equal_toIiEEEENSG_9not_fun_tINSD_8identityEEEEENSD_19counting_iterator_tIlEES8_S8_S8_S8_S8_S8_S8_S8_EEEEPS9_S9_NSD_9__find_if7functorIS9_EEEE10hipError_tPvRmT1_T2_T3_mT4_P12ihipStream_tbEUlT_E0_NS1_11comp_targetILNS1_3genE0ELNS1_11target_archE4294967295ELNS1_3gpuE0ELNS1_3repE0EEENS1_30default_config_static_selectorELNS0_4arch9wavefront6targetE1EEEvS14_,"axG",@progbits,_ZN7rocprim17ROCPRIM_400000_NS6detail17trampoline_kernelINS0_14default_configENS1_22reduce_config_selectorIN6thrust23THRUST_200600_302600_NS5tupleIblNS6_9null_typeES8_S8_S8_S8_S8_S8_S8_EEEEZNS1_11reduce_implILb1ES3_NS6_12zip_iteratorINS7_INS6_11hip_rocprim26transform_input_iterator_tIbNSD_35transform_pair_of_input_iterators_tIbNS6_6detail15normal_iteratorINS6_10device_ptrIKiEEEESL_NS6_8equal_toIiEEEENSG_9not_fun_tINSD_8identityEEEEENSD_19counting_iterator_tIlEES8_S8_S8_S8_S8_S8_S8_S8_EEEEPS9_S9_NSD_9__find_if7functorIS9_EEEE10hipError_tPvRmT1_T2_T3_mT4_P12ihipStream_tbEUlT_E0_NS1_11comp_targetILNS1_3genE0ELNS1_11target_archE4294967295ELNS1_3gpuE0ELNS1_3repE0EEENS1_30default_config_static_selectorELNS0_4arch9wavefront6targetE1EEEvS14_,comdat
	.protected	_ZN7rocprim17ROCPRIM_400000_NS6detail17trampoline_kernelINS0_14default_configENS1_22reduce_config_selectorIN6thrust23THRUST_200600_302600_NS5tupleIblNS6_9null_typeES8_S8_S8_S8_S8_S8_S8_EEEEZNS1_11reduce_implILb1ES3_NS6_12zip_iteratorINS7_INS6_11hip_rocprim26transform_input_iterator_tIbNSD_35transform_pair_of_input_iterators_tIbNS6_6detail15normal_iteratorINS6_10device_ptrIKiEEEESL_NS6_8equal_toIiEEEENSG_9not_fun_tINSD_8identityEEEEENSD_19counting_iterator_tIlEES8_S8_S8_S8_S8_S8_S8_S8_EEEEPS9_S9_NSD_9__find_if7functorIS9_EEEE10hipError_tPvRmT1_T2_T3_mT4_P12ihipStream_tbEUlT_E0_NS1_11comp_targetILNS1_3genE0ELNS1_11target_archE4294967295ELNS1_3gpuE0ELNS1_3repE0EEENS1_30default_config_static_selectorELNS0_4arch9wavefront6targetE1EEEvS14_ ; -- Begin function _ZN7rocprim17ROCPRIM_400000_NS6detail17trampoline_kernelINS0_14default_configENS1_22reduce_config_selectorIN6thrust23THRUST_200600_302600_NS5tupleIblNS6_9null_typeES8_S8_S8_S8_S8_S8_S8_EEEEZNS1_11reduce_implILb1ES3_NS6_12zip_iteratorINS7_INS6_11hip_rocprim26transform_input_iterator_tIbNSD_35transform_pair_of_input_iterators_tIbNS6_6detail15normal_iteratorINS6_10device_ptrIKiEEEESL_NS6_8equal_toIiEEEENSG_9not_fun_tINSD_8identityEEEEENSD_19counting_iterator_tIlEES8_S8_S8_S8_S8_S8_S8_S8_EEEEPS9_S9_NSD_9__find_if7functorIS9_EEEE10hipError_tPvRmT1_T2_T3_mT4_P12ihipStream_tbEUlT_E0_NS1_11comp_targetILNS1_3genE0ELNS1_11target_archE4294967295ELNS1_3gpuE0ELNS1_3repE0EEENS1_30default_config_static_selectorELNS0_4arch9wavefront6targetE1EEEvS14_
	.globl	_ZN7rocprim17ROCPRIM_400000_NS6detail17trampoline_kernelINS0_14default_configENS1_22reduce_config_selectorIN6thrust23THRUST_200600_302600_NS5tupleIblNS6_9null_typeES8_S8_S8_S8_S8_S8_S8_EEEEZNS1_11reduce_implILb1ES3_NS6_12zip_iteratorINS7_INS6_11hip_rocprim26transform_input_iterator_tIbNSD_35transform_pair_of_input_iterators_tIbNS6_6detail15normal_iteratorINS6_10device_ptrIKiEEEESL_NS6_8equal_toIiEEEENSG_9not_fun_tINSD_8identityEEEEENSD_19counting_iterator_tIlEES8_S8_S8_S8_S8_S8_S8_S8_EEEEPS9_S9_NSD_9__find_if7functorIS9_EEEE10hipError_tPvRmT1_T2_T3_mT4_P12ihipStream_tbEUlT_E0_NS1_11comp_targetILNS1_3genE0ELNS1_11target_archE4294967295ELNS1_3gpuE0ELNS1_3repE0EEENS1_30default_config_static_selectorELNS0_4arch9wavefront6targetE1EEEvS14_
	.p2align	8
	.type	_ZN7rocprim17ROCPRIM_400000_NS6detail17trampoline_kernelINS0_14default_configENS1_22reduce_config_selectorIN6thrust23THRUST_200600_302600_NS5tupleIblNS6_9null_typeES8_S8_S8_S8_S8_S8_S8_EEEEZNS1_11reduce_implILb1ES3_NS6_12zip_iteratorINS7_INS6_11hip_rocprim26transform_input_iterator_tIbNSD_35transform_pair_of_input_iterators_tIbNS6_6detail15normal_iteratorINS6_10device_ptrIKiEEEESL_NS6_8equal_toIiEEEENSG_9not_fun_tINSD_8identityEEEEENSD_19counting_iterator_tIlEES8_S8_S8_S8_S8_S8_S8_S8_EEEEPS9_S9_NSD_9__find_if7functorIS9_EEEE10hipError_tPvRmT1_T2_T3_mT4_P12ihipStream_tbEUlT_E0_NS1_11comp_targetILNS1_3genE0ELNS1_11target_archE4294967295ELNS1_3gpuE0ELNS1_3repE0EEENS1_30default_config_static_selectorELNS0_4arch9wavefront6targetE1EEEvS14_,@function
_ZN7rocprim17ROCPRIM_400000_NS6detail17trampoline_kernelINS0_14default_configENS1_22reduce_config_selectorIN6thrust23THRUST_200600_302600_NS5tupleIblNS6_9null_typeES8_S8_S8_S8_S8_S8_S8_EEEEZNS1_11reduce_implILb1ES3_NS6_12zip_iteratorINS7_INS6_11hip_rocprim26transform_input_iterator_tIbNSD_35transform_pair_of_input_iterators_tIbNS6_6detail15normal_iteratorINS6_10device_ptrIKiEEEESL_NS6_8equal_toIiEEEENSG_9not_fun_tINSD_8identityEEEEENSD_19counting_iterator_tIlEES8_S8_S8_S8_S8_S8_S8_S8_EEEEPS9_S9_NSD_9__find_if7functorIS9_EEEE10hipError_tPvRmT1_T2_T3_mT4_P12ihipStream_tbEUlT_E0_NS1_11comp_targetILNS1_3genE0ELNS1_11target_archE4294967295ELNS1_3gpuE0ELNS1_3repE0EEENS1_30default_config_static_selectorELNS0_4arch9wavefront6targetE1EEEvS14_: ; @_ZN7rocprim17ROCPRIM_400000_NS6detail17trampoline_kernelINS0_14default_configENS1_22reduce_config_selectorIN6thrust23THRUST_200600_302600_NS5tupleIblNS6_9null_typeES8_S8_S8_S8_S8_S8_S8_EEEEZNS1_11reduce_implILb1ES3_NS6_12zip_iteratorINS7_INS6_11hip_rocprim26transform_input_iterator_tIbNSD_35transform_pair_of_input_iterators_tIbNS6_6detail15normal_iteratorINS6_10device_ptrIKiEEEESL_NS6_8equal_toIiEEEENSG_9not_fun_tINSD_8identityEEEEENSD_19counting_iterator_tIlEES8_S8_S8_S8_S8_S8_S8_S8_EEEEPS9_S9_NSD_9__find_if7functorIS9_EEEE10hipError_tPvRmT1_T2_T3_mT4_P12ihipStream_tbEUlT_E0_NS1_11comp_targetILNS1_3genE0ELNS1_11target_archE4294967295ELNS1_3gpuE0ELNS1_3repE0EEENS1_30default_config_static_selectorELNS0_4arch9wavefront6targetE1EEEvS14_
; %bb.0:
	.section	.rodata,"a",@progbits
	.p2align	6, 0x0
	.amdhsa_kernel _ZN7rocprim17ROCPRIM_400000_NS6detail17trampoline_kernelINS0_14default_configENS1_22reduce_config_selectorIN6thrust23THRUST_200600_302600_NS5tupleIblNS6_9null_typeES8_S8_S8_S8_S8_S8_S8_EEEEZNS1_11reduce_implILb1ES3_NS6_12zip_iteratorINS7_INS6_11hip_rocprim26transform_input_iterator_tIbNSD_35transform_pair_of_input_iterators_tIbNS6_6detail15normal_iteratorINS6_10device_ptrIKiEEEESL_NS6_8equal_toIiEEEENSG_9not_fun_tINSD_8identityEEEEENSD_19counting_iterator_tIlEES8_S8_S8_S8_S8_S8_S8_S8_EEEEPS9_S9_NSD_9__find_if7functorIS9_EEEE10hipError_tPvRmT1_T2_T3_mT4_P12ihipStream_tbEUlT_E0_NS1_11comp_targetILNS1_3genE0ELNS1_11target_archE4294967295ELNS1_3gpuE0ELNS1_3repE0EEENS1_30default_config_static_selectorELNS0_4arch9wavefront6targetE1EEEvS14_
		.amdhsa_group_segment_fixed_size 0
		.amdhsa_private_segment_fixed_size 0
		.amdhsa_kernarg_size 104
		.amdhsa_user_sgpr_count 6
		.amdhsa_user_sgpr_private_segment_buffer 1
		.amdhsa_user_sgpr_dispatch_ptr 0
		.amdhsa_user_sgpr_queue_ptr 0
		.amdhsa_user_sgpr_kernarg_segment_ptr 1
		.amdhsa_user_sgpr_dispatch_id 0
		.amdhsa_user_sgpr_flat_scratch_init 0
		.amdhsa_user_sgpr_kernarg_preload_length 0
		.amdhsa_user_sgpr_kernarg_preload_offset 0
		.amdhsa_user_sgpr_private_segment_size 0
		.amdhsa_uses_dynamic_stack 0
		.amdhsa_system_sgpr_private_segment_wavefront_offset 0
		.amdhsa_system_sgpr_workgroup_id_x 1
		.amdhsa_system_sgpr_workgroup_id_y 0
		.amdhsa_system_sgpr_workgroup_id_z 0
		.amdhsa_system_sgpr_workgroup_info 0
		.amdhsa_system_vgpr_workitem_id 0
		.amdhsa_next_free_vgpr 1
		.amdhsa_next_free_sgpr 0
		.amdhsa_accum_offset 4
		.amdhsa_reserve_vcc 0
		.amdhsa_reserve_flat_scratch 0
		.amdhsa_float_round_mode_32 0
		.amdhsa_float_round_mode_16_64 0
		.amdhsa_float_denorm_mode_32 3
		.amdhsa_float_denorm_mode_16_64 3
		.amdhsa_dx10_clamp 1
		.amdhsa_ieee_mode 1
		.amdhsa_fp16_overflow 0
		.amdhsa_tg_split 0
		.amdhsa_exception_fp_ieee_invalid_op 0
		.amdhsa_exception_fp_denorm_src 0
		.amdhsa_exception_fp_ieee_div_zero 0
		.amdhsa_exception_fp_ieee_overflow 0
		.amdhsa_exception_fp_ieee_underflow 0
		.amdhsa_exception_fp_ieee_inexact 0
		.amdhsa_exception_int_div_zero 0
	.end_amdhsa_kernel
	.section	.text._ZN7rocprim17ROCPRIM_400000_NS6detail17trampoline_kernelINS0_14default_configENS1_22reduce_config_selectorIN6thrust23THRUST_200600_302600_NS5tupleIblNS6_9null_typeES8_S8_S8_S8_S8_S8_S8_EEEEZNS1_11reduce_implILb1ES3_NS6_12zip_iteratorINS7_INS6_11hip_rocprim26transform_input_iterator_tIbNSD_35transform_pair_of_input_iterators_tIbNS6_6detail15normal_iteratorINS6_10device_ptrIKiEEEESL_NS6_8equal_toIiEEEENSG_9not_fun_tINSD_8identityEEEEENSD_19counting_iterator_tIlEES8_S8_S8_S8_S8_S8_S8_S8_EEEEPS9_S9_NSD_9__find_if7functorIS9_EEEE10hipError_tPvRmT1_T2_T3_mT4_P12ihipStream_tbEUlT_E0_NS1_11comp_targetILNS1_3genE0ELNS1_11target_archE4294967295ELNS1_3gpuE0ELNS1_3repE0EEENS1_30default_config_static_selectorELNS0_4arch9wavefront6targetE1EEEvS14_,"axG",@progbits,_ZN7rocprim17ROCPRIM_400000_NS6detail17trampoline_kernelINS0_14default_configENS1_22reduce_config_selectorIN6thrust23THRUST_200600_302600_NS5tupleIblNS6_9null_typeES8_S8_S8_S8_S8_S8_S8_EEEEZNS1_11reduce_implILb1ES3_NS6_12zip_iteratorINS7_INS6_11hip_rocprim26transform_input_iterator_tIbNSD_35transform_pair_of_input_iterators_tIbNS6_6detail15normal_iteratorINS6_10device_ptrIKiEEEESL_NS6_8equal_toIiEEEENSG_9not_fun_tINSD_8identityEEEEENSD_19counting_iterator_tIlEES8_S8_S8_S8_S8_S8_S8_S8_EEEEPS9_S9_NSD_9__find_if7functorIS9_EEEE10hipError_tPvRmT1_T2_T3_mT4_P12ihipStream_tbEUlT_E0_NS1_11comp_targetILNS1_3genE0ELNS1_11target_archE4294967295ELNS1_3gpuE0ELNS1_3repE0EEENS1_30default_config_static_selectorELNS0_4arch9wavefront6targetE1EEEvS14_,comdat
.Lfunc_end486:
	.size	_ZN7rocprim17ROCPRIM_400000_NS6detail17trampoline_kernelINS0_14default_configENS1_22reduce_config_selectorIN6thrust23THRUST_200600_302600_NS5tupleIblNS6_9null_typeES8_S8_S8_S8_S8_S8_S8_EEEEZNS1_11reduce_implILb1ES3_NS6_12zip_iteratorINS7_INS6_11hip_rocprim26transform_input_iterator_tIbNSD_35transform_pair_of_input_iterators_tIbNS6_6detail15normal_iteratorINS6_10device_ptrIKiEEEESL_NS6_8equal_toIiEEEENSG_9not_fun_tINSD_8identityEEEEENSD_19counting_iterator_tIlEES8_S8_S8_S8_S8_S8_S8_S8_EEEEPS9_S9_NSD_9__find_if7functorIS9_EEEE10hipError_tPvRmT1_T2_T3_mT4_P12ihipStream_tbEUlT_E0_NS1_11comp_targetILNS1_3genE0ELNS1_11target_archE4294967295ELNS1_3gpuE0ELNS1_3repE0EEENS1_30default_config_static_selectorELNS0_4arch9wavefront6targetE1EEEvS14_, .Lfunc_end486-_ZN7rocprim17ROCPRIM_400000_NS6detail17trampoline_kernelINS0_14default_configENS1_22reduce_config_selectorIN6thrust23THRUST_200600_302600_NS5tupleIblNS6_9null_typeES8_S8_S8_S8_S8_S8_S8_EEEEZNS1_11reduce_implILb1ES3_NS6_12zip_iteratorINS7_INS6_11hip_rocprim26transform_input_iterator_tIbNSD_35transform_pair_of_input_iterators_tIbNS6_6detail15normal_iteratorINS6_10device_ptrIKiEEEESL_NS6_8equal_toIiEEEENSG_9not_fun_tINSD_8identityEEEEENSD_19counting_iterator_tIlEES8_S8_S8_S8_S8_S8_S8_S8_EEEEPS9_S9_NSD_9__find_if7functorIS9_EEEE10hipError_tPvRmT1_T2_T3_mT4_P12ihipStream_tbEUlT_E0_NS1_11comp_targetILNS1_3genE0ELNS1_11target_archE4294967295ELNS1_3gpuE0ELNS1_3repE0EEENS1_30default_config_static_selectorELNS0_4arch9wavefront6targetE1EEEvS14_
                                        ; -- End function
	.section	.AMDGPU.csdata,"",@progbits
; Kernel info:
; codeLenInByte = 0
; NumSgprs: 4
; NumVgprs: 0
; NumAgprs: 0
; TotalNumVgprs: 0
; ScratchSize: 0
; MemoryBound: 0
; FloatMode: 240
; IeeeMode: 1
; LDSByteSize: 0 bytes/workgroup (compile time only)
; SGPRBlocks: 0
; VGPRBlocks: 0
; NumSGPRsForWavesPerEU: 4
; NumVGPRsForWavesPerEU: 1
; AccumOffset: 4
; Occupancy: 8
; WaveLimiterHint : 0
; COMPUTE_PGM_RSRC2:SCRATCH_EN: 0
; COMPUTE_PGM_RSRC2:USER_SGPR: 6
; COMPUTE_PGM_RSRC2:TRAP_HANDLER: 0
; COMPUTE_PGM_RSRC2:TGID_X_EN: 1
; COMPUTE_PGM_RSRC2:TGID_Y_EN: 0
; COMPUTE_PGM_RSRC2:TGID_Z_EN: 0
; COMPUTE_PGM_RSRC2:TIDIG_COMP_CNT: 0
; COMPUTE_PGM_RSRC3_GFX90A:ACCUM_OFFSET: 0
; COMPUTE_PGM_RSRC3_GFX90A:TG_SPLIT: 0
	.section	.text._ZN7rocprim17ROCPRIM_400000_NS6detail17trampoline_kernelINS0_14default_configENS1_22reduce_config_selectorIN6thrust23THRUST_200600_302600_NS5tupleIblNS6_9null_typeES8_S8_S8_S8_S8_S8_S8_EEEEZNS1_11reduce_implILb1ES3_NS6_12zip_iteratorINS7_INS6_11hip_rocprim26transform_input_iterator_tIbNSD_35transform_pair_of_input_iterators_tIbNS6_6detail15normal_iteratorINS6_10device_ptrIKiEEEESL_NS6_8equal_toIiEEEENSG_9not_fun_tINSD_8identityEEEEENSD_19counting_iterator_tIlEES8_S8_S8_S8_S8_S8_S8_S8_EEEEPS9_S9_NSD_9__find_if7functorIS9_EEEE10hipError_tPvRmT1_T2_T3_mT4_P12ihipStream_tbEUlT_E0_NS1_11comp_targetILNS1_3genE5ELNS1_11target_archE942ELNS1_3gpuE9ELNS1_3repE0EEENS1_30default_config_static_selectorELNS0_4arch9wavefront6targetE1EEEvS14_,"axG",@progbits,_ZN7rocprim17ROCPRIM_400000_NS6detail17trampoline_kernelINS0_14default_configENS1_22reduce_config_selectorIN6thrust23THRUST_200600_302600_NS5tupleIblNS6_9null_typeES8_S8_S8_S8_S8_S8_S8_EEEEZNS1_11reduce_implILb1ES3_NS6_12zip_iteratorINS7_INS6_11hip_rocprim26transform_input_iterator_tIbNSD_35transform_pair_of_input_iterators_tIbNS6_6detail15normal_iteratorINS6_10device_ptrIKiEEEESL_NS6_8equal_toIiEEEENSG_9not_fun_tINSD_8identityEEEEENSD_19counting_iterator_tIlEES8_S8_S8_S8_S8_S8_S8_S8_EEEEPS9_S9_NSD_9__find_if7functorIS9_EEEE10hipError_tPvRmT1_T2_T3_mT4_P12ihipStream_tbEUlT_E0_NS1_11comp_targetILNS1_3genE5ELNS1_11target_archE942ELNS1_3gpuE9ELNS1_3repE0EEENS1_30default_config_static_selectorELNS0_4arch9wavefront6targetE1EEEvS14_,comdat
	.protected	_ZN7rocprim17ROCPRIM_400000_NS6detail17trampoline_kernelINS0_14default_configENS1_22reduce_config_selectorIN6thrust23THRUST_200600_302600_NS5tupleIblNS6_9null_typeES8_S8_S8_S8_S8_S8_S8_EEEEZNS1_11reduce_implILb1ES3_NS6_12zip_iteratorINS7_INS6_11hip_rocprim26transform_input_iterator_tIbNSD_35transform_pair_of_input_iterators_tIbNS6_6detail15normal_iteratorINS6_10device_ptrIKiEEEESL_NS6_8equal_toIiEEEENSG_9not_fun_tINSD_8identityEEEEENSD_19counting_iterator_tIlEES8_S8_S8_S8_S8_S8_S8_S8_EEEEPS9_S9_NSD_9__find_if7functorIS9_EEEE10hipError_tPvRmT1_T2_T3_mT4_P12ihipStream_tbEUlT_E0_NS1_11comp_targetILNS1_3genE5ELNS1_11target_archE942ELNS1_3gpuE9ELNS1_3repE0EEENS1_30default_config_static_selectorELNS0_4arch9wavefront6targetE1EEEvS14_ ; -- Begin function _ZN7rocprim17ROCPRIM_400000_NS6detail17trampoline_kernelINS0_14default_configENS1_22reduce_config_selectorIN6thrust23THRUST_200600_302600_NS5tupleIblNS6_9null_typeES8_S8_S8_S8_S8_S8_S8_EEEEZNS1_11reduce_implILb1ES3_NS6_12zip_iteratorINS7_INS6_11hip_rocprim26transform_input_iterator_tIbNSD_35transform_pair_of_input_iterators_tIbNS6_6detail15normal_iteratorINS6_10device_ptrIKiEEEESL_NS6_8equal_toIiEEEENSG_9not_fun_tINSD_8identityEEEEENSD_19counting_iterator_tIlEES8_S8_S8_S8_S8_S8_S8_S8_EEEEPS9_S9_NSD_9__find_if7functorIS9_EEEE10hipError_tPvRmT1_T2_T3_mT4_P12ihipStream_tbEUlT_E0_NS1_11comp_targetILNS1_3genE5ELNS1_11target_archE942ELNS1_3gpuE9ELNS1_3repE0EEENS1_30default_config_static_selectorELNS0_4arch9wavefront6targetE1EEEvS14_
	.globl	_ZN7rocprim17ROCPRIM_400000_NS6detail17trampoline_kernelINS0_14default_configENS1_22reduce_config_selectorIN6thrust23THRUST_200600_302600_NS5tupleIblNS6_9null_typeES8_S8_S8_S8_S8_S8_S8_EEEEZNS1_11reduce_implILb1ES3_NS6_12zip_iteratorINS7_INS6_11hip_rocprim26transform_input_iterator_tIbNSD_35transform_pair_of_input_iterators_tIbNS6_6detail15normal_iteratorINS6_10device_ptrIKiEEEESL_NS6_8equal_toIiEEEENSG_9not_fun_tINSD_8identityEEEEENSD_19counting_iterator_tIlEES8_S8_S8_S8_S8_S8_S8_S8_EEEEPS9_S9_NSD_9__find_if7functorIS9_EEEE10hipError_tPvRmT1_T2_T3_mT4_P12ihipStream_tbEUlT_E0_NS1_11comp_targetILNS1_3genE5ELNS1_11target_archE942ELNS1_3gpuE9ELNS1_3repE0EEENS1_30default_config_static_selectorELNS0_4arch9wavefront6targetE1EEEvS14_
	.p2align	8
	.type	_ZN7rocprim17ROCPRIM_400000_NS6detail17trampoline_kernelINS0_14default_configENS1_22reduce_config_selectorIN6thrust23THRUST_200600_302600_NS5tupleIblNS6_9null_typeES8_S8_S8_S8_S8_S8_S8_EEEEZNS1_11reduce_implILb1ES3_NS6_12zip_iteratorINS7_INS6_11hip_rocprim26transform_input_iterator_tIbNSD_35transform_pair_of_input_iterators_tIbNS6_6detail15normal_iteratorINS6_10device_ptrIKiEEEESL_NS6_8equal_toIiEEEENSG_9not_fun_tINSD_8identityEEEEENSD_19counting_iterator_tIlEES8_S8_S8_S8_S8_S8_S8_S8_EEEEPS9_S9_NSD_9__find_if7functorIS9_EEEE10hipError_tPvRmT1_T2_T3_mT4_P12ihipStream_tbEUlT_E0_NS1_11comp_targetILNS1_3genE5ELNS1_11target_archE942ELNS1_3gpuE9ELNS1_3repE0EEENS1_30default_config_static_selectorELNS0_4arch9wavefront6targetE1EEEvS14_,@function
_ZN7rocprim17ROCPRIM_400000_NS6detail17trampoline_kernelINS0_14default_configENS1_22reduce_config_selectorIN6thrust23THRUST_200600_302600_NS5tupleIblNS6_9null_typeES8_S8_S8_S8_S8_S8_S8_EEEEZNS1_11reduce_implILb1ES3_NS6_12zip_iteratorINS7_INS6_11hip_rocprim26transform_input_iterator_tIbNSD_35transform_pair_of_input_iterators_tIbNS6_6detail15normal_iteratorINS6_10device_ptrIKiEEEESL_NS6_8equal_toIiEEEENSG_9not_fun_tINSD_8identityEEEEENSD_19counting_iterator_tIlEES8_S8_S8_S8_S8_S8_S8_S8_EEEEPS9_S9_NSD_9__find_if7functorIS9_EEEE10hipError_tPvRmT1_T2_T3_mT4_P12ihipStream_tbEUlT_E0_NS1_11comp_targetILNS1_3genE5ELNS1_11target_archE942ELNS1_3gpuE9ELNS1_3repE0EEENS1_30default_config_static_selectorELNS0_4arch9wavefront6targetE1EEEvS14_: ; @_ZN7rocprim17ROCPRIM_400000_NS6detail17trampoline_kernelINS0_14default_configENS1_22reduce_config_selectorIN6thrust23THRUST_200600_302600_NS5tupleIblNS6_9null_typeES8_S8_S8_S8_S8_S8_S8_EEEEZNS1_11reduce_implILb1ES3_NS6_12zip_iteratorINS7_INS6_11hip_rocprim26transform_input_iterator_tIbNSD_35transform_pair_of_input_iterators_tIbNS6_6detail15normal_iteratorINS6_10device_ptrIKiEEEESL_NS6_8equal_toIiEEEENSG_9not_fun_tINSD_8identityEEEEENSD_19counting_iterator_tIlEES8_S8_S8_S8_S8_S8_S8_S8_EEEEPS9_S9_NSD_9__find_if7functorIS9_EEEE10hipError_tPvRmT1_T2_T3_mT4_P12ihipStream_tbEUlT_E0_NS1_11comp_targetILNS1_3genE5ELNS1_11target_archE942ELNS1_3gpuE9ELNS1_3repE0EEENS1_30default_config_static_selectorELNS0_4arch9wavefront6targetE1EEEvS14_
; %bb.0:
	.section	.rodata,"a",@progbits
	.p2align	6, 0x0
	.amdhsa_kernel _ZN7rocprim17ROCPRIM_400000_NS6detail17trampoline_kernelINS0_14default_configENS1_22reduce_config_selectorIN6thrust23THRUST_200600_302600_NS5tupleIblNS6_9null_typeES8_S8_S8_S8_S8_S8_S8_EEEEZNS1_11reduce_implILb1ES3_NS6_12zip_iteratorINS7_INS6_11hip_rocprim26transform_input_iterator_tIbNSD_35transform_pair_of_input_iterators_tIbNS6_6detail15normal_iteratorINS6_10device_ptrIKiEEEESL_NS6_8equal_toIiEEEENSG_9not_fun_tINSD_8identityEEEEENSD_19counting_iterator_tIlEES8_S8_S8_S8_S8_S8_S8_S8_EEEEPS9_S9_NSD_9__find_if7functorIS9_EEEE10hipError_tPvRmT1_T2_T3_mT4_P12ihipStream_tbEUlT_E0_NS1_11comp_targetILNS1_3genE5ELNS1_11target_archE942ELNS1_3gpuE9ELNS1_3repE0EEENS1_30default_config_static_selectorELNS0_4arch9wavefront6targetE1EEEvS14_
		.amdhsa_group_segment_fixed_size 0
		.amdhsa_private_segment_fixed_size 0
		.amdhsa_kernarg_size 104
		.amdhsa_user_sgpr_count 6
		.amdhsa_user_sgpr_private_segment_buffer 1
		.amdhsa_user_sgpr_dispatch_ptr 0
		.amdhsa_user_sgpr_queue_ptr 0
		.amdhsa_user_sgpr_kernarg_segment_ptr 1
		.amdhsa_user_sgpr_dispatch_id 0
		.amdhsa_user_sgpr_flat_scratch_init 0
		.amdhsa_user_sgpr_kernarg_preload_length 0
		.amdhsa_user_sgpr_kernarg_preload_offset 0
		.amdhsa_user_sgpr_private_segment_size 0
		.amdhsa_uses_dynamic_stack 0
		.amdhsa_system_sgpr_private_segment_wavefront_offset 0
		.amdhsa_system_sgpr_workgroup_id_x 1
		.amdhsa_system_sgpr_workgroup_id_y 0
		.amdhsa_system_sgpr_workgroup_id_z 0
		.amdhsa_system_sgpr_workgroup_info 0
		.amdhsa_system_vgpr_workitem_id 0
		.amdhsa_next_free_vgpr 1
		.amdhsa_next_free_sgpr 0
		.amdhsa_accum_offset 4
		.amdhsa_reserve_vcc 0
		.amdhsa_reserve_flat_scratch 0
		.amdhsa_float_round_mode_32 0
		.amdhsa_float_round_mode_16_64 0
		.amdhsa_float_denorm_mode_32 3
		.amdhsa_float_denorm_mode_16_64 3
		.amdhsa_dx10_clamp 1
		.amdhsa_ieee_mode 1
		.amdhsa_fp16_overflow 0
		.amdhsa_tg_split 0
		.amdhsa_exception_fp_ieee_invalid_op 0
		.amdhsa_exception_fp_denorm_src 0
		.amdhsa_exception_fp_ieee_div_zero 0
		.amdhsa_exception_fp_ieee_overflow 0
		.amdhsa_exception_fp_ieee_underflow 0
		.amdhsa_exception_fp_ieee_inexact 0
		.amdhsa_exception_int_div_zero 0
	.end_amdhsa_kernel
	.section	.text._ZN7rocprim17ROCPRIM_400000_NS6detail17trampoline_kernelINS0_14default_configENS1_22reduce_config_selectorIN6thrust23THRUST_200600_302600_NS5tupleIblNS6_9null_typeES8_S8_S8_S8_S8_S8_S8_EEEEZNS1_11reduce_implILb1ES3_NS6_12zip_iteratorINS7_INS6_11hip_rocprim26transform_input_iterator_tIbNSD_35transform_pair_of_input_iterators_tIbNS6_6detail15normal_iteratorINS6_10device_ptrIKiEEEESL_NS6_8equal_toIiEEEENSG_9not_fun_tINSD_8identityEEEEENSD_19counting_iterator_tIlEES8_S8_S8_S8_S8_S8_S8_S8_EEEEPS9_S9_NSD_9__find_if7functorIS9_EEEE10hipError_tPvRmT1_T2_T3_mT4_P12ihipStream_tbEUlT_E0_NS1_11comp_targetILNS1_3genE5ELNS1_11target_archE942ELNS1_3gpuE9ELNS1_3repE0EEENS1_30default_config_static_selectorELNS0_4arch9wavefront6targetE1EEEvS14_,"axG",@progbits,_ZN7rocprim17ROCPRIM_400000_NS6detail17trampoline_kernelINS0_14default_configENS1_22reduce_config_selectorIN6thrust23THRUST_200600_302600_NS5tupleIblNS6_9null_typeES8_S8_S8_S8_S8_S8_S8_EEEEZNS1_11reduce_implILb1ES3_NS6_12zip_iteratorINS7_INS6_11hip_rocprim26transform_input_iterator_tIbNSD_35transform_pair_of_input_iterators_tIbNS6_6detail15normal_iteratorINS6_10device_ptrIKiEEEESL_NS6_8equal_toIiEEEENSG_9not_fun_tINSD_8identityEEEEENSD_19counting_iterator_tIlEES8_S8_S8_S8_S8_S8_S8_S8_EEEEPS9_S9_NSD_9__find_if7functorIS9_EEEE10hipError_tPvRmT1_T2_T3_mT4_P12ihipStream_tbEUlT_E0_NS1_11comp_targetILNS1_3genE5ELNS1_11target_archE942ELNS1_3gpuE9ELNS1_3repE0EEENS1_30default_config_static_selectorELNS0_4arch9wavefront6targetE1EEEvS14_,comdat
.Lfunc_end487:
	.size	_ZN7rocprim17ROCPRIM_400000_NS6detail17trampoline_kernelINS0_14default_configENS1_22reduce_config_selectorIN6thrust23THRUST_200600_302600_NS5tupleIblNS6_9null_typeES8_S8_S8_S8_S8_S8_S8_EEEEZNS1_11reduce_implILb1ES3_NS6_12zip_iteratorINS7_INS6_11hip_rocprim26transform_input_iterator_tIbNSD_35transform_pair_of_input_iterators_tIbNS6_6detail15normal_iteratorINS6_10device_ptrIKiEEEESL_NS6_8equal_toIiEEEENSG_9not_fun_tINSD_8identityEEEEENSD_19counting_iterator_tIlEES8_S8_S8_S8_S8_S8_S8_S8_EEEEPS9_S9_NSD_9__find_if7functorIS9_EEEE10hipError_tPvRmT1_T2_T3_mT4_P12ihipStream_tbEUlT_E0_NS1_11comp_targetILNS1_3genE5ELNS1_11target_archE942ELNS1_3gpuE9ELNS1_3repE0EEENS1_30default_config_static_selectorELNS0_4arch9wavefront6targetE1EEEvS14_, .Lfunc_end487-_ZN7rocprim17ROCPRIM_400000_NS6detail17trampoline_kernelINS0_14default_configENS1_22reduce_config_selectorIN6thrust23THRUST_200600_302600_NS5tupleIblNS6_9null_typeES8_S8_S8_S8_S8_S8_S8_EEEEZNS1_11reduce_implILb1ES3_NS6_12zip_iteratorINS7_INS6_11hip_rocprim26transform_input_iterator_tIbNSD_35transform_pair_of_input_iterators_tIbNS6_6detail15normal_iteratorINS6_10device_ptrIKiEEEESL_NS6_8equal_toIiEEEENSG_9not_fun_tINSD_8identityEEEEENSD_19counting_iterator_tIlEES8_S8_S8_S8_S8_S8_S8_S8_EEEEPS9_S9_NSD_9__find_if7functorIS9_EEEE10hipError_tPvRmT1_T2_T3_mT4_P12ihipStream_tbEUlT_E0_NS1_11comp_targetILNS1_3genE5ELNS1_11target_archE942ELNS1_3gpuE9ELNS1_3repE0EEENS1_30default_config_static_selectorELNS0_4arch9wavefront6targetE1EEEvS14_
                                        ; -- End function
	.section	.AMDGPU.csdata,"",@progbits
; Kernel info:
; codeLenInByte = 0
; NumSgprs: 4
; NumVgprs: 0
; NumAgprs: 0
; TotalNumVgprs: 0
; ScratchSize: 0
; MemoryBound: 0
; FloatMode: 240
; IeeeMode: 1
; LDSByteSize: 0 bytes/workgroup (compile time only)
; SGPRBlocks: 0
; VGPRBlocks: 0
; NumSGPRsForWavesPerEU: 4
; NumVGPRsForWavesPerEU: 1
; AccumOffset: 4
; Occupancy: 8
; WaveLimiterHint : 0
; COMPUTE_PGM_RSRC2:SCRATCH_EN: 0
; COMPUTE_PGM_RSRC2:USER_SGPR: 6
; COMPUTE_PGM_RSRC2:TRAP_HANDLER: 0
; COMPUTE_PGM_RSRC2:TGID_X_EN: 1
; COMPUTE_PGM_RSRC2:TGID_Y_EN: 0
; COMPUTE_PGM_RSRC2:TGID_Z_EN: 0
; COMPUTE_PGM_RSRC2:TIDIG_COMP_CNT: 0
; COMPUTE_PGM_RSRC3_GFX90A:ACCUM_OFFSET: 0
; COMPUTE_PGM_RSRC3_GFX90A:TG_SPLIT: 0
	.section	.text._ZN7rocprim17ROCPRIM_400000_NS6detail17trampoline_kernelINS0_14default_configENS1_22reduce_config_selectorIN6thrust23THRUST_200600_302600_NS5tupleIblNS6_9null_typeES8_S8_S8_S8_S8_S8_S8_EEEEZNS1_11reduce_implILb1ES3_NS6_12zip_iteratorINS7_INS6_11hip_rocprim26transform_input_iterator_tIbNSD_35transform_pair_of_input_iterators_tIbNS6_6detail15normal_iteratorINS6_10device_ptrIKiEEEESL_NS6_8equal_toIiEEEENSG_9not_fun_tINSD_8identityEEEEENSD_19counting_iterator_tIlEES8_S8_S8_S8_S8_S8_S8_S8_EEEEPS9_S9_NSD_9__find_if7functorIS9_EEEE10hipError_tPvRmT1_T2_T3_mT4_P12ihipStream_tbEUlT_E0_NS1_11comp_targetILNS1_3genE4ELNS1_11target_archE910ELNS1_3gpuE8ELNS1_3repE0EEENS1_30default_config_static_selectorELNS0_4arch9wavefront6targetE1EEEvS14_,"axG",@progbits,_ZN7rocprim17ROCPRIM_400000_NS6detail17trampoline_kernelINS0_14default_configENS1_22reduce_config_selectorIN6thrust23THRUST_200600_302600_NS5tupleIblNS6_9null_typeES8_S8_S8_S8_S8_S8_S8_EEEEZNS1_11reduce_implILb1ES3_NS6_12zip_iteratorINS7_INS6_11hip_rocprim26transform_input_iterator_tIbNSD_35transform_pair_of_input_iterators_tIbNS6_6detail15normal_iteratorINS6_10device_ptrIKiEEEESL_NS6_8equal_toIiEEEENSG_9not_fun_tINSD_8identityEEEEENSD_19counting_iterator_tIlEES8_S8_S8_S8_S8_S8_S8_S8_EEEEPS9_S9_NSD_9__find_if7functorIS9_EEEE10hipError_tPvRmT1_T2_T3_mT4_P12ihipStream_tbEUlT_E0_NS1_11comp_targetILNS1_3genE4ELNS1_11target_archE910ELNS1_3gpuE8ELNS1_3repE0EEENS1_30default_config_static_selectorELNS0_4arch9wavefront6targetE1EEEvS14_,comdat
	.protected	_ZN7rocprim17ROCPRIM_400000_NS6detail17trampoline_kernelINS0_14default_configENS1_22reduce_config_selectorIN6thrust23THRUST_200600_302600_NS5tupleIblNS6_9null_typeES8_S8_S8_S8_S8_S8_S8_EEEEZNS1_11reduce_implILb1ES3_NS6_12zip_iteratorINS7_INS6_11hip_rocprim26transform_input_iterator_tIbNSD_35transform_pair_of_input_iterators_tIbNS6_6detail15normal_iteratorINS6_10device_ptrIKiEEEESL_NS6_8equal_toIiEEEENSG_9not_fun_tINSD_8identityEEEEENSD_19counting_iterator_tIlEES8_S8_S8_S8_S8_S8_S8_S8_EEEEPS9_S9_NSD_9__find_if7functorIS9_EEEE10hipError_tPvRmT1_T2_T3_mT4_P12ihipStream_tbEUlT_E0_NS1_11comp_targetILNS1_3genE4ELNS1_11target_archE910ELNS1_3gpuE8ELNS1_3repE0EEENS1_30default_config_static_selectorELNS0_4arch9wavefront6targetE1EEEvS14_ ; -- Begin function _ZN7rocprim17ROCPRIM_400000_NS6detail17trampoline_kernelINS0_14default_configENS1_22reduce_config_selectorIN6thrust23THRUST_200600_302600_NS5tupleIblNS6_9null_typeES8_S8_S8_S8_S8_S8_S8_EEEEZNS1_11reduce_implILb1ES3_NS6_12zip_iteratorINS7_INS6_11hip_rocprim26transform_input_iterator_tIbNSD_35transform_pair_of_input_iterators_tIbNS6_6detail15normal_iteratorINS6_10device_ptrIKiEEEESL_NS6_8equal_toIiEEEENSG_9not_fun_tINSD_8identityEEEEENSD_19counting_iterator_tIlEES8_S8_S8_S8_S8_S8_S8_S8_EEEEPS9_S9_NSD_9__find_if7functorIS9_EEEE10hipError_tPvRmT1_T2_T3_mT4_P12ihipStream_tbEUlT_E0_NS1_11comp_targetILNS1_3genE4ELNS1_11target_archE910ELNS1_3gpuE8ELNS1_3repE0EEENS1_30default_config_static_selectorELNS0_4arch9wavefront6targetE1EEEvS14_
	.globl	_ZN7rocprim17ROCPRIM_400000_NS6detail17trampoline_kernelINS0_14default_configENS1_22reduce_config_selectorIN6thrust23THRUST_200600_302600_NS5tupleIblNS6_9null_typeES8_S8_S8_S8_S8_S8_S8_EEEEZNS1_11reduce_implILb1ES3_NS6_12zip_iteratorINS7_INS6_11hip_rocprim26transform_input_iterator_tIbNSD_35transform_pair_of_input_iterators_tIbNS6_6detail15normal_iteratorINS6_10device_ptrIKiEEEESL_NS6_8equal_toIiEEEENSG_9not_fun_tINSD_8identityEEEEENSD_19counting_iterator_tIlEES8_S8_S8_S8_S8_S8_S8_S8_EEEEPS9_S9_NSD_9__find_if7functorIS9_EEEE10hipError_tPvRmT1_T2_T3_mT4_P12ihipStream_tbEUlT_E0_NS1_11comp_targetILNS1_3genE4ELNS1_11target_archE910ELNS1_3gpuE8ELNS1_3repE0EEENS1_30default_config_static_selectorELNS0_4arch9wavefront6targetE1EEEvS14_
	.p2align	8
	.type	_ZN7rocprim17ROCPRIM_400000_NS6detail17trampoline_kernelINS0_14default_configENS1_22reduce_config_selectorIN6thrust23THRUST_200600_302600_NS5tupleIblNS6_9null_typeES8_S8_S8_S8_S8_S8_S8_EEEEZNS1_11reduce_implILb1ES3_NS6_12zip_iteratorINS7_INS6_11hip_rocprim26transform_input_iterator_tIbNSD_35transform_pair_of_input_iterators_tIbNS6_6detail15normal_iteratorINS6_10device_ptrIKiEEEESL_NS6_8equal_toIiEEEENSG_9not_fun_tINSD_8identityEEEEENSD_19counting_iterator_tIlEES8_S8_S8_S8_S8_S8_S8_S8_EEEEPS9_S9_NSD_9__find_if7functorIS9_EEEE10hipError_tPvRmT1_T2_T3_mT4_P12ihipStream_tbEUlT_E0_NS1_11comp_targetILNS1_3genE4ELNS1_11target_archE910ELNS1_3gpuE8ELNS1_3repE0EEENS1_30default_config_static_selectorELNS0_4arch9wavefront6targetE1EEEvS14_,@function
_ZN7rocprim17ROCPRIM_400000_NS6detail17trampoline_kernelINS0_14default_configENS1_22reduce_config_selectorIN6thrust23THRUST_200600_302600_NS5tupleIblNS6_9null_typeES8_S8_S8_S8_S8_S8_S8_EEEEZNS1_11reduce_implILb1ES3_NS6_12zip_iteratorINS7_INS6_11hip_rocprim26transform_input_iterator_tIbNSD_35transform_pair_of_input_iterators_tIbNS6_6detail15normal_iteratorINS6_10device_ptrIKiEEEESL_NS6_8equal_toIiEEEENSG_9not_fun_tINSD_8identityEEEEENSD_19counting_iterator_tIlEES8_S8_S8_S8_S8_S8_S8_S8_EEEEPS9_S9_NSD_9__find_if7functorIS9_EEEE10hipError_tPvRmT1_T2_T3_mT4_P12ihipStream_tbEUlT_E0_NS1_11comp_targetILNS1_3genE4ELNS1_11target_archE910ELNS1_3gpuE8ELNS1_3repE0EEENS1_30default_config_static_selectorELNS0_4arch9wavefront6targetE1EEEvS14_: ; @_ZN7rocprim17ROCPRIM_400000_NS6detail17trampoline_kernelINS0_14default_configENS1_22reduce_config_selectorIN6thrust23THRUST_200600_302600_NS5tupleIblNS6_9null_typeES8_S8_S8_S8_S8_S8_S8_EEEEZNS1_11reduce_implILb1ES3_NS6_12zip_iteratorINS7_INS6_11hip_rocprim26transform_input_iterator_tIbNSD_35transform_pair_of_input_iterators_tIbNS6_6detail15normal_iteratorINS6_10device_ptrIKiEEEESL_NS6_8equal_toIiEEEENSG_9not_fun_tINSD_8identityEEEEENSD_19counting_iterator_tIlEES8_S8_S8_S8_S8_S8_S8_S8_EEEEPS9_S9_NSD_9__find_if7functorIS9_EEEE10hipError_tPvRmT1_T2_T3_mT4_P12ihipStream_tbEUlT_E0_NS1_11comp_targetILNS1_3genE4ELNS1_11target_archE910ELNS1_3gpuE8ELNS1_3repE0EEENS1_30default_config_static_selectorELNS0_4arch9wavefront6targetE1EEEvS14_
; %bb.0:
	s_load_dwordx8 s[8:15], s[4:5], 0x20
	s_load_dwordx4 s[0:3], s[4:5], 0x0
	s_load_dwordx4 s[16:19], s[4:5], 0x40
	s_mov_b32 s25, 0
	s_mov_b32 s7, s25
	s_waitcnt lgkmcnt(0)
	s_lshl_b64 s[20:21], s[10:11], 2
	s_add_u32 s22, s0, s20
	s_addc_u32 s23, s1, s21
	s_add_u32 s26, s2, s20
	s_addc_u32 s27, s3, s21
	s_lshl_b32 s24, s6, 9
	s_lshr_b64 s[0:1], s[12:13], 9
	s_lshl_b64 s[2:3], s[24:25], 2
	s_add_u32 s20, s22, s2
	s_addc_u32 s21, s23, s3
	s_add_u32 s22, s26, s2
	s_addc_u32 s23, s27, s3
	s_add_u32 s2, s8, s24
	s_addc_u32 s3, s9, 0
	s_add_u32 s8, s2, s10
	s_addc_u32 s9, s3, s11
	s_cmp_lg_u64 s[0:1], s[6:7]
	v_lshlrev_b32_e32 v1, 2, v0
	s_cbranch_scc0 .LBB488_18
; %bb.1:
	global_load_dword v2, v1, s[22:23] offset:1024
	global_load_dword v3, v1, s[22:23]
	global_load_dword v4, v1, s[20:21] offset:1024
	global_load_dword v5, v1, s[20:21]
	v_mov_b32_e32 v6, s9
	v_add_co_u32_e32 v7, vcc, s8, v0
	v_addc_co_u32_e32 v6, vcc, 0, v6, vcc
	v_add_co_u32_e32 v8, vcc, 0x100, v7
	v_addc_co_u32_e32 v9, vcc, 0, v6, vcc
	s_waitcnt vmcnt(1)
	v_cmp_ne_u32_e32 vcc, v4, v2
	s_waitcnt vmcnt(0)
	v_cmp_ne_u32_e64 s[0:1], v5, v3
	v_cndmask_b32_e64 v3, v9, v6, s[0:1]
	v_cndmask_b32_e64 v2, v8, v7, s[0:1]
	s_or_b64 s[0:1], s[0:1], vcc
	v_cndmask_b32_e64 v6, 0, 1, s[0:1]
	v_mov_b32_dpp v4, v2 quad_perm:[1,0,3,2] row_mask:0xf bank_mask:0xf bound_ctrl:1
	v_mov_b32_dpp v5, v3 quad_perm:[1,0,3,2] row_mask:0xf bank_mask:0xf bound_ctrl:1
	;; [unrolled: 1-line block ×3, first 2 shown]
	v_and_b32_e32 v8, 1, v7
	v_cmp_eq_u32_e32 vcc, 1, v8
	s_and_saveexec_b64 s[2:3], vcc
; %bb.2:
	v_cmp_lt_i64_e32 vcc, v[2:3], v[4:5]
	v_cndmask_b32_e64 v7, v7, 1, s[0:1]
	s_and_b64 vcc, s[0:1], vcc
	v_cndmask_b32_e32 v2, v4, v2, vcc
	v_and_b32_e32 v4, 1, v7
	v_cndmask_b32_e32 v3, v5, v3, vcc
	v_cmp_eq_u32_e32 vcc, 1, v4
	s_andn2_b64 s[0:1], s[0:1], exec
	s_and_b64 s[10:11], vcc, exec
	v_and_b32_e32 v6, 0xff, v7
	s_or_b64 s[0:1], s[0:1], s[10:11]
; %bb.3:
	s_or_b64 exec, exec, s[2:3]
	v_mov_b32_dpp v7, v6 quad_perm:[2,3,0,1] row_mask:0xf bank_mask:0xf bound_ctrl:1
	v_and_b32_e32 v8, 1, v7
	v_mov_b32_dpp v4, v2 quad_perm:[2,3,0,1] row_mask:0xf bank_mask:0xf bound_ctrl:1
	v_mov_b32_dpp v5, v3 quad_perm:[2,3,0,1] row_mask:0xf bank_mask:0xf bound_ctrl:1
	v_cmp_eq_u32_e32 vcc, 1, v8
	s_and_saveexec_b64 s[2:3], vcc
; %bb.4:
	v_cmp_lt_i64_e32 vcc, v[2:3], v[4:5]
	v_cndmask_b32_e64 v7, v7, 1, s[0:1]
	s_and_b64 vcc, s[0:1], vcc
	v_cndmask_b32_e32 v2, v4, v2, vcc
	v_and_b32_e32 v4, 1, v7
	v_cndmask_b32_e32 v3, v5, v3, vcc
	v_cmp_eq_u32_e32 vcc, 1, v4
	s_andn2_b64 s[0:1], s[0:1], exec
	s_and_b64 s[10:11], vcc, exec
	v_and_b32_e32 v6, 0xff, v7
	s_or_b64 s[0:1], s[0:1], s[10:11]
; %bb.5:
	s_or_b64 exec, exec, s[2:3]
	v_mov_b32_dpp v7, v6 row_ror:4 row_mask:0xf bank_mask:0xf bound_ctrl:1
	v_and_b32_e32 v8, 1, v7
	v_mov_b32_dpp v4, v2 row_ror:4 row_mask:0xf bank_mask:0xf bound_ctrl:1
	v_mov_b32_dpp v5, v3 row_ror:4 row_mask:0xf bank_mask:0xf bound_ctrl:1
	v_cmp_eq_u32_e32 vcc, 1, v8
	s_and_saveexec_b64 s[2:3], vcc
; %bb.6:
	v_cmp_lt_i64_e32 vcc, v[2:3], v[4:5]
	v_cndmask_b32_e64 v7, v7, 1, s[0:1]
	s_and_b64 vcc, s[0:1], vcc
	v_cndmask_b32_e32 v2, v4, v2, vcc
	v_and_b32_e32 v4, 1, v7
	v_cndmask_b32_e32 v3, v5, v3, vcc
	v_cmp_eq_u32_e32 vcc, 1, v4
	s_andn2_b64 s[0:1], s[0:1], exec
	s_and_b64 s[10:11], vcc, exec
	v_and_b32_e32 v6, 0xff, v7
	s_or_b64 s[0:1], s[0:1], s[10:11]
; %bb.7:
	s_or_b64 exec, exec, s[2:3]
	v_mov_b32_dpp v7, v6 row_ror:8 row_mask:0xf bank_mask:0xf bound_ctrl:1
	v_and_b32_e32 v8, 1, v7
	v_mov_b32_dpp v4, v2 row_ror:8 row_mask:0xf bank_mask:0xf bound_ctrl:1
	v_mov_b32_dpp v5, v3 row_ror:8 row_mask:0xf bank_mask:0xf bound_ctrl:1
	v_cmp_eq_u32_e32 vcc, 1, v8
	s_and_saveexec_b64 s[2:3], vcc
; %bb.8:
	v_cmp_lt_i64_e32 vcc, v[2:3], v[4:5]
	v_cndmask_b32_e64 v7, v7, 1, s[0:1]
	s_and_b64 vcc, s[0:1], vcc
	v_cndmask_b32_e32 v2, v4, v2, vcc
	v_and_b32_e32 v4, 1, v7
	v_cndmask_b32_e32 v3, v5, v3, vcc
	v_cmp_eq_u32_e32 vcc, 1, v4
	s_andn2_b64 s[0:1], s[0:1], exec
	s_and_b64 s[10:11], vcc, exec
	v_and_b32_e32 v6, 0xff, v7
	s_or_b64 s[0:1], s[0:1], s[10:11]
; %bb.9:
	s_or_b64 exec, exec, s[2:3]
	v_mov_b32_dpp v7, v6 row_bcast:15 row_mask:0xf bank_mask:0xf bound_ctrl:1
	v_and_b32_e32 v8, 1, v7
	v_mov_b32_dpp v4, v2 row_bcast:15 row_mask:0xf bank_mask:0xf bound_ctrl:1
	v_mov_b32_dpp v5, v3 row_bcast:15 row_mask:0xf bank_mask:0xf bound_ctrl:1
	v_cmp_eq_u32_e32 vcc, 1, v8
	s_and_saveexec_b64 s[2:3], vcc
; %bb.10:
	v_cmp_lt_i64_e32 vcc, v[2:3], v[4:5]
	v_cndmask_b32_e64 v7, v7, 1, s[0:1]
	s_and_b64 vcc, s[0:1], vcc
	v_cndmask_b32_e32 v2, v4, v2, vcc
	v_and_b32_e32 v4, 1, v7
	v_cndmask_b32_e32 v3, v5, v3, vcc
	v_cmp_eq_u32_e32 vcc, 1, v4
	s_andn2_b64 s[0:1], s[0:1], exec
	s_and_b64 s[10:11], vcc, exec
	v_and_b32_e32 v6, 0xff, v7
	s_or_b64 s[0:1], s[0:1], s[10:11]
; %bb.11:
	s_or_b64 exec, exec, s[2:3]
	v_mov_b32_dpp v7, v6 row_bcast:31 row_mask:0xf bank_mask:0xf bound_ctrl:1
	v_and_b32_e32 v8, 1, v7
	v_mov_b32_dpp v4, v2 row_bcast:31 row_mask:0xf bank_mask:0xf bound_ctrl:1
	v_mov_b32_dpp v5, v3 row_bcast:31 row_mask:0xf bank_mask:0xf bound_ctrl:1
	v_cmp_eq_u32_e32 vcc, 1, v8
	s_and_saveexec_b64 s[2:3], vcc
; %bb.12:
	v_cmp_lt_i64_e32 vcc, v[2:3], v[4:5]
	v_and_b32_e32 v6, 0xff, v7
	s_and_b64 vcc, s[0:1], vcc
	v_cndmask_b32_e32 v2, v4, v2, vcc
	v_cndmask_b32_e32 v3, v5, v3, vcc
	v_cndmask_b32_e64 v6, v6, 1, s[0:1]
; %bb.13:
	s_or_b64 exec, exec, s[2:3]
	v_mbcnt_lo_u32_b32 v4, -1, 0
	v_mbcnt_hi_u32_b32 v4, -1, v4
	v_bfrev_b32_e32 v5, 0.5
	v_lshl_or_b32 v5, v4, 2, v5
	ds_bpermute_b32 v6, v5, v6
	ds_bpermute_b32 v2, v5, v2
	;; [unrolled: 1-line block ×3, first 2 shown]
	v_cmp_eq_u32_e32 vcc, 0, v4
	s_and_saveexec_b64 s[0:1], vcc
	s_cbranch_execz .LBB488_15
; %bb.14:
	v_lshrrev_b32_e32 v5, 2, v0
	v_and_b32_e32 v5, 48, v5
	s_waitcnt lgkmcnt(2)
	ds_write_b8 v5, v6
	s_waitcnt lgkmcnt(1)
	ds_write_b64 v5, v[2:3] offset:8
.LBB488_15:
	s_or_b64 exec, exec, s[0:1]
	v_cmp_gt_u32_e32 vcc, 64, v0
	s_waitcnt lgkmcnt(0)
	s_barrier
	s_and_saveexec_b64 s[2:3], vcc
	s_cbranch_execz .LBB488_17
; %bb.16:
	v_and_b32_e32 v5, 3, v4
	v_lshlrev_b32_e32 v2, 4, v5
	ds_read_u8 v8, v2
	ds_read_b64 v[2:3], v2 offset:8
	v_cmp_ne_u32_e32 vcc, 3, v5
	v_addc_co_u32_e32 v6, vcc, 0, v4, vcc
	s_waitcnt lgkmcnt(1)
	v_and_b32_e32 v7, 0xff, v8
	v_lshlrev_b32_e32 v9, 2, v6
	ds_bpermute_b32 v10, v9, v7
	s_waitcnt lgkmcnt(1)
	ds_bpermute_b32 v6, v9, v2
	ds_bpermute_b32 v7, v9, v3
	v_and_b32_e32 v9, 1, v8
	s_waitcnt lgkmcnt(2)
	v_and_b32_e32 v11, 1, v10
	v_cmp_eq_u32_e64 s[0:1], 1, v11
	s_waitcnt lgkmcnt(0)
	v_cmp_lt_i64_e32 vcc, v[6:7], v[2:3]
	s_and_b64 vcc, s[0:1], vcc
	v_cndmask_b32_e64 v8, v8, 1, s[0:1]
	v_cndmask_b32_e32 v2, v2, v6, vcc
	v_cndmask_b32_e32 v3, v3, v7, vcc
	v_cmp_eq_u32_e32 vcc, 1, v9
	v_cndmask_b32_e32 v8, v10, v8, vcc
	v_cndmask_b32_e32 v3, v7, v3, vcc
	v_cndmask_b32_e32 v2, v6, v2, vcc
	v_cmp_gt_u32_e32 vcc, 2, v5
	v_cndmask_b32_e64 v5, 0, 1, vcc
	v_lshlrev_b32_e32 v5, 1, v5
	v_and_b32_e32 v6, 0xff, v8
	v_add_lshl_u32 v5, v5, v4, 2
	ds_bpermute_b32 v6, v5, v6
	ds_bpermute_b32 v4, v5, v2
	;; [unrolled: 1-line block ×3, first 2 shown]
	v_and_b32_e32 v7, 1, v8
	s_waitcnt lgkmcnt(2)
	v_and_b32_e32 v9, 1, v6
	v_cmp_eq_u32_e64 s[0:1], 1, v9
	s_waitcnt lgkmcnt(0)
	v_cmp_lt_i64_e32 vcc, v[4:5], v[2:3]
	s_and_b64 vcc, s[0:1], vcc
	v_cndmask_b32_e64 v8, v8, 1, s[0:1]
	v_cndmask_b32_e32 v2, v2, v4, vcc
	v_cndmask_b32_e32 v3, v3, v5, vcc
	v_cmp_eq_u32_e32 vcc, 1, v7
	v_cndmask_b32_e32 v6, v6, v8, vcc
	v_cndmask_b32_e32 v3, v5, v3, vcc
	;; [unrolled: 1-line block ×3, first 2 shown]
	v_and_b32_e32 v6, 0xff, v6
.LBB488_17:
	s_or_b64 exec, exec, s[2:3]
	s_load_dword s10, s[4:5], 0x50
	s_load_dwordx2 s[2:3], s[4:5], 0x58
	s_branch .LBB488_46
.LBB488_18:
                                        ; implicit-def: $vgpr2_vgpr3
                                        ; implicit-def: $vgpr6
	s_load_dword s10, s[4:5], 0x50
	s_load_dwordx2 s[2:3], s[4:5], 0x58
	s_cbranch_execz .LBB488_46
; %bb.19:
	s_sub_i32 s11, s12, s24
	v_pk_mov_b32 v[4:5], 0, 0
	v_cmp_gt_u32_e32 vcc, s11, v0
	v_mov_b32_e32 v6, 0
	v_pk_mov_b32 v[2:3], v[4:5], v[4:5] op_sel:[0,1]
	v_mov_b32_e32 v7, 0
	s_and_saveexec_b64 s[0:1], vcc
	s_cbranch_execz .LBB488_21
; %bb.20:
	global_load_dword v7, v1, s[20:21]
	global_load_dword v8, v1, s[22:23]
	v_mov_b32_e32 v3, s9
	v_add_co_u32_e32 v2, vcc, s8, v0
	v_addc_co_u32_e32 v3, vcc, 0, v3, vcc
	s_waitcnt vmcnt(0)
	v_cmp_ne_u32_e32 vcc, v7, v8
	v_cndmask_b32_e64 v7, 0, 1, vcc
.LBB488_21:
	s_or_b64 exec, exec, s[0:1]
	v_or_b32_e32 v8, 0x100, v0
	v_cmp_gt_u32_e32 vcc, s11, v8
	s_and_saveexec_b64 s[4:5], vcc
	s_cbranch_execz .LBB488_23
; %bb.22:
	global_load_dword v6, v1, s[20:21] offset:1024
	global_load_dword v9, v1, s[22:23] offset:1024
	v_mov_b32_e32 v1, s9
	v_add_co_u32_e64 v4, s[0:1], s8, v8
	v_addc_co_u32_e64 v5, s[0:1], 0, v1, s[0:1]
	s_waitcnt vmcnt(0)
	v_cmp_ne_u32_e64 s[0:1], v6, v9
	v_cndmask_b32_e64 v6, 0, 1, s[0:1]
.LBB488_23:
	s_or_b64 exec, exec, s[4:5]
	s_and_saveexec_b64 s[4:5], vcc
	s_cbranch_execz .LBB488_25
; %bb.24:
	v_and_b32_e32 v8, 1, v6
	v_cmp_lt_i64_e32 vcc, v[4:5], v[2:3]
	v_cmp_eq_u32_e64 s[0:1], 1, v8
	v_and_b32_e32 v1, 1, v7
	s_and_b64 vcc, s[0:1], vcc
	v_cndmask_b32_e64 v7, v7, 1, s[0:1]
	v_cndmask_b32_e32 v2, v2, v4, vcc
	v_cndmask_b32_e32 v3, v3, v5, vcc
	v_cmp_eq_u32_e32 vcc, 1, v1
	v_cndmask_b32_e32 v7, v6, v7, vcc
	v_cndmask_b32_e32 v3, v5, v3, vcc
	v_cndmask_b32_e32 v2, v4, v2, vcc
.LBB488_25:
	s_or_b64 exec, exec, s[4:5]
	v_mbcnt_lo_u32_b32 v1, -1, 0
	v_mbcnt_hi_u32_b32 v1, -1, v1
	v_and_b32_e32 v8, 63, v1
	v_cmp_ne_u32_e32 vcc, 63, v8
	v_addc_co_u32_e32 v4, vcc, 0, v1, vcc
	v_and_b32_e32 v6, 0xffff, v7
	v_lshlrev_b32_e32 v5, 2, v4
	ds_bpermute_b32 v10, v5, v6
	ds_bpermute_b32 v4, v5, v2
	;; [unrolled: 1-line block ×3, first 2 shown]
	s_min_u32 s8, s11, 0x100
	v_and_b32_e32 v9, 0xc0, v0
	v_sub_u32_e64 v9, s8, v9 clamp
	v_add_u32_e32 v11, 1, v8
	v_cmp_lt_u32_e32 vcc, v11, v9
	s_and_saveexec_b64 s[4:5], vcc
	s_cbranch_execz .LBB488_27
; %bb.26:
	s_waitcnt lgkmcnt(0)
	v_and_b32_e32 v11, 1, v10
	v_cmp_lt_i64_e32 vcc, v[4:5], v[2:3]
	v_cmp_eq_u32_e64 s[0:1], 1, v11
	v_and_b32_e32 v6, 1, v7
	s_and_b64 vcc, s[0:1], vcc
	v_cndmask_b32_e64 v7, v7, 1, s[0:1]
	v_cndmask_b32_e32 v2, v2, v4, vcc
	v_cndmask_b32_e32 v3, v3, v5, vcc
	v_cmp_eq_u32_e32 vcc, 1, v6
	v_cndmask_b32_e32 v7, v10, v7, vcc
	v_cndmask_b32_e32 v3, v5, v3, vcc
	;; [unrolled: 1-line block ×3, first 2 shown]
	v_and_b32_e32 v6, 0xff, v7
.LBB488_27:
	s_or_b64 exec, exec, s[4:5]
	v_cmp_gt_u32_e32 vcc, 62, v8
	s_waitcnt lgkmcnt(0)
	v_cndmask_b32_e64 v4, 0, 1, vcc
	v_lshlrev_b32_e32 v4, 1, v4
	v_add_lshl_u32 v5, v4, v1, 2
	ds_bpermute_b32 v10, v5, v6
	ds_bpermute_b32 v4, v5, v2
	ds_bpermute_b32 v5, v5, v3
	v_add_u32_e32 v11, 2, v8
	v_cmp_lt_u32_e32 vcc, v11, v9
	s_and_saveexec_b64 s[4:5], vcc
	s_cbranch_execz .LBB488_29
; %bb.28:
	s_waitcnt lgkmcnt(2)
	v_and_b32_e32 v11, 1, v10
	s_waitcnt lgkmcnt(0)
	v_cmp_lt_i64_e32 vcc, v[4:5], v[2:3]
	v_cmp_eq_u32_e64 s[0:1], 1, v11
	v_and_b32_e32 v6, 1, v7
	s_and_b64 vcc, s[0:1], vcc
	v_cndmask_b32_e64 v7, v7, 1, s[0:1]
	v_cndmask_b32_e32 v2, v2, v4, vcc
	v_cndmask_b32_e32 v3, v3, v5, vcc
	v_cmp_eq_u32_e32 vcc, 1, v6
	v_cndmask_b32_e32 v7, v10, v7, vcc
	v_cndmask_b32_e32 v3, v5, v3, vcc
	v_cndmask_b32_e32 v2, v4, v2, vcc
	v_and_b32_e32 v6, 0xff, v7
.LBB488_29:
	s_or_b64 exec, exec, s[4:5]
	v_cmp_gt_u32_e32 vcc, 60, v8
	s_waitcnt lgkmcnt(1)
	v_cndmask_b32_e64 v4, 0, 1, vcc
	v_lshlrev_b32_e32 v4, 2, v4
	s_waitcnt lgkmcnt(0)
	v_add_lshl_u32 v5, v4, v1, 2
	ds_bpermute_b32 v10, v5, v6
	ds_bpermute_b32 v4, v5, v2
	ds_bpermute_b32 v5, v5, v3
	v_add_u32_e32 v11, 4, v8
	v_cmp_lt_u32_e32 vcc, v11, v9
	s_and_saveexec_b64 s[4:5], vcc
	s_cbranch_execz .LBB488_31
; %bb.30:
	s_waitcnt lgkmcnt(2)
	v_and_b32_e32 v11, 1, v10
	s_waitcnt lgkmcnt(0)
	v_cmp_lt_i64_e32 vcc, v[4:5], v[2:3]
	v_cmp_eq_u32_e64 s[0:1], 1, v11
	v_and_b32_e32 v6, 1, v7
	s_and_b64 vcc, s[0:1], vcc
	v_cndmask_b32_e64 v7, v7, 1, s[0:1]
	v_cndmask_b32_e32 v2, v2, v4, vcc
	v_cndmask_b32_e32 v3, v3, v5, vcc
	v_cmp_eq_u32_e32 vcc, 1, v6
	v_cndmask_b32_e32 v7, v10, v7, vcc
	v_cndmask_b32_e32 v3, v5, v3, vcc
	v_cndmask_b32_e32 v2, v4, v2, vcc
	v_and_b32_e32 v6, 0xff, v7
.LBB488_31:
	s_or_b64 exec, exec, s[4:5]
	v_cmp_gt_u32_e32 vcc, 56, v8
	s_waitcnt lgkmcnt(1)
	v_cndmask_b32_e64 v4, 0, 1, vcc
	v_lshlrev_b32_e32 v4, 3, v4
	s_waitcnt lgkmcnt(0)
	;; [unrolled: 31-line block ×4, first 2 shown]
	v_add_lshl_u32 v5, v4, v1, 2
	ds_bpermute_b32 v10, v5, v6
	ds_bpermute_b32 v4, v5, v2
	;; [unrolled: 1-line block ×3, first 2 shown]
	v_add_u32_e32 v8, 32, v8
	v_cmp_lt_u32_e32 vcc, v8, v9
	s_and_saveexec_b64 s[4:5], vcc
	s_cbranch_execz .LBB488_37
; %bb.36:
	s_waitcnt lgkmcnt(2)
	v_and_b32_e32 v8, 1, v10
	s_waitcnt lgkmcnt(0)
	v_cmp_lt_i64_e32 vcc, v[4:5], v[2:3]
	v_cmp_eq_u32_e64 s[0:1], 1, v8
	v_and_b32_e32 v6, 1, v7
	s_and_b64 vcc, s[0:1], vcc
	v_cndmask_b32_e64 v7, v7, 1, s[0:1]
	v_cndmask_b32_e32 v2, v2, v4, vcc
	v_cndmask_b32_e32 v3, v3, v5, vcc
	v_cmp_eq_u32_e32 vcc, 1, v6
	v_cndmask_b32_e32 v7, v10, v7, vcc
	v_cndmask_b32_e32 v3, v5, v3, vcc
	;; [unrolled: 1-line block ×3, first 2 shown]
	v_and_b32_e32 v6, 0xff, v7
.LBB488_37:
	s_or_b64 exec, exec, s[4:5]
	v_cmp_eq_u32_e32 vcc, 0, v1
	s_and_saveexec_b64 s[0:1], vcc
	s_cbranch_execz .LBB488_39
; %bb.38:
	s_waitcnt lgkmcnt(1)
	v_lshrrev_b32_e32 v4, 2, v0
	v_and_b32_e32 v4, 48, v4
	ds_write_b8 v4, v7 offset:64
	ds_write_b64 v4, v[2:3] offset:72
.LBB488_39:
	s_or_b64 exec, exec, s[0:1]
	v_cmp_gt_u32_e32 vcc, 4, v0
	s_waitcnt lgkmcnt(0)
	s_barrier
	s_and_saveexec_b64 s[4:5], vcc
	s_cbranch_execz .LBB488_45
; %bb.40:
	v_lshlrev_b32_e32 v2, 4, v1
	ds_read_u8 v7, v2 offset:64
	ds_read_b64 v[2:3], v2 offset:72
	v_and_b32_e32 v8, 3, v1
	v_cmp_ne_u32_e32 vcc, 3, v8
	v_addc_co_u32_e32 v4, vcc, 0, v1, vcc
	s_waitcnt lgkmcnt(1)
	v_and_b32_e32 v6, 0xff, v7
	v_lshlrev_b32_e32 v5, 2, v4
	ds_bpermute_b32 v9, v5, v6
	s_waitcnt lgkmcnt(1)
	ds_bpermute_b32 v4, v5, v2
	ds_bpermute_b32 v5, v5, v3
	s_add_i32 s8, s8, 63
	s_lshr_b32 s11, s8, 6
	v_add_u32_e32 v10, 1, v8
	v_cmp_gt_u32_e32 vcc, s11, v10
	s_and_saveexec_b64 s[8:9], vcc
	s_cbranch_execz .LBB488_42
; %bb.41:
	s_waitcnt lgkmcnt(2)
	v_and_b32_e32 v10, 1, v9
	s_waitcnt lgkmcnt(0)
	v_cmp_lt_i64_e32 vcc, v[4:5], v[2:3]
	v_cmp_eq_u32_e64 s[0:1], 1, v10
	v_and_b32_e32 v6, 1, v7
	s_and_b64 vcc, s[0:1], vcc
	v_cndmask_b32_e64 v7, v7, 1, s[0:1]
	v_cndmask_b32_e32 v2, v2, v4, vcc
	v_cndmask_b32_e32 v3, v3, v5, vcc
	v_cmp_eq_u32_e32 vcc, 1, v6
	v_cndmask_b32_e32 v7, v9, v7, vcc
	v_cndmask_b32_e32 v3, v5, v3, vcc
	;; [unrolled: 1-line block ×3, first 2 shown]
	v_and_b32_e32 v6, 0xff, v7
.LBB488_42:
	s_or_b64 exec, exec, s[8:9]
	v_cmp_gt_u32_e32 vcc, 2, v8
	s_waitcnt lgkmcnt(1)
	v_cndmask_b32_e64 v4, 0, 1, vcc
	v_lshlrev_b32_e32 v4, 1, v4
	s_waitcnt lgkmcnt(0)
	v_add_lshl_u32 v5, v4, v1, 2
	ds_bpermute_b32 v1, v5, v6
	ds_bpermute_b32 v4, v5, v2
	;; [unrolled: 1-line block ×3, first 2 shown]
	v_add_u32_e32 v8, 2, v8
	v_cmp_gt_u32_e32 vcc, s11, v8
	s_and_saveexec_b64 s[8:9], vcc
	s_cbranch_execz .LBB488_44
; %bb.43:
	s_waitcnt lgkmcnt(2)
	v_and_b32_e32 v8, 1, v1
	s_waitcnt lgkmcnt(0)
	v_cmp_lt_i64_e32 vcc, v[4:5], v[2:3]
	v_cmp_eq_u32_e64 s[0:1], 1, v8
	v_and_b32_e32 v6, 1, v7
	s_and_b64 vcc, s[0:1], vcc
	v_cndmask_b32_e64 v7, v7, 1, s[0:1]
	v_cndmask_b32_e32 v2, v2, v4, vcc
	v_cndmask_b32_e32 v3, v3, v5, vcc
	v_cmp_eq_u32_e32 vcc, 1, v6
	v_cndmask_b32_e32 v1, v1, v7, vcc
	v_cndmask_b32_e32 v3, v5, v3, vcc
	;; [unrolled: 1-line block ×3, first 2 shown]
	v_and_b32_e32 v6, 0xff, v1
.LBB488_44:
	s_or_b64 exec, exec, s[8:9]
.LBB488_45:
	s_or_b64 exec, exec, s[4:5]
.LBB488_46:
	v_cmp_eq_u32_e32 vcc, 0, v0
	s_and_saveexec_b64 s[0:1], vcc
	s_cbranch_execnz .LBB488_48
; %bb.47:
	s_endpgm
.LBB488_48:
	s_mul_i32 s0, s18, s17
	s_mul_hi_u32 s1, s18, s16
	s_add_i32 s0, s1, s0
	s_mul_i32 s1, s19, s16
	s_add_i32 s1, s0, s1
	s_mul_i32 s0, s18, s16
	s_lshl_b64 s[0:1], s[0:1], 4
	s_add_u32 s4, s14, s0
	s_addc_u32 s5, s15, s1
	s_cmp_eq_u64 s[12:13], 0
	s_waitcnt lgkmcnt(0)
	v_mov_b32_e32 v0, s3
	s_cselect_b64 vcc, -1, 0
	v_cndmask_b32_e32 v1, v3, v0, vcc
	v_mov_b32_e32 v0, s2
	s_lshl_b64 s[0:1], s[6:7], 4
	v_cndmask_b32_e32 v0, v2, v0, vcc
	v_mov_b32_e32 v2, s10
	s_add_u32 s0, s4, s0
	v_cndmask_b32_e32 v2, v6, v2, vcc
	s_addc_u32 s1, s5, s1
	v_mov_b32_e32 v3, 0
	global_store_byte v3, v2, s[0:1]
	global_store_dwordx2 v3, v[0:1], s[0:1] offset:8
	s_endpgm
	.section	.rodata,"a",@progbits
	.p2align	6, 0x0
	.amdhsa_kernel _ZN7rocprim17ROCPRIM_400000_NS6detail17trampoline_kernelINS0_14default_configENS1_22reduce_config_selectorIN6thrust23THRUST_200600_302600_NS5tupleIblNS6_9null_typeES8_S8_S8_S8_S8_S8_S8_EEEEZNS1_11reduce_implILb1ES3_NS6_12zip_iteratorINS7_INS6_11hip_rocprim26transform_input_iterator_tIbNSD_35transform_pair_of_input_iterators_tIbNS6_6detail15normal_iteratorINS6_10device_ptrIKiEEEESL_NS6_8equal_toIiEEEENSG_9not_fun_tINSD_8identityEEEEENSD_19counting_iterator_tIlEES8_S8_S8_S8_S8_S8_S8_S8_EEEEPS9_S9_NSD_9__find_if7functorIS9_EEEE10hipError_tPvRmT1_T2_T3_mT4_P12ihipStream_tbEUlT_E0_NS1_11comp_targetILNS1_3genE4ELNS1_11target_archE910ELNS1_3gpuE8ELNS1_3repE0EEENS1_30default_config_static_selectorELNS0_4arch9wavefront6targetE1EEEvS14_
		.amdhsa_group_segment_fixed_size 128
		.amdhsa_private_segment_fixed_size 0
		.amdhsa_kernarg_size 104
		.amdhsa_user_sgpr_count 6
		.amdhsa_user_sgpr_private_segment_buffer 1
		.amdhsa_user_sgpr_dispatch_ptr 0
		.amdhsa_user_sgpr_queue_ptr 0
		.amdhsa_user_sgpr_kernarg_segment_ptr 1
		.amdhsa_user_sgpr_dispatch_id 0
		.amdhsa_user_sgpr_flat_scratch_init 0
		.amdhsa_user_sgpr_kernarg_preload_length 0
		.amdhsa_user_sgpr_kernarg_preload_offset 0
		.amdhsa_user_sgpr_private_segment_size 0
		.amdhsa_uses_dynamic_stack 0
		.amdhsa_system_sgpr_private_segment_wavefront_offset 0
		.amdhsa_system_sgpr_workgroup_id_x 1
		.amdhsa_system_sgpr_workgroup_id_y 0
		.amdhsa_system_sgpr_workgroup_id_z 0
		.amdhsa_system_sgpr_workgroup_info 0
		.amdhsa_system_vgpr_workitem_id 0
		.amdhsa_next_free_vgpr 12
		.amdhsa_next_free_sgpr 28
		.amdhsa_accum_offset 12
		.amdhsa_reserve_vcc 1
		.amdhsa_reserve_flat_scratch 0
		.amdhsa_float_round_mode_32 0
		.amdhsa_float_round_mode_16_64 0
		.amdhsa_float_denorm_mode_32 3
		.amdhsa_float_denorm_mode_16_64 3
		.amdhsa_dx10_clamp 1
		.amdhsa_ieee_mode 1
		.amdhsa_fp16_overflow 0
		.amdhsa_tg_split 0
		.amdhsa_exception_fp_ieee_invalid_op 0
		.amdhsa_exception_fp_denorm_src 0
		.amdhsa_exception_fp_ieee_div_zero 0
		.amdhsa_exception_fp_ieee_overflow 0
		.amdhsa_exception_fp_ieee_underflow 0
		.amdhsa_exception_fp_ieee_inexact 0
		.amdhsa_exception_int_div_zero 0
	.end_amdhsa_kernel
	.section	.text._ZN7rocprim17ROCPRIM_400000_NS6detail17trampoline_kernelINS0_14default_configENS1_22reduce_config_selectorIN6thrust23THRUST_200600_302600_NS5tupleIblNS6_9null_typeES8_S8_S8_S8_S8_S8_S8_EEEEZNS1_11reduce_implILb1ES3_NS6_12zip_iteratorINS7_INS6_11hip_rocprim26transform_input_iterator_tIbNSD_35transform_pair_of_input_iterators_tIbNS6_6detail15normal_iteratorINS6_10device_ptrIKiEEEESL_NS6_8equal_toIiEEEENSG_9not_fun_tINSD_8identityEEEEENSD_19counting_iterator_tIlEES8_S8_S8_S8_S8_S8_S8_S8_EEEEPS9_S9_NSD_9__find_if7functorIS9_EEEE10hipError_tPvRmT1_T2_T3_mT4_P12ihipStream_tbEUlT_E0_NS1_11comp_targetILNS1_3genE4ELNS1_11target_archE910ELNS1_3gpuE8ELNS1_3repE0EEENS1_30default_config_static_selectorELNS0_4arch9wavefront6targetE1EEEvS14_,"axG",@progbits,_ZN7rocprim17ROCPRIM_400000_NS6detail17trampoline_kernelINS0_14default_configENS1_22reduce_config_selectorIN6thrust23THRUST_200600_302600_NS5tupleIblNS6_9null_typeES8_S8_S8_S8_S8_S8_S8_EEEEZNS1_11reduce_implILb1ES3_NS6_12zip_iteratorINS7_INS6_11hip_rocprim26transform_input_iterator_tIbNSD_35transform_pair_of_input_iterators_tIbNS6_6detail15normal_iteratorINS6_10device_ptrIKiEEEESL_NS6_8equal_toIiEEEENSG_9not_fun_tINSD_8identityEEEEENSD_19counting_iterator_tIlEES8_S8_S8_S8_S8_S8_S8_S8_EEEEPS9_S9_NSD_9__find_if7functorIS9_EEEE10hipError_tPvRmT1_T2_T3_mT4_P12ihipStream_tbEUlT_E0_NS1_11comp_targetILNS1_3genE4ELNS1_11target_archE910ELNS1_3gpuE8ELNS1_3repE0EEENS1_30default_config_static_selectorELNS0_4arch9wavefront6targetE1EEEvS14_,comdat
.Lfunc_end488:
	.size	_ZN7rocprim17ROCPRIM_400000_NS6detail17trampoline_kernelINS0_14default_configENS1_22reduce_config_selectorIN6thrust23THRUST_200600_302600_NS5tupleIblNS6_9null_typeES8_S8_S8_S8_S8_S8_S8_EEEEZNS1_11reduce_implILb1ES3_NS6_12zip_iteratorINS7_INS6_11hip_rocprim26transform_input_iterator_tIbNSD_35transform_pair_of_input_iterators_tIbNS6_6detail15normal_iteratorINS6_10device_ptrIKiEEEESL_NS6_8equal_toIiEEEENSG_9not_fun_tINSD_8identityEEEEENSD_19counting_iterator_tIlEES8_S8_S8_S8_S8_S8_S8_S8_EEEEPS9_S9_NSD_9__find_if7functorIS9_EEEE10hipError_tPvRmT1_T2_T3_mT4_P12ihipStream_tbEUlT_E0_NS1_11comp_targetILNS1_3genE4ELNS1_11target_archE910ELNS1_3gpuE8ELNS1_3repE0EEENS1_30default_config_static_selectorELNS0_4arch9wavefront6targetE1EEEvS14_, .Lfunc_end488-_ZN7rocprim17ROCPRIM_400000_NS6detail17trampoline_kernelINS0_14default_configENS1_22reduce_config_selectorIN6thrust23THRUST_200600_302600_NS5tupleIblNS6_9null_typeES8_S8_S8_S8_S8_S8_S8_EEEEZNS1_11reduce_implILb1ES3_NS6_12zip_iteratorINS7_INS6_11hip_rocprim26transform_input_iterator_tIbNSD_35transform_pair_of_input_iterators_tIbNS6_6detail15normal_iteratorINS6_10device_ptrIKiEEEESL_NS6_8equal_toIiEEEENSG_9not_fun_tINSD_8identityEEEEENSD_19counting_iterator_tIlEES8_S8_S8_S8_S8_S8_S8_S8_EEEEPS9_S9_NSD_9__find_if7functorIS9_EEEE10hipError_tPvRmT1_T2_T3_mT4_P12ihipStream_tbEUlT_E0_NS1_11comp_targetILNS1_3genE4ELNS1_11target_archE910ELNS1_3gpuE8ELNS1_3repE0EEENS1_30default_config_static_selectorELNS0_4arch9wavefront6targetE1EEEvS14_
                                        ; -- End function
	.section	.AMDGPU.csdata,"",@progbits
; Kernel info:
; codeLenInByte = 2844
; NumSgprs: 32
; NumVgprs: 12
; NumAgprs: 0
; TotalNumVgprs: 12
; ScratchSize: 0
; MemoryBound: 0
; FloatMode: 240
; IeeeMode: 1
; LDSByteSize: 128 bytes/workgroup (compile time only)
; SGPRBlocks: 3
; VGPRBlocks: 1
; NumSGPRsForWavesPerEU: 32
; NumVGPRsForWavesPerEU: 12
; AccumOffset: 12
; Occupancy: 8
; WaveLimiterHint : 0
; COMPUTE_PGM_RSRC2:SCRATCH_EN: 0
; COMPUTE_PGM_RSRC2:USER_SGPR: 6
; COMPUTE_PGM_RSRC2:TRAP_HANDLER: 0
; COMPUTE_PGM_RSRC2:TGID_X_EN: 1
; COMPUTE_PGM_RSRC2:TGID_Y_EN: 0
; COMPUTE_PGM_RSRC2:TGID_Z_EN: 0
; COMPUTE_PGM_RSRC2:TIDIG_COMP_CNT: 0
; COMPUTE_PGM_RSRC3_GFX90A:ACCUM_OFFSET: 2
; COMPUTE_PGM_RSRC3_GFX90A:TG_SPLIT: 0
	.section	.text._ZN7rocprim17ROCPRIM_400000_NS6detail17trampoline_kernelINS0_14default_configENS1_22reduce_config_selectorIN6thrust23THRUST_200600_302600_NS5tupleIblNS6_9null_typeES8_S8_S8_S8_S8_S8_S8_EEEEZNS1_11reduce_implILb1ES3_NS6_12zip_iteratorINS7_INS6_11hip_rocprim26transform_input_iterator_tIbNSD_35transform_pair_of_input_iterators_tIbNS6_6detail15normal_iteratorINS6_10device_ptrIKiEEEESL_NS6_8equal_toIiEEEENSG_9not_fun_tINSD_8identityEEEEENSD_19counting_iterator_tIlEES8_S8_S8_S8_S8_S8_S8_S8_EEEEPS9_S9_NSD_9__find_if7functorIS9_EEEE10hipError_tPvRmT1_T2_T3_mT4_P12ihipStream_tbEUlT_E0_NS1_11comp_targetILNS1_3genE3ELNS1_11target_archE908ELNS1_3gpuE7ELNS1_3repE0EEENS1_30default_config_static_selectorELNS0_4arch9wavefront6targetE1EEEvS14_,"axG",@progbits,_ZN7rocprim17ROCPRIM_400000_NS6detail17trampoline_kernelINS0_14default_configENS1_22reduce_config_selectorIN6thrust23THRUST_200600_302600_NS5tupleIblNS6_9null_typeES8_S8_S8_S8_S8_S8_S8_EEEEZNS1_11reduce_implILb1ES3_NS6_12zip_iteratorINS7_INS6_11hip_rocprim26transform_input_iterator_tIbNSD_35transform_pair_of_input_iterators_tIbNS6_6detail15normal_iteratorINS6_10device_ptrIKiEEEESL_NS6_8equal_toIiEEEENSG_9not_fun_tINSD_8identityEEEEENSD_19counting_iterator_tIlEES8_S8_S8_S8_S8_S8_S8_S8_EEEEPS9_S9_NSD_9__find_if7functorIS9_EEEE10hipError_tPvRmT1_T2_T3_mT4_P12ihipStream_tbEUlT_E0_NS1_11comp_targetILNS1_3genE3ELNS1_11target_archE908ELNS1_3gpuE7ELNS1_3repE0EEENS1_30default_config_static_selectorELNS0_4arch9wavefront6targetE1EEEvS14_,comdat
	.protected	_ZN7rocprim17ROCPRIM_400000_NS6detail17trampoline_kernelINS0_14default_configENS1_22reduce_config_selectorIN6thrust23THRUST_200600_302600_NS5tupleIblNS6_9null_typeES8_S8_S8_S8_S8_S8_S8_EEEEZNS1_11reduce_implILb1ES3_NS6_12zip_iteratorINS7_INS6_11hip_rocprim26transform_input_iterator_tIbNSD_35transform_pair_of_input_iterators_tIbNS6_6detail15normal_iteratorINS6_10device_ptrIKiEEEESL_NS6_8equal_toIiEEEENSG_9not_fun_tINSD_8identityEEEEENSD_19counting_iterator_tIlEES8_S8_S8_S8_S8_S8_S8_S8_EEEEPS9_S9_NSD_9__find_if7functorIS9_EEEE10hipError_tPvRmT1_T2_T3_mT4_P12ihipStream_tbEUlT_E0_NS1_11comp_targetILNS1_3genE3ELNS1_11target_archE908ELNS1_3gpuE7ELNS1_3repE0EEENS1_30default_config_static_selectorELNS0_4arch9wavefront6targetE1EEEvS14_ ; -- Begin function _ZN7rocprim17ROCPRIM_400000_NS6detail17trampoline_kernelINS0_14default_configENS1_22reduce_config_selectorIN6thrust23THRUST_200600_302600_NS5tupleIblNS6_9null_typeES8_S8_S8_S8_S8_S8_S8_EEEEZNS1_11reduce_implILb1ES3_NS6_12zip_iteratorINS7_INS6_11hip_rocprim26transform_input_iterator_tIbNSD_35transform_pair_of_input_iterators_tIbNS6_6detail15normal_iteratorINS6_10device_ptrIKiEEEESL_NS6_8equal_toIiEEEENSG_9not_fun_tINSD_8identityEEEEENSD_19counting_iterator_tIlEES8_S8_S8_S8_S8_S8_S8_S8_EEEEPS9_S9_NSD_9__find_if7functorIS9_EEEE10hipError_tPvRmT1_T2_T3_mT4_P12ihipStream_tbEUlT_E0_NS1_11comp_targetILNS1_3genE3ELNS1_11target_archE908ELNS1_3gpuE7ELNS1_3repE0EEENS1_30default_config_static_selectorELNS0_4arch9wavefront6targetE1EEEvS14_
	.globl	_ZN7rocprim17ROCPRIM_400000_NS6detail17trampoline_kernelINS0_14default_configENS1_22reduce_config_selectorIN6thrust23THRUST_200600_302600_NS5tupleIblNS6_9null_typeES8_S8_S8_S8_S8_S8_S8_EEEEZNS1_11reduce_implILb1ES3_NS6_12zip_iteratorINS7_INS6_11hip_rocprim26transform_input_iterator_tIbNSD_35transform_pair_of_input_iterators_tIbNS6_6detail15normal_iteratorINS6_10device_ptrIKiEEEESL_NS6_8equal_toIiEEEENSG_9not_fun_tINSD_8identityEEEEENSD_19counting_iterator_tIlEES8_S8_S8_S8_S8_S8_S8_S8_EEEEPS9_S9_NSD_9__find_if7functorIS9_EEEE10hipError_tPvRmT1_T2_T3_mT4_P12ihipStream_tbEUlT_E0_NS1_11comp_targetILNS1_3genE3ELNS1_11target_archE908ELNS1_3gpuE7ELNS1_3repE0EEENS1_30default_config_static_selectorELNS0_4arch9wavefront6targetE1EEEvS14_
	.p2align	8
	.type	_ZN7rocprim17ROCPRIM_400000_NS6detail17trampoline_kernelINS0_14default_configENS1_22reduce_config_selectorIN6thrust23THRUST_200600_302600_NS5tupleIblNS6_9null_typeES8_S8_S8_S8_S8_S8_S8_EEEEZNS1_11reduce_implILb1ES3_NS6_12zip_iteratorINS7_INS6_11hip_rocprim26transform_input_iterator_tIbNSD_35transform_pair_of_input_iterators_tIbNS6_6detail15normal_iteratorINS6_10device_ptrIKiEEEESL_NS6_8equal_toIiEEEENSG_9not_fun_tINSD_8identityEEEEENSD_19counting_iterator_tIlEES8_S8_S8_S8_S8_S8_S8_S8_EEEEPS9_S9_NSD_9__find_if7functorIS9_EEEE10hipError_tPvRmT1_T2_T3_mT4_P12ihipStream_tbEUlT_E0_NS1_11comp_targetILNS1_3genE3ELNS1_11target_archE908ELNS1_3gpuE7ELNS1_3repE0EEENS1_30default_config_static_selectorELNS0_4arch9wavefront6targetE1EEEvS14_,@function
_ZN7rocprim17ROCPRIM_400000_NS6detail17trampoline_kernelINS0_14default_configENS1_22reduce_config_selectorIN6thrust23THRUST_200600_302600_NS5tupleIblNS6_9null_typeES8_S8_S8_S8_S8_S8_S8_EEEEZNS1_11reduce_implILb1ES3_NS6_12zip_iteratorINS7_INS6_11hip_rocprim26transform_input_iterator_tIbNSD_35transform_pair_of_input_iterators_tIbNS6_6detail15normal_iteratorINS6_10device_ptrIKiEEEESL_NS6_8equal_toIiEEEENSG_9not_fun_tINSD_8identityEEEEENSD_19counting_iterator_tIlEES8_S8_S8_S8_S8_S8_S8_S8_EEEEPS9_S9_NSD_9__find_if7functorIS9_EEEE10hipError_tPvRmT1_T2_T3_mT4_P12ihipStream_tbEUlT_E0_NS1_11comp_targetILNS1_3genE3ELNS1_11target_archE908ELNS1_3gpuE7ELNS1_3repE0EEENS1_30default_config_static_selectorELNS0_4arch9wavefront6targetE1EEEvS14_: ; @_ZN7rocprim17ROCPRIM_400000_NS6detail17trampoline_kernelINS0_14default_configENS1_22reduce_config_selectorIN6thrust23THRUST_200600_302600_NS5tupleIblNS6_9null_typeES8_S8_S8_S8_S8_S8_S8_EEEEZNS1_11reduce_implILb1ES3_NS6_12zip_iteratorINS7_INS6_11hip_rocprim26transform_input_iterator_tIbNSD_35transform_pair_of_input_iterators_tIbNS6_6detail15normal_iteratorINS6_10device_ptrIKiEEEESL_NS6_8equal_toIiEEEENSG_9not_fun_tINSD_8identityEEEEENSD_19counting_iterator_tIlEES8_S8_S8_S8_S8_S8_S8_S8_EEEEPS9_S9_NSD_9__find_if7functorIS9_EEEE10hipError_tPvRmT1_T2_T3_mT4_P12ihipStream_tbEUlT_E0_NS1_11comp_targetILNS1_3genE3ELNS1_11target_archE908ELNS1_3gpuE7ELNS1_3repE0EEENS1_30default_config_static_selectorELNS0_4arch9wavefront6targetE1EEEvS14_
; %bb.0:
	.section	.rodata,"a",@progbits
	.p2align	6, 0x0
	.amdhsa_kernel _ZN7rocprim17ROCPRIM_400000_NS6detail17trampoline_kernelINS0_14default_configENS1_22reduce_config_selectorIN6thrust23THRUST_200600_302600_NS5tupleIblNS6_9null_typeES8_S8_S8_S8_S8_S8_S8_EEEEZNS1_11reduce_implILb1ES3_NS6_12zip_iteratorINS7_INS6_11hip_rocprim26transform_input_iterator_tIbNSD_35transform_pair_of_input_iterators_tIbNS6_6detail15normal_iteratorINS6_10device_ptrIKiEEEESL_NS6_8equal_toIiEEEENSG_9not_fun_tINSD_8identityEEEEENSD_19counting_iterator_tIlEES8_S8_S8_S8_S8_S8_S8_S8_EEEEPS9_S9_NSD_9__find_if7functorIS9_EEEE10hipError_tPvRmT1_T2_T3_mT4_P12ihipStream_tbEUlT_E0_NS1_11comp_targetILNS1_3genE3ELNS1_11target_archE908ELNS1_3gpuE7ELNS1_3repE0EEENS1_30default_config_static_selectorELNS0_4arch9wavefront6targetE1EEEvS14_
		.amdhsa_group_segment_fixed_size 0
		.amdhsa_private_segment_fixed_size 0
		.amdhsa_kernarg_size 104
		.amdhsa_user_sgpr_count 6
		.amdhsa_user_sgpr_private_segment_buffer 1
		.amdhsa_user_sgpr_dispatch_ptr 0
		.amdhsa_user_sgpr_queue_ptr 0
		.amdhsa_user_sgpr_kernarg_segment_ptr 1
		.amdhsa_user_sgpr_dispatch_id 0
		.amdhsa_user_sgpr_flat_scratch_init 0
		.amdhsa_user_sgpr_kernarg_preload_length 0
		.amdhsa_user_sgpr_kernarg_preload_offset 0
		.amdhsa_user_sgpr_private_segment_size 0
		.amdhsa_uses_dynamic_stack 0
		.amdhsa_system_sgpr_private_segment_wavefront_offset 0
		.amdhsa_system_sgpr_workgroup_id_x 1
		.amdhsa_system_sgpr_workgroup_id_y 0
		.amdhsa_system_sgpr_workgroup_id_z 0
		.amdhsa_system_sgpr_workgroup_info 0
		.amdhsa_system_vgpr_workitem_id 0
		.amdhsa_next_free_vgpr 1
		.amdhsa_next_free_sgpr 0
		.amdhsa_accum_offset 4
		.amdhsa_reserve_vcc 0
		.amdhsa_reserve_flat_scratch 0
		.amdhsa_float_round_mode_32 0
		.amdhsa_float_round_mode_16_64 0
		.amdhsa_float_denorm_mode_32 3
		.amdhsa_float_denorm_mode_16_64 3
		.amdhsa_dx10_clamp 1
		.amdhsa_ieee_mode 1
		.amdhsa_fp16_overflow 0
		.amdhsa_tg_split 0
		.amdhsa_exception_fp_ieee_invalid_op 0
		.amdhsa_exception_fp_denorm_src 0
		.amdhsa_exception_fp_ieee_div_zero 0
		.amdhsa_exception_fp_ieee_overflow 0
		.amdhsa_exception_fp_ieee_underflow 0
		.amdhsa_exception_fp_ieee_inexact 0
		.amdhsa_exception_int_div_zero 0
	.end_amdhsa_kernel
	.section	.text._ZN7rocprim17ROCPRIM_400000_NS6detail17trampoline_kernelINS0_14default_configENS1_22reduce_config_selectorIN6thrust23THRUST_200600_302600_NS5tupleIblNS6_9null_typeES8_S8_S8_S8_S8_S8_S8_EEEEZNS1_11reduce_implILb1ES3_NS6_12zip_iteratorINS7_INS6_11hip_rocprim26transform_input_iterator_tIbNSD_35transform_pair_of_input_iterators_tIbNS6_6detail15normal_iteratorINS6_10device_ptrIKiEEEESL_NS6_8equal_toIiEEEENSG_9not_fun_tINSD_8identityEEEEENSD_19counting_iterator_tIlEES8_S8_S8_S8_S8_S8_S8_S8_EEEEPS9_S9_NSD_9__find_if7functorIS9_EEEE10hipError_tPvRmT1_T2_T3_mT4_P12ihipStream_tbEUlT_E0_NS1_11comp_targetILNS1_3genE3ELNS1_11target_archE908ELNS1_3gpuE7ELNS1_3repE0EEENS1_30default_config_static_selectorELNS0_4arch9wavefront6targetE1EEEvS14_,"axG",@progbits,_ZN7rocprim17ROCPRIM_400000_NS6detail17trampoline_kernelINS0_14default_configENS1_22reduce_config_selectorIN6thrust23THRUST_200600_302600_NS5tupleIblNS6_9null_typeES8_S8_S8_S8_S8_S8_S8_EEEEZNS1_11reduce_implILb1ES3_NS6_12zip_iteratorINS7_INS6_11hip_rocprim26transform_input_iterator_tIbNSD_35transform_pair_of_input_iterators_tIbNS6_6detail15normal_iteratorINS6_10device_ptrIKiEEEESL_NS6_8equal_toIiEEEENSG_9not_fun_tINSD_8identityEEEEENSD_19counting_iterator_tIlEES8_S8_S8_S8_S8_S8_S8_S8_EEEEPS9_S9_NSD_9__find_if7functorIS9_EEEE10hipError_tPvRmT1_T2_T3_mT4_P12ihipStream_tbEUlT_E0_NS1_11comp_targetILNS1_3genE3ELNS1_11target_archE908ELNS1_3gpuE7ELNS1_3repE0EEENS1_30default_config_static_selectorELNS0_4arch9wavefront6targetE1EEEvS14_,comdat
.Lfunc_end489:
	.size	_ZN7rocprim17ROCPRIM_400000_NS6detail17trampoline_kernelINS0_14default_configENS1_22reduce_config_selectorIN6thrust23THRUST_200600_302600_NS5tupleIblNS6_9null_typeES8_S8_S8_S8_S8_S8_S8_EEEEZNS1_11reduce_implILb1ES3_NS6_12zip_iteratorINS7_INS6_11hip_rocprim26transform_input_iterator_tIbNSD_35transform_pair_of_input_iterators_tIbNS6_6detail15normal_iteratorINS6_10device_ptrIKiEEEESL_NS6_8equal_toIiEEEENSG_9not_fun_tINSD_8identityEEEEENSD_19counting_iterator_tIlEES8_S8_S8_S8_S8_S8_S8_S8_EEEEPS9_S9_NSD_9__find_if7functorIS9_EEEE10hipError_tPvRmT1_T2_T3_mT4_P12ihipStream_tbEUlT_E0_NS1_11comp_targetILNS1_3genE3ELNS1_11target_archE908ELNS1_3gpuE7ELNS1_3repE0EEENS1_30default_config_static_selectorELNS0_4arch9wavefront6targetE1EEEvS14_, .Lfunc_end489-_ZN7rocprim17ROCPRIM_400000_NS6detail17trampoline_kernelINS0_14default_configENS1_22reduce_config_selectorIN6thrust23THRUST_200600_302600_NS5tupleIblNS6_9null_typeES8_S8_S8_S8_S8_S8_S8_EEEEZNS1_11reduce_implILb1ES3_NS6_12zip_iteratorINS7_INS6_11hip_rocprim26transform_input_iterator_tIbNSD_35transform_pair_of_input_iterators_tIbNS6_6detail15normal_iteratorINS6_10device_ptrIKiEEEESL_NS6_8equal_toIiEEEENSG_9not_fun_tINSD_8identityEEEEENSD_19counting_iterator_tIlEES8_S8_S8_S8_S8_S8_S8_S8_EEEEPS9_S9_NSD_9__find_if7functorIS9_EEEE10hipError_tPvRmT1_T2_T3_mT4_P12ihipStream_tbEUlT_E0_NS1_11comp_targetILNS1_3genE3ELNS1_11target_archE908ELNS1_3gpuE7ELNS1_3repE0EEENS1_30default_config_static_selectorELNS0_4arch9wavefront6targetE1EEEvS14_
                                        ; -- End function
	.section	.AMDGPU.csdata,"",@progbits
; Kernel info:
; codeLenInByte = 0
; NumSgprs: 4
; NumVgprs: 0
; NumAgprs: 0
; TotalNumVgprs: 0
; ScratchSize: 0
; MemoryBound: 0
; FloatMode: 240
; IeeeMode: 1
; LDSByteSize: 0 bytes/workgroup (compile time only)
; SGPRBlocks: 0
; VGPRBlocks: 0
; NumSGPRsForWavesPerEU: 4
; NumVGPRsForWavesPerEU: 1
; AccumOffset: 4
; Occupancy: 8
; WaveLimiterHint : 0
; COMPUTE_PGM_RSRC2:SCRATCH_EN: 0
; COMPUTE_PGM_RSRC2:USER_SGPR: 6
; COMPUTE_PGM_RSRC2:TRAP_HANDLER: 0
; COMPUTE_PGM_RSRC2:TGID_X_EN: 1
; COMPUTE_PGM_RSRC2:TGID_Y_EN: 0
; COMPUTE_PGM_RSRC2:TGID_Z_EN: 0
; COMPUTE_PGM_RSRC2:TIDIG_COMP_CNT: 0
; COMPUTE_PGM_RSRC3_GFX90A:ACCUM_OFFSET: 0
; COMPUTE_PGM_RSRC3_GFX90A:TG_SPLIT: 0
	.section	.text._ZN7rocprim17ROCPRIM_400000_NS6detail17trampoline_kernelINS0_14default_configENS1_22reduce_config_selectorIN6thrust23THRUST_200600_302600_NS5tupleIblNS6_9null_typeES8_S8_S8_S8_S8_S8_S8_EEEEZNS1_11reduce_implILb1ES3_NS6_12zip_iteratorINS7_INS6_11hip_rocprim26transform_input_iterator_tIbNSD_35transform_pair_of_input_iterators_tIbNS6_6detail15normal_iteratorINS6_10device_ptrIKiEEEESL_NS6_8equal_toIiEEEENSG_9not_fun_tINSD_8identityEEEEENSD_19counting_iterator_tIlEES8_S8_S8_S8_S8_S8_S8_S8_EEEEPS9_S9_NSD_9__find_if7functorIS9_EEEE10hipError_tPvRmT1_T2_T3_mT4_P12ihipStream_tbEUlT_E0_NS1_11comp_targetILNS1_3genE2ELNS1_11target_archE906ELNS1_3gpuE6ELNS1_3repE0EEENS1_30default_config_static_selectorELNS0_4arch9wavefront6targetE1EEEvS14_,"axG",@progbits,_ZN7rocprim17ROCPRIM_400000_NS6detail17trampoline_kernelINS0_14default_configENS1_22reduce_config_selectorIN6thrust23THRUST_200600_302600_NS5tupleIblNS6_9null_typeES8_S8_S8_S8_S8_S8_S8_EEEEZNS1_11reduce_implILb1ES3_NS6_12zip_iteratorINS7_INS6_11hip_rocprim26transform_input_iterator_tIbNSD_35transform_pair_of_input_iterators_tIbNS6_6detail15normal_iteratorINS6_10device_ptrIKiEEEESL_NS6_8equal_toIiEEEENSG_9not_fun_tINSD_8identityEEEEENSD_19counting_iterator_tIlEES8_S8_S8_S8_S8_S8_S8_S8_EEEEPS9_S9_NSD_9__find_if7functorIS9_EEEE10hipError_tPvRmT1_T2_T3_mT4_P12ihipStream_tbEUlT_E0_NS1_11comp_targetILNS1_3genE2ELNS1_11target_archE906ELNS1_3gpuE6ELNS1_3repE0EEENS1_30default_config_static_selectorELNS0_4arch9wavefront6targetE1EEEvS14_,comdat
	.protected	_ZN7rocprim17ROCPRIM_400000_NS6detail17trampoline_kernelINS0_14default_configENS1_22reduce_config_selectorIN6thrust23THRUST_200600_302600_NS5tupleIblNS6_9null_typeES8_S8_S8_S8_S8_S8_S8_EEEEZNS1_11reduce_implILb1ES3_NS6_12zip_iteratorINS7_INS6_11hip_rocprim26transform_input_iterator_tIbNSD_35transform_pair_of_input_iterators_tIbNS6_6detail15normal_iteratorINS6_10device_ptrIKiEEEESL_NS6_8equal_toIiEEEENSG_9not_fun_tINSD_8identityEEEEENSD_19counting_iterator_tIlEES8_S8_S8_S8_S8_S8_S8_S8_EEEEPS9_S9_NSD_9__find_if7functorIS9_EEEE10hipError_tPvRmT1_T2_T3_mT4_P12ihipStream_tbEUlT_E0_NS1_11comp_targetILNS1_3genE2ELNS1_11target_archE906ELNS1_3gpuE6ELNS1_3repE0EEENS1_30default_config_static_selectorELNS0_4arch9wavefront6targetE1EEEvS14_ ; -- Begin function _ZN7rocprim17ROCPRIM_400000_NS6detail17trampoline_kernelINS0_14default_configENS1_22reduce_config_selectorIN6thrust23THRUST_200600_302600_NS5tupleIblNS6_9null_typeES8_S8_S8_S8_S8_S8_S8_EEEEZNS1_11reduce_implILb1ES3_NS6_12zip_iteratorINS7_INS6_11hip_rocprim26transform_input_iterator_tIbNSD_35transform_pair_of_input_iterators_tIbNS6_6detail15normal_iteratorINS6_10device_ptrIKiEEEESL_NS6_8equal_toIiEEEENSG_9not_fun_tINSD_8identityEEEEENSD_19counting_iterator_tIlEES8_S8_S8_S8_S8_S8_S8_S8_EEEEPS9_S9_NSD_9__find_if7functorIS9_EEEE10hipError_tPvRmT1_T2_T3_mT4_P12ihipStream_tbEUlT_E0_NS1_11comp_targetILNS1_3genE2ELNS1_11target_archE906ELNS1_3gpuE6ELNS1_3repE0EEENS1_30default_config_static_selectorELNS0_4arch9wavefront6targetE1EEEvS14_
	.globl	_ZN7rocprim17ROCPRIM_400000_NS6detail17trampoline_kernelINS0_14default_configENS1_22reduce_config_selectorIN6thrust23THRUST_200600_302600_NS5tupleIblNS6_9null_typeES8_S8_S8_S8_S8_S8_S8_EEEEZNS1_11reduce_implILb1ES3_NS6_12zip_iteratorINS7_INS6_11hip_rocprim26transform_input_iterator_tIbNSD_35transform_pair_of_input_iterators_tIbNS6_6detail15normal_iteratorINS6_10device_ptrIKiEEEESL_NS6_8equal_toIiEEEENSG_9not_fun_tINSD_8identityEEEEENSD_19counting_iterator_tIlEES8_S8_S8_S8_S8_S8_S8_S8_EEEEPS9_S9_NSD_9__find_if7functorIS9_EEEE10hipError_tPvRmT1_T2_T3_mT4_P12ihipStream_tbEUlT_E0_NS1_11comp_targetILNS1_3genE2ELNS1_11target_archE906ELNS1_3gpuE6ELNS1_3repE0EEENS1_30default_config_static_selectorELNS0_4arch9wavefront6targetE1EEEvS14_
	.p2align	8
	.type	_ZN7rocprim17ROCPRIM_400000_NS6detail17trampoline_kernelINS0_14default_configENS1_22reduce_config_selectorIN6thrust23THRUST_200600_302600_NS5tupleIblNS6_9null_typeES8_S8_S8_S8_S8_S8_S8_EEEEZNS1_11reduce_implILb1ES3_NS6_12zip_iteratorINS7_INS6_11hip_rocprim26transform_input_iterator_tIbNSD_35transform_pair_of_input_iterators_tIbNS6_6detail15normal_iteratorINS6_10device_ptrIKiEEEESL_NS6_8equal_toIiEEEENSG_9not_fun_tINSD_8identityEEEEENSD_19counting_iterator_tIlEES8_S8_S8_S8_S8_S8_S8_S8_EEEEPS9_S9_NSD_9__find_if7functorIS9_EEEE10hipError_tPvRmT1_T2_T3_mT4_P12ihipStream_tbEUlT_E0_NS1_11comp_targetILNS1_3genE2ELNS1_11target_archE906ELNS1_3gpuE6ELNS1_3repE0EEENS1_30default_config_static_selectorELNS0_4arch9wavefront6targetE1EEEvS14_,@function
_ZN7rocprim17ROCPRIM_400000_NS6detail17trampoline_kernelINS0_14default_configENS1_22reduce_config_selectorIN6thrust23THRUST_200600_302600_NS5tupleIblNS6_9null_typeES8_S8_S8_S8_S8_S8_S8_EEEEZNS1_11reduce_implILb1ES3_NS6_12zip_iteratorINS7_INS6_11hip_rocprim26transform_input_iterator_tIbNSD_35transform_pair_of_input_iterators_tIbNS6_6detail15normal_iteratorINS6_10device_ptrIKiEEEESL_NS6_8equal_toIiEEEENSG_9not_fun_tINSD_8identityEEEEENSD_19counting_iterator_tIlEES8_S8_S8_S8_S8_S8_S8_S8_EEEEPS9_S9_NSD_9__find_if7functorIS9_EEEE10hipError_tPvRmT1_T2_T3_mT4_P12ihipStream_tbEUlT_E0_NS1_11comp_targetILNS1_3genE2ELNS1_11target_archE906ELNS1_3gpuE6ELNS1_3repE0EEENS1_30default_config_static_selectorELNS0_4arch9wavefront6targetE1EEEvS14_: ; @_ZN7rocprim17ROCPRIM_400000_NS6detail17trampoline_kernelINS0_14default_configENS1_22reduce_config_selectorIN6thrust23THRUST_200600_302600_NS5tupleIblNS6_9null_typeES8_S8_S8_S8_S8_S8_S8_EEEEZNS1_11reduce_implILb1ES3_NS6_12zip_iteratorINS7_INS6_11hip_rocprim26transform_input_iterator_tIbNSD_35transform_pair_of_input_iterators_tIbNS6_6detail15normal_iteratorINS6_10device_ptrIKiEEEESL_NS6_8equal_toIiEEEENSG_9not_fun_tINSD_8identityEEEEENSD_19counting_iterator_tIlEES8_S8_S8_S8_S8_S8_S8_S8_EEEEPS9_S9_NSD_9__find_if7functorIS9_EEEE10hipError_tPvRmT1_T2_T3_mT4_P12ihipStream_tbEUlT_E0_NS1_11comp_targetILNS1_3genE2ELNS1_11target_archE906ELNS1_3gpuE6ELNS1_3repE0EEENS1_30default_config_static_selectorELNS0_4arch9wavefront6targetE1EEEvS14_
; %bb.0:
	.section	.rodata,"a",@progbits
	.p2align	6, 0x0
	.amdhsa_kernel _ZN7rocprim17ROCPRIM_400000_NS6detail17trampoline_kernelINS0_14default_configENS1_22reduce_config_selectorIN6thrust23THRUST_200600_302600_NS5tupleIblNS6_9null_typeES8_S8_S8_S8_S8_S8_S8_EEEEZNS1_11reduce_implILb1ES3_NS6_12zip_iteratorINS7_INS6_11hip_rocprim26transform_input_iterator_tIbNSD_35transform_pair_of_input_iterators_tIbNS6_6detail15normal_iteratorINS6_10device_ptrIKiEEEESL_NS6_8equal_toIiEEEENSG_9not_fun_tINSD_8identityEEEEENSD_19counting_iterator_tIlEES8_S8_S8_S8_S8_S8_S8_S8_EEEEPS9_S9_NSD_9__find_if7functorIS9_EEEE10hipError_tPvRmT1_T2_T3_mT4_P12ihipStream_tbEUlT_E0_NS1_11comp_targetILNS1_3genE2ELNS1_11target_archE906ELNS1_3gpuE6ELNS1_3repE0EEENS1_30default_config_static_selectorELNS0_4arch9wavefront6targetE1EEEvS14_
		.amdhsa_group_segment_fixed_size 0
		.amdhsa_private_segment_fixed_size 0
		.amdhsa_kernarg_size 104
		.amdhsa_user_sgpr_count 6
		.amdhsa_user_sgpr_private_segment_buffer 1
		.amdhsa_user_sgpr_dispatch_ptr 0
		.amdhsa_user_sgpr_queue_ptr 0
		.amdhsa_user_sgpr_kernarg_segment_ptr 1
		.amdhsa_user_sgpr_dispatch_id 0
		.amdhsa_user_sgpr_flat_scratch_init 0
		.amdhsa_user_sgpr_kernarg_preload_length 0
		.amdhsa_user_sgpr_kernarg_preload_offset 0
		.amdhsa_user_sgpr_private_segment_size 0
		.amdhsa_uses_dynamic_stack 0
		.amdhsa_system_sgpr_private_segment_wavefront_offset 0
		.amdhsa_system_sgpr_workgroup_id_x 1
		.amdhsa_system_sgpr_workgroup_id_y 0
		.amdhsa_system_sgpr_workgroup_id_z 0
		.amdhsa_system_sgpr_workgroup_info 0
		.amdhsa_system_vgpr_workitem_id 0
		.amdhsa_next_free_vgpr 1
		.amdhsa_next_free_sgpr 0
		.amdhsa_accum_offset 4
		.amdhsa_reserve_vcc 0
		.amdhsa_reserve_flat_scratch 0
		.amdhsa_float_round_mode_32 0
		.amdhsa_float_round_mode_16_64 0
		.amdhsa_float_denorm_mode_32 3
		.amdhsa_float_denorm_mode_16_64 3
		.amdhsa_dx10_clamp 1
		.amdhsa_ieee_mode 1
		.amdhsa_fp16_overflow 0
		.amdhsa_tg_split 0
		.amdhsa_exception_fp_ieee_invalid_op 0
		.amdhsa_exception_fp_denorm_src 0
		.amdhsa_exception_fp_ieee_div_zero 0
		.amdhsa_exception_fp_ieee_overflow 0
		.amdhsa_exception_fp_ieee_underflow 0
		.amdhsa_exception_fp_ieee_inexact 0
		.amdhsa_exception_int_div_zero 0
	.end_amdhsa_kernel
	.section	.text._ZN7rocprim17ROCPRIM_400000_NS6detail17trampoline_kernelINS0_14default_configENS1_22reduce_config_selectorIN6thrust23THRUST_200600_302600_NS5tupleIblNS6_9null_typeES8_S8_S8_S8_S8_S8_S8_EEEEZNS1_11reduce_implILb1ES3_NS6_12zip_iteratorINS7_INS6_11hip_rocprim26transform_input_iterator_tIbNSD_35transform_pair_of_input_iterators_tIbNS6_6detail15normal_iteratorINS6_10device_ptrIKiEEEESL_NS6_8equal_toIiEEEENSG_9not_fun_tINSD_8identityEEEEENSD_19counting_iterator_tIlEES8_S8_S8_S8_S8_S8_S8_S8_EEEEPS9_S9_NSD_9__find_if7functorIS9_EEEE10hipError_tPvRmT1_T2_T3_mT4_P12ihipStream_tbEUlT_E0_NS1_11comp_targetILNS1_3genE2ELNS1_11target_archE906ELNS1_3gpuE6ELNS1_3repE0EEENS1_30default_config_static_selectorELNS0_4arch9wavefront6targetE1EEEvS14_,"axG",@progbits,_ZN7rocprim17ROCPRIM_400000_NS6detail17trampoline_kernelINS0_14default_configENS1_22reduce_config_selectorIN6thrust23THRUST_200600_302600_NS5tupleIblNS6_9null_typeES8_S8_S8_S8_S8_S8_S8_EEEEZNS1_11reduce_implILb1ES3_NS6_12zip_iteratorINS7_INS6_11hip_rocprim26transform_input_iterator_tIbNSD_35transform_pair_of_input_iterators_tIbNS6_6detail15normal_iteratorINS6_10device_ptrIKiEEEESL_NS6_8equal_toIiEEEENSG_9not_fun_tINSD_8identityEEEEENSD_19counting_iterator_tIlEES8_S8_S8_S8_S8_S8_S8_S8_EEEEPS9_S9_NSD_9__find_if7functorIS9_EEEE10hipError_tPvRmT1_T2_T3_mT4_P12ihipStream_tbEUlT_E0_NS1_11comp_targetILNS1_3genE2ELNS1_11target_archE906ELNS1_3gpuE6ELNS1_3repE0EEENS1_30default_config_static_selectorELNS0_4arch9wavefront6targetE1EEEvS14_,comdat
.Lfunc_end490:
	.size	_ZN7rocprim17ROCPRIM_400000_NS6detail17trampoline_kernelINS0_14default_configENS1_22reduce_config_selectorIN6thrust23THRUST_200600_302600_NS5tupleIblNS6_9null_typeES8_S8_S8_S8_S8_S8_S8_EEEEZNS1_11reduce_implILb1ES3_NS6_12zip_iteratorINS7_INS6_11hip_rocprim26transform_input_iterator_tIbNSD_35transform_pair_of_input_iterators_tIbNS6_6detail15normal_iteratorINS6_10device_ptrIKiEEEESL_NS6_8equal_toIiEEEENSG_9not_fun_tINSD_8identityEEEEENSD_19counting_iterator_tIlEES8_S8_S8_S8_S8_S8_S8_S8_EEEEPS9_S9_NSD_9__find_if7functorIS9_EEEE10hipError_tPvRmT1_T2_T3_mT4_P12ihipStream_tbEUlT_E0_NS1_11comp_targetILNS1_3genE2ELNS1_11target_archE906ELNS1_3gpuE6ELNS1_3repE0EEENS1_30default_config_static_selectorELNS0_4arch9wavefront6targetE1EEEvS14_, .Lfunc_end490-_ZN7rocprim17ROCPRIM_400000_NS6detail17trampoline_kernelINS0_14default_configENS1_22reduce_config_selectorIN6thrust23THRUST_200600_302600_NS5tupleIblNS6_9null_typeES8_S8_S8_S8_S8_S8_S8_EEEEZNS1_11reduce_implILb1ES3_NS6_12zip_iteratorINS7_INS6_11hip_rocprim26transform_input_iterator_tIbNSD_35transform_pair_of_input_iterators_tIbNS6_6detail15normal_iteratorINS6_10device_ptrIKiEEEESL_NS6_8equal_toIiEEEENSG_9not_fun_tINSD_8identityEEEEENSD_19counting_iterator_tIlEES8_S8_S8_S8_S8_S8_S8_S8_EEEEPS9_S9_NSD_9__find_if7functorIS9_EEEE10hipError_tPvRmT1_T2_T3_mT4_P12ihipStream_tbEUlT_E0_NS1_11comp_targetILNS1_3genE2ELNS1_11target_archE906ELNS1_3gpuE6ELNS1_3repE0EEENS1_30default_config_static_selectorELNS0_4arch9wavefront6targetE1EEEvS14_
                                        ; -- End function
	.section	.AMDGPU.csdata,"",@progbits
; Kernel info:
; codeLenInByte = 0
; NumSgprs: 4
; NumVgprs: 0
; NumAgprs: 0
; TotalNumVgprs: 0
; ScratchSize: 0
; MemoryBound: 0
; FloatMode: 240
; IeeeMode: 1
; LDSByteSize: 0 bytes/workgroup (compile time only)
; SGPRBlocks: 0
; VGPRBlocks: 0
; NumSGPRsForWavesPerEU: 4
; NumVGPRsForWavesPerEU: 1
; AccumOffset: 4
; Occupancy: 8
; WaveLimiterHint : 0
; COMPUTE_PGM_RSRC2:SCRATCH_EN: 0
; COMPUTE_PGM_RSRC2:USER_SGPR: 6
; COMPUTE_PGM_RSRC2:TRAP_HANDLER: 0
; COMPUTE_PGM_RSRC2:TGID_X_EN: 1
; COMPUTE_PGM_RSRC2:TGID_Y_EN: 0
; COMPUTE_PGM_RSRC2:TGID_Z_EN: 0
; COMPUTE_PGM_RSRC2:TIDIG_COMP_CNT: 0
; COMPUTE_PGM_RSRC3_GFX90A:ACCUM_OFFSET: 0
; COMPUTE_PGM_RSRC3_GFX90A:TG_SPLIT: 0
	.section	.text._ZN7rocprim17ROCPRIM_400000_NS6detail17trampoline_kernelINS0_14default_configENS1_22reduce_config_selectorIN6thrust23THRUST_200600_302600_NS5tupleIblNS6_9null_typeES8_S8_S8_S8_S8_S8_S8_EEEEZNS1_11reduce_implILb1ES3_NS6_12zip_iteratorINS7_INS6_11hip_rocprim26transform_input_iterator_tIbNSD_35transform_pair_of_input_iterators_tIbNS6_6detail15normal_iteratorINS6_10device_ptrIKiEEEESL_NS6_8equal_toIiEEEENSG_9not_fun_tINSD_8identityEEEEENSD_19counting_iterator_tIlEES8_S8_S8_S8_S8_S8_S8_S8_EEEEPS9_S9_NSD_9__find_if7functorIS9_EEEE10hipError_tPvRmT1_T2_T3_mT4_P12ihipStream_tbEUlT_E0_NS1_11comp_targetILNS1_3genE10ELNS1_11target_archE1201ELNS1_3gpuE5ELNS1_3repE0EEENS1_30default_config_static_selectorELNS0_4arch9wavefront6targetE1EEEvS14_,"axG",@progbits,_ZN7rocprim17ROCPRIM_400000_NS6detail17trampoline_kernelINS0_14default_configENS1_22reduce_config_selectorIN6thrust23THRUST_200600_302600_NS5tupleIblNS6_9null_typeES8_S8_S8_S8_S8_S8_S8_EEEEZNS1_11reduce_implILb1ES3_NS6_12zip_iteratorINS7_INS6_11hip_rocprim26transform_input_iterator_tIbNSD_35transform_pair_of_input_iterators_tIbNS6_6detail15normal_iteratorINS6_10device_ptrIKiEEEESL_NS6_8equal_toIiEEEENSG_9not_fun_tINSD_8identityEEEEENSD_19counting_iterator_tIlEES8_S8_S8_S8_S8_S8_S8_S8_EEEEPS9_S9_NSD_9__find_if7functorIS9_EEEE10hipError_tPvRmT1_T2_T3_mT4_P12ihipStream_tbEUlT_E0_NS1_11comp_targetILNS1_3genE10ELNS1_11target_archE1201ELNS1_3gpuE5ELNS1_3repE0EEENS1_30default_config_static_selectorELNS0_4arch9wavefront6targetE1EEEvS14_,comdat
	.protected	_ZN7rocprim17ROCPRIM_400000_NS6detail17trampoline_kernelINS0_14default_configENS1_22reduce_config_selectorIN6thrust23THRUST_200600_302600_NS5tupleIblNS6_9null_typeES8_S8_S8_S8_S8_S8_S8_EEEEZNS1_11reduce_implILb1ES3_NS6_12zip_iteratorINS7_INS6_11hip_rocprim26transform_input_iterator_tIbNSD_35transform_pair_of_input_iterators_tIbNS6_6detail15normal_iteratorINS6_10device_ptrIKiEEEESL_NS6_8equal_toIiEEEENSG_9not_fun_tINSD_8identityEEEEENSD_19counting_iterator_tIlEES8_S8_S8_S8_S8_S8_S8_S8_EEEEPS9_S9_NSD_9__find_if7functorIS9_EEEE10hipError_tPvRmT1_T2_T3_mT4_P12ihipStream_tbEUlT_E0_NS1_11comp_targetILNS1_3genE10ELNS1_11target_archE1201ELNS1_3gpuE5ELNS1_3repE0EEENS1_30default_config_static_selectorELNS0_4arch9wavefront6targetE1EEEvS14_ ; -- Begin function _ZN7rocprim17ROCPRIM_400000_NS6detail17trampoline_kernelINS0_14default_configENS1_22reduce_config_selectorIN6thrust23THRUST_200600_302600_NS5tupleIblNS6_9null_typeES8_S8_S8_S8_S8_S8_S8_EEEEZNS1_11reduce_implILb1ES3_NS6_12zip_iteratorINS7_INS6_11hip_rocprim26transform_input_iterator_tIbNSD_35transform_pair_of_input_iterators_tIbNS6_6detail15normal_iteratorINS6_10device_ptrIKiEEEESL_NS6_8equal_toIiEEEENSG_9not_fun_tINSD_8identityEEEEENSD_19counting_iterator_tIlEES8_S8_S8_S8_S8_S8_S8_S8_EEEEPS9_S9_NSD_9__find_if7functorIS9_EEEE10hipError_tPvRmT1_T2_T3_mT4_P12ihipStream_tbEUlT_E0_NS1_11comp_targetILNS1_3genE10ELNS1_11target_archE1201ELNS1_3gpuE5ELNS1_3repE0EEENS1_30default_config_static_selectorELNS0_4arch9wavefront6targetE1EEEvS14_
	.globl	_ZN7rocprim17ROCPRIM_400000_NS6detail17trampoline_kernelINS0_14default_configENS1_22reduce_config_selectorIN6thrust23THRUST_200600_302600_NS5tupleIblNS6_9null_typeES8_S8_S8_S8_S8_S8_S8_EEEEZNS1_11reduce_implILb1ES3_NS6_12zip_iteratorINS7_INS6_11hip_rocprim26transform_input_iterator_tIbNSD_35transform_pair_of_input_iterators_tIbNS6_6detail15normal_iteratorINS6_10device_ptrIKiEEEESL_NS6_8equal_toIiEEEENSG_9not_fun_tINSD_8identityEEEEENSD_19counting_iterator_tIlEES8_S8_S8_S8_S8_S8_S8_S8_EEEEPS9_S9_NSD_9__find_if7functorIS9_EEEE10hipError_tPvRmT1_T2_T3_mT4_P12ihipStream_tbEUlT_E0_NS1_11comp_targetILNS1_3genE10ELNS1_11target_archE1201ELNS1_3gpuE5ELNS1_3repE0EEENS1_30default_config_static_selectorELNS0_4arch9wavefront6targetE1EEEvS14_
	.p2align	8
	.type	_ZN7rocprim17ROCPRIM_400000_NS6detail17trampoline_kernelINS0_14default_configENS1_22reduce_config_selectorIN6thrust23THRUST_200600_302600_NS5tupleIblNS6_9null_typeES8_S8_S8_S8_S8_S8_S8_EEEEZNS1_11reduce_implILb1ES3_NS6_12zip_iteratorINS7_INS6_11hip_rocprim26transform_input_iterator_tIbNSD_35transform_pair_of_input_iterators_tIbNS6_6detail15normal_iteratorINS6_10device_ptrIKiEEEESL_NS6_8equal_toIiEEEENSG_9not_fun_tINSD_8identityEEEEENSD_19counting_iterator_tIlEES8_S8_S8_S8_S8_S8_S8_S8_EEEEPS9_S9_NSD_9__find_if7functorIS9_EEEE10hipError_tPvRmT1_T2_T3_mT4_P12ihipStream_tbEUlT_E0_NS1_11comp_targetILNS1_3genE10ELNS1_11target_archE1201ELNS1_3gpuE5ELNS1_3repE0EEENS1_30default_config_static_selectorELNS0_4arch9wavefront6targetE1EEEvS14_,@function
_ZN7rocprim17ROCPRIM_400000_NS6detail17trampoline_kernelINS0_14default_configENS1_22reduce_config_selectorIN6thrust23THRUST_200600_302600_NS5tupleIblNS6_9null_typeES8_S8_S8_S8_S8_S8_S8_EEEEZNS1_11reduce_implILb1ES3_NS6_12zip_iteratorINS7_INS6_11hip_rocprim26transform_input_iterator_tIbNSD_35transform_pair_of_input_iterators_tIbNS6_6detail15normal_iteratorINS6_10device_ptrIKiEEEESL_NS6_8equal_toIiEEEENSG_9not_fun_tINSD_8identityEEEEENSD_19counting_iterator_tIlEES8_S8_S8_S8_S8_S8_S8_S8_EEEEPS9_S9_NSD_9__find_if7functorIS9_EEEE10hipError_tPvRmT1_T2_T3_mT4_P12ihipStream_tbEUlT_E0_NS1_11comp_targetILNS1_3genE10ELNS1_11target_archE1201ELNS1_3gpuE5ELNS1_3repE0EEENS1_30default_config_static_selectorELNS0_4arch9wavefront6targetE1EEEvS14_: ; @_ZN7rocprim17ROCPRIM_400000_NS6detail17trampoline_kernelINS0_14default_configENS1_22reduce_config_selectorIN6thrust23THRUST_200600_302600_NS5tupleIblNS6_9null_typeES8_S8_S8_S8_S8_S8_S8_EEEEZNS1_11reduce_implILb1ES3_NS6_12zip_iteratorINS7_INS6_11hip_rocprim26transform_input_iterator_tIbNSD_35transform_pair_of_input_iterators_tIbNS6_6detail15normal_iteratorINS6_10device_ptrIKiEEEESL_NS6_8equal_toIiEEEENSG_9not_fun_tINSD_8identityEEEEENSD_19counting_iterator_tIlEES8_S8_S8_S8_S8_S8_S8_S8_EEEEPS9_S9_NSD_9__find_if7functorIS9_EEEE10hipError_tPvRmT1_T2_T3_mT4_P12ihipStream_tbEUlT_E0_NS1_11comp_targetILNS1_3genE10ELNS1_11target_archE1201ELNS1_3gpuE5ELNS1_3repE0EEENS1_30default_config_static_selectorELNS0_4arch9wavefront6targetE1EEEvS14_
; %bb.0:
	.section	.rodata,"a",@progbits
	.p2align	6, 0x0
	.amdhsa_kernel _ZN7rocprim17ROCPRIM_400000_NS6detail17trampoline_kernelINS0_14default_configENS1_22reduce_config_selectorIN6thrust23THRUST_200600_302600_NS5tupleIblNS6_9null_typeES8_S8_S8_S8_S8_S8_S8_EEEEZNS1_11reduce_implILb1ES3_NS6_12zip_iteratorINS7_INS6_11hip_rocprim26transform_input_iterator_tIbNSD_35transform_pair_of_input_iterators_tIbNS6_6detail15normal_iteratorINS6_10device_ptrIKiEEEESL_NS6_8equal_toIiEEEENSG_9not_fun_tINSD_8identityEEEEENSD_19counting_iterator_tIlEES8_S8_S8_S8_S8_S8_S8_S8_EEEEPS9_S9_NSD_9__find_if7functorIS9_EEEE10hipError_tPvRmT1_T2_T3_mT4_P12ihipStream_tbEUlT_E0_NS1_11comp_targetILNS1_3genE10ELNS1_11target_archE1201ELNS1_3gpuE5ELNS1_3repE0EEENS1_30default_config_static_selectorELNS0_4arch9wavefront6targetE1EEEvS14_
		.amdhsa_group_segment_fixed_size 0
		.amdhsa_private_segment_fixed_size 0
		.amdhsa_kernarg_size 104
		.amdhsa_user_sgpr_count 6
		.amdhsa_user_sgpr_private_segment_buffer 1
		.amdhsa_user_sgpr_dispatch_ptr 0
		.amdhsa_user_sgpr_queue_ptr 0
		.amdhsa_user_sgpr_kernarg_segment_ptr 1
		.amdhsa_user_sgpr_dispatch_id 0
		.amdhsa_user_sgpr_flat_scratch_init 0
		.amdhsa_user_sgpr_kernarg_preload_length 0
		.amdhsa_user_sgpr_kernarg_preload_offset 0
		.amdhsa_user_sgpr_private_segment_size 0
		.amdhsa_uses_dynamic_stack 0
		.amdhsa_system_sgpr_private_segment_wavefront_offset 0
		.amdhsa_system_sgpr_workgroup_id_x 1
		.amdhsa_system_sgpr_workgroup_id_y 0
		.amdhsa_system_sgpr_workgroup_id_z 0
		.amdhsa_system_sgpr_workgroup_info 0
		.amdhsa_system_vgpr_workitem_id 0
		.amdhsa_next_free_vgpr 1
		.amdhsa_next_free_sgpr 0
		.amdhsa_accum_offset 4
		.amdhsa_reserve_vcc 0
		.amdhsa_reserve_flat_scratch 0
		.amdhsa_float_round_mode_32 0
		.amdhsa_float_round_mode_16_64 0
		.amdhsa_float_denorm_mode_32 3
		.amdhsa_float_denorm_mode_16_64 3
		.amdhsa_dx10_clamp 1
		.amdhsa_ieee_mode 1
		.amdhsa_fp16_overflow 0
		.amdhsa_tg_split 0
		.amdhsa_exception_fp_ieee_invalid_op 0
		.amdhsa_exception_fp_denorm_src 0
		.amdhsa_exception_fp_ieee_div_zero 0
		.amdhsa_exception_fp_ieee_overflow 0
		.amdhsa_exception_fp_ieee_underflow 0
		.amdhsa_exception_fp_ieee_inexact 0
		.amdhsa_exception_int_div_zero 0
	.end_amdhsa_kernel
	.section	.text._ZN7rocprim17ROCPRIM_400000_NS6detail17trampoline_kernelINS0_14default_configENS1_22reduce_config_selectorIN6thrust23THRUST_200600_302600_NS5tupleIblNS6_9null_typeES8_S8_S8_S8_S8_S8_S8_EEEEZNS1_11reduce_implILb1ES3_NS6_12zip_iteratorINS7_INS6_11hip_rocprim26transform_input_iterator_tIbNSD_35transform_pair_of_input_iterators_tIbNS6_6detail15normal_iteratorINS6_10device_ptrIKiEEEESL_NS6_8equal_toIiEEEENSG_9not_fun_tINSD_8identityEEEEENSD_19counting_iterator_tIlEES8_S8_S8_S8_S8_S8_S8_S8_EEEEPS9_S9_NSD_9__find_if7functorIS9_EEEE10hipError_tPvRmT1_T2_T3_mT4_P12ihipStream_tbEUlT_E0_NS1_11comp_targetILNS1_3genE10ELNS1_11target_archE1201ELNS1_3gpuE5ELNS1_3repE0EEENS1_30default_config_static_selectorELNS0_4arch9wavefront6targetE1EEEvS14_,"axG",@progbits,_ZN7rocprim17ROCPRIM_400000_NS6detail17trampoline_kernelINS0_14default_configENS1_22reduce_config_selectorIN6thrust23THRUST_200600_302600_NS5tupleIblNS6_9null_typeES8_S8_S8_S8_S8_S8_S8_EEEEZNS1_11reduce_implILb1ES3_NS6_12zip_iteratorINS7_INS6_11hip_rocprim26transform_input_iterator_tIbNSD_35transform_pair_of_input_iterators_tIbNS6_6detail15normal_iteratorINS6_10device_ptrIKiEEEESL_NS6_8equal_toIiEEEENSG_9not_fun_tINSD_8identityEEEEENSD_19counting_iterator_tIlEES8_S8_S8_S8_S8_S8_S8_S8_EEEEPS9_S9_NSD_9__find_if7functorIS9_EEEE10hipError_tPvRmT1_T2_T3_mT4_P12ihipStream_tbEUlT_E0_NS1_11comp_targetILNS1_3genE10ELNS1_11target_archE1201ELNS1_3gpuE5ELNS1_3repE0EEENS1_30default_config_static_selectorELNS0_4arch9wavefront6targetE1EEEvS14_,comdat
.Lfunc_end491:
	.size	_ZN7rocprim17ROCPRIM_400000_NS6detail17trampoline_kernelINS0_14default_configENS1_22reduce_config_selectorIN6thrust23THRUST_200600_302600_NS5tupleIblNS6_9null_typeES8_S8_S8_S8_S8_S8_S8_EEEEZNS1_11reduce_implILb1ES3_NS6_12zip_iteratorINS7_INS6_11hip_rocprim26transform_input_iterator_tIbNSD_35transform_pair_of_input_iterators_tIbNS6_6detail15normal_iteratorINS6_10device_ptrIKiEEEESL_NS6_8equal_toIiEEEENSG_9not_fun_tINSD_8identityEEEEENSD_19counting_iterator_tIlEES8_S8_S8_S8_S8_S8_S8_S8_EEEEPS9_S9_NSD_9__find_if7functorIS9_EEEE10hipError_tPvRmT1_T2_T3_mT4_P12ihipStream_tbEUlT_E0_NS1_11comp_targetILNS1_3genE10ELNS1_11target_archE1201ELNS1_3gpuE5ELNS1_3repE0EEENS1_30default_config_static_selectorELNS0_4arch9wavefront6targetE1EEEvS14_, .Lfunc_end491-_ZN7rocprim17ROCPRIM_400000_NS6detail17trampoline_kernelINS0_14default_configENS1_22reduce_config_selectorIN6thrust23THRUST_200600_302600_NS5tupleIblNS6_9null_typeES8_S8_S8_S8_S8_S8_S8_EEEEZNS1_11reduce_implILb1ES3_NS6_12zip_iteratorINS7_INS6_11hip_rocprim26transform_input_iterator_tIbNSD_35transform_pair_of_input_iterators_tIbNS6_6detail15normal_iteratorINS6_10device_ptrIKiEEEESL_NS6_8equal_toIiEEEENSG_9not_fun_tINSD_8identityEEEEENSD_19counting_iterator_tIlEES8_S8_S8_S8_S8_S8_S8_S8_EEEEPS9_S9_NSD_9__find_if7functorIS9_EEEE10hipError_tPvRmT1_T2_T3_mT4_P12ihipStream_tbEUlT_E0_NS1_11comp_targetILNS1_3genE10ELNS1_11target_archE1201ELNS1_3gpuE5ELNS1_3repE0EEENS1_30default_config_static_selectorELNS0_4arch9wavefront6targetE1EEEvS14_
                                        ; -- End function
	.section	.AMDGPU.csdata,"",@progbits
; Kernel info:
; codeLenInByte = 0
; NumSgprs: 4
; NumVgprs: 0
; NumAgprs: 0
; TotalNumVgprs: 0
; ScratchSize: 0
; MemoryBound: 0
; FloatMode: 240
; IeeeMode: 1
; LDSByteSize: 0 bytes/workgroup (compile time only)
; SGPRBlocks: 0
; VGPRBlocks: 0
; NumSGPRsForWavesPerEU: 4
; NumVGPRsForWavesPerEU: 1
; AccumOffset: 4
; Occupancy: 8
; WaveLimiterHint : 0
; COMPUTE_PGM_RSRC2:SCRATCH_EN: 0
; COMPUTE_PGM_RSRC2:USER_SGPR: 6
; COMPUTE_PGM_RSRC2:TRAP_HANDLER: 0
; COMPUTE_PGM_RSRC2:TGID_X_EN: 1
; COMPUTE_PGM_RSRC2:TGID_Y_EN: 0
; COMPUTE_PGM_RSRC2:TGID_Z_EN: 0
; COMPUTE_PGM_RSRC2:TIDIG_COMP_CNT: 0
; COMPUTE_PGM_RSRC3_GFX90A:ACCUM_OFFSET: 0
; COMPUTE_PGM_RSRC3_GFX90A:TG_SPLIT: 0
	.section	.text._ZN7rocprim17ROCPRIM_400000_NS6detail17trampoline_kernelINS0_14default_configENS1_22reduce_config_selectorIN6thrust23THRUST_200600_302600_NS5tupleIblNS6_9null_typeES8_S8_S8_S8_S8_S8_S8_EEEEZNS1_11reduce_implILb1ES3_NS6_12zip_iteratorINS7_INS6_11hip_rocprim26transform_input_iterator_tIbNSD_35transform_pair_of_input_iterators_tIbNS6_6detail15normal_iteratorINS6_10device_ptrIKiEEEESL_NS6_8equal_toIiEEEENSG_9not_fun_tINSD_8identityEEEEENSD_19counting_iterator_tIlEES8_S8_S8_S8_S8_S8_S8_S8_EEEEPS9_S9_NSD_9__find_if7functorIS9_EEEE10hipError_tPvRmT1_T2_T3_mT4_P12ihipStream_tbEUlT_E0_NS1_11comp_targetILNS1_3genE10ELNS1_11target_archE1200ELNS1_3gpuE4ELNS1_3repE0EEENS1_30default_config_static_selectorELNS0_4arch9wavefront6targetE1EEEvS14_,"axG",@progbits,_ZN7rocprim17ROCPRIM_400000_NS6detail17trampoline_kernelINS0_14default_configENS1_22reduce_config_selectorIN6thrust23THRUST_200600_302600_NS5tupleIblNS6_9null_typeES8_S8_S8_S8_S8_S8_S8_EEEEZNS1_11reduce_implILb1ES3_NS6_12zip_iteratorINS7_INS6_11hip_rocprim26transform_input_iterator_tIbNSD_35transform_pair_of_input_iterators_tIbNS6_6detail15normal_iteratorINS6_10device_ptrIKiEEEESL_NS6_8equal_toIiEEEENSG_9not_fun_tINSD_8identityEEEEENSD_19counting_iterator_tIlEES8_S8_S8_S8_S8_S8_S8_S8_EEEEPS9_S9_NSD_9__find_if7functorIS9_EEEE10hipError_tPvRmT1_T2_T3_mT4_P12ihipStream_tbEUlT_E0_NS1_11comp_targetILNS1_3genE10ELNS1_11target_archE1200ELNS1_3gpuE4ELNS1_3repE0EEENS1_30default_config_static_selectorELNS0_4arch9wavefront6targetE1EEEvS14_,comdat
	.protected	_ZN7rocprim17ROCPRIM_400000_NS6detail17trampoline_kernelINS0_14default_configENS1_22reduce_config_selectorIN6thrust23THRUST_200600_302600_NS5tupleIblNS6_9null_typeES8_S8_S8_S8_S8_S8_S8_EEEEZNS1_11reduce_implILb1ES3_NS6_12zip_iteratorINS7_INS6_11hip_rocprim26transform_input_iterator_tIbNSD_35transform_pair_of_input_iterators_tIbNS6_6detail15normal_iteratorINS6_10device_ptrIKiEEEESL_NS6_8equal_toIiEEEENSG_9not_fun_tINSD_8identityEEEEENSD_19counting_iterator_tIlEES8_S8_S8_S8_S8_S8_S8_S8_EEEEPS9_S9_NSD_9__find_if7functorIS9_EEEE10hipError_tPvRmT1_T2_T3_mT4_P12ihipStream_tbEUlT_E0_NS1_11comp_targetILNS1_3genE10ELNS1_11target_archE1200ELNS1_3gpuE4ELNS1_3repE0EEENS1_30default_config_static_selectorELNS0_4arch9wavefront6targetE1EEEvS14_ ; -- Begin function _ZN7rocprim17ROCPRIM_400000_NS6detail17trampoline_kernelINS0_14default_configENS1_22reduce_config_selectorIN6thrust23THRUST_200600_302600_NS5tupleIblNS6_9null_typeES8_S8_S8_S8_S8_S8_S8_EEEEZNS1_11reduce_implILb1ES3_NS6_12zip_iteratorINS7_INS6_11hip_rocprim26transform_input_iterator_tIbNSD_35transform_pair_of_input_iterators_tIbNS6_6detail15normal_iteratorINS6_10device_ptrIKiEEEESL_NS6_8equal_toIiEEEENSG_9not_fun_tINSD_8identityEEEEENSD_19counting_iterator_tIlEES8_S8_S8_S8_S8_S8_S8_S8_EEEEPS9_S9_NSD_9__find_if7functorIS9_EEEE10hipError_tPvRmT1_T2_T3_mT4_P12ihipStream_tbEUlT_E0_NS1_11comp_targetILNS1_3genE10ELNS1_11target_archE1200ELNS1_3gpuE4ELNS1_3repE0EEENS1_30default_config_static_selectorELNS0_4arch9wavefront6targetE1EEEvS14_
	.globl	_ZN7rocprim17ROCPRIM_400000_NS6detail17trampoline_kernelINS0_14default_configENS1_22reduce_config_selectorIN6thrust23THRUST_200600_302600_NS5tupleIblNS6_9null_typeES8_S8_S8_S8_S8_S8_S8_EEEEZNS1_11reduce_implILb1ES3_NS6_12zip_iteratorINS7_INS6_11hip_rocprim26transform_input_iterator_tIbNSD_35transform_pair_of_input_iterators_tIbNS6_6detail15normal_iteratorINS6_10device_ptrIKiEEEESL_NS6_8equal_toIiEEEENSG_9not_fun_tINSD_8identityEEEEENSD_19counting_iterator_tIlEES8_S8_S8_S8_S8_S8_S8_S8_EEEEPS9_S9_NSD_9__find_if7functorIS9_EEEE10hipError_tPvRmT1_T2_T3_mT4_P12ihipStream_tbEUlT_E0_NS1_11comp_targetILNS1_3genE10ELNS1_11target_archE1200ELNS1_3gpuE4ELNS1_3repE0EEENS1_30default_config_static_selectorELNS0_4arch9wavefront6targetE1EEEvS14_
	.p2align	8
	.type	_ZN7rocprim17ROCPRIM_400000_NS6detail17trampoline_kernelINS0_14default_configENS1_22reduce_config_selectorIN6thrust23THRUST_200600_302600_NS5tupleIblNS6_9null_typeES8_S8_S8_S8_S8_S8_S8_EEEEZNS1_11reduce_implILb1ES3_NS6_12zip_iteratorINS7_INS6_11hip_rocprim26transform_input_iterator_tIbNSD_35transform_pair_of_input_iterators_tIbNS6_6detail15normal_iteratorINS6_10device_ptrIKiEEEESL_NS6_8equal_toIiEEEENSG_9not_fun_tINSD_8identityEEEEENSD_19counting_iterator_tIlEES8_S8_S8_S8_S8_S8_S8_S8_EEEEPS9_S9_NSD_9__find_if7functorIS9_EEEE10hipError_tPvRmT1_T2_T3_mT4_P12ihipStream_tbEUlT_E0_NS1_11comp_targetILNS1_3genE10ELNS1_11target_archE1200ELNS1_3gpuE4ELNS1_3repE0EEENS1_30default_config_static_selectorELNS0_4arch9wavefront6targetE1EEEvS14_,@function
_ZN7rocprim17ROCPRIM_400000_NS6detail17trampoline_kernelINS0_14default_configENS1_22reduce_config_selectorIN6thrust23THRUST_200600_302600_NS5tupleIblNS6_9null_typeES8_S8_S8_S8_S8_S8_S8_EEEEZNS1_11reduce_implILb1ES3_NS6_12zip_iteratorINS7_INS6_11hip_rocprim26transform_input_iterator_tIbNSD_35transform_pair_of_input_iterators_tIbNS6_6detail15normal_iteratorINS6_10device_ptrIKiEEEESL_NS6_8equal_toIiEEEENSG_9not_fun_tINSD_8identityEEEEENSD_19counting_iterator_tIlEES8_S8_S8_S8_S8_S8_S8_S8_EEEEPS9_S9_NSD_9__find_if7functorIS9_EEEE10hipError_tPvRmT1_T2_T3_mT4_P12ihipStream_tbEUlT_E0_NS1_11comp_targetILNS1_3genE10ELNS1_11target_archE1200ELNS1_3gpuE4ELNS1_3repE0EEENS1_30default_config_static_selectorELNS0_4arch9wavefront6targetE1EEEvS14_: ; @_ZN7rocprim17ROCPRIM_400000_NS6detail17trampoline_kernelINS0_14default_configENS1_22reduce_config_selectorIN6thrust23THRUST_200600_302600_NS5tupleIblNS6_9null_typeES8_S8_S8_S8_S8_S8_S8_EEEEZNS1_11reduce_implILb1ES3_NS6_12zip_iteratorINS7_INS6_11hip_rocprim26transform_input_iterator_tIbNSD_35transform_pair_of_input_iterators_tIbNS6_6detail15normal_iteratorINS6_10device_ptrIKiEEEESL_NS6_8equal_toIiEEEENSG_9not_fun_tINSD_8identityEEEEENSD_19counting_iterator_tIlEES8_S8_S8_S8_S8_S8_S8_S8_EEEEPS9_S9_NSD_9__find_if7functorIS9_EEEE10hipError_tPvRmT1_T2_T3_mT4_P12ihipStream_tbEUlT_E0_NS1_11comp_targetILNS1_3genE10ELNS1_11target_archE1200ELNS1_3gpuE4ELNS1_3repE0EEENS1_30default_config_static_selectorELNS0_4arch9wavefront6targetE1EEEvS14_
; %bb.0:
	.section	.rodata,"a",@progbits
	.p2align	6, 0x0
	.amdhsa_kernel _ZN7rocprim17ROCPRIM_400000_NS6detail17trampoline_kernelINS0_14default_configENS1_22reduce_config_selectorIN6thrust23THRUST_200600_302600_NS5tupleIblNS6_9null_typeES8_S8_S8_S8_S8_S8_S8_EEEEZNS1_11reduce_implILb1ES3_NS6_12zip_iteratorINS7_INS6_11hip_rocprim26transform_input_iterator_tIbNSD_35transform_pair_of_input_iterators_tIbNS6_6detail15normal_iteratorINS6_10device_ptrIKiEEEESL_NS6_8equal_toIiEEEENSG_9not_fun_tINSD_8identityEEEEENSD_19counting_iterator_tIlEES8_S8_S8_S8_S8_S8_S8_S8_EEEEPS9_S9_NSD_9__find_if7functorIS9_EEEE10hipError_tPvRmT1_T2_T3_mT4_P12ihipStream_tbEUlT_E0_NS1_11comp_targetILNS1_3genE10ELNS1_11target_archE1200ELNS1_3gpuE4ELNS1_3repE0EEENS1_30default_config_static_selectorELNS0_4arch9wavefront6targetE1EEEvS14_
		.amdhsa_group_segment_fixed_size 0
		.amdhsa_private_segment_fixed_size 0
		.amdhsa_kernarg_size 104
		.amdhsa_user_sgpr_count 6
		.amdhsa_user_sgpr_private_segment_buffer 1
		.amdhsa_user_sgpr_dispatch_ptr 0
		.amdhsa_user_sgpr_queue_ptr 0
		.amdhsa_user_sgpr_kernarg_segment_ptr 1
		.amdhsa_user_sgpr_dispatch_id 0
		.amdhsa_user_sgpr_flat_scratch_init 0
		.amdhsa_user_sgpr_kernarg_preload_length 0
		.amdhsa_user_sgpr_kernarg_preload_offset 0
		.amdhsa_user_sgpr_private_segment_size 0
		.amdhsa_uses_dynamic_stack 0
		.amdhsa_system_sgpr_private_segment_wavefront_offset 0
		.amdhsa_system_sgpr_workgroup_id_x 1
		.amdhsa_system_sgpr_workgroup_id_y 0
		.amdhsa_system_sgpr_workgroup_id_z 0
		.amdhsa_system_sgpr_workgroup_info 0
		.amdhsa_system_vgpr_workitem_id 0
		.amdhsa_next_free_vgpr 1
		.amdhsa_next_free_sgpr 0
		.amdhsa_accum_offset 4
		.amdhsa_reserve_vcc 0
		.amdhsa_reserve_flat_scratch 0
		.amdhsa_float_round_mode_32 0
		.amdhsa_float_round_mode_16_64 0
		.amdhsa_float_denorm_mode_32 3
		.amdhsa_float_denorm_mode_16_64 3
		.amdhsa_dx10_clamp 1
		.amdhsa_ieee_mode 1
		.amdhsa_fp16_overflow 0
		.amdhsa_tg_split 0
		.amdhsa_exception_fp_ieee_invalid_op 0
		.amdhsa_exception_fp_denorm_src 0
		.amdhsa_exception_fp_ieee_div_zero 0
		.amdhsa_exception_fp_ieee_overflow 0
		.amdhsa_exception_fp_ieee_underflow 0
		.amdhsa_exception_fp_ieee_inexact 0
		.amdhsa_exception_int_div_zero 0
	.end_amdhsa_kernel
	.section	.text._ZN7rocprim17ROCPRIM_400000_NS6detail17trampoline_kernelINS0_14default_configENS1_22reduce_config_selectorIN6thrust23THRUST_200600_302600_NS5tupleIblNS6_9null_typeES8_S8_S8_S8_S8_S8_S8_EEEEZNS1_11reduce_implILb1ES3_NS6_12zip_iteratorINS7_INS6_11hip_rocprim26transform_input_iterator_tIbNSD_35transform_pair_of_input_iterators_tIbNS6_6detail15normal_iteratorINS6_10device_ptrIKiEEEESL_NS6_8equal_toIiEEEENSG_9not_fun_tINSD_8identityEEEEENSD_19counting_iterator_tIlEES8_S8_S8_S8_S8_S8_S8_S8_EEEEPS9_S9_NSD_9__find_if7functorIS9_EEEE10hipError_tPvRmT1_T2_T3_mT4_P12ihipStream_tbEUlT_E0_NS1_11comp_targetILNS1_3genE10ELNS1_11target_archE1200ELNS1_3gpuE4ELNS1_3repE0EEENS1_30default_config_static_selectorELNS0_4arch9wavefront6targetE1EEEvS14_,"axG",@progbits,_ZN7rocprim17ROCPRIM_400000_NS6detail17trampoline_kernelINS0_14default_configENS1_22reduce_config_selectorIN6thrust23THRUST_200600_302600_NS5tupleIblNS6_9null_typeES8_S8_S8_S8_S8_S8_S8_EEEEZNS1_11reduce_implILb1ES3_NS6_12zip_iteratorINS7_INS6_11hip_rocprim26transform_input_iterator_tIbNSD_35transform_pair_of_input_iterators_tIbNS6_6detail15normal_iteratorINS6_10device_ptrIKiEEEESL_NS6_8equal_toIiEEEENSG_9not_fun_tINSD_8identityEEEEENSD_19counting_iterator_tIlEES8_S8_S8_S8_S8_S8_S8_S8_EEEEPS9_S9_NSD_9__find_if7functorIS9_EEEE10hipError_tPvRmT1_T2_T3_mT4_P12ihipStream_tbEUlT_E0_NS1_11comp_targetILNS1_3genE10ELNS1_11target_archE1200ELNS1_3gpuE4ELNS1_3repE0EEENS1_30default_config_static_selectorELNS0_4arch9wavefront6targetE1EEEvS14_,comdat
.Lfunc_end492:
	.size	_ZN7rocprim17ROCPRIM_400000_NS6detail17trampoline_kernelINS0_14default_configENS1_22reduce_config_selectorIN6thrust23THRUST_200600_302600_NS5tupleIblNS6_9null_typeES8_S8_S8_S8_S8_S8_S8_EEEEZNS1_11reduce_implILb1ES3_NS6_12zip_iteratorINS7_INS6_11hip_rocprim26transform_input_iterator_tIbNSD_35transform_pair_of_input_iterators_tIbNS6_6detail15normal_iteratorINS6_10device_ptrIKiEEEESL_NS6_8equal_toIiEEEENSG_9not_fun_tINSD_8identityEEEEENSD_19counting_iterator_tIlEES8_S8_S8_S8_S8_S8_S8_S8_EEEEPS9_S9_NSD_9__find_if7functorIS9_EEEE10hipError_tPvRmT1_T2_T3_mT4_P12ihipStream_tbEUlT_E0_NS1_11comp_targetILNS1_3genE10ELNS1_11target_archE1200ELNS1_3gpuE4ELNS1_3repE0EEENS1_30default_config_static_selectorELNS0_4arch9wavefront6targetE1EEEvS14_, .Lfunc_end492-_ZN7rocprim17ROCPRIM_400000_NS6detail17trampoline_kernelINS0_14default_configENS1_22reduce_config_selectorIN6thrust23THRUST_200600_302600_NS5tupleIblNS6_9null_typeES8_S8_S8_S8_S8_S8_S8_EEEEZNS1_11reduce_implILb1ES3_NS6_12zip_iteratorINS7_INS6_11hip_rocprim26transform_input_iterator_tIbNSD_35transform_pair_of_input_iterators_tIbNS6_6detail15normal_iteratorINS6_10device_ptrIKiEEEESL_NS6_8equal_toIiEEEENSG_9not_fun_tINSD_8identityEEEEENSD_19counting_iterator_tIlEES8_S8_S8_S8_S8_S8_S8_S8_EEEEPS9_S9_NSD_9__find_if7functorIS9_EEEE10hipError_tPvRmT1_T2_T3_mT4_P12ihipStream_tbEUlT_E0_NS1_11comp_targetILNS1_3genE10ELNS1_11target_archE1200ELNS1_3gpuE4ELNS1_3repE0EEENS1_30default_config_static_selectorELNS0_4arch9wavefront6targetE1EEEvS14_
                                        ; -- End function
	.section	.AMDGPU.csdata,"",@progbits
; Kernel info:
; codeLenInByte = 0
; NumSgprs: 4
; NumVgprs: 0
; NumAgprs: 0
; TotalNumVgprs: 0
; ScratchSize: 0
; MemoryBound: 0
; FloatMode: 240
; IeeeMode: 1
; LDSByteSize: 0 bytes/workgroup (compile time only)
; SGPRBlocks: 0
; VGPRBlocks: 0
; NumSGPRsForWavesPerEU: 4
; NumVGPRsForWavesPerEU: 1
; AccumOffset: 4
; Occupancy: 8
; WaveLimiterHint : 0
; COMPUTE_PGM_RSRC2:SCRATCH_EN: 0
; COMPUTE_PGM_RSRC2:USER_SGPR: 6
; COMPUTE_PGM_RSRC2:TRAP_HANDLER: 0
; COMPUTE_PGM_RSRC2:TGID_X_EN: 1
; COMPUTE_PGM_RSRC2:TGID_Y_EN: 0
; COMPUTE_PGM_RSRC2:TGID_Z_EN: 0
; COMPUTE_PGM_RSRC2:TIDIG_COMP_CNT: 0
; COMPUTE_PGM_RSRC3_GFX90A:ACCUM_OFFSET: 0
; COMPUTE_PGM_RSRC3_GFX90A:TG_SPLIT: 0
	.section	.text._ZN7rocprim17ROCPRIM_400000_NS6detail17trampoline_kernelINS0_14default_configENS1_22reduce_config_selectorIN6thrust23THRUST_200600_302600_NS5tupleIblNS6_9null_typeES8_S8_S8_S8_S8_S8_S8_EEEEZNS1_11reduce_implILb1ES3_NS6_12zip_iteratorINS7_INS6_11hip_rocprim26transform_input_iterator_tIbNSD_35transform_pair_of_input_iterators_tIbNS6_6detail15normal_iteratorINS6_10device_ptrIKiEEEESL_NS6_8equal_toIiEEEENSG_9not_fun_tINSD_8identityEEEEENSD_19counting_iterator_tIlEES8_S8_S8_S8_S8_S8_S8_S8_EEEEPS9_S9_NSD_9__find_if7functorIS9_EEEE10hipError_tPvRmT1_T2_T3_mT4_P12ihipStream_tbEUlT_E0_NS1_11comp_targetILNS1_3genE9ELNS1_11target_archE1100ELNS1_3gpuE3ELNS1_3repE0EEENS1_30default_config_static_selectorELNS0_4arch9wavefront6targetE1EEEvS14_,"axG",@progbits,_ZN7rocprim17ROCPRIM_400000_NS6detail17trampoline_kernelINS0_14default_configENS1_22reduce_config_selectorIN6thrust23THRUST_200600_302600_NS5tupleIblNS6_9null_typeES8_S8_S8_S8_S8_S8_S8_EEEEZNS1_11reduce_implILb1ES3_NS6_12zip_iteratorINS7_INS6_11hip_rocprim26transform_input_iterator_tIbNSD_35transform_pair_of_input_iterators_tIbNS6_6detail15normal_iteratorINS6_10device_ptrIKiEEEESL_NS6_8equal_toIiEEEENSG_9not_fun_tINSD_8identityEEEEENSD_19counting_iterator_tIlEES8_S8_S8_S8_S8_S8_S8_S8_EEEEPS9_S9_NSD_9__find_if7functorIS9_EEEE10hipError_tPvRmT1_T2_T3_mT4_P12ihipStream_tbEUlT_E0_NS1_11comp_targetILNS1_3genE9ELNS1_11target_archE1100ELNS1_3gpuE3ELNS1_3repE0EEENS1_30default_config_static_selectorELNS0_4arch9wavefront6targetE1EEEvS14_,comdat
	.protected	_ZN7rocprim17ROCPRIM_400000_NS6detail17trampoline_kernelINS0_14default_configENS1_22reduce_config_selectorIN6thrust23THRUST_200600_302600_NS5tupleIblNS6_9null_typeES8_S8_S8_S8_S8_S8_S8_EEEEZNS1_11reduce_implILb1ES3_NS6_12zip_iteratorINS7_INS6_11hip_rocprim26transform_input_iterator_tIbNSD_35transform_pair_of_input_iterators_tIbNS6_6detail15normal_iteratorINS6_10device_ptrIKiEEEESL_NS6_8equal_toIiEEEENSG_9not_fun_tINSD_8identityEEEEENSD_19counting_iterator_tIlEES8_S8_S8_S8_S8_S8_S8_S8_EEEEPS9_S9_NSD_9__find_if7functorIS9_EEEE10hipError_tPvRmT1_T2_T3_mT4_P12ihipStream_tbEUlT_E0_NS1_11comp_targetILNS1_3genE9ELNS1_11target_archE1100ELNS1_3gpuE3ELNS1_3repE0EEENS1_30default_config_static_selectorELNS0_4arch9wavefront6targetE1EEEvS14_ ; -- Begin function _ZN7rocprim17ROCPRIM_400000_NS6detail17trampoline_kernelINS0_14default_configENS1_22reduce_config_selectorIN6thrust23THRUST_200600_302600_NS5tupleIblNS6_9null_typeES8_S8_S8_S8_S8_S8_S8_EEEEZNS1_11reduce_implILb1ES3_NS6_12zip_iteratorINS7_INS6_11hip_rocprim26transform_input_iterator_tIbNSD_35transform_pair_of_input_iterators_tIbNS6_6detail15normal_iteratorINS6_10device_ptrIKiEEEESL_NS6_8equal_toIiEEEENSG_9not_fun_tINSD_8identityEEEEENSD_19counting_iterator_tIlEES8_S8_S8_S8_S8_S8_S8_S8_EEEEPS9_S9_NSD_9__find_if7functorIS9_EEEE10hipError_tPvRmT1_T2_T3_mT4_P12ihipStream_tbEUlT_E0_NS1_11comp_targetILNS1_3genE9ELNS1_11target_archE1100ELNS1_3gpuE3ELNS1_3repE0EEENS1_30default_config_static_selectorELNS0_4arch9wavefront6targetE1EEEvS14_
	.globl	_ZN7rocprim17ROCPRIM_400000_NS6detail17trampoline_kernelINS0_14default_configENS1_22reduce_config_selectorIN6thrust23THRUST_200600_302600_NS5tupleIblNS6_9null_typeES8_S8_S8_S8_S8_S8_S8_EEEEZNS1_11reduce_implILb1ES3_NS6_12zip_iteratorINS7_INS6_11hip_rocprim26transform_input_iterator_tIbNSD_35transform_pair_of_input_iterators_tIbNS6_6detail15normal_iteratorINS6_10device_ptrIKiEEEESL_NS6_8equal_toIiEEEENSG_9not_fun_tINSD_8identityEEEEENSD_19counting_iterator_tIlEES8_S8_S8_S8_S8_S8_S8_S8_EEEEPS9_S9_NSD_9__find_if7functorIS9_EEEE10hipError_tPvRmT1_T2_T3_mT4_P12ihipStream_tbEUlT_E0_NS1_11comp_targetILNS1_3genE9ELNS1_11target_archE1100ELNS1_3gpuE3ELNS1_3repE0EEENS1_30default_config_static_selectorELNS0_4arch9wavefront6targetE1EEEvS14_
	.p2align	8
	.type	_ZN7rocprim17ROCPRIM_400000_NS6detail17trampoline_kernelINS0_14default_configENS1_22reduce_config_selectorIN6thrust23THRUST_200600_302600_NS5tupleIblNS6_9null_typeES8_S8_S8_S8_S8_S8_S8_EEEEZNS1_11reduce_implILb1ES3_NS6_12zip_iteratorINS7_INS6_11hip_rocprim26transform_input_iterator_tIbNSD_35transform_pair_of_input_iterators_tIbNS6_6detail15normal_iteratorINS6_10device_ptrIKiEEEESL_NS6_8equal_toIiEEEENSG_9not_fun_tINSD_8identityEEEEENSD_19counting_iterator_tIlEES8_S8_S8_S8_S8_S8_S8_S8_EEEEPS9_S9_NSD_9__find_if7functorIS9_EEEE10hipError_tPvRmT1_T2_T3_mT4_P12ihipStream_tbEUlT_E0_NS1_11comp_targetILNS1_3genE9ELNS1_11target_archE1100ELNS1_3gpuE3ELNS1_3repE0EEENS1_30default_config_static_selectorELNS0_4arch9wavefront6targetE1EEEvS14_,@function
_ZN7rocprim17ROCPRIM_400000_NS6detail17trampoline_kernelINS0_14default_configENS1_22reduce_config_selectorIN6thrust23THRUST_200600_302600_NS5tupleIblNS6_9null_typeES8_S8_S8_S8_S8_S8_S8_EEEEZNS1_11reduce_implILb1ES3_NS6_12zip_iteratorINS7_INS6_11hip_rocprim26transform_input_iterator_tIbNSD_35transform_pair_of_input_iterators_tIbNS6_6detail15normal_iteratorINS6_10device_ptrIKiEEEESL_NS6_8equal_toIiEEEENSG_9not_fun_tINSD_8identityEEEEENSD_19counting_iterator_tIlEES8_S8_S8_S8_S8_S8_S8_S8_EEEEPS9_S9_NSD_9__find_if7functorIS9_EEEE10hipError_tPvRmT1_T2_T3_mT4_P12ihipStream_tbEUlT_E0_NS1_11comp_targetILNS1_3genE9ELNS1_11target_archE1100ELNS1_3gpuE3ELNS1_3repE0EEENS1_30default_config_static_selectorELNS0_4arch9wavefront6targetE1EEEvS14_: ; @_ZN7rocprim17ROCPRIM_400000_NS6detail17trampoline_kernelINS0_14default_configENS1_22reduce_config_selectorIN6thrust23THRUST_200600_302600_NS5tupleIblNS6_9null_typeES8_S8_S8_S8_S8_S8_S8_EEEEZNS1_11reduce_implILb1ES3_NS6_12zip_iteratorINS7_INS6_11hip_rocprim26transform_input_iterator_tIbNSD_35transform_pair_of_input_iterators_tIbNS6_6detail15normal_iteratorINS6_10device_ptrIKiEEEESL_NS6_8equal_toIiEEEENSG_9not_fun_tINSD_8identityEEEEENSD_19counting_iterator_tIlEES8_S8_S8_S8_S8_S8_S8_S8_EEEEPS9_S9_NSD_9__find_if7functorIS9_EEEE10hipError_tPvRmT1_T2_T3_mT4_P12ihipStream_tbEUlT_E0_NS1_11comp_targetILNS1_3genE9ELNS1_11target_archE1100ELNS1_3gpuE3ELNS1_3repE0EEENS1_30default_config_static_selectorELNS0_4arch9wavefront6targetE1EEEvS14_
; %bb.0:
	.section	.rodata,"a",@progbits
	.p2align	6, 0x0
	.amdhsa_kernel _ZN7rocprim17ROCPRIM_400000_NS6detail17trampoline_kernelINS0_14default_configENS1_22reduce_config_selectorIN6thrust23THRUST_200600_302600_NS5tupleIblNS6_9null_typeES8_S8_S8_S8_S8_S8_S8_EEEEZNS1_11reduce_implILb1ES3_NS6_12zip_iteratorINS7_INS6_11hip_rocprim26transform_input_iterator_tIbNSD_35transform_pair_of_input_iterators_tIbNS6_6detail15normal_iteratorINS6_10device_ptrIKiEEEESL_NS6_8equal_toIiEEEENSG_9not_fun_tINSD_8identityEEEEENSD_19counting_iterator_tIlEES8_S8_S8_S8_S8_S8_S8_S8_EEEEPS9_S9_NSD_9__find_if7functorIS9_EEEE10hipError_tPvRmT1_T2_T3_mT4_P12ihipStream_tbEUlT_E0_NS1_11comp_targetILNS1_3genE9ELNS1_11target_archE1100ELNS1_3gpuE3ELNS1_3repE0EEENS1_30default_config_static_selectorELNS0_4arch9wavefront6targetE1EEEvS14_
		.amdhsa_group_segment_fixed_size 0
		.amdhsa_private_segment_fixed_size 0
		.amdhsa_kernarg_size 104
		.amdhsa_user_sgpr_count 6
		.amdhsa_user_sgpr_private_segment_buffer 1
		.amdhsa_user_sgpr_dispatch_ptr 0
		.amdhsa_user_sgpr_queue_ptr 0
		.amdhsa_user_sgpr_kernarg_segment_ptr 1
		.amdhsa_user_sgpr_dispatch_id 0
		.amdhsa_user_sgpr_flat_scratch_init 0
		.amdhsa_user_sgpr_kernarg_preload_length 0
		.amdhsa_user_sgpr_kernarg_preload_offset 0
		.amdhsa_user_sgpr_private_segment_size 0
		.amdhsa_uses_dynamic_stack 0
		.amdhsa_system_sgpr_private_segment_wavefront_offset 0
		.amdhsa_system_sgpr_workgroup_id_x 1
		.amdhsa_system_sgpr_workgroup_id_y 0
		.amdhsa_system_sgpr_workgroup_id_z 0
		.amdhsa_system_sgpr_workgroup_info 0
		.amdhsa_system_vgpr_workitem_id 0
		.amdhsa_next_free_vgpr 1
		.amdhsa_next_free_sgpr 0
		.amdhsa_accum_offset 4
		.amdhsa_reserve_vcc 0
		.amdhsa_reserve_flat_scratch 0
		.amdhsa_float_round_mode_32 0
		.amdhsa_float_round_mode_16_64 0
		.amdhsa_float_denorm_mode_32 3
		.amdhsa_float_denorm_mode_16_64 3
		.amdhsa_dx10_clamp 1
		.amdhsa_ieee_mode 1
		.amdhsa_fp16_overflow 0
		.amdhsa_tg_split 0
		.amdhsa_exception_fp_ieee_invalid_op 0
		.amdhsa_exception_fp_denorm_src 0
		.amdhsa_exception_fp_ieee_div_zero 0
		.amdhsa_exception_fp_ieee_overflow 0
		.amdhsa_exception_fp_ieee_underflow 0
		.amdhsa_exception_fp_ieee_inexact 0
		.amdhsa_exception_int_div_zero 0
	.end_amdhsa_kernel
	.section	.text._ZN7rocprim17ROCPRIM_400000_NS6detail17trampoline_kernelINS0_14default_configENS1_22reduce_config_selectorIN6thrust23THRUST_200600_302600_NS5tupleIblNS6_9null_typeES8_S8_S8_S8_S8_S8_S8_EEEEZNS1_11reduce_implILb1ES3_NS6_12zip_iteratorINS7_INS6_11hip_rocprim26transform_input_iterator_tIbNSD_35transform_pair_of_input_iterators_tIbNS6_6detail15normal_iteratorINS6_10device_ptrIKiEEEESL_NS6_8equal_toIiEEEENSG_9not_fun_tINSD_8identityEEEEENSD_19counting_iterator_tIlEES8_S8_S8_S8_S8_S8_S8_S8_EEEEPS9_S9_NSD_9__find_if7functorIS9_EEEE10hipError_tPvRmT1_T2_T3_mT4_P12ihipStream_tbEUlT_E0_NS1_11comp_targetILNS1_3genE9ELNS1_11target_archE1100ELNS1_3gpuE3ELNS1_3repE0EEENS1_30default_config_static_selectorELNS0_4arch9wavefront6targetE1EEEvS14_,"axG",@progbits,_ZN7rocprim17ROCPRIM_400000_NS6detail17trampoline_kernelINS0_14default_configENS1_22reduce_config_selectorIN6thrust23THRUST_200600_302600_NS5tupleIblNS6_9null_typeES8_S8_S8_S8_S8_S8_S8_EEEEZNS1_11reduce_implILb1ES3_NS6_12zip_iteratorINS7_INS6_11hip_rocprim26transform_input_iterator_tIbNSD_35transform_pair_of_input_iterators_tIbNS6_6detail15normal_iteratorINS6_10device_ptrIKiEEEESL_NS6_8equal_toIiEEEENSG_9not_fun_tINSD_8identityEEEEENSD_19counting_iterator_tIlEES8_S8_S8_S8_S8_S8_S8_S8_EEEEPS9_S9_NSD_9__find_if7functorIS9_EEEE10hipError_tPvRmT1_T2_T3_mT4_P12ihipStream_tbEUlT_E0_NS1_11comp_targetILNS1_3genE9ELNS1_11target_archE1100ELNS1_3gpuE3ELNS1_3repE0EEENS1_30default_config_static_selectorELNS0_4arch9wavefront6targetE1EEEvS14_,comdat
.Lfunc_end493:
	.size	_ZN7rocprim17ROCPRIM_400000_NS6detail17trampoline_kernelINS0_14default_configENS1_22reduce_config_selectorIN6thrust23THRUST_200600_302600_NS5tupleIblNS6_9null_typeES8_S8_S8_S8_S8_S8_S8_EEEEZNS1_11reduce_implILb1ES3_NS6_12zip_iteratorINS7_INS6_11hip_rocprim26transform_input_iterator_tIbNSD_35transform_pair_of_input_iterators_tIbNS6_6detail15normal_iteratorINS6_10device_ptrIKiEEEESL_NS6_8equal_toIiEEEENSG_9not_fun_tINSD_8identityEEEEENSD_19counting_iterator_tIlEES8_S8_S8_S8_S8_S8_S8_S8_EEEEPS9_S9_NSD_9__find_if7functorIS9_EEEE10hipError_tPvRmT1_T2_T3_mT4_P12ihipStream_tbEUlT_E0_NS1_11comp_targetILNS1_3genE9ELNS1_11target_archE1100ELNS1_3gpuE3ELNS1_3repE0EEENS1_30default_config_static_selectorELNS0_4arch9wavefront6targetE1EEEvS14_, .Lfunc_end493-_ZN7rocprim17ROCPRIM_400000_NS6detail17trampoline_kernelINS0_14default_configENS1_22reduce_config_selectorIN6thrust23THRUST_200600_302600_NS5tupleIblNS6_9null_typeES8_S8_S8_S8_S8_S8_S8_EEEEZNS1_11reduce_implILb1ES3_NS6_12zip_iteratorINS7_INS6_11hip_rocprim26transform_input_iterator_tIbNSD_35transform_pair_of_input_iterators_tIbNS6_6detail15normal_iteratorINS6_10device_ptrIKiEEEESL_NS6_8equal_toIiEEEENSG_9not_fun_tINSD_8identityEEEEENSD_19counting_iterator_tIlEES8_S8_S8_S8_S8_S8_S8_S8_EEEEPS9_S9_NSD_9__find_if7functorIS9_EEEE10hipError_tPvRmT1_T2_T3_mT4_P12ihipStream_tbEUlT_E0_NS1_11comp_targetILNS1_3genE9ELNS1_11target_archE1100ELNS1_3gpuE3ELNS1_3repE0EEENS1_30default_config_static_selectorELNS0_4arch9wavefront6targetE1EEEvS14_
                                        ; -- End function
	.section	.AMDGPU.csdata,"",@progbits
; Kernel info:
; codeLenInByte = 0
; NumSgprs: 4
; NumVgprs: 0
; NumAgprs: 0
; TotalNumVgprs: 0
; ScratchSize: 0
; MemoryBound: 0
; FloatMode: 240
; IeeeMode: 1
; LDSByteSize: 0 bytes/workgroup (compile time only)
; SGPRBlocks: 0
; VGPRBlocks: 0
; NumSGPRsForWavesPerEU: 4
; NumVGPRsForWavesPerEU: 1
; AccumOffset: 4
; Occupancy: 8
; WaveLimiterHint : 0
; COMPUTE_PGM_RSRC2:SCRATCH_EN: 0
; COMPUTE_PGM_RSRC2:USER_SGPR: 6
; COMPUTE_PGM_RSRC2:TRAP_HANDLER: 0
; COMPUTE_PGM_RSRC2:TGID_X_EN: 1
; COMPUTE_PGM_RSRC2:TGID_Y_EN: 0
; COMPUTE_PGM_RSRC2:TGID_Z_EN: 0
; COMPUTE_PGM_RSRC2:TIDIG_COMP_CNT: 0
; COMPUTE_PGM_RSRC3_GFX90A:ACCUM_OFFSET: 0
; COMPUTE_PGM_RSRC3_GFX90A:TG_SPLIT: 0
	.section	.text._ZN7rocprim17ROCPRIM_400000_NS6detail17trampoline_kernelINS0_14default_configENS1_22reduce_config_selectorIN6thrust23THRUST_200600_302600_NS5tupleIblNS6_9null_typeES8_S8_S8_S8_S8_S8_S8_EEEEZNS1_11reduce_implILb1ES3_NS6_12zip_iteratorINS7_INS6_11hip_rocprim26transform_input_iterator_tIbNSD_35transform_pair_of_input_iterators_tIbNS6_6detail15normal_iteratorINS6_10device_ptrIKiEEEESL_NS6_8equal_toIiEEEENSG_9not_fun_tINSD_8identityEEEEENSD_19counting_iterator_tIlEES8_S8_S8_S8_S8_S8_S8_S8_EEEEPS9_S9_NSD_9__find_if7functorIS9_EEEE10hipError_tPvRmT1_T2_T3_mT4_P12ihipStream_tbEUlT_E0_NS1_11comp_targetILNS1_3genE8ELNS1_11target_archE1030ELNS1_3gpuE2ELNS1_3repE0EEENS1_30default_config_static_selectorELNS0_4arch9wavefront6targetE1EEEvS14_,"axG",@progbits,_ZN7rocprim17ROCPRIM_400000_NS6detail17trampoline_kernelINS0_14default_configENS1_22reduce_config_selectorIN6thrust23THRUST_200600_302600_NS5tupleIblNS6_9null_typeES8_S8_S8_S8_S8_S8_S8_EEEEZNS1_11reduce_implILb1ES3_NS6_12zip_iteratorINS7_INS6_11hip_rocprim26transform_input_iterator_tIbNSD_35transform_pair_of_input_iterators_tIbNS6_6detail15normal_iteratorINS6_10device_ptrIKiEEEESL_NS6_8equal_toIiEEEENSG_9not_fun_tINSD_8identityEEEEENSD_19counting_iterator_tIlEES8_S8_S8_S8_S8_S8_S8_S8_EEEEPS9_S9_NSD_9__find_if7functorIS9_EEEE10hipError_tPvRmT1_T2_T3_mT4_P12ihipStream_tbEUlT_E0_NS1_11comp_targetILNS1_3genE8ELNS1_11target_archE1030ELNS1_3gpuE2ELNS1_3repE0EEENS1_30default_config_static_selectorELNS0_4arch9wavefront6targetE1EEEvS14_,comdat
	.protected	_ZN7rocprim17ROCPRIM_400000_NS6detail17trampoline_kernelINS0_14default_configENS1_22reduce_config_selectorIN6thrust23THRUST_200600_302600_NS5tupleIblNS6_9null_typeES8_S8_S8_S8_S8_S8_S8_EEEEZNS1_11reduce_implILb1ES3_NS6_12zip_iteratorINS7_INS6_11hip_rocprim26transform_input_iterator_tIbNSD_35transform_pair_of_input_iterators_tIbNS6_6detail15normal_iteratorINS6_10device_ptrIKiEEEESL_NS6_8equal_toIiEEEENSG_9not_fun_tINSD_8identityEEEEENSD_19counting_iterator_tIlEES8_S8_S8_S8_S8_S8_S8_S8_EEEEPS9_S9_NSD_9__find_if7functorIS9_EEEE10hipError_tPvRmT1_T2_T3_mT4_P12ihipStream_tbEUlT_E0_NS1_11comp_targetILNS1_3genE8ELNS1_11target_archE1030ELNS1_3gpuE2ELNS1_3repE0EEENS1_30default_config_static_selectorELNS0_4arch9wavefront6targetE1EEEvS14_ ; -- Begin function _ZN7rocprim17ROCPRIM_400000_NS6detail17trampoline_kernelINS0_14default_configENS1_22reduce_config_selectorIN6thrust23THRUST_200600_302600_NS5tupleIblNS6_9null_typeES8_S8_S8_S8_S8_S8_S8_EEEEZNS1_11reduce_implILb1ES3_NS6_12zip_iteratorINS7_INS6_11hip_rocprim26transform_input_iterator_tIbNSD_35transform_pair_of_input_iterators_tIbNS6_6detail15normal_iteratorINS6_10device_ptrIKiEEEESL_NS6_8equal_toIiEEEENSG_9not_fun_tINSD_8identityEEEEENSD_19counting_iterator_tIlEES8_S8_S8_S8_S8_S8_S8_S8_EEEEPS9_S9_NSD_9__find_if7functorIS9_EEEE10hipError_tPvRmT1_T2_T3_mT4_P12ihipStream_tbEUlT_E0_NS1_11comp_targetILNS1_3genE8ELNS1_11target_archE1030ELNS1_3gpuE2ELNS1_3repE0EEENS1_30default_config_static_selectorELNS0_4arch9wavefront6targetE1EEEvS14_
	.globl	_ZN7rocprim17ROCPRIM_400000_NS6detail17trampoline_kernelINS0_14default_configENS1_22reduce_config_selectorIN6thrust23THRUST_200600_302600_NS5tupleIblNS6_9null_typeES8_S8_S8_S8_S8_S8_S8_EEEEZNS1_11reduce_implILb1ES3_NS6_12zip_iteratorINS7_INS6_11hip_rocprim26transform_input_iterator_tIbNSD_35transform_pair_of_input_iterators_tIbNS6_6detail15normal_iteratorINS6_10device_ptrIKiEEEESL_NS6_8equal_toIiEEEENSG_9not_fun_tINSD_8identityEEEEENSD_19counting_iterator_tIlEES8_S8_S8_S8_S8_S8_S8_S8_EEEEPS9_S9_NSD_9__find_if7functorIS9_EEEE10hipError_tPvRmT1_T2_T3_mT4_P12ihipStream_tbEUlT_E0_NS1_11comp_targetILNS1_3genE8ELNS1_11target_archE1030ELNS1_3gpuE2ELNS1_3repE0EEENS1_30default_config_static_selectorELNS0_4arch9wavefront6targetE1EEEvS14_
	.p2align	8
	.type	_ZN7rocprim17ROCPRIM_400000_NS6detail17trampoline_kernelINS0_14default_configENS1_22reduce_config_selectorIN6thrust23THRUST_200600_302600_NS5tupleIblNS6_9null_typeES8_S8_S8_S8_S8_S8_S8_EEEEZNS1_11reduce_implILb1ES3_NS6_12zip_iteratorINS7_INS6_11hip_rocprim26transform_input_iterator_tIbNSD_35transform_pair_of_input_iterators_tIbNS6_6detail15normal_iteratorINS6_10device_ptrIKiEEEESL_NS6_8equal_toIiEEEENSG_9not_fun_tINSD_8identityEEEEENSD_19counting_iterator_tIlEES8_S8_S8_S8_S8_S8_S8_S8_EEEEPS9_S9_NSD_9__find_if7functorIS9_EEEE10hipError_tPvRmT1_T2_T3_mT4_P12ihipStream_tbEUlT_E0_NS1_11comp_targetILNS1_3genE8ELNS1_11target_archE1030ELNS1_3gpuE2ELNS1_3repE0EEENS1_30default_config_static_selectorELNS0_4arch9wavefront6targetE1EEEvS14_,@function
_ZN7rocprim17ROCPRIM_400000_NS6detail17trampoline_kernelINS0_14default_configENS1_22reduce_config_selectorIN6thrust23THRUST_200600_302600_NS5tupleIblNS6_9null_typeES8_S8_S8_S8_S8_S8_S8_EEEEZNS1_11reduce_implILb1ES3_NS6_12zip_iteratorINS7_INS6_11hip_rocprim26transform_input_iterator_tIbNSD_35transform_pair_of_input_iterators_tIbNS6_6detail15normal_iteratorINS6_10device_ptrIKiEEEESL_NS6_8equal_toIiEEEENSG_9not_fun_tINSD_8identityEEEEENSD_19counting_iterator_tIlEES8_S8_S8_S8_S8_S8_S8_S8_EEEEPS9_S9_NSD_9__find_if7functorIS9_EEEE10hipError_tPvRmT1_T2_T3_mT4_P12ihipStream_tbEUlT_E0_NS1_11comp_targetILNS1_3genE8ELNS1_11target_archE1030ELNS1_3gpuE2ELNS1_3repE0EEENS1_30default_config_static_selectorELNS0_4arch9wavefront6targetE1EEEvS14_: ; @_ZN7rocprim17ROCPRIM_400000_NS6detail17trampoline_kernelINS0_14default_configENS1_22reduce_config_selectorIN6thrust23THRUST_200600_302600_NS5tupleIblNS6_9null_typeES8_S8_S8_S8_S8_S8_S8_EEEEZNS1_11reduce_implILb1ES3_NS6_12zip_iteratorINS7_INS6_11hip_rocprim26transform_input_iterator_tIbNSD_35transform_pair_of_input_iterators_tIbNS6_6detail15normal_iteratorINS6_10device_ptrIKiEEEESL_NS6_8equal_toIiEEEENSG_9not_fun_tINSD_8identityEEEEENSD_19counting_iterator_tIlEES8_S8_S8_S8_S8_S8_S8_S8_EEEEPS9_S9_NSD_9__find_if7functorIS9_EEEE10hipError_tPvRmT1_T2_T3_mT4_P12ihipStream_tbEUlT_E0_NS1_11comp_targetILNS1_3genE8ELNS1_11target_archE1030ELNS1_3gpuE2ELNS1_3repE0EEENS1_30default_config_static_selectorELNS0_4arch9wavefront6targetE1EEEvS14_
; %bb.0:
	.section	.rodata,"a",@progbits
	.p2align	6, 0x0
	.amdhsa_kernel _ZN7rocprim17ROCPRIM_400000_NS6detail17trampoline_kernelINS0_14default_configENS1_22reduce_config_selectorIN6thrust23THRUST_200600_302600_NS5tupleIblNS6_9null_typeES8_S8_S8_S8_S8_S8_S8_EEEEZNS1_11reduce_implILb1ES3_NS6_12zip_iteratorINS7_INS6_11hip_rocprim26transform_input_iterator_tIbNSD_35transform_pair_of_input_iterators_tIbNS6_6detail15normal_iteratorINS6_10device_ptrIKiEEEESL_NS6_8equal_toIiEEEENSG_9not_fun_tINSD_8identityEEEEENSD_19counting_iterator_tIlEES8_S8_S8_S8_S8_S8_S8_S8_EEEEPS9_S9_NSD_9__find_if7functorIS9_EEEE10hipError_tPvRmT1_T2_T3_mT4_P12ihipStream_tbEUlT_E0_NS1_11comp_targetILNS1_3genE8ELNS1_11target_archE1030ELNS1_3gpuE2ELNS1_3repE0EEENS1_30default_config_static_selectorELNS0_4arch9wavefront6targetE1EEEvS14_
		.amdhsa_group_segment_fixed_size 0
		.amdhsa_private_segment_fixed_size 0
		.amdhsa_kernarg_size 104
		.amdhsa_user_sgpr_count 6
		.amdhsa_user_sgpr_private_segment_buffer 1
		.amdhsa_user_sgpr_dispatch_ptr 0
		.amdhsa_user_sgpr_queue_ptr 0
		.amdhsa_user_sgpr_kernarg_segment_ptr 1
		.amdhsa_user_sgpr_dispatch_id 0
		.amdhsa_user_sgpr_flat_scratch_init 0
		.amdhsa_user_sgpr_kernarg_preload_length 0
		.amdhsa_user_sgpr_kernarg_preload_offset 0
		.amdhsa_user_sgpr_private_segment_size 0
		.amdhsa_uses_dynamic_stack 0
		.amdhsa_system_sgpr_private_segment_wavefront_offset 0
		.amdhsa_system_sgpr_workgroup_id_x 1
		.amdhsa_system_sgpr_workgroup_id_y 0
		.amdhsa_system_sgpr_workgroup_id_z 0
		.amdhsa_system_sgpr_workgroup_info 0
		.amdhsa_system_vgpr_workitem_id 0
		.amdhsa_next_free_vgpr 1
		.amdhsa_next_free_sgpr 0
		.amdhsa_accum_offset 4
		.amdhsa_reserve_vcc 0
		.amdhsa_reserve_flat_scratch 0
		.amdhsa_float_round_mode_32 0
		.amdhsa_float_round_mode_16_64 0
		.amdhsa_float_denorm_mode_32 3
		.amdhsa_float_denorm_mode_16_64 3
		.amdhsa_dx10_clamp 1
		.amdhsa_ieee_mode 1
		.amdhsa_fp16_overflow 0
		.amdhsa_tg_split 0
		.amdhsa_exception_fp_ieee_invalid_op 0
		.amdhsa_exception_fp_denorm_src 0
		.amdhsa_exception_fp_ieee_div_zero 0
		.amdhsa_exception_fp_ieee_overflow 0
		.amdhsa_exception_fp_ieee_underflow 0
		.amdhsa_exception_fp_ieee_inexact 0
		.amdhsa_exception_int_div_zero 0
	.end_amdhsa_kernel
	.section	.text._ZN7rocprim17ROCPRIM_400000_NS6detail17trampoline_kernelINS0_14default_configENS1_22reduce_config_selectorIN6thrust23THRUST_200600_302600_NS5tupleIblNS6_9null_typeES8_S8_S8_S8_S8_S8_S8_EEEEZNS1_11reduce_implILb1ES3_NS6_12zip_iteratorINS7_INS6_11hip_rocprim26transform_input_iterator_tIbNSD_35transform_pair_of_input_iterators_tIbNS6_6detail15normal_iteratorINS6_10device_ptrIKiEEEESL_NS6_8equal_toIiEEEENSG_9not_fun_tINSD_8identityEEEEENSD_19counting_iterator_tIlEES8_S8_S8_S8_S8_S8_S8_S8_EEEEPS9_S9_NSD_9__find_if7functorIS9_EEEE10hipError_tPvRmT1_T2_T3_mT4_P12ihipStream_tbEUlT_E0_NS1_11comp_targetILNS1_3genE8ELNS1_11target_archE1030ELNS1_3gpuE2ELNS1_3repE0EEENS1_30default_config_static_selectorELNS0_4arch9wavefront6targetE1EEEvS14_,"axG",@progbits,_ZN7rocprim17ROCPRIM_400000_NS6detail17trampoline_kernelINS0_14default_configENS1_22reduce_config_selectorIN6thrust23THRUST_200600_302600_NS5tupleIblNS6_9null_typeES8_S8_S8_S8_S8_S8_S8_EEEEZNS1_11reduce_implILb1ES3_NS6_12zip_iteratorINS7_INS6_11hip_rocprim26transform_input_iterator_tIbNSD_35transform_pair_of_input_iterators_tIbNS6_6detail15normal_iteratorINS6_10device_ptrIKiEEEESL_NS6_8equal_toIiEEEENSG_9not_fun_tINSD_8identityEEEEENSD_19counting_iterator_tIlEES8_S8_S8_S8_S8_S8_S8_S8_EEEEPS9_S9_NSD_9__find_if7functorIS9_EEEE10hipError_tPvRmT1_T2_T3_mT4_P12ihipStream_tbEUlT_E0_NS1_11comp_targetILNS1_3genE8ELNS1_11target_archE1030ELNS1_3gpuE2ELNS1_3repE0EEENS1_30default_config_static_selectorELNS0_4arch9wavefront6targetE1EEEvS14_,comdat
.Lfunc_end494:
	.size	_ZN7rocprim17ROCPRIM_400000_NS6detail17trampoline_kernelINS0_14default_configENS1_22reduce_config_selectorIN6thrust23THRUST_200600_302600_NS5tupleIblNS6_9null_typeES8_S8_S8_S8_S8_S8_S8_EEEEZNS1_11reduce_implILb1ES3_NS6_12zip_iteratorINS7_INS6_11hip_rocprim26transform_input_iterator_tIbNSD_35transform_pair_of_input_iterators_tIbNS6_6detail15normal_iteratorINS6_10device_ptrIKiEEEESL_NS6_8equal_toIiEEEENSG_9not_fun_tINSD_8identityEEEEENSD_19counting_iterator_tIlEES8_S8_S8_S8_S8_S8_S8_S8_EEEEPS9_S9_NSD_9__find_if7functorIS9_EEEE10hipError_tPvRmT1_T2_T3_mT4_P12ihipStream_tbEUlT_E0_NS1_11comp_targetILNS1_3genE8ELNS1_11target_archE1030ELNS1_3gpuE2ELNS1_3repE0EEENS1_30default_config_static_selectorELNS0_4arch9wavefront6targetE1EEEvS14_, .Lfunc_end494-_ZN7rocprim17ROCPRIM_400000_NS6detail17trampoline_kernelINS0_14default_configENS1_22reduce_config_selectorIN6thrust23THRUST_200600_302600_NS5tupleIblNS6_9null_typeES8_S8_S8_S8_S8_S8_S8_EEEEZNS1_11reduce_implILb1ES3_NS6_12zip_iteratorINS7_INS6_11hip_rocprim26transform_input_iterator_tIbNSD_35transform_pair_of_input_iterators_tIbNS6_6detail15normal_iteratorINS6_10device_ptrIKiEEEESL_NS6_8equal_toIiEEEENSG_9not_fun_tINSD_8identityEEEEENSD_19counting_iterator_tIlEES8_S8_S8_S8_S8_S8_S8_S8_EEEEPS9_S9_NSD_9__find_if7functorIS9_EEEE10hipError_tPvRmT1_T2_T3_mT4_P12ihipStream_tbEUlT_E0_NS1_11comp_targetILNS1_3genE8ELNS1_11target_archE1030ELNS1_3gpuE2ELNS1_3repE0EEENS1_30default_config_static_selectorELNS0_4arch9wavefront6targetE1EEEvS14_
                                        ; -- End function
	.section	.AMDGPU.csdata,"",@progbits
; Kernel info:
; codeLenInByte = 0
; NumSgprs: 4
; NumVgprs: 0
; NumAgprs: 0
; TotalNumVgprs: 0
; ScratchSize: 0
; MemoryBound: 0
; FloatMode: 240
; IeeeMode: 1
; LDSByteSize: 0 bytes/workgroup (compile time only)
; SGPRBlocks: 0
; VGPRBlocks: 0
; NumSGPRsForWavesPerEU: 4
; NumVGPRsForWavesPerEU: 1
; AccumOffset: 4
; Occupancy: 8
; WaveLimiterHint : 0
; COMPUTE_PGM_RSRC2:SCRATCH_EN: 0
; COMPUTE_PGM_RSRC2:USER_SGPR: 6
; COMPUTE_PGM_RSRC2:TRAP_HANDLER: 0
; COMPUTE_PGM_RSRC2:TGID_X_EN: 1
; COMPUTE_PGM_RSRC2:TGID_Y_EN: 0
; COMPUTE_PGM_RSRC2:TGID_Z_EN: 0
; COMPUTE_PGM_RSRC2:TIDIG_COMP_CNT: 0
; COMPUTE_PGM_RSRC3_GFX90A:ACCUM_OFFSET: 0
; COMPUTE_PGM_RSRC3_GFX90A:TG_SPLIT: 0
	.section	.text._ZN7rocprim17ROCPRIM_400000_NS6detail17trampoline_kernelINS0_14default_configENS1_22reduce_config_selectorIN6thrust23THRUST_200600_302600_NS5tupleIblNS6_9null_typeES8_S8_S8_S8_S8_S8_S8_EEEEZNS1_11reduce_implILb1ES3_NS6_12zip_iteratorINS7_INS6_11hip_rocprim26transform_input_iterator_tIbNSD_35transform_pair_of_input_iterators_tIbNS6_6detail15normal_iteratorINS6_10device_ptrIKiEEEESL_NS6_8equal_toIiEEEENSG_9not_fun_tINSD_8identityEEEEENSD_19counting_iterator_tIlEES8_S8_S8_S8_S8_S8_S8_S8_EEEEPS9_S9_NSD_9__find_if7functorIS9_EEEE10hipError_tPvRmT1_T2_T3_mT4_P12ihipStream_tbEUlT_E1_NS1_11comp_targetILNS1_3genE0ELNS1_11target_archE4294967295ELNS1_3gpuE0ELNS1_3repE0EEENS1_30default_config_static_selectorELNS0_4arch9wavefront6targetE1EEEvS14_,"axG",@progbits,_ZN7rocprim17ROCPRIM_400000_NS6detail17trampoline_kernelINS0_14default_configENS1_22reduce_config_selectorIN6thrust23THRUST_200600_302600_NS5tupleIblNS6_9null_typeES8_S8_S8_S8_S8_S8_S8_EEEEZNS1_11reduce_implILb1ES3_NS6_12zip_iteratorINS7_INS6_11hip_rocprim26transform_input_iterator_tIbNSD_35transform_pair_of_input_iterators_tIbNS6_6detail15normal_iteratorINS6_10device_ptrIKiEEEESL_NS6_8equal_toIiEEEENSG_9not_fun_tINSD_8identityEEEEENSD_19counting_iterator_tIlEES8_S8_S8_S8_S8_S8_S8_S8_EEEEPS9_S9_NSD_9__find_if7functorIS9_EEEE10hipError_tPvRmT1_T2_T3_mT4_P12ihipStream_tbEUlT_E1_NS1_11comp_targetILNS1_3genE0ELNS1_11target_archE4294967295ELNS1_3gpuE0ELNS1_3repE0EEENS1_30default_config_static_selectorELNS0_4arch9wavefront6targetE1EEEvS14_,comdat
	.protected	_ZN7rocprim17ROCPRIM_400000_NS6detail17trampoline_kernelINS0_14default_configENS1_22reduce_config_selectorIN6thrust23THRUST_200600_302600_NS5tupleIblNS6_9null_typeES8_S8_S8_S8_S8_S8_S8_EEEEZNS1_11reduce_implILb1ES3_NS6_12zip_iteratorINS7_INS6_11hip_rocprim26transform_input_iterator_tIbNSD_35transform_pair_of_input_iterators_tIbNS6_6detail15normal_iteratorINS6_10device_ptrIKiEEEESL_NS6_8equal_toIiEEEENSG_9not_fun_tINSD_8identityEEEEENSD_19counting_iterator_tIlEES8_S8_S8_S8_S8_S8_S8_S8_EEEEPS9_S9_NSD_9__find_if7functorIS9_EEEE10hipError_tPvRmT1_T2_T3_mT4_P12ihipStream_tbEUlT_E1_NS1_11comp_targetILNS1_3genE0ELNS1_11target_archE4294967295ELNS1_3gpuE0ELNS1_3repE0EEENS1_30default_config_static_selectorELNS0_4arch9wavefront6targetE1EEEvS14_ ; -- Begin function _ZN7rocprim17ROCPRIM_400000_NS6detail17trampoline_kernelINS0_14default_configENS1_22reduce_config_selectorIN6thrust23THRUST_200600_302600_NS5tupleIblNS6_9null_typeES8_S8_S8_S8_S8_S8_S8_EEEEZNS1_11reduce_implILb1ES3_NS6_12zip_iteratorINS7_INS6_11hip_rocprim26transform_input_iterator_tIbNSD_35transform_pair_of_input_iterators_tIbNS6_6detail15normal_iteratorINS6_10device_ptrIKiEEEESL_NS6_8equal_toIiEEEENSG_9not_fun_tINSD_8identityEEEEENSD_19counting_iterator_tIlEES8_S8_S8_S8_S8_S8_S8_S8_EEEEPS9_S9_NSD_9__find_if7functorIS9_EEEE10hipError_tPvRmT1_T2_T3_mT4_P12ihipStream_tbEUlT_E1_NS1_11comp_targetILNS1_3genE0ELNS1_11target_archE4294967295ELNS1_3gpuE0ELNS1_3repE0EEENS1_30default_config_static_selectorELNS0_4arch9wavefront6targetE1EEEvS14_
	.globl	_ZN7rocprim17ROCPRIM_400000_NS6detail17trampoline_kernelINS0_14default_configENS1_22reduce_config_selectorIN6thrust23THRUST_200600_302600_NS5tupleIblNS6_9null_typeES8_S8_S8_S8_S8_S8_S8_EEEEZNS1_11reduce_implILb1ES3_NS6_12zip_iteratorINS7_INS6_11hip_rocprim26transform_input_iterator_tIbNSD_35transform_pair_of_input_iterators_tIbNS6_6detail15normal_iteratorINS6_10device_ptrIKiEEEESL_NS6_8equal_toIiEEEENSG_9not_fun_tINSD_8identityEEEEENSD_19counting_iterator_tIlEES8_S8_S8_S8_S8_S8_S8_S8_EEEEPS9_S9_NSD_9__find_if7functorIS9_EEEE10hipError_tPvRmT1_T2_T3_mT4_P12ihipStream_tbEUlT_E1_NS1_11comp_targetILNS1_3genE0ELNS1_11target_archE4294967295ELNS1_3gpuE0ELNS1_3repE0EEENS1_30default_config_static_selectorELNS0_4arch9wavefront6targetE1EEEvS14_
	.p2align	8
	.type	_ZN7rocprim17ROCPRIM_400000_NS6detail17trampoline_kernelINS0_14default_configENS1_22reduce_config_selectorIN6thrust23THRUST_200600_302600_NS5tupleIblNS6_9null_typeES8_S8_S8_S8_S8_S8_S8_EEEEZNS1_11reduce_implILb1ES3_NS6_12zip_iteratorINS7_INS6_11hip_rocprim26transform_input_iterator_tIbNSD_35transform_pair_of_input_iterators_tIbNS6_6detail15normal_iteratorINS6_10device_ptrIKiEEEESL_NS6_8equal_toIiEEEENSG_9not_fun_tINSD_8identityEEEEENSD_19counting_iterator_tIlEES8_S8_S8_S8_S8_S8_S8_S8_EEEEPS9_S9_NSD_9__find_if7functorIS9_EEEE10hipError_tPvRmT1_T2_T3_mT4_P12ihipStream_tbEUlT_E1_NS1_11comp_targetILNS1_3genE0ELNS1_11target_archE4294967295ELNS1_3gpuE0ELNS1_3repE0EEENS1_30default_config_static_selectorELNS0_4arch9wavefront6targetE1EEEvS14_,@function
_ZN7rocprim17ROCPRIM_400000_NS6detail17trampoline_kernelINS0_14default_configENS1_22reduce_config_selectorIN6thrust23THRUST_200600_302600_NS5tupleIblNS6_9null_typeES8_S8_S8_S8_S8_S8_S8_EEEEZNS1_11reduce_implILb1ES3_NS6_12zip_iteratorINS7_INS6_11hip_rocprim26transform_input_iterator_tIbNSD_35transform_pair_of_input_iterators_tIbNS6_6detail15normal_iteratorINS6_10device_ptrIKiEEEESL_NS6_8equal_toIiEEEENSG_9not_fun_tINSD_8identityEEEEENSD_19counting_iterator_tIlEES8_S8_S8_S8_S8_S8_S8_S8_EEEEPS9_S9_NSD_9__find_if7functorIS9_EEEE10hipError_tPvRmT1_T2_T3_mT4_P12ihipStream_tbEUlT_E1_NS1_11comp_targetILNS1_3genE0ELNS1_11target_archE4294967295ELNS1_3gpuE0ELNS1_3repE0EEENS1_30default_config_static_selectorELNS0_4arch9wavefront6targetE1EEEvS14_: ; @_ZN7rocprim17ROCPRIM_400000_NS6detail17trampoline_kernelINS0_14default_configENS1_22reduce_config_selectorIN6thrust23THRUST_200600_302600_NS5tupleIblNS6_9null_typeES8_S8_S8_S8_S8_S8_S8_EEEEZNS1_11reduce_implILb1ES3_NS6_12zip_iteratorINS7_INS6_11hip_rocprim26transform_input_iterator_tIbNSD_35transform_pair_of_input_iterators_tIbNS6_6detail15normal_iteratorINS6_10device_ptrIKiEEEESL_NS6_8equal_toIiEEEENSG_9not_fun_tINSD_8identityEEEEENSD_19counting_iterator_tIlEES8_S8_S8_S8_S8_S8_S8_S8_EEEEPS9_S9_NSD_9__find_if7functorIS9_EEEE10hipError_tPvRmT1_T2_T3_mT4_P12ihipStream_tbEUlT_E1_NS1_11comp_targetILNS1_3genE0ELNS1_11target_archE4294967295ELNS1_3gpuE0ELNS1_3repE0EEENS1_30default_config_static_selectorELNS0_4arch9wavefront6targetE1EEEvS14_
; %bb.0:
	.section	.rodata,"a",@progbits
	.p2align	6, 0x0
	.amdhsa_kernel _ZN7rocprim17ROCPRIM_400000_NS6detail17trampoline_kernelINS0_14default_configENS1_22reduce_config_selectorIN6thrust23THRUST_200600_302600_NS5tupleIblNS6_9null_typeES8_S8_S8_S8_S8_S8_S8_EEEEZNS1_11reduce_implILb1ES3_NS6_12zip_iteratorINS7_INS6_11hip_rocprim26transform_input_iterator_tIbNSD_35transform_pair_of_input_iterators_tIbNS6_6detail15normal_iteratorINS6_10device_ptrIKiEEEESL_NS6_8equal_toIiEEEENSG_9not_fun_tINSD_8identityEEEEENSD_19counting_iterator_tIlEES8_S8_S8_S8_S8_S8_S8_S8_EEEEPS9_S9_NSD_9__find_if7functorIS9_EEEE10hipError_tPvRmT1_T2_T3_mT4_P12ihipStream_tbEUlT_E1_NS1_11comp_targetILNS1_3genE0ELNS1_11target_archE4294967295ELNS1_3gpuE0ELNS1_3repE0EEENS1_30default_config_static_selectorELNS0_4arch9wavefront6targetE1EEEvS14_
		.amdhsa_group_segment_fixed_size 0
		.amdhsa_private_segment_fixed_size 0
		.amdhsa_kernarg_size 88
		.amdhsa_user_sgpr_count 6
		.amdhsa_user_sgpr_private_segment_buffer 1
		.amdhsa_user_sgpr_dispatch_ptr 0
		.amdhsa_user_sgpr_queue_ptr 0
		.amdhsa_user_sgpr_kernarg_segment_ptr 1
		.amdhsa_user_sgpr_dispatch_id 0
		.amdhsa_user_sgpr_flat_scratch_init 0
		.amdhsa_user_sgpr_kernarg_preload_length 0
		.amdhsa_user_sgpr_kernarg_preload_offset 0
		.amdhsa_user_sgpr_private_segment_size 0
		.amdhsa_uses_dynamic_stack 0
		.amdhsa_system_sgpr_private_segment_wavefront_offset 0
		.amdhsa_system_sgpr_workgroup_id_x 1
		.amdhsa_system_sgpr_workgroup_id_y 0
		.amdhsa_system_sgpr_workgroup_id_z 0
		.amdhsa_system_sgpr_workgroup_info 0
		.amdhsa_system_vgpr_workitem_id 0
		.amdhsa_next_free_vgpr 1
		.amdhsa_next_free_sgpr 0
		.amdhsa_accum_offset 4
		.amdhsa_reserve_vcc 0
		.amdhsa_reserve_flat_scratch 0
		.amdhsa_float_round_mode_32 0
		.amdhsa_float_round_mode_16_64 0
		.amdhsa_float_denorm_mode_32 3
		.amdhsa_float_denorm_mode_16_64 3
		.amdhsa_dx10_clamp 1
		.amdhsa_ieee_mode 1
		.amdhsa_fp16_overflow 0
		.amdhsa_tg_split 0
		.amdhsa_exception_fp_ieee_invalid_op 0
		.amdhsa_exception_fp_denorm_src 0
		.amdhsa_exception_fp_ieee_div_zero 0
		.amdhsa_exception_fp_ieee_overflow 0
		.amdhsa_exception_fp_ieee_underflow 0
		.amdhsa_exception_fp_ieee_inexact 0
		.amdhsa_exception_int_div_zero 0
	.end_amdhsa_kernel
	.section	.text._ZN7rocprim17ROCPRIM_400000_NS6detail17trampoline_kernelINS0_14default_configENS1_22reduce_config_selectorIN6thrust23THRUST_200600_302600_NS5tupleIblNS6_9null_typeES8_S8_S8_S8_S8_S8_S8_EEEEZNS1_11reduce_implILb1ES3_NS6_12zip_iteratorINS7_INS6_11hip_rocprim26transform_input_iterator_tIbNSD_35transform_pair_of_input_iterators_tIbNS6_6detail15normal_iteratorINS6_10device_ptrIKiEEEESL_NS6_8equal_toIiEEEENSG_9not_fun_tINSD_8identityEEEEENSD_19counting_iterator_tIlEES8_S8_S8_S8_S8_S8_S8_S8_EEEEPS9_S9_NSD_9__find_if7functorIS9_EEEE10hipError_tPvRmT1_T2_T3_mT4_P12ihipStream_tbEUlT_E1_NS1_11comp_targetILNS1_3genE0ELNS1_11target_archE4294967295ELNS1_3gpuE0ELNS1_3repE0EEENS1_30default_config_static_selectorELNS0_4arch9wavefront6targetE1EEEvS14_,"axG",@progbits,_ZN7rocprim17ROCPRIM_400000_NS6detail17trampoline_kernelINS0_14default_configENS1_22reduce_config_selectorIN6thrust23THRUST_200600_302600_NS5tupleIblNS6_9null_typeES8_S8_S8_S8_S8_S8_S8_EEEEZNS1_11reduce_implILb1ES3_NS6_12zip_iteratorINS7_INS6_11hip_rocprim26transform_input_iterator_tIbNSD_35transform_pair_of_input_iterators_tIbNS6_6detail15normal_iteratorINS6_10device_ptrIKiEEEESL_NS6_8equal_toIiEEEENSG_9not_fun_tINSD_8identityEEEEENSD_19counting_iterator_tIlEES8_S8_S8_S8_S8_S8_S8_S8_EEEEPS9_S9_NSD_9__find_if7functorIS9_EEEE10hipError_tPvRmT1_T2_T3_mT4_P12ihipStream_tbEUlT_E1_NS1_11comp_targetILNS1_3genE0ELNS1_11target_archE4294967295ELNS1_3gpuE0ELNS1_3repE0EEENS1_30default_config_static_selectorELNS0_4arch9wavefront6targetE1EEEvS14_,comdat
.Lfunc_end495:
	.size	_ZN7rocprim17ROCPRIM_400000_NS6detail17trampoline_kernelINS0_14default_configENS1_22reduce_config_selectorIN6thrust23THRUST_200600_302600_NS5tupleIblNS6_9null_typeES8_S8_S8_S8_S8_S8_S8_EEEEZNS1_11reduce_implILb1ES3_NS6_12zip_iteratorINS7_INS6_11hip_rocprim26transform_input_iterator_tIbNSD_35transform_pair_of_input_iterators_tIbNS6_6detail15normal_iteratorINS6_10device_ptrIKiEEEESL_NS6_8equal_toIiEEEENSG_9not_fun_tINSD_8identityEEEEENSD_19counting_iterator_tIlEES8_S8_S8_S8_S8_S8_S8_S8_EEEEPS9_S9_NSD_9__find_if7functorIS9_EEEE10hipError_tPvRmT1_T2_T3_mT4_P12ihipStream_tbEUlT_E1_NS1_11comp_targetILNS1_3genE0ELNS1_11target_archE4294967295ELNS1_3gpuE0ELNS1_3repE0EEENS1_30default_config_static_selectorELNS0_4arch9wavefront6targetE1EEEvS14_, .Lfunc_end495-_ZN7rocprim17ROCPRIM_400000_NS6detail17trampoline_kernelINS0_14default_configENS1_22reduce_config_selectorIN6thrust23THRUST_200600_302600_NS5tupleIblNS6_9null_typeES8_S8_S8_S8_S8_S8_S8_EEEEZNS1_11reduce_implILb1ES3_NS6_12zip_iteratorINS7_INS6_11hip_rocprim26transform_input_iterator_tIbNSD_35transform_pair_of_input_iterators_tIbNS6_6detail15normal_iteratorINS6_10device_ptrIKiEEEESL_NS6_8equal_toIiEEEENSG_9not_fun_tINSD_8identityEEEEENSD_19counting_iterator_tIlEES8_S8_S8_S8_S8_S8_S8_S8_EEEEPS9_S9_NSD_9__find_if7functorIS9_EEEE10hipError_tPvRmT1_T2_T3_mT4_P12ihipStream_tbEUlT_E1_NS1_11comp_targetILNS1_3genE0ELNS1_11target_archE4294967295ELNS1_3gpuE0ELNS1_3repE0EEENS1_30default_config_static_selectorELNS0_4arch9wavefront6targetE1EEEvS14_
                                        ; -- End function
	.section	.AMDGPU.csdata,"",@progbits
; Kernel info:
; codeLenInByte = 0
; NumSgprs: 4
; NumVgprs: 0
; NumAgprs: 0
; TotalNumVgprs: 0
; ScratchSize: 0
; MemoryBound: 0
; FloatMode: 240
; IeeeMode: 1
; LDSByteSize: 0 bytes/workgroup (compile time only)
; SGPRBlocks: 0
; VGPRBlocks: 0
; NumSGPRsForWavesPerEU: 4
; NumVGPRsForWavesPerEU: 1
; AccumOffset: 4
; Occupancy: 8
; WaveLimiterHint : 0
; COMPUTE_PGM_RSRC2:SCRATCH_EN: 0
; COMPUTE_PGM_RSRC2:USER_SGPR: 6
; COMPUTE_PGM_RSRC2:TRAP_HANDLER: 0
; COMPUTE_PGM_RSRC2:TGID_X_EN: 1
; COMPUTE_PGM_RSRC2:TGID_Y_EN: 0
; COMPUTE_PGM_RSRC2:TGID_Z_EN: 0
; COMPUTE_PGM_RSRC2:TIDIG_COMP_CNT: 0
; COMPUTE_PGM_RSRC3_GFX90A:ACCUM_OFFSET: 0
; COMPUTE_PGM_RSRC3_GFX90A:TG_SPLIT: 0
	.section	.text._ZN7rocprim17ROCPRIM_400000_NS6detail17trampoline_kernelINS0_14default_configENS1_22reduce_config_selectorIN6thrust23THRUST_200600_302600_NS5tupleIblNS6_9null_typeES8_S8_S8_S8_S8_S8_S8_EEEEZNS1_11reduce_implILb1ES3_NS6_12zip_iteratorINS7_INS6_11hip_rocprim26transform_input_iterator_tIbNSD_35transform_pair_of_input_iterators_tIbNS6_6detail15normal_iteratorINS6_10device_ptrIKiEEEESL_NS6_8equal_toIiEEEENSG_9not_fun_tINSD_8identityEEEEENSD_19counting_iterator_tIlEES8_S8_S8_S8_S8_S8_S8_S8_EEEEPS9_S9_NSD_9__find_if7functorIS9_EEEE10hipError_tPvRmT1_T2_T3_mT4_P12ihipStream_tbEUlT_E1_NS1_11comp_targetILNS1_3genE5ELNS1_11target_archE942ELNS1_3gpuE9ELNS1_3repE0EEENS1_30default_config_static_selectorELNS0_4arch9wavefront6targetE1EEEvS14_,"axG",@progbits,_ZN7rocprim17ROCPRIM_400000_NS6detail17trampoline_kernelINS0_14default_configENS1_22reduce_config_selectorIN6thrust23THRUST_200600_302600_NS5tupleIblNS6_9null_typeES8_S8_S8_S8_S8_S8_S8_EEEEZNS1_11reduce_implILb1ES3_NS6_12zip_iteratorINS7_INS6_11hip_rocprim26transform_input_iterator_tIbNSD_35transform_pair_of_input_iterators_tIbNS6_6detail15normal_iteratorINS6_10device_ptrIKiEEEESL_NS6_8equal_toIiEEEENSG_9not_fun_tINSD_8identityEEEEENSD_19counting_iterator_tIlEES8_S8_S8_S8_S8_S8_S8_S8_EEEEPS9_S9_NSD_9__find_if7functorIS9_EEEE10hipError_tPvRmT1_T2_T3_mT4_P12ihipStream_tbEUlT_E1_NS1_11comp_targetILNS1_3genE5ELNS1_11target_archE942ELNS1_3gpuE9ELNS1_3repE0EEENS1_30default_config_static_selectorELNS0_4arch9wavefront6targetE1EEEvS14_,comdat
	.protected	_ZN7rocprim17ROCPRIM_400000_NS6detail17trampoline_kernelINS0_14default_configENS1_22reduce_config_selectorIN6thrust23THRUST_200600_302600_NS5tupleIblNS6_9null_typeES8_S8_S8_S8_S8_S8_S8_EEEEZNS1_11reduce_implILb1ES3_NS6_12zip_iteratorINS7_INS6_11hip_rocprim26transform_input_iterator_tIbNSD_35transform_pair_of_input_iterators_tIbNS6_6detail15normal_iteratorINS6_10device_ptrIKiEEEESL_NS6_8equal_toIiEEEENSG_9not_fun_tINSD_8identityEEEEENSD_19counting_iterator_tIlEES8_S8_S8_S8_S8_S8_S8_S8_EEEEPS9_S9_NSD_9__find_if7functorIS9_EEEE10hipError_tPvRmT1_T2_T3_mT4_P12ihipStream_tbEUlT_E1_NS1_11comp_targetILNS1_3genE5ELNS1_11target_archE942ELNS1_3gpuE9ELNS1_3repE0EEENS1_30default_config_static_selectorELNS0_4arch9wavefront6targetE1EEEvS14_ ; -- Begin function _ZN7rocprim17ROCPRIM_400000_NS6detail17trampoline_kernelINS0_14default_configENS1_22reduce_config_selectorIN6thrust23THRUST_200600_302600_NS5tupleIblNS6_9null_typeES8_S8_S8_S8_S8_S8_S8_EEEEZNS1_11reduce_implILb1ES3_NS6_12zip_iteratorINS7_INS6_11hip_rocprim26transform_input_iterator_tIbNSD_35transform_pair_of_input_iterators_tIbNS6_6detail15normal_iteratorINS6_10device_ptrIKiEEEESL_NS6_8equal_toIiEEEENSG_9not_fun_tINSD_8identityEEEEENSD_19counting_iterator_tIlEES8_S8_S8_S8_S8_S8_S8_S8_EEEEPS9_S9_NSD_9__find_if7functorIS9_EEEE10hipError_tPvRmT1_T2_T3_mT4_P12ihipStream_tbEUlT_E1_NS1_11comp_targetILNS1_3genE5ELNS1_11target_archE942ELNS1_3gpuE9ELNS1_3repE0EEENS1_30default_config_static_selectorELNS0_4arch9wavefront6targetE1EEEvS14_
	.globl	_ZN7rocprim17ROCPRIM_400000_NS6detail17trampoline_kernelINS0_14default_configENS1_22reduce_config_selectorIN6thrust23THRUST_200600_302600_NS5tupleIblNS6_9null_typeES8_S8_S8_S8_S8_S8_S8_EEEEZNS1_11reduce_implILb1ES3_NS6_12zip_iteratorINS7_INS6_11hip_rocprim26transform_input_iterator_tIbNSD_35transform_pair_of_input_iterators_tIbNS6_6detail15normal_iteratorINS6_10device_ptrIKiEEEESL_NS6_8equal_toIiEEEENSG_9not_fun_tINSD_8identityEEEEENSD_19counting_iterator_tIlEES8_S8_S8_S8_S8_S8_S8_S8_EEEEPS9_S9_NSD_9__find_if7functorIS9_EEEE10hipError_tPvRmT1_T2_T3_mT4_P12ihipStream_tbEUlT_E1_NS1_11comp_targetILNS1_3genE5ELNS1_11target_archE942ELNS1_3gpuE9ELNS1_3repE0EEENS1_30default_config_static_selectorELNS0_4arch9wavefront6targetE1EEEvS14_
	.p2align	8
	.type	_ZN7rocprim17ROCPRIM_400000_NS6detail17trampoline_kernelINS0_14default_configENS1_22reduce_config_selectorIN6thrust23THRUST_200600_302600_NS5tupleIblNS6_9null_typeES8_S8_S8_S8_S8_S8_S8_EEEEZNS1_11reduce_implILb1ES3_NS6_12zip_iteratorINS7_INS6_11hip_rocprim26transform_input_iterator_tIbNSD_35transform_pair_of_input_iterators_tIbNS6_6detail15normal_iteratorINS6_10device_ptrIKiEEEESL_NS6_8equal_toIiEEEENSG_9not_fun_tINSD_8identityEEEEENSD_19counting_iterator_tIlEES8_S8_S8_S8_S8_S8_S8_S8_EEEEPS9_S9_NSD_9__find_if7functorIS9_EEEE10hipError_tPvRmT1_T2_T3_mT4_P12ihipStream_tbEUlT_E1_NS1_11comp_targetILNS1_3genE5ELNS1_11target_archE942ELNS1_3gpuE9ELNS1_3repE0EEENS1_30default_config_static_selectorELNS0_4arch9wavefront6targetE1EEEvS14_,@function
_ZN7rocprim17ROCPRIM_400000_NS6detail17trampoline_kernelINS0_14default_configENS1_22reduce_config_selectorIN6thrust23THRUST_200600_302600_NS5tupleIblNS6_9null_typeES8_S8_S8_S8_S8_S8_S8_EEEEZNS1_11reduce_implILb1ES3_NS6_12zip_iteratorINS7_INS6_11hip_rocprim26transform_input_iterator_tIbNSD_35transform_pair_of_input_iterators_tIbNS6_6detail15normal_iteratorINS6_10device_ptrIKiEEEESL_NS6_8equal_toIiEEEENSG_9not_fun_tINSD_8identityEEEEENSD_19counting_iterator_tIlEES8_S8_S8_S8_S8_S8_S8_S8_EEEEPS9_S9_NSD_9__find_if7functorIS9_EEEE10hipError_tPvRmT1_T2_T3_mT4_P12ihipStream_tbEUlT_E1_NS1_11comp_targetILNS1_3genE5ELNS1_11target_archE942ELNS1_3gpuE9ELNS1_3repE0EEENS1_30default_config_static_selectorELNS0_4arch9wavefront6targetE1EEEvS14_: ; @_ZN7rocprim17ROCPRIM_400000_NS6detail17trampoline_kernelINS0_14default_configENS1_22reduce_config_selectorIN6thrust23THRUST_200600_302600_NS5tupleIblNS6_9null_typeES8_S8_S8_S8_S8_S8_S8_EEEEZNS1_11reduce_implILb1ES3_NS6_12zip_iteratorINS7_INS6_11hip_rocprim26transform_input_iterator_tIbNSD_35transform_pair_of_input_iterators_tIbNS6_6detail15normal_iteratorINS6_10device_ptrIKiEEEESL_NS6_8equal_toIiEEEENSG_9not_fun_tINSD_8identityEEEEENSD_19counting_iterator_tIlEES8_S8_S8_S8_S8_S8_S8_S8_EEEEPS9_S9_NSD_9__find_if7functorIS9_EEEE10hipError_tPvRmT1_T2_T3_mT4_P12ihipStream_tbEUlT_E1_NS1_11comp_targetILNS1_3genE5ELNS1_11target_archE942ELNS1_3gpuE9ELNS1_3repE0EEENS1_30default_config_static_selectorELNS0_4arch9wavefront6targetE1EEEvS14_
; %bb.0:
	.section	.rodata,"a",@progbits
	.p2align	6, 0x0
	.amdhsa_kernel _ZN7rocprim17ROCPRIM_400000_NS6detail17trampoline_kernelINS0_14default_configENS1_22reduce_config_selectorIN6thrust23THRUST_200600_302600_NS5tupleIblNS6_9null_typeES8_S8_S8_S8_S8_S8_S8_EEEEZNS1_11reduce_implILb1ES3_NS6_12zip_iteratorINS7_INS6_11hip_rocprim26transform_input_iterator_tIbNSD_35transform_pair_of_input_iterators_tIbNS6_6detail15normal_iteratorINS6_10device_ptrIKiEEEESL_NS6_8equal_toIiEEEENSG_9not_fun_tINSD_8identityEEEEENSD_19counting_iterator_tIlEES8_S8_S8_S8_S8_S8_S8_S8_EEEEPS9_S9_NSD_9__find_if7functorIS9_EEEE10hipError_tPvRmT1_T2_T3_mT4_P12ihipStream_tbEUlT_E1_NS1_11comp_targetILNS1_3genE5ELNS1_11target_archE942ELNS1_3gpuE9ELNS1_3repE0EEENS1_30default_config_static_selectorELNS0_4arch9wavefront6targetE1EEEvS14_
		.amdhsa_group_segment_fixed_size 0
		.amdhsa_private_segment_fixed_size 0
		.amdhsa_kernarg_size 88
		.amdhsa_user_sgpr_count 6
		.amdhsa_user_sgpr_private_segment_buffer 1
		.amdhsa_user_sgpr_dispatch_ptr 0
		.amdhsa_user_sgpr_queue_ptr 0
		.amdhsa_user_sgpr_kernarg_segment_ptr 1
		.amdhsa_user_sgpr_dispatch_id 0
		.amdhsa_user_sgpr_flat_scratch_init 0
		.amdhsa_user_sgpr_kernarg_preload_length 0
		.amdhsa_user_sgpr_kernarg_preload_offset 0
		.amdhsa_user_sgpr_private_segment_size 0
		.amdhsa_uses_dynamic_stack 0
		.amdhsa_system_sgpr_private_segment_wavefront_offset 0
		.amdhsa_system_sgpr_workgroup_id_x 1
		.amdhsa_system_sgpr_workgroup_id_y 0
		.amdhsa_system_sgpr_workgroup_id_z 0
		.amdhsa_system_sgpr_workgroup_info 0
		.amdhsa_system_vgpr_workitem_id 0
		.amdhsa_next_free_vgpr 1
		.amdhsa_next_free_sgpr 0
		.amdhsa_accum_offset 4
		.amdhsa_reserve_vcc 0
		.amdhsa_reserve_flat_scratch 0
		.amdhsa_float_round_mode_32 0
		.amdhsa_float_round_mode_16_64 0
		.amdhsa_float_denorm_mode_32 3
		.amdhsa_float_denorm_mode_16_64 3
		.amdhsa_dx10_clamp 1
		.amdhsa_ieee_mode 1
		.amdhsa_fp16_overflow 0
		.amdhsa_tg_split 0
		.amdhsa_exception_fp_ieee_invalid_op 0
		.amdhsa_exception_fp_denorm_src 0
		.amdhsa_exception_fp_ieee_div_zero 0
		.amdhsa_exception_fp_ieee_overflow 0
		.amdhsa_exception_fp_ieee_underflow 0
		.amdhsa_exception_fp_ieee_inexact 0
		.amdhsa_exception_int_div_zero 0
	.end_amdhsa_kernel
	.section	.text._ZN7rocprim17ROCPRIM_400000_NS6detail17trampoline_kernelINS0_14default_configENS1_22reduce_config_selectorIN6thrust23THRUST_200600_302600_NS5tupleIblNS6_9null_typeES8_S8_S8_S8_S8_S8_S8_EEEEZNS1_11reduce_implILb1ES3_NS6_12zip_iteratorINS7_INS6_11hip_rocprim26transform_input_iterator_tIbNSD_35transform_pair_of_input_iterators_tIbNS6_6detail15normal_iteratorINS6_10device_ptrIKiEEEESL_NS6_8equal_toIiEEEENSG_9not_fun_tINSD_8identityEEEEENSD_19counting_iterator_tIlEES8_S8_S8_S8_S8_S8_S8_S8_EEEEPS9_S9_NSD_9__find_if7functorIS9_EEEE10hipError_tPvRmT1_T2_T3_mT4_P12ihipStream_tbEUlT_E1_NS1_11comp_targetILNS1_3genE5ELNS1_11target_archE942ELNS1_3gpuE9ELNS1_3repE0EEENS1_30default_config_static_selectorELNS0_4arch9wavefront6targetE1EEEvS14_,"axG",@progbits,_ZN7rocprim17ROCPRIM_400000_NS6detail17trampoline_kernelINS0_14default_configENS1_22reduce_config_selectorIN6thrust23THRUST_200600_302600_NS5tupleIblNS6_9null_typeES8_S8_S8_S8_S8_S8_S8_EEEEZNS1_11reduce_implILb1ES3_NS6_12zip_iteratorINS7_INS6_11hip_rocprim26transform_input_iterator_tIbNSD_35transform_pair_of_input_iterators_tIbNS6_6detail15normal_iteratorINS6_10device_ptrIKiEEEESL_NS6_8equal_toIiEEEENSG_9not_fun_tINSD_8identityEEEEENSD_19counting_iterator_tIlEES8_S8_S8_S8_S8_S8_S8_S8_EEEEPS9_S9_NSD_9__find_if7functorIS9_EEEE10hipError_tPvRmT1_T2_T3_mT4_P12ihipStream_tbEUlT_E1_NS1_11comp_targetILNS1_3genE5ELNS1_11target_archE942ELNS1_3gpuE9ELNS1_3repE0EEENS1_30default_config_static_selectorELNS0_4arch9wavefront6targetE1EEEvS14_,comdat
.Lfunc_end496:
	.size	_ZN7rocprim17ROCPRIM_400000_NS6detail17trampoline_kernelINS0_14default_configENS1_22reduce_config_selectorIN6thrust23THRUST_200600_302600_NS5tupleIblNS6_9null_typeES8_S8_S8_S8_S8_S8_S8_EEEEZNS1_11reduce_implILb1ES3_NS6_12zip_iteratorINS7_INS6_11hip_rocprim26transform_input_iterator_tIbNSD_35transform_pair_of_input_iterators_tIbNS6_6detail15normal_iteratorINS6_10device_ptrIKiEEEESL_NS6_8equal_toIiEEEENSG_9not_fun_tINSD_8identityEEEEENSD_19counting_iterator_tIlEES8_S8_S8_S8_S8_S8_S8_S8_EEEEPS9_S9_NSD_9__find_if7functorIS9_EEEE10hipError_tPvRmT1_T2_T3_mT4_P12ihipStream_tbEUlT_E1_NS1_11comp_targetILNS1_3genE5ELNS1_11target_archE942ELNS1_3gpuE9ELNS1_3repE0EEENS1_30default_config_static_selectorELNS0_4arch9wavefront6targetE1EEEvS14_, .Lfunc_end496-_ZN7rocprim17ROCPRIM_400000_NS6detail17trampoline_kernelINS0_14default_configENS1_22reduce_config_selectorIN6thrust23THRUST_200600_302600_NS5tupleIblNS6_9null_typeES8_S8_S8_S8_S8_S8_S8_EEEEZNS1_11reduce_implILb1ES3_NS6_12zip_iteratorINS7_INS6_11hip_rocprim26transform_input_iterator_tIbNSD_35transform_pair_of_input_iterators_tIbNS6_6detail15normal_iteratorINS6_10device_ptrIKiEEEESL_NS6_8equal_toIiEEEENSG_9not_fun_tINSD_8identityEEEEENSD_19counting_iterator_tIlEES8_S8_S8_S8_S8_S8_S8_S8_EEEEPS9_S9_NSD_9__find_if7functorIS9_EEEE10hipError_tPvRmT1_T2_T3_mT4_P12ihipStream_tbEUlT_E1_NS1_11comp_targetILNS1_3genE5ELNS1_11target_archE942ELNS1_3gpuE9ELNS1_3repE0EEENS1_30default_config_static_selectorELNS0_4arch9wavefront6targetE1EEEvS14_
                                        ; -- End function
	.section	.AMDGPU.csdata,"",@progbits
; Kernel info:
; codeLenInByte = 0
; NumSgprs: 4
; NumVgprs: 0
; NumAgprs: 0
; TotalNumVgprs: 0
; ScratchSize: 0
; MemoryBound: 0
; FloatMode: 240
; IeeeMode: 1
; LDSByteSize: 0 bytes/workgroup (compile time only)
; SGPRBlocks: 0
; VGPRBlocks: 0
; NumSGPRsForWavesPerEU: 4
; NumVGPRsForWavesPerEU: 1
; AccumOffset: 4
; Occupancy: 8
; WaveLimiterHint : 0
; COMPUTE_PGM_RSRC2:SCRATCH_EN: 0
; COMPUTE_PGM_RSRC2:USER_SGPR: 6
; COMPUTE_PGM_RSRC2:TRAP_HANDLER: 0
; COMPUTE_PGM_RSRC2:TGID_X_EN: 1
; COMPUTE_PGM_RSRC2:TGID_Y_EN: 0
; COMPUTE_PGM_RSRC2:TGID_Z_EN: 0
; COMPUTE_PGM_RSRC2:TIDIG_COMP_CNT: 0
; COMPUTE_PGM_RSRC3_GFX90A:ACCUM_OFFSET: 0
; COMPUTE_PGM_RSRC3_GFX90A:TG_SPLIT: 0
	.section	.text._ZN7rocprim17ROCPRIM_400000_NS6detail17trampoline_kernelINS0_14default_configENS1_22reduce_config_selectorIN6thrust23THRUST_200600_302600_NS5tupleIblNS6_9null_typeES8_S8_S8_S8_S8_S8_S8_EEEEZNS1_11reduce_implILb1ES3_NS6_12zip_iteratorINS7_INS6_11hip_rocprim26transform_input_iterator_tIbNSD_35transform_pair_of_input_iterators_tIbNS6_6detail15normal_iteratorINS6_10device_ptrIKiEEEESL_NS6_8equal_toIiEEEENSG_9not_fun_tINSD_8identityEEEEENSD_19counting_iterator_tIlEES8_S8_S8_S8_S8_S8_S8_S8_EEEEPS9_S9_NSD_9__find_if7functorIS9_EEEE10hipError_tPvRmT1_T2_T3_mT4_P12ihipStream_tbEUlT_E1_NS1_11comp_targetILNS1_3genE4ELNS1_11target_archE910ELNS1_3gpuE8ELNS1_3repE0EEENS1_30default_config_static_selectorELNS0_4arch9wavefront6targetE1EEEvS14_,"axG",@progbits,_ZN7rocprim17ROCPRIM_400000_NS6detail17trampoline_kernelINS0_14default_configENS1_22reduce_config_selectorIN6thrust23THRUST_200600_302600_NS5tupleIblNS6_9null_typeES8_S8_S8_S8_S8_S8_S8_EEEEZNS1_11reduce_implILb1ES3_NS6_12zip_iteratorINS7_INS6_11hip_rocprim26transform_input_iterator_tIbNSD_35transform_pair_of_input_iterators_tIbNS6_6detail15normal_iteratorINS6_10device_ptrIKiEEEESL_NS6_8equal_toIiEEEENSG_9not_fun_tINSD_8identityEEEEENSD_19counting_iterator_tIlEES8_S8_S8_S8_S8_S8_S8_S8_EEEEPS9_S9_NSD_9__find_if7functorIS9_EEEE10hipError_tPvRmT1_T2_T3_mT4_P12ihipStream_tbEUlT_E1_NS1_11comp_targetILNS1_3genE4ELNS1_11target_archE910ELNS1_3gpuE8ELNS1_3repE0EEENS1_30default_config_static_selectorELNS0_4arch9wavefront6targetE1EEEvS14_,comdat
	.protected	_ZN7rocprim17ROCPRIM_400000_NS6detail17trampoline_kernelINS0_14default_configENS1_22reduce_config_selectorIN6thrust23THRUST_200600_302600_NS5tupleIblNS6_9null_typeES8_S8_S8_S8_S8_S8_S8_EEEEZNS1_11reduce_implILb1ES3_NS6_12zip_iteratorINS7_INS6_11hip_rocprim26transform_input_iterator_tIbNSD_35transform_pair_of_input_iterators_tIbNS6_6detail15normal_iteratorINS6_10device_ptrIKiEEEESL_NS6_8equal_toIiEEEENSG_9not_fun_tINSD_8identityEEEEENSD_19counting_iterator_tIlEES8_S8_S8_S8_S8_S8_S8_S8_EEEEPS9_S9_NSD_9__find_if7functorIS9_EEEE10hipError_tPvRmT1_T2_T3_mT4_P12ihipStream_tbEUlT_E1_NS1_11comp_targetILNS1_3genE4ELNS1_11target_archE910ELNS1_3gpuE8ELNS1_3repE0EEENS1_30default_config_static_selectorELNS0_4arch9wavefront6targetE1EEEvS14_ ; -- Begin function _ZN7rocprim17ROCPRIM_400000_NS6detail17trampoline_kernelINS0_14default_configENS1_22reduce_config_selectorIN6thrust23THRUST_200600_302600_NS5tupleIblNS6_9null_typeES8_S8_S8_S8_S8_S8_S8_EEEEZNS1_11reduce_implILb1ES3_NS6_12zip_iteratorINS7_INS6_11hip_rocprim26transform_input_iterator_tIbNSD_35transform_pair_of_input_iterators_tIbNS6_6detail15normal_iteratorINS6_10device_ptrIKiEEEESL_NS6_8equal_toIiEEEENSG_9not_fun_tINSD_8identityEEEEENSD_19counting_iterator_tIlEES8_S8_S8_S8_S8_S8_S8_S8_EEEEPS9_S9_NSD_9__find_if7functorIS9_EEEE10hipError_tPvRmT1_T2_T3_mT4_P12ihipStream_tbEUlT_E1_NS1_11comp_targetILNS1_3genE4ELNS1_11target_archE910ELNS1_3gpuE8ELNS1_3repE0EEENS1_30default_config_static_selectorELNS0_4arch9wavefront6targetE1EEEvS14_
	.globl	_ZN7rocprim17ROCPRIM_400000_NS6detail17trampoline_kernelINS0_14default_configENS1_22reduce_config_selectorIN6thrust23THRUST_200600_302600_NS5tupleIblNS6_9null_typeES8_S8_S8_S8_S8_S8_S8_EEEEZNS1_11reduce_implILb1ES3_NS6_12zip_iteratorINS7_INS6_11hip_rocprim26transform_input_iterator_tIbNSD_35transform_pair_of_input_iterators_tIbNS6_6detail15normal_iteratorINS6_10device_ptrIKiEEEESL_NS6_8equal_toIiEEEENSG_9not_fun_tINSD_8identityEEEEENSD_19counting_iterator_tIlEES8_S8_S8_S8_S8_S8_S8_S8_EEEEPS9_S9_NSD_9__find_if7functorIS9_EEEE10hipError_tPvRmT1_T2_T3_mT4_P12ihipStream_tbEUlT_E1_NS1_11comp_targetILNS1_3genE4ELNS1_11target_archE910ELNS1_3gpuE8ELNS1_3repE0EEENS1_30default_config_static_selectorELNS0_4arch9wavefront6targetE1EEEvS14_
	.p2align	8
	.type	_ZN7rocprim17ROCPRIM_400000_NS6detail17trampoline_kernelINS0_14default_configENS1_22reduce_config_selectorIN6thrust23THRUST_200600_302600_NS5tupleIblNS6_9null_typeES8_S8_S8_S8_S8_S8_S8_EEEEZNS1_11reduce_implILb1ES3_NS6_12zip_iteratorINS7_INS6_11hip_rocprim26transform_input_iterator_tIbNSD_35transform_pair_of_input_iterators_tIbNS6_6detail15normal_iteratorINS6_10device_ptrIKiEEEESL_NS6_8equal_toIiEEEENSG_9not_fun_tINSD_8identityEEEEENSD_19counting_iterator_tIlEES8_S8_S8_S8_S8_S8_S8_S8_EEEEPS9_S9_NSD_9__find_if7functorIS9_EEEE10hipError_tPvRmT1_T2_T3_mT4_P12ihipStream_tbEUlT_E1_NS1_11comp_targetILNS1_3genE4ELNS1_11target_archE910ELNS1_3gpuE8ELNS1_3repE0EEENS1_30default_config_static_selectorELNS0_4arch9wavefront6targetE1EEEvS14_,@function
_ZN7rocprim17ROCPRIM_400000_NS6detail17trampoline_kernelINS0_14default_configENS1_22reduce_config_selectorIN6thrust23THRUST_200600_302600_NS5tupleIblNS6_9null_typeES8_S8_S8_S8_S8_S8_S8_EEEEZNS1_11reduce_implILb1ES3_NS6_12zip_iteratorINS7_INS6_11hip_rocprim26transform_input_iterator_tIbNSD_35transform_pair_of_input_iterators_tIbNS6_6detail15normal_iteratorINS6_10device_ptrIKiEEEESL_NS6_8equal_toIiEEEENSG_9not_fun_tINSD_8identityEEEEENSD_19counting_iterator_tIlEES8_S8_S8_S8_S8_S8_S8_S8_EEEEPS9_S9_NSD_9__find_if7functorIS9_EEEE10hipError_tPvRmT1_T2_T3_mT4_P12ihipStream_tbEUlT_E1_NS1_11comp_targetILNS1_3genE4ELNS1_11target_archE910ELNS1_3gpuE8ELNS1_3repE0EEENS1_30default_config_static_selectorELNS0_4arch9wavefront6targetE1EEEvS14_: ; @_ZN7rocprim17ROCPRIM_400000_NS6detail17trampoline_kernelINS0_14default_configENS1_22reduce_config_selectorIN6thrust23THRUST_200600_302600_NS5tupleIblNS6_9null_typeES8_S8_S8_S8_S8_S8_S8_EEEEZNS1_11reduce_implILb1ES3_NS6_12zip_iteratorINS7_INS6_11hip_rocprim26transform_input_iterator_tIbNSD_35transform_pair_of_input_iterators_tIbNS6_6detail15normal_iteratorINS6_10device_ptrIKiEEEESL_NS6_8equal_toIiEEEENSG_9not_fun_tINSD_8identityEEEEENSD_19counting_iterator_tIlEES8_S8_S8_S8_S8_S8_S8_S8_EEEEPS9_S9_NSD_9__find_if7functorIS9_EEEE10hipError_tPvRmT1_T2_T3_mT4_P12ihipStream_tbEUlT_E1_NS1_11comp_targetILNS1_3genE4ELNS1_11target_archE910ELNS1_3gpuE8ELNS1_3repE0EEENS1_30default_config_static_selectorELNS0_4arch9wavefront6targetE1EEEvS14_
; %bb.0:
	s_load_dword s36, s[4:5], 0x4
	s_load_dwordx4 s[24:27], s[4:5], 0x8
	s_load_dwordx4 s[20:23], s[4:5], 0x28
	s_load_dword s33, s[4:5], 0x40
	s_load_dwordx2 s[18:19], s[4:5], 0x48
	s_waitcnt lgkmcnt(0)
	s_cmp_lt_i32 s36, 4
	s_cbranch_scc1 .LBB497_21
; %bb.1:
	s_cmp_gt_i32 s36, 7
	s_cbranch_scc0 .LBB497_22
; %bb.2:
	s_cmp_eq_u32 s36, 8
	s_mov_b64 s[28:29], 0
	s_cbranch_scc0 .LBB497_23
; %bb.3:
	s_mov_b32 s7, 0
	s_lshl_b32 s14, s6, 11
	s_mov_b32 s15, s7
	s_lshr_b64 s[0:1], s[22:23], 11
	s_lshl_b64 s[2:3], s[14:15], 2
	s_add_u32 s16, s24, s2
	s_addc_u32 s17, s25, s3
	s_add_u32 s30, s26, s2
	s_addc_u32 s31, s27, s3
	;; [unrolled: 2-line block ×3, first 2 shown]
	s_cmp_lg_u64 s[0:1], s[6:7]
	s_cbranch_scc0 .LBB497_44
; %bb.4:
	v_lshlrev_b32_e32 v1, 2, v0
	v_mov_b32_e32 v2, s17
	v_add_co_u32_e32 v3, vcc, s16, v1
	v_addc_co_u32_e32 v4, vcc, 0, v2, vcc
	v_mov_b32_e32 v2, s31
	v_add_co_u32_e32 v5, vcc, s30, v1
	v_addc_co_u32_e32 v6, vcc, 0, v2, vcc
	s_movk_i32 s0, 0x1000
	v_add_co_u32_e32 v2, vcc, s0, v3
	global_load_dword v7, v1, s[16:17]
	global_load_dword v8, v1, s[16:17] offset:1024
	global_load_dword v9, v1, s[16:17] offset:2048
	;; [unrolled: 1-line block ×5, first 2 shown]
	global_load_dword v13, v1, s[30:31]
	global_load_dword v14, v1, s[16:17] offset:3072
	v_addc_co_u32_e32 v3, vcc, 0, v4, vcc
	v_add_co_u32_e32 v4, vcc, s0, v5
	global_load_dword v1, v[2:3], off
	v_addc_co_u32_e32 v5, vcc, 0, v6, vcc
	global_load_dword v6, v[4:5], off
	global_load_dword v15, v[2:3], off offset:2048
	global_load_dword v16, v[2:3], off offset:3072
	;; [unrolled: 1-line block ×6, first 2 shown]
	v_mov_b32_e32 v2, s38
	v_add_co_u32_e32 v25, vcc, s37, v0
	v_addc_co_u32_e32 v26, vcc, 0, v2, vcc
	v_mov_b32_e32 v3, 0x200
	v_mov_b32_e32 v4, 0x100
	;; [unrolled: 1-line block ×7, first 2 shown]
	s_waitcnt vmcnt(12)
	v_cmp_ne_u32_e64 s[0:1], v8, v10
	s_waitcnt vmcnt(11)
	v_cmp_ne_u32_e32 vcc, v9, v11
	v_cndmask_b32_e64 v2, v3, v4, s[0:1]
	s_waitcnt vmcnt(9)
	v_cmp_ne_u32_e64 s[8:9], v7, v13
	s_or_b64 s[12:13], s[8:9], s[0:1]
	s_waitcnt vmcnt(8)
	v_cmp_ne_u32_e64 s[2:3], v14, v12
	s_or_b64 vcc, s[12:13], vcc
	v_cndmask_b32_e64 v3, v5, v21, s[2:3]
	v_cndmask_b32_e64 v2, v2, 0, s[8:9]
	s_waitcnt vmcnt(6)
	v_cmp_ne_u32_e64 s[0:1], v1, v6
	s_or_b64 s[2:3], vcc, s[2:3]
	v_cndmask_b32_e32 v1, v3, v2, vcc
	s_waitcnt vmcnt(0)
	v_cmp_ne_u32_e64 s[12:13], v19, v20
	s_or_b64 vcc, s[2:3], s[0:1]
	v_cmp_ne_u32_e64 s[8:9], v15, v17
	v_cndmask_b32_e64 v2, v22, v23, s[12:13]
	s_or_b64 s[0:1], vcc, s[12:13]
	v_cndmask_b32_e32 v1, v2, v1, vcc
	s_or_b64 vcc, s[0:1], s[8:9]
	v_cndmask_b32_e32 v1, v24, v1, vcc
	v_add_co_u32_e64 v2, s[0:1], v25, v1
	v_cmp_ne_u32_e64 s[10:11], v16, v18
	v_addc_co_u32_e64 v3, s[0:1], 0, v26, s[0:1]
	s_or_b64 s[0:1], vcc, s[10:11]
	v_cndmask_b32_e64 v1, 0, 1, s[0:1]
	v_mov_b32_dpp v4, v2 quad_perm:[1,0,3,2] row_mask:0xf bank_mask:0xf bound_ctrl:1
	v_mov_b32_dpp v5, v3 quad_perm:[1,0,3,2] row_mask:0xf bank_mask:0xf bound_ctrl:1
	;; [unrolled: 1-line block ×3, first 2 shown]
	v_and_b32_e32 v7, 1, v6
	v_cmp_eq_u32_e32 vcc, 1, v7
	s_and_saveexec_b64 s[2:3], vcc
; %bb.5:
	v_cmp_lt_i64_e32 vcc, v[2:3], v[4:5]
	v_cndmask_b32_e64 v6, v6, 1, s[0:1]
	s_and_b64 vcc, s[0:1], vcc
	v_cndmask_b32_e32 v2, v4, v2, vcc
	v_and_b32_e32 v4, 1, v6
	v_cndmask_b32_e32 v3, v5, v3, vcc
	v_cmp_eq_u32_e32 vcc, 1, v4
	s_andn2_b64 s[0:1], s[0:1], exec
	s_and_b64 s[8:9], vcc, exec
	v_and_b32_e32 v1, 0xff, v6
	s_or_b64 s[0:1], s[0:1], s[8:9]
; %bb.6:
	s_or_b64 exec, exec, s[2:3]
	v_mov_b32_dpp v6, v1 quad_perm:[2,3,0,1] row_mask:0xf bank_mask:0xf bound_ctrl:1
	v_and_b32_e32 v7, 1, v6
	v_mov_b32_dpp v4, v2 quad_perm:[2,3,0,1] row_mask:0xf bank_mask:0xf bound_ctrl:1
	v_mov_b32_dpp v5, v3 quad_perm:[2,3,0,1] row_mask:0xf bank_mask:0xf bound_ctrl:1
	v_cmp_eq_u32_e32 vcc, 1, v7
	s_and_saveexec_b64 s[2:3], vcc
; %bb.7:
	v_cmp_lt_i64_e32 vcc, v[2:3], v[4:5]
	v_cndmask_b32_e64 v6, v6, 1, s[0:1]
	s_and_b64 vcc, s[0:1], vcc
	v_cndmask_b32_e32 v2, v4, v2, vcc
	v_and_b32_e32 v4, 1, v6
	v_cndmask_b32_e32 v3, v5, v3, vcc
	v_cmp_eq_u32_e32 vcc, 1, v4
	s_andn2_b64 s[0:1], s[0:1], exec
	s_and_b64 s[8:9], vcc, exec
	v_and_b32_e32 v1, 0xff, v6
	s_or_b64 s[0:1], s[0:1], s[8:9]
; %bb.8:
	s_or_b64 exec, exec, s[2:3]
	v_mov_b32_dpp v6, v1 row_ror:4 row_mask:0xf bank_mask:0xf bound_ctrl:1
	v_and_b32_e32 v7, 1, v6
	v_mov_b32_dpp v4, v2 row_ror:4 row_mask:0xf bank_mask:0xf bound_ctrl:1
	v_mov_b32_dpp v5, v3 row_ror:4 row_mask:0xf bank_mask:0xf bound_ctrl:1
	v_cmp_eq_u32_e32 vcc, 1, v7
	s_and_saveexec_b64 s[2:3], vcc
; %bb.9:
	v_cmp_lt_i64_e32 vcc, v[2:3], v[4:5]
	v_cndmask_b32_e64 v6, v6, 1, s[0:1]
	s_and_b64 vcc, s[0:1], vcc
	v_cndmask_b32_e32 v2, v4, v2, vcc
	v_and_b32_e32 v4, 1, v6
	v_cndmask_b32_e32 v3, v5, v3, vcc
	v_cmp_eq_u32_e32 vcc, 1, v4
	s_andn2_b64 s[0:1], s[0:1], exec
	s_and_b64 s[8:9], vcc, exec
	v_and_b32_e32 v1, 0xff, v6
	s_or_b64 s[0:1], s[0:1], s[8:9]
; %bb.10:
	s_or_b64 exec, exec, s[2:3]
	v_mov_b32_dpp v6, v1 row_ror:8 row_mask:0xf bank_mask:0xf bound_ctrl:1
	v_and_b32_e32 v7, 1, v6
	v_mov_b32_dpp v4, v2 row_ror:8 row_mask:0xf bank_mask:0xf bound_ctrl:1
	v_mov_b32_dpp v5, v3 row_ror:8 row_mask:0xf bank_mask:0xf bound_ctrl:1
	v_cmp_eq_u32_e32 vcc, 1, v7
	s_and_saveexec_b64 s[2:3], vcc
; %bb.11:
	v_cmp_lt_i64_e32 vcc, v[2:3], v[4:5]
	v_cndmask_b32_e64 v6, v6, 1, s[0:1]
	s_and_b64 vcc, s[0:1], vcc
	v_cndmask_b32_e32 v2, v4, v2, vcc
	v_and_b32_e32 v4, 1, v6
	v_cndmask_b32_e32 v3, v5, v3, vcc
	v_cmp_eq_u32_e32 vcc, 1, v4
	s_andn2_b64 s[0:1], s[0:1], exec
	s_and_b64 s[8:9], vcc, exec
	v_and_b32_e32 v1, 0xff, v6
	s_or_b64 s[0:1], s[0:1], s[8:9]
; %bb.12:
	s_or_b64 exec, exec, s[2:3]
	v_mov_b32_dpp v6, v1 row_bcast:15 row_mask:0xf bank_mask:0xf bound_ctrl:1
	v_and_b32_e32 v7, 1, v6
	v_mov_b32_dpp v4, v2 row_bcast:15 row_mask:0xf bank_mask:0xf bound_ctrl:1
	v_mov_b32_dpp v5, v3 row_bcast:15 row_mask:0xf bank_mask:0xf bound_ctrl:1
	v_cmp_eq_u32_e32 vcc, 1, v7
	s_and_saveexec_b64 s[2:3], vcc
; %bb.13:
	v_cmp_lt_i64_e32 vcc, v[2:3], v[4:5]
	v_cndmask_b32_e64 v6, v6, 1, s[0:1]
	s_and_b64 vcc, s[0:1], vcc
	v_cndmask_b32_e32 v2, v4, v2, vcc
	v_and_b32_e32 v4, 1, v6
	v_cndmask_b32_e32 v3, v5, v3, vcc
	v_cmp_eq_u32_e32 vcc, 1, v4
	s_andn2_b64 s[0:1], s[0:1], exec
	s_and_b64 s[8:9], vcc, exec
	v_and_b32_e32 v1, 0xff, v6
	s_or_b64 s[0:1], s[0:1], s[8:9]
; %bb.14:
	s_or_b64 exec, exec, s[2:3]
	v_mov_b32_dpp v6, v1 row_bcast:31 row_mask:0xf bank_mask:0xf bound_ctrl:1
	v_and_b32_e32 v7, 1, v6
	v_mov_b32_dpp v4, v2 row_bcast:31 row_mask:0xf bank_mask:0xf bound_ctrl:1
	v_mov_b32_dpp v5, v3 row_bcast:31 row_mask:0xf bank_mask:0xf bound_ctrl:1
	v_cmp_eq_u32_e32 vcc, 1, v7
	s_and_saveexec_b64 s[2:3], vcc
; %bb.15:
	v_cmp_lt_i64_e32 vcc, v[2:3], v[4:5]
	v_and_b32_e32 v1, 0xff, v6
	s_and_b64 vcc, s[0:1], vcc
	v_cndmask_b32_e32 v2, v4, v2, vcc
	v_cndmask_b32_e32 v3, v5, v3, vcc
	v_cndmask_b32_e64 v1, v1, 1, s[0:1]
; %bb.16:
	s_or_b64 exec, exec, s[2:3]
	v_mbcnt_lo_u32_b32 v4, -1, 0
	v_mbcnt_hi_u32_b32 v4, -1, v4
	v_bfrev_b32_e32 v5, 0.5
	v_lshl_or_b32 v5, v4, 2, v5
	ds_bpermute_b32 v7, v5, v1
	ds_bpermute_b32 v2, v5, v2
	;; [unrolled: 1-line block ×3, first 2 shown]
	v_cmp_eq_u32_e32 vcc, 0, v4
	s_and_saveexec_b64 s[0:1], vcc
	s_cbranch_execz .LBB497_18
; %bb.17:
	v_lshrrev_b32_e32 v1, 2, v0
	v_and_b32_e32 v1, 48, v1
	s_waitcnt lgkmcnt(2)
	ds_write_b8 v1, v7 offset:192
	s_waitcnt lgkmcnt(1)
	ds_write_b64 v1, v[2:3] offset:200
.LBB497_18:
	s_or_b64 exec, exec, s[0:1]
	v_cmp_gt_u32_e32 vcc, 64, v0
	s_waitcnt lgkmcnt(0)
	s_barrier
	s_and_saveexec_b64 s[2:3], vcc
	s_cbranch_execz .LBB497_20
; %bb.19:
	v_and_b32_e32 v1, 3, v4
	v_lshlrev_b32_e32 v2, 4, v1
	ds_read_u8 v5, v2 offset:192
	ds_read_b64 v[2:3], v2 offset:200
	v_cmp_ne_u32_e32 vcc, 3, v1
	v_addc_co_u32_e32 v6, vcc, 0, v4, vcc
	s_waitcnt lgkmcnt(1)
	v_and_b32_e32 v7, 0xff, v5
	v_lshlrev_b32_e32 v8, 2, v6
	ds_bpermute_b32 v9, v8, v7
	s_waitcnt lgkmcnt(1)
	ds_bpermute_b32 v6, v8, v2
	ds_bpermute_b32 v7, v8, v3
	v_and_b32_e32 v8, 1, v5
	s_waitcnt lgkmcnt(2)
	v_and_b32_e32 v10, 1, v9
	v_cmp_eq_u32_e64 s[0:1], 1, v10
	s_waitcnt lgkmcnt(0)
	v_cmp_lt_i64_e32 vcc, v[6:7], v[2:3]
	s_and_b64 vcc, s[0:1], vcc
	v_cndmask_b32_e64 v5, v5, 1, s[0:1]
	v_cndmask_b32_e32 v2, v2, v6, vcc
	v_cndmask_b32_e32 v3, v3, v7, vcc
	v_cmp_eq_u32_e32 vcc, 1, v8
	v_cndmask_b32_e32 v8, v9, v5, vcc
	v_cndmask_b32_e32 v3, v7, v3, vcc
	;; [unrolled: 1-line block ×3, first 2 shown]
	v_cmp_gt_u32_e32 vcc, 2, v1
	v_cndmask_b32_e64 v1, 0, 1, vcc
	v_lshlrev_b32_e32 v1, 1, v1
	v_and_b32_e32 v5, 0xff, v8
	v_add_lshl_u32 v1, v1, v4, 2
	ds_bpermute_b32 v6, v1, v5
	ds_bpermute_b32 v4, v1, v2
	;; [unrolled: 1-line block ×3, first 2 shown]
	v_and_b32_e32 v1, 1, v8
	s_waitcnt lgkmcnt(2)
	v_and_b32_e32 v7, 1, v6
	v_cmp_eq_u32_e64 s[0:1], 1, v7
	s_waitcnt lgkmcnt(0)
	v_cmp_lt_i64_e32 vcc, v[4:5], v[2:3]
	s_and_b64 vcc, s[0:1], vcc
	v_cndmask_b32_e64 v7, v8, 1, s[0:1]
	v_cndmask_b32_e32 v2, v2, v4, vcc
	v_cndmask_b32_e32 v3, v3, v5, vcc
	v_cmp_eq_u32_e32 vcc, 1, v1
	v_cndmask_b32_e32 v1, v6, v7, vcc
	v_cndmask_b32_e32 v3, v5, v3, vcc
	;; [unrolled: 1-line block ×3, first 2 shown]
	v_and_b32_e32 v7, 0xff, v1
.LBB497_20:
	s_or_b64 exec, exec, s[2:3]
	s_branch .LBB497_89
.LBB497_21:
	s_mov_b64 s[10:11], 0
                                        ; implicit-def: $vgpr4_vgpr5
                                        ; implicit-def: $vgpr1
	s_cbranch_execnz .LBB497_133
	s_branch .LBB497_208
.LBB497_22:
	s_mov_b64 s[28:29], -1
.LBB497_23:
	s_mov_b64 s[10:11], 0
                                        ; implicit-def: $vgpr4_vgpr5
                                        ; implicit-def: $vgpr1
	s_and_b64 vcc, exec, s[28:29]
	s_cbranch_vccz .LBB497_94
.LBB497_24:
	s_cmp_eq_u32 s36, 4
	s_cbranch_scc0 .LBB497_43
; %bb.25:
	s_mov_b32 s7, 0
	s_lshl_b32 s16, s6, 10
	s_mov_b32 s17, s7
	s_lshr_b64 s[0:1], s[22:23], 10
	s_lshl_b64 s[2:3], s[16:17], 2
	s_add_u32 s12, s24, s2
	s_addc_u32 s13, s25, s3
	s_add_u32 s14, s26, s2
	s_addc_u32 s15, s27, s3
	;; [unrolled: 2-line block ×3, first 2 shown]
	s_cmp_lg_u64 s[0:1], s[6:7]
	s_cbranch_scc0 .LBB497_95
; %bb.26:
	v_lshlrev_b32_e32 v1, 2, v0
	global_load_dword v2, v1, s[12:13] offset:2048
	global_load_dword v3, v1, s[14:15] offset:1024
	s_waitcnt lgkmcnt(1)
	global_load_dword v4, v1, s[14:15] offset:2048
	s_waitcnt lgkmcnt(0)
	global_load_dword v5, v1, s[14:15] offset:3072
	global_load_dword v6, v1, s[12:13] offset:3072
	;; [unrolled: 1-line block ×3, first 2 shown]
	global_load_dword v8, v1, s[14:15]
	global_load_dword v9, v1, s[12:13]
	v_mov_b32_e32 v1, s29
	v_add_co_u32_e32 v13, vcc, s28, v0
	v_mov_b32_e32 v10, 0x200
	v_mov_b32_e32 v11, 0x100
	v_addc_co_u32_e32 v1, vcc, 0, v1, vcc
	v_mov_b32_e32 v12, 0x300
	s_waitcnt vmcnt(5)
	v_cmp_ne_u32_e32 vcc, v2, v4
	s_waitcnt vmcnt(3)
	v_cmp_ne_u32_e64 s[0:1], v6, v5
	s_waitcnt vmcnt(2)
	v_cmp_ne_u32_e64 s[2:3], v7, v3
	v_cndmask_b32_e64 v2, v10, v11, s[2:3]
	s_waitcnt vmcnt(0)
	v_cmp_ne_u32_e64 s[8:9], v9, v8
	s_or_b64 s[2:3], s[8:9], s[2:3]
	v_cndmask_b32_e64 v2, v2, 0, s[8:9]
	s_or_b64 vcc, s[2:3], vcc
	v_cndmask_b32_e32 v2, v12, v2, vcc
	v_add_co_u32_e64 v2, s[2:3], v13, v2
	s_or_b64 s[0:1], vcc, s[0:1]
	v_addc_co_u32_e64 v3, s[2:3], 0, v1, s[2:3]
	v_cndmask_b32_e64 v1, 0, 1, s[0:1]
	v_mov_b32_dpp v4, v2 quad_perm:[1,0,3,2] row_mask:0xf bank_mask:0xf bound_ctrl:1
	v_mov_b32_dpp v5, v3 quad_perm:[1,0,3,2] row_mask:0xf bank_mask:0xf bound_ctrl:1
	;; [unrolled: 1-line block ×3, first 2 shown]
	v_and_b32_e32 v7, 1, v6
	v_cmp_eq_u32_e32 vcc, 1, v7
	s_and_saveexec_b64 s[2:3], vcc
; %bb.27:
	v_cmp_lt_i64_e32 vcc, v[2:3], v[4:5]
	v_cndmask_b32_e64 v6, v6, 1, s[0:1]
	s_and_b64 vcc, s[0:1], vcc
	v_cndmask_b32_e32 v2, v4, v2, vcc
	v_and_b32_e32 v4, 1, v6
	v_cndmask_b32_e32 v3, v5, v3, vcc
	v_cmp_eq_u32_e32 vcc, 1, v4
	s_andn2_b64 s[0:1], s[0:1], exec
	s_and_b64 s[8:9], vcc, exec
	v_and_b32_e32 v1, 0xff, v6
	s_or_b64 s[0:1], s[0:1], s[8:9]
; %bb.28:
	s_or_b64 exec, exec, s[2:3]
	v_mov_b32_dpp v6, v1 quad_perm:[2,3,0,1] row_mask:0xf bank_mask:0xf bound_ctrl:1
	v_and_b32_e32 v7, 1, v6
	v_mov_b32_dpp v4, v2 quad_perm:[2,3,0,1] row_mask:0xf bank_mask:0xf bound_ctrl:1
	v_mov_b32_dpp v5, v3 quad_perm:[2,3,0,1] row_mask:0xf bank_mask:0xf bound_ctrl:1
	v_cmp_eq_u32_e32 vcc, 1, v7
	s_and_saveexec_b64 s[2:3], vcc
; %bb.29:
	v_cmp_lt_i64_e32 vcc, v[2:3], v[4:5]
	v_cndmask_b32_e64 v6, v6, 1, s[0:1]
	s_and_b64 vcc, s[0:1], vcc
	v_cndmask_b32_e32 v2, v4, v2, vcc
	v_and_b32_e32 v4, 1, v6
	v_cndmask_b32_e32 v3, v5, v3, vcc
	v_cmp_eq_u32_e32 vcc, 1, v4
	s_andn2_b64 s[0:1], s[0:1], exec
	s_and_b64 s[8:9], vcc, exec
	v_and_b32_e32 v1, 0xff, v6
	s_or_b64 s[0:1], s[0:1], s[8:9]
; %bb.30:
	s_or_b64 exec, exec, s[2:3]
	v_mov_b32_dpp v6, v1 row_ror:4 row_mask:0xf bank_mask:0xf bound_ctrl:1
	v_and_b32_e32 v7, 1, v6
	v_mov_b32_dpp v4, v2 row_ror:4 row_mask:0xf bank_mask:0xf bound_ctrl:1
	v_mov_b32_dpp v5, v3 row_ror:4 row_mask:0xf bank_mask:0xf bound_ctrl:1
	v_cmp_eq_u32_e32 vcc, 1, v7
	s_and_saveexec_b64 s[2:3], vcc
; %bb.31:
	v_cmp_lt_i64_e32 vcc, v[2:3], v[4:5]
	v_cndmask_b32_e64 v6, v6, 1, s[0:1]
	s_and_b64 vcc, s[0:1], vcc
	v_cndmask_b32_e32 v2, v4, v2, vcc
	v_and_b32_e32 v4, 1, v6
	v_cndmask_b32_e32 v3, v5, v3, vcc
	v_cmp_eq_u32_e32 vcc, 1, v4
	s_andn2_b64 s[0:1], s[0:1], exec
	s_and_b64 s[8:9], vcc, exec
	v_and_b32_e32 v1, 0xff, v6
	s_or_b64 s[0:1], s[0:1], s[8:9]
; %bb.32:
	s_or_b64 exec, exec, s[2:3]
	v_mov_b32_dpp v6, v1 row_ror:8 row_mask:0xf bank_mask:0xf bound_ctrl:1
	v_and_b32_e32 v7, 1, v6
	v_mov_b32_dpp v4, v2 row_ror:8 row_mask:0xf bank_mask:0xf bound_ctrl:1
	v_mov_b32_dpp v5, v3 row_ror:8 row_mask:0xf bank_mask:0xf bound_ctrl:1
	v_cmp_eq_u32_e32 vcc, 1, v7
	s_and_saveexec_b64 s[2:3], vcc
; %bb.33:
	v_cmp_lt_i64_e32 vcc, v[2:3], v[4:5]
	v_cndmask_b32_e64 v6, v6, 1, s[0:1]
	s_and_b64 vcc, s[0:1], vcc
	v_cndmask_b32_e32 v2, v4, v2, vcc
	v_and_b32_e32 v4, 1, v6
	v_cndmask_b32_e32 v3, v5, v3, vcc
	v_cmp_eq_u32_e32 vcc, 1, v4
	s_andn2_b64 s[0:1], s[0:1], exec
	s_and_b64 s[8:9], vcc, exec
	v_and_b32_e32 v1, 0xff, v6
	s_or_b64 s[0:1], s[0:1], s[8:9]
; %bb.34:
	s_or_b64 exec, exec, s[2:3]
	v_mov_b32_dpp v6, v1 row_bcast:15 row_mask:0xf bank_mask:0xf bound_ctrl:1
	v_and_b32_e32 v7, 1, v6
	v_mov_b32_dpp v4, v2 row_bcast:15 row_mask:0xf bank_mask:0xf bound_ctrl:1
	v_mov_b32_dpp v5, v3 row_bcast:15 row_mask:0xf bank_mask:0xf bound_ctrl:1
	v_cmp_eq_u32_e32 vcc, 1, v7
	s_and_saveexec_b64 s[2:3], vcc
; %bb.35:
	v_cmp_lt_i64_e32 vcc, v[2:3], v[4:5]
	v_cndmask_b32_e64 v6, v6, 1, s[0:1]
	s_and_b64 vcc, s[0:1], vcc
	v_cndmask_b32_e32 v2, v4, v2, vcc
	v_and_b32_e32 v4, 1, v6
	v_cndmask_b32_e32 v3, v5, v3, vcc
	v_cmp_eq_u32_e32 vcc, 1, v4
	s_andn2_b64 s[0:1], s[0:1], exec
	s_and_b64 s[8:9], vcc, exec
	v_and_b32_e32 v1, 0xff, v6
	s_or_b64 s[0:1], s[0:1], s[8:9]
; %bb.36:
	s_or_b64 exec, exec, s[2:3]
	v_mov_b32_dpp v6, v1 row_bcast:31 row_mask:0xf bank_mask:0xf bound_ctrl:1
	v_and_b32_e32 v7, 1, v6
	v_mov_b32_dpp v4, v2 row_bcast:31 row_mask:0xf bank_mask:0xf bound_ctrl:1
	v_mov_b32_dpp v5, v3 row_bcast:31 row_mask:0xf bank_mask:0xf bound_ctrl:1
	v_cmp_eq_u32_e32 vcc, 1, v7
	s_and_saveexec_b64 s[2:3], vcc
; %bb.37:
	v_cmp_lt_i64_e32 vcc, v[2:3], v[4:5]
	v_and_b32_e32 v1, 0xff, v6
	s_and_b64 vcc, s[0:1], vcc
	v_cndmask_b32_e32 v2, v4, v2, vcc
	v_cndmask_b32_e32 v3, v5, v3, vcc
	v_cndmask_b32_e64 v1, v1, 1, s[0:1]
; %bb.38:
	s_or_b64 exec, exec, s[2:3]
	v_mbcnt_lo_u32_b32 v4, -1, 0
	v_mbcnt_hi_u32_b32 v4, -1, v4
	v_bfrev_b32_e32 v5, 0.5
	v_lshl_or_b32 v5, v4, 2, v5
	ds_bpermute_b32 v6, v5, v1
	ds_bpermute_b32 v2, v5, v2
	;; [unrolled: 1-line block ×3, first 2 shown]
	v_cmp_eq_u32_e32 vcc, 0, v4
	s_and_saveexec_b64 s[0:1], vcc
	s_cbranch_execz .LBB497_40
; %bb.39:
	v_lshrrev_b32_e32 v1, 2, v0
	v_and_b32_e32 v1, 48, v1
	s_waitcnt lgkmcnt(2)
	ds_write_b8 v1, v6 offset:128
	s_waitcnt lgkmcnt(1)
	ds_write_b64 v1, v[2:3] offset:136
.LBB497_40:
	s_or_b64 exec, exec, s[0:1]
	v_cmp_gt_u32_e32 vcc, 64, v0
	s_waitcnt lgkmcnt(0)
	s_barrier
	s_and_saveexec_b64 s[2:3], vcc
	s_cbranch_execz .LBB497_42
; %bb.41:
	v_and_b32_e32 v1, 3, v4
	v_lshlrev_b32_e32 v2, 4, v1
	ds_read_u8 v5, v2 offset:128
	ds_read_b64 v[2:3], v2 offset:136
	v_cmp_ne_u32_e32 vcc, 3, v1
	v_addc_co_u32_e32 v6, vcc, 0, v4, vcc
	s_waitcnt lgkmcnt(1)
	v_and_b32_e32 v7, 0xff, v5
	v_lshlrev_b32_e32 v8, 2, v6
	ds_bpermute_b32 v9, v8, v7
	s_waitcnt lgkmcnt(1)
	ds_bpermute_b32 v6, v8, v2
	ds_bpermute_b32 v7, v8, v3
	v_and_b32_e32 v8, 1, v5
	s_waitcnt lgkmcnt(2)
	v_and_b32_e32 v10, 1, v9
	v_cmp_eq_u32_e64 s[0:1], 1, v10
	s_waitcnt lgkmcnt(0)
	v_cmp_lt_i64_e32 vcc, v[6:7], v[2:3]
	s_and_b64 vcc, s[0:1], vcc
	v_cndmask_b32_e64 v5, v5, 1, s[0:1]
	v_cndmask_b32_e32 v2, v2, v6, vcc
	v_cndmask_b32_e32 v3, v3, v7, vcc
	v_cmp_eq_u32_e32 vcc, 1, v8
	v_cndmask_b32_e32 v8, v9, v5, vcc
	v_cndmask_b32_e32 v3, v7, v3, vcc
	;; [unrolled: 1-line block ×3, first 2 shown]
	v_cmp_gt_u32_e32 vcc, 2, v1
	v_cndmask_b32_e64 v1, 0, 1, vcc
	v_lshlrev_b32_e32 v1, 1, v1
	v_and_b32_e32 v5, 0xff, v8
	v_add_lshl_u32 v1, v1, v4, 2
	ds_bpermute_b32 v6, v1, v5
	ds_bpermute_b32 v4, v1, v2
	ds_bpermute_b32 v5, v1, v3
	v_and_b32_e32 v1, 1, v8
	s_waitcnt lgkmcnt(2)
	v_and_b32_e32 v7, 1, v6
	v_cmp_eq_u32_e64 s[0:1], 1, v7
	s_waitcnt lgkmcnt(0)
	v_cmp_lt_i64_e32 vcc, v[4:5], v[2:3]
	s_and_b64 vcc, s[0:1], vcc
	v_cndmask_b32_e64 v7, v8, 1, s[0:1]
	v_cndmask_b32_e32 v2, v2, v4, vcc
	v_cndmask_b32_e32 v3, v3, v5, vcc
	v_cmp_eq_u32_e32 vcc, 1, v1
	v_cndmask_b32_e32 v1, v6, v7, vcc
	v_cndmask_b32_e32 v3, v5, v3, vcc
	;; [unrolled: 1-line block ×3, first 2 shown]
	v_and_b32_e32 v6, 0xff, v1
.LBB497_42:
	s_or_b64 exec, exec, s[2:3]
	s_branch .LBB497_128
.LBB497_43:
                                        ; implicit-def: $vgpr4_vgpr5
                                        ; implicit-def: $vgpr1
	s_branch .LBB497_208
.LBB497_44:
                                        ; implicit-def: $vgpr2_vgpr3
                                        ; implicit-def: $vgpr7
	s_cbranch_execz .LBB497_89
; %bb.45:
	s_sub_i32 s39, s22, s14
	v_pk_mov_b32 v[4:5], 0, 0
	v_cmp_gt_u32_e32 vcc, s39, v0
	v_mov_b32_e32 v18, 0
	v_pk_mov_b32 v[2:3], v[4:5], v[4:5] op_sel:[0,1]
	v_mov_b32_e32 v1, 0
	s_and_saveexec_b64 s[0:1], vcc
	s_cbranch_execz .LBB497_47
; %bb.46:
	v_lshlrev_b32_e32 v1, 2, v0
	global_load_dword v6, v1, s[16:17]
	global_load_dword v7, v1, s[30:31]
	v_mov_b32_e32 v1, s38
	v_add_co_u32_e32 v2, vcc, s37, v0
	v_addc_co_u32_e32 v3, vcc, 0, v1, vcc
	s_waitcnt vmcnt(0)
	v_cmp_ne_u32_e32 vcc, v6, v7
	v_cndmask_b32_e64 v1, 0, 1, vcc
.LBB497_47:
	s_or_b64 exec, exec, s[0:1]
	v_or_b32_e32 v6, 0x100, v0
	v_cmp_gt_u32_e64 s[8:9], s39, v6
	s_and_saveexec_b64 s[0:1], s[8:9]
	s_cbranch_execz .LBB497_49
; %bb.48:
	v_lshlrev_b32_e32 v4, 2, v0
	global_load_dword v7, v4, s[16:17] offset:1024
	global_load_dword v8, v4, s[30:31] offset:1024
	v_mov_b32_e32 v5, s38
	v_add_co_u32_e32 v4, vcc, s37, v6
	v_addc_co_u32_e32 v5, vcc, 0, v5, vcc
	s_waitcnt vmcnt(0)
	v_cmp_ne_u32_e32 vcc, v7, v8
	v_cndmask_b32_e64 v18, 0, 1, vcc
.LBB497_49:
	s_or_b64 exec, exec, s[0:1]
	v_or_b32_e32 v8, 0x200, v0
	v_pk_mov_b32 v[6:7], 0, 0
	v_cmp_gt_u32_e32 vcc, s39, v8
	v_mov_b32_e32 v19, 0
	v_pk_mov_b32 v[12:13], v[6:7], v[6:7] op_sel:[0,1]
	v_mov_b32_e32 v23, 0
	s_and_saveexec_b64 s[2:3], vcc
	s_cbranch_execz .LBB497_51
; %bb.50:
	v_lshlrev_b32_e32 v9, 2, v0
	global_load_dword v10, v9, s[16:17] offset:2048
	global_load_dword v11, v9, s[30:31] offset:2048
	v_mov_b32_e32 v9, s38
	v_add_co_u32_e64 v12, s[0:1], s37, v8
	v_addc_co_u32_e64 v13, s[0:1], 0, v9, s[0:1]
	s_waitcnt vmcnt(0)
	v_cmp_ne_u32_e64 s[0:1], v10, v11
	v_cndmask_b32_e64 v23, 0, 1, s[0:1]
.LBB497_51:
	s_or_b64 exec, exec, s[2:3]
	v_or_b32_e32 v8, 0x300, v0
	v_cmp_gt_u32_e64 s[10:11], s39, v8
	s_and_saveexec_b64 s[2:3], s[10:11]
	s_cbranch_execz .LBB497_53
; %bb.52:
	v_lshlrev_b32_e32 v6, 2, v0
	global_load_dword v9, v6, s[16:17] offset:3072
	global_load_dword v10, v6, s[30:31] offset:3072
	v_mov_b32_e32 v7, s38
	v_add_co_u32_e64 v6, s[0:1], s37, v8
	v_addc_co_u32_e64 v7, s[0:1], 0, v7, s[0:1]
	s_waitcnt vmcnt(0)
	v_cmp_ne_u32_e64 s[0:1], v9, v10
	v_cndmask_b32_e64 v19, 0, 1, s[0:1]
.LBB497_53:
	s_or_b64 exec, exec, s[2:3]
	v_or_b32_e32 v10, 0x400, v0
	v_pk_mov_b32 v[8:9], 0, 0
	v_cmp_gt_u32_e64 s[0:1], s39, v10
	v_mov_b32_e32 v20, 0
	v_pk_mov_b32 v[14:15], v[8:9], v[8:9] op_sel:[0,1]
	v_mov_b32_e32 v24, 0
	s_and_saveexec_b64 s[12:13], s[0:1]
	s_cbranch_execz .LBB497_55
; %bb.54:
	v_lshlrev_b32_e32 v11, 2, v10
	global_load_dword v16, v11, s[16:17]
	global_load_dword v17, v11, s[30:31]
	v_mov_b32_e32 v11, s38
	v_add_co_u32_e64 v14, s[2:3], s37, v10
	v_addc_co_u32_e64 v15, s[2:3], 0, v11, s[2:3]
	s_waitcnt vmcnt(0)
	v_cmp_ne_u32_e64 s[2:3], v16, v17
	v_cndmask_b32_e64 v24, 0, 1, s[2:3]
.LBB497_55:
	s_or_b64 exec, exec, s[12:13]
	v_or_b32_e32 v10, 0x500, v0
	v_cmp_gt_u32_e64 s[12:13], s39, v10
	s_and_saveexec_b64 s[14:15], s[12:13]
	s_cbranch_execz .LBB497_57
; %bb.56:
	v_lshlrev_b32_e32 v8, 2, v10
	global_load_dword v11, v8, s[16:17]
	global_load_dword v16, v8, s[30:31]
	v_mov_b32_e32 v9, s38
	v_add_co_u32_e64 v8, s[2:3], s37, v10
	v_addc_co_u32_e64 v9, s[2:3], 0, v9, s[2:3]
	s_waitcnt vmcnt(0)
	v_cmp_ne_u32_e64 s[2:3], v11, v16
	v_cndmask_b32_e64 v20, 0, 1, s[2:3]
.LBB497_57:
	s_or_b64 exec, exec, s[14:15]
	v_or_b32_e32 v25, 0x600, v0
	v_pk_mov_b32 v[10:11], 0, 0
	v_cmp_gt_u32_e64 s[2:3], s39, v25
	v_mov_b32_e32 v21, 0
	v_mov_b32_e32 v22, 0
	v_pk_mov_b32 v[16:17], v[10:11], v[10:11] op_sel:[0,1]
	s_and_saveexec_b64 s[34:35], s[2:3]
	s_cbranch_execz .LBB497_59
; %bb.58:
	v_lshlrev_b32_e32 v16, 2, v25
	global_load_dword v22, v16, s[16:17]
	global_load_dword v26, v16, s[30:31]
	v_mov_b32_e32 v17, s38
	v_add_co_u32_e64 v16, s[14:15], s37, v25
	v_addc_co_u32_e64 v17, s[14:15], 0, v17, s[14:15]
	s_waitcnt vmcnt(0)
	v_cmp_ne_u32_e64 s[14:15], v22, v26
	v_cndmask_b32_e64 v22, 0, 1, s[14:15]
.LBB497_59:
	s_or_b64 exec, exec, s[34:35]
	v_or_b32_e32 v25, 0x700, v0
	v_cmp_gt_u32_e64 s[14:15], s39, v25
	s_and_saveexec_b64 s[34:35], s[14:15]
	s_cbranch_execnz .LBB497_240
; %bb.60:
	s_or_b64 exec, exec, s[34:35]
	s_and_saveexec_b64 s[30:31], s[8:9]
	s_cbranch_execnz .LBB497_241
.LBB497_61:
	s_or_b64 exec, exec, s[30:31]
	s_and_saveexec_b64 s[16:17], vcc
	s_cbranch_execnz .LBB497_242
.LBB497_62:
	s_or_b64 exec, exec, s[16:17]
	s_and_saveexec_b64 s[16:17], s[10:11]
	s_cbranch_execnz .LBB497_243
.LBB497_63:
	s_or_b64 exec, exec, s[16:17]
	s_and_saveexec_b64 s[8:9], s[0:1]
	s_cbranch_execnz .LBB497_244
.LBB497_64:
	s_or_b64 exec, exec, s[8:9]
	s_and_saveexec_b64 s[8:9], s[12:13]
	s_cbranch_execnz .LBB497_245
.LBB497_65:
	s_or_b64 exec, exec, s[8:9]
	s_and_saveexec_b64 s[8:9], s[2:3]
	s_cbranch_execnz .LBB497_246
.LBB497_66:
	s_or_b64 exec, exec, s[8:9]
	s_and_saveexec_b64 s[2:3], s[14:15]
	s_cbranch_execz .LBB497_68
.LBB497_67:
	v_and_b32_e32 v5, 1, v21
	v_cmp_lt_i64_e32 vcc, v[10:11], v[2:3]
	v_cmp_eq_u32_e64 s[0:1], 1, v5
	v_and_b32_e32 v4, 1, v1
	s_and_b64 vcc, s[0:1], vcc
	v_cndmask_b32_e64 v1, v1, 1, s[0:1]
	v_cndmask_b32_e32 v2, v2, v10, vcc
	v_cndmask_b32_e32 v3, v3, v11, vcc
	v_cmp_eq_u32_e32 vcc, 1, v4
	v_cndmask_b32_e32 v1, v21, v1, vcc
	v_cndmask_b32_e32 v3, v11, v3, vcc
	;; [unrolled: 1-line block ×3, first 2 shown]
.LBB497_68:
	s_or_b64 exec, exec, s[2:3]
	v_mbcnt_lo_u32_b32 v4, -1, 0
	v_mbcnt_hi_u32_b32 v6, -1, v4
	v_and_b32_e32 v8, 63, v6
	v_cmp_ne_u32_e32 vcc, 63, v8
	v_addc_co_u32_e32 v4, vcc, 0, v6, vcc
	v_and_b32_e32 v7, 0xffff, v1
	v_lshlrev_b32_e32 v5, 2, v4
	ds_bpermute_b32 v11, v5, v7
	ds_bpermute_b32 v4, v5, v2
	ds_bpermute_b32 v5, v5, v3
	s_min_u32 s8, s39, 0x100
	v_and_b32_e32 v9, 0xc0, v0
	v_sub_u32_e64 v10, s8, v9 clamp
	v_add_u32_e32 v9, 1, v8
	v_cmp_lt_u32_e32 vcc, v9, v10
	v_mov_b32_e32 v9, v7
	s_and_saveexec_b64 s[0:1], vcc
	s_xor_b64 s[2:3], exec, s[0:1]
	s_cbranch_execz .LBB497_70
; %bb.69:
	s_waitcnt lgkmcnt(2)
	v_and_b32_e32 v9, 1, v11
	s_waitcnt lgkmcnt(0)
	v_cmp_lt_i64_e32 vcc, v[4:5], v[2:3]
	v_cmp_eq_u32_e64 s[0:1], 1, v9
	v_and_b32_e32 v1, 1, v1
	s_and_b64 vcc, s[0:1], vcc
	v_cndmask_b32_e64 v7, v7, 1, s[0:1]
	v_cndmask_b32_e32 v2, v2, v4, vcc
	v_cndmask_b32_e32 v3, v3, v5, vcc
	v_cmp_eq_u32_e32 vcc, 1, v1
	v_cndmask_b32_e32 v9, v11, v7, vcc
	v_cndmask_b32_e32 v3, v5, v3, vcc
	;; [unrolled: 1-line block ×3, first 2 shown]
	v_and_b32_e32 v7, 0xff, v9
.LBB497_70:
	s_or_b64 exec, exec, s[2:3]
	v_cmp_gt_u32_e32 vcc, 62, v8
	v_cndmask_b32_e64 v1, 0, 1, vcc
	v_lshlrev_b32_e32 v1, 1, v1
	s_waitcnt lgkmcnt(0)
	v_add_lshl_u32 v5, v1, v6, 2
	ds_bpermute_b32 v1, v5, v7
	ds_bpermute_b32 v4, v5, v2
	ds_bpermute_b32 v5, v5, v3
	v_add_u32_e32 v11, 2, v8
	v_cmp_lt_u32_e32 vcc, v11, v10
	s_and_saveexec_b64 s[2:3], vcc
	s_cbranch_execz .LBB497_72
; %bb.71:
	s_waitcnt lgkmcnt(2)
	v_and_b32_e32 v11, 1, v1
	s_waitcnt lgkmcnt(0)
	v_cmp_lt_i64_e32 vcc, v[4:5], v[2:3]
	v_cmp_eq_u32_e64 s[0:1], 1, v11
	v_and_b32_e32 v7, 1, v9
	s_and_b64 vcc, s[0:1], vcc
	v_cndmask_b32_e64 v9, v9, 1, s[0:1]
	v_cndmask_b32_e32 v2, v2, v4, vcc
	v_cndmask_b32_e32 v3, v3, v5, vcc
	v_cmp_eq_u32_e32 vcc, 1, v7
	v_cndmask_b32_e32 v9, v1, v9, vcc
	v_cndmask_b32_e32 v3, v5, v3, vcc
	v_cndmask_b32_e32 v2, v4, v2, vcc
	v_and_b32_e32 v7, 0xff, v9
.LBB497_72:
	s_or_b64 exec, exec, s[2:3]
	v_cmp_gt_u32_e32 vcc, 60, v8
	s_waitcnt lgkmcnt(2)
	v_cndmask_b32_e64 v1, 0, 1, vcc
	v_lshlrev_b32_e32 v1, 2, v1
	s_waitcnt lgkmcnt(0)
	v_add_lshl_u32 v5, v1, v6, 2
	ds_bpermute_b32 v1, v5, v7
	ds_bpermute_b32 v4, v5, v2
	ds_bpermute_b32 v5, v5, v3
	v_add_u32_e32 v11, 4, v8
	v_cmp_lt_u32_e32 vcc, v11, v10
	s_and_saveexec_b64 s[2:3], vcc
	s_cbranch_execz .LBB497_74
; %bb.73:
	s_waitcnt lgkmcnt(2)
	v_and_b32_e32 v11, 1, v1
	s_waitcnt lgkmcnt(0)
	v_cmp_lt_i64_e32 vcc, v[4:5], v[2:3]
	v_cmp_eq_u32_e64 s[0:1], 1, v11
	v_and_b32_e32 v7, 1, v9
	s_and_b64 vcc, s[0:1], vcc
	v_cndmask_b32_e64 v9, v9, 1, s[0:1]
	v_cndmask_b32_e32 v2, v2, v4, vcc
	v_cndmask_b32_e32 v3, v3, v5, vcc
	v_cmp_eq_u32_e32 vcc, 1, v7
	v_cndmask_b32_e32 v9, v1, v9, vcc
	v_cndmask_b32_e32 v3, v5, v3, vcc
	v_cndmask_b32_e32 v2, v4, v2, vcc
	v_and_b32_e32 v7, 0xff, v9
.LBB497_74:
	s_or_b64 exec, exec, s[2:3]
	v_cmp_gt_u32_e32 vcc, 56, v8
	s_waitcnt lgkmcnt(2)
	v_cndmask_b32_e64 v1, 0, 1, vcc
	v_lshlrev_b32_e32 v1, 3, v1
	s_waitcnt lgkmcnt(0)
	v_add_lshl_u32 v5, v1, v6, 2
	ds_bpermute_b32 v1, v5, v7
	ds_bpermute_b32 v4, v5, v2
	ds_bpermute_b32 v5, v5, v3
	v_add_u32_e32 v11, 8, v8
	v_cmp_lt_u32_e32 vcc, v11, v10
	s_and_saveexec_b64 s[2:3], vcc
	s_cbranch_execz .LBB497_76
; %bb.75:
	s_waitcnt lgkmcnt(2)
	v_and_b32_e32 v11, 1, v1
	s_waitcnt lgkmcnt(0)
	v_cmp_lt_i64_e32 vcc, v[4:5], v[2:3]
	v_cmp_eq_u32_e64 s[0:1], 1, v11
	v_and_b32_e32 v7, 1, v9
	s_and_b64 vcc, s[0:1], vcc
	v_cndmask_b32_e64 v9, v9, 1, s[0:1]
	v_cndmask_b32_e32 v2, v2, v4, vcc
	v_cndmask_b32_e32 v3, v3, v5, vcc
	v_cmp_eq_u32_e32 vcc, 1, v7
	v_cndmask_b32_e32 v9, v1, v9, vcc
	v_cndmask_b32_e32 v3, v5, v3, vcc
	v_cndmask_b32_e32 v2, v4, v2, vcc
	v_and_b32_e32 v7, 0xff, v9
.LBB497_76:
	s_or_b64 exec, exec, s[2:3]
	v_cmp_gt_u32_e32 vcc, 48, v8
	s_waitcnt lgkmcnt(2)
	v_cndmask_b32_e64 v1, 0, 1, vcc
	v_lshlrev_b32_e32 v1, 4, v1
	s_waitcnt lgkmcnt(0)
	v_add_lshl_u32 v5, v1, v6, 2
	ds_bpermute_b32 v1, v5, v7
	ds_bpermute_b32 v4, v5, v2
	ds_bpermute_b32 v5, v5, v3
	v_add_u32_e32 v11, 16, v8
	v_cmp_lt_u32_e32 vcc, v11, v10
	s_and_saveexec_b64 s[2:3], vcc
	s_cbranch_execz .LBB497_78
; %bb.77:
	s_waitcnt lgkmcnt(2)
	v_and_b32_e32 v11, 1, v1
	s_waitcnt lgkmcnt(0)
	v_cmp_lt_i64_e32 vcc, v[4:5], v[2:3]
	v_cmp_eq_u32_e64 s[0:1], 1, v11
	v_and_b32_e32 v7, 1, v9
	s_and_b64 vcc, s[0:1], vcc
	v_cndmask_b32_e64 v9, v9, 1, s[0:1]
	v_cndmask_b32_e32 v2, v2, v4, vcc
	v_cndmask_b32_e32 v3, v3, v5, vcc
	v_cmp_eq_u32_e32 vcc, 1, v7
	v_cndmask_b32_e32 v9, v1, v9, vcc
	v_cndmask_b32_e32 v3, v5, v3, vcc
	v_cndmask_b32_e32 v2, v4, v2, vcc
	v_and_b32_e32 v7, 0xff, v9
.LBB497_78:
	s_or_b64 exec, exec, s[2:3]
	v_cmp_gt_u32_e32 vcc, 32, v8
	s_waitcnt lgkmcnt(2)
	v_cndmask_b32_e64 v1, 0, 1, vcc
	v_lshlrev_b32_e32 v1, 5, v1
	s_waitcnt lgkmcnt(0)
	v_add_lshl_u32 v5, v1, v6, 2
	ds_bpermute_b32 v1, v5, v7
	ds_bpermute_b32 v4, v5, v2
	;; [unrolled: 1-line block ×3, first 2 shown]
	v_add_u32_e32 v8, 32, v8
	v_cmp_lt_u32_e32 vcc, v8, v10
	s_and_saveexec_b64 s[2:3], vcc
	s_cbranch_execz .LBB497_80
; %bb.79:
	s_waitcnt lgkmcnt(2)
	v_and_b32_e32 v8, 1, v1
	s_waitcnt lgkmcnt(0)
	v_cmp_lt_i64_e32 vcc, v[4:5], v[2:3]
	v_cmp_eq_u32_e64 s[0:1], 1, v8
	v_and_b32_e32 v7, 1, v9
	s_and_b64 vcc, s[0:1], vcc
	v_cndmask_b32_e64 v8, v9, 1, s[0:1]
	v_cndmask_b32_e32 v2, v2, v4, vcc
	v_cndmask_b32_e32 v3, v3, v5, vcc
	v_cmp_eq_u32_e32 vcc, 1, v7
	v_cndmask_b32_e32 v9, v1, v8, vcc
	v_cndmask_b32_e32 v3, v5, v3, vcc
	v_cndmask_b32_e32 v2, v4, v2, vcc
	v_and_b32_e32 v7, 0xff, v9
.LBB497_80:
	s_or_b64 exec, exec, s[2:3]
	v_cmp_eq_u32_e32 vcc, 0, v6
	s_and_saveexec_b64 s[0:1], vcc
	s_cbranch_execz .LBB497_82
; %bb.81:
	s_waitcnt lgkmcnt(2)
	v_lshrrev_b32_e32 v1, 2, v0
	v_and_b32_e32 v1, 48, v1
	ds_write_b8 v1, v9 offset:256
	ds_write_b64 v1, v[2:3] offset:264
.LBB497_82:
	s_or_b64 exec, exec, s[0:1]
	v_cmp_gt_u32_e32 vcc, 4, v0
	s_waitcnt lgkmcnt(0)
	s_barrier
	s_and_saveexec_b64 s[2:3], vcc
	s_cbranch_execz .LBB497_88
; %bb.83:
	v_lshlrev_b32_e32 v2, 4, v6
	ds_read_u8 v1, v2 offset:256
	ds_read_b64 v[2:3], v2 offset:264
	v_and_b32_e32 v8, 3, v6
	v_cmp_ne_u32_e32 vcc, 3, v8
	v_addc_co_u32_e32 v4, vcc, 0, v6, vcc
	s_waitcnt lgkmcnt(1)
	v_and_b32_e32 v7, 0xff, v1
	v_lshlrev_b32_e32 v5, 2, v4
	ds_bpermute_b32 v9, v5, v7
	s_waitcnt lgkmcnt(1)
	ds_bpermute_b32 v4, v5, v2
	ds_bpermute_b32 v5, v5, v3
	s_add_i32 s8, s8, 63
	s_lshr_b32 s10, s8, 6
	v_add_u32_e32 v10, 1, v8
	v_cmp_gt_u32_e32 vcc, s10, v10
	s_and_saveexec_b64 s[8:9], vcc
	s_cbranch_execz .LBB497_85
; %bb.84:
	s_waitcnt lgkmcnt(2)
	v_and_b32_e32 v10, 1, v9
	s_waitcnt lgkmcnt(0)
	v_cmp_lt_i64_e32 vcc, v[4:5], v[2:3]
	v_cmp_eq_u32_e64 s[0:1], 1, v10
	v_and_b32_e32 v7, 1, v1
	s_and_b64 vcc, s[0:1], vcc
	v_cndmask_b32_e64 v1, v1, 1, s[0:1]
	v_cndmask_b32_e32 v2, v2, v4, vcc
	v_cndmask_b32_e32 v3, v3, v5, vcc
	v_cmp_eq_u32_e32 vcc, 1, v7
	v_cndmask_b32_e32 v1, v9, v1, vcc
	v_cndmask_b32_e32 v3, v5, v3, vcc
	;; [unrolled: 1-line block ×3, first 2 shown]
	v_and_b32_e32 v7, 0xff, v1
.LBB497_85:
	s_or_b64 exec, exec, s[8:9]
	v_cmp_gt_u32_e32 vcc, 2, v8
	s_waitcnt lgkmcnt(1)
	v_cndmask_b32_e64 v4, 0, 1, vcc
	v_lshlrev_b32_e32 v4, 1, v4
	s_waitcnt lgkmcnt(0)
	v_add_lshl_u32 v5, v4, v6, 2
	ds_bpermute_b32 v6, v5, v7
	ds_bpermute_b32 v4, v5, v2
	;; [unrolled: 1-line block ×3, first 2 shown]
	v_add_u32_e32 v8, 2, v8
	v_cmp_gt_u32_e32 vcc, s10, v8
	s_and_saveexec_b64 s[8:9], vcc
	s_cbranch_execz .LBB497_87
; %bb.86:
	s_waitcnt lgkmcnt(2)
	v_and_b32_e32 v8, 1, v6
	s_waitcnt lgkmcnt(0)
	v_cmp_lt_i64_e32 vcc, v[4:5], v[2:3]
	v_cmp_eq_u32_e64 s[0:1], 1, v8
	v_and_b32_e32 v7, 1, v1
	s_and_b64 vcc, s[0:1], vcc
	v_cndmask_b32_e64 v1, v1, 1, s[0:1]
	v_cndmask_b32_e32 v2, v2, v4, vcc
	v_cndmask_b32_e32 v3, v3, v5, vcc
	v_cmp_eq_u32_e32 vcc, 1, v7
	v_cndmask_b32_e32 v1, v6, v1, vcc
	v_cndmask_b32_e32 v3, v5, v3, vcc
	;; [unrolled: 1-line block ×3, first 2 shown]
	v_and_b32_e32 v7, 0xff, v1
.LBB497_87:
	s_or_b64 exec, exec, s[8:9]
.LBB497_88:
	s_or_b64 exec, exec, s[2:3]
.LBB497_89:
	v_cmp_eq_u32_e32 vcc, 0, v0
	s_mov_b64 s[10:11], 0
                                        ; implicit-def: $vgpr4_vgpr5
                                        ; implicit-def: $vgpr1
	s_and_saveexec_b64 s[0:1], vcc
	s_xor_b64 s[8:9], exec, s[0:1]
	s_cbranch_execz .LBB497_93
; %bb.90:
	s_cmp_eq_u64 s[22:23], 0
	s_waitcnt lgkmcnt(0)
	v_pk_mov_b32 v[4:5], s[18:19], s[18:19] op_sel:[0,1]
	v_mov_b32_e32 v1, s33
	s_cbranch_scc1 .LBB497_92
; %bb.91:
	v_and_b32_e32 v1, 1, v7
	s_bitcmp1_b32 s33, 0
	v_mov_b32_e32 v4, s33
	v_cmp_eq_u32_e32 vcc, 1, v1
	v_cmp_gt_i64_e64 s[2:3], s[18:19], v[2:3]
	v_cndmask_b32_e64 v1, v4, 1, vcc
	s_cselect_b64 s[0:1], -1, 0
	v_mov_b32_e32 v4, s18
	s_and_b64 vcc, vcc, s[2:3]
	v_mov_b32_e32 v5, s19
	v_cndmask_b32_e32 v4, v4, v2, vcc
	v_cndmask_b32_e32 v5, v5, v3, vcc
	v_cndmask_b32_e64 v1, v7, v1, s[0:1]
	v_cndmask_b32_e64 v5, v3, v5, s[0:1]
	;; [unrolled: 1-line block ×3, first 2 shown]
.LBB497_92:
	s_mov_b64 s[10:11], exec
.LBB497_93:
	s_or_b64 exec, exec, s[8:9]
	s_and_b64 vcc, exec, s[28:29]
	s_cbranch_vccnz .LBB497_24
.LBB497_94:
	s_branch .LBB497_208
.LBB497_95:
                                        ; implicit-def: $vgpr2_vgpr3
                                        ; implicit-def: $vgpr6
	s_cbranch_execz .LBB497_128
; %bb.96:
	s_sub_i32 s30, s22, s16
	s_waitcnt lgkmcnt(0)
	v_pk_mov_b32 v[4:5], 0, 0
	v_cmp_gt_u32_e32 vcc, s30, v0
	v_mov_b32_e32 v1, 0
	v_pk_mov_b32 v[2:3], v[4:5], v[4:5] op_sel:[0,1]
	v_mov_b32_e32 v10, 0
	s_and_saveexec_b64 s[0:1], vcc
	s_cbranch_execz .LBB497_98
; %bb.97:
	v_lshlrev_b32_e32 v2, 2, v0
	global_load_dword v6, v2, s[12:13]
	global_load_dword v7, v2, s[14:15]
	v_mov_b32_e32 v3, s29
	v_add_co_u32_e32 v2, vcc, s28, v0
	v_addc_co_u32_e32 v3, vcc, 0, v3, vcc
	s_waitcnt vmcnt(0)
	v_cmp_ne_u32_e32 vcc, v6, v7
	v_cndmask_b32_e64 v10, 0, 1, vcc
.LBB497_98:
	s_or_b64 exec, exec, s[0:1]
	v_or_b32_e32 v6, 0x100, v0
	v_cmp_gt_u32_e64 s[0:1], s30, v6
	s_and_saveexec_b64 s[2:3], s[0:1]
	s_cbranch_execz .LBB497_100
; %bb.99:
	v_lshlrev_b32_e32 v1, 2, v0
	global_load_dword v7, v1, s[12:13] offset:1024
	global_load_dword v8, v1, s[14:15] offset:1024
	v_mov_b32_e32 v1, s29
	v_add_co_u32_e32 v4, vcc, s28, v6
	v_addc_co_u32_e32 v5, vcc, 0, v1, vcc
	s_waitcnt vmcnt(0)
	v_cmp_ne_u32_e32 vcc, v7, v8
	v_cndmask_b32_e64 v1, 0, 1, vcc
.LBB497_100:
	s_or_b64 exec, exec, s[2:3]
	v_or_b32_e32 v13, 0x200, v0
	v_pk_mov_b32 v[6:7], 0, 0
	v_cmp_gt_u32_e32 vcc, s30, v13
	v_mov_b32_e32 v11, 0
	v_pk_mov_b32 v[8:9], v[6:7], v[6:7] op_sel:[0,1]
	v_mov_b32_e32 v12, 0
	s_and_saveexec_b64 s[8:9], vcc
	s_cbranch_execz .LBB497_102
; %bb.101:
	v_lshlrev_b32_e32 v8, 2, v0
	global_load_dword v12, v8, s[12:13] offset:2048
	global_load_dword v14, v8, s[14:15] offset:2048
	v_mov_b32_e32 v9, s29
	v_add_co_u32_e64 v8, s[2:3], s28, v13
	v_addc_co_u32_e64 v9, s[2:3], 0, v9, s[2:3]
	s_waitcnt vmcnt(0)
	v_cmp_ne_u32_e64 s[2:3], v12, v14
	v_cndmask_b32_e64 v12, 0, 1, s[2:3]
.LBB497_102:
	s_or_b64 exec, exec, s[8:9]
	v_or_b32_e32 v13, 0x300, v0
	v_cmp_gt_u32_e64 s[2:3], s30, v13
	s_and_saveexec_b64 s[16:17], s[2:3]
	s_cbranch_execnz .LBB497_247
; %bb.103:
	s_or_b64 exec, exec, s[16:17]
	s_and_saveexec_b64 s[12:13], s[0:1]
	s_cbranch_execnz .LBB497_248
.LBB497_104:
	s_or_b64 exec, exec, s[12:13]
	s_and_saveexec_b64 s[8:9], vcc
	s_cbranch_execnz .LBB497_249
.LBB497_105:
	s_or_b64 exec, exec, s[8:9]
	s_and_saveexec_b64 s[8:9], s[2:3]
	s_cbranch_execz .LBB497_107
.LBB497_106:
	v_and_b32_e32 v4, 1, v11
	v_cmp_lt_i64_e32 vcc, v[6:7], v[2:3]
	v_cmp_eq_u32_e64 s[0:1], 1, v4
	v_and_b32_e32 v1, 1, v10
	s_and_b64 vcc, s[0:1], vcc
	v_cndmask_b32_e64 v4, v10, 1, s[0:1]
	v_cndmask_b32_e32 v2, v2, v6, vcc
	v_cndmask_b32_e32 v3, v3, v7, vcc
	v_cmp_eq_u32_e32 vcc, 1, v1
	v_cndmask_b32_e32 v10, v11, v4, vcc
	v_cndmask_b32_e32 v3, v7, v3, vcc
	;; [unrolled: 1-line block ×3, first 2 shown]
.LBB497_107:
	s_or_b64 exec, exec, s[8:9]
	v_mbcnt_lo_u32_b32 v1, -1, 0
	v_mbcnt_hi_u32_b32 v1, -1, v1
	v_and_b32_e32 v7, 63, v1
	v_cmp_ne_u32_e32 vcc, 63, v7
	v_addc_co_u32_e32 v4, vcc, 0, v1, vcc
	v_and_b32_e32 v6, 0xffff, v10
	v_lshlrev_b32_e32 v5, 2, v4
	ds_bpermute_b32 v11, v5, v6
	ds_bpermute_b32 v4, v5, v2
	;; [unrolled: 1-line block ×3, first 2 shown]
	s_min_u32 s8, s30, 0x100
	v_and_b32_e32 v8, 0xc0, v0
	v_sub_u32_e64 v9, s8, v8 clamp
	v_add_u32_e32 v8, 1, v7
	v_cmp_lt_u32_e32 vcc, v8, v9
	v_mov_b32_e32 v8, v6
	s_and_saveexec_b64 s[0:1], vcc
	s_xor_b64 s[2:3], exec, s[0:1]
	s_cbranch_execz .LBB497_109
; %bb.108:
	v_and_b32_e32 v8, 1, v10
	s_waitcnt lgkmcnt(2)
	v_and_b32_e32 v10, 1, v11
	s_waitcnt lgkmcnt(0)
	v_cmp_lt_i64_e32 vcc, v[4:5], v[2:3]
	v_cmp_eq_u32_e64 s[0:1], 1, v10
	s_and_b64 vcc, s[0:1], vcc
	v_cndmask_b32_e64 v6, v6, 1, s[0:1]
	v_cndmask_b32_e32 v2, v2, v4, vcc
	v_cndmask_b32_e32 v3, v3, v5, vcc
	v_cmp_eq_u32_e32 vcc, 1, v8
	v_cndmask_b32_e32 v8, v11, v6, vcc
	v_cndmask_b32_e32 v3, v5, v3, vcc
	;; [unrolled: 1-line block ×3, first 2 shown]
	v_and_b32_e32 v6, 0xff, v8
.LBB497_109:
	s_or_b64 exec, exec, s[2:3]
	v_cmp_gt_u32_e32 vcc, 62, v7
	s_waitcnt lgkmcnt(1)
	v_cndmask_b32_e64 v4, 0, 1, vcc
	v_lshlrev_b32_e32 v4, 1, v4
	s_waitcnt lgkmcnt(0)
	v_add_lshl_u32 v5, v4, v1, 2
	ds_bpermute_b32 v10, v5, v6
	ds_bpermute_b32 v4, v5, v2
	ds_bpermute_b32 v5, v5, v3
	v_add_u32_e32 v11, 2, v7
	v_cmp_lt_u32_e32 vcc, v11, v9
	s_and_saveexec_b64 s[2:3], vcc
	s_cbranch_execz .LBB497_111
; %bb.110:
	s_waitcnt lgkmcnt(2)
	v_and_b32_e32 v11, 1, v10
	s_waitcnt lgkmcnt(0)
	v_cmp_lt_i64_e32 vcc, v[4:5], v[2:3]
	v_cmp_eq_u32_e64 s[0:1], 1, v11
	v_and_b32_e32 v6, 1, v8
	s_and_b64 vcc, s[0:1], vcc
	v_cndmask_b32_e64 v8, v8, 1, s[0:1]
	v_cndmask_b32_e32 v2, v2, v4, vcc
	v_cndmask_b32_e32 v3, v3, v5, vcc
	v_cmp_eq_u32_e32 vcc, 1, v6
	v_cndmask_b32_e32 v8, v10, v8, vcc
	v_cndmask_b32_e32 v3, v5, v3, vcc
	v_cndmask_b32_e32 v2, v4, v2, vcc
	v_and_b32_e32 v6, 0xff, v8
.LBB497_111:
	s_or_b64 exec, exec, s[2:3]
	v_cmp_gt_u32_e32 vcc, 60, v7
	s_waitcnt lgkmcnt(1)
	v_cndmask_b32_e64 v4, 0, 1, vcc
	v_lshlrev_b32_e32 v4, 2, v4
	s_waitcnt lgkmcnt(0)
	v_add_lshl_u32 v5, v4, v1, 2
	ds_bpermute_b32 v10, v5, v6
	ds_bpermute_b32 v4, v5, v2
	ds_bpermute_b32 v5, v5, v3
	v_add_u32_e32 v11, 4, v7
	v_cmp_lt_u32_e32 vcc, v11, v9
	s_and_saveexec_b64 s[2:3], vcc
	s_cbranch_execz .LBB497_113
; %bb.112:
	s_waitcnt lgkmcnt(2)
	v_and_b32_e32 v11, 1, v10
	s_waitcnt lgkmcnt(0)
	v_cmp_lt_i64_e32 vcc, v[4:5], v[2:3]
	v_cmp_eq_u32_e64 s[0:1], 1, v11
	v_and_b32_e32 v6, 1, v8
	s_and_b64 vcc, s[0:1], vcc
	v_cndmask_b32_e64 v8, v8, 1, s[0:1]
	v_cndmask_b32_e32 v2, v2, v4, vcc
	v_cndmask_b32_e32 v3, v3, v5, vcc
	v_cmp_eq_u32_e32 vcc, 1, v6
	v_cndmask_b32_e32 v8, v10, v8, vcc
	v_cndmask_b32_e32 v3, v5, v3, vcc
	v_cndmask_b32_e32 v2, v4, v2, vcc
	v_and_b32_e32 v6, 0xff, v8
.LBB497_113:
	;; [unrolled: 31-line block ×5, first 2 shown]
	s_or_b64 exec, exec, s[2:3]
	v_cmp_eq_u32_e32 vcc, 0, v1
	s_and_saveexec_b64 s[0:1], vcc
	s_cbranch_execz .LBB497_121
; %bb.120:
	s_waitcnt lgkmcnt(1)
	v_lshrrev_b32_e32 v4, 2, v0
	v_and_b32_e32 v4, 48, v4
	ds_write_b8 v4, v8 offset:256
	ds_write_b64 v4, v[2:3] offset:264
.LBB497_121:
	s_or_b64 exec, exec, s[0:1]
	v_cmp_gt_u32_e32 vcc, 4, v0
	s_waitcnt lgkmcnt(0)
	s_barrier
	s_and_saveexec_b64 s[2:3], vcc
	s_cbranch_execz .LBB497_127
; %bb.122:
	v_lshlrev_b32_e32 v2, 4, v1
	ds_read_u8 v7, v2 offset:256
	ds_read_b64 v[2:3], v2 offset:264
	v_and_b32_e32 v8, 3, v1
	v_cmp_ne_u32_e32 vcc, 3, v8
	v_addc_co_u32_e32 v4, vcc, 0, v1, vcc
	s_waitcnt lgkmcnt(1)
	v_and_b32_e32 v6, 0xff, v7
	v_lshlrev_b32_e32 v5, 2, v4
	ds_bpermute_b32 v9, v5, v6
	s_waitcnt lgkmcnt(1)
	ds_bpermute_b32 v4, v5, v2
	ds_bpermute_b32 v5, v5, v3
	s_add_i32 s8, s8, 63
	s_lshr_b32 s12, s8, 6
	v_add_u32_e32 v10, 1, v8
	v_cmp_gt_u32_e32 vcc, s12, v10
	s_and_saveexec_b64 s[8:9], vcc
	s_cbranch_execz .LBB497_124
; %bb.123:
	s_waitcnt lgkmcnt(2)
	v_and_b32_e32 v10, 1, v9
	s_waitcnt lgkmcnt(0)
	v_cmp_lt_i64_e32 vcc, v[4:5], v[2:3]
	v_cmp_eq_u32_e64 s[0:1], 1, v10
	v_and_b32_e32 v6, 1, v7
	s_and_b64 vcc, s[0:1], vcc
	v_cndmask_b32_e64 v7, v7, 1, s[0:1]
	v_cndmask_b32_e32 v2, v2, v4, vcc
	v_cndmask_b32_e32 v3, v3, v5, vcc
	v_cmp_eq_u32_e32 vcc, 1, v6
	v_cndmask_b32_e32 v7, v9, v7, vcc
	v_cndmask_b32_e32 v3, v5, v3, vcc
	v_cndmask_b32_e32 v2, v4, v2, vcc
	v_and_b32_e32 v6, 0xff, v7
.LBB497_124:
	s_or_b64 exec, exec, s[8:9]
	v_cmp_gt_u32_e32 vcc, 2, v8
	s_waitcnt lgkmcnt(1)
	v_cndmask_b32_e64 v4, 0, 1, vcc
	v_lshlrev_b32_e32 v4, 1, v4
	s_waitcnt lgkmcnt(0)
	v_add_lshl_u32 v5, v4, v1, 2
	ds_bpermute_b32 v1, v5, v6
	ds_bpermute_b32 v4, v5, v2
	;; [unrolled: 1-line block ×3, first 2 shown]
	v_add_u32_e32 v8, 2, v8
	v_cmp_gt_u32_e32 vcc, s12, v8
	s_and_saveexec_b64 s[8:9], vcc
	s_cbranch_execz .LBB497_126
; %bb.125:
	s_waitcnt lgkmcnt(2)
	v_and_b32_e32 v8, 1, v1
	s_waitcnt lgkmcnt(0)
	v_cmp_lt_i64_e32 vcc, v[4:5], v[2:3]
	v_cmp_eq_u32_e64 s[0:1], 1, v8
	v_and_b32_e32 v6, 1, v7
	s_and_b64 vcc, s[0:1], vcc
	v_cndmask_b32_e64 v7, v7, 1, s[0:1]
	v_cndmask_b32_e32 v2, v2, v4, vcc
	v_cndmask_b32_e32 v3, v3, v5, vcc
	v_cmp_eq_u32_e32 vcc, 1, v6
	v_cndmask_b32_e32 v1, v1, v7, vcc
	v_cndmask_b32_e32 v3, v5, v3, vcc
	;; [unrolled: 1-line block ×3, first 2 shown]
	v_and_b32_e32 v6, 0xff, v1
.LBB497_126:
	s_or_b64 exec, exec, s[8:9]
.LBB497_127:
	s_or_b64 exec, exec, s[2:3]
.LBB497_128:
	v_cmp_eq_u32_e32 vcc, 0, v0
                                        ; implicit-def: $vgpr4_vgpr5
                                        ; implicit-def: $vgpr1
	s_and_saveexec_b64 s[0:1], vcc
	s_xor_b64 s[8:9], exec, s[0:1]
	s_cbranch_execz .LBB497_132
; %bb.129:
	s_cmp_eq_u64 s[22:23], 0
	s_waitcnt lgkmcnt(0)
	v_pk_mov_b32 v[4:5], s[18:19], s[18:19] op_sel:[0,1]
	v_mov_b32_e32 v1, s33
	s_cbranch_scc1 .LBB497_131
; %bb.130:
	v_and_b32_e32 v1, 1, v6
	s_bitcmp1_b32 s33, 0
	v_mov_b32_e32 v4, s33
	v_cmp_eq_u32_e32 vcc, 1, v1
	v_cmp_gt_i64_e64 s[2:3], s[18:19], v[2:3]
	v_cndmask_b32_e64 v1, v4, 1, vcc
	s_cselect_b64 s[0:1], -1, 0
	v_mov_b32_e32 v4, s18
	s_and_b64 vcc, vcc, s[2:3]
	v_mov_b32_e32 v5, s19
	v_cndmask_b32_e32 v4, v4, v2, vcc
	v_cndmask_b32_e32 v5, v5, v3, vcc
	v_cndmask_b32_e64 v1, v6, v1, s[0:1]
	v_cndmask_b32_e64 v5, v3, v5, s[0:1]
	;; [unrolled: 1-line block ×3, first 2 shown]
.LBB497_131:
	s_or_b64 s[10:11], s[10:11], exec
.LBB497_132:
	s_or_b64 exec, exec, s[8:9]
	s_branch .LBB497_208
.LBB497_133:
	s_cmp_gt_i32 s36, 1
	s_cbranch_scc0 .LBB497_153
; %bb.134:
	s_cmp_eq_u32 s36, 2
	s_cbranch_scc0 .LBB497_154
; %bb.135:
	s_mov_b32 s7, 0
	s_lshl_b32 s12, s6, 9
	s_mov_b32 s13, s7
	s_lshr_b64 s[0:1], s[22:23], 9
	s_lshl_b64 s[8:9], s[12:13], 2
	s_add_u32 s2, s24, s8
	s_addc_u32 s3, s25, s9
	s_add_u32 s8, s26, s8
	s_addc_u32 s9, s27, s9
	;; [unrolled: 2-line block ×3, first 2 shown]
	s_cmp_lg_u64 s[0:1], s[6:7]
	s_cbranch_scc0 .LBB497_155
; %bb.136:
	s_waitcnt lgkmcnt(2)
	v_lshlrev_b32_e32 v1, 2, v0
	global_load_dword v2, v1, s[8:9] offset:1024
	global_load_dword v3, v1, s[8:9]
	s_waitcnt lgkmcnt(1)
	global_load_dword v4, v1, s[2:3] offset:1024
	s_waitcnt lgkmcnt(0)
	global_load_dword v5, v1, s[2:3]
	v_mov_b32_e32 v1, s17
	v_add_co_u32_e32 v6, vcc, s16, v0
	v_addc_co_u32_e32 v1, vcc, 0, v1, vcc
	v_add_co_u32_e32 v7, vcc, 0x100, v6
	v_addc_co_u32_e32 v8, vcc, 0, v1, vcc
	s_waitcnt vmcnt(1)
	v_cmp_ne_u32_e32 vcc, v4, v2
	s_waitcnt vmcnt(0)
	v_cmp_ne_u32_e64 s[0:1], v5, v3
	v_cndmask_b32_e64 v3, v8, v1, s[0:1]
	v_cndmask_b32_e64 v2, v7, v6, s[0:1]
	s_or_b64 s[0:1], s[0:1], vcc
	v_cndmask_b32_e64 v1, 0, 1, s[0:1]
	v_mov_b32_dpp v4, v2 quad_perm:[1,0,3,2] row_mask:0xf bank_mask:0xf bound_ctrl:1
	v_mov_b32_dpp v5, v3 quad_perm:[1,0,3,2] row_mask:0xf bank_mask:0xf bound_ctrl:1
	;; [unrolled: 1-line block ×3, first 2 shown]
	v_and_b32_e32 v7, 1, v6
	v_cmp_eq_u32_e32 vcc, 1, v7
	s_and_saveexec_b64 s[14:15], vcc
; %bb.137:
	v_cmp_lt_i64_e32 vcc, v[2:3], v[4:5]
	v_cndmask_b32_e64 v6, v6, 1, s[0:1]
	s_and_b64 vcc, s[0:1], vcc
	v_cndmask_b32_e32 v2, v4, v2, vcc
	v_and_b32_e32 v4, 1, v6
	v_cndmask_b32_e32 v3, v5, v3, vcc
	v_cmp_eq_u32_e32 vcc, 1, v4
	s_andn2_b64 s[0:1], s[0:1], exec
	s_and_b64 s[28:29], vcc, exec
	v_and_b32_e32 v1, 0xff, v6
	s_or_b64 s[0:1], s[0:1], s[28:29]
; %bb.138:
	s_or_b64 exec, exec, s[14:15]
	v_mov_b32_dpp v6, v1 quad_perm:[2,3,0,1] row_mask:0xf bank_mask:0xf bound_ctrl:1
	v_and_b32_e32 v7, 1, v6
	v_mov_b32_dpp v4, v2 quad_perm:[2,3,0,1] row_mask:0xf bank_mask:0xf bound_ctrl:1
	v_mov_b32_dpp v5, v3 quad_perm:[2,3,0,1] row_mask:0xf bank_mask:0xf bound_ctrl:1
	v_cmp_eq_u32_e32 vcc, 1, v7
	s_and_saveexec_b64 s[14:15], vcc
; %bb.139:
	v_cmp_lt_i64_e32 vcc, v[2:3], v[4:5]
	v_cndmask_b32_e64 v6, v6, 1, s[0:1]
	s_and_b64 vcc, s[0:1], vcc
	v_cndmask_b32_e32 v2, v4, v2, vcc
	v_and_b32_e32 v4, 1, v6
	v_cndmask_b32_e32 v3, v5, v3, vcc
	v_cmp_eq_u32_e32 vcc, 1, v4
	s_andn2_b64 s[0:1], s[0:1], exec
	s_and_b64 s[28:29], vcc, exec
	v_and_b32_e32 v1, 0xff, v6
	s_or_b64 s[0:1], s[0:1], s[28:29]
; %bb.140:
	s_or_b64 exec, exec, s[14:15]
	v_mov_b32_dpp v6, v1 row_ror:4 row_mask:0xf bank_mask:0xf bound_ctrl:1
	v_and_b32_e32 v7, 1, v6
	v_mov_b32_dpp v4, v2 row_ror:4 row_mask:0xf bank_mask:0xf bound_ctrl:1
	v_mov_b32_dpp v5, v3 row_ror:4 row_mask:0xf bank_mask:0xf bound_ctrl:1
	v_cmp_eq_u32_e32 vcc, 1, v7
	s_and_saveexec_b64 s[14:15], vcc
; %bb.141:
	v_cmp_lt_i64_e32 vcc, v[2:3], v[4:5]
	v_cndmask_b32_e64 v6, v6, 1, s[0:1]
	s_and_b64 vcc, s[0:1], vcc
	v_cndmask_b32_e32 v2, v4, v2, vcc
	v_and_b32_e32 v4, 1, v6
	v_cndmask_b32_e32 v3, v5, v3, vcc
	v_cmp_eq_u32_e32 vcc, 1, v4
	s_andn2_b64 s[0:1], s[0:1], exec
	s_and_b64 s[28:29], vcc, exec
	v_and_b32_e32 v1, 0xff, v6
	s_or_b64 s[0:1], s[0:1], s[28:29]
; %bb.142:
	s_or_b64 exec, exec, s[14:15]
	v_mov_b32_dpp v6, v1 row_ror:8 row_mask:0xf bank_mask:0xf bound_ctrl:1
	v_and_b32_e32 v7, 1, v6
	v_mov_b32_dpp v4, v2 row_ror:8 row_mask:0xf bank_mask:0xf bound_ctrl:1
	v_mov_b32_dpp v5, v3 row_ror:8 row_mask:0xf bank_mask:0xf bound_ctrl:1
	v_cmp_eq_u32_e32 vcc, 1, v7
	s_and_saveexec_b64 s[14:15], vcc
; %bb.143:
	v_cmp_lt_i64_e32 vcc, v[2:3], v[4:5]
	v_cndmask_b32_e64 v6, v6, 1, s[0:1]
	s_and_b64 vcc, s[0:1], vcc
	v_cndmask_b32_e32 v2, v4, v2, vcc
	v_and_b32_e32 v4, 1, v6
	v_cndmask_b32_e32 v3, v5, v3, vcc
	v_cmp_eq_u32_e32 vcc, 1, v4
	s_andn2_b64 s[0:1], s[0:1], exec
	s_and_b64 s[28:29], vcc, exec
	v_and_b32_e32 v1, 0xff, v6
	s_or_b64 s[0:1], s[0:1], s[28:29]
; %bb.144:
	s_or_b64 exec, exec, s[14:15]
	v_mov_b32_dpp v6, v1 row_bcast:15 row_mask:0xf bank_mask:0xf bound_ctrl:1
	v_and_b32_e32 v7, 1, v6
	v_mov_b32_dpp v4, v2 row_bcast:15 row_mask:0xf bank_mask:0xf bound_ctrl:1
	v_mov_b32_dpp v5, v3 row_bcast:15 row_mask:0xf bank_mask:0xf bound_ctrl:1
	v_cmp_eq_u32_e32 vcc, 1, v7
	s_and_saveexec_b64 s[14:15], vcc
; %bb.145:
	v_cmp_lt_i64_e32 vcc, v[2:3], v[4:5]
	v_cndmask_b32_e64 v6, v6, 1, s[0:1]
	s_and_b64 vcc, s[0:1], vcc
	v_cndmask_b32_e32 v2, v4, v2, vcc
	v_and_b32_e32 v4, 1, v6
	v_cndmask_b32_e32 v3, v5, v3, vcc
	v_cmp_eq_u32_e32 vcc, 1, v4
	s_andn2_b64 s[0:1], s[0:1], exec
	s_and_b64 s[28:29], vcc, exec
	v_and_b32_e32 v1, 0xff, v6
	s_or_b64 s[0:1], s[0:1], s[28:29]
; %bb.146:
	s_or_b64 exec, exec, s[14:15]
	v_mov_b32_dpp v6, v1 row_bcast:31 row_mask:0xf bank_mask:0xf bound_ctrl:1
	v_and_b32_e32 v7, 1, v6
	v_mov_b32_dpp v4, v2 row_bcast:31 row_mask:0xf bank_mask:0xf bound_ctrl:1
	v_mov_b32_dpp v5, v3 row_bcast:31 row_mask:0xf bank_mask:0xf bound_ctrl:1
	v_cmp_eq_u32_e32 vcc, 1, v7
	s_and_saveexec_b64 s[14:15], vcc
; %bb.147:
	v_cmp_lt_i64_e32 vcc, v[2:3], v[4:5]
	v_and_b32_e32 v1, 0xff, v6
	s_and_b64 vcc, s[0:1], vcc
	v_cndmask_b32_e32 v2, v4, v2, vcc
	v_cndmask_b32_e32 v3, v5, v3, vcc
	v_cndmask_b32_e64 v1, v1, 1, s[0:1]
; %bb.148:
	s_or_b64 exec, exec, s[14:15]
	v_mbcnt_lo_u32_b32 v4, -1, 0
	v_mbcnt_hi_u32_b32 v4, -1, v4
	v_bfrev_b32_e32 v5, 0.5
	v_lshl_or_b32 v5, v4, 2, v5
	ds_bpermute_b32 v6, v5, v1
	ds_bpermute_b32 v2, v5, v2
	;; [unrolled: 1-line block ×3, first 2 shown]
	v_cmp_eq_u32_e32 vcc, 0, v4
	s_and_saveexec_b64 s[0:1], vcc
	s_cbranch_execz .LBB497_150
; %bb.149:
	v_lshrrev_b32_e32 v1, 2, v0
	v_and_b32_e32 v1, 48, v1
	s_waitcnt lgkmcnt(2)
	ds_write_b8 v1, v6 offset:64
	s_waitcnt lgkmcnt(1)
	ds_write_b64 v1, v[2:3] offset:72
.LBB497_150:
	s_or_b64 exec, exec, s[0:1]
	v_cmp_gt_u32_e32 vcc, 64, v0
	s_waitcnt lgkmcnt(0)
	s_barrier
	s_and_saveexec_b64 s[14:15], vcc
	s_cbranch_execz .LBB497_152
; %bb.151:
	v_and_b32_e32 v1, 3, v4
	v_lshlrev_b32_e32 v2, 4, v1
	ds_read_u8 v5, v2 offset:64
	ds_read_b64 v[2:3], v2 offset:72
	v_cmp_ne_u32_e32 vcc, 3, v1
	v_addc_co_u32_e32 v6, vcc, 0, v4, vcc
	s_waitcnt lgkmcnt(1)
	v_and_b32_e32 v7, 0xff, v5
	v_lshlrev_b32_e32 v8, 2, v6
	ds_bpermute_b32 v9, v8, v7
	s_waitcnt lgkmcnt(1)
	ds_bpermute_b32 v6, v8, v2
	ds_bpermute_b32 v7, v8, v3
	v_and_b32_e32 v8, 1, v5
	s_waitcnt lgkmcnt(2)
	v_and_b32_e32 v10, 1, v9
	v_cmp_eq_u32_e64 s[0:1], 1, v10
	s_waitcnt lgkmcnt(0)
	v_cmp_lt_i64_e32 vcc, v[6:7], v[2:3]
	s_and_b64 vcc, s[0:1], vcc
	v_cndmask_b32_e64 v5, v5, 1, s[0:1]
	v_cndmask_b32_e32 v2, v2, v6, vcc
	v_cndmask_b32_e32 v3, v3, v7, vcc
	v_cmp_eq_u32_e32 vcc, 1, v8
	v_cndmask_b32_e32 v8, v9, v5, vcc
	v_cndmask_b32_e32 v3, v7, v3, vcc
	;; [unrolled: 1-line block ×3, first 2 shown]
	v_cmp_gt_u32_e32 vcc, 2, v1
	v_cndmask_b32_e64 v1, 0, 1, vcc
	v_lshlrev_b32_e32 v1, 1, v1
	v_and_b32_e32 v5, 0xff, v8
	v_add_lshl_u32 v1, v1, v4, 2
	ds_bpermute_b32 v6, v1, v5
	ds_bpermute_b32 v4, v1, v2
	;; [unrolled: 1-line block ×3, first 2 shown]
	v_and_b32_e32 v1, 1, v8
	s_waitcnt lgkmcnt(2)
	v_and_b32_e32 v7, 1, v6
	v_cmp_eq_u32_e64 s[0:1], 1, v7
	s_waitcnt lgkmcnt(0)
	v_cmp_lt_i64_e32 vcc, v[4:5], v[2:3]
	s_and_b64 vcc, s[0:1], vcc
	v_cndmask_b32_e64 v7, v8, 1, s[0:1]
	v_cndmask_b32_e32 v2, v2, v4, vcc
	v_cndmask_b32_e32 v3, v3, v5, vcc
	v_cmp_eq_u32_e32 vcc, 1, v1
	v_cndmask_b32_e32 v1, v6, v7, vcc
	v_cndmask_b32_e32 v3, v5, v3, vcc
	;; [unrolled: 1-line block ×3, first 2 shown]
	v_and_b32_e32 v6, 0xff, v1
.LBB497_152:
	s_or_b64 exec, exec, s[14:15]
	s_branch .LBB497_183
.LBB497_153:
                                        ; implicit-def: $vgpr4_vgpr5
                                        ; implicit-def: $vgpr1
	s_cbranch_execnz .LBB497_188
	s_branch .LBB497_208
.LBB497_154:
                                        ; implicit-def: $vgpr4_vgpr5
                                        ; implicit-def: $vgpr1
	s_branch .LBB497_208
.LBB497_155:
                                        ; implicit-def: $vgpr2_vgpr3
                                        ; implicit-def: $vgpr6
	s_cbranch_execz .LBB497_183
; %bb.156:
	s_sub_i32 s14, s22, s12
	s_waitcnt lgkmcnt(0)
	v_pk_mov_b32 v[4:5], 0, 0
	v_cmp_gt_u32_e32 vcc, s14, v0
	v_mov_b32_e32 v1, 0
	v_pk_mov_b32 v[2:3], v[4:5], v[4:5] op_sel:[0,1]
	v_mov_b32_e32 v7, 0
	s_and_saveexec_b64 s[0:1], vcc
	s_cbranch_execz .LBB497_158
; %bb.157:
	v_lshlrev_b32_e32 v2, 2, v0
	global_load_dword v6, v2, s[2:3]
	global_load_dword v7, v2, s[8:9]
	v_mov_b32_e32 v3, s17
	v_add_co_u32_e32 v2, vcc, s16, v0
	v_addc_co_u32_e32 v3, vcc, 0, v3, vcc
	s_waitcnt vmcnt(0)
	v_cmp_ne_u32_e32 vcc, v6, v7
	v_cndmask_b32_e64 v7, 0, 1, vcc
.LBB497_158:
	s_or_b64 exec, exec, s[0:1]
	v_or_b32_e32 v6, 0x100, v0
	v_cmp_gt_u32_e32 vcc, s14, v6
	s_and_saveexec_b64 s[12:13], vcc
	s_cbranch_execz .LBB497_160
; %bb.159:
	v_lshlrev_b32_e32 v1, 2, v0
	global_load_dword v8, v1, s[2:3] offset:1024
	global_load_dword v9, v1, s[8:9] offset:1024
	v_mov_b32_e32 v1, s17
	v_add_co_u32_e64 v4, s[0:1], s16, v6
	v_addc_co_u32_e64 v5, s[0:1], 0, v1, s[0:1]
	s_waitcnt vmcnt(0)
	v_cmp_ne_u32_e64 s[0:1], v8, v9
	v_cndmask_b32_e64 v1, 0, 1, s[0:1]
.LBB497_160:
	s_or_b64 exec, exec, s[12:13]
	s_and_saveexec_b64 s[2:3], vcc
	s_cbranch_execz .LBB497_162
; %bb.161:
	v_and_b32_e32 v8, 1, v1
	v_cmp_lt_i64_e32 vcc, v[4:5], v[2:3]
	v_cmp_eq_u32_e64 s[0:1], 1, v8
	v_and_b32_e32 v6, 1, v7
	s_and_b64 vcc, s[0:1], vcc
	v_cndmask_b32_e64 v7, v7, 1, s[0:1]
	v_cndmask_b32_e32 v2, v2, v4, vcc
	v_cndmask_b32_e32 v3, v3, v5, vcc
	v_cmp_eq_u32_e32 vcc, 1, v6
	v_cndmask_b32_e32 v7, v1, v7, vcc
	v_cndmask_b32_e32 v3, v5, v3, vcc
	;; [unrolled: 1-line block ×3, first 2 shown]
.LBB497_162:
	s_or_b64 exec, exec, s[2:3]
	v_mbcnt_lo_u32_b32 v1, -1, 0
	v_mbcnt_hi_u32_b32 v1, -1, v1
	v_and_b32_e32 v8, 63, v1
	v_cmp_ne_u32_e32 vcc, 63, v8
	v_addc_co_u32_e32 v4, vcc, 0, v1, vcc
	v_and_b32_e32 v6, 0xffff, v7
	v_lshlrev_b32_e32 v5, 2, v4
	ds_bpermute_b32 v10, v5, v6
	ds_bpermute_b32 v4, v5, v2
	;; [unrolled: 1-line block ×3, first 2 shown]
	s_min_u32 s8, s14, 0x100
	v_and_b32_e32 v9, 0xc0, v0
	v_sub_u32_e64 v9, s8, v9 clamp
	v_add_u32_e32 v11, 1, v8
	v_cmp_lt_u32_e32 vcc, v11, v9
	s_and_saveexec_b64 s[2:3], vcc
	s_cbranch_execz .LBB497_164
; %bb.163:
	s_waitcnt lgkmcnt(2)
	v_and_b32_e32 v11, 1, v10
	s_waitcnt lgkmcnt(0)
	v_cmp_lt_i64_e32 vcc, v[4:5], v[2:3]
	v_cmp_eq_u32_e64 s[0:1], 1, v11
	v_and_b32_e32 v6, 1, v7
	s_and_b64 vcc, s[0:1], vcc
	v_cndmask_b32_e64 v7, v7, 1, s[0:1]
	v_cndmask_b32_e32 v2, v2, v4, vcc
	v_cndmask_b32_e32 v3, v3, v5, vcc
	v_cmp_eq_u32_e32 vcc, 1, v6
	v_cndmask_b32_e32 v7, v10, v7, vcc
	v_cndmask_b32_e32 v3, v5, v3, vcc
	v_cndmask_b32_e32 v2, v4, v2, vcc
	v_and_b32_e32 v6, 0xff, v7
.LBB497_164:
	s_or_b64 exec, exec, s[2:3]
	v_cmp_gt_u32_e32 vcc, 62, v8
	s_waitcnt lgkmcnt(1)
	v_cndmask_b32_e64 v4, 0, 1, vcc
	v_lshlrev_b32_e32 v4, 1, v4
	s_waitcnt lgkmcnt(0)
	v_add_lshl_u32 v5, v4, v1, 2
	ds_bpermute_b32 v10, v5, v6
	ds_bpermute_b32 v4, v5, v2
	ds_bpermute_b32 v5, v5, v3
	v_add_u32_e32 v11, 2, v8
	v_cmp_lt_u32_e32 vcc, v11, v9
	s_and_saveexec_b64 s[2:3], vcc
	s_cbranch_execz .LBB497_166
; %bb.165:
	s_waitcnt lgkmcnt(2)
	v_and_b32_e32 v11, 1, v10
	s_waitcnt lgkmcnt(0)
	v_cmp_lt_i64_e32 vcc, v[4:5], v[2:3]
	v_cmp_eq_u32_e64 s[0:1], 1, v11
	v_and_b32_e32 v6, 1, v7
	s_and_b64 vcc, s[0:1], vcc
	v_cndmask_b32_e64 v7, v7, 1, s[0:1]
	v_cndmask_b32_e32 v2, v2, v4, vcc
	v_cndmask_b32_e32 v3, v3, v5, vcc
	v_cmp_eq_u32_e32 vcc, 1, v6
	v_cndmask_b32_e32 v7, v10, v7, vcc
	v_cndmask_b32_e32 v3, v5, v3, vcc
	v_cndmask_b32_e32 v2, v4, v2, vcc
	v_and_b32_e32 v6, 0xff, v7
.LBB497_166:
	s_or_b64 exec, exec, s[2:3]
	v_cmp_gt_u32_e32 vcc, 60, v8
	s_waitcnt lgkmcnt(1)
	v_cndmask_b32_e64 v4, 0, 1, vcc
	v_lshlrev_b32_e32 v4, 2, v4
	s_waitcnt lgkmcnt(0)
	v_add_lshl_u32 v5, v4, v1, 2
	ds_bpermute_b32 v10, v5, v6
	ds_bpermute_b32 v4, v5, v2
	ds_bpermute_b32 v5, v5, v3
	;; [unrolled: 31-line block ×5, first 2 shown]
	v_add_u32_e32 v8, 32, v8
	v_cmp_lt_u32_e32 vcc, v8, v9
	s_and_saveexec_b64 s[2:3], vcc
	s_cbranch_execz .LBB497_174
; %bb.173:
	s_waitcnt lgkmcnt(2)
	v_and_b32_e32 v8, 1, v10
	s_waitcnt lgkmcnt(0)
	v_cmp_lt_i64_e32 vcc, v[4:5], v[2:3]
	v_cmp_eq_u32_e64 s[0:1], 1, v8
	v_and_b32_e32 v6, 1, v7
	s_and_b64 vcc, s[0:1], vcc
	v_cndmask_b32_e64 v7, v7, 1, s[0:1]
	v_cndmask_b32_e32 v2, v2, v4, vcc
	v_cndmask_b32_e32 v3, v3, v5, vcc
	v_cmp_eq_u32_e32 vcc, 1, v6
	v_cndmask_b32_e32 v7, v10, v7, vcc
	v_cndmask_b32_e32 v3, v5, v3, vcc
	;; [unrolled: 1-line block ×3, first 2 shown]
	v_and_b32_e32 v6, 0xff, v7
.LBB497_174:
	s_or_b64 exec, exec, s[2:3]
	v_cmp_eq_u32_e32 vcc, 0, v1
	s_and_saveexec_b64 s[0:1], vcc
	s_cbranch_execz .LBB497_176
; %bb.175:
	s_waitcnt lgkmcnt(1)
	v_lshrrev_b32_e32 v4, 2, v0
	v_and_b32_e32 v4, 48, v4
	ds_write_b8 v4, v7 offset:256
	ds_write_b64 v4, v[2:3] offset:264
.LBB497_176:
	s_or_b64 exec, exec, s[0:1]
	v_cmp_gt_u32_e32 vcc, 4, v0
	s_waitcnt lgkmcnt(0)
	s_barrier
	s_and_saveexec_b64 s[2:3], vcc
	s_cbranch_execz .LBB497_182
; %bb.177:
	v_lshlrev_b32_e32 v2, 4, v1
	ds_read_u8 v7, v2 offset:256
	ds_read_b64 v[2:3], v2 offset:264
	v_and_b32_e32 v8, 3, v1
	v_cmp_ne_u32_e32 vcc, 3, v8
	v_addc_co_u32_e32 v4, vcc, 0, v1, vcc
	s_waitcnt lgkmcnt(1)
	v_and_b32_e32 v6, 0xff, v7
	v_lshlrev_b32_e32 v5, 2, v4
	ds_bpermute_b32 v9, v5, v6
	s_waitcnt lgkmcnt(1)
	ds_bpermute_b32 v4, v5, v2
	ds_bpermute_b32 v5, v5, v3
	s_add_i32 s8, s8, 63
	s_lshr_b32 s12, s8, 6
	v_add_u32_e32 v10, 1, v8
	v_cmp_gt_u32_e32 vcc, s12, v10
	s_and_saveexec_b64 s[8:9], vcc
	s_cbranch_execz .LBB497_179
; %bb.178:
	s_waitcnt lgkmcnt(2)
	v_and_b32_e32 v10, 1, v9
	s_waitcnt lgkmcnt(0)
	v_cmp_lt_i64_e32 vcc, v[4:5], v[2:3]
	v_cmp_eq_u32_e64 s[0:1], 1, v10
	v_and_b32_e32 v6, 1, v7
	s_and_b64 vcc, s[0:1], vcc
	v_cndmask_b32_e64 v7, v7, 1, s[0:1]
	v_cndmask_b32_e32 v2, v2, v4, vcc
	v_cndmask_b32_e32 v3, v3, v5, vcc
	v_cmp_eq_u32_e32 vcc, 1, v6
	v_cndmask_b32_e32 v7, v9, v7, vcc
	v_cndmask_b32_e32 v3, v5, v3, vcc
	;; [unrolled: 1-line block ×3, first 2 shown]
	v_and_b32_e32 v6, 0xff, v7
.LBB497_179:
	s_or_b64 exec, exec, s[8:9]
	v_cmp_gt_u32_e32 vcc, 2, v8
	s_waitcnt lgkmcnt(1)
	v_cndmask_b32_e64 v4, 0, 1, vcc
	v_lshlrev_b32_e32 v4, 1, v4
	s_waitcnt lgkmcnt(0)
	v_add_lshl_u32 v5, v4, v1, 2
	ds_bpermute_b32 v1, v5, v6
	ds_bpermute_b32 v4, v5, v2
	;; [unrolled: 1-line block ×3, first 2 shown]
	v_add_u32_e32 v8, 2, v8
	v_cmp_gt_u32_e32 vcc, s12, v8
	s_and_saveexec_b64 s[8:9], vcc
	s_cbranch_execz .LBB497_181
; %bb.180:
	s_waitcnt lgkmcnt(2)
	v_and_b32_e32 v8, 1, v1
	s_waitcnt lgkmcnt(0)
	v_cmp_lt_i64_e32 vcc, v[4:5], v[2:3]
	v_cmp_eq_u32_e64 s[0:1], 1, v8
	v_and_b32_e32 v6, 1, v7
	s_and_b64 vcc, s[0:1], vcc
	v_cndmask_b32_e64 v7, v7, 1, s[0:1]
	v_cndmask_b32_e32 v2, v2, v4, vcc
	v_cndmask_b32_e32 v3, v3, v5, vcc
	v_cmp_eq_u32_e32 vcc, 1, v6
	v_cndmask_b32_e32 v1, v1, v7, vcc
	v_cndmask_b32_e32 v3, v5, v3, vcc
	;; [unrolled: 1-line block ×3, first 2 shown]
	v_and_b32_e32 v6, 0xff, v1
.LBB497_181:
	s_or_b64 exec, exec, s[8:9]
.LBB497_182:
	s_or_b64 exec, exec, s[2:3]
.LBB497_183:
	v_cmp_eq_u32_e32 vcc, 0, v0
                                        ; implicit-def: $vgpr4_vgpr5
                                        ; implicit-def: $vgpr1
	s_and_saveexec_b64 s[0:1], vcc
	s_xor_b64 s[8:9], exec, s[0:1]
	s_cbranch_execz .LBB497_187
; %bb.184:
	s_cmp_eq_u64 s[22:23], 0
	s_waitcnt lgkmcnt(0)
	v_pk_mov_b32 v[4:5], s[18:19], s[18:19] op_sel:[0,1]
	v_mov_b32_e32 v1, s33
	s_cbranch_scc1 .LBB497_186
; %bb.185:
	v_and_b32_e32 v1, 1, v6
	s_bitcmp1_b32 s33, 0
	v_mov_b32_e32 v4, s33
	v_cmp_eq_u32_e32 vcc, 1, v1
	v_cmp_gt_i64_e64 s[2:3], s[18:19], v[2:3]
	v_cndmask_b32_e64 v1, v4, 1, vcc
	s_cselect_b64 s[0:1], -1, 0
	v_mov_b32_e32 v4, s18
	s_and_b64 vcc, vcc, s[2:3]
	v_mov_b32_e32 v5, s19
	v_cndmask_b32_e32 v4, v4, v2, vcc
	v_cndmask_b32_e32 v5, v5, v3, vcc
	v_cndmask_b32_e64 v1, v6, v1, s[0:1]
	v_cndmask_b32_e64 v5, v3, v5, s[0:1]
	;; [unrolled: 1-line block ×3, first 2 shown]
.LBB497_186:
	s_or_b64 s[10:11], s[10:11], exec
.LBB497_187:
	s_or_b64 exec, exec, s[8:9]
	s_branch .LBB497_208
.LBB497_188:
	s_cmp_eq_u32 s36, 1
	s_cbranch_scc0 .LBB497_207
; %bb.189:
	s_mov_b32 s3, 0
	s_lshl_b32 s2, s6, 8
	s_mov_b32 s7, s3
	s_lshr_b64 s[0:1], s[22:23], 8
	s_cmp_lg_u64 s[0:1], s[6:7]
	s_cbranch_scc0 .LBB497_211
; %bb.190:
	s_lshl_b64 s[0:1], s[2:3], 2
	s_add_u32 s8, s24, s0
	s_addc_u32 s9, s25, s1
	s_add_u32 s0, s26, s0
	s_waitcnt lgkmcnt(2)
	v_lshlrev_b32_e32 v1, 2, v0
	s_addc_u32 s1, s27, s1
	s_waitcnt lgkmcnt(0)
	global_load_dword v5, v1, s[8:9]
	global_load_dword v6, v1, s[0:1]
	s_add_u32 s0, s20, s2
	s_addc_u32 s1, s21, 0
	v_mov_b32_e32 v1, s1
	v_add_co_u32_e32 v2, vcc, s0, v0
	v_addc_co_u32_e32 v3, vcc, 0, v1, vcc
	s_nop 0
	v_mov_b32_dpp v4, v2 quad_perm:[1,0,3,2] row_mask:0xf bank_mask:0xf bound_ctrl:1
	s_waitcnt vmcnt(0)
	v_cmp_ne_u32_e32 vcc, v5, v6
	v_cndmask_b32_e64 v1, 0, 1, vcc
	v_cndmask_b32_e64 v6, 0, 1, vcc
	v_mov_b32_dpp v5, v3 quad_perm:[1,0,3,2] row_mask:0xf bank_mask:0xf bound_ctrl:1
	v_mov_b32_dpp v1, v1 quad_perm:[1,0,3,2] row_mask:0xf bank_mask:0xf bound_ctrl:1
	v_and_b32_e32 v7, 1, v1
	v_cmp_eq_u32_e64 s[0:1], 1, v7
	s_and_saveexec_b64 s[8:9], s[0:1]
; %bb.191:
	v_cmp_lt_i64_e64 s[0:1], v[2:3], v[4:5]
	v_cndmask_b32_e64 v6, v1, 1, vcc
	s_and_b64 vcc, vcc, s[0:1]
	v_cndmask_b32_e32 v3, v5, v3, vcc
	v_cndmask_b32_e32 v2, v4, v2, vcc
; %bb.192:
	s_or_b64 exec, exec, s[8:9]
	v_and_b32_e32 v1, 0xff, v6
	v_and_b32_e32 v6, 1, v6
	v_mov_b32_dpp v4, v2 quad_perm:[2,3,0,1] row_mask:0xf bank_mask:0xf bound_ctrl:1
	v_mov_b32_dpp v7, v1 quad_perm:[2,3,0,1] row_mask:0xf bank_mask:0xf bound_ctrl:1
	v_and_b32_e32 v8, 1, v7
	v_mov_b32_dpp v5, v3 quad_perm:[2,3,0,1] row_mask:0xf bank_mask:0xf bound_ctrl:1
	v_cmp_eq_u32_e32 vcc, 1, v8
	v_cmp_eq_u32_e64 s[0:1], 1, v6
	s_and_saveexec_b64 s[8:9], vcc
; %bb.193:
	v_cmp_lt_i64_e32 vcc, v[2:3], v[4:5]
	v_cndmask_b32_e64 v6, v7, 1, s[0:1]
	s_and_b64 vcc, s[0:1], vcc
	v_cndmask_b32_e32 v2, v4, v2, vcc
	v_and_b32_e32 v4, 1, v6
	v_cndmask_b32_e32 v3, v5, v3, vcc
	v_cmp_eq_u32_e32 vcc, 1, v4
	s_andn2_b64 s[0:1], s[0:1], exec
	s_and_b64 s[12:13], vcc, exec
	v_and_b32_e32 v1, 0xff, v6
	s_or_b64 s[0:1], s[0:1], s[12:13]
; %bb.194:
	s_or_b64 exec, exec, s[8:9]
	v_mov_b32_dpp v6, v1 row_ror:4 row_mask:0xf bank_mask:0xf bound_ctrl:1
	v_and_b32_e32 v7, 1, v6
	v_mov_b32_dpp v4, v2 row_ror:4 row_mask:0xf bank_mask:0xf bound_ctrl:1
	v_mov_b32_dpp v5, v3 row_ror:4 row_mask:0xf bank_mask:0xf bound_ctrl:1
	v_cmp_eq_u32_e32 vcc, 1, v7
	s_and_saveexec_b64 s[8:9], vcc
; %bb.195:
	v_cmp_lt_i64_e32 vcc, v[2:3], v[4:5]
	v_cndmask_b32_e64 v6, v6, 1, s[0:1]
	s_and_b64 vcc, s[0:1], vcc
	v_cndmask_b32_e32 v2, v4, v2, vcc
	v_and_b32_e32 v4, 1, v6
	v_cndmask_b32_e32 v3, v5, v3, vcc
	v_cmp_eq_u32_e32 vcc, 1, v4
	s_andn2_b64 s[0:1], s[0:1], exec
	s_and_b64 s[12:13], vcc, exec
	v_and_b32_e32 v1, 0xff, v6
	s_or_b64 s[0:1], s[0:1], s[12:13]
; %bb.196:
	s_or_b64 exec, exec, s[8:9]
	v_mov_b32_dpp v6, v1 row_ror:8 row_mask:0xf bank_mask:0xf bound_ctrl:1
	v_and_b32_e32 v7, 1, v6
	v_mov_b32_dpp v4, v2 row_ror:8 row_mask:0xf bank_mask:0xf bound_ctrl:1
	v_mov_b32_dpp v5, v3 row_ror:8 row_mask:0xf bank_mask:0xf bound_ctrl:1
	v_cmp_eq_u32_e32 vcc, 1, v7
	s_and_saveexec_b64 s[8:9], vcc
; %bb.197:
	v_cmp_lt_i64_e32 vcc, v[2:3], v[4:5]
	v_cndmask_b32_e64 v6, v6, 1, s[0:1]
	s_and_b64 vcc, s[0:1], vcc
	v_cndmask_b32_e32 v2, v4, v2, vcc
	v_and_b32_e32 v4, 1, v6
	v_cndmask_b32_e32 v3, v5, v3, vcc
	v_cmp_eq_u32_e32 vcc, 1, v4
	s_andn2_b64 s[0:1], s[0:1], exec
	s_and_b64 s[12:13], vcc, exec
	v_and_b32_e32 v1, 0xff, v6
	s_or_b64 s[0:1], s[0:1], s[12:13]
; %bb.198:
	s_or_b64 exec, exec, s[8:9]
	v_mov_b32_dpp v6, v1 row_bcast:15 row_mask:0xf bank_mask:0xf bound_ctrl:1
	v_and_b32_e32 v7, 1, v6
	v_mov_b32_dpp v4, v2 row_bcast:15 row_mask:0xf bank_mask:0xf bound_ctrl:1
	v_mov_b32_dpp v5, v3 row_bcast:15 row_mask:0xf bank_mask:0xf bound_ctrl:1
	v_cmp_eq_u32_e32 vcc, 1, v7
	s_and_saveexec_b64 s[8:9], vcc
; %bb.199:
	v_cmp_lt_i64_e32 vcc, v[2:3], v[4:5]
	v_cndmask_b32_e64 v6, v6, 1, s[0:1]
	s_and_b64 vcc, s[0:1], vcc
	v_cndmask_b32_e32 v2, v4, v2, vcc
	v_and_b32_e32 v4, 1, v6
	v_cndmask_b32_e32 v3, v5, v3, vcc
	v_cmp_eq_u32_e32 vcc, 1, v4
	s_andn2_b64 s[0:1], s[0:1], exec
	s_and_b64 s[12:13], vcc, exec
	v_and_b32_e32 v1, 0xff, v6
	s_or_b64 s[0:1], s[0:1], s[12:13]
; %bb.200:
	s_or_b64 exec, exec, s[8:9]
	v_mov_b32_dpp v6, v1 row_bcast:31 row_mask:0xf bank_mask:0xf bound_ctrl:1
	v_and_b32_e32 v7, 1, v6
	v_mov_b32_dpp v4, v2 row_bcast:31 row_mask:0xf bank_mask:0xf bound_ctrl:1
	v_mov_b32_dpp v5, v3 row_bcast:31 row_mask:0xf bank_mask:0xf bound_ctrl:1
	v_cmp_eq_u32_e32 vcc, 1, v7
	s_and_saveexec_b64 s[8:9], vcc
; %bb.201:
	v_cmp_lt_i64_e32 vcc, v[2:3], v[4:5]
	v_and_b32_e32 v1, 0xff, v6
	s_and_b64 vcc, s[0:1], vcc
	v_cndmask_b32_e32 v2, v4, v2, vcc
	v_cndmask_b32_e32 v3, v5, v3, vcc
	v_cndmask_b32_e64 v1, v1, 1, s[0:1]
; %bb.202:
	s_or_b64 exec, exec, s[8:9]
	v_mbcnt_lo_u32_b32 v4, -1, 0
	v_mbcnt_hi_u32_b32 v4, -1, v4
	v_bfrev_b32_e32 v5, 0.5
	v_lshl_or_b32 v5, v4, 2, v5
	ds_bpermute_b32 v6, v5, v1
	ds_bpermute_b32 v2, v5, v2
	;; [unrolled: 1-line block ×3, first 2 shown]
	v_cmp_eq_u32_e32 vcc, 0, v4
	s_and_saveexec_b64 s[0:1], vcc
	s_cbranch_execz .LBB497_204
; %bb.203:
	v_lshrrev_b32_e32 v1, 2, v0
	v_and_b32_e32 v1, 48, v1
	s_waitcnt lgkmcnt(2)
	ds_write_b8 v1, v6
	s_waitcnt lgkmcnt(1)
	ds_write_b64 v1, v[2:3] offset:8
.LBB497_204:
	s_or_b64 exec, exec, s[0:1]
	v_cmp_gt_u32_e32 vcc, 64, v0
	s_waitcnt lgkmcnt(0)
	s_barrier
	s_and_saveexec_b64 s[8:9], vcc
	s_cbranch_execz .LBB497_206
; %bb.205:
	v_and_b32_e32 v1, 3, v4
	v_lshlrev_b32_e32 v2, 4, v1
	ds_read_u8 v5, v2
	ds_read_b64 v[2:3], v2 offset:8
	v_cmp_ne_u32_e32 vcc, 3, v1
	v_addc_co_u32_e32 v6, vcc, 0, v4, vcc
	s_waitcnt lgkmcnt(1)
	v_and_b32_e32 v7, 0xff, v5
	v_lshlrev_b32_e32 v8, 2, v6
	ds_bpermute_b32 v9, v8, v7
	s_waitcnt lgkmcnt(1)
	ds_bpermute_b32 v6, v8, v2
	ds_bpermute_b32 v7, v8, v3
	v_and_b32_e32 v8, 1, v5
	s_waitcnt lgkmcnt(2)
	v_and_b32_e32 v10, 1, v9
	v_cmp_eq_u32_e64 s[0:1], 1, v10
	s_waitcnt lgkmcnt(0)
	v_cmp_lt_i64_e32 vcc, v[6:7], v[2:3]
	s_and_b64 vcc, s[0:1], vcc
	v_cndmask_b32_e64 v5, v5, 1, s[0:1]
	v_cndmask_b32_e32 v2, v2, v6, vcc
	v_cndmask_b32_e32 v3, v3, v7, vcc
	v_cmp_eq_u32_e32 vcc, 1, v8
	v_cndmask_b32_e32 v8, v9, v5, vcc
	v_cndmask_b32_e32 v3, v7, v3, vcc
	;; [unrolled: 1-line block ×3, first 2 shown]
	v_cmp_gt_u32_e32 vcc, 2, v1
	v_cndmask_b32_e64 v1, 0, 1, vcc
	v_lshlrev_b32_e32 v1, 1, v1
	v_and_b32_e32 v5, 0xff, v8
	v_add_lshl_u32 v1, v1, v4, 2
	ds_bpermute_b32 v6, v1, v5
	ds_bpermute_b32 v4, v1, v2
	;; [unrolled: 1-line block ×3, first 2 shown]
	v_and_b32_e32 v1, 1, v8
	s_waitcnt lgkmcnt(2)
	v_and_b32_e32 v7, 1, v6
	v_cmp_eq_u32_e64 s[0:1], 1, v7
	s_waitcnt lgkmcnt(0)
	v_cmp_lt_i64_e32 vcc, v[4:5], v[2:3]
	s_and_b64 vcc, s[0:1], vcc
	v_cndmask_b32_e64 v7, v8, 1, s[0:1]
	v_cndmask_b32_e32 v2, v2, v4, vcc
	v_cndmask_b32_e32 v3, v3, v5, vcc
	v_cmp_eq_u32_e32 vcc, 1, v1
	v_cndmask_b32_e32 v1, v6, v7, vcc
	v_cndmask_b32_e32 v3, v5, v3, vcc
	;; [unrolled: 1-line block ×3, first 2 shown]
	v_and_b32_e32 v6, 0xff, v1
.LBB497_206:
	s_or_b64 exec, exec, s[8:9]
	s_branch .LBB497_235
.LBB497_207:
                                        ; implicit-def: $vgpr4_vgpr5
                                        ; implicit-def: $vgpr1
                                        ; implicit-def: $sgpr6_sgpr7
.LBB497_208:
	s_and_saveexec_b64 s[0:1], s[10:11]
	s_cbranch_execz .LBB497_210
.LBB497_209:
	s_load_dwordx2 s[0:1], s[4:5], 0x38
	s_lshl_b64 s[2:3], s[6:7], 4
	v_mov_b32_e32 v0, 0
	s_waitcnt lgkmcnt(0)
	s_add_u32 s0, s0, s2
	s_addc_u32 s1, s1, s3
	global_store_byte v0, v1, s[0:1]
	global_store_dwordx2 v0, v[4:5], s[0:1] offset:8
.LBB497_210:
	s_endpgm
.LBB497_211:
                                        ; implicit-def: $vgpr2_vgpr3
                                        ; implicit-def: $vgpr6
	s_cbranch_execz .LBB497_235
; %bb.212:
	s_sub_i32 s8, s22, s2
	v_cmp_gt_u32_e32 vcc, s8, v0
	v_pk_mov_b32 v[2:3], 0, 0
	v_mov_b32_e32 v7, 0
	s_and_saveexec_b64 s[0:1], vcc
	s_cbranch_execz .LBB497_214
; %bb.213:
	s_lshl_b64 s[12:13], s[2:3], 2
	s_add_u32 s14, s26, s12
	s_addc_u32 s15, s27, s13
	s_add_u32 s12, s24, s12
	s_addc_u32 s13, s25, s13
	s_waitcnt lgkmcnt(2)
	v_lshlrev_b32_e32 v1, 2, v0
	s_waitcnt lgkmcnt(1)
	global_load_dword v4, v1, s[12:13]
	s_waitcnt lgkmcnt(0)
	global_load_dword v5, v1, s[14:15]
	s_add_u32 s2, s20, s2
	s_addc_u32 s3, s21, 0
	v_mov_b32_e32 v1, s3
	v_add_co_u32_e32 v2, vcc, s2, v0
	v_addc_co_u32_e32 v3, vcc, 0, v1, vcc
	s_waitcnt vmcnt(0)
	v_cmp_ne_u32_e32 vcc, v4, v5
	v_cndmask_b32_e64 v7, 0, 1, vcc
.LBB497_214:
	s_or_b64 exec, exec, s[0:1]
	s_waitcnt lgkmcnt(2)
	v_mbcnt_lo_u32_b32 v1, -1, 0
	v_mbcnt_hi_u32_b32 v1, -1, v1
	v_and_b32_e32 v8, 63, v1
	v_cmp_ne_u32_e32 vcc, 63, v8
	s_waitcnt lgkmcnt(1)
	v_addc_co_u32_e32 v4, vcc, 0, v1, vcc
	v_and_b32_e32 v6, 0xffff, v7
	s_waitcnt lgkmcnt(0)
	v_lshlrev_b32_e32 v5, 2, v4
	ds_bpermute_b32 v10, v5, v6
	ds_bpermute_b32 v4, v5, v2
	;; [unrolled: 1-line block ×3, first 2 shown]
	s_min_u32 s8, s8, 0x100
	v_and_b32_e32 v9, 0xc0, v0
	v_sub_u32_e64 v9, s8, v9 clamp
	v_add_u32_e32 v11, 1, v8
	v_cmp_lt_u32_e32 vcc, v11, v9
	s_and_saveexec_b64 s[2:3], vcc
	s_cbranch_execz .LBB497_216
; %bb.215:
	s_waitcnt lgkmcnt(2)
	v_and_b32_e32 v11, 1, v10
	s_waitcnt lgkmcnt(0)
	v_cmp_lt_i64_e32 vcc, v[4:5], v[2:3]
	v_cmp_eq_u32_e64 s[0:1], 1, v11
	v_and_b32_e32 v6, 1, v7
	s_and_b64 vcc, s[0:1], vcc
	v_cndmask_b32_e64 v7, v7, 1, s[0:1]
	v_cndmask_b32_e32 v2, v2, v4, vcc
	v_cndmask_b32_e32 v3, v3, v5, vcc
	v_cmp_eq_u32_e32 vcc, 1, v6
	v_cndmask_b32_e32 v7, v10, v7, vcc
	v_cndmask_b32_e32 v3, v5, v3, vcc
	v_cndmask_b32_e32 v2, v4, v2, vcc
	v_and_b32_e32 v6, 0xff, v7
.LBB497_216:
	s_or_b64 exec, exec, s[2:3]
	v_cmp_gt_u32_e32 vcc, 62, v8
	s_waitcnt lgkmcnt(1)
	v_cndmask_b32_e64 v4, 0, 1, vcc
	v_lshlrev_b32_e32 v4, 1, v4
	s_waitcnt lgkmcnt(0)
	v_add_lshl_u32 v5, v4, v1, 2
	ds_bpermute_b32 v10, v5, v6
	ds_bpermute_b32 v4, v5, v2
	ds_bpermute_b32 v5, v5, v3
	v_add_u32_e32 v11, 2, v8
	v_cmp_lt_u32_e32 vcc, v11, v9
	s_and_saveexec_b64 s[2:3], vcc
	s_cbranch_execz .LBB497_218
; %bb.217:
	s_waitcnt lgkmcnt(2)
	v_and_b32_e32 v11, 1, v10
	s_waitcnt lgkmcnt(0)
	v_cmp_lt_i64_e32 vcc, v[4:5], v[2:3]
	v_cmp_eq_u32_e64 s[0:1], 1, v11
	v_and_b32_e32 v6, 1, v7
	s_and_b64 vcc, s[0:1], vcc
	v_cndmask_b32_e64 v7, v7, 1, s[0:1]
	v_cndmask_b32_e32 v2, v2, v4, vcc
	v_cndmask_b32_e32 v3, v3, v5, vcc
	v_cmp_eq_u32_e32 vcc, 1, v6
	v_cndmask_b32_e32 v7, v10, v7, vcc
	v_cndmask_b32_e32 v3, v5, v3, vcc
	v_cndmask_b32_e32 v2, v4, v2, vcc
	v_and_b32_e32 v6, 0xff, v7
.LBB497_218:
	s_or_b64 exec, exec, s[2:3]
	v_cmp_gt_u32_e32 vcc, 60, v8
	s_waitcnt lgkmcnt(1)
	v_cndmask_b32_e64 v4, 0, 1, vcc
	v_lshlrev_b32_e32 v4, 2, v4
	s_waitcnt lgkmcnt(0)
	v_add_lshl_u32 v5, v4, v1, 2
	ds_bpermute_b32 v10, v5, v6
	ds_bpermute_b32 v4, v5, v2
	ds_bpermute_b32 v5, v5, v3
	;; [unrolled: 31-line block ×5, first 2 shown]
	v_add_u32_e32 v8, 32, v8
	v_cmp_lt_u32_e32 vcc, v8, v9
	s_and_saveexec_b64 s[2:3], vcc
	s_cbranch_execz .LBB497_226
; %bb.225:
	s_waitcnt lgkmcnt(2)
	v_and_b32_e32 v8, 1, v10
	s_waitcnt lgkmcnt(0)
	v_cmp_lt_i64_e32 vcc, v[4:5], v[2:3]
	v_cmp_eq_u32_e64 s[0:1], 1, v8
	v_and_b32_e32 v6, 1, v7
	s_and_b64 vcc, s[0:1], vcc
	v_cndmask_b32_e64 v7, v7, 1, s[0:1]
	v_cndmask_b32_e32 v2, v2, v4, vcc
	v_cndmask_b32_e32 v3, v3, v5, vcc
	v_cmp_eq_u32_e32 vcc, 1, v6
	v_cndmask_b32_e32 v7, v10, v7, vcc
	v_cndmask_b32_e32 v3, v5, v3, vcc
	;; [unrolled: 1-line block ×3, first 2 shown]
	v_and_b32_e32 v6, 0xff, v7
.LBB497_226:
	s_or_b64 exec, exec, s[2:3]
	v_cmp_eq_u32_e32 vcc, 0, v1
	s_and_saveexec_b64 s[0:1], vcc
	s_cbranch_execz .LBB497_228
; %bb.227:
	s_waitcnt lgkmcnt(1)
	v_lshrrev_b32_e32 v4, 2, v0
	v_and_b32_e32 v4, 48, v4
	ds_write_b8 v4, v7 offset:256
	ds_write_b64 v4, v[2:3] offset:264
.LBB497_228:
	s_or_b64 exec, exec, s[0:1]
	v_cmp_gt_u32_e32 vcc, 4, v0
	s_waitcnt lgkmcnt(0)
	s_barrier
	s_and_saveexec_b64 s[2:3], vcc
	s_cbranch_execz .LBB497_234
; %bb.229:
	v_lshlrev_b32_e32 v2, 4, v1
	ds_read_u8 v7, v2 offset:256
	ds_read_b64 v[2:3], v2 offset:264
	v_and_b32_e32 v8, 3, v1
	v_cmp_ne_u32_e32 vcc, 3, v8
	v_addc_co_u32_e32 v4, vcc, 0, v1, vcc
	s_waitcnt lgkmcnt(1)
	v_and_b32_e32 v6, 0xff, v7
	v_lshlrev_b32_e32 v5, 2, v4
	ds_bpermute_b32 v9, v5, v6
	s_waitcnt lgkmcnt(1)
	ds_bpermute_b32 v4, v5, v2
	ds_bpermute_b32 v5, v5, v3
	s_add_i32 s8, s8, 63
	s_lshr_b32 s12, s8, 6
	v_add_u32_e32 v10, 1, v8
	v_cmp_gt_u32_e32 vcc, s12, v10
	s_and_saveexec_b64 s[8:9], vcc
	s_cbranch_execz .LBB497_231
; %bb.230:
	s_waitcnt lgkmcnt(2)
	v_and_b32_e32 v10, 1, v9
	s_waitcnt lgkmcnt(0)
	v_cmp_lt_i64_e32 vcc, v[4:5], v[2:3]
	v_cmp_eq_u32_e64 s[0:1], 1, v10
	v_and_b32_e32 v6, 1, v7
	s_and_b64 vcc, s[0:1], vcc
	v_cndmask_b32_e64 v7, v7, 1, s[0:1]
	v_cndmask_b32_e32 v2, v2, v4, vcc
	v_cndmask_b32_e32 v3, v3, v5, vcc
	v_cmp_eq_u32_e32 vcc, 1, v6
	v_cndmask_b32_e32 v7, v9, v7, vcc
	v_cndmask_b32_e32 v3, v5, v3, vcc
	;; [unrolled: 1-line block ×3, first 2 shown]
	v_and_b32_e32 v6, 0xff, v7
.LBB497_231:
	s_or_b64 exec, exec, s[8:9]
	v_cmp_gt_u32_e32 vcc, 2, v8
	s_waitcnt lgkmcnt(1)
	v_cndmask_b32_e64 v4, 0, 1, vcc
	v_lshlrev_b32_e32 v4, 1, v4
	s_waitcnt lgkmcnt(0)
	v_add_lshl_u32 v5, v4, v1, 2
	ds_bpermute_b32 v1, v5, v6
	ds_bpermute_b32 v4, v5, v2
	;; [unrolled: 1-line block ×3, first 2 shown]
	v_add_u32_e32 v8, 2, v8
	v_cmp_gt_u32_e32 vcc, s12, v8
	s_and_saveexec_b64 s[8:9], vcc
	s_cbranch_execz .LBB497_233
; %bb.232:
	s_waitcnt lgkmcnt(2)
	v_and_b32_e32 v8, 1, v1
	s_waitcnt lgkmcnt(0)
	v_cmp_lt_i64_e32 vcc, v[4:5], v[2:3]
	v_cmp_eq_u32_e64 s[0:1], 1, v8
	v_and_b32_e32 v6, 1, v7
	s_and_b64 vcc, s[0:1], vcc
	v_cndmask_b32_e64 v7, v7, 1, s[0:1]
	v_cndmask_b32_e32 v2, v2, v4, vcc
	v_cndmask_b32_e32 v3, v3, v5, vcc
	v_cmp_eq_u32_e32 vcc, 1, v6
	v_cndmask_b32_e32 v1, v1, v7, vcc
	v_cndmask_b32_e32 v3, v5, v3, vcc
	;; [unrolled: 1-line block ×3, first 2 shown]
	v_and_b32_e32 v6, 0xff, v1
.LBB497_233:
	s_or_b64 exec, exec, s[8:9]
.LBB497_234:
	s_or_b64 exec, exec, s[2:3]
.LBB497_235:
	v_cmp_eq_u32_e32 vcc, 0, v0
                                        ; implicit-def: $vgpr4_vgpr5
                                        ; implicit-def: $vgpr1
	s_and_saveexec_b64 s[8:9], vcc
	s_cbranch_execz .LBB497_239
; %bb.236:
	s_cmp_eq_u64 s[22:23], 0
	s_waitcnt lgkmcnt(0)
	v_pk_mov_b32 v[4:5], s[18:19], s[18:19] op_sel:[0,1]
	v_mov_b32_e32 v1, s33
	s_cbranch_scc1 .LBB497_238
; %bb.237:
	v_and_b32_e32 v0, 1, v6
	s_bitcmp1_b32 s33, 0
	v_mov_b32_e32 v1, s33
	v_cmp_eq_u32_e32 vcc, 1, v0
	v_cmp_gt_i64_e64 s[2:3], s[18:19], v[2:3]
	v_cndmask_b32_e64 v0, v1, 1, vcc
	s_cselect_b64 s[0:1], -1, 0
	v_mov_b32_e32 v1, s18
	s_and_b64 vcc, vcc, s[2:3]
	v_cndmask_b32_e32 v4, v1, v2, vcc
	v_mov_b32_e32 v1, s19
	v_cndmask_b32_e32 v5, v1, v3, vcc
	v_cndmask_b32_e64 v1, v6, v0, s[0:1]
	v_cndmask_b32_e64 v5, v3, v5, s[0:1]
	;; [unrolled: 1-line block ×3, first 2 shown]
.LBB497_238:
	s_or_b64 s[10:11], s[10:11], exec
.LBB497_239:
	s_or_b64 exec, exec, s[8:9]
	s_and_saveexec_b64 s[0:1], s[10:11]
	s_cbranch_execnz .LBB497_209
	s_branch .LBB497_210
.LBB497_240:
	v_lshlrev_b32_e32 v10, 2, v25
	global_load_dword v21, v10, s[16:17]
	global_load_dword v26, v10, s[30:31]
	v_mov_b32_e32 v11, s38
	v_add_co_u32_e64 v10, s[16:17], s37, v25
	v_addc_co_u32_e64 v11, s[16:17], 0, v11, s[16:17]
	s_waitcnt vmcnt(0)
	v_cmp_ne_u32_e64 s[16:17], v21, v26
	v_cndmask_b32_e64 v21, 0, 1, s[16:17]
	s_or_b64 exec, exec, s[34:35]
	s_and_saveexec_b64 s[30:31], s[8:9]
	s_cbranch_execz .LBB497_61
.LBB497_241:
	v_and_b32_e32 v26, 1, v18
	v_cmp_lt_i64_e64 s[8:9], v[4:5], v[2:3]
	v_cmp_eq_u32_e64 s[16:17], 1, v26
	v_and_b32_e32 v25, 1, v1
	s_and_b64 s[8:9], s[16:17], s[8:9]
	v_cndmask_b32_e64 v1, v1, 1, s[16:17]
	v_cndmask_b32_e64 v2, v2, v4, s[8:9]
	;; [unrolled: 1-line block ×3, first 2 shown]
	v_cmp_eq_u32_e64 s[8:9], 1, v25
	v_cndmask_b32_e64 v1, v18, v1, s[8:9]
	v_cndmask_b32_e64 v3, v5, v3, s[8:9]
	;; [unrolled: 1-line block ×3, first 2 shown]
	s_or_b64 exec, exec, s[30:31]
	s_and_saveexec_b64 s[16:17], vcc
	s_cbranch_execz .LBB497_62
.LBB497_242:
	v_and_b32_e32 v5, 1, v23
	v_cmp_lt_i64_e32 vcc, v[12:13], v[2:3]
	v_cmp_eq_u32_e64 s[8:9], 1, v5
	v_and_b32_e32 v4, 1, v1
	s_and_b64 vcc, s[8:9], vcc
	v_cndmask_b32_e64 v1, v1, 1, s[8:9]
	v_cndmask_b32_e32 v2, v2, v12, vcc
	v_cndmask_b32_e32 v3, v3, v13, vcc
	v_cmp_eq_u32_e32 vcc, 1, v4
	v_cndmask_b32_e32 v1, v23, v1, vcc
	v_cndmask_b32_e32 v3, v13, v3, vcc
	;; [unrolled: 1-line block ×3, first 2 shown]
	s_or_b64 exec, exec, s[16:17]
	s_and_saveexec_b64 s[16:17], s[10:11]
	s_cbranch_execz .LBB497_63
.LBB497_243:
	v_and_b32_e32 v5, 1, v19
	v_cmp_lt_i64_e32 vcc, v[6:7], v[2:3]
	v_cmp_eq_u32_e64 s[8:9], 1, v5
	v_and_b32_e32 v4, 1, v1
	s_and_b64 vcc, s[8:9], vcc
	v_cndmask_b32_e64 v1, v1, 1, s[8:9]
	v_cndmask_b32_e32 v2, v2, v6, vcc
	v_cndmask_b32_e32 v3, v3, v7, vcc
	v_cmp_eq_u32_e32 vcc, 1, v4
	v_cndmask_b32_e32 v1, v19, v1, vcc
	v_cndmask_b32_e32 v3, v7, v3, vcc
	;; [unrolled: 1-line block ×3, first 2 shown]
	s_or_b64 exec, exec, s[16:17]
	s_and_saveexec_b64 s[8:9], s[0:1]
	s_cbranch_execz .LBB497_64
.LBB497_244:
	v_and_b32_e32 v5, 1, v24
	v_cmp_lt_i64_e32 vcc, v[14:15], v[2:3]
	v_cmp_eq_u32_e64 s[0:1], 1, v5
	v_and_b32_e32 v4, 1, v1
	s_and_b64 vcc, s[0:1], vcc
	v_cndmask_b32_e64 v1, v1, 1, s[0:1]
	v_cndmask_b32_e32 v2, v2, v14, vcc
	v_cndmask_b32_e32 v3, v3, v15, vcc
	v_cmp_eq_u32_e32 vcc, 1, v4
	v_cndmask_b32_e32 v1, v24, v1, vcc
	v_cndmask_b32_e32 v3, v15, v3, vcc
	;; [unrolled: 1-line block ×3, first 2 shown]
	s_or_b64 exec, exec, s[8:9]
	s_and_saveexec_b64 s[8:9], s[12:13]
	s_cbranch_execz .LBB497_65
.LBB497_245:
	v_and_b32_e32 v5, 1, v20
	v_cmp_lt_i64_e32 vcc, v[8:9], v[2:3]
	v_cmp_eq_u32_e64 s[0:1], 1, v5
	v_and_b32_e32 v4, 1, v1
	s_and_b64 vcc, s[0:1], vcc
	v_cndmask_b32_e64 v1, v1, 1, s[0:1]
	v_cndmask_b32_e32 v2, v2, v8, vcc
	v_cndmask_b32_e32 v3, v3, v9, vcc
	v_cmp_eq_u32_e32 vcc, 1, v4
	v_cndmask_b32_e32 v1, v20, v1, vcc
	v_cndmask_b32_e32 v3, v9, v3, vcc
	v_cndmask_b32_e32 v2, v8, v2, vcc
	s_or_b64 exec, exec, s[8:9]
	s_and_saveexec_b64 s[8:9], s[2:3]
	s_cbranch_execz .LBB497_66
.LBB497_246:
	v_and_b32_e32 v5, 1, v22
	v_cmp_lt_i64_e32 vcc, v[16:17], v[2:3]
	v_cmp_eq_u32_e64 s[0:1], 1, v5
	v_and_b32_e32 v4, 1, v1
	s_and_b64 vcc, s[0:1], vcc
	v_cndmask_b32_e64 v1, v1, 1, s[0:1]
	v_cndmask_b32_e32 v2, v2, v16, vcc
	v_cndmask_b32_e32 v3, v3, v17, vcc
	v_cmp_eq_u32_e32 vcc, 1, v4
	v_cndmask_b32_e32 v1, v22, v1, vcc
	v_cndmask_b32_e32 v3, v17, v3, vcc
	;; [unrolled: 1-line block ×3, first 2 shown]
	s_or_b64 exec, exec, s[8:9]
	s_and_saveexec_b64 s[2:3], s[14:15]
	s_cbranch_execnz .LBB497_67
	s_branch .LBB497_68
.LBB497_247:
	v_lshlrev_b32_e32 v6, 2, v0
	global_load_dword v11, v6, s[12:13] offset:3072
	global_load_dword v14, v6, s[14:15] offset:3072
	v_mov_b32_e32 v7, s29
	v_add_co_u32_e64 v6, s[8:9], s28, v13
	v_addc_co_u32_e64 v7, s[8:9], 0, v7, s[8:9]
	s_waitcnt vmcnt(0)
	v_cmp_ne_u32_e64 s[8:9], v11, v14
	v_cndmask_b32_e64 v11, 0, 1, s[8:9]
	s_or_b64 exec, exec, s[16:17]
	s_and_saveexec_b64 s[12:13], s[0:1]
	s_cbranch_execz .LBB497_104
.LBB497_248:
	v_and_b32_e32 v14, 1, v1
	v_cmp_lt_i64_e64 s[0:1], v[4:5], v[2:3]
	v_cmp_eq_u32_e64 s[8:9], 1, v14
	v_and_b32_e32 v13, 1, v10
	s_and_b64 s[0:1], s[8:9], s[0:1]
	v_cndmask_b32_e64 v10, v10, 1, s[8:9]
	v_cndmask_b32_e64 v2, v2, v4, s[0:1]
	;; [unrolled: 1-line block ×3, first 2 shown]
	v_cmp_eq_u32_e64 s[0:1], 1, v13
	v_cndmask_b32_e64 v10, v1, v10, s[0:1]
	v_cndmask_b32_e64 v3, v5, v3, s[0:1]
	v_cndmask_b32_e64 v2, v4, v2, s[0:1]
	s_or_b64 exec, exec, s[12:13]
	s_and_saveexec_b64 s[8:9], vcc
	s_cbranch_execz .LBB497_105
.LBB497_249:
	v_and_b32_e32 v4, 1, v12
	v_cmp_lt_i64_e32 vcc, v[8:9], v[2:3]
	v_cmp_eq_u32_e64 s[0:1], 1, v4
	v_and_b32_e32 v1, 1, v10
	s_and_b64 vcc, s[0:1], vcc
	v_cndmask_b32_e64 v4, v10, 1, s[0:1]
	v_cndmask_b32_e32 v2, v2, v8, vcc
	v_cndmask_b32_e32 v3, v3, v9, vcc
	v_cmp_eq_u32_e32 vcc, 1, v1
	v_cndmask_b32_e32 v10, v12, v4, vcc
	v_cndmask_b32_e32 v3, v9, v3, vcc
	;; [unrolled: 1-line block ×3, first 2 shown]
	s_or_b64 exec, exec, s[8:9]
	s_and_saveexec_b64 s[8:9], s[2:3]
	s_cbranch_execnz .LBB497_106
	s_branch .LBB497_107
	.section	.rodata,"a",@progbits
	.p2align	6, 0x0
	.amdhsa_kernel _ZN7rocprim17ROCPRIM_400000_NS6detail17trampoline_kernelINS0_14default_configENS1_22reduce_config_selectorIN6thrust23THRUST_200600_302600_NS5tupleIblNS6_9null_typeES8_S8_S8_S8_S8_S8_S8_EEEEZNS1_11reduce_implILb1ES3_NS6_12zip_iteratorINS7_INS6_11hip_rocprim26transform_input_iterator_tIbNSD_35transform_pair_of_input_iterators_tIbNS6_6detail15normal_iteratorINS6_10device_ptrIKiEEEESL_NS6_8equal_toIiEEEENSG_9not_fun_tINSD_8identityEEEEENSD_19counting_iterator_tIlEES8_S8_S8_S8_S8_S8_S8_S8_EEEEPS9_S9_NSD_9__find_if7functorIS9_EEEE10hipError_tPvRmT1_T2_T3_mT4_P12ihipStream_tbEUlT_E1_NS1_11comp_targetILNS1_3genE4ELNS1_11target_archE910ELNS1_3gpuE8ELNS1_3repE0EEENS1_30default_config_static_selectorELNS0_4arch9wavefront6targetE1EEEvS14_
		.amdhsa_group_segment_fixed_size 320
		.amdhsa_private_segment_fixed_size 0
		.amdhsa_kernarg_size 88
		.amdhsa_user_sgpr_count 6
		.amdhsa_user_sgpr_private_segment_buffer 1
		.amdhsa_user_sgpr_dispatch_ptr 0
		.amdhsa_user_sgpr_queue_ptr 0
		.amdhsa_user_sgpr_kernarg_segment_ptr 1
		.amdhsa_user_sgpr_dispatch_id 0
		.amdhsa_user_sgpr_flat_scratch_init 0
		.amdhsa_user_sgpr_kernarg_preload_length 0
		.amdhsa_user_sgpr_kernarg_preload_offset 0
		.amdhsa_user_sgpr_private_segment_size 0
		.amdhsa_uses_dynamic_stack 0
		.amdhsa_system_sgpr_private_segment_wavefront_offset 0
		.amdhsa_system_sgpr_workgroup_id_x 1
		.amdhsa_system_sgpr_workgroup_id_y 0
		.amdhsa_system_sgpr_workgroup_id_z 0
		.amdhsa_system_sgpr_workgroup_info 0
		.amdhsa_system_vgpr_workitem_id 0
		.amdhsa_next_free_vgpr 27
		.amdhsa_next_free_sgpr 40
		.amdhsa_accum_offset 28
		.amdhsa_reserve_vcc 1
		.amdhsa_reserve_flat_scratch 0
		.amdhsa_float_round_mode_32 0
		.amdhsa_float_round_mode_16_64 0
		.amdhsa_float_denorm_mode_32 3
		.amdhsa_float_denorm_mode_16_64 3
		.amdhsa_dx10_clamp 1
		.amdhsa_ieee_mode 1
		.amdhsa_fp16_overflow 0
		.amdhsa_tg_split 0
		.amdhsa_exception_fp_ieee_invalid_op 0
		.amdhsa_exception_fp_denorm_src 0
		.amdhsa_exception_fp_ieee_div_zero 0
		.amdhsa_exception_fp_ieee_overflow 0
		.amdhsa_exception_fp_ieee_underflow 0
		.amdhsa_exception_fp_ieee_inexact 0
		.amdhsa_exception_int_div_zero 0
	.end_amdhsa_kernel
	.section	.text._ZN7rocprim17ROCPRIM_400000_NS6detail17trampoline_kernelINS0_14default_configENS1_22reduce_config_selectorIN6thrust23THRUST_200600_302600_NS5tupleIblNS6_9null_typeES8_S8_S8_S8_S8_S8_S8_EEEEZNS1_11reduce_implILb1ES3_NS6_12zip_iteratorINS7_INS6_11hip_rocprim26transform_input_iterator_tIbNSD_35transform_pair_of_input_iterators_tIbNS6_6detail15normal_iteratorINS6_10device_ptrIKiEEEESL_NS6_8equal_toIiEEEENSG_9not_fun_tINSD_8identityEEEEENSD_19counting_iterator_tIlEES8_S8_S8_S8_S8_S8_S8_S8_EEEEPS9_S9_NSD_9__find_if7functorIS9_EEEE10hipError_tPvRmT1_T2_T3_mT4_P12ihipStream_tbEUlT_E1_NS1_11comp_targetILNS1_3genE4ELNS1_11target_archE910ELNS1_3gpuE8ELNS1_3repE0EEENS1_30default_config_static_selectorELNS0_4arch9wavefront6targetE1EEEvS14_,"axG",@progbits,_ZN7rocprim17ROCPRIM_400000_NS6detail17trampoline_kernelINS0_14default_configENS1_22reduce_config_selectorIN6thrust23THRUST_200600_302600_NS5tupleIblNS6_9null_typeES8_S8_S8_S8_S8_S8_S8_EEEEZNS1_11reduce_implILb1ES3_NS6_12zip_iteratorINS7_INS6_11hip_rocprim26transform_input_iterator_tIbNSD_35transform_pair_of_input_iterators_tIbNS6_6detail15normal_iteratorINS6_10device_ptrIKiEEEESL_NS6_8equal_toIiEEEENSG_9not_fun_tINSD_8identityEEEEENSD_19counting_iterator_tIlEES8_S8_S8_S8_S8_S8_S8_S8_EEEEPS9_S9_NSD_9__find_if7functorIS9_EEEE10hipError_tPvRmT1_T2_T3_mT4_P12ihipStream_tbEUlT_E1_NS1_11comp_targetILNS1_3genE4ELNS1_11target_archE910ELNS1_3gpuE8ELNS1_3repE0EEENS1_30default_config_static_selectorELNS0_4arch9wavefront6targetE1EEEvS14_,comdat
.Lfunc_end497:
	.size	_ZN7rocprim17ROCPRIM_400000_NS6detail17trampoline_kernelINS0_14default_configENS1_22reduce_config_selectorIN6thrust23THRUST_200600_302600_NS5tupleIblNS6_9null_typeES8_S8_S8_S8_S8_S8_S8_EEEEZNS1_11reduce_implILb1ES3_NS6_12zip_iteratorINS7_INS6_11hip_rocprim26transform_input_iterator_tIbNSD_35transform_pair_of_input_iterators_tIbNS6_6detail15normal_iteratorINS6_10device_ptrIKiEEEESL_NS6_8equal_toIiEEEENSG_9not_fun_tINSD_8identityEEEEENSD_19counting_iterator_tIlEES8_S8_S8_S8_S8_S8_S8_S8_EEEEPS9_S9_NSD_9__find_if7functorIS9_EEEE10hipError_tPvRmT1_T2_T3_mT4_P12ihipStream_tbEUlT_E1_NS1_11comp_targetILNS1_3genE4ELNS1_11target_archE910ELNS1_3gpuE8ELNS1_3repE0EEENS1_30default_config_static_selectorELNS0_4arch9wavefront6targetE1EEEvS14_, .Lfunc_end497-_ZN7rocprim17ROCPRIM_400000_NS6detail17trampoline_kernelINS0_14default_configENS1_22reduce_config_selectorIN6thrust23THRUST_200600_302600_NS5tupleIblNS6_9null_typeES8_S8_S8_S8_S8_S8_S8_EEEEZNS1_11reduce_implILb1ES3_NS6_12zip_iteratorINS7_INS6_11hip_rocprim26transform_input_iterator_tIbNSD_35transform_pair_of_input_iterators_tIbNS6_6detail15normal_iteratorINS6_10device_ptrIKiEEEESL_NS6_8equal_toIiEEEENSG_9not_fun_tINSD_8identityEEEEENSD_19counting_iterator_tIlEES8_S8_S8_S8_S8_S8_S8_S8_EEEEPS9_S9_NSD_9__find_if7functorIS9_EEEE10hipError_tPvRmT1_T2_T3_mT4_P12ihipStream_tbEUlT_E1_NS1_11comp_targetILNS1_3genE4ELNS1_11target_archE910ELNS1_3gpuE8ELNS1_3repE0EEENS1_30default_config_static_selectorELNS0_4arch9wavefront6targetE1EEEvS14_
                                        ; -- End function
	.section	.AMDGPU.csdata,"",@progbits
; Kernel info:
; codeLenInByte = 13144
; NumSgprs: 44
; NumVgprs: 27
; NumAgprs: 0
; TotalNumVgprs: 27
; ScratchSize: 0
; MemoryBound: 0
; FloatMode: 240
; IeeeMode: 1
; LDSByteSize: 320 bytes/workgroup (compile time only)
; SGPRBlocks: 5
; VGPRBlocks: 3
; NumSGPRsForWavesPerEU: 44
; NumVGPRsForWavesPerEU: 27
; AccumOffset: 28
; Occupancy: 8
; WaveLimiterHint : 0
; COMPUTE_PGM_RSRC2:SCRATCH_EN: 0
; COMPUTE_PGM_RSRC2:USER_SGPR: 6
; COMPUTE_PGM_RSRC2:TRAP_HANDLER: 0
; COMPUTE_PGM_RSRC2:TGID_X_EN: 1
; COMPUTE_PGM_RSRC2:TGID_Y_EN: 0
; COMPUTE_PGM_RSRC2:TGID_Z_EN: 0
; COMPUTE_PGM_RSRC2:TIDIG_COMP_CNT: 0
; COMPUTE_PGM_RSRC3_GFX90A:ACCUM_OFFSET: 6
; COMPUTE_PGM_RSRC3_GFX90A:TG_SPLIT: 0
	.section	.text._ZN7rocprim17ROCPRIM_400000_NS6detail17trampoline_kernelINS0_14default_configENS1_22reduce_config_selectorIN6thrust23THRUST_200600_302600_NS5tupleIblNS6_9null_typeES8_S8_S8_S8_S8_S8_S8_EEEEZNS1_11reduce_implILb1ES3_NS6_12zip_iteratorINS7_INS6_11hip_rocprim26transform_input_iterator_tIbNSD_35transform_pair_of_input_iterators_tIbNS6_6detail15normal_iteratorINS6_10device_ptrIKiEEEESL_NS6_8equal_toIiEEEENSG_9not_fun_tINSD_8identityEEEEENSD_19counting_iterator_tIlEES8_S8_S8_S8_S8_S8_S8_S8_EEEEPS9_S9_NSD_9__find_if7functorIS9_EEEE10hipError_tPvRmT1_T2_T3_mT4_P12ihipStream_tbEUlT_E1_NS1_11comp_targetILNS1_3genE3ELNS1_11target_archE908ELNS1_3gpuE7ELNS1_3repE0EEENS1_30default_config_static_selectorELNS0_4arch9wavefront6targetE1EEEvS14_,"axG",@progbits,_ZN7rocprim17ROCPRIM_400000_NS6detail17trampoline_kernelINS0_14default_configENS1_22reduce_config_selectorIN6thrust23THRUST_200600_302600_NS5tupleIblNS6_9null_typeES8_S8_S8_S8_S8_S8_S8_EEEEZNS1_11reduce_implILb1ES3_NS6_12zip_iteratorINS7_INS6_11hip_rocprim26transform_input_iterator_tIbNSD_35transform_pair_of_input_iterators_tIbNS6_6detail15normal_iteratorINS6_10device_ptrIKiEEEESL_NS6_8equal_toIiEEEENSG_9not_fun_tINSD_8identityEEEEENSD_19counting_iterator_tIlEES8_S8_S8_S8_S8_S8_S8_S8_EEEEPS9_S9_NSD_9__find_if7functorIS9_EEEE10hipError_tPvRmT1_T2_T3_mT4_P12ihipStream_tbEUlT_E1_NS1_11comp_targetILNS1_3genE3ELNS1_11target_archE908ELNS1_3gpuE7ELNS1_3repE0EEENS1_30default_config_static_selectorELNS0_4arch9wavefront6targetE1EEEvS14_,comdat
	.protected	_ZN7rocprim17ROCPRIM_400000_NS6detail17trampoline_kernelINS0_14default_configENS1_22reduce_config_selectorIN6thrust23THRUST_200600_302600_NS5tupleIblNS6_9null_typeES8_S8_S8_S8_S8_S8_S8_EEEEZNS1_11reduce_implILb1ES3_NS6_12zip_iteratorINS7_INS6_11hip_rocprim26transform_input_iterator_tIbNSD_35transform_pair_of_input_iterators_tIbNS6_6detail15normal_iteratorINS6_10device_ptrIKiEEEESL_NS6_8equal_toIiEEEENSG_9not_fun_tINSD_8identityEEEEENSD_19counting_iterator_tIlEES8_S8_S8_S8_S8_S8_S8_S8_EEEEPS9_S9_NSD_9__find_if7functorIS9_EEEE10hipError_tPvRmT1_T2_T3_mT4_P12ihipStream_tbEUlT_E1_NS1_11comp_targetILNS1_3genE3ELNS1_11target_archE908ELNS1_3gpuE7ELNS1_3repE0EEENS1_30default_config_static_selectorELNS0_4arch9wavefront6targetE1EEEvS14_ ; -- Begin function _ZN7rocprim17ROCPRIM_400000_NS6detail17trampoline_kernelINS0_14default_configENS1_22reduce_config_selectorIN6thrust23THRUST_200600_302600_NS5tupleIblNS6_9null_typeES8_S8_S8_S8_S8_S8_S8_EEEEZNS1_11reduce_implILb1ES3_NS6_12zip_iteratorINS7_INS6_11hip_rocprim26transform_input_iterator_tIbNSD_35transform_pair_of_input_iterators_tIbNS6_6detail15normal_iteratorINS6_10device_ptrIKiEEEESL_NS6_8equal_toIiEEEENSG_9not_fun_tINSD_8identityEEEEENSD_19counting_iterator_tIlEES8_S8_S8_S8_S8_S8_S8_S8_EEEEPS9_S9_NSD_9__find_if7functorIS9_EEEE10hipError_tPvRmT1_T2_T3_mT4_P12ihipStream_tbEUlT_E1_NS1_11comp_targetILNS1_3genE3ELNS1_11target_archE908ELNS1_3gpuE7ELNS1_3repE0EEENS1_30default_config_static_selectorELNS0_4arch9wavefront6targetE1EEEvS14_
	.globl	_ZN7rocprim17ROCPRIM_400000_NS6detail17trampoline_kernelINS0_14default_configENS1_22reduce_config_selectorIN6thrust23THRUST_200600_302600_NS5tupleIblNS6_9null_typeES8_S8_S8_S8_S8_S8_S8_EEEEZNS1_11reduce_implILb1ES3_NS6_12zip_iteratorINS7_INS6_11hip_rocprim26transform_input_iterator_tIbNSD_35transform_pair_of_input_iterators_tIbNS6_6detail15normal_iteratorINS6_10device_ptrIKiEEEESL_NS6_8equal_toIiEEEENSG_9not_fun_tINSD_8identityEEEEENSD_19counting_iterator_tIlEES8_S8_S8_S8_S8_S8_S8_S8_EEEEPS9_S9_NSD_9__find_if7functorIS9_EEEE10hipError_tPvRmT1_T2_T3_mT4_P12ihipStream_tbEUlT_E1_NS1_11comp_targetILNS1_3genE3ELNS1_11target_archE908ELNS1_3gpuE7ELNS1_3repE0EEENS1_30default_config_static_selectorELNS0_4arch9wavefront6targetE1EEEvS14_
	.p2align	8
	.type	_ZN7rocprim17ROCPRIM_400000_NS6detail17trampoline_kernelINS0_14default_configENS1_22reduce_config_selectorIN6thrust23THRUST_200600_302600_NS5tupleIblNS6_9null_typeES8_S8_S8_S8_S8_S8_S8_EEEEZNS1_11reduce_implILb1ES3_NS6_12zip_iteratorINS7_INS6_11hip_rocprim26transform_input_iterator_tIbNSD_35transform_pair_of_input_iterators_tIbNS6_6detail15normal_iteratorINS6_10device_ptrIKiEEEESL_NS6_8equal_toIiEEEENSG_9not_fun_tINSD_8identityEEEEENSD_19counting_iterator_tIlEES8_S8_S8_S8_S8_S8_S8_S8_EEEEPS9_S9_NSD_9__find_if7functorIS9_EEEE10hipError_tPvRmT1_T2_T3_mT4_P12ihipStream_tbEUlT_E1_NS1_11comp_targetILNS1_3genE3ELNS1_11target_archE908ELNS1_3gpuE7ELNS1_3repE0EEENS1_30default_config_static_selectorELNS0_4arch9wavefront6targetE1EEEvS14_,@function
_ZN7rocprim17ROCPRIM_400000_NS6detail17trampoline_kernelINS0_14default_configENS1_22reduce_config_selectorIN6thrust23THRUST_200600_302600_NS5tupleIblNS6_9null_typeES8_S8_S8_S8_S8_S8_S8_EEEEZNS1_11reduce_implILb1ES3_NS6_12zip_iteratorINS7_INS6_11hip_rocprim26transform_input_iterator_tIbNSD_35transform_pair_of_input_iterators_tIbNS6_6detail15normal_iteratorINS6_10device_ptrIKiEEEESL_NS6_8equal_toIiEEEENSG_9not_fun_tINSD_8identityEEEEENSD_19counting_iterator_tIlEES8_S8_S8_S8_S8_S8_S8_S8_EEEEPS9_S9_NSD_9__find_if7functorIS9_EEEE10hipError_tPvRmT1_T2_T3_mT4_P12ihipStream_tbEUlT_E1_NS1_11comp_targetILNS1_3genE3ELNS1_11target_archE908ELNS1_3gpuE7ELNS1_3repE0EEENS1_30default_config_static_selectorELNS0_4arch9wavefront6targetE1EEEvS14_: ; @_ZN7rocprim17ROCPRIM_400000_NS6detail17trampoline_kernelINS0_14default_configENS1_22reduce_config_selectorIN6thrust23THRUST_200600_302600_NS5tupleIblNS6_9null_typeES8_S8_S8_S8_S8_S8_S8_EEEEZNS1_11reduce_implILb1ES3_NS6_12zip_iteratorINS7_INS6_11hip_rocprim26transform_input_iterator_tIbNSD_35transform_pair_of_input_iterators_tIbNS6_6detail15normal_iteratorINS6_10device_ptrIKiEEEESL_NS6_8equal_toIiEEEENSG_9not_fun_tINSD_8identityEEEEENSD_19counting_iterator_tIlEES8_S8_S8_S8_S8_S8_S8_S8_EEEEPS9_S9_NSD_9__find_if7functorIS9_EEEE10hipError_tPvRmT1_T2_T3_mT4_P12ihipStream_tbEUlT_E1_NS1_11comp_targetILNS1_3genE3ELNS1_11target_archE908ELNS1_3gpuE7ELNS1_3repE0EEENS1_30default_config_static_selectorELNS0_4arch9wavefront6targetE1EEEvS14_
; %bb.0:
	.section	.rodata,"a",@progbits
	.p2align	6, 0x0
	.amdhsa_kernel _ZN7rocprim17ROCPRIM_400000_NS6detail17trampoline_kernelINS0_14default_configENS1_22reduce_config_selectorIN6thrust23THRUST_200600_302600_NS5tupleIblNS6_9null_typeES8_S8_S8_S8_S8_S8_S8_EEEEZNS1_11reduce_implILb1ES3_NS6_12zip_iteratorINS7_INS6_11hip_rocprim26transform_input_iterator_tIbNSD_35transform_pair_of_input_iterators_tIbNS6_6detail15normal_iteratorINS6_10device_ptrIKiEEEESL_NS6_8equal_toIiEEEENSG_9not_fun_tINSD_8identityEEEEENSD_19counting_iterator_tIlEES8_S8_S8_S8_S8_S8_S8_S8_EEEEPS9_S9_NSD_9__find_if7functorIS9_EEEE10hipError_tPvRmT1_T2_T3_mT4_P12ihipStream_tbEUlT_E1_NS1_11comp_targetILNS1_3genE3ELNS1_11target_archE908ELNS1_3gpuE7ELNS1_3repE0EEENS1_30default_config_static_selectorELNS0_4arch9wavefront6targetE1EEEvS14_
		.amdhsa_group_segment_fixed_size 0
		.amdhsa_private_segment_fixed_size 0
		.amdhsa_kernarg_size 88
		.amdhsa_user_sgpr_count 6
		.amdhsa_user_sgpr_private_segment_buffer 1
		.amdhsa_user_sgpr_dispatch_ptr 0
		.amdhsa_user_sgpr_queue_ptr 0
		.amdhsa_user_sgpr_kernarg_segment_ptr 1
		.amdhsa_user_sgpr_dispatch_id 0
		.amdhsa_user_sgpr_flat_scratch_init 0
		.amdhsa_user_sgpr_kernarg_preload_length 0
		.amdhsa_user_sgpr_kernarg_preload_offset 0
		.amdhsa_user_sgpr_private_segment_size 0
		.amdhsa_uses_dynamic_stack 0
		.amdhsa_system_sgpr_private_segment_wavefront_offset 0
		.amdhsa_system_sgpr_workgroup_id_x 1
		.amdhsa_system_sgpr_workgroup_id_y 0
		.amdhsa_system_sgpr_workgroup_id_z 0
		.amdhsa_system_sgpr_workgroup_info 0
		.amdhsa_system_vgpr_workitem_id 0
		.amdhsa_next_free_vgpr 1
		.amdhsa_next_free_sgpr 0
		.amdhsa_accum_offset 4
		.amdhsa_reserve_vcc 0
		.amdhsa_reserve_flat_scratch 0
		.amdhsa_float_round_mode_32 0
		.amdhsa_float_round_mode_16_64 0
		.amdhsa_float_denorm_mode_32 3
		.amdhsa_float_denorm_mode_16_64 3
		.amdhsa_dx10_clamp 1
		.amdhsa_ieee_mode 1
		.amdhsa_fp16_overflow 0
		.amdhsa_tg_split 0
		.amdhsa_exception_fp_ieee_invalid_op 0
		.amdhsa_exception_fp_denorm_src 0
		.amdhsa_exception_fp_ieee_div_zero 0
		.amdhsa_exception_fp_ieee_overflow 0
		.amdhsa_exception_fp_ieee_underflow 0
		.amdhsa_exception_fp_ieee_inexact 0
		.amdhsa_exception_int_div_zero 0
	.end_amdhsa_kernel
	.section	.text._ZN7rocprim17ROCPRIM_400000_NS6detail17trampoline_kernelINS0_14default_configENS1_22reduce_config_selectorIN6thrust23THRUST_200600_302600_NS5tupleIblNS6_9null_typeES8_S8_S8_S8_S8_S8_S8_EEEEZNS1_11reduce_implILb1ES3_NS6_12zip_iteratorINS7_INS6_11hip_rocprim26transform_input_iterator_tIbNSD_35transform_pair_of_input_iterators_tIbNS6_6detail15normal_iteratorINS6_10device_ptrIKiEEEESL_NS6_8equal_toIiEEEENSG_9not_fun_tINSD_8identityEEEEENSD_19counting_iterator_tIlEES8_S8_S8_S8_S8_S8_S8_S8_EEEEPS9_S9_NSD_9__find_if7functorIS9_EEEE10hipError_tPvRmT1_T2_T3_mT4_P12ihipStream_tbEUlT_E1_NS1_11comp_targetILNS1_3genE3ELNS1_11target_archE908ELNS1_3gpuE7ELNS1_3repE0EEENS1_30default_config_static_selectorELNS0_4arch9wavefront6targetE1EEEvS14_,"axG",@progbits,_ZN7rocprim17ROCPRIM_400000_NS6detail17trampoline_kernelINS0_14default_configENS1_22reduce_config_selectorIN6thrust23THRUST_200600_302600_NS5tupleIblNS6_9null_typeES8_S8_S8_S8_S8_S8_S8_EEEEZNS1_11reduce_implILb1ES3_NS6_12zip_iteratorINS7_INS6_11hip_rocprim26transform_input_iterator_tIbNSD_35transform_pair_of_input_iterators_tIbNS6_6detail15normal_iteratorINS6_10device_ptrIKiEEEESL_NS6_8equal_toIiEEEENSG_9not_fun_tINSD_8identityEEEEENSD_19counting_iterator_tIlEES8_S8_S8_S8_S8_S8_S8_S8_EEEEPS9_S9_NSD_9__find_if7functorIS9_EEEE10hipError_tPvRmT1_T2_T3_mT4_P12ihipStream_tbEUlT_E1_NS1_11comp_targetILNS1_3genE3ELNS1_11target_archE908ELNS1_3gpuE7ELNS1_3repE0EEENS1_30default_config_static_selectorELNS0_4arch9wavefront6targetE1EEEvS14_,comdat
.Lfunc_end498:
	.size	_ZN7rocprim17ROCPRIM_400000_NS6detail17trampoline_kernelINS0_14default_configENS1_22reduce_config_selectorIN6thrust23THRUST_200600_302600_NS5tupleIblNS6_9null_typeES8_S8_S8_S8_S8_S8_S8_EEEEZNS1_11reduce_implILb1ES3_NS6_12zip_iteratorINS7_INS6_11hip_rocprim26transform_input_iterator_tIbNSD_35transform_pair_of_input_iterators_tIbNS6_6detail15normal_iteratorINS6_10device_ptrIKiEEEESL_NS6_8equal_toIiEEEENSG_9not_fun_tINSD_8identityEEEEENSD_19counting_iterator_tIlEES8_S8_S8_S8_S8_S8_S8_S8_EEEEPS9_S9_NSD_9__find_if7functorIS9_EEEE10hipError_tPvRmT1_T2_T3_mT4_P12ihipStream_tbEUlT_E1_NS1_11comp_targetILNS1_3genE3ELNS1_11target_archE908ELNS1_3gpuE7ELNS1_3repE0EEENS1_30default_config_static_selectorELNS0_4arch9wavefront6targetE1EEEvS14_, .Lfunc_end498-_ZN7rocprim17ROCPRIM_400000_NS6detail17trampoline_kernelINS0_14default_configENS1_22reduce_config_selectorIN6thrust23THRUST_200600_302600_NS5tupleIblNS6_9null_typeES8_S8_S8_S8_S8_S8_S8_EEEEZNS1_11reduce_implILb1ES3_NS6_12zip_iteratorINS7_INS6_11hip_rocprim26transform_input_iterator_tIbNSD_35transform_pair_of_input_iterators_tIbNS6_6detail15normal_iteratorINS6_10device_ptrIKiEEEESL_NS6_8equal_toIiEEEENSG_9not_fun_tINSD_8identityEEEEENSD_19counting_iterator_tIlEES8_S8_S8_S8_S8_S8_S8_S8_EEEEPS9_S9_NSD_9__find_if7functorIS9_EEEE10hipError_tPvRmT1_T2_T3_mT4_P12ihipStream_tbEUlT_E1_NS1_11comp_targetILNS1_3genE3ELNS1_11target_archE908ELNS1_3gpuE7ELNS1_3repE0EEENS1_30default_config_static_selectorELNS0_4arch9wavefront6targetE1EEEvS14_
                                        ; -- End function
	.section	.AMDGPU.csdata,"",@progbits
; Kernel info:
; codeLenInByte = 0
; NumSgprs: 4
; NumVgprs: 0
; NumAgprs: 0
; TotalNumVgprs: 0
; ScratchSize: 0
; MemoryBound: 0
; FloatMode: 240
; IeeeMode: 1
; LDSByteSize: 0 bytes/workgroup (compile time only)
; SGPRBlocks: 0
; VGPRBlocks: 0
; NumSGPRsForWavesPerEU: 4
; NumVGPRsForWavesPerEU: 1
; AccumOffset: 4
; Occupancy: 8
; WaveLimiterHint : 0
; COMPUTE_PGM_RSRC2:SCRATCH_EN: 0
; COMPUTE_PGM_RSRC2:USER_SGPR: 6
; COMPUTE_PGM_RSRC2:TRAP_HANDLER: 0
; COMPUTE_PGM_RSRC2:TGID_X_EN: 1
; COMPUTE_PGM_RSRC2:TGID_Y_EN: 0
; COMPUTE_PGM_RSRC2:TGID_Z_EN: 0
; COMPUTE_PGM_RSRC2:TIDIG_COMP_CNT: 0
; COMPUTE_PGM_RSRC3_GFX90A:ACCUM_OFFSET: 0
; COMPUTE_PGM_RSRC3_GFX90A:TG_SPLIT: 0
	.section	.text._ZN7rocprim17ROCPRIM_400000_NS6detail17trampoline_kernelINS0_14default_configENS1_22reduce_config_selectorIN6thrust23THRUST_200600_302600_NS5tupleIblNS6_9null_typeES8_S8_S8_S8_S8_S8_S8_EEEEZNS1_11reduce_implILb1ES3_NS6_12zip_iteratorINS7_INS6_11hip_rocprim26transform_input_iterator_tIbNSD_35transform_pair_of_input_iterators_tIbNS6_6detail15normal_iteratorINS6_10device_ptrIKiEEEESL_NS6_8equal_toIiEEEENSG_9not_fun_tINSD_8identityEEEEENSD_19counting_iterator_tIlEES8_S8_S8_S8_S8_S8_S8_S8_EEEEPS9_S9_NSD_9__find_if7functorIS9_EEEE10hipError_tPvRmT1_T2_T3_mT4_P12ihipStream_tbEUlT_E1_NS1_11comp_targetILNS1_3genE2ELNS1_11target_archE906ELNS1_3gpuE6ELNS1_3repE0EEENS1_30default_config_static_selectorELNS0_4arch9wavefront6targetE1EEEvS14_,"axG",@progbits,_ZN7rocprim17ROCPRIM_400000_NS6detail17trampoline_kernelINS0_14default_configENS1_22reduce_config_selectorIN6thrust23THRUST_200600_302600_NS5tupleIblNS6_9null_typeES8_S8_S8_S8_S8_S8_S8_EEEEZNS1_11reduce_implILb1ES3_NS6_12zip_iteratorINS7_INS6_11hip_rocprim26transform_input_iterator_tIbNSD_35transform_pair_of_input_iterators_tIbNS6_6detail15normal_iteratorINS6_10device_ptrIKiEEEESL_NS6_8equal_toIiEEEENSG_9not_fun_tINSD_8identityEEEEENSD_19counting_iterator_tIlEES8_S8_S8_S8_S8_S8_S8_S8_EEEEPS9_S9_NSD_9__find_if7functorIS9_EEEE10hipError_tPvRmT1_T2_T3_mT4_P12ihipStream_tbEUlT_E1_NS1_11comp_targetILNS1_3genE2ELNS1_11target_archE906ELNS1_3gpuE6ELNS1_3repE0EEENS1_30default_config_static_selectorELNS0_4arch9wavefront6targetE1EEEvS14_,comdat
	.protected	_ZN7rocprim17ROCPRIM_400000_NS6detail17trampoline_kernelINS0_14default_configENS1_22reduce_config_selectorIN6thrust23THRUST_200600_302600_NS5tupleIblNS6_9null_typeES8_S8_S8_S8_S8_S8_S8_EEEEZNS1_11reduce_implILb1ES3_NS6_12zip_iteratorINS7_INS6_11hip_rocprim26transform_input_iterator_tIbNSD_35transform_pair_of_input_iterators_tIbNS6_6detail15normal_iteratorINS6_10device_ptrIKiEEEESL_NS6_8equal_toIiEEEENSG_9not_fun_tINSD_8identityEEEEENSD_19counting_iterator_tIlEES8_S8_S8_S8_S8_S8_S8_S8_EEEEPS9_S9_NSD_9__find_if7functorIS9_EEEE10hipError_tPvRmT1_T2_T3_mT4_P12ihipStream_tbEUlT_E1_NS1_11comp_targetILNS1_3genE2ELNS1_11target_archE906ELNS1_3gpuE6ELNS1_3repE0EEENS1_30default_config_static_selectorELNS0_4arch9wavefront6targetE1EEEvS14_ ; -- Begin function _ZN7rocprim17ROCPRIM_400000_NS6detail17trampoline_kernelINS0_14default_configENS1_22reduce_config_selectorIN6thrust23THRUST_200600_302600_NS5tupleIblNS6_9null_typeES8_S8_S8_S8_S8_S8_S8_EEEEZNS1_11reduce_implILb1ES3_NS6_12zip_iteratorINS7_INS6_11hip_rocprim26transform_input_iterator_tIbNSD_35transform_pair_of_input_iterators_tIbNS6_6detail15normal_iteratorINS6_10device_ptrIKiEEEESL_NS6_8equal_toIiEEEENSG_9not_fun_tINSD_8identityEEEEENSD_19counting_iterator_tIlEES8_S8_S8_S8_S8_S8_S8_S8_EEEEPS9_S9_NSD_9__find_if7functorIS9_EEEE10hipError_tPvRmT1_T2_T3_mT4_P12ihipStream_tbEUlT_E1_NS1_11comp_targetILNS1_3genE2ELNS1_11target_archE906ELNS1_3gpuE6ELNS1_3repE0EEENS1_30default_config_static_selectorELNS0_4arch9wavefront6targetE1EEEvS14_
	.globl	_ZN7rocprim17ROCPRIM_400000_NS6detail17trampoline_kernelINS0_14default_configENS1_22reduce_config_selectorIN6thrust23THRUST_200600_302600_NS5tupleIblNS6_9null_typeES8_S8_S8_S8_S8_S8_S8_EEEEZNS1_11reduce_implILb1ES3_NS6_12zip_iteratorINS7_INS6_11hip_rocprim26transform_input_iterator_tIbNSD_35transform_pair_of_input_iterators_tIbNS6_6detail15normal_iteratorINS6_10device_ptrIKiEEEESL_NS6_8equal_toIiEEEENSG_9not_fun_tINSD_8identityEEEEENSD_19counting_iterator_tIlEES8_S8_S8_S8_S8_S8_S8_S8_EEEEPS9_S9_NSD_9__find_if7functorIS9_EEEE10hipError_tPvRmT1_T2_T3_mT4_P12ihipStream_tbEUlT_E1_NS1_11comp_targetILNS1_3genE2ELNS1_11target_archE906ELNS1_3gpuE6ELNS1_3repE0EEENS1_30default_config_static_selectorELNS0_4arch9wavefront6targetE1EEEvS14_
	.p2align	8
	.type	_ZN7rocprim17ROCPRIM_400000_NS6detail17trampoline_kernelINS0_14default_configENS1_22reduce_config_selectorIN6thrust23THRUST_200600_302600_NS5tupleIblNS6_9null_typeES8_S8_S8_S8_S8_S8_S8_EEEEZNS1_11reduce_implILb1ES3_NS6_12zip_iteratorINS7_INS6_11hip_rocprim26transform_input_iterator_tIbNSD_35transform_pair_of_input_iterators_tIbNS6_6detail15normal_iteratorINS6_10device_ptrIKiEEEESL_NS6_8equal_toIiEEEENSG_9not_fun_tINSD_8identityEEEEENSD_19counting_iterator_tIlEES8_S8_S8_S8_S8_S8_S8_S8_EEEEPS9_S9_NSD_9__find_if7functorIS9_EEEE10hipError_tPvRmT1_T2_T3_mT4_P12ihipStream_tbEUlT_E1_NS1_11comp_targetILNS1_3genE2ELNS1_11target_archE906ELNS1_3gpuE6ELNS1_3repE0EEENS1_30default_config_static_selectorELNS0_4arch9wavefront6targetE1EEEvS14_,@function
_ZN7rocprim17ROCPRIM_400000_NS6detail17trampoline_kernelINS0_14default_configENS1_22reduce_config_selectorIN6thrust23THRUST_200600_302600_NS5tupleIblNS6_9null_typeES8_S8_S8_S8_S8_S8_S8_EEEEZNS1_11reduce_implILb1ES3_NS6_12zip_iteratorINS7_INS6_11hip_rocprim26transform_input_iterator_tIbNSD_35transform_pair_of_input_iterators_tIbNS6_6detail15normal_iteratorINS6_10device_ptrIKiEEEESL_NS6_8equal_toIiEEEENSG_9not_fun_tINSD_8identityEEEEENSD_19counting_iterator_tIlEES8_S8_S8_S8_S8_S8_S8_S8_EEEEPS9_S9_NSD_9__find_if7functorIS9_EEEE10hipError_tPvRmT1_T2_T3_mT4_P12ihipStream_tbEUlT_E1_NS1_11comp_targetILNS1_3genE2ELNS1_11target_archE906ELNS1_3gpuE6ELNS1_3repE0EEENS1_30default_config_static_selectorELNS0_4arch9wavefront6targetE1EEEvS14_: ; @_ZN7rocprim17ROCPRIM_400000_NS6detail17trampoline_kernelINS0_14default_configENS1_22reduce_config_selectorIN6thrust23THRUST_200600_302600_NS5tupleIblNS6_9null_typeES8_S8_S8_S8_S8_S8_S8_EEEEZNS1_11reduce_implILb1ES3_NS6_12zip_iteratorINS7_INS6_11hip_rocprim26transform_input_iterator_tIbNSD_35transform_pair_of_input_iterators_tIbNS6_6detail15normal_iteratorINS6_10device_ptrIKiEEEESL_NS6_8equal_toIiEEEENSG_9not_fun_tINSD_8identityEEEEENSD_19counting_iterator_tIlEES8_S8_S8_S8_S8_S8_S8_S8_EEEEPS9_S9_NSD_9__find_if7functorIS9_EEEE10hipError_tPvRmT1_T2_T3_mT4_P12ihipStream_tbEUlT_E1_NS1_11comp_targetILNS1_3genE2ELNS1_11target_archE906ELNS1_3gpuE6ELNS1_3repE0EEENS1_30default_config_static_selectorELNS0_4arch9wavefront6targetE1EEEvS14_
; %bb.0:
	.section	.rodata,"a",@progbits
	.p2align	6, 0x0
	.amdhsa_kernel _ZN7rocprim17ROCPRIM_400000_NS6detail17trampoline_kernelINS0_14default_configENS1_22reduce_config_selectorIN6thrust23THRUST_200600_302600_NS5tupleIblNS6_9null_typeES8_S8_S8_S8_S8_S8_S8_EEEEZNS1_11reduce_implILb1ES3_NS6_12zip_iteratorINS7_INS6_11hip_rocprim26transform_input_iterator_tIbNSD_35transform_pair_of_input_iterators_tIbNS6_6detail15normal_iteratorINS6_10device_ptrIKiEEEESL_NS6_8equal_toIiEEEENSG_9not_fun_tINSD_8identityEEEEENSD_19counting_iterator_tIlEES8_S8_S8_S8_S8_S8_S8_S8_EEEEPS9_S9_NSD_9__find_if7functorIS9_EEEE10hipError_tPvRmT1_T2_T3_mT4_P12ihipStream_tbEUlT_E1_NS1_11comp_targetILNS1_3genE2ELNS1_11target_archE906ELNS1_3gpuE6ELNS1_3repE0EEENS1_30default_config_static_selectorELNS0_4arch9wavefront6targetE1EEEvS14_
		.amdhsa_group_segment_fixed_size 0
		.amdhsa_private_segment_fixed_size 0
		.amdhsa_kernarg_size 88
		.amdhsa_user_sgpr_count 6
		.amdhsa_user_sgpr_private_segment_buffer 1
		.amdhsa_user_sgpr_dispatch_ptr 0
		.amdhsa_user_sgpr_queue_ptr 0
		.amdhsa_user_sgpr_kernarg_segment_ptr 1
		.amdhsa_user_sgpr_dispatch_id 0
		.amdhsa_user_sgpr_flat_scratch_init 0
		.amdhsa_user_sgpr_kernarg_preload_length 0
		.amdhsa_user_sgpr_kernarg_preload_offset 0
		.amdhsa_user_sgpr_private_segment_size 0
		.amdhsa_uses_dynamic_stack 0
		.amdhsa_system_sgpr_private_segment_wavefront_offset 0
		.amdhsa_system_sgpr_workgroup_id_x 1
		.amdhsa_system_sgpr_workgroup_id_y 0
		.amdhsa_system_sgpr_workgroup_id_z 0
		.amdhsa_system_sgpr_workgroup_info 0
		.amdhsa_system_vgpr_workitem_id 0
		.amdhsa_next_free_vgpr 1
		.amdhsa_next_free_sgpr 0
		.amdhsa_accum_offset 4
		.amdhsa_reserve_vcc 0
		.amdhsa_reserve_flat_scratch 0
		.amdhsa_float_round_mode_32 0
		.amdhsa_float_round_mode_16_64 0
		.amdhsa_float_denorm_mode_32 3
		.amdhsa_float_denorm_mode_16_64 3
		.amdhsa_dx10_clamp 1
		.amdhsa_ieee_mode 1
		.amdhsa_fp16_overflow 0
		.amdhsa_tg_split 0
		.amdhsa_exception_fp_ieee_invalid_op 0
		.amdhsa_exception_fp_denorm_src 0
		.amdhsa_exception_fp_ieee_div_zero 0
		.amdhsa_exception_fp_ieee_overflow 0
		.amdhsa_exception_fp_ieee_underflow 0
		.amdhsa_exception_fp_ieee_inexact 0
		.amdhsa_exception_int_div_zero 0
	.end_amdhsa_kernel
	.section	.text._ZN7rocprim17ROCPRIM_400000_NS6detail17trampoline_kernelINS0_14default_configENS1_22reduce_config_selectorIN6thrust23THRUST_200600_302600_NS5tupleIblNS6_9null_typeES8_S8_S8_S8_S8_S8_S8_EEEEZNS1_11reduce_implILb1ES3_NS6_12zip_iteratorINS7_INS6_11hip_rocprim26transform_input_iterator_tIbNSD_35transform_pair_of_input_iterators_tIbNS6_6detail15normal_iteratorINS6_10device_ptrIKiEEEESL_NS6_8equal_toIiEEEENSG_9not_fun_tINSD_8identityEEEEENSD_19counting_iterator_tIlEES8_S8_S8_S8_S8_S8_S8_S8_EEEEPS9_S9_NSD_9__find_if7functorIS9_EEEE10hipError_tPvRmT1_T2_T3_mT4_P12ihipStream_tbEUlT_E1_NS1_11comp_targetILNS1_3genE2ELNS1_11target_archE906ELNS1_3gpuE6ELNS1_3repE0EEENS1_30default_config_static_selectorELNS0_4arch9wavefront6targetE1EEEvS14_,"axG",@progbits,_ZN7rocprim17ROCPRIM_400000_NS6detail17trampoline_kernelINS0_14default_configENS1_22reduce_config_selectorIN6thrust23THRUST_200600_302600_NS5tupleIblNS6_9null_typeES8_S8_S8_S8_S8_S8_S8_EEEEZNS1_11reduce_implILb1ES3_NS6_12zip_iteratorINS7_INS6_11hip_rocprim26transform_input_iterator_tIbNSD_35transform_pair_of_input_iterators_tIbNS6_6detail15normal_iteratorINS6_10device_ptrIKiEEEESL_NS6_8equal_toIiEEEENSG_9not_fun_tINSD_8identityEEEEENSD_19counting_iterator_tIlEES8_S8_S8_S8_S8_S8_S8_S8_EEEEPS9_S9_NSD_9__find_if7functorIS9_EEEE10hipError_tPvRmT1_T2_T3_mT4_P12ihipStream_tbEUlT_E1_NS1_11comp_targetILNS1_3genE2ELNS1_11target_archE906ELNS1_3gpuE6ELNS1_3repE0EEENS1_30default_config_static_selectorELNS0_4arch9wavefront6targetE1EEEvS14_,comdat
.Lfunc_end499:
	.size	_ZN7rocprim17ROCPRIM_400000_NS6detail17trampoline_kernelINS0_14default_configENS1_22reduce_config_selectorIN6thrust23THRUST_200600_302600_NS5tupleIblNS6_9null_typeES8_S8_S8_S8_S8_S8_S8_EEEEZNS1_11reduce_implILb1ES3_NS6_12zip_iteratorINS7_INS6_11hip_rocprim26transform_input_iterator_tIbNSD_35transform_pair_of_input_iterators_tIbNS6_6detail15normal_iteratorINS6_10device_ptrIKiEEEESL_NS6_8equal_toIiEEEENSG_9not_fun_tINSD_8identityEEEEENSD_19counting_iterator_tIlEES8_S8_S8_S8_S8_S8_S8_S8_EEEEPS9_S9_NSD_9__find_if7functorIS9_EEEE10hipError_tPvRmT1_T2_T3_mT4_P12ihipStream_tbEUlT_E1_NS1_11comp_targetILNS1_3genE2ELNS1_11target_archE906ELNS1_3gpuE6ELNS1_3repE0EEENS1_30default_config_static_selectorELNS0_4arch9wavefront6targetE1EEEvS14_, .Lfunc_end499-_ZN7rocprim17ROCPRIM_400000_NS6detail17trampoline_kernelINS0_14default_configENS1_22reduce_config_selectorIN6thrust23THRUST_200600_302600_NS5tupleIblNS6_9null_typeES8_S8_S8_S8_S8_S8_S8_EEEEZNS1_11reduce_implILb1ES3_NS6_12zip_iteratorINS7_INS6_11hip_rocprim26transform_input_iterator_tIbNSD_35transform_pair_of_input_iterators_tIbNS6_6detail15normal_iteratorINS6_10device_ptrIKiEEEESL_NS6_8equal_toIiEEEENSG_9not_fun_tINSD_8identityEEEEENSD_19counting_iterator_tIlEES8_S8_S8_S8_S8_S8_S8_S8_EEEEPS9_S9_NSD_9__find_if7functorIS9_EEEE10hipError_tPvRmT1_T2_T3_mT4_P12ihipStream_tbEUlT_E1_NS1_11comp_targetILNS1_3genE2ELNS1_11target_archE906ELNS1_3gpuE6ELNS1_3repE0EEENS1_30default_config_static_selectorELNS0_4arch9wavefront6targetE1EEEvS14_
                                        ; -- End function
	.section	.AMDGPU.csdata,"",@progbits
; Kernel info:
; codeLenInByte = 0
; NumSgprs: 4
; NumVgprs: 0
; NumAgprs: 0
; TotalNumVgprs: 0
; ScratchSize: 0
; MemoryBound: 0
; FloatMode: 240
; IeeeMode: 1
; LDSByteSize: 0 bytes/workgroup (compile time only)
; SGPRBlocks: 0
; VGPRBlocks: 0
; NumSGPRsForWavesPerEU: 4
; NumVGPRsForWavesPerEU: 1
; AccumOffset: 4
; Occupancy: 8
; WaveLimiterHint : 0
; COMPUTE_PGM_RSRC2:SCRATCH_EN: 0
; COMPUTE_PGM_RSRC2:USER_SGPR: 6
; COMPUTE_PGM_RSRC2:TRAP_HANDLER: 0
; COMPUTE_PGM_RSRC2:TGID_X_EN: 1
; COMPUTE_PGM_RSRC2:TGID_Y_EN: 0
; COMPUTE_PGM_RSRC2:TGID_Z_EN: 0
; COMPUTE_PGM_RSRC2:TIDIG_COMP_CNT: 0
; COMPUTE_PGM_RSRC3_GFX90A:ACCUM_OFFSET: 0
; COMPUTE_PGM_RSRC3_GFX90A:TG_SPLIT: 0
	.section	.text._ZN7rocprim17ROCPRIM_400000_NS6detail17trampoline_kernelINS0_14default_configENS1_22reduce_config_selectorIN6thrust23THRUST_200600_302600_NS5tupleIblNS6_9null_typeES8_S8_S8_S8_S8_S8_S8_EEEEZNS1_11reduce_implILb1ES3_NS6_12zip_iteratorINS7_INS6_11hip_rocprim26transform_input_iterator_tIbNSD_35transform_pair_of_input_iterators_tIbNS6_6detail15normal_iteratorINS6_10device_ptrIKiEEEESL_NS6_8equal_toIiEEEENSG_9not_fun_tINSD_8identityEEEEENSD_19counting_iterator_tIlEES8_S8_S8_S8_S8_S8_S8_S8_EEEEPS9_S9_NSD_9__find_if7functorIS9_EEEE10hipError_tPvRmT1_T2_T3_mT4_P12ihipStream_tbEUlT_E1_NS1_11comp_targetILNS1_3genE10ELNS1_11target_archE1201ELNS1_3gpuE5ELNS1_3repE0EEENS1_30default_config_static_selectorELNS0_4arch9wavefront6targetE1EEEvS14_,"axG",@progbits,_ZN7rocprim17ROCPRIM_400000_NS6detail17trampoline_kernelINS0_14default_configENS1_22reduce_config_selectorIN6thrust23THRUST_200600_302600_NS5tupleIblNS6_9null_typeES8_S8_S8_S8_S8_S8_S8_EEEEZNS1_11reduce_implILb1ES3_NS6_12zip_iteratorINS7_INS6_11hip_rocprim26transform_input_iterator_tIbNSD_35transform_pair_of_input_iterators_tIbNS6_6detail15normal_iteratorINS6_10device_ptrIKiEEEESL_NS6_8equal_toIiEEEENSG_9not_fun_tINSD_8identityEEEEENSD_19counting_iterator_tIlEES8_S8_S8_S8_S8_S8_S8_S8_EEEEPS9_S9_NSD_9__find_if7functorIS9_EEEE10hipError_tPvRmT1_T2_T3_mT4_P12ihipStream_tbEUlT_E1_NS1_11comp_targetILNS1_3genE10ELNS1_11target_archE1201ELNS1_3gpuE5ELNS1_3repE0EEENS1_30default_config_static_selectorELNS0_4arch9wavefront6targetE1EEEvS14_,comdat
	.protected	_ZN7rocprim17ROCPRIM_400000_NS6detail17trampoline_kernelINS0_14default_configENS1_22reduce_config_selectorIN6thrust23THRUST_200600_302600_NS5tupleIblNS6_9null_typeES8_S8_S8_S8_S8_S8_S8_EEEEZNS1_11reduce_implILb1ES3_NS6_12zip_iteratorINS7_INS6_11hip_rocprim26transform_input_iterator_tIbNSD_35transform_pair_of_input_iterators_tIbNS6_6detail15normal_iteratorINS6_10device_ptrIKiEEEESL_NS6_8equal_toIiEEEENSG_9not_fun_tINSD_8identityEEEEENSD_19counting_iterator_tIlEES8_S8_S8_S8_S8_S8_S8_S8_EEEEPS9_S9_NSD_9__find_if7functorIS9_EEEE10hipError_tPvRmT1_T2_T3_mT4_P12ihipStream_tbEUlT_E1_NS1_11comp_targetILNS1_3genE10ELNS1_11target_archE1201ELNS1_3gpuE5ELNS1_3repE0EEENS1_30default_config_static_selectorELNS0_4arch9wavefront6targetE1EEEvS14_ ; -- Begin function _ZN7rocprim17ROCPRIM_400000_NS6detail17trampoline_kernelINS0_14default_configENS1_22reduce_config_selectorIN6thrust23THRUST_200600_302600_NS5tupleIblNS6_9null_typeES8_S8_S8_S8_S8_S8_S8_EEEEZNS1_11reduce_implILb1ES3_NS6_12zip_iteratorINS7_INS6_11hip_rocprim26transform_input_iterator_tIbNSD_35transform_pair_of_input_iterators_tIbNS6_6detail15normal_iteratorINS6_10device_ptrIKiEEEESL_NS6_8equal_toIiEEEENSG_9not_fun_tINSD_8identityEEEEENSD_19counting_iterator_tIlEES8_S8_S8_S8_S8_S8_S8_S8_EEEEPS9_S9_NSD_9__find_if7functorIS9_EEEE10hipError_tPvRmT1_T2_T3_mT4_P12ihipStream_tbEUlT_E1_NS1_11comp_targetILNS1_3genE10ELNS1_11target_archE1201ELNS1_3gpuE5ELNS1_3repE0EEENS1_30default_config_static_selectorELNS0_4arch9wavefront6targetE1EEEvS14_
	.globl	_ZN7rocprim17ROCPRIM_400000_NS6detail17trampoline_kernelINS0_14default_configENS1_22reduce_config_selectorIN6thrust23THRUST_200600_302600_NS5tupleIblNS6_9null_typeES8_S8_S8_S8_S8_S8_S8_EEEEZNS1_11reduce_implILb1ES3_NS6_12zip_iteratorINS7_INS6_11hip_rocprim26transform_input_iterator_tIbNSD_35transform_pair_of_input_iterators_tIbNS6_6detail15normal_iteratorINS6_10device_ptrIKiEEEESL_NS6_8equal_toIiEEEENSG_9not_fun_tINSD_8identityEEEEENSD_19counting_iterator_tIlEES8_S8_S8_S8_S8_S8_S8_S8_EEEEPS9_S9_NSD_9__find_if7functorIS9_EEEE10hipError_tPvRmT1_T2_T3_mT4_P12ihipStream_tbEUlT_E1_NS1_11comp_targetILNS1_3genE10ELNS1_11target_archE1201ELNS1_3gpuE5ELNS1_3repE0EEENS1_30default_config_static_selectorELNS0_4arch9wavefront6targetE1EEEvS14_
	.p2align	8
	.type	_ZN7rocprim17ROCPRIM_400000_NS6detail17trampoline_kernelINS0_14default_configENS1_22reduce_config_selectorIN6thrust23THRUST_200600_302600_NS5tupleIblNS6_9null_typeES8_S8_S8_S8_S8_S8_S8_EEEEZNS1_11reduce_implILb1ES3_NS6_12zip_iteratorINS7_INS6_11hip_rocprim26transform_input_iterator_tIbNSD_35transform_pair_of_input_iterators_tIbNS6_6detail15normal_iteratorINS6_10device_ptrIKiEEEESL_NS6_8equal_toIiEEEENSG_9not_fun_tINSD_8identityEEEEENSD_19counting_iterator_tIlEES8_S8_S8_S8_S8_S8_S8_S8_EEEEPS9_S9_NSD_9__find_if7functorIS9_EEEE10hipError_tPvRmT1_T2_T3_mT4_P12ihipStream_tbEUlT_E1_NS1_11comp_targetILNS1_3genE10ELNS1_11target_archE1201ELNS1_3gpuE5ELNS1_3repE0EEENS1_30default_config_static_selectorELNS0_4arch9wavefront6targetE1EEEvS14_,@function
_ZN7rocprim17ROCPRIM_400000_NS6detail17trampoline_kernelINS0_14default_configENS1_22reduce_config_selectorIN6thrust23THRUST_200600_302600_NS5tupleIblNS6_9null_typeES8_S8_S8_S8_S8_S8_S8_EEEEZNS1_11reduce_implILb1ES3_NS6_12zip_iteratorINS7_INS6_11hip_rocprim26transform_input_iterator_tIbNSD_35transform_pair_of_input_iterators_tIbNS6_6detail15normal_iteratorINS6_10device_ptrIKiEEEESL_NS6_8equal_toIiEEEENSG_9not_fun_tINSD_8identityEEEEENSD_19counting_iterator_tIlEES8_S8_S8_S8_S8_S8_S8_S8_EEEEPS9_S9_NSD_9__find_if7functorIS9_EEEE10hipError_tPvRmT1_T2_T3_mT4_P12ihipStream_tbEUlT_E1_NS1_11comp_targetILNS1_3genE10ELNS1_11target_archE1201ELNS1_3gpuE5ELNS1_3repE0EEENS1_30default_config_static_selectorELNS0_4arch9wavefront6targetE1EEEvS14_: ; @_ZN7rocprim17ROCPRIM_400000_NS6detail17trampoline_kernelINS0_14default_configENS1_22reduce_config_selectorIN6thrust23THRUST_200600_302600_NS5tupleIblNS6_9null_typeES8_S8_S8_S8_S8_S8_S8_EEEEZNS1_11reduce_implILb1ES3_NS6_12zip_iteratorINS7_INS6_11hip_rocprim26transform_input_iterator_tIbNSD_35transform_pair_of_input_iterators_tIbNS6_6detail15normal_iteratorINS6_10device_ptrIKiEEEESL_NS6_8equal_toIiEEEENSG_9not_fun_tINSD_8identityEEEEENSD_19counting_iterator_tIlEES8_S8_S8_S8_S8_S8_S8_S8_EEEEPS9_S9_NSD_9__find_if7functorIS9_EEEE10hipError_tPvRmT1_T2_T3_mT4_P12ihipStream_tbEUlT_E1_NS1_11comp_targetILNS1_3genE10ELNS1_11target_archE1201ELNS1_3gpuE5ELNS1_3repE0EEENS1_30default_config_static_selectorELNS0_4arch9wavefront6targetE1EEEvS14_
; %bb.0:
	.section	.rodata,"a",@progbits
	.p2align	6, 0x0
	.amdhsa_kernel _ZN7rocprim17ROCPRIM_400000_NS6detail17trampoline_kernelINS0_14default_configENS1_22reduce_config_selectorIN6thrust23THRUST_200600_302600_NS5tupleIblNS6_9null_typeES8_S8_S8_S8_S8_S8_S8_EEEEZNS1_11reduce_implILb1ES3_NS6_12zip_iteratorINS7_INS6_11hip_rocprim26transform_input_iterator_tIbNSD_35transform_pair_of_input_iterators_tIbNS6_6detail15normal_iteratorINS6_10device_ptrIKiEEEESL_NS6_8equal_toIiEEEENSG_9not_fun_tINSD_8identityEEEEENSD_19counting_iterator_tIlEES8_S8_S8_S8_S8_S8_S8_S8_EEEEPS9_S9_NSD_9__find_if7functorIS9_EEEE10hipError_tPvRmT1_T2_T3_mT4_P12ihipStream_tbEUlT_E1_NS1_11comp_targetILNS1_3genE10ELNS1_11target_archE1201ELNS1_3gpuE5ELNS1_3repE0EEENS1_30default_config_static_selectorELNS0_4arch9wavefront6targetE1EEEvS14_
		.amdhsa_group_segment_fixed_size 0
		.amdhsa_private_segment_fixed_size 0
		.amdhsa_kernarg_size 88
		.amdhsa_user_sgpr_count 6
		.amdhsa_user_sgpr_private_segment_buffer 1
		.amdhsa_user_sgpr_dispatch_ptr 0
		.amdhsa_user_sgpr_queue_ptr 0
		.amdhsa_user_sgpr_kernarg_segment_ptr 1
		.amdhsa_user_sgpr_dispatch_id 0
		.amdhsa_user_sgpr_flat_scratch_init 0
		.amdhsa_user_sgpr_kernarg_preload_length 0
		.amdhsa_user_sgpr_kernarg_preload_offset 0
		.amdhsa_user_sgpr_private_segment_size 0
		.amdhsa_uses_dynamic_stack 0
		.amdhsa_system_sgpr_private_segment_wavefront_offset 0
		.amdhsa_system_sgpr_workgroup_id_x 1
		.amdhsa_system_sgpr_workgroup_id_y 0
		.amdhsa_system_sgpr_workgroup_id_z 0
		.amdhsa_system_sgpr_workgroup_info 0
		.amdhsa_system_vgpr_workitem_id 0
		.amdhsa_next_free_vgpr 1
		.amdhsa_next_free_sgpr 0
		.amdhsa_accum_offset 4
		.amdhsa_reserve_vcc 0
		.amdhsa_reserve_flat_scratch 0
		.amdhsa_float_round_mode_32 0
		.amdhsa_float_round_mode_16_64 0
		.amdhsa_float_denorm_mode_32 3
		.amdhsa_float_denorm_mode_16_64 3
		.amdhsa_dx10_clamp 1
		.amdhsa_ieee_mode 1
		.amdhsa_fp16_overflow 0
		.amdhsa_tg_split 0
		.amdhsa_exception_fp_ieee_invalid_op 0
		.amdhsa_exception_fp_denorm_src 0
		.amdhsa_exception_fp_ieee_div_zero 0
		.amdhsa_exception_fp_ieee_overflow 0
		.amdhsa_exception_fp_ieee_underflow 0
		.amdhsa_exception_fp_ieee_inexact 0
		.amdhsa_exception_int_div_zero 0
	.end_amdhsa_kernel
	.section	.text._ZN7rocprim17ROCPRIM_400000_NS6detail17trampoline_kernelINS0_14default_configENS1_22reduce_config_selectorIN6thrust23THRUST_200600_302600_NS5tupleIblNS6_9null_typeES8_S8_S8_S8_S8_S8_S8_EEEEZNS1_11reduce_implILb1ES3_NS6_12zip_iteratorINS7_INS6_11hip_rocprim26transform_input_iterator_tIbNSD_35transform_pair_of_input_iterators_tIbNS6_6detail15normal_iteratorINS6_10device_ptrIKiEEEESL_NS6_8equal_toIiEEEENSG_9not_fun_tINSD_8identityEEEEENSD_19counting_iterator_tIlEES8_S8_S8_S8_S8_S8_S8_S8_EEEEPS9_S9_NSD_9__find_if7functorIS9_EEEE10hipError_tPvRmT1_T2_T3_mT4_P12ihipStream_tbEUlT_E1_NS1_11comp_targetILNS1_3genE10ELNS1_11target_archE1201ELNS1_3gpuE5ELNS1_3repE0EEENS1_30default_config_static_selectorELNS0_4arch9wavefront6targetE1EEEvS14_,"axG",@progbits,_ZN7rocprim17ROCPRIM_400000_NS6detail17trampoline_kernelINS0_14default_configENS1_22reduce_config_selectorIN6thrust23THRUST_200600_302600_NS5tupleIblNS6_9null_typeES8_S8_S8_S8_S8_S8_S8_EEEEZNS1_11reduce_implILb1ES3_NS6_12zip_iteratorINS7_INS6_11hip_rocprim26transform_input_iterator_tIbNSD_35transform_pair_of_input_iterators_tIbNS6_6detail15normal_iteratorINS6_10device_ptrIKiEEEESL_NS6_8equal_toIiEEEENSG_9not_fun_tINSD_8identityEEEEENSD_19counting_iterator_tIlEES8_S8_S8_S8_S8_S8_S8_S8_EEEEPS9_S9_NSD_9__find_if7functorIS9_EEEE10hipError_tPvRmT1_T2_T3_mT4_P12ihipStream_tbEUlT_E1_NS1_11comp_targetILNS1_3genE10ELNS1_11target_archE1201ELNS1_3gpuE5ELNS1_3repE0EEENS1_30default_config_static_selectorELNS0_4arch9wavefront6targetE1EEEvS14_,comdat
.Lfunc_end500:
	.size	_ZN7rocprim17ROCPRIM_400000_NS6detail17trampoline_kernelINS0_14default_configENS1_22reduce_config_selectorIN6thrust23THRUST_200600_302600_NS5tupleIblNS6_9null_typeES8_S8_S8_S8_S8_S8_S8_EEEEZNS1_11reduce_implILb1ES3_NS6_12zip_iteratorINS7_INS6_11hip_rocprim26transform_input_iterator_tIbNSD_35transform_pair_of_input_iterators_tIbNS6_6detail15normal_iteratorINS6_10device_ptrIKiEEEESL_NS6_8equal_toIiEEEENSG_9not_fun_tINSD_8identityEEEEENSD_19counting_iterator_tIlEES8_S8_S8_S8_S8_S8_S8_S8_EEEEPS9_S9_NSD_9__find_if7functorIS9_EEEE10hipError_tPvRmT1_T2_T3_mT4_P12ihipStream_tbEUlT_E1_NS1_11comp_targetILNS1_3genE10ELNS1_11target_archE1201ELNS1_3gpuE5ELNS1_3repE0EEENS1_30default_config_static_selectorELNS0_4arch9wavefront6targetE1EEEvS14_, .Lfunc_end500-_ZN7rocprim17ROCPRIM_400000_NS6detail17trampoline_kernelINS0_14default_configENS1_22reduce_config_selectorIN6thrust23THRUST_200600_302600_NS5tupleIblNS6_9null_typeES8_S8_S8_S8_S8_S8_S8_EEEEZNS1_11reduce_implILb1ES3_NS6_12zip_iteratorINS7_INS6_11hip_rocprim26transform_input_iterator_tIbNSD_35transform_pair_of_input_iterators_tIbNS6_6detail15normal_iteratorINS6_10device_ptrIKiEEEESL_NS6_8equal_toIiEEEENSG_9not_fun_tINSD_8identityEEEEENSD_19counting_iterator_tIlEES8_S8_S8_S8_S8_S8_S8_S8_EEEEPS9_S9_NSD_9__find_if7functorIS9_EEEE10hipError_tPvRmT1_T2_T3_mT4_P12ihipStream_tbEUlT_E1_NS1_11comp_targetILNS1_3genE10ELNS1_11target_archE1201ELNS1_3gpuE5ELNS1_3repE0EEENS1_30default_config_static_selectorELNS0_4arch9wavefront6targetE1EEEvS14_
                                        ; -- End function
	.section	.AMDGPU.csdata,"",@progbits
; Kernel info:
; codeLenInByte = 0
; NumSgprs: 4
; NumVgprs: 0
; NumAgprs: 0
; TotalNumVgprs: 0
; ScratchSize: 0
; MemoryBound: 0
; FloatMode: 240
; IeeeMode: 1
; LDSByteSize: 0 bytes/workgroup (compile time only)
; SGPRBlocks: 0
; VGPRBlocks: 0
; NumSGPRsForWavesPerEU: 4
; NumVGPRsForWavesPerEU: 1
; AccumOffset: 4
; Occupancy: 8
; WaveLimiterHint : 0
; COMPUTE_PGM_RSRC2:SCRATCH_EN: 0
; COMPUTE_PGM_RSRC2:USER_SGPR: 6
; COMPUTE_PGM_RSRC2:TRAP_HANDLER: 0
; COMPUTE_PGM_RSRC2:TGID_X_EN: 1
; COMPUTE_PGM_RSRC2:TGID_Y_EN: 0
; COMPUTE_PGM_RSRC2:TGID_Z_EN: 0
; COMPUTE_PGM_RSRC2:TIDIG_COMP_CNT: 0
; COMPUTE_PGM_RSRC3_GFX90A:ACCUM_OFFSET: 0
; COMPUTE_PGM_RSRC3_GFX90A:TG_SPLIT: 0
	.section	.text._ZN7rocprim17ROCPRIM_400000_NS6detail17trampoline_kernelINS0_14default_configENS1_22reduce_config_selectorIN6thrust23THRUST_200600_302600_NS5tupleIblNS6_9null_typeES8_S8_S8_S8_S8_S8_S8_EEEEZNS1_11reduce_implILb1ES3_NS6_12zip_iteratorINS7_INS6_11hip_rocprim26transform_input_iterator_tIbNSD_35transform_pair_of_input_iterators_tIbNS6_6detail15normal_iteratorINS6_10device_ptrIKiEEEESL_NS6_8equal_toIiEEEENSG_9not_fun_tINSD_8identityEEEEENSD_19counting_iterator_tIlEES8_S8_S8_S8_S8_S8_S8_S8_EEEEPS9_S9_NSD_9__find_if7functorIS9_EEEE10hipError_tPvRmT1_T2_T3_mT4_P12ihipStream_tbEUlT_E1_NS1_11comp_targetILNS1_3genE10ELNS1_11target_archE1200ELNS1_3gpuE4ELNS1_3repE0EEENS1_30default_config_static_selectorELNS0_4arch9wavefront6targetE1EEEvS14_,"axG",@progbits,_ZN7rocprim17ROCPRIM_400000_NS6detail17trampoline_kernelINS0_14default_configENS1_22reduce_config_selectorIN6thrust23THRUST_200600_302600_NS5tupleIblNS6_9null_typeES8_S8_S8_S8_S8_S8_S8_EEEEZNS1_11reduce_implILb1ES3_NS6_12zip_iteratorINS7_INS6_11hip_rocprim26transform_input_iterator_tIbNSD_35transform_pair_of_input_iterators_tIbNS6_6detail15normal_iteratorINS6_10device_ptrIKiEEEESL_NS6_8equal_toIiEEEENSG_9not_fun_tINSD_8identityEEEEENSD_19counting_iterator_tIlEES8_S8_S8_S8_S8_S8_S8_S8_EEEEPS9_S9_NSD_9__find_if7functorIS9_EEEE10hipError_tPvRmT1_T2_T3_mT4_P12ihipStream_tbEUlT_E1_NS1_11comp_targetILNS1_3genE10ELNS1_11target_archE1200ELNS1_3gpuE4ELNS1_3repE0EEENS1_30default_config_static_selectorELNS0_4arch9wavefront6targetE1EEEvS14_,comdat
	.protected	_ZN7rocprim17ROCPRIM_400000_NS6detail17trampoline_kernelINS0_14default_configENS1_22reduce_config_selectorIN6thrust23THRUST_200600_302600_NS5tupleIblNS6_9null_typeES8_S8_S8_S8_S8_S8_S8_EEEEZNS1_11reduce_implILb1ES3_NS6_12zip_iteratorINS7_INS6_11hip_rocprim26transform_input_iterator_tIbNSD_35transform_pair_of_input_iterators_tIbNS6_6detail15normal_iteratorINS6_10device_ptrIKiEEEESL_NS6_8equal_toIiEEEENSG_9not_fun_tINSD_8identityEEEEENSD_19counting_iterator_tIlEES8_S8_S8_S8_S8_S8_S8_S8_EEEEPS9_S9_NSD_9__find_if7functorIS9_EEEE10hipError_tPvRmT1_T2_T3_mT4_P12ihipStream_tbEUlT_E1_NS1_11comp_targetILNS1_3genE10ELNS1_11target_archE1200ELNS1_3gpuE4ELNS1_3repE0EEENS1_30default_config_static_selectorELNS0_4arch9wavefront6targetE1EEEvS14_ ; -- Begin function _ZN7rocprim17ROCPRIM_400000_NS6detail17trampoline_kernelINS0_14default_configENS1_22reduce_config_selectorIN6thrust23THRUST_200600_302600_NS5tupleIblNS6_9null_typeES8_S8_S8_S8_S8_S8_S8_EEEEZNS1_11reduce_implILb1ES3_NS6_12zip_iteratorINS7_INS6_11hip_rocprim26transform_input_iterator_tIbNSD_35transform_pair_of_input_iterators_tIbNS6_6detail15normal_iteratorINS6_10device_ptrIKiEEEESL_NS6_8equal_toIiEEEENSG_9not_fun_tINSD_8identityEEEEENSD_19counting_iterator_tIlEES8_S8_S8_S8_S8_S8_S8_S8_EEEEPS9_S9_NSD_9__find_if7functorIS9_EEEE10hipError_tPvRmT1_T2_T3_mT4_P12ihipStream_tbEUlT_E1_NS1_11comp_targetILNS1_3genE10ELNS1_11target_archE1200ELNS1_3gpuE4ELNS1_3repE0EEENS1_30default_config_static_selectorELNS0_4arch9wavefront6targetE1EEEvS14_
	.globl	_ZN7rocprim17ROCPRIM_400000_NS6detail17trampoline_kernelINS0_14default_configENS1_22reduce_config_selectorIN6thrust23THRUST_200600_302600_NS5tupleIblNS6_9null_typeES8_S8_S8_S8_S8_S8_S8_EEEEZNS1_11reduce_implILb1ES3_NS6_12zip_iteratorINS7_INS6_11hip_rocprim26transform_input_iterator_tIbNSD_35transform_pair_of_input_iterators_tIbNS6_6detail15normal_iteratorINS6_10device_ptrIKiEEEESL_NS6_8equal_toIiEEEENSG_9not_fun_tINSD_8identityEEEEENSD_19counting_iterator_tIlEES8_S8_S8_S8_S8_S8_S8_S8_EEEEPS9_S9_NSD_9__find_if7functorIS9_EEEE10hipError_tPvRmT1_T2_T3_mT4_P12ihipStream_tbEUlT_E1_NS1_11comp_targetILNS1_3genE10ELNS1_11target_archE1200ELNS1_3gpuE4ELNS1_3repE0EEENS1_30default_config_static_selectorELNS0_4arch9wavefront6targetE1EEEvS14_
	.p2align	8
	.type	_ZN7rocprim17ROCPRIM_400000_NS6detail17trampoline_kernelINS0_14default_configENS1_22reduce_config_selectorIN6thrust23THRUST_200600_302600_NS5tupleIblNS6_9null_typeES8_S8_S8_S8_S8_S8_S8_EEEEZNS1_11reduce_implILb1ES3_NS6_12zip_iteratorINS7_INS6_11hip_rocprim26transform_input_iterator_tIbNSD_35transform_pair_of_input_iterators_tIbNS6_6detail15normal_iteratorINS6_10device_ptrIKiEEEESL_NS6_8equal_toIiEEEENSG_9not_fun_tINSD_8identityEEEEENSD_19counting_iterator_tIlEES8_S8_S8_S8_S8_S8_S8_S8_EEEEPS9_S9_NSD_9__find_if7functorIS9_EEEE10hipError_tPvRmT1_T2_T3_mT4_P12ihipStream_tbEUlT_E1_NS1_11comp_targetILNS1_3genE10ELNS1_11target_archE1200ELNS1_3gpuE4ELNS1_3repE0EEENS1_30default_config_static_selectorELNS0_4arch9wavefront6targetE1EEEvS14_,@function
_ZN7rocprim17ROCPRIM_400000_NS6detail17trampoline_kernelINS0_14default_configENS1_22reduce_config_selectorIN6thrust23THRUST_200600_302600_NS5tupleIblNS6_9null_typeES8_S8_S8_S8_S8_S8_S8_EEEEZNS1_11reduce_implILb1ES3_NS6_12zip_iteratorINS7_INS6_11hip_rocprim26transform_input_iterator_tIbNSD_35transform_pair_of_input_iterators_tIbNS6_6detail15normal_iteratorINS6_10device_ptrIKiEEEESL_NS6_8equal_toIiEEEENSG_9not_fun_tINSD_8identityEEEEENSD_19counting_iterator_tIlEES8_S8_S8_S8_S8_S8_S8_S8_EEEEPS9_S9_NSD_9__find_if7functorIS9_EEEE10hipError_tPvRmT1_T2_T3_mT4_P12ihipStream_tbEUlT_E1_NS1_11comp_targetILNS1_3genE10ELNS1_11target_archE1200ELNS1_3gpuE4ELNS1_3repE0EEENS1_30default_config_static_selectorELNS0_4arch9wavefront6targetE1EEEvS14_: ; @_ZN7rocprim17ROCPRIM_400000_NS6detail17trampoline_kernelINS0_14default_configENS1_22reduce_config_selectorIN6thrust23THRUST_200600_302600_NS5tupleIblNS6_9null_typeES8_S8_S8_S8_S8_S8_S8_EEEEZNS1_11reduce_implILb1ES3_NS6_12zip_iteratorINS7_INS6_11hip_rocprim26transform_input_iterator_tIbNSD_35transform_pair_of_input_iterators_tIbNS6_6detail15normal_iteratorINS6_10device_ptrIKiEEEESL_NS6_8equal_toIiEEEENSG_9not_fun_tINSD_8identityEEEEENSD_19counting_iterator_tIlEES8_S8_S8_S8_S8_S8_S8_S8_EEEEPS9_S9_NSD_9__find_if7functorIS9_EEEE10hipError_tPvRmT1_T2_T3_mT4_P12ihipStream_tbEUlT_E1_NS1_11comp_targetILNS1_3genE10ELNS1_11target_archE1200ELNS1_3gpuE4ELNS1_3repE0EEENS1_30default_config_static_selectorELNS0_4arch9wavefront6targetE1EEEvS14_
; %bb.0:
	.section	.rodata,"a",@progbits
	.p2align	6, 0x0
	.amdhsa_kernel _ZN7rocprim17ROCPRIM_400000_NS6detail17trampoline_kernelINS0_14default_configENS1_22reduce_config_selectorIN6thrust23THRUST_200600_302600_NS5tupleIblNS6_9null_typeES8_S8_S8_S8_S8_S8_S8_EEEEZNS1_11reduce_implILb1ES3_NS6_12zip_iteratorINS7_INS6_11hip_rocprim26transform_input_iterator_tIbNSD_35transform_pair_of_input_iterators_tIbNS6_6detail15normal_iteratorINS6_10device_ptrIKiEEEESL_NS6_8equal_toIiEEEENSG_9not_fun_tINSD_8identityEEEEENSD_19counting_iterator_tIlEES8_S8_S8_S8_S8_S8_S8_S8_EEEEPS9_S9_NSD_9__find_if7functorIS9_EEEE10hipError_tPvRmT1_T2_T3_mT4_P12ihipStream_tbEUlT_E1_NS1_11comp_targetILNS1_3genE10ELNS1_11target_archE1200ELNS1_3gpuE4ELNS1_3repE0EEENS1_30default_config_static_selectorELNS0_4arch9wavefront6targetE1EEEvS14_
		.amdhsa_group_segment_fixed_size 0
		.amdhsa_private_segment_fixed_size 0
		.amdhsa_kernarg_size 88
		.amdhsa_user_sgpr_count 6
		.amdhsa_user_sgpr_private_segment_buffer 1
		.amdhsa_user_sgpr_dispatch_ptr 0
		.amdhsa_user_sgpr_queue_ptr 0
		.amdhsa_user_sgpr_kernarg_segment_ptr 1
		.amdhsa_user_sgpr_dispatch_id 0
		.amdhsa_user_sgpr_flat_scratch_init 0
		.amdhsa_user_sgpr_kernarg_preload_length 0
		.amdhsa_user_sgpr_kernarg_preload_offset 0
		.amdhsa_user_sgpr_private_segment_size 0
		.amdhsa_uses_dynamic_stack 0
		.amdhsa_system_sgpr_private_segment_wavefront_offset 0
		.amdhsa_system_sgpr_workgroup_id_x 1
		.amdhsa_system_sgpr_workgroup_id_y 0
		.amdhsa_system_sgpr_workgroup_id_z 0
		.amdhsa_system_sgpr_workgroup_info 0
		.amdhsa_system_vgpr_workitem_id 0
		.amdhsa_next_free_vgpr 1
		.amdhsa_next_free_sgpr 0
		.amdhsa_accum_offset 4
		.amdhsa_reserve_vcc 0
		.amdhsa_reserve_flat_scratch 0
		.amdhsa_float_round_mode_32 0
		.amdhsa_float_round_mode_16_64 0
		.amdhsa_float_denorm_mode_32 3
		.amdhsa_float_denorm_mode_16_64 3
		.amdhsa_dx10_clamp 1
		.amdhsa_ieee_mode 1
		.amdhsa_fp16_overflow 0
		.amdhsa_tg_split 0
		.amdhsa_exception_fp_ieee_invalid_op 0
		.amdhsa_exception_fp_denorm_src 0
		.amdhsa_exception_fp_ieee_div_zero 0
		.amdhsa_exception_fp_ieee_overflow 0
		.amdhsa_exception_fp_ieee_underflow 0
		.amdhsa_exception_fp_ieee_inexact 0
		.amdhsa_exception_int_div_zero 0
	.end_amdhsa_kernel
	.section	.text._ZN7rocprim17ROCPRIM_400000_NS6detail17trampoline_kernelINS0_14default_configENS1_22reduce_config_selectorIN6thrust23THRUST_200600_302600_NS5tupleIblNS6_9null_typeES8_S8_S8_S8_S8_S8_S8_EEEEZNS1_11reduce_implILb1ES3_NS6_12zip_iteratorINS7_INS6_11hip_rocprim26transform_input_iterator_tIbNSD_35transform_pair_of_input_iterators_tIbNS6_6detail15normal_iteratorINS6_10device_ptrIKiEEEESL_NS6_8equal_toIiEEEENSG_9not_fun_tINSD_8identityEEEEENSD_19counting_iterator_tIlEES8_S8_S8_S8_S8_S8_S8_S8_EEEEPS9_S9_NSD_9__find_if7functorIS9_EEEE10hipError_tPvRmT1_T2_T3_mT4_P12ihipStream_tbEUlT_E1_NS1_11comp_targetILNS1_3genE10ELNS1_11target_archE1200ELNS1_3gpuE4ELNS1_3repE0EEENS1_30default_config_static_selectorELNS0_4arch9wavefront6targetE1EEEvS14_,"axG",@progbits,_ZN7rocprim17ROCPRIM_400000_NS6detail17trampoline_kernelINS0_14default_configENS1_22reduce_config_selectorIN6thrust23THRUST_200600_302600_NS5tupleIblNS6_9null_typeES8_S8_S8_S8_S8_S8_S8_EEEEZNS1_11reduce_implILb1ES3_NS6_12zip_iteratorINS7_INS6_11hip_rocprim26transform_input_iterator_tIbNSD_35transform_pair_of_input_iterators_tIbNS6_6detail15normal_iteratorINS6_10device_ptrIKiEEEESL_NS6_8equal_toIiEEEENSG_9not_fun_tINSD_8identityEEEEENSD_19counting_iterator_tIlEES8_S8_S8_S8_S8_S8_S8_S8_EEEEPS9_S9_NSD_9__find_if7functorIS9_EEEE10hipError_tPvRmT1_T2_T3_mT4_P12ihipStream_tbEUlT_E1_NS1_11comp_targetILNS1_3genE10ELNS1_11target_archE1200ELNS1_3gpuE4ELNS1_3repE0EEENS1_30default_config_static_selectorELNS0_4arch9wavefront6targetE1EEEvS14_,comdat
.Lfunc_end501:
	.size	_ZN7rocprim17ROCPRIM_400000_NS6detail17trampoline_kernelINS0_14default_configENS1_22reduce_config_selectorIN6thrust23THRUST_200600_302600_NS5tupleIblNS6_9null_typeES8_S8_S8_S8_S8_S8_S8_EEEEZNS1_11reduce_implILb1ES3_NS6_12zip_iteratorINS7_INS6_11hip_rocprim26transform_input_iterator_tIbNSD_35transform_pair_of_input_iterators_tIbNS6_6detail15normal_iteratorINS6_10device_ptrIKiEEEESL_NS6_8equal_toIiEEEENSG_9not_fun_tINSD_8identityEEEEENSD_19counting_iterator_tIlEES8_S8_S8_S8_S8_S8_S8_S8_EEEEPS9_S9_NSD_9__find_if7functorIS9_EEEE10hipError_tPvRmT1_T2_T3_mT4_P12ihipStream_tbEUlT_E1_NS1_11comp_targetILNS1_3genE10ELNS1_11target_archE1200ELNS1_3gpuE4ELNS1_3repE0EEENS1_30default_config_static_selectorELNS0_4arch9wavefront6targetE1EEEvS14_, .Lfunc_end501-_ZN7rocprim17ROCPRIM_400000_NS6detail17trampoline_kernelINS0_14default_configENS1_22reduce_config_selectorIN6thrust23THRUST_200600_302600_NS5tupleIblNS6_9null_typeES8_S8_S8_S8_S8_S8_S8_EEEEZNS1_11reduce_implILb1ES3_NS6_12zip_iteratorINS7_INS6_11hip_rocprim26transform_input_iterator_tIbNSD_35transform_pair_of_input_iterators_tIbNS6_6detail15normal_iteratorINS6_10device_ptrIKiEEEESL_NS6_8equal_toIiEEEENSG_9not_fun_tINSD_8identityEEEEENSD_19counting_iterator_tIlEES8_S8_S8_S8_S8_S8_S8_S8_EEEEPS9_S9_NSD_9__find_if7functorIS9_EEEE10hipError_tPvRmT1_T2_T3_mT4_P12ihipStream_tbEUlT_E1_NS1_11comp_targetILNS1_3genE10ELNS1_11target_archE1200ELNS1_3gpuE4ELNS1_3repE0EEENS1_30default_config_static_selectorELNS0_4arch9wavefront6targetE1EEEvS14_
                                        ; -- End function
	.section	.AMDGPU.csdata,"",@progbits
; Kernel info:
; codeLenInByte = 0
; NumSgprs: 4
; NumVgprs: 0
; NumAgprs: 0
; TotalNumVgprs: 0
; ScratchSize: 0
; MemoryBound: 0
; FloatMode: 240
; IeeeMode: 1
; LDSByteSize: 0 bytes/workgroup (compile time only)
; SGPRBlocks: 0
; VGPRBlocks: 0
; NumSGPRsForWavesPerEU: 4
; NumVGPRsForWavesPerEU: 1
; AccumOffset: 4
; Occupancy: 8
; WaveLimiterHint : 0
; COMPUTE_PGM_RSRC2:SCRATCH_EN: 0
; COMPUTE_PGM_RSRC2:USER_SGPR: 6
; COMPUTE_PGM_RSRC2:TRAP_HANDLER: 0
; COMPUTE_PGM_RSRC2:TGID_X_EN: 1
; COMPUTE_PGM_RSRC2:TGID_Y_EN: 0
; COMPUTE_PGM_RSRC2:TGID_Z_EN: 0
; COMPUTE_PGM_RSRC2:TIDIG_COMP_CNT: 0
; COMPUTE_PGM_RSRC3_GFX90A:ACCUM_OFFSET: 0
; COMPUTE_PGM_RSRC3_GFX90A:TG_SPLIT: 0
	.section	.text._ZN7rocprim17ROCPRIM_400000_NS6detail17trampoline_kernelINS0_14default_configENS1_22reduce_config_selectorIN6thrust23THRUST_200600_302600_NS5tupleIblNS6_9null_typeES8_S8_S8_S8_S8_S8_S8_EEEEZNS1_11reduce_implILb1ES3_NS6_12zip_iteratorINS7_INS6_11hip_rocprim26transform_input_iterator_tIbNSD_35transform_pair_of_input_iterators_tIbNS6_6detail15normal_iteratorINS6_10device_ptrIKiEEEESL_NS6_8equal_toIiEEEENSG_9not_fun_tINSD_8identityEEEEENSD_19counting_iterator_tIlEES8_S8_S8_S8_S8_S8_S8_S8_EEEEPS9_S9_NSD_9__find_if7functorIS9_EEEE10hipError_tPvRmT1_T2_T3_mT4_P12ihipStream_tbEUlT_E1_NS1_11comp_targetILNS1_3genE9ELNS1_11target_archE1100ELNS1_3gpuE3ELNS1_3repE0EEENS1_30default_config_static_selectorELNS0_4arch9wavefront6targetE1EEEvS14_,"axG",@progbits,_ZN7rocprim17ROCPRIM_400000_NS6detail17trampoline_kernelINS0_14default_configENS1_22reduce_config_selectorIN6thrust23THRUST_200600_302600_NS5tupleIblNS6_9null_typeES8_S8_S8_S8_S8_S8_S8_EEEEZNS1_11reduce_implILb1ES3_NS6_12zip_iteratorINS7_INS6_11hip_rocprim26transform_input_iterator_tIbNSD_35transform_pair_of_input_iterators_tIbNS6_6detail15normal_iteratorINS6_10device_ptrIKiEEEESL_NS6_8equal_toIiEEEENSG_9not_fun_tINSD_8identityEEEEENSD_19counting_iterator_tIlEES8_S8_S8_S8_S8_S8_S8_S8_EEEEPS9_S9_NSD_9__find_if7functorIS9_EEEE10hipError_tPvRmT1_T2_T3_mT4_P12ihipStream_tbEUlT_E1_NS1_11comp_targetILNS1_3genE9ELNS1_11target_archE1100ELNS1_3gpuE3ELNS1_3repE0EEENS1_30default_config_static_selectorELNS0_4arch9wavefront6targetE1EEEvS14_,comdat
	.protected	_ZN7rocprim17ROCPRIM_400000_NS6detail17trampoline_kernelINS0_14default_configENS1_22reduce_config_selectorIN6thrust23THRUST_200600_302600_NS5tupleIblNS6_9null_typeES8_S8_S8_S8_S8_S8_S8_EEEEZNS1_11reduce_implILb1ES3_NS6_12zip_iteratorINS7_INS6_11hip_rocprim26transform_input_iterator_tIbNSD_35transform_pair_of_input_iterators_tIbNS6_6detail15normal_iteratorINS6_10device_ptrIKiEEEESL_NS6_8equal_toIiEEEENSG_9not_fun_tINSD_8identityEEEEENSD_19counting_iterator_tIlEES8_S8_S8_S8_S8_S8_S8_S8_EEEEPS9_S9_NSD_9__find_if7functorIS9_EEEE10hipError_tPvRmT1_T2_T3_mT4_P12ihipStream_tbEUlT_E1_NS1_11comp_targetILNS1_3genE9ELNS1_11target_archE1100ELNS1_3gpuE3ELNS1_3repE0EEENS1_30default_config_static_selectorELNS0_4arch9wavefront6targetE1EEEvS14_ ; -- Begin function _ZN7rocprim17ROCPRIM_400000_NS6detail17trampoline_kernelINS0_14default_configENS1_22reduce_config_selectorIN6thrust23THRUST_200600_302600_NS5tupleIblNS6_9null_typeES8_S8_S8_S8_S8_S8_S8_EEEEZNS1_11reduce_implILb1ES3_NS6_12zip_iteratorINS7_INS6_11hip_rocprim26transform_input_iterator_tIbNSD_35transform_pair_of_input_iterators_tIbNS6_6detail15normal_iteratorINS6_10device_ptrIKiEEEESL_NS6_8equal_toIiEEEENSG_9not_fun_tINSD_8identityEEEEENSD_19counting_iterator_tIlEES8_S8_S8_S8_S8_S8_S8_S8_EEEEPS9_S9_NSD_9__find_if7functorIS9_EEEE10hipError_tPvRmT1_T2_T3_mT4_P12ihipStream_tbEUlT_E1_NS1_11comp_targetILNS1_3genE9ELNS1_11target_archE1100ELNS1_3gpuE3ELNS1_3repE0EEENS1_30default_config_static_selectorELNS0_4arch9wavefront6targetE1EEEvS14_
	.globl	_ZN7rocprim17ROCPRIM_400000_NS6detail17trampoline_kernelINS0_14default_configENS1_22reduce_config_selectorIN6thrust23THRUST_200600_302600_NS5tupleIblNS6_9null_typeES8_S8_S8_S8_S8_S8_S8_EEEEZNS1_11reduce_implILb1ES3_NS6_12zip_iteratorINS7_INS6_11hip_rocprim26transform_input_iterator_tIbNSD_35transform_pair_of_input_iterators_tIbNS6_6detail15normal_iteratorINS6_10device_ptrIKiEEEESL_NS6_8equal_toIiEEEENSG_9not_fun_tINSD_8identityEEEEENSD_19counting_iterator_tIlEES8_S8_S8_S8_S8_S8_S8_S8_EEEEPS9_S9_NSD_9__find_if7functorIS9_EEEE10hipError_tPvRmT1_T2_T3_mT4_P12ihipStream_tbEUlT_E1_NS1_11comp_targetILNS1_3genE9ELNS1_11target_archE1100ELNS1_3gpuE3ELNS1_3repE0EEENS1_30default_config_static_selectorELNS0_4arch9wavefront6targetE1EEEvS14_
	.p2align	8
	.type	_ZN7rocprim17ROCPRIM_400000_NS6detail17trampoline_kernelINS0_14default_configENS1_22reduce_config_selectorIN6thrust23THRUST_200600_302600_NS5tupleIblNS6_9null_typeES8_S8_S8_S8_S8_S8_S8_EEEEZNS1_11reduce_implILb1ES3_NS6_12zip_iteratorINS7_INS6_11hip_rocprim26transform_input_iterator_tIbNSD_35transform_pair_of_input_iterators_tIbNS6_6detail15normal_iteratorINS6_10device_ptrIKiEEEESL_NS6_8equal_toIiEEEENSG_9not_fun_tINSD_8identityEEEEENSD_19counting_iterator_tIlEES8_S8_S8_S8_S8_S8_S8_S8_EEEEPS9_S9_NSD_9__find_if7functorIS9_EEEE10hipError_tPvRmT1_T2_T3_mT4_P12ihipStream_tbEUlT_E1_NS1_11comp_targetILNS1_3genE9ELNS1_11target_archE1100ELNS1_3gpuE3ELNS1_3repE0EEENS1_30default_config_static_selectorELNS0_4arch9wavefront6targetE1EEEvS14_,@function
_ZN7rocprim17ROCPRIM_400000_NS6detail17trampoline_kernelINS0_14default_configENS1_22reduce_config_selectorIN6thrust23THRUST_200600_302600_NS5tupleIblNS6_9null_typeES8_S8_S8_S8_S8_S8_S8_EEEEZNS1_11reduce_implILb1ES3_NS6_12zip_iteratorINS7_INS6_11hip_rocprim26transform_input_iterator_tIbNSD_35transform_pair_of_input_iterators_tIbNS6_6detail15normal_iteratorINS6_10device_ptrIKiEEEESL_NS6_8equal_toIiEEEENSG_9not_fun_tINSD_8identityEEEEENSD_19counting_iterator_tIlEES8_S8_S8_S8_S8_S8_S8_S8_EEEEPS9_S9_NSD_9__find_if7functorIS9_EEEE10hipError_tPvRmT1_T2_T3_mT4_P12ihipStream_tbEUlT_E1_NS1_11comp_targetILNS1_3genE9ELNS1_11target_archE1100ELNS1_3gpuE3ELNS1_3repE0EEENS1_30default_config_static_selectorELNS0_4arch9wavefront6targetE1EEEvS14_: ; @_ZN7rocprim17ROCPRIM_400000_NS6detail17trampoline_kernelINS0_14default_configENS1_22reduce_config_selectorIN6thrust23THRUST_200600_302600_NS5tupleIblNS6_9null_typeES8_S8_S8_S8_S8_S8_S8_EEEEZNS1_11reduce_implILb1ES3_NS6_12zip_iteratorINS7_INS6_11hip_rocprim26transform_input_iterator_tIbNSD_35transform_pair_of_input_iterators_tIbNS6_6detail15normal_iteratorINS6_10device_ptrIKiEEEESL_NS6_8equal_toIiEEEENSG_9not_fun_tINSD_8identityEEEEENSD_19counting_iterator_tIlEES8_S8_S8_S8_S8_S8_S8_S8_EEEEPS9_S9_NSD_9__find_if7functorIS9_EEEE10hipError_tPvRmT1_T2_T3_mT4_P12ihipStream_tbEUlT_E1_NS1_11comp_targetILNS1_3genE9ELNS1_11target_archE1100ELNS1_3gpuE3ELNS1_3repE0EEENS1_30default_config_static_selectorELNS0_4arch9wavefront6targetE1EEEvS14_
; %bb.0:
	.section	.rodata,"a",@progbits
	.p2align	6, 0x0
	.amdhsa_kernel _ZN7rocprim17ROCPRIM_400000_NS6detail17trampoline_kernelINS0_14default_configENS1_22reduce_config_selectorIN6thrust23THRUST_200600_302600_NS5tupleIblNS6_9null_typeES8_S8_S8_S8_S8_S8_S8_EEEEZNS1_11reduce_implILb1ES3_NS6_12zip_iteratorINS7_INS6_11hip_rocprim26transform_input_iterator_tIbNSD_35transform_pair_of_input_iterators_tIbNS6_6detail15normal_iteratorINS6_10device_ptrIKiEEEESL_NS6_8equal_toIiEEEENSG_9not_fun_tINSD_8identityEEEEENSD_19counting_iterator_tIlEES8_S8_S8_S8_S8_S8_S8_S8_EEEEPS9_S9_NSD_9__find_if7functorIS9_EEEE10hipError_tPvRmT1_T2_T3_mT4_P12ihipStream_tbEUlT_E1_NS1_11comp_targetILNS1_3genE9ELNS1_11target_archE1100ELNS1_3gpuE3ELNS1_3repE0EEENS1_30default_config_static_selectorELNS0_4arch9wavefront6targetE1EEEvS14_
		.amdhsa_group_segment_fixed_size 0
		.amdhsa_private_segment_fixed_size 0
		.amdhsa_kernarg_size 88
		.amdhsa_user_sgpr_count 6
		.amdhsa_user_sgpr_private_segment_buffer 1
		.amdhsa_user_sgpr_dispatch_ptr 0
		.amdhsa_user_sgpr_queue_ptr 0
		.amdhsa_user_sgpr_kernarg_segment_ptr 1
		.amdhsa_user_sgpr_dispatch_id 0
		.amdhsa_user_sgpr_flat_scratch_init 0
		.amdhsa_user_sgpr_kernarg_preload_length 0
		.amdhsa_user_sgpr_kernarg_preload_offset 0
		.amdhsa_user_sgpr_private_segment_size 0
		.amdhsa_uses_dynamic_stack 0
		.amdhsa_system_sgpr_private_segment_wavefront_offset 0
		.amdhsa_system_sgpr_workgroup_id_x 1
		.amdhsa_system_sgpr_workgroup_id_y 0
		.amdhsa_system_sgpr_workgroup_id_z 0
		.amdhsa_system_sgpr_workgroup_info 0
		.amdhsa_system_vgpr_workitem_id 0
		.amdhsa_next_free_vgpr 1
		.amdhsa_next_free_sgpr 0
		.amdhsa_accum_offset 4
		.amdhsa_reserve_vcc 0
		.amdhsa_reserve_flat_scratch 0
		.amdhsa_float_round_mode_32 0
		.amdhsa_float_round_mode_16_64 0
		.amdhsa_float_denorm_mode_32 3
		.amdhsa_float_denorm_mode_16_64 3
		.amdhsa_dx10_clamp 1
		.amdhsa_ieee_mode 1
		.amdhsa_fp16_overflow 0
		.amdhsa_tg_split 0
		.amdhsa_exception_fp_ieee_invalid_op 0
		.amdhsa_exception_fp_denorm_src 0
		.amdhsa_exception_fp_ieee_div_zero 0
		.amdhsa_exception_fp_ieee_overflow 0
		.amdhsa_exception_fp_ieee_underflow 0
		.amdhsa_exception_fp_ieee_inexact 0
		.amdhsa_exception_int_div_zero 0
	.end_amdhsa_kernel
	.section	.text._ZN7rocprim17ROCPRIM_400000_NS6detail17trampoline_kernelINS0_14default_configENS1_22reduce_config_selectorIN6thrust23THRUST_200600_302600_NS5tupleIblNS6_9null_typeES8_S8_S8_S8_S8_S8_S8_EEEEZNS1_11reduce_implILb1ES3_NS6_12zip_iteratorINS7_INS6_11hip_rocprim26transform_input_iterator_tIbNSD_35transform_pair_of_input_iterators_tIbNS6_6detail15normal_iteratorINS6_10device_ptrIKiEEEESL_NS6_8equal_toIiEEEENSG_9not_fun_tINSD_8identityEEEEENSD_19counting_iterator_tIlEES8_S8_S8_S8_S8_S8_S8_S8_EEEEPS9_S9_NSD_9__find_if7functorIS9_EEEE10hipError_tPvRmT1_T2_T3_mT4_P12ihipStream_tbEUlT_E1_NS1_11comp_targetILNS1_3genE9ELNS1_11target_archE1100ELNS1_3gpuE3ELNS1_3repE0EEENS1_30default_config_static_selectorELNS0_4arch9wavefront6targetE1EEEvS14_,"axG",@progbits,_ZN7rocprim17ROCPRIM_400000_NS6detail17trampoline_kernelINS0_14default_configENS1_22reduce_config_selectorIN6thrust23THRUST_200600_302600_NS5tupleIblNS6_9null_typeES8_S8_S8_S8_S8_S8_S8_EEEEZNS1_11reduce_implILb1ES3_NS6_12zip_iteratorINS7_INS6_11hip_rocprim26transform_input_iterator_tIbNSD_35transform_pair_of_input_iterators_tIbNS6_6detail15normal_iteratorINS6_10device_ptrIKiEEEESL_NS6_8equal_toIiEEEENSG_9not_fun_tINSD_8identityEEEEENSD_19counting_iterator_tIlEES8_S8_S8_S8_S8_S8_S8_S8_EEEEPS9_S9_NSD_9__find_if7functorIS9_EEEE10hipError_tPvRmT1_T2_T3_mT4_P12ihipStream_tbEUlT_E1_NS1_11comp_targetILNS1_3genE9ELNS1_11target_archE1100ELNS1_3gpuE3ELNS1_3repE0EEENS1_30default_config_static_selectorELNS0_4arch9wavefront6targetE1EEEvS14_,comdat
.Lfunc_end502:
	.size	_ZN7rocprim17ROCPRIM_400000_NS6detail17trampoline_kernelINS0_14default_configENS1_22reduce_config_selectorIN6thrust23THRUST_200600_302600_NS5tupleIblNS6_9null_typeES8_S8_S8_S8_S8_S8_S8_EEEEZNS1_11reduce_implILb1ES3_NS6_12zip_iteratorINS7_INS6_11hip_rocprim26transform_input_iterator_tIbNSD_35transform_pair_of_input_iterators_tIbNS6_6detail15normal_iteratorINS6_10device_ptrIKiEEEESL_NS6_8equal_toIiEEEENSG_9not_fun_tINSD_8identityEEEEENSD_19counting_iterator_tIlEES8_S8_S8_S8_S8_S8_S8_S8_EEEEPS9_S9_NSD_9__find_if7functorIS9_EEEE10hipError_tPvRmT1_T2_T3_mT4_P12ihipStream_tbEUlT_E1_NS1_11comp_targetILNS1_3genE9ELNS1_11target_archE1100ELNS1_3gpuE3ELNS1_3repE0EEENS1_30default_config_static_selectorELNS0_4arch9wavefront6targetE1EEEvS14_, .Lfunc_end502-_ZN7rocprim17ROCPRIM_400000_NS6detail17trampoline_kernelINS0_14default_configENS1_22reduce_config_selectorIN6thrust23THRUST_200600_302600_NS5tupleIblNS6_9null_typeES8_S8_S8_S8_S8_S8_S8_EEEEZNS1_11reduce_implILb1ES3_NS6_12zip_iteratorINS7_INS6_11hip_rocprim26transform_input_iterator_tIbNSD_35transform_pair_of_input_iterators_tIbNS6_6detail15normal_iteratorINS6_10device_ptrIKiEEEESL_NS6_8equal_toIiEEEENSG_9not_fun_tINSD_8identityEEEEENSD_19counting_iterator_tIlEES8_S8_S8_S8_S8_S8_S8_S8_EEEEPS9_S9_NSD_9__find_if7functorIS9_EEEE10hipError_tPvRmT1_T2_T3_mT4_P12ihipStream_tbEUlT_E1_NS1_11comp_targetILNS1_3genE9ELNS1_11target_archE1100ELNS1_3gpuE3ELNS1_3repE0EEENS1_30default_config_static_selectorELNS0_4arch9wavefront6targetE1EEEvS14_
                                        ; -- End function
	.section	.AMDGPU.csdata,"",@progbits
; Kernel info:
; codeLenInByte = 0
; NumSgprs: 4
; NumVgprs: 0
; NumAgprs: 0
; TotalNumVgprs: 0
; ScratchSize: 0
; MemoryBound: 0
; FloatMode: 240
; IeeeMode: 1
; LDSByteSize: 0 bytes/workgroup (compile time only)
; SGPRBlocks: 0
; VGPRBlocks: 0
; NumSGPRsForWavesPerEU: 4
; NumVGPRsForWavesPerEU: 1
; AccumOffset: 4
; Occupancy: 8
; WaveLimiterHint : 0
; COMPUTE_PGM_RSRC2:SCRATCH_EN: 0
; COMPUTE_PGM_RSRC2:USER_SGPR: 6
; COMPUTE_PGM_RSRC2:TRAP_HANDLER: 0
; COMPUTE_PGM_RSRC2:TGID_X_EN: 1
; COMPUTE_PGM_RSRC2:TGID_Y_EN: 0
; COMPUTE_PGM_RSRC2:TGID_Z_EN: 0
; COMPUTE_PGM_RSRC2:TIDIG_COMP_CNT: 0
; COMPUTE_PGM_RSRC3_GFX90A:ACCUM_OFFSET: 0
; COMPUTE_PGM_RSRC3_GFX90A:TG_SPLIT: 0
	.section	.text._ZN7rocprim17ROCPRIM_400000_NS6detail17trampoline_kernelINS0_14default_configENS1_22reduce_config_selectorIN6thrust23THRUST_200600_302600_NS5tupleIblNS6_9null_typeES8_S8_S8_S8_S8_S8_S8_EEEEZNS1_11reduce_implILb1ES3_NS6_12zip_iteratorINS7_INS6_11hip_rocprim26transform_input_iterator_tIbNSD_35transform_pair_of_input_iterators_tIbNS6_6detail15normal_iteratorINS6_10device_ptrIKiEEEESL_NS6_8equal_toIiEEEENSG_9not_fun_tINSD_8identityEEEEENSD_19counting_iterator_tIlEES8_S8_S8_S8_S8_S8_S8_S8_EEEEPS9_S9_NSD_9__find_if7functorIS9_EEEE10hipError_tPvRmT1_T2_T3_mT4_P12ihipStream_tbEUlT_E1_NS1_11comp_targetILNS1_3genE8ELNS1_11target_archE1030ELNS1_3gpuE2ELNS1_3repE0EEENS1_30default_config_static_selectorELNS0_4arch9wavefront6targetE1EEEvS14_,"axG",@progbits,_ZN7rocprim17ROCPRIM_400000_NS6detail17trampoline_kernelINS0_14default_configENS1_22reduce_config_selectorIN6thrust23THRUST_200600_302600_NS5tupleIblNS6_9null_typeES8_S8_S8_S8_S8_S8_S8_EEEEZNS1_11reduce_implILb1ES3_NS6_12zip_iteratorINS7_INS6_11hip_rocprim26transform_input_iterator_tIbNSD_35transform_pair_of_input_iterators_tIbNS6_6detail15normal_iteratorINS6_10device_ptrIKiEEEESL_NS6_8equal_toIiEEEENSG_9not_fun_tINSD_8identityEEEEENSD_19counting_iterator_tIlEES8_S8_S8_S8_S8_S8_S8_S8_EEEEPS9_S9_NSD_9__find_if7functorIS9_EEEE10hipError_tPvRmT1_T2_T3_mT4_P12ihipStream_tbEUlT_E1_NS1_11comp_targetILNS1_3genE8ELNS1_11target_archE1030ELNS1_3gpuE2ELNS1_3repE0EEENS1_30default_config_static_selectorELNS0_4arch9wavefront6targetE1EEEvS14_,comdat
	.protected	_ZN7rocprim17ROCPRIM_400000_NS6detail17trampoline_kernelINS0_14default_configENS1_22reduce_config_selectorIN6thrust23THRUST_200600_302600_NS5tupleIblNS6_9null_typeES8_S8_S8_S8_S8_S8_S8_EEEEZNS1_11reduce_implILb1ES3_NS6_12zip_iteratorINS7_INS6_11hip_rocprim26transform_input_iterator_tIbNSD_35transform_pair_of_input_iterators_tIbNS6_6detail15normal_iteratorINS6_10device_ptrIKiEEEESL_NS6_8equal_toIiEEEENSG_9not_fun_tINSD_8identityEEEEENSD_19counting_iterator_tIlEES8_S8_S8_S8_S8_S8_S8_S8_EEEEPS9_S9_NSD_9__find_if7functorIS9_EEEE10hipError_tPvRmT1_T2_T3_mT4_P12ihipStream_tbEUlT_E1_NS1_11comp_targetILNS1_3genE8ELNS1_11target_archE1030ELNS1_3gpuE2ELNS1_3repE0EEENS1_30default_config_static_selectorELNS0_4arch9wavefront6targetE1EEEvS14_ ; -- Begin function _ZN7rocprim17ROCPRIM_400000_NS6detail17trampoline_kernelINS0_14default_configENS1_22reduce_config_selectorIN6thrust23THRUST_200600_302600_NS5tupleIblNS6_9null_typeES8_S8_S8_S8_S8_S8_S8_EEEEZNS1_11reduce_implILb1ES3_NS6_12zip_iteratorINS7_INS6_11hip_rocprim26transform_input_iterator_tIbNSD_35transform_pair_of_input_iterators_tIbNS6_6detail15normal_iteratorINS6_10device_ptrIKiEEEESL_NS6_8equal_toIiEEEENSG_9not_fun_tINSD_8identityEEEEENSD_19counting_iterator_tIlEES8_S8_S8_S8_S8_S8_S8_S8_EEEEPS9_S9_NSD_9__find_if7functorIS9_EEEE10hipError_tPvRmT1_T2_T3_mT4_P12ihipStream_tbEUlT_E1_NS1_11comp_targetILNS1_3genE8ELNS1_11target_archE1030ELNS1_3gpuE2ELNS1_3repE0EEENS1_30default_config_static_selectorELNS0_4arch9wavefront6targetE1EEEvS14_
	.globl	_ZN7rocprim17ROCPRIM_400000_NS6detail17trampoline_kernelINS0_14default_configENS1_22reduce_config_selectorIN6thrust23THRUST_200600_302600_NS5tupleIblNS6_9null_typeES8_S8_S8_S8_S8_S8_S8_EEEEZNS1_11reduce_implILb1ES3_NS6_12zip_iteratorINS7_INS6_11hip_rocprim26transform_input_iterator_tIbNSD_35transform_pair_of_input_iterators_tIbNS6_6detail15normal_iteratorINS6_10device_ptrIKiEEEESL_NS6_8equal_toIiEEEENSG_9not_fun_tINSD_8identityEEEEENSD_19counting_iterator_tIlEES8_S8_S8_S8_S8_S8_S8_S8_EEEEPS9_S9_NSD_9__find_if7functorIS9_EEEE10hipError_tPvRmT1_T2_T3_mT4_P12ihipStream_tbEUlT_E1_NS1_11comp_targetILNS1_3genE8ELNS1_11target_archE1030ELNS1_3gpuE2ELNS1_3repE0EEENS1_30default_config_static_selectorELNS0_4arch9wavefront6targetE1EEEvS14_
	.p2align	8
	.type	_ZN7rocprim17ROCPRIM_400000_NS6detail17trampoline_kernelINS0_14default_configENS1_22reduce_config_selectorIN6thrust23THRUST_200600_302600_NS5tupleIblNS6_9null_typeES8_S8_S8_S8_S8_S8_S8_EEEEZNS1_11reduce_implILb1ES3_NS6_12zip_iteratorINS7_INS6_11hip_rocprim26transform_input_iterator_tIbNSD_35transform_pair_of_input_iterators_tIbNS6_6detail15normal_iteratorINS6_10device_ptrIKiEEEESL_NS6_8equal_toIiEEEENSG_9not_fun_tINSD_8identityEEEEENSD_19counting_iterator_tIlEES8_S8_S8_S8_S8_S8_S8_S8_EEEEPS9_S9_NSD_9__find_if7functorIS9_EEEE10hipError_tPvRmT1_T2_T3_mT4_P12ihipStream_tbEUlT_E1_NS1_11comp_targetILNS1_3genE8ELNS1_11target_archE1030ELNS1_3gpuE2ELNS1_3repE0EEENS1_30default_config_static_selectorELNS0_4arch9wavefront6targetE1EEEvS14_,@function
_ZN7rocprim17ROCPRIM_400000_NS6detail17trampoline_kernelINS0_14default_configENS1_22reduce_config_selectorIN6thrust23THRUST_200600_302600_NS5tupleIblNS6_9null_typeES8_S8_S8_S8_S8_S8_S8_EEEEZNS1_11reduce_implILb1ES3_NS6_12zip_iteratorINS7_INS6_11hip_rocprim26transform_input_iterator_tIbNSD_35transform_pair_of_input_iterators_tIbNS6_6detail15normal_iteratorINS6_10device_ptrIKiEEEESL_NS6_8equal_toIiEEEENSG_9not_fun_tINSD_8identityEEEEENSD_19counting_iterator_tIlEES8_S8_S8_S8_S8_S8_S8_S8_EEEEPS9_S9_NSD_9__find_if7functorIS9_EEEE10hipError_tPvRmT1_T2_T3_mT4_P12ihipStream_tbEUlT_E1_NS1_11comp_targetILNS1_3genE8ELNS1_11target_archE1030ELNS1_3gpuE2ELNS1_3repE0EEENS1_30default_config_static_selectorELNS0_4arch9wavefront6targetE1EEEvS14_: ; @_ZN7rocprim17ROCPRIM_400000_NS6detail17trampoline_kernelINS0_14default_configENS1_22reduce_config_selectorIN6thrust23THRUST_200600_302600_NS5tupleIblNS6_9null_typeES8_S8_S8_S8_S8_S8_S8_EEEEZNS1_11reduce_implILb1ES3_NS6_12zip_iteratorINS7_INS6_11hip_rocprim26transform_input_iterator_tIbNSD_35transform_pair_of_input_iterators_tIbNS6_6detail15normal_iteratorINS6_10device_ptrIKiEEEESL_NS6_8equal_toIiEEEENSG_9not_fun_tINSD_8identityEEEEENSD_19counting_iterator_tIlEES8_S8_S8_S8_S8_S8_S8_S8_EEEEPS9_S9_NSD_9__find_if7functorIS9_EEEE10hipError_tPvRmT1_T2_T3_mT4_P12ihipStream_tbEUlT_E1_NS1_11comp_targetILNS1_3genE8ELNS1_11target_archE1030ELNS1_3gpuE2ELNS1_3repE0EEENS1_30default_config_static_selectorELNS0_4arch9wavefront6targetE1EEEvS14_
; %bb.0:
	.section	.rodata,"a",@progbits
	.p2align	6, 0x0
	.amdhsa_kernel _ZN7rocprim17ROCPRIM_400000_NS6detail17trampoline_kernelINS0_14default_configENS1_22reduce_config_selectorIN6thrust23THRUST_200600_302600_NS5tupleIblNS6_9null_typeES8_S8_S8_S8_S8_S8_S8_EEEEZNS1_11reduce_implILb1ES3_NS6_12zip_iteratorINS7_INS6_11hip_rocprim26transform_input_iterator_tIbNSD_35transform_pair_of_input_iterators_tIbNS6_6detail15normal_iteratorINS6_10device_ptrIKiEEEESL_NS6_8equal_toIiEEEENSG_9not_fun_tINSD_8identityEEEEENSD_19counting_iterator_tIlEES8_S8_S8_S8_S8_S8_S8_S8_EEEEPS9_S9_NSD_9__find_if7functorIS9_EEEE10hipError_tPvRmT1_T2_T3_mT4_P12ihipStream_tbEUlT_E1_NS1_11comp_targetILNS1_3genE8ELNS1_11target_archE1030ELNS1_3gpuE2ELNS1_3repE0EEENS1_30default_config_static_selectorELNS0_4arch9wavefront6targetE1EEEvS14_
		.amdhsa_group_segment_fixed_size 0
		.amdhsa_private_segment_fixed_size 0
		.amdhsa_kernarg_size 88
		.amdhsa_user_sgpr_count 6
		.amdhsa_user_sgpr_private_segment_buffer 1
		.amdhsa_user_sgpr_dispatch_ptr 0
		.amdhsa_user_sgpr_queue_ptr 0
		.amdhsa_user_sgpr_kernarg_segment_ptr 1
		.amdhsa_user_sgpr_dispatch_id 0
		.amdhsa_user_sgpr_flat_scratch_init 0
		.amdhsa_user_sgpr_kernarg_preload_length 0
		.amdhsa_user_sgpr_kernarg_preload_offset 0
		.amdhsa_user_sgpr_private_segment_size 0
		.amdhsa_uses_dynamic_stack 0
		.amdhsa_system_sgpr_private_segment_wavefront_offset 0
		.amdhsa_system_sgpr_workgroup_id_x 1
		.amdhsa_system_sgpr_workgroup_id_y 0
		.amdhsa_system_sgpr_workgroup_id_z 0
		.amdhsa_system_sgpr_workgroup_info 0
		.amdhsa_system_vgpr_workitem_id 0
		.amdhsa_next_free_vgpr 1
		.amdhsa_next_free_sgpr 0
		.amdhsa_accum_offset 4
		.amdhsa_reserve_vcc 0
		.amdhsa_reserve_flat_scratch 0
		.amdhsa_float_round_mode_32 0
		.amdhsa_float_round_mode_16_64 0
		.amdhsa_float_denorm_mode_32 3
		.amdhsa_float_denorm_mode_16_64 3
		.amdhsa_dx10_clamp 1
		.amdhsa_ieee_mode 1
		.amdhsa_fp16_overflow 0
		.amdhsa_tg_split 0
		.amdhsa_exception_fp_ieee_invalid_op 0
		.amdhsa_exception_fp_denorm_src 0
		.amdhsa_exception_fp_ieee_div_zero 0
		.amdhsa_exception_fp_ieee_overflow 0
		.amdhsa_exception_fp_ieee_underflow 0
		.amdhsa_exception_fp_ieee_inexact 0
		.amdhsa_exception_int_div_zero 0
	.end_amdhsa_kernel
	.section	.text._ZN7rocprim17ROCPRIM_400000_NS6detail17trampoline_kernelINS0_14default_configENS1_22reduce_config_selectorIN6thrust23THRUST_200600_302600_NS5tupleIblNS6_9null_typeES8_S8_S8_S8_S8_S8_S8_EEEEZNS1_11reduce_implILb1ES3_NS6_12zip_iteratorINS7_INS6_11hip_rocprim26transform_input_iterator_tIbNSD_35transform_pair_of_input_iterators_tIbNS6_6detail15normal_iteratorINS6_10device_ptrIKiEEEESL_NS6_8equal_toIiEEEENSG_9not_fun_tINSD_8identityEEEEENSD_19counting_iterator_tIlEES8_S8_S8_S8_S8_S8_S8_S8_EEEEPS9_S9_NSD_9__find_if7functorIS9_EEEE10hipError_tPvRmT1_T2_T3_mT4_P12ihipStream_tbEUlT_E1_NS1_11comp_targetILNS1_3genE8ELNS1_11target_archE1030ELNS1_3gpuE2ELNS1_3repE0EEENS1_30default_config_static_selectorELNS0_4arch9wavefront6targetE1EEEvS14_,"axG",@progbits,_ZN7rocprim17ROCPRIM_400000_NS6detail17trampoline_kernelINS0_14default_configENS1_22reduce_config_selectorIN6thrust23THRUST_200600_302600_NS5tupleIblNS6_9null_typeES8_S8_S8_S8_S8_S8_S8_EEEEZNS1_11reduce_implILb1ES3_NS6_12zip_iteratorINS7_INS6_11hip_rocprim26transform_input_iterator_tIbNSD_35transform_pair_of_input_iterators_tIbNS6_6detail15normal_iteratorINS6_10device_ptrIKiEEEESL_NS6_8equal_toIiEEEENSG_9not_fun_tINSD_8identityEEEEENSD_19counting_iterator_tIlEES8_S8_S8_S8_S8_S8_S8_S8_EEEEPS9_S9_NSD_9__find_if7functorIS9_EEEE10hipError_tPvRmT1_T2_T3_mT4_P12ihipStream_tbEUlT_E1_NS1_11comp_targetILNS1_3genE8ELNS1_11target_archE1030ELNS1_3gpuE2ELNS1_3repE0EEENS1_30default_config_static_selectorELNS0_4arch9wavefront6targetE1EEEvS14_,comdat
.Lfunc_end503:
	.size	_ZN7rocprim17ROCPRIM_400000_NS6detail17trampoline_kernelINS0_14default_configENS1_22reduce_config_selectorIN6thrust23THRUST_200600_302600_NS5tupleIblNS6_9null_typeES8_S8_S8_S8_S8_S8_S8_EEEEZNS1_11reduce_implILb1ES3_NS6_12zip_iteratorINS7_INS6_11hip_rocprim26transform_input_iterator_tIbNSD_35transform_pair_of_input_iterators_tIbNS6_6detail15normal_iteratorINS6_10device_ptrIKiEEEESL_NS6_8equal_toIiEEEENSG_9not_fun_tINSD_8identityEEEEENSD_19counting_iterator_tIlEES8_S8_S8_S8_S8_S8_S8_S8_EEEEPS9_S9_NSD_9__find_if7functorIS9_EEEE10hipError_tPvRmT1_T2_T3_mT4_P12ihipStream_tbEUlT_E1_NS1_11comp_targetILNS1_3genE8ELNS1_11target_archE1030ELNS1_3gpuE2ELNS1_3repE0EEENS1_30default_config_static_selectorELNS0_4arch9wavefront6targetE1EEEvS14_, .Lfunc_end503-_ZN7rocprim17ROCPRIM_400000_NS6detail17trampoline_kernelINS0_14default_configENS1_22reduce_config_selectorIN6thrust23THRUST_200600_302600_NS5tupleIblNS6_9null_typeES8_S8_S8_S8_S8_S8_S8_EEEEZNS1_11reduce_implILb1ES3_NS6_12zip_iteratorINS7_INS6_11hip_rocprim26transform_input_iterator_tIbNSD_35transform_pair_of_input_iterators_tIbNS6_6detail15normal_iteratorINS6_10device_ptrIKiEEEESL_NS6_8equal_toIiEEEENSG_9not_fun_tINSD_8identityEEEEENSD_19counting_iterator_tIlEES8_S8_S8_S8_S8_S8_S8_S8_EEEEPS9_S9_NSD_9__find_if7functorIS9_EEEE10hipError_tPvRmT1_T2_T3_mT4_P12ihipStream_tbEUlT_E1_NS1_11comp_targetILNS1_3genE8ELNS1_11target_archE1030ELNS1_3gpuE2ELNS1_3repE0EEENS1_30default_config_static_selectorELNS0_4arch9wavefront6targetE1EEEvS14_
                                        ; -- End function
	.section	.AMDGPU.csdata,"",@progbits
; Kernel info:
; codeLenInByte = 0
; NumSgprs: 4
; NumVgprs: 0
; NumAgprs: 0
; TotalNumVgprs: 0
; ScratchSize: 0
; MemoryBound: 0
; FloatMode: 240
; IeeeMode: 1
; LDSByteSize: 0 bytes/workgroup (compile time only)
; SGPRBlocks: 0
; VGPRBlocks: 0
; NumSGPRsForWavesPerEU: 4
; NumVGPRsForWavesPerEU: 1
; AccumOffset: 4
; Occupancy: 8
; WaveLimiterHint : 0
; COMPUTE_PGM_RSRC2:SCRATCH_EN: 0
; COMPUTE_PGM_RSRC2:USER_SGPR: 6
; COMPUTE_PGM_RSRC2:TRAP_HANDLER: 0
; COMPUTE_PGM_RSRC2:TGID_X_EN: 1
; COMPUTE_PGM_RSRC2:TGID_Y_EN: 0
; COMPUTE_PGM_RSRC2:TGID_Z_EN: 0
; COMPUTE_PGM_RSRC2:TIDIG_COMP_CNT: 0
; COMPUTE_PGM_RSRC3_GFX90A:ACCUM_OFFSET: 0
; COMPUTE_PGM_RSRC3_GFX90A:TG_SPLIT: 0
	.section	.text._ZN7rocprim17ROCPRIM_400000_NS6detail31init_lookback_scan_state_kernelINS1_19lookback_scan_stateIiLb0ELb1EEENS1_16block_id_wrapperIjLb0EEEEEvT_jT0_jPNS7_10value_typeE,"axG",@progbits,_ZN7rocprim17ROCPRIM_400000_NS6detail31init_lookback_scan_state_kernelINS1_19lookback_scan_stateIiLb0ELb1EEENS1_16block_id_wrapperIjLb0EEEEEvT_jT0_jPNS7_10value_typeE,comdat
	.protected	_ZN7rocprim17ROCPRIM_400000_NS6detail31init_lookback_scan_state_kernelINS1_19lookback_scan_stateIiLb0ELb1EEENS1_16block_id_wrapperIjLb0EEEEEvT_jT0_jPNS7_10value_typeE ; -- Begin function _ZN7rocprim17ROCPRIM_400000_NS6detail31init_lookback_scan_state_kernelINS1_19lookback_scan_stateIiLb0ELb1EEENS1_16block_id_wrapperIjLb0EEEEEvT_jT0_jPNS7_10value_typeE
	.globl	_ZN7rocprim17ROCPRIM_400000_NS6detail31init_lookback_scan_state_kernelINS1_19lookback_scan_stateIiLb0ELb1EEENS1_16block_id_wrapperIjLb0EEEEEvT_jT0_jPNS7_10value_typeE
	.p2align	8
	.type	_ZN7rocprim17ROCPRIM_400000_NS6detail31init_lookback_scan_state_kernelINS1_19lookback_scan_stateIiLb0ELb1EEENS1_16block_id_wrapperIjLb0EEEEEvT_jT0_jPNS7_10value_typeE,@function
_ZN7rocprim17ROCPRIM_400000_NS6detail31init_lookback_scan_state_kernelINS1_19lookback_scan_stateIiLb0ELb1EEENS1_16block_id_wrapperIjLb0EEEEEvT_jT0_jPNS7_10value_typeE: ; @_ZN7rocprim17ROCPRIM_400000_NS6detail31init_lookback_scan_state_kernelINS1_19lookback_scan_stateIiLb0ELb1EEENS1_16block_id_wrapperIjLb0EEEEEvT_jT0_jPNS7_10value_typeE
; %bb.0:
	s_load_dword s7, s[4:5], 0x2c
	s_load_dwordx2 s[2:3], s[4:5], 0x18
	s_load_dwordx2 s[0:1], s[4:5], 0x0
	s_load_dword s8, s[4:5], 0x8
	s_waitcnt lgkmcnt(0)
	s_and_b32 s7, s7, 0xffff
	s_mul_i32 s6, s6, s7
	s_cmp_eq_u64 s[2:3], 0
	v_add_u32_e32 v0, s6, v0
	s_cbranch_scc1 .LBB504_6
; %bb.1:
	s_load_dword s6, s[4:5], 0x10
	s_mov_b32 s7, 0
	s_waitcnt lgkmcnt(0)
	s_cmp_lt_u32 s6, s8
	s_cselect_b32 s4, s6, 0
	v_cmp_eq_u32_e32 vcc, s4, v0
	s_and_saveexec_b64 s[4:5], vcc
	s_cbranch_execz .LBB504_5
; %bb.2:
	s_add_i32 s6, s6, 64
	s_lshl_b64 s[6:7], s[6:7], 3
	s_add_u32 s6, s0, s6
	s_addc_u32 s7, s1, s7
	v_mov_b32_e32 v4, 0
	global_load_dwordx2 v[2:3], v4, s[6:7] glc
	s_waitcnt vmcnt(0)
	v_and_b32_e32 v5, 0xff, v3
	v_cmp_ne_u64_e32 vcc, 0, v[4:5]
	s_cbranch_vccnz .LBB504_4
.LBB504_3:                              ; =>This Inner Loop Header: Depth=1
	global_load_dwordx2 v[2:3], v4, s[6:7] glc
	s_waitcnt vmcnt(0)
	v_and_b32_e32 v5, 0xff, v3
	v_cmp_eq_u64_e32 vcc, 0, v[4:5]
	s_cbranch_vccnz .LBB504_3
.LBB504_4:
	v_mov_b32_e32 v1, 0
	global_store_dword v1, v2, s[2:3]
.LBB504_5:
	s_or_b64 exec, exec, s[4:5]
.LBB504_6:
	v_cmp_gt_u32_e32 vcc, s8, v0
	s_and_saveexec_b64 s[2:3], vcc
	s_cbranch_execnz .LBB504_9
; %bb.7:
	s_or_b64 exec, exec, s[2:3]
	v_cmp_gt_u32_e32 vcc, 64, v0
	s_and_saveexec_b64 s[2:3], vcc
	s_cbranch_execnz .LBB504_10
.LBB504_8:
	s_endpgm
.LBB504_9:
	v_add_u32_e32 v2, 64, v0
	v_mov_b32_e32 v3, 0
	v_lshlrev_b64 v[4:5], 3, v[2:3]
	v_mov_b32_e32 v1, s1
	v_add_co_u32_e32 v4, vcc, s0, v4
	v_addc_co_u32_e32 v5, vcc, v1, v5, vcc
	v_mov_b32_e32 v2, v3
	global_store_dwordx2 v[4:5], v[2:3], off
	s_or_b64 exec, exec, s[2:3]
	v_cmp_gt_u32_e32 vcc, 64, v0
	s_and_saveexec_b64 s[2:3], vcc
	s_cbranch_execz .LBB504_8
.LBB504_10:
	v_mov_b32_e32 v1, 0
	v_lshlrev_b64 v[2:3], 3, v[0:1]
	v_mov_b32_e32 v0, s1
	v_add_co_u32_e32 v2, vcc, s0, v2
	v_addc_co_u32_e32 v3, vcc, v0, v3, vcc
	v_mov_b32_e32 v5, 0xff
	v_mov_b32_e32 v4, v1
	global_store_dwordx2 v[2:3], v[4:5], off
	s_endpgm
	.section	.rodata,"a",@progbits
	.p2align	6, 0x0
	.amdhsa_kernel _ZN7rocprim17ROCPRIM_400000_NS6detail31init_lookback_scan_state_kernelINS1_19lookback_scan_stateIiLb0ELb1EEENS1_16block_id_wrapperIjLb0EEEEEvT_jT0_jPNS7_10value_typeE
		.amdhsa_group_segment_fixed_size 0
		.amdhsa_private_segment_fixed_size 0
		.amdhsa_kernarg_size 288
		.amdhsa_user_sgpr_count 6
		.amdhsa_user_sgpr_private_segment_buffer 1
		.amdhsa_user_sgpr_dispatch_ptr 0
		.amdhsa_user_sgpr_queue_ptr 0
		.amdhsa_user_sgpr_kernarg_segment_ptr 1
		.amdhsa_user_sgpr_dispatch_id 0
		.amdhsa_user_sgpr_flat_scratch_init 0
		.amdhsa_user_sgpr_kernarg_preload_length 0
		.amdhsa_user_sgpr_kernarg_preload_offset 0
		.amdhsa_user_sgpr_private_segment_size 0
		.amdhsa_uses_dynamic_stack 0
		.amdhsa_system_sgpr_private_segment_wavefront_offset 0
		.amdhsa_system_sgpr_workgroup_id_x 1
		.amdhsa_system_sgpr_workgroup_id_y 0
		.amdhsa_system_sgpr_workgroup_id_z 0
		.amdhsa_system_sgpr_workgroup_info 0
		.amdhsa_system_vgpr_workitem_id 0
		.amdhsa_next_free_vgpr 6
		.amdhsa_next_free_sgpr 9
		.amdhsa_accum_offset 8
		.amdhsa_reserve_vcc 1
		.amdhsa_reserve_flat_scratch 0
		.amdhsa_float_round_mode_32 0
		.amdhsa_float_round_mode_16_64 0
		.amdhsa_float_denorm_mode_32 3
		.amdhsa_float_denorm_mode_16_64 3
		.amdhsa_dx10_clamp 1
		.amdhsa_ieee_mode 1
		.amdhsa_fp16_overflow 0
		.amdhsa_tg_split 0
		.amdhsa_exception_fp_ieee_invalid_op 0
		.amdhsa_exception_fp_denorm_src 0
		.amdhsa_exception_fp_ieee_div_zero 0
		.amdhsa_exception_fp_ieee_overflow 0
		.amdhsa_exception_fp_ieee_underflow 0
		.amdhsa_exception_fp_ieee_inexact 0
		.amdhsa_exception_int_div_zero 0
	.end_amdhsa_kernel
	.section	.text._ZN7rocprim17ROCPRIM_400000_NS6detail31init_lookback_scan_state_kernelINS1_19lookback_scan_stateIiLb0ELb1EEENS1_16block_id_wrapperIjLb0EEEEEvT_jT0_jPNS7_10value_typeE,"axG",@progbits,_ZN7rocprim17ROCPRIM_400000_NS6detail31init_lookback_scan_state_kernelINS1_19lookback_scan_stateIiLb0ELb1EEENS1_16block_id_wrapperIjLb0EEEEEvT_jT0_jPNS7_10value_typeE,comdat
.Lfunc_end504:
	.size	_ZN7rocprim17ROCPRIM_400000_NS6detail31init_lookback_scan_state_kernelINS1_19lookback_scan_stateIiLb0ELb1EEENS1_16block_id_wrapperIjLb0EEEEEvT_jT0_jPNS7_10value_typeE, .Lfunc_end504-_ZN7rocprim17ROCPRIM_400000_NS6detail31init_lookback_scan_state_kernelINS1_19lookback_scan_stateIiLb0ELb1EEENS1_16block_id_wrapperIjLb0EEEEEvT_jT0_jPNS7_10value_typeE
                                        ; -- End function
	.section	.AMDGPU.csdata,"",@progbits
; Kernel info:
; codeLenInByte = 324
; NumSgprs: 13
; NumVgprs: 6
; NumAgprs: 0
; TotalNumVgprs: 6
; ScratchSize: 0
; MemoryBound: 0
; FloatMode: 240
; IeeeMode: 1
; LDSByteSize: 0 bytes/workgroup (compile time only)
; SGPRBlocks: 1
; VGPRBlocks: 0
; NumSGPRsForWavesPerEU: 13
; NumVGPRsForWavesPerEU: 6
; AccumOffset: 8
; Occupancy: 8
; WaveLimiterHint : 0
; COMPUTE_PGM_RSRC2:SCRATCH_EN: 0
; COMPUTE_PGM_RSRC2:USER_SGPR: 6
; COMPUTE_PGM_RSRC2:TRAP_HANDLER: 0
; COMPUTE_PGM_RSRC2:TGID_X_EN: 1
; COMPUTE_PGM_RSRC2:TGID_Y_EN: 0
; COMPUTE_PGM_RSRC2:TGID_Z_EN: 0
; COMPUTE_PGM_RSRC2:TIDIG_COMP_CNT: 0
; COMPUTE_PGM_RSRC3_GFX90A:ACCUM_OFFSET: 1
; COMPUTE_PGM_RSRC3_GFX90A:TG_SPLIT: 0
	.section	.text._ZN7rocprim17ROCPRIM_400000_NS6detail17trampoline_kernelINS0_14default_configENS1_20scan_config_selectorIiEEZZNS1_9scan_implILNS1_25lookback_scan_determinismE0ELb0ELb0ES3_N6thrust23THRUST_200600_302600_NS6detail15normal_iteratorINS9_10device_ptrIiEEEESE_iNS9_4plusIiEEiEEDaPvRmT3_T4_T5_mT6_P12ihipStream_tbENKUlT_T0_E_clISt17integral_constantIbLb0EESU_EEDaSP_SQ_EUlSP_E_NS1_11comp_targetILNS1_3genE0ELNS1_11target_archE4294967295ELNS1_3gpuE0ELNS1_3repE0EEENS1_30default_config_static_selectorELNS0_4arch9wavefront6targetE1EEEvT1_,"axG",@progbits,_ZN7rocprim17ROCPRIM_400000_NS6detail17trampoline_kernelINS0_14default_configENS1_20scan_config_selectorIiEEZZNS1_9scan_implILNS1_25lookback_scan_determinismE0ELb0ELb0ES3_N6thrust23THRUST_200600_302600_NS6detail15normal_iteratorINS9_10device_ptrIiEEEESE_iNS9_4plusIiEEiEEDaPvRmT3_T4_T5_mT6_P12ihipStream_tbENKUlT_T0_E_clISt17integral_constantIbLb0EESU_EEDaSP_SQ_EUlSP_E_NS1_11comp_targetILNS1_3genE0ELNS1_11target_archE4294967295ELNS1_3gpuE0ELNS1_3repE0EEENS1_30default_config_static_selectorELNS0_4arch9wavefront6targetE1EEEvT1_,comdat
	.protected	_ZN7rocprim17ROCPRIM_400000_NS6detail17trampoline_kernelINS0_14default_configENS1_20scan_config_selectorIiEEZZNS1_9scan_implILNS1_25lookback_scan_determinismE0ELb0ELb0ES3_N6thrust23THRUST_200600_302600_NS6detail15normal_iteratorINS9_10device_ptrIiEEEESE_iNS9_4plusIiEEiEEDaPvRmT3_T4_T5_mT6_P12ihipStream_tbENKUlT_T0_E_clISt17integral_constantIbLb0EESU_EEDaSP_SQ_EUlSP_E_NS1_11comp_targetILNS1_3genE0ELNS1_11target_archE4294967295ELNS1_3gpuE0ELNS1_3repE0EEENS1_30default_config_static_selectorELNS0_4arch9wavefront6targetE1EEEvT1_ ; -- Begin function _ZN7rocprim17ROCPRIM_400000_NS6detail17trampoline_kernelINS0_14default_configENS1_20scan_config_selectorIiEEZZNS1_9scan_implILNS1_25lookback_scan_determinismE0ELb0ELb0ES3_N6thrust23THRUST_200600_302600_NS6detail15normal_iteratorINS9_10device_ptrIiEEEESE_iNS9_4plusIiEEiEEDaPvRmT3_T4_T5_mT6_P12ihipStream_tbENKUlT_T0_E_clISt17integral_constantIbLb0EESU_EEDaSP_SQ_EUlSP_E_NS1_11comp_targetILNS1_3genE0ELNS1_11target_archE4294967295ELNS1_3gpuE0ELNS1_3repE0EEENS1_30default_config_static_selectorELNS0_4arch9wavefront6targetE1EEEvT1_
	.globl	_ZN7rocprim17ROCPRIM_400000_NS6detail17trampoline_kernelINS0_14default_configENS1_20scan_config_selectorIiEEZZNS1_9scan_implILNS1_25lookback_scan_determinismE0ELb0ELb0ES3_N6thrust23THRUST_200600_302600_NS6detail15normal_iteratorINS9_10device_ptrIiEEEESE_iNS9_4plusIiEEiEEDaPvRmT3_T4_T5_mT6_P12ihipStream_tbENKUlT_T0_E_clISt17integral_constantIbLb0EESU_EEDaSP_SQ_EUlSP_E_NS1_11comp_targetILNS1_3genE0ELNS1_11target_archE4294967295ELNS1_3gpuE0ELNS1_3repE0EEENS1_30default_config_static_selectorELNS0_4arch9wavefront6targetE1EEEvT1_
	.p2align	8
	.type	_ZN7rocprim17ROCPRIM_400000_NS6detail17trampoline_kernelINS0_14default_configENS1_20scan_config_selectorIiEEZZNS1_9scan_implILNS1_25lookback_scan_determinismE0ELb0ELb0ES3_N6thrust23THRUST_200600_302600_NS6detail15normal_iteratorINS9_10device_ptrIiEEEESE_iNS9_4plusIiEEiEEDaPvRmT3_T4_T5_mT6_P12ihipStream_tbENKUlT_T0_E_clISt17integral_constantIbLb0EESU_EEDaSP_SQ_EUlSP_E_NS1_11comp_targetILNS1_3genE0ELNS1_11target_archE4294967295ELNS1_3gpuE0ELNS1_3repE0EEENS1_30default_config_static_selectorELNS0_4arch9wavefront6targetE1EEEvT1_,@function
_ZN7rocprim17ROCPRIM_400000_NS6detail17trampoline_kernelINS0_14default_configENS1_20scan_config_selectorIiEEZZNS1_9scan_implILNS1_25lookback_scan_determinismE0ELb0ELb0ES3_N6thrust23THRUST_200600_302600_NS6detail15normal_iteratorINS9_10device_ptrIiEEEESE_iNS9_4plusIiEEiEEDaPvRmT3_T4_T5_mT6_P12ihipStream_tbENKUlT_T0_E_clISt17integral_constantIbLb0EESU_EEDaSP_SQ_EUlSP_E_NS1_11comp_targetILNS1_3genE0ELNS1_11target_archE4294967295ELNS1_3gpuE0ELNS1_3repE0EEENS1_30default_config_static_selectorELNS0_4arch9wavefront6targetE1EEEvT1_: ; @_ZN7rocprim17ROCPRIM_400000_NS6detail17trampoline_kernelINS0_14default_configENS1_20scan_config_selectorIiEEZZNS1_9scan_implILNS1_25lookback_scan_determinismE0ELb0ELb0ES3_N6thrust23THRUST_200600_302600_NS6detail15normal_iteratorINS9_10device_ptrIiEEEESE_iNS9_4plusIiEEiEEDaPvRmT3_T4_T5_mT6_P12ihipStream_tbENKUlT_T0_E_clISt17integral_constantIbLb0EESU_EEDaSP_SQ_EUlSP_E_NS1_11comp_targetILNS1_3genE0ELNS1_11target_archE4294967295ELNS1_3gpuE0ELNS1_3repE0EEENS1_30default_config_static_selectorELNS0_4arch9wavefront6targetE1EEEvT1_
; %bb.0:
	.section	.rodata,"a",@progbits
	.p2align	6, 0x0
	.amdhsa_kernel _ZN7rocprim17ROCPRIM_400000_NS6detail17trampoline_kernelINS0_14default_configENS1_20scan_config_selectorIiEEZZNS1_9scan_implILNS1_25lookback_scan_determinismE0ELb0ELb0ES3_N6thrust23THRUST_200600_302600_NS6detail15normal_iteratorINS9_10device_ptrIiEEEESE_iNS9_4plusIiEEiEEDaPvRmT3_T4_T5_mT6_P12ihipStream_tbENKUlT_T0_E_clISt17integral_constantIbLb0EESU_EEDaSP_SQ_EUlSP_E_NS1_11comp_targetILNS1_3genE0ELNS1_11target_archE4294967295ELNS1_3gpuE0ELNS1_3repE0EEENS1_30default_config_static_selectorELNS0_4arch9wavefront6targetE1EEEvT1_
		.amdhsa_group_segment_fixed_size 0
		.amdhsa_private_segment_fixed_size 0
		.amdhsa_kernarg_size 96
		.amdhsa_user_sgpr_count 6
		.amdhsa_user_sgpr_private_segment_buffer 1
		.amdhsa_user_sgpr_dispatch_ptr 0
		.amdhsa_user_sgpr_queue_ptr 0
		.amdhsa_user_sgpr_kernarg_segment_ptr 1
		.amdhsa_user_sgpr_dispatch_id 0
		.amdhsa_user_sgpr_flat_scratch_init 0
		.amdhsa_user_sgpr_kernarg_preload_length 0
		.amdhsa_user_sgpr_kernarg_preload_offset 0
		.amdhsa_user_sgpr_private_segment_size 0
		.amdhsa_uses_dynamic_stack 0
		.amdhsa_system_sgpr_private_segment_wavefront_offset 0
		.amdhsa_system_sgpr_workgroup_id_x 1
		.amdhsa_system_sgpr_workgroup_id_y 0
		.amdhsa_system_sgpr_workgroup_id_z 0
		.amdhsa_system_sgpr_workgroup_info 0
		.amdhsa_system_vgpr_workitem_id 0
		.amdhsa_next_free_vgpr 1
		.amdhsa_next_free_sgpr 0
		.amdhsa_accum_offset 4
		.amdhsa_reserve_vcc 0
		.amdhsa_reserve_flat_scratch 0
		.amdhsa_float_round_mode_32 0
		.amdhsa_float_round_mode_16_64 0
		.amdhsa_float_denorm_mode_32 3
		.amdhsa_float_denorm_mode_16_64 3
		.amdhsa_dx10_clamp 1
		.amdhsa_ieee_mode 1
		.amdhsa_fp16_overflow 0
		.amdhsa_tg_split 0
		.amdhsa_exception_fp_ieee_invalid_op 0
		.amdhsa_exception_fp_denorm_src 0
		.amdhsa_exception_fp_ieee_div_zero 0
		.amdhsa_exception_fp_ieee_overflow 0
		.amdhsa_exception_fp_ieee_underflow 0
		.amdhsa_exception_fp_ieee_inexact 0
		.amdhsa_exception_int_div_zero 0
	.end_amdhsa_kernel
	.section	.text._ZN7rocprim17ROCPRIM_400000_NS6detail17trampoline_kernelINS0_14default_configENS1_20scan_config_selectorIiEEZZNS1_9scan_implILNS1_25lookback_scan_determinismE0ELb0ELb0ES3_N6thrust23THRUST_200600_302600_NS6detail15normal_iteratorINS9_10device_ptrIiEEEESE_iNS9_4plusIiEEiEEDaPvRmT3_T4_T5_mT6_P12ihipStream_tbENKUlT_T0_E_clISt17integral_constantIbLb0EESU_EEDaSP_SQ_EUlSP_E_NS1_11comp_targetILNS1_3genE0ELNS1_11target_archE4294967295ELNS1_3gpuE0ELNS1_3repE0EEENS1_30default_config_static_selectorELNS0_4arch9wavefront6targetE1EEEvT1_,"axG",@progbits,_ZN7rocprim17ROCPRIM_400000_NS6detail17trampoline_kernelINS0_14default_configENS1_20scan_config_selectorIiEEZZNS1_9scan_implILNS1_25lookback_scan_determinismE0ELb0ELb0ES3_N6thrust23THRUST_200600_302600_NS6detail15normal_iteratorINS9_10device_ptrIiEEEESE_iNS9_4plusIiEEiEEDaPvRmT3_T4_T5_mT6_P12ihipStream_tbENKUlT_T0_E_clISt17integral_constantIbLb0EESU_EEDaSP_SQ_EUlSP_E_NS1_11comp_targetILNS1_3genE0ELNS1_11target_archE4294967295ELNS1_3gpuE0ELNS1_3repE0EEENS1_30default_config_static_selectorELNS0_4arch9wavefront6targetE1EEEvT1_,comdat
.Lfunc_end505:
	.size	_ZN7rocprim17ROCPRIM_400000_NS6detail17trampoline_kernelINS0_14default_configENS1_20scan_config_selectorIiEEZZNS1_9scan_implILNS1_25lookback_scan_determinismE0ELb0ELb0ES3_N6thrust23THRUST_200600_302600_NS6detail15normal_iteratorINS9_10device_ptrIiEEEESE_iNS9_4plusIiEEiEEDaPvRmT3_T4_T5_mT6_P12ihipStream_tbENKUlT_T0_E_clISt17integral_constantIbLb0EESU_EEDaSP_SQ_EUlSP_E_NS1_11comp_targetILNS1_3genE0ELNS1_11target_archE4294967295ELNS1_3gpuE0ELNS1_3repE0EEENS1_30default_config_static_selectorELNS0_4arch9wavefront6targetE1EEEvT1_, .Lfunc_end505-_ZN7rocprim17ROCPRIM_400000_NS6detail17trampoline_kernelINS0_14default_configENS1_20scan_config_selectorIiEEZZNS1_9scan_implILNS1_25lookback_scan_determinismE0ELb0ELb0ES3_N6thrust23THRUST_200600_302600_NS6detail15normal_iteratorINS9_10device_ptrIiEEEESE_iNS9_4plusIiEEiEEDaPvRmT3_T4_T5_mT6_P12ihipStream_tbENKUlT_T0_E_clISt17integral_constantIbLb0EESU_EEDaSP_SQ_EUlSP_E_NS1_11comp_targetILNS1_3genE0ELNS1_11target_archE4294967295ELNS1_3gpuE0ELNS1_3repE0EEENS1_30default_config_static_selectorELNS0_4arch9wavefront6targetE1EEEvT1_
                                        ; -- End function
	.section	.AMDGPU.csdata,"",@progbits
; Kernel info:
; codeLenInByte = 0
; NumSgprs: 4
; NumVgprs: 0
; NumAgprs: 0
; TotalNumVgprs: 0
; ScratchSize: 0
; MemoryBound: 0
; FloatMode: 240
; IeeeMode: 1
; LDSByteSize: 0 bytes/workgroup (compile time only)
; SGPRBlocks: 0
; VGPRBlocks: 0
; NumSGPRsForWavesPerEU: 4
; NumVGPRsForWavesPerEU: 1
; AccumOffset: 4
; Occupancy: 8
; WaveLimiterHint : 0
; COMPUTE_PGM_RSRC2:SCRATCH_EN: 0
; COMPUTE_PGM_RSRC2:USER_SGPR: 6
; COMPUTE_PGM_RSRC2:TRAP_HANDLER: 0
; COMPUTE_PGM_RSRC2:TGID_X_EN: 1
; COMPUTE_PGM_RSRC2:TGID_Y_EN: 0
; COMPUTE_PGM_RSRC2:TGID_Z_EN: 0
; COMPUTE_PGM_RSRC2:TIDIG_COMP_CNT: 0
; COMPUTE_PGM_RSRC3_GFX90A:ACCUM_OFFSET: 0
; COMPUTE_PGM_RSRC3_GFX90A:TG_SPLIT: 0
	.section	.text._ZN7rocprim17ROCPRIM_400000_NS6detail17trampoline_kernelINS0_14default_configENS1_20scan_config_selectorIiEEZZNS1_9scan_implILNS1_25lookback_scan_determinismE0ELb0ELb0ES3_N6thrust23THRUST_200600_302600_NS6detail15normal_iteratorINS9_10device_ptrIiEEEESE_iNS9_4plusIiEEiEEDaPvRmT3_T4_T5_mT6_P12ihipStream_tbENKUlT_T0_E_clISt17integral_constantIbLb0EESU_EEDaSP_SQ_EUlSP_E_NS1_11comp_targetILNS1_3genE5ELNS1_11target_archE942ELNS1_3gpuE9ELNS1_3repE0EEENS1_30default_config_static_selectorELNS0_4arch9wavefront6targetE1EEEvT1_,"axG",@progbits,_ZN7rocprim17ROCPRIM_400000_NS6detail17trampoline_kernelINS0_14default_configENS1_20scan_config_selectorIiEEZZNS1_9scan_implILNS1_25lookback_scan_determinismE0ELb0ELb0ES3_N6thrust23THRUST_200600_302600_NS6detail15normal_iteratorINS9_10device_ptrIiEEEESE_iNS9_4plusIiEEiEEDaPvRmT3_T4_T5_mT6_P12ihipStream_tbENKUlT_T0_E_clISt17integral_constantIbLb0EESU_EEDaSP_SQ_EUlSP_E_NS1_11comp_targetILNS1_3genE5ELNS1_11target_archE942ELNS1_3gpuE9ELNS1_3repE0EEENS1_30default_config_static_selectorELNS0_4arch9wavefront6targetE1EEEvT1_,comdat
	.protected	_ZN7rocprim17ROCPRIM_400000_NS6detail17trampoline_kernelINS0_14default_configENS1_20scan_config_selectorIiEEZZNS1_9scan_implILNS1_25lookback_scan_determinismE0ELb0ELb0ES3_N6thrust23THRUST_200600_302600_NS6detail15normal_iteratorINS9_10device_ptrIiEEEESE_iNS9_4plusIiEEiEEDaPvRmT3_T4_T5_mT6_P12ihipStream_tbENKUlT_T0_E_clISt17integral_constantIbLb0EESU_EEDaSP_SQ_EUlSP_E_NS1_11comp_targetILNS1_3genE5ELNS1_11target_archE942ELNS1_3gpuE9ELNS1_3repE0EEENS1_30default_config_static_selectorELNS0_4arch9wavefront6targetE1EEEvT1_ ; -- Begin function _ZN7rocprim17ROCPRIM_400000_NS6detail17trampoline_kernelINS0_14default_configENS1_20scan_config_selectorIiEEZZNS1_9scan_implILNS1_25lookback_scan_determinismE0ELb0ELb0ES3_N6thrust23THRUST_200600_302600_NS6detail15normal_iteratorINS9_10device_ptrIiEEEESE_iNS9_4plusIiEEiEEDaPvRmT3_T4_T5_mT6_P12ihipStream_tbENKUlT_T0_E_clISt17integral_constantIbLb0EESU_EEDaSP_SQ_EUlSP_E_NS1_11comp_targetILNS1_3genE5ELNS1_11target_archE942ELNS1_3gpuE9ELNS1_3repE0EEENS1_30default_config_static_selectorELNS0_4arch9wavefront6targetE1EEEvT1_
	.globl	_ZN7rocprim17ROCPRIM_400000_NS6detail17trampoline_kernelINS0_14default_configENS1_20scan_config_selectorIiEEZZNS1_9scan_implILNS1_25lookback_scan_determinismE0ELb0ELb0ES3_N6thrust23THRUST_200600_302600_NS6detail15normal_iteratorINS9_10device_ptrIiEEEESE_iNS9_4plusIiEEiEEDaPvRmT3_T4_T5_mT6_P12ihipStream_tbENKUlT_T0_E_clISt17integral_constantIbLb0EESU_EEDaSP_SQ_EUlSP_E_NS1_11comp_targetILNS1_3genE5ELNS1_11target_archE942ELNS1_3gpuE9ELNS1_3repE0EEENS1_30default_config_static_selectorELNS0_4arch9wavefront6targetE1EEEvT1_
	.p2align	8
	.type	_ZN7rocprim17ROCPRIM_400000_NS6detail17trampoline_kernelINS0_14default_configENS1_20scan_config_selectorIiEEZZNS1_9scan_implILNS1_25lookback_scan_determinismE0ELb0ELb0ES3_N6thrust23THRUST_200600_302600_NS6detail15normal_iteratorINS9_10device_ptrIiEEEESE_iNS9_4plusIiEEiEEDaPvRmT3_T4_T5_mT6_P12ihipStream_tbENKUlT_T0_E_clISt17integral_constantIbLb0EESU_EEDaSP_SQ_EUlSP_E_NS1_11comp_targetILNS1_3genE5ELNS1_11target_archE942ELNS1_3gpuE9ELNS1_3repE0EEENS1_30default_config_static_selectorELNS0_4arch9wavefront6targetE1EEEvT1_,@function
_ZN7rocprim17ROCPRIM_400000_NS6detail17trampoline_kernelINS0_14default_configENS1_20scan_config_selectorIiEEZZNS1_9scan_implILNS1_25lookback_scan_determinismE0ELb0ELb0ES3_N6thrust23THRUST_200600_302600_NS6detail15normal_iteratorINS9_10device_ptrIiEEEESE_iNS9_4plusIiEEiEEDaPvRmT3_T4_T5_mT6_P12ihipStream_tbENKUlT_T0_E_clISt17integral_constantIbLb0EESU_EEDaSP_SQ_EUlSP_E_NS1_11comp_targetILNS1_3genE5ELNS1_11target_archE942ELNS1_3gpuE9ELNS1_3repE0EEENS1_30default_config_static_selectorELNS0_4arch9wavefront6targetE1EEEvT1_: ; @_ZN7rocprim17ROCPRIM_400000_NS6detail17trampoline_kernelINS0_14default_configENS1_20scan_config_selectorIiEEZZNS1_9scan_implILNS1_25lookback_scan_determinismE0ELb0ELb0ES3_N6thrust23THRUST_200600_302600_NS6detail15normal_iteratorINS9_10device_ptrIiEEEESE_iNS9_4plusIiEEiEEDaPvRmT3_T4_T5_mT6_P12ihipStream_tbENKUlT_T0_E_clISt17integral_constantIbLb0EESU_EEDaSP_SQ_EUlSP_E_NS1_11comp_targetILNS1_3genE5ELNS1_11target_archE942ELNS1_3gpuE9ELNS1_3repE0EEENS1_30default_config_static_selectorELNS0_4arch9wavefront6targetE1EEEvT1_
; %bb.0:
	.section	.rodata,"a",@progbits
	.p2align	6, 0x0
	.amdhsa_kernel _ZN7rocprim17ROCPRIM_400000_NS6detail17trampoline_kernelINS0_14default_configENS1_20scan_config_selectorIiEEZZNS1_9scan_implILNS1_25lookback_scan_determinismE0ELb0ELb0ES3_N6thrust23THRUST_200600_302600_NS6detail15normal_iteratorINS9_10device_ptrIiEEEESE_iNS9_4plusIiEEiEEDaPvRmT3_T4_T5_mT6_P12ihipStream_tbENKUlT_T0_E_clISt17integral_constantIbLb0EESU_EEDaSP_SQ_EUlSP_E_NS1_11comp_targetILNS1_3genE5ELNS1_11target_archE942ELNS1_3gpuE9ELNS1_3repE0EEENS1_30default_config_static_selectorELNS0_4arch9wavefront6targetE1EEEvT1_
		.amdhsa_group_segment_fixed_size 0
		.amdhsa_private_segment_fixed_size 0
		.amdhsa_kernarg_size 96
		.amdhsa_user_sgpr_count 6
		.amdhsa_user_sgpr_private_segment_buffer 1
		.amdhsa_user_sgpr_dispatch_ptr 0
		.amdhsa_user_sgpr_queue_ptr 0
		.amdhsa_user_sgpr_kernarg_segment_ptr 1
		.amdhsa_user_sgpr_dispatch_id 0
		.amdhsa_user_sgpr_flat_scratch_init 0
		.amdhsa_user_sgpr_kernarg_preload_length 0
		.amdhsa_user_sgpr_kernarg_preload_offset 0
		.amdhsa_user_sgpr_private_segment_size 0
		.amdhsa_uses_dynamic_stack 0
		.amdhsa_system_sgpr_private_segment_wavefront_offset 0
		.amdhsa_system_sgpr_workgroup_id_x 1
		.amdhsa_system_sgpr_workgroup_id_y 0
		.amdhsa_system_sgpr_workgroup_id_z 0
		.amdhsa_system_sgpr_workgroup_info 0
		.amdhsa_system_vgpr_workitem_id 0
		.amdhsa_next_free_vgpr 1
		.amdhsa_next_free_sgpr 0
		.amdhsa_accum_offset 4
		.amdhsa_reserve_vcc 0
		.amdhsa_reserve_flat_scratch 0
		.amdhsa_float_round_mode_32 0
		.amdhsa_float_round_mode_16_64 0
		.amdhsa_float_denorm_mode_32 3
		.amdhsa_float_denorm_mode_16_64 3
		.amdhsa_dx10_clamp 1
		.amdhsa_ieee_mode 1
		.amdhsa_fp16_overflow 0
		.amdhsa_tg_split 0
		.amdhsa_exception_fp_ieee_invalid_op 0
		.amdhsa_exception_fp_denorm_src 0
		.amdhsa_exception_fp_ieee_div_zero 0
		.amdhsa_exception_fp_ieee_overflow 0
		.amdhsa_exception_fp_ieee_underflow 0
		.amdhsa_exception_fp_ieee_inexact 0
		.amdhsa_exception_int_div_zero 0
	.end_amdhsa_kernel
	.section	.text._ZN7rocprim17ROCPRIM_400000_NS6detail17trampoline_kernelINS0_14default_configENS1_20scan_config_selectorIiEEZZNS1_9scan_implILNS1_25lookback_scan_determinismE0ELb0ELb0ES3_N6thrust23THRUST_200600_302600_NS6detail15normal_iteratorINS9_10device_ptrIiEEEESE_iNS9_4plusIiEEiEEDaPvRmT3_T4_T5_mT6_P12ihipStream_tbENKUlT_T0_E_clISt17integral_constantIbLb0EESU_EEDaSP_SQ_EUlSP_E_NS1_11comp_targetILNS1_3genE5ELNS1_11target_archE942ELNS1_3gpuE9ELNS1_3repE0EEENS1_30default_config_static_selectorELNS0_4arch9wavefront6targetE1EEEvT1_,"axG",@progbits,_ZN7rocprim17ROCPRIM_400000_NS6detail17trampoline_kernelINS0_14default_configENS1_20scan_config_selectorIiEEZZNS1_9scan_implILNS1_25lookback_scan_determinismE0ELb0ELb0ES3_N6thrust23THRUST_200600_302600_NS6detail15normal_iteratorINS9_10device_ptrIiEEEESE_iNS9_4plusIiEEiEEDaPvRmT3_T4_T5_mT6_P12ihipStream_tbENKUlT_T0_E_clISt17integral_constantIbLb0EESU_EEDaSP_SQ_EUlSP_E_NS1_11comp_targetILNS1_3genE5ELNS1_11target_archE942ELNS1_3gpuE9ELNS1_3repE0EEENS1_30default_config_static_selectorELNS0_4arch9wavefront6targetE1EEEvT1_,comdat
.Lfunc_end506:
	.size	_ZN7rocprim17ROCPRIM_400000_NS6detail17trampoline_kernelINS0_14default_configENS1_20scan_config_selectorIiEEZZNS1_9scan_implILNS1_25lookback_scan_determinismE0ELb0ELb0ES3_N6thrust23THRUST_200600_302600_NS6detail15normal_iteratorINS9_10device_ptrIiEEEESE_iNS9_4plusIiEEiEEDaPvRmT3_T4_T5_mT6_P12ihipStream_tbENKUlT_T0_E_clISt17integral_constantIbLb0EESU_EEDaSP_SQ_EUlSP_E_NS1_11comp_targetILNS1_3genE5ELNS1_11target_archE942ELNS1_3gpuE9ELNS1_3repE0EEENS1_30default_config_static_selectorELNS0_4arch9wavefront6targetE1EEEvT1_, .Lfunc_end506-_ZN7rocprim17ROCPRIM_400000_NS6detail17trampoline_kernelINS0_14default_configENS1_20scan_config_selectorIiEEZZNS1_9scan_implILNS1_25lookback_scan_determinismE0ELb0ELb0ES3_N6thrust23THRUST_200600_302600_NS6detail15normal_iteratorINS9_10device_ptrIiEEEESE_iNS9_4plusIiEEiEEDaPvRmT3_T4_T5_mT6_P12ihipStream_tbENKUlT_T0_E_clISt17integral_constantIbLb0EESU_EEDaSP_SQ_EUlSP_E_NS1_11comp_targetILNS1_3genE5ELNS1_11target_archE942ELNS1_3gpuE9ELNS1_3repE0EEENS1_30default_config_static_selectorELNS0_4arch9wavefront6targetE1EEEvT1_
                                        ; -- End function
	.section	.AMDGPU.csdata,"",@progbits
; Kernel info:
; codeLenInByte = 0
; NumSgprs: 4
; NumVgprs: 0
; NumAgprs: 0
; TotalNumVgprs: 0
; ScratchSize: 0
; MemoryBound: 0
; FloatMode: 240
; IeeeMode: 1
; LDSByteSize: 0 bytes/workgroup (compile time only)
; SGPRBlocks: 0
; VGPRBlocks: 0
; NumSGPRsForWavesPerEU: 4
; NumVGPRsForWavesPerEU: 1
; AccumOffset: 4
; Occupancy: 8
; WaveLimiterHint : 0
; COMPUTE_PGM_RSRC2:SCRATCH_EN: 0
; COMPUTE_PGM_RSRC2:USER_SGPR: 6
; COMPUTE_PGM_RSRC2:TRAP_HANDLER: 0
; COMPUTE_PGM_RSRC2:TGID_X_EN: 1
; COMPUTE_PGM_RSRC2:TGID_Y_EN: 0
; COMPUTE_PGM_RSRC2:TGID_Z_EN: 0
; COMPUTE_PGM_RSRC2:TIDIG_COMP_CNT: 0
; COMPUTE_PGM_RSRC3_GFX90A:ACCUM_OFFSET: 0
; COMPUTE_PGM_RSRC3_GFX90A:TG_SPLIT: 0
	.section	.text._ZN7rocprim17ROCPRIM_400000_NS6detail17trampoline_kernelINS0_14default_configENS1_20scan_config_selectorIiEEZZNS1_9scan_implILNS1_25lookback_scan_determinismE0ELb0ELb0ES3_N6thrust23THRUST_200600_302600_NS6detail15normal_iteratorINS9_10device_ptrIiEEEESE_iNS9_4plusIiEEiEEDaPvRmT3_T4_T5_mT6_P12ihipStream_tbENKUlT_T0_E_clISt17integral_constantIbLb0EESU_EEDaSP_SQ_EUlSP_E_NS1_11comp_targetILNS1_3genE4ELNS1_11target_archE910ELNS1_3gpuE8ELNS1_3repE0EEENS1_30default_config_static_selectorELNS0_4arch9wavefront6targetE1EEEvT1_,"axG",@progbits,_ZN7rocprim17ROCPRIM_400000_NS6detail17trampoline_kernelINS0_14default_configENS1_20scan_config_selectorIiEEZZNS1_9scan_implILNS1_25lookback_scan_determinismE0ELb0ELb0ES3_N6thrust23THRUST_200600_302600_NS6detail15normal_iteratorINS9_10device_ptrIiEEEESE_iNS9_4plusIiEEiEEDaPvRmT3_T4_T5_mT6_P12ihipStream_tbENKUlT_T0_E_clISt17integral_constantIbLb0EESU_EEDaSP_SQ_EUlSP_E_NS1_11comp_targetILNS1_3genE4ELNS1_11target_archE910ELNS1_3gpuE8ELNS1_3repE0EEENS1_30default_config_static_selectorELNS0_4arch9wavefront6targetE1EEEvT1_,comdat
	.protected	_ZN7rocprim17ROCPRIM_400000_NS6detail17trampoline_kernelINS0_14default_configENS1_20scan_config_selectorIiEEZZNS1_9scan_implILNS1_25lookback_scan_determinismE0ELb0ELb0ES3_N6thrust23THRUST_200600_302600_NS6detail15normal_iteratorINS9_10device_ptrIiEEEESE_iNS9_4plusIiEEiEEDaPvRmT3_T4_T5_mT6_P12ihipStream_tbENKUlT_T0_E_clISt17integral_constantIbLb0EESU_EEDaSP_SQ_EUlSP_E_NS1_11comp_targetILNS1_3genE4ELNS1_11target_archE910ELNS1_3gpuE8ELNS1_3repE0EEENS1_30default_config_static_selectorELNS0_4arch9wavefront6targetE1EEEvT1_ ; -- Begin function _ZN7rocprim17ROCPRIM_400000_NS6detail17trampoline_kernelINS0_14default_configENS1_20scan_config_selectorIiEEZZNS1_9scan_implILNS1_25lookback_scan_determinismE0ELb0ELb0ES3_N6thrust23THRUST_200600_302600_NS6detail15normal_iteratorINS9_10device_ptrIiEEEESE_iNS9_4plusIiEEiEEDaPvRmT3_T4_T5_mT6_P12ihipStream_tbENKUlT_T0_E_clISt17integral_constantIbLb0EESU_EEDaSP_SQ_EUlSP_E_NS1_11comp_targetILNS1_3genE4ELNS1_11target_archE910ELNS1_3gpuE8ELNS1_3repE0EEENS1_30default_config_static_selectorELNS0_4arch9wavefront6targetE1EEEvT1_
	.globl	_ZN7rocprim17ROCPRIM_400000_NS6detail17trampoline_kernelINS0_14default_configENS1_20scan_config_selectorIiEEZZNS1_9scan_implILNS1_25lookback_scan_determinismE0ELb0ELb0ES3_N6thrust23THRUST_200600_302600_NS6detail15normal_iteratorINS9_10device_ptrIiEEEESE_iNS9_4plusIiEEiEEDaPvRmT3_T4_T5_mT6_P12ihipStream_tbENKUlT_T0_E_clISt17integral_constantIbLb0EESU_EEDaSP_SQ_EUlSP_E_NS1_11comp_targetILNS1_3genE4ELNS1_11target_archE910ELNS1_3gpuE8ELNS1_3repE0EEENS1_30default_config_static_selectorELNS0_4arch9wavefront6targetE1EEEvT1_
	.p2align	8
	.type	_ZN7rocprim17ROCPRIM_400000_NS6detail17trampoline_kernelINS0_14default_configENS1_20scan_config_selectorIiEEZZNS1_9scan_implILNS1_25lookback_scan_determinismE0ELb0ELb0ES3_N6thrust23THRUST_200600_302600_NS6detail15normal_iteratorINS9_10device_ptrIiEEEESE_iNS9_4plusIiEEiEEDaPvRmT3_T4_T5_mT6_P12ihipStream_tbENKUlT_T0_E_clISt17integral_constantIbLb0EESU_EEDaSP_SQ_EUlSP_E_NS1_11comp_targetILNS1_3genE4ELNS1_11target_archE910ELNS1_3gpuE8ELNS1_3repE0EEENS1_30default_config_static_selectorELNS0_4arch9wavefront6targetE1EEEvT1_,@function
_ZN7rocprim17ROCPRIM_400000_NS6detail17trampoline_kernelINS0_14default_configENS1_20scan_config_selectorIiEEZZNS1_9scan_implILNS1_25lookback_scan_determinismE0ELb0ELb0ES3_N6thrust23THRUST_200600_302600_NS6detail15normal_iteratorINS9_10device_ptrIiEEEESE_iNS9_4plusIiEEiEEDaPvRmT3_T4_T5_mT6_P12ihipStream_tbENKUlT_T0_E_clISt17integral_constantIbLb0EESU_EEDaSP_SQ_EUlSP_E_NS1_11comp_targetILNS1_3genE4ELNS1_11target_archE910ELNS1_3gpuE8ELNS1_3repE0EEENS1_30default_config_static_selectorELNS0_4arch9wavefront6targetE1EEEvT1_: ; @_ZN7rocprim17ROCPRIM_400000_NS6detail17trampoline_kernelINS0_14default_configENS1_20scan_config_selectorIiEEZZNS1_9scan_implILNS1_25lookback_scan_determinismE0ELb0ELb0ES3_N6thrust23THRUST_200600_302600_NS6detail15normal_iteratorINS9_10device_ptrIiEEEESE_iNS9_4plusIiEEiEEDaPvRmT3_T4_T5_mT6_P12ihipStream_tbENKUlT_T0_E_clISt17integral_constantIbLb0EESU_EEDaSP_SQ_EUlSP_E_NS1_11comp_targetILNS1_3genE4ELNS1_11target_archE910ELNS1_3gpuE8ELNS1_3repE0EEENS1_30default_config_static_selectorELNS0_4arch9wavefront6targetE1EEEvT1_
; %bb.0:
	s_load_dwordx8 s[8:15], s[4:5], 0x0
	s_load_dword s1, s[4:5], 0x30
	s_mul_i32 s0, s6, 0x500
	v_lshlrev_b32_e32 v22, 2, v0
	s_waitcnt lgkmcnt(0)
	s_lshl_b64 s[16:17], s[10:11], 2
	s_add_u32 s2, s8, s16
	s_addc_u32 s3, s9, s17
	s_add_i32 s7, s1, -1
	s_mul_i32 s8, s7, 0x500
	s_sub_u32 s24, s14, s8
	s_subb_u32 s25, s15, 0
	s_mov_b32 s1, 0
	s_cmp_lg_u32 s6, s7
	s_cselect_b64 s[14:15], -1, 0
	s_lshl_b64 s[18:19], s[0:1], 2
	s_add_u32 s2, s2, s18
	s_addc_u32 s3, s3, s19
	s_mov_b64 s[0:1], -1
	s_and_b64 vcc, exec, s[14:15]
	s_cbranch_vccz .LBB507_2
; %bb.1:
	v_mov_b32_e32 v1, s3
	v_add_co_u32_e32 v2, vcc, s2, v22
	v_addc_co_u32_e32 v3, vcc, 0, v1, vcc
	flat_load_dword v1, v[2:3]
	flat_load_dword v4, v[2:3] offset:512
	flat_load_dword v5, v[2:3] offset:1024
	;; [unrolled: 1-line block ×7, first 2 shown]
	v_add_co_u32_e32 v2, vcc, 0x1000, v2
	v_addc_co_u32_e32 v3, vcc, 0, v3, vcc
	flat_load_dword v11, v[2:3]
	flat_load_dword v12, v[2:3] offset:512
	s_mov_b64 s[0:1], 0
	s_waitcnt vmcnt(0) lgkmcnt(0)
	ds_write2st64_b32 v22, v1, v4 offset1:2
	ds_write2st64_b32 v22, v5, v6 offset0:4 offset1:6
	ds_write2st64_b32 v22, v7, v8 offset0:8 offset1:10
	;; [unrolled: 1-line block ×4, first 2 shown]
	s_waitcnt lgkmcnt(0)
	s_barrier
.LBB507_2:
	s_load_dwordx2 s[20:21], s[4:5], 0x28
	s_andn2_b64 vcc, exec, s[0:1]
	v_cmp_gt_u32_e64 s[0:1], s24, v0
	s_cbranch_vccnz .LBB507_24
; %bb.3:
	v_pk_mov_b32 v[2:3], s[2:3], s[2:3] op_sel:[0,1]
	flat_load_dword v1, v[2:3]
	s_waitcnt vmcnt(0) lgkmcnt(0)
	v_mov_b32_e32 v2, v1
	v_mov_b32_e32 v3, v1
	;; [unrolled: 1-line block ×9, first 2 shown]
	s_and_saveexec_b64 s[8:9], s[0:1]
	s_cbranch_execz .LBB507_5
; %bb.4:
	v_mov_b32_e32 v11, s3
	v_add_co_u32_e32 v10, vcc, s2, v22
	v_addc_co_u32_e32 v11, vcc, 0, v11, vcc
	flat_load_dword v10, v[10:11]
.LBB507_5:
	s_or_b64 exec, exec, s[8:9]
	v_or_b32_e32 v11, 0x80, v0
	v_cmp_gt_u32_e32 vcc, s24, v11
	s_and_saveexec_b64 s[0:1], vcc
	s_cbranch_execz .LBB507_7
; %bb.6:
	v_mov_b32_e32 v1, s3
	v_add_co_u32_e32 v12, vcc, s2, v22
	v_addc_co_u32_e32 v13, vcc, 0, v1, vcc
	flat_load_dword v1, v[12:13] offset:512
.LBB507_7:
	s_or_b64 exec, exec, s[0:1]
	v_or_b32_e32 v11, 0x100, v0
	v_cmp_gt_u32_e32 vcc, s24, v11
	s_and_saveexec_b64 s[0:1], vcc
	s_cbranch_execz .LBB507_9
; %bb.8:
	v_mov_b32_e32 v2, s3
	v_add_co_u32_e32 v12, vcc, s2, v22
	v_addc_co_u32_e32 v13, vcc, 0, v2, vcc
	flat_load_dword v2, v[12:13] offset:1024
.LBB507_9:
	;; [unrolled: 11-line block ×7, first 2 shown]
	s_or_b64 exec, exec, s[0:1]
	v_or_b32_e32 v11, 0x400, v0
	v_cmp_gt_u32_e32 vcc, s24, v11
	s_and_saveexec_b64 s[0:1], vcc
	s_cbranch_execz .LBB507_21
; %bb.20:
	v_lshlrev_b32_e32 v8, 2, v11
	v_mov_b32_e32 v11, s3
	v_add_co_u32_e32 v12, vcc, s2, v8
	v_addc_co_u32_e32 v13, vcc, 0, v11, vcc
	flat_load_dword v8, v[12:13]
.LBB507_21:
	s_or_b64 exec, exec, s[0:1]
	v_or_b32_e32 v11, 0x480, v0
	v_cmp_gt_u32_e32 vcc, s24, v11
	s_and_saveexec_b64 s[0:1], vcc
	s_cbranch_execz .LBB507_23
; %bb.22:
	v_lshlrev_b32_e32 v9, 2, v11
	v_mov_b32_e32 v11, s3
	v_add_co_u32_e32 v12, vcc, s2, v9
	v_addc_co_u32_e32 v13, vcc, 0, v11, vcc
	flat_load_dword v9, v[12:13]
.LBB507_23:
	s_or_b64 exec, exec, s[0:1]
	s_waitcnt vmcnt(0) lgkmcnt(0)
	ds_write2st64_b32 v22, v10, v1 offset1:2
	ds_write2st64_b32 v22, v2, v3 offset0:4 offset1:6
	ds_write2st64_b32 v22, v4, v5 offset0:8 offset1:10
	;; [unrolled: 1-line block ×4, first 2 shown]
	s_waitcnt lgkmcnt(0)
	s_barrier
.LBB507_24:
	v_mul_u32_u24_e32 v23, 10, v0
	v_lshlrev_b32_e32 v1, 2, v23
	s_waitcnt lgkmcnt(0)
	ds_read2_b64 v[2:5], v1 offset1:1
	ds_read2_b64 v[16:19], v1 offset0:2 offset1:3
	ds_read_b64 v[20:21], v1 offset:32
	s_cmp_lg_u32 s6, 0
	v_lshrrev_b32_e32 v24, 5, v0
	v_cmp_gt_u32_e32 vcc, 64, v0
	s_waitcnt lgkmcnt(0)
	s_barrier
	s_cbranch_scc0 .LBB507_49
; %bb.25:
	v_add_u32_e32 v6, v3, v2
	v_add3_u32 v6, v6, v4, v5
	v_add3_u32 v6, v6, v16, v17
	;; [unrolled: 1-line block ×4, first 2 shown]
	v_add_lshl_u32 v7, v24, v0, 2
	ds_write_b32 v7, v6
	s_waitcnt lgkmcnt(0)
	s_barrier
	s_and_saveexec_b64 s[2:3], vcc
	s_cbranch_execz .LBB507_27
; %bb.26:
	v_lshlrev_b32_e32 v7, 1, v0
	v_lshrrev_b32_e32 v8, 4, v0
	v_add_lshl_u32 v7, v8, v7, 2
	ds_read2_b32 v[8:9], v7 offset1:1
	v_mbcnt_lo_u32_b32 v10, -1, 0
	v_mbcnt_hi_u32_b32 v10, -1, v10
	v_and_b32_e32 v11, 15, v10
	v_cmp_ne_u32_e64 s[0:1], 0, v11
	s_waitcnt lgkmcnt(0)
	v_add_u32_e32 v9, v9, v8
	; wave barrier
	s_nop 1
	v_mov_b32_dpp v12, v9 row_shr:1 row_mask:0xf bank_mask:0xf
	v_cndmask_b32_e64 v12, 0, v12, s[0:1]
	v_add_u32_e32 v9, v12, v9
	v_cmp_lt_u32_e64 s[0:1], 1, v11
	s_nop 0
	v_mov_b32_dpp v12, v9 row_shr:2 row_mask:0xf bank_mask:0xf
	v_cndmask_b32_e64 v12, 0, v12, s[0:1]
	v_add_u32_e32 v9, v9, v12
	v_cmp_lt_u32_e64 s[0:1], 3, v11
	;; [unrolled: 5-line block ×3, first 2 shown]
	s_nop 0
	v_mov_b32_dpp v12, v9 row_shr:8 row_mask:0xf bank_mask:0xf
	v_cndmask_b32_e64 v11, 0, v12, s[0:1]
	v_add_u32_e32 v9, v9, v11
	v_bfe_i32 v12, v10, 4, 1
	v_cmp_lt_u32_e64 s[0:1], 31, v10
	v_mov_b32_dpp v11, v9 row_bcast:15 row_mask:0xf bank_mask:0xf
	v_and_b32_e32 v11, v12, v11
	v_add_u32_e32 v9, v9, v11
	v_and_b32_e32 v12, 64, v10
	s_nop 0
	v_mov_b32_dpp v11, v9 row_bcast:31 row_mask:0xf bank_mask:0xf
	v_cndmask_b32_e64 v11, 0, v11, s[0:1]
	v_add_u32_e32 v9, v9, v11
	v_add_u32_e32 v11, -1, v10
	v_cmp_lt_i32_e64 s[0:1], v11, v12
	v_cndmask_b32_e64 v10, v11, v10, s[0:1]
	v_lshlrev_b32_e32 v10, 2, v10
	ds_bpermute_b32 v9, v10, v9
	v_cmp_eq_u32_e64 s[0:1], 0, v0
	s_waitcnt lgkmcnt(0)
	v_add_u32_e32 v8, v9, v8
	v_cndmask_b32_e64 v6, v8, v6, s[0:1]
	ds_write_b32 v7, v6
	; wave barrier
	ds_read_b32 v8, v7 offset:4
	s_waitcnt lgkmcnt(0)
	v_add_u32_e32 v6, v8, v6
	ds_write_b32 v7, v6 offset:4
.LBB507_27:
	s_or_b64 exec, exec, s[2:3]
	v_cmp_eq_u32_e64 s[0:1], 0, v0
	v_cmp_ne_u32_e64 s[2:3], 0, v0
	v_mov_b32_e32 v25, 0
	s_waitcnt lgkmcnt(0)
	s_barrier
	s_and_saveexec_b64 s[8:9], s[2:3]
	s_cbranch_execz .LBB507_29
; %bb.28:
	v_add_u32_e32 v6, -1, v0
	v_lshrrev_b32_e32 v7, 5, v6
	v_add_lshl_u32 v6, v7, v6, 2
	ds_read_b32 v25, v6
.LBB507_29:
	s_or_b64 exec, exec, s[8:9]
	s_and_saveexec_b64 s[8:9], vcc
	s_cbranch_execz .LBB507_48
; %bb.30:
	v_mov_b32_e32 v13, 0
	ds_read_b32 v6, v13 offset:520
	v_mbcnt_lo_u32_b32 v7, -1, 0
	v_mbcnt_hi_u32_b32 v9, -1, v7
	s_mov_b32 s23, 0
	v_cmp_eq_u32_e64 s[2:3], 0, v9
	s_and_saveexec_b64 s[10:11], s[2:3]
	s_cbranch_execz .LBB507_32
; %bb.31:
	s_add_i32 s22, s6, 64
	s_lshl_b64 s[22:23], s[22:23], 3
	s_add_u32 s22, s20, s22
	v_mov_b32_e32 v7, 1
	s_addc_u32 s23, s21, s23
	s_waitcnt lgkmcnt(0)
	global_store_dwordx2 v13, v[6:7], s[22:23]
.LBB507_32:
	s_or_b64 exec, exec, s[10:11]
	v_xad_u32 v8, v9, -1, s6
	v_add_u32_e32 v12, 64, v8
	v_lshlrev_b64 v[10:11], 3, v[12:13]
	v_mov_b32_e32 v7, s21
	v_add_co_u32_e32 v14, vcc, s20, v10
	v_addc_co_u32_e32 v15, vcc, v7, v11, vcc
	global_load_dwordx2 v[10:11], v[14:15], off glc
	s_waitcnt vmcnt(0)
	v_cmp_eq_u16_sdwa s[22:23], v11, v13 src0_sel:BYTE_0 src1_sel:DWORD
	s_and_saveexec_b64 s[10:11], s[22:23]
	s_cbranch_execz .LBB507_36
; %bb.33:
	s_mov_b64 s[22:23], 0
	v_mov_b32_e32 v7, 0
.LBB507_34:                             ; =>This Inner Loop Header: Depth=1
	global_load_dwordx2 v[10:11], v[14:15], off glc
	s_waitcnt vmcnt(0)
	v_cmp_ne_u16_sdwa s[26:27], v11, v7 src0_sel:BYTE_0 src1_sel:DWORD
	s_or_b64 s[22:23], s[26:27], s[22:23]
	s_andn2_b64 exec, exec, s[22:23]
	s_cbranch_execnz .LBB507_34
; %bb.35:
	s_or_b64 exec, exec, s[22:23]
.LBB507_36:
	s_or_b64 exec, exec, s[10:11]
	v_and_b32_e32 v26, 63, v9
	v_mov_b32_e32 v7, 2
	v_cmp_ne_u32_e32 vcc, 63, v26
	v_cmp_eq_u16_sdwa s[10:11], v11, v7 src0_sel:BYTE_0 src1_sel:DWORD
	v_lshlrev_b64 v[12:13], v9, -1
	v_addc_co_u32_e32 v27, vcc, 0, v9, vcc
	v_and_b32_e32 v14, s11, v13
	v_lshlrev_b32_e32 v27, 2, v27
	v_or_b32_e32 v14, 0x80000000, v14
	ds_bpermute_b32 v28, v27, v10
	v_and_b32_e32 v15, s10, v12
	v_ffbl_b32_e32 v14, v14
	v_add_u32_e32 v14, 32, v14
	v_ffbl_b32_e32 v15, v15
	v_min_u32_e32 v14, v15, v14
	v_cmp_lt_u32_e32 vcc, v26, v14
	s_waitcnt lgkmcnt(0)
	v_cndmask_b32_e32 v15, 0, v28, vcc
	v_cmp_gt_u32_e32 vcc, 62, v26
	v_add_u32_e32 v10, v15, v10
	v_cndmask_b32_e64 v15, 0, 1, vcc
	v_lshlrev_b32_e32 v15, 1, v15
	v_add_lshl_u32 v28, v15, v9, 2
	ds_bpermute_b32 v15, v28, v10
	v_add_u32_e32 v29, 2, v26
	v_cmp_le_u32_e32 vcc, v29, v14
	v_add_u32_e32 v31, 4, v26
	v_add_u32_e32 v33, 8, v26
	s_waitcnt lgkmcnt(0)
	v_cndmask_b32_e32 v15, 0, v15, vcc
	v_cmp_gt_u32_e32 vcc, 60, v26
	v_add_u32_e32 v10, v10, v15
	v_cndmask_b32_e64 v15, 0, 1, vcc
	v_lshlrev_b32_e32 v15, 2, v15
	v_add_lshl_u32 v30, v15, v9, 2
	ds_bpermute_b32 v15, v30, v10
	v_cmp_le_u32_e32 vcc, v31, v14
	v_add_u32_e32 v36, 16, v26
	v_add_u32_e32 v38, 32, v26
	s_waitcnt lgkmcnt(0)
	v_cndmask_b32_e32 v15, 0, v15, vcc
	v_cmp_gt_u32_e32 vcc, 56, v26
	v_add_u32_e32 v10, v10, v15
	v_cndmask_b32_e64 v15, 0, 1, vcc
	v_lshlrev_b32_e32 v15, 3, v15
	v_add_lshl_u32 v32, v15, v9, 2
	ds_bpermute_b32 v15, v32, v10
	v_cmp_le_u32_e32 vcc, v33, v14
	s_waitcnt lgkmcnt(0)
	v_cndmask_b32_e32 v15, 0, v15, vcc
	v_cmp_gt_u32_e32 vcc, 48, v26
	v_add_u32_e32 v10, v10, v15
	v_cndmask_b32_e64 v15, 0, 1, vcc
	v_lshlrev_b32_e32 v15, 4, v15
	v_add_lshl_u32 v35, v15, v9, 2
	ds_bpermute_b32 v15, v35, v10
	v_cmp_le_u32_e32 vcc, v36, v14
	s_waitcnt lgkmcnt(0)
	v_cndmask_b32_e32 v15, 0, v15, vcc
	v_cmp_gt_u32_e32 vcc, 32, v26
	v_add_u32_e32 v10, v10, v15
	v_cndmask_b32_e64 v15, 0, 1, vcc
	v_lshlrev_b32_e32 v15, 5, v15
	v_add_lshl_u32 v37, v15, v9, 2
	ds_bpermute_b32 v9, v37, v10
	v_cmp_le_u32_e32 vcc, v38, v14
	s_waitcnt lgkmcnt(0)
	v_cndmask_b32_e32 v9, 0, v9, vcc
	v_add_u32_e32 v10, v10, v9
	v_mov_b32_e32 v9, 0
	s_branch .LBB507_38
.LBB507_37:                             ;   in Loop: Header=BB507_38 Depth=1
	s_or_b64 exec, exec, s[10:11]
	v_cmp_eq_u16_sdwa s[10:11], v11, v7 src0_sel:BYTE_0 src1_sel:DWORD
	v_and_b32_e32 v14, s11, v13
	v_or_b32_e32 v14, 0x80000000, v14
	ds_bpermute_b32 v39, v27, v10
	v_and_b32_e32 v15, s10, v12
	v_ffbl_b32_e32 v14, v14
	v_add_u32_e32 v14, 32, v14
	v_ffbl_b32_e32 v15, v15
	v_min_u32_e32 v14, v15, v14
	v_cmp_lt_u32_e32 vcc, v26, v14
	s_waitcnt lgkmcnt(0)
	v_cndmask_b32_e32 v15, 0, v39, vcc
	v_add_u32_e32 v10, v15, v10
	ds_bpermute_b32 v15, v28, v10
	v_cmp_le_u32_e32 vcc, v29, v14
	v_subrev_u32_e32 v8, 64, v8
	s_waitcnt lgkmcnt(0)
	v_cndmask_b32_e32 v15, 0, v15, vcc
	v_add_u32_e32 v10, v10, v15
	ds_bpermute_b32 v15, v30, v10
	v_cmp_le_u32_e32 vcc, v31, v14
	s_waitcnt lgkmcnt(0)
	v_cndmask_b32_e32 v15, 0, v15, vcc
	v_add_u32_e32 v10, v10, v15
	ds_bpermute_b32 v15, v32, v10
	v_cmp_le_u32_e32 vcc, v33, v14
	;; [unrolled: 5-line block ×4, first 2 shown]
	s_waitcnt lgkmcnt(0)
	v_cndmask_b32_e32 v14, 0, v15, vcc
	v_add3_u32 v10, v14, v34, v10
.LBB507_38:                             ; =>This Loop Header: Depth=1
                                        ;     Child Loop BB507_41 Depth 2
	v_cmp_ne_u16_sdwa s[10:11], v11, v7 src0_sel:BYTE_0 src1_sel:DWORD
	v_cndmask_b32_e64 v11, 0, 1, s[10:11]
	;;#ASMSTART
	;;#ASMEND
	v_cmp_ne_u32_e32 vcc, 0, v11
	s_cmp_lg_u64 vcc, exec
	v_mov_b32_e32 v34, v10
	s_cbranch_scc1 .LBB507_43
; %bb.39:                               ;   in Loop: Header=BB507_38 Depth=1
	v_lshlrev_b64 v[10:11], 3, v[8:9]
	v_mov_b32_e32 v15, s21
	v_add_co_u32_e32 v14, vcc, s20, v10
	v_addc_co_u32_e32 v15, vcc, v15, v11, vcc
	global_load_dwordx2 v[10:11], v[14:15], off glc
	s_waitcnt vmcnt(0)
	v_cmp_eq_u16_sdwa s[22:23], v11, v9 src0_sel:BYTE_0 src1_sel:DWORD
	s_and_saveexec_b64 s[10:11], s[22:23]
	s_cbranch_execz .LBB507_37
; %bb.40:                               ;   in Loop: Header=BB507_38 Depth=1
	s_mov_b64 s[22:23], 0
.LBB507_41:                             ;   Parent Loop BB507_38 Depth=1
                                        ; =>  This Inner Loop Header: Depth=2
	global_load_dwordx2 v[10:11], v[14:15], off glc
	s_waitcnt vmcnt(0)
	v_cmp_ne_u16_sdwa s[26:27], v11, v9 src0_sel:BYTE_0 src1_sel:DWORD
	s_or_b64 s[22:23], s[26:27], s[22:23]
	s_andn2_b64 exec, exec, s[22:23]
	s_cbranch_execnz .LBB507_41
; %bb.42:                               ;   in Loop: Header=BB507_38 Depth=1
	s_or_b64 exec, exec, s[22:23]
	s_branch .LBB507_37
.LBB507_43:                             ;   in Loop: Header=BB507_38 Depth=1
                                        ; implicit-def: $vgpr10
                                        ; implicit-def: $vgpr11
	s_cbranch_execz .LBB507_38
; %bb.44:
	s_and_saveexec_b64 s[10:11], s[2:3]
	s_cbranch_execz .LBB507_46
; %bb.45:
	s_add_i32 s2, s6, 64
	s_mov_b32 s3, 0
	s_lshl_b64 s[2:3], s[2:3], 3
	s_add_u32 s2, s20, s2
	v_add_u32_e32 v6, v34, v6
	v_mov_b32_e32 v7, 2
	s_addc_u32 s3, s21, s3
	v_mov_b32_e32 v8, 0
	global_store_dwordx2 v8, v[6:7], s[2:3]
.LBB507_46:
	s_or_b64 exec, exec, s[10:11]
	s_and_b64 exec, exec, s[0:1]
	s_cbranch_execz .LBB507_48
; %bb.47:
	v_mov_b32_e32 v6, 0
	ds_write_b32 v6, v34
.LBB507_48:
	s_or_b64 exec, exec, s[8:9]
	v_mov_b32_e32 v6, 0
	s_waitcnt lgkmcnt(0)
	s_barrier
	ds_read_b32 v6, v6
	s_waitcnt lgkmcnt(0)
	v_add3_u32 v6, v25, v2, v6
	v_add_u32_e32 v7, v6, v3
	v_add_u32_e32 v8, v7, v4
	;; [unrolled: 1-line block ×9, first 2 shown]
	s_load_dwordx8 s[4:11], s[4:5], 0x38
	s_branch .LBB507_61
.LBB507_49:
                                        ; implicit-def: $vgpr6_vgpr7_vgpr8_vgpr9_vgpr10_vgpr11_vgpr12_vgpr13_vgpr14_vgpr15
	s_load_dwordx8 s[4:11], s[4:5], 0x38
	s_cbranch_execz .LBB507_61
; %bb.50:
	s_waitcnt lgkmcnt(0)
	s_cmp_lg_u64 s[8:9], 0
	s_cselect_b64 s[2:3], -1, 0
	v_cmp_eq_u32_e64 s[0:1], 0, v0
	v_cmp_ne_u32_e32 vcc, 0, v0
	s_and_b64 s[8:9], s[0:1], s[2:3]
	v_mov_b32_e32 v12, v3
	v_mov_b32_e32 v13, v4
	;; [unrolled: 1-line block ×3, first 2 shown]
	s_and_saveexec_b64 s[2:3], s[8:9]
	s_cbranch_execz .LBB507_52
; %bb.51:
	v_mov_b32_e32 v6, 0
	global_load_dword v6, v6, s[4:5]
	v_mov_b32_e32 v12, v3
	v_mov_b32_e32 v13, v4
	;; [unrolled: 1-line block ×3, first 2 shown]
	s_waitcnt vmcnt(0)
	v_add_u32_e32 v2, v6, v2
.LBB507_52:
	s_or_b64 exec, exec, s[2:3]
	v_add_u32_e32 v3, v12, v2
	v_add_u32_e32 v4, v3, v13
	v_add_u32_e32 v5, v4, v14
	v_add_u32_e32 v6, v5, v16
	v_add_u32_e32 v7, v6, v17
	v_add_u32_e32 v8, v7, v18
	v_add_u32_e32 v9, v8, v19
	v_add_u32_e32 v10, v9, v20
	v_add_u32_e32 v11, v10, v21
	v_add_lshl_u32 v15, v24, v0, 2
	v_cmp_gt_u32_e64 s[2:3], 64, v0
	ds_write_b32 v15, v11
	s_waitcnt lgkmcnt(0)
	s_barrier
	s_and_saveexec_b64 s[4:5], s[2:3]
	s_cbranch_execz .LBB507_54
; %bb.53:
	v_lshlrev_b32_e32 v15, 1, v0
	v_lshrrev_b32_e32 v24, 4, v0
	v_add_lshl_u32 v15, v24, v15, 2
	ds_read2_b32 v[24:25], v15 offset1:1
	v_mbcnt_lo_u32_b32 v26, -1, 0
	v_mbcnt_hi_u32_b32 v26, -1, v26
	v_and_b32_e32 v27, 15, v26
	v_cmp_ne_u32_e64 s[2:3], 0, v27
	s_waitcnt lgkmcnt(0)
	v_add_u32_e32 v25, v25, v24
	; wave barrier
	s_nop 1
	v_mov_b32_dpp v28, v25 row_shr:1 row_mask:0xf bank_mask:0xf
	v_cndmask_b32_e64 v28, 0, v28, s[2:3]
	v_add_u32_e32 v25, v28, v25
	v_cmp_lt_u32_e64 s[2:3], 1, v27
	s_nop 0
	v_mov_b32_dpp v28, v25 row_shr:2 row_mask:0xf bank_mask:0xf
	v_cndmask_b32_e64 v28, 0, v28, s[2:3]
	v_add_u32_e32 v25, v25, v28
	v_cmp_lt_u32_e64 s[2:3], 3, v27
	s_nop 0
	v_mov_b32_dpp v28, v25 row_shr:4 row_mask:0xf bank_mask:0xf
	v_cndmask_b32_e64 v28, 0, v28, s[2:3]
	v_add_u32_e32 v25, v25, v28
	v_cmp_lt_u32_e64 s[2:3], 7, v27
	s_nop 0
	v_mov_b32_dpp v28, v25 row_shr:8 row_mask:0xf bank_mask:0xf
	v_cndmask_b32_e64 v27, 0, v28, s[2:3]
	v_add_u32_e32 v25, v25, v27
	v_bfe_i32 v28, v26, 4, 1
	v_cmp_lt_u32_e64 s[2:3], 31, v26
	v_mov_b32_dpp v27, v25 row_bcast:15 row_mask:0xf bank_mask:0xf
	v_and_b32_e32 v27, v28, v27
	v_add_u32_e32 v25, v25, v27
	v_and_b32_e32 v28, 64, v26
	s_nop 0
	v_mov_b32_dpp v27, v25 row_bcast:31 row_mask:0xf bank_mask:0xf
	v_cndmask_b32_e64 v27, 0, v27, s[2:3]
	v_add_u32_e32 v25, v25, v27
	v_add_u32_e32 v27, -1, v26
	v_cmp_lt_i32_e64 s[2:3], v27, v28
	v_cndmask_b32_e64 v26, v27, v26, s[2:3]
	v_lshlrev_b32_e32 v26, 2, v26
	ds_bpermute_b32 v25, v26, v25
	s_waitcnt lgkmcnt(0)
	v_add_u32_e32 v24, v25, v24
	v_cndmask_b32_e64 v24, v24, v11, s[0:1]
	ds_write_b32 v15, v24
	; wave barrier
	ds_read_b32 v25, v15 offset:4
	s_waitcnt lgkmcnt(0)
	v_add_u32_e32 v24, v25, v24
	ds_write_b32 v15, v24 offset:4
.LBB507_54:
	s_or_b64 exec, exec, s[4:5]
	v_mov_b32_e32 v15, v11
	s_waitcnt lgkmcnt(0)
	s_barrier
	s_and_saveexec_b64 s[0:1], vcc
	s_cbranch_execz .LBB507_56
; %bb.55:
	v_add_u32_e32 v15, -1, v0
	v_lshrrev_b32_e32 v24, 5, v15
	v_add_lshl_u32 v15, v24, v15, 2
	ds_read_b32 v15, v15
.LBB507_56:
	s_or_b64 exec, exec, s[0:1]
	s_and_saveexec_b64 s[0:1], vcc
	s_cbranch_execz .LBB507_58
; %bb.57:
	s_waitcnt lgkmcnt(0)
	v_add_u32_e32 v2, v15, v2
	v_add_u32_e32 v3, v2, v12
	;; [unrolled: 1-line block ×10, first 2 shown]
	;;#ASMSTART
	;;#ASMEND
.LBB507_58:
	s_or_b64 exec, exec, s[0:1]
	s_movk_i32 s0, 0x7f
	v_cmp_eq_u32_e32 vcc, s0, v0
	s_and_saveexec_b64 s[0:1], vcc
	s_cbranch_execz .LBB507_60
; %bb.59:
	v_mov_b32_e32 v14, 0
	v_mov_b32_e32 v13, 2
	;; [unrolled: 1-line block ×3, first 2 shown]
	global_store_dwordx2 v14, v[12:13], s[20:21] offset:512
.LBB507_60:
	s_or_b64 exec, exec, s[0:1]
	s_waitcnt lgkmcnt(0)
	v_pk_mov_b32 v[14:15], v[10:11], v[10:11] op_sel:[0,1]
	v_pk_mov_b32 v[12:13], v[8:9], v[8:9] op_sel:[0,1]
	v_pk_mov_b32 v[10:11], v[6:7], v[6:7] op_sel:[0,1]
	v_pk_mov_b32 v[8:9], v[4:5], v[4:5] op_sel:[0,1]
	v_pk_mov_b32 v[6:7], v[2:3], v[2:3] op_sel:[0,1]
.LBB507_61:
	s_add_u32 s0, s12, s16
	s_addc_u32 s1, s13, s17
	s_add_u32 s2, s0, s18
	s_addc_u32 s3, s1, s19
	s_mov_b64 s[0:1], -1
	s_and_b64 vcc, exec, s[14:15]
	s_waitcnt lgkmcnt(0)
	s_barrier
	s_cbranch_vccz .LBB507_63
; %bb.62:
	ds_write2_b64 v1, v[6:7], v[8:9] offset1:1
	ds_write2_b64 v1, v[10:11], v[12:13] offset0:2 offset1:3
	ds_write_b64 v1, v[14:15] offset:32
	s_waitcnt lgkmcnt(0)
	s_barrier
	ds_read2st64_b32 v[2:3], v22 offset1:2
	ds_read2st64_b32 v[4:5], v22 offset0:4 offset1:6
	ds_read2st64_b32 v[16:17], v22 offset0:8 offset1:10
	;; [unrolled: 1-line block ×4, first 2 shown]
	v_mov_b32_e32 v25, s3
	v_add_co_u32_e32 v24, vcc, s2, v22
	v_addc_co_u32_e32 v25, vcc, 0, v25, vcc
	s_waitcnt lgkmcnt(4)
	flat_store_dword v[24:25], v2
	flat_store_dword v[24:25], v3 offset:512
	s_waitcnt lgkmcnt(0)
	flat_store_dword v[24:25], v4 offset:1024
	flat_store_dword v[24:25], v5 offset:1536
	;; [unrolled: 1-line block ×6, first 2 shown]
	v_add_co_u32_e32 v2, vcc, 0x1000, v24
	v_addc_co_u32_e32 v3, vcc, 0, v25, vcc
	flat_store_dword v[2:3], v20
	flat_store_dword v[2:3], v21 offset:512
	s_mov_b64 s[0:1], 0
.LBB507_63:
	s_andn2_b64 vcc, exec, s[0:1]
	s_cbranch_vccnz .LBB507_119
; %bb.64:
	ds_write2_b64 v1, v[6:7], v[8:9] offset1:1
	ds_write2_b64 v1, v[10:11], v[12:13] offset0:2 offset1:3
	ds_write_b64 v1, v[14:15] offset:32
	s_waitcnt lgkmcnt(0)
	s_barrier
	ds_read2st64_b32 v[2:3], v22 offset1:2
	ds_read2st64_b32 v[6:7], v22 offset0:4 offset1:6
	ds_read2st64_b32 v[4:5], v22 offset0:8 offset1:10
	;; [unrolled: 1-line block ×4, first 2 shown]
	v_mov_b32_e32 v13, s3
	v_add_co_u32_e32 v12, vcc, s2, v22
	v_addc_co_u32_e32 v13, vcc, 0, v13, vcc
	v_mov_b32_e32 v1, 0
	v_cmp_gt_u32_e32 vcc, s24, v0
	s_and_saveexec_b64 s[0:1], vcc
	s_cbranch_execz .LBB507_66
; %bb.65:
	s_waitcnt lgkmcnt(0)
	flat_store_dword v[12:13], v2
.LBB507_66:
	s_or_b64 exec, exec, s[0:1]
	v_or_b32_e32 v14, 0x80, v0
	v_cmp_gt_u32_e32 vcc, s24, v14
	s_and_saveexec_b64 s[0:1], vcc
	s_cbranch_execz .LBB507_68
; %bb.67:
	s_waitcnt lgkmcnt(0)
	flat_store_dword v[12:13], v3 offset:512
.LBB507_68:
	s_or_b64 exec, exec, s[0:1]
	v_or_b32_e32 v14, 0x100, v0
	v_cmp_gt_u32_e32 vcc, s24, v14
	s_and_saveexec_b64 s[0:1], vcc
	s_cbranch_execz .LBB507_70
; %bb.69:
	s_waitcnt lgkmcnt(0)
	flat_store_dword v[12:13], v6 offset:1024
.LBB507_70:
	;; [unrolled: 9-line block ×7, first 2 shown]
	s_or_b64 exec, exec, s[0:1]
	v_or_b32_e32 v14, 0x400, v0
	v_cmp_gt_u32_e32 vcc, s24, v14
	s_and_saveexec_b64 s[0:1], vcc
	s_cbranch_execz .LBB507_82
; %bb.81:
	v_add_co_u32_e32 v14, vcc, 0x1000, v12
	v_addc_co_u32_e32 v15, vcc, 0, v13, vcc
	s_waitcnt lgkmcnt(0)
	flat_store_dword v[14:15], v10
.LBB507_82:
	s_or_b64 exec, exec, s[0:1]
	v_or_b32_e32 v14, 0x480, v0
	v_cmp_gt_u32_e32 vcc, s24, v14
	s_and_saveexec_b64 s[0:1], vcc
	s_cbranch_execz .LBB507_84
; %bb.83:
	v_add_co_u32_e32 v12, vcc, 0x1000, v12
	v_addc_co_u32_e32 v13, vcc, 0, v13, vcc
	s_waitcnt lgkmcnt(0)
	flat_store_dword v[12:13], v11 offset:512
.LBB507_84:
	s_or_b64 exec, exec, s[0:1]
	v_cmp_lt_u64_e64 s[0:1], s[10:11], 2
	s_and_b64 vcc, exec, s[0:1]
	s_cbranch_vccnz .LBB507_119
; %bb.85:
	s_add_u32 s0, s24, -1
	s_addc_u32 s1, s25, -1
	s_add_u32 s2, 0, 0x99986000
	s_addc_u32 s3, 0, 0x59
	s_add_i32 s3, s3, 0x19999940
	s_mul_hi_u32 s9, s2, -10
	s_sub_i32 s9, s9, s2
	s_mul_i32 s10, s3, -10
	s_mul_i32 s4, s2, -10
	s_add_i32 s9, s9, s10
	s_mul_hi_u32 s5, s3, s4
	s_mul_i32 s8, s3, s4
	s_mul_i32 s11, s2, s9
	s_mul_hi_u32 s4, s2, s4
	s_mul_hi_u32 s10, s2, s9
	s_add_u32 s4, s4, s11
	s_addc_u32 s10, 0, s10
	s_add_u32 s4, s4, s8
	s_mul_hi_u32 s11, s3, s9
	s_addc_u32 s4, s10, s5
	s_addc_u32 s5, s11, 0
	s_mul_i32 s8, s3, s9
	s_add_u32 s4, s4, s8
	v_mov_b32_e32 v12, s4
	s_addc_u32 s5, 0, s5
	v_add_co_u32_e32 v12, vcc, s2, v12
	s_cmp_lg_u64 vcc, 0
	s_addc_u32 s2, s3, s5
	v_readfirstlane_b32 s5, v12
	s_mul_i32 s4, s0, s2
	s_mul_hi_u32 s8, s0, s5
	s_mul_hi_u32 s3, s0, s2
	s_add_u32 s4, s8, s4
	s_addc_u32 s3, 0, s3
	s_mul_hi_u32 s9, s1, s5
	s_mul_i32 s5, s1, s5
	s_add_u32 s4, s4, s5
	s_mul_hi_u32 s8, s1, s2
	s_addc_u32 s3, s3, s9
	s_addc_u32 s4, s8, 0
	s_mul_i32 s2, s1, s2
	s_add_u32 s2, s3, s2
	s_addc_u32 s3, 0, s4
	s_add_u32 s4, s2, 1
	s_addc_u32 s5, s3, 0
	s_add_u32 s8, s2, 2
	s_mul_i32 s10, s3, 10
	s_mul_hi_u32 s11, s2, 10
	s_addc_u32 s9, s3, 0
	s_add_i32 s11, s11, s10
	s_mul_i32 s10, s2, 10
	v_mov_b32_e32 v12, s10
	v_sub_co_u32_e32 v12, vcc, s0, v12
	s_cmp_lg_u64 vcc, 0
	s_subb_u32 s10, s1, s11
	v_subrev_co_u32_e32 v13, vcc, 10, v12
	s_cmp_lg_u64 vcc, 0
	s_subb_u32 s11, s10, 0
	v_readfirstlane_b32 s12, v13
	s_cmp_gt_u32 s12, 9
	s_cselect_b32 s12, -1, 0
	s_cmp_eq_u32 s11, 0
	s_cselect_b32 s11, s12, -1
	s_cmp_lg_u32 s11, 0
	s_cselect_b32 s4, s8, s4
	v_readfirstlane_b32 s8, v12
	s_cselect_b32 s5, s9, s5
	s_cmp_gt_u32 s8, 9
	s_cselect_b32 s8, -1, 0
	s_cmp_eq_u32 s10, 0
	s_cselect_b32 s8, s8, -1
	s_cmp_lg_u32 s8, 0
	s_cselect_b32 s3, s5, s3
	s_cselect_b32 s2, s4, s2
	v_cmp_eq_u64_e32 vcc, s[2:3], v[0:1]
	s_and_saveexec_b64 s[2:3], vcc
	s_cbranch_execz .LBB507_119
; %bb.86:
	v_mul_hi_u32_u24_e32 v1, 10, v0
	v_mov_b32_e32 v12, s1
	v_sub_co_u32_e32 v0, vcc, s0, v23
	v_subb_co_u32_e32 v1, vcc, v12, v1, vcc
	v_cmp_lt_i64_e32 vcc, 4, v[0:1]
	s_and_saveexec_b64 s[0:1], vcc
	s_xor_b64 s[0:1], exec, s[0:1]
	s_cbranch_execz .LBB507_104
; %bb.87:
	v_cmp_lt_i64_e32 vcc, 6, v[0:1]
	s_and_saveexec_b64 s[2:3], vcc
	s_xor_b64 s[2:3], exec, s[2:3]
	s_cbranch_execz .LBB507_97
; %bb.88:
	;; [unrolled: 5-line block ×4, first 2 shown]
	v_mov_b32_e32 v0, 0
	s_waitcnt lgkmcnt(0)
	global_store_dword v0, v11, s[6:7]
                                        ; implicit-def: $vgpr10_vgpr11
.LBB507_91:
	s_andn2_saveexec_b64 s[8:9], s[8:9]
	s_cbranch_execz .LBB507_93
; %bb.92:
	v_mov_b32_e32 v0, 0
	s_waitcnt lgkmcnt(0)
	global_store_dword v0, v10, s[6:7]
.LBB507_93:
	s_or_b64 exec, exec, s[8:9]
                                        ; implicit-def: $vgpr8_vgpr9
.LBB507_94:
	s_andn2_saveexec_b64 s[4:5], s[4:5]
	s_cbranch_execz .LBB507_96
; %bb.95:
	v_mov_b32_e32 v0, 0
	s_waitcnt lgkmcnt(0)
	global_store_dword v0, v9, s[6:7]
.LBB507_96:
	s_or_b64 exec, exec, s[4:5]
                                        ; implicit-def: $vgpr4_vgpr5
                                        ; implicit-def: $vgpr0_vgpr1
                                        ; implicit-def: $vgpr8_vgpr9
.LBB507_97:
	s_andn2_saveexec_b64 s[2:3], s[2:3]
	s_cbranch_execz .LBB507_103
; %bb.98:
	v_cmp_lt_i64_e32 vcc, 5, v[0:1]
	s_and_saveexec_b64 s[4:5], vcc
	s_xor_b64 s[4:5], exec, s[4:5]
	s_cbranch_execz .LBB507_100
; %bb.99:
	v_mov_b32_e32 v0, 0
	s_waitcnt lgkmcnt(0)
	global_store_dword v0, v8, s[6:7]
                                        ; implicit-def: $vgpr4_vgpr5
.LBB507_100:
	s_andn2_saveexec_b64 s[4:5], s[4:5]
	s_cbranch_execz .LBB507_102
; %bb.101:
	v_mov_b32_e32 v0, 0
	s_waitcnt lgkmcnt(0)
	global_store_dword v0, v5, s[6:7]
.LBB507_102:
	s_or_b64 exec, exec, s[4:5]
.LBB507_103:
	s_or_b64 exec, exec, s[2:3]
                                        ; implicit-def: $vgpr0_vgpr1
                                        ; implicit-def: $vgpr6_vgpr7
                                        ; implicit-def: $vgpr2_vgpr3
                                        ; implicit-def: $vgpr4_vgpr5
.LBB507_104:
	s_andn2_saveexec_b64 s[0:1], s[0:1]
	s_cbranch_execz .LBB507_119
; %bb.105:
	v_cmp_lt_i64_e32 vcc, 2, v[0:1]
	s_and_saveexec_b64 s[0:1], vcc
	s_xor_b64 s[0:1], exec, s[0:1]
	s_cbranch_execz .LBB507_111
; %bb.106:
	v_cmp_lt_i64_e32 vcc, 3, v[0:1]
	s_and_saveexec_b64 s[2:3], vcc
	s_xor_b64 s[2:3], exec, s[2:3]
	s_cbranch_execz .LBB507_108
; %bb.107:
	v_mov_b32_e32 v0, 0
	s_waitcnt lgkmcnt(0)
	global_store_dword v0, v4, s[6:7]
                                        ; implicit-def: $vgpr6_vgpr7
.LBB507_108:
	s_andn2_saveexec_b64 s[2:3], s[2:3]
	s_cbranch_execz .LBB507_110
; %bb.109:
	v_mov_b32_e32 v0, 0
	s_waitcnt lgkmcnt(0)
	global_store_dword v0, v7, s[6:7]
.LBB507_110:
	s_or_b64 exec, exec, s[2:3]
                                        ; implicit-def: $vgpr0_vgpr1
                                        ; implicit-def: $vgpr6_vgpr7
                                        ; implicit-def: $vgpr2_vgpr3
.LBB507_111:
	s_andn2_saveexec_b64 s[0:1], s[0:1]
	s_cbranch_execz .LBB507_119
; %bb.112:
	v_cmp_lt_i64_e32 vcc, 1, v[0:1]
	s_and_saveexec_b64 s[0:1], vcc
	s_xor_b64 s[0:1], exec, s[0:1]
	s_cbranch_execz .LBB507_114
; %bb.113:
	v_mov_b32_e32 v0, 0
	s_waitcnt lgkmcnt(0)
	global_store_dword v0, v6, s[6:7]
                                        ; implicit-def: $vgpr2_vgpr3
                                        ; implicit-def: $vgpr0_vgpr1
.LBB507_114:
	s_andn2_saveexec_b64 s[0:1], s[0:1]
	s_cbranch_execz .LBB507_119
; %bb.115:
	v_cmp_ne_u64_e32 vcc, 1, v[0:1]
	s_and_saveexec_b64 s[0:1], vcc
	s_xor_b64 s[0:1], exec, s[0:1]
	s_cbranch_execz .LBB507_117
; %bb.116:
	v_mov_b32_e32 v0, 0
	s_waitcnt lgkmcnt(0)
	global_store_dword v0, v2, s[6:7]
                                        ; implicit-def: $vgpr2_vgpr3
.LBB507_117:
	s_andn2_saveexec_b64 s[0:1], s[0:1]
	s_cbranch_execz .LBB507_119
; %bb.118:
	v_mov_b32_e32 v0, 0
	s_waitcnt lgkmcnt(0)
	global_store_dword v0, v3, s[6:7]
.LBB507_119:
	s_endpgm
	.section	.rodata,"a",@progbits
	.p2align	6, 0x0
	.amdhsa_kernel _ZN7rocprim17ROCPRIM_400000_NS6detail17trampoline_kernelINS0_14default_configENS1_20scan_config_selectorIiEEZZNS1_9scan_implILNS1_25lookback_scan_determinismE0ELb0ELb0ES3_N6thrust23THRUST_200600_302600_NS6detail15normal_iteratorINS9_10device_ptrIiEEEESE_iNS9_4plusIiEEiEEDaPvRmT3_T4_T5_mT6_P12ihipStream_tbENKUlT_T0_E_clISt17integral_constantIbLb0EESU_EEDaSP_SQ_EUlSP_E_NS1_11comp_targetILNS1_3genE4ELNS1_11target_archE910ELNS1_3gpuE8ELNS1_3repE0EEENS1_30default_config_static_selectorELNS0_4arch9wavefront6targetE1EEEvT1_
		.amdhsa_group_segment_fixed_size 5120
		.amdhsa_private_segment_fixed_size 0
		.amdhsa_kernarg_size 96
		.amdhsa_user_sgpr_count 6
		.amdhsa_user_sgpr_private_segment_buffer 1
		.amdhsa_user_sgpr_dispatch_ptr 0
		.amdhsa_user_sgpr_queue_ptr 0
		.amdhsa_user_sgpr_kernarg_segment_ptr 1
		.amdhsa_user_sgpr_dispatch_id 0
		.amdhsa_user_sgpr_flat_scratch_init 0
		.amdhsa_user_sgpr_kernarg_preload_length 0
		.amdhsa_user_sgpr_kernarg_preload_offset 0
		.amdhsa_user_sgpr_private_segment_size 0
		.amdhsa_uses_dynamic_stack 0
		.amdhsa_system_sgpr_private_segment_wavefront_offset 0
		.amdhsa_system_sgpr_workgroup_id_x 1
		.amdhsa_system_sgpr_workgroup_id_y 0
		.amdhsa_system_sgpr_workgroup_id_z 0
		.amdhsa_system_sgpr_workgroup_info 0
		.amdhsa_system_vgpr_workitem_id 0
		.amdhsa_next_free_vgpr 40
		.amdhsa_next_free_sgpr 28
		.amdhsa_accum_offset 40
		.amdhsa_reserve_vcc 1
		.amdhsa_reserve_flat_scratch 0
		.amdhsa_float_round_mode_32 0
		.amdhsa_float_round_mode_16_64 0
		.amdhsa_float_denorm_mode_32 3
		.amdhsa_float_denorm_mode_16_64 3
		.amdhsa_dx10_clamp 1
		.amdhsa_ieee_mode 1
		.amdhsa_fp16_overflow 0
		.amdhsa_tg_split 0
		.amdhsa_exception_fp_ieee_invalid_op 0
		.amdhsa_exception_fp_denorm_src 0
		.amdhsa_exception_fp_ieee_div_zero 0
		.amdhsa_exception_fp_ieee_overflow 0
		.amdhsa_exception_fp_ieee_underflow 0
		.amdhsa_exception_fp_ieee_inexact 0
		.amdhsa_exception_int_div_zero 0
	.end_amdhsa_kernel
	.section	.text._ZN7rocprim17ROCPRIM_400000_NS6detail17trampoline_kernelINS0_14default_configENS1_20scan_config_selectorIiEEZZNS1_9scan_implILNS1_25lookback_scan_determinismE0ELb0ELb0ES3_N6thrust23THRUST_200600_302600_NS6detail15normal_iteratorINS9_10device_ptrIiEEEESE_iNS9_4plusIiEEiEEDaPvRmT3_T4_T5_mT6_P12ihipStream_tbENKUlT_T0_E_clISt17integral_constantIbLb0EESU_EEDaSP_SQ_EUlSP_E_NS1_11comp_targetILNS1_3genE4ELNS1_11target_archE910ELNS1_3gpuE8ELNS1_3repE0EEENS1_30default_config_static_selectorELNS0_4arch9wavefront6targetE1EEEvT1_,"axG",@progbits,_ZN7rocprim17ROCPRIM_400000_NS6detail17trampoline_kernelINS0_14default_configENS1_20scan_config_selectorIiEEZZNS1_9scan_implILNS1_25lookback_scan_determinismE0ELb0ELb0ES3_N6thrust23THRUST_200600_302600_NS6detail15normal_iteratorINS9_10device_ptrIiEEEESE_iNS9_4plusIiEEiEEDaPvRmT3_T4_T5_mT6_P12ihipStream_tbENKUlT_T0_E_clISt17integral_constantIbLb0EESU_EEDaSP_SQ_EUlSP_E_NS1_11comp_targetILNS1_3genE4ELNS1_11target_archE910ELNS1_3gpuE8ELNS1_3repE0EEENS1_30default_config_static_selectorELNS0_4arch9wavefront6targetE1EEEvT1_,comdat
.Lfunc_end507:
	.size	_ZN7rocprim17ROCPRIM_400000_NS6detail17trampoline_kernelINS0_14default_configENS1_20scan_config_selectorIiEEZZNS1_9scan_implILNS1_25lookback_scan_determinismE0ELb0ELb0ES3_N6thrust23THRUST_200600_302600_NS6detail15normal_iteratorINS9_10device_ptrIiEEEESE_iNS9_4plusIiEEiEEDaPvRmT3_T4_T5_mT6_P12ihipStream_tbENKUlT_T0_E_clISt17integral_constantIbLb0EESU_EEDaSP_SQ_EUlSP_E_NS1_11comp_targetILNS1_3genE4ELNS1_11target_archE910ELNS1_3gpuE8ELNS1_3repE0EEENS1_30default_config_static_selectorELNS0_4arch9wavefront6targetE1EEEvT1_, .Lfunc_end507-_ZN7rocprim17ROCPRIM_400000_NS6detail17trampoline_kernelINS0_14default_configENS1_20scan_config_selectorIiEEZZNS1_9scan_implILNS1_25lookback_scan_determinismE0ELb0ELb0ES3_N6thrust23THRUST_200600_302600_NS6detail15normal_iteratorINS9_10device_ptrIiEEEESE_iNS9_4plusIiEEiEEDaPvRmT3_T4_T5_mT6_P12ihipStream_tbENKUlT_T0_E_clISt17integral_constantIbLb0EESU_EEDaSP_SQ_EUlSP_E_NS1_11comp_targetILNS1_3genE4ELNS1_11target_archE910ELNS1_3gpuE8ELNS1_3repE0EEENS1_30default_config_static_selectorELNS0_4arch9wavefront6targetE1EEEvT1_
                                        ; -- End function
	.section	.AMDGPU.csdata,"",@progbits
; Kernel info:
; codeLenInByte = 4524
; NumSgprs: 32
; NumVgprs: 40
; NumAgprs: 0
; TotalNumVgprs: 40
; ScratchSize: 0
; MemoryBound: 0
; FloatMode: 240
; IeeeMode: 1
; LDSByteSize: 5120 bytes/workgroup (compile time only)
; SGPRBlocks: 3
; VGPRBlocks: 4
; NumSGPRsForWavesPerEU: 32
; NumVGPRsForWavesPerEU: 40
; AccumOffset: 40
; Occupancy: 6
; WaveLimiterHint : 1
; COMPUTE_PGM_RSRC2:SCRATCH_EN: 0
; COMPUTE_PGM_RSRC2:USER_SGPR: 6
; COMPUTE_PGM_RSRC2:TRAP_HANDLER: 0
; COMPUTE_PGM_RSRC2:TGID_X_EN: 1
; COMPUTE_PGM_RSRC2:TGID_Y_EN: 0
; COMPUTE_PGM_RSRC2:TGID_Z_EN: 0
; COMPUTE_PGM_RSRC2:TIDIG_COMP_CNT: 0
; COMPUTE_PGM_RSRC3_GFX90A:ACCUM_OFFSET: 9
; COMPUTE_PGM_RSRC3_GFX90A:TG_SPLIT: 0
	.section	.text._ZN7rocprim17ROCPRIM_400000_NS6detail17trampoline_kernelINS0_14default_configENS1_20scan_config_selectorIiEEZZNS1_9scan_implILNS1_25lookback_scan_determinismE0ELb0ELb0ES3_N6thrust23THRUST_200600_302600_NS6detail15normal_iteratorINS9_10device_ptrIiEEEESE_iNS9_4plusIiEEiEEDaPvRmT3_T4_T5_mT6_P12ihipStream_tbENKUlT_T0_E_clISt17integral_constantIbLb0EESU_EEDaSP_SQ_EUlSP_E_NS1_11comp_targetILNS1_3genE3ELNS1_11target_archE908ELNS1_3gpuE7ELNS1_3repE0EEENS1_30default_config_static_selectorELNS0_4arch9wavefront6targetE1EEEvT1_,"axG",@progbits,_ZN7rocprim17ROCPRIM_400000_NS6detail17trampoline_kernelINS0_14default_configENS1_20scan_config_selectorIiEEZZNS1_9scan_implILNS1_25lookback_scan_determinismE0ELb0ELb0ES3_N6thrust23THRUST_200600_302600_NS6detail15normal_iteratorINS9_10device_ptrIiEEEESE_iNS9_4plusIiEEiEEDaPvRmT3_T4_T5_mT6_P12ihipStream_tbENKUlT_T0_E_clISt17integral_constantIbLb0EESU_EEDaSP_SQ_EUlSP_E_NS1_11comp_targetILNS1_3genE3ELNS1_11target_archE908ELNS1_3gpuE7ELNS1_3repE0EEENS1_30default_config_static_selectorELNS0_4arch9wavefront6targetE1EEEvT1_,comdat
	.protected	_ZN7rocprim17ROCPRIM_400000_NS6detail17trampoline_kernelINS0_14default_configENS1_20scan_config_selectorIiEEZZNS1_9scan_implILNS1_25lookback_scan_determinismE0ELb0ELb0ES3_N6thrust23THRUST_200600_302600_NS6detail15normal_iteratorINS9_10device_ptrIiEEEESE_iNS9_4plusIiEEiEEDaPvRmT3_T4_T5_mT6_P12ihipStream_tbENKUlT_T0_E_clISt17integral_constantIbLb0EESU_EEDaSP_SQ_EUlSP_E_NS1_11comp_targetILNS1_3genE3ELNS1_11target_archE908ELNS1_3gpuE7ELNS1_3repE0EEENS1_30default_config_static_selectorELNS0_4arch9wavefront6targetE1EEEvT1_ ; -- Begin function _ZN7rocprim17ROCPRIM_400000_NS6detail17trampoline_kernelINS0_14default_configENS1_20scan_config_selectorIiEEZZNS1_9scan_implILNS1_25lookback_scan_determinismE0ELb0ELb0ES3_N6thrust23THRUST_200600_302600_NS6detail15normal_iteratorINS9_10device_ptrIiEEEESE_iNS9_4plusIiEEiEEDaPvRmT3_T4_T5_mT6_P12ihipStream_tbENKUlT_T0_E_clISt17integral_constantIbLb0EESU_EEDaSP_SQ_EUlSP_E_NS1_11comp_targetILNS1_3genE3ELNS1_11target_archE908ELNS1_3gpuE7ELNS1_3repE0EEENS1_30default_config_static_selectorELNS0_4arch9wavefront6targetE1EEEvT1_
	.globl	_ZN7rocprim17ROCPRIM_400000_NS6detail17trampoline_kernelINS0_14default_configENS1_20scan_config_selectorIiEEZZNS1_9scan_implILNS1_25lookback_scan_determinismE0ELb0ELb0ES3_N6thrust23THRUST_200600_302600_NS6detail15normal_iteratorINS9_10device_ptrIiEEEESE_iNS9_4plusIiEEiEEDaPvRmT3_T4_T5_mT6_P12ihipStream_tbENKUlT_T0_E_clISt17integral_constantIbLb0EESU_EEDaSP_SQ_EUlSP_E_NS1_11comp_targetILNS1_3genE3ELNS1_11target_archE908ELNS1_3gpuE7ELNS1_3repE0EEENS1_30default_config_static_selectorELNS0_4arch9wavefront6targetE1EEEvT1_
	.p2align	8
	.type	_ZN7rocprim17ROCPRIM_400000_NS6detail17trampoline_kernelINS0_14default_configENS1_20scan_config_selectorIiEEZZNS1_9scan_implILNS1_25lookback_scan_determinismE0ELb0ELb0ES3_N6thrust23THRUST_200600_302600_NS6detail15normal_iteratorINS9_10device_ptrIiEEEESE_iNS9_4plusIiEEiEEDaPvRmT3_T4_T5_mT6_P12ihipStream_tbENKUlT_T0_E_clISt17integral_constantIbLb0EESU_EEDaSP_SQ_EUlSP_E_NS1_11comp_targetILNS1_3genE3ELNS1_11target_archE908ELNS1_3gpuE7ELNS1_3repE0EEENS1_30default_config_static_selectorELNS0_4arch9wavefront6targetE1EEEvT1_,@function
_ZN7rocprim17ROCPRIM_400000_NS6detail17trampoline_kernelINS0_14default_configENS1_20scan_config_selectorIiEEZZNS1_9scan_implILNS1_25lookback_scan_determinismE0ELb0ELb0ES3_N6thrust23THRUST_200600_302600_NS6detail15normal_iteratorINS9_10device_ptrIiEEEESE_iNS9_4plusIiEEiEEDaPvRmT3_T4_T5_mT6_P12ihipStream_tbENKUlT_T0_E_clISt17integral_constantIbLb0EESU_EEDaSP_SQ_EUlSP_E_NS1_11comp_targetILNS1_3genE3ELNS1_11target_archE908ELNS1_3gpuE7ELNS1_3repE0EEENS1_30default_config_static_selectorELNS0_4arch9wavefront6targetE1EEEvT1_: ; @_ZN7rocprim17ROCPRIM_400000_NS6detail17trampoline_kernelINS0_14default_configENS1_20scan_config_selectorIiEEZZNS1_9scan_implILNS1_25lookback_scan_determinismE0ELb0ELb0ES3_N6thrust23THRUST_200600_302600_NS6detail15normal_iteratorINS9_10device_ptrIiEEEESE_iNS9_4plusIiEEiEEDaPvRmT3_T4_T5_mT6_P12ihipStream_tbENKUlT_T0_E_clISt17integral_constantIbLb0EESU_EEDaSP_SQ_EUlSP_E_NS1_11comp_targetILNS1_3genE3ELNS1_11target_archE908ELNS1_3gpuE7ELNS1_3repE0EEENS1_30default_config_static_selectorELNS0_4arch9wavefront6targetE1EEEvT1_
; %bb.0:
	.section	.rodata,"a",@progbits
	.p2align	6, 0x0
	.amdhsa_kernel _ZN7rocprim17ROCPRIM_400000_NS6detail17trampoline_kernelINS0_14default_configENS1_20scan_config_selectorIiEEZZNS1_9scan_implILNS1_25lookback_scan_determinismE0ELb0ELb0ES3_N6thrust23THRUST_200600_302600_NS6detail15normal_iteratorINS9_10device_ptrIiEEEESE_iNS9_4plusIiEEiEEDaPvRmT3_T4_T5_mT6_P12ihipStream_tbENKUlT_T0_E_clISt17integral_constantIbLb0EESU_EEDaSP_SQ_EUlSP_E_NS1_11comp_targetILNS1_3genE3ELNS1_11target_archE908ELNS1_3gpuE7ELNS1_3repE0EEENS1_30default_config_static_selectorELNS0_4arch9wavefront6targetE1EEEvT1_
		.amdhsa_group_segment_fixed_size 0
		.amdhsa_private_segment_fixed_size 0
		.amdhsa_kernarg_size 96
		.amdhsa_user_sgpr_count 6
		.amdhsa_user_sgpr_private_segment_buffer 1
		.amdhsa_user_sgpr_dispatch_ptr 0
		.amdhsa_user_sgpr_queue_ptr 0
		.amdhsa_user_sgpr_kernarg_segment_ptr 1
		.amdhsa_user_sgpr_dispatch_id 0
		.amdhsa_user_sgpr_flat_scratch_init 0
		.amdhsa_user_sgpr_kernarg_preload_length 0
		.amdhsa_user_sgpr_kernarg_preload_offset 0
		.amdhsa_user_sgpr_private_segment_size 0
		.amdhsa_uses_dynamic_stack 0
		.amdhsa_system_sgpr_private_segment_wavefront_offset 0
		.amdhsa_system_sgpr_workgroup_id_x 1
		.amdhsa_system_sgpr_workgroup_id_y 0
		.amdhsa_system_sgpr_workgroup_id_z 0
		.amdhsa_system_sgpr_workgroup_info 0
		.amdhsa_system_vgpr_workitem_id 0
		.amdhsa_next_free_vgpr 1
		.amdhsa_next_free_sgpr 0
		.amdhsa_accum_offset 4
		.amdhsa_reserve_vcc 0
		.amdhsa_reserve_flat_scratch 0
		.amdhsa_float_round_mode_32 0
		.amdhsa_float_round_mode_16_64 0
		.amdhsa_float_denorm_mode_32 3
		.amdhsa_float_denorm_mode_16_64 3
		.amdhsa_dx10_clamp 1
		.amdhsa_ieee_mode 1
		.amdhsa_fp16_overflow 0
		.amdhsa_tg_split 0
		.amdhsa_exception_fp_ieee_invalid_op 0
		.amdhsa_exception_fp_denorm_src 0
		.amdhsa_exception_fp_ieee_div_zero 0
		.amdhsa_exception_fp_ieee_overflow 0
		.amdhsa_exception_fp_ieee_underflow 0
		.amdhsa_exception_fp_ieee_inexact 0
		.amdhsa_exception_int_div_zero 0
	.end_amdhsa_kernel
	.section	.text._ZN7rocprim17ROCPRIM_400000_NS6detail17trampoline_kernelINS0_14default_configENS1_20scan_config_selectorIiEEZZNS1_9scan_implILNS1_25lookback_scan_determinismE0ELb0ELb0ES3_N6thrust23THRUST_200600_302600_NS6detail15normal_iteratorINS9_10device_ptrIiEEEESE_iNS9_4plusIiEEiEEDaPvRmT3_T4_T5_mT6_P12ihipStream_tbENKUlT_T0_E_clISt17integral_constantIbLb0EESU_EEDaSP_SQ_EUlSP_E_NS1_11comp_targetILNS1_3genE3ELNS1_11target_archE908ELNS1_3gpuE7ELNS1_3repE0EEENS1_30default_config_static_selectorELNS0_4arch9wavefront6targetE1EEEvT1_,"axG",@progbits,_ZN7rocprim17ROCPRIM_400000_NS6detail17trampoline_kernelINS0_14default_configENS1_20scan_config_selectorIiEEZZNS1_9scan_implILNS1_25lookback_scan_determinismE0ELb0ELb0ES3_N6thrust23THRUST_200600_302600_NS6detail15normal_iteratorINS9_10device_ptrIiEEEESE_iNS9_4plusIiEEiEEDaPvRmT3_T4_T5_mT6_P12ihipStream_tbENKUlT_T0_E_clISt17integral_constantIbLb0EESU_EEDaSP_SQ_EUlSP_E_NS1_11comp_targetILNS1_3genE3ELNS1_11target_archE908ELNS1_3gpuE7ELNS1_3repE0EEENS1_30default_config_static_selectorELNS0_4arch9wavefront6targetE1EEEvT1_,comdat
.Lfunc_end508:
	.size	_ZN7rocprim17ROCPRIM_400000_NS6detail17trampoline_kernelINS0_14default_configENS1_20scan_config_selectorIiEEZZNS1_9scan_implILNS1_25lookback_scan_determinismE0ELb0ELb0ES3_N6thrust23THRUST_200600_302600_NS6detail15normal_iteratorINS9_10device_ptrIiEEEESE_iNS9_4plusIiEEiEEDaPvRmT3_T4_T5_mT6_P12ihipStream_tbENKUlT_T0_E_clISt17integral_constantIbLb0EESU_EEDaSP_SQ_EUlSP_E_NS1_11comp_targetILNS1_3genE3ELNS1_11target_archE908ELNS1_3gpuE7ELNS1_3repE0EEENS1_30default_config_static_selectorELNS0_4arch9wavefront6targetE1EEEvT1_, .Lfunc_end508-_ZN7rocprim17ROCPRIM_400000_NS6detail17trampoline_kernelINS0_14default_configENS1_20scan_config_selectorIiEEZZNS1_9scan_implILNS1_25lookback_scan_determinismE0ELb0ELb0ES3_N6thrust23THRUST_200600_302600_NS6detail15normal_iteratorINS9_10device_ptrIiEEEESE_iNS9_4plusIiEEiEEDaPvRmT3_T4_T5_mT6_P12ihipStream_tbENKUlT_T0_E_clISt17integral_constantIbLb0EESU_EEDaSP_SQ_EUlSP_E_NS1_11comp_targetILNS1_3genE3ELNS1_11target_archE908ELNS1_3gpuE7ELNS1_3repE0EEENS1_30default_config_static_selectorELNS0_4arch9wavefront6targetE1EEEvT1_
                                        ; -- End function
	.section	.AMDGPU.csdata,"",@progbits
; Kernel info:
; codeLenInByte = 0
; NumSgprs: 4
; NumVgprs: 0
; NumAgprs: 0
; TotalNumVgprs: 0
; ScratchSize: 0
; MemoryBound: 0
; FloatMode: 240
; IeeeMode: 1
; LDSByteSize: 0 bytes/workgroup (compile time only)
; SGPRBlocks: 0
; VGPRBlocks: 0
; NumSGPRsForWavesPerEU: 4
; NumVGPRsForWavesPerEU: 1
; AccumOffset: 4
; Occupancy: 8
; WaveLimiterHint : 0
; COMPUTE_PGM_RSRC2:SCRATCH_EN: 0
; COMPUTE_PGM_RSRC2:USER_SGPR: 6
; COMPUTE_PGM_RSRC2:TRAP_HANDLER: 0
; COMPUTE_PGM_RSRC2:TGID_X_EN: 1
; COMPUTE_PGM_RSRC2:TGID_Y_EN: 0
; COMPUTE_PGM_RSRC2:TGID_Z_EN: 0
; COMPUTE_PGM_RSRC2:TIDIG_COMP_CNT: 0
; COMPUTE_PGM_RSRC3_GFX90A:ACCUM_OFFSET: 0
; COMPUTE_PGM_RSRC3_GFX90A:TG_SPLIT: 0
	.section	.text._ZN7rocprim17ROCPRIM_400000_NS6detail17trampoline_kernelINS0_14default_configENS1_20scan_config_selectorIiEEZZNS1_9scan_implILNS1_25lookback_scan_determinismE0ELb0ELb0ES3_N6thrust23THRUST_200600_302600_NS6detail15normal_iteratorINS9_10device_ptrIiEEEESE_iNS9_4plusIiEEiEEDaPvRmT3_T4_T5_mT6_P12ihipStream_tbENKUlT_T0_E_clISt17integral_constantIbLb0EESU_EEDaSP_SQ_EUlSP_E_NS1_11comp_targetILNS1_3genE2ELNS1_11target_archE906ELNS1_3gpuE6ELNS1_3repE0EEENS1_30default_config_static_selectorELNS0_4arch9wavefront6targetE1EEEvT1_,"axG",@progbits,_ZN7rocprim17ROCPRIM_400000_NS6detail17trampoline_kernelINS0_14default_configENS1_20scan_config_selectorIiEEZZNS1_9scan_implILNS1_25lookback_scan_determinismE0ELb0ELb0ES3_N6thrust23THRUST_200600_302600_NS6detail15normal_iteratorINS9_10device_ptrIiEEEESE_iNS9_4plusIiEEiEEDaPvRmT3_T4_T5_mT6_P12ihipStream_tbENKUlT_T0_E_clISt17integral_constantIbLb0EESU_EEDaSP_SQ_EUlSP_E_NS1_11comp_targetILNS1_3genE2ELNS1_11target_archE906ELNS1_3gpuE6ELNS1_3repE0EEENS1_30default_config_static_selectorELNS0_4arch9wavefront6targetE1EEEvT1_,comdat
	.protected	_ZN7rocprim17ROCPRIM_400000_NS6detail17trampoline_kernelINS0_14default_configENS1_20scan_config_selectorIiEEZZNS1_9scan_implILNS1_25lookback_scan_determinismE0ELb0ELb0ES3_N6thrust23THRUST_200600_302600_NS6detail15normal_iteratorINS9_10device_ptrIiEEEESE_iNS9_4plusIiEEiEEDaPvRmT3_T4_T5_mT6_P12ihipStream_tbENKUlT_T0_E_clISt17integral_constantIbLb0EESU_EEDaSP_SQ_EUlSP_E_NS1_11comp_targetILNS1_3genE2ELNS1_11target_archE906ELNS1_3gpuE6ELNS1_3repE0EEENS1_30default_config_static_selectorELNS0_4arch9wavefront6targetE1EEEvT1_ ; -- Begin function _ZN7rocprim17ROCPRIM_400000_NS6detail17trampoline_kernelINS0_14default_configENS1_20scan_config_selectorIiEEZZNS1_9scan_implILNS1_25lookback_scan_determinismE0ELb0ELb0ES3_N6thrust23THRUST_200600_302600_NS6detail15normal_iteratorINS9_10device_ptrIiEEEESE_iNS9_4plusIiEEiEEDaPvRmT3_T4_T5_mT6_P12ihipStream_tbENKUlT_T0_E_clISt17integral_constantIbLb0EESU_EEDaSP_SQ_EUlSP_E_NS1_11comp_targetILNS1_3genE2ELNS1_11target_archE906ELNS1_3gpuE6ELNS1_3repE0EEENS1_30default_config_static_selectorELNS0_4arch9wavefront6targetE1EEEvT1_
	.globl	_ZN7rocprim17ROCPRIM_400000_NS6detail17trampoline_kernelINS0_14default_configENS1_20scan_config_selectorIiEEZZNS1_9scan_implILNS1_25lookback_scan_determinismE0ELb0ELb0ES3_N6thrust23THRUST_200600_302600_NS6detail15normal_iteratorINS9_10device_ptrIiEEEESE_iNS9_4plusIiEEiEEDaPvRmT3_T4_T5_mT6_P12ihipStream_tbENKUlT_T0_E_clISt17integral_constantIbLb0EESU_EEDaSP_SQ_EUlSP_E_NS1_11comp_targetILNS1_3genE2ELNS1_11target_archE906ELNS1_3gpuE6ELNS1_3repE0EEENS1_30default_config_static_selectorELNS0_4arch9wavefront6targetE1EEEvT1_
	.p2align	8
	.type	_ZN7rocprim17ROCPRIM_400000_NS6detail17trampoline_kernelINS0_14default_configENS1_20scan_config_selectorIiEEZZNS1_9scan_implILNS1_25lookback_scan_determinismE0ELb0ELb0ES3_N6thrust23THRUST_200600_302600_NS6detail15normal_iteratorINS9_10device_ptrIiEEEESE_iNS9_4plusIiEEiEEDaPvRmT3_T4_T5_mT6_P12ihipStream_tbENKUlT_T0_E_clISt17integral_constantIbLb0EESU_EEDaSP_SQ_EUlSP_E_NS1_11comp_targetILNS1_3genE2ELNS1_11target_archE906ELNS1_3gpuE6ELNS1_3repE0EEENS1_30default_config_static_selectorELNS0_4arch9wavefront6targetE1EEEvT1_,@function
_ZN7rocprim17ROCPRIM_400000_NS6detail17trampoline_kernelINS0_14default_configENS1_20scan_config_selectorIiEEZZNS1_9scan_implILNS1_25lookback_scan_determinismE0ELb0ELb0ES3_N6thrust23THRUST_200600_302600_NS6detail15normal_iteratorINS9_10device_ptrIiEEEESE_iNS9_4plusIiEEiEEDaPvRmT3_T4_T5_mT6_P12ihipStream_tbENKUlT_T0_E_clISt17integral_constantIbLb0EESU_EEDaSP_SQ_EUlSP_E_NS1_11comp_targetILNS1_3genE2ELNS1_11target_archE906ELNS1_3gpuE6ELNS1_3repE0EEENS1_30default_config_static_selectorELNS0_4arch9wavefront6targetE1EEEvT1_: ; @_ZN7rocprim17ROCPRIM_400000_NS6detail17trampoline_kernelINS0_14default_configENS1_20scan_config_selectorIiEEZZNS1_9scan_implILNS1_25lookback_scan_determinismE0ELb0ELb0ES3_N6thrust23THRUST_200600_302600_NS6detail15normal_iteratorINS9_10device_ptrIiEEEESE_iNS9_4plusIiEEiEEDaPvRmT3_T4_T5_mT6_P12ihipStream_tbENKUlT_T0_E_clISt17integral_constantIbLb0EESU_EEDaSP_SQ_EUlSP_E_NS1_11comp_targetILNS1_3genE2ELNS1_11target_archE906ELNS1_3gpuE6ELNS1_3repE0EEENS1_30default_config_static_selectorELNS0_4arch9wavefront6targetE1EEEvT1_
; %bb.0:
	.section	.rodata,"a",@progbits
	.p2align	6, 0x0
	.amdhsa_kernel _ZN7rocprim17ROCPRIM_400000_NS6detail17trampoline_kernelINS0_14default_configENS1_20scan_config_selectorIiEEZZNS1_9scan_implILNS1_25lookback_scan_determinismE0ELb0ELb0ES3_N6thrust23THRUST_200600_302600_NS6detail15normal_iteratorINS9_10device_ptrIiEEEESE_iNS9_4plusIiEEiEEDaPvRmT3_T4_T5_mT6_P12ihipStream_tbENKUlT_T0_E_clISt17integral_constantIbLb0EESU_EEDaSP_SQ_EUlSP_E_NS1_11comp_targetILNS1_3genE2ELNS1_11target_archE906ELNS1_3gpuE6ELNS1_3repE0EEENS1_30default_config_static_selectorELNS0_4arch9wavefront6targetE1EEEvT1_
		.amdhsa_group_segment_fixed_size 0
		.amdhsa_private_segment_fixed_size 0
		.amdhsa_kernarg_size 96
		.amdhsa_user_sgpr_count 6
		.amdhsa_user_sgpr_private_segment_buffer 1
		.amdhsa_user_sgpr_dispatch_ptr 0
		.amdhsa_user_sgpr_queue_ptr 0
		.amdhsa_user_sgpr_kernarg_segment_ptr 1
		.amdhsa_user_sgpr_dispatch_id 0
		.amdhsa_user_sgpr_flat_scratch_init 0
		.amdhsa_user_sgpr_kernarg_preload_length 0
		.amdhsa_user_sgpr_kernarg_preload_offset 0
		.amdhsa_user_sgpr_private_segment_size 0
		.amdhsa_uses_dynamic_stack 0
		.amdhsa_system_sgpr_private_segment_wavefront_offset 0
		.amdhsa_system_sgpr_workgroup_id_x 1
		.amdhsa_system_sgpr_workgroup_id_y 0
		.amdhsa_system_sgpr_workgroup_id_z 0
		.amdhsa_system_sgpr_workgroup_info 0
		.amdhsa_system_vgpr_workitem_id 0
		.amdhsa_next_free_vgpr 1
		.amdhsa_next_free_sgpr 0
		.amdhsa_accum_offset 4
		.amdhsa_reserve_vcc 0
		.amdhsa_reserve_flat_scratch 0
		.amdhsa_float_round_mode_32 0
		.amdhsa_float_round_mode_16_64 0
		.amdhsa_float_denorm_mode_32 3
		.amdhsa_float_denorm_mode_16_64 3
		.amdhsa_dx10_clamp 1
		.amdhsa_ieee_mode 1
		.amdhsa_fp16_overflow 0
		.amdhsa_tg_split 0
		.amdhsa_exception_fp_ieee_invalid_op 0
		.amdhsa_exception_fp_denorm_src 0
		.amdhsa_exception_fp_ieee_div_zero 0
		.amdhsa_exception_fp_ieee_overflow 0
		.amdhsa_exception_fp_ieee_underflow 0
		.amdhsa_exception_fp_ieee_inexact 0
		.amdhsa_exception_int_div_zero 0
	.end_amdhsa_kernel
	.section	.text._ZN7rocprim17ROCPRIM_400000_NS6detail17trampoline_kernelINS0_14default_configENS1_20scan_config_selectorIiEEZZNS1_9scan_implILNS1_25lookback_scan_determinismE0ELb0ELb0ES3_N6thrust23THRUST_200600_302600_NS6detail15normal_iteratorINS9_10device_ptrIiEEEESE_iNS9_4plusIiEEiEEDaPvRmT3_T4_T5_mT6_P12ihipStream_tbENKUlT_T0_E_clISt17integral_constantIbLb0EESU_EEDaSP_SQ_EUlSP_E_NS1_11comp_targetILNS1_3genE2ELNS1_11target_archE906ELNS1_3gpuE6ELNS1_3repE0EEENS1_30default_config_static_selectorELNS0_4arch9wavefront6targetE1EEEvT1_,"axG",@progbits,_ZN7rocprim17ROCPRIM_400000_NS6detail17trampoline_kernelINS0_14default_configENS1_20scan_config_selectorIiEEZZNS1_9scan_implILNS1_25lookback_scan_determinismE0ELb0ELb0ES3_N6thrust23THRUST_200600_302600_NS6detail15normal_iteratorINS9_10device_ptrIiEEEESE_iNS9_4plusIiEEiEEDaPvRmT3_T4_T5_mT6_P12ihipStream_tbENKUlT_T0_E_clISt17integral_constantIbLb0EESU_EEDaSP_SQ_EUlSP_E_NS1_11comp_targetILNS1_3genE2ELNS1_11target_archE906ELNS1_3gpuE6ELNS1_3repE0EEENS1_30default_config_static_selectorELNS0_4arch9wavefront6targetE1EEEvT1_,comdat
.Lfunc_end509:
	.size	_ZN7rocprim17ROCPRIM_400000_NS6detail17trampoline_kernelINS0_14default_configENS1_20scan_config_selectorIiEEZZNS1_9scan_implILNS1_25lookback_scan_determinismE0ELb0ELb0ES3_N6thrust23THRUST_200600_302600_NS6detail15normal_iteratorINS9_10device_ptrIiEEEESE_iNS9_4plusIiEEiEEDaPvRmT3_T4_T5_mT6_P12ihipStream_tbENKUlT_T0_E_clISt17integral_constantIbLb0EESU_EEDaSP_SQ_EUlSP_E_NS1_11comp_targetILNS1_3genE2ELNS1_11target_archE906ELNS1_3gpuE6ELNS1_3repE0EEENS1_30default_config_static_selectorELNS0_4arch9wavefront6targetE1EEEvT1_, .Lfunc_end509-_ZN7rocprim17ROCPRIM_400000_NS6detail17trampoline_kernelINS0_14default_configENS1_20scan_config_selectorIiEEZZNS1_9scan_implILNS1_25lookback_scan_determinismE0ELb0ELb0ES3_N6thrust23THRUST_200600_302600_NS6detail15normal_iteratorINS9_10device_ptrIiEEEESE_iNS9_4plusIiEEiEEDaPvRmT3_T4_T5_mT6_P12ihipStream_tbENKUlT_T0_E_clISt17integral_constantIbLb0EESU_EEDaSP_SQ_EUlSP_E_NS1_11comp_targetILNS1_3genE2ELNS1_11target_archE906ELNS1_3gpuE6ELNS1_3repE0EEENS1_30default_config_static_selectorELNS0_4arch9wavefront6targetE1EEEvT1_
                                        ; -- End function
	.section	.AMDGPU.csdata,"",@progbits
; Kernel info:
; codeLenInByte = 0
; NumSgprs: 4
; NumVgprs: 0
; NumAgprs: 0
; TotalNumVgprs: 0
; ScratchSize: 0
; MemoryBound: 0
; FloatMode: 240
; IeeeMode: 1
; LDSByteSize: 0 bytes/workgroup (compile time only)
; SGPRBlocks: 0
; VGPRBlocks: 0
; NumSGPRsForWavesPerEU: 4
; NumVGPRsForWavesPerEU: 1
; AccumOffset: 4
; Occupancy: 8
; WaveLimiterHint : 0
; COMPUTE_PGM_RSRC2:SCRATCH_EN: 0
; COMPUTE_PGM_RSRC2:USER_SGPR: 6
; COMPUTE_PGM_RSRC2:TRAP_HANDLER: 0
; COMPUTE_PGM_RSRC2:TGID_X_EN: 1
; COMPUTE_PGM_RSRC2:TGID_Y_EN: 0
; COMPUTE_PGM_RSRC2:TGID_Z_EN: 0
; COMPUTE_PGM_RSRC2:TIDIG_COMP_CNT: 0
; COMPUTE_PGM_RSRC3_GFX90A:ACCUM_OFFSET: 0
; COMPUTE_PGM_RSRC3_GFX90A:TG_SPLIT: 0
	.section	.text._ZN7rocprim17ROCPRIM_400000_NS6detail17trampoline_kernelINS0_14default_configENS1_20scan_config_selectorIiEEZZNS1_9scan_implILNS1_25lookback_scan_determinismE0ELb0ELb0ES3_N6thrust23THRUST_200600_302600_NS6detail15normal_iteratorINS9_10device_ptrIiEEEESE_iNS9_4plusIiEEiEEDaPvRmT3_T4_T5_mT6_P12ihipStream_tbENKUlT_T0_E_clISt17integral_constantIbLb0EESU_EEDaSP_SQ_EUlSP_E_NS1_11comp_targetILNS1_3genE10ELNS1_11target_archE1201ELNS1_3gpuE5ELNS1_3repE0EEENS1_30default_config_static_selectorELNS0_4arch9wavefront6targetE1EEEvT1_,"axG",@progbits,_ZN7rocprim17ROCPRIM_400000_NS6detail17trampoline_kernelINS0_14default_configENS1_20scan_config_selectorIiEEZZNS1_9scan_implILNS1_25lookback_scan_determinismE0ELb0ELb0ES3_N6thrust23THRUST_200600_302600_NS6detail15normal_iteratorINS9_10device_ptrIiEEEESE_iNS9_4plusIiEEiEEDaPvRmT3_T4_T5_mT6_P12ihipStream_tbENKUlT_T0_E_clISt17integral_constantIbLb0EESU_EEDaSP_SQ_EUlSP_E_NS1_11comp_targetILNS1_3genE10ELNS1_11target_archE1201ELNS1_3gpuE5ELNS1_3repE0EEENS1_30default_config_static_selectorELNS0_4arch9wavefront6targetE1EEEvT1_,comdat
	.protected	_ZN7rocprim17ROCPRIM_400000_NS6detail17trampoline_kernelINS0_14default_configENS1_20scan_config_selectorIiEEZZNS1_9scan_implILNS1_25lookback_scan_determinismE0ELb0ELb0ES3_N6thrust23THRUST_200600_302600_NS6detail15normal_iteratorINS9_10device_ptrIiEEEESE_iNS9_4plusIiEEiEEDaPvRmT3_T4_T5_mT6_P12ihipStream_tbENKUlT_T0_E_clISt17integral_constantIbLb0EESU_EEDaSP_SQ_EUlSP_E_NS1_11comp_targetILNS1_3genE10ELNS1_11target_archE1201ELNS1_3gpuE5ELNS1_3repE0EEENS1_30default_config_static_selectorELNS0_4arch9wavefront6targetE1EEEvT1_ ; -- Begin function _ZN7rocprim17ROCPRIM_400000_NS6detail17trampoline_kernelINS0_14default_configENS1_20scan_config_selectorIiEEZZNS1_9scan_implILNS1_25lookback_scan_determinismE0ELb0ELb0ES3_N6thrust23THRUST_200600_302600_NS6detail15normal_iteratorINS9_10device_ptrIiEEEESE_iNS9_4plusIiEEiEEDaPvRmT3_T4_T5_mT6_P12ihipStream_tbENKUlT_T0_E_clISt17integral_constantIbLb0EESU_EEDaSP_SQ_EUlSP_E_NS1_11comp_targetILNS1_3genE10ELNS1_11target_archE1201ELNS1_3gpuE5ELNS1_3repE0EEENS1_30default_config_static_selectorELNS0_4arch9wavefront6targetE1EEEvT1_
	.globl	_ZN7rocprim17ROCPRIM_400000_NS6detail17trampoline_kernelINS0_14default_configENS1_20scan_config_selectorIiEEZZNS1_9scan_implILNS1_25lookback_scan_determinismE0ELb0ELb0ES3_N6thrust23THRUST_200600_302600_NS6detail15normal_iteratorINS9_10device_ptrIiEEEESE_iNS9_4plusIiEEiEEDaPvRmT3_T4_T5_mT6_P12ihipStream_tbENKUlT_T0_E_clISt17integral_constantIbLb0EESU_EEDaSP_SQ_EUlSP_E_NS1_11comp_targetILNS1_3genE10ELNS1_11target_archE1201ELNS1_3gpuE5ELNS1_3repE0EEENS1_30default_config_static_selectorELNS0_4arch9wavefront6targetE1EEEvT1_
	.p2align	8
	.type	_ZN7rocprim17ROCPRIM_400000_NS6detail17trampoline_kernelINS0_14default_configENS1_20scan_config_selectorIiEEZZNS1_9scan_implILNS1_25lookback_scan_determinismE0ELb0ELb0ES3_N6thrust23THRUST_200600_302600_NS6detail15normal_iteratorINS9_10device_ptrIiEEEESE_iNS9_4plusIiEEiEEDaPvRmT3_T4_T5_mT6_P12ihipStream_tbENKUlT_T0_E_clISt17integral_constantIbLb0EESU_EEDaSP_SQ_EUlSP_E_NS1_11comp_targetILNS1_3genE10ELNS1_11target_archE1201ELNS1_3gpuE5ELNS1_3repE0EEENS1_30default_config_static_selectorELNS0_4arch9wavefront6targetE1EEEvT1_,@function
_ZN7rocprim17ROCPRIM_400000_NS6detail17trampoline_kernelINS0_14default_configENS1_20scan_config_selectorIiEEZZNS1_9scan_implILNS1_25lookback_scan_determinismE0ELb0ELb0ES3_N6thrust23THRUST_200600_302600_NS6detail15normal_iteratorINS9_10device_ptrIiEEEESE_iNS9_4plusIiEEiEEDaPvRmT3_T4_T5_mT6_P12ihipStream_tbENKUlT_T0_E_clISt17integral_constantIbLb0EESU_EEDaSP_SQ_EUlSP_E_NS1_11comp_targetILNS1_3genE10ELNS1_11target_archE1201ELNS1_3gpuE5ELNS1_3repE0EEENS1_30default_config_static_selectorELNS0_4arch9wavefront6targetE1EEEvT1_: ; @_ZN7rocprim17ROCPRIM_400000_NS6detail17trampoline_kernelINS0_14default_configENS1_20scan_config_selectorIiEEZZNS1_9scan_implILNS1_25lookback_scan_determinismE0ELb0ELb0ES3_N6thrust23THRUST_200600_302600_NS6detail15normal_iteratorINS9_10device_ptrIiEEEESE_iNS9_4plusIiEEiEEDaPvRmT3_T4_T5_mT6_P12ihipStream_tbENKUlT_T0_E_clISt17integral_constantIbLb0EESU_EEDaSP_SQ_EUlSP_E_NS1_11comp_targetILNS1_3genE10ELNS1_11target_archE1201ELNS1_3gpuE5ELNS1_3repE0EEENS1_30default_config_static_selectorELNS0_4arch9wavefront6targetE1EEEvT1_
; %bb.0:
	.section	.rodata,"a",@progbits
	.p2align	6, 0x0
	.amdhsa_kernel _ZN7rocprim17ROCPRIM_400000_NS6detail17trampoline_kernelINS0_14default_configENS1_20scan_config_selectorIiEEZZNS1_9scan_implILNS1_25lookback_scan_determinismE0ELb0ELb0ES3_N6thrust23THRUST_200600_302600_NS6detail15normal_iteratorINS9_10device_ptrIiEEEESE_iNS9_4plusIiEEiEEDaPvRmT3_T4_T5_mT6_P12ihipStream_tbENKUlT_T0_E_clISt17integral_constantIbLb0EESU_EEDaSP_SQ_EUlSP_E_NS1_11comp_targetILNS1_3genE10ELNS1_11target_archE1201ELNS1_3gpuE5ELNS1_3repE0EEENS1_30default_config_static_selectorELNS0_4arch9wavefront6targetE1EEEvT1_
		.amdhsa_group_segment_fixed_size 0
		.amdhsa_private_segment_fixed_size 0
		.amdhsa_kernarg_size 96
		.amdhsa_user_sgpr_count 6
		.amdhsa_user_sgpr_private_segment_buffer 1
		.amdhsa_user_sgpr_dispatch_ptr 0
		.amdhsa_user_sgpr_queue_ptr 0
		.amdhsa_user_sgpr_kernarg_segment_ptr 1
		.amdhsa_user_sgpr_dispatch_id 0
		.amdhsa_user_sgpr_flat_scratch_init 0
		.amdhsa_user_sgpr_kernarg_preload_length 0
		.amdhsa_user_sgpr_kernarg_preload_offset 0
		.amdhsa_user_sgpr_private_segment_size 0
		.amdhsa_uses_dynamic_stack 0
		.amdhsa_system_sgpr_private_segment_wavefront_offset 0
		.amdhsa_system_sgpr_workgroup_id_x 1
		.amdhsa_system_sgpr_workgroup_id_y 0
		.amdhsa_system_sgpr_workgroup_id_z 0
		.amdhsa_system_sgpr_workgroup_info 0
		.amdhsa_system_vgpr_workitem_id 0
		.amdhsa_next_free_vgpr 1
		.amdhsa_next_free_sgpr 0
		.amdhsa_accum_offset 4
		.amdhsa_reserve_vcc 0
		.amdhsa_reserve_flat_scratch 0
		.amdhsa_float_round_mode_32 0
		.amdhsa_float_round_mode_16_64 0
		.amdhsa_float_denorm_mode_32 3
		.amdhsa_float_denorm_mode_16_64 3
		.amdhsa_dx10_clamp 1
		.amdhsa_ieee_mode 1
		.amdhsa_fp16_overflow 0
		.amdhsa_tg_split 0
		.amdhsa_exception_fp_ieee_invalid_op 0
		.amdhsa_exception_fp_denorm_src 0
		.amdhsa_exception_fp_ieee_div_zero 0
		.amdhsa_exception_fp_ieee_overflow 0
		.amdhsa_exception_fp_ieee_underflow 0
		.amdhsa_exception_fp_ieee_inexact 0
		.amdhsa_exception_int_div_zero 0
	.end_amdhsa_kernel
	.section	.text._ZN7rocprim17ROCPRIM_400000_NS6detail17trampoline_kernelINS0_14default_configENS1_20scan_config_selectorIiEEZZNS1_9scan_implILNS1_25lookback_scan_determinismE0ELb0ELb0ES3_N6thrust23THRUST_200600_302600_NS6detail15normal_iteratorINS9_10device_ptrIiEEEESE_iNS9_4plusIiEEiEEDaPvRmT3_T4_T5_mT6_P12ihipStream_tbENKUlT_T0_E_clISt17integral_constantIbLb0EESU_EEDaSP_SQ_EUlSP_E_NS1_11comp_targetILNS1_3genE10ELNS1_11target_archE1201ELNS1_3gpuE5ELNS1_3repE0EEENS1_30default_config_static_selectorELNS0_4arch9wavefront6targetE1EEEvT1_,"axG",@progbits,_ZN7rocprim17ROCPRIM_400000_NS6detail17trampoline_kernelINS0_14default_configENS1_20scan_config_selectorIiEEZZNS1_9scan_implILNS1_25lookback_scan_determinismE0ELb0ELb0ES3_N6thrust23THRUST_200600_302600_NS6detail15normal_iteratorINS9_10device_ptrIiEEEESE_iNS9_4plusIiEEiEEDaPvRmT3_T4_T5_mT6_P12ihipStream_tbENKUlT_T0_E_clISt17integral_constantIbLb0EESU_EEDaSP_SQ_EUlSP_E_NS1_11comp_targetILNS1_3genE10ELNS1_11target_archE1201ELNS1_3gpuE5ELNS1_3repE0EEENS1_30default_config_static_selectorELNS0_4arch9wavefront6targetE1EEEvT1_,comdat
.Lfunc_end510:
	.size	_ZN7rocprim17ROCPRIM_400000_NS6detail17trampoline_kernelINS0_14default_configENS1_20scan_config_selectorIiEEZZNS1_9scan_implILNS1_25lookback_scan_determinismE0ELb0ELb0ES3_N6thrust23THRUST_200600_302600_NS6detail15normal_iteratorINS9_10device_ptrIiEEEESE_iNS9_4plusIiEEiEEDaPvRmT3_T4_T5_mT6_P12ihipStream_tbENKUlT_T0_E_clISt17integral_constantIbLb0EESU_EEDaSP_SQ_EUlSP_E_NS1_11comp_targetILNS1_3genE10ELNS1_11target_archE1201ELNS1_3gpuE5ELNS1_3repE0EEENS1_30default_config_static_selectorELNS0_4arch9wavefront6targetE1EEEvT1_, .Lfunc_end510-_ZN7rocprim17ROCPRIM_400000_NS6detail17trampoline_kernelINS0_14default_configENS1_20scan_config_selectorIiEEZZNS1_9scan_implILNS1_25lookback_scan_determinismE0ELb0ELb0ES3_N6thrust23THRUST_200600_302600_NS6detail15normal_iteratorINS9_10device_ptrIiEEEESE_iNS9_4plusIiEEiEEDaPvRmT3_T4_T5_mT6_P12ihipStream_tbENKUlT_T0_E_clISt17integral_constantIbLb0EESU_EEDaSP_SQ_EUlSP_E_NS1_11comp_targetILNS1_3genE10ELNS1_11target_archE1201ELNS1_3gpuE5ELNS1_3repE0EEENS1_30default_config_static_selectorELNS0_4arch9wavefront6targetE1EEEvT1_
                                        ; -- End function
	.section	.AMDGPU.csdata,"",@progbits
; Kernel info:
; codeLenInByte = 0
; NumSgprs: 4
; NumVgprs: 0
; NumAgprs: 0
; TotalNumVgprs: 0
; ScratchSize: 0
; MemoryBound: 0
; FloatMode: 240
; IeeeMode: 1
; LDSByteSize: 0 bytes/workgroup (compile time only)
; SGPRBlocks: 0
; VGPRBlocks: 0
; NumSGPRsForWavesPerEU: 4
; NumVGPRsForWavesPerEU: 1
; AccumOffset: 4
; Occupancy: 8
; WaveLimiterHint : 0
; COMPUTE_PGM_RSRC2:SCRATCH_EN: 0
; COMPUTE_PGM_RSRC2:USER_SGPR: 6
; COMPUTE_PGM_RSRC2:TRAP_HANDLER: 0
; COMPUTE_PGM_RSRC2:TGID_X_EN: 1
; COMPUTE_PGM_RSRC2:TGID_Y_EN: 0
; COMPUTE_PGM_RSRC2:TGID_Z_EN: 0
; COMPUTE_PGM_RSRC2:TIDIG_COMP_CNT: 0
; COMPUTE_PGM_RSRC3_GFX90A:ACCUM_OFFSET: 0
; COMPUTE_PGM_RSRC3_GFX90A:TG_SPLIT: 0
	.section	.text._ZN7rocprim17ROCPRIM_400000_NS6detail17trampoline_kernelINS0_14default_configENS1_20scan_config_selectorIiEEZZNS1_9scan_implILNS1_25lookback_scan_determinismE0ELb0ELb0ES3_N6thrust23THRUST_200600_302600_NS6detail15normal_iteratorINS9_10device_ptrIiEEEESE_iNS9_4plusIiEEiEEDaPvRmT3_T4_T5_mT6_P12ihipStream_tbENKUlT_T0_E_clISt17integral_constantIbLb0EESU_EEDaSP_SQ_EUlSP_E_NS1_11comp_targetILNS1_3genE10ELNS1_11target_archE1200ELNS1_3gpuE4ELNS1_3repE0EEENS1_30default_config_static_selectorELNS0_4arch9wavefront6targetE1EEEvT1_,"axG",@progbits,_ZN7rocprim17ROCPRIM_400000_NS6detail17trampoline_kernelINS0_14default_configENS1_20scan_config_selectorIiEEZZNS1_9scan_implILNS1_25lookback_scan_determinismE0ELb0ELb0ES3_N6thrust23THRUST_200600_302600_NS6detail15normal_iteratorINS9_10device_ptrIiEEEESE_iNS9_4plusIiEEiEEDaPvRmT3_T4_T5_mT6_P12ihipStream_tbENKUlT_T0_E_clISt17integral_constantIbLb0EESU_EEDaSP_SQ_EUlSP_E_NS1_11comp_targetILNS1_3genE10ELNS1_11target_archE1200ELNS1_3gpuE4ELNS1_3repE0EEENS1_30default_config_static_selectorELNS0_4arch9wavefront6targetE1EEEvT1_,comdat
	.protected	_ZN7rocprim17ROCPRIM_400000_NS6detail17trampoline_kernelINS0_14default_configENS1_20scan_config_selectorIiEEZZNS1_9scan_implILNS1_25lookback_scan_determinismE0ELb0ELb0ES3_N6thrust23THRUST_200600_302600_NS6detail15normal_iteratorINS9_10device_ptrIiEEEESE_iNS9_4plusIiEEiEEDaPvRmT3_T4_T5_mT6_P12ihipStream_tbENKUlT_T0_E_clISt17integral_constantIbLb0EESU_EEDaSP_SQ_EUlSP_E_NS1_11comp_targetILNS1_3genE10ELNS1_11target_archE1200ELNS1_3gpuE4ELNS1_3repE0EEENS1_30default_config_static_selectorELNS0_4arch9wavefront6targetE1EEEvT1_ ; -- Begin function _ZN7rocprim17ROCPRIM_400000_NS6detail17trampoline_kernelINS0_14default_configENS1_20scan_config_selectorIiEEZZNS1_9scan_implILNS1_25lookback_scan_determinismE0ELb0ELb0ES3_N6thrust23THRUST_200600_302600_NS6detail15normal_iteratorINS9_10device_ptrIiEEEESE_iNS9_4plusIiEEiEEDaPvRmT3_T4_T5_mT6_P12ihipStream_tbENKUlT_T0_E_clISt17integral_constantIbLb0EESU_EEDaSP_SQ_EUlSP_E_NS1_11comp_targetILNS1_3genE10ELNS1_11target_archE1200ELNS1_3gpuE4ELNS1_3repE0EEENS1_30default_config_static_selectorELNS0_4arch9wavefront6targetE1EEEvT1_
	.globl	_ZN7rocprim17ROCPRIM_400000_NS6detail17trampoline_kernelINS0_14default_configENS1_20scan_config_selectorIiEEZZNS1_9scan_implILNS1_25lookback_scan_determinismE0ELb0ELb0ES3_N6thrust23THRUST_200600_302600_NS6detail15normal_iteratorINS9_10device_ptrIiEEEESE_iNS9_4plusIiEEiEEDaPvRmT3_T4_T5_mT6_P12ihipStream_tbENKUlT_T0_E_clISt17integral_constantIbLb0EESU_EEDaSP_SQ_EUlSP_E_NS1_11comp_targetILNS1_3genE10ELNS1_11target_archE1200ELNS1_3gpuE4ELNS1_3repE0EEENS1_30default_config_static_selectorELNS0_4arch9wavefront6targetE1EEEvT1_
	.p2align	8
	.type	_ZN7rocprim17ROCPRIM_400000_NS6detail17trampoline_kernelINS0_14default_configENS1_20scan_config_selectorIiEEZZNS1_9scan_implILNS1_25lookback_scan_determinismE0ELb0ELb0ES3_N6thrust23THRUST_200600_302600_NS6detail15normal_iteratorINS9_10device_ptrIiEEEESE_iNS9_4plusIiEEiEEDaPvRmT3_T4_T5_mT6_P12ihipStream_tbENKUlT_T0_E_clISt17integral_constantIbLb0EESU_EEDaSP_SQ_EUlSP_E_NS1_11comp_targetILNS1_3genE10ELNS1_11target_archE1200ELNS1_3gpuE4ELNS1_3repE0EEENS1_30default_config_static_selectorELNS0_4arch9wavefront6targetE1EEEvT1_,@function
_ZN7rocprim17ROCPRIM_400000_NS6detail17trampoline_kernelINS0_14default_configENS1_20scan_config_selectorIiEEZZNS1_9scan_implILNS1_25lookback_scan_determinismE0ELb0ELb0ES3_N6thrust23THRUST_200600_302600_NS6detail15normal_iteratorINS9_10device_ptrIiEEEESE_iNS9_4plusIiEEiEEDaPvRmT3_T4_T5_mT6_P12ihipStream_tbENKUlT_T0_E_clISt17integral_constantIbLb0EESU_EEDaSP_SQ_EUlSP_E_NS1_11comp_targetILNS1_3genE10ELNS1_11target_archE1200ELNS1_3gpuE4ELNS1_3repE0EEENS1_30default_config_static_selectorELNS0_4arch9wavefront6targetE1EEEvT1_: ; @_ZN7rocprim17ROCPRIM_400000_NS6detail17trampoline_kernelINS0_14default_configENS1_20scan_config_selectorIiEEZZNS1_9scan_implILNS1_25lookback_scan_determinismE0ELb0ELb0ES3_N6thrust23THRUST_200600_302600_NS6detail15normal_iteratorINS9_10device_ptrIiEEEESE_iNS9_4plusIiEEiEEDaPvRmT3_T4_T5_mT6_P12ihipStream_tbENKUlT_T0_E_clISt17integral_constantIbLb0EESU_EEDaSP_SQ_EUlSP_E_NS1_11comp_targetILNS1_3genE10ELNS1_11target_archE1200ELNS1_3gpuE4ELNS1_3repE0EEENS1_30default_config_static_selectorELNS0_4arch9wavefront6targetE1EEEvT1_
; %bb.0:
	.section	.rodata,"a",@progbits
	.p2align	6, 0x0
	.amdhsa_kernel _ZN7rocprim17ROCPRIM_400000_NS6detail17trampoline_kernelINS0_14default_configENS1_20scan_config_selectorIiEEZZNS1_9scan_implILNS1_25lookback_scan_determinismE0ELb0ELb0ES3_N6thrust23THRUST_200600_302600_NS6detail15normal_iteratorINS9_10device_ptrIiEEEESE_iNS9_4plusIiEEiEEDaPvRmT3_T4_T5_mT6_P12ihipStream_tbENKUlT_T0_E_clISt17integral_constantIbLb0EESU_EEDaSP_SQ_EUlSP_E_NS1_11comp_targetILNS1_3genE10ELNS1_11target_archE1200ELNS1_3gpuE4ELNS1_3repE0EEENS1_30default_config_static_selectorELNS0_4arch9wavefront6targetE1EEEvT1_
		.amdhsa_group_segment_fixed_size 0
		.amdhsa_private_segment_fixed_size 0
		.amdhsa_kernarg_size 96
		.amdhsa_user_sgpr_count 6
		.amdhsa_user_sgpr_private_segment_buffer 1
		.amdhsa_user_sgpr_dispatch_ptr 0
		.amdhsa_user_sgpr_queue_ptr 0
		.amdhsa_user_sgpr_kernarg_segment_ptr 1
		.amdhsa_user_sgpr_dispatch_id 0
		.amdhsa_user_sgpr_flat_scratch_init 0
		.amdhsa_user_sgpr_kernarg_preload_length 0
		.amdhsa_user_sgpr_kernarg_preload_offset 0
		.amdhsa_user_sgpr_private_segment_size 0
		.amdhsa_uses_dynamic_stack 0
		.amdhsa_system_sgpr_private_segment_wavefront_offset 0
		.amdhsa_system_sgpr_workgroup_id_x 1
		.amdhsa_system_sgpr_workgroup_id_y 0
		.amdhsa_system_sgpr_workgroup_id_z 0
		.amdhsa_system_sgpr_workgroup_info 0
		.amdhsa_system_vgpr_workitem_id 0
		.amdhsa_next_free_vgpr 1
		.amdhsa_next_free_sgpr 0
		.amdhsa_accum_offset 4
		.amdhsa_reserve_vcc 0
		.amdhsa_reserve_flat_scratch 0
		.amdhsa_float_round_mode_32 0
		.amdhsa_float_round_mode_16_64 0
		.amdhsa_float_denorm_mode_32 3
		.amdhsa_float_denorm_mode_16_64 3
		.amdhsa_dx10_clamp 1
		.amdhsa_ieee_mode 1
		.amdhsa_fp16_overflow 0
		.amdhsa_tg_split 0
		.amdhsa_exception_fp_ieee_invalid_op 0
		.amdhsa_exception_fp_denorm_src 0
		.amdhsa_exception_fp_ieee_div_zero 0
		.amdhsa_exception_fp_ieee_overflow 0
		.amdhsa_exception_fp_ieee_underflow 0
		.amdhsa_exception_fp_ieee_inexact 0
		.amdhsa_exception_int_div_zero 0
	.end_amdhsa_kernel
	.section	.text._ZN7rocprim17ROCPRIM_400000_NS6detail17trampoline_kernelINS0_14default_configENS1_20scan_config_selectorIiEEZZNS1_9scan_implILNS1_25lookback_scan_determinismE0ELb0ELb0ES3_N6thrust23THRUST_200600_302600_NS6detail15normal_iteratorINS9_10device_ptrIiEEEESE_iNS9_4plusIiEEiEEDaPvRmT3_T4_T5_mT6_P12ihipStream_tbENKUlT_T0_E_clISt17integral_constantIbLb0EESU_EEDaSP_SQ_EUlSP_E_NS1_11comp_targetILNS1_3genE10ELNS1_11target_archE1200ELNS1_3gpuE4ELNS1_3repE0EEENS1_30default_config_static_selectorELNS0_4arch9wavefront6targetE1EEEvT1_,"axG",@progbits,_ZN7rocprim17ROCPRIM_400000_NS6detail17trampoline_kernelINS0_14default_configENS1_20scan_config_selectorIiEEZZNS1_9scan_implILNS1_25lookback_scan_determinismE0ELb0ELb0ES3_N6thrust23THRUST_200600_302600_NS6detail15normal_iteratorINS9_10device_ptrIiEEEESE_iNS9_4plusIiEEiEEDaPvRmT3_T4_T5_mT6_P12ihipStream_tbENKUlT_T0_E_clISt17integral_constantIbLb0EESU_EEDaSP_SQ_EUlSP_E_NS1_11comp_targetILNS1_3genE10ELNS1_11target_archE1200ELNS1_3gpuE4ELNS1_3repE0EEENS1_30default_config_static_selectorELNS0_4arch9wavefront6targetE1EEEvT1_,comdat
.Lfunc_end511:
	.size	_ZN7rocprim17ROCPRIM_400000_NS6detail17trampoline_kernelINS0_14default_configENS1_20scan_config_selectorIiEEZZNS1_9scan_implILNS1_25lookback_scan_determinismE0ELb0ELb0ES3_N6thrust23THRUST_200600_302600_NS6detail15normal_iteratorINS9_10device_ptrIiEEEESE_iNS9_4plusIiEEiEEDaPvRmT3_T4_T5_mT6_P12ihipStream_tbENKUlT_T0_E_clISt17integral_constantIbLb0EESU_EEDaSP_SQ_EUlSP_E_NS1_11comp_targetILNS1_3genE10ELNS1_11target_archE1200ELNS1_3gpuE4ELNS1_3repE0EEENS1_30default_config_static_selectorELNS0_4arch9wavefront6targetE1EEEvT1_, .Lfunc_end511-_ZN7rocprim17ROCPRIM_400000_NS6detail17trampoline_kernelINS0_14default_configENS1_20scan_config_selectorIiEEZZNS1_9scan_implILNS1_25lookback_scan_determinismE0ELb0ELb0ES3_N6thrust23THRUST_200600_302600_NS6detail15normal_iteratorINS9_10device_ptrIiEEEESE_iNS9_4plusIiEEiEEDaPvRmT3_T4_T5_mT6_P12ihipStream_tbENKUlT_T0_E_clISt17integral_constantIbLb0EESU_EEDaSP_SQ_EUlSP_E_NS1_11comp_targetILNS1_3genE10ELNS1_11target_archE1200ELNS1_3gpuE4ELNS1_3repE0EEENS1_30default_config_static_selectorELNS0_4arch9wavefront6targetE1EEEvT1_
                                        ; -- End function
	.section	.AMDGPU.csdata,"",@progbits
; Kernel info:
; codeLenInByte = 0
; NumSgprs: 4
; NumVgprs: 0
; NumAgprs: 0
; TotalNumVgprs: 0
; ScratchSize: 0
; MemoryBound: 0
; FloatMode: 240
; IeeeMode: 1
; LDSByteSize: 0 bytes/workgroup (compile time only)
; SGPRBlocks: 0
; VGPRBlocks: 0
; NumSGPRsForWavesPerEU: 4
; NumVGPRsForWavesPerEU: 1
; AccumOffset: 4
; Occupancy: 8
; WaveLimiterHint : 0
; COMPUTE_PGM_RSRC2:SCRATCH_EN: 0
; COMPUTE_PGM_RSRC2:USER_SGPR: 6
; COMPUTE_PGM_RSRC2:TRAP_HANDLER: 0
; COMPUTE_PGM_RSRC2:TGID_X_EN: 1
; COMPUTE_PGM_RSRC2:TGID_Y_EN: 0
; COMPUTE_PGM_RSRC2:TGID_Z_EN: 0
; COMPUTE_PGM_RSRC2:TIDIG_COMP_CNT: 0
; COMPUTE_PGM_RSRC3_GFX90A:ACCUM_OFFSET: 0
; COMPUTE_PGM_RSRC3_GFX90A:TG_SPLIT: 0
	.section	.text._ZN7rocprim17ROCPRIM_400000_NS6detail17trampoline_kernelINS0_14default_configENS1_20scan_config_selectorIiEEZZNS1_9scan_implILNS1_25lookback_scan_determinismE0ELb0ELb0ES3_N6thrust23THRUST_200600_302600_NS6detail15normal_iteratorINS9_10device_ptrIiEEEESE_iNS9_4plusIiEEiEEDaPvRmT3_T4_T5_mT6_P12ihipStream_tbENKUlT_T0_E_clISt17integral_constantIbLb0EESU_EEDaSP_SQ_EUlSP_E_NS1_11comp_targetILNS1_3genE9ELNS1_11target_archE1100ELNS1_3gpuE3ELNS1_3repE0EEENS1_30default_config_static_selectorELNS0_4arch9wavefront6targetE1EEEvT1_,"axG",@progbits,_ZN7rocprim17ROCPRIM_400000_NS6detail17trampoline_kernelINS0_14default_configENS1_20scan_config_selectorIiEEZZNS1_9scan_implILNS1_25lookback_scan_determinismE0ELb0ELb0ES3_N6thrust23THRUST_200600_302600_NS6detail15normal_iteratorINS9_10device_ptrIiEEEESE_iNS9_4plusIiEEiEEDaPvRmT3_T4_T5_mT6_P12ihipStream_tbENKUlT_T0_E_clISt17integral_constantIbLb0EESU_EEDaSP_SQ_EUlSP_E_NS1_11comp_targetILNS1_3genE9ELNS1_11target_archE1100ELNS1_3gpuE3ELNS1_3repE0EEENS1_30default_config_static_selectorELNS0_4arch9wavefront6targetE1EEEvT1_,comdat
	.protected	_ZN7rocprim17ROCPRIM_400000_NS6detail17trampoline_kernelINS0_14default_configENS1_20scan_config_selectorIiEEZZNS1_9scan_implILNS1_25lookback_scan_determinismE0ELb0ELb0ES3_N6thrust23THRUST_200600_302600_NS6detail15normal_iteratorINS9_10device_ptrIiEEEESE_iNS9_4plusIiEEiEEDaPvRmT3_T4_T5_mT6_P12ihipStream_tbENKUlT_T0_E_clISt17integral_constantIbLb0EESU_EEDaSP_SQ_EUlSP_E_NS1_11comp_targetILNS1_3genE9ELNS1_11target_archE1100ELNS1_3gpuE3ELNS1_3repE0EEENS1_30default_config_static_selectorELNS0_4arch9wavefront6targetE1EEEvT1_ ; -- Begin function _ZN7rocprim17ROCPRIM_400000_NS6detail17trampoline_kernelINS0_14default_configENS1_20scan_config_selectorIiEEZZNS1_9scan_implILNS1_25lookback_scan_determinismE0ELb0ELb0ES3_N6thrust23THRUST_200600_302600_NS6detail15normal_iteratorINS9_10device_ptrIiEEEESE_iNS9_4plusIiEEiEEDaPvRmT3_T4_T5_mT6_P12ihipStream_tbENKUlT_T0_E_clISt17integral_constantIbLb0EESU_EEDaSP_SQ_EUlSP_E_NS1_11comp_targetILNS1_3genE9ELNS1_11target_archE1100ELNS1_3gpuE3ELNS1_3repE0EEENS1_30default_config_static_selectorELNS0_4arch9wavefront6targetE1EEEvT1_
	.globl	_ZN7rocprim17ROCPRIM_400000_NS6detail17trampoline_kernelINS0_14default_configENS1_20scan_config_selectorIiEEZZNS1_9scan_implILNS1_25lookback_scan_determinismE0ELb0ELb0ES3_N6thrust23THRUST_200600_302600_NS6detail15normal_iteratorINS9_10device_ptrIiEEEESE_iNS9_4plusIiEEiEEDaPvRmT3_T4_T5_mT6_P12ihipStream_tbENKUlT_T0_E_clISt17integral_constantIbLb0EESU_EEDaSP_SQ_EUlSP_E_NS1_11comp_targetILNS1_3genE9ELNS1_11target_archE1100ELNS1_3gpuE3ELNS1_3repE0EEENS1_30default_config_static_selectorELNS0_4arch9wavefront6targetE1EEEvT1_
	.p2align	8
	.type	_ZN7rocprim17ROCPRIM_400000_NS6detail17trampoline_kernelINS0_14default_configENS1_20scan_config_selectorIiEEZZNS1_9scan_implILNS1_25lookback_scan_determinismE0ELb0ELb0ES3_N6thrust23THRUST_200600_302600_NS6detail15normal_iteratorINS9_10device_ptrIiEEEESE_iNS9_4plusIiEEiEEDaPvRmT3_T4_T5_mT6_P12ihipStream_tbENKUlT_T0_E_clISt17integral_constantIbLb0EESU_EEDaSP_SQ_EUlSP_E_NS1_11comp_targetILNS1_3genE9ELNS1_11target_archE1100ELNS1_3gpuE3ELNS1_3repE0EEENS1_30default_config_static_selectorELNS0_4arch9wavefront6targetE1EEEvT1_,@function
_ZN7rocprim17ROCPRIM_400000_NS6detail17trampoline_kernelINS0_14default_configENS1_20scan_config_selectorIiEEZZNS1_9scan_implILNS1_25lookback_scan_determinismE0ELb0ELb0ES3_N6thrust23THRUST_200600_302600_NS6detail15normal_iteratorINS9_10device_ptrIiEEEESE_iNS9_4plusIiEEiEEDaPvRmT3_T4_T5_mT6_P12ihipStream_tbENKUlT_T0_E_clISt17integral_constantIbLb0EESU_EEDaSP_SQ_EUlSP_E_NS1_11comp_targetILNS1_3genE9ELNS1_11target_archE1100ELNS1_3gpuE3ELNS1_3repE0EEENS1_30default_config_static_selectorELNS0_4arch9wavefront6targetE1EEEvT1_: ; @_ZN7rocprim17ROCPRIM_400000_NS6detail17trampoline_kernelINS0_14default_configENS1_20scan_config_selectorIiEEZZNS1_9scan_implILNS1_25lookback_scan_determinismE0ELb0ELb0ES3_N6thrust23THRUST_200600_302600_NS6detail15normal_iteratorINS9_10device_ptrIiEEEESE_iNS9_4plusIiEEiEEDaPvRmT3_T4_T5_mT6_P12ihipStream_tbENKUlT_T0_E_clISt17integral_constantIbLb0EESU_EEDaSP_SQ_EUlSP_E_NS1_11comp_targetILNS1_3genE9ELNS1_11target_archE1100ELNS1_3gpuE3ELNS1_3repE0EEENS1_30default_config_static_selectorELNS0_4arch9wavefront6targetE1EEEvT1_
; %bb.0:
	.section	.rodata,"a",@progbits
	.p2align	6, 0x0
	.amdhsa_kernel _ZN7rocprim17ROCPRIM_400000_NS6detail17trampoline_kernelINS0_14default_configENS1_20scan_config_selectorIiEEZZNS1_9scan_implILNS1_25lookback_scan_determinismE0ELb0ELb0ES3_N6thrust23THRUST_200600_302600_NS6detail15normal_iteratorINS9_10device_ptrIiEEEESE_iNS9_4plusIiEEiEEDaPvRmT3_T4_T5_mT6_P12ihipStream_tbENKUlT_T0_E_clISt17integral_constantIbLb0EESU_EEDaSP_SQ_EUlSP_E_NS1_11comp_targetILNS1_3genE9ELNS1_11target_archE1100ELNS1_3gpuE3ELNS1_3repE0EEENS1_30default_config_static_selectorELNS0_4arch9wavefront6targetE1EEEvT1_
		.amdhsa_group_segment_fixed_size 0
		.amdhsa_private_segment_fixed_size 0
		.amdhsa_kernarg_size 96
		.amdhsa_user_sgpr_count 6
		.amdhsa_user_sgpr_private_segment_buffer 1
		.amdhsa_user_sgpr_dispatch_ptr 0
		.amdhsa_user_sgpr_queue_ptr 0
		.amdhsa_user_sgpr_kernarg_segment_ptr 1
		.amdhsa_user_sgpr_dispatch_id 0
		.amdhsa_user_sgpr_flat_scratch_init 0
		.amdhsa_user_sgpr_kernarg_preload_length 0
		.amdhsa_user_sgpr_kernarg_preload_offset 0
		.amdhsa_user_sgpr_private_segment_size 0
		.amdhsa_uses_dynamic_stack 0
		.amdhsa_system_sgpr_private_segment_wavefront_offset 0
		.amdhsa_system_sgpr_workgroup_id_x 1
		.amdhsa_system_sgpr_workgroup_id_y 0
		.amdhsa_system_sgpr_workgroup_id_z 0
		.amdhsa_system_sgpr_workgroup_info 0
		.amdhsa_system_vgpr_workitem_id 0
		.amdhsa_next_free_vgpr 1
		.amdhsa_next_free_sgpr 0
		.amdhsa_accum_offset 4
		.amdhsa_reserve_vcc 0
		.amdhsa_reserve_flat_scratch 0
		.amdhsa_float_round_mode_32 0
		.amdhsa_float_round_mode_16_64 0
		.amdhsa_float_denorm_mode_32 3
		.amdhsa_float_denorm_mode_16_64 3
		.amdhsa_dx10_clamp 1
		.amdhsa_ieee_mode 1
		.amdhsa_fp16_overflow 0
		.amdhsa_tg_split 0
		.amdhsa_exception_fp_ieee_invalid_op 0
		.amdhsa_exception_fp_denorm_src 0
		.amdhsa_exception_fp_ieee_div_zero 0
		.amdhsa_exception_fp_ieee_overflow 0
		.amdhsa_exception_fp_ieee_underflow 0
		.amdhsa_exception_fp_ieee_inexact 0
		.amdhsa_exception_int_div_zero 0
	.end_amdhsa_kernel
	.section	.text._ZN7rocprim17ROCPRIM_400000_NS6detail17trampoline_kernelINS0_14default_configENS1_20scan_config_selectorIiEEZZNS1_9scan_implILNS1_25lookback_scan_determinismE0ELb0ELb0ES3_N6thrust23THRUST_200600_302600_NS6detail15normal_iteratorINS9_10device_ptrIiEEEESE_iNS9_4plusIiEEiEEDaPvRmT3_T4_T5_mT6_P12ihipStream_tbENKUlT_T0_E_clISt17integral_constantIbLb0EESU_EEDaSP_SQ_EUlSP_E_NS1_11comp_targetILNS1_3genE9ELNS1_11target_archE1100ELNS1_3gpuE3ELNS1_3repE0EEENS1_30default_config_static_selectorELNS0_4arch9wavefront6targetE1EEEvT1_,"axG",@progbits,_ZN7rocprim17ROCPRIM_400000_NS6detail17trampoline_kernelINS0_14default_configENS1_20scan_config_selectorIiEEZZNS1_9scan_implILNS1_25lookback_scan_determinismE0ELb0ELb0ES3_N6thrust23THRUST_200600_302600_NS6detail15normal_iteratorINS9_10device_ptrIiEEEESE_iNS9_4plusIiEEiEEDaPvRmT3_T4_T5_mT6_P12ihipStream_tbENKUlT_T0_E_clISt17integral_constantIbLb0EESU_EEDaSP_SQ_EUlSP_E_NS1_11comp_targetILNS1_3genE9ELNS1_11target_archE1100ELNS1_3gpuE3ELNS1_3repE0EEENS1_30default_config_static_selectorELNS0_4arch9wavefront6targetE1EEEvT1_,comdat
.Lfunc_end512:
	.size	_ZN7rocprim17ROCPRIM_400000_NS6detail17trampoline_kernelINS0_14default_configENS1_20scan_config_selectorIiEEZZNS1_9scan_implILNS1_25lookback_scan_determinismE0ELb0ELb0ES3_N6thrust23THRUST_200600_302600_NS6detail15normal_iteratorINS9_10device_ptrIiEEEESE_iNS9_4plusIiEEiEEDaPvRmT3_T4_T5_mT6_P12ihipStream_tbENKUlT_T0_E_clISt17integral_constantIbLb0EESU_EEDaSP_SQ_EUlSP_E_NS1_11comp_targetILNS1_3genE9ELNS1_11target_archE1100ELNS1_3gpuE3ELNS1_3repE0EEENS1_30default_config_static_selectorELNS0_4arch9wavefront6targetE1EEEvT1_, .Lfunc_end512-_ZN7rocprim17ROCPRIM_400000_NS6detail17trampoline_kernelINS0_14default_configENS1_20scan_config_selectorIiEEZZNS1_9scan_implILNS1_25lookback_scan_determinismE0ELb0ELb0ES3_N6thrust23THRUST_200600_302600_NS6detail15normal_iteratorINS9_10device_ptrIiEEEESE_iNS9_4plusIiEEiEEDaPvRmT3_T4_T5_mT6_P12ihipStream_tbENKUlT_T0_E_clISt17integral_constantIbLb0EESU_EEDaSP_SQ_EUlSP_E_NS1_11comp_targetILNS1_3genE9ELNS1_11target_archE1100ELNS1_3gpuE3ELNS1_3repE0EEENS1_30default_config_static_selectorELNS0_4arch9wavefront6targetE1EEEvT1_
                                        ; -- End function
	.section	.AMDGPU.csdata,"",@progbits
; Kernel info:
; codeLenInByte = 0
; NumSgprs: 4
; NumVgprs: 0
; NumAgprs: 0
; TotalNumVgprs: 0
; ScratchSize: 0
; MemoryBound: 0
; FloatMode: 240
; IeeeMode: 1
; LDSByteSize: 0 bytes/workgroup (compile time only)
; SGPRBlocks: 0
; VGPRBlocks: 0
; NumSGPRsForWavesPerEU: 4
; NumVGPRsForWavesPerEU: 1
; AccumOffset: 4
; Occupancy: 8
; WaveLimiterHint : 0
; COMPUTE_PGM_RSRC2:SCRATCH_EN: 0
; COMPUTE_PGM_RSRC2:USER_SGPR: 6
; COMPUTE_PGM_RSRC2:TRAP_HANDLER: 0
; COMPUTE_PGM_RSRC2:TGID_X_EN: 1
; COMPUTE_PGM_RSRC2:TGID_Y_EN: 0
; COMPUTE_PGM_RSRC2:TGID_Z_EN: 0
; COMPUTE_PGM_RSRC2:TIDIG_COMP_CNT: 0
; COMPUTE_PGM_RSRC3_GFX90A:ACCUM_OFFSET: 0
; COMPUTE_PGM_RSRC3_GFX90A:TG_SPLIT: 0
	.section	.text._ZN7rocprim17ROCPRIM_400000_NS6detail17trampoline_kernelINS0_14default_configENS1_20scan_config_selectorIiEEZZNS1_9scan_implILNS1_25lookback_scan_determinismE0ELb0ELb0ES3_N6thrust23THRUST_200600_302600_NS6detail15normal_iteratorINS9_10device_ptrIiEEEESE_iNS9_4plusIiEEiEEDaPvRmT3_T4_T5_mT6_P12ihipStream_tbENKUlT_T0_E_clISt17integral_constantIbLb0EESU_EEDaSP_SQ_EUlSP_E_NS1_11comp_targetILNS1_3genE8ELNS1_11target_archE1030ELNS1_3gpuE2ELNS1_3repE0EEENS1_30default_config_static_selectorELNS0_4arch9wavefront6targetE1EEEvT1_,"axG",@progbits,_ZN7rocprim17ROCPRIM_400000_NS6detail17trampoline_kernelINS0_14default_configENS1_20scan_config_selectorIiEEZZNS1_9scan_implILNS1_25lookback_scan_determinismE0ELb0ELb0ES3_N6thrust23THRUST_200600_302600_NS6detail15normal_iteratorINS9_10device_ptrIiEEEESE_iNS9_4plusIiEEiEEDaPvRmT3_T4_T5_mT6_P12ihipStream_tbENKUlT_T0_E_clISt17integral_constantIbLb0EESU_EEDaSP_SQ_EUlSP_E_NS1_11comp_targetILNS1_3genE8ELNS1_11target_archE1030ELNS1_3gpuE2ELNS1_3repE0EEENS1_30default_config_static_selectorELNS0_4arch9wavefront6targetE1EEEvT1_,comdat
	.protected	_ZN7rocprim17ROCPRIM_400000_NS6detail17trampoline_kernelINS0_14default_configENS1_20scan_config_selectorIiEEZZNS1_9scan_implILNS1_25lookback_scan_determinismE0ELb0ELb0ES3_N6thrust23THRUST_200600_302600_NS6detail15normal_iteratorINS9_10device_ptrIiEEEESE_iNS9_4plusIiEEiEEDaPvRmT3_T4_T5_mT6_P12ihipStream_tbENKUlT_T0_E_clISt17integral_constantIbLb0EESU_EEDaSP_SQ_EUlSP_E_NS1_11comp_targetILNS1_3genE8ELNS1_11target_archE1030ELNS1_3gpuE2ELNS1_3repE0EEENS1_30default_config_static_selectorELNS0_4arch9wavefront6targetE1EEEvT1_ ; -- Begin function _ZN7rocprim17ROCPRIM_400000_NS6detail17trampoline_kernelINS0_14default_configENS1_20scan_config_selectorIiEEZZNS1_9scan_implILNS1_25lookback_scan_determinismE0ELb0ELb0ES3_N6thrust23THRUST_200600_302600_NS6detail15normal_iteratorINS9_10device_ptrIiEEEESE_iNS9_4plusIiEEiEEDaPvRmT3_T4_T5_mT6_P12ihipStream_tbENKUlT_T0_E_clISt17integral_constantIbLb0EESU_EEDaSP_SQ_EUlSP_E_NS1_11comp_targetILNS1_3genE8ELNS1_11target_archE1030ELNS1_3gpuE2ELNS1_3repE0EEENS1_30default_config_static_selectorELNS0_4arch9wavefront6targetE1EEEvT1_
	.globl	_ZN7rocprim17ROCPRIM_400000_NS6detail17trampoline_kernelINS0_14default_configENS1_20scan_config_selectorIiEEZZNS1_9scan_implILNS1_25lookback_scan_determinismE0ELb0ELb0ES3_N6thrust23THRUST_200600_302600_NS6detail15normal_iteratorINS9_10device_ptrIiEEEESE_iNS9_4plusIiEEiEEDaPvRmT3_T4_T5_mT6_P12ihipStream_tbENKUlT_T0_E_clISt17integral_constantIbLb0EESU_EEDaSP_SQ_EUlSP_E_NS1_11comp_targetILNS1_3genE8ELNS1_11target_archE1030ELNS1_3gpuE2ELNS1_3repE0EEENS1_30default_config_static_selectorELNS0_4arch9wavefront6targetE1EEEvT1_
	.p2align	8
	.type	_ZN7rocprim17ROCPRIM_400000_NS6detail17trampoline_kernelINS0_14default_configENS1_20scan_config_selectorIiEEZZNS1_9scan_implILNS1_25lookback_scan_determinismE0ELb0ELb0ES3_N6thrust23THRUST_200600_302600_NS6detail15normal_iteratorINS9_10device_ptrIiEEEESE_iNS9_4plusIiEEiEEDaPvRmT3_T4_T5_mT6_P12ihipStream_tbENKUlT_T0_E_clISt17integral_constantIbLb0EESU_EEDaSP_SQ_EUlSP_E_NS1_11comp_targetILNS1_3genE8ELNS1_11target_archE1030ELNS1_3gpuE2ELNS1_3repE0EEENS1_30default_config_static_selectorELNS0_4arch9wavefront6targetE1EEEvT1_,@function
_ZN7rocprim17ROCPRIM_400000_NS6detail17trampoline_kernelINS0_14default_configENS1_20scan_config_selectorIiEEZZNS1_9scan_implILNS1_25lookback_scan_determinismE0ELb0ELb0ES3_N6thrust23THRUST_200600_302600_NS6detail15normal_iteratorINS9_10device_ptrIiEEEESE_iNS9_4plusIiEEiEEDaPvRmT3_T4_T5_mT6_P12ihipStream_tbENKUlT_T0_E_clISt17integral_constantIbLb0EESU_EEDaSP_SQ_EUlSP_E_NS1_11comp_targetILNS1_3genE8ELNS1_11target_archE1030ELNS1_3gpuE2ELNS1_3repE0EEENS1_30default_config_static_selectorELNS0_4arch9wavefront6targetE1EEEvT1_: ; @_ZN7rocprim17ROCPRIM_400000_NS6detail17trampoline_kernelINS0_14default_configENS1_20scan_config_selectorIiEEZZNS1_9scan_implILNS1_25lookback_scan_determinismE0ELb0ELb0ES3_N6thrust23THRUST_200600_302600_NS6detail15normal_iteratorINS9_10device_ptrIiEEEESE_iNS9_4plusIiEEiEEDaPvRmT3_T4_T5_mT6_P12ihipStream_tbENKUlT_T0_E_clISt17integral_constantIbLb0EESU_EEDaSP_SQ_EUlSP_E_NS1_11comp_targetILNS1_3genE8ELNS1_11target_archE1030ELNS1_3gpuE2ELNS1_3repE0EEENS1_30default_config_static_selectorELNS0_4arch9wavefront6targetE1EEEvT1_
; %bb.0:
	.section	.rodata,"a",@progbits
	.p2align	6, 0x0
	.amdhsa_kernel _ZN7rocprim17ROCPRIM_400000_NS6detail17trampoline_kernelINS0_14default_configENS1_20scan_config_selectorIiEEZZNS1_9scan_implILNS1_25lookback_scan_determinismE0ELb0ELb0ES3_N6thrust23THRUST_200600_302600_NS6detail15normal_iteratorINS9_10device_ptrIiEEEESE_iNS9_4plusIiEEiEEDaPvRmT3_T4_T5_mT6_P12ihipStream_tbENKUlT_T0_E_clISt17integral_constantIbLb0EESU_EEDaSP_SQ_EUlSP_E_NS1_11comp_targetILNS1_3genE8ELNS1_11target_archE1030ELNS1_3gpuE2ELNS1_3repE0EEENS1_30default_config_static_selectorELNS0_4arch9wavefront6targetE1EEEvT1_
		.amdhsa_group_segment_fixed_size 0
		.amdhsa_private_segment_fixed_size 0
		.amdhsa_kernarg_size 96
		.amdhsa_user_sgpr_count 6
		.amdhsa_user_sgpr_private_segment_buffer 1
		.amdhsa_user_sgpr_dispatch_ptr 0
		.amdhsa_user_sgpr_queue_ptr 0
		.amdhsa_user_sgpr_kernarg_segment_ptr 1
		.amdhsa_user_sgpr_dispatch_id 0
		.amdhsa_user_sgpr_flat_scratch_init 0
		.amdhsa_user_sgpr_kernarg_preload_length 0
		.amdhsa_user_sgpr_kernarg_preload_offset 0
		.amdhsa_user_sgpr_private_segment_size 0
		.amdhsa_uses_dynamic_stack 0
		.amdhsa_system_sgpr_private_segment_wavefront_offset 0
		.amdhsa_system_sgpr_workgroup_id_x 1
		.amdhsa_system_sgpr_workgroup_id_y 0
		.amdhsa_system_sgpr_workgroup_id_z 0
		.amdhsa_system_sgpr_workgroup_info 0
		.amdhsa_system_vgpr_workitem_id 0
		.amdhsa_next_free_vgpr 1
		.amdhsa_next_free_sgpr 0
		.amdhsa_accum_offset 4
		.amdhsa_reserve_vcc 0
		.amdhsa_reserve_flat_scratch 0
		.amdhsa_float_round_mode_32 0
		.amdhsa_float_round_mode_16_64 0
		.amdhsa_float_denorm_mode_32 3
		.amdhsa_float_denorm_mode_16_64 3
		.amdhsa_dx10_clamp 1
		.amdhsa_ieee_mode 1
		.amdhsa_fp16_overflow 0
		.amdhsa_tg_split 0
		.amdhsa_exception_fp_ieee_invalid_op 0
		.amdhsa_exception_fp_denorm_src 0
		.amdhsa_exception_fp_ieee_div_zero 0
		.amdhsa_exception_fp_ieee_overflow 0
		.amdhsa_exception_fp_ieee_underflow 0
		.amdhsa_exception_fp_ieee_inexact 0
		.amdhsa_exception_int_div_zero 0
	.end_amdhsa_kernel
	.section	.text._ZN7rocprim17ROCPRIM_400000_NS6detail17trampoline_kernelINS0_14default_configENS1_20scan_config_selectorIiEEZZNS1_9scan_implILNS1_25lookback_scan_determinismE0ELb0ELb0ES3_N6thrust23THRUST_200600_302600_NS6detail15normal_iteratorINS9_10device_ptrIiEEEESE_iNS9_4plusIiEEiEEDaPvRmT3_T4_T5_mT6_P12ihipStream_tbENKUlT_T0_E_clISt17integral_constantIbLb0EESU_EEDaSP_SQ_EUlSP_E_NS1_11comp_targetILNS1_3genE8ELNS1_11target_archE1030ELNS1_3gpuE2ELNS1_3repE0EEENS1_30default_config_static_selectorELNS0_4arch9wavefront6targetE1EEEvT1_,"axG",@progbits,_ZN7rocprim17ROCPRIM_400000_NS6detail17trampoline_kernelINS0_14default_configENS1_20scan_config_selectorIiEEZZNS1_9scan_implILNS1_25lookback_scan_determinismE0ELb0ELb0ES3_N6thrust23THRUST_200600_302600_NS6detail15normal_iteratorINS9_10device_ptrIiEEEESE_iNS9_4plusIiEEiEEDaPvRmT3_T4_T5_mT6_P12ihipStream_tbENKUlT_T0_E_clISt17integral_constantIbLb0EESU_EEDaSP_SQ_EUlSP_E_NS1_11comp_targetILNS1_3genE8ELNS1_11target_archE1030ELNS1_3gpuE2ELNS1_3repE0EEENS1_30default_config_static_selectorELNS0_4arch9wavefront6targetE1EEEvT1_,comdat
.Lfunc_end513:
	.size	_ZN7rocprim17ROCPRIM_400000_NS6detail17trampoline_kernelINS0_14default_configENS1_20scan_config_selectorIiEEZZNS1_9scan_implILNS1_25lookback_scan_determinismE0ELb0ELb0ES3_N6thrust23THRUST_200600_302600_NS6detail15normal_iteratorINS9_10device_ptrIiEEEESE_iNS9_4plusIiEEiEEDaPvRmT3_T4_T5_mT6_P12ihipStream_tbENKUlT_T0_E_clISt17integral_constantIbLb0EESU_EEDaSP_SQ_EUlSP_E_NS1_11comp_targetILNS1_3genE8ELNS1_11target_archE1030ELNS1_3gpuE2ELNS1_3repE0EEENS1_30default_config_static_selectorELNS0_4arch9wavefront6targetE1EEEvT1_, .Lfunc_end513-_ZN7rocprim17ROCPRIM_400000_NS6detail17trampoline_kernelINS0_14default_configENS1_20scan_config_selectorIiEEZZNS1_9scan_implILNS1_25lookback_scan_determinismE0ELb0ELb0ES3_N6thrust23THRUST_200600_302600_NS6detail15normal_iteratorINS9_10device_ptrIiEEEESE_iNS9_4plusIiEEiEEDaPvRmT3_T4_T5_mT6_P12ihipStream_tbENKUlT_T0_E_clISt17integral_constantIbLb0EESU_EEDaSP_SQ_EUlSP_E_NS1_11comp_targetILNS1_3genE8ELNS1_11target_archE1030ELNS1_3gpuE2ELNS1_3repE0EEENS1_30default_config_static_selectorELNS0_4arch9wavefront6targetE1EEEvT1_
                                        ; -- End function
	.section	.AMDGPU.csdata,"",@progbits
; Kernel info:
; codeLenInByte = 0
; NumSgprs: 4
; NumVgprs: 0
; NumAgprs: 0
; TotalNumVgprs: 0
; ScratchSize: 0
; MemoryBound: 0
; FloatMode: 240
; IeeeMode: 1
; LDSByteSize: 0 bytes/workgroup (compile time only)
; SGPRBlocks: 0
; VGPRBlocks: 0
; NumSGPRsForWavesPerEU: 4
; NumVGPRsForWavesPerEU: 1
; AccumOffset: 4
; Occupancy: 8
; WaveLimiterHint : 0
; COMPUTE_PGM_RSRC2:SCRATCH_EN: 0
; COMPUTE_PGM_RSRC2:USER_SGPR: 6
; COMPUTE_PGM_RSRC2:TRAP_HANDLER: 0
; COMPUTE_PGM_RSRC2:TGID_X_EN: 1
; COMPUTE_PGM_RSRC2:TGID_Y_EN: 0
; COMPUTE_PGM_RSRC2:TGID_Z_EN: 0
; COMPUTE_PGM_RSRC2:TIDIG_COMP_CNT: 0
; COMPUTE_PGM_RSRC3_GFX90A:ACCUM_OFFSET: 0
; COMPUTE_PGM_RSRC3_GFX90A:TG_SPLIT: 0
	.section	.text._ZN7rocprim17ROCPRIM_400000_NS6detail17trampoline_kernelINS0_14default_configENS1_25transform_config_selectorIiLb1EEEZNS1_14transform_implILb1ES3_S5_PiS7_NS0_8identityIiEEEE10hipError_tT2_T3_mT4_P12ihipStream_tbEUlT_E_NS1_11comp_targetILNS1_3genE0ELNS1_11target_archE4294967295ELNS1_3gpuE0ELNS1_3repE0EEENS1_30default_config_static_selectorELNS0_4arch9wavefront6targetE1EEEvT1_,"axG",@progbits,_ZN7rocprim17ROCPRIM_400000_NS6detail17trampoline_kernelINS0_14default_configENS1_25transform_config_selectorIiLb1EEEZNS1_14transform_implILb1ES3_S5_PiS7_NS0_8identityIiEEEE10hipError_tT2_T3_mT4_P12ihipStream_tbEUlT_E_NS1_11comp_targetILNS1_3genE0ELNS1_11target_archE4294967295ELNS1_3gpuE0ELNS1_3repE0EEENS1_30default_config_static_selectorELNS0_4arch9wavefront6targetE1EEEvT1_,comdat
	.protected	_ZN7rocprim17ROCPRIM_400000_NS6detail17trampoline_kernelINS0_14default_configENS1_25transform_config_selectorIiLb1EEEZNS1_14transform_implILb1ES3_S5_PiS7_NS0_8identityIiEEEE10hipError_tT2_T3_mT4_P12ihipStream_tbEUlT_E_NS1_11comp_targetILNS1_3genE0ELNS1_11target_archE4294967295ELNS1_3gpuE0ELNS1_3repE0EEENS1_30default_config_static_selectorELNS0_4arch9wavefront6targetE1EEEvT1_ ; -- Begin function _ZN7rocprim17ROCPRIM_400000_NS6detail17trampoline_kernelINS0_14default_configENS1_25transform_config_selectorIiLb1EEEZNS1_14transform_implILb1ES3_S5_PiS7_NS0_8identityIiEEEE10hipError_tT2_T3_mT4_P12ihipStream_tbEUlT_E_NS1_11comp_targetILNS1_3genE0ELNS1_11target_archE4294967295ELNS1_3gpuE0ELNS1_3repE0EEENS1_30default_config_static_selectorELNS0_4arch9wavefront6targetE1EEEvT1_
	.globl	_ZN7rocprim17ROCPRIM_400000_NS6detail17trampoline_kernelINS0_14default_configENS1_25transform_config_selectorIiLb1EEEZNS1_14transform_implILb1ES3_S5_PiS7_NS0_8identityIiEEEE10hipError_tT2_T3_mT4_P12ihipStream_tbEUlT_E_NS1_11comp_targetILNS1_3genE0ELNS1_11target_archE4294967295ELNS1_3gpuE0ELNS1_3repE0EEENS1_30default_config_static_selectorELNS0_4arch9wavefront6targetE1EEEvT1_
	.p2align	8
	.type	_ZN7rocprim17ROCPRIM_400000_NS6detail17trampoline_kernelINS0_14default_configENS1_25transform_config_selectorIiLb1EEEZNS1_14transform_implILb1ES3_S5_PiS7_NS0_8identityIiEEEE10hipError_tT2_T3_mT4_P12ihipStream_tbEUlT_E_NS1_11comp_targetILNS1_3genE0ELNS1_11target_archE4294967295ELNS1_3gpuE0ELNS1_3repE0EEENS1_30default_config_static_selectorELNS0_4arch9wavefront6targetE1EEEvT1_,@function
_ZN7rocprim17ROCPRIM_400000_NS6detail17trampoline_kernelINS0_14default_configENS1_25transform_config_selectorIiLb1EEEZNS1_14transform_implILb1ES3_S5_PiS7_NS0_8identityIiEEEE10hipError_tT2_T3_mT4_P12ihipStream_tbEUlT_E_NS1_11comp_targetILNS1_3genE0ELNS1_11target_archE4294967295ELNS1_3gpuE0ELNS1_3repE0EEENS1_30default_config_static_selectorELNS0_4arch9wavefront6targetE1EEEvT1_: ; @_ZN7rocprim17ROCPRIM_400000_NS6detail17trampoline_kernelINS0_14default_configENS1_25transform_config_selectorIiLb1EEEZNS1_14transform_implILb1ES3_S5_PiS7_NS0_8identityIiEEEE10hipError_tT2_T3_mT4_P12ihipStream_tbEUlT_E_NS1_11comp_targetILNS1_3genE0ELNS1_11target_archE4294967295ELNS1_3gpuE0ELNS1_3repE0EEENS1_30default_config_static_selectorELNS0_4arch9wavefront6targetE1EEEvT1_
; %bb.0:
	.section	.rodata,"a",@progbits
	.p2align	6, 0x0
	.amdhsa_kernel _ZN7rocprim17ROCPRIM_400000_NS6detail17trampoline_kernelINS0_14default_configENS1_25transform_config_selectorIiLb1EEEZNS1_14transform_implILb1ES3_S5_PiS7_NS0_8identityIiEEEE10hipError_tT2_T3_mT4_P12ihipStream_tbEUlT_E_NS1_11comp_targetILNS1_3genE0ELNS1_11target_archE4294967295ELNS1_3gpuE0ELNS1_3repE0EEENS1_30default_config_static_selectorELNS0_4arch9wavefront6targetE1EEEvT1_
		.amdhsa_group_segment_fixed_size 0
		.amdhsa_private_segment_fixed_size 0
		.amdhsa_kernarg_size 40
		.amdhsa_user_sgpr_count 6
		.amdhsa_user_sgpr_private_segment_buffer 1
		.amdhsa_user_sgpr_dispatch_ptr 0
		.amdhsa_user_sgpr_queue_ptr 0
		.amdhsa_user_sgpr_kernarg_segment_ptr 1
		.amdhsa_user_sgpr_dispatch_id 0
		.amdhsa_user_sgpr_flat_scratch_init 0
		.amdhsa_user_sgpr_kernarg_preload_length 0
		.amdhsa_user_sgpr_kernarg_preload_offset 0
		.amdhsa_user_sgpr_private_segment_size 0
		.amdhsa_uses_dynamic_stack 0
		.amdhsa_system_sgpr_private_segment_wavefront_offset 0
		.amdhsa_system_sgpr_workgroup_id_x 1
		.amdhsa_system_sgpr_workgroup_id_y 0
		.amdhsa_system_sgpr_workgroup_id_z 0
		.amdhsa_system_sgpr_workgroup_info 0
		.amdhsa_system_vgpr_workitem_id 0
		.amdhsa_next_free_vgpr 1
		.amdhsa_next_free_sgpr 0
		.amdhsa_accum_offset 4
		.amdhsa_reserve_vcc 0
		.amdhsa_reserve_flat_scratch 0
		.amdhsa_float_round_mode_32 0
		.amdhsa_float_round_mode_16_64 0
		.amdhsa_float_denorm_mode_32 3
		.amdhsa_float_denorm_mode_16_64 3
		.amdhsa_dx10_clamp 1
		.amdhsa_ieee_mode 1
		.amdhsa_fp16_overflow 0
		.amdhsa_tg_split 0
		.amdhsa_exception_fp_ieee_invalid_op 0
		.amdhsa_exception_fp_denorm_src 0
		.amdhsa_exception_fp_ieee_div_zero 0
		.amdhsa_exception_fp_ieee_overflow 0
		.amdhsa_exception_fp_ieee_underflow 0
		.amdhsa_exception_fp_ieee_inexact 0
		.amdhsa_exception_int_div_zero 0
	.end_amdhsa_kernel
	.section	.text._ZN7rocprim17ROCPRIM_400000_NS6detail17trampoline_kernelINS0_14default_configENS1_25transform_config_selectorIiLb1EEEZNS1_14transform_implILb1ES3_S5_PiS7_NS0_8identityIiEEEE10hipError_tT2_T3_mT4_P12ihipStream_tbEUlT_E_NS1_11comp_targetILNS1_3genE0ELNS1_11target_archE4294967295ELNS1_3gpuE0ELNS1_3repE0EEENS1_30default_config_static_selectorELNS0_4arch9wavefront6targetE1EEEvT1_,"axG",@progbits,_ZN7rocprim17ROCPRIM_400000_NS6detail17trampoline_kernelINS0_14default_configENS1_25transform_config_selectorIiLb1EEEZNS1_14transform_implILb1ES3_S5_PiS7_NS0_8identityIiEEEE10hipError_tT2_T3_mT4_P12ihipStream_tbEUlT_E_NS1_11comp_targetILNS1_3genE0ELNS1_11target_archE4294967295ELNS1_3gpuE0ELNS1_3repE0EEENS1_30default_config_static_selectorELNS0_4arch9wavefront6targetE1EEEvT1_,comdat
.Lfunc_end514:
	.size	_ZN7rocprim17ROCPRIM_400000_NS6detail17trampoline_kernelINS0_14default_configENS1_25transform_config_selectorIiLb1EEEZNS1_14transform_implILb1ES3_S5_PiS7_NS0_8identityIiEEEE10hipError_tT2_T3_mT4_P12ihipStream_tbEUlT_E_NS1_11comp_targetILNS1_3genE0ELNS1_11target_archE4294967295ELNS1_3gpuE0ELNS1_3repE0EEENS1_30default_config_static_selectorELNS0_4arch9wavefront6targetE1EEEvT1_, .Lfunc_end514-_ZN7rocprim17ROCPRIM_400000_NS6detail17trampoline_kernelINS0_14default_configENS1_25transform_config_selectorIiLb1EEEZNS1_14transform_implILb1ES3_S5_PiS7_NS0_8identityIiEEEE10hipError_tT2_T3_mT4_P12ihipStream_tbEUlT_E_NS1_11comp_targetILNS1_3genE0ELNS1_11target_archE4294967295ELNS1_3gpuE0ELNS1_3repE0EEENS1_30default_config_static_selectorELNS0_4arch9wavefront6targetE1EEEvT1_
                                        ; -- End function
	.section	.AMDGPU.csdata,"",@progbits
; Kernel info:
; codeLenInByte = 0
; NumSgprs: 4
; NumVgprs: 0
; NumAgprs: 0
; TotalNumVgprs: 0
; ScratchSize: 0
; MemoryBound: 0
; FloatMode: 240
; IeeeMode: 1
; LDSByteSize: 0 bytes/workgroup (compile time only)
; SGPRBlocks: 0
; VGPRBlocks: 0
; NumSGPRsForWavesPerEU: 4
; NumVGPRsForWavesPerEU: 1
; AccumOffset: 4
; Occupancy: 8
; WaveLimiterHint : 0
; COMPUTE_PGM_RSRC2:SCRATCH_EN: 0
; COMPUTE_PGM_RSRC2:USER_SGPR: 6
; COMPUTE_PGM_RSRC2:TRAP_HANDLER: 0
; COMPUTE_PGM_RSRC2:TGID_X_EN: 1
; COMPUTE_PGM_RSRC2:TGID_Y_EN: 0
; COMPUTE_PGM_RSRC2:TGID_Z_EN: 0
; COMPUTE_PGM_RSRC2:TIDIG_COMP_CNT: 0
; COMPUTE_PGM_RSRC3_GFX90A:ACCUM_OFFSET: 0
; COMPUTE_PGM_RSRC3_GFX90A:TG_SPLIT: 0
	.section	.text._ZN7rocprim17ROCPRIM_400000_NS6detail17trampoline_kernelINS0_14default_configENS1_25transform_config_selectorIiLb1EEEZNS1_14transform_implILb1ES3_S5_PiS7_NS0_8identityIiEEEE10hipError_tT2_T3_mT4_P12ihipStream_tbEUlT_E_NS1_11comp_targetILNS1_3genE10ELNS1_11target_archE1201ELNS1_3gpuE5ELNS1_3repE0EEENS1_30default_config_static_selectorELNS0_4arch9wavefront6targetE1EEEvT1_,"axG",@progbits,_ZN7rocprim17ROCPRIM_400000_NS6detail17trampoline_kernelINS0_14default_configENS1_25transform_config_selectorIiLb1EEEZNS1_14transform_implILb1ES3_S5_PiS7_NS0_8identityIiEEEE10hipError_tT2_T3_mT4_P12ihipStream_tbEUlT_E_NS1_11comp_targetILNS1_3genE10ELNS1_11target_archE1201ELNS1_3gpuE5ELNS1_3repE0EEENS1_30default_config_static_selectorELNS0_4arch9wavefront6targetE1EEEvT1_,comdat
	.protected	_ZN7rocprim17ROCPRIM_400000_NS6detail17trampoline_kernelINS0_14default_configENS1_25transform_config_selectorIiLb1EEEZNS1_14transform_implILb1ES3_S5_PiS7_NS0_8identityIiEEEE10hipError_tT2_T3_mT4_P12ihipStream_tbEUlT_E_NS1_11comp_targetILNS1_3genE10ELNS1_11target_archE1201ELNS1_3gpuE5ELNS1_3repE0EEENS1_30default_config_static_selectorELNS0_4arch9wavefront6targetE1EEEvT1_ ; -- Begin function _ZN7rocprim17ROCPRIM_400000_NS6detail17trampoline_kernelINS0_14default_configENS1_25transform_config_selectorIiLb1EEEZNS1_14transform_implILb1ES3_S5_PiS7_NS0_8identityIiEEEE10hipError_tT2_T3_mT4_P12ihipStream_tbEUlT_E_NS1_11comp_targetILNS1_3genE10ELNS1_11target_archE1201ELNS1_3gpuE5ELNS1_3repE0EEENS1_30default_config_static_selectorELNS0_4arch9wavefront6targetE1EEEvT1_
	.globl	_ZN7rocprim17ROCPRIM_400000_NS6detail17trampoline_kernelINS0_14default_configENS1_25transform_config_selectorIiLb1EEEZNS1_14transform_implILb1ES3_S5_PiS7_NS0_8identityIiEEEE10hipError_tT2_T3_mT4_P12ihipStream_tbEUlT_E_NS1_11comp_targetILNS1_3genE10ELNS1_11target_archE1201ELNS1_3gpuE5ELNS1_3repE0EEENS1_30default_config_static_selectorELNS0_4arch9wavefront6targetE1EEEvT1_
	.p2align	8
	.type	_ZN7rocprim17ROCPRIM_400000_NS6detail17trampoline_kernelINS0_14default_configENS1_25transform_config_selectorIiLb1EEEZNS1_14transform_implILb1ES3_S5_PiS7_NS0_8identityIiEEEE10hipError_tT2_T3_mT4_P12ihipStream_tbEUlT_E_NS1_11comp_targetILNS1_3genE10ELNS1_11target_archE1201ELNS1_3gpuE5ELNS1_3repE0EEENS1_30default_config_static_selectorELNS0_4arch9wavefront6targetE1EEEvT1_,@function
_ZN7rocprim17ROCPRIM_400000_NS6detail17trampoline_kernelINS0_14default_configENS1_25transform_config_selectorIiLb1EEEZNS1_14transform_implILb1ES3_S5_PiS7_NS0_8identityIiEEEE10hipError_tT2_T3_mT4_P12ihipStream_tbEUlT_E_NS1_11comp_targetILNS1_3genE10ELNS1_11target_archE1201ELNS1_3gpuE5ELNS1_3repE0EEENS1_30default_config_static_selectorELNS0_4arch9wavefront6targetE1EEEvT1_: ; @_ZN7rocprim17ROCPRIM_400000_NS6detail17trampoline_kernelINS0_14default_configENS1_25transform_config_selectorIiLb1EEEZNS1_14transform_implILb1ES3_S5_PiS7_NS0_8identityIiEEEE10hipError_tT2_T3_mT4_P12ihipStream_tbEUlT_E_NS1_11comp_targetILNS1_3genE10ELNS1_11target_archE1201ELNS1_3gpuE5ELNS1_3repE0EEENS1_30default_config_static_selectorELNS0_4arch9wavefront6targetE1EEEvT1_
; %bb.0:
	.section	.rodata,"a",@progbits
	.p2align	6, 0x0
	.amdhsa_kernel _ZN7rocprim17ROCPRIM_400000_NS6detail17trampoline_kernelINS0_14default_configENS1_25transform_config_selectorIiLb1EEEZNS1_14transform_implILb1ES3_S5_PiS7_NS0_8identityIiEEEE10hipError_tT2_T3_mT4_P12ihipStream_tbEUlT_E_NS1_11comp_targetILNS1_3genE10ELNS1_11target_archE1201ELNS1_3gpuE5ELNS1_3repE0EEENS1_30default_config_static_selectorELNS0_4arch9wavefront6targetE1EEEvT1_
		.amdhsa_group_segment_fixed_size 0
		.amdhsa_private_segment_fixed_size 0
		.amdhsa_kernarg_size 40
		.amdhsa_user_sgpr_count 6
		.amdhsa_user_sgpr_private_segment_buffer 1
		.amdhsa_user_sgpr_dispatch_ptr 0
		.amdhsa_user_sgpr_queue_ptr 0
		.amdhsa_user_sgpr_kernarg_segment_ptr 1
		.amdhsa_user_sgpr_dispatch_id 0
		.amdhsa_user_sgpr_flat_scratch_init 0
		.amdhsa_user_sgpr_kernarg_preload_length 0
		.amdhsa_user_sgpr_kernarg_preload_offset 0
		.amdhsa_user_sgpr_private_segment_size 0
		.amdhsa_uses_dynamic_stack 0
		.amdhsa_system_sgpr_private_segment_wavefront_offset 0
		.amdhsa_system_sgpr_workgroup_id_x 1
		.amdhsa_system_sgpr_workgroup_id_y 0
		.amdhsa_system_sgpr_workgroup_id_z 0
		.amdhsa_system_sgpr_workgroup_info 0
		.amdhsa_system_vgpr_workitem_id 0
		.amdhsa_next_free_vgpr 1
		.amdhsa_next_free_sgpr 0
		.amdhsa_accum_offset 4
		.amdhsa_reserve_vcc 0
		.amdhsa_reserve_flat_scratch 0
		.amdhsa_float_round_mode_32 0
		.amdhsa_float_round_mode_16_64 0
		.amdhsa_float_denorm_mode_32 3
		.amdhsa_float_denorm_mode_16_64 3
		.amdhsa_dx10_clamp 1
		.amdhsa_ieee_mode 1
		.amdhsa_fp16_overflow 0
		.amdhsa_tg_split 0
		.amdhsa_exception_fp_ieee_invalid_op 0
		.amdhsa_exception_fp_denorm_src 0
		.amdhsa_exception_fp_ieee_div_zero 0
		.amdhsa_exception_fp_ieee_overflow 0
		.amdhsa_exception_fp_ieee_underflow 0
		.amdhsa_exception_fp_ieee_inexact 0
		.amdhsa_exception_int_div_zero 0
	.end_amdhsa_kernel
	.section	.text._ZN7rocprim17ROCPRIM_400000_NS6detail17trampoline_kernelINS0_14default_configENS1_25transform_config_selectorIiLb1EEEZNS1_14transform_implILb1ES3_S5_PiS7_NS0_8identityIiEEEE10hipError_tT2_T3_mT4_P12ihipStream_tbEUlT_E_NS1_11comp_targetILNS1_3genE10ELNS1_11target_archE1201ELNS1_3gpuE5ELNS1_3repE0EEENS1_30default_config_static_selectorELNS0_4arch9wavefront6targetE1EEEvT1_,"axG",@progbits,_ZN7rocprim17ROCPRIM_400000_NS6detail17trampoline_kernelINS0_14default_configENS1_25transform_config_selectorIiLb1EEEZNS1_14transform_implILb1ES3_S5_PiS7_NS0_8identityIiEEEE10hipError_tT2_T3_mT4_P12ihipStream_tbEUlT_E_NS1_11comp_targetILNS1_3genE10ELNS1_11target_archE1201ELNS1_3gpuE5ELNS1_3repE0EEENS1_30default_config_static_selectorELNS0_4arch9wavefront6targetE1EEEvT1_,comdat
.Lfunc_end515:
	.size	_ZN7rocprim17ROCPRIM_400000_NS6detail17trampoline_kernelINS0_14default_configENS1_25transform_config_selectorIiLb1EEEZNS1_14transform_implILb1ES3_S5_PiS7_NS0_8identityIiEEEE10hipError_tT2_T3_mT4_P12ihipStream_tbEUlT_E_NS1_11comp_targetILNS1_3genE10ELNS1_11target_archE1201ELNS1_3gpuE5ELNS1_3repE0EEENS1_30default_config_static_selectorELNS0_4arch9wavefront6targetE1EEEvT1_, .Lfunc_end515-_ZN7rocprim17ROCPRIM_400000_NS6detail17trampoline_kernelINS0_14default_configENS1_25transform_config_selectorIiLb1EEEZNS1_14transform_implILb1ES3_S5_PiS7_NS0_8identityIiEEEE10hipError_tT2_T3_mT4_P12ihipStream_tbEUlT_E_NS1_11comp_targetILNS1_3genE10ELNS1_11target_archE1201ELNS1_3gpuE5ELNS1_3repE0EEENS1_30default_config_static_selectorELNS0_4arch9wavefront6targetE1EEEvT1_
                                        ; -- End function
	.section	.AMDGPU.csdata,"",@progbits
; Kernel info:
; codeLenInByte = 0
; NumSgprs: 4
; NumVgprs: 0
; NumAgprs: 0
; TotalNumVgprs: 0
; ScratchSize: 0
; MemoryBound: 0
; FloatMode: 240
; IeeeMode: 1
; LDSByteSize: 0 bytes/workgroup (compile time only)
; SGPRBlocks: 0
; VGPRBlocks: 0
; NumSGPRsForWavesPerEU: 4
; NumVGPRsForWavesPerEU: 1
; AccumOffset: 4
; Occupancy: 8
; WaveLimiterHint : 0
; COMPUTE_PGM_RSRC2:SCRATCH_EN: 0
; COMPUTE_PGM_RSRC2:USER_SGPR: 6
; COMPUTE_PGM_RSRC2:TRAP_HANDLER: 0
; COMPUTE_PGM_RSRC2:TGID_X_EN: 1
; COMPUTE_PGM_RSRC2:TGID_Y_EN: 0
; COMPUTE_PGM_RSRC2:TGID_Z_EN: 0
; COMPUTE_PGM_RSRC2:TIDIG_COMP_CNT: 0
; COMPUTE_PGM_RSRC3_GFX90A:ACCUM_OFFSET: 0
; COMPUTE_PGM_RSRC3_GFX90A:TG_SPLIT: 0
	.section	.text._ZN7rocprim17ROCPRIM_400000_NS6detail17trampoline_kernelINS0_14default_configENS1_25transform_config_selectorIiLb1EEEZNS1_14transform_implILb1ES3_S5_PiS7_NS0_8identityIiEEEE10hipError_tT2_T3_mT4_P12ihipStream_tbEUlT_E_NS1_11comp_targetILNS1_3genE5ELNS1_11target_archE942ELNS1_3gpuE9ELNS1_3repE0EEENS1_30default_config_static_selectorELNS0_4arch9wavefront6targetE1EEEvT1_,"axG",@progbits,_ZN7rocprim17ROCPRIM_400000_NS6detail17trampoline_kernelINS0_14default_configENS1_25transform_config_selectorIiLb1EEEZNS1_14transform_implILb1ES3_S5_PiS7_NS0_8identityIiEEEE10hipError_tT2_T3_mT4_P12ihipStream_tbEUlT_E_NS1_11comp_targetILNS1_3genE5ELNS1_11target_archE942ELNS1_3gpuE9ELNS1_3repE0EEENS1_30default_config_static_selectorELNS0_4arch9wavefront6targetE1EEEvT1_,comdat
	.protected	_ZN7rocprim17ROCPRIM_400000_NS6detail17trampoline_kernelINS0_14default_configENS1_25transform_config_selectorIiLb1EEEZNS1_14transform_implILb1ES3_S5_PiS7_NS0_8identityIiEEEE10hipError_tT2_T3_mT4_P12ihipStream_tbEUlT_E_NS1_11comp_targetILNS1_3genE5ELNS1_11target_archE942ELNS1_3gpuE9ELNS1_3repE0EEENS1_30default_config_static_selectorELNS0_4arch9wavefront6targetE1EEEvT1_ ; -- Begin function _ZN7rocprim17ROCPRIM_400000_NS6detail17trampoline_kernelINS0_14default_configENS1_25transform_config_selectorIiLb1EEEZNS1_14transform_implILb1ES3_S5_PiS7_NS0_8identityIiEEEE10hipError_tT2_T3_mT4_P12ihipStream_tbEUlT_E_NS1_11comp_targetILNS1_3genE5ELNS1_11target_archE942ELNS1_3gpuE9ELNS1_3repE0EEENS1_30default_config_static_selectorELNS0_4arch9wavefront6targetE1EEEvT1_
	.globl	_ZN7rocprim17ROCPRIM_400000_NS6detail17trampoline_kernelINS0_14default_configENS1_25transform_config_selectorIiLb1EEEZNS1_14transform_implILb1ES3_S5_PiS7_NS0_8identityIiEEEE10hipError_tT2_T3_mT4_P12ihipStream_tbEUlT_E_NS1_11comp_targetILNS1_3genE5ELNS1_11target_archE942ELNS1_3gpuE9ELNS1_3repE0EEENS1_30default_config_static_selectorELNS0_4arch9wavefront6targetE1EEEvT1_
	.p2align	8
	.type	_ZN7rocprim17ROCPRIM_400000_NS6detail17trampoline_kernelINS0_14default_configENS1_25transform_config_selectorIiLb1EEEZNS1_14transform_implILb1ES3_S5_PiS7_NS0_8identityIiEEEE10hipError_tT2_T3_mT4_P12ihipStream_tbEUlT_E_NS1_11comp_targetILNS1_3genE5ELNS1_11target_archE942ELNS1_3gpuE9ELNS1_3repE0EEENS1_30default_config_static_selectorELNS0_4arch9wavefront6targetE1EEEvT1_,@function
_ZN7rocprim17ROCPRIM_400000_NS6detail17trampoline_kernelINS0_14default_configENS1_25transform_config_selectorIiLb1EEEZNS1_14transform_implILb1ES3_S5_PiS7_NS0_8identityIiEEEE10hipError_tT2_T3_mT4_P12ihipStream_tbEUlT_E_NS1_11comp_targetILNS1_3genE5ELNS1_11target_archE942ELNS1_3gpuE9ELNS1_3repE0EEENS1_30default_config_static_selectorELNS0_4arch9wavefront6targetE1EEEvT1_: ; @_ZN7rocprim17ROCPRIM_400000_NS6detail17trampoline_kernelINS0_14default_configENS1_25transform_config_selectorIiLb1EEEZNS1_14transform_implILb1ES3_S5_PiS7_NS0_8identityIiEEEE10hipError_tT2_T3_mT4_P12ihipStream_tbEUlT_E_NS1_11comp_targetILNS1_3genE5ELNS1_11target_archE942ELNS1_3gpuE9ELNS1_3repE0EEENS1_30default_config_static_selectorELNS0_4arch9wavefront6targetE1EEEvT1_
; %bb.0:
	.section	.rodata,"a",@progbits
	.p2align	6, 0x0
	.amdhsa_kernel _ZN7rocprim17ROCPRIM_400000_NS6detail17trampoline_kernelINS0_14default_configENS1_25transform_config_selectorIiLb1EEEZNS1_14transform_implILb1ES3_S5_PiS7_NS0_8identityIiEEEE10hipError_tT2_T3_mT4_P12ihipStream_tbEUlT_E_NS1_11comp_targetILNS1_3genE5ELNS1_11target_archE942ELNS1_3gpuE9ELNS1_3repE0EEENS1_30default_config_static_selectorELNS0_4arch9wavefront6targetE1EEEvT1_
		.amdhsa_group_segment_fixed_size 0
		.amdhsa_private_segment_fixed_size 0
		.amdhsa_kernarg_size 40
		.amdhsa_user_sgpr_count 6
		.amdhsa_user_sgpr_private_segment_buffer 1
		.amdhsa_user_sgpr_dispatch_ptr 0
		.amdhsa_user_sgpr_queue_ptr 0
		.amdhsa_user_sgpr_kernarg_segment_ptr 1
		.amdhsa_user_sgpr_dispatch_id 0
		.amdhsa_user_sgpr_flat_scratch_init 0
		.amdhsa_user_sgpr_kernarg_preload_length 0
		.amdhsa_user_sgpr_kernarg_preload_offset 0
		.amdhsa_user_sgpr_private_segment_size 0
		.amdhsa_uses_dynamic_stack 0
		.amdhsa_system_sgpr_private_segment_wavefront_offset 0
		.amdhsa_system_sgpr_workgroup_id_x 1
		.amdhsa_system_sgpr_workgroup_id_y 0
		.amdhsa_system_sgpr_workgroup_id_z 0
		.amdhsa_system_sgpr_workgroup_info 0
		.amdhsa_system_vgpr_workitem_id 0
		.amdhsa_next_free_vgpr 1
		.amdhsa_next_free_sgpr 0
		.amdhsa_accum_offset 4
		.amdhsa_reserve_vcc 0
		.amdhsa_reserve_flat_scratch 0
		.amdhsa_float_round_mode_32 0
		.amdhsa_float_round_mode_16_64 0
		.amdhsa_float_denorm_mode_32 3
		.amdhsa_float_denorm_mode_16_64 3
		.amdhsa_dx10_clamp 1
		.amdhsa_ieee_mode 1
		.amdhsa_fp16_overflow 0
		.amdhsa_tg_split 0
		.amdhsa_exception_fp_ieee_invalid_op 0
		.amdhsa_exception_fp_denorm_src 0
		.amdhsa_exception_fp_ieee_div_zero 0
		.amdhsa_exception_fp_ieee_overflow 0
		.amdhsa_exception_fp_ieee_underflow 0
		.amdhsa_exception_fp_ieee_inexact 0
		.amdhsa_exception_int_div_zero 0
	.end_amdhsa_kernel
	.section	.text._ZN7rocprim17ROCPRIM_400000_NS6detail17trampoline_kernelINS0_14default_configENS1_25transform_config_selectorIiLb1EEEZNS1_14transform_implILb1ES3_S5_PiS7_NS0_8identityIiEEEE10hipError_tT2_T3_mT4_P12ihipStream_tbEUlT_E_NS1_11comp_targetILNS1_3genE5ELNS1_11target_archE942ELNS1_3gpuE9ELNS1_3repE0EEENS1_30default_config_static_selectorELNS0_4arch9wavefront6targetE1EEEvT1_,"axG",@progbits,_ZN7rocprim17ROCPRIM_400000_NS6detail17trampoline_kernelINS0_14default_configENS1_25transform_config_selectorIiLb1EEEZNS1_14transform_implILb1ES3_S5_PiS7_NS0_8identityIiEEEE10hipError_tT2_T3_mT4_P12ihipStream_tbEUlT_E_NS1_11comp_targetILNS1_3genE5ELNS1_11target_archE942ELNS1_3gpuE9ELNS1_3repE0EEENS1_30default_config_static_selectorELNS0_4arch9wavefront6targetE1EEEvT1_,comdat
.Lfunc_end516:
	.size	_ZN7rocprim17ROCPRIM_400000_NS6detail17trampoline_kernelINS0_14default_configENS1_25transform_config_selectorIiLb1EEEZNS1_14transform_implILb1ES3_S5_PiS7_NS0_8identityIiEEEE10hipError_tT2_T3_mT4_P12ihipStream_tbEUlT_E_NS1_11comp_targetILNS1_3genE5ELNS1_11target_archE942ELNS1_3gpuE9ELNS1_3repE0EEENS1_30default_config_static_selectorELNS0_4arch9wavefront6targetE1EEEvT1_, .Lfunc_end516-_ZN7rocprim17ROCPRIM_400000_NS6detail17trampoline_kernelINS0_14default_configENS1_25transform_config_selectorIiLb1EEEZNS1_14transform_implILb1ES3_S5_PiS7_NS0_8identityIiEEEE10hipError_tT2_T3_mT4_P12ihipStream_tbEUlT_E_NS1_11comp_targetILNS1_3genE5ELNS1_11target_archE942ELNS1_3gpuE9ELNS1_3repE0EEENS1_30default_config_static_selectorELNS0_4arch9wavefront6targetE1EEEvT1_
                                        ; -- End function
	.section	.AMDGPU.csdata,"",@progbits
; Kernel info:
; codeLenInByte = 0
; NumSgprs: 4
; NumVgprs: 0
; NumAgprs: 0
; TotalNumVgprs: 0
; ScratchSize: 0
; MemoryBound: 0
; FloatMode: 240
; IeeeMode: 1
; LDSByteSize: 0 bytes/workgroup (compile time only)
; SGPRBlocks: 0
; VGPRBlocks: 0
; NumSGPRsForWavesPerEU: 4
; NumVGPRsForWavesPerEU: 1
; AccumOffset: 4
; Occupancy: 8
; WaveLimiterHint : 0
; COMPUTE_PGM_RSRC2:SCRATCH_EN: 0
; COMPUTE_PGM_RSRC2:USER_SGPR: 6
; COMPUTE_PGM_RSRC2:TRAP_HANDLER: 0
; COMPUTE_PGM_RSRC2:TGID_X_EN: 1
; COMPUTE_PGM_RSRC2:TGID_Y_EN: 0
; COMPUTE_PGM_RSRC2:TGID_Z_EN: 0
; COMPUTE_PGM_RSRC2:TIDIG_COMP_CNT: 0
; COMPUTE_PGM_RSRC3_GFX90A:ACCUM_OFFSET: 0
; COMPUTE_PGM_RSRC3_GFX90A:TG_SPLIT: 0
	.section	.text._ZN7rocprim17ROCPRIM_400000_NS6detail17trampoline_kernelINS0_14default_configENS1_25transform_config_selectorIiLb1EEEZNS1_14transform_implILb1ES3_S5_PiS7_NS0_8identityIiEEEE10hipError_tT2_T3_mT4_P12ihipStream_tbEUlT_E_NS1_11comp_targetILNS1_3genE4ELNS1_11target_archE910ELNS1_3gpuE8ELNS1_3repE0EEENS1_30default_config_static_selectorELNS0_4arch9wavefront6targetE1EEEvT1_,"axG",@progbits,_ZN7rocprim17ROCPRIM_400000_NS6detail17trampoline_kernelINS0_14default_configENS1_25transform_config_selectorIiLb1EEEZNS1_14transform_implILb1ES3_S5_PiS7_NS0_8identityIiEEEE10hipError_tT2_T3_mT4_P12ihipStream_tbEUlT_E_NS1_11comp_targetILNS1_3genE4ELNS1_11target_archE910ELNS1_3gpuE8ELNS1_3repE0EEENS1_30default_config_static_selectorELNS0_4arch9wavefront6targetE1EEEvT1_,comdat
	.protected	_ZN7rocprim17ROCPRIM_400000_NS6detail17trampoline_kernelINS0_14default_configENS1_25transform_config_selectorIiLb1EEEZNS1_14transform_implILb1ES3_S5_PiS7_NS0_8identityIiEEEE10hipError_tT2_T3_mT4_P12ihipStream_tbEUlT_E_NS1_11comp_targetILNS1_3genE4ELNS1_11target_archE910ELNS1_3gpuE8ELNS1_3repE0EEENS1_30default_config_static_selectorELNS0_4arch9wavefront6targetE1EEEvT1_ ; -- Begin function _ZN7rocprim17ROCPRIM_400000_NS6detail17trampoline_kernelINS0_14default_configENS1_25transform_config_selectorIiLb1EEEZNS1_14transform_implILb1ES3_S5_PiS7_NS0_8identityIiEEEE10hipError_tT2_T3_mT4_P12ihipStream_tbEUlT_E_NS1_11comp_targetILNS1_3genE4ELNS1_11target_archE910ELNS1_3gpuE8ELNS1_3repE0EEENS1_30default_config_static_selectorELNS0_4arch9wavefront6targetE1EEEvT1_
	.globl	_ZN7rocprim17ROCPRIM_400000_NS6detail17trampoline_kernelINS0_14default_configENS1_25transform_config_selectorIiLb1EEEZNS1_14transform_implILb1ES3_S5_PiS7_NS0_8identityIiEEEE10hipError_tT2_T3_mT4_P12ihipStream_tbEUlT_E_NS1_11comp_targetILNS1_3genE4ELNS1_11target_archE910ELNS1_3gpuE8ELNS1_3repE0EEENS1_30default_config_static_selectorELNS0_4arch9wavefront6targetE1EEEvT1_
	.p2align	8
	.type	_ZN7rocprim17ROCPRIM_400000_NS6detail17trampoline_kernelINS0_14default_configENS1_25transform_config_selectorIiLb1EEEZNS1_14transform_implILb1ES3_S5_PiS7_NS0_8identityIiEEEE10hipError_tT2_T3_mT4_P12ihipStream_tbEUlT_E_NS1_11comp_targetILNS1_3genE4ELNS1_11target_archE910ELNS1_3gpuE8ELNS1_3repE0EEENS1_30default_config_static_selectorELNS0_4arch9wavefront6targetE1EEEvT1_,@function
_ZN7rocprim17ROCPRIM_400000_NS6detail17trampoline_kernelINS0_14default_configENS1_25transform_config_selectorIiLb1EEEZNS1_14transform_implILb1ES3_S5_PiS7_NS0_8identityIiEEEE10hipError_tT2_T3_mT4_P12ihipStream_tbEUlT_E_NS1_11comp_targetILNS1_3genE4ELNS1_11target_archE910ELNS1_3gpuE8ELNS1_3repE0EEENS1_30default_config_static_selectorELNS0_4arch9wavefront6targetE1EEEvT1_: ; @_ZN7rocprim17ROCPRIM_400000_NS6detail17trampoline_kernelINS0_14default_configENS1_25transform_config_selectorIiLb1EEEZNS1_14transform_implILb1ES3_S5_PiS7_NS0_8identityIiEEEE10hipError_tT2_T3_mT4_P12ihipStream_tbEUlT_E_NS1_11comp_targetILNS1_3genE4ELNS1_11target_archE910ELNS1_3gpuE8ELNS1_3repE0EEENS1_30default_config_static_selectorELNS0_4arch9wavefront6targetE1EEEvT1_
; %bb.0:
	s_load_dwordx8 s[8:15], s[4:5], 0x0
	s_load_dword s2, s[4:5], 0x28
	s_waitcnt lgkmcnt(0)
	s_lshl_b64 s[0:1], s[10:11], 2
	s_add_u32 s3, s8, s0
	s_addc_u32 s4, s9, s1
	s_add_u32 s13, s14, s0
	s_addc_u32 s14, s15, s1
	s_lshl_b32 s0, s6, 12
	s_mov_b32 s1, 0
	s_add_i32 s2, s2, -1
	s_lshl_b64 s[8:9], s[0:1], 2
	s_add_u32 s10, s3, s8
	s_addc_u32 s11, s4, s9
	s_cmp_lg_u32 s6, s2
	s_mov_b64 s[2:3], -1
	s_cbranch_scc0 .LBB517_2
; %bb.1:
	v_lshlrev_b32_e32 v1, 4, v0
	global_load_dwordx4 v[2:5], v1, s[10:11]
	s_add_u32 s2, s13, s8
	s_addc_u32 s3, s14, s9
	s_waitcnt vmcnt(0)
	global_store_dwordx4 v1, v[2:5], s[2:3]
	s_mov_b64 s[2:3], 0
.LBB517_2:
	s_andn2_b64 vcc, exec, s[2:3]
	s_cbranch_vccnz .LBB517_16
; %bb.3:
	s_sub_i32 s6, s12, s0
	v_cmp_gt_u32_e32 vcc, s6, v0
	v_lshlrev_b32_e32 v1, 2, v0
                                        ; implicit-def: $vgpr2_vgpr3_vgpr4_vgpr5
	s_and_saveexec_b64 s[0:1], vcc
	s_cbranch_execz .LBB517_5
; %bb.4:
	global_load_dword v2, v1, s[10:11]
.LBB517_5:
	s_or_b64 exec, exec, s[0:1]
	v_or_b32_e32 v6, 0x400, v0
	v_cmp_gt_u32_e64 s[4:5], s6, v6
	s_and_saveexec_b64 s[0:1], s[4:5]
	s_cbranch_execz .LBB517_7
; %bb.6:
	v_lshlrev_b32_e32 v3, 2, v6
	global_load_dword v3, v3, s[10:11]
.LBB517_7:
	s_or_b64 exec, exec, s[0:1]
	v_or_b32_e32 v6, 0x800, v0
	v_cmp_gt_u32_e64 s[0:1], s6, v6
	s_and_saveexec_b64 s[2:3], s[0:1]
	s_cbranch_execz .LBB517_9
; %bb.8:
	v_lshlrev_b32_e32 v4, 2, v6
	global_load_dword v4, v4, s[10:11]
.LBB517_9:
	;; [unrolled: 9-line block ×3, first 2 shown]
	s_or_b64 exec, exec, s[6:7]
	s_add_u32 s6, s13, s8
	s_addc_u32 s7, s14, s9
	v_mov_b32_e32 v6, s7
	v_add_co_u32_e64 v0, s[6:7], s6, v1
	v_addc_co_u32_e64 v1, s[6:7], 0, v6, s[6:7]
	s_and_saveexec_b64 s[6:7], vcc
	s_cbranch_execnz .LBB517_17
; %bb.12:
	s_or_b64 exec, exec, s[6:7]
	s_and_saveexec_b64 s[6:7], s[4:5]
	s_cbranch_execnz .LBB517_18
.LBB517_13:
	s_or_b64 exec, exec, s[6:7]
	s_and_saveexec_b64 s[4:5], s[0:1]
	s_cbranch_execnz .LBB517_19
.LBB517_14:
	s_or_b64 exec, exec, s[4:5]
	s_and_saveexec_b64 s[0:1], s[2:3]
	s_cbranch_execz .LBB517_16
.LBB517_15:
	v_add_co_u32_e32 v0, vcc, 0x3000, v0
	s_waitcnt vmcnt(0)
	v_cndmask_b32_e64 v2, v5, v5, s[2:3]
	v_addc_co_u32_e32 v1, vcc, 0, v1, vcc
	global_store_dword v[0:1], v2, off
.LBB517_16:
	s_endpgm
.LBB517_17:
	s_waitcnt vmcnt(0)
	global_store_dword v[0:1], v2, off
	s_or_b64 exec, exec, s[6:7]
	s_and_saveexec_b64 s[6:7], s[4:5]
	s_cbranch_execz .LBB517_13
.LBB517_18:
	v_add_co_u32_e32 v6, vcc, 0x1000, v0
	v_addc_co_u32_e32 v7, vcc, 0, v1, vcc
	s_waitcnt vmcnt(0)
	global_store_dword v[6:7], v3, off
	s_or_b64 exec, exec, s[6:7]
	s_and_saveexec_b64 s[4:5], s[0:1]
	s_cbranch_execz .LBB517_14
.LBB517_19:
	s_waitcnt vmcnt(0)
	v_add_co_u32_e32 v2, vcc, 0x2000, v0
	v_cndmask_b32_e64 v4, v4, v4, s[0:1]
	v_addc_co_u32_e32 v3, vcc, 0, v1, vcc
	global_store_dword v[2:3], v4, off
	s_or_b64 exec, exec, s[4:5]
	s_and_saveexec_b64 s[0:1], s[2:3]
	s_cbranch_execnz .LBB517_15
	s_branch .LBB517_16
	.section	.rodata,"a",@progbits
	.p2align	6, 0x0
	.amdhsa_kernel _ZN7rocprim17ROCPRIM_400000_NS6detail17trampoline_kernelINS0_14default_configENS1_25transform_config_selectorIiLb1EEEZNS1_14transform_implILb1ES3_S5_PiS7_NS0_8identityIiEEEE10hipError_tT2_T3_mT4_P12ihipStream_tbEUlT_E_NS1_11comp_targetILNS1_3genE4ELNS1_11target_archE910ELNS1_3gpuE8ELNS1_3repE0EEENS1_30default_config_static_selectorELNS0_4arch9wavefront6targetE1EEEvT1_
		.amdhsa_group_segment_fixed_size 0
		.amdhsa_private_segment_fixed_size 0
		.amdhsa_kernarg_size 296
		.amdhsa_user_sgpr_count 6
		.amdhsa_user_sgpr_private_segment_buffer 1
		.amdhsa_user_sgpr_dispatch_ptr 0
		.amdhsa_user_sgpr_queue_ptr 0
		.amdhsa_user_sgpr_kernarg_segment_ptr 1
		.amdhsa_user_sgpr_dispatch_id 0
		.amdhsa_user_sgpr_flat_scratch_init 0
		.amdhsa_user_sgpr_kernarg_preload_length 0
		.amdhsa_user_sgpr_kernarg_preload_offset 0
		.amdhsa_user_sgpr_private_segment_size 0
		.amdhsa_uses_dynamic_stack 0
		.amdhsa_system_sgpr_private_segment_wavefront_offset 0
		.amdhsa_system_sgpr_workgroup_id_x 1
		.amdhsa_system_sgpr_workgroup_id_y 0
		.amdhsa_system_sgpr_workgroup_id_z 0
		.amdhsa_system_sgpr_workgroup_info 0
		.amdhsa_system_vgpr_workitem_id 0
		.amdhsa_next_free_vgpr 8
		.amdhsa_next_free_sgpr 16
		.amdhsa_accum_offset 8
		.amdhsa_reserve_vcc 1
		.amdhsa_reserve_flat_scratch 0
		.amdhsa_float_round_mode_32 0
		.amdhsa_float_round_mode_16_64 0
		.amdhsa_float_denorm_mode_32 3
		.amdhsa_float_denorm_mode_16_64 3
		.amdhsa_dx10_clamp 1
		.amdhsa_ieee_mode 1
		.amdhsa_fp16_overflow 0
		.amdhsa_tg_split 0
		.amdhsa_exception_fp_ieee_invalid_op 0
		.amdhsa_exception_fp_denorm_src 0
		.amdhsa_exception_fp_ieee_div_zero 0
		.amdhsa_exception_fp_ieee_overflow 0
		.amdhsa_exception_fp_ieee_underflow 0
		.amdhsa_exception_fp_ieee_inexact 0
		.amdhsa_exception_int_div_zero 0
	.end_amdhsa_kernel
	.section	.text._ZN7rocprim17ROCPRIM_400000_NS6detail17trampoline_kernelINS0_14default_configENS1_25transform_config_selectorIiLb1EEEZNS1_14transform_implILb1ES3_S5_PiS7_NS0_8identityIiEEEE10hipError_tT2_T3_mT4_P12ihipStream_tbEUlT_E_NS1_11comp_targetILNS1_3genE4ELNS1_11target_archE910ELNS1_3gpuE8ELNS1_3repE0EEENS1_30default_config_static_selectorELNS0_4arch9wavefront6targetE1EEEvT1_,"axG",@progbits,_ZN7rocprim17ROCPRIM_400000_NS6detail17trampoline_kernelINS0_14default_configENS1_25transform_config_selectorIiLb1EEEZNS1_14transform_implILb1ES3_S5_PiS7_NS0_8identityIiEEEE10hipError_tT2_T3_mT4_P12ihipStream_tbEUlT_E_NS1_11comp_targetILNS1_3genE4ELNS1_11target_archE910ELNS1_3gpuE8ELNS1_3repE0EEENS1_30default_config_static_selectorELNS0_4arch9wavefront6targetE1EEEvT1_,comdat
.Lfunc_end517:
	.size	_ZN7rocprim17ROCPRIM_400000_NS6detail17trampoline_kernelINS0_14default_configENS1_25transform_config_selectorIiLb1EEEZNS1_14transform_implILb1ES3_S5_PiS7_NS0_8identityIiEEEE10hipError_tT2_T3_mT4_P12ihipStream_tbEUlT_E_NS1_11comp_targetILNS1_3genE4ELNS1_11target_archE910ELNS1_3gpuE8ELNS1_3repE0EEENS1_30default_config_static_selectorELNS0_4arch9wavefront6targetE1EEEvT1_, .Lfunc_end517-_ZN7rocprim17ROCPRIM_400000_NS6detail17trampoline_kernelINS0_14default_configENS1_25transform_config_selectorIiLb1EEEZNS1_14transform_implILb1ES3_S5_PiS7_NS0_8identityIiEEEE10hipError_tT2_T3_mT4_P12ihipStream_tbEUlT_E_NS1_11comp_targetILNS1_3genE4ELNS1_11target_archE910ELNS1_3gpuE8ELNS1_3repE0EEENS1_30default_config_static_selectorELNS0_4arch9wavefront6targetE1EEEvT1_
                                        ; -- End function
	.section	.AMDGPU.csdata,"",@progbits
; Kernel info:
; codeLenInByte = 488
; NumSgprs: 20
; NumVgprs: 8
; NumAgprs: 0
; TotalNumVgprs: 8
; ScratchSize: 0
; MemoryBound: 1
; FloatMode: 240
; IeeeMode: 1
; LDSByteSize: 0 bytes/workgroup (compile time only)
; SGPRBlocks: 2
; VGPRBlocks: 0
; NumSGPRsForWavesPerEU: 20
; NumVGPRsForWavesPerEU: 8
; AccumOffset: 8
; Occupancy: 8
; WaveLimiterHint : 0
; COMPUTE_PGM_RSRC2:SCRATCH_EN: 0
; COMPUTE_PGM_RSRC2:USER_SGPR: 6
; COMPUTE_PGM_RSRC2:TRAP_HANDLER: 0
; COMPUTE_PGM_RSRC2:TGID_X_EN: 1
; COMPUTE_PGM_RSRC2:TGID_Y_EN: 0
; COMPUTE_PGM_RSRC2:TGID_Z_EN: 0
; COMPUTE_PGM_RSRC2:TIDIG_COMP_CNT: 0
; COMPUTE_PGM_RSRC3_GFX90A:ACCUM_OFFSET: 1
; COMPUTE_PGM_RSRC3_GFX90A:TG_SPLIT: 0
	.section	.text._ZN7rocprim17ROCPRIM_400000_NS6detail17trampoline_kernelINS0_14default_configENS1_25transform_config_selectorIiLb1EEEZNS1_14transform_implILb1ES3_S5_PiS7_NS0_8identityIiEEEE10hipError_tT2_T3_mT4_P12ihipStream_tbEUlT_E_NS1_11comp_targetILNS1_3genE3ELNS1_11target_archE908ELNS1_3gpuE7ELNS1_3repE0EEENS1_30default_config_static_selectorELNS0_4arch9wavefront6targetE1EEEvT1_,"axG",@progbits,_ZN7rocprim17ROCPRIM_400000_NS6detail17trampoline_kernelINS0_14default_configENS1_25transform_config_selectorIiLb1EEEZNS1_14transform_implILb1ES3_S5_PiS7_NS0_8identityIiEEEE10hipError_tT2_T3_mT4_P12ihipStream_tbEUlT_E_NS1_11comp_targetILNS1_3genE3ELNS1_11target_archE908ELNS1_3gpuE7ELNS1_3repE0EEENS1_30default_config_static_selectorELNS0_4arch9wavefront6targetE1EEEvT1_,comdat
	.protected	_ZN7rocprim17ROCPRIM_400000_NS6detail17trampoline_kernelINS0_14default_configENS1_25transform_config_selectorIiLb1EEEZNS1_14transform_implILb1ES3_S5_PiS7_NS0_8identityIiEEEE10hipError_tT2_T3_mT4_P12ihipStream_tbEUlT_E_NS1_11comp_targetILNS1_3genE3ELNS1_11target_archE908ELNS1_3gpuE7ELNS1_3repE0EEENS1_30default_config_static_selectorELNS0_4arch9wavefront6targetE1EEEvT1_ ; -- Begin function _ZN7rocprim17ROCPRIM_400000_NS6detail17trampoline_kernelINS0_14default_configENS1_25transform_config_selectorIiLb1EEEZNS1_14transform_implILb1ES3_S5_PiS7_NS0_8identityIiEEEE10hipError_tT2_T3_mT4_P12ihipStream_tbEUlT_E_NS1_11comp_targetILNS1_3genE3ELNS1_11target_archE908ELNS1_3gpuE7ELNS1_3repE0EEENS1_30default_config_static_selectorELNS0_4arch9wavefront6targetE1EEEvT1_
	.globl	_ZN7rocprim17ROCPRIM_400000_NS6detail17trampoline_kernelINS0_14default_configENS1_25transform_config_selectorIiLb1EEEZNS1_14transform_implILb1ES3_S5_PiS7_NS0_8identityIiEEEE10hipError_tT2_T3_mT4_P12ihipStream_tbEUlT_E_NS1_11comp_targetILNS1_3genE3ELNS1_11target_archE908ELNS1_3gpuE7ELNS1_3repE0EEENS1_30default_config_static_selectorELNS0_4arch9wavefront6targetE1EEEvT1_
	.p2align	8
	.type	_ZN7rocprim17ROCPRIM_400000_NS6detail17trampoline_kernelINS0_14default_configENS1_25transform_config_selectorIiLb1EEEZNS1_14transform_implILb1ES3_S5_PiS7_NS0_8identityIiEEEE10hipError_tT2_T3_mT4_P12ihipStream_tbEUlT_E_NS1_11comp_targetILNS1_3genE3ELNS1_11target_archE908ELNS1_3gpuE7ELNS1_3repE0EEENS1_30default_config_static_selectorELNS0_4arch9wavefront6targetE1EEEvT1_,@function
_ZN7rocprim17ROCPRIM_400000_NS6detail17trampoline_kernelINS0_14default_configENS1_25transform_config_selectorIiLb1EEEZNS1_14transform_implILb1ES3_S5_PiS7_NS0_8identityIiEEEE10hipError_tT2_T3_mT4_P12ihipStream_tbEUlT_E_NS1_11comp_targetILNS1_3genE3ELNS1_11target_archE908ELNS1_3gpuE7ELNS1_3repE0EEENS1_30default_config_static_selectorELNS0_4arch9wavefront6targetE1EEEvT1_: ; @_ZN7rocprim17ROCPRIM_400000_NS6detail17trampoline_kernelINS0_14default_configENS1_25transform_config_selectorIiLb1EEEZNS1_14transform_implILb1ES3_S5_PiS7_NS0_8identityIiEEEE10hipError_tT2_T3_mT4_P12ihipStream_tbEUlT_E_NS1_11comp_targetILNS1_3genE3ELNS1_11target_archE908ELNS1_3gpuE7ELNS1_3repE0EEENS1_30default_config_static_selectorELNS0_4arch9wavefront6targetE1EEEvT1_
; %bb.0:
	.section	.rodata,"a",@progbits
	.p2align	6, 0x0
	.amdhsa_kernel _ZN7rocprim17ROCPRIM_400000_NS6detail17trampoline_kernelINS0_14default_configENS1_25transform_config_selectorIiLb1EEEZNS1_14transform_implILb1ES3_S5_PiS7_NS0_8identityIiEEEE10hipError_tT2_T3_mT4_P12ihipStream_tbEUlT_E_NS1_11comp_targetILNS1_3genE3ELNS1_11target_archE908ELNS1_3gpuE7ELNS1_3repE0EEENS1_30default_config_static_selectorELNS0_4arch9wavefront6targetE1EEEvT1_
		.amdhsa_group_segment_fixed_size 0
		.amdhsa_private_segment_fixed_size 0
		.amdhsa_kernarg_size 40
		.amdhsa_user_sgpr_count 6
		.amdhsa_user_sgpr_private_segment_buffer 1
		.amdhsa_user_sgpr_dispatch_ptr 0
		.amdhsa_user_sgpr_queue_ptr 0
		.amdhsa_user_sgpr_kernarg_segment_ptr 1
		.amdhsa_user_sgpr_dispatch_id 0
		.amdhsa_user_sgpr_flat_scratch_init 0
		.amdhsa_user_sgpr_kernarg_preload_length 0
		.amdhsa_user_sgpr_kernarg_preload_offset 0
		.amdhsa_user_sgpr_private_segment_size 0
		.amdhsa_uses_dynamic_stack 0
		.amdhsa_system_sgpr_private_segment_wavefront_offset 0
		.amdhsa_system_sgpr_workgroup_id_x 1
		.amdhsa_system_sgpr_workgroup_id_y 0
		.amdhsa_system_sgpr_workgroup_id_z 0
		.amdhsa_system_sgpr_workgroup_info 0
		.amdhsa_system_vgpr_workitem_id 0
		.amdhsa_next_free_vgpr 1
		.amdhsa_next_free_sgpr 0
		.amdhsa_accum_offset 4
		.amdhsa_reserve_vcc 0
		.amdhsa_reserve_flat_scratch 0
		.amdhsa_float_round_mode_32 0
		.amdhsa_float_round_mode_16_64 0
		.amdhsa_float_denorm_mode_32 3
		.amdhsa_float_denorm_mode_16_64 3
		.amdhsa_dx10_clamp 1
		.amdhsa_ieee_mode 1
		.amdhsa_fp16_overflow 0
		.amdhsa_tg_split 0
		.amdhsa_exception_fp_ieee_invalid_op 0
		.amdhsa_exception_fp_denorm_src 0
		.amdhsa_exception_fp_ieee_div_zero 0
		.amdhsa_exception_fp_ieee_overflow 0
		.amdhsa_exception_fp_ieee_underflow 0
		.amdhsa_exception_fp_ieee_inexact 0
		.amdhsa_exception_int_div_zero 0
	.end_amdhsa_kernel
	.section	.text._ZN7rocprim17ROCPRIM_400000_NS6detail17trampoline_kernelINS0_14default_configENS1_25transform_config_selectorIiLb1EEEZNS1_14transform_implILb1ES3_S5_PiS7_NS0_8identityIiEEEE10hipError_tT2_T3_mT4_P12ihipStream_tbEUlT_E_NS1_11comp_targetILNS1_3genE3ELNS1_11target_archE908ELNS1_3gpuE7ELNS1_3repE0EEENS1_30default_config_static_selectorELNS0_4arch9wavefront6targetE1EEEvT1_,"axG",@progbits,_ZN7rocprim17ROCPRIM_400000_NS6detail17trampoline_kernelINS0_14default_configENS1_25transform_config_selectorIiLb1EEEZNS1_14transform_implILb1ES3_S5_PiS7_NS0_8identityIiEEEE10hipError_tT2_T3_mT4_P12ihipStream_tbEUlT_E_NS1_11comp_targetILNS1_3genE3ELNS1_11target_archE908ELNS1_3gpuE7ELNS1_3repE0EEENS1_30default_config_static_selectorELNS0_4arch9wavefront6targetE1EEEvT1_,comdat
.Lfunc_end518:
	.size	_ZN7rocprim17ROCPRIM_400000_NS6detail17trampoline_kernelINS0_14default_configENS1_25transform_config_selectorIiLb1EEEZNS1_14transform_implILb1ES3_S5_PiS7_NS0_8identityIiEEEE10hipError_tT2_T3_mT4_P12ihipStream_tbEUlT_E_NS1_11comp_targetILNS1_3genE3ELNS1_11target_archE908ELNS1_3gpuE7ELNS1_3repE0EEENS1_30default_config_static_selectorELNS0_4arch9wavefront6targetE1EEEvT1_, .Lfunc_end518-_ZN7rocprim17ROCPRIM_400000_NS6detail17trampoline_kernelINS0_14default_configENS1_25transform_config_selectorIiLb1EEEZNS1_14transform_implILb1ES3_S5_PiS7_NS0_8identityIiEEEE10hipError_tT2_T3_mT4_P12ihipStream_tbEUlT_E_NS1_11comp_targetILNS1_3genE3ELNS1_11target_archE908ELNS1_3gpuE7ELNS1_3repE0EEENS1_30default_config_static_selectorELNS0_4arch9wavefront6targetE1EEEvT1_
                                        ; -- End function
	.section	.AMDGPU.csdata,"",@progbits
; Kernel info:
; codeLenInByte = 0
; NumSgprs: 4
; NumVgprs: 0
; NumAgprs: 0
; TotalNumVgprs: 0
; ScratchSize: 0
; MemoryBound: 0
; FloatMode: 240
; IeeeMode: 1
; LDSByteSize: 0 bytes/workgroup (compile time only)
; SGPRBlocks: 0
; VGPRBlocks: 0
; NumSGPRsForWavesPerEU: 4
; NumVGPRsForWavesPerEU: 1
; AccumOffset: 4
; Occupancy: 8
; WaveLimiterHint : 0
; COMPUTE_PGM_RSRC2:SCRATCH_EN: 0
; COMPUTE_PGM_RSRC2:USER_SGPR: 6
; COMPUTE_PGM_RSRC2:TRAP_HANDLER: 0
; COMPUTE_PGM_RSRC2:TGID_X_EN: 1
; COMPUTE_PGM_RSRC2:TGID_Y_EN: 0
; COMPUTE_PGM_RSRC2:TGID_Z_EN: 0
; COMPUTE_PGM_RSRC2:TIDIG_COMP_CNT: 0
; COMPUTE_PGM_RSRC3_GFX90A:ACCUM_OFFSET: 0
; COMPUTE_PGM_RSRC3_GFX90A:TG_SPLIT: 0
	.section	.text._ZN7rocprim17ROCPRIM_400000_NS6detail17trampoline_kernelINS0_14default_configENS1_25transform_config_selectorIiLb1EEEZNS1_14transform_implILb1ES3_S5_PiS7_NS0_8identityIiEEEE10hipError_tT2_T3_mT4_P12ihipStream_tbEUlT_E_NS1_11comp_targetILNS1_3genE2ELNS1_11target_archE906ELNS1_3gpuE6ELNS1_3repE0EEENS1_30default_config_static_selectorELNS0_4arch9wavefront6targetE1EEEvT1_,"axG",@progbits,_ZN7rocprim17ROCPRIM_400000_NS6detail17trampoline_kernelINS0_14default_configENS1_25transform_config_selectorIiLb1EEEZNS1_14transform_implILb1ES3_S5_PiS7_NS0_8identityIiEEEE10hipError_tT2_T3_mT4_P12ihipStream_tbEUlT_E_NS1_11comp_targetILNS1_3genE2ELNS1_11target_archE906ELNS1_3gpuE6ELNS1_3repE0EEENS1_30default_config_static_selectorELNS0_4arch9wavefront6targetE1EEEvT1_,comdat
	.protected	_ZN7rocprim17ROCPRIM_400000_NS6detail17trampoline_kernelINS0_14default_configENS1_25transform_config_selectorIiLb1EEEZNS1_14transform_implILb1ES3_S5_PiS7_NS0_8identityIiEEEE10hipError_tT2_T3_mT4_P12ihipStream_tbEUlT_E_NS1_11comp_targetILNS1_3genE2ELNS1_11target_archE906ELNS1_3gpuE6ELNS1_3repE0EEENS1_30default_config_static_selectorELNS0_4arch9wavefront6targetE1EEEvT1_ ; -- Begin function _ZN7rocprim17ROCPRIM_400000_NS6detail17trampoline_kernelINS0_14default_configENS1_25transform_config_selectorIiLb1EEEZNS1_14transform_implILb1ES3_S5_PiS7_NS0_8identityIiEEEE10hipError_tT2_T3_mT4_P12ihipStream_tbEUlT_E_NS1_11comp_targetILNS1_3genE2ELNS1_11target_archE906ELNS1_3gpuE6ELNS1_3repE0EEENS1_30default_config_static_selectorELNS0_4arch9wavefront6targetE1EEEvT1_
	.globl	_ZN7rocprim17ROCPRIM_400000_NS6detail17trampoline_kernelINS0_14default_configENS1_25transform_config_selectorIiLb1EEEZNS1_14transform_implILb1ES3_S5_PiS7_NS0_8identityIiEEEE10hipError_tT2_T3_mT4_P12ihipStream_tbEUlT_E_NS1_11comp_targetILNS1_3genE2ELNS1_11target_archE906ELNS1_3gpuE6ELNS1_3repE0EEENS1_30default_config_static_selectorELNS0_4arch9wavefront6targetE1EEEvT1_
	.p2align	8
	.type	_ZN7rocprim17ROCPRIM_400000_NS6detail17trampoline_kernelINS0_14default_configENS1_25transform_config_selectorIiLb1EEEZNS1_14transform_implILb1ES3_S5_PiS7_NS0_8identityIiEEEE10hipError_tT2_T3_mT4_P12ihipStream_tbEUlT_E_NS1_11comp_targetILNS1_3genE2ELNS1_11target_archE906ELNS1_3gpuE6ELNS1_3repE0EEENS1_30default_config_static_selectorELNS0_4arch9wavefront6targetE1EEEvT1_,@function
_ZN7rocprim17ROCPRIM_400000_NS6detail17trampoline_kernelINS0_14default_configENS1_25transform_config_selectorIiLb1EEEZNS1_14transform_implILb1ES3_S5_PiS7_NS0_8identityIiEEEE10hipError_tT2_T3_mT4_P12ihipStream_tbEUlT_E_NS1_11comp_targetILNS1_3genE2ELNS1_11target_archE906ELNS1_3gpuE6ELNS1_3repE0EEENS1_30default_config_static_selectorELNS0_4arch9wavefront6targetE1EEEvT1_: ; @_ZN7rocprim17ROCPRIM_400000_NS6detail17trampoline_kernelINS0_14default_configENS1_25transform_config_selectorIiLb1EEEZNS1_14transform_implILb1ES3_S5_PiS7_NS0_8identityIiEEEE10hipError_tT2_T3_mT4_P12ihipStream_tbEUlT_E_NS1_11comp_targetILNS1_3genE2ELNS1_11target_archE906ELNS1_3gpuE6ELNS1_3repE0EEENS1_30default_config_static_selectorELNS0_4arch9wavefront6targetE1EEEvT1_
; %bb.0:
	.section	.rodata,"a",@progbits
	.p2align	6, 0x0
	.amdhsa_kernel _ZN7rocprim17ROCPRIM_400000_NS6detail17trampoline_kernelINS0_14default_configENS1_25transform_config_selectorIiLb1EEEZNS1_14transform_implILb1ES3_S5_PiS7_NS0_8identityIiEEEE10hipError_tT2_T3_mT4_P12ihipStream_tbEUlT_E_NS1_11comp_targetILNS1_3genE2ELNS1_11target_archE906ELNS1_3gpuE6ELNS1_3repE0EEENS1_30default_config_static_selectorELNS0_4arch9wavefront6targetE1EEEvT1_
		.amdhsa_group_segment_fixed_size 0
		.amdhsa_private_segment_fixed_size 0
		.amdhsa_kernarg_size 40
		.amdhsa_user_sgpr_count 6
		.amdhsa_user_sgpr_private_segment_buffer 1
		.amdhsa_user_sgpr_dispatch_ptr 0
		.amdhsa_user_sgpr_queue_ptr 0
		.amdhsa_user_sgpr_kernarg_segment_ptr 1
		.amdhsa_user_sgpr_dispatch_id 0
		.amdhsa_user_sgpr_flat_scratch_init 0
		.amdhsa_user_sgpr_kernarg_preload_length 0
		.amdhsa_user_sgpr_kernarg_preload_offset 0
		.amdhsa_user_sgpr_private_segment_size 0
		.amdhsa_uses_dynamic_stack 0
		.amdhsa_system_sgpr_private_segment_wavefront_offset 0
		.amdhsa_system_sgpr_workgroup_id_x 1
		.amdhsa_system_sgpr_workgroup_id_y 0
		.amdhsa_system_sgpr_workgroup_id_z 0
		.amdhsa_system_sgpr_workgroup_info 0
		.amdhsa_system_vgpr_workitem_id 0
		.amdhsa_next_free_vgpr 1
		.amdhsa_next_free_sgpr 0
		.amdhsa_accum_offset 4
		.amdhsa_reserve_vcc 0
		.amdhsa_reserve_flat_scratch 0
		.amdhsa_float_round_mode_32 0
		.amdhsa_float_round_mode_16_64 0
		.amdhsa_float_denorm_mode_32 3
		.amdhsa_float_denorm_mode_16_64 3
		.amdhsa_dx10_clamp 1
		.amdhsa_ieee_mode 1
		.amdhsa_fp16_overflow 0
		.amdhsa_tg_split 0
		.amdhsa_exception_fp_ieee_invalid_op 0
		.amdhsa_exception_fp_denorm_src 0
		.amdhsa_exception_fp_ieee_div_zero 0
		.amdhsa_exception_fp_ieee_overflow 0
		.amdhsa_exception_fp_ieee_underflow 0
		.amdhsa_exception_fp_ieee_inexact 0
		.amdhsa_exception_int_div_zero 0
	.end_amdhsa_kernel
	.section	.text._ZN7rocprim17ROCPRIM_400000_NS6detail17trampoline_kernelINS0_14default_configENS1_25transform_config_selectorIiLb1EEEZNS1_14transform_implILb1ES3_S5_PiS7_NS0_8identityIiEEEE10hipError_tT2_T3_mT4_P12ihipStream_tbEUlT_E_NS1_11comp_targetILNS1_3genE2ELNS1_11target_archE906ELNS1_3gpuE6ELNS1_3repE0EEENS1_30default_config_static_selectorELNS0_4arch9wavefront6targetE1EEEvT1_,"axG",@progbits,_ZN7rocprim17ROCPRIM_400000_NS6detail17trampoline_kernelINS0_14default_configENS1_25transform_config_selectorIiLb1EEEZNS1_14transform_implILb1ES3_S5_PiS7_NS0_8identityIiEEEE10hipError_tT2_T3_mT4_P12ihipStream_tbEUlT_E_NS1_11comp_targetILNS1_3genE2ELNS1_11target_archE906ELNS1_3gpuE6ELNS1_3repE0EEENS1_30default_config_static_selectorELNS0_4arch9wavefront6targetE1EEEvT1_,comdat
.Lfunc_end519:
	.size	_ZN7rocprim17ROCPRIM_400000_NS6detail17trampoline_kernelINS0_14default_configENS1_25transform_config_selectorIiLb1EEEZNS1_14transform_implILb1ES3_S5_PiS7_NS0_8identityIiEEEE10hipError_tT2_T3_mT4_P12ihipStream_tbEUlT_E_NS1_11comp_targetILNS1_3genE2ELNS1_11target_archE906ELNS1_3gpuE6ELNS1_3repE0EEENS1_30default_config_static_selectorELNS0_4arch9wavefront6targetE1EEEvT1_, .Lfunc_end519-_ZN7rocprim17ROCPRIM_400000_NS6detail17trampoline_kernelINS0_14default_configENS1_25transform_config_selectorIiLb1EEEZNS1_14transform_implILb1ES3_S5_PiS7_NS0_8identityIiEEEE10hipError_tT2_T3_mT4_P12ihipStream_tbEUlT_E_NS1_11comp_targetILNS1_3genE2ELNS1_11target_archE906ELNS1_3gpuE6ELNS1_3repE0EEENS1_30default_config_static_selectorELNS0_4arch9wavefront6targetE1EEEvT1_
                                        ; -- End function
	.section	.AMDGPU.csdata,"",@progbits
; Kernel info:
; codeLenInByte = 0
; NumSgprs: 4
; NumVgprs: 0
; NumAgprs: 0
; TotalNumVgprs: 0
; ScratchSize: 0
; MemoryBound: 0
; FloatMode: 240
; IeeeMode: 1
; LDSByteSize: 0 bytes/workgroup (compile time only)
; SGPRBlocks: 0
; VGPRBlocks: 0
; NumSGPRsForWavesPerEU: 4
; NumVGPRsForWavesPerEU: 1
; AccumOffset: 4
; Occupancy: 8
; WaveLimiterHint : 0
; COMPUTE_PGM_RSRC2:SCRATCH_EN: 0
; COMPUTE_PGM_RSRC2:USER_SGPR: 6
; COMPUTE_PGM_RSRC2:TRAP_HANDLER: 0
; COMPUTE_PGM_RSRC2:TGID_X_EN: 1
; COMPUTE_PGM_RSRC2:TGID_Y_EN: 0
; COMPUTE_PGM_RSRC2:TGID_Z_EN: 0
; COMPUTE_PGM_RSRC2:TIDIG_COMP_CNT: 0
; COMPUTE_PGM_RSRC3_GFX90A:ACCUM_OFFSET: 0
; COMPUTE_PGM_RSRC3_GFX90A:TG_SPLIT: 0
	.section	.text._ZN7rocprim17ROCPRIM_400000_NS6detail17trampoline_kernelINS0_14default_configENS1_25transform_config_selectorIiLb1EEEZNS1_14transform_implILb1ES3_S5_PiS7_NS0_8identityIiEEEE10hipError_tT2_T3_mT4_P12ihipStream_tbEUlT_E_NS1_11comp_targetILNS1_3genE9ELNS1_11target_archE1100ELNS1_3gpuE3ELNS1_3repE0EEENS1_30default_config_static_selectorELNS0_4arch9wavefront6targetE1EEEvT1_,"axG",@progbits,_ZN7rocprim17ROCPRIM_400000_NS6detail17trampoline_kernelINS0_14default_configENS1_25transform_config_selectorIiLb1EEEZNS1_14transform_implILb1ES3_S5_PiS7_NS0_8identityIiEEEE10hipError_tT2_T3_mT4_P12ihipStream_tbEUlT_E_NS1_11comp_targetILNS1_3genE9ELNS1_11target_archE1100ELNS1_3gpuE3ELNS1_3repE0EEENS1_30default_config_static_selectorELNS0_4arch9wavefront6targetE1EEEvT1_,comdat
	.protected	_ZN7rocprim17ROCPRIM_400000_NS6detail17trampoline_kernelINS0_14default_configENS1_25transform_config_selectorIiLb1EEEZNS1_14transform_implILb1ES3_S5_PiS7_NS0_8identityIiEEEE10hipError_tT2_T3_mT4_P12ihipStream_tbEUlT_E_NS1_11comp_targetILNS1_3genE9ELNS1_11target_archE1100ELNS1_3gpuE3ELNS1_3repE0EEENS1_30default_config_static_selectorELNS0_4arch9wavefront6targetE1EEEvT1_ ; -- Begin function _ZN7rocprim17ROCPRIM_400000_NS6detail17trampoline_kernelINS0_14default_configENS1_25transform_config_selectorIiLb1EEEZNS1_14transform_implILb1ES3_S5_PiS7_NS0_8identityIiEEEE10hipError_tT2_T3_mT4_P12ihipStream_tbEUlT_E_NS1_11comp_targetILNS1_3genE9ELNS1_11target_archE1100ELNS1_3gpuE3ELNS1_3repE0EEENS1_30default_config_static_selectorELNS0_4arch9wavefront6targetE1EEEvT1_
	.globl	_ZN7rocprim17ROCPRIM_400000_NS6detail17trampoline_kernelINS0_14default_configENS1_25transform_config_selectorIiLb1EEEZNS1_14transform_implILb1ES3_S5_PiS7_NS0_8identityIiEEEE10hipError_tT2_T3_mT4_P12ihipStream_tbEUlT_E_NS1_11comp_targetILNS1_3genE9ELNS1_11target_archE1100ELNS1_3gpuE3ELNS1_3repE0EEENS1_30default_config_static_selectorELNS0_4arch9wavefront6targetE1EEEvT1_
	.p2align	8
	.type	_ZN7rocprim17ROCPRIM_400000_NS6detail17trampoline_kernelINS0_14default_configENS1_25transform_config_selectorIiLb1EEEZNS1_14transform_implILb1ES3_S5_PiS7_NS0_8identityIiEEEE10hipError_tT2_T3_mT4_P12ihipStream_tbEUlT_E_NS1_11comp_targetILNS1_3genE9ELNS1_11target_archE1100ELNS1_3gpuE3ELNS1_3repE0EEENS1_30default_config_static_selectorELNS0_4arch9wavefront6targetE1EEEvT1_,@function
_ZN7rocprim17ROCPRIM_400000_NS6detail17trampoline_kernelINS0_14default_configENS1_25transform_config_selectorIiLb1EEEZNS1_14transform_implILb1ES3_S5_PiS7_NS0_8identityIiEEEE10hipError_tT2_T3_mT4_P12ihipStream_tbEUlT_E_NS1_11comp_targetILNS1_3genE9ELNS1_11target_archE1100ELNS1_3gpuE3ELNS1_3repE0EEENS1_30default_config_static_selectorELNS0_4arch9wavefront6targetE1EEEvT1_: ; @_ZN7rocprim17ROCPRIM_400000_NS6detail17trampoline_kernelINS0_14default_configENS1_25transform_config_selectorIiLb1EEEZNS1_14transform_implILb1ES3_S5_PiS7_NS0_8identityIiEEEE10hipError_tT2_T3_mT4_P12ihipStream_tbEUlT_E_NS1_11comp_targetILNS1_3genE9ELNS1_11target_archE1100ELNS1_3gpuE3ELNS1_3repE0EEENS1_30default_config_static_selectorELNS0_4arch9wavefront6targetE1EEEvT1_
; %bb.0:
	.section	.rodata,"a",@progbits
	.p2align	6, 0x0
	.amdhsa_kernel _ZN7rocprim17ROCPRIM_400000_NS6detail17trampoline_kernelINS0_14default_configENS1_25transform_config_selectorIiLb1EEEZNS1_14transform_implILb1ES3_S5_PiS7_NS0_8identityIiEEEE10hipError_tT2_T3_mT4_P12ihipStream_tbEUlT_E_NS1_11comp_targetILNS1_3genE9ELNS1_11target_archE1100ELNS1_3gpuE3ELNS1_3repE0EEENS1_30default_config_static_selectorELNS0_4arch9wavefront6targetE1EEEvT1_
		.amdhsa_group_segment_fixed_size 0
		.amdhsa_private_segment_fixed_size 0
		.amdhsa_kernarg_size 40
		.amdhsa_user_sgpr_count 6
		.amdhsa_user_sgpr_private_segment_buffer 1
		.amdhsa_user_sgpr_dispatch_ptr 0
		.amdhsa_user_sgpr_queue_ptr 0
		.amdhsa_user_sgpr_kernarg_segment_ptr 1
		.amdhsa_user_sgpr_dispatch_id 0
		.amdhsa_user_sgpr_flat_scratch_init 0
		.amdhsa_user_sgpr_kernarg_preload_length 0
		.amdhsa_user_sgpr_kernarg_preload_offset 0
		.amdhsa_user_sgpr_private_segment_size 0
		.amdhsa_uses_dynamic_stack 0
		.amdhsa_system_sgpr_private_segment_wavefront_offset 0
		.amdhsa_system_sgpr_workgroup_id_x 1
		.amdhsa_system_sgpr_workgroup_id_y 0
		.amdhsa_system_sgpr_workgroup_id_z 0
		.amdhsa_system_sgpr_workgroup_info 0
		.amdhsa_system_vgpr_workitem_id 0
		.amdhsa_next_free_vgpr 1
		.amdhsa_next_free_sgpr 0
		.amdhsa_accum_offset 4
		.amdhsa_reserve_vcc 0
		.amdhsa_reserve_flat_scratch 0
		.amdhsa_float_round_mode_32 0
		.amdhsa_float_round_mode_16_64 0
		.amdhsa_float_denorm_mode_32 3
		.amdhsa_float_denorm_mode_16_64 3
		.amdhsa_dx10_clamp 1
		.amdhsa_ieee_mode 1
		.amdhsa_fp16_overflow 0
		.amdhsa_tg_split 0
		.amdhsa_exception_fp_ieee_invalid_op 0
		.amdhsa_exception_fp_denorm_src 0
		.amdhsa_exception_fp_ieee_div_zero 0
		.amdhsa_exception_fp_ieee_overflow 0
		.amdhsa_exception_fp_ieee_underflow 0
		.amdhsa_exception_fp_ieee_inexact 0
		.amdhsa_exception_int_div_zero 0
	.end_amdhsa_kernel
	.section	.text._ZN7rocprim17ROCPRIM_400000_NS6detail17trampoline_kernelINS0_14default_configENS1_25transform_config_selectorIiLb1EEEZNS1_14transform_implILb1ES3_S5_PiS7_NS0_8identityIiEEEE10hipError_tT2_T3_mT4_P12ihipStream_tbEUlT_E_NS1_11comp_targetILNS1_3genE9ELNS1_11target_archE1100ELNS1_3gpuE3ELNS1_3repE0EEENS1_30default_config_static_selectorELNS0_4arch9wavefront6targetE1EEEvT1_,"axG",@progbits,_ZN7rocprim17ROCPRIM_400000_NS6detail17trampoline_kernelINS0_14default_configENS1_25transform_config_selectorIiLb1EEEZNS1_14transform_implILb1ES3_S5_PiS7_NS0_8identityIiEEEE10hipError_tT2_T3_mT4_P12ihipStream_tbEUlT_E_NS1_11comp_targetILNS1_3genE9ELNS1_11target_archE1100ELNS1_3gpuE3ELNS1_3repE0EEENS1_30default_config_static_selectorELNS0_4arch9wavefront6targetE1EEEvT1_,comdat
.Lfunc_end520:
	.size	_ZN7rocprim17ROCPRIM_400000_NS6detail17trampoline_kernelINS0_14default_configENS1_25transform_config_selectorIiLb1EEEZNS1_14transform_implILb1ES3_S5_PiS7_NS0_8identityIiEEEE10hipError_tT2_T3_mT4_P12ihipStream_tbEUlT_E_NS1_11comp_targetILNS1_3genE9ELNS1_11target_archE1100ELNS1_3gpuE3ELNS1_3repE0EEENS1_30default_config_static_selectorELNS0_4arch9wavefront6targetE1EEEvT1_, .Lfunc_end520-_ZN7rocprim17ROCPRIM_400000_NS6detail17trampoline_kernelINS0_14default_configENS1_25transform_config_selectorIiLb1EEEZNS1_14transform_implILb1ES3_S5_PiS7_NS0_8identityIiEEEE10hipError_tT2_T3_mT4_P12ihipStream_tbEUlT_E_NS1_11comp_targetILNS1_3genE9ELNS1_11target_archE1100ELNS1_3gpuE3ELNS1_3repE0EEENS1_30default_config_static_selectorELNS0_4arch9wavefront6targetE1EEEvT1_
                                        ; -- End function
	.section	.AMDGPU.csdata,"",@progbits
; Kernel info:
; codeLenInByte = 0
; NumSgprs: 4
; NumVgprs: 0
; NumAgprs: 0
; TotalNumVgprs: 0
; ScratchSize: 0
; MemoryBound: 0
; FloatMode: 240
; IeeeMode: 1
; LDSByteSize: 0 bytes/workgroup (compile time only)
; SGPRBlocks: 0
; VGPRBlocks: 0
; NumSGPRsForWavesPerEU: 4
; NumVGPRsForWavesPerEU: 1
; AccumOffset: 4
; Occupancy: 8
; WaveLimiterHint : 0
; COMPUTE_PGM_RSRC2:SCRATCH_EN: 0
; COMPUTE_PGM_RSRC2:USER_SGPR: 6
; COMPUTE_PGM_RSRC2:TRAP_HANDLER: 0
; COMPUTE_PGM_RSRC2:TGID_X_EN: 1
; COMPUTE_PGM_RSRC2:TGID_Y_EN: 0
; COMPUTE_PGM_RSRC2:TGID_Z_EN: 0
; COMPUTE_PGM_RSRC2:TIDIG_COMP_CNT: 0
; COMPUTE_PGM_RSRC3_GFX90A:ACCUM_OFFSET: 0
; COMPUTE_PGM_RSRC3_GFX90A:TG_SPLIT: 0
	.section	.text._ZN7rocprim17ROCPRIM_400000_NS6detail17trampoline_kernelINS0_14default_configENS1_25transform_config_selectorIiLb1EEEZNS1_14transform_implILb1ES3_S5_PiS7_NS0_8identityIiEEEE10hipError_tT2_T3_mT4_P12ihipStream_tbEUlT_E_NS1_11comp_targetILNS1_3genE8ELNS1_11target_archE1030ELNS1_3gpuE2ELNS1_3repE0EEENS1_30default_config_static_selectorELNS0_4arch9wavefront6targetE1EEEvT1_,"axG",@progbits,_ZN7rocprim17ROCPRIM_400000_NS6detail17trampoline_kernelINS0_14default_configENS1_25transform_config_selectorIiLb1EEEZNS1_14transform_implILb1ES3_S5_PiS7_NS0_8identityIiEEEE10hipError_tT2_T3_mT4_P12ihipStream_tbEUlT_E_NS1_11comp_targetILNS1_3genE8ELNS1_11target_archE1030ELNS1_3gpuE2ELNS1_3repE0EEENS1_30default_config_static_selectorELNS0_4arch9wavefront6targetE1EEEvT1_,comdat
	.protected	_ZN7rocprim17ROCPRIM_400000_NS6detail17trampoline_kernelINS0_14default_configENS1_25transform_config_selectorIiLb1EEEZNS1_14transform_implILb1ES3_S5_PiS7_NS0_8identityIiEEEE10hipError_tT2_T3_mT4_P12ihipStream_tbEUlT_E_NS1_11comp_targetILNS1_3genE8ELNS1_11target_archE1030ELNS1_3gpuE2ELNS1_3repE0EEENS1_30default_config_static_selectorELNS0_4arch9wavefront6targetE1EEEvT1_ ; -- Begin function _ZN7rocprim17ROCPRIM_400000_NS6detail17trampoline_kernelINS0_14default_configENS1_25transform_config_selectorIiLb1EEEZNS1_14transform_implILb1ES3_S5_PiS7_NS0_8identityIiEEEE10hipError_tT2_T3_mT4_P12ihipStream_tbEUlT_E_NS1_11comp_targetILNS1_3genE8ELNS1_11target_archE1030ELNS1_3gpuE2ELNS1_3repE0EEENS1_30default_config_static_selectorELNS0_4arch9wavefront6targetE1EEEvT1_
	.globl	_ZN7rocprim17ROCPRIM_400000_NS6detail17trampoline_kernelINS0_14default_configENS1_25transform_config_selectorIiLb1EEEZNS1_14transform_implILb1ES3_S5_PiS7_NS0_8identityIiEEEE10hipError_tT2_T3_mT4_P12ihipStream_tbEUlT_E_NS1_11comp_targetILNS1_3genE8ELNS1_11target_archE1030ELNS1_3gpuE2ELNS1_3repE0EEENS1_30default_config_static_selectorELNS0_4arch9wavefront6targetE1EEEvT1_
	.p2align	8
	.type	_ZN7rocprim17ROCPRIM_400000_NS6detail17trampoline_kernelINS0_14default_configENS1_25transform_config_selectorIiLb1EEEZNS1_14transform_implILb1ES3_S5_PiS7_NS0_8identityIiEEEE10hipError_tT2_T3_mT4_P12ihipStream_tbEUlT_E_NS1_11comp_targetILNS1_3genE8ELNS1_11target_archE1030ELNS1_3gpuE2ELNS1_3repE0EEENS1_30default_config_static_selectorELNS0_4arch9wavefront6targetE1EEEvT1_,@function
_ZN7rocprim17ROCPRIM_400000_NS6detail17trampoline_kernelINS0_14default_configENS1_25transform_config_selectorIiLb1EEEZNS1_14transform_implILb1ES3_S5_PiS7_NS0_8identityIiEEEE10hipError_tT2_T3_mT4_P12ihipStream_tbEUlT_E_NS1_11comp_targetILNS1_3genE8ELNS1_11target_archE1030ELNS1_3gpuE2ELNS1_3repE0EEENS1_30default_config_static_selectorELNS0_4arch9wavefront6targetE1EEEvT1_: ; @_ZN7rocprim17ROCPRIM_400000_NS6detail17trampoline_kernelINS0_14default_configENS1_25transform_config_selectorIiLb1EEEZNS1_14transform_implILb1ES3_S5_PiS7_NS0_8identityIiEEEE10hipError_tT2_T3_mT4_P12ihipStream_tbEUlT_E_NS1_11comp_targetILNS1_3genE8ELNS1_11target_archE1030ELNS1_3gpuE2ELNS1_3repE0EEENS1_30default_config_static_selectorELNS0_4arch9wavefront6targetE1EEEvT1_
; %bb.0:
	.section	.rodata,"a",@progbits
	.p2align	6, 0x0
	.amdhsa_kernel _ZN7rocprim17ROCPRIM_400000_NS6detail17trampoline_kernelINS0_14default_configENS1_25transform_config_selectorIiLb1EEEZNS1_14transform_implILb1ES3_S5_PiS7_NS0_8identityIiEEEE10hipError_tT2_T3_mT4_P12ihipStream_tbEUlT_E_NS1_11comp_targetILNS1_3genE8ELNS1_11target_archE1030ELNS1_3gpuE2ELNS1_3repE0EEENS1_30default_config_static_selectorELNS0_4arch9wavefront6targetE1EEEvT1_
		.amdhsa_group_segment_fixed_size 0
		.amdhsa_private_segment_fixed_size 0
		.amdhsa_kernarg_size 40
		.amdhsa_user_sgpr_count 6
		.amdhsa_user_sgpr_private_segment_buffer 1
		.amdhsa_user_sgpr_dispatch_ptr 0
		.amdhsa_user_sgpr_queue_ptr 0
		.amdhsa_user_sgpr_kernarg_segment_ptr 1
		.amdhsa_user_sgpr_dispatch_id 0
		.amdhsa_user_sgpr_flat_scratch_init 0
		.amdhsa_user_sgpr_kernarg_preload_length 0
		.amdhsa_user_sgpr_kernarg_preload_offset 0
		.amdhsa_user_sgpr_private_segment_size 0
		.amdhsa_uses_dynamic_stack 0
		.amdhsa_system_sgpr_private_segment_wavefront_offset 0
		.amdhsa_system_sgpr_workgroup_id_x 1
		.amdhsa_system_sgpr_workgroup_id_y 0
		.amdhsa_system_sgpr_workgroup_id_z 0
		.amdhsa_system_sgpr_workgroup_info 0
		.amdhsa_system_vgpr_workitem_id 0
		.amdhsa_next_free_vgpr 1
		.amdhsa_next_free_sgpr 0
		.amdhsa_accum_offset 4
		.amdhsa_reserve_vcc 0
		.amdhsa_reserve_flat_scratch 0
		.amdhsa_float_round_mode_32 0
		.amdhsa_float_round_mode_16_64 0
		.amdhsa_float_denorm_mode_32 3
		.amdhsa_float_denorm_mode_16_64 3
		.amdhsa_dx10_clamp 1
		.amdhsa_ieee_mode 1
		.amdhsa_fp16_overflow 0
		.amdhsa_tg_split 0
		.amdhsa_exception_fp_ieee_invalid_op 0
		.amdhsa_exception_fp_denorm_src 0
		.amdhsa_exception_fp_ieee_div_zero 0
		.amdhsa_exception_fp_ieee_overflow 0
		.amdhsa_exception_fp_ieee_underflow 0
		.amdhsa_exception_fp_ieee_inexact 0
		.amdhsa_exception_int_div_zero 0
	.end_amdhsa_kernel
	.section	.text._ZN7rocprim17ROCPRIM_400000_NS6detail17trampoline_kernelINS0_14default_configENS1_25transform_config_selectorIiLb1EEEZNS1_14transform_implILb1ES3_S5_PiS7_NS0_8identityIiEEEE10hipError_tT2_T3_mT4_P12ihipStream_tbEUlT_E_NS1_11comp_targetILNS1_3genE8ELNS1_11target_archE1030ELNS1_3gpuE2ELNS1_3repE0EEENS1_30default_config_static_selectorELNS0_4arch9wavefront6targetE1EEEvT1_,"axG",@progbits,_ZN7rocprim17ROCPRIM_400000_NS6detail17trampoline_kernelINS0_14default_configENS1_25transform_config_selectorIiLb1EEEZNS1_14transform_implILb1ES3_S5_PiS7_NS0_8identityIiEEEE10hipError_tT2_T3_mT4_P12ihipStream_tbEUlT_E_NS1_11comp_targetILNS1_3genE8ELNS1_11target_archE1030ELNS1_3gpuE2ELNS1_3repE0EEENS1_30default_config_static_selectorELNS0_4arch9wavefront6targetE1EEEvT1_,comdat
.Lfunc_end521:
	.size	_ZN7rocprim17ROCPRIM_400000_NS6detail17trampoline_kernelINS0_14default_configENS1_25transform_config_selectorIiLb1EEEZNS1_14transform_implILb1ES3_S5_PiS7_NS0_8identityIiEEEE10hipError_tT2_T3_mT4_P12ihipStream_tbEUlT_E_NS1_11comp_targetILNS1_3genE8ELNS1_11target_archE1030ELNS1_3gpuE2ELNS1_3repE0EEENS1_30default_config_static_selectorELNS0_4arch9wavefront6targetE1EEEvT1_, .Lfunc_end521-_ZN7rocprim17ROCPRIM_400000_NS6detail17trampoline_kernelINS0_14default_configENS1_25transform_config_selectorIiLb1EEEZNS1_14transform_implILb1ES3_S5_PiS7_NS0_8identityIiEEEE10hipError_tT2_T3_mT4_P12ihipStream_tbEUlT_E_NS1_11comp_targetILNS1_3genE8ELNS1_11target_archE1030ELNS1_3gpuE2ELNS1_3repE0EEENS1_30default_config_static_selectorELNS0_4arch9wavefront6targetE1EEEvT1_
                                        ; -- End function
	.section	.AMDGPU.csdata,"",@progbits
; Kernel info:
; codeLenInByte = 0
; NumSgprs: 4
; NumVgprs: 0
; NumAgprs: 0
; TotalNumVgprs: 0
; ScratchSize: 0
; MemoryBound: 0
; FloatMode: 240
; IeeeMode: 1
; LDSByteSize: 0 bytes/workgroup (compile time only)
; SGPRBlocks: 0
; VGPRBlocks: 0
; NumSGPRsForWavesPerEU: 4
; NumVGPRsForWavesPerEU: 1
; AccumOffset: 4
; Occupancy: 8
; WaveLimiterHint : 0
; COMPUTE_PGM_RSRC2:SCRATCH_EN: 0
; COMPUTE_PGM_RSRC2:USER_SGPR: 6
; COMPUTE_PGM_RSRC2:TRAP_HANDLER: 0
; COMPUTE_PGM_RSRC2:TGID_X_EN: 1
; COMPUTE_PGM_RSRC2:TGID_Y_EN: 0
; COMPUTE_PGM_RSRC2:TGID_Z_EN: 0
; COMPUTE_PGM_RSRC2:TIDIG_COMP_CNT: 0
; COMPUTE_PGM_RSRC3_GFX90A:ACCUM_OFFSET: 0
; COMPUTE_PGM_RSRC3_GFX90A:TG_SPLIT: 0
	.section	.text._ZN7rocprim17ROCPRIM_400000_NS6detail17trampoline_kernelINS0_14default_configENS1_20scan_config_selectorIiEEZZNS1_9scan_implILNS1_25lookback_scan_determinismE0ELb0ELb0ES3_N6thrust23THRUST_200600_302600_NS6detail15normal_iteratorINS9_10device_ptrIiEEEESE_iNS9_4plusIiEEiEEDaPvRmT3_T4_T5_mT6_P12ihipStream_tbENKUlT_T0_E_clISt17integral_constantIbLb0EESU_EEDaSP_SQ_EUlSP_E0_NS1_11comp_targetILNS1_3genE0ELNS1_11target_archE4294967295ELNS1_3gpuE0ELNS1_3repE0EEENS1_30default_config_static_selectorELNS0_4arch9wavefront6targetE1EEEvT1_,"axG",@progbits,_ZN7rocprim17ROCPRIM_400000_NS6detail17trampoline_kernelINS0_14default_configENS1_20scan_config_selectorIiEEZZNS1_9scan_implILNS1_25lookback_scan_determinismE0ELb0ELb0ES3_N6thrust23THRUST_200600_302600_NS6detail15normal_iteratorINS9_10device_ptrIiEEEESE_iNS9_4plusIiEEiEEDaPvRmT3_T4_T5_mT6_P12ihipStream_tbENKUlT_T0_E_clISt17integral_constantIbLb0EESU_EEDaSP_SQ_EUlSP_E0_NS1_11comp_targetILNS1_3genE0ELNS1_11target_archE4294967295ELNS1_3gpuE0ELNS1_3repE0EEENS1_30default_config_static_selectorELNS0_4arch9wavefront6targetE1EEEvT1_,comdat
	.protected	_ZN7rocprim17ROCPRIM_400000_NS6detail17trampoline_kernelINS0_14default_configENS1_20scan_config_selectorIiEEZZNS1_9scan_implILNS1_25lookback_scan_determinismE0ELb0ELb0ES3_N6thrust23THRUST_200600_302600_NS6detail15normal_iteratorINS9_10device_ptrIiEEEESE_iNS9_4plusIiEEiEEDaPvRmT3_T4_T5_mT6_P12ihipStream_tbENKUlT_T0_E_clISt17integral_constantIbLb0EESU_EEDaSP_SQ_EUlSP_E0_NS1_11comp_targetILNS1_3genE0ELNS1_11target_archE4294967295ELNS1_3gpuE0ELNS1_3repE0EEENS1_30default_config_static_selectorELNS0_4arch9wavefront6targetE1EEEvT1_ ; -- Begin function _ZN7rocprim17ROCPRIM_400000_NS6detail17trampoline_kernelINS0_14default_configENS1_20scan_config_selectorIiEEZZNS1_9scan_implILNS1_25lookback_scan_determinismE0ELb0ELb0ES3_N6thrust23THRUST_200600_302600_NS6detail15normal_iteratorINS9_10device_ptrIiEEEESE_iNS9_4plusIiEEiEEDaPvRmT3_T4_T5_mT6_P12ihipStream_tbENKUlT_T0_E_clISt17integral_constantIbLb0EESU_EEDaSP_SQ_EUlSP_E0_NS1_11comp_targetILNS1_3genE0ELNS1_11target_archE4294967295ELNS1_3gpuE0ELNS1_3repE0EEENS1_30default_config_static_selectorELNS0_4arch9wavefront6targetE1EEEvT1_
	.globl	_ZN7rocprim17ROCPRIM_400000_NS6detail17trampoline_kernelINS0_14default_configENS1_20scan_config_selectorIiEEZZNS1_9scan_implILNS1_25lookback_scan_determinismE0ELb0ELb0ES3_N6thrust23THRUST_200600_302600_NS6detail15normal_iteratorINS9_10device_ptrIiEEEESE_iNS9_4plusIiEEiEEDaPvRmT3_T4_T5_mT6_P12ihipStream_tbENKUlT_T0_E_clISt17integral_constantIbLb0EESU_EEDaSP_SQ_EUlSP_E0_NS1_11comp_targetILNS1_3genE0ELNS1_11target_archE4294967295ELNS1_3gpuE0ELNS1_3repE0EEENS1_30default_config_static_selectorELNS0_4arch9wavefront6targetE1EEEvT1_
	.p2align	8
	.type	_ZN7rocprim17ROCPRIM_400000_NS6detail17trampoline_kernelINS0_14default_configENS1_20scan_config_selectorIiEEZZNS1_9scan_implILNS1_25lookback_scan_determinismE0ELb0ELb0ES3_N6thrust23THRUST_200600_302600_NS6detail15normal_iteratorINS9_10device_ptrIiEEEESE_iNS9_4plusIiEEiEEDaPvRmT3_T4_T5_mT6_P12ihipStream_tbENKUlT_T0_E_clISt17integral_constantIbLb0EESU_EEDaSP_SQ_EUlSP_E0_NS1_11comp_targetILNS1_3genE0ELNS1_11target_archE4294967295ELNS1_3gpuE0ELNS1_3repE0EEENS1_30default_config_static_selectorELNS0_4arch9wavefront6targetE1EEEvT1_,@function
_ZN7rocprim17ROCPRIM_400000_NS6detail17trampoline_kernelINS0_14default_configENS1_20scan_config_selectorIiEEZZNS1_9scan_implILNS1_25lookback_scan_determinismE0ELb0ELb0ES3_N6thrust23THRUST_200600_302600_NS6detail15normal_iteratorINS9_10device_ptrIiEEEESE_iNS9_4plusIiEEiEEDaPvRmT3_T4_T5_mT6_P12ihipStream_tbENKUlT_T0_E_clISt17integral_constantIbLb0EESU_EEDaSP_SQ_EUlSP_E0_NS1_11comp_targetILNS1_3genE0ELNS1_11target_archE4294967295ELNS1_3gpuE0ELNS1_3repE0EEENS1_30default_config_static_selectorELNS0_4arch9wavefront6targetE1EEEvT1_: ; @_ZN7rocprim17ROCPRIM_400000_NS6detail17trampoline_kernelINS0_14default_configENS1_20scan_config_selectorIiEEZZNS1_9scan_implILNS1_25lookback_scan_determinismE0ELb0ELb0ES3_N6thrust23THRUST_200600_302600_NS6detail15normal_iteratorINS9_10device_ptrIiEEEESE_iNS9_4plusIiEEiEEDaPvRmT3_T4_T5_mT6_P12ihipStream_tbENKUlT_T0_E_clISt17integral_constantIbLb0EESU_EEDaSP_SQ_EUlSP_E0_NS1_11comp_targetILNS1_3genE0ELNS1_11target_archE4294967295ELNS1_3gpuE0ELNS1_3repE0EEENS1_30default_config_static_selectorELNS0_4arch9wavefront6targetE1EEEvT1_
; %bb.0:
	.section	.rodata,"a",@progbits
	.p2align	6, 0x0
	.amdhsa_kernel _ZN7rocprim17ROCPRIM_400000_NS6detail17trampoline_kernelINS0_14default_configENS1_20scan_config_selectorIiEEZZNS1_9scan_implILNS1_25lookback_scan_determinismE0ELb0ELb0ES3_N6thrust23THRUST_200600_302600_NS6detail15normal_iteratorINS9_10device_ptrIiEEEESE_iNS9_4plusIiEEiEEDaPvRmT3_T4_T5_mT6_P12ihipStream_tbENKUlT_T0_E_clISt17integral_constantIbLb0EESU_EEDaSP_SQ_EUlSP_E0_NS1_11comp_targetILNS1_3genE0ELNS1_11target_archE4294967295ELNS1_3gpuE0ELNS1_3repE0EEENS1_30default_config_static_selectorELNS0_4arch9wavefront6targetE1EEEvT1_
		.amdhsa_group_segment_fixed_size 0
		.amdhsa_private_segment_fixed_size 0
		.amdhsa_kernarg_size 32
		.amdhsa_user_sgpr_count 6
		.amdhsa_user_sgpr_private_segment_buffer 1
		.amdhsa_user_sgpr_dispatch_ptr 0
		.amdhsa_user_sgpr_queue_ptr 0
		.amdhsa_user_sgpr_kernarg_segment_ptr 1
		.amdhsa_user_sgpr_dispatch_id 0
		.amdhsa_user_sgpr_flat_scratch_init 0
		.amdhsa_user_sgpr_kernarg_preload_length 0
		.amdhsa_user_sgpr_kernarg_preload_offset 0
		.amdhsa_user_sgpr_private_segment_size 0
		.amdhsa_uses_dynamic_stack 0
		.amdhsa_system_sgpr_private_segment_wavefront_offset 0
		.amdhsa_system_sgpr_workgroup_id_x 1
		.amdhsa_system_sgpr_workgroup_id_y 0
		.amdhsa_system_sgpr_workgroup_id_z 0
		.amdhsa_system_sgpr_workgroup_info 0
		.amdhsa_system_vgpr_workitem_id 0
		.amdhsa_next_free_vgpr 1
		.amdhsa_next_free_sgpr 0
		.amdhsa_accum_offset 4
		.amdhsa_reserve_vcc 0
		.amdhsa_reserve_flat_scratch 0
		.amdhsa_float_round_mode_32 0
		.amdhsa_float_round_mode_16_64 0
		.amdhsa_float_denorm_mode_32 3
		.amdhsa_float_denorm_mode_16_64 3
		.amdhsa_dx10_clamp 1
		.amdhsa_ieee_mode 1
		.amdhsa_fp16_overflow 0
		.amdhsa_tg_split 0
		.amdhsa_exception_fp_ieee_invalid_op 0
		.amdhsa_exception_fp_denorm_src 0
		.amdhsa_exception_fp_ieee_div_zero 0
		.amdhsa_exception_fp_ieee_overflow 0
		.amdhsa_exception_fp_ieee_underflow 0
		.amdhsa_exception_fp_ieee_inexact 0
		.amdhsa_exception_int_div_zero 0
	.end_amdhsa_kernel
	.section	.text._ZN7rocprim17ROCPRIM_400000_NS6detail17trampoline_kernelINS0_14default_configENS1_20scan_config_selectorIiEEZZNS1_9scan_implILNS1_25lookback_scan_determinismE0ELb0ELb0ES3_N6thrust23THRUST_200600_302600_NS6detail15normal_iteratorINS9_10device_ptrIiEEEESE_iNS9_4plusIiEEiEEDaPvRmT3_T4_T5_mT6_P12ihipStream_tbENKUlT_T0_E_clISt17integral_constantIbLb0EESU_EEDaSP_SQ_EUlSP_E0_NS1_11comp_targetILNS1_3genE0ELNS1_11target_archE4294967295ELNS1_3gpuE0ELNS1_3repE0EEENS1_30default_config_static_selectorELNS0_4arch9wavefront6targetE1EEEvT1_,"axG",@progbits,_ZN7rocprim17ROCPRIM_400000_NS6detail17trampoline_kernelINS0_14default_configENS1_20scan_config_selectorIiEEZZNS1_9scan_implILNS1_25lookback_scan_determinismE0ELb0ELb0ES3_N6thrust23THRUST_200600_302600_NS6detail15normal_iteratorINS9_10device_ptrIiEEEESE_iNS9_4plusIiEEiEEDaPvRmT3_T4_T5_mT6_P12ihipStream_tbENKUlT_T0_E_clISt17integral_constantIbLb0EESU_EEDaSP_SQ_EUlSP_E0_NS1_11comp_targetILNS1_3genE0ELNS1_11target_archE4294967295ELNS1_3gpuE0ELNS1_3repE0EEENS1_30default_config_static_selectorELNS0_4arch9wavefront6targetE1EEEvT1_,comdat
.Lfunc_end522:
	.size	_ZN7rocprim17ROCPRIM_400000_NS6detail17trampoline_kernelINS0_14default_configENS1_20scan_config_selectorIiEEZZNS1_9scan_implILNS1_25lookback_scan_determinismE0ELb0ELb0ES3_N6thrust23THRUST_200600_302600_NS6detail15normal_iteratorINS9_10device_ptrIiEEEESE_iNS9_4plusIiEEiEEDaPvRmT3_T4_T5_mT6_P12ihipStream_tbENKUlT_T0_E_clISt17integral_constantIbLb0EESU_EEDaSP_SQ_EUlSP_E0_NS1_11comp_targetILNS1_3genE0ELNS1_11target_archE4294967295ELNS1_3gpuE0ELNS1_3repE0EEENS1_30default_config_static_selectorELNS0_4arch9wavefront6targetE1EEEvT1_, .Lfunc_end522-_ZN7rocprim17ROCPRIM_400000_NS6detail17trampoline_kernelINS0_14default_configENS1_20scan_config_selectorIiEEZZNS1_9scan_implILNS1_25lookback_scan_determinismE0ELb0ELb0ES3_N6thrust23THRUST_200600_302600_NS6detail15normal_iteratorINS9_10device_ptrIiEEEESE_iNS9_4plusIiEEiEEDaPvRmT3_T4_T5_mT6_P12ihipStream_tbENKUlT_T0_E_clISt17integral_constantIbLb0EESU_EEDaSP_SQ_EUlSP_E0_NS1_11comp_targetILNS1_3genE0ELNS1_11target_archE4294967295ELNS1_3gpuE0ELNS1_3repE0EEENS1_30default_config_static_selectorELNS0_4arch9wavefront6targetE1EEEvT1_
                                        ; -- End function
	.section	.AMDGPU.csdata,"",@progbits
; Kernel info:
; codeLenInByte = 0
; NumSgprs: 4
; NumVgprs: 0
; NumAgprs: 0
; TotalNumVgprs: 0
; ScratchSize: 0
; MemoryBound: 0
; FloatMode: 240
; IeeeMode: 1
; LDSByteSize: 0 bytes/workgroup (compile time only)
; SGPRBlocks: 0
; VGPRBlocks: 0
; NumSGPRsForWavesPerEU: 4
; NumVGPRsForWavesPerEU: 1
; AccumOffset: 4
; Occupancy: 8
; WaveLimiterHint : 0
; COMPUTE_PGM_RSRC2:SCRATCH_EN: 0
; COMPUTE_PGM_RSRC2:USER_SGPR: 6
; COMPUTE_PGM_RSRC2:TRAP_HANDLER: 0
; COMPUTE_PGM_RSRC2:TGID_X_EN: 1
; COMPUTE_PGM_RSRC2:TGID_Y_EN: 0
; COMPUTE_PGM_RSRC2:TGID_Z_EN: 0
; COMPUTE_PGM_RSRC2:TIDIG_COMP_CNT: 0
; COMPUTE_PGM_RSRC3_GFX90A:ACCUM_OFFSET: 0
; COMPUTE_PGM_RSRC3_GFX90A:TG_SPLIT: 0
	.section	.text._ZN7rocprim17ROCPRIM_400000_NS6detail17trampoline_kernelINS0_14default_configENS1_20scan_config_selectorIiEEZZNS1_9scan_implILNS1_25lookback_scan_determinismE0ELb0ELb0ES3_N6thrust23THRUST_200600_302600_NS6detail15normal_iteratorINS9_10device_ptrIiEEEESE_iNS9_4plusIiEEiEEDaPvRmT3_T4_T5_mT6_P12ihipStream_tbENKUlT_T0_E_clISt17integral_constantIbLb0EESU_EEDaSP_SQ_EUlSP_E0_NS1_11comp_targetILNS1_3genE5ELNS1_11target_archE942ELNS1_3gpuE9ELNS1_3repE0EEENS1_30default_config_static_selectorELNS0_4arch9wavefront6targetE1EEEvT1_,"axG",@progbits,_ZN7rocprim17ROCPRIM_400000_NS6detail17trampoline_kernelINS0_14default_configENS1_20scan_config_selectorIiEEZZNS1_9scan_implILNS1_25lookback_scan_determinismE0ELb0ELb0ES3_N6thrust23THRUST_200600_302600_NS6detail15normal_iteratorINS9_10device_ptrIiEEEESE_iNS9_4plusIiEEiEEDaPvRmT3_T4_T5_mT6_P12ihipStream_tbENKUlT_T0_E_clISt17integral_constantIbLb0EESU_EEDaSP_SQ_EUlSP_E0_NS1_11comp_targetILNS1_3genE5ELNS1_11target_archE942ELNS1_3gpuE9ELNS1_3repE0EEENS1_30default_config_static_selectorELNS0_4arch9wavefront6targetE1EEEvT1_,comdat
	.protected	_ZN7rocprim17ROCPRIM_400000_NS6detail17trampoline_kernelINS0_14default_configENS1_20scan_config_selectorIiEEZZNS1_9scan_implILNS1_25lookback_scan_determinismE0ELb0ELb0ES3_N6thrust23THRUST_200600_302600_NS6detail15normal_iteratorINS9_10device_ptrIiEEEESE_iNS9_4plusIiEEiEEDaPvRmT3_T4_T5_mT6_P12ihipStream_tbENKUlT_T0_E_clISt17integral_constantIbLb0EESU_EEDaSP_SQ_EUlSP_E0_NS1_11comp_targetILNS1_3genE5ELNS1_11target_archE942ELNS1_3gpuE9ELNS1_3repE0EEENS1_30default_config_static_selectorELNS0_4arch9wavefront6targetE1EEEvT1_ ; -- Begin function _ZN7rocprim17ROCPRIM_400000_NS6detail17trampoline_kernelINS0_14default_configENS1_20scan_config_selectorIiEEZZNS1_9scan_implILNS1_25lookback_scan_determinismE0ELb0ELb0ES3_N6thrust23THRUST_200600_302600_NS6detail15normal_iteratorINS9_10device_ptrIiEEEESE_iNS9_4plusIiEEiEEDaPvRmT3_T4_T5_mT6_P12ihipStream_tbENKUlT_T0_E_clISt17integral_constantIbLb0EESU_EEDaSP_SQ_EUlSP_E0_NS1_11comp_targetILNS1_3genE5ELNS1_11target_archE942ELNS1_3gpuE9ELNS1_3repE0EEENS1_30default_config_static_selectorELNS0_4arch9wavefront6targetE1EEEvT1_
	.globl	_ZN7rocprim17ROCPRIM_400000_NS6detail17trampoline_kernelINS0_14default_configENS1_20scan_config_selectorIiEEZZNS1_9scan_implILNS1_25lookback_scan_determinismE0ELb0ELb0ES3_N6thrust23THRUST_200600_302600_NS6detail15normal_iteratorINS9_10device_ptrIiEEEESE_iNS9_4plusIiEEiEEDaPvRmT3_T4_T5_mT6_P12ihipStream_tbENKUlT_T0_E_clISt17integral_constantIbLb0EESU_EEDaSP_SQ_EUlSP_E0_NS1_11comp_targetILNS1_3genE5ELNS1_11target_archE942ELNS1_3gpuE9ELNS1_3repE0EEENS1_30default_config_static_selectorELNS0_4arch9wavefront6targetE1EEEvT1_
	.p2align	8
	.type	_ZN7rocprim17ROCPRIM_400000_NS6detail17trampoline_kernelINS0_14default_configENS1_20scan_config_selectorIiEEZZNS1_9scan_implILNS1_25lookback_scan_determinismE0ELb0ELb0ES3_N6thrust23THRUST_200600_302600_NS6detail15normal_iteratorINS9_10device_ptrIiEEEESE_iNS9_4plusIiEEiEEDaPvRmT3_T4_T5_mT6_P12ihipStream_tbENKUlT_T0_E_clISt17integral_constantIbLb0EESU_EEDaSP_SQ_EUlSP_E0_NS1_11comp_targetILNS1_3genE5ELNS1_11target_archE942ELNS1_3gpuE9ELNS1_3repE0EEENS1_30default_config_static_selectorELNS0_4arch9wavefront6targetE1EEEvT1_,@function
_ZN7rocprim17ROCPRIM_400000_NS6detail17trampoline_kernelINS0_14default_configENS1_20scan_config_selectorIiEEZZNS1_9scan_implILNS1_25lookback_scan_determinismE0ELb0ELb0ES3_N6thrust23THRUST_200600_302600_NS6detail15normal_iteratorINS9_10device_ptrIiEEEESE_iNS9_4plusIiEEiEEDaPvRmT3_T4_T5_mT6_P12ihipStream_tbENKUlT_T0_E_clISt17integral_constantIbLb0EESU_EEDaSP_SQ_EUlSP_E0_NS1_11comp_targetILNS1_3genE5ELNS1_11target_archE942ELNS1_3gpuE9ELNS1_3repE0EEENS1_30default_config_static_selectorELNS0_4arch9wavefront6targetE1EEEvT1_: ; @_ZN7rocprim17ROCPRIM_400000_NS6detail17trampoline_kernelINS0_14default_configENS1_20scan_config_selectorIiEEZZNS1_9scan_implILNS1_25lookback_scan_determinismE0ELb0ELb0ES3_N6thrust23THRUST_200600_302600_NS6detail15normal_iteratorINS9_10device_ptrIiEEEESE_iNS9_4plusIiEEiEEDaPvRmT3_T4_T5_mT6_P12ihipStream_tbENKUlT_T0_E_clISt17integral_constantIbLb0EESU_EEDaSP_SQ_EUlSP_E0_NS1_11comp_targetILNS1_3genE5ELNS1_11target_archE942ELNS1_3gpuE9ELNS1_3repE0EEENS1_30default_config_static_selectorELNS0_4arch9wavefront6targetE1EEEvT1_
; %bb.0:
	.section	.rodata,"a",@progbits
	.p2align	6, 0x0
	.amdhsa_kernel _ZN7rocprim17ROCPRIM_400000_NS6detail17trampoline_kernelINS0_14default_configENS1_20scan_config_selectorIiEEZZNS1_9scan_implILNS1_25lookback_scan_determinismE0ELb0ELb0ES3_N6thrust23THRUST_200600_302600_NS6detail15normal_iteratorINS9_10device_ptrIiEEEESE_iNS9_4plusIiEEiEEDaPvRmT3_T4_T5_mT6_P12ihipStream_tbENKUlT_T0_E_clISt17integral_constantIbLb0EESU_EEDaSP_SQ_EUlSP_E0_NS1_11comp_targetILNS1_3genE5ELNS1_11target_archE942ELNS1_3gpuE9ELNS1_3repE0EEENS1_30default_config_static_selectorELNS0_4arch9wavefront6targetE1EEEvT1_
		.amdhsa_group_segment_fixed_size 0
		.amdhsa_private_segment_fixed_size 0
		.amdhsa_kernarg_size 32
		.amdhsa_user_sgpr_count 6
		.amdhsa_user_sgpr_private_segment_buffer 1
		.amdhsa_user_sgpr_dispatch_ptr 0
		.amdhsa_user_sgpr_queue_ptr 0
		.amdhsa_user_sgpr_kernarg_segment_ptr 1
		.amdhsa_user_sgpr_dispatch_id 0
		.amdhsa_user_sgpr_flat_scratch_init 0
		.amdhsa_user_sgpr_kernarg_preload_length 0
		.amdhsa_user_sgpr_kernarg_preload_offset 0
		.amdhsa_user_sgpr_private_segment_size 0
		.amdhsa_uses_dynamic_stack 0
		.amdhsa_system_sgpr_private_segment_wavefront_offset 0
		.amdhsa_system_sgpr_workgroup_id_x 1
		.amdhsa_system_sgpr_workgroup_id_y 0
		.amdhsa_system_sgpr_workgroup_id_z 0
		.amdhsa_system_sgpr_workgroup_info 0
		.amdhsa_system_vgpr_workitem_id 0
		.amdhsa_next_free_vgpr 1
		.amdhsa_next_free_sgpr 0
		.amdhsa_accum_offset 4
		.amdhsa_reserve_vcc 0
		.amdhsa_reserve_flat_scratch 0
		.amdhsa_float_round_mode_32 0
		.amdhsa_float_round_mode_16_64 0
		.amdhsa_float_denorm_mode_32 3
		.amdhsa_float_denorm_mode_16_64 3
		.amdhsa_dx10_clamp 1
		.amdhsa_ieee_mode 1
		.amdhsa_fp16_overflow 0
		.amdhsa_tg_split 0
		.amdhsa_exception_fp_ieee_invalid_op 0
		.amdhsa_exception_fp_denorm_src 0
		.amdhsa_exception_fp_ieee_div_zero 0
		.amdhsa_exception_fp_ieee_overflow 0
		.amdhsa_exception_fp_ieee_underflow 0
		.amdhsa_exception_fp_ieee_inexact 0
		.amdhsa_exception_int_div_zero 0
	.end_amdhsa_kernel
	.section	.text._ZN7rocprim17ROCPRIM_400000_NS6detail17trampoline_kernelINS0_14default_configENS1_20scan_config_selectorIiEEZZNS1_9scan_implILNS1_25lookback_scan_determinismE0ELb0ELb0ES3_N6thrust23THRUST_200600_302600_NS6detail15normal_iteratorINS9_10device_ptrIiEEEESE_iNS9_4plusIiEEiEEDaPvRmT3_T4_T5_mT6_P12ihipStream_tbENKUlT_T0_E_clISt17integral_constantIbLb0EESU_EEDaSP_SQ_EUlSP_E0_NS1_11comp_targetILNS1_3genE5ELNS1_11target_archE942ELNS1_3gpuE9ELNS1_3repE0EEENS1_30default_config_static_selectorELNS0_4arch9wavefront6targetE1EEEvT1_,"axG",@progbits,_ZN7rocprim17ROCPRIM_400000_NS6detail17trampoline_kernelINS0_14default_configENS1_20scan_config_selectorIiEEZZNS1_9scan_implILNS1_25lookback_scan_determinismE0ELb0ELb0ES3_N6thrust23THRUST_200600_302600_NS6detail15normal_iteratorINS9_10device_ptrIiEEEESE_iNS9_4plusIiEEiEEDaPvRmT3_T4_T5_mT6_P12ihipStream_tbENKUlT_T0_E_clISt17integral_constantIbLb0EESU_EEDaSP_SQ_EUlSP_E0_NS1_11comp_targetILNS1_3genE5ELNS1_11target_archE942ELNS1_3gpuE9ELNS1_3repE0EEENS1_30default_config_static_selectorELNS0_4arch9wavefront6targetE1EEEvT1_,comdat
.Lfunc_end523:
	.size	_ZN7rocprim17ROCPRIM_400000_NS6detail17trampoline_kernelINS0_14default_configENS1_20scan_config_selectorIiEEZZNS1_9scan_implILNS1_25lookback_scan_determinismE0ELb0ELb0ES3_N6thrust23THRUST_200600_302600_NS6detail15normal_iteratorINS9_10device_ptrIiEEEESE_iNS9_4plusIiEEiEEDaPvRmT3_T4_T5_mT6_P12ihipStream_tbENKUlT_T0_E_clISt17integral_constantIbLb0EESU_EEDaSP_SQ_EUlSP_E0_NS1_11comp_targetILNS1_3genE5ELNS1_11target_archE942ELNS1_3gpuE9ELNS1_3repE0EEENS1_30default_config_static_selectorELNS0_4arch9wavefront6targetE1EEEvT1_, .Lfunc_end523-_ZN7rocprim17ROCPRIM_400000_NS6detail17trampoline_kernelINS0_14default_configENS1_20scan_config_selectorIiEEZZNS1_9scan_implILNS1_25lookback_scan_determinismE0ELb0ELb0ES3_N6thrust23THRUST_200600_302600_NS6detail15normal_iteratorINS9_10device_ptrIiEEEESE_iNS9_4plusIiEEiEEDaPvRmT3_T4_T5_mT6_P12ihipStream_tbENKUlT_T0_E_clISt17integral_constantIbLb0EESU_EEDaSP_SQ_EUlSP_E0_NS1_11comp_targetILNS1_3genE5ELNS1_11target_archE942ELNS1_3gpuE9ELNS1_3repE0EEENS1_30default_config_static_selectorELNS0_4arch9wavefront6targetE1EEEvT1_
                                        ; -- End function
	.section	.AMDGPU.csdata,"",@progbits
; Kernel info:
; codeLenInByte = 0
; NumSgprs: 4
; NumVgprs: 0
; NumAgprs: 0
; TotalNumVgprs: 0
; ScratchSize: 0
; MemoryBound: 0
; FloatMode: 240
; IeeeMode: 1
; LDSByteSize: 0 bytes/workgroup (compile time only)
; SGPRBlocks: 0
; VGPRBlocks: 0
; NumSGPRsForWavesPerEU: 4
; NumVGPRsForWavesPerEU: 1
; AccumOffset: 4
; Occupancy: 8
; WaveLimiterHint : 0
; COMPUTE_PGM_RSRC2:SCRATCH_EN: 0
; COMPUTE_PGM_RSRC2:USER_SGPR: 6
; COMPUTE_PGM_RSRC2:TRAP_HANDLER: 0
; COMPUTE_PGM_RSRC2:TGID_X_EN: 1
; COMPUTE_PGM_RSRC2:TGID_Y_EN: 0
; COMPUTE_PGM_RSRC2:TGID_Z_EN: 0
; COMPUTE_PGM_RSRC2:TIDIG_COMP_CNT: 0
; COMPUTE_PGM_RSRC3_GFX90A:ACCUM_OFFSET: 0
; COMPUTE_PGM_RSRC3_GFX90A:TG_SPLIT: 0
	.section	.text._ZN7rocprim17ROCPRIM_400000_NS6detail17trampoline_kernelINS0_14default_configENS1_20scan_config_selectorIiEEZZNS1_9scan_implILNS1_25lookback_scan_determinismE0ELb0ELb0ES3_N6thrust23THRUST_200600_302600_NS6detail15normal_iteratorINS9_10device_ptrIiEEEESE_iNS9_4plusIiEEiEEDaPvRmT3_T4_T5_mT6_P12ihipStream_tbENKUlT_T0_E_clISt17integral_constantIbLb0EESU_EEDaSP_SQ_EUlSP_E0_NS1_11comp_targetILNS1_3genE4ELNS1_11target_archE910ELNS1_3gpuE8ELNS1_3repE0EEENS1_30default_config_static_selectorELNS0_4arch9wavefront6targetE1EEEvT1_,"axG",@progbits,_ZN7rocprim17ROCPRIM_400000_NS6detail17trampoline_kernelINS0_14default_configENS1_20scan_config_selectorIiEEZZNS1_9scan_implILNS1_25lookback_scan_determinismE0ELb0ELb0ES3_N6thrust23THRUST_200600_302600_NS6detail15normal_iteratorINS9_10device_ptrIiEEEESE_iNS9_4plusIiEEiEEDaPvRmT3_T4_T5_mT6_P12ihipStream_tbENKUlT_T0_E_clISt17integral_constantIbLb0EESU_EEDaSP_SQ_EUlSP_E0_NS1_11comp_targetILNS1_3genE4ELNS1_11target_archE910ELNS1_3gpuE8ELNS1_3repE0EEENS1_30default_config_static_selectorELNS0_4arch9wavefront6targetE1EEEvT1_,comdat
	.protected	_ZN7rocprim17ROCPRIM_400000_NS6detail17trampoline_kernelINS0_14default_configENS1_20scan_config_selectorIiEEZZNS1_9scan_implILNS1_25lookback_scan_determinismE0ELb0ELb0ES3_N6thrust23THRUST_200600_302600_NS6detail15normal_iteratorINS9_10device_ptrIiEEEESE_iNS9_4plusIiEEiEEDaPvRmT3_T4_T5_mT6_P12ihipStream_tbENKUlT_T0_E_clISt17integral_constantIbLb0EESU_EEDaSP_SQ_EUlSP_E0_NS1_11comp_targetILNS1_3genE4ELNS1_11target_archE910ELNS1_3gpuE8ELNS1_3repE0EEENS1_30default_config_static_selectorELNS0_4arch9wavefront6targetE1EEEvT1_ ; -- Begin function _ZN7rocprim17ROCPRIM_400000_NS6detail17trampoline_kernelINS0_14default_configENS1_20scan_config_selectorIiEEZZNS1_9scan_implILNS1_25lookback_scan_determinismE0ELb0ELb0ES3_N6thrust23THRUST_200600_302600_NS6detail15normal_iteratorINS9_10device_ptrIiEEEESE_iNS9_4plusIiEEiEEDaPvRmT3_T4_T5_mT6_P12ihipStream_tbENKUlT_T0_E_clISt17integral_constantIbLb0EESU_EEDaSP_SQ_EUlSP_E0_NS1_11comp_targetILNS1_3genE4ELNS1_11target_archE910ELNS1_3gpuE8ELNS1_3repE0EEENS1_30default_config_static_selectorELNS0_4arch9wavefront6targetE1EEEvT1_
	.globl	_ZN7rocprim17ROCPRIM_400000_NS6detail17trampoline_kernelINS0_14default_configENS1_20scan_config_selectorIiEEZZNS1_9scan_implILNS1_25lookback_scan_determinismE0ELb0ELb0ES3_N6thrust23THRUST_200600_302600_NS6detail15normal_iteratorINS9_10device_ptrIiEEEESE_iNS9_4plusIiEEiEEDaPvRmT3_T4_T5_mT6_P12ihipStream_tbENKUlT_T0_E_clISt17integral_constantIbLb0EESU_EEDaSP_SQ_EUlSP_E0_NS1_11comp_targetILNS1_3genE4ELNS1_11target_archE910ELNS1_3gpuE8ELNS1_3repE0EEENS1_30default_config_static_selectorELNS0_4arch9wavefront6targetE1EEEvT1_
	.p2align	8
	.type	_ZN7rocprim17ROCPRIM_400000_NS6detail17trampoline_kernelINS0_14default_configENS1_20scan_config_selectorIiEEZZNS1_9scan_implILNS1_25lookback_scan_determinismE0ELb0ELb0ES3_N6thrust23THRUST_200600_302600_NS6detail15normal_iteratorINS9_10device_ptrIiEEEESE_iNS9_4plusIiEEiEEDaPvRmT3_T4_T5_mT6_P12ihipStream_tbENKUlT_T0_E_clISt17integral_constantIbLb0EESU_EEDaSP_SQ_EUlSP_E0_NS1_11comp_targetILNS1_3genE4ELNS1_11target_archE910ELNS1_3gpuE8ELNS1_3repE0EEENS1_30default_config_static_selectorELNS0_4arch9wavefront6targetE1EEEvT1_,@function
_ZN7rocprim17ROCPRIM_400000_NS6detail17trampoline_kernelINS0_14default_configENS1_20scan_config_selectorIiEEZZNS1_9scan_implILNS1_25lookback_scan_determinismE0ELb0ELb0ES3_N6thrust23THRUST_200600_302600_NS6detail15normal_iteratorINS9_10device_ptrIiEEEESE_iNS9_4plusIiEEiEEDaPvRmT3_T4_T5_mT6_P12ihipStream_tbENKUlT_T0_E_clISt17integral_constantIbLb0EESU_EEDaSP_SQ_EUlSP_E0_NS1_11comp_targetILNS1_3genE4ELNS1_11target_archE910ELNS1_3gpuE8ELNS1_3repE0EEENS1_30default_config_static_selectorELNS0_4arch9wavefront6targetE1EEEvT1_: ; @_ZN7rocprim17ROCPRIM_400000_NS6detail17trampoline_kernelINS0_14default_configENS1_20scan_config_selectorIiEEZZNS1_9scan_implILNS1_25lookback_scan_determinismE0ELb0ELb0ES3_N6thrust23THRUST_200600_302600_NS6detail15normal_iteratorINS9_10device_ptrIiEEEESE_iNS9_4plusIiEEiEEDaPvRmT3_T4_T5_mT6_P12ihipStream_tbENKUlT_T0_E_clISt17integral_constantIbLb0EESU_EEDaSP_SQ_EUlSP_E0_NS1_11comp_targetILNS1_3genE4ELNS1_11target_archE910ELNS1_3gpuE8ELNS1_3repE0EEENS1_30default_config_static_selectorELNS0_4arch9wavefront6targetE1EEEvT1_
; %bb.0:
	s_load_dwordx4 s[20:23], s[4:5], 0x0
	v_lshlrev_b32_e32 v20, 2, v0
	s_waitcnt lgkmcnt(0)
	s_load_dword s23, s[20:21], 0x0
	v_cmp_gt_u32_e32 vcc, s22, v0
	s_waitcnt lgkmcnt(0)
	v_mov_b32_e32 v1, s23
	s_and_saveexec_b64 s[0:1], vcc
	s_cbranch_execz .LBB524_2
; %bb.1:
	global_load_dword v1, v20, s[20:21]
.LBB524_2:
	s_or_b64 exec, exec, s[0:1]
	v_or_b32_e32 v2, 0x80, v0
	v_cmp_gt_u32_e64 s[0:1], s22, v2
	v_mov_b32_e32 v2, s23
	s_and_saveexec_b64 s[2:3], s[0:1]
	s_cbranch_execz .LBB524_4
; %bb.3:
	global_load_dword v2, v20, s[20:21] offset:512
.LBB524_4:
	s_or_b64 exec, exec, s[2:3]
	v_or_b32_e32 v3, 0x100, v0
	v_cmp_gt_u32_e64 s[2:3], s22, v3
	v_mov_b32_e32 v3, s23
	s_and_saveexec_b64 s[6:7], s[2:3]
	s_cbranch_execz .LBB524_6
; %bb.5:
	global_load_dword v3, v20, s[20:21] offset:1024
.LBB524_6:
	s_or_b64 exec, exec, s[6:7]
	v_or_b32_e32 v4, 0x180, v0
	v_cmp_gt_u32_e64 s[18:19], s22, v4
	v_mov_b32_e32 v4, s23
	s_and_saveexec_b64 s[6:7], s[18:19]
	s_cbranch_execz .LBB524_8
; %bb.7:
	global_load_dword v4, v20, s[20:21] offset:1536
.LBB524_8:
	s_or_b64 exec, exec, s[6:7]
	v_or_b32_e32 v5, 0x200, v0
	v_cmp_gt_u32_e64 s[6:7], s22, v5
	v_mov_b32_e32 v5, s23
	s_and_saveexec_b64 s[8:9], s[6:7]
	s_cbranch_execz .LBB524_10
; %bb.9:
	global_load_dword v5, v20, s[20:21] offset:2048
.LBB524_10:
	s_or_b64 exec, exec, s[8:9]
	v_or_b32_e32 v6, 0x280, v0
	v_cmp_gt_u32_e64 s[8:9], s22, v6
	v_mov_b32_e32 v6, s23
	s_and_saveexec_b64 s[10:11], s[8:9]
	s_cbranch_execz .LBB524_12
; %bb.11:
	global_load_dword v6, v20, s[20:21] offset:2560
.LBB524_12:
	s_or_b64 exec, exec, s[10:11]
	v_or_b32_e32 v7, 0x300, v0
	v_cmp_gt_u32_e64 s[10:11], s22, v7
	v_mov_b32_e32 v7, s23
	s_and_saveexec_b64 s[12:13], s[10:11]
	s_cbranch_execz .LBB524_14
; %bb.13:
	global_load_dword v7, v20, s[20:21] offset:3072
.LBB524_14:
	s_or_b64 exec, exec, s[12:13]
	v_or_b32_e32 v8, 0x380, v0
	v_cmp_gt_u32_e64 s[12:13], s22, v8
	v_mov_b32_e32 v8, s23
	s_and_saveexec_b64 s[14:15], s[12:13]
	s_cbranch_execz .LBB524_16
; %bb.15:
	global_load_dword v8, v20, s[20:21] offset:3584
.LBB524_16:
	s_or_b64 exec, exec, s[14:15]
	v_or_b32_e32 v10, 0x400, v0
	v_cmp_gt_u32_e64 s[14:15], s22, v10
	v_mov_b32_e32 v9, s23
	s_and_saveexec_b64 s[16:17], s[14:15]
	s_cbranch_execz .LBB524_18
; %bb.17:
	v_lshlrev_b32_e32 v9, 2, v10
	global_load_dword v9, v9, s[20:21]
.LBB524_18:
	s_or_b64 exec, exec, s[16:17]
	v_or_b32_e32 v11, 0x480, v0
	v_cmp_gt_u32_e64 s[16:17], s22, v11
	v_mov_b32_e32 v10, s23
	s_and_saveexec_b64 s[22:23], s[16:17]
	s_cbranch_execz .LBB524_20
; %bb.19:
	v_lshlrev_b32_e32 v10, 2, v11
	global_load_dword v10, v10, s[20:21]
.LBB524_20:
	s_or_b64 exec, exec, s[22:23]
	s_waitcnt vmcnt(0)
	ds_write2st64_b32 v20, v1, v2 offset1:2
	ds_write2st64_b32 v20, v3, v4 offset0:4 offset1:6
	ds_write2st64_b32 v20, v5, v6 offset0:8 offset1:10
	;; [unrolled: 1-line block ×4, first 2 shown]
	v_mad_u32_u24 v1, v0, 36, v20
	s_waitcnt lgkmcnt(0)
	s_barrier
	ds_read2_b64 v[6:9], v1 offset1:1
	ds_read2_b64 v[2:5], v1 offset0:2 offset1:3
	ds_read_b64 v[18:19], v1 offset:32
	v_lshrrev_b32_e32 v21, 3, v0
	v_and_b32_e32 v21, 12, v21
	s_waitcnt lgkmcnt(2)
	v_add_u32_e32 v1, v7, v6
	v_add_u32_e32 v14, v1, v8
	v_add_u32_e32 v15, v14, v9
	s_waitcnt lgkmcnt(1)
	v_add_u32_e32 v10, v15, v2
	v_add_u32_e32 v11, v10, v3
	;; [unrolled: 1-line block ×4, first 2 shown]
	s_waitcnt lgkmcnt(0)
	v_add_u32_e32 v16, v13, v18
	v_add_u32_e32 v17, v16, v19
	v_add_u32_e32 v21, v20, v21
	v_cmp_gt_u32_e64 s[20:21], 64, v0
	s_barrier
	ds_write_b32 v21, v17
	s_waitcnt lgkmcnt(0)
	s_barrier
	s_and_saveexec_b64 s[22:23], s[20:21]
	s_cbranch_execz .LBB524_22
; %bb.21:
	v_lshlrev_b32_e32 v21, 1, v0
	v_lshrrev_b32_e32 v22, 4, v0
	v_add_lshl_u32 v21, v22, v21, 2
	ds_read2_b32 v[22:23], v21 offset1:1
	v_mbcnt_lo_u32_b32 v24, -1, 0
	v_mbcnt_hi_u32_b32 v24, -1, v24
	v_and_b32_e32 v25, 15, v24
	v_cmp_ne_u32_e64 s[20:21], 0, v25
	s_waitcnt lgkmcnt(0)
	v_add_u32_e32 v23, v23, v22
	; wave barrier
	s_nop 1
	v_mov_b32_dpp v26, v23 row_shr:1 row_mask:0xf bank_mask:0xf
	v_cndmask_b32_e64 v26, 0, v26, s[20:21]
	v_add_u32_e32 v23, v26, v23
	v_cmp_lt_u32_e64 s[20:21], 1, v25
	s_nop 0
	v_mov_b32_dpp v26, v23 row_shr:2 row_mask:0xf bank_mask:0xf
	v_cndmask_b32_e64 v26, 0, v26, s[20:21]
	v_add_u32_e32 v23, v23, v26
	v_cmp_lt_u32_e64 s[20:21], 3, v25
	s_nop 0
	v_mov_b32_dpp v26, v23 row_shr:4 row_mask:0xf bank_mask:0xf
	v_cndmask_b32_e64 v26, 0, v26, s[20:21]
	v_add_u32_e32 v23, v23, v26
	v_cmp_lt_u32_e64 s[20:21], 7, v25
	s_nop 0
	v_mov_b32_dpp v26, v23 row_shr:8 row_mask:0xf bank_mask:0xf
	v_cndmask_b32_e64 v25, 0, v26, s[20:21]
	v_add_u32_e32 v23, v23, v25
	v_bfe_i32 v26, v24, 4, 1
	v_cmp_lt_u32_e64 s[20:21], 31, v24
	v_mov_b32_dpp v25, v23 row_bcast:15 row_mask:0xf bank_mask:0xf
	v_and_b32_e32 v25, v26, v25
	v_add_u32_e32 v23, v23, v25
	v_and_b32_e32 v26, 64, v24
	s_nop 0
	v_mov_b32_dpp v25, v23 row_bcast:31 row_mask:0xf bank_mask:0xf
	v_cndmask_b32_e64 v25, 0, v25, s[20:21]
	v_add_u32_e32 v23, v23, v25
	v_add_u32_e32 v25, -1, v24
	v_cmp_lt_i32_e64 s[20:21], v25, v26
	v_cndmask_b32_e64 v24, v25, v24, s[20:21]
	v_lshlrev_b32_e32 v24, 2, v24
	ds_bpermute_b32 v23, v24, v23
	v_cmp_eq_u32_e64 s[20:21], 0, v0
	s_waitcnt lgkmcnt(0)
	v_add_u32_e32 v22, v23, v22
	v_cndmask_b32_e64 v22, v22, v17, s[20:21]
	ds_write_b32 v21, v22
	; wave barrier
	ds_read_b32 v23, v21 offset:4
	s_waitcnt lgkmcnt(0)
	v_add_u32_e32 v22, v23, v22
	ds_write_b32 v21, v22 offset:4
.LBB524_22:
	s_or_b64 exec, exec, s[22:23]
	s_load_dwordx2 s[20:21], s[4:5], 0x18
	v_cmp_ne_u32_e64 s[4:5], 0, v0
	v_mov_b32_e32 v22, v17
	s_waitcnt lgkmcnt(0)
	s_barrier
	s_and_saveexec_b64 s[22:23], s[4:5]
	s_cbranch_execz .LBB524_24
; %bb.23:
	v_add_u32_e32 v21, -1, v0
	v_lshrrev_b32_e32 v22, 5, v21
	v_add_lshl_u32 v21, v22, v21, 2
	ds_read_b32 v22, v21
.LBB524_24:
	s_or_b64 exec, exec, s[22:23]
	v_mul_u32_u24_e32 v21, 36, v0
	v_mov_b32_e32 v0, v6
	s_and_saveexec_b64 s[22:23], s[4:5]
	s_cbranch_execz .LBB524_26
; %bb.25:
	s_waitcnt lgkmcnt(0)
	v_add_u32_e32 v0, v22, v6
	v_add_u32_e32 v1, v0, v7
	;; [unrolled: 1-line block ×10, first 2 shown]
	;;#ASMSTART
	;;#ASMEND
.LBB524_26:
	s_or_b64 exec, exec, s[22:23]
	v_add_u32_e32 v2, v20, v21
	s_waitcnt lgkmcnt(0)
	s_barrier
	ds_write2_b64 v2, v[0:1], v[14:15] offset1:1
	ds_write2_b64 v2, v[10:11], v[12:13] offset0:2 offset1:3
	ds_write_b64 v2, v[16:17] offset:32
	s_waitcnt lgkmcnt(0)
	s_barrier
	ds_read2st64_b32 v[8:9], v20 offset0:2 offset1:4
	ds_read2st64_b32 v[6:7], v20 offset0:6 offset1:8
	;; [unrolled: 1-line block ×4, first 2 shown]
	ds_read_b32 v10, v20 offset:4608
	v_mov_b32_e32 v1, s21
	v_add_co_u32_e64 v0, s[4:5], s20, v20
	v_addc_co_u32_e64 v1, s[4:5], 0, v1, s[4:5]
	s_and_saveexec_b64 s[4:5], vcc
	s_cbranch_execnz .LBB524_37
; %bb.27:
	s_or_b64 exec, exec, s[4:5]
	s_and_saveexec_b64 s[4:5], s[0:1]
	s_cbranch_execnz .LBB524_38
.LBB524_28:
	s_or_b64 exec, exec, s[4:5]
	s_and_saveexec_b64 s[0:1], s[2:3]
	s_cbranch_execnz .LBB524_39
.LBB524_29:
	s_or_b64 exec, exec, s[0:1]
	s_and_saveexec_b64 s[0:1], s[18:19]
	s_cbranch_execnz .LBB524_40
.LBB524_30:
	s_or_b64 exec, exec, s[0:1]
	s_and_saveexec_b64 s[0:1], s[6:7]
	s_cbranch_execnz .LBB524_41
.LBB524_31:
	s_or_b64 exec, exec, s[0:1]
	s_and_saveexec_b64 s[0:1], s[8:9]
	s_cbranch_execnz .LBB524_42
.LBB524_32:
	s_or_b64 exec, exec, s[0:1]
	s_and_saveexec_b64 s[0:1], s[10:11]
	s_cbranch_execnz .LBB524_43
.LBB524_33:
	s_or_b64 exec, exec, s[0:1]
	s_and_saveexec_b64 s[0:1], s[12:13]
	s_cbranch_execnz .LBB524_44
.LBB524_34:
	s_or_b64 exec, exec, s[0:1]
	s_and_saveexec_b64 s[0:1], s[14:15]
	s_cbranch_execnz .LBB524_45
.LBB524_35:
	s_or_b64 exec, exec, s[0:1]
	s_and_saveexec_b64 s[0:1], s[16:17]
	s_cbranch_execnz .LBB524_46
.LBB524_36:
	s_endpgm
.LBB524_37:
	ds_read_b32 v11, v20
	s_waitcnt lgkmcnt(0)
	global_store_dword v[0:1], v11, off
	s_or_b64 exec, exec, s[4:5]
	s_and_saveexec_b64 s[4:5], s[0:1]
	s_cbranch_execz .LBB524_28
.LBB524_38:
	s_waitcnt lgkmcnt(4)
	global_store_dword v[0:1], v8, off offset:512
	s_or_b64 exec, exec, s[4:5]
	s_and_saveexec_b64 s[0:1], s[2:3]
	s_cbranch_execz .LBB524_29
.LBB524_39:
	s_waitcnt lgkmcnt(4)
	global_store_dword v[0:1], v9, off offset:1024
	s_or_b64 exec, exec, s[0:1]
	s_and_saveexec_b64 s[0:1], s[18:19]
	s_cbranch_execz .LBB524_30
.LBB524_40:
	s_waitcnt lgkmcnt(3)
	global_store_dword v[0:1], v6, off offset:1536
	s_or_b64 exec, exec, s[0:1]
	s_and_saveexec_b64 s[0:1], s[6:7]
	s_cbranch_execz .LBB524_31
.LBB524_41:
	s_waitcnt lgkmcnt(3)
	global_store_dword v[0:1], v7, off offset:2048
	s_or_b64 exec, exec, s[0:1]
	s_and_saveexec_b64 s[0:1], s[8:9]
	s_cbranch_execz .LBB524_32
.LBB524_42:
	s_waitcnt lgkmcnt(2)
	global_store_dword v[0:1], v4, off offset:2560
	s_or_b64 exec, exec, s[0:1]
	s_and_saveexec_b64 s[0:1], s[10:11]
	s_cbranch_execz .LBB524_33
.LBB524_43:
	s_waitcnt lgkmcnt(2)
	global_store_dword v[0:1], v5, off offset:3072
	s_or_b64 exec, exec, s[0:1]
	s_and_saveexec_b64 s[0:1], s[12:13]
	s_cbranch_execz .LBB524_34
.LBB524_44:
	s_waitcnt lgkmcnt(1)
	global_store_dword v[0:1], v2, off offset:3584
	s_or_b64 exec, exec, s[0:1]
	s_and_saveexec_b64 s[0:1], s[14:15]
	s_cbranch_execz .LBB524_35
.LBB524_45:
	s_waitcnt lgkmcnt(2)
	v_add_co_u32_e32 v4, vcc, 0x1000, v0
	v_addc_co_u32_e32 v5, vcc, 0, v1, vcc
	s_waitcnt lgkmcnt(1)
	global_store_dword v[4:5], v3, off
	s_or_b64 exec, exec, s[0:1]
	s_and_saveexec_b64 s[0:1], s[16:17]
	s_cbranch_execz .LBB524_36
.LBB524_46:
	v_add_co_u32_e32 v0, vcc, 0x1000, v0
	v_addc_co_u32_e32 v1, vcc, 0, v1, vcc
	s_waitcnt lgkmcnt(0)
	global_store_dword v[0:1], v10, off offset:512
	s_endpgm
	.section	.rodata,"a",@progbits
	.p2align	6, 0x0
	.amdhsa_kernel _ZN7rocprim17ROCPRIM_400000_NS6detail17trampoline_kernelINS0_14default_configENS1_20scan_config_selectorIiEEZZNS1_9scan_implILNS1_25lookback_scan_determinismE0ELb0ELb0ES3_N6thrust23THRUST_200600_302600_NS6detail15normal_iteratorINS9_10device_ptrIiEEEESE_iNS9_4plusIiEEiEEDaPvRmT3_T4_T5_mT6_P12ihipStream_tbENKUlT_T0_E_clISt17integral_constantIbLb0EESU_EEDaSP_SQ_EUlSP_E0_NS1_11comp_targetILNS1_3genE4ELNS1_11target_archE910ELNS1_3gpuE8ELNS1_3repE0EEENS1_30default_config_static_selectorELNS0_4arch9wavefront6targetE1EEEvT1_
		.amdhsa_group_segment_fixed_size 5120
		.amdhsa_private_segment_fixed_size 0
		.amdhsa_kernarg_size 32
		.amdhsa_user_sgpr_count 6
		.amdhsa_user_sgpr_private_segment_buffer 1
		.amdhsa_user_sgpr_dispatch_ptr 0
		.amdhsa_user_sgpr_queue_ptr 0
		.amdhsa_user_sgpr_kernarg_segment_ptr 1
		.amdhsa_user_sgpr_dispatch_id 0
		.amdhsa_user_sgpr_flat_scratch_init 0
		.amdhsa_user_sgpr_kernarg_preload_length 0
		.amdhsa_user_sgpr_kernarg_preload_offset 0
		.amdhsa_user_sgpr_private_segment_size 0
		.amdhsa_uses_dynamic_stack 0
		.amdhsa_system_sgpr_private_segment_wavefront_offset 0
		.amdhsa_system_sgpr_workgroup_id_x 1
		.amdhsa_system_sgpr_workgroup_id_y 0
		.amdhsa_system_sgpr_workgroup_id_z 0
		.amdhsa_system_sgpr_workgroup_info 0
		.amdhsa_system_vgpr_workitem_id 0
		.amdhsa_next_free_vgpr 27
		.amdhsa_next_free_sgpr 24
		.amdhsa_accum_offset 28
		.amdhsa_reserve_vcc 1
		.amdhsa_reserve_flat_scratch 0
		.amdhsa_float_round_mode_32 0
		.amdhsa_float_round_mode_16_64 0
		.amdhsa_float_denorm_mode_32 3
		.amdhsa_float_denorm_mode_16_64 3
		.amdhsa_dx10_clamp 1
		.amdhsa_ieee_mode 1
		.amdhsa_fp16_overflow 0
		.amdhsa_tg_split 0
		.amdhsa_exception_fp_ieee_invalid_op 0
		.amdhsa_exception_fp_denorm_src 0
		.amdhsa_exception_fp_ieee_div_zero 0
		.amdhsa_exception_fp_ieee_overflow 0
		.amdhsa_exception_fp_ieee_underflow 0
		.amdhsa_exception_fp_ieee_inexact 0
		.amdhsa_exception_int_div_zero 0
	.end_amdhsa_kernel
	.section	.text._ZN7rocprim17ROCPRIM_400000_NS6detail17trampoline_kernelINS0_14default_configENS1_20scan_config_selectorIiEEZZNS1_9scan_implILNS1_25lookback_scan_determinismE0ELb0ELb0ES3_N6thrust23THRUST_200600_302600_NS6detail15normal_iteratorINS9_10device_ptrIiEEEESE_iNS9_4plusIiEEiEEDaPvRmT3_T4_T5_mT6_P12ihipStream_tbENKUlT_T0_E_clISt17integral_constantIbLb0EESU_EEDaSP_SQ_EUlSP_E0_NS1_11comp_targetILNS1_3genE4ELNS1_11target_archE910ELNS1_3gpuE8ELNS1_3repE0EEENS1_30default_config_static_selectorELNS0_4arch9wavefront6targetE1EEEvT1_,"axG",@progbits,_ZN7rocprim17ROCPRIM_400000_NS6detail17trampoline_kernelINS0_14default_configENS1_20scan_config_selectorIiEEZZNS1_9scan_implILNS1_25lookback_scan_determinismE0ELb0ELb0ES3_N6thrust23THRUST_200600_302600_NS6detail15normal_iteratorINS9_10device_ptrIiEEEESE_iNS9_4plusIiEEiEEDaPvRmT3_T4_T5_mT6_P12ihipStream_tbENKUlT_T0_E_clISt17integral_constantIbLb0EESU_EEDaSP_SQ_EUlSP_E0_NS1_11comp_targetILNS1_3genE4ELNS1_11target_archE910ELNS1_3gpuE8ELNS1_3repE0EEENS1_30default_config_static_selectorELNS0_4arch9wavefront6targetE1EEEvT1_,comdat
.Lfunc_end524:
	.size	_ZN7rocprim17ROCPRIM_400000_NS6detail17trampoline_kernelINS0_14default_configENS1_20scan_config_selectorIiEEZZNS1_9scan_implILNS1_25lookback_scan_determinismE0ELb0ELb0ES3_N6thrust23THRUST_200600_302600_NS6detail15normal_iteratorINS9_10device_ptrIiEEEESE_iNS9_4plusIiEEiEEDaPvRmT3_T4_T5_mT6_P12ihipStream_tbENKUlT_T0_E_clISt17integral_constantIbLb0EESU_EEDaSP_SQ_EUlSP_E0_NS1_11comp_targetILNS1_3genE4ELNS1_11target_archE910ELNS1_3gpuE8ELNS1_3repE0EEENS1_30default_config_static_selectorELNS0_4arch9wavefront6targetE1EEEvT1_, .Lfunc_end524-_ZN7rocprim17ROCPRIM_400000_NS6detail17trampoline_kernelINS0_14default_configENS1_20scan_config_selectorIiEEZZNS1_9scan_implILNS1_25lookback_scan_determinismE0ELb0ELb0ES3_N6thrust23THRUST_200600_302600_NS6detail15normal_iteratorINS9_10device_ptrIiEEEESE_iNS9_4plusIiEEiEEDaPvRmT3_T4_T5_mT6_P12ihipStream_tbENKUlT_T0_E_clISt17integral_constantIbLb0EESU_EEDaSP_SQ_EUlSP_E0_NS1_11comp_targetILNS1_3genE4ELNS1_11target_archE910ELNS1_3gpuE8ELNS1_3repE0EEENS1_30default_config_static_selectorELNS0_4arch9wavefront6targetE1EEEvT1_
                                        ; -- End function
	.section	.AMDGPU.csdata,"",@progbits
; Kernel info:
; codeLenInByte = 1556
; NumSgprs: 28
; NumVgprs: 27
; NumAgprs: 0
; TotalNumVgprs: 27
; ScratchSize: 0
; MemoryBound: 0
; FloatMode: 240
; IeeeMode: 1
; LDSByteSize: 5120 bytes/workgroup (compile time only)
; SGPRBlocks: 3
; VGPRBlocks: 3
; NumSGPRsForWavesPerEU: 28
; NumVGPRsForWavesPerEU: 27
; AccumOffset: 28
; Occupancy: 6
; WaveLimiterHint : 0
; COMPUTE_PGM_RSRC2:SCRATCH_EN: 0
; COMPUTE_PGM_RSRC2:USER_SGPR: 6
; COMPUTE_PGM_RSRC2:TRAP_HANDLER: 0
; COMPUTE_PGM_RSRC2:TGID_X_EN: 1
; COMPUTE_PGM_RSRC2:TGID_Y_EN: 0
; COMPUTE_PGM_RSRC2:TGID_Z_EN: 0
; COMPUTE_PGM_RSRC2:TIDIG_COMP_CNT: 0
; COMPUTE_PGM_RSRC3_GFX90A:ACCUM_OFFSET: 6
; COMPUTE_PGM_RSRC3_GFX90A:TG_SPLIT: 0
	.section	.text._ZN7rocprim17ROCPRIM_400000_NS6detail17trampoline_kernelINS0_14default_configENS1_20scan_config_selectorIiEEZZNS1_9scan_implILNS1_25lookback_scan_determinismE0ELb0ELb0ES3_N6thrust23THRUST_200600_302600_NS6detail15normal_iteratorINS9_10device_ptrIiEEEESE_iNS9_4plusIiEEiEEDaPvRmT3_T4_T5_mT6_P12ihipStream_tbENKUlT_T0_E_clISt17integral_constantIbLb0EESU_EEDaSP_SQ_EUlSP_E0_NS1_11comp_targetILNS1_3genE3ELNS1_11target_archE908ELNS1_3gpuE7ELNS1_3repE0EEENS1_30default_config_static_selectorELNS0_4arch9wavefront6targetE1EEEvT1_,"axG",@progbits,_ZN7rocprim17ROCPRIM_400000_NS6detail17trampoline_kernelINS0_14default_configENS1_20scan_config_selectorIiEEZZNS1_9scan_implILNS1_25lookback_scan_determinismE0ELb0ELb0ES3_N6thrust23THRUST_200600_302600_NS6detail15normal_iteratorINS9_10device_ptrIiEEEESE_iNS9_4plusIiEEiEEDaPvRmT3_T4_T5_mT6_P12ihipStream_tbENKUlT_T0_E_clISt17integral_constantIbLb0EESU_EEDaSP_SQ_EUlSP_E0_NS1_11comp_targetILNS1_3genE3ELNS1_11target_archE908ELNS1_3gpuE7ELNS1_3repE0EEENS1_30default_config_static_selectorELNS0_4arch9wavefront6targetE1EEEvT1_,comdat
	.protected	_ZN7rocprim17ROCPRIM_400000_NS6detail17trampoline_kernelINS0_14default_configENS1_20scan_config_selectorIiEEZZNS1_9scan_implILNS1_25lookback_scan_determinismE0ELb0ELb0ES3_N6thrust23THRUST_200600_302600_NS6detail15normal_iteratorINS9_10device_ptrIiEEEESE_iNS9_4plusIiEEiEEDaPvRmT3_T4_T5_mT6_P12ihipStream_tbENKUlT_T0_E_clISt17integral_constantIbLb0EESU_EEDaSP_SQ_EUlSP_E0_NS1_11comp_targetILNS1_3genE3ELNS1_11target_archE908ELNS1_3gpuE7ELNS1_3repE0EEENS1_30default_config_static_selectorELNS0_4arch9wavefront6targetE1EEEvT1_ ; -- Begin function _ZN7rocprim17ROCPRIM_400000_NS6detail17trampoline_kernelINS0_14default_configENS1_20scan_config_selectorIiEEZZNS1_9scan_implILNS1_25lookback_scan_determinismE0ELb0ELb0ES3_N6thrust23THRUST_200600_302600_NS6detail15normal_iteratorINS9_10device_ptrIiEEEESE_iNS9_4plusIiEEiEEDaPvRmT3_T4_T5_mT6_P12ihipStream_tbENKUlT_T0_E_clISt17integral_constantIbLb0EESU_EEDaSP_SQ_EUlSP_E0_NS1_11comp_targetILNS1_3genE3ELNS1_11target_archE908ELNS1_3gpuE7ELNS1_3repE0EEENS1_30default_config_static_selectorELNS0_4arch9wavefront6targetE1EEEvT1_
	.globl	_ZN7rocprim17ROCPRIM_400000_NS6detail17trampoline_kernelINS0_14default_configENS1_20scan_config_selectorIiEEZZNS1_9scan_implILNS1_25lookback_scan_determinismE0ELb0ELb0ES3_N6thrust23THRUST_200600_302600_NS6detail15normal_iteratorINS9_10device_ptrIiEEEESE_iNS9_4plusIiEEiEEDaPvRmT3_T4_T5_mT6_P12ihipStream_tbENKUlT_T0_E_clISt17integral_constantIbLb0EESU_EEDaSP_SQ_EUlSP_E0_NS1_11comp_targetILNS1_3genE3ELNS1_11target_archE908ELNS1_3gpuE7ELNS1_3repE0EEENS1_30default_config_static_selectorELNS0_4arch9wavefront6targetE1EEEvT1_
	.p2align	8
	.type	_ZN7rocprim17ROCPRIM_400000_NS6detail17trampoline_kernelINS0_14default_configENS1_20scan_config_selectorIiEEZZNS1_9scan_implILNS1_25lookback_scan_determinismE0ELb0ELb0ES3_N6thrust23THRUST_200600_302600_NS6detail15normal_iteratorINS9_10device_ptrIiEEEESE_iNS9_4plusIiEEiEEDaPvRmT3_T4_T5_mT6_P12ihipStream_tbENKUlT_T0_E_clISt17integral_constantIbLb0EESU_EEDaSP_SQ_EUlSP_E0_NS1_11comp_targetILNS1_3genE3ELNS1_11target_archE908ELNS1_3gpuE7ELNS1_3repE0EEENS1_30default_config_static_selectorELNS0_4arch9wavefront6targetE1EEEvT1_,@function
_ZN7rocprim17ROCPRIM_400000_NS6detail17trampoline_kernelINS0_14default_configENS1_20scan_config_selectorIiEEZZNS1_9scan_implILNS1_25lookback_scan_determinismE0ELb0ELb0ES3_N6thrust23THRUST_200600_302600_NS6detail15normal_iteratorINS9_10device_ptrIiEEEESE_iNS9_4plusIiEEiEEDaPvRmT3_T4_T5_mT6_P12ihipStream_tbENKUlT_T0_E_clISt17integral_constantIbLb0EESU_EEDaSP_SQ_EUlSP_E0_NS1_11comp_targetILNS1_3genE3ELNS1_11target_archE908ELNS1_3gpuE7ELNS1_3repE0EEENS1_30default_config_static_selectorELNS0_4arch9wavefront6targetE1EEEvT1_: ; @_ZN7rocprim17ROCPRIM_400000_NS6detail17trampoline_kernelINS0_14default_configENS1_20scan_config_selectorIiEEZZNS1_9scan_implILNS1_25lookback_scan_determinismE0ELb0ELb0ES3_N6thrust23THRUST_200600_302600_NS6detail15normal_iteratorINS9_10device_ptrIiEEEESE_iNS9_4plusIiEEiEEDaPvRmT3_T4_T5_mT6_P12ihipStream_tbENKUlT_T0_E_clISt17integral_constantIbLb0EESU_EEDaSP_SQ_EUlSP_E0_NS1_11comp_targetILNS1_3genE3ELNS1_11target_archE908ELNS1_3gpuE7ELNS1_3repE0EEENS1_30default_config_static_selectorELNS0_4arch9wavefront6targetE1EEEvT1_
; %bb.0:
	.section	.rodata,"a",@progbits
	.p2align	6, 0x0
	.amdhsa_kernel _ZN7rocprim17ROCPRIM_400000_NS6detail17trampoline_kernelINS0_14default_configENS1_20scan_config_selectorIiEEZZNS1_9scan_implILNS1_25lookback_scan_determinismE0ELb0ELb0ES3_N6thrust23THRUST_200600_302600_NS6detail15normal_iteratorINS9_10device_ptrIiEEEESE_iNS9_4plusIiEEiEEDaPvRmT3_T4_T5_mT6_P12ihipStream_tbENKUlT_T0_E_clISt17integral_constantIbLb0EESU_EEDaSP_SQ_EUlSP_E0_NS1_11comp_targetILNS1_3genE3ELNS1_11target_archE908ELNS1_3gpuE7ELNS1_3repE0EEENS1_30default_config_static_selectorELNS0_4arch9wavefront6targetE1EEEvT1_
		.amdhsa_group_segment_fixed_size 0
		.amdhsa_private_segment_fixed_size 0
		.amdhsa_kernarg_size 32
		.amdhsa_user_sgpr_count 6
		.amdhsa_user_sgpr_private_segment_buffer 1
		.amdhsa_user_sgpr_dispatch_ptr 0
		.amdhsa_user_sgpr_queue_ptr 0
		.amdhsa_user_sgpr_kernarg_segment_ptr 1
		.amdhsa_user_sgpr_dispatch_id 0
		.amdhsa_user_sgpr_flat_scratch_init 0
		.amdhsa_user_sgpr_kernarg_preload_length 0
		.amdhsa_user_sgpr_kernarg_preload_offset 0
		.amdhsa_user_sgpr_private_segment_size 0
		.amdhsa_uses_dynamic_stack 0
		.amdhsa_system_sgpr_private_segment_wavefront_offset 0
		.amdhsa_system_sgpr_workgroup_id_x 1
		.amdhsa_system_sgpr_workgroup_id_y 0
		.amdhsa_system_sgpr_workgroup_id_z 0
		.amdhsa_system_sgpr_workgroup_info 0
		.amdhsa_system_vgpr_workitem_id 0
		.amdhsa_next_free_vgpr 1
		.amdhsa_next_free_sgpr 0
		.amdhsa_accum_offset 4
		.amdhsa_reserve_vcc 0
		.amdhsa_reserve_flat_scratch 0
		.amdhsa_float_round_mode_32 0
		.amdhsa_float_round_mode_16_64 0
		.amdhsa_float_denorm_mode_32 3
		.amdhsa_float_denorm_mode_16_64 3
		.amdhsa_dx10_clamp 1
		.amdhsa_ieee_mode 1
		.amdhsa_fp16_overflow 0
		.amdhsa_tg_split 0
		.amdhsa_exception_fp_ieee_invalid_op 0
		.amdhsa_exception_fp_denorm_src 0
		.amdhsa_exception_fp_ieee_div_zero 0
		.amdhsa_exception_fp_ieee_overflow 0
		.amdhsa_exception_fp_ieee_underflow 0
		.amdhsa_exception_fp_ieee_inexact 0
		.amdhsa_exception_int_div_zero 0
	.end_amdhsa_kernel
	.section	.text._ZN7rocprim17ROCPRIM_400000_NS6detail17trampoline_kernelINS0_14default_configENS1_20scan_config_selectorIiEEZZNS1_9scan_implILNS1_25lookback_scan_determinismE0ELb0ELb0ES3_N6thrust23THRUST_200600_302600_NS6detail15normal_iteratorINS9_10device_ptrIiEEEESE_iNS9_4plusIiEEiEEDaPvRmT3_T4_T5_mT6_P12ihipStream_tbENKUlT_T0_E_clISt17integral_constantIbLb0EESU_EEDaSP_SQ_EUlSP_E0_NS1_11comp_targetILNS1_3genE3ELNS1_11target_archE908ELNS1_3gpuE7ELNS1_3repE0EEENS1_30default_config_static_selectorELNS0_4arch9wavefront6targetE1EEEvT1_,"axG",@progbits,_ZN7rocprim17ROCPRIM_400000_NS6detail17trampoline_kernelINS0_14default_configENS1_20scan_config_selectorIiEEZZNS1_9scan_implILNS1_25lookback_scan_determinismE0ELb0ELb0ES3_N6thrust23THRUST_200600_302600_NS6detail15normal_iteratorINS9_10device_ptrIiEEEESE_iNS9_4plusIiEEiEEDaPvRmT3_T4_T5_mT6_P12ihipStream_tbENKUlT_T0_E_clISt17integral_constantIbLb0EESU_EEDaSP_SQ_EUlSP_E0_NS1_11comp_targetILNS1_3genE3ELNS1_11target_archE908ELNS1_3gpuE7ELNS1_3repE0EEENS1_30default_config_static_selectorELNS0_4arch9wavefront6targetE1EEEvT1_,comdat
.Lfunc_end525:
	.size	_ZN7rocprim17ROCPRIM_400000_NS6detail17trampoline_kernelINS0_14default_configENS1_20scan_config_selectorIiEEZZNS1_9scan_implILNS1_25lookback_scan_determinismE0ELb0ELb0ES3_N6thrust23THRUST_200600_302600_NS6detail15normal_iteratorINS9_10device_ptrIiEEEESE_iNS9_4plusIiEEiEEDaPvRmT3_T4_T5_mT6_P12ihipStream_tbENKUlT_T0_E_clISt17integral_constantIbLb0EESU_EEDaSP_SQ_EUlSP_E0_NS1_11comp_targetILNS1_3genE3ELNS1_11target_archE908ELNS1_3gpuE7ELNS1_3repE0EEENS1_30default_config_static_selectorELNS0_4arch9wavefront6targetE1EEEvT1_, .Lfunc_end525-_ZN7rocprim17ROCPRIM_400000_NS6detail17trampoline_kernelINS0_14default_configENS1_20scan_config_selectorIiEEZZNS1_9scan_implILNS1_25lookback_scan_determinismE0ELb0ELb0ES3_N6thrust23THRUST_200600_302600_NS6detail15normal_iteratorINS9_10device_ptrIiEEEESE_iNS9_4plusIiEEiEEDaPvRmT3_T4_T5_mT6_P12ihipStream_tbENKUlT_T0_E_clISt17integral_constantIbLb0EESU_EEDaSP_SQ_EUlSP_E0_NS1_11comp_targetILNS1_3genE3ELNS1_11target_archE908ELNS1_3gpuE7ELNS1_3repE0EEENS1_30default_config_static_selectorELNS0_4arch9wavefront6targetE1EEEvT1_
                                        ; -- End function
	.section	.AMDGPU.csdata,"",@progbits
; Kernel info:
; codeLenInByte = 0
; NumSgprs: 4
; NumVgprs: 0
; NumAgprs: 0
; TotalNumVgprs: 0
; ScratchSize: 0
; MemoryBound: 0
; FloatMode: 240
; IeeeMode: 1
; LDSByteSize: 0 bytes/workgroup (compile time only)
; SGPRBlocks: 0
; VGPRBlocks: 0
; NumSGPRsForWavesPerEU: 4
; NumVGPRsForWavesPerEU: 1
; AccumOffset: 4
; Occupancy: 8
; WaveLimiterHint : 0
; COMPUTE_PGM_RSRC2:SCRATCH_EN: 0
; COMPUTE_PGM_RSRC2:USER_SGPR: 6
; COMPUTE_PGM_RSRC2:TRAP_HANDLER: 0
; COMPUTE_PGM_RSRC2:TGID_X_EN: 1
; COMPUTE_PGM_RSRC2:TGID_Y_EN: 0
; COMPUTE_PGM_RSRC2:TGID_Z_EN: 0
; COMPUTE_PGM_RSRC2:TIDIG_COMP_CNT: 0
; COMPUTE_PGM_RSRC3_GFX90A:ACCUM_OFFSET: 0
; COMPUTE_PGM_RSRC3_GFX90A:TG_SPLIT: 0
	.section	.text._ZN7rocprim17ROCPRIM_400000_NS6detail17trampoline_kernelINS0_14default_configENS1_20scan_config_selectorIiEEZZNS1_9scan_implILNS1_25lookback_scan_determinismE0ELb0ELb0ES3_N6thrust23THRUST_200600_302600_NS6detail15normal_iteratorINS9_10device_ptrIiEEEESE_iNS9_4plusIiEEiEEDaPvRmT3_T4_T5_mT6_P12ihipStream_tbENKUlT_T0_E_clISt17integral_constantIbLb0EESU_EEDaSP_SQ_EUlSP_E0_NS1_11comp_targetILNS1_3genE2ELNS1_11target_archE906ELNS1_3gpuE6ELNS1_3repE0EEENS1_30default_config_static_selectorELNS0_4arch9wavefront6targetE1EEEvT1_,"axG",@progbits,_ZN7rocprim17ROCPRIM_400000_NS6detail17trampoline_kernelINS0_14default_configENS1_20scan_config_selectorIiEEZZNS1_9scan_implILNS1_25lookback_scan_determinismE0ELb0ELb0ES3_N6thrust23THRUST_200600_302600_NS6detail15normal_iteratorINS9_10device_ptrIiEEEESE_iNS9_4plusIiEEiEEDaPvRmT3_T4_T5_mT6_P12ihipStream_tbENKUlT_T0_E_clISt17integral_constantIbLb0EESU_EEDaSP_SQ_EUlSP_E0_NS1_11comp_targetILNS1_3genE2ELNS1_11target_archE906ELNS1_3gpuE6ELNS1_3repE0EEENS1_30default_config_static_selectorELNS0_4arch9wavefront6targetE1EEEvT1_,comdat
	.protected	_ZN7rocprim17ROCPRIM_400000_NS6detail17trampoline_kernelINS0_14default_configENS1_20scan_config_selectorIiEEZZNS1_9scan_implILNS1_25lookback_scan_determinismE0ELb0ELb0ES3_N6thrust23THRUST_200600_302600_NS6detail15normal_iteratorINS9_10device_ptrIiEEEESE_iNS9_4plusIiEEiEEDaPvRmT3_T4_T5_mT6_P12ihipStream_tbENKUlT_T0_E_clISt17integral_constantIbLb0EESU_EEDaSP_SQ_EUlSP_E0_NS1_11comp_targetILNS1_3genE2ELNS1_11target_archE906ELNS1_3gpuE6ELNS1_3repE0EEENS1_30default_config_static_selectorELNS0_4arch9wavefront6targetE1EEEvT1_ ; -- Begin function _ZN7rocprim17ROCPRIM_400000_NS6detail17trampoline_kernelINS0_14default_configENS1_20scan_config_selectorIiEEZZNS1_9scan_implILNS1_25lookback_scan_determinismE0ELb0ELb0ES3_N6thrust23THRUST_200600_302600_NS6detail15normal_iteratorINS9_10device_ptrIiEEEESE_iNS9_4plusIiEEiEEDaPvRmT3_T4_T5_mT6_P12ihipStream_tbENKUlT_T0_E_clISt17integral_constantIbLb0EESU_EEDaSP_SQ_EUlSP_E0_NS1_11comp_targetILNS1_3genE2ELNS1_11target_archE906ELNS1_3gpuE6ELNS1_3repE0EEENS1_30default_config_static_selectorELNS0_4arch9wavefront6targetE1EEEvT1_
	.globl	_ZN7rocprim17ROCPRIM_400000_NS6detail17trampoline_kernelINS0_14default_configENS1_20scan_config_selectorIiEEZZNS1_9scan_implILNS1_25lookback_scan_determinismE0ELb0ELb0ES3_N6thrust23THRUST_200600_302600_NS6detail15normal_iteratorINS9_10device_ptrIiEEEESE_iNS9_4plusIiEEiEEDaPvRmT3_T4_T5_mT6_P12ihipStream_tbENKUlT_T0_E_clISt17integral_constantIbLb0EESU_EEDaSP_SQ_EUlSP_E0_NS1_11comp_targetILNS1_3genE2ELNS1_11target_archE906ELNS1_3gpuE6ELNS1_3repE0EEENS1_30default_config_static_selectorELNS0_4arch9wavefront6targetE1EEEvT1_
	.p2align	8
	.type	_ZN7rocprim17ROCPRIM_400000_NS6detail17trampoline_kernelINS0_14default_configENS1_20scan_config_selectorIiEEZZNS1_9scan_implILNS1_25lookback_scan_determinismE0ELb0ELb0ES3_N6thrust23THRUST_200600_302600_NS6detail15normal_iteratorINS9_10device_ptrIiEEEESE_iNS9_4plusIiEEiEEDaPvRmT3_T4_T5_mT6_P12ihipStream_tbENKUlT_T0_E_clISt17integral_constantIbLb0EESU_EEDaSP_SQ_EUlSP_E0_NS1_11comp_targetILNS1_3genE2ELNS1_11target_archE906ELNS1_3gpuE6ELNS1_3repE0EEENS1_30default_config_static_selectorELNS0_4arch9wavefront6targetE1EEEvT1_,@function
_ZN7rocprim17ROCPRIM_400000_NS6detail17trampoline_kernelINS0_14default_configENS1_20scan_config_selectorIiEEZZNS1_9scan_implILNS1_25lookback_scan_determinismE0ELb0ELb0ES3_N6thrust23THRUST_200600_302600_NS6detail15normal_iteratorINS9_10device_ptrIiEEEESE_iNS9_4plusIiEEiEEDaPvRmT3_T4_T5_mT6_P12ihipStream_tbENKUlT_T0_E_clISt17integral_constantIbLb0EESU_EEDaSP_SQ_EUlSP_E0_NS1_11comp_targetILNS1_3genE2ELNS1_11target_archE906ELNS1_3gpuE6ELNS1_3repE0EEENS1_30default_config_static_selectorELNS0_4arch9wavefront6targetE1EEEvT1_: ; @_ZN7rocprim17ROCPRIM_400000_NS6detail17trampoline_kernelINS0_14default_configENS1_20scan_config_selectorIiEEZZNS1_9scan_implILNS1_25lookback_scan_determinismE0ELb0ELb0ES3_N6thrust23THRUST_200600_302600_NS6detail15normal_iteratorINS9_10device_ptrIiEEEESE_iNS9_4plusIiEEiEEDaPvRmT3_T4_T5_mT6_P12ihipStream_tbENKUlT_T0_E_clISt17integral_constantIbLb0EESU_EEDaSP_SQ_EUlSP_E0_NS1_11comp_targetILNS1_3genE2ELNS1_11target_archE906ELNS1_3gpuE6ELNS1_3repE0EEENS1_30default_config_static_selectorELNS0_4arch9wavefront6targetE1EEEvT1_
; %bb.0:
	.section	.rodata,"a",@progbits
	.p2align	6, 0x0
	.amdhsa_kernel _ZN7rocprim17ROCPRIM_400000_NS6detail17trampoline_kernelINS0_14default_configENS1_20scan_config_selectorIiEEZZNS1_9scan_implILNS1_25lookback_scan_determinismE0ELb0ELb0ES3_N6thrust23THRUST_200600_302600_NS6detail15normal_iteratorINS9_10device_ptrIiEEEESE_iNS9_4plusIiEEiEEDaPvRmT3_T4_T5_mT6_P12ihipStream_tbENKUlT_T0_E_clISt17integral_constantIbLb0EESU_EEDaSP_SQ_EUlSP_E0_NS1_11comp_targetILNS1_3genE2ELNS1_11target_archE906ELNS1_3gpuE6ELNS1_3repE0EEENS1_30default_config_static_selectorELNS0_4arch9wavefront6targetE1EEEvT1_
		.amdhsa_group_segment_fixed_size 0
		.amdhsa_private_segment_fixed_size 0
		.amdhsa_kernarg_size 32
		.amdhsa_user_sgpr_count 6
		.amdhsa_user_sgpr_private_segment_buffer 1
		.amdhsa_user_sgpr_dispatch_ptr 0
		.amdhsa_user_sgpr_queue_ptr 0
		.amdhsa_user_sgpr_kernarg_segment_ptr 1
		.amdhsa_user_sgpr_dispatch_id 0
		.amdhsa_user_sgpr_flat_scratch_init 0
		.amdhsa_user_sgpr_kernarg_preload_length 0
		.amdhsa_user_sgpr_kernarg_preload_offset 0
		.amdhsa_user_sgpr_private_segment_size 0
		.amdhsa_uses_dynamic_stack 0
		.amdhsa_system_sgpr_private_segment_wavefront_offset 0
		.amdhsa_system_sgpr_workgroup_id_x 1
		.amdhsa_system_sgpr_workgroup_id_y 0
		.amdhsa_system_sgpr_workgroup_id_z 0
		.amdhsa_system_sgpr_workgroup_info 0
		.amdhsa_system_vgpr_workitem_id 0
		.amdhsa_next_free_vgpr 1
		.amdhsa_next_free_sgpr 0
		.amdhsa_accum_offset 4
		.amdhsa_reserve_vcc 0
		.amdhsa_reserve_flat_scratch 0
		.amdhsa_float_round_mode_32 0
		.amdhsa_float_round_mode_16_64 0
		.amdhsa_float_denorm_mode_32 3
		.amdhsa_float_denorm_mode_16_64 3
		.amdhsa_dx10_clamp 1
		.amdhsa_ieee_mode 1
		.amdhsa_fp16_overflow 0
		.amdhsa_tg_split 0
		.amdhsa_exception_fp_ieee_invalid_op 0
		.amdhsa_exception_fp_denorm_src 0
		.amdhsa_exception_fp_ieee_div_zero 0
		.amdhsa_exception_fp_ieee_overflow 0
		.amdhsa_exception_fp_ieee_underflow 0
		.amdhsa_exception_fp_ieee_inexact 0
		.amdhsa_exception_int_div_zero 0
	.end_amdhsa_kernel
	.section	.text._ZN7rocprim17ROCPRIM_400000_NS6detail17trampoline_kernelINS0_14default_configENS1_20scan_config_selectorIiEEZZNS1_9scan_implILNS1_25lookback_scan_determinismE0ELb0ELb0ES3_N6thrust23THRUST_200600_302600_NS6detail15normal_iteratorINS9_10device_ptrIiEEEESE_iNS9_4plusIiEEiEEDaPvRmT3_T4_T5_mT6_P12ihipStream_tbENKUlT_T0_E_clISt17integral_constantIbLb0EESU_EEDaSP_SQ_EUlSP_E0_NS1_11comp_targetILNS1_3genE2ELNS1_11target_archE906ELNS1_3gpuE6ELNS1_3repE0EEENS1_30default_config_static_selectorELNS0_4arch9wavefront6targetE1EEEvT1_,"axG",@progbits,_ZN7rocprim17ROCPRIM_400000_NS6detail17trampoline_kernelINS0_14default_configENS1_20scan_config_selectorIiEEZZNS1_9scan_implILNS1_25lookback_scan_determinismE0ELb0ELb0ES3_N6thrust23THRUST_200600_302600_NS6detail15normal_iteratorINS9_10device_ptrIiEEEESE_iNS9_4plusIiEEiEEDaPvRmT3_T4_T5_mT6_P12ihipStream_tbENKUlT_T0_E_clISt17integral_constantIbLb0EESU_EEDaSP_SQ_EUlSP_E0_NS1_11comp_targetILNS1_3genE2ELNS1_11target_archE906ELNS1_3gpuE6ELNS1_3repE0EEENS1_30default_config_static_selectorELNS0_4arch9wavefront6targetE1EEEvT1_,comdat
.Lfunc_end526:
	.size	_ZN7rocprim17ROCPRIM_400000_NS6detail17trampoline_kernelINS0_14default_configENS1_20scan_config_selectorIiEEZZNS1_9scan_implILNS1_25lookback_scan_determinismE0ELb0ELb0ES3_N6thrust23THRUST_200600_302600_NS6detail15normal_iteratorINS9_10device_ptrIiEEEESE_iNS9_4plusIiEEiEEDaPvRmT3_T4_T5_mT6_P12ihipStream_tbENKUlT_T0_E_clISt17integral_constantIbLb0EESU_EEDaSP_SQ_EUlSP_E0_NS1_11comp_targetILNS1_3genE2ELNS1_11target_archE906ELNS1_3gpuE6ELNS1_3repE0EEENS1_30default_config_static_selectorELNS0_4arch9wavefront6targetE1EEEvT1_, .Lfunc_end526-_ZN7rocprim17ROCPRIM_400000_NS6detail17trampoline_kernelINS0_14default_configENS1_20scan_config_selectorIiEEZZNS1_9scan_implILNS1_25lookback_scan_determinismE0ELb0ELb0ES3_N6thrust23THRUST_200600_302600_NS6detail15normal_iteratorINS9_10device_ptrIiEEEESE_iNS9_4plusIiEEiEEDaPvRmT3_T4_T5_mT6_P12ihipStream_tbENKUlT_T0_E_clISt17integral_constantIbLb0EESU_EEDaSP_SQ_EUlSP_E0_NS1_11comp_targetILNS1_3genE2ELNS1_11target_archE906ELNS1_3gpuE6ELNS1_3repE0EEENS1_30default_config_static_selectorELNS0_4arch9wavefront6targetE1EEEvT1_
                                        ; -- End function
	.section	.AMDGPU.csdata,"",@progbits
; Kernel info:
; codeLenInByte = 0
; NumSgprs: 4
; NumVgprs: 0
; NumAgprs: 0
; TotalNumVgprs: 0
; ScratchSize: 0
; MemoryBound: 0
; FloatMode: 240
; IeeeMode: 1
; LDSByteSize: 0 bytes/workgroup (compile time only)
; SGPRBlocks: 0
; VGPRBlocks: 0
; NumSGPRsForWavesPerEU: 4
; NumVGPRsForWavesPerEU: 1
; AccumOffset: 4
; Occupancy: 8
; WaveLimiterHint : 0
; COMPUTE_PGM_RSRC2:SCRATCH_EN: 0
; COMPUTE_PGM_RSRC2:USER_SGPR: 6
; COMPUTE_PGM_RSRC2:TRAP_HANDLER: 0
; COMPUTE_PGM_RSRC2:TGID_X_EN: 1
; COMPUTE_PGM_RSRC2:TGID_Y_EN: 0
; COMPUTE_PGM_RSRC2:TGID_Z_EN: 0
; COMPUTE_PGM_RSRC2:TIDIG_COMP_CNT: 0
; COMPUTE_PGM_RSRC3_GFX90A:ACCUM_OFFSET: 0
; COMPUTE_PGM_RSRC3_GFX90A:TG_SPLIT: 0
	.section	.text._ZN7rocprim17ROCPRIM_400000_NS6detail17trampoline_kernelINS0_14default_configENS1_20scan_config_selectorIiEEZZNS1_9scan_implILNS1_25lookback_scan_determinismE0ELb0ELb0ES3_N6thrust23THRUST_200600_302600_NS6detail15normal_iteratorINS9_10device_ptrIiEEEESE_iNS9_4plusIiEEiEEDaPvRmT3_T4_T5_mT6_P12ihipStream_tbENKUlT_T0_E_clISt17integral_constantIbLb0EESU_EEDaSP_SQ_EUlSP_E0_NS1_11comp_targetILNS1_3genE10ELNS1_11target_archE1201ELNS1_3gpuE5ELNS1_3repE0EEENS1_30default_config_static_selectorELNS0_4arch9wavefront6targetE1EEEvT1_,"axG",@progbits,_ZN7rocprim17ROCPRIM_400000_NS6detail17trampoline_kernelINS0_14default_configENS1_20scan_config_selectorIiEEZZNS1_9scan_implILNS1_25lookback_scan_determinismE0ELb0ELb0ES3_N6thrust23THRUST_200600_302600_NS6detail15normal_iteratorINS9_10device_ptrIiEEEESE_iNS9_4plusIiEEiEEDaPvRmT3_T4_T5_mT6_P12ihipStream_tbENKUlT_T0_E_clISt17integral_constantIbLb0EESU_EEDaSP_SQ_EUlSP_E0_NS1_11comp_targetILNS1_3genE10ELNS1_11target_archE1201ELNS1_3gpuE5ELNS1_3repE0EEENS1_30default_config_static_selectorELNS0_4arch9wavefront6targetE1EEEvT1_,comdat
	.protected	_ZN7rocprim17ROCPRIM_400000_NS6detail17trampoline_kernelINS0_14default_configENS1_20scan_config_selectorIiEEZZNS1_9scan_implILNS1_25lookback_scan_determinismE0ELb0ELb0ES3_N6thrust23THRUST_200600_302600_NS6detail15normal_iteratorINS9_10device_ptrIiEEEESE_iNS9_4plusIiEEiEEDaPvRmT3_T4_T5_mT6_P12ihipStream_tbENKUlT_T0_E_clISt17integral_constantIbLb0EESU_EEDaSP_SQ_EUlSP_E0_NS1_11comp_targetILNS1_3genE10ELNS1_11target_archE1201ELNS1_3gpuE5ELNS1_3repE0EEENS1_30default_config_static_selectorELNS0_4arch9wavefront6targetE1EEEvT1_ ; -- Begin function _ZN7rocprim17ROCPRIM_400000_NS6detail17trampoline_kernelINS0_14default_configENS1_20scan_config_selectorIiEEZZNS1_9scan_implILNS1_25lookback_scan_determinismE0ELb0ELb0ES3_N6thrust23THRUST_200600_302600_NS6detail15normal_iteratorINS9_10device_ptrIiEEEESE_iNS9_4plusIiEEiEEDaPvRmT3_T4_T5_mT6_P12ihipStream_tbENKUlT_T0_E_clISt17integral_constantIbLb0EESU_EEDaSP_SQ_EUlSP_E0_NS1_11comp_targetILNS1_3genE10ELNS1_11target_archE1201ELNS1_3gpuE5ELNS1_3repE0EEENS1_30default_config_static_selectorELNS0_4arch9wavefront6targetE1EEEvT1_
	.globl	_ZN7rocprim17ROCPRIM_400000_NS6detail17trampoline_kernelINS0_14default_configENS1_20scan_config_selectorIiEEZZNS1_9scan_implILNS1_25lookback_scan_determinismE0ELb0ELb0ES3_N6thrust23THRUST_200600_302600_NS6detail15normal_iteratorINS9_10device_ptrIiEEEESE_iNS9_4plusIiEEiEEDaPvRmT3_T4_T5_mT6_P12ihipStream_tbENKUlT_T0_E_clISt17integral_constantIbLb0EESU_EEDaSP_SQ_EUlSP_E0_NS1_11comp_targetILNS1_3genE10ELNS1_11target_archE1201ELNS1_3gpuE5ELNS1_3repE0EEENS1_30default_config_static_selectorELNS0_4arch9wavefront6targetE1EEEvT1_
	.p2align	8
	.type	_ZN7rocprim17ROCPRIM_400000_NS6detail17trampoline_kernelINS0_14default_configENS1_20scan_config_selectorIiEEZZNS1_9scan_implILNS1_25lookback_scan_determinismE0ELb0ELb0ES3_N6thrust23THRUST_200600_302600_NS6detail15normal_iteratorINS9_10device_ptrIiEEEESE_iNS9_4plusIiEEiEEDaPvRmT3_T4_T5_mT6_P12ihipStream_tbENKUlT_T0_E_clISt17integral_constantIbLb0EESU_EEDaSP_SQ_EUlSP_E0_NS1_11comp_targetILNS1_3genE10ELNS1_11target_archE1201ELNS1_3gpuE5ELNS1_3repE0EEENS1_30default_config_static_selectorELNS0_4arch9wavefront6targetE1EEEvT1_,@function
_ZN7rocprim17ROCPRIM_400000_NS6detail17trampoline_kernelINS0_14default_configENS1_20scan_config_selectorIiEEZZNS1_9scan_implILNS1_25lookback_scan_determinismE0ELb0ELb0ES3_N6thrust23THRUST_200600_302600_NS6detail15normal_iteratorINS9_10device_ptrIiEEEESE_iNS9_4plusIiEEiEEDaPvRmT3_T4_T5_mT6_P12ihipStream_tbENKUlT_T0_E_clISt17integral_constantIbLb0EESU_EEDaSP_SQ_EUlSP_E0_NS1_11comp_targetILNS1_3genE10ELNS1_11target_archE1201ELNS1_3gpuE5ELNS1_3repE0EEENS1_30default_config_static_selectorELNS0_4arch9wavefront6targetE1EEEvT1_: ; @_ZN7rocprim17ROCPRIM_400000_NS6detail17trampoline_kernelINS0_14default_configENS1_20scan_config_selectorIiEEZZNS1_9scan_implILNS1_25lookback_scan_determinismE0ELb0ELb0ES3_N6thrust23THRUST_200600_302600_NS6detail15normal_iteratorINS9_10device_ptrIiEEEESE_iNS9_4plusIiEEiEEDaPvRmT3_T4_T5_mT6_P12ihipStream_tbENKUlT_T0_E_clISt17integral_constantIbLb0EESU_EEDaSP_SQ_EUlSP_E0_NS1_11comp_targetILNS1_3genE10ELNS1_11target_archE1201ELNS1_3gpuE5ELNS1_3repE0EEENS1_30default_config_static_selectorELNS0_4arch9wavefront6targetE1EEEvT1_
; %bb.0:
	.section	.rodata,"a",@progbits
	.p2align	6, 0x0
	.amdhsa_kernel _ZN7rocprim17ROCPRIM_400000_NS6detail17trampoline_kernelINS0_14default_configENS1_20scan_config_selectorIiEEZZNS1_9scan_implILNS1_25lookback_scan_determinismE0ELb0ELb0ES3_N6thrust23THRUST_200600_302600_NS6detail15normal_iteratorINS9_10device_ptrIiEEEESE_iNS9_4plusIiEEiEEDaPvRmT3_T4_T5_mT6_P12ihipStream_tbENKUlT_T0_E_clISt17integral_constantIbLb0EESU_EEDaSP_SQ_EUlSP_E0_NS1_11comp_targetILNS1_3genE10ELNS1_11target_archE1201ELNS1_3gpuE5ELNS1_3repE0EEENS1_30default_config_static_selectorELNS0_4arch9wavefront6targetE1EEEvT1_
		.amdhsa_group_segment_fixed_size 0
		.amdhsa_private_segment_fixed_size 0
		.amdhsa_kernarg_size 32
		.amdhsa_user_sgpr_count 6
		.amdhsa_user_sgpr_private_segment_buffer 1
		.amdhsa_user_sgpr_dispatch_ptr 0
		.amdhsa_user_sgpr_queue_ptr 0
		.amdhsa_user_sgpr_kernarg_segment_ptr 1
		.amdhsa_user_sgpr_dispatch_id 0
		.amdhsa_user_sgpr_flat_scratch_init 0
		.amdhsa_user_sgpr_kernarg_preload_length 0
		.amdhsa_user_sgpr_kernarg_preload_offset 0
		.amdhsa_user_sgpr_private_segment_size 0
		.amdhsa_uses_dynamic_stack 0
		.amdhsa_system_sgpr_private_segment_wavefront_offset 0
		.amdhsa_system_sgpr_workgroup_id_x 1
		.amdhsa_system_sgpr_workgroup_id_y 0
		.amdhsa_system_sgpr_workgroup_id_z 0
		.amdhsa_system_sgpr_workgroup_info 0
		.amdhsa_system_vgpr_workitem_id 0
		.amdhsa_next_free_vgpr 1
		.amdhsa_next_free_sgpr 0
		.amdhsa_accum_offset 4
		.amdhsa_reserve_vcc 0
		.amdhsa_reserve_flat_scratch 0
		.amdhsa_float_round_mode_32 0
		.amdhsa_float_round_mode_16_64 0
		.amdhsa_float_denorm_mode_32 3
		.amdhsa_float_denorm_mode_16_64 3
		.amdhsa_dx10_clamp 1
		.amdhsa_ieee_mode 1
		.amdhsa_fp16_overflow 0
		.amdhsa_tg_split 0
		.amdhsa_exception_fp_ieee_invalid_op 0
		.amdhsa_exception_fp_denorm_src 0
		.amdhsa_exception_fp_ieee_div_zero 0
		.amdhsa_exception_fp_ieee_overflow 0
		.amdhsa_exception_fp_ieee_underflow 0
		.amdhsa_exception_fp_ieee_inexact 0
		.amdhsa_exception_int_div_zero 0
	.end_amdhsa_kernel
	.section	.text._ZN7rocprim17ROCPRIM_400000_NS6detail17trampoline_kernelINS0_14default_configENS1_20scan_config_selectorIiEEZZNS1_9scan_implILNS1_25lookback_scan_determinismE0ELb0ELb0ES3_N6thrust23THRUST_200600_302600_NS6detail15normal_iteratorINS9_10device_ptrIiEEEESE_iNS9_4plusIiEEiEEDaPvRmT3_T4_T5_mT6_P12ihipStream_tbENKUlT_T0_E_clISt17integral_constantIbLb0EESU_EEDaSP_SQ_EUlSP_E0_NS1_11comp_targetILNS1_3genE10ELNS1_11target_archE1201ELNS1_3gpuE5ELNS1_3repE0EEENS1_30default_config_static_selectorELNS0_4arch9wavefront6targetE1EEEvT1_,"axG",@progbits,_ZN7rocprim17ROCPRIM_400000_NS6detail17trampoline_kernelINS0_14default_configENS1_20scan_config_selectorIiEEZZNS1_9scan_implILNS1_25lookback_scan_determinismE0ELb0ELb0ES3_N6thrust23THRUST_200600_302600_NS6detail15normal_iteratorINS9_10device_ptrIiEEEESE_iNS9_4plusIiEEiEEDaPvRmT3_T4_T5_mT6_P12ihipStream_tbENKUlT_T0_E_clISt17integral_constantIbLb0EESU_EEDaSP_SQ_EUlSP_E0_NS1_11comp_targetILNS1_3genE10ELNS1_11target_archE1201ELNS1_3gpuE5ELNS1_3repE0EEENS1_30default_config_static_selectorELNS0_4arch9wavefront6targetE1EEEvT1_,comdat
.Lfunc_end527:
	.size	_ZN7rocprim17ROCPRIM_400000_NS6detail17trampoline_kernelINS0_14default_configENS1_20scan_config_selectorIiEEZZNS1_9scan_implILNS1_25lookback_scan_determinismE0ELb0ELb0ES3_N6thrust23THRUST_200600_302600_NS6detail15normal_iteratorINS9_10device_ptrIiEEEESE_iNS9_4plusIiEEiEEDaPvRmT3_T4_T5_mT6_P12ihipStream_tbENKUlT_T0_E_clISt17integral_constantIbLb0EESU_EEDaSP_SQ_EUlSP_E0_NS1_11comp_targetILNS1_3genE10ELNS1_11target_archE1201ELNS1_3gpuE5ELNS1_3repE0EEENS1_30default_config_static_selectorELNS0_4arch9wavefront6targetE1EEEvT1_, .Lfunc_end527-_ZN7rocprim17ROCPRIM_400000_NS6detail17trampoline_kernelINS0_14default_configENS1_20scan_config_selectorIiEEZZNS1_9scan_implILNS1_25lookback_scan_determinismE0ELb0ELb0ES3_N6thrust23THRUST_200600_302600_NS6detail15normal_iteratorINS9_10device_ptrIiEEEESE_iNS9_4plusIiEEiEEDaPvRmT3_T4_T5_mT6_P12ihipStream_tbENKUlT_T0_E_clISt17integral_constantIbLb0EESU_EEDaSP_SQ_EUlSP_E0_NS1_11comp_targetILNS1_3genE10ELNS1_11target_archE1201ELNS1_3gpuE5ELNS1_3repE0EEENS1_30default_config_static_selectorELNS0_4arch9wavefront6targetE1EEEvT1_
                                        ; -- End function
	.section	.AMDGPU.csdata,"",@progbits
; Kernel info:
; codeLenInByte = 0
; NumSgprs: 4
; NumVgprs: 0
; NumAgprs: 0
; TotalNumVgprs: 0
; ScratchSize: 0
; MemoryBound: 0
; FloatMode: 240
; IeeeMode: 1
; LDSByteSize: 0 bytes/workgroup (compile time only)
; SGPRBlocks: 0
; VGPRBlocks: 0
; NumSGPRsForWavesPerEU: 4
; NumVGPRsForWavesPerEU: 1
; AccumOffset: 4
; Occupancy: 8
; WaveLimiterHint : 0
; COMPUTE_PGM_RSRC2:SCRATCH_EN: 0
; COMPUTE_PGM_RSRC2:USER_SGPR: 6
; COMPUTE_PGM_RSRC2:TRAP_HANDLER: 0
; COMPUTE_PGM_RSRC2:TGID_X_EN: 1
; COMPUTE_PGM_RSRC2:TGID_Y_EN: 0
; COMPUTE_PGM_RSRC2:TGID_Z_EN: 0
; COMPUTE_PGM_RSRC2:TIDIG_COMP_CNT: 0
; COMPUTE_PGM_RSRC3_GFX90A:ACCUM_OFFSET: 0
; COMPUTE_PGM_RSRC3_GFX90A:TG_SPLIT: 0
	.section	.text._ZN7rocprim17ROCPRIM_400000_NS6detail17trampoline_kernelINS0_14default_configENS1_20scan_config_selectorIiEEZZNS1_9scan_implILNS1_25lookback_scan_determinismE0ELb0ELb0ES3_N6thrust23THRUST_200600_302600_NS6detail15normal_iteratorINS9_10device_ptrIiEEEESE_iNS9_4plusIiEEiEEDaPvRmT3_T4_T5_mT6_P12ihipStream_tbENKUlT_T0_E_clISt17integral_constantIbLb0EESU_EEDaSP_SQ_EUlSP_E0_NS1_11comp_targetILNS1_3genE10ELNS1_11target_archE1200ELNS1_3gpuE4ELNS1_3repE0EEENS1_30default_config_static_selectorELNS0_4arch9wavefront6targetE1EEEvT1_,"axG",@progbits,_ZN7rocprim17ROCPRIM_400000_NS6detail17trampoline_kernelINS0_14default_configENS1_20scan_config_selectorIiEEZZNS1_9scan_implILNS1_25lookback_scan_determinismE0ELb0ELb0ES3_N6thrust23THRUST_200600_302600_NS6detail15normal_iteratorINS9_10device_ptrIiEEEESE_iNS9_4plusIiEEiEEDaPvRmT3_T4_T5_mT6_P12ihipStream_tbENKUlT_T0_E_clISt17integral_constantIbLb0EESU_EEDaSP_SQ_EUlSP_E0_NS1_11comp_targetILNS1_3genE10ELNS1_11target_archE1200ELNS1_3gpuE4ELNS1_3repE0EEENS1_30default_config_static_selectorELNS0_4arch9wavefront6targetE1EEEvT1_,comdat
	.protected	_ZN7rocprim17ROCPRIM_400000_NS6detail17trampoline_kernelINS0_14default_configENS1_20scan_config_selectorIiEEZZNS1_9scan_implILNS1_25lookback_scan_determinismE0ELb0ELb0ES3_N6thrust23THRUST_200600_302600_NS6detail15normal_iteratorINS9_10device_ptrIiEEEESE_iNS9_4plusIiEEiEEDaPvRmT3_T4_T5_mT6_P12ihipStream_tbENKUlT_T0_E_clISt17integral_constantIbLb0EESU_EEDaSP_SQ_EUlSP_E0_NS1_11comp_targetILNS1_3genE10ELNS1_11target_archE1200ELNS1_3gpuE4ELNS1_3repE0EEENS1_30default_config_static_selectorELNS0_4arch9wavefront6targetE1EEEvT1_ ; -- Begin function _ZN7rocprim17ROCPRIM_400000_NS6detail17trampoline_kernelINS0_14default_configENS1_20scan_config_selectorIiEEZZNS1_9scan_implILNS1_25lookback_scan_determinismE0ELb0ELb0ES3_N6thrust23THRUST_200600_302600_NS6detail15normal_iteratorINS9_10device_ptrIiEEEESE_iNS9_4plusIiEEiEEDaPvRmT3_T4_T5_mT6_P12ihipStream_tbENKUlT_T0_E_clISt17integral_constantIbLb0EESU_EEDaSP_SQ_EUlSP_E0_NS1_11comp_targetILNS1_3genE10ELNS1_11target_archE1200ELNS1_3gpuE4ELNS1_3repE0EEENS1_30default_config_static_selectorELNS0_4arch9wavefront6targetE1EEEvT1_
	.globl	_ZN7rocprim17ROCPRIM_400000_NS6detail17trampoline_kernelINS0_14default_configENS1_20scan_config_selectorIiEEZZNS1_9scan_implILNS1_25lookback_scan_determinismE0ELb0ELb0ES3_N6thrust23THRUST_200600_302600_NS6detail15normal_iteratorINS9_10device_ptrIiEEEESE_iNS9_4plusIiEEiEEDaPvRmT3_T4_T5_mT6_P12ihipStream_tbENKUlT_T0_E_clISt17integral_constantIbLb0EESU_EEDaSP_SQ_EUlSP_E0_NS1_11comp_targetILNS1_3genE10ELNS1_11target_archE1200ELNS1_3gpuE4ELNS1_3repE0EEENS1_30default_config_static_selectorELNS0_4arch9wavefront6targetE1EEEvT1_
	.p2align	8
	.type	_ZN7rocprim17ROCPRIM_400000_NS6detail17trampoline_kernelINS0_14default_configENS1_20scan_config_selectorIiEEZZNS1_9scan_implILNS1_25lookback_scan_determinismE0ELb0ELb0ES3_N6thrust23THRUST_200600_302600_NS6detail15normal_iteratorINS9_10device_ptrIiEEEESE_iNS9_4plusIiEEiEEDaPvRmT3_T4_T5_mT6_P12ihipStream_tbENKUlT_T0_E_clISt17integral_constantIbLb0EESU_EEDaSP_SQ_EUlSP_E0_NS1_11comp_targetILNS1_3genE10ELNS1_11target_archE1200ELNS1_3gpuE4ELNS1_3repE0EEENS1_30default_config_static_selectorELNS0_4arch9wavefront6targetE1EEEvT1_,@function
_ZN7rocprim17ROCPRIM_400000_NS6detail17trampoline_kernelINS0_14default_configENS1_20scan_config_selectorIiEEZZNS1_9scan_implILNS1_25lookback_scan_determinismE0ELb0ELb0ES3_N6thrust23THRUST_200600_302600_NS6detail15normal_iteratorINS9_10device_ptrIiEEEESE_iNS9_4plusIiEEiEEDaPvRmT3_T4_T5_mT6_P12ihipStream_tbENKUlT_T0_E_clISt17integral_constantIbLb0EESU_EEDaSP_SQ_EUlSP_E0_NS1_11comp_targetILNS1_3genE10ELNS1_11target_archE1200ELNS1_3gpuE4ELNS1_3repE0EEENS1_30default_config_static_selectorELNS0_4arch9wavefront6targetE1EEEvT1_: ; @_ZN7rocprim17ROCPRIM_400000_NS6detail17trampoline_kernelINS0_14default_configENS1_20scan_config_selectorIiEEZZNS1_9scan_implILNS1_25lookback_scan_determinismE0ELb0ELb0ES3_N6thrust23THRUST_200600_302600_NS6detail15normal_iteratorINS9_10device_ptrIiEEEESE_iNS9_4plusIiEEiEEDaPvRmT3_T4_T5_mT6_P12ihipStream_tbENKUlT_T0_E_clISt17integral_constantIbLb0EESU_EEDaSP_SQ_EUlSP_E0_NS1_11comp_targetILNS1_3genE10ELNS1_11target_archE1200ELNS1_3gpuE4ELNS1_3repE0EEENS1_30default_config_static_selectorELNS0_4arch9wavefront6targetE1EEEvT1_
; %bb.0:
	.section	.rodata,"a",@progbits
	.p2align	6, 0x0
	.amdhsa_kernel _ZN7rocprim17ROCPRIM_400000_NS6detail17trampoline_kernelINS0_14default_configENS1_20scan_config_selectorIiEEZZNS1_9scan_implILNS1_25lookback_scan_determinismE0ELb0ELb0ES3_N6thrust23THRUST_200600_302600_NS6detail15normal_iteratorINS9_10device_ptrIiEEEESE_iNS9_4plusIiEEiEEDaPvRmT3_T4_T5_mT6_P12ihipStream_tbENKUlT_T0_E_clISt17integral_constantIbLb0EESU_EEDaSP_SQ_EUlSP_E0_NS1_11comp_targetILNS1_3genE10ELNS1_11target_archE1200ELNS1_3gpuE4ELNS1_3repE0EEENS1_30default_config_static_selectorELNS0_4arch9wavefront6targetE1EEEvT1_
		.amdhsa_group_segment_fixed_size 0
		.amdhsa_private_segment_fixed_size 0
		.amdhsa_kernarg_size 32
		.amdhsa_user_sgpr_count 6
		.amdhsa_user_sgpr_private_segment_buffer 1
		.amdhsa_user_sgpr_dispatch_ptr 0
		.amdhsa_user_sgpr_queue_ptr 0
		.amdhsa_user_sgpr_kernarg_segment_ptr 1
		.amdhsa_user_sgpr_dispatch_id 0
		.amdhsa_user_sgpr_flat_scratch_init 0
		.amdhsa_user_sgpr_kernarg_preload_length 0
		.amdhsa_user_sgpr_kernarg_preload_offset 0
		.amdhsa_user_sgpr_private_segment_size 0
		.amdhsa_uses_dynamic_stack 0
		.amdhsa_system_sgpr_private_segment_wavefront_offset 0
		.amdhsa_system_sgpr_workgroup_id_x 1
		.amdhsa_system_sgpr_workgroup_id_y 0
		.amdhsa_system_sgpr_workgroup_id_z 0
		.amdhsa_system_sgpr_workgroup_info 0
		.amdhsa_system_vgpr_workitem_id 0
		.amdhsa_next_free_vgpr 1
		.amdhsa_next_free_sgpr 0
		.amdhsa_accum_offset 4
		.amdhsa_reserve_vcc 0
		.amdhsa_reserve_flat_scratch 0
		.amdhsa_float_round_mode_32 0
		.amdhsa_float_round_mode_16_64 0
		.amdhsa_float_denorm_mode_32 3
		.amdhsa_float_denorm_mode_16_64 3
		.amdhsa_dx10_clamp 1
		.amdhsa_ieee_mode 1
		.amdhsa_fp16_overflow 0
		.amdhsa_tg_split 0
		.amdhsa_exception_fp_ieee_invalid_op 0
		.amdhsa_exception_fp_denorm_src 0
		.amdhsa_exception_fp_ieee_div_zero 0
		.amdhsa_exception_fp_ieee_overflow 0
		.amdhsa_exception_fp_ieee_underflow 0
		.amdhsa_exception_fp_ieee_inexact 0
		.amdhsa_exception_int_div_zero 0
	.end_amdhsa_kernel
	.section	.text._ZN7rocprim17ROCPRIM_400000_NS6detail17trampoline_kernelINS0_14default_configENS1_20scan_config_selectorIiEEZZNS1_9scan_implILNS1_25lookback_scan_determinismE0ELb0ELb0ES3_N6thrust23THRUST_200600_302600_NS6detail15normal_iteratorINS9_10device_ptrIiEEEESE_iNS9_4plusIiEEiEEDaPvRmT3_T4_T5_mT6_P12ihipStream_tbENKUlT_T0_E_clISt17integral_constantIbLb0EESU_EEDaSP_SQ_EUlSP_E0_NS1_11comp_targetILNS1_3genE10ELNS1_11target_archE1200ELNS1_3gpuE4ELNS1_3repE0EEENS1_30default_config_static_selectorELNS0_4arch9wavefront6targetE1EEEvT1_,"axG",@progbits,_ZN7rocprim17ROCPRIM_400000_NS6detail17trampoline_kernelINS0_14default_configENS1_20scan_config_selectorIiEEZZNS1_9scan_implILNS1_25lookback_scan_determinismE0ELb0ELb0ES3_N6thrust23THRUST_200600_302600_NS6detail15normal_iteratorINS9_10device_ptrIiEEEESE_iNS9_4plusIiEEiEEDaPvRmT3_T4_T5_mT6_P12ihipStream_tbENKUlT_T0_E_clISt17integral_constantIbLb0EESU_EEDaSP_SQ_EUlSP_E0_NS1_11comp_targetILNS1_3genE10ELNS1_11target_archE1200ELNS1_3gpuE4ELNS1_3repE0EEENS1_30default_config_static_selectorELNS0_4arch9wavefront6targetE1EEEvT1_,comdat
.Lfunc_end528:
	.size	_ZN7rocprim17ROCPRIM_400000_NS6detail17trampoline_kernelINS0_14default_configENS1_20scan_config_selectorIiEEZZNS1_9scan_implILNS1_25lookback_scan_determinismE0ELb0ELb0ES3_N6thrust23THRUST_200600_302600_NS6detail15normal_iteratorINS9_10device_ptrIiEEEESE_iNS9_4plusIiEEiEEDaPvRmT3_T4_T5_mT6_P12ihipStream_tbENKUlT_T0_E_clISt17integral_constantIbLb0EESU_EEDaSP_SQ_EUlSP_E0_NS1_11comp_targetILNS1_3genE10ELNS1_11target_archE1200ELNS1_3gpuE4ELNS1_3repE0EEENS1_30default_config_static_selectorELNS0_4arch9wavefront6targetE1EEEvT1_, .Lfunc_end528-_ZN7rocprim17ROCPRIM_400000_NS6detail17trampoline_kernelINS0_14default_configENS1_20scan_config_selectorIiEEZZNS1_9scan_implILNS1_25lookback_scan_determinismE0ELb0ELb0ES3_N6thrust23THRUST_200600_302600_NS6detail15normal_iteratorINS9_10device_ptrIiEEEESE_iNS9_4plusIiEEiEEDaPvRmT3_T4_T5_mT6_P12ihipStream_tbENKUlT_T0_E_clISt17integral_constantIbLb0EESU_EEDaSP_SQ_EUlSP_E0_NS1_11comp_targetILNS1_3genE10ELNS1_11target_archE1200ELNS1_3gpuE4ELNS1_3repE0EEENS1_30default_config_static_selectorELNS0_4arch9wavefront6targetE1EEEvT1_
                                        ; -- End function
	.section	.AMDGPU.csdata,"",@progbits
; Kernel info:
; codeLenInByte = 0
; NumSgprs: 4
; NumVgprs: 0
; NumAgprs: 0
; TotalNumVgprs: 0
; ScratchSize: 0
; MemoryBound: 0
; FloatMode: 240
; IeeeMode: 1
; LDSByteSize: 0 bytes/workgroup (compile time only)
; SGPRBlocks: 0
; VGPRBlocks: 0
; NumSGPRsForWavesPerEU: 4
; NumVGPRsForWavesPerEU: 1
; AccumOffset: 4
; Occupancy: 8
; WaveLimiterHint : 0
; COMPUTE_PGM_RSRC2:SCRATCH_EN: 0
; COMPUTE_PGM_RSRC2:USER_SGPR: 6
; COMPUTE_PGM_RSRC2:TRAP_HANDLER: 0
; COMPUTE_PGM_RSRC2:TGID_X_EN: 1
; COMPUTE_PGM_RSRC2:TGID_Y_EN: 0
; COMPUTE_PGM_RSRC2:TGID_Z_EN: 0
; COMPUTE_PGM_RSRC2:TIDIG_COMP_CNT: 0
; COMPUTE_PGM_RSRC3_GFX90A:ACCUM_OFFSET: 0
; COMPUTE_PGM_RSRC3_GFX90A:TG_SPLIT: 0
	.section	.text._ZN7rocprim17ROCPRIM_400000_NS6detail17trampoline_kernelINS0_14default_configENS1_20scan_config_selectorIiEEZZNS1_9scan_implILNS1_25lookback_scan_determinismE0ELb0ELb0ES3_N6thrust23THRUST_200600_302600_NS6detail15normal_iteratorINS9_10device_ptrIiEEEESE_iNS9_4plusIiEEiEEDaPvRmT3_T4_T5_mT6_P12ihipStream_tbENKUlT_T0_E_clISt17integral_constantIbLb0EESU_EEDaSP_SQ_EUlSP_E0_NS1_11comp_targetILNS1_3genE9ELNS1_11target_archE1100ELNS1_3gpuE3ELNS1_3repE0EEENS1_30default_config_static_selectorELNS0_4arch9wavefront6targetE1EEEvT1_,"axG",@progbits,_ZN7rocprim17ROCPRIM_400000_NS6detail17trampoline_kernelINS0_14default_configENS1_20scan_config_selectorIiEEZZNS1_9scan_implILNS1_25lookback_scan_determinismE0ELb0ELb0ES3_N6thrust23THRUST_200600_302600_NS6detail15normal_iteratorINS9_10device_ptrIiEEEESE_iNS9_4plusIiEEiEEDaPvRmT3_T4_T5_mT6_P12ihipStream_tbENKUlT_T0_E_clISt17integral_constantIbLb0EESU_EEDaSP_SQ_EUlSP_E0_NS1_11comp_targetILNS1_3genE9ELNS1_11target_archE1100ELNS1_3gpuE3ELNS1_3repE0EEENS1_30default_config_static_selectorELNS0_4arch9wavefront6targetE1EEEvT1_,comdat
	.protected	_ZN7rocprim17ROCPRIM_400000_NS6detail17trampoline_kernelINS0_14default_configENS1_20scan_config_selectorIiEEZZNS1_9scan_implILNS1_25lookback_scan_determinismE0ELb0ELb0ES3_N6thrust23THRUST_200600_302600_NS6detail15normal_iteratorINS9_10device_ptrIiEEEESE_iNS9_4plusIiEEiEEDaPvRmT3_T4_T5_mT6_P12ihipStream_tbENKUlT_T0_E_clISt17integral_constantIbLb0EESU_EEDaSP_SQ_EUlSP_E0_NS1_11comp_targetILNS1_3genE9ELNS1_11target_archE1100ELNS1_3gpuE3ELNS1_3repE0EEENS1_30default_config_static_selectorELNS0_4arch9wavefront6targetE1EEEvT1_ ; -- Begin function _ZN7rocprim17ROCPRIM_400000_NS6detail17trampoline_kernelINS0_14default_configENS1_20scan_config_selectorIiEEZZNS1_9scan_implILNS1_25lookback_scan_determinismE0ELb0ELb0ES3_N6thrust23THRUST_200600_302600_NS6detail15normal_iteratorINS9_10device_ptrIiEEEESE_iNS9_4plusIiEEiEEDaPvRmT3_T4_T5_mT6_P12ihipStream_tbENKUlT_T0_E_clISt17integral_constantIbLb0EESU_EEDaSP_SQ_EUlSP_E0_NS1_11comp_targetILNS1_3genE9ELNS1_11target_archE1100ELNS1_3gpuE3ELNS1_3repE0EEENS1_30default_config_static_selectorELNS0_4arch9wavefront6targetE1EEEvT1_
	.globl	_ZN7rocprim17ROCPRIM_400000_NS6detail17trampoline_kernelINS0_14default_configENS1_20scan_config_selectorIiEEZZNS1_9scan_implILNS1_25lookback_scan_determinismE0ELb0ELb0ES3_N6thrust23THRUST_200600_302600_NS6detail15normal_iteratorINS9_10device_ptrIiEEEESE_iNS9_4plusIiEEiEEDaPvRmT3_T4_T5_mT6_P12ihipStream_tbENKUlT_T0_E_clISt17integral_constantIbLb0EESU_EEDaSP_SQ_EUlSP_E0_NS1_11comp_targetILNS1_3genE9ELNS1_11target_archE1100ELNS1_3gpuE3ELNS1_3repE0EEENS1_30default_config_static_selectorELNS0_4arch9wavefront6targetE1EEEvT1_
	.p2align	8
	.type	_ZN7rocprim17ROCPRIM_400000_NS6detail17trampoline_kernelINS0_14default_configENS1_20scan_config_selectorIiEEZZNS1_9scan_implILNS1_25lookback_scan_determinismE0ELb0ELb0ES3_N6thrust23THRUST_200600_302600_NS6detail15normal_iteratorINS9_10device_ptrIiEEEESE_iNS9_4plusIiEEiEEDaPvRmT3_T4_T5_mT6_P12ihipStream_tbENKUlT_T0_E_clISt17integral_constantIbLb0EESU_EEDaSP_SQ_EUlSP_E0_NS1_11comp_targetILNS1_3genE9ELNS1_11target_archE1100ELNS1_3gpuE3ELNS1_3repE0EEENS1_30default_config_static_selectorELNS0_4arch9wavefront6targetE1EEEvT1_,@function
_ZN7rocprim17ROCPRIM_400000_NS6detail17trampoline_kernelINS0_14default_configENS1_20scan_config_selectorIiEEZZNS1_9scan_implILNS1_25lookback_scan_determinismE0ELb0ELb0ES3_N6thrust23THRUST_200600_302600_NS6detail15normal_iteratorINS9_10device_ptrIiEEEESE_iNS9_4plusIiEEiEEDaPvRmT3_T4_T5_mT6_P12ihipStream_tbENKUlT_T0_E_clISt17integral_constantIbLb0EESU_EEDaSP_SQ_EUlSP_E0_NS1_11comp_targetILNS1_3genE9ELNS1_11target_archE1100ELNS1_3gpuE3ELNS1_3repE0EEENS1_30default_config_static_selectorELNS0_4arch9wavefront6targetE1EEEvT1_: ; @_ZN7rocprim17ROCPRIM_400000_NS6detail17trampoline_kernelINS0_14default_configENS1_20scan_config_selectorIiEEZZNS1_9scan_implILNS1_25lookback_scan_determinismE0ELb0ELb0ES3_N6thrust23THRUST_200600_302600_NS6detail15normal_iteratorINS9_10device_ptrIiEEEESE_iNS9_4plusIiEEiEEDaPvRmT3_T4_T5_mT6_P12ihipStream_tbENKUlT_T0_E_clISt17integral_constantIbLb0EESU_EEDaSP_SQ_EUlSP_E0_NS1_11comp_targetILNS1_3genE9ELNS1_11target_archE1100ELNS1_3gpuE3ELNS1_3repE0EEENS1_30default_config_static_selectorELNS0_4arch9wavefront6targetE1EEEvT1_
; %bb.0:
	.section	.rodata,"a",@progbits
	.p2align	6, 0x0
	.amdhsa_kernel _ZN7rocprim17ROCPRIM_400000_NS6detail17trampoline_kernelINS0_14default_configENS1_20scan_config_selectorIiEEZZNS1_9scan_implILNS1_25lookback_scan_determinismE0ELb0ELb0ES3_N6thrust23THRUST_200600_302600_NS6detail15normal_iteratorINS9_10device_ptrIiEEEESE_iNS9_4plusIiEEiEEDaPvRmT3_T4_T5_mT6_P12ihipStream_tbENKUlT_T0_E_clISt17integral_constantIbLb0EESU_EEDaSP_SQ_EUlSP_E0_NS1_11comp_targetILNS1_3genE9ELNS1_11target_archE1100ELNS1_3gpuE3ELNS1_3repE0EEENS1_30default_config_static_selectorELNS0_4arch9wavefront6targetE1EEEvT1_
		.amdhsa_group_segment_fixed_size 0
		.amdhsa_private_segment_fixed_size 0
		.amdhsa_kernarg_size 32
		.amdhsa_user_sgpr_count 6
		.amdhsa_user_sgpr_private_segment_buffer 1
		.amdhsa_user_sgpr_dispatch_ptr 0
		.amdhsa_user_sgpr_queue_ptr 0
		.amdhsa_user_sgpr_kernarg_segment_ptr 1
		.amdhsa_user_sgpr_dispatch_id 0
		.amdhsa_user_sgpr_flat_scratch_init 0
		.amdhsa_user_sgpr_kernarg_preload_length 0
		.amdhsa_user_sgpr_kernarg_preload_offset 0
		.amdhsa_user_sgpr_private_segment_size 0
		.amdhsa_uses_dynamic_stack 0
		.amdhsa_system_sgpr_private_segment_wavefront_offset 0
		.amdhsa_system_sgpr_workgroup_id_x 1
		.amdhsa_system_sgpr_workgroup_id_y 0
		.amdhsa_system_sgpr_workgroup_id_z 0
		.amdhsa_system_sgpr_workgroup_info 0
		.amdhsa_system_vgpr_workitem_id 0
		.amdhsa_next_free_vgpr 1
		.amdhsa_next_free_sgpr 0
		.amdhsa_accum_offset 4
		.amdhsa_reserve_vcc 0
		.amdhsa_reserve_flat_scratch 0
		.amdhsa_float_round_mode_32 0
		.amdhsa_float_round_mode_16_64 0
		.amdhsa_float_denorm_mode_32 3
		.amdhsa_float_denorm_mode_16_64 3
		.amdhsa_dx10_clamp 1
		.amdhsa_ieee_mode 1
		.amdhsa_fp16_overflow 0
		.amdhsa_tg_split 0
		.amdhsa_exception_fp_ieee_invalid_op 0
		.amdhsa_exception_fp_denorm_src 0
		.amdhsa_exception_fp_ieee_div_zero 0
		.amdhsa_exception_fp_ieee_overflow 0
		.amdhsa_exception_fp_ieee_underflow 0
		.amdhsa_exception_fp_ieee_inexact 0
		.amdhsa_exception_int_div_zero 0
	.end_amdhsa_kernel
	.section	.text._ZN7rocprim17ROCPRIM_400000_NS6detail17trampoline_kernelINS0_14default_configENS1_20scan_config_selectorIiEEZZNS1_9scan_implILNS1_25lookback_scan_determinismE0ELb0ELb0ES3_N6thrust23THRUST_200600_302600_NS6detail15normal_iteratorINS9_10device_ptrIiEEEESE_iNS9_4plusIiEEiEEDaPvRmT3_T4_T5_mT6_P12ihipStream_tbENKUlT_T0_E_clISt17integral_constantIbLb0EESU_EEDaSP_SQ_EUlSP_E0_NS1_11comp_targetILNS1_3genE9ELNS1_11target_archE1100ELNS1_3gpuE3ELNS1_3repE0EEENS1_30default_config_static_selectorELNS0_4arch9wavefront6targetE1EEEvT1_,"axG",@progbits,_ZN7rocprim17ROCPRIM_400000_NS6detail17trampoline_kernelINS0_14default_configENS1_20scan_config_selectorIiEEZZNS1_9scan_implILNS1_25lookback_scan_determinismE0ELb0ELb0ES3_N6thrust23THRUST_200600_302600_NS6detail15normal_iteratorINS9_10device_ptrIiEEEESE_iNS9_4plusIiEEiEEDaPvRmT3_T4_T5_mT6_P12ihipStream_tbENKUlT_T0_E_clISt17integral_constantIbLb0EESU_EEDaSP_SQ_EUlSP_E0_NS1_11comp_targetILNS1_3genE9ELNS1_11target_archE1100ELNS1_3gpuE3ELNS1_3repE0EEENS1_30default_config_static_selectorELNS0_4arch9wavefront6targetE1EEEvT1_,comdat
.Lfunc_end529:
	.size	_ZN7rocprim17ROCPRIM_400000_NS6detail17trampoline_kernelINS0_14default_configENS1_20scan_config_selectorIiEEZZNS1_9scan_implILNS1_25lookback_scan_determinismE0ELb0ELb0ES3_N6thrust23THRUST_200600_302600_NS6detail15normal_iteratorINS9_10device_ptrIiEEEESE_iNS9_4plusIiEEiEEDaPvRmT3_T4_T5_mT6_P12ihipStream_tbENKUlT_T0_E_clISt17integral_constantIbLb0EESU_EEDaSP_SQ_EUlSP_E0_NS1_11comp_targetILNS1_3genE9ELNS1_11target_archE1100ELNS1_3gpuE3ELNS1_3repE0EEENS1_30default_config_static_selectorELNS0_4arch9wavefront6targetE1EEEvT1_, .Lfunc_end529-_ZN7rocprim17ROCPRIM_400000_NS6detail17trampoline_kernelINS0_14default_configENS1_20scan_config_selectorIiEEZZNS1_9scan_implILNS1_25lookback_scan_determinismE0ELb0ELb0ES3_N6thrust23THRUST_200600_302600_NS6detail15normal_iteratorINS9_10device_ptrIiEEEESE_iNS9_4plusIiEEiEEDaPvRmT3_T4_T5_mT6_P12ihipStream_tbENKUlT_T0_E_clISt17integral_constantIbLb0EESU_EEDaSP_SQ_EUlSP_E0_NS1_11comp_targetILNS1_3genE9ELNS1_11target_archE1100ELNS1_3gpuE3ELNS1_3repE0EEENS1_30default_config_static_selectorELNS0_4arch9wavefront6targetE1EEEvT1_
                                        ; -- End function
	.section	.AMDGPU.csdata,"",@progbits
; Kernel info:
; codeLenInByte = 0
; NumSgprs: 4
; NumVgprs: 0
; NumAgprs: 0
; TotalNumVgprs: 0
; ScratchSize: 0
; MemoryBound: 0
; FloatMode: 240
; IeeeMode: 1
; LDSByteSize: 0 bytes/workgroup (compile time only)
; SGPRBlocks: 0
; VGPRBlocks: 0
; NumSGPRsForWavesPerEU: 4
; NumVGPRsForWavesPerEU: 1
; AccumOffset: 4
; Occupancy: 8
; WaveLimiterHint : 0
; COMPUTE_PGM_RSRC2:SCRATCH_EN: 0
; COMPUTE_PGM_RSRC2:USER_SGPR: 6
; COMPUTE_PGM_RSRC2:TRAP_HANDLER: 0
; COMPUTE_PGM_RSRC2:TGID_X_EN: 1
; COMPUTE_PGM_RSRC2:TGID_Y_EN: 0
; COMPUTE_PGM_RSRC2:TGID_Z_EN: 0
; COMPUTE_PGM_RSRC2:TIDIG_COMP_CNT: 0
; COMPUTE_PGM_RSRC3_GFX90A:ACCUM_OFFSET: 0
; COMPUTE_PGM_RSRC3_GFX90A:TG_SPLIT: 0
	.section	.text._ZN7rocprim17ROCPRIM_400000_NS6detail17trampoline_kernelINS0_14default_configENS1_20scan_config_selectorIiEEZZNS1_9scan_implILNS1_25lookback_scan_determinismE0ELb0ELb0ES3_N6thrust23THRUST_200600_302600_NS6detail15normal_iteratorINS9_10device_ptrIiEEEESE_iNS9_4plusIiEEiEEDaPvRmT3_T4_T5_mT6_P12ihipStream_tbENKUlT_T0_E_clISt17integral_constantIbLb0EESU_EEDaSP_SQ_EUlSP_E0_NS1_11comp_targetILNS1_3genE8ELNS1_11target_archE1030ELNS1_3gpuE2ELNS1_3repE0EEENS1_30default_config_static_selectorELNS0_4arch9wavefront6targetE1EEEvT1_,"axG",@progbits,_ZN7rocprim17ROCPRIM_400000_NS6detail17trampoline_kernelINS0_14default_configENS1_20scan_config_selectorIiEEZZNS1_9scan_implILNS1_25lookback_scan_determinismE0ELb0ELb0ES3_N6thrust23THRUST_200600_302600_NS6detail15normal_iteratorINS9_10device_ptrIiEEEESE_iNS9_4plusIiEEiEEDaPvRmT3_T4_T5_mT6_P12ihipStream_tbENKUlT_T0_E_clISt17integral_constantIbLb0EESU_EEDaSP_SQ_EUlSP_E0_NS1_11comp_targetILNS1_3genE8ELNS1_11target_archE1030ELNS1_3gpuE2ELNS1_3repE0EEENS1_30default_config_static_selectorELNS0_4arch9wavefront6targetE1EEEvT1_,comdat
	.protected	_ZN7rocprim17ROCPRIM_400000_NS6detail17trampoline_kernelINS0_14default_configENS1_20scan_config_selectorIiEEZZNS1_9scan_implILNS1_25lookback_scan_determinismE0ELb0ELb0ES3_N6thrust23THRUST_200600_302600_NS6detail15normal_iteratorINS9_10device_ptrIiEEEESE_iNS9_4plusIiEEiEEDaPvRmT3_T4_T5_mT6_P12ihipStream_tbENKUlT_T0_E_clISt17integral_constantIbLb0EESU_EEDaSP_SQ_EUlSP_E0_NS1_11comp_targetILNS1_3genE8ELNS1_11target_archE1030ELNS1_3gpuE2ELNS1_3repE0EEENS1_30default_config_static_selectorELNS0_4arch9wavefront6targetE1EEEvT1_ ; -- Begin function _ZN7rocprim17ROCPRIM_400000_NS6detail17trampoline_kernelINS0_14default_configENS1_20scan_config_selectorIiEEZZNS1_9scan_implILNS1_25lookback_scan_determinismE0ELb0ELb0ES3_N6thrust23THRUST_200600_302600_NS6detail15normal_iteratorINS9_10device_ptrIiEEEESE_iNS9_4plusIiEEiEEDaPvRmT3_T4_T5_mT6_P12ihipStream_tbENKUlT_T0_E_clISt17integral_constantIbLb0EESU_EEDaSP_SQ_EUlSP_E0_NS1_11comp_targetILNS1_3genE8ELNS1_11target_archE1030ELNS1_3gpuE2ELNS1_3repE0EEENS1_30default_config_static_selectorELNS0_4arch9wavefront6targetE1EEEvT1_
	.globl	_ZN7rocprim17ROCPRIM_400000_NS6detail17trampoline_kernelINS0_14default_configENS1_20scan_config_selectorIiEEZZNS1_9scan_implILNS1_25lookback_scan_determinismE0ELb0ELb0ES3_N6thrust23THRUST_200600_302600_NS6detail15normal_iteratorINS9_10device_ptrIiEEEESE_iNS9_4plusIiEEiEEDaPvRmT3_T4_T5_mT6_P12ihipStream_tbENKUlT_T0_E_clISt17integral_constantIbLb0EESU_EEDaSP_SQ_EUlSP_E0_NS1_11comp_targetILNS1_3genE8ELNS1_11target_archE1030ELNS1_3gpuE2ELNS1_3repE0EEENS1_30default_config_static_selectorELNS0_4arch9wavefront6targetE1EEEvT1_
	.p2align	8
	.type	_ZN7rocprim17ROCPRIM_400000_NS6detail17trampoline_kernelINS0_14default_configENS1_20scan_config_selectorIiEEZZNS1_9scan_implILNS1_25lookback_scan_determinismE0ELb0ELb0ES3_N6thrust23THRUST_200600_302600_NS6detail15normal_iteratorINS9_10device_ptrIiEEEESE_iNS9_4plusIiEEiEEDaPvRmT3_T4_T5_mT6_P12ihipStream_tbENKUlT_T0_E_clISt17integral_constantIbLb0EESU_EEDaSP_SQ_EUlSP_E0_NS1_11comp_targetILNS1_3genE8ELNS1_11target_archE1030ELNS1_3gpuE2ELNS1_3repE0EEENS1_30default_config_static_selectorELNS0_4arch9wavefront6targetE1EEEvT1_,@function
_ZN7rocprim17ROCPRIM_400000_NS6detail17trampoline_kernelINS0_14default_configENS1_20scan_config_selectorIiEEZZNS1_9scan_implILNS1_25lookback_scan_determinismE0ELb0ELb0ES3_N6thrust23THRUST_200600_302600_NS6detail15normal_iteratorINS9_10device_ptrIiEEEESE_iNS9_4plusIiEEiEEDaPvRmT3_T4_T5_mT6_P12ihipStream_tbENKUlT_T0_E_clISt17integral_constantIbLb0EESU_EEDaSP_SQ_EUlSP_E0_NS1_11comp_targetILNS1_3genE8ELNS1_11target_archE1030ELNS1_3gpuE2ELNS1_3repE0EEENS1_30default_config_static_selectorELNS0_4arch9wavefront6targetE1EEEvT1_: ; @_ZN7rocprim17ROCPRIM_400000_NS6detail17trampoline_kernelINS0_14default_configENS1_20scan_config_selectorIiEEZZNS1_9scan_implILNS1_25lookback_scan_determinismE0ELb0ELb0ES3_N6thrust23THRUST_200600_302600_NS6detail15normal_iteratorINS9_10device_ptrIiEEEESE_iNS9_4plusIiEEiEEDaPvRmT3_T4_T5_mT6_P12ihipStream_tbENKUlT_T0_E_clISt17integral_constantIbLb0EESU_EEDaSP_SQ_EUlSP_E0_NS1_11comp_targetILNS1_3genE8ELNS1_11target_archE1030ELNS1_3gpuE2ELNS1_3repE0EEENS1_30default_config_static_selectorELNS0_4arch9wavefront6targetE1EEEvT1_
; %bb.0:
	.section	.rodata,"a",@progbits
	.p2align	6, 0x0
	.amdhsa_kernel _ZN7rocprim17ROCPRIM_400000_NS6detail17trampoline_kernelINS0_14default_configENS1_20scan_config_selectorIiEEZZNS1_9scan_implILNS1_25lookback_scan_determinismE0ELb0ELb0ES3_N6thrust23THRUST_200600_302600_NS6detail15normal_iteratorINS9_10device_ptrIiEEEESE_iNS9_4plusIiEEiEEDaPvRmT3_T4_T5_mT6_P12ihipStream_tbENKUlT_T0_E_clISt17integral_constantIbLb0EESU_EEDaSP_SQ_EUlSP_E0_NS1_11comp_targetILNS1_3genE8ELNS1_11target_archE1030ELNS1_3gpuE2ELNS1_3repE0EEENS1_30default_config_static_selectorELNS0_4arch9wavefront6targetE1EEEvT1_
		.amdhsa_group_segment_fixed_size 0
		.amdhsa_private_segment_fixed_size 0
		.amdhsa_kernarg_size 32
		.amdhsa_user_sgpr_count 6
		.amdhsa_user_sgpr_private_segment_buffer 1
		.amdhsa_user_sgpr_dispatch_ptr 0
		.amdhsa_user_sgpr_queue_ptr 0
		.amdhsa_user_sgpr_kernarg_segment_ptr 1
		.amdhsa_user_sgpr_dispatch_id 0
		.amdhsa_user_sgpr_flat_scratch_init 0
		.amdhsa_user_sgpr_kernarg_preload_length 0
		.amdhsa_user_sgpr_kernarg_preload_offset 0
		.amdhsa_user_sgpr_private_segment_size 0
		.amdhsa_uses_dynamic_stack 0
		.amdhsa_system_sgpr_private_segment_wavefront_offset 0
		.amdhsa_system_sgpr_workgroup_id_x 1
		.amdhsa_system_sgpr_workgroup_id_y 0
		.amdhsa_system_sgpr_workgroup_id_z 0
		.amdhsa_system_sgpr_workgroup_info 0
		.amdhsa_system_vgpr_workitem_id 0
		.amdhsa_next_free_vgpr 1
		.amdhsa_next_free_sgpr 0
		.amdhsa_accum_offset 4
		.amdhsa_reserve_vcc 0
		.amdhsa_reserve_flat_scratch 0
		.amdhsa_float_round_mode_32 0
		.amdhsa_float_round_mode_16_64 0
		.amdhsa_float_denorm_mode_32 3
		.amdhsa_float_denorm_mode_16_64 3
		.amdhsa_dx10_clamp 1
		.amdhsa_ieee_mode 1
		.amdhsa_fp16_overflow 0
		.amdhsa_tg_split 0
		.amdhsa_exception_fp_ieee_invalid_op 0
		.amdhsa_exception_fp_denorm_src 0
		.amdhsa_exception_fp_ieee_div_zero 0
		.amdhsa_exception_fp_ieee_overflow 0
		.amdhsa_exception_fp_ieee_underflow 0
		.amdhsa_exception_fp_ieee_inexact 0
		.amdhsa_exception_int_div_zero 0
	.end_amdhsa_kernel
	.section	.text._ZN7rocprim17ROCPRIM_400000_NS6detail17trampoline_kernelINS0_14default_configENS1_20scan_config_selectorIiEEZZNS1_9scan_implILNS1_25lookback_scan_determinismE0ELb0ELb0ES3_N6thrust23THRUST_200600_302600_NS6detail15normal_iteratorINS9_10device_ptrIiEEEESE_iNS9_4plusIiEEiEEDaPvRmT3_T4_T5_mT6_P12ihipStream_tbENKUlT_T0_E_clISt17integral_constantIbLb0EESU_EEDaSP_SQ_EUlSP_E0_NS1_11comp_targetILNS1_3genE8ELNS1_11target_archE1030ELNS1_3gpuE2ELNS1_3repE0EEENS1_30default_config_static_selectorELNS0_4arch9wavefront6targetE1EEEvT1_,"axG",@progbits,_ZN7rocprim17ROCPRIM_400000_NS6detail17trampoline_kernelINS0_14default_configENS1_20scan_config_selectorIiEEZZNS1_9scan_implILNS1_25lookback_scan_determinismE0ELb0ELb0ES3_N6thrust23THRUST_200600_302600_NS6detail15normal_iteratorINS9_10device_ptrIiEEEESE_iNS9_4plusIiEEiEEDaPvRmT3_T4_T5_mT6_P12ihipStream_tbENKUlT_T0_E_clISt17integral_constantIbLb0EESU_EEDaSP_SQ_EUlSP_E0_NS1_11comp_targetILNS1_3genE8ELNS1_11target_archE1030ELNS1_3gpuE2ELNS1_3repE0EEENS1_30default_config_static_selectorELNS0_4arch9wavefront6targetE1EEEvT1_,comdat
.Lfunc_end530:
	.size	_ZN7rocprim17ROCPRIM_400000_NS6detail17trampoline_kernelINS0_14default_configENS1_20scan_config_selectorIiEEZZNS1_9scan_implILNS1_25lookback_scan_determinismE0ELb0ELb0ES3_N6thrust23THRUST_200600_302600_NS6detail15normal_iteratorINS9_10device_ptrIiEEEESE_iNS9_4plusIiEEiEEDaPvRmT3_T4_T5_mT6_P12ihipStream_tbENKUlT_T0_E_clISt17integral_constantIbLb0EESU_EEDaSP_SQ_EUlSP_E0_NS1_11comp_targetILNS1_3genE8ELNS1_11target_archE1030ELNS1_3gpuE2ELNS1_3repE0EEENS1_30default_config_static_selectorELNS0_4arch9wavefront6targetE1EEEvT1_, .Lfunc_end530-_ZN7rocprim17ROCPRIM_400000_NS6detail17trampoline_kernelINS0_14default_configENS1_20scan_config_selectorIiEEZZNS1_9scan_implILNS1_25lookback_scan_determinismE0ELb0ELb0ES3_N6thrust23THRUST_200600_302600_NS6detail15normal_iteratorINS9_10device_ptrIiEEEESE_iNS9_4plusIiEEiEEDaPvRmT3_T4_T5_mT6_P12ihipStream_tbENKUlT_T0_E_clISt17integral_constantIbLb0EESU_EEDaSP_SQ_EUlSP_E0_NS1_11comp_targetILNS1_3genE8ELNS1_11target_archE1030ELNS1_3gpuE2ELNS1_3repE0EEENS1_30default_config_static_selectorELNS0_4arch9wavefront6targetE1EEEvT1_
                                        ; -- End function
	.section	.AMDGPU.csdata,"",@progbits
; Kernel info:
; codeLenInByte = 0
; NumSgprs: 4
; NumVgprs: 0
; NumAgprs: 0
; TotalNumVgprs: 0
; ScratchSize: 0
; MemoryBound: 0
; FloatMode: 240
; IeeeMode: 1
; LDSByteSize: 0 bytes/workgroup (compile time only)
; SGPRBlocks: 0
; VGPRBlocks: 0
; NumSGPRsForWavesPerEU: 4
; NumVGPRsForWavesPerEU: 1
; AccumOffset: 4
; Occupancy: 8
; WaveLimiterHint : 0
; COMPUTE_PGM_RSRC2:SCRATCH_EN: 0
; COMPUTE_PGM_RSRC2:USER_SGPR: 6
; COMPUTE_PGM_RSRC2:TRAP_HANDLER: 0
; COMPUTE_PGM_RSRC2:TGID_X_EN: 1
; COMPUTE_PGM_RSRC2:TGID_Y_EN: 0
; COMPUTE_PGM_RSRC2:TGID_Z_EN: 0
; COMPUTE_PGM_RSRC2:TIDIG_COMP_CNT: 0
; COMPUTE_PGM_RSRC3_GFX90A:ACCUM_OFFSET: 0
; COMPUTE_PGM_RSRC3_GFX90A:TG_SPLIT: 0
	.section	.text._ZN7rocprim17ROCPRIM_400000_NS6detail31init_lookback_scan_state_kernelINS1_19lookback_scan_stateIiLb1ELb1EEENS1_16block_id_wrapperIjLb1EEEEEvT_jT0_jPNS7_10value_typeE,"axG",@progbits,_ZN7rocprim17ROCPRIM_400000_NS6detail31init_lookback_scan_state_kernelINS1_19lookback_scan_stateIiLb1ELb1EEENS1_16block_id_wrapperIjLb1EEEEEvT_jT0_jPNS7_10value_typeE,comdat
	.protected	_ZN7rocprim17ROCPRIM_400000_NS6detail31init_lookback_scan_state_kernelINS1_19lookback_scan_stateIiLb1ELb1EEENS1_16block_id_wrapperIjLb1EEEEEvT_jT0_jPNS7_10value_typeE ; -- Begin function _ZN7rocprim17ROCPRIM_400000_NS6detail31init_lookback_scan_state_kernelINS1_19lookback_scan_stateIiLb1ELb1EEENS1_16block_id_wrapperIjLb1EEEEEvT_jT0_jPNS7_10value_typeE
	.globl	_ZN7rocprim17ROCPRIM_400000_NS6detail31init_lookback_scan_state_kernelINS1_19lookback_scan_stateIiLb1ELb1EEENS1_16block_id_wrapperIjLb1EEEEEvT_jT0_jPNS7_10value_typeE
	.p2align	8
	.type	_ZN7rocprim17ROCPRIM_400000_NS6detail31init_lookback_scan_state_kernelINS1_19lookback_scan_stateIiLb1ELb1EEENS1_16block_id_wrapperIjLb1EEEEEvT_jT0_jPNS7_10value_typeE,@function
_ZN7rocprim17ROCPRIM_400000_NS6detail31init_lookback_scan_state_kernelINS1_19lookback_scan_stateIiLb1ELb1EEENS1_16block_id_wrapperIjLb1EEEEEvT_jT0_jPNS7_10value_typeE: ; @_ZN7rocprim17ROCPRIM_400000_NS6detail31init_lookback_scan_state_kernelINS1_19lookback_scan_stateIiLb1ELb1EEENS1_16block_id_wrapperIjLb1EEEEEvT_jT0_jPNS7_10value_typeE
; %bb.0:
	s_load_dword s7, s[4:5], 0x34
	s_load_dwordx2 s[2:3], s[4:5], 0x20
	s_load_dwordx2 s[0:1], s[4:5], 0x0
	s_load_dword s10, s[4:5], 0x8
	s_waitcnt lgkmcnt(0)
	s_and_b32 s7, s7, 0xffff
	s_mul_i32 s6, s6, s7
	s_cmp_eq_u64 s[2:3], 0
	v_add_u32_e32 v0, s6, v0
	s_cbranch_scc1 .LBB531_9
; %bb.1:
	s_load_dword s8, s[4:5], 0x18
	s_mov_b32 s9, 0
	s_waitcnt lgkmcnt(0)
	s_cmp_lt_u32 s8, s10
	s_cselect_b32 s6, s8, 0
	v_cmp_eq_u32_e32 vcc, s6, v0
	s_and_saveexec_b64 s[6:7], vcc
	s_cbranch_execz .LBB531_8
; %bb.2:
	s_add_i32 s8, s8, 64
	s_lshl_b64 s[8:9], s[8:9], 3
	s_add_u32 s8, s0, s8
	s_addc_u32 s9, s1, s9
	v_mov_b32_e32 v2, 0
	global_load_dwordx2 v[4:5], v2, s[8:9] glc
	s_waitcnt vmcnt(0)
	v_and_b32_e32 v3, 0xff, v5
	v_cmp_ne_u64_e32 vcc, 0, v[2:3]
	s_cbranch_vccnz .LBB531_7
; %bb.3:
	s_mov_b32 s11, 1
.LBB531_4:                              ; =>This Loop Header: Depth=1
                                        ;     Child Loop BB531_5 Depth 2
	s_max_u32 s12, s11, 1
.LBB531_5:                              ;   Parent Loop BB531_4 Depth=1
                                        ; =>  This Inner Loop Header: Depth=2
	s_add_i32 s12, s12, -1
	s_cmp_eq_u32 s12, 0
	s_sleep 1
	s_cbranch_scc0 .LBB531_5
; %bb.6:                                ;   in Loop: Header=BB531_4 Depth=1
	global_load_dwordx2 v[4:5], v2, s[8:9] glc
	s_cmp_lt_u32 s11, 32
	s_cselect_b64 s[12:13], -1, 0
	s_cmp_lg_u64 s[12:13], 0
	s_addc_u32 s11, s11, 0
	s_waitcnt vmcnt(0)
	v_and_b32_e32 v3, 0xff, v5
	v_cmp_ne_u64_e32 vcc, 0, v[2:3]
	s_cbranch_vccz .LBB531_4
.LBB531_7:
	v_mov_b32_e32 v1, 0
	global_store_dword v1, v4, s[2:3]
.LBB531_8:
	s_or_b64 exec, exec, s[6:7]
.LBB531_9:
	v_cmp_eq_u32_e32 vcc, 0, v0
	s_and_saveexec_b64 s[2:3], vcc
	s_cbranch_execnz .LBB531_13
; %bb.10:
	s_or_b64 exec, exec, s[2:3]
	v_cmp_gt_u32_e32 vcc, s10, v0
	s_and_saveexec_b64 s[2:3], vcc
	s_cbranch_execnz .LBB531_14
.LBB531_11:
	s_or_b64 exec, exec, s[2:3]
	v_cmp_gt_u32_e32 vcc, 64, v0
	s_and_saveexec_b64 s[2:3], vcc
	s_cbranch_execnz .LBB531_15
.LBB531_12:
	s_endpgm
.LBB531_13:
	s_load_dwordx2 s[4:5], s[4:5], 0x10
	v_mov_b32_e32 v1, 0
	s_waitcnt lgkmcnt(0)
	global_store_dword v1, v1, s[4:5]
	s_or_b64 exec, exec, s[2:3]
	v_cmp_gt_u32_e32 vcc, s10, v0
	s_and_saveexec_b64 s[2:3], vcc
	s_cbranch_execz .LBB531_11
.LBB531_14:
	v_add_u32_e32 v2, 64, v0
	v_mov_b32_e32 v3, 0
	v_lshlrev_b64 v[4:5], 3, v[2:3]
	v_mov_b32_e32 v1, s1
	v_add_co_u32_e32 v4, vcc, s0, v4
	v_addc_co_u32_e32 v5, vcc, v1, v5, vcc
	v_mov_b32_e32 v2, v3
	global_store_dwordx2 v[4:5], v[2:3], off
	s_or_b64 exec, exec, s[2:3]
	v_cmp_gt_u32_e32 vcc, 64, v0
	s_and_saveexec_b64 s[2:3], vcc
	s_cbranch_execz .LBB531_12
.LBB531_15:
	v_mov_b32_e32 v1, 0
	v_lshlrev_b64 v[2:3], 3, v[0:1]
	v_mov_b32_e32 v0, s1
	v_add_co_u32_e32 v2, vcc, s0, v2
	v_addc_co_u32_e32 v3, vcc, v0, v3, vcc
	v_mov_b32_e32 v5, 0xff
	v_mov_b32_e32 v4, v1
	global_store_dwordx2 v[2:3], v[4:5], off
	s_endpgm
	.section	.rodata,"a",@progbits
	.p2align	6, 0x0
	.amdhsa_kernel _ZN7rocprim17ROCPRIM_400000_NS6detail31init_lookback_scan_state_kernelINS1_19lookback_scan_stateIiLb1ELb1EEENS1_16block_id_wrapperIjLb1EEEEEvT_jT0_jPNS7_10value_typeE
		.amdhsa_group_segment_fixed_size 0
		.amdhsa_private_segment_fixed_size 0
		.amdhsa_kernarg_size 296
		.amdhsa_user_sgpr_count 6
		.amdhsa_user_sgpr_private_segment_buffer 1
		.amdhsa_user_sgpr_dispatch_ptr 0
		.amdhsa_user_sgpr_queue_ptr 0
		.amdhsa_user_sgpr_kernarg_segment_ptr 1
		.amdhsa_user_sgpr_dispatch_id 0
		.amdhsa_user_sgpr_flat_scratch_init 0
		.amdhsa_user_sgpr_kernarg_preload_length 0
		.amdhsa_user_sgpr_kernarg_preload_offset 0
		.amdhsa_user_sgpr_private_segment_size 0
		.amdhsa_uses_dynamic_stack 0
		.amdhsa_system_sgpr_private_segment_wavefront_offset 0
		.amdhsa_system_sgpr_workgroup_id_x 1
		.amdhsa_system_sgpr_workgroup_id_y 0
		.amdhsa_system_sgpr_workgroup_id_z 0
		.amdhsa_system_sgpr_workgroup_info 0
		.amdhsa_system_vgpr_workitem_id 0
		.amdhsa_next_free_vgpr 6
		.amdhsa_next_free_sgpr 14
		.amdhsa_accum_offset 8
		.amdhsa_reserve_vcc 1
		.amdhsa_reserve_flat_scratch 0
		.amdhsa_float_round_mode_32 0
		.amdhsa_float_round_mode_16_64 0
		.amdhsa_float_denorm_mode_32 3
		.amdhsa_float_denorm_mode_16_64 3
		.amdhsa_dx10_clamp 1
		.amdhsa_ieee_mode 1
		.amdhsa_fp16_overflow 0
		.amdhsa_tg_split 0
		.amdhsa_exception_fp_ieee_invalid_op 0
		.amdhsa_exception_fp_denorm_src 0
		.amdhsa_exception_fp_ieee_div_zero 0
		.amdhsa_exception_fp_ieee_overflow 0
		.amdhsa_exception_fp_ieee_underflow 0
		.amdhsa_exception_fp_ieee_inexact 0
		.amdhsa_exception_int_div_zero 0
	.end_amdhsa_kernel
	.section	.text._ZN7rocprim17ROCPRIM_400000_NS6detail31init_lookback_scan_state_kernelINS1_19lookback_scan_stateIiLb1ELb1EEENS1_16block_id_wrapperIjLb1EEEEEvT_jT0_jPNS7_10value_typeE,"axG",@progbits,_ZN7rocprim17ROCPRIM_400000_NS6detail31init_lookback_scan_state_kernelINS1_19lookback_scan_stateIiLb1ELb1EEENS1_16block_id_wrapperIjLb1EEEEEvT_jT0_jPNS7_10value_typeE,comdat
.Lfunc_end531:
	.size	_ZN7rocprim17ROCPRIM_400000_NS6detail31init_lookback_scan_state_kernelINS1_19lookback_scan_stateIiLb1ELb1EEENS1_16block_id_wrapperIjLb1EEEEEvT_jT0_jPNS7_10value_typeE, .Lfunc_end531-_ZN7rocprim17ROCPRIM_400000_NS6detail31init_lookback_scan_state_kernelINS1_19lookback_scan_stateIiLb1ELb1EEENS1_16block_id_wrapperIjLb1EEEEEvT_jT0_jPNS7_10value_typeE
                                        ; -- End function
	.section	.AMDGPU.csdata,"",@progbits
; Kernel info:
; codeLenInByte = 420
; NumSgprs: 18
; NumVgprs: 6
; NumAgprs: 0
; TotalNumVgprs: 6
; ScratchSize: 0
; MemoryBound: 0
; FloatMode: 240
; IeeeMode: 1
; LDSByteSize: 0 bytes/workgroup (compile time only)
; SGPRBlocks: 2
; VGPRBlocks: 0
; NumSGPRsForWavesPerEU: 18
; NumVGPRsForWavesPerEU: 6
; AccumOffset: 8
; Occupancy: 8
; WaveLimiterHint : 0
; COMPUTE_PGM_RSRC2:SCRATCH_EN: 0
; COMPUTE_PGM_RSRC2:USER_SGPR: 6
; COMPUTE_PGM_RSRC2:TRAP_HANDLER: 0
; COMPUTE_PGM_RSRC2:TGID_X_EN: 1
; COMPUTE_PGM_RSRC2:TGID_Y_EN: 0
; COMPUTE_PGM_RSRC2:TGID_Z_EN: 0
; COMPUTE_PGM_RSRC2:TIDIG_COMP_CNT: 0
; COMPUTE_PGM_RSRC3_GFX90A:ACCUM_OFFSET: 1
; COMPUTE_PGM_RSRC3_GFX90A:TG_SPLIT: 0
	.section	.text._ZN7rocprim17ROCPRIM_400000_NS6detail17trampoline_kernelINS0_14default_configENS1_20scan_config_selectorIiEEZZNS1_9scan_implILNS1_25lookback_scan_determinismE0ELb0ELb0ES3_N6thrust23THRUST_200600_302600_NS6detail15normal_iteratorINS9_10device_ptrIiEEEESE_iNS9_4plusIiEEiEEDaPvRmT3_T4_T5_mT6_P12ihipStream_tbENKUlT_T0_E_clISt17integral_constantIbLb1EESU_EEDaSP_SQ_EUlSP_E_NS1_11comp_targetILNS1_3genE0ELNS1_11target_archE4294967295ELNS1_3gpuE0ELNS1_3repE0EEENS1_30default_config_static_selectorELNS0_4arch9wavefront6targetE1EEEvT1_,"axG",@progbits,_ZN7rocprim17ROCPRIM_400000_NS6detail17trampoline_kernelINS0_14default_configENS1_20scan_config_selectorIiEEZZNS1_9scan_implILNS1_25lookback_scan_determinismE0ELb0ELb0ES3_N6thrust23THRUST_200600_302600_NS6detail15normal_iteratorINS9_10device_ptrIiEEEESE_iNS9_4plusIiEEiEEDaPvRmT3_T4_T5_mT6_P12ihipStream_tbENKUlT_T0_E_clISt17integral_constantIbLb1EESU_EEDaSP_SQ_EUlSP_E_NS1_11comp_targetILNS1_3genE0ELNS1_11target_archE4294967295ELNS1_3gpuE0ELNS1_3repE0EEENS1_30default_config_static_selectorELNS0_4arch9wavefront6targetE1EEEvT1_,comdat
	.protected	_ZN7rocprim17ROCPRIM_400000_NS6detail17trampoline_kernelINS0_14default_configENS1_20scan_config_selectorIiEEZZNS1_9scan_implILNS1_25lookback_scan_determinismE0ELb0ELb0ES3_N6thrust23THRUST_200600_302600_NS6detail15normal_iteratorINS9_10device_ptrIiEEEESE_iNS9_4plusIiEEiEEDaPvRmT3_T4_T5_mT6_P12ihipStream_tbENKUlT_T0_E_clISt17integral_constantIbLb1EESU_EEDaSP_SQ_EUlSP_E_NS1_11comp_targetILNS1_3genE0ELNS1_11target_archE4294967295ELNS1_3gpuE0ELNS1_3repE0EEENS1_30default_config_static_selectorELNS0_4arch9wavefront6targetE1EEEvT1_ ; -- Begin function _ZN7rocprim17ROCPRIM_400000_NS6detail17trampoline_kernelINS0_14default_configENS1_20scan_config_selectorIiEEZZNS1_9scan_implILNS1_25lookback_scan_determinismE0ELb0ELb0ES3_N6thrust23THRUST_200600_302600_NS6detail15normal_iteratorINS9_10device_ptrIiEEEESE_iNS9_4plusIiEEiEEDaPvRmT3_T4_T5_mT6_P12ihipStream_tbENKUlT_T0_E_clISt17integral_constantIbLb1EESU_EEDaSP_SQ_EUlSP_E_NS1_11comp_targetILNS1_3genE0ELNS1_11target_archE4294967295ELNS1_3gpuE0ELNS1_3repE0EEENS1_30default_config_static_selectorELNS0_4arch9wavefront6targetE1EEEvT1_
	.globl	_ZN7rocprim17ROCPRIM_400000_NS6detail17trampoline_kernelINS0_14default_configENS1_20scan_config_selectorIiEEZZNS1_9scan_implILNS1_25lookback_scan_determinismE0ELb0ELb0ES3_N6thrust23THRUST_200600_302600_NS6detail15normal_iteratorINS9_10device_ptrIiEEEESE_iNS9_4plusIiEEiEEDaPvRmT3_T4_T5_mT6_P12ihipStream_tbENKUlT_T0_E_clISt17integral_constantIbLb1EESU_EEDaSP_SQ_EUlSP_E_NS1_11comp_targetILNS1_3genE0ELNS1_11target_archE4294967295ELNS1_3gpuE0ELNS1_3repE0EEENS1_30default_config_static_selectorELNS0_4arch9wavefront6targetE1EEEvT1_
	.p2align	8
	.type	_ZN7rocprim17ROCPRIM_400000_NS6detail17trampoline_kernelINS0_14default_configENS1_20scan_config_selectorIiEEZZNS1_9scan_implILNS1_25lookback_scan_determinismE0ELb0ELb0ES3_N6thrust23THRUST_200600_302600_NS6detail15normal_iteratorINS9_10device_ptrIiEEEESE_iNS9_4plusIiEEiEEDaPvRmT3_T4_T5_mT6_P12ihipStream_tbENKUlT_T0_E_clISt17integral_constantIbLb1EESU_EEDaSP_SQ_EUlSP_E_NS1_11comp_targetILNS1_3genE0ELNS1_11target_archE4294967295ELNS1_3gpuE0ELNS1_3repE0EEENS1_30default_config_static_selectorELNS0_4arch9wavefront6targetE1EEEvT1_,@function
_ZN7rocprim17ROCPRIM_400000_NS6detail17trampoline_kernelINS0_14default_configENS1_20scan_config_selectorIiEEZZNS1_9scan_implILNS1_25lookback_scan_determinismE0ELb0ELb0ES3_N6thrust23THRUST_200600_302600_NS6detail15normal_iteratorINS9_10device_ptrIiEEEESE_iNS9_4plusIiEEiEEDaPvRmT3_T4_T5_mT6_P12ihipStream_tbENKUlT_T0_E_clISt17integral_constantIbLb1EESU_EEDaSP_SQ_EUlSP_E_NS1_11comp_targetILNS1_3genE0ELNS1_11target_archE4294967295ELNS1_3gpuE0ELNS1_3repE0EEENS1_30default_config_static_selectorELNS0_4arch9wavefront6targetE1EEEvT1_: ; @_ZN7rocprim17ROCPRIM_400000_NS6detail17trampoline_kernelINS0_14default_configENS1_20scan_config_selectorIiEEZZNS1_9scan_implILNS1_25lookback_scan_determinismE0ELb0ELb0ES3_N6thrust23THRUST_200600_302600_NS6detail15normal_iteratorINS9_10device_ptrIiEEEESE_iNS9_4plusIiEEiEEDaPvRmT3_T4_T5_mT6_P12ihipStream_tbENKUlT_T0_E_clISt17integral_constantIbLb1EESU_EEDaSP_SQ_EUlSP_E_NS1_11comp_targetILNS1_3genE0ELNS1_11target_archE4294967295ELNS1_3gpuE0ELNS1_3repE0EEENS1_30default_config_static_selectorELNS0_4arch9wavefront6targetE1EEEvT1_
; %bb.0:
	.section	.rodata,"a",@progbits
	.p2align	6, 0x0
	.amdhsa_kernel _ZN7rocprim17ROCPRIM_400000_NS6detail17trampoline_kernelINS0_14default_configENS1_20scan_config_selectorIiEEZZNS1_9scan_implILNS1_25lookback_scan_determinismE0ELb0ELb0ES3_N6thrust23THRUST_200600_302600_NS6detail15normal_iteratorINS9_10device_ptrIiEEEESE_iNS9_4plusIiEEiEEDaPvRmT3_T4_T5_mT6_P12ihipStream_tbENKUlT_T0_E_clISt17integral_constantIbLb1EESU_EEDaSP_SQ_EUlSP_E_NS1_11comp_targetILNS1_3genE0ELNS1_11target_archE4294967295ELNS1_3gpuE0ELNS1_3repE0EEENS1_30default_config_static_selectorELNS0_4arch9wavefront6targetE1EEEvT1_
		.amdhsa_group_segment_fixed_size 0
		.amdhsa_private_segment_fixed_size 0
		.amdhsa_kernarg_size 96
		.amdhsa_user_sgpr_count 6
		.amdhsa_user_sgpr_private_segment_buffer 1
		.amdhsa_user_sgpr_dispatch_ptr 0
		.amdhsa_user_sgpr_queue_ptr 0
		.amdhsa_user_sgpr_kernarg_segment_ptr 1
		.amdhsa_user_sgpr_dispatch_id 0
		.amdhsa_user_sgpr_flat_scratch_init 0
		.amdhsa_user_sgpr_kernarg_preload_length 0
		.amdhsa_user_sgpr_kernarg_preload_offset 0
		.amdhsa_user_sgpr_private_segment_size 0
		.amdhsa_uses_dynamic_stack 0
		.amdhsa_system_sgpr_private_segment_wavefront_offset 0
		.amdhsa_system_sgpr_workgroup_id_x 1
		.amdhsa_system_sgpr_workgroup_id_y 0
		.amdhsa_system_sgpr_workgroup_id_z 0
		.amdhsa_system_sgpr_workgroup_info 0
		.amdhsa_system_vgpr_workitem_id 0
		.amdhsa_next_free_vgpr 1
		.amdhsa_next_free_sgpr 0
		.amdhsa_accum_offset 4
		.amdhsa_reserve_vcc 0
		.amdhsa_reserve_flat_scratch 0
		.amdhsa_float_round_mode_32 0
		.amdhsa_float_round_mode_16_64 0
		.amdhsa_float_denorm_mode_32 3
		.amdhsa_float_denorm_mode_16_64 3
		.amdhsa_dx10_clamp 1
		.amdhsa_ieee_mode 1
		.amdhsa_fp16_overflow 0
		.amdhsa_tg_split 0
		.amdhsa_exception_fp_ieee_invalid_op 0
		.amdhsa_exception_fp_denorm_src 0
		.amdhsa_exception_fp_ieee_div_zero 0
		.amdhsa_exception_fp_ieee_overflow 0
		.amdhsa_exception_fp_ieee_underflow 0
		.amdhsa_exception_fp_ieee_inexact 0
		.amdhsa_exception_int_div_zero 0
	.end_amdhsa_kernel
	.section	.text._ZN7rocprim17ROCPRIM_400000_NS6detail17trampoline_kernelINS0_14default_configENS1_20scan_config_selectorIiEEZZNS1_9scan_implILNS1_25lookback_scan_determinismE0ELb0ELb0ES3_N6thrust23THRUST_200600_302600_NS6detail15normal_iteratorINS9_10device_ptrIiEEEESE_iNS9_4plusIiEEiEEDaPvRmT3_T4_T5_mT6_P12ihipStream_tbENKUlT_T0_E_clISt17integral_constantIbLb1EESU_EEDaSP_SQ_EUlSP_E_NS1_11comp_targetILNS1_3genE0ELNS1_11target_archE4294967295ELNS1_3gpuE0ELNS1_3repE0EEENS1_30default_config_static_selectorELNS0_4arch9wavefront6targetE1EEEvT1_,"axG",@progbits,_ZN7rocprim17ROCPRIM_400000_NS6detail17trampoline_kernelINS0_14default_configENS1_20scan_config_selectorIiEEZZNS1_9scan_implILNS1_25lookback_scan_determinismE0ELb0ELb0ES3_N6thrust23THRUST_200600_302600_NS6detail15normal_iteratorINS9_10device_ptrIiEEEESE_iNS9_4plusIiEEiEEDaPvRmT3_T4_T5_mT6_P12ihipStream_tbENKUlT_T0_E_clISt17integral_constantIbLb1EESU_EEDaSP_SQ_EUlSP_E_NS1_11comp_targetILNS1_3genE0ELNS1_11target_archE4294967295ELNS1_3gpuE0ELNS1_3repE0EEENS1_30default_config_static_selectorELNS0_4arch9wavefront6targetE1EEEvT1_,comdat
.Lfunc_end532:
	.size	_ZN7rocprim17ROCPRIM_400000_NS6detail17trampoline_kernelINS0_14default_configENS1_20scan_config_selectorIiEEZZNS1_9scan_implILNS1_25lookback_scan_determinismE0ELb0ELb0ES3_N6thrust23THRUST_200600_302600_NS6detail15normal_iteratorINS9_10device_ptrIiEEEESE_iNS9_4plusIiEEiEEDaPvRmT3_T4_T5_mT6_P12ihipStream_tbENKUlT_T0_E_clISt17integral_constantIbLb1EESU_EEDaSP_SQ_EUlSP_E_NS1_11comp_targetILNS1_3genE0ELNS1_11target_archE4294967295ELNS1_3gpuE0ELNS1_3repE0EEENS1_30default_config_static_selectorELNS0_4arch9wavefront6targetE1EEEvT1_, .Lfunc_end532-_ZN7rocprim17ROCPRIM_400000_NS6detail17trampoline_kernelINS0_14default_configENS1_20scan_config_selectorIiEEZZNS1_9scan_implILNS1_25lookback_scan_determinismE0ELb0ELb0ES3_N6thrust23THRUST_200600_302600_NS6detail15normal_iteratorINS9_10device_ptrIiEEEESE_iNS9_4plusIiEEiEEDaPvRmT3_T4_T5_mT6_P12ihipStream_tbENKUlT_T0_E_clISt17integral_constantIbLb1EESU_EEDaSP_SQ_EUlSP_E_NS1_11comp_targetILNS1_3genE0ELNS1_11target_archE4294967295ELNS1_3gpuE0ELNS1_3repE0EEENS1_30default_config_static_selectorELNS0_4arch9wavefront6targetE1EEEvT1_
                                        ; -- End function
	.section	.AMDGPU.csdata,"",@progbits
; Kernel info:
; codeLenInByte = 0
; NumSgprs: 4
; NumVgprs: 0
; NumAgprs: 0
; TotalNumVgprs: 0
; ScratchSize: 0
; MemoryBound: 0
; FloatMode: 240
; IeeeMode: 1
; LDSByteSize: 0 bytes/workgroup (compile time only)
; SGPRBlocks: 0
; VGPRBlocks: 0
; NumSGPRsForWavesPerEU: 4
; NumVGPRsForWavesPerEU: 1
; AccumOffset: 4
; Occupancy: 8
; WaveLimiterHint : 0
; COMPUTE_PGM_RSRC2:SCRATCH_EN: 0
; COMPUTE_PGM_RSRC2:USER_SGPR: 6
; COMPUTE_PGM_RSRC2:TRAP_HANDLER: 0
; COMPUTE_PGM_RSRC2:TGID_X_EN: 1
; COMPUTE_PGM_RSRC2:TGID_Y_EN: 0
; COMPUTE_PGM_RSRC2:TGID_Z_EN: 0
; COMPUTE_PGM_RSRC2:TIDIG_COMP_CNT: 0
; COMPUTE_PGM_RSRC3_GFX90A:ACCUM_OFFSET: 0
; COMPUTE_PGM_RSRC3_GFX90A:TG_SPLIT: 0
	.section	.text._ZN7rocprim17ROCPRIM_400000_NS6detail17trampoline_kernelINS0_14default_configENS1_20scan_config_selectorIiEEZZNS1_9scan_implILNS1_25lookback_scan_determinismE0ELb0ELb0ES3_N6thrust23THRUST_200600_302600_NS6detail15normal_iteratorINS9_10device_ptrIiEEEESE_iNS9_4plusIiEEiEEDaPvRmT3_T4_T5_mT6_P12ihipStream_tbENKUlT_T0_E_clISt17integral_constantIbLb1EESU_EEDaSP_SQ_EUlSP_E_NS1_11comp_targetILNS1_3genE5ELNS1_11target_archE942ELNS1_3gpuE9ELNS1_3repE0EEENS1_30default_config_static_selectorELNS0_4arch9wavefront6targetE1EEEvT1_,"axG",@progbits,_ZN7rocprim17ROCPRIM_400000_NS6detail17trampoline_kernelINS0_14default_configENS1_20scan_config_selectorIiEEZZNS1_9scan_implILNS1_25lookback_scan_determinismE0ELb0ELb0ES3_N6thrust23THRUST_200600_302600_NS6detail15normal_iteratorINS9_10device_ptrIiEEEESE_iNS9_4plusIiEEiEEDaPvRmT3_T4_T5_mT6_P12ihipStream_tbENKUlT_T0_E_clISt17integral_constantIbLb1EESU_EEDaSP_SQ_EUlSP_E_NS1_11comp_targetILNS1_3genE5ELNS1_11target_archE942ELNS1_3gpuE9ELNS1_3repE0EEENS1_30default_config_static_selectorELNS0_4arch9wavefront6targetE1EEEvT1_,comdat
	.protected	_ZN7rocprim17ROCPRIM_400000_NS6detail17trampoline_kernelINS0_14default_configENS1_20scan_config_selectorIiEEZZNS1_9scan_implILNS1_25lookback_scan_determinismE0ELb0ELb0ES3_N6thrust23THRUST_200600_302600_NS6detail15normal_iteratorINS9_10device_ptrIiEEEESE_iNS9_4plusIiEEiEEDaPvRmT3_T4_T5_mT6_P12ihipStream_tbENKUlT_T0_E_clISt17integral_constantIbLb1EESU_EEDaSP_SQ_EUlSP_E_NS1_11comp_targetILNS1_3genE5ELNS1_11target_archE942ELNS1_3gpuE9ELNS1_3repE0EEENS1_30default_config_static_selectorELNS0_4arch9wavefront6targetE1EEEvT1_ ; -- Begin function _ZN7rocprim17ROCPRIM_400000_NS6detail17trampoline_kernelINS0_14default_configENS1_20scan_config_selectorIiEEZZNS1_9scan_implILNS1_25lookback_scan_determinismE0ELb0ELb0ES3_N6thrust23THRUST_200600_302600_NS6detail15normal_iteratorINS9_10device_ptrIiEEEESE_iNS9_4plusIiEEiEEDaPvRmT3_T4_T5_mT6_P12ihipStream_tbENKUlT_T0_E_clISt17integral_constantIbLb1EESU_EEDaSP_SQ_EUlSP_E_NS1_11comp_targetILNS1_3genE5ELNS1_11target_archE942ELNS1_3gpuE9ELNS1_3repE0EEENS1_30default_config_static_selectorELNS0_4arch9wavefront6targetE1EEEvT1_
	.globl	_ZN7rocprim17ROCPRIM_400000_NS6detail17trampoline_kernelINS0_14default_configENS1_20scan_config_selectorIiEEZZNS1_9scan_implILNS1_25lookback_scan_determinismE0ELb0ELb0ES3_N6thrust23THRUST_200600_302600_NS6detail15normal_iteratorINS9_10device_ptrIiEEEESE_iNS9_4plusIiEEiEEDaPvRmT3_T4_T5_mT6_P12ihipStream_tbENKUlT_T0_E_clISt17integral_constantIbLb1EESU_EEDaSP_SQ_EUlSP_E_NS1_11comp_targetILNS1_3genE5ELNS1_11target_archE942ELNS1_3gpuE9ELNS1_3repE0EEENS1_30default_config_static_selectorELNS0_4arch9wavefront6targetE1EEEvT1_
	.p2align	8
	.type	_ZN7rocprim17ROCPRIM_400000_NS6detail17trampoline_kernelINS0_14default_configENS1_20scan_config_selectorIiEEZZNS1_9scan_implILNS1_25lookback_scan_determinismE0ELb0ELb0ES3_N6thrust23THRUST_200600_302600_NS6detail15normal_iteratorINS9_10device_ptrIiEEEESE_iNS9_4plusIiEEiEEDaPvRmT3_T4_T5_mT6_P12ihipStream_tbENKUlT_T0_E_clISt17integral_constantIbLb1EESU_EEDaSP_SQ_EUlSP_E_NS1_11comp_targetILNS1_3genE5ELNS1_11target_archE942ELNS1_3gpuE9ELNS1_3repE0EEENS1_30default_config_static_selectorELNS0_4arch9wavefront6targetE1EEEvT1_,@function
_ZN7rocprim17ROCPRIM_400000_NS6detail17trampoline_kernelINS0_14default_configENS1_20scan_config_selectorIiEEZZNS1_9scan_implILNS1_25lookback_scan_determinismE0ELb0ELb0ES3_N6thrust23THRUST_200600_302600_NS6detail15normal_iteratorINS9_10device_ptrIiEEEESE_iNS9_4plusIiEEiEEDaPvRmT3_T4_T5_mT6_P12ihipStream_tbENKUlT_T0_E_clISt17integral_constantIbLb1EESU_EEDaSP_SQ_EUlSP_E_NS1_11comp_targetILNS1_3genE5ELNS1_11target_archE942ELNS1_3gpuE9ELNS1_3repE0EEENS1_30default_config_static_selectorELNS0_4arch9wavefront6targetE1EEEvT1_: ; @_ZN7rocprim17ROCPRIM_400000_NS6detail17trampoline_kernelINS0_14default_configENS1_20scan_config_selectorIiEEZZNS1_9scan_implILNS1_25lookback_scan_determinismE0ELb0ELb0ES3_N6thrust23THRUST_200600_302600_NS6detail15normal_iteratorINS9_10device_ptrIiEEEESE_iNS9_4plusIiEEiEEDaPvRmT3_T4_T5_mT6_P12ihipStream_tbENKUlT_T0_E_clISt17integral_constantIbLb1EESU_EEDaSP_SQ_EUlSP_E_NS1_11comp_targetILNS1_3genE5ELNS1_11target_archE942ELNS1_3gpuE9ELNS1_3repE0EEENS1_30default_config_static_selectorELNS0_4arch9wavefront6targetE1EEEvT1_
; %bb.0:
	.section	.rodata,"a",@progbits
	.p2align	6, 0x0
	.amdhsa_kernel _ZN7rocprim17ROCPRIM_400000_NS6detail17trampoline_kernelINS0_14default_configENS1_20scan_config_selectorIiEEZZNS1_9scan_implILNS1_25lookback_scan_determinismE0ELb0ELb0ES3_N6thrust23THRUST_200600_302600_NS6detail15normal_iteratorINS9_10device_ptrIiEEEESE_iNS9_4plusIiEEiEEDaPvRmT3_T4_T5_mT6_P12ihipStream_tbENKUlT_T0_E_clISt17integral_constantIbLb1EESU_EEDaSP_SQ_EUlSP_E_NS1_11comp_targetILNS1_3genE5ELNS1_11target_archE942ELNS1_3gpuE9ELNS1_3repE0EEENS1_30default_config_static_selectorELNS0_4arch9wavefront6targetE1EEEvT1_
		.amdhsa_group_segment_fixed_size 0
		.amdhsa_private_segment_fixed_size 0
		.amdhsa_kernarg_size 96
		.amdhsa_user_sgpr_count 6
		.amdhsa_user_sgpr_private_segment_buffer 1
		.amdhsa_user_sgpr_dispatch_ptr 0
		.amdhsa_user_sgpr_queue_ptr 0
		.amdhsa_user_sgpr_kernarg_segment_ptr 1
		.amdhsa_user_sgpr_dispatch_id 0
		.amdhsa_user_sgpr_flat_scratch_init 0
		.amdhsa_user_sgpr_kernarg_preload_length 0
		.amdhsa_user_sgpr_kernarg_preload_offset 0
		.amdhsa_user_sgpr_private_segment_size 0
		.amdhsa_uses_dynamic_stack 0
		.amdhsa_system_sgpr_private_segment_wavefront_offset 0
		.amdhsa_system_sgpr_workgroup_id_x 1
		.amdhsa_system_sgpr_workgroup_id_y 0
		.amdhsa_system_sgpr_workgroup_id_z 0
		.amdhsa_system_sgpr_workgroup_info 0
		.amdhsa_system_vgpr_workitem_id 0
		.amdhsa_next_free_vgpr 1
		.amdhsa_next_free_sgpr 0
		.amdhsa_accum_offset 4
		.amdhsa_reserve_vcc 0
		.amdhsa_reserve_flat_scratch 0
		.amdhsa_float_round_mode_32 0
		.amdhsa_float_round_mode_16_64 0
		.amdhsa_float_denorm_mode_32 3
		.amdhsa_float_denorm_mode_16_64 3
		.amdhsa_dx10_clamp 1
		.amdhsa_ieee_mode 1
		.amdhsa_fp16_overflow 0
		.amdhsa_tg_split 0
		.amdhsa_exception_fp_ieee_invalid_op 0
		.amdhsa_exception_fp_denorm_src 0
		.amdhsa_exception_fp_ieee_div_zero 0
		.amdhsa_exception_fp_ieee_overflow 0
		.amdhsa_exception_fp_ieee_underflow 0
		.amdhsa_exception_fp_ieee_inexact 0
		.amdhsa_exception_int_div_zero 0
	.end_amdhsa_kernel
	.section	.text._ZN7rocprim17ROCPRIM_400000_NS6detail17trampoline_kernelINS0_14default_configENS1_20scan_config_selectorIiEEZZNS1_9scan_implILNS1_25lookback_scan_determinismE0ELb0ELb0ES3_N6thrust23THRUST_200600_302600_NS6detail15normal_iteratorINS9_10device_ptrIiEEEESE_iNS9_4plusIiEEiEEDaPvRmT3_T4_T5_mT6_P12ihipStream_tbENKUlT_T0_E_clISt17integral_constantIbLb1EESU_EEDaSP_SQ_EUlSP_E_NS1_11comp_targetILNS1_3genE5ELNS1_11target_archE942ELNS1_3gpuE9ELNS1_3repE0EEENS1_30default_config_static_selectorELNS0_4arch9wavefront6targetE1EEEvT1_,"axG",@progbits,_ZN7rocprim17ROCPRIM_400000_NS6detail17trampoline_kernelINS0_14default_configENS1_20scan_config_selectorIiEEZZNS1_9scan_implILNS1_25lookback_scan_determinismE0ELb0ELb0ES3_N6thrust23THRUST_200600_302600_NS6detail15normal_iteratorINS9_10device_ptrIiEEEESE_iNS9_4plusIiEEiEEDaPvRmT3_T4_T5_mT6_P12ihipStream_tbENKUlT_T0_E_clISt17integral_constantIbLb1EESU_EEDaSP_SQ_EUlSP_E_NS1_11comp_targetILNS1_3genE5ELNS1_11target_archE942ELNS1_3gpuE9ELNS1_3repE0EEENS1_30default_config_static_selectorELNS0_4arch9wavefront6targetE1EEEvT1_,comdat
.Lfunc_end533:
	.size	_ZN7rocprim17ROCPRIM_400000_NS6detail17trampoline_kernelINS0_14default_configENS1_20scan_config_selectorIiEEZZNS1_9scan_implILNS1_25lookback_scan_determinismE0ELb0ELb0ES3_N6thrust23THRUST_200600_302600_NS6detail15normal_iteratorINS9_10device_ptrIiEEEESE_iNS9_4plusIiEEiEEDaPvRmT3_T4_T5_mT6_P12ihipStream_tbENKUlT_T0_E_clISt17integral_constantIbLb1EESU_EEDaSP_SQ_EUlSP_E_NS1_11comp_targetILNS1_3genE5ELNS1_11target_archE942ELNS1_3gpuE9ELNS1_3repE0EEENS1_30default_config_static_selectorELNS0_4arch9wavefront6targetE1EEEvT1_, .Lfunc_end533-_ZN7rocprim17ROCPRIM_400000_NS6detail17trampoline_kernelINS0_14default_configENS1_20scan_config_selectorIiEEZZNS1_9scan_implILNS1_25lookback_scan_determinismE0ELb0ELb0ES3_N6thrust23THRUST_200600_302600_NS6detail15normal_iteratorINS9_10device_ptrIiEEEESE_iNS9_4plusIiEEiEEDaPvRmT3_T4_T5_mT6_P12ihipStream_tbENKUlT_T0_E_clISt17integral_constantIbLb1EESU_EEDaSP_SQ_EUlSP_E_NS1_11comp_targetILNS1_3genE5ELNS1_11target_archE942ELNS1_3gpuE9ELNS1_3repE0EEENS1_30default_config_static_selectorELNS0_4arch9wavefront6targetE1EEEvT1_
                                        ; -- End function
	.section	.AMDGPU.csdata,"",@progbits
; Kernel info:
; codeLenInByte = 0
; NumSgprs: 4
; NumVgprs: 0
; NumAgprs: 0
; TotalNumVgprs: 0
; ScratchSize: 0
; MemoryBound: 0
; FloatMode: 240
; IeeeMode: 1
; LDSByteSize: 0 bytes/workgroup (compile time only)
; SGPRBlocks: 0
; VGPRBlocks: 0
; NumSGPRsForWavesPerEU: 4
; NumVGPRsForWavesPerEU: 1
; AccumOffset: 4
; Occupancy: 8
; WaveLimiterHint : 0
; COMPUTE_PGM_RSRC2:SCRATCH_EN: 0
; COMPUTE_PGM_RSRC2:USER_SGPR: 6
; COMPUTE_PGM_RSRC2:TRAP_HANDLER: 0
; COMPUTE_PGM_RSRC2:TGID_X_EN: 1
; COMPUTE_PGM_RSRC2:TGID_Y_EN: 0
; COMPUTE_PGM_RSRC2:TGID_Z_EN: 0
; COMPUTE_PGM_RSRC2:TIDIG_COMP_CNT: 0
; COMPUTE_PGM_RSRC3_GFX90A:ACCUM_OFFSET: 0
; COMPUTE_PGM_RSRC3_GFX90A:TG_SPLIT: 0
	.section	.text._ZN7rocprim17ROCPRIM_400000_NS6detail17trampoline_kernelINS0_14default_configENS1_20scan_config_selectorIiEEZZNS1_9scan_implILNS1_25lookback_scan_determinismE0ELb0ELb0ES3_N6thrust23THRUST_200600_302600_NS6detail15normal_iteratorINS9_10device_ptrIiEEEESE_iNS9_4plusIiEEiEEDaPvRmT3_T4_T5_mT6_P12ihipStream_tbENKUlT_T0_E_clISt17integral_constantIbLb1EESU_EEDaSP_SQ_EUlSP_E_NS1_11comp_targetILNS1_3genE4ELNS1_11target_archE910ELNS1_3gpuE8ELNS1_3repE0EEENS1_30default_config_static_selectorELNS0_4arch9wavefront6targetE1EEEvT1_,"axG",@progbits,_ZN7rocprim17ROCPRIM_400000_NS6detail17trampoline_kernelINS0_14default_configENS1_20scan_config_selectorIiEEZZNS1_9scan_implILNS1_25lookback_scan_determinismE0ELb0ELb0ES3_N6thrust23THRUST_200600_302600_NS6detail15normal_iteratorINS9_10device_ptrIiEEEESE_iNS9_4plusIiEEiEEDaPvRmT3_T4_T5_mT6_P12ihipStream_tbENKUlT_T0_E_clISt17integral_constantIbLb1EESU_EEDaSP_SQ_EUlSP_E_NS1_11comp_targetILNS1_3genE4ELNS1_11target_archE910ELNS1_3gpuE8ELNS1_3repE0EEENS1_30default_config_static_selectorELNS0_4arch9wavefront6targetE1EEEvT1_,comdat
	.protected	_ZN7rocprim17ROCPRIM_400000_NS6detail17trampoline_kernelINS0_14default_configENS1_20scan_config_selectorIiEEZZNS1_9scan_implILNS1_25lookback_scan_determinismE0ELb0ELb0ES3_N6thrust23THRUST_200600_302600_NS6detail15normal_iteratorINS9_10device_ptrIiEEEESE_iNS9_4plusIiEEiEEDaPvRmT3_T4_T5_mT6_P12ihipStream_tbENKUlT_T0_E_clISt17integral_constantIbLb1EESU_EEDaSP_SQ_EUlSP_E_NS1_11comp_targetILNS1_3genE4ELNS1_11target_archE910ELNS1_3gpuE8ELNS1_3repE0EEENS1_30default_config_static_selectorELNS0_4arch9wavefront6targetE1EEEvT1_ ; -- Begin function _ZN7rocprim17ROCPRIM_400000_NS6detail17trampoline_kernelINS0_14default_configENS1_20scan_config_selectorIiEEZZNS1_9scan_implILNS1_25lookback_scan_determinismE0ELb0ELb0ES3_N6thrust23THRUST_200600_302600_NS6detail15normal_iteratorINS9_10device_ptrIiEEEESE_iNS9_4plusIiEEiEEDaPvRmT3_T4_T5_mT6_P12ihipStream_tbENKUlT_T0_E_clISt17integral_constantIbLb1EESU_EEDaSP_SQ_EUlSP_E_NS1_11comp_targetILNS1_3genE4ELNS1_11target_archE910ELNS1_3gpuE8ELNS1_3repE0EEENS1_30default_config_static_selectorELNS0_4arch9wavefront6targetE1EEEvT1_
	.globl	_ZN7rocprim17ROCPRIM_400000_NS6detail17trampoline_kernelINS0_14default_configENS1_20scan_config_selectorIiEEZZNS1_9scan_implILNS1_25lookback_scan_determinismE0ELb0ELb0ES3_N6thrust23THRUST_200600_302600_NS6detail15normal_iteratorINS9_10device_ptrIiEEEESE_iNS9_4plusIiEEiEEDaPvRmT3_T4_T5_mT6_P12ihipStream_tbENKUlT_T0_E_clISt17integral_constantIbLb1EESU_EEDaSP_SQ_EUlSP_E_NS1_11comp_targetILNS1_3genE4ELNS1_11target_archE910ELNS1_3gpuE8ELNS1_3repE0EEENS1_30default_config_static_selectorELNS0_4arch9wavefront6targetE1EEEvT1_
	.p2align	8
	.type	_ZN7rocprim17ROCPRIM_400000_NS6detail17trampoline_kernelINS0_14default_configENS1_20scan_config_selectorIiEEZZNS1_9scan_implILNS1_25lookback_scan_determinismE0ELb0ELb0ES3_N6thrust23THRUST_200600_302600_NS6detail15normal_iteratorINS9_10device_ptrIiEEEESE_iNS9_4plusIiEEiEEDaPvRmT3_T4_T5_mT6_P12ihipStream_tbENKUlT_T0_E_clISt17integral_constantIbLb1EESU_EEDaSP_SQ_EUlSP_E_NS1_11comp_targetILNS1_3genE4ELNS1_11target_archE910ELNS1_3gpuE8ELNS1_3repE0EEENS1_30default_config_static_selectorELNS0_4arch9wavefront6targetE1EEEvT1_,@function
_ZN7rocprim17ROCPRIM_400000_NS6detail17trampoline_kernelINS0_14default_configENS1_20scan_config_selectorIiEEZZNS1_9scan_implILNS1_25lookback_scan_determinismE0ELb0ELb0ES3_N6thrust23THRUST_200600_302600_NS6detail15normal_iteratorINS9_10device_ptrIiEEEESE_iNS9_4plusIiEEiEEDaPvRmT3_T4_T5_mT6_P12ihipStream_tbENKUlT_T0_E_clISt17integral_constantIbLb1EESU_EEDaSP_SQ_EUlSP_E_NS1_11comp_targetILNS1_3genE4ELNS1_11target_archE910ELNS1_3gpuE8ELNS1_3repE0EEENS1_30default_config_static_selectorELNS0_4arch9wavefront6targetE1EEEvT1_: ; @_ZN7rocprim17ROCPRIM_400000_NS6detail17trampoline_kernelINS0_14default_configENS1_20scan_config_selectorIiEEZZNS1_9scan_implILNS1_25lookback_scan_determinismE0ELb0ELb0ES3_N6thrust23THRUST_200600_302600_NS6detail15normal_iteratorINS9_10device_ptrIiEEEESE_iNS9_4plusIiEEiEEDaPvRmT3_T4_T5_mT6_P12ihipStream_tbENKUlT_T0_E_clISt17integral_constantIbLb1EESU_EEDaSP_SQ_EUlSP_E_NS1_11comp_targetILNS1_3genE4ELNS1_11target_archE910ELNS1_3gpuE8ELNS1_3repE0EEENS1_30default_config_static_selectorELNS0_4arch9wavefront6targetE1EEEvT1_
; %bb.0:
	s_load_dwordx2 s[6:7], s[4:5], 0x28
	v_cmp_ne_u32_e64 s[0:1], 0, v0
	v_cmp_eq_u32_e64 s[2:3], 0, v0
	s_and_saveexec_b64 s[8:9], s[2:3]
	s_cbranch_execz .LBB534_4
; %bb.1:
	s_mov_b64 s[12:13], exec
	v_mbcnt_lo_u32_b32 v1, s12, 0
	v_mbcnt_hi_u32_b32 v1, s13, v1
	v_cmp_eq_u32_e32 vcc, 0, v1
                                        ; implicit-def: $vgpr2
	s_and_saveexec_b64 s[10:11], vcc
	s_cbranch_execz .LBB534_3
; %bb.2:
	s_load_dwordx2 s[14:15], s[4:5], 0x58
	s_bcnt1_i32_b64 s12, s[12:13]
	v_mov_b32_e32 v2, 0
	v_mov_b32_e32 v3, s12
	s_waitcnt lgkmcnt(0)
	global_atomic_add v2, v2, v3, s[14:15] glc
.LBB534_3:
	s_or_b64 exec, exec, s[10:11]
	s_waitcnt vmcnt(0)
	v_readfirstlane_b32 s10, v2
	v_add_u32_e32 v1, s10, v1
	v_mov_b32_e32 v2, 0
	ds_write_b32 v2, v1
.LBB534_4:
	s_or_b64 exec, exec, s[8:9]
	s_load_dwordx8 s[16:23], s[4:5], 0x0
	s_load_dword s24, s[4:5], 0x30
	s_load_dwordx8 s[8:15], s[4:5], 0x38
	v_mov_b32_e32 v1, 0
	s_waitcnt lgkmcnt(0)
	s_barrier
	ds_read_b32 v1, v1
	s_lshl_b64 s[18:19], s[18:19], 2
	s_add_u32 s25, s16, s18
	s_addc_u32 s26, s17, s19
	s_add_i32 s16, s24, -1
	s_mul_i32 s17, s16, 0x500
	s_sub_u32 s30, s22, s17
	s_waitcnt lgkmcnt(0)
	v_readfirstlane_b32 s33, v1
	s_subb_u32 s31, s23, 0
	s_mul_i32 s4, s33, 0x500
	s_mov_b32 s5, 0
	s_cmp_lg_u32 s33, s16
	s_cselect_b64 s[16:17], -1, 0
	s_lshl_b64 s[22:23], s[4:5], 2
	s_add_u32 s24, s25, s22
	s_addc_u32 s25, s26, s23
	s_mov_b64 s[4:5], -1
	s_and_b64 vcc, exec, s[16:17]
	v_lshlrev_b32_e32 v22, 2, v0
	s_barrier
	s_cbranch_vccz .LBB534_6
; %bb.5:
	v_mov_b32_e32 v1, s25
	v_add_co_u32_e32 v2, vcc, s24, v22
	v_addc_co_u32_e32 v3, vcc, 0, v1, vcc
	flat_load_dword v1, v[2:3]
	flat_load_dword v4, v[2:3] offset:512
	flat_load_dword v5, v[2:3] offset:1024
	;; [unrolled: 1-line block ×7, first 2 shown]
	v_add_co_u32_e32 v2, vcc, 0x1000, v2
	v_addc_co_u32_e32 v3, vcc, 0, v3, vcc
	flat_load_dword v11, v[2:3]
	flat_load_dword v12, v[2:3] offset:512
	s_mov_b64 s[4:5], 0
	s_waitcnt vmcnt(0) lgkmcnt(0)
	ds_write2st64_b32 v22, v1, v4 offset1:2
	ds_write2st64_b32 v22, v5, v6 offset0:4 offset1:6
	ds_write2st64_b32 v22, v7, v8 offset0:8 offset1:10
	ds_write2st64_b32 v22, v9, v10 offset0:12 offset1:14
	ds_write2st64_b32 v22, v11, v12 offset0:16 offset1:18
	s_waitcnt lgkmcnt(0)
	s_barrier
.LBB534_6:
	s_andn2_b64 vcc, exec, s[4:5]
	v_cmp_gt_u32_e64 s[4:5], s30, v0
	s_cbranch_vccnz .LBB534_28
; %bb.7:
	v_pk_mov_b32 v[2:3], s[24:25], s[24:25] op_sel:[0,1]
	flat_load_dword v1, v[2:3]
	s_waitcnt vmcnt(0) lgkmcnt(0)
	v_mov_b32_e32 v2, v1
	v_mov_b32_e32 v3, v1
	;; [unrolled: 1-line block ×9, first 2 shown]
	s_and_saveexec_b64 s[26:27], s[4:5]
	s_cbranch_execz .LBB534_9
; %bb.8:
	v_mov_b32_e32 v11, s25
	v_add_co_u32_e32 v10, vcc, s24, v22
	v_addc_co_u32_e32 v11, vcc, 0, v11, vcc
	flat_load_dword v10, v[10:11]
.LBB534_9:
	s_or_b64 exec, exec, s[26:27]
	v_or_b32_e32 v11, 0x80, v0
	v_cmp_gt_u32_e32 vcc, s30, v11
	s_and_saveexec_b64 s[4:5], vcc
	s_cbranch_execz .LBB534_11
; %bb.10:
	v_mov_b32_e32 v1, s25
	v_add_co_u32_e32 v12, vcc, s24, v22
	v_addc_co_u32_e32 v13, vcc, 0, v1, vcc
	flat_load_dword v1, v[12:13] offset:512
.LBB534_11:
	s_or_b64 exec, exec, s[4:5]
	v_or_b32_e32 v11, 0x100, v0
	v_cmp_gt_u32_e32 vcc, s30, v11
	s_and_saveexec_b64 s[4:5], vcc
	s_cbranch_execz .LBB534_13
; %bb.12:
	v_mov_b32_e32 v2, s25
	v_add_co_u32_e32 v12, vcc, s24, v22
	v_addc_co_u32_e32 v13, vcc, 0, v2, vcc
	flat_load_dword v2, v[12:13] offset:1024
.LBB534_13:
	;; [unrolled: 11-line block ×7, first 2 shown]
	s_or_b64 exec, exec, s[4:5]
	v_or_b32_e32 v11, 0x400, v0
	v_cmp_gt_u32_e32 vcc, s30, v11
	s_and_saveexec_b64 s[4:5], vcc
	s_cbranch_execz .LBB534_25
; %bb.24:
	v_lshlrev_b32_e32 v8, 2, v11
	v_mov_b32_e32 v11, s25
	v_add_co_u32_e32 v12, vcc, s24, v8
	v_addc_co_u32_e32 v13, vcc, 0, v11, vcc
	flat_load_dword v8, v[12:13]
.LBB534_25:
	s_or_b64 exec, exec, s[4:5]
	v_or_b32_e32 v11, 0x480, v0
	v_cmp_gt_u32_e32 vcc, s30, v11
	s_and_saveexec_b64 s[4:5], vcc
	s_cbranch_execz .LBB534_27
; %bb.26:
	v_lshlrev_b32_e32 v9, 2, v11
	v_mov_b32_e32 v11, s25
	v_add_co_u32_e32 v12, vcc, s24, v9
	v_addc_co_u32_e32 v13, vcc, 0, v11, vcc
	flat_load_dword v9, v[12:13]
.LBB534_27:
	s_or_b64 exec, exec, s[4:5]
	s_waitcnt vmcnt(0) lgkmcnt(0)
	ds_write2st64_b32 v22, v10, v1 offset1:2
	ds_write2st64_b32 v22, v2, v3 offset0:4 offset1:6
	ds_write2st64_b32 v22, v4, v5 offset0:8 offset1:10
	;; [unrolled: 1-line block ×4, first 2 shown]
	s_waitcnt lgkmcnt(0)
	s_barrier
.LBB534_28:
	v_mul_u32_u24_e32 v23, 10, v0
	v_lshlrev_b32_e32 v1, 2, v23
	ds_read2_b64 v[2:5], v1 offset1:1
	ds_read2_b64 v[16:19], v1 offset0:2 offset1:3
	ds_read_b64 v[20:21], v1 offset:32
	s_cmp_lg_u32 s33, 0
	v_lshrrev_b32_e32 v24, 5, v0
	v_cmp_gt_u32_e32 vcc, 64, v0
	s_waitcnt lgkmcnt(0)
	s_barrier
	s_cbranch_scc0 .LBB534_57
; %bb.29:
	v_add_u32_e32 v6, v3, v2
	v_add3_u32 v6, v6, v4, v5
	v_add3_u32 v6, v6, v16, v17
	v_add3_u32 v6, v6, v18, v19
	v_add3_u32 v6, v6, v20, v21
	v_add_lshl_u32 v7, v24, v0, 2
	ds_write_b32 v7, v6
	s_waitcnt lgkmcnt(0)
	s_barrier
	s_and_saveexec_b64 s[24:25], vcc
	s_cbranch_execz .LBB534_31
; %bb.30:
	v_lshlrev_b32_e32 v7, 1, v0
	v_lshrrev_b32_e32 v8, 4, v0
	v_add_lshl_u32 v7, v8, v7, 2
	ds_read2_b32 v[8:9], v7 offset1:1
	v_mbcnt_lo_u32_b32 v10, -1, 0
	v_mbcnt_hi_u32_b32 v10, -1, v10
	v_and_b32_e32 v11, 15, v10
	v_cmp_ne_u32_e64 s[4:5], 0, v11
	s_waitcnt lgkmcnt(0)
	v_add_u32_e32 v9, v9, v8
	; wave barrier
	s_nop 1
	v_mov_b32_dpp v12, v9 row_shr:1 row_mask:0xf bank_mask:0xf
	v_cndmask_b32_e64 v12, 0, v12, s[4:5]
	v_add_u32_e32 v9, v12, v9
	v_cmp_lt_u32_e64 s[4:5], 1, v11
	s_nop 0
	v_mov_b32_dpp v12, v9 row_shr:2 row_mask:0xf bank_mask:0xf
	v_cndmask_b32_e64 v12, 0, v12, s[4:5]
	v_add_u32_e32 v9, v9, v12
	v_cmp_lt_u32_e64 s[4:5], 3, v11
	;; [unrolled: 5-line block ×3, first 2 shown]
	s_nop 0
	v_mov_b32_dpp v12, v9 row_shr:8 row_mask:0xf bank_mask:0xf
	v_cndmask_b32_e64 v11, 0, v12, s[4:5]
	v_add_u32_e32 v9, v9, v11
	v_bfe_i32 v12, v10, 4, 1
	v_cmp_lt_u32_e64 s[4:5], 31, v10
	v_mov_b32_dpp v11, v9 row_bcast:15 row_mask:0xf bank_mask:0xf
	v_and_b32_e32 v11, v12, v11
	v_add_u32_e32 v9, v9, v11
	v_and_b32_e32 v12, 64, v10
	s_nop 0
	v_mov_b32_dpp v11, v9 row_bcast:31 row_mask:0xf bank_mask:0xf
	v_cndmask_b32_e64 v11, 0, v11, s[4:5]
	v_add_u32_e32 v9, v9, v11
	v_add_u32_e32 v11, -1, v10
	v_cmp_lt_i32_e64 s[4:5], v11, v12
	v_cndmask_b32_e64 v10, v11, v10, s[4:5]
	v_lshlrev_b32_e32 v10, 2, v10
	ds_bpermute_b32 v9, v10, v9
	s_waitcnt lgkmcnt(0)
	v_add_u32_e32 v8, v9, v8
	v_cndmask_b32_e64 v6, v8, v6, s[2:3]
	ds_write_b32 v7, v6
	; wave barrier
	ds_read_b32 v8, v7 offset:4
	s_waitcnt lgkmcnt(0)
	v_add_u32_e32 v6, v8, v6
	ds_write_b32 v7, v6 offset:4
.LBB534_31:
	s_or_b64 exec, exec, s[24:25]
	v_mov_b32_e32 v25, 0
	s_waitcnt lgkmcnt(0)
	s_barrier
	s_and_saveexec_b64 s[4:5], s[0:1]
	s_cbranch_execz .LBB534_33
; %bb.32:
	v_add_u32_e32 v6, -1, v0
	v_lshrrev_b32_e32 v7, 5, v6
	v_add_lshl_u32 v6, v7, v6, 2
	ds_read_b32 v25, v6
.LBB534_33:
	s_or_b64 exec, exec, s[4:5]
	s_and_saveexec_b64 s[24:25], vcc
	s_cbranch_execz .LBB534_56
; %bb.34:
	v_mov_b32_e32 v15, 0
	ds_read_b32 v6, v15 offset:520
	v_mbcnt_lo_u32_b32 v7, -1, 0
	v_mbcnt_hi_u32_b32 v9, -1, v7
	s_mov_b32 s29, 0
	v_cmp_eq_u32_e64 s[4:5], 0, v9
	s_and_saveexec_b64 s[26:27], s[4:5]
	s_cbranch_execz .LBB534_36
; %bb.35:
	s_add_i32 s28, s33, 64
	s_lshl_b64 s[28:29], s[28:29], 3
	s_add_u32 s28, s6, s28
	v_mov_b32_e32 v7, 1
	s_addc_u32 s29, s7, s29
	s_waitcnt lgkmcnt(0)
	global_store_dwordx2 v15, v[6:7], s[28:29]
.LBB534_36:
	s_or_b64 exec, exec, s[26:27]
	v_xad_u32 v8, v9, -1, s33
	v_add_u32_e32 v14, 64, v8
	v_lshlrev_b64 v[10:11], 3, v[14:15]
	v_mov_b32_e32 v7, s7
	v_add_co_u32_e32 v10, vcc, s6, v10
	v_addc_co_u32_e32 v11, vcc, v7, v11, vcc
	global_load_dwordx2 v[12:13], v[10:11], off glc
	s_waitcnt vmcnt(0)
	v_cmp_eq_u16_sdwa s[28:29], v13, v15 src0_sel:BYTE_0 src1_sel:DWORD
	s_and_saveexec_b64 s[26:27], s[28:29]
	s_cbranch_execz .LBB534_42
; %bb.37:
	s_mov_b32 s34, 1
	s_mov_b64 s[28:29], 0
	v_mov_b32_e32 v7, 0
.LBB534_38:                             ; =>This Loop Header: Depth=1
                                        ;     Child Loop BB534_39 Depth 2
	s_max_u32 s35, s34, 1
.LBB534_39:                             ;   Parent Loop BB534_38 Depth=1
                                        ; =>  This Inner Loop Header: Depth=2
	s_add_i32 s35, s35, -1
	s_cmp_eq_u32 s35, 0
	s_sleep 1
	s_cbranch_scc0 .LBB534_39
; %bb.40:                               ;   in Loop: Header=BB534_38 Depth=1
	global_load_dwordx2 v[12:13], v[10:11], off glc
	s_cmp_lt_u32 s34, 32
	s_cselect_b64 s[36:37], -1, 0
	s_cmp_lg_u64 s[36:37], 0
	s_addc_u32 s34, s34, 0
	s_waitcnt vmcnt(0)
	v_cmp_ne_u16_sdwa s[36:37], v13, v7 src0_sel:BYTE_0 src1_sel:DWORD
	s_or_b64 s[28:29], s[36:37], s[28:29]
	s_andn2_b64 exec, exec, s[28:29]
	s_cbranch_execnz .LBB534_38
; %bb.41:
	s_or_b64 exec, exec, s[28:29]
.LBB534_42:
	s_or_b64 exec, exec, s[26:27]
	v_and_b32_e32 v26, 63, v9
	v_mov_b32_e32 v7, 2
	v_cmp_ne_u32_e32 vcc, 63, v26
	v_cmp_eq_u16_sdwa s[26:27], v13, v7 src0_sel:BYTE_0 src1_sel:DWORD
	v_lshlrev_b64 v[10:11], v9, -1
	v_addc_co_u32_e32 v27, vcc, 0, v9, vcc
	v_and_b32_e32 v14, s27, v11
	v_lshlrev_b32_e32 v27, 2, v27
	v_or_b32_e32 v14, 0x80000000, v14
	ds_bpermute_b32 v28, v27, v12
	v_and_b32_e32 v15, s26, v10
	v_ffbl_b32_e32 v14, v14
	v_add_u32_e32 v14, 32, v14
	v_ffbl_b32_e32 v15, v15
	v_min_u32_e32 v14, v15, v14
	v_cmp_lt_u32_e32 vcc, v26, v14
	s_waitcnt lgkmcnt(0)
	v_cndmask_b32_e32 v15, 0, v28, vcc
	v_cmp_gt_u32_e32 vcc, 62, v26
	v_add_u32_e32 v12, v15, v12
	v_cndmask_b32_e64 v15, 0, 1, vcc
	v_lshlrev_b32_e32 v15, 1, v15
	v_add_lshl_u32 v28, v15, v9, 2
	ds_bpermute_b32 v15, v28, v12
	v_add_u32_e32 v29, 2, v26
	v_cmp_le_u32_e32 vcc, v29, v14
	v_add_u32_e32 v31, 4, v26
	v_add_u32_e32 v33, 8, v26
	s_waitcnt lgkmcnt(0)
	v_cndmask_b32_e32 v15, 0, v15, vcc
	v_cmp_gt_u32_e32 vcc, 60, v26
	v_add_u32_e32 v12, v12, v15
	v_cndmask_b32_e64 v15, 0, 1, vcc
	v_lshlrev_b32_e32 v15, 2, v15
	v_add_lshl_u32 v30, v15, v9, 2
	ds_bpermute_b32 v15, v30, v12
	v_cmp_le_u32_e32 vcc, v31, v14
	v_add_u32_e32 v36, 16, v26
	v_add_u32_e32 v38, 32, v26
	s_waitcnt lgkmcnt(0)
	v_cndmask_b32_e32 v15, 0, v15, vcc
	v_cmp_gt_u32_e32 vcc, 56, v26
	v_add_u32_e32 v12, v12, v15
	v_cndmask_b32_e64 v15, 0, 1, vcc
	v_lshlrev_b32_e32 v15, 3, v15
	v_add_lshl_u32 v32, v15, v9, 2
	ds_bpermute_b32 v15, v32, v12
	v_cmp_le_u32_e32 vcc, v33, v14
	s_waitcnt lgkmcnt(0)
	v_cndmask_b32_e32 v15, 0, v15, vcc
	v_cmp_gt_u32_e32 vcc, 48, v26
	v_add_u32_e32 v12, v12, v15
	v_cndmask_b32_e64 v15, 0, 1, vcc
	v_lshlrev_b32_e32 v15, 4, v15
	v_add_lshl_u32 v35, v15, v9, 2
	ds_bpermute_b32 v15, v35, v12
	v_cmp_le_u32_e32 vcc, v36, v14
	s_waitcnt lgkmcnt(0)
	v_cndmask_b32_e32 v15, 0, v15, vcc
	v_cmp_gt_u32_e32 vcc, 32, v26
	v_add_u32_e32 v12, v12, v15
	v_cndmask_b32_e64 v15, 0, 1, vcc
	v_lshlrev_b32_e32 v15, 5, v15
	v_add_lshl_u32 v37, v15, v9, 2
	ds_bpermute_b32 v9, v37, v12
	v_cmp_le_u32_e32 vcc, v38, v14
	s_waitcnt lgkmcnt(0)
	v_cndmask_b32_e32 v9, 0, v9, vcc
	v_add_u32_e32 v12, v12, v9
	v_mov_b32_e32 v9, 0
	s_branch .LBB534_44
.LBB534_43:                             ;   in Loop: Header=BB534_44 Depth=1
	s_or_b64 exec, exec, s[26:27]
	v_cmp_eq_u16_sdwa s[26:27], v13, v7 src0_sel:BYTE_0 src1_sel:DWORD
	v_and_b32_e32 v14, s27, v11
	v_or_b32_e32 v14, 0x80000000, v14
	ds_bpermute_b32 v39, v27, v12
	v_and_b32_e32 v15, s26, v10
	v_ffbl_b32_e32 v14, v14
	v_add_u32_e32 v14, 32, v14
	v_ffbl_b32_e32 v15, v15
	v_min_u32_e32 v14, v15, v14
	v_cmp_lt_u32_e32 vcc, v26, v14
	s_waitcnt lgkmcnt(0)
	v_cndmask_b32_e32 v15, 0, v39, vcc
	v_add_u32_e32 v12, v15, v12
	ds_bpermute_b32 v15, v28, v12
	v_cmp_le_u32_e32 vcc, v29, v14
	v_subrev_u32_e32 v8, 64, v8
	s_waitcnt lgkmcnt(0)
	v_cndmask_b32_e32 v15, 0, v15, vcc
	v_add_u32_e32 v12, v12, v15
	ds_bpermute_b32 v15, v30, v12
	v_cmp_le_u32_e32 vcc, v31, v14
	s_waitcnt lgkmcnt(0)
	v_cndmask_b32_e32 v15, 0, v15, vcc
	v_add_u32_e32 v12, v12, v15
	ds_bpermute_b32 v15, v32, v12
	v_cmp_le_u32_e32 vcc, v33, v14
	;; [unrolled: 5-line block ×4, first 2 shown]
	s_waitcnt lgkmcnt(0)
	v_cndmask_b32_e32 v14, 0, v15, vcc
	v_add3_u32 v12, v14, v34, v12
.LBB534_44:                             ; =>This Loop Header: Depth=1
                                        ;     Child Loop BB534_47 Depth 2
                                        ;       Child Loop BB534_48 Depth 3
	v_cmp_ne_u16_sdwa s[26:27], v13, v7 src0_sel:BYTE_0 src1_sel:DWORD
	v_cndmask_b32_e64 v13, 0, 1, s[26:27]
	;;#ASMSTART
	;;#ASMEND
	v_cmp_ne_u32_e32 vcc, 0, v13
	s_cmp_lg_u64 vcc, exec
	v_mov_b32_e32 v34, v12
	s_cbranch_scc1 .LBB534_51
; %bb.45:                               ;   in Loop: Header=BB534_44 Depth=1
	v_lshlrev_b64 v[12:13], 3, v[8:9]
	v_mov_b32_e32 v15, s7
	v_add_co_u32_e32 v14, vcc, s6, v12
	v_addc_co_u32_e32 v15, vcc, v15, v13, vcc
	global_load_dwordx2 v[12:13], v[14:15], off glc
	s_waitcnt vmcnt(0)
	v_cmp_eq_u16_sdwa s[28:29], v13, v9 src0_sel:BYTE_0 src1_sel:DWORD
	s_and_saveexec_b64 s[26:27], s[28:29]
	s_cbranch_execz .LBB534_43
; %bb.46:                               ;   in Loop: Header=BB534_44 Depth=1
	s_mov_b32 s34, 1
	s_mov_b64 s[28:29], 0
.LBB534_47:                             ;   Parent Loop BB534_44 Depth=1
                                        ; =>  This Loop Header: Depth=2
                                        ;       Child Loop BB534_48 Depth 3
	s_max_u32 s35, s34, 1
.LBB534_48:                             ;   Parent Loop BB534_44 Depth=1
                                        ;     Parent Loop BB534_47 Depth=2
                                        ; =>    This Inner Loop Header: Depth=3
	s_add_i32 s35, s35, -1
	s_cmp_eq_u32 s35, 0
	s_sleep 1
	s_cbranch_scc0 .LBB534_48
; %bb.49:                               ;   in Loop: Header=BB534_47 Depth=2
	global_load_dwordx2 v[12:13], v[14:15], off glc
	s_cmp_lt_u32 s34, 32
	s_cselect_b64 s[36:37], -1, 0
	s_cmp_lg_u64 s[36:37], 0
	s_addc_u32 s34, s34, 0
	s_waitcnt vmcnt(0)
	v_cmp_ne_u16_sdwa s[36:37], v13, v9 src0_sel:BYTE_0 src1_sel:DWORD
	s_or_b64 s[28:29], s[36:37], s[28:29]
	s_andn2_b64 exec, exec, s[28:29]
	s_cbranch_execnz .LBB534_47
; %bb.50:                               ;   in Loop: Header=BB534_44 Depth=1
	s_or_b64 exec, exec, s[28:29]
	s_branch .LBB534_43
.LBB534_51:                             ;   in Loop: Header=BB534_44 Depth=1
                                        ; implicit-def: $vgpr12
                                        ; implicit-def: $vgpr13
	s_cbranch_execz .LBB534_44
; %bb.52:
	s_and_saveexec_b64 s[26:27], s[4:5]
	s_cbranch_execz .LBB534_54
; %bb.53:
	s_add_i32 s4, s33, 64
	s_mov_b32 s5, 0
	s_lshl_b64 s[4:5], s[4:5], 3
	s_add_u32 s4, s6, s4
	v_add_u32_e32 v6, v34, v6
	v_mov_b32_e32 v7, 2
	s_addc_u32 s5, s7, s5
	v_mov_b32_e32 v8, 0
	global_store_dwordx2 v8, v[6:7], s[4:5]
.LBB534_54:
	s_or_b64 exec, exec, s[26:27]
	s_and_b64 exec, exec, s[2:3]
	s_cbranch_execz .LBB534_56
; %bb.55:
	v_mov_b32_e32 v6, 0
	ds_write_b32 v6, v34
.LBB534_56:
	s_or_b64 exec, exec, s[24:25]
	v_mov_b32_e32 v6, 0
	s_waitcnt lgkmcnt(0)
	s_barrier
	ds_read_b32 v6, v6
	s_waitcnt lgkmcnt(0)
	v_add3_u32 v6, v25, v2, v6
	v_add_u32_e32 v7, v6, v3
	v_add_u32_e32 v8, v7, v4
	;; [unrolled: 1-line block ×9, first 2 shown]
	s_branch .LBB534_69
.LBB534_57:
                                        ; implicit-def: $vgpr6_vgpr7_vgpr8_vgpr9_vgpr10_vgpr11_vgpr12_vgpr13_vgpr14_vgpr15
	s_cbranch_execz .LBB534_69
; %bb.58:
	s_cmp_lg_u64 s[12:13], 0
	s_cselect_b64 s[4:5], -1, 0
	s_and_b64 s[12:13], s[2:3], s[4:5]
	v_mov_b32_e32 v12, v3
	v_mov_b32_e32 v13, v4
	;; [unrolled: 1-line block ×3, first 2 shown]
	s_and_saveexec_b64 s[4:5], s[12:13]
	s_cbranch_execz .LBB534_60
; %bb.59:
	v_mov_b32_e32 v6, 0
	global_load_dword v6, v6, s[8:9]
	v_mov_b32_e32 v12, v3
	v_mov_b32_e32 v13, v4
	;; [unrolled: 1-line block ×3, first 2 shown]
	s_waitcnt vmcnt(0)
	v_add_u32_e32 v2, v6, v2
.LBB534_60:
	s_or_b64 exec, exec, s[4:5]
	v_add_u32_e32 v3, v12, v2
	v_add_u32_e32 v4, v3, v13
	;; [unrolled: 1-line block ×9, first 2 shown]
	v_add_lshl_u32 v15, v24, v0, 2
	v_cmp_gt_u32_e32 vcc, 64, v0
	ds_write_b32 v15, v11
	s_waitcnt lgkmcnt(0)
	s_barrier
	s_and_saveexec_b64 s[4:5], vcc
	s_cbranch_execz .LBB534_62
; %bb.61:
	v_lshlrev_b32_e32 v15, 1, v0
	v_lshrrev_b32_e32 v24, 4, v0
	v_add_lshl_u32 v15, v24, v15, 2
	ds_read2_b32 v[24:25], v15 offset1:1
	v_mbcnt_lo_u32_b32 v26, -1, 0
	v_mbcnt_hi_u32_b32 v26, -1, v26
	v_and_b32_e32 v27, 15, v26
	v_cmp_ne_u32_e32 vcc, 0, v27
	s_waitcnt lgkmcnt(0)
	v_add_u32_e32 v25, v25, v24
	; wave barrier
	s_nop 1
	v_mov_b32_dpp v28, v25 row_shr:1 row_mask:0xf bank_mask:0xf
	v_cndmask_b32_e32 v28, 0, v28, vcc
	v_add_u32_e32 v25, v28, v25
	v_cmp_lt_u32_e32 vcc, 1, v27
	s_nop 0
	v_mov_b32_dpp v28, v25 row_shr:2 row_mask:0xf bank_mask:0xf
	v_cndmask_b32_e32 v28, 0, v28, vcc
	v_add_u32_e32 v25, v25, v28
	v_cmp_lt_u32_e32 vcc, 3, v27
	;; [unrolled: 5-line block ×3, first 2 shown]
	s_nop 0
	v_mov_b32_dpp v28, v25 row_shr:8 row_mask:0xf bank_mask:0xf
	v_cndmask_b32_e32 v27, 0, v28, vcc
	v_add_u32_e32 v25, v25, v27
	v_bfe_i32 v28, v26, 4, 1
	v_cmp_lt_u32_e32 vcc, 31, v26
	v_mov_b32_dpp v27, v25 row_bcast:15 row_mask:0xf bank_mask:0xf
	v_and_b32_e32 v27, v28, v27
	v_add_u32_e32 v25, v25, v27
	v_and_b32_e32 v28, 64, v26
	s_nop 0
	v_mov_b32_dpp v27, v25 row_bcast:31 row_mask:0xf bank_mask:0xf
	v_cndmask_b32_e32 v27, 0, v27, vcc
	v_add_u32_e32 v25, v25, v27
	v_add_u32_e32 v27, -1, v26
	v_cmp_lt_i32_e32 vcc, v27, v28
	v_cndmask_b32_e32 v26, v27, v26, vcc
	v_lshlrev_b32_e32 v26, 2, v26
	ds_bpermute_b32 v25, v26, v25
	s_waitcnt lgkmcnt(0)
	v_add_u32_e32 v24, v25, v24
	v_cndmask_b32_e64 v24, v24, v11, s[2:3]
	ds_write_b32 v15, v24
	; wave barrier
	ds_read_b32 v25, v15 offset:4
	s_waitcnt lgkmcnt(0)
	v_add_u32_e32 v24, v25, v24
	ds_write_b32 v15, v24 offset:4
.LBB534_62:
	s_or_b64 exec, exec, s[4:5]
	v_mov_b32_e32 v15, v11
	s_waitcnt lgkmcnt(0)
	s_barrier
	s_and_saveexec_b64 s[2:3], s[0:1]
	s_cbranch_execz .LBB534_64
; %bb.63:
	v_add_u32_e32 v15, -1, v0
	v_lshrrev_b32_e32 v24, 5, v15
	v_add_lshl_u32 v15, v24, v15, 2
	ds_read_b32 v15, v15
.LBB534_64:
	s_or_b64 exec, exec, s[2:3]
	s_and_saveexec_b64 s[2:3], s[0:1]
	s_cbranch_execz .LBB534_66
; %bb.65:
	s_waitcnt lgkmcnt(0)
	v_add_u32_e32 v2, v15, v2
	v_add_u32_e32 v3, v2, v12
	;; [unrolled: 1-line block ×10, first 2 shown]
	;;#ASMSTART
	;;#ASMEND
.LBB534_66:
	s_or_b64 exec, exec, s[2:3]
	s_movk_i32 s0, 0x7f
	v_cmp_eq_u32_e32 vcc, s0, v0
	s_and_saveexec_b64 s[0:1], vcc
	s_cbranch_execz .LBB534_68
; %bb.67:
	v_mov_b32_e32 v14, 0
	v_mov_b32_e32 v13, 2
	;; [unrolled: 1-line block ×3, first 2 shown]
	global_store_dwordx2 v14, v[12:13], s[6:7] offset:512
.LBB534_68:
	s_or_b64 exec, exec, s[0:1]
	s_waitcnt lgkmcnt(0)
	v_pk_mov_b32 v[14:15], v[10:11], v[10:11] op_sel:[0,1]
	v_pk_mov_b32 v[12:13], v[8:9], v[8:9] op_sel:[0,1]
	;; [unrolled: 1-line block ×5, first 2 shown]
.LBB534_69:
	s_add_u32 s0, s20, s18
	s_addc_u32 s1, s21, s19
	s_add_u32 s2, s0, s22
	s_addc_u32 s3, s1, s23
	s_mov_b64 s[0:1], -1
	s_and_b64 vcc, exec, s[16:17]
	s_barrier
	s_cbranch_vccz .LBB534_71
; %bb.70:
	ds_write2_b64 v1, v[6:7], v[8:9] offset1:1
	ds_write2_b64 v1, v[10:11], v[12:13] offset0:2 offset1:3
	ds_write_b64 v1, v[14:15] offset:32
	s_waitcnt lgkmcnt(0)
	s_barrier
	ds_read2st64_b32 v[2:3], v22 offset1:2
	ds_read2st64_b32 v[4:5], v22 offset0:4 offset1:6
	ds_read2st64_b32 v[16:17], v22 offset0:8 offset1:10
	;; [unrolled: 1-line block ×4, first 2 shown]
	v_mov_b32_e32 v25, s3
	v_add_co_u32_e32 v24, vcc, s2, v22
	v_addc_co_u32_e32 v25, vcc, 0, v25, vcc
	s_waitcnt lgkmcnt(4)
	flat_store_dword v[24:25], v2
	flat_store_dword v[24:25], v3 offset:512
	s_waitcnt lgkmcnt(0)
	flat_store_dword v[24:25], v4 offset:1024
	flat_store_dword v[24:25], v5 offset:1536
	;; [unrolled: 1-line block ×6, first 2 shown]
	v_add_co_u32_e32 v2, vcc, 0x1000, v24
	v_addc_co_u32_e32 v3, vcc, 0, v25, vcc
	flat_store_dword v[2:3], v20
	flat_store_dword v[2:3], v21 offset:512
	s_mov_b64 s[0:1], 0
.LBB534_71:
	s_andn2_b64 vcc, exec, s[0:1]
	s_cbranch_vccnz .LBB534_127
; %bb.72:
	ds_write2_b64 v1, v[6:7], v[8:9] offset1:1
	ds_write2_b64 v1, v[10:11], v[12:13] offset0:2 offset1:3
	ds_write_b64 v1, v[14:15] offset:32
	s_waitcnt lgkmcnt(0)
	s_barrier
	ds_read2st64_b32 v[2:3], v22 offset1:2
	ds_read2st64_b32 v[6:7], v22 offset0:4 offset1:6
	ds_read2st64_b32 v[4:5], v22 offset0:8 offset1:10
	;; [unrolled: 1-line block ×4, first 2 shown]
	v_mov_b32_e32 v13, s3
	v_add_co_u32_e32 v12, vcc, s2, v22
	v_addc_co_u32_e32 v13, vcc, 0, v13, vcc
	v_mov_b32_e32 v1, 0
	v_cmp_gt_u32_e32 vcc, s30, v0
	s_and_saveexec_b64 s[0:1], vcc
	s_cbranch_execz .LBB534_74
; %bb.73:
	s_waitcnt lgkmcnt(0)
	flat_store_dword v[12:13], v2
.LBB534_74:
	s_or_b64 exec, exec, s[0:1]
	v_or_b32_e32 v14, 0x80, v0
	v_cmp_gt_u32_e32 vcc, s30, v14
	s_and_saveexec_b64 s[0:1], vcc
	s_cbranch_execz .LBB534_76
; %bb.75:
	s_waitcnt lgkmcnt(0)
	flat_store_dword v[12:13], v3 offset:512
.LBB534_76:
	s_or_b64 exec, exec, s[0:1]
	v_or_b32_e32 v14, 0x100, v0
	v_cmp_gt_u32_e32 vcc, s30, v14
	s_and_saveexec_b64 s[0:1], vcc
	s_cbranch_execz .LBB534_78
; %bb.77:
	s_waitcnt lgkmcnt(0)
	flat_store_dword v[12:13], v6 offset:1024
.LBB534_78:
	;; [unrolled: 9-line block ×7, first 2 shown]
	s_or_b64 exec, exec, s[0:1]
	v_or_b32_e32 v14, 0x400, v0
	v_cmp_gt_u32_e32 vcc, s30, v14
	s_and_saveexec_b64 s[0:1], vcc
	s_cbranch_execz .LBB534_90
; %bb.89:
	v_add_co_u32_e32 v14, vcc, 0x1000, v12
	v_addc_co_u32_e32 v15, vcc, 0, v13, vcc
	s_waitcnt lgkmcnt(0)
	flat_store_dword v[14:15], v10
.LBB534_90:
	s_or_b64 exec, exec, s[0:1]
	v_or_b32_e32 v14, 0x480, v0
	v_cmp_gt_u32_e32 vcc, s30, v14
	s_and_saveexec_b64 s[0:1], vcc
	s_cbranch_execz .LBB534_92
; %bb.91:
	v_add_co_u32_e32 v12, vcc, 0x1000, v12
	v_addc_co_u32_e32 v13, vcc, 0, v13, vcc
	s_waitcnt lgkmcnt(0)
	flat_store_dword v[12:13], v11 offset:512
.LBB534_92:
	s_or_b64 exec, exec, s[0:1]
	v_cmp_lt_u64_e64 s[0:1], s[14:15], 2
	s_and_b64 vcc, exec, s[0:1]
	s_cbranch_vccnz .LBB534_127
; %bb.93:
	s_add_u32 s0, s30, -1
	s_addc_u32 s1, s31, -1
	s_add_u32 s2, 0, 0x99986000
	s_addc_u32 s3, 0, 0x59
	s_add_i32 s3, s3, 0x19999940
	s_mul_hi_u32 s7, s2, -10
	s_sub_i32 s7, s7, s2
	s_mul_i32 s8, s3, -10
	s_mul_i32 s4, s2, -10
	s_add_i32 s7, s7, s8
	s_mul_hi_u32 s5, s3, s4
	s_mul_i32 s6, s3, s4
	s_mul_i32 s9, s2, s7
	s_mul_hi_u32 s4, s2, s4
	s_mul_hi_u32 s8, s2, s7
	s_add_u32 s4, s4, s9
	s_addc_u32 s8, 0, s8
	s_add_u32 s4, s4, s6
	s_mul_hi_u32 s9, s3, s7
	s_addc_u32 s4, s8, s5
	s_addc_u32 s5, s9, 0
	s_mul_i32 s6, s3, s7
	s_add_u32 s4, s4, s6
	v_mov_b32_e32 v12, s4
	s_addc_u32 s5, 0, s5
	v_add_co_u32_e32 v12, vcc, s2, v12
	s_cmp_lg_u64 vcc, 0
	s_addc_u32 s2, s3, s5
	v_readfirstlane_b32 s5, v12
	s_mul_i32 s4, s0, s2
	s_mul_hi_u32 s6, s0, s5
	s_mul_hi_u32 s3, s0, s2
	s_add_u32 s4, s6, s4
	s_addc_u32 s3, 0, s3
	s_mul_hi_u32 s7, s1, s5
	s_mul_i32 s5, s1, s5
	s_add_u32 s4, s4, s5
	s_mul_hi_u32 s6, s1, s2
	s_addc_u32 s3, s3, s7
	s_addc_u32 s4, s6, 0
	s_mul_i32 s2, s1, s2
	s_add_u32 s2, s3, s2
	s_addc_u32 s3, 0, s4
	s_add_u32 s4, s2, 1
	s_addc_u32 s5, s3, 0
	s_add_u32 s6, s2, 2
	s_mul_i32 s8, s3, 10
	s_mul_hi_u32 s9, s2, 10
	s_addc_u32 s7, s3, 0
	s_add_i32 s9, s9, s8
	s_mul_i32 s8, s2, 10
	v_mov_b32_e32 v12, s8
	v_sub_co_u32_e32 v12, vcc, s0, v12
	s_cmp_lg_u64 vcc, 0
	s_subb_u32 s8, s1, s9
	v_subrev_co_u32_e32 v13, vcc, 10, v12
	s_cmp_lg_u64 vcc, 0
	s_subb_u32 s9, s8, 0
	v_readfirstlane_b32 s12, v13
	s_cmp_gt_u32 s12, 9
	s_cselect_b32 s12, -1, 0
	s_cmp_eq_u32 s9, 0
	s_cselect_b32 s9, s12, -1
	s_cmp_lg_u32 s9, 0
	s_cselect_b32 s4, s6, s4
	v_readfirstlane_b32 s6, v12
	s_cselect_b32 s5, s7, s5
	s_cmp_gt_u32 s6, 9
	s_cselect_b32 s6, -1, 0
	s_cmp_eq_u32 s8, 0
	s_cselect_b32 s6, s6, -1
	s_cmp_lg_u32 s6, 0
	s_cselect_b32 s3, s5, s3
	s_cselect_b32 s2, s4, s2
	v_cmp_eq_u64_e32 vcc, s[2:3], v[0:1]
	s_and_saveexec_b64 s[2:3], vcc
	s_cbranch_execz .LBB534_127
; %bb.94:
	v_mul_hi_u32_u24_e32 v1, 10, v0
	v_mov_b32_e32 v12, s1
	v_sub_co_u32_e32 v0, vcc, s0, v23
	v_subb_co_u32_e32 v1, vcc, v12, v1, vcc
	v_cmp_lt_i64_e32 vcc, 4, v[0:1]
	s_and_saveexec_b64 s[0:1], vcc
	s_xor_b64 s[0:1], exec, s[0:1]
	s_cbranch_execz .LBB534_112
; %bb.95:
	v_cmp_lt_i64_e32 vcc, 6, v[0:1]
	s_and_saveexec_b64 s[2:3], vcc
	s_xor_b64 s[2:3], exec, s[2:3]
	s_cbranch_execz .LBB534_105
; %bb.96:
	;; [unrolled: 5-line block ×4, first 2 shown]
	v_mov_b32_e32 v0, 0
	s_waitcnt lgkmcnt(0)
	global_store_dword v0, v11, s[10:11]
                                        ; implicit-def: $vgpr10_vgpr11
.LBB534_99:
	s_andn2_saveexec_b64 s[6:7], s[6:7]
	s_cbranch_execz .LBB534_101
; %bb.100:
	v_mov_b32_e32 v0, 0
	s_waitcnt lgkmcnt(0)
	global_store_dword v0, v10, s[10:11]
.LBB534_101:
	s_or_b64 exec, exec, s[6:7]
                                        ; implicit-def: $vgpr8_vgpr9
.LBB534_102:
	s_andn2_saveexec_b64 s[4:5], s[4:5]
	s_cbranch_execz .LBB534_104
; %bb.103:
	v_mov_b32_e32 v0, 0
	s_waitcnt lgkmcnt(0)
	global_store_dword v0, v9, s[10:11]
.LBB534_104:
	s_or_b64 exec, exec, s[4:5]
                                        ; implicit-def: $vgpr4_vgpr5
                                        ; implicit-def: $vgpr0_vgpr1
                                        ; implicit-def: $vgpr8_vgpr9
.LBB534_105:
	s_andn2_saveexec_b64 s[2:3], s[2:3]
	s_cbranch_execz .LBB534_111
; %bb.106:
	v_cmp_lt_i64_e32 vcc, 5, v[0:1]
	s_and_saveexec_b64 s[4:5], vcc
	s_xor_b64 s[4:5], exec, s[4:5]
	s_cbranch_execz .LBB534_108
; %bb.107:
	v_mov_b32_e32 v0, 0
	s_waitcnt lgkmcnt(0)
	global_store_dword v0, v8, s[10:11]
                                        ; implicit-def: $vgpr4_vgpr5
.LBB534_108:
	s_andn2_saveexec_b64 s[4:5], s[4:5]
	s_cbranch_execz .LBB534_110
; %bb.109:
	v_mov_b32_e32 v0, 0
	s_waitcnt lgkmcnt(0)
	global_store_dword v0, v5, s[10:11]
.LBB534_110:
	s_or_b64 exec, exec, s[4:5]
.LBB534_111:
	s_or_b64 exec, exec, s[2:3]
                                        ; implicit-def: $vgpr0_vgpr1
                                        ; implicit-def: $vgpr6_vgpr7
                                        ; implicit-def: $vgpr2_vgpr3
                                        ; implicit-def: $vgpr4_vgpr5
.LBB534_112:
	s_andn2_saveexec_b64 s[0:1], s[0:1]
	s_cbranch_execz .LBB534_127
; %bb.113:
	v_cmp_lt_i64_e32 vcc, 2, v[0:1]
	s_and_saveexec_b64 s[0:1], vcc
	s_xor_b64 s[0:1], exec, s[0:1]
	s_cbranch_execz .LBB534_119
; %bb.114:
	v_cmp_lt_i64_e32 vcc, 3, v[0:1]
	s_and_saveexec_b64 s[2:3], vcc
	s_xor_b64 s[2:3], exec, s[2:3]
	s_cbranch_execz .LBB534_116
; %bb.115:
	v_mov_b32_e32 v0, 0
	s_waitcnt lgkmcnt(0)
	global_store_dword v0, v4, s[10:11]
                                        ; implicit-def: $vgpr6_vgpr7
.LBB534_116:
	s_andn2_saveexec_b64 s[2:3], s[2:3]
	s_cbranch_execz .LBB534_118
; %bb.117:
	v_mov_b32_e32 v0, 0
	s_waitcnt lgkmcnt(0)
	global_store_dword v0, v7, s[10:11]
.LBB534_118:
	s_or_b64 exec, exec, s[2:3]
                                        ; implicit-def: $vgpr0_vgpr1
                                        ; implicit-def: $vgpr6_vgpr7
                                        ; implicit-def: $vgpr2_vgpr3
.LBB534_119:
	s_andn2_saveexec_b64 s[0:1], s[0:1]
	s_cbranch_execz .LBB534_127
; %bb.120:
	v_cmp_lt_i64_e32 vcc, 1, v[0:1]
	s_and_saveexec_b64 s[0:1], vcc
	s_xor_b64 s[0:1], exec, s[0:1]
	s_cbranch_execz .LBB534_122
; %bb.121:
	v_mov_b32_e32 v0, 0
	s_waitcnt lgkmcnt(0)
	global_store_dword v0, v6, s[10:11]
                                        ; implicit-def: $vgpr2_vgpr3
                                        ; implicit-def: $vgpr0_vgpr1
.LBB534_122:
	s_andn2_saveexec_b64 s[0:1], s[0:1]
	s_cbranch_execz .LBB534_127
; %bb.123:
	v_cmp_ne_u64_e32 vcc, 1, v[0:1]
	s_and_saveexec_b64 s[0:1], vcc
	s_xor_b64 s[0:1], exec, s[0:1]
	s_cbranch_execz .LBB534_125
; %bb.124:
	v_mov_b32_e32 v0, 0
	s_waitcnt lgkmcnt(0)
	global_store_dword v0, v2, s[10:11]
                                        ; implicit-def: $vgpr2_vgpr3
.LBB534_125:
	s_andn2_saveexec_b64 s[0:1], s[0:1]
	s_cbranch_execz .LBB534_127
; %bb.126:
	v_mov_b32_e32 v0, 0
	s_waitcnt lgkmcnt(0)
	global_store_dword v0, v3, s[10:11]
.LBB534_127:
	s_endpgm
	.section	.rodata,"a",@progbits
	.p2align	6, 0x0
	.amdhsa_kernel _ZN7rocprim17ROCPRIM_400000_NS6detail17trampoline_kernelINS0_14default_configENS1_20scan_config_selectorIiEEZZNS1_9scan_implILNS1_25lookback_scan_determinismE0ELb0ELb0ES3_N6thrust23THRUST_200600_302600_NS6detail15normal_iteratorINS9_10device_ptrIiEEEESE_iNS9_4plusIiEEiEEDaPvRmT3_T4_T5_mT6_P12ihipStream_tbENKUlT_T0_E_clISt17integral_constantIbLb1EESU_EEDaSP_SQ_EUlSP_E_NS1_11comp_targetILNS1_3genE4ELNS1_11target_archE910ELNS1_3gpuE8ELNS1_3repE0EEENS1_30default_config_static_selectorELNS0_4arch9wavefront6targetE1EEEvT1_
		.amdhsa_group_segment_fixed_size 5120
		.amdhsa_private_segment_fixed_size 0
		.amdhsa_kernarg_size 96
		.amdhsa_user_sgpr_count 6
		.amdhsa_user_sgpr_private_segment_buffer 1
		.amdhsa_user_sgpr_dispatch_ptr 0
		.amdhsa_user_sgpr_queue_ptr 0
		.amdhsa_user_sgpr_kernarg_segment_ptr 1
		.amdhsa_user_sgpr_dispatch_id 0
		.amdhsa_user_sgpr_flat_scratch_init 0
		.amdhsa_user_sgpr_kernarg_preload_length 0
		.amdhsa_user_sgpr_kernarg_preload_offset 0
		.amdhsa_user_sgpr_private_segment_size 0
		.amdhsa_uses_dynamic_stack 0
		.amdhsa_system_sgpr_private_segment_wavefront_offset 0
		.amdhsa_system_sgpr_workgroup_id_x 1
		.amdhsa_system_sgpr_workgroup_id_y 0
		.amdhsa_system_sgpr_workgroup_id_z 0
		.amdhsa_system_sgpr_workgroup_info 0
		.amdhsa_system_vgpr_workitem_id 0
		.amdhsa_next_free_vgpr 40
		.amdhsa_next_free_sgpr 38
		.amdhsa_accum_offset 40
		.amdhsa_reserve_vcc 1
		.amdhsa_reserve_flat_scratch 0
		.amdhsa_float_round_mode_32 0
		.amdhsa_float_round_mode_16_64 0
		.amdhsa_float_denorm_mode_32 3
		.amdhsa_float_denorm_mode_16_64 3
		.amdhsa_dx10_clamp 1
		.amdhsa_ieee_mode 1
		.amdhsa_fp16_overflow 0
		.amdhsa_tg_split 0
		.amdhsa_exception_fp_ieee_invalid_op 0
		.amdhsa_exception_fp_denorm_src 0
		.amdhsa_exception_fp_ieee_div_zero 0
		.amdhsa_exception_fp_ieee_overflow 0
		.amdhsa_exception_fp_ieee_underflow 0
		.amdhsa_exception_fp_ieee_inexact 0
		.amdhsa_exception_int_div_zero 0
	.end_amdhsa_kernel
	.section	.text._ZN7rocprim17ROCPRIM_400000_NS6detail17trampoline_kernelINS0_14default_configENS1_20scan_config_selectorIiEEZZNS1_9scan_implILNS1_25lookback_scan_determinismE0ELb0ELb0ES3_N6thrust23THRUST_200600_302600_NS6detail15normal_iteratorINS9_10device_ptrIiEEEESE_iNS9_4plusIiEEiEEDaPvRmT3_T4_T5_mT6_P12ihipStream_tbENKUlT_T0_E_clISt17integral_constantIbLb1EESU_EEDaSP_SQ_EUlSP_E_NS1_11comp_targetILNS1_3genE4ELNS1_11target_archE910ELNS1_3gpuE8ELNS1_3repE0EEENS1_30default_config_static_selectorELNS0_4arch9wavefront6targetE1EEEvT1_,"axG",@progbits,_ZN7rocprim17ROCPRIM_400000_NS6detail17trampoline_kernelINS0_14default_configENS1_20scan_config_selectorIiEEZZNS1_9scan_implILNS1_25lookback_scan_determinismE0ELb0ELb0ES3_N6thrust23THRUST_200600_302600_NS6detail15normal_iteratorINS9_10device_ptrIiEEEESE_iNS9_4plusIiEEiEEDaPvRmT3_T4_T5_mT6_P12ihipStream_tbENKUlT_T0_E_clISt17integral_constantIbLb1EESU_EEDaSP_SQ_EUlSP_E_NS1_11comp_targetILNS1_3genE4ELNS1_11target_archE910ELNS1_3gpuE8ELNS1_3repE0EEENS1_30default_config_static_selectorELNS0_4arch9wavefront6targetE1EEEvT1_,comdat
.Lfunc_end534:
	.size	_ZN7rocprim17ROCPRIM_400000_NS6detail17trampoline_kernelINS0_14default_configENS1_20scan_config_selectorIiEEZZNS1_9scan_implILNS1_25lookback_scan_determinismE0ELb0ELb0ES3_N6thrust23THRUST_200600_302600_NS6detail15normal_iteratorINS9_10device_ptrIiEEEESE_iNS9_4plusIiEEiEEDaPvRmT3_T4_T5_mT6_P12ihipStream_tbENKUlT_T0_E_clISt17integral_constantIbLb1EESU_EEDaSP_SQ_EUlSP_E_NS1_11comp_targetILNS1_3genE4ELNS1_11target_archE910ELNS1_3gpuE8ELNS1_3repE0EEENS1_30default_config_static_selectorELNS0_4arch9wavefront6targetE1EEEvT1_, .Lfunc_end534-_ZN7rocprim17ROCPRIM_400000_NS6detail17trampoline_kernelINS0_14default_configENS1_20scan_config_selectorIiEEZZNS1_9scan_implILNS1_25lookback_scan_determinismE0ELb0ELb0ES3_N6thrust23THRUST_200600_302600_NS6detail15normal_iteratorINS9_10device_ptrIiEEEESE_iNS9_4plusIiEEiEEDaPvRmT3_T4_T5_mT6_P12ihipStream_tbENKUlT_T0_E_clISt17integral_constantIbLb1EESU_EEDaSP_SQ_EUlSP_E_NS1_11comp_targetILNS1_3genE4ELNS1_11target_archE910ELNS1_3gpuE8ELNS1_3repE0EEENS1_30default_config_static_selectorELNS0_4arch9wavefront6targetE1EEEvT1_
                                        ; -- End function
	.section	.AMDGPU.csdata,"",@progbits
; Kernel info:
; codeLenInByte = 4644
; NumSgprs: 42
; NumVgprs: 40
; NumAgprs: 0
; TotalNumVgprs: 40
; ScratchSize: 0
; MemoryBound: 0
; FloatMode: 240
; IeeeMode: 1
; LDSByteSize: 5120 bytes/workgroup (compile time only)
; SGPRBlocks: 5
; VGPRBlocks: 4
; NumSGPRsForWavesPerEU: 42
; NumVGPRsForWavesPerEU: 40
; AccumOffset: 40
; Occupancy: 6
; WaveLimiterHint : 1
; COMPUTE_PGM_RSRC2:SCRATCH_EN: 0
; COMPUTE_PGM_RSRC2:USER_SGPR: 6
; COMPUTE_PGM_RSRC2:TRAP_HANDLER: 0
; COMPUTE_PGM_RSRC2:TGID_X_EN: 1
; COMPUTE_PGM_RSRC2:TGID_Y_EN: 0
; COMPUTE_PGM_RSRC2:TGID_Z_EN: 0
; COMPUTE_PGM_RSRC2:TIDIG_COMP_CNT: 0
; COMPUTE_PGM_RSRC3_GFX90A:ACCUM_OFFSET: 9
; COMPUTE_PGM_RSRC3_GFX90A:TG_SPLIT: 0
	.section	.text._ZN7rocprim17ROCPRIM_400000_NS6detail17trampoline_kernelINS0_14default_configENS1_20scan_config_selectorIiEEZZNS1_9scan_implILNS1_25lookback_scan_determinismE0ELb0ELb0ES3_N6thrust23THRUST_200600_302600_NS6detail15normal_iteratorINS9_10device_ptrIiEEEESE_iNS9_4plusIiEEiEEDaPvRmT3_T4_T5_mT6_P12ihipStream_tbENKUlT_T0_E_clISt17integral_constantIbLb1EESU_EEDaSP_SQ_EUlSP_E_NS1_11comp_targetILNS1_3genE3ELNS1_11target_archE908ELNS1_3gpuE7ELNS1_3repE0EEENS1_30default_config_static_selectorELNS0_4arch9wavefront6targetE1EEEvT1_,"axG",@progbits,_ZN7rocprim17ROCPRIM_400000_NS6detail17trampoline_kernelINS0_14default_configENS1_20scan_config_selectorIiEEZZNS1_9scan_implILNS1_25lookback_scan_determinismE0ELb0ELb0ES3_N6thrust23THRUST_200600_302600_NS6detail15normal_iteratorINS9_10device_ptrIiEEEESE_iNS9_4plusIiEEiEEDaPvRmT3_T4_T5_mT6_P12ihipStream_tbENKUlT_T0_E_clISt17integral_constantIbLb1EESU_EEDaSP_SQ_EUlSP_E_NS1_11comp_targetILNS1_3genE3ELNS1_11target_archE908ELNS1_3gpuE7ELNS1_3repE0EEENS1_30default_config_static_selectorELNS0_4arch9wavefront6targetE1EEEvT1_,comdat
	.protected	_ZN7rocprim17ROCPRIM_400000_NS6detail17trampoline_kernelINS0_14default_configENS1_20scan_config_selectorIiEEZZNS1_9scan_implILNS1_25lookback_scan_determinismE0ELb0ELb0ES3_N6thrust23THRUST_200600_302600_NS6detail15normal_iteratorINS9_10device_ptrIiEEEESE_iNS9_4plusIiEEiEEDaPvRmT3_T4_T5_mT6_P12ihipStream_tbENKUlT_T0_E_clISt17integral_constantIbLb1EESU_EEDaSP_SQ_EUlSP_E_NS1_11comp_targetILNS1_3genE3ELNS1_11target_archE908ELNS1_3gpuE7ELNS1_3repE0EEENS1_30default_config_static_selectorELNS0_4arch9wavefront6targetE1EEEvT1_ ; -- Begin function _ZN7rocprim17ROCPRIM_400000_NS6detail17trampoline_kernelINS0_14default_configENS1_20scan_config_selectorIiEEZZNS1_9scan_implILNS1_25lookback_scan_determinismE0ELb0ELb0ES3_N6thrust23THRUST_200600_302600_NS6detail15normal_iteratorINS9_10device_ptrIiEEEESE_iNS9_4plusIiEEiEEDaPvRmT3_T4_T5_mT6_P12ihipStream_tbENKUlT_T0_E_clISt17integral_constantIbLb1EESU_EEDaSP_SQ_EUlSP_E_NS1_11comp_targetILNS1_3genE3ELNS1_11target_archE908ELNS1_3gpuE7ELNS1_3repE0EEENS1_30default_config_static_selectorELNS0_4arch9wavefront6targetE1EEEvT1_
	.globl	_ZN7rocprim17ROCPRIM_400000_NS6detail17trampoline_kernelINS0_14default_configENS1_20scan_config_selectorIiEEZZNS1_9scan_implILNS1_25lookback_scan_determinismE0ELb0ELb0ES3_N6thrust23THRUST_200600_302600_NS6detail15normal_iteratorINS9_10device_ptrIiEEEESE_iNS9_4plusIiEEiEEDaPvRmT3_T4_T5_mT6_P12ihipStream_tbENKUlT_T0_E_clISt17integral_constantIbLb1EESU_EEDaSP_SQ_EUlSP_E_NS1_11comp_targetILNS1_3genE3ELNS1_11target_archE908ELNS1_3gpuE7ELNS1_3repE0EEENS1_30default_config_static_selectorELNS0_4arch9wavefront6targetE1EEEvT1_
	.p2align	8
	.type	_ZN7rocprim17ROCPRIM_400000_NS6detail17trampoline_kernelINS0_14default_configENS1_20scan_config_selectorIiEEZZNS1_9scan_implILNS1_25lookback_scan_determinismE0ELb0ELb0ES3_N6thrust23THRUST_200600_302600_NS6detail15normal_iteratorINS9_10device_ptrIiEEEESE_iNS9_4plusIiEEiEEDaPvRmT3_T4_T5_mT6_P12ihipStream_tbENKUlT_T0_E_clISt17integral_constantIbLb1EESU_EEDaSP_SQ_EUlSP_E_NS1_11comp_targetILNS1_3genE3ELNS1_11target_archE908ELNS1_3gpuE7ELNS1_3repE0EEENS1_30default_config_static_selectorELNS0_4arch9wavefront6targetE1EEEvT1_,@function
_ZN7rocprim17ROCPRIM_400000_NS6detail17trampoline_kernelINS0_14default_configENS1_20scan_config_selectorIiEEZZNS1_9scan_implILNS1_25lookback_scan_determinismE0ELb0ELb0ES3_N6thrust23THRUST_200600_302600_NS6detail15normal_iteratorINS9_10device_ptrIiEEEESE_iNS9_4plusIiEEiEEDaPvRmT3_T4_T5_mT6_P12ihipStream_tbENKUlT_T0_E_clISt17integral_constantIbLb1EESU_EEDaSP_SQ_EUlSP_E_NS1_11comp_targetILNS1_3genE3ELNS1_11target_archE908ELNS1_3gpuE7ELNS1_3repE0EEENS1_30default_config_static_selectorELNS0_4arch9wavefront6targetE1EEEvT1_: ; @_ZN7rocprim17ROCPRIM_400000_NS6detail17trampoline_kernelINS0_14default_configENS1_20scan_config_selectorIiEEZZNS1_9scan_implILNS1_25lookback_scan_determinismE0ELb0ELb0ES3_N6thrust23THRUST_200600_302600_NS6detail15normal_iteratorINS9_10device_ptrIiEEEESE_iNS9_4plusIiEEiEEDaPvRmT3_T4_T5_mT6_P12ihipStream_tbENKUlT_T0_E_clISt17integral_constantIbLb1EESU_EEDaSP_SQ_EUlSP_E_NS1_11comp_targetILNS1_3genE3ELNS1_11target_archE908ELNS1_3gpuE7ELNS1_3repE0EEENS1_30default_config_static_selectorELNS0_4arch9wavefront6targetE1EEEvT1_
; %bb.0:
	.section	.rodata,"a",@progbits
	.p2align	6, 0x0
	.amdhsa_kernel _ZN7rocprim17ROCPRIM_400000_NS6detail17trampoline_kernelINS0_14default_configENS1_20scan_config_selectorIiEEZZNS1_9scan_implILNS1_25lookback_scan_determinismE0ELb0ELb0ES3_N6thrust23THRUST_200600_302600_NS6detail15normal_iteratorINS9_10device_ptrIiEEEESE_iNS9_4plusIiEEiEEDaPvRmT3_T4_T5_mT6_P12ihipStream_tbENKUlT_T0_E_clISt17integral_constantIbLb1EESU_EEDaSP_SQ_EUlSP_E_NS1_11comp_targetILNS1_3genE3ELNS1_11target_archE908ELNS1_3gpuE7ELNS1_3repE0EEENS1_30default_config_static_selectorELNS0_4arch9wavefront6targetE1EEEvT1_
		.amdhsa_group_segment_fixed_size 0
		.amdhsa_private_segment_fixed_size 0
		.amdhsa_kernarg_size 96
		.amdhsa_user_sgpr_count 6
		.amdhsa_user_sgpr_private_segment_buffer 1
		.amdhsa_user_sgpr_dispatch_ptr 0
		.amdhsa_user_sgpr_queue_ptr 0
		.amdhsa_user_sgpr_kernarg_segment_ptr 1
		.amdhsa_user_sgpr_dispatch_id 0
		.amdhsa_user_sgpr_flat_scratch_init 0
		.amdhsa_user_sgpr_kernarg_preload_length 0
		.amdhsa_user_sgpr_kernarg_preload_offset 0
		.amdhsa_user_sgpr_private_segment_size 0
		.amdhsa_uses_dynamic_stack 0
		.amdhsa_system_sgpr_private_segment_wavefront_offset 0
		.amdhsa_system_sgpr_workgroup_id_x 1
		.amdhsa_system_sgpr_workgroup_id_y 0
		.amdhsa_system_sgpr_workgroup_id_z 0
		.amdhsa_system_sgpr_workgroup_info 0
		.amdhsa_system_vgpr_workitem_id 0
		.amdhsa_next_free_vgpr 1
		.amdhsa_next_free_sgpr 0
		.amdhsa_accum_offset 4
		.amdhsa_reserve_vcc 0
		.amdhsa_reserve_flat_scratch 0
		.amdhsa_float_round_mode_32 0
		.amdhsa_float_round_mode_16_64 0
		.amdhsa_float_denorm_mode_32 3
		.amdhsa_float_denorm_mode_16_64 3
		.amdhsa_dx10_clamp 1
		.amdhsa_ieee_mode 1
		.amdhsa_fp16_overflow 0
		.amdhsa_tg_split 0
		.amdhsa_exception_fp_ieee_invalid_op 0
		.amdhsa_exception_fp_denorm_src 0
		.amdhsa_exception_fp_ieee_div_zero 0
		.amdhsa_exception_fp_ieee_overflow 0
		.amdhsa_exception_fp_ieee_underflow 0
		.amdhsa_exception_fp_ieee_inexact 0
		.amdhsa_exception_int_div_zero 0
	.end_amdhsa_kernel
	.section	.text._ZN7rocprim17ROCPRIM_400000_NS6detail17trampoline_kernelINS0_14default_configENS1_20scan_config_selectorIiEEZZNS1_9scan_implILNS1_25lookback_scan_determinismE0ELb0ELb0ES3_N6thrust23THRUST_200600_302600_NS6detail15normal_iteratorINS9_10device_ptrIiEEEESE_iNS9_4plusIiEEiEEDaPvRmT3_T4_T5_mT6_P12ihipStream_tbENKUlT_T0_E_clISt17integral_constantIbLb1EESU_EEDaSP_SQ_EUlSP_E_NS1_11comp_targetILNS1_3genE3ELNS1_11target_archE908ELNS1_3gpuE7ELNS1_3repE0EEENS1_30default_config_static_selectorELNS0_4arch9wavefront6targetE1EEEvT1_,"axG",@progbits,_ZN7rocprim17ROCPRIM_400000_NS6detail17trampoline_kernelINS0_14default_configENS1_20scan_config_selectorIiEEZZNS1_9scan_implILNS1_25lookback_scan_determinismE0ELb0ELb0ES3_N6thrust23THRUST_200600_302600_NS6detail15normal_iteratorINS9_10device_ptrIiEEEESE_iNS9_4plusIiEEiEEDaPvRmT3_T4_T5_mT6_P12ihipStream_tbENKUlT_T0_E_clISt17integral_constantIbLb1EESU_EEDaSP_SQ_EUlSP_E_NS1_11comp_targetILNS1_3genE3ELNS1_11target_archE908ELNS1_3gpuE7ELNS1_3repE0EEENS1_30default_config_static_selectorELNS0_4arch9wavefront6targetE1EEEvT1_,comdat
.Lfunc_end535:
	.size	_ZN7rocprim17ROCPRIM_400000_NS6detail17trampoline_kernelINS0_14default_configENS1_20scan_config_selectorIiEEZZNS1_9scan_implILNS1_25lookback_scan_determinismE0ELb0ELb0ES3_N6thrust23THRUST_200600_302600_NS6detail15normal_iteratorINS9_10device_ptrIiEEEESE_iNS9_4plusIiEEiEEDaPvRmT3_T4_T5_mT6_P12ihipStream_tbENKUlT_T0_E_clISt17integral_constantIbLb1EESU_EEDaSP_SQ_EUlSP_E_NS1_11comp_targetILNS1_3genE3ELNS1_11target_archE908ELNS1_3gpuE7ELNS1_3repE0EEENS1_30default_config_static_selectorELNS0_4arch9wavefront6targetE1EEEvT1_, .Lfunc_end535-_ZN7rocprim17ROCPRIM_400000_NS6detail17trampoline_kernelINS0_14default_configENS1_20scan_config_selectorIiEEZZNS1_9scan_implILNS1_25lookback_scan_determinismE0ELb0ELb0ES3_N6thrust23THRUST_200600_302600_NS6detail15normal_iteratorINS9_10device_ptrIiEEEESE_iNS9_4plusIiEEiEEDaPvRmT3_T4_T5_mT6_P12ihipStream_tbENKUlT_T0_E_clISt17integral_constantIbLb1EESU_EEDaSP_SQ_EUlSP_E_NS1_11comp_targetILNS1_3genE3ELNS1_11target_archE908ELNS1_3gpuE7ELNS1_3repE0EEENS1_30default_config_static_selectorELNS0_4arch9wavefront6targetE1EEEvT1_
                                        ; -- End function
	.section	.AMDGPU.csdata,"",@progbits
; Kernel info:
; codeLenInByte = 0
; NumSgprs: 4
; NumVgprs: 0
; NumAgprs: 0
; TotalNumVgprs: 0
; ScratchSize: 0
; MemoryBound: 0
; FloatMode: 240
; IeeeMode: 1
; LDSByteSize: 0 bytes/workgroup (compile time only)
; SGPRBlocks: 0
; VGPRBlocks: 0
; NumSGPRsForWavesPerEU: 4
; NumVGPRsForWavesPerEU: 1
; AccumOffset: 4
; Occupancy: 8
; WaveLimiterHint : 0
; COMPUTE_PGM_RSRC2:SCRATCH_EN: 0
; COMPUTE_PGM_RSRC2:USER_SGPR: 6
; COMPUTE_PGM_RSRC2:TRAP_HANDLER: 0
; COMPUTE_PGM_RSRC2:TGID_X_EN: 1
; COMPUTE_PGM_RSRC2:TGID_Y_EN: 0
; COMPUTE_PGM_RSRC2:TGID_Z_EN: 0
; COMPUTE_PGM_RSRC2:TIDIG_COMP_CNT: 0
; COMPUTE_PGM_RSRC3_GFX90A:ACCUM_OFFSET: 0
; COMPUTE_PGM_RSRC3_GFX90A:TG_SPLIT: 0
	.section	.text._ZN7rocprim17ROCPRIM_400000_NS6detail17trampoline_kernelINS0_14default_configENS1_20scan_config_selectorIiEEZZNS1_9scan_implILNS1_25lookback_scan_determinismE0ELb0ELb0ES3_N6thrust23THRUST_200600_302600_NS6detail15normal_iteratorINS9_10device_ptrIiEEEESE_iNS9_4plusIiEEiEEDaPvRmT3_T4_T5_mT6_P12ihipStream_tbENKUlT_T0_E_clISt17integral_constantIbLb1EESU_EEDaSP_SQ_EUlSP_E_NS1_11comp_targetILNS1_3genE2ELNS1_11target_archE906ELNS1_3gpuE6ELNS1_3repE0EEENS1_30default_config_static_selectorELNS0_4arch9wavefront6targetE1EEEvT1_,"axG",@progbits,_ZN7rocprim17ROCPRIM_400000_NS6detail17trampoline_kernelINS0_14default_configENS1_20scan_config_selectorIiEEZZNS1_9scan_implILNS1_25lookback_scan_determinismE0ELb0ELb0ES3_N6thrust23THRUST_200600_302600_NS6detail15normal_iteratorINS9_10device_ptrIiEEEESE_iNS9_4plusIiEEiEEDaPvRmT3_T4_T5_mT6_P12ihipStream_tbENKUlT_T0_E_clISt17integral_constantIbLb1EESU_EEDaSP_SQ_EUlSP_E_NS1_11comp_targetILNS1_3genE2ELNS1_11target_archE906ELNS1_3gpuE6ELNS1_3repE0EEENS1_30default_config_static_selectorELNS0_4arch9wavefront6targetE1EEEvT1_,comdat
	.protected	_ZN7rocprim17ROCPRIM_400000_NS6detail17trampoline_kernelINS0_14default_configENS1_20scan_config_selectorIiEEZZNS1_9scan_implILNS1_25lookback_scan_determinismE0ELb0ELb0ES3_N6thrust23THRUST_200600_302600_NS6detail15normal_iteratorINS9_10device_ptrIiEEEESE_iNS9_4plusIiEEiEEDaPvRmT3_T4_T5_mT6_P12ihipStream_tbENKUlT_T0_E_clISt17integral_constantIbLb1EESU_EEDaSP_SQ_EUlSP_E_NS1_11comp_targetILNS1_3genE2ELNS1_11target_archE906ELNS1_3gpuE6ELNS1_3repE0EEENS1_30default_config_static_selectorELNS0_4arch9wavefront6targetE1EEEvT1_ ; -- Begin function _ZN7rocprim17ROCPRIM_400000_NS6detail17trampoline_kernelINS0_14default_configENS1_20scan_config_selectorIiEEZZNS1_9scan_implILNS1_25lookback_scan_determinismE0ELb0ELb0ES3_N6thrust23THRUST_200600_302600_NS6detail15normal_iteratorINS9_10device_ptrIiEEEESE_iNS9_4plusIiEEiEEDaPvRmT3_T4_T5_mT6_P12ihipStream_tbENKUlT_T0_E_clISt17integral_constantIbLb1EESU_EEDaSP_SQ_EUlSP_E_NS1_11comp_targetILNS1_3genE2ELNS1_11target_archE906ELNS1_3gpuE6ELNS1_3repE0EEENS1_30default_config_static_selectorELNS0_4arch9wavefront6targetE1EEEvT1_
	.globl	_ZN7rocprim17ROCPRIM_400000_NS6detail17trampoline_kernelINS0_14default_configENS1_20scan_config_selectorIiEEZZNS1_9scan_implILNS1_25lookback_scan_determinismE0ELb0ELb0ES3_N6thrust23THRUST_200600_302600_NS6detail15normal_iteratorINS9_10device_ptrIiEEEESE_iNS9_4plusIiEEiEEDaPvRmT3_T4_T5_mT6_P12ihipStream_tbENKUlT_T0_E_clISt17integral_constantIbLb1EESU_EEDaSP_SQ_EUlSP_E_NS1_11comp_targetILNS1_3genE2ELNS1_11target_archE906ELNS1_3gpuE6ELNS1_3repE0EEENS1_30default_config_static_selectorELNS0_4arch9wavefront6targetE1EEEvT1_
	.p2align	8
	.type	_ZN7rocprim17ROCPRIM_400000_NS6detail17trampoline_kernelINS0_14default_configENS1_20scan_config_selectorIiEEZZNS1_9scan_implILNS1_25lookback_scan_determinismE0ELb0ELb0ES3_N6thrust23THRUST_200600_302600_NS6detail15normal_iteratorINS9_10device_ptrIiEEEESE_iNS9_4plusIiEEiEEDaPvRmT3_T4_T5_mT6_P12ihipStream_tbENKUlT_T0_E_clISt17integral_constantIbLb1EESU_EEDaSP_SQ_EUlSP_E_NS1_11comp_targetILNS1_3genE2ELNS1_11target_archE906ELNS1_3gpuE6ELNS1_3repE0EEENS1_30default_config_static_selectorELNS0_4arch9wavefront6targetE1EEEvT1_,@function
_ZN7rocprim17ROCPRIM_400000_NS6detail17trampoline_kernelINS0_14default_configENS1_20scan_config_selectorIiEEZZNS1_9scan_implILNS1_25lookback_scan_determinismE0ELb0ELb0ES3_N6thrust23THRUST_200600_302600_NS6detail15normal_iteratorINS9_10device_ptrIiEEEESE_iNS9_4plusIiEEiEEDaPvRmT3_T4_T5_mT6_P12ihipStream_tbENKUlT_T0_E_clISt17integral_constantIbLb1EESU_EEDaSP_SQ_EUlSP_E_NS1_11comp_targetILNS1_3genE2ELNS1_11target_archE906ELNS1_3gpuE6ELNS1_3repE0EEENS1_30default_config_static_selectorELNS0_4arch9wavefront6targetE1EEEvT1_: ; @_ZN7rocprim17ROCPRIM_400000_NS6detail17trampoline_kernelINS0_14default_configENS1_20scan_config_selectorIiEEZZNS1_9scan_implILNS1_25lookback_scan_determinismE0ELb0ELb0ES3_N6thrust23THRUST_200600_302600_NS6detail15normal_iteratorINS9_10device_ptrIiEEEESE_iNS9_4plusIiEEiEEDaPvRmT3_T4_T5_mT6_P12ihipStream_tbENKUlT_T0_E_clISt17integral_constantIbLb1EESU_EEDaSP_SQ_EUlSP_E_NS1_11comp_targetILNS1_3genE2ELNS1_11target_archE906ELNS1_3gpuE6ELNS1_3repE0EEENS1_30default_config_static_selectorELNS0_4arch9wavefront6targetE1EEEvT1_
; %bb.0:
	.section	.rodata,"a",@progbits
	.p2align	6, 0x0
	.amdhsa_kernel _ZN7rocprim17ROCPRIM_400000_NS6detail17trampoline_kernelINS0_14default_configENS1_20scan_config_selectorIiEEZZNS1_9scan_implILNS1_25lookback_scan_determinismE0ELb0ELb0ES3_N6thrust23THRUST_200600_302600_NS6detail15normal_iteratorINS9_10device_ptrIiEEEESE_iNS9_4plusIiEEiEEDaPvRmT3_T4_T5_mT6_P12ihipStream_tbENKUlT_T0_E_clISt17integral_constantIbLb1EESU_EEDaSP_SQ_EUlSP_E_NS1_11comp_targetILNS1_3genE2ELNS1_11target_archE906ELNS1_3gpuE6ELNS1_3repE0EEENS1_30default_config_static_selectorELNS0_4arch9wavefront6targetE1EEEvT1_
		.amdhsa_group_segment_fixed_size 0
		.amdhsa_private_segment_fixed_size 0
		.amdhsa_kernarg_size 96
		.amdhsa_user_sgpr_count 6
		.amdhsa_user_sgpr_private_segment_buffer 1
		.amdhsa_user_sgpr_dispatch_ptr 0
		.amdhsa_user_sgpr_queue_ptr 0
		.amdhsa_user_sgpr_kernarg_segment_ptr 1
		.amdhsa_user_sgpr_dispatch_id 0
		.amdhsa_user_sgpr_flat_scratch_init 0
		.amdhsa_user_sgpr_kernarg_preload_length 0
		.amdhsa_user_sgpr_kernarg_preload_offset 0
		.amdhsa_user_sgpr_private_segment_size 0
		.amdhsa_uses_dynamic_stack 0
		.amdhsa_system_sgpr_private_segment_wavefront_offset 0
		.amdhsa_system_sgpr_workgroup_id_x 1
		.amdhsa_system_sgpr_workgroup_id_y 0
		.amdhsa_system_sgpr_workgroup_id_z 0
		.amdhsa_system_sgpr_workgroup_info 0
		.amdhsa_system_vgpr_workitem_id 0
		.amdhsa_next_free_vgpr 1
		.amdhsa_next_free_sgpr 0
		.amdhsa_accum_offset 4
		.amdhsa_reserve_vcc 0
		.amdhsa_reserve_flat_scratch 0
		.amdhsa_float_round_mode_32 0
		.amdhsa_float_round_mode_16_64 0
		.amdhsa_float_denorm_mode_32 3
		.amdhsa_float_denorm_mode_16_64 3
		.amdhsa_dx10_clamp 1
		.amdhsa_ieee_mode 1
		.amdhsa_fp16_overflow 0
		.amdhsa_tg_split 0
		.amdhsa_exception_fp_ieee_invalid_op 0
		.amdhsa_exception_fp_denorm_src 0
		.amdhsa_exception_fp_ieee_div_zero 0
		.amdhsa_exception_fp_ieee_overflow 0
		.amdhsa_exception_fp_ieee_underflow 0
		.amdhsa_exception_fp_ieee_inexact 0
		.amdhsa_exception_int_div_zero 0
	.end_amdhsa_kernel
	.section	.text._ZN7rocprim17ROCPRIM_400000_NS6detail17trampoline_kernelINS0_14default_configENS1_20scan_config_selectorIiEEZZNS1_9scan_implILNS1_25lookback_scan_determinismE0ELb0ELb0ES3_N6thrust23THRUST_200600_302600_NS6detail15normal_iteratorINS9_10device_ptrIiEEEESE_iNS9_4plusIiEEiEEDaPvRmT3_T4_T5_mT6_P12ihipStream_tbENKUlT_T0_E_clISt17integral_constantIbLb1EESU_EEDaSP_SQ_EUlSP_E_NS1_11comp_targetILNS1_3genE2ELNS1_11target_archE906ELNS1_3gpuE6ELNS1_3repE0EEENS1_30default_config_static_selectorELNS0_4arch9wavefront6targetE1EEEvT1_,"axG",@progbits,_ZN7rocprim17ROCPRIM_400000_NS6detail17trampoline_kernelINS0_14default_configENS1_20scan_config_selectorIiEEZZNS1_9scan_implILNS1_25lookback_scan_determinismE0ELb0ELb0ES3_N6thrust23THRUST_200600_302600_NS6detail15normal_iteratorINS9_10device_ptrIiEEEESE_iNS9_4plusIiEEiEEDaPvRmT3_T4_T5_mT6_P12ihipStream_tbENKUlT_T0_E_clISt17integral_constantIbLb1EESU_EEDaSP_SQ_EUlSP_E_NS1_11comp_targetILNS1_3genE2ELNS1_11target_archE906ELNS1_3gpuE6ELNS1_3repE0EEENS1_30default_config_static_selectorELNS0_4arch9wavefront6targetE1EEEvT1_,comdat
.Lfunc_end536:
	.size	_ZN7rocprim17ROCPRIM_400000_NS6detail17trampoline_kernelINS0_14default_configENS1_20scan_config_selectorIiEEZZNS1_9scan_implILNS1_25lookback_scan_determinismE0ELb0ELb0ES3_N6thrust23THRUST_200600_302600_NS6detail15normal_iteratorINS9_10device_ptrIiEEEESE_iNS9_4plusIiEEiEEDaPvRmT3_T4_T5_mT6_P12ihipStream_tbENKUlT_T0_E_clISt17integral_constantIbLb1EESU_EEDaSP_SQ_EUlSP_E_NS1_11comp_targetILNS1_3genE2ELNS1_11target_archE906ELNS1_3gpuE6ELNS1_3repE0EEENS1_30default_config_static_selectorELNS0_4arch9wavefront6targetE1EEEvT1_, .Lfunc_end536-_ZN7rocprim17ROCPRIM_400000_NS6detail17trampoline_kernelINS0_14default_configENS1_20scan_config_selectorIiEEZZNS1_9scan_implILNS1_25lookback_scan_determinismE0ELb0ELb0ES3_N6thrust23THRUST_200600_302600_NS6detail15normal_iteratorINS9_10device_ptrIiEEEESE_iNS9_4plusIiEEiEEDaPvRmT3_T4_T5_mT6_P12ihipStream_tbENKUlT_T0_E_clISt17integral_constantIbLb1EESU_EEDaSP_SQ_EUlSP_E_NS1_11comp_targetILNS1_3genE2ELNS1_11target_archE906ELNS1_3gpuE6ELNS1_3repE0EEENS1_30default_config_static_selectorELNS0_4arch9wavefront6targetE1EEEvT1_
                                        ; -- End function
	.section	.AMDGPU.csdata,"",@progbits
; Kernel info:
; codeLenInByte = 0
; NumSgprs: 4
; NumVgprs: 0
; NumAgprs: 0
; TotalNumVgprs: 0
; ScratchSize: 0
; MemoryBound: 0
; FloatMode: 240
; IeeeMode: 1
; LDSByteSize: 0 bytes/workgroup (compile time only)
; SGPRBlocks: 0
; VGPRBlocks: 0
; NumSGPRsForWavesPerEU: 4
; NumVGPRsForWavesPerEU: 1
; AccumOffset: 4
; Occupancy: 8
; WaveLimiterHint : 0
; COMPUTE_PGM_RSRC2:SCRATCH_EN: 0
; COMPUTE_PGM_RSRC2:USER_SGPR: 6
; COMPUTE_PGM_RSRC2:TRAP_HANDLER: 0
; COMPUTE_PGM_RSRC2:TGID_X_EN: 1
; COMPUTE_PGM_RSRC2:TGID_Y_EN: 0
; COMPUTE_PGM_RSRC2:TGID_Z_EN: 0
; COMPUTE_PGM_RSRC2:TIDIG_COMP_CNT: 0
; COMPUTE_PGM_RSRC3_GFX90A:ACCUM_OFFSET: 0
; COMPUTE_PGM_RSRC3_GFX90A:TG_SPLIT: 0
	.section	.text._ZN7rocprim17ROCPRIM_400000_NS6detail17trampoline_kernelINS0_14default_configENS1_20scan_config_selectorIiEEZZNS1_9scan_implILNS1_25lookback_scan_determinismE0ELb0ELb0ES3_N6thrust23THRUST_200600_302600_NS6detail15normal_iteratorINS9_10device_ptrIiEEEESE_iNS9_4plusIiEEiEEDaPvRmT3_T4_T5_mT6_P12ihipStream_tbENKUlT_T0_E_clISt17integral_constantIbLb1EESU_EEDaSP_SQ_EUlSP_E_NS1_11comp_targetILNS1_3genE10ELNS1_11target_archE1201ELNS1_3gpuE5ELNS1_3repE0EEENS1_30default_config_static_selectorELNS0_4arch9wavefront6targetE1EEEvT1_,"axG",@progbits,_ZN7rocprim17ROCPRIM_400000_NS6detail17trampoline_kernelINS0_14default_configENS1_20scan_config_selectorIiEEZZNS1_9scan_implILNS1_25lookback_scan_determinismE0ELb0ELb0ES3_N6thrust23THRUST_200600_302600_NS6detail15normal_iteratorINS9_10device_ptrIiEEEESE_iNS9_4plusIiEEiEEDaPvRmT3_T4_T5_mT6_P12ihipStream_tbENKUlT_T0_E_clISt17integral_constantIbLb1EESU_EEDaSP_SQ_EUlSP_E_NS1_11comp_targetILNS1_3genE10ELNS1_11target_archE1201ELNS1_3gpuE5ELNS1_3repE0EEENS1_30default_config_static_selectorELNS0_4arch9wavefront6targetE1EEEvT1_,comdat
	.protected	_ZN7rocprim17ROCPRIM_400000_NS6detail17trampoline_kernelINS0_14default_configENS1_20scan_config_selectorIiEEZZNS1_9scan_implILNS1_25lookback_scan_determinismE0ELb0ELb0ES3_N6thrust23THRUST_200600_302600_NS6detail15normal_iteratorINS9_10device_ptrIiEEEESE_iNS9_4plusIiEEiEEDaPvRmT3_T4_T5_mT6_P12ihipStream_tbENKUlT_T0_E_clISt17integral_constantIbLb1EESU_EEDaSP_SQ_EUlSP_E_NS1_11comp_targetILNS1_3genE10ELNS1_11target_archE1201ELNS1_3gpuE5ELNS1_3repE0EEENS1_30default_config_static_selectorELNS0_4arch9wavefront6targetE1EEEvT1_ ; -- Begin function _ZN7rocprim17ROCPRIM_400000_NS6detail17trampoline_kernelINS0_14default_configENS1_20scan_config_selectorIiEEZZNS1_9scan_implILNS1_25lookback_scan_determinismE0ELb0ELb0ES3_N6thrust23THRUST_200600_302600_NS6detail15normal_iteratorINS9_10device_ptrIiEEEESE_iNS9_4plusIiEEiEEDaPvRmT3_T4_T5_mT6_P12ihipStream_tbENKUlT_T0_E_clISt17integral_constantIbLb1EESU_EEDaSP_SQ_EUlSP_E_NS1_11comp_targetILNS1_3genE10ELNS1_11target_archE1201ELNS1_3gpuE5ELNS1_3repE0EEENS1_30default_config_static_selectorELNS0_4arch9wavefront6targetE1EEEvT1_
	.globl	_ZN7rocprim17ROCPRIM_400000_NS6detail17trampoline_kernelINS0_14default_configENS1_20scan_config_selectorIiEEZZNS1_9scan_implILNS1_25lookback_scan_determinismE0ELb0ELb0ES3_N6thrust23THRUST_200600_302600_NS6detail15normal_iteratorINS9_10device_ptrIiEEEESE_iNS9_4plusIiEEiEEDaPvRmT3_T4_T5_mT6_P12ihipStream_tbENKUlT_T0_E_clISt17integral_constantIbLb1EESU_EEDaSP_SQ_EUlSP_E_NS1_11comp_targetILNS1_3genE10ELNS1_11target_archE1201ELNS1_3gpuE5ELNS1_3repE0EEENS1_30default_config_static_selectorELNS0_4arch9wavefront6targetE1EEEvT1_
	.p2align	8
	.type	_ZN7rocprim17ROCPRIM_400000_NS6detail17trampoline_kernelINS0_14default_configENS1_20scan_config_selectorIiEEZZNS1_9scan_implILNS1_25lookback_scan_determinismE0ELb0ELb0ES3_N6thrust23THRUST_200600_302600_NS6detail15normal_iteratorINS9_10device_ptrIiEEEESE_iNS9_4plusIiEEiEEDaPvRmT3_T4_T5_mT6_P12ihipStream_tbENKUlT_T0_E_clISt17integral_constantIbLb1EESU_EEDaSP_SQ_EUlSP_E_NS1_11comp_targetILNS1_3genE10ELNS1_11target_archE1201ELNS1_3gpuE5ELNS1_3repE0EEENS1_30default_config_static_selectorELNS0_4arch9wavefront6targetE1EEEvT1_,@function
_ZN7rocprim17ROCPRIM_400000_NS6detail17trampoline_kernelINS0_14default_configENS1_20scan_config_selectorIiEEZZNS1_9scan_implILNS1_25lookback_scan_determinismE0ELb0ELb0ES3_N6thrust23THRUST_200600_302600_NS6detail15normal_iteratorINS9_10device_ptrIiEEEESE_iNS9_4plusIiEEiEEDaPvRmT3_T4_T5_mT6_P12ihipStream_tbENKUlT_T0_E_clISt17integral_constantIbLb1EESU_EEDaSP_SQ_EUlSP_E_NS1_11comp_targetILNS1_3genE10ELNS1_11target_archE1201ELNS1_3gpuE5ELNS1_3repE0EEENS1_30default_config_static_selectorELNS0_4arch9wavefront6targetE1EEEvT1_: ; @_ZN7rocprim17ROCPRIM_400000_NS6detail17trampoline_kernelINS0_14default_configENS1_20scan_config_selectorIiEEZZNS1_9scan_implILNS1_25lookback_scan_determinismE0ELb0ELb0ES3_N6thrust23THRUST_200600_302600_NS6detail15normal_iteratorINS9_10device_ptrIiEEEESE_iNS9_4plusIiEEiEEDaPvRmT3_T4_T5_mT6_P12ihipStream_tbENKUlT_T0_E_clISt17integral_constantIbLb1EESU_EEDaSP_SQ_EUlSP_E_NS1_11comp_targetILNS1_3genE10ELNS1_11target_archE1201ELNS1_3gpuE5ELNS1_3repE0EEENS1_30default_config_static_selectorELNS0_4arch9wavefront6targetE1EEEvT1_
; %bb.0:
	.section	.rodata,"a",@progbits
	.p2align	6, 0x0
	.amdhsa_kernel _ZN7rocprim17ROCPRIM_400000_NS6detail17trampoline_kernelINS0_14default_configENS1_20scan_config_selectorIiEEZZNS1_9scan_implILNS1_25lookback_scan_determinismE0ELb0ELb0ES3_N6thrust23THRUST_200600_302600_NS6detail15normal_iteratorINS9_10device_ptrIiEEEESE_iNS9_4plusIiEEiEEDaPvRmT3_T4_T5_mT6_P12ihipStream_tbENKUlT_T0_E_clISt17integral_constantIbLb1EESU_EEDaSP_SQ_EUlSP_E_NS1_11comp_targetILNS1_3genE10ELNS1_11target_archE1201ELNS1_3gpuE5ELNS1_3repE0EEENS1_30default_config_static_selectorELNS0_4arch9wavefront6targetE1EEEvT1_
		.amdhsa_group_segment_fixed_size 0
		.amdhsa_private_segment_fixed_size 0
		.amdhsa_kernarg_size 96
		.amdhsa_user_sgpr_count 6
		.amdhsa_user_sgpr_private_segment_buffer 1
		.amdhsa_user_sgpr_dispatch_ptr 0
		.amdhsa_user_sgpr_queue_ptr 0
		.amdhsa_user_sgpr_kernarg_segment_ptr 1
		.amdhsa_user_sgpr_dispatch_id 0
		.amdhsa_user_sgpr_flat_scratch_init 0
		.amdhsa_user_sgpr_kernarg_preload_length 0
		.amdhsa_user_sgpr_kernarg_preload_offset 0
		.amdhsa_user_sgpr_private_segment_size 0
		.amdhsa_uses_dynamic_stack 0
		.amdhsa_system_sgpr_private_segment_wavefront_offset 0
		.amdhsa_system_sgpr_workgroup_id_x 1
		.amdhsa_system_sgpr_workgroup_id_y 0
		.amdhsa_system_sgpr_workgroup_id_z 0
		.amdhsa_system_sgpr_workgroup_info 0
		.amdhsa_system_vgpr_workitem_id 0
		.amdhsa_next_free_vgpr 1
		.amdhsa_next_free_sgpr 0
		.amdhsa_accum_offset 4
		.amdhsa_reserve_vcc 0
		.amdhsa_reserve_flat_scratch 0
		.amdhsa_float_round_mode_32 0
		.amdhsa_float_round_mode_16_64 0
		.amdhsa_float_denorm_mode_32 3
		.amdhsa_float_denorm_mode_16_64 3
		.amdhsa_dx10_clamp 1
		.amdhsa_ieee_mode 1
		.amdhsa_fp16_overflow 0
		.amdhsa_tg_split 0
		.amdhsa_exception_fp_ieee_invalid_op 0
		.amdhsa_exception_fp_denorm_src 0
		.amdhsa_exception_fp_ieee_div_zero 0
		.amdhsa_exception_fp_ieee_overflow 0
		.amdhsa_exception_fp_ieee_underflow 0
		.amdhsa_exception_fp_ieee_inexact 0
		.amdhsa_exception_int_div_zero 0
	.end_amdhsa_kernel
	.section	.text._ZN7rocprim17ROCPRIM_400000_NS6detail17trampoline_kernelINS0_14default_configENS1_20scan_config_selectorIiEEZZNS1_9scan_implILNS1_25lookback_scan_determinismE0ELb0ELb0ES3_N6thrust23THRUST_200600_302600_NS6detail15normal_iteratorINS9_10device_ptrIiEEEESE_iNS9_4plusIiEEiEEDaPvRmT3_T4_T5_mT6_P12ihipStream_tbENKUlT_T0_E_clISt17integral_constantIbLb1EESU_EEDaSP_SQ_EUlSP_E_NS1_11comp_targetILNS1_3genE10ELNS1_11target_archE1201ELNS1_3gpuE5ELNS1_3repE0EEENS1_30default_config_static_selectorELNS0_4arch9wavefront6targetE1EEEvT1_,"axG",@progbits,_ZN7rocprim17ROCPRIM_400000_NS6detail17trampoline_kernelINS0_14default_configENS1_20scan_config_selectorIiEEZZNS1_9scan_implILNS1_25lookback_scan_determinismE0ELb0ELb0ES3_N6thrust23THRUST_200600_302600_NS6detail15normal_iteratorINS9_10device_ptrIiEEEESE_iNS9_4plusIiEEiEEDaPvRmT3_T4_T5_mT6_P12ihipStream_tbENKUlT_T0_E_clISt17integral_constantIbLb1EESU_EEDaSP_SQ_EUlSP_E_NS1_11comp_targetILNS1_3genE10ELNS1_11target_archE1201ELNS1_3gpuE5ELNS1_3repE0EEENS1_30default_config_static_selectorELNS0_4arch9wavefront6targetE1EEEvT1_,comdat
.Lfunc_end537:
	.size	_ZN7rocprim17ROCPRIM_400000_NS6detail17trampoline_kernelINS0_14default_configENS1_20scan_config_selectorIiEEZZNS1_9scan_implILNS1_25lookback_scan_determinismE0ELb0ELb0ES3_N6thrust23THRUST_200600_302600_NS6detail15normal_iteratorINS9_10device_ptrIiEEEESE_iNS9_4plusIiEEiEEDaPvRmT3_T4_T5_mT6_P12ihipStream_tbENKUlT_T0_E_clISt17integral_constantIbLb1EESU_EEDaSP_SQ_EUlSP_E_NS1_11comp_targetILNS1_3genE10ELNS1_11target_archE1201ELNS1_3gpuE5ELNS1_3repE0EEENS1_30default_config_static_selectorELNS0_4arch9wavefront6targetE1EEEvT1_, .Lfunc_end537-_ZN7rocprim17ROCPRIM_400000_NS6detail17trampoline_kernelINS0_14default_configENS1_20scan_config_selectorIiEEZZNS1_9scan_implILNS1_25lookback_scan_determinismE0ELb0ELb0ES3_N6thrust23THRUST_200600_302600_NS6detail15normal_iteratorINS9_10device_ptrIiEEEESE_iNS9_4plusIiEEiEEDaPvRmT3_T4_T5_mT6_P12ihipStream_tbENKUlT_T0_E_clISt17integral_constantIbLb1EESU_EEDaSP_SQ_EUlSP_E_NS1_11comp_targetILNS1_3genE10ELNS1_11target_archE1201ELNS1_3gpuE5ELNS1_3repE0EEENS1_30default_config_static_selectorELNS0_4arch9wavefront6targetE1EEEvT1_
                                        ; -- End function
	.section	.AMDGPU.csdata,"",@progbits
; Kernel info:
; codeLenInByte = 0
; NumSgprs: 4
; NumVgprs: 0
; NumAgprs: 0
; TotalNumVgprs: 0
; ScratchSize: 0
; MemoryBound: 0
; FloatMode: 240
; IeeeMode: 1
; LDSByteSize: 0 bytes/workgroup (compile time only)
; SGPRBlocks: 0
; VGPRBlocks: 0
; NumSGPRsForWavesPerEU: 4
; NumVGPRsForWavesPerEU: 1
; AccumOffset: 4
; Occupancy: 8
; WaveLimiterHint : 0
; COMPUTE_PGM_RSRC2:SCRATCH_EN: 0
; COMPUTE_PGM_RSRC2:USER_SGPR: 6
; COMPUTE_PGM_RSRC2:TRAP_HANDLER: 0
; COMPUTE_PGM_RSRC2:TGID_X_EN: 1
; COMPUTE_PGM_RSRC2:TGID_Y_EN: 0
; COMPUTE_PGM_RSRC2:TGID_Z_EN: 0
; COMPUTE_PGM_RSRC2:TIDIG_COMP_CNT: 0
; COMPUTE_PGM_RSRC3_GFX90A:ACCUM_OFFSET: 0
; COMPUTE_PGM_RSRC3_GFX90A:TG_SPLIT: 0
	.section	.text._ZN7rocprim17ROCPRIM_400000_NS6detail17trampoline_kernelINS0_14default_configENS1_20scan_config_selectorIiEEZZNS1_9scan_implILNS1_25lookback_scan_determinismE0ELb0ELb0ES3_N6thrust23THRUST_200600_302600_NS6detail15normal_iteratorINS9_10device_ptrIiEEEESE_iNS9_4plusIiEEiEEDaPvRmT3_T4_T5_mT6_P12ihipStream_tbENKUlT_T0_E_clISt17integral_constantIbLb1EESU_EEDaSP_SQ_EUlSP_E_NS1_11comp_targetILNS1_3genE10ELNS1_11target_archE1200ELNS1_3gpuE4ELNS1_3repE0EEENS1_30default_config_static_selectorELNS0_4arch9wavefront6targetE1EEEvT1_,"axG",@progbits,_ZN7rocprim17ROCPRIM_400000_NS6detail17trampoline_kernelINS0_14default_configENS1_20scan_config_selectorIiEEZZNS1_9scan_implILNS1_25lookback_scan_determinismE0ELb0ELb0ES3_N6thrust23THRUST_200600_302600_NS6detail15normal_iteratorINS9_10device_ptrIiEEEESE_iNS9_4plusIiEEiEEDaPvRmT3_T4_T5_mT6_P12ihipStream_tbENKUlT_T0_E_clISt17integral_constantIbLb1EESU_EEDaSP_SQ_EUlSP_E_NS1_11comp_targetILNS1_3genE10ELNS1_11target_archE1200ELNS1_3gpuE4ELNS1_3repE0EEENS1_30default_config_static_selectorELNS0_4arch9wavefront6targetE1EEEvT1_,comdat
	.protected	_ZN7rocprim17ROCPRIM_400000_NS6detail17trampoline_kernelINS0_14default_configENS1_20scan_config_selectorIiEEZZNS1_9scan_implILNS1_25lookback_scan_determinismE0ELb0ELb0ES3_N6thrust23THRUST_200600_302600_NS6detail15normal_iteratorINS9_10device_ptrIiEEEESE_iNS9_4plusIiEEiEEDaPvRmT3_T4_T5_mT6_P12ihipStream_tbENKUlT_T0_E_clISt17integral_constantIbLb1EESU_EEDaSP_SQ_EUlSP_E_NS1_11comp_targetILNS1_3genE10ELNS1_11target_archE1200ELNS1_3gpuE4ELNS1_3repE0EEENS1_30default_config_static_selectorELNS0_4arch9wavefront6targetE1EEEvT1_ ; -- Begin function _ZN7rocprim17ROCPRIM_400000_NS6detail17trampoline_kernelINS0_14default_configENS1_20scan_config_selectorIiEEZZNS1_9scan_implILNS1_25lookback_scan_determinismE0ELb0ELb0ES3_N6thrust23THRUST_200600_302600_NS6detail15normal_iteratorINS9_10device_ptrIiEEEESE_iNS9_4plusIiEEiEEDaPvRmT3_T4_T5_mT6_P12ihipStream_tbENKUlT_T0_E_clISt17integral_constantIbLb1EESU_EEDaSP_SQ_EUlSP_E_NS1_11comp_targetILNS1_3genE10ELNS1_11target_archE1200ELNS1_3gpuE4ELNS1_3repE0EEENS1_30default_config_static_selectorELNS0_4arch9wavefront6targetE1EEEvT1_
	.globl	_ZN7rocprim17ROCPRIM_400000_NS6detail17trampoline_kernelINS0_14default_configENS1_20scan_config_selectorIiEEZZNS1_9scan_implILNS1_25lookback_scan_determinismE0ELb0ELb0ES3_N6thrust23THRUST_200600_302600_NS6detail15normal_iteratorINS9_10device_ptrIiEEEESE_iNS9_4plusIiEEiEEDaPvRmT3_T4_T5_mT6_P12ihipStream_tbENKUlT_T0_E_clISt17integral_constantIbLb1EESU_EEDaSP_SQ_EUlSP_E_NS1_11comp_targetILNS1_3genE10ELNS1_11target_archE1200ELNS1_3gpuE4ELNS1_3repE0EEENS1_30default_config_static_selectorELNS0_4arch9wavefront6targetE1EEEvT1_
	.p2align	8
	.type	_ZN7rocprim17ROCPRIM_400000_NS6detail17trampoline_kernelINS0_14default_configENS1_20scan_config_selectorIiEEZZNS1_9scan_implILNS1_25lookback_scan_determinismE0ELb0ELb0ES3_N6thrust23THRUST_200600_302600_NS6detail15normal_iteratorINS9_10device_ptrIiEEEESE_iNS9_4plusIiEEiEEDaPvRmT3_T4_T5_mT6_P12ihipStream_tbENKUlT_T0_E_clISt17integral_constantIbLb1EESU_EEDaSP_SQ_EUlSP_E_NS1_11comp_targetILNS1_3genE10ELNS1_11target_archE1200ELNS1_3gpuE4ELNS1_3repE0EEENS1_30default_config_static_selectorELNS0_4arch9wavefront6targetE1EEEvT1_,@function
_ZN7rocprim17ROCPRIM_400000_NS6detail17trampoline_kernelINS0_14default_configENS1_20scan_config_selectorIiEEZZNS1_9scan_implILNS1_25lookback_scan_determinismE0ELb0ELb0ES3_N6thrust23THRUST_200600_302600_NS6detail15normal_iteratorINS9_10device_ptrIiEEEESE_iNS9_4plusIiEEiEEDaPvRmT3_T4_T5_mT6_P12ihipStream_tbENKUlT_T0_E_clISt17integral_constantIbLb1EESU_EEDaSP_SQ_EUlSP_E_NS1_11comp_targetILNS1_3genE10ELNS1_11target_archE1200ELNS1_3gpuE4ELNS1_3repE0EEENS1_30default_config_static_selectorELNS0_4arch9wavefront6targetE1EEEvT1_: ; @_ZN7rocprim17ROCPRIM_400000_NS6detail17trampoline_kernelINS0_14default_configENS1_20scan_config_selectorIiEEZZNS1_9scan_implILNS1_25lookback_scan_determinismE0ELb0ELb0ES3_N6thrust23THRUST_200600_302600_NS6detail15normal_iteratorINS9_10device_ptrIiEEEESE_iNS9_4plusIiEEiEEDaPvRmT3_T4_T5_mT6_P12ihipStream_tbENKUlT_T0_E_clISt17integral_constantIbLb1EESU_EEDaSP_SQ_EUlSP_E_NS1_11comp_targetILNS1_3genE10ELNS1_11target_archE1200ELNS1_3gpuE4ELNS1_3repE0EEENS1_30default_config_static_selectorELNS0_4arch9wavefront6targetE1EEEvT1_
; %bb.0:
	.section	.rodata,"a",@progbits
	.p2align	6, 0x0
	.amdhsa_kernel _ZN7rocprim17ROCPRIM_400000_NS6detail17trampoline_kernelINS0_14default_configENS1_20scan_config_selectorIiEEZZNS1_9scan_implILNS1_25lookback_scan_determinismE0ELb0ELb0ES3_N6thrust23THRUST_200600_302600_NS6detail15normal_iteratorINS9_10device_ptrIiEEEESE_iNS9_4plusIiEEiEEDaPvRmT3_T4_T5_mT6_P12ihipStream_tbENKUlT_T0_E_clISt17integral_constantIbLb1EESU_EEDaSP_SQ_EUlSP_E_NS1_11comp_targetILNS1_3genE10ELNS1_11target_archE1200ELNS1_3gpuE4ELNS1_3repE0EEENS1_30default_config_static_selectorELNS0_4arch9wavefront6targetE1EEEvT1_
		.amdhsa_group_segment_fixed_size 0
		.amdhsa_private_segment_fixed_size 0
		.amdhsa_kernarg_size 96
		.amdhsa_user_sgpr_count 6
		.amdhsa_user_sgpr_private_segment_buffer 1
		.amdhsa_user_sgpr_dispatch_ptr 0
		.amdhsa_user_sgpr_queue_ptr 0
		.amdhsa_user_sgpr_kernarg_segment_ptr 1
		.amdhsa_user_sgpr_dispatch_id 0
		.amdhsa_user_sgpr_flat_scratch_init 0
		.amdhsa_user_sgpr_kernarg_preload_length 0
		.amdhsa_user_sgpr_kernarg_preload_offset 0
		.amdhsa_user_sgpr_private_segment_size 0
		.amdhsa_uses_dynamic_stack 0
		.amdhsa_system_sgpr_private_segment_wavefront_offset 0
		.amdhsa_system_sgpr_workgroup_id_x 1
		.amdhsa_system_sgpr_workgroup_id_y 0
		.amdhsa_system_sgpr_workgroup_id_z 0
		.amdhsa_system_sgpr_workgroup_info 0
		.amdhsa_system_vgpr_workitem_id 0
		.amdhsa_next_free_vgpr 1
		.amdhsa_next_free_sgpr 0
		.amdhsa_accum_offset 4
		.amdhsa_reserve_vcc 0
		.amdhsa_reserve_flat_scratch 0
		.amdhsa_float_round_mode_32 0
		.amdhsa_float_round_mode_16_64 0
		.amdhsa_float_denorm_mode_32 3
		.amdhsa_float_denorm_mode_16_64 3
		.amdhsa_dx10_clamp 1
		.amdhsa_ieee_mode 1
		.amdhsa_fp16_overflow 0
		.amdhsa_tg_split 0
		.amdhsa_exception_fp_ieee_invalid_op 0
		.amdhsa_exception_fp_denorm_src 0
		.amdhsa_exception_fp_ieee_div_zero 0
		.amdhsa_exception_fp_ieee_overflow 0
		.amdhsa_exception_fp_ieee_underflow 0
		.amdhsa_exception_fp_ieee_inexact 0
		.amdhsa_exception_int_div_zero 0
	.end_amdhsa_kernel
	.section	.text._ZN7rocprim17ROCPRIM_400000_NS6detail17trampoline_kernelINS0_14default_configENS1_20scan_config_selectorIiEEZZNS1_9scan_implILNS1_25lookback_scan_determinismE0ELb0ELb0ES3_N6thrust23THRUST_200600_302600_NS6detail15normal_iteratorINS9_10device_ptrIiEEEESE_iNS9_4plusIiEEiEEDaPvRmT3_T4_T5_mT6_P12ihipStream_tbENKUlT_T0_E_clISt17integral_constantIbLb1EESU_EEDaSP_SQ_EUlSP_E_NS1_11comp_targetILNS1_3genE10ELNS1_11target_archE1200ELNS1_3gpuE4ELNS1_3repE0EEENS1_30default_config_static_selectorELNS0_4arch9wavefront6targetE1EEEvT1_,"axG",@progbits,_ZN7rocprim17ROCPRIM_400000_NS6detail17trampoline_kernelINS0_14default_configENS1_20scan_config_selectorIiEEZZNS1_9scan_implILNS1_25lookback_scan_determinismE0ELb0ELb0ES3_N6thrust23THRUST_200600_302600_NS6detail15normal_iteratorINS9_10device_ptrIiEEEESE_iNS9_4plusIiEEiEEDaPvRmT3_T4_T5_mT6_P12ihipStream_tbENKUlT_T0_E_clISt17integral_constantIbLb1EESU_EEDaSP_SQ_EUlSP_E_NS1_11comp_targetILNS1_3genE10ELNS1_11target_archE1200ELNS1_3gpuE4ELNS1_3repE0EEENS1_30default_config_static_selectorELNS0_4arch9wavefront6targetE1EEEvT1_,comdat
.Lfunc_end538:
	.size	_ZN7rocprim17ROCPRIM_400000_NS6detail17trampoline_kernelINS0_14default_configENS1_20scan_config_selectorIiEEZZNS1_9scan_implILNS1_25lookback_scan_determinismE0ELb0ELb0ES3_N6thrust23THRUST_200600_302600_NS6detail15normal_iteratorINS9_10device_ptrIiEEEESE_iNS9_4plusIiEEiEEDaPvRmT3_T4_T5_mT6_P12ihipStream_tbENKUlT_T0_E_clISt17integral_constantIbLb1EESU_EEDaSP_SQ_EUlSP_E_NS1_11comp_targetILNS1_3genE10ELNS1_11target_archE1200ELNS1_3gpuE4ELNS1_3repE0EEENS1_30default_config_static_selectorELNS0_4arch9wavefront6targetE1EEEvT1_, .Lfunc_end538-_ZN7rocprim17ROCPRIM_400000_NS6detail17trampoline_kernelINS0_14default_configENS1_20scan_config_selectorIiEEZZNS1_9scan_implILNS1_25lookback_scan_determinismE0ELb0ELb0ES3_N6thrust23THRUST_200600_302600_NS6detail15normal_iteratorINS9_10device_ptrIiEEEESE_iNS9_4plusIiEEiEEDaPvRmT3_T4_T5_mT6_P12ihipStream_tbENKUlT_T0_E_clISt17integral_constantIbLb1EESU_EEDaSP_SQ_EUlSP_E_NS1_11comp_targetILNS1_3genE10ELNS1_11target_archE1200ELNS1_3gpuE4ELNS1_3repE0EEENS1_30default_config_static_selectorELNS0_4arch9wavefront6targetE1EEEvT1_
                                        ; -- End function
	.section	.AMDGPU.csdata,"",@progbits
; Kernel info:
; codeLenInByte = 0
; NumSgprs: 4
; NumVgprs: 0
; NumAgprs: 0
; TotalNumVgprs: 0
; ScratchSize: 0
; MemoryBound: 0
; FloatMode: 240
; IeeeMode: 1
; LDSByteSize: 0 bytes/workgroup (compile time only)
; SGPRBlocks: 0
; VGPRBlocks: 0
; NumSGPRsForWavesPerEU: 4
; NumVGPRsForWavesPerEU: 1
; AccumOffset: 4
; Occupancy: 8
; WaveLimiterHint : 0
; COMPUTE_PGM_RSRC2:SCRATCH_EN: 0
; COMPUTE_PGM_RSRC2:USER_SGPR: 6
; COMPUTE_PGM_RSRC2:TRAP_HANDLER: 0
; COMPUTE_PGM_RSRC2:TGID_X_EN: 1
; COMPUTE_PGM_RSRC2:TGID_Y_EN: 0
; COMPUTE_PGM_RSRC2:TGID_Z_EN: 0
; COMPUTE_PGM_RSRC2:TIDIG_COMP_CNT: 0
; COMPUTE_PGM_RSRC3_GFX90A:ACCUM_OFFSET: 0
; COMPUTE_PGM_RSRC3_GFX90A:TG_SPLIT: 0
	.section	.text._ZN7rocprim17ROCPRIM_400000_NS6detail17trampoline_kernelINS0_14default_configENS1_20scan_config_selectorIiEEZZNS1_9scan_implILNS1_25lookback_scan_determinismE0ELb0ELb0ES3_N6thrust23THRUST_200600_302600_NS6detail15normal_iteratorINS9_10device_ptrIiEEEESE_iNS9_4plusIiEEiEEDaPvRmT3_T4_T5_mT6_P12ihipStream_tbENKUlT_T0_E_clISt17integral_constantIbLb1EESU_EEDaSP_SQ_EUlSP_E_NS1_11comp_targetILNS1_3genE9ELNS1_11target_archE1100ELNS1_3gpuE3ELNS1_3repE0EEENS1_30default_config_static_selectorELNS0_4arch9wavefront6targetE1EEEvT1_,"axG",@progbits,_ZN7rocprim17ROCPRIM_400000_NS6detail17trampoline_kernelINS0_14default_configENS1_20scan_config_selectorIiEEZZNS1_9scan_implILNS1_25lookback_scan_determinismE0ELb0ELb0ES3_N6thrust23THRUST_200600_302600_NS6detail15normal_iteratorINS9_10device_ptrIiEEEESE_iNS9_4plusIiEEiEEDaPvRmT3_T4_T5_mT6_P12ihipStream_tbENKUlT_T0_E_clISt17integral_constantIbLb1EESU_EEDaSP_SQ_EUlSP_E_NS1_11comp_targetILNS1_3genE9ELNS1_11target_archE1100ELNS1_3gpuE3ELNS1_3repE0EEENS1_30default_config_static_selectorELNS0_4arch9wavefront6targetE1EEEvT1_,comdat
	.protected	_ZN7rocprim17ROCPRIM_400000_NS6detail17trampoline_kernelINS0_14default_configENS1_20scan_config_selectorIiEEZZNS1_9scan_implILNS1_25lookback_scan_determinismE0ELb0ELb0ES3_N6thrust23THRUST_200600_302600_NS6detail15normal_iteratorINS9_10device_ptrIiEEEESE_iNS9_4plusIiEEiEEDaPvRmT3_T4_T5_mT6_P12ihipStream_tbENKUlT_T0_E_clISt17integral_constantIbLb1EESU_EEDaSP_SQ_EUlSP_E_NS1_11comp_targetILNS1_3genE9ELNS1_11target_archE1100ELNS1_3gpuE3ELNS1_3repE0EEENS1_30default_config_static_selectorELNS0_4arch9wavefront6targetE1EEEvT1_ ; -- Begin function _ZN7rocprim17ROCPRIM_400000_NS6detail17trampoline_kernelINS0_14default_configENS1_20scan_config_selectorIiEEZZNS1_9scan_implILNS1_25lookback_scan_determinismE0ELb0ELb0ES3_N6thrust23THRUST_200600_302600_NS6detail15normal_iteratorINS9_10device_ptrIiEEEESE_iNS9_4plusIiEEiEEDaPvRmT3_T4_T5_mT6_P12ihipStream_tbENKUlT_T0_E_clISt17integral_constantIbLb1EESU_EEDaSP_SQ_EUlSP_E_NS1_11comp_targetILNS1_3genE9ELNS1_11target_archE1100ELNS1_3gpuE3ELNS1_3repE0EEENS1_30default_config_static_selectorELNS0_4arch9wavefront6targetE1EEEvT1_
	.globl	_ZN7rocprim17ROCPRIM_400000_NS6detail17trampoline_kernelINS0_14default_configENS1_20scan_config_selectorIiEEZZNS1_9scan_implILNS1_25lookback_scan_determinismE0ELb0ELb0ES3_N6thrust23THRUST_200600_302600_NS6detail15normal_iteratorINS9_10device_ptrIiEEEESE_iNS9_4plusIiEEiEEDaPvRmT3_T4_T5_mT6_P12ihipStream_tbENKUlT_T0_E_clISt17integral_constantIbLb1EESU_EEDaSP_SQ_EUlSP_E_NS1_11comp_targetILNS1_3genE9ELNS1_11target_archE1100ELNS1_3gpuE3ELNS1_3repE0EEENS1_30default_config_static_selectorELNS0_4arch9wavefront6targetE1EEEvT1_
	.p2align	8
	.type	_ZN7rocprim17ROCPRIM_400000_NS6detail17trampoline_kernelINS0_14default_configENS1_20scan_config_selectorIiEEZZNS1_9scan_implILNS1_25lookback_scan_determinismE0ELb0ELb0ES3_N6thrust23THRUST_200600_302600_NS6detail15normal_iteratorINS9_10device_ptrIiEEEESE_iNS9_4plusIiEEiEEDaPvRmT3_T4_T5_mT6_P12ihipStream_tbENKUlT_T0_E_clISt17integral_constantIbLb1EESU_EEDaSP_SQ_EUlSP_E_NS1_11comp_targetILNS1_3genE9ELNS1_11target_archE1100ELNS1_3gpuE3ELNS1_3repE0EEENS1_30default_config_static_selectorELNS0_4arch9wavefront6targetE1EEEvT1_,@function
_ZN7rocprim17ROCPRIM_400000_NS6detail17trampoline_kernelINS0_14default_configENS1_20scan_config_selectorIiEEZZNS1_9scan_implILNS1_25lookback_scan_determinismE0ELb0ELb0ES3_N6thrust23THRUST_200600_302600_NS6detail15normal_iteratorINS9_10device_ptrIiEEEESE_iNS9_4plusIiEEiEEDaPvRmT3_T4_T5_mT6_P12ihipStream_tbENKUlT_T0_E_clISt17integral_constantIbLb1EESU_EEDaSP_SQ_EUlSP_E_NS1_11comp_targetILNS1_3genE9ELNS1_11target_archE1100ELNS1_3gpuE3ELNS1_3repE0EEENS1_30default_config_static_selectorELNS0_4arch9wavefront6targetE1EEEvT1_: ; @_ZN7rocprim17ROCPRIM_400000_NS6detail17trampoline_kernelINS0_14default_configENS1_20scan_config_selectorIiEEZZNS1_9scan_implILNS1_25lookback_scan_determinismE0ELb0ELb0ES3_N6thrust23THRUST_200600_302600_NS6detail15normal_iteratorINS9_10device_ptrIiEEEESE_iNS9_4plusIiEEiEEDaPvRmT3_T4_T5_mT6_P12ihipStream_tbENKUlT_T0_E_clISt17integral_constantIbLb1EESU_EEDaSP_SQ_EUlSP_E_NS1_11comp_targetILNS1_3genE9ELNS1_11target_archE1100ELNS1_3gpuE3ELNS1_3repE0EEENS1_30default_config_static_selectorELNS0_4arch9wavefront6targetE1EEEvT1_
; %bb.0:
	.section	.rodata,"a",@progbits
	.p2align	6, 0x0
	.amdhsa_kernel _ZN7rocprim17ROCPRIM_400000_NS6detail17trampoline_kernelINS0_14default_configENS1_20scan_config_selectorIiEEZZNS1_9scan_implILNS1_25lookback_scan_determinismE0ELb0ELb0ES3_N6thrust23THRUST_200600_302600_NS6detail15normal_iteratorINS9_10device_ptrIiEEEESE_iNS9_4plusIiEEiEEDaPvRmT3_T4_T5_mT6_P12ihipStream_tbENKUlT_T0_E_clISt17integral_constantIbLb1EESU_EEDaSP_SQ_EUlSP_E_NS1_11comp_targetILNS1_3genE9ELNS1_11target_archE1100ELNS1_3gpuE3ELNS1_3repE0EEENS1_30default_config_static_selectorELNS0_4arch9wavefront6targetE1EEEvT1_
		.amdhsa_group_segment_fixed_size 0
		.amdhsa_private_segment_fixed_size 0
		.amdhsa_kernarg_size 96
		.amdhsa_user_sgpr_count 6
		.amdhsa_user_sgpr_private_segment_buffer 1
		.amdhsa_user_sgpr_dispatch_ptr 0
		.amdhsa_user_sgpr_queue_ptr 0
		.amdhsa_user_sgpr_kernarg_segment_ptr 1
		.amdhsa_user_sgpr_dispatch_id 0
		.amdhsa_user_sgpr_flat_scratch_init 0
		.amdhsa_user_sgpr_kernarg_preload_length 0
		.amdhsa_user_sgpr_kernarg_preload_offset 0
		.amdhsa_user_sgpr_private_segment_size 0
		.amdhsa_uses_dynamic_stack 0
		.amdhsa_system_sgpr_private_segment_wavefront_offset 0
		.amdhsa_system_sgpr_workgroup_id_x 1
		.amdhsa_system_sgpr_workgroup_id_y 0
		.amdhsa_system_sgpr_workgroup_id_z 0
		.amdhsa_system_sgpr_workgroup_info 0
		.amdhsa_system_vgpr_workitem_id 0
		.amdhsa_next_free_vgpr 1
		.amdhsa_next_free_sgpr 0
		.amdhsa_accum_offset 4
		.amdhsa_reserve_vcc 0
		.amdhsa_reserve_flat_scratch 0
		.amdhsa_float_round_mode_32 0
		.amdhsa_float_round_mode_16_64 0
		.amdhsa_float_denorm_mode_32 3
		.amdhsa_float_denorm_mode_16_64 3
		.amdhsa_dx10_clamp 1
		.amdhsa_ieee_mode 1
		.amdhsa_fp16_overflow 0
		.amdhsa_tg_split 0
		.amdhsa_exception_fp_ieee_invalid_op 0
		.amdhsa_exception_fp_denorm_src 0
		.amdhsa_exception_fp_ieee_div_zero 0
		.amdhsa_exception_fp_ieee_overflow 0
		.amdhsa_exception_fp_ieee_underflow 0
		.amdhsa_exception_fp_ieee_inexact 0
		.amdhsa_exception_int_div_zero 0
	.end_amdhsa_kernel
	.section	.text._ZN7rocprim17ROCPRIM_400000_NS6detail17trampoline_kernelINS0_14default_configENS1_20scan_config_selectorIiEEZZNS1_9scan_implILNS1_25lookback_scan_determinismE0ELb0ELb0ES3_N6thrust23THRUST_200600_302600_NS6detail15normal_iteratorINS9_10device_ptrIiEEEESE_iNS9_4plusIiEEiEEDaPvRmT3_T4_T5_mT6_P12ihipStream_tbENKUlT_T0_E_clISt17integral_constantIbLb1EESU_EEDaSP_SQ_EUlSP_E_NS1_11comp_targetILNS1_3genE9ELNS1_11target_archE1100ELNS1_3gpuE3ELNS1_3repE0EEENS1_30default_config_static_selectorELNS0_4arch9wavefront6targetE1EEEvT1_,"axG",@progbits,_ZN7rocprim17ROCPRIM_400000_NS6detail17trampoline_kernelINS0_14default_configENS1_20scan_config_selectorIiEEZZNS1_9scan_implILNS1_25lookback_scan_determinismE0ELb0ELb0ES3_N6thrust23THRUST_200600_302600_NS6detail15normal_iteratorINS9_10device_ptrIiEEEESE_iNS9_4plusIiEEiEEDaPvRmT3_T4_T5_mT6_P12ihipStream_tbENKUlT_T0_E_clISt17integral_constantIbLb1EESU_EEDaSP_SQ_EUlSP_E_NS1_11comp_targetILNS1_3genE9ELNS1_11target_archE1100ELNS1_3gpuE3ELNS1_3repE0EEENS1_30default_config_static_selectorELNS0_4arch9wavefront6targetE1EEEvT1_,comdat
.Lfunc_end539:
	.size	_ZN7rocprim17ROCPRIM_400000_NS6detail17trampoline_kernelINS0_14default_configENS1_20scan_config_selectorIiEEZZNS1_9scan_implILNS1_25lookback_scan_determinismE0ELb0ELb0ES3_N6thrust23THRUST_200600_302600_NS6detail15normal_iteratorINS9_10device_ptrIiEEEESE_iNS9_4plusIiEEiEEDaPvRmT3_T4_T5_mT6_P12ihipStream_tbENKUlT_T0_E_clISt17integral_constantIbLb1EESU_EEDaSP_SQ_EUlSP_E_NS1_11comp_targetILNS1_3genE9ELNS1_11target_archE1100ELNS1_3gpuE3ELNS1_3repE0EEENS1_30default_config_static_selectorELNS0_4arch9wavefront6targetE1EEEvT1_, .Lfunc_end539-_ZN7rocprim17ROCPRIM_400000_NS6detail17trampoline_kernelINS0_14default_configENS1_20scan_config_selectorIiEEZZNS1_9scan_implILNS1_25lookback_scan_determinismE0ELb0ELb0ES3_N6thrust23THRUST_200600_302600_NS6detail15normal_iteratorINS9_10device_ptrIiEEEESE_iNS9_4plusIiEEiEEDaPvRmT3_T4_T5_mT6_P12ihipStream_tbENKUlT_T0_E_clISt17integral_constantIbLb1EESU_EEDaSP_SQ_EUlSP_E_NS1_11comp_targetILNS1_3genE9ELNS1_11target_archE1100ELNS1_3gpuE3ELNS1_3repE0EEENS1_30default_config_static_selectorELNS0_4arch9wavefront6targetE1EEEvT1_
                                        ; -- End function
	.section	.AMDGPU.csdata,"",@progbits
; Kernel info:
; codeLenInByte = 0
; NumSgprs: 4
; NumVgprs: 0
; NumAgprs: 0
; TotalNumVgprs: 0
; ScratchSize: 0
; MemoryBound: 0
; FloatMode: 240
; IeeeMode: 1
; LDSByteSize: 0 bytes/workgroup (compile time only)
; SGPRBlocks: 0
; VGPRBlocks: 0
; NumSGPRsForWavesPerEU: 4
; NumVGPRsForWavesPerEU: 1
; AccumOffset: 4
; Occupancy: 8
; WaveLimiterHint : 0
; COMPUTE_PGM_RSRC2:SCRATCH_EN: 0
; COMPUTE_PGM_RSRC2:USER_SGPR: 6
; COMPUTE_PGM_RSRC2:TRAP_HANDLER: 0
; COMPUTE_PGM_RSRC2:TGID_X_EN: 1
; COMPUTE_PGM_RSRC2:TGID_Y_EN: 0
; COMPUTE_PGM_RSRC2:TGID_Z_EN: 0
; COMPUTE_PGM_RSRC2:TIDIG_COMP_CNT: 0
; COMPUTE_PGM_RSRC3_GFX90A:ACCUM_OFFSET: 0
; COMPUTE_PGM_RSRC3_GFX90A:TG_SPLIT: 0
	.section	.text._ZN7rocprim17ROCPRIM_400000_NS6detail17trampoline_kernelINS0_14default_configENS1_20scan_config_selectorIiEEZZNS1_9scan_implILNS1_25lookback_scan_determinismE0ELb0ELb0ES3_N6thrust23THRUST_200600_302600_NS6detail15normal_iteratorINS9_10device_ptrIiEEEESE_iNS9_4plusIiEEiEEDaPvRmT3_T4_T5_mT6_P12ihipStream_tbENKUlT_T0_E_clISt17integral_constantIbLb1EESU_EEDaSP_SQ_EUlSP_E_NS1_11comp_targetILNS1_3genE8ELNS1_11target_archE1030ELNS1_3gpuE2ELNS1_3repE0EEENS1_30default_config_static_selectorELNS0_4arch9wavefront6targetE1EEEvT1_,"axG",@progbits,_ZN7rocprim17ROCPRIM_400000_NS6detail17trampoline_kernelINS0_14default_configENS1_20scan_config_selectorIiEEZZNS1_9scan_implILNS1_25lookback_scan_determinismE0ELb0ELb0ES3_N6thrust23THRUST_200600_302600_NS6detail15normal_iteratorINS9_10device_ptrIiEEEESE_iNS9_4plusIiEEiEEDaPvRmT3_T4_T5_mT6_P12ihipStream_tbENKUlT_T0_E_clISt17integral_constantIbLb1EESU_EEDaSP_SQ_EUlSP_E_NS1_11comp_targetILNS1_3genE8ELNS1_11target_archE1030ELNS1_3gpuE2ELNS1_3repE0EEENS1_30default_config_static_selectorELNS0_4arch9wavefront6targetE1EEEvT1_,comdat
	.protected	_ZN7rocprim17ROCPRIM_400000_NS6detail17trampoline_kernelINS0_14default_configENS1_20scan_config_selectorIiEEZZNS1_9scan_implILNS1_25lookback_scan_determinismE0ELb0ELb0ES3_N6thrust23THRUST_200600_302600_NS6detail15normal_iteratorINS9_10device_ptrIiEEEESE_iNS9_4plusIiEEiEEDaPvRmT3_T4_T5_mT6_P12ihipStream_tbENKUlT_T0_E_clISt17integral_constantIbLb1EESU_EEDaSP_SQ_EUlSP_E_NS1_11comp_targetILNS1_3genE8ELNS1_11target_archE1030ELNS1_3gpuE2ELNS1_3repE0EEENS1_30default_config_static_selectorELNS0_4arch9wavefront6targetE1EEEvT1_ ; -- Begin function _ZN7rocprim17ROCPRIM_400000_NS6detail17trampoline_kernelINS0_14default_configENS1_20scan_config_selectorIiEEZZNS1_9scan_implILNS1_25lookback_scan_determinismE0ELb0ELb0ES3_N6thrust23THRUST_200600_302600_NS6detail15normal_iteratorINS9_10device_ptrIiEEEESE_iNS9_4plusIiEEiEEDaPvRmT3_T4_T5_mT6_P12ihipStream_tbENKUlT_T0_E_clISt17integral_constantIbLb1EESU_EEDaSP_SQ_EUlSP_E_NS1_11comp_targetILNS1_3genE8ELNS1_11target_archE1030ELNS1_3gpuE2ELNS1_3repE0EEENS1_30default_config_static_selectorELNS0_4arch9wavefront6targetE1EEEvT1_
	.globl	_ZN7rocprim17ROCPRIM_400000_NS6detail17trampoline_kernelINS0_14default_configENS1_20scan_config_selectorIiEEZZNS1_9scan_implILNS1_25lookback_scan_determinismE0ELb0ELb0ES3_N6thrust23THRUST_200600_302600_NS6detail15normal_iteratorINS9_10device_ptrIiEEEESE_iNS9_4plusIiEEiEEDaPvRmT3_T4_T5_mT6_P12ihipStream_tbENKUlT_T0_E_clISt17integral_constantIbLb1EESU_EEDaSP_SQ_EUlSP_E_NS1_11comp_targetILNS1_3genE8ELNS1_11target_archE1030ELNS1_3gpuE2ELNS1_3repE0EEENS1_30default_config_static_selectorELNS0_4arch9wavefront6targetE1EEEvT1_
	.p2align	8
	.type	_ZN7rocprim17ROCPRIM_400000_NS6detail17trampoline_kernelINS0_14default_configENS1_20scan_config_selectorIiEEZZNS1_9scan_implILNS1_25lookback_scan_determinismE0ELb0ELb0ES3_N6thrust23THRUST_200600_302600_NS6detail15normal_iteratorINS9_10device_ptrIiEEEESE_iNS9_4plusIiEEiEEDaPvRmT3_T4_T5_mT6_P12ihipStream_tbENKUlT_T0_E_clISt17integral_constantIbLb1EESU_EEDaSP_SQ_EUlSP_E_NS1_11comp_targetILNS1_3genE8ELNS1_11target_archE1030ELNS1_3gpuE2ELNS1_3repE0EEENS1_30default_config_static_selectorELNS0_4arch9wavefront6targetE1EEEvT1_,@function
_ZN7rocprim17ROCPRIM_400000_NS6detail17trampoline_kernelINS0_14default_configENS1_20scan_config_selectorIiEEZZNS1_9scan_implILNS1_25lookback_scan_determinismE0ELb0ELb0ES3_N6thrust23THRUST_200600_302600_NS6detail15normal_iteratorINS9_10device_ptrIiEEEESE_iNS9_4plusIiEEiEEDaPvRmT3_T4_T5_mT6_P12ihipStream_tbENKUlT_T0_E_clISt17integral_constantIbLb1EESU_EEDaSP_SQ_EUlSP_E_NS1_11comp_targetILNS1_3genE8ELNS1_11target_archE1030ELNS1_3gpuE2ELNS1_3repE0EEENS1_30default_config_static_selectorELNS0_4arch9wavefront6targetE1EEEvT1_: ; @_ZN7rocprim17ROCPRIM_400000_NS6detail17trampoline_kernelINS0_14default_configENS1_20scan_config_selectorIiEEZZNS1_9scan_implILNS1_25lookback_scan_determinismE0ELb0ELb0ES3_N6thrust23THRUST_200600_302600_NS6detail15normal_iteratorINS9_10device_ptrIiEEEESE_iNS9_4plusIiEEiEEDaPvRmT3_T4_T5_mT6_P12ihipStream_tbENKUlT_T0_E_clISt17integral_constantIbLb1EESU_EEDaSP_SQ_EUlSP_E_NS1_11comp_targetILNS1_3genE8ELNS1_11target_archE1030ELNS1_3gpuE2ELNS1_3repE0EEENS1_30default_config_static_selectorELNS0_4arch9wavefront6targetE1EEEvT1_
; %bb.0:
	.section	.rodata,"a",@progbits
	.p2align	6, 0x0
	.amdhsa_kernel _ZN7rocprim17ROCPRIM_400000_NS6detail17trampoline_kernelINS0_14default_configENS1_20scan_config_selectorIiEEZZNS1_9scan_implILNS1_25lookback_scan_determinismE0ELb0ELb0ES3_N6thrust23THRUST_200600_302600_NS6detail15normal_iteratorINS9_10device_ptrIiEEEESE_iNS9_4plusIiEEiEEDaPvRmT3_T4_T5_mT6_P12ihipStream_tbENKUlT_T0_E_clISt17integral_constantIbLb1EESU_EEDaSP_SQ_EUlSP_E_NS1_11comp_targetILNS1_3genE8ELNS1_11target_archE1030ELNS1_3gpuE2ELNS1_3repE0EEENS1_30default_config_static_selectorELNS0_4arch9wavefront6targetE1EEEvT1_
		.amdhsa_group_segment_fixed_size 0
		.amdhsa_private_segment_fixed_size 0
		.amdhsa_kernarg_size 96
		.amdhsa_user_sgpr_count 6
		.amdhsa_user_sgpr_private_segment_buffer 1
		.amdhsa_user_sgpr_dispatch_ptr 0
		.amdhsa_user_sgpr_queue_ptr 0
		.amdhsa_user_sgpr_kernarg_segment_ptr 1
		.amdhsa_user_sgpr_dispatch_id 0
		.amdhsa_user_sgpr_flat_scratch_init 0
		.amdhsa_user_sgpr_kernarg_preload_length 0
		.amdhsa_user_sgpr_kernarg_preload_offset 0
		.amdhsa_user_sgpr_private_segment_size 0
		.amdhsa_uses_dynamic_stack 0
		.amdhsa_system_sgpr_private_segment_wavefront_offset 0
		.amdhsa_system_sgpr_workgroup_id_x 1
		.amdhsa_system_sgpr_workgroup_id_y 0
		.amdhsa_system_sgpr_workgroup_id_z 0
		.amdhsa_system_sgpr_workgroup_info 0
		.amdhsa_system_vgpr_workitem_id 0
		.amdhsa_next_free_vgpr 1
		.amdhsa_next_free_sgpr 0
		.amdhsa_accum_offset 4
		.amdhsa_reserve_vcc 0
		.amdhsa_reserve_flat_scratch 0
		.amdhsa_float_round_mode_32 0
		.amdhsa_float_round_mode_16_64 0
		.amdhsa_float_denorm_mode_32 3
		.amdhsa_float_denorm_mode_16_64 3
		.amdhsa_dx10_clamp 1
		.amdhsa_ieee_mode 1
		.amdhsa_fp16_overflow 0
		.amdhsa_tg_split 0
		.amdhsa_exception_fp_ieee_invalid_op 0
		.amdhsa_exception_fp_denorm_src 0
		.amdhsa_exception_fp_ieee_div_zero 0
		.amdhsa_exception_fp_ieee_overflow 0
		.amdhsa_exception_fp_ieee_underflow 0
		.amdhsa_exception_fp_ieee_inexact 0
		.amdhsa_exception_int_div_zero 0
	.end_amdhsa_kernel
	.section	.text._ZN7rocprim17ROCPRIM_400000_NS6detail17trampoline_kernelINS0_14default_configENS1_20scan_config_selectorIiEEZZNS1_9scan_implILNS1_25lookback_scan_determinismE0ELb0ELb0ES3_N6thrust23THRUST_200600_302600_NS6detail15normal_iteratorINS9_10device_ptrIiEEEESE_iNS9_4plusIiEEiEEDaPvRmT3_T4_T5_mT6_P12ihipStream_tbENKUlT_T0_E_clISt17integral_constantIbLb1EESU_EEDaSP_SQ_EUlSP_E_NS1_11comp_targetILNS1_3genE8ELNS1_11target_archE1030ELNS1_3gpuE2ELNS1_3repE0EEENS1_30default_config_static_selectorELNS0_4arch9wavefront6targetE1EEEvT1_,"axG",@progbits,_ZN7rocprim17ROCPRIM_400000_NS6detail17trampoline_kernelINS0_14default_configENS1_20scan_config_selectorIiEEZZNS1_9scan_implILNS1_25lookback_scan_determinismE0ELb0ELb0ES3_N6thrust23THRUST_200600_302600_NS6detail15normal_iteratorINS9_10device_ptrIiEEEESE_iNS9_4plusIiEEiEEDaPvRmT3_T4_T5_mT6_P12ihipStream_tbENKUlT_T0_E_clISt17integral_constantIbLb1EESU_EEDaSP_SQ_EUlSP_E_NS1_11comp_targetILNS1_3genE8ELNS1_11target_archE1030ELNS1_3gpuE2ELNS1_3repE0EEENS1_30default_config_static_selectorELNS0_4arch9wavefront6targetE1EEEvT1_,comdat
.Lfunc_end540:
	.size	_ZN7rocprim17ROCPRIM_400000_NS6detail17trampoline_kernelINS0_14default_configENS1_20scan_config_selectorIiEEZZNS1_9scan_implILNS1_25lookback_scan_determinismE0ELb0ELb0ES3_N6thrust23THRUST_200600_302600_NS6detail15normal_iteratorINS9_10device_ptrIiEEEESE_iNS9_4plusIiEEiEEDaPvRmT3_T4_T5_mT6_P12ihipStream_tbENKUlT_T0_E_clISt17integral_constantIbLb1EESU_EEDaSP_SQ_EUlSP_E_NS1_11comp_targetILNS1_3genE8ELNS1_11target_archE1030ELNS1_3gpuE2ELNS1_3repE0EEENS1_30default_config_static_selectorELNS0_4arch9wavefront6targetE1EEEvT1_, .Lfunc_end540-_ZN7rocprim17ROCPRIM_400000_NS6detail17trampoline_kernelINS0_14default_configENS1_20scan_config_selectorIiEEZZNS1_9scan_implILNS1_25lookback_scan_determinismE0ELb0ELb0ES3_N6thrust23THRUST_200600_302600_NS6detail15normal_iteratorINS9_10device_ptrIiEEEESE_iNS9_4plusIiEEiEEDaPvRmT3_T4_T5_mT6_P12ihipStream_tbENKUlT_T0_E_clISt17integral_constantIbLb1EESU_EEDaSP_SQ_EUlSP_E_NS1_11comp_targetILNS1_3genE8ELNS1_11target_archE1030ELNS1_3gpuE2ELNS1_3repE0EEENS1_30default_config_static_selectorELNS0_4arch9wavefront6targetE1EEEvT1_
                                        ; -- End function
	.section	.AMDGPU.csdata,"",@progbits
; Kernel info:
; codeLenInByte = 0
; NumSgprs: 4
; NumVgprs: 0
; NumAgprs: 0
; TotalNumVgprs: 0
; ScratchSize: 0
; MemoryBound: 0
; FloatMode: 240
; IeeeMode: 1
; LDSByteSize: 0 bytes/workgroup (compile time only)
; SGPRBlocks: 0
; VGPRBlocks: 0
; NumSGPRsForWavesPerEU: 4
; NumVGPRsForWavesPerEU: 1
; AccumOffset: 4
; Occupancy: 8
; WaveLimiterHint : 0
; COMPUTE_PGM_RSRC2:SCRATCH_EN: 0
; COMPUTE_PGM_RSRC2:USER_SGPR: 6
; COMPUTE_PGM_RSRC2:TRAP_HANDLER: 0
; COMPUTE_PGM_RSRC2:TGID_X_EN: 1
; COMPUTE_PGM_RSRC2:TGID_Y_EN: 0
; COMPUTE_PGM_RSRC2:TGID_Z_EN: 0
; COMPUTE_PGM_RSRC2:TIDIG_COMP_CNT: 0
; COMPUTE_PGM_RSRC3_GFX90A:ACCUM_OFFSET: 0
; COMPUTE_PGM_RSRC3_GFX90A:TG_SPLIT: 0
	.section	.text._ZN7rocprim17ROCPRIM_400000_NS6detail17trampoline_kernelINS0_14default_configENS1_20scan_config_selectorIiEEZZNS1_9scan_implILNS1_25lookback_scan_determinismE0ELb0ELb0ES3_N6thrust23THRUST_200600_302600_NS6detail15normal_iteratorINS9_10device_ptrIiEEEESE_iNS9_4plusIiEEiEEDaPvRmT3_T4_T5_mT6_P12ihipStream_tbENKUlT_T0_E_clISt17integral_constantIbLb1EESU_EEDaSP_SQ_EUlSP_E0_NS1_11comp_targetILNS1_3genE0ELNS1_11target_archE4294967295ELNS1_3gpuE0ELNS1_3repE0EEENS1_30default_config_static_selectorELNS0_4arch9wavefront6targetE1EEEvT1_,"axG",@progbits,_ZN7rocprim17ROCPRIM_400000_NS6detail17trampoline_kernelINS0_14default_configENS1_20scan_config_selectorIiEEZZNS1_9scan_implILNS1_25lookback_scan_determinismE0ELb0ELb0ES3_N6thrust23THRUST_200600_302600_NS6detail15normal_iteratorINS9_10device_ptrIiEEEESE_iNS9_4plusIiEEiEEDaPvRmT3_T4_T5_mT6_P12ihipStream_tbENKUlT_T0_E_clISt17integral_constantIbLb1EESU_EEDaSP_SQ_EUlSP_E0_NS1_11comp_targetILNS1_3genE0ELNS1_11target_archE4294967295ELNS1_3gpuE0ELNS1_3repE0EEENS1_30default_config_static_selectorELNS0_4arch9wavefront6targetE1EEEvT1_,comdat
	.protected	_ZN7rocprim17ROCPRIM_400000_NS6detail17trampoline_kernelINS0_14default_configENS1_20scan_config_selectorIiEEZZNS1_9scan_implILNS1_25lookback_scan_determinismE0ELb0ELb0ES3_N6thrust23THRUST_200600_302600_NS6detail15normal_iteratorINS9_10device_ptrIiEEEESE_iNS9_4plusIiEEiEEDaPvRmT3_T4_T5_mT6_P12ihipStream_tbENKUlT_T0_E_clISt17integral_constantIbLb1EESU_EEDaSP_SQ_EUlSP_E0_NS1_11comp_targetILNS1_3genE0ELNS1_11target_archE4294967295ELNS1_3gpuE0ELNS1_3repE0EEENS1_30default_config_static_selectorELNS0_4arch9wavefront6targetE1EEEvT1_ ; -- Begin function _ZN7rocprim17ROCPRIM_400000_NS6detail17trampoline_kernelINS0_14default_configENS1_20scan_config_selectorIiEEZZNS1_9scan_implILNS1_25lookback_scan_determinismE0ELb0ELb0ES3_N6thrust23THRUST_200600_302600_NS6detail15normal_iteratorINS9_10device_ptrIiEEEESE_iNS9_4plusIiEEiEEDaPvRmT3_T4_T5_mT6_P12ihipStream_tbENKUlT_T0_E_clISt17integral_constantIbLb1EESU_EEDaSP_SQ_EUlSP_E0_NS1_11comp_targetILNS1_3genE0ELNS1_11target_archE4294967295ELNS1_3gpuE0ELNS1_3repE0EEENS1_30default_config_static_selectorELNS0_4arch9wavefront6targetE1EEEvT1_
	.globl	_ZN7rocprim17ROCPRIM_400000_NS6detail17trampoline_kernelINS0_14default_configENS1_20scan_config_selectorIiEEZZNS1_9scan_implILNS1_25lookback_scan_determinismE0ELb0ELb0ES3_N6thrust23THRUST_200600_302600_NS6detail15normal_iteratorINS9_10device_ptrIiEEEESE_iNS9_4plusIiEEiEEDaPvRmT3_T4_T5_mT6_P12ihipStream_tbENKUlT_T0_E_clISt17integral_constantIbLb1EESU_EEDaSP_SQ_EUlSP_E0_NS1_11comp_targetILNS1_3genE0ELNS1_11target_archE4294967295ELNS1_3gpuE0ELNS1_3repE0EEENS1_30default_config_static_selectorELNS0_4arch9wavefront6targetE1EEEvT1_
	.p2align	8
	.type	_ZN7rocprim17ROCPRIM_400000_NS6detail17trampoline_kernelINS0_14default_configENS1_20scan_config_selectorIiEEZZNS1_9scan_implILNS1_25lookback_scan_determinismE0ELb0ELb0ES3_N6thrust23THRUST_200600_302600_NS6detail15normal_iteratorINS9_10device_ptrIiEEEESE_iNS9_4plusIiEEiEEDaPvRmT3_T4_T5_mT6_P12ihipStream_tbENKUlT_T0_E_clISt17integral_constantIbLb1EESU_EEDaSP_SQ_EUlSP_E0_NS1_11comp_targetILNS1_3genE0ELNS1_11target_archE4294967295ELNS1_3gpuE0ELNS1_3repE0EEENS1_30default_config_static_selectorELNS0_4arch9wavefront6targetE1EEEvT1_,@function
_ZN7rocprim17ROCPRIM_400000_NS6detail17trampoline_kernelINS0_14default_configENS1_20scan_config_selectorIiEEZZNS1_9scan_implILNS1_25lookback_scan_determinismE0ELb0ELb0ES3_N6thrust23THRUST_200600_302600_NS6detail15normal_iteratorINS9_10device_ptrIiEEEESE_iNS9_4plusIiEEiEEDaPvRmT3_T4_T5_mT6_P12ihipStream_tbENKUlT_T0_E_clISt17integral_constantIbLb1EESU_EEDaSP_SQ_EUlSP_E0_NS1_11comp_targetILNS1_3genE0ELNS1_11target_archE4294967295ELNS1_3gpuE0ELNS1_3repE0EEENS1_30default_config_static_selectorELNS0_4arch9wavefront6targetE1EEEvT1_: ; @_ZN7rocprim17ROCPRIM_400000_NS6detail17trampoline_kernelINS0_14default_configENS1_20scan_config_selectorIiEEZZNS1_9scan_implILNS1_25lookback_scan_determinismE0ELb0ELb0ES3_N6thrust23THRUST_200600_302600_NS6detail15normal_iteratorINS9_10device_ptrIiEEEESE_iNS9_4plusIiEEiEEDaPvRmT3_T4_T5_mT6_P12ihipStream_tbENKUlT_T0_E_clISt17integral_constantIbLb1EESU_EEDaSP_SQ_EUlSP_E0_NS1_11comp_targetILNS1_3genE0ELNS1_11target_archE4294967295ELNS1_3gpuE0ELNS1_3repE0EEENS1_30default_config_static_selectorELNS0_4arch9wavefront6targetE1EEEvT1_
; %bb.0:
	.section	.rodata,"a",@progbits
	.p2align	6, 0x0
	.amdhsa_kernel _ZN7rocprim17ROCPRIM_400000_NS6detail17trampoline_kernelINS0_14default_configENS1_20scan_config_selectorIiEEZZNS1_9scan_implILNS1_25lookback_scan_determinismE0ELb0ELb0ES3_N6thrust23THRUST_200600_302600_NS6detail15normal_iteratorINS9_10device_ptrIiEEEESE_iNS9_4plusIiEEiEEDaPvRmT3_T4_T5_mT6_P12ihipStream_tbENKUlT_T0_E_clISt17integral_constantIbLb1EESU_EEDaSP_SQ_EUlSP_E0_NS1_11comp_targetILNS1_3genE0ELNS1_11target_archE4294967295ELNS1_3gpuE0ELNS1_3repE0EEENS1_30default_config_static_selectorELNS0_4arch9wavefront6targetE1EEEvT1_
		.amdhsa_group_segment_fixed_size 0
		.amdhsa_private_segment_fixed_size 0
		.amdhsa_kernarg_size 32
		.amdhsa_user_sgpr_count 6
		.amdhsa_user_sgpr_private_segment_buffer 1
		.amdhsa_user_sgpr_dispatch_ptr 0
		.amdhsa_user_sgpr_queue_ptr 0
		.amdhsa_user_sgpr_kernarg_segment_ptr 1
		.amdhsa_user_sgpr_dispatch_id 0
		.amdhsa_user_sgpr_flat_scratch_init 0
		.amdhsa_user_sgpr_kernarg_preload_length 0
		.amdhsa_user_sgpr_kernarg_preload_offset 0
		.amdhsa_user_sgpr_private_segment_size 0
		.amdhsa_uses_dynamic_stack 0
		.amdhsa_system_sgpr_private_segment_wavefront_offset 0
		.amdhsa_system_sgpr_workgroup_id_x 1
		.amdhsa_system_sgpr_workgroup_id_y 0
		.amdhsa_system_sgpr_workgroup_id_z 0
		.amdhsa_system_sgpr_workgroup_info 0
		.amdhsa_system_vgpr_workitem_id 0
		.amdhsa_next_free_vgpr 1
		.amdhsa_next_free_sgpr 0
		.amdhsa_accum_offset 4
		.amdhsa_reserve_vcc 0
		.amdhsa_reserve_flat_scratch 0
		.amdhsa_float_round_mode_32 0
		.amdhsa_float_round_mode_16_64 0
		.amdhsa_float_denorm_mode_32 3
		.amdhsa_float_denorm_mode_16_64 3
		.amdhsa_dx10_clamp 1
		.amdhsa_ieee_mode 1
		.amdhsa_fp16_overflow 0
		.amdhsa_tg_split 0
		.amdhsa_exception_fp_ieee_invalid_op 0
		.amdhsa_exception_fp_denorm_src 0
		.amdhsa_exception_fp_ieee_div_zero 0
		.amdhsa_exception_fp_ieee_overflow 0
		.amdhsa_exception_fp_ieee_underflow 0
		.amdhsa_exception_fp_ieee_inexact 0
		.amdhsa_exception_int_div_zero 0
	.end_amdhsa_kernel
	.section	.text._ZN7rocprim17ROCPRIM_400000_NS6detail17trampoline_kernelINS0_14default_configENS1_20scan_config_selectorIiEEZZNS1_9scan_implILNS1_25lookback_scan_determinismE0ELb0ELb0ES3_N6thrust23THRUST_200600_302600_NS6detail15normal_iteratorINS9_10device_ptrIiEEEESE_iNS9_4plusIiEEiEEDaPvRmT3_T4_T5_mT6_P12ihipStream_tbENKUlT_T0_E_clISt17integral_constantIbLb1EESU_EEDaSP_SQ_EUlSP_E0_NS1_11comp_targetILNS1_3genE0ELNS1_11target_archE4294967295ELNS1_3gpuE0ELNS1_3repE0EEENS1_30default_config_static_selectorELNS0_4arch9wavefront6targetE1EEEvT1_,"axG",@progbits,_ZN7rocprim17ROCPRIM_400000_NS6detail17trampoline_kernelINS0_14default_configENS1_20scan_config_selectorIiEEZZNS1_9scan_implILNS1_25lookback_scan_determinismE0ELb0ELb0ES3_N6thrust23THRUST_200600_302600_NS6detail15normal_iteratorINS9_10device_ptrIiEEEESE_iNS9_4plusIiEEiEEDaPvRmT3_T4_T5_mT6_P12ihipStream_tbENKUlT_T0_E_clISt17integral_constantIbLb1EESU_EEDaSP_SQ_EUlSP_E0_NS1_11comp_targetILNS1_3genE0ELNS1_11target_archE4294967295ELNS1_3gpuE0ELNS1_3repE0EEENS1_30default_config_static_selectorELNS0_4arch9wavefront6targetE1EEEvT1_,comdat
.Lfunc_end541:
	.size	_ZN7rocprim17ROCPRIM_400000_NS6detail17trampoline_kernelINS0_14default_configENS1_20scan_config_selectorIiEEZZNS1_9scan_implILNS1_25lookback_scan_determinismE0ELb0ELb0ES3_N6thrust23THRUST_200600_302600_NS6detail15normal_iteratorINS9_10device_ptrIiEEEESE_iNS9_4plusIiEEiEEDaPvRmT3_T4_T5_mT6_P12ihipStream_tbENKUlT_T0_E_clISt17integral_constantIbLb1EESU_EEDaSP_SQ_EUlSP_E0_NS1_11comp_targetILNS1_3genE0ELNS1_11target_archE4294967295ELNS1_3gpuE0ELNS1_3repE0EEENS1_30default_config_static_selectorELNS0_4arch9wavefront6targetE1EEEvT1_, .Lfunc_end541-_ZN7rocprim17ROCPRIM_400000_NS6detail17trampoline_kernelINS0_14default_configENS1_20scan_config_selectorIiEEZZNS1_9scan_implILNS1_25lookback_scan_determinismE0ELb0ELb0ES3_N6thrust23THRUST_200600_302600_NS6detail15normal_iteratorINS9_10device_ptrIiEEEESE_iNS9_4plusIiEEiEEDaPvRmT3_T4_T5_mT6_P12ihipStream_tbENKUlT_T0_E_clISt17integral_constantIbLb1EESU_EEDaSP_SQ_EUlSP_E0_NS1_11comp_targetILNS1_3genE0ELNS1_11target_archE4294967295ELNS1_3gpuE0ELNS1_3repE0EEENS1_30default_config_static_selectorELNS0_4arch9wavefront6targetE1EEEvT1_
                                        ; -- End function
	.section	.AMDGPU.csdata,"",@progbits
; Kernel info:
; codeLenInByte = 0
; NumSgprs: 4
; NumVgprs: 0
; NumAgprs: 0
; TotalNumVgprs: 0
; ScratchSize: 0
; MemoryBound: 0
; FloatMode: 240
; IeeeMode: 1
; LDSByteSize: 0 bytes/workgroup (compile time only)
; SGPRBlocks: 0
; VGPRBlocks: 0
; NumSGPRsForWavesPerEU: 4
; NumVGPRsForWavesPerEU: 1
; AccumOffset: 4
; Occupancy: 8
; WaveLimiterHint : 0
; COMPUTE_PGM_RSRC2:SCRATCH_EN: 0
; COMPUTE_PGM_RSRC2:USER_SGPR: 6
; COMPUTE_PGM_RSRC2:TRAP_HANDLER: 0
; COMPUTE_PGM_RSRC2:TGID_X_EN: 1
; COMPUTE_PGM_RSRC2:TGID_Y_EN: 0
; COMPUTE_PGM_RSRC2:TGID_Z_EN: 0
; COMPUTE_PGM_RSRC2:TIDIG_COMP_CNT: 0
; COMPUTE_PGM_RSRC3_GFX90A:ACCUM_OFFSET: 0
; COMPUTE_PGM_RSRC3_GFX90A:TG_SPLIT: 0
	.section	.text._ZN7rocprim17ROCPRIM_400000_NS6detail17trampoline_kernelINS0_14default_configENS1_20scan_config_selectorIiEEZZNS1_9scan_implILNS1_25lookback_scan_determinismE0ELb0ELb0ES3_N6thrust23THRUST_200600_302600_NS6detail15normal_iteratorINS9_10device_ptrIiEEEESE_iNS9_4plusIiEEiEEDaPvRmT3_T4_T5_mT6_P12ihipStream_tbENKUlT_T0_E_clISt17integral_constantIbLb1EESU_EEDaSP_SQ_EUlSP_E0_NS1_11comp_targetILNS1_3genE5ELNS1_11target_archE942ELNS1_3gpuE9ELNS1_3repE0EEENS1_30default_config_static_selectorELNS0_4arch9wavefront6targetE1EEEvT1_,"axG",@progbits,_ZN7rocprim17ROCPRIM_400000_NS6detail17trampoline_kernelINS0_14default_configENS1_20scan_config_selectorIiEEZZNS1_9scan_implILNS1_25lookback_scan_determinismE0ELb0ELb0ES3_N6thrust23THRUST_200600_302600_NS6detail15normal_iteratorINS9_10device_ptrIiEEEESE_iNS9_4plusIiEEiEEDaPvRmT3_T4_T5_mT6_P12ihipStream_tbENKUlT_T0_E_clISt17integral_constantIbLb1EESU_EEDaSP_SQ_EUlSP_E0_NS1_11comp_targetILNS1_3genE5ELNS1_11target_archE942ELNS1_3gpuE9ELNS1_3repE0EEENS1_30default_config_static_selectorELNS0_4arch9wavefront6targetE1EEEvT1_,comdat
	.protected	_ZN7rocprim17ROCPRIM_400000_NS6detail17trampoline_kernelINS0_14default_configENS1_20scan_config_selectorIiEEZZNS1_9scan_implILNS1_25lookback_scan_determinismE0ELb0ELb0ES3_N6thrust23THRUST_200600_302600_NS6detail15normal_iteratorINS9_10device_ptrIiEEEESE_iNS9_4plusIiEEiEEDaPvRmT3_T4_T5_mT6_P12ihipStream_tbENKUlT_T0_E_clISt17integral_constantIbLb1EESU_EEDaSP_SQ_EUlSP_E0_NS1_11comp_targetILNS1_3genE5ELNS1_11target_archE942ELNS1_3gpuE9ELNS1_3repE0EEENS1_30default_config_static_selectorELNS0_4arch9wavefront6targetE1EEEvT1_ ; -- Begin function _ZN7rocprim17ROCPRIM_400000_NS6detail17trampoline_kernelINS0_14default_configENS1_20scan_config_selectorIiEEZZNS1_9scan_implILNS1_25lookback_scan_determinismE0ELb0ELb0ES3_N6thrust23THRUST_200600_302600_NS6detail15normal_iteratorINS9_10device_ptrIiEEEESE_iNS9_4plusIiEEiEEDaPvRmT3_T4_T5_mT6_P12ihipStream_tbENKUlT_T0_E_clISt17integral_constantIbLb1EESU_EEDaSP_SQ_EUlSP_E0_NS1_11comp_targetILNS1_3genE5ELNS1_11target_archE942ELNS1_3gpuE9ELNS1_3repE0EEENS1_30default_config_static_selectorELNS0_4arch9wavefront6targetE1EEEvT1_
	.globl	_ZN7rocprim17ROCPRIM_400000_NS6detail17trampoline_kernelINS0_14default_configENS1_20scan_config_selectorIiEEZZNS1_9scan_implILNS1_25lookback_scan_determinismE0ELb0ELb0ES3_N6thrust23THRUST_200600_302600_NS6detail15normal_iteratorINS9_10device_ptrIiEEEESE_iNS9_4plusIiEEiEEDaPvRmT3_T4_T5_mT6_P12ihipStream_tbENKUlT_T0_E_clISt17integral_constantIbLb1EESU_EEDaSP_SQ_EUlSP_E0_NS1_11comp_targetILNS1_3genE5ELNS1_11target_archE942ELNS1_3gpuE9ELNS1_3repE0EEENS1_30default_config_static_selectorELNS0_4arch9wavefront6targetE1EEEvT1_
	.p2align	8
	.type	_ZN7rocprim17ROCPRIM_400000_NS6detail17trampoline_kernelINS0_14default_configENS1_20scan_config_selectorIiEEZZNS1_9scan_implILNS1_25lookback_scan_determinismE0ELb0ELb0ES3_N6thrust23THRUST_200600_302600_NS6detail15normal_iteratorINS9_10device_ptrIiEEEESE_iNS9_4plusIiEEiEEDaPvRmT3_T4_T5_mT6_P12ihipStream_tbENKUlT_T0_E_clISt17integral_constantIbLb1EESU_EEDaSP_SQ_EUlSP_E0_NS1_11comp_targetILNS1_3genE5ELNS1_11target_archE942ELNS1_3gpuE9ELNS1_3repE0EEENS1_30default_config_static_selectorELNS0_4arch9wavefront6targetE1EEEvT1_,@function
_ZN7rocprim17ROCPRIM_400000_NS6detail17trampoline_kernelINS0_14default_configENS1_20scan_config_selectorIiEEZZNS1_9scan_implILNS1_25lookback_scan_determinismE0ELb0ELb0ES3_N6thrust23THRUST_200600_302600_NS6detail15normal_iteratorINS9_10device_ptrIiEEEESE_iNS9_4plusIiEEiEEDaPvRmT3_T4_T5_mT6_P12ihipStream_tbENKUlT_T0_E_clISt17integral_constantIbLb1EESU_EEDaSP_SQ_EUlSP_E0_NS1_11comp_targetILNS1_3genE5ELNS1_11target_archE942ELNS1_3gpuE9ELNS1_3repE0EEENS1_30default_config_static_selectorELNS0_4arch9wavefront6targetE1EEEvT1_: ; @_ZN7rocprim17ROCPRIM_400000_NS6detail17trampoline_kernelINS0_14default_configENS1_20scan_config_selectorIiEEZZNS1_9scan_implILNS1_25lookback_scan_determinismE0ELb0ELb0ES3_N6thrust23THRUST_200600_302600_NS6detail15normal_iteratorINS9_10device_ptrIiEEEESE_iNS9_4plusIiEEiEEDaPvRmT3_T4_T5_mT6_P12ihipStream_tbENKUlT_T0_E_clISt17integral_constantIbLb1EESU_EEDaSP_SQ_EUlSP_E0_NS1_11comp_targetILNS1_3genE5ELNS1_11target_archE942ELNS1_3gpuE9ELNS1_3repE0EEENS1_30default_config_static_selectorELNS0_4arch9wavefront6targetE1EEEvT1_
; %bb.0:
	.section	.rodata,"a",@progbits
	.p2align	6, 0x0
	.amdhsa_kernel _ZN7rocprim17ROCPRIM_400000_NS6detail17trampoline_kernelINS0_14default_configENS1_20scan_config_selectorIiEEZZNS1_9scan_implILNS1_25lookback_scan_determinismE0ELb0ELb0ES3_N6thrust23THRUST_200600_302600_NS6detail15normal_iteratorINS9_10device_ptrIiEEEESE_iNS9_4plusIiEEiEEDaPvRmT3_T4_T5_mT6_P12ihipStream_tbENKUlT_T0_E_clISt17integral_constantIbLb1EESU_EEDaSP_SQ_EUlSP_E0_NS1_11comp_targetILNS1_3genE5ELNS1_11target_archE942ELNS1_3gpuE9ELNS1_3repE0EEENS1_30default_config_static_selectorELNS0_4arch9wavefront6targetE1EEEvT1_
		.amdhsa_group_segment_fixed_size 0
		.amdhsa_private_segment_fixed_size 0
		.amdhsa_kernarg_size 32
		.amdhsa_user_sgpr_count 6
		.amdhsa_user_sgpr_private_segment_buffer 1
		.amdhsa_user_sgpr_dispatch_ptr 0
		.amdhsa_user_sgpr_queue_ptr 0
		.amdhsa_user_sgpr_kernarg_segment_ptr 1
		.amdhsa_user_sgpr_dispatch_id 0
		.amdhsa_user_sgpr_flat_scratch_init 0
		.amdhsa_user_sgpr_kernarg_preload_length 0
		.amdhsa_user_sgpr_kernarg_preload_offset 0
		.amdhsa_user_sgpr_private_segment_size 0
		.amdhsa_uses_dynamic_stack 0
		.amdhsa_system_sgpr_private_segment_wavefront_offset 0
		.amdhsa_system_sgpr_workgroup_id_x 1
		.amdhsa_system_sgpr_workgroup_id_y 0
		.amdhsa_system_sgpr_workgroup_id_z 0
		.amdhsa_system_sgpr_workgroup_info 0
		.amdhsa_system_vgpr_workitem_id 0
		.amdhsa_next_free_vgpr 1
		.amdhsa_next_free_sgpr 0
		.amdhsa_accum_offset 4
		.amdhsa_reserve_vcc 0
		.amdhsa_reserve_flat_scratch 0
		.amdhsa_float_round_mode_32 0
		.amdhsa_float_round_mode_16_64 0
		.amdhsa_float_denorm_mode_32 3
		.amdhsa_float_denorm_mode_16_64 3
		.amdhsa_dx10_clamp 1
		.amdhsa_ieee_mode 1
		.amdhsa_fp16_overflow 0
		.amdhsa_tg_split 0
		.amdhsa_exception_fp_ieee_invalid_op 0
		.amdhsa_exception_fp_denorm_src 0
		.amdhsa_exception_fp_ieee_div_zero 0
		.amdhsa_exception_fp_ieee_overflow 0
		.amdhsa_exception_fp_ieee_underflow 0
		.amdhsa_exception_fp_ieee_inexact 0
		.amdhsa_exception_int_div_zero 0
	.end_amdhsa_kernel
	.section	.text._ZN7rocprim17ROCPRIM_400000_NS6detail17trampoline_kernelINS0_14default_configENS1_20scan_config_selectorIiEEZZNS1_9scan_implILNS1_25lookback_scan_determinismE0ELb0ELb0ES3_N6thrust23THRUST_200600_302600_NS6detail15normal_iteratorINS9_10device_ptrIiEEEESE_iNS9_4plusIiEEiEEDaPvRmT3_T4_T5_mT6_P12ihipStream_tbENKUlT_T0_E_clISt17integral_constantIbLb1EESU_EEDaSP_SQ_EUlSP_E0_NS1_11comp_targetILNS1_3genE5ELNS1_11target_archE942ELNS1_3gpuE9ELNS1_3repE0EEENS1_30default_config_static_selectorELNS0_4arch9wavefront6targetE1EEEvT1_,"axG",@progbits,_ZN7rocprim17ROCPRIM_400000_NS6detail17trampoline_kernelINS0_14default_configENS1_20scan_config_selectorIiEEZZNS1_9scan_implILNS1_25lookback_scan_determinismE0ELb0ELb0ES3_N6thrust23THRUST_200600_302600_NS6detail15normal_iteratorINS9_10device_ptrIiEEEESE_iNS9_4plusIiEEiEEDaPvRmT3_T4_T5_mT6_P12ihipStream_tbENKUlT_T0_E_clISt17integral_constantIbLb1EESU_EEDaSP_SQ_EUlSP_E0_NS1_11comp_targetILNS1_3genE5ELNS1_11target_archE942ELNS1_3gpuE9ELNS1_3repE0EEENS1_30default_config_static_selectorELNS0_4arch9wavefront6targetE1EEEvT1_,comdat
.Lfunc_end542:
	.size	_ZN7rocprim17ROCPRIM_400000_NS6detail17trampoline_kernelINS0_14default_configENS1_20scan_config_selectorIiEEZZNS1_9scan_implILNS1_25lookback_scan_determinismE0ELb0ELb0ES3_N6thrust23THRUST_200600_302600_NS6detail15normal_iteratorINS9_10device_ptrIiEEEESE_iNS9_4plusIiEEiEEDaPvRmT3_T4_T5_mT6_P12ihipStream_tbENKUlT_T0_E_clISt17integral_constantIbLb1EESU_EEDaSP_SQ_EUlSP_E0_NS1_11comp_targetILNS1_3genE5ELNS1_11target_archE942ELNS1_3gpuE9ELNS1_3repE0EEENS1_30default_config_static_selectorELNS0_4arch9wavefront6targetE1EEEvT1_, .Lfunc_end542-_ZN7rocprim17ROCPRIM_400000_NS6detail17trampoline_kernelINS0_14default_configENS1_20scan_config_selectorIiEEZZNS1_9scan_implILNS1_25lookback_scan_determinismE0ELb0ELb0ES3_N6thrust23THRUST_200600_302600_NS6detail15normal_iteratorINS9_10device_ptrIiEEEESE_iNS9_4plusIiEEiEEDaPvRmT3_T4_T5_mT6_P12ihipStream_tbENKUlT_T0_E_clISt17integral_constantIbLb1EESU_EEDaSP_SQ_EUlSP_E0_NS1_11comp_targetILNS1_3genE5ELNS1_11target_archE942ELNS1_3gpuE9ELNS1_3repE0EEENS1_30default_config_static_selectorELNS0_4arch9wavefront6targetE1EEEvT1_
                                        ; -- End function
	.section	.AMDGPU.csdata,"",@progbits
; Kernel info:
; codeLenInByte = 0
; NumSgprs: 4
; NumVgprs: 0
; NumAgprs: 0
; TotalNumVgprs: 0
; ScratchSize: 0
; MemoryBound: 0
; FloatMode: 240
; IeeeMode: 1
; LDSByteSize: 0 bytes/workgroup (compile time only)
; SGPRBlocks: 0
; VGPRBlocks: 0
; NumSGPRsForWavesPerEU: 4
; NumVGPRsForWavesPerEU: 1
; AccumOffset: 4
; Occupancy: 8
; WaveLimiterHint : 0
; COMPUTE_PGM_RSRC2:SCRATCH_EN: 0
; COMPUTE_PGM_RSRC2:USER_SGPR: 6
; COMPUTE_PGM_RSRC2:TRAP_HANDLER: 0
; COMPUTE_PGM_RSRC2:TGID_X_EN: 1
; COMPUTE_PGM_RSRC2:TGID_Y_EN: 0
; COMPUTE_PGM_RSRC2:TGID_Z_EN: 0
; COMPUTE_PGM_RSRC2:TIDIG_COMP_CNT: 0
; COMPUTE_PGM_RSRC3_GFX90A:ACCUM_OFFSET: 0
; COMPUTE_PGM_RSRC3_GFX90A:TG_SPLIT: 0
	.section	.text._ZN7rocprim17ROCPRIM_400000_NS6detail17trampoline_kernelINS0_14default_configENS1_20scan_config_selectorIiEEZZNS1_9scan_implILNS1_25lookback_scan_determinismE0ELb0ELb0ES3_N6thrust23THRUST_200600_302600_NS6detail15normal_iteratorINS9_10device_ptrIiEEEESE_iNS9_4plusIiEEiEEDaPvRmT3_T4_T5_mT6_P12ihipStream_tbENKUlT_T0_E_clISt17integral_constantIbLb1EESU_EEDaSP_SQ_EUlSP_E0_NS1_11comp_targetILNS1_3genE4ELNS1_11target_archE910ELNS1_3gpuE8ELNS1_3repE0EEENS1_30default_config_static_selectorELNS0_4arch9wavefront6targetE1EEEvT1_,"axG",@progbits,_ZN7rocprim17ROCPRIM_400000_NS6detail17trampoline_kernelINS0_14default_configENS1_20scan_config_selectorIiEEZZNS1_9scan_implILNS1_25lookback_scan_determinismE0ELb0ELb0ES3_N6thrust23THRUST_200600_302600_NS6detail15normal_iteratorINS9_10device_ptrIiEEEESE_iNS9_4plusIiEEiEEDaPvRmT3_T4_T5_mT6_P12ihipStream_tbENKUlT_T0_E_clISt17integral_constantIbLb1EESU_EEDaSP_SQ_EUlSP_E0_NS1_11comp_targetILNS1_3genE4ELNS1_11target_archE910ELNS1_3gpuE8ELNS1_3repE0EEENS1_30default_config_static_selectorELNS0_4arch9wavefront6targetE1EEEvT1_,comdat
	.protected	_ZN7rocprim17ROCPRIM_400000_NS6detail17trampoline_kernelINS0_14default_configENS1_20scan_config_selectorIiEEZZNS1_9scan_implILNS1_25lookback_scan_determinismE0ELb0ELb0ES3_N6thrust23THRUST_200600_302600_NS6detail15normal_iteratorINS9_10device_ptrIiEEEESE_iNS9_4plusIiEEiEEDaPvRmT3_T4_T5_mT6_P12ihipStream_tbENKUlT_T0_E_clISt17integral_constantIbLb1EESU_EEDaSP_SQ_EUlSP_E0_NS1_11comp_targetILNS1_3genE4ELNS1_11target_archE910ELNS1_3gpuE8ELNS1_3repE0EEENS1_30default_config_static_selectorELNS0_4arch9wavefront6targetE1EEEvT1_ ; -- Begin function _ZN7rocprim17ROCPRIM_400000_NS6detail17trampoline_kernelINS0_14default_configENS1_20scan_config_selectorIiEEZZNS1_9scan_implILNS1_25lookback_scan_determinismE0ELb0ELb0ES3_N6thrust23THRUST_200600_302600_NS6detail15normal_iteratorINS9_10device_ptrIiEEEESE_iNS9_4plusIiEEiEEDaPvRmT3_T4_T5_mT6_P12ihipStream_tbENKUlT_T0_E_clISt17integral_constantIbLb1EESU_EEDaSP_SQ_EUlSP_E0_NS1_11comp_targetILNS1_3genE4ELNS1_11target_archE910ELNS1_3gpuE8ELNS1_3repE0EEENS1_30default_config_static_selectorELNS0_4arch9wavefront6targetE1EEEvT1_
	.globl	_ZN7rocprim17ROCPRIM_400000_NS6detail17trampoline_kernelINS0_14default_configENS1_20scan_config_selectorIiEEZZNS1_9scan_implILNS1_25lookback_scan_determinismE0ELb0ELb0ES3_N6thrust23THRUST_200600_302600_NS6detail15normal_iteratorINS9_10device_ptrIiEEEESE_iNS9_4plusIiEEiEEDaPvRmT3_T4_T5_mT6_P12ihipStream_tbENKUlT_T0_E_clISt17integral_constantIbLb1EESU_EEDaSP_SQ_EUlSP_E0_NS1_11comp_targetILNS1_3genE4ELNS1_11target_archE910ELNS1_3gpuE8ELNS1_3repE0EEENS1_30default_config_static_selectorELNS0_4arch9wavefront6targetE1EEEvT1_
	.p2align	8
	.type	_ZN7rocprim17ROCPRIM_400000_NS6detail17trampoline_kernelINS0_14default_configENS1_20scan_config_selectorIiEEZZNS1_9scan_implILNS1_25lookback_scan_determinismE0ELb0ELb0ES3_N6thrust23THRUST_200600_302600_NS6detail15normal_iteratorINS9_10device_ptrIiEEEESE_iNS9_4plusIiEEiEEDaPvRmT3_T4_T5_mT6_P12ihipStream_tbENKUlT_T0_E_clISt17integral_constantIbLb1EESU_EEDaSP_SQ_EUlSP_E0_NS1_11comp_targetILNS1_3genE4ELNS1_11target_archE910ELNS1_3gpuE8ELNS1_3repE0EEENS1_30default_config_static_selectorELNS0_4arch9wavefront6targetE1EEEvT1_,@function
_ZN7rocprim17ROCPRIM_400000_NS6detail17trampoline_kernelINS0_14default_configENS1_20scan_config_selectorIiEEZZNS1_9scan_implILNS1_25lookback_scan_determinismE0ELb0ELb0ES3_N6thrust23THRUST_200600_302600_NS6detail15normal_iteratorINS9_10device_ptrIiEEEESE_iNS9_4plusIiEEiEEDaPvRmT3_T4_T5_mT6_P12ihipStream_tbENKUlT_T0_E_clISt17integral_constantIbLb1EESU_EEDaSP_SQ_EUlSP_E0_NS1_11comp_targetILNS1_3genE4ELNS1_11target_archE910ELNS1_3gpuE8ELNS1_3repE0EEENS1_30default_config_static_selectorELNS0_4arch9wavefront6targetE1EEEvT1_: ; @_ZN7rocprim17ROCPRIM_400000_NS6detail17trampoline_kernelINS0_14default_configENS1_20scan_config_selectorIiEEZZNS1_9scan_implILNS1_25lookback_scan_determinismE0ELb0ELb0ES3_N6thrust23THRUST_200600_302600_NS6detail15normal_iteratorINS9_10device_ptrIiEEEESE_iNS9_4plusIiEEiEEDaPvRmT3_T4_T5_mT6_P12ihipStream_tbENKUlT_T0_E_clISt17integral_constantIbLb1EESU_EEDaSP_SQ_EUlSP_E0_NS1_11comp_targetILNS1_3genE4ELNS1_11target_archE910ELNS1_3gpuE8ELNS1_3repE0EEENS1_30default_config_static_selectorELNS0_4arch9wavefront6targetE1EEEvT1_
; %bb.0:
	s_load_dwordx4 s[20:23], s[4:5], 0x0
	v_lshlrev_b32_e32 v20, 2, v0
	s_waitcnt lgkmcnt(0)
	s_load_dword s23, s[20:21], 0x0
	v_cmp_gt_u32_e32 vcc, s22, v0
	s_waitcnt lgkmcnt(0)
	v_mov_b32_e32 v1, s23
	s_and_saveexec_b64 s[0:1], vcc
	s_cbranch_execz .LBB543_2
; %bb.1:
	global_load_dword v1, v20, s[20:21]
.LBB543_2:
	s_or_b64 exec, exec, s[0:1]
	v_or_b32_e32 v2, 0x80, v0
	v_cmp_gt_u32_e64 s[0:1], s22, v2
	v_mov_b32_e32 v2, s23
	s_and_saveexec_b64 s[2:3], s[0:1]
	s_cbranch_execz .LBB543_4
; %bb.3:
	global_load_dword v2, v20, s[20:21] offset:512
.LBB543_4:
	s_or_b64 exec, exec, s[2:3]
	v_or_b32_e32 v3, 0x100, v0
	v_cmp_gt_u32_e64 s[2:3], s22, v3
	v_mov_b32_e32 v3, s23
	s_and_saveexec_b64 s[6:7], s[2:3]
	s_cbranch_execz .LBB543_6
; %bb.5:
	global_load_dword v3, v20, s[20:21] offset:1024
.LBB543_6:
	;; [unrolled: 9-line block ×7, first 2 shown]
	s_or_b64 exec, exec, s[14:15]
	v_or_b32_e32 v10, 0x400, v0
	v_cmp_gt_u32_e64 s[14:15], s22, v10
	v_mov_b32_e32 v9, s23
	s_and_saveexec_b64 s[16:17], s[14:15]
	s_cbranch_execz .LBB543_18
; %bb.17:
	v_lshlrev_b32_e32 v9, 2, v10
	global_load_dword v9, v9, s[20:21]
.LBB543_18:
	s_or_b64 exec, exec, s[16:17]
	v_or_b32_e32 v11, 0x480, v0
	v_cmp_gt_u32_e64 s[16:17], s22, v11
	v_mov_b32_e32 v10, s23
	s_and_saveexec_b64 s[22:23], s[16:17]
	s_cbranch_execz .LBB543_20
; %bb.19:
	v_lshlrev_b32_e32 v10, 2, v11
	global_load_dword v10, v10, s[20:21]
.LBB543_20:
	s_or_b64 exec, exec, s[22:23]
	s_waitcnt vmcnt(0)
	ds_write2st64_b32 v20, v1, v2 offset1:2
	ds_write2st64_b32 v20, v3, v4 offset0:4 offset1:6
	ds_write2st64_b32 v20, v5, v6 offset0:8 offset1:10
	ds_write2st64_b32 v20, v7, v8 offset0:12 offset1:14
	ds_write2st64_b32 v20, v9, v10 offset0:16 offset1:18
	v_mad_u32_u24 v1, v0, 36, v20
	s_waitcnt lgkmcnt(0)
	s_barrier
	ds_read2_b64 v[6:9], v1 offset1:1
	ds_read2_b64 v[2:5], v1 offset0:2 offset1:3
	ds_read_b64 v[18:19], v1 offset:32
	v_lshrrev_b32_e32 v21, 3, v0
	v_and_b32_e32 v21, 12, v21
	s_waitcnt lgkmcnt(2)
	v_add_u32_e32 v1, v7, v6
	v_add_u32_e32 v14, v1, v8
	;; [unrolled: 1-line block ×3, first 2 shown]
	s_waitcnt lgkmcnt(1)
	v_add_u32_e32 v10, v15, v2
	v_add_u32_e32 v11, v10, v3
	v_add_u32_e32 v12, v11, v4
	v_add_u32_e32 v13, v12, v5
	s_waitcnt lgkmcnt(0)
	v_add_u32_e32 v16, v13, v18
	v_add_u32_e32 v17, v16, v19
	;; [unrolled: 1-line block ×3, first 2 shown]
	v_cmp_gt_u32_e64 s[20:21], 64, v0
	s_barrier
	ds_write_b32 v21, v17
	s_waitcnt lgkmcnt(0)
	s_barrier
	s_and_saveexec_b64 s[22:23], s[20:21]
	s_cbranch_execz .LBB543_22
; %bb.21:
	v_lshlrev_b32_e32 v21, 1, v0
	v_lshrrev_b32_e32 v22, 4, v0
	v_add_lshl_u32 v21, v22, v21, 2
	ds_read2_b32 v[22:23], v21 offset1:1
	v_mbcnt_lo_u32_b32 v24, -1, 0
	v_mbcnt_hi_u32_b32 v24, -1, v24
	v_and_b32_e32 v25, 15, v24
	v_cmp_ne_u32_e64 s[20:21], 0, v25
	s_waitcnt lgkmcnt(0)
	v_add_u32_e32 v23, v23, v22
	; wave barrier
	s_nop 1
	v_mov_b32_dpp v26, v23 row_shr:1 row_mask:0xf bank_mask:0xf
	v_cndmask_b32_e64 v26, 0, v26, s[20:21]
	v_add_u32_e32 v23, v26, v23
	v_cmp_lt_u32_e64 s[20:21], 1, v25
	s_nop 0
	v_mov_b32_dpp v26, v23 row_shr:2 row_mask:0xf bank_mask:0xf
	v_cndmask_b32_e64 v26, 0, v26, s[20:21]
	v_add_u32_e32 v23, v23, v26
	v_cmp_lt_u32_e64 s[20:21], 3, v25
	;; [unrolled: 5-line block ×3, first 2 shown]
	s_nop 0
	v_mov_b32_dpp v26, v23 row_shr:8 row_mask:0xf bank_mask:0xf
	v_cndmask_b32_e64 v25, 0, v26, s[20:21]
	v_add_u32_e32 v23, v23, v25
	v_bfe_i32 v26, v24, 4, 1
	v_cmp_lt_u32_e64 s[20:21], 31, v24
	v_mov_b32_dpp v25, v23 row_bcast:15 row_mask:0xf bank_mask:0xf
	v_and_b32_e32 v25, v26, v25
	v_add_u32_e32 v23, v23, v25
	v_and_b32_e32 v26, 64, v24
	s_nop 0
	v_mov_b32_dpp v25, v23 row_bcast:31 row_mask:0xf bank_mask:0xf
	v_cndmask_b32_e64 v25, 0, v25, s[20:21]
	v_add_u32_e32 v23, v23, v25
	v_add_u32_e32 v25, -1, v24
	v_cmp_lt_i32_e64 s[20:21], v25, v26
	v_cndmask_b32_e64 v24, v25, v24, s[20:21]
	v_lshlrev_b32_e32 v24, 2, v24
	ds_bpermute_b32 v23, v24, v23
	v_cmp_eq_u32_e64 s[20:21], 0, v0
	s_waitcnt lgkmcnt(0)
	v_add_u32_e32 v22, v23, v22
	v_cndmask_b32_e64 v22, v22, v17, s[20:21]
	ds_write_b32 v21, v22
	; wave barrier
	ds_read_b32 v23, v21 offset:4
	s_waitcnt lgkmcnt(0)
	v_add_u32_e32 v22, v23, v22
	ds_write_b32 v21, v22 offset:4
.LBB543_22:
	s_or_b64 exec, exec, s[22:23]
	s_load_dwordx2 s[20:21], s[4:5], 0x18
	v_cmp_ne_u32_e64 s[4:5], 0, v0
	v_mov_b32_e32 v22, v17
	s_waitcnt lgkmcnt(0)
	s_barrier
	s_and_saveexec_b64 s[22:23], s[4:5]
	s_cbranch_execz .LBB543_24
; %bb.23:
	v_add_u32_e32 v21, -1, v0
	v_lshrrev_b32_e32 v22, 5, v21
	v_add_lshl_u32 v21, v22, v21, 2
	ds_read_b32 v22, v21
.LBB543_24:
	s_or_b64 exec, exec, s[22:23]
	v_mul_u32_u24_e32 v21, 36, v0
	v_mov_b32_e32 v0, v6
	s_and_saveexec_b64 s[22:23], s[4:5]
	s_cbranch_execz .LBB543_26
; %bb.25:
	s_waitcnt lgkmcnt(0)
	v_add_u32_e32 v0, v22, v6
	v_add_u32_e32 v1, v0, v7
	v_add_u32_e32 v14, v1, v8
	v_add_u32_e32 v15, v14, v9
	v_add_u32_e32 v10, v15, v2
	v_add_u32_e32 v11, v10, v3
	v_add_u32_e32 v12, v11, v4
	v_add_u32_e32 v13, v12, v5
	v_add_u32_e32 v16, v13, v18
	v_add_u32_e32 v17, v16, v19
	;;#ASMSTART
	;;#ASMEND
.LBB543_26:
	s_or_b64 exec, exec, s[22:23]
	v_add_u32_e32 v2, v20, v21
	s_waitcnt lgkmcnt(0)
	s_barrier
	ds_write2_b64 v2, v[0:1], v[14:15] offset1:1
	ds_write2_b64 v2, v[10:11], v[12:13] offset0:2 offset1:3
	ds_write_b64 v2, v[16:17] offset:32
	s_waitcnt lgkmcnt(0)
	s_barrier
	ds_read2st64_b32 v[8:9], v20 offset0:2 offset1:4
	ds_read2st64_b32 v[6:7], v20 offset0:6 offset1:8
	;; [unrolled: 1-line block ×4, first 2 shown]
	ds_read_b32 v10, v20 offset:4608
	v_mov_b32_e32 v1, s21
	v_add_co_u32_e64 v0, s[4:5], s20, v20
	v_addc_co_u32_e64 v1, s[4:5], 0, v1, s[4:5]
	s_and_saveexec_b64 s[4:5], vcc
	s_cbranch_execnz .LBB543_37
; %bb.27:
	s_or_b64 exec, exec, s[4:5]
	s_and_saveexec_b64 s[4:5], s[0:1]
	s_cbranch_execnz .LBB543_38
.LBB543_28:
	s_or_b64 exec, exec, s[4:5]
	s_and_saveexec_b64 s[0:1], s[2:3]
	s_cbranch_execnz .LBB543_39
.LBB543_29:
	s_or_b64 exec, exec, s[0:1]
	s_and_saveexec_b64 s[0:1], s[18:19]
	s_cbranch_execnz .LBB543_40
.LBB543_30:
	s_or_b64 exec, exec, s[0:1]
	s_and_saveexec_b64 s[0:1], s[6:7]
	s_cbranch_execnz .LBB543_41
.LBB543_31:
	s_or_b64 exec, exec, s[0:1]
	s_and_saveexec_b64 s[0:1], s[8:9]
	s_cbranch_execnz .LBB543_42
.LBB543_32:
	s_or_b64 exec, exec, s[0:1]
	s_and_saveexec_b64 s[0:1], s[10:11]
	s_cbranch_execnz .LBB543_43
.LBB543_33:
	s_or_b64 exec, exec, s[0:1]
	s_and_saveexec_b64 s[0:1], s[12:13]
	s_cbranch_execnz .LBB543_44
.LBB543_34:
	s_or_b64 exec, exec, s[0:1]
	s_and_saveexec_b64 s[0:1], s[14:15]
	s_cbranch_execnz .LBB543_45
.LBB543_35:
	s_or_b64 exec, exec, s[0:1]
	s_and_saveexec_b64 s[0:1], s[16:17]
	s_cbranch_execnz .LBB543_46
.LBB543_36:
	s_endpgm
.LBB543_37:
	ds_read_b32 v11, v20
	s_waitcnt lgkmcnt(0)
	global_store_dword v[0:1], v11, off
	s_or_b64 exec, exec, s[4:5]
	s_and_saveexec_b64 s[4:5], s[0:1]
	s_cbranch_execz .LBB543_28
.LBB543_38:
	s_waitcnt lgkmcnt(4)
	global_store_dword v[0:1], v8, off offset:512
	s_or_b64 exec, exec, s[4:5]
	s_and_saveexec_b64 s[0:1], s[2:3]
	s_cbranch_execz .LBB543_29
.LBB543_39:
	s_waitcnt lgkmcnt(4)
	global_store_dword v[0:1], v9, off offset:1024
	s_or_b64 exec, exec, s[0:1]
	s_and_saveexec_b64 s[0:1], s[18:19]
	s_cbranch_execz .LBB543_30
.LBB543_40:
	s_waitcnt lgkmcnt(3)
	global_store_dword v[0:1], v6, off offset:1536
	s_or_b64 exec, exec, s[0:1]
	s_and_saveexec_b64 s[0:1], s[6:7]
	s_cbranch_execz .LBB543_31
.LBB543_41:
	s_waitcnt lgkmcnt(3)
	global_store_dword v[0:1], v7, off offset:2048
	s_or_b64 exec, exec, s[0:1]
	s_and_saveexec_b64 s[0:1], s[8:9]
	s_cbranch_execz .LBB543_32
.LBB543_42:
	s_waitcnt lgkmcnt(2)
	global_store_dword v[0:1], v4, off offset:2560
	s_or_b64 exec, exec, s[0:1]
	s_and_saveexec_b64 s[0:1], s[10:11]
	s_cbranch_execz .LBB543_33
.LBB543_43:
	s_waitcnt lgkmcnt(2)
	global_store_dword v[0:1], v5, off offset:3072
	s_or_b64 exec, exec, s[0:1]
	s_and_saveexec_b64 s[0:1], s[12:13]
	s_cbranch_execz .LBB543_34
.LBB543_44:
	s_waitcnt lgkmcnt(1)
	global_store_dword v[0:1], v2, off offset:3584
	s_or_b64 exec, exec, s[0:1]
	s_and_saveexec_b64 s[0:1], s[14:15]
	s_cbranch_execz .LBB543_35
.LBB543_45:
	s_waitcnt lgkmcnt(2)
	v_add_co_u32_e32 v4, vcc, 0x1000, v0
	v_addc_co_u32_e32 v5, vcc, 0, v1, vcc
	s_waitcnt lgkmcnt(1)
	global_store_dword v[4:5], v3, off
	s_or_b64 exec, exec, s[0:1]
	s_and_saveexec_b64 s[0:1], s[16:17]
	s_cbranch_execz .LBB543_36
.LBB543_46:
	v_add_co_u32_e32 v0, vcc, 0x1000, v0
	v_addc_co_u32_e32 v1, vcc, 0, v1, vcc
	s_waitcnt lgkmcnt(0)
	global_store_dword v[0:1], v10, off offset:512
	s_endpgm
	.section	.rodata,"a",@progbits
	.p2align	6, 0x0
	.amdhsa_kernel _ZN7rocprim17ROCPRIM_400000_NS6detail17trampoline_kernelINS0_14default_configENS1_20scan_config_selectorIiEEZZNS1_9scan_implILNS1_25lookback_scan_determinismE0ELb0ELb0ES3_N6thrust23THRUST_200600_302600_NS6detail15normal_iteratorINS9_10device_ptrIiEEEESE_iNS9_4plusIiEEiEEDaPvRmT3_T4_T5_mT6_P12ihipStream_tbENKUlT_T0_E_clISt17integral_constantIbLb1EESU_EEDaSP_SQ_EUlSP_E0_NS1_11comp_targetILNS1_3genE4ELNS1_11target_archE910ELNS1_3gpuE8ELNS1_3repE0EEENS1_30default_config_static_selectorELNS0_4arch9wavefront6targetE1EEEvT1_
		.amdhsa_group_segment_fixed_size 5120
		.amdhsa_private_segment_fixed_size 0
		.amdhsa_kernarg_size 32
		.amdhsa_user_sgpr_count 6
		.amdhsa_user_sgpr_private_segment_buffer 1
		.amdhsa_user_sgpr_dispatch_ptr 0
		.amdhsa_user_sgpr_queue_ptr 0
		.amdhsa_user_sgpr_kernarg_segment_ptr 1
		.amdhsa_user_sgpr_dispatch_id 0
		.amdhsa_user_sgpr_flat_scratch_init 0
		.amdhsa_user_sgpr_kernarg_preload_length 0
		.amdhsa_user_sgpr_kernarg_preload_offset 0
		.amdhsa_user_sgpr_private_segment_size 0
		.amdhsa_uses_dynamic_stack 0
		.amdhsa_system_sgpr_private_segment_wavefront_offset 0
		.amdhsa_system_sgpr_workgroup_id_x 1
		.amdhsa_system_sgpr_workgroup_id_y 0
		.amdhsa_system_sgpr_workgroup_id_z 0
		.amdhsa_system_sgpr_workgroup_info 0
		.amdhsa_system_vgpr_workitem_id 0
		.amdhsa_next_free_vgpr 27
		.amdhsa_next_free_sgpr 24
		.amdhsa_accum_offset 28
		.amdhsa_reserve_vcc 1
		.amdhsa_reserve_flat_scratch 0
		.amdhsa_float_round_mode_32 0
		.amdhsa_float_round_mode_16_64 0
		.amdhsa_float_denorm_mode_32 3
		.amdhsa_float_denorm_mode_16_64 3
		.amdhsa_dx10_clamp 1
		.amdhsa_ieee_mode 1
		.amdhsa_fp16_overflow 0
		.amdhsa_tg_split 0
		.amdhsa_exception_fp_ieee_invalid_op 0
		.amdhsa_exception_fp_denorm_src 0
		.amdhsa_exception_fp_ieee_div_zero 0
		.amdhsa_exception_fp_ieee_overflow 0
		.amdhsa_exception_fp_ieee_underflow 0
		.amdhsa_exception_fp_ieee_inexact 0
		.amdhsa_exception_int_div_zero 0
	.end_amdhsa_kernel
	.section	.text._ZN7rocprim17ROCPRIM_400000_NS6detail17trampoline_kernelINS0_14default_configENS1_20scan_config_selectorIiEEZZNS1_9scan_implILNS1_25lookback_scan_determinismE0ELb0ELb0ES3_N6thrust23THRUST_200600_302600_NS6detail15normal_iteratorINS9_10device_ptrIiEEEESE_iNS9_4plusIiEEiEEDaPvRmT3_T4_T5_mT6_P12ihipStream_tbENKUlT_T0_E_clISt17integral_constantIbLb1EESU_EEDaSP_SQ_EUlSP_E0_NS1_11comp_targetILNS1_3genE4ELNS1_11target_archE910ELNS1_3gpuE8ELNS1_3repE0EEENS1_30default_config_static_selectorELNS0_4arch9wavefront6targetE1EEEvT1_,"axG",@progbits,_ZN7rocprim17ROCPRIM_400000_NS6detail17trampoline_kernelINS0_14default_configENS1_20scan_config_selectorIiEEZZNS1_9scan_implILNS1_25lookback_scan_determinismE0ELb0ELb0ES3_N6thrust23THRUST_200600_302600_NS6detail15normal_iteratorINS9_10device_ptrIiEEEESE_iNS9_4plusIiEEiEEDaPvRmT3_T4_T5_mT6_P12ihipStream_tbENKUlT_T0_E_clISt17integral_constantIbLb1EESU_EEDaSP_SQ_EUlSP_E0_NS1_11comp_targetILNS1_3genE4ELNS1_11target_archE910ELNS1_3gpuE8ELNS1_3repE0EEENS1_30default_config_static_selectorELNS0_4arch9wavefront6targetE1EEEvT1_,comdat
.Lfunc_end543:
	.size	_ZN7rocprim17ROCPRIM_400000_NS6detail17trampoline_kernelINS0_14default_configENS1_20scan_config_selectorIiEEZZNS1_9scan_implILNS1_25lookback_scan_determinismE0ELb0ELb0ES3_N6thrust23THRUST_200600_302600_NS6detail15normal_iteratorINS9_10device_ptrIiEEEESE_iNS9_4plusIiEEiEEDaPvRmT3_T4_T5_mT6_P12ihipStream_tbENKUlT_T0_E_clISt17integral_constantIbLb1EESU_EEDaSP_SQ_EUlSP_E0_NS1_11comp_targetILNS1_3genE4ELNS1_11target_archE910ELNS1_3gpuE8ELNS1_3repE0EEENS1_30default_config_static_selectorELNS0_4arch9wavefront6targetE1EEEvT1_, .Lfunc_end543-_ZN7rocprim17ROCPRIM_400000_NS6detail17trampoline_kernelINS0_14default_configENS1_20scan_config_selectorIiEEZZNS1_9scan_implILNS1_25lookback_scan_determinismE0ELb0ELb0ES3_N6thrust23THRUST_200600_302600_NS6detail15normal_iteratorINS9_10device_ptrIiEEEESE_iNS9_4plusIiEEiEEDaPvRmT3_T4_T5_mT6_P12ihipStream_tbENKUlT_T0_E_clISt17integral_constantIbLb1EESU_EEDaSP_SQ_EUlSP_E0_NS1_11comp_targetILNS1_3genE4ELNS1_11target_archE910ELNS1_3gpuE8ELNS1_3repE0EEENS1_30default_config_static_selectorELNS0_4arch9wavefront6targetE1EEEvT1_
                                        ; -- End function
	.section	.AMDGPU.csdata,"",@progbits
; Kernel info:
; codeLenInByte = 1556
; NumSgprs: 28
; NumVgprs: 27
; NumAgprs: 0
; TotalNumVgprs: 27
; ScratchSize: 0
; MemoryBound: 0
; FloatMode: 240
; IeeeMode: 1
; LDSByteSize: 5120 bytes/workgroup (compile time only)
; SGPRBlocks: 3
; VGPRBlocks: 3
; NumSGPRsForWavesPerEU: 28
; NumVGPRsForWavesPerEU: 27
; AccumOffset: 28
; Occupancy: 6
; WaveLimiterHint : 0
; COMPUTE_PGM_RSRC2:SCRATCH_EN: 0
; COMPUTE_PGM_RSRC2:USER_SGPR: 6
; COMPUTE_PGM_RSRC2:TRAP_HANDLER: 0
; COMPUTE_PGM_RSRC2:TGID_X_EN: 1
; COMPUTE_PGM_RSRC2:TGID_Y_EN: 0
; COMPUTE_PGM_RSRC2:TGID_Z_EN: 0
; COMPUTE_PGM_RSRC2:TIDIG_COMP_CNT: 0
; COMPUTE_PGM_RSRC3_GFX90A:ACCUM_OFFSET: 6
; COMPUTE_PGM_RSRC3_GFX90A:TG_SPLIT: 0
	.section	.text._ZN7rocprim17ROCPRIM_400000_NS6detail17trampoline_kernelINS0_14default_configENS1_20scan_config_selectorIiEEZZNS1_9scan_implILNS1_25lookback_scan_determinismE0ELb0ELb0ES3_N6thrust23THRUST_200600_302600_NS6detail15normal_iteratorINS9_10device_ptrIiEEEESE_iNS9_4plusIiEEiEEDaPvRmT3_T4_T5_mT6_P12ihipStream_tbENKUlT_T0_E_clISt17integral_constantIbLb1EESU_EEDaSP_SQ_EUlSP_E0_NS1_11comp_targetILNS1_3genE3ELNS1_11target_archE908ELNS1_3gpuE7ELNS1_3repE0EEENS1_30default_config_static_selectorELNS0_4arch9wavefront6targetE1EEEvT1_,"axG",@progbits,_ZN7rocprim17ROCPRIM_400000_NS6detail17trampoline_kernelINS0_14default_configENS1_20scan_config_selectorIiEEZZNS1_9scan_implILNS1_25lookback_scan_determinismE0ELb0ELb0ES3_N6thrust23THRUST_200600_302600_NS6detail15normal_iteratorINS9_10device_ptrIiEEEESE_iNS9_4plusIiEEiEEDaPvRmT3_T4_T5_mT6_P12ihipStream_tbENKUlT_T0_E_clISt17integral_constantIbLb1EESU_EEDaSP_SQ_EUlSP_E0_NS1_11comp_targetILNS1_3genE3ELNS1_11target_archE908ELNS1_3gpuE7ELNS1_3repE0EEENS1_30default_config_static_selectorELNS0_4arch9wavefront6targetE1EEEvT1_,comdat
	.protected	_ZN7rocprim17ROCPRIM_400000_NS6detail17trampoline_kernelINS0_14default_configENS1_20scan_config_selectorIiEEZZNS1_9scan_implILNS1_25lookback_scan_determinismE0ELb0ELb0ES3_N6thrust23THRUST_200600_302600_NS6detail15normal_iteratorINS9_10device_ptrIiEEEESE_iNS9_4plusIiEEiEEDaPvRmT3_T4_T5_mT6_P12ihipStream_tbENKUlT_T0_E_clISt17integral_constantIbLb1EESU_EEDaSP_SQ_EUlSP_E0_NS1_11comp_targetILNS1_3genE3ELNS1_11target_archE908ELNS1_3gpuE7ELNS1_3repE0EEENS1_30default_config_static_selectorELNS0_4arch9wavefront6targetE1EEEvT1_ ; -- Begin function _ZN7rocprim17ROCPRIM_400000_NS6detail17trampoline_kernelINS0_14default_configENS1_20scan_config_selectorIiEEZZNS1_9scan_implILNS1_25lookback_scan_determinismE0ELb0ELb0ES3_N6thrust23THRUST_200600_302600_NS6detail15normal_iteratorINS9_10device_ptrIiEEEESE_iNS9_4plusIiEEiEEDaPvRmT3_T4_T5_mT6_P12ihipStream_tbENKUlT_T0_E_clISt17integral_constantIbLb1EESU_EEDaSP_SQ_EUlSP_E0_NS1_11comp_targetILNS1_3genE3ELNS1_11target_archE908ELNS1_3gpuE7ELNS1_3repE0EEENS1_30default_config_static_selectorELNS0_4arch9wavefront6targetE1EEEvT1_
	.globl	_ZN7rocprim17ROCPRIM_400000_NS6detail17trampoline_kernelINS0_14default_configENS1_20scan_config_selectorIiEEZZNS1_9scan_implILNS1_25lookback_scan_determinismE0ELb0ELb0ES3_N6thrust23THRUST_200600_302600_NS6detail15normal_iteratorINS9_10device_ptrIiEEEESE_iNS9_4plusIiEEiEEDaPvRmT3_T4_T5_mT6_P12ihipStream_tbENKUlT_T0_E_clISt17integral_constantIbLb1EESU_EEDaSP_SQ_EUlSP_E0_NS1_11comp_targetILNS1_3genE3ELNS1_11target_archE908ELNS1_3gpuE7ELNS1_3repE0EEENS1_30default_config_static_selectorELNS0_4arch9wavefront6targetE1EEEvT1_
	.p2align	8
	.type	_ZN7rocprim17ROCPRIM_400000_NS6detail17trampoline_kernelINS0_14default_configENS1_20scan_config_selectorIiEEZZNS1_9scan_implILNS1_25lookback_scan_determinismE0ELb0ELb0ES3_N6thrust23THRUST_200600_302600_NS6detail15normal_iteratorINS9_10device_ptrIiEEEESE_iNS9_4plusIiEEiEEDaPvRmT3_T4_T5_mT6_P12ihipStream_tbENKUlT_T0_E_clISt17integral_constantIbLb1EESU_EEDaSP_SQ_EUlSP_E0_NS1_11comp_targetILNS1_3genE3ELNS1_11target_archE908ELNS1_3gpuE7ELNS1_3repE0EEENS1_30default_config_static_selectorELNS0_4arch9wavefront6targetE1EEEvT1_,@function
_ZN7rocprim17ROCPRIM_400000_NS6detail17trampoline_kernelINS0_14default_configENS1_20scan_config_selectorIiEEZZNS1_9scan_implILNS1_25lookback_scan_determinismE0ELb0ELb0ES3_N6thrust23THRUST_200600_302600_NS6detail15normal_iteratorINS9_10device_ptrIiEEEESE_iNS9_4plusIiEEiEEDaPvRmT3_T4_T5_mT6_P12ihipStream_tbENKUlT_T0_E_clISt17integral_constantIbLb1EESU_EEDaSP_SQ_EUlSP_E0_NS1_11comp_targetILNS1_3genE3ELNS1_11target_archE908ELNS1_3gpuE7ELNS1_3repE0EEENS1_30default_config_static_selectorELNS0_4arch9wavefront6targetE1EEEvT1_: ; @_ZN7rocprim17ROCPRIM_400000_NS6detail17trampoline_kernelINS0_14default_configENS1_20scan_config_selectorIiEEZZNS1_9scan_implILNS1_25lookback_scan_determinismE0ELb0ELb0ES3_N6thrust23THRUST_200600_302600_NS6detail15normal_iteratorINS9_10device_ptrIiEEEESE_iNS9_4plusIiEEiEEDaPvRmT3_T4_T5_mT6_P12ihipStream_tbENKUlT_T0_E_clISt17integral_constantIbLb1EESU_EEDaSP_SQ_EUlSP_E0_NS1_11comp_targetILNS1_3genE3ELNS1_11target_archE908ELNS1_3gpuE7ELNS1_3repE0EEENS1_30default_config_static_selectorELNS0_4arch9wavefront6targetE1EEEvT1_
; %bb.0:
	.section	.rodata,"a",@progbits
	.p2align	6, 0x0
	.amdhsa_kernel _ZN7rocprim17ROCPRIM_400000_NS6detail17trampoline_kernelINS0_14default_configENS1_20scan_config_selectorIiEEZZNS1_9scan_implILNS1_25lookback_scan_determinismE0ELb0ELb0ES3_N6thrust23THRUST_200600_302600_NS6detail15normal_iteratorINS9_10device_ptrIiEEEESE_iNS9_4plusIiEEiEEDaPvRmT3_T4_T5_mT6_P12ihipStream_tbENKUlT_T0_E_clISt17integral_constantIbLb1EESU_EEDaSP_SQ_EUlSP_E0_NS1_11comp_targetILNS1_3genE3ELNS1_11target_archE908ELNS1_3gpuE7ELNS1_3repE0EEENS1_30default_config_static_selectorELNS0_4arch9wavefront6targetE1EEEvT1_
		.amdhsa_group_segment_fixed_size 0
		.amdhsa_private_segment_fixed_size 0
		.amdhsa_kernarg_size 32
		.amdhsa_user_sgpr_count 6
		.amdhsa_user_sgpr_private_segment_buffer 1
		.amdhsa_user_sgpr_dispatch_ptr 0
		.amdhsa_user_sgpr_queue_ptr 0
		.amdhsa_user_sgpr_kernarg_segment_ptr 1
		.amdhsa_user_sgpr_dispatch_id 0
		.amdhsa_user_sgpr_flat_scratch_init 0
		.amdhsa_user_sgpr_kernarg_preload_length 0
		.amdhsa_user_sgpr_kernarg_preload_offset 0
		.amdhsa_user_sgpr_private_segment_size 0
		.amdhsa_uses_dynamic_stack 0
		.amdhsa_system_sgpr_private_segment_wavefront_offset 0
		.amdhsa_system_sgpr_workgroup_id_x 1
		.amdhsa_system_sgpr_workgroup_id_y 0
		.amdhsa_system_sgpr_workgroup_id_z 0
		.amdhsa_system_sgpr_workgroup_info 0
		.amdhsa_system_vgpr_workitem_id 0
		.amdhsa_next_free_vgpr 1
		.amdhsa_next_free_sgpr 0
		.amdhsa_accum_offset 4
		.amdhsa_reserve_vcc 0
		.amdhsa_reserve_flat_scratch 0
		.amdhsa_float_round_mode_32 0
		.amdhsa_float_round_mode_16_64 0
		.amdhsa_float_denorm_mode_32 3
		.amdhsa_float_denorm_mode_16_64 3
		.amdhsa_dx10_clamp 1
		.amdhsa_ieee_mode 1
		.amdhsa_fp16_overflow 0
		.amdhsa_tg_split 0
		.amdhsa_exception_fp_ieee_invalid_op 0
		.amdhsa_exception_fp_denorm_src 0
		.amdhsa_exception_fp_ieee_div_zero 0
		.amdhsa_exception_fp_ieee_overflow 0
		.amdhsa_exception_fp_ieee_underflow 0
		.amdhsa_exception_fp_ieee_inexact 0
		.amdhsa_exception_int_div_zero 0
	.end_amdhsa_kernel
	.section	.text._ZN7rocprim17ROCPRIM_400000_NS6detail17trampoline_kernelINS0_14default_configENS1_20scan_config_selectorIiEEZZNS1_9scan_implILNS1_25lookback_scan_determinismE0ELb0ELb0ES3_N6thrust23THRUST_200600_302600_NS6detail15normal_iteratorINS9_10device_ptrIiEEEESE_iNS9_4plusIiEEiEEDaPvRmT3_T4_T5_mT6_P12ihipStream_tbENKUlT_T0_E_clISt17integral_constantIbLb1EESU_EEDaSP_SQ_EUlSP_E0_NS1_11comp_targetILNS1_3genE3ELNS1_11target_archE908ELNS1_3gpuE7ELNS1_3repE0EEENS1_30default_config_static_selectorELNS0_4arch9wavefront6targetE1EEEvT1_,"axG",@progbits,_ZN7rocprim17ROCPRIM_400000_NS6detail17trampoline_kernelINS0_14default_configENS1_20scan_config_selectorIiEEZZNS1_9scan_implILNS1_25lookback_scan_determinismE0ELb0ELb0ES3_N6thrust23THRUST_200600_302600_NS6detail15normal_iteratorINS9_10device_ptrIiEEEESE_iNS9_4plusIiEEiEEDaPvRmT3_T4_T5_mT6_P12ihipStream_tbENKUlT_T0_E_clISt17integral_constantIbLb1EESU_EEDaSP_SQ_EUlSP_E0_NS1_11comp_targetILNS1_3genE3ELNS1_11target_archE908ELNS1_3gpuE7ELNS1_3repE0EEENS1_30default_config_static_selectorELNS0_4arch9wavefront6targetE1EEEvT1_,comdat
.Lfunc_end544:
	.size	_ZN7rocprim17ROCPRIM_400000_NS6detail17trampoline_kernelINS0_14default_configENS1_20scan_config_selectorIiEEZZNS1_9scan_implILNS1_25lookback_scan_determinismE0ELb0ELb0ES3_N6thrust23THRUST_200600_302600_NS6detail15normal_iteratorINS9_10device_ptrIiEEEESE_iNS9_4plusIiEEiEEDaPvRmT3_T4_T5_mT6_P12ihipStream_tbENKUlT_T0_E_clISt17integral_constantIbLb1EESU_EEDaSP_SQ_EUlSP_E0_NS1_11comp_targetILNS1_3genE3ELNS1_11target_archE908ELNS1_3gpuE7ELNS1_3repE0EEENS1_30default_config_static_selectorELNS0_4arch9wavefront6targetE1EEEvT1_, .Lfunc_end544-_ZN7rocprim17ROCPRIM_400000_NS6detail17trampoline_kernelINS0_14default_configENS1_20scan_config_selectorIiEEZZNS1_9scan_implILNS1_25lookback_scan_determinismE0ELb0ELb0ES3_N6thrust23THRUST_200600_302600_NS6detail15normal_iteratorINS9_10device_ptrIiEEEESE_iNS9_4plusIiEEiEEDaPvRmT3_T4_T5_mT6_P12ihipStream_tbENKUlT_T0_E_clISt17integral_constantIbLb1EESU_EEDaSP_SQ_EUlSP_E0_NS1_11comp_targetILNS1_3genE3ELNS1_11target_archE908ELNS1_3gpuE7ELNS1_3repE0EEENS1_30default_config_static_selectorELNS0_4arch9wavefront6targetE1EEEvT1_
                                        ; -- End function
	.section	.AMDGPU.csdata,"",@progbits
; Kernel info:
; codeLenInByte = 0
; NumSgprs: 4
; NumVgprs: 0
; NumAgprs: 0
; TotalNumVgprs: 0
; ScratchSize: 0
; MemoryBound: 0
; FloatMode: 240
; IeeeMode: 1
; LDSByteSize: 0 bytes/workgroup (compile time only)
; SGPRBlocks: 0
; VGPRBlocks: 0
; NumSGPRsForWavesPerEU: 4
; NumVGPRsForWavesPerEU: 1
; AccumOffset: 4
; Occupancy: 8
; WaveLimiterHint : 0
; COMPUTE_PGM_RSRC2:SCRATCH_EN: 0
; COMPUTE_PGM_RSRC2:USER_SGPR: 6
; COMPUTE_PGM_RSRC2:TRAP_HANDLER: 0
; COMPUTE_PGM_RSRC2:TGID_X_EN: 1
; COMPUTE_PGM_RSRC2:TGID_Y_EN: 0
; COMPUTE_PGM_RSRC2:TGID_Z_EN: 0
; COMPUTE_PGM_RSRC2:TIDIG_COMP_CNT: 0
; COMPUTE_PGM_RSRC3_GFX90A:ACCUM_OFFSET: 0
; COMPUTE_PGM_RSRC3_GFX90A:TG_SPLIT: 0
	.section	.text._ZN7rocprim17ROCPRIM_400000_NS6detail17trampoline_kernelINS0_14default_configENS1_20scan_config_selectorIiEEZZNS1_9scan_implILNS1_25lookback_scan_determinismE0ELb0ELb0ES3_N6thrust23THRUST_200600_302600_NS6detail15normal_iteratorINS9_10device_ptrIiEEEESE_iNS9_4plusIiEEiEEDaPvRmT3_T4_T5_mT6_P12ihipStream_tbENKUlT_T0_E_clISt17integral_constantIbLb1EESU_EEDaSP_SQ_EUlSP_E0_NS1_11comp_targetILNS1_3genE2ELNS1_11target_archE906ELNS1_3gpuE6ELNS1_3repE0EEENS1_30default_config_static_selectorELNS0_4arch9wavefront6targetE1EEEvT1_,"axG",@progbits,_ZN7rocprim17ROCPRIM_400000_NS6detail17trampoline_kernelINS0_14default_configENS1_20scan_config_selectorIiEEZZNS1_9scan_implILNS1_25lookback_scan_determinismE0ELb0ELb0ES3_N6thrust23THRUST_200600_302600_NS6detail15normal_iteratorINS9_10device_ptrIiEEEESE_iNS9_4plusIiEEiEEDaPvRmT3_T4_T5_mT6_P12ihipStream_tbENKUlT_T0_E_clISt17integral_constantIbLb1EESU_EEDaSP_SQ_EUlSP_E0_NS1_11comp_targetILNS1_3genE2ELNS1_11target_archE906ELNS1_3gpuE6ELNS1_3repE0EEENS1_30default_config_static_selectorELNS0_4arch9wavefront6targetE1EEEvT1_,comdat
	.protected	_ZN7rocprim17ROCPRIM_400000_NS6detail17trampoline_kernelINS0_14default_configENS1_20scan_config_selectorIiEEZZNS1_9scan_implILNS1_25lookback_scan_determinismE0ELb0ELb0ES3_N6thrust23THRUST_200600_302600_NS6detail15normal_iteratorINS9_10device_ptrIiEEEESE_iNS9_4plusIiEEiEEDaPvRmT3_T4_T5_mT6_P12ihipStream_tbENKUlT_T0_E_clISt17integral_constantIbLb1EESU_EEDaSP_SQ_EUlSP_E0_NS1_11comp_targetILNS1_3genE2ELNS1_11target_archE906ELNS1_3gpuE6ELNS1_3repE0EEENS1_30default_config_static_selectorELNS0_4arch9wavefront6targetE1EEEvT1_ ; -- Begin function _ZN7rocprim17ROCPRIM_400000_NS6detail17trampoline_kernelINS0_14default_configENS1_20scan_config_selectorIiEEZZNS1_9scan_implILNS1_25lookback_scan_determinismE0ELb0ELb0ES3_N6thrust23THRUST_200600_302600_NS6detail15normal_iteratorINS9_10device_ptrIiEEEESE_iNS9_4plusIiEEiEEDaPvRmT3_T4_T5_mT6_P12ihipStream_tbENKUlT_T0_E_clISt17integral_constantIbLb1EESU_EEDaSP_SQ_EUlSP_E0_NS1_11comp_targetILNS1_3genE2ELNS1_11target_archE906ELNS1_3gpuE6ELNS1_3repE0EEENS1_30default_config_static_selectorELNS0_4arch9wavefront6targetE1EEEvT1_
	.globl	_ZN7rocprim17ROCPRIM_400000_NS6detail17trampoline_kernelINS0_14default_configENS1_20scan_config_selectorIiEEZZNS1_9scan_implILNS1_25lookback_scan_determinismE0ELb0ELb0ES3_N6thrust23THRUST_200600_302600_NS6detail15normal_iteratorINS9_10device_ptrIiEEEESE_iNS9_4plusIiEEiEEDaPvRmT3_T4_T5_mT6_P12ihipStream_tbENKUlT_T0_E_clISt17integral_constantIbLb1EESU_EEDaSP_SQ_EUlSP_E0_NS1_11comp_targetILNS1_3genE2ELNS1_11target_archE906ELNS1_3gpuE6ELNS1_3repE0EEENS1_30default_config_static_selectorELNS0_4arch9wavefront6targetE1EEEvT1_
	.p2align	8
	.type	_ZN7rocprim17ROCPRIM_400000_NS6detail17trampoline_kernelINS0_14default_configENS1_20scan_config_selectorIiEEZZNS1_9scan_implILNS1_25lookback_scan_determinismE0ELb0ELb0ES3_N6thrust23THRUST_200600_302600_NS6detail15normal_iteratorINS9_10device_ptrIiEEEESE_iNS9_4plusIiEEiEEDaPvRmT3_T4_T5_mT6_P12ihipStream_tbENKUlT_T0_E_clISt17integral_constantIbLb1EESU_EEDaSP_SQ_EUlSP_E0_NS1_11comp_targetILNS1_3genE2ELNS1_11target_archE906ELNS1_3gpuE6ELNS1_3repE0EEENS1_30default_config_static_selectorELNS0_4arch9wavefront6targetE1EEEvT1_,@function
_ZN7rocprim17ROCPRIM_400000_NS6detail17trampoline_kernelINS0_14default_configENS1_20scan_config_selectorIiEEZZNS1_9scan_implILNS1_25lookback_scan_determinismE0ELb0ELb0ES3_N6thrust23THRUST_200600_302600_NS6detail15normal_iteratorINS9_10device_ptrIiEEEESE_iNS9_4plusIiEEiEEDaPvRmT3_T4_T5_mT6_P12ihipStream_tbENKUlT_T0_E_clISt17integral_constantIbLb1EESU_EEDaSP_SQ_EUlSP_E0_NS1_11comp_targetILNS1_3genE2ELNS1_11target_archE906ELNS1_3gpuE6ELNS1_3repE0EEENS1_30default_config_static_selectorELNS0_4arch9wavefront6targetE1EEEvT1_: ; @_ZN7rocprim17ROCPRIM_400000_NS6detail17trampoline_kernelINS0_14default_configENS1_20scan_config_selectorIiEEZZNS1_9scan_implILNS1_25lookback_scan_determinismE0ELb0ELb0ES3_N6thrust23THRUST_200600_302600_NS6detail15normal_iteratorINS9_10device_ptrIiEEEESE_iNS9_4plusIiEEiEEDaPvRmT3_T4_T5_mT6_P12ihipStream_tbENKUlT_T0_E_clISt17integral_constantIbLb1EESU_EEDaSP_SQ_EUlSP_E0_NS1_11comp_targetILNS1_3genE2ELNS1_11target_archE906ELNS1_3gpuE6ELNS1_3repE0EEENS1_30default_config_static_selectorELNS0_4arch9wavefront6targetE1EEEvT1_
; %bb.0:
	.section	.rodata,"a",@progbits
	.p2align	6, 0x0
	.amdhsa_kernel _ZN7rocprim17ROCPRIM_400000_NS6detail17trampoline_kernelINS0_14default_configENS1_20scan_config_selectorIiEEZZNS1_9scan_implILNS1_25lookback_scan_determinismE0ELb0ELb0ES3_N6thrust23THRUST_200600_302600_NS6detail15normal_iteratorINS9_10device_ptrIiEEEESE_iNS9_4plusIiEEiEEDaPvRmT3_T4_T5_mT6_P12ihipStream_tbENKUlT_T0_E_clISt17integral_constantIbLb1EESU_EEDaSP_SQ_EUlSP_E0_NS1_11comp_targetILNS1_3genE2ELNS1_11target_archE906ELNS1_3gpuE6ELNS1_3repE0EEENS1_30default_config_static_selectorELNS0_4arch9wavefront6targetE1EEEvT1_
		.amdhsa_group_segment_fixed_size 0
		.amdhsa_private_segment_fixed_size 0
		.amdhsa_kernarg_size 32
		.amdhsa_user_sgpr_count 6
		.amdhsa_user_sgpr_private_segment_buffer 1
		.amdhsa_user_sgpr_dispatch_ptr 0
		.amdhsa_user_sgpr_queue_ptr 0
		.amdhsa_user_sgpr_kernarg_segment_ptr 1
		.amdhsa_user_sgpr_dispatch_id 0
		.amdhsa_user_sgpr_flat_scratch_init 0
		.amdhsa_user_sgpr_kernarg_preload_length 0
		.amdhsa_user_sgpr_kernarg_preload_offset 0
		.amdhsa_user_sgpr_private_segment_size 0
		.amdhsa_uses_dynamic_stack 0
		.amdhsa_system_sgpr_private_segment_wavefront_offset 0
		.amdhsa_system_sgpr_workgroup_id_x 1
		.amdhsa_system_sgpr_workgroup_id_y 0
		.amdhsa_system_sgpr_workgroup_id_z 0
		.amdhsa_system_sgpr_workgroup_info 0
		.amdhsa_system_vgpr_workitem_id 0
		.amdhsa_next_free_vgpr 1
		.amdhsa_next_free_sgpr 0
		.amdhsa_accum_offset 4
		.amdhsa_reserve_vcc 0
		.amdhsa_reserve_flat_scratch 0
		.amdhsa_float_round_mode_32 0
		.amdhsa_float_round_mode_16_64 0
		.amdhsa_float_denorm_mode_32 3
		.amdhsa_float_denorm_mode_16_64 3
		.amdhsa_dx10_clamp 1
		.amdhsa_ieee_mode 1
		.amdhsa_fp16_overflow 0
		.amdhsa_tg_split 0
		.amdhsa_exception_fp_ieee_invalid_op 0
		.amdhsa_exception_fp_denorm_src 0
		.amdhsa_exception_fp_ieee_div_zero 0
		.amdhsa_exception_fp_ieee_overflow 0
		.amdhsa_exception_fp_ieee_underflow 0
		.amdhsa_exception_fp_ieee_inexact 0
		.amdhsa_exception_int_div_zero 0
	.end_amdhsa_kernel
	.section	.text._ZN7rocprim17ROCPRIM_400000_NS6detail17trampoline_kernelINS0_14default_configENS1_20scan_config_selectorIiEEZZNS1_9scan_implILNS1_25lookback_scan_determinismE0ELb0ELb0ES3_N6thrust23THRUST_200600_302600_NS6detail15normal_iteratorINS9_10device_ptrIiEEEESE_iNS9_4plusIiEEiEEDaPvRmT3_T4_T5_mT6_P12ihipStream_tbENKUlT_T0_E_clISt17integral_constantIbLb1EESU_EEDaSP_SQ_EUlSP_E0_NS1_11comp_targetILNS1_3genE2ELNS1_11target_archE906ELNS1_3gpuE6ELNS1_3repE0EEENS1_30default_config_static_selectorELNS0_4arch9wavefront6targetE1EEEvT1_,"axG",@progbits,_ZN7rocprim17ROCPRIM_400000_NS6detail17trampoline_kernelINS0_14default_configENS1_20scan_config_selectorIiEEZZNS1_9scan_implILNS1_25lookback_scan_determinismE0ELb0ELb0ES3_N6thrust23THRUST_200600_302600_NS6detail15normal_iteratorINS9_10device_ptrIiEEEESE_iNS9_4plusIiEEiEEDaPvRmT3_T4_T5_mT6_P12ihipStream_tbENKUlT_T0_E_clISt17integral_constantIbLb1EESU_EEDaSP_SQ_EUlSP_E0_NS1_11comp_targetILNS1_3genE2ELNS1_11target_archE906ELNS1_3gpuE6ELNS1_3repE0EEENS1_30default_config_static_selectorELNS0_4arch9wavefront6targetE1EEEvT1_,comdat
.Lfunc_end545:
	.size	_ZN7rocprim17ROCPRIM_400000_NS6detail17trampoline_kernelINS0_14default_configENS1_20scan_config_selectorIiEEZZNS1_9scan_implILNS1_25lookback_scan_determinismE0ELb0ELb0ES3_N6thrust23THRUST_200600_302600_NS6detail15normal_iteratorINS9_10device_ptrIiEEEESE_iNS9_4plusIiEEiEEDaPvRmT3_T4_T5_mT6_P12ihipStream_tbENKUlT_T0_E_clISt17integral_constantIbLb1EESU_EEDaSP_SQ_EUlSP_E0_NS1_11comp_targetILNS1_3genE2ELNS1_11target_archE906ELNS1_3gpuE6ELNS1_3repE0EEENS1_30default_config_static_selectorELNS0_4arch9wavefront6targetE1EEEvT1_, .Lfunc_end545-_ZN7rocprim17ROCPRIM_400000_NS6detail17trampoline_kernelINS0_14default_configENS1_20scan_config_selectorIiEEZZNS1_9scan_implILNS1_25lookback_scan_determinismE0ELb0ELb0ES3_N6thrust23THRUST_200600_302600_NS6detail15normal_iteratorINS9_10device_ptrIiEEEESE_iNS9_4plusIiEEiEEDaPvRmT3_T4_T5_mT6_P12ihipStream_tbENKUlT_T0_E_clISt17integral_constantIbLb1EESU_EEDaSP_SQ_EUlSP_E0_NS1_11comp_targetILNS1_3genE2ELNS1_11target_archE906ELNS1_3gpuE6ELNS1_3repE0EEENS1_30default_config_static_selectorELNS0_4arch9wavefront6targetE1EEEvT1_
                                        ; -- End function
	.section	.AMDGPU.csdata,"",@progbits
; Kernel info:
; codeLenInByte = 0
; NumSgprs: 4
; NumVgprs: 0
; NumAgprs: 0
; TotalNumVgprs: 0
; ScratchSize: 0
; MemoryBound: 0
; FloatMode: 240
; IeeeMode: 1
; LDSByteSize: 0 bytes/workgroup (compile time only)
; SGPRBlocks: 0
; VGPRBlocks: 0
; NumSGPRsForWavesPerEU: 4
; NumVGPRsForWavesPerEU: 1
; AccumOffset: 4
; Occupancy: 8
; WaveLimiterHint : 0
; COMPUTE_PGM_RSRC2:SCRATCH_EN: 0
; COMPUTE_PGM_RSRC2:USER_SGPR: 6
; COMPUTE_PGM_RSRC2:TRAP_HANDLER: 0
; COMPUTE_PGM_RSRC2:TGID_X_EN: 1
; COMPUTE_PGM_RSRC2:TGID_Y_EN: 0
; COMPUTE_PGM_RSRC2:TGID_Z_EN: 0
; COMPUTE_PGM_RSRC2:TIDIG_COMP_CNT: 0
; COMPUTE_PGM_RSRC3_GFX90A:ACCUM_OFFSET: 0
; COMPUTE_PGM_RSRC3_GFX90A:TG_SPLIT: 0
	.section	.text._ZN7rocprim17ROCPRIM_400000_NS6detail17trampoline_kernelINS0_14default_configENS1_20scan_config_selectorIiEEZZNS1_9scan_implILNS1_25lookback_scan_determinismE0ELb0ELb0ES3_N6thrust23THRUST_200600_302600_NS6detail15normal_iteratorINS9_10device_ptrIiEEEESE_iNS9_4plusIiEEiEEDaPvRmT3_T4_T5_mT6_P12ihipStream_tbENKUlT_T0_E_clISt17integral_constantIbLb1EESU_EEDaSP_SQ_EUlSP_E0_NS1_11comp_targetILNS1_3genE10ELNS1_11target_archE1201ELNS1_3gpuE5ELNS1_3repE0EEENS1_30default_config_static_selectorELNS0_4arch9wavefront6targetE1EEEvT1_,"axG",@progbits,_ZN7rocprim17ROCPRIM_400000_NS6detail17trampoline_kernelINS0_14default_configENS1_20scan_config_selectorIiEEZZNS1_9scan_implILNS1_25lookback_scan_determinismE0ELb0ELb0ES3_N6thrust23THRUST_200600_302600_NS6detail15normal_iteratorINS9_10device_ptrIiEEEESE_iNS9_4plusIiEEiEEDaPvRmT3_T4_T5_mT6_P12ihipStream_tbENKUlT_T0_E_clISt17integral_constantIbLb1EESU_EEDaSP_SQ_EUlSP_E0_NS1_11comp_targetILNS1_3genE10ELNS1_11target_archE1201ELNS1_3gpuE5ELNS1_3repE0EEENS1_30default_config_static_selectorELNS0_4arch9wavefront6targetE1EEEvT1_,comdat
	.protected	_ZN7rocprim17ROCPRIM_400000_NS6detail17trampoline_kernelINS0_14default_configENS1_20scan_config_selectorIiEEZZNS1_9scan_implILNS1_25lookback_scan_determinismE0ELb0ELb0ES3_N6thrust23THRUST_200600_302600_NS6detail15normal_iteratorINS9_10device_ptrIiEEEESE_iNS9_4plusIiEEiEEDaPvRmT3_T4_T5_mT6_P12ihipStream_tbENKUlT_T0_E_clISt17integral_constantIbLb1EESU_EEDaSP_SQ_EUlSP_E0_NS1_11comp_targetILNS1_3genE10ELNS1_11target_archE1201ELNS1_3gpuE5ELNS1_3repE0EEENS1_30default_config_static_selectorELNS0_4arch9wavefront6targetE1EEEvT1_ ; -- Begin function _ZN7rocprim17ROCPRIM_400000_NS6detail17trampoline_kernelINS0_14default_configENS1_20scan_config_selectorIiEEZZNS1_9scan_implILNS1_25lookback_scan_determinismE0ELb0ELb0ES3_N6thrust23THRUST_200600_302600_NS6detail15normal_iteratorINS9_10device_ptrIiEEEESE_iNS9_4plusIiEEiEEDaPvRmT3_T4_T5_mT6_P12ihipStream_tbENKUlT_T0_E_clISt17integral_constantIbLb1EESU_EEDaSP_SQ_EUlSP_E0_NS1_11comp_targetILNS1_3genE10ELNS1_11target_archE1201ELNS1_3gpuE5ELNS1_3repE0EEENS1_30default_config_static_selectorELNS0_4arch9wavefront6targetE1EEEvT1_
	.globl	_ZN7rocprim17ROCPRIM_400000_NS6detail17trampoline_kernelINS0_14default_configENS1_20scan_config_selectorIiEEZZNS1_9scan_implILNS1_25lookback_scan_determinismE0ELb0ELb0ES3_N6thrust23THRUST_200600_302600_NS6detail15normal_iteratorINS9_10device_ptrIiEEEESE_iNS9_4plusIiEEiEEDaPvRmT3_T4_T5_mT6_P12ihipStream_tbENKUlT_T0_E_clISt17integral_constantIbLb1EESU_EEDaSP_SQ_EUlSP_E0_NS1_11comp_targetILNS1_3genE10ELNS1_11target_archE1201ELNS1_3gpuE5ELNS1_3repE0EEENS1_30default_config_static_selectorELNS0_4arch9wavefront6targetE1EEEvT1_
	.p2align	8
	.type	_ZN7rocprim17ROCPRIM_400000_NS6detail17trampoline_kernelINS0_14default_configENS1_20scan_config_selectorIiEEZZNS1_9scan_implILNS1_25lookback_scan_determinismE0ELb0ELb0ES3_N6thrust23THRUST_200600_302600_NS6detail15normal_iteratorINS9_10device_ptrIiEEEESE_iNS9_4plusIiEEiEEDaPvRmT3_T4_T5_mT6_P12ihipStream_tbENKUlT_T0_E_clISt17integral_constantIbLb1EESU_EEDaSP_SQ_EUlSP_E0_NS1_11comp_targetILNS1_3genE10ELNS1_11target_archE1201ELNS1_3gpuE5ELNS1_3repE0EEENS1_30default_config_static_selectorELNS0_4arch9wavefront6targetE1EEEvT1_,@function
_ZN7rocprim17ROCPRIM_400000_NS6detail17trampoline_kernelINS0_14default_configENS1_20scan_config_selectorIiEEZZNS1_9scan_implILNS1_25lookback_scan_determinismE0ELb0ELb0ES3_N6thrust23THRUST_200600_302600_NS6detail15normal_iteratorINS9_10device_ptrIiEEEESE_iNS9_4plusIiEEiEEDaPvRmT3_T4_T5_mT6_P12ihipStream_tbENKUlT_T0_E_clISt17integral_constantIbLb1EESU_EEDaSP_SQ_EUlSP_E0_NS1_11comp_targetILNS1_3genE10ELNS1_11target_archE1201ELNS1_3gpuE5ELNS1_3repE0EEENS1_30default_config_static_selectorELNS0_4arch9wavefront6targetE1EEEvT1_: ; @_ZN7rocprim17ROCPRIM_400000_NS6detail17trampoline_kernelINS0_14default_configENS1_20scan_config_selectorIiEEZZNS1_9scan_implILNS1_25lookback_scan_determinismE0ELb0ELb0ES3_N6thrust23THRUST_200600_302600_NS6detail15normal_iteratorINS9_10device_ptrIiEEEESE_iNS9_4plusIiEEiEEDaPvRmT3_T4_T5_mT6_P12ihipStream_tbENKUlT_T0_E_clISt17integral_constantIbLb1EESU_EEDaSP_SQ_EUlSP_E0_NS1_11comp_targetILNS1_3genE10ELNS1_11target_archE1201ELNS1_3gpuE5ELNS1_3repE0EEENS1_30default_config_static_selectorELNS0_4arch9wavefront6targetE1EEEvT1_
; %bb.0:
	.section	.rodata,"a",@progbits
	.p2align	6, 0x0
	.amdhsa_kernel _ZN7rocprim17ROCPRIM_400000_NS6detail17trampoline_kernelINS0_14default_configENS1_20scan_config_selectorIiEEZZNS1_9scan_implILNS1_25lookback_scan_determinismE0ELb0ELb0ES3_N6thrust23THRUST_200600_302600_NS6detail15normal_iteratorINS9_10device_ptrIiEEEESE_iNS9_4plusIiEEiEEDaPvRmT3_T4_T5_mT6_P12ihipStream_tbENKUlT_T0_E_clISt17integral_constantIbLb1EESU_EEDaSP_SQ_EUlSP_E0_NS1_11comp_targetILNS1_3genE10ELNS1_11target_archE1201ELNS1_3gpuE5ELNS1_3repE0EEENS1_30default_config_static_selectorELNS0_4arch9wavefront6targetE1EEEvT1_
		.amdhsa_group_segment_fixed_size 0
		.amdhsa_private_segment_fixed_size 0
		.amdhsa_kernarg_size 32
		.amdhsa_user_sgpr_count 6
		.amdhsa_user_sgpr_private_segment_buffer 1
		.amdhsa_user_sgpr_dispatch_ptr 0
		.amdhsa_user_sgpr_queue_ptr 0
		.amdhsa_user_sgpr_kernarg_segment_ptr 1
		.amdhsa_user_sgpr_dispatch_id 0
		.amdhsa_user_sgpr_flat_scratch_init 0
		.amdhsa_user_sgpr_kernarg_preload_length 0
		.amdhsa_user_sgpr_kernarg_preload_offset 0
		.amdhsa_user_sgpr_private_segment_size 0
		.amdhsa_uses_dynamic_stack 0
		.amdhsa_system_sgpr_private_segment_wavefront_offset 0
		.amdhsa_system_sgpr_workgroup_id_x 1
		.amdhsa_system_sgpr_workgroup_id_y 0
		.amdhsa_system_sgpr_workgroup_id_z 0
		.amdhsa_system_sgpr_workgroup_info 0
		.amdhsa_system_vgpr_workitem_id 0
		.amdhsa_next_free_vgpr 1
		.amdhsa_next_free_sgpr 0
		.amdhsa_accum_offset 4
		.amdhsa_reserve_vcc 0
		.amdhsa_reserve_flat_scratch 0
		.amdhsa_float_round_mode_32 0
		.amdhsa_float_round_mode_16_64 0
		.amdhsa_float_denorm_mode_32 3
		.amdhsa_float_denorm_mode_16_64 3
		.amdhsa_dx10_clamp 1
		.amdhsa_ieee_mode 1
		.amdhsa_fp16_overflow 0
		.amdhsa_tg_split 0
		.amdhsa_exception_fp_ieee_invalid_op 0
		.amdhsa_exception_fp_denorm_src 0
		.amdhsa_exception_fp_ieee_div_zero 0
		.amdhsa_exception_fp_ieee_overflow 0
		.amdhsa_exception_fp_ieee_underflow 0
		.amdhsa_exception_fp_ieee_inexact 0
		.amdhsa_exception_int_div_zero 0
	.end_amdhsa_kernel
	.section	.text._ZN7rocprim17ROCPRIM_400000_NS6detail17trampoline_kernelINS0_14default_configENS1_20scan_config_selectorIiEEZZNS1_9scan_implILNS1_25lookback_scan_determinismE0ELb0ELb0ES3_N6thrust23THRUST_200600_302600_NS6detail15normal_iteratorINS9_10device_ptrIiEEEESE_iNS9_4plusIiEEiEEDaPvRmT3_T4_T5_mT6_P12ihipStream_tbENKUlT_T0_E_clISt17integral_constantIbLb1EESU_EEDaSP_SQ_EUlSP_E0_NS1_11comp_targetILNS1_3genE10ELNS1_11target_archE1201ELNS1_3gpuE5ELNS1_3repE0EEENS1_30default_config_static_selectorELNS0_4arch9wavefront6targetE1EEEvT1_,"axG",@progbits,_ZN7rocprim17ROCPRIM_400000_NS6detail17trampoline_kernelINS0_14default_configENS1_20scan_config_selectorIiEEZZNS1_9scan_implILNS1_25lookback_scan_determinismE0ELb0ELb0ES3_N6thrust23THRUST_200600_302600_NS6detail15normal_iteratorINS9_10device_ptrIiEEEESE_iNS9_4plusIiEEiEEDaPvRmT3_T4_T5_mT6_P12ihipStream_tbENKUlT_T0_E_clISt17integral_constantIbLb1EESU_EEDaSP_SQ_EUlSP_E0_NS1_11comp_targetILNS1_3genE10ELNS1_11target_archE1201ELNS1_3gpuE5ELNS1_3repE0EEENS1_30default_config_static_selectorELNS0_4arch9wavefront6targetE1EEEvT1_,comdat
.Lfunc_end546:
	.size	_ZN7rocprim17ROCPRIM_400000_NS6detail17trampoline_kernelINS0_14default_configENS1_20scan_config_selectorIiEEZZNS1_9scan_implILNS1_25lookback_scan_determinismE0ELb0ELb0ES3_N6thrust23THRUST_200600_302600_NS6detail15normal_iteratorINS9_10device_ptrIiEEEESE_iNS9_4plusIiEEiEEDaPvRmT3_T4_T5_mT6_P12ihipStream_tbENKUlT_T0_E_clISt17integral_constantIbLb1EESU_EEDaSP_SQ_EUlSP_E0_NS1_11comp_targetILNS1_3genE10ELNS1_11target_archE1201ELNS1_3gpuE5ELNS1_3repE0EEENS1_30default_config_static_selectorELNS0_4arch9wavefront6targetE1EEEvT1_, .Lfunc_end546-_ZN7rocprim17ROCPRIM_400000_NS6detail17trampoline_kernelINS0_14default_configENS1_20scan_config_selectorIiEEZZNS1_9scan_implILNS1_25lookback_scan_determinismE0ELb0ELb0ES3_N6thrust23THRUST_200600_302600_NS6detail15normal_iteratorINS9_10device_ptrIiEEEESE_iNS9_4plusIiEEiEEDaPvRmT3_T4_T5_mT6_P12ihipStream_tbENKUlT_T0_E_clISt17integral_constantIbLb1EESU_EEDaSP_SQ_EUlSP_E0_NS1_11comp_targetILNS1_3genE10ELNS1_11target_archE1201ELNS1_3gpuE5ELNS1_3repE0EEENS1_30default_config_static_selectorELNS0_4arch9wavefront6targetE1EEEvT1_
                                        ; -- End function
	.section	.AMDGPU.csdata,"",@progbits
; Kernel info:
; codeLenInByte = 0
; NumSgprs: 4
; NumVgprs: 0
; NumAgprs: 0
; TotalNumVgprs: 0
; ScratchSize: 0
; MemoryBound: 0
; FloatMode: 240
; IeeeMode: 1
; LDSByteSize: 0 bytes/workgroup (compile time only)
; SGPRBlocks: 0
; VGPRBlocks: 0
; NumSGPRsForWavesPerEU: 4
; NumVGPRsForWavesPerEU: 1
; AccumOffset: 4
; Occupancy: 8
; WaveLimiterHint : 0
; COMPUTE_PGM_RSRC2:SCRATCH_EN: 0
; COMPUTE_PGM_RSRC2:USER_SGPR: 6
; COMPUTE_PGM_RSRC2:TRAP_HANDLER: 0
; COMPUTE_PGM_RSRC2:TGID_X_EN: 1
; COMPUTE_PGM_RSRC2:TGID_Y_EN: 0
; COMPUTE_PGM_RSRC2:TGID_Z_EN: 0
; COMPUTE_PGM_RSRC2:TIDIG_COMP_CNT: 0
; COMPUTE_PGM_RSRC3_GFX90A:ACCUM_OFFSET: 0
; COMPUTE_PGM_RSRC3_GFX90A:TG_SPLIT: 0
	.section	.text._ZN7rocprim17ROCPRIM_400000_NS6detail17trampoline_kernelINS0_14default_configENS1_20scan_config_selectorIiEEZZNS1_9scan_implILNS1_25lookback_scan_determinismE0ELb0ELb0ES3_N6thrust23THRUST_200600_302600_NS6detail15normal_iteratorINS9_10device_ptrIiEEEESE_iNS9_4plusIiEEiEEDaPvRmT3_T4_T5_mT6_P12ihipStream_tbENKUlT_T0_E_clISt17integral_constantIbLb1EESU_EEDaSP_SQ_EUlSP_E0_NS1_11comp_targetILNS1_3genE10ELNS1_11target_archE1200ELNS1_3gpuE4ELNS1_3repE0EEENS1_30default_config_static_selectorELNS0_4arch9wavefront6targetE1EEEvT1_,"axG",@progbits,_ZN7rocprim17ROCPRIM_400000_NS6detail17trampoline_kernelINS0_14default_configENS1_20scan_config_selectorIiEEZZNS1_9scan_implILNS1_25lookback_scan_determinismE0ELb0ELb0ES3_N6thrust23THRUST_200600_302600_NS6detail15normal_iteratorINS9_10device_ptrIiEEEESE_iNS9_4plusIiEEiEEDaPvRmT3_T4_T5_mT6_P12ihipStream_tbENKUlT_T0_E_clISt17integral_constantIbLb1EESU_EEDaSP_SQ_EUlSP_E0_NS1_11comp_targetILNS1_3genE10ELNS1_11target_archE1200ELNS1_3gpuE4ELNS1_3repE0EEENS1_30default_config_static_selectorELNS0_4arch9wavefront6targetE1EEEvT1_,comdat
	.protected	_ZN7rocprim17ROCPRIM_400000_NS6detail17trampoline_kernelINS0_14default_configENS1_20scan_config_selectorIiEEZZNS1_9scan_implILNS1_25lookback_scan_determinismE0ELb0ELb0ES3_N6thrust23THRUST_200600_302600_NS6detail15normal_iteratorINS9_10device_ptrIiEEEESE_iNS9_4plusIiEEiEEDaPvRmT3_T4_T5_mT6_P12ihipStream_tbENKUlT_T0_E_clISt17integral_constantIbLb1EESU_EEDaSP_SQ_EUlSP_E0_NS1_11comp_targetILNS1_3genE10ELNS1_11target_archE1200ELNS1_3gpuE4ELNS1_3repE0EEENS1_30default_config_static_selectorELNS0_4arch9wavefront6targetE1EEEvT1_ ; -- Begin function _ZN7rocprim17ROCPRIM_400000_NS6detail17trampoline_kernelINS0_14default_configENS1_20scan_config_selectorIiEEZZNS1_9scan_implILNS1_25lookback_scan_determinismE0ELb0ELb0ES3_N6thrust23THRUST_200600_302600_NS6detail15normal_iteratorINS9_10device_ptrIiEEEESE_iNS9_4plusIiEEiEEDaPvRmT3_T4_T5_mT6_P12ihipStream_tbENKUlT_T0_E_clISt17integral_constantIbLb1EESU_EEDaSP_SQ_EUlSP_E0_NS1_11comp_targetILNS1_3genE10ELNS1_11target_archE1200ELNS1_3gpuE4ELNS1_3repE0EEENS1_30default_config_static_selectorELNS0_4arch9wavefront6targetE1EEEvT1_
	.globl	_ZN7rocprim17ROCPRIM_400000_NS6detail17trampoline_kernelINS0_14default_configENS1_20scan_config_selectorIiEEZZNS1_9scan_implILNS1_25lookback_scan_determinismE0ELb0ELb0ES3_N6thrust23THRUST_200600_302600_NS6detail15normal_iteratorINS9_10device_ptrIiEEEESE_iNS9_4plusIiEEiEEDaPvRmT3_T4_T5_mT6_P12ihipStream_tbENKUlT_T0_E_clISt17integral_constantIbLb1EESU_EEDaSP_SQ_EUlSP_E0_NS1_11comp_targetILNS1_3genE10ELNS1_11target_archE1200ELNS1_3gpuE4ELNS1_3repE0EEENS1_30default_config_static_selectorELNS0_4arch9wavefront6targetE1EEEvT1_
	.p2align	8
	.type	_ZN7rocprim17ROCPRIM_400000_NS6detail17trampoline_kernelINS0_14default_configENS1_20scan_config_selectorIiEEZZNS1_9scan_implILNS1_25lookback_scan_determinismE0ELb0ELb0ES3_N6thrust23THRUST_200600_302600_NS6detail15normal_iteratorINS9_10device_ptrIiEEEESE_iNS9_4plusIiEEiEEDaPvRmT3_T4_T5_mT6_P12ihipStream_tbENKUlT_T0_E_clISt17integral_constantIbLb1EESU_EEDaSP_SQ_EUlSP_E0_NS1_11comp_targetILNS1_3genE10ELNS1_11target_archE1200ELNS1_3gpuE4ELNS1_3repE0EEENS1_30default_config_static_selectorELNS0_4arch9wavefront6targetE1EEEvT1_,@function
_ZN7rocprim17ROCPRIM_400000_NS6detail17trampoline_kernelINS0_14default_configENS1_20scan_config_selectorIiEEZZNS1_9scan_implILNS1_25lookback_scan_determinismE0ELb0ELb0ES3_N6thrust23THRUST_200600_302600_NS6detail15normal_iteratorINS9_10device_ptrIiEEEESE_iNS9_4plusIiEEiEEDaPvRmT3_T4_T5_mT6_P12ihipStream_tbENKUlT_T0_E_clISt17integral_constantIbLb1EESU_EEDaSP_SQ_EUlSP_E0_NS1_11comp_targetILNS1_3genE10ELNS1_11target_archE1200ELNS1_3gpuE4ELNS1_3repE0EEENS1_30default_config_static_selectorELNS0_4arch9wavefront6targetE1EEEvT1_: ; @_ZN7rocprim17ROCPRIM_400000_NS6detail17trampoline_kernelINS0_14default_configENS1_20scan_config_selectorIiEEZZNS1_9scan_implILNS1_25lookback_scan_determinismE0ELb0ELb0ES3_N6thrust23THRUST_200600_302600_NS6detail15normal_iteratorINS9_10device_ptrIiEEEESE_iNS9_4plusIiEEiEEDaPvRmT3_T4_T5_mT6_P12ihipStream_tbENKUlT_T0_E_clISt17integral_constantIbLb1EESU_EEDaSP_SQ_EUlSP_E0_NS1_11comp_targetILNS1_3genE10ELNS1_11target_archE1200ELNS1_3gpuE4ELNS1_3repE0EEENS1_30default_config_static_selectorELNS0_4arch9wavefront6targetE1EEEvT1_
; %bb.0:
	.section	.rodata,"a",@progbits
	.p2align	6, 0x0
	.amdhsa_kernel _ZN7rocprim17ROCPRIM_400000_NS6detail17trampoline_kernelINS0_14default_configENS1_20scan_config_selectorIiEEZZNS1_9scan_implILNS1_25lookback_scan_determinismE0ELb0ELb0ES3_N6thrust23THRUST_200600_302600_NS6detail15normal_iteratorINS9_10device_ptrIiEEEESE_iNS9_4plusIiEEiEEDaPvRmT3_T4_T5_mT6_P12ihipStream_tbENKUlT_T0_E_clISt17integral_constantIbLb1EESU_EEDaSP_SQ_EUlSP_E0_NS1_11comp_targetILNS1_3genE10ELNS1_11target_archE1200ELNS1_3gpuE4ELNS1_3repE0EEENS1_30default_config_static_selectorELNS0_4arch9wavefront6targetE1EEEvT1_
		.amdhsa_group_segment_fixed_size 0
		.amdhsa_private_segment_fixed_size 0
		.amdhsa_kernarg_size 32
		.amdhsa_user_sgpr_count 6
		.amdhsa_user_sgpr_private_segment_buffer 1
		.amdhsa_user_sgpr_dispatch_ptr 0
		.amdhsa_user_sgpr_queue_ptr 0
		.amdhsa_user_sgpr_kernarg_segment_ptr 1
		.amdhsa_user_sgpr_dispatch_id 0
		.amdhsa_user_sgpr_flat_scratch_init 0
		.amdhsa_user_sgpr_kernarg_preload_length 0
		.amdhsa_user_sgpr_kernarg_preload_offset 0
		.amdhsa_user_sgpr_private_segment_size 0
		.amdhsa_uses_dynamic_stack 0
		.amdhsa_system_sgpr_private_segment_wavefront_offset 0
		.amdhsa_system_sgpr_workgroup_id_x 1
		.amdhsa_system_sgpr_workgroup_id_y 0
		.amdhsa_system_sgpr_workgroup_id_z 0
		.amdhsa_system_sgpr_workgroup_info 0
		.amdhsa_system_vgpr_workitem_id 0
		.amdhsa_next_free_vgpr 1
		.amdhsa_next_free_sgpr 0
		.amdhsa_accum_offset 4
		.amdhsa_reserve_vcc 0
		.amdhsa_reserve_flat_scratch 0
		.amdhsa_float_round_mode_32 0
		.amdhsa_float_round_mode_16_64 0
		.amdhsa_float_denorm_mode_32 3
		.amdhsa_float_denorm_mode_16_64 3
		.amdhsa_dx10_clamp 1
		.amdhsa_ieee_mode 1
		.amdhsa_fp16_overflow 0
		.amdhsa_tg_split 0
		.amdhsa_exception_fp_ieee_invalid_op 0
		.amdhsa_exception_fp_denorm_src 0
		.amdhsa_exception_fp_ieee_div_zero 0
		.amdhsa_exception_fp_ieee_overflow 0
		.amdhsa_exception_fp_ieee_underflow 0
		.amdhsa_exception_fp_ieee_inexact 0
		.amdhsa_exception_int_div_zero 0
	.end_amdhsa_kernel
	.section	.text._ZN7rocprim17ROCPRIM_400000_NS6detail17trampoline_kernelINS0_14default_configENS1_20scan_config_selectorIiEEZZNS1_9scan_implILNS1_25lookback_scan_determinismE0ELb0ELb0ES3_N6thrust23THRUST_200600_302600_NS6detail15normal_iteratorINS9_10device_ptrIiEEEESE_iNS9_4plusIiEEiEEDaPvRmT3_T4_T5_mT6_P12ihipStream_tbENKUlT_T0_E_clISt17integral_constantIbLb1EESU_EEDaSP_SQ_EUlSP_E0_NS1_11comp_targetILNS1_3genE10ELNS1_11target_archE1200ELNS1_3gpuE4ELNS1_3repE0EEENS1_30default_config_static_selectorELNS0_4arch9wavefront6targetE1EEEvT1_,"axG",@progbits,_ZN7rocprim17ROCPRIM_400000_NS6detail17trampoline_kernelINS0_14default_configENS1_20scan_config_selectorIiEEZZNS1_9scan_implILNS1_25lookback_scan_determinismE0ELb0ELb0ES3_N6thrust23THRUST_200600_302600_NS6detail15normal_iteratorINS9_10device_ptrIiEEEESE_iNS9_4plusIiEEiEEDaPvRmT3_T4_T5_mT6_P12ihipStream_tbENKUlT_T0_E_clISt17integral_constantIbLb1EESU_EEDaSP_SQ_EUlSP_E0_NS1_11comp_targetILNS1_3genE10ELNS1_11target_archE1200ELNS1_3gpuE4ELNS1_3repE0EEENS1_30default_config_static_selectorELNS0_4arch9wavefront6targetE1EEEvT1_,comdat
.Lfunc_end547:
	.size	_ZN7rocprim17ROCPRIM_400000_NS6detail17trampoline_kernelINS0_14default_configENS1_20scan_config_selectorIiEEZZNS1_9scan_implILNS1_25lookback_scan_determinismE0ELb0ELb0ES3_N6thrust23THRUST_200600_302600_NS6detail15normal_iteratorINS9_10device_ptrIiEEEESE_iNS9_4plusIiEEiEEDaPvRmT3_T4_T5_mT6_P12ihipStream_tbENKUlT_T0_E_clISt17integral_constantIbLb1EESU_EEDaSP_SQ_EUlSP_E0_NS1_11comp_targetILNS1_3genE10ELNS1_11target_archE1200ELNS1_3gpuE4ELNS1_3repE0EEENS1_30default_config_static_selectorELNS0_4arch9wavefront6targetE1EEEvT1_, .Lfunc_end547-_ZN7rocprim17ROCPRIM_400000_NS6detail17trampoline_kernelINS0_14default_configENS1_20scan_config_selectorIiEEZZNS1_9scan_implILNS1_25lookback_scan_determinismE0ELb0ELb0ES3_N6thrust23THRUST_200600_302600_NS6detail15normal_iteratorINS9_10device_ptrIiEEEESE_iNS9_4plusIiEEiEEDaPvRmT3_T4_T5_mT6_P12ihipStream_tbENKUlT_T0_E_clISt17integral_constantIbLb1EESU_EEDaSP_SQ_EUlSP_E0_NS1_11comp_targetILNS1_3genE10ELNS1_11target_archE1200ELNS1_3gpuE4ELNS1_3repE0EEENS1_30default_config_static_selectorELNS0_4arch9wavefront6targetE1EEEvT1_
                                        ; -- End function
	.section	.AMDGPU.csdata,"",@progbits
; Kernel info:
; codeLenInByte = 0
; NumSgprs: 4
; NumVgprs: 0
; NumAgprs: 0
; TotalNumVgprs: 0
; ScratchSize: 0
; MemoryBound: 0
; FloatMode: 240
; IeeeMode: 1
; LDSByteSize: 0 bytes/workgroup (compile time only)
; SGPRBlocks: 0
; VGPRBlocks: 0
; NumSGPRsForWavesPerEU: 4
; NumVGPRsForWavesPerEU: 1
; AccumOffset: 4
; Occupancy: 8
; WaveLimiterHint : 0
; COMPUTE_PGM_RSRC2:SCRATCH_EN: 0
; COMPUTE_PGM_RSRC2:USER_SGPR: 6
; COMPUTE_PGM_RSRC2:TRAP_HANDLER: 0
; COMPUTE_PGM_RSRC2:TGID_X_EN: 1
; COMPUTE_PGM_RSRC2:TGID_Y_EN: 0
; COMPUTE_PGM_RSRC2:TGID_Z_EN: 0
; COMPUTE_PGM_RSRC2:TIDIG_COMP_CNT: 0
; COMPUTE_PGM_RSRC3_GFX90A:ACCUM_OFFSET: 0
; COMPUTE_PGM_RSRC3_GFX90A:TG_SPLIT: 0
	.section	.text._ZN7rocprim17ROCPRIM_400000_NS6detail17trampoline_kernelINS0_14default_configENS1_20scan_config_selectorIiEEZZNS1_9scan_implILNS1_25lookback_scan_determinismE0ELb0ELb0ES3_N6thrust23THRUST_200600_302600_NS6detail15normal_iteratorINS9_10device_ptrIiEEEESE_iNS9_4plusIiEEiEEDaPvRmT3_T4_T5_mT6_P12ihipStream_tbENKUlT_T0_E_clISt17integral_constantIbLb1EESU_EEDaSP_SQ_EUlSP_E0_NS1_11comp_targetILNS1_3genE9ELNS1_11target_archE1100ELNS1_3gpuE3ELNS1_3repE0EEENS1_30default_config_static_selectorELNS0_4arch9wavefront6targetE1EEEvT1_,"axG",@progbits,_ZN7rocprim17ROCPRIM_400000_NS6detail17trampoline_kernelINS0_14default_configENS1_20scan_config_selectorIiEEZZNS1_9scan_implILNS1_25lookback_scan_determinismE0ELb0ELb0ES3_N6thrust23THRUST_200600_302600_NS6detail15normal_iteratorINS9_10device_ptrIiEEEESE_iNS9_4plusIiEEiEEDaPvRmT3_T4_T5_mT6_P12ihipStream_tbENKUlT_T0_E_clISt17integral_constantIbLb1EESU_EEDaSP_SQ_EUlSP_E0_NS1_11comp_targetILNS1_3genE9ELNS1_11target_archE1100ELNS1_3gpuE3ELNS1_3repE0EEENS1_30default_config_static_selectorELNS0_4arch9wavefront6targetE1EEEvT1_,comdat
	.protected	_ZN7rocprim17ROCPRIM_400000_NS6detail17trampoline_kernelINS0_14default_configENS1_20scan_config_selectorIiEEZZNS1_9scan_implILNS1_25lookback_scan_determinismE0ELb0ELb0ES3_N6thrust23THRUST_200600_302600_NS6detail15normal_iteratorINS9_10device_ptrIiEEEESE_iNS9_4plusIiEEiEEDaPvRmT3_T4_T5_mT6_P12ihipStream_tbENKUlT_T0_E_clISt17integral_constantIbLb1EESU_EEDaSP_SQ_EUlSP_E0_NS1_11comp_targetILNS1_3genE9ELNS1_11target_archE1100ELNS1_3gpuE3ELNS1_3repE0EEENS1_30default_config_static_selectorELNS0_4arch9wavefront6targetE1EEEvT1_ ; -- Begin function _ZN7rocprim17ROCPRIM_400000_NS6detail17trampoline_kernelINS0_14default_configENS1_20scan_config_selectorIiEEZZNS1_9scan_implILNS1_25lookback_scan_determinismE0ELb0ELb0ES3_N6thrust23THRUST_200600_302600_NS6detail15normal_iteratorINS9_10device_ptrIiEEEESE_iNS9_4plusIiEEiEEDaPvRmT3_T4_T5_mT6_P12ihipStream_tbENKUlT_T0_E_clISt17integral_constantIbLb1EESU_EEDaSP_SQ_EUlSP_E0_NS1_11comp_targetILNS1_3genE9ELNS1_11target_archE1100ELNS1_3gpuE3ELNS1_3repE0EEENS1_30default_config_static_selectorELNS0_4arch9wavefront6targetE1EEEvT1_
	.globl	_ZN7rocprim17ROCPRIM_400000_NS6detail17trampoline_kernelINS0_14default_configENS1_20scan_config_selectorIiEEZZNS1_9scan_implILNS1_25lookback_scan_determinismE0ELb0ELb0ES3_N6thrust23THRUST_200600_302600_NS6detail15normal_iteratorINS9_10device_ptrIiEEEESE_iNS9_4plusIiEEiEEDaPvRmT3_T4_T5_mT6_P12ihipStream_tbENKUlT_T0_E_clISt17integral_constantIbLb1EESU_EEDaSP_SQ_EUlSP_E0_NS1_11comp_targetILNS1_3genE9ELNS1_11target_archE1100ELNS1_3gpuE3ELNS1_3repE0EEENS1_30default_config_static_selectorELNS0_4arch9wavefront6targetE1EEEvT1_
	.p2align	8
	.type	_ZN7rocprim17ROCPRIM_400000_NS6detail17trampoline_kernelINS0_14default_configENS1_20scan_config_selectorIiEEZZNS1_9scan_implILNS1_25lookback_scan_determinismE0ELb0ELb0ES3_N6thrust23THRUST_200600_302600_NS6detail15normal_iteratorINS9_10device_ptrIiEEEESE_iNS9_4plusIiEEiEEDaPvRmT3_T4_T5_mT6_P12ihipStream_tbENKUlT_T0_E_clISt17integral_constantIbLb1EESU_EEDaSP_SQ_EUlSP_E0_NS1_11comp_targetILNS1_3genE9ELNS1_11target_archE1100ELNS1_3gpuE3ELNS1_3repE0EEENS1_30default_config_static_selectorELNS0_4arch9wavefront6targetE1EEEvT1_,@function
_ZN7rocprim17ROCPRIM_400000_NS6detail17trampoline_kernelINS0_14default_configENS1_20scan_config_selectorIiEEZZNS1_9scan_implILNS1_25lookback_scan_determinismE0ELb0ELb0ES3_N6thrust23THRUST_200600_302600_NS6detail15normal_iteratorINS9_10device_ptrIiEEEESE_iNS9_4plusIiEEiEEDaPvRmT3_T4_T5_mT6_P12ihipStream_tbENKUlT_T0_E_clISt17integral_constantIbLb1EESU_EEDaSP_SQ_EUlSP_E0_NS1_11comp_targetILNS1_3genE9ELNS1_11target_archE1100ELNS1_3gpuE3ELNS1_3repE0EEENS1_30default_config_static_selectorELNS0_4arch9wavefront6targetE1EEEvT1_: ; @_ZN7rocprim17ROCPRIM_400000_NS6detail17trampoline_kernelINS0_14default_configENS1_20scan_config_selectorIiEEZZNS1_9scan_implILNS1_25lookback_scan_determinismE0ELb0ELb0ES3_N6thrust23THRUST_200600_302600_NS6detail15normal_iteratorINS9_10device_ptrIiEEEESE_iNS9_4plusIiEEiEEDaPvRmT3_T4_T5_mT6_P12ihipStream_tbENKUlT_T0_E_clISt17integral_constantIbLb1EESU_EEDaSP_SQ_EUlSP_E0_NS1_11comp_targetILNS1_3genE9ELNS1_11target_archE1100ELNS1_3gpuE3ELNS1_3repE0EEENS1_30default_config_static_selectorELNS0_4arch9wavefront6targetE1EEEvT1_
; %bb.0:
	.section	.rodata,"a",@progbits
	.p2align	6, 0x0
	.amdhsa_kernel _ZN7rocprim17ROCPRIM_400000_NS6detail17trampoline_kernelINS0_14default_configENS1_20scan_config_selectorIiEEZZNS1_9scan_implILNS1_25lookback_scan_determinismE0ELb0ELb0ES3_N6thrust23THRUST_200600_302600_NS6detail15normal_iteratorINS9_10device_ptrIiEEEESE_iNS9_4plusIiEEiEEDaPvRmT3_T4_T5_mT6_P12ihipStream_tbENKUlT_T0_E_clISt17integral_constantIbLb1EESU_EEDaSP_SQ_EUlSP_E0_NS1_11comp_targetILNS1_3genE9ELNS1_11target_archE1100ELNS1_3gpuE3ELNS1_3repE0EEENS1_30default_config_static_selectorELNS0_4arch9wavefront6targetE1EEEvT1_
		.amdhsa_group_segment_fixed_size 0
		.amdhsa_private_segment_fixed_size 0
		.amdhsa_kernarg_size 32
		.amdhsa_user_sgpr_count 6
		.amdhsa_user_sgpr_private_segment_buffer 1
		.amdhsa_user_sgpr_dispatch_ptr 0
		.amdhsa_user_sgpr_queue_ptr 0
		.amdhsa_user_sgpr_kernarg_segment_ptr 1
		.amdhsa_user_sgpr_dispatch_id 0
		.amdhsa_user_sgpr_flat_scratch_init 0
		.amdhsa_user_sgpr_kernarg_preload_length 0
		.amdhsa_user_sgpr_kernarg_preload_offset 0
		.amdhsa_user_sgpr_private_segment_size 0
		.amdhsa_uses_dynamic_stack 0
		.amdhsa_system_sgpr_private_segment_wavefront_offset 0
		.amdhsa_system_sgpr_workgroup_id_x 1
		.amdhsa_system_sgpr_workgroup_id_y 0
		.amdhsa_system_sgpr_workgroup_id_z 0
		.amdhsa_system_sgpr_workgroup_info 0
		.amdhsa_system_vgpr_workitem_id 0
		.amdhsa_next_free_vgpr 1
		.amdhsa_next_free_sgpr 0
		.amdhsa_accum_offset 4
		.amdhsa_reserve_vcc 0
		.amdhsa_reserve_flat_scratch 0
		.amdhsa_float_round_mode_32 0
		.amdhsa_float_round_mode_16_64 0
		.amdhsa_float_denorm_mode_32 3
		.amdhsa_float_denorm_mode_16_64 3
		.amdhsa_dx10_clamp 1
		.amdhsa_ieee_mode 1
		.amdhsa_fp16_overflow 0
		.amdhsa_tg_split 0
		.amdhsa_exception_fp_ieee_invalid_op 0
		.amdhsa_exception_fp_denorm_src 0
		.amdhsa_exception_fp_ieee_div_zero 0
		.amdhsa_exception_fp_ieee_overflow 0
		.amdhsa_exception_fp_ieee_underflow 0
		.amdhsa_exception_fp_ieee_inexact 0
		.amdhsa_exception_int_div_zero 0
	.end_amdhsa_kernel
	.section	.text._ZN7rocprim17ROCPRIM_400000_NS6detail17trampoline_kernelINS0_14default_configENS1_20scan_config_selectorIiEEZZNS1_9scan_implILNS1_25lookback_scan_determinismE0ELb0ELb0ES3_N6thrust23THRUST_200600_302600_NS6detail15normal_iteratorINS9_10device_ptrIiEEEESE_iNS9_4plusIiEEiEEDaPvRmT3_T4_T5_mT6_P12ihipStream_tbENKUlT_T0_E_clISt17integral_constantIbLb1EESU_EEDaSP_SQ_EUlSP_E0_NS1_11comp_targetILNS1_3genE9ELNS1_11target_archE1100ELNS1_3gpuE3ELNS1_3repE0EEENS1_30default_config_static_selectorELNS0_4arch9wavefront6targetE1EEEvT1_,"axG",@progbits,_ZN7rocprim17ROCPRIM_400000_NS6detail17trampoline_kernelINS0_14default_configENS1_20scan_config_selectorIiEEZZNS1_9scan_implILNS1_25lookback_scan_determinismE0ELb0ELb0ES3_N6thrust23THRUST_200600_302600_NS6detail15normal_iteratorINS9_10device_ptrIiEEEESE_iNS9_4plusIiEEiEEDaPvRmT3_T4_T5_mT6_P12ihipStream_tbENKUlT_T0_E_clISt17integral_constantIbLb1EESU_EEDaSP_SQ_EUlSP_E0_NS1_11comp_targetILNS1_3genE9ELNS1_11target_archE1100ELNS1_3gpuE3ELNS1_3repE0EEENS1_30default_config_static_selectorELNS0_4arch9wavefront6targetE1EEEvT1_,comdat
.Lfunc_end548:
	.size	_ZN7rocprim17ROCPRIM_400000_NS6detail17trampoline_kernelINS0_14default_configENS1_20scan_config_selectorIiEEZZNS1_9scan_implILNS1_25lookback_scan_determinismE0ELb0ELb0ES3_N6thrust23THRUST_200600_302600_NS6detail15normal_iteratorINS9_10device_ptrIiEEEESE_iNS9_4plusIiEEiEEDaPvRmT3_T4_T5_mT6_P12ihipStream_tbENKUlT_T0_E_clISt17integral_constantIbLb1EESU_EEDaSP_SQ_EUlSP_E0_NS1_11comp_targetILNS1_3genE9ELNS1_11target_archE1100ELNS1_3gpuE3ELNS1_3repE0EEENS1_30default_config_static_selectorELNS0_4arch9wavefront6targetE1EEEvT1_, .Lfunc_end548-_ZN7rocprim17ROCPRIM_400000_NS6detail17trampoline_kernelINS0_14default_configENS1_20scan_config_selectorIiEEZZNS1_9scan_implILNS1_25lookback_scan_determinismE0ELb0ELb0ES3_N6thrust23THRUST_200600_302600_NS6detail15normal_iteratorINS9_10device_ptrIiEEEESE_iNS9_4plusIiEEiEEDaPvRmT3_T4_T5_mT6_P12ihipStream_tbENKUlT_T0_E_clISt17integral_constantIbLb1EESU_EEDaSP_SQ_EUlSP_E0_NS1_11comp_targetILNS1_3genE9ELNS1_11target_archE1100ELNS1_3gpuE3ELNS1_3repE0EEENS1_30default_config_static_selectorELNS0_4arch9wavefront6targetE1EEEvT1_
                                        ; -- End function
	.section	.AMDGPU.csdata,"",@progbits
; Kernel info:
; codeLenInByte = 0
; NumSgprs: 4
; NumVgprs: 0
; NumAgprs: 0
; TotalNumVgprs: 0
; ScratchSize: 0
; MemoryBound: 0
; FloatMode: 240
; IeeeMode: 1
; LDSByteSize: 0 bytes/workgroup (compile time only)
; SGPRBlocks: 0
; VGPRBlocks: 0
; NumSGPRsForWavesPerEU: 4
; NumVGPRsForWavesPerEU: 1
; AccumOffset: 4
; Occupancy: 8
; WaveLimiterHint : 0
; COMPUTE_PGM_RSRC2:SCRATCH_EN: 0
; COMPUTE_PGM_RSRC2:USER_SGPR: 6
; COMPUTE_PGM_RSRC2:TRAP_HANDLER: 0
; COMPUTE_PGM_RSRC2:TGID_X_EN: 1
; COMPUTE_PGM_RSRC2:TGID_Y_EN: 0
; COMPUTE_PGM_RSRC2:TGID_Z_EN: 0
; COMPUTE_PGM_RSRC2:TIDIG_COMP_CNT: 0
; COMPUTE_PGM_RSRC3_GFX90A:ACCUM_OFFSET: 0
; COMPUTE_PGM_RSRC3_GFX90A:TG_SPLIT: 0
	.section	.text._ZN7rocprim17ROCPRIM_400000_NS6detail17trampoline_kernelINS0_14default_configENS1_20scan_config_selectorIiEEZZNS1_9scan_implILNS1_25lookback_scan_determinismE0ELb0ELb0ES3_N6thrust23THRUST_200600_302600_NS6detail15normal_iteratorINS9_10device_ptrIiEEEESE_iNS9_4plusIiEEiEEDaPvRmT3_T4_T5_mT6_P12ihipStream_tbENKUlT_T0_E_clISt17integral_constantIbLb1EESU_EEDaSP_SQ_EUlSP_E0_NS1_11comp_targetILNS1_3genE8ELNS1_11target_archE1030ELNS1_3gpuE2ELNS1_3repE0EEENS1_30default_config_static_selectorELNS0_4arch9wavefront6targetE1EEEvT1_,"axG",@progbits,_ZN7rocprim17ROCPRIM_400000_NS6detail17trampoline_kernelINS0_14default_configENS1_20scan_config_selectorIiEEZZNS1_9scan_implILNS1_25lookback_scan_determinismE0ELb0ELb0ES3_N6thrust23THRUST_200600_302600_NS6detail15normal_iteratorINS9_10device_ptrIiEEEESE_iNS9_4plusIiEEiEEDaPvRmT3_T4_T5_mT6_P12ihipStream_tbENKUlT_T0_E_clISt17integral_constantIbLb1EESU_EEDaSP_SQ_EUlSP_E0_NS1_11comp_targetILNS1_3genE8ELNS1_11target_archE1030ELNS1_3gpuE2ELNS1_3repE0EEENS1_30default_config_static_selectorELNS0_4arch9wavefront6targetE1EEEvT1_,comdat
	.protected	_ZN7rocprim17ROCPRIM_400000_NS6detail17trampoline_kernelINS0_14default_configENS1_20scan_config_selectorIiEEZZNS1_9scan_implILNS1_25lookback_scan_determinismE0ELb0ELb0ES3_N6thrust23THRUST_200600_302600_NS6detail15normal_iteratorINS9_10device_ptrIiEEEESE_iNS9_4plusIiEEiEEDaPvRmT3_T4_T5_mT6_P12ihipStream_tbENKUlT_T0_E_clISt17integral_constantIbLb1EESU_EEDaSP_SQ_EUlSP_E0_NS1_11comp_targetILNS1_3genE8ELNS1_11target_archE1030ELNS1_3gpuE2ELNS1_3repE0EEENS1_30default_config_static_selectorELNS0_4arch9wavefront6targetE1EEEvT1_ ; -- Begin function _ZN7rocprim17ROCPRIM_400000_NS6detail17trampoline_kernelINS0_14default_configENS1_20scan_config_selectorIiEEZZNS1_9scan_implILNS1_25lookback_scan_determinismE0ELb0ELb0ES3_N6thrust23THRUST_200600_302600_NS6detail15normal_iteratorINS9_10device_ptrIiEEEESE_iNS9_4plusIiEEiEEDaPvRmT3_T4_T5_mT6_P12ihipStream_tbENKUlT_T0_E_clISt17integral_constantIbLb1EESU_EEDaSP_SQ_EUlSP_E0_NS1_11comp_targetILNS1_3genE8ELNS1_11target_archE1030ELNS1_3gpuE2ELNS1_3repE0EEENS1_30default_config_static_selectorELNS0_4arch9wavefront6targetE1EEEvT1_
	.globl	_ZN7rocprim17ROCPRIM_400000_NS6detail17trampoline_kernelINS0_14default_configENS1_20scan_config_selectorIiEEZZNS1_9scan_implILNS1_25lookback_scan_determinismE0ELb0ELb0ES3_N6thrust23THRUST_200600_302600_NS6detail15normal_iteratorINS9_10device_ptrIiEEEESE_iNS9_4plusIiEEiEEDaPvRmT3_T4_T5_mT6_P12ihipStream_tbENKUlT_T0_E_clISt17integral_constantIbLb1EESU_EEDaSP_SQ_EUlSP_E0_NS1_11comp_targetILNS1_3genE8ELNS1_11target_archE1030ELNS1_3gpuE2ELNS1_3repE0EEENS1_30default_config_static_selectorELNS0_4arch9wavefront6targetE1EEEvT1_
	.p2align	8
	.type	_ZN7rocprim17ROCPRIM_400000_NS6detail17trampoline_kernelINS0_14default_configENS1_20scan_config_selectorIiEEZZNS1_9scan_implILNS1_25lookback_scan_determinismE0ELb0ELb0ES3_N6thrust23THRUST_200600_302600_NS6detail15normal_iteratorINS9_10device_ptrIiEEEESE_iNS9_4plusIiEEiEEDaPvRmT3_T4_T5_mT6_P12ihipStream_tbENKUlT_T0_E_clISt17integral_constantIbLb1EESU_EEDaSP_SQ_EUlSP_E0_NS1_11comp_targetILNS1_3genE8ELNS1_11target_archE1030ELNS1_3gpuE2ELNS1_3repE0EEENS1_30default_config_static_selectorELNS0_4arch9wavefront6targetE1EEEvT1_,@function
_ZN7rocprim17ROCPRIM_400000_NS6detail17trampoline_kernelINS0_14default_configENS1_20scan_config_selectorIiEEZZNS1_9scan_implILNS1_25lookback_scan_determinismE0ELb0ELb0ES3_N6thrust23THRUST_200600_302600_NS6detail15normal_iteratorINS9_10device_ptrIiEEEESE_iNS9_4plusIiEEiEEDaPvRmT3_T4_T5_mT6_P12ihipStream_tbENKUlT_T0_E_clISt17integral_constantIbLb1EESU_EEDaSP_SQ_EUlSP_E0_NS1_11comp_targetILNS1_3genE8ELNS1_11target_archE1030ELNS1_3gpuE2ELNS1_3repE0EEENS1_30default_config_static_selectorELNS0_4arch9wavefront6targetE1EEEvT1_: ; @_ZN7rocprim17ROCPRIM_400000_NS6detail17trampoline_kernelINS0_14default_configENS1_20scan_config_selectorIiEEZZNS1_9scan_implILNS1_25lookback_scan_determinismE0ELb0ELb0ES3_N6thrust23THRUST_200600_302600_NS6detail15normal_iteratorINS9_10device_ptrIiEEEESE_iNS9_4plusIiEEiEEDaPvRmT3_T4_T5_mT6_P12ihipStream_tbENKUlT_T0_E_clISt17integral_constantIbLb1EESU_EEDaSP_SQ_EUlSP_E0_NS1_11comp_targetILNS1_3genE8ELNS1_11target_archE1030ELNS1_3gpuE2ELNS1_3repE0EEENS1_30default_config_static_selectorELNS0_4arch9wavefront6targetE1EEEvT1_
; %bb.0:
	.section	.rodata,"a",@progbits
	.p2align	6, 0x0
	.amdhsa_kernel _ZN7rocprim17ROCPRIM_400000_NS6detail17trampoline_kernelINS0_14default_configENS1_20scan_config_selectorIiEEZZNS1_9scan_implILNS1_25lookback_scan_determinismE0ELb0ELb0ES3_N6thrust23THRUST_200600_302600_NS6detail15normal_iteratorINS9_10device_ptrIiEEEESE_iNS9_4plusIiEEiEEDaPvRmT3_T4_T5_mT6_P12ihipStream_tbENKUlT_T0_E_clISt17integral_constantIbLb1EESU_EEDaSP_SQ_EUlSP_E0_NS1_11comp_targetILNS1_3genE8ELNS1_11target_archE1030ELNS1_3gpuE2ELNS1_3repE0EEENS1_30default_config_static_selectorELNS0_4arch9wavefront6targetE1EEEvT1_
		.amdhsa_group_segment_fixed_size 0
		.amdhsa_private_segment_fixed_size 0
		.amdhsa_kernarg_size 32
		.amdhsa_user_sgpr_count 6
		.amdhsa_user_sgpr_private_segment_buffer 1
		.amdhsa_user_sgpr_dispatch_ptr 0
		.amdhsa_user_sgpr_queue_ptr 0
		.amdhsa_user_sgpr_kernarg_segment_ptr 1
		.amdhsa_user_sgpr_dispatch_id 0
		.amdhsa_user_sgpr_flat_scratch_init 0
		.amdhsa_user_sgpr_kernarg_preload_length 0
		.amdhsa_user_sgpr_kernarg_preload_offset 0
		.amdhsa_user_sgpr_private_segment_size 0
		.amdhsa_uses_dynamic_stack 0
		.amdhsa_system_sgpr_private_segment_wavefront_offset 0
		.amdhsa_system_sgpr_workgroup_id_x 1
		.amdhsa_system_sgpr_workgroup_id_y 0
		.amdhsa_system_sgpr_workgroup_id_z 0
		.amdhsa_system_sgpr_workgroup_info 0
		.amdhsa_system_vgpr_workitem_id 0
		.amdhsa_next_free_vgpr 1
		.amdhsa_next_free_sgpr 0
		.amdhsa_accum_offset 4
		.amdhsa_reserve_vcc 0
		.amdhsa_reserve_flat_scratch 0
		.amdhsa_float_round_mode_32 0
		.amdhsa_float_round_mode_16_64 0
		.amdhsa_float_denorm_mode_32 3
		.amdhsa_float_denorm_mode_16_64 3
		.amdhsa_dx10_clamp 1
		.amdhsa_ieee_mode 1
		.amdhsa_fp16_overflow 0
		.amdhsa_tg_split 0
		.amdhsa_exception_fp_ieee_invalid_op 0
		.amdhsa_exception_fp_denorm_src 0
		.amdhsa_exception_fp_ieee_div_zero 0
		.amdhsa_exception_fp_ieee_overflow 0
		.amdhsa_exception_fp_ieee_underflow 0
		.amdhsa_exception_fp_ieee_inexact 0
		.amdhsa_exception_int_div_zero 0
	.end_amdhsa_kernel
	.section	.text._ZN7rocprim17ROCPRIM_400000_NS6detail17trampoline_kernelINS0_14default_configENS1_20scan_config_selectorIiEEZZNS1_9scan_implILNS1_25lookback_scan_determinismE0ELb0ELb0ES3_N6thrust23THRUST_200600_302600_NS6detail15normal_iteratorINS9_10device_ptrIiEEEESE_iNS9_4plusIiEEiEEDaPvRmT3_T4_T5_mT6_P12ihipStream_tbENKUlT_T0_E_clISt17integral_constantIbLb1EESU_EEDaSP_SQ_EUlSP_E0_NS1_11comp_targetILNS1_3genE8ELNS1_11target_archE1030ELNS1_3gpuE2ELNS1_3repE0EEENS1_30default_config_static_selectorELNS0_4arch9wavefront6targetE1EEEvT1_,"axG",@progbits,_ZN7rocprim17ROCPRIM_400000_NS6detail17trampoline_kernelINS0_14default_configENS1_20scan_config_selectorIiEEZZNS1_9scan_implILNS1_25lookback_scan_determinismE0ELb0ELb0ES3_N6thrust23THRUST_200600_302600_NS6detail15normal_iteratorINS9_10device_ptrIiEEEESE_iNS9_4plusIiEEiEEDaPvRmT3_T4_T5_mT6_P12ihipStream_tbENKUlT_T0_E_clISt17integral_constantIbLb1EESU_EEDaSP_SQ_EUlSP_E0_NS1_11comp_targetILNS1_3genE8ELNS1_11target_archE1030ELNS1_3gpuE2ELNS1_3repE0EEENS1_30default_config_static_selectorELNS0_4arch9wavefront6targetE1EEEvT1_,comdat
.Lfunc_end549:
	.size	_ZN7rocprim17ROCPRIM_400000_NS6detail17trampoline_kernelINS0_14default_configENS1_20scan_config_selectorIiEEZZNS1_9scan_implILNS1_25lookback_scan_determinismE0ELb0ELb0ES3_N6thrust23THRUST_200600_302600_NS6detail15normal_iteratorINS9_10device_ptrIiEEEESE_iNS9_4plusIiEEiEEDaPvRmT3_T4_T5_mT6_P12ihipStream_tbENKUlT_T0_E_clISt17integral_constantIbLb1EESU_EEDaSP_SQ_EUlSP_E0_NS1_11comp_targetILNS1_3genE8ELNS1_11target_archE1030ELNS1_3gpuE2ELNS1_3repE0EEENS1_30default_config_static_selectorELNS0_4arch9wavefront6targetE1EEEvT1_, .Lfunc_end549-_ZN7rocprim17ROCPRIM_400000_NS6detail17trampoline_kernelINS0_14default_configENS1_20scan_config_selectorIiEEZZNS1_9scan_implILNS1_25lookback_scan_determinismE0ELb0ELb0ES3_N6thrust23THRUST_200600_302600_NS6detail15normal_iteratorINS9_10device_ptrIiEEEESE_iNS9_4plusIiEEiEEDaPvRmT3_T4_T5_mT6_P12ihipStream_tbENKUlT_T0_E_clISt17integral_constantIbLb1EESU_EEDaSP_SQ_EUlSP_E0_NS1_11comp_targetILNS1_3genE8ELNS1_11target_archE1030ELNS1_3gpuE2ELNS1_3repE0EEENS1_30default_config_static_selectorELNS0_4arch9wavefront6targetE1EEEvT1_
                                        ; -- End function
	.section	.AMDGPU.csdata,"",@progbits
; Kernel info:
; codeLenInByte = 0
; NumSgprs: 4
; NumVgprs: 0
; NumAgprs: 0
; TotalNumVgprs: 0
; ScratchSize: 0
; MemoryBound: 0
; FloatMode: 240
; IeeeMode: 1
; LDSByteSize: 0 bytes/workgroup (compile time only)
; SGPRBlocks: 0
; VGPRBlocks: 0
; NumSGPRsForWavesPerEU: 4
; NumVGPRsForWavesPerEU: 1
; AccumOffset: 4
; Occupancy: 8
; WaveLimiterHint : 0
; COMPUTE_PGM_RSRC2:SCRATCH_EN: 0
; COMPUTE_PGM_RSRC2:USER_SGPR: 6
; COMPUTE_PGM_RSRC2:TRAP_HANDLER: 0
; COMPUTE_PGM_RSRC2:TGID_X_EN: 1
; COMPUTE_PGM_RSRC2:TGID_Y_EN: 0
; COMPUTE_PGM_RSRC2:TGID_Z_EN: 0
; COMPUTE_PGM_RSRC2:TIDIG_COMP_CNT: 0
; COMPUTE_PGM_RSRC3_GFX90A:ACCUM_OFFSET: 0
; COMPUTE_PGM_RSRC3_GFX90A:TG_SPLIT: 0
	.section	.text._ZN7rocprim17ROCPRIM_400000_NS6detail31init_lookback_scan_state_kernelINS1_19lookback_scan_stateIiLb1ELb1EEENS1_16block_id_wrapperIjLb0EEEEEvT_jT0_jPNS7_10value_typeE,"axG",@progbits,_ZN7rocprim17ROCPRIM_400000_NS6detail31init_lookback_scan_state_kernelINS1_19lookback_scan_stateIiLb1ELb1EEENS1_16block_id_wrapperIjLb0EEEEEvT_jT0_jPNS7_10value_typeE,comdat
	.protected	_ZN7rocprim17ROCPRIM_400000_NS6detail31init_lookback_scan_state_kernelINS1_19lookback_scan_stateIiLb1ELb1EEENS1_16block_id_wrapperIjLb0EEEEEvT_jT0_jPNS7_10value_typeE ; -- Begin function _ZN7rocprim17ROCPRIM_400000_NS6detail31init_lookback_scan_state_kernelINS1_19lookback_scan_stateIiLb1ELb1EEENS1_16block_id_wrapperIjLb0EEEEEvT_jT0_jPNS7_10value_typeE
	.globl	_ZN7rocprim17ROCPRIM_400000_NS6detail31init_lookback_scan_state_kernelINS1_19lookback_scan_stateIiLb1ELb1EEENS1_16block_id_wrapperIjLb0EEEEEvT_jT0_jPNS7_10value_typeE
	.p2align	8
	.type	_ZN7rocprim17ROCPRIM_400000_NS6detail31init_lookback_scan_state_kernelINS1_19lookback_scan_stateIiLb1ELb1EEENS1_16block_id_wrapperIjLb0EEEEEvT_jT0_jPNS7_10value_typeE,@function
_ZN7rocprim17ROCPRIM_400000_NS6detail31init_lookback_scan_state_kernelINS1_19lookback_scan_stateIiLb1ELb1EEENS1_16block_id_wrapperIjLb0EEEEEvT_jT0_jPNS7_10value_typeE: ; @_ZN7rocprim17ROCPRIM_400000_NS6detail31init_lookback_scan_state_kernelINS1_19lookback_scan_stateIiLb1ELb1EEENS1_16block_id_wrapperIjLb0EEEEEvT_jT0_jPNS7_10value_typeE
; %bb.0:
	s_load_dword s7, s[4:5], 0x2c
	s_load_dwordx2 s[2:3], s[4:5], 0x18
	s_load_dwordx2 s[0:1], s[4:5], 0x0
	s_load_dword s8, s[4:5], 0x8
	s_waitcnt lgkmcnt(0)
	s_and_b32 s7, s7, 0xffff
	s_mul_i32 s6, s6, s7
	s_cmp_eq_u64 s[2:3], 0
	v_add_u32_e32 v0, s6, v0
	s_cbranch_scc1 .LBB550_9
; %bb.1:
	s_load_dword s6, s[4:5], 0x10
	s_mov_b32 s7, 0
	s_waitcnt lgkmcnt(0)
	s_cmp_lt_u32 s6, s8
	s_cselect_b32 s4, s6, 0
	v_cmp_eq_u32_e32 vcc, s4, v0
	s_and_saveexec_b64 s[4:5], vcc
	s_cbranch_execz .LBB550_8
; %bb.2:
	s_add_i32 s6, s6, 64
	s_lshl_b64 s[6:7], s[6:7], 3
	s_add_u32 s6, s0, s6
	s_addc_u32 s7, s1, s7
	v_mov_b32_e32 v2, 0
	global_load_dwordx2 v[4:5], v2, s[6:7] glc
	s_waitcnt vmcnt(0)
	v_and_b32_e32 v3, 0xff, v5
	v_cmp_ne_u64_e32 vcc, 0, v[2:3]
	s_cbranch_vccnz .LBB550_7
; %bb.3:
	s_mov_b32 s9, 1
.LBB550_4:                              ; =>This Loop Header: Depth=1
                                        ;     Child Loop BB550_5 Depth 2
	s_max_u32 s10, s9, 1
.LBB550_5:                              ;   Parent Loop BB550_4 Depth=1
                                        ; =>  This Inner Loop Header: Depth=2
	s_add_i32 s10, s10, -1
	s_cmp_eq_u32 s10, 0
	s_sleep 1
	s_cbranch_scc0 .LBB550_5
; %bb.6:                                ;   in Loop: Header=BB550_4 Depth=1
	global_load_dwordx2 v[4:5], v2, s[6:7] glc
	s_cmp_lt_u32 s9, 32
	s_cselect_b64 s[10:11], -1, 0
	s_cmp_lg_u64 s[10:11], 0
	s_addc_u32 s9, s9, 0
	s_waitcnt vmcnt(0)
	v_and_b32_e32 v3, 0xff, v5
	v_cmp_ne_u64_e32 vcc, 0, v[2:3]
	s_cbranch_vccz .LBB550_4
.LBB550_7:
	v_mov_b32_e32 v1, 0
	global_store_dword v1, v4, s[2:3]
.LBB550_8:
	s_or_b64 exec, exec, s[4:5]
.LBB550_9:
	v_cmp_gt_u32_e32 vcc, s8, v0
	s_and_saveexec_b64 s[2:3], vcc
	s_cbranch_execnz .LBB550_12
; %bb.10:
	s_or_b64 exec, exec, s[2:3]
	v_cmp_gt_u32_e32 vcc, 64, v0
	s_and_saveexec_b64 s[2:3], vcc
	s_cbranch_execnz .LBB550_13
.LBB550_11:
	s_endpgm
.LBB550_12:
	v_add_u32_e32 v2, 64, v0
	v_mov_b32_e32 v3, 0
	v_lshlrev_b64 v[4:5], 3, v[2:3]
	v_mov_b32_e32 v1, s1
	v_add_co_u32_e32 v4, vcc, s0, v4
	v_addc_co_u32_e32 v5, vcc, v1, v5, vcc
	v_mov_b32_e32 v2, v3
	global_store_dwordx2 v[4:5], v[2:3], off
	s_or_b64 exec, exec, s[2:3]
	v_cmp_gt_u32_e32 vcc, 64, v0
	s_and_saveexec_b64 s[2:3], vcc
	s_cbranch_execz .LBB550_11
.LBB550_13:
	v_mov_b32_e32 v1, 0
	v_lshlrev_b64 v[2:3], 3, v[0:1]
	v_mov_b32_e32 v0, s1
	v_add_co_u32_e32 v2, vcc, s0, v2
	v_addc_co_u32_e32 v3, vcc, v0, v3, vcc
	v_mov_b32_e32 v5, 0xff
	v_mov_b32_e32 v4, v1
	global_store_dwordx2 v[2:3], v[4:5], off
	s_endpgm
	.section	.rodata,"a",@progbits
	.p2align	6, 0x0
	.amdhsa_kernel _ZN7rocprim17ROCPRIM_400000_NS6detail31init_lookback_scan_state_kernelINS1_19lookback_scan_stateIiLb1ELb1EEENS1_16block_id_wrapperIjLb0EEEEEvT_jT0_jPNS7_10value_typeE
		.amdhsa_group_segment_fixed_size 0
		.amdhsa_private_segment_fixed_size 0
		.amdhsa_kernarg_size 288
		.amdhsa_user_sgpr_count 6
		.amdhsa_user_sgpr_private_segment_buffer 1
		.amdhsa_user_sgpr_dispatch_ptr 0
		.amdhsa_user_sgpr_queue_ptr 0
		.amdhsa_user_sgpr_kernarg_segment_ptr 1
		.amdhsa_user_sgpr_dispatch_id 0
		.amdhsa_user_sgpr_flat_scratch_init 0
		.amdhsa_user_sgpr_kernarg_preload_length 0
		.amdhsa_user_sgpr_kernarg_preload_offset 0
		.amdhsa_user_sgpr_private_segment_size 0
		.amdhsa_uses_dynamic_stack 0
		.amdhsa_system_sgpr_private_segment_wavefront_offset 0
		.amdhsa_system_sgpr_workgroup_id_x 1
		.amdhsa_system_sgpr_workgroup_id_y 0
		.amdhsa_system_sgpr_workgroup_id_z 0
		.amdhsa_system_sgpr_workgroup_info 0
		.amdhsa_system_vgpr_workitem_id 0
		.amdhsa_next_free_vgpr 6
		.amdhsa_next_free_sgpr 12
		.amdhsa_accum_offset 8
		.amdhsa_reserve_vcc 1
		.amdhsa_reserve_flat_scratch 0
		.amdhsa_float_round_mode_32 0
		.amdhsa_float_round_mode_16_64 0
		.amdhsa_float_denorm_mode_32 3
		.amdhsa_float_denorm_mode_16_64 3
		.amdhsa_dx10_clamp 1
		.amdhsa_ieee_mode 1
		.amdhsa_fp16_overflow 0
		.amdhsa_tg_split 0
		.amdhsa_exception_fp_ieee_invalid_op 0
		.amdhsa_exception_fp_denorm_src 0
		.amdhsa_exception_fp_ieee_div_zero 0
		.amdhsa_exception_fp_ieee_overflow 0
		.amdhsa_exception_fp_ieee_underflow 0
		.amdhsa_exception_fp_ieee_inexact 0
		.amdhsa_exception_int_div_zero 0
	.end_amdhsa_kernel
	.section	.text._ZN7rocprim17ROCPRIM_400000_NS6detail31init_lookback_scan_state_kernelINS1_19lookback_scan_stateIiLb1ELb1EEENS1_16block_id_wrapperIjLb0EEEEEvT_jT0_jPNS7_10value_typeE,"axG",@progbits,_ZN7rocprim17ROCPRIM_400000_NS6detail31init_lookback_scan_state_kernelINS1_19lookback_scan_stateIiLb1ELb1EEENS1_16block_id_wrapperIjLb0EEEEEvT_jT0_jPNS7_10value_typeE,comdat
.Lfunc_end550:
	.size	_ZN7rocprim17ROCPRIM_400000_NS6detail31init_lookback_scan_state_kernelINS1_19lookback_scan_stateIiLb1ELb1EEENS1_16block_id_wrapperIjLb0EEEEEvT_jT0_jPNS7_10value_typeE, .Lfunc_end550-_ZN7rocprim17ROCPRIM_400000_NS6detail31init_lookback_scan_state_kernelINS1_19lookback_scan_stateIiLb1ELb1EEENS1_16block_id_wrapperIjLb0EEEEEvT_jT0_jPNS7_10value_typeE
                                        ; -- End function
	.section	.AMDGPU.csdata,"",@progbits
; Kernel info:
; codeLenInByte = 364
; NumSgprs: 16
; NumVgprs: 6
; NumAgprs: 0
; TotalNumVgprs: 6
; ScratchSize: 0
; MemoryBound: 0
; FloatMode: 240
; IeeeMode: 1
; LDSByteSize: 0 bytes/workgroup (compile time only)
; SGPRBlocks: 1
; VGPRBlocks: 0
; NumSGPRsForWavesPerEU: 16
; NumVGPRsForWavesPerEU: 6
; AccumOffset: 8
; Occupancy: 8
; WaveLimiterHint : 0
; COMPUTE_PGM_RSRC2:SCRATCH_EN: 0
; COMPUTE_PGM_RSRC2:USER_SGPR: 6
; COMPUTE_PGM_RSRC2:TRAP_HANDLER: 0
; COMPUTE_PGM_RSRC2:TGID_X_EN: 1
; COMPUTE_PGM_RSRC2:TGID_Y_EN: 0
; COMPUTE_PGM_RSRC2:TGID_Z_EN: 0
; COMPUTE_PGM_RSRC2:TIDIG_COMP_CNT: 0
; COMPUTE_PGM_RSRC3_GFX90A:ACCUM_OFFSET: 1
; COMPUTE_PGM_RSRC3_GFX90A:TG_SPLIT: 0
	.section	.text._ZN7rocprim17ROCPRIM_400000_NS6detail17trampoline_kernelINS0_14default_configENS1_20scan_config_selectorIiEEZZNS1_9scan_implILNS1_25lookback_scan_determinismE0ELb0ELb0ES3_N6thrust23THRUST_200600_302600_NS6detail15normal_iteratorINS9_10device_ptrIiEEEESE_iNS9_4plusIiEEiEEDaPvRmT3_T4_T5_mT6_P12ihipStream_tbENKUlT_T0_E_clISt17integral_constantIbLb1EEST_IbLb0EEEEDaSP_SQ_EUlSP_E_NS1_11comp_targetILNS1_3genE0ELNS1_11target_archE4294967295ELNS1_3gpuE0ELNS1_3repE0EEENS1_30default_config_static_selectorELNS0_4arch9wavefront6targetE1EEEvT1_,"axG",@progbits,_ZN7rocprim17ROCPRIM_400000_NS6detail17trampoline_kernelINS0_14default_configENS1_20scan_config_selectorIiEEZZNS1_9scan_implILNS1_25lookback_scan_determinismE0ELb0ELb0ES3_N6thrust23THRUST_200600_302600_NS6detail15normal_iteratorINS9_10device_ptrIiEEEESE_iNS9_4plusIiEEiEEDaPvRmT3_T4_T5_mT6_P12ihipStream_tbENKUlT_T0_E_clISt17integral_constantIbLb1EEST_IbLb0EEEEDaSP_SQ_EUlSP_E_NS1_11comp_targetILNS1_3genE0ELNS1_11target_archE4294967295ELNS1_3gpuE0ELNS1_3repE0EEENS1_30default_config_static_selectorELNS0_4arch9wavefront6targetE1EEEvT1_,comdat
	.protected	_ZN7rocprim17ROCPRIM_400000_NS6detail17trampoline_kernelINS0_14default_configENS1_20scan_config_selectorIiEEZZNS1_9scan_implILNS1_25lookback_scan_determinismE0ELb0ELb0ES3_N6thrust23THRUST_200600_302600_NS6detail15normal_iteratorINS9_10device_ptrIiEEEESE_iNS9_4plusIiEEiEEDaPvRmT3_T4_T5_mT6_P12ihipStream_tbENKUlT_T0_E_clISt17integral_constantIbLb1EEST_IbLb0EEEEDaSP_SQ_EUlSP_E_NS1_11comp_targetILNS1_3genE0ELNS1_11target_archE4294967295ELNS1_3gpuE0ELNS1_3repE0EEENS1_30default_config_static_selectorELNS0_4arch9wavefront6targetE1EEEvT1_ ; -- Begin function _ZN7rocprim17ROCPRIM_400000_NS6detail17trampoline_kernelINS0_14default_configENS1_20scan_config_selectorIiEEZZNS1_9scan_implILNS1_25lookback_scan_determinismE0ELb0ELb0ES3_N6thrust23THRUST_200600_302600_NS6detail15normal_iteratorINS9_10device_ptrIiEEEESE_iNS9_4plusIiEEiEEDaPvRmT3_T4_T5_mT6_P12ihipStream_tbENKUlT_T0_E_clISt17integral_constantIbLb1EEST_IbLb0EEEEDaSP_SQ_EUlSP_E_NS1_11comp_targetILNS1_3genE0ELNS1_11target_archE4294967295ELNS1_3gpuE0ELNS1_3repE0EEENS1_30default_config_static_selectorELNS0_4arch9wavefront6targetE1EEEvT1_
	.globl	_ZN7rocprim17ROCPRIM_400000_NS6detail17trampoline_kernelINS0_14default_configENS1_20scan_config_selectorIiEEZZNS1_9scan_implILNS1_25lookback_scan_determinismE0ELb0ELb0ES3_N6thrust23THRUST_200600_302600_NS6detail15normal_iteratorINS9_10device_ptrIiEEEESE_iNS9_4plusIiEEiEEDaPvRmT3_T4_T5_mT6_P12ihipStream_tbENKUlT_T0_E_clISt17integral_constantIbLb1EEST_IbLb0EEEEDaSP_SQ_EUlSP_E_NS1_11comp_targetILNS1_3genE0ELNS1_11target_archE4294967295ELNS1_3gpuE0ELNS1_3repE0EEENS1_30default_config_static_selectorELNS0_4arch9wavefront6targetE1EEEvT1_
	.p2align	8
	.type	_ZN7rocprim17ROCPRIM_400000_NS6detail17trampoline_kernelINS0_14default_configENS1_20scan_config_selectorIiEEZZNS1_9scan_implILNS1_25lookback_scan_determinismE0ELb0ELb0ES3_N6thrust23THRUST_200600_302600_NS6detail15normal_iteratorINS9_10device_ptrIiEEEESE_iNS9_4plusIiEEiEEDaPvRmT3_T4_T5_mT6_P12ihipStream_tbENKUlT_T0_E_clISt17integral_constantIbLb1EEST_IbLb0EEEEDaSP_SQ_EUlSP_E_NS1_11comp_targetILNS1_3genE0ELNS1_11target_archE4294967295ELNS1_3gpuE0ELNS1_3repE0EEENS1_30default_config_static_selectorELNS0_4arch9wavefront6targetE1EEEvT1_,@function
_ZN7rocprim17ROCPRIM_400000_NS6detail17trampoline_kernelINS0_14default_configENS1_20scan_config_selectorIiEEZZNS1_9scan_implILNS1_25lookback_scan_determinismE0ELb0ELb0ES3_N6thrust23THRUST_200600_302600_NS6detail15normal_iteratorINS9_10device_ptrIiEEEESE_iNS9_4plusIiEEiEEDaPvRmT3_T4_T5_mT6_P12ihipStream_tbENKUlT_T0_E_clISt17integral_constantIbLb1EEST_IbLb0EEEEDaSP_SQ_EUlSP_E_NS1_11comp_targetILNS1_3genE0ELNS1_11target_archE4294967295ELNS1_3gpuE0ELNS1_3repE0EEENS1_30default_config_static_selectorELNS0_4arch9wavefront6targetE1EEEvT1_: ; @_ZN7rocprim17ROCPRIM_400000_NS6detail17trampoline_kernelINS0_14default_configENS1_20scan_config_selectorIiEEZZNS1_9scan_implILNS1_25lookback_scan_determinismE0ELb0ELb0ES3_N6thrust23THRUST_200600_302600_NS6detail15normal_iteratorINS9_10device_ptrIiEEEESE_iNS9_4plusIiEEiEEDaPvRmT3_T4_T5_mT6_P12ihipStream_tbENKUlT_T0_E_clISt17integral_constantIbLb1EEST_IbLb0EEEEDaSP_SQ_EUlSP_E_NS1_11comp_targetILNS1_3genE0ELNS1_11target_archE4294967295ELNS1_3gpuE0ELNS1_3repE0EEENS1_30default_config_static_selectorELNS0_4arch9wavefront6targetE1EEEvT1_
; %bb.0:
	.section	.rodata,"a",@progbits
	.p2align	6, 0x0
	.amdhsa_kernel _ZN7rocprim17ROCPRIM_400000_NS6detail17trampoline_kernelINS0_14default_configENS1_20scan_config_selectorIiEEZZNS1_9scan_implILNS1_25lookback_scan_determinismE0ELb0ELb0ES3_N6thrust23THRUST_200600_302600_NS6detail15normal_iteratorINS9_10device_ptrIiEEEESE_iNS9_4plusIiEEiEEDaPvRmT3_T4_T5_mT6_P12ihipStream_tbENKUlT_T0_E_clISt17integral_constantIbLb1EEST_IbLb0EEEEDaSP_SQ_EUlSP_E_NS1_11comp_targetILNS1_3genE0ELNS1_11target_archE4294967295ELNS1_3gpuE0ELNS1_3repE0EEENS1_30default_config_static_selectorELNS0_4arch9wavefront6targetE1EEEvT1_
		.amdhsa_group_segment_fixed_size 0
		.amdhsa_private_segment_fixed_size 0
		.amdhsa_kernarg_size 96
		.amdhsa_user_sgpr_count 6
		.amdhsa_user_sgpr_private_segment_buffer 1
		.amdhsa_user_sgpr_dispatch_ptr 0
		.amdhsa_user_sgpr_queue_ptr 0
		.amdhsa_user_sgpr_kernarg_segment_ptr 1
		.amdhsa_user_sgpr_dispatch_id 0
		.amdhsa_user_sgpr_flat_scratch_init 0
		.amdhsa_user_sgpr_kernarg_preload_length 0
		.amdhsa_user_sgpr_kernarg_preload_offset 0
		.amdhsa_user_sgpr_private_segment_size 0
		.amdhsa_uses_dynamic_stack 0
		.amdhsa_system_sgpr_private_segment_wavefront_offset 0
		.amdhsa_system_sgpr_workgroup_id_x 1
		.amdhsa_system_sgpr_workgroup_id_y 0
		.amdhsa_system_sgpr_workgroup_id_z 0
		.amdhsa_system_sgpr_workgroup_info 0
		.amdhsa_system_vgpr_workitem_id 0
		.amdhsa_next_free_vgpr 1
		.amdhsa_next_free_sgpr 0
		.amdhsa_accum_offset 4
		.amdhsa_reserve_vcc 0
		.amdhsa_reserve_flat_scratch 0
		.amdhsa_float_round_mode_32 0
		.amdhsa_float_round_mode_16_64 0
		.amdhsa_float_denorm_mode_32 3
		.amdhsa_float_denorm_mode_16_64 3
		.amdhsa_dx10_clamp 1
		.amdhsa_ieee_mode 1
		.amdhsa_fp16_overflow 0
		.amdhsa_tg_split 0
		.amdhsa_exception_fp_ieee_invalid_op 0
		.amdhsa_exception_fp_denorm_src 0
		.amdhsa_exception_fp_ieee_div_zero 0
		.amdhsa_exception_fp_ieee_overflow 0
		.amdhsa_exception_fp_ieee_underflow 0
		.amdhsa_exception_fp_ieee_inexact 0
		.amdhsa_exception_int_div_zero 0
	.end_amdhsa_kernel
	.section	.text._ZN7rocprim17ROCPRIM_400000_NS6detail17trampoline_kernelINS0_14default_configENS1_20scan_config_selectorIiEEZZNS1_9scan_implILNS1_25lookback_scan_determinismE0ELb0ELb0ES3_N6thrust23THRUST_200600_302600_NS6detail15normal_iteratorINS9_10device_ptrIiEEEESE_iNS9_4plusIiEEiEEDaPvRmT3_T4_T5_mT6_P12ihipStream_tbENKUlT_T0_E_clISt17integral_constantIbLb1EEST_IbLb0EEEEDaSP_SQ_EUlSP_E_NS1_11comp_targetILNS1_3genE0ELNS1_11target_archE4294967295ELNS1_3gpuE0ELNS1_3repE0EEENS1_30default_config_static_selectorELNS0_4arch9wavefront6targetE1EEEvT1_,"axG",@progbits,_ZN7rocprim17ROCPRIM_400000_NS6detail17trampoline_kernelINS0_14default_configENS1_20scan_config_selectorIiEEZZNS1_9scan_implILNS1_25lookback_scan_determinismE0ELb0ELb0ES3_N6thrust23THRUST_200600_302600_NS6detail15normal_iteratorINS9_10device_ptrIiEEEESE_iNS9_4plusIiEEiEEDaPvRmT3_T4_T5_mT6_P12ihipStream_tbENKUlT_T0_E_clISt17integral_constantIbLb1EEST_IbLb0EEEEDaSP_SQ_EUlSP_E_NS1_11comp_targetILNS1_3genE0ELNS1_11target_archE4294967295ELNS1_3gpuE0ELNS1_3repE0EEENS1_30default_config_static_selectorELNS0_4arch9wavefront6targetE1EEEvT1_,comdat
.Lfunc_end551:
	.size	_ZN7rocprim17ROCPRIM_400000_NS6detail17trampoline_kernelINS0_14default_configENS1_20scan_config_selectorIiEEZZNS1_9scan_implILNS1_25lookback_scan_determinismE0ELb0ELb0ES3_N6thrust23THRUST_200600_302600_NS6detail15normal_iteratorINS9_10device_ptrIiEEEESE_iNS9_4plusIiEEiEEDaPvRmT3_T4_T5_mT6_P12ihipStream_tbENKUlT_T0_E_clISt17integral_constantIbLb1EEST_IbLb0EEEEDaSP_SQ_EUlSP_E_NS1_11comp_targetILNS1_3genE0ELNS1_11target_archE4294967295ELNS1_3gpuE0ELNS1_3repE0EEENS1_30default_config_static_selectorELNS0_4arch9wavefront6targetE1EEEvT1_, .Lfunc_end551-_ZN7rocprim17ROCPRIM_400000_NS6detail17trampoline_kernelINS0_14default_configENS1_20scan_config_selectorIiEEZZNS1_9scan_implILNS1_25lookback_scan_determinismE0ELb0ELb0ES3_N6thrust23THRUST_200600_302600_NS6detail15normal_iteratorINS9_10device_ptrIiEEEESE_iNS9_4plusIiEEiEEDaPvRmT3_T4_T5_mT6_P12ihipStream_tbENKUlT_T0_E_clISt17integral_constantIbLb1EEST_IbLb0EEEEDaSP_SQ_EUlSP_E_NS1_11comp_targetILNS1_3genE0ELNS1_11target_archE4294967295ELNS1_3gpuE0ELNS1_3repE0EEENS1_30default_config_static_selectorELNS0_4arch9wavefront6targetE1EEEvT1_
                                        ; -- End function
	.section	.AMDGPU.csdata,"",@progbits
; Kernel info:
; codeLenInByte = 0
; NumSgprs: 4
; NumVgprs: 0
; NumAgprs: 0
; TotalNumVgprs: 0
; ScratchSize: 0
; MemoryBound: 0
; FloatMode: 240
; IeeeMode: 1
; LDSByteSize: 0 bytes/workgroup (compile time only)
; SGPRBlocks: 0
; VGPRBlocks: 0
; NumSGPRsForWavesPerEU: 4
; NumVGPRsForWavesPerEU: 1
; AccumOffset: 4
; Occupancy: 8
; WaveLimiterHint : 0
; COMPUTE_PGM_RSRC2:SCRATCH_EN: 0
; COMPUTE_PGM_RSRC2:USER_SGPR: 6
; COMPUTE_PGM_RSRC2:TRAP_HANDLER: 0
; COMPUTE_PGM_RSRC2:TGID_X_EN: 1
; COMPUTE_PGM_RSRC2:TGID_Y_EN: 0
; COMPUTE_PGM_RSRC2:TGID_Z_EN: 0
; COMPUTE_PGM_RSRC2:TIDIG_COMP_CNT: 0
; COMPUTE_PGM_RSRC3_GFX90A:ACCUM_OFFSET: 0
; COMPUTE_PGM_RSRC3_GFX90A:TG_SPLIT: 0
	.section	.text._ZN7rocprim17ROCPRIM_400000_NS6detail17trampoline_kernelINS0_14default_configENS1_20scan_config_selectorIiEEZZNS1_9scan_implILNS1_25lookback_scan_determinismE0ELb0ELb0ES3_N6thrust23THRUST_200600_302600_NS6detail15normal_iteratorINS9_10device_ptrIiEEEESE_iNS9_4plusIiEEiEEDaPvRmT3_T4_T5_mT6_P12ihipStream_tbENKUlT_T0_E_clISt17integral_constantIbLb1EEST_IbLb0EEEEDaSP_SQ_EUlSP_E_NS1_11comp_targetILNS1_3genE5ELNS1_11target_archE942ELNS1_3gpuE9ELNS1_3repE0EEENS1_30default_config_static_selectorELNS0_4arch9wavefront6targetE1EEEvT1_,"axG",@progbits,_ZN7rocprim17ROCPRIM_400000_NS6detail17trampoline_kernelINS0_14default_configENS1_20scan_config_selectorIiEEZZNS1_9scan_implILNS1_25lookback_scan_determinismE0ELb0ELb0ES3_N6thrust23THRUST_200600_302600_NS6detail15normal_iteratorINS9_10device_ptrIiEEEESE_iNS9_4plusIiEEiEEDaPvRmT3_T4_T5_mT6_P12ihipStream_tbENKUlT_T0_E_clISt17integral_constantIbLb1EEST_IbLb0EEEEDaSP_SQ_EUlSP_E_NS1_11comp_targetILNS1_3genE5ELNS1_11target_archE942ELNS1_3gpuE9ELNS1_3repE0EEENS1_30default_config_static_selectorELNS0_4arch9wavefront6targetE1EEEvT1_,comdat
	.protected	_ZN7rocprim17ROCPRIM_400000_NS6detail17trampoline_kernelINS0_14default_configENS1_20scan_config_selectorIiEEZZNS1_9scan_implILNS1_25lookback_scan_determinismE0ELb0ELb0ES3_N6thrust23THRUST_200600_302600_NS6detail15normal_iteratorINS9_10device_ptrIiEEEESE_iNS9_4plusIiEEiEEDaPvRmT3_T4_T5_mT6_P12ihipStream_tbENKUlT_T0_E_clISt17integral_constantIbLb1EEST_IbLb0EEEEDaSP_SQ_EUlSP_E_NS1_11comp_targetILNS1_3genE5ELNS1_11target_archE942ELNS1_3gpuE9ELNS1_3repE0EEENS1_30default_config_static_selectorELNS0_4arch9wavefront6targetE1EEEvT1_ ; -- Begin function _ZN7rocprim17ROCPRIM_400000_NS6detail17trampoline_kernelINS0_14default_configENS1_20scan_config_selectorIiEEZZNS1_9scan_implILNS1_25lookback_scan_determinismE0ELb0ELb0ES3_N6thrust23THRUST_200600_302600_NS6detail15normal_iteratorINS9_10device_ptrIiEEEESE_iNS9_4plusIiEEiEEDaPvRmT3_T4_T5_mT6_P12ihipStream_tbENKUlT_T0_E_clISt17integral_constantIbLb1EEST_IbLb0EEEEDaSP_SQ_EUlSP_E_NS1_11comp_targetILNS1_3genE5ELNS1_11target_archE942ELNS1_3gpuE9ELNS1_3repE0EEENS1_30default_config_static_selectorELNS0_4arch9wavefront6targetE1EEEvT1_
	.globl	_ZN7rocprim17ROCPRIM_400000_NS6detail17trampoline_kernelINS0_14default_configENS1_20scan_config_selectorIiEEZZNS1_9scan_implILNS1_25lookback_scan_determinismE0ELb0ELb0ES3_N6thrust23THRUST_200600_302600_NS6detail15normal_iteratorINS9_10device_ptrIiEEEESE_iNS9_4plusIiEEiEEDaPvRmT3_T4_T5_mT6_P12ihipStream_tbENKUlT_T0_E_clISt17integral_constantIbLb1EEST_IbLb0EEEEDaSP_SQ_EUlSP_E_NS1_11comp_targetILNS1_3genE5ELNS1_11target_archE942ELNS1_3gpuE9ELNS1_3repE0EEENS1_30default_config_static_selectorELNS0_4arch9wavefront6targetE1EEEvT1_
	.p2align	8
	.type	_ZN7rocprim17ROCPRIM_400000_NS6detail17trampoline_kernelINS0_14default_configENS1_20scan_config_selectorIiEEZZNS1_9scan_implILNS1_25lookback_scan_determinismE0ELb0ELb0ES3_N6thrust23THRUST_200600_302600_NS6detail15normal_iteratorINS9_10device_ptrIiEEEESE_iNS9_4plusIiEEiEEDaPvRmT3_T4_T5_mT6_P12ihipStream_tbENKUlT_T0_E_clISt17integral_constantIbLb1EEST_IbLb0EEEEDaSP_SQ_EUlSP_E_NS1_11comp_targetILNS1_3genE5ELNS1_11target_archE942ELNS1_3gpuE9ELNS1_3repE0EEENS1_30default_config_static_selectorELNS0_4arch9wavefront6targetE1EEEvT1_,@function
_ZN7rocprim17ROCPRIM_400000_NS6detail17trampoline_kernelINS0_14default_configENS1_20scan_config_selectorIiEEZZNS1_9scan_implILNS1_25lookback_scan_determinismE0ELb0ELb0ES3_N6thrust23THRUST_200600_302600_NS6detail15normal_iteratorINS9_10device_ptrIiEEEESE_iNS9_4plusIiEEiEEDaPvRmT3_T4_T5_mT6_P12ihipStream_tbENKUlT_T0_E_clISt17integral_constantIbLb1EEST_IbLb0EEEEDaSP_SQ_EUlSP_E_NS1_11comp_targetILNS1_3genE5ELNS1_11target_archE942ELNS1_3gpuE9ELNS1_3repE0EEENS1_30default_config_static_selectorELNS0_4arch9wavefront6targetE1EEEvT1_: ; @_ZN7rocprim17ROCPRIM_400000_NS6detail17trampoline_kernelINS0_14default_configENS1_20scan_config_selectorIiEEZZNS1_9scan_implILNS1_25lookback_scan_determinismE0ELb0ELb0ES3_N6thrust23THRUST_200600_302600_NS6detail15normal_iteratorINS9_10device_ptrIiEEEESE_iNS9_4plusIiEEiEEDaPvRmT3_T4_T5_mT6_P12ihipStream_tbENKUlT_T0_E_clISt17integral_constantIbLb1EEST_IbLb0EEEEDaSP_SQ_EUlSP_E_NS1_11comp_targetILNS1_3genE5ELNS1_11target_archE942ELNS1_3gpuE9ELNS1_3repE0EEENS1_30default_config_static_selectorELNS0_4arch9wavefront6targetE1EEEvT1_
; %bb.0:
	.section	.rodata,"a",@progbits
	.p2align	6, 0x0
	.amdhsa_kernel _ZN7rocprim17ROCPRIM_400000_NS6detail17trampoline_kernelINS0_14default_configENS1_20scan_config_selectorIiEEZZNS1_9scan_implILNS1_25lookback_scan_determinismE0ELb0ELb0ES3_N6thrust23THRUST_200600_302600_NS6detail15normal_iteratorINS9_10device_ptrIiEEEESE_iNS9_4plusIiEEiEEDaPvRmT3_T4_T5_mT6_P12ihipStream_tbENKUlT_T0_E_clISt17integral_constantIbLb1EEST_IbLb0EEEEDaSP_SQ_EUlSP_E_NS1_11comp_targetILNS1_3genE5ELNS1_11target_archE942ELNS1_3gpuE9ELNS1_3repE0EEENS1_30default_config_static_selectorELNS0_4arch9wavefront6targetE1EEEvT1_
		.amdhsa_group_segment_fixed_size 0
		.amdhsa_private_segment_fixed_size 0
		.amdhsa_kernarg_size 96
		.amdhsa_user_sgpr_count 6
		.amdhsa_user_sgpr_private_segment_buffer 1
		.amdhsa_user_sgpr_dispatch_ptr 0
		.amdhsa_user_sgpr_queue_ptr 0
		.amdhsa_user_sgpr_kernarg_segment_ptr 1
		.amdhsa_user_sgpr_dispatch_id 0
		.amdhsa_user_sgpr_flat_scratch_init 0
		.amdhsa_user_sgpr_kernarg_preload_length 0
		.amdhsa_user_sgpr_kernarg_preload_offset 0
		.amdhsa_user_sgpr_private_segment_size 0
		.amdhsa_uses_dynamic_stack 0
		.amdhsa_system_sgpr_private_segment_wavefront_offset 0
		.amdhsa_system_sgpr_workgroup_id_x 1
		.amdhsa_system_sgpr_workgroup_id_y 0
		.amdhsa_system_sgpr_workgroup_id_z 0
		.amdhsa_system_sgpr_workgroup_info 0
		.amdhsa_system_vgpr_workitem_id 0
		.amdhsa_next_free_vgpr 1
		.amdhsa_next_free_sgpr 0
		.amdhsa_accum_offset 4
		.amdhsa_reserve_vcc 0
		.amdhsa_reserve_flat_scratch 0
		.amdhsa_float_round_mode_32 0
		.amdhsa_float_round_mode_16_64 0
		.amdhsa_float_denorm_mode_32 3
		.amdhsa_float_denorm_mode_16_64 3
		.amdhsa_dx10_clamp 1
		.amdhsa_ieee_mode 1
		.amdhsa_fp16_overflow 0
		.amdhsa_tg_split 0
		.amdhsa_exception_fp_ieee_invalid_op 0
		.amdhsa_exception_fp_denorm_src 0
		.amdhsa_exception_fp_ieee_div_zero 0
		.amdhsa_exception_fp_ieee_overflow 0
		.amdhsa_exception_fp_ieee_underflow 0
		.amdhsa_exception_fp_ieee_inexact 0
		.amdhsa_exception_int_div_zero 0
	.end_amdhsa_kernel
	.section	.text._ZN7rocprim17ROCPRIM_400000_NS6detail17trampoline_kernelINS0_14default_configENS1_20scan_config_selectorIiEEZZNS1_9scan_implILNS1_25lookback_scan_determinismE0ELb0ELb0ES3_N6thrust23THRUST_200600_302600_NS6detail15normal_iteratorINS9_10device_ptrIiEEEESE_iNS9_4plusIiEEiEEDaPvRmT3_T4_T5_mT6_P12ihipStream_tbENKUlT_T0_E_clISt17integral_constantIbLb1EEST_IbLb0EEEEDaSP_SQ_EUlSP_E_NS1_11comp_targetILNS1_3genE5ELNS1_11target_archE942ELNS1_3gpuE9ELNS1_3repE0EEENS1_30default_config_static_selectorELNS0_4arch9wavefront6targetE1EEEvT1_,"axG",@progbits,_ZN7rocprim17ROCPRIM_400000_NS6detail17trampoline_kernelINS0_14default_configENS1_20scan_config_selectorIiEEZZNS1_9scan_implILNS1_25lookback_scan_determinismE0ELb0ELb0ES3_N6thrust23THRUST_200600_302600_NS6detail15normal_iteratorINS9_10device_ptrIiEEEESE_iNS9_4plusIiEEiEEDaPvRmT3_T4_T5_mT6_P12ihipStream_tbENKUlT_T0_E_clISt17integral_constantIbLb1EEST_IbLb0EEEEDaSP_SQ_EUlSP_E_NS1_11comp_targetILNS1_3genE5ELNS1_11target_archE942ELNS1_3gpuE9ELNS1_3repE0EEENS1_30default_config_static_selectorELNS0_4arch9wavefront6targetE1EEEvT1_,comdat
.Lfunc_end552:
	.size	_ZN7rocprim17ROCPRIM_400000_NS6detail17trampoline_kernelINS0_14default_configENS1_20scan_config_selectorIiEEZZNS1_9scan_implILNS1_25lookback_scan_determinismE0ELb0ELb0ES3_N6thrust23THRUST_200600_302600_NS6detail15normal_iteratorINS9_10device_ptrIiEEEESE_iNS9_4plusIiEEiEEDaPvRmT3_T4_T5_mT6_P12ihipStream_tbENKUlT_T0_E_clISt17integral_constantIbLb1EEST_IbLb0EEEEDaSP_SQ_EUlSP_E_NS1_11comp_targetILNS1_3genE5ELNS1_11target_archE942ELNS1_3gpuE9ELNS1_3repE0EEENS1_30default_config_static_selectorELNS0_4arch9wavefront6targetE1EEEvT1_, .Lfunc_end552-_ZN7rocprim17ROCPRIM_400000_NS6detail17trampoline_kernelINS0_14default_configENS1_20scan_config_selectorIiEEZZNS1_9scan_implILNS1_25lookback_scan_determinismE0ELb0ELb0ES3_N6thrust23THRUST_200600_302600_NS6detail15normal_iteratorINS9_10device_ptrIiEEEESE_iNS9_4plusIiEEiEEDaPvRmT3_T4_T5_mT6_P12ihipStream_tbENKUlT_T0_E_clISt17integral_constantIbLb1EEST_IbLb0EEEEDaSP_SQ_EUlSP_E_NS1_11comp_targetILNS1_3genE5ELNS1_11target_archE942ELNS1_3gpuE9ELNS1_3repE0EEENS1_30default_config_static_selectorELNS0_4arch9wavefront6targetE1EEEvT1_
                                        ; -- End function
	.section	.AMDGPU.csdata,"",@progbits
; Kernel info:
; codeLenInByte = 0
; NumSgprs: 4
; NumVgprs: 0
; NumAgprs: 0
; TotalNumVgprs: 0
; ScratchSize: 0
; MemoryBound: 0
; FloatMode: 240
; IeeeMode: 1
; LDSByteSize: 0 bytes/workgroup (compile time only)
; SGPRBlocks: 0
; VGPRBlocks: 0
; NumSGPRsForWavesPerEU: 4
; NumVGPRsForWavesPerEU: 1
; AccumOffset: 4
; Occupancy: 8
; WaveLimiterHint : 0
; COMPUTE_PGM_RSRC2:SCRATCH_EN: 0
; COMPUTE_PGM_RSRC2:USER_SGPR: 6
; COMPUTE_PGM_RSRC2:TRAP_HANDLER: 0
; COMPUTE_PGM_RSRC2:TGID_X_EN: 1
; COMPUTE_PGM_RSRC2:TGID_Y_EN: 0
; COMPUTE_PGM_RSRC2:TGID_Z_EN: 0
; COMPUTE_PGM_RSRC2:TIDIG_COMP_CNT: 0
; COMPUTE_PGM_RSRC3_GFX90A:ACCUM_OFFSET: 0
; COMPUTE_PGM_RSRC3_GFX90A:TG_SPLIT: 0
	.section	.text._ZN7rocprim17ROCPRIM_400000_NS6detail17trampoline_kernelINS0_14default_configENS1_20scan_config_selectorIiEEZZNS1_9scan_implILNS1_25lookback_scan_determinismE0ELb0ELb0ES3_N6thrust23THRUST_200600_302600_NS6detail15normal_iteratorINS9_10device_ptrIiEEEESE_iNS9_4plusIiEEiEEDaPvRmT3_T4_T5_mT6_P12ihipStream_tbENKUlT_T0_E_clISt17integral_constantIbLb1EEST_IbLb0EEEEDaSP_SQ_EUlSP_E_NS1_11comp_targetILNS1_3genE4ELNS1_11target_archE910ELNS1_3gpuE8ELNS1_3repE0EEENS1_30default_config_static_selectorELNS0_4arch9wavefront6targetE1EEEvT1_,"axG",@progbits,_ZN7rocprim17ROCPRIM_400000_NS6detail17trampoline_kernelINS0_14default_configENS1_20scan_config_selectorIiEEZZNS1_9scan_implILNS1_25lookback_scan_determinismE0ELb0ELb0ES3_N6thrust23THRUST_200600_302600_NS6detail15normal_iteratorINS9_10device_ptrIiEEEESE_iNS9_4plusIiEEiEEDaPvRmT3_T4_T5_mT6_P12ihipStream_tbENKUlT_T0_E_clISt17integral_constantIbLb1EEST_IbLb0EEEEDaSP_SQ_EUlSP_E_NS1_11comp_targetILNS1_3genE4ELNS1_11target_archE910ELNS1_3gpuE8ELNS1_3repE0EEENS1_30default_config_static_selectorELNS0_4arch9wavefront6targetE1EEEvT1_,comdat
	.protected	_ZN7rocprim17ROCPRIM_400000_NS6detail17trampoline_kernelINS0_14default_configENS1_20scan_config_selectorIiEEZZNS1_9scan_implILNS1_25lookback_scan_determinismE0ELb0ELb0ES3_N6thrust23THRUST_200600_302600_NS6detail15normal_iteratorINS9_10device_ptrIiEEEESE_iNS9_4plusIiEEiEEDaPvRmT3_T4_T5_mT6_P12ihipStream_tbENKUlT_T0_E_clISt17integral_constantIbLb1EEST_IbLb0EEEEDaSP_SQ_EUlSP_E_NS1_11comp_targetILNS1_3genE4ELNS1_11target_archE910ELNS1_3gpuE8ELNS1_3repE0EEENS1_30default_config_static_selectorELNS0_4arch9wavefront6targetE1EEEvT1_ ; -- Begin function _ZN7rocprim17ROCPRIM_400000_NS6detail17trampoline_kernelINS0_14default_configENS1_20scan_config_selectorIiEEZZNS1_9scan_implILNS1_25lookback_scan_determinismE0ELb0ELb0ES3_N6thrust23THRUST_200600_302600_NS6detail15normal_iteratorINS9_10device_ptrIiEEEESE_iNS9_4plusIiEEiEEDaPvRmT3_T4_T5_mT6_P12ihipStream_tbENKUlT_T0_E_clISt17integral_constantIbLb1EEST_IbLb0EEEEDaSP_SQ_EUlSP_E_NS1_11comp_targetILNS1_3genE4ELNS1_11target_archE910ELNS1_3gpuE8ELNS1_3repE0EEENS1_30default_config_static_selectorELNS0_4arch9wavefront6targetE1EEEvT1_
	.globl	_ZN7rocprim17ROCPRIM_400000_NS6detail17trampoline_kernelINS0_14default_configENS1_20scan_config_selectorIiEEZZNS1_9scan_implILNS1_25lookback_scan_determinismE0ELb0ELb0ES3_N6thrust23THRUST_200600_302600_NS6detail15normal_iteratorINS9_10device_ptrIiEEEESE_iNS9_4plusIiEEiEEDaPvRmT3_T4_T5_mT6_P12ihipStream_tbENKUlT_T0_E_clISt17integral_constantIbLb1EEST_IbLb0EEEEDaSP_SQ_EUlSP_E_NS1_11comp_targetILNS1_3genE4ELNS1_11target_archE910ELNS1_3gpuE8ELNS1_3repE0EEENS1_30default_config_static_selectorELNS0_4arch9wavefront6targetE1EEEvT1_
	.p2align	8
	.type	_ZN7rocprim17ROCPRIM_400000_NS6detail17trampoline_kernelINS0_14default_configENS1_20scan_config_selectorIiEEZZNS1_9scan_implILNS1_25lookback_scan_determinismE0ELb0ELb0ES3_N6thrust23THRUST_200600_302600_NS6detail15normal_iteratorINS9_10device_ptrIiEEEESE_iNS9_4plusIiEEiEEDaPvRmT3_T4_T5_mT6_P12ihipStream_tbENKUlT_T0_E_clISt17integral_constantIbLb1EEST_IbLb0EEEEDaSP_SQ_EUlSP_E_NS1_11comp_targetILNS1_3genE4ELNS1_11target_archE910ELNS1_3gpuE8ELNS1_3repE0EEENS1_30default_config_static_selectorELNS0_4arch9wavefront6targetE1EEEvT1_,@function
_ZN7rocprim17ROCPRIM_400000_NS6detail17trampoline_kernelINS0_14default_configENS1_20scan_config_selectorIiEEZZNS1_9scan_implILNS1_25lookback_scan_determinismE0ELb0ELb0ES3_N6thrust23THRUST_200600_302600_NS6detail15normal_iteratorINS9_10device_ptrIiEEEESE_iNS9_4plusIiEEiEEDaPvRmT3_T4_T5_mT6_P12ihipStream_tbENKUlT_T0_E_clISt17integral_constantIbLb1EEST_IbLb0EEEEDaSP_SQ_EUlSP_E_NS1_11comp_targetILNS1_3genE4ELNS1_11target_archE910ELNS1_3gpuE8ELNS1_3repE0EEENS1_30default_config_static_selectorELNS0_4arch9wavefront6targetE1EEEvT1_: ; @_ZN7rocprim17ROCPRIM_400000_NS6detail17trampoline_kernelINS0_14default_configENS1_20scan_config_selectorIiEEZZNS1_9scan_implILNS1_25lookback_scan_determinismE0ELb0ELb0ES3_N6thrust23THRUST_200600_302600_NS6detail15normal_iteratorINS9_10device_ptrIiEEEESE_iNS9_4plusIiEEiEEDaPvRmT3_T4_T5_mT6_P12ihipStream_tbENKUlT_T0_E_clISt17integral_constantIbLb1EEST_IbLb0EEEEDaSP_SQ_EUlSP_E_NS1_11comp_targetILNS1_3genE4ELNS1_11target_archE910ELNS1_3gpuE8ELNS1_3repE0EEENS1_30default_config_static_selectorELNS0_4arch9wavefront6targetE1EEEvT1_
; %bb.0:
	s_load_dwordx8 s[8:15], s[4:5], 0x0
	s_load_dword s1, s[4:5], 0x30
	s_mul_i32 s0, s6, 0x500
	v_lshlrev_b32_e32 v22, 2, v0
	s_waitcnt lgkmcnt(0)
	s_lshl_b64 s[16:17], s[10:11], 2
	s_add_u32 s2, s8, s16
	s_addc_u32 s3, s9, s17
	s_add_i32 s7, s1, -1
	s_mul_i32 s8, s7, 0x500
	s_sub_u32 s24, s14, s8
	s_subb_u32 s25, s15, 0
	s_mov_b32 s1, 0
	s_cmp_lg_u32 s6, s7
	s_cselect_b64 s[14:15], -1, 0
	s_lshl_b64 s[18:19], s[0:1], 2
	s_add_u32 s2, s2, s18
	s_addc_u32 s3, s3, s19
	s_mov_b64 s[0:1], -1
	s_and_b64 vcc, exec, s[14:15]
	s_cbranch_vccz .LBB553_2
; %bb.1:
	v_mov_b32_e32 v1, s3
	v_add_co_u32_e32 v2, vcc, s2, v22
	v_addc_co_u32_e32 v3, vcc, 0, v1, vcc
	flat_load_dword v1, v[2:3]
	flat_load_dword v4, v[2:3] offset:512
	flat_load_dword v5, v[2:3] offset:1024
	flat_load_dword v6, v[2:3] offset:1536
	flat_load_dword v7, v[2:3] offset:2048
	flat_load_dword v8, v[2:3] offset:2560
	flat_load_dword v9, v[2:3] offset:3072
	flat_load_dword v10, v[2:3] offset:3584
	v_add_co_u32_e32 v2, vcc, 0x1000, v2
	v_addc_co_u32_e32 v3, vcc, 0, v3, vcc
	flat_load_dword v11, v[2:3]
	flat_load_dword v12, v[2:3] offset:512
	s_mov_b64 s[0:1], 0
	s_waitcnt vmcnt(0) lgkmcnt(0)
	ds_write2st64_b32 v22, v1, v4 offset1:2
	ds_write2st64_b32 v22, v5, v6 offset0:4 offset1:6
	ds_write2st64_b32 v22, v7, v8 offset0:8 offset1:10
	;; [unrolled: 1-line block ×4, first 2 shown]
	s_waitcnt lgkmcnt(0)
	s_barrier
.LBB553_2:
	s_load_dwordx2 s[20:21], s[4:5], 0x28
	s_andn2_b64 vcc, exec, s[0:1]
	v_cmp_gt_u32_e64 s[0:1], s24, v0
	s_cbranch_vccnz .LBB553_24
; %bb.3:
	v_pk_mov_b32 v[2:3], s[2:3], s[2:3] op_sel:[0,1]
	flat_load_dword v1, v[2:3]
	s_waitcnt vmcnt(0) lgkmcnt(0)
	v_mov_b32_e32 v2, v1
	v_mov_b32_e32 v3, v1
	;; [unrolled: 1-line block ×9, first 2 shown]
	s_and_saveexec_b64 s[8:9], s[0:1]
	s_cbranch_execz .LBB553_5
; %bb.4:
	v_mov_b32_e32 v11, s3
	v_add_co_u32_e32 v10, vcc, s2, v22
	v_addc_co_u32_e32 v11, vcc, 0, v11, vcc
	flat_load_dword v10, v[10:11]
.LBB553_5:
	s_or_b64 exec, exec, s[8:9]
	v_or_b32_e32 v11, 0x80, v0
	v_cmp_gt_u32_e32 vcc, s24, v11
	s_and_saveexec_b64 s[0:1], vcc
	s_cbranch_execz .LBB553_7
; %bb.6:
	v_mov_b32_e32 v1, s3
	v_add_co_u32_e32 v12, vcc, s2, v22
	v_addc_co_u32_e32 v13, vcc, 0, v1, vcc
	flat_load_dword v1, v[12:13] offset:512
.LBB553_7:
	s_or_b64 exec, exec, s[0:1]
	v_or_b32_e32 v11, 0x100, v0
	v_cmp_gt_u32_e32 vcc, s24, v11
	s_and_saveexec_b64 s[0:1], vcc
	s_cbranch_execz .LBB553_9
; %bb.8:
	v_mov_b32_e32 v2, s3
	v_add_co_u32_e32 v12, vcc, s2, v22
	v_addc_co_u32_e32 v13, vcc, 0, v2, vcc
	flat_load_dword v2, v[12:13] offset:1024
.LBB553_9:
	;; [unrolled: 11-line block ×7, first 2 shown]
	s_or_b64 exec, exec, s[0:1]
	v_or_b32_e32 v11, 0x400, v0
	v_cmp_gt_u32_e32 vcc, s24, v11
	s_and_saveexec_b64 s[0:1], vcc
	s_cbranch_execz .LBB553_21
; %bb.20:
	v_lshlrev_b32_e32 v8, 2, v11
	v_mov_b32_e32 v11, s3
	v_add_co_u32_e32 v12, vcc, s2, v8
	v_addc_co_u32_e32 v13, vcc, 0, v11, vcc
	flat_load_dword v8, v[12:13]
.LBB553_21:
	s_or_b64 exec, exec, s[0:1]
	v_or_b32_e32 v11, 0x480, v0
	v_cmp_gt_u32_e32 vcc, s24, v11
	s_and_saveexec_b64 s[0:1], vcc
	s_cbranch_execz .LBB553_23
; %bb.22:
	v_lshlrev_b32_e32 v9, 2, v11
	v_mov_b32_e32 v11, s3
	v_add_co_u32_e32 v12, vcc, s2, v9
	v_addc_co_u32_e32 v13, vcc, 0, v11, vcc
	flat_load_dword v9, v[12:13]
.LBB553_23:
	s_or_b64 exec, exec, s[0:1]
	s_waitcnt vmcnt(0) lgkmcnt(0)
	ds_write2st64_b32 v22, v10, v1 offset1:2
	ds_write2st64_b32 v22, v2, v3 offset0:4 offset1:6
	ds_write2st64_b32 v22, v4, v5 offset0:8 offset1:10
	;; [unrolled: 1-line block ×4, first 2 shown]
	s_waitcnt lgkmcnt(0)
	s_barrier
.LBB553_24:
	v_mul_u32_u24_e32 v23, 10, v0
	v_lshlrev_b32_e32 v1, 2, v23
	s_waitcnt lgkmcnt(0)
	ds_read2_b64 v[2:5], v1 offset1:1
	ds_read2_b64 v[16:19], v1 offset0:2 offset1:3
	ds_read_b64 v[20:21], v1 offset:32
	s_cmp_lg_u32 s6, 0
	v_lshrrev_b32_e32 v24, 5, v0
	v_cmp_gt_u32_e32 vcc, 64, v0
	s_waitcnt lgkmcnt(0)
	s_barrier
	s_cbranch_scc0 .LBB553_53
; %bb.25:
	v_add_u32_e32 v6, v3, v2
	v_add3_u32 v6, v6, v4, v5
	v_add3_u32 v6, v6, v16, v17
	;; [unrolled: 1-line block ×4, first 2 shown]
	v_add_lshl_u32 v7, v24, v0, 2
	ds_write_b32 v7, v6
	s_waitcnt lgkmcnt(0)
	s_barrier
	s_and_saveexec_b64 s[2:3], vcc
	s_cbranch_execz .LBB553_27
; %bb.26:
	v_lshlrev_b32_e32 v7, 1, v0
	v_lshrrev_b32_e32 v8, 4, v0
	v_add_lshl_u32 v7, v8, v7, 2
	ds_read2_b32 v[8:9], v7 offset1:1
	v_mbcnt_lo_u32_b32 v10, -1, 0
	v_mbcnt_hi_u32_b32 v10, -1, v10
	v_and_b32_e32 v11, 15, v10
	v_cmp_ne_u32_e64 s[0:1], 0, v11
	s_waitcnt lgkmcnt(0)
	v_add_u32_e32 v9, v9, v8
	; wave barrier
	s_nop 1
	v_mov_b32_dpp v12, v9 row_shr:1 row_mask:0xf bank_mask:0xf
	v_cndmask_b32_e64 v12, 0, v12, s[0:1]
	v_add_u32_e32 v9, v12, v9
	v_cmp_lt_u32_e64 s[0:1], 1, v11
	s_nop 0
	v_mov_b32_dpp v12, v9 row_shr:2 row_mask:0xf bank_mask:0xf
	v_cndmask_b32_e64 v12, 0, v12, s[0:1]
	v_add_u32_e32 v9, v9, v12
	v_cmp_lt_u32_e64 s[0:1], 3, v11
	;; [unrolled: 5-line block ×3, first 2 shown]
	s_nop 0
	v_mov_b32_dpp v12, v9 row_shr:8 row_mask:0xf bank_mask:0xf
	v_cndmask_b32_e64 v11, 0, v12, s[0:1]
	v_add_u32_e32 v9, v9, v11
	v_bfe_i32 v12, v10, 4, 1
	v_cmp_lt_u32_e64 s[0:1], 31, v10
	v_mov_b32_dpp v11, v9 row_bcast:15 row_mask:0xf bank_mask:0xf
	v_and_b32_e32 v11, v12, v11
	v_add_u32_e32 v9, v9, v11
	v_and_b32_e32 v12, 64, v10
	s_nop 0
	v_mov_b32_dpp v11, v9 row_bcast:31 row_mask:0xf bank_mask:0xf
	v_cndmask_b32_e64 v11, 0, v11, s[0:1]
	v_add_u32_e32 v9, v9, v11
	v_add_u32_e32 v11, -1, v10
	v_cmp_lt_i32_e64 s[0:1], v11, v12
	v_cndmask_b32_e64 v10, v11, v10, s[0:1]
	v_lshlrev_b32_e32 v10, 2, v10
	ds_bpermute_b32 v9, v10, v9
	v_cmp_eq_u32_e64 s[0:1], 0, v0
	s_waitcnt lgkmcnt(0)
	v_add_u32_e32 v8, v9, v8
	v_cndmask_b32_e64 v6, v8, v6, s[0:1]
	ds_write_b32 v7, v6
	; wave barrier
	ds_read_b32 v8, v7 offset:4
	s_waitcnt lgkmcnt(0)
	v_add_u32_e32 v6, v8, v6
	ds_write_b32 v7, v6 offset:4
.LBB553_27:
	s_or_b64 exec, exec, s[2:3]
	v_cmp_eq_u32_e64 s[0:1], 0, v0
	v_cmp_ne_u32_e64 s[2:3], 0, v0
	v_mov_b32_e32 v25, 0
	s_waitcnt lgkmcnt(0)
	s_barrier
	s_and_saveexec_b64 s[8:9], s[2:3]
	s_cbranch_execz .LBB553_29
; %bb.28:
	v_add_u32_e32 v6, -1, v0
	v_lshrrev_b32_e32 v7, 5, v6
	v_add_lshl_u32 v6, v7, v6, 2
	ds_read_b32 v25, v6
.LBB553_29:
	s_or_b64 exec, exec, s[8:9]
	s_and_saveexec_b64 s[8:9], vcc
	s_cbranch_execz .LBB553_52
; %bb.30:
	v_mov_b32_e32 v15, 0
	ds_read_b32 v6, v15 offset:520
	v_mbcnt_lo_u32_b32 v7, -1, 0
	v_mbcnt_hi_u32_b32 v9, -1, v7
	s_mov_b32 s23, 0
	v_cmp_eq_u32_e64 s[2:3], 0, v9
	s_and_saveexec_b64 s[10:11], s[2:3]
	s_cbranch_execz .LBB553_32
; %bb.31:
	s_add_i32 s22, s6, 64
	s_lshl_b64 s[22:23], s[22:23], 3
	s_add_u32 s22, s20, s22
	v_mov_b32_e32 v7, 1
	s_addc_u32 s23, s21, s23
	s_waitcnt lgkmcnt(0)
	global_store_dwordx2 v15, v[6:7], s[22:23]
.LBB553_32:
	s_or_b64 exec, exec, s[10:11]
	v_xad_u32 v8, v9, -1, s6
	v_add_u32_e32 v14, 64, v8
	v_lshlrev_b64 v[10:11], 3, v[14:15]
	v_mov_b32_e32 v7, s21
	v_add_co_u32_e32 v10, vcc, s20, v10
	v_addc_co_u32_e32 v11, vcc, v7, v11, vcc
	global_load_dwordx2 v[12:13], v[10:11], off glc
	s_waitcnt vmcnt(0)
	v_cmp_eq_u16_sdwa s[22:23], v13, v15 src0_sel:BYTE_0 src1_sel:DWORD
	s_and_saveexec_b64 s[10:11], s[22:23]
	s_cbranch_execz .LBB553_38
; %bb.33:
	s_mov_b32 s7, 1
	s_mov_b64 s[22:23], 0
	v_mov_b32_e32 v7, 0
.LBB553_34:                             ; =>This Loop Header: Depth=1
                                        ;     Child Loop BB553_35 Depth 2
	s_max_u32 s26, s7, 1
.LBB553_35:                             ;   Parent Loop BB553_34 Depth=1
                                        ; =>  This Inner Loop Header: Depth=2
	s_add_i32 s26, s26, -1
	s_cmp_eq_u32 s26, 0
	s_sleep 1
	s_cbranch_scc0 .LBB553_35
; %bb.36:                               ;   in Loop: Header=BB553_34 Depth=1
	global_load_dwordx2 v[12:13], v[10:11], off glc
	s_cmp_lt_u32 s7, 32
	s_cselect_b64 s[26:27], -1, 0
	s_cmp_lg_u64 s[26:27], 0
	s_addc_u32 s7, s7, 0
	s_waitcnt vmcnt(0)
	v_cmp_ne_u16_sdwa s[26:27], v13, v7 src0_sel:BYTE_0 src1_sel:DWORD
	s_or_b64 s[22:23], s[26:27], s[22:23]
	s_andn2_b64 exec, exec, s[22:23]
	s_cbranch_execnz .LBB553_34
; %bb.37:
	s_or_b64 exec, exec, s[22:23]
.LBB553_38:
	s_or_b64 exec, exec, s[10:11]
	v_and_b32_e32 v26, 63, v9
	v_mov_b32_e32 v7, 2
	v_cmp_ne_u32_e32 vcc, 63, v26
	v_cmp_eq_u16_sdwa s[10:11], v13, v7 src0_sel:BYTE_0 src1_sel:DWORD
	v_lshlrev_b64 v[10:11], v9, -1
	v_addc_co_u32_e32 v27, vcc, 0, v9, vcc
	v_and_b32_e32 v14, s11, v11
	v_lshlrev_b32_e32 v27, 2, v27
	v_or_b32_e32 v14, 0x80000000, v14
	ds_bpermute_b32 v28, v27, v12
	v_and_b32_e32 v15, s10, v10
	v_ffbl_b32_e32 v14, v14
	v_add_u32_e32 v14, 32, v14
	v_ffbl_b32_e32 v15, v15
	v_min_u32_e32 v14, v15, v14
	v_cmp_lt_u32_e32 vcc, v26, v14
	s_waitcnt lgkmcnt(0)
	v_cndmask_b32_e32 v15, 0, v28, vcc
	v_cmp_gt_u32_e32 vcc, 62, v26
	v_add_u32_e32 v12, v15, v12
	v_cndmask_b32_e64 v15, 0, 1, vcc
	v_lshlrev_b32_e32 v15, 1, v15
	v_add_lshl_u32 v28, v15, v9, 2
	ds_bpermute_b32 v15, v28, v12
	v_add_u32_e32 v29, 2, v26
	v_cmp_le_u32_e32 vcc, v29, v14
	v_add_u32_e32 v31, 4, v26
	v_add_u32_e32 v33, 8, v26
	s_waitcnt lgkmcnt(0)
	v_cndmask_b32_e32 v15, 0, v15, vcc
	v_cmp_gt_u32_e32 vcc, 60, v26
	v_add_u32_e32 v12, v12, v15
	v_cndmask_b32_e64 v15, 0, 1, vcc
	v_lshlrev_b32_e32 v15, 2, v15
	v_add_lshl_u32 v30, v15, v9, 2
	ds_bpermute_b32 v15, v30, v12
	v_cmp_le_u32_e32 vcc, v31, v14
	v_add_u32_e32 v36, 16, v26
	v_add_u32_e32 v38, 32, v26
	s_waitcnt lgkmcnt(0)
	v_cndmask_b32_e32 v15, 0, v15, vcc
	v_cmp_gt_u32_e32 vcc, 56, v26
	v_add_u32_e32 v12, v12, v15
	v_cndmask_b32_e64 v15, 0, 1, vcc
	v_lshlrev_b32_e32 v15, 3, v15
	v_add_lshl_u32 v32, v15, v9, 2
	ds_bpermute_b32 v15, v32, v12
	v_cmp_le_u32_e32 vcc, v33, v14
	s_waitcnt lgkmcnt(0)
	v_cndmask_b32_e32 v15, 0, v15, vcc
	v_cmp_gt_u32_e32 vcc, 48, v26
	v_add_u32_e32 v12, v12, v15
	v_cndmask_b32_e64 v15, 0, 1, vcc
	v_lshlrev_b32_e32 v15, 4, v15
	v_add_lshl_u32 v35, v15, v9, 2
	ds_bpermute_b32 v15, v35, v12
	v_cmp_le_u32_e32 vcc, v36, v14
	;; [unrolled: 9-line block ×3, first 2 shown]
	s_waitcnt lgkmcnt(0)
	v_cndmask_b32_e32 v9, 0, v9, vcc
	v_add_u32_e32 v12, v12, v9
	v_mov_b32_e32 v9, 0
	s_branch .LBB553_40
.LBB553_39:                             ;   in Loop: Header=BB553_40 Depth=1
	s_or_b64 exec, exec, s[10:11]
	v_cmp_eq_u16_sdwa s[10:11], v13, v7 src0_sel:BYTE_0 src1_sel:DWORD
	v_and_b32_e32 v14, s11, v11
	v_or_b32_e32 v14, 0x80000000, v14
	ds_bpermute_b32 v39, v27, v12
	v_and_b32_e32 v15, s10, v10
	v_ffbl_b32_e32 v14, v14
	v_add_u32_e32 v14, 32, v14
	v_ffbl_b32_e32 v15, v15
	v_min_u32_e32 v14, v15, v14
	v_cmp_lt_u32_e32 vcc, v26, v14
	s_waitcnt lgkmcnt(0)
	v_cndmask_b32_e32 v15, 0, v39, vcc
	v_add_u32_e32 v12, v15, v12
	ds_bpermute_b32 v15, v28, v12
	v_cmp_le_u32_e32 vcc, v29, v14
	v_subrev_u32_e32 v8, 64, v8
	s_waitcnt lgkmcnt(0)
	v_cndmask_b32_e32 v15, 0, v15, vcc
	v_add_u32_e32 v12, v12, v15
	ds_bpermute_b32 v15, v30, v12
	v_cmp_le_u32_e32 vcc, v31, v14
	s_waitcnt lgkmcnt(0)
	v_cndmask_b32_e32 v15, 0, v15, vcc
	v_add_u32_e32 v12, v12, v15
	ds_bpermute_b32 v15, v32, v12
	v_cmp_le_u32_e32 vcc, v33, v14
	;; [unrolled: 5-line block ×4, first 2 shown]
	s_waitcnt lgkmcnt(0)
	v_cndmask_b32_e32 v14, 0, v15, vcc
	v_add3_u32 v12, v14, v34, v12
.LBB553_40:                             ; =>This Loop Header: Depth=1
                                        ;     Child Loop BB553_43 Depth 2
                                        ;       Child Loop BB553_44 Depth 3
	v_cmp_ne_u16_sdwa s[10:11], v13, v7 src0_sel:BYTE_0 src1_sel:DWORD
	v_cndmask_b32_e64 v13, 0, 1, s[10:11]
	;;#ASMSTART
	;;#ASMEND
	v_cmp_ne_u32_e32 vcc, 0, v13
	s_cmp_lg_u64 vcc, exec
	v_mov_b32_e32 v34, v12
	s_cbranch_scc1 .LBB553_47
; %bb.41:                               ;   in Loop: Header=BB553_40 Depth=1
	v_lshlrev_b64 v[12:13], 3, v[8:9]
	v_mov_b32_e32 v15, s21
	v_add_co_u32_e32 v14, vcc, s20, v12
	v_addc_co_u32_e32 v15, vcc, v15, v13, vcc
	global_load_dwordx2 v[12:13], v[14:15], off glc
	s_waitcnt vmcnt(0)
	v_cmp_eq_u16_sdwa s[22:23], v13, v9 src0_sel:BYTE_0 src1_sel:DWORD
	s_and_saveexec_b64 s[10:11], s[22:23]
	s_cbranch_execz .LBB553_39
; %bb.42:                               ;   in Loop: Header=BB553_40 Depth=1
	s_mov_b32 s7, 1
	s_mov_b64 s[22:23], 0
.LBB553_43:                             ;   Parent Loop BB553_40 Depth=1
                                        ; =>  This Loop Header: Depth=2
                                        ;       Child Loop BB553_44 Depth 3
	s_max_u32 s26, s7, 1
.LBB553_44:                             ;   Parent Loop BB553_40 Depth=1
                                        ;     Parent Loop BB553_43 Depth=2
                                        ; =>    This Inner Loop Header: Depth=3
	s_add_i32 s26, s26, -1
	s_cmp_eq_u32 s26, 0
	s_sleep 1
	s_cbranch_scc0 .LBB553_44
; %bb.45:                               ;   in Loop: Header=BB553_43 Depth=2
	global_load_dwordx2 v[12:13], v[14:15], off glc
	s_cmp_lt_u32 s7, 32
	s_cselect_b64 s[26:27], -1, 0
	s_cmp_lg_u64 s[26:27], 0
	s_addc_u32 s7, s7, 0
	s_waitcnt vmcnt(0)
	v_cmp_ne_u16_sdwa s[26:27], v13, v9 src0_sel:BYTE_0 src1_sel:DWORD
	s_or_b64 s[22:23], s[26:27], s[22:23]
	s_andn2_b64 exec, exec, s[22:23]
	s_cbranch_execnz .LBB553_43
; %bb.46:                               ;   in Loop: Header=BB553_40 Depth=1
	s_or_b64 exec, exec, s[22:23]
	s_branch .LBB553_39
.LBB553_47:                             ;   in Loop: Header=BB553_40 Depth=1
                                        ; implicit-def: $vgpr12
                                        ; implicit-def: $vgpr13
	s_cbranch_execz .LBB553_40
; %bb.48:
	s_and_saveexec_b64 s[10:11], s[2:3]
	s_cbranch_execz .LBB553_50
; %bb.49:
	s_add_i32 s2, s6, 64
	s_mov_b32 s3, 0
	s_lshl_b64 s[2:3], s[2:3], 3
	s_add_u32 s2, s20, s2
	v_add_u32_e32 v6, v34, v6
	v_mov_b32_e32 v7, 2
	s_addc_u32 s3, s21, s3
	v_mov_b32_e32 v8, 0
	global_store_dwordx2 v8, v[6:7], s[2:3]
.LBB553_50:
	s_or_b64 exec, exec, s[10:11]
	s_and_b64 exec, exec, s[0:1]
	s_cbranch_execz .LBB553_52
; %bb.51:
	v_mov_b32_e32 v6, 0
	ds_write_b32 v6, v34
.LBB553_52:
	s_or_b64 exec, exec, s[8:9]
	v_mov_b32_e32 v6, 0
	s_waitcnt lgkmcnt(0)
	s_barrier
	ds_read_b32 v6, v6
	s_waitcnt lgkmcnt(0)
	v_add3_u32 v6, v25, v2, v6
	v_add_u32_e32 v7, v6, v3
	v_add_u32_e32 v8, v7, v4
	;; [unrolled: 1-line block ×9, first 2 shown]
	s_load_dwordx8 s[4:11], s[4:5], 0x38
	s_branch .LBB553_65
.LBB553_53:
                                        ; implicit-def: $vgpr6_vgpr7_vgpr8_vgpr9_vgpr10_vgpr11_vgpr12_vgpr13_vgpr14_vgpr15
	s_load_dwordx8 s[4:11], s[4:5], 0x38
	s_cbranch_execz .LBB553_65
; %bb.54:
	s_waitcnt lgkmcnt(0)
	s_cmp_lg_u64 s[8:9], 0
	s_cselect_b64 s[2:3], -1, 0
	v_cmp_eq_u32_e64 s[0:1], 0, v0
	v_cmp_ne_u32_e32 vcc, 0, v0
	s_and_b64 s[8:9], s[0:1], s[2:3]
	v_mov_b32_e32 v12, v3
	v_mov_b32_e32 v13, v4
	;; [unrolled: 1-line block ×3, first 2 shown]
	s_and_saveexec_b64 s[2:3], s[8:9]
	s_cbranch_execz .LBB553_56
; %bb.55:
	v_mov_b32_e32 v6, 0
	global_load_dword v6, v6, s[4:5]
	v_mov_b32_e32 v12, v3
	v_mov_b32_e32 v13, v4
	v_mov_b32_e32 v14, v5
	s_waitcnt vmcnt(0)
	v_add_u32_e32 v2, v6, v2
.LBB553_56:
	s_or_b64 exec, exec, s[2:3]
	v_add_u32_e32 v3, v12, v2
	v_add_u32_e32 v4, v3, v13
	;; [unrolled: 1-line block ×9, first 2 shown]
	v_add_lshl_u32 v15, v24, v0, 2
	v_cmp_gt_u32_e64 s[2:3], 64, v0
	ds_write_b32 v15, v11
	s_waitcnt lgkmcnt(0)
	s_barrier
	s_and_saveexec_b64 s[4:5], s[2:3]
	s_cbranch_execz .LBB553_58
; %bb.57:
	v_lshlrev_b32_e32 v15, 1, v0
	v_lshrrev_b32_e32 v24, 4, v0
	v_add_lshl_u32 v15, v24, v15, 2
	ds_read2_b32 v[24:25], v15 offset1:1
	v_mbcnt_lo_u32_b32 v26, -1, 0
	v_mbcnt_hi_u32_b32 v26, -1, v26
	v_and_b32_e32 v27, 15, v26
	v_cmp_ne_u32_e64 s[2:3], 0, v27
	s_waitcnt lgkmcnt(0)
	v_add_u32_e32 v25, v25, v24
	; wave barrier
	s_nop 1
	v_mov_b32_dpp v28, v25 row_shr:1 row_mask:0xf bank_mask:0xf
	v_cndmask_b32_e64 v28, 0, v28, s[2:3]
	v_add_u32_e32 v25, v28, v25
	v_cmp_lt_u32_e64 s[2:3], 1, v27
	s_nop 0
	v_mov_b32_dpp v28, v25 row_shr:2 row_mask:0xf bank_mask:0xf
	v_cndmask_b32_e64 v28, 0, v28, s[2:3]
	v_add_u32_e32 v25, v25, v28
	v_cmp_lt_u32_e64 s[2:3], 3, v27
	s_nop 0
	v_mov_b32_dpp v28, v25 row_shr:4 row_mask:0xf bank_mask:0xf
	v_cndmask_b32_e64 v28, 0, v28, s[2:3]
	v_add_u32_e32 v25, v25, v28
	v_cmp_lt_u32_e64 s[2:3], 7, v27
	s_nop 0
	v_mov_b32_dpp v28, v25 row_shr:8 row_mask:0xf bank_mask:0xf
	v_cndmask_b32_e64 v27, 0, v28, s[2:3]
	v_add_u32_e32 v25, v25, v27
	v_bfe_i32 v28, v26, 4, 1
	v_cmp_lt_u32_e64 s[2:3], 31, v26
	v_mov_b32_dpp v27, v25 row_bcast:15 row_mask:0xf bank_mask:0xf
	v_and_b32_e32 v27, v28, v27
	v_add_u32_e32 v25, v25, v27
	v_and_b32_e32 v28, 64, v26
	s_nop 0
	v_mov_b32_dpp v27, v25 row_bcast:31 row_mask:0xf bank_mask:0xf
	v_cndmask_b32_e64 v27, 0, v27, s[2:3]
	v_add_u32_e32 v25, v25, v27
	v_add_u32_e32 v27, -1, v26
	v_cmp_lt_i32_e64 s[2:3], v27, v28
	v_cndmask_b32_e64 v26, v27, v26, s[2:3]
	v_lshlrev_b32_e32 v26, 2, v26
	ds_bpermute_b32 v25, v26, v25
	s_waitcnt lgkmcnt(0)
	v_add_u32_e32 v24, v25, v24
	v_cndmask_b32_e64 v24, v24, v11, s[0:1]
	ds_write_b32 v15, v24
	; wave barrier
	ds_read_b32 v25, v15 offset:4
	s_waitcnt lgkmcnt(0)
	v_add_u32_e32 v24, v25, v24
	ds_write_b32 v15, v24 offset:4
.LBB553_58:
	s_or_b64 exec, exec, s[4:5]
	v_mov_b32_e32 v15, v11
	s_waitcnt lgkmcnt(0)
	s_barrier
	s_and_saveexec_b64 s[0:1], vcc
	s_cbranch_execz .LBB553_60
; %bb.59:
	v_add_u32_e32 v15, -1, v0
	v_lshrrev_b32_e32 v24, 5, v15
	v_add_lshl_u32 v15, v24, v15, 2
	ds_read_b32 v15, v15
.LBB553_60:
	s_or_b64 exec, exec, s[0:1]
	s_and_saveexec_b64 s[0:1], vcc
	s_cbranch_execz .LBB553_62
; %bb.61:
	s_waitcnt lgkmcnt(0)
	v_add_u32_e32 v2, v15, v2
	v_add_u32_e32 v3, v2, v12
	;; [unrolled: 1-line block ×10, first 2 shown]
	;;#ASMSTART
	;;#ASMEND
.LBB553_62:
	s_or_b64 exec, exec, s[0:1]
	s_movk_i32 s0, 0x7f
	v_cmp_eq_u32_e32 vcc, s0, v0
	s_and_saveexec_b64 s[0:1], vcc
	s_cbranch_execz .LBB553_64
; %bb.63:
	v_mov_b32_e32 v14, 0
	v_mov_b32_e32 v13, 2
	;; [unrolled: 1-line block ×3, first 2 shown]
	global_store_dwordx2 v14, v[12:13], s[20:21] offset:512
.LBB553_64:
	s_or_b64 exec, exec, s[0:1]
	s_waitcnt lgkmcnt(0)
	v_pk_mov_b32 v[14:15], v[10:11], v[10:11] op_sel:[0,1]
	v_pk_mov_b32 v[12:13], v[8:9], v[8:9] op_sel:[0,1]
	;; [unrolled: 1-line block ×5, first 2 shown]
.LBB553_65:
	s_add_u32 s0, s12, s16
	s_addc_u32 s1, s13, s17
	s_add_u32 s2, s0, s18
	s_addc_u32 s3, s1, s19
	s_mov_b64 s[0:1], -1
	s_and_b64 vcc, exec, s[14:15]
	s_waitcnt lgkmcnt(0)
	s_barrier
	s_cbranch_vccz .LBB553_67
; %bb.66:
	ds_write2_b64 v1, v[6:7], v[8:9] offset1:1
	ds_write2_b64 v1, v[10:11], v[12:13] offset0:2 offset1:3
	ds_write_b64 v1, v[14:15] offset:32
	s_waitcnt lgkmcnt(0)
	s_barrier
	ds_read2st64_b32 v[2:3], v22 offset1:2
	ds_read2st64_b32 v[4:5], v22 offset0:4 offset1:6
	ds_read2st64_b32 v[16:17], v22 offset0:8 offset1:10
	;; [unrolled: 1-line block ×4, first 2 shown]
	v_mov_b32_e32 v25, s3
	v_add_co_u32_e32 v24, vcc, s2, v22
	v_addc_co_u32_e32 v25, vcc, 0, v25, vcc
	s_waitcnt lgkmcnt(4)
	flat_store_dword v[24:25], v2
	flat_store_dword v[24:25], v3 offset:512
	s_waitcnt lgkmcnt(0)
	flat_store_dword v[24:25], v4 offset:1024
	flat_store_dword v[24:25], v5 offset:1536
	;; [unrolled: 1-line block ×6, first 2 shown]
	v_add_co_u32_e32 v2, vcc, 0x1000, v24
	v_addc_co_u32_e32 v3, vcc, 0, v25, vcc
	flat_store_dword v[2:3], v20
	flat_store_dword v[2:3], v21 offset:512
	s_mov_b64 s[0:1], 0
.LBB553_67:
	s_andn2_b64 vcc, exec, s[0:1]
	s_cbranch_vccnz .LBB553_123
; %bb.68:
	ds_write2_b64 v1, v[6:7], v[8:9] offset1:1
	ds_write2_b64 v1, v[10:11], v[12:13] offset0:2 offset1:3
	ds_write_b64 v1, v[14:15] offset:32
	s_waitcnt lgkmcnt(0)
	s_barrier
	ds_read2st64_b32 v[2:3], v22 offset1:2
	ds_read2st64_b32 v[6:7], v22 offset0:4 offset1:6
	ds_read2st64_b32 v[4:5], v22 offset0:8 offset1:10
	;; [unrolled: 1-line block ×4, first 2 shown]
	v_mov_b32_e32 v13, s3
	v_add_co_u32_e32 v12, vcc, s2, v22
	v_addc_co_u32_e32 v13, vcc, 0, v13, vcc
	v_mov_b32_e32 v1, 0
	v_cmp_gt_u32_e32 vcc, s24, v0
	s_and_saveexec_b64 s[0:1], vcc
	s_cbranch_execz .LBB553_70
; %bb.69:
	s_waitcnt lgkmcnt(0)
	flat_store_dword v[12:13], v2
.LBB553_70:
	s_or_b64 exec, exec, s[0:1]
	v_or_b32_e32 v14, 0x80, v0
	v_cmp_gt_u32_e32 vcc, s24, v14
	s_and_saveexec_b64 s[0:1], vcc
	s_cbranch_execz .LBB553_72
; %bb.71:
	s_waitcnt lgkmcnt(0)
	flat_store_dword v[12:13], v3 offset:512
.LBB553_72:
	s_or_b64 exec, exec, s[0:1]
	v_or_b32_e32 v14, 0x100, v0
	v_cmp_gt_u32_e32 vcc, s24, v14
	s_and_saveexec_b64 s[0:1], vcc
	s_cbranch_execz .LBB553_74
; %bb.73:
	s_waitcnt lgkmcnt(0)
	flat_store_dword v[12:13], v6 offset:1024
.LBB553_74:
	;; [unrolled: 9-line block ×7, first 2 shown]
	s_or_b64 exec, exec, s[0:1]
	v_or_b32_e32 v14, 0x400, v0
	v_cmp_gt_u32_e32 vcc, s24, v14
	s_and_saveexec_b64 s[0:1], vcc
	s_cbranch_execz .LBB553_86
; %bb.85:
	v_add_co_u32_e32 v14, vcc, 0x1000, v12
	v_addc_co_u32_e32 v15, vcc, 0, v13, vcc
	s_waitcnt lgkmcnt(0)
	flat_store_dword v[14:15], v10
.LBB553_86:
	s_or_b64 exec, exec, s[0:1]
	v_or_b32_e32 v14, 0x480, v0
	v_cmp_gt_u32_e32 vcc, s24, v14
	s_and_saveexec_b64 s[0:1], vcc
	s_cbranch_execz .LBB553_88
; %bb.87:
	v_add_co_u32_e32 v12, vcc, 0x1000, v12
	v_addc_co_u32_e32 v13, vcc, 0, v13, vcc
	s_waitcnt lgkmcnt(0)
	flat_store_dword v[12:13], v11 offset:512
.LBB553_88:
	s_or_b64 exec, exec, s[0:1]
	v_cmp_lt_u64_e64 s[0:1], s[10:11], 2
	s_and_b64 vcc, exec, s[0:1]
	s_cbranch_vccnz .LBB553_123
; %bb.89:
	s_add_u32 s0, s24, -1
	s_addc_u32 s1, s25, -1
	s_add_u32 s2, 0, 0x99986000
	s_addc_u32 s3, 0, 0x59
	s_add_i32 s3, s3, 0x19999940
	s_mul_hi_u32 s9, s2, -10
	s_sub_i32 s9, s9, s2
	s_mul_i32 s10, s3, -10
	s_mul_i32 s4, s2, -10
	s_add_i32 s9, s9, s10
	s_mul_hi_u32 s5, s3, s4
	s_mul_i32 s8, s3, s4
	s_mul_i32 s11, s2, s9
	s_mul_hi_u32 s4, s2, s4
	s_mul_hi_u32 s10, s2, s9
	s_add_u32 s4, s4, s11
	s_addc_u32 s10, 0, s10
	s_add_u32 s4, s4, s8
	s_mul_hi_u32 s11, s3, s9
	s_addc_u32 s4, s10, s5
	s_addc_u32 s5, s11, 0
	s_mul_i32 s8, s3, s9
	s_add_u32 s4, s4, s8
	v_mov_b32_e32 v12, s4
	s_addc_u32 s5, 0, s5
	v_add_co_u32_e32 v12, vcc, s2, v12
	s_cmp_lg_u64 vcc, 0
	s_addc_u32 s2, s3, s5
	v_readfirstlane_b32 s5, v12
	s_mul_i32 s4, s0, s2
	s_mul_hi_u32 s8, s0, s5
	s_mul_hi_u32 s3, s0, s2
	s_add_u32 s4, s8, s4
	s_addc_u32 s3, 0, s3
	s_mul_hi_u32 s9, s1, s5
	s_mul_i32 s5, s1, s5
	s_add_u32 s4, s4, s5
	s_mul_hi_u32 s8, s1, s2
	s_addc_u32 s3, s3, s9
	s_addc_u32 s4, s8, 0
	s_mul_i32 s2, s1, s2
	s_add_u32 s2, s3, s2
	s_addc_u32 s3, 0, s4
	s_add_u32 s4, s2, 1
	s_addc_u32 s5, s3, 0
	s_add_u32 s8, s2, 2
	s_mul_i32 s10, s3, 10
	s_mul_hi_u32 s11, s2, 10
	s_addc_u32 s9, s3, 0
	s_add_i32 s11, s11, s10
	s_mul_i32 s10, s2, 10
	v_mov_b32_e32 v12, s10
	v_sub_co_u32_e32 v12, vcc, s0, v12
	s_cmp_lg_u64 vcc, 0
	s_subb_u32 s10, s1, s11
	v_subrev_co_u32_e32 v13, vcc, 10, v12
	s_cmp_lg_u64 vcc, 0
	s_subb_u32 s11, s10, 0
	v_readfirstlane_b32 s12, v13
	s_cmp_gt_u32 s12, 9
	s_cselect_b32 s12, -1, 0
	s_cmp_eq_u32 s11, 0
	s_cselect_b32 s11, s12, -1
	s_cmp_lg_u32 s11, 0
	s_cselect_b32 s4, s8, s4
	v_readfirstlane_b32 s8, v12
	s_cselect_b32 s5, s9, s5
	s_cmp_gt_u32 s8, 9
	s_cselect_b32 s8, -1, 0
	s_cmp_eq_u32 s10, 0
	s_cselect_b32 s8, s8, -1
	s_cmp_lg_u32 s8, 0
	s_cselect_b32 s3, s5, s3
	s_cselect_b32 s2, s4, s2
	v_cmp_eq_u64_e32 vcc, s[2:3], v[0:1]
	s_and_saveexec_b64 s[2:3], vcc
	s_cbranch_execz .LBB553_123
; %bb.90:
	v_mul_hi_u32_u24_e32 v1, 10, v0
	v_mov_b32_e32 v12, s1
	v_sub_co_u32_e32 v0, vcc, s0, v23
	v_subb_co_u32_e32 v1, vcc, v12, v1, vcc
	v_cmp_lt_i64_e32 vcc, 4, v[0:1]
	s_and_saveexec_b64 s[0:1], vcc
	s_xor_b64 s[0:1], exec, s[0:1]
	s_cbranch_execz .LBB553_108
; %bb.91:
	v_cmp_lt_i64_e32 vcc, 6, v[0:1]
	s_and_saveexec_b64 s[2:3], vcc
	s_xor_b64 s[2:3], exec, s[2:3]
	s_cbranch_execz .LBB553_101
; %bb.92:
	;; [unrolled: 5-line block ×4, first 2 shown]
	v_mov_b32_e32 v0, 0
	s_waitcnt lgkmcnt(0)
	global_store_dword v0, v11, s[6:7]
                                        ; implicit-def: $vgpr10_vgpr11
.LBB553_95:
	s_andn2_saveexec_b64 s[8:9], s[8:9]
	s_cbranch_execz .LBB553_97
; %bb.96:
	v_mov_b32_e32 v0, 0
	s_waitcnt lgkmcnt(0)
	global_store_dword v0, v10, s[6:7]
.LBB553_97:
	s_or_b64 exec, exec, s[8:9]
                                        ; implicit-def: $vgpr8_vgpr9
.LBB553_98:
	s_andn2_saveexec_b64 s[4:5], s[4:5]
	s_cbranch_execz .LBB553_100
; %bb.99:
	v_mov_b32_e32 v0, 0
	s_waitcnt lgkmcnt(0)
	global_store_dword v0, v9, s[6:7]
.LBB553_100:
	s_or_b64 exec, exec, s[4:5]
                                        ; implicit-def: $vgpr4_vgpr5
                                        ; implicit-def: $vgpr0_vgpr1
                                        ; implicit-def: $vgpr8_vgpr9
.LBB553_101:
	s_andn2_saveexec_b64 s[2:3], s[2:3]
	s_cbranch_execz .LBB553_107
; %bb.102:
	v_cmp_lt_i64_e32 vcc, 5, v[0:1]
	s_and_saveexec_b64 s[4:5], vcc
	s_xor_b64 s[4:5], exec, s[4:5]
	s_cbranch_execz .LBB553_104
; %bb.103:
	v_mov_b32_e32 v0, 0
	s_waitcnt lgkmcnt(0)
	global_store_dword v0, v8, s[6:7]
                                        ; implicit-def: $vgpr4_vgpr5
.LBB553_104:
	s_andn2_saveexec_b64 s[4:5], s[4:5]
	s_cbranch_execz .LBB553_106
; %bb.105:
	v_mov_b32_e32 v0, 0
	s_waitcnt lgkmcnt(0)
	global_store_dword v0, v5, s[6:7]
.LBB553_106:
	s_or_b64 exec, exec, s[4:5]
.LBB553_107:
	s_or_b64 exec, exec, s[2:3]
                                        ; implicit-def: $vgpr0_vgpr1
                                        ; implicit-def: $vgpr6_vgpr7
                                        ; implicit-def: $vgpr2_vgpr3
                                        ; implicit-def: $vgpr4_vgpr5
.LBB553_108:
	s_andn2_saveexec_b64 s[0:1], s[0:1]
	s_cbranch_execz .LBB553_123
; %bb.109:
	v_cmp_lt_i64_e32 vcc, 2, v[0:1]
	s_and_saveexec_b64 s[0:1], vcc
	s_xor_b64 s[0:1], exec, s[0:1]
	s_cbranch_execz .LBB553_115
; %bb.110:
	v_cmp_lt_i64_e32 vcc, 3, v[0:1]
	s_and_saveexec_b64 s[2:3], vcc
	s_xor_b64 s[2:3], exec, s[2:3]
	s_cbranch_execz .LBB553_112
; %bb.111:
	v_mov_b32_e32 v0, 0
	s_waitcnt lgkmcnt(0)
	global_store_dword v0, v4, s[6:7]
                                        ; implicit-def: $vgpr6_vgpr7
.LBB553_112:
	s_andn2_saveexec_b64 s[2:3], s[2:3]
	s_cbranch_execz .LBB553_114
; %bb.113:
	v_mov_b32_e32 v0, 0
	s_waitcnt lgkmcnt(0)
	global_store_dword v0, v7, s[6:7]
.LBB553_114:
	s_or_b64 exec, exec, s[2:3]
                                        ; implicit-def: $vgpr0_vgpr1
                                        ; implicit-def: $vgpr6_vgpr7
                                        ; implicit-def: $vgpr2_vgpr3
.LBB553_115:
	s_andn2_saveexec_b64 s[0:1], s[0:1]
	s_cbranch_execz .LBB553_123
; %bb.116:
	v_cmp_lt_i64_e32 vcc, 1, v[0:1]
	s_and_saveexec_b64 s[0:1], vcc
	s_xor_b64 s[0:1], exec, s[0:1]
	s_cbranch_execz .LBB553_118
; %bb.117:
	v_mov_b32_e32 v0, 0
	s_waitcnt lgkmcnt(0)
	global_store_dword v0, v6, s[6:7]
                                        ; implicit-def: $vgpr2_vgpr3
                                        ; implicit-def: $vgpr0_vgpr1
.LBB553_118:
	s_andn2_saveexec_b64 s[0:1], s[0:1]
	s_cbranch_execz .LBB553_123
; %bb.119:
	v_cmp_ne_u64_e32 vcc, 1, v[0:1]
	s_and_saveexec_b64 s[0:1], vcc
	s_xor_b64 s[0:1], exec, s[0:1]
	s_cbranch_execz .LBB553_121
; %bb.120:
	v_mov_b32_e32 v0, 0
	s_waitcnt lgkmcnt(0)
	global_store_dword v0, v2, s[6:7]
                                        ; implicit-def: $vgpr2_vgpr3
.LBB553_121:
	s_andn2_saveexec_b64 s[0:1], s[0:1]
	s_cbranch_execz .LBB553_123
; %bb.122:
	v_mov_b32_e32 v0, 0
	s_waitcnt lgkmcnt(0)
	global_store_dword v0, v3, s[6:7]
.LBB553_123:
	s_endpgm
	.section	.rodata,"a",@progbits
	.p2align	6, 0x0
	.amdhsa_kernel _ZN7rocprim17ROCPRIM_400000_NS6detail17trampoline_kernelINS0_14default_configENS1_20scan_config_selectorIiEEZZNS1_9scan_implILNS1_25lookback_scan_determinismE0ELb0ELb0ES3_N6thrust23THRUST_200600_302600_NS6detail15normal_iteratorINS9_10device_ptrIiEEEESE_iNS9_4plusIiEEiEEDaPvRmT3_T4_T5_mT6_P12ihipStream_tbENKUlT_T0_E_clISt17integral_constantIbLb1EEST_IbLb0EEEEDaSP_SQ_EUlSP_E_NS1_11comp_targetILNS1_3genE4ELNS1_11target_archE910ELNS1_3gpuE8ELNS1_3repE0EEENS1_30default_config_static_selectorELNS0_4arch9wavefront6targetE1EEEvT1_
		.amdhsa_group_segment_fixed_size 5120
		.amdhsa_private_segment_fixed_size 0
		.amdhsa_kernarg_size 96
		.amdhsa_user_sgpr_count 6
		.amdhsa_user_sgpr_private_segment_buffer 1
		.amdhsa_user_sgpr_dispatch_ptr 0
		.amdhsa_user_sgpr_queue_ptr 0
		.amdhsa_user_sgpr_kernarg_segment_ptr 1
		.amdhsa_user_sgpr_dispatch_id 0
		.amdhsa_user_sgpr_flat_scratch_init 0
		.amdhsa_user_sgpr_kernarg_preload_length 0
		.amdhsa_user_sgpr_kernarg_preload_offset 0
		.amdhsa_user_sgpr_private_segment_size 0
		.amdhsa_uses_dynamic_stack 0
		.amdhsa_system_sgpr_private_segment_wavefront_offset 0
		.amdhsa_system_sgpr_workgroup_id_x 1
		.amdhsa_system_sgpr_workgroup_id_y 0
		.amdhsa_system_sgpr_workgroup_id_z 0
		.amdhsa_system_sgpr_workgroup_info 0
		.amdhsa_system_vgpr_workitem_id 0
		.amdhsa_next_free_vgpr 40
		.amdhsa_next_free_sgpr 28
		.amdhsa_accum_offset 40
		.amdhsa_reserve_vcc 1
		.amdhsa_reserve_flat_scratch 0
		.amdhsa_float_round_mode_32 0
		.amdhsa_float_round_mode_16_64 0
		.amdhsa_float_denorm_mode_32 3
		.amdhsa_float_denorm_mode_16_64 3
		.amdhsa_dx10_clamp 1
		.amdhsa_ieee_mode 1
		.amdhsa_fp16_overflow 0
		.amdhsa_tg_split 0
		.amdhsa_exception_fp_ieee_invalid_op 0
		.amdhsa_exception_fp_denorm_src 0
		.amdhsa_exception_fp_ieee_div_zero 0
		.amdhsa_exception_fp_ieee_overflow 0
		.amdhsa_exception_fp_ieee_underflow 0
		.amdhsa_exception_fp_ieee_inexact 0
		.amdhsa_exception_int_div_zero 0
	.end_amdhsa_kernel
	.section	.text._ZN7rocprim17ROCPRIM_400000_NS6detail17trampoline_kernelINS0_14default_configENS1_20scan_config_selectorIiEEZZNS1_9scan_implILNS1_25lookback_scan_determinismE0ELb0ELb0ES3_N6thrust23THRUST_200600_302600_NS6detail15normal_iteratorINS9_10device_ptrIiEEEESE_iNS9_4plusIiEEiEEDaPvRmT3_T4_T5_mT6_P12ihipStream_tbENKUlT_T0_E_clISt17integral_constantIbLb1EEST_IbLb0EEEEDaSP_SQ_EUlSP_E_NS1_11comp_targetILNS1_3genE4ELNS1_11target_archE910ELNS1_3gpuE8ELNS1_3repE0EEENS1_30default_config_static_selectorELNS0_4arch9wavefront6targetE1EEEvT1_,"axG",@progbits,_ZN7rocprim17ROCPRIM_400000_NS6detail17trampoline_kernelINS0_14default_configENS1_20scan_config_selectorIiEEZZNS1_9scan_implILNS1_25lookback_scan_determinismE0ELb0ELb0ES3_N6thrust23THRUST_200600_302600_NS6detail15normal_iteratorINS9_10device_ptrIiEEEESE_iNS9_4plusIiEEiEEDaPvRmT3_T4_T5_mT6_P12ihipStream_tbENKUlT_T0_E_clISt17integral_constantIbLb1EEST_IbLb0EEEEDaSP_SQ_EUlSP_E_NS1_11comp_targetILNS1_3genE4ELNS1_11target_archE910ELNS1_3gpuE8ELNS1_3repE0EEENS1_30default_config_static_selectorELNS0_4arch9wavefront6targetE1EEEvT1_,comdat
.Lfunc_end553:
	.size	_ZN7rocprim17ROCPRIM_400000_NS6detail17trampoline_kernelINS0_14default_configENS1_20scan_config_selectorIiEEZZNS1_9scan_implILNS1_25lookback_scan_determinismE0ELb0ELb0ES3_N6thrust23THRUST_200600_302600_NS6detail15normal_iteratorINS9_10device_ptrIiEEEESE_iNS9_4plusIiEEiEEDaPvRmT3_T4_T5_mT6_P12ihipStream_tbENKUlT_T0_E_clISt17integral_constantIbLb1EEST_IbLb0EEEEDaSP_SQ_EUlSP_E_NS1_11comp_targetILNS1_3genE4ELNS1_11target_archE910ELNS1_3gpuE8ELNS1_3repE0EEENS1_30default_config_static_selectorELNS0_4arch9wavefront6targetE1EEEvT1_, .Lfunc_end553-_ZN7rocprim17ROCPRIM_400000_NS6detail17trampoline_kernelINS0_14default_configENS1_20scan_config_selectorIiEEZZNS1_9scan_implILNS1_25lookback_scan_determinismE0ELb0ELb0ES3_N6thrust23THRUST_200600_302600_NS6detail15normal_iteratorINS9_10device_ptrIiEEEESE_iNS9_4plusIiEEiEEDaPvRmT3_T4_T5_mT6_P12ihipStream_tbENKUlT_T0_E_clISt17integral_constantIbLb1EEST_IbLb0EEEEDaSP_SQ_EUlSP_E_NS1_11comp_targetILNS1_3genE4ELNS1_11target_archE910ELNS1_3gpuE8ELNS1_3repE0EEENS1_30default_config_static_selectorELNS0_4arch9wavefront6targetE1EEEvT1_
                                        ; -- End function
	.section	.AMDGPU.csdata,"",@progbits
; Kernel info:
; codeLenInByte = 4604
; NumSgprs: 32
; NumVgprs: 40
; NumAgprs: 0
; TotalNumVgprs: 40
; ScratchSize: 0
; MemoryBound: 0
; FloatMode: 240
; IeeeMode: 1
; LDSByteSize: 5120 bytes/workgroup (compile time only)
; SGPRBlocks: 3
; VGPRBlocks: 4
; NumSGPRsForWavesPerEU: 32
; NumVGPRsForWavesPerEU: 40
; AccumOffset: 40
; Occupancy: 6
; WaveLimiterHint : 1
; COMPUTE_PGM_RSRC2:SCRATCH_EN: 0
; COMPUTE_PGM_RSRC2:USER_SGPR: 6
; COMPUTE_PGM_RSRC2:TRAP_HANDLER: 0
; COMPUTE_PGM_RSRC2:TGID_X_EN: 1
; COMPUTE_PGM_RSRC2:TGID_Y_EN: 0
; COMPUTE_PGM_RSRC2:TGID_Z_EN: 0
; COMPUTE_PGM_RSRC2:TIDIG_COMP_CNT: 0
; COMPUTE_PGM_RSRC3_GFX90A:ACCUM_OFFSET: 9
; COMPUTE_PGM_RSRC3_GFX90A:TG_SPLIT: 0
	.section	.text._ZN7rocprim17ROCPRIM_400000_NS6detail17trampoline_kernelINS0_14default_configENS1_20scan_config_selectorIiEEZZNS1_9scan_implILNS1_25lookback_scan_determinismE0ELb0ELb0ES3_N6thrust23THRUST_200600_302600_NS6detail15normal_iteratorINS9_10device_ptrIiEEEESE_iNS9_4plusIiEEiEEDaPvRmT3_T4_T5_mT6_P12ihipStream_tbENKUlT_T0_E_clISt17integral_constantIbLb1EEST_IbLb0EEEEDaSP_SQ_EUlSP_E_NS1_11comp_targetILNS1_3genE3ELNS1_11target_archE908ELNS1_3gpuE7ELNS1_3repE0EEENS1_30default_config_static_selectorELNS0_4arch9wavefront6targetE1EEEvT1_,"axG",@progbits,_ZN7rocprim17ROCPRIM_400000_NS6detail17trampoline_kernelINS0_14default_configENS1_20scan_config_selectorIiEEZZNS1_9scan_implILNS1_25lookback_scan_determinismE0ELb0ELb0ES3_N6thrust23THRUST_200600_302600_NS6detail15normal_iteratorINS9_10device_ptrIiEEEESE_iNS9_4plusIiEEiEEDaPvRmT3_T4_T5_mT6_P12ihipStream_tbENKUlT_T0_E_clISt17integral_constantIbLb1EEST_IbLb0EEEEDaSP_SQ_EUlSP_E_NS1_11comp_targetILNS1_3genE3ELNS1_11target_archE908ELNS1_3gpuE7ELNS1_3repE0EEENS1_30default_config_static_selectorELNS0_4arch9wavefront6targetE1EEEvT1_,comdat
	.protected	_ZN7rocprim17ROCPRIM_400000_NS6detail17trampoline_kernelINS0_14default_configENS1_20scan_config_selectorIiEEZZNS1_9scan_implILNS1_25lookback_scan_determinismE0ELb0ELb0ES3_N6thrust23THRUST_200600_302600_NS6detail15normal_iteratorINS9_10device_ptrIiEEEESE_iNS9_4plusIiEEiEEDaPvRmT3_T4_T5_mT6_P12ihipStream_tbENKUlT_T0_E_clISt17integral_constantIbLb1EEST_IbLb0EEEEDaSP_SQ_EUlSP_E_NS1_11comp_targetILNS1_3genE3ELNS1_11target_archE908ELNS1_3gpuE7ELNS1_3repE0EEENS1_30default_config_static_selectorELNS0_4arch9wavefront6targetE1EEEvT1_ ; -- Begin function _ZN7rocprim17ROCPRIM_400000_NS6detail17trampoline_kernelINS0_14default_configENS1_20scan_config_selectorIiEEZZNS1_9scan_implILNS1_25lookback_scan_determinismE0ELb0ELb0ES3_N6thrust23THRUST_200600_302600_NS6detail15normal_iteratorINS9_10device_ptrIiEEEESE_iNS9_4plusIiEEiEEDaPvRmT3_T4_T5_mT6_P12ihipStream_tbENKUlT_T0_E_clISt17integral_constantIbLb1EEST_IbLb0EEEEDaSP_SQ_EUlSP_E_NS1_11comp_targetILNS1_3genE3ELNS1_11target_archE908ELNS1_3gpuE7ELNS1_3repE0EEENS1_30default_config_static_selectorELNS0_4arch9wavefront6targetE1EEEvT1_
	.globl	_ZN7rocprim17ROCPRIM_400000_NS6detail17trampoline_kernelINS0_14default_configENS1_20scan_config_selectorIiEEZZNS1_9scan_implILNS1_25lookback_scan_determinismE0ELb0ELb0ES3_N6thrust23THRUST_200600_302600_NS6detail15normal_iteratorINS9_10device_ptrIiEEEESE_iNS9_4plusIiEEiEEDaPvRmT3_T4_T5_mT6_P12ihipStream_tbENKUlT_T0_E_clISt17integral_constantIbLb1EEST_IbLb0EEEEDaSP_SQ_EUlSP_E_NS1_11comp_targetILNS1_3genE3ELNS1_11target_archE908ELNS1_3gpuE7ELNS1_3repE0EEENS1_30default_config_static_selectorELNS0_4arch9wavefront6targetE1EEEvT1_
	.p2align	8
	.type	_ZN7rocprim17ROCPRIM_400000_NS6detail17trampoline_kernelINS0_14default_configENS1_20scan_config_selectorIiEEZZNS1_9scan_implILNS1_25lookback_scan_determinismE0ELb0ELb0ES3_N6thrust23THRUST_200600_302600_NS6detail15normal_iteratorINS9_10device_ptrIiEEEESE_iNS9_4plusIiEEiEEDaPvRmT3_T4_T5_mT6_P12ihipStream_tbENKUlT_T0_E_clISt17integral_constantIbLb1EEST_IbLb0EEEEDaSP_SQ_EUlSP_E_NS1_11comp_targetILNS1_3genE3ELNS1_11target_archE908ELNS1_3gpuE7ELNS1_3repE0EEENS1_30default_config_static_selectorELNS0_4arch9wavefront6targetE1EEEvT1_,@function
_ZN7rocprim17ROCPRIM_400000_NS6detail17trampoline_kernelINS0_14default_configENS1_20scan_config_selectorIiEEZZNS1_9scan_implILNS1_25lookback_scan_determinismE0ELb0ELb0ES3_N6thrust23THRUST_200600_302600_NS6detail15normal_iteratorINS9_10device_ptrIiEEEESE_iNS9_4plusIiEEiEEDaPvRmT3_T4_T5_mT6_P12ihipStream_tbENKUlT_T0_E_clISt17integral_constantIbLb1EEST_IbLb0EEEEDaSP_SQ_EUlSP_E_NS1_11comp_targetILNS1_3genE3ELNS1_11target_archE908ELNS1_3gpuE7ELNS1_3repE0EEENS1_30default_config_static_selectorELNS0_4arch9wavefront6targetE1EEEvT1_: ; @_ZN7rocprim17ROCPRIM_400000_NS6detail17trampoline_kernelINS0_14default_configENS1_20scan_config_selectorIiEEZZNS1_9scan_implILNS1_25lookback_scan_determinismE0ELb0ELb0ES3_N6thrust23THRUST_200600_302600_NS6detail15normal_iteratorINS9_10device_ptrIiEEEESE_iNS9_4plusIiEEiEEDaPvRmT3_T4_T5_mT6_P12ihipStream_tbENKUlT_T0_E_clISt17integral_constantIbLb1EEST_IbLb0EEEEDaSP_SQ_EUlSP_E_NS1_11comp_targetILNS1_3genE3ELNS1_11target_archE908ELNS1_3gpuE7ELNS1_3repE0EEENS1_30default_config_static_selectorELNS0_4arch9wavefront6targetE1EEEvT1_
; %bb.0:
	.section	.rodata,"a",@progbits
	.p2align	6, 0x0
	.amdhsa_kernel _ZN7rocprim17ROCPRIM_400000_NS6detail17trampoline_kernelINS0_14default_configENS1_20scan_config_selectorIiEEZZNS1_9scan_implILNS1_25lookback_scan_determinismE0ELb0ELb0ES3_N6thrust23THRUST_200600_302600_NS6detail15normal_iteratorINS9_10device_ptrIiEEEESE_iNS9_4plusIiEEiEEDaPvRmT3_T4_T5_mT6_P12ihipStream_tbENKUlT_T0_E_clISt17integral_constantIbLb1EEST_IbLb0EEEEDaSP_SQ_EUlSP_E_NS1_11comp_targetILNS1_3genE3ELNS1_11target_archE908ELNS1_3gpuE7ELNS1_3repE0EEENS1_30default_config_static_selectorELNS0_4arch9wavefront6targetE1EEEvT1_
		.amdhsa_group_segment_fixed_size 0
		.amdhsa_private_segment_fixed_size 0
		.amdhsa_kernarg_size 96
		.amdhsa_user_sgpr_count 6
		.amdhsa_user_sgpr_private_segment_buffer 1
		.amdhsa_user_sgpr_dispatch_ptr 0
		.amdhsa_user_sgpr_queue_ptr 0
		.amdhsa_user_sgpr_kernarg_segment_ptr 1
		.amdhsa_user_sgpr_dispatch_id 0
		.amdhsa_user_sgpr_flat_scratch_init 0
		.amdhsa_user_sgpr_kernarg_preload_length 0
		.amdhsa_user_sgpr_kernarg_preload_offset 0
		.amdhsa_user_sgpr_private_segment_size 0
		.amdhsa_uses_dynamic_stack 0
		.amdhsa_system_sgpr_private_segment_wavefront_offset 0
		.amdhsa_system_sgpr_workgroup_id_x 1
		.amdhsa_system_sgpr_workgroup_id_y 0
		.amdhsa_system_sgpr_workgroup_id_z 0
		.amdhsa_system_sgpr_workgroup_info 0
		.amdhsa_system_vgpr_workitem_id 0
		.amdhsa_next_free_vgpr 1
		.amdhsa_next_free_sgpr 0
		.amdhsa_accum_offset 4
		.amdhsa_reserve_vcc 0
		.amdhsa_reserve_flat_scratch 0
		.amdhsa_float_round_mode_32 0
		.amdhsa_float_round_mode_16_64 0
		.amdhsa_float_denorm_mode_32 3
		.amdhsa_float_denorm_mode_16_64 3
		.amdhsa_dx10_clamp 1
		.amdhsa_ieee_mode 1
		.amdhsa_fp16_overflow 0
		.amdhsa_tg_split 0
		.amdhsa_exception_fp_ieee_invalid_op 0
		.amdhsa_exception_fp_denorm_src 0
		.amdhsa_exception_fp_ieee_div_zero 0
		.amdhsa_exception_fp_ieee_overflow 0
		.amdhsa_exception_fp_ieee_underflow 0
		.amdhsa_exception_fp_ieee_inexact 0
		.amdhsa_exception_int_div_zero 0
	.end_amdhsa_kernel
	.section	.text._ZN7rocprim17ROCPRIM_400000_NS6detail17trampoline_kernelINS0_14default_configENS1_20scan_config_selectorIiEEZZNS1_9scan_implILNS1_25lookback_scan_determinismE0ELb0ELb0ES3_N6thrust23THRUST_200600_302600_NS6detail15normal_iteratorINS9_10device_ptrIiEEEESE_iNS9_4plusIiEEiEEDaPvRmT3_T4_T5_mT6_P12ihipStream_tbENKUlT_T0_E_clISt17integral_constantIbLb1EEST_IbLb0EEEEDaSP_SQ_EUlSP_E_NS1_11comp_targetILNS1_3genE3ELNS1_11target_archE908ELNS1_3gpuE7ELNS1_3repE0EEENS1_30default_config_static_selectorELNS0_4arch9wavefront6targetE1EEEvT1_,"axG",@progbits,_ZN7rocprim17ROCPRIM_400000_NS6detail17trampoline_kernelINS0_14default_configENS1_20scan_config_selectorIiEEZZNS1_9scan_implILNS1_25lookback_scan_determinismE0ELb0ELb0ES3_N6thrust23THRUST_200600_302600_NS6detail15normal_iteratorINS9_10device_ptrIiEEEESE_iNS9_4plusIiEEiEEDaPvRmT3_T4_T5_mT6_P12ihipStream_tbENKUlT_T0_E_clISt17integral_constantIbLb1EEST_IbLb0EEEEDaSP_SQ_EUlSP_E_NS1_11comp_targetILNS1_3genE3ELNS1_11target_archE908ELNS1_3gpuE7ELNS1_3repE0EEENS1_30default_config_static_selectorELNS0_4arch9wavefront6targetE1EEEvT1_,comdat
.Lfunc_end554:
	.size	_ZN7rocprim17ROCPRIM_400000_NS6detail17trampoline_kernelINS0_14default_configENS1_20scan_config_selectorIiEEZZNS1_9scan_implILNS1_25lookback_scan_determinismE0ELb0ELb0ES3_N6thrust23THRUST_200600_302600_NS6detail15normal_iteratorINS9_10device_ptrIiEEEESE_iNS9_4plusIiEEiEEDaPvRmT3_T4_T5_mT6_P12ihipStream_tbENKUlT_T0_E_clISt17integral_constantIbLb1EEST_IbLb0EEEEDaSP_SQ_EUlSP_E_NS1_11comp_targetILNS1_3genE3ELNS1_11target_archE908ELNS1_3gpuE7ELNS1_3repE0EEENS1_30default_config_static_selectorELNS0_4arch9wavefront6targetE1EEEvT1_, .Lfunc_end554-_ZN7rocprim17ROCPRIM_400000_NS6detail17trampoline_kernelINS0_14default_configENS1_20scan_config_selectorIiEEZZNS1_9scan_implILNS1_25lookback_scan_determinismE0ELb0ELb0ES3_N6thrust23THRUST_200600_302600_NS6detail15normal_iteratorINS9_10device_ptrIiEEEESE_iNS9_4plusIiEEiEEDaPvRmT3_T4_T5_mT6_P12ihipStream_tbENKUlT_T0_E_clISt17integral_constantIbLb1EEST_IbLb0EEEEDaSP_SQ_EUlSP_E_NS1_11comp_targetILNS1_3genE3ELNS1_11target_archE908ELNS1_3gpuE7ELNS1_3repE0EEENS1_30default_config_static_selectorELNS0_4arch9wavefront6targetE1EEEvT1_
                                        ; -- End function
	.section	.AMDGPU.csdata,"",@progbits
; Kernel info:
; codeLenInByte = 0
; NumSgprs: 4
; NumVgprs: 0
; NumAgprs: 0
; TotalNumVgprs: 0
; ScratchSize: 0
; MemoryBound: 0
; FloatMode: 240
; IeeeMode: 1
; LDSByteSize: 0 bytes/workgroup (compile time only)
; SGPRBlocks: 0
; VGPRBlocks: 0
; NumSGPRsForWavesPerEU: 4
; NumVGPRsForWavesPerEU: 1
; AccumOffset: 4
; Occupancy: 8
; WaveLimiterHint : 0
; COMPUTE_PGM_RSRC2:SCRATCH_EN: 0
; COMPUTE_PGM_RSRC2:USER_SGPR: 6
; COMPUTE_PGM_RSRC2:TRAP_HANDLER: 0
; COMPUTE_PGM_RSRC2:TGID_X_EN: 1
; COMPUTE_PGM_RSRC2:TGID_Y_EN: 0
; COMPUTE_PGM_RSRC2:TGID_Z_EN: 0
; COMPUTE_PGM_RSRC2:TIDIG_COMP_CNT: 0
; COMPUTE_PGM_RSRC3_GFX90A:ACCUM_OFFSET: 0
; COMPUTE_PGM_RSRC3_GFX90A:TG_SPLIT: 0
	.section	.text._ZN7rocprim17ROCPRIM_400000_NS6detail17trampoline_kernelINS0_14default_configENS1_20scan_config_selectorIiEEZZNS1_9scan_implILNS1_25lookback_scan_determinismE0ELb0ELb0ES3_N6thrust23THRUST_200600_302600_NS6detail15normal_iteratorINS9_10device_ptrIiEEEESE_iNS9_4plusIiEEiEEDaPvRmT3_T4_T5_mT6_P12ihipStream_tbENKUlT_T0_E_clISt17integral_constantIbLb1EEST_IbLb0EEEEDaSP_SQ_EUlSP_E_NS1_11comp_targetILNS1_3genE2ELNS1_11target_archE906ELNS1_3gpuE6ELNS1_3repE0EEENS1_30default_config_static_selectorELNS0_4arch9wavefront6targetE1EEEvT1_,"axG",@progbits,_ZN7rocprim17ROCPRIM_400000_NS6detail17trampoline_kernelINS0_14default_configENS1_20scan_config_selectorIiEEZZNS1_9scan_implILNS1_25lookback_scan_determinismE0ELb0ELb0ES3_N6thrust23THRUST_200600_302600_NS6detail15normal_iteratorINS9_10device_ptrIiEEEESE_iNS9_4plusIiEEiEEDaPvRmT3_T4_T5_mT6_P12ihipStream_tbENKUlT_T0_E_clISt17integral_constantIbLb1EEST_IbLb0EEEEDaSP_SQ_EUlSP_E_NS1_11comp_targetILNS1_3genE2ELNS1_11target_archE906ELNS1_3gpuE6ELNS1_3repE0EEENS1_30default_config_static_selectorELNS0_4arch9wavefront6targetE1EEEvT1_,comdat
	.protected	_ZN7rocprim17ROCPRIM_400000_NS6detail17trampoline_kernelINS0_14default_configENS1_20scan_config_selectorIiEEZZNS1_9scan_implILNS1_25lookback_scan_determinismE0ELb0ELb0ES3_N6thrust23THRUST_200600_302600_NS6detail15normal_iteratorINS9_10device_ptrIiEEEESE_iNS9_4plusIiEEiEEDaPvRmT3_T4_T5_mT6_P12ihipStream_tbENKUlT_T0_E_clISt17integral_constantIbLb1EEST_IbLb0EEEEDaSP_SQ_EUlSP_E_NS1_11comp_targetILNS1_3genE2ELNS1_11target_archE906ELNS1_3gpuE6ELNS1_3repE0EEENS1_30default_config_static_selectorELNS0_4arch9wavefront6targetE1EEEvT1_ ; -- Begin function _ZN7rocprim17ROCPRIM_400000_NS6detail17trampoline_kernelINS0_14default_configENS1_20scan_config_selectorIiEEZZNS1_9scan_implILNS1_25lookback_scan_determinismE0ELb0ELb0ES3_N6thrust23THRUST_200600_302600_NS6detail15normal_iteratorINS9_10device_ptrIiEEEESE_iNS9_4plusIiEEiEEDaPvRmT3_T4_T5_mT6_P12ihipStream_tbENKUlT_T0_E_clISt17integral_constantIbLb1EEST_IbLb0EEEEDaSP_SQ_EUlSP_E_NS1_11comp_targetILNS1_3genE2ELNS1_11target_archE906ELNS1_3gpuE6ELNS1_3repE0EEENS1_30default_config_static_selectorELNS0_4arch9wavefront6targetE1EEEvT1_
	.globl	_ZN7rocprim17ROCPRIM_400000_NS6detail17trampoline_kernelINS0_14default_configENS1_20scan_config_selectorIiEEZZNS1_9scan_implILNS1_25lookback_scan_determinismE0ELb0ELb0ES3_N6thrust23THRUST_200600_302600_NS6detail15normal_iteratorINS9_10device_ptrIiEEEESE_iNS9_4plusIiEEiEEDaPvRmT3_T4_T5_mT6_P12ihipStream_tbENKUlT_T0_E_clISt17integral_constantIbLb1EEST_IbLb0EEEEDaSP_SQ_EUlSP_E_NS1_11comp_targetILNS1_3genE2ELNS1_11target_archE906ELNS1_3gpuE6ELNS1_3repE0EEENS1_30default_config_static_selectorELNS0_4arch9wavefront6targetE1EEEvT1_
	.p2align	8
	.type	_ZN7rocprim17ROCPRIM_400000_NS6detail17trampoline_kernelINS0_14default_configENS1_20scan_config_selectorIiEEZZNS1_9scan_implILNS1_25lookback_scan_determinismE0ELb0ELb0ES3_N6thrust23THRUST_200600_302600_NS6detail15normal_iteratorINS9_10device_ptrIiEEEESE_iNS9_4plusIiEEiEEDaPvRmT3_T4_T5_mT6_P12ihipStream_tbENKUlT_T0_E_clISt17integral_constantIbLb1EEST_IbLb0EEEEDaSP_SQ_EUlSP_E_NS1_11comp_targetILNS1_3genE2ELNS1_11target_archE906ELNS1_3gpuE6ELNS1_3repE0EEENS1_30default_config_static_selectorELNS0_4arch9wavefront6targetE1EEEvT1_,@function
_ZN7rocprim17ROCPRIM_400000_NS6detail17trampoline_kernelINS0_14default_configENS1_20scan_config_selectorIiEEZZNS1_9scan_implILNS1_25lookback_scan_determinismE0ELb0ELb0ES3_N6thrust23THRUST_200600_302600_NS6detail15normal_iteratorINS9_10device_ptrIiEEEESE_iNS9_4plusIiEEiEEDaPvRmT3_T4_T5_mT6_P12ihipStream_tbENKUlT_T0_E_clISt17integral_constantIbLb1EEST_IbLb0EEEEDaSP_SQ_EUlSP_E_NS1_11comp_targetILNS1_3genE2ELNS1_11target_archE906ELNS1_3gpuE6ELNS1_3repE0EEENS1_30default_config_static_selectorELNS0_4arch9wavefront6targetE1EEEvT1_: ; @_ZN7rocprim17ROCPRIM_400000_NS6detail17trampoline_kernelINS0_14default_configENS1_20scan_config_selectorIiEEZZNS1_9scan_implILNS1_25lookback_scan_determinismE0ELb0ELb0ES3_N6thrust23THRUST_200600_302600_NS6detail15normal_iteratorINS9_10device_ptrIiEEEESE_iNS9_4plusIiEEiEEDaPvRmT3_T4_T5_mT6_P12ihipStream_tbENKUlT_T0_E_clISt17integral_constantIbLb1EEST_IbLb0EEEEDaSP_SQ_EUlSP_E_NS1_11comp_targetILNS1_3genE2ELNS1_11target_archE906ELNS1_3gpuE6ELNS1_3repE0EEENS1_30default_config_static_selectorELNS0_4arch9wavefront6targetE1EEEvT1_
; %bb.0:
	.section	.rodata,"a",@progbits
	.p2align	6, 0x0
	.amdhsa_kernel _ZN7rocprim17ROCPRIM_400000_NS6detail17trampoline_kernelINS0_14default_configENS1_20scan_config_selectorIiEEZZNS1_9scan_implILNS1_25lookback_scan_determinismE0ELb0ELb0ES3_N6thrust23THRUST_200600_302600_NS6detail15normal_iteratorINS9_10device_ptrIiEEEESE_iNS9_4plusIiEEiEEDaPvRmT3_T4_T5_mT6_P12ihipStream_tbENKUlT_T0_E_clISt17integral_constantIbLb1EEST_IbLb0EEEEDaSP_SQ_EUlSP_E_NS1_11comp_targetILNS1_3genE2ELNS1_11target_archE906ELNS1_3gpuE6ELNS1_3repE0EEENS1_30default_config_static_selectorELNS0_4arch9wavefront6targetE1EEEvT1_
		.amdhsa_group_segment_fixed_size 0
		.amdhsa_private_segment_fixed_size 0
		.amdhsa_kernarg_size 96
		.amdhsa_user_sgpr_count 6
		.amdhsa_user_sgpr_private_segment_buffer 1
		.amdhsa_user_sgpr_dispatch_ptr 0
		.amdhsa_user_sgpr_queue_ptr 0
		.amdhsa_user_sgpr_kernarg_segment_ptr 1
		.amdhsa_user_sgpr_dispatch_id 0
		.amdhsa_user_sgpr_flat_scratch_init 0
		.amdhsa_user_sgpr_kernarg_preload_length 0
		.amdhsa_user_sgpr_kernarg_preload_offset 0
		.amdhsa_user_sgpr_private_segment_size 0
		.amdhsa_uses_dynamic_stack 0
		.amdhsa_system_sgpr_private_segment_wavefront_offset 0
		.amdhsa_system_sgpr_workgroup_id_x 1
		.amdhsa_system_sgpr_workgroup_id_y 0
		.amdhsa_system_sgpr_workgroup_id_z 0
		.amdhsa_system_sgpr_workgroup_info 0
		.amdhsa_system_vgpr_workitem_id 0
		.amdhsa_next_free_vgpr 1
		.amdhsa_next_free_sgpr 0
		.amdhsa_accum_offset 4
		.amdhsa_reserve_vcc 0
		.amdhsa_reserve_flat_scratch 0
		.amdhsa_float_round_mode_32 0
		.amdhsa_float_round_mode_16_64 0
		.amdhsa_float_denorm_mode_32 3
		.amdhsa_float_denorm_mode_16_64 3
		.amdhsa_dx10_clamp 1
		.amdhsa_ieee_mode 1
		.amdhsa_fp16_overflow 0
		.amdhsa_tg_split 0
		.amdhsa_exception_fp_ieee_invalid_op 0
		.amdhsa_exception_fp_denorm_src 0
		.amdhsa_exception_fp_ieee_div_zero 0
		.amdhsa_exception_fp_ieee_overflow 0
		.amdhsa_exception_fp_ieee_underflow 0
		.amdhsa_exception_fp_ieee_inexact 0
		.amdhsa_exception_int_div_zero 0
	.end_amdhsa_kernel
	.section	.text._ZN7rocprim17ROCPRIM_400000_NS6detail17trampoline_kernelINS0_14default_configENS1_20scan_config_selectorIiEEZZNS1_9scan_implILNS1_25lookback_scan_determinismE0ELb0ELb0ES3_N6thrust23THRUST_200600_302600_NS6detail15normal_iteratorINS9_10device_ptrIiEEEESE_iNS9_4plusIiEEiEEDaPvRmT3_T4_T5_mT6_P12ihipStream_tbENKUlT_T0_E_clISt17integral_constantIbLb1EEST_IbLb0EEEEDaSP_SQ_EUlSP_E_NS1_11comp_targetILNS1_3genE2ELNS1_11target_archE906ELNS1_3gpuE6ELNS1_3repE0EEENS1_30default_config_static_selectorELNS0_4arch9wavefront6targetE1EEEvT1_,"axG",@progbits,_ZN7rocprim17ROCPRIM_400000_NS6detail17trampoline_kernelINS0_14default_configENS1_20scan_config_selectorIiEEZZNS1_9scan_implILNS1_25lookback_scan_determinismE0ELb0ELb0ES3_N6thrust23THRUST_200600_302600_NS6detail15normal_iteratorINS9_10device_ptrIiEEEESE_iNS9_4plusIiEEiEEDaPvRmT3_T4_T5_mT6_P12ihipStream_tbENKUlT_T0_E_clISt17integral_constantIbLb1EEST_IbLb0EEEEDaSP_SQ_EUlSP_E_NS1_11comp_targetILNS1_3genE2ELNS1_11target_archE906ELNS1_3gpuE6ELNS1_3repE0EEENS1_30default_config_static_selectorELNS0_4arch9wavefront6targetE1EEEvT1_,comdat
.Lfunc_end555:
	.size	_ZN7rocprim17ROCPRIM_400000_NS6detail17trampoline_kernelINS0_14default_configENS1_20scan_config_selectorIiEEZZNS1_9scan_implILNS1_25lookback_scan_determinismE0ELb0ELb0ES3_N6thrust23THRUST_200600_302600_NS6detail15normal_iteratorINS9_10device_ptrIiEEEESE_iNS9_4plusIiEEiEEDaPvRmT3_T4_T5_mT6_P12ihipStream_tbENKUlT_T0_E_clISt17integral_constantIbLb1EEST_IbLb0EEEEDaSP_SQ_EUlSP_E_NS1_11comp_targetILNS1_3genE2ELNS1_11target_archE906ELNS1_3gpuE6ELNS1_3repE0EEENS1_30default_config_static_selectorELNS0_4arch9wavefront6targetE1EEEvT1_, .Lfunc_end555-_ZN7rocprim17ROCPRIM_400000_NS6detail17trampoline_kernelINS0_14default_configENS1_20scan_config_selectorIiEEZZNS1_9scan_implILNS1_25lookback_scan_determinismE0ELb0ELb0ES3_N6thrust23THRUST_200600_302600_NS6detail15normal_iteratorINS9_10device_ptrIiEEEESE_iNS9_4plusIiEEiEEDaPvRmT3_T4_T5_mT6_P12ihipStream_tbENKUlT_T0_E_clISt17integral_constantIbLb1EEST_IbLb0EEEEDaSP_SQ_EUlSP_E_NS1_11comp_targetILNS1_3genE2ELNS1_11target_archE906ELNS1_3gpuE6ELNS1_3repE0EEENS1_30default_config_static_selectorELNS0_4arch9wavefront6targetE1EEEvT1_
                                        ; -- End function
	.section	.AMDGPU.csdata,"",@progbits
; Kernel info:
; codeLenInByte = 0
; NumSgprs: 4
; NumVgprs: 0
; NumAgprs: 0
; TotalNumVgprs: 0
; ScratchSize: 0
; MemoryBound: 0
; FloatMode: 240
; IeeeMode: 1
; LDSByteSize: 0 bytes/workgroup (compile time only)
; SGPRBlocks: 0
; VGPRBlocks: 0
; NumSGPRsForWavesPerEU: 4
; NumVGPRsForWavesPerEU: 1
; AccumOffset: 4
; Occupancy: 8
; WaveLimiterHint : 0
; COMPUTE_PGM_RSRC2:SCRATCH_EN: 0
; COMPUTE_PGM_RSRC2:USER_SGPR: 6
; COMPUTE_PGM_RSRC2:TRAP_HANDLER: 0
; COMPUTE_PGM_RSRC2:TGID_X_EN: 1
; COMPUTE_PGM_RSRC2:TGID_Y_EN: 0
; COMPUTE_PGM_RSRC2:TGID_Z_EN: 0
; COMPUTE_PGM_RSRC2:TIDIG_COMP_CNT: 0
; COMPUTE_PGM_RSRC3_GFX90A:ACCUM_OFFSET: 0
; COMPUTE_PGM_RSRC3_GFX90A:TG_SPLIT: 0
	.section	.text._ZN7rocprim17ROCPRIM_400000_NS6detail17trampoline_kernelINS0_14default_configENS1_20scan_config_selectorIiEEZZNS1_9scan_implILNS1_25lookback_scan_determinismE0ELb0ELb0ES3_N6thrust23THRUST_200600_302600_NS6detail15normal_iteratorINS9_10device_ptrIiEEEESE_iNS9_4plusIiEEiEEDaPvRmT3_T4_T5_mT6_P12ihipStream_tbENKUlT_T0_E_clISt17integral_constantIbLb1EEST_IbLb0EEEEDaSP_SQ_EUlSP_E_NS1_11comp_targetILNS1_3genE10ELNS1_11target_archE1201ELNS1_3gpuE5ELNS1_3repE0EEENS1_30default_config_static_selectorELNS0_4arch9wavefront6targetE1EEEvT1_,"axG",@progbits,_ZN7rocprim17ROCPRIM_400000_NS6detail17trampoline_kernelINS0_14default_configENS1_20scan_config_selectorIiEEZZNS1_9scan_implILNS1_25lookback_scan_determinismE0ELb0ELb0ES3_N6thrust23THRUST_200600_302600_NS6detail15normal_iteratorINS9_10device_ptrIiEEEESE_iNS9_4plusIiEEiEEDaPvRmT3_T4_T5_mT6_P12ihipStream_tbENKUlT_T0_E_clISt17integral_constantIbLb1EEST_IbLb0EEEEDaSP_SQ_EUlSP_E_NS1_11comp_targetILNS1_3genE10ELNS1_11target_archE1201ELNS1_3gpuE5ELNS1_3repE0EEENS1_30default_config_static_selectorELNS0_4arch9wavefront6targetE1EEEvT1_,comdat
	.protected	_ZN7rocprim17ROCPRIM_400000_NS6detail17trampoline_kernelINS0_14default_configENS1_20scan_config_selectorIiEEZZNS1_9scan_implILNS1_25lookback_scan_determinismE0ELb0ELb0ES3_N6thrust23THRUST_200600_302600_NS6detail15normal_iteratorINS9_10device_ptrIiEEEESE_iNS9_4plusIiEEiEEDaPvRmT3_T4_T5_mT6_P12ihipStream_tbENKUlT_T0_E_clISt17integral_constantIbLb1EEST_IbLb0EEEEDaSP_SQ_EUlSP_E_NS1_11comp_targetILNS1_3genE10ELNS1_11target_archE1201ELNS1_3gpuE5ELNS1_3repE0EEENS1_30default_config_static_selectorELNS0_4arch9wavefront6targetE1EEEvT1_ ; -- Begin function _ZN7rocprim17ROCPRIM_400000_NS6detail17trampoline_kernelINS0_14default_configENS1_20scan_config_selectorIiEEZZNS1_9scan_implILNS1_25lookback_scan_determinismE0ELb0ELb0ES3_N6thrust23THRUST_200600_302600_NS6detail15normal_iteratorINS9_10device_ptrIiEEEESE_iNS9_4plusIiEEiEEDaPvRmT3_T4_T5_mT6_P12ihipStream_tbENKUlT_T0_E_clISt17integral_constantIbLb1EEST_IbLb0EEEEDaSP_SQ_EUlSP_E_NS1_11comp_targetILNS1_3genE10ELNS1_11target_archE1201ELNS1_3gpuE5ELNS1_3repE0EEENS1_30default_config_static_selectorELNS0_4arch9wavefront6targetE1EEEvT1_
	.globl	_ZN7rocprim17ROCPRIM_400000_NS6detail17trampoline_kernelINS0_14default_configENS1_20scan_config_selectorIiEEZZNS1_9scan_implILNS1_25lookback_scan_determinismE0ELb0ELb0ES3_N6thrust23THRUST_200600_302600_NS6detail15normal_iteratorINS9_10device_ptrIiEEEESE_iNS9_4plusIiEEiEEDaPvRmT3_T4_T5_mT6_P12ihipStream_tbENKUlT_T0_E_clISt17integral_constantIbLb1EEST_IbLb0EEEEDaSP_SQ_EUlSP_E_NS1_11comp_targetILNS1_3genE10ELNS1_11target_archE1201ELNS1_3gpuE5ELNS1_3repE0EEENS1_30default_config_static_selectorELNS0_4arch9wavefront6targetE1EEEvT1_
	.p2align	8
	.type	_ZN7rocprim17ROCPRIM_400000_NS6detail17trampoline_kernelINS0_14default_configENS1_20scan_config_selectorIiEEZZNS1_9scan_implILNS1_25lookback_scan_determinismE0ELb0ELb0ES3_N6thrust23THRUST_200600_302600_NS6detail15normal_iteratorINS9_10device_ptrIiEEEESE_iNS9_4plusIiEEiEEDaPvRmT3_T4_T5_mT6_P12ihipStream_tbENKUlT_T0_E_clISt17integral_constantIbLb1EEST_IbLb0EEEEDaSP_SQ_EUlSP_E_NS1_11comp_targetILNS1_3genE10ELNS1_11target_archE1201ELNS1_3gpuE5ELNS1_3repE0EEENS1_30default_config_static_selectorELNS0_4arch9wavefront6targetE1EEEvT1_,@function
_ZN7rocprim17ROCPRIM_400000_NS6detail17trampoline_kernelINS0_14default_configENS1_20scan_config_selectorIiEEZZNS1_9scan_implILNS1_25lookback_scan_determinismE0ELb0ELb0ES3_N6thrust23THRUST_200600_302600_NS6detail15normal_iteratorINS9_10device_ptrIiEEEESE_iNS9_4plusIiEEiEEDaPvRmT3_T4_T5_mT6_P12ihipStream_tbENKUlT_T0_E_clISt17integral_constantIbLb1EEST_IbLb0EEEEDaSP_SQ_EUlSP_E_NS1_11comp_targetILNS1_3genE10ELNS1_11target_archE1201ELNS1_3gpuE5ELNS1_3repE0EEENS1_30default_config_static_selectorELNS0_4arch9wavefront6targetE1EEEvT1_: ; @_ZN7rocprim17ROCPRIM_400000_NS6detail17trampoline_kernelINS0_14default_configENS1_20scan_config_selectorIiEEZZNS1_9scan_implILNS1_25lookback_scan_determinismE0ELb0ELb0ES3_N6thrust23THRUST_200600_302600_NS6detail15normal_iteratorINS9_10device_ptrIiEEEESE_iNS9_4plusIiEEiEEDaPvRmT3_T4_T5_mT6_P12ihipStream_tbENKUlT_T0_E_clISt17integral_constantIbLb1EEST_IbLb0EEEEDaSP_SQ_EUlSP_E_NS1_11comp_targetILNS1_3genE10ELNS1_11target_archE1201ELNS1_3gpuE5ELNS1_3repE0EEENS1_30default_config_static_selectorELNS0_4arch9wavefront6targetE1EEEvT1_
; %bb.0:
	.section	.rodata,"a",@progbits
	.p2align	6, 0x0
	.amdhsa_kernel _ZN7rocprim17ROCPRIM_400000_NS6detail17trampoline_kernelINS0_14default_configENS1_20scan_config_selectorIiEEZZNS1_9scan_implILNS1_25lookback_scan_determinismE0ELb0ELb0ES3_N6thrust23THRUST_200600_302600_NS6detail15normal_iteratorINS9_10device_ptrIiEEEESE_iNS9_4plusIiEEiEEDaPvRmT3_T4_T5_mT6_P12ihipStream_tbENKUlT_T0_E_clISt17integral_constantIbLb1EEST_IbLb0EEEEDaSP_SQ_EUlSP_E_NS1_11comp_targetILNS1_3genE10ELNS1_11target_archE1201ELNS1_3gpuE5ELNS1_3repE0EEENS1_30default_config_static_selectorELNS0_4arch9wavefront6targetE1EEEvT1_
		.amdhsa_group_segment_fixed_size 0
		.amdhsa_private_segment_fixed_size 0
		.amdhsa_kernarg_size 96
		.amdhsa_user_sgpr_count 6
		.amdhsa_user_sgpr_private_segment_buffer 1
		.amdhsa_user_sgpr_dispatch_ptr 0
		.amdhsa_user_sgpr_queue_ptr 0
		.amdhsa_user_sgpr_kernarg_segment_ptr 1
		.amdhsa_user_sgpr_dispatch_id 0
		.amdhsa_user_sgpr_flat_scratch_init 0
		.amdhsa_user_sgpr_kernarg_preload_length 0
		.amdhsa_user_sgpr_kernarg_preload_offset 0
		.amdhsa_user_sgpr_private_segment_size 0
		.amdhsa_uses_dynamic_stack 0
		.amdhsa_system_sgpr_private_segment_wavefront_offset 0
		.amdhsa_system_sgpr_workgroup_id_x 1
		.amdhsa_system_sgpr_workgroup_id_y 0
		.amdhsa_system_sgpr_workgroup_id_z 0
		.amdhsa_system_sgpr_workgroup_info 0
		.amdhsa_system_vgpr_workitem_id 0
		.amdhsa_next_free_vgpr 1
		.amdhsa_next_free_sgpr 0
		.amdhsa_accum_offset 4
		.amdhsa_reserve_vcc 0
		.amdhsa_reserve_flat_scratch 0
		.amdhsa_float_round_mode_32 0
		.amdhsa_float_round_mode_16_64 0
		.amdhsa_float_denorm_mode_32 3
		.amdhsa_float_denorm_mode_16_64 3
		.amdhsa_dx10_clamp 1
		.amdhsa_ieee_mode 1
		.amdhsa_fp16_overflow 0
		.amdhsa_tg_split 0
		.amdhsa_exception_fp_ieee_invalid_op 0
		.amdhsa_exception_fp_denorm_src 0
		.amdhsa_exception_fp_ieee_div_zero 0
		.amdhsa_exception_fp_ieee_overflow 0
		.amdhsa_exception_fp_ieee_underflow 0
		.amdhsa_exception_fp_ieee_inexact 0
		.amdhsa_exception_int_div_zero 0
	.end_amdhsa_kernel
	.section	.text._ZN7rocprim17ROCPRIM_400000_NS6detail17trampoline_kernelINS0_14default_configENS1_20scan_config_selectorIiEEZZNS1_9scan_implILNS1_25lookback_scan_determinismE0ELb0ELb0ES3_N6thrust23THRUST_200600_302600_NS6detail15normal_iteratorINS9_10device_ptrIiEEEESE_iNS9_4plusIiEEiEEDaPvRmT3_T4_T5_mT6_P12ihipStream_tbENKUlT_T0_E_clISt17integral_constantIbLb1EEST_IbLb0EEEEDaSP_SQ_EUlSP_E_NS1_11comp_targetILNS1_3genE10ELNS1_11target_archE1201ELNS1_3gpuE5ELNS1_3repE0EEENS1_30default_config_static_selectorELNS0_4arch9wavefront6targetE1EEEvT1_,"axG",@progbits,_ZN7rocprim17ROCPRIM_400000_NS6detail17trampoline_kernelINS0_14default_configENS1_20scan_config_selectorIiEEZZNS1_9scan_implILNS1_25lookback_scan_determinismE0ELb0ELb0ES3_N6thrust23THRUST_200600_302600_NS6detail15normal_iteratorINS9_10device_ptrIiEEEESE_iNS9_4plusIiEEiEEDaPvRmT3_T4_T5_mT6_P12ihipStream_tbENKUlT_T0_E_clISt17integral_constantIbLb1EEST_IbLb0EEEEDaSP_SQ_EUlSP_E_NS1_11comp_targetILNS1_3genE10ELNS1_11target_archE1201ELNS1_3gpuE5ELNS1_3repE0EEENS1_30default_config_static_selectorELNS0_4arch9wavefront6targetE1EEEvT1_,comdat
.Lfunc_end556:
	.size	_ZN7rocprim17ROCPRIM_400000_NS6detail17trampoline_kernelINS0_14default_configENS1_20scan_config_selectorIiEEZZNS1_9scan_implILNS1_25lookback_scan_determinismE0ELb0ELb0ES3_N6thrust23THRUST_200600_302600_NS6detail15normal_iteratorINS9_10device_ptrIiEEEESE_iNS9_4plusIiEEiEEDaPvRmT3_T4_T5_mT6_P12ihipStream_tbENKUlT_T0_E_clISt17integral_constantIbLb1EEST_IbLb0EEEEDaSP_SQ_EUlSP_E_NS1_11comp_targetILNS1_3genE10ELNS1_11target_archE1201ELNS1_3gpuE5ELNS1_3repE0EEENS1_30default_config_static_selectorELNS0_4arch9wavefront6targetE1EEEvT1_, .Lfunc_end556-_ZN7rocprim17ROCPRIM_400000_NS6detail17trampoline_kernelINS0_14default_configENS1_20scan_config_selectorIiEEZZNS1_9scan_implILNS1_25lookback_scan_determinismE0ELb0ELb0ES3_N6thrust23THRUST_200600_302600_NS6detail15normal_iteratorINS9_10device_ptrIiEEEESE_iNS9_4plusIiEEiEEDaPvRmT3_T4_T5_mT6_P12ihipStream_tbENKUlT_T0_E_clISt17integral_constantIbLb1EEST_IbLb0EEEEDaSP_SQ_EUlSP_E_NS1_11comp_targetILNS1_3genE10ELNS1_11target_archE1201ELNS1_3gpuE5ELNS1_3repE0EEENS1_30default_config_static_selectorELNS0_4arch9wavefront6targetE1EEEvT1_
                                        ; -- End function
	.section	.AMDGPU.csdata,"",@progbits
; Kernel info:
; codeLenInByte = 0
; NumSgprs: 4
; NumVgprs: 0
; NumAgprs: 0
; TotalNumVgprs: 0
; ScratchSize: 0
; MemoryBound: 0
; FloatMode: 240
; IeeeMode: 1
; LDSByteSize: 0 bytes/workgroup (compile time only)
; SGPRBlocks: 0
; VGPRBlocks: 0
; NumSGPRsForWavesPerEU: 4
; NumVGPRsForWavesPerEU: 1
; AccumOffset: 4
; Occupancy: 8
; WaveLimiterHint : 0
; COMPUTE_PGM_RSRC2:SCRATCH_EN: 0
; COMPUTE_PGM_RSRC2:USER_SGPR: 6
; COMPUTE_PGM_RSRC2:TRAP_HANDLER: 0
; COMPUTE_PGM_RSRC2:TGID_X_EN: 1
; COMPUTE_PGM_RSRC2:TGID_Y_EN: 0
; COMPUTE_PGM_RSRC2:TGID_Z_EN: 0
; COMPUTE_PGM_RSRC2:TIDIG_COMP_CNT: 0
; COMPUTE_PGM_RSRC3_GFX90A:ACCUM_OFFSET: 0
; COMPUTE_PGM_RSRC3_GFX90A:TG_SPLIT: 0
	.section	.text._ZN7rocprim17ROCPRIM_400000_NS6detail17trampoline_kernelINS0_14default_configENS1_20scan_config_selectorIiEEZZNS1_9scan_implILNS1_25lookback_scan_determinismE0ELb0ELb0ES3_N6thrust23THRUST_200600_302600_NS6detail15normal_iteratorINS9_10device_ptrIiEEEESE_iNS9_4plusIiEEiEEDaPvRmT3_T4_T5_mT6_P12ihipStream_tbENKUlT_T0_E_clISt17integral_constantIbLb1EEST_IbLb0EEEEDaSP_SQ_EUlSP_E_NS1_11comp_targetILNS1_3genE10ELNS1_11target_archE1200ELNS1_3gpuE4ELNS1_3repE0EEENS1_30default_config_static_selectorELNS0_4arch9wavefront6targetE1EEEvT1_,"axG",@progbits,_ZN7rocprim17ROCPRIM_400000_NS6detail17trampoline_kernelINS0_14default_configENS1_20scan_config_selectorIiEEZZNS1_9scan_implILNS1_25lookback_scan_determinismE0ELb0ELb0ES3_N6thrust23THRUST_200600_302600_NS6detail15normal_iteratorINS9_10device_ptrIiEEEESE_iNS9_4plusIiEEiEEDaPvRmT3_T4_T5_mT6_P12ihipStream_tbENKUlT_T0_E_clISt17integral_constantIbLb1EEST_IbLb0EEEEDaSP_SQ_EUlSP_E_NS1_11comp_targetILNS1_3genE10ELNS1_11target_archE1200ELNS1_3gpuE4ELNS1_3repE0EEENS1_30default_config_static_selectorELNS0_4arch9wavefront6targetE1EEEvT1_,comdat
	.protected	_ZN7rocprim17ROCPRIM_400000_NS6detail17trampoline_kernelINS0_14default_configENS1_20scan_config_selectorIiEEZZNS1_9scan_implILNS1_25lookback_scan_determinismE0ELb0ELb0ES3_N6thrust23THRUST_200600_302600_NS6detail15normal_iteratorINS9_10device_ptrIiEEEESE_iNS9_4plusIiEEiEEDaPvRmT3_T4_T5_mT6_P12ihipStream_tbENKUlT_T0_E_clISt17integral_constantIbLb1EEST_IbLb0EEEEDaSP_SQ_EUlSP_E_NS1_11comp_targetILNS1_3genE10ELNS1_11target_archE1200ELNS1_3gpuE4ELNS1_3repE0EEENS1_30default_config_static_selectorELNS0_4arch9wavefront6targetE1EEEvT1_ ; -- Begin function _ZN7rocprim17ROCPRIM_400000_NS6detail17trampoline_kernelINS0_14default_configENS1_20scan_config_selectorIiEEZZNS1_9scan_implILNS1_25lookback_scan_determinismE0ELb0ELb0ES3_N6thrust23THRUST_200600_302600_NS6detail15normal_iteratorINS9_10device_ptrIiEEEESE_iNS9_4plusIiEEiEEDaPvRmT3_T4_T5_mT6_P12ihipStream_tbENKUlT_T0_E_clISt17integral_constantIbLb1EEST_IbLb0EEEEDaSP_SQ_EUlSP_E_NS1_11comp_targetILNS1_3genE10ELNS1_11target_archE1200ELNS1_3gpuE4ELNS1_3repE0EEENS1_30default_config_static_selectorELNS0_4arch9wavefront6targetE1EEEvT1_
	.globl	_ZN7rocprim17ROCPRIM_400000_NS6detail17trampoline_kernelINS0_14default_configENS1_20scan_config_selectorIiEEZZNS1_9scan_implILNS1_25lookback_scan_determinismE0ELb0ELb0ES3_N6thrust23THRUST_200600_302600_NS6detail15normal_iteratorINS9_10device_ptrIiEEEESE_iNS9_4plusIiEEiEEDaPvRmT3_T4_T5_mT6_P12ihipStream_tbENKUlT_T0_E_clISt17integral_constantIbLb1EEST_IbLb0EEEEDaSP_SQ_EUlSP_E_NS1_11comp_targetILNS1_3genE10ELNS1_11target_archE1200ELNS1_3gpuE4ELNS1_3repE0EEENS1_30default_config_static_selectorELNS0_4arch9wavefront6targetE1EEEvT1_
	.p2align	8
	.type	_ZN7rocprim17ROCPRIM_400000_NS6detail17trampoline_kernelINS0_14default_configENS1_20scan_config_selectorIiEEZZNS1_9scan_implILNS1_25lookback_scan_determinismE0ELb0ELb0ES3_N6thrust23THRUST_200600_302600_NS6detail15normal_iteratorINS9_10device_ptrIiEEEESE_iNS9_4plusIiEEiEEDaPvRmT3_T4_T5_mT6_P12ihipStream_tbENKUlT_T0_E_clISt17integral_constantIbLb1EEST_IbLb0EEEEDaSP_SQ_EUlSP_E_NS1_11comp_targetILNS1_3genE10ELNS1_11target_archE1200ELNS1_3gpuE4ELNS1_3repE0EEENS1_30default_config_static_selectorELNS0_4arch9wavefront6targetE1EEEvT1_,@function
_ZN7rocprim17ROCPRIM_400000_NS6detail17trampoline_kernelINS0_14default_configENS1_20scan_config_selectorIiEEZZNS1_9scan_implILNS1_25lookback_scan_determinismE0ELb0ELb0ES3_N6thrust23THRUST_200600_302600_NS6detail15normal_iteratorINS9_10device_ptrIiEEEESE_iNS9_4plusIiEEiEEDaPvRmT3_T4_T5_mT6_P12ihipStream_tbENKUlT_T0_E_clISt17integral_constantIbLb1EEST_IbLb0EEEEDaSP_SQ_EUlSP_E_NS1_11comp_targetILNS1_3genE10ELNS1_11target_archE1200ELNS1_3gpuE4ELNS1_3repE0EEENS1_30default_config_static_selectorELNS0_4arch9wavefront6targetE1EEEvT1_: ; @_ZN7rocprim17ROCPRIM_400000_NS6detail17trampoline_kernelINS0_14default_configENS1_20scan_config_selectorIiEEZZNS1_9scan_implILNS1_25lookback_scan_determinismE0ELb0ELb0ES3_N6thrust23THRUST_200600_302600_NS6detail15normal_iteratorINS9_10device_ptrIiEEEESE_iNS9_4plusIiEEiEEDaPvRmT3_T4_T5_mT6_P12ihipStream_tbENKUlT_T0_E_clISt17integral_constantIbLb1EEST_IbLb0EEEEDaSP_SQ_EUlSP_E_NS1_11comp_targetILNS1_3genE10ELNS1_11target_archE1200ELNS1_3gpuE4ELNS1_3repE0EEENS1_30default_config_static_selectorELNS0_4arch9wavefront6targetE1EEEvT1_
; %bb.0:
	.section	.rodata,"a",@progbits
	.p2align	6, 0x0
	.amdhsa_kernel _ZN7rocprim17ROCPRIM_400000_NS6detail17trampoline_kernelINS0_14default_configENS1_20scan_config_selectorIiEEZZNS1_9scan_implILNS1_25lookback_scan_determinismE0ELb0ELb0ES3_N6thrust23THRUST_200600_302600_NS6detail15normal_iteratorINS9_10device_ptrIiEEEESE_iNS9_4plusIiEEiEEDaPvRmT3_T4_T5_mT6_P12ihipStream_tbENKUlT_T0_E_clISt17integral_constantIbLb1EEST_IbLb0EEEEDaSP_SQ_EUlSP_E_NS1_11comp_targetILNS1_3genE10ELNS1_11target_archE1200ELNS1_3gpuE4ELNS1_3repE0EEENS1_30default_config_static_selectorELNS0_4arch9wavefront6targetE1EEEvT1_
		.amdhsa_group_segment_fixed_size 0
		.amdhsa_private_segment_fixed_size 0
		.amdhsa_kernarg_size 96
		.amdhsa_user_sgpr_count 6
		.amdhsa_user_sgpr_private_segment_buffer 1
		.amdhsa_user_sgpr_dispatch_ptr 0
		.amdhsa_user_sgpr_queue_ptr 0
		.amdhsa_user_sgpr_kernarg_segment_ptr 1
		.amdhsa_user_sgpr_dispatch_id 0
		.amdhsa_user_sgpr_flat_scratch_init 0
		.amdhsa_user_sgpr_kernarg_preload_length 0
		.amdhsa_user_sgpr_kernarg_preload_offset 0
		.amdhsa_user_sgpr_private_segment_size 0
		.amdhsa_uses_dynamic_stack 0
		.amdhsa_system_sgpr_private_segment_wavefront_offset 0
		.amdhsa_system_sgpr_workgroup_id_x 1
		.amdhsa_system_sgpr_workgroup_id_y 0
		.amdhsa_system_sgpr_workgroup_id_z 0
		.amdhsa_system_sgpr_workgroup_info 0
		.amdhsa_system_vgpr_workitem_id 0
		.amdhsa_next_free_vgpr 1
		.amdhsa_next_free_sgpr 0
		.amdhsa_accum_offset 4
		.amdhsa_reserve_vcc 0
		.amdhsa_reserve_flat_scratch 0
		.amdhsa_float_round_mode_32 0
		.amdhsa_float_round_mode_16_64 0
		.amdhsa_float_denorm_mode_32 3
		.amdhsa_float_denorm_mode_16_64 3
		.amdhsa_dx10_clamp 1
		.amdhsa_ieee_mode 1
		.amdhsa_fp16_overflow 0
		.amdhsa_tg_split 0
		.amdhsa_exception_fp_ieee_invalid_op 0
		.amdhsa_exception_fp_denorm_src 0
		.amdhsa_exception_fp_ieee_div_zero 0
		.amdhsa_exception_fp_ieee_overflow 0
		.amdhsa_exception_fp_ieee_underflow 0
		.amdhsa_exception_fp_ieee_inexact 0
		.amdhsa_exception_int_div_zero 0
	.end_amdhsa_kernel
	.section	.text._ZN7rocprim17ROCPRIM_400000_NS6detail17trampoline_kernelINS0_14default_configENS1_20scan_config_selectorIiEEZZNS1_9scan_implILNS1_25lookback_scan_determinismE0ELb0ELb0ES3_N6thrust23THRUST_200600_302600_NS6detail15normal_iteratorINS9_10device_ptrIiEEEESE_iNS9_4plusIiEEiEEDaPvRmT3_T4_T5_mT6_P12ihipStream_tbENKUlT_T0_E_clISt17integral_constantIbLb1EEST_IbLb0EEEEDaSP_SQ_EUlSP_E_NS1_11comp_targetILNS1_3genE10ELNS1_11target_archE1200ELNS1_3gpuE4ELNS1_3repE0EEENS1_30default_config_static_selectorELNS0_4arch9wavefront6targetE1EEEvT1_,"axG",@progbits,_ZN7rocprim17ROCPRIM_400000_NS6detail17trampoline_kernelINS0_14default_configENS1_20scan_config_selectorIiEEZZNS1_9scan_implILNS1_25lookback_scan_determinismE0ELb0ELb0ES3_N6thrust23THRUST_200600_302600_NS6detail15normal_iteratorINS9_10device_ptrIiEEEESE_iNS9_4plusIiEEiEEDaPvRmT3_T4_T5_mT6_P12ihipStream_tbENKUlT_T0_E_clISt17integral_constantIbLb1EEST_IbLb0EEEEDaSP_SQ_EUlSP_E_NS1_11comp_targetILNS1_3genE10ELNS1_11target_archE1200ELNS1_3gpuE4ELNS1_3repE0EEENS1_30default_config_static_selectorELNS0_4arch9wavefront6targetE1EEEvT1_,comdat
.Lfunc_end557:
	.size	_ZN7rocprim17ROCPRIM_400000_NS6detail17trampoline_kernelINS0_14default_configENS1_20scan_config_selectorIiEEZZNS1_9scan_implILNS1_25lookback_scan_determinismE0ELb0ELb0ES3_N6thrust23THRUST_200600_302600_NS6detail15normal_iteratorINS9_10device_ptrIiEEEESE_iNS9_4plusIiEEiEEDaPvRmT3_T4_T5_mT6_P12ihipStream_tbENKUlT_T0_E_clISt17integral_constantIbLb1EEST_IbLb0EEEEDaSP_SQ_EUlSP_E_NS1_11comp_targetILNS1_3genE10ELNS1_11target_archE1200ELNS1_3gpuE4ELNS1_3repE0EEENS1_30default_config_static_selectorELNS0_4arch9wavefront6targetE1EEEvT1_, .Lfunc_end557-_ZN7rocprim17ROCPRIM_400000_NS6detail17trampoline_kernelINS0_14default_configENS1_20scan_config_selectorIiEEZZNS1_9scan_implILNS1_25lookback_scan_determinismE0ELb0ELb0ES3_N6thrust23THRUST_200600_302600_NS6detail15normal_iteratorINS9_10device_ptrIiEEEESE_iNS9_4plusIiEEiEEDaPvRmT3_T4_T5_mT6_P12ihipStream_tbENKUlT_T0_E_clISt17integral_constantIbLb1EEST_IbLb0EEEEDaSP_SQ_EUlSP_E_NS1_11comp_targetILNS1_3genE10ELNS1_11target_archE1200ELNS1_3gpuE4ELNS1_3repE0EEENS1_30default_config_static_selectorELNS0_4arch9wavefront6targetE1EEEvT1_
                                        ; -- End function
	.section	.AMDGPU.csdata,"",@progbits
; Kernel info:
; codeLenInByte = 0
; NumSgprs: 4
; NumVgprs: 0
; NumAgprs: 0
; TotalNumVgprs: 0
; ScratchSize: 0
; MemoryBound: 0
; FloatMode: 240
; IeeeMode: 1
; LDSByteSize: 0 bytes/workgroup (compile time only)
; SGPRBlocks: 0
; VGPRBlocks: 0
; NumSGPRsForWavesPerEU: 4
; NumVGPRsForWavesPerEU: 1
; AccumOffset: 4
; Occupancy: 8
; WaveLimiterHint : 0
; COMPUTE_PGM_RSRC2:SCRATCH_EN: 0
; COMPUTE_PGM_RSRC2:USER_SGPR: 6
; COMPUTE_PGM_RSRC2:TRAP_HANDLER: 0
; COMPUTE_PGM_RSRC2:TGID_X_EN: 1
; COMPUTE_PGM_RSRC2:TGID_Y_EN: 0
; COMPUTE_PGM_RSRC2:TGID_Z_EN: 0
; COMPUTE_PGM_RSRC2:TIDIG_COMP_CNT: 0
; COMPUTE_PGM_RSRC3_GFX90A:ACCUM_OFFSET: 0
; COMPUTE_PGM_RSRC3_GFX90A:TG_SPLIT: 0
	.section	.text._ZN7rocprim17ROCPRIM_400000_NS6detail17trampoline_kernelINS0_14default_configENS1_20scan_config_selectorIiEEZZNS1_9scan_implILNS1_25lookback_scan_determinismE0ELb0ELb0ES3_N6thrust23THRUST_200600_302600_NS6detail15normal_iteratorINS9_10device_ptrIiEEEESE_iNS9_4plusIiEEiEEDaPvRmT3_T4_T5_mT6_P12ihipStream_tbENKUlT_T0_E_clISt17integral_constantIbLb1EEST_IbLb0EEEEDaSP_SQ_EUlSP_E_NS1_11comp_targetILNS1_3genE9ELNS1_11target_archE1100ELNS1_3gpuE3ELNS1_3repE0EEENS1_30default_config_static_selectorELNS0_4arch9wavefront6targetE1EEEvT1_,"axG",@progbits,_ZN7rocprim17ROCPRIM_400000_NS6detail17trampoline_kernelINS0_14default_configENS1_20scan_config_selectorIiEEZZNS1_9scan_implILNS1_25lookback_scan_determinismE0ELb0ELb0ES3_N6thrust23THRUST_200600_302600_NS6detail15normal_iteratorINS9_10device_ptrIiEEEESE_iNS9_4plusIiEEiEEDaPvRmT3_T4_T5_mT6_P12ihipStream_tbENKUlT_T0_E_clISt17integral_constantIbLb1EEST_IbLb0EEEEDaSP_SQ_EUlSP_E_NS1_11comp_targetILNS1_3genE9ELNS1_11target_archE1100ELNS1_3gpuE3ELNS1_3repE0EEENS1_30default_config_static_selectorELNS0_4arch9wavefront6targetE1EEEvT1_,comdat
	.protected	_ZN7rocprim17ROCPRIM_400000_NS6detail17trampoline_kernelINS0_14default_configENS1_20scan_config_selectorIiEEZZNS1_9scan_implILNS1_25lookback_scan_determinismE0ELb0ELb0ES3_N6thrust23THRUST_200600_302600_NS6detail15normal_iteratorINS9_10device_ptrIiEEEESE_iNS9_4plusIiEEiEEDaPvRmT3_T4_T5_mT6_P12ihipStream_tbENKUlT_T0_E_clISt17integral_constantIbLb1EEST_IbLb0EEEEDaSP_SQ_EUlSP_E_NS1_11comp_targetILNS1_3genE9ELNS1_11target_archE1100ELNS1_3gpuE3ELNS1_3repE0EEENS1_30default_config_static_selectorELNS0_4arch9wavefront6targetE1EEEvT1_ ; -- Begin function _ZN7rocprim17ROCPRIM_400000_NS6detail17trampoline_kernelINS0_14default_configENS1_20scan_config_selectorIiEEZZNS1_9scan_implILNS1_25lookback_scan_determinismE0ELb0ELb0ES3_N6thrust23THRUST_200600_302600_NS6detail15normal_iteratorINS9_10device_ptrIiEEEESE_iNS9_4plusIiEEiEEDaPvRmT3_T4_T5_mT6_P12ihipStream_tbENKUlT_T0_E_clISt17integral_constantIbLb1EEST_IbLb0EEEEDaSP_SQ_EUlSP_E_NS1_11comp_targetILNS1_3genE9ELNS1_11target_archE1100ELNS1_3gpuE3ELNS1_3repE0EEENS1_30default_config_static_selectorELNS0_4arch9wavefront6targetE1EEEvT1_
	.globl	_ZN7rocprim17ROCPRIM_400000_NS6detail17trampoline_kernelINS0_14default_configENS1_20scan_config_selectorIiEEZZNS1_9scan_implILNS1_25lookback_scan_determinismE0ELb0ELb0ES3_N6thrust23THRUST_200600_302600_NS6detail15normal_iteratorINS9_10device_ptrIiEEEESE_iNS9_4plusIiEEiEEDaPvRmT3_T4_T5_mT6_P12ihipStream_tbENKUlT_T0_E_clISt17integral_constantIbLb1EEST_IbLb0EEEEDaSP_SQ_EUlSP_E_NS1_11comp_targetILNS1_3genE9ELNS1_11target_archE1100ELNS1_3gpuE3ELNS1_3repE0EEENS1_30default_config_static_selectorELNS0_4arch9wavefront6targetE1EEEvT1_
	.p2align	8
	.type	_ZN7rocprim17ROCPRIM_400000_NS6detail17trampoline_kernelINS0_14default_configENS1_20scan_config_selectorIiEEZZNS1_9scan_implILNS1_25lookback_scan_determinismE0ELb0ELb0ES3_N6thrust23THRUST_200600_302600_NS6detail15normal_iteratorINS9_10device_ptrIiEEEESE_iNS9_4plusIiEEiEEDaPvRmT3_T4_T5_mT6_P12ihipStream_tbENKUlT_T0_E_clISt17integral_constantIbLb1EEST_IbLb0EEEEDaSP_SQ_EUlSP_E_NS1_11comp_targetILNS1_3genE9ELNS1_11target_archE1100ELNS1_3gpuE3ELNS1_3repE0EEENS1_30default_config_static_selectorELNS0_4arch9wavefront6targetE1EEEvT1_,@function
_ZN7rocprim17ROCPRIM_400000_NS6detail17trampoline_kernelINS0_14default_configENS1_20scan_config_selectorIiEEZZNS1_9scan_implILNS1_25lookback_scan_determinismE0ELb0ELb0ES3_N6thrust23THRUST_200600_302600_NS6detail15normal_iteratorINS9_10device_ptrIiEEEESE_iNS9_4plusIiEEiEEDaPvRmT3_T4_T5_mT6_P12ihipStream_tbENKUlT_T0_E_clISt17integral_constantIbLb1EEST_IbLb0EEEEDaSP_SQ_EUlSP_E_NS1_11comp_targetILNS1_3genE9ELNS1_11target_archE1100ELNS1_3gpuE3ELNS1_3repE0EEENS1_30default_config_static_selectorELNS0_4arch9wavefront6targetE1EEEvT1_: ; @_ZN7rocprim17ROCPRIM_400000_NS6detail17trampoline_kernelINS0_14default_configENS1_20scan_config_selectorIiEEZZNS1_9scan_implILNS1_25lookback_scan_determinismE0ELb0ELb0ES3_N6thrust23THRUST_200600_302600_NS6detail15normal_iteratorINS9_10device_ptrIiEEEESE_iNS9_4plusIiEEiEEDaPvRmT3_T4_T5_mT6_P12ihipStream_tbENKUlT_T0_E_clISt17integral_constantIbLb1EEST_IbLb0EEEEDaSP_SQ_EUlSP_E_NS1_11comp_targetILNS1_3genE9ELNS1_11target_archE1100ELNS1_3gpuE3ELNS1_3repE0EEENS1_30default_config_static_selectorELNS0_4arch9wavefront6targetE1EEEvT1_
; %bb.0:
	.section	.rodata,"a",@progbits
	.p2align	6, 0x0
	.amdhsa_kernel _ZN7rocprim17ROCPRIM_400000_NS6detail17trampoline_kernelINS0_14default_configENS1_20scan_config_selectorIiEEZZNS1_9scan_implILNS1_25lookback_scan_determinismE0ELb0ELb0ES3_N6thrust23THRUST_200600_302600_NS6detail15normal_iteratorINS9_10device_ptrIiEEEESE_iNS9_4plusIiEEiEEDaPvRmT3_T4_T5_mT6_P12ihipStream_tbENKUlT_T0_E_clISt17integral_constantIbLb1EEST_IbLb0EEEEDaSP_SQ_EUlSP_E_NS1_11comp_targetILNS1_3genE9ELNS1_11target_archE1100ELNS1_3gpuE3ELNS1_3repE0EEENS1_30default_config_static_selectorELNS0_4arch9wavefront6targetE1EEEvT1_
		.amdhsa_group_segment_fixed_size 0
		.amdhsa_private_segment_fixed_size 0
		.amdhsa_kernarg_size 96
		.amdhsa_user_sgpr_count 6
		.amdhsa_user_sgpr_private_segment_buffer 1
		.amdhsa_user_sgpr_dispatch_ptr 0
		.amdhsa_user_sgpr_queue_ptr 0
		.amdhsa_user_sgpr_kernarg_segment_ptr 1
		.amdhsa_user_sgpr_dispatch_id 0
		.amdhsa_user_sgpr_flat_scratch_init 0
		.amdhsa_user_sgpr_kernarg_preload_length 0
		.amdhsa_user_sgpr_kernarg_preload_offset 0
		.amdhsa_user_sgpr_private_segment_size 0
		.amdhsa_uses_dynamic_stack 0
		.amdhsa_system_sgpr_private_segment_wavefront_offset 0
		.amdhsa_system_sgpr_workgroup_id_x 1
		.amdhsa_system_sgpr_workgroup_id_y 0
		.amdhsa_system_sgpr_workgroup_id_z 0
		.amdhsa_system_sgpr_workgroup_info 0
		.amdhsa_system_vgpr_workitem_id 0
		.amdhsa_next_free_vgpr 1
		.amdhsa_next_free_sgpr 0
		.amdhsa_accum_offset 4
		.amdhsa_reserve_vcc 0
		.amdhsa_reserve_flat_scratch 0
		.amdhsa_float_round_mode_32 0
		.amdhsa_float_round_mode_16_64 0
		.amdhsa_float_denorm_mode_32 3
		.amdhsa_float_denorm_mode_16_64 3
		.amdhsa_dx10_clamp 1
		.amdhsa_ieee_mode 1
		.amdhsa_fp16_overflow 0
		.amdhsa_tg_split 0
		.amdhsa_exception_fp_ieee_invalid_op 0
		.amdhsa_exception_fp_denorm_src 0
		.amdhsa_exception_fp_ieee_div_zero 0
		.amdhsa_exception_fp_ieee_overflow 0
		.amdhsa_exception_fp_ieee_underflow 0
		.amdhsa_exception_fp_ieee_inexact 0
		.amdhsa_exception_int_div_zero 0
	.end_amdhsa_kernel
	.section	.text._ZN7rocprim17ROCPRIM_400000_NS6detail17trampoline_kernelINS0_14default_configENS1_20scan_config_selectorIiEEZZNS1_9scan_implILNS1_25lookback_scan_determinismE0ELb0ELb0ES3_N6thrust23THRUST_200600_302600_NS6detail15normal_iteratorINS9_10device_ptrIiEEEESE_iNS9_4plusIiEEiEEDaPvRmT3_T4_T5_mT6_P12ihipStream_tbENKUlT_T0_E_clISt17integral_constantIbLb1EEST_IbLb0EEEEDaSP_SQ_EUlSP_E_NS1_11comp_targetILNS1_3genE9ELNS1_11target_archE1100ELNS1_3gpuE3ELNS1_3repE0EEENS1_30default_config_static_selectorELNS0_4arch9wavefront6targetE1EEEvT1_,"axG",@progbits,_ZN7rocprim17ROCPRIM_400000_NS6detail17trampoline_kernelINS0_14default_configENS1_20scan_config_selectorIiEEZZNS1_9scan_implILNS1_25lookback_scan_determinismE0ELb0ELb0ES3_N6thrust23THRUST_200600_302600_NS6detail15normal_iteratorINS9_10device_ptrIiEEEESE_iNS9_4plusIiEEiEEDaPvRmT3_T4_T5_mT6_P12ihipStream_tbENKUlT_T0_E_clISt17integral_constantIbLb1EEST_IbLb0EEEEDaSP_SQ_EUlSP_E_NS1_11comp_targetILNS1_3genE9ELNS1_11target_archE1100ELNS1_3gpuE3ELNS1_3repE0EEENS1_30default_config_static_selectorELNS0_4arch9wavefront6targetE1EEEvT1_,comdat
.Lfunc_end558:
	.size	_ZN7rocprim17ROCPRIM_400000_NS6detail17trampoline_kernelINS0_14default_configENS1_20scan_config_selectorIiEEZZNS1_9scan_implILNS1_25lookback_scan_determinismE0ELb0ELb0ES3_N6thrust23THRUST_200600_302600_NS6detail15normal_iteratorINS9_10device_ptrIiEEEESE_iNS9_4plusIiEEiEEDaPvRmT3_T4_T5_mT6_P12ihipStream_tbENKUlT_T0_E_clISt17integral_constantIbLb1EEST_IbLb0EEEEDaSP_SQ_EUlSP_E_NS1_11comp_targetILNS1_3genE9ELNS1_11target_archE1100ELNS1_3gpuE3ELNS1_3repE0EEENS1_30default_config_static_selectorELNS0_4arch9wavefront6targetE1EEEvT1_, .Lfunc_end558-_ZN7rocprim17ROCPRIM_400000_NS6detail17trampoline_kernelINS0_14default_configENS1_20scan_config_selectorIiEEZZNS1_9scan_implILNS1_25lookback_scan_determinismE0ELb0ELb0ES3_N6thrust23THRUST_200600_302600_NS6detail15normal_iteratorINS9_10device_ptrIiEEEESE_iNS9_4plusIiEEiEEDaPvRmT3_T4_T5_mT6_P12ihipStream_tbENKUlT_T0_E_clISt17integral_constantIbLb1EEST_IbLb0EEEEDaSP_SQ_EUlSP_E_NS1_11comp_targetILNS1_3genE9ELNS1_11target_archE1100ELNS1_3gpuE3ELNS1_3repE0EEENS1_30default_config_static_selectorELNS0_4arch9wavefront6targetE1EEEvT1_
                                        ; -- End function
	.section	.AMDGPU.csdata,"",@progbits
; Kernel info:
; codeLenInByte = 0
; NumSgprs: 4
; NumVgprs: 0
; NumAgprs: 0
; TotalNumVgprs: 0
; ScratchSize: 0
; MemoryBound: 0
; FloatMode: 240
; IeeeMode: 1
; LDSByteSize: 0 bytes/workgroup (compile time only)
; SGPRBlocks: 0
; VGPRBlocks: 0
; NumSGPRsForWavesPerEU: 4
; NumVGPRsForWavesPerEU: 1
; AccumOffset: 4
; Occupancy: 8
; WaveLimiterHint : 0
; COMPUTE_PGM_RSRC2:SCRATCH_EN: 0
; COMPUTE_PGM_RSRC2:USER_SGPR: 6
; COMPUTE_PGM_RSRC2:TRAP_HANDLER: 0
; COMPUTE_PGM_RSRC2:TGID_X_EN: 1
; COMPUTE_PGM_RSRC2:TGID_Y_EN: 0
; COMPUTE_PGM_RSRC2:TGID_Z_EN: 0
; COMPUTE_PGM_RSRC2:TIDIG_COMP_CNT: 0
; COMPUTE_PGM_RSRC3_GFX90A:ACCUM_OFFSET: 0
; COMPUTE_PGM_RSRC3_GFX90A:TG_SPLIT: 0
	.section	.text._ZN7rocprim17ROCPRIM_400000_NS6detail17trampoline_kernelINS0_14default_configENS1_20scan_config_selectorIiEEZZNS1_9scan_implILNS1_25lookback_scan_determinismE0ELb0ELb0ES3_N6thrust23THRUST_200600_302600_NS6detail15normal_iteratorINS9_10device_ptrIiEEEESE_iNS9_4plusIiEEiEEDaPvRmT3_T4_T5_mT6_P12ihipStream_tbENKUlT_T0_E_clISt17integral_constantIbLb1EEST_IbLb0EEEEDaSP_SQ_EUlSP_E_NS1_11comp_targetILNS1_3genE8ELNS1_11target_archE1030ELNS1_3gpuE2ELNS1_3repE0EEENS1_30default_config_static_selectorELNS0_4arch9wavefront6targetE1EEEvT1_,"axG",@progbits,_ZN7rocprim17ROCPRIM_400000_NS6detail17trampoline_kernelINS0_14default_configENS1_20scan_config_selectorIiEEZZNS1_9scan_implILNS1_25lookback_scan_determinismE0ELb0ELb0ES3_N6thrust23THRUST_200600_302600_NS6detail15normal_iteratorINS9_10device_ptrIiEEEESE_iNS9_4plusIiEEiEEDaPvRmT3_T4_T5_mT6_P12ihipStream_tbENKUlT_T0_E_clISt17integral_constantIbLb1EEST_IbLb0EEEEDaSP_SQ_EUlSP_E_NS1_11comp_targetILNS1_3genE8ELNS1_11target_archE1030ELNS1_3gpuE2ELNS1_3repE0EEENS1_30default_config_static_selectorELNS0_4arch9wavefront6targetE1EEEvT1_,comdat
	.protected	_ZN7rocprim17ROCPRIM_400000_NS6detail17trampoline_kernelINS0_14default_configENS1_20scan_config_selectorIiEEZZNS1_9scan_implILNS1_25lookback_scan_determinismE0ELb0ELb0ES3_N6thrust23THRUST_200600_302600_NS6detail15normal_iteratorINS9_10device_ptrIiEEEESE_iNS9_4plusIiEEiEEDaPvRmT3_T4_T5_mT6_P12ihipStream_tbENKUlT_T0_E_clISt17integral_constantIbLb1EEST_IbLb0EEEEDaSP_SQ_EUlSP_E_NS1_11comp_targetILNS1_3genE8ELNS1_11target_archE1030ELNS1_3gpuE2ELNS1_3repE0EEENS1_30default_config_static_selectorELNS0_4arch9wavefront6targetE1EEEvT1_ ; -- Begin function _ZN7rocprim17ROCPRIM_400000_NS6detail17trampoline_kernelINS0_14default_configENS1_20scan_config_selectorIiEEZZNS1_9scan_implILNS1_25lookback_scan_determinismE0ELb0ELb0ES3_N6thrust23THRUST_200600_302600_NS6detail15normal_iteratorINS9_10device_ptrIiEEEESE_iNS9_4plusIiEEiEEDaPvRmT3_T4_T5_mT6_P12ihipStream_tbENKUlT_T0_E_clISt17integral_constantIbLb1EEST_IbLb0EEEEDaSP_SQ_EUlSP_E_NS1_11comp_targetILNS1_3genE8ELNS1_11target_archE1030ELNS1_3gpuE2ELNS1_3repE0EEENS1_30default_config_static_selectorELNS0_4arch9wavefront6targetE1EEEvT1_
	.globl	_ZN7rocprim17ROCPRIM_400000_NS6detail17trampoline_kernelINS0_14default_configENS1_20scan_config_selectorIiEEZZNS1_9scan_implILNS1_25lookback_scan_determinismE0ELb0ELb0ES3_N6thrust23THRUST_200600_302600_NS6detail15normal_iteratorINS9_10device_ptrIiEEEESE_iNS9_4plusIiEEiEEDaPvRmT3_T4_T5_mT6_P12ihipStream_tbENKUlT_T0_E_clISt17integral_constantIbLb1EEST_IbLb0EEEEDaSP_SQ_EUlSP_E_NS1_11comp_targetILNS1_3genE8ELNS1_11target_archE1030ELNS1_3gpuE2ELNS1_3repE0EEENS1_30default_config_static_selectorELNS0_4arch9wavefront6targetE1EEEvT1_
	.p2align	8
	.type	_ZN7rocprim17ROCPRIM_400000_NS6detail17trampoline_kernelINS0_14default_configENS1_20scan_config_selectorIiEEZZNS1_9scan_implILNS1_25lookback_scan_determinismE0ELb0ELb0ES3_N6thrust23THRUST_200600_302600_NS6detail15normal_iteratorINS9_10device_ptrIiEEEESE_iNS9_4plusIiEEiEEDaPvRmT3_T4_T5_mT6_P12ihipStream_tbENKUlT_T0_E_clISt17integral_constantIbLb1EEST_IbLb0EEEEDaSP_SQ_EUlSP_E_NS1_11comp_targetILNS1_3genE8ELNS1_11target_archE1030ELNS1_3gpuE2ELNS1_3repE0EEENS1_30default_config_static_selectorELNS0_4arch9wavefront6targetE1EEEvT1_,@function
_ZN7rocprim17ROCPRIM_400000_NS6detail17trampoline_kernelINS0_14default_configENS1_20scan_config_selectorIiEEZZNS1_9scan_implILNS1_25lookback_scan_determinismE0ELb0ELb0ES3_N6thrust23THRUST_200600_302600_NS6detail15normal_iteratorINS9_10device_ptrIiEEEESE_iNS9_4plusIiEEiEEDaPvRmT3_T4_T5_mT6_P12ihipStream_tbENKUlT_T0_E_clISt17integral_constantIbLb1EEST_IbLb0EEEEDaSP_SQ_EUlSP_E_NS1_11comp_targetILNS1_3genE8ELNS1_11target_archE1030ELNS1_3gpuE2ELNS1_3repE0EEENS1_30default_config_static_selectorELNS0_4arch9wavefront6targetE1EEEvT1_: ; @_ZN7rocprim17ROCPRIM_400000_NS6detail17trampoline_kernelINS0_14default_configENS1_20scan_config_selectorIiEEZZNS1_9scan_implILNS1_25lookback_scan_determinismE0ELb0ELb0ES3_N6thrust23THRUST_200600_302600_NS6detail15normal_iteratorINS9_10device_ptrIiEEEESE_iNS9_4plusIiEEiEEDaPvRmT3_T4_T5_mT6_P12ihipStream_tbENKUlT_T0_E_clISt17integral_constantIbLb1EEST_IbLb0EEEEDaSP_SQ_EUlSP_E_NS1_11comp_targetILNS1_3genE8ELNS1_11target_archE1030ELNS1_3gpuE2ELNS1_3repE0EEENS1_30default_config_static_selectorELNS0_4arch9wavefront6targetE1EEEvT1_
; %bb.0:
	.section	.rodata,"a",@progbits
	.p2align	6, 0x0
	.amdhsa_kernel _ZN7rocprim17ROCPRIM_400000_NS6detail17trampoline_kernelINS0_14default_configENS1_20scan_config_selectorIiEEZZNS1_9scan_implILNS1_25lookback_scan_determinismE0ELb0ELb0ES3_N6thrust23THRUST_200600_302600_NS6detail15normal_iteratorINS9_10device_ptrIiEEEESE_iNS9_4plusIiEEiEEDaPvRmT3_T4_T5_mT6_P12ihipStream_tbENKUlT_T0_E_clISt17integral_constantIbLb1EEST_IbLb0EEEEDaSP_SQ_EUlSP_E_NS1_11comp_targetILNS1_3genE8ELNS1_11target_archE1030ELNS1_3gpuE2ELNS1_3repE0EEENS1_30default_config_static_selectorELNS0_4arch9wavefront6targetE1EEEvT1_
		.amdhsa_group_segment_fixed_size 0
		.amdhsa_private_segment_fixed_size 0
		.amdhsa_kernarg_size 96
		.amdhsa_user_sgpr_count 6
		.amdhsa_user_sgpr_private_segment_buffer 1
		.amdhsa_user_sgpr_dispatch_ptr 0
		.amdhsa_user_sgpr_queue_ptr 0
		.amdhsa_user_sgpr_kernarg_segment_ptr 1
		.amdhsa_user_sgpr_dispatch_id 0
		.amdhsa_user_sgpr_flat_scratch_init 0
		.amdhsa_user_sgpr_kernarg_preload_length 0
		.amdhsa_user_sgpr_kernarg_preload_offset 0
		.amdhsa_user_sgpr_private_segment_size 0
		.amdhsa_uses_dynamic_stack 0
		.amdhsa_system_sgpr_private_segment_wavefront_offset 0
		.amdhsa_system_sgpr_workgroup_id_x 1
		.amdhsa_system_sgpr_workgroup_id_y 0
		.amdhsa_system_sgpr_workgroup_id_z 0
		.amdhsa_system_sgpr_workgroup_info 0
		.amdhsa_system_vgpr_workitem_id 0
		.amdhsa_next_free_vgpr 1
		.amdhsa_next_free_sgpr 0
		.amdhsa_accum_offset 4
		.amdhsa_reserve_vcc 0
		.amdhsa_reserve_flat_scratch 0
		.amdhsa_float_round_mode_32 0
		.amdhsa_float_round_mode_16_64 0
		.amdhsa_float_denorm_mode_32 3
		.amdhsa_float_denorm_mode_16_64 3
		.amdhsa_dx10_clamp 1
		.amdhsa_ieee_mode 1
		.amdhsa_fp16_overflow 0
		.amdhsa_tg_split 0
		.amdhsa_exception_fp_ieee_invalid_op 0
		.amdhsa_exception_fp_denorm_src 0
		.amdhsa_exception_fp_ieee_div_zero 0
		.amdhsa_exception_fp_ieee_overflow 0
		.amdhsa_exception_fp_ieee_underflow 0
		.amdhsa_exception_fp_ieee_inexact 0
		.amdhsa_exception_int_div_zero 0
	.end_amdhsa_kernel
	.section	.text._ZN7rocprim17ROCPRIM_400000_NS6detail17trampoline_kernelINS0_14default_configENS1_20scan_config_selectorIiEEZZNS1_9scan_implILNS1_25lookback_scan_determinismE0ELb0ELb0ES3_N6thrust23THRUST_200600_302600_NS6detail15normal_iteratorINS9_10device_ptrIiEEEESE_iNS9_4plusIiEEiEEDaPvRmT3_T4_T5_mT6_P12ihipStream_tbENKUlT_T0_E_clISt17integral_constantIbLb1EEST_IbLb0EEEEDaSP_SQ_EUlSP_E_NS1_11comp_targetILNS1_3genE8ELNS1_11target_archE1030ELNS1_3gpuE2ELNS1_3repE0EEENS1_30default_config_static_selectorELNS0_4arch9wavefront6targetE1EEEvT1_,"axG",@progbits,_ZN7rocprim17ROCPRIM_400000_NS6detail17trampoline_kernelINS0_14default_configENS1_20scan_config_selectorIiEEZZNS1_9scan_implILNS1_25lookback_scan_determinismE0ELb0ELb0ES3_N6thrust23THRUST_200600_302600_NS6detail15normal_iteratorINS9_10device_ptrIiEEEESE_iNS9_4plusIiEEiEEDaPvRmT3_T4_T5_mT6_P12ihipStream_tbENKUlT_T0_E_clISt17integral_constantIbLb1EEST_IbLb0EEEEDaSP_SQ_EUlSP_E_NS1_11comp_targetILNS1_3genE8ELNS1_11target_archE1030ELNS1_3gpuE2ELNS1_3repE0EEENS1_30default_config_static_selectorELNS0_4arch9wavefront6targetE1EEEvT1_,comdat
.Lfunc_end559:
	.size	_ZN7rocprim17ROCPRIM_400000_NS6detail17trampoline_kernelINS0_14default_configENS1_20scan_config_selectorIiEEZZNS1_9scan_implILNS1_25lookback_scan_determinismE0ELb0ELb0ES3_N6thrust23THRUST_200600_302600_NS6detail15normal_iteratorINS9_10device_ptrIiEEEESE_iNS9_4plusIiEEiEEDaPvRmT3_T4_T5_mT6_P12ihipStream_tbENKUlT_T0_E_clISt17integral_constantIbLb1EEST_IbLb0EEEEDaSP_SQ_EUlSP_E_NS1_11comp_targetILNS1_3genE8ELNS1_11target_archE1030ELNS1_3gpuE2ELNS1_3repE0EEENS1_30default_config_static_selectorELNS0_4arch9wavefront6targetE1EEEvT1_, .Lfunc_end559-_ZN7rocprim17ROCPRIM_400000_NS6detail17trampoline_kernelINS0_14default_configENS1_20scan_config_selectorIiEEZZNS1_9scan_implILNS1_25lookback_scan_determinismE0ELb0ELb0ES3_N6thrust23THRUST_200600_302600_NS6detail15normal_iteratorINS9_10device_ptrIiEEEESE_iNS9_4plusIiEEiEEDaPvRmT3_T4_T5_mT6_P12ihipStream_tbENKUlT_T0_E_clISt17integral_constantIbLb1EEST_IbLb0EEEEDaSP_SQ_EUlSP_E_NS1_11comp_targetILNS1_3genE8ELNS1_11target_archE1030ELNS1_3gpuE2ELNS1_3repE0EEENS1_30default_config_static_selectorELNS0_4arch9wavefront6targetE1EEEvT1_
                                        ; -- End function
	.section	.AMDGPU.csdata,"",@progbits
; Kernel info:
; codeLenInByte = 0
; NumSgprs: 4
; NumVgprs: 0
; NumAgprs: 0
; TotalNumVgprs: 0
; ScratchSize: 0
; MemoryBound: 0
; FloatMode: 240
; IeeeMode: 1
; LDSByteSize: 0 bytes/workgroup (compile time only)
; SGPRBlocks: 0
; VGPRBlocks: 0
; NumSGPRsForWavesPerEU: 4
; NumVGPRsForWavesPerEU: 1
; AccumOffset: 4
; Occupancy: 8
; WaveLimiterHint : 0
; COMPUTE_PGM_RSRC2:SCRATCH_EN: 0
; COMPUTE_PGM_RSRC2:USER_SGPR: 6
; COMPUTE_PGM_RSRC2:TRAP_HANDLER: 0
; COMPUTE_PGM_RSRC2:TGID_X_EN: 1
; COMPUTE_PGM_RSRC2:TGID_Y_EN: 0
; COMPUTE_PGM_RSRC2:TGID_Z_EN: 0
; COMPUTE_PGM_RSRC2:TIDIG_COMP_CNT: 0
; COMPUTE_PGM_RSRC3_GFX90A:ACCUM_OFFSET: 0
; COMPUTE_PGM_RSRC3_GFX90A:TG_SPLIT: 0
	.section	.text._ZN7rocprim17ROCPRIM_400000_NS6detail17trampoline_kernelINS0_14default_configENS1_20scan_config_selectorIiEEZZNS1_9scan_implILNS1_25lookback_scan_determinismE0ELb0ELb0ES3_N6thrust23THRUST_200600_302600_NS6detail15normal_iteratorINS9_10device_ptrIiEEEESE_iNS9_4plusIiEEiEEDaPvRmT3_T4_T5_mT6_P12ihipStream_tbENKUlT_T0_E_clISt17integral_constantIbLb1EEST_IbLb0EEEEDaSP_SQ_EUlSP_E0_NS1_11comp_targetILNS1_3genE0ELNS1_11target_archE4294967295ELNS1_3gpuE0ELNS1_3repE0EEENS1_30default_config_static_selectorELNS0_4arch9wavefront6targetE1EEEvT1_,"axG",@progbits,_ZN7rocprim17ROCPRIM_400000_NS6detail17trampoline_kernelINS0_14default_configENS1_20scan_config_selectorIiEEZZNS1_9scan_implILNS1_25lookback_scan_determinismE0ELb0ELb0ES3_N6thrust23THRUST_200600_302600_NS6detail15normal_iteratorINS9_10device_ptrIiEEEESE_iNS9_4plusIiEEiEEDaPvRmT3_T4_T5_mT6_P12ihipStream_tbENKUlT_T0_E_clISt17integral_constantIbLb1EEST_IbLb0EEEEDaSP_SQ_EUlSP_E0_NS1_11comp_targetILNS1_3genE0ELNS1_11target_archE4294967295ELNS1_3gpuE0ELNS1_3repE0EEENS1_30default_config_static_selectorELNS0_4arch9wavefront6targetE1EEEvT1_,comdat
	.protected	_ZN7rocprim17ROCPRIM_400000_NS6detail17trampoline_kernelINS0_14default_configENS1_20scan_config_selectorIiEEZZNS1_9scan_implILNS1_25lookback_scan_determinismE0ELb0ELb0ES3_N6thrust23THRUST_200600_302600_NS6detail15normal_iteratorINS9_10device_ptrIiEEEESE_iNS9_4plusIiEEiEEDaPvRmT3_T4_T5_mT6_P12ihipStream_tbENKUlT_T0_E_clISt17integral_constantIbLb1EEST_IbLb0EEEEDaSP_SQ_EUlSP_E0_NS1_11comp_targetILNS1_3genE0ELNS1_11target_archE4294967295ELNS1_3gpuE0ELNS1_3repE0EEENS1_30default_config_static_selectorELNS0_4arch9wavefront6targetE1EEEvT1_ ; -- Begin function _ZN7rocprim17ROCPRIM_400000_NS6detail17trampoline_kernelINS0_14default_configENS1_20scan_config_selectorIiEEZZNS1_9scan_implILNS1_25lookback_scan_determinismE0ELb0ELb0ES3_N6thrust23THRUST_200600_302600_NS6detail15normal_iteratorINS9_10device_ptrIiEEEESE_iNS9_4plusIiEEiEEDaPvRmT3_T4_T5_mT6_P12ihipStream_tbENKUlT_T0_E_clISt17integral_constantIbLb1EEST_IbLb0EEEEDaSP_SQ_EUlSP_E0_NS1_11comp_targetILNS1_3genE0ELNS1_11target_archE4294967295ELNS1_3gpuE0ELNS1_3repE0EEENS1_30default_config_static_selectorELNS0_4arch9wavefront6targetE1EEEvT1_
	.globl	_ZN7rocprim17ROCPRIM_400000_NS6detail17trampoline_kernelINS0_14default_configENS1_20scan_config_selectorIiEEZZNS1_9scan_implILNS1_25lookback_scan_determinismE0ELb0ELb0ES3_N6thrust23THRUST_200600_302600_NS6detail15normal_iteratorINS9_10device_ptrIiEEEESE_iNS9_4plusIiEEiEEDaPvRmT3_T4_T5_mT6_P12ihipStream_tbENKUlT_T0_E_clISt17integral_constantIbLb1EEST_IbLb0EEEEDaSP_SQ_EUlSP_E0_NS1_11comp_targetILNS1_3genE0ELNS1_11target_archE4294967295ELNS1_3gpuE0ELNS1_3repE0EEENS1_30default_config_static_selectorELNS0_4arch9wavefront6targetE1EEEvT1_
	.p2align	8
	.type	_ZN7rocprim17ROCPRIM_400000_NS6detail17trampoline_kernelINS0_14default_configENS1_20scan_config_selectorIiEEZZNS1_9scan_implILNS1_25lookback_scan_determinismE0ELb0ELb0ES3_N6thrust23THRUST_200600_302600_NS6detail15normal_iteratorINS9_10device_ptrIiEEEESE_iNS9_4plusIiEEiEEDaPvRmT3_T4_T5_mT6_P12ihipStream_tbENKUlT_T0_E_clISt17integral_constantIbLb1EEST_IbLb0EEEEDaSP_SQ_EUlSP_E0_NS1_11comp_targetILNS1_3genE0ELNS1_11target_archE4294967295ELNS1_3gpuE0ELNS1_3repE0EEENS1_30default_config_static_selectorELNS0_4arch9wavefront6targetE1EEEvT1_,@function
_ZN7rocprim17ROCPRIM_400000_NS6detail17trampoline_kernelINS0_14default_configENS1_20scan_config_selectorIiEEZZNS1_9scan_implILNS1_25lookback_scan_determinismE0ELb0ELb0ES3_N6thrust23THRUST_200600_302600_NS6detail15normal_iteratorINS9_10device_ptrIiEEEESE_iNS9_4plusIiEEiEEDaPvRmT3_T4_T5_mT6_P12ihipStream_tbENKUlT_T0_E_clISt17integral_constantIbLb1EEST_IbLb0EEEEDaSP_SQ_EUlSP_E0_NS1_11comp_targetILNS1_3genE0ELNS1_11target_archE4294967295ELNS1_3gpuE0ELNS1_3repE0EEENS1_30default_config_static_selectorELNS0_4arch9wavefront6targetE1EEEvT1_: ; @_ZN7rocprim17ROCPRIM_400000_NS6detail17trampoline_kernelINS0_14default_configENS1_20scan_config_selectorIiEEZZNS1_9scan_implILNS1_25lookback_scan_determinismE0ELb0ELb0ES3_N6thrust23THRUST_200600_302600_NS6detail15normal_iteratorINS9_10device_ptrIiEEEESE_iNS9_4plusIiEEiEEDaPvRmT3_T4_T5_mT6_P12ihipStream_tbENKUlT_T0_E_clISt17integral_constantIbLb1EEST_IbLb0EEEEDaSP_SQ_EUlSP_E0_NS1_11comp_targetILNS1_3genE0ELNS1_11target_archE4294967295ELNS1_3gpuE0ELNS1_3repE0EEENS1_30default_config_static_selectorELNS0_4arch9wavefront6targetE1EEEvT1_
; %bb.0:
	.section	.rodata,"a",@progbits
	.p2align	6, 0x0
	.amdhsa_kernel _ZN7rocprim17ROCPRIM_400000_NS6detail17trampoline_kernelINS0_14default_configENS1_20scan_config_selectorIiEEZZNS1_9scan_implILNS1_25lookback_scan_determinismE0ELb0ELb0ES3_N6thrust23THRUST_200600_302600_NS6detail15normal_iteratorINS9_10device_ptrIiEEEESE_iNS9_4plusIiEEiEEDaPvRmT3_T4_T5_mT6_P12ihipStream_tbENKUlT_T0_E_clISt17integral_constantIbLb1EEST_IbLb0EEEEDaSP_SQ_EUlSP_E0_NS1_11comp_targetILNS1_3genE0ELNS1_11target_archE4294967295ELNS1_3gpuE0ELNS1_3repE0EEENS1_30default_config_static_selectorELNS0_4arch9wavefront6targetE1EEEvT1_
		.amdhsa_group_segment_fixed_size 0
		.amdhsa_private_segment_fixed_size 0
		.amdhsa_kernarg_size 32
		.amdhsa_user_sgpr_count 6
		.amdhsa_user_sgpr_private_segment_buffer 1
		.amdhsa_user_sgpr_dispatch_ptr 0
		.amdhsa_user_sgpr_queue_ptr 0
		.amdhsa_user_sgpr_kernarg_segment_ptr 1
		.amdhsa_user_sgpr_dispatch_id 0
		.amdhsa_user_sgpr_flat_scratch_init 0
		.amdhsa_user_sgpr_kernarg_preload_length 0
		.amdhsa_user_sgpr_kernarg_preload_offset 0
		.amdhsa_user_sgpr_private_segment_size 0
		.amdhsa_uses_dynamic_stack 0
		.amdhsa_system_sgpr_private_segment_wavefront_offset 0
		.amdhsa_system_sgpr_workgroup_id_x 1
		.amdhsa_system_sgpr_workgroup_id_y 0
		.amdhsa_system_sgpr_workgroup_id_z 0
		.amdhsa_system_sgpr_workgroup_info 0
		.amdhsa_system_vgpr_workitem_id 0
		.amdhsa_next_free_vgpr 1
		.amdhsa_next_free_sgpr 0
		.amdhsa_accum_offset 4
		.amdhsa_reserve_vcc 0
		.amdhsa_reserve_flat_scratch 0
		.amdhsa_float_round_mode_32 0
		.amdhsa_float_round_mode_16_64 0
		.amdhsa_float_denorm_mode_32 3
		.amdhsa_float_denorm_mode_16_64 3
		.amdhsa_dx10_clamp 1
		.amdhsa_ieee_mode 1
		.amdhsa_fp16_overflow 0
		.amdhsa_tg_split 0
		.amdhsa_exception_fp_ieee_invalid_op 0
		.amdhsa_exception_fp_denorm_src 0
		.amdhsa_exception_fp_ieee_div_zero 0
		.amdhsa_exception_fp_ieee_overflow 0
		.amdhsa_exception_fp_ieee_underflow 0
		.amdhsa_exception_fp_ieee_inexact 0
		.amdhsa_exception_int_div_zero 0
	.end_amdhsa_kernel
	.section	.text._ZN7rocprim17ROCPRIM_400000_NS6detail17trampoline_kernelINS0_14default_configENS1_20scan_config_selectorIiEEZZNS1_9scan_implILNS1_25lookback_scan_determinismE0ELb0ELb0ES3_N6thrust23THRUST_200600_302600_NS6detail15normal_iteratorINS9_10device_ptrIiEEEESE_iNS9_4plusIiEEiEEDaPvRmT3_T4_T5_mT6_P12ihipStream_tbENKUlT_T0_E_clISt17integral_constantIbLb1EEST_IbLb0EEEEDaSP_SQ_EUlSP_E0_NS1_11comp_targetILNS1_3genE0ELNS1_11target_archE4294967295ELNS1_3gpuE0ELNS1_3repE0EEENS1_30default_config_static_selectorELNS0_4arch9wavefront6targetE1EEEvT1_,"axG",@progbits,_ZN7rocprim17ROCPRIM_400000_NS6detail17trampoline_kernelINS0_14default_configENS1_20scan_config_selectorIiEEZZNS1_9scan_implILNS1_25lookback_scan_determinismE0ELb0ELb0ES3_N6thrust23THRUST_200600_302600_NS6detail15normal_iteratorINS9_10device_ptrIiEEEESE_iNS9_4plusIiEEiEEDaPvRmT3_T4_T5_mT6_P12ihipStream_tbENKUlT_T0_E_clISt17integral_constantIbLb1EEST_IbLb0EEEEDaSP_SQ_EUlSP_E0_NS1_11comp_targetILNS1_3genE0ELNS1_11target_archE4294967295ELNS1_3gpuE0ELNS1_3repE0EEENS1_30default_config_static_selectorELNS0_4arch9wavefront6targetE1EEEvT1_,comdat
.Lfunc_end560:
	.size	_ZN7rocprim17ROCPRIM_400000_NS6detail17trampoline_kernelINS0_14default_configENS1_20scan_config_selectorIiEEZZNS1_9scan_implILNS1_25lookback_scan_determinismE0ELb0ELb0ES3_N6thrust23THRUST_200600_302600_NS6detail15normal_iteratorINS9_10device_ptrIiEEEESE_iNS9_4plusIiEEiEEDaPvRmT3_T4_T5_mT6_P12ihipStream_tbENKUlT_T0_E_clISt17integral_constantIbLb1EEST_IbLb0EEEEDaSP_SQ_EUlSP_E0_NS1_11comp_targetILNS1_3genE0ELNS1_11target_archE4294967295ELNS1_3gpuE0ELNS1_3repE0EEENS1_30default_config_static_selectorELNS0_4arch9wavefront6targetE1EEEvT1_, .Lfunc_end560-_ZN7rocprim17ROCPRIM_400000_NS6detail17trampoline_kernelINS0_14default_configENS1_20scan_config_selectorIiEEZZNS1_9scan_implILNS1_25lookback_scan_determinismE0ELb0ELb0ES3_N6thrust23THRUST_200600_302600_NS6detail15normal_iteratorINS9_10device_ptrIiEEEESE_iNS9_4plusIiEEiEEDaPvRmT3_T4_T5_mT6_P12ihipStream_tbENKUlT_T0_E_clISt17integral_constantIbLb1EEST_IbLb0EEEEDaSP_SQ_EUlSP_E0_NS1_11comp_targetILNS1_3genE0ELNS1_11target_archE4294967295ELNS1_3gpuE0ELNS1_3repE0EEENS1_30default_config_static_selectorELNS0_4arch9wavefront6targetE1EEEvT1_
                                        ; -- End function
	.section	.AMDGPU.csdata,"",@progbits
; Kernel info:
; codeLenInByte = 0
; NumSgprs: 4
; NumVgprs: 0
; NumAgprs: 0
; TotalNumVgprs: 0
; ScratchSize: 0
; MemoryBound: 0
; FloatMode: 240
; IeeeMode: 1
; LDSByteSize: 0 bytes/workgroup (compile time only)
; SGPRBlocks: 0
; VGPRBlocks: 0
; NumSGPRsForWavesPerEU: 4
; NumVGPRsForWavesPerEU: 1
; AccumOffset: 4
; Occupancy: 8
; WaveLimiterHint : 0
; COMPUTE_PGM_RSRC2:SCRATCH_EN: 0
; COMPUTE_PGM_RSRC2:USER_SGPR: 6
; COMPUTE_PGM_RSRC2:TRAP_HANDLER: 0
; COMPUTE_PGM_RSRC2:TGID_X_EN: 1
; COMPUTE_PGM_RSRC2:TGID_Y_EN: 0
; COMPUTE_PGM_RSRC2:TGID_Z_EN: 0
; COMPUTE_PGM_RSRC2:TIDIG_COMP_CNT: 0
; COMPUTE_PGM_RSRC3_GFX90A:ACCUM_OFFSET: 0
; COMPUTE_PGM_RSRC3_GFX90A:TG_SPLIT: 0
	.section	.text._ZN7rocprim17ROCPRIM_400000_NS6detail17trampoline_kernelINS0_14default_configENS1_20scan_config_selectorIiEEZZNS1_9scan_implILNS1_25lookback_scan_determinismE0ELb0ELb0ES3_N6thrust23THRUST_200600_302600_NS6detail15normal_iteratorINS9_10device_ptrIiEEEESE_iNS9_4plusIiEEiEEDaPvRmT3_T4_T5_mT6_P12ihipStream_tbENKUlT_T0_E_clISt17integral_constantIbLb1EEST_IbLb0EEEEDaSP_SQ_EUlSP_E0_NS1_11comp_targetILNS1_3genE5ELNS1_11target_archE942ELNS1_3gpuE9ELNS1_3repE0EEENS1_30default_config_static_selectorELNS0_4arch9wavefront6targetE1EEEvT1_,"axG",@progbits,_ZN7rocprim17ROCPRIM_400000_NS6detail17trampoline_kernelINS0_14default_configENS1_20scan_config_selectorIiEEZZNS1_9scan_implILNS1_25lookback_scan_determinismE0ELb0ELb0ES3_N6thrust23THRUST_200600_302600_NS6detail15normal_iteratorINS9_10device_ptrIiEEEESE_iNS9_4plusIiEEiEEDaPvRmT3_T4_T5_mT6_P12ihipStream_tbENKUlT_T0_E_clISt17integral_constantIbLb1EEST_IbLb0EEEEDaSP_SQ_EUlSP_E0_NS1_11comp_targetILNS1_3genE5ELNS1_11target_archE942ELNS1_3gpuE9ELNS1_3repE0EEENS1_30default_config_static_selectorELNS0_4arch9wavefront6targetE1EEEvT1_,comdat
	.protected	_ZN7rocprim17ROCPRIM_400000_NS6detail17trampoline_kernelINS0_14default_configENS1_20scan_config_selectorIiEEZZNS1_9scan_implILNS1_25lookback_scan_determinismE0ELb0ELb0ES3_N6thrust23THRUST_200600_302600_NS6detail15normal_iteratorINS9_10device_ptrIiEEEESE_iNS9_4plusIiEEiEEDaPvRmT3_T4_T5_mT6_P12ihipStream_tbENKUlT_T0_E_clISt17integral_constantIbLb1EEST_IbLb0EEEEDaSP_SQ_EUlSP_E0_NS1_11comp_targetILNS1_3genE5ELNS1_11target_archE942ELNS1_3gpuE9ELNS1_3repE0EEENS1_30default_config_static_selectorELNS0_4arch9wavefront6targetE1EEEvT1_ ; -- Begin function _ZN7rocprim17ROCPRIM_400000_NS6detail17trampoline_kernelINS0_14default_configENS1_20scan_config_selectorIiEEZZNS1_9scan_implILNS1_25lookback_scan_determinismE0ELb0ELb0ES3_N6thrust23THRUST_200600_302600_NS6detail15normal_iteratorINS9_10device_ptrIiEEEESE_iNS9_4plusIiEEiEEDaPvRmT3_T4_T5_mT6_P12ihipStream_tbENKUlT_T0_E_clISt17integral_constantIbLb1EEST_IbLb0EEEEDaSP_SQ_EUlSP_E0_NS1_11comp_targetILNS1_3genE5ELNS1_11target_archE942ELNS1_3gpuE9ELNS1_3repE0EEENS1_30default_config_static_selectorELNS0_4arch9wavefront6targetE1EEEvT1_
	.globl	_ZN7rocprim17ROCPRIM_400000_NS6detail17trampoline_kernelINS0_14default_configENS1_20scan_config_selectorIiEEZZNS1_9scan_implILNS1_25lookback_scan_determinismE0ELb0ELb0ES3_N6thrust23THRUST_200600_302600_NS6detail15normal_iteratorINS9_10device_ptrIiEEEESE_iNS9_4plusIiEEiEEDaPvRmT3_T4_T5_mT6_P12ihipStream_tbENKUlT_T0_E_clISt17integral_constantIbLb1EEST_IbLb0EEEEDaSP_SQ_EUlSP_E0_NS1_11comp_targetILNS1_3genE5ELNS1_11target_archE942ELNS1_3gpuE9ELNS1_3repE0EEENS1_30default_config_static_selectorELNS0_4arch9wavefront6targetE1EEEvT1_
	.p2align	8
	.type	_ZN7rocprim17ROCPRIM_400000_NS6detail17trampoline_kernelINS0_14default_configENS1_20scan_config_selectorIiEEZZNS1_9scan_implILNS1_25lookback_scan_determinismE0ELb0ELb0ES3_N6thrust23THRUST_200600_302600_NS6detail15normal_iteratorINS9_10device_ptrIiEEEESE_iNS9_4plusIiEEiEEDaPvRmT3_T4_T5_mT6_P12ihipStream_tbENKUlT_T0_E_clISt17integral_constantIbLb1EEST_IbLb0EEEEDaSP_SQ_EUlSP_E0_NS1_11comp_targetILNS1_3genE5ELNS1_11target_archE942ELNS1_3gpuE9ELNS1_3repE0EEENS1_30default_config_static_selectorELNS0_4arch9wavefront6targetE1EEEvT1_,@function
_ZN7rocprim17ROCPRIM_400000_NS6detail17trampoline_kernelINS0_14default_configENS1_20scan_config_selectorIiEEZZNS1_9scan_implILNS1_25lookback_scan_determinismE0ELb0ELb0ES3_N6thrust23THRUST_200600_302600_NS6detail15normal_iteratorINS9_10device_ptrIiEEEESE_iNS9_4plusIiEEiEEDaPvRmT3_T4_T5_mT6_P12ihipStream_tbENKUlT_T0_E_clISt17integral_constantIbLb1EEST_IbLb0EEEEDaSP_SQ_EUlSP_E0_NS1_11comp_targetILNS1_3genE5ELNS1_11target_archE942ELNS1_3gpuE9ELNS1_3repE0EEENS1_30default_config_static_selectorELNS0_4arch9wavefront6targetE1EEEvT1_: ; @_ZN7rocprim17ROCPRIM_400000_NS6detail17trampoline_kernelINS0_14default_configENS1_20scan_config_selectorIiEEZZNS1_9scan_implILNS1_25lookback_scan_determinismE0ELb0ELb0ES3_N6thrust23THRUST_200600_302600_NS6detail15normal_iteratorINS9_10device_ptrIiEEEESE_iNS9_4plusIiEEiEEDaPvRmT3_T4_T5_mT6_P12ihipStream_tbENKUlT_T0_E_clISt17integral_constantIbLb1EEST_IbLb0EEEEDaSP_SQ_EUlSP_E0_NS1_11comp_targetILNS1_3genE5ELNS1_11target_archE942ELNS1_3gpuE9ELNS1_3repE0EEENS1_30default_config_static_selectorELNS0_4arch9wavefront6targetE1EEEvT1_
; %bb.0:
	.section	.rodata,"a",@progbits
	.p2align	6, 0x0
	.amdhsa_kernel _ZN7rocprim17ROCPRIM_400000_NS6detail17trampoline_kernelINS0_14default_configENS1_20scan_config_selectorIiEEZZNS1_9scan_implILNS1_25lookback_scan_determinismE0ELb0ELb0ES3_N6thrust23THRUST_200600_302600_NS6detail15normal_iteratorINS9_10device_ptrIiEEEESE_iNS9_4plusIiEEiEEDaPvRmT3_T4_T5_mT6_P12ihipStream_tbENKUlT_T0_E_clISt17integral_constantIbLb1EEST_IbLb0EEEEDaSP_SQ_EUlSP_E0_NS1_11comp_targetILNS1_3genE5ELNS1_11target_archE942ELNS1_3gpuE9ELNS1_3repE0EEENS1_30default_config_static_selectorELNS0_4arch9wavefront6targetE1EEEvT1_
		.amdhsa_group_segment_fixed_size 0
		.amdhsa_private_segment_fixed_size 0
		.amdhsa_kernarg_size 32
		.amdhsa_user_sgpr_count 6
		.amdhsa_user_sgpr_private_segment_buffer 1
		.amdhsa_user_sgpr_dispatch_ptr 0
		.amdhsa_user_sgpr_queue_ptr 0
		.amdhsa_user_sgpr_kernarg_segment_ptr 1
		.amdhsa_user_sgpr_dispatch_id 0
		.amdhsa_user_sgpr_flat_scratch_init 0
		.amdhsa_user_sgpr_kernarg_preload_length 0
		.amdhsa_user_sgpr_kernarg_preload_offset 0
		.amdhsa_user_sgpr_private_segment_size 0
		.amdhsa_uses_dynamic_stack 0
		.amdhsa_system_sgpr_private_segment_wavefront_offset 0
		.amdhsa_system_sgpr_workgroup_id_x 1
		.amdhsa_system_sgpr_workgroup_id_y 0
		.amdhsa_system_sgpr_workgroup_id_z 0
		.amdhsa_system_sgpr_workgroup_info 0
		.amdhsa_system_vgpr_workitem_id 0
		.amdhsa_next_free_vgpr 1
		.amdhsa_next_free_sgpr 0
		.amdhsa_accum_offset 4
		.amdhsa_reserve_vcc 0
		.amdhsa_reserve_flat_scratch 0
		.amdhsa_float_round_mode_32 0
		.amdhsa_float_round_mode_16_64 0
		.amdhsa_float_denorm_mode_32 3
		.amdhsa_float_denorm_mode_16_64 3
		.amdhsa_dx10_clamp 1
		.amdhsa_ieee_mode 1
		.amdhsa_fp16_overflow 0
		.amdhsa_tg_split 0
		.amdhsa_exception_fp_ieee_invalid_op 0
		.amdhsa_exception_fp_denorm_src 0
		.amdhsa_exception_fp_ieee_div_zero 0
		.amdhsa_exception_fp_ieee_overflow 0
		.amdhsa_exception_fp_ieee_underflow 0
		.amdhsa_exception_fp_ieee_inexact 0
		.amdhsa_exception_int_div_zero 0
	.end_amdhsa_kernel
	.section	.text._ZN7rocprim17ROCPRIM_400000_NS6detail17trampoline_kernelINS0_14default_configENS1_20scan_config_selectorIiEEZZNS1_9scan_implILNS1_25lookback_scan_determinismE0ELb0ELb0ES3_N6thrust23THRUST_200600_302600_NS6detail15normal_iteratorINS9_10device_ptrIiEEEESE_iNS9_4plusIiEEiEEDaPvRmT3_T4_T5_mT6_P12ihipStream_tbENKUlT_T0_E_clISt17integral_constantIbLb1EEST_IbLb0EEEEDaSP_SQ_EUlSP_E0_NS1_11comp_targetILNS1_3genE5ELNS1_11target_archE942ELNS1_3gpuE9ELNS1_3repE0EEENS1_30default_config_static_selectorELNS0_4arch9wavefront6targetE1EEEvT1_,"axG",@progbits,_ZN7rocprim17ROCPRIM_400000_NS6detail17trampoline_kernelINS0_14default_configENS1_20scan_config_selectorIiEEZZNS1_9scan_implILNS1_25lookback_scan_determinismE0ELb0ELb0ES3_N6thrust23THRUST_200600_302600_NS6detail15normal_iteratorINS9_10device_ptrIiEEEESE_iNS9_4plusIiEEiEEDaPvRmT3_T4_T5_mT6_P12ihipStream_tbENKUlT_T0_E_clISt17integral_constantIbLb1EEST_IbLb0EEEEDaSP_SQ_EUlSP_E0_NS1_11comp_targetILNS1_3genE5ELNS1_11target_archE942ELNS1_3gpuE9ELNS1_3repE0EEENS1_30default_config_static_selectorELNS0_4arch9wavefront6targetE1EEEvT1_,comdat
.Lfunc_end561:
	.size	_ZN7rocprim17ROCPRIM_400000_NS6detail17trampoline_kernelINS0_14default_configENS1_20scan_config_selectorIiEEZZNS1_9scan_implILNS1_25lookback_scan_determinismE0ELb0ELb0ES3_N6thrust23THRUST_200600_302600_NS6detail15normal_iteratorINS9_10device_ptrIiEEEESE_iNS9_4plusIiEEiEEDaPvRmT3_T4_T5_mT6_P12ihipStream_tbENKUlT_T0_E_clISt17integral_constantIbLb1EEST_IbLb0EEEEDaSP_SQ_EUlSP_E0_NS1_11comp_targetILNS1_3genE5ELNS1_11target_archE942ELNS1_3gpuE9ELNS1_3repE0EEENS1_30default_config_static_selectorELNS0_4arch9wavefront6targetE1EEEvT1_, .Lfunc_end561-_ZN7rocprim17ROCPRIM_400000_NS6detail17trampoline_kernelINS0_14default_configENS1_20scan_config_selectorIiEEZZNS1_9scan_implILNS1_25lookback_scan_determinismE0ELb0ELb0ES3_N6thrust23THRUST_200600_302600_NS6detail15normal_iteratorINS9_10device_ptrIiEEEESE_iNS9_4plusIiEEiEEDaPvRmT3_T4_T5_mT6_P12ihipStream_tbENKUlT_T0_E_clISt17integral_constantIbLb1EEST_IbLb0EEEEDaSP_SQ_EUlSP_E0_NS1_11comp_targetILNS1_3genE5ELNS1_11target_archE942ELNS1_3gpuE9ELNS1_3repE0EEENS1_30default_config_static_selectorELNS0_4arch9wavefront6targetE1EEEvT1_
                                        ; -- End function
	.section	.AMDGPU.csdata,"",@progbits
; Kernel info:
; codeLenInByte = 0
; NumSgprs: 4
; NumVgprs: 0
; NumAgprs: 0
; TotalNumVgprs: 0
; ScratchSize: 0
; MemoryBound: 0
; FloatMode: 240
; IeeeMode: 1
; LDSByteSize: 0 bytes/workgroup (compile time only)
; SGPRBlocks: 0
; VGPRBlocks: 0
; NumSGPRsForWavesPerEU: 4
; NumVGPRsForWavesPerEU: 1
; AccumOffset: 4
; Occupancy: 8
; WaveLimiterHint : 0
; COMPUTE_PGM_RSRC2:SCRATCH_EN: 0
; COMPUTE_PGM_RSRC2:USER_SGPR: 6
; COMPUTE_PGM_RSRC2:TRAP_HANDLER: 0
; COMPUTE_PGM_RSRC2:TGID_X_EN: 1
; COMPUTE_PGM_RSRC2:TGID_Y_EN: 0
; COMPUTE_PGM_RSRC2:TGID_Z_EN: 0
; COMPUTE_PGM_RSRC2:TIDIG_COMP_CNT: 0
; COMPUTE_PGM_RSRC3_GFX90A:ACCUM_OFFSET: 0
; COMPUTE_PGM_RSRC3_GFX90A:TG_SPLIT: 0
	.section	.text._ZN7rocprim17ROCPRIM_400000_NS6detail17trampoline_kernelINS0_14default_configENS1_20scan_config_selectorIiEEZZNS1_9scan_implILNS1_25lookback_scan_determinismE0ELb0ELb0ES3_N6thrust23THRUST_200600_302600_NS6detail15normal_iteratorINS9_10device_ptrIiEEEESE_iNS9_4plusIiEEiEEDaPvRmT3_T4_T5_mT6_P12ihipStream_tbENKUlT_T0_E_clISt17integral_constantIbLb1EEST_IbLb0EEEEDaSP_SQ_EUlSP_E0_NS1_11comp_targetILNS1_3genE4ELNS1_11target_archE910ELNS1_3gpuE8ELNS1_3repE0EEENS1_30default_config_static_selectorELNS0_4arch9wavefront6targetE1EEEvT1_,"axG",@progbits,_ZN7rocprim17ROCPRIM_400000_NS6detail17trampoline_kernelINS0_14default_configENS1_20scan_config_selectorIiEEZZNS1_9scan_implILNS1_25lookback_scan_determinismE0ELb0ELb0ES3_N6thrust23THRUST_200600_302600_NS6detail15normal_iteratorINS9_10device_ptrIiEEEESE_iNS9_4plusIiEEiEEDaPvRmT3_T4_T5_mT6_P12ihipStream_tbENKUlT_T0_E_clISt17integral_constantIbLb1EEST_IbLb0EEEEDaSP_SQ_EUlSP_E0_NS1_11comp_targetILNS1_3genE4ELNS1_11target_archE910ELNS1_3gpuE8ELNS1_3repE0EEENS1_30default_config_static_selectorELNS0_4arch9wavefront6targetE1EEEvT1_,comdat
	.protected	_ZN7rocprim17ROCPRIM_400000_NS6detail17trampoline_kernelINS0_14default_configENS1_20scan_config_selectorIiEEZZNS1_9scan_implILNS1_25lookback_scan_determinismE0ELb0ELb0ES3_N6thrust23THRUST_200600_302600_NS6detail15normal_iteratorINS9_10device_ptrIiEEEESE_iNS9_4plusIiEEiEEDaPvRmT3_T4_T5_mT6_P12ihipStream_tbENKUlT_T0_E_clISt17integral_constantIbLb1EEST_IbLb0EEEEDaSP_SQ_EUlSP_E0_NS1_11comp_targetILNS1_3genE4ELNS1_11target_archE910ELNS1_3gpuE8ELNS1_3repE0EEENS1_30default_config_static_selectorELNS0_4arch9wavefront6targetE1EEEvT1_ ; -- Begin function _ZN7rocprim17ROCPRIM_400000_NS6detail17trampoline_kernelINS0_14default_configENS1_20scan_config_selectorIiEEZZNS1_9scan_implILNS1_25lookback_scan_determinismE0ELb0ELb0ES3_N6thrust23THRUST_200600_302600_NS6detail15normal_iteratorINS9_10device_ptrIiEEEESE_iNS9_4plusIiEEiEEDaPvRmT3_T4_T5_mT6_P12ihipStream_tbENKUlT_T0_E_clISt17integral_constantIbLb1EEST_IbLb0EEEEDaSP_SQ_EUlSP_E0_NS1_11comp_targetILNS1_3genE4ELNS1_11target_archE910ELNS1_3gpuE8ELNS1_3repE0EEENS1_30default_config_static_selectorELNS0_4arch9wavefront6targetE1EEEvT1_
	.globl	_ZN7rocprim17ROCPRIM_400000_NS6detail17trampoline_kernelINS0_14default_configENS1_20scan_config_selectorIiEEZZNS1_9scan_implILNS1_25lookback_scan_determinismE0ELb0ELb0ES3_N6thrust23THRUST_200600_302600_NS6detail15normal_iteratorINS9_10device_ptrIiEEEESE_iNS9_4plusIiEEiEEDaPvRmT3_T4_T5_mT6_P12ihipStream_tbENKUlT_T0_E_clISt17integral_constantIbLb1EEST_IbLb0EEEEDaSP_SQ_EUlSP_E0_NS1_11comp_targetILNS1_3genE4ELNS1_11target_archE910ELNS1_3gpuE8ELNS1_3repE0EEENS1_30default_config_static_selectorELNS0_4arch9wavefront6targetE1EEEvT1_
	.p2align	8
	.type	_ZN7rocprim17ROCPRIM_400000_NS6detail17trampoline_kernelINS0_14default_configENS1_20scan_config_selectorIiEEZZNS1_9scan_implILNS1_25lookback_scan_determinismE0ELb0ELb0ES3_N6thrust23THRUST_200600_302600_NS6detail15normal_iteratorINS9_10device_ptrIiEEEESE_iNS9_4plusIiEEiEEDaPvRmT3_T4_T5_mT6_P12ihipStream_tbENKUlT_T0_E_clISt17integral_constantIbLb1EEST_IbLb0EEEEDaSP_SQ_EUlSP_E0_NS1_11comp_targetILNS1_3genE4ELNS1_11target_archE910ELNS1_3gpuE8ELNS1_3repE0EEENS1_30default_config_static_selectorELNS0_4arch9wavefront6targetE1EEEvT1_,@function
_ZN7rocprim17ROCPRIM_400000_NS6detail17trampoline_kernelINS0_14default_configENS1_20scan_config_selectorIiEEZZNS1_9scan_implILNS1_25lookback_scan_determinismE0ELb0ELb0ES3_N6thrust23THRUST_200600_302600_NS6detail15normal_iteratorINS9_10device_ptrIiEEEESE_iNS9_4plusIiEEiEEDaPvRmT3_T4_T5_mT6_P12ihipStream_tbENKUlT_T0_E_clISt17integral_constantIbLb1EEST_IbLb0EEEEDaSP_SQ_EUlSP_E0_NS1_11comp_targetILNS1_3genE4ELNS1_11target_archE910ELNS1_3gpuE8ELNS1_3repE0EEENS1_30default_config_static_selectorELNS0_4arch9wavefront6targetE1EEEvT1_: ; @_ZN7rocprim17ROCPRIM_400000_NS6detail17trampoline_kernelINS0_14default_configENS1_20scan_config_selectorIiEEZZNS1_9scan_implILNS1_25lookback_scan_determinismE0ELb0ELb0ES3_N6thrust23THRUST_200600_302600_NS6detail15normal_iteratorINS9_10device_ptrIiEEEESE_iNS9_4plusIiEEiEEDaPvRmT3_T4_T5_mT6_P12ihipStream_tbENKUlT_T0_E_clISt17integral_constantIbLb1EEST_IbLb0EEEEDaSP_SQ_EUlSP_E0_NS1_11comp_targetILNS1_3genE4ELNS1_11target_archE910ELNS1_3gpuE8ELNS1_3repE0EEENS1_30default_config_static_selectorELNS0_4arch9wavefront6targetE1EEEvT1_
; %bb.0:
	s_load_dwordx4 s[20:23], s[4:5], 0x0
	v_lshlrev_b32_e32 v20, 2, v0
	s_waitcnt lgkmcnt(0)
	s_load_dword s23, s[20:21], 0x0
	v_cmp_gt_u32_e32 vcc, s22, v0
	s_waitcnt lgkmcnt(0)
	v_mov_b32_e32 v1, s23
	s_and_saveexec_b64 s[0:1], vcc
	s_cbranch_execz .LBB562_2
; %bb.1:
	global_load_dword v1, v20, s[20:21]
.LBB562_2:
	s_or_b64 exec, exec, s[0:1]
	v_or_b32_e32 v2, 0x80, v0
	v_cmp_gt_u32_e64 s[0:1], s22, v2
	v_mov_b32_e32 v2, s23
	s_and_saveexec_b64 s[2:3], s[0:1]
	s_cbranch_execz .LBB562_4
; %bb.3:
	global_load_dword v2, v20, s[20:21] offset:512
.LBB562_4:
	s_or_b64 exec, exec, s[2:3]
	v_or_b32_e32 v3, 0x100, v0
	v_cmp_gt_u32_e64 s[2:3], s22, v3
	v_mov_b32_e32 v3, s23
	s_and_saveexec_b64 s[6:7], s[2:3]
	s_cbranch_execz .LBB562_6
; %bb.5:
	global_load_dword v3, v20, s[20:21] offset:1024
.LBB562_6:
	;; [unrolled: 9-line block ×7, first 2 shown]
	s_or_b64 exec, exec, s[14:15]
	v_or_b32_e32 v10, 0x400, v0
	v_cmp_gt_u32_e64 s[14:15], s22, v10
	v_mov_b32_e32 v9, s23
	s_and_saveexec_b64 s[16:17], s[14:15]
	s_cbranch_execz .LBB562_18
; %bb.17:
	v_lshlrev_b32_e32 v9, 2, v10
	global_load_dword v9, v9, s[20:21]
.LBB562_18:
	s_or_b64 exec, exec, s[16:17]
	v_or_b32_e32 v11, 0x480, v0
	v_cmp_gt_u32_e64 s[16:17], s22, v11
	v_mov_b32_e32 v10, s23
	s_and_saveexec_b64 s[22:23], s[16:17]
	s_cbranch_execz .LBB562_20
; %bb.19:
	v_lshlrev_b32_e32 v10, 2, v11
	global_load_dword v10, v10, s[20:21]
.LBB562_20:
	s_or_b64 exec, exec, s[22:23]
	s_waitcnt vmcnt(0)
	ds_write2st64_b32 v20, v1, v2 offset1:2
	ds_write2st64_b32 v20, v3, v4 offset0:4 offset1:6
	ds_write2st64_b32 v20, v5, v6 offset0:8 offset1:10
	;; [unrolled: 1-line block ×4, first 2 shown]
	v_mad_u32_u24 v1, v0, 36, v20
	s_waitcnt lgkmcnt(0)
	s_barrier
	ds_read2_b64 v[6:9], v1 offset1:1
	ds_read2_b64 v[2:5], v1 offset0:2 offset1:3
	ds_read_b64 v[18:19], v1 offset:32
	v_lshrrev_b32_e32 v21, 3, v0
	v_and_b32_e32 v21, 12, v21
	s_waitcnt lgkmcnt(2)
	v_add_u32_e32 v1, v7, v6
	v_add_u32_e32 v14, v1, v8
	;; [unrolled: 1-line block ×3, first 2 shown]
	s_waitcnt lgkmcnt(1)
	v_add_u32_e32 v10, v15, v2
	v_add_u32_e32 v11, v10, v3
	;; [unrolled: 1-line block ×4, first 2 shown]
	s_waitcnt lgkmcnt(0)
	v_add_u32_e32 v16, v13, v18
	v_add_u32_e32 v17, v16, v19
	;; [unrolled: 1-line block ×3, first 2 shown]
	v_cmp_gt_u32_e64 s[20:21], 64, v0
	s_barrier
	ds_write_b32 v21, v17
	s_waitcnt lgkmcnt(0)
	s_barrier
	s_and_saveexec_b64 s[22:23], s[20:21]
	s_cbranch_execz .LBB562_22
; %bb.21:
	v_lshlrev_b32_e32 v21, 1, v0
	v_lshrrev_b32_e32 v22, 4, v0
	v_add_lshl_u32 v21, v22, v21, 2
	ds_read2_b32 v[22:23], v21 offset1:1
	v_mbcnt_lo_u32_b32 v24, -1, 0
	v_mbcnt_hi_u32_b32 v24, -1, v24
	v_and_b32_e32 v25, 15, v24
	v_cmp_ne_u32_e64 s[20:21], 0, v25
	s_waitcnt lgkmcnt(0)
	v_add_u32_e32 v23, v23, v22
	; wave barrier
	s_nop 1
	v_mov_b32_dpp v26, v23 row_shr:1 row_mask:0xf bank_mask:0xf
	v_cndmask_b32_e64 v26, 0, v26, s[20:21]
	v_add_u32_e32 v23, v26, v23
	v_cmp_lt_u32_e64 s[20:21], 1, v25
	s_nop 0
	v_mov_b32_dpp v26, v23 row_shr:2 row_mask:0xf bank_mask:0xf
	v_cndmask_b32_e64 v26, 0, v26, s[20:21]
	v_add_u32_e32 v23, v23, v26
	v_cmp_lt_u32_e64 s[20:21], 3, v25
	;; [unrolled: 5-line block ×3, first 2 shown]
	s_nop 0
	v_mov_b32_dpp v26, v23 row_shr:8 row_mask:0xf bank_mask:0xf
	v_cndmask_b32_e64 v25, 0, v26, s[20:21]
	v_add_u32_e32 v23, v23, v25
	v_bfe_i32 v26, v24, 4, 1
	v_cmp_lt_u32_e64 s[20:21], 31, v24
	v_mov_b32_dpp v25, v23 row_bcast:15 row_mask:0xf bank_mask:0xf
	v_and_b32_e32 v25, v26, v25
	v_add_u32_e32 v23, v23, v25
	v_and_b32_e32 v26, 64, v24
	s_nop 0
	v_mov_b32_dpp v25, v23 row_bcast:31 row_mask:0xf bank_mask:0xf
	v_cndmask_b32_e64 v25, 0, v25, s[20:21]
	v_add_u32_e32 v23, v23, v25
	v_add_u32_e32 v25, -1, v24
	v_cmp_lt_i32_e64 s[20:21], v25, v26
	v_cndmask_b32_e64 v24, v25, v24, s[20:21]
	v_lshlrev_b32_e32 v24, 2, v24
	ds_bpermute_b32 v23, v24, v23
	v_cmp_eq_u32_e64 s[20:21], 0, v0
	s_waitcnt lgkmcnt(0)
	v_add_u32_e32 v22, v23, v22
	v_cndmask_b32_e64 v22, v22, v17, s[20:21]
	ds_write_b32 v21, v22
	; wave barrier
	ds_read_b32 v23, v21 offset:4
	s_waitcnt lgkmcnt(0)
	v_add_u32_e32 v22, v23, v22
	ds_write_b32 v21, v22 offset:4
.LBB562_22:
	s_or_b64 exec, exec, s[22:23]
	s_load_dwordx2 s[20:21], s[4:5], 0x18
	v_cmp_ne_u32_e64 s[4:5], 0, v0
	v_mov_b32_e32 v22, v17
	s_waitcnt lgkmcnt(0)
	s_barrier
	s_and_saveexec_b64 s[22:23], s[4:5]
	s_cbranch_execz .LBB562_24
; %bb.23:
	v_add_u32_e32 v21, -1, v0
	v_lshrrev_b32_e32 v22, 5, v21
	v_add_lshl_u32 v21, v22, v21, 2
	ds_read_b32 v22, v21
.LBB562_24:
	s_or_b64 exec, exec, s[22:23]
	v_mul_u32_u24_e32 v21, 36, v0
	v_mov_b32_e32 v0, v6
	s_and_saveexec_b64 s[22:23], s[4:5]
	s_cbranch_execz .LBB562_26
; %bb.25:
	s_waitcnt lgkmcnt(0)
	v_add_u32_e32 v0, v22, v6
	v_add_u32_e32 v1, v0, v7
	;; [unrolled: 1-line block ×10, first 2 shown]
	;;#ASMSTART
	;;#ASMEND
.LBB562_26:
	s_or_b64 exec, exec, s[22:23]
	v_add_u32_e32 v2, v20, v21
	s_waitcnt lgkmcnt(0)
	s_barrier
	ds_write2_b64 v2, v[0:1], v[14:15] offset1:1
	ds_write2_b64 v2, v[10:11], v[12:13] offset0:2 offset1:3
	ds_write_b64 v2, v[16:17] offset:32
	s_waitcnt lgkmcnt(0)
	s_barrier
	ds_read2st64_b32 v[8:9], v20 offset0:2 offset1:4
	ds_read2st64_b32 v[6:7], v20 offset0:6 offset1:8
	;; [unrolled: 1-line block ×4, first 2 shown]
	ds_read_b32 v10, v20 offset:4608
	v_mov_b32_e32 v1, s21
	v_add_co_u32_e64 v0, s[4:5], s20, v20
	v_addc_co_u32_e64 v1, s[4:5], 0, v1, s[4:5]
	s_and_saveexec_b64 s[4:5], vcc
	s_cbranch_execnz .LBB562_37
; %bb.27:
	s_or_b64 exec, exec, s[4:5]
	s_and_saveexec_b64 s[4:5], s[0:1]
	s_cbranch_execnz .LBB562_38
.LBB562_28:
	s_or_b64 exec, exec, s[4:5]
	s_and_saveexec_b64 s[0:1], s[2:3]
	s_cbranch_execnz .LBB562_39
.LBB562_29:
	s_or_b64 exec, exec, s[0:1]
	s_and_saveexec_b64 s[0:1], s[18:19]
	s_cbranch_execnz .LBB562_40
.LBB562_30:
	s_or_b64 exec, exec, s[0:1]
	s_and_saveexec_b64 s[0:1], s[6:7]
	s_cbranch_execnz .LBB562_41
.LBB562_31:
	s_or_b64 exec, exec, s[0:1]
	s_and_saveexec_b64 s[0:1], s[8:9]
	s_cbranch_execnz .LBB562_42
.LBB562_32:
	s_or_b64 exec, exec, s[0:1]
	s_and_saveexec_b64 s[0:1], s[10:11]
	s_cbranch_execnz .LBB562_43
.LBB562_33:
	s_or_b64 exec, exec, s[0:1]
	s_and_saveexec_b64 s[0:1], s[12:13]
	s_cbranch_execnz .LBB562_44
.LBB562_34:
	s_or_b64 exec, exec, s[0:1]
	s_and_saveexec_b64 s[0:1], s[14:15]
	s_cbranch_execnz .LBB562_45
.LBB562_35:
	s_or_b64 exec, exec, s[0:1]
	s_and_saveexec_b64 s[0:1], s[16:17]
	s_cbranch_execnz .LBB562_46
.LBB562_36:
	s_endpgm
.LBB562_37:
	ds_read_b32 v11, v20
	s_waitcnt lgkmcnt(0)
	global_store_dword v[0:1], v11, off
	s_or_b64 exec, exec, s[4:5]
	s_and_saveexec_b64 s[4:5], s[0:1]
	s_cbranch_execz .LBB562_28
.LBB562_38:
	s_waitcnt lgkmcnt(4)
	global_store_dword v[0:1], v8, off offset:512
	s_or_b64 exec, exec, s[4:5]
	s_and_saveexec_b64 s[0:1], s[2:3]
	s_cbranch_execz .LBB562_29
.LBB562_39:
	s_waitcnt lgkmcnt(4)
	global_store_dword v[0:1], v9, off offset:1024
	s_or_b64 exec, exec, s[0:1]
	s_and_saveexec_b64 s[0:1], s[18:19]
	s_cbranch_execz .LBB562_30
.LBB562_40:
	s_waitcnt lgkmcnt(3)
	global_store_dword v[0:1], v6, off offset:1536
	s_or_b64 exec, exec, s[0:1]
	s_and_saveexec_b64 s[0:1], s[6:7]
	s_cbranch_execz .LBB562_31
.LBB562_41:
	s_waitcnt lgkmcnt(3)
	global_store_dword v[0:1], v7, off offset:2048
	s_or_b64 exec, exec, s[0:1]
	s_and_saveexec_b64 s[0:1], s[8:9]
	s_cbranch_execz .LBB562_32
.LBB562_42:
	s_waitcnt lgkmcnt(2)
	global_store_dword v[0:1], v4, off offset:2560
	s_or_b64 exec, exec, s[0:1]
	s_and_saveexec_b64 s[0:1], s[10:11]
	s_cbranch_execz .LBB562_33
.LBB562_43:
	s_waitcnt lgkmcnt(2)
	global_store_dword v[0:1], v5, off offset:3072
	s_or_b64 exec, exec, s[0:1]
	s_and_saveexec_b64 s[0:1], s[12:13]
	s_cbranch_execz .LBB562_34
.LBB562_44:
	s_waitcnt lgkmcnt(1)
	global_store_dword v[0:1], v2, off offset:3584
	s_or_b64 exec, exec, s[0:1]
	s_and_saveexec_b64 s[0:1], s[14:15]
	s_cbranch_execz .LBB562_35
.LBB562_45:
	s_waitcnt lgkmcnt(2)
	v_add_co_u32_e32 v4, vcc, 0x1000, v0
	v_addc_co_u32_e32 v5, vcc, 0, v1, vcc
	s_waitcnt lgkmcnt(1)
	global_store_dword v[4:5], v3, off
	s_or_b64 exec, exec, s[0:1]
	s_and_saveexec_b64 s[0:1], s[16:17]
	s_cbranch_execz .LBB562_36
.LBB562_46:
	v_add_co_u32_e32 v0, vcc, 0x1000, v0
	v_addc_co_u32_e32 v1, vcc, 0, v1, vcc
	s_waitcnt lgkmcnt(0)
	global_store_dword v[0:1], v10, off offset:512
	s_endpgm
	.section	.rodata,"a",@progbits
	.p2align	6, 0x0
	.amdhsa_kernel _ZN7rocprim17ROCPRIM_400000_NS6detail17trampoline_kernelINS0_14default_configENS1_20scan_config_selectorIiEEZZNS1_9scan_implILNS1_25lookback_scan_determinismE0ELb0ELb0ES3_N6thrust23THRUST_200600_302600_NS6detail15normal_iteratorINS9_10device_ptrIiEEEESE_iNS9_4plusIiEEiEEDaPvRmT3_T4_T5_mT6_P12ihipStream_tbENKUlT_T0_E_clISt17integral_constantIbLb1EEST_IbLb0EEEEDaSP_SQ_EUlSP_E0_NS1_11comp_targetILNS1_3genE4ELNS1_11target_archE910ELNS1_3gpuE8ELNS1_3repE0EEENS1_30default_config_static_selectorELNS0_4arch9wavefront6targetE1EEEvT1_
		.amdhsa_group_segment_fixed_size 5120
		.amdhsa_private_segment_fixed_size 0
		.amdhsa_kernarg_size 32
		.amdhsa_user_sgpr_count 6
		.amdhsa_user_sgpr_private_segment_buffer 1
		.amdhsa_user_sgpr_dispatch_ptr 0
		.amdhsa_user_sgpr_queue_ptr 0
		.amdhsa_user_sgpr_kernarg_segment_ptr 1
		.amdhsa_user_sgpr_dispatch_id 0
		.amdhsa_user_sgpr_flat_scratch_init 0
		.amdhsa_user_sgpr_kernarg_preload_length 0
		.amdhsa_user_sgpr_kernarg_preload_offset 0
		.amdhsa_user_sgpr_private_segment_size 0
		.amdhsa_uses_dynamic_stack 0
		.amdhsa_system_sgpr_private_segment_wavefront_offset 0
		.amdhsa_system_sgpr_workgroup_id_x 1
		.amdhsa_system_sgpr_workgroup_id_y 0
		.amdhsa_system_sgpr_workgroup_id_z 0
		.amdhsa_system_sgpr_workgroup_info 0
		.amdhsa_system_vgpr_workitem_id 0
		.amdhsa_next_free_vgpr 27
		.amdhsa_next_free_sgpr 24
		.amdhsa_accum_offset 28
		.amdhsa_reserve_vcc 1
		.amdhsa_reserve_flat_scratch 0
		.amdhsa_float_round_mode_32 0
		.amdhsa_float_round_mode_16_64 0
		.amdhsa_float_denorm_mode_32 3
		.amdhsa_float_denorm_mode_16_64 3
		.amdhsa_dx10_clamp 1
		.amdhsa_ieee_mode 1
		.amdhsa_fp16_overflow 0
		.amdhsa_tg_split 0
		.amdhsa_exception_fp_ieee_invalid_op 0
		.amdhsa_exception_fp_denorm_src 0
		.amdhsa_exception_fp_ieee_div_zero 0
		.amdhsa_exception_fp_ieee_overflow 0
		.amdhsa_exception_fp_ieee_underflow 0
		.amdhsa_exception_fp_ieee_inexact 0
		.amdhsa_exception_int_div_zero 0
	.end_amdhsa_kernel
	.section	.text._ZN7rocprim17ROCPRIM_400000_NS6detail17trampoline_kernelINS0_14default_configENS1_20scan_config_selectorIiEEZZNS1_9scan_implILNS1_25lookback_scan_determinismE0ELb0ELb0ES3_N6thrust23THRUST_200600_302600_NS6detail15normal_iteratorINS9_10device_ptrIiEEEESE_iNS9_4plusIiEEiEEDaPvRmT3_T4_T5_mT6_P12ihipStream_tbENKUlT_T0_E_clISt17integral_constantIbLb1EEST_IbLb0EEEEDaSP_SQ_EUlSP_E0_NS1_11comp_targetILNS1_3genE4ELNS1_11target_archE910ELNS1_3gpuE8ELNS1_3repE0EEENS1_30default_config_static_selectorELNS0_4arch9wavefront6targetE1EEEvT1_,"axG",@progbits,_ZN7rocprim17ROCPRIM_400000_NS6detail17trampoline_kernelINS0_14default_configENS1_20scan_config_selectorIiEEZZNS1_9scan_implILNS1_25lookback_scan_determinismE0ELb0ELb0ES3_N6thrust23THRUST_200600_302600_NS6detail15normal_iteratorINS9_10device_ptrIiEEEESE_iNS9_4plusIiEEiEEDaPvRmT3_T4_T5_mT6_P12ihipStream_tbENKUlT_T0_E_clISt17integral_constantIbLb1EEST_IbLb0EEEEDaSP_SQ_EUlSP_E0_NS1_11comp_targetILNS1_3genE4ELNS1_11target_archE910ELNS1_3gpuE8ELNS1_3repE0EEENS1_30default_config_static_selectorELNS0_4arch9wavefront6targetE1EEEvT1_,comdat
.Lfunc_end562:
	.size	_ZN7rocprim17ROCPRIM_400000_NS6detail17trampoline_kernelINS0_14default_configENS1_20scan_config_selectorIiEEZZNS1_9scan_implILNS1_25lookback_scan_determinismE0ELb0ELb0ES3_N6thrust23THRUST_200600_302600_NS6detail15normal_iteratorINS9_10device_ptrIiEEEESE_iNS9_4plusIiEEiEEDaPvRmT3_T4_T5_mT6_P12ihipStream_tbENKUlT_T0_E_clISt17integral_constantIbLb1EEST_IbLb0EEEEDaSP_SQ_EUlSP_E0_NS1_11comp_targetILNS1_3genE4ELNS1_11target_archE910ELNS1_3gpuE8ELNS1_3repE0EEENS1_30default_config_static_selectorELNS0_4arch9wavefront6targetE1EEEvT1_, .Lfunc_end562-_ZN7rocprim17ROCPRIM_400000_NS6detail17trampoline_kernelINS0_14default_configENS1_20scan_config_selectorIiEEZZNS1_9scan_implILNS1_25lookback_scan_determinismE0ELb0ELb0ES3_N6thrust23THRUST_200600_302600_NS6detail15normal_iteratorINS9_10device_ptrIiEEEESE_iNS9_4plusIiEEiEEDaPvRmT3_T4_T5_mT6_P12ihipStream_tbENKUlT_T0_E_clISt17integral_constantIbLb1EEST_IbLb0EEEEDaSP_SQ_EUlSP_E0_NS1_11comp_targetILNS1_3genE4ELNS1_11target_archE910ELNS1_3gpuE8ELNS1_3repE0EEENS1_30default_config_static_selectorELNS0_4arch9wavefront6targetE1EEEvT1_
                                        ; -- End function
	.section	.AMDGPU.csdata,"",@progbits
; Kernel info:
; codeLenInByte = 1556
; NumSgprs: 28
; NumVgprs: 27
; NumAgprs: 0
; TotalNumVgprs: 27
; ScratchSize: 0
; MemoryBound: 0
; FloatMode: 240
; IeeeMode: 1
; LDSByteSize: 5120 bytes/workgroup (compile time only)
; SGPRBlocks: 3
; VGPRBlocks: 3
; NumSGPRsForWavesPerEU: 28
; NumVGPRsForWavesPerEU: 27
; AccumOffset: 28
; Occupancy: 6
; WaveLimiterHint : 0
; COMPUTE_PGM_RSRC2:SCRATCH_EN: 0
; COMPUTE_PGM_RSRC2:USER_SGPR: 6
; COMPUTE_PGM_RSRC2:TRAP_HANDLER: 0
; COMPUTE_PGM_RSRC2:TGID_X_EN: 1
; COMPUTE_PGM_RSRC2:TGID_Y_EN: 0
; COMPUTE_PGM_RSRC2:TGID_Z_EN: 0
; COMPUTE_PGM_RSRC2:TIDIG_COMP_CNT: 0
; COMPUTE_PGM_RSRC3_GFX90A:ACCUM_OFFSET: 6
; COMPUTE_PGM_RSRC3_GFX90A:TG_SPLIT: 0
	.section	.text._ZN7rocprim17ROCPRIM_400000_NS6detail17trampoline_kernelINS0_14default_configENS1_20scan_config_selectorIiEEZZNS1_9scan_implILNS1_25lookback_scan_determinismE0ELb0ELb0ES3_N6thrust23THRUST_200600_302600_NS6detail15normal_iteratorINS9_10device_ptrIiEEEESE_iNS9_4plusIiEEiEEDaPvRmT3_T4_T5_mT6_P12ihipStream_tbENKUlT_T0_E_clISt17integral_constantIbLb1EEST_IbLb0EEEEDaSP_SQ_EUlSP_E0_NS1_11comp_targetILNS1_3genE3ELNS1_11target_archE908ELNS1_3gpuE7ELNS1_3repE0EEENS1_30default_config_static_selectorELNS0_4arch9wavefront6targetE1EEEvT1_,"axG",@progbits,_ZN7rocprim17ROCPRIM_400000_NS6detail17trampoline_kernelINS0_14default_configENS1_20scan_config_selectorIiEEZZNS1_9scan_implILNS1_25lookback_scan_determinismE0ELb0ELb0ES3_N6thrust23THRUST_200600_302600_NS6detail15normal_iteratorINS9_10device_ptrIiEEEESE_iNS9_4plusIiEEiEEDaPvRmT3_T4_T5_mT6_P12ihipStream_tbENKUlT_T0_E_clISt17integral_constantIbLb1EEST_IbLb0EEEEDaSP_SQ_EUlSP_E0_NS1_11comp_targetILNS1_3genE3ELNS1_11target_archE908ELNS1_3gpuE7ELNS1_3repE0EEENS1_30default_config_static_selectorELNS0_4arch9wavefront6targetE1EEEvT1_,comdat
	.protected	_ZN7rocprim17ROCPRIM_400000_NS6detail17trampoline_kernelINS0_14default_configENS1_20scan_config_selectorIiEEZZNS1_9scan_implILNS1_25lookback_scan_determinismE0ELb0ELb0ES3_N6thrust23THRUST_200600_302600_NS6detail15normal_iteratorINS9_10device_ptrIiEEEESE_iNS9_4plusIiEEiEEDaPvRmT3_T4_T5_mT6_P12ihipStream_tbENKUlT_T0_E_clISt17integral_constantIbLb1EEST_IbLb0EEEEDaSP_SQ_EUlSP_E0_NS1_11comp_targetILNS1_3genE3ELNS1_11target_archE908ELNS1_3gpuE7ELNS1_3repE0EEENS1_30default_config_static_selectorELNS0_4arch9wavefront6targetE1EEEvT1_ ; -- Begin function _ZN7rocprim17ROCPRIM_400000_NS6detail17trampoline_kernelINS0_14default_configENS1_20scan_config_selectorIiEEZZNS1_9scan_implILNS1_25lookback_scan_determinismE0ELb0ELb0ES3_N6thrust23THRUST_200600_302600_NS6detail15normal_iteratorINS9_10device_ptrIiEEEESE_iNS9_4plusIiEEiEEDaPvRmT3_T4_T5_mT6_P12ihipStream_tbENKUlT_T0_E_clISt17integral_constantIbLb1EEST_IbLb0EEEEDaSP_SQ_EUlSP_E0_NS1_11comp_targetILNS1_3genE3ELNS1_11target_archE908ELNS1_3gpuE7ELNS1_3repE0EEENS1_30default_config_static_selectorELNS0_4arch9wavefront6targetE1EEEvT1_
	.globl	_ZN7rocprim17ROCPRIM_400000_NS6detail17trampoline_kernelINS0_14default_configENS1_20scan_config_selectorIiEEZZNS1_9scan_implILNS1_25lookback_scan_determinismE0ELb0ELb0ES3_N6thrust23THRUST_200600_302600_NS6detail15normal_iteratorINS9_10device_ptrIiEEEESE_iNS9_4plusIiEEiEEDaPvRmT3_T4_T5_mT6_P12ihipStream_tbENKUlT_T0_E_clISt17integral_constantIbLb1EEST_IbLb0EEEEDaSP_SQ_EUlSP_E0_NS1_11comp_targetILNS1_3genE3ELNS1_11target_archE908ELNS1_3gpuE7ELNS1_3repE0EEENS1_30default_config_static_selectorELNS0_4arch9wavefront6targetE1EEEvT1_
	.p2align	8
	.type	_ZN7rocprim17ROCPRIM_400000_NS6detail17trampoline_kernelINS0_14default_configENS1_20scan_config_selectorIiEEZZNS1_9scan_implILNS1_25lookback_scan_determinismE0ELb0ELb0ES3_N6thrust23THRUST_200600_302600_NS6detail15normal_iteratorINS9_10device_ptrIiEEEESE_iNS9_4plusIiEEiEEDaPvRmT3_T4_T5_mT6_P12ihipStream_tbENKUlT_T0_E_clISt17integral_constantIbLb1EEST_IbLb0EEEEDaSP_SQ_EUlSP_E0_NS1_11comp_targetILNS1_3genE3ELNS1_11target_archE908ELNS1_3gpuE7ELNS1_3repE0EEENS1_30default_config_static_selectorELNS0_4arch9wavefront6targetE1EEEvT1_,@function
_ZN7rocprim17ROCPRIM_400000_NS6detail17trampoline_kernelINS0_14default_configENS1_20scan_config_selectorIiEEZZNS1_9scan_implILNS1_25lookback_scan_determinismE0ELb0ELb0ES3_N6thrust23THRUST_200600_302600_NS6detail15normal_iteratorINS9_10device_ptrIiEEEESE_iNS9_4plusIiEEiEEDaPvRmT3_T4_T5_mT6_P12ihipStream_tbENKUlT_T0_E_clISt17integral_constantIbLb1EEST_IbLb0EEEEDaSP_SQ_EUlSP_E0_NS1_11comp_targetILNS1_3genE3ELNS1_11target_archE908ELNS1_3gpuE7ELNS1_3repE0EEENS1_30default_config_static_selectorELNS0_4arch9wavefront6targetE1EEEvT1_: ; @_ZN7rocprim17ROCPRIM_400000_NS6detail17trampoline_kernelINS0_14default_configENS1_20scan_config_selectorIiEEZZNS1_9scan_implILNS1_25lookback_scan_determinismE0ELb0ELb0ES3_N6thrust23THRUST_200600_302600_NS6detail15normal_iteratorINS9_10device_ptrIiEEEESE_iNS9_4plusIiEEiEEDaPvRmT3_T4_T5_mT6_P12ihipStream_tbENKUlT_T0_E_clISt17integral_constantIbLb1EEST_IbLb0EEEEDaSP_SQ_EUlSP_E0_NS1_11comp_targetILNS1_3genE3ELNS1_11target_archE908ELNS1_3gpuE7ELNS1_3repE0EEENS1_30default_config_static_selectorELNS0_4arch9wavefront6targetE1EEEvT1_
; %bb.0:
	.section	.rodata,"a",@progbits
	.p2align	6, 0x0
	.amdhsa_kernel _ZN7rocprim17ROCPRIM_400000_NS6detail17trampoline_kernelINS0_14default_configENS1_20scan_config_selectorIiEEZZNS1_9scan_implILNS1_25lookback_scan_determinismE0ELb0ELb0ES3_N6thrust23THRUST_200600_302600_NS6detail15normal_iteratorINS9_10device_ptrIiEEEESE_iNS9_4plusIiEEiEEDaPvRmT3_T4_T5_mT6_P12ihipStream_tbENKUlT_T0_E_clISt17integral_constantIbLb1EEST_IbLb0EEEEDaSP_SQ_EUlSP_E0_NS1_11comp_targetILNS1_3genE3ELNS1_11target_archE908ELNS1_3gpuE7ELNS1_3repE0EEENS1_30default_config_static_selectorELNS0_4arch9wavefront6targetE1EEEvT1_
		.amdhsa_group_segment_fixed_size 0
		.amdhsa_private_segment_fixed_size 0
		.amdhsa_kernarg_size 32
		.amdhsa_user_sgpr_count 6
		.amdhsa_user_sgpr_private_segment_buffer 1
		.amdhsa_user_sgpr_dispatch_ptr 0
		.amdhsa_user_sgpr_queue_ptr 0
		.amdhsa_user_sgpr_kernarg_segment_ptr 1
		.amdhsa_user_sgpr_dispatch_id 0
		.amdhsa_user_sgpr_flat_scratch_init 0
		.amdhsa_user_sgpr_kernarg_preload_length 0
		.amdhsa_user_sgpr_kernarg_preload_offset 0
		.amdhsa_user_sgpr_private_segment_size 0
		.amdhsa_uses_dynamic_stack 0
		.amdhsa_system_sgpr_private_segment_wavefront_offset 0
		.amdhsa_system_sgpr_workgroup_id_x 1
		.amdhsa_system_sgpr_workgroup_id_y 0
		.amdhsa_system_sgpr_workgroup_id_z 0
		.amdhsa_system_sgpr_workgroup_info 0
		.amdhsa_system_vgpr_workitem_id 0
		.amdhsa_next_free_vgpr 1
		.amdhsa_next_free_sgpr 0
		.amdhsa_accum_offset 4
		.amdhsa_reserve_vcc 0
		.amdhsa_reserve_flat_scratch 0
		.amdhsa_float_round_mode_32 0
		.amdhsa_float_round_mode_16_64 0
		.amdhsa_float_denorm_mode_32 3
		.amdhsa_float_denorm_mode_16_64 3
		.amdhsa_dx10_clamp 1
		.amdhsa_ieee_mode 1
		.amdhsa_fp16_overflow 0
		.amdhsa_tg_split 0
		.amdhsa_exception_fp_ieee_invalid_op 0
		.amdhsa_exception_fp_denorm_src 0
		.amdhsa_exception_fp_ieee_div_zero 0
		.amdhsa_exception_fp_ieee_overflow 0
		.amdhsa_exception_fp_ieee_underflow 0
		.amdhsa_exception_fp_ieee_inexact 0
		.amdhsa_exception_int_div_zero 0
	.end_amdhsa_kernel
	.section	.text._ZN7rocprim17ROCPRIM_400000_NS6detail17trampoline_kernelINS0_14default_configENS1_20scan_config_selectorIiEEZZNS1_9scan_implILNS1_25lookback_scan_determinismE0ELb0ELb0ES3_N6thrust23THRUST_200600_302600_NS6detail15normal_iteratorINS9_10device_ptrIiEEEESE_iNS9_4plusIiEEiEEDaPvRmT3_T4_T5_mT6_P12ihipStream_tbENKUlT_T0_E_clISt17integral_constantIbLb1EEST_IbLb0EEEEDaSP_SQ_EUlSP_E0_NS1_11comp_targetILNS1_3genE3ELNS1_11target_archE908ELNS1_3gpuE7ELNS1_3repE0EEENS1_30default_config_static_selectorELNS0_4arch9wavefront6targetE1EEEvT1_,"axG",@progbits,_ZN7rocprim17ROCPRIM_400000_NS6detail17trampoline_kernelINS0_14default_configENS1_20scan_config_selectorIiEEZZNS1_9scan_implILNS1_25lookback_scan_determinismE0ELb0ELb0ES3_N6thrust23THRUST_200600_302600_NS6detail15normal_iteratorINS9_10device_ptrIiEEEESE_iNS9_4plusIiEEiEEDaPvRmT3_T4_T5_mT6_P12ihipStream_tbENKUlT_T0_E_clISt17integral_constantIbLb1EEST_IbLb0EEEEDaSP_SQ_EUlSP_E0_NS1_11comp_targetILNS1_3genE3ELNS1_11target_archE908ELNS1_3gpuE7ELNS1_3repE0EEENS1_30default_config_static_selectorELNS0_4arch9wavefront6targetE1EEEvT1_,comdat
.Lfunc_end563:
	.size	_ZN7rocprim17ROCPRIM_400000_NS6detail17trampoline_kernelINS0_14default_configENS1_20scan_config_selectorIiEEZZNS1_9scan_implILNS1_25lookback_scan_determinismE0ELb0ELb0ES3_N6thrust23THRUST_200600_302600_NS6detail15normal_iteratorINS9_10device_ptrIiEEEESE_iNS9_4plusIiEEiEEDaPvRmT3_T4_T5_mT6_P12ihipStream_tbENKUlT_T0_E_clISt17integral_constantIbLb1EEST_IbLb0EEEEDaSP_SQ_EUlSP_E0_NS1_11comp_targetILNS1_3genE3ELNS1_11target_archE908ELNS1_3gpuE7ELNS1_3repE0EEENS1_30default_config_static_selectorELNS0_4arch9wavefront6targetE1EEEvT1_, .Lfunc_end563-_ZN7rocprim17ROCPRIM_400000_NS6detail17trampoline_kernelINS0_14default_configENS1_20scan_config_selectorIiEEZZNS1_9scan_implILNS1_25lookback_scan_determinismE0ELb0ELb0ES3_N6thrust23THRUST_200600_302600_NS6detail15normal_iteratorINS9_10device_ptrIiEEEESE_iNS9_4plusIiEEiEEDaPvRmT3_T4_T5_mT6_P12ihipStream_tbENKUlT_T0_E_clISt17integral_constantIbLb1EEST_IbLb0EEEEDaSP_SQ_EUlSP_E0_NS1_11comp_targetILNS1_3genE3ELNS1_11target_archE908ELNS1_3gpuE7ELNS1_3repE0EEENS1_30default_config_static_selectorELNS0_4arch9wavefront6targetE1EEEvT1_
                                        ; -- End function
	.section	.AMDGPU.csdata,"",@progbits
; Kernel info:
; codeLenInByte = 0
; NumSgprs: 4
; NumVgprs: 0
; NumAgprs: 0
; TotalNumVgprs: 0
; ScratchSize: 0
; MemoryBound: 0
; FloatMode: 240
; IeeeMode: 1
; LDSByteSize: 0 bytes/workgroup (compile time only)
; SGPRBlocks: 0
; VGPRBlocks: 0
; NumSGPRsForWavesPerEU: 4
; NumVGPRsForWavesPerEU: 1
; AccumOffset: 4
; Occupancy: 8
; WaveLimiterHint : 0
; COMPUTE_PGM_RSRC2:SCRATCH_EN: 0
; COMPUTE_PGM_RSRC2:USER_SGPR: 6
; COMPUTE_PGM_RSRC2:TRAP_HANDLER: 0
; COMPUTE_PGM_RSRC2:TGID_X_EN: 1
; COMPUTE_PGM_RSRC2:TGID_Y_EN: 0
; COMPUTE_PGM_RSRC2:TGID_Z_EN: 0
; COMPUTE_PGM_RSRC2:TIDIG_COMP_CNT: 0
; COMPUTE_PGM_RSRC3_GFX90A:ACCUM_OFFSET: 0
; COMPUTE_PGM_RSRC3_GFX90A:TG_SPLIT: 0
	.section	.text._ZN7rocprim17ROCPRIM_400000_NS6detail17trampoline_kernelINS0_14default_configENS1_20scan_config_selectorIiEEZZNS1_9scan_implILNS1_25lookback_scan_determinismE0ELb0ELb0ES3_N6thrust23THRUST_200600_302600_NS6detail15normal_iteratorINS9_10device_ptrIiEEEESE_iNS9_4plusIiEEiEEDaPvRmT3_T4_T5_mT6_P12ihipStream_tbENKUlT_T0_E_clISt17integral_constantIbLb1EEST_IbLb0EEEEDaSP_SQ_EUlSP_E0_NS1_11comp_targetILNS1_3genE2ELNS1_11target_archE906ELNS1_3gpuE6ELNS1_3repE0EEENS1_30default_config_static_selectorELNS0_4arch9wavefront6targetE1EEEvT1_,"axG",@progbits,_ZN7rocprim17ROCPRIM_400000_NS6detail17trampoline_kernelINS0_14default_configENS1_20scan_config_selectorIiEEZZNS1_9scan_implILNS1_25lookback_scan_determinismE0ELb0ELb0ES3_N6thrust23THRUST_200600_302600_NS6detail15normal_iteratorINS9_10device_ptrIiEEEESE_iNS9_4plusIiEEiEEDaPvRmT3_T4_T5_mT6_P12ihipStream_tbENKUlT_T0_E_clISt17integral_constantIbLb1EEST_IbLb0EEEEDaSP_SQ_EUlSP_E0_NS1_11comp_targetILNS1_3genE2ELNS1_11target_archE906ELNS1_3gpuE6ELNS1_3repE0EEENS1_30default_config_static_selectorELNS0_4arch9wavefront6targetE1EEEvT1_,comdat
	.protected	_ZN7rocprim17ROCPRIM_400000_NS6detail17trampoline_kernelINS0_14default_configENS1_20scan_config_selectorIiEEZZNS1_9scan_implILNS1_25lookback_scan_determinismE0ELb0ELb0ES3_N6thrust23THRUST_200600_302600_NS6detail15normal_iteratorINS9_10device_ptrIiEEEESE_iNS9_4plusIiEEiEEDaPvRmT3_T4_T5_mT6_P12ihipStream_tbENKUlT_T0_E_clISt17integral_constantIbLb1EEST_IbLb0EEEEDaSP_SQ_EUlSP_E0_NS1_11comp_targetILNS1_3genE2ELNS1_11target_archE906ELNS1_3gpuE6ELNS1_3repE0EEENS1_30default_config_static_selectorELNS0_4arch9wavefront6targetE1EEEvT1_ ; -- Begin function _ZN7rocprim17ROCPRIM_400000_NS6detail17trampoline_kernelINS0_14default_configENS1_20scan_config_selectorIiEEZZNS1_9scan_implILNS1_25lookback_scan_determinismE0ELb0ELb0ES3_N6thrust23THRUST_200600_302600_NS6detail15normal_iteratorINS9_10device_ptrIiEEEESE_iNS9_4plusIiEEiEEDaPvRmT3_T4_T5_mT6_P12ihipStream_tbENKUlT_T0_E_clISt17integral_constantIbLb1EEST_IbLb0EEEEDaSP_SQ_EUlSP_E0_NS1_11comp_targetILNS1_3genE2ELNS1_11target_archE906ELNS1_3gpuE6ELNS1_3repE0EEENS1_30default_config_static_selectorELNS0_4arch9wavefront6targetE1EEEvT1_
	.globl	_ZN7rocprim17ROCPRIM_400000_NS6detail17trampoline_kernelINS0_14default_configENS1_20scan_config_selectorIiEEZZNS1_9scan_implILNS1_25lookback_scan_determinismE0ELb0ELb0ES3_N6thrust23THRUST_200600_302600_NS6detail15normal_iteratorINS9_10device_ptrIiEEEESE_iNS9_4plusIiEEiEEDaPvRmT3_T4_T5_mT6_P12ihipStream_tbENKUlT_T0_E_clISt17integral_constantIbLb1EEST_IbLb0EEEEDaSP_SQ_EUlSP_E0_NS1_11comp_targetILNS1_3genE2ELNS1_11target_archE906ELNS1_3gpuE6ELNS1_3repE0EEENS1_30default_config_static_selectorELNS0_4arch9wavefront6targetE1EEEvT1_
	.p2align	8
	.type	_ZN7rocprim17ROCPRIM_400000_NS6detail17trampoline_kernelINS0_14default_configENS1_20scan_config_selectorIiEEZZNS1_9scan_implILNS1_25lookback_scan_determinismE0ELb0ELb0ES3_N6thrust23THRUST_200600_302600_NS6detail15normal_iteratorINS9_10device_ptrIiEEEESE_iNS9_4plusIiEEiEEDaPvRmT3_T4_T5_mT6_P12ihipStream_tbENKUlT_T0_E_clISt17integral_constantIbLb1EEST_IbLb0EEEEDaSP_SQ_EUlSP_E0_NS1_11comp_targetILNS1_3genE2ELNS1_11target_archE906ELNS1_3gpuE6ELNS1_3repE0EEENS1_30default_config_static_selectorELNS0_4arch9wavefront6targetE1EEEvT1_,@function
_ZN7rocprim17ROCPRIM_400000_NS6detail17trampoline_kernelINS0_14default_configENS1_20scan_config_selectorIiEEZZNS1_9scan_implILNS1_25lookback_scan_determinismE0ELb0ELb0ES3_N6thrust23THRUST_200600_302600_NS6detail15normal_iteratorINS9_10device_ptrIiEEEESE_iNS9_4plusIiEEiEEDaPvRmT3_T4_T5_mT6_P12ihipStream_tbENKUlT_T0_E_clISt17integral_constantIbLb1EEST_IbLb0EEEEDaSP_SQ_EUlSP_E0_NS1_11comp_targetILNS1_3genE2ELNS1_11target_archE906ELNS1_3gpuE6ELNS1_3repE0EEENS1_30default_config_static_selectorELNS0_4arch9wavefront6targetE1EEEvT1_: ; @_ZN7rocprim17ROCPRIM_400000_NS6detail17trampoline_kernelINS0_14default_configENS1_20scan_config_selectorIiEEZZNS1_9scan_implILNS1_25lookback_scan_determinismE0ELb0ELb0ES3_N6thrust23THRUST_200600_302600_NS6detail15normal_iteratorINS9_10device_ptrIiEEEESE_iNS9_4plusIiEEiEEDaPvRmT3_T4_T5_mT6_P12ihipStream_tbENKUlT_T0_E_clISt17integral_constantIbLb1EEST_IbLb0EEEEDaSP_SQ_EUlSP_E0_NS1_11comp_targetILNS1_3genE2ELNS1_11target_archE906ELNS1_3gpuE6ELNS1_3repE0EEENS1_30default_config_static_selectorELNS0_4arch9wavefront6targetE1EEEvT1_
; %bb.0:
	.section	.rodata,"a",@progbits
	.p2align	6, 0x0
	.amdhsa_kernel _ZN7rocprim17ROCPRIM_400000_NS6detail17trampoline_kernelINS0_14default_configENS1_20scan_config_selectorIiEEZZNS1_9scan_implILNS1_25lookback_scan_determinismE0ELb0ELb0ES3_N6thrust23THRUST_200600_302600_NS6detail15normal_iteratorINS9_10device_ptrIiEEEESE_iNS9_4plusIiEEiEEDaPvRmT3_T4_T5_mT6_P12ihipStream_tbENKUlT_T0_E_clISt17integral_constantIbLb1EEST_IbLb0EEEEDaSP_SQ_EUlSP_E0_NS1_11comp_targetILNS1_3genE2ELNS1_11target_archE906ELNS1_3gpuE6ELNS1_3repE0EEENS1_30default_config_static_selectorELNS0_4arch9wavefront6targetE1EEEvT1_
		.amdhsa_group_segment_fixed_size 0
		.amdhsa_private_segment_fixed_size 0
		.amdhsa_kernarg_size 32
		.amdhsa_user_sgpr_count 6
		.amdhsa_user_sgpr_private_segment_buffer 1
		.amdhsa_user_sgpr_dispatch_ptr 0
		.amdhsa_user_sgpr_queue_ptr 0
		.amdhsa_user_sgpr_kernarg_segment_ptr 1
		.amdhsa_user_sgpr_dispatch_id 0
		.amdhsa_user_sgpr_flat_scratch_init 0
		.amdhsa_user_sgpr_kernarg_preload_length 0
		.amdhsa_user_sgpr_kernarg_preload_offset 0
		.amdhsa_user_sgpr_private_segment_size 0
		.amdhsa_uses_dynamic_stack 0
		.amdhsa_system_sgpr_private_segment_wavefront_offset 0
		.amdhsa_system_sgpr_workgroup_id_x 1
		.amdhsa_system_sgpr_workgroup_id_y 0
		.amdhsa_system_sgpr_workgroup_id_z 0
		.amdhsa_system_sgpr_workgroup_info 0
		.amdhsa_system_vgpr_workitem_id 0
		.amdhsa_next_free_vgpr 1
		.amdhsa_next_free_sgpr 0
		.amdhsa_accum_offset 4
		.amdhsa_reserve_vcc 0
		.amdhsa_reserve_flat_scratch 0
		.amdhsa_float_round_mode_32 0
		.amdhsa_float_round_mode_16_64 0
		.amdhsa_float_denorm_mode_32 3
		.amdhsa_float_denorm_mode_16_64 3
		.amdhsa_dx10_clamp 1
		.amdhsa_ieee_mode 1
		.amdhsa_fp16_overflow 0
		.amdhsa_tg_split 0
		.amdhsa_exception_fp_ieee_invalid_op 0
		.amdhsa_exception_fp_denorm_src 0
		.amdhsa_exception_fp_ieee_div_zero 0
		.amdhsa_exception_fp_ieee_overflow 0
		.amdhsa_exception_fp_ieee_underflow 0
		.amdhsa_exception_fp_ieee_inexact 0
		.amdhsa_exception_int_div_zero 0
	.end_amdhsa_kernel
	.section	.text._ZN7rocprim17ROCPRIM_400000_NS6detail17trampoline_kernelINS0_14default_configENS1_20scan_config_selectorIiEEZZNS1_9scan_implILNS1_25lookback_scan_determinismE0ELb0ELb0ES3_N6thrust23THRUST_200600_302600_NS6detail15normal_iteratorINS9_10device_ptrIiEEEESE_iNS9_4plusIiEEiEEDaPvRmT3_T4_T5_mT6_P12ihipStream_tbENKUlT_T0_E_clISt17integral_constantIbLb1EEST_IbLb0EEEEDaSP_SQ_EUlSP_E0_NS1_11comp_targetILNS1_3genE2ELNS1_11target_archE906ELNS1_3gpuE6ELNS1_3repE0EEENS1_30default_config_static_selectorELNS0_4arch9wavefront6targetE1EEEvT1_,"axG",@progbits,_ZN7rocprim17ROCPRIM_400000_NS6detail17trampoline_kernelINS0_14default_configENS1_20scan_config_selectorIiEEZZNS1_9scan_implILNS1_25lookback_scan_determinismE0ELb0ELb0ES3_N6thrust23THRUST_200600_302600_NS6detail15normal_iteratorINS9_10device_ptrIiEEEESE_iNS9_4plusIiEEiEEDaPvRmT3_T4_T5_mT6_P12ihipStream_tbENKUlT_T0_E_clISt17integral_constantIbLb1EEST_IbLb0EEEEDaSP_SQ_EUlSP_E0_NS1_11comp_targetILNS1_3genE2ELNS1_11target_archE906ELNS1_3gpuE6ELNS1_3repE0EEENS1_30default_config_static_selectorELNS0_4arch9wavefront6targetE1EEEvT1_,comdat
.Lfunc_end564:
	.size	_ZN7rocprim17ROCPRIM_400000_NS6detail17trampoline_kernelINS0_14default_configENS1_20scan_config_selectorIiEEZZNS1_9scan_implILNS1_25lookback_scan_determinismE0ELb0ELb0ES3_N6thrust23THRUST_200600_302600_NS6detail15normal_iteratorINS9_10device_ptrIiEEEESE_iNS9_4plusIiEEiEEDaPvRmT3_T4_T5_mT6_P12ihipStream_tbENKUlT_T0_E_clISt17integral_constantIbLb1EEST_IbLb0EEEEDaSP_SQ_EUlSP_E0_NS1_11comp_targetILNS1_3genE2ELNS1_11target_archE906ELNS1_3gpuE6ELNS1_3repE0EEENS1_30default_config_static_selectorELNS0_4arch9wavefront6targetE1EEEvT1_, .Lfunc_end564-_ZN7rocprim17ROCPRIM_400000_NS6detail17trampoline_kernelINS0_14default_configENS1_20scan_config_selectorIiEEZZNS1_9scan_implILNS1_25lookback_scan_determinismE0ELb0ELb0ES3_N6thrust23THRUST_200600_302600_NS6detail15normal_iteratorINS9_10device_ptrIiEEEESE_iNS9_4plusIiEEiEEDaPvRmT3_T4_T5_mT6_P12ihipStream_tbENKUlT_T0_E_clISt17integral_constantIbLb1EEST_IbLb0EEEEDaSP_SQ_EUlSP_E0_NS1_11comp_targetILNS1_3genE2ELNS1_11target_archE906ELNS1_3gpuE6ELNS1_3repE0EEENS1_30default_config_static_selectorELNS0_4arch9wavefront6targetE1EEEvT1_
                                        ; -- End function
	.section	.AMDGPU.csdata,"",@progbits
; Kernel info:
; codeLenInByte = 0
; NumSgprs: 4
; NumVgprs: 0
; NumAgprs: 0
; TotalNumVgprs: 0
; ScratchSize: 0
; MemoryBound: 0
; FloatMode: 240
; IeeeMode: 1
; LDSByteSize: 0 bytes/workgroup (compile time only)
; SGPRBlocks: 0
; VGPRBlocks: 0
; NumSGPRsForWavesPerEU: 4
; NumVGPRsForWavesPerEU: 1
; AccumOffset: 4
; Occupancy: 8
; WaveLimiterHint : 0
; COMPUTE_PGM_RSRC2:SCRATCH_EN: 0
; COMPUTE_PGM_RSRC2:USER_SGPR: 6
; COMPUTE_PGM_RSRC2:TRAP_HANDLER: 0
; COMPUTE_PGM_RSRC2:TGID_X_EN: 1
; COMPUTE_PGM_RSRC2:TGID_Y_EN: 0
; COMPUTE_PGM_RSRC2:TGID_Z_EN: 0
; COMPUTE_PGM_RSRC2:TIDIG_COMP_CNT: 0
; COMPUTE_PGM_RSRC3_GFX90A:ACCUM_OFFSET: 0
; COMPUTE_PGM_RSRC3_GFX90A:TG_SPLIT: 0
	.section	.text._ZN7rocprim17ROCPRIM_400000_NS6detail17trampoline_kernelINS0_14default_configENS1_20scan_config_selectorIiEEZZNS1_9scan_implILNS1_25lookback_scan_determinismE0ELb0ELb0ES3_N6thrust23THRUST_200600_302600_NS6detail15normal_iteratorINS9_10device_ptrIiEEEESE_iNS9_4plusIiEEiEEDaPvRmT3_T4_T5_mT6_P12ihipStream_tbENKUlT_T0_E_clISt17integral_constantIbLb1EEST_IbLb0EEEEDaSP_SQ_EUlSP_E0_NS1_11comp_targetILNS1_3genE10ELNS1_11target_archE1201ELNS1_3gpuE5ELNS1_3repE0EEENS1_30default_config_static_selectorELNS0_4arch9wavefront6targetE1EEEvT1_,"axG",@progbits,_ZN7rocprim17ROCPRIM_400000_NS6detail17trampoline_kernelINS0_14default_configENS1_20scan_config_selectorIiEEZZNS1_9scan_implILNS1_25lookback_scan_determinismE0ELb0ELb0ES3_N6thrust23THRUST_200600_302600_NS6detail15normal_iteratorINS9_10device_ptrIiEEEESE_iNS9_4plusIiEEiEEDaPvRmT3_T4_T5_mT6_P12ihipStream_tbENKUlT_T0_E_clISt17integral_constantIbLb1EEST_IbLb0EEEEDaSP_SQ_EUlSP_E0_NS1_11comp_targetILNS1_3genE10ELNS1_11target_archE1201ELNS1_3gpuE5ELNS1_3repE0EEENS1_30default_config_static_selectorELNS0_4arch9wavefront6targetE1EEEvT1_,comdat
	.protected	_ZN7rocprim17ROCPRIM_400000_NS6detail17trampoline_kernelINS0_14default_configENS1_20scan_config_selectorIiEEZZNS1_9scan_implILNS1_25lookback_scan_determinismE0ELb0ELb0ES3_N6thrust23THRUST_200600_302600_NS6detail15normal_iteratorINS9_10device_ptrIiEEEESE_iNS9_4plusIiEEiEEDaPvRmT3_T4_T5_mT6_P12ihipStream_tbENKUlT_T0_E_clISt17integral_constantIbLb1EEST_IbLb0EEEEDaSP_SQ_EUlSP_E0_NS1_11comp_targetILNS1_3genE10ELNS1_11target_archE1201ELNS1_3gpuE5ELNS1_3repE0EEENS1_30default_config_static_selectorELNS0_4arch9wavefront6targetE1EEEvT1_ ; -- Begin function _ZN7rocprim17ROCPRIM_400000_NS6detail17trampoline_kernelINS0_14default_configENS1_20scan_config_selectorIiEEZZNS1_9scan_implILNS1_25lookback_scan_determinismE0ELb0ELb0ES3_N6thrust23THRUST_200600_302600_NS6detail15normal_iteratorINS9_10device_ptrIiEEEESE_iNS9_4plusIiEEiEEDaPvRmT3_T4_T5_mT6_P12ihipStream_tbENKUlT_T0_E_clISt17integral_constantIbLb1EEST_IbLb0EEEEDaSP_SQ_EUlSP_E0_NS1_11comp_targetILNS1_3genE10ELNS1_11target_archE1201ELNS1_3gpuE5ELNS1_3repE0EEENS1_30default_config_static_selectorELNS0_4arch9wavefront6targetE1EEEvT1_
	.globl	_ZN7rocprim17ROCPRIM_400000_NS6detail17trampoline_kernelINS0_14default_configENS1_20scan_config_selectorIiEEZZNS1_9scan_implILNS1_25lookback_scan_determinismE0ELb0ELb0ES3_N6thrust23THRUST_200600_302600_NS6detail15normal_iteratorINS9_10device_ptrIiEEEESE_iNS9_4plusIiEEiEEDaPvRmT3_T4_T5_mT6_P12ihipStream_tbENKUlT_T0_E_clISt17integral_constantIbLb1EEST_IbLb0EEEEDaSP_SQ_EUlSP_E0_NS1_11comp_targetILNS1_3genE10ELNS1_11target_archE1201ELNS1_3gpuE5ELNS1_3repE0EEENS1_30default_config_static_selectorELNS0_4arch9wavefront6targetE1EEEvT1_
	.p2align	8
	.type	_ZN7rocprim17ROCPRIM_400000_NS6detail17trampoline_kernelINS0_14default_configENS1_20scan_config_selectorIiEEZZNS1_9scan_implILNS1_25lookback_scan_determinismE0ELb0ELb0ES3_N6thrust23THRUST_200600_302600_NS6detail15normal_iteratorINS9_10device_ptrIiEEEESE_iNS9_4plusIiEEiEEDaPvRmT3_T4_T5_mT6_P12ihipStream_tbENKUlT_T0_E_clISt17integral_constantIbLb1EEST_IbLb0EEEEDaSP_SQ_EUlSP_E0_NS1_11comp_targetILNS1_3genE10ELNS1_11target_archE1201ELNS1_3gpuE5ELNS1_3repE0EEENS1_30default_config_static_selectorELNS0_4arch9wavefront6targetE1EEEvT1_,@function
_ZN7rocprim17ROCPRIM_400000_NS6detail17trampoline_kernelINS0_14default_configENS1_20scan_config_selectorIiEEZZNS1_9scan_implILNS1_25lookback_scan_determinismE0ELb0ELb0ES3_N6thrust23THRUST_200600_302600_NS6detail15normal_iteratorINS9_10device_ptrIiEEEESE_iNS9_4plusIiEEiEEDaPvRmT3_T4_T5_mT6_P12ihipStream_tbENKUlT_T0_E_clISt17integral_constantIbLb1EEST_IbLb0EEEEDaSP_SQ_EUlSP_E0_NS1_11comp_targetILNS1_3genE10ELNS1_11target_archE1201ELNS1_3gpuE5ELNS1_3repE0EEENS1_30default_config_static_selectorELNS0_4arch9wavefront6targetE1EEEvT1_: ; @_ZN7rocprim17ROCPRIM_400000_NS6detail17trampoline_kernelINS0_14default_configENS1_20scan_config_selectorIiEEZZNS1_9scan_implILNS1_25lookback_scan_determinismE0ELb0ELb0ES3_N6thrust23THRUST_200600_302600_NS6detail15normal_iteratorINS9_10device_ptrIiEEEESE_iNS9_4plusIiEEiEEDaPvRmT3_T4_T5_mT6_P12ihipStream_tbENKUlT_T0_E_clISt17integral_constantIbLb1EEST_IbLb0EEEEDaSP_SQ_EUlSP_E0_NS1_11comp_targetILNS1_3genE10ELNS1_11target_archE1201ELNS1_3gpuE5ELNS1_3repE0EEENS1_30default_config_static_selectorELNS0_4arch9wavefront6targetE1EEEvT1_
; %bb.0:
	.section	.rodata,"a",@progbits
	.p2align	6, 0x0
	.amdhsa_kernel _ZN7rocprim17ROCPRIM_400000_NS6detail17trampoline_kernelINS0_14default_configENS1_20scan_config_selectorIiEEZZNS1_9scan_implILNS1_25lookback_scan_determinismE0ELb0ELb0ES3_N6thrust23THRUST_200600_302600_NS6detail15normal_iteratorINS9_10device_ptrIiEEEESE_iNS9_4plusIiEEiEEDaPvRmT3_T4_T5_mT6_P12ihipStream_tbENKUlT_T0_E_clISt17integral_constantIbLb1EEST_IbLb0EEEEDaSP_SQ_EUlSP_E0_NS1_11comp_targetILNS1_3genE10ELNS1_11target_archE1201ELNS1_3gpuE5ELNS1_3repE0EEENS1_30default_config_static_selectorELNS0_4arch9wavefront6targetE1EEEvT1_
		.amdhsa_group_segment_fixed_size 0
		.amdhsa_private_segment_fixed_size 0
		.amdhsa_kernarg_size 32
		.amdhsa_user_sgpr_count 6
		.amdhsa_user_sgpr_private_segment_buffer 1
		.amdhsa_user_sgpr_dispatch_ptr 0
		.amdhsa_user_sgpr_queue_ptr 0
		.amdhsa_user_sgpr_kernarg_segment_ptr 1
		.amdhsa_user_sgpr_dispatch_id 0
		.amdhsa_user_sgpr_flat_scratch_init 0
		.amdhsa_user_sgpr_kernarg_preload_length 0
		.amdhsa_user_sgpr_kernarg_preload_offset 0
		.amdhsa_user_sgpr_private_segment_size 0
		.amdhsa_uses_dynamic_stack 0
		.amdhsa_system_sgpr_private_segment_wavefront_offset 0
		.amdhsa_system_sgpr_workgroup_id_x 1
		.amdhsa_system_sgpr_workgroup_id_y 0
		.amdhsa_system_sgpr_workgroup_id_z 0
		.amdhsa_system_sgpr_workgroup_info 0
		.amdhsa_system_vgpr_workitem_id 0
		.amdhsa_next_free_vgpr 1
		.amdhsa_next_free_sgpr 0
		.amdhsa_accum_offset 4
		.amdhsa_reserve_vcc 0
		.amdhsa_reserve_flat_scratch 0
		.amdhsa_float_round_mode_32 0
		.amdhsa_float_round_mode_16_64 0
		.amdhsa_float_denorm_mode_32 3
		.amdhsa_float_denorm_mode_16_64 3
		.amdhsa_dx10_clamp 1
		.amdhsa_ieee_mode 1
		.amdhsa_fp16_overflow 0
		.amdhsa_tg_split 0
		.amdhsa_exception_fp_ieee_invalid_op 0
		.amdhsa_exception_fp_denorm_src 0
		.amdhsa_exception_fp_ieee_div_zero 0
		.amdhsa_exception_fp_ieee_overflow 0
		.amdhsa_exception_fp_ieee_underflow 0
		.amdhsa_exception_fp_ieee_inexact 0
		.amdhsa_exception_int_div_zero 0
	.end_amdhsa_kernel
	.section	.text._ZN7rocprim17ROCPRIM_400000_NS6detail17trampoline_kernelINS0_14default_configENS1_20scan_config_selectorIiEEZZNS1_9scan_implILNS1_25lookback_scan_determinismE0ELb0ELb0ES3_N6thrust23THRUST_200600_302600_NS6detail15normal_iteratorINS9_10device_ptrIiEEEESE_iNS9_4plusIiEEiEEDaPvRmT3_T4_T5_mT6_P12ihipStream_tbENKUlT_T0_E_clISt17integral_constantIbLb1EEST_IbLb0EEEEDaSP_SQ_EUlSP_E0_NS1_11comp_targetILNS1_3genE10ELNS1_11target_archE1201ELNS1_3gpuE5ELNS1_3repE0EEENS1_30default_config_static_selectorELNS0_4arch9wavefront6targetE1EEEvT1_,"axG",@progbits,_ZN7rocprim17ROCPRIM_400000_NS6detail17trampoline_kernelINS0_14default_configENS1_20scan_config_selectorIiEEZZNS1_9scan_implILNS1_25lookback_scan_determinismE0ELb0ELb0ES3_N6thrust23THRUST_200600_302600_NS6detail15normal_iteratorINS9_10device_ptrIiEEEESE_iNS9_4plusIiEEiEEDaPvRmT3_T4_T5_mT6_P12ihipStream_tbENKUlT_T0_E_clISt17integral_constantIbLb1EEST_IbLb0EEEEDaSP_SQ_EUlSP_E0_NS1_11comp_targetILNS1_3genE10ELNS1_11target_archE1201ELNS1_3gpuE5ELNS1_3repE0EEENS1_30default_config_static_selectorELNS0_4arch9wavefront6targetE1EEEvT1_,comdat
.Lfunc_end565:
	.size	_ZN7rocprim17ROCPRIM_400000_NS6detail17trampoline_kernelINS0_14default_configENS1_20scan_config_selectorIiEEZZNS1_9scan_implILNS1_25lookback_scan_determinismE0ELb0ELb0ES3_N6thrust23THRUST_200600_302600_NS6detail15normal_iteratorINS9_10device_ptrIiEEEESE_iNS9_4plusIiEEiEEDaPvRmT3_T4_T5_mT6_P12ihipStream_tbENKUlT_T0_E_clISt17integral_constantIbLb1EEST_IbLb0EEEEDaSP_SQ_EUlSP_E0_NS1_11comp_targetILNS1_3genE10ELNS1_11target_archE1201ELNS1_3gpuE5ELNS1_3repE0EEENS1_30default_config_static_selectorELNS0_4arch9wavefront6targetE1EEEvT1_, .Lfunc_end565-_ZN7rocprim17ROCPRIM_400000_NS6detail17trampoline_kernelINS0_14default_configENS1_20scan_config_selectorIiEEZZNS1_9scan_implILNS1_25lookback_scan_determinismE0ELb0ELb0ES3_N6thrust23THRUST_200600_302600_NS6detail15normal_iteratorINS9_10device_ptrIiEEEESE_iNS9_4plusIiEEiEEDaPvRmT3_T4_T5_mT6_P12ihipStream_tbENKUlT_T0_E_clISt17integral_constantIbLb1EEST_IbLb0EEEEDaSP_SQ_EUlSP_E0_NS1_11comp_targetILNS1_3genE10ELNS1_11target_archE1201ELNS1_3gpuE5ELNS1_3repE0EEENS1_30default_config_static_selectorELNS0_4arch9wavefront6targetE1EEEvT1_
                                        ; -- End function
	.section	.AMDGPU.csdata,"",@progbits
; Kernel info:
; codeLenInByte = 0
; NumSgprs: 4
; NumVgprs: 0
; NumAgprs: 0
; TotalNumVgprs: 0
; ScratchSize: 0
; MemoryBound: 0
; FloatMode: 240
; IeeeMode: 1
; LDSByteSize: 0 bytes/workgroup (compile time only)
; SGPRBlocks: 0
; VGPRBlocks: 0
; NumSGPRsForWavesPerEU: 4
; NumVGPRsForWavesPerEU: 1
; AccumOffset: 4
; Occupancy: 8
; WaveLimiterHint : 0
; COMPUTE_PGM_RSRC2:SCRATCH_EN: 0
; COMPUTE_PGM_RSRC2:USER_SGPR: 6
; COMPUTE_PGM_RSRC2:TRAP_HANDLER: 0
; COMPUTE_PGM_RSRC2:TGID_X_EN: 1
; COMPUTE_PGM_RSRC2:TGID_Y_EN: 0
; COMPUTE_PGM_RSRC2:TGID_Z_EN: 0
; COMPUTE_PGM_RSRC2:TIDIG_COMP_CNT: 0
; COMPUTE_PGM_RSRC3_GFX90A:ACCUM_OFFSET: 0
; COMPUTE_PGM_RSRC3_GFX90A:TG_SPLIT: 0
	.section	.text._ZN7rocprim17ROCPRIM_400000_NS6detail17trampoline_kernelINS0_14default_configENS1_20scan_config_selectorIiEEZZNS1_9scan_implILNS1_25lookback_scan_determinismE0ELb0ELb0ES3_N6thrust23THRUST_200600_302600_NS6detail15normal_iteratorINS9_10device_ptrIiEEEESE_iNS9_4plusIiEEiEEDaPvRmT3_T4_T5_mT6_P12ihipStream_tbENKUlT_T0_E_clISt17integral_constantIbLb1EEST_IbLb0EEEEDaSP_SQ_EUlSP_E0_NS1_11comp_targetILNS1_3genE10ELNS1_11target_archE1200ELNS1_3gpuE4ELNS1_3repE0EEENS1_30default_config_static_selectorELNS0_4arch9wavefront6targetE1EEEvT1_,"axG",@progbits,_ZN7rocprim17ROCPRIM_400000_NS6detail17trampoline_kernelINS0_14default_configENS1_20scan_config_selectorIiEEZZNS1_9scan_implILNS1_25lookback_scan_determinismE0ELb0ELb0ES3_N6thrust23THRUST_200600_302600_NS6detail15normal_iteratorINS9_10device_ptrIiEEEESE_iNS9_4plusIiEEiEEDaPvRmT3_T4_T5_mT6_P12ihipStream_tbENKUlT_T0_E_clISt17integral_constantIbLb1EEST_IbLb0EEEEDaSP_SQ_EUlSP_E0_NS1_11comp_targetILNS1_3genE10ELNS1_11target_archE1200ELNS1_3gpuE4ELNS1_3repE0EEENS1_30default_config_static_selectorELNS0_4arch9wavefront6targetE1EEEvT1_,comdat
	.protected	_ZN7rocprim17ROCPRIM_400000_NS6detail17trampoline_kernelINS0_14default_configENS1_20scan_config_selectorIiEEZZNS1_9scan_implILNS1_25lookback_scan_determinismE0ELb0ELb0ES3_N6thrust23THRUST_200600_302600_NS6detail15normal_iteratorINS9_10device_ptrIiEEEESE_iNS9_4plusIiEEiEEDaPvRmT3_T4_T5_mT6_P12ihipStream_tbENKUlT_T0_E_clISt17integral_constantIbLb1EEST_IbLb0EEEEDaSP_SQ_EUlSP_E0_NS1_11comp_targetILNS1_3genE10ELNS1_11target_archE1200ELNS1_3gpuE4ELNS1_3repE0EEENS1_30default_config_static_selectorELNS0_4arch9wavefront6targetE1EEEvT1_ ; -- Begin function _ZN7rocprim17ROCPRIM_400000_NS6detail17trampoline_kernelINS0_14default_configENS1_20scan_config_selectorIiEEZZNS1_9scan_implILNS1_25lookback_scan_determinismE0ELb0ELb0ES3_N6thrust23THRUST_200600_302600_NS6detail15normal_iteratorINS9_10device_ptrIiEEEESE_iNS9_4plusIiEEiEEDaPvRmT3_T4_T5_mT6_P12ihipStream_tbENKUlT_T0_E_clISt17integral_constantIbLb1EEST_IbLb0EEEEDaSP_SQ_EUlSP_E0_NS1_11comp_targetILNS1_3genE10ELNS1_11target_archE1200ELNS1_3gpuE4ELNS1_3repE0EEENS1_30default_config_static_selectorELNS0_4arch9wavefront6targetE1EEEvT1_
	.globl	_ZN7rocprim17ROCPRIM_400000_NS6detail17trampoline_kernelINS0_14default_configENS1_20scan_config_selectorIiEEZZNS1_9scan_implILNS1_25lookback_scan_determinismE0ELb0ELb0ES3_N6thrust23THRUST_200600_302600_NS6detail15normal_iteratorINS9_10device_ptrIiEEEESE_iNS9_4plusIiEEiEEDaPvRmT3_T4_T5_mT6_P12ihipStream_tbENKUlT_T0_E_clISt17integral_constantIbLb1EEST_IbLb0EEEEDaSP_SQ_EUlSP_E0_NS1_11comp_targetILNS1_3genE10ELNS1_11target_archE1200ELNS1_3gpuE4ELNS1_3repE0EEENS1_30default_config_static_selectorELNS0_4arch9wavefront6targetE1EEEvT1_
	.p2align	8
	.type	_ZN7rocprim17ROCPRIM_400000_NS6detail17trampoline_kernelINS0_14default_configENS1_20scan_config_selectorIiEEZZNS1_9scan_implILNS1_25lookback_scan_determinismE0ELb0ELb0ES3_N6thrust23THRUST_200600_302600_NS6detail15normal_iteratorINS9_10device_ptrIiEEEESE_iNS9_4plusIiEEiEEDaPvRmT3_T4_T5_mT6_P12ihipStream_tbENKUlT_T0_E_clISt17integral_constantIbLb1EEST_IbLb0EEEEDaSP_SQ_EUlSP_E0_NS1_11comp_targetILNS1_3genE10ELNS1_11target_archE1200ELNS1_3gpuE4ELNS1_3repE0EEENS1_30default_config_static_selectorELNS0_4arch9wavefront6targetE1EEEvT1_,@function
_ZN7rocprim17ROCPRIM_400000_NS6detail17trampoline_kernelINS0_14default_configENS1_20scan_config_selectorIiEEZZNS1_9scan_implILNS1_25lookback_scan_determinismE0ELb0ELb0ES3_N6thrust23THRUST_200600_302600_NS6detail15normal_iteratorINS9_10device_ptrIiEEEESE_iNS9_4plusIiEEiEEDaPvRmT3_T4_T5_mT6_P12ihipStream_tbENKUlT_T0_E_clISt17integral_constantIbLb1EEST_IbLb0EEEEDaSP_SQ_EUlSP_E0_NS1_11comp_targetILNS1_3genE10ELNS1_11target_archE1200ELNS1_3gpuE4ELNS1_3repE0EEENS1_30default_config_static_selectorELNS0_4arch9wavefront6targetE1EEEvT1_: ; @_ZN7rocprim17ROCPRIM_400000_NS6detail17trampoline_kernelINS0_14default_configENS1_20scan_config_selectorIiEEZZNS1_9scan_implILNS1_25lookback_scan_determinismE0ELb0ELb0ES3_N6thrust23THRUST_200600_302600_NS6detail15normal_iteratorINS9_10device_ptrIiEEEESE_iNS9_4plusIiEEiEEDaPvRmT3_T4_T5_mT6_P12ihipStream_tbENKUlT_T0_E_clISt17integral_constantIbLb1EEST_IbLb0EEEEDaSP_SQ_EUlSP_E0_NS1_11comp_targetILNS1_3genE10ELNS1_11target_archE1200ELNS1_3gpuE4ELNS1_3repE0EEENS1_30default_config_static_selectorELNS0_4arch9wavefront6targetE1EEEvT1_
; %bb.0:
	.section	.rodata,"a",@progbits
	.p2align	6, 0x0
	.amdhsa_kernel _ZN7rocprim17ROCPRIM_400000_NS6detail17trampoline_kernelINS0_14default_configENS1_20scan_config_selectorIiEEZZNS1_9scan_implILNS1_25lookback_scan_determinismE0ELb0ELb0ES3_N6thrust23THRUST_200600_302600_NS6detail15normal_iteratorINS9_10device_ptrIiEEEESE_iNS9_4plusIiEEiEEDaPvRmT3_T4_T5_mT6_P12ihipStream_tbENKUlT_T0_E_clISt17integral_constantIbLb1EEST_IbLb0EEEEDaSP_SQ_EUlSP_E0_NS1_11comp_targetILNS1_3genE10ELNS1_11target_archE1200ELNS1_3gpuE4ELNS1_3repE0EEENS1_30default_config_static_selectorELNS0_4arch9wavefront6targetE1EEEvT1_
		.amdhsa_group_segment_fixed_size 0
		.amdhsa_private_segment_fixed_size 0
		.amdhsa_kernarg_size 32
		.amdhsa_user_sgpr_count 6
		.amdhsa_user_sgpr_private_segment_buffer 1
		.amdhsa_user_sgpr_dispatch_ptr 0
		.amdhsa_user_sgpr_queue_ptr 0
		.amdhsa_user_sgpr_kernarg_segment_ptr 1
		.amdhsa_user_sgpr_dispatch_id 0
		.amdhsa_user_sgpr_flat_scratch_init 0
		.amdhsa_user_sgpr_kernarg_preload_length 0
		.amdhsa_user_sgpr_kernarg_preload_offset 0
		.amdhsa_user_sgpr_private_segment_size 0
		.amdhsa_uses_dynamic_stack 0
		.amdhsa_system_sgpr_private_segment_wavefront_offset 0
		.amdhsa_system_sgpr_workgroup_id_x 1
		.amdhsa_system_sgpr_workgroup_id_y 0
		.amdhsa_system_sgpr_workgroup_id_z 0
		.amdhsa_system_sgpr_workgroup_info 0
		.amdhsa_system_vgpr_workitem_id 0
		.amdhsa_next_free_vgpr 1
		.amdhsa_next_free_sgpr 0
		.amdhsa_accum_offset 4
		.amdhsa_reserve_vcc 0
		.amdhsa_reserve_flat_scratch 0
		.amdhsa_float_round_mode_32 0
		.amdhsa_float_round_mode_16_64 0
		.amdhsa_float_denorm_mode_32 3
		.amdhsa_float_denorm_mode_16_64 3
		.amdhsa_dx10_clamp 1
		.amdhsa_ieee_mode 1
		.amdhsa_fp16_overflow 0
		.amdhsa_tg_split 0
		.amdhsa_exception_fp_ieee_invalid_op 0
		.amdhsa_exception_fp_denorm_src 0
		.amdhsa_exception_fp_ieee_div_zero 0
		.amdhsa_exception_fp_ieee_overflow 0
		.amdhsa_exception_fp_ieee_underflow 0
		.amdhsa_exception_fp_ieee_inexact 0
		.amdhsa_exception_int_div_zero 0
	.end_amdhsa_kernel
	.section	.text._ZN7rocprim17ROCPRIM_400000_NS6detail17trampoline_kernelINS0_14default_configENS1_20scan_config_selectorIiEEZZNS1_9scan_implILNS1_25lookback_scan_determinismE0ELb0ELb0ES3_N6thrust23THRUST_200600_302600_NS6detail15normal_iteratorINS9_10device_ptrIiEEEESE_iNS9_4plusIiEEiEEDaPvRmT3_T4_T5_mT6_P12ihipStream_tbENKUlT_T0_E_clISt17integral_constantIbLb1EEST_IbLb0EEEEDaSP_SQ_EUlSP_E0_NS1_11comp_targetILNS1_3genE10ELNS1_11target_archE1200ELNS1_3gpuE4ELNS1_3repE0EEENS1_30default_config_static_selectorELNS0_4arch9wavefront6targetE1EEEvT1_,"axG",@progbits,_ZN7rocprim17ROCPRIM_400000_NS6detail17trampoline_kernelINS0_14default_configENS1_20scan_config_selectorIiEEZZNS1_9scan_implILNS1_25lookback_scan_determinismE0ELb0ELb0ES3_N6thrust23THRUST_200600_302600_NS6detail15normal_iteratorINS9_10device_ptrIiEEEESE_iNS9_4plusIiEEiEEDaPvRmT3_T4_T5_mT6_P12ihipStream_tbENKUlT_T0_E_clISt17integral_constantIbLb1EEST_IbLb0EEEEDaSP_SQ_EUlSP_E0_NS1_11comp_targetILNS1_3genE10ELNS1_11target_archE1200ELNS1_3gpuE4ELNS1_3repE0EEENS1_30default_config_static_selectorELNS0_4arch9wavefront6targetE1EEEvT1_,comdat
.Lfunc_end566:
	.size	_ZN7rocprim17ROCPRIM_400000_NS6detail17trampoline_kernelINS0_14default_configENS1_20scan_config_selectorIiEEZZNS1_9scan_implILNS1_25lookback_scan_determinismE0ELb0ELb0ES3_N6thrust23THRUST_200600_302600_NS6detail15normal_iteratorINS9_10device_ptrIiEEEESE_iNS9_4plusIiEEiEEDaPvRmT3_T4_T5_mT6_P12ihipStream_tbENKUlT_T0_E_clISt17integral_constantIbLb1EEST_IbLb0EEEEDaSP_SQ_EUlSP_E0_NS1_11comp_targetILNS1_3genE10ELNS1_11target_archE1200ELNS1_3gpuE4ELNS1_3repE0EEENS1_30default_config_static_selectorELNS0_4arch9wavefront6targetE1EEEvT1_, .Lfunc_end566-_ZN7rocprim17ROCPRIM_400000_NS6detail17trampoline_kernelINS0_14default_configENS1_20scan_config_selectorIiEEZZNS1_9scan_implILNS1_25lookback_scan_determinismE0ELb0ELb0ES3_N6thrust23THRUST_200600_302600_NS6detail15normal_iteratorINS9_10device_ptrIiEEEESE_iNS9_4plusIiEEiEEDaPvRmT3_T4_T5_mT6_P12ihipStream_tbENKUlT_T0_E_clISt17integral_constantIbLb1EEST_IbLb0EEEEDaSP_SQ_EUlSP_E0_NS1_11comp_targetILNS1_3genE10ELNS1_11target_archE1200ELNS1_3gpuE4ELNS1_3repE0EEENS1_30default_config_static_selectorELNS0_4arch9wavefront6targetE1EEEvT1_
                                        ; -- End function
	.section	.AMDGPU.csdata,"",@progbits
; Kernel info:
; codeLenInByte = 0
; NumSgprs: 4
; NumVgprs: 0
; NumAgprs: 0
; TotalNumVgprs: 0
; ScratchSize: 0
; MemoryBound: 0
; FloatMode: 240
; IeeeMode: 1
; LDSByteSize: 0 bytes/workgroup (compile time only)
; SGPRBlocks: 0
; VGPRBlocks: 0
; NumSGPRsForWavesPerEU: 4
; NumVGPRsForWavesPerEU: 1
; AccumOffset: 4
; Occupancy: 8
; WaveLimiterHint : 0
; COMPUTE_PGM_RSRC2:SCRATCH_EN: 0
; COMPUTE_PGM_RSRC2:USER_SGPR: 6
; COMPUTE_PGM_RSRC2:TRAP_HANDLER: 0
; COMPUTE_PGM_RSRC2:TGID_X_EN: 1
; COMPUTE_PGM_RSRC2:TGID_Y_EN: 0
; COMPUTE_PGM_RSRC2:TGID_Z_EN: 0
; COMPUTE_PGM_RSRC2:TIDIG_COMP_CNT: 0
; COMPUTE_PGM_RSRC3_GFX90A:ACCUM_OFFSET: 0
; COMPUTE_PGM_RSRC3_GFX90A:TG_SPLIT: 0
	.section	.text._ZN7rocprim17ROCPRIM_400000_NS6detail17trampoline_kernelINS0_14default_configENS1_20scan_config_selectorIiEEZZNS1_9scan_implILNS1_25lookback_scan_determinismE0ELb0ELb0ES3_N6thrust23THRUST_200600_302600_NS6detail15normal_iteratorINS9_10device_ptrIiEEEESE_iNS9_4plusIiEEiEEDaPvRmT3_T4_T5_mT6_P12ihipStream_tbENKUlT_T0_E_clISt17integral_constantIbLb1EEST_IbLb0EEEEDaSP_SQ_EUlSP_E0_NS1_11comp_targetILNS1_3genE9ELNS1_11target_archE1100ELNS1_3gpuE3ELNS1_3repE0EEENS1_30default_config_static_selectorELNS0_4arch9wavefront6targetE1EEEvT1_,"axG",@progbits,_ZN7rocprim17ROCPRIM_400000_NS6detail17trampoline_kernelINS0_14default_configENS1_20scan_config_selectorIiEEZZNS1_9scan_implILNS1_25lookback_scan_determinismE0ELb0ELb0ES3_N6thrust23THRUST_200600_302600_NS6detail15normal_iteratorINS9_10device_ptrIiEEEESE_iNS9_4plusIiEEiEEDaPvRmT3_T4_T5_mT6_P12ihipStream_tbENKUlT_T0_E_clISt17integral_constantIbLb1EEST_IbLb0EEEEDaSP_SQ_EUlSP_E0_NS1_11comp_targetILNS1_3genE9ELNS1_11target_archE1100ELNS1_3gpuE3ELNS1_3repE0EEENS1_30default_config_static_selectorELNS0_4arch9wavefront6targetE1EEEvT1_,comdat
	.protected	_ZN7rocprim17ROCPRIM_400000_NS6detail17trampoline_kernelINS0_14default_configENS1_20scan_config_selectorIiEEZZNS1_9scan_implILNS1_25lookback_scan_determinismE0ELb0ELb0ES3_N6thrust23THRUST_200600_302600_NS6detail15normal_iteratorINS9_10device_ptrIiEEEESE_iNS9_4plusIiEEiEEDaPvRmT3_T4_T5_mT6_P12ihipStream_tbENKUlT_T0_E_clISt17integral_constantIbLb1EEST_IbLb0EEEEDaSP_SQ_EUlSP_E0_NS1_11comp_targetILNS1_3genE9ELNS1_11target_archE1100ELNS1_3gpuE3ELNS1_3repE0EEENS1_30default_config_static_selectorELNS0_4arch9wavefront6targetE1EEEvT1_ ; -- Begin function _ZN7rocprim17ROCPRIM_400000_NS6detail17trampoline_kernelINS0_14default_configENS1_20scan_config_selectorIiEEZZNS1_9scan_implILNS1_25lookback_scan_determinismE0ELb0ELb0ES3_N6thrust23THRUST_200600_302600_NS6detail15normal_iteratorINS9_10device_ptrIiEEEESE_iNS9_4plusIiEEiEEDaPvRmT3_T4_T5_mT6_P12ihipStream_tbENKUlT_T0_E_clISt17integral_constantIbLb1EEST_IbLb0EEEEDaSP_SQ_EUlSP_E0_NS1_11comp_targetILNS1_3genE9ELNS1_11target_archE1100ELNS1_3gpuE3ELNS1_3repE0EEENS1_30default_config_static_selectorELNS0_4arch9wavefront6targetE1EEEvT1_
	.globl	_ZN7rocprim17ROCPRIM_400000_NS6detail17trampoline_kernelINS0_14default_configENS1_20scan_config_selectorIiEEZZNS1_9scan_implILNS1_25lookback_scan_determinismE0ELb0ELb0ES3_N6thrust23THRUST_200600_302600_NS6detail15normal_iteratorINS9_10device_ptrIiEEEESE_iNS9_4plusIiEEiEEDaPvRmT3_T4_T5_mT6_P12ihipStream_tbENKUlT_T0_E_clISt17integral_constantIbLb1EEST_IbLb0EEEEDaSP_SQ_EUlSP_E0_NS1_11comp_targetILNS1_3genE9ELNS1_11target_archE1100ELNS1_3gpuE3ELNS1_3repE0EEENS1_30default_config_static_selectorELNS0_4arch9wavefront6targetE1EEEvT1_
	.p2align	8
	.type	_ZN7rocprim17ROCPRIM_400000_NS6detail17trampoline_kernelINS0_14default_configENS1_20scan_config_selectorIiEEZZNS1_9scan_implILNS1_25lookback_scan_determinismE0ELb0ELb0ES3_N6thrust23THRUST_200600_302600_NS6detail15normal_iteratorINS9_10device_ptrIiEEEESE_iNS9_4plusIiEEiEEDaPvRmT3_T4_T5_mT6_P12ihipStream_tbENKUlT_T0_E_clISt17integral_constantIbLb1EEST_IbLb0EEEEDaSP_SQ_EUlSP_E0_NS1_11comp_targetILNS1_3genE9ELNS1_11target_archE1100ELNS1_3gpuE3ELNS1_3repE0EEENS1_30default_config_static_selectorELNS0_4arch9wavefront6targetE1EEEvT1_,@function
_ZN7rocprim17ROCPRIM_400000_NS6detail17trampoline_kernelINS0_14default_configENS1_20scan_config_selectorIiEEZZNS1_9scan_implILNS1_25lookback_scan_determinismE0ELb0ELb0ES3_N6thrust23THRUST_200600_302600_NS6detail15normal_iteratorINS9_10device_ptrIiEEEESE_iNS9_4plusIiEEiEEDaPvRmT3_T4_T5_mT6_P12ihipStream_tbENKUlT_T0_E_clISt17integral_constantIbLb1EEST_IbLb0EEEEDaSP_SQ_EUlSP_E0_NS1_11comp_targetILNS1_3genE9ELNS1_11target_archE1100ELNS1_3gpuE3ELNS1_3repE0EEENS1_30default_config_static_selectorELNS0_4arch9wavefront6targetE1EEEvT1_: ; @_ZN7rocprim17ROCPRIM_400000_NS6detail17trampoline_kernelINS0_14default_configENS1_20scan_config_selectorIiEEZZNS1_9scan_implILNS1_25lookback_scan_determinismE0ELb0ELb0ES3_N6thrust23THRUST_200600_302600_NS6detail15normal_iteratorINS9_10device_ptrIiEEEESE_iNS9_4plusIiEEiEEDaPvRmT3_T4_T5_mT6_P12ihipStream_tbENKUlT_T0_E_clISt17integral_constantIbLb1EEST_IbLb0EEEEDaSP_SQ_EUlSP_E0_NS1_11comp_targetILNS1_3genE9ELNS1_11target_archE1100ELNS1_3gpuE3ELNS1_3repE0EEENS1_30default_config_static_selectorELNS0_4arch9wavefront6targetE1EEEvT1_
; %bb.0:
	.section	.rodata,"a",@progbits
	.p2align	6, 0x0
	.amdhsa_kernel _ZN7rocprim17ROCPRIM_400000_NS6detail17trampoline_kernelINS0_14default_configENS1_20scan_config_selectorIiEEZZNS1_9scan_implILNS1_25lookback_scan_determinismE0ELb0ELb0ES3_N6thrust23THRUST_200600_302600_NS6detail15normal_iteratorINS9_10device_ptrIiEEEESE_iNS9_4plusIiEEiEEDaPvRmT3_T4_T5_mT6_P12ihipStream_tbENKUlT_T0_E_clISt17integral_constantIbLb1EEST_IbLb0EEEEDaSP_SQ_EUlSP_E0_NS1_11comp_targetILNS1_3genE9ELNS1_11target_archE1100ELNS1_3gpuE3ELNS1_3repE0EEENS1_30default_config_static_selectorELNS0_4arch9wavefront6targetE1EEEvT1_
		.amdhsa_group_segment_fixed_size 0
		.amdhsa_private_segment_fixed_size 0
		.amdhsa_kernarg_size 32
		.amdhsa_user_sgpr_count 6
		.amdhsa_user_sgpr_private_segment_buffer 1
		.amdhsa_user_sgpr_dispatch_ptr 0
		.amdhsa_user_sgpr_queue_ptr 0
		.amdhsa_user_sgpr_kernarg_segment_ptr 1
		.amdhsa_user_sgpr_dispatch_id 0
		.amdhsa_user_sgpr_flat_scratch_init 0
		.amdhsa_user_sgpr_kernarg_preload_length 0
		.amdhsa_user_sgpr_kernarg_preload_offset 0
		.amdhsa_user_sgpr_private_segment_size 0
		.amdhsa_uses_dynamic_stack 0
		.amdhsa_system_sgpr_private_segment_wavefront_offset 0
		.amdhsa_system_sgpr_workgroup_id_x 1
		.amdhsa_system_sgpr_workgroup_id_y 0
		.amdhsa_system_sgpr_workgroup_id_z 0
		.amdhsa_system_sgpr_workgroup_info 0
		.amdhsa_system_vgpr_workitem_id 0
		.amdhsa_next_free_vgpr 1
		.amdhsa_next_free_sgpr 0
		.amdhsa_accum_offset 4
		.amdhsa_reserve_vcc 0
		.amdhsa_reserve_flat_scratch 0
		.amdhsa_float_round_mode_32 0
		.amdhsa_float_round_mode_16_64 0
		.amdhsa_float_denorm_mode_32 3
		.amdhsa_float_denorm_mode_16_64 3
		.amdhsa_dx10_clamp 1
		.amdhsa_ieee_mode 1
		.amdhsa_fp16_overflow 0
		.amdhsa_tg_split 0
		.amdhsa_exception_fp_ieee_invalid_op 0
		.amdhsa_exception_fp_denorm_src 0
		.amdhsa_exception_fp_ieee_div_zero 0
		.amdhsa_exception_fp_ieee_overflow 0
		.amdhsa_exception_fp_ieee_underflow 0
		.amdhsa_exception_fp_ieee_inexact 0
		.amdhsa_exception_int_div_zero 0
	.end_amdhsa_kernel
	.section	.text._ZN7rocprim17ROCPRIM_400000_NS6detail17trampoline_kernelINS0_14default_configENS1_20scan_config_selectorIiEEZZNS1_9scan_implILNS1_25lookback_scan_determinismE0ELb0ELb0ES3_N6thrust23THRUST_200600_302600_NS6detail15normal_iteratorINS9_10device_ptrIiEEEESE_iNS9_4plusIiEEiEEDaPvRmT3_T4_T5_mT6_P12ihipStream_tbENKUlT_T0_E_clISt17integral_constantIbLb1EEST_IbLb0EEEEDaSP_SQ_EUlSP_E0_NS1_11comp_targetILNS1_3genE9ELNS1_11target_archE1100ELNS1_3gpuE3ELNS1_3repE0EEENS1_30default_config_static_selectorELNS0_4arch9wavefront6targetE1EEEvT1_,"axG",@progbits,_ZN7rocprim17ROCPRIM_400000_NS6detail17trampoline_kernelINS0_14default_configENS1_20scan_config_selectorIiEEZZNS1_9scan_implILNS1_25lookback_scan_determinismE0ELb0ELb0ES3_N6thrust23THRUST_200600_302600_NS6detail15normal_iteratorINS9_10device_ptrIiEEEESE_iNS9_4plusIiEEiEEDaPvRmT3_T4_T5_mT6_P12ihipStream_tbENKUlT_T0_E_clISt17integral_constantIbLb1EEST_IbLb0EEEEDaSP_SQ_EUlSP_E0_NS1_11comp_targetILNS1_3genE9ELNS1_11target_archE1100ELNS1_3gpuE3ELNS1_3repE0EEENS1_30default_config_static_selectorELNS0_4arch9wavefront6targetE1EEEvT1_,comdat
.Lfunc_end567:
	.size	_ZN7rocprim17ROCPRIM_400000_NS6detail17trampoline_kernelINS0_14default_configENS1_20scan_config_selectorIiEEZZNS1_9scan_implILNS1_25lookback_scan_determinismE0ELb0ELb0ES3_N6thrust23THRUST_200600_302600_NS6detail15normal_iteratorINS9_10device_ptrIiEEEESE_iNS9_4plusIiEEiEEDaPvRmT3_T4_T5_mT6_P12ihipStream_tbENKUlT_T0_E_clISt17integral_constantIbLb1EEST_IbLb0EEEEDaSP_SQ_EUlSP_E0_NS1_11comp_targetILNS1_3genE9ELNS1_11target_archE1100ELNS1_3gpuE3ELNS1_3repE0EEENS1_30default_config_static_selectorELNS0_4arch9wavefront6targetE1EEEvT1_, .Lfunc_end567-_ZN7rocprim17ROCPRIM_400000_NS6detail17trampoline_kernelINS0_14default_configENS1_20scan_config_selectorIiEEZZNS1_9scan_implILNS1_25lookback_scan_determinismE0ELb0ELb0ES3_N6thrust23THRUST_200600_302600_NS6detail15normal_iteratorINS9_10device_ptrIiEEEESE_iNS9_4plusIiEEiEEDaPvRmT3_T4_T5_mT6_P12ihipStream_tbENKUlT_T0_E_clISt17integral_constantIbLb1EEST_IbLb0EEEEDaSP_SQ_EUlSP_E0_NS1_11comp_targetILNS1_3genE9ELNS1_11target_archE1100ELNS1_3gpuE3ELNS1_3repE0EEENS1_30default_config_static_selectorELNS0_4arch9wavefront6targetE1EEEvT1_
                                        ; -- End function
	.section	.AMDGPU.csdata,"",@progbits
; Kernel info:
; codeLenInByte = 0
; NumSgprs: 4
; NumVgprs: 0
; NumAgprs: 0
; TotalNumVgprs: 0
; ScratchSize: 0
; MemoryBound: 0
; FloatMode: 240
; IeeeMode: 1
; LDSByteSize: 0 bytes/workgroup (compile time only)
; SGPRBlocks: 0
; VGPRBlocks: 0
; NumSGPRsForWavesPerEU: 4
; NumVGPRsForWavesPerEU: 1
; AccumOffset: 4
; Occupancy: 8
; WaveLimiterHint : 0
; COMPUTE_PGM_RSRC2:SCRATCH_EN: 0
; COMPUTE_PGM_RSRC2:USER_SGPR: 6
; COMPUTE_PGM_RSRC2:TRAP_HANDLER: 0
; COMPUTE_PGM_RSRC2:TGID_X_EN: 1
; COMPUTE_PGM_RSRC2:TGID_Y_EN: 0
; COMPUTE_PGM_RSRC2:TGID_Z_EN: 0
; COMPUTE_PGM_RSRC2:TIDIG_COMP_CNT: 0
; COMPUTE_PGM_RSRC3_GFX90A:ACCUM_OFFSET: 0
; COMPUTE_PGM_RSRC3_GFX90A:TG_SPLIT: 0
	.section	.text._ZN7rocprim17ROCPRIM_400000_NS6detail17trampoline_kernelINS0_14default_configENS1_20scan_config_selectorIiEEZZNS1_9scan_implILNS1_25lookback_scan_determinismE0ELb0ELb0ES3_N6thrust23THRUST_200600_302600_NS6detail15normal_iteratorINS9_10device_ptrIiEEEESE_iNS9_4plusIiEEiEEDaPvRmT3_T4_T5_mT6_P12ihipStream_tbENKUlT_T0_E_clISt17integral_constantIbLb1EEST_IbLb0EEEEDaSP_SQ_EUlSP_E0_NS1_11comp_targetILNS1_3genE8ELNS1_11target_archE1030ELNS1_3gpuE2ELNS1_3repE0EEENS1_30default_config_static_selectorELNS0_4arch9wavefront6targetE1EEEvT1_,"axG",@progbits,_ZN7rocprim17ROCPRIM_400000_NS6detail17trampoline_kernelINS0_14default_configENS1_20scan_config_selectorIiEEZZNS1_9scan_implILNS1_25lookback_scan_determinismE0ELb0ELb0ES3_N6thrust23THRUST_200600_302600_NS6detail15normal_iteratorINS9_10device_ptrIiEEEESE_iNS9_4plusIiEEiEEDaPvRmT3_T4_T5_mT6_P12ihipStream_tbENKUlT_T0_E_clISt17integral_constantIbLb1EEST_IbLb0EEEEDaSP_SQ_EUlSP_E0_NS1_11comp_targetILNS1_3genE8ELNS1_11target_archE1030ELNS1_3gpuE2ELNS1_3repE0EEENS1_30default_config_static_selectorELNS0_4arch9wavefront6targetE1EEEvT1_,comdat
	.protected	_ZN7rocprim17ROCPRIM_400000_NS6detail17trampoline_kernelINS0_14default_configENS1_20scan_config_selectorIiEEZZNS1_9scan_implILNS1_25lookback_scan_determinismE0ELb0ELb0ES3_N6thrust23THRUST_200600_302600_NS6detail15normal_iteratorINS9_10device_ptrIiEEEESE_iNS9_4plusIiEEiEEDaPvRmT3_T4_T5_mT6_P12ihipStream_tbENKUlT_T0_E_clISt17integral_constantIbLb1EEST_IbLb0EEEEDaSP_SQ_EUlSP_E0_NS1_11comp_targetILNS1_3genE8ELNS1_11target_archE1030ELNS1_3gpuE2ELNS1_3repE0EEENS1_30default_config_static_selectorELNS0_4arch9wavefront6targetE1EEEvT1_ ; -- Begin function _ZN7rocprim17ROCPRIM_400000_NS6detail17trampoline_kernelINS0_14default_configENS1_20scan_config_selectorIiEEZZNS1_9scan_implILNS1_25lookback_scan_determinismE0ELb0ELb0ES3_N6thrust23THRUST_200600_302600_NS6detail15normal_iteratorINS9_10device_ptrIiEEEESE_iNS9_4plusIiEEiEEDaPvRmT3_T4_T5_mT6_P12ihipStream_tbENKUlT_T0_E_clISt17integral_constantIbLb1EEST_IbLb0EEEEDaSP_SQ_EUlSP_E0_NS1_11comp_targetILNS1_3genE8ELNS1_11target_archE1030ELNS1_3gpuE2ELNS1_3repE0EEENS1_30default_config_static_selectorELNS0_4arch9wavefront6targetE1EEEvT1_
	.globl	_ZN7rocprim17ROCPRIM_400000_NS6detail17trampoline_kernelINS0_14default_configENS1_20scan_config_selectorIiEEZZNS1_9scan_implILNS1_25lookback_scan_determinismE0ELb0ELb0ES3_N6thrust23THRUST_200600_302600_NS6detail15normal_iteratorINS9_10device_ptrIiEEEESE_iNS9_4plusIiEEiEEDaPvRmT3_T4_T5_mT6_P12ihipStream_tbENKUlT_T0_E_clISt17integral_constantIbLb1EEST_IbLb0EEEEDaSP_SQ_EUlSP_E0_NS1_11comp_targetILNS1_3genE8ELNS1_11target_archE1030ELNS1_3gpuE2ELNS1_3repE0EEENS1_30default_config_static_selectorELNS0_4arch9wavefront6targetE1EEEvT1_
	.p2align	8
	.type	_ZN7rocprim17ROCPRIM_400000_NS6detail17trampoline_kernelINS0_14default_configENS1_20scan_config_selectorIiEEZZNS1_9scan_implILNS1_25lookback_scan_determinismE0ELb0ELb0ES3_N6thrust23THRUST_200600_302600_NS6detail15normal_iteratorINS9_10device_ptrIiEEEESE_iNS9_4plusIiEEiEEDaPvRmT3_T4_T5_mT6_P12ihipStream_tbENKUlT_T0_E_clISt17integral_constantIbLb1EEST_IbLb0EEEEDaSP_SQ_EUlSP_E0_NS1_11comp_targetILNS1_3genE8ELNS1_11target_archE1030ELNS1_3gpuE2ELNS1_3repE0EEENS1_30default_config_static_selectorELNS0_4arch9wavefront6targetE1EEEvT1_,@function
_ZN7rocprim17ROCPRIM_400000_NS6detail17trampoline_kernelINS0_14default_configENS1_20scan_config_selectorIiEEZZNS1_9scan_implILNS1_25lookback_scan_determinismE0ELb0ELb0ES3_N6thrust23THRUST_200600_302600_NS6detail15normal_iteratorINS9_10device_ptrIiEEEESE_iNS9_4plusIiEEiEEDaPvRmT3_T4_T5_mT6_P12ihipStream_tbENKUlT_T0_E_clISt17integral_constantIbLb1EEST_IbLb0EEEEDaSP_SQ_EUlSP_E0_NS1_11comp_targetILNS1_3genE8ELNS1_11target_archE1030ELNS1_3gpuE2ELNS1_3repE0EEENS1_30default_config_static_selectorELNS0_4arch9wavefront6targetE1EEEvT1_: ; @_ZN7rocprim17ROCPRIM_400000_NS6detail17trampoline_kernelINS0_14default_configENS1_20scan_config_selectorIiEEZZNS1_9scan_implILNS1_25lookback_scan_determinismE0ELb0ELb0ES3_N6thrust23THRUST_200600_302600_NS6detail15normal_iteratorINS9_10device_ptrIiEEEESE_iNS9_4plusIiEEiEEDaPvRmT3_T4_T5_mT6_P12ihipStream_tbENKUlT_T0_E_clISt17integral_constantIbLb1EEST_IbLb0EEEEDaSP_SQ_EUlSP_E0_NS1_11comp_targetILNS1_3genE8ELNS1_11target_archE1030ELNS1_3gpuE2ELNS1_3repE0EEENS1_30default_config_static_selectorELNS0_4arch9wavefront6targetE1EEEvT1_
; %bb.0:
	.section	.rodata,"a",@progbits
	.p2align	6, 0x0
	.amdhsa_kernel _ZN7rocprim17ROCPRIM_400000_NS6detail17trampoline_kernelINS0_14default_configENS1_20scan_config_selectorIiEEZZNS1_9scan_implILNS1_25lookback_scan_determinismE0ELb0ELb0ES3_N6thrust23THRUST_200600_302600_NS6detail15normal_iteratorINS9_10device_ptrIiEEEESE_iNS9_4plusIiEEiEEDaPvRmT3_T4_T5_mT6_P12ihipStream_tbENKUlT_T0_E_clISt17integral_constantIbLb1EEST_IbLb0EEEEDaSP_SQ_EUlSP_E0_NS1_11comp_targetILNS1_3genE8ELNS1_11target_archE1030ELNS1_3gpuE2ELNS1_3repE0EEENS1_30default_config_static_selectorELNS0_4arch9wavefront6targetE1EEEvT1_
		.amdhsa_group_segment_fixed_size 0
		.amdhsa_private_segment_fixed_size 0
		.amdhsa_kernarg_size 32
		.amdhsa_user_sgpr_count 6
		.amdhsa_user_sgpr_private_segment_buffer 1
		.amdhsa_user_sgpr_dispatch_ptr 0
		.amdhsa_user_sgpr_queue_ptr 0
		.amdhsa_user_sgpr_kernarg_segment_ptr 1
		.amdhsa_user_sgpr_dispatch_id 0
		.amdhsa_user_sgpr_flat_scratch_init 0
		.amdhsa_user_sgpr_kernarg_preload_length 0
		.amdhsa_user_sgpr_kernarg_preload_offset 0
		.amdhsa_user_sgpr_private_segment_size 0
		.amdhsa_uses_dynamic_stack 0
		.amdhsa_system_sgpr_private_segment_wavefront_offset 0
		.amdhsa_system_sgpr_workgroup_id_x 1
		.amdhsa_system_sgpr_workgroup_id_y 0
		.amdhsa_system_sgpr_workgroup_id_z 0
		.amdhsa_system_sgpr_workgroup_info 0
		.amdhsa_system_vgpr_workitem_id 0
		.amdhsa_next_free_vgpr 1
		.amdhsa_next_free_sgpr 0
		.amdhsa_accum_offset 4
		.amdhsa_reserve_vcc 0
		.amdhsa_reserve_flat_scratch 0
		.amdhsa_float_round_mode_32 0
		.amdhsa_float_round_mode_16_64 0
		.amdhsa_float_denorm_mode_32 3
		.amdhsa_float_denorm_mode_16_64 3
		.amdhsa_dx10_clamp 1
		.amdhsa_ieee_mode 1
		.amdhsa_fp16_overflow 0
		.amdhsa_tg_split 0
		.amdhsa_exception_fp_ieee_invalid_op 0
		.amdhsa_exception_fp_denorm_src 0
		.amdhsa_exception_fp_ieee_div_zero 0
		.amdhsa_exception_fp_ieee_overflow 0
		.amdhsa_exception_fp_ieee_underflow 0
		.amdhsa_exception_fp_ieee_inexact 0
		.amdhsa_exception_int_div_zero 0
	.end_amdhsa_kernel
	.section	.text._ZN7rocprim17ROCPRIM_400000_NS6detail17trampoline_kernelINS0_14default_configENS1_20scan_config_selectorIiEEZZNS1_9scan_implILNS1_25lookback_scan_determinismE0ELb0ELb0ES3_N6thrust23THRUST_200600_302600_NS6detail15normal_iteratorINS9_10device_ptrIiEEEESE_iNS9_4plusIiEEiEEDaPvRmT3_T4_T5_mT6_P12ihipStream_tbENKUlT_T0_E_clISt17integral_constantIbLb1EEST_IbLb0EEEEDaSP_SQ_EUlSP_E0_NS1_11comp_targetILNS1_3genE8ELNS1_11target_archE1030ELNS1_3gpuE2ELNS1_3repE0EEENS1_30default_config_static_selectorELNS0_4arch9wavefront6targetE1EEEvT1_,"axG",@progbits,_ZN7rocprim17ROCPRIM_400000_NS6detail17trampoline_kernelINS0_14default_configENS1_20scan_config_selectorIiEEZZNS1_9scan_implILNS1_25lookback_scan_determinismE0ELb0ELb0ES3_N6thrust23THRUST_200600_302600_NS6detail15normal_iteratorINS9_10device_ptrIiEEEESE_iNS9_4plusIiEEiEEDaPvRmT3_T4_T5_mT6_P12ihipStream_tbENKUlT_T0_E_clISt17integral_constantIbLb1EEST_IbLb0EEEEDaSP_SQ_EUlSP_E0_NS1_11comp_targetILNS1_3genE8ELNS1_11target_archE1030ELNS1_3gpuE2ELNS1_3repE0EEENS1_30default_config_static_selectorELNS0_4arch9wavefront6targetE1EEEvT1_,comdat
.Lfunc_end568:
	.size	_ZN7rocprim17ROCPRIM_400000_NS6detail17trampoline_kernelINS0_14default_configENS1_20scan_config_selectorIiEEZZNS1_9scan_implILNS1_25lookback_scan_determinismE0ELb0ELb0ES3_N6thrust23THRUST_200600_302600_NS6detail15normal_iteratorINS9_10device_ptrIiEEEESE_iNS9_4plusIiEEiEEDaPvRmT3_T4_T5_mT6_P12ihipStream_tbENKUlT_T0_E_clISt17integral_constantIbLb1EEST_IbLb0EEEEDaSP_SQ_EUlSP_E0_NS1_11comp_targetILNS1_3genE8ELNS1_11target_archE1030ELNS1_3gpuE2ELNS1_3repE0EEENS1_30default_config_static_selectorELNS0_4arch9wavefront6targetE1EEEvT1_, .Lfunc_end568-_ZN7rocprim17ROCPRIM_400000_NS6detail17trampoline_kernelINS0_14default_configENS1_20scan_config_selectorIiEEZZNS1_9scan_implILNS1_25lookback_scan_determinismE0ELb0ELb0ES3_N6thrust23THRUST_200600_302600_NS6detail15normal_iteratorINS9_10device_ptrIiEEEESE_iNS9_4plusIiEEiEEDaPvRmT3_T4_T5_mT6_P12ihipStream_tbENKUlT_T0_E_clISt17integral_constantIbLb1EEST_IbLb0EEEEDaSP_SQ_EUlSP_E0_NS1_11comp_targetILNS1_3genE8ELNS1_11target_archE1030ELNS1_3gpuE2ELNS1_3repE0EEENS1_30default_config_static_selectorELNS0_4arch9wavefront6targetE1EEEvT1_
                                        ; -- End function
	.section	.AMDGPU.csdata,"",@progbits
; Kernel info:
; codeLenInByte = 0
; NumSgprs: 4
; NumVgprs: 0
; NumAgprs: 0
; TotalNumVgprs: 0
; ScratchSize: 0
; MemoryBound: 0
; FloatMode: 240
; IeeeMode: 1
; LDSByteSize: 0 bytes/workgroup (compile time only)
; SGPRBlocks: 0
; VGPRBlocks: 0
; NumSGPRsForWavesPerEU: 4
; NumVGPRsForWavesPerEU: 1
; AccumOffset: 4
; Occupancy: 8
; WaveLimiterHint : 0
; COMPUTE_PGM_RSRC2:SCRATCH_EN: 0
; COMPUTE_PGM_RSRC2:USER_SGPR: 6
; COMPUTE_PGM_RSRC2:TRAP_HANDLER: 0
; COMPUTE_PGM_RSRC2:TGID_X_EN: 1
; COMPUTE_PGM_RSRC2:TGID_Y_EN: 0
; COMPUTE_PGM_RSRC2:TGID_Z_EN: 0
; COMPUTE_PGM_RSRC2:TIDIG_COMP_CNT: 0
; COMPUTE_PGM_RSRC3_GFX90A:ACCUM_OFFSET: 0
; COMPUTE_PGM_RSRC3_GFX90A:TG_SPLIT: 0
	.section	.text._ZN7rocprim17ROCPRIM_400000_NS6detail31init_lookback_scan_state_kernelINS1_19lookback_scan_stateIiLb0ELb1EEENS1_16block_id_wrapperIjLb1EEEEEvT_jT0_jPNS7_10value_typeE,"axG",@progbits,_ZN7rocprim17ROCPRIM_400000_NS6detail31init_lookback_scan_state_kernelINS1_19lookback_scan_stateIiLb0ELb1EEENS1_16block_id_wrapperIjLb1EEEEEvT_jT0_jPNS7_10value_typeE,comdat
	.protected	_ZN7rocprim17ROCPRIM_400000_NS6detail31init_lookback_scan_state_kernelINS1_19lookback_scan_stateIiLb0ELb1EEENS1_16block_id_wrapperIjLb1EEEEEvT_jT0_jPNS7_10value_typeE ; -- Begin function _ZN7rocprim17ROCPRIM_400000_NS6detail31init_lookback_scan_state_kernelINS1_19lookback_scan_stateIiLb0ELb1EEENS1_16block_id_wrapperIjLb1EEEEEvT_jT0_jPNS7_10value_typeE
	.globl	_ZN7rocprim17ROCPRIM_400000_NS6detail31init_lookback_scan_state_kernelINS1_19lookback_scan_stateIiLb0ELb1EEENS1_16block_id_wrapperIjLb1EEEEEvT_jT0_jPNS7_10value_typeE
	.p2align	8
	.type	_ZN7rocprim17ROCPRIM_400000_NS6detail31init_lookback_scan_state_kernelINS1_19lookback_scan_stateIiLb0ELb1EEENS1_16block_id_wrapperIjLb1EEEEEvT_jT0_jPNS7_10value_typeE,@function
_ZN7rocprim17ROCPRIM_400000_NS6detail31init_lookback_scan_state_kernelINS1_19lookback_scan_stateIiLb0ELb1EEENS1_16block_id_wrapperIjLb1EEEEEvT_jT0_jPNS7_10value_typeE: ; @_ZN7rocprim17ROCPRIM_400000_NS6detail31init_lookback_scan_state_kernelINS1_19lookback_scan_stateIiLb0ELb1EEENS1_16block_id_wrapperIjLb1EEEEEvT_jT0_jPNS7_10value_typeE
; %bb.0:
	s_load_dword s7, s[4:5], 0x34
	s_load_dwordx2 s[2:3], s[4:5], 0x20
	s_load_dwordx2 s[0:1], s[4:5], 0x0
	s_load_dword s10, s[4:5], 0x8
	s_waitcnt lgkmcnt(0)
	s_and_b32 s7, s7, 0xffff
	s_mul_i32 s6, s6, s7
	s_cmp_eq_u64 s[2:3], 0
	v_add_u32_e32 v0, s6, v0
	s_cbranch_scc1 .LBB569_6
; %bb.1:
	s_load_dword s8, s[4:5], 0x18
	s_mov_b32 s9, 0
	s_waitcnt lgkmcnt(0)
	s_cmp_lt_u32 s8, s10
	s_cselect_b32 s6, s8, 0
	v_cmp_eq_u32_e32 vcc, s6, v0
	s_and_saveexec_b64 s[6:7], vcc
	s_cbranch_execz .LBB569_5
; %bb.2:
	s_add_i32 s8, s8, 64
	s_lshl_b64 s[8:9], s[8:9], 3
	s_add_u32 s8, s0, s8
	s_addc_u32 s9, s1, s9
	v_mov_b32_e32 v4, 0
	global_load_dwordx2 v[2:3], v4, s[8:9] glc
	s_waitcnt vmcnt(0)
	v_and_b32_e32 v5, 0xff, v3
	v_cmp_ne_u64_e32 vcc, 0, v[4:5]
	s_cbranch_vccnz .LBB569_4
.LBB569_3:                              ; =>This Inner Loop Header: Depth=1
	global_load_dwordx2 v[2:3], v4, s[8:9] glc
	s_waitcnt vmcnt(0)
	v_and_b32_e32 v5, 0xff, v3
	v_cmp_eq_u64_e32 vcc, 0, v[4:5]
	s_cbranch_vccnz .LBB569_3
.LBB569_4:
	v_mov_b32_e32 v1, 0
	global_store_dword v1, v2, s[2:3]
.LBB569_5:
	s_or_b64 exec, exec, s[6:7]
.LBB569_6:
	v_cmp_eq_u32_e32 vcc, 0, v0
	s_and_saveexec_b64 s[2:3], vcc
	s_cbranch_execnz .LBB569_10
; %bb.7:
	s_or_b64 exec, exec, s[2:3]
	v_cmp_gt_u32_e32 vcc, s10, v0
	s_and_saveexec_b64 s[2:3], vcc
	s_cbranch_execnz .LBB569_11
.LBB569_8:
	s_or_b64 exec, exec, s[2:3]
	v_cmp_gt_u32_e32 vcc, 64, v0
	s_and_saveexec_b64 s[2:3], vcc
	s_cbranch_execnz .LBB569_12
.LBB569_9:
	s_endpgm
.LBB569_10:
	s_load_dwordx2 s[4:5], s[4:5], 0x10
	v_mov_b32_e32 v1, 0
	s_waitcnt lgkmcnt(0)
	global_store_dword v1, v1, s[4:5]
	s_or_b64 exec, exec, s[2:3]
	v_cmp_gt_u32_e32 vcc, s10, v0
	s_and_saveexec_b64 s[2:3], vcc
	s_cbranch_execz .LBB569_8
.LBB569_11:
	v_add_u32_e32 v2, 64, v0
	v_mov_b32_e32 v3, 0
	v_lshlrev_b64 v[4:5], 3, v[2:3]
	v_mov_b32_e32 v1, s1
	v_add_co_u32_e32 v4, vcc, s0, v4
	v_addc_co_u32_e32 v5, vcc, v1, v5, vcc
	v_mov_b32_e32 v2, v3
	global_store_dwordx2 v[4:5], v[2:3], off
	s_or_b64 exec, exec, s[2:3]
	v_cmp_gt_u32_e32 vcc, 64, v0
	s_and_saveexec_b64 s[2:3], vcc
	s_cbranch_execz .LBB569_9
.LBB569_12:
	v_mov_b32_e32 v1, 0
	v_lshlrev_b64 v[2:3], 3, v[0:1]
	v_mov_b32_e32 v0, s1
	v_add_co_u32_e32 v2, vcc, s0, v2
	v_addc_co_u32_e32 v3, vcc, v0, v3, vcc
	v_mov_b32_e32 v5, 0xff
	v_mov_b32_e32 v4, v1
	global_store_dwordx2 v[2:3], v[4:5], off
	s_endpgm
	.section	.rodata,"a",@progbits
	.p2align	6, 0x0
	.amdhsa_kernel _ZN7rocprim17ROCPRIM_400000_NS6detail31init_lookback_scan_state_kernelINS1_19lookback_scan_stateIiLb0ELb1EEENS1_16block_id_wrapperIjLb1EEEEEvT_jT0_jPNS7_10value_typeE
		.amdhsa_group_segment_fixed_size 0
		.amdhsa_private_segment_fixed_size 0
		.amdhsa_kernarg_size 296
		.amdhsa_user_sgpr_count 6
		.amdhsa_user_sgpr_private_segment_buffer 1
		.amdhsa_user_sgpr_dispatch_ptr 0
		.amdhsa_user_sgpr_queue_ptr 0
		.amdhsa_user_sgpr_kernarg_segment_ptr 1
		.amdhsa_user_sgpr_dispatch_id 0
		.amdhsa_user_sgpr_flat_scratch_init 0
		.amdhsa_user_sgpr_kernarg_preload_length 0
		.amdhsa_user_sgpr_kernarg_preload_offset 0
		.amdhsa_user_sgpr_private_segment_size 0
		.amdhsa_uses_dynamic_stack 0
		.amdhsa_system_sgpr_private_segment_wavefront_offset 0
		.amdhsa_system_sgpr_workgroup_id_x 1
		.amdhsa_system_sgpr_workgroup_id_y 0
		.amdhsa_system_sgpr_workgroup_id_z 0
		.amdhsa_system_sgpr_workgroup_info 0
		.amdhsa_system_vgpr_workitem_id 0
		.amdhsa_next_free_vgpr 6
		.amdhsa_next_free_sgpr 11
		.amdhsa_accum_offset 8
		.amdhsa_reserve_vcc 1
		.amdhsa_reserve_flat_scratch 0
		.amdhsa_float_round_mode_32 0
		.amdhsa_float_round_mode_16_64 0
		.amdhsa_float_denorm_mode_32 3
		.amdhsa_float_denorm_mode_16_64 3
		.amdhsa_dx10_clamp 1
		.amdhsa_ieee_mode 1
		.amdhsa_fp16_overflow 0
		.amdhsa_tg_split 0
		.amdhsa_exception_fp_ieee_invalid_op 0
		.amdhsa_exception_fp_denorm_src 0
		.amdhsa_exception_fp_ieee_div_zero 0
		.amdhsa_exception_fp_ieee_overflow 0
		.amdhsa_exception_fp_ieee_underflow 0
		.amdhsa_exception_fp_ieee_inexact 0
		.amdhsa_exception_int_div_zero 0
	.end_amdhsa_kernel
	.section	.text._ZN7rocprim17ROCPRIM_400000_NS6detail31init_lookback_scan_state_kernelINS1_19lookback_scan_stateIiLb0ELb1EEENS1_16block_id_wrapperIjLb1EEEEEvT_jT0_jPNS7_10value_typeE,"axG",@progbits,_ZN7rocprim17ROCPRIM_400000_NS6detail31init_lookback_scan_state_kernelINS1_19lookback_scan_stateIiLb0ELb1EEENS1_16block_id_wrapperIjLb1EEEEEvT_jT0_jPNS7_10value_typeE,comdat
.Lfunc_end569:
	.size	_ZN7rocprim17ROCPRIM_400000_NS6detail31init_lookback_scan_state_kernelINS1_19lookback_scan_stateIiLb0ELb1EEENS1_16block_id_wrapperIjLb1EEEEEvT_jT0_jPNS7_10value_typeE, .Lfunc_end569-_ZN7rocprim17ROCPRIM_400000_NS6detail31init_lookback_scan_state_kernelINS1_19lookback_scan_stateIiLb0ELb1EEENS1_16block_id_wrapperIjLb1EEEEEvT_jT0_jPNS7_10value_typeE
                                        ; -- End function
	.section	.AMDGPU.csdata,"",@progbits
; Kernel info:
; codeLenInByte = 380
; NumSgprs: 15
; NumVgprs: 6
; NumAgprs: 0
; TotalNumVgprs: 6
; ScratchSize: 0
; MemoryBound: 0
; FloatMode: 240
; IeeeMode: 1
; LDSByteSize: 0 bytes/workgroup (compile time only)
; SGPRBlocks: 1
; VGPRBlocks: 0
; NumSGPRsForWavesPerEU: 15
; NumVGPRsForWavesPerEU: 6
; AccumOffset: 8
; Occupancy: 8
; WaveLimiterHint : 0
; COMPUTE_PGM_RSRC2:SCRATCH_EN: 0
; COMPUTE_PGM_RSRC2:USER_SGPR: 6
; COMPUTE_PGM_RSRC2:TRAP_HANDLER: 0
; COMPUTE_PGM_RSRC2:TGID_X_EN: 1
; COMPUTE_PGM_RSRC2:TGID_Y_EN: 0
; COMPUTE_PGM_RSRC2:TGID_Z_EN: 0
; COMPUTE_PGM_RSRC2:TIDIG_COMP_CNT: 0
; COMPUTE_PGM_RSRC3_GFX90A:ACCUM_OFFSET: 1
; COMPUTE_PGM_RSRC3_GFX90A:TG_SPLIT: 0
	.section	.text._ZN7rocprim17ROCPRIM_400000_NS6detail17trampoline_kernelINS0_14default_configENS1_20scan_config_selectorIiEEZZNS1_9scan_implILNS1_25lookback_scan_determinismE0ELb0ELb0ES3_N6thrust23THRUST_200600_302600_NS6detail15normal_iteratorINS9_10device_ptrIiEEEESE_iNS9_4plusIiEEiEEDaPvRmT3_T4_T5_mT6_P12ihipStream_tbENKUlT_T0_E_clISt17integral_constantIbLb0EEST_IbLb1EEEEDaSP_SQ_EUlSP_E_NS1_11comp_targetILNS1_3genE0ELNS1_11target_archE4294967295ELNS1_3gpuE0ELNS1_3repE0EEENS1_30default_config_static_selectorELNS0_4arch9wavefront6targetE1EEEvT1_,"axG",@progbits,_ZN7rocprim17ROCPRIM_400000_NS6detail17trampoline_kernelINS0_14default_configENS1_20scan_config_selectorIiEEZZNS1_9scan_implILNS1_25lookback_scan_determinismE0ELb0ELb0ES3_N6thrust23THRUST_200600_302600_NS6detail15normal_iteratorINS9_10device_ptrIiEEEESE_iNS9_4plusIiEEiEEDaPvRmT3_T4_T5_mT6_P12ihipStream_tbENKUlT_T0_E_clISt17integral_constantIbLb0EEST_IbLb1EEEEDaSP_SQ_EUlSP_E_NS1_11comp_targetILNS1_3genE0ELNS1_11target_archE4294967295ELNS1_3gpuE0ELNS1_3repE0EEENS1_30default_config_static_selectorELNS0_4arch9wavefront6targetE1EEEvT1_,comdat
	.protected	_ZN7rocprim17ROCPRIM_400000_NS6detail17trampoline_kernelINS0_14default_configENS1_20scan_config_selectorIiEEZZNS1_9scan_implILNS1_25lookback_scan_determinismE0ELb0ELb0ES3_N6thrust23THRUST_200600_302600_NS6detail15normal_iteratorINS9_10device_ptrIiEEEESE_iNS9_4plusIiEEiEEDaPvRmT3_T4_T5_mT6_P12ihipStream_tbENKUlT_T0_E_clISt17integral_constantIbLb0EEST_IbLb1EEEEDaSP_SQ_EUlSP_E_NS1_11comp_targetILNS1_3genE0ELNS1_11target_archE4294967295ELNS1_3gpuE0ELNS1_3repE0EEENS1_30default_config_static_selectorELNS0_4arch9wavefront6targetE1EEEvT1_ ; -- Begin function _ZN7rocprim17ROCPRIM_400000_NS6detail17trampoline_kernelINS0_14default_configENS1_20scan_config_selectorIiEEZZNS1_9scan_implILNS1_25lookback_scan_determinismE0ELb0ELb0ES3_N6thrust23THRUST_200600_302600_NS6detail15normal_iteratorINS9_10device_ptrIiEEEESE_iNS9_4plusIiEEiEEDaPvRmT3_T4_T5_mT6_P12ihipStream_tbENKUlT_T0_E_clISt17integral_constantIbLb0EEST_IbLb1EEEEDaSP_SQ_EUlSP_E_NS1_11comp_targetILNS1_3genE0ELNS1_11target_archE4294967295ELNS1_3gpuE0ELNS1_3repE0EEENS1_30default_config_static_selectorELNS0_4arch9wavefront6targetE1EEEvT1_
	.globl	_ZN7rocprim17ROCPRIM_400000_NS6detail17trampoline_kernelINS0_14default_configENS1_20scan_config_selectorIiEEZZNS1_9scan_implILNS1_25lookback_scan_determinismE0ELb0ELb0ES3_N6thrust23THRUST_200600_302600_NS6detail15normal_iteratorINS9_10device_ptrIiEEEESE_iNS9_4plusIiEEiEEDaPvRmT3_T4_T5_mT6_P12ihipStream_tbENKUlT_T0_E_clISt17integral_constantIbLb0EEST_IbLb1EEEEDaSP_SQ_EUlSP_E_NS1_11comp_targetILNS1_3genE0ELNS1_11target_archE4294967295ELNS1_3gpuE0ELNS1_3repE0EEENS1_30default_config_static_selectorELNS0_4arch9wavefront6targetE1EEEvT1_
	.p2align	8
	.type	_ZN7rocprim17ROCPRIM_400000_NS6detail17trampoline_kernelINS0_14default_configENS1_20scan_config_selectorIiEEZZNS1_9scan_implILNS1_25lookback_scan_determinismE0ELb0ELb0ES3_N6thrust23THRUST_200600_302600_NS6detail15normal_iteratorINS9_10device_ptrIiEEEESE_iNS9_4plusIiEEiEEDaPvRmT3_T4_T5_mT6_P12ihipStream_tbENKUlT_T0_E_clISt17integral_constantIbLb0EEST_IbLb1EEEEDaSP_SQ_EUlSP_E_NS1_11comp_targetILNS1_3genE0ELNS1_11target_archE4294967295ELNS1_3gpuE0ELNS1_3repE0EEENS1_30default_config_static_selectorELNS0_4arch9wavefront6targetE1EEEvT1_,@function
_ZN7rocprim17ROCPRIM_400000_NS6detail17trampoline_kernelINS0_14default_configENS1_20scan_config_selectorIiEEZZNS1_9scan_implILNS1_25lookback_scan_determinismE0ELb0ELb0ES3_N6thrust23THRUST_200600_302600_NS6detail15normal_iteratorINS9_10device_ptrIiEEEESE_iNS9_4plusIiEEiEEDaPvRmT3_T4_T5_mT6_P12ihipStream_tbENKUlT_T0_E_clISt17integral_constantIbLb0EEST_IbLb1EEEEDaSP_SQ_EUlSP_E_NS1_11comp_targetILNS1_3genE0ELNS1_11target_archE4294967295ELNS1_3gpuE0ELNS1_3repE0EEENS1_30default_config_static_selectorELNS0_4arch9wavefront6targetE1EEEvT1_: ; @_ZN7rocprim17ROCPRIM_400000_NS6detail17trampoline_kernelINS0_14default_configENS1_20scan_config_selectorIiEEZZNS1_9scan_implILNS1_25lookback_scan_determinismE0ELb0ELb0ES3_N6thrust23THRUST_200600_302600_NS6detail15normal_iteratorINS9_10device_ptrIiEEEESE_iNS9_4plusIiEEiEEDaPvRmT3_T4_T5_mT6_P12ihipStream_tbENKUlT_T0_E_clISt17integral_constantIbLb0EEST_IbLb1EEEEDaSP_SQ_EUlSP_E_NS1_11comp_targetILNS1_3genE0ELNS1_11target_archE4294967295ELNS1_3gpuE0ELNS1_3repE0EEENS1_30default_config_static_selectorELNS0_4arch9wavefront6targetE1EEEvT1_
; %bb.0:
	.section	.rodata,"a",@progbits
	.p2align	6, 0x0
	.amdhsa_kernel _ZN7rocprim17ROCPRIM_400000_NS6detail17trampoline_kernelINS0_14default_configENS1_20scan_config_selectorIiEEZZNS1_9scan_implILNS1_25lookback_scan_determinismE0ELb0ELb0ES3_N6thrust23THRUST_200600_302600_NS6detail15normal_iteratorINS9_10device_ptrIiEEEESE_iNS9_4plusIiEEiEEDaPvRmT3_T4_T5_mT6_P12ihipStream_tbENKUlT_T0_E_clISt17integral_constantIbLb0EEST_IbLb1EEEEDaSP_SQ_EUlSP_E_NS1_11comp_targetILNS1_3genE0ELNS1_11target_archE4294967295ELNS1_3gpuE0ELNS1_3repE0EEENS1_30default_config_static_selectorELNS0_4arch9wavefront6targetE1EEEvT1_
		.amdhsa_group_segment_fixed_size 0
		.amdhsa_private_segment_fixed_size 0
		.amdhsa_kernarg_size 96
		.amdhsa_user_sgpr_count 6
		.amdhsa_user_sgpr_private_segment_buffer 1
		.amdhsa_user_sgpr_dispatch_ptr 0
		.amdhsa_user_sgpr_queue_ptr 0
		.amdhsa_user_sgpr_kernarg_segment_ptr 1
		.amdhsa_user_sgpr_dispatch_id 0
		.amdhsa_user_sgpr_flat_scratch_init 0
		.amdhsa_user_sgpr_kernarg_preload_length 0
		.amdhsa_user_sgpr_kernarg_preload_offset 0
		.amdhsa_user_sgpr_private_segment_size 0
		.amdhsa_uses_dynamic_stack 0
		.amdhsa_system_sgpr_private_segment_wavefront_offset 0
		.amdhsa_system_sgpr_workgroup_id_x 1
		.amdhsa_system_sgpr_workgroup_id_y 0
		.amdhsa_system_sgpr_workgroup_id_z 0
		.amdhsa_system_sgpr_workgroup_info 0
		.amdhsa_system_vgpr_workitem_id 0
		.amdhsa_next_free_vgpr 1
		.amdhsa_next_free_sgpr 0
		.amdhsa_accum_offset 4
		.amdhsa_reserve_vcc 0
		.amdhsa_reserve_flat_scratch 0
		.amdhsa_float_round_mode_32 0
		.amdhsa_float_round_mode_16_64 0
		.amdhsa_float_denorm_mode_32 3
		.amdhsa_float_denorm_mode_16_64 3
		.amdhsa_dx10_clamp 1
		.amdhsa_ieee_mode 1
		.amdhsa_fp16_overflow 0
		.amdhsa_tg_split 0
		.amdhsa_exception_fp_ieee_invalid_op 0
		.amdhsa_exception_fp_denorm_src 0
		.amdhsa_exception_fp_ieee_div_zero 0
		.amdhsa_exception_fp_ieee_overflow 0
		.amdhsa_exception_fp_ieee_underflow 0
		.amdhsa_exception_fp_ieee_inexact 0
		.amdhsa_exception_int_div_zero 0
	.end_amdhsa_kernel
	.section	.text._ZN7rocprim17ROCPRIM_400000_NS6detail17trampoline_kernelINS0_14default_configENS1_20scan_config_selectorIiEEZZNS1_9scan_implILNS1_25lookback_scan_determinismE0ELb0ELb0ES3_N6thrust23THRUST_200600_302600_NS6detail15normal_iteratorINS9_10device_ptrIiEEEESE_iNS9_4plusIiEEiEEDaPvRmT3_T4_T5_mT6_P12ihipStream_tbENKUlT_T0_E_clISt17integral_constantIbLb0EEST_IbLb1EEEEDaSP_SQ_EUlSP_E_NS1_11comp_targetILNS1_3genE0ELNS1_11target_archE4294967295ELNS1_3gpuE0ELNS1_3repE0EEENS1_30default_config_static_selectorELNS0_4arch9wavefront6targetE1EEEvT1_,"axG",@progbits,_ZN7rocprim17ROCPRIM_400000_NS6detail17trampoline_kernelINS0_14default_configENS1_20scan_config_selectorIiEEZZNS1_9scan_implILNS1_25lookback_scan_determinismE0ELb0ELb0ES3_N6thrust23THRUST_200600_302600_NS6detail15normal_iteratorINS9_10device_ptrIiEEEESE_iNS9_4plusIiEEiEEDaPvRmT3_T4_T5_mT6_P12ihipStream_tbENKUlT_T0_E_clISt17integral_constantIbLb0EEST_IbLb1EEEEDaSP_SQ_EUlSP_E_NS1_11comp_targetILNS1_3genE0ELNS1_11target_archE4294967295ELNS1_3gpuE0ELNS1_3repE0EEENS1_30default_config_static_selectorELNS0_4arch9wavefront6targetE1EEEvT1_,comdat
.Lfunc_end570:
	.size	_ZN7rocprim17ROCPRIM_400000_NS6detail17trampoline_kernelINS0_14default_configENS1_20scan_config_selectorIiEEZZNS1_9scan_implILNS1_25lookback_scan_determinismE0ELb0ELb0ES3_N6thrust23THRUST_200600_302600_NS6detail15normal_iteratorINS9_10device_ptrIiEEEESE_iNS9_4plusIiEEiEEDaPvRmT3_T4_T5_mT6_P12ihipStream_tbENKUlT_T0_E_clISt17integral_constantIbLb0EEST_IbLb1EEEEDaSP_SQ_EUlSP_E_NS1_11comp_targetILNS1_3genE0ELNS1_11target_archE4294967295ELNS1_3gpuE0ELNS1_3repE0EEENS1_30default_config_static_selectorELNS0_4arch9wavefront6targetE1EEEvT1_, .Lfunc_end570-_ZN7rocprim17ROCPRIM_400000_NS6detail17trampoline_kernelINS0_14default_configENS1_20scan_config_selectorIiEEZZNS1_9scan_implILNS1_25lookback_scan_determinismE0ELb0ELb0ES3_N6thrust23THRUST_200600_302600_NS6detail15normal_iteratorINS9_10device_ptrIiEEEESE_iNS9_4plusIiEEiEEDaPvRmT3_T4_T5_mT6_P12ihipStream_tbENKUlT_T0_E_clISt17integral_constantIbLb0EEST_IbLb1EEEEDaSP_SQ_EUlSP_E_NS1_11comp_targetILNS1_3genE0ELNS1_11target_archE4294967295ELNS1_3gpuE0ELNS1_3repE0EEENS1_30default_config_static_selectorELNS0_4arch9wavefront6targetE1EEEvT1_
                                        ; -- End function
	.section	.AMDGPU.csdata,"",@progbits
; Kernel info:
; codeLenInByte = 0
; NumSgprs: 4
; NumVgprs: 0
; NumAgprs: 0
; TotalNumVgprs: 0
; ScratchSize: 0
; MemoryBound: 0
; FloatMode: 240
; IeeeMode: 1
; LDSByteSize: 0 bytes/workgroup (compile time only)
; SGPRBlocks: 0
; VGPRBlocks: 0
; NumSGPRsForWavesPerEU: 4
; NumVGPRsForWavesPerEU: 1
; AccumOffset: 4
; Occupancy: 8
; WaveLimiterHint : 0
; COMPUTE_PGM_RSRC2:SCRATCH_EN: 0
; COMPUTE_PGM_RSRC2:USER_SGPR: 6
; COMPUTE_PGM_RSRC2:TRAP_HANDLER: 0
; COMPUTE_PGM_RSRC2:TGID_X_EN: 1
; COMPUTE_PGM_RSRC2:TGID_Y_EN: 0
; COMPUTE_PGM_RSRC2:TGID_Z_EN: 0
; COMPUTE_PGM_RSRC2:TIDIG_COMP_CNT: 0
; COMPUTE_PGM_RSRC3_GFX90A:ACCUM_OFFSET: 0
; COMPUTE_PGM_RSRC3_GFX90A:TG_SPLIT: 0
	.section	.text._ZN7rocprim17ROCPRIM_400000_NS6detail17trampoline_kernelINS0_14default_configENS1_20scan_config_selectorIiEEZZNS1_9scan_implILNS1_25lookback_scan_determinismE0ELb0ELb0ES3_N6thrust23THRUST_200600_302600_NS6detail15normal_iteratorINS9_10device_ptrIiEEEESE_iNS9_4plusIiEEiEEDaPvRmT3_T4_T5_mT6_P12ihipStream_tbENKUlT_T0_E_clISt17integral_constantIbLb0EEST_IbLb1EEEEDaSP_SQ_EUlSP_E_NS1_11comp_targetILNS1_3genE5ELNS1_11target_archE942ELNS1_3gpuE9ELNS1_3repE0EEENS1_30default_config_static_selectorELNS0_4arch9wavefront6targetE1EEEvT1_,"axG",@progbits,_ZN7rocprim17ROCPRIM_400000_NS6detail17trampoline_kernelINS0_14default_configENS1_20scan_config_selectorIiEEZZNS1_9scan_implILNS1_25lookback_scan_determinismE0ELb0ELb0ES3_N6thrust23THRUST_200600_302600_NS6detail15normal_iteratorINS9_10device_ptrIiEEEESE_iNS9_4plusIiEEiEEDaPvRmT3_T4_T5_mT6_P12ihipStream_tbENKUlT_T0_E_clISt17integral_constantIbLb0EEST_IbLb1EEEEDaSP_SQ_EUlSP_E_NS1_11comp_targetILNS1_3genE5ELNS1_11target_archE942ELNS1_3gpuE9ELNS1_3repE0EEENS1_30default_config_static_selectorELNS0_4arch9wavefront6targetE1EEEvT1_,comdat
	.protected	_ZN7rocprim17ROCPRIM_400000_NS6detail17trampoline_kernelINS0_14default_configENS1_20scan_config_selectorIiEEZZNS1_9scan_implILNS1_25lookback_scan_determinismE0ELb0ELb0ES3_N6thrust23THRUST_200600_302600_NS6detail15normal_iteratorINS9_10device_ptrIiEEEESE_iNS9_4plusIiEEiEEDaPvRmT3_T4_T5_mT6_P12ihipStream_tbENKUlT_T0_E_clISt17integral_constantIbLb0EEST_IbLb1EEEEDaSP_SQ_EUlSP_E_NS1_11comp_targetILNS1_3genE5ELNS1_11target_archE942ELNS1_3gpuE9ELNS1_3repE0EEENS1_30default_config_static_selectorELNS0_4arch9wavefront6targetE1EEEvT1_ ; -- Begin function _ZN7rocprim17ROCPRIM_400000_NS6detail17trampoline_kernelINS0_14default_configENS1_20scan_config_selectorIiEEZZNS1_9scan_implILNS1_25lookback_scan_determinismE0ELb0ELb0ES3_N6thrust23THRUST_200600_302600_NS6detail15normal_iteratorINS9_10device_ptrIiEEEESE_iNS9_4plusIiEEiEEDaPvRmT3_T4_T5_mT6_P12ihipStream_tbENKUlT_T0_E_clISt17integral_constantIbLb0EEST_IbLb1EEEEDaSP_SQ_EUlSP_E_NS1_11comp_targetILNS1_3genE5ELNS1_11target_archE942ELNS1_3gpuE9ELNS1_3repE0EEENS1_30default_config_static_selectorELNS0_4arch9wavefront6targetE1EEEvT1_
	.globl	_ZN7rocprim17ROCPRIM_400000_NS6detail17trampoline_kernelINS0_14default_configENS1_20scan_config_selectorIiEEZZNS1_9scan_implILNS1_25lookback_scan_determinismE0ELb0ELb0ES3_N6thrust23THRUST_200600_302600_NS6detail15normal_iteratorINS9_10device_ptrIiEEEESE_iNS9_4plusIiEEiEEDaPvRmT3_T4_T5_mT6_P12ihipStream_tbENKUlT_T0_E_clISt17integral_constantIbLb0EEST_IbLb1EEEEDaSP_SQ_EUlSP_E_NS1_11comp_targetILNS1_3genE5ELNS1_11target_archE942ELNS1_3gpuE9ELNS1_3repE0EEENS1_30default_config_static_selectorELNS0_4arch9wavefront6targetE1EEEvT1_
	.p2align	8
	.type	_ZN7rocprim17ROCPRIM_400000_NS6detail17trampoline_kernelINS0_14default_configENS1_20scan_config_selectorIiEEZZNS1_9scan_implILNS1_25lookback_scan_determinismE0ELb0ELb0ES3_N6thrust23THRUST_200600_302600_NS6detail15normal_iteratorINS9_10device_ptrIiEEEESE_iNS9_4plusIiEEiEEDaPvRmT3_T4_T5_mT6_P12ihipStream_tbENKUlT_T0_E_clISt17integral_constantIbLb0EEST_IbLb1EEEEDaSP_SQ_EUlSP_E_NS1_11comp_targetILNS1_3genE5ELNS1_11target_archE942ELNS1_3gpuE9ELNS1_3repE0EEENS1_30default_config_static_selectorELNS0_4arch9wavefront6targetE1EEEvT1_,@function
_ZN7rocprim17ROCPRIM_400000_NS6detail17trampoline_kernelINS0_14default_configENS1_20scan_config_selectorIiEEZZNS1_9scan_implILNS1_25lookback_scan_determinismE0ELb0ELb0ES3_N6thrust23THRUST_200600_302600_NS6detail15normal_iteratorINS9_10device_ptrIiEEEESE_iNS9_4plusIiEEiEEDaPvRmT3_T4_T5_mT6_P12ihipStream_tbENKUlT_T0_E_clISt17integral_constantIbLb0EEST_IbLb1EEEEDaSP_SQ_EUlSP_E_NS1_11comp_targetILNS1_3genE5ELNS1_11target_archE942ELNS1_3gpuE9ELNS1_3repE0EEENS1_30default_config_static_selectorELNS0_4arch9wavefront6targetE1EEEvT1_: ; @_ZN7rocprim17ROCPRIM_400000_NS6detail17trampoline_kernelINS0_14default_configENS1_20scan_config_selectorIiEEZZNS1_9scan_implILNS1_25lookback_scan_determinismE0ELb0ELb0ES3_N6thrust23THRUST_200600_302600_NS6detail15normal_iteratorINS9_10device_ptrIiEEEESE_iNS9_4plusIiEEiEEDaPvRmT3_T4_T5_mT6_P12ihipStream_tbENKUlT_T0_E_clISt17integral_constantIbLb0EEST_IbLb1EEEEDaSP_SQ_EUlSP_E_NS1_11comp_targetILNS1_3genE5ELNS1_11target_archE942ELNS1_3gpuE9ELNS1_3repE0EEENS1_30default_config_static_selectorELNS0_4arch9wavefront6targetE1EEEvT1_
; %bb.0:
	.section	.rodata,"a",@progbits
	.p2align	6, 0x0
	.amdhsa_kernel _ZN7rocprim17ROCPRIM_400000_NS6detail17trampoline_kernelINS0_14default_configENS1_20scan_config_selectorIiEEZZNS1_9scan_implILNS1_25lookback_scan_determinismE0ELb0ELb0ES3_N6thrust23THRUST_200600_302600_NS6detail15normal_iteratorINS9_10device_ptrIiEEEESE_iNS9_4plusIiEEiEEDaPvRmT3_T4_T5_mT6_P12ihipStream_tbENKUlT_T0_E_clISt17integral_constantIbLb0EEST_IbLb1EEEEDaSP_SQ_EUlSP_E_NS1_11comp_targetILNS1_3genE5ELNS1_11target_archE942ELNS1_3gpuE9ELNS1_3repE0EEENS1_30default_config_static_selectorELNS0_4arch9wavefront6targetE1EEEvT1_
		.amdhsa_group_segment_fixed_size 0
		.amdhsa_private_segment_fixed_size 0
		.amdhsa_kernarg_size 96
		.amdhsa_user_sgpr_count 6
		.amdhsa_user_sgpr_private_segment_buffer 1
		.amdhsa_user_sgpr_dispatch_ptr 0
		.amdhsa_user_sgpr_queue_ptr 0
		.amdhsa_user_sgpr_kernarg_segment_ptr 1
		.amdhsa_user_sgpr_dispatch_id 0
		.amdhsa_user_sgpr_flat_scratch_init 0
		.amdhsa_user_sgpr_kernarg_preload_length 0
		.amdhsa_user_sgpr_kernarg_preload_offset 0
		.amdhsa_user_sgpr_private_segment_size 0
		.amdhsa_uses_dynamic_stack 0
		.amdhsa_system_sgpr_private_segment_wavefront_offset 0
		.amdhsa_system_sgpr_workgroup_id_x 1
		.amdhsa_system_sgpr_workgroup_id_y 0
		.amdhsa_system_sgpr_workgroup_id_z 0
		.amdhsa_system_sgpr_workgroup_info 0
		.amdhsa_system_vgpr_workitem_id 0
		.amdhsa_next_free_vgpr 1
		.amdhsa_next_free_sgpr 0
		.amdhsa_accum_offset 4
		.amdhsa_reserve_vcc 0
		.amdhsa_reserve_flat_scratch 0
		.amdhsa_float_round_mode_32 0
		.amdhsa_float_round_mode_16_64 0
		.amdhsa_float_denorm_mode_32 3
		.amdhsa_float_denorm_mode_16_64 3
		.amdhsa_dx10_clamp 1
		.amdhsa_ieee_mode 1
		.amdhsa_fp16_overflow 0
		.amdhsa_tg_split 0
		.amdhsa_exception_fp_ieee_invalid_op 0
		.amdhsa_exception_fp_denorm_src 0
		.amdhsa_exception_fp_ieee_div_zero 0
		.amdhsa_exception_fp_ieee_overflow 0
		.amdhsa_exception_fp_ieee_underflow 0
		.amdhsa_exception_fp_ieee_inexact 0
		.amdhsa_exception_int_div_zero 0
	.end_amdhsa_kernel
	.section	.text._ZN7rocprim17ROCPRIM_400000_NS6detail17trampoline_kernelINS0_14default_configENS1_20scan_config_selectorIiEEZZNS1_9scan_implILNS1_25lookback_scan_determinismE0ELb0ELb0ES3_N6thrust23THRUST_200600_302600_NS6detail15normal_iteratorINS9_10device_ptrIiEEEESE_iNS9_4plusIiEEiEEDaPvRmT3_T4_T5_mT6_P12ihipStream_tbENKUlT_T0_E_clISt17integral_constantIbLb0EEST_IbLb1EEEEDaSP_SQ_EUlSP_E_NS1_11comp_targetILNS1_3genE5ELNS1_11target_archE942ELNS1_3gpuE9ELNS1_3repE0EEENS1_30default_config_static_selectorELNS0_4arch9wavefront6targetE1EEEvT1_,"axG",@progbits,_ZN7rocprim17ROCPRIM_400000_NS6detail17trampoline_kernelINS0_14default_configENS1_20scan_config_selectorIiEEZZNS1_9scan_implILNS1_25lookback_scan_determinismE0ELb0ELb0ES3_N6thrust23THRUST_200600_302600_NS6detail15normal_iteratorINS9_10device_ptrIiEEEESE_iNS9_4plusIiEEiEEDaPvRmT3_T4_T5_mT6_P12ihipStream_tbENKUlT_T0_E_clISt17integral_constantIbLb0EEST_IbLb1EEEEDaSP_SQ_EUlSP_E_NS1_11comp_targetILNS1_3genE5ELNS1_11target_archE942ELNS1_3gpuE9ELNS1_3repE0EEENS1_30default_config_static_selectorELNS0_4arch9wavefront6targetE1EEEvT1_,comdat
.Lfunc_end571:
	.size	_ZN7rocprim17ROCPRIM_400000_NS6detail17trampoline_kernelINS0_14default_configENS1_20scan_config_selectorIiEEZZNS1_9scan_implILNS1_25lookback_scan_determinismE0ELb0ELb0ES3_N6thrust23THRUST_200600_302600_NS6detail15normal_iteratorINS9_10device_ptrIiEEEESE_iNS9_4plusIiEEiEEDaPvRmT3_T4_T5_mT6_P12ihipStream_tbENKUlT_T0_E_clISt17integral_constantIbLb0EEST_IbLb1EEEEDaSP_SQ_EUlSP_E_NS1_11comp_targetILNS1_3genE5ELNS1_11target_archE942ELNS1_3gpuE9ELNS1_3repE0EEENS1_30default_config_static_selectorELNS0_4arch9wavefront6targetE1EEEvT1_, .Lfunc_end571-_ZN7rocprim17ROCPRIM_400000_NS6detail17trampoline_kernelINS0_14default_configENS1_20scan_config_selectorIiEEZZNS1_9scan_implILNS1_25lookback_scan_determinismE0ELb0ELb0ES3_N6thrust23THRUST_200600_302600_NS6detail15normal_iteratorINS9_10device_ptrIiEEEESE_iNS9_4plusIiEEiEEDaPvRmT3_T4_T5_mT6_P12ihipStream_tbENKUlT_T0_E_clISt17integral_constantIbLb0EEST_IbLb1EEEEDaSP_SQ_EUlSP_E_NS1_11comp_targetILNS1_3genE5ELNS1_11target_archE942ELNS1_3gpuE9ELNS1_3repE0EEENS1_30default_config_static_selectorELNS0_4arch9wavefront6targetE1EEEvT1_
                                        ; -- End function
	.section	.AMDGPU.csdata,"",@progbits
; Kernel info:
; codeLenInByte = 0
; NumSgprs: 4
; NumVgprs: 0
; NumAgprs: 0
; TotalNumVgprs: 0
; ScratchSize: 0
; MemoryBound: 0
; FloatMode: 240
; IeeeMode: 1
; LDSByteSize: 0 bytes/workgroup (compile time only)
; SGPRBlocks: 0
; VGPRBlocks: 0
; NumSGPRsForWavesPerEU: 4
; NumVGPRsForWavesPerEU: 1
; AccumOffset: 4
; Occupancy: 8
; WaveLimiterHint : 0
; COMPUTE_PGM_RSRC2:SCRATCH_EN: 0
; COMPUTE_PGM_RSRC2:USER_SGPR: 6
; COMPUTE_PGM_RSRC2:TRAP_HANDLER: 0
; COMPUTE_PGM_RSRC2:TGID_X_EN: 1
; COMPUTE_PGM_RSRC2:TGID_Y_EN: 0
; COMPUTE_PGM_RSRC2:TGID_Z_EN: 0
; COMPUTE_PGM_RSRC2:TIDIG_COMP_CNT: 0
; COMPUTE_PGM_RSRC3_GFX90A:ACCUM_OFFSET: 0
; COMPUTE_PGM_RSRC3_GFX90A:TG_SPLIT: 0
	.section	.text._ZN7rocprim17ROCPRIM_400000_NS6detail17trampoline_kernelINS0_14default_configENS1_20scan_config_selectorIiEEZZNS1_9scan_implILNS1_25lookback_scan_determinismE0ELb0ELb0ES3_N6thrust23THRUST_200600_302600_NS6detail15normal_iteratorINS9_10device_ptrIiEEEESE_iNS9_4plusIiEEiEEDaPvRmT3_T4_T5_mT6_P12ihipStream_tbENKUlT_T0_E_clISt17integral_constantIbLb0EEST_IbLb1EEEEDaSP_SQ_EUlSP_E_NS1_11comp_targetILNS1_3genE4ELNS1_11target_archE910ELNS1_3gpuE8ELNS1_3repE0EEENS1_30default_config_static_selectorELNS0_4arch9wavefront6targetE1EEEvT1_,"axG",@progbits,_ZN7rocprim17ROCPRIM_400000_NS6detail17trampoline_kernelINS0_14default_configENS1_20scan_config_selectorIiEEZZNS1_9scan_implILNS1_25lookback_scan_determinismE0ELb0ELb0ES3_N6thrust23THRUST_200600_302600_NS6detail15normal_iteratorINS9_10device_ptrIiEEEESE_iNS9_4plusIiEEiEEDaPvRmT3_T4_T5_mT6_P12ihipStream_tbENKUlT_T0_E_clISt17integral_constantIbLb0EEST_IbLb1EEEEDaSP_SQ_EUlSP_E_NS1_11comp_targetILNS1_3genE4ELNS1_11target_archE910ELNS1_3gpuE8ELNS1_3repE0EEENS1_30default_config_static_selectorELNS0_4arch9wavefront6targetE1EEEvT1_,comdat
	.protected	_ZN7rocprim17ROCPRIM_400000_NS6detail17trampoline_kernelINS0_14default_configENS1_20scan_config_selectorIiEEZZNS1_9scan_implILNS1_25lookback_scan_determinismE0ELb0ELb0ES3_N6thrust23THRUST_200600_302600_NS6detail15normal_iteratorINS9_10device_ptrIiEEEESE_iNS9_4plusIiEEiEEDaPvRmT3_T4_T5_mT6_P12ihipStream_tbENKUlT_T0_E_clISt17integral_constantIbLb0EEST_IbLb1EEEEDaSP_SQ_EUlSP_E_NS1_11comp_targetILNS1_3genE4ELNS1_11target_archE910ELNS1_3gpuE8ELNS1_3repE0EEENS1_30default_config_static_selectorELNS0_4arch9wavefront6targetE1EEEvT1_ ; -- Begin function _ZN7rocprim17ROCPRIM_400000_NS6detail17trampoline_kernelINS0_14default_configENS1_20scan_config_selectorIiEEZZNS1_9scan_implILNS1_25lookback_scan_determinismE0ELb0ELb0ES3_N6thrust23THRUST_200600_302600_NS6detail15normal_iteratorINS9_10device_ptrIiEEEESE_iNS9_4plusIiEEiEEDaPvRmT3_T4_T5_mT6_P12ihipStream_tbENKUlT_T0_E_clISt17integral_constantIbLb0EEST_IbLb1EEEEDaSP_SQ_EUlSP_E_NS1_11comp_targetILNS1_3genE4ELNS1_11target_archE910ELNS1_3gpuE8ELNS1_3repE0EEENS1_30default_config_static_selectorELNS0_4arch9wavefront6targetE1EEEvT1_
	.globl	_ZN7rocprim17ROCPRIM_400000_NS6detail17trampoline_kernelINS0_14default_configENS1_20scan_config_selectorIiEEZZNS1_9scan_implILNS1_25lookback_scan_determinismE0ELb0ELb0ES3_N6thrust23THRUST_200600_302600_NS6detail15normal_iteratorINS9_10device_ptrIiEEEESE_iNS9_4plusIiEEiEEDaPvRmT3_T4_T5_mT6_P12ihipStream_tbENKUlT_T0_E_clISt17integral_constantIbLb0EEST_IbLb1EEEEDaSP_SQ_EUlSP_E_NS1_11comp_targetILNS1_3genE4ELNS1_11target_archE910ELNS1_3gpuE8ELNS1_3repE0EEENS1_30default_config_static_selectorELNS0_4arch9wavefront6targetE1EEEvT1_
	.p2align	8
	.type	_ZN7rocprim17ROCPRIM_400000_NS6detail17trampoline_kernelINS0_14default_configENS1_20scan_config_selectorIiEEZZNS1_9scan_implILNS1_25lookback_scan_determinismE0ELb0ELb0ES3_N6thrust23THRUST_200600_302600_NS6detail15normal_iteratorINS9_10device_ptrIiEEEESE_iNS9_4plusIiEEiEEDaPvRmT3_T4_T5_mT6_P12ihipStream_tbENKUlT_T0_E_clISt17integral_constantIbLb0EEST_IbLb1EEEEDaSP_SQ_EUlSP_E_NS1_11comp_targetILNS1_3genE4ELNS1_11target_archE910ELNS1_3gpuE8ELNS1_3repE0EEENS1_30default_config_static_selectorELNS0_4arch9wavefront6targetE1EEEvT1_,@function
_ZN7rocprim17ROCPRIM_400000_NS6detail17trampoline_kernelINS0_14default_configENS1_20scan_config_selectorIiEEZZNS1_9scan_implILNS1_25lookback_scan_determinismE0ELb0ELb0ES3_N6thrust23THRUST_200600_302600_NS6detail15normal_iteratorINS9_10device_ptrIiEEEESE_iNS9_4plusIiEEiEEDaPvRmT3_T4_T5_mT6_P12ihipStream_tbENKUlT_T0_E_clISt17integral_constantIbLb0EEST_IbLb1EEEEDaSP_SQ_EUlSP_E_NS1_11comp_targetILNS1_3genE4ELNS1_11target_archE910ELNS1_3gpuE8ELNS1_3repE0EEENS1_30default_config_static_selectorELNS0_4arch9wavefront6targetE1EEEvT1_: ; @_ZN7rocprim17ROCPRIM_400000_NS6detail17trampoline_kernelINS0_14default_configENS1_20scan_config_selectorIiEEZZNS1_9scan_implILNS1_25lookback_scan_determinismE0ELb0ELb0ES3_N6thrust23THRUST_200600_302600_NS6detail15normal_iteratorINS9_10device_ptrIiEEEESE_iNS9_4plusIiEEiEEDaPvRmT3_T4_T5_mT6_P12ihipStream_tbENKUlT_T0_E_clISt17integral_constantIbLb0EEST_IbLb1EEEEDaSP_SQ_EUlSP_E_NS1_11comp_targetILNS1_3genE4ELNS1_11target_archE910ELNS1_3gpuE8ELNS1_3repE0EEENS1_30default_config_static_selectorELNS0_4arch9wavefront6targetE1EEEvT1_
; %bb.0:
	s_load_dwordx2 s[6:7], s[4:5], 0x28
	v_cmp_ne_u32_e64 s[0:1], 0, v0
	v_cmp_eq_u32_e64 s[2:3], 0, v0
	s_and_saveexec_b64 s[8:9], s[2:3]
	s_cbranch_execz .LBB572_4
; %bb.1:
	s_mov_b64 s[12:13], exec
	v_mbcnt_lo_u32_b32 v1, s12, 0
	v_mbcnt_hi_u32_b32 v1, s13, v1
	v_cmp_eq_u32_e32 vcc, 0, v1
                                        ; implicit-def: $vgpr2
	s_and_saveexec_b64 s[10:11], vcc
	s_cbranch_execz .LBB572_3
; %bb.2:
	s_load_dwordx2 s[14:15], s[4:5], 0x58
	s_bcnt1_i32_b64 s12, s[12:13]
	v_mov_b32_e32 v2, 0
	v_mov_b32_e32 v3, s12
	s_waitcnt lgkmcnt(0)
	global_atomic_add v2, v2, v3, s[14:15] glc
.LBB572_3:
	s_or_b64 exec, exec, s[10:11]
	s_waitcnt vmcnt(0)
	v_readfirstlane_b32 s10, v2
	v_add_u32_e32 v1, s10, v1
	v_mov_b32_e32 v2, 0
	ds_write_b32 v2, v1
.LBB572_4:
	s_or_b64 exec, exec, s[8:9]
	s_load_dwordx8 s[16:23], s[4:5], 0x0
	s_load_dword s24, s[4:5], 0x30
	s_load_dwordx8 s[8:15], s[4:5], 0x38
	v_mov_b32_e32 v1, 0
	s_waitcnt lgkmcnt(0)
	s_barrier
	ds_read_b32 v1, v1
	s_lshl_b64 s[18:19], s[18:19], 2
	s_add_u32 s25, s16, s18
	s_addc_u32 s26, s17, s19
	s_add_i32 s16, s24, -1
	s_mul_i32 s17, s16, 0x500
	s_sub_u32 s30, s22, s17
	s_waitcnt lgkmcnt(0)
	v_readfirstlane_b32 s33, v1
	s_subb_u32 s31, s23, 0
	s_mul_i32 s4, s33, 0x500
	s_mov_b32 s5, 0
	s_cmp_lg_u32 s33, s16
	s_cselect_b64 s[16:17], -1, 0
	s_lshl_b64 s[22:23], s[4:5], 2
	s_add_u32 s24, s25, s22
	s_addc_u32 s25, s26, s23
	s_mov_b64 s[4:5], -1
	s_and_b64 vcc, exec, s[16:17]
	v_lshlrev_b32_e32 v22, 2, v0
	s_barrier
	s_cbranch_vccz .LBB572_6
; %bb.5:
	v_mov_b32_e32 v1, s25
	v_add_co_u32_e32 v2, vcc, s24, v22
	v_addc_co_u32_e32 v3, vcc, 0, v1, vcc
	flat_load_dword v1, v[2:3]
	flat_load_dword v4, v[2:3] offset:512
	flat_load_dword v5, v[2:3] offset:1024
	;; [unrolled: 1-line block ×7, first 2 shown]
	v_add_co_u32_e32 v2, vcc, 0x1000, v2
	v_addc_co_u32_e32 v3, vcc, 0, v3, vcc
	flat_load_dword v11, v[2:3]
	flat_load_dword v12, v[2:3] offset:512
	s_mov_b64 s[4:5], 0
	s_waitcnt vmcnt(0) lgkmcnt(0)
	ds_write2st64_b32 v22, v1, v4 offset1:2
	ds_write2st64_b32 v22, v5, v6 offset0:4 offset1:6
	ds_write2st64_b32 v22, v7, v8 offset0:8 offset1:10
	;; [unrolled: 1-line block ×4, first 2 shown]
	s_waitcnt lgkmcnt(0)
	s_barrier
.LBB572_6:
	s_andn2_b64 vcc, exec, s[4:5]
	v_cmp_gt_u32_e64 s[4:5], s30, v0
	s_cbranch_vccnz .LBB572_28
; %bb.7:
	v_pk_mov_b32 v[2:3], s[24:25], s[24:25] op_sel:[0,1]
	flat_load_dword v1, v[2:3]
	s_waitcnt vmcnt(0) lgkmcnt(0)
	v_mov_b32_e32 v2, v1
	v_mov_b32_e32 v3, v1
	;; [unrolled: 1-line block ×9, first 2 shown]
	s_and_saveexec_b64 s[26:27], s[4:5]
	s_cbranch_execz .LBB572_9
; %bb.8:
	v_mov_b32_e32 v11, s25
	v_add_co_u32_e32 v10, vcc, s24, v22
	v_addc_co_u32_e32 v11, vcc, 0, v11, vcc
	flat_load_dword v10, v[10:11]
.LBB572_9:
	s_or_b64 exec, exec, s[26:27]
	v_or_b32_e32 v11, 0x80, v0
	v_cmp_gt_u32_e32 vcc, s30, v11
	s_and_saveexec_b64 s[4:5], vcc
	s_cbranch_execz .LBB572_11
; %bb.10:
	v_mov_b32_e32 v1, s25
	v_add_co_u32_e32 v12, vcc, s24, v22
	v_addc_co_u32_e32 v13, vcc, 0, v1, vcc
	flat_load_dword v1, v[12:13] offset:512
.LBB572_11:
	s_or_b64 exec, exec, s[4:5]
	v_or_b32_e32 v11, 0x100, v0
	v_cmp_gt_u32_e32 vcc, s30, v11
	s_and_saveexec_b64 s[4:5], vcc
	s_cbranch_execz .LBB572_13
; %bb.12:
	v_mov_b32_e32 v2, s25
	v_add_co_u32_e32 v12, vcc, s24, v22
	v_addc_co_u32_e32 v13, vcc, 0, v2, vcc
	flat_load_dword v2, v[12:13] offset:1024
.LBB572_13:
	;; [unrolled: 11-line block ×7, first 2 shown]
	s_or_b64 exec, exec, s[4:5]
	v_or_b32_e32 v11, 0x400, v0
	v_cmp_gt_u32_e32 vcc, s30, v11
	s_and_saveexec_b64 s[4:5], vcc
	s_cbranch_execz .LBB572_25
; %bb.24:
	v_lshlrev_b32_e32 v8, 2, v11
	v_mov_b32_e32 v11, s25
	v_add_co_u32_e32 v12, vcc, s24, v8
	v_addc_co_u32_e32 v13, vcc, 0, v11, vcc
	flat_load_dword v8, v[12:13]
.LBB572_25:
	s_or_b64 exec, exec, s[4:5]
	v_or_b32_e32 v11, 0x480, v0
	v_cmp_gt_u32_e32 vcc, s30, v11
	s_and_saveexec_b64 s[4:5], vcc
	s_cbranch_execz .LBB572_27
; %bb.26:
	v_lshlrev_b32_e32 v9, 2, v11
	v_mov_b32_e32 v11, s25
	v_add_co_u32_e32 v12, vcc, s24, v9
	v_addc_co_u32_e32 v13, vcc, 0, v11, vcc
	flat_load_dword v9, v[12:13]
.LBB572_27:
	s_or_b64 exec, exec, s[4:5]
	s_waitcnt vmcnt(0) lgkmcnt(0)
	ds_write2st64_b32 v22, v10, v1 offset1:2
	ds_write2st64_b32 v22, v2, v3 offset0:4 offset1:6
	ds_write2st64_b32 v22, v4, v5 offset0:8 offset1:10
	;; [unrolled: 1-line block ×4, first 2 shown]
	s_waitcnt lgkmcnt(0)
	s_barrier
.LBB572_28:
	v_mul_u32_u24_e32 v23, 10, v0
	v_lshlrev_b32_e32 v1, 2, v23
	ds_read2_b64 v[2:5], v1 offset1:1
	ds_read2_b64 v[16:19], v1 offset0:2 offset1:3
	ds_read_b64 v[20:21], v1 offset:32
	s_cmp_lg_u32 s33, 0
	v_lshrrev_b32_e32 v24, 5, v0
	v_cmp_gt_u32_e32 vcc, 64, v0
	s_waitcnt lgkmcnt(0)
	s_barrier
	s_cbranch_scc0 .LBB572_53
; %bb.29:
	v_add_u32_e32 v6, v3, v2
	v_add3_u32 v6, v6, v4, v5
	v_add3_u32 v6, v6, v16, v17
	;; [unrolled: 1-line block ×4, first 2 shown]
	v_add_lshl_u32 v7, v24, v0, 2
	ds_write_b32 v7, v6
	s_waitcnt lgkmcnt(0)
	s_barrier
	s_and_saveexec_b64 s[24:25], vcc
	s_cbranch_execz .LBB572_31
; %bb.30:
	v_lshlrev_b32_e32 v7, 1, v0
	v_lshrrev_b32_e32 v8, 4, v0
	v_add_lshl_u32 v7, v8, v7, 2
	ds_read2_b32 v[8:9], v7 offset1:1
	v_mbcnt_lo_u32_b32 v10, -1, 0
	v_mbcnt_hi_u32_b32 v10, -1, v10
	v_and_b32_e32 v11, 15, v10
	v_cmp_ne_u32_e64 s[4:5], 0, v11
	s_waitcnt lgkmcnt(0)
	v_add_u32_e32 v9, v9, v8
	; wave barrier
	s_nop 1
	v_mov_b32_dpp v12, v9 row_shr:1 row_mask:0xf bank_mask:0xf
	v_cndmask_b32_e64 v12, 0, v12, s[4:5]
	v_add_u32_e32 v9, v12, v9
	v_cmp_lt_u32_e64 s[4:5], 1, v11
	s_nop 0
	v_mov_b32_dpp v12, v9 row_shr:2 row_mask:0xf bank_mask:0xf
	v_cndmask_b32_e64 v12, 0, v12, s[4:5]
	v_add_u32_e32 v9, v9, v12
	v_cmp_lt_u32_e64 s[4:5], 3, v11
	;; [unrolled: 5-line block ×3, first 2 shown]
	s_nop 0
	v_mov_b32_dpp v12, v9 row_shr:8 row_mask:0xf bank_mask:0xf
	v_cndmask_b32_e64 v11, 0, v12, s[4:5]
	v_add_u32_e32 v9, v9, v11
	v_bfe_i32 v12, v10, 4, 1
	v_cmp_lt_u32_e64 s[4:5], 31, v10
	v_mov_b32_dpp v11, v9 row_bcast:15 row_mask:0xf bank_mask:0xf
	v_and_b32_e32 v11, v12, v11
	v_add_u32_e32 v9, v9, v11
	v_and_b32_e32 v12, 64, v10
	s_nop 0
	v_mov_b32_dpp v11, v9 row_bcast:31 row_mask:0xf bank_mask:0xf
	v_cndmask_b32_e64 v11, 0, v11, s[4:5]
	v_add_u32_e32 v9, v9, v11
	v_add_u32_e32 v11, -1, v10
	v_cmp_lt_i32_e64 s[4:5], v11, v12
	v_cndmask_b32_e64 v10, v11, v10, s[4:5]
	v_lshlrev_b32_e32 v10, 2, v10
	ds_bpermute_b32 v9, v10, v9
	s_waitcnt lgkmcnt(0)
	v_add_u32_e32 v8, v9, v8
	v_cndmask_b32_e64 v6, v8, v6, s[2:3]
	ds_write_b32 v7, v6
	; wave barrier
	ds_read_b32 v8, v7 offset:4
	s_waitcnt lgkmcnt(0)
	v_add_u32_e32 v6, v8, v6
	ds_write_b32 v7, v6 offset:4
.LBB572_31:
	s_or_b64 exec, exec, s[24:25]
	v_mov_b32_e32 v25, 0
	s_waitcnt lgkmcnt(0)
	s_barrier
	s_and_saveexec_b64 s[4:5], s[0:1]
	s_cbranch_execz .LBB572_33
; %bb.32:
	v_add_u32_e32 v6, -1, v0
	v_lshrrev_b32_e32 v7, 5, v6
	v_add_lshl_u32 v6, v7, v6, 2
	ds_read_b32 v25, v6
.LBB572_33:
	s_or_b64 exec, exec, s[4:5]
	s_and_saveexec_b64 s[24:25], vcc
	s_cbranch_execz .LBB572_52
; %bb.34:
	v_mov_b32_e32 v13, 0
	ds_read_b32 v6, v13 offset:520
	v_mbcnt_lo_u32_b32 v7, -1, 0
	v_mbcnt_hi_u32_b32 v9, -1, v7
	s_mov_b32 s29, 0
	v_cmp_eq_u32_e64 s[4:5], 0, v9
	s_and_saveexec_b64 s[26:27], s[4:5]
	s_cbranch_execz .LBB572_36
; %bb.35:
	s_add_i32 s28, s33, 64
	s_lshl_b64 s[28:29], s[28:29], 3
	s_add_u32 s28, s6, s28
	v_mov_b32_e32 v7, 1
	s_addc_u32 s29, s7, s29
	s_waitcnt lgkmcnt(0)
	global_store_dwordx2 v13, v[6:7], s[28:29]
.LBB572_36:
	s_or_b64 exec, exec, s[26:27]
	v_xad_u32 v8, v9, -1, s33
	v_add_u32_e32 v12, 64, v8
	v_lshlrev_b64 v[10:11], 3, v[12:13]
	v_mov_b32_e32 v7, s7
	v_add_co_u32_e32 v14, vcc, s6, v10
	v_addc_co_u32_e32 v15, vcc, v7, v11, vcc
	global_load_dwordx2 v[10:11], v[14:15], off glc
	s_waitcnt vmcnt(0)
	v_cmp_eq_u16_sdwa s[28:29], v11, v13 src0_sel:BYTE_0 src1_sel:DWORD
	s_and_saveexec_b64 s[26:27], s[28:29]
	s_cbranch_execz .LBB572_40
; %bb.37:
	s_mov_b64 s[28:29], 0
	v_mov_b32_e32 v7, 0
.LBB572_38:                             ; =>This Inner Loop Header: Depth=1
	global_load_dwordx2 v[10:11], v[14:15], off glc
	s_waitcnt vmcnt(0)
	v_cmp_ne_u16_sdwa s[34:35], v11, v7 src0_sel:BYTE_0 src1_sel:DWORD
	s_or_b64 s[28:29], s[34:35], s[28:29]
	s_andn2_b64 exec, exec, s[28:29]
	s_cbranch_execnz .LBB572_38
; %bb.39:
	s_or_b64 exec, exec, s[28:29]
.LBB572_40:
	s_or_b64 exec, exec, s[26:27]
	v_and_b32_e32 v26, 63, v9
	v_mov_b32_e32 v7, 2
	v_cmp_ne_u32_e32 vcc, 63, v26
	v_cmp_eq_u16_sdwa s[26:27], v11, v7 src0_sel:BYTE_0 src1_sel:DWORD
	v_lshlrev_b64 v[12:13], v9, -1
	v_addc_co_u32_e32 v27, vcc, 0, v9, vcc
	v_and_b32_e32 v14, s27, v13
	v_lshlrev_b32_e32 v27, 2, v27
	v_or_b32_e32 v14, 0x80000000, v14
	ds_bpermute_b32 v28, v27, v10
	v_and_b32_e32 v15, s26, v12
	v_ffbl_b32_e32 v14, v14
	v_add_u32_e32 v14, 32, v14
	v_ffbl_b32_e32 v15, v15
	v_min_u32_e32 v14, v15, v14
	v_cmp_lt_u32_e32 vcc, v26, v14
	s_waitcnt lgkmcnt(0)
	v_cndmask_b32_e32 v15, 0, v28, vcc
	v_cmp_gt_u32_e32 vcc, 62, v26
	v_add_u32_e32 v10, v15, v10
	v_cndmask_b32_e64 v15, 0, 1, vcc
	v_lshlrev_b32_e32 v15, 1, v15
	v_add_lshl_u32 v28, v15, v9, 2
	ds_bpermute_b32 v15, v28, v10
	v_add_u32_e32 v29, 2, v26
	v_cmp_le_u32_e32 vcc, v29, v14
	v_add_u32_e32 v31, 4, v26
	v_add_u32_e32 v33, 8, v26
	s_waitcnt lgkmcnt(0)
	v_cndmask_b32_e32 v15, 0, v15, vcc
	v_cmp_gt_u32_e32 vcc, 60, v26
	v_add_u32_e32 v10, v10, v15
	v_cndmask_b32_e64 v15, 0, 1, vcc
	v_lshlrev_b32_e32 v15, 2, v15
	v_add_lshl_u32 v30, v15, v9, 2
	ds_bpermute_b32 v15, v30, v10
	v_cmp_le_u32_e32 vcc, v31, v14
	v_add_u32_e32 v36, 16, v26
	v_add_u32_e32 v38, 32, v26
	s_waitcnt lgkmcnt(0)
	v_cndmask_b32_e32 v15, 0, v15, vcc
	v_cmp_gt_u32_e32 vcc, 56, v26
	v_add_u32_e32 v10, v10, v15
	v_cndmask_b32_e64 v15, 0, 1, vcc
	v_lshlrev_b32_e32 v15, 3, v15
	v_add_lshl_u32 v32, v15, v9, 2
	ds_bpermute_b32 v15, v32, v10
	v_cmp_le_u32_e32 vcc, v33, v14
	s_waitcnt lgkmcnt(0)
	v_cndmask_b32_e32 v15, 0, v15, vcc
	v_cmp_gt_u32_e32 vcc, 48, v26
	v_add_u32_e32 v10, v10, v15
	v_cndmask_b32_e64 v15, 0, 1, vcc
	v_lshlrev_b32_e32 v15, 4, v15
	v_add_lshl_u32 v35, v15, v9, 2
	ds_bpermute_b32 v15, v35, v10
	v_cmp_le_u32_e32 vcc, v36, v14
	s_waitcnt lgkmcnt(0)
	v_cndmask_b32_e32 v15, 0, v15, vcc
	v_cmp_gt_u32_e32 vcc, 32, v26
	v_add_u32_e32 v10, v10, v15
	v_cndmask_b32_e64 v15, 0, 1, vcc
	v_lshlrev_b32_e32 v15, 5, v15
	v_add_lshl_u32 v37, v15, v9, 2
	ds_bpermute_b32 v9, v37, v10
	v_cmp_le_u32_e32 vcc, v38, v14
	s_waitcnt lgkmcnt(0)
	v_cndmask_b32_e32 v9, 0, v9, vcc
	v_add_u32_e32 v10, v10, v9
	v_mov_b32_e32 v9, 0
	s_branch .LBB572_42
.LBB572_41:                             ;   in Loop: Header=BB572_42 Depth=1
	s_or_b64 exec, exec, s[26:27]
	v_cmp_eq_u16_sdwa s[26:27], v11, v7 src0_sel:BYTE_0 src1_sel:DWORD
	v_and_b32_e32 v14, s27, v13
	v_or_b32_e32 v14, 0x80000000, v14
	ds_bpermute_b32 v39, v27, v10
	v_and_b32_e32 v15, s26, v12
	v_ffbl_b32_e32 v14, v14
	v_add_u32_e32 v14, 32, v14
	v_ffbl_b32_e32 v15, v15
	v_min_u32_e32 v14, v15, v14
	v_cmp_lt_u32_e32 vcc, v26, v14
	s_waitcnt lgkmcnt(0)
	v_cndmask_b32_e32 v15, 0, v39, vcc
	v_add_u32_e32 v10, v15, v10
	ds_bpermute_b32 v15, v28, v10
	v_cmp_le_u32_e32 vcc, v29, v14
	v_subrev_u32_e32 v8, 64, v8
	s_waitcnt lgkmcnt(0)
	v_cndmask_b32_e32 v15, 0, v15, vcc
	v_add_u32_e32 v10, v10, v15
	ds_bpermute_b32 v15, v30, v10
	v_cmp_le_u32_e32 vcc, v31, v14
	s_waitcnt lgkmcnt(0)
	v_cndmask_b32_e32 v15, 0, v15, vcc
	v_add_u32_e32 v10, v10, v15
	ds_bpermute_b32 v15, v32, v10
	v_cmp_le_u32_e32 vcc, v33, v14
	;; [unrolled: 5-line block ×4, first 2 shown]
	s_waitcnt lgkmcnt(0)
	v_cndmask_b32_e32 v14, 0, v15, vcc
	v_add3_u32 v10, v14, v34, v10
.LBB572_42:                             ; =>This Loop Header: Depth=1
                                        ;     Child Loop BB572_45 Depth 2
	v_cmp_ne_u16_sdwa s[26:27], v11, v7 src0_sel:BYTE_0 src1_sel:DWORD
	v_cndmask_b32_e64 v11, 0, 1, s[26:27]
	;;#ASMSTART
	;;#ASMEND
	v_cmp_ne_u32_e32 vcc, 0, v11
	s_cmp_lg_u64 vcc, exec
	v_mov_b32_e32 v34, v10
	s_cbranch_scc1 .LBB572_47
; %bb.43:                               ;   in Loop: Header=BB572_42 Depth=1
	v_lshlrev_b64 v[10:11], 3, v[8:9]
	v_mov_b32_e32 v15, s7
	v_add_co_u32_e32 v14, vcc, s6, v10
	v_addc_co_u32_e32 v15, vcc, v15, v11, vcc
	global_load_dwordx2 v[10:11], v[14:15], off glc
	s_waitcnt vmcnt(0)
	v_cmp_eq_u16_sdwa s[28:29], v11, v9 src0_sel:BYTE_0 src1_sel:DWORD
	s_and_saveexec_b64 s[26:27], s[28:29]
	s_cbranch_execz .LBB572_41
; %bb.44:                               ;   in Loop: Header=BB572_42 Depth=1
	s_mov_b64 s[28:29], 0
.LBB572_45:                             ;   Parent Loop BB572_42 Depth=1
                                        ; =>  This Inner Loop Header: Depth=2
	global_load_dwordx2 v[10:11], v[14:15], off glc
	s_waitcnt vmcnt(0)
	v_cmp_ne_u16_sdwa s[34:35], v11, v9 src0_sel:BYTE_0 src1_sel:DWORD
	s_or_b64 s[28:29], s[34:35], s[28:29]
	s_andn2_b64 exec, exec, s[28:29]
	s_cbranch_execnz .LBB572_45
; %bb.46:                               ;   in Loop: Header=BB572_42 Depth=1
	s_or_b64 exec, exec, s[28:29]
	s_branch .LBB572_41
.LBB572_47:                             ;   in Loop: Header=BB572_42 Depth=1
                                        ; implicit-def: $vgpr10
                                        ; implicit-def: $vgpr11
	s_cbranch_execz .LBB572_42
; %bb.48:
	s_and_saveexec_b64 s[26:27], s[4:5]
	s_cbranch_execz .LBB572_50
; %bb.49:
	s_add_i32 s4, s33, 64
	s_mov_b32 s5, 0
	s_lshl_b64 s[4:5], s[4:5], 3
	s_add_u32 s4, s6, s4
	v_add_u32_e32 v6, v34, v6
	v_mov_b32_e32 v7, 2
	s_addc_u32 s5, s7, s5
	v_mov_b32_e32 v8, 0
	global_store_dwordx2 v8, v[6:7], s[4:5]
.LBB572_50:
	s_or_b64 exec, exec, s[26:27]
	s_and_b64 exec, exec, s[2:3]
	s_cbranch_execz .LBB572_52
; %bb.51:
	v_mov_b32_e32 v6, 0
	ds_write_b32 v6, v34
.LBB572_52:
	s_or_b64 exec, exec, s[24:25]
	v_mov_b32_e32 v6, 0
	s_waitcnt lgkmcnt(0)
	s_barrier
	ds_read_b32 v6, v6
	s_waitcnt lgkmcnt(0)
	v_add3_u32 v6, v25, v2, v6
	v_add_u32_e32 v7, v6, v3
	v_add_u32_e32 v8, v7, v4
	;; [unrolled: 1-line block ×9, first 2 shown]
	s_branch .LBB572_65
.LBB572_53:
                                        ; implicit-def: $vgpr6_vgpr7_vgpr8_vgpr9_vgpr10_vgpr11_vgpr12_vgpr13_vgpr14_vgpr15
	s_cbranch_execz .LBB572_65
; %bb.54:
	s_cmp_lg_u64 s[12:13], 0
	s_cselect_b64 s[4:5], -1, 0
	s_and_b64 s[12:13], s[2:3], s[4:5]
	v_mov_b32_e32 v12, v3
	v_mov_b32_e32 v13, v4
	;; [unrolled: 1-line block ×3, first 2 shown]
	s_and_saveexec_b64 s[4:5], s[12:13]
	s_cbranch_execz .LBB572_56
; %bb.55:
	v_mov_b32_e32 v6, 0
	global_load_dword v6, v6, s[8:9]
	v_mov_b32_e32 v12, v3
	v_mov_b32_e32 v13, v4
	;; [unrolled: 1-line block ×3, first 2 shown]
	s_waitcnt vmcnt(0)
	v_add_u32_e32 v2, v6, v2
.LBB572_56:
	s_or_b64 exec, exec, s[4:5]
	v_add_u32_e32 v3, v12, v2
	v_add_u32_e32 v4, v3, v13
	;; [unrolled: 1-line block ×9, first 2 shown]
	v_add_lshl_u32 v15, v24, v0, 2
	v_cmp_gt_u32_e32 vcc, 64, v0
	ds_write_b32 v15, v11
	s_waitcnt lgkmcnt(0)
	s_barrier
	s_and_saveexec_b64 s[4:5], vcc
	s_cbranch_execz .LBB572_58
; %bb.57:
	v_lshlrev_b32_e32 v15, 1, v0
	v_lshrrev_b32_e32 v24, 4, v0
	v_add_lshl_u32 v15, v24, v15, 2
	ds_read2_b32 v[24:25], v15 offset1:1
	v_mbcnt_lo_u32_b32 v26, -1, 0
	v_mbcnt_hi_u32_b32 v26, -1, v26
	v_and_b32_e32 v27, 15, v26
	v_cmp_ne_u32_e32 vcc, 0, v27
	s_waitcnt lgkmcnt(0)
	v_add_u32_e32 v25, v25, v24
	; wave barrier
	s_nop 1
	v_mov_b32_dpp v28, v25 row_shr:1 row_mask:0xf bank_mask:0xf
	v_cndmask_b32_e32 v28, 0, v28, vcc
	v_add_u32_e32 v25, v28, v25
	v_cmp_lt_u32_e32 vcc, 1, v27
	s_nop 0
	v_mov_b32_dpp v28, v25 row_shr:2 row_mask:0xf bank_mask:0xf
	v_cndmask_b32_e32 v28, 0, v28, vcc
	v_add_u32_e32 v25, v25, v28
	v_cmp_lt_u32_e32 vcc, 3, v27
	;; [unrolled: 5-line block ×3, first 2 shown]
	s_nop 0
	v_mov_b32_dpp v28, v25 row_shr:8 row_mask:0xf bank_mask:0xf
	v_cndmask_b32_e32 v27, 0, v28, vcc
	v_add_u32_e32 v25, v25, v27
	v_bfe_i32 v28, v26, 4, 1
	v_cmp_lt_u32_e32 vcc, 31, v26
	v_mov_b32_dpp v27, v25 row_bcast:15 row_mask:0xf bank_mask:0xf
	v_and_b32_e32 v27, v28, v27
	v_add_u32_e32 v25, v25, v27
	v_and_b32_e32 v28, 64, v26
	s_nop 0
	v_mov_b32_dpp v27, v25 row_bcast:31 row_mask:0xf bank_mask:0xf
	v_cndmask_b32_e32 v27, 0, v27, vcc
	v_add_u32_e32 v25, v25, v27
	v_add_u32_e32 v27, -1, v26
	v_cmp_lt_i32_e32 vcc, v27, v28
	v_cndmask_b32_e32 v26, v27, v26, vcc
	v_lshlrev_b32_e32 v26, 2, v26
	ds_bpermute_b32 v25, v26, v25
	s_waitcnt lgkmcnt(0)
	v_add_u32_e32 v24, v25, v24
	v_cndmask_b32_e64 v24, v24, v11, s[2:3]
	ds_write_b32 v15, v24
	; wave barrier
	ds_read_b32 v25, v15 offset:4
	s_waitcnt lgkmcnt(0)
	v_add_u32_e32 v24, v25, v24
	ds_write_b32 v15, v24 offset:4
.LBB572_58:
	s_or_b64 exec, exec, s[4:5]
	v_mov_b32_e32 v15, v11
	s_waitcnt lgkmcnt(0)
	s_barrier
	s_and_saveexec_b64 s[2:3], s[0:1]
	s_cbranch_execz .LBB572_60
; %bb.59:
	v_add_u32_e32 v15, -1, v0
	v_lshrrev_b32_e32 v24, 5, v15
	v_add_lshl_u32 v15, v24, v15, 2
	ds_read_b32 v15, v15
.LBB572_60:
	s_or_b64 exec, exec, s[2:3]
	s_and_saveexec_b64 s[2:3], s[0:1]
	s_cbranch_execz .LBB572_62
; %bb.61:
	s_waitcnt lgkmcnt(0)
	v_add_u32_e32 v2, v15, v2
	v_add_u32_e32 v3, v2, v12
	;; [unrolled: 1-line block ×10, first 2 shown]
	;;#ASMSTART
	;;#ASMEND
.LBB572_62:
	s_or_b64 exec, exec, s[2:3]
	s_movk_i32 s0, 0x7f
	v_cmp_eq_u32_e32 vcc, s0, v0
	s_and_saveexec_b64 s[0:1], vcc
	s_cbranch_execz .LBB572_64
; %bb.63:
	v_mov_b32_e32 v14, 0
	v_mov_b32_e32 v13, 2
	;; [unrolled: 1-line block ×3, first 2 shown]
	global_store_dwordx2 v14, v[12:13], s[6:7] offset:512
.LBB572_64:
	s_or_b64 exec, exec, s[0:1]
	s_waitcnt lgkmcnt(0)
	v_pk_mov_b32 v[14:15], v[10:11], v[10:11] op_sel:[0,1]
	v_pk_mov_b32 v[12:13], v[8:9], v[8:9] op_sel:[0,1]
	;; [unrolled: 1-line block ×5, first 2 shown]
.LBB572_65:
	s_add_u32 s0, s20, s18
	s_addc_u32 s1, s21, s19
	s_add_u32 s2, s0, s22
	s_addc_u32 s3, s1, s23
	s_mov_b64 s[0:1], -1
	s_and_b64 vcc, exec, s[16:17]
	s_barrier
	s_cbranch_vccz .LBB572_67
; %bb.66:
	ds_write2_b64 v1, v[6:7], v[8:9] offset1:1
	ds_write2_b64 v1, v[10:11], v[12:13] offset0:2 offset1:3
	ds_write_b64 v1, v[14:15] offset:32
	s_waitcnt lgkmcnt(0)
	s_barrier
	ds_read2st64_b32 v[2:3], v22 offset1:2
	ds_read2st64_b32 v[4:5], v22 offset0:4 offset1:6
	ds_read2st64_b32 v[16:17], v22 offset0:8 offset1:10
	;; [unrolled: 1-line block ×4, first 2 shown]
	v_mov_b32_e32 v25, s3
	v_add_co_u32_e32 v24, vcc, s2, v22
	v_addc_co_u32_e32 v25, vcc, 0, v25, vcc
	s_waitcnt lgkmcnt(4)
	flat_store_dword v[24:25], v2
	flat_store_dword v[24:25], v3 offset:512
	s_waitcnt lgkmcnt(0)
	flat_store_dword v[24:25], v4 offset:1024
	flat_store_dword v[24:25], v5 offset:1536
	;; [unrolled: 1-line block ×6, first 2 shown]
	v_add_co_u32_e32 v2, vcc, 0x1000, v24
	v_addc_co_u32_e32 v3, vcc, 0, v25, vcc
	flat_store_dword v[2:3], v20
	flat_store_dword v[2:3], v21 offset:512
	s_mov_b64 s[0:1], 0
.LBB572_67:
	s_andn2_b64 vcc, exec, s[0:1]
	s_cbranch_vccnz .LBB572_123
; %bb.68:
	ds_write2_b64 v1, v[6:7], v[8:9] offset1:1
	ds_write2_b64 v1, v[10:11], v[12:13] offset0:2 offset1:3
	ds_write_b64 v1, v[14:15] offset:32
	s_waitcnt lgkmcnt(0)
	s_barrier
	ds_read2st64_b32 v[2:3], v22 offset1:2
	ds_read2st64_b32 v[6:7], v22 offset0:4 offset1:6
	ds_read2st64_b32 v[4:5], v22 offset0:8 offset1:10
	;; [unrolled: 1-line block ×4, first 2 shown]
	v_mov_b32_e32 v13, s3
	v_add_co_u32_e32 v12, vcc, s2, v22
	v_addc_co_u32_e32 v13, vcc, 0, v13, vcc
	v_mov_b32_e32 v1, 0
	v_cmp_gt_u32_e32 vcc, s30, v0
	s_and_saveexec_b64 s[0:1], vcc
	s_cbranch_execz .LBB572_70
; %bb.69:
	s_waitcnt lgkmcnt(0)
	flat_store_dword v[12:13], v2
.LBB572_70:
	s_or_b64 exec, exec, s[0:1]
	v_or_b32_e32 v14, 0x80, v0
	v_cmp_gt_u32_e32 vcc, s30, v14
	s_and_saveexec_b64 s[0:1], vcc
	s_cbranch_execz .LBB572_72
; %bb.71:
	s_waitcnt lgkmcnt(0)
	flat_store_dword v[12:13], v3 offset:512
.LBB572_72:
	s_or_b64 exec, exec, s[0:1]
	v_or_b32_e32 v14, 0x100, v0
	v_cmp_gt_u32_e32 vcc, s30, v14
	s_and_saveexec_b64 s[0:1], vcc
	s_cbranch_execz .LBB572_74
; %bb.73:
	s_waitcnt lgkmcnt(0)
	flat_store_dword v[12:13], v6 offset:1024
.LBB572_74:
	;; [unrolled: 9-line block ×7, first 2 shown]
	s_or_b64 exec, exec, s[0:1]
	v_or_b32_e32 v14, 0x400, v0
	v_cmp_gt_u32_e32 vcc, s30, v14
	s_and_saveexec_b64 s[0:1], vcc
	s_cbranch_execz .LBB572_86
; %bb.85:
	v_add_co_u32_e32 v14, vcc, 0x1000, v12
	v_addc_co_u32_e32 v15, vcc, 0, v13, vcc
	s_waitcnt lgkmcnt(0)
	flat_store_dword v[14:15], v10
.LBB572_86:
	s_or_b64 exec, exec, s[0:1]
	v_or_b32_e32 v14, 0x480, v0
	v_cmp_gt_u32_e32 vcc, s30, v14
	s_and_saveexec_b64 s[0:1], vcc
	s_cbranch_execz .LBB572_88
; %bb.87:
	v_add_co_u32_e32 v12, vcc, 0x1000, v12
	v_addc_co_u32_e32 v13, vcc, 0, v13, vcc
	s_waitcnt lgkmcnt(0)
	flat_store_dword v[12:13], v11 offset:512
.LBB572_88:
	s_or_b64 exec, exec, s[0:1]
	v_cmp_lt_u64_e64 s[0:1], s[14:15], 2
	s_and_b64 vcc, exec, s[0:1]
	s_cbranch_vccnz .LBB572_123
; %bb.89:
	s_add_u32 s0, s30, -1
	s_addc_u32 s1, s31, -1
	s_add_u32 s2, 0, 0x99986000
	s_addc_u32 s3, 0, 0x59
	s_add_i32 s3, s3, 0x19999940
	s_mul_hi_u32 s7, s2, -10
	s_sub_i32 s7, s7, s2
	s_mul_i32 s8, s3, -10
	s_mul_i32 s4, s2, -10
	s_add_i32 s7, s7, s8
	s_mul_hi_u32 s5, s3, s4
	s_mul_i32 s6, s3, s4
	s_mul_i32 s9, s2, s7
	s_mul_hi_u32 s4, s2, s4
	s_mul_hi_u32 s8, s2, s7
	s_add_u32 s4, s4, s9
	s_addc_u32 s8, 0, s8
	s_add_u32 s4, s4, s6
	s_mul_hi_u32 s9, s3, s7
	s_addc_u32 s4, s8, s5
	s_addc_u32 s5, s9, 0
	s_mul_i32 s6, s3, s7
	s_add_u32 s4, s4, s6
	v_mov_b32_e32 v12, s4
	s_addc_u32 s5, 0, s5
	v_add_co_u32_e32 v12, vcc, s2, v12
	s_cmp_lg_u64 vcc, 0
	s_addc_u32 s2, s3, s5
	v_readfirstlane_b32 s5, v12
	s_mul_i32 s4, s0, s2
	s_mul_hi_u32 s6, s0, s5
	s_mul_hi_u32 s3, s0, s2
	s_add_u32 s4, s6, s4
	s_addc_u32 s3, 0, s3
	s_mul_hi_u32 s7, s1, s5
	s_mul_i32 s5, s1, s5
	s_add_u32 s4, s4, s5
	s_mul_hi_u32 s6, s1, s2
	s_addc_u32 s3, s3, s7
	s_addc_u32 s4, s6, 0
	s_mul_i32 s2, s1, s2
	s_add_u32 s2, s3, s2
	s_addc_u32 s3, 0, s4
	s_add_u32 s4, s2, 1
	s_addc_u32 s5, s3, 0
	s_add_u32 s6, s2, 2
	s_mul_i32 s8, s3, 10
	s_mul_hi_u32 s9, s2, 10
	s_addc_u32 s7, s3, 0
	s_add_i32 s9, s9, s8
	s_mul_i32 s8, s2, 10
	v_mov_b32_e32 v12, s8
	v_sub_co_u32_e32 v12, vcc, s0, v12
	s_cmp_lg_u64 vcc, 0
	s_subb_u32 s8, s1, s9
	v_subrev_co_u32_e32 v13, vcc, 10, v12
	s_cmp_lg_u64 vcc, 0
	s_subb_u32 s9, s8, 0
	v_readfirstlane_b32 s12, v13
	s_cmp_gt_u32 s12, 9
	s_cselect_b32 s12, -1, 0
	s_cmp_eq_u32 s9, 0
	s_cselect_b32 s9, s12, -1
	s_cmp_lg_u32 s9, 0
	s_cselect_b32 s4, s6, s4
	v_readfirstlane_b32 s6, v12
	s_cselect_b32 s5, s7, s5
	s_cmp_gt_u32 s6, 9
	s_cselect_b32 s6, -1, 0
	s_cmp_eq_u32 s8, 0
	s_cselect_b32 s6, s6, -1
	s_cmp_lg_u32 s6, 0
	s_cselect_b32 s3, s5, s3
	s_cselect_b32 s2, s4, s2
	v_cmp_eq_u64_e32 vcc, s[2:3], v[0:1]
	s_and_saveexec_b64 s[2:3], vcc
	s_cbranch_execz .LBB572_123
; %bb.90:
	v_mul_hi_u32_u24_e32 v1, 10, v0
	v_mov_b32_e32 v12, s1
	v_sub_co_u32_e32 v0, vcc, s0, v23
	v_subb_co_u32_e32 v1, vcc, v12, v1, vcc
	v_cmp_lt_i64_e32 vcc, 4, v[0:1]
	s_and_saveexec_b64 s[0:1], vcc
	s_xor_b64 s[0:1], exec, s[0:1]
	s_cbranch_execz .LBB572_108
; %bb.91:
	v_cmp_lt_i64_e32 vcc, 6, v[0:1]
	s_and_saveexec_b64 s[2:3], vcc
	s_xor_b64 s[2:3], exec, s[2:3]
	s_cbranch_execz .LBB572_101
; %bb.92:
	;; [unrolled: 5-line block ×4, first 2 shown]
	v_mov_b32_e32 v0, 0
	s_waitcnt lgkmcnt(0)
	global_store_dword v0, v11, s[10:11]
                                        ; implicit-def: $vgpr10_vgpr11
.LBB572_95:
	s_andn2_saveexec_b64 s[6:7], s[6:7]
	s_cbranch_execz .LBB572_97
; %bb.96:
	v_mov_b32_e32 v0, 0
	s_waitcnt lgkmcnt(0)
	global_store_dword v0, v10, s[10:11]
.LBB572_97:
	s_or_b64 exec, exec, s[6:7]
                                        ; implicit-def: $vgpr8_vgpr9
.LBB572_98:
	s_andn2_saveexec_b64 s[4:5], s[4:5]
	s_cbranch_execz .LBB572_100
; %bb.99:
	v_mov_b32_e32 v0, 0
	s_waitcnt lgkmcnt(0)
	global_store_dword v0, v9, s[10:11]
.LBB572_100:
	s_or_b64 exec, exec, s[4:5]
                                        ; implicit-def: $vgpr4_vgpr5
                                        ; implicit-def: $vgpr0_vgpr1
                                        ; implicit-def: $vgpr8_vgpr9
.LBB572_101:
	s_andn2_saveexec_b64 s[2:3], s[2:3]
	s_cbranch_execz .LBB572_107
; %bb.102:
	v_cmp_lt_i64_e32 vcc, 5, v[0:1]
	s_and_saveexec_b64 s[4:5], vcc
	s_xor_b64 s[4:5], exec, s[4:5]
	s_cbranch_execz .LBB572_104
; %bb.103:
	v_mov_b32_e32 v0, 0
	s_waitcnt lgkmcnt(0)
	global_store_dword v0, v8, s[10:11]
                                        ; implicit-def: $vgpr4_vgpr5
.LBB572_104:
	s_andn2_saveexec_b64 s[4:5], s[4:5]
	s_cbranch_execz .LBB572_106
; %bb.105:
	v_mov_b32_e32 v0, 0
	s_waitcnt lgkmcnt(0)
	global_store_dword v0, v5, s[10:11]
.LBB572_106:
	s_or_b64 exec, exec, s[4:5]
.LBB572_107:
	s_or_b64 exec, exec, s[2:3]
                                        ; implicit-def: $vgpr0_vgpr1
                                        ; implicit-def: $vgpr6_vgpr7
                                        ; implicit-def: $vgpr2_vgpr3
                                        ; implicit-def: $vgpr4_vgpr5
.LBB572_108:
	s_andn2_saveexec_b64 s[0:1], s[0:1]
	s_cbranch_execz .LBB572_123
; %bb.109:
	v_cmp_lt_i64_e32 vcc, 2, v[0:1]
	s_and_saveexec_b64 s[0:1], vcc
	s_xor_b64 s[0:1], exec, s[0:1]
	s_cbranch_execz .LBB572_115
; %bb.110:
	v_cmp_lt_i64_e32 vcc, 3, v[0:1]
	s_and_saveexec_b64 s[2:3], vcc
	s_xor_b64 s[2:3], exec, s[2:3]
	s_cbranch_execz .LBB572_112
; %bb.111:
	v_mov_b32_e32 v0, 0
	s_waitcnt lgkmcnt(0)
	global_store_dword v0, v4, s[10:11]
                                        ; implicit-def: $vgpr6_vgpr7
.LBB572_112:
	s_andn2_saveexec_b64 s[2:3], s[2:3]
	s_cbranch_execz .LBB572_114
; %bb.113:
	v_mov_b32_e32 v0, 0
	s_waitcnt lgkmcnt(0)
	global_store_dword v0, v7, s[10:11]
.LBB572_114:
	s_or_b64 exec, exec, s[2:3]
                                        ; implicit-def: $vgpr0_vgpr1
                                        ; implicit-def: $vgpr6_vgpr7
                                        ; implicit-def: $vgpr2_vgpr3
.LBB572_115:
	s_andn2_saveexec_b64 s[0:1], s[0:1]
	s_cbranch_execz .LBB572_123
; %bb.116:
	v_cmp_lt_i64_e32 vcc, 1, v[0:1]
	s_and_saveexec_b64 s[0:1], vcc
	s_xor_b64 s[0:1], exec, s[0:1]
	s_cbranch_execz .LBB572_118
; %bb.117:
	v_mov_b32_e32 v0, 0
	s_waitcnt lgkmcnt(0)
	global_store_dword v0, v6, s[10:11]
                                        ; implicit-def: $vgpr2_vgpr3
                                        ; implicit-def: $vgpr0_vgpr1
.LBB572_118:
	s_andn2_saveexec_b64 s[0:1], s[0:1]
	s_cbranch_execz .LBB572_123
; %bb.119:
	v_cmp_ne_u64_e32 vcc, 1, v[0:1]
	s_and_saveexec_b64 s[0:1], vcc
	s_xor_b64 s[0:1], exec, s[0:1]
	s_cbranch_execz .LBB572_121
; %bb.120:
	v_mov_b32_e32 v0, 0
	s_waitcnt lgkmcnt(0)
	global_store_dword v0, v2, s[10:11]
                                        ; implicit-def: $vgpr2_vgpr3
.LBB572_121:
	s_andn2_saveexec_b64 s[0:1], s[0:1]
	s_cbranch_execz .LBB572_123
; %bb.122:
	v_mov_b32_e32 v0, 0
	s_waitcnt lgkmcnt(0)
	global_store_dword v0, v3, s[10:11]
.LBB572_123:
	s_endpgm
	.section	.rodata,"a",@progbits
	.p2align	6, 0x0
	.amdhsa_kernel _ZN7rocprim17ROCPRIM_400000_NS6detail17trampoline_kernelINS0_14default_configENS1_20scan_config_selectorIiEEZZNS1_9scan_implILNS1_25lookback_scan_determinismE0ELb0ELb0ES3_N6thrust23THRUST_200600_302600_NS6detail15normal_iteratorINS9_10device_ptrIiEEEESE_iNS9_4plusIiEEiEEDaPvRmT3_T4_T5_mT6_P12ihipStream_tbENKUlT_T0_E_clISt17integral_constantIbLb0EEST_IbLb1EEEEDaSP_SQ_EUlSP_E_NS1_11comp_targetILNS1_3genE4ELNS1_11target_archE910ELNS1_3gpuE8ELNS1_3repE0EEENS1_30default_config_static_selectorELNS0_4arch9wavefront6targetE1EEEvT1_
		.amdhsa_group_segment_fixed_size 5120
		.amdhsa_private_segment_fixed_size 0
		.amdhsa_kernarg_size 96
		.amdhsa_user_sgpr_count 6
		.amdhsa_user_sgpr_private_segment_buffer 1
		.amdhsa_user_sgpr_dispatch_ptr 0
		.amdhsa_user_sgpr_queue_ptr 0
		.amdhsa_user_sgpr_kernarg_segment_ptr 1
		.amdhsa_user_sgpr_dispatch_id 0
		.amdhsa_user_sgpr_flat_scratch_init 0
		.amdhsa_user_sgpr_kernarg_preload_length 0
		.amdhsa_user_sgpr_kernarg_preload_offset 0
		.amdhsa_user_sgpr_private_segment_size 0
		.amdhsa_uses_dynamic_stack 0
		.amdhsa_system_sgpr_private_segment_wavefront_offset 0
		.amdhsa_system_sgpr_workgroup_id_x 1
		.amdhsa_system_sgpr_workgroup_id_y 0
		.amdhsa_system_sgpr_workgroup_id_z 0
		.amdhsa_system_sgpr_workgroup_info 0
		.amdhsa_system_vgpr_workitem_id 0
		.amdhsa_next_free_vgpr 40
		.amdhsa_next_free_sgpr 36
		.amdhsa_accum_offset 40
		.amdhsa_reserve_vcc 1
		.amdhsa_reserve_flat_scratch 0
		.amdhsa_float_round_mode_32 0
		.amdhsa_float_round_mode_16_64 0
		.amdhsa_float_denorm_mode_32 3
		.amdhsa_float_denorm_mode_16_64 3
		.amdhsa_dx10_clamp 1
		.amdhsa_ieee_mode 1
		.amdhsa_fp16_overflow 0
		.amdhsa_tg_split 0
		.amdhsa_exception_fp_ieee_invalid_op 0
		.amdhsa_exception_fp_denorm_src 0
		.amdhsa_exception_fp_ieee_div_zero 0
		.amdhsa_exception_fp_ieee_overflow 0
		.amdhsa_exception_fp_ieee_underflow 0
		.amdhsa_exception_fp_ieee_inexact 0
		.amdhsa_exception_int_div_zero 0
	.end_amdhsa_kernel
	.section	.text._ZN7rocprim17ROCPRIM_400000_NS6detail17trampoline_kernelINS0_14default_configENS1_20scan_config_selectorIiEEZZNS1_9scan_implILNS1_25lookback_scan_determinismE0ELb0ELb0ES3_N6thrust23THRUST_200600_302600_NS6detail15normal_iteratorINS9_10device_ptrIiEEEESE_iNS9_4plusIiEEiEEDaPvRmT3_T4_T5_mT6_P12ihipStream_tbENKUlT_T0_E_clISt17integral_constantIbLb0EEST_IbLb1EEEEDaSP_SQ_EUlSP_E_NS1_11comp_targetILNS1_3genE4ELNS1_11target_archE910ELNS1_3gpuE8ELNS1_3repE0EEENS1_30default_config_static_selectorELNS0_4arch9wavefront6targetE1EEEvT1_,"axG",@progbits,_ZN7rocprim17ROCPRIM_400000_NS6detail17trampoline_kernelINS0_14default_configENS1_20scan_config_selectorIiEEZZNS1_9scan_implILNS1_25lookback_scan_determinismE0ELb0ELb0ES3_N6thrust23THRUST_200600_302600_NS6detail15normal_iteratorINS9_10device_ptrIiEEEESE_iNS9_4plusIiEEiEEDaPvRmT3_T4_T5_mT6_P12ihipStream_tbENKUlT_T0_E_clISt17integral_constantIbLb0EEST_IbLb1EEEEDaSP_SQ_EUlSP_E_NS1_11comp_targetILNS1_3genE4ELNS1_11target_archE910ELNS1_3gpuE8ELNS1_3repE0EEENS1_30default_config_static_selectorELNS0_4arch9wavefront6targetE1EEEvT1_,comdat
.Lfunc_end572:
	.size	_ZN7rocprim17ROCPRIM_400000_NS6detail17trampoline_kernelINS0_14default_configENS1_20scan_config_selectorIiEEZZNS1_9scan_implILNS1_25lookback_scan_determinismE0ELb0ELb0ES3_N6thrust23THRUST_200600_302600_NS6detail15normal_iteratorINS9_10device_ptrIiEEEESE_iNS9_4plusIiEEiEEDaPvRmT3_T4_T5_mT6_P12ihipStream_tbENKUlT_T0_E_clISt17integral_constantIbLb0EEST_IbLb1EEEEDaSP_SQ_EUlSP_E_NS1_11comp_targetILNS1_3genE4ELNS1_11target_archE910ELNS1_3gpuE8ELNS1_3repE0EEENS1_30default_config_static_selectorELNS0_4arch9wavefront6targetE1EEEvT1_, .Lfunc_end572-_ZN7rocprim17ROCPRIM_400000_NS6detail17trampoline_kernelINS0_14default_configENS1_20scan_config_selectorIiEEZZNS1_9scan_implILNS1_25lookback_scan_determinismE0ELb0ELb0ES3_N6thrust23THRUST_200600_302600_NS6detail15normal_iteratorINS9_10device_ptrIiEEEESE_iNS9_4plusIiEEiEEDaPvRmT3_T4_T5_mT6_P12ihipStream_tbENKUlT_T0_E_clISt17integral_constantIbLb0EEST_IbLb1EEEEDaSP_SQ_EUlSP_E_NS1_11comp_targetILNS1_3genE4ELNS1_11target_archE910ELNS1_3gpuE8ELNS1_3repE0EEENS1_30default_config_static_selectorELNS0_4arch9wavefront6targetE1EEEvT1_
                                        ; -- End function
	.section	.AMDGPU.csdata,"",@progbits
; Kernel info:
; codeLenInByte = 4564
; NumSgprs: 40
; NumVgprs: 40
; NumAgprs: 0
; TotalNumVgprs: 40
; ScratchSize: 0
; MemoryBound: 0
; FloatMode: 240
; IeeeMode: 1
; LDSByteSize: 5120 bytes/workgroup (compile time only)
; SGPRBlocks: 4
; VGPRBlocks: 4
; NumSGPRsForWavesPerEU: 40
; NumVGPRsForWavesPerEU: 40
; AccumOffset: 40
; Occupancy: 6
; WaveLimiterHint : 1
; COMPUTE_PGM_RSRC2:SCRATCH_EN: 0
; COMPUTE_PGM_RSRC2:USER_SGPR: 6
; COMPUTE_PGM_RSRC2:TRAP_HANDLER: 0
; COMPUTE_PGM_RSRC2:TGID_X_EN: 1
; COMPUTE_PGM_RSRC2:TGID_Y_EN: 0
; COMPUTE_PGM_RSRC2:TGID_Z_EN: 0
; COMPUTE_PGM_RSRC2:TIDIG_COMP_CNT: 0
; COMPUTE_PGM_RSRC3_GFX90A:ACCUM_OFFSET: 9
; COMPUTE_PGM_RSRC3_GFX90A:TG_SPLIT: 0
	.section	.text._ZN7rocprim17ROCPRIM_400000_NS6detail17trampoline_kernelINS0_14default_configENS1_20scan_config_selectorIiEEZZNS1_9scan_implILNS1_25lookback_scan_determinismE0ELb0ELb0ES3_N6thrust23THRUST_200600_302600_NS6detail15normal_iteratorINS9_10device_ptrIiEEEESE_iNS9_4plusIiEEiEEDaPvRmT3_T4_T5_mT6_P12ihipStream_tbENKUlT_T0_E_clISt17integral_constantIbLb0EEST_IbLb1EEEEDaSP_SQ_EUlSP_E_NS1_11comp_targetILNS1_3genE3ELNS1_11target_archE908ELNS1_3gpuE7ELNS1_3repE0EEENS1_30default_config_static_selectorELNS0_4arch9wavefront6targetE1EEEvT1_,"axG",@progbits,_ZN7rocprim17ROCPRIM_400000_NS6detail17trampoline_kernelINS0_14default_configENS1_20scan_config_selectorIiEEZZNS1_9scan_implILNS1_25lookback_scan_determinismE0ELb0ELb0ES3_N6thrust23THRUST_200600_302600_NS6detail15normal_iteratorINS9_10device_ptrIiEEEESE_iNS9_4plusIiEEiEEDaPvRmT3_T4_T5_mT6_P12ihipStream_tbENKUlT_T0_E_clISt17integral_constantIbLb0EEST_IbLb1EEEEDaSP_SQ_EUlSP_E_NS1_11comp_targetILNS1_3genE3ELNS1_11target_archE908ELNS1_3gpuE7ELNS1_3repE0EEENS1_30default_config_static_selectorELNS0_4arch9wavefront6targetE1EEEvT1_,comdat
	.protected	_ZN7rocprim17ROCPRIM_400000_NS6detail17trampoline_kernelINS0_14default_configENS1_20scan_config_selectorIiEEZZNS1_9scan_implILNS1_25lookback_scan_determinismE0ELb0ELb0ES3_N6thrust23THRUST_200600_302600_NS6detail15normal_iteratorINS9_10device_ptrIiEEEESE_iNS9_4plusIiEEiEEDaPvRmT3_T4_T5_mT6_P12ihipStream_tbENKUlT_T0_E_clISt17integral_constantIbLb0EEST_IbLb1EEEEDaSP_SQ_EUlSP_E_NS1_11comp_targetILNS1_3genE3ELNS1_11target_archE908ELNS1_3gpuE7ELNS1_3repE0EEENS1_30default_config_static_selectorELNS0_4arch9wavefront6targetE1EEEvT1_ ; -- Begin function _ZN7rocprim17ROCPRIM_400000_NS6detail17trampoline_kernelINS0_14default_configENS1_20scan_config_selectorIiEEZZNS1_9scan_implILNS1_25lookback_scan_determinismE0ELb0ELb0ES3_N6thrust23THRUST_200600_302600_NS6detail15normal_iteratorINS9_10device_ptrIiEEEESE_iNS9_4plusIiEEiEEDaPvRmT3_T4_T5_mT6_P12ihipStream_tbENKUlT_T0_E_clISt17integral_constantIbLb0EEST_IbLb1EEEEDaSP_SQ_EUlSP_E_NS1_11comp_targetILNS1_3genE3ELNS1_11target_archE908ELNS1_3gpuE7ELNS1_3repE0EEENS1_30default_config_static_selectorELNS0_4arch9wavefront6targetE1EEEvT1_
	.globl	_ZN7rocprim17ROCPRIM_400000_NS6detail17trampoline_kernelINS0_14default_configENS1_20scan_config_selectorIiEEZZNS1_9scan_implILNS1_25lookback_scan_determinismE0ELb0ELb0ES3_N6thrust23THRUST_200600_302600_NS6detail15normal_iteratorINS9_10device_ptrIiEEEESE_iNS9_4plusIiEEiEEDaPvRmT3_T4_T5_mT6_P12ihipStream_tbENKUlT_T0_E_clISt17integral_constantIbLb0EEST_IbLb1EEEEDaSP_SQ_EUlSP_E_NS1_11comp_targetILNS1_3genE3ELNS1_11target_archE908ELNS1_3gpuE7ELNS1_3repE0EEENS1_30default_config_static_selectorELNS0_4arch9wavefront6targetE1EEEvT1_
	.p2align	8
	.type	_ZN7rocprim17ROCPRIM_400000_NS6detail17trampoline_kernelINS0_14default_configENS1_20scan_config_selectorIiEEZZNS1_9scan_implILNS1_25lookback_scan_determinismE0ELb0ELb0ES3_N6thrust23THRUST_200600_302600_NS6detail15normal_iteratorINS9_10device_ptrIiEEEESE_iNS9_4plusIiEEiEEDaPvRmT3_T4_T5_mT6_P12ihipStream_tbENKUlT_T0_E_clISt17integral_constantIbLb0EEST_IbLb1EEEEDaSP_SQ_EUlSP_E_NS1_11comp_targetILNS1_3genE3ELNS1_11target_archE908ELNS1_3gpuE7ELNS1_3repE0EEENS1_30default_config_static_selectorELNS0_4arch9wavefront6targetE1EEEvT1_,@function
_ZN7rocprim17ROCPRIM_400000_NS6detail17trampoline_kernelINS0_14default_configENS1_20scan_config_selectorIiEEZZNS1_9scan_implILNS1_25lookback_scan_determinismE0ELb0ELb0ES3_N6thrust23THRUST_200600_302600_NS6detail15normal_iteratorINS9_10device_ptrIiEEEESE_iNS9_4plusIiEEiEEDaPvRmT3_T4_T5_mT6_P12ihipStream_tbENKUlT_T0_E_clISt17integral_constantIbLb0EEST_IbLb1EEEEDaSP_SQ_EUlSP_E_NS1_11comp_targetILNS1_3genE3ELNS1_11target_archE908ELNS1_3gpuE7ELNS1_3repE0EEENS1_30default_config_static_selectorELNS0_4arch9wavefront6targetE1EEEvT1_: ; @_ZN7rocprim17ROCPRIM_400000_NS6detail17trampoline_kernelINS0_14default_configENS1_20scan_config_selectorIiEEZZNS1_9scan_implILNS1_25lookback_scan_determinismE0ELb0ELb0ES3_N6thrust23THRUST_200600_302600_NS6detail15normal_iteratorINS9_10device_ptrIiEEEESE_iNS9_4plusIiEEiEEDaPvRmT3_T4_T5_mT6_P12ihipStream_tbENKUlT_T0_E_clISt17integral_constantIbLb0EEST_IbLb1EEEEDaSP_SQ_EUlSP_E_NS1_11comp_targetILNS1_3genE3ELNS1_11target_archE908ELNS1_3gpuE7ELNS1_3repE0EEENS1_30default_config_static_selectorELNS0_4arch9wavefront6targetE1EEEvT1_
; %bb.0:
	.section	.rodata,"a",@progbits
	.p2align	6, 0x0
	.amdhsa_kernel _ZN7rocprim17ROCPRIM_400000_NS6detail17trampoline_kernelINS0_14default_configENS1_20scan_config_selectorIiEEZZNS1_9scan_implILNS1_25lookback_scan_determinismE0ELb0ELb0ES3_N6thrust23THRUST_200600_302600_NS6detail15normal_iteratorINS9_10device_ptrIiEEEESE_iNS9_4plusIiEEiEEDaPvRmT3_T4_T5_mT6_P12ihipStream_tbENKUlT_T0_E_clISt17integral_constantIbLb0EEST_IbLb1EEEEDaSP_SQ_EUlSP_E_NS1_11comp_targetILNS1_3genE3ELNS1_11target_archE908ELNS1_3gpuE7ELNS1_3repE0EEENS1_30default_config_static_selectorELNS0_4arch9wavefront6targetE1EEEvT1_
		.amdhsa_group_segment_fixed_size 0
		.amdhsa_private_segment_fixed_size 0
		.amdhsa_kernarg_size 96
		.amdhsa_user_sgpr_count 6
		.amdhsa_user_sgpr_private_segment_buffer 1
		.amdhsa_user_sgpr_dispatch_ptr 0
		.amdhsa_user_sgpr_queue_ptr 0
		.amdhsa_user_sgpr_kernarg_segment_ptr 1
		.amdhsa_user_sgpr_dispatch_id 0
		.amdhsa_user_sgpr_flat_scratch_init 0
		.amdhsa_user_sgpr_kernarg_preload_length 0
		.amdhsa_user_sgpr_kernarg_preload_offset 0
		.amdhsa_user_sgpr_private_segment_size 0
		.amdhsa_uses_dynamic_stack 0
		.amdhsa_system_sgpr_private_segment_wavefront_offset 0
		.amdhsa_system_sgpr_workgroup_id_x 1
		.amdhsa_system_sgpr_workgroup_id_y 0
		.amdhsa_system_sgpr_workgroup_id_z 0
		.amdhsa_system_sgpr_workgroup_info 0
		.amdhsa_system_vgpr_workitem_id 0
		.amdhsa_next_free_vgpr 1
		.amdhsa_next_free_sgpr 0
		.amdhsa_accum_offset 4
		.amdhsa_reserve_vcc 0
		.amdhsa_reserve_flat_scratch 0
		.amdhsa_float_round_mode_32 0
		.amdhsa_float_round_mode_16_64 0
		.amdhsa_float_denorm_mode_32 3
		.amdhsa_float_denorm_mode_16_64 3
		.amdhsa_dx10_clamp 1
		.amdhsa_ieee_mode 1
		.amdhsa_fp16_overflow 0
		.amdhsa_tg_split 0
		.amdhsa_exception_fp_ieee_invalid_op 0
		.amdhsa_exception_fp_denorm_src 0
		.amdhsa_exception_fp_ieee_div_zero 0
		.amdhsa_exception_fp_ieee_overflow 0
		.amdhsa_exception_fp_ieee_underflow 0
		.amdhsa_exception_fp_ieee_inexact 0
		.amdhsa_exception_int_div_zero 0
	.end_amdhsa_kernel
	.section	.text._ZN7rocprim17ROCPRIM_400000_NS6detail17trampoline_kernelINS0_14default_configENS1_20scan_config_selectorIiEEZZNS1_9scan_implILNS1_25lookback_scan_determinismE0ELb0ELb0ES3_N6thrust23THRUST_200600_302600_NS6detail15normal_iteratorINS9_10device_ptrIiEEEESE_iNS9_4plusIiEEiEEDaPvRmT3_T4_T5_mT6_P12ihipStream_tbENKUlT_T0_E_clISt17integral_constantIbLb0EEST_IbLb1EEEEDaSP_SQ_EUlSP_E_NS1_11comp_targetILNS1_3genE3ELNS1_11target_archE908ELNS1_3gpuE7ELNS1_3repE0EEENS1_30default_config_static_selectorELNS0_4arch9wavefront6targetE1EEEvT1_,"axG",@progbits,_ZN7rocprim17ROCPRIM_400000_NS6detail17trampoline_kernelINS0_14default_configENS1_20scan_config_selectorIiEEZZNS1_9scan_implILNS1_25lookback_scan_determinismE0ELb0ELb0ES3_N6thrust23THRUST_200600_302600_NS6detail15normal_iteratorINS9_10device_ptrIiEEEESE_iNS9_4plusIiEEiEEDaPvRmT3_T4_T5_mT6_P12ihipStream_tbENKUlT_T0_E_clISt17integral_constantIbLb0EEST_IbLb1EEEEDaSP_SQ_EUlSP_E_NS1_11comp_targetILNS1_3genE3ELNS1_11target_archE908ELNS1_3gpuE7ELNS1_3repE0EEENS1_30default_config_static_selectorELNS0_4arch9wavefront6targetE1EEEvT1_,comdat
.Lfunc_end573:
	.size	_ZN7rocprim17ROCPRIM_400000_NS6detail17trampoline_kernelINS0_14default_configENS1_20scan_config_selectorIiEEZZNS1_9scan_implILNS1_25lookback_scan_determinismE0ELb0ELb0ES3_N6thrust23THRUST_200600_302600_NS6detail15normal_iteratorINS9_10device_ptrIiEEEESE_iNS9_4plusIiEEiEEDaPvRmT3_T4_T5_mT6_P12ihipStream_tbENKUlT_T0_E_clISt17integral_constantIbLb0EEST_IbLb1EEEEDaSP_SQ_EUlSP_E_NS1_11comp_targetILNS1_3genE3ELNS1_11target_archE908ELNS1_3gpuE7ELNS1_3repE0EEENS1_30default_config_static_selectorELNS0_4arch9wavefront6targetE1EEEvT1_, .Lfunc_end573-_ZN7rocprim17ROCPRIM_400000_NS6detail17trampoline_kernelINS0_14default_configENS1_20scan_config_selectorIiEEZZNS1_9scan_implILNS1_25lookback_scan_determinismE0ELb0ELb0ES3_N6thrust23THRUST_200600_302600_NS6detail15normal_iteratorINS9_10device_ptrIiEEEESE_iNS9_4plusIiEEiEEDaPvRmT3_T4_T5_mT6_P12ihipStream_tbENKUlT_T0_E_clISt17integral_constantIbLb0EEST_IbLb1EEEEDaSP_SQ_EUlSP_E_NS1_11comp_targetILNS1_3genE3ELNS1_11target_archE908ELNS1_3gpuE7ELNS1_3repE0EEENS1_30default_config_static_selectorELNS0_4arch9wavefront6targetE1EEEvT1_
                                        ; -- End function
	.section	.AMDGPU.csdata,"",@progbits
; Kernel info:
; codeLenInByte = 0
; NumSgprs: 4
; NumVgprs: 0
; NumAgprs: 0
; TotalNumVgprs: 0
; ScratchSize: 0
; MemoryBound: 0
; FloatMode: 240
; IeeeMode: 1
; LDSByteSize: 0 bytes/workgroup (compile time only)
; SGPRBlocks: 0
; VGPRBlocks: 0
; NumSGPRsForWavesPerEU: 4
; NumVGPRsForWavesPerEU: 1
; AccumOffset: 4
; Occupancy: 8
; WaveLimiterHint : 0
; COMPUTE_PGM_RSRC2:SCRATCH_EN: 0
; COMPUTE_PGM_RSRC2:USER_SGPR: 6
; COMPUTE_PGM_RSRC2:TRAP_HANDLER: 0
; COMPUTE_PGM_RSRC2:TGID_X_EN: 1
; COMPUTE_PGM_RSRC2:TGID_Y_EN: 0
; COMPUTE_PGM_RSRC2:TGID_Z_EN: 0
; COMPUTE_PGM_RSRC2:TIDIG_COMP_CNT: 0
; COMPUTE_PGM_RSRC3_GFX90A:ACCUM_OFFSET: 0
; COMPUTE_PGM_RSRC3_GFX90A:TG_SPLIT: 0
	.section	.text._ZN7rocprim17ROCPRIM_400000_NS6detail17trampoline_kernelINS0_14default_configENS1_20scan_config_selectorIiEEZZNS1_9scan_implILNS1_25lookback_scan_determinismE0ELb0ELb0ES3_N6thrust23THRUST_200600_302600_NS6detail15normal_iteratorINS9_10device_ptrIiEEEESE_iNS9_4plusIiEEiEEDaPvRmT3_T4_T5_mT6_P12ihipStream_tbENKUlT_T0_E_clISt17integral_constantIbLb0EEST_IbLb1EEEEDaSP_SQ_EUlSP_E_NS1_11comp_targetILNS1_3genE2ELNS1_11target_archE906ELNS1_3gpuE6ELNS1_3repE0EEENS1_30default_config_static_selectorELNS0_4arch9wavefront6targetE1EEEvT1_,"axG",@progbits,_ZN7rocprim17ROCPRIM_400000_NS6detail17trampoline_kernelINS0_14default_configENS1_20scan_config_selectorIiEEZZNS1_9scan_implILNS1_25lookback_scan_determinismE0ELb0ELb0ES3_N6thrust23THRUST_200600_302600_NS6detail15normal_iteratorINS9_10device_ptrIiEEEESE_iNS9_4plusIiEEiEEDaPvRmT3_T4_T5_mT6_P12ihipStream_tbENKUlT_T0_E_clISt17integral_constantIbLb0EEST_IbLb1EEEEDaSP_SQ_EUlSP_E_NS1_11comp_targetILNS1_3genE2ELNS1_11target_archE906ELNS1_3gpuE6ELNS1_3repE0EEENS1_30default_config_static_selectorELNS0_4arch9wavefront6targetE1EEEvT1_,comdat
	.protected	_ZN7rocprim17ROCPRIM_400000_NS6detail17trampoline_kernelINS0_14default_configENS1_20scan_config_selectorIiEEZZNS1_9scan_implILNS1_25lookback_scan_determinismE0ELb0ELb0ES3_N6thrust23THRUST_200600_302600_NS6detail15normal_iteratorINS9_10device_ptrIiEEEESE_iNS9_4plusIiEEiEEDaPvRmT3_T4_T5_mT6_P12ihipStream_tbENKUlT_T0_E_clISt17integral_constantIbLb0EEST_IbLb1EEEEDaSP_SQ_EUlSP_E_NS1_11comp_targetILNS1_3genE2ELNS1_11target_archE906ELNS1_3gpuE6ELNS1_3repE0EEENS1_30default_config_static_selectorELNS0_4arch9wavefront6targetE1EEEvT1_ ; -- Begin function _ZN7rocprim17ROCPRIM_400000_NS6detail17trampoline_kernelINS0_14default_configENS1_20scan_config_selectorIiEEZZNS1_9scan_implILNS1_25lookback_scan_determinismE0ELb0ELb0ES3_N6thrust23THRUST_200600_302600_NS6detail15normal_iteratorINS9_10device_ptrIiEEEESE_iNS9_4plusIiEEiEEDaPvRmT3_T4_T5_mT6_P12ihipStream_tbENKUlT_T0_E_clISt17integral_constantIbLb0EEST_IbLb1EEEEDaSP_SQ_EUlSP_E_NS1_11comp_targetILNS1_3genE2ELNS1_11target_archE906ELNS1_3gpuE6ELNS1_3repE0EEENS1_30default_config_static_selectorELNS0_4arch9wavefront6targetE1EEEvT1_
	.globl	_ZN7rocprim17ROCPRIM_400000_NS6detail17trampoline_kernelINS0_14default_configENS1_20scan_config_selectorIiEEZZNS1_9scan_implILNS1_25lookback_scan_determinismE0ELb0ELb0ES3_N6thrust23THRUST_200600_302600_NS6detail15normal_iteratorINS9_10device_ptrIiEEEESE_iNS9_4plusIiEEiEEDaPvRmT3_T4_T5_mT6_P12ihipStream_tbENKUlT_T0_E_clISt17integral_constantIbLb0EEST_IbLb1EEEEDaSP_SQ_EUlSP_E_NS1_11comp_targetILNS1_3genE2ELNS1_11target_archE906ELNS1_3gpuE6ELNS1_3repE0EEENS1_30default_config_static_selectorELNS0_4arch9wavefront6targetE1EEEvT1_
	.p2align	8
	.type	_ZN7rocprim17ROCPRIM_400000_NS6detail17trampoline_kernelINS0_14default_configENS1_20scan_config_selectorIiEEZZNS1_9scan_implILNS1_25lookback_scan_determinismE0ELb0ELb0ES3_N6thrust23THRUST_200600_302600_NS6detail15normal_iteratorINS9_10device_ptrIiEEEESE_iNS9_4plusIiEEiEEDaPvRmT3_T4_T5_mT6_P12ihipStream_tbENKUlT_T0_E_clISt17integral_constantIbLb0EEST_IbLb1EEEEDaSP_SQ_EUlSP_E_NS1_11comp_targetILNS1_3genE2ELNS1_11target_archE906ELNS1_3gpuE6ELNS1_3repE0EEENS1_30default_config_static_selectorELNS0_4arch9wavefront6targetE1EEEvT1_,@function
_ZN7rocprim17ROCPRIM_400000_NS6detail17trampoline_kernelINS0_14default_configENS1_20scan_config_selectorIiEEZZNS1_9scan_implILNS1_25lookback_scan_determinismE0ELb0ELb0ES3_N6thrust23THRUST_200600_302600_NS6detail15normal_iteratorINS9_10device_ptrIiEEEESE_iNS9_4plusIiEEiEEDaPvRmT3_T4_T5_mT6_P12ihipStream_tbENKUlT_T0_E_clISt17integral_constantIbLb0EEST_IbLb1EEEEDaSP_SQ_EUlSP_E_NS1_11comp_targetILNS1_3genE2ELNS1_11target_archE906ELNS1_3gpuE6ELNS1_3repE0EEENS1_30default_config_static_selectorELNS0_4arch9wavefront6targetE1EEEvT1_: ; @_ZN7rocprim17ROCPRIM_400000_NS6detail17trampoline_kernelINS0_14default_configENS1_20scan_config_selectorIiEEZZNS1_9scan_implILNS1_25lookback_scan_determinismE0ELb0ELb0ES3_N6thrust23THRUST_200600_302600_NS6detail15normal_iteratorINS9_10device_ptrIiEEEESE_iNS9_4plusIiEEiEEDaPvRmT3_T4_T5_mT6_P12ihipStream_tbENKUlT_T0_E_clISt17integral_constantIbLb0EEST_IbLb1EEEEDaSP_SQ_EUlSP_E_NS1_11comp_targetILNS1_3genE2ELNS1_11target_archE906ELNS1_3gpuE6ELNS1_3repE0EEENS1_30default_config_static_selectorELNS0_4arch9wavefront6targetE1EEEvT1_
; %bb.0:
	.section	.rodata,"a",@progbits
	.p2align	6, 0x0
	.amdhsa_kernel _ZN7rocprim17ROCPRIM_400000_NS6detail17trampoline_kernelINS0_14default_configENS1_20scan_config_selectorIiEEZZNS1_9scan_implILNS1_25lookback_scan_determinismE0ELb0ELb0ES3_N6thrust23THRUST_200600_302600_NS6detail15normal_iteratorINS9_10device_ptrIiEEEESE_iNS9_4plusIiEEiEEDaPvRmT3_T4_T5_mT6_P12ihipStream_tbENKUlT_T0_E_clISt17integral_constantIbLb0EEST_IbLb1EEEEDaSP_SQ_EUlSP_E_NS1_11comp_targetILNS1_3genE2ELNS1_11target_archE906ELNS1_3gpuE6ELNS1_3repE0EEENS1_30default_config_static_selectorELNS0_4arch9wavefront6targetE1EEEvT1_
		.amdhsa_group_segment_fixed_size 0
		.amdhsa_private_segment_fixed_size 0
		.amdhsa_kernarg_size 96
		.amdhsa_user_sgpr_count 6
		.amdhsa_user_sgpr_private_segment_buffer 1
		.amdhsa_user_sgpr_dispatch_ptr 0
		.amdhsa_user_sgpr_queue_ptr 0
		.amdhsa_user_sgpr_kernarg_segment_ptr 1
		.amdhsa_user_sgpr_dispatch_id 0
		.amdhsa_user_sgpr_flat_scratch_init 0
		.amdhsa_user_sgpr_kernarg_preload_length 0
		.amdhsa_user_sgpr_kernarg_preload_offset 0
		.amdhsa_user_sgpr_private_segment_size 0
		.amdhsa_uses_dynamic_stack 0
		.amdhsa_system_sgpr_private_segment_wavefront_offset 0
		.amdhsa_system_sgpr_workgroup_id_x 1
		.amdhsa_system_sgpr_workgroup_id_y 0
		.amdhsa_system_sgpr_workgroup_id_z 0
		.amdhsa_system_sgpr_workgroup_info 0
		.amdhsa_system_vgpr_workitem_id 0
		.amdhsa_next_free_vgpr 1
		.amdhsa_next_free_sgpr 0
		.amdhsa_accum_offset 4
		.amdhsa_reserve_vcc 0
		.amdhsa_reserve_flat_scratch 0
		.amdhsa_float_round_mode_32 0
		.amdhsa_float_round_mode_16_64 0
		.amdhsa_float_denorm_mode_32 3
		.amdhsa_float_denorm_mode_16_64 3
		.amdhsa_dx10_clamp 1
		.amdhsa_ieee_mode 1
		.amdhsa_fp16_overflow 0
		.amdhsa_tg_split 0
		.amdhsa_exception_fp_ieee_invalid_op 0
		.amdhsa_exception_fp_denorm_src 0
		.amdhsa_exception_fp_ieee_div_zero 0
		.amdhsa_exception_fp_ieee_overflow 0
		.amdhsa_exception_fp_ieee_underflow 0
		.amdhsa_exception_fp_ieee_inexact 0
		.amdhsa_exception_int_div_zero 0
	.end_amdhsa_kernel
	.section	.text._ZN7rocprim17ROCPRIM_400000_NS6detail17trampoline_kernelINS0_14default_configENS1_20scan_config_selectorIiEEZZNS1_9scan_implILNS1_25lookback_scan_determinismE0ELb0ELb0ES3_N6thrust23THRUST_200600_302600_NS6detail15normal_iteratorINS9_10device_ptrIiEEEESE_iNS9_4plusIiEEiEEDaPvRmT3_T4_T5_mT6_P12ihipStream_tbENKUlT_T0_E_clISt17integral_constantIbLb0EEST_IbLb1EEEEDaSP_SQ_EUlSP_E_NS1_11comp_targetILNS1_3genE2ELNS1_11target_archE906ELNS1_3gpuE6ELNS1_3repE0EEENS1_30default_config_static_selectorELNS0_4arch9wavefront6targetE1EEEvT1_,"axG",@progbits,_ZN7rocprim17ROCPRIM_400000_NS6detail17trampoline_kernelINS0_14default_configENS1_20scan_config_selectorIiEEZZNS1_9scan_implILNS1_25lookback_scan_determinismE0ELb0ELb0ES3_N6thrust23THRUST_200600_302600_NS6detail15normal_iteratorINS9_10device_ptrIiEEEESE_iNS9_4plusIiEEiEEDaPvRmT3_T4_T5_mT6_P12ihipStream_tbENKUlT_T0_E_clISt17integral_constantIbLb0EEST_IbLb1EEEEDaSP_SQ_EUlSP_E_NS1_11comp_targetILNS1_3genE2ELNS1_11target_archE906ELNS1_3gpuE6ELNS1_3repE0EEENS1_30default_config_static_selectorELNS0_4arch9wavefront6targetE1EEEvT1_,comdat
.Lfunc_end574:
	.size	_ZN7rocprim17ROCPRIM_400000_NS6detail17trampoline_kernelINS0_14default_configENS1_20scan_config_selectorIiEEZZNS1_9scan_implILNS1_25lookback_scan_determinismE0ELb0ELb0ES3_N6thrust23THRUST_200600_302600_NS6detail15normal_iteratorINS9_10device_ptrIiEEEESE_iNS9_4plusIiEEiEEDaPvRmT3_T4_T5_mT6_P12ihipStream_tbENKUlT_T0_E_clISt17integral_constantIbLb0EEST_IbLb1EEEEDaSP_SQ_EUlSP_E_NS1_11comp_targetILNS1_3genE2ELNS1_11target_archE906ELNS1_3gpuE6ELNS1_3repE0EEENS1_30default_config_static_selectorELNS0_4arch9wavefront6targetE1EEEvT1_, .Lfunc_end574-_ZN7rocprim17ROCPRIM_400000_NS6detail17trampoline_kernelINS0_14default_configENS1_20scan_config_selectorIiEEZZNS1_9scan_implILNS1_25lookback_scan_determinismE0ELb0ELb0ES3_N6thrust23THRUST_200600_302600_NS6detail15normal_iteratorINS9_10device_ptrIiEEEESE_iNS9_4plusIiEEiEEDaPvRmT3_T4_T5_mT6_P12ihipStream_tbENKUlT_T0_E_clISt17integral_constantIbLb0EEST_IbLb1EEEEDaSP_SQ_EUlSP_E_NS1_11comp_targetILNS1_3genE2ELNS1_11target_archE906ELNS1_3gpuE6ELNS1_3repE0EEENS1_30default_config_static_selectorELNS0_4arch9wavefront6targetE1EEEvT1_
                                        ; -- End function
	.section	.AMDGPU.csdata,"",@progbits
; Kernel info:
; codeLenInByte = 0
; NumSgprs: 4
; NumVgprs: 0
; NumAgprs: 0
; TotalNumVgprs: 0
; ScratchSize: 0
; MemoryBound: 0
; FloatMode: 240
; IeeeMode: 1
; LDSByteSize: 0 bytes/workgroup (compile time only)
; SGPRBlocks: 0
; VGPRBlocks: 0
; NumSGPRsForWavesPerEU: 4
; NumVGPRsForWavesPerEU: 1
; AccumOffset: 4
; Occupancy: 8
; WaveLimiterHint : 0
; COMPUTE_PGM_RSRC2:SCRATCH_EN: 0
; COMPUTE_PGM_RSRC2:USER_SGPR: 6
; COMPUTE_PGM_RSRC2:TRAP_HANDLER: 0
; COMPUTE_PGM_RSRC2:TGID_X_EN: 1
; COMPUTE_PGM_RSRC2:TGID_Y_EN: 0
; COMPUTE_PGM_RSRC2:TGID_Z_EN: 0
; COMPUTE_PGM_RSRC2:TIDIG_COMP_CNT: 0
; COMPUTE_PGM_RSRC3_GFX90A:ACCUM_OFFSET: 0
; COMPUTE_PGM_RSRC3_GFX90A:TG_SPLIT: 0
	.section	.text._ZN7rocprim17ROCPRIM_400000_NS6detail17trampoline_kernelINS0_14default_configENS1_20scan_config_selectorIiEEZZNS1_9scan_implILNS1_25lookback_scan_determinismE0ELb0ELb0ES3_N6thrust23THRUST_200600_302600_NS6detail15normal_iteratorINS9_10device_ptrIiEEEESE_iNS9_4plusIiEEiEEDaPvRmT3_T4_T5_mT6_P12ihipStream_tbENKUlT_T0_E_clISt17integral_constantIbLb0EEST_IbLb1EEEEDaSP_SQ_EUlSP_E_NS1_11comp_targetILNS1_3genE10ELNS1_11target_archE1201ELNS1_3gpuE5ELNS1_3repE0EEENS1_30default_config_static_selectorELNS0_4arch9wavefront6targetE1EEEvT1_,"axG",@progbits,_ZN7rocprim17ROCPRIM_400000_NS6detail17trampoline_kernelINS0_14default_configENS1_20scan_config_selectorIiEEZZNS1_9scan_implILNS1_25lookback_scan_determinismE0ELb0ELb0ES3_N6thrust23THRUST_200600_302600_NS6detail15normal_iteratorINS9_10device_ptrIiEEEESE_iNS9_4plusIiEEiEEDaPvRmT3_T4_T5_mT6_P12ihipStream_tbENKUlT_T0_E_clISt17integral_constantIbLb0EEST_IbLb1EEEEDaSP_SQ_EUlSP_E_NS1_11comp_targetILNS1_3genE10ELNS1_11target_archE1201ELNS1_3gpuE5ELNS1_3repE0EEENS1_30default_config_static_selectorELNS0_4arch9wavefront6targetE1EEEvT1_,comdat
	.protected	_ZN7rocprim17ROCPRIM_400000_NS6detail17trampoline_kernelINS0_14default_configENS1_20scan_config_selectorIiEEZZNS1_9scan_implILNS1_25lookback_scan_determinismE0ELb0ELb0ES3_N6thrust23THRUST_200600_302600_NS6detail15normal_iteratorINS9_10device_ptrIiEEEESE_iNS9_4plusIiEEiEEDaPvRmT3_T4_T5_mT6_P12ihipStream_tbENKUlT_T0_E_clISt17integral_constantIbLb0EEST_IbLb1EEEEDaSP_SQ_EUlSP_E_NS1_11comp_targetILNS1_3genE10ELNS1_11target_archE1201ELNS1_3gpuE5ELNS1_3repE0EEENS1_30default_config_static_selectorELNS0_4arch9wavefront6targetE1EEEvT1_ ; -- Begin function _ZN7rocprim17ROCPRIM_400000_NS6detail17trampoline_kernelINS0_14default_configENS1_20scan_config_selectorIiEEZZNS1_9scan_implILNS1_25lookback_scan_determinismE0ELb0ELb0ES3_N6thrust23THRUST_200600_302600_NS6detail15normal_iteratorINS9_10device_ptrIiEEEESE_iNS9_4plusIiEEiEEDaPvRmT3_T4_T5_mT6_P12ihipStream_tbENKUlT_T0_E_clISt17integral_constantIbLb0EEST_IbLb1EEEEDaSP_SQ_EUlSP_E_NS1_11comp_targetILNS1_3genE10ELNS1_11target_archE1201ELNS1_3gpuE5ELNS1_3repE0EEENS1_30default_config_static_selectorELNS0_4arch9wavefront6targetE1EEEvT1_
	.globl	_ZN7rocprim17ROCPRIM_400000_NS6detail17trampoline_kernelINS0_14default_configENS1_20scan_config_selectorIiEEZZNS1_9scan_implILNS1_25lookback_scan_determinismE0ELb0ELb0ES3_N6thrust23THRUST_200600_302600_NS6detail15normal_iteratorINS9_10device_ptrIiEEEESE_iNS9_4plusIiEEiEEDaPvRmT3_T4_T5_mT6_P12ihipStream_tbENKUlT_T0_E_clISt17integral_constantIbLb0EEST_IbLb1EEEEDaSP_SQ_EUlSP_E_NS1_11comp_targetILNS1_3genE10ELNS1_11target_archE1201ELNS1_3gpuE5ELNS1_3repE0EEENS1_30default_config_static_selectorELNS0_4arch9wavefront6targetE1EEEvT1_
	.p2align	8
	.type	_ZN7rocprim17ROCPRIM_400000_NS6detail17trampoline_kernelINS0_14default_configENS1_20scan_config_selectorIiEEZZNS1_9scan_implILNS1_25lookback_scan_determinismE0ELb0ELb0ES3_N6thrust23THRUST_200600_302600_NS6detail15normal_iteratorINS9_10device_ptrIiEEEESE_iNS9_4plusIiEEiEEDaPvRmT3_T4_T5_mT6_P12ihipStream_tbENKUlT_T0_E_clISt17integral_constantIbLb0EEST_IbLb1EEEEDaSP_SQ_EUlSP_E_NS1_11comp_targetILNS1_3genE10ELNS1_11target_archE1201ELNS1_3gpuE5ELNS1_3repE0EEENS1_30default_config_static_selectorELNS0_4arch9wavefront6targetE1EEEvT1_,@function
_ZN7rocprim17ROCPRIM_400000_NS6detail17trampoline_kernelINS0_14default_configENS1_20scan_config_selectorIiEEZZNS1_9scan_implILNS1_25lookback_scan_determinismE0ELb0ELb0ES3_N6thrust23THRUST_200600_302600_NS6detail15normal_iteratorINS9_10device_ptrIiEEEESE_iNS9_4plusIiEEiEEDaPvRmT3_T4_T5_mT6_P12ihipStream_tbENKUlT_T0_E_clISt17integral_constantIbLb0EEST_IbLb1EEEEDaSP_SQ_EUlSP_E_NS1_11comp_targetILNS1_3genE10ELNS1_11target_archE1201ELNS1_3gpuE5ELNS1_3repE0EEENS1_30default_config_static_selectorELNS0_4arch9wavefront6targetE1EEEvT1_: ; @_ZN7rocprim17ROCPRIM_400000_NS6detail17trampoline_kernelINS0_14default_configENS1_20scan_config_selectorIiEEZZNS1_9scan_implILNS1_25lookback_scan_determinismE0ELb0ELb0ES3_N6thrust23THRUST_200600_302600_NS6detail15normal_iteratorINS9_10device_ptrIiEEEESE_iNS9_4plusIiEEiEEDaPvRmT3_T4_T5_mT6_P12ihipStream_tbENKUlT_T0_E_clISt17integral_constantIbLb0EEST_IbLb1EEEEDaSP_SQ_EUlSP_E_NS1_11comp_targetILNS1_3genE10ELNS1_11target_archE1201ELNS1_3gpuE5ELNS1_3repE0EEENS1_30default_config_static_selectorELNS0_4arch9wavefront6targetE1EEEvT1_
; %bb.0:
	.section	.rodata,"a",@progbits
	.p2align	6, 0x0
	.amdhsa_kernel _ZN7rocprim17ROCPRIM_400000_NS6detail17trampoline_kernelINS0_14default_configENS1_20scan_config_selectorIiEEZZNS1_9scan_implILNS1_25lookback_scan_determinismE0ELb0ELb0ES3_N6thrust23THRUST_200600_302600_NS6detail15normal_iteratorINS9_10device_ptrIiEEEESE_iNS9_4plusIiEEiEEDaPvRmT3_T4_T5_mT6_P12ihipStream_tbENKUlT_T0_E_clISt17integral_constantIbLb0EEST_IbLb1EEEEDaSP_SQ_EUlSP_E_NS1_11comp_targetILNS1_3genE10ELNS1_11target_archE1201ELNS1_3gpuE5ELNS1_3repE0EEENS1_30default_config_static_selectorELNS0_4arch9wavefront6targetE1EEEvT1_
		.amdhsa_group_segment_fixed_size 0
		.amdhsa_private_segment_fixed_size 0
		.amdhsa_kernarg_size 96
		.amdhsa_user_sgpr_count 6
		.amdhsa_user_sgpr_private_segment_buffer 1
		.amdhsa_user_sgpr_dispatch_ptr 0
		.amdhsa_user_sgpr_queue_ptr 0
		.amdhsa_user_sgpr_kernarg_segment_ptr 1
		.amdhsa_user_sgpr_dispatch_id 0
		.amdhsa_user_sgpr_flat_scratch_init 0
		.amdhsa_user_sgpr_kernarg_preload_length 0
		.amdhsa_user_sgpr_kernarg_preload_offset 0
		.amdhsa_user_sgpr_private_segment_size 0
		.amdhsa_uses_dynamic_stack 0
		.amdhsa_system_sgpr_private_segment_wavefront_offset 0
		.amdhsa_system_sgpr_workgroup_id_x 1
		.amdhsa_system_sgpr_workgroup_id_y 0
		.amdhsa_system_sgpr_workgroup_id_z 0
		.amdhsa_system_sgpr_workgroup_info 0
		.amdhsa_system_vgpr_workitem_id 0
		.amdhsa_next_free_vgpr 1
		.amdhsa_next_free_sgpr 0
		.amdhsa_accum_offset 4
		.amdhsa_reserve_vcc 0
		.amdhsa_reserve_flat_scratch 0
		.amdhsa_float_round_mode_32 0
		.amdhsa_float_round_mode_16_64 0
		.amdhsa_float_denorm_mode_32 3
		.amdhsa_float_denorm_mode_16_64 3
		.amdhsa_dx10_clamp 1
		.amdhsa_ieee_mode 1
		.amdhsa_fp16_overflow 0
		.amdhsa_tg_split 0
		.amdhsa_exception_fp_ieee_invalid_op 0
		.amdhsa_exception_fp_denorm_src 0
		.amdhsa_exception_fp_ieee_div_zero 0
		.amdhsa_exception_fp_ieee_overflow 0
		.amdhsa_exception_fp_ieee_underflow 0
		.amdhsa_exception_fp_ieee_inexact 0
		.amdhsa_exception_int_div_zero 0
	.end_amdhsa_kernel
	.section	.text._ZN7rocprim17ROCPRIM_400000_NS6detail17trampoline_kernelINS0_14default_configENS1_20scan_config_selectorIiEEZZNS1_9scan_implILNS1_25lookback_scan_determinismE0ELb0ELb0ES3_N6thrust23THRUST_200600_302600_NS6detail15normal_iteratorINS9_10device_ptrIiEEEESE_iNS9_4plusIiEEiEEDaPvRmT3_T4_T5_mT6_P12ihipStream_tbENKUlT_T0_E_clISt17integral_constantIbLb0EEST_IbLb1EEEEDaSP_SQ_EUlSP_E_NS1_11comp_targetILNS1_3genE10ELNS1_11target_archE1201ELNS1_3gpuE5ELNS1_3repE0EEENS1_30default_config_static_selectorELNS0_4arch9wavefront6targetE1EEEvT1_,"axG",@progbits,_ZN7rocprim17ROCPRIM_400000_NS6detail17trampoline_kernelINS0_14default_configENS1_20scan_config_selectorIiEEZZNS1_9scan_implILNS1_25lookback_scan_determinismE0ELb0ELb0ES3_N6thrust23THRUST_200600_302600_NS6detail15normal_iteratorINS9_10device_ptrIiEEEESE_iNS9_4plusIiEEiEEDaPvRmT3_T4_T5_mT6_P12ihipStream_tbENKUlT_T0_E_clISt17integral_constantIbLb0EEST_IbLb1EEEEDaSP_SQ_EUlSP_E_NS1_11comp_targetILNS1_3genE10ELNS1_11target_archE1201ELNS1_3gpuE5ELNS1_3repE0EEENS1_30default_config_static_selectorELNS0_4arch9wavefront6targetE1EEEvT1_,comdat
.Lfunc_end575:
	.size	_ZN7rocprim17ROCPRIM_400000_NS6detail17trampoline_kernelINS0_14default_configENS1_20scan_config_selectorIiEEZZNS1_9scan_implILNS1_25lookback_scan_determinismE0ELb0ELb0ES3_N6thrust23THRUST_200600_302600_NS6detail15normal_iteratorINS9_10device_ptrIiEEEESE_iNS9_4plusIiEEiEEDaPvRmT3_T4_T5_mT6_P12ihipStream_tbENKUlT_T0_E_clISt17integral_constantIbLb0EEST_IbLb1EEEEDaSP_SQ_EUlSP_E_NS1_11comp_targetILNS1_3genE10ELNS1_11target_archE1201ELNS1_3gpuE5ELNS1_3repE0EEENS1_30default_config_static_selectorELNS0_4arch9wavefront6targetE1EEEvT1_, .Lfunc_end575-_ZN7rocprim17ROCPRIM_400000_NS6detail17trampoline_kernelINS0_14default_configENS1_20scan_config_selectorIiEEZZNS1_9scan_implILNS1_25lookback_scan_determinismE0ELb0ELb0ES3_N6thrust23THRUST_200600_302600_NS6detail15normal_iteratorINS9_10device_ptrIiEEEESE_iNS9_4plusIiEEiEEDaPvRmT3_T4_T5_mT6_P12ihipStream_tbENKUlT_T0_E_clISt17integral_constantIbLb0EEST_IbLb1EEEEDaSP_SQ_EUlSP_E_NS1_11comp_targetILNS1_3genE10ELNS1_11target_archE1201ELNS1_3gpuE5ELNS1_3repE0EEENS1_30default_config_static_selectorELNS0_4arch9wavefront6targetE1EEEvT1_
                                        ; -- End function
	.section	.AMDGPU.csdata,"",@progbits
; Kernel info:
; codeLenInByte = 0
; NumSgprs: 4
; NumVgprs: 0
; NumAgprs: 0
; TotalNumVgprs: 0
; ScratchSize: 0
; MemoryBound: 0
; FloatMode: 240
; IeeeMode: 1
; LDSByteSize: 0 bytes/workgroup (compile time only)
; SGPRBlocks: 0
; VGPRBlocks: 0
; NumSGPRsForWavesPerEU: 4
; NumVGPRsForWavesPerEU: 1
; AccumOffset: 4
; Occupancy: 8
; WaveLimiterHint : 0
; COMPUTE_PGM_RSRC2:SCRATCH_EN: 0
; COMPUTE_PGM_RSRC2:USER_SGPR: 6
; COMPUTE_PGM_RSRC2:TRAP_HANDLER: 0
; COMPUTE_PGM_RSRC2:TGID_X_EN: 1
; COMPUTE_PGM_RSRC2:TGID_Y_EN: 0
; COMPUTE_PGM_RSRC2:TGID_Z_EN: 0
; COMPUTE_PGM_RSRC2:TIDIG_COMP_CNT: 0
; COMPUTE_PGM_RSRC3_GFX90A:ACCUM_OFFSET: 0
; COMPUTE_PGM_RSRC3_GFX90A:TG_SPLIT: 0
	.section	.text._ZN7rocprim17ROCPRIM_400000_NS6detail17trampoline_kernelINS0_14default_configENS1_20scan_config_selectorIiEEZZNS1_9scan_implILNS1_25lookback_scan_determinismE0ELb0ELb0ES3_N6thrust23THRUST_200600_302600_NS6detail15normal_iteratorINS9_10device_ptrIiEEEESE_iNS9_4plusIiEEiEEDaPvRmT3_T4_T5_mT6_P12ihipStream_tbENKUlT_T0_E_clISt17integral_constantIbLb0EEST_IbLb1EEEEDaSP_SQ_EUlSP_E_NS1_11comp_targetILNS1_3genE10ELNS1_11target_archE1200ELNS1_3gpuE4ELNS1_3repE0EEENS1_30default_config_static_selectorELNS0_4arch9wavefront6targetE1EEEvT1_,"axG",@progbits,_ZN7rocprim17ROCPRIM_400000_NS6detail17trampoline_kernelINS0_14default_configENS1_20scan_config_selectorIiEEZZNS1_9scan_implILNS1_25lookback_scan_determinismE0ELb0ELb0ES3_N6thrust23THRUST_200600_302600_NS6detail15normal_iteratorINS9_10device_ptrIiEEEESE_iNS9_4plusIiEEiEEDaPvRmT3_T4_T5_mT6_P12ihipStream_tbENKUlT_T0_E_clISt17integral_constantIbLb0EEST_IbLb1EEEEDaSP_SQ_EUlSP_E_NS1_11comp_targetILNS1_3genE10ELNS1_11target_archE1200ELNS1_3gpuE4ELNS1_3repE0EEENS1_30default_config_static_selectorELNS0_4arch9wavefront6targetE1EEEvT1_,comdat
	.protected	_ZN7rocprim17ROCPRIM_400000_NS6detail17trampoline_kernelINS0_14default_configENS1_20scan_config_selectorIiEEZZNS1_9scan_implILNS1_25lookback_scan_determinismE0ELb0ELb0ES3_N6thrust23THRUST_200600_302600_NS6detail15normal_iteratorINS9_10device_ptrIiEEEESE_iNS9_4plusIiEEiEEDaPvRmT3_T4_T5_mT6_P12ihipStream_tbENKUlT_T0_E_clISt17integral_constantIbLb0EEST_IbLb1EEEEDaSP_SQ_EUlSP_E_NS1_11comp_targetILNS1_3genE10ELNS1_11target_archE1200ELNS1_3gpuE4ELNS1_3repE0EEENS1_30default_config_static_selectorELNS0_4arch9wavefront6targetE1EEEvT1_ ; -- Begin function _ZN7rocprim17ROCPRIM_400000_NS6detail17trampoline_kernelINS0_14default_configENS1_20scan_config_selectorIiEEZZNS1_9scan_implILNS1_25lookback_scan_determinismE0ELb0ELb0ES3_N6thrust23THRUST_200600_302600_NS6detail15normal_iteratorINS9_10device_ptrIiEEEESE_iNS9_4plusIiEEiEEDaPvRmT3_T4_T5_mT6_P12ihipStream_tbENKUlT_T0_E_clISt17integral_constantIbLb0EEST_IbLb1EEEEDaSP_SQ_EUlSP_E_NS1_11comp_targetILNS1_3genE10ELNS1_11target_archE1200ELNS1_3gpuE4ELNS1_3repE0EEENS1_30default_config_static_selectorELNS0_4arch9wavefront6targetE1EEEvT1_
	.globl	_ZN7rocprim17ROCPRIM_400000_NS6detail17trampoline_kernelINS0_14default_configENS1_20scan_config_selectorIiEEZZNS1_9scan_implILNS1_25lookback_scan_determinismE0ELb0ELb0ES3_N6thrust23THRUST_200600_302600_NS6detail15normal_iteratorINS9_10device_ptrIiEEEESE_iNS9_4plusIiEEiEEDaPvRmT3_T4_T5_mT6_P12ihipStream_tbENKUlT_T0_E_clISt17integral_constantIbLb0EEST_IbLb1EEEEDaSP_SQ_EUlSP_E_NS1_11comp_targetILNS1_3genE10ELNS1_11target_archE1200ELNS1_3gpuE4ELNS1_3repE0EEENS1_30default_config_static_selectorELNS0_4arch9wavefront6targetE1EEEvT1_
	.p2align	8
	.type	_ZN7rocprim17ROCPRIM_400000_NS6detail17trampoline_kernelINS0_14default_configENS1_20scan_config_selectorIiEEZZNS1_9scan_implILNS1_25lookback_scan_determinismE0ELb0ELb0ES3_N6thrust23THRUST_200600_302600_NS6detail15normal_iteratorINS9_10device_ptrIiEEEESE_iNS9_4plusIiEEiEEDaPvRmT3_T4_T5_mT6_P12ihipStream_tbENKUlT_T0_E_clISt17integral_constantIbLb0EEST_IbLb1EEEEDaSP_SQ_EUlSP_E_NS1_11comp_targetILNS1_3genE10ELNS1_11target_archE1200ELNS1_3gpuE4ELNS1_3repE0EEENS1_30default_config_static_selectorELNS0_4arch9wavefront6targetE1EEEvT1_,@function
_ZN7rocprim17ROCPRIM_400000_NS6detail17trampoline_kernelINS0_14default_configENS1_20scan_config_selectorIiEEZZNS1_9scan_implILNS1_25lookback_scan_determinismE0ELb0ELb0ES3_N6thrust23THRUST_200600_302600_NS6detail15normal_iteratorINS9_10device_ptrIiEEEESE_iNS9_4plusIiEEiEEDaPvRmT3_T4_T5_mT6_P12ihipStream_tbENKUlT_T0_E_clISt17integral_constantIbLb0EEST_IbLb1EEEEDaSP_SQ_EUlSP_E_NS1_11comp_targetILNS1_3genE10ELNS1_11target_archE1200ELNS1_3gpuE4ELNS1_3repE0EEENS1_30default_config_static_selectorELNS0_4arch9wavefront6targetE1EEEvT1_: ; @_ZN7rocprim17ROCPRIM_400000_NS6detail17trampoline_kernelINS0_14default_configENS1_20scan_config_selectorIiEEZZNS1_9scan_implILNS1_25lookback_scan_determinismE0ELb0ELb0ES3_N6thrust23THRUST_200600_302600_NS6detail15normal_iteratorINS9_10device_ptrIiEEEESE_iNS9_4plusIiEEiEEDaPvRmT3_T4_T5_mT6_P12ihipStream_tbENKUlT_T0_E_clISt17integral_constantIbLb0EEST_IbLb1EEEEDaSP_SQ_EUlSP_E_NS1_11comp_targetILNS1_3genE10ELNS1_11target_archE1200ELNS1_3gpuE4ELNS1_3repE0EEENS1_30default_config_static_selectorELNS0_4arch9wavefront6targetE1EEEvT1_
; %bb.0:
	.section	.rodata,"a",@progbits
	.p2align	6, 0x0
	.amdhsa_kernel _ZN7rocprim17ROCPRIM_400000_NS6detail17trampoline_kernelINS0_14default_configENS1_20scan_config_selectorIiEEZZNS1_9scan_implILNS1_25lookback_scan_determinismE0ELb0ELb0ES3_N6thrust23THRUST_200600_302600_NS6detail15normal_iteratorINS9_10device_ptrIiEEEESE_iNS9_4plusIiEEiEEDaPvRmT3_T4_T5_mT6_P12ihipStream_tbENKUlT_T0_E_clISt17integral_constantIbLb0EEST_IbLb1EEEEDaSP_SQ_EUlSP_E_NS1_11comp_targetILNS1_3genE10ELNS1_11target_archE1200ELNS1_3gpuE4ELNS1_3repE0EEENS1_30default_config_static_selectorELNS0_4arch9wavefront6targetE1EEEvT1_
		.amdhsa_group_segment_fixed_size 0
		.amdhsa_private_segment_fixed_size 0
		.amdhsa_kernarg_size 96
		.amdhsa_user_sgpr_count 6
		.amdhsa_user_sgpr_private_segment_buffer 1
		.amdhsa_user_sgpr_dispatch_ptr 0
		.amdhsa_user_sgpr_queue_ptr 0
		.amdhsa_user_sgpr_kernarg_segment_ptr 1
		.amdhsa_user_sgpr_dispatch_id 0
		.amdhsa_user_sgpr_flat_scratch_init 0
		.amdhsa_user_sgpr_kernarg_preload_length 0
		.amdhsa_user_sgpr_kernarg_preload_offset 0
		.amdhsa_user_sgpr_private_segment_size 0
		.amdhsa_uses_dynamic_stack 0
		.amdhsa_system_sgpr_private_segment_wavefront_offset 0
		.amdhsa_system_sgpr_workgroup_id_x 1
		.amdhsa_system_sgpr_workgroup_id_y 0
		.amdhsa_system_sgpr_workgroup_id_z 0
		.amdhsa_system_sgpr_workgroup_info 0
		.amdhsa_system_vgpr_workitem_id 0
		.amdhsa_next_free_vgpr 1
		.amdhsa_next_free_sgpr 0
		.amdhsa_accum_offset 4
		.amdhsa_reserve_vcc 0
		.amdhsa_reserve_flat_scratch 0
		.amdhsa_float_round_mode_32 0
		.amdhsa_float_round_mode_16_64 0
		.amdhsa_float_denorm_mode_32 3
		.amdhsa_float_denorm_mode_16_64 3
		.amdhsa_dx10_clamp 1
		.amdhsa_ieee_mode 1
		.amdhsa_fp16_overflow 0
		.amdhsa_tg_split 0
		.amdhsa_exception_fp_ieee_invalid_op 0
		.amdhsa_exception_fp_denorm_src 0
		.amdhsa_exception_fp_ieee_div_zero 0
		.amdhsa_exception_fp_ieee_overflow 0
		.amdhsa_exception_fp_ieee_underflow 0
		.amdhsa_exception_fp_ieee_inexact 0
		.amdhsa_exception_int_div_zero 0
	.end_amdhsa_kernel
	.section	.text._ZN7rocprim17ROCPRIM_400000_NS6detail17trampoline_kernelINS0_14default_configENS1_20scan_config_selectorIiEEZZNS1_9scan_implILNS1_25lookback_scan_determinismE0ELb0ELb0ES3_N6thrust23THRUST_200600_302600_NS6detail15normal_iteratorINS9_10device_ptrIiEEEESE_iNS9_4plusIiEEiEEDaPvRmT3_T4_T5_mT6_P12ihipStream_tbENKUlT_T0_E_clISt17integral_constantIbLb0EEST_IbLb1EEEEDaSP_SQ_EUlSP_E_NS1_11comp_targetILNS1_3genE10ELNS1_11target_archE1200ELNS1_3gpuE4ELNS1_3repE0EEENS1_30default_config_static_selectorELNS0_4arch9wavefront6targetE1EEEvT1_,"axG",@progbits,_ZN7rocprim17ROCPRIM_400000_NS6detail17trampoline_kernelINS0_14default_configENS1_20scan_config_selectorIiEEZZNS1_9scan_implILNS1_25lookback_scan_determinismE0ELb0ELb0ES3_N6thrust23THRUST_200600_302600_NS6detail15normal_iteratorINS9_10device_ptrIiEEEESE_iNS9_4plusIiEEiEEDaPvRmT3_T4_T5_mT6_P12ihipStream_tbENKUlT_T0_E_clISt17integral_constantIbLb0EEST_IbLb1EEEEDaSP_SQ_EUlSP_E_NS1_11comp_targetILNS1_3genE10ELNS1_11target_archE1200ELNS1_3gpuE4ELNS1_3repE0EEENS1_30default_config_static_selectorELNS0_4arch9wavefront6targetE1EEEvT1_,comdat
.Lfunc_end576:
	.size	_ZN7rocprim17ROCPRIM_400000_NS6detail17trampoline_kernelINS0_14default_configENS1_20scan_config_selectorIiEEZZNS1_9scan_implILNS1_25lookback_scan_determinismE0ELb0ELb0ES3_N6thrust23THRUST_200600_302600_NS6detail15normal_iteratorINS9_10device_ptrIiEEEESE_iNS9_4plusIiEEiEEDaPvRmT3_T4_T5_mT6_P12ihipStream_tbENKUlT_T0_E_clISt17integral_constantIbLb0EEST_IbLb1EEEEDaSP_SQ_EUlSP_E_NS1_11comp_targetILNS1_3genE10ELNS1_11target_archE1200ELNS1_3gpuE4ELNS1_3repE0EEENS1_30default_config_static_selectorELNS0_4arch9wavefront6targetE1EEEvT1_, .Lfunc_end576-_ZN7rocprim17ROCPRIM_400000_NS6detail17trampoline_kernelINS0_14default_configENS1_20scan_config_selectorIiEEZZNS1_9scan_implILNS1_25lookback_scan_determinismE0ELb0ELb0ES3_N6thrust23THRUST_200600_302600_NS6detail15normal_iteratorINS9_10device_ptrIiEEEESE_iNS9_4plusIiEEiEEDaPvRmT3_T4_T5_mT6_P12ihipStream_tbENKUlT_T0_E_clISt17integral_constantIbLb0EEST_IbLb1EEEEDaSP_SQ_EUlSP_E_NS1_11comp_targetILNS1_3genE10ELNS1_11target_archE1200ELNS1_3gpuE4ELNS1_3repE0EEENS1_30default_config_static_selectorELNS0_4arch9wavefront6targetE1EEEvT1_
                                        ; -- End function
	.section	.AMDGPU.csdata,"",@progbits
; Kernel info:
; codeLenInByte = 0
; NumSgprs: 4
; NumVgprs: 0
; NumAgprs: 0
; TotalNumVgprs: 0
; ScratchSize: 0
; MemoryBound: 0
; FloatMode: 240
; IeeeMode: 1
; LDSByteSize: 0 bytes/workgroup (compile time only)
; SGPRBlocks: 0
; VGPRBlocks: 0
; NumSGPRsForWavesPerEU: 4
; NumVGPRsForWavesPerEU: 1
; AccumOffset: 4
; Occupancy: 8
; WaveLimiterHint : 0
; COMPUTE_PGM_RSRC2:SCRATCH_EN: 0
; COMPUTE_PGM_RSRC2:USER_SGPR: 6
; COMPUTE_PGM_RSRC2:TRAP_HANDLER: 0
; COMPUTE_PGM_RSRC2:TGID_X_EN: 1
; COMPUTE_PGM_RSRC2:TGID_Y_EN: 0
; COMPUTE_PGM_RSRC2:TGID_Z_EN: 0
; COMPUTE_PGM_RSRC2:TIDIG_COMP_CNT: 0
; COMPUTE_PGM_RSRC3_GFX90A:ACCUM_OFFSET: 0
; COMPUTE_PGM_RSRC3_GFX90A:TG_SPLIT: 0
	.section	.text._ZN7rocprim17ROCPRIM_400000_NS6detail17trampoline_kernelINS0_14default_configENS1_20scan_config_selectorIiEEZZNS1_9scan_implILNS1_25lookback_scan_determinismE0ELb0ELb0ES3_N6thrust23THRUST_200600_302600_NS6detail15normal_iteratorINS9_10device_ptrIiEEEESE_iNS9_4plusIiEEiEEDaPvRmT3_T4_T5_mT6_P12ihipStream_tbENKUlT_T0_E_clISt17integral_constantIbLb0EEST_IbLb1EEEEDaSP_SQ_EUlSP_E_NS1_11comp_targetILNS1_3genE9ELNS1_11target_archE1100ELNS1_3gpuE3ELNS1_3repE0EEENS1_30default_config_static_selectorELNS0_4arch9wavefront6targetE1EEEvT1_,"axG",@progbits,_ZN7rocprim17ROCPRIM_400000_NS6detail17trampoline_kernelINS0_14default_configENS1_20scan_config_selectorIiEEZZNS1_9scan_implILNS1_25lookback_scan_determinismE0ELb0ELb0ES3_N6thrust23THRUST_200600_302600_NS6detail15normal_iteratorINS9_10device_ptrIiEEEESE_iNS9_4plusIiEEiEEDaPvRmT3_T4_T5_mT6_P12ihipStream_tbENKUlT_T0_E_clISt17integral_constantIbLb0EEST_IbLb1EEEEDaSP_SQ_EUlSP_E_NS1_11comp_targetILNS1_3genE9ELNS1_11target_archE1100ELNS1_3gpuE3ELNS1_3repE0EEENS1_30default_config_static_selectorELNS0_4arch9wavefront6targetE1EEEvT1_,comdat
	.protected	_ZN7rocprim17ROCPRIM_400000_NS6detail17trampoline_kernelINS0_14default_configENS1_20scan_config_selectorIiEEZZNS1_9scan_implILNS1_25lookback_scan_determinismE0ELb0ELb0ES3_N6thrust23THRUST_200600_302600_NS6detail15normal_iteratorINS9_10device_ptrIiEEEESE_iNS9_4plusIiEEiEEDaPvRmT3_T4_T5_mT6_P12ihipStream_tbENKUlT_T0_E_clISt17integral_constantIbLb0EEST_IbLb1EEEEDaSP_SQ_EUlSP_E_NS1_11comp_targetILNS1_3genE9ELNS1_11target_archE1100ELNS1_3gpuE3ELNS1_3repE0EEENS1_30default_config_static_selectorELNS0_4arch9wavefront6targetE1EEEvT1_ ; -- Begin function _ZN7rocprim17ROCPRIM_400000_NS6detail17trampoline_kernelINS0_14default_configENS1_20scan_config_selectorIiEEZZNS1_9scan_implILNS1_25lookback_scan_determinismE0ELb0ELb0ES3_N6thrust23THRUST_200600_302600_NS6detail15normal_iteratorINS9_10device_ptrIiEEEESE_iNS9_4plusIiEEiEEDaPvRmT3_T4_T5_mT6_P12ihipStream_tbENKUlT_T0_E_clISt17integral_constantIbLb0EEST_IbLb1EEEEDaSP_SQ_EUlSP_E_NS1_11comp_targetILNS1_3genE9ELNS1_11target_archE1100ELNS1_3gpuE3ELNS1_3repE0EEENS1_30default_config_static_selectorELNS0_4arch9wavefront6targetE1EEEvT1_
	.globl	_ZN7rocprim17ROCPRIM_400000_NS6detail17trampoline_kernelINS0_14default_configENS1_20scan_config_selectorIiEEZZNS1_9scan_implILNS1_25lookback_scan_determinismE0ELb0ELb0ES3_N6thrust23THRUST_200600_302600_NS6detail15normal_iteratorINS9_10device_ptrIiEEEESE_iNS9_4plusIiEEiEEDaPvRmT3_T4_T5_mT6_P12ihipStream_tbENKUlT_T0_E_clISt17integral_constantIbLb0EEST_IbLb1EEEEDaSP_SQ_EUlSP_E_NS1_11comp_targetILNS1_3genE9ELNS1_11target_archE1100ELNS1_3gpuE3ELNS1_3repE0EEENS1_30default_config_static_selectorELNS0_4arch9wavefront6targetE1EEEvT1_
	.p2align	8
	.type	_ZN7rocprim17ROCPRIM_400000_NS6detail17trampoline_kernelINS0_14default_configENS1_20scan_config_selectorIiEEZZNS1_9scan_implILNS1_25lookback_scan_determinismE0ELb0ELb0ES3_N6thrust23THRUST_200600_302600_NS6detail15normal_iteratorINS9_10device_ptrIiEEEESE_iNS9_4plusIiEEiEEDaPvRmT3_T4_T5_mT6_P12ihipStream_tbENKUlT_T0_E_clISt17integral_constantIbLb0EEST_IbLb1EEEEDaSP_SQ_EUlSP_E_NS1_11comp_targetILNS1_3genE9ELNS1_11target_archE1100ELNS1_3gpuE3ELNS1_3repE0EEENS1_30default_config_static_selectorELNS0_4arch9wavefront6targetE1EEEvT1_,@function
_ZN7rocprim17ROCPRIM_400000_NS6detail17trampoline_kernelINS0_14default_configENS1_20scan_config_selectorIiEEZZNS1_9scan_implILNS1_25lookback_scan_determinismE0ELb0ELb0ES3_N6thrust23THRUST_200600_302600_NS6detail15normal_iteratorINS9_10device_ptrIiEEEESE_iNS9_4plusIiEEiEEDaPvRmT3_T4_T5_mT6_P12ihipStream_tbENKUlT_T0_E_clISt17integral_constantIbLb0EEST_IbLb1EEEEDaSP_SQ_EUlSP_E_NS1_11comp_targetILNS1_3genE9ELNS1_11target_archE1100ELNS1_3gpuE3ELNS1_3repE0EEENS1_30default_config_static_selectorELNS0_4arch9wavefront6targetE1EEEvT1_: ; @_ZN7rocprim17ROCPRIM_400000_NS6detail17trampoline_kernelINS0_14default_configENS1_20scan_config_selectorIiEEZZNS1_9scan_implILNS1_25lookback_scan_determinismE0ELb0ELb0ES3_N6thrust23THRUST_200600_302600_NS6detail15normal_iteratorINS9_10device_ptrIiEEEESE_iNS9_4plusIiEEiEEDaPvRmT3_T4_T5_mT6_P12ihipStream_tbENKUlT_T0_E_clISt17integral_constantIbLb0EEST_IbLb1EEEEDaSP_SQ_EUlSP_E_NS1_11comp_targetILNS1_3genE9ELNS1_11target_archE1100ELNS1_3gpuE3ELNS1_3repE0EEENS1_30default_config_static_selectorELNS0_4arch9wavefront6targetE1EEEvT1_
; %bb.0:
	.section	.rodata,"a",@progbits
	.p2align	6, 0x0
	.amdhsa_kernel _ZN7rocprim17ROCPRIM_400000_NS6detail17trampoline_kernelINS0_14default_configENS1_20scan_config_selectorIiEEZZNS1_9scan_implILNS1_25lookback_scan_determinismE0ELb0ELb0ES3_N6thrust23THRUST_200600_302600_NS6detail15normal_iteratorINS9_10device_ptrIiEEEESE_iNS9_4plusIiEEiEEDaPvRmT3_T4_T5_mT6_P12ihipStream_tbENKUlT_T0_E_clISt17integral_constantIbLb0EEST_IbLb1EEEEDaSP_SQ_EUlSP_E_NS1_11comp_targetILNS1_3genE9ELNS1_11target_archE1100ELNS1_3gpuE3ELNS1_3repE0EEENS1_30default_config_static_selectorELNS0_4arch9wavefront6targetE1EEEvT1_
		.amdhsa_group_segment_fixed_size 0
		.amdhsa_private_segment_fixed_size 0
		.amdhsa_kernarg_size 96
		.amdhsa_user_sgpr_count 6
		.amdhsa_user_sgpr_private_segment_buffer 1
		.amdhsa_user_sgpr_dispatch_ptr 0
		.amdhsa_user_sgpr_queue_ptr 0
		.amdhsa_user_sgpr_kernarg_segment_ptr 1
		.amdhsa_user_sgpr_dispatch_id 0
		.amdhsa_user_sgpr_flat_scratch_init 0
		.amdhsa_user_sgpr_kernarg_preload_length 0
		.amdhsa_user_sgpr_kernarg_preload_offset 0
		.amdhsa_user_sgpr_private_segment_size 0
		.amdhsa_uses_dynamic_stack 0
		.amdhsa_system_sgpr_private_segment_wavefront_offset 0
		.amdhsa_system_sgpr_workgroup_id_x 1
		.amdhsa_system_sgpr_workgroup_id_y 0
		.amdhsa_system_sgpr_workgroup_id_z 0
		.amdhsa_system_sgpr_workgroup_info 0
		.amdhsa_system_vgpr_workitem_id 0
		.amdhsa_next_free_vgpr 1
		.amdhsa_next_free_sgpr 0
		.amdhsa_accum_offset 4
		.amdhsa_reserve_vcc 0
		.amdhsa_reserve_flat_scratch 0
		.amdhsa_float_round_mode_32 0
		.amdhsa_float_round_mode_16_64 0
		.amdhsa_float_denorm_mode_32 3
		.amdhsa_float_denorm_mode_16_64 3
		.amdhsa_dx10_clamp 1
		.amdhsa_ieee_mode 1
		.amdhsa_fp16_overflow 0
		.amdhsa_tg_split 0
		.amdhsa_exception_fp_ieee_invalid_op 0
		.amdhsa_exception_fp_denorm_src 0
		.amdhsa_exception_fp_ieee_div_zero 0
		.amdhsa_exception_fp_ieee_overflow 0
		.amdhsa_exception_fp_ieee_underflow 0
		.amdhsa_exception_fp_ieee_inexact 0
		.amdhsa_exception_int_div_zero 0
	.end_amdhsa_kernel
	.section	.text._ZN7rocprim17ROCPRIM_400000_NS6detail17trampoline_kernelINS0_14default_configENS1_20scan_config_selectorIiEEZZNS1_9scan_implILNS1_25lookback_scan_determinismE0ELb0ELb0ES3_N6thrust23THRUST_200600_302600_NS6detail15normal_iteratorINS9_10device_ptrIiEEEESE_iNS9_4plusIiEEiEEDaPvRmT3_T4_T5_mT6_P12ihipStream_tbENKUlT_T0_E_clISt17integral_constantIbLb0EEST_IbLb1EEEEDaSP_SQ_EUlSP_E_NS1_11comp_targetILNS1_3genE9ELNS1_11target_archE1100ELNS1_3gpuE3ELNS1_3repE0EEENS1_30default_config_static_selectorELNS0_4arch9wavefront6targetE1EEEvT1_,"axG",@progbits,_ZN7rocprim17ROCPRIM_400000_NS6detail17trampoline_kernelINS0_14default_configENS1_20scan_config_selectorIiEEZZNS1_9scan_implILNS1_25lookback_scan_determinismE0ELb0ELb0ES3_N6thrust23THRUST_200600_302600_NS6detail15normal_iteratorINS9_10device_ptrIiEEEESE_iNS9_4plusIiEEiEEDaPvRmT3_T4_T5_mT6_P12ihipStream_tbENKUlT_T0_E_clISt17integral_constantIbLb0EEST_IbLb1EEEEDaSP_SQ_EUlSP_E_NS1_11comp_targetILNS1_3genE9ELNS1_11target_archE1100ELNS1_3gpuE3ELNS1_3repE0EEENS1_30default_config_static_selectorELNS0_4arch9wavefront6targetE1EEEvT1_,comdat
.Lfunc_end577:
	.size	_ZN7rocprim17ROCPRIM_400000_NS6detail17trampoline_kernelINS0_14default_configENS1_20scan_config_selectorIiEEZZNS1_9scan_implILNS1_25lookback_scan_determinismE0ELb0ELb0ES3_N6thrust23THRUST_200600_302600_NS6detail15normal_iteratorINS9_10device_ptrIiEEEESE_iNS9_4plusIiEEiEEDaPvRmT3_T4_T5_mT6_P12ihipStream_tbENKUlT_T0_E_clISt17integral_constantIbLb0EEST_IbLb1EEEEDaSP_SQ_EUlSP_E_NS1_11comp_targetILNS1_3genE9ELNS1_11target_archE1100ELNS1_3gpuE3ELNS1_3repE0EEENS1_30default_config_static_selectorELNS0_4arch9wavefront6targetE1EEEvT1_, .Lfunc_end577-_ZN7rocprim17ROCPRIM_400000_NS6detail17trampoline_kernelINS0_14default_configENS1_20scan_config_selectorIiEEZZNS1_9scan_implILNS1_25lookback_scan_determinismE0ELb0ELb0ES3_N6thrust23THRUST_200600_302600_NS6detail15normal_iteratorINS9_10device_ptrIiEEEESE_iNS9_4plusIiEEiEEDaPvRmT3_T4_T5_mT6_P12ihipStream_tbENKUlT_T0_E_clISt17integral_constantIbLb0EEST_IbLb1EEEEDaSP_SQ_EUlSP_E_NS1_11comp_targetILNS1_3genE9ELNS1_11target_archE1100ELNS1_3gpuE3ELNS1_3repE0EEENS1_30default_config_static_selectorELNS0_4arch9wavefront6targetE1EEEvT1_
                                        ; -- End function
	.section	.AMDGPU.csdata,"",@progbits
; Kernel info:
; codeLenInByte = 0
; NumSgprs: 4
; NumVgprs: 0
; NumAgprs: 0
; TotalNumVgprs: 0
; ScratchSize: 0
; MemoryBound: 0
; FloatMode: 240
; IeeeMode: 1
; LDSByteSize: 0 bytes/workgroup (compile time only)
; SGPRBlocks: 0
; VGPRBlocks: 0
; NumSGPRsForWavesPerEU: 4
; NumVGPRsForWavesPerEU: 1
; AccumOffset: 4
; Occupancy: 8
; WaveLimiterHint : 0
; COMPUTE_PGM_RSRC2:SCRATCH_EN: 0
; COMPUTE_PGM_RSRC2:USER_SGPR: 6
; COMPUTE_PGM_RSRC2:TRAP_HANDLER: 0
; COMPUTE_PGM_RSRC2:TGID_X_EN: 1
; COMPUTE_PGM_RSRC2:TGID_Y_EN: 0
; COMPUTE_PGM_RSRC2:TGID_Z_EN: 0
; COMPUTE_PGM_RSRC2:TIDIG_COMP_CNT: 0
; COMPUTE_PGM_RSRC3_GFX90A:ACCUM_OFFSET: 0
; COMPUTE_PGM_RSRC3_GFX90A:TG_SPLIT: 0
	.section	.text._ZN7rocprim17ROCPRIM_400000_NS6detail17trampoline_kernelINS0_14default_configENS1_20scan_config_selectorIiEEZZNS1_9scan_implILNS1_25lookback_scan_determinismE0ELb0ELb0ES3_N6thrust23THRUST_200600_302600_NS6detail15normal_iteratorINS9_10device_ptrIiEEEESE_iNS9_4plusIiEEiEEDaPvRmT3_T4_T5_mT6_P12ihipStream_tbENKUlT_T0_E_clISt17integral_constantIbLb0EEST_IbLb1EEEEDaSP_SQ_EUlSP_E_NS1_11comp_targetILNS1_3genE8ELNS1_11target_archE1030ELNS1_3gpuE2ELNS1_3repE0EEENS1_30default_config_static_selectorELNS0_4arch9wavefront6targetE1EEEvT1_,"axG",@progbits,_ZN7rocprim17ROCPRIM_400000_NS6detail17trampoline_kernelINS0_14default_configENS1_20scan_config_selectorIiEEZZNS1_9scan_implILNS1_25lookback_scan_determinismE0ELb0ELb0ES3_N6thrust23THRUST_200600_302600_NS6detail15normal_iteratorINS9_10device_ptrIiEEEESE_iNS9_4plusIiEEiEEDaPvRmT3_T4_T5_mT6_P12ihipStream_tbENKUlT_T0_E_clISt17integral_constantIbLb0EEST_IbLb1EEEEDaSP_SQ_EUlSP_E_NS1_11comp_targetILNS1_3genE8ELNS1_11target_archE1030ELNS1_3gpuE2ELNS1_3repE0EEENS1_30default_config_static_selectorELNS0_4arch9wavefront6targetE1EEEvT1_,comdat
	.protected	_ZN7rocprim17ROCPRIM_400000_NS6detail17trampoline_kernelINS0_14default_configENS1_20scan_config_selectorIiEEZZNS1_9scan_implILNS1_25lookback_scan_determinismE0ELb0ELb0ES3_N6thrust23THRUST_200600_302600_NS6detail15normal_iteratorINS9_10device_ptrIiEEEESE_iNS9_4plusIiEEiEEDaPvRmT3_T4_T5_mT6_P12ihipStream_tbENKUlT_T0_E_clISt17integral_constantIbLb0EEST_IbLb1EEEEDaSP_SQ_EUlSP_E_NS1_11comp_targetILNS1_3genE8ELNS1_11target_archE1030ELNS1_3gpuE2ELNS1_3repE0EEENS1_30default_config_static_selectorELNS0_4arch9wavefront6targetE1EEEvT1_ ; -- Begin function _ZN7rocprim17ROCPRIM_400000_NS6detail17trampoline_kernelINS0_14default_configENS1_20scan_config_selectorIiEEZZNS1_9scan_implILNS1_25lookback_scan_determinismE0ELb0ELb0ES3_N6thrust23THRUST_200600_302600_NS6detail15normal_iteratorINS9_10device_ptrIiEEEESE_iNS9_4plusIiEEiEEDaPvRmT3_T4_T5_mT6_P12ihipStream_tbENKUlT_T0_E_clISt17integral_constantIbLb0EEST_IbLb1EEEEDaSP_SQ_EUlSP_E_NS1_11comp_targetILNS1_3genE8ELNS1_11target_archE1030ELNS1_3gpuE2ELNS1_3repE0EEENS1_30default_config_static_selectorELNS0_4arch9wavefront6targetE1EEEvT1_
	.globl	_ZN7rocprim17ROCPRIM_400000_NS6detail17trampoline_kernelINS0_14default_configENS1_20scan_config_selectorIiEEZZNS1_9scan_implILNS1_25lookback_scan_determinismE0ELb0ELb0ES3_N6thrust23THRUST_200600_302600_NS6detail15normal_iteratorINS9_10device_ptrIiEEEESE_iNS9_4plusIiEEiEEDaPvRmT3_T4_T5_mT6_P12ihipStream_tbENKUlT_T0_E_clISt17integral_constantIbLb0EEST_IbLb1EEEEDaSP_SQ_EUlSP_E_NS1_11comp_targetILNS1_3genE8ELNS1_11target_archE1030ELNS1_3gpuE2ELNS1_3repE0EEENS1_30default_config_static_selectorELNS0_4arch9wavefront6targetE1EEEvT1_
	.p2align	8
	.type	_ZN7rocprim17ROCPRIM_400000_NS6detail17trampoline_kernelINS0_14default_configENS1_20scan_config_selectorIiEEZZNS1_9scan_implILNS1_25lookback_scan_determinismE0ELb0ELb0ES3_N6thrust23THRUST_200600_302600_NS6detail15normal_iteratorINS9_10device_ptrIiEEEESE_iNS9_4plusIiEEiEEDaPvRmT3_T4_T5_mT6_P12ihipStream_tbENKUlT_T0_E_clISt17integral_constantIbLb0EEST_IbLb1EEEEDaSP_SQ_EUlSP_E_NS1_11comp_targetILNS1_3genE8ELNS1_11target_archE1030ELNS1_3gpuE2ELNS1_3repE0EEENS1_30default_config_static_selectorELNS0_4arch9wavefront6targetE1EEEvT1_,@function
_ZN7rocprim17ROCPRIM_400000_NS6detail17trampoline_kernelINS0_14default_configENS1_20scan_config_selectorIiEEZZNS1_9scan_implILNS1_25lookback_scan_determinismE0ELb0ELb0ES3_N6thrust23THRUST_200600_302600_NS6detail15normal_iteratorINS9_10device_ptrIiEEEESE_iNS9_4plusIiEEiEEDaPvRmT3_T4_T5_mT6_P12ihipStream_tbENKUlT_T0_E_clISt17integral_constantIbLb0EEST_IbLb1EEEEDaSP_SQ_EUlSP_E_NS1_11comp_targetILNS1_3genE8ELNS1_11target_archE1030ELNS1_3gpuE2ELNS1_3repE0EEENS1_30default_config_static_selectorELNS0_4arch9wavefront6targetE1EEEvT1_: ; @_ZN7rocprim17ROCPRIM_400000_NS6detail17trampoline_kernelINS0_14default_configENS1_20scan_config_selectorIiEEZZNS1_9scan_implILNS1_25lookback_scan_determinismE0ELb0ELb0ES3_N6thrust23THRUST_200600_302600_NS6detail15normal_iteratorINS9_10device_ptrIiEEEESE_iNS9_4plusIiEEiEEDaPvRmT3_T4_T5_mT6_P12ihipStream_tbENKUlT_T0_E_clISt17integral_constantIbLb0EEST_IbLb1EEEEDaSP_SQ_EUlSP_E_NS1_11comp_targetILNS1_3genE8ELNS1_11target_archE1030ELNS1_3gpuE2ELNS1_3repE0EEENS1_30default_config_static_selectorELNS0_4arch9wavefront6targetE1EEEvT1_
; %bb.0:
	.section	.rodata,"a",@progbits
	.p2align	6, 0x0
	.amdhsa_kernel _ZN7rocprim17ROCPRIM_400000_NS6detail17trampoline_kernelINS0_14default_configENS1_20scan_config_selectorIiEEZZNS1_9scan_implILNS1_25lookback_scan_determinismE0ELb0ELb0ES3_N6thrust23THRUST_200600_302600_NS6detail15normal_iteratorINS9_10device_ptrIiEEEESE_iNS9_4plusIiEEiEEDaPvRmT3_T4_T5_mT6_P12ihipStream_tbENKUlT_T0_E_clISt17integral_constantIbLb0EEST_IbLb1EEEEDaSP_SQ_EUlSP_E_NS1_11comp_targetILNS1_3genE8ELNS1_11target_archE1030ELNS1_3gpuE2ELNS1_3repE0EEENS1_30default_config_static_selectorELNS0_4arch9wavefront6targetE1EEEvT1_
		.amdhsa_group_segment_fixed_size 0
		.amdhsa_private_segment_fixed_size 0
		.amdhsa_kernarg_size 96
		.amdhsa_user_sgpr_count 6
		.amdhsa_user_sgpr_private_segment_buffer 1
		.amdhsa_user_sgpr_dispatch_ptr 0
		.amdhsa_user_sgpr_queue_ptr 0
		.amdhsa_user_sgpr_kernarg_segment_ptr 1
		.amdhsa_user_sgpr_dispatch_id 0
		.amdhsa_user_sgpr_flat_scratch_init 0
		.amdhsa_user_sgpr_kernarg_preload_length 0
		.amdhsa_user_sgpr_kernarg_preload_offset 0
		.amdhsa_user_sgpr_private_segment_size 0
		.amdhsa_uses_dynamic_stack 0
		.amdhsa_system_sgpr_private_segment_wavefront_offset 0
		.amdhsa_system_sgpr_workgroup_id_x 1
		.amdhsa_system_sgpr_workgroup_id_y 0
		.amdhsa_system_sgpr_workgroup_id_z 0
		.amdhsa_system_sgpr_workgroup_info 0
		.amdhsa_system_vgpr_workitem_id 0
		.amdhsa_next_free_vgpr 1
		.amdhsa_next_free_sgpr 0
		.amdhsa_accum_offset 4
		.amdhsa_reserve_vcc 0
		.amdhsa_reserve_flat_scratch 0
		.amdhsa_float_round_mode_32 0
		.amdhsa_float_round_mode_16_64 0
		.amdhsa_float_denorm_mode_32 3
		.amdhsa_float_denorm_mode_16_64 3
		.amdhsa_dx10_clamp 1
		.amdhsa_ieee_mode 1
		.amdhsa_fp16_overflow 0
		.amdhsa_tg_split 0
		.amdhsa_exception_fp_ieee_invalid_op 0
		.amdhsa_exception_fp_denorm_src 0
		.amdhsa_exception_fp_ieee_div_zero 0
		.amdhsa_exception_fp_ieee_overflow 0
		.amdhsa_exception_fp_ieee_underflow 0
		.amdhsa_exception_fp_ieee_inexact 0
		.amdhsa_exception_int_div_zero 0
	.end_amdhsa_kernel
	.section	.text._ZN7rocprim17ROCPRIM_400000_NS6detail17trampoline_kernelINS0_14default_configENS1_20scan_config_selectorIiEEZZNS1_9scan_implILNS1_25lookback_scan_determinismE0ELb0ELb0ES3_N6thrust23THRUST_200600_302600_NS6detail15normal_iteratorINS9_10device_ptrIiEEEESE_iNS9_4plusIiEEiEEDaPvRmT3_T4_T5_mT6_P12ihipStream_tbENKUlT_T0_E_clISt17integral_constantIbLb0EEST_IbLb1EEEEDaSP_SQ_EUlSP_E_NS1_11comp_targetILNS1_3genE8ELNS1_11target_archE1030ELNS1_3gpuE2ELNS1_3repE0EEENS1_30default_config_static_selectorELNS0_4arch9wavefront6targetE1EEEvT1_,"axG",@progbits,_ZN7rocprim17ROCPRIM_400000_NS6detail17trampoline_kernelINS0_14default_configENS1_20scan_config_selectorIiEEZZNS1_9scan_implILNS1_25lookback_scan_determinismE0ELb0ELb0ES3_N6thrust23THRUST_200600_302600_NS6detail15normal_iteratorINS9_10device_ptrIiEEEESE_iNS9_4plusIiEEiEEDaPvRmT3_T4_T5_mT6_P12ihipStream_tbENKUlT_T0_E_clISt17integral_constantIbLb0EEST_IbLb1EEEEDaSP_SQ_EUlSP_E_NS1_11comp_targetILNS1_3genE8ELNS1_11target_archE1030ELNS1_3gpuE2ELNS1_3repE0EEENS1_30default_config_static_selectorELNS0_4arch9wavefront6targetE1EEEvT1_,comdat
.Lfunc_end578:
	.size	_ZN7rocprim17ROCPRIM_400000_NS6detail17trampoline_kernelINS0_14default_configENS1_20scan_config_selectorIiEEZZNS1_9scan_implILNS1_25lookback_scan_determinismE0ELb0ELb0ES3_N6thrust23THRUST_200600_302600_NS6detail15normal_iteratorINS9_10device_ptrIiEEEESE_iNS9_4plusIiEEiEEDaPvRmT3_T4_T5_mT6_P12ihipStream_tbENKUlT_T0_E_clISt17integral_constantIbLb0EEST_IbLb1EEEEDaSP_SQ_EUlSP_E_NS1_11comp_targetILNS1_3genE8ELNS1_11target_archE1030ELNS1_3gpuE2ELNS1_3repE0EEENS1_30default_config_static_selectorELNS0_4arch9wavefront6targetE1EEEvT1_, .Lfunc_end578-_ZN7rocprim17ROCPRIM_400000_NS6detail17trampoline_kernelINS0_14default_configENS1_20scan_config_selectorIiEEZZNS1_9scan_implILNS1_25lookback_scan_determinismE0ELb0ELb0ES3_N6thrust23THRUST_200600_302600_NS6detail15normal_iteratorINS9_10device_ptrIiEEEESE_iNS9_4plusIiEEiEEDaPvRmT3_T4_T5_mT6_P12ihipStream_tbENKUlT_T0_E_clISt17integral_constantIbLb0EEST_IbLb1EEEEDaSP_SQ_EUlSP_E_NS1_11comp_targetILNS1_3genE8ELNS1_11target_archE1030ELNS1_3gpuE2ELNS1_3repE0EEENS1_30default_config_static_selectorELNS0_4arch9wavefront6targetE1EEEvT1_
                                        ; -- End function
	.section	.AMDGPU.csdata,"",@progbits
; Kernel info:
; codeLenInByte = 0
; NumSgprs: 4
; NumVgprs: 0
; NumAgprs: 0
; TotalNumVgprs: 0
; ScratchSize: 0
; MemoryBound: 0
; FloatMode: 240
; IeeeMode: 1
; LDSByteSize: 0 bytes/workgroup (compile time only)
; SGPRBlocks: 0
; VGPRBlocks: 0
; NumSGPRsForWavesPerEU: 4
; NumVGPRsForWavesPerEU: 1
; AccumOffset: 4
; Occupancy: 8
; WaveLimiterHint : 0
; COMPUTE_PGM_RSRC2:SCRATCH_EN: 0
; COMPUTE_PGM_RSRC2:USER_SGPR: 6
; COMPUTE_PGM_RSRC2:TRAP_HANDLER: 0
; COMPUTE_PGM_RSRC2:TGID_X_EN: 1
; COMPUTE_PGM_RSRC2:TGID_Y_EN: 0
; COMPUTE_PGM_RSRC2:TGID_Z_EN: 0
; COMPUTE_PGM_RSRC2:TIDIG_COMP_CNT: 0
; COMPUTE_PGM_RSRC3_GFX90A:ACCUM_OFFSET: 0
; COMPUTE_PGM_RSRC3_GFX90A:TG_SPLIT: 0
	.section	.text._ZN7rocprim17ROCPRIM_400000_NS6detail17trampoline_kernelINS0_14default_configENS1_20scan_config_selectorIiEEZZNS1_9scan_implILNS1_25lookback_scan_determinismE0ELb0ELb0ES3_N6thrust23THRUST_200600_302600_NS6detail15normal_iteratorINS9_10device_ptrIiEEEESE_iNS9_4plusIiEEiEEDaPvRmT3_T4_T5_mT6_P12ihipStream_tbENKUlT_T0_E_clISt17integral_constantIbLb0EEST_IbLb1EEEEDaSP_SQ_EUlSP_E0_NS1_11comp_targetILNS1_3genE0ELNS1_11target_archE4294967295ELNS1_3gpuE0ELNS1_3repE0EEENS1_30default_config_static_selectorELNS0_4arch9wavefront6targetE1EEEvT1_,"axG",@progbits,_ZN7rocprim17ROCPRIM_400000_NS6detail17trampoline_kernelINS0_14default_configENS1_20scan_config_selectorIiEEZZNS1_9scan_implILNS1_25lookback_scan_determinismE0ELb0ELb0ES3_N6thrust23THRUST_200600_302600_NS6detail15normal_iteratorINS9_10device_ptrIiEEEESE_iNS9_4plusIiEEiEEDaPvRmT3_T4_T5_mT6_P12ihipStream_tbENKUlT_T0_E_clISt17integral_constantIbLb0EEST_IbLb1EEEEDaSP_SQ_EUlSP_E0_NS1_11comp_targetILNS1_3genE0ELNS1_11target_archE4294967295ELNS1_3gpuE0ELNS1_3repE0EEENS1_30default_config_static_selectorELNS0_4arch9wavefront6targetE1EEEvT1_,comdat
	.protected	_ZN7rocprim17ROCPRIM_400000_NS6detail17trampoline_kernelINS0_14default_configENS1_20scan_config_selectorIiEEZZNS1_9scan_implILNS1_25lookback_scan_determinismE0ELb0ELb0ES3_N6thrust23THRUST_200600_302600_NS6detail15normal_iteratorINS9_10device_ptrIiEEEESE_iNS9_4plusIiEEiEEDaPvRmT3_T4_T5_mT6_P12ihipStream_tbENKUlT_T0_E_clISt17integral_constantIbLb0EEST_IbLb1EEEEDaSP_SQ_EUlSP_E0_NS1_11comp_targetILNS1_3genE0ELNS1_11target_archE4294967295ELNS1_3gpuE0ELNS1_3repE0EEENS1_30default_config_static_selectorELNS0_4arch9wavefront6targetE1EEEvT1_ ; -- Begin function _ZN7rocprim17ROCPRIM_400000_NS6detail17trampoline_kernelINS0_14default_configENS1_20scan_config_selectorIiEEZZNS1_9scan_implILNS1_25lookback_scan_determinismE0ELb0ELb0ES3_N6thrust23THRUST_200600_302600_NS6detail15normal_iteratorINS9_10device_ptrIiEEEESE_iNS9_4plusIiEEiEEDaPvRmT3_T4_T5_mT6_P12ihipStream_tbENKUlT_T0_E_clISt17integral_constantIbLb0EEST_IbLb1EEEEDaSP_SQ_EUlSP_E0_NS1_11comp_targetILNS1_3genE0ELNS1_11target_archE4294967295ELNS1_3gpuE0ELNS1_3repE0EEENS1_30default_config_static_selectorELNS0_4arch9wavefront6targetE1EEEvT1_
	.globl	_ZN7rocprim17ROCPRIM_400000_NS6detail17trampoline_kernelINS0_14default_configENS1_20scan_config_selectorIiEEZZNS1_9scan_implILNS1_25lookback_scan_determinismE0ELb0ELb0ES3_N6thrust23THRUST_200600_302600_NS6detail15normal_iteratorINS9_10device_ptrIiEEEESE_iNS9_4plusIiEEiEEDaPvRmT3_T4_T5_mT6_P12ihipStream_tbENKUlT_T0_E_clISt17integral_constantIbLb0EEST_IbLb1EEEEDaSP_SQ_EUlSP_E0_NS1_11comp_targetILNS1_3genE0ELNS1_11target_archE4294967295ELNS1_3gpuE0ELNS1_3repE0EEENS1_30default_config_static_selectorELNS0_4arch9wavefront6targetE1EEEvT1_
	.p2align	8
	.type	_ZN7rocprim17ROCPRIM_400000_NS6detail17trampoline_kernelINS0_14default_configENS1_20scan_config_selectorIiEEZZNS1_9scan_implILNS1_25lookback_scan_determinismE0ELb0ELb0ES3_N6thrust23THRUST_200600_302600_NS6detail15normal_iteratorINS9_10device_ptrIiEEEESE_iNS9_4plusIiEEiEEDaPvRmT3_T4_T5_mT6_P12ihipStream_tbENKUlT_T0_E_clISt17integral_constantIbLb0EEST_IbLb1EEEEDaSP_SQ_EUlSP_E0_NS1_11comp_targetILNS1_3genE0ELNS1_11target_archE4294967295ELNS1_3gpuE0ELNS1_3repE0EEENS1_30default_config_static_selectorELNS0_4arch9wavefront6targetE1EEEvT1_,@function
_ZN7rocprim17ROCPRIM_400000_NS6detail17trampoline_kernelINS0_14default_configENS1_20scan_config_selectorIiEEZZNS1_9scan_implILNS1_25lookback_scan_determinismE0ELb0ELb0ES3_N6thrust23THRUST_200600_302600_NS6detail15normal_iteratorINS9_10device_ptrIiEEEESE_iNS9_4plusIiEEiEEDaPvRmT3_T4_T5_mT6_P12ihipStream_tbENKUlT_T0_E_clISt17integral_constantIbLb0EEST_IbLb1EEEEDaSP_SQ_EUlSP_E0_NS1_11comp_targetILNS1_3genE0ELNS1_11target_archE4294967295ELNS1_3gpuE0ELNS1_3repE0EEENS1_30default_config_static_selectorELNS0_4arch9wavefront6targetE1EEEvT1_: ; @_ZN7rocprim17ROCPRIM_400000_NS6detail17trampoline_kernelINS0_14default_configENS1_20scan_config_selectorIiEEZZNS1_9scan_implILNS1_25lookback_scan_determinismE0ELb0ELb0ES3_N6thrust23THRUST_200600_302600_NS6detail15normal_iteratorINS9_10device_ptrIiEEEESE_iNS9_4plusIiEEiEEDaPvRmT3_T4_T5_mT6_P12ihipStream_tbENKUlT_T0_E_clISt17integral_constantIbLb0EEST_IbLb1EEEEDaSP_SQ_EUlSP_E0_NS1_11comp_targetILNS1_3genE0ELNS1_11target_archE4294967295ELNS1_3gpuE0ELNS1_3repE0EEENS1_30default_config_static_selectorELNS0_4arch9wavefront6targetE1EEEvT1_
; %bb.0:
	.section	.rodata,"a",@progbits
	.p2align	6, 0x0
	.amdhsa_kernel _ZN7rocprim17ROCPRIM_400000_NS6detail17trampoline_kernelINS0_14default_configENS1_20scan_config_selectorIiEEZZNS1_9scan_implILNS1_25lookback_scan_determinismE0ELb0ELb0ES3_N6thrust23THRUST_200600_302600_NS6detail15normal_iteratorINS9_10device_ptrIiEEEESE_iNS9_4plusIiEEiEEDaPvRmT3_T4_T5_mT6_P12ihipStream_tbENKUlT_T0_E_clISt17integral_constantIbLb0EEST_IbLb1EEEEDaSP_SQ_EUlSP_E0_NS1_11comp_targetILNS1_3genE0ELNS1_11target_archE4294967295ELNS1_3gpuE0ELNS1_3repE0EEENS1_30default_config_static_selectorELNS0_4arch9wavefront6targetE1EEEvT1_
		.amdhsa_group_segment_fixed_size 0
		.amdhsa_private_segment_fixed_size 0
		.amdhsa_kernarg_size 32
		.amdhsa_user_sgpr_count 6
		.amdhsa_user_sgpr_private_segment_buffer 1
		.amdhsa_user_sgpr_dispatch_ptr 0
		.amdhsa_user_sgpr_queue_ptr 0
		.amdhsa_user_sgpr_kernarg_segment_ptr 1
		.amdhsa_user_sgpr_dispatch_id 0
		.amdhsa_user_sgpr_flat_scratch_init 0
		.amdhsa_user_sgpr_kernarg_preload_length 0
		.amdhsa_user_sgpr_kernarg_preload_offset 0
		.amdhsa_user_sgpr_private_segment_size 0
		.amdhsa_uses_dynamic_stack 0
		.amdhsa_system_sgpr_private_segment_wavefront_offset 0
		.amdhsa_system_sgpr_workgroup_id_x 1
		.amdhsa_system_sgpr_workgroup_id_y 0
		.amdhsa_system_sgpr_workgroup_id_z 0
		.amdhsa_system_sgpr_workgroup_info 0
		.amdhsa_system_vgpr_workitem_id 0
		.amdhsa_next_free_vgpr 1
		.amdhsa_next_free_sgpr 0
		.amdhsa_accum_offset 4
		.amdhsa_reserve_vcc 0
		.amdhsa_reserve_flat_scratch 0
		.amdhsa_float_round_mode_32 0
		.amdhsa_float_round_mode_16_64 0
		.amdhsa_float_denorm_mode_32 3
		.amdhsa_float_denorm_mode_16_64 3
		.amdhsa_dx10_clamp 1
		.amdhsa_ieee_mode 1
		.amdhsa_fp16_overflow 0
		.amdhsa_tg_split 0
		.amdhsa_exception_fp_ieee_invalid_op 0
		.amdhsa_exception_fp_denorm_src 0
		.amdhsa_exception_fp_ieee_div_zero 0
		.amdhsa_exception_fp_ieee_overflow 0
		.amdhsa_exception_fp_ieee_underflow 0
		.amdhsa_exception_fp_ieee_inexact 0
		.amdhsa_exception_int_div_zero 0
	.end_amdhsa_kernel
	.section	.text._ZN7rocprim17ROCPRIM_400000_NS6detail17trampoline_kernelINS0_14default_configENS1_20scan_config_selectorIiEEZZNS1_9scan_implILNS1_25lookback_scan_determinismE0ELb0ELb0ES3_N6thrust23THRUST_200600_302600_NS6detail15normal_iteratorINS9_10device_ptrIiEEEESE_iNS9_4plusIiEEiEEDaPvRmT3_T4_T5_mT6_P12ihipStream_tbENKUlT_T0_E_clISt17integral_constantIbLb0EEST_IbLb1EEEEDaSP_SQ_EUlSP_E0_NS1_11comp_targetILNS1_3genE0ELNS1_11target_archE4294967295ELNS1_3gpuE0ELNS1_3repE0EEENS1_30default_config_static_selectorELNS0_4arch9wavefront6targetE1EEEvT1_,"axG",@progbits,_ZN7rocprim17ROCPRIM_400000_NS6detail17trampoline_kernelINS0_14default_configENS1_20scan_config_selectorIiEEZZNS1_9scan_implILNS1_25lookback_scan_determinismE0ELb0ELb0ES3_N6thrust23THRUST_200600_302600_NS6detail15normal_iteratorINS9_10device_ptrIiEEEESE_iNS9_4plusIiEEiEEDaPvRmT3_T4_T5_mT6_P12ihipStream_tbENKUlT_T0_E_clISt17integral_constantIbLb0EEST_IbLb1EEEEDaSP_SQ_EUlSP_E0_NS1_11comp_targetILNS1_3genE0ELNS1_11target_archE4294967295ELNS1_3gpuE0ELNS1_3repE0EEENS1_30default_config_static_selectorELNS0_4arch9wavefront6targetE1EEEvT1_,comdat
.Lfunc_end579:
	.size	_ZN7rocprim17ROCPRIM_400000_NS6detail17trampoline_kernelINS0_14default_configENS1_20scan_config_selectorIiEEZZNS1_9scan_implILNS1_25lookback_scan_determinismE0ELb0ELb0ES3_N6thrust23THRUST_200600_302600_NS6detail15normal_iteratorINS9_10device_ptrIiEEEESE_iNS9_4plusIiEEiEEDaPvRmT3_T4_T5_mT6_P12ihipStream_tbENKUlT_T0_E_clISt17integral_constantIbLb0EEST_IbLb1EEEEDaSP_SQ_EUlSP_E0_NS1_11comp_targetILNS1_3genE0ELNS1_11target_archE4294967295ELNS1_3gpuE0ELNS1_3repE0EEENS1_30default_config_static_selectorELNS0_4arch9wavefront6targetE1EEEvT1_, .Lfunc_end579-_ZN7rocprim17ROCPRIM_400000_NS6detail17trampoline_kernelINS0_14default_configENS1_20scan_config_selectorIiEEZZNS1_9scan_implILNS1_25lookback_scan_determinismE0ELb0ELb0ES3_N6thrust23THRUST_200600_302600_NS6detail15normal_iteratorINS9_10device_ptrIiEEEESE_iNS9_4plusIiEEiEEDaPvRmT3_T4_T5_mT6_P12ihipStream_tbENKUlT_T0_E_clISt17integral_constantIbLb0EEST_IbLb1EEEEDaSP_SQ_EUlSP_E0_NS1_11comp_targetILNS1_3genE0ELNS1_11target_archE4294967295ELNS1_3gpuE0ELNS1_3repE0EEENS1_30default_config_static_selectorELNS0_4arch9wavefront6targetE1EEEvT1_
                                        ; -- End function
	.section	.AMDGPU.csdata,"",@progbits
; Kernel info:
; codeLenInByte = 0
; NumSgprs: 4
; NumVgprs: 0
; NumAgprs: 0
; TotalNumVgprs: 0
; ScratchSize: 0
; MemoryBound: 0
; FloatMode: 240
; IeeeMode: 1
; LDSByteSize: 0 bytes/workgroup (compile time only)
; SGPRBlocks: 0
; VGPRBlocks: 0
; NumSGPRsForWavesPerEU: 4
; NumVGPRsForWavesPerEU: 1
; AccumOffset: 4
; Occupancy: 8
; WaveLimiterHint : 0
; COMPUTE_PGM_RSRC2:SCRATCH_EN: 0
; COMPUTE_PGM_RSRC2:USER_SGPR: 6
; COMPUTE_PGM_RSRC2:TRAP_HANDLER: 0
; COMPUTE_PGM_RSRC2:TGID_X_EN: 1
; COMPUTE_PGM_RSRC2:TGID_Y_EN: 0
; COMPUTE_PGM_RSRC2:TGID_Z_EN: 0
; COMPUTE_PGM_RSRC2:TIDIG_COMP_CNT: 0
; COMPUTE_PGM_RSRC3_GFX90A:ACCUM_OFFSET: 0
; COMPUTE_PGM_RSRC3_GFX90A:TG_SPLIT: 0
	.section	.text._ZN7rocprim17ROCPRIM_400000_NS6detail17trampoline_kernelINS0_14default_configENS1_20scan_config_selectorIiEEZZNS1_9scan_implILNS1_25lookback_scan_determinismE0ELb0ELb0ES3_N6thrust23THRUST_200600_302600_NS6detail15normal_iteratorINS9_10device_ptrIiEEEESE_iNS9_4plusIiEEiEEDaPvRmT3_T4_T5_mT6_P12ihipStream_tbENKUlT_T0_E_clISt17integral_constantIbLb0EEST_IbLb1EEEEDaSP_SQ_EUlSP_E0_NS1_11comp_targetILNS1_3genE5ELNS1_11target_archE942ELNS1_3gpuE9ELNS1_3repE0EEENS1_30default_config_static_selectorELNS0_4arch9wavefront6targetE1EEEvT1_,"axG",@progbits,_ZN7rocprim17ROCPRIM_400000_NS6detail17trampoline_kernelINS0_14default_configENS1_20scan_config_selectorIiEEZZNS1_9scan_implILNS1_25lookback_scan_determinismE0ELb0ELb0ES3_N6thrust23THRUST_200600_302600_NS6detail15normal_iteratorINS9_10device_ptrIiEEEESE_iNS9_4plusIiEEiEEDaPvRmT3_T4_T5_mT6_P12ihipStream_tbENKUlT_T0_E_clISt17integral_constantIbLb0EEST_IbLb1EEEEDaSP_SQ_EUlSP_E0_NS1_11comp_targetILNS1_3genE5ELNS1_11target_archE942ELNS1_3gpuE9ELNS1_3repE0EEENS1_30default_config_static_selectorELNS0_4arch9wavefront6targetE1EEEvT1_,comdat
	.protected	_ZN7rocprim17ROCPRIM_400000_NS6detail17trampoline_kernelINS0_14default_configENS1_20scan_config_selectorIiEEZZNS1_9scan_implILNS1_25lookback_scan_determinismE0ELb0ELb0ES3_N6thrust23THRUST_200600_302600_NS6detail15normal_iteratorINS9_10device_ptrIiEEEESE_iNS9_4plusIiEEiEEDaPvRmT3_T4_T5_mT6_P12ihipStream_tbENKUlT_T0_E_clISt17integral_constantIbLb0EEST_IbLb1EEEEDaSP_SQ_EUlSP_E0_NS1_11comp_targetILNS1_3genE5ELNS1_11target_archE942ELNS1_3gpuE9ELNS1_3repE0EEENS1_30default_config_static_selectorELNS0_4arch9wavefront6targetE1EEEvT1_ ; -- Begin function _ZN7rocprim17ROCPRIM_400000_NS6detail17trampoline_kernelINS0_14default_configENS1_20scan_config_selectorIiEEZZNS1_9scan_implILNS1_25lookback_scan_determinismE0ELb0ELb0ES3_N6thrust23THRUST_200600_302600_NS6detail15normal_iteratorINS9_10device_ptrIiEEEESE_iNS9_4plusIiEEiEEDaPvRmT3_T4_T5_mT6_P12ihipStream_tbENKUlT_T0_E_clISt17integral_constantIbLb0EEST_IbLb1EEEEDaSP_SQ_EUlSP_E0_NS1_11comp_targetILNS1_3genE5ELNS1_11target_archE942ELNS1_3gpuE9ELNS1_3repE0EEENS1_30default_config_static_selectorELNS0_4arch9wavefront6targetE1EEEvT1_
	.globl	_ZN7rocprim17ROCPRIM_400000_NS6detail17trampoline_kernelINS0_14default_configENS1_20scan_config_selectorIiEEZZNS1_9scan_implILNS1_25lookback_scan_determinismE0ELb0ELb0ES3_N6thrust23THRUST_200600_302600_NS6detail15normal_iteratorINS9_10device_ptrIiEEEESE_iNS9_4plusIiEEiEEDaPvRmT3_T4_T5_mT6_P12ihipStream_tbENKUlT_T0_E_clISt17integral_constantIbLb0EEST_IbLb1EEEEDaSP_SQ_EUlSP_E0_NS1_11comp_targetILNS1_3genE5ELNS1_11target_archE942ELNS1_3gpuE9ELNS1_3repE0EEENS1_30default_config_static_selectorELNS0_4arch9wavefront6targetE1EEEvT1_
	.p2align	8
	.type	_ZN7rocprim17ROCPRIM_400000_NS6detail17trampoline_kernelINS0_14default_configENS1_20scan_config_selectorIiEEZZNS1_9scan_implILNS1_25lookback_scan_determinismE0ELb0ELb0ES3_N6thrust23THRUST_200600_302600_NS6detail15normal_iteratorINS9_10device_ptrIiEEEESE_iNS9_4plusIiEEiEEDaPvRmT3_T4_T5_mT6_P12ihipStream_tbENKUlT_T0_E_clISt17integral_constantIbLb0EEST_IbLb1EEEEDaSP_SQ_EUlSP_E0_NS1_11comp_targetILNS1_3genE5ELNS1_11target_archE942ELNS1_3gpuE9ELNS1_3repE0EEENS1_30default_config_static_selectorELNS0_4arch9wavefront6targetE1EEEvT1_,@function
_ZN7rocprim17ROCPRIM_400000_NS6detail17trampoline_kernelINS0_14default_configENS1_20scan_config_selectorIiEEZZNS1_9scan_implILNS1_25lookback_scan_determinismE0ELb0ELb0ES3_N6thrust23THRUST_200600_302600_NS6detail15normal_iteratorINS9_10device_ptrIiEEEESE_iNS9_4plusIiEEiEEDaPvRmT3_T4_T5_mT6_P12ihipStream_tbENKUlT_T0_E_clISt17integral_constantIbLb0EEST_IbLb1EEEEDaSP_SQ_EUlSP_E0_NS1_11comp_targetILNS1_3genE5ELNS1_11target_archE942ELNS1_3gpuE9ELNS1_3repE0EEENS1_30default_config_static_selectorELNS0_4arch9wavefront6targetE1EEEvT1_: ; @_ZN7rocprim17ROCPRIM_400000_NS6detail17trampoline_kernelINS0_14default_configENS1_20scan_config_selectorIiEEZZNS1_9scan_implILNS1_25lookback_scan_determinismE0ELb0ELb0ES3_N6thrust23THRUST_200600_302600_NS6detail15normal_iteratorINS9_10device_ptrIiEEEESE_iNS9_4plusIiEEiEEDaPvRmT3_T4_T5_mT6_P12ihipStream_tbENKUlT_T0_E_clISt17integral_constantIbLb0EEST_IbLb1EEEEDaSP_SQ_EUlSP_E0_NS1_11comp_targetILNS1_3genE5ELNS1_11target_archE942ELNS1_3gpuE9ELNS1_3repE0EEENS1_30default_config_static_selectorELNS0_4arch9wavefront6targetE1EEEvT1_
; %bb.0:
	.section	.rodata,"a",@progbits
	.p2align	6, 0x0
	.amdhsa_kernel _ZN7rocprim17ROCPRIM_400000_NS6detail17trampoline_kernelINS0_14default_configENS1_20scan_config_selectorIiEEZZNS1_9scan_implILNS1_25lookback_scan_determinismE0ELb0ELb0ES3_N6thrust23THRUST_200600_302600_NS6detail15normal_iteratorINS9_10device_ptrIiEEEESE_iNS9_4plusIiEEiEEDaPvRmT3_T4_T5_mT6_P12ihipStream_tbENKUlT_T0_E_clISt17integral_constantIbLb0EEST_IbLb1EEEEDaSP_SQ_EUlSP_E0_NS1_11comp_targetILNS1_3genE5ELNS1_11target_archE942ELNS1_3gpuE9ELNS1_3repE0EEENS1_30default_config_static_selectorELNS0_4arch9wavefront6targetE1EEEvT1_
		.amdhsa_group_segment_fixed_size 0
		.amdhsa_private_segment_fixed_size 0
		.amdhsa_kernarg_size 32
		.amdhsa_user_sgpr_count 6
		.amdhsa_user_sgpr_private_segment_buffer 1
		.amdhsa_user_sgpr_dispatch_ptr 0
		.amdhsa_user_sgpr_queue_ptr 0
		.amdhsa_user_sgpr_kernarg_segment_ptr 1
		.amdhsa_user_sgpr_dispatch_id 0
		.amdhsa_user_sgpr_flat_scratch_init 0
		.amdhsa_user_sgpr_kernarg_preload_length 0
		.amdhsa_user_sgpr_kernarg_preload_offset 0
		.amdhsa_user_sgpr_private_segment_size 0
		.amdhsa_uses_dynamic_stack 0
		.amdhsa_system_sgpr_private_segment_wavefront_offset 0
		.amdhsa_system_sgpr_workgroup_id_x 1
		.amdhsa_system_sgpr_workgroup_id_y 0
		.amdhsa_system_sgpr_workgroup_id_z 0
		.amdhsa_system_sgpr_workgroup_info 0
		.amdhsa_system_vgpr_workitem_id 0
		.amdhsa_next_free_vgpr 1
		.amdhsa_next_free_sgpr 0
		.amdhsa_accum_offset 4
		.amdhsa_reserve_vcc 0
		.amdhsa_reserve_flat_scratch 0
		.amdhsa_float_round_mode_32 0
		.amdhsa_float_round_mode_16_64 0
		.amdhsa_float_denorm_mode_32 3
		.amdhsa_float_denorm_mode_16_64 3
		.amdhsa_dx10_clamp 1
		.amdhsa_ieee_mode 1
		.amdhsa_fp16_overflow 0
		.amdhsa_tg_split 0
		.amdhsa_exception_fp_ieee_invalid_op 0
		.amdhsa_exception_fp_denorm_src 0
		.amdhsa_exception_fp_ieee_div_zero 0
		.amdhsa_exception_fp_ieee_overflow 0
		.amdhsa_exception_fp_ieee_underflow 0
		.amdhsa_exception_fp_ieee_inexact 0
		.amdhsa_exception_int_div_zero 0
	.end_amdhsa_kernel
	.section	.text._ZN7rocprim17ROCPRIM_400000_NS6detail17trampoline_kernelINS0_14default_configENS1_20scan_config_selectorIiEEZZNS1_9scan_implILNS1_25lookback_scan_determinismE0ELb0ELb0ES3_N6thrust23THRUST_200600_302600_NS6detail15normal_iteratorINS9_10device_ptrIiEEEESE_iNS9_4plusIiEEiEEDaPvRmT3_T4_T5_mT6_P12ihipStream_tbENKUlT_T0_E_clISt17integral_constantIbLb0EEST_IbLb1EEEEDaSP_SQ_EUlSP_E0_NS1_11comp_targetILNS1_3genE5ELNS1_11target_archE942ELNS1_3gpuE9ELNS1_3repE0EEENS1_30default_config_static_selectorELNS0_4arch9wavefront6targetE1EEEvT1_,"axG",@progbits,_ZN7rocprim17ROCPRIM_400000_NS6detail17trampoline_kernelINS0_14default_configENS1_20scan_config_selectorIiEEZZNS1_9scan_implILNS1_25lookback_scan_determinismE0ELb0ELb0ES3_N6thrust23THRUST_200600_302600_NS6detail15normal_iteratorINS9_10device_ptrIiEEEESE_iNS9_4plusIiEEiEEDaPvRmT3_T4_T5_mT6_P12ihipStream_tbENKUlT_T0_E_clISt17integral_constantIbLb0EEST_IbLb1EEEEDaSP_SQ_EUlSP_E0_NS1_11comp_targetILNS1_3genE5ELNS1_11target_archE942ELNS1_3gpuE9ELNS1_3repE0EEENS1_30default_config_static_selectorELNS0_4arch9wavefront6targetE1EEEvT1_,comdat
.Lfunc_end580:
	.size	_ZN7rocprim17ROCPRIM_400000_NS6detail17trampoline_kernelINS0_14default_configENS1_20scan_config_selectorIiEEZZNS1_9scan_implILNS1_25lookback_scan_determinismE0ELb0ELb0ES3_N6thrust23THRUST_200600_302600_NS6detail15normal_iteratorINS9_10device_ptrIiEEEESE_iNS9_4plusIiEEiEEDaPvRmT3_T4_T5_mT6_P12ihipStream_tbENKUlT_T0_E_clISt17integral_constantIbLb0EEST_IbLb1EEEEDaSP_SQ_EUlSP_E0_NS1_11comp_targetILNS1_3genE5ELNS1_11target_archE942ELNS1_3gpuE9ELNS1_3repE0EEENS1_30default_config_static_selectorELNS0_4arch9wavefront6targetE1EEEvT1_, .Lfunc_end580-_ZN7rocprim17ROCPRIM_400000_NS6detail17trampoline_kernelINS0_14default_configENS1_20scan_config_selectorIiEEZZNS1_9scan_implILNS1_25lookback_scan_determinismE0ELb0ELb0ES3_N6thrust23THRUST_200600_302600_NS6detail15normal_iteratorINS9_10device_ptrIiEEEESE_iNS9_4plusIiEEiEEDaPvRmT3_T4_T5_mT6_P12ihipStream_tbENKUlT_T0_E_clISt17integral_constantIbLb0EEST_IbLb1EEEEDaSP_SQ_EUlSP_E0_NS1_11comp_targetILNS1_3genE5ELNS1_11target_archE942ELNS1_3gpuE9ELNS1_3repE0EEENS1_30default_config_static_selectorELNS0_4arch9wavefront6targetE1EEEvT1_
                                        ; -- End function
	.section	.AMDGPU.csdata,"",@progbits
; Kernel info:
; codeLenInByte = 0
; NumSgprs: 4
; NumVgprs: 0
; NumAgprs: 0
; TotalNumVgprs: 0
; ScratchSize: 0
; MemoryBound: 0
; FloatMode: 240
; IeeeMode: 1
; LDSByteSize: 0 bytes/workgroup (compile time only)
; SGPRBlocks: 0
; VGPRBlocks: 0
; NumSGPRsForWavesPerEU: 4
; NumVGPRsForWavesPerEU: 1
; AccumOffset: 4
; Occupancy: 8
; WaveLimiterHint : 0
; COMPUTE_PGM_RSRC2:SCRATCH_EN: 0
; COMPUTE_PGM_RSRC2:USER_SGPR: 6
; COMPUTE_PGM_RSRC2:TRAP_HANDLER: 0
; COMPUTE_PGM_RSRC2:TGID_X_EN: 1
; COMPUTE_PGM_RSRC2:TGID_Y_EN: 0
; COMPUTE_PGM_RSRC2:TGID_Z_EN: 0
; COMPUTE_PGM_RSRC2:TIDIG_COMP_CNT: 0
; COMPUTE_PGM_RSRC3_GFX90A:ACCUM_OFFSET: 0
; COMPUTE_PGM_RSRC3_GFX90A:TG_SPLIT: 0
	.section	.text._ZN7rocprim17ROCPRIM_400000_NS6detail17trampoline_kernelINS0_14default_configENS1_20scan_config_selectorIiEEZZNS1_9scan_implILNS1_25lookback_scan_determinismE0ELb0ELb0ES3_N6thrust23THRUST_200600_302600_NS6detail15normal_iteratorINS9_10device_ptrIiEEEESE_iNS9_4plusIiEEiEEDaPvRmT3_T4_T5_mT6_P12ihipStream_tbENKUlT_T0_E_clISt17integral_constantIbLb0EEST_IbLb1EEEEDaSP_SQ_EUlSP_E0_NS1_11comp_targetILNS1_3genE4ELNS1_11target_archE910ELNS1_3gpuE8ELNS1_3repE0EEENS1_30default_config_static_selectorELNS0_4arch9wavefront6targetE1EEEvT1_,"axG",@progbits,_ZN7rocprim17ROCPRIM_400000_NS6detail17trampoline_kernelINS0_14default_configENS1_20scan_config_selectorIiEEZZNS1_9scan_implILNS1_25lookback_scan_determinismE0ELb0ELb0ES3_N6thrust23THRUST_200600_302600_NS6detail15normal_iteratorINS9_10device_ptrIiEEEESE_iNS9_4plusIiEEiEEDaPvRmT3_T4_T5_mT6_P12ihipStream_tbENKUlT_T0_E_clISt17integral_constantIbLb0EEST_IbLb1EEEEDaSP_SQ_EUlSP_E0_NS1_11comp_targetILNS1_3genE4ELNS1_11target_archE910ELNS1_3gpuE8ELNS1_3repE0EEENS1_30default_config_static_selectorELNS0_4arch9wavefront6targetE1EEEvT1_,comdat
	.protected	_ZN7rocprim17ROCPRIM_400000_NS6detail17trampoline_kernelINS0_14default_configENS1_20scan_config_selectorIiEEZZNS1_9scan_implILNS1_25lookback_scan_determinismE0ELb0ELb0ES3_N6thrust23THRUST_200600_302600_NS6detail15normal_iteratorINS9_10device_ptrIiEEEESE_iNS9_4plusIiEEiEEDaPvRmT3_T4_T5_mT6_P12ihipStream_tbENKUlT_T0_E_clISt17integral_constantIbLb0EEST_IbLb1EEEEDaSP_SQ_EUlSP_E0_NS1_11comp_targetILNS1_3genE4ELNS1_11target_archE910ELNS1_3gpuE8ELNS1_3repE0EEENS1_30default_config_static_selectorELNS0_4arch9wavefront6targetE1EEEvT1_ ; -- Begin function _ZN7rocprim17ROCPRIM_400000_NS6detail17trampoline_kernelINS0_14default_configENS1_20scan_config_selectorIiEEZZNS1_9scan_implILNS1_25lookback_scan_determinismE0ELb0ELb0ES3_N6thrust23THRUST_200600_302600_NS6detail15normal_iteratorINS9_10device_ptrIiEEEESE_iNS9_4plusIiEEiEEDaPvRmT3_T4_T5_mT6_P12ihipStream_tbENKUlT_T0_E_clISt17integral_constantIbLb0EEST_IbLb1EEEEDaSP_SQ_EUlSP_E0_NS1_11comp_targetILNS1_3genE4ELNS1_11target_archE910ELNS1_3gpuE8ELNS1_3repE0EEENS1_30default_config_static_selectorELNS0_4arch9wavefront6targetE1EEEvT1_
	.globl	_ZN7rocprim17ROCPRIM_400000_NS6detail17trampoline_kernelINS0_14default_configENS1_20scan_config_selectorIiEEZZNS1_9scan_implILNS1_25lookback_scan_determinismE0ELb0ELb0ES3_N6thrust23THRUST_200600_302600_NS6detail15normal_iteratorINS9_10device_ptrIiEEEESE_iNS9_4plusIiEEiEEDaPvRmT3_T4_T5_mT6_P12ihipStream_tbENKUlT_T0_E_clISt17integral_constantIbLb0EEST_IbLb1EEEEDaSP_SQ_EUlSP_E0_NS1_11comp_targetILNS1_3genE4ELNS1_11target_archE910ELNS1_3gpuE8ELNS1_3repE0EEENS1_30default_config_static_selectorELNS0_4arch9wavefront6targetE1EEEvT1_
	.p2align	8
	.type	_ZN7rocprim17ROCPRIM_400000_NS6detail17trampoline_kernelINS0_14default_configENS1_20scan_config_selectorIiEEZZNS1_9scan_implILNS1_25lookback_scan_determinismE0ELb0ELb0ES3_N6thrust23THRUST_200600_302600_NS6detail15normal_iteratorINS9_10device_ptrIiEEEESE_iNS9_4plusIiEEiEEDaPvRmT3_T4_T5_mT6_P12ihipStream_tbENKUlT_T0_E_clISt17integral_constantIbLb0EEST_IbLb1EEEEDaSP_SQ_EUlSP_E0_NS1_11comp_targetILNS1_3genE4ELNS1_11target_archE910ELNS1_3gpuE8ELNS1_3repE0EEENS1_30default_config_static_selectorELNS0_4arch9wavefront6targetE1EEEvT1_,@function
_ZN7rocprim17ROCPRIM_400000_NS6detail17trampoline_kernelINS0_14default_configENS1_20scan_config_selectorIiEEZZNS1_9scan_implILNS1_25lookback_scan_determinismE0ELb0ELb0ES3_N6thrust23THRUST_200600_302600_NS6detail15normal_iteratorINS9_10device_ptrIiEEEESE_iNS9_4plusIiEEiEEDaPvRmT3_T4_T5_mT6_P12ihipStream_tbENKUlT_T0_E_clISt17integral_constantIbLb0EEST_IbLb1EEEEDaSP_SQ_EUlSP_E0_NS1_11comp_targetILNS1_3genE4ELNS1_11target_archE910ELNS1_3gpuE8ELNS1_3repE0EEENS1_30default_config_static_selectorELNS0_4arch9wavefront6targetE1EEEvT1_: ; @_ZN7rocprim17ROCPRIM_400000_NS6detail17trampoline_kernelINS0_14default_configENS1_20scan_config_selectorIiEEZZNS1_9scan_implILNS1_25lookback_scan_determinismE0ELb0ELb0ES3_N6thrust23THRUST_200600_302600_NS6detail15normal_iteratorINS9_10device_ptrIiEEEESE_iNS9_4plusIiEEiEEDaPvRmT3_T4_T5_mT6_P12ihipStream_tbENKUlT_T0_E_clISt17integral_constantIbLb0EEST_IbLb1EEEEDaSP_SQ_EUlSP_E0_NS1_11comp_targetILNS1_3genE4ELNS1_11target_archE910ELNS1_3gpuE8ELNS1_3repE0EEENS1_30default_config_static_selectorELNS0_4arch9wavefront6targetE1EEEvT1_
; %bb.0:
	s_load_dwordx4 s[20:23], s[4:5], 0x0
	v_lshlrev_b32_e32 v20, 2, v0
	s_waitcnt lgkmcnt(0)
	s_load_dword s23, s[20:21], 0x0
	v_cmp_gt_u32_e32 vcc, s22, v0
	s_waitcnt lgkmcnt(0)
	v_mov_b32_e32 v1, s23
	s_and_saveexec_b64 s[0:1], vcc
	s_cbranch_execz .LBB581_2
; %bb.1:
	global_load_dword v1, v20, s[20:21]
.LBB581_2:
	s_or_b64 exec, exec, s[0:1]
	v_or_b32_e32 v2, 0x80, v0
	v_cmp_gt_u32_e64 s[0:1], s22, v2
	v_mov_b32_e32 v2, s23
	s_and_saveexec_b64 s[2:3], s[0:1]
	s_cbranch_execz .LBB581_4
; %bb.3:
	global_load_dword v2, v20, s[20:21] offset:512
.LBB581_4:
	s_or_b64 exec, exec, s[2:3]
	v_or_b32_e32 v3, 0x100, v0
	v_cmp_gt_u32_e64 s[2:3], s22, v3
	v_mov_b32_e32 v3, s23
	s_and_saveexec_b64 s[6:7], s[2:3]
	s_cbranch_execz .LBB581_6
; %bb.5:
	global_load_dword v3, v20, s[20:21] offset:1024
.LBB581_6:
	;; [unrolled: 9-line block ×7, first 2 shown]
	s_or_b64 exec, exec, s[14:15]
	v_or_b32_e32 v10, 0x400, v0
	v_cmp_gt_u32_e64 s[14:15], s22, v10
	v_mov_b32_e32 v9, s23
	s_and_saveexec_b64 s[16:17], s[14:15]
	s_cbranch_execz .LBB581_18
; %bb.17:
	v_lshlrev_b32_e32 v9, 2, v10
	global_load_dword v9, v9, s[20:21]
.LBB581_18:
	s_or_b64 exec, exec, s[16:17]
	v_or_b32_e32 v11, 0x480, v0
	v_cmp_gt_u32_e64 s[16:17], s22, v11
	v_mov_b32_e32 v10, s23
	s_and_saveexec_b64 s[22:23], s[16:17]
	s_cbranch_execz .LBB581_20
; %bb.19:
	v_lshlrev_b32_e32 v10, 2, v11
	global_load_dword v10, v10, s[20:21]
.LBB581_20:
	s_or_b64 exec, exec, s[22:23]
	s_waitcnt vmcnt(0)
	ds_write2st64_b32 v20, v1, v2 offset1:2
	ds_write2st64_b32 v20, v3, v4 offset0:4 offset1:6
	ds_write2st64_b32 v20, v5, v6 offset0:8 offset1:10
	;; [unrolled: 1-line block ×4, first 2 shown]
	v_mad_u32_u24 v1, v0, 36, v20
	s_waitcnt lgkmcnt(0)
	s_barrier
	ds_read2_b64 v[6:9], v1 offset1:1
	ds_read2_b64 v[2:5], v1 offset0:2 offset1:3
	ds_read_b64 v[18:19], v1 offset:32
	v_lshrrev_b32_e32 v21, 3, v0
	v_and_b32_e32 v21, 12, v21
	s_waitcnt lgkmcnt(2)
	v_add_u32_e32 v1, v7, v6
	v_add_u32_e32 v14, v1, v8
	;; [unrolled: 1-line block ×3, first 2 shown]
	s_waitcnt lgkmcnt(1)
	v_add_u32_e32 v10, v15, v2
	v_add_u32_e32 v11, v10, v3
	;; [unrolled: 1-line block ×4, first 2 shown]
	s_waitcnt lgkmcnt(0)
	v_add_u32_e32 v16, v13, v18
	v_add_u32_e32 v17, v16, v19
	;; [unrolled: 1-line block ×3, first 2 shown]
	v_cmp_gt_u32_e64 s[20:21], 64, v0
	s_barrier
	ds_write_b32 v21, v17
	s_waitcnt lgkmcnt(0)
	s_barrier
	s_and_saveexec_b64 s[22:23], s[20:21]
	s_cbranch_execz .LBB581_22
; %bb.21:
	v_lshlrev_b32_e32 v21, 1, v0
	v_lshrrev_b32_e32 v22, 4, v0
	v_add_lshl_u32 v21, v22, v21, 2
	ds_read2_b32 v[22:23], v21 offset1:1
	v_mbcnt_lo_u32_b32 v24, -1, 0
	v_mbcnt_hi_u32_b32 v24, -1, v24
	v_and_b32_e32 v25, 15, v24
	v_cmp_ne_u32_e64 s[20:21], 0, v25
	s_waitcnt lgkmcnt(0)
	v_add_u32_e32 v23, v23, v22
	; wave barrier
	s_nop 1
	v_mov_b32_dpp v26, v23 row_shr:1 row_mask:0xf bank_mask:0xf
	v_cndmask_b32_e64 v26, 0, v26, s[20:21]
	v_add_u32_e32 v23, v26, v23
	v_cmp_lt_u32_e64 s[20:21], 1, v25
	s_nop 0
	v_mov_b32_dpp v26, v23 row_shr:2 row_mask:0xf bank_mask:0xf
	v_cndmask_b32_e64 v26, 0, v26, s[20:21]
	v_add_u32_e32 v23, v23, v26
	v_cmp_lt_u32_e64 s[20:21], 3, v25
	;; [unrolled: 5-line block ×3, first 2 shown]
	s_nop 0
	v_mov_b32_dpp v26, v23 row_shr:8 row_mask:0xf bank_mask:0xf
	v_cndmask_b32_e64 v25, 0, v26, s[20:21]
	v_add_u32_e32 v23, v23, v25
	v_bfe_i32 v26, v24, 4, 1
	v_cmp_lt_u32_e64 s[20:21], 31, v24
	v_mov_b32_dpp v25, v23 row_bcast:15 row_mask:0xf bank_mask:0xf
	v_and_b32_e32 v25, v26, v25
	v_add_u32_e32 v23, v23, v25
	v_and_b32_e32 v26, 64, v24
	s_nop 0
	v_mov_b32_dpp v25, v23 row_bcast:31 row_mask:0xf bank_mask:0xf
	v_cndmask_b32_e64 v25, 0, v25, s[20:21]
	v_add_u32_e32 v23, v23, v25
	v_add_u32_e32 v25, -1, v24
	v_cmp_lt_i32_e64 s[20:21], v25, v26
	v_cndmask_b32_e64 v24, v25, v24, s[20:21]
	v_lshlrev_b32_e32 v24, 2, v24
	ds_bpermute_b32 v23, v24, v23
	v_cmp_eq_u32_e64 s[20:21], 0, v0
	s_waitcnt lgkmcnt(0)
	v_add_u32_e32 v22, v23, v22
	v_cndmask_b32_e64 v22, v22, v17, s[20:21]
	ds_write_b32 v21, v22
	; wave barrier
	ds_read_b32 v23, v21 offset:4
	s_waitcnt lgkmcnt(0)
	v_add_u32_e32 v22, v23, v22
	ds_write_b32 v21, v22 offset:4
.LBB581_22:
	s_or_b64 exec, exec, s[22:23]
	s_load_dwordx2 s[20:21], s[4:5], 0x18
	v_cmp_ne_u32_e64 s[4:5], 0, v0
	v_mov_b32_e32 v22, v17
	s_waitcnt lgkmcnt(0)
	s_barrier
	s_and_saveexec_b64 s[22:23], s[4:5]
	s_cbranch_execz .LBB581_24
; %bb.23:
	v_add_u32_e32 v21, -1, v0
	v_lshrrev_b32_e32 v22, 5, v21
	v_add_lshl_u32 v21, v22, v21, 2
	ds_read_b32 v22, v21
.LBB581_24:
	s_or_b64 exec, exec, s[22:23]
	v_mul_u32_u24_e32 v21, 36, v0
	v_mov_b32_e32 v0, v6
	s_and_saveexec_b64 s[22:23], s[4:5]
	s_cbranch_execz .LBB581_26
; %bb.25:
	s_waitcnt lgkmcnt(0)
	v_add_u32_e32 v0, v22, v6
	v_add_u32_e32 v1, v0, v7
	;; [unrolled: 1-line block ×10, first 2 shown]
	;;#ASMSTART
	;;#ASMEND
.LBB581_26:
	s_or_b64 exec, exec, s[22:23]
	v_add_u32_e32 v2, v20, v21
	s_waitcnt lgkmcnt(0)
	s_barrier
	ds_write2_b64 v2, v[0:1], v[14:15] offset1:1
	ds_write2_b64 v2, v[10:11], v[12:13] offset0:2 offset1:3
	ds_write_b64 v2, v[16:17] offset:32
	s_waitcnt lgkmcnt(0)
	s_barrier
	ds_read2st64_b32 v[8:9], v20 offset0:2 offset1:4
	ds_read2st64_b32 v[6:7], v20 offset0:6 offset1:8
	;; [unrolled: 1-line block ×4, first 2 shown]
	ds_read_b32 v10, v20 offset:4608
	v_mov_b32_e32 v1, s21
	v_add_co_u32_e64 v0, s[4:5], s20, v20
	v_addc_co_u32_e64 v1, s[4:5], 0, v1, s[4:5]
	s_and_saveexec_b64 s[4:5], vcc
	s_cbranch_execnz .LBB581_37
; %bb.27:
	s_or_b64 exec, exec, s[4:5]
	s_and_saveexec_b64 s[4:5], s[0:1]
	s_cbranch_execnz .LBB581_38
.LBB581_28:
	s_or_b64 exec, exec, s[4:5]
	s_and_saveexec_b64 s[0:1], s[2:3]
	s_cbranch_execnz .LBB581_39
.LBB581_29:
	s_or_b64 exec, exec, s[0:1]
	s_and_saveexec_b64 s[0:1], s[18:19]
	s_cbranch_execnz .LBB581_40
.LBB581_30:
	s_or_b64 exec, exec, s[0:1]
	s_and_saveexec_b64 s[0:1], s[6:7]
	s_cbranch_execnz .LBB581_41
.LBB581_31:
	s_or_b64 exec, exec, s[0:1]
	s_and_saveexec_b64 s[0:1], s[8:9]
	s_cbranch_execnz .LBB581_42
.LBB581_32:
	s_or_b64 exec, exec, s[0:1]
	s_and_saveexec_b64 s[0:1], s[10:11]
	s_cbranch_execnz .LBB581_43
.LBB581_33:
	s_or_b64 exec, exec, s[0:1]
	s_and_saveexec_b64 s[0:1], s[12:13]
	s_cbranch_execnz .LBB581_44
.LBB581_34:
	s_or_b64 exec, exec, s[0:1]
	s_and_saveexec_b64 s[0:1], s[14:15]
	s_cbranch_execnz .LBB581_45
.LBB581_35:
	s_or_b64 exec, exec, s[0:1]
	s_and_saveexec_b64 s[0:1], s[16:17]
	s_cbranch_execnz .LBB581_46
.LBB581_36:
	s_endpgm
.LBB581_37:
	ds_read_b32 v11, v20
	s_waitcnt lgkmcnt(0)
	global_store_dword v[0:1], v11, off
	s_or_b64 exec, exec, s[4:5]
	s_and_saveexec_b64 s[4:5], s[0:1]
	s_cbranch_execz .LBB581_28
.LBB581_38:
	s_waitcnt lgkmcnt(4)
	global_store_dword v[0:1], v8, off offset:512
	s_or_b64 exec, exec, s[4:5]
	s_and_saveexec_b64 s[0:1], s[2:3]
	s_cbranch_execz .LBB581_29
.LBB581_39:
	s_waitcnt lgkmcnt(4)
	global_store_dword v[0:1], v9, off offset:1024
	s_or_b64 exec, exec, s[0:1]
	s_and_saveexec_b64 s[0:1], s[18:19]
	s_cbranch_execz .LBB581_30
.LBB581_40:
	s_waitcnt lgkmcnt(3)
	global_store_dword v[0:1], v6, off offset:1536
	s_or_b64 exec, exec, s[0:1]
	s_and_saveexec_b64 s[0:1], s[6:7]
	s_cbranch_execz .LBB581_31
.LBB581_41:
	s_waitcnt lgkmcnt(3)
	global_store_dword v[0:1], v7, off offset:2048
	s_or_b64 exec, exec, s[0:1]
	s_and_saveexec_b64 s[0:1], s[8:9]
	s_cbranch_execz .LBB581_32
.LBB581_42:
	s_waitcnt lgkmcnt(2)
	global_store_dword v[0:1], v4, off offset:2560
	s_or_b64 exec, exec, s[0:1]
	s_and_saveexec_b64 s[0:1], s[10:11]
	s_cbranch_execz .LBB581_33
.LBB581_43:
	s_waitcnt lgkmcnt(2)
	global_store_dword v[0:1], v5, off offset:3072
	s_or_b64 exec, exec, s[0:1]
	s_and_saveexec_b64 s[0:1], s[12:13]
	s_cbranch_execz .LBB581_34
.LBB581_44:
	s_waitcnt lgkmcnt(1)
	global_store_dword v[0:1], v2, off offset:3584
	s_or_b64 exec, exec, s[0:1]
	s_and_saveexec_b64 s[0:1], s[14:15]
	s_cbranch_execz .LBB581_35
.LBB581_45:
	s_waitcnt lgkmcnt(2)
	v_add_co_u32_e32 v4, vcc, 0x1000, v0
	v_addc_co_u32_e32 v5, vcc, 0, v1, vcc
	s_waitcnt lgkmcnt(1)
	global_store_dword v[4:5], v3, off
	s_or_b64 exec, exec, s[0:1]
	s_and_saveexec_b64 s[0:1], s[16:17]
	s_cbranch_execz .LBB581_36
.LBB581_46:
	v_add_co_u32_e32 v0, vcc, 0x1000, v0
	v_addc_co_u32_e32 v1, vcc, 0, v1, vcc
	s_waitcnt lgkmcnt(0)
	global_store_dword v[0:1], v10, off offset:512
	s_endpgm
	.section	.rodata,"a",@progbits
	.p2align	6, 0x0
	.amdhsa_kernel _ZN7rocprim17ROCPRIM_400000_NS6detail17trampoline_kernelINS0_14default_configENS1_20scan_config_selectorIiEEZZNS1_9scan_implILNS1_25lookback_scan_determinismE0ELb0ELb0ES3_N6thrust23THRUST_200600_302600_NS6detail15normal_iteratorINS9_10device_ptrIiEEEESE_iNS9_4plusIiEEiEEDaPvRmT3_T4_T5_mT6_P12ihipStream_tbENKUlT_T0_E_clISt17integral_constantIbLb0EEST_IbLb1EEEEDaSP_SQ_EUlSP_E0_NS1_11comp_targetILNS1_3genE4ELNS1_11target_archE910ELNS1_3gpuE8ELNS1_3repE0EEENS1_30default_config_static_selectorELNS0_4arch9wavefront6targetE1EEEvT1_
		.amdhsa_group_segment_fixed_size 5120
		.amdhsa_private_segment_fixed_size 0
		.amdhsa_kernarg_size 32
		.amdhsa_user_sgpr_count 6
		.amdhsa_user_sgpr_private_segment_buffer 1
		.amdhsa_user_sgpr_dispatch_ptr 0
		.amdhsa_user_sgpr_queue_ptr 0
		.amdhsa_user_sgpr_kernarg_segment_ptr 1
		.amdhsa_user_sgpr_dispatch_id 0
		.amdhsa_user_sgpr_flat_scratch_init 0
		.amdhsa_user_sgpr_kernarg_preload_length 0
		.amdhsa_user_sgpr_kernarg_preload_offset 0
		.amdhsa_user_sgpr_private_segment_size 0
		.amdhsa_uses_dynamic_stack 0
		.amdhsa_system_sgpr_private_segment_wavefront_offset 0
		.amdhsa_system_sgpr_workgroup_id_x 1
		.amdhsa_system_sgpr_workgroup_id_y 0
		.amdhsa_system_sgpr_workgroup_id_z 0
		.amdhsa_system_sgpr_workgroup_info 0
		.amdhsa_system_vgpr_workitem_id 0
		.amdhsa_next_free_vgpr 27
		.amdhsa_next_free_sgpr 24
		.amdhsa_accum_offset 28
		.amdhsa_reserve_vcc 1
		.amdhsa_reserve_flat_scratch 0
		.amdhsa_float_round_mode_32 0
		.amdhsa_float_round_mode_16_64 0
		.amdhsa_float_denorm_mode_32 3
		.amdhsa_float_denorm_mode_16_64 3
		.amdhsa_dx10_clamp 1
		.amdhsa_ieee_mode 1
		.amdhsa_fp16_overflow 0
		.amdhsa_tg_split 0
		.amdhsa_exception_fp_ieee_invalid_op 0
		.amdhsa_exception_fp_denorm_src 0
		.amdhsa_exception_fp_ieee_div_zero 0
		.amdhsa_exception_fp_ieee_overflow 0
		.amdhsa_exception_fp_ieee_underflow 0
		.amdhsa_exception_fp_ieee_inexact 0
		.amdhsa_exception_int_div_zero 0
	.end_amdhsa_kernel
	.section	.text._ZN7rocprim17ROCPRIM_400000_NS6detail17trampoline_kernelINS0_14default_configENS1_20scan_config_selectorIiEEZZNS1_9scan_implILNS1_25lookback_scan_determinismE0ELb0ELb0ES3_N6thrust23THRUST_200600_302600_NS6detail15normal_iteratorINS9_10device_ptrIiEEEESE_iNS9_4plusIiEEiEEDaPvRmT3_T4_T5_mT6_P12ihipStream_tbENKUlT_T0_E_clISt17integral_constantIbLb0EEST_IbLb1EEEEDaSP_SQ_EUlSP_E0_NS1_11comp_targetILNS1_3genE4ELNS1_11target_archE910ELNS1_3gpuE8ELNS1_3repE0EEENS1_30default_config_static_selectorELNS0_4arch9wavefront6targetE1EEEvT1_,"axG",@progbits,_ZN7rocprim17ROCPRIM_400000_NS6detail17trampoline_kernelINS0_14default_configENS1_20scan_config_selectorIiEEZZNS1_9scan_implILNS1_25lookback_scan_determinismE0ELb0ELb0ES3_N6thrust23THRUST_200600_302600_NS6detail15normal_iteratorINS9_10device_ptrIiEEEESE_iNS9_4plusIiEEiEEDaPvRmT3_T4_T5_mT6_P12ihipStream_tbENKUlT_T0_E_clISt17integral_constantIbLb0EEST_IbLb1EEEEDaSP_SQ_EUlSP_E0_NS1_11comp_targetILNS1_3genE4ELNS1_11target_archE910ELNS1_3gpuE8ELNS1_3repE0EEENS1_30default_config_static_selectorELNS0_4arch9wavefront6targetE1EEEvT1_,comdat
.Lfunc_end581:
	.size	_ZN7rocprim17ROCPRIM_400000_NS6detail17trampoline_kernelINS0_14default_configENS1_20scan_config_selectorIiEEZZNS1_9scan_implILNS1_25lookback_scan_determinismE0ELb0ELb0ES3_N6thrust23THRUST_200600_302600_NS6detail15normal_iteratorINS9_10device_ptrIiEEEESE_iNS9_4plusIiEEiEEDaPvRmT3_T4_T5_mT6_P12ihipStream_tbENKUlT_T0_E_clISt17integral_constantIbLb0EEST_IbLb1EEEEDaSP_SQ_EUlSP_E0_NS1_11comp_targetILNS1_3genE4ELNS1_11target_archE910ELNS1_3gpuE8ELNS1_3repE0EEENS1_30default_config_static_selectorELNS0_4arch9wavefront6targetE1EEEvT1_, .Lfunc_end581-_ZN7rocprim17ROCPRIM_400000_NS6detail17trampoline_kernelINS0_14default_configENS1_20scan_config_selectorIiEEZZNS1_9scan_implILNS1_25lookback_scan_determinismE0ELb0ELb0ES3_N6thrust23THRUST_200600_302600_NS6detail15normal_iteratorINS9_10device_ptrIiEEEESE_iNS9_4plusIiEEiEEDaPvRmT3_T4_T5_mT6_P12ihipStream_tbENKUlT_T0_E_clISt17integral_constantIbLb0EEST_IbLb1EEEEDaSP_SQ_EUlSP_E0_NS1_11comp_targetILNS1_3genE4ELNS1_11target_archE910ELNS1_3gpuE8ELNS1_3repE0EEENS1_30default_config_static_selectorELNS0_4arch9wavefront6targetE1EEEvT1_
                                        ; -- End function
	.section	.AMDGPU.csdata,"",@progbits
; Kernel info:
; codeLenInByte = 1556
; NumSgprs: 28
; NumVgprs: 27
; NumAgprs: 0
; TotalNumVgprs: 27
; ScratchSize: 0
; MemoryBound: 0
; FloatMode: 240
; IeeeMode: 1
; LDSByteSize: 5120 bytes/workgroup (compile time only)
; SGPRBlocks: 3
; VGPRBlocks: 3
; NumSGPRsForWavesPerEU: 28
; NumVGPRsForWavesPerEU: 27
; AccumOffset: 28
; Occupancy: 6
; WaveLimiterHint : 0
; COMPUTE_PGM_RSRC2:SCRATCH_EN: 0
; COMPUTE_PGM_RSRC2:USER_SGPR: 6
; COMPUTE_PGM_RSRC2:TRAP_HANDLER: 0
; COMPUTE_PGM_RSRC2:TGID_X_EN: 1
; COMPUTE_PGM_RSRC2:TGID_Y_EN: 0
; COMPUTE_PGM_RSRC2:TGID_Z_EN: 0
; COMPUTE_PGM_RSRC2:TIDIG_COMP_CNT: 0
; COMPUTE_PGM_RSRC3_GFX90A:ACCUM_OFFSET: 6
; COMPUTE_PGM_RSRC3_GFX90A:TG_SPLIT: 0
	.section	.text._ZN7rocprim17ROCPRIM_400000_NS6detail17trampoline_kernelINS0_14default_configENS1_20scan_config_selectorIiEEZZNS1_9scan_implILNS1_25lookback_scan_determinismE0ELb0ELb0ES3_N6thrust23THRUST_200600_302600_NS6detail15normal_iteratorINS9_10device_ptrIiEEEESE_iNS9_4plusIiEEiEEDaPvRmT3_T4_T5_mT6_P12ihipStream_tbENKUlT_T0_E_clISt17integral_constantIbLb0EEST_IbLb1EEEEDaSP_SQ_EUlSP_E0_NS1_11comp_targetILNS1_3genE3ELNS1_11target_archE908ELNS1_3gpuE7ELNS1_3repE0EEENS1_30default_config_static_selectorELNS0_4arch9wavefront6targetE1EEEvT1_,"axG",@progbits,_ZN7rocprim17ROCPRIM_400000_NS6detail17trampoline_kernelINS0_14default_configENS1_20scan_config_selectorIiEEZZNS1_9scan_implILNS1_25lookback_scan_determinismE0ELb0ELb0ES3_N6thrust23THRUST_200600_302600_NS6detail15normal_iteratorINS9_10device_ptrIiEEEESE_iNS9_4plusIiEEiEEDaPvRmT3_T4_T5_mT6_P12ihipStream_tbENKUlT_T0_E_clISt17integral_constantIbLb0EEST_IbLb1EEEEDaSP_SQ_EUlSP_E0_NS1_11comp_targetILNS1_3genE3ELNS1_11target_archE908ELNS1_3gpuE7ELNS1_3repE0EEENS1_30default_config_static_selectorELNS0_4arch9wavefront6targetE1EEEvT1_,comdat
	.protected	_ZN7rocprim17ROCPRIM_400000_NS6detail17trampoline_kernelINS0_14default_configENS1_20scan_config_selectorIiEEZZNS1_9scan_implILNS1_25lookback_scan_determinismE0ELb0ELb0ES3_N6thrust23THRUST_200600_302600_NS6detail15normal_iteratorINS9_10device_ptrIiEEEESE_iNS9_4plusIiEEiEEDaPvRmT3_T4_T5_mT6_P12ihipStream_tbENKUlT_T0_E_clISt17integral_constantIbLb0EEST_IbLb1EEEEDaSP_SQ_EUlSP_E0_NS1_11comp_targetILNS1_3genE3ELNS1_11target_archE908ELNS1_3gpuE7ELNS1_3repE0EEENS1_30default_config_static_selectorELNS0_4arch9wavefront6targetE1EEEvT1_ ; -- Begin function _ZN7rocprim17ROCPRIM_400000_NS6detail17trampoline_kernelINS0_14default_configENS1_20scan_config_selectorIiEEZZNS1_9scan_implILNS1_25lookback_scan_determinismE0ELb0ELb0ES3_N6thrust23THRUST_200600_302600_NS6detail15normal_iteratorINS9_10device_ptrIiEEEESE_iNS9_4plusIiEEiEEDaPvRmT3_T4_T5_mT6_P12ihipStream_tbENKUlT_T0_E_clISt17integral_constantIbLb0EEST_IbLb1EEEEDaSP_SQ_EUlSP_E0_NS1_11comp_targetILNS1_3genE3ELNS1_11target_archE908ELNS1_3gpuE7ELNS1_3repE0EEENS1_30default_config_static_selectorELNS0_4arch9wavefront6targetE1EEEvT1_
	.globl	_ZN7rocprim17ROCPRIM_400000_NS6detail17trampoline_kernelINS0_14default_configENS1_20scan_config_selectorIiEEZZNS1_9scan_implILNS1_25lookback_scan_determinismE0ELb0ELb0ES3_N6thrust23THRUST_200600_302600_NS6detail15normal_iteratorINS9_10device_ptrIiEEEESE_iNS9_4plusIiEEiEEDaPvRmT3_T4_T5_mT6_P12ihipStream_tbENKUlT_T0_E_clISt17integral_constantIbLb0EEST_IbLb1EEEEDaSP_SQ_EUlSP_E0_NS1_11comp_targetILNS1_3genE3ELNS1_11target_archE908ELNS1_3gpuE7ELNS1_3repE0EEENS1_30default_config_static_selectorELNS0_4arch9wavefront6targetE1EEEvT1_
	.p2align	8
	.type	_ZN7rocprim17ROCPRIM_400000_NS6detail17trampoline_kernelINS0_14default_configENS1_20scan_config_selectorIiEEZZNS1_9scan_implILNS1_25lookback_scan_determinismE0ELb0ELb0ES3_N6thrust23THRUST_200600_302600_NS6detail15normal_iteratorINS9_10device_ptrIiEEEESE_iNS9_4plusIiEEiEEDaPvRmT3_T4_T5_mT6_P12ihipStream_tbENKUlT_T0_E_clISt17integral_constantIbLb0EEST_IbLb1EEEEDaSP_SQ_EUlSP_E0_NS1_11comp_targetILNS1_3genE3ELNS1_11target_archE908ELNS1_3gpuE7ELNS1_3repE0EEENS1_30default_config_static_selectorELNS0_4arch9wavefront6targetE1EEEvT1_,@function
_ZN7rocprim17ROCPRIM_400000_NS6detail17trampoline_kernelINS0_14default_configENS1_20scan_config_selectorIiEEZZNS1_9scan_implILNS1_25lookback_scan_determinismE0ELb0ELb0ES3_N6thrust23THRUST_200600_302600_NS6detail15normal_iteratorINS9_10device_ptrIiEEEESE_iNS9_4plusIiEEiEEDaPvRmT3_T4_T5_mT6_P12ihipStream_tbENKUlT_T0_E_clISt17integral_constantIbLb0EEST_IbLb1EEEEDaSP_SQ_EUlSP_E0_NS1_11comp_targetILNS1_3genE3ELNS1_11target_archE908ELNS1_3gpuE7ELNS1_3repE0EEENS1_30default_config_static_selectorELNS0_4arch9wavefront6targetE1EEEvT1_: ; @_ZN7rocprim17ROCPRIM_400000_NS6detail17trampoline_kernelINS0_14default_configENS1_20scan_config_selectorIiEEZZNS1_9scan_implILNS1_25lookback_scan_determinismE0ELb0ELb0ES3_N6thrust23THRUST_200600_302600_NS6detail15normal_iteratorINS9_10device_ptrIiEEEESE_iNS9_4plusIiEEiEEDaPvRmT3_T4_T5_mT6_P12ihipStream_tbENKUlT_T0_E_clISt17integral_constantIbLb0EEST_IbLb1EEEEDaSP_SQ_EUlSP_E0_NS1_11comp_targetILNS1_3genE3ELNS1_11target_archE908ELNS1_3gpuE7ELNS1_3repE0EEENS1_30default_config_static_selectorELNS0_4arch9wavefront6targetE1EEEvT1_
; %bb.0:
	.section	.rodata,"a",@progbits
	.p2align	6, 0x0
	.amdhsa_kernel _ZN7rocprim17ROCPRIM_400000_NS6detail17trampoline_kernelINS0_14default_configENS1_20scan_config_selectorIiEEZZNS1_9scan_implILNS1_25lookback_scan_determinismE0ELb0ELb0ES3_N6thrust23THRUST_200600_302600_NS6detail15normal_iteratorINS9_10device_ptrIiEEEESE_iNS9_4plusIiEEiEEDaPvRmT3_T4_T5_mT6_P12ihipStream_tbENKUlT_T0_E_clISt17integral_constantIbLb0EEST_IbLb1EEEEDaSP_SQ_EUlSP_E0_NS1_11comp_targetILNS1_3genE3ELNS1_11target_archE908ELNS1_3gpuE7ELNS1_3repE0EEENS1_30default_config_static_selectorELNS0_4arch9wavefront6targetE1EEEvT1_
		.amdhsa_group_segment_fixed_size 0
		.amdhsa_private_segment_fixed_size 0
		.amdhsa_kernarg_size 32
		.amdhsa_user_sgpr_count 6
		.amdhsa_user_sgpr_private_segment_buffer 1
		.amdhsa_user_sgpr_dispatch_ptr 0
		.amdhsa_user_sgpr_queue_ptr 0
		.amdhsa_user_sgpr_kernarg_segment_ptr 1
		.amdhsa_user_sgpr_dispatch_id 0
		.amdhsa_user_sgpr_flat_scratch_init 0
		.amdhsa_user_sgpr_kernarg_preload_length 0
		.amdhsa_user_sgpr_kernarg_preload_offset 0
		.amdhsa_user_sgpr_private_segment_size 0
		.amdhsa_uses_dynamic_stack 0
		.amdhsa_system_sgpr_private_segment_wavefront_offset 0
		.amdhsa_system_sgpr_workgroup_id_x 1
		.amdhsa_system_sgpr_workgroup_id_y 0
		.amdhsa_system_sgpr_workgroup_id_z 0
		.amdhsa_system_sgpr_workgroup_info 0
		.amdhsa_system_vgpr_workitem_id 0
		.amdhsa_next_free_vgpr 1
		.amdhsa_next_free_sgpr 0
		.amdhsa_accum_offset 4
		.amdhsa_reserve_vcc 0
		.amdhsa_reserve_flat_scratch 0
		.amdhsa_float_round_mode_32 0
		.amdhsa_float_round_mode_16_64 0
		.amdhsa_float_denorm_mode_32 3
		.amdhsa_float_denorm_mode_16_64 3
		.amdhsa_dx10_clamp 1
		.amdhsa_ieee_mode 1
		.amdhsa_fp16_overflow 0
		.amdhsa_tg_split 0
		.amdhsa_exception_fp_ieee_invalid_op 0
		.amdhsa_exception_fp_denorm_src 0
		.amdhsa_exception_fp_ieee_div_zero 0
		.amdhsa_exception_fp_ieee_overflow 0
		.amdhsa_exception_fp_ieee_underflow 0
		.amdhsa_exception_fp_ieee_inexact 0
		.amdhsa_exception_int_div_zero 0
	.end_amdhsa_kernel
	.section	.text._ZN7rocprim17ROCPRIM_400000_NS6detail17trampoline_kernelINS0_14default_configENS1_20scan_config_selectorIiEEZZNS1_9scan_implILNS1_25lookback_scan_determinismE0ELb0ELb0ES3_N6thrust23THRUST_200600_302600_NS6detail15normal_iteratorINS9_10device_ptrIiEEEESE_iNS9_4plusIiEEiEEDaPvRmT3_T4_T5_mT6_P12ihipStream_tbENKUlT_T0_E_clISt17integral_constantIbLb0EEST_IbLb1EEEEDaSP_SQ_EUlSP_E0_NS1_11comp_targetILNS1_3genE3ELNS1_11target_archE908ELNS1_3gpuE7ELNS1_3repE0EEENS1_30default_config_static_selectorELNS0_4arch9wavefront6targetE1EEEvT1_,"axG",@progbits,_ZN7rocprim17ROCPRIM_400000_NS6detail17trampoline_kernelINS0_14default_configENS1_20scan_config_selectorIiEEZZNS1_9scan_implILNS1_25lookback_scan_determinismE0ELb0ELb0ES3_N6thrust23THRUST_200600_302600_NS6detail15normal_iteratorINS9_10device_ptrIiEEEESE_iNS9_4plusIiEEiEEDaPvRmT3_T4_T5_mT6_P12ihipStream_tbENKUlT_T0_E_clISt17integral_constantIbLb0EEST_IbLb1EEEEDaSP_SQ_EUlSP_E0_NS1_11comp_targetILNS1_3genE3ELNS1_11target_archE908ELNS1_3gpuE7ELNS1_3repE0EEENS1_30default_config_static_selectorELNS0_4arch9wavefront6targetE1EEEvT1_,comdat
.Lfunc_end582:
	.size	_ZN7rocprim17ROCPRIM_400000_NS6detail17trampoline_kernelINS0_14default_configENS1_20scan_config_selectorIiEEZZNS1_9scan_implILNS1_25lookback_scan_determinismE0ELb0ELb0ES3_N6thrust23THRUST_200600_302600_NS6detail15normal_iteratorINS9_10device_ptrIiEEEESE_iNS9_4plusIiEEiEEDaPvRmT3_T4_T5_mT6_P12ihipStream_tbENKUlT_T0_E_clISt17integral_constantIbLb0EEST_IbLb1EEEEDaSP_SQ_EUlSP_E0_NS1_11comp_targetILNS1_3genE3ELNS1_11target_archE908ELNS1_3gpuE7ELNS1_3repE0EEENS1_30default_config_static_selectorELNS0_4arch9wavefront6targetE1EEEvT1_, .Lfunc_end582-_ZN7rocprim17ROCPRIM_400000_NS6detail17trampoline_kernelINS0_14default_configENS1_20scan_config_selectorIiEEZZNS1_9scan_implILNS1_25lookback_scan_determinismE0ELb0ELb0ES3_N6thrust23THRUST_200600_302600_NS6detail15normal_iteratorINS9_10device_ptrIiEEEESE_iNS9_4plusIiEEiEEDaPvRmT3_T4_T5_mT6_P12ihipStream_tbENKUlT_T0_E_clISt17integral_constantIbLb0EEST_IbLb1EEEEDaSP_SQ_EUlSP_E0_NS1_11comp_targetILNS1_3genE3ELNS1_11target_archE908ELNS1_3gpuE7ELNS1_3repE0EEENS1_30default_config_static_selectorELNS0_4arch9wavefront6targetE1EEEvT1_
                                        ; -- End function
	.section	.AMDGPU.csdata,"",@progbits
; Kernel info:
; codeLenInByte = 0
; NumSgprs: 4
; NumVgprs: 0
; NumAgprs: 0
; TotalNumVgprs: 0
; ScratchSize: 0
; MemoryBound: 0
; FloatMode: 240
; IeeeMode: 1
; LDSByteSize: 0 bytes/workgroup (compile time only)
; SGPRBlocks: 0
; VGPRBlocks: 0
; NumSGPRsForWavesPerEU: 4
; NumVGPRsForWavesPerEU: 1
; AccumOffset: 4
; Occupancy: 8
; WaveLimiterHint : 0
; COMPUTE_PGM_RSRC2:SCRATCH_EN: 0
; COMPUTE_PGM_RSRC2:USER_SGPR: 6
; COMPUTE_PGM_RSRC2:TRAP_HANDLER: 0
; COMPUTE_PGM_RSRC2:TGID_X_EN: 1
; COMPUTE_PGM_RSRC2:TGID_Y_EN: 0
; COMPUTE_PGM_RSRC2:TGID_Z_EN: 0
; COMPUTE_PGM_RSRC2:TIDIG_COMP_CNT: 0
; COMPUTE_PGM_RSRC3_GFX90A:ACCUM_OFFSET: 0
; COMPUTE_PGM_RSRC3_GFX90A:TG_SPLIT: 0
	.section	.text._ZN7rocprim17ROCPRIM_400000_NS6detail17trampoline_kernelINS0_14default_configENS1_20scan_config_selectorIiEEZZNS1_9scan_implILNS1_25lookback_scan_determinismE0ELb0ELb0ES3_N6thrust23THRUST_200600_302600_NS6detail15normal_iteratorINS9_10device_ptrIiEEEESE_iNS9_4plusIiEEiEEDaPvRmT3_T4_T5_mT6_P12ihipStream_tbENKUlT_T0_E_clISt17integral_constantIbLb0EEST_IbLb1EEEEDaSP_SQ_EUlSP_E0_NS1_11comp_targetILNS1_3genE2ELNS1_11target_archE906ELNS1_3gpuE6ELNS1_3repE0EEENS1_30default_config_static_selectorELNS0_4arch9wavefront6targetE1EEEvT1_,"axG",@progbits,_ZN7rocprim17ROCPRIM_400000_NS6detail17trampoline_kernelINS0_14default_configENS1_20scan_config_selectorIiEEZZNS1_9scan_implILNS1_25lookback_scan_determinismE0ELb0ELb0ES3_N6thrust23THRUST_200600_302600_NS6detail15normal_iteratorINS9_10device_ptrIiEEEESE_iNS9_4plusIiEEiEEDaPvRmT3_T4_T5_mT6_P12ihipStream_tbENKUlT_T0_E_clISt17integral_constantIbLb0EEST_IbLb1EEEEDaSP_SQ_EUlSP_E0_NS1_11comp_targetILNS1_3genE2ELNS1_11target_archE906ELNS1_3gpuE6ELNS1_3repE0EEENS1_30default_config_static_selectorELNS0_4arch9wavefront6targetE1EEEvT1_,comdat
	.protected	_ZN7rocprim17ROCPRIM_400000_NS6detail17trampoline_kernelINS0_14default_configENS1_20scan_config_selectorIiEEZZNS1_9scan_implILNS1_25lookback_scan_determinismE0ELb0ELb0ES3_N6thrust23THRUST_200600_302600_NS6detail15normal_iteratorINS9_10device_ptrIiEEEESE_iNS9_4plusIiEEiEEDaPvRmT3_T4_T5_mT6_P12ihipStream_tbENKUlT_T0_E_clISt17integral_constantIbLb0EEST_IbLb1EEEEDaSP_SQ_EUlSP_E0_NS1_11comp_targetILNS1_3genE2ELNS1_11target_archE906ELNS1_3gpuE6ELNS1_3repE0EEENS1_30default_config_static_selectorELNS0_4arch9wavefront6targetE1EEEvT1_ ; -- Begin function _ZN7rocprim17ROCPRIM_400000_NS6detail17trampoline_kernelINS0_14default_configENS1_20scan_config_selectorIiEEZZNS1_9scan_implILNS1_25lookback_scan_determinismE0ELb0ELb0ES3_N6thrust23THRUST_200600_302600_NS6detail15normal_iteratorINS9_10device_ptrIiEEEESE_iNS9_4plusIiEEiEEDaPvRmT3_T4_T5_mT6_P12ihipStream_tbENKUlT_T0_E_clISt17integral_constantIbLb0EEST_IbLb1EEEEDaSP_SQ_EUlSP_E0_NS1_11comp_targetILNS1_3genE2ELNS1_11target_archE906ELNS1_3gpuE6ELNS1_3repE0EEENS1_30default_config_static_selectorELNS0_4arch9wavefront6targetE1EEEvT1_
	.globl	_ZN7rocprim17ROCPRIM_400000_NS6detail17trampoline_kernelINS0_14default_configENS1_20scan_config_selectorIiEEZZNS1_9scan_implILNS1_25lookback_scan_determinismE0ELb0ELb0ES3_N6thrust23THRUST_200600_302600_NS6detail15normal_iteratorINS9_10device_ptrIiEEEESE_iNS9_4plusIiEEiEEDaPvRmT3_T4_T5_mT6_P12ihipStream_tbENKUlT_T0_E_clISt17integral_constantIbLb0EEST_IbLb1EEEEDaSP_SQ_EUlSP_E0_NS1_11comp_targetILNS1_3genE2ELNS1_11target_archE906ELNS1_3gpuE6ELNS1_3repE0EEENS1_30default_config_static_selectorELNS0_4arch9wavefront6targetE1EEEvT1_
	.p2align	8
	.type	_ZN7rocprim17ROCPRIM_400000_NS6detail17trampoline_kernelINS0_14default_configENS1_20scan_config_selectorIiEEZZNS1_9scan_implILNS1_25lookback_scan_determinismE0ELb0ELb0ES3_N6thrust23THRUST_200600_302600_NS6detail15normal_iteratorINS9_10device_ptrIiEEEESE_iNS9_4plusIiEEiEEDaPvRmT3_T4_T5_mT6_P12ihipStream_tbENKUlT_T0_E_clISt17integral_constantIbLb0EEST_IbLb1EEEEDaSP_SQ_EUlSP_E0_NS1_11comp_targetILNS1_3genE2ELNS1_11target_archE906ELNS1_3gpuE6ELNS1_3repE0EEENS1_30default_config_static_selectorELNS0_4arch9wavefront6targetE1EEEvT1_,@function
_ZN7rocprim17ROCPRIM_400000_NS6detail17trampoline_kernelINS0_14default_configENS1_20scan_config_selectorIiEEZZNS1_9scan_implILNS1_25lookback_scan_determinismE0ELb0ELb0ES3_N6thrust23THRUST_200600_302600_NS6detail15normal_iteratorINS9_10device_ptrIiEEEESE_iNS9_4plusIiEEiEEDaPvRmT3_T4_T5_mT6_P12ihipStream_tbENKUlT_T0_E_clISt17integral_constantIbLb0EEST_IbLb1EEEEDaSP_SQ_EUlSP_E0_NS1_11comp_targetILNS1_3genE2ELNS1_11target_archE906ELNS1_3gpuE6ELNS1_3repE0EEENS1_30default_config_static_selectorELNS0_4arch9wavefront6targetE1EEEvT1_: ; @_ZN7rocprim17ROCPRIM_400000_NS6detail17trampoline_kernelINS0_14default_configENS1_20scan_config_selectorIiEEZZNS1_9scan_implILNS1_25lookback_scan_determinismE0ELb0ELb0ES3_N6thrust23THRUST_200600_302600_NS6detail15normal_iteratorINS9_10device_ptrIiEEEESE_iNS9_4plusIiEEiEEDaPvRmT3_T4_T5_mT6_P12ihipStream_tbENKUlT_T0_E_clISt17integral_constantIbLb0EEST_IbLb1EEEEDaSP_SQ_EUlSP_E0_NS1_11comp_targetILNS1_3genE2ELNS1_11target_archE906ELNS1_3gpuE6ELNS1_3repE0EEENS1_30default_config_static_selectorELNS0_4arch9wavefront6targetE1EEEvT1_
; %bb.0:
	.section	.rodata,"a",@progbits
	.p2align	6, 0x0
	.amdhsa_kernel _ZN7rocprim17ROCPRIM_400000_NS6detail17trampoline_kernelINS0_14default_configENS1_20scan_config_selectorIiEEZZNS1_9scan_implILNS1_25lookback_scan_determinismE0ELb0ELb0ES3_N6thrust23THRUST_200600_302600_NS6detail15normal_iteratorINS9_10device_ptrIiEEEESE_iNS9_4plusIiEEiEEDaPvRmT3_T4_T5_mT6_P12ihipStream_tbENKUlT_T0_E_clISt17integral_constantIbLb0EEST_IbLb1EEEEDaSP_SQ_EUlSP_E0_NS1_11comp_targetILNS1_3genE2ELNS1_11target_archE906ELNS1_3gpuE6ELNS1_3repE0EEENS1_30default_config_static_selectorELNS0_4arch9wavefront6targetE1EEEvT1_
		.amdhsa_group_segment_fixed_size 0
		.amdhsa_private_segment_fixed_size 0
		.amdhsa_kernarg_size 32
		.amdhsa_user_sgpr_count 6
		.amdhsa_user_sgpr_private_segment_buffer 1
		.amdhsa_user_sgpr_dispatch_ptr 0
		.amdhsa_user_sgpr_queue_ptr 0
		.amdhsa_user_sgpr_kernarg_segment_ptr 1
		.amdhsa_user_sgpr_dispatch_id 0
		.amdhsa_user_sgpr_flat_scratch_init 0
		.amdhsa_user_sgpr_kernarg_preload_length 0
		.amdhsa_user_sgpr_kernarg_preload_offset 0
		.amdhsa_user_sgpr_private_segment_size 0
		.amdhsa_uses_dynamic_stack 0
		.amdhsa_system_sgpr_private_segment_wavefront_offset 0
		.amdhsa_system_sgpr_workgroup_id_x 1
		.amdhsa_system_sgpr_workgroup_id_y 0
		.amdhsa_system_sgpr_workgroup_id_z 0
		.amdhsa_system_sgpr_workgroup_info 0
		.amdhsa_system_vgpr_workitem_id 0
		.amdhsa_next_free_vgpr 1
		.amdhsa_next_free_sgpr 0
		.amdhsa_accum_offset 4
		.amdhsa_reserve_vcc 0
		.amdhsa_reserve_flat_scratch 0
		.amdhsa_float_round_mode_32 0
		.amdhsa_float_round_mode_16_64 0
		.amdhsa_float_denorm_mode_32 3
		.amdhsa_float_denorm_mode_16_64 3
		.amdhsa_dx10_clamp 1
		.amdhsa_ieee_mode 1
		.amdhsa_fp16_overflow 0
		.amdhsa_tg_split 0
		.amdhsa_exception_fp_ieee_invalid_op 0
		.amdhsa_exception_fp_denorm_src 0
		.amdhsa_exception_fp_ieee_div_zero 0
		.amdhsa_exception_fp_ieee_overflow 0
		.amdhsa_exception_fp_ieee_underflow 0
		.amdhsa_exception_fp_ieee_inexact 0
		.amdhsa_exception_int_div_zero 0
	.end_amdhsa_kernel
	.section	.text._ZN7rocprim17ROCPRIM_400000_NS6detail17trampoline_kernelINS0_14default_configENS1_20scan_config_selectorIiEEZZNS1_9scan_implILNS1_25lookback_scan_determinismE0ELb0ELb0ES3_N6thrust23THRUST_200600_302600_NS6detail15normal_iteratorINS9_10device_ptrIiEEEESE_iNS9_4plusIiEEiEEDaPvRmT3_T4_T5_mT6_P12ihipStream_tbENKUlT_T0_E_clISt17integral_constantIbLb0EEST_IbLb1EEEEDaSP_SQ_EUlSP_E0_NS1_11comp_targetILNS1_3genE2ELNS1_11target_archE906ELNS1_3gpuE6ELNS1_3repE0EEENS1_30default_config_static_selectorELNS0_4arch9wavefront6targetE1EEEvT1_,"axG",@progbits,_ZN7rocprim17ROCPRIM_400000_NS6detail17trampoline_kernelINS0_14default_configENS1_20scan_config_selectorIiEEZZNS1_9scan_implILNS1_25lookback_scan_determinismE0ELb0ELb0ES3_N6thrust23THRUST_200600_302600_NS6detail15normal_iteratorINS9_10device_ptrIiEEEESE_iNS9_4plusIiEEiEEDaPvRmT3_T4_T5_mT6_P12ihipStream_tbENKUlT_T0_E_clISt17integral_constantIbLb0EEST_IbLb1EEEEDaSP_SQ_EUlSP_E0_NS1_11comp_targetILNS1_3genE2ELNS1_11target_archE906ELNS1_3gpuE6ELNS1_3repE0EEENS1_30default_config_static_selectorELNS0_4arch9wavefront6targetE1EEEvT1_,comdat
.Lfunc_end583:
	.size	_ZN7rocprim17ROCPRIM_400000_NS6detail17trampoline_kernelINS0_14default_configENS1_20scan_config_selectorIiEEZZNS1_9scan_implILNS1_25lookback_scan_determinismE0ELb0ELb0ES3_N6thrust23THRUST_200600_302600_NS6detail15normal_iteratorINS9_10device_ptrIiEEEESE_iNS9_4plusIiEEiEEDaPvRmT3_T4_T5_mT6_P12ihipStream_tbENKUlT_T0_E_clISt17integral_constantIbLb0EEST_IbLb1EEEEDaSP_SQ_EUlSP_E0_NS1_11comp_targetILNS1_3genE2ELNS1_11target_archE906ELNS1_3gpuE6ELNS1_3repE0EEENS1_30default_config_static_selectorELNS0_4arch9wavefront6targetE1EEEvT1_, .Lfunc_end583-_ZN7rocprim17ROCPRIM_400000_NS6detail17trampoline_kernelINS0_14default_configENS1_20scan_config_selectorIiEEZZNS1_9scan_implILNS1_25lookback_scan_determinismE0ELb0ELb0ES3_N6thrust23THRUST_200600_302600_NS6detail15normal_iteratorINS9_10device_ptrIiEEEESE_iNS9_4plusIiEEiEEDaPvRmT3_T4_T5_mT6_P12ihipStream_tbENKUlT_T0_E_clISt17integral_constantIbLb0EEST_IbLb1EEEEDaSP_SQ_EUlSP_E0_NS1_11comp_targetILNS1_3genE2ELNS1_11target_archE906ELNS1_3gpuE6ELNS1_3repE0EEENS1_30default_config_static_selectorELNS0_4arch9wavefront6targetE1EEEvT1_
                                        ; -- End function
	.section	.AMDGPU.csdata,"",@progbits
; Kernel info:
; codeLenInByte = 0
; NumSgprs: 4
; NumVgprs: 0
; NumAgprs: 0
; TotalNumVgprs: 0
; ScratchSize: 0
; MemoryBound: 0
; FloatMode: 240
; IeeeMode: 1
; LDSByteSize: 0 bytes/workgroup (compile time only)
; SGPRBlocks: 0
; VGPRBlocks: 0
; NumSGPRsForWavesPerEU: 4
; NumVGPRsForWavesPerEU: 1
; AccumOffset: 4
; Occupancy: 8
; WaveLimiterHint : 0
; COMPUTE_PGM_RSRC2:SCRATCH_EN: 0
; COMPUTE_PGM_RSRC2:USER_SGPR: 6
; COMPUTE_PGM_RSRC2:TRAP_HANDLER: 0
; COMPUTE_PGM_RSRC2:TGID_X_EN: 1
; COMPUTE_PGM_RSRC2:TGID_Y_EN: 0
; COMPUTE_PGM_RSRC2:TGID_Z_EN: 0
; COMPUTE_PGM_RSRC2:TIDIG_COMP_CNT: 0
; COMPUTE_PGM_RSRC3_GFX90A:ACCUM_OFFSET: 0
; COMPUTE_PGM_RSRC3_GFX90A:TG_SPLIT: 0
	.section	.text._ZN7rocprim17ROCPRIM_400000_NS6detail17trampoline_kernelINS0_14default_configENS1_20scan_config_selectorIiEEZZNS1_9scan_implILNS1_25lookback_scan_determinismE0ELb0ELb0ES3_N6thrust23THRUST_200600_302600_NS6detail15normal_iteratorINS9_10device_ptrIiEEEESE_iNS9_4plusIiEEiEEDaPvRmT3_T4_T5_mT6_P12ihipStream_tbENKUlT_T0_E_clISt17integral_constantIbLb0EEST_IbLb1EEEEDaSP_SQ_EUlSP_E0_NS1_11comp_targetILNS1_3genE10ELNS1_11target_archE1201ELNS1_3gpuE5ELNS1_3repE0EEENS1_30default_config_static_selectorELNS0_4arch9wavefront6targetE1EEEvT1_,"axG",@progbits,_ZN7rocprim17ROCPRIM_400000_NS6detail17trampoline_kernelINS0_14default_configENS1_20scan_config_selectorIiEEZZNS1_9scan_implILNS1_25lookback_scan_determinismE0ELb0ELb0ES3_N6thrust23THRUST_200600_302600_NS6detail15normal_iteratorINS9_10device_ptrIiEEEESE_iNS9_4plusIiEEiEEDaPvRmT3_T4_T5_mT6_P12ihipStream_tbENKUlT_T0_E_clISt17integral_constantIbLb0EEST_IbLb1EEEEDaSP_SQ_EUlSP_E0_NS1_11comp_targetILNS1_3genE10ELNS1_11target_archE1201ELNS1_3gpuE5ELNS1_3repE0EEENS1_30default_config_static_selectorELNS0_4arch9wavefront6targetE1EEEvT1_,comdat
	.protected	_ZN7rocprim17ROCPRIM_400000_NS6detail17trampoline_kernelINS0_14default_configENS1_20scan_config_selectorIiEEZZNS1_9scan_implILNS1_25lookback_scan_determinismE0ELb0ELb0ES3_N6thrust23THRUST_200600_302600_NS6detail15normal_iteratorINS9_10device_ptrIiEEEESE_iNS9_4plusIiEEiEEDaPvRmT3_T4_T5_mT6_P12ihipStream_tbENKUlT_T0_E_clISt17integral_constantIbLb0EEST_IbLb1EEEEDaSP_SQ_EUlSP_E0_NS1_11comp_targetILNS1_3genE10ELNS1_11target_archE1201ELNS1_3gpuE5ELNS1_3repE0EEENS1_30default_config_static_selectorELNS0_4arch9wavefront6targetE1EEEvT1_ ; -- Begin function _ZN7rocprim17ROCPRIM_400000_NS6detail17trampoline_kernelINS0_14default_configENS1_20scan_config_selectorIiEEZZNS1_9scan_implILNS1_25lookback_scan_determinismE0ELb0ELb0ES3_N6thrust23THRUST_200600_302600_NS6detail15normal_iteratorINS9_10device_ptrIiEEEESE_iNS9_4plusIiEEiEEDaPvRmT3_T4_T5_mT6_P12ihipStream_tbENKUlT_T0_E_clISt17integral_constantIbLb0EEST_IbLb1EEEEDaSP_SQ_EUlSP_E0_NS1_11comp_targetILNS1_3genE10ELNS1_11target_archE1201ELNS1_3gpuE5ELNS1_3repE0EEENS1_30default_config_static_selectorELNS0_4arch9wavefront6targetE1EEEvT1_
	.globl	_ZN7rocprim17ROCPRIM_400000_NS6detail17trampoline_kernelINS0_14default_configENS1_20scan_config_selectorIiEEZZNS1_9scan_implILNS1_25lookback_scan_determinismE0ELb0ELb0ES3_N6thrust23THRUST_200600_302600_NS6detail15normal_iteratorINS9_10device_ptrIiEEEESE_iNS9_4plusIiEEiEEDaPvRmT3_T4_T5_mT6_P12ihipStream_tbENKUlT_T0_E_clISt17integral_constantIbLb0EEST_IbLb1EEEEDaSP_SQ_EUlSP_E0_NS1_11comp_targetILNS1_3genE10ELNS1_11target_archE1201ELNS1_3gpuE5ELNS1_3repE0EEENS1_30default_config_static_selectorELNS0_4arch9wavefront6targetE1EEEvT1_
	.p2align	8
	.type	_ZN7rocprim17ROCPRIM_400000_NS6detail17trampoline_kernelINS0_14default_configENS1_20scan_config_selectorIiEEZZNS1_9scan_implILNS1_25lookback_scan_determinismE0ELb0ELb0ES3_N6thrust23THRUST_200600_302600_NS6detail15normal_iteratorINS9_10device_ptrIiEEEESE_iNS9_4plusIiEEiEEDaPvRmT3_T4_T5_mT6_P12ihipStream_tbENKUlT_T0_E_clISt17integral_constantIbLb0EEST_IbLb1EEEEDaSP_SQ_EUlSP_E0_NS1_11comp_targetILNS1_3genE10ELNS1_11target_archE1201ELNS1_3gpuE5ELNS1_3repE0EEENS1_30default_config_static_selectorELNS0_4arch9wavefront6targetE1EEEvT1_,@function
_ZN7rocprim17ROCPRIM_400000_NS6detail17trampoline_kernelINS0_14default_configENS1_20scan_config_selectorIiEEZZNS1_9scan_implILNS1_25lookback_scan_determinismE0ELb0ELb0ES3_N6thrust23THRUST_200600_302600_NS6detail15normal_iteratorINS9_10device_ptrIiEEEESE_iNS9_4plusIiEEiEEDaPvRmT3_T4_T5_mT6_P12ihipStream_tbENKUlT_T0_E_clISt17integral_constantIbLb0EEST_IbLb1EEEEDaSP_SQ_EUlSP_E0_NS1_11comp_targetILNS1_3genE10ELNS1_11target_archE1201ELNS1_3gpuE5ELNS1_3repE0EEENS1_30default_config_static_selectorELNS0_4arch9wavefront6targetE1EEEvT1_: ; @_ZN7rocprim17ROCPRIM_400000_NS6detail17trampoline_kernelINS0_14default_configENS1_20scan_config_selectorIiEEZZNS1_9scan_implILNS1_25lookback_scan_determinismE0ELb0ELb0ES3_N6thrust23THRUST_200600_302600_NS6detail15normal_iteratorINS9_10device_ptrIiEEEESE_iNS9_4plusIiEEiEEDaPvRmT3_T4_T5_mT6_P12ihipStream_tbENKUlT_T0_E_clISt17integral_constantIbLb0EEST_IbLb1EEEEDaSP_SQ_EUlSP_E0_NS1_11comp_targetILNS1_3genE10ELNS1_11target_archE1201ELNS1_3gpuE5ELNS1_3repE0EEENS1_30default_config_static_selectorELNS0_4arch9wavefront6targetE1EEEvT1_
; %bb.0:
	.section	.rodata,"a",@progbits
	.p2align	6, 0x0
	.amdhsa_kernel _ZN7rocprim17ROCPRIM_400000_NS6detail17trampoline_kernelINS0_14default_configENS1_20scan_config_selectorIiEEZZNS1_9scan_implILNS1_25lookback_scan_determinismE0ELb0ELb0ES3_N6thrust23THRUST_200600_302600_NS6detail15normal_iteratorINS9_10device_ptrIiEEEESE_iNS9_4plusIiEEiEEDaPvRmT3_T4_T5_mT6_P12ihipStream_tbENKUlT_T0_E_clISt17integral_constantIbLb0EEST_IbLb1EEEEDaSP_SQ_EUlSP_E0_NS1_11comp_targetILNS1_3genE10ELNS1_11target_archE1201ELNS1_3gpuE5ELNS1_3repE0EEENS1_30default_config_static_selectorELNS0_4arch9wavefront6targetE1EEEvT1_
		.amdhsa_group_segment_fixed_size 0
		.amdhsa_private_segment_fixed_size 0
		.amdhsa_kernarg_size 32
		.amdhsa_user_sgpr_count 6
		.amdhsa_user_sgpr_private_segment_buffer 1
		.amdhsa_user_sgpr_dispatch_ptr 0
		.amdhsa_user_sgpr_queue_ptr 0
		.amdhsa_user_sgpr_kernarg_segment_ptr 1
		.amdhsa_user_sgpr_dispatch_id 0
		.amdhsa_user_sgpr_flat_scratch_init 0
		.amdhsa_user_sgpr_kernarg_preload_length 0
		.amdhsa_user_sgpr_kernarg_preload_offset 0
		.amdhsa_user_sgpr_private_segment_size 0
		.amdhsa_uses_dynamic_stack 0
		.amdhsa_system_sgpr_private_segment_wavefront_offset 0
		.amdhsa_system_sgpr_workgroup_id_x 1
		.amdhsa_system_sgpr_workgroup_id_y 0
		.amdhsa_system_sgpr_workgroup_id_z 0
		.amdhsa_system_sgpr_workgroup_info 0
		.amdhsa_system_vgpr_workitem_id 0
		.amdhsa_next_free_vgpr 1
		.amdhsa_next_free_sgpr 0
		.amdhsa_accum_offset 4
		.amdhsa_reserve_vcc 0
		.amdhsa_reserve_flat_scratch 0
		.amdhsa_float_round_mode_32 0
		.amdhsa_float_round_mode_16_64 0
		.amdhsa_float_denorm_mode_32 3
		.amdhsa_float_denorm_mode_16_64 3
		.amdhsa_dx10_clamp 1
		.amdhsa_ieee_mode 1
		.amdhsa_fp16_overflow 0
		.amdhsa_tg_split 0
		.amdhsa_exception_fp_ieee_invalid_op 0
		.amdhsa_exception_fp_denorm_src 0
		.amdhsa_exception_fp_ieee_div_zero 0
		.amdhsa_exception_fp_ieee_overflow 0
		.amdhsa_exception_fp_ieee_underflow 0
		.amdhsa_exception_fp_ieee_inexact 0
		.amdhsa_exception_int_div_zero 0
	.end_amdhsa_kernel
	.section	.text._ZN7rocprim17ROCPRIM_400000_NS6detail17trampoline_kernelINS0_14default_configENS1_20scan_config_selectorIiEEZZNS1_9scan_implILNS1_25lookback_scan_determinismE0ELb0ELb0ES3_N6thrust23THRUST_200600_302600_NS6detail15normal_iteratorINS9_10device_ptrIiEEEESE_iNS9_4plusIiEEiEEDaPvRmT3_T4_T5_mT6_P12ihipStream_tbENKUlT_T0_E_clISt17integral_constantIbLb0EEST_IbLb1EEEEDaSP_SQ_EUlSP_E0_NS1_11comp_targetILNS1_3genE10ELNS1_11target_archE1201ELNS1_3gpuE5ELNS1_3repE0EEENS1_30default_config_static_selectorELNS0_4arch9wavefront6targetE1EEEvT1_,"axG",@progbits,_ZN7rocprim17ROCPRIM_400000_NS6detail17trampoline_kernelINS0_14default_configENS1_20scan_config_selectorIiEEZZNS1_9scan_implILNS1_25lookback_scan_determinismE0ELb0ELb0ES3_N6thrust23THRUST_200600_302600_NS6detail15normal_iteratorINS9_10device_ptrIiEEEESE_iNS9_4plusIiEEiEEDaPvRmT3_T4_T5_mT6_P12ihipStream_tbENKUlT_T0_E_clISt17integral_constantIbLb0EEST_IbLb1EEEEDaSP_SQ_EUlSP_E0_NS1_11comp_targetILNS1_3genE10ELNS1_11target_archE1201ELNS1_3gpuE5ELNS1_3repE0EEENS1_30default_config_static_selectorELNS0_4arch9wavefront6targetE1EEEvT1_,comdat
.Lfunc_end584:
	.size	_ZN7rocprim17ROCPRIM_400000_NS6detail17trampoline_kernelINS0_14default_configENS1_20scan_config_selectorIiEEZZNS1_9scan_implILNS1_25lookback_scan_determinismE0ELb0ELb0ES3_N6thrust23THRUST_200600_302600_NS6detail15normal_iteratorINS9_10device_ptrIiEEEESE_iNS9_4plusIiEEiEEDaPvRmT3_T4_T5_mT6_P12ihipStream_tbENKUlT_T0_E_clISt17integral_constantIbLb0EEST_IbLb1EEEEDaSP_SQ_EUlSP_E0_NS1_11comp_targetILNS1_3genE10ELNS1_11target_archE1201ELNS1_3gpuE5ELNS1_3repE0EEENS1_30default_config_static_selectorELNS0_4arch9wavefront6targetE1EEEvT1_, .Lfunc_end584-_ZN7rocprim17ROCPRIM_400000_NS6detail17trampoline_kernelINS0_14default_configENS1_20scan_config_selectorIiEEZZNS1_9scan_implILNS1_25lookback_scan_determinismE0ELb0ELb0ES3_N6thrust23THRUST_200600_302600_NS6detail15normal_iteratorINS9_10device_ptrIiEEEESE_iNS9_4plusIiEEiEEDaPvRmT3_T4_T5_mT6_P12ihipStream_tbENKUlT_T0_E_clISt17integral_constantIbLb0EEST_IbLb1EEEEDaSP_SQ_EUlSP_E0_NS1_11comp_targetILNS1_3genE10ELNS1_11target_archE1201ELNS1_3gpuE5ELNS1_3repE0EEENS1_30default_config_static_selectorELNS0_4arch9wavefront6targetE1EEEvT1_
                                        ; -- End function
	.section	.AMDGPU.csdata,"",@progbits
; Kernel info:
; codeLenInByte = 0
; NumSgprs: 4
; NumVgprs: 0
; NumAgprs: 0
; TotalNumVgprs: 0
; ScratchSize: 0
; MemoryBound: 0
; FloatMode: 240
; IeeeMode: 1
; LDSByteSize: 0 bytes/workgroup (compile time only)
; SGPRBlocks: 0
; VGPRBlocks: 0
; NumSGPRsForWavesPerEU: 4
; NumVGPRsForWavesPerEU: 1
; AccumOffset: 4
; Occupancy: 8
; WaveLimiterHint : 0
; COMPUTE_PGM_RSRC2:SCRATCH_EN: 0
; COMPUTE_PGM_RSRC2:USER_SGPR: 6
; COMPUTE_PGM_RSRC2:TRAP_HANDLER: 0
; COMPUTE_PGM_RSRC2:TGID_X_EN: 1
; COMPUTE_PGM_RSRC2:TGID_Y_EN: 0
; COMPUTE_PGM_RSRC2:TGID_Z_EN: 0
; COMPUTE_PGM_RSRC2:TIDIG_COMP_CNT: 0
; COMPUTE_PGM_RSRC3_GFX90A:ACCUM_OFFSET: 0
; COMPUTE_PGM_RSRC3_GFX90A:TG_SPLIT: 0
	.section	.text._ZN7rocprim17ROCPRIM_400000_NS6detail17trampoline_kernelINS0_14default_configENS1_20scan_config_selectorIiEEZZNS1_9scan_implILNS1_25lookback_scan_determinismE0ELb0ELb0ES3_N6thrust23THRUST_200600_302600_NS6detail15normal_iteratorINS9_10device_ptrIiEEEESE_iNS9_4plusIiEEiEEDaPvRmT3_T4_T5_mT6_P12ihipStream_tbENKUlT_T0_E_clISt17integral_constantIbLb0EEST_IbLb1EEEEDaSP_SQ_EUlSP_E0_NS1_11comp_targetILNS1_3genE10ELNS1_11target_archE1200ELNS1_3gpuE4ELNS1_3repE0EEENS1_30default_config_static_selectorELNS0_4arch9wavefront6targetE1EEEvT1_,"axG",@progbits,_ZN7rocprim17ROCPRIM_400000_NS6detail17trampoline_kernelINS0_14default_configENS1_20scan_config_selectorIiEEZZNS1_9scan_implILNS1_25lookback_scan_determinismE0ELb0ELb0ES3_N6thrust23THRUST_200600_302600_NS6detail15normal_iteratorINS9_10device_ptrIiEEEESE_iNS9_4plusIiEEiEEDaPvRmT3_T4_T5_mT6_P12ihipStream_tbENKUlT_T0_E_clISt17integral_constantIbLb0EEST_IbLb1EEEEDaSP_SQ_EUlSP_E0_NS1_11comp_targetILNS1_3genE10ELNS1_11target_archE1200ELNS1_3gpuE4ELNS1_3repE0EEENS1_30default_config_static_selectorELNS0_4arch9wavefront6targetE1EEEvT1_,comdat
	.protected	_ZN7rocprim17ROCPRIM_400000_NS6detail17trampoline_kernelINS0_14default_configENS1_20scan_config_selectorIiEEZZNS1_9scan_implILNS1_25lookback_scan_determinismE0ELb0ELb0ES3_N6thrust23THRUST_200600_302600_NS6detail15normal_iteratorINS9_10device_ptrIiEEEESE_iNS9_4plusIiEEiEEDaPvRmT3_T4_T5_mT6_P12ihipStream_tbENKUlT_T0_E_clISt17integral_constantIbLb0EEST_IbLb1EEEEDaSP_SQ_EUlSP_E0_NS1_11comp_targetILNS1_3genE10ELNS1_11target_archE1200ELNS1_3gpuE4ELNS1_3repE0EEENS1_30default_config_static_selectorELNS0_4arch9wavefront6targetE1EEEvT1_ ; -- Begin function _ZN7rocprim17ROCPRIM_400000_NS6detail17trampoline_kernelINS0_14default_configENS1_20scan_config_selectorIiEEZZNS1_9scan_implILNS1_25lookback_scan_determinismE0ELb0ELb0ES3_N6thrust23THRUST_200600_302600_NS6detail15normal_iteratorINS9_10device_ptrIiEEEESE_iNS9_4plusIiEEiEEDaPvRmT3_T4_T5_mT6_P12ihipStream_tbENKUlT_T0_E_clISt17integral_constantIbLb0EEST_IbLb1EEEEDaSP_SQ_EUlSP_E0_NS1_11comp_targetILNS1_3genE10ELNS1_11target_archE1200ELNS1_3gpuE4ELNS1_3repE0EEENS1_30default_config_static_selectorELNS0_4arch9wavefront6targetE1EEEvT1_
	.globl	_ZN7rocprim17ROCPRIM_400000_NS6detail17trampoline_kernelINS0_14default_configENS1_20scan_config_selectorIiEEZZNS1_9scan_implILNS1_25lookback_scan_determinismE0ELb0ELb0ES3_N6thrust23THRUST_200600_302600_NS6detail15normal_iteratorINS9_10device_ptrIiEEEESE_iNS9_4plusIiEEiEEDaPvRmT3_T4_T5_mT6_P12ihipStream_tbENKUlT_T0_E_clISt17integral_constantIbLb0EEST_IbLb1EEEEDaSP_SQ_EUlSP_E0_NS1_11comp_targetILNS1_3genE10ELNS1_11target_archE1200ELNS1_3gpuE4ELNS1_3repE0EEENS1_30default_config_static_selectorELNS0_4arch9wavefront6targetE1EEEvT1_
	.p2align	8
	.type	_ZN7rocprim17ROCPRIM_400000_NS6detail17trampoline_kernelINS0_14default_configENS1_20scan_config_selectorIiEEZZNS1_9scan_implILNS1_25lookback_scan_determinismE0ELb0ELb0ES3_N6thrust23THRUST_200600_302600_NS6detail15normal_iteratorINS9_10device_ptrIiEEEESE_iNS9_4plusIiEEiEEDaPvRmT3_T4_T5_mT6_P12ihipStream_tbENKUlT_T0_E_clISt17integral_constantIbLb0EEST_IbLb1EEEEDaSP_SQ_EUlSP_E0_NS1_11comp_targetILNS1_3genE10ELNS1_11target_archE1200ELNS1_3gpuE4ELNS1_3repE0EEENS1_30default_config_static_selectorELNS0_4arch9wavefront6targetE1EEEvT1_,@function
_ZN7rocprim17ROCPRIM_400000_NS6detail17trampoline_kernelINS0_14default_configENS1_20scan_config_selectorIiEEZZNS1_9scan_implILNS1_25lookback_scan_determinismE0ELb0ELb0ES3_N6thrust23THRUST_200600_302600_NS6detail15normal_iteratorINS9_10device_ptrIiEEEESE_iNS9_4plusIiEEiEEDaPvRmT3_T4_T5_mT6_P12ihipStream_tbENKUlT_T0_E_clISt17integral_constantIbLb0EEST_IbLb1EEEEDaSP_SQ_EUlSP_E0_NS1_11comp_targetILNS1_3genE10ELNS1_11target_archE1200ELNS1_3gpuE4ELNS1_3repE0EEENS1_30default_config_static_selectorELNS0_4arch9wavefront6targetE1EEEvT1_: ; @_ZN7rocprim17ROCPRIM_400000_NS6detail17trampoline_kernelINS0_14default_configENS1_20scan_config_selectorIiEEZZNS1_9scan_implILNS1_25lookback_scan_determinismE0ELb0ELb0ES3_N6thrust23THRUST_200600_302600_NS6detail15normal_iteratorINS9_10device_ptrIiEEEESE_iNS9_4plusIiEEiEEDaPvRmT3_T4_T5_mT6_P12ihipStream_tbENKUlT_T0_E_clISt17integral_constantIbLb0EEST_IbLb1EEEEDaSP_SQ_EUlSP_E0_NS1_11comp_targetILNS1_3genE10ELNS1_11target_archE1200ELNS1_3gpuE4ELNS1_3repE0EEENS1_30default_config_static_selectorELNS0_4arch9wavefront6targetE1EEEvT1_
; %bb.0:
	.section	.rodata,"a",@progbits
	.p2align	6, 0x0
	.amdhsa_kernel _ZN7rocprim17ROCPRIM_400000_NS6detail17trampoline_kernelINS0_14default_configENS1_20scan_config_selectorIiEEZZNS1_9scan_implILNS1_25lookback_scan_determinismE0ELb0ELb0ES3_N6thrust23THRUST_200600_302600_NS6detail15normal_iteratorINS9_10device_ptrIiEEEESE_iNS9_4plusIiEEiEEDaPvRmT3_T4_T5_mT6_P12ihipStream_tbENKUlT_T0_E_clISt17integral_constantIbLb0EEST_IbLb1EEEEDaSP_SQ_EUlSP_E0_NS1_11comp_targetILNS1_3genE10ELNS1_11target_archE1200ELNS1_3gpuE4ELNS1_3repE0EEENS1_30default_config_static_selectorELNS0_4arch9wavefront6targetE1EEEvT1_
		.amdhsa_group_segment_fixed_size 0
		.amdhsa_private_segment_fixed_size 0
		.amdhsa_kernarg_size 32
		.amdhsa_user_sgpr_count 6
		.amdhsa_user_sgpr_private_segment_buffer 1
		.amdhsa_user_sgpr_dispatch_ptr 0
		.amdhsa_user_sgpr_queue_ptr 0
		.amdhsa_user_sgpr_kernarg_segment_ptr 1
		.amdhsa_user_sgpr_dispatch_id 0
		.amdhsa_user_sgpr_flat_scratch_init 0
		.amdhsa_user_sgpr_kernarg_preload_length 0
		.amdhsa_user_sgpr_kernarg_preload_offset 0
		.amdhsa_user_sgpr_private_segment_size 0
		.amdhsa_uses_dynamic_stack 0
		.amdhsa_system_sgpr_private_segment_wavefront_offset 0
		.amdhsa_system_sgpr_workgroup_id_x 1
		.amdhsa_system_sgpr_workgroup_id_y 0
		.amdhsa_system_sgpr_workgroup_id_z 0
		.amdhsa_system_sgpr_workgroup_info 0
		.amdhsa_system_vgpr_workitem_id 0
		.amdhsa_next_free_vgpr 1
		.amdhsa_next_free_sgpr 0
		.amdhsa_accum_offset 4
		.amdhsa_reserve_vcc 0
		.amdhsa_reserve_flat_scratch 0
		.amdhsa_float_round_mode_32 0
		.amdhsa_float_round_mode_16_64 0
		.amdhsa_float_denorm_mode_32 3
		.amdhsa_float_denorm_mode_16_64 3
		.amdhsa_dx10_clamp 1
		.amdhsa_ieee_mode 1
		.amdhsa_fp16_overflow 0
		.amdhsa_tg_split 0
		.amdhsa_exception_fp_ieee_invalid_op 0
		.amdhsa_exception_fp_denorm_src 0
		.amdhsa_exception_fp_ieee_div_zero 0
		.amdhsa_exception_fp_ieee_overflow 0
		.amdhsa_exception_fp_ieee_underflow 0
		.amdhsa_exception_fp_ieee_inexact 0
		.amdhsa_exception_int_div_zero 0
	.end_amdhsa_kernel
	.section	.text._ZN7rocprim17ROCPRIM_400000_NS6detail17trampoline_kernelINS0_14default_configENS1_20scan_config_selectorIiEEZZNS1_9scan_implILNS1_25lookback_scan_determinismE0ELb0ELb0ES3_N6thrust23THRUST_200600_302600_NS6detail15normal_iteratorINS9_10device_ptrIiEEEESE_iNS9_4plusIiEEiEEDaPvRmT3_T4_T5_mT6_P12ihipStream_tbENKUlT_T0_E_clISt17integral_constantIbLb0EEST_IbLb1EEEEDaSP_SQ_EUlSP_E0_NS1_11comp_targetILNS1_3genE10ELNS1_11target_archE1200ELNS1_3gpuE4ELNS1_3repE0EEENS1_30default_config_static_selectorELNS0_4arch9wavefront6targetE1EEEvT1_,"axG",@progbits,_ZN7rocprim17ROCPRIM_400000_NS6detail17trampoline_kernelINS0_14default_configENS1_20scan_config_selectorIiEEZZNS1_9scan_implILNS1_25lookback_scan_determinismE0ELb0ELb0ES3_N6thrust23THRUST_200600_302600_NS6detail15normal_iteratorINS9_10device_ptrIiEEEESE_iNS9_4plusIiEEiEEDaPvRmT3_T4_T5_mT6_P12ihipStream_tbENKUlT_T0_E_clISt17integral_constantIbLb0EEST_IbLb1EEEEDaSP_SQ_EUlSP_E0_NS1_11comp_targetILNS1_3genE10ELNS1_11target_archE1200ELNS1_3gpuE4ELNS1_3repE0EEENS1_30default_config_static_selectorELNS0_4arch9wavefront6targetE1EEEvT1_,comdat
.Lfunc_end585:
	.size	_ZN7rocprim17ROCPRIM_400000_NS6detail17trampoline_kernelINS0_14default_configENS1_20scan_config_selectorIiEEZZNS1_9scan_implILNS1_25lookback_scan_determinismE0ELb0ELb0ES3_N6thrust23THRUST_200600_302600_NS6detail15normal_iteratorINS9_10device_ptrIiEEEESE_iNS9_4plusIiEEiEEDaPvRmT3_T4_T5_mT6_P12ihipStream_tbENKUlT_T0_E_clISt17integral_constantIbLb0EEST_IbLb1EEEEDaSP_SQ_EUlSP_E0_NS1_11comp_targetILNS1_3genE10ELNS1_11target_archE1200ELNS1_3gpuE4ELNS1_3repE0EEENS1_30default_config_static_selectorELNS0_4arch9wavefront6targetE1EEEvT1_, .Lfunc_end585-_ZN7rocprim17ROCPRIM_400000_NS6detail17trampoline_kernelINS0_14default_configENS1_20scan_config_selectorIiEEZZNS1_9scan_implILNS1_25lookback_scan_determinismE0ELb0ELb0ES3_N6thrust23THRUST_200600_302600_NS6detail15normal_iteratorINS9_10device_ptrIiEEEESE_iNS9_4plusIiEEiEEDaPvRmT3_T4_T5_mT6_P12ihipStream_tbENKUlT_T0_E_clISt17integral_constantIbLb0EEST_IbLb1EEEEDaSP_SQ_EUlSP_E0_NS1_11comp_targetILNS1_3genE10ELNS1_11target_archE1200ELNS1_3gpuE4ELNS1_3repE0EEENS1_30default_config_static_selectorELNS0_4arch9wavefront6targetE1EEEvT1_
                                        ; -- End function
	.section	.AMDGPU.csdata,"",@progbits
; Kernel info:
; codeLenInByte = 0
; NumSgprs: 4
; NumVgprs: 0
; NumAgprs: 0
; TotalNumVgprs: 0
; ScratchSize: 0
; MemoryBound: 0
; FloatMode: 240
; IeeeMode: 1
; LDSByteSize: 0 bytes/workgroup (compile time only)
; SGPRBlocks: 0
; VGPRBlocks: 0
; NumSGPRsForWavesPerEU: 4
; NumVGPRsForWavesPerEU: 1
; AccumOffset: 4
; Occupancy: 8
; WaveLimiterHint : 0
; COMPUTE_PGM_RSRC2:SCRATCH_EN: 0
; COMPUTE_PGM_RSRC2:USER_SGPR: 6
; COMPUTE_PGM_RSRC2:TRAP_HANDLER: 0
; COMPUTE_PGM_RSRC2:TGID_X_EN: 1
; COMPUTE_PGM_RSRC2:TGID_Y_EN: 0
; COMPUTE_PGM_RSRC2:TGID_Z_EN: 0
; COMPUTE_PGM_RSRC2:TIDIG_COMP_CNT: 0
; COMPUTE_PGM_RSRC3_GFX90A:ACCUM_OFFSET: 0
; COMPUTE_PGM_RSRC3_GFX90A:TG_SPLIT: 0
	.section	.text._ZN7rocprim17ROCPRIM_400000_NS6detail17trampoline_kernelINS0_14default_configENS1_20scan_config_selectorIiEEZZNS1_9scan_implILNS1_25lookback_scan_determinismE0ELb0ELb0ES3_N6thrust23THRUST_200600_302600_NS6detail15normal_iteratorINS9_10device_ptrIiEEEESE_iNS9_4plusIiEEiEEDaPvRmT3_T4_T5_mT6_P12ihipStream_tbENKUlT_T0_E_clISt17integral_constantIbLb0EEST_IbLb1EEEEDaSP_SQ_EUlSP_E0_NS1_11comp_targetILNS1_3genE9ELNS1_11target_archE1100ELNS1_3gpuE3ELNS1_3repE0EEENS1_30default_config_static_selectorELNS0_4arch9wavefront6targetE1EEEvT1_,"axG",@progbits,_ZN7rocprim17ROCPRIM_400000_NS6detail17trampoline_kernelINS0_14default_configENS1_20scan_config_selectorIiEEZZNS1_9scan_implILNS1_25lookback_scan_determinismE0ELb0ELb0ES3_N6thrust23THRUST_200600_302600_NS6detail15normal_iteratorINS9_10device_ptrIiEEEESE_iNS9_4plusIiEEiEEDaPvRmT3_T4_T5_mT6_P12ihipStream_tbENKUlT_T0_E_clISt17integral_constantIbLb0EEST_IbLb1EEEEDaSP_SQ_EUlSP_E0_NS1_11comp_targetILNS1_3genE9ELNS1_11target_archE1100ELNS1_3gpuE3ELNS1_3repE0EEENS1_30default_config_static_selectorELNS0_4arch9wavefront6targetE1EEEvT1_,comdat
	.protected	_ZN7rocprim17ROCPRIM_400000_NS6detail17trampoline_kernelINS0_14default_configENS1_20scan_config_selectorIiEEZZNS1_9scan_implILNS1_25lookback_scan_determinismE0ELb0ELb0ES3_N6thrust23THRUST_200600_302600_NS6detail15normal_iteratorINS9_10device_ptrIiEEEESE_iNS9_4plusIiEEiEEDaPvRmT3_T4_T5_mT6_P12ihipStream_tbENKUlT_T0_E_clISt17integral_constantIbLb0EEST_IbLb1EEEEDaSP_SQ_EUlSP_E0_NS1_11comp_targetILNS1_3genE9ELNS1_11target_archE1100ELNS1_3gpuE3ELNS1_3repE0EEENS1_30default_config_static_selectorELNS0_4arch9wavefront6targetE1EEEvT1_ ; -- Begin function _ZN7rocprim17ROCPRIM_400000_NS6detail17trampoline_kernelINS0_14default_configENS1_20scan_config_selectorIiEEZZNS1_9scan_implILNS1_25lookback_scan_determinismE0ELb0ELb0ES3_N6thrust23THRUST_200600_302600_NS6detail15normal_iteratorINS9_10device_ptrIiEEEESE_iNS9_4plusIiEEiEEDaPvRmT3_T4_T5_mT6_P12ihipStream_tbENKUlT_T0_E_clISt17integral_constantIbLb0EEST_IbLb1EEEEDaSP_SQ_EUlSP_E0_NS1_11comp_targetILNS1_3genE9ELNS1_11target_archE1100ELNS1_3gpuE3ELNS1_3repE0EEENS1_30default_config_static_selectorELNS0_4arch9wavefront6targetE1EEEvT1_
	.globl	_ZN7rocprim17ROCPRIM_400000_NS6detail17trampoline_kernelINS0_14default_configENS1_20scan_config_selectorIiEEZZNS1_9scan_implILNS1_25lookback_scan_determinismE0ELb0ELb0ES3_N6thrust23THRUST_200600_302600_NS6detail15normal_iteratorINS9_10device_ptrIiEEEESE_iNS9_4plusIiEEiEEDaPvRmT3_T4_T5_mT6_P12ihipStream_tbENKUlT_T0_E_clISt17integral_constantIbLb0EEST_IbLb1EEEEDaSP_SQ_EUlSP_E0_NS1_11comp_targetILNS1_3genE9ELNS1_11target_archE1100ELNS1_3gpuE3ELNS1_3repE0EEENS1_30default_config_static_selectorELNS0_4arch9wavefront6targetE1EEEvT1_
	.p2align	8
	.type	_ZN7rocprim17ROCPRIM_400000_NS6detail17trampoline_kernelINS0_14default_configENS1_20scan_config_selectorIiEEZZNS1_9scan_implILNS1_25lookback_scan_determinismE0ELb0ELb0ES3_N6thrust23THRUST_200600_302600_NS6detail15normal_iteratorINS9_10device_ptrIiEEEESE_iNS9_4plusIiEEiEEDaPvRmT3_T4_T5_mT6_P12ihipStream_tbENKUlT_T0_E_clISt17integral_constantIbLb0EEST_IbLb1EEEEDaSP_SQ_EUlSP_E0_NS1_11comp_targetILNS1_3genE9ELNS1_11target_archE1100ELNS1_3gpuE3ELNS1_3repE0EEENS1_30default_config_static_selectorELNS0_4arch9wavefront6targetE1EEEvT1_,@function
_ZN7rocprim17ROCPRIM_400000_NS6detail17trampoline_kernelINS0_14default_configENS1_20scan_config_selectorIiEEZZNS1_9scan_implILNS1_25lookback_scan_determinismE0ELb0ELb0ES3_N6thrust23THRUST_200600_302600_NS6detail15normal_iteratorINS9_10device_ptrIiEEEESE_iNS9_4plusIiEEiEEDaPvRmT3_T4_T5_mT6_P12ihipStream_tbENKUlT_T0_E_clISt17integral_constantIbLb0EEST_IbLb1EEEEDaSP_SQ_EUlSP_E0_NS1_11comp_targetILNS1_3genE9ELNS1_11target_archE1100ELNS1_3gpuE3ELNS1_3repE0EEENS1_30default_config_static_selectorELNS0_4arch9wavefront6targetE1EEEvT1_: ; @_ZN7rocprim17ROCPRIM_400000_NS6detail17trampoline_kernelINS0_14default_configENS1_20scan_config_selectorIiEEZZNS1_9scan_implILNS1_25lookback_scan_determinismE0ELb0ELb0ES3_N6thrust23THRUST_200600_302600_NS6detail15normal_iteratorINS9_10device_ptrIiEEEESE_iNS9_4plusIiEEiEEDaPvRmT3_T4_T5_mT6_P12ihipStream_tbENKUlT_T0_E_clISt17integral_constantIbLb0EEST_IbLb1EEEEDaSP_SQ_EUlSP_E0_NS1_11comp_targetILNS1_3genE9ELNS1_11target_archE1100ELNS1_3gpuE3ELNS1_3repE0EEENS1_30default_config_static_selectorELNS0_4arch9wavefront6targetE1EEEvT1_
; %bb.0:
	.section	.rodata,"a",@progbits
	.p2align	6, 0x0
	.amdhsa_kernel _ZN7rocprim17ROCPRIM_400000_NS6detail17trampoline_kernelINS0_14default_configENS1_20scan_config_selectorIiEEZZNS1_9scan_implILNS1_25lookback_scan_determinismE0ELb0ELb0ES3_N6thrust23THRUST_200600_302600_NS6detail15normal_iteratorINS9_10device_ptrIiEEEESE_iNS9_4plusIiEEiEEDaPvRmT3_T4_T5_mT6_P12ihipStream_tbENKUlT_T0_E_clISt17integral_constantIbLb0EEST_IbLb1EEEEDaSP_SQ_EUlSP_E0_NS1_11comp_targetILNS1_3genE9ELNS1_11target_archE1100ELNS1_3gpuE3ELNS1_3repE0EEENS1_30default_config_static_selectorELNS0_4arch9wavefront6targetE1EEEvT1_
		.amdhsa_group_segment_fixed_size 0
		.amdhsa_private_segment_fixed_size 0
		.amdhsa_kernarg_size 32
		.amdhsa_user_sgpr_count 6
		.amdhsa_user_sgpr_private_segment_buffer 1
		.amdhsa_user_sgpr_dispatch_ptr 0
		.amdhsa_user_sgpr_queue_ptr 0
		.amdhsa_user_sgpr_kernarg_segment_ptr 1
		.amdhsa_user_sgpr_dispatch_id 0
		.amdhsa_user_sgpr_flat_scratch_init 0
		.amdhsa_user_sgpr_kernarg_preload_length 0
		.amdhsa_user_sgpr_kernarg_preload_offset 0
		.amdhsa_user_sgpr_private_segment_size 0
		.amdhsa_uses_dynamic_stack 0
		.amdhsa_system_sgpr_private_segment_wavefront_offset 0
		.amdhsa_system_sgpr_workgroup_id_x 1
		.amdhsa_system_sgpr_workgroup_id_y 0
		.amdhsa_system_sgpr_workgroup_id_z 0
		.amdhsa_system_sgpr_workgroup_info 0
		.amdhsa_system_vgpr_workitem_id 0
		.amdhsa_next_free_vgpr 1
		.amdhsa_next_free_sgpr 0
		.amdhsa_accum_offset 4
		.amdhsa_reserve_vcc 0
		.amdhsa_reserve_flat_scratch 0
		.amdhsa_float_round_mode_32 0
		.amdhsa_float_round_mode_16_64 0
		.amdhsa_float_denorm_mode_32 3
		.amdhsa_float_denorm_mode_16_64 3
		.amdhsa_dx10_clamp 1
		.amdhsa_ieee_mode 1
		.amdhsa_fp16_overflow 0
		.amdhsa_tg_split 0
		.amdhsa_exception_fp_ieee_invalid_op 0
		.amdhsa_exception_fp_denorm_src 0
		.amdhsa_exception_fp_ieee_div_zero 0
		.amdhsa_exception_fp_ieee_overflow 0
		.amdhsa_exception_fp_ieee_underflow 0
		.amdhsa_exception_fp_ieee_inexact 0
		.amdhsa_exception_int_div_zero 0
	.end_amdhsa_kernel
	.section	.text._ZN7rocprim17ROCPRIM_400000_NS6detail17trampoline_kernelINS0_14default_configENS1_20scan_config_selectorIiEEZZNS1_9scan_implILNS1_25lookback_scan_determinismE0ELb0ELb0ES3_N6thrust23THRUST_200600_302600_NS6detail15normal_iteratorINS9_10device_ptrIiEEEESE_iNS9_4plusIiEEiEEDaPvRmT3_T4_T5_mT6_P12ihipStream_tbENKUlT_T0_E_clISt17integral_constantIbLb0EEST_IbLb1EEEEDaSP_SQ_EUlSP_E0_NS1_11comp_targetILNS1_3genE9ELNS1_11target_archE1100ELNS1_3gpuE3ELNS1_3repE0EEENS1_30default_config_static_selectorELNS0_4arch9wavefront6targetE1EEEvT1_,"axG",@progbits,_ZN7rocprim17ROCPRIM_400000_NS6detail17trampoline_kernelINS0_14default_configENS1_20scan_config_selectorIiEEZZNS1_9scan_implILNS1_25lookback_scan_determinismE0ELb0ELb0ES3_N6thrust23THRUST_200600_302600_NS6detail15normal_iteratorINS9_10device_ptrIiEEEESE_iNS9_4plusIiEEiEEDaPvRmT3_T4_T5_mT6_P12ihipStream_tbENKUlT_T0_E_clISt17integral_constantIbLb0EEST_IbLb1EEEEDaSP_SQ_EUlSP_E0_NS1_11comp_targetILNS1_3genE9ELNS1_11target_archE1100ELNS1_3gpuE3ELNS1_3repE0EEENS1_30default_config_static_selectorELNS0_4arch9wavefront6targetE1EEEvT1_,comdat
.Lfunc_end586:
	.size	_ZN7rocprim17ROCPRIM_400000_NS6detail17trampoline_kernelINS0_14default_configENS1_20scan_config_selectorIiEEZZNS1_9scan_implILNS1_25lookback_scan_determinismE0ELb0ELb0ES3_N6thrust23THRUST_200600_302600_NS6detail15normal_iteratorINS9_10device_ptrIiEEEESE_iNS9_4plusIiEEiEEDaPvRmT3_T4_T5_mT6_P12ihipStream_tbENKUlT_T0_E_clISt17integral_constantIbLb0EEST_IbLb1EEEEDaSP_SQ_EUlSP_E0_NS1_11comp_targetILNS1_3genE9ELNS1_11target_archE1100ELNS1_3gpuE3ELNS1_3repE0EEENS1_30default_config_static_selectorELNS0_4arch9wavefront6targetE1EEEvT1_, .Lfunc_end586-_ZN7rocprim17ROCPRIM_400000_NS6detail17trampoline_kernelINS0_14default_configENS1_20scan_config_selectorIiEEZZNS1_9scan_implILNS1_25lookback_scan_determinismE0ELb0ELb0ES3_N6thrust23THRUST_200600_302600_NS6detail15normal_iteratorINS9_10device_ptrIiEEEESE_iNS9_4plusIiEEiEEDaPvRmT3_T4_T5_mT6_P12ihipStream_tbENKUlT_T0_E_clISt17integral_constantIbLb0EEST_IbLb1EEEEDaSP_SQ_EUlSP_E0_NS1_11comp_targetILNS1_3genE9ELNS1_11target_archE1100ELNS1_3gpuE3ELNS1_3repE0EEENS1_30default_config_static_selectorELNS0_4arch9wavefront6targetE1EEEvT1_
                                        ; -- End function
	.section	.AMDGPU.csdata,"",@progbits
; Kernel info:
; codeLenInByte = 0
; NumSgprs: 4
; NumVgprs: 0
; NumAgprs: 0
; TotalNumVgprs: 0
; ScratchSize: 0
; MemoryBound: 0
; FloatMode: 240
; IeeeMode: 1
; LDSByteSize: 0 bytes/workgroup (compile time only)
; SGPRBlocks: 0
; VGPRBlocks: 0
; NumSGPRsForWavesPerEU: 4
; NumVGPRsForWavesPerEU: 1
; AccumOffset: 4
; Occupancy: 8
; WaveLimiterHint : 0
; COMPUTE_PGM_RSRC2:SCRATCH_EN: 0
; COMPUTE_PGM_RSRC2:USER_SGPR: 6
; COMPUTE_PGM_RSRC2:TRAP_HANDLER: 0
; COMPUTE_PGM_RSRC2:TGID_X_EN: 1
; COMPUTE_PGM_RSRC2:TGID_Y_EN: 0
; COMPUTE_PGM_RSRC2:TGID_Z_EN: 0
; COMPUTE_PGM_RSRC2:TIDIG_COMP_CNT: 0
; COMPUTE_PGM_RSRC3_GFX90A:ACCUM_OFFSET: 0
; COMPUTE_PGM_RSRC3_GFX90A:TG_SPLIT: 0
	.section	.text._ZN7rocprim17ROCPRIM_400000_NS6detail17trampoline_kernelINS0_14default_configENS1_20scan_config_selectorIiEEZZNS1_9scan_implILNS1_25lookback_scan_determinismE0ELb0ELb0ES3_N6thrust23THRUST_200600_302600_NS6detail15normal_iteratorINS9_10device_ptrIiEEEESE_iNS9_4plusIiEEiEEDaPvRmT3_T4_T5_mT6_P12ihipStream_tbENKUlT_T0_E_clISt17integral_constantIbLb0EEST_IbLb1EEEEDaSP_SQ_EUlSP_E0_NS1_11comp_targetILNS1_3genE8ELNS1_11target_archE1030ELNS1_3gpuE2ELNS1_3repE0EEENS1_30default_config_static_selectorELNS0_4arch9wavefront6targetE1EEEvT1_,"axG",@progbits,_ZN7rocprim17ROCPRIM_400000_NS6detail17trampoline_kernelINS0_14default_configENS1_20scan_config_selectorIiEEZZNS1_9scan_implILNS1_25lookback_scan_determinismE0ELb0ELb0ES3_N6thrust23THRUST_200600_302600_NS6detail15normal_iteratorINS9_10device_ptrIiEEEESE_iNS9_4plusIiEEiEEDaPvRmT3_T4_T5_mT6_P12ihipStream_tbENKUlT_T0_E_clISt17integral_constantIbLb0EEST_IbLb1EEEEDaSP_SQ_EUlSP_E0_NS1_11comp_targetILNS1_3genE8ELNS1_11target_archE1030ELNS1_3gpuE2ELNS1_3repE0EEENS1_30default_config_static_selectorELNS0_4arch9wavefront6targetE1EEEvT1_,comdat
	.protected	_ZN7rocprim17ROCPRIM_400000_NS6detail17trampoline_kernelINS0_14default_configENS1_20scan_config_selectorIiEEZZNS1_9scan_implILNS1_25lookback_scan_determinismE0ELb0ELb0ES3_N6thrust23THRUST_200600_302600_NS6detail15normal_iteratorINS9_10device_ptrIiEEEESE_iNS9_4plusIiEEiEEDaPvRmT3_T4_T5_mT6_P12ihipStream_tbENKUlT_T0_E_clISt17integral_constantIbLb0EEST_IbLb1EEEEDaSP_SQ_EUlSP_E0_NS1_11comp_targetILNS1_3genE8ELNS1_11target_archE1030ELNS1_3gpuE2ELNS1_3repE0EEENS1_30default_config_static_selectorELNS0_4arch9wavefront6targetE1EEEvT1_ ; -- Begin function _ZN7rocprim17ROCPRIM_400000_NS6detail17trampoline_kernelINS0_14default_configENS1_20scan_config_selectorIiEEZZNS1_9scan_implILNS1_25lookback_scan_determinismE0ELb0ELb0ES3_N6thrust23THRUST_200600_302600_NS6detail15normal_iteratorINS9_10device_ptrIiEEEESE_iNS9_4plusIiEEiEEDaPvRmT3_T4_T5_mT6_P12ihipStream_tbENKUlT_T0_E_clISt17integral_constantIbLb0EEST_IbLb1EEEEDaSP_SQ_EUlSP_E0_NS1_11comp_targetILNS1_3genE8ELNS1_11target_archE1030ELNS1_3gpuE2ELNS1_3repE0EEENS1_30default_config_static_selectorELNS0_4arch9wavefront6targetE1EEEvT1_
	.globl	_ZN7rocprim17ROCPRIM_400000_NS6detail17trampoline_kernelINS0_14default_configENS1_20scan_config_selectorIiEEZZNS1_9scan_implILNS1_25lookback_scan_determinismE0ELb0ELb0ES3_N6thrust23THRUST_200600_302600_NS6detail15normal_iteratorINS9_10device_ptrIiEEEESE_iNS9_4plusIiEEiEEDaPvRmT3_T4_T5_mT6_P12ihipStream_tbENKUlT_T0_E_clISt17integral_constantIbLb0EEST_IbLb1EEEEDaSP_SQ_EUlSP_E0_NS1_11comp_targetILNS1_3genE8ELNS1_11target_archE1030ELNS1_3gpuE2ELNS1_3repE0EEENS1_30default_config_static_selectorELNS0_4arch9wavefront6targetE1EEEvT1_
	.p2align	8
	.type	_ZN7rocprim17ROCPRIM_400000_NS6detail17trampoline_kernelINS0_14default_configENS1_20scan_config_selectorIiEEZZNS1_9scan_implILNS1_25lookback_scan_determinismE0ELb0ELb0ES3_N6thrust23THRUST_200600_302600_NS6detail15normal_iteratorINS9_10device_ptrIiEEEESE_iNS9_4plusIiEEiEEDaPvRmT3_T4_T5_mT6_P12ihipStream_tbENKUlT_T0_E_clISt17integral_constantIbLb0EEST_IbLb1EEEEDaSP_SQ_EUlSP_E0_NS1_11comp_targetILNS1_3genE8ELNS1_11target_archE1030ELNS1_3gpuE2ELNS1_3repE0EEENS1_30default_config_static_selectorELNS0_4arch9wavefront6targetE1EEEvT1_,@function
_ZN7rocprim17ROCPRIM_400000_NS6detail17trampoline_kernelINS0_14default_configENS1_20scan_config_selectorIiEEZZNS1_9scan_implILNS1_25lookback_scan_determinismE0ELb0ELb0ES3_N6thrust23THRUST_200600_302600_NS6detail15normal_iteratorINS9_10device_ptrIiEEEESE_iNS9_4plusIiEEiEEDaPvRmT3_T4_T5_mT6_P12ihipStream_tbENKUlT_T0_E_clISt17integral_constantIbLb0EEST_IbLb1EEEEDaSP_SQ_EUlSP_E0_NS1_11comp_targetILNS1_3genE8ELNS1_11target_archE1030ELNS1_3gpuE2ELNS1_3repE0EEENS1_30default_config_static_selectorELNS0_4arch9wavefront6targetE1EEEvT1_: ; @_ZN7rocprim17ROCPRIM_400000_NS6detail17trampoline_kernelINS0_14default_configENS1_20scan_config_selectorIiEEZZNS1_9scan_implILNS1_25lookback_scan_determinismE0ELb0ELb0ES3_N6thrust23THRUST_200600_302600_NS6detail15normal_iteratorINS9_10device_ptrIiEEEESE_iNS9_4plusIiEEiEEDaPvRmT3_T4_T5_mT6_P12ihipStream_tbENKUlT_T0_E_clISt17integral_constantIbLb0EEST_IbLb1EEEEDaSP_SQ_EUlSP_E0_NS1_11comp_targetILNS1_3genE8ELNS1_11target_archE1030ELNS1_3gpuE2ELNS1_3repE0EEENS1_30default_config_static_selectorELNS0_4arch9wavefront6targetE1EEEvT1_
; %bb.0:
	.section	.rodata,"a",@progbits
	.p2align	6, 0x0
	.amdhsa_kernel _ZN7rocprim17ROCPRIM_400000_NS6detail17trampoline_kernelINS0_14default_configENS1_20scan_config_selectorIiEEZZNS1_9scan_implILNS1_25lookback_scan_determinismE0ELb0ELb0ES3_N6thrust23THRUST_200600_302600_NS6detail15normal_iteratorINS9_10device_ptrIiEEEESE_iNS9_4plusIiEEiEEDaPvRmT3_T4_T5_mT6_P12ihipStream_tbENKUlT_T0_E_clISt17integral_constantIbLb0EEST_IbLb1EEEEDaSP_SQ_EUlSP_E0_NS1_11comp_targetILNS1_3genE8ELNS1_11target_archE1030ELNS1_3gpuE2ELNS1_3repE0EEENS1_30default_config_static_selectorELNS0_4arch9wavefront6targetE1EEEvT1_
		.amdhsa_group_segment_fixed_size 0
		.amdhsa_private_segment_fixed_size 0
		.amdhsa_kernarg_size 32
		.amdhsa_user_sgpr_count 6
		.amdhsa_user_sgpr_private_segment_buffer 1
		.amdhsa_user_sgpr_dispatch_ptr 0
		.amdhsa_user_sgpr_queue_ptr 0
		.amdhsa_user_sgpr_kernarg_segment_ptr 1
		.amdhsa_user_sgpr_dispatch_id 0
		.amdhsa_user_sgpr_flat_scratch_init 0
		.amdhsa_user_sgpr_kernarg_preload_length 0
		.amdhsa_user_sgpr_kernarg_preload_offset 0
		.amdhsa_user_sgpr_private_segment_size 0
		.amdhsa_uses_dynamic_stack 0
		.amdhsa_system_sgpr_private_segment_wavefront_offset 0
		.amdhsa_system_sgpr_workgroup_id_x 1
		.amdhsa_system_sgpr_workgroup_id_y 0
		.amdhsa_system_sgpr_workgroup_id_z 0
		.amdhsa_system_sgpr_workgroup_info 0
		.amdhsa_system_vgpr_workitem_id 0
		.amdhsa_next_free_vgpr 1
		.amdhsa_next_free_sgpr 0
		.amdhsa_accum_offset 4
		.amdhsa_reserve_vcc 0
		.amdhsa_reserve_flat_scratch 0
		.amdhsa_float_round_mode_32 0
		.amdhsa_float_round_mode_16_64 0
		.amdhsa_float_denorm_mode_32 3
		.amdhsa_float_denorm_mode_16_64 3
		.amdhsa_dx10_clamp 1
		.amdhsa_ieee_mode 1
		.amdhsa_fp16_overflow 0
		.amdhsa_tg_split 0
		.amdhsa_exception_fp_ieee_invalid_op 0
		.amdhsa_exception_fp_denorm_src 0
		.amdhsa_exception_fp_ieee_div_zero 0
		.amdhsa_exception_fp_ieee_overflow 0
		.amdhsa_exception_fp_ieee_underflow 0
		.amdhsa_exception_fp_ieee_inexact 0
		.amdhsa_exception_int_div_zero 0
	.end_amdhsa_kernel
	.section	.text._ZN7rocprim17ROCPRIM_400000_NS6detail17trampoline_kernelINS0_14default_configENS1_20scan_config_selectorIiEEZZNS1_9scan_implILNS1_25lookback_scan_determinismE0ELb0ELb0ES3_N6thrust23THRUST_200600_302600_NS6detail15normal_iteratorINS9_10device_ptrIiEEEESE_iNS9_4plusIiEEiEEDaPvRmT3_T4_T5_mT6_P12ihipStream_tbENKUlT_T0_E_clISt17integral_constantIbLb0EEST_IbLb1EEEEDaSP_SQ_EUlSP_E0_NS1_11comp_targetILNS1_3genE8ELNS1_11target_archE1030ELNS1_3gpuE2ELNS1_3repE0EEENS1_30default_config_static_selectorELNS0_4arch9wavefront6targetE1EEEvT1_,"axG",@progbits,_ZN7rocprim17ROCPRIM_400000_NS6detail17trampoline_kernelINS0_14default_configENS1_20scan_config_selectorIiEEZZNS1_9scan_implILNS1_25lookback_scan_determinismE0ELb0ELb0ES3_N6thrust23THRUST_200600_302600_NS6detail15normal_iteratorINS9_10device_ptrIiEEEESE_iNS9_4plusIiEEiEEDaPvRmT3_T4_T5_mT6_P12ihipStream_tbENKUlT_T0_E_clISt17integral_constantIbLb0EEST_IbLb1EEEEDaSP_SQ_EUlSP_E0_NS1_11comp_targetILNS1_3genE8ELNS1_11target_archE1030ELNS1_3gpuE2ELNS1_3repE0EEENS1_30default_config_static_selectorELNS0_4arch9wavefront6targetE1EEEvT1_,comdat
.Lfunc_end587:
	.size	_ZN7rocprim17ROCPRIM_400000_NS6detail17trampoline_kernelINS0_14default_configENS1_20scan_config_selectorIiEEZZNS1_9scan_implILNS1_25lookback_scan_determinismE0ELb0ELb0ES3_N6thrust23THRUST_200600_302600_NS6detail15normal_iteratorINS9_10device_ptrIiEEEESE_iNS9_4plusIiEEiEEDaPvRmT3_T4_T5_mT6_P12ihipStream_tbENKUlT_T0_E_clISt17integral_constantIbLb0EEST_IbLb1EEEEDaSP_SQ_EUlSP_E0_NS1_11comp_targetILNS1_3genE8ELNS1_11target_archE1030ELNS1_3gpuE2ELNS1_3repE0EEENS1_30default_config_static_selectorELNS0_4arch9wavefront6targetE1EEEvT1_, .Lfunc_end587-_ZN7rocprim17ROCPRIM_400000_NS6detail17trampoline_kernelINS0_14default_configENS1_20scan_config_selectorIiEEZZNS1_9scan_implILNS1_25lookback_scan_determinismE0ELb0ELb0ES3_N6thrust23THRUST_200600_302600_NS6detail15normal_iteratorINS9_10device_ptrIiEEEESE_iNS9_4plusIiEEiEEDaPvRmT3_T4_T5_mT6_P12ihipStream_tbENKUlT_T0_E_clISt17integral_constantIbLb0EEST_IbLb1EEEEDaSP_SQ_EUlSP_E0_NS1_11comp_targetILNS1_3genE8ELNS1_11target_archE1030ELNS1_3gpuE2ELNS1_3repE0EEENS1_30default_config_static_selectorELNS0_4arch9wavefront6targetE1EEEvT1_
                                        ; -- End function
	.section	.AMDGPU.csdata,"",@progbits
; Kernel info:
; codeLenInByte = 0
; NumSgprs: 4
; NumVgprs: 0
; NumAgprs: 0
; TotalNumVgprs: 0
; ScratchSize: 0
; MemoryBound: 0
; FloatMode: 240
; IeeeMode: 1
; LDSByteSize: 0 bytes/workgroup (compile time only)
; SGPRBlocks: 0
; VGPRBlocks: 0
; NumSGPRsForWavesPerEU: 4
; NumVGPRsForWavesPerEU: 1
; AccumOffset: 4
; Occupancy: 8
; WaveLimiterHint : 0
; COMPUTE_PGM_RSRC2:SCRATCH_EN: 0
; COMPUTE_PGM_RSRC2:USER_SGPR: 6
; COMPUTE_PGM_RSRC2:TRAP_HANDLER: 0
; COMPUTE_PGM_RSRC2:TGID_X_EN: 1
; COMPUTE_PGM_RSRC2:TGID_Y_EN: 0
; COMPUTE_PGM_RSRC2:TGID_Z_EN: 0
; COMPUTE_PGM_RSRC2:TIDIG_COMP_CNT: 0
; COMPUTE_PGM_RSRC3_GFX90A:ACCUM_OFFSET: 0
; COMPUTE_PGM_RSRC3_GFX90A:TG_SPLIT: 0
	.section	.text._ZN7rocprim17ROCPRIM_400000_NS6detail17trampoline_kernelINS0_14default_configENS1_20scan_config_selectorIiEEZZNS1_9scan_implILNS1_25lookback_scan_determinismE0ELb0ELb1ES3_N6thrust23THRUST_200600_302600_NS6detail15normal_iteratorINS9_10device_ptrIiEEEESE_iNS9_10multipliesIiEEiEEDaPvRmT3_T4_T5_mT6_P12ihipStream_tbENKUlT_T0_E_clISt17integral_constantIbLb0EESU_EEDaSP_SQ_EUlSP_E_NS1_11comp_targetILNS1_3genE0ELNS1_11target_archE4294967295ELNS1_3gpuE0ELNS1_3repE0EEENS1_30default_config_static_selectorELNS0_4arch9wavefront6targetE1EEEvT1_,"axG",@progbits,_ZN7rocprim17ROCPRIM_400000_NS6detail17trampoline_kernelINS0_14default_configENS1_20scan_config_selectorIiEEZZNS1_9scan_implILNS1_25lookback_scan_determinismE0ELb0ELb1ES3_N6thrust23THRUST_200600_302600_NS6detail15normal_iteratorINS9_10device_ptrIiEEEESE_iNS9_10multipliesIiEEiEEDaPvRmT3_T4_T5_mT6_P12ihipStream_tbENKUlT_T0_E_clISt17integral_constantIbLb0EESU_EEDaSP_SQ_EUlSP_E_NS1_11comp_targetILNS1_3genE0ELNS1_11target_archE4294967295ELNS1_3gpuE0ELNS1_3repE0EEENS1_30default_config_static_selectorELNS0_4arch9wavefront6targetE1EEEvT1_,comdat
	.protected	_ZN7rocprim17ROCPRIM_400000_NS6detail17trampoline_kernelINS0_14default_configENS1_20scan_config_selectorIiEEZZNS1_9scan_implILNS1_25lookback_scan_determinismE0ELb0ELb1ES3_N6thrust23THRUST_200600_302600_NS6detail15normal_iteratorINS9_10device_ptrIiEEEESE_iNS9_10multipliesIiEEiEEDaPvRmT3_T4_T5_mT6_P12ihipStream_tbENKUlT_T0_E_clISt17integral_constantIbLb0EESU_EEDaSP_SQ_EUlSP_E_NS1_11comp_targetILNS1_3genE0ELNS1_11target_archE4294967295ELNS1_3gpuE0ELNS1_3repE0EEENS1_30default_config_static_selectorELNS0_4arch9wavefront6targetE1EEEvT1_ ; -- Begin function _ZN7rocprim17ROCPRIM_400000_NS6detail17trampoline_kernelINS0_14default_configENS1_20scan_config_selectorIiEEZZNS1_9scan_implILNS1_25lookback_scan_determinismE0ELb0ELb1ES3_N6thrust23THRUST_200600_302600_NS6detail15normal_iteratorINS9_10device_ptrIiEEEESE_iNS9_10multipliesIiEEiEEDaPvRmT3_T4_T5_mT6_P12ihipStream_tbENKUlT_T0_E_clISt17integral_constantIbLb0EESU_EEDaSP_SQ_EUlSP_E_NS1_11comp_targetILNS1_3genE0ELNS1_11target_archE4294967295ELNS1_3gpuE0ELNS1_3repE0EEENS1_30default_config_static_selectorELNS0_4arch9wavefront6targetE1EEEvT1_
	.globl	_ZN7rocprim17ROCPRIM_400000_NS6detail17trampoline_kernelINS0_14default_configENS1_20scan_config_selectorIiEEZZNS1_9scan_implILNS1_25lookback_scan_determinismE0ELb0ELb1ES3_N6thrust23THRUST_200600_302600_NS6detail15normal_iteratorINS9_10device_ptrIiEEEESE_iNS9_10multipliesIiEEiEEDaPvRmT3_T4_T5_mT6_P12ihipStream_tbENKUlT_T0_E_clISt17integral_constantIbLb0EESU_EEDaSP_SQ_EUlSP_E_NS1_11comp_targetILNS1_3genE0ELNS1_11target_archE4294967295ELNS1_3gpuE0ELNS1_3repE0EEENS1_30default_config_static_selectorELNS0_4arch9wavefront6targetE1EEEvT1_
	.p2align	8
	.type	_ZN7rocprim17ROCPRIM_400000_NS6detail17trampoline_kernelINS0_14default_configENS1_20scan_config_selectorIiEEZZNS1_9scan_implILNS1_25lookback_scan_determinismE0ELb0ELb1ES3_N6thrust23THRUST_200600_302600_NS6detail15normal_iteratorINS9_10device_ptrIiEEEESE_iNS9_10multipliesIiEEiEEDaPvRmT3_T4_T5_mT6_P12ihipStream_tbENKUlT_T0_E_clISt17integral_constantIbLb0EESU_EEDaSP_SQ_EUlSP_E_NS1_11comp_targetILNS1_3genE0ELNS1_11target_archE4294967295ELNS1_3gpuE0ELNS1_3repE0EEENS1_30default_config_static_selectorELNS0_4arch9wavefront6targetE1EEEvT1_,@function
_ZN7rocprim17ROCPRIM_400000_NS6detail17trampoline_kernelINS0_14default_configENS1_20scan_config_selectorIiEEZZNS1_9scan_implILNS1_25lookback_scan_determinismE0ELb0ELb1ES3_N6thrust23THRUST_200600_302600_NS6detail15normal_iteratorINS9_10device_ptrIiEEEESE_iNS9_10multipliesIiEEiEEDaPvRmT3_T4_T5_mT6_P12ihipStream_tbENKUlT_T0_E_clISt17integral_constantIbLb0EESU_EEDaSP_SQ_EUlSP_E_NS1_11comp_targetILNS1_3genE0ELNS1_11target_archE4294967295ELNS1_3gpuE0ELNS1_3repE0EEENS1_30default_config_static_selectorELNS0_4arch9wavefront6targetE1EEEvT1_: ; @_ZN7rocprim17ROCPRIM_400000_NS6detail17trampoline_kernelINS0_14default_configENS1_20scan_config_selectorIiEEZZNS1_9scan_implILNS1_25lookback_scan_determinismE0ELb0ELb1ES3_N6thrust23THRUST_200600_302600_NS6detail15normal_iteratorINS9_10device_ptrIiEEEESE_iNS9_10multipliesIiEEiEEDaPvRmT3_T4_T5_mT6_P12ihipStream_tbENKUlT_T0_E_clISt17integral_constantIbLb0EESU_EEDaSP_SQ_EUlSP_E_NS1_11comp_targetILNS1_3genE0ELNS1_11target_archE4294967295ELNS1_3gpuE0ELNS1_3repE0EEENS1_30default_config_static_selectorELNS0_4arch9wavefront6targetE1EEEvT1_
; %bb.0:
	.section	.rodata,"a",@progbits
	.p2align	6, 0x0
	.amdhsa_kernel _ZN7rocprim17ROCPRIM_400000_NS6detail17trampoline_kernelINS0_14default_configENS1_20scan_config_selectorIiEEZZNS1_9scan_implILNS1_25lookback_scan_determinismE0ELb0ELb1ES3_N6thrust23THRUST_200600_302600_NS6detail15normal_iteratorINS9_10device_ptrIiEEEESE_iNS9_10multipliesIiEEiEEDaPvRmT3_T4_T5_mT6_P12ihipStream_tbENKUlT_T0_E_clISt17integral_constantIbLb0EESU_EEDaSP_SQ_EUlSP_E_NS1_11comp_targetILNS1_3genE0ELNS1_11target_archE4294967295ELNS1_3gpuE0ELNS1_3repE0EEENS1_30default_config_static_selectorELNS0_4arch9wavefront6targetE1EEEvT1_
		.amdhsa_group_segment_fixed_size 0
		.amdhsa_private_segment_fixed_size 0
		.amdhsa_kernarg_size 96
		.amdhsa_user_sgpr_count 6
		.amdhsa_user_sgpr_private_segment_buffer 1
		.amdhsa_user_sgpr_dispatch_ptr 0
		.amdhsa_user_sgpr_queue_ptr 0
		.amdhsa_user_sgpr_kernarg_segment_ptr 1
		.amdhsa_user_sgpr_dispatch_id 0
		.amdhsa_user_sgpr_flat_scratch_init 0
		.amdhsa_user_sgpr_kernarg_preload_length 0
		.amdhsa_user_sgpr_kernarg_preload_offset 0
		.amdhsa_user_sgpr_private_segment_size 0
		.amdhsa_uses_dynamic_stack 0
		.amdhsa_system_sgpr_private_segment_wavefront_offset 0
		.amdhsa_system_sgpr_workgroup_id_x 1
		.amdhsa_system_sgpr_workgroup_id_y 0
		.amdhsa_system_sgpr_workgroup_id_z 0
		.amdhsa_system_sgpr_workgroup_info 0
		.amdhsa_system_vgpr_workitem_id 0
		.amdhsa_next_free_vgpr 1
		.amdhsa_next_free_sgpr 0
		.amdhsa_accum_offset 4
		.amdhsa_reserve_vcc 0
		.amdhsa_reserve_flat_scratch 0
		.amdhsa_float_round_mode_32 0
		.amdhsa_float_round_mode_16_64 0
		.amdhsa_float_denorm_mode_32 3
		.amdhsa_float_denorm_mode_16_64 3
		.amdhsa_dx10_clamp 1
		.amdhsa_ieee_mode 1
		.amdhsa_fp16_overflow 0
		.amdhsa_tg_split 0
		.amdhsa_exception_fp_ieee_invalid_op 0
		.amdhsa_exception_fp_denorm_src 0
		.amdhsa_exception_fp_ieee_div_zero 0
		.amdhsa_exception_fp_ieee_overflow 0
		.amdhsa_exception_fp_ieee_underflow 0
		.amdhsa_exception_fp_ieee_inexact 0
		.amdhsa_exception_int_div_zero 0
	.end_amdhsa_kernel
	.section	.text._ZN7rocprim17ROCPRIM_400000_NS6detail17trampoline_kernelINS0_14default_configENS1_20scan_config_selectorIiEEZZNS1_9scan_implILNS1_25lookback_scan_determinismE0ELb0ELb1ES3_N6thrust23THRUST_200600_302600_NS6detail15normal_iteratorINS9_10device_ptrIiEEEESE_iNS9_10multipliesIiEEiEEDaPvRmT3_T4_T5_mT6_P12ihipStream_tbENKUlT_T0_E_clISt17integral_constantIbLb0EESU_EEDaSP_SQ_EUlSP_E_NS1_11comp_targetILNS1_3genE0ELNS1_11target_archE4294967295ELNS1_3gpuE0ELNS1_3repE0EEENS1_30default_config_static_selectorELNS0_4arch9wavefront6targetE1EEEvT1_,"axG",@progbits,_ZN7rocprim17ROCPRIM_400000_NS6detail17trampoline_kernelINS0_14default_configENS1_20scan_config_selectorIiEEZZNS1_9scan_implILNS1_25lookback_scan_determinismE0ELb0ELb1ES3_N6thrust23THRUST_200600_302600_NS6detail15normal_iteratorINS9_10device_ptrIiEEEESE_iNS9_10multipliesIiEEiEEDaPvRmT3_T4_T5_mT6_P12ihipStream_tbENKUlT_T0_E_clISt17integral_constantIbLb0EESU_EEDaSP_SQ_EUlSP_E_NS1_11comp_targetILNS1_3genE0ELNS1_11target_archE4294967295ELNS1_3gpuE0ELNS1_3repE0EEENS1_30default_config_static_selectorELNS0_4arch9wavefront6targetE1EEEvT1_,comdat
.Lfunc_end588:
	.size	_ZN7rocprim17ROCPRIM_400000_NS6detail17trampoline_kernelINS0_14default_configENS1_20scan_config_selectorIiEEZZNS1_9scan_implILNS1_25lookback_scan_determinismE0ELb0ELb1ES3_N6thrust23THRUST_200600_302600_NS6detail15normal_iteratorINS9_10device_ptrIiEEEESE_iNS9_10multipliesIiEEiEEDaPvRmT3_T4_T5_mT6_P12ihipStream_tbENKUlT_T0_E_clISt17integral_constantIbLb0EESU_EEDaSP_SQ_EUlSP_E_NS1_11comp_targetILNS1_3genE0ELNS1_11target_archE4294967295ELNS1_3gpuE0ELNS1_3repE0EEENS1_30default_config_static_selectorELNS0_4arch9wavefront6targetE1EEEvT1_, .Lfunc_end588-_ZN7rocprim17ROCPRIM_400000_NS6detail17trampoline_kernelINS0_14default_configENS1_20scan_config_selectorIiEEZZNS1_9scan_implILNS1_25lookback_scan_determinismE0ELb0ELb1ES3_N6thrust23THRUST_200600_302600_NS6detail15normal_iteratorINS9_10device_ptrIiEEEESE_iNS9_10multipliesIiEEiEEDaPvRmT3_T4_T5_mT6_P12ihipStream_tbENKUlT_T0_E_clISt17integral_constantIbLb0EESU_EEDaSP_SQ_EUlSP_E_NS1_11comp_targetILNS1_3genE0ELNS1_11target_archE4294967295ELNS1_3gpuE0ELNS1_3repE0EEENS1_30default_config_static_selectorELNS0_4arch9wavefront6targetE1EEEvT1_
                                        ; -- End function
	.section	.AMDGPU.csdata,"",@progbits
; Kernel info:
; codeLenInByte = 0
; NumSgprs: 4
; NumVgprs: 0
; NumAgprs: 0
; TotalNumVgprs: 0
; ScratchSize: 0
; MemoryBound: 0
; FloatMode: 240
; IeeeMode: 1
; LDSByteSize: 0 bytes/workgroup (compile time only)
; SGPRBlocks: 0
; VGPRBlocks: 0
; NumSGPRsForWavesPerEU: 4
; NumVGPRsForWavesPerEU: 1
; AccumOffset: 4
; Occupancy: 8
; WaveLimiterHint : 0
; COMPUTE_PGM_RSRC2:SCRATCH_EN: 0
; COMPUTE_PGM_RSRC2:USER_SGPR: 6
; COMPUTE_PGM_RSRC2:TRAP_HANDLER: 0
; COMPUTE_PGM_RSRC2:TGID_X_EN: 1
; COMPUTE_PGM_RSRC2:TGID_Y_EN: 0
; COMPUTE_PGM_RSRC2:TGID_Z_EN: 0
; COMPUTE_PGM_RSRC2:TIDIG_COMP_CNT: 0
; COMPUTE_PGM_RSRC3_GFX90A:ACCUM_OFFSET: 0
; COMPUTE_PGM_RSRC3_GFX90A:TG_SPLIT: 0
	.section	.text._ZN7rocprim17ROCPRIM_400000_NS6detail17trampoline_kernelINS0_14default_configENS1_20scan_config_selectorIiEEZZNS1_9scan_implILNS1_25lookback_scan_determinismE0ELb0ELb1ES3_N6thrust23THRUST_200600_302600_NS6detail15normal_iteratorINS9_10device_ptrIiEEEESE_iNS9_10multipliesIiEEiEEDaPvRmT3_T4_T5_mT6_P12ihipStream_tbENKUlT_T0_E_clISt17integral_constantIbLb0EESU_EEDaSP_SQ_EUlSP_E_NS1_11comp_targetILNS1_3genE5ELNS1_11target_archE942ELNS1_3gpuE9ELNS1_3repE0EEENS1_30default_config_static_selectorELNS0_4arch9wavefront6targetE1EEEvT1_,"axG",@progbits,_ZN7rocprim17ROCPRIM_400000_NS6detail17trampoline_kernelINS0_14default_configENS1_20scan_config_selectorIiEEZZNS1_9scan_implILNS1_25lookback_scan_determinismE0ELb0ELb1ES3_N6thrust23THRUST_200600_302600_NS6detail15normal_iteratorINS9_10device_ptrIiEEEESE_iNS9_10multipliesIiEEiEEDaPvRmT3_T4_T5_mT6_P12ihipStream_tbENKUlT_T0_E_clISt17integral_constantIbLb0EESU_EEDaSP_SQ_EUlSP_E_NS1_11comp_targetILNS1_3genE5ELNS1_11target_archE942ELNS1_3gpuE9ELNS1_3repE0EEENS1_30default_config_static_selectorELNS0_4arch9wavefront6targetE1EEEvT1_,comdat
	.protected	_ZN7rocprim17ROCPRIM_400000_NS6detail17trampoline_kernelINS0_14default_configENS1_20scan_config_selectorIiEEZZNS1_9scan_implILNS1_25lookback_scan_determinismE0ELb0ELb1ES3_N6thrust23THRUST_200600_302600_NS6detail15normal_iteratorINS9_10device_ptrIiEEEESE_iNS9_10multipliesIiEEiEEDaPvRmT3_T4_T5_mT6_P12ihipStream_tbENKUlT_T0_E_clISt17integral_constantIbLb0EESU_EEDaSP_SQ_EUlSP_E_NS1_11comp_targetILNS1_3genE5ELNS1_11target_archE942ELNS1_3gpuE9ELNS1_3repE0EEENS1_30default_config_static_selectorELNS0_4arch9wavefront6targetE1EEEvT1_ ; -- Begin function _ZN7rocprim17ROCPRIM_400000_NS6detail17trampoline_kernelINS0_14default_configENS1_20scan_config_selectorIiEEZZNS1_9scan_implILNS1_25lookback_scan_determinismE0ELb0ELb1ES3_N6thrust23THRUST_200600_302600_NS6detail15normal_iteratorINS9_10device_ptrIiEEEESE_iNS9_10multipliesIiEEiEEDaPvRmT3_T4_T5_mT6_P12ihipStream_tbENKUlT_T0_E_clISt17integral_constantIbLb0EESU_EEDaSP_SQ_EUlSP_E_NS1_11comp_targetILNS1_3genE5ELNS1_11target_archE942ELNS1_3gpuE9ELNS1_3repE0EEENS1_30default_config_static_selectorELNS0_4arch9wavefront6targetE1EEEvT1_
	.globl	_ZN7rocprim17ROCPRIM_400000_NS6detail17trampoline_kernelINS0_14default_configENS1_20scan_config_selectorIiEEZZNS1_9scan_implILNS1_25lookback_scan_determinismE0ELb0ELb1ES3_N6thrust23THRUST_200600_302600_NS6detail15normal_iteratorINS9_10device_ptrIiEEEESE_iNS9_10multipliesIiEEiEEDaPvRmT3_T4_T5_mT6_P12ihipStream_tbENKUlT_T0_E_clISt17integral_constantIbLb0EESU_EEDaSP_SQ_EUlSP_E_NS1_11comp_targetILNS1_3genE5ELNS1_11target_archE942ELNS1_3gpuE9ELNS1_3repE0EEENS1_30default_config_static_selectorELNS0_4arch9wavefront6targetE1EEEvT1_
	.p2align	8
	.type	_ZN7rocprim17ROCPRIM_400000_NS6detail17trampoline_kernelINS0_14default_configENS1_20scan_config_selectorIiEEZZNS1_9scan_implILNS1_25lookback_scan_determinismE0ELb0ELb1ES3_N6thrust23THRUST_200600_302600_NS6detail15normal_iteratorINS9_10device_ptrIiEEEESE_iNS9_10multipliesIiEEiEEDaPvRmT3_T4_T5_mT6_P12ihipStream_tbENKUlT_T0_E_clISt17integral_constantIbLb0EESU_EEDaSP_SQ_EUlSP_E_NS1_11comp_targetILNS1_3genE5ELNS1_11target_archE942ELNS1_3gpuE9ELNS1_3repE0EEENS1_30default_config_static_selectorELNS0_4arch9wavefront6targetE1EEEvT1_,@function
_ZN7rocprim17ROCPRIM_400000_NS6detail17trampoline_kernelINS0_14default_configENS1_20scan_config_selectorIiEEZZNS1_9scan_implILNS1_25lookback_scan_determinismE0ELb0ELb1ES3_N6thrust23THRUST_200600_302600_NS6detail15normal_iteratorINS9_10device_ptrIiEEEESE_iNS9_10multipliesIiEEiEEDaPvRmT3_T4_T5_mT6_P12ihipStream_tbENKUlT_T0_E_clISt17integral_constantIbLb0EESU_EEDaSP_SQ_EUlSP_E_NS1_11comp_targetILNS1_3genE5ELNS1_11target_archE942ELNS1_3gpuE9ELNS1_3repE0EEENS1_30default_config_static_selectorELNS0_4arch9wavefront6targetE1EEEvT1_: ; @_ZN7rocprim17ROCPRIM_400000_NS6detail17trampoline_kernelINS0_14default_configENS1_20scan_config_selectorIiEEZZNS1_9scan_implILNS1_25lookback_scan_determinismE0ELb0ELb1ES3_N6thrust23THRUST_200600_302600_NS6detail15normal_iteratorINS9_10device_ptrIiEEEESE_iNS9_10multipliesIiEEiEEDaPvRmT3_T4_T5_mT6_P12ihipStream_tbENKUlT_T0_E_clISt17integral_constantIbLb0EESU_EEDaSP_SQ_EUlSP_E_NS1_11comp_targetILNS1_3genE5ELNS1_11target_archE942ELNS1_3gpuE9ELNS1_3repE0EEENS1_30default_config_static_selectorELNS0_4arch9wavefront6targetE1EEEvT1_
; %bb.0:
	.section	.rodata,"a",@progbits
	.p2align	6, 0x0
	.amdhsa_kernel _ZN7rocprim17ROCPRIM_400000_NS6detail17trampoline_kernelINS0_14default_configENS1_20scan_config_selectorIiEEZZNS1_9scan_implILNS1_25lookback_scan_determinismE0ELb0ELb1ES3_N6thrust23THRUST_200600_302600_NS6detail15normal_iteratorINS9_10device_ptrIiEEEESE_iNS9_10multipliesIiEEiEEDaPvRmT3_T4_T5_mT6_P12ihipStream_tbENKUlT_T0_E_clISt17integral_constantIbLb0EESU_EEDaSP_SQ_EUlSP_E_NS1_11comp_targetILNS1_3genE5ELNS1_11target_archE942ELNS1_3gpuE9ELNS1_3repE0EEENS1_30default_config_static_selectorELNS0_4arch9wavefront6targetE1EEEvT1_
		.amdhsa_group_segment_fixed_size 0
		.amdhsa_private_segment_fixed_size 0
		.amdhsa_kernarg_size 96
		.amdhsa_user_sgpr_count 6
		.amdhsa_user_sgpr_private_segment_buffer 1
		.amdhsa_user_sgpr_dispatch_ptr 0
		.amdhsa_user_sgpr_queue_ptr 0
		.amdhsa_user_sgpr_kernarg_segment_ptr 1
		.amdhsa_user_sgpr_dispatch_id 0
		.amdhsa_user_sgpr_flat_scratch_init 0
		.amdhsa_user_sgpr_kernarg_preload_length 0
		.amdhsa_user_sgpr_kernarg_preload_offset 0
		.amdhsa_user_sgpr_private_segment_size 0
		.amdhsa_uses_dynamic_stack 0
		.amdhsa_system_sgpr_private_segment_wavefront_offset 0
		.amdhsa_system_sgpr_workgroup_id_x 1
		.amdhsa_system_sgpr_workgroup_id_y 0
		.amdhsa_system_sgpr_workgroup_id_z 0
		.amdhsa_system_sgpr_workgroup_info 0
		.amdhsa_system_vgpr_workitem_id 0
		.amdhsa_next_free_vgpr 1
		.amdhsa_next_free_sgpr 0
		.amdhsa_accum_offset 4
		.amdhsa_reserve_vcc 0
		.amdhsa_reserve_flat_scratch 0
		.amdhsa_float_round_mode_32 0
		.amdhsa_float_round_mode_16_64 0
		.amdhsa_float_denorm_mode_32 3
		.amdhsa_float_denorm_mode_16_64 3
		.amdhsa_dx10_clamp 1
		.amdhsa_ieee_mode 1
		.amdhsa_fp16_overflow 0
		.amdhsa_tg_split 0
		.amdhsa_exception_fp_ieee_invalid_op 0
		.amdhsa_exception_fp_denorm_src 0
		.amdhsa_exception_fp_ieee_div_zero 0
		.amdhsa_exception_fp_ieee_overflow 0
		.amdhsa_exception_fp_ieee_underflow 0
		.amdhsa_exception_fp_ieee_inexact 0
		.amdhsa_exception_int_div_zero 0
	.end_amdhsa_kernel
	.section	.text._ZN7rocprim17ROCPRIM_400000_NS6detail17trampoline_kernelINS0_14default_configENS1_20scan_config_selectorIiEEZZNS1_9scan_implILNS1_25lookback_scan_determinismE0ELb0ELb1ES3_N6thrust23THRUST_200600_302600_NS6detail15normal_iteratorINS9_10device_ptrIiEEEESE_iNS9_10multipliesIiEEiEEDaPvRmT3_T4_T5_mT6_P12ihipStream_tbENKUlT_T0_E_clISt17integral_constantIbLb0EESU_EEDaSP_SQ_EUlSP_E_NS1_11comp_targetILNS1_3genE5ELNS1_11target_archE942ELNS1_3gpuE9ELNS1_3repE0EEENS1_30default_config_static_selectorELNS0_4arch9wavefront6targetE1EEEvT1_,"axG",@progbits,_ZN7rocprim17ROCPRIM_400000_NS6detail17trampoline_kernelINS0_14default_configENS1_20scan_config_selectorIiEEZZNS1_9scan_implILNS1_25lookback_scan_determinismE0ELb0ELb1ES3_N6thrust23THRUST_200600_302600_NS6detail15normal_iteratorINS9_10device_ptrIiEEEESE_iNS9_10multipliesIiEEiEEDaPvRmT3_T4_T5_mT6_P12ihipStream_tbENKUlT_T0_E_clISt17integral_constantIbLb0EESU_EEDaSP_SQ_EUlSP_E_NS1_11comp_targetILNS1_3genE5ELNS1_11target_archE942ELNS1_3gpuE9ELNS1_3repE0EEENS1_30default_config_static_selectorELNS0_4arch9wavefront6targetE1EEEvT1_,comdat
.Lfunc_end589:
	.size	_ZN7rocprim17ROCPRIM_400000_NS6detail17trampoline_kernelINS0_14default_configENS1_20scan_config_selectorIiEEZZNS1_9scan_implILNS1_25lookback_scan_determinismE0ELb0ELb1ES3_N6thrust23THRUST_200600_302600_NS6detail15normal_iteratorINS9_10device_ptrIiEEEESE_iNS9_10multipliesIiEEiEEDaPvRmT3_T4_T5_mT6_P12ihipStream_tbENKUlT_T0_E_clISt17integral_constantIbLb0EESU_EEDaSP_SQ_EUlSP_E_NS1_11comp_targetILNS1_3genE5ELNS1_11target_archE942ELNS1_3gpuE9ELNS1_3repE0EEENS1_30default_config_static_selectorELNS0_4arch9wavefront6targetE1EEEvT1_, .Lfunc_end589-_ZN7rocprim17ROCPRIM_400000_NS6detail17trampoline_kernelINS0_14default_configENS1_20scan_config_selectorIiEEZZNS1_9scan_implILNS1_25lookback_scan_determinismE0ELb0ELb1ES3_N6thrust23THRUST_200600_302600_NS6detail15normal_iteratorINS9_10device_ptrIiEEEESE_iNS9_10multipliesIiEEiEEDaPvRmT3_T4_T5_mT6_P12ihipStream_tbENKUlT_T0_E_clISt17integral_constantIbLb0EESU_EEDaSP_SQ_EUlSP_E_NS1_11comp_targetILNS1_3genE5ELNS1_11target_archE942ELNS1_3gpuE9ELNS1_3repE0EEENS1_30default_config_static_selectorELNS0_4arch9wavefront6targetE1EEEvT1_
                                        ; -- End function
	.section	.AMDGPU.csdata,"",@progbits
; Kernel info:
; codeLenInByte = 0
; NumSgprs: 4
; NumVgprs: 0
; NumAgprs: 0
; TotalNumVgprs: 0
; ScratchSize: 0
; MemoryBound: 0
; FloatMode: 240
; IeeeMode: 1
; LDSByteSize: 0 bytes/workgroup (compile time only)
; SGPRBlocks: 0
; VGPRBlocks: 0
; NumSGPRsForWavesPerEU: 4
; NumVGPRsForWavesPerEU: 1
; AccumOffset: 4
; Occupancy: 8
; WaveLimiterHint : 0
; COMPUTE_PGM_RSRC2:SCRATCH_EN: 0
; COMPUTE_PGM_RSRC2:USER_SGPR: 6
; COMPUTE_PGM_RSRC2:TRAP_HANDLER: 0
; COMPUTE_PGM_RSRC2:TGID_X_EN: 1
; COMPUTE_PGM_RSRC2:TGID_Y_EN: 0
; COMPUTE_PGM_RSRC2:TGID_Z_EN: 0
; COMPUTE_PGM_RSRC2:TIDIG_COMP_CNT: 0
; COMPUTE_PGM_RSRC3_GFX90A:ACCUM_OFFSET: 0
; COMPUTE_PGM_RSRC3_GFX90A:TG_SPLIT: 0
	.section	.text._ZN7rocprim17ROCPRIM_400000_NS6detail17trampoline_kernelINS0_14default_configENS1_20scan_config_selectorIiEEZZNS1_9scan_implILNS1_25lookback_scan_determinismE0ELb0ELb1ES3_N6thrust23THRUST_200600_302600_NS6detail15normal_iteratorINS9_10device_ptrIiEEEESE_iNS9_10multipliesIiEEiEEDaPvRmT3_T4_T5_mT6_P12ihipStream_tbENKUlT_T0_E_clISt17integral_constantIbLb0EESU_EEDaSP_SQ_EUlSP_E_NS1_11comp_targetILNS1_3genE4ELNS1_11target_archE910ELNS1_3gpuE8ELNS1_3repE0EEENS1_30default_config_static_selectorELNS0_4arch9wavefront6targetE1EEEvT1_,"axG",@progbits,_ZN7rocprim17ROCPRIM_400000_NS6detail17trampoline_kernelINS0_14default_configENS1_20scan_config_selectorIiEEZZNS1_9scan_implILNS1_25lookback_scan_determinismE0ELb0ELb1ES3_N6thrust23THRUST_200600_302600_NS6detail15normal_iteratorINS9_10device_ptrIiEEEESE_iNS9_10multipliesIiEEiEEDaPvRmT3_T4_T5_mT6_P12ihipStream_tbENKUlT_T0_E_clISt17integral_constantIbLb0EESU_EEDaSP_SQ_EUlSP_E_NS1_11comp_targetILNS1_3genE4ELNS1_11target_archE910ELNS1_3gpuE8ELNS1_3repE0EEENS1_30default_config_static_selectorELNS0_4arch9wavefront6targetE1EEEvT1_,comdat
	.protected	_ZN7rocprim17ROCPRIM_400000_NS6detail17trampoline_kernelINS0_14default_configENS1_20scan_config_selectorIiEEZZNS1_9scan_implILNS1_25lookback_scan_determinismE0ELb0ELb1ES3_N6thrust23THRUST_200600_302600_NS6detail15normal_iteratorINS9_10device_ptrIiEEEESE_iNS9_10multipliesIiEEiEEDaPvRmT3_T4_T5_mT6_P12ihipStream_tbENKUlT_T0_E_clISt17integral_constantIbLb0EESU_EEDaSP_SQ_EUlSP_E_NS1_11comp_targetILNS1_3genE4ELNS1_11target_archE910ELNS1_3gpuE8ELNS1_3repE0EEENS1_30default_config_static_selectorELNS0_4arch9wavefront6targetE1EEEvT1_ ; -- Begin function _ZN7rocprim17ROCPRIM_400000_NS6detail17trampoline_kernelINS0_14default_configENS1_20scan_config_selectorIiEEZZNS1_9scan_implILNS1_25lookback_scan_determinismE0ELb0ELb1ES3_N6thrust23THRUST_200600_302600_NS6detail15normal_iteratorINS9_10device_ptrIiEEEESE_iNS9_10multipliesIiEEiEEDaPvRmT3_T4_T5_mT6_P12ihipStream_tbENKUlT_T0_E_clISt17integral_constantIbLb0EESU_EEDaSP_SQ_EUlSP_E_NS1_11comp_targetILNS1_3genE4ELNS1_11target_archE910ELNS1_3gpuE8ELNS1_3repE0EEENS1_30default_config_static_selectorELNS0_4arch9wavefront6targetE1EEEvT1_
	.globl	_ZN7rocprim17ROCPRIM_400000_NS6detail17trampoline_kernelINS0_14default_configENS1_20scan_config_selectorIiEEZZNS1_9scan_implILNS1_25lookback_scan_determinismE0ELb0ELb1ES3_N6thrust23THRUST_200600_302600_NS6detail15normal_iteratorINS9_10device_ptrIiEEEESE_iNS9_10multipliesIiEEiEEDaPvRmT3_T4_T5_mT6_P12ihipStream_tbENKUlT_T0_E_clISt17integral_constantIbLb0EESU_EEDaSP_SQ_EUlSP_E_NS1_11comp_targetILNS1_3genE4ELNS1_11target_archE910ELNS1_3gpuE8ELNS1_3repE0EEENS1_30default_config_static_selectorELNS0_4arch9wavefront6targetE1EEEvT1_
	.p2align	8
	.type	_ZN7rocprim17ROCPRIM_400000_NS6detail17trampoline_kernelINS0_14default_configENS1_20scan_config_selectorIiEEZZNS1_9scan_implILNS1_25lookback_scan_determinismE0ELb0ELb1ES3_N6thrust23THRUST_200600_302600_NS6detail15normal_iteratorINS9_10device_ptrIiEEEESE_iNS9_10multipliesIiEEiEEDaPvRmT3_T4_T5_mT6_P12ihipStream_tbENKUlT_T0_E_clISt17integral_constantIbLb0EESU_EEDaSP_SQ_EUlSP_E_NS1_11comp_targetILNS1_3genE4ELNS1_11target_archE910ELNS1_3gpuE8ELNS1_3repE0EEENS1_30default_config_static_selectorELNS0_4arch9wavefront6targetE1EEEvT1_,@function
_ZN7rocprim17ROCPRIM_400000_NS6detail17trampoline_kernelINS0_14default_configENS1_20scan_config_selectorIiEEZZNS1_9scan_implILNS1_25lookback_scan_determinismE0ELb0ELb1ES3_N6thrust23THRUST_200600_302600_NS6detail15normal_iteratorINS9_10device_ptrIiEEEESE_iNS9_10multipliesIiEEiEEDaPvRmT3_T4_T5_mT6_P12ihipStream_tbENKUlT_T0_E_clISt17integral_constantIbLb0EESU_EEDaSP_SQ_EUlSP_E_NS1_11comp_targetILNS1_3genE4ELNS1_11target_archE910ELNS1_3gpuE8ELNS1_3repE0EEENS1_30default_config_static_selectorELNS0_4arch9wavefront6targetE1EEEvT1_: ; @_ZN7rocprim17ROCPRIM_400000_NS6detail17trampoline_kernelINS0_14default_configENS1_20scan_config_selectorIiEEZZNS1_9scan_implILNS1_25lookback_scan_determinismE0ELb0ELb1ES3_N6thrust23THRUST_200600_302600_NS6detail15normal_iteratorINS9_10device_ptrIiEEEESE_iNS9_10multipliesIiEEiEEDaPvRmT3_T4_T5_mT6_P12ihipStream_tbENKUlT_T0_E_clISt17integral_constantIbLb0EESU_EEDaSP_SQ_EUlSP_E_NS1_11comp_targetILNS1_3genE4ELNS1_11target_archE910ELNS1_3gpuE8ELNS1_3repE0EEENS1_30default_config_static_selectorELNS0_4arch9wavefront6targetE1EEEvT1_
; %bb.0:
	s_load_dwordx8 s[8:15], s[4:5], 0x0
	s_load_dword s1, s[4:5], 0x30
	s_mul_i32 s0, s6, 0x500
	v_lshlrev_b32_e32 v30, 2, v0
	s_waitcnt lgkmcnt(0)
	s_lshl_b64 s[10:11], s[10:11], 2
	s_add_u32 s2, s8, s10
	s_addc_u32 s3, s9, s11
	s_add_i32 s7, s1, -1
	s_mul_i32 s8, s7, 0x500
	s_sub_u32 s26, s14, s8
	s_subb_u32 s27, s15, 0
	s_mov_b32 s1, 0
	s_cmp_lg_u32 s6, s7
	s_cselect_b64 s[8:9], -1, 0
	s_lshl_b64 s[14:15], s[0:1], 2
	s_add_u32 s2, s2, s14
	s_addc_u32 s3, s3, s15
	s_mov_b64 s[0:1], -1
	s_and_b64 vcc, exec, s[8:9]
	s_cbranch_vccz .LBB590_2
; %bb.1:
	v_mov_b32_e32 v1, s3
	v_add_co_u32_e32 v2, vcc, s2, v30
	v_addc_co_u32_e32 v3, vcc, 0, v1, vcc
	flat_load_dword v1, v[2:3]
	flat_load_dword v4, v[2:3] offset:512
	flat_load_dword v5, v[2:3] offset:1024
	;; [unrolled: 1-line block ×7, first 2 shown]
	v_add_co_u32_e32 v2, vcc, 0x1000, v2
	v_addc_co_u32_e32 v3, vcc, 0, v3, vcc
	flat_load_dword v11, v[2:3]
	flat_load_dword v12, v[2:3] offset:512
	s_mov_b64 s[0:1], 0
	s_waitcnt vmcnt(0) lgkmcnt(0)
	ds_write2st64_b32 v30, v1, v4 offset1:2
	ds_write2st64_b32 v30, v5, v6 offset0:4 offset1:6
	ds_write2st64_b32 v30, v7, v8 offset0:8 offset1:10
	;; [unrolled: 1-line block ×4, first 2 shown]
	s_waitcnt lgkmcnt(0)
	s_barrier
.LBB590_2:
	s_load_dwordx2 s[24:25], s[4:5], 0x28
	s_andn2_b64 vcc, exec, s[0:1]
	v_cmp_gt_u32_e64 s[0:1], s26, v0
	s_cbranch_vccnz .LBB590_24
; %bb.3:
	v_pk_mov_b32 v[2:3], s[2:3], s[2:3] op_sel:[0,1]
	flat_load_dword v1, v[2:3]
	s_waitcnt vmcnt(0) lgkmcnt(0)
	v_mov_b32_e32 v2, v1
	v_mov_b32_e32 v3, v1
	;; [unrolled: 1-line block ×9, first 2 shown]
	s_and_saveexec_b64 s[16:17], s[0:1]
	s_cbranch_execz .LBB590_5
; %bb.4:
	v_mov_b32_e32 v11, s3
	v_add_co_u32_e32 v10, vcc, s2, v30
	v_addc_co_u32_e32 v11, vcc, 0, v11, vcc
	flat_load_dword v10, v[10:11]
.LBB590_5:
	s_or_b64 exec, exec, s[16:17]
	v_or_b32_e32 v11, 0x80, v0
	v_cmp_gt_u32_e32 vcc, s26, v11
	s_and_saveexec_b64 s[0:1], vcc
	s_cbranch_execz .LBB590_7
; %bb.6:
	v_mov_b32_e32 v1, s3
	v_add_co_u32_e32 v12, vcc, s2, v30
	v_addc_co_u32_e32 v13, vcc, 0, v1, vcc
	flat_load_dword v1, v[12:13] offset:512
.LBB590_7:
	s_or_b64 exec, exec, s[0:1]
	v_or_b32_e32 v11, 0x100, v0
	v_cmp_gt_u32_e32 vcc, s26, v11
	s_and_saveexec_b64 s[0:1], vcc
	s_cbranch_execz .LBB590_9
; %bb.8:
	v_mov_b32_e32 v2, s3
	v_add_co_u32_e32 v12, vcc, s2, v30
	v_addc_co_u32_e32 v13, vcc, 0, v2, vcc
	flat_load_dword v2, v[12:13] offset:1024
.LBB590_9:
	;; [unrolled: 11-line block ×7, first 2 shown]
	s_or_b64 exec, exec, s[0:1]
	v_or_b32_e32 v11, 0x400, v0
	v_cmp_gt_u32_e32 vcc, s26, v11
	s_and_saveexec_b64 s[0:1], vcc
	s_cbranch_execz .LBB590_21
; %bb.20:
	v_lshlrev_b32_e32 v8, 2, v11
	v_mov_b32_e32 v11, s3
	v_add_co_u32_e32 v12, vcc, s2, v8
	v_addc_co_u32_e32 v13, vcc, 0, v11, vcc
	flat_load_dword v8, v[12:13]
.LBB590_21:
	s_or_b64 exec, exec, s[0:1]
	v_or_b32_e32 v11, 0x480, v0
	v_cmp_gt_u32_e32 vcc, s26, v11
	s_and_saveexec_b64 s[0:1], vcc
	s_cbranch_execz .LBB590_23
; %bb.22:
	v_lshlrev_b32_e32 v9, 2, v11
	v_mov_b32_e32 v11, s3
	v_add_co_u32_e32 v12, vcc, s2, v9
	v_addc_co_u32_e32 v13, vcc, 0, v11, vcc
	flat_load_dword v9, v[12:13]
.LBB590_23:
	s_or_b64 exec, exec, s[0:1]
	s_waitcnt vmcnt(0) lgkmcnt(0)
	ds_write2st64_b32 v30, v10, v1 offset1:2
	ds_write2st64_b32 v30, v2, v3 offset0:4 offset1:6
	ds_write2st64_b32 v30, v4, v5 offset0:8 offset1:10
	ds_write2st64_b32 v30, v6, v7 offset0:12 offset1:14
	ds_write2st64_b32 v30, v8, v9 offset0:16 offset1:18
	s_waitcnt lgkmcnt(0)
	s_barrier
.LBB590_24:
	v_mul_u32_u24_e32 v31, 10, v0
	v_lshlrev_b32_e32 v1, 2, v31
	s_waitcnt lgkmcnt(0)
	ds_read2_b64 v[2:5], v1 offset1:1
	ds_read2_b64 v[24:27], v1 offset0:2 offset1:3
	ds_read_b64 v[28:29], v1 offset:32
	s_cmp_lg_u32 s6, 0
	v_lshrrev_b32_e32 v22, 5, v0
	v_cmp_gt_u32_e32 vcc, 64, v0
	s_waitcnt lgkmcnt(0)
	s_barrier
	s_cbranch_scc0 .LBB590_49
; %bb.25:
	v_mul_lo_u32 v6, v3, v2
	v_mul_lo_u32 v6, v6, v4
	;; [unrolled: 1-line block ×9, first 2 shown]
	v_add_lshl_u32 v7, v22, v0, 2
	ds_write_b32 v7, v6
	s_waitcnt lgkmcnt(0)
	s_barrier
	s_and_saveexec_b64 s[2:3], vcc
	s_cbranch_execz .LBB590_27
; %bb.26:
	v_lshlrev_b32_e32 v7, 1, v0
	v_lshrrev_b32_e32 v8, 4, v0
	v_add_lshl_u32 v7, v8, v7, 2
	ds_read2_b32 v[8:9], v7 offset1:1
	v_mbcnt_lo_u32_b32 v10, -1, 0
	v_mbcnt_hi_u32_b32 v10, -1, v10
	v_and_b32_e32 v11, 15, v10
	v_cmp_ne_u32_e64 s[0:1], 0, v11
	s_waitcnt lgkmcnt(0)
	v_mul_lo_u32 v9, v9, v8
	; wave barrier
	s_nop 1
	v_mov_b32_dpp v12, v9 row_shr:1 row_mask:0xf bank_mask:0xf
	v_cndmask_b32_e64 v12, 1, v12, s[0:1]
	v_mul_lo_u32 v9, v12, v9
	v_cmp_lt_u32_e64 s[0:1], 1, v11
	s_nop 0
	v_mov_b32_dpp v12, v9 row_shr:2 row_mask:0xf bank_mask:0xf
	v_cndmask_b32_e64 v12, 1, v12, s[0:1]
	v_mul_lo_u32 v9, v9, v12
	v_cmp_lt_u32_e64 s[0:1], 3, v11
	;; [unrolled: 5-line block ×3, first 2 shown]
	s_nop 0
	v_mov_b32_dpp v12, v9 row_shr:8 row_mask:0xf bank_mask:0xf
	v_cndmask_b32_e64 v11, 1, v12, s[0:1]
	v_mul_lo_u32 v9, v9, v11
	v_and_b32_e32 v12, 16, v10
	v_cmp_ne_u32_e64 s[0:1], 0, v12
	v_mov_b32_dpp v11, v9 row_bcast:15 row_mask:0xf bank_mask:0xf
	v_cndmask_b32_e64 v11, 1, v11, s[0:1]
	v_mul_lo_u32 v9, v9, v11
	v_cmp_lt_u32_e64 s[0:1], 31, v10
	v_and_b32_e32 v12, 64, v10
	v_mov_b32_dpp v11, v9 row_bcast:31 row_mask:0xf bank_mask:0xf
	v_cndmask_b32_e64 v11, 1, v11, s[0:1]
	v_mul_lo_u32 v9, v9, v11
	v_add_u32_e32 v11, -1, v10
	v_cmp_lt_i32_e64 s[0:1], v11, v12
	v_cndmask_b32_e64 v10, v11, v10, s[0:1]
	v_lshlrev_b32_e32 v10, 2, v10
	ds_bpermute_b32 v9, v10, v9
	v_cmp_eq_u32_e64 s[0:1], 0, v0
	s_waitcnt lgkmcnt(0)
	v_mul_lo_u32 v8, v9, v8
	v_cndmask_b32_e64 v6, v8, v6, s[0:1]
	ds_write_b32 v7, v6
	; wave barrier
	ds_read_b32 v8, v7 offset:4
	s_waitcnt lgkmcnt(0)
	v_mul_lo_u32 v6, v8, v6
	ds_write_b32 v7, v6 offset:4
.LBB590_27:
	s_or_b64 exec, exec, s[2:3]
	v_cmp_eq_u32_e64 s[0:1], 0, v0
	v_cmp_ne_u32_e64 s[2:3], 0, v0
	v_mov_b32_e32 v16, 1
	s_waitcnt lgkmcnt(0)
	s_barrier
	s_and_saveexec_b64 s[16:17], s[2:3]
	s_cbranch_execz .LBB590_29
; %bb.28:
	v_add_u32_e32 v6, -1, v0
	v_lshrrev_b32_e32 v7, 5, v6
	v_add_lshl_u32 v6, v7, v6, 2
	ds_read_b32 v16, v6
.LBB590_29:
	s_or_b64 exec, exec, s[16:17]
	s_and_saveexec_b64 s[16:17], vcc
	s_cbranch_execz .LBB590_48
; %bb.30:
	v_mov_b32_e32 v13, 0
	ds_read_b32 v6, v13 offset:520
	v_mbcnt_lo_u32_b32 v7, -1, 0
	v_mbcnt_hi_u32_b32 v9, -1, v7
	s_mov_b32 s21, 0
	v_cmp_eq_u32_e64 s[2:3], 0, v9
	s_and_saveexec_b64 s[18:19], s[2:3]
	s_cbranch_execz .LBB590_32
; %bb.31:
	s_add_i32 s20, s6, 64
	s_lshl_b64 s[20:21], s[20:21], 3
	s_add_u32 s20, s24, s20
	v_mov_b32_e32 v7, 1
	s_addc_u32 s21, s25, s21
	s_waitcnt lgkmcnt(0)
	global_store_dwordx2 v13, v[6:7], s[20:21]
.LBB590_32:
	s_or_b64 exec, exec, s[18:19]
	v_xad_u32 v8, v9, -1, s6
	v_add_u32_e32 v12, 64, v8
	v_lshlrev_b64 v[10:11], 3, v[12:13]
	v_mov_b32_e32 v7, s25
	v_add_co_u32_e32 v14, vcc, s24, v10
	v_addc_co_u32_e32 v15, vcc, v7, v11, vcc
	global_load_dwordx2 v[10:11], v[14:15], off glc
	s_waitcnt vmcnt(0)
	v_cmp_eq_u16_sdwa s[20:21], v11, v13 src0_sel:BYTE_0 src1_sel:DWORD
	s_and_saveexec_b64 s[18:19], s[20:21]
	s_cbranch_execz .LBB590_36
; %bb.33:
	s_mov_b64 s[20:21], 0
	v_mov_b32_e32 v7, 0
.LBB590_34:                             ; =>This Inner Loop Header: Depth=1
	global_load_dwordx2 v[10:11], v[14:15], off glc
	s_waitcnt vmcnt(0)
	v_cmp_ne_u16_sdwa s[22:23], v11, v7 src0_sel:BYTE_0 src1_sel:DWORD
	s_or_b64 s[20:21], s[22:23], s[20:21]
	s_andn2_b64 exec, exec, s[20:21]
	s_cbranch_execnz .LBB590_34
; %bb.35:
	s_or_b64 exec, exec, s[20:21]
.LBB590_36:
	s_or_b64 exec, exec, s[18:19]
	v_and_b32_e32 v17, 63, v9
	v_mov_b32_e32 v7, 2
	v_cmp_ne_u32_e32 vcc, 63, v17
	v_cmp_eq_u16_sdwa s[18:19], v11, v7 src0_sel:BYTE_0 src1_sel:DWORD
	v_lshlrev_b64 v[12:13], v9, -1
	v_addc_co_u32_e32 v18, vcc, 0, v9, vcc
	v_and_b32_e32 v14, s19, v13
	v_lshlrev_b32_e32 v18, 2, v18
	v_or_b32_e32 v14, 0x80000000, v14
	ds_bpermute_b32 v19, v18, v10
	v_and_b32_e32 v15, s18, v12
	v_ffbl_b32_e32 v14, v14
	v_add_u32_e32 v14, 32, v14
	v_ffbl_b32_e32 v15, v15
	v_min_u32_e32 v14, v15, v14
	v_cmp_lt_u32_e32 vcc, v17, v14
	s_waitcnt lgkmcnt(0)
	v_cndmask_b32_e32 v15, 1, v19, vcc
	v_cmp_gt_u32_e32 vcc, 62, v17
	v_mul_lo_u32 v10, v15, v10
	v_cndmask_b32_e64 v15, 0, 1, vcc
	v_lshlrev_b32_e32 v15, 1, v15
	v_add_lshl_u32 v19, v15, v9, 2
	ds_bpermute_b32 v15, v19, v10
	v_add_u32_e32 v20, 2, v17
	v_cmp_le_u32_e32 vcc, v20, v14
	v_add_u32_e32 v23, 4, v17
	v_add_u32_e32 v33, 8, v17
	s_waitcnt lgkmcnt(0)
	v_cndmask_b32_e32 v15, 1, v15, vcc
	v_cmp_gt_u32_e32 vcc, 60, v17
	v_mul_lo_u32 v10, v10, v15
	v_cndmask_b32_e64 v15, 0, 1, vcc
	v_lshlrev_b32_e32 v15, 2, v15
	v_add_lshl_u32 v21, v15, v9, 2
	ds_bpermute_b32 v15, v21, v10
	v_cmp_le_u32_e32 vcc, v23, v14
	v_add_u32_e32 v36, 16, v17
	v_add_u32_e32 v38, 32, v17
	s_waitcnt lgkmcnt(0)
	v_cndmask_b32_e32 v15, 1, v15, vcc
	v_cmp_gt_u32_e32 vcc, 56, v17
	v_mul_lo_u32 v10, v10, v15
	v_cndmask_b32_e64 v15, 0, 1, vcc
	v_lshlrev_b32_e32 v15, 3, v15
	v_add_lshl_u32 v32, v15, v9, 2
	ds_bpermute_b32 v15, v32, v10
	v_cmp_le_u32_e32 vcc, v33, v14
	s_waitcnt lgkmcnt(0)
	v_cndmask_b32_e32 v15, 1, v15, vcc
	v_cmp_gt_u32_e32 vcc, 48, v17
	v_mul_lo_u32 v10, v10, v15
	v_cndmask_b32_e64 v15, 0, 1, vcc
	v_lshlrev_b32_e32 v15, 4, v15
	v_add_lshl_u32 v35, v15, v9, 2
	ds_bpermute_b32 v15, v35, v10
	v_cmp_le_u32_e32 vcc, v36, v14
	;; [unrolled: 9-line block ×3, first 2 shown]
	s_waitcnt lgkmcnt(0)
	v_cndmask_b32_e32 v9, 1, v9, vcc
	v_mul_lo_u32 v10, v10, v9
	v_mov_b32_e32 v9, 0
	s_branch .LBB590_38
.LBB590_37:                             ;   in Loop: Header=BB590_38 Depth=1
	s_or_b64 exec, exec, s[18:19]
	v_cmp_eq_u16_sdwa s[18:19], v11, v7 src0_sel:BYTE_0 src1_sel:DWORD
	v_and_b32_e32 v14, s19, v13
	v_or_b32_e32 v14, 0x80000000, v14
	ds_bpermute_b32 v39, v18, v10
	v_and_b32_e32 v15, s18, v12
	v_ffbl_b32_e32 v14, v14
	v_add_u32_e32 v14, 32, v14
	v_ffbl_b32_e32 v15, v15
	v_min_u32_e32 v14, v15, v14
	v_cmp_lt_u32_e32 vcc, v17, v14
	s_waitcnt lgkmcnt(0)
	v_cndmask_b32_e32 v15, 1, v39, vcc
	v_mul_lo_u32 v10, v15, v10
	ds_bpermute_b32 v15, v19, v10
	v_cmp_le_u32_e32 vcc, v20, v14
	v_subrev_u32_e32 v8, 64, v8
	s_waitcnt lgkmcnt(0)
	v_cndmask_b32_e32 v15, 1, v15, vcc
	v_mul_lo_u32 v10, v10, v15
	ds_bpermute_b32 v15, v21, v10
	v_cmp_le_u32_e32 vcc, v23, v14
	s_waitcnt lgkmcnt(0)
	v_cndmask_b32_e32 v15, 1, v15, vcc
	v_mul_lo_u32 v10, v10, v15
	ds_bpermute_b32 v15, v32, v10
	v_cmp_le_u32_e32 vcc, v33, v14
	s_waitcnt lgkmcnt(0)
	v_cndmask_b32_e32 v15, 1, v15, vcc
	v_mul_lo_u32 v10, v10, v15
	ds_bpermute_b32 v15, v35, v10
	v_cmp_le_u32_e32 vcc, v36, v14
	s_waitcnt lgkmcnt(0)
	v_cndmask_b32_e32 v15, 1, v15, vcc
	v_mul_lo_u32 v10, v10, v15
	ds_bpermute_b32 v15, v37, v10
	v_cmp_le_u32_e32 vcc, v38, v14
	s_waitcnt lgkmcnt(0)
	v_cndmask_b32_e32 v14, 1, v15, vcc
	v_mul_lo_u32 v14, v14, v34
	v_mul_lo_u32 v10, v14, v10
.LBB590_38:                             ; =>This Loop Header: Depth=1
                                        ;     Child Loop BB590_41 Depth 2
	v_cmp_ne_u16_sdwa s[18:19], v11, v7 src0_sel:BYTE_0 src1_sel:DWORD
	v_cndmask_b32_e64 v11, 0, 1, s[18:19]
	;;#ASMSTART
	;;#ASMEND
	v_cmp_ne_u32_e32 vcc, 0, v11
	s_cmp_lg_u64 vcc, exec
	v_mov_b32_e32 v34, v10
	s_cbranch_scc1 .LBB590_43
; %bb.39:                               ;   in Loop: Header=BB590_38 Depth=1
	v_lshlrev_b64 v[10:11], 3, v[8:9]
	v_mov_b32_e32 v15, s25
	v_add_co_u32_e32 v14, vcc, s24, v10
	v_addc_co_u32_e32 v15, vcc, v15, v11, vcc
	global_load_dwordx2 v[10:11], v[14:15], off glc
	s_waitcnt vmcnt(0)
	v_cmp_eq_u16_sdwa s[20:21], v11, v9 src0_sel:BYTE_0 src1_sel:DWORD
	s_and_saveexec_b64 s[18:19], s[20:21]
	s_cbranch_execz .LBB590_37
; %bb.40:                               ;   in Loop: Header=BB590_38 Depth=1
	s_mov_b64 s[20:21], 0
.LBB590_41:                             ;   Parent Loop BB590_38 Depth=1
                                        ; =>  This Inner Loop Header: Depth=2
	global_load_dwordx2 v[10:11], v[14:15], off glc
	s_waitcnt vmcnt(0)
	v_cmp_ne_u16_sdwa s[22:23], v11, v9 src0_sel:BYTE_0 src1_sel:DWORD
	s_or_b64 s[20:21], s[22:23], s[20:21]
	s_andn2_b64 exec, exec, s[20:21]
	s_cbranch_execnz .LBB590_41
; %bb.42:                               ;   in Loop: Header=BB590_38 Depth=1
	s_or_b64 exec, exec, s[20:21]
	s_branch .LBB590_37
.LBB590_43:                             ;   in Loop: Header=BB590_38 Depth=1
                                        ; implicit-def: $vgpr10
                                        ; implicit-def: $vgpr11
	s_cbranch_execz .LBB590_38
; %bb.44:
	s_and_saveexec_b64 s[18:19], s[2:3]
	s_cbranch_execz .LBB590_46
; %bb.45:
	s_add_i32 s2, s6, 64
	s_mov_b32 s3, 0
	s_lshl_b64 s[2:3], s[2:3], 3
	s_add_u32 s2, s24, s2
	v_mul_lo_u32 v6, v34, v6
	s_addc_u32 s3, s25, s3
	v_mov_b32_e32 v8, 0
	v_mov_b32_e32 v7, 2
	global_store_dwordx2 v8, v[6:7], s[2:3]
.LBB590_46:
	s_or_b64 exec, exec, s[18:19]
	s_and_b64 exec, exec, s[0:1]
	s_cbranch_execz .LBB590_48
; %bb.47:
	v_mov_b32_e32 v6, 0
	ds_write_b32 v6, v34
.LBB590_48:
	s_or_b64 exec, exec, s[16:17]
	v_mov_b32_e32 v6, 0
	s_waitcnt lgkmcnt(0)
	s_barrier
	ds_read_b32 v6, v6
	v_mul_lo_u32 v7, v16, v2
	s_waitcnt lgkmcnt(0)
	v_mul_lo_u32 v12, v7, v6
	v_mul_lo_u32 v13, v12, v3
	v_mul_lo_u32 v14, v13, v4
	v_mul_lo_u32 v15, v14, v5
	v_mul_lo_u32 v16, v15, v24
	v_mul_lo_u32 v17, v16, v25
	v_mul_lo_u32 v18, v17, v26
	v_mul_lo_u32 v19, v18, v27
	v_mul_lo_u32 v20, v19, v28
	v_mul_lo_u32 v21, v20, v29
	s_load_dwordx8 s[16:23], s[4:5], 0x38
	s_branch .LBB590_71
.LBB590_49:
                                        ; implicit-def: $vgpr12_vgpr13_vgpr14_vgpr15_vgpr16_vgpr17_vgpr18_vgpr19_vgpr20_vgpr21
	s_load_dwordx8 s[16:23], s[4:5], 0x38
	s_cbranch_execz .LBB590_71
; %bb.50:
	s_waitcnt lgkmcnt(0)
	s_cmp_lg_u64 s[20:21], 0
	s_cselect_b64 s[28:29], -1, 0
	s_cmp_eq_u64 s[20:21], 0
	v_cmp_eq_u32_e64 s[2:3], 0, v0
	s_cselect_b64 s[6:7], -1, 0
	v_cmp_ne_u32_e64 s[0:1], 0, v0
	s_and_b64 s[28:29], s[2:3], s[28:29]
	s_and_saveexec_b64 s[20:21], s[28:29]
	s_cbranch_execz .LBB590_52
; %bb.51:
	v_mov_b32_e32 v6, 0
	global_load_dword v6, v6, s[16:17]
	s_waitcnt vmcnt(0)
	v_mul_lo_u32 v2, v6, v2
.LBB590_52:
	s_or_b64 exec, exec, s[20:21]
	v_mul_lo_u32 v34, v3, v2
	v_mul_lo_u32 v33, v34, v4
	;; [unrolled: 1-line block ×9, first 2 shown]
	v_add_lshl_u32 v12, v22, v0, 2
	s_andn2_b64 vcc, exec, s[6:7]
	v_cmp_gt_u32_e64 s[6:7], 64, v0
	ds_write_b32 v12, v11
	s_waitcnt lgkmcnt(0)
	s_cbranch_vccnz .LBB590_60
; %bb.53:
	s_barrier
	s_and_saveexec_b64 s[16:17], s[6:7]
	s_cbranch_execz .LBB590_55
; %bb.54:
	v_lshlrev_b32_e32 v12, 1, v0
	v_lshrrev_b32_e32 v13, 4, v0
	v_add_lshl_u32 v14, v13, v12, 2
	ds_read2_b32 v[12:13], v14 offset1:1
	v_mbcnt_lo_u32_b32 v15, -1, 0
	v_mbcnt_hi_u32_b32 v15, -1, v15
	v_and_b32_e32 v16, 15, v15
	v_cmp_ne_u32_e32 vcc, 0, v16
	s_waitcnt lgkmcnt(0)
	v_mul_lo_u32 v13, v13, v12
	; wave barrier
	s_nop 1
	v_mov_b32_dpp v17, v13 row_shr:1 row_mask:0xf bank_mask:0xf
	v_cndmask_b32_e32 v17, 1, v17, vcc
	v_mul_lo_u32 v13, v17, v13
	v_cmp_lt_u32_e32 vcc, 1, v16
	s_nop 0
	v_mov_b32_dpp v17, v13 row_shr:2 row_mask:0xf bank_mask:0xf
	v_cndmask_b32_e32 v17, 1, v17, vcc
	v_mul_lo_u32 v13, v13, v17
	v_cmp_lt_u32_e32 vcc, 3, v16
	s_nop 0
	v_mov_b32_dpp v17, v13 row_shr:4 row_mask:0xf bank_mask:0xf
	v_cndmask_b32_e32 v17, 1, v17, vcc
	v_mul_lo_u32 v13, v13, v17
	v_cmp_lt_u32_e32 vcc, 7, v16
	s_nop 0
	v_mov_b32_dpp v17, v13 row_shr:8 row_mask:0xf bank_mask:0xf
	v_cndmask_b32_e32 v16, 1, v17, vcc
	v_mul_lo_u32 v13, v13, v16
	v_and_b32_e32 v17, 16, v15
	v_cmp_ne_u32_e32 vcc, 0, v17
	v_mov_b32_dpp v16, v13 row_bcast:15 row_mask:0xf bank_mask:0xf
	v_cndmask_b32_e32 v16, 1, v16, vcc
	v_mul_lo_u32 v13, v13, v16
	v_cmp_lt_u32_e32 vcc, 31, v15
	v_and_b32_e32 v17, 64, v15
	v_mov_b32_dpp v16, v13 row_bcast:31 row_mask:0xf bank_mask:0xf
	v_cndmask_b32_e32 v16, 1, v16, vcc
	v_mul_lo_u32 v13, v13, v16
	v_add_u32_e32 v16, -1, v15
	v_cmp_lt_i32_e32 vcc, v16, v17
	v_cndmask_b32_e32 v15, v16, v15, vcc
	v_lshlrev_b32_e32 v15, 2, v15
	ds_bpermute_b32 v13, v15, v13
	s_waitcnt lgkmcnt(0)
	v_mul_lo_u32 v12, v13, v12
	v_cndmask_b32_e64 v12, v12, v11, s[2:3]
	ds_write_b32 v14, v12
	; wave barrier
	ds_read_b32 v13, v14 offset:4
	s_waitcnt lgkmcnt(0)
	v_mul_lo_u32 v12, v13, v12
	ds_write_b32 v14, v12 offset:4
.LBB590_55:
	s_or_b64 exec, exec, s[16:17]
	v_mov_b32_e32 v21, v11
	s_waitcnt lgkmcnt(0)
	s_barrier
	s_and_saveexec_b64 s[16:17], s[0:1]
	s_cbranch_execz .LBB590_57
; %bb.56:
	v_add_u32_e32 v12, -1, v0
	v_lshrrev_b32_e32 v13, 5, v12
	v_add_lshl_u32 v12, v13, v12, 2
	ds_read_b32 v21, v12
.LBB590_57:
	s_or_b64 exec, exec, s[16:17]
	s_load_dword s16, s[4:5], 0x20
	v_mov_b32_e32 v12, v10
	v_mov_b32_e32 v13, v9
	;; [unrolled: 1-line block ×9, first 2 shown]
	s_and_saveexec_b64 s[4:5], s[0:1]
	s_cbranch_execz .LBB590_59
; %bb.58:
	s_waitcnt lgkmcnt(0)
	v_mul_lo_u32 v14, v21, v2
	v_mul_lo_u32 v15, v14, v3
	;; [unrolled: 1-line block ×9, first 2 shown]
	;;#ASMSTART
	;;#ASMEND
.LBB590_59:
	s_or_b64 exec, exec, s[4:5]
	s_waitcnt lgkmcnt(0)
	v_mul_lo_u32 v14, v14, s16
	v_mul_lo_u32 v15, v15, s16
	;; [unrolled: 1-line block ×10, first 2 shown]
	v_pk_mov_b32 v[12:13], v[14:15], v[14:15] op_sel:[0,1]
	v_pk_mov_b32 v[14:15], v[16:17], v[16:17] op_sel:[0,1]
	v_pk_mov_b32 v[16:17], v[18:19], v[18:19] op_sel:[0,1]
	v_pk_mov_b32 v[18:19], v[20:21], v[20:21] op_sel:[0,1]
	v_pk_mov_b32 v[20:21], v[22:23], v[22:23] op_sel:[0,1]
	s_branch .LBB590_68
.LBB590_60:
                                        ; implicit-def: $vgpr23
                                        ; implicit-def: $vgpr12_vgpr13_vgpr14_vgpr15_vgpr16_vgpr17_vgpr18_vgpr19_vgpr20_vgpr21
	s_cbranch_execz .LBB590_68
; %bb.61:
	s_barrier
	s_and_saveexec_b64 s[4:5], s[6:7]
	s_cbranch_execz .LBB590_63
; %bb.62:
	v_lshlrev_b32_e32 v12, 1, v0
	v_lshrrev_b32_e32 v13, 4, v0
	v_add_lshl_u32 v14, v13, v12, 2
	ds_read2_b32 v[12:13], v14 offset1:1
	v_mbcnt_lo_u32_b32 v15, -1, 0
	v_mbcnt_hi_u32_b32 v15, -1, v15
	v_and_b32_e32 v16, 15, v15
	v_cmp_ne_u32_e32 vcc, 0, v16
	s_waitcnt lgkmcnt(0)
	v_mul_lo_u32 v13, v13, v12
	; wave barrier
	s_nop 1
	v_mov_b32_dpp v17, v13 row_shr:1 row_mask:0xf bank_mask:0xf
	v_cndmask_b32_e32 v17, 1, v17, vcc
	v_mul_lo_u32 v13, v17, v13
	v_cmp_lt_u32_e32 vcc, 1, v16
	s_nop 0
	v_mov_b32_dpp v17, v13 row_shr:2 row_mask:0xf bank_mask:0xf
	v_cndmask_b32_e32 v17, 1, v17, vcc
	v_mul_lo_u32 v13, v13, v17
	v_cmp_lt_u32_e32 vcc, 3, v16
	;; [unrolled: 5-line block ×3, first 2 shown]
	s_nop 0
	v_mov_b32_dpp v17, v13 row_shr:8 row_mask:0xf bank_mask:0xf
	v_cndmask_b32_e32 v16, 1, v17, vcc
	v_mul_lo_u32 v13, v13, v16
	v_and_b32_e32 v17, 16, v15
	v_cmp_ne_u32_e32 vcc, 0, v17
	v_mov_b32_dpp v16, v13 row_bcast:15 row_mask:0xf bank_mask:0xf
	v_cndmask_b32_e32 v16, 1, v16, vcc
	v_mul_lo_u32 v13, v13, v16
	v_cmp_lt_u32_e32 vcc, 31, v15
	v_and_b32_e32 v17, 64, v15
	v_mov_b32_dpp v16, v13 row_bcast:31 row_mask:0xf bank_mask:0xf
	v_cndmask_b32_e32 v16, 1, v16, vcc
	v_mul_lo_u32 v13, v13, v16
	v_add_u32_e32 v16, -1, v15
	v_cmp_lt_i32_e32 vcc, v16, v17
	v_cndmask_b32_e32 v15, v16, v15, vcc
	v_lshlrev_b32_e32 v15, 2, v15
	ds_bpermute_b32 v13, v15, v13
	s_waitcnt lgkmcnt(0)
	v_mul_lo_u32 v12, v13, v12
	v_cndmask_b32_e64 v12, v12, v11, s[2:3]
	ds_write_b32 v14, v12
	; wave barrier
	ds_read_b32 v13, v14 offset:4
	s_waitcnt lgkmcnt(0)
	v_mul_lo_u32 v12, v13, v12
	ds_write_b32 v14, v12 offset:4
.LBB590_63:
	s_or_b64 exec, exec, s[4:5]
	v_mov_b32_e32 v12, v11
	s_waitcnt lgkmcnt(0)
	s_barrier
	s_and_saveexec_b64 s[2:3], s[0:1]
	s_cbranch_execz .LBB590_65
; %bb.64:
	v_add_u32_e32 v12, -1, v0
	v_lshrrev_b32_e32 v13, 5, v12
	v_add_lshl_u32 v12, v13, v12, 2
	ds_read_b32 v12, v12
.LBB590_65:
	s_or_b64 exec, exec, s[2:3]
	s_and_saveexec_b64 s[2:3], s[0:1]
	s_cbranch_execz .LBB590_67
; %bb.66:
	s_waitcnt lgkmcnt(0)
	v_mul_lo_u32 v2, v12, v2
	v_mul_lo_u32 v34, v2, v3
	v_mul_lo_u32 v33, v34, v4
	v_mul_lo_u32 v32, v33, v5
	v_mul_lo_u32 v6, v32, v24
	v_mul_lo_u32 v7, v6, v25
	v_mul_lo_u32 v8, v7, v26
	v_mul_lo_u32 v9, v8, v27
	v_mul_lo_u32 v10, v9, v28
	v_mul_lo_u32 v11, v10, v29
	;;#ASMSTART
	;;#ASMEND
.LBB590_67:
	s_or_b64 exec, exec, s[2:3]
	v_mov_b32_e32 v3, v34
	v_mov_b32_e32 v4, v33
	;; [unrolled: 1-line block ×3, first 2 shown]
	s_waitcnt lgkmcnt(0)
	v_pk_mov_b32 v[20:21], v[10:11], v[10:11] op_sel:[0,1]
	v_mov_b32_e32 v23, v11
	v_pk_mov_b32 v[18:19], v[8:9], v[8:9] op_sel:[0,1]
	v_pk_mov_b32 v[16:17], v[6:7], v[6:7] op_sel:[0,1]
	;; [unrolled: 1-line block ×4, first 2 shown]
.LBB590_68:
	s_movk_i32 s0, 0x7f
	v_cmp_eq_u32_e32 vcc, s0, v0
	s_and_saveexec_b64 s[0:1], vcc
	s_cbranch_execz .LBB590_70
; %bb.69:
	v_mov_b32_e32 v4, 0
	v_mov_b32_e32 v3, 2
	;; [unrolled: 1-line block ×3, first 2 shown]
	global_store_dwordx2 v4, v[2:3], s[24:25] offset:512
.LBB590_70:
	s_or_b64 exec, exec, s[0:1]
.LBB590_71:
	s_add_u32 s0, s12, s10
	s_addc_u32 s1, s13, s11
	s_add_u32 s2, s0, s14
	s_addc_u32 s3, s1, s15
	s_mov_b64 s[0:1], -1
	s_and_b64 vcc, exec, s[8:9]
	s_waitcnt lgkmcnt(0)
	s_barrier
	s_cbranch_vccz .LBB590_73
; %bb.72:
	ds_write2_b64 v1, v[12:13], v[14:15] offset1:1
	ds_write2_b64 v1, v[16:17], v[18:19] offset0:2 offset1:3
	ds_write_b64 v1, v[20:21] offset:32
	s_waitcnt lgkmcnt(0)
	s_barrier
	ds_read2st64_b32 v[2:3], v30 offset1:2
	ds_read2st64_b32 v[4:5], v30 offset0:4 offset1:6
	ds_read2st64_b32 v[6:7], v30 offset0:8 offset1:10
	;; [unrolled: 1-line block ×4, first 2 shown]
	v_mov_b32_e32 v23, s3
	v_add_co_u32_e32 v22, vcc, s2, v30
	v_addc_co_u32_e32 v23, vcc, 0, v23, vcc
	s_waitcnt lgkmcnt(4)
	flat_store_dword v[22:23], v2
	flat_store_dword v[22:23], v3 offset:512
	s_waitcnt lgkmcnt(0)
	flat_store_dword v[22:23], v4 offset:1024
	flat_store_dword v[22:23], v5 offset:1536
	;; [unrolled: 1-line block ×6, first 2 shown]
	v_add_co_u32_e32 v2, vcc, 0x1000, v22
	v_addc_co_u32_e32 v3, vcc, 0, v23, vcc
	flat_store_dword v[2:3], v10
	flat_store_dword v[2:3], v11 offset:512
	s_mov_b64 s[0:1], 0
.LBB590_73:
	s_andn2_b64 vcc, exec, s[0:1]
	s_cbranch_vccnz .LBB590_129
; %bb.74:
	ds_write2_b64 v1, v[12:13], v[14:15] offset1:1
	ds_write2_b64 v1, v[16:17], v[18:19] offset0:2 offset1:3
	ds_write_b64 v1, v[20:21] offset:32
	s_waitcnt lgkmcnt(0)
	s_barrier
	ds_read2st64_b32 v[2:3], v30 offset1:2
	ds_read2st64_b32 v[6:7], v30 offset0:4 offset1:6
	ds_read2st64_b32 v[4:5], v30 offset0:8 offset1:10
	;; [unrolled: 1-line block ×4, first 2 shown]
	v_mov_b32_e32 v13, s3
	v_add_co_u32_e32 v12, vcc, s2, v30
	v_addc_co_u32_e32 v13, vcc, 0, v13, vcc
	v_mov_b32_e32 v1, 0
	v_cmp_gt_u32_e32 vcc, s26, v0
	s_and_saveexec_b64 s[0:1], vcc
	s_cbranch_execz .LBB590_76
; %bb.75:
	s_waitcnt lgkmcnt(0)
	flat_store_dword v[12:13], v2
.LBB590_76:
	s_or_b64 exec, exec, s[0:1]
	v_or_b32_e32 v14, 0x80, v0
	v_cmp_gt_u32_e32 vcc, s26, v14
	s_and_saveexec_b64 s[0:1], vcc
	s_cbranch_execz .LBB590_78
; %bb.77:
	s_waitcnt lgkmcnt(0)
	flat_store_dword v[12:13], v3 offset:512
.LBB590_78:
	s_or_b64 exec, exec, s[0:1]
	v_or_b32_e32 v14, 0x100, v0
	v_cmp_gt_u32_e32 vcc, s26, v14
	s_and_saveexec_b64 s[0:1], vcc
	s_cbranch_execz .LBB590_80
; %bb.79:
	s_waitcnt lgkmcnt(0)
	flat_store_dword v[12:13], v6 offset:1024
.LBB590_80:
	;; [unrolled: 9-line block ×7, first 2 shown]
	s_or_b64 exec, exec, s[0:1]
	v_or_b32_e32 v14, 0x400, v0
	v_cmp_gt_u32_e32 vcc, s26, v14
	s_and_saveexec_b64 s[0:1], vcc
	s_cbranch_execz .LBB590_92
; %bb.91:
	v_add_co_u32_e32 v14, vcc, 0x1000, v12
	v_addc_co_u32_e32 v15, vcc, 0, v13, vcc
	s_waitcnt lgkmcnt(0)
	flat_store_dword v[14:15], v10
.LBB590_92:
	s_or_b64 exec, exec, s[0:1]
	v_or_b32_e32 v14, 0x480, v0
	v_cmp_gt_u32_e32 vcc, s26, v14
	s_and_saveexec_b64 s[0:1], vcc
	s_cbranch_execz .LBB590_94
; %bb.93:
	v_add_co_u32_e32 v12, vcc, 0x1000, v12
	v_addc_co_u32_e32 v13, vcc, 0, v13, vcc
	s_waitcnt lgkmcnt(0)
	flat_store_dword v[12:13], v11 offset:512
.LBB590_94:
	s_or_b64 exec, exec, s[0:1]
	v_cmp_lt_u64_e64 s[0:1], s[22:23], 2
	s_and_b64 vcc, exec, s[0:1]
	s_cbranch_vccnz .LBB590_129
; %bb.95:
	s_add_u32 s0, s26, -1
	s_addc_u32 s1, s27, -1
	s_add_u32 s2, 0, 0x99986000
	s_addc_u32 s3, 0, 0x59
	s_add_i32 s3, s3, 0x19999940
	s_mul_hi_u32 s7, s2, -10
	s_sub_i32 s7, s7, s2
	s_mul_i32 s8, s3, -10
	s_mul_i32 s4, s2, -10
	s_add_i32 s7, s7, s8
	s_mul_hi_u32 s5, s3, s4
	s_mul_i32 s6, s3, s4
	s_mul_i32 s9, s2, s7
	s_mul_hi_u32 s4, s2, s4
	s_mul_hi_u32 s8, s2, s7
	s_add_u32 s4, s4, s9
	s_addc_u32 s8, 0, s8
	s_add_u32 s4, s4, s6
	s_mul_hi_u32 s9, s3, s7
	s_addc_u32 s4, s8, s5
	s_addc_u32 s5, s9, 0
	s_mul_i32 s6, s3, s7
	s_add_u32 s4, s4, s6
	v_mov_b32_e32 v12, s4
	s_addc_u32 s5, 0, s5
	v_add_co_u32_e32 v12, vcc, s2, v12
	s_cmp_lg_u64 vcc, 0
	s_addc_u32 s2, s3, s5
	v_readfirstlane_b32 s5, v12
	s_mul_i32 s4, s0, s2
	s_mul_hi_u32 s6, s0, s5
	s_mul_hi_u32 s3, s0, s2
	s_add_u32 s4, s6, s4
	s_addc_u32 s3, 0, s3
	s_mul_hi_u32 s7, s1, s5
	s_mul_i32 s5, s1, s5
	s_add_u32 s4, s4, s5
	s_mul_hi_u32 s6, s1, s2
	s_addc_u32 s3, s3, s7
	s_addc_u32 s4, s6, 0
	s_mul_i32 s2, s1, s2
	s_add_u32 s2, s3, s2
	s_addc_u32 s3, 0, s4
	s_add_u32 s4, s2, 1
	s_addc_u32 s5, s3, 0
	s_add_u32 s6, s2, 2
	s_mul_i32 s8, s3, 10
	s_mul_hi_u32 s9, s2, 10
	s_addc_u32 s7, s3, 0
	s_add_i32 s9, s9, s8
	s_mul_i32 s8, s2, 10
	v_mov_b32_e32 v12, s8
	v_sub_co_u32_e32 v12, vcc, s0, v12
	s_cmp_lg_u64 vcc, 0
	s_subb_u32 s8, s1, s9
	v_subrev_co_u32_e32 v13, vcc, 10, v12
	s_cmp_lg_u64 vcc, 0
	s_subb_u32 s9, s8, 0
	v_readfirstlane_b32 s10, v13
	s_cmp_gt_u32 s10, 9
	s_cselect_b32 s10, -1, 0
	s_cmp_eq_u32 s9, 0
	s_cselect_b32 s9, s10, -1
	s_cmp_lg_u32 s9, 0
	s_cselect_b32 s4, s6, s4
	v_readfirstlane_b32 s6, v12
	s_cselect_b32 s5, s7, s5
	s_cmp_gt_u32 s6, 9
	s_cselect_b32 s6, -1, 0
	s_cmp_eq_u32 s8, 0
	s_cselect_b32 s6, s6, -1
	s_cmp_lg_u32 s6, 0
	s_cselect_b32 s3, s5, s3
	s_cselect_b32 s2, s4, s2
	v_cmp_eq_u64_e32 vcc, s[2:3], v[0:1]
	s_and_saveexec_b64 s[2:3], vcc
	s_cbranch_execz .LBB590_129
; %bb.96:
	v_mul_hi_u32_u24_e32 v1, 10, v0
	v_mov_b32_e32 v12, s1
	v_sub_co_u32_e32 v0, vcc, s0, v31
	v_subb_co_u32_e32 v1, vcc, v12, v1, vcc
	v_cmp_lt_i64_e32 vcc, 4, v[0:1]
	s_and_saveexec_b64 s[0:1], vcc
	s_xor_b64 s[0:1], exec, s[0:1]
	s_cbranch_execz .LBB590_114
; %bb.97:
	v_cmp_lt_i64_e32 vcc, 6, v[0:1]
	s_and_saveexec_b64 s[2:3], vcc
	s_xor_b64 s[2:3], exec, s[2:3]
	s_cbranch_execz .LBB590_107
; %bb.98:
	;; [unrolled: 5-line block ×4, first 2 shown]
	v_mov_b32_e32 v0, 0
	s_waitcnt lgkmcnt(0)
	global_store_dword v0, v11, s[18:19]
                                        ; implicit-def: $vgpr10_vgpr11
.LBB590_101:
	s_andn2_saveexec_b64 s[6:7], s[6:7]
	s_cbranch_execz .LBB590_103
; %bb.102:
	v_mov_b32_e32 v0, 0
	s_waitcnt lgkmcnt(0)
	global_store_dword v0, v10, s[18:19]
.LBB590_103:
	s_or_b64 exec, exec, s[6:7]
                                        ; implicit-def: $vgpr8_vgpr9
.LBB590_104:
	s_andn2_saveexec_b64 s[4:5], s[4:5]
	s_cbranch_execz .LBB590_106
; %bb.105:
	v_mov_b32_e32 v0, 0
	s_waitcnt lgkmcnt(0)
	global_store_dword v0, v9, s[18:19]
.LBB590_106:
	s_or_b64 exec, exec, s[4:5]
                                        ; implicit-def: $vgpr4_vgpr5
                                        ; implicit-def: $vgpr0_vgpr1
                                        ; implicit-def: $vgpr8_vgpr9
.LBB590_107:
	s_andn2_saveexec_b64 s[2:3], s[2:3]
	s_cbranch_execz .LBB590_113
; %bb.108:
	v_cmp_lt_i64_e32 vcc, 5, v[0:1]
	s_and_saveexec_b64 s[4:5], vcc
	s_xor_b64 s[4:5], exec, s[4:5]
	s_cbranch_execz .LBB590_110
; %bb.109:
	v_mov_b32_e32 v0, 0
	s_waitcnt lgkmcnt(0)
	global_store_dword v0, v8, s[18:19]
                                        ; implicit-def: $vgpr4_vgpr5
.LBB590_110:
	s_andn2_saveexec_b64 s[4:5], s[4:5]
	s_cbranch_execz .LBB590_112
; %bb.111:
	v_mov_b32_e32 v0, 0
	s_waitcnt lgkmcnt(0)
	global_store_dword v0, v5, s[18:19]
.LBB590_112:
	s_or_b64 exec, exec, s[4:5]
.LBB590_113:
	s_or_b64 exec, exec, s[2:3]
                                        ; implicit-def: $vgpr0_vgpr1
                                        ; implicit-def: $vgpr6_vgpr7
                                        ; implicit-def: $vgpr2_vgpr3
                                        ; implicit-def: $vgpr4_vgpr5
.LBB590_114:
	s_andn2_saveexec_b64 s[0:1], s[0:1]
	s_cbranch_execz .LBB590_129
; %bb.115:
	v_cmp_lt_i64_e32 vcc, 2, v[0:1]
	s_and_saveexec_b64 s[0:1], vcc
	s_xor_b64 s[0:1], exec, s[0:1]
	s_cbranch_execz .LBB590_121
; %bb.116:
	v_cmp_lt_i64_e32 vcc, 3, v[0:1]
	s_and_saveexec_b64 s[2:3], vcc
	s_xor_b64 s[2:3], exec, s[2:3]
	s_cbranch_execz .LBB590_118
; %bb.117:
	v_mov_b32_e32 v0, 0
	s_waitcnt lgkmcnt(0)
	global_store_dword v0, v4, s[18:19]
                                        ; implicit-def: $vgpr6_vgpr7
.LBB590_118:
	s_andn2_saveexec_b64 s[2:3], s[2:3]
	s_cbranch_execz .LBB590_120
; %bb.119:
	v_mov_b32_e32 v0, 0
	s_waitcnt lgkmcnt(0)
	global_store_dword v0, v7, s[18:19]
.LBB590_120:
	s_or_b64 exec, exec, s[2:3]
                                        ; implicit-def: $vgpr0_vgpr1
                                        ; implicit-def: $vgpr6_vgpr7
                                        ; implicit-def: $vgpr2_vgpr3
.LBB590_121:
	s_andn2_saveexec_b64 s[0:1], s[0:1]
	s_cbranch_execz .LBB590_129
; %bb.122:
	v_cmp_lt_i64_e32 vcc, 1, v[0:1]
	s_and_saveexec_b64 s[0:1], vcc
	s_xor_b64 s[0:1], exec, s[0:1]
	s_cbranch_execz .LBB590_124
; %bb.123:
	v_mov_b32_e32 v0, 0
	s_waitcnt lgkmcnt(0)
	global_store_dword v0, v6, s[18:19]
                                        ; implicit-def: $vgpr2_vgpr3
                                        ; implicit-def: $vgpr0_vgpr1
.LBB590_124:
	s_andn2_saveexec_b64 s[0:1], s[0:1]
	s_cbranch_execz .LBB590_129
; %bb.125:
	v_cmp_ne_u64_e32 vcc, 1, v[0:1]
	s_and_saveexec_b64 s[0:1], vcc
	s_xor_b64 s[0:1], exec, s[0:1]
	s_cbranch_execz .LBB590_127
; %bb.126:
	v_mov_b32_e32 v0, 0
	s_waitcnt lgkmcnt(0)
	global_store_dword v0, v2, s[18:19]
                                        ; implicit-def: $vgpr2_vgpr3
.LBB590_127:
	s_andn2_saveexec_b64 s[0:1], s[0:1]
	s_cbranch_execz .LBB590_129
; %bb.128:
	v_mov_b32_e32 v0, 0
	s_waitcnt lgkmcnt(0)
	global_store_dword v0, v3, s[18:19]
.LBB590_129:
	s_endpgm
	.section	.rodata,"a",@progbits
	.p2align	6, 0x0
	.amdhsa_kernel _ZN7rocprim17ROCPRIM_400000_NS6detail17trampoline_kernelINS0_14default_configENS1_20scan_config_selectorIiEEZZNS1_9scan_implILNS1_25lookback_scan_determinismE0ELb0ELb1ES3_N6thrust23THRUST_200600_302600_NS6detail15normal_iteratorINS9_10device_ptrIiEEEESE_iNS9_10multipliesIiEEiEEDaPvRmT3_T4_T5_mT6_P12ihipStream_tbENKUlT_T0_E_clISt17integral_constantIbLb0EESU_EEDaSP_SQ_EUlSP_E_NS1_11comp_targetILNS1_3genE4ELNS1_11target_archE910ELNS1_3gpuE8ELNS1_3repE0EEENS1_30default_config_static_selectorELNS0_4arch9wavefront6targetE1EEEvT1_
		.amdhsa_group_segment_fixed_size 5120
		.amdhsa_private_segment_fixed_size 0
		.amdhsa_kernarg_size 96
		.amdhsa_user_sgpr_count 6
		.amdhsa_user_sgpr_private_segment_buffer 1
		.amdhsa_user_sgpr_dispatch_ptr 0
		.amdhsa_user_sgpr_queue_ptr 0
		.amdhsa_user_sgpr_kernarg_segment_ptr 1
		.amdhsa_user_sgpr_dispatch_id 0
		.amdhsa_user_sgpr_flat_scratch_init 0
		.amdhsa_user_sgpr_kernarg_preload_length 0
		.amdhsa_user_sgpr_kernarg_preload_offset 0
		.amdhsa_user_sgpr_private_segment_size 0
		.amdhsa_uses_dynamic_stack 0
		.amdhsa_system_sgpr_private_segment_wavefront_offset 0
		.amdhsa_system_sgpr_workgroup_id_x 1
		.amdhsa_system_sgpr_workgroup_id_y 0
		.amdhsa_system_sgpr_workgroup_id_z 0
		.amdhsa_system_sgpr_workgroup_info 0
		.amdhsa_system_vgpr_workitem_id 0
		.amdhsa_next_free_vgpr 40
		.amdhsa_next_free_sgpr 30
		.amdhsa_accum_offset 40
		.amdhsa_reserve_vcc 1
		.amdhsa_reserve_flat_scratch 0
		.amdhsa_float_round_mode_32 0
		.amdhsa_float_round_mode_16_64 0
		.amdhsa_float_denorm_mode_32 3
		.amdhsa_float_denorm_mode_16_64 3
		.amdhsa_dx10_clamp 1
		.amdhsa_ieee_mode 1
		.amdhsa_fp16_overflow 0
		.amdhsa_tg_split 0
		.amdhsa_exception_fp_ieee_invalid_op 0
		.amdhsa_exception_fp_denorm_src 0
		.amdhsa_exception_fp_ieee_div_zero 0
		.amdhsa_exception_fp_ieee_overflow 0
		.amdhsa_exception_fp_ieee_underflow 0
		.amdhsa_exception_fp_ieee_inexact 0
		.amdhsa_exception_int_div_zero 0
	.end_amdhsa_kernel
	.section	.text._ZN7rocprim17ROCPRIM_400000_NS6detail17trampoline_kernelINS0_14default_configENS1_20scan_config_selectorIiEEZZNS1_9scan_implILNS1_25lookback_scan_determinismE0ELb0ELb1ES3_N6thrust23THRUST_200600_302600_NS6detail15normal_iteratorINS9_10device_ptrIiEEEESE_iNS9_10multipliesIiEEiEEDaPvRmT3_T4_T5_mT6_P12ihipStream_tbENKUlT_T0_E_clISt17integral_constantIbLb0EESU_EEDaSP_SQ_EUlSP_E_NS1_11comp_targetILNS1_3genE4ELNS1_11target_archE910ELNS1_3gpuE8ELNS1_3repE0EEENS1_30default_config_static_selectorELNS0_4arch9wavefront6targetE1EEEvT1_,"axG",@progbits,_ZN7rocprim17ROCPRIM_400000_NS6detail17trampoline_kernelINS0_14default_configENS1_20scan_config_selectorIiEEZZNS1_9scan_implILNS1_25lookback_scan_determinismE0ELb0ELb1ES3_N6thrust23THRUST_200600_302600_NS6detail15normal_iteratorINS9_10device_ptrIiEEEESE_iNS9_10multipliesIiEEiEEDaPvRmT3_T4_T5_mT6_P12ihipStream_tbENKUlT_T0_E_clISt17integral_constantIbLb0EESU_EEDaSP_SQ_EUlSP_E_NS1_11comp_targetILNS1_3genE4ELNS1_11target_archE910ELNS1_3gpuE8ELNS1_3repE0EEENS1_30default_config_static_selectorELNS0_4arch9wavefront6targetE1EEEvT1_,comdat
.Lfunc_end590:
	.size	_ZN7rocprim17ROCPRIM_400000_NS6detail17trampoline_kernelINS0_14default_configENS1_20scan_config_selectorIiEEZZNS1_9scan_implILNS1_25lookback_scan_determinismE0ELb0ELb1ES3_N6thrust23THRUST_200600_302600_NS6detail15normal_iteratorINS9_10device_ptrIiEEEESE_iNS9_10multipliesIiEEiEEDaPvRmT3_T4_T5_mT6_P12ihipStream_tbENKUlT_T0_E_clISt17integral_constantIbLb0EESU_EEDaSP_SQ_EUlSP_E_NS1_11comp_targetILNS1_3genE4ELNS1_11target_archE910ELNS1_3gpuE8ELNS1_3repE0EEENS1_30default_config_static_selectorELNS0_4arch9wavefront6targetE1EEEvT1_, .Lfunc_end590-_ZN7rocprim17ROCPRIM_400000_NS6detail17trampoline_kernelINS0_14default_configENS1_20scan_config_selectorIiEEZZNS1_9scan_implILNS1_25lookback_scan_determinismE0ELb0ELb1ES3_N6thrust23THRUST_200600_302600_NS6detail15normal_iteratorINS9_10device_ptrIiEEEESE_iNS9_10multipliesIiEEiEEDaPvRmT3_T4_T5_mT6_P12ihipStream_tbENKUlT_T0_E_clISt17integral_constantIbLb0EESU_EEDaSP_SQ_EUlSP_E_NS1_11comp_targetILNS1_3genE4ELNS1_11target_archE910ELNS1_3gpuE8ELNS1_3repE0EEENS1_30default_config_static_selectorELNS0_4arch9wavefront6targetE1EEEvT1_
                                        ; -- End function
	.section	.AMDGPU.csdata,"",@progbits
; Kernel info:
; codeLenInByte = 5408
; NumSgprs: 34
; NumVgprs: 40
; NumAgprs: 0
; TotalNumVgprs: 40
; ScratchSize: 0
; MemoryBound: 0
; FloatMode: 240
; IeeeMode: 1
; LDSByteSize: 5120 bytes/workgroup (compile time only)
; SGPRBlocks: 4
; VGPRBlocks: 4
; NumSGPRsForWavesPerEU: 34
; NumVGPRsForWavesPerEU: 40
; AccumOffset: 40
; Occupancy: 6
; WaveLimiterHint : 1
; COMPUTE_PGM_RSRC2:SCRATCH_EN: 0
; COMPUTE_PGM_RSRC2:USER_SGPR: 6
; COMPUTE_PGM_RSRC2:TRAP_HANDLER: 0
; COMPUTE_PGM_RSRC2:TGID_X_EN: 1
; COMPUTE_PGM_RSRC2:TGID_Y_EN: 0
; COMPUTE_PGM_RSRC2:TGID_Z_EN: 0
; COMPUTE_PGM_RSRC2:TIDIG_COMP_CNT: 0
; COMPUTE_PGM_RSRC3_GFX90A:ACCUM_OFFSET: 9
; COMPUTE_PGM_RSRC3_GFX90A:TG_SPLIT: 0
	.section	.text._ZN7rocprim17ROCPRIM_400000_NS6detail17trampoline_kernelINS0_14default_configENS1_20scan_config_selectorIiEEZZNS1_9scan_implILNS1_25lookback_scan_determinismE0ELb0ELb1ES3_N6thrust23THRUST_200600_302600_NS6detail15normal_iteratorINS9_10device_ptrIiEEEESE_iNS9_10multipliesIiEEiEEDaPvRmT3_T4_T5_mT6_P12ihipStream_tbENKUlT_T0_E_clISt17integral_constantIbLb0EESU_EEDaSP_SQ_EUlSP_E_NS1_11comp_targetILNS1_3genE3ELNS1_11target_archE908ELNS1_3gpuE7ELNS1_3repE0EEENS1_30default_config_static_selectorELNS0_4arch9wavefront6targetE1EEEvT1_,"axG",@progbits,_ZN7rocprim17ROCPRIM_400000_NS6detail17trampoline_kernelINS0_14default_configENS1_20scan_config_selectorIiEEZZNS1_9scan_implILNS1_25lookback_scan_determinismE0ELb0ELb1ES3_N6thrust23THRUST_200600_302600_NS6detail15normal_iteratorINS9_10device_ptrIiEEEESE_iNS9_10multipliesIiEEiEEDaPvRmT3_T4_T5_mT6_P12ihipStream_tbENKUlT_T0_E_clISt17integral_constantIbLb0EESU_EEDaSP_SQ_EUlSP_E_NS1_11comp_targetILNS1_3genE3ELNS1_11target_archE908ELNS1_3gpuE7ELNS1_3repE0EEENS1_30default_config_static_selectorELNS0_4arch9wavefront6targetE1EEEvT1_,comdat
	.protected	_ZN7rocprim17ROCPRIM_400000_NS6detail17trampoline_kernelINS0_14default_configENS1_20scan_config_selectorIiEEZZNS1_9scan_implILNS1_25lookback_scan_determinismE0ELb0ELb1ES3_N6thrust23THRUST_200600_302600_NS6detail15normal_iteratorINS9_10device_ptrIiEEEESE_iNS9_10multipliesIiEEiEEDaPvRmT3_T4_T5_mT6_P12ihipStream_tbENKUlT_T0_E_clISt17integral_constantIbLb0EESU_EEDaSP_SQ_EUlSP_E_NS1_11comp_targetILNS1_3genE3ELNS1_11target_archE908ELNS1_3gpuE7ELNS1_3repE0EEENS1_30default_config_static_selectorELNS0_4arch9wavefront6targetE1EEEvT1_ ; -- Begin function _ZN7rocprim17ROCPRIM_400000_NS6detail17trampoline_kernelINS0_14default_configENS1_20scan_config_selectorIiEEZZNS1_9scan_implILNS1_25lookback_scan_determinismE0ELb0ELb1ES3_N6thrust23THRUST_200600_302600_NS6detail15normal_iteratorINS9_10device_ptrIiEEEESE_iNS9_10multipliesIiEEiEEDaPvRmT3_T4_T5_mT6_P12ihipStream_tbENKUlT_T0_E_clISt17integral_constantIbLb0EESU_EEDaSP_SQ_EUlSP_E_NS1_11comp_targetILNS1_3genE3ELNS1_11target_archE908ELNS1_3gpuE7ELNS1_3repE0EEENS1_30default_config_static_selectorELNS0_4arch9wavefront6targetE1EEEvT1_
	.globl	_ZN7rocprim17ROCPRIM_400000_NS6detail17trampoline_kernelINS0_14default_configENS1_20scan_config_selectorIiEEZZNS1_9scan_implILNS1_25lookback_scan_determinismE0ELb0ELb1ES3_N6thrust23THRUST_200600_302600_NS6detail15normal_iteratorINS9_10device_ptrIiEEEESE_iNS9_10multipliesIiEEiEEDaPvRmT3_T4_T5_mT6_P12ihipStream_tbENKUlT_T0_E_clISt17integral_constantIbLb0EESU_EEDaSP_SQ_EUlSP_E_NS1_11comp_targetILNS1_3genE3ELNS1_11target_archE908ELNS1_3gpuE7ELNS1_3repE0EEENS1_30default_config_static_selectorELNS0_4arch9wavefront6targetE1EEEvT1_
	.p2align	8
	.type	_ZN7rocprim17ROCPRIM_400000_NS6detail17trampoline_kernelINS0_14default_configENS1_20scan_config_selectorIiEEZZNS1_9scan_implILNS1_25lookback_scan_determinismE0ELb0ELb1ES3_N6thrust23THRUST_200600_302600_NS6detail15normal_iteratorINS9_10device_ptrIiEEEESE_iNS9_10multipliesIiEEiEEDaPvRmT3_T4_T5_mT6_P12ihipStream_tbENKUlT_T0_E_clISt17integral_constantIbLb0EESU_EEDaSP_SQ_EUlSP_E_NS1_11comp_targetILNS1_3genE3ELNS1_11target_archE908ELNS1_3gpuE7ELNS1_3repE0EEENS1_30default_config_static_selectorELNS0_4arch9wavefront6targetE1EEEvT1_,@function
_ZN7rocprim17ROCPRIM_400000_NS6detail17trampoline_kernelINS0_14default_configENS1_20scan_config_selectorIiEEZZNS1_9scan_implILNS1_25lookback_scan_determinismE0ELb0ELb1ES3_N6thrust23THRUST_200600_302600_NS6detail15normal_iteratorINS9_10device_ptrIiEEEESE_iNS9_10multipliesIiEEiEEDaPvRmT3_T4_T5_mT6_P12ihipStream_tbENKUlT_T0_E_clISt17integral_constantIbLb0EESU_EEDaSP_SQ_EUlSP_E_NS1_11comp_targetILNS1_3genE3ELNS1_11target_archE908ELNS1_3gpuE7ELNS1_3repE0EEENS1_30default_config_static_selectorELNS0_4arch9wavefront6targetE1EEEvT1_: ; @_ZN7rocprim17ROCPRIM_400000_NS6detail17trampoline_kernelINS0_14default_configENS1_20scan_config_selectorIiEEZZNS1_9scan_implILNS1_25lookback_scan_determinismE0ELb0ELb1ES3_N6thrust23THRUST_200600_302600_NS6detail15normal_iteratorINS9_10device_ptrIiEEEESE_iNS9_10multipliesIiEEiEEDaPvRmT3_T4_T5_mT6_P12ihipStream_tbENKUlT_T0_E_clISt17integral_constantIbLb0EESU_EEDaSP_SQ_EUlSP_E_NS1_11comp_targetILNS1_3genE3ELNS1_11target_archE908ELNS1_3gpuE7ELNS1_3repE0EEENS1_30default_config_static_selectorELNS0_4arch9wavefront6targetE1EEEvT1_
; %bb.0:
	.section	.rodata,"a",@progbits
	.p2align	6, 0x0
	.amdhsa_kernel _ZN7rocprim17ROCPRIM_400000_NS6detail17trampoline_kernelINS0_14default_configENS1_20scan_config_selectorIiEEZZNS1_9scan_implILNS1_25lookback_scan_determinismE0ELb0ELb1ES3_N6thrust23THRUST_200600_302600_NS6detail15normal_iteratorINS9_10device_ptrIiEEEESE_iNS9_10multipliesIiEEiEEDaPvRmT3_T4_T5_mT6_P12ihipStream_tbENKUlT_T0_E_clISt17integral_constantIbLb0EESU_EEDaSP_SQ_EUlSP_E_NS1_11comp_targetILNS1_3genE3ELNS1_11target_archE908ELNS1_3gpuE7ELNS1_3repE0EEENS1_30default_config_static_selectorELNS0_4arch9wavefront6targetE1EEEvT1_
		.amdhsa_group_segment_fixed_size 0
		.amdhsa_private_segment_fixed_size 0
		.amdhsa_kernarg_size 96
		.amdhsa_user_sgpr_count 6
		.amdhsa_user_sgpr_private_segment_buffer 1
		.amdhsa_user_sgpr_dispatch_ptr 0
		.amdhsa_user_sgpr_queue_ptr 0
		.amdhsa_user_sgpr_kernarg_segment_ptr 1
		.amdhsa_user_sgpr_dispatch_id 0
		.amdhsa_user_sgpr_flat_scratch_init 0
		.amdhsa_user_sgpr_kernarg_preload_length 0
		.amdhsa_user_sgpr_kernarg_preload_offset 0
		.amdhsa_user_sgpr_private_segment_size 0
		.amdhsa_uses_dynamic_stack 0
		.amdhsa_system_sgpr_private_segment_wavefront_offset 0
		.amdhsa_system_sgpr_workgroup_id_x 1
		.amdhsa_system_sgpr_workgroup_id_y 0
		.amdhsa_system_sgpr_workgroup_id_z 0
		.amdhsa_system_sgpr_workgroup_info 0
		.amdhsa_system_vgpr_workitem_id 0
		.amdhsa_next_free_vgpr 1
		.amdhsa_next_free_sgpr 0
		.amdhsa_accum_offset 4
		.amdhsa_reserve_vcc 0
		.amdhsa_reserve_flat_scratch 0
		.amdhsa_float_round_mode_32 0
		.amdhsa_float_round_mode_16_64 0
		.amdhsa_float_denorm_mode_32 3
		.amdhsa_float_denorm_mode_16_64 3
		.amdhsa_dx10_clamp 1
		.amdhsa_ieee_mode 1
		.amdhsa_fp16_overflow 0
		.amdhsa_tg_split 0
		.amdhsa_exception_fp_ieee_invalid_op 0
		.amdhsa_exception_fp_denorm_src 0
		.amdhsa_exception_fp_ieee_div_zero 0
		.amdhsa_exception_fp_ieee_overflow 0
		.amdhsa_exception_fp_ieee_underflow 0
		.amdhsa_exception_fp_ieee_inexact 0
		.amdhsa_exception_int_div_zero 0
	.end_amdhsa_kernel
	.section	.text._ZN7rocprim17ROCPRIM_400000_NS6detail17trampoline_kernelINS0_14default_configENS1_20scan_config_selectorIiEEZZNS1_9scan_implILNS1_25lookback_scan_determinismE0ELb0ELb1ES3_N6thrust23THRUST_200600_302600_NS6detail15normal_iteratorINS9_10device_ptrIiEEEESE_iNS9_10multipliesIiEEiEEDaPvRmT3_T4_T5_mT6_P12ihipStream_tbENKUlT_T0_E_clISt17integral_constantIbLb0EESU_EEDaSP_SQ_EUlSP_E_NS1_11comp_targetILNS1_3genE3ELNS1_11target_archE908ELNS1_3gpuE7ELNS1_3repE0EEENS1_30default_config_static_selectorELNS0_4arch9wavefront6targetE1EEEvT1_,"axG",@progbits,_ZN7rocprim17ROCPRIM_400000_NS6detail17trampoline_kernelINS0_14default_configENS1_20scan_config_selectorIiEEZZNS1_9scan_implILNS1_25lookback_scan_determinismE0ELb0ELb1ES3_N6thrust23THRUST_200600_302600_NS6detail15normal_iteratorINS9_10device_ptrIiEEEESE_iNS9_10multipliesIiEEiEEDaPvRmT3_T4_T5_mT6_P12ihipStream_tbENKUlT_T0_E_clISt17integral_constantIbLb0EESU_EEDaSP_SQ_EUlSP_E_NS1_11comp_targetILNS1_3genE3ELNS1_11target_archE908ELNS1_3gpuE7ELNS1_3repE0EEENS1_30default_config_static_selectorELNS0_4arch9wavefront6targetE1EEEvT1_,comdat
.Lfunc_end591:
	.size	_ZN7rocprim17ROCPRIM_400000_NS6detail17trampoline_kernelINS0_14default_configENS1_20scan_config_selectorIiEEZZNS1_9scan_implILNS1_25lookback_scan_determinismE0ELb0ELb1ES3_N6thrust23THRUST_200600_302600_NS6detail15normal_iteratorINS9_10device_ptrIiEEEESE_iNS9_10multipliesIiEEiEEDaPvRmT3_T4_T5_mT6_P12ihipStream_tbENKUlT_T0_E_clISt17integral_constantIbLb0EESU_EEDaSP_SQ_EUlSP_E_NS1_11comp_targetILNS1_3genE3ELNS1_11target_archE908ELNS1_3gpuE7ELNS1_3repE0EEENS1_30default_config_static_selectorELNS0_4arch9wavefront6targetE1EEEvT1_, .Lfunc_end591-_ZN7rocprim17ROCPRIM_400000_NS6detail17trampoline_kernelINS0_14default_configENS1_20scan_config_selectorIiEEZZNS1_9scan_implILNS1_25lookback_scan_determinismE0ELb0ELb1ES3_N6thrust23THRUST_200600_302600_NS6detail15normal_iteratorINS9_10device_ptrIiEEEESE_iNS9_10multipliesIiEEiEEDaPvRmT3_T4_T5_mT6_P12ihipStream_tbENKUlT_T0_E_clISt17integral_constantIbLb0EESU_EEDaSP_SQ_EUlSP_E_NS1_11comp_targetILNS1_3genE3ELNS1_11target_archE908ELNS1_3gpuE7ELNS1_3repE0EEENS1_30default_config_static_selectorELNS0_4arch9wavefront6targetE1EEEvT1_
                                        ; -- End function
	.section	.AMDGPU.csdata,"",@progbits
; Kernel info:
; codeLenInByte = 0
; NumSgprs: 4
; NumVgprs: 0
; NumAgprs: 0
; TotalNumVgprs: 0
; ScratchSize: 0
; MemoryBound: 0
; FloatMode: 240
; IeeeMode: 1
; LDSByteSize: 0 bytes/workgroup (compile time only)
; SGPRBlocks: 0
; VGPRBlocks: 0
; NumSGPRsForWavesPerEU: 4
; NumVGPRsForWavesPerEU: 1
; AccumOffset: 4
; Occupancy: 8
; WaveLimiterHint : 0
; COMPUTE_PGM_RSRC2:SCRATCH_EN: 0
; COMPUTE_PGM_RSRC2:USER_SGPR: 6
; COMPUTE_PGM_RSRC2:TRAP_HANDLER: 0
; COMPUTE_PGM_RSRC2:TGID_X_EN: 1
; COMPUTE_PGM_RSRC2:TGID_Y_EN: 0
; COMPUTE_PGM_RSRC2:TGID_Z_EN: 0
; COMPUTE_PGM_RSRC2:TIDIG_COMP_CNT: 0
; COMPUTE_PGM_RSRC3_GFX90A:ACCUM_OFFSET: 0
; COMPUTE_PGM_RSRC3_GFX90A:TG_SPLIT: 0
	.section	.text._ZN7rocprim17ROCPRIM_400000_NS6detail17trampoline_kernelINS0_14default_configENS1_20scan_config_selectorIiEEZZNS1_9scan_implILNS1_25lookback_scan_determinismE0ELb0ELb1ES3_N6thrust23THRUST_200600_302600_NS6detail15normal_iteratorINS9_10device_ptrIiEEEESE_iNS9_10multipliesIiEEiEEDaPvRmT3_T4_T5_mT6_P12ihipStream_tbENKUlT_T0_E_clISt17integral_constantIbLb0EESU_EEDaSP_SQ_EUlSP_E_NS1_11comp_targetILNS1_3genE2ELNS1_11target_archE906ELNS1_3gpuE6ELNS1_3repE0EEENS1_30default_config_static_selectorELNS0_4arch9wavefront6targetE1EEEvT1_,"axG",@progbits,_ZN7rocprim17ROCPRIM_400000_NS6detail17trampoline_kernelINS0_14default_configENS1_20scan_config_selectorIiEEZZNS1_9scan_implILNS1_25lookback_scan_determinismE0ELb0ELb1ES3_N6thrust23THRUST_200600_302600_NS6detail15normal_iteratorINS9_10device_ptrIiEEEESE_iNS9_10multipliesIiEEiEEDaPvRmT3_T4_T5_mT6_P12ihipStream_tbENKUlT_T0_E_clISt17integral_constantIbLb0EESU_EEDaSP_SQ_EUlSP_E_NS1_11comp_targetILNS1_3genE2ELNS1_11target_archE906ELNS1_3gpuE6ELNS1_3repE0EEENS1_30default_config_static_selectorELNS0_4arch9wavefront6targetE1EEEvT1_,comdat
	.protected	_ZN7rocprim17ROCPRIM_400000_NS6detail17trampoline_kernelINS0_14default_configENS1_20scan_config_selectorIiEEZZNS1_9scan_implILNS1_25lookback_scan_determinismE0ELb0ELb1ES3_N6thrust23THRUST_200600_302600_NS6detail15normal_iteratorINS9_10device_ptrIiEEEESE_iNS9_10multipliesIiEEiEEDaPvRmT3_T4_T5_mT6_P12ihipStream_tbENKUlT_T0_E_clISt17integral_constantIbLb0EESU_EEDaSP_SQ_EUlSP_E_NS1_11comp_targetILNS1_3genE2ELNS1_11target_archE906ELNS1_3gpuE6ELNS1_3repE0EEENS1_30default_config_static_selectorELNS0_4arch9wavefront6targetE1EEEvT1_ ; -- Begin function _ZN7rocprim17ROCPRIM_400000_NS6detail17trampoline_kernelINS0_14default_configENS1_20scan_config_selectorIiEEZZNS1_9scan_implILNS1_25lookback_scan_determinismE0ELb0ELb1ES3_N6thrust23THRUST_200600_302600_NS6detail15normal_iteratorINS9_10device_ptrIiEEEESE_iNS9_10multipliesIiEEiEEDaPvRmT3_T4_T5_mT6_P12ihipStream_tbENKUlT_T0_E_clISt17integral_constantIbLb0EESU_EEDaSP_SQ_EUlSP_E_NS1_11comp_targetILNS1_3genE2ELNS1_11target_archE906ELNS1_3gpuE6ELNS1_3repE0EEENS1_30default_config_static_selectorELNS0_4arch9wavefront6targetE1EEEvT1_
	.globl	_ZN7rocprim17ROCPRIM_400000_NS6detail17trampoline_kernelINS0_14default_configENS1_20scan_config_selectorIiEEZZNS1_9scan_implILNS1_25lookback_scan_determinismE0ELb0ELb1ES3_N6thrust23THRUST_200600_302600_NS6detail15normal_iteratorINS9_10device_ptrIiEEEESE_iNS9_10multipliesIiEEiEEDaPvRmT3_T4_T5_mT6_P12ihipStream_tbENKUlT_T0_E_clISt17integral_constantIbLb0EESU_EEDaSP_SQ_EUlSP_E_NS1_11comp_targetILNS1_3genE2ELNS1_11target_archE906ELNS1_3gpuE6ELNS1_3repE0EEENS1_30default_config_static_selectorELNS0_4arch9wavefront6targetE1EEEvT1_
	.p2align	8
	.type	_ZN7rocprim17ROCPRIM_400000_NS6detail17trampoline_kernelINS0_14default_configENS1_20scan_config_selectorIiEEZZNS1_9scan_implILNS1_25lookback_scan_determinismE0ELb0ELb1ES3_N6thrust23THRUST_200600_302600_NS6detail15normal_iteratorINS9_10device_ptrIiEEEESE_iNS9_10multipliesIiEEiEEDaPvRmT3_T4_T5_mT6_P12ihipStream_tbENKUlT_T0_E_clISt17integral_constantIbLb0EESU_EEDaSP_SQ_EUlSP_E_NS1_11comp_targetILNS1_3genE2ELNS1_11target_archE906ELNS1_3gpuE6ELNS1_3repE0EEENS1_30default_config_static_selectorELNS0_4arch9wavefront6targetE1EEEvT1_,@function
_ZN7rocprim17ROCPRIM_400000_NS6detail17trampoline_kernelINS0_14default_configENS1_20scan_config_selectorIiEEZZNS1_9scan_implILNS1_25lookback_scan_determinismE0ELb0ELb1ES3_N6thrust23THRUST_200600_302600_NS6detail15normal_iteratorINS9_10device_ptrIiEEEESE_iNS9_10multipliesIiEEiEEDaPvRmT3_T4_T5_mT6_P12ihipStream_tbENKUlT_T0_E_clISt17integral_constantIbLb0EESU_EEDaSP_SQ_EUlSP_E_NS1_11comp_targetILNS1_3genE2ELNS1_11target_archE906ELNS1_3gpuE6ELNS1_3repE0EEENS1_30default_config_static_selectorELNS0_4arch9wavefront6targetE1EEEvT1_: ; @_ZN7rocprim17ROCPRIM_400000_NS6detail17trampoline_kernelINS0_14default_configENS1_20scan_config_selectorIiEEZZNS1_9scan_implILNS1_25lookback_scan_determinismE0ELb0ELb1ES3_N6thrust23THRUST_200600_302600_NS6detail15normal_iteratorINS9_10device_ptrIiEEEESE_iNS9_10multipliesIiEEiEEDaPvRmT3_T4_T5_mT6_P12ihipStream_tbENKUlT_T0_E_clISt17integral_constantIbLb0EESU_EEDaSP_SQ_EUlSP_E_NS1_11comp_targetILNS1_3genE2ELNS1_11target_archE906ELNS1_3gpuE6ELNS1_3repE0EEENS1_30default_config_static_selectorELNS0_4arch9wavefront6targetE1EEEvT1_
; %bb.0:
	.section	.rodata,"a",@progbits
	.p2align	6, 0x0
	.amdhsa_kernel _ZN7rocprim17ROCPRIM_400000_NS6detail17trampoline_kernelINS0_14default_configENS1_20scan_config_selectorIiEEZZNS1_9scan_implILNS1_25lookback_scan_determinismE0ELb0ELb1ES3_N6thrust23THRUST_200600_302600_NS6detail15normal_iteratorINS9_10device_ptrIiEEEESE_iNS9_10multipliesIiEEiEEDaPvRmT3_T4_T5_mT6_P12ihipStream_tbENKUlT_T0_E_clISt17integral_constantIbLb0EESU_EEDaSP_SQ_EUlSP_E_NS1_11comp_targetILNS1_3genE2ELNS1_11target_archE906ELNS1_3gpuE6ELNS1_3repE0EEENS1_30default_config_static_selectorELNS0_4arch9wavefront6targetE1EEEvT1_
		.amdhsa_group_segment_fixed_size 0
		.amdhsa_private_segment_fixed_size 0
		.amdhsa_kernarg_size 96
		.amdhsa_user_sgpr_count 6
		.amdhsa_user_sgpr_private_segment_buffer 1
		.amdhsa_user_sgpr_dispatch_ptr 0
		.amdhsa_user_sgpr_queue_ptr 0
		.amdhsa_user_sgpr_kernarg_segment_ptr 1
		.amdhsa_user_sgpr_dispatch_id 0
		.amdhsa_user_sgpr_flat_scratch_init 0
		.amdhsa_user_sgpr_kernarg_preload_length 0
		.amdhsa_user_sgpr_kernarg_preload_offset 0
		.amdhsa_user_sgpr_private_segment_size 0
		.amdhsa_uses_dynamic_stack 0
		.amdhsa_system_sgpr_private_segment_wavefront_offset 0
		.amdhsa_system_sgpr_workgroup_id_x 1
		.amdhsa_system_sgpr_workgroup_id_y 0
		.amdhsa_system_sgpr_workgroup_id_z 0
		.amdhsa_system_sgpr_workgroup_info 0
		.amdhsa_system_vgpr_workitem_id 0
		.amdhsa_next_free_vgpr 1
		.amdhsa_next_free_sgpr 0
		.amdhsa_accum_offset 4
		.amdhsa_reserve_vcc 0
		.amdhsa_reserve_flat_scratch 0
		.amdhsa_float_round_mode_32 0
		.amdhsa_float_round_mode_16_64 0
		.amdhsa_float_denorm_mode_32 3
		.amdhsa_float_denorm_mode_16_64 3
		.amdhsa_dx10_clamp 1
		.amdhsa_ieee_mode 1
		.amdhsa_fp16_overflow 0
		.amdhsa_tg_split 0
		.amdhsa_exception_fp_ieee_invalid_op 0
		.amdhsa_exception_fp_denorm_src 0
		.amdhsa_exception_fp_ieee_div_zero 0
		.amdhsa_exception_fp_ieee_overflow 0
		.amdhsa_exception_fp_ieee_underflow 0
		.amdhsa_exception_fp_ieee_inexact 0
		.amdhsa_exception_int_div_zero 0
	.end_amdhsa_kernel
	.section	.text._ZN7rocprim17ROCPRIM_400000_NS6detail17trampoline_kernelINS0_14default_configENS1_20scan_config_selectorIiEEZZNS1_9scan_implILNS1_25lookback_scan_determinismE0ELb0ELb1ES3_N6thrust23THRUST_200600_302600_NS6detail15normal_iteratorINS9_10device_ptrIiEEEESE_iNS9_10multipliesIiEEiEEDaPvRmT3_T4_T5_mT6_P12ihipStream_tbENKUlT_T0_E_clISt17integral_constantIbLb0EESU_EEDaSP_SQ_EUlSP_E_NS1_11comp_targetILNS1_3genE2ELNS1_11target_archE906ELNS1_3gpuE6ELNS1_3repE0EEENS1_30default_config_static_selectorELNS0_4arch9wavefront6targetE1EEEvT1_,"axG",@progbits,_ZN7rocprim17ROCPRIM_400000_NS6detail17trampoline_kernelINS0_14default_configENS1_20scan_config_selectorIiEEZZNS1_9scan_implILNS1_25lookback_scan_determinismE0ELb0ELb1ES3_N6thrust23THRUST_200600_302600_NS6detail15normal_iteratorINS9_10device_ptrIiEEEESE_iNS9_10multipliesIiEEiEEDaPvRmT3_T4_T5_mT6_P12ihipStream_tbENKUlT_T0_E_clISt17integral_constantIbLb0EESU_EEDaSP_SQ_EUlSP_E_NS1_11comp_targetILNS1_3genE2ELNS1_11target_archE906ELNS1_3gpuE6ELNS1_3repE0EEENS1_30default_config_static_selectorELNS0_4arch9wavefront6targetE1EEEvT1_,comdat
.Lfunc_end592:
	.size	_ZN7rocprim17ROCPRIM_400000_NS6detail17trampoline_kernelINS0_14default_configENS1_20scan_config_selectorIiEEZZNS1_9scan_implILNS1_25lookback_scan_determinismE0ELb0ELb1ES3_N6thrust23THRUST_200600_302600_NS6detail15normal_iteratorINS9_10device_ptrIiEEEESE_iNS9_10multipliesIiEEiEEDaPvRmT3_T4_T5_mT6_P12ihipStream_tbENKUlT_T0_E_clISt17integral_constantIbLb0EESU_EEDaSP_SQ_EUlSP_E_NS1_11comp_targetILNS1_3genE2ELNS1_11target_archE906ELNS1_3gpuE6ELNS1_3repE0EEENS1_30default_config_static_selectorELNS0_4arch9wavefront6targetE1EEEvT1_, .Lfunc_end592-_ZN7rocprim17ROCPRIM_400000_NS6detail17trampoline_kernelINS0_14default_configENS1_20scan_config_selectorIiEEZZNS1_9scan_implILNS1_25lookback_scan_determinismE0ELb0ELb1ES3_N6thrust23THRUST_200600_302600_NS6detail15normal_iteratorINS9_10device_ptrIiEEEESE_iNS9_10multipliesIiEEiEEDaPvRmT3_T4_T5_mT6_P12ihipStream_tbENKUlT_T0_E_clISt17integral_constantIbLb0EESU_EEDaSP_SQ_EUlSP_E_NS1_11comp_targetILNS1_3genE2ELNS1_11target_archE906ELNS1_3gpuE6ELNS1_3repE0EEENS1_30default_config_static_selectorELNS0_4arch9wavefront6targetE1EEEvT1_
                                        ; -- End function
	.section	.AMDGPU.csdata,"",@progbits
; Kernel info:
; codeLenInByte = 0
; NumSgprs: 4
; NumVgprs: 0
; NumAgprs: 0
; TotalNumVgprs: 0
; ScratchSize: 0
; MemoryBound: 0
; FloatMode: 240
; IeeeMode: 1
; LDSByteSize: 0 bytes/workgroup (compile time only)
; SGPRBlocks: 0
; VGPRBlocks: 0
; NumSGPRsForWavesPerEU: 4
; NumVGPRsForWavesPerEU: 1
; AccumOffset: 4
; Occupancy: 8
; WaveLimiterHint : 0
; COMPUTE_PGM_RSRC2:SCRATCH_EN: 0
; COMPUTE_PGM_RSRC2:USER_SGPR: 6
; COMPUTE_PGM_RSRC2:TRAP_HANDLER: 0
; COMPUTE_PGM_RSRC2:TGID_X_EN: 1
; COMPUTE_PGM_RSRC2:TGID_Y_EN: 0
; COMPUTE_PGM_RSRC2:TGID_Z_EN: 0
; COMPUTE_PGM_RSRC2:TIDIG_COMP_CNT: 0
; COMPUTE_PGM_RSRC3_GFX90A:ACCUM_OFFSET: 0
; COMPUTE_PGM_RSRC3_GFX90A:TG_SPLIT: 0
	.section	.text._ZN7rocprim17ROCPRIM_400000_NS6detail17trampoline_kernelINS0_14default_configENS1_20scan_config_selectorIiEEZZNS1_9scan_implILNS1_25lookback_scan_determinismE0ELb0ELb1ES3_N6thrust23THRUST_200600_302600_NS6detail15normal_iteratorINS9_10device_ptrIiEEEESE_iNS9_10multipliesIiEEiEEDaPvRmT3_T4_T5_mT6_P12ihipStream_tbENKUlT_T0_E_clISt17integral_constantIbLb0EESU_EEDaSP_SQ_EUlSP_E_NS1_11comp_targetILNS1_3genE10ELNS1_11target_archE1201ELNS1_3gpuE5ELNS1_3repE0EEENS1_30default_config_static_selectorELNS0_4arch9wavefront6targetE1EEEvT1_,"axG",@progbits,_ZN7rocprim17ROCPRIM_400000_NS6detail17trampoline_kernelINS0_14default_configENS1_20scan_config_selectorIiEEZZNS1_9scan_implILNS1_25lookback_scan_determinismE0ELb0ELb1ES3_N6thrust23THRUST_200600_302600_NS6detail15normal_iteratorINS9_10device_ptrIiEEEESE_iNS9_10multipliesIiEEiEEDaPvRmT3_T4_T5_mT6_P12ihipStream_tbENKUlT_T0_E_clISt17integral_constantIbLb0EESU_EEDaSP_SQ_EUlSP_E_NS1_11comp_targetILNS1_3genE10ELNS1_11target_archE1201ELNS1_3gpuE5ELNS1_3repE0EEENS1_30default_config_static_selectorELNS0_4arch9wavefront6targetE1EEEvT1_,comdat
	.protected	_ZN7rocprim17ROCPRIM_400000_NS6detail17trampoline_kernelINS0_14default_configENS1_20scan_config_selectorIiEEZZNS1_9scan_implILNS1_25lookback_scan_determinismE0ELb0ELb1ES3_N6thrust23THRUST_200600_302600_NS6detail15normal_iteratorINS9_10device_ptrIiEEEESE_iNS9_10multipliesIiEEiEEDaPvRmT3_T4_T5_mT6_P12ihipStream_tbENKUlT_T0_E_clISt17integral_constantIbLb0EESU_EEDaSP_SQ_EUlSP_E_NS1_11comp_targetILNS1_3genE10ELNS1_11target_archE1201ELNS1_3gpuE5ELNS1_3repE0EEENS1_30default_config_static_selectorELNS0_4arch9wavefront6targetE1EEEvT1_ ; -- Begin function _ZN7rocprim17ROCPRIM_400000_NS6detail17trampoline_kernelINS0_14default_configENS1_20scan_config_selectorIiEEZZNS1_9scan_implILNS1_25lookback_scan_determinismE0ELb0ELb1ES3_N6thrust23THRUST_200600_302600_NS6detail15normal_iteratorINS9_10device_ptrIiEEEESE_iNS9_10multipliesIiEEiEEDaPvRmT3_T4_T5_mT6_P12ihipStream_tbENKUlT_T0_E_clISt17integral_constantIbLb0EESU_EEDaSP_SQ_EUlSP_E_NS1_11comp_targetILNS1_3genE10ELNS1_11target_archE1201ELNS1_3gpuE5ELNS1_3repE0EEENS1_30default_config_static_selectorELNS0_4arch9wavefront6targetE1EEEvT1_
	.globl	_ZN7rocprim17ROCPRIM_400000_NS6detail17trampoline_kernelINS0_14default_configENS1_20scan_config_selectorIiEEZZNS1_9scan_implILNS1_25lookback_scan_determinismE0ELb0ELb1ES3_N6thrust23THRUST_200600_302600_NS6detail15normal_iteratorINS9_10device_ptrIiEEEESE_iNS9_10multipliesIiEEiEEDaPvRmT3_T4_T5_mT6_P12ihipStream_tbENKUlT_T0_E_clISt17integral_constantIbLb0EESU_EEDaSP_SQ_EUlSP_E_NS1_11comp_targetILNS1_3genE10ELNS1_11target_archE1201ELNS1_3gpuE5ELNS1_3repE0EEENS1_30default_config_static_selectorELNS0_4arch9wavefront6targetE1EEEvT1_
	.p2align	8
	.type	_ZN7rocprim17ROCPRIM_400000_NS6detail17trampoline_kernelINS0_14default_configENS1_20scan_config_selectorIiEEZZNS1_9scan_implILNS1_25lookback_scan_determinismE0ELb0ELb1ES3_N6thrust23THRUST_200600_302600_NS6detail15normal_iteratorINS9_10device_ptrIiEEEESE_iNS9_10multipliesIiEEiEEDaPvRmT3_T4_T5_mT6_P12ihipStream_tbENKUlT_T0_E_clISt17integral_constantIbLb0EESU_EEDaSP_SQ_EUlSP_E_NS1_11comp_targetILNS1_3genE10ELNS1_11target_archE1201ELNS1_3gpuE5ELNS1_3repE0EEENS1_30default_config_static_selectorELNS0_4arch9wavefront6targetE1EEEvT1_,@function
_ZN7rocprim17ROCPRIM_400000_NS6detail17trampoline_kernelINS0_14default_configENS1_20scan_config_selectorIiEEZZNS1_9scan_implILNS1_25lookback_scan_determinismE0ELb0ELb1ES3_N6thrust23THRUST_200600_302600_NS6detail15normal_iteratorINS9_10device_ptrIiEEEESE_iNS9_10multipliesIiEEiEEDaPvRmT3_T4_T5_mT6_P12ihipStream_tbENKUlT_T0_E_clISt17integral_constantIbLb0EESU_EEDaSP_SQ_EUlSP_E_NS1_11comp_targetILNS1_3genE10ELNS1_11target_archE1201ELNS1_3gpuE5ELNS1_3repE0EEENS1_30default_config_static_selectorELNS0_4arch9wavefront6targetE1EEEvT1_: ; @_ZN7rocprim17ROCPRIM_400000_NS6detail17trampoline_kernelINS0_14default_configENS1_20scan_config_selectorIiEEZZNS1_9scan_implILNS1_25lookback_scan_determinismE0ELb0ELb1ES3_N6thrust23THRUST_200600_302600_NS6detail15normal_iteratorINS9_10device_ptrIiEEEESE_iNS9_10multipliesIiEEiEEDaPvRmT3_T4_T5_mT6_P12ihipStream_tbENKUlT_T0_E_clISt17integral_constantIbLb0EESU_EEDaSP_SQ_EUlSP_E_NS1_11comp_targetILNS1_3genE10ELNS1_11target_archE1201ELNS1_3gpuE5ELNS1_3repE0EEENS1_30default_config_static_selectorELNS0_4arch9wavefront6targetE1EEEvT1_
; %bb.0:
	.section	.rodata,"a",@progbits
	.p2align	6, 0x0
	.amdhsa_kernel _ZN7rocprim17ROCPRIM_400000_NS6detail17trampoline_kernelINS0_14default_configENS1_20scan_config_selectorIiEEZZNS1_9scan_implILNS1_25lookback_scan_determinismE0ELb0ELb1ES3_N6thrust23THRUST_200600_302600_NS6detail15normal_iteratorINS9_10device_ptrIiEEEESE_iNS9_10multipliesIiEEiEEDaPvRmT3_T4_T5_mT6_P12ihipStream_tbENKUlT_T0_E_clISt17integral_constantIbLb0EESU_EEDaSP_SQ_EUlSP_E_NS1_11comp_targetILNS1_3genE10ELNS1_11target_archE1201ELNS1_3gpuE5ELNS1_3repE0EEENS1_30default_config_static_selectorELNS0_4arch9wavefront6targetE1EEEvT1_
		.amdhsa_group_segment_fixed_size 0
		.amdhsa_private_segment_fixed_size 0
		.amdhsa_kernarg_size 96
		.amdhsa_user_sgpr_count 6
		.amdhsa_user_sgpr_private_segment_buffer 1
		.amdhsa_user_sgpr_dispatch_ptr 0
		.amdhsa_user_sgpr_queue_ptr 0
		.amdhsa_user_sgpr_kernarg_segment_ptr 1
		.amdhsa_user_sgpr_dispatch_id 0
		.amdhsa_user_sgpr_flat_scratch_init 0
		.amdhsa_user_sgpr_kernarg_preload_length 0
		.amdhsa_user_sgpr_kernarg_preload_offset 0
		.amdhsa_user_sgpr_private_segment_size 0
		.amdhsa_uses_dynamic_stack 0
		.amdhsa_system_sgpr_private_segment_wavefront_offset 0
		.amdhsa_system_sgpr_workgroup_id_x 1
		.amdhsa_system_sgpr_workgroup_id_y 0
		.amdhsa_system_sgpr_workgroup_id_z 0
		.amdhsa_system_sgpr_workgroup_info 0
		.amdhsa_system_vgpr_workitem_id 0
		.amdhsa_next_free_vgpr 1
		.amdhsa_next_free_sgpr 0
		.amdhsa_accum_offset 4
		.amdhsa_reserve_vcc 0
		.amdhsa_reserve_flat_scratch 0
		.amdhsa_float_round_mode_32 0
		.amdhsa_float_round_mode_16_64 0
		.amdhsa_float_denorm_mode_32 3
		.amdhsa_float_denorm_mode_16_64 3
		.amdhsa_dx10_clamp 1
		.amdhsa_ieee_mode 1
		.amdhsa_fp16_overflow 0
		.amdhsa_tg_split 0
		.amdhsa_exception_fp_ieee_invalid_op 0
		.amdhsa_exception_fp_denorm_src 0
		.amdhsa_exception_fp_ieee_div_zero 0
		.amdhsa_exception_fp_ieee_overflow 0
		.amdhsa_exception_fp_ieee_underflow 0
		.amdhsa_exception_fp_ieee_inexact 0
		.amdhsa_exception_int_div_zero 0
	.end_amdhsa_kernel
	.section	.text._ZN7rocprim17ROCPRIM_400000_NS6detail17trampoline_kernelINS0_14default_configENS1_20scan_config_selectorIiEEZZNS1_9scan_implILNS1_25lookback_scan_determinismE0ELb0ELb1ES3_N6thrust23THRUST_200600_302600_NS6detail15normal_iteratorINS9_10device_ptrIiEEEESE_iNS9_10multipliesIiEEiEEDaPvRmT3_T4_T5_mT6_P12ihipStream_tbENKUlT_T0_E_clISt17integral_constantIbLb0EESU_EEDaSP_SQ_EUlSP_E_NS1_11comp_targetILNS1_3genE10ELNS1_11target_archE1201ELNS1_3gpuE5ELNS1_3repE0EEENS1_30default_config_static_selectorELNS0_4arch9wavefront6targetE1EEEvT1_,"axG",@progbits,_ZN7rocprim17ROCPRIM_400000_NS6detail17trampoline_kernelINS0_14default_configENS1_20scan_config_selectorIiEEZZNS1_9scan_implILNS1_25lookback_scan_determinismE0ELb0ELb1ES3_N6thrust23THRUST_200600_302600_NS6detail15normal_iteratorINS9_10device_ptrIiEEEESE_iNS9_10multipliesIiEEiEEDaPvRmT3_T4_T5_mT6_P12ihipStream_tbENKUlT_T0_E_clISt17integral_constantIbLb0EESU_EEDaSP_SQ_EUlSP_E_NS1_11comp_targetILNS1_3genE10ELNS1_11target_archE1201ELNS1_3gpuE5ELNS1_3repE0EEENS1_30default_config_static_selectorELNS0_4arch9wavefront6targetE1EEEvT1_,comdat
.Lfunc_end593:
	.size	_ZN7rocprim17ROCPRIM_400000_NS6detail17trampoline_kernelINS0_14default_configENS1_20scan_config_selectorIiEEZZNS1_9scan_implILNS1_25lookback_scan_determinismE0ELb0ELb1ES3_N6thrust23THRUST_200600_302600_NS6detail15normal_iteratorINS9_10device_ptrIiEEEESE_iNS9_10multipliesIiEEiEEDaPvRmT3_T4_T5_mT6_P12ihipStream_tbENKUlT_T0_E_clISt17integral_constantIbLb0EESU_EEDaSP_SQ_EUlSP_E_NS1_11comp_targetILNS1_3genE10ELNS1_11target_archE1201ELNS1_3gpuE5ELNS1_3repE0EEENS1_30default_config_static_selectorELNS0_4arch9wavefront6targetE1EEEvT1_, .Lfunc_end593-_ZN7rocprim17ROCPRIM_400000_NS6detail17trampoline_kernelINS0_14default_configENS1_20scan_config_selectorIiEEZZNS1_9scan_implILNS1_25lookback_scan_determinismE0ELb0ELb1ES3_N6thrust23THRUST_200600_302600_NS6detail15normal_iteratorINS9_10device_ptrIiEEEESE_iNS9_10multipliesIiEEiEEDaPvRmT3_T4_T5_mT6_P12ihipStream_tbENKUlT_T0_E_clISt17integral_constantIbLb0EESU_EEDaSP_SQ_EUlSP_E_NS1_11comp_targetILNS1_3genE10ELNS1_11target_archE1201ELNS1_3gpuE5ELNS1_3repE0EEENS1_30default_config_static_selectorELNS0_4arch9wavefront6targetE1EEEvT1_
                                        ; -- End function
	.section	.AMDGPU.csdata,"",@progbits
; Kernel info:
; codeLenInByte = 0
; NumSgprs: 4
; NumVgprs: 0
; NumAgprs: 0
; TotalNumVgprs: 0
; ScratchSize: 0
; MemoryBound: 0
; FloatMode: 240
; IeeeMode: 1
; LDSByteSize: 0 bytes/workgroup (compile time only)
; SGPRBlocks: 0
; VGPRBlocks: 0
; NumSGPRsForWavesPerEU: 4
; NumVGPRsForWavesPerEU: 1
; AccumOffset: 4
; Occupancy: 8
; WaveLimiterHint : 0
; COMPUTE_PGM_RSRC2:SCRATCH_EN: 0
; COMPUTE_PGM_RSRC2:USER_SGPR: 6
; COMPUTE_PGM_RSRC2:TRAP_HANDLER: 0
; COMPUTE_PGM_RSRC2:TGID_X_EN: 1
; COMPUTE_PGM_RSRC2:TGID_Y_EN: 0
; COMPUTE_PGM_RSRC2:TGID_Z_EN: 0
; COMPUTE_PGM_RSRC2:TIDIG_COMP_CNT: 0
; COMPUTE_PGM_RSRC3_GFX90A:ACCUM_OFFSET: 0
; COMPUTE_PGM_RSRC3_GFX90A:TG_SPLIT: 0
	.section	.text._ZN7rocprim17ROCPRIM_400000_NS6detail17trampoline_kernelINS0_14default_configENS1_20scan_config_selectorIiEEZZNS1_9scan_implILNS1_25lookback_scan_determinismE0ELb0ELb1ES3_N6thrust23THRUST_200600_302600_NS6detail15normal_iteratorINS9_10device_ptrIiEEEESE_iNS9_10multipliesIiEEiEEDaPvRmT3_T4_T5_mT6_P12ihipStream_tbENKUlT_T0_E_clISt17integral_constantIbLb0EESU_EEDaSP_SQ_EUlSP_E_NS1_11comp_targetILNS1_3genE10ELNS1_11target_archE1200ELNS1_3gpuE4ELNS1_3repE0EEENS1_30default_config_static_selectorELNS0_4arch9wavefront6targetE1EEEvT1_,"axG",@progbits,_ZN7rocprim17ROCPRIM_400000_NS6detail17trampoline_kernelINS0_14default_configENS1_20scan_config_selectorIiEEZZNS1_9scan_implILNS1_25lookback_scan_determinismE0ELb0ELb1ES3_N6thrust23THRUST_200600_302600_NS6detail15normal_iteratorINS9_10device_ptrIiEEEESE_iNS9_10multipliesIiEEiEEDaPvRmT3_T4_T5_mT6_P12ihipStream_tbENKUlT_T0_E_clISt17integral_constantIbLb0EESU_EEDaSP_SQ_EUlSP_E_NS1_11comp_targetILNS1_3genE10ELNS1_11target_archE1200ELNS1_3gpuE4ELNS1_3repE0EEENS1_30default_config_static_selectorELNS0_4arch9wavefront6targetE1EEEvT1_,comdat
	.protected	_ZN7rocprim17ROCPRIM_400000_NS6detail17trampoline_kernelINS0_14default_configENS1_20scan_config_selectorIiEEZZNS1_9scan_implILNS1_25lookback_scan_determinismE0ELb0ELb1ES3_N6thrust23THRUST_200600_302600_NS6detail15normal_iteratorINS9_10device_ptrIiEEEESE_iNS9_10multipliesIiEEiEEDaPvRmT3_T4_T5_mT6_P12ihipStream_tbENKUlT_T0_E_clISt17integral_constantIbLb0EESU_EEDaSP_SQ_EUlSP_E_NS1_11comp_targetILNS1_3genE10ELNS1_11target_archE1200ELNS1_3gpuE4ELNS1_3repE0EEENS1_30default_config_static_selectorELNS0_4arch9wavefront6targetE1EEEvT1_ ; -- Begin function _ZN7rocprim17ROCPRIM_400000_NS6detail17trampoline_kernelINS0_14default_configENS1_20scan_config_selectorIiEEZZNS1_9scan_implILNS1_25lookback_scan_determinismE0ELb0ELb1ES3_N6thrust23THRUST_200600_302600_NS6detail15normal_iteratorINS9_10device_ptrIiEEEESE_iNS9_10multipliesIiEEiEEDaPvRmT3_T4_T5_mT6_P12ihipStream_tbENKUlT_T0_E_clISt17integral_constantIbLb0EESU_EEDaSP_SQ_EUlSP_E_NS1_11comp_targetILNS1_3genE10ELNS1_11target_archE1200ELNS1_3gpuE4ELNS1_3repE0EEENS1_30default_config_static_selectorELNS0_4arch9wavefront6targetE1EEEvT1_
	.globl	_ZN7rocprim17ROCPRIM_400000_NS6detail17trampoline_kernelINS0_14default_configENS1_20scan_config_selectorIiEEZZNS1_9scan_implILNS1_25lookback_scan_determinismE0ELb0ELb1ES3_N6thrust23THRUST_200600_302600_NS6detail15normal_iteratorINS9_10device_ptrIiEEEESE_iNS9_10multipliesIiEEiEEDaPvRmT3_T4_T5_mT6_P12ihipStream_tbENKUlT_T0_E_clISt17integral_constantIbLb0EESU_EEDaSP_SQ_EUlSP_E_NS1_11comp_targetILNS1_3genE10ELNS1_11target_archE1200ELNS1_3gpuE4ELNS1_3repE0EEENS1_30default_config_static_selectorELNS0_4arch9wavefront6targetE1EEEvT1_
	.p2align	8
	.type	_ZN7rocprim17ROCPRIM_400000_NS6detail17trampoline_kernelINS0_14default_configENS1_20scan_config_selectorIiEEZZNS1_9scan_implILNS1_25lookback_scan_determinismE0ELb0ELb1ES3_N6thrust23THRUST_200600_302600_NS6detail15normal_iteratorINS9_10device_ptrIiEEEESE_iNS9_10multipliesIiEEiEEDaPvRmT3_T4_T5_mT6_P12ihipStream_tbENKUlT_T0_E_clISt17integral_constantIbLb0EESU_EEDaSP_SQ_EUlSP_E_NS1_11comp_targetILNS1_3genE10ELNS1_11target_archE1200ELNS1_3gpuE4ELNS1_3repE0EEENS1_30default_config_static_selectorELNS0_4arch9wavefront6targetE1EEEvT1_,@function
_ZN7rocprim17ROCPRIM_400000_NS6detail17trampoline_kernelINS0_14default_configENS1_20scan_config_selectorIiEEZZNS1_9scan_implILNS1_25lookback_scan_determinismE0ELb0ELb1ES3_N6thrust23THRUST_200600_302600_NS6detail15normal_iteratorINS9_10device_ptrIiEEEESE_iNS9_10multipliesIiEEiEEDaPvRmT3_T4_T5_mT6_P12ihipStream_tbENKUlT_T0_E_clISt17integral_constantIbLb0EESU_EEDaSP_SQ_EUlSP_E_NS1_11comp_targetILNS1_3genE10ELNS1_11target_archE1200ELNS1_3gpuE4ELNS1_3repE0EEENS1_30default_config_static_selectorELNS0_4arch9wavefront6targetE1EEEvT1_: ; @_ZN7rocprim17ROCPRIM_400000_NS6detail17trampoline_kernelINS0_14default_configENS1_20scan_config_selectorIiEEZZNS1_9scan_implILNS1_25lookback_scan_determinismE0ELb0ELb1ES3_N6thrust23THRUST_200600_302600_NS6detail15normal_iteratorINS9_10device_ptrIiEEEESE_iNS9_10multipliesIiEEiEEDaPvRmT3_T4_T5_mT6_P12ihipStream_tbENKUlT_T0_E_clISt17integral_constantIbLb0EESU_EEDaSP_SQ_EUlSP_E_NS1_11comp_targetILNS1_3genE10ELNS1_11target_archE1200ELNS1_3gpuE4ELNS1_3repE0EEENS1_30default_config_static_selectorELNS0_4arch9wavefront6targetE1EEEvT1_
; %bb.0:
	.section	.rodata,"a",@progbits
	.p2align	6, 0x0
	.amdhsa_kernel _ZN7rocprim17ROCPRIM_400000_NS6detail17trampoline_kernelINS0_14default_configENS1_20scan_config_selectorIiEEZZNS1_9scan_implILNS1_25lookback_scan_determinismE0ELb0ELb1ES3_N6thrust23THRUST_200600_302600_NS6detail15normal_iteratorINS9_10device_ptrIiEEEESE_iNS9_10multipliesIiEEiEEDaPvRmT3_T4_T5_mT6_P12ihipStream_tbENKUlT_T0_E_clISt17integral_constantIbLb0EESU_EEDaSP_SQ_EUlSP_E_NS1_11comp_targetILNS1_3genE10ELNS1_11target_archE1200ELNS1_3gpuE4ELNS1_3repE0EEENS1_30default_config_static_selectorELNS0_4arch9wavefront6targetE1EEEvT1_
		.amdhsa_group_segment_fixed_size 0
		.amdhsa_private_segment_fixed_size 0
		.amdhsa_kernarg_size 96
		.amdhsa_user_sgpr_count 6
		.amdhsa_user_sgpr_private_segment_buffer 1
		.amdhsa_user_sgpr_dispatch_ptr 0
		.amdhsa_user_sgpr_queue_ptr 0
		.amdhsa_user_sgpr_kernarg_segment_ptr 1
		.amdhsa_user_sgpr_dispatch_id 0
		.amdhsa_user_sgpr_flat_scratch_init 0
		.amdhsa_user_sgpr_kernarg_preload_length 0
		.amdhsa_user_sgpr_kernarg_preload_offset 0
		.amdhsa_user_sgpr_private_segment_size 0
		.amdhsa_uses_dynamic_stack 0
		.amdhsa_system_sgpr_private_segment_wavefront_offset 0
		.amdhsa_system_sgpr_workgroup_id_x 1
		.amdhsa_system_sgpr_workgroup_id_y 0
		.amdhsa_system_sgpr_workgroup_id_z 0
		.amdhsa_system_sgpr_workgroup_info 0
		.amdhsa_system_vgpr_workitem_id 0
		.amdhsa_next_free_vgpr 1
		.amdhsa_next_free_sgpr 0
		.amdhsa_accum_offset 4
		.amdhsa_reserve_vcc 0
		.amdhsa_reserve_flat_scratch 0
		.amdhsa_float_round_mode_32 0
		.amdhsa_float_round_mode_16_64 0
		.amdhsa_float_denorm_mode_32 3
		.amdhsa_float_denorm_mode_16_64 3
		.amdhsa_dx10_clamp 1
		.amdhsa_ieee_mode 1
		.amdhsa_fp16_overflow 0
		.amdhsa_tg_split 0
		.amdhsa_exception_fp_ieee_invalid_op 0
		.amdhsa_exception_fp_denorm_src 0
		.amdhsa_exception_fp_ieee_div_zero 0
		.amdhsa_exception_fp_ieee_overflow 0
		.amdhsa_exception_fp_ieee_underflow 0
		.amdhsa_exception_fp_ieee_inexact 0
		.amdhsa_exception_int_div_zero 0
	.end_amdhsa_kernel
	.section	.text._ZN7rocprim17ROCPRIM_400000_NS6detail17trampoline_kernelINS0_14default_configENS1_20scan_config_selectorIiEEZZNS1_9scan_implILNS1_25lookback_scan_determinismE0ELb0ELb1ES3_N6thrust23THRUST_200600_302600_NS6detail15normal_iteratorINS9_10device_ptrIiEEEESE_iNS9_10multipliesIiEEiEEDaPvRmT3_T4_T5_mT6_P12ihipStream_tbENKUlT_T0_E_clISt17integral_constantIbLb0EESU_EEDaSP_SQ_EUlSP_E_NS1_11comp_targetILNS1_3genE10ELNS1_11target_archE1200ELNS1_3gpuE4ELNS1_3repE0EEENS1_30default_config_static_selectorELNS0_4arch9wavefront6targetE1EEEvT1_,"axG",@progbits,_ZN7rocprim17ROCPRIM_400000_NS6detail17trampoline_kernelINS0_14default_configENS1_20scan_config_selectorIiEEZZNS1_9scan_implILNS1_25lookback_scan_determinismE0ELb0ELb1ES3_N6thrust23THRUST_200600_302600_NS6detail15normal_iteratorINS9_10device_ptrIiEEEESE_iNS9_10multipliesIiEEiEEDaPvRmT3_T4_T5_mT6_P12ihipStream_tbENKUlT_T0_E_clISt17integral_constantIbLb0EESU_EEDaSP_SQ_EUlSP_E_NS1_11comp_targetILNS1_3genE10ELNS1_11target_archE1200ELNS1_3gpuE4ELNS1_3repE0EEENS1_30default_config_static_selectorELNS0_4arch9wavefront6targetE1EEEvT1_,comdat
.Lfunc_end594:
	.size	_ZN7rocprim17ROCPRIM_400000_NS6detail17trampoline_kernelINS0_14default_configENS1_20scan_config_selectorIiEEZZNS1_9scan_implILNS1_25lookback_scan_determinismE0ELb0ELb1ES3_N6thrust23THRUST_200600_302600_NS6detail15normal_iteratorINS9_10device_ptrIiEEEESE_iNS9_10multipliesIiEEiEEDaPvRmT3_T4_T5_mT6_P12ihipStream_tbENKUlT_T0_E_clISt17integral_constantIbLb0EESU_EEDaSP_SQ_EUlSP_E_NS1_11comp_targetILNS1_3genE10ELNS1_11target_archE1200ELNS1_3gpuE4ELNS1_3repE0EEENS1_30default_config_static_selectorELNS0_4arch9wavefront6targetE1EEEvT1_, .Lfunc_end594-_ZN7rocprim17ROCPRIM_400000_NS6detail17trampoline_kernelINS0_14default_configENS1_20scan_config_selectorIiEEZZNS1_9scan_implILNS1_25lookback_scan_determinismE0ELb0ELb1ES3_N6thrust23THRUST_200600_302600_NS6detail15normal_iteratorINS9_10device_ptrIiEEEESE_iNS9_10multipliesIiEEiEEDaPvRmT3_T4_T5_mT6_P12ihipStream_tbENKUlT_T0_E_clISt17integral_constantIbLb0EESU_EEDaSP_SQ_EUlSP_E_NS1_11comp_targetILNS1_3genE10ELNS1_11target_archE1200ELNS1_3gpuE4ELNS1_3repE0EEENS1_30default_config_static_selectorELNS0_4arch9wavefront6targetE1EEEvT1_
                                        ; -- End function
	.section	.AMDGPU.csdata,"",@progbits
; Kernel info:
; codeLenInByte = 0
; NumSgprs: 4
; NumVgprs: 0
; NumAgprs: 0
; TotalNumVgprs: 0
; ScratchSize: 0
; MemoryBound: 0
; FloatMode: 240
; IeeeMode: 1
; LDSByteSize: 0 bytes/workgroup (compile time only)
; SGPRBlocks: 0
; VGPRBlocks: 0
; NumSGPRsForWavesPerEU: 4
; NumVGPRsForWavesPerEU: 1
; AccumOffset: 4
; Occupancy: 8
; WaveLimiterHint : 0
; COMPUTE_PGM_RSRC2:SCRATCH_EN: 0
; COMPUTE_PGM_RSRC2:USER_SGPR: 6
; COMPUTE_PGM_RSRC2:TRAP_HANDLER: 0
; COMPUTE_PGM_RSRC2:TGID_X_EN: 1
; COMPUTE_PGM_RSRC2:TGID_Y_EN: 0
; COMPUTE_PGM_RSRC2:TGID_Z_EN: 0
; COMPUTE_PGM_RSRC2:TIDIG_COMP_CNT: 0
; COMPUTE_PGM_RSRC3_GFX90A:ACCUM_OFFSET: 0
; COMPUTE_PGM_RSRC3_GFX90A:TG_SPLIT: 0
	.section	.text._ZN7rocprim17ROCPRIM_400000_NS6detail17trampoline_kernelINS0_14default_configENS1_20scan_config_selectorIiEEZZNS1_9scan_implILNS1_25lookback_scan_determinismE0ELb0ELb1ES3_N6thrust23THRUST_200600_302600_NS6detail15normal_iteratorINS9_10device_ptrIiEEEESE_iNS9_10multipliesIiEEiEEDaPvRmT3_T4_T5_mT6_P12ihipStream_tbENKUlT_T0_E_clISt17integral_constantIbLb0EESU_EEDaSP_SQ_EUlSP_E_NS1_11comp_targetILNS1_3genE9ELNS1_11target_archE1100ELNS1_3gpuE3ELNS1_3repE0EEENS1_30default_config_static_selectorELNS0_4arch9wavefront6targetE1EEEvT1_,"axG",@progbits,_ZN7rocprim17ROCPRIM_400000_NS6detail17trampoline_kernelINS0_14default_configENS1_20scan_config_selectorIiEEZZNS1_9scan_implILNS1_25lookback_scan_determinismE0ELb0ELb1ES3_N6thrust23THRUST_200600_302600_NS6detail15normal_iteratorINS9_10device_ptrIiEEEESE_iNS9_10multipliesIiEEiEEDaPvRmT3_T4_T5_mT6_P12ihipStream_tbENKUlT_T0_E_clISt17integral_constantIbLb0EESU_EEDaSP_SQ_EUlSP_E_NS1_11comp_targetILNS1_3genE9ELNS1_11target_archE1100ELNS1_3gpuE3ELNS1_3repE0EEENS1_30default_config_static_selectorELNS0_4arch9wavefront6targetE1EEEvT1_,comdat
	.protected	_ZN7rocprim17ROCPRIM_400000_NS6detail17trampoline_kernelINS0_14default_configENS1_20scan_config_selectorIiEEZZNS1_9scan_implILNS1_25lookback_scan_determinismE0ELb0ELb1ES3_N6thrust23THRUST_200600_302600_NS6detail15normal_iteratorINS9_10device_ptrIiEEEESE_iNS9_10multipliesIiEEiEEDaPvRmT3_T4_T5_mT6_P12ihipStream_tbENKUlT_T0_E_clISt17integral_constantIbLb0EESU_EEDaSP_SQ_EUlSP_E_NS1_11comp_targetILNS1_3genE9ELNS1_11target_archE1100ELNS1_3gpuE3ELNS1_3repE0EEENS1_30default_config_static_selectorELNS0_4arch9wavefront6targetE1EEEvT1_ ; -- Begin function _ZN7rocprim17ROCPRIM_400000_NS6detail17trampoline_kernelINS0_14default_configENS1_20scan_config_selectorIiEEZZNS1_9scan_implILNS1_25lookback_scan_determinismE0ELb0ELb1ES3_N6thrust23THRUST_200600_302600_NS6detail15normal_iteratorINS9_10device_ptrIiEEEESE_iNS9_10multipliesIiEEiEEDaPvRmT3_T4_T5_mT6_P12ihipStream_tbENKUlT_T0_E_clISt17integral_constantIbLb0EESU_EEDaSP_SQ_EUlSP_E_NS1_11comp_targetILNS1_3genE9ELNS1_11target_archE1100ELNS1_3gpuE3ELNS1_3repE0EEENS1_30default_config_static_selectorELNS0_4arch9wavefront6targetE1EEEvT1_
	.globl	_ZN7rocprim17ROCPRIM_400000_NS6detail17trampoline_kernelINS0_14default_configENS1_20scan_config_selectorIiEEZZNS1_9scan_implILNS1_25lookback_scan_determinismE0ELb0ELb1ES3_N6thrust23THRUST_200600_302600_NS6detail15normal_iteratorINS9_10device_ptrIiEEEESE_iNS9_10multipliesIiEEiEEDaPvRmT3_T4_T5_mT6_P12ihipStream_tbENKUlT_T0_E_clISt17integral_constantIbLb0EESU_EEDaSP_SQ_EUlSP_E_NS1_11comp_targetILNS1_3genE9ELNS1_11target_archE1100ELNS1_3gpuE3ELNS1_3repE0EEENS1_30default_config_static_selectorELNS0_4arch9wavefront6targetE1EEEvT1_
	.p2align	8
	.type	_ZN7rocprim17ROCPRIM_400000_NS6detail17trampoline_kernelINS0_14default_configENS1_20scan_config_selectorIiEEZZNS1_9scan_implILNS1_25lookback_scan_determinismE0ELb0ELb1ES3_N6thrust23THRUST_200600_302600_NS6detail15normal_iteratorINS9_10device_ptrIiEEEESE_iNS9_10multipliesIiEEiEEDaPvRmT3_T4_T5_mT6_P12ihipStream_tbENKUlT_T0_E_clISt17integral_constantIbLb0EESU_EEDaSP_SQ_EUlSP_E_NS1_11comp_targetILNS1_3genE9ELNS1_11target_archE1100ELNS1_3gpuE3ELNS1_3repE0EEENS1_30default_config_static_selectorELNS0_4arch9wavefront6targetE1EEEvT1_,@function
_ZN7rocprim17ROCPRIM_400000_NS6detail17trampoline_kernelINS0_14default_configENS1_20scan_config_selectorIiEEZZNS1_9scan_implILNS1_25lookback_scan_determinismE0ELb0ELb1ES3_N6thrust23THRUST_200600_302600_NS6detail15normal_iteratorINS9_10device_ptrIiEEEESE_iNS9_10multipliesIiEEiEEDaPvRmT3_T4_T5_mT6_P12ihipStream_tbENKUlT_T0_E_clISt17integral_constantIbLb0EESU_EEDaSP_SQ_EUlSP_E_NS1_11comp_targetILNS1_3genE9ELNS1_11target_archE1100ELNS1_3gpuE3ELNS1_3repE0EEENS1_30default_config_static_selectorELNS0_4arch9wavefront6targetE1EEEvT1_: ; @_ZN7rocprim17ROCPRIM_400000_NS6detail17trampoline_kernelINS0_14default_configENS1_20scan_config_selectorIiEEZZNS1_9scan_implILNS1_25lookback_scan_determinismE0ELb0ELb1ES3_N6thrust23THRUST_200600_302600_NS6detail15normal_iteratorINS9_10device_ptrIiEEEESE_iNS9_10multipliesIiEEiEEDaPvRmT3_T4_T5_mT6_P12ihipStream_tbENKUlT_T0_E_clISt17integral_constantIbLb0EESU_EEDaSP_SQ_EUlSP_E_NS1_11comp_targetILNS1_3genE9ELNS1_11target_archE1100ELNS1_3gpuE3ELNS1_3repE0EEENS1_30default_config_static_selectorELNS0_4arch9wavefront6targetE1EEEvT1_
; %bb.0:
	.section	.rodata,"a",@progbits
	.p2align	6, 0x0
	.amdhsa_kernel _ZN7rocprim17ROCPRIM_400000_NS6detail17trampoline_kernelINS0_14default_configENS1_20scan_config_selectorIiEEZZNS1_9scan_implILNS1_25lookback_scan_determinismE0ELb0ELb1ES3_N6thrust23THRUST_200600_302600_NS6detail15normal_iteratorINS9_10device_ptrIiEEEESE_iNS9_10multipliesIiEEiEEDaPvRmT3_T4_T5_mT6_P12ihipStream_tbENKUlT_T0_E_clISt17integral_constantIbLb0EESU_EEDaSP_SQ_EUlSP_E_NS1_11comp_targetILNS1_3genE9ELNS1_11target_archE1100ELNS1_3gpuE3ELNS1_3repE0EEENS1_30default_config_static_selectorELNS0_4arch9wavefront6targetE1EEEvT1_
		.amdhsa_group_segment_fixed_size 0
		.amdhsa_private_segment_fixed_size 0
		.amdhsa_kernarg_size 96
		.amdhsa_user_sgpr_count 6
		.amdhsa_user_sgpr_private_segment_buffer 1
		.amdhsa_user_sgpr_dispatch_ptr 0
		.amdhsa_user_sgpr_queue_ptr 0
		.amdhsa_user_sgpr_kernarg_segment_ptr 1
		.amdhsa_user_sgpr_dispatch_id 0
		.amdhsa_user_sgpr_flat_scratch_init 0
		.amdhsa_user_sgpr_kernarg_preload_length 0
		.amdhsa_user_sgpr_kernarg_preload_offset 0
		.amdhsa_user_sgpr_private_segment_size 0
		.amdhsa_uses_dynamic_stack 0
		.amdhsa_system_sgpr_private_segment_wavefront_offset 0
		.amdhsa_system_sgpr_workgroup_id_x 1
		.amdhsa_system_sgpr_workgroup_id_y 0
		.amdhsa_system_sgpr_workgroup_id_z 0
		.amdhsa_system_sgpr_workgroup_info 0
		.amdhsa_system_vgpr_workitem_id 0
		.amdhsa_next_free_vgpr 1
		.amdhsa_next_free_sgpr 0
		.amdhsa_accum_offset 4
		.amdhsa_reserve_vcc 0
		.amdhsa_reserve_flat_scratch 0
		.amdhsa_float_round_mode_32 0
		.amdhsa_float_round_mode_16_64 0
		.amdhsa_float_denorm_mode_32 3
		.amdhsa_float_denorm_mode_16_64 3
		.amdhsa_dx10_clamp 1
		.amdhsa_ieee_mode 1
		.amdhsa_fp16_overflow 0
		.amdhsa_tg_split 0
		.amdhsa_exception_fp_ieee_invalid_op 0
		.amdhsa_exception_fp_denorm_src 0
		.amdhsa_exception_fp_ieee_div_zero 0
		.amdhsa_exception_fp_ieee_overflow 0
		.amdhsa_exception_fp_ieee_underflow 0
		.amdhsa_exception_fp_ieee_inexact 0
		.amdhsa_exception_int_div_zero 0
	.end_amdhsa_kernel
	.section	.text._ZN7rocprim17ROCPRIM_400000_NS6detail17trampoline_kernelINS0_14default_configENS1_20scan_config_selectorIiEEZZNS1_9scan_implILNS1_25lookback_scan_determinismE0ELb0ELb1ES3_N6thrust23THRUST_200600_302600_NS6detail15normal_iteratorINS9_10device_ptrIiEEEESE_iNS9_10multipliesIiEEiEEDaPvRmT3_T4_T5_mT6_P12ihipStream_tbENKUlT_T0_E_clISt17integral_constantIbLb0EESU_EEDaSP_SQ_EUlSP_E_NS1_11comp_targetILNS1_3genE9ELNS1_11target_archE1100ELNS1_3gpuE3ELNS1_3repE0EEENS1_30default_config_static_selectorELNS0_4arch9wavefront6targetE1EEEvT1_,"axG",@progbits,_ZN7rocprim17ROCPRIM_400000_NS6detail17trampoline_kernelINS0_14default_configENS1_20scan_config_selectorIiEEZZNS1_9scan_implILNS1_25lookback_scan_determinismE0ELb0ELb1ES3_N6thrust23THRUST_200600_302600_NS6detail15normal_iteratorINS9_10device_ptrIiEEEESE_iNS9_10multipliesIiEEiEEDaPvRmT3_T4_T5_mT6_P12ihipStream_tbENKUlT_T0_E_clISt17integral_constantIbLb0EESU_EEDaSP_SQ_EUlSP_E_NS1_11comp_targetILNS1_3genE9ELNS1_11target_archE1100ELNS1_3gpuE3ELNS1_3repE0EEENS1_30default_config_static_selectorELNS0_4arch9wavefront6targetE1EEEvT1_,comdat
.Lfunc_end595:
	.size	_ZN7rocprim17ROCPRIM_400000_NS6detail17trampoline_kernelINS0_14default_configENS1_20scan_config_selectorIiEEZZNS1_9scan_implILNS1_25lookback_scan_determinismE0ELb0ELb1ES3_N6thrust23THRUST_200600_302600_NS6detail15normal_iteratorINS9_10device_ptrIiEEEESE_iNS9_10multipliesIiEEiEEDaPvRmT3_T4_T5_mT6_P12ihipStream_tbENKUlT_T0_E_clISt17integral_constantIbLb0EESU_EEDaSP_SQ_EUlSP_E_NS1_11comp_targetILNS1_3genE9ELNS1_11target_archE1100ELNS1_3gpuE3ELNS1_3repE0EEENS1_30default_config_static_selectorELNS0_4arch9wavefront6targetE1EEEvT1_, .Lfunc_end595-_ZN7rocprim17ROCPRIM_400000_NS6detail17trampoline_kernelINS0_14default_configENS1_20scan_config_selectorIiEEZZNS1_9scan_implILNS1_25lookback_scan_determinismE0ELb0ELb1ES3_N6thrust23THRUST_200600_302600_NS6detail15normal_iteratorINS9_10device_ptrIiEEEESE_iNS9_10multipliesIiEEiEEDaPvRmT3_T4_T5_mT6_P12ihipStream_tbENKUlT_T0_E_clISt17integral_constantIbLb0EESU_EEDaSP_SQ_EUlSP_E_NS1_11comp_targetILNS1_3genE9ELNS1_11target_archE1100ELNS1_3gpuE3ELNS1_3repE0EEENS1_30default_config_static_selectorELNS0_4arch9wavefront6targetE1EEEvT1_
                                        ; -- End function
	.section	.AMDGPU.csdata,"",@progbits
; Kernel info:
; codeLenInByte = 0
; NumSgprs: 4
; NumVgprs: 0
; NumAgprs: 0
; TotalNumVgprs: 0
; ScratchSize: 0
; MemoryBound: 0
; FloatMode: 240
; IeeeMode: 1
; LDSByteSize: 0 bytes/workgroup (compile time only)
; SGPRBlocks: 0
; VGPRBlocks: 0
; NumSGPRsForWavesPerEU: 4
; NumVGPRsForWavesPerEU: 1
; AccumOffset: 4
; Occupancy: 8
; WaveLimiterHint : 0
; COMPUTE_PGM_RSRC2:SCRATCH_EN: 0
; COMPUTE_PGM_RSRC2:USER_SGPR: 6
; COMPUTE_PGM_RSRC2:TRAP_HANDLER: 0
; COMPUTE_PGM_RSRC2:TGID_X_EN: 1
; COMPUTE_PGM_RSRC2:TGID_Y_EN: 0
; COMPUTE_PGM_RSRC2:TGID_Z_EN: 0
; COMPUTE_PGM_RSRC2:TIDIG_COMP_CNT: 0
; COMPUTE_PGM_RSRC3_GFX90A:ACCUM_OFFSET: 0
; COMPUTE_PGM_RSRC3_GFX90A:TG_SPLIT: 0
	.section	.text._ZN7rocprim17ROCPRIM_400000_NS6detail17trampoline_kernelINS0_14default_configENS1_20scan_config_selectorIiEEZZNS1_9scan_implILNS1_25lookback_scan_determinismE0ELb0ELb1ES3_N6thrust23THRUST_200600_302600_NS6detail15normal_iteratorINS9_10device_ptrIiEEEESE_iNS9_10multipliesIiEEiEEDaPvRmT3_T4_T5_mT6_P12ihipStream_tbENKUlT_T0_E_clISt17integral_constantIbLb0EESU_EEDaSP_SQ_EUlSP_E_NS1_11comp_targetILNS1_3genE8ELNS1_11target_archE1030ELNS1_3gpuE2ELNS1_3repE0EEENS1_30default_config_static_selectorELNS0_4arch9wavefront6targetE1EEEvT1_,"axG",@progbits,_ZN7rocprim17ROCPRIM_400000_NS6detail17trampoline_kernelINS0_14default_configENS1_20scan_config_selectorIiEEZZNS1_9scan_implILNS1_25lookback_scan_determinismE0ELb0ELb1ES3_N6thrust23THRUST_200600_302600_NS6detail15normal_iteratorINS9_10device_ptrIiEEEESE_iNS9_10multipliesIiEEiEEDaPvRmT3_T4_T5_mT6_P12ihipStream_tbENKUlT_T0_E_clISt17integral_constantIbLb0EESU_EEDaSP_SQ_EUlSP_E_NS1_11comp_targetILNS1_3genE8ELNS1_11target_archE1030ELNS1_3gpuE2ELNS1_3repE0EEENS1_30default_config_static_selectorELNS0_4arch9wavefront6targetE1EEEvT1_,comdat
	.protected	_ZN7rocprim17ROCPRIM_400000_NS6detail17trampoline_kernelINS0_14default_configENS1_20scan_config_selectorIiEEZZNS1_9scan_implILNS1_25lookback_scan_determinismE0ELb0ELb1ES3_N6thrust23THRUST_200600_302600_NS6detail15normal_iteratorINS9_10device_ptrIiEEEESE_iNS9_10multipliesIiEEiEEDaPvRmT3_T4_T5_mT6_P12ihipStream_tbENKUlT_T0_E_clISt17integral_constantIbLb0EESU_EEDaSP_SQ_EUlSP_E_NS1_11comp_targetILNS1_3genE8ELNS1_11target_archE1030ELNS1_3gpuE2ELNS1_3repE0EEENS1_30default_config_static_selectorELNS0_4arch9wavefront6targetE1EEEvT1_ ; -- Begin function _ZN7rocprim17ROCPRIM_400000_NS6detail17trampoline_kernelINS0_14default_configENS1_20scan_config_selectorIiEEZZNS1_9scan_implILNS1_25lookback_scan_determinismE0ELb0ELb1ES3_N6thrust23THRUST_200600_302600_NS6detail15normal_iteratorINS9_10device_ptrIiEEEESE_iNS9_10multipliesIiEEiEEDaPvRmT3_T4_T5_mT6_P12ihipStream_tbENKUlT_T0_E_clISt17integral_constantIbLb0EESU_EEDaSP_SQ_EUlSP_E_NS1_11comp_targetILNS1_3genE8ELNS1_11target_archE1030ELNS1_3gpuE2ELNS1_3repE0EEENS1_30default_config_static_selectorELNS0_4arch9wavefront6targetE1EEEvT1_
	.globl	_ZN7rocprim17ROCPRIM_400000_NS6detail17trampoline_kernelINS0_14default_configENS1_20scan_config_selectorIiEEZZNS1_9scan_implILNS1_25lookback_scan_determinismE0ELb0ELb1ES3_N6thrust23THRUST_200600_302600_NS6detail15normal_iteratorINS9_10device_ptrIiEEEESE_iNS9_10multipliesIiEEiEEDaPvRmT3_T4_T5_mT6_P12ihipStream_tbENKUlT_T0_E_clISt17integral_constantIbLb0EESU_EEDaSP_SQ_EUlSP_E_NS1_11comp_targetILNS1_3genE8ELNS1_11target_archE1030ELNS1_3gpuE2ELNS1_3repE0EEENS1_30default_config_static_selectorELNS0_4arch9wavefront6targetE1EEEvT1_
	.p2align	8
	.type	_ZN7rocprim17ROCPRIM_400000_NS6detail17trampoline_kernelINS0_14default_configENS1_20scan_config_selectorIiEEZZNS1_9scan_implILNS1_25lookback_scan_determinismE0ELb0ELb1ES3_N6thrust23THRUST_200600_302600_NS6detail15normal_iteratorINS9_10device_ptrIiEEEESE_iNS9_10multipliesIiEEiEEDaPvRmT3_T4_T5_mT6_P12ihipStream_tbENKUlT_T0_E_clISt17integral_constantIbLb0EESU_EEDaSP_SQ_EUlSP_E_NS1_11comp_targetILNS1_3genE8ELNS1_11target_archE1030ELNS1_3gpuE2ELNS1_3repE0EEENS1_30default_config_static_selectorELNS0_4arch9wavefront6targetE1EEEvT1_,@function
_ZN7rocprim17ROCPRIM_400000_NS6detail17trampoline_kernelINS0_14default_configENS1_20scan_config_selectorIiEEZZNS1_9scan_implILNS1_25lookback_scan_determinismE0ELb0ELb1ES3_N6thrust23THRUST_200600_302600_NS6detail15normal_iteratorINS9_10device_ptrIiEEEESE_iNS9_10multipliesIiEEiEEDaPvRmT3_T4_T5_mT6_P12ihipStream_tbENKUlT_T0_E_clISt17integral_constantIbLb0EESU_EEDaSP_SQ_EUlSP_E_NS1_11comp_targetILNS1_3genE8ELNS1_11target_archE1030ELNS1_3gpuE2ELNS1_3repE0EEENS1_30default_config_static_selectorELNS0_4arch9wavefront6targetE1EEEvT1_: ; @_ZN7rocprim17ROCPRIM_400000_NS6detail17trampoline_kernelINS0_14default_configENS1_20scan_config_selectorIiEEZZNS1_9scan_implILNS1_25lookback_scan_determinismE0ELb0ELb1ES3_N6thrust23THRUST_200600_302600_NS6detail15normal_iteratorINS9_10device_ptrIiEEEESE_iNS9_10multipliesIiEEiEEDaPvRmT3_T4_T5_mT6_P12ihipStream_tbENKUlT_T0_E_clISt17integral_constantIbLb0EESU_EEDaSP_SQ_EUlSP_E_NS1_11comp_targetILNS1_3genE8ELNS1_11target_archE1030ELNS1_3gpuE2ELNS1_3repE0EEENS1_30default_config_static_selectorELNS0_4arch9wavefront6targetE1EEEvT1_
; %bb.0:
	.section	.rodata,"a",@progbits
	.p2align	6, 0x0
	.amdhsa_kernel _ZN7rocprim17ROCPRIM_400000_NS6detail17trampoline_kernelINS0_14default_configENS1_20scan_config_selectorIiEEZZNS1_9scan_implILNS1_25lookback_scan_determinismE0ELb0ELb1ES3_N6thrust23THRUST_200600_302600_NS6detail15normal_iteratorINS9_10device_ptrIiEEEESE_iNS9_10multipliesIiEEiEEDaPvRmT3_T4_T5_mT6_P12ihipStream_tbENKUlT_T0_E_clISt17integral_constantIbLb0EESU_EEDaSP_SQ_EUlSP_E_NS1_11comp_targetILNS1_3genE8ELNS1_11target_archE1030ELNS1_3gpuE2ELNS1_3repE0EEENS1_30default_config_static_selectorELNS0_4arch9wavefront6targetE1EEEvT1_
		.amdhsa_group_segment_fixed_size 0
		.amdhsa_private_segment_fixed_size 0
		.amdhsa_kernarg_size 96
		.amdhsa_user_sgpr_count 6
		.amdhsa_user_sgpr_private_segment_buffer 1
		.amdhsa_user_sgpr_dispatch_ptr 0
		.amdhsa_user_sgpr_queue_ptr 0
		.amdhsa_user_sgpr_kernarg_segment_ptr 1
		.amdhsa_user_sgpr_dispatch_id 0
		.amdhsa_user_sgpr_flat_scratch_init 0
		.amdhsa_user_sgpr_kernarg_preload_length 0
		.amdhsa_user_sgpr_kernarg_preload_offset 0
		.amdhsa_user_sgpr_private_segment_size 0
		.amdhsa_uses_dynamic_stack 0
		.amdhsa_system_sgpr_private_segment_wavefront_offset 0
		.amdhsa_system_sgpr_workgroup_id_x 1
		.amdhsa_system_sgpr_workgroup_id_y 0
		.amdhsa_system_sgpr_workgroup_id_z 0
		.amdhsa_system_sgpr_workgroup_info 0
		.amdhsa_system_vgpr_workitem_id 0
		.amdhsa_next_free_vgpr 1
		.amdhsa_next_free_sgpr 0
		.amdhsa_accum_offset 4
		.amdhsa_reserve_vcc 0
		.amdhsa_reserve_flat_scratch 0
		.amdhsa_float_round_mode_32 0
		.amdhsa_float_round_mode_16_64 0
		.amdhsa_float_denorm_mode_32 3
		.amdhsa_float_denorm_mode_16_64 3
		.amdhsa_dx10_clamp 1
		.amdhsa_ieee_mode 1
		.amdhsa_fp16_overflow 0
		.amdhsa_tg_split 0
		.amdhsa_exception_fp_ieee_invalid_op 0
		.amdhsa_exception_fp_denorm_src 0
		.amdhsa_exception_fp_ieee_div_zero 0
		.amdhsa_exception_fp_ieee_overflow 0
		.amdhsa_exception_fp_ieee_underflow 0
		.amdhsa_exception_fp_ieee_inexact 0
		.amdhsa_exception_int_div_zero 0
	.end_amdhsa_kernel
	.section	.text._ZN7rocprim17ROCPRIM_400000_NS6detail17trampoline_kernelINS0_14default_configENS1_20scan_config_selectorIiEEZZNS1_9scan_implILNS1_25lookback_scan_determinismE0ELb0ELb1ES3_N6thrust23THRUST_200600_302600_NS6detail15normal_iteratorINS9_10device_ptrIiEEEESE_iNS9_10multipliesIiEEiEEDaPvRmT3_T4_T5_mT6_P12ihipStream_tbENKUlT_T0_E_clISt17integral_constantIbLb0EESU_EEDaSP_SQ_EUlSP_E_NS1_11comp_targetILNS1_3genE8ELNS1_11target_archE1030ELNS1_3gpuE2ELNS1_3repE0EEENS1_30default_config_static_selectorELNS0_4arch9wavefront6targetE1EEEvT1_,"axG",@progbits,_ZN7rocprim17ROCPRIM_400000_NS6detail17trampoline_kernelINS0_14default_configENS1_20scan_config_selectorIiEEZZNS1_9scan_implILNS1_25lookback_scan_determinismE0ELb0ELb1ES3_N6thrust23THRUST_200600_302600_NS6detail15normal_iteratorINS9_10device_ptrIiEEEESE_iNS9_10multipliesIiEEiEEDaPvRmT3_T4_T5_mT6_P12ihipStream_tbENKUlT_T0_E_clISt17integral_constantIbLb0EESU_EEDaSP_SQ_EUlSP_E_NS1_11comp_targetILNS1_3genE8ELNS1_11target_archE1030ELNS1_3gpuE2ELNS1_3repE0EEENS1_30default_config_static_selectorELNS0_4arch9wavefront6targetE1EEEvT1_,comdat
.Lfunc_end596:
	.size	_ZN7rocprim17ROCPRIM_400000_NS6detail17trampoline_kernelINS0_14default_configENS1_20scan_config_selectorIiEEZZNS1_9scan_implILNS1_25lookback_scan_determinismE0ELb0ELb1ES3_N6thrust23THRUST_200600_302600_NS6detail15normal_iteratorINS9_10device_ptrIiEEEESE_iNS9_10multipliesIiEEiEEDaPvRmT3_T4_T5_mT6_P12ihipStream_tbENKUlT_T0_E_clISt17integral_constantIbLb0EESU_EEDaSP_SQ_EUlSP_E_NS1_11comp_targetILNS1_3genE8ELNS1_11target_archE1030ELNS1_3gpuE2ELNS1_3repE0EEENS1_30default_config_static_selectorELNS0_4arch9wavefront6targetE1EEEvT1_, .Lfunc_end596-_ZN7rocprim17ROCPRIM_400000_NS6detail17trampoline_kernelINS0_14default_configENS1_20scan_config_selectorIiEEZZNS1_9scan_implILNS1_25lookback_scan_determinismE0ELb0ELb1ES3_N6thrust23THRUST_200600_302600_NS6detail15normal_iteratorINS9_10device_ptrIiEEEESE_iNS9_10multipliesIiEEiEEDaPvRmT3_T4_T5_mT6_P12ihipStream_tbENKUlT_T0_E_clISt17integral_constantIbLb0EESU_EEDaSP_SQ_EUlSP_E_NS1_11comp_targetILNS1_3genE8ELNS1_11target_archE1030ELNS1_3gpuE2ELNS1_3repE0EEENS1_30default_config_static_selectorELNS0_4arch9wavefront6targetE1EEEvT1_
                                        ; -- End function
	.section	.AMDGPU.csdata,"",@progbits
; Kernel info:
; codeLenInByte = 0
; NumSgprs: 4
; NumVgprs: 0
; NumAgprs: 0
; TotalNumVgprs: 0
; ScratchSize: 0
; MemoryBound: 0
; FloatMode: 240
; IeeeMode: 1
; LDSByteSize: 0 bytes/workgroup (compile time only)
; SGPRBlocks: 0
; VGPRBlocks: 0
; NumSGPRsForWavesPerEU: 4
; NumVGPRsForWavesPerEU: 1
; AccumOffset: 4
; Occupancy: 8
; WaveLimiterHint : 0
; COMPUTE_PGM_RSRC2:SCRATCH_EN: 0
; COMPUTE_PGM_RSRC2:USER_SGPR: 6
; COMPUTE_PGM_RSRC2:TRAP_HANDLER: 0
; COMPUTE_PGM_RSRC2:TGID_X_EN: 1
; COMPUTE_PGM_RSRC2:TGID_Y_EN: 0
; COMPUTE_PGM_RSRC2:TGID_Z_EN: 0
; COMPUTE_PGM_RSRC2:TIDIG_COMP_CNT: 0
; COMPUTE_PGM_RSRC3_GFX90A:ACCUM_OFFSET: 0
; COMPUTE_PGM_RSRC3_GFX90A:TG_SPLIT: 0
	.section	.text._ZN7rocprim17ROCPRIM_400000_NS6detail17trampoline_kernelINS0_14default_configENS1_20scan_config_selectorIiEEZZNS1_9scan_implILNS1_25lookback_scan_determinismE0ELb0ELb1ES3_N6thrust23THRUST_200600_302600_NS6detail15normal_iteratorINS9_10device_ptrIiEEEESE_iNS9_10multipliesIiEEiEEDaPvRmT3_T4_T5_mT6_P12ihipStream_tbENKUlT_T0_E_clISt17integral_constantIbLb0EESU_EEDaSP_SQ_EUlSP_E0_NS1_11comp_targetILNS1_3genE0ELNS1_11target_archE4294967295ELNS1_3gpuE0ELNS1_3repE0EEENS1_30default_config_static_selectorELNS0_4arch9wavefront6targetE1EEEvT1_,"axG",@progbits,_ZN7rocprim17ROCPRIM_400000_NS6detail17trampoline_kernelINS0_14default_configENS1_20scan_config_selectorIiEEZZNS1_9scan_implILNS1_25lookback_scan_determinismE0ELb0ELb1ES3_N6thrust23THRUST_200600_302600_NS6detail15normal_iteratorINS9_10device_ptrIiEEEESE_iNS9_10multipliesIiEEiEEDaPvRmT3_T4_T5_mT6_P12ihipStream_tbENKUlT_T0_E_clISt17integral_constantIbLb0EESU_EEDaSP_SQ_EUlSP_E0_NS1_11comp_targetILNS1_3genE0ELNS1_11target_archE4294967295ELNS1_3gpuE0ELNS1_3repE0EEENS1_30default_config_static_selectorELNS0_4arch9wavefront6targetE1EEEvT1_,comdat
	.protected	_ZN7rocprim17ROCPRIM_400000_NS6detail17trampoline_kernelINS0_14default_configENS1_20scan_config_selectorIiEEZZNS1_9scan_implILNS1_25lookback_scan_determinismE0ELb0ELb1ES3_N6thrust23THRUST_200600_302600_NS6detail15normal_iteratorINS9_10device_ptrIiEEEESE_iNS9_10multipliesIiEEiEEDaPvRmT3_T4_T5_mT6_P12ihipStream_tbENKUlT_T0_E_clISt17integral_constantIbLb0EESU_EEDaSP_SQ_EUlSP_E0_NS1_11comp_targetILNS1_3genE0ELNS1_11target_archE4294967295ELNS1_3gpuE0ELNS1_3repE0EEENS1_30default_config_static_selectorELNS0_4arch9wavefront6targetE1EEEvT1_ ; -- Begin function _ZN7rocprim17ROCPRIM_400000_NS6detail17trampoline_kernelINS0_14default_configENS1_20scan_config_selectorIiEEZZNS1_9scan_implILNS1_25lookback_scan_determinismE0ELb0ELb1ES3_N6thrust23THRUST_200600_302600_NS6detail15normal_iteratorINS9_10device_ptrIiEEEESE_iNS9_10multipliesIiEEiEEDaPvRmT3_T4_T5_mT6_P12ihipStream_tbENKUlT_T0_E_clISt17integral_constantIbLb0EESU_EEDaSP_SQ_EUlSP_E0_NS1_11comp_targetILNS1_3genE0ELNS1_11target_archE4294967295ELNS1_3gpuE0ELNS1_3repE0EEENS1_30default_config_static_selectorELNS0_4arch9wavefront6targetE1EEEvT1_
	.globl	_ZN7rocprim17ROCPRIM_400000_NS6detail17trampoline_kernelINS0_14default_configENS1_20scan_config_selectorIiEEZZNS1_9scan_implILNS1_25lookback_scan_determinismE0ELb0ELb1ES3_N6thrust23THRUST_200600_302600_NS6detail15normal_iteratorINS9_10device_ptrIiEEEESE_iNS9_10multipliesIiEEiEEDaPvRmT3_T4_T5_mT6_P12ihipStream_tbENKUlT_T0_E_clISt17integral_constantIbLb0EESU_EEDaSP_SQ_EUlSP_E0_NS1_11comp_targetILNS1_3genE0ELNS1_11target_archE4294967295ELNS1_3gpuE0ELNS1_3repE0EEENS1_30default_config_static_selectorELNS0_4arch9wavefront6targetE1EEEvT1_
	.p2align	8
	.type	_ZN7rocprim17ROCPRIM_400000_NS6detail17trampoline_kernelINS0_14default_configENS1_20scan_config_selectorIiEEZZNS1_9scan_implILNS1_25lookback_scan_determinismE0ELb0ELb1ES3_N6thrust23THRUST_200600_302600_NS6detail15normal_iteratorINS9_10device_ptrIiEEEESE_iNS9_10multipliesIiEEiEEDaPvRmT3_T4_T5_mT6_P12ihipStream_tbENKUlT_T0_E_clISt17integral_constantIbLb0EESU_EEDaSP_SQ_EUlSP_E0_NS1_11comp_targetILNS1_3genE0ELNS1_11target_archE4294967295ELNS1_3gpuE0ELNS1_3repE0EEENS1_30default_config_static_selectorELNS0_4arch9wavefront6targetE1EEEvT1_,@function
_ZN7rocprim17ROCPRIM_400000_NS6detail17trampoline_kernelINS0_14default_configENS1_20scan_config_selectorIiEEZZNS1_9scan_implILNS1_25lookback_scan_determinismE0ELb0ELb1ES3_N6thrust23THRUST_200600_302600_NS6detail15normal_iteratorINS9_10device_ptrIiEEEESE_iNS9_10multipliesIiEEiEEDaPvRmT3_T4_T5_mT6_P12ihipStream_tbENKUlT_T0_E_clISt17integral_constantIbLb0EESU_EEDaSP_SQ_EUlSP_E0_NS1_11comp_targetILNS1_3genE0ELNS1_11target_archE4294967295ELNS1_3gpuE0ELNS1_3repE0EEENS1_30default_config_static_selectorELNS0_4arch9wavefront6targetE1EEEvT1_: ; @_ZN7rocprim17ROCPRIM_400000_NS6detail17trampoline_kernelINS0_14default_configENS1_20scan_config_selectorIiEEZZNS1_9scan_implILNS1_25lookback_scan_determinismE0ELb0ELb1ES3_N6thrust23THRUST_200600_302600_NS6detail15normal_iteratorINS9_10device_ptrIiEEEESE_iNS9_10multipliesIiEEiEEDaPvRmT3_T4_T5_mT6_P12ihipStream_tbENKUlT_T0_E_clISt17integral_constantIbLb0EESU_EEDaSP_SQ_EUlSP_E0_NS1_11comp_targetILNS1_3genE0ELNS1_11target_archE4294967295ELNS1_3gpuE0ELNS1_3repE0EEENS1_30default_config_static_selectorELNS0_4arch9wavefront6targetE1EEEvT1_
; %bb.0:
	.section	.rodata,"a",@progbits
	.p2align	6, 0x0
	.amdhsa_kernel _ZN7rocprim17ROCPRIM_400000_NS6detail17trampoline_kernelINS0_14default_configENS1_20scan_config_selectorIiEEZZNS1_9scan_implILNS1_25lookback_scan_determinismE0ELb0ELb1ES3_N6thrust23THRUST_200600_302600_NS6detail15normal_iteratorINS9_10device_ptrIiEEEESE_iNS9_10multipliesIiEEiEEDaPvRmT3_T4_T5_mT6_P12ihipStream_tbENKUlT_T0_E_clISt17integral_constantIbLb0EESU_EEDaSP_SQ_EUlSP_E0_NS1_11comp_targetILNS1_3genE0ELNS1_11target_archE4294967295ELNS1_3gpuE0ELNS1_3repE0EEENS1_30default_config_static_selectorELNS0_4arch9wavefront6targetE1EEEvT1_
		.amdhsa_group_segment_fixed_size 0
		.amdhsa_private_segment_fixed_size 0
		.amdhsa_kernarg_size 32
		.amdhsa_user_sgpr_count 6
		.amdhsa_user_sgpr_private_segment_buffer 1
		.amdhsa_user_sgpr_dispatch_ptr 0
		.amdhsa_user_sgpr_queue_ptr 0
		.amdhsa_user_sgpr_kernarg_segment_ptr 1
		.amdhsa_user_sgpr_dispatch_id 0
		.amdhsa_user_sgpr_flat_scratch_init 0
		.amdhsa_user_sgpr_kernarg_preload_length 0
		.amdhsa_user_sgpr_kernarg_preload_offset 0
		.amdhsa_user_sgpr_private_segment_size 0
		.amdhsa_uses_dynamic_stack 0
		.amdhsa_system_sgpr_private_segment_wavefront_offset 0
		.amdhsa_system_sgpr_workgroup_id_x 1
		.amdhsa_system_sgpr_workgroup_id_y 0
		.amdhsa_system_sgpr_workgroup_id_z 0
		.amdhsa_system_sgpr_workgroup_info 0
		.amdhsa_system_vgpr_workitem_id 0
		.amdhsa_next_free_vgpr 1
		.amdhsa_next_free_sgpr 0
		.amdhsa_accum_offset 4
		.amdhsa_reserve_vcc 0
		.amdhsa_reserve_flat_scratch 0
		.amdhsa_float_round_mode_32 0
		.amdhsa_float_round_mode_16_64 0
		.amdhsa_float_denorm_mode_32 3
		.amdhsa_float_denorm_mode_16_64 3
		.amdhsa_dx10_clamp 1
		.amdhsa_ieee_mode 1
		.amdhsa_fp16_overflow 0
		.amdhsa_tg_split 0
		.amdhsa_exception_fp_ieee_invalid_op 0
		.amdhsa_exception_fp_denorm_src 0
		.amdhsa_exception_fp_ieee_div_zero 0
		.amdhsa_exception_fp_ieee_overflow 0
		.amdhsa_exception_fp_ieee_underflow 0
		.amdhsa_exception_fp_ieee_inexact 0
		.amdhsa_exception_int_div_zero 0
	.end_amdhsa_kernel
	.section	.text._ZN7rocprim17ROCPRIM_400000_NS6detail17trampoline_kernelINS0_14default_configENS1_20scan_config_selectorIiEEZZNS1_9scan_implILNS1_25lookback_scan_determinismE0ELb0ELb1ES3_N6thrust23THRUST_200600_302600_NS6detail15normal_iteratorINS9_10device_ptrIiEEEESE_iNS9_10multipliesIiEEiEEDaPvRmT3_T4_T5_mT6_P12ihipStream_tbENKUlT_T0_E_clISt17integral_constantIbLb0EESU_EEDaSP_SQ_EUlSP_E0_NS1_11comp_targetILNS1_3genE0ELNS1_11target_archE4294967295ELNS1_3gpuE0ELNS1_3repE0EEENS1_30default_config_static_selectorELNS0_4arch9wavefront6targetE1EEEvT1_,"axG",@progbits,_ZN7rocprim17ROCPRIM_400000_NS6detail17trampoline_kernelINS0_14default_configENS1_20scan_config_selectorIiEEZZNS1_9scan_implILNS1_25lookback_scan_determinismE0ELb0ELb1ES3_N6thrust23THRUST_200600_302600_NS6detail15normal_iteratorINS9_10device_ptrIiEEEESE_iNS9_10multipliesIiEEiEEDaPvRmT3_T4_T5_mT6_P12ihipStream_tbENKUlT_T0_E_clISt17integral_constantIbLb0EESU_EEDaSP_SQ_EUlSP_E0_NS1_11comp_targetILNS1_3genE0ELNS1_11target_archE4294967295ELNS1_3gpuE0ELNS1_3repE0EEENS1_30default_config_static_selectorELNS0_4arch9wavefront6targetE1EEEvT1_,comdat
.Lfunc_end597:
	.size	_ZN7rocprim17ROCPRIM_400000_NS6detail17trampoline_kernelINS0_14default_configENS1_20scan_config_selectorIiEEZZNS1_9scan_implILNS1_25lookback_scan_determinismE0ELb0ELb1ES3_N6thrust23THRUST_200600_302600_NS6detail15normal_iteratorINS9_10device_ptrIiEEEESE_iNS9_10multipliesIiEEiEEDaPvRmT3_T4_T5_mT6_P12ihipStream_tbENKUlT_T0_E_clISt17integral_constantIbLb0EESU_EEDaSP_SQ_EUlSP_E0_NS1_11comp_targetILNS1_3genE0ELNS1_11target_archE4294967295ELNS1_3gpuE0ELNS1_3repE0EEENS1_30default_config_static_selectorELNS0_4arch9wavefront6targetE1EEEvT1_, .Lfunc_end597-_ZN7rocprim17ROCPRIM_400000_NS6detail17trampoline_kernelINS0_14default_configENS1_20scan_config_selectorIiEEZZNS1_9scan_implILNS1_25lookback_scan_determinismE0ELb0ELb1ES3_N6thrust23THRUST_200600_302600_NS6detail15normal_iteratorINS9_10device_ptrIiEEEESE_iNS9_10multipliesIiEEiEEDaPvRmT3_T4_T5_mT6_P12ihipStream_tbENKUlT_T0_E_clISt17integral_constantIbLb0EESU_EEDaSP_SQ_EUlSP_E0_NS1_11comp_targetILNS1_3genE0ELNS1_11target_archE4294967295ELNS1_3gpuE0ELNS1_3repE0EEENS1_30default_config_static_selectorELNS0_4arch9wavefront6targetE1EEEvT1_
                                        ; -- End function
	.section	.AMDGPU.csdata,"",@progbits
; Kernel info:
; codeLenInByte = 0
; NumSgprs: 4
; NumVgprs: 0
; NumAgprs: 0
; TotalNumVgprs: 0
; ScratchSize: 0
; MemoryBound: 0
; FloatMode: 240
; IeeeMode: 1
; LDSByteSize: 0 bytes/workgroup (compile time only)
; SGPRBlocks: 0
; VGPRBlocks: 0
; NumSGPRsForWavesPerEU: 4
; NumVGPRsForWavesPerEU: 1
; AccumOffset: 4
; Occupancy: 8
; WaveLimiterHint : 0
; COMPUTE_PGM_RSRC2:SCRATCH_EN: 0
; COMPUTE_PGM_RSRC2:USER_SGPR: 6
; COMPUTE_PGM_RSRC2:TRAP_HANDLER: 0
; COMPUTE_PGM_RSRC2:TGID_X_EN: 1
; COMPUTE_PGM_RSRC2:TGID_Y_EN: 0
; COMPUTE_PGM_RSRC2:TGID_Z_EN: 0
; COMPUTE_PGM_RSRC2:TIDIG_COMP_CNT: 0
; COMPUTE_PGM_RSRC3_GFX90A:ACCUM_OFFSET: 0
; COMPUTE_PGM_RSRC3_GFX90A:TG_SPLIT: 0
	.section	.text._ZN7rocprim17ROCPRIM_400000_NS6detail17trampoline_kernelINS0_14default_configENS1_20scan_config_selectorIiEEZZNS1_9scan_implILNS1_25lookback_scan_determinismE0ELb0ELb1ES3_N6thrust23THRUST_200600_302600_NS6detail15normal_iteratorINS9_10device_ptrIiEEEESE_iNS9_10multipliesIiEEiEEDaPvRmT3_T4_T5_mT6_P12ihipStream_tbENKUlT_T0_E_clISt17integral_constantIbLb0EESU_EEDaSP_SQ_EUlSP_E0_NS1_11comp_targetILNS1_3genE5ELNS1_11target_archE942ELNS1_3gpuE9ELNS1_3repE0EEENS1_30default_config_static_selectorELNS0_4arch9wavefront6targetE1EEEvT1_,"axG",@progbits,_ZN7rocprim17ROCPRIM_400000_NS6detail17trampoline_kernelINS0_14default_configENS1_20scan_config_selectorIiEEZZNS1_9scan_implILNS1_25lookback_scan_determinismE0ELb0ELb1ES3_N6thrust23THRUST_200600_302600_NS6detail15normal_iteratorINS9_10device_ptrIiEEEESE_iNS9_10multipliesIiEEiEEDaPvRmT3_T4_T5_mT6_P12ihipStream_tbENKUlT_T0_E_clISt17integral_constantIbLb0EESU_EEDaSP_SQ_EUlSP_E0_NS1_11comp_targetILNS1_3genE5ELNS1_11target_archE942ELNS1_3gpuE9ELNS1_3repE0EEENS1_30default_config_static_selectorELNS0_4arch9wavefront6targetE1EEEvT1_,comdat
	.protected	_ZN7rocprim17ROCPRIM_400000_NS6detail17trampoline_kernelINS0_14default_configENS1_20scan_config_selectorIiEEZZNS1_9scan_implILNS1_25lookback_scan_determinismE0ELb0ELb1ES3_N6thrust23THRUST_200600_302600_NS6detail15normal_iteratorINS9_10device_ptrIiEEEESE_iNS9_10multipliesIiEEiEEDaPvRmT3_T4_T5_mT6_P12ihipStream_tbENKUlT_T0_E_clISt17integral_constantIbLb0EESU_EEDaSP_SQ_EUlSP_E0_NS1_11comp_targetILNS1_3genE5ELNS1_11target_archE942ELNS1_3gpuE9ELNS1_3repE0EEENS1_30default_config_static_selectorELNS0_4arch9wavefront6targetE1EEEvT1_ ; -- Begin function _ZN7rocprim17ROCPRIM_400000_NS6detail17trampoline_kernelINS0_14default_configENS1_20scan_config_selectorIiEEZZNS1_9scan_implILNS1_25lookback_scan_determinismE0ELb0ELb1ES3_N6thrust23THRUST_200600_302600_NS6detail15normal_iteratorINS9_10device_ptrIiEEEESE_iNS9_10multipliesIiEEiEEDaPvRmT3_T4_T5_mT6_P12ihipStream_tbENKUlT_T0_E_clISt17integral_constantIbLb0EESU_EEDaSP_SQ_EUlSP_E0_NS1_11comp_targetILNS1_3genE5ELNS1_11target_archE942ELNS1_3gpuE9ELNS1_3repE0EEENS1_30default_config_static_selectorELNS0_4arch9wavefront6targetE1EEEvT1_
	.globl	_ZN7rocprim17ROCPRIM_400000_NS6detail17trampoline_kernelINS0_14default_configENS1_20scan_config_selectorIiEEZZNS1_9scan_implILNS1_25lookback_scan_determinismE0ELb0ELb1ES3_N6thrust23THRUST_200600_302600_NS6detail15normal_iteratorINS9_10device_ptrIiEEEESE_iNS9_10multipliesIiEEiEEDaPvRmT3_T4_T5_mT6_P12ihipStream_tbENKUlT_T0_E_clISt17integral_constantIbLb0EESU_EEDaSP_SQ_EUlSP_E0_NS1_11comp_targetILNS1_3genE5ELNS1_11target_archE942ELNS1_3gpuE9ELNS1_3repE0EEENS1_30default_config_static_selectorELNS0_4arch9wavefront6targetE1EEEvT1_
	.p2align	8
	.type	_ZN7rocprim17ROCPRIM_400000_NS6detail17trampoline_kernelINS0_14default_configENS1_20scan_config_selectorIiEEZZNS1_9scan_implILNS1_25lookback_scan_determinismE0ELb0ELb1ES3_N6thrust23THRUST_200600_302600_NS6detail15normal_iteratorINS9_10device_ptrIiEEEESE_iNS9_10multipliesIiEEiEEDaPvRmT3_T4_T5_mT6_P12ihipStream_tbENKUlT_T0_E_clISt17integral_constantIbLb0EESU_EEDaSP_SQ_EUlSP_E0_NS1_11comp_targetILNS1_3genE5ELNS1_11target_archE942ELNS1_3gpuE9ELNS1_3repE0EEENS1_30default_config_static_selectorELNS0_4arch9wavefront6targetE1EEEvT1_,@function
_ZN7rocprim17ROCPRIM_400000_NS6detail17trampoline_kernelINS0_14default_configENS1_20scan_config_selectorIiEEZZNS1_9scan_implILNS1_25lookback_scan_determinismE0ELb0ELb1ES3_N6thrust23THRUST_200600_302600_NS6detail15normal_iteratorINS9_10device_ptrIiEEEESE_iNS9_10multipliesIiEEiEEDaPvRmT3_T4_T5_mT6_P12ihipStream_tbENKUlT_T0_E_clISt17integral_constantIbLb0EESU_EEDaSP_SQ_EUlSP_E0_NS1_11comp_targetILNS1_3genE5ELNS1_11target_archE942ELNS1_3gpuE9ELNS1_3repE0EEENS1_30default_config_static_selectorELNS0_4arch9wavefront6targetE1EEEvT1_: ; @_ZN7rocprim17ROCPRIM_400000_NS6detail17trampoline_kernelINS0_14default_configENS1_20scan_config_selectorIiEEZZNS1_9scan_implILNS1_25lookback_scan_determinismE0ELb0ELb1ES3_N6thrust23THRUST_200600_302600_NS6detail15normal_iteratorINS9_10device_ptrIiEEEESE_iNS9_10multipliesIiEEiEEDaPvRmT3_T4_T5_mT6_P12ihipStream_tbENKUlT_T0_E_clISt17integral_constantIbLb0EESU_EEDaSP_SQ_EUlSP_E0_NS1_11comp_targetILNS1_3genE5ELNS1_11target_archE942ELNS1_3gpuE9ELNS1_3repE0EEENS1_30default_config_static_selectorELNS0_4arch9wavefront6targetE1EEEvT1_
; %bb.0:
	.section	.rodata,"a",@progbits
	.p2align	6, 0x0
	.amdhsa_kernel _ZN7rocprim17ROCPRIM_400000_NS6detail17trampoline_kernelINS0_14default_configENS1_20scan_config_selectorIiEEZZNS1_9scan_implILNS1_25lookback_scan_determinismE0ELb0ELb1ES3_N6thrust23THRUST_200600_302600_NS6detail15normal_iteratorINS9_10device_ptrIiEEEESE_iNS9_10multipliesIiEEiEEDaPvRmT3_T4_T5_mT6_P12ihipStream_tbENKUlT_T0_E_clISt17integral_constantIbLb0EESU_EEDaSP_SQ_EUlSP_E0_NS1_11comp_targetILNS1_3genE5ELNS1_11target_archE942ELNS1_3gpuE9ELNS1_3repE0EEENS1_30default_config_static_selectorELNS0_4arch9wavefront6targetE1EEEvT1_
		.amdhsa_group_segment_fixed_size 0
		.amdhsa_private_segment_fixed_size 0
		.amdhsa_kernarg_size 32
		.amdhsa_user_sgpr_count 6
		.amdhsa_user_sgpr_private_segment_buffer 1
		.amdhsa_user_sgpr_dispatch_ptr 0
		.amdhsa_user_sgpr_queue_ptr 0
		.amdhsa_user_sgpr_kernarg_segment_ptr 1
		.amdhsa_user_sgpr_dispatch_id 0
		.amdhsa_user_sgpr_flat_scratch_init 0
		.amdhsa_user_sgpr_kernarg_preload_length 0
		.amdhsa_user_sgpr_kernarg_preload_offset 0
		.amdhsa_user_sgpr_private_segment_size 0
		.amdhsa_uses_dynamic_stack 0
		.amdhsa_system_sgpr_private_segment_wavefront_offset 0
		.amdhsa_system_sgpr_workgroup_id_x 1
		.amdhsa_system_sgpr_workgroup_id_y 0
		.amdhsa_system_sgpr_workgroup_id_z 0
		.amdhsa_system_sgpr_workgroup_info 0
		.amdhsa_system_vgpr_workitem_id 0
		.amdhsa_next_free_vgpr 1
		.amdhsa_next_free_sgpr 0
		.amdhsa_accum_offset 4
		.amdhsa_reserve_vcc 0
		.amdhsa_reserve_flat_scratch 0
		.amdhsa_float_round_mode_32 0
		.amdhsa_float_round_mode_16_64 0
		.amdhsa_float_denorm_mode_32 3
		.amdhsa_float_denorm_mode_16_64 3
		.amdhsa_dx10_clamp 1
		.amdhsa_ieee_mode 1
		.amdhsa_fp16_overflow 0
		.amdhsa_tg_split 0
		.amdhsa_exception_fp_ieee_invalid_op 0
		.amdhsa_exception_fp_denorm_src 0
		.amdhsa_exception_fp_ieee_div_zero 0
		.amdhsa_exception_fp_ieee_overflow 0
		.amdhsa_exception_fp_ieee_underflow 0
		.amdhsa_exception_fp_ieee_inexact 0
		.amdhsa_exception_int_div_zero 0
	.end_amdhsa_kernel
	.section	.text._ZN7rocprim17ROCPRIM_400000_NS6detail17trampoline_kernelINS0_14default_configENS1_20scan_config_selectorIiEEZZNS1_9scan_implILNS1_25lookback_scan_determinismE0ELb0ELb1ES3_N6thrust23THRUST_200600_302600_NS6detail15normal_iteratorINS9_10device_ptrIiEEEESE_iNS9_10multipliesIiEEiEEDaPvRmT3_T4_T5_mT6_P12ihipStream_tbENKUlT_T0_E_clISt17integral_constantIbLb0EESU_EEDaSP_SQ_EUlSP_E0_NS1_11comp_targetILNS1_3genE5ELNS1_11target_archE942ELNS1_3gpuE9ELNS1_3repE0EEENS1_30default_config_static_selectorELNS0_4arch9wavefront6targetE1EEEvT1_,"axG",@progbits,_ZN7rocprim17ROCPRIM_400000_NS6detail17trampoline_kernelINS0_14default_configENS1_20scan_config_selectorIiEEZZNS1_9scan_implILNS1_25lookback_scan_determinismE0ELb0ELb1ES3_N6thrust23THRUST_200600_302600_NS6detail15normal_iteratorINS9_10device_ptrIiEEEESE_iNS9_10multipliesIiEEiEEDaPvRmT3_T4_T5_mT6_P12ihipStream_tbENKUlT_T0_E_clISt17integral_constantIbLb0EESU_EEDaSP_SQ_EUlSP_E0_NS1_11comp_targetILNS1_3genE5ELNS1_11target_archE942ELNS1_3gpuE9ELNS1_3repE0EEENS1_30default_config_static_selectorELNS0_4arch9wavefront6targetE1EEEvT1_,comdat
.Lfunc_end598:
	.size	_ZN7rocprim17ROCPRIM_400000_NS6detail17trampoline_kernelINS0_14default_configENS1_20scan_config_selectorIiEEZZNS1_9scan_implILNS1_25lookback_scan_determinismE0ELb0ELb1ES3_N6thrust23THRUST_200600_302600_NS6detail15normal_iteratorINS9_10device_ptrIiEEEESE_iNS9_10multipliesIiEEiEEDaPvRmT3_T4_T5_mT6_P12ihipStream_tbENKUlT_T0_E_clISt17integral_constantIbLb0EESU_EEDaSP_SQ_EUlSP_E0_NS1_11comp_targetILNS1_3genE5ELNS1_11target_archE942ELNS1_3gpuE9ELNS1_3repE0EEENS1_30default_config_static_selectorELNS0_4arch9wavefront6targetE1EEEvT1_, .Lfunc_end598-_ZN7rocprim17ROCPRIM_400000_NS6detail17trampoline_kernelINS0_14default_configENS1_20scan_config_selectorIiEEZZNS1_9scan_implILNS1_25lookback_scan_determinismE0ELb0ELb1ES3_N6thrust23THRUST_200600_302600_NS6detail15normal_iteratorINS9_10device_ptrIiEEEESE_iNS9_10multipliesIiEEiEEDaPvRmT3_T4_T5_mT6_P12ihipStream_tbENKUlT_T0_E_clISt17integral_constantIbLb0EESU_EEDaSP_SQ_EUlSP_E0_NS1_11comp_targetILNS1_3genE5ELNS1_11target_archE942ELNS1_3gpuE9ELNS1_3repE0EEENS1_30default_config_static_selectorELNS0_4arch9wavefront6targetE1EEEvT1_
                                        ; -- End function
	.section	.AMDGPU.csdata,"",@progbits
; Kernel info:
; codeLenInByte = 0
; NumSgprs: 4
; NumVgprs: 0
; NumAgprs: 0
; TotalNumVgprs: 0
; ScratchSize: 0
; MemoryBound: 0
; FloatMode: 240
; IeeeMode: 1
; LDSByteSize: 0 bytes/workgroup (compile time only)
; SGPRBlocks: 0
; VGPRBlocks: 0
; NumSGPRsForWavesPerEU: 4
; NumVGPRsForWavesPerEU: 1
; AccumOffset: 4
; Occupancy: 8
; WaveLimiterHint : 0
; COMPUTE_PGM_RSRC2:SCRATCH_EN: 0
; COMPUTE_PGM_RSRC2:USER_SGPR: 6
; COMPUTE_PGM_RSRC2:TRAP_HANDLER: 0
; COMPUTE_PGM_RSRC2:TGID_X_EN: 1
; COMPUTE_PGM_RSRC2:TGID_Y_EN: 0
; COMPUTE_PGM_RSRC2:TGID_Z_EN: 0
; COMPUTE_PGM_RSRC2:TIDIG_COMP_CNT: 0
; COMPUTE_PGM_RSRC3_GFX90A:ACCUM_OFFSET: 0
; COMPUTE_PGM_RSRC3_GFX90A:TG_SPLIT: 0
	.section	.text._ZN7rocprim17ROCPRIM_400000_NS6detail17trampoline_kernelINS0_14default_configENS1_20scan_config_selectorIiEEZZNS1_9scan_implILNS1_25lookback_scan_determinismE0ELb0ELb1ES3_N6thrust23THRUST_200600_302600_NS6detail15normal_iteratorINS9_10device_ptrIiEEEESE_iNS9_10multipliesIiEEiEEDaPvRmT3_T4_T5_mT6_P12ihipStream_tbENKUlT_T0_E_clISt17integral_constantIbLb0EESU_EEDaSP_SQ_EUlSP_E0_NS1_11comp_targetILNS1_3genE4ELNS1_11target_archE910ELNS1_3gpuE8ELNS1_3repE0EEENS1_30default_config_static_selectorELNS0_4arch9wavefront6targetE1EEEvT1_,"axG",@progbits,_ZN7rocprim17ROCPRIM_400000_NS6detail17trampoline_kernelINS0_14default_configENS1_20scan_config_selectorIiEEZZNS1_9scan_implILNS1_25lookback_scan_determinismE0ELb0ELb1ES3_N6thrust23THRUST_200600_302600_NS6detail15normal_iteratorINS9_10device_ptrIiEEEESE_iNS9_10multipliesIiEEiEEDaPvRmT3_T4_T5_mT6_P12ihipStream_tbENKUlT_T0_E_clISt17integral_constantIbLb0EESU_EEDaSP_SQ_EUlSP_E0_NS1_11comp_targetILNS1_3genE4ELNS1_11target_archE910ELNS1_3gpuE8ELNS1_3repE0EEENS1_30default_config_static_selectorELNS0_4arch9wavefront6targetE1EEEvT1_,comdat
	.protected	_ZN7rocprim17ROCPRIM_400000_NS6detail17trampoline_kernelINS0_14default_configENS1_20scan_config_selectorIiEEZZNS1_9scan_implILNS1_25lookback_scan_determinismE0ELb0ELb1ES3_N6thrust23THRUST_200600_302600_NS6detail15normal_iteratorINS9_10device_ptrIiEEEESE_iNS9_10multipliesIiEEiEEDaPvRmT3_T4_T5_mT6_P12ihipStream_tbENKUlT_T0_E_clISt17integral_constantIbLb0EESU_EEDaSP_SQ_EUlSP_E0_NS1_11comp_targetILNS1_3genE4ELNS1_11target_archE910ELNS1_3gpuE8ELNS1_3repE0EEENS1_30default_config_static_selectorELNS0_4arch9wavefront6targetE1EEEvT1_ ; -- Begin function _ZN7rocprim17ROCPRIM_400000_NS6detail17trampoline_kernelINS0_14default_configENS1_20scan_config_selectorIiEEZZNS1_9scan_implILNS1_25lookback_scan_determinismE0ELb0ELb1ES3_N6thrust23THRUST_200600_302600_NS6detail15normal_iteratorINS9_10device_ptrIiEEEESE_iNS9_10multipliesIiEEiEEDaPvRmT3_T4_T5_mT6_P12ihipStream_tbENKUlT_T0_E_clISt17integral_constantIbLb0EESU_EEDaSP_SQ_EUlSP_E0_NS1_11comp_targetILNS1_3genE4ELNS1_11target_archE910ELNS1_3gpuE8ELNS1_3repE0EEENS1_30default_config_static_selectorELNS0_4arch9wavefront6targetE1EEEvT1_
	.globl	_ZN7rocprim17ROCPRIM_400000_NS6detail17trampoline_kernelINS0_14default_configENS1_20scan_config_selectorIiEEZZNS1_9scan_implILNS1_25lookback_scan_determinismE0ELb0ELb1ES3_N6thrust23THRUST_200600_302600_NS6detail15normal_iteratorINS9_10device_ptrIiEEEESE_iNS9_10multipliesIiEEiEEDaPvRmT3_T4_T5_mT6_P12ihipStream_tbENKUlT_T0_E_clISt17integral_constantIbLb0EESU_EEDaSP_SQ_EUlSP_E0_NS1_11comp_targetILNS1_3genE4ELNS1_11target_archE910ELNS1_3gpuE8ELNS1_3repE0EEENS1_30default_config_static_selectorELNS0_4arch9wavefront6targetE1EEEvT1_
	.p2align	8
	.type	_ZN7rocprim17ROCPRIM_400000_NS6detail17trampoline_kernelINS0_14default_configENS1_20scan_config_selectorIiEEZZNS1_9scan_implILNS1_25lookback_scan_determinismE0ELb0ELb1ES3_N6thrust23THRUST_200600_302600_NS6detail15normal_iteratorINS9_10device_ptrIiEEEESE_iNS9_10multipliesIiEEiEEDaPvRmT3_T4_T5_mT6_P12ihipStream_tbENKUlT_T0_E_clISt17integral_constantIbLb0EESU_EEDaSP_SQ_EUlSP_E0_NS1_11comp_targetILNS1_3genE4ELNS1_11target_archE910ELNS1_3gpuE8ELNS1_3repE0EEENS1_30default_config_static_selectorELNS0_4arch9wavefront6targetE1EEEvT1_,@function
_ZN7rocprim17ROCPRIM_400000_NS6detail17trampoline_kernelINS0_14default_configENS1_20scan_config_selectorIiEEZZNS1_9scan_implILNS1_25lookback_scan_determinismE0ELb0ELb1ES3_N6thrust23THRUST_200600_302600_NS6detail15normal_iteratorINS9_10device_ptrIiEEEESE_iNS9_10multipliesIiEEiEEDaPvRmT3_T4_T5_mT6_P12ihipStream_tbENKUlT_T0_E_clISt17integral_constantIbLb0EESU_EEDaSP_SQ_EUlSP_E0_NS1_11comp_targetILNS1_3genE4ELNS1_11target_archE910ELNS1_3gpuE8ELNS1_3repE0EEENS1_30default_config_static_selectorELNS0_4arch9wavefront6targetE1EEEvT1_: ; @_ZN7rocprim17ROCPRIM_400000_NS6detail17trampoline_kernelINS0_14default_configENS1_20scan_config_selectorIiEEZZNS1_9scan_implILNS1_25lookback_scan_determinismE0ELb0ELb1ES3_N6thrust23THRUST_200600_302600_NS6detail15normal_iteratorINS9_10device_ptrIiEEEESE_iNS9_10multipliesIiEEiEEDaPvRmT3_T4_T5_mT6_P12ihipStream_tbENKUlT_T0_E_clISt17integral_constantIbLb0EESU_EEDaSP_SQ_EUlSP_E0_NS1_11comp_targetILNS1_3genE4ELNS1_11target_archE910ELNS1_3gpuE8ELNS1_3repE0EEENS1_30default_config_static_selectorELNS0_4arch9wavefront6targetE1EEEvT1_
; %bb.0:
	s_load_dwordx4 s[20:23], s[4:5], 0x0
	v_lshlrev_b32_e32 v18, 2, v0
	s_waitcnt lgkmcnt(0)
	s_load_dword s23, s[20:21], 0x0
	v_cmp_gt_u32_e32 vcc, s22, v0
	s_waitcnt lgkmcnt(0)
	v_mov_b32_e32 v1, s23
	s_and_saveexec_b64 s[0:1], vcc
	s_cbranch_execz .LBB599_2
; %bb.1:
	global_load_dword v1, v18, s[20:21]
.LBB599_2:
	s_or_b64 exec, exec, s[0:1]
	v_or_b32_e32 v2, 0x80, v0
	v_cmp_gt_u32_e64 s[0:1], s22, v2
	v_mov_b32_e32 v2, s23
	s_and_saveexec_b64 s[2:3], s[0:1]
	s_cbranch_execz .LBB599_4
; %bb.3:
	global_load_dword v2, v18, s[20:21] offset:512
.LBB599_4:
	s_or_b64 exec, exec, s[2:3]
	v_or_b32_e32 v3, 0x100, v0
	v_cmp_gt_u32_e64 s[2:3], s22, v3
	v_mov_b32_e32 v3, s23
	s_and_saveexec_b64 s[6:7], s[2:3]
	s_cbranch_execz .LBB599_6
; %bb.5:
	global_load_dword v3, v18, s[20:21] offset:1024
.LBB599_6:
	;; [unrolled: 9-line block ×7, first 2 shown]
	s_or_b64 exec, exec, s[14:15]
	v_or_b32_e32 v10, 0x400, v0
	v_cmp_gt_u32_e64 s[14:15], s22, v10
	v_mov_b32_e32 v9, s23
	s_and_saveexec_b64 s[16:17], s[14:15]
	s_cbranch_execz .LBB599_18
; %bb.17:
	v_lshlrev_b32_e32 v9, 2, v10
	global_load_dword v9, v9, s[20:21]
.LBB599_18:
	s_or_b64 exec, exec, s[16:17]
	v_or_b32_e32 v11, 0x480, v0
	v_cmp_gt_u32_e64 s[16:17], s22, v11
	v_mov_b32_e32 v10, s23
	s_and_saveexec_b64 s[22:23], s[16:17]
	s_cbranch_execz .LBB599_20
; %bb.19:
	v_lshlrev_b32_e32 v10, 2, v11
	global_load_dword v10, v10, s[20:21]
.LBB599_20:
	s_or_b64 exec, exec, s[22:23]
	s_waitcnt vmcnt(0)
	ds_write2st64_b32 v18, v1, v2 offset1:2
	ds_write2st64_b32 v18, v3, v4 offset0:4 offset1:6
	ds_write2st64_b32 v18, v5, v6 offset0:8 offset1:10
	ds_write2st64_b32 v18, v7, v8 offset0:12 offset1:14
	ds_write2st64_b32 v18, v9, v10 offset0:16 offset1:18
	v_mad_u32_u24 v1, v0, 36, v18
	s_waitcnt lgkmcnt(0)
	s_barrier
	ds_read2_b64 v[6:9], v1 offset1:1
	ds_read2_b64 v[2:5], v1 offset0:2 offset1:3
	ds_read_b64 v[10:11], v1 offset:32
	v_lshrrev_b32_e32 v20, 3, v0
	v_and_b32_e32 v20, 12, v20
	s_waitcnt lgkmcnt(2)
	v_mul_lo_u32 v1, v7, v6
	v_mul_lo_u32 v12, v1, v8
	;; [unrolled: 1-line block ×3, first 2 shown]
	s_waitcnt lgkmcnt(1)
	v_mul_lo_u32 v14, v13, v2
	v_mul_lo_u32 v17, v14, v3
	;; [unrolled: 1-line block ×4, first 2 shown]
	s_waitcnt lgkmcnt(0)
	v_mul_lo_u32 v19, v15, v10
	v_mul_lo_u32 v19, v19, v11
	v_add_u32_e32 v20, v18, v20
	v_cmp_gt_u32_e64 s[20:21], 64, v0
	s_barrier
	ds_write_b32 v20, v19
	s_waitcnt lgkmcnt(0)
	s_barrier
	s_and_saveexec_b64 s[22:23], s[20:21]
	s_cbranch_execz .LBB599_22
; %bb.21:
	v_lshlrev_b32_e32 v20, 1, v0
	v_lshrrev_b32_e32 v21, 4, v0
	v_add_lshl_u32 v22, v21, v20, 2
	ds_read2_b32 v[20:21], v22 offset1:1
	v_mbcnt_lo_u32_b32 v23, -1, 0
	v_mbcnt_hi_u32_b32 v23, -1, v23
	v_and_b32_e32 v24, 15, v23
	v_cmp_ne_u32_e64 s[20:21], 0, v24
	s_waitcnt lgkmcnt(0)
	v_mul_lo_u32 v21, v21, v20
	; wave barrier
	s_nop 1
	v_mov_b32_dpp v25, v21 row_shr:1 row_mask:0xf bank_mask:0xf
	v_cndmask_b32_e64 v25, 1, v25, s[20:21]
	v_mul_lo_u32 v21, v25, v21
	v_cmp_lt_u32_e64 s[20:21], 1, v24
	s_nop 0
	v_mov_b32_dpp v25, v21 row_shr:2 row_mask:0xf bank_mask:0xf
	v_cndmask_b32_e64 v25, 1, v25, s[20:21]
	v_mul_lo_u32 v21, v21, v25
	v_cmp_lt_u32_e64 s[20:21], 3, v24
	;; [unrolled: 5-line block ×3, first 2 shown]
	s_nop 0
	v_mov_b32_dpp v25, v21 row_shr:8 row_mask:0xf bank_mask:0xf
	v_cndmask_b32_e64 v24, 1, v25, s[20:21]
	v_mul_lo_u32 v21, v21, v24
	v_and_b32_e32 v25, 16, v23
	v_cmp_ne_u32_e64 s[20:21], 0, v25
	v_mov_b32_dpp v24, v21 row_bcast:15 row_mask:0xf bank_mask:0xf
	v_cndmask_b32_e64 v24, 1, v24, s[20:21]
	v_mul_lo_u32 v21, v21, v24
	v_cmp_lt_u32_e64 s[20:21], 31, v23
	v_and_b32_e32 v25, 64, v23
	v_mov_b32_dpp v24, v21 row_bcast:31 row_mask:0xf bank_mask:0xf
	v_cndmask_b32_e64 v24, 1, v24, s[20:21]
	v_mul_lo_u32 v21, v21, v24
	v_add_u32_e32 v24, -1, v23
	v_cmp_lt_i32_e64 s[20:21], v24, v25
	v_cndmask_b32_e64 v23, v24, v23, s[20:21]
	v_lshlrev_b32_e32 v23, 2, v23
	ds_bpermute_b32 v21, v23, v21
	v_cmp_eq_u32_e64 s[20:21], 0, v0
	s_waitcnt lgkmcnt(0)
	v_mul_lo_u32 v20, v21, v20
	v_cndmask_b32_e64 v20, v20, v19, s[20:21]
	ds_write_b32 v22, v20
	; wave barrier
	ds_read_b32 v21, v22 offset:4
	s_waitcnt lgkmcnt(0)
	v_mul_lo_u32 v20, v21, v20
	ds_write_b32 v22, v20 offset:4
.LBB599_22:
	s_or_b64 exec, exec, s[22:23]
	s_load_dwordx2 s[22:23], s[4:5], 0x18
	v_cmp_ne_u32_e64 s[20:21], 0, v0
	s_waitcnt lgkmcnt(0)
	s_barrier
	s_and_saveexec_b64 s[24:25], s[20:21]
	s_cbranch_execz .LBB599_24
; %bb.23:
	v_add_u32_e32 v19, -1, v0
	v_lshrrev_b32_e32 v20, 5, v19
	v_add_lshl_u32 v19, v20, v19, 2
	ds_read_b32 v19, v19
.LBB599_24:
	s_or_b64 exec, exec, s[24:25]
	s_load_dword s24, s[4:5], 0x10
	v_mul_u32_u24_e32 v20, 36, v0
	v_mov_b32_e32 v0, v6
	s_and_saveexec_b64 s[4:5], s[20:21]
	s_cbranch_execz .LBB599_26
; %bb.25:
	s_waitcnt lgkmcnt(0)
	v_mul_lo_u32 v0, v19, v6
	v_mul_lo_u32 v1, v0, v7
	;; [unrolled: 1-line block ×8, first 2 shown]
	;;#ASMSTART
	;;#ASMEND
.LBB599_26:
	s_or_b64 exec, exec, s[4:5]
	s_waitcnt lgkmcnt(0)
	v_mul_lo_u32 v8, v10, s24
	v_mul_lo_u32 v8, v8, v15
	;; [unrolled: 1-line block ×11, first 2 shown]
	v_add_u32_e32 v10, v18, v20
	s_barrier
	ds_write2_b64 v10, v[0:1], v[2:3] offset1:1
	ds_write2_b64 v10, v[4:5], v[6:7] offset0:2 offset1:3
	ds_write_b64 v10, v[8:9] offset:32
	s_waitcnt lgkmcnt(0)
	s_barrier
	ds_read2st64_b32 v[8:9], v18 offset0:2 offset1:4
	ds_read2st64_b32 v[6:7], v18 offset0:6 offset1:8
	;; [unrolled: 1-line block ×4, first 2 shown]
	ds_read_b32 v10, v18 offset:4608
	v_mov_b32_e32 v1, s23
	v_add_co_u32_e64 v0, s[4:5], s22, v18
	v_addc_co_u32_e64 v1, s[4:5], 0, v1, s[4:5]
	s_and_saveexec_b64 s[4:5], vcc
	s_cbranch_execnz .LBB599_37
; %bb.27:
	s_or_b64 exec, exec, s[4:5]
	s_and_saveexec_b64 s[4:5], s[0:1]
	s_cbranch_execnz .LBB599_38
.LBB599_28:
	s_or_b64 exec, exec, s[4:5]
	s_and_saveexec_b64 s[0:1], s[2:3]
	s_cbranch_execnz .LBB599_39
.LBB599_29:
	s_or_b64 exec, exec, s[0:1]
	s_and_saveexec_b64 s[0:1], s[18:19]
	s_cbranch_execnz .LBB599_40
.LBB599_30:
	s_or_b64 exec, exec, s[0:1]
	s_and_saveexec_b64 s[0:1], s[6:7]
	s_cbranch_execnz .LBB599_41
.LBB599_31:
	s_or_b64 exec, exec, s[0:1]
	s_and_saveexec_b64 s[0:1], s[8:9]
	s_cbranch_execnz .LBB599_42
.LBB599_32:
	s_or_b64 exec, exec, s[0:1]
	s_and_saveexec_b64 s[0:1], s[10:11]
	s_cbranch_execnz .LBB599_43
.LBB599_33:
	s_or_b64 exec, exec, s[0:1]
	s_and_saveexec_b64 s[0:1], s[12:13]
	s_cbranch_execnz .LBB599_44
.LBB599_34:
	s_or_b64 exec, exec, s[0:1]
	s_and_saveexec_b64 s[0:1], s[14:15]
	s_cbranch_execnz .LBB599_45
.LBB599_35:
	s_or_b64 exec, exec, s[0:1]
	s_and_saveexec_b64 s[0:1], s[16:17]
	s_cbranch_execnz .LBB599_46
.LBB599_36:
	s_endpgm
.LBB599_37:
	ds_read_b32 v11, v18
	s_waitcnt lgkmcnt(0)
	global_store_dword v[0:1], v11, off
	s_or_b64 exec, exec, s[4:5]
	s_and_saveexec_b64 s[4:5], s[0:1]
	s_cbranch_execz .LBB599_28
.LBB599_38:
	s_waitcnt lgkmcnt(4)
	global_store_dword v[0:1], v8, off offset:512
	s_or_b64 exec, exec, s[4:5]
	s_and_saveexec_b64 s[0:1], s[2:3]
	s_cbranch_execz .LBB599_29
.LBB599_39:
	s_waitcnt lgkmcnt(4)
	global_store_dword v[0:1], v9, off offset:1024
	s_or_b64 exec, exec, s[0:1]
	s_and_saveexec_b64 s[0:1], s[18:19]
	s_cbranch_execz .LBB599_30
.LBB599_40:
	s_waitcnt lgkmcnt(3)
	global_store_dword v[0:1], v6, off offset:1536
	s_or_b64 exec, exec, s[0:1]
	s_and_saveexec_b64 s[0:1], s[6:7]
	s_cbranch_execz .LBB599_31
.LBB599_41:
	s_waitcnt lgkmcnt(3)
	global_store_dword v[0:1], v7, off offset:2048
	s_or_b64 exec, exec, s[0:1]
	s_and_saveexec_b64 s[0:1], s[8:9]
	s_cbranch_execz .LBB599_32
.LBB599_42:
	s_waitcnt lgkmcnt(2)
	global_store_dword v[0:1], v4, off offset:2560
	s_or_b64 exec, exec, s[0:1]
	s_and_saveexec_b64 s[0:1], s[10:11]
	s_cbranch_execz .LBB599_33
.LBB599_43:
	s_waitcnt lgkmcnt(2)
	global_store_dword v[0:1], v5, off offset:3072
	s_or_b64 exec, exec, s[0:1]
	s_and_saveexec_b64 s[0:1], s[12:13]
	s_cbranch_execz .LBB599_34
.LBB599_44:
	s_waitcnt lgkmcnt(1)
	global_store_dword v[0:1], v2, off offset:3584
	s_or_b64 exec, exec, s[0:1]
	s_and_saveexec_b64 s[0:1], s[14:15]
	s_cbranch_execz .LBB599_35
.LBB599_45:
	s_waitcnt lgkmcnt(2)
	v_add_co_u32_e32 v4, vcc, 0x1000, v0
	v_addc_co_u32_e32 v5, vcc, 0, v1, vcc
	s_waitcnt lgkmcnt(1)
	global_store_dword v[4:5], v3, off
	s_or_b64 exec, exec, s[0:1]
	s_and_saveexec_b64 s[0:1], s[16:17]
	s_cbranch_execz .LBB599_36
.LBB599_46:
	v_add_co_u32_e32 v0, vcc, 0x1000, v0
	v_addc_co_u32_e32 v1, vcc, 0, v1, vcc
	s_waitcnt lgkmcnt(0)
	global_store_dword v[0:1], v10, off offset:512
	s_endpgm
	.section	.rodata,"a",@progbits
	.p2align	6, 0x0
	.amdhsa_kernel _ZN7rocprim17ROCPRIM_400000_NS6detail17trampoline_kernelINS0_14default_configENS1_20scan_config_selectorIiEEZZNS1_9scan_implILNS1_25lookback_scan_determinismE0ELb0ELb1ES3_N6thrust23THRUST_200600_302600_NS6detail15normal_iteratorINS9_10device_ptrIiEEEESE_iNS9_10multipliesIiEEiEEDaPvRmT3_T4_T5_mT6_P12ihipStream_tbENKUlT_T0_E_clISt17integral_constantIbLb0EESU_EEDaSP_SQ_EUlSP_E0_NS1_11comp_targetILNS1_3genE4ELNS1_11target_archE910ELNS1_3gpuE8ELNS1_3repE0EEENS1_30default_config_static_selectorELNS0_4arch9wavefront6targetE1EEEvT1_
		.amdhsa_group_segment_fixed_size 5120
		.amdhsa_private_segment_fixed_size 0
		.amdhsa_kernarg_size 32
		.amdhsa_user_sgpr_count 6
		.amdhsa_user_sgpr_private_segment_buffer 1
		.amdhsa_user_sgpr_dispatch_ptr 0
		.amdhsa_user_sgpr_queue_ptr 0
		.amdhsa_user_sgpr_kernarg_segment_ptr 1
		.amdhsa_user_sgpr_dispatch_id 0
		.amdhsa_user_sgpr_flat_scratch_init 0
		.amdhsa_user_sgpr_kernarg_preload_length 0
		.amdhsa_user_sgpr_kernarg_preload_offset 0
		.amdhsa_user_sgpr_private_segment_size 0
		.amdhsa_uses_dynamic_stack 0
		.amdhsa_system_sgpr_private_segment_wavefront_offset 0
		.amdhsa_system_sgpr_workgroup_id_x 1
		.amdhsa_system_sgpr_workgroup_id_y 0
		.amdhsa_system_sgpr_workgroup_id_z 0
		.amdhsa_system_sgpr_workgroup_info 0
		.amdhsa_system_vgpr_workitem_id 0
		.amdhsa_next_free_vgpr 26
		.amdhsa_next_free_sgpr 26
		.amdhsa_accum_offset 28
		.amdhsa_reserve_vcc 1
		.amdhsa_reserve_flat_scratch 0
		.amdhsa_float_round_mode_32 0
		.amdhsa_float_round_mode_16_64 0
		.amdhsa_float_denorm_mode_32 3
		.amdhsa_float_denorm_mode_16_64 3
		.amdhsa_dx10_clamp 1
		.amdhsa_ieee_mode 1
		.amdhsa_fp16_overflow 0
		.amdhsa_tg_split 0
		.amdhsa_exception_fp_ieee_invalid_op 0
		.amdhsa_exception_fp_denorm_src 0
		.amdhsa_exception_fp_ieee_div_zero 0
		.amdhsa_exception_fp_ieee_overflow 0
		.amdhsa_exception_fp_ieee_underflow 0
		.amdhsa_exception_fp_ieee_inexact 0
		.amdhsa_exception_int_div_zero 0
	.end_amdhsa_kernel
	.section	.text._ZN7rocprim17ROCPRIM_400000_NS6detail17trampoline_kernelINS0_14default_configENS1_20scan_config_selectorIiEEZZNS1_9scan_implILNS1_25lookback_scan_determinismE0ELb0ELb1ES3_N6thrust23THRUST_200600_302600_NS6detail15normal_iteratorINS9_10device_ptrIiEEEESE_iNS9_10multipliesIiEEiEEDaPvRmT3_T4_T5_mT6_P12ihipStream_tbENKUlT_T0_E_clISt17integral_constantIbLb0EESU_EEDaSP_SQ_EUlSP_E0_NS1_11comp_targetILNS1_3genE4ELNS1_11target_archE910ELNS1_3gpuE8ELNS1_3repE0EEENS1_30default_config_static_selectorELNS0_4arch9wavefront6targetE1EEEvT1_,"axG",@progbits,_ZN7rocprim17ROCPRIM_400000_NS6detail17trampoline_kernelINS0_14default_configENS1_20scan_config_selectorIiEEZZNS1_9scan_implILNS1_25lookback_scan_determinismE0ELb0ELb1ES3_N6thrust23THRUST_200600_302600_NS6detail15normal_iteratorINS9_10device_ptrIiEEEESE_iNS9_10multipliesIiEEiEEDaPvRmT3_T4_T5_mT6_P12ihipStream_tbENKUlT_T0_E_clISt17integral_constantIbLb0EESU_EEDaSP_SQ_EUlSP_E0_NS1_11comp_targetILNS1_3genE4ELNS1_11target_archE910ELNS1_3gpuE8ELNS1_3repE0EEENS1_30default_config_static_selectorELNS0_4arch9wavefront6targetE1EEEvT1_,comdat
.Lfunc_end599:
	.size	_ZN7rocprim17ROCPRIM_400000_NS6detail17trampoline_kernelINS0_14default_configENS1_20scan_config_selectorIiEEZZNS1_9scan_implILNS1_25lookback_scan_determinismE0ELb0ELb1ES3_N6thrust23THRUST_200600_302600_NS6detail15normal_iteratorINS9_10device_ptrIiEEEESE_iNS9_10multipliesIiEEiEEDaPvRmT3_T4_T5_mT6_P12ihipStream_tbENKUlT_T0_E_clISt17integral_constantIbLb0EESU_EEDaSP_SQ_EUlSP_E0_NS1_11comp_targetILNS1_3genE4ELNS1_11target_archE910ELNS1_3gpuE8ELNS1_3repE0EEENS1_30default_config_static_selectorELNS0_4arch9wavefront6targetE1EEEvT1_, .Lfunc_end599-_ZN7rocprim17ROCPRIM_400000_NS6detail17trampoline_kernelINS0_14default_configENS1_20scan_config_selectorIiEEZZNS1_9scan_implILNS1_25lookback_scan_determinismE0ELb0ELb1ES3_N6thrust23THRUST_200600_302600_NS6detail15normal_iteratorINS9_10device_ptrIiEEEESE_iNS9_10multipliesIiEEiEEDaPvRmT3_T4_T5_mT6_P12ihipStream_tbENKUlT_T0_E_clISt17integral_constantIbLb0EESU_EEDaSP_SQ_EUlSP_E0_NS1_11comp_targetILNS1_3genE4ELNS1_11target_archE910ELNS1_3gpuE8ELNS1_3repE0EEENS1_30default_config_static_selectorELNS0_4arch9wavefront6targetE1EEEvT1_
                                        ; -- End function
	.section	.AMDGPU.csdata,"",@progbits
; Kernel info:
; codeLenInByte = 1748
; NumSgprs: 30
; NumVgprs: 26
; NumAgprs: 0
; TotalNumVgprs: 26
; ScratchSize: 0
; MemoryBound: 0
; FloatMode: 240
; IeeeMode: 1
; LDSByteSize: 5120 bytes/workgroup (compile time only)
; SGPRBlocks: 3
; VGPRBlocks: 3
; NumSGPRsForWavesPerEU: 30
; NumVGPRsForWavesPerEU: 26
; AccumOffset: 28
; Occupancy: 6
; WaveLimiterHint : 0
; COMPUTE_PGM_RSRC2:SCRATCH_EN: 0
; COMPUTE_PGM_RSRC2:USER_SGPR: 6
; COMPUTE_PGM_RSRC2:TRAP_HANDLER: 0
; COMPUTE_PGM_RSRC2:TGID_X_EN: 1
; COMPUTE_PGM_RSRC2:TGID_Y_EN: 0
; COMPUTE_PGM_RSRC2:TGID_Z_EN: 0
; COMPUTE_PGM_RSRC2:TIDIG_COMP_CNT: 0
; COMPUTE_PGM_RSRC3_GFX90A:ACCUM_OFFSET: 6
; COMPUTE_PGM_RSRC3_GFX90A:TG_SPLIT: 0
	.section	.text._ZN7rocprim17ROCPRIM_400000_NS6detail17trampoline_kernelINS0_14default_configENS1_20scan_config_selectorIiEEZZNS1_9scan_implILNS1_25lookback_scan_determinismE0ELb0ELb1ES3_N6thrust23THRUST_200600_302600_NS6detail15normal_iteratorINS9_10device_ptrIiEEEESE_iNS9_10multipliesIiEEiEEDaPvRmT3_T4_T5_mT6_P12ihipStream_tbENKUlT_T0_E_clISt17integral_constantIbLb0EESU_EEDaSP_SQ_EUlSP_E0_NS1_11comp_targetILNS1_3genE3ELNS1_11target_archE908ELNS1_3gpuE7ELNS1_3repE0EEENS1_30default_config_static_selectorELNS0_4arch9wavefront6targetE1EEEvT1_,"axG",@progbits,_ZN7rocprim17ROCPRIM_400000_NS6detail17trampoline_kernelINS0_14default_configENS1_20scan_config_selectorIiEEZZNS1_9scan_implILNS1_25lookback_scan_determinismE0ELb0ELb1ES3_N6thrust23THRUST_200600_302600_NS6detail15normal_iteratorINS9_10device_ptrIiEEEESE_iNS9_10multipliesIiEEiEEDaPvRmT3_T4_T5_mT6_P12ihipStream_tbENKUlT_T0_E_clISt17integral_constantIbLb0EESU_EEDaSP_SQ_EUlSP_E0_NS1_11comp_targetILNS1_3genE3ELNS1_11target_archE908ELNS1_3gpuE7ELNS1_3repE0EEENS1_30default_config_static_selectorELNS0_4arch9wavefront6targetE1EEEvT1_,comdat
	.protected	_ZN7rocprim17ROCPRIM_400000_NS6detail17trampoline_kernelINS0_14default_configENS1_20scan_config_selectorIiEEZZNS1_9scan_implILNS1_25lookback_scan_determinismE0ELb0ELb1ES3_N6thrust23THRUST_200600_302600_NS6detail15normal_iteratorINS9_10device_ptrIiEEEESE_iNS9_10multipliesIiEEiEEDaPvRmT3_T4_T5_mT6_P12ihipStream_tbENKUlT_T0_E_clISt17integral_constantIbLb0EESU_EEDaSP_SQ_EUlSP_E0_NS1_11comp_targetILNS1_3genE3ELNS1_11target_archE908ELNS1_3gpuE7ELNS1_3repE0EEENS1_30default_config_static_selectorELNS0_4arch9wavefront6targetE1EEEvT1_ ; -- Begin function _ZN7rocprim17ROCPRIM_400000_NS6detail17trampoline_kernelINS0_14default_configENS1_20scan_config_selectorIiEEZZNS1_9scan_implILNS1_25lookback_scan_determinismE0ELb0ELb1ES3_N6thrust23THRUST_200600_302600_NS6detail15normal_iteratorINS9_10device_ptrIiEEEESE_iNS9_10multipliesIiEEiEEDaPvRmT3_T4_T5_mT6_P12ihipStream_tbENKUlT_T0_E_clISt17integral_constantIbLb0EESU_EEDaSP_SQ_EUlSP_E0_NS1_11comp_targetILNS1_3genE3ELNS1_11target_archE908ELNS1_3gpuE7ELNS1_3repE0EEENS1_30default_config_static_selectorELNS0_4arch9wavefront6targetE1EEEvT1_
	.globl	_ZN7rocprim17ROCPRIM_400000_NS6detail17trampoline_kernelINS0_14default_configENS1_20scan_config_selectorIiEEZZNS1_9scan_implILNS1_25lookback_scan_determinismE0ELb0ELb1ES3_N6thrust23THRUST_200600_302600_NS6detail15normal_iteratorINS9_10device_ptrIiEEEESE_iNS9_10multipliesIiEEiEEDaPvRmT3_T4_T5_mT6_P12ihipStream_tbENKUlT_T0_E_clISt17integral_constantIbLb0EESU_EEDaSP_SQ_EUlSP_E0_NS1_11comp_targetILNS1_3genE3ELNS1_11target_archE908ELNS1_3gpuE7ELNS1_3repE0EEENS1_30default_config_static_selectorELNS0_4arch9wavefront6targetE1EEEvT1_
	.p2align	8
	.type	_ZN7rocprim17ROCPRIM_400000_NS6detail17trampoline_kernelINS0_14default_configENS1_20scan_config_selectorIiEEZZNS1_9scan_implILNS1_25lookback_scan_determinismE0ELb0ELb1ES3_N6thrust23THRUST_200600_302600_NS6detail15normal_iteratorINS9_10device_ptrIiEEEESE_iNS9_10multipliesIiEEiEEDaPvRmT3_T4_T5_mT6_P12ihipStream_tbENKUlT_T0_E_clISt17integral_constantIbLb0EESU_EEDaSP_SQ_EUlSP_E0_NS1_11comp_targetILNS1_3genE3ELNS1_11target_archE908ELNS1_3gpuE7ELNS1_3repE0EEENS1_30default_config_static_selectorELNS0_4arch9wavefront6targetE1EEEvT1_,@function
_ZN7rocprim17ROCPRIM_400000_NS6detail17trampoline_kernelINS0_14default_configENS1_20scan_config_selectorIiEEZZNS1_9scan_implILNS1_25lookback_scan_determinismE0ELb0ELb1ES3_N6thrust23THRUST_200600_302600_NS6detail15normal_iteratorINS9_10device_ptrIiEEEESE_iNS9_10multipliesIiEEiEEDaPvRmT3_T4_T5_mT6_P12ihipStream_tbENKUlT_T0_E_clISt17integral_constantIbLb0EESU_EEDaSP_SQ_EUlSP_E0_NS1_11comp_targetILNS1_3genE3ELNS1_11target_archE908ELNS1_3gpuE7ELNS1_3repE0EEENS1_30default_config_static_selectorELNS0_4arch9wavefront6targetE1EEEvT1_: ; @_ZN7rocprim17ROCPRIM_400000_NS6detail17trampoline_kernelINS0_14default_configENS1_20scan_config_selectorIiEEZZNS1_9scan_implILNS1_25lookback_scan_determinismE0ELb0ELb1ES3_N6thrust23THRUST_200600_302600_NS6detail15normal_iteratorINS9_10device_ptrIiEEEESE_iNS9_10multipliesIiEEiEEDaPvRmT3_T4_T5_mT6_P12ihipStream_tbENKUlT_T0_E_clISt17integral_constantIbLb0EESU_EEDaSP_SQ_EUlSP_E0_NS1_11comp_targetILNS1_3genE3ELNS1_11target_archE908ELNS1_3gpuE7ELNS1_3repE0EEENS1_30default_config_static_selectorELNS0_4arch9wavefront6targetE1EEEvT1_
; %bb.0:
	.section	.rodata,"a",@progbits
	.p2align	6, 0x0
	.amdhsa_kernel _ZN7rocprim17ROCPRIM_400000_NS6detail17trampoline_kernelINS0_14default_configENS1_20scan_config_selectorIiEEZZNS1_9scan_implILNS1_25lookback_scan_determinismE0ELb0ELb1ES3_N6thrust23THRUST_200600_302600_NS6detail15normal_iteratorINS9_10device_ptrIiEEEESE_iNS9_10multipliesIiEEiEEDaPvRmT3_T4_T5_mT6_P12ihipStream_tbENKUlT_T0_E_clISt17integral_constantIbLb0EESU_EEDaSP_SQ_EUlSP_E0_NS1_11comp_targetILNS1_3genE3ELNS1_11target_archE908ELNS1_3gpuE7ELNS1_3repE0EEENS1_30default_config_static_selectorELNS0_4arch9wavefront6targetE1EEEvT1_
		.amdhsa_group_segment_fixed_size 0
		.amdhsa_private_segment_fixed_size 0
		.amdhsa_kernarg_size 32
		.amdhsa_user_sgpr_count 6
		.amdhsa_user_sgpr_private_segment_buffer 1
		.amdhsa_user_sgpr_dispatch_ptr 0
		.amdhsa_user_sgpr_queue_ptr 0
		.amdhsa_user_sgpr_kernarg_segment_ptr 1
		.amdhsa_user_sgpr_dispatch_id 0
		.amdhsa_user_sgpr_flat_scratch_init 0
		.amdhsa_user_sgpr_kernarg_preload_length 0
		.amdhsa_user_sgpr_kernarg_preload_offset 0
		.amdhsa_user_sgpr_private_segment_size 0
		.amdhsa_uses_dynamic_stack 0
		.amdhsa_system_sgpr_private_segment_wavefront_offset 0
		.amdhsa_system_sgpr_workgroup_id_x 1
		.amdhsa_system_sgpr_workgroup_id_y 0
		.amdhsa_system_sgpr_workgroup_id_z 0
		.amdhsa_system_sgpr_workgroup_info 0
		.amdhsa_system_vgpr_workitem_id 0
		.amdhsa_next_free_vgpr 1
		.amdhsa_next_free_sgpr 0
		.amdhsa_accum_offset 4
		.amdhsa_reserve_vcc 0
		.amdhsa_reserve_flat_scratch 0
		.amdhsa_float_round_mode_32 0
		.amdhsa_float_round_mode_16_64 0
		.amdhsa_float_denorm_mode_32 3
		.amdhsa_float_denorm_mode_16_64 3
		.amdhsa_dx10_clamp 1
		.amdhsa_ieee_mode 1
		.amdhsa_fp16_overflow 0
		.amdhsa_tg_split 0
		.amdhsa_exception_fp_ieee_invalid_op 0
		.amdhsa_exception_fp_denorm_src 0
		.amdhsa_exception_fp_ieee_div_zero 0
		.amdhsa_exception_fp_ieee_overflow 0
		.amdhsa_exception_fp_ieee_underflow 0
		.amdhsa_exception_fp_ieee_inexact 0
		.amdhsa_exception_int_div_zero 0
	.end_amdhsa_kernel
	.section	.text._ZN7rocprim17ROCPRIM_400000_NS6detail17trampoline_kernelINS0_14default_configENS1_20scan_config_selectorIiEEZZNS1_9scan_implILNS1_25lookback_scan_determinismE0ELb0ELb1ES3_N6thrust23THRUST_200600_302600_NS6detail15normal_iteratorINS9_10device_ptrIiEEEESE_iNS9_10multipliesIiEEiEEDaPvRmT3_T4_T5_mT6_P12ihipStream_tbENKUlT_T0_E_clISt17integral_constantIbLb0EESU_EEDaSP_SQ_EUlSP_E0_NS1_11comp_targetILNS1_3genE3ELNS1_11target_archE908ELNS1_3gpuE7ELNS1_3repE0EEENS1_30default_config_static_selectorELNS0_4arch9wavefront6targetE1EEEvT1_,"axG",@progbits,_ZN7rocprim17ROCPRIM_400000_NS6detail17trampoline_kernelINS0_14default_configENS1_20scan_config_selectorIiEEZZNS1_9scan_implILNS1_25lookback_scan_determinismE0ELb0ELb1ES3_N6thrust23THRUST_200600_302600_NS6detail15normal_iteratorINS9_10device_ptrIiEEEESE_iNS9_10multipliesIiEEiEEDaPvRmT3_T4_T5_mT6_P12ihipStream_tbENKUlT_T0_E_clISt17integral_constantIbLb0EESU_EEDaSP_SQ_EUlSP_E0_NS1_11comp_targetILNS1_3genE3ELNS1_11target_archE908ELNS1_3gpuE7ELNS1_3repE0EEENS1_30default_config_static_selectorELNS0_4arch9wavefront6targetE1EEEvT1_,comdat
.Lfunc_end600:
	.size	_ZN7rocprim17ROCPRIM_400000_NS6detail17trampoline_kernelINS0_14default_configENS1_20scan_config_selectorIiEEZZNS1_9scan_implILNS1_25lookback_scan_determinismE0ELb0ELb1ES3_N6thrust23THRUST_200600_302600_NS6detail15normal_iteratorINS9_10device_ptrIiEEEESE_iNS9_10multipliesIiEEiEEDaPvRmT3_T4_T5_mT6_P12ihipStream_tbENKUlT_T0_E_clISt17integral_constantIbLb0EESU_EEDaSP_SQ_EUlSP_E0_NS1_11comp_targetILNS1_3genE3ELNS1_11target_archE908ELNS1_3gpuE7ELNS1_3repE0EEENS1_30default_config_static_selectorELNS0_4arch9wavefront6targetE1EEEvT1_, .Lfunc_end600-_ZN7rocprim17ROCPRIM_400000_NS6detail17trampoline_kernelINS0_14default_configENS1_20scan_config_selectorIiEEZZNS1_9scan_implILNS1_25lookback_scan_determinismE0ELb0ELb1ES3_N6thrust23THRUST_200600_302600_NS6detail15normal_iteratorINS9_10device_ptrIiEEEESE_iNS9_10multipliesIiEEiEEDaPvRmT3_T4_T5_mT6_P12ihipStream_tbENKUlT_T0_E_clISt17integral_constantIbLb0EESU_EEDaSP_SQ_EUlSP_E0_NS1_11comp_targetILNS1_3genE3ELNS1_11target_archE908ELNS1_3gpuE7ELNS1_3repE0EEENS1_30default_config_static_selectorELNS0_4arch9wavefront6targetE1EEEvT1_
                                        ; -- End function
	.section	.AMDGPU.csdata,"",@progbits
; Kernel info:
; codeLenInByte = 0
; NumSgprs: 4
; NumVgprs: 0
; NumAgprs: 0
; TotalNumVgprs: 0
; ScratchSize: 0
; MemoryBound: 0
; FloatMode: 240
; IeeeMode: 1
; LDSByteSize: 0 bytes/workgroup (compile time only)
; SGPRBlocks: 0
; VGPRBlocks: 0
; NumSGPRsForWavesPerEU: 4
; NumVGPRsForWavesPerEU: 1
; AccumOffset: 4
; Occupancy: 8
; WaveLimiterHint : 0
; COMPUTE_PGM_RSRC2:SCRATCH_EN: 0
; COMPUTE_PGM_RSRC2:USER_SGPR: 6
; COMPUTE_PGM_RSRC2:TRAP_HANDLER: 0
; COMPUTE_PGM_RSRC2:TGID_X_EN: 1
; COMPUTE_PGM_RSRC2:TGID_Y_EN: 0
; COMPUTE_PGM_RSRC2:TGID_Z_EN: 0
; COMPUTE_PGM_RSRC2:TIDIG_COMP_CNT: 0
; COMPUTE_PGM_RSRC3_GFX90A:ACCUM_OFFSET: 0
; COMPUTE_PGM_RSRC3_GFX90A:TG_SPLIT: 0
	.section	.text._ZN7rocprim17ROCPRIM_400000_NS6detail17trampoline_kernelINS0_14default_configENS1_20scan_config_selectorIiEEZZNS1_9scan_implILNS1_25lookback_scan_determinismE0ELb0ELb1ES3_N6thrust23THRUST_200600_302600_NS6detail15normal_iteratorINS9_10device_ptrIiEEEESE_iNS9_10multipliesIiEEiEEDaPvRmT3_T4_T5_mT6_P12ihipStream_tbENKUlT_T0_E_clISt17integral_constantIbLb0EESU_EEDaSP_SQ_EUlSP_E0_NS1_11comp_targetILNS1_3genE2ELNS1_11target_archE906ELNS1_3gpuE6ELNS1_3repE0EEENS1_30default_config_static_selectorELNS0_4arch9wavefront6targetE1EEEvT1_,"axG",@progbits,_ZN7rocprim17ROCPRIM_400000_NS6detail17trampoline_kernelINS0_14default_configENS1_20scan_config_selectorIiEEZZNS1_9scan_implILNS1_25lookback_scan_determinismE0ELb0ELb1ES3_N6thrust23THRUST_200600_302600_NS6detail15normal_iteratorINS9_10device_ptrIiEEEESE_iNS9_10multipliesIiEEiEEDaPvRmT3_T4_T5_mT6_P12ihipStream_tbENKUlT_T0_E_clISt17integral_constantIbLb0EESU_EEDaSP_SQ_EUlSP_E0_NS1_11comp_targetILNS1_3genE2ELNS1_11target_archE906ELNS1_3gpuE6ELNS1_3repE0EEENS1_30default_config_static_selectorELNS0_4arch9wavefront6targetE1EEEvT1_,comdat
	.protected	_ZN7rocprim17ROCPRIM_400000_NS6detail17trampoline_kernelINS0_14default_configENS1_20scan_config_selectorIiEEZZNS1_9scan_implILNS1_25lookback_scan_determinismE0ELb0ELb1ES3_N6thrust23THRUST_200600_302600_NS6detail15normal_iteratorINS9_10device_ptrIiEEEESE_iNS9_10multipliesIiEEiEEDaPvRmT3_T4_T5_mT6_P12ihipStream_tbENKUlT_T0_E_clISt17integral_constantIbLb0EESU_EEDaSP_SQ_EUlSP_E0_NS1_11comp_targetILNS1_3genE2ELNS1_11target_archE906ELNS1_3gpuE6ELNS1_3repE0EEENS1_30default_config_static_selectorELNS0_4arch9wavefront6targetE1EEEvT1_ ; -- Begin function _ZN7rocprim17ROCPRIM_400000_NS6detail17trampoline_kernelINS0_14default_configENS1_20scan_config_selectorIiEEZZNS1_9scan_implILNS1_25lookback_scan_determinismE0ELb0ELb1ES3_N6thrust23THRUST_200600_302600_NS6detail15normal_iteratorINS9_10device_ptrIiEEEESE_iNS9_10multipliesIiEEiEEDaPvRmT3_T4_T5_mT6_P12ihipStream_tbENKUlT_T0_E_clISt17integral_constantIbLb0EESU_EEDaSP_SQ_EUlSP_E0_NS1_11comp_targetILNS1_3genE2ELNS1_11target_archE906ELNS1_3gpuE6ELNS1_3repE0EEENS1_30default_config_static_selectorELNS0_4arch9wavefront6targetE1EEEvT1_
	.globl	_ZN7rocprim17ROCPRIM_400000_NS6detail17trampoline_kernelINS0_14default_configENS1_20scan_config_selectorIiEEZZNS1_9scan_implILNS1_25lookback_scan_determinismE0ELb0ELb1ES3_N6thrust23THRUST_200600_302600_NS6detail15normal_iteratorINS9_10device_ptrIiEEEESE_iNS9_10multipliesIiEEiEEDaPvRmT3_T4_T5_mT6_P12ihipStream_tbENKUlT_T0_E_clISt17integral_constantIbLb0EESU_EEDaSP_SQ_EUlSP_E0_NS1_11comp_targetILNS1_3genE2ELNS1_11target_archE906ELNS1_3gpuE6ELNS1_3repE0EEENS1_30default_config_static_selectorELNS0_4arch9wavefront6targetE1EEEvT1_
	.p2align	8
	.type	_ZN7rocprim17ROCPRIM_400000_NS6detail17trampoline_kernelINS0_14default_configENS1_20scan_config_selectorIiEEZZNS1_9scan_implILNS1_25lookback_scan_determinismE0ELb0ELb1ES3_N6thrust23THRUST_200600_302600_NS6detail15normal_iteratorINS9_10device_ptrIiEEEESE_iNS9_10multipliesIiEEiEEDaPvRmT3_T4_T5_mT6_P12ihipStream_tbENKUlT_T0_E_clISt17integral_constantIbLb0EESU_EEDaSP_SQ_EUlSP_E0_NS1_11comp_targetILNS1_3genE2ELNS1_11target_archE906ELNS1_3gpuE6ELNS1_3repE0EEENS1_30default_config_static_selectorELNS0_4arch9wavefront6targetE1EEEvT1_,@function
_ZN7rocprim17ROCPRIM_400000_NS6detail17trampoline_kernelINS0_14default_configENS1_20scan_config_selectorIiEEZZNS1_9scan_implILNS1_25lookback_scan_determinismE0ELb0ELb1ES3_N6thrust23THRUST_200600_302600_NS6detail15normal_iteratorINS9_10device_ptrIiEEEESE_iNS9_10multipliesIiEEiEEDaPvRmT3_T4_T5_mT6_P12ihipStream_tbENKUlT_T0_E_clISt17integral_constantIbLb0EESU_EEDaSP_SQ_EUlSP_E0_NS1_11comp_targetILNS1_3genE2ELNS1_11target_archE906ELNS1_3gpuE6ELNS1_3repE0EEENS1_30default_config_static_selectorELNS0_4arch9wavefront6targetE1EEEvT1_: ; @_ZN7rocprim17ROCPRIM_400000_NS6detail17trampoline_kernelINS0_14default_configENS1_20scan_config_selectorIiEEZZNS1_9scan_implILNS1_25lookback_scan_determinismE0ELb0ELb1ES3_N6thrust23THRUST_200600_302600_NS6detail15normal_iteratorINS9_10device_ptrIiEEEESE_iNS9_10multipliesIiEEiEEDaPvRmT3_T4_T5_mT6_P12ihipStream_tbENKUlT_T0_E_clISt17integral_constantIbLb0EESU_EEDaSP_SQ_EUlSP_E0_NS1_11comp_targetILNS1_3genE2ELNS1_11target_archE906ELNS1_3gpuE6ELNS1_3repE0EEENS1_30default_config_static_selectorELNS0_4arch9wavefront6targetE1EEEvT1_
; %bb.0:
	.section	.rodata,"a",@progbits
	.p2align	6, 0x0
	.amdhsa_kernel _ZN7rocprim17ROCPRIM_400000_NS6detail17trampoline_kernelINS0_14default_configENS1_20scan_config_selectorIiEEZZNS1_9scan_implILNS1_25lookback_scan_determinismE0ELb0ELb1ES3_N6thrust23THRUST_200600_302600_NS6detail15normal_iteratorINS9_10device_ptrIiEEEESE_iNS9_10multipliesIiEEiEEDaPvRmT3_T4_T5_mT6_P12ihipStream_tbENKUlT_T0_E_clISt17integral_constantIbLb0EESU_EEDaSP_SQ_EUlSP_E0_NS1_11comp_targetILNS1_3genE2ELNS1_11target_archE906ELNS1_3gpuE6ELNS1_3repE0EEENS1_30default_config_static_selectorELNS0_4arch9wavefront6targetE1EEEvT1_
		.amdhsa_group_segment_fixed_size 0
		.amdhsa_private_segment_fixed_size 0
		.amdhsa_kernarg_size 32
		.amdhsa_user_sgpr_count 6
		.amdhsa_user_sgpr_private_segment_buffer 1
		.amdhsa_user_sgpr_dispatch_ptr 0
		.amdhsa_user_sgpr_queue_ptr 0
		.amdhsa_user_sgpr_kernarg_segment_ptr 1
		.amdhsa_user_sgpr_dispatch_id 0
		.amdhsa_user_sgpr_flat_scratch_init 0
		.amdhsa_user_sgpr_kernarg_preload_length 0
		.amdhsa_user_sgpr_kernarg_preload_offset 0
		.amdhsa_user_sgpr_private_segment_size 0
		.amdhsa_uses_dynamic_stack 0
		.amdhsa_system_sgpr_private_segment_wavefront_offset 0
		.amdhsa_system_sgpr_workgroup_id_x 1
		.amdhsa_system_sgpr_workgroup_id_y 0
		.amdhsa_system_sgpr_workgroup_id_z 0
		.amdhsa_system_sgpr_workgroup_info 0
		.amdhsa_system_vgpr_workitem_id 0
		.amdhsa_next_free_vgpr 1
		.amdhsa_next_free_sgpr 0
		.amdhsa_accum_offset 4
		.amdhsa_reserve_vcc 0
		.amdhsa_reserve_flat_scratch 0
		.amdhsa_float_round_mode_32 0
		.amdhsa_float_round_mode_16_64 0
		.amdhsa_float_denorm_mode_32 3
		.amdhsa_float_denorm_mode_16_64 3
		.amdhsa_dx10_clamp 1
		.amdhsa_ieee_mode 1
		.amdhsa_fp16_overflow 0
		.amdhsa_tg_split 0
		.amdhsa_exception_fp_ieee_invalid_op 0
		.amdhsa_exception_fp_denorm_src 0
		.amdhsa_exception_fp_ieee_div_zero 0
		.amdhsa_exception_fp_ieee_overflow 0
		.amdhsa_exception_fp_ieee_underflow 0
		.amdhsa_exception_fp_ieee_inexact 0
		.amdhsa_exception_int_div_zero 0
	.end_amdhsa_kernel
	.section	.text._ZN7rocprim17ROCPRIM_400000_NS6detail17trampoline_kernelINS0_14default_configENS1_20scan_config_selectorIiEEZZNS1_9scan_implILNS1_25lookback_scan_determinismE0ELb0ELb1ES3_N6thrust23THRUST_200600_302600_NS6detail15normal_iteratorINS9_10device_ptrIiEEEESE_iNS9_10multipliesIiEEiEEDaPvRmT3_T4_T5_mT6_P12ihipStream_tbENKUlT_T0_E_clISt17integral_constantIbLb0EESU_EEDaSP_SQ_EUlSP_E0_NS1_11comp_targetILNS1_3genE2ELNS1_11target_archE906ELNS1_3gpuE6ELNS1_3repE0EEENS1_30default_config_static_selectorELNS0_4arch9wavefront6targetE1EEEvT1_,"axG",@progbits,_ZN7rocprim17ROCPRIM_400000_NS6detail17trampoline_kernelINS0_14default_configENS1_20scan_config_selectorIiEEZZNS1_9scan_implILNS1_25lookback_scan_determinismE0ELb0ELb1ES3_N6thrust23THRUST_200600_302600_NS6detail15normal_iteratorINS9_10device_ptrIiEEEESE_iNS9_10multipliesIiEEiEEDaPvRmT3_T4_T5_mT6_P12ihipStream_tbENKUlT_T0_E_clISt17integral_constantIbLb0EESU_EEDaSP_SQ_EUlSP_E0_NS1_11comp_targetILNS1_3genE2ELNS1_11target_archE906ELNS1_3gpuE6ELNS1_3repE0EEENS1_30default_config_static_selectorELNS0_4arch9wavefront6targetE1EEEvT1_,comdat
.Lfunc_end601:
	.size	_ZN7rocprim17ROCPRIM_400000_NS6detail17trampoline_kernelINS0_14default_configENS1_20scan_config_selectorIiEEZZNS1_9scan_implILNS1_25lookback_scan_determinismE0ELb0ELb1ES3_N6thrust23THRUST_200600_302600_NS6detail15normal_iteratorINS9_10device_ptrIiEEEESE_iNS9_10multipliesIiEEiEEDaPvRmT3_T4_T5_mT6_P12ihipStream_tbENKUlT_T0_E_clISt17integral_constantIbLb0EESU_EEDaSP_SQ_EUlSP_E0_NS1_11comp_targetILNS1_3genE2ELNS1_11target_archE906ELNS1_3gpuE6ELNS1_3repE0EEENS1_30default_config_static_selectorELNS0_4arch9wavefront6targetE1EEEvT1_, .Lfunc_end601-_ZN7rocprim17ROCPRIM_400000_NS6detail17trampoline_kernelINS0_14default_configENS1_20scan_config_selectorIiEEZZNS1_9scan_implILNS1_25lookback_scan_determinismE0ELb0ELb1ES3_N6thrust23THRUST_200600_302600_NS6detail15normal_iteratorINS9_10device_ptrIiEEEESE_iNS9_10multipliesIiEEiEEDaPvRmT3_T4_T5_mT6_P12ihipStream_tbENKUlT_T0_E_clISt17integral_constantIbLb0EESU_EEDaSP_SQ_EUlSP_E0_NS1_11comp_targetILNS1_3genE2ELNS1_11target_archE906ELNS1_3gpuE6ELNS1_3repE0EEENS1_30default_config_static_selectorELNS0_4arch9wavefront6targetE1EEEvT1_
                                        ; -- End function
	.section	.AMDGPU.csdata,"",@progbits
; Kernel info:
; codeLenInByte = 0
; NumSgprs: 4
; NumVgprs: 0
; NumAgprs: 0
; TotalNumVgprs: 0
; ScratchSize: 0
; MemoryBound: 0
; FloatMode: 240
; IeeeMode: 1
; LDSByteSize: 0 bytes/workgroup (compile time only)
; SGPRBlocks: 0
; VGPRBlocks: 0
; NumSGPRsForWavesPerEU: 4
; NumVGPRsForWavesPerEU: 1
; AccumOffset: 4
; Occupancy: 8
; WaveLimiterHint : 0
; COMPUTE_PGM_RSRC2:SCRATCH_EN: 0
; COMPUTE_PGM_RSRC2:USER_SGPR: 6
; COMPUTE_PGM_RSRC2:TRAP_HANDLER: 0
; COMPUTE_PGM_RSRC2:TGID_X_EN: 1
; COMPUTE_PGM_RSRC2:TGID_Y_EN: 0
; COMPUTE_PGM_RSRC2:TGID_Z_EN: 0
; COMPUTE_PGM_RSRC2:TIDIG_COMP_CNT: 0
; COMPUTE_PGM_RSRC3_GFX90A:ACCUM_OFFSET: 0
; COMPUTE_PGM_RSRC3_GFX90A:TG_SPLIT: 0
	.section	.text._ZN7rocprim17ROCPRIM_400000_NS6detail17trampoline_kernelINS0_14default_configENS1_20scan_config_selectorIiEEZZNS1_9scan_implILNS1_25lookback_scan_determinismE0ELb0ELb1ES3_N6thrust23THRUST_200600_302600_NS6detail15normal_iteratorINS9_10device_ptrIiEEEESE_iNS9_10multipliesIiEEiEEDaPvRmT3_T4_T5_mT6_P12ihipStream_tbENKUlT_T0_E_clISt17integral_constantIbLb0EESU_EEDaSP_SQ_EUlSP_E0_NS1_11comp_targetILNS1_3genE10ELNS1_11target_archE1201ELNS1_3gpuE5ELNS1_3repE0EEENS1_30default_config_static_selectorELNS0_4arch9wavefront6targetE1EEEvT1_,"axG",@progbits,_ZN7rocprim17ROCPRIM_400000_NS6detail17trampoline_kernelINS0_14default_configENS1_20scan_config_selectorIiEEZZNS1_9scan_implILNS1_25lookback_scan_determinismE0ELb0ELb1ES3_N6thrust23THRUST_200600_302600_NS6detail15normal_iteratorINS9_10device_ptrIiEEEESE_iNS9_10multipliesIiEEiEEDaPvRmT3_T4_T5_mT6_P12ihipStream_tbENKUlT_T0_E_clISt17integral_constantIbLb0EESU_EEDaSP_SQ_EUlSP_E0_NS1_11comp_targetILNS1_3genE10ELNS1_11target_archE1201ELNS1_3gpuE5ELNS1_3repE0EEENS1_30default_config_static_selectorELNS0_4arch9wavefront6targetE1EEEvT1_,comdat
	.protected	_ZN7rocprim17ROCPRIM_400000_NS6detail17trampoline_kernelINS0_14default_configENS1_20scan_config_selectorIiEEZZNS1_9scan_implILNS1_25lookback_scan_determinismE0ELb0ELb1ES3_N6thrust23THRUST_200600_302600_NS6detail15normal_iteratorINS9_10device_ptrIiEEEESE_iNS9_10multipliesIiEEiEEDaPvRmT3_T4_T5_mT6_P12ihipStream_tbENKUlT_T0_E_clISt17integral_constantIbLb0EESU_EEDaSP_SQ_EUlSP_E0_NS1_11comp_targetILNS1_3genE10ELNS1_11target_archE1201ELNS1_3gpuE5ELNS1_3repE0EEENS1_30default_config_static_selectorELNS0_4arch9wavefront6targetE1EEEvT1_ ; -- Begin function _ZN7rocprim17ROCPRIM_400000_NS6detail17trampoline_kernelINS0_14default_configENS1_20scan_config_selectorIiEEZZNS1_9scan_implILNS1_25lookback_scan_determinismE0ELb0ELb1ES3_N6thrust23THRUST_200600_302600_NS6detail15normal_iteratorINS9_10device_ptrIiEEEESE_iNS9_10multipliesIiEEiEEDaPvRmT3_T4_T5_mT6_P12ihipStream_tbENKUlT_T0_E_clISt17integral_constantIbLb0EESU_EEDaSP_SQ_EUlSP_E0_NS1_11comp_targetILNS1_3genE10ELNS1_11target_archE1201ELNS1_3gpuE5ELNS1_3repE0EEENS1_30default_config_static_selectorELNS0_4arch9wavefront6targetE1EEEvT1_
	.globl	_ZN7rocprim17ROCPRIM_400000_NS6detail17trampoline_kernelINS0_14default_configENS1_20scan_config_selectorIiEEZZNS1_9scan_implILNS1_25lookback_scan_determinismE0ELb0ELb1ES3_N6thrust23THRUST_200600_302600_NS6detail15normal_iteratorINS9_10device_ptrIiEEEESE_iNS9_10multipliesIiEEiEEDaPvRmT3_T4_T5_mT6_P12ihipStream_tbENKUlT_T0_E_clISt17integral_constantIbLb0EESU_EEDaSP_SQ_EUlSP_E0_NS1_11comp_targetILNS1_3genE10ELNS1_11target_archE1201ELNS1_3gpuE5ELNS1_3repE0EEENS1_30default_config_static_selectorELNS0_4arch9wavefront6targetE1EEEvT1_
	.p2align	8
	.type	_ZN7rocprim17ROCPRIM_400000_NS6detail17trampoline_kernelINS0_14default_configENS1_20scan_config_selectorIiEEZZNS1_9scan_implILNS1_25lookback_scan_determinismE0ELb0ELb1ES3_N6thrust23THRUST_200600_302600_NS6detail15normal_iteratorINS9_10device_ptrIiEEEESE_iNS9_10multipliesIiEEiEEDaPvRmT3_T4_T5_mT6_P12ihipStream_tbENKUlT_T0_E_clISt17integral_constantIbLb0EESU_EEDaSP_SQ_EUlSP_E0_NS1_11comp_targetILNS1_3genE10ELNS1_11target_archE1201ELNS1_3gpuE5ELNS1_3repE0EEENS1_30default_config_static_selectorELNS0_4arch9wavefront6targetE1EEEvT1_,@function
_ZN7rocprim17ROCPRIM_400000_NS6detail17trampoline_kernelINS0_14default_configENS1_20scan_config_selectorIiEEZZNS1_9scan_implILNS1_25lookback_scan_determinismE0ELb0ELb1ES3_N6thrust23THRUST_200600_302600_NS6detail15normal_iteratorINS9_10device_ptrIiEEEESE_iNS9_10multipliesIiEEiEEDaPvRmT3_T4_T5_mT6_P12ihipStream_tbENKUlT_T0_E_clISt17integral_constantIbLb0EESU_EEDaSP_SQ_EUlSP_E0_NS1_11comp_targetILNS1_3genE10ELNS1_11target_archE1201ELNS1_3gpuE5ELNS1_3repE0EEENS1_30default_config_static_selectorELNS0_4arch9wavefront6targetE1EEEvT1_: ; @_ZN7rocprim17ROCPRIM_400000_NS6detail17trampoline_kernelINS0_14default_configENS1_20scan_config_selectorIiEEZZNS1_9scan_implILNS1_25lookback_scan_determinismE0ELb0ELb1ES3_N6thrust23THRUST_200600_302600_NS6detail15normal_iteratorINS9_10device_ptrIiEEEESE_iNS9_10multipliesIiEEiEEDaPvRmT3_T4_T5_mT6_P12ihipStream_tbENKUlT_T0_E_clISt17integral_constantIbLb0EESU_EEDaSP_SQ_EUlSP_E0_NS1_11comp_targetILNS1_3genE10ELNS1_11target_archE1201ELNS1_3gpuE5ELNS1_3repE0EEENS1_30default_config_static_selectorELNS0_4arch9wavefront6targetE1EEEvT1_
; %bb.0:
	.section	.rodata,"a",@progbits
	.p2align	6, 0x0
	.amdhsa_kernel _ZN7rocprim17ROCPRIM_400000_NS6detail17trampoline_kernelINS0_14default_configENS1_20scan_config_selectorIiEEZZNS1_9scan_implILNS1_25lookback_scan_determinismE0ELb0ELb1ES3_N6thrust23THRUST_200600_302600_NS6detail15normal_iteratorINS9_10device_ptrIiEEEESE_iNS9_10multipliesIiEEiEEDaPvRmT3_T4_T5_mT6_P12ihipStream_tbENKUlT_T0_E_clISt17integral_constantIbLb0EESU_EEDaSP_SQ_EUlSP_E0_NS1_11comp_targetILNS1_3genE10ELNS1_11target_archE1201ELNS1_3gpuE5ELNS1_3repE0EEENS1_30default_config_static_selectorELNS0_4arch9wavefront6targetE1EEEvT1_
		.amdhsa_group_segment_fixed_size 0
		.amdhsa_private_segment_fixed_size 0
		.amdhsa_kernarg_size 32
		.amdhsa_user_sgpr_count 6
		.amdhsa_user_sgpr_private_segment_buffer 1
		.amdhsa_user_sgpr_dispatch_ptr 0
		.amdhsa_user_sgpr_queue_ptr 0
		.amdhsa_user_sgpr_kernarg_segment_ptr 1
		.amdhsa_user_sgpr_dispatch_id 0
		.amdhsa_user_sgpr_flat_scratch_init 0
		.amdhsa_user_sgpr_kernarg_preload_length 0
		.amdhsa_user_sgpr_kernarg_preload_offset 0
		.amdhsa_user_sgpr_private_segment_size 0
		.amdhsa_uses_dynamic_stack 0
		.amdhsa_system_sgpr_private_segment_wavefront_offset 0
		.amdhsa_system_sgpr_workgroup_id_x 1
		.amdhsa_system_sgpr_workgroup_id_y 0
		.amdhsa_system_sgpr_workgroup_id_z 0
		.amdhsa_system_sgpr_workgroup_info 0
		.amdhsa_system_vgpr_workitem_id 0
		.amdhsa_next_free_vgpr 1
		.amdhsa_next_free_sgpr 0
		.amdhsa_accum_offset 4
		.amdhsa_reserve_vcc 0
		.amdhsa_reserve_flat_scratch 0
		.amdhsa_float_round_mode_32 0
		.amdhsa_float_round_mode_16_64 0
		.amdhsa_float_denorm_mode_32 3
		.amdhsa_float_denorm_mode_16_64 3
		.amdhsa_dx10_clamp 1
		.amdhsa_ieee_mode 1
		.amdhsa_fp16_overflow 0
		.amdhsa_tg_split 0
		.amdhsa_exception_fp_ieee_invalid_op 0
		.amdhsa_exception_fp_denorm_src 0
		.amdhsa_exception_fp_ieee_div_zero 0
		.amdhsa_exception_fp_ieee_overflow 0
		.amdhsa_exception_fp_ieee_underflow 0
		.amdhsa_exception_fp_ieee_inexact 0
		.amdhsa_exception_int_div_zero 0
	.end_amdhsa_kernel
	.section	.text._ZN7rocprim17ROCPRIM_400000_NS6detail17trampoline_kernelINS0_14default_configENS1_20scan_config_selectorIiEEZZNS1_9scan_implILNS1_25lookback_scan_determinismE0ELb0ELb1ES3_N6thrust23THRUST_200600_302600_NS6detail15normal_iteratorINS9_10device_ptrIiEEEESE_iNS9_10multipliesIiEEiEEDaPvRmT3_T4_T5_mT6_P12ihipStream_tbENKUlT_T0_E_clISt17integral_constantIbLb0EESU_EEDaSP_SQ_EUlSP_E0_NS1_11comp_targetILNS1_3genE10ELNS1_11target_archE1201ELNS1_3gpuE5ELNS1_3repE0EEENS1_30default_config_static_selectorELNS0_4arch9wavefront6targetE1EEEvT1_,"axG",@progbits,_ZN7rocprim17ROCPRIM_400000_NS6detail17trampoline_kernelINS0_14default_configENS1_20scan_config_selectorIiEEZZNS1_9scan_implILNS1_25lookback_scan_determinismE0ELb0ELb1ES3_N6thrust23THRUST_200600_302600_NS6detail15normal_iteratorINS9_10device_ptrIiEEEESE_iNS9_10multipliesIiEEiEEDaPvRmT3_T4_T5_mT6_P12ihipStream_tbENKUlT_T0_E_clISt17integral_constantIbLb0EESU_EEDaSP_SQ_EUlSP_E0_NS1_11comp_targetILNS1_3genE10ELNS1_11target_archE1201ELNS1_3gpuE5ELNS1_3repE0EEENS1_30default_config_static_selectorELNS0_4arch9wavefront6targetE1EEEvT1_,comdat
.Lfunc_end602:
	.size	_ZN7rocprim17ROCPRIM_400000_NS6detail17trampoline_kernelINS0_14default_configENS1_20scan_config_selectorIiEEZZNS1_9scan_implILNS1_25lookback_scan_determinismE0ELb0ELb1ES3_N6thrust23THRUST_200600_302600_NS6detail15normal_iteratorINS9_10device_ptrIiEEEESE_iNS9_10multipliesIiEEiEEDaPvRmT3_T4_T5_mT6_P12ihipStream_tbENKUlT_T0_E_clISt17integral_constantIbLb0EESU_EEDaSP_SQ_EUlSP_E0_NS1_11comp_targetILNS1_3genE10ELNS1_11target_archE1201ELNS1_3gpuE5ELNS1_3repE0EEENS1_30default_config_static_selectorELNS0_4arch9wavefront6targetE1EEEvT1_, .Lfunc_end602-_ZN7rocprim17ROCPRIM_400000_NS6detail17trampoline_kernelINS0_14default_configENS1_20scan_config_selectorIiEEZZNS1_9scan_implILNS1_25lookback_scan_determinismE0ELb0ELb1ES3_N6thrust23THRUST_200600_302600_NS6detail15normal_iteratorINS9_10device_ptrIiEEEESE_iNS9_10multipliesIiEEiEEDaPvRmT3_T4_T5_mT6_P12ihipStream_tbENKUlT_T0_E_clISt17integral_constantIbLb0EESU_EEDaSP_SQ_EUlSP_E0_NS1_11comp_targetILNS1_3genE10ELNS1_11target_archE1201ELNS1_3gpuE5ELNS1_3repE0EEENS1_30default_config_static_selectorELNS0_4arch9wavefront6targetE1EEEvT1_
                                        ; -- End function
	.section	.AMDGPU.csdata,"",@progbits
; Kernel info:
; codeLenInByte = 0
; NumSgprs: 4
; NumVgprs: 0
; NumAgprs: 0
; TotalNumVgprs: 0
; ScratchSize: 0
; MemoryBound: 0
; FloatMode: 240
; IeeeMode: 1
; LDSByteSize: 0 bytes/workgroup (compile time only)
; SGPRBlocks: 0
; VGPRBlocks: 0
; NumSGPRsForWavesPerEU: 4
; NumVGPRsForWavesPerEU: 1
; AccumOffset: 4
; Occupancy: 8
; WaveLimiterHint : 0
; COMPUTE_PGM_RSRC2:SCRATCH_EN: 0
; COMPUTE_PGM_RSRC2:USER_SGPR: 6
; COMPUTE_PGM_RSRC2:TRAP_HANDLER: 0
; COMPUTE_PGM_RSRC2:TGID_X_EN: 1
; COMPUTE_PGM_RSRC2:TGID_Y_EN: 0
; COMPUTE_PGM_RSRC2:TGID_Z_EN: 0
; COMPUTE_PGM_RSRC2:TIDIG_COMP_CNT: 0
; COMPUTE_PGM_RSRC3_GFX90A:ACCUM_OFFSET: 0
; COMPUTE_PGM_RSRC3_GFX90A:TG_SPLIT: 0
	.section	.text._ZN7rocprim17ROCPRIM_400000_NS6detail17trampoline_kernelINS0_14default_configENS1_20scan_config_selectorIiEEZZNS1_9scan_implILNS1_25lookback_scan_determinismE0ELb0ELb1ES3_N6thrust23THRUST_200600_302600_NS6detail15normal_iteratorINS9_10device_ptrIiEEEESE_iNS9_10multipliesIiEEiEEDaPvRmT3_T4_T5_mT6_P12ihipStream_tbENKUlT_T0_E_clISt17integral_constantIbLb0EESU_EEDaSP_SQ_EUlSP_E0_NS1_11comp_targetILNS1_3genE10ELNS1_11target_archE1200ELNS1_3gpuE4ELNS1_3repE0EEENS1_30default_config_static_selectorELNS0_4arch9wavefront6targetE1EEEvT1_,"axG",@progbits,_ZN7rocprim17ROCPRIM_400000_NS6detail17trampoline_kernelINS0_14default_configENS1_20scan_config_selectorIiEEZZNS1_9scan_implILNS1_25lookback_scan_determinismE0ELb0ELb1ES3_N6thrust23THRUST_200600_302600_NS6detail15normal_iteratorINS9_10device_ptrIiEEEESE_iNS9_10multipliesIiEEiEEDaPvRmT3_T4_T5_mT6_P12ihipStream_tbENKUlT_T0_E_clISt17integral_constantIbLb0EESU_EEDaSP_SQ_EUlSP_E0_NS1_11comp_targetILNS1_3genE10ELNS1_11target_archE1200ELNS1_3gpuE4ELNS1_3repE0EEENS1_30default_config_static_selectorELNS0_4arch9wavefront6targetE1EEEvT1_,comdat
	.protected	_ZN7rocprim17ROCPRIM_400000_NS6detail17trampoline_kernelINS0_14default_configENS1_20scan_config_selectorIiEEZZNS1_9scan_implILNS1_25lookback_scan_determinismE0ELb0ELb1ES3_N6thrust23THRUST_200600_302600_NS6detail15normal_iteratorINS9_10device_ptrIiEEEESE_iNS9_10multipliesIiEEiEEDaPvRmT3_T4_T5_mT6_P12ihipStream_tbENKUlT_T0_E_clISt17integral_constantIbLb0EESU_EEDaSP_SQ_EUlSP_E0_NS1_11comp_targetILNS1_3genE10ELNS1_11target_archE1200ELNS1_3gpuE4ELNS1_3repE0EEENS1_30default_config_static_selectorELNS0_4arch9wavefront6targetE1EEEvT1_ ; -- Begin function _ZN7rocprim17ROCPRIM_400000_NS6detail17trampoline_kernelINS0_14default_configENS1_20scan_config_selectorIiEEZZNS1_9scan_implILNS1_25lookback_scan_determinismE0ELb0ELb1ES3_N6thrust23THRUST_200600_302600_NS6detail15normal_iteratorINS9_10device_ptrIiEEEESE_iNS9_10multipliesIiEEiEEDaPvRmT3_T4_T5_mT6_P12ihipStream_tbENKUlT_T0_E_clISt17integral_constantIbLb0EESU_EEDaSP_SQ_EUlSP_E0_NS1_11comp_targetILNS1_3genE10ELNS1_11target_archE1200ELNS1_3gpuE4ELNS1_3repE0EEENS1_30default_config_static_selectorELNS0_4arch9wavefront6targetE1EEEvT1_
	.globl	_ZN7rocprim17ROCPRIM_400000_NS6detail17trampoline_kernelINS0_14default_configENS1_20scan_config_selectorIiEEZZNS1_9scan_implILNS1_25lookback_scan_determinismE0ELb0ELb1ES3_N6thrust23THRUST_200600_302600_NS6detail15normal_iteratorINS9_10device_ptrIiEEEESE_iNS9_10multipliesIiEEiEEDaPvRmT3_T4_T5_mT6_P12ihipStream_tbENKUlT_T0_E_clISt17integral_constantIbLb0EESU_EEDaSP_SQ_EUlSP_E0_NS1_11comp_targetILNS1_3genE10ELNS1_11target_archE1200ELNS1_3gpuE4ELNS1_3repE0EEENS1_30default_config_static_selectorELNS0_4arch9wavefront6targetE1EEEvT1_
	.p2align	8
	.type	_ZN7rocprim17ROCPRIM_400000_NS6detail17trampoline_kernelINS0_14default_configENS1_20scan_config_selectorIiEEZZNS1_9scan_implILNS1_25lookback_scan_determinismE0ELb0ELb1ES3_N6thrust23THRUST_200600_302600_NS6detail15normal_iteratorINS9_10device_ptrIiEEEESE_iNS9_10multipliesIiEEiEEDaPvRmT3_T4_T5_mT6_P12ihipStream_tbENKUlT_T0_E_clISt17integral_constantIbLb0EESU_EEDaSP_SQ_EUlSP_E0_NS1_11comp_targetILNS1_3genE10ELNS1_11target_archE1200ELNS1_3gpuE4ELNS1_3repE0EEENS1_30default_config_static_selectorELNS0_4arch9wavefront6targetE1EEEvT1_,@function
_ZN7rocprim17ROCPRIM_400000_NS6detail17trampoline_kernelINS0_14default_configENS1_20scan_config_selectorIiEEZZNS1_9scan_implILNS1_25lookback_scan_determinismE0ELb0ELb1ES3_N6thrust23THRUST_200600_302600_NS6detail15normal_iteratorINS9_10device_ptrIiEEEESE_iNS9_10multipliesIiEEiEEDaPvRmT3_T4_T5_mT6_P12ihipStream_tbENKUlT_T0_E_clISt17integral_constantIbLb0EESU_EEDaSP_SQ_EUlSP_E0_NS1_11comp_targetILNS1_3genE10ELNS1_11target_archE1200ELNS1_3gpuE4ELNS1_3repE0EEENS1_30default_config_static_selectorELNS0_4arch9wavefront6targetE1EEEvT1_: ; @_ZN7rocprim17ROCPRIM_400000_NS6detail17trampoline_kernelINS0_14default_configENS1_20scan_config_selectorIiEEZZNS1_9scan_implILNS1_25lookback_scan_determinismE0ELb0ELb1ES3_N6thrust23THRUST_200600_302600_NS6detail15normal_iteratorINS9_10device_ptrIiEEEESE_iNS9_10multipliesIiEEiEEDaPvRmT3_T4_T5_mT6_P12ihipStream_tbENKUlT_T0_E_clISt17integral_constantIbLb0EESU_EEDaSP_SQ_EUlSP_E0_NS1_11comp_targetILNS1_3genE10ELNS1_11target_archE1200ELNS1_3gpuE4ELNS1_3repE0EEENS1_30default_config_static_selectorELNS0_4arch9wavefront6targetE1EEEvT1_
; %bb.0:
	.section	.rodata,"a",@progbits
	.p2align	6, 0x0
	.amdhsa_kernel _ZN7rocprim17ROCPRIM_400000_NS6detail17trampoline_kernelINS0_14default_configENS1_20scan_config_selectorIiEEZZNS1_9scan_implILNS1_25lookback_scan_determinismE0ELb0ELb1ES3_N6thrust23THRUST_200600_302600_NS6detail15normal_iteratorINS9_10device_ptrIiEEEESE_iNS9_10multipliesIiEEiEEDaPvRmT3_T4_T5_mT6_P12ihipStream_tbENKUlT_T0_E_clISt17integral_constantIbLb0EESU_EEDaSP_SQ_EUlSP_E0_NS1_11comp_targetILNS1_3genE10ELNS1_11target_archE1200ELNS1_3gpuE4ELNS1_3repE0EEENS1_30default_config_static_selectorELNS0_4arch9wavefront6targetE1EEEvT1_
		.amdhsa_group_segment_fixed_size 0
		.amdhsa_private_segment_fixed_size 0
		.amdhsa_kernarg_size 32
		.amdhsa_user_sgpr_count 6
		.amdhsa_user_sgpr_private_segment_buffer 1
		.amdhsa_user_sgpr_dispatch_ptr 0
		.amdhsa_user_sgpr_queue_ptr 0
		.amdhsa_user_sgpr_kernarg_segment_ptr 1
		.amdhsa_user_sgpr_dispatch_id 0
		.amdhsa_user_sgpr_flat_scratch_init 0
		.amdhsa_user_sgpr_kernarg_preload_length 0
		.amdhsa_user_sgpr_kernarg_preload_offset 0
		.amdhsa_user_sgpr_private_segment_size 0
		.amdhsa_uses_dynamic_stack 0
		.amdhsa_system_sgpr_private_segment_wavefront_offset 0
		.amdhsa_system_sgpr_workgroup_id_x 1
		.amdhsa_system_sgpr_workgroup_id_y 0
		.amdhsa_system_sgpr_workgroup_id_z 0
		.amdhsa_system_sgpr_workgroup_info 0
		.amdhsa_system_vgpr_workitem_id 0
		.amdhsa_next_free_vgpr 1
		.amdhsa_next_free_sgpr 0
		.amdhsa_accum_offset 4
		.amdhsa_reserve_vcc 0
		.amdhsa_reserve_flat_scratch 0
		.amdhsa_float_round_mode_32 0
		.amdhsa_float_round_mode_16_64 0
		.amdhsa_float_denorm_mode_32 3
		.amdhsa_float_denorm_mode_16_64 3
		.amdhsa_dx10_clamp 1
		.amdhsa_ieee_mode 1
		.amdhsa_fp16_overflow 0
		.amdhsa_tg_split 0
		.amdhsa_exception_fp_ieee_invalid_op 0
		.amdhsa_exception_fp_denorm_src 0
		.amdhsa_exception_fp_ieee_div_zero 0
		.amdhsa_exception_fp_ieee_overflow 0
		.amdhsa_exception_fp_ieee_underflow 0
		.amdhsa_exception_fp_ieee_inexact 0
		.amdhsa_exception_int_div_zero 0
	.end_amdhsa_kernel
	.section	.text._ZN7rocprim17ROCPRIM_400000_NS6detail17trampoline_kernelINS0_14default_configENS1_20scan_config_selectorIiEEZZNS1_9scan_implILNS1_25lookback_scan_determinismE0ELb0ELb1ES3_N6thrust23THRUST_200600_302600_NS6detail15normal_iteratorINS9_10device_ptrIiEEEESE_iNS9_10multipliesIiEEiEEDaPvRmT3_T4_T5_mT6_P12ihipStream_tbENKUlT_T0_E_clISt17integral_constantIbLb0EESU_EEDaSP_SQ_EUlSP_E0_NS1_11comp_targetILNS1_3genE10ELNS1_11target_archE1200ELNS1_3gpuE4ELNS1_3repE0EEENS1_30default_config_static_selectorELNS0_4arch9wavefront6targetE1EEEvT1_,"axG",@progbits,_ZN7rocprim17ROCPRIM_400000_NS6detail17trampoline_kernelINS0_14default_configENS1_20scan_config_selectorIiEEZZNS1_9scan_implILNS1_25lookback_scan_determinismE0ELb0ELb1ES3_N6thrust23THRUST_200600_302600_NS6detail15normal_iteratorINS9_10device_ptrIiEEEESE_iNS9_10multipliesIiEEiEEDaPvRmT3_T4_T5_mT6_P12ihipStream_tbENKUlT_T0_E_clISt17integral_constantIbLb0EESU_EEDaSP_SQ_EUlSP_E0_NS1_11comp_targetILNS1_3genE10ELNS1_11target_archE1200ELNS1_3gpuE4ELNS1_3repE0EEENS1_30default_config_static_selectorELNS0_4arch9wavefront6targetE1EEEvT1_,comdat
.Lfunc_end603:
	.size	_ZN7rocprim17ROCPRIM_400000_NS6detail17trampoline_kernelINS0_14default_configENS1_20scan_config_selectorIiEEZZNS1_9scan_implILNS1_25lookback_scan_determinismE0ELb0ELb1ES3_N6thrust23THRUST_200600_302600_NS6detail15normal_iteratorINS9_10device_ptrIiEEEESE_iNS9_10multipliesIiEEiEEDaPvRmT3_T4_T5_mT6_P12ihipStream_tbENKUlT_T0_E_clISt17integral_constantIbLb0EESU_EEDaSP_SQ_EUlSP_E0_NS1_11comp_targetILNS1_3genE10ELNS1_11target_archE1200ELNS1_3gpuE4ELNS1_3repE0EEENS1_30default_config_static_selectorELNS0_4arch9wavefront6targetE1EEEvT1_, .Lfunc_end603-_ZN7rocprim17ROCPRIM_400000_NS6detail17trampoline_kernelINS0_14default_configENS1_20scan_config_selectorIiEEZZNS1_9scan_implILNS1_25lookback_scan_determinismE0ELb0ELb1ES3_N6thrust23THRUST_200600_302600_NS6detail15normal_iteratorINS9_10device_ptrIiEEEESE_iNS9_10multipliesIiEEiEEDaPvRmT3_T4_T5_mT6_P12ihipStream_tbENKUlT_T0_E_clISt17integral_constantIbLb0EESU_EEDaSP_SQ_EUlSP_E0_NS1_11comp_targetILNS1_3genE10ELNS1_11target_archE1200ELNS1_3gpuE4ELNS1_3repE0EEENS1_30default_config_static_selectorELNS0_4arch9wavefront6targetE1EEEvT1_
                                        ; -- End function
	.section	.AMDGPU.csdata,"",@progbits
; Kernel info:
; codeLenInByte = 0
; NumSgprs: 4
; NumVgprs: 0
; NumAgprs: 0
; TotalNumVgprs: 0
; ScratchSize: 0
; MemoryBound: 0
; FloatMode: 240
; IeeeMode: 1
; LDSByteSize: 0 bytes/workgroup (compile time only)
; SGPRBlocks: 0
; VGPRBlocks: 0
; NumSGPRsForWavesPerEU: 4
; NumVGPRsForWavesPerEU: 1
; AccumOffset: 4
; Occupancy: 8
; WaveLimiterHint : 0
; COMPUTE_PGM_RSRC2:SCRATCH_EN: 0
; COMPUTE_PGM_RSRC2:USER_SGPR: 6
; COMPUTE_PGM_RSRC2:TRAP_HANDLER: 0
; COMPUTE_PGM_RSRC2:TGID_X_EN: 1
; COMPUTE_PGM_RSRC2:TGID_Y_EN: 0
; COMPUTE_PGM_RSRC2:TGID_Z_EN: 0
; COMPUTE_PGM_RSRC2:TIDIG_COMP_CNT: 0
; COMPUTE_PGM_RSRC3_GFX90A:ACCUM_OFFSET: 0
; COMPUTE_PGM_RSRC3_GFX90A:TG_SPLIT: 0
	.section	.text._ZN7rocprim17ROCPRIM_400000_NS6detail17trampoline_kernelINS0_14default_configENS1_20scan_config_selectorIiEEZZNS1_9scan_implILNS1_25lookback_scan_determinismE0ELb0ELb1ES3_N6thrust23THRUST_200600_302600_NS6detail15normal_iteratorINS9_10device_ptrIiEEEESE_iNS9_10multipliesIiEEiEEDaPvRmT3_T4_T5_mT6_P12ihipStream_tbENKUlT_T0_E_clISt17integral_constantIbLb0EESU_EEDaSP_SQ_EUlSP_E0_NS1_11comp_targetILNS1_3genE9ELNS1_11target_archE1100ELNS1_3gpuE3ELNS1_3repE0EEENS1_30default_config_static_selectorELNS0_4arch9wavefront6targetE1EEEvT1_,"axG",@progbits,_ZN7rocprim17ROCPRIM_400000_NS6detail17trampoline_kernelINS0_14default_configENS1_20scan_config_selectorIiEEZZNS1_9scan_implILNS1_25lookback_scan_determinismE0ELb0ELb1ES3_N6thrust23THRUST_200600_302600_NS6detail15normal_iteratorINS9_10device_ptrIiEEEESE_iNS9_10multipliesIiEEiEEDaPvRmT3_T4_T5_mT6_P12ihipStream_tbENKUlT_T0_E_clISt17integral_constantIbLb0EESU_EEDaSP_SQ_EUlSP_E0_NS1_11comp_targetILNS1_3genE9ELNS1_11target_archE1100ELNS1_3gpuE3ELNS1_3repE0EEENS1_30default_config_static_selectorELNS0_4arch9wavefront6targetE1EEEvT1_,comdat
	.protected	_ZN7rocprim17ROCPRIM_400000_NS6detail17trampoline_kernelINS0_14default_configENS1_20scan_config_selectorIiEEZZNS1_9scan_implILNS1_25lookback_scan_determinismE0ELb0ELb1ES3_N6thrust23THRUST_200600_302600_NS6detail15normal_iteratorINS9_10device_ptrIiEEEESE_iNS9_10multipliesIiEEiEEDaPvRmT3_T4_T5_mT6_P12ihipStream_tbENKUlT_T0_E_clISt17integral_constantIbLb0EESU_EEDaSP_SQ_EUlSP_E0_NS1_11comp_targetILNS1_3genE9ELNS1_11target_archE1100ELNS1_3gpuE3ELNS1_3repE0EEENS1_30default_config_static_selectorELNS0_4arch9wavefront6targetE1EEEvT1_ ; -- Begin function _ZN7rocprim17ROCPRIM_400000_NS6detail17trampoline_kernelINS0_14default_configENS1_20scan_config_selectorIiEEZZNS1_9scan_implILNS1_25lookback_scan_determinismE0ELb0ELb1ES3_N6thrust23THRUST_200600_302600_NS6detail15normal_iteratorINS9_10device_ptrIiEEEESE_iNS9_10multipliesIiEEiEEDaPvRmT3_T4_T5_mT6_P12ihipStream_tbENKUlT_T0_E_clISt17integral_constantIbLb0EESU_EEDaSP_SQ_EUlSP_E0_NS1_11comp_targetILNS1_3genE9ELNS1_11target_archE1100ELNS1_3gpuE3ELNS1_3repE0EEENS1_30default_config_static_selectorELNS0_4arch9wavefront6targetE1EEEvT1_
	.globl	_ZN7rocprim17ROCPRIM_400000_NS6detail17trampoline_kernelINS0_14default_configENS1_20scan_config_selectorIiEEZZNS1_9scan_implILNS1_25lookback_scan_determinismE0ELb0ELb1ES3_N6thrust23THRUST_200600_302600_NS6detail15normal_iteratorINS9_10device_ptrIiEEEESE_iNS9_10multipliesIiEEiEEDaPvRmT3_T4_T5_mT6_P12ihipStream_tbENKUlT_T0_E_clISt17integral_constantIbLb0EESU_EEDaSP_SQ_EUlSP_E0_NS1_11comp_targetILNS1_3genE9ELNS1_11target_archE1100ELNS1_3gpuE3ELNS1_3repE0EEENS1_30default_config_static_selectorELNS0_4arch9wavefront6targetE1EEEvT1_
	.p2align	8
	.type	_ZN7rocprim17ROCPRIM_400000_NS6detail17trampoline_kernelINS0_14default_configENS1_20scan_config_selectorIiEEZZNS1_9scan_implILNS1_25lookback_scan_determinismE0ELb0ELb1ES3_N6thrust23THRUST_200600_302600_NS6detail15normal_iteratorINS9_10device_ptrIiEEEESE_iNS9_10multipliesIiEEiEEDaPvRmT3_T4_T5_mT6_P12ihipStream_tbENKUlT_T0_E_clISt17integral_constantIbLb0EESU_EEDaSP_SQ_EUlSP_E0_NS1_11comp_targetILNS1_3genE9ELNS1_11target_archE1100ELNS1_3gpuE3ELNS1_3repE0EEENS1_30default_config_static_selectorELNS0_4arch9wavefront6targetE1EEEvT1_,@function
_ZN7rocprim17ROCPRIM_400000_NS6detail17trampoline_kernelINS0_14default_configENS1_20scan_config_selectorIiEEZZNS1_9scan_implILNS1_25lookback_scan_determinismE0ELb0ELb1ES3_N6thrust23THRUST_200600_302600_NS6detail15normal_iteratorINS9_10device_ptrIiEEEESE_iNS9_10multipliesIiEEiEEDaPvRmT3_T4_T5_mT6_P12ihipStream_tbENKUlT_T0_E_clISt17integral_constantIbLb0EESU_EEDaSP_SQ_EUlSP_E0_NS1_11comp_targetILNS1_3genE9ELNS1_11target_archE1100ELNS1_3gpuE3ELNS1_3repE0EEENS1_30default_config_static_selectorELNS0_4arch9wavefront6targetE1EEEvT1_: ; @_ZN7rocprim17ROCPRIM_400000_NS6detail17trampoline_kernelINS0_14default_configENS1_20scan_config_selectorIiEEZZNS1_9scan_implILNS1_25lookback_scan_determinismE0ELb0ELb1ES3_N6thrust23THRUST_200600_302600_NS6detail15normal_iteratorINS9_10device_ptrIiEEEESE_iNS9_10multipliesIiEEiEEDaPvRmT3_T4_T5_mT6_P12ihipStream_tbENKUlT_T0_E_clISt17integral_constantIbLb0EESU_EEDaSP_SQ_EUlSP_E0_NS1_11comp_targetILNS1_3genE9ELNS1_11target_archE1100ELNS1_3gpuE3ELNS1_3repE0EEENS1_30default_config_static_selectorELNS0_4arch9wavefront6targetE1EEEvT1_
; %bb.0:
	.section	.rodata,"a",@progbits
	.p2align	6, 0x0
	.amdhsa_kernel _ZN7rocprim17ROCPRIM_400000_NS6detail17trampoline_kernelINS0_14default_configENS1_20scan_config_selectorIiEEZZNS1_9scan_implILNS1_25lookback_scan_determinismE0ELb0ELb1ES3_N6thrust23THRUST_200600_302600_NS6detail15normal_iteratorINS9_10device_ptrIiEEEESE_iNS9_10multipliesIiEEiEEDaPvRmT3_T4_T5_mT6_P12ihipStream_tbENKUlT_T0_E_clISt17integral_constantIbLb0EESU_EEDaSP_SQ_EUlSP_E0_NS1_11comp_targetILNS1_3genE9ELNS1_11target_archE1100ELNS1_3gpuE3ELNS1_3repE0EEENS1_30default_config_static_selectorELNS0_4arch9wavefront6targetE1EEEvT1_
		.amdhsa_group_segment_fixed_size 0
		.amdhsa_private_segment_fixed_size 0
		.amdhsa_kernarg_size 32
		.amdhsa_user_sgpr_count 6
		.amdhsa_user_sgpr_private_segment_buffer 1
		.amdhsa_user_sgpr_dispatch_ptr 0
		.amdhsa_user_sgpr_queue_ptr 0
		.amdhsa_user_sgpr_kernarg_segment_ptr 1
		.amdhsa_user_sgpr_dispatch_id 0
		.amdhsa_user_sgpr_flat_scratch_init 0
		.amdhsa_user_sgpr_kernarg_preload_length 0
		.amdhsa_user_sgpr_kernarg_preload_offset 0
		.amdhsa_user_sgpr_private_segment_size 0
		.amdhsa_uses_dynamic_stack 0
		.amdhsa_system_sgpr_private_segment_wavefront_offset 0
		.amdhsa_system_sgpr_workgroup_id_x 1
		.amdhsa_system_sgpr_workgroup_id_y 0
		.amdhsa_system_sgpr_workgroup_id_z 0
		.amdhsa_system_sgpr_workgroup_info 0
		.amdhsa_system_vgpr_workitem_id 0
		.amdhsa_next_free_vgpr 1
		.amdhsa_next_free_sgpr 0
		.amdhsa_accum_offset 4
		.amdhsa_reserve_vcc 0
		.amdhsa_reserve_flat_scratch 0
		.amdhsa_float_round_mode_32 0
		.amdhsa_float_round_mode_16_64 0
		.amdhsa_float_denorm_mode_32 3
		.amdhsa_float_denorm_mode_16_64 3
		.amdhsa_dx10_clamp 1
		.amdhsa_ieee_mode 1
		.amdhsa_fp16_overflow 0
		.amdhsa_tg_split 0
		.amdhsa_exception_fp_ieee_invalid_op 0
		.amdhsa_exception_fp_denorm_src 0
		.amdhsa_exception_fp_ieee_div_zero 0
		.amdhsa_exception_fp_ieee_overflow 0
		.amdhsa_exception_fp_ieee_underflow 0
		.amdhsa_exception_fp_ieee_inexact 0
		.amdhsa_exception_int_div_zero 0
	.end_amdhsa_kernel
	.section	.text._ZN7rocprim17ROCPRIM_400000_NS6detail17trampoline_kernelINS0_14default_configENS1_20scan_config_selectorIiEEZZNS1_9scan_implILNS1_25lookback_scan_determinismE0ELb0ELb1ES3_N6thrust23THRUST_200600_302600_NS6detail15normal_iteratorINS9_10device_ptrIiEEEESE_iNS9_10multipliesIiEEiEEDaPvRmT3_T4_T5_mT6_P12ihipStream_tbENKUlT_T0_E_clISt17integral_constantIbLb0EESU_EEDaSP_SQ_EUlSP_E0_NS1_11comp_targetILNS1_3genE9ELNS1_11target_archE1100ELNS1_3gpuE3ELNS1_3repE0EEENS1_30default_config_static_selectorELNS0_4arch9wavefront6targetE1EEEvT1_,"axG",@progbits,_ZN7rocprim17ROCPRIM_400000_NS6detail17trampoline_kernelINS0_14default_configENS1_20scan_config_selectorIiEEZZNS1_9scan_implILNS1_25lookback_scan_determinismE0ELb0ELb1ES3_N6thrust23THRUST_200600_302600_NS6detail15normal_iteratorINS9_10device_ptrIiEEEESE_iNS9_10multipliesIiEEiEEDaPvRmT3_T4_T5_mT6_P12ihipStream_tbENKUlT_T0_E_clISt17integral_constantIbLb0EESU_EEDaSP_SQ_EUlSP_E0_NS1_11comp_targetILNS1_3genE9ELNS1_11target_archE1100ELNS1_3gpuE3ELNS1_3repE0EEENS1_30default_config_static_selectorELNS0_4arch9wavefront6targetE1EEEvT1_,comdat
.Lfunc_end604:
	.size	_ZN7rocprim17ROCPRIM_400000_NS6detail17trampoline_kernelINS0_14default_configENS1_20scan_config_selectorIiEEZZNS1_9scan_implILNS1_25lookback_scan_determinismE0ELb0ELb1ES3_N6thrust23THRUST_200600_302600_NS6detail15normal_iteratorINS9_10device_ptrIiEEEESE_iNS9_10multipliesIiEEiEEDaPvRmT3_T4_T5_mT6_P12ihipStream_tbENKUlT_T0_E_clISt17integral_constantIbLb0EESU_EEDaSP_SQ_EUlSP_E0_NS1_11comp_targetILNS1_3genE9ELNS1_11target_archE1100ELNS1_3gpuE3ELNS1_3repE0EEENS1_30default_config_static_selectorELNS0_4arch9wavefront6targetE1EEEvT1_, .Lfunc_end604-_ZN7rocprim17ROCPRIM_400000_NS6detail17trampoline_kernelINS0_14default_configENS1_20scan_config_selectorIiEEZZNS1_9scan_implILNS1_25lookback_scan_determinismE0ELb0ELb1ES3_N6thrust23THRUST_200600_302600_NS6detail15normal_iteratorINS9_10device_ptrIiEEEESE_iNS9_10multipliesIiEEiEEDaPvRmT3_T4_T5_mT6_P12ihipStream_tbENKUlT_T0_E_clISt17integral_constantIbLb0EESU_EEDaSP_SQ_EUlSP_E0_NS1_11comp_targetILNS1_3genE9ELNS1_11target_archE1100ELNS1_3gpuE3ELNS1_3repE0EEENS1_30default_config_static_selectorELNS0_4arch9wavefront6targetE1EEEvT1_
                                        ; -- End function
	.section	.AMDGPU.csdata,"",@progbits
; Kernel info:
; codeLenInByte = 0
; NumSgprs: 4
; NumVgprs: 0
; NumAgprs: 0
; TotalNumVgprs: 0
; ScratchSize: 0
; MemoryBound: 0
; FloatMode: 240
; IeeeMode: 1
; LDSByteSize: 0 bytes/workgroup (compile time only)
; SGPRBlocks: 0
; VGPRBlocks: 0
; NumSGPRsForWavesPerEU: 4
; NumVGPRsForWavesPerEU: 1
; AccumOffset: 4
; Occupancy: 8
; WaveLimiterHint : 0
; COMPUTE_PGM_RSRC2:SCRATCH_EN: 0
; COMPUTE_PGM_RSRC2:USER_SGPR: 6
; COMPUTE_PGM_RSRC2:TRAP_HANDLER: 0
; COMPUTE_PGM_RSRC2:TGID_X_EN: 1
; COMPUTE_PGM_RSRC2:TGID_Y_EN: 0
; COMPUTE_PGM_RSRC2:TGID_Z_EN: 0
; COMPUTE_PGM_RSRC2:TIDIG_COMP_CNT: 0
; COMPUTE_PGM_RSRC3_GFX90A:ACCUM_OFFSET: 0
; COMPUTE_PGM_RSRC3_GFX90A:TG_SPLIT: 0
	.section	.text._ZN7rocprim17ROCPRIM_400000_NS6detail17trampoline_kernelINS0_14default_configENS1_20scan_config_selectorIiEEZZNS1_9scan_implILNS1_25lookback_scan_determinismE0ELb0ELb1ES3_N6thrust23THRUST_200600_302600_NS6detail15normal_iteratorINS9_10device_ptrIiEEEESE_iNS9_10multipliesIiEEiEEDaPvRmT3_T4_T5_mT6_P12ihipStream_tbENKUlT_T0_E_clISt17integral_constantIbLb0EESU_EEDaSP_SQ_EUlSP_E0_NS1_11comp_targetILNS1_3genE8ELNS1_11target_archE1030ELNS1_3gpuE2ELNS1_3repE0EEENS1_30default_config_static_selectorELNS0_4arch9wavefront6targetE1EEEvT1_,"axG",@progbits,_ZN7rocprim17ROCPRIM_400000_NS6detail17trampoline_kernelINS0_14default_configENS1_20scan_config_selectorIiEEZZNS1_9scan_implILNS1_25lookback_scan_determinismE0ELb0ELb1ES3_N6thrust23THRUST_200600_302600_NS6detail15normal_iteratorINS9_10device_ptrIiEEEESE_iNS9_10multipliesIiEEiEEDaPvRmT3_T4_T5_mT6_P12ihipStream_tbENKUlT_T0_E_clISt17integral_constantIbLb0EESU_EEDaSP_SQ_EUlSP_E0_NS1_11comp_targetILNS1_3genE8ELNS1_11target_archE1030ELNS1_3gpuE2ELNS1_3repE0EEENS1_30default_config_static_selectorELNS0_4arch9wavefront6targetE1EEEvT1_,comdat
	.protected	_ZN7rocprim17ROCPRIM_400000_NS6detail17trampoline_kernelINS0_14default_configENS1_20scan_config_selectorIiEEZZNS1_9scan_implILNS1_25lookback_scan_determinismE0ELb0ELb1ES3_N6thrust23THRUST_200600_302600_NS6detail15normal_iteratorINS9_10device_ptrIiEEEESE_iNS9_10multipliesIiEEiEEDaPvRmT3_T4_T5_mT6_P12ihipStream_tbENKUlT_T0_E_clISt17integral_constantIbLb0EESU_EEDaSP_SQ_EUlSP_E0_NS1_11comp_targetILNS1_3genE8ELNS1_11target_archE1030ELNS1_3gpuE2ELNS1_3repE0EEENS1_30default_config_static_selectorELNS0_4arch9wavefront6targetE1EEEvT1_ ; -- Begin function _ZN7rocprim17ROCPRIM_400000_NS6detail17trampoline_kernelINS0_14default_configENS1_20scan_config_selectorIiEEZZNS1_9scan_implILNS1_25lookback_scan_determinismE0ELb0ELb1ES3_N6thrust23THRUST_200600_302600_NS6detail15normal_iteratorINS9_10device_ptrIiEEEESE_iNS9_10multipliesIiEEiEEDaPvRmT3_T4_T5_mT6_P12ihipStream_tbENKUlT_T0_E_clISt17integral_constantIbLb0EESU_EEDaSP_SQ_EUlSP_E0_NS1_11comp_targetILNS1_3genE8ELNS1_11target_archE1030ELNS1_3gpuE2ELNS1_3repE0EEENS1_30default_config_static_selectorELNS0_4arch9wavefront6targetE1EEEvT1_
	.globl	_ZN7rocprim17ROCPRIM_400000_NS6detail17trampoline_kernelINS0_14default_configENS1_20scan_config_selectorIiEEZZNS1_9scan_implILNS1_25lookback_scan_determinismE0ELb0ELb1ES3_N6thrust23THRUST_200600_302600_NS6detail15normal_iteratorINS9_10device_ptrIiEEEESE_iNS9_10multipliesIiEEiEEDaPvRmT3_T4_T5_mT6_P12ihipStream_tbENKUlT_T0_E_clISt17integral_constantIbLb0EESU_EEDaSP_SQ_EUlSP_E0_NS1_11comp_targetILNS1_3genE8ELNS1_11target_archE1030ELNS1_3gpuE2ELNS1_3repE0EEENS1_30default_config_static_selectorELNS0_4arch9wavefront6targetE1EEEvT1_
	.p2align	8
	.type	_ZN7rocprim17ROCPRIM_400000_NS6detail17trampoline_kernelINS0_14default_configENS1_20scan_config_selectorIiEEZZNS1_9scan_implILNS1_25lookback_scan_determinismE0ELb0ELb1ES3_N6thrust23THRUST_200600_302600_NS6detail15normal_iteratorINS9_10device_ptrIiEEEESE_iNS9_10multipliesIiEEiEEDaPvRmT3_T4_T5_mT6_P12ihipStream_tbENKUlT_T0_E_clISt17integral_constantIbLb0EESU_EEDaSP_SQ_EUlSP_E0_NS1_11comp_targetILNS1_3genE8ELNS1_11target_archE1030ELNS1_3gpuE2ELNS1_3repE0EEENS1_30default_config_static_selectorELNS0_4arch9wavefront6targetE1EEEvT1_,@function
_ZN7rocprim17ROCPRIM_400000_NS6detail17trampoline_kernelINS0_14default_configENS1_20scan_config_selectorIiEEZZNS1_9scan_implILNS1_25lookback_scan_determinismE0ELb0ELb1ES3_N6thrust23THRUST_200600_302600_NS6detail15normal_iteratorINS9_10device_ptrIiEEEESE_iNS9_10multipliesIiEEiEEDaPvRmT3_T4_T5_mT6_P12ihipStream_tbENKUlT_T0_E_clISt17integral_constantIbLb0EESU_EEDaSP_SQ_EUlSP_E0_NS1_11comp_targetILNS1_3genE8ELNS1_11target_archE1030ELNS1_3gpuE2ELNS1_3repE0EEENS1_30default_config_static_selectorELNS0_4arch9wavefront6targetE1EEEvT1_: ; @_ZN7rocprim17ROCPRIM_400000_NS6detail17trampoline_kernelINS0_14default_configENS1_20scan_config_selectorIiEEZZNS1_9scan_implILNS1_25lookback_scan_determinismE0ELb0ELb1ES3_N6thrust23THRUST_200600_302600_NS6detail15normal_iteratorINS9_10device_ptrIiEEEESE_iNS9_10multipliesIiEEiEEDaPvRmT3_T4_T5_mT6_P12ihipStream_tbENKUlT_T0_E_clISt17integral_constantIbLb0EESU_EEDaSP_SQ_EUlSP_E0_NS1_11comp_targetILNS1_3genE8ELNS1_11target_archE1030ELNS1_3gpuE2ELNS1_3repE0EEENS1_30default_config_static_selectorELNS0_4arch9wavefront6targetE1EEEvT1_
; %bb.0:
	.section	.rodata,"a",@progbits
	.p2align	6, 0x0
	.amdhsa_kernel _ZN7rocprim17ROCPRIM_400000_NS6detail17trampoline_kernelINS0_14default_configENS1_20scan_config_selectorIiEEZZNS1_9scan_implILNS1_25lookback_scan_determinismE0ELb0ELb1ES3_N6thrust23THRUST_200600_302600_NS6detail15normal_iteratorINS9_10device_ptrIiEEEESE_iNS9_10multipliesIiEEiEEDaPvRmT3_T4_T5_mT6_P12ihipStream_tbENKUlT_T0_E_clISt17integral_constantIbLb0EESU_EEDaSP_SQ_EUlSP_E0_NS1_11comp_targetILNS1_3genE8ELNS1_11target_archE1030ELNS1_3gpuE2ELNS1_3repE0EEENS1_30default_config_static_selectorELNS0_4arch9wavefront6targetE1EEEvT1_
		.amdhsa_group_segment_fixed_size 0
		.amdhsa_private_segment_fixed_size 0
		.amdhsa_kernarg_size 32
		.amdhsa_user_sgpr_count 6
		.amdhsa_user_sgpr_private_segment_buffer 1
		.amdhsa_user_sgpr_dispatch_ptr 0
		.amdhsa_user_sgpr_queue_ptr 0
		.amdhsa_user_sgpr_kernarg_segment_ptr 1
		.amdhsa_user_sgpr_dispatch_id 0
		.amdhsa_user_sgpr_flat_scratch_init 0
		.amdhsa_user_sgpr_kernarg_preload_length 0
		.amdhsa_user_sgpr_kernarg_preload_offset 0
		.amdhsa_user_sgpr_private_segment_size 0
		.amdhsa_uses_dynamic_stack 0
		.amdhsa_system_sgpr_private_segment_wavefront_offset 0
		.amdhsa_system_sgpr_workgroup_id_x 1
		.amdhsa_system_sgpr_workgroup_id_y 0
		.amdhsa_system_sgpr_workgroup_id_z 0
		.amdhsa_system_sgpr_workgroup_info 0
		.amdhsa_system_vgpr_workitem_id 0
		.amdhsa_next_free_vgpr 1
		.amdhsa_next_free_sgpr 0
		.amdhsa_accum_offset 4
		.amdhsa_reserve_vcc 0
		.amdhsa_reserve_flat_scratch 0
		.amdhsa_float_round_mode_32 0
		.amdhsa_float_round_mode_16_64 0
		.amdhsa_float_denorm_mode_32 3
		.amdhsa_float_denorm_mode_16_64 3
		.amdhsa_dx10_clamp 1
		.amdhsa_ieee_mode 1
		.amdhsa_fp16_overflow 0
		.amdhsa_tg_split 0
		.amdhsa_exception_fp_ieee_invalid_op 0
		.amdhsa_exception_fp_denorm_src 0
		.amdhsa_exception_fp_ieee_div_zero 0
		.amdhsa_exception_fp_ieee_overflow 0
		.amdhsa_exception_fp_ieee_underflow 0
		.amdhsa_exception_fp_ieee_inexact 0
		.amdhsa_exception_int_div_zero 0
	.end_amdhsa_kernel
	.section	.text._ZN7rocprim17ROCPRIM_400000_NS6detail17trampoline_kernelINS0_14default_configENS1_20scan_config_selectorIiEEZZNS1_9scan_implILNS1_25lookback_scan_determinismE0ELb0ELb1ES3_N6thrust23THRUST_200600_302600_NS6detail15normal_iteratorINS9_10device_ptrIiEEEESE_iNS9_10multipliesIiEEiEEDaPvRmT3_T4_T5_mT6_P12ihipStream_tbENKUlT_T0_E_clISt17integral_constantIbLb0EESU_EEDaSP_SQ_EUlSP_E0_NS1_11comp_targetILNS1_3genE8ELNS1_11target_archE1030ELNS1_3gpuE2ELNS1_3repE0EEENS1_30default_config_static_selectorELNS0_4arch9wavefront6targetE1EEEvT1_,"axG",@progbits,_ZN7rocprim17ROCPRIM_400000_NS6detail17trampoline_kernelINS0_14default_configENS1_20scan_config_selectorIiEEZZNS1_9scan_implILNS1_25lookback_scan_determinismE0ELb0ELb1ES3_N6thrust23THRUST_200600_302600_NS6detail15normal_iteratorINS9_10device_ptrIiEEEESE_iNS9_10multipliesIiEEiEEDaPvRmT3_T4_T5_mT6_P12ihipStream_tbENKUlT_T0_E_clISt17integral_constantIbLb0EESU_EEDaSP_SQ_EUlSP_E0_NS1_11comp_targetILNS1_3genE8ELNS1_11target_archE1030ELNS1_3gpuE2ELNS1_3repE0EEENS1_30default_config_static_selectorELNS0_4arch9wavefront6targetE1EEEvT1_,comdat
.Lfunc_end605:
	.size	_ZN7rocprim17ROCPRIM_400000_NS6detail17trampoline_kernelINS0_14default_configENS1_20scan_config_selectorIiEEZZNS1_9scan_implILNS1_25lookback_scan_determinismE0ELb0ELb1ES3_N6thrust23THRUST_200600_302600_NS6detail15normal_iteratorINS9_10device_ptrIiEEEESE_iNS9_10multipliesIiEEiEEDaPvRmT3_T4_T5_mT6_P12ihipStream_tbENKUlT_T0_E_clISt17integral_constantIbLb0EESU_EEDaSP_SQ_EUlSP_E0_NS1_11comp_targetILNS1_3genE8ELNS1_11target_archE1030ELNS1_3gpuE2ELNS1_3repE0EEENS1_30default_config_static_selectorELNS0_4arch9wavefront6targetE1EEEvT1_, .Lfunc_end605-_ZN7rocprim17ROCPRIM_400000_NS6detail17trampoline_kernelINS0_14default_configENS1_20scan_config_selectorIiEEZZNS1_9scan_implILNS1_25lookback_scan_determinismE0ELb0ELb1ES3_N6thrust23THRUST_200600_302600_NS6detail15normal_iteratorINS9_10device_ptrIiEEEESE_iNS9_10multipliesIiEEiEEDaPvRmT3_T4_T5_mT6_P12ihipStream_tbENKUlT_T0_E_clISt17integral_constantIbLb0EESU_EEDaSP_SQ_EUlSP_E0_NS1_11comp_targetILNS1_3genE8ELNS1_11target_archE1030ELNS1_3gpuE2ELNS1_3repE0EEENS1_30default_config_static_selectorELNS0_4arch9wavefront6targetE1EEEvT1_
                                        ; -- End function
	.section	.AMDGPU.csdata,"",@progbits
; Kernel info:
; codeLenInByte = 0
; NumSgprs: 4
; NumVgprs: 0
; NumAgprs: 0
; TotalNumVgprs: 0
; ScratchSize: 0
; MemoryBound: 0
; FloatMode: 240
; IeeeMode: 1
; LDSByteSize: 0 bytes/workgroup (compile time only)
; SGPRBlocks: 0
; VGPRBlocks: 0
; NumSGPRsForWavesPerEU: 4
; NumVGPRsForWavesPerEU: 1
; AccumOffset: 4
; Occupancy: 8
; WaveLimiterHint : 0
; COMPUTE_PGM_RSRC2:SCRATCH_EN: 0
; COMPUTE_PGM_RSRC2:USER_SGPR: 6
; COMPUTE_PGM_RSRC2:TRAP_HANDLER: 0
; COMPUTE_PGM_RSRC2:TGID_X_EN: 1
; COMPUTE_PGM_RSRC2:TGID_Y_EN: 0
; COMPUTE_PGM_RSRC2:TGID_Z_EN: 0
; COMPUTE_PGM_RSRC2:TIDIG_COMP_CNT: 0
; COMPUTE_PGM_RSRC3_GFX90A:ACCUM_OFFSET: 0
; COMPUTE_PGM_RSRC3_GFX90A:TG_SPLIT: 0
	.section	.text._ZN7rocprim17ROCPRIM_400000_NS6detail17trampoline_kernelINS0_14default_configENS1_20scan_config_selectorIiEEZZNS1_9scan_implILNS1_25lookback_scan_determinismE0ELb0ELb1ES3_N6thrust23THRUST_200600_302600_NS6detail15normal_iteratorINS9_10device_ptrIiEEEESE_iNS9_10multipliesIiEEiEEDaPvRmT3_T4_T5_mT6_P12ihipStream_tbENKUlT_T0_E_clISt17integral_constantIbLb1EESU_EEDaSP_SQ_EUlSP_E_NS1_11comp_targetILNS1_3genE0ELNS1_11target_archE4294967295ELNS1_3gpuE0ELNS1_3repE0EEENS1_30default_config_static_selectorELNS0_4arch9wavefront6targetE1EEEvT1_,"axG",@progbits,_ZN7rocprim17ROCPRIM_400000_NS6detail17trampoline_kernelINS0_14default_configENS1_20scan_config_selectorIiEEZZNS1_9scan_implILNS1_25lookback_scan_determinismE0ELb0ELb1ES3_N6thrust23THRUST_200600_302600_NS6detail15normal_iteratorINS9_10device_ptrIiEEEESE_iNS9_10multipliesIiEEiEEDaPvRmT3_T4_T5_mT6_P12ihipStream_tbENKUlT_T0_E_clISt17integral_constantIbLb1EESU_EEDaSP_SQ_EUlSP_E_NS1_11comp_targetILNS1_3genE0ELNS1_11target_archE4294967295ELNS1_3gpuE0ELNS1_3repE0EEENS1_30default_config_static_selectorELNS0_4arch9wavefront6targetE1EEEvT1_,comdat
	.protected	_ZN7rocprim17ROCPRIM_400000_NS6detail17trampoline_kernelINS0_14default_configENS1_20scan_config_selectorIiEEZZNS1_9scan_implILNS1_25lookback_scan_determinismE0ELb0ELb1ES3_N6thrust23THRUST_200600_302600_NS6detail15normal_iteratorINS9_10device_ptrIiEEEESE_iNS9_10multipliesIiEEiEEDaPvRmT3_T4_T5_mT6_P12ihipStream_tbENKUlT_T0_E_clISt17integral_constantIbLb1EESU_EEDaSP_SQ_EUlSP_E_NS1_11comp_targetILNS1_3genE0ELNS1_11target_archE4294967295ELNS1_3gpuE0ELNS1_3repE0EEENS1_30default_config_static_selectorELNS0_4arch9wavefront6targetE1EEEvT1_ ; -- Begin function _ZN7rocprim17ROCPRIM_400000_NS6detail17trampoline_kernelINS0_14default_configENS1_20scan_config_selectorIiEEZZNS1_9scan_implILNS1_25lookback_scan_determinismE0ELb0ELb1ES3_N6thrust23THRUST_200600_302600_NS6detail15normal_iteratorINS9_10device_ptrIiEEEESE_iNS9_10multipliesIiEEiEEDaPvRmT3_T4_T5_mT6_P12ihipStream_tbENKUlT_T0_E_clISt17integral_constantIbLb1EESU_EEDaSP_SQ_EUlSP_E_NS1_11comp_targetILNS1_3genE0ELNS1_11target_archE4294967295ELNS1_3gpuE0ELNS1_3repE0EEENS1_30default_config_static_selectorELNS0_4arch9wavefront6targetE1EEEvT1_
	.globl	_ZN7rocprim17ROCPRIM_400000_NS6detail17trampoline_kernelINS0_14default_configENS1_20scan_config_selectorIiEEZZNS1_9scan_implILNS1_25lookback_scan_determinismE0ELb0ELb1ES3_N6thrust23THRUST_200600_302600_NS6detail15normal_iteratorINS9_10device_ptrIiEEEESE_iNS9_10multipliesIiEEiEEDaPvRmT3_T4_T5_mT6_P12ihipStream_tbENKUlT_T0_E_clISt17integral_constantIbLb1EESU_EEDaSP_SQ_EUlSP_E_NS1_11comp_targetILNS1_3genE0ELNS1_11target_archE4294967295ELNS1_3gpuE0ELNS1_3repE0EEENS1_30default_config_static_selectorELNS0_4arch9wavefront6targetE1EEEvT1_
	.p2align	8
	.type	_ZN7rocprim17ROCPRIM_400000_NS6detail17trampoline_kernelINS0_14default_configENS1_20scan_config_selectorIiEEZZNS1_9scan_implILNS1_25lookback_scan_determinismE0ELb0ELb1ES3_N6thrust23THRUST_200600_302600_NS6detail15normal_iteratorINS9_10device_ptrIiEEEESE_iNS9_10multipliesIiEEiEEDaPvRmT3_T4_T5_mT6_P12ihipStream_tbENKUlT_T0_E_clISt17integral_constantIbLb1EESU_EEDaSP_SQ_EUlSP_E_NS1_11comp_targetILNS1_3genE0ELNS1_11target_archE4294967295ELNS1_3gpuE0ELNS1_3repE0EEENS1_30default_config_static_selectorELNS0_4arch9wavefront6targetE1EEEvT1_,@function
_ZN7rocprim17ROCPRIM_400000_NS6detail17trampoline_kernelINS0_14default_configENS1_20scan_config_selectorIiEEZZNS1_9scan_implILNS1_25lookback_scan_determinismE0ELb0ELb1ES3_N6thrust23THRUST_200600_302600_NS6detail15normal_iteratorINS9_10device_ptrIiEEEESE_iNS9_10multipliesIiEEiEEDaPvRmT3_T4_T5_mT6_P12ihipStream_tbENKUlT_T0_E_clISt17integral_constantIbLb1EESU_EEDaSP_SQ_EUlSP_E_NS1_11comp_targetILNS1_3genE0ELNS1_11target_archE4294967295ELNS1_3gpuE0ELNS1_3repE0EEENS1_30default_config_static_selectorELNS0_4arch9wavefront6targetE1EEEvT1_: ; @_ZN7rocprim17ROCPRIM_400000_NS6detail17trampoline_kernelINS0_14default_configENS1_20scan_config_selectorIiEEZZNS1_9scan_implILNS1_25lookback_scan_determinismE0ELb0ELb1ES3_N6thrust23THRUST_200600_302600_NS6detail15normal_iteratorINS9_10device_ptrIiEEEESE_iNS9_10multipliesIiEEiEEDaPvRmT3_T4_T5_mT6_P12ihipStream_tbENKUlT_T0_E_clISt17integral_constantIbLb1EESU_EEDaSP_SQ_EUlSP_E_NS1_11comp_targetILNS1_3genE0ELNS1_11target_archE4294967295ELNS1_3gpuE0ELNS1_3repE0EEENS1_30default_config_static_selectorELNS0_4arch9wavefront6targetE1EEEvT1_
; %bb.0:
	.section	.rodata,"a",@progbits
	.p2align	6, 0x0
	.amdhsa_kernel _ZN7rocprim17ROCPRIM_400000_NS6detail17trampoline_kernelINS0_14default_configENS1_20scan_config_selectorIiEEZZNS1_9scan_implILNS1_25lookback_scan_determinismE0ELb0ELb1ES3_N6thrust23THRUST_200600_302600_NS6detail15normal_iteratorINS9_10device_ptrIiEEEESE_iNS9_10multipliesIiEEiEEDaPvRmT3_T4_T5_mT6_P12ihipStream_tbENKUlT_T0_E_clISt17integral_constantIbLb1EESU_EEDaSP_SQ_EUlSP_E_NS1_11comp_targetILNS1_3genE0ELNS1_11target_archE4294967295ELNS1_3gpuE0ELNS1_3repE0EEENS1_30default_config_static_selectorELNS0_4arch9wavefront6targetE1EEEvT1_
		.amdhsa_group_segment_fixed_size 0
		.amdhsa_private_segment_fixed_size 0
		.amdhsa_kernarg_size 96
		.amdhsa_user_sgpr_count 6
		.amdhsa_user_sgpr_private_segment_buffer 1
		.amdhsa_user_sgpr_dispatch_ptr 0
		.amdhsa_user_sgpr_queue_ptr 0
		.amdhsa_user_sgpr_kernarg_segment_ptr 1
		.amdhsa_user_sgpr_dispatch_id 0
		.amdhsa_user_sgpr_flat_scratch_init 0
		.amdhsa_user_sgpr_kernarg_preload_length 0
		.amdhsa_user_sgpr_kernarg_preload_offset 0
		.amdhsa_user_sgpr_private_segment_size 0
		.amdhsa_uses_dynamic_stack 0
		.amdhsa_system_sgpr_private_segment_wavefront_offset 0
		.amdhsa_system_sgpr_workgroup_id_x 1
		.amdhsa_system_sgpr_workgroup_id_y 0
		.amdhsa_system_sgpr_workgroup_id_z 0
		.amdhsa_system_sgpr_workgroup_info 0
		.amdhsa_system_vgpr_workitem_id 0
		.amdhsa_next_free_vgpr 1
		.amdhsa_next_free_sgpr 0
		.amdhsa_accum_offset 4
		.amdhsa_reserve_vcc 0
		.amdhsa_reserve_flat_scratch 0
		.amdhsa_float_round_mode_32 0
		.amdhsa_float_round_mode_16_64 0
		.amdhsa_float_denorm_mode_32 3
		.amdhsa_float_denorm_mode_16_64 3
		.amdhsa_dx10_clamp 1
		.amdhsa_ieee_mode 1
		.amdhsa_fp16_overflow 0
		.amdhsa_tg_split 0
		.amdhsa_exception_fp_ieee_invalid_op 0
		.amdhsa_exception_fp_denorm_src 0
		.amdhsa_exception_fp_ieee_div_zero 0
		.amdhsa_exception_fp_ieee_overflow 0
		.amdhsa_exception_fp_ieee_underflow 0
		.amdhsa_exception_fp_ieee_inexact 0
		.amdhsa_exception_int_div_zero 0
	.end_amdhsa_kernel
	.section	.text._ZN7rocprim17ROCPRIM_400000_NS6detail17trampoline_kernelINS0_14default_configENS1_20scan_config_selectorIiEEZZNS1_9scan_implILNS1_25lookback_scan_determinismE0ELb0ELb1ES3_N6thrust23THRUST_200600_302600_NS6detail15normal_iteratorINS9_10device_ptrIiEEEESE_iNS9_10multipliesIiEEiEEDaPvRmT3_T4_T5_mT6_P12ihipStream_tbENKUlT_T0_E_clISt17integral_constantIbLb1EESU_EEDaSP_SQ_EUlSP_E_NS1_11comp_targetILNS1_3genE0ELNS1_11target_archE4294967295ELNS1_3gpuE0ELNS1_3repE0EEENS1_30default_config_static_selectorELNS0_4arch9wavefront6targetE1EEEvT1_,"axG",@progbits,_ZN7rocprim17ROCPRIM_400000_NS6detail17trampoline_kernelINS0_14default_configENS1_20scan_config_selectorIiEEZZNS1_9scan_implILNS1_25lookback_scan_determinismE0ELb0ELb1ES3_N6thrust23THRUST_200600_302600_NS6detail15normal_iteratorINS9_10device_ptrIiEEEESE_iNS9_10multipliesIiEEiEEDaPvRmT3_T4_T5_mT6_P12ihipStream_tbENKUlT_T0_E_clISt17integral_constantIbLb1EESU_EEDaSP_SQ_EUlSP_E_NS1_11comp_targetILNS1_3genE0ELNS1_11target_archE4294967295ELNS1_3gpuE0ELNS1_3repE0EEENS1_30default_config_static_selectorELNS0_4arch9wavefront6targetE1EEEvT1_,comdat
.Lfunc_end606:
	.size	_ZN7rocprim17ROCPRIM_400000_NS6detail17trampoline_kernelINS0_14default_configENS1_20scan_config_selectorIiEEZZNS1_9scan_implILNS1_25lookback_scan_determinismE0ELb0ELb1ES3_N6thrust23THRUST_200600_302600_NS6detail15normal_iteratorINS9_10device_ptrIiEEEESE_iNS9_10multipliesIiEEiEEDaPvRmT3_T4_T5_mT6_P12ihipStream_tbENKUlT_T0_E_clISt17integral_constantIbLb1EESU_EEDaSP_SQ_EUlSP_E_NS1_11comp_targetILNS1_3genE0ELNS1_11target_archE4294967295ELNS1_3gpuE0ELNS1_3repE0EEENS1_30default_config_static_selectorELNS0_4arch9wavefront6targetE1EEEvT1_, .Lfunc_end606-_ZN7rocprim17ROCPRIM_400000_NS6detail17trampoline_kernelINS0_14default_configENS1_20scan_config_selectorIiEEZZNS1_9scan_implILNS1_25lookback_scan_determinismE0ELb0ELb1ES3_N6thrust23THRUST_200600_302600_NS6detail15normal_iteratorINS9_10device_ptrIiEEEESE_iNS9_10multipliesIiEEiEEDaPvRmT3_T4_T5_mT6_P12ihipStream_tbENKUlT_T0_E_clISt17integral_constantIbLb1EESU_EEDaSP_SQ_EUlSP_E_NS1_11comp_targetILNS1_3genE0ELNS1_11target_archE4294967295ELNS1_3gpuE0ELNS1_3repE0EEENS1_30default_config_static_selectorELNS0_4arch9wavefront6targetE1EEEvT1_
                                        ; -- End function
	.section	.AMDGPU.csdata,"",@progbits
; Kernel info:
; codeLenInByte = 0
; NumSgprs: 4
; NumVgprs: 0
; NumAgprs: 0
; TotalNumVgprs: 0
; ScratchSize: 0
; MemoryBound: 0
; FloatMode: 240
; IeeeMode: 1
; LDSByteSize: 0 bytes/workgroup (compile time only)
; SGPRBlocks: 0
; VGPRBlocks: 0
; NumSGPRsForWavesPerEU: 4
; NumVGPRsForWavesPerEU: 1
; AccumOffset: 4
; Occupancy: 8
; WaveLimiterHint : 0
; COMPUTE_PGM_RSRC2:SCRATCH_EN: 0
; COMPUTE_PGM_RSRC2:USER_SGPR: 6
; COMPUTE_PGM_RSRC2:TRAP_HANDLER: 0
; COMPUTE_PGM_RSRC2:TGID_X_EN: 1
; COMPUTE_PGM_RSRC2:TGID_Y_EN: 0
; COMPUTE_PGM_RSRC2:TGID_Z_EN: 0
; COMPUTE_PGM_RSRC2:TIDIG_COMP_CNT: 0
; COMPUTE_PGM_RSRC3_GFX90A:ACCUM_OFFSET: 0
; COMPUTE_PGM_RSRC3_GFX90A:TG_SPLIT: 0
	.section	.text._ZN7rocprim17ROCPRIM_400000_NS6detail17trampoline_kernelINS0_14default_configENS1_20scan_config_selectorIiEEZZNS1_9scan_implILNS1_25lookback_scan_determinismE0ELb0ELb1ES3_N6thrust23THRUST_200600_302600_NS6detail15normal_iteratorINS9_10device_ptrIiEEEESE_iNS9_10multipliesIiEEiEEDaPvRmT3_T4_T5_mT6_P12ihipStream_tbENKUlT_T0_E_clISt17integral_constantIbLb1EESU_EEDaSP_SQ_EUlSP_E_NS1_11comp_targetILNS1_3genE5ELNS1_11target_archE942ELNS1_3gpuE9ELNS1_3repE0EEENS1_30default_config_static_selectorELNS0_4arch9wavefront6targetE1EEEvT1_,"axG",@progbits,_ZN7rocprim17ROCPRIM_400000_NS6detail17trampoline_kernelINS0_14default_configENS1_20scan_config_selectorIiEEZZNS1_9scan_implILNS1_25lookback_scan_determinismE0ELb0ELb1ES3_N6thrust23THRUST_200600_302600_NS6detail15normal_iteratorINS9_10device_ptrIiEEEESE_iNS9_10multipliesIiEEiEEDaPvRmT3_T4_T5_mT6_P12ihipStream_tbENKUlT_T0_E_clISt17integral_constantIbLb1EESU_EEDaSP_SQ_EUlSP_E_NS1_11comp_targetILNS1_3genE5ELNS1_11target_archE942ELNS1_3gpuE9ELNS1_3repE0EEENS1_30default_config_static_selectorELNS0_4arch9wavefront6targetE1EEEvT1_,comdat
	.protected	_ZN7rocprim17ROCPRIM_400000_NS6detail17trampoline_kernelINS0_14default_configENS1_20scan_config_selectorIiEEZZNS1_9scan_implILNS1_25lookback_scan_determinismE0ELb0ELb1ES3_N6thrust23THRUST_200600_302600_NS6detail15normal_iteratorINS9_10device_ptrIiEEEESE_iNS9_10multipliesIiEEiEEDaPvRmT3_T4_T5_mT6_P12ihipStream_tbENKUlT_T0_E_clISt17integral_constantIbLb1EESU_EEDaSP_SQ_EUlSP_E_NS1_11comp_targetILNS1_3genE5ELNS1_11target_archE942ELNS1_3gpuE9ELNS1_3repE0EEENS1_30default_config_static_selectorELNS0_4arch9wavefront6targetE1EEEvT1_ ; -- Begin function _ZN7rocprim17ROCPRIM_400000_NS6detail17trampoline_kernelINS0_14default_configENS1_20scan_config_selectorIiEEZZNS1_9scan_implILNS1_25lookback_scan_determinismE0ELb0ELb1ES3_N6thrust23THRUST_200600_302600_NS6detail15normal_iteratorINS9_10device_ptrIiEEEESE_iNS9_10multipliesIiEEiEEDaPvRmT3_T4_T5_mT6_P12ihipStream_tbENKUlT_T0_E_clISt17integral_constantIbLb1EESU_EEDaSP_SQ_EUlSP_E_NS1_11comp_targetILNS1_3genE5ELNS1_11target_archE942ELNS1_3gpuE9ELNS1_3repE0EEENS1_30default_config_static_selectorELNS0_4arch9wavefront6targetE1EEEvT1_
	.globl	_ZN7rocprim17ROCPRIM_400000_NS6detail17trampoline_kernelINS0_14default_configENS1_20scan_config_selectorIiEEZZNS1_9scan_implILNS1_25lookback_scan_determinismE0ELb0ELb1ES3_N6thrust23THRUST_200600_302600_NS6detail15normal_iteratorINS9_10device_ptrIiEEEESE_iNS9_10multipliesIiEEiEEDaPvRmT3_T4_T5_mT6_P12ihipStream_tbENKUlT_T0_E_clISt17integral_constantIbLb1EESU_EEDaSP_SQ_EUlSP_E_NS1_11comp_targetILNS1_3genE5ELNS1_11target_archE942ELNS1_3gpuE9ELNS1_3repE0EEENS1_30default_config_static_selectorELNS0_4arch9wavefront6targetE1EEEvT1_
	.p2align	8
	.type	_ZN7rocprim17ROCPRIM_400000_NS6detail17trampoline_kernelINS0_14default_configENS1_20scan_config_selectorIiEEZZNS1_9scan_implILNS1_25lookback_scan_determinismE0ELb0ELb1ES3_N6thrust23THRUST_200600_302600_NS6detail15normal_iteratorINS9_10device_ptrIiEEEESE_iNS9_10multipliesIiEEiEEDaPvRmT3_T4_T5_mT6_P12ihipStream_tbENKUlT_T0_E_clISt17integral_constantIbLb1EESU_EEDaSP_SQ_EUlSP_E_NS1_11comp_targetILNS1_3genE5ELNS1_11target_archE942ELNS1_3gpuE9ELNS1_3repE0EEENS1_30default_config_static_selectorELNS0_4arch9wavefront6targetE1EEEvT1_,@function
_ZN7rocprim17ROCPRIM_400000_NS6detail17trampoline_kernelINS0_14default_configENS1_20scan_config_selectorIiEEZZNS1_9scan_implILNS1_25lookback_scan_determinismE0ELb0ELb1ES3_N6thrust23THRUST_200600_302600_NS6detail15normal_iteratorINS9_10device_ptrIiEEEESE_iNS9_10multipliesIiEEiEEDaPvRmT3_T4_T5_mT6_P12ihipStream_tbENKUlT_T0_E_clISt17integral_constantIbLb1EESU_EEDaSP_SQ_EUlSP_E_NS1_11comp_targetILNS1_3genE5ELNS1_11target_archE942ELNS1_3gpuE9ELNS1_3repE0EEENS1_30default_config_static_selectorELNS0_4arch9wavefront6targetE1EEEvT1_: ; @_ZN7rocprim17ROCPRIM_400000_NS6detail17trampoline_kernelINS0_14default_configENS1_20scan_config_selectorIiEEZZNS1_9scan_implILNS1_25lookback_scan_determinismE0ELb0ELb1ES3_N6thrust23THRUST_200600_302600_NS6detail15normal_iteratorINS9_10device_ptrIiEEEESE_iNS9_10multipliesIiEEiEEDaPvRmT3_T4_T5_mT6_P12ihipStream_tbENKUlT_T0_E_clISt17integral_constantIbLb1EESU_EEDaSP_SQ_EUlSP_E_NS1_11comp_targetILNS1_3genE5ELNS1_11target_archE942ELNS1_3gpuE9ELNS1_3repE0EEENS1_30default_config_static_selectorELNS0_4arch9wavefront6targetE1EEEvT1_
; %bb.0:
	.section	.rodata,"a",@progbits
	.p2align	6, 0x0
	.amdhsa_kernel _ZN7rocprim17ROCPRIM_400000_NS6detail17trampoline_kernelINS0_14default_configENS1_20scan_config_selectorIiEEZZNS1_9scan_implILNS1_25lookback_scan_determinismE0ELb0ELb1ES3_N6thrust23THRUST_200600_302600_NS6detail15normal_iteratorINS9_10device_ptrIiEEEESE_iNS9_10multipliesIiEEiEEDaPvRmT3_T4_T5_mT6_P12ihipStream_tbENKUlT_T0_E_clISt17integral_constantIbLb1EESU_EEDaSP_SQ_EUlSP_E_NS1_11comp_targetILNS1_3genE5ELNS1_11target_archE942ELNS1_3gpuE9ELNS1_3repE0EEENS1_30default_config_static_selectorELNS0_4arch9wavefront6targetE1EEEvT1_
		.amdhsa_group_segment_fixed_size 0
		.amdhsa_private_segment_fixed_size 0
		.amdhsa_kernarg_size 96
		.amdhsa_user_sgpr_count 6
		.amdhsa_user_sgpr_private_segment_buffer 1
		.amdhsa_user_sgpr_dispatch_ptr 0
		.amdhsa_user_sgpr_queue_ptr 0
		.amdhsa_user_sgpr_kernarg_segment_ptr 1
		.amdhsa_user_sgpr_dispatch_id 0
		.amdhsa_user_sgpr_flat_scratch_init 0
		.amdhsa_user_sgpr_kernarg_preload_length 0
		.amdhsa_user_sgpr_kernarg_preload_offset 0
		.amdhsa_user_sgpr_private_segment_size 0
		.amdhsa_uses_dynamic_stack 0
		.amdhsa_system_sgpr_private_segment_wavefront_offset 0
		.amdhsa_system_sgpr_workgroup_id_x 1
		.amdhsa_system_sgpr_workgroup_id_y 0
		.amdhsa_system_sgpr_workgroup_id_z 0
		.amdhsa_system_sgpr_workgroup_info 0
		.amdhsa_system_vgpr_workitem_id 0
		.amdhsa_next_free_vgpr 1
		.amdhsa_next_free_sgpr 0
		.amdhsa_accum_offset 4
		.amdhsa_reserve_vcc 0
		.amdhsa_reserve_flat_scratch 0
		.amdhsa_float_round_mode_32 0
		.amdhsa_float_round_mode_16_64 0
		.amdhsa_float_denorm_mode_32 3
		.amdhsa_float_denorm_mode_16_64 3
		.amdhsa_dx10_clamp 1
		.amdhsa_ieee_mode 1
		.amdhsa_fp16_overflow 0
		.amdhsa_tg_split 0
		.amdhsa_exception_fp_ieee_invalid_op 0
		.amdhsa_exception_fp_denorm_src 0
		.amdhsa_exception_fp_ieee_div_zero 0
		.amdhsa_exception_fp_ieee_overflow 0
		.amdhsa_exception_fp_ieee_underflow 0
		.amdhsa_exception_fp_ieee_inexact 0
		.amdhsa_exception_int_div_zero 0
	.end_amdhsa_kernel
	.section	.text._ZN7rocprim17ROCPRIM_400000_NS6detail17trampoline_kernelINS0_14default_configENS1_20scan_config_selectorIiEEZZNS1_9scan_implILNS1_25lookback_scan_determinismE0ELb0ELb1ES3_N6thrust23THRUST_200600_302600_NS6detail15normal_iteratorINS9_10device_ptrIiEEEESE_iNS9_10multipliesIiEEiEEDaPvRmT3_T4_T5_mT6_P12ihipStream_tbENKUlT_T0_E_clISt17integral_constantIbLb1EESU_EEDaSP_SQ_EUlSP_E_NS1_11comp_targetILNS1_3genE5ELNS1_11target_archE942ELNS1_3gpuE9ELNS1_3repE0EEENS1_30default_config_static_selectorELNS0_4arch9wavefront6targetE1EEEvT1_,"axG",@progbits,_ZN7rocprim17ROCPRIM_400000_NS6detail17trampoline_kernelINS0_14default_configENS1_20scan_config_selectorIiEEZZNS1_9scan_implILNS1_25lookback_scan_determinismE0ELb0ELb1ES3_N6thrust23THRUST_200600_302600_NS6detail15normal_iteratorINS9_10device_ptrIiEEEESE_iNS9_10multipliesIiEEiEEDaPvRmT3_T4_T5_mT6_P12ihipStream_tbENKUlT_T0_E_clISt17integral_constantIbLb1EESU_EEDaSP_SQ_EUlSP_E_NS1_11comp_targetILNS1_3genE5ELNS1_11target_archE942ELNS1_3gpuE9ELNS1_3repE0EEENS1_30default_config_static_selectorELNS0_4arch9wavefront6targetE1EEEvT1_,comdat
.Lfunc_end607:
	.size	_ZN7rocprim17ROCPRIM_400000_NS6detail17trampoline_kernelINS0_14default_configENS1_20scan_config_selectorIiEEZZNS1_9scan_implILNS1_25lookback_scan_determinismE0ELb0ELb1ES3_N6thrust23THRUST_200600_302600_NS6detail15normal_iteratorINS9_10device_ptrIiEEEESE_iNS9_10multipliesIiEEiEEDaPvRmT3_T4_T5_mT6_P12ihipStream_tbENKUlT_T0_E_clISt17integral_constantIbLb1EESU_EEDaSP_SQ_EUlSP_E_NS1_11comp_targetILNS1_3genE5ELNS1_11target_archE942ELNS1_3gpuE9ELNS1_3repE0EEENS1_30default_config_static_selectorELNS0_4arch9wavefront6targetE1EEEvT1_, .Lfunc_end607-_ZN7rocprim17ROCPRIM_400000_NS6detail17trampoline_kernelINS0_14default_configENS1_20scan_config_selectorIiEEZZNS1_9scan_implILNS1_25lookback_scan_determinismE0ELb0ELb1ES3_N6thrust23THRUST_200600_302600_NS6detail15normal_iteratorINS9_10device_ptrIiEEEESE_iNS9_10multipliesIiEEiEEDaPvRmT3_T4_T5_mT6_P12ihipStream_tbENKUlT_T0_E_clISt17integral_constantIbLb1EESU_EEDaSP_SQ_EUlSP_E_NS1_11comp_targetILNS1_3genE5ELNS1_11target_archE942ELNS1_3gpuE9ELNS1_3repE0EEENS1_30default_config_static_selectorELNS0_4arch9wavefront6targetE1EEEvT1_
                                        ; -- End function
	.section	.AMDGPU.csdata,"",@progbits
; Kernel info:
; codeLenInByte = 0
; NumSgprs: 4
; NumVgprs: 0
; NumAgprs: 0
; TotalNumVgprs: 0
; ScratchSize: 0
; MemoryBound: 0
; FloatMode: 240
; IeeeMode: 1
; LDSByteSize: 0 bytes/workgroup (compile time only)
; SGPRBlocks: 0
; VGPRBlocks: 0
; NumSGPRsForWavesPerEU: 4
; NumVGPRsForWavesPerEU: 1
; AccumOffset: 4
; Occupancy: 8
; WaveLimiterHint : 0
; COMPUTE_PGM_RSRC2:SCRATCH_EN: 0
; COMPUTE_PGM_RSRC2:USER_SGPR: 6
; COMPUTE_PGM_RSRC2:TRAP_HANDLER: 0
; COMPUTE_PGM_RSRC2:TGID_X_EN: 1
; COMPUTE_PGM_RSRC2:TGID_Y_EN: 0
; COMPUTE_PGM_RSRC2:TGID_Z_EN: 0
; COMPUTE_PGM_RSRC2:TIDIG_COMP_CNT: 0
; COMPUTE_PGM_RSRC3_GFX90A:ACCUM_OFFSET: 0
; COMPUTE_PGM_RSRC3_GFX90A:TG_SPLIT: 0
	.section	.text._ZN7rocprim17ROCPRIM_400000_NS6detail17trampoline_kernelINS0_14default_configENS1_20scan_config_selectorIiEEZZNS1_9scan_implILNS1_25lookback_scan_determinismE0ELb0ELb1ES3_N6thrust23THRUST_200600_302600_NS6detail15normal_iteratorINS9_10device_ptrIiEEEESE_iNS9_10multipliesIiEEiEEDaPvRmT3_T4_T5_mT6_P12ihipStream_tbENKUlT_T0_E_clISt17integral_constantIbLb1EESU_EEDaSP_SQ_EUlSP_E_NS1_11comp_targetILNS1_3genE4ELNS1_11target_archE910ELNS1_3gpuE8ELNS1_3repE0EEENS1_30default_config_static_selectorELNS0_4arch9wavefront6targetE1EEEvT1_,"axG",@progbits,_ZN7rocprim17ROCPRIM_400000_NS6detail17trampoline_kernelINS0_14default_configENS1_20scan_config_selectorIiEEZZNS1_9scan_implILNS1_25lookback_scan_determinismE0ELb0ELb1ES3_N6thrust23THRUST_200600_302600_NS6detail15normal_iteratorINS9_10device_ptrIiEEEESE_iNS9_10multipliesIiEEiEEDaPvRmT3_T4_T5_mT6_P12ihipStream_tbENKUlT_T0_E_clISt17integral_constantIbLb1EESU_EEDaSP_SQ_EUlSP_E_NS1_11comp_targetILNS1_3genE4ELNS1_11target_archE910ELNS1_3gpuE8ELNS1_3repE0EEENS1_30default_config_static_selectorELNS0_4arch9wavefront6targetE1EEEvT1_,comdat
	.protected	_ZN7rocprim17ROCPRIM_400000_NS6detail17trampoline_kernelINS0_14default_configENS1_20scan_config_selectorIiEEZZNS1_9scan_implILNS1_25lookback_scan_determinismE0ELb0ELb1ES3_N6thrust23THRUST_200600_302600_NS6detail15normal_iteratorINS9_10device_ptrIiEEEESE_iNS9_10multipliesIiEEiEEDaPvRmT3_T4_T5_mT6_P12ihipStream_tbENKUlT_T0_E_clISt17integral_constantIbLb1EESU_EEDaSP_SQ_EUlSP_E_NS1_11comp_targetILNS1_3genE4ELNS1_11target_archE910ELNS1_3gpuE8ELNS1_3repE0EEENS1_30default_config_static_selectorELNS0_4arch9wavefront6targetE1EEEvT1_ ; -- Begin function _ZN7rocprim17ROCPRIM_400000_NS6detail17trampoline_kernelINS0_14default_configENS1_20scan_config_selectorIiEEZZNS1_9scan_implILNS1_25lookback_scan_determinismE0ELb0ELb1ES3_N6thrust23THRUST_200600_302600_NS6detail15normal_iteratorINS9_10device_ptrIiEEEESE_iNS9_10multipliesIiEEiEEDaPvRmT3_T4_T5_mT6_P12ihipStream_tbENKUlT_T0_E_clISt17integral_constantIbLb1EESU_EEDaSP_SQ_EUlSP_E_NS1_11comp_targetILNS1_3genE4ELNS1_11target_archE910ELNS1_3gpuE8ELNS1_3repE0EEENS1_30default_config_static_selectorELNS0_4arch9wavefront6targetE1EEEvT1_
	.globl	_ZN7rocprim17ROCPRIM_400000_NS6detail17trampoline_kernelINS0_14default_configENS1_20scan_config_selectorIiEEZZNS1_9scan_implILNS1_25lookback_scan_determinismE0ELb0ELb1ES3_N6thrust23THRUST_200600_302600_NS6detail15normal_iteratorINS9_10device_ptrIiEEEESE_iNS9_10multipliesIiEEiEEDaPvRmT3_T4_T5_mT6_P12ihipStream_tbENKUlT_T0_E_clISt17integral_constantIbLb1EESU_EEDaSP_SQ_EUlSP_E_NS1_11comp_targetILNS1_3genE4ELNS1_11target_archE910ELNS1_3gpuE8ELNS1_3repE0EEENS1_30default_config_static_selectorELNS0_4arch9wavefront6targetE1EEEvT1_
	.p2align	8
	.type	_ZN7rocprim17ROCPRIM_400000_NS6detail17trampoline_kernelINS0_14default_configENS1_20scan_config_selectorIiEEZZNS1_9scan_implILNS1_25lookback_scan_determinismE0ELb0ELb1ES3_N6thrust23THRUST_200600_302600_NS6detail15normal_iteratorINS9_10device_ptrIiEEEESE_iNS9_10multipliesIiEEiEEDaPvRmT3_T4_T5_mT6_P12ihipStream_tbENKUlT_T0_E_clISt17integral_constantIbLb1EESU_EEDaSP_SQ_EUlSP_E_NS1_11comp_targetILNS1_3genE4ELNS1_11target_archE910ELNS1_3gpuE8ELNS1_3repE0EEENS1_30default_config_static_selectorELNS0_4arch9wavefront6targetE1EEEvT1_,@function
_ZN7rocprim17ROCPRIM_400000_NS6detail17trampoline_kernelINS0_14default_configENS1_20scan_config_selectorIiEEZZNS1_9scan_implILNS1_25lookback_scan_determinismE0ELb0ELb1ES3_N6thrust23THRUST_200600_302600_NS6detail15normal_iteratorINS9_10device_ptrIiEEEESE_iNS9_10multipliesIiEEiEEDaPvRmT3_T4_T5_mT6_P12ihipStream_tbENKUlT_T0_E_clISt17integral_constantIbLb1EESU_EEDaSP_SQ_EUlSP_E_NS1_11comp_targetILNS1_3genE4ELNS1_11target_archE910ELNS1_3gpuE8ELNS1_3repE0EEENS1_30default_config_static_selectorELNS0_4arch9wavefront6targetE1EEEvT1_: ; @_ZN7rocprim17ROCPRIM_400000_NS6detail17trampoline_kernelINS0_14default_configENS1_20scan_config_selectorIiEEZZNS1_9scan_implILNS1_25lookback_scan_determinismE0ELb0ELb1ES3_N6thrust23THRUST_200600_302600_NS6detail15normal_iteratorINS9_10device_ptrIiEEEESE_iNS9_10multipliesIiEEiEEDaPvRmT3_T4_T5_mT6_P12ihipStream_tbENKUlT_T0_E_clISt17integral_constantIbLb1EESU_EEDaSP_SQ_EUlSP_E_NS1_11comp_targetILNS1_3genE4ELNS1_11target_archE910ELNS1_3gpuE8ELNS1_3repE0EEENS1_30default_config_static_selectorELNS0_4arch9wavefront6targetE1EEEvT1_
; %bb.0:
	s_load_dwordx2 s[6:7], s[4:5], 0x28
	v_cmp_ne_u32_e64 s[0:1], 0, v0
	v_cmp_eq_u32_e64 s[2:3], 0, v0
	s_and_saveexec_b64 s[8:9], s[2:3]
	s_cbranch_execz .LBB608_4
; %bb.1:
	s_mov_b64 s[12:13], exec
	v_mbcnt_lo_u32_b32 v1, s12, 0
	v_mbcnt_hi_u32_b32 v1, s13, v1
	v_cmp_eq_u32_e32 vcc, 0, v1
                                        ; implicit-def: $vgpr2
	s_and_saveexec_b64 s[10:11], vcc
	s_cbranch_execz .LBB608_3
; %bb.2:
	s_load_dwordx2 s[14:15], s[4:5], 0x58
	s_bcnt1_i32_b64 s12, s[12:13]
	v_mov_b32_e32 v2, 0
	v_mov_b32_e32 v3, s12
	s_waitcnt lgkmcnt(0)
	global_atomic_add v2, v2, v3, s[14:15] glc
.LBB608_3:
	s_or_b64 exec, exec, s[10:11]
	s_waitcnt vmcnt(0)
	v_readfirstlane_b32 s10, v2
	v_add_u32_e32 v1, s10, v1
	v_mov_b32_e32 v2, 0
	ds_write_b32 v2, v1
.LBB608_4:
	s_or_b64 exec, exec, s[8:9]
	s_load_dwordx8 s[16:23], s[4:5], 0x0
	s_load_dword s33, s[4:5], 0x20
	s_load_dword s24, s[4:5], 0x30
	s_load_dwordx8 s[8:15], s[4:5], 0x38
	v_mov_b32_e32 v1, 0
	s_waitcnt lgkmcnt(0)
	s_barrier
	ds_read_b32 v1, v1
	s_lshl_b64 s[18:19], s[18:19], 2
	s_add_u32 s25, s16, s18
	s_addc_u32 s26, s17, s19
	s_add_i32 s16, s24, -1
	s_mul_i32 s17, s16, 0x500
	s_sub_u32 s30, s22, s17
	s_waitcnt lgkmcnt(0)
	v_readfirstlane_b32 s34, v1
	s_subb_u32 s31, s23, 0
	s_mul_i32 s4, s34, 0x500
	s_mov_b32 s5, 0
	s_cmp_lg_u32 s34, s16
	s_cselect_b64 s[16:17], -1, 0
	s_lshl_b64 s[22:23], s[4:5], 2
	s_add_u32 s24, s25, s22
	s_addc_u32 s25, s26, s23
	s_mov_b64 s[4:5], -1
	s_and_b64 vcc, exec, s[16:17]
	v_lshlrev_b32_e32 v30, 2, v0
	s_barrier
	s_cbranch_vccz .LBB608_6
; %bb.5:
	v_mov_b32_e32 v1, s25
	v_add_co_u32_e32 v2, vcc, s24, v30
	v_addc_co_u32_e32 v3, vcc, 0, v1, vcc
	flat_load_dword v1, v[2:3]
	flat_load_dword v4, v[2:3] offset:512
	flat_load_dword v5, v[2:3] offset:1024
	;; [unrolled: 1-line block ×7, first 2 shown]
	v_add_co_u32_e32 v2, vcc, 0x1000, v2
	v_addc_co_u32_e32 v3, vcc, 0, v3, vcc
	flat_load_dword v11, v[2:3]
	flat_load_dword v12, v[2:3] offset:512
	s_mov_b64 s[4:5], 0
	s_waitcnt vmcnt(0) lgkmcnt(0)
	ds_write2st64_b32 v30, v1, v4 offset1:2
	ds_write2st64_b32 v30, v5, v6 offset0:4 offset1:6
	ds_write2st64_b32 v30, v7, v8 offset0:8 offset1:10
	;; [unrolled: 1-line block ×4, first 2 shown]
	s_waitcnt lgkmcnt(0)
	s_barrier
.LBB608_6:
	s_andn2_b64 vcc, exec, s[4:5]
	v_cmp_gt_u32_e64 s[4:5], s30, v0
	s_cbranch_vccnz .LBB608_28
; %bb.7:
	v_pk_mov_b32 v[2:3], s[24:25], s[24:25] op_sel:[0,1]
	flat_load_dword v1, v[2:3]
	s_waitcnt vmcnt(0) lgkmcnt(0)
	v_mov_b32_e32 v2, v1
	v_mov_b32_e32 v3, v1
	v_mov_b32_e32 v4, v1
	v_mov_b32_e32 v5, v1
	v_mov_b32_e32 v6, v1
	v_mov_b32_e32 v7, v1
	v_mov_b32_e32 v8, v1
	v_mov_b32_e32 v9, v1
	v_mov_b32_e32 v10, v1
	s_and_saveexec_b64 s[26:27], s[4:5]
	s_cbranch_execz .LBB608_9
; %bb.8:
	v_mov_b32_e32 v11, s25
	v_add_co_u32_e32 v10, vcc, s24, v30
	v_addc_co_u32_e32 v11, vcc, 0, v11, vcc
	flat_load_dword v10, v[10:11]
.LBB608_9:
	s_or_b64 exec, exec, s[26:27]
	v_or_b32_e32 v11, 0x80, v0
	v_cmp_gt_u32_e32 vcc, s30, v11
	s_and_saveexec_b64 s[4:5], vcc
	s_cbranch_execz .LBB608_11
; %bb.10:
	v_mov_b32_e32 v1, s25
	v_add_co_u32_e32 v12, vcc, s24, v30
	v_addc_co_u32_e32 v13, vcc, 0, v1, vcc
	flat_load_dword v1, v[12:13] offset:512
.LBB608_11:
	s_or_b64 exec, exec, s[4:5]
	v_or_b32_e32 v11, 0x100, v0
	v_cmp_gt_u32_e32 vcc, s30, v11
	s_and_saveexec_b64 s[4:5], vcc
	s_cbranch_execz .LBB608_13
; %bb.12:
	v_mov_b32_e32 v2, s25
	v_add_co_u32_e32 v12, vcc, s24, v30
	v_addc_co_u32_e32 v13, vcc, 0, v2, vcc
	flat_load_dword v2, v[12:13] offset:1024
.LBB608_13:
	;; [unrolled: 11-line block ×7, first 2 shown]
	s_or_b64 exec, exec, s[4:5]
	v_or_b32_e32 v11, 0x400, v0
	v_cmp_gt_u32_e32 vcc, s30, v11
	s_and_saveexec_b64 s[4:5], vcc
	s_cbranch_execz .LBB608_25
; %bb.24:
	v_lshlrev_b32_e32 v8, 2, v11
	v_mov_b32_e32 v11, s25
	v_add_co_u32_e32 v12, vcc, s24, v8
	v_addc_co_u32_e32 v13, vcc, 0, v11, vcc
	flat_load_dword v8, v[12:13]
.LBB608_25:
	s_or_b64 exec, exec, s[4:5]
	v_or_b32_e32 v11, 0x480, v0
	v_cmp_gt_u32_e32 vcc, s30, v11
	s_and_saveexec_b64 s[4:5], vcc
	s_cbranch_execz .LBB608_27
; %bb.26:
	v_lshlrev_b32_e32 v9, 2, v11
	v_mov_b32_e32 v11, s25
	v_add_co_u32_e32 v12, vcc, s24, v9
	v_addc_co_u32_e32 v13, vcc, 0, v11, vcc
	flat_load_dword v9, v[12:13]
.LBB608_27:
	s_or_b64 exec, exec, s[4:5]
	s_waitcnt vmcnt(0) lgkmcnt(0)
	ds_write2st64_b32 v30, v10, v1 offset1:2
	ds_write2st64_b32 v30, v2, v3 offset0:4 offset1:6
	ds_write2st64_b32 v30, v4, v5 offset0:8 offset1:10
	;; [unrolled: 1-line block ×4, first 2 shown]
	s_waitcnt lgkmcnt(0)
	s_barrier
.LBB608_28:
	v_mul_u32_u24_e32 v31, 10, v0
	v_lshlrev_b32_e32 v1, 2, v31
	ds_read2_b64 v[2:5], v1 offset1:1
	ds_read2_b64 v[24:27], v1 offset0:2 offset1:3
	ds_read_b64 v[28:29], v1 offset:32
	s_cmp_lg_u32 s34, 0
	v_lshrrev_b32_e32 v22, 5, v0
	v_cmp_gt_u32_e32 vcc, 64, v0
	s_waitcnt lgkmcnt(0)
	s_barrier
	s_cbranch_scc0 .LBB608_57
; %bb.29:
	v_mul_lo_u32 v6, v3, v2
	v_mul_lo_u32 v6, v6, v4
	;; [unrolled: 1-line block ×9, first 2 shown]
	v_add_lshl_u32 v7, v22, v0, 2
	ds_write_b32 v7, v6
	s_waitcnt lgkmcnt(0)
	s_barrier
	s_and_saveexec_b64 s[24:25], vcc
	s_cbranch_execz .LBB608_31
; %bb.30:
	v_lshlrev_b32_e32 v7, 1, v0
	v_lshrrev_b32_e32 v8, 4, v0
	v_add_lshl_u32 v7, v8, v7, 2
	ds_read2_b32 v[8:9], v7 offset1:1
	v_mbcnt_lo_u32_b32 v10, -1, 0
	v_mbcnt_hi_u32_b32 v10, -1, v10
	v_and_b32_e32 v11, 15, v10
	v_cmp_ne_u32_e64 s[4:5], 0, v11
	s_waitcnt lgkmcnt(0)
	v_mul_lo_u32 v9, v9, v8
	; wave barrier
	s_nop 1
	v_mov_b32_dpp v12, v9 row_shr:1 row_mask:0xf bank_mask:0xf
	v_cndmask_b32_e64 v12, 1, v12, s[4:5]
	v_mul_lo_u32 v9, v12, v9
	v_cmp_lt_u32_e64 s[4:5], 1, v11
	s_nop 0
	v_mov_b32_dpp v12, v9 row_shr:2 row_mask:0xf bank_mask:0xf
	v_cndmask_b32_e64 v12, 1, v12, s[4:5]
	v_mul_lo_u32 v9, v9, v12
	v_cmp_lt_u32_e64 s[4:5], 3, v11
	;; [unrolled: 5-line block ×3, first 2 shown]
	s_nop 0
	v_mov_b32_dpp v12, v9 row_shr:8 row_mask:0xf bank_mask:0xf
	v_cndmask_b32_e64 v11, 1, v12, s[4:5]
	v_mul_lo_u32 v9, v9, v11
	v_and_b32_e32 v12, 16, v10
	v_cmp_ne_u32_e64 s[4:5], 0, v12
	v_mov_b32_dpp v11, v9 row_bcast:15 row_mask:0xf bank_mask:0xf
	v_cndmask_b32_e64 v11, 1, v11, s[4:5]
	v_mul_lo_u32 v9, v9, v11
	v_cmp_lt_u32_e64 s[4:5], 31, v10
	v_and_b32_e32 v12, 64, v10
	v_mov_b32_dpp v11, v9 row_bcast:31 row_mask:0xf bank_mask:0xf
	v_cndmask_b32_e64 v11, 1, v11, s[4:5]
	v_mul_lo_u32 v9, v9, v11
	v_add_u32_e32 v11, -1, v10
	v_cmp_lt_i32_e64 s[4:5], v11, v12
	v_cndmask_b32_e64 v10, v11, v10, s[4:5]
	v_lshlrev_b32_e32 v10, 2, v10
	ds_bpermute_b32 v9, v10, v9
	s_waitcnt lgkmcnt(0)
	v_mul_lo_u32 v8, v9, v8
	v_cndmask_b32_e64 v6, v8, v6, s[2:3]
	ds_write_b32 v7, v6
	; wave barrier
	ds_read_b32 v8, v7 offset:4
	s_waitcnt lgkmcnt(0)
	v_mul_lo_u32 v6, v8, v6
	ds_write_b32 v7, v6 offset:4
.LBB608_31:
	s_or_b64 exec, exec, s[24:25]
	v_mov_b32_e32 v16, 1
	s_waitcnt lgkmcnt(0)
	s_barrier
	s_and_saveexec_b64 s[4:5], s[0:1]
	s_cbranch_execz .LBB608_33
; %bb.32:
	v_add_u32_e32 v6, -1, v0
	v_lshrrev_b32_e32 v7, 5, v6
	v_add_lshl_u32 v6, v7, v6, 2
	ds_read_b32 v16, v6
.LBB608_33:
	s_or_b64 exec, exec, s[4:5]
	s_and_saveexec_b64 s[24:25], vcc
	s_cbranch_execz .LBB608_56
; %bb.34:
	v_mov_b32_e32 v15, 0
	ds_read_b32 v6, v15 offset:520
	v_mbcnt_lo_u32_b32 v7, -1, 0
	v_mbcnt_hi_u32_b32 v9, -1, v7
	s_mov_b32 s29, 0
	v_cmp_eq_u32_e64 s[4:5], 0, v9
	s_and_saveexec_b64 s[26:27], s[4:5]
	s_cbranch_execz .LBB608_36
; %bb.35:
	s_add_i32 s28, s34, 64
	s_lshl_b64 s[28:29], s[28:29], 3
	s_add_u32 s28, s6, s28
	v_mov_b32_e32 v7, 1
	s_addc_u32 s29, s7, s29
	s_waitcnt lgkmcnt(0)
	global_store_dwordx2 v15, v[6:7], s[28:29]
.LBB608_36:
	s_or_b64 exec, exec, s[26:27]
	v_xad_u32 v8, v9, -1, s34
	v_add_u32_e32 v14, 64, v8
	v_lshlrev_b64 v[10:11], 3, v[14:15]
	v_mov_b32_e32 v7, s7
	v_add_co_u32_e32 v10, vcc, s6, v10
	v_addc_co_u32_e32 v11, vcc, v7, v11, vcc
	global_load_dwordx2 v[12:13], v[10:11], off glc
	s_waitcnt vmcnt(0)
	v_cmp_eq_u16_sdwa s[28:29], v13, v15 src0_sel:BYTE_0 src1_sel:DWORD
	s_and_saveexec_b64 s[26:27], s[28:29]
	s_cbranch_execz .LBB608_42
; %bb.37:
	s_mov_b32 s35, 1
	s_mov_b64 s[28:29], 0
	v_mov_b32_e32 v7, 0
.LBB608_38:                             ; =>This Loop Header: Depth=1
                                        ;     Child Loop BB608_39 Depth 2
	s_max_u32 s36, s35, 1
.LBB608_39:                             ;   Parent Loop BB608_38 Depth=1
                                        ; =>  This Inner Loop Header: Depth=2
	s_add_i32 s36, s36, -1
	s_cmp_eq_u32 s36, 0
	s_sleep 1
	s_cbranch_scc0 .LBB608_39
; %bb.40:                               ;   in Loop: Header=BB608_38 Depth=1
	global_load_dwordx2 v[12:13], v[10:11], off glc
	s_cmp_lt_u32 s35, 32
	s_cselect_b64 s[36:37], -1, 0
	s_cmp_lg_u64 s[36:37], 0
	s_addc_u32 s35, s35, 0
	s_waitcnt vmcnt(0)
	v_cmp_ne_u16_sdwa s[36:37], v13, v7 src0_sel:BYTE_0 src1_sel:DWORD
	s_or_b64 s[28:29], s[36:37], s[28:29]
	s_andn2_b64 exec, exec, s[28:29]
	s_cbranch_execnz .LBB608_38
; %bb.41:
	s_or_b64 exec, exec, s[28:29]
.LBB608_42:
	s_or_b64 exec, exec, s[26:27]
	v_and_b32_e32 v17, 63, v9
	v_mov_b32_e32 v7, 2
	v_cmp_ne_u32_e32 vcc, 63, v17
	v_cmp_eq_u16_sdwa s[26:27], v13, v7 src0_sel:BYTE_0 src1_sel:DWORD
	v_lshlrev_b64 v[10:11], v9, -1
	v_addc_co_u32_e32 v18, vcc, 0, v9, vcc
	v_and_b32_e32 v14, s27, v11
	v_lshlrev_b32_e32 v18, 2, v18
	v_or_b32_e32 v14, 0x80000000, v14
	ds_bpermute_b32 v19, v18, v12
	v_and_b32_e32 v15, s26, v10
	v_ffbl_b32_e32 v14, v14
	v_add_u32_e32 v14, 32, v14
	v_ffbl_b32_e32 v15, v15
	v_min_u32_e32 v14, v15, v14
	v_cmp_lt_u32_e32 vcc, v17, v14
	s_waitcnt lgkmcnt(0)
	v_cndmask_b32_e32 v15, 1, v19, vcc
	v_cmp_gt_u32_e32 vcc, 62, v17
	v_mul_lo_u32 v12, v15, v12
	v_cndmask_b32_e64 v15, 0, 1, vcc
	v_lshlrev_b32_e32 v15, 1, v15
	v_add_lshl_u32 v19, v15, v9, 2
	ds_bpermute_b32 v15, v19, v12
	v_add_u32_e32 v20, 2, v17
	v_cmp_le_u32_e32 vcc, v20, v14
	v_add_u32_e32 v23, 4, v17
	v_add_u32_e32 v33, 8, v17
	s_waitcnt lgkmcnt(0)
	v_cndmask_b32_e32 v15, 1, v15, vcc
	v_cmp_gt_u32_e32 vcc, 60, v17
	v_mul_lo_u32 v12, v12, v15
	v_cndmask_b32_e64 v15, 0, 1, vcc
	v_lshlrev_b32_e32 v15, 2, v15
	v_add_lshl_u32 v21, v15, v9, 2
	ds_bpermute_b32 v15, v21, v12
	v_cmp_le_u32_e32 vcc, v23, v14
	v_add_u32_e32 v36, 16, v17
	v_add_u32_e32 v38, 32, v17
	s_waitcnt lgkmcnt(0)
	v_cndmask_b32_e32 v15, 1, v15, vcc
	v_cmp_gt_u32_e32 vcc, 56, v17
	v_mul_lo_u32 v12, v12, v15
	v_cndmask_b32_e64 v15, 0, 1, vcc
	v_lshlrev_b32_e32 v15, 3, v15
	v_add_lshl_u32 v32, v15, v9, 2
	ds_bpermute_b32 v15, v32, v12
	v_cmp_le_u32_e32 vcc, v33, v14
	s_waitcnt lgkmcnt(0)
	v_cndmask_b32_e32 v15, 1, v15, vcc
	v_cmp_gt_u32_e32 vcc, 48, v17
	v_mul_lo_u32 v12, v12, v15
	v_cndmask_b32_e64 v15, 0, 1, vcc
	v_lshlrev_b32_e32 v15, 4, v15
	v_add_lshl_u32 v35, v15, v9, 2
	ds_bpermute_b32 v15, v35, v12
	v_cmp_le_u32_e32 vcc, v36, v14
	;; [unrolled: 9-line block ×3, first 2 shown]
	s_waitcnt lgkmcnt(0)
	v_cndmask_b32_e32 v9, 1, v9, vcc
	v_mul_lo_u32 v12, v12, v9
	v_mov_b32_e32 v9, 0
	s_branch .LBB608_44
.LBB608_43:                             ;   in Loop: Header=BB608_44 Depth=1
	s_or_b64 exec, exec, s[26:27]
	v_cmp_eq_u16_sdwa s[26:27], v13, v7 src0_sel:BYTE_0 src1_sel:DWORD
	v_and_b32_e32 v14, s27, v11
	v_or_b32_e32 v14, 0x80000000, v14
	ds_bpermute_b32 v39, v18, v12
	v_and_b32_e32 v15, s26, v10
	v_ffbl_b32_e32 v14, v14
	v_add_u32_e32 v14, 32, v14
	v_ffbl_b32_e32 v15, v15
	v_min_u32_e32 v14, v15, v14
	v_cmp_lt_u32_e32 vcc, v17, v14
	s_waitcnt lgkmcnt(0)
	v_cndmask_b32_e32 v15, 1, v39, vcc
	v_mul_lo_u32 v12, v15, v12
	ds_bpermute_b32 v15, v19, v12
	v_cmp_le_u32_e32 vcc, v20, v14
	v_subrev_u32_e32 v8, 64, v8
	s_waitcnt lgkmcnt(0)
	v_cndmask_b32_e32 v15, 1, v15, vcc
	v_mul_lo_u32 v12, v12, v15
	ds_bpermute_b32 v15, v21, v12
	v_cmp_le_u32_e32 vcc, v23, v14
	s_waitcnt lgkmcnt(0)
	v_cndmask_b32_e32 v15, 1, v15, vcc
	v_mul_lo_u32 v12, v12, v15
	ds_bpermute_b32 v15, v32, v12
	v_cmp_le_u32_e32 vcc, v33, v14
	;; [unrolled: 5-line block ×4, first 2 shown]
	s_waitcnt lgkmcnt(0)
	v_cndmask_b32_e32 v14, 1, v15, vcc
	v_mul_lo_u32 v14, v14, v34
	v_mul_lo_u32 v12, v14, v12
.LBB608_44:                             ; =>This Loop Header: Depth=1
                                        ;     Child Loop BB608_47 Depth 2
                                        ;       Child Loop BB608_48 Depth 3
	v_cmp_ne_u16_sdwa s[26:27], v13, v7 src0_sel:BYTE_0 src1_sel:DWORD
	v_cndmask_b32_e64 v13, 0, 1, s[26:27]
	;;#ASMSTART
	;;#ASMEND
	v_cmp_ne_u32_e32 vcc, 0, v13
	s_cmp_lg_u64 vcc, exec
	v_mov_b32_e32 v34, v12
	s_cbranch_scc1 .LBB608_51
; %bb.45:                               ;   in Loop: Header=BB608_44 Depth=1
	v_lshlrev_b64 v[12:13], 3, v[8:9]
	v_mov_b32_e32 v15, s7
	v_add_co_u32_e32 v14, vcc, s6, v12
	v_addc_co_u32_e32 v15, vcc, v15, v13, vcc
	global_load_dwordx2 v[12:13], v[14:15], off glc
	s_waitcnt vmcnt(0)
	v_cmp_eq_u16_sdwa s[28:29], v13, v9 src0_sel:BYTE_0 src1_sel:DWORD
	s_and_saveexec_b64 s[26:27], s[28:29]
	s_cbranch_execz .LBB608_43
; %bb.46:                               ;   in Loop: Header=BB608_44 Depth=1
	s_mov_b32 s35, 1
	s_mov_b64 s[28:29], 0
.LBB608_47:                             ;   Parent Loop BB608_44 Depth=1
                                        ; =>  This Loop Header: Depth=2
                                        ;       Child Loop BB608_48 Depth 3
	s_max_u32 s36, s35, 1
.LBB608_48:                             ;   Parent Loop BB608_44 Depth=1
                                        ;     Parent Loop BB608_47 Depth=2
                                        ; =>    This Inner Loop Header: Depth=3
	s_add_i32 s36, s36, -1
	s_cmp_eq_u32 s36, 0
	s_sleep 1
	s_cbranch_scc0 .LBB608_48
; %bb.49:                               ;   in Loop: Header=BB608_47 Depth=2
	global_load_dwordx2 v[12:13], v[14:15], off glc
	s_cmp_lt_u32 s35, 32
	s_cselect_b64 s[36:37], -1, 0
	s_cmp_lg_u64 s[36:37], 0
	s_addc_u32 s35, s35, 0
	s_waitcnt vmcnt(0)
	v_cmp_ne_u16_sdwa s[36:37], v13, v9 src0_sel:BYTE_0 src1_sel:DWORD
	s_or_b64 s[28:29], s[36:37], s[28:29]
	s_andn2_b64 exec, exec, s[28:29]
	s_cbranch_execnz .LBB608_47
; %bb.50:                               ;   in Loop: Header=BB608_44 Depth=1
	s_or_b64 exec, exec, s[28:29]
	s_branch .LBB608_43
.LBB608_51:                             ;   in Loop: Header=BB608_44 Depth=1
                                        ; implicit-def: $vgpr12
                                        ; implicit-def: $vgpr13
	s_cbranch_execz .LBB608_44
; %bb.52:
	s_and_saveexec_b64 s[26:27], s[4:5]
	s_cbranch_execz .LBB608_54
; %bb.53:
	s_add_i32 s4, s34, 64
	s_mov_b32 s5, 0
	s_lshl_b64 s[4:5], s[4:5], 3
	s_add_u32 s4, s6, s4
	v_mul_lo_u32 v6, v34, v6
	s_addc_u32 s5, s7, s5
	v_mov_b32_e32 v8, 0
	v_mov_b32_e32 v7, 2
	global_store_dwordx2 v8, v[6:7], s[4:5]
.LBB608_54:
	s_or_b64 exec, exec, s[26:27]
	s_and_b64 exec, exec, s[2:3]
	s_cbranch_execz .LBB608_56
; %bb.55:
	v_mov_b32_e32 v6, 0
	ds_write_b32 v6, v34
.LBB608_56:
	s_or_b64 exec, exec, s[24:25]
	v_mov_b32_e32 v6, 0
	s_waitcnt lgkmcnt(0)
	s_barrier
	ds_read_b32 v6, v6
	v_mul_lo_u32 v7, v16, v2
	s_waitcnt lgkmcnt(0)
	v_mul_lo_u32 v12, v7, v6
	v_mul_lo_u32 v13, v12, v3
	;; [unrolled: 1-line block ×10, first 2 shown]
	s_branch .LBB608_79
.LBB608_57:
                                        ; implicit-def: $vgpr12_vgpr13_vgpr14_vgpr15_vgpr16_vgpr17_vgpr18_vgpr19_vgpr20_vgpr21
	s_cbranch_execz .LBB608_79
; %bb.58:
	s_cmp_lg_u64 s[12:13], 0
	s_cselect_b64 s[24:25], -1, 0
	s_cmp_eq_u64 s[12:13], 0
	s_cselect_b64 s[4:5], -1, 0
	s_and_b64 s[24:25], s[2:3], s[24:25]
	s_and_saveexec_b64 s[12:13], s[24:25]
	s_cbranch_execz .LBB608_60
; %bb.59:
	v_mov_b32_e32 v6, 0
	global_load_dword v6, v6, s[8:9]
	s_waitcnt vmcnt(0)
	v_mul_lo_u32 v2, v6, v2
.LBB608_60:
	s_or_b64 exec, exec, s[12:13]
	v_mul_lo_u32 v34, v3, v2
	v_mul_lo_u32 v33, v34, v4
	v_mul_lo_u32 v32, v33, v5
	v_mul_lo_u32 v6, v32, v24
	v_mul_lo_u32 v7, v6, v25
	v_mul_lo_u32 v8, v7, v26
	v_mul_lo_u32 v9, v8, v27
	v_mul_lo_u32 v10, v9, v28
	v_mul_lo_u32 v11, v10, v29
	v_add_lshl_u32 v12, v22, v0, 2
	s_andn2_b64 vcc, exec, s[4:5]
	v_cmp_gt_u32_e64 s[4:5], 64, v0
	ds_write_b32 v12, v11
	s_waitcnt lgkmcnt(0)
	s_cbranch_vccnz .LBB608_68
; %bb.61:
	s_barrier
	s_and_saveexec_b64 s[8:9], s[4:5]
	s_cbranch_execz .LBB608_63
; %bb.62:
	v_lshlrev_b32_e32 v12, 1, v0
	v_lshrrev_b32_e32 v13, 4, v0
	v_add_lshl_u32 v14, v13, v12, 2
	ds_read2_b32 v[12:13], v14 offset1:1
	v_mbcnt_lo_u32_b32 v15, -1, 0
	v_mbcnt_hi_u32_b32 v15, -1, v15
	v_and_b32_e32 v16, 15, v15
	v_cmp_ne_u32_e32 vcc, 0, v16
	s_waitcnt lgkmcnt(0)
	v_mul_lo_u32 v13, v13, v12
	; wave barrier
	s_nop 1
	v_mov_b32_dpp v17, v13 row_shr:1 row_mask:0xf bank_mask:0xf
	v_cndmask_b32_e32 v17, 1, v17, vcc
	v_mul_lo_u32 v13, v17, v13
	v_cmp_lt_u32_e32 vcc, 1, v16
	s_nop 0
	v_mov_b32_dpp v17, v13 row_shr:2 row_mask:0xf bank_mask:0xf
	v_cndmask_b32_e32 v17, 1, v17, vcc
	v_mul_lo_u32 v13, v13, v17
	v_cmp_lt_u32_e32 vcc, 3, v16
	s_nop 0
	v_mov_b32_dpp v17, v13 row_shr:4 row_mask:0xf bank_mask:0xf
	v_cndmask_b32_e32 v17, 1, v17, vcc
	v_mul_lo_u32 v13, v13, v17
	v_cmp_lt_u32_e32 vcc, 7, v16
	s_nop 0
	v_mov_b32_dpp v17, v13 row_shr:8 row_mask:0xf bank_mask:0xf
	v_cndmask_b32_e32 v16, 1, v17, vcc
	v_mul_lo_u32 v13, v13, v16
	v_and_b32_e32 v17, 16, v15
	v_cmp_ne_u32_e32 vcc, 0, v17
	v_mov_b32_dpp v16, v13 row_bcast:15 row_mask:0xf bank_mask:0xf
	v_cndmask_b32_e32 v16, 1, v16, vcc
	v_mul_lo_u32 v13, v13, v16
	v_cmp_lt_u32_e32 vcc, 31, v15
	v_and_b32_e32 v17, 64, v15
	v_mov_b32_dpp v16, v13 row_bcast:31 row_mask:0xf bank_mask:0xf
	v_cndmask_b32_e32 v16, 1, v16, vcc
	v_mul_lo_u32 v13, v13, v16
	v_add_u32_e32 v16, -1, v15
	v_cmp_lt_i32_e32 vcc, v16, v17
	v_cndmask_b32_e32 v15, v16, v15, vcc
	v_lshlrev_b32_e32 v15, 2, v15
	ds_bpermute_b32 v13, v15, v13
	s_waitcnt lgkmcnt(0)
	v_mul_lo_u32 v12, v13, v12
	v_cndmask_b32_e64 v12, v12, v11, s[2:3]
	ds_write_b32 v14, v12
	; wave barrier
	ds_read_b32 v13, v14 offset:4
	s_waitcnt lgkmcnt(0)
	v_mul_lo_u32 v12, v13, v12
	ds_write_b32 v14, v12 offset:4
.LBB608_63:
	s_or_b64 exec, exec, s[8:9]
	v_mov_b32_e32 v21, v11
	s_waitcnt lgkmcnt(0)
	s_barrier
	s_and_saveexec_b64 s[8:9], s[0:1]
	s_cbranch_execz .LBB608_65
; %bb.64:
	v_add_u32_e32 v12, -1, v0
	v_lshrrev_b32_e32 v13, 5, v12
	v_add_lshl_u32 v12, v13, v12, 2
	ds_read_b32 v21, v12
.LBB608_65:
	s_or_b64 exec, exec, s[8:9]
	v_mov_b32_e32 v12, v10
	v_mov_b32_e32 v13, v9
	;; [unrolled: 1-line block ×9, first 2 shown]
	s_and_saveexec_b64 s[8:9], s[0:1]
	s_cbranch_execz .LBB608_67
; %bb.66:
	s_waitcnt lgkmcnt(0)
	v_mul_lo_u32 v14, v21, v2
	v_mul_lo_u32 v15, v14, v3
	;; [unrolled: 1-line block ×9, first 2 shown]
	;;#ASMSTART
	;;#ASMEND
.LBB608_67:
	s_or_b64 exec, exec, s[8:9]
	v_mul_lo_u32 v14, v14, s33
	v_mul_lo_u32 v15, v15, s33
	v_mul_lo_u32 v16, v16, s33
	v_mul_lo_u32 v17, v17, s33
	v_mul_lo_u32 v18, v18, s33
	v_mul_lo_u32 v19, v19, s33
	v_mul_lo_u32 v20, v20, s33
	s_waitcnt lgkmcnt(0)
	v_mul_lo_u32 v21, v13, s33
	v_mul_lo_u32 v22, v12, s33
	;; [unrolled: 1-line block ×3, first 2 shown]
	v_pk_mov_b32 v[12:13], v[14:15], v[14:15] op_sel:[0,1]
	v_pk_mov_b32 v[14:15], v[16:17], v[16:17] op_sel:[0,1]
	v_pk_mov_b32 v[16:17], v[18:19], v[18:19] op_sel:[0,1]
	v_pk_mov_b32 v[18:19], v[20:21], v[20:21] op_sel:[0,1]
	v_pk_mov_b32 v[20:21], v[22:23], v[22:23] op_sel:[0,1]
	s_branch .LBB608_76
.LBB608_68:
                                        ; implicit-def: $vgpr23
                                        ; implicit-def: $vgpr12_vgpr13_vgpr14_vgpr15_vgpr16_vgpr17_vgpr18_vgpr19_vgpr20_vgpr21
	s_cbranch_execz .LBB608_76
; %bb.69:
	s_barrier
	s_and_saveexec_b64 s[8:9], s[4:5]
	s_cbranch_execz .LBB608_71
; %bb.70:
	v_lshlrev_b32_e32 v12, 1, v0
	v_lshrrev_b32_e32 v13, 4, v0
	v_add_lshl_u32 v14, v13, v12, 2
	ds_read2_b32 v[12:13], v14 offset1:1
	v_mbcnt_lo_u32_b32 v15, -1, 0
	v_mbcnt_hi_u32_b32 v15, -1, v15
	v_and_b32_e32 v16, 15, v15
	v_cmp_ne_u32_e32 vcc, 0, v16
	s_waitcnt lgkmcnt(0)
	v_mul_lo_u32 v13, v13, v12
	; wave barrier
	s_nop 1
	v_mov_b32_dpp v17, v13 row_shr:1 row_mask:0xf bank_mask:0xf
	v_cndmask_b32_e32 v17, 1, v17, vcc
	v_mul_lo_u32 v13, v17, v13
	v_cmp_lt_u32_e32 vcc, 1, v16
	s_nop 0
	v_mov_b32_dpp v17, v13 row_shr:2 row_mask:0xf bank_mask:0xf
	v_cndmask_b32_e32 v17, 1, v17, vcc
	v_mul_lo_u32 v13, v13, v17
	v_cmp_lt_u32_e32 vcc, 3, v16
	;; [unrolled: 5-line block ×3, first 2 shown]
	s_nop 0
	v_mov_b32_dpp v17, v13 row_shr:8 row_mask:0xf bank_mask:0xf
	v_cndmask_b32_e32 v16, 1, v17, vcc
	v_mul_lo_u32 v13, v13, v16
	v_and_b32_e32 v17, 16, v15
	v_cmp_ne_u32_e32 vcc, 0, v17
	v_mov_b32_dpp v16, v13 row_bcast:15 row_mask:0xf bank_mask:0xf
	v_cndmask_b32_e32 v16, 1, v16, vcc
	v_mul_lo_u32 v13, v13, v16
	v_cmp_lt_u32_e32 vcc, 31, v15
	v_and_b32_e32 v17, 64, v15
	v_mov_b32_dpp v16, v13 row_bcast:31 row_mask:0xf bank_mask:0xf
	v_cndmask_b32_e32 v16, 1, v16, vcc
	v_mul_lo_u32 v13, v13, v16
	v_add_u32_e32 v16, -1, v15
	v_cmp_lt_i32_e32 vcc, v16, v17
	v_cndmask_b32_e32 v15, v16, v15, vcc
	v_lshlrev_b32_e32 v15, 2, v15
	ds_bpermute_b32 v13, v15, v13
	s_waitcnt lgkmcnt(0)
	v_mul_lo_u32 v12, v13, v12
	v_cndmask_b32_e64 v12, v12, v11, s[2:3]
	ds_write_b32 v14, v12
	; wave barrier
	ds_read_b32 v13, v14 offset:4
	s_waitcnt lgkmcnt(0)
	v_mul_lo_u32 v12, v13, v12
	ds_write_b32 v14, v12 offset:4
.LBB608_71:
	s_or_b64 exec, exec, s[8:9]
	v_mov_b32_e32 v12, v11
	s_waitcnt lgkmcnt(0)
	s_barrier
	s_and_saveexec_b64 s[2:3], s[0:1]
	s_cbranch_execz .LBB608_73
; %bb.72:
	v_add_u32_e32 v12, -1, v0
	v_lshrrev_b32_e32 v13, 5, v12
	v_add_lshl_u32 v12, v13, v12, 2
	ds_read_b32 v12, v12
.LBB608_73:
	s_or_b64 exec, exec, s[2:3]
	s_and_saveexec_b64 s[2:3], s[0:1]
	s_cbranch_execz .LBB608_75
; %bb.74:
	s_waitcnt lgkmcnt(0)
	v_mul_lo_u32 v2, v12, v2
	v_mul_lo_u32 v34, v2, v3
	;; [unrolled: 1-line block ×10, first 2 shown]
	;;#ASMSTART
	;;#ASMEND
.LBB608_75:
	s_or_b64 exec, exec, s[2:3]
	v_mov_b32_e32 v3, v34
	v_mov_b32_e32 v4, v33
	;; [unrolled: 1-line block ×3, first 2 shown]
	s_waitcnt lgkmcnt(0)
	v_pk_mov_b32 v[20:21], v[10:11], v[10:11] op_sel:[0,1]
	v_mov_b32_e32 v23, v11
	v_pk_mov_b32 v[18:19], v[8:9], v[8:9] op_sel:[0,1]
	v_pk_mov_b32 v[16:17], v[6:7], v[6:7] op_sel:[0,1]
	;; [unrolled: 1-line block ×4, first 2 shown]
.LBB608_76:
	s_movk_i32 s0, 0x7f
	v_cmp_eq_u32_e32 vcc, s0, v0
	s_and_saveexec_b64 s[0:1], vcc
	s_cbranch_execz .LBB608_78
; %bb.77:
	v_mov_b32_e32 v4, 0
	v_mov_b32_e32 v3, 2
	;; [unrolled: 1-line block ×3, first 2 shown]
	global_store_dwordx2 v4, v[2:3], s[6:7] offset:512
.LBB608_78:
	s_or_b64 exec, exec, s[0:1]
.LBB608_79:
	s_add_u32 s0, s20, s18
	s_addc_u32 s1, s21, s19
	s_add_u32 s2, s0, s22
	s_addc_u32 s3, s1, s23
	s_mov_b64 s[0:1], -1
	s_and_b64 vcc, exec, s[16:17]
	s_barrier
	s_cbranch_vccz .LBB608_81
; %bb.80:
	ds_write2_b64 v1, v[12:13], v[14:15] offset1:1
	ds_write2_b64 v1, v[16:17], v[18:19] offset0:2 offset1:3
	ds_write_b64 v1, v[20:21] offset:32
	s_waitcnt lgkmcnt(0)
	s_barrier
	ds_read2st64_b32 v[2:3], v30 offset1:2
	ds_read2st64_b32 v[4:5], v30 offset0:4 offset1:6
	ds_read2st64_b32 v[6:7], v30 offset0:8 offset1:10
	;; [unrolled: 1-line block ×4, first 2 shown]
	v_mov_b32_e32 v23, s3
	v_add_co_u32_e32 v22, vcc, s2, v30
	v_addc_co_u32_e32 v23, vcc, 0, v23, vcc
	s_waitcnt lgkmcnt(4)
	flat_store_dword v[22:23], v2
	flat_store_dword v[22:23], v3 offset:512
	s_waitcnt lgkmcnt(0)
	flat_store_dword v[22:23], v4 offset:1024
	flat_store_dword v[22:23], v5 offset:1536
	;; [unrolled: 1-line block ×6, first 2 shown]
	v_add_co_u32_e32 v2, vcc, 0x1000, v22
	v_addc_co_u32_e32 v3, vcc, 0, v23, vcc
	flat_store_dword v[2:3], v10
	flat_store_dword v[2:3], v11 offset:512
	s_mov_b64 s[0:1], 0
.LBB608_81:
	s_andn2_b64 vcc, exec, s[0:1]
	s_cbranch_vccnz .LBB608_137
; %bb.82:
	ds_write2_b64 v1, v[12:13], v[14:15] offset1:1
	ds_write2_b64 v1, v[16:17], v[18:19] offset0:2 offset1:3
	ds_write_b64 v1, v[20:21] offset:32
	s_waitcnt lgkmcnt(0)
	s_barrier
	ds_read2st64_b32 v[2:3], v30 offset1:2
	ds_read2st64_b32 v[6:7], v30 offset0:4 offset1:6
	ds_read2st64_b32 v[4:5], v30 offset0:8 offset1:10
	;; [unrolled: 1-line block ×4, first 2 shown]
	v_mov_b32_e32 v13, s3
	v_add_co_u32_e32 v12, vcc, s2, v30
	v_addc_co_u32_e32 v13, vcc, 0, v13, vcc
	v_mov_b32_e32 v1, 0
	v_cmp_gt_u32_e32 vcc, s30, v0
	s_and_saveexec_b64 s[0:1], vcc
	s_cbranch_execz .LBB608_84
; %bb.83:
	s_waitcnt lgkmcnt(0)
	flat_store_dword v[12:13], v2
.LBB608_84:
	s_or_b64 exec, exec, s[0:1]
	v_or_b32_e32 v14, 0x80, v0
	v_cmp_gt_u32_e32 vcc, s30, v14
	s_and_saveexec_b64 s[0:1], vcc
	s_cbranch_execz .LBB608_86
; %bb.85:
	s_waitcnt lgkmcnt(0)
	flat_store_dword v[12:13], v3 offset:512
.LBB608_86:
	s_or_b64 exec, exec, s[0:1]
	v_or_b32_e32 v14, 0x100, v0
	v_cmp_gt_u32_e32 vcc, s30, v14
	s_and_saveexec_b64 s[0:1], vcc
	s_cbranch_execz .LBB608_88
; %bb.87:
	s_waitcnt lgkmcnt(0)
	flat_store_dword v[12:13], v6 offset:1024
.LBB608_88:
	;; [unrolled: 9-line block ×7, first 2 shown]
	s_or_b64 exec, exec, s[0:1]
	v_or_b32_e32 v14, 0x400, v0
	v_cmp_gt_u32_e32 vcc, s30, v14
	s_and_saveexec_b64 s[0:1], vcc
	s_cbranch_execz .LBB608_100
; %bb.99:
	v_add_co_u32_e32 v14, vcc, 0x1000, v12
	v_addc_co_u32_e32 v15, vcc, 0, v13, vcc
	s_waitcnt lgkmcnt(0)
	flat_store_dword v[14:15], v10
.LBB608_100:
	s_or_b64 exec, exec, s[0:1]
	v_or_b32_e32 v14, 0x480, v0
	v_cmp_gt_u32_e32 vcc, s30, v14
	s_and_saveexec_b64 s[0:1], vcc
	s_cbranch_execz .LBB608_102
; %bb.101:
	v_add_co_u32_e32 v12, vcc, 0x1000, v12
	v_addc_co_u32_e32 v13, vcc, 0, v13, vcc
	s_waitcnt lgkmcnt(0)
	flat_store_dword v[12:13], v11 offset:512
.LBB608_102:
	s_or_b64 exec, exec, s[0:1]
	v_cmp_lt_u64_e64 s[0:1], s[14:15], 2
	s_and_b64 vcc, exec, s[0:1]
	s_cbranch_vccnz .LBB608_137
; %bb.103:
	s_add_u32 s0, s30, -1
	s_addc_u32 s1, s31, -1
	s_add_u32 s2, 0, 0x99986000
	s_addc_u32 s3, 0, 0x59
	s_add_i32 s3, s3, 0x19999940
	s_mul_hi_u32 s7, s2, -10
	s_sub_i32 s7, s7, s2
	s_mul_i32 s8, s3, -10
	s_mul_i32 s4, s2, -10
	s_add_i32 s7, s7, s8
	s_mul_hi_u32 s5, s3, s4
	s_mul_i32 s6, s3, s4
	s_mul_i32 s9, s2, s7
	s_mul_hi_u32 s4, s2, s4
	s_mul_hi_u32 s8, s2, s7
	s_add_u32 s4, s4, s9
	s_addc_u32 s8, 0, s8
	s_add_u32 s4, s4, s6
	s_mul_hi_u32 s9, s3, s7
	s_addc_u32 s4, s8, s5
	s_addc_u32 s5, s9, 0
	s_mul_i32 s6, s3, s7
	s_add_u32 s4, s4, s6
	v_mov_b32_e32 v12, s4
	s_addc_u32 s5, 0, s5
	v_add_co_u32_e32 v12, vcc, s2, v12
	s_cmp_lg_u64 vcc, 0
	s_addc_u32 s2, s3, s5
	v_readfirstlane_b32 s5, v12
	s_mul_i32 s4, s0, s2
	s_mul_hi_u32 s6, s0, s5
	s_mul_hi_u32 s3, s0, s2
	s_add_u32 s4, s6, s4
	s_addc_u32 s3, 0, s3
	s_mul_hi_u32 s7, s1, s5
	s_mul_i32 s5, s1, s5
	s_add_u32 s4, s4, s5
	s_mul_hi_u32 s6, s1, s2
	s_addc_u32 s3, s3, s7
	s_addc_u32 s4, s6, 0
	s_mul_i32 s2, s1, s2
	s_add_u32 s2, s3, s2
	s_addc_u32 s3, 0, s4
	s_add_u32 s4, s2, 1
	s_addc_u32 s5, s3, 0
	s_add_u32 s6, s2, 2
	s_mul_i32 s8, s3, 10
	s_mul_hi_u32 s9, s2, 10
	s_addc_u32 s7, s3, 0
	s_add_i32 s9, s9, s8
	s_mul_i32 s8, s2, 10
	v_mov_b32_e32 v12, s8
	v_sub_co_u32_e32 v12, vcc, s0, v12
	s_cmp_lg_u64 vcc, 0
	s_subb_u32 s8, s1, s9
	v_subrev_co_u32_e32 v13, vcc, 10, v12
	s_cmp_lg_u64 vcc, 0
	s_subb_u32 s9, s8, 0
	v_readfirstlane_b32 s12, v13
	s_cmp_gt_u32 s12, 9
	s_cselect_b32 s12, -1, 0
	s_cmp_eq_u32 s9, 0
	s_cselect_b32 s9, s12, -1
	s_cmp_lg_u32 s9, 0
	s_cselect_b32 s4, s6, s4
	v_readfirstlane_b32 s6, v12
	s_cselect_b32 s5, s7, s5
	s_cmp_gt_u32 s6, 9
	s_cselect_b32 s6, -1, 0
	s_cmp_eq_u32 s8, 0
	s_cselect_b32 s6, s6, -1
	s_cmp_lg_u32 s6, 0
	s_cselect_b32 s3, s5, s3
	s_cselect_b32 s2, s4, s2
	v_cmp_eq_u64_e32 vcc, s[2:3], v[0:1]
	s_and_saveexec_b64 s[2:3], vcc
	s_cbranch_execz .LBB608_137
; %bb.104:
	v_mul_hi_u32_u24_e32 v1, 10, v0
	v_mov_b32_e32 v12, s1
	v_sub_co_u32_e32 v0, vcc, s0, v31
	v_subb_co_u32_e32 v1, vcc, v12, v1, vcc
	v_cmp_lt_i64_e32 vcc, 4, v[0:1]
	s_and_saveexec_b64 s[0:1], vcc
	s_xor_b64 s[0:1], exec, s[0:1]
	s_cbranch_execz .LBB608_122
; %bb.105:
	v_cmp_lt_i64_e32 vcc, 6, v[0:1]
	s_and_saveexec_b64 s[2:3], vcc
	s_xor_b64 s[2:3], exec, s[2:3]
	s_cbranch_execz .LBB608_115
; %bb.106:
	;; [unrolled: 5-line block ×4, first 2 shown]
	v_mov_b32_e32 v0, 0
	s_waitcnt lgkmcnt(0)
	global_store_dword v0, v11, s[10:11]
                                        ; implicit-def: $vgpr10_vgpr11
.LBB608_109:
	s_andn2_saveexec_b64 s[6:7], s[6:7]
	s_cbranch_execz .LBB608_111
; %bb.110:
	v_mov_b32_e32 v0, 0
	s_waitcnt lgkmcnt(0)
	global_store_dword v0, v10, s[10:11]
.LBB608_111:
	s_or_b64 exec, exec, s[6:7]
                                        ; implicit-def: $vgpr8_vgpr9
.LBB608_112:
	s_andn2_saveexec_b64 s[4:5], s[4:5]
	s_cbranch_execz .LBB608_114
; %bb.113:
	v_mov_b32_e32 v0, 0
	s_waitcnt lgkmcnt(0)
	global_store_dword v0, v9, s[10:11]
.LBB608_114:
	s_or_b64 exec, exec, s[4:5]
                                        ; implicit-def: $vgpr4_vgpr5
                                        ; implicit-def: $vgpr0_vgpr1
                                        ; implicit-def: $vgpr8_vgpr9
.LBB608_115:
	s_andn2_saveexec_b64 s[2:3], s[2:3]
	s_cbranch_execz .LBB608_121
; %bb.116:
	v_cmp_lt_i64_e32 vcc, 5, v[0:1]
	s_and_saveexec_b64 s[4:5], vcc
	s_xor_b64 s[4:5], exec, s[4:5]
	s_cbranch_execz .LBB608_118
; %bb.117:
	v_mov_b32_e32 v0, 0
	s_waitcnt lgkmcnt(0)
	global_store_dword v0, v8, s[10:11]
                                        ; implicit-def: $vgpr4_vgpr5
.LBB608_118:
	s_andn2_saveexec_b64 s[4:5], s[4:5]
	s_cbranch_execz .LBB608_120
; %bb.119:
	v_mov_b32_e32 v0, 0
	s_waitcnt lgkmcnt(0)
	global_store_dword v0, v5, s[10:11]
.LBB608_120:
	s_or_b64 exec, exec, s[4:5]
.LBB608_121:
	s_or_b64 exec, exec, s[2:3]
                                        ; implicit-def: $vgpr0_vgpr1
                                        ; implicit-def: $vgpr6_vgpr7
                                        ; implicit-def: $vgpr2_vgpr3
                                        ; implicit-def: $vgpr4_vgpr5
.LBB608_122:
	s_andn2_saveexec_b64 s[0:1], s[0:1]
	s_cbranch_execz .LBB608_137
; %bb.123:
	v_cmp_lt_i64_e32 vcc, 2, v[0:1]
	s_and_saveexec_b64 s[0:1], vcc
	s_xor_b64 s[0:1], exec, s[0:1]
	s_cbranch_execz .LBB608_129
; %bb.124:
	v_cmp_lt_i64_e32 vcc, 3, v[0:1]
	s_and_saveexec_b64 s[2:3], vcc
	s_xor_b64 s[2:3], exec, s[2:3]
	s_cbranch_execz .LBB608_126
; %bb.125:
	v_mov_b32_e32 v0, 0
	s_waitcnt lgkmcnt(0)
	global_store_dword v0, v4, s[10:11]
                                        ; implicit-def: $vgpr6_vgpr7
.LBB608_126:
	s_andn2_saveexec_b64 s[2:3], s[2:3]
	s_cbranch_execz .LBB608_128
; %bb.127:
	v_mov_b32_e32 v0, 0
	s_waitcnt lgkmcnt(0)
	global_store_dword v0, v7, s[10:11]
.LBB608_128:
	s_or_b64 exec, exec, s[2:3]
                                        ; implicit-def: $vgpr0_vgpr1
                                        ; implicit-def: $vgpr6_vgpr7
                                        ; implicit-def: $vgpr2_vgpr3
.LBB608_129:
	s_andn2_saveexec_b64 s[0:1], s[0:1]
	s_cbranch_execz .LBB608_137
; %bb.130:
	v_cmp_lt_i64_e32 vcc, 1, v[0:1]
	s_and_saveexec_b64 s[0:1], vcc
	s_xor_b64 s[0:1], exec, s[0:1]
	s_cbranch_execz .LBB608_132
; %bb.131:
	v_mov_b32_e32 v0, 0
	s_waitcnt lgkmcnt(0)
	global_store_dword v0, v6, s[10:11]
                                        ; implicit-def: $vgpr2_vgpr3
                                        ; implicit-def: $vgpr0_vgpr1
.LBB608_132:
	s_andn2_saveexec_b64 s[0:1], s[0:1]
	s_cbranch_execz .LBB608_137
; %bb.133:
	v_cmp_ne_u64_e32 vcc, 1, v[0:1]
	s_and_saveexec_b64 s[0:1], vcc
	s_xor_b64 s[0:1], exec, s[0:1]
	s_cbranch_execz .LBB608_135
; %bb.134:
	v_mov_b32_e32 v0, 0
	s_waitcnt lgkmcnt(0)
	global_store_dword v0, v2, s[10:11]
                                        ; implicit-def: $vgpr2_vgpr3
.LBB608_135:
	s_andn2_saveexec_b64 s[0:1], s[0:1]
	s_cbranch_execz .LBB608_137
; %bb.136:
	v_mov_b32_e32 v0, 0
	s_waitcnt lgkmcnt(0)
	global_store_dword v0, v3, s[10:11]
.LBB608_137:
	s_endpgm
	.section	.rodata,"a",@progbits
	.p2align	6, 0x0
	.amdhsa_kernel _ZN7rocprim17ROCPRIM_400000_NS6detail17trampoline_kernelINS0_14default_configENS1_20scan_config_selectorIiEEZZNS1_9scan_implILNS1_25lookback_scan_determinismE0ELb0ELb1ES3_N6thrust23THRUST_200600_302600_NS6detail15normal_iteratorINS9_10device_ptrIiEEEESE_iNS9_10multipliesIiEEiEEDaPvRmT3_T4_T5_mT6_P12ihipStream_tbENKUlT_T0_E_clISt17integral_constantIbLb1EESU_EEDaSP_SQ_EUlSP_E_NS1_11comp_targetILNS1_3genE4ELNS1_11target_archE910ELNS1_3gpuE8ELNS1_3repE0EEENS1_30default_config_static_selectorELNS0_4arch9wavefront6targetE1EEEvT1_
		.amdhsa_group_segment_fixed_size 5120
		.amdhsa_private_segment_fixed_size 0
		.amdhsa_kernarg_size 96
		.amdhsa_user_sgpr_count 6
		.amdhsa_user_sgpr_private_segment_buffer 1
		.amdhsa_user_sgpr_dispatch_ptr 0
		.amdhsa_user_sgpr_queue_ptr 0
		.amdhsa_user_sgpr_kernarg_segment_ptr 1
		.amdhsa_user_sgpr_dispatch_id 0
		.amdhsa_user_sgpr_flat_scratch_init 0
		.amdhsa_user_sgpr_kernarg_preload_length 0
		.amdhsa_user_sgpr_kernarg_preload_offset 0
		.amdhsa_user_sgpr_private_segment_size 0
		.amdhsa_uses_dynamic_stack 0
		.amdhsa_system_sgpr_private_segment_wavefront_offset 0
		.amdhsa_system_sgpr_workgroup_id_x 1
		.amdhsa_system_sgpr_workgroup_id_y 0
		.amdhsa_system_sgpr_workgroup_id_z 0
		.amdhsa_system_sgpr_workgroup_info 0
		.amdhsa_system_vgpr_workitem_id 0
		.amdhsa_next_free_vgpr 40
		.amdhsa_next_free_sgpr 38
		.amdhsa_accum_offset 40
		.amdhsa_reserve_vcc 1
		.amdhsa_reserve_flat_scratch 0
		.amdhsa_float_round_mode_32 0
		.amdhsa_float_round_mode_16_64 0
		.amdhsa_float_denorm_mode_32 3
		.amdhsa_float_denorm_mode_16_64 3
		.amdhsa_dx10_clamp 1
		.amdhsa_ieee_mode 1
		.amdhsa_fp16_overflow 0
		.amdhsa_tg_split 0
		.amdhsa_exception_fp_ieee_invalid_op 0
		.amdhsa_exception_fp_denorm_src 0
		.amdhsa_exception_fp_ieee_div_zero 0
		.amdhsa_exception_fp_ieee_overflow 0
		.amdhsa_exception_fp_ieee_underflow 0
		.amdhsa_exception_fp_ieee_inexact 0
		.amdhsa_exception_int_div_zero 0
	.end_amdhsa_kernel
	.section	.text._ZN7rocprim17ROCPRIM_400000_NS6detail17trampoline_kernelINS0_14default_configENS1_20scan_config_selectorIiEEZZNS1_9scan_implILNS1_25lookback_scan_determinismE0ELb0ELb1ES3_N6thrust23THRUST_200600_302600_NS6detail15normal_iteratorINS9_10device_ptrIiEEEESE_iNS9_10multipliesIiEEiEEDaPvRmT3_T4_T5_mT6_P12ihipStream_tbENKUlT_T0_E_clISt17integral_constantIbLb1EESU_EEDaSP_SQ_EUlSP_E_NS1_11comp_targetILNS1_3genE4ELNS1_11target_archE910ELNS1_3gpuE8ELNS1_3repE0EEENS1_30default_config_static_selectorELNS0_4arch9wavefront6targetE1EEEvT1_,"axG",@progbits,_ZN7rocprim17ROCPRIM_400000_NS6detail17trampoline_kernelINS0_14default_configENS1_20scan_config_selectorIiEEZZNS1_9scan_implILNS1_25lookback_scan_determinismE0ELb0ELb1ES3_N6thrust23THRUST_200600_302600_NS6detail15normal_iteratorINS9_10device_ptrIiEEEESE_iNS9_10multipliesIiEEiEEDaPvRmT3_T4_T5_mT6_P12ihipStream_tbENKUlT_T0_E_clISt17integral_constantIbLb1EESU_EEDaSP_SQ_EUlSP_E_NS1_11comp_targetILNS1_3genE4ELNS1_11target_archE910ELNS1_3gpuE8ELNS1_3repE0EEENS1_30default_config_static_selectorELNS0_4arch9wavefront6targetE1EEEvT1_,comdat
.Lfunc_end608:
	.size	_ZN7rocprim17ROCPRIM_400000_NS6detail17trampoline_kernelINS0_14default_configENS1_20scan_config_selectorIiEEZZNS1_9scan_implILNS1_25lookback_scan_determinismE0ELb0ELb1ES3_N6thrust23THRUST_200600_302600_NS6detail15normal_iteratorINS9_10device_ptrIiEEEESE_iNS9_10multipliesIiEEiEEDaPvRmT3_T4_T5_mT6_P12ihipStream_tbENKUlT_T0_E_clISt17integral_constantIbLb1EESU_EEDaSP_SQ_EUlSP_E_NS1_11comp_targetILNS1_3genE4ELNS1_11target_archE910ELNS1_3gpuE8ELNS1_3repE0EEENS1_30default_config_static_selectorELNS0_4arch9wavefront6targetE1EEEvT1_, .Lfunc_end608-_ZN7rocprim17ROCPRIM_400000_NS6detail17trampoline_kernelINS0_14default_configENS1_20scan_config_selectorIiEEZZNS1_9scan_implILNS1_25lookback_scan_determinismE0ELb0ELb1ES3_N6thrust23THRUST_200600_302600_NS6detail15normal_iteratorINS9_10device_ptrIiEEEESE_iNS9_10multipliesIiEEiEEDaPvRmT3_T4_T5_mT6_P12ihipStream_tbENKUlT_T0_E_clISt17integral_constantIbLb1EESU_EEDaSP_SQ_EUlSP_E_NS1_11comp_targetILNS1_3genE4ELNS1_11target_archE910ELNS1_3gpuE8ELNS1_3repE0EEENS1_30default_config_static_selectorELNS0_4arch9wavefront6targetE1EEEvT1_
                                        ; -- End function
	.section	.AMDGPU.csdata,"",@progbits
; Kernel info:
; codeLenInByte = 5576
; NumSgprs: 42
; NumVgprs: 40
; NumAgprs: 0
; TotalNumVgprs: 40
; ScratchSize: 0
; MemoryBound: 0
; FloatMode: 240
; IeeeMode: 1
; LDSByteSize: 5120 bytes/workgroup (compile time only)
; SGPRBlocks: 5
; VGPRBlocks: 4
; NumSGPRsForWavesPerEU: 42
; NumVGPRsForWavesPerEU: 40
; AccumOffset: 40
; Occupancy: 6
; WaveLimiterHint : 1
; COMPUTE_PGM_RSRC2:SCRATCH_EN: 0
; COMPUTE_PGM_RSRC2:USER_SGPR: 6
; COMPUTE_PGM_RSRC2:TRAP_HANDLER: 0
; COMPUTE_PGM_RSRC2:TGID_X_EN: 1
; COMPUTE_PGM_RSRC2:TGID_Y_EN: 0
; COMPUTE_PGM_RSRC2:TGID_Z_EN: 0
; COMPUTE_PGM_RSRC2:TIDIG_COMP_CNT: 0
; COMPUTE_PGM_RSRC3_GFX90A:ACCUM_OFFSET: 9
; COMPUTE_PGM_RSRC3_GFX90A:TG_SPLIT: 0
	.section	.text._ZN7rocprim17ROCPRIM_400000_NS6detail17trampoline_kernelINS0_14default_configENS1_20scan_config_selectorIiEEZZNS1_9scan_implILNS1_25lookback_scan_determinismE0ELb0ELb1ES3_N6thrust23THRUST_200600_302600_NS6detail15normal_iteratorINS9_10device_ptrIiEEEESE_iNS9_10multipliesIiEEiEEDaPvRmT3_T4_T5_mT6_P12ihipStream_tbENKUlT_T0_E_clISt17integral_constantIbLb1EESU_EEDaSP_SQ_EUlSP_E_NS1_11comp_targetILNS1_3genE3ELNS1_11target_archE908ELNS1_3gpuE7ELNS1_3repE0EEENS1_30default_config_static_selectorELNS0_4arch9wavefront6targetE1EEEvT1_,"axG",@progbits,_ZN7rocprim17ROCPRIM_400000_NS6detail17trampoline_kernelINS0_14default_configENS1_20scan_config_selectorIiEEZZNS1_9scan_implILNS1_25lookback_scan_determinismE0ELb0ELb1ES3_N6thrust23THRUST_200600_302600_NS6detail15normal_iteratorINS9_10device_ptrIiEEEESE_iNS9_10multipliesIiEEiEEDaPvRmT3_T4_T5_mT6_P12ihipStream_tbENKUlT_T0_E_clISt17integral_constantIbLb1EESU_EEDaSP_SQ_EUlSP_E_NS1_11comp_targetILNS1_3genE3ELNS1_11target_archE908ELNS1_3gpuE7ELNS1_3repE0EEENS1_30default_config_static_selectorELNS0_4arch9wavefront6targetE1EEEvT1_,comdat
	.protected	_ZN7rocprim17ROCPRIM_400000_NS6detail17trampoline_kernelINS0_14default_configENS1_20scan_config_selectorIiEEZZNS1_9scan_implILNS1_25lookback_scan_determinismE0ELb0ELb1ES3_N6thrust23THRUST_200600_302600_NS6detail15normal_iteratorINS9_10device_ptrIiEEEESE_iNS9_10multipliesIiEEiEEDaPvRmT3_T4_T5_mT6_P12ihipStream_tbENKUlT_T0_E_clISt17integral_constantIbLb1EESU_EEDaSP_SQ_EUlSP_E_NS1_11comp_targetILNS1_3genE3ELNS1_11target_archE908ELNS1_3gpuE7ELNS1_3repE0EEENS1_30default_config_static_selectorELNS0_4arch9wavefront6targetE1EEEvT1_ ; -- Begin function _ZN7rocprim17ROCPRIM_400000_NS6detail17trampoline_kernelINS0_14default_configENS1_20scan_config_selectorIiEEZZNS1_9scan_implILNS1_25lookback_scan_determinismE0ELb0ELb1ES3_N6thrust23THRUST_200600_302600_NS6detail15normal_iteratorINS9_10device_ptrIiEEEESE_iNS9_10multipliesIiEEiEEDaPvRmT3_T4_T5_mT6_P12ihipStream_tbENKUlT_T0_E_clISt17integral_constantIbLb1EESU_EEDaSP_SQ_EUlSP_E_NS1_11comp_targetILNS1_3genE3ELNS1_11target_archE908ELNS1_3gpuE7ELNS1_3repE0EEENS1_30default_config_static_selectorELNS0_4arch9wavefront6targetE1EEEvT1_
	.globl	_ZN7rocprim17ROCPRIM_400000_NS6detail17trampoline_kernelINS0_14default_configENS1_20scan_config_selectorIiEEZZNS1_9scan_implILNS1_25lookback_scan_determinismE0ELb0ELb1ES3_N6thrust23THRUST_200600_302600_NS6detail15normal_iteratorINS9_10device_ptrIiEEEESE_iNS9_10multipliesIiEEiEEDaPvRmT3_T4_T5_mT6_P12ihipStream_tbENKUlT_T0_E_clISt17integral_constantIbLb1EESU_EEDaSP_SQ_EUlSP_E_NS1_11comp_targetILNS1_3genE3ELNS1_11target_archE908ELNS1_3gpuE7ELNS1_3repE0EEENS1_30default_config_static_selectorELNS0_4arch9wavefront6targetE1EEEvT1_
	.p2align	8
	.type	_ZN7rocprim17ROCPRIM_400000_NS6detail17trampoline_kernelINS0_14default_configENS1_20scan_config_selectorIiEEZZNS1_9scan_implILNS1_25lookback_scan_determinismE0ELb0ELb1ES3_N6thrust23THRUST_200600_302600_NS6detail15normal_iteratorINS9_10device_ptrIiEEEESE_iNS9_10multipliesIiEEiEEDaPvRmT3_T4_T5_mT6_P12ihipStream_tbENKUlT_T0_E_clISt17integral_constantIbLb1EESU_EEDaSP_SQ_EUlSP_E_NS1_11comp_targetILNS1_3genE3ELNS1_11target_archE908ELNS1_3gpuE7ELNS1_3repE0EEENS1_30default_config_static_selectorELNS0_4arch9wavefront6targetE1EEEvT1_,@function
_ZN7rocprim17ROCPRIM_400000_NS6detail17trampoline_kernelINS0_14default_configENS1_20scan_config_selectorIiEEZZNS1_9scan_implILNS1_25lookback_scan_determinismE0ELb0ELb1ES3_N6thrust23THRUST_200600_302600_NS6detail15normal_iteratorINS9_10device_ptrIiEEEESE_iNS9_10multipliesIiEEiEEDaPvRmT3_T4_T5_mT6_P12ihipStream_tbENKUlT_T0_E_clISt17integral_constantIbLb1EESU_EEDaSP_SQ_EUlSP_E_NS1_11comp_targetILNS1_3genE3ELNS1_11target_archE908ELNS1_3gpuE7ELNS1_3repE0EEENS1_30default_config_static_selectorELNS0_4arch9wavefront6targetE1EEEvT1_: ; @_ZN7rocprim17ROCPRIM_400000_NS6detail17trampoline_kernelINS0_14default_configENS1_20scan_config_selectorIiEEZZNS1_9scan_implILNS1_25lookback_scan_determinismE0ELb0ELb1ES3_N6thrust23THRUST_200600_302600_NS6detail15normal_iteratorINS9_10device_ptrIiEEEESE_iNS9_10multipliesIiEEiEEDaPvRmT3_T4_T5_mT6_P12ihipStream_tbENKUlT_T0_E_clISt17integral_constantIbLb1EESU_EEDaSP_SQ_EUlSP_E_NS1_11comp_targetILNS1_3genE3ELNS1_11target_archE908ELNS1_3gpuE7ELNS1_3repE0EEENS1_30default_config_static_selectorELNS0_4arch9wavefront6targetE1EEEvT1_
; %bb.0:
	.section	.rodata,"a",@progbits
	.p2align	6, 0x0
	.amdhsa_kernel _ZN7rocprim17ROCPRIM_400000_NS6detail17trampoline_kernelINS0_14default_configENS1_20scan_config_selectorIiEEZZNS1_9scan_implILNS1_25lookback_scan_determinismE0ELb0ELb1ES3_N6thrust23THRUST_200600_302600_NS6detail15normal_iteratorINS9_10device_ptrIiEEEESE_iNS9_10multipliesIiEEiEEDaPvRmT3_T4_T5_mT6_P12ihipStream_tbENKUlT_T0_E_clISt17integral_constantIbLb1EESU_EEDaSP_SQ_EUlSP_E_NS1_11comp_targetILNS1_3genE3ELNS1_11target_archE908ELNS1_3gpuE7ELNS1_3repE0EEENS1_30default_config_static_selectorELNS0_4arch9wavefront6targetE1EEEvT1_
		.amdhsa_group_segment_fixed_size 0
		.amdhsa_private_segment_fixed_size 0
		.amdhsa_kernarg_size 96
		.amdhsa_user_sgpr_count 6
		.amdhsa_user_sgpr_private_segment_buffer 1
		.amdhsa_user_sgpr_dispatch_ptr 0
		.amdhsa_user_sgpr_queue_ptr 0
		.amdhsa_user_sgpr_kernarg_segment_ptr 1
		.amdhsa_user_sgpr_dispatch_id 0
		.amdhsa_user_sgpr_flat_scratch_init 0
		.amdhsa_user_sgpr_kernarg_preload_length 0
		.amdhsa_user_sgpr_kernarg_preload_offset 0
		.amdhsa_user_sgpr_private_segment_size 0
		.amdhsa_uses_dynamic_stack 0
		.amdhsa_system_sgpr_private_segment_wavefront_offset 0
		.amdhsa_system_sgpr_workgroup_id_x 1
		.amdhsa_system_sgpr_workgroup_id_y 0
		.amdhsa_system_sgpr_workgroup_id_z 0
		.amdhsa_system_sgpr_workgroup_info 0
		.amdhsa_system_vgpr_workitem_id 0
		.amdhsa_next_free_vgpr 1
		.amdhsa_next_free_sgpr 0
		.amdhsa_accum_offset 4
		.amdhsa_reserve_vcc 0
		.amdhsa_reserve_flat_scratch 0
		.amdhsa_float_round_mode_32 0
		.amdhsa_float_round_mode_16_64 0
		.amdhsa_float_denorm_mode_32 3
		.amdhsa_float_denorm_mode_16_64 3
		.amdhsa_dx10_clamp 1
		.amdhsa_ieee_mode 1
		.amdhsa_fp16_overflow 0
		.amdhsa_tg_split 0
		.amdhsa_exception_fp_ieee_invalid_op 0
		.amdhsa_exception_fp_denorm_src 0
		.amdhsa_exception_fp_ieee_div_zero 0
		.amdhsa_exception_fp_ieee_overflow 0
		.amdhsa_exception_fp_ieee_underflow 0
		.amdhsa_exception_fp_ieee_inexact 0
		.amdhsa_exception_int_div_zero 0
	.end_amdhsa_kernel
	.section	.text._ZN7rocprim17ROCPRIM_400000_NS6detail17trampoline_kernelINS0_14default_configENS1_20scan_config_selectorIiEEZZNS1_9scan_implILNS1_25lookback_scan_determinismE0ELb0ELb1ES3_N6thrust23THRUST_200600_302600_NS6detail15normal_iteratorINS9_10device_ptrIiEEEESE_iNS9_10multipliesIiEEiEEDaPvRmT3_T4_T5_mT6_P12ihipStream_tbENKUlT_T0_E_clISt17integral_constantIbLb1EESU_EEDaSP_SQ_EUlSP_E_NS1_11comp_targetILNS1_3genE3ELNS1_11target_archE908ELNS1_3gpuE7ELNS1_3repE0EEENS1_30default_config_static_selectorELNS0_4arch9wavefront6targetE1EEEvT1_,"axG",@progbits,_ZN7rocprim17ROCPRIM_400000_NS6detail17trampoline_kernelINS0_14default_configENS1_20scan_config_selectorIiEEZZNS1_9scan_implILNS1_25lookback_scan_determinismE0ELb0ELb1ES3_N6thrust23THRUST_200600_302600_NS6detail15normal_iteratorINS9_10device_ptrIiEEEESE_iNS9_10multipliesIiEEiEEDaPvRmT3_T4_T5_mT6_P12ihipStream_tbENKUlT_T0_E_clISt17integral_constantIbLb1EESU_EEDaSP_SQ_EUlSP_E_NS1_11comp_targetILNS1_3genE3ELNS1_11target_archE908ELNS1_3gpuE7ELNS1_3repE0EEENS1_30default_config_static_selectorELNS0_4arch9wavefront6targetE1EEEvT1_,comdat
.Lfunc_end609:
	.size	_ZN7rocprim17ROCPRIM_400000_NS6detail17trampoline_kernelINS0_14default_configENS1_20scan_config_selectorIiEEZZNS1_9scan_implILNS1_25lookback_scan_determinismE0ELb0ELb1ES3_N6thrust23THRUST_200600_302600_NS6detail15normal_iteratorINS9_10device_ptrIiEEEESE_iNS9_10multipliesIiEEiEEDaPvRmT3_T4_T5_mT6_P12ihipStream_tbENKUlT_T0_E_clISt17integral_constantIbLb1EESU_EEDaSP_SQ_EUlSP_E_NS1_11comp_targetILNS1_3genE3ELNS1_11target_archE908ELNS1_3gpuE7ELNS1_3repE0EEENS1_30default_config_static_selectorELNS0_4arch9wavefront6targetE1EEEvT1_, .Lfunc_end609-_ZN7rocprim17ROCPRIM_400000_NS6detail17trampoline_kernelINS0_14default_configENS1_20scan_config_selectorIiEEZZNS1_9scan_implILNS1_25lookback_scan_determinismE0ELb0ELb1ES3_N6thrust23THRUST_200600_302600_NS6detail15normal_iteratorINS9_10device_ptrIiEEEESE_iNS9_10multipliesIiEEiEEDaPvRmT3_T4_T5_mT6_P12ihipStream_tbENKUlT_T0_E_clISt17integral_constantIbLb1EESU_EEDaSP_SQ_EUlSP_E_NS1_11comp_targetILNS1_3genE3ELNS1_11target_archE908ELNS1_3gpuE7ELNS1_3repE0EEENS1_30default_config_static_selectorELNS0_4arch9wavefront6targetE1EEEvT1_
                                        ; -- End function
	.section	.AMDGPU.csdata,"",@progbits
; Kernel info:
; codeLenInByte = 0
; NumSgprs: 4
; NumVgprs: 0
; NumAgprs: 0
; TotalNumVgprs: 0
; ScratchSize: 0
; MemoryBound: 0
; FloatMode: 240
; IeeeMode: 1
; LDSByteSize: 0 bytes/workgroup (compile time only)
; SGPRBlocks: 0
; VGPRBlocks: 0
; NumSGPRsForWavesPerEU: 4
; NumVGPRsForWavesPerEU: 1
; AccumOffset: 4
; Occupancy: 8
; WaveLimiterHint : 0
; COMPUTE_PGM_RSRC2:SCRATCH_EN: 0
; COMPUTE_PGM_RSRC2:USER_SGPR: 6
; COMPUTE_PGM_RSRC2:TRAP_HANDLER: 0
; COMPUTE_PGM_RSRC2:TGID_X_EN: 1
; COMPUTE_PGM_RSRC2:TGID_Y_EN: 0
; COMPUTE_PGM_RSRC2:TGID_Z_EN: 0
; COMPUTE_PGM_RSRC2:TIDIG_COMP_CNT: 0
; COMPUTE_PGM_RSRC3_GFX90A:ACCUM_OFFSET: 0
; COMPUTE_PGM_RSRC3_GFX90A:TG_SPLIT: 0
	.section	.text._ZN7rocprim17ROCPRIM_400000_NS6detail17trampoline_kernelINS0_14default_configENS1_20scan_config_selectorIiEEZZNS1_9scan_implILNS1_25lookback_scan_determinismE0ELb0ELb1ES3_N6thrust23THRUST_200600_302600_NS6detail15normal_iteratorINS9_10device_ptrIiEEEESE_iNS9_10multipliesIiEEiEEDaPvRmT3_T4_T5_mT6_P12ihipStream_tbENKUlT_T0_E_clISt17integral_constantIbLb1EESU_EEDaSP_SQ_EUlSP_E_NS1_11comp_targetILNS1_3genE2ELNS1_11target_archE906ELNS1_3gpuE6ELNS1_3repE0EEENS1_30default_config_static_selectorELNS0_4arch9wavefront6targetE1EEEvT1_,"axG",@progbits,_ZN7rocprim17ROCPRIM_400000_NS6detail17trampoline_kernelINS0_14default_configENS1_20scan_config_selectorIiEEZZNS1_9scan_implILNS1_25lookback_scan_determinismE0ELb0ELb1ES3_N6thrust23THRUST_200600_302600_NS6detail15normal_iteratorINS9_10device_ptrIiEEEESE_iNS9_10multipliesIiEEiEEDaPvRmT3_T4_T5_mT6_P12ihipStream_tbENKUlT_T0_E_clISt17integral_constantIbLb1EESU_EEDaSP_SQ_EUlSP_E_NS1_11comp_targetILNS1_3genE2ELNS1_11target_archE906ELNS1_3gpuE6ELNS1_3repE0EEENS1_30default_config_static_selectorELNS0_4arch9wavefront6targetE1EEEvT1_,comdat
	.protected	_ZN7rocprim17ROCPRIM_400000_NS6detail17trampoline_kernelINS0_14default_configENS1_20scan_config_selectorIiEEZZNS1_9scan_implILNS1_25lookback_scan_determinismE0ELb0ELb1ES3_N6thrust23THRUST_200600_302600_NS6detail15normal_iteratorINS9_10device_ptrIiEEEESE_iNS9_10multipliesIiEEiEEDaPvRmT3_T4_T5_mT6_P12ihipStream_tbENKUlT_T0_E_clISt17integral_constantIbLb1EESU_EEDaSP_SQ_EUlSP_E_NS1_11comp_targetILNS1_3genE2ELNS1_11target_archE906ELNS1_3gpuE6ELNS1_3repE0EEENS1_30default_config_static_selectorELNS0_4arch9wavefront6targetE1EEEvT1_ ; -- Begin function _ZN7rocprim17ROCPRIM_400000_NS6detail17trampoline_kernelINS0_14default_configENS1_20scan_config_selectorIiEEZZNS1_9scan_implILNS1_25lookback_scan_determinismE0ELb0ELb1ES3_N6thrust23THRUST_200600_302600_NS6detail15normal_iteratorINS9_10device_ptrIiEEEESE_iNS9_10multipliesIiEEiEEDaPvRmT3_T4_T5_mT6_P12ihipStream_tbENKUlT_T0_E_clISt17integral_constantIbLb1EESU_EEDaSP_SQ_EUlSP_E_NS1_11comp_targetILNS1_3genE2ELNS1_11target_archE906ELNS1_3gpuE6ELNS1_3repE0EEENS1_30default_config_static_selectorELNS0_4arch9wavefront6targetE1EEEvT1_
	.globl	_ZN7rocprim17ROCPRIM_400000_NS6detail17trampoline_kernelINS0_14default_configENS1_20scan_config_selectorIiEEZZNS1_9scan_implILNS1_25lookback_scan_determinismE0ELb0ELb1ES3_N6thrust23THRUST_200600_302600_NS6detail15normal_iteratorINS9_10device_ptrIiEEEESE_iNS9_10multipliesIiEEiEEDaPvRmT3_T4_T5_mT6_P12ihipStream_tbENKUlT_T0_E_clISt17integral_constantIbLb1EESU_EEDaSP_SQ_EUlSP_E_NS1_11comp_targetILNS1_3genE2ELNS1_11target_archE906ELNS1_3gpuE6ELNS1_3repE0EEENS1_30default_config_static_selectorELNS0_4arch9wavefront6targetE1EEEvT1_
	.p2align	8
	.type	_ZN7rocprim17ROCPRIM_400000_NS6detail17trampoline_kernelINS0_14default_configENS1_20scan_config_selectorIiEEZZNS1_9scan_implILNS1_25lookback_scan_determinismE0ELb0ELb1ES3_N6thrust23THRUST_200600_302600_NS6detail15normal_iteratorINS9_10device_ptrIiEEEESE_iNS9_10multipliesIiEEiEEDaPvRmT3_T4_T5_mT6_P12ihipStream_tbENKUlT_T0_E_clISt17integral_constantIbLb1EESU_EEDaSP_SQ_EUlSP_E_NS1_11comp_targetILNS1_3genE2ELNS1_11target_archE906ELNS1_3gpuE6ELNS1_3repE0EEENS1_30default_config_static_selectorELNS0_4arch9wavefront6targetE1EEEvT1_,@function
_ZN7rocprim17ROCPRIM_400000_NS6detail17trampoline_kernelINS0_14default_configENS1_20scan_config_selectorIiEEZZNS1_9scan_implILNS1_25lookback_scan_determinismE0ELb0ELb1ES3_N6thrust23THRUST_200600_302600_NS6detail15normal_iteratorINS9_10device_ptrIiEEEESE_iNS9_10multipliesIiEEiEEDaPvRmT3_T4_T5_mT6_P12ihipStream_tbENKUlT_T0_E_clISt17integral_constantIbLb1EESU_EEDaSP_SQ_EUlSP_E_NS1_11comp_targetILNS1_3genE2ELNS1_11target_archE906ELNS1_3gpuE6ELNS1_3repE0EEENS1_30default_config_static_selectorELNS0_4arch9wavefront6targetE1EEEvT1_: ; @_ZN7rocprim17ROCPRIM_400000_NS6detail17trampoline_kernelINS0_14default_configENS1_20scan_config_selectorIiEEZZNS1_9scan_implILNS1_25lookback_scan_determinismE0ELb0ELb1ES3_N6thrust23THRUST_200600_302600_NS6detail15normal_iteratorINS9_10device_ptrIiEEEESE_iNS9_10multipliesIiEEiEEDaPvRmT3_T4_T5_mT6_P12ihipStream_tbENKUlT_T0_E_clISt17integral_constantIbLb1EESU_EEDaSP_SQ_EUlSP_E_NS1_11comp_targetILNS1_3genE2ELNS1_11target_archE906ELNS1_3gpuE6ELNS1_3repE0EEENS1_30default_config_static_selectorELNS0_4arch9wavefront6targetE1EEEvT1_
; %bb.0:
	.section	.rodata,"a",@progbits
	.p2align	6, 0x0
	.amdhsa_kernel _ZN7rocprim17ROCPRIM_400000_NS6detail17trampoline_kernelINS0_14default_configENS1_20scan_config_selectorIiEEZZNS1_9scan_implILNS1_25lookback_scan_determinismE0ELb0ELb1ES3_N6thrust23THRUST_200600_302600_NS6detail15normal_iteratorINS9_10device_ptrIiEEEESE_iNS9_10multipliesIiEEiEEDaPvRmT3_T4_T5_mT6_P12ihipStream_tbENKUlT_T0_E_clISt17integral_constantIbLb1EESU_EEDaSP_SQ_EUlSP_E_NS1_11comp_targetILNS1_3genE2ELNS1_11target_archE906ELNS1_3gpuE6ELNS1_3repE0EEENS1_30default_config_static_selectorELNS0_4arch9wavefront6targetE1EEEvT1_
		.amdhsa_group_segment_fixed_size 0
		.amdhsa_private_segment_fixed_size 0
		.amdhsa_kernarg_size 96
		.amdhsa_user_sgpr_count 6
		.amdhsa_user_sgpr_private_segment_buffer 1
		.amdhsa_user_sgpr_dispatch_ptr 0
		.amdhsa_user_sgpr_queue_ptr 0
		.amdhsa_user_sgpr_kernarg_segment_ptr 1
		.amdhsa_user_sgpr_dispatch_id 0
		.amdhsa_user_sgpr_flat_scratch_init 0
		.amdhsa_user_sgpr_kernarg_preload_length 0
		.amdhsa_user_sgpr_kernarg_preload_offset 0
		.amdhsa_user_sgpr_private_segment_size 0
		.amdhsa_uses_dynamic_stack 0
		.amdhsa_system_sgpr_private_segment_wavefront_offset 0
		.amdhsa_system_sgpr_workgroup_id_x 1
		.amdhsa_system_sgpr_workgroup_id_y 0
		.amdhsa_system_sgpr_workgroup_id_z 0
		.amdhsa_system_sgpr_workgroup_info 0
		.amdhsa_system_vgpr_workitem_id 0
		.amdhsa_next_free_vgpr 1
		.amdhsa_next_free_sgpr 0
		.amdhsa_accum_offset 4
		.amdhsa_reserve_vcc 0
		.amdhsa_reserve_flat_scratch 0
		.amdhsa_float_round_mode_32 0
		.amdhsa_float_round_mode_16_64 0
		.amdhsa_float_denorm_mode_32 3
		.amdhsa_float_denorm_mode_16_64 3
		.amdhsa_dx10_clamp 1
		.amdhsa_ieee_mode 1
		.amdhsa_fp16_overflow 0
		.amdhsa_tg_split 0
		.amdhsa_exception_fp_ieee_invalid_op 0
		.amdhsa_exception_fp_denorm_src 0
		.amdhsa_exception_fp_ieee_div_zero 0
		.amdhsa_exception_fp_ieee_overflow 0
		.amdhsa_exception_fp_ieee_underflow 0
		.amdhsa_exception_fp_ieee_inexact 0
		.amdhsa_exception_int_div_zero 0
	.end_amdhsa_kernel
	.section	.text._ZN7rocprim17ROCPRIM_400000_NS6detail17trampoline_kernelINS0_14default_configENS1_20scan_config_selectorIiEEZZNS1_9scan_implILNS1_25lookback_scan_determinismE0ELb0ELb1ES3_N6thrust23THRUST_200600_302600_NS6detail15normal_iteratorINS9_10device_ptrIiEEEESE_iNS9_10multipliesIiEEiEEDaPvRmT3_T4_T5_mT6_P12ihipStream_tbENKUlT_T0_E_clISt17integral_constantIbLb1EESU_EEDaSP_SQ_EUlSP_E_NS1_11comp_targetILNS1_3genE2ELNS1_11target_archE906ELNS1_3gpuE6ELNS1_3repE0EEENS1_30default_config_static_selectorELNS0_4arch9wavefront6targetE1EEEvT1_,"axG",@progbits,_ZN7rocprim17ROCPRIM_400000_NS6detail17trampoline_kernelINS0_14default_configENS1_20scan_config_selectorIiEEZZNS1_9scan_implILNS1_25lookback_scan_determinismE0ELb0ELb1ES3_N6thrust23THRUST_200600_302600_NS6detail15normal_iteratorINS9_10device_ptrIiEEEESE_iNS9_10multipliesIiEEiEEDaPvRmT3_T4_T5_mT6_P12ihipStream_tbENKUlT_T0_E_clISt17integral_constantIbLb1EESU_EEDaSP_SQ_EUlSP_E_NS1_11comp_targetILNS1_3genE2ELNS1_11target_archE906ELNS1_3gpuE6ELNS1_3repE0EEENS1_30default_config_static_selectorELNS0_4arch9wavefront6targetE1EEEvT1_,comdat
.Lfunc_end610:
	.size	_ZN7rocprim17ROCPRIM_400000_NS6detail17trampoline_kernelINS0_14default_configENS1_20scan_config_selectorIiEEZZNS1_9scan_implILNS1_25lookback_scan_determinismE0ELb0ELb1ES3_N6thrust23THRUST_200600_302600_NS6detail15normal_iteratorINS9_10device_ptrIiEEEESE_iNS9_10multipliesIiEEiEEDaPvRmT3_T4_T5_mT6_P12ihipStream_tbENKUlT_T0_E_clISt17integral_constantIbLb1EESU_EEDaSP_SQ_EUlSP_E_NS1_11comp_targetILNS1_3genE2ELNS1_11target_archE906ELNS1_3gpuE6ELNS1_3repE0EEENS1_30default_config_static_selectorELNS0_4arch9wavefront6targetE1EEEvT1_, .Lfunc_end610-_ZN7rocprim17ROCPRIM_400000_NS6detail17trampoline_kernelINS0_14default_configENS1_20scan_config_selectorIiEEZZNS1_9scan_implILNS1_25lookback_scan_determinismE0ELb0ELb1ES3_N6thrust23THRUST_200600_302600_NS6detail15normal_iteratorINS9_10device_ptrIiEEEESE_iNS9_10multipliesIiEEiEEDaPvRmT3_T4_T5_mT6_P12ihipStream_tbENKUlT_T0_E_clISt17integral_constantIbLb1EESU_EEDaSP_SQ_EUlSP_E_NS1_11comp_targetILNS1_3genE2ELNS1_11target_archE906ELNS1_3gpuE6ELNS1_3repE0EEENS1_30default_config_static_selectorELNS0_4arch9wavefront6targetE1EEEvT1_
                                        ; -- End function
	.section	.AMDGPU.csdata,"",@progbits
; Kernel info:
; codeLenInByte = 0
; NumSgprs: 4
; NumVgprs: 0
; NumAgprs: 0
; TotalNumVgprs: 0
; ScratchSize: 0
; MemoryBound: 0
; FloatMode: 240
; IeeeMode: 1
; LDSByteSize: 0 bytes/workgroup (compile time only)
; SGPRBlocks: 0
; VGPRBlocks: 0
; NumSGPRsForWavesPerEU: 4
; NumVGPRsForWavesPerEU: 1
; AccumOffset: 4
; Occupancy: 8
; WaveLimiterHint : 0
; COMPUTE_PGM_RSRC2:SCRATCH_EN: 0
; COMPUTE_PGM_RSRC2:USER_SGPR: 6
; COMPUTE_PGM_RSRC2:TRAP_HANDLER: 0
; COMPUTE_PGM_RSRC2:TGID_X_EN: 1
; COMPUTE_PGM_RSRC2:TGID_Y_EN: 0
; COMPUTE_PGM_RSRC2:TGID_Z_EN: 0
; COMPUTE_PGM_RSRC2:TIDIG_COMP_CNT: 0
; COMPUTE_PGM_RSRC3_GFX90A:ACCUM_OFFSET: 0
; COMPUTE_PGM_RSRC3_GFX90A:TG_SPLIT: 0
	.section	.text._ZN7rocprim17ROCPRIM_400000_NS6detail17trampoline_kernelINS0_14default_configENS1_20scan_config_selectorIiEEZZNS1_9scan_implILNS1_25lookback_scan_determinismE0ELb0ELb1ES3_N6thrust23THRUST_200600_302600_NS6detail15normal_iteratorINS9_10device_ptrIiEEEESE_iNS9_10multipliesIiEEiEEDaPvRmT3_T4_T5_mT6_P12ihipStream_tbENKUlT_T0_E_clISt17integral_constantIbLb1EESU_EEDaSP_SQ_EUlSP_E_NS1_11comp_targetILNS1_3genE10ELNS1_11target_archE1201ELNS1_3gpuE5ELNS1_3repE0EEENS1_30default_config_static_selectorELNS0_4arch9wavefront6targetE1EEEvT1_,"axG",@progbits,_ZN7rocprim17ROCPRIM_400000_NS6detail17trampoline_kernelINS0_14default_configENS1_20scan_config_selectorIiEEZZNS1_9scan_implILNS1_25lookback_scan_determinismE0ELb0ELb1ES3_N6thrust23THRUST_200600_302600_NS6detail15normal_iteratorINS9_10device_ptrIiEEEESE_iNS9_10multipliesIiEEiEEDaPvRmT3_T4_T5_mT6_P12ihipStream_tbENKUlT_T0_E_clISt17integral_constantIbLb1EESU_EEDaSP_SQ_EUlSP_E_NS1_11comp_targetILNS1_3genE10ELNS1_11target_archE1201ELNS1_3gpuE5ELNS1_3repE0EEENS1_30default_config_static_selectorELNS0_4arch9wavefront6targetE1EEEvT1_,comdat
	.protected	_ZN7rocprim17ROCPRIM_400000_NS6detail17trampoline_kernelINS0_14default_configENS1_20scan_config_selectorIiEEZZNS1_9scan_implILNS1_25lookback_scan_determinismE0ELb0ELb1ES3_N6thrust23THRUST_200600_302600_NS6detail15normal_iteratorINS9_10device_ptrIiEEEESE_iNS9_10multipliesIiEEiEEDaPvRmT3_T4_T5_mT6_P12ihipStream_tbENKUlT_T0_E_clISt17integral_constantIbLb1EESU_EEDaSP_SQ_EUlSP_E_NS1_11comp_targetILNS1_3genE10ELNS1_11target_archE1201ELNS1_3gpuE5ELNS1_3repE0EEENS1_30default_config_static_selectorELNS0_4arch9wavefront6targetE1EEEvT1_ ; -- Begin function _ZN7rocprim17ROCPRIM_400000_NS6detail17trampoline_kernelINS0_14default_configENS1_20scan_config_selectorIiEEZZNS1_9scan_implILNS1_25lookback_scan_determinismE0ELb0ELb1ES3_N6thrust23THRUST_200600_302600_NS6detail15normal_iteratorINS9_10device_ptrIiEEEESE_iNS9_10multipliesIiEEiEEDaPvRmT3_T4_T5_mT6_P12ihipStream_tbENKUlT_T0_E_clISt17integral_constantIbLb1EESU_EEDaSP_SQ_EUlSP_E_NS1_11comp_targetILNS1_3genE10ELNS1_11target_archE1201ELNS1_3gpuE5ELNS1_3repE0EEENS1_30default_config_static_selectorELNS0_4arch9wavefront6targetE1EEEvT1_
	.globl	_ZN7rocprim17ROCPRIM_400000_NS6detail17trampoline_kernelINS0_14default_configENS1_20scan_config_selectorIiEEZZNS1_9scan_implILNS1_25lookback_scan_determinismE0ELb0ELb1ES3_N6thrust23THRUST_200600_302600_NS6detail15normal_iteratorINS9_10device_ptrIiEEEESE_iNS9_10multipliesIiEEiEEDaPvRmT3_T4_T5_mT6_P12ihipStream_tbENKUlT_T0_E_clISt17integral_constantIbLb1EESU_EEDaSP_SQ_EUlSP_E_NS1_11comp_targetILNS1_3genE10ELNS1_11target_archE1201ELNS1_3gpuE5ELNS1_3repE0EEENS1_30default_config_static_selectorELNS0_4arch9wavefront6targetE1EEEvT1_
	.p2align	8
	.type	_ZN7rocprim17ROCPRIM_400000_NS6detail17trampoline_kernelINS0_14default_configENS1_20scan_config_selectorIiEEZZNS1_9scan_implILNS1_25lookback_scan_determinismE0ELb0ELb1ES3_N6thrust23THRUST_200600_302600_NS6detail15normal_iteratorINS9_10device_ptrIiEEEESE_iNS9_10multipliesIiEEiEEDaPvRmT3_T4_T5_mT6_P12ihipStream_tbENKUlT_T0_E_clISt17integral_constantIbLb1EESU_EEDaSP_SQ_EUlSP_E_NS1_11comp_targetILNS1_3genE10ELNS1_11target_archE1201ELNS1_3gpuE5ELNS1_3repE0EEENS1_30default_config_static_selectorELNS0_4arch9wavefront6targetE1EEEvT1_,@function
_ZN7rocprim17ROCPRIM_400000_NS6detail17trampoline_kernelINS0_14default_configENS1_20scan_config_selectorIiEEZZNS1_9scan_implILNS1_25lookback_scan_determinismE0ELb0ELb1ES3_N6thrust23THRUST_200600_302600_NS6detail15normal_iteratorINS9_10device_ptrIiEEEESE_iNS9_10multipliesIiEEiEEDaPvRmT3_T4_T5_mT6_P12ihipStream_tbENKUlT_T0_E_clISt17integral_constantIbLb1EESU_EEDaSP_SQ_EUlSP_E_NS1_11comp_targetILNS1_3genE10ELNS1_11target_archE1201ELNS1_3gpuE5ELNS1_3repE0EEENS1_30default_config_static_selectorELNS0_4arch9wavefront6targetE1EEEvT1_: ; @_ZN7rocprim17ROCPRIM_400000_NS6detail17trampoline_kernelINS0_14default_configENS1_20scan_config_selectorIiEEZZNS1_9scan_implILNS1_25lookback_scan_determinismE0ELb0ELb1ES3_N6thrust23THRUST_200600_302600_NS6detail15normal_iteratorINS9_10device_ptrIiEEEESE_iNS9_10multipliesIiEEiEEDaPvRmT3_T4_T5_mT6_P12ihipStream_tbENKUlT_T0_E_clISt17integral_constantIbLb1EESU_EEDaSP_SQ_EUlSP_E_NS1_11comp_targetILNS1_3genE10ELNS1_11target_archE1201ELNS1_3gpuE5ELNS1_3repE0EEENS1_30default_config_static_selectorELNS0_4arch9wavefront6targetE1EEEvT1_
; %bb.0:
	.section	.rodata,"a",@progbits
	.p2align	6, 0x0
	.amdhsa_kernel _ZN7rocprim17ROCPRIM_400000_NS6detail17trampoline_kernelINS0_14default_configENS1_20scan_config_selectorIiEEZZNS1_9scan_implILNS1_25lookback_scan_determinismE0ELb0ELb1ES3_N6thrust23THRUST_200600_302600_NS6detail15normal_iteratorINS9_10device_ptrIiEEEESE_iNS9_10multipliesIiEEiEEDaPvRmT3_T4_T5_mT6_P12ihipStream_tbENKUlT_T0_E_clISt17integral_constantIbLb1EESU_EEDaSP_SQ_EUlSP_E_NS1_11comp_targetILNS1_3genE10ELNS1_11target_archE1201ELNS1_3gpuE5ELNS1_3repE0EEENS1_30default_config_static_selectorELNS0_4arch9wavefront6targetE1EEEvT1_
		.amdhsa_group_segment_fixed_size 0
		.amdhsa_private_segment_fixed_size 0
		.amdhsa_kernarg_size 96
		.amdhsa_user_sgpr_count 6
		.amdhsa_user_sgpr_private_segment_buffer 1
		.amdhsa_user_sgpr_dispatch_ptr 0
		.amdhsa_user_sgpr_queue_ptr 0
		.amdhsa_user_sgpr_kernarg_segment_ptr 1
		.amdhsa_user_sgpr_dispatch_id 0
		.amdhsa_user_sgpr_flat_scratch_init 0
		.amdhsa_user_sgpr_kernarg_preload_length 0
		.amdhsa_user_sgpr_kernarg_preload_offset 0
		.amdhsa_user_sgpr_private_segment_size 0
		.amdhsa_uses_dynamic_stack 0
		.amdhsa_system_sgpr_private_segment_wavefront_offset 0
		.amdhsa_system_sgpr_workgroup_id_x 1
		.amdhsa_system_sgpr_workgroup_id_y 0
		.amdhsa_system_sgpr_workgroup_id_z 0
		.amdhsa_system_sgpr_workgroup_info 0
		.amdhsa_system_vgpr_workitem_id 0
		.amdhsa_next_free_vgpr 1
		.amdhsa_next_free_sgpr 0
		.amdhsa_accum_offset 4
		.amdhsa_reserve_vcc 0
		.amdhsa_reserve_flat_scratch 0
		.amdhsa_float_round_mode_32 0
		.amdhsa_float_round_mode_16_64 0
		.amdhsa_float_denorm_mode_32 3
		.amdhsa_float_denorm_mode_16_64 3
		.amdhsa_dx10_clamp 1
		.amdhsa_ieee_mode 1
		.amdhsa_fp16_overflow 0
		.amdhsa_tg_split 0
		.amdhsa_exception_fp_ieee_invalid_op 0
		.amdhsa_exception_fp_denorm_src 0
		.amdhsa_exception_fp_ieee_div_zero 0
		.amdhsa_exception_fp_ieee_overflow 0
		.amdhsa_exception_fp_ieee_underflow 0
		.amdhsa_exception_fp_ieee_inexact 0
		.amdhsa_exception_int_div_zero 0
	.end_amdhsa_kernel
	.section	.text._ZN7rocprim17ROCPRIM_400000_NS6detail17trampoline_kernelINS0_14default_configENS1_20scan_config_selectorIiEEZZNS1_9scan_implILNS1_25lookback_scan_determinismE0ELb0ELb1ES3_N6thrust23THRUST_200600_302600_NS6detail15normal_iteratorINS9_10device_ptrIiEEEESE_iNS9_10multipliesIiEEiEEDaPvRmT3_T4_T5_mT6_P12ihipStream_tbENKUlT_T0_E_clISt17integral_constantIbLb1EESU_EEDaSP_SQ_EUlSP_E_NS1_11comp_targetILNS1_3genE10ELNS1_11target_archE1201ELNS1_3gpuE5ELNS1_3repE0EEENS1_30default_config_static_selectorELNS0_4arch9wavefront6targetE1EEEvT1_,"axG",@progbits,_ZN7rocprim17ROCPRIM_400000_NS6detail17trampoline_kernelINS0_14default_configENS1_20scan_config_selectorIiEEZZNS1_9scan_implILNS1_25lookback_scan_determinismE0ELb0ELb1ES3_N6thrust23THRUST_200600_302600_NS6detail15normal_iteratorINS9_10device_ptrIiEEEESE_iNS9_10multipliesIiEEiEEDaPvRmT3_T4_T5_mT6_P12ihipStream_tbENKUlT_T0_E_clISt17integral_constantIbLb1EESU_EEDaSP_SQ_EUlSP_E_NS1_11comp_targetILNS1_3genE10ELNS1_11target_archE1201ELNS1_3gpuE5ELNS1_3repE0EEENS1_30default_config_static_selectorELNS0_4arch9wavefront6targetE1EEEvT1_,comdat
.Lfunc_end611:
	.size	_ZN7rocprim17ROCPRIM_400000_NS6detail17trampoline_kernelINS0_14default_configENS1_20scan_config_selectorIiEEZZNS1_9scan_implILNS1_25lookback_scan_determinismE0ELb0ELb1ES3_N6thrust23THRUST_200600_302600_NS6detail15normal_iteratorINS9_10device_ptrIiEEEESE_iNS9_10multipliesIiEEiEEDaPvRmT3_T4_T5_mT6_P12ihipStream_tbENKUlT_T0_E_clISt17integral_constantIbLb1EESU_EEDaSP_SQ_EUlSP_E_NS1_11comp_targetILNS1_3genE10ELNS1_11target_archE1201ELNS1_3gpuE5ELNS1_3repE0EEENS1_30default_config_static_selectorELNS0_4arch9wavefront6targetE1EEEvT1_, .Lfunc_end611-_ZN7rocprim17ROCPRIM_400000_NS6detail17trampoline_kernelINS0_14default_configENS1_20scan_config_selectorIiEEZZNS1_9scan_implILNS1_25lookback_scan_determinismE0ELb0ELb1ES3_N6thrust23THRUST_200600_302600_NS6detail15normal_iteratorINS9_10device_ptrIiEEEESE_iNS9_10multipliesIiEEiEEDaPvRmT3_T4_T5_mT6_P12ihipStream_tbENKUlT_T0_E_clISt17integral_constantIbLb1EESU_EEDaSP_SQ_EUlSP_E_NS1_11comp_targetILNS1_3genE10ELNS1_11target_archE1201ELNS1_3gpuE5ELNS1_3repE0EEENS1_30default_config_static_selectorELNS0_4arch9wavefront6targetE1EEEvT1_
                                        ; -- End function
	.section	.AMDGPU.csdata,"",@progbits
; Kernel info:
; codeLenInByte = 0
; NumSgprs: 4
; NumVgprs: 0
; NumAgprs: 0
; TotalNumVgprs: 0
; ScratchSize: 0
; MemoryBound: 0
; FloatMode: 240
; IeeeMode: 1
; LDSByteSize: 0 bytes/workgroup (compile time only)
; SGPRBlocks: 0
; VGPRBlocks: 0
; NumSGPRsForWavesPerEU: 4
; NumVGPRsForWavesPerEU: 1
; AccumOffset: 4
; Occupancy: 8
; WaveLimiterHint : 0
; COMPUTE_PGM_RSRC2:SCRATCH_EN: 0
; COMPUTE_PGM_RSRC2:USER_SGPR: 6
; COMPUTE_PGM_RSRC2:TRAP_HANDLER: 0
; COMPUTE_PGM_RSRC2:TGID_X_EN: 1
; COMPUTE_PGM_RSRC2:TGID_Y_EN: 0
; COMPUTE_PGM_RSRC2:TGID_Z_EN: 0
; COMPUTE_PGM_RSRC2:TIDIG_COMP_CNT: 0
; COMPUTE_PGM_RSRC3_GFX90A:ACCUM_OFFSET: 0
; COMPUTE_PGM_RSRC3_GFX90A:TG_SPLIT: 0
	.section	.text._ZN7rocprim17ROCPRIM_400000_NS6detail17trampoline_kernelINS0_14default_configENS1_20scan_config_selectorIiEEZZNS1_9scan_implILNS1_25lookback_scan_determinismE0ELb0ELb1ES3_N6thrust23THRUST_200600_302600_NS6detail15normal_iteratorINS9_10device_ptrIiEEEESE_iNS9_10multipliesIiEEiEEDaPvRmT3_T4_T5_mT6_P12ihipStream_tbENKUlT_T0_E_clISt17integral_constantIbLb1EESU_EEDaSP_SQ_EUlSP_E_NS1_11comp_targetILNS1_3genE10ELNS1_11target_archE1200ELNS1_3gpuE4ELNS1_3repE0EEENS1_30default_config_static_selectorELNS0_4arch9wavefront6targetE1EEEvT1_,"axG",@progbits,_ZN7rocprim17ROCPRIM_400000_NS6detail17trampoline_kernelINS0_14default_configENS1_20scan_config_selectorIiEEZZNS1_9scan_implILNS1_25lookback_scan_determinismE0ELb0ELb1ES3_N6thrust23THRUST_200600_302600_NS6detail15normal_iteratorINS9_10device_ptrIiEEEESE_iNS9_10multipliesIiEEiEEDaPvRmT3_T4_T5_mT6_P12ihipStream_tbENKUlT_T0_E_clISt17integral_constantIbLb1EESU_EEDaSP_SQ_EUlSP_E_NS1_11comp_targetILNS1_3genE10ELNS1_11target_archE1200ELNS1_3gpuE4ELNS1_3repE0EEENS1_30default_config_static_selectorELNS0_4arch9wavefront6targetE1EEEvT1_,comdat
	.protected	_ZN7rocprim17ROCPRIM_400000_NS6detail17trampoline_kernelINS0_14default_configENS1_20scan_config_selectorIiEEZZNS1_9scan_implILNS1_25lookback_scan_determinismE0ELb0ELb1ES3_N6thrust23THRUST_200600_302600_NS6detail15normal_iteratorINS9_10device_ptrIiEEEESE_iNS9_10multipliesIiEEiEEDaPvRmT3_T4_T5_mT6_P12ihipStream_tbENKUlT_T0_E_clISt17integral_constantIbLb1EESU_EEDaSP_SQ_EUlSP_E_NS1_11comp_targetILNS1_3genE10ELNS1_11target_archE1200ELNS1_3gpuE4ELNS1_3repE0EEENS1_30default_config_static_selectorELNS0_4arch9wavefront6targetE1EEEvT1_ ; -- Begin function _ZN7rocprim17ROCPRIM_400000_NS6detail17trampoline_kernelINS0_14default_configENS1_20scan_config_selectorIiEEZZNS1_9scan_implILNS1_25lookback_scan_determinismE0ELb0ELb1ES3_N6thrust23THRUST_200600_302600_NS6detail15normal_iteratorINS9_10device_ptrIiEEEESE_iNS9_10multipliesIiEEiEEDaPvRmT3_T4_T5_mT6_P12ihipStream_tbENKUlT_T0_E_clISt17integral_constantIbLb1EESU_EEDaSP_SQ_EUlSP_E_NS1_11comp_targetILNS1_3genE10ELNS1_11target_archE1200ELNS1_3gpuE4ELNS1_3repE0EEENS1_30default_config_static_selectorELNS0_4arch9wavefront6targetE1EEEvT1_
	.globl	_ZN7rocprim17ROCPRIM_400000_NS6detail17trampoline_kernelINS0_14default_configENS1_20scan_config_selectorIiEEZZNS1_9scan_implILNS1_25lookback_scan_determinismE0ELb0ELb1ES3_N6thrust23THRUST_200600_302600_NS6detail15normal_iteratorINS9_10device_ptrIiEEEESE_iNS9_10multipliesIiEEiEEDaPvRmT3_T4_T5_mT6_P12ihipStream_tbENKUlT_T0_E_clISt17integral_constantIbLb1EESU_EEDaSP_SQ_EUlSP_E_NS1_11comp_targetILNS1_3genE10ELNS1_11target_archE1200ELNS1_3gpuE4ELNS1_3repE0EEENS1_30default_config_static_selectorELNS0_4arch9wavefront6targetE1EEEvT1_
	.p2align	8
	.type	_ZN7rocprim17ROCPRIM_400000_NS6detail17trampoline_kernelINS0_14default_configENS1_20scan_config_selectorIiEEZZNS1_9scan_implILNS1_25lookback_scan_determinismE0ELb0ELb1ES3_N6thrust23THRUST_200600_302600_NS6detail15normal_iteratorINS9_10device_ptrIiEEEESE_iNS9_10multipliesIiEEiEEDaPvRmT3_T4_T5_mT6_P12ihipStream_tbENKUlT_T0_E_clISt17integral_constantIbLb1EESU_EEDaSP_SQ_EUlSP_E_NS1_11comp_targetILNS1_3genE10ELNS1_11target_archE1200ELNS1_3gpuE4ELNS1_3repE0EEENS1_30default_config_static_selectorELNS0_4arch9wavefront6targetE1EEEvT1_,@function
_ZN7rocprim17ROCPRIM_400000_NS6detail17trampoline_kernelINS0_14default_configENS1_20scan_config_selectorIiEEZZNS1_9scan_implILNS1_25lookback_scan_determinismE0ELb0ELb1ES3_N6thrust23THRUST_200600_302600_NS6detail15normal_iteratorINS9_10device_ptrIiEEEESE_iNS9_10multipliesIiEEiEEDaPvRmT3_T4_T5_mT6_P12ihipStream_tbENKUlT_T0_E_clISt17integral_constantIbLb1EESU_EEDaSP_SQ_EUlSP_E_NS1_11comp_targetILNS1_3genE10ELNS1_11target_archE1200ELNS1_3gpuE4ELNS1_3repE0EEENS1_30default_config_static_selectorELNS0_4arch9wavefront6targetE1EEEvT1_: ; @_ZN7rocprim17ROCPRIM_400000_NS6detail17trampoline_kernelINS0_14default_configENS1_20scan_config_selectorIiEEZZNS1_9scan_implILNS1_25lookback_scan_determinismE0ELb0ELb1ES3_N6thrust23THRUST_200600_302600_NS6detail15normal_iteratorINS9_10device_ptrIiEEEESE_iNS9_10multipliesIiEEiEEDaPvRmT3_T4_T5_mT6_P12ihipStream_tbENKUlT_T0_E_clISt17integral_constantIbLb1EESU_EEDaSP_SQ_EUlSP_E_NS1_11comp_targetILNS1_3genE10ELNS1_11target_archE1200ELNS1_3gpuE4ELNS1_3repE0EEENS1_30default_config_static_selectorELNS0_4arch9wavefront6targetE1EEEvT1_
; %bb.0:
	.section	.rodata,"a",@progbits
	.p2align	6, 0x0
	.amdhsa_kernel _ZN7rocprim17ROCPRIM_400000_NS6detail17trampoline_kernelINS0_14default_configENS1_20scan_config_selectorIiEEZZNS1_9scan_implILNS1_25lookback_scan_determinismE0ELb0ELb1ES3_N6thrust23THRUST_200600_302600_NS6detail15normal_iteratorINS9_10device_ptrIiEEEESE_iNS9_10multipliesIiEEiEEDaPvRmT3_T4_T5_mT6_P12ihipStream_tbENKUlT_T0_E_clISt17integral_constantIbLb1EESU_EEDaSP_SQ_EUlSP_E_NS1_11comp_targetILNS1_3genE10ELNS1_11target_archE1200ELNS1_3gpuE4ELNS1_3repE0EEENS1_30default_config_static_selectorELNS0_4arch9wavefront6targetE1EEEvT1_
		.amdhsa_group_segment_fixed_size 0
		.amdhsa_private_segment_fixed_size 0
		.amdhsa_kernarg_size 96
		.amdhsa_user_sgpr_count 6
		.amdhsa_user_sgpr_private_segment_buffer 1
		.amdhsa_user_sgpr_dispatch_ptr 0
		.amdhsa_user_sgpr_queue_ptr 0
		.amdhsa_user_sgpr_kernarg_segment_ptr 1
		.amdhsa_user_sgpr_dispatch_id 0
		.amdhsa_user_sgpr_flat_scratch_init 0
		.amdhsa_user_sgpr_kernarg_preload_length 0
		.amdhsa_user_sgpr_kernarg_preload_offset 0
		.amdhsa_user_sgpr_private_segment_size 0
		.amdhsa_uses_dynamic_stack 0
		.amdhsa_system_sgpr_private_segment_wavefront_offset 0
		.amdhsa_system_sgpr_workgroup_id_x 1
		.amdhsa_system_sgpr_workgroup_id_y 0
		.amdhsa_system_sgpr_workgroup_id_z 0
		.amdhsa_system_sgpr_workgroup_info 0
		.amdhsa_system_vgpr_workitem_id 0
		.amdhsa_next_free_vgpr 1
		.amdhsa_next_free_sgpr 0
		.amdhsa_accum_offset 4
		.amdhsa_reserve_vcc 0
		.amdhsa_reserve_flat_scratch 0
		.amdhsa_float_round_mode_32 0
		.amdhsa_float_round_mode_16_64 0
		.amdhsa_float_denorm_mode_32 3
		.amdhsa_float_denorm_mode_16_64 3
		.amdhsa_dx10_clamp 1
		.amdhsa_ieee_mode 1
		.amdhsa_fp16_overflow 0
		.amdhsa_tg_split 0
		.amdhsa_exception_fp_ieee_invalid_op 0
		.amdhsa_exception_fp_denorm_src 0
		.amdhsa_exception_fp_ieee_div_zero 0
		.amdhsa_exception_fp_ieee_overflow 0
		.amdhsa_exception_fp_ieee_underflow 0
		.amdhsa_exception_fp_ieee_inexact 0
		.amdhsa_exception_int_div_zero 0
	.end_amdhsa_kernel
	.section	.text._ZN7rocprim17ROCPRIM_400000_NS6detail17trampoline_kernelINS0_14default_configENS1_20scan_config_selectorIiEEZZNS1_9scan_implILNS1_25lookback_scan_determinismE0ELb0ELb1ES3_N6thrust23THRUST_200600_302600_NS6detail15normal_iteratorINS9_10device_ptrIiEEEESE_iNS9_10multipliesIiEEiEEDaPvRmT3_T4_T5_mT6_P12ihipStream_tbENKUlT_T0_E_clISt17integral_constantIbLb1EESU_EEDaSP_SQ_EUlSP_E_NS1_11comp_targetILNS1_3genE10ELNS1_11target_archE1200ELNS1_3gpuE4ELNS1_3repE0EEENS1_30default_config_static_selectorELNS0_4arch9wavefront6targetE1EEEvT1_,"axG",@progbits,_ZN7rocprim17ROCPRIM_400000_NS6detail17trampoline_kernelINS0_14default_configENS1_20scan_config_selectorIiEEZZNS1_9scan_implILNS1_25lookback_scan_determinismE0ELb0ELb1ES3_N6thrust23THRUST_200600_302600_NS6detail15normal_iteratorINS9_10device_ptrIiEEEESE_iNS9_10multipliesIiEEiEEDaPvRmT3_T4_T5_mT6_P12ihipStream_tbENKUlT_T0_E_clISt17integral_constantIbLb1EESU_EEDaSP_SQ_EUlSP_E_NS1_11comp_targetILNS1_3genE10ELNS1_11target_archE1200ELNS1_3gpuE4ELNS1_3repE0EEENS1_30default_config_static_selectorELNS0_4arch9wavefront6targetE1EEEvT1_,comdat
.Lfunc_end612:
	.size	_ZN7rocprim17ROCPRIM_400000_NS6detail17trampoline_kernelINS0_14default_configENS1_20scan_config_selectorIiEEZZNS1_9scan_implILNS1_25lookback_scan_determinismE0ELb0ELb1ES3_N6thrust23THRUST_200600_302600_NS6detail15normal_iteratorINS9_10device_ptrIiEEEESE_iNS9_10multipliesIiEEiEEDaPvRmT3_T4_T5_mT6_P12ihipStream_tbENKUlT_T0_E_clISt17integral_constantIbLb1EESU_EEDaSP_SQ_EUlSP_E_NS1_11comp_targetILNS1_3genE10ELNS1_11target_archE1200ELNS1_3gpuE4ELNS1_3repE0EEENS1_30default_config_static_selectorELNS0_4arch9wavefront6targetE1EEEvT1_, .Lfunc_end612-_ZN7rocprim17ROCPRIM_400000_NS6detail17trampoline_kernelINS0_14default_configENS1_20scan_config_selectorIiEEZZNS1_9scan_implILNS1_25lookback_scan_determinismE0ELb0ELb1ES3_N6thrust23THRUST_200600_302600_NS6detail15normal_iteratorINS9_10device_ptrIiEEEESE_iNS9_10multipliesIiEEiEEDaPvRmT3_T4_T5_mT6_P12ihipStream_tbENKUlT_T0_E_clISt17integral_constantIbLb1EESU_EEDaSP_SQ_EUlSP_E_NS1_11comp_targetILNS1_3genE10ELNS1_11target_archE1200ELNS1_3gpuE4ELNS1_3repE0EEENS1_30default_config_static_selectorELNS0_4arch9wavefront6targetE1EEEvT1_
                                        ; -- End function
	.section	.AMDGPU.csdata,"",@progbits
; Kernel info:
; codeLenInByte = 0
; NumSgprs: 4
; NumVgprs: 0
; NumAgprs: 0
; TotalNumVgprs: 0
; ScratchSize: 0
; MemoryBound: 0
; FloatMode: 240
; IeeeMode: 1
; LDSByteSize: 0 bytes/workgroup (compile time only)
; SGPRBlocks: 0
; VGPRBlocks: 0
; NumSGPRsForWavesPerEU: 4
; NumVGPRsForWavesPerEU: 1
; AccumOffset: 4
; Occupancy: 8
; WaveLimiterHint : 0
; COMPUTE_PGM_RSRC2:SCRATCH_EN: 0
; COMPUTE_PGM_RSRC2:USER_SGPR: 6
; COMPUTE_PGM_RSRC2:TRAP_HANDLER: 0
; COMPUTE_PGM_RSRC2:TGID_X_EN: 1
; COMPUTE_PGM_RSRC2:TGID_Y_EN: 0
; COMPUTE_PGM_RSRC2:TGID_Z_EN: 0
; COMPUTE_PGM_RSRC2:TIDIG_COMP_CNT: 0
; COMPUTE_PGM_RSRC3_GFX90A:ACCUM_OFFSET: 0
; COMPUTE_PGM_RSRC3_GFX90A:TG_SPLIT: 0
	.section	.text._ZN7rocprim17ROCPRIM_400000_NS6detail17trampoline_kernelINS0_14default_configENS1_20scan_config_selectorIiEEZZNS1_9scan_implILNS1_25lookback_scan_determinismE0ELb0ELb1ES3_N6thrust23THRUST_200600_302600_NS6detail15normal_iteratorINS9_10device_ptrIiEEEESE_iNS9_10multipliesIiEEiEEDaPvRmT3_T4_T5_mT6_P12ihipStream_tbENKUlT_T0_E_clISt17integral_constantIbLb1EESU_EEDaSP_SQ_EUlSP_E_NS1_11comp_targetILNS1_3genE9ELNS1_11target_archE1100ELNS1_3gpuE3ELNS1_3repE0EEENS1_30default_config_static_selectorELNS0_4arch9wavefront6targetE1EEEvT1_,"axG",@progbits,_ZN7rocprim17ROCPRIM_400000_NS6detail17trampoline_kernelINS0_14default_configENS1_20scan_config_selectorIiEEZZNS1_9scan_implILNS1_25lookback_scan_determinismE0ELb0ELb1ES3_N6thrust23THRUST_200600_302600_NS6detail15normal_iteratorINS9_10device_ptrIiEEEESE_iNS9_10multipliesIiEEiEEDaPvRmT3_T4_T5_mT6_P12ihipStream_tbENKUlT_T0_E_clISt17integral_constantIbLb1EESU_EEDaSP_SQ_EUlSP_E_NS1_11comp_targetILNS1_3genE9ELNS1_11target_archE1100ELNS1_3gpuE3ELNS1_3repE0EEENS1_30default_config_static_selectorELNS0_4arch9wavefront6targetE1EEEvT1_,comdat
	.protected	_ZN7rocprim17ROCPRIM_400000_NS6detail17trampoline_kernelINS0_14default_configENS1_20scan_config_selectorIiEEZZNS1_9scan_implILNS1_25lookback_scan_determinismE0ELb0ELb1ES3_N6thrust23THRUST_200600_302600_NS6detail15normal_iteratorINS9_10device_ptrIiEEEESE_iNS9_10multipliesIiEEiEEDaPvRmT3_T4_T5_mT6_P12ihipStream_tbENKUlT_T0_E_clISt17integral_constantIbLb1EESU_EEDaSP_SQ_EUlSP_E_NS1_11comp_targetILNS1_3genE9ELNS1_11target_archE1100ELNS1_3gpuE3ELNS1_3repE0EEENS1_30default_config_static_selectorELNS0_4arch9wavefront6targetE1EEEvT1_ ; -- Begin function _ZN7rocprim17ROCPRIM_400000_NS6detail17trampoline_kernelINS0_14default_configENS1_20scan_config_selectorIiEEZZNS1_9scan_implILNS1_25lookback_scan_determinismE0ELb0ELb1ES3_N6thrust23THRUST_200600_302600_NS6detail15normal_iteratorINS9_10device_ptrIiEEEESE_iNS9_10multipliesIiEEiEEDaPvRmT3_T4_T5_mT6_P12ihipStream_tbENKUlT_T0_E_clISt17integral_constantIbLb1EESU_EEDaSP_SQ_EUlSP_E_NS1_11comp_targetILNS1_3genE9ELNS1_11target_archE1100ELNS1_3gpuE3ELNS1_3repE0EEENS1_30default_config_static_selectorELNS0_4arch9wavefront6targetE1EEEvT1_
	.globl	_ZN7rocprim17ROCPRIM_400000_NS6detail17trampoline_kernelINS0_14default_configENS1_20scan_config_selectorIiEEZZNS1_9scan_implILNS1_25lookback_scan_determinismE0ELb0ELb1ES3_N6thrust23THRUST_200600_302600_NS6detail15normal_iteratorINS9_10device_ptrIiEEEESE_iNS9_10multipliesIiEEiEEDaPvRmT3_T4_T5_mT6_P12ihipStream_tbENKUlT_T0_E_clISt17integral_constantIbLb1EESU_EEDaSP_SQ_EUlSP_E_NS1_11comp_targetILNS1_3genE9ELNS1_11target_archE1100ELNS1_3gpuE3ELNS1_3repE0EEENS1_30default_config_static_selectorELNS0_4arch9wavefront6targetE1EEEvT1_
	.p2align	8
	.type	_ZN7rocprim17ROCPRIM_400000_NS6detail17trampoline_kernelINS0_14default_configENS1_20scan_config_selectorIiEEZZNS1_9scan_implILNS1_25lookback_scan_determinismE0ELb0ELb1ES3_N6thrust23THRUST_200600_302600_NS6detail15normal_iteratorINS9_10device_ptrIiEEEESE_iNS9_10multipliesIiEEiEEDaPvRmT3_T4_T5_mT6_P12ihipStream_tbENKUlT_T0_E_clISt17integral_constantIbLb1EESU_EEDaSP_SQ_EUlSP_E_NS1_11comp_targetILNS1_3genE9ELNS1_11target_archE1100ELNS1_3gpuE3ELNS1_3repE0EEENS1_30default_config_static_selectorELNS0_4arch9wavefront6targetE1EEEvT1_,@function
_ZN7rocprim17ROCPRIM_400000_NS6detail17trampoline_kernelINS0_14default_configENS1_20scan_config_selectorIiEEZZNS1_9scan_implILNS1_25lookback_scan_determinismE0ELb0ELb1ES3_N6thrust23THRUST_200600_302600_NS6detail15normal_iteratorINS9_10device_ptrIiEEEESE_iNS9_10multipliesIiEEiEEDaPvRmT3_T4_T5_mT6_P12ihipStream_tbENKUlT_T0_E_clISt17integral_constantIbLb1EESU_EEDaSP_SQ_EUlSP_E_NS1_11comp_targetILNS1_3genE9ELNS1_11target_archE1100ELNS1_3gpuE3ELNS1_3repE0EEENS1_30default_config_static_selectorELNS0_4arch9wavefront6targetE1EEEvT1_: ; @_ZN7rocprim17ROCPRIM_400000_NS6detail17trampoline_kernelINS0_14default_configENS1_20scan_config_selectorIiEEZZNS1_9scan_implILNS1_25lookback_scan_determinismE0ELb0ELb1ES3_N6thrust23THRUST_200600_302600_NS6detail15normal_iteratorINS9_10device_ptrIiEEEESE_iNS9_10multipliesIiEEiEEDaPvRmT3_T4_T5_mT6_P12ihipStream_tbENKUlT_T0_E_clISt17integral_constantIbLb1EESU_EEDaSP_SQ_EUlSP_E_NS1_11comp_targetILNS1_3genE9ELNS1_11target_archE1100ELNS1_3gpuE3ELNS1_3repE0EEENS1_30default_config_static_selectorELNS0_4arch9wavefront6targetE1EEEvT1_
; %bb.0:
	.section	.rodata,"a",@progbits
	.p2align	6, 0x0
	.amdhsa_kernel _ZN7rocprim17ROCPRIM_400000_NS6detail17trampoline_kernelINS0_14default_configENS1_20scan_config_selectorIiEEZZNS1_9scan_implILNS1_25lookback_scan_determinismE0ELb0ELb1ES3_N6thrust23THRUST_200600_302600_NS6detail15normal_iteratorINS9_10device_ptrIiEEEESE_iNS9_10multipliesIiEEiEEDaPvRmT3_T4_T5_mT6_P12ihipStream_tbENKUlT_T0_E_clISt17integral_constantIbLb1EESU_EEDaSP_SQ_EUlSP_E_NS1_11comp_targetILNS1_3genE9ELNS1_11target_archE1100ELNS1_3gpuE3ELNS1_3repE0EEENS1_30default_config_static_selectorELNS0_4arch9wavefront6targetE1EEEvT1_
		.amdhsa_group_segment_fixed_size 0
		.amdhsa_private_segment_fixed_size 0
		.amdhsa_kernarg_size 96
		.amdhsa_user_sgpr_count 6
		.amdhsa_user_sgpr_private_segment_buffer 1
		.amdhsa_user_sgpr_dispatch_ptr 0
		.amdhsa_user_sgpr_queue_ptr 0
		.amdhsa_user_sgpr_kernarg_segment_ptr 1
		.amdhsa_user_sgpr_dispatch_id 0
		.amdhsa_user_sgpr_flat_scratch_init 0
		.amdhsa_user_sgpr_kernarg_preload_length 0
		.amdhsa_user_sgpr_kernarg_preload_offset 0
		.amdhsa_user_sgpr_private_segment_size 0
		.amdhsa_uses_dynamic_stack 0
		.amdhsa_system_sgpr_private_segment_wavefront_offset 0
		.amdhsa_system_sgpr_workgroup_id_x 1
		.amdhsa_system_sgpr_workgroup_id_y 0
		.amdhsa_system_sgpr_workgroup_id_z 0
		.amdhsa_system_sgpr_workgroup_info 0
		.amdhsa_system_vgpr_workitem_id 0
		.amdhsa_next_free_vgpr 1
		.amdhsa_next_free_sgpr 0
		.amdhsa_accum_offset 4
		.amdhsa_reserve_vcc 0
		.amdhsa_reserve_flat_scratch 0
		.amdhsa_float_round_mode_32 0
		.amdhsa_float_round_mode_16_64 0
		.amdhsa_float_denorm_mode_32 3
		.amdhsa_float_denorm_mode_16_64 3
		.amdhsa_dx10_clamp 1
		.amdhsa_ieee_mode 1
		.amdhsa_fp16_overflow 0
		.amdhsa_tg_split 0
		.amdhsa_exception_fp_ieee_invalid_op 0
		.amdhsa_exception_fp_denorm_src 0
		.amdhsa_exception_fp_ieee_div_zero 0
		.amdhsa_exception_fp_ieee_overflow 0
		.amdhsa_exception_fp_ieee_underflow 0
		.amdhsa_exception_fp_ieee_inexact 0
		.amdhsa_exception_int_div_zero 0
	.end_amdhsa_kernel
	.section	.text._ZN7rocprim17ROCPRIM_400000_NS6detail17trampoline_kernelINS0_14default_configENS1_20scan_config_selectorIiEEZZNS1_9scan_implILNS1_25lookback_scan_determinismE0ELb0ELb1ES3_N6thrust23THRUST_200600_302600_NS6detail15normal_iteratorINS9_10device_ptrIiEEEESE_iNS9_10multipliesIiEEiEEDaPvRmT3_T4_T5_mT6_P12ihipStream_tbENKUlT_T0_E_clISt17integral_constantIbLb1EESU_EEDaSP_SQ_EUlSP_E_NS1_11comp_targetILNS1_3genE9ELNS1_11target_archE1100ELNS1_3gpuE3ELNS1_3repE0EEENS1_30default_config_static_selectorELNS0_4arch9wavefront6targetE1EEEvT1_,"axG",@progbits,_ZN7rocprim17ROCPRIM_400000_NS6detail17trampoline_kernelINS0_14default_configENS1_20scan_config_selectorIiEEZZNS1_9scan_implILNS1_25lookback_scan_determinismE0ELb0ELb1ES3_N6thrust23THRUST_200600_302600_NS6detail15normal_iteratorINS9_10device_ptrIiEEEESE_iNS9_10multipliesIiEEiEEDaPvRmT3_T4_T5_mT6_P12ihipStream_tbENKUlT_T0_E_clISt17integral_constantIbLb1EESU_EEDaSP_SQ_EUlSP_E_NS1_11comp_targetILNS1_3genE9ELNS1_11target_archE1100ELNS1_3gpuE3ELNS1_3repE0EEENS1_30default_config_static_selectorELNS0_4arch9wavefront6targetE1EEEvT1_,comdat
.Lfunc_end613:
	.size	_ZN7rocprim17ROCPRIM_400000_NS6detail17trampoline_kernelINS0_14default_configENS1_20scan_config_selectorIiEEZZNS1_9scan_implILNS1_25lookback_scan_determinismE0ELb0ELb1ES3_N6thrust23THRUST_200600_302600_NS6detail15normal_iteratorINS9_10device_ptrIiEEEESE_iNS9_10multipliesIiEEiEEDaPvRmT3_T4_T5_mT6_P12ihipStream_tbENKUlT_T0_E_clISt17integral_constantIbLb1EESU_EEDaSP_SQ_EUlSP_E_NS1_11comp_targetILNS1_3genE9ELNS1_11target_archE1100ELNS1_3gpuE3ELNS1_3repE0EEENS1_30default_config_static_selectorELNS0_4arch9wavefront6targetE1EEEvT1_, .Lfunc_end613-_ZN7rocprim17ROCPRIM_400000_NS6detail17trampoline_kernelINS0_14default_configENS1_20scan_config_selectorIiEEZZNS1_9scan_implILNS1_25lookback_scan_determinismE0ELb0ELb1ES3_N6thrust23THRUST_200600_302600_NS6detail15normal_iteratorINS9_10device_ptrIiEEEESE_iNS9_10multipliesIiEEiEEDaPvRmT3_T4_T5_mT6_P12ihipStream_tbENKUlT_T0_E_clISt17integral_constantIbLb1EESU_EEDaSP_SQ_EUlSP_E_NS1_11comp_targetILNS1_3genE9ELNS1_11target_archE1100ELNS1_3gpuE3ELNS1_3repE0EEENS1_30default_config_static_selectorELNS0_4arch9wavefront6targetE1EEEvT1_
                                        ; -- End function
	.section	.AMDGPU.csdata,"",@progbits
; Kernel info:
; codeLenInByte = 0
; NumSgprs: 4
; NumVgprs: 0
; NumAgprs: 0
; TotalNumVgprs: 0
; ScratchSize: 0
; MemoryBound: 0
; FloatMode: 240
; IeeeMode: 1
; LDSByteSize: 0 bytes/workgroup (compile time only)
; SGPRBlocks: 0
; VGPRBlocks: 0
; NumSGPRsForWavesPerEU: 4
; NumVGPRsForWavesPerEU: 1
; AccumOffset: 4
; Occupancy: 8
; WaveLimiterHint : 0
; COMPUTE_PGM_RSRC2:SCRATCH_EN: 0
; COMPUTE_PGM_RSRC2:USER_SGPR: 6
; COMPUTE_PGM_RSRC2:TRAP_HANDLER: 0
; COMPUTE_PGM_RSRC2:TGID_X_EN: 1
; COMPUTE_PGM_RSRC2:TGID_Y_EN: 0
; COMPUTE_PGM_RSRC2:TGID_Z_EN: 0
; COMPUTE_PGM_RSRC2:TIDIG_COMP_CNT: 0
; COMPUTE_PGM_RSRC3_GFX90A:ACCUM_OFFSET: 0
; COMPUTE_PGM_RSRC3_GFX90A:TG_SPLIT: 0
	.section	.text._ZN7rocprim17ROCPRIM_400000_NS6detail17trampoline_kernelINS0_14default_configENS1_20scan_config_selectorIiEEZZNS1_9scan_implILNS1_25lookback_scan_determinismE0ELb0ELb1ES3_N6thrust23THRUST_200600_302600_NS6detail15normal_iteratorINS9_10device_ptrIiEEEESE_iNS9_10multipliesIiEEiEEDaPvRmT3_T4_T5_mT6_P12ihipStream_tbENKUlT_T0_E_clISt17integral_constantIbLb1EESU_EEDaSP_SQ_EUlSP_E_NS1_11comp_targetILNS1_3genE8ELNS1_11target_archE1030ELNS1_3gpuE2ELNS1_3repE0EEENS1_30default_config_static_selectorELNS0_4arch9wavefront6targetE1EEEvT1_,"axG",@progbits,_ZN7rocprim17ROCPRIM_400000_NS6detail17trampoline_kernelINS0_14default_configENS1_20scan_config_selectorIiEEZZNS1_9scan_implILNS1_25lookback_scan_determinismE0ELb0ELb1ES3_N6thrust23THRUST_200600_302600_NS6detail15normal_iteratorINS9_10device_ptrIiEEEESE_iNS9_10multipliesIiEEiEEDaPvRmT3_T4_T5_mT6_P12ihipStream_tbENKUlT_T0_E_clISt17integral_constantIbLb1EESU_EEDaSP_SQ_EUlSP_E_NS1_11comp_targetILNS1_3genE8ELNS1_11target_archE1030ELNS1_3gpuE2ELNS1_3repE0EEENS1_30default_config_static_selectorELNS0_4arch9wavefront6targetE1EEEvT1_,comdat
	.protected	_ZN7rocprim17ROCPRIM_400000_NS6detail17trampoline_kernelINS0_14default_configENS1_20scan_config_selectorIiEEZZNS1_9scan_implILNS1_25lookback_scan_determinismE0ELb0ELb1ES3_N6thrust23THRUST_200600_302600_NS6detail15normal_iteratorINS9_10device_ptrIiEEEESE_iNS9_10multipliesIiEEiEEDaPvRmT3_T4_T5_mT6_P12ihipStream_tbENKUlT_T0_E_clISt17integral_constantIbLb1EESU_EEDaSP_SQ_EUlSP_E_NS1_11comp_targetILNS1_3genE8ELNS1_11target_archE1030ELNS1_3gpuE2ELNS1_3repE0EEENS1_30default_config_static_selectorELNS0_4arch9wavefront6targetE1EEEvT1_ ; -- Begin function _ZN7rocprim17ROCPRIM_400000_NS6detail17trampoline_kernelINS0_14default_configENS1_20scan_config_selectorIiEEZZNS1_9scan_implILNS1_25lookback_scan_determinismE0ELb0ELb1ES3_N6thrust23THRUST_200600_302600_NS6detail15normal_iteratorINS9_10device_ptrIiEEEESE_iNS9_10multipliesIiEEiEEDaPvRmT3_T4_T5_mT6_P12ihipStream_tbENKUlT_T0_E_clISt17integral_constantIbLb1EESU_EEDaSP_SQ_EUlSP_E_NS1_11comp_targetILNS1_3genE8ELNS1_11target_archE1030ELNS1_3gpuE2ELNS1_3repE0EEENS1_30default_config_static_selectorELNS0_4arch9wavefront6targetE1EEEvT1_
	.globl	_ZN7rocprim17ROCPRIM_400000_NS6detail17trampoline_kernelINS0_14default_configENS1_20scan_config_selectorIiEEZZNS1_9scan_implILNS1_25lookback_scan_determinismE0ELb0ELb1ES3_N6thrust23THRUST_200600_302600_NS6detail15normal_iteratorINS9_10device_ptrIiEEEESE_iNS9_10multipliesIiEEiEEDaPvRmT3_T4_T5_mT6_P12ihipStream_tbENKUlT_T0_E_clISt17integral_constantIbLb1EESU_EEDaSP_SQ_EUlSP_E_NS1_11comp_targetILNS1_3genE8ELNS1_11target_archE1030ELNS1_3gpuE2ELNS1_3repE0EEENS1_30default_config_static_selectorELNS0_4arch9wavefront6targetE1EEEvT1_
	.p2align	8
	.type	_ZN7rocprim17ROCPRIM_400000_NS6detail17trampoline_kernelINS0_14default_configENS1_20scan_config_selectorIiEEZZNS1_9scan_implILNS1_25lookback_scan_determinismE0ELb0ELb1ES3_N6thrust23THRUST_200600_302600_NS6detail15normal_iteratorINS9_10device_ptrIiEEEESE_iNS9_10multipliesIiEEiEEDaPvRmT3_T4_T5_mT6_P12ihipStream_tbENKUlT_T0_E_clISt17integral_constantIbLb1EESU_EEDaSP_SQ_EUlSP_E_NS1_11comp_targetILNS1_3genE8ELNS1_11target_archE1030ELNS1_3gpuE2ELNS1_3repE0EEENS1_30default_config_static_selectorELNS0_4arch9wavefront6targetE1EEEvT1_,@function
_ZN7rocprim17ROCPRIM_400000_NS6detail17trampoline_kernelINS0_14default_configENS1_20scan_config_selectorIiEEZZNS1_9scan_implILNS1_25lookback_scan_determinismE0ELb0ELb1ES3_N6thrust23THRUST_200600_302600_NS6detail15normal_iteratorINS9_10device_ptrIiEEEESE_iNS9_10multipliesIiEEiEEDaPvRmT3_T4_T5_mT6_P12ihipStream_tbENKUlT_T0_E_clISt17integral_constantIbLb1EESU_EEDaSP_SQ_EUlSP_E_NS1_11comp_targetILNS1_3genE8ELNS1_11target_archE1030ELNS1_3gpuE2ELNS1_3repE0EEENS1_30default_config_static_selectorELNS0_4arch9wavefront6targetE1EEEvT1_: ; @_ZN7rocprim17ROCPRIM_400000_NS6detail17trampoline_kernelINS0_14default_configENS1_20scan_config_selectorIiEEZZNS1_9scan_implILNS1_25lookback_scan_determinismE0ELb0ELb1ES3_N6thrust23THRUST_200600_302600_NS6detail15normal_iteratorINS9_10device_ptrIiEEEESE_iNS9_10multipliesIiEEiEEDaPvRmT3_T4_T5_mT6_P12ihipStream_tbENKUlT_T0_E_clISt17integral_constantIbLb1EESU_EEDaSP_SQ_EUlSP_E_NS1_11comp_targetILNS1_3genE8ELNS1_11target_archE1030ELNS1_3gpuE2ELNS1_3repE0EEENS1_30default_config_static_selectorELNS0_4arch9wavefront6targetE1EEEvT1_
; %bb.0:
	.section	.rodata,"a",@progbits
	.p2align	6, 0x0
	.amdhsa_kernel _ZN7rocprim17ROCPRIM_400000_NS6detail17trampoline_kernelINS0_14default_configENS1_20scan_config_selectorIiEEZZNS1_9scan_implILNS1_25lookback_scan_determinismE0ELb0ELb1ES3_N6thrust23THRUST_200600_302600_NS6detail15normal_iteratorINS9_10device_ptrIiEEEESE_iNS9_10multipliesIiEEiEEDaPvRmT3_T4_T5_mT6_P12ihipStream_tbENKUlT_T0_E_clISt17integral_constantIbLb1EESU_EEDaSP_SQ_EUlSP_E_NS1_11comp_targetILNS1_3genE8ELNS1_11target_archE1030ELNS1_3gpuE2ELNS1_3repE0EEENS1_30default_config_static_selectorELNS0_4arch9wavefront6targetE1EEEvT1_
		.amdhsa_group_segment_fixed_size 0
		.amdhsa_private_segment_fixed_size 0
		.amdhsa_kernarg_size 96
		.amdhsa_user_sgpr_count 6
		.amdhsa_user_sgpr_private_segment_buffer 1
		.amdhsa_user_sgpr_dispatch_ptr 0
		.amdhsa_user_sgpr_queue_ptr 0
		.amdhsa_user_sgpr_kernarg_segment_ptr 1
		.amdhsa_user_sgpr_dispatch_id 0
		.amdhsa_user_sgpr_flat_scratch_init 0
		.amdhsa_user_sgpr_kernarg_preload_length 0
		.amdhsa_user_sgpr_kernarg_preload_offset 0
		.amdhsa_user_sgpr_private_segment_size 0
		.amdhsa_uses_dynamic_stack 0
		.amdhsa_system_sgpr_private_segment_wavefront_offset 0
		.amdhsa_system_sgpr_workgroup_id_x 1
		.amdhsa_system_sgpr_workgroup_id_y 0
		.amdhsa_system_sgpr_workgroup_id_z 0
		.amdhsa_system_sgpr_workgroup_info 0
		.amdhsa_system_vgpr_workitem_id 0
		.amdhsa_next_free_vgpr 1
		.amdhsa_next_free_sgpr 0
		.amdhsa_accum_offset 4
		.amdhsa_reserve_vcc 0
		.amdhsa_reserve_flat_scratch 0
		.amdhsa_float_round_mode_32 0
		.amdhsa_float_round_mode_16_64 0
		.amdhsa_float_denorm_mode_32 3
		.amdhsa_float_denorm_mode_16_64 3
		.amdhsa_dx10_clamp 1
		.amdhsa_ieee_mode 1
		.amdhsa_fp16_overflow 0
		.amdhsa_tg_split 0
		.amdhsa_exception_fp_ieee_invalid_op 0
		.amdhsa_exception_fp_denorm_src 0
		.amdhsa_exception_fp_ieee_div_zero 0
		.amdhsa_exception_fp_ieee_overflow 0
		.amdhsa_exception_fp_ieee_underflow 0
		.amdhsa_exception_fp_ieee_inexact 0
		.amdhsa_exception_int_div_zero 0
	.end_amdhsa_kernel
	.section	.text._ZN7rocprim17ROCPRIM_400000_NS6detail17trampoline_kernelINS0_14default_configENS1_20scan_config_selectorIiEEZZNS1_9scan_implILNS1_25lookback_scan_determinismE0ELb0ELb1ES3_N6thrust23THRUST_200600_302600_NS6detail15normal_iteratorINS9_10device_ptrIiEEEESE_iNS9_10multipliesIiEEiEEDaPvRmT3_T4_T5_mT6_P12ihipStream_tbENKUlT_T0_E_clISt17integral_constantIbLb1EESU_EEDaSP_SQ_EUlSP_E_NS1_11comp_targetILNS1_3genE8ELNS1_11target_archE1030ELNS1_3gpuE2ELNS1_3repE0EEENS1_30default_config_static_selectorELNS0_4arch9wavefront6targetE1EEEvT1_,"axG",@progbits,_ZN7rocprim17ROCPRIM_400000_NS6detail17trampoline_kernelINS0_14default_configENS1_20scan_config_selectorIiEEZZNS1_9scan_implILNS1_25lookback_scan_determinismE0ELb0ELb1ES3_N6thrust23THRUST_200600_302600_NS6detail15normal_iteratorINS9_10device_ptrIiEEEESE_iNS9_10multipliesIiEEiEEDaPvRmT3_T4_T5_mT6_P12ihipStream_tbENKUlT_T0_E_clISt17integral_constantIbLb1EESU_EEDaSP_SQ_EUlSP_E_NS1_11comp_targetILNS1_3genE8ELNS1_11target_archE1030ELNS1_3gpuE2ELNS1_3repE0EEENS1_30default_config_static_selectorELNS0_4arch9wavefront6targetE1EEEvT1_,comdat
.Lfunc_end614:
	.size	_ZN7rocprim17ROCPRIM_400000_NS6detail17trampoline_kernelINS0_14default_configENS1_20scan_config_selectorIiEEZZNS1_9scan_implILNS1_25lookback_scan_determinismE0ELb0ELb1ES3_N6thrust23THRUST_200600_302600_NS6detail15normal_iteratorINS9_10device_ptrIiEEEESE_iNS9_10multipliesIiEEiEEDaPvRmT3_T4_T5_mT6_P12ihipStream_tbENKUlT_T0_E_clISt17integral_constantIbLb1EESU_EEDaSP_SQ_EUlSP_E_NS1_11comp_targetILNS1_3genE8ELNS1_11target_archE1030ELNS1_3gpuE2ELNS1_3repE0EEENS1_30default_config_static_selectorELNS0_4arch9wavefront6targetE1EEEvT1_, .Lfunc_end614-_ZN7rocprim17ROCPRIM_400000_NS6detail17trampoline_kernelINS0_14default_configENS1_20scan_config_selectorIiEEZZNS1_9scan_implILNS1_25lookback_scan_determinismE0ELb0ELb1ES3_N6thrust23THRUST_200600_302600_NS6detail15normal_iteratorINS9_10device_ptrIiEEEESE_iNS9_10multipliesIiEEiEEDaPvRmT3_T4_T5_mT6_P12ihipStream_tbENKUlT_T0_E_clISt17integral_constantIbLb1EESU_EEDaSP_SQ_EUlSP_E_NS1_11comp_targetILNS1_3genE8ELNS1_11target_archE1030ELNS1_3gpuE2ELNS1_3repE0EEENS1_30default_config_static_selectorELNS0_4arch9wavefront6targetE1EEEvT1_
                                        ; -- End function
	.section	.AMDGPU.csdata,"",@progbits
; Kernel info:
; codeLenInByte = 0
; NumSgprs: 4
; NumVgprs: 0
; NumAgprs: 0
; TotalNumVgprs: 0
; ScratchSize: 0
; MemoryBound: 0
; FloatMode: 240
; IeeeMode: 1
; LDSByteSize: 0 bytes/workgroup (compile time only)
; SGPRBlocks: 0
; VGPRBlocks: 0
; NumSGPRsForWavesPerEU: 4
; NumVGPRsForWavesPerEU: 1
; AccumOffset: 4
; Occupancy: 8
; WaveLimiterHint : 0
; COMPUTE_PGM_RSRC2:SCRATCH_EN: 0
; COMPUTE_PGM_RSRC2:USER_SGPR: 6
; COMPUTE_PGM_RSRC2:TRAP_HANDLER: 0
; COMPUTE_PGM_RSRC2:TGID_X_EN: 1
; COMPUTE_PGM_RSRC2:TGID_Y_EN: 0
; COMPUTE_PGM_RSRC2:TGID_Z_EN: 0
; COMPUTE_PGM_RSRC2:TIDIG_COMP_CNT: 0
; COMPUTE_PGM_RSRC3_GFX90A:ACCUM_OFFSET: 0
; COMPUTE_PGM_RSRC3_GFX90A:TG_SPLIT: 0
	.section	.text._ZN7rocprim17ROCPRIM_400000_NS6detail17trampoline_kernelINS0_14default_configENS1_20scan_config_selectorIiEEZZNS1_9scan_implILNS1_25lookback_scan_determinismE0ELb0ELb1ES3_N6thrust23THRUST_200600_302600_NS6detail15normal_iteratorINS9_10device_ptrIiEEEESE_iNS9_10multipliesIiEEiEEDaPvRmT3_T4_T5_mT6_P12ihipStream_tbENKUlT_T0_E_clISt17integral_constantIbLb1EESU_EEDaSP_SQ_EUlSP_E0_NS1_11comp_targetILNS1_3genE0ELNS1_11target_archE4294967295ELNS1_3gpuE0ELNS1_3repE0EEENS1_30default_config_static_selectorELNS0_4arch9wavefront6targetE1EEEvT1_,"axG",@progbits,_ZN7rocprim17ROCPRIM_400000_NS6detail17trampoline_kernelINS0_14default_configENS1_20scan_config_selectorIiEEZZNS1_9scan_implILNS1_25lookback_scan_determinismE0ELb0ELb1ES3_N6thrust23THRUST_200600_302600_NS6detail15normal_iteratorINS9_10device_ptrIiEEEESE_iNS9_10multipliesIiEEiEEDaPvRmT3_T4_T5_mT6_P12ihipStream_tbENKUlT_T0_E_clISt17integral_constantIbLb1EESU_EEDaSP_SQ_EUlSP_E0_NS1_11comp_targetILNS1_3genE0ELNS1_11target_archE4294967295ELNS1_3gpuE0ELNS1_3repE0EEENS1_30default_config_static_selectorELNS0_4arch9wavefront6targetE1EEEvT1_,comdat
	.protected	_ZN7rocprim17ROCPRIM_400000_NS6detail17trampoline_kernelINS0_14default_configENS1_20scan_config_selectorIiEEZZNS1_9scan_implILNS1_25lookback_scan_determinismE0ELb0ELb1ES3_N6thrust23THRUST_200600_302600_NS6detail15normal_iteratorINS9_10device_ptrIiEEEESE_iNS9_10multipliesIiEEiEEDaPvRmT3_T4_T5_mT6_P12ihipStream_tbENKUlT_T0_E_clISt17integral_constantIbLb1EESU_EEDaSP_SQ_EUlSP_E0_NS1_11comp_targetILNS1_3genE0ELNS1_11target_archE4294967295ELNS1_3gpuE0ELNS1_3repE0EEENS1_30default_config_static_selectorELNS0_4arch9wavefront6targetE1EEEvT1_ ; -- Begin function _ZN7rocprim17ROCPRIM_400000_NS6detail17trampoline_kernelINS0_14default_configENS1_20scan_config_selectorIiEEZZNS1_9scan_implILNS1_25lookback_scan_determinismE0ELb0ELb1ES3_N6thrust23THRUST_200600_302600_NS6detail15normal_iteratorINS9_10device_ptrIiEEEESE_iNS9_10multipliesIiEEiEEDaPvRmT3_T4_T5_mT6_P12ihipStream_tbENKUlT_T0_E_clISt17integral_constantIbLb1EESU_EEDaSP_SQ_EUlSP_E0_NS1_11comp_targetILNS1_3genE0ELNS1_11target_archE4294967295ELNS1_3gpuE0ELNS1_3repE0EEENS1_30default_config_static_selectorELNS0_4arch9wavefront6targetE1EEEvT1_
	.globl	_ZN7rocprim17ROCPRIM_400000_NS6detail17trampoline_kernelINS0_14default_configENS1_20scan_config_selectorIiEEZZNS1_9scan_implILNS1_25lookback_scan_determinismE0ELb0ELb1ES3_N6thrust23THRUST_200600_302600_NS6detail15normal_iteratorINS9_10device_ptrIiEEEESE_iNS9_10multipliesIiEEiEEDaPvRmT3_T4_T5_mT6_P12ihipStream_tbENKUlT_T0_E_clISt17integral_constantIbLb1EESU_EEDaSP_SQ_EUlSP_E0_NS1_11comp_targetILNS1_3genE0ELNS1_11target_archE4294967295ELNS1_3gpuE0ELNS1_3repE0EEENS1_30default_config_static_selectorELNS0_4arch9wavefront6targetE1EEEvT1_
	.p2align	8
	.type	_ZN7rocprim17ROCPRIM_400000_NS6detail17trampoline_kernelINS0_14default_configENS1_20scan_config_selectorIiEEZZNS1_9scan_implILNS1_25lookback_scan_determinismE0ELb0ELb1ES3_N6thrust23THRUST_200600_302600_NS6detail15normal_iteratorINS9_10device_ptrIiEEEESE_iNS9_10multipliesIiEEiEEDaPvRmT3_T4_T5_mT6_P12ihipStream_tbENKUlT_T0_E_clISt17integral_constantIbLb1EESU_EEDaSP_SQ_EUlSP_E0_NS1_11comp_targetILNS1_3genE0ELNS1_11target_archE4294967295ELNS1_3gpuE0ELNS1_3repE0EEENS1_30default_config_static_selectorELNS0_4arch9wavefront6targetE1EEEvT1_,@function
_ZN7rocprim17ROCPRIM_400000_NS6detail17trampoline_kernelINS0_14default_configENS1_20scan_config_selectorIiEEZZNS1_9scan_implILNS1_25lookback_scan_determinismE0ELb0ELb1ES3_N6thrust23THRUST_200600_302600_NS6detail15normal_iteratorINS9_10device_ptrIiEEEESE_iNS9_10multipliesIiEEiEEDaPvRmT3_T4_T5_mT6_P12ihipStream_tbENKUlT_T0_E_clISt17integral_constantIbLb1EESU_EEDaSP_SQ_EUlSP_E0_NS1_11comp_targetILNS1_3genE0ELNS1_11target_archE4294967295ELNS1_3gpuE0ELNS1_3repE0EEENS1_30default_config_static_selectorELNS0_4arch9wavefront6targetE1EEEvT1_: ; @_ZN7rocprim17ROCPRIM_400000_NS6detail17trampoline_kernelINS0_14default_configENS1_20scan_config_selectorIiEEZZNS1_9scan_implILNS1_25lookback_scan_determinismE0ELb0ELb1ES3_N6thrust23THRUST_200600_302600_NS6detail15normal_iteratorINS9_10device_ptrIiEEEESE_iNS9_10multipliesIiEEiEEDaPvRmT3_T4_T5_mT6_P12ihipStream_tbENKUlT_T0_E_clISt17integral_constantIbLb1EESU_EEDaSP_SQ_EUlSP_E0_NS1_11comp_targetILNS1_3genE0ELNS1_11target_archE4294967295ELNS1_3gpuE0ELNS1_3repE0EEENS1_30default_config_static_selectorELNS0_4arch9wavefront6targetE1EEEvT1_
; %bb.0:
	.section	.rodata,"a",@progbits
	.p2align	6, 0x0
	.amdhsa_kernel _ZN7rocprim17ROCPRIM_400000_NS6detail17trampoline_kernelINS0_14default_configENS1_20scan_config_selectorIiEEZZNS1_9scan_implILNS1_25lookback_scan_determinismE0ELb0ELb1ES3_N6thrust23THRUST_200600_302600_NS6detail15normal_iteratorINS9_10device_ptrIiEEEESE_iNS9_10multipliesIiEEiEEDaPvRmT3_T4_T5_mT6_P12ihipStream_tbENKUlT_T0_E_clISt17integral_constantIbLb1EESU_EEDaSP_SQ_EUlSP_E0_NS1_11comp_targetILNS1_3genE0ELNS1_11target_archE4294967295ELNS1_3gpuE0ELNS1_3repE0EEENS1_30default_config_static_selectorELNS0_4arch9wavefront6targetE1EEEvT1_
		.amdhsa_group_segment_fixed_size 0
		.amdhsa_private_segment_fixed_size 0
		.amdhsa_kernarg_size 32
		.amdhsa_user_sgpr_count 6
		.amdhsa_user_sgpr_private_segment_buffer 1
		.amdhsa_user_sgpr_dispatch_ptr 0
		.amdhsa_user_sgpr_queue_ptr 0
		.amdhsa_user_sgpr_kernarg_segment_ptr 1
		.amdhsa_user_sgpr_dispatch_id 0
		.amdhsa_user_sgpr_flat_scratch_init 0
		.amdhsa_user_sgpr_kernarg_preload_length 0
		.amdhsa_user_sgpr_kernarg_preload_offset 0
		.amdhsa_user_sgpr_private_segment_size 0
		.amdhsa_uses_dynamic_stack 0
		.amdhsa_system_sgpr_private_segment_wavefront_offset 0
		.amdhsa_system_sgpr_workgroup_id_x 1
		.amdhsa_system_sgpr_workgroup_id_y 0
		.amdhsa_system_sgpr_workgroup_id_z 0
		.amdhsa_system_sgpr_workgroup_info 0
		.amdhsa_system_vgpr_workitem_id 0
		.amdhsa_next_free_vgpr 1
		.amdhsa_next_free_sgpr 0
		.amdhsa_accum_offset 4
		.amdhsa_reserve_vcc 0
		.amdhsa_reserve_flat_scratch 0
		.amdhsa_float_round_mode_32 0
		.amdhsa_float_round_mode_16_64 0
		.amdhsa_float_denorm_mode_32 3
		.amdhsa_float_denorm_mode_16_64 3
		.amdhsa_dx10_clamp 1
		.amdhsa_ieee_mode 1
		.amdhsa_fp16_overflow 0
		.amdhsa_tg_split 0
		.amdhsa_exception_fp_ieee_invalid_op 0
		.amdhsa_exception_fp_denorm_src 0
		.amdhsa_exception_fp_ieee_div_zero 0
		.amdhsa_exception_fp_ieee_overflow 0
		.amdhsa_exception_fp_ieee_underflow 0
		.amdhsa_exception_fp_ieee_inexact 0
		.amdhsa_exception_int_div_zero 0
	.end_amdhsa_kernel
	.section	.text._ZN7rocprim17ROCPRIM_400000_NS6detail17trampoline_kernelINS0_14default_configENS1_20scan_config_selectorIiEEZZNS1_9scan_implILNS1_25lookback_scan_determinismE0ELb0ELb1ES3_N6thrust23THRUST_200600_302600_NS6detail15normal_iteratorINS9_10device_ptrIiEEEESE_iNS9_10multipliesIiEEiEEDaPvRmT3_T4_T5_mT6_P12ihipStream_tbENKUlT_T0_E_clISt17integral_constantIbLb1EESU_EEDaSP_SQ_EUlSP_E0_NS1_11comp_targetILNS1_3genE0ELNS1_11target_archE4294967295ELNS1_3gpuE0ELNS1_3repE0EEENS1_30default_config_static_selectorELNS0_4arch9wavefront6targetE1EEEvT1_,"axG",@progbits,_ZN7rocprim17ROCPRIM_400000_NS6detail17trampoline_kernelINS0_14default_configENS1_20scan_config_selectorIiEEZZNS1_9scan_implILNS1_25lookback_scan_determinismE0ELb0ELb1ES3_N6thrust23THRUST_200600_302600_NS6detail15normal_iteratorINS9_10device_ptrIiEEEESE_iNS9_10multipliesIiEEiEEDaPvRmT3_T4_T5_mT6_P12ihipStream_tbENKUlT_T0_E_clISt17integral_constantIbLb1EESU_EEDaSP_SQ_EUlSP_E0_NS1_11comp_targetILNS1_3genE0ELNS1_11target_archE4294967295ELNS1_3gpuE0ELNS1_3repE0EEENS1_30default_config_static_selectorELNS0_4arch9wavefront6targetE1EEEvT1_,comdat
.Lfunc_end615:
	.size	_ZN7rocprim17ROCPRIM_400000_NS6detail17trampoline_kernelINS0_14default_configENS1_20scan_config_selectorIiEEZZNS1_9scan_implILNS1_25lookback_scan_determinismE0ELb0ELb1ES3_N6thrust23THRUST_200600_302600_NS6detail15normal_iteratorINS9_10device_ptrIiEEEESE_iNS9_10multipliesIiEEiEEDaPvRmT3_T4_T5_mT6_P12ihipStream_tbENKUlT_T0_E_clISt17integral_constantIbLb1EESU_EEDaSP_SQ_EUlSP_E0_NS1_11comp_targetILNS1_3genE0ELNS1_11target_archE4294967295ELNS1_3gpuE0ELNS1_3repE0EEENS1_30default_config_static_selectorELNS0_4arch9wavefront6targetE1EEEvT1_, .Lfunc_end615-_ZN7rocprim17ROCPRIM_400000_NS6detail17trampoline_kernelINS0_14default_configENS1_20scan_config_selectorIiEEZZNS1_9scan_implILNS1_25lookback_scan_determinismE0ELb0ELb1ES3_N6thrust23THRUST_200600_302600_NS6detail15normal_iteratorINS9_10device_ptrIiEEEESE_iNS9_10multipliesIiEEiEEDaPvRmT3_T4_T5_mT6_P12ihipStream_tbENKUlT_T0_E_clISt17integral_constantIbLb1EESU_EEDaSP_SQ_EUlSP_E0_NS1_11comp_targetILNS1_3genE0ELNS1_11target_archE4294967295ELNS1_3gpuE0ELNS1_3repE0EEENS1_30default_config_static_selectorELNS0_4arch9wavefront6targetE1EEEvT1_
                                        ; -- End function
	.section	.AMDGPU.csdata,"",@progbits
; Kernel info:
; codeLenInByte = 0
; NumSgprs: 4
; NumVgprs: 0
; NumAgprs: 0
; TotalNumVgprs: 0
; ScratchSize: 0
; MemoryBound: 0
; FloatMode: 240
; IeeeMode: 1
; LDSByteSize: 0 bytes/workgroup (compile time only)
; SGPRBlocks: 0
; VGPRBlocks: 0
; NumSGPRsForWavesPerEU: 4
; NumVGPRsForWavesPerEU: 1
; AccumOffset: 4
; Occupancy: 8
; WaveLimiterHint : 0
; COMPUTE_PGM_RSRC2:SCRATCH_EN: 0
; COMPUTE_PGM_RSRC2:USER_SGPR: 6
; COMPUTE_PGM_RSRC2:TRAP_HANDLER: 0
; COMPUTE_PGM_RSRC2:TGID_X_EN: 1
; COMPUTE_PGM_RSRC2:TGID_Y_EN: 0
; COMPUTE_PGM_RSRC2:TGID_Z_EN: 0
; COMPUTE_PGM_RSRC2:TIDIG_COMP_CNT: 0
; COMPUTE_PGM_RSRC3_GFX90A:ACCUM_OFFSET: 0
; COMPUTE_PGM_RSRC3_GFX90A:TG_SPLIT: 0
	.section	.text._ZN7rocprim17ROCPRIM_400000_NS6detail17trampoline_kernelINS0_14default_configENS1_20scan_config_selectorIiEEZZNS1_9scan_implILNS1_25lookback_scan_determinismE0ELb0ELb1ES3_N6thrust23THRUST_200600_302600_NS6detail15normal_iteratorINS9_10device_ptrIiEEEESE_iNS9_10multipliesIiEEiEEDaPvRmT3_T4_T5_mT6_P12ihipStream_tbENKUlT_T0_E_clISt17integral_constantIbLb1EESU_EEDaSP_SQ_EUlSP_E0_NS1_11comp_targetILNS1_3genE5ELNS1_11target_archE942ELNS1_3gpuE9ELNS1_3repE0EEENS1_30default_config_static_selectorELNS0_4arch9wavefront6targetE1EEEvT1_,"axG",@progbits,_ZN7rocprim17ROCPRIM_400000_NS6detail17trampoline_kernelINS0_14default_configENS1_20scan_config_selectorIiEEZZNS1_9scan_implILNS1_25lookback_scan_determinismE0ELb0ELb1ES3_N6thrust23THRUST_200600_302600_NS6detail15normal_iteratorINS9_10device_ptrIiEEEESE_iNS9_10multipliesIiEEiEEDaPvRmT3_T4_T5_mT6_P12ihipStream_tbENKUlT_T0_E_clISt17integral_constantIbLb1EESU_EEDaSP_SQ_EUlSP_E0_NS1_11comp_targetILNS1_3genE5ELNS1_11target_archE942ELNS1_3gpuE9ELNS1_3repE0EEENS1_30default_config_static_selectorELNS0_4arch9wavefront6targetE1EEEvT1_,comdat
	.protected	_ZN7rocprim17ROCPRIM_400000_NS6detail17trampoline_kernelINS0_14default_configENS1_20scan_config_selectorIiEEZZNS1_9scan_implILNS1_25lookback_scan_determinismE0ELb0ELb1ES3_N6thrust23THRUST_200600_302600_NS6detail15normal_iteratorINS9_10device_ptrIiEEEESE_iNS9_10multipliesIiEEiEEDaPvRmT3_T4_T5_mT6_P12ihipStream_tbENKUlT_T0_E_clISt17integral_constantIbLb1EESU_EEDaSP_SQ_EUlSP_E0_NS1_11comp_targetILNS1_3genE5ELNS1_11target_archE942ELNS1_3gpuE9ELNS1_3repE0EEENS1_30default_config_static_selectorELNS0_4arch9wavefront6targetE1EEEvT1_ ; -- Begin function _ZN7rocprim17ROCPRIM_400000_NS6detail17trampoline_kernelINS0_14default_configENS1_20scan_config_selectorIiEEZZNS1_9scan_implILNS1_25lookback_scan_determinismE0ELb0ELb1ES3_N6thrust23THRUST_200600_302600_NS6detail15normal_iteratorINS9_10device_ptrIiEEEESE_iNS9_10multipliesIiEEiEEDaPvRmT3_T4_T5_mT6_P12ihipStream_tbENKUlT_T0_E_clISt17integral_constantIbLb1EESU_EEDaSP_SQ_EUlSP_E0_NS1_11comp_targetILNS1_3genE5ELNS1_11target_archE942ELNS1_3gpuE9ELNS1_3repE0EEENS1_30default_config_static_selectorELNS0_4arch9wavefront6targetE1EEEvT1_
	.globl	_ZN7rocprim17ROCPRIM_400000_NS6detail17trampoline_kernelINS0_14default_configENS1_20scan_config_selectorIiEEZZNS1_9scan_implILNS1_25lookback_scan_determinismE0ELb0ELb1ES3_N6thrust23THRUST_200600_302600_NS6detail15normal_iteratorINS9_10device_ptrIiEEEESE_iNS9_10multipliesIiEEiEEDaPvRmT3_T4_T5_mT6_P12ihipStream_tbENKUlT_T0_E_clISt17integral_constantIbLb1EESU_EEDaSP_SQ_EUlSP_E0_NS1_11comp_targetILNS1_3genE5ELNS1_11target_archE942ELNS1_3gpuE9ELNS1_3repE0EEENS1_30default_config_static_selectorELNS0_4arch9wavefront6targetE1EEEvT1_
	.p2align	8
	.type	_ZN7rocprim17ROCPRIM_400000_NS6detail17trampoline_kernelINS0_14default_configENS1_20scan_config_selectorIiEEZZNS1_9scan_implILNS1_25lookback_scan_determinismE0ELb0ELb1ES3_N6thrust23THRUST_200600_302600_NS6detail15normal_iteratorINS9_10device_ptrIiEEEESE_iNS9_10multipliesIiEEiEEDaPvRmT3_T4_T5_mT6_P12ihipStream_tbENKUlT_T0_E_clISt17integral_constantIbLb1EESU_EEDaSP_SQ_EUlSP_E0_NS1_11comp_targetILNS1_3genE5ELNS1_11target_archE942ELNS1_3gpuE9ELNS1_3repE0EEENS1_30default_config_static_selectorELNS0_4arch9wavefront6targetE1EEEvT1_,@function
_ZN7rocprim17ROCPRIM_400000_NS6detail17trampoline_kernelINS0_14default_configENS1_20scan_config_selectorIiEEZZNS1_9scan_implILNS1_25lookback_scan_determinismE0ELb0ELb1ES3_N6thrust23THRUST_200600_302600_NS6detail15normal_iteratorINS9_10device_ptrIiEEEESE_iNS9_10multipliesIiEEiEEDaPvRmT3_T4_T5_mT6_P12ihipStream_tbENKUlT_T0_E_clISt17integral_constantIbLb1EESU_EEDaSP_SQ_EUlSP_E0_NS1_11comp_targetILNS1_3genE5ELNS1_11target_archE942ELNS1_3gpuE9ELNS1_3repE0EEENS1_30default_config_static_selectorELNS0_4arch9wavefront6targetE1EEEvT1_: ; @_ZN7rocprim17ROCPRIM_400000_NS6detail17trampoline_kernelINS0_14default_configENS1_20scan_config_selectorIiEEZZNS1_9scan_implILNS1_25lookback_scan_determinismE0ELb0ELb1ES3_N6thrust23THRUST_200600_302600_NS6detail15normal_iteratorINS9_10device_ptrIiEEEESE_iNS9_10multipliesIiEEiEEDaPvRmT3_T4_T5_mT6_P12ihipStream_tbENKUlT_T0_E_clISt17integral_constantIbLb1EESU_EEDaSP_SQ_EUlSP_E0_NS1_11comp_targetILNS1_3genE5ELNS1_11target_archE942ELNS1_3gpuE9ELNS1_3repE0EEENS1_30default_config_static_selectorELNS0_4arch9wavefront6targetE1EEEvT1_
; %bb.0:
	.section	.rodata,"a",@progbits
	.p2align	6, 0x0
	.amdhsa_kernel _ZN7rocprim17ROCPRIM_400000_NS6detail17trampoline_kernelINS0_14default_configENS1_20scan_config_selectorIiEEZZNS1_9scan_implILNS1_25lookback_scan_determinismE0ELb0ELb1ES3_N6thrust23THRUST_200600_302600_NS6detail15normal_iteratorINS9_10device_ptrIiEEEESE_iNS9_10multipliesIiEEiEEDaPvRmT3_T4_T5_mT6_P12ihipStream_tbENKUlT_T0_E_clISt17integral_constantIbLb1EESU_EEDaSP_SQ_EUlSP_E0_NS1_11comp_targetILNS1_3genE5ELNS1_11target_archE942ELNS1_3gpuE9ELNS1_3repE0EEENS1_30default_config_static_selectorELNS0_4arch9wavefront6targetE1EEEvT1_
		.amdhsa_group_segment_fixed_size 0
		.amdhsa_private_segment_fixed_size 0
		.amdhsa_kernarg_size 32
		.amdhsa_user_sgpr_count 6
		.amdhsa_user_sgpr_private_segment_buffer 1
		.amdhsa_user_sgpr_dispatch_ptr 0
		.amdhsa_user_sgpr_queue_ptr 0
		.amdhsa_user_sgpr_kernarg_segment_ptr 1
		.amdhsa_user_sgpr_dispatch_id 0
		.amdhsa_user_sgpr_flat_scratch_init 0
		.amdhsa_user_sgpr_kernarg_preload_length 0
		.amdhsa_user_sgpr_kernarg_preload_offset 0
		.amdhsa_user_sgpr_private_segment_size 0
		.amdhsa_uses_dynamic_stack 0
		.amdhsa_system_sgpr_private_segment_wavefront_offset 0
		.amdhsa_system_sgpr_workgroup_id_x 1
		.amdhsa_system_sgpr_workgroup_id_y 0
		.amdhsa_system_sgpr_workgroup_id_z 0
		.amdhsa_system_sgpr_workgroup_info 0
		.amdhsa_system_vgpr_workitem_id 0
		.amdhsa_next_free_vgpr 1
		.amdhsa_next_free_sgpr 0
		.amdhsa_accum_offset 4
		.amdhsa_reserve_vcc 0
		.amdhsa_reserve_flat_scratch 0
		.amdhsa_float_round_mode_32 0
		.amdhsa_float_round_mode_16_64 0
		.amdhsa_float_denorm_mode_32 3
		.amdhsa_float_denorm_mode_16_64 3
		.amdhsa_dx10_clamp 1
		.amdhsa_ieee_mode 1
		.amdhsa_fp16_overflow 0
		.amdhsa_tg_split 0
		.amdhsa_exception_fp_ieee_invalid_op 0
		.amdhsa_exception_fp_denorm_src 0
		.amdhsa_exception_fp_ieee_div_zero 0
		.amdhsa_exception_fp_ieee_overflow 0
		.amdhsa_exception_fp_ieee_underflow 0
		.amdhsa_exception_fp_ieee_inexact 0
		.amdhsa_exception_int_div_zero 0
	.end_amdhsa_kernel
	.section	.text._ZN7rocprim17ROCPRIM_400000_NS6detail17trampoline_kernelINS0_14default_configENS1_20scan_config_selectorIiEEZZNS1_9scan_implILNS1_25lookback_scan_determinismE0ELb0ELb1ES3_N6thrust23THRUST_200600_302600_NS6detail15normal_iteratorINS9_10device_ptrIiEEEESE_iNS9_10multipliesIiEEiEEDaPvRmT3_T4_T5_mT6_P12ihipStream_tbENKUlT_T0_E_clISt17integral_constantIbLb1EESU_EEDaSP_SQ_EUlSP_E0_NS1_11comp_targetILNS1_3genE5ELNS1_11target_archE942ELNS1_3gpuE9ELNS1_3repE0EEENS1_30default_config_static_selectorELNS0_4arch9wavefront6targetE1EEEvT1_,"axG",@progbits,_ZN7rocprim17ROCPRIM_400000_NS6detail17trampoline_kernelINS0_14default_configENS1_20scan_config_selectorIiEEZZNS1_9scan_implILNS1_25lookback_scan_determinismE0ELb0ELb1ES3_N6thrust23THRUST_200600_302600_NS6detail15normal_iteratorINS9_10device_ptrIiEEEESE_iNS9_10multipliesIiEEiEEDaPvRmT3_T4_T5_mT6_P12ihipStream_tbENKUlT_T0_E_clISt17integral_constantIbLb1EESU_EEDaSP_SQ_EUlSP_E0_NS1_11comp_targetILNS1_3genE5ELNS1_11target_archE942ELNS1_3gpuE9ELNS1_3repE0EEENS1_30default_config_static_selectorELNS0_4arch9wavefront6targetE1EEEvT1_,comdat
.Lfunc_end616:
	.size	_ZN7rocprim17ROCPRIM_400000_NS6detail17trampoline_kernelINS0_14default_configENS1_20scan_config_selectorIiEEZZNS1_9scan_implILNS1_25lookback_scan_determinismE0ELb0ELb1ES3_N6thrust23THRUST_200600_302600_NS6detail15normal_iteratorINS9_10device_ptrIiEEEESE_iNS9_10multipliesIiEEiEEDaPvRmT3_T4_T5_mT6_P12ihipStream_tbENKUlT_T0_E_clISt17integral_constantIbLb1EESU_EEDaSP_SQ_EUlSP_E0_NS1_11comp_targetILNS1_3genE5ELNS1_11target_archE942ELNS1_3gpuE9ELNS1_3repE0EEENS1_30default_config_static_selectorELNS0_4arch9wavefront6targetE1EEEvT1_, .Lfunc_end616-_ZN7rocprim17ROCPRIM_400000_NS6detail17trampoline_kernelINS0_14default_configENS1_20scan_config_selectorIiEEZZNS1_9scan_implILNS1_25lookback_scan_determinismE0ELb0ELb1ES3_N6thrust23THRUST_200600_302600_NS6detail15normal_iteratorINS9_10device_ptrIiEEEESE_iNS9_10multipliesIiEEiEEDaPvRmT3_T4_T5_mT6_P12ihipStream_tbENKUlT_T0_E_clISt17integral_constantIbLb1EESU_EEDaSP_SQ_EUlSP_E0_NS1_11comp_targetILNS1_3genE5ELNS1_11target_archE942ELNS1_3gpuE9ELNS1_3repE0EEENS1_30default_config_static_selectorELNS0_4arch9wavefront6targetE1EEEvT1_
                                        ; -- End function
	.section	.AMDGPU.csdata,"",@progbits
; Kernel info:
; codeLenInByte = 0
; NumSgprs: 4
; NumVgprs: 0
; NumAgprs: 0
; TotalNumVgprs: 0
; ScratchSize: 0
; MemoryBound: 0
; FloatMode: 240
; IeeeMode: 1
; LDSByteSize: 0 bytes/workgroup (compile time only)
; SGPRBlocks: 0
; VGPRBlocks: 0
; NumSGPRsForWavesPerEU: 4
; NumVGPRsForWavesPerEU: 1
; AccumOffset: 4
; Occupancy: 8
; WaveLimiterHint : 0
; COMPUTE_PGM_RSRC2:SCRATCH_EN: 0
; COMPUTE_PGM_RSRC2:USER_SGPR: 6
; COMPUTE_PGM_RSRC2:TRAP_HANDLER: 0
; COMPUTE_PGM_RSRC2:TGID_X_EN: 1
; COMPUTE_PGM_RSRC2:TGID_Y_EN: 0
; COMPUTE_PGM_RSRC2:TGID_Z_EN: 0
; COMPUTE_PGM_RSRC2:TIDIG_COMP_CNT: 0
; COMPUTE_PGM_RSRC3_GFX90A:ACCUM_OFFSET: 0
; COMPUTE_PGM_RSRC3_GFX90A:TG_SPLIT: 0
	.section	.text._ZN7rocprim17ROCPRIM_400000_NS6detail17trampoline_kernelINS0_14default_configENS1_20scan_config_selectorIiEEZZNS1_9scan_implILNS1_25lookback_scan_determinismE0ELb0ELb1ES3_N6thrust23THRUST_200600_302600_NS6detail15normal_iteratorINS9_10device_ptrIiEEEESE_iNS9_10multipliesIiEEiEEDaPvRmT3_T4_T5_mT6_P12ihipStream_tbENKUlT_T0_E_clISt17integral_constantIbLb1EESU_EEDaSP_SQ_EUlSP_E0_NS1_11comp_targetILNS1_3genE4ELNS1_11target_archE910ELNS1_3gpuE8ELNS1_3repE0EEENS1_30default_config_static_selectorELNS0_4arch9wavefront6targetE1EEEvT1_,"axG",@progbits,_ZN7rocprim17ROCPRIM_400000_NS6detail17trampoline_kernelINS0_14default_configENS1_20scan_config_selectorIiEEZZNS1_9scan_implILNS1_25lookback_scan_determinismE0ELb0ELb1ES3_N6thrust23THRUST_200600_302600_NS6detail15normal_iteratorINS9_10device_ptrIiEEEESE_iNS9_10multipliesIiEEiEEDaPvRmT3_T4_T5_mT6_P12ihipStream_tbENKUlT_T0_E_clISt17integral_constantIbLb1EESU_EEDaSP_SQ_EUlSP_E0_NS1_11comp_targetILNS1_3genE4ELNS1_11target_archE910ELNS1_3gpuE8ELNS1_3repE0EEENS1_30default_config_static_selectorELNS0_4arch9wavefront6targetE1EEEvT1_,comdat
	.protected	_ZN7rocprim17ROCPRIM_400000_NS6detail17trampoline_kernelINS0_14default_configENS1_20scan_config_selectorIiEEZZNS1_9scan_implILNS1_25lookback_scan_determinismE0ELb0ELb1ES3_N6thrust23THRUST_200600_302600_NS6detail15normal_iteratorINS9_10device_ptrIiEEEESE_iNS9_10multipliesIiEEiEEDaPvRmT3_T4_T5_mT6_P12ihipStream_tbENKUlT_T0_E_clISt17integral_constantIbLb1EESU_EEDaSP_SQ_EUlSP_E0_NS1_11comp_targetILNS1_3genE4ELNS1_11target_archE910ELNS1_3gpuE8ELNS1_3repE0EEENS1_30default_config_static_selectorELNS0_4arch9wavefront6targetE1EEEvT1_ ; -- Begin function _ZN7rocprim17ROCPRIM_400000_NS6detail17trampoline_kernelINS0_14default_configENS1_20scan_config_selectorIiEEZZNS1_9scan_implILNS1_25lookback_scan_determinismE0ELb0ELb1ES3_N6thrust23THRUST_200600_302600_NS6detail15normal_iteratorINS9_10device_ptrIiEEEESE_iNS9_10multipliesIiEEiEEDaPvRmT3_T4_T5_mT6_P12ihipStream_tbENKUlT_T0_E_clISt17integral_constantIbLb1EESU_EEDaSP_SQ_EUlSP_E0_NS1_11comp_targetILNS1_3genE4ELNS1_11target_archE910ELNS1_3gpuE8ELNS1_3repE0EEENS1_30default_config_static_selectorELNS0_4arch9wavefront6targetE1EEEvT1_
	.globl	_ZN7rocprim17ROCPRIM_400000_NS6detail17trampoline_kernelINS0_14default_configENS1_20scan_config_selectorIiEEZZNS1_9scan_implILNS1_25lookback_scan_determinismE0ELb0ELb1ES3_N6thrust23THRUST_200600_302600_NS6detail15normal_iteratorINS9_10device_ptrIiEEEESE_iNS9_10multipliesIiEEiEEDaPvRmT3_T4_T5_mT6_P12ihipStream_tbENKUlT_T0_E_clISt17integral_constantIbLb1EESU_EEDaSP_SQ_EUlSP_E0_NS1_11comp_targetILNS1_3genE4ELNS1_11target_archE910ELNS1_3gpuE8ELNS1_3repE0EEENS1_30default_config_static_selectorELNS0_4arch9wavefront6targetE1EEEvT1_
	.p2align	8
	.type	_ZN7rocprim17ROCPRIM_400000_NS6detail17trampoline_kernelINS0_14default_configENS1_20scan_config_selectorIiEEZZNS1_9scan_implILNS1_25lookback_scan_determinismE0ELb0ELb1ES3_N6thrust23THRUST_200600_302600_NS6detail15normal_iteratorINS9_10device_ptrIiEEEESE_iNS9_10multipliesIiEEiEEDaPvRmT3_T4_T5_mT6_P12ihipStream_tbENKUlT_T0_E_clISt17integral_constantIbLb1EESU_EEDaSP_SQ_EUlSP_E0_NS1_11comp_targetILNS1_3genE4ELNS1_11target_archE910ELNS1_3gpuE8ELNS1_3repE0EEENS1_30default_config_static_selectorELNS0_4arch9wavefront6targetE1EEEvT1_,@function
_ZN7rocprim17ROCPRIM_400000_NS6detail17trampoline_kernelINS0_14default_configENS1_20scan_config_selectorIiEEZZNS1_9scan_implILNS1_25lookback_scan_determinismE0ELb0ELb1ES3_N6thrust23THRUST_200600_302600_NS6detail15normal_iteratorINS9_10device_ptrIiEEEESE_iNS9_10multipliesIiEEiEEDaPvRmT3_T4_T5_mT6_P12ihipStream_tbENKUlT_T0_E_clISt17integral_constantIbLb1EESU_EEDaSP_SQ_EUlSP_E0_NS1_11comp_targetILNS1_3genE4ELNS1_11target_archE910ELNS1_3gpuE8ELNS1_3repE0EEENS1_30default_config_static_selectorELNS0_4arch9wavefront6targetE1EEEvT1_: ; @_ZN7rocprim17ROCPRIM_400000_NS6detail17trampoline_kernelINS0_14default_configENS1_20scan_config_selectorIiEEZZNS1_9scan_implILNS1_25lookback_scan_determinismE0ELb0ELb1ES3_N6thrust23THRUST_200600_302600_NS6detail15normal_iteratorINS9_10device_ptrIiEEEESE_iNS9_10multipliesIiEEiEEDaPvRmT3_T4_T5_mT6_P12ihipStream_tbENKUlT_T0_E_clISt17integral_constantIbLb1EESU_EEDaSP_SQ_EUlSP_E0_NS1_11comp_targetILNS1_3genE4ELNS1_11target_archE910ELNS1_3gpuE8ELNS1_3repE0EEENS1_30default_config_static_selectorELNS0_4arch9wavefront6targetE1EEEvT1_
; %bb.0:
	s_load_dwordx4 s[20:23], s[4:5], 0x0
	v_lshlrev_b32_e32 v18, 2, v0
	s_waitcnt lgkmcnt(0)
	s_load_dword s23, s[20:21], 0x0
	v_cmp_gt_u32_e32 vcc, s22, v0
	s_waitcnt lgkmcnt(0)
	v_mov_b32_e32 v1, s23
	s_and_saveexec_b64 s[0:1], vcc
	s_cbranch_execz .LBB617_2
; %bb.1:
	global_load_dword v1, v18, s[20:21]
.LBB617_2:
	s_or_b64 exec, exec, s[0:1]
	v_or_b32_e32 v2, 0x80, v0
	v_cmp_gt_u32_e64 s[0:1], s22, v2
	v_mov_b32_e32 v2, s23
	s_and_saveexec_b64 s[2:3], s[0:1]
	s_cbranch_execz .LBB617_4
; %bb.3:
	global_load_dword v2, v18, s[20:21] offset:512
.LBB617_4:
	s_or_b64 exec, exec, s[2:3]
	v_or_b32_e32 v3, 0x100, v0
	v_cmp_gt_u32_e64 s[2:3], s22, v3
	v_mov_b32_e32 v3, s23
	s_and_saveexec_b64 s[6:7], s[2:3]
	s_cbranch_execz .LBB617_6
; %bb.5:
	global_load_dword v3, v18, s[20:21] offset:1024
.LBB617_6:
	;; [unrolled: 9-line block ×7, first 2 shown]
	s_or_b64 exec, exec, s[14:15]
	v_or_b32_e32 v10, 0x400, v0
	v_cmp_gt_u32_e64 s[14:15], s22, v10
	v_mov_b32_e32 v9, s23
	s_and_saveexec_b64 s[16:17], s[14:15]
	s_cbranch_execz .LBB617_18
; %bb.17:
	v_lshlrev_b32_e32 v9, 2, v10
	global_load_dword v9, v9, s[20:21]
.LBB617_18:
	s_or_b64 exec, exec, s[16:17]
	v_or_b32_e32 v11, 0x480, v0
	v_cmp_gt_u32_e64 s[16:17], s22, v11
	v_mov_b32_e32 v10, s23
	s_and_saveexec_b64 s[22:23], s[16:17]
	s_cbranch_execz .LBB617_20
; %bb.19:
	v_lshlrev_b32_e32 v10, 2, v11
	global_load_dword v10, v10, s[20:21]
.LBB617_20:
	s_or_b64 exec, exec, s[22:23]
	s_waitcnt vmcnt(0)
	ds_write2st64_b32 v18, v1, v2 offset1:2
	ds_write2st64_b32 v18, v3, v4 offset0:4 offset1:6
	ds_write2st64_b32 v18, v5, v6 offset0:8 offset1:10
	;; [unrolled: 1-line block ×4, first 2 shown]
	v_mad_u32_u24 v1, v0, 36, v18
	s_waitcnt lgkmcnt(0)
	s_barrier
	ds_read2_b64 v[6:9], v1 offset1:1
	ds_read2_b64 v[2:5], v1 offset0:2 offset1:3
	ds_read_b64 v[10:11], v1 offset:32
	v_lshrrev_b32_e32 v20, 3, v0
	v_and_b32_e32 v20, 12, v20
	s_waitcnt lgkmcnt(2)
	v_mul_lo_u32 v1, v7, v6
	v_mul_lo_u32 v12, v1, v8
	;; [unrolled: 1-line block ×3, first 2 shown]
	s_waitcnt lgkmcnt(1)
	v_mul_lo_u32 v14, v13, v2
	v_mul_lo_u32 v17, v14, v3
	;; [unrolled: 1-line block ×4, first 2 shown]
	s_waitcnt lgkmcnt(0)
	v_mul_lo_u32 v19, v15, v10
	v_mul_lo_u32 v19, v19, v11
	v_add_u32_e32 v20, v18, v20
	v_cmp_gt_u32_e64 s[20:21], 64, v0
	s_barrier
	ds_write_b32 v20, v19
	s_waitcnt lgkmcnt(0)
	s_barrier
	s_and_saveexec_b64 s[22:23], s[20:21]
	s_cbranch_execz .LBB617_22
; %bb.21:
	v_lshlrev_b32_e32 v20, 1, v0
	v_lshrrev_b32_e32 v21, 4, v0
	v_add_lshl_u32 v22, v21, v20, 2
	ds_read2_b32 v[20:21], v22 offset1:1
	v_mbcnt_lo_u32_b32 v23, -1, 0
	v_mbcnt_hi_u32_b32 v23, -1, v23
	v_and_b32_e32 v24, 15, v23
	v_cmp_ne_u32_e64 s[20:21], 0, v24
	s_waitcnt lgkmcnt(0)
	v_mul_lo_u32 v21, v21, v20
	; wave barrier
	s_nop 1
	v_mov_b32_dpp v25, v21 row_shr:1 row_mask:0xf bank_mask:0xf
	v_cndmask_b32_e64 v25, 1, v25, s[20:21]
	v_mul_lo_u32 v21, v25, v21
	v_cmp_lt_u32_e64 s[20:21], 1, v24
	s_nop 0
	v_mov_b32_dpp v25, v21 row_shr:2 row_mask:0xf bank_mask:0xf
	v_cndmask_b32_e64 v25, 1, v25, s[20:21]
	v_mul_lo_u32 v21, v21, v25
	v_cmp_lt_u32_e64 s[20:21], 3, v24
	;; [unrolled: 5-line block ×3, first 2 shown]
	s_nop 0
	v_mov_b32_dpp v25, v21 row_shr:8 row_mask:0xf bank_mask:0xf
	v_cndmask_b32_e64 v24, 1, v25, s[20:21]
	v_mul_lo_u32 v21, v21, v24
	v_and_b32_e32 v25, 16, v23
	v_cmp_ne_u32_e64 s[20:21], 0, v25
	v_mov_b32_dpp v24, v21 row_bcast:15 row_mask:0xf bank_mask:0xf
	v_cndmask_b32_e64 v24, 1, v24, s[20:21]
	v_mul_lo_u32 v21, v21, v24
	v_cmp_lt_u32_e64 s[20:21], 31, v23
	v_and_b32_e32 v25, 64, v23
	v_mov_b32_dpp v24, v21 row_bcast:31 row_mask:0xf bank_mask:0xf
	v_cndmask_b32_e64 v24, 1, v24, s[20:21]
	v_mul_lo_u32 v21, v21, v24
	v_add_u32_e32 v24, -1, v23
	v_cmp_lt_i32_e64 s[20:21], v24, v25
	v_cndmask_b32_e64 v23, v24, v23, s[20:21]
	v_lshlrev_b32_e32 v23, 2, v23
	ds_bpermute_b32 v21, v23, v21
	v_cmp_eq_u32_e64 s[20:21], 0, v0
	s_waitcnt lgkmcnt(0)
	v_mul_lo_u32 v20, v21, v20
	v_cndmask_b32_e64 v20, v20, v19, s[20:21]
	ds_write_b32 v22, v20
	; wave barrier
	ds_read_b32 v21, v22 offset:4
	s_waitcnt lgkmcnt(0)
	v_mul_lo_u32 v20, v21, v20
	ds_write_b32 v22, v20 offset:4
.LBB617_22:
	s_or_b64 exec, exec, s[22:23]
	s_load_dwordx2 s[22:23], s[4:5], 0x18
	v_cmp_ne_u32_e64 s[20:21], 0, v0
	s_waitcnt lgkmcnt(0)
	s_barrier
	s_and_saveexec_b64 s[24:25], s[20:21]
	s_cbranch_execz .LBB617_24
; %bb.23:
	v_add_u32_e32 v19, -1, v0
	v_lshrrev_b32_e32 v20, 5, v19
	v_add_lshl_u32 v19, v20, v19, 2
	ds_read_b32 v19, v19
.LBB617_24:
	s_or_b64 exec, exec, s[24:25]
	s_load_dword s24, s[4:5], 0x10
	v_mul_u32_u24_e32 v20, 36, v0
	v_mov_b32_e32 v0, v6
	s_and_saveexec_b64 s[4:5], s[20:21]
	s_cbranch_execz .LBB617_26
; %bb.25:
	s_waitcnt lgkmcnt(0)
	v_mul_lo_u32 v0, v19, v6
	v_mul_lo_u32 v1, v0, v7
	;; [unrolled: 1-line block ×8, first 2 shown]
	;;#ASMSTART
	;;#ASMEND
.LBB617_26:
	s_or_b64 exec, exec, s[4:5]
	s_waitcnt lgkmcnt(0)
	v_mul_lo_u32 v8, v10, s24
	v_mul_lo_u32 v8, v8, v15
	;; [unrolled: 1-line block ×11, first 2 shown]
	v_add_u32_e32 v10, v18, v20
	s_barrier
	ds_write2_b64 v10, v[0:1], v[2:3] offset1:1
	ds_write2_b64 v10, v[4:5], v[6:7] offset0:2 offset1:3
	ds_write_b64 v10, v[8:9] offset:32
	s_waitcnt lgkmcnt(0)
	s_barrier
	ds_read2st64_b32 v[8:9], v18 offset0:2 offset1:4
	ds_read2st64_b32 v[6:7], v18 offset0:6 offset1:8
	;; [unrolled: 1-line block ×4, first 2 shown]
	ds_read_b32 v10, v18 offset:4608
	v_mov_b32_e32 v1, s23
	v_add_co_u32_e64 v0, s[4:5], s22, v18
	v_addc_co_u32_e64 v1, s[4:5], 0, v1, s[4:5]
	s_and_saveexec_b64 s[4:5], vcc
	s_cbranch_execnz .LBB617_37
; %bb.27:
	s_or_b64 exec, exec, s[4:5]
	s_and_saveexec_b64 s[4:5], s[0:1]
	s_cbranch_execnz .LBB617_38
.LBB617_28:
	s_or_b64 exec, exec, s[4:5]
	s_and_saveexec_b64 s[0:1], s[2:3]
	s_cbranch_execnz .LBB617_39
.LBB617_29:
	s_or_b64 exec, exec, s[0:1]
	s_and_saveexec_b64 s[0:1], s[18:19]
	s_cbranch_execnz .LBB617_40
.LBB617_30:
	s_or_b64 exec, exec, s[0:1]
	s_and_saveexec_b64 s[0:1], s[6:7]
	s_cbranch_execnz .LBB617_41
.LBB617_31:
	s_or_b64 exec, exec, s[0:1]
	s_and_saveexec_b64 s[0:1], s[8:9]
	s_cbranch_execnz .LBB617_42
.LBB617_32:
	s_or_b64 exec, exec, s[0:1]
	s_and_saveexec_b64 s[0:1], s[10:11]
	s_cbranch_execnz .LBB617_43
.LBB617_33:
	s_or_b64 exec, exec, s[0:1]
	s_and_saveexec_b64 s[0:1], s[12:13]
	s_cbranch_execnz .LBB617_44
.LBB617_34:
	s_or_b64 exec, exec, s[0:1]
	s_and_saveexec_b64 s[0:1], s[14:15]
	s_cbranch_execnz .LBB617_45
.LBB617_35:
	s_or_b64 exec, exec, s[0:1]
	s_and_saveexec_b64 s[0:1], s[16:17]
	s_cbranch_execnz .LBB617_46
.LBB617_36:
	s_endpgm
.LBB617_37:
	ds_read_b32 v11, v18
	s_waitcnt lgkmcnt(0)
	global_store_dword v[0:1], v11, off
	s_or_b64 exec, exec, s[4:5]
	s_and_saveexec_b64 s[4:5], s[0:1]
	s_cbranch_execz .LBB617_28
.LBB617_38:
	s_waitcnt lgkmcnt(4)
	global_store_dword v[0:1], v8, off offset:512
	s_or_b64 exec, exec, s[4:5]
	s_and_saveexec_b64 s[0:1], s[2:3]
	s_cbranch_execz .LBB617_29
.LBB617_39:
	s_waitcnt lgkmcnt(4)
	global_store_dword v[0:1], v9, off offset:1024
	s_or_b64 exec, exec, s[0:1]
	s_and_saveexec_b64 s[0:1], s[18:19]
	s_cbranch_execz .LBB617_30
.LBB617_40:
	s_waitcnt lgkmcnt(3)
	global_store_dword v[0:1], v6, off offset:1536
	s_or_b64 exec, exec, s[0:1]
	s_and_saveexec_b64 s[0:1], s[6:7]
	s_cbranch_execz .LBB617_31
.LBB617_41:
	s_waitcnt lgkmcnt(3)
	global_store_dword v[0:1], v7, off offset:2048
	s_or_b64 exec, exec, s[0:1]
	s_and_saveexec_b64 s[0:1], s[8:9]
	s_cbranch_execz .LBB617_32
.LBB617_42:
	s_waitcnt lgkmcnt(2)
	global_store_dword v[0:1], v4, off offset:2560
	s_or_b64 exec, exec, s[0:1]
	s_and_saveexec_b64 s[0:1], s[10:11]
	s_cbranch_execz .LBB617_33
.LBB617_43:
	s_waitcnt lgkmcnt(2)
	global_store_dword v[0:1], v5, off offset:3072
	s_or_b64 exec, exec, s[0:1]
	s_and_saveexec_b64 s[0:1], s[12:13]
	s_cbranch_execz .LBB617_34
.LBB617_44:
	s_waitcnt lgkmcnt(1)
	global_store_dword v[0:1], v2, off offset:3584
	s_or_b64 exec, exec, s[0:1]
	s_and_saveexec_b64 s[0:1], s[14:15]
	s_cbranch_execz .LBB617_35
.LBB617_45:
	s_waitcnt lgkmcnt(2)
	v_add_co_u32_e32 v4, vcc, 0x1000, v0
	v_addc_co_u32_e32 v5, vcc, 0, v1, vcc
	s_waitcnt lgkmcnt(1)
	global_store_dword v[4:5], v3, off
	s_or_b64 exec, exec, s[0:1]
	s_and_saveexec_b64 s[0:1], s[16:17]
	s_cbranch_execz .LBB617_36
.LBB617_46:
	v_add_co_u32_e32 v0, vcc, 0x1000, v0
	v_addc_co_u32_e32 v1, vcc, 0, v1, vcc
	s_waitcnt lgkmcnt(0)
	global_store_dword v[0:1], v10, off offset:512
	s_endpgm
	.section	.rodata,"a",@progbits
	.p2align	6, 0x0
	.amdhsa_kernel _ZN7rocprim17ROCPRIM_400000_NS6detail17trampoline_kernelINS0_14default_configENS1_20scan_config_selectorIiEEZZNS1_9scan_implILNS1_25lookback_scan_determinismE0ELb0ELb1ES3_N6thrust23THRUST_200600_302600_NS6detail15normal_iteratorINS9_10device_ptrIiEEEESE_iNS9_10multipliesIiEEiEEDaPvRmT3_T4_T5_mT6_P12ihipStream_tbENKUlT_T0_E_clISt17integral_constantIbLb1EESU_EEDaSP_SQ_EUlSP_E0_NS1_11comp_targetILNS1_3genE4ELNS1_11target_archE910ELNS1_3gpuE8ELNS1_3repE0EEENS1_30default_config_static_selectorELNS0_4arch9wavefront6targetE1EEEvT1_
		.amdhsa_group_segment_fixed_size 5120
		.amdhsa_private_segment_fixed_size 0
		.amdhsa_kernarg_size 32
		.amdhsa_user_sgpr_count 6
		.amdhsa_user_sgpr_private_segment_buffer 1
		.amdhsa_user_sgpr_dispatch_ptr 0
		.amdhsa_user_sgpr_queue_ptr 0
		.amdhsa_user_sgpr_kernarg_segment_ptr 1
		.amdhsa_user_sgpr_dispatch_id 0
		.amdhsa_user_sgpr_flat_scratch_init 0
		.amdhsa_user_sgpr_kernarg_preload_length 0
		.amdhsa_user_sgpr_kernarg_preload_offset 0
		.amdhsa_user_sgpr_private_segment_size 0
		.amdhsa_uses_dynamic_stack 0
		.amdhsa_system_sgpr_private_segment_wavefront_offset 0
		.amdhsa_system_sgpr_workgroup_id_x 1
		.amdhsa_system_sgpr_workgroup_id_y 0
		.amdhsa_system_sgpr_workgroup_id_z 0
		.amdhsa_system_sgpr_workgroup_info 0
		.amdhsa_system_vgpr_workitem_id 0
		.amdhsa_next_free_vgpr 26
		.amdhsa_next_free_sgpr 26
		.amdhsa_accum_offset 28
		.amdhsa_reserve_vcc 1
		.amdhsa_reserve_flat_scratch 0
		.amdhsa_float_round_mode_32 0
		.amdhsa_float_round_mode_16_64 0
		.amdhsa_float_denorm_mode_32 3
		.amdhsa_float_denorm_mode_16_64 3
		.amdhsa_dx10_clamp 1
		.amdhsa_ieee_mode 1
		.amdhsa_fp16_overflow 0
		.amdhsa_tg_split 0
		.amdhsa_exception_fp_ieee_invalid_op 0
		.amdhsa_exception_fp_denorm_src 0
		.amdhsa_exception_fp_ieee_div_zero 0
		.amdhsa_exception_fp_ieee_overflow 0
		.amdhsa_exception_fp_ieee_underflow 0
		.amdhsa_exception_fp_ieee_inexact 0
		.amdhsa_exception_int_div_zero 0
	.end_amdhsa_kernel
	.section	.text._ZN7rocprim17ROCPRIM_400000_NS6detail17trampoline_kernelINS0_14default_configENS1_20scan_config_selectorIiEEZZNS1_9scan_implILNS1_25lookback_scan_determinismE0ELb0ELb1ES3_N6thrust23THRUST_200600_302600_NS6detail15normal_iteratorINS9_10device_ptrIiEEEESE_iNS9_10multipliesIiEEiEEDaPvRmT3_T4_T5_mT6_P12ihipStream_tbENKUlT_T0_E_clISt17integral_constantIbLb1EESU_EEDaSP_SQ_EUlSP_E0_NS1_11comp_targetILNS1_3genE4ELNS1_11target_archE910ELNS1_3gpuE8ELNS1_3repE0EEENS1_30default_config_static_selectorELNS0_4arch9wavefront6targetE1EEEvT1_,"axG",@progbits,_ZN7rocprim17ROCPRIM_400000_NS6detail17trampoline_kernelINS0_14default_configENS1_20scan_config_selectorIiEEZZNS1_9scan_implILNS1_25lookback_scan_determinismE0ELb0ELb1ES3_N6thrust23THRUST_200600_302600_NS6detail15normal_iteratorINS9_10device_ptrIiEEEESE_iNS9_10multipliesIiEEiEEDaPvRmT3_T4_T5_mT6_P12ihipStream_tbENKUlT_T0_E_clISt17integral_constantIbLb1EESU_EEDaSP_SQ_EUlSP_E0_NS1_11comp_targetILNS1_3genE4ELNS1_11target_archE910ELNS1_3gpuE8ELNS1_3repE0EEENS1_30default_config_static_selectorELNS0_4arch9wavefront6targetE1EEEvT1_,comdat
.Lfunc_end617:
	.size	_ZN7rocprim17ROCPRIM_400000_NS6detail17trampoline_kernelINS0_14default_configENS1_20scan_config_selectorIiEEZZNS1_9scan_implILNS1_25lookback_scan_determinismE0ELb0ELb1ES3_N6thrust23THRUST_200600_302600_NS6detail15normal_iteratorINS9_10device_ptrIiEEEESE_iNS9_10multipliesIiEEiEEDaPvRmT3_T4_T5_mT6_P12ihipStream_tbENKUlT_T0_E_clISt17integral_constantIbLb1EESU_EEDaSP_SQ_EUlSP_E0_NS1_11comp_targetILNS1_3genE4ELNS1_11target_archE910ELNS1_3gpuE8ELNS1_3repE0EEENS1_30default_config_static_selectorELNS0_4arch9wavefront6targetE1EEEvT1_, .Lfunc_end617-_ZN7rocprim17ROCPRIM_400000_NS6detail17trampoline_kernelINS0_14default_configENS1_20scan_config_selectorIiEEZZNS1_9scan_implILNS1_25lookback_scan_determinismE0ELb0ELb1ES3_N6thrust23THRUST_200600_302600_NS6detail15normal_iteratorINS9_10device_ptrIiEEEESE_iNS9_10multipliesIiEEiEEDaPvRmT3_T4_T5_mT6_P12ihipStream_tbENKUlT_T0_E_clISt17integral_constantIbLb1EESU_EEDaSP_SQ_EUlSP_E0_NS1_11comp_targetILNS1_3genE4ELNS1_11target_archE910ELNS1_3gpuE8ELNS1_3repE0EEENS1_30default_config_static_selectorELNS0_4arch9wavefront6targetE1EEEvT1_
                                        ; -- End function
	.section	.AMDGPU.csdata,"",@progbits
; Kernel info:
; codeLenInByte = 1748
; NumSgprs: 30
; NumVgprs: 26
; NumAgprs: 0
; TotalNumVgprs: 26
; ScratchSize: 0
; MemoryBound: 0
; FloatMode: 240
; IeeeMode: 1
; LDSByteSize: 5120 bytes/workgroup (compile time only)
; SGPRBlocks: 3
; VGPRBlocks: 3
; NumSGPRsForWavesPerEU: 30
; NumVGPRsForWavesPerEU: 26
; AccumOffset: 28
; Occupancy: 6
; WaveLimiterHint : 0
; COMPUTE_PGM_RSRC2:SCRATCH_EN: 0
; COMPUTE_PGM_RSRC2:USER_SGPR: 6
; COMPUTE_PGM_RSRC2:TRAP_HANDLER: 0
; COMPUTE_PGM_RSRC2:TGID_X_EN: 1
; COMPUTE_PGM_RSRC2:TGID_Y_EN: 0
; COMPUTE_PGM_RSRC2:TGID_Z_EN: 0
; COMPUTE_PGM_RSRC2:TIDIG_COMP_CNT: 0
; COMPUTE_PGM_RSRC3_GFX90A:ACCUM_OFFSET: 6
; COMPUTE_PGM_RSRC3_GFX90A:TG_SPLIT: 0
	.section	.text._ZN7rocprim17ROCPRIM_400000_NS6detail17trampoline_kernelINS0_14default_configENS1_20scan_config_selectorIiEEZZNS1_9scan_implILNS1_25lookback_scan_determinismE0ELb0ELb1ES3_N6thrust23THRUST_200600_302600_NS6detail15normal_iteratorINS9_10device_ptrIiEEEESE_iNS9_10multipliesIiEEiEEDaPvRmT3_T4_T5_mT6_P12ihipStream_tbENKUlT_T0_E_clISt17integral_constantIbLb1EESU_EEDaSP_SQ_EUlSP_E0_NS1_11comp_targetILNS1_3genE3ELNS1_11target_archE908ELNS1_3gpuE7ELNS1_3repE0EEENS1_30default_config_static_selectorELNS0_4arch9wavefront6targetE1EEEvT1_,"axG",@progbits,_ZN7rocprim17ROCPRIM_400000_NS6detail17trampoline_kernelINS0_14default_configENS1_20scan_config_selectorIiEEZZNS1_9scan_implILNS1_25lookback_scan_determinismE0ELb0ELb1ES3_N6thrust23THRUST_200600_302600_NS6detail15normal_iteratorINS9_10device_ptrIiEEEESE_iNS9_10multipliesIiEEiEEDaPvRmT3_T4_T5_mT6_P12ihipStream_tbENKUlT_T0_E_clISt17integral_constantIbLb1EESU_EEDaSP_SQ_EUlSP_E0_NS1_11comp_targetILNS1_3genE3ELNS1_11target_archE908ELNS1_3gpuE7ELNS1_3repE0EEENS1_30default_config_static_selectorELNS0_4arch9wavefront6targetE1EEEvT1_,comdat
	.protected	_ZN7rocprim17ROCPRIM_400000_NS6detail17trampoline_kernelINS0_14default_configENS1_20scan_config_selectorIiEEZZNS1_9scan_implILNS1_25lookback_scan_determinismE0ELb0ELb1ES3_N6thrust23THRUST_200600_302600_NS6detail15normal_iteratorINS9_10device_ptrIiEEEESE_iNS9_10multipliesIiEEiEEDaPvRmT3_T4_T5_mT6_P12ihipStream_tbENKUlT_T0_E_clISt17integral_constantIbLb1EESU_EEDaSP_SQ_EUlSP_E0_NS1_11comp_targetILNS1_3genE3ELNS1_11target_archE908ELNS1_3gpuE7ELNS1_3repE0EEENS1_30default_config_static_selectorELNS0_4arch9wavefront6targetE1EEEvT1_ ; -- Begin function _ZN7rocprim17ROCPRIM_400000_NS6detail17trampoline_kernelINS0_14default_configENS1_20scan_config_selectorIiEEZZNS1_9scan_implILNS1_25lookback_scan_determinismE0ELb0ELb1ES3_N6thrust23THRUST_200600_302600_NS6detail15normal_iteratorINS9_10device_ptrIiEEEESE_iNS9_10multipliesIiEEiEEDaPvRmT3_T4_T5_mT6_P12ihipStream_tbENKUlT_T0_E_clISt17integral_constantIbLb1EESU_EEDaSP_SQ_EUlSP_E0_NS1_11comp_targetILNS1_3genE3ELNS1_11target_archE908ELNS1_3gpuE7ELNS1_3repE0EEENS1_30default_config_static_selectorELNS0_4arch9wavefront6targetE1EEEvT1_
	.globl	_ZN7rocprim17ROCPRIM_400000_NS6detail17trampoline_kernelINS0_14default_configENS1_20scan_config_selectorIiEEZZNS1_9scan_implILNS1_25lookback_scan_determinismE0ELb0ELb1ES3_N6thrust23THRUST_200600_302600_NS6detail15normal_iteratorINS9_10device_ptrIiEEEESE_iNS9_10multipliesIiEEiEEDaPvRmT3_T4_T5_mT6_P12ihipStream_tbENKUlT_T0_E_clISt17integral_constantIbLb1EESU_EEDaSP_SQ_EUlSP_E0_NS1_11comp_targetILNS1_3genE3ELNS1_11target_archE908ELNS1_3gpuE7ELNS1_3repE0EEENS1_30default_config_static_selectorELNS0_4arch9wavefront6targetE1EEEvT1_
	.p2align	8
	.type	_ZN7rocprim17ROCPRIM_400000_NS6detail17trampoline_kernelINS0_14default_configENS1_20scan_config_selectorIiEEZZNS1_9scan_implILNS1_25lookback_scan_determinismE0ELb0ELb1ES3_N6thrust23THRUST_200600_302600_NS6detail15normal_iteratorINS9_10device_ptrIiEEEESE_iNS9_10multipliesIiEEiEEDaPvRmT3_T4_T5_mT6_P12ihipStream_tbENKUlT_T0_E_clISt17integral_constantIbLb1EESU_EEDaSP_SQ_EUlSP_E0_NS1_11comp_targetILNS1_3genE3ELNS1_11target_archE908ELNS1_3gpuE7ELNS1_3repE0EEENS1_30default_config_static_selectorELNS0_4arch9wavefront6targetE1EEEvT1_,@function
_ZN7rocprim17ROCPRIM_400000_NS6detail17trampoline_kernelINS0_14default_configENS1_20scan_config_selectorIiEEZZNS1_9scan_implILNS1_25lookback_scan_determinismE0ELb0ELb1ES3_N6thrust23THRUST_200600_302600_NS6detail15normal_iteratorINS9_10device_ptrIiEEEESE_iNS9_10multipliesIiEEiEEDaPvRmT3_T4_T5_mT6_P12ihipStream_tbENKUlT_T0_E_clISt17integral_constantIbLb1EESU_EEDaSP_SQ_EUlSP_E0_NS1_11comp_targetILNS1_3genE3ELNS1_11target_archE908ELNS1_3gpuE7ELNS1_3repE0EEENS1_30default_config_static_selectorELNS0_4arch9wavefront6targetE1EEEvT1_: ; @_ZN7rocprim17ROCPRIM_400000_NS6detail17trampoline_kernelINS0_14default_configENS1_20scan_config_selectorIiEEZZNS1_9scan_implILNS1_25lookback_scan_determinismE0ELb0ELb1ES3_N6thrust23THRUST_200600_302600_NS6detail15normal_iteratorINS9_10device_ptrIiEEEESE_iNS9_10multipliesIiEEiEEDaPvRmT3_T4_T5_mT6_P12ihipStream_tbENKUlT_T0_E_clISt17integral_constantIbLb1EESU_EEDaSP_SQ_EUlSP_E0_NS1_11comp_targetILNS1_3genE3ELNS1_11target_archE908ELNS1_3gpuE7ELNS1_3repE0EEENS1_30default_config_static_selectorELNS0_4arch9wavefront6targetE1EEEvT1_
; %bb.0:
	.section	.rodata,"a",@progbits
	.p2align	6, 0x0
	.amdhsa_kernel _ZN7rocprim17ROCPRIM_400000_NS6detail17trampoline_kernelINS0_14default_configENS1_20scan_config_selectorIiEEZZNS1_9scan_implILNS1_25lookback_scan_determinismE0ELb0ELb1ES3_N6thrust23THRUST_200600_302600_NS6detail15normal_iteratorINS9_10device_ptrIiEEEESE_iNS9_10multipliesIiEEiEEDaPvRmT3_T4_T5_mT6_P12ihipStream_tbENKUlT_T0_E_clISt17integral_constantIbLb1EESU_EEDaSP_SQ_EUlSP_E0_NS1_11comp_targetILNS1_3genE3ELNS1_11target_archE908ELNS1_3gpuE7ELNS1_3repE0EEENS1_30default_config_static_selectorELNS0_4arch9wavefront6targetE1EEEvT1_
		.amdhsa_group_segment_fixed_size 0
		.amdhsa_private_segment_fixed_size 0
		.amdhsa_kernarg_size 32
		.amdhsa_user_sgpr_count 6
		.amdhsa_user_sgpr_private_segment_buffer 1
		.amdhsa_user_sgpr_dispatch_ptr 0
		.amdhsa_user_sgpr_queue_ptr 0
		.amdhsa_user_sgpr_kernarg_segment_ptr 1
		.amdhsa_user_sgpr_dispatch_id 0
		.amdhsa_user_sgpr_flat_scratch_init 0
		.amdhsa_user_sgpr_kernarg_preload_length 0
		.amdhsa_user_sgpr_kernarg_preload_offset 0
		.amdhsa_user_sgpr_private_segment_size 0
		.amdhsa_uses_dynamic_stack 0
		.amdhsa_system_sgpr_private_segment_wavefront_offset 0
		.amdhsa_system_sgpr_workgroup_id_x 1
		.amdhsa_system_sgpr_workgroup_id_y 0
		.amdhsa_system_sgpr_workgroup_id_z 0
		.amdhsa_system_sgpr_workgroup_info 0
		.amdhsa_system_vgpr_workitem_id 0
		.amdhsa_next_free_vgpr 1
		.amdhsa_next_free_sgpr 0
		.amdhsa_accum_offset 4
		.amdhsa_reserve_vcc 0
		.amdhsa_reserve_flat_scratch 0
		.amdhsa_float_round_mode_32 0
		.amdhsa_float_round_mode_16_64 0
		.amdhsa_float_denorm_mode_32 3
		.amdhsa_float_denorm_mode_16_64 3
		.amdhsa_dx10_clamp 1
		.amdhsa_ieee_mode 1
		.amdhsa_fp16_overflow 0
		.amdhsa_tg_split 0
		.amdhsa_exception_fp_ieee_invalid_op 0
		.amdhsa_exception_fp_denorm_src 0
		.amdhsa_exception_fp_ieee_div_zero 0
		.amdhsa_exception_fp_ieee_overflow 0
		.amdhsa_exception_fp_ieee_underflow 0
		.amdhsa_exception_fp_ieee_inexact 0
		.amdhsa_exception_int_div_zero 0
	.end_amdhsa_kernel
	.section	.text._ZN7rocprim17ROCPRIM_400000_NS6detail17trampoline_kernelINS0_14default_configENS1_20scan_config_selectorIiEEZZNS1_9scan_implILNS1_25lookback_scan_determinismE0ELb0ELb1ES3_N6thrust23THRUST_200600_302600_NS6detail15normal_iteratorINS9_10device_ptrIiEEEESE_iNS9_10multipliesIiEEiEEDaPvRmT3_T4_T5_mT6_P12ihipStream_tbENKUlT_T0_E_clISt17integral_constantIbLb1EESU_EEDaSP_SQ_EUlSP_E0_NS1_11comp_targetILNS1_3genE3ELNS1_11target_archE908ELNS1_3gpuE7ELNS1_3repE0EEENS1_30default_config_static_selectorELNS0_4arch9wavefront6targetE1EEEvT1_,"axG",@progbits,_ZN7rocprim17ROCPRIM_400000_NS6detail17trampoline_kernelINS0_14default_configENS1_20scan_config_selectorIiEEZZNS1_9scan_implILNS1_25lookback_scan_determinismE0ELb0ELb1ES3_N6thrust23THRUST_200600_302600_NS6detail15normal_iteratorINS9_10device_ptrIiEEEESE_iNS9_10multipliesIiEEiEEDaPvRmT3_T4_T5_mT6_P12ihipStream_tbENKUlT_T0_E_clISt17integral_constantIbLb1EESU_EEDaSP_SQ_EUlSP_E0_NS1_11comp_targetILNS1_3genE3ELNS1_11target_archE908ELNS1_3gpuE7ELNS1_3repE0EEENS1_30default_config_static_selectorELNS0_4arch9wavefront6targetE1EEEvT1_,comdat
.Lfunc_end618:
	.size	_ZN7rocprim17ROCPRIM_400000_NS6detail17trampoline_kernelINS0_14default_configENS1_20scan_config_selectorIiEEZZNS1_9scan_implILNS1_25lookback_scan_determinismE0ELb0ELb1ES3_N6thrust23THRUST_200600_302600_NS6detail15normal_iteratorINS9_10device_ptrIiEEEESE_iNS9_10multipliesIiEEiEEDaPvRmT3_T4_T5_mT6_P12ihipStream_tbENKUlT_T0_E_clISt17integral_constantIbLb1EESU_EEDaSP_SQ_EUlSP_E0_NS1_11comp_targetILNS1_3genE3ELNS1_11target_archE908ELNS1_3gpuE7ELNS1_3repE0EEENS1_30default_config_static_selectorELNS0_4arch9wavefront6targetE1EEEvT1_, .Lfunc_end618-_ZN7rocprim17ROCPRIM_400000_NS6detail17trampoline_kernelINS0_14default_configENS1_20scan_config_selectorIiEEZZNS1_9scan_implILNS1_25lookback_scan_determinismE0ELb0ELb1ES3_N6thrust23THRUST_200600_302600_NS6detail15normal_iteratorINS9_10device_ptrIiEEEESE_iNS9_10multipliesIiEEiEEDaPvRmT3_T4_T5_mT6_P12ihipStream_tbENKUlT_T0_E_clISt17integral_constantIbLb1EESU_EEDaSP_SQ_EUlSP_E0_NS1_11comp_targetILNS1_3genE3ELNS1_11target_archE908ELNS1_3gpuE7ELNS1_3repE0EEENS1_30default_config_static_selectorELNS0_4arch9wavefront6targetE1EEEvT1_
                                        ; -- End function
	.section	.AMDGPU.csdata,"",@progbits
; Kernel info:
; codeLenInByte = 0
; NumSgprs: 4
; NumVgprs: 0
; NumAgprs: 0
; TotalNumVgprs: 0
; ScratchSize: 0
; MemoryBound: 0
; FloatMode: 240
; IeeeMode: 1
; LDSByteSize: 0 bytes/workgroup (compile time only)
; SGPRBlocks: 0
; VGPRBlocks: 0
; NumSGPRsForWavesPerEU: 4
; NumVGPRsForWavesPerEU: 1
; AccumOffset: 4
; Occupancy: 8
; WaveLimiterHint : 0
; COMPUTE_PGM_RSRC2:SCRATCH_EN: 0
; COMPUTE_PGM_RSRC2:USER_SGPR: 6
; COMPUTE_PGM_RSRC2:TRAP_HANDLER: 0
; COMPUTE_PGM_RSRC2:TGID_X_EN: 1
; COMPUTE_PGM_RSRC2:TGID_Y_EN: 0
; COMPUTE_PGM_RSRC2:TGID_Z_EN: 0
; COMPUTE_PGM_RSRC2:TIDIG_COMP_CNT: 0
; COMPUTE_PGM_RSRC3_GFX90A:ACCUM_OFFSET: 0
; COMPUTE_PGM_RSRC3_GFX90A:TG_SPLIT: 0
	.section	.text._ZN7rocprim17ROCPRIM_400000_NS6detail17trampoline_kernelINS0_14default_configENS1_20scan_config_selectorIiEEZZNS1_9scan_implILNS1_25lookback_scan_determinismE0ELb0ELb1ES3_N6thrust23THRUST_200600_302600_NS6detail15normal_iteratorINS9_10device_ptrIiEEEESE_iNS9_10multipliesIiEEiEEDaPvRmT3_T4_T5_mT6_P12ihipStream_tbENKUlT_T0_E_clISt17integral_constantIbLb1EESU_EEDaSP_SQ_EUlSP_E0_NS1_11comp_targetILNS1_3genE2ELNS1_11target_archE906ELNS1_3gpuE6ELNS1_3repE0EEENS1_30default_config_static_selectorELNS0_4arch9wavefront6targetE1EEEvT1_,"axG",@progbits,_ZN7rocprim17ROCPRIM_400000_NS6detail17trampoline_kernelINS0_14default_configENS1_20scan_config_selectorIiEEZZNS1_9scan_implILNS1_25lookback_scan_determinismE0ELb0ELb1ES3_N6thrust23THRUST_200600_302600_NS6detail15normal_iteratorINS9_10device_ptrIiEEEESE_iNS9_10multipliesIiEEiEEDaPvRmT3_T4_T5_mT6_P12ihipStream_tbENKUlT_T0_E_clISt17integral_constantIbLb1EESU_EEDaSP_SQ_EUlSP_E0_NS1_11comp_targetILNS1_3genE2ELNS1_11target_archE906ELNS1_3gpuE6ELNS1_3repE0EEENS1_30default_config_static_selectorELNS0_4arch9wavefront6targetE1EEEvT1_,comdat
	.protected	_ZN7rocprim17ROCPRIM_400000_NS6detail17trampoline_kernelINS0_14default_configENS1_20scan_config_selectorIiEEZZNS1_9scan_implILNS1_25lookback_scan_determinismE0ELb0ELb1ES3_N6thrust23THRUST_200600_302600_NS6detail15normal_iteratorINS9_10device_ptrIiEEEESE_iNS9_10multipliesIiEEiEEDaPvRmT3_T4_T5_mT6_P12ihipStream_tbENKUlT_T0_E_clISt17integral_constantIbLb1EESU_EEDaSP_SQ_EUlSP_E0_NS1_11comp_targetILNS1_3genE2ELNS1_11target_archE906ELNS1_3gpuE6ELNS1_3repE0EEENS1_30default_config_static_selectorELNS0_4arch9wavefront6targetE1EEEvT1_ ; -- Begin function _ZN7rocprim17ROCPRIM_400000_NS6detail17trampoline_kernelINS0_14default_configENS1_20scan_config_selectorIiEEZZNS1_9scan_implILNS1_25lookback_scan_determinismE0ELb0ELb1ES3_N6thrust23THRUST_200600_302600_NS6detail15normal_iteratorINS9_10device_ptrIiEEEESE_iNS9_10multipliesIiEEiEEDaPvRmT3_T4_T5_mT6_P12ihipStream_tbENKUlT_T0_E_clISt17integral_constantIbLb1EESU_EEDaSP_SQ_EUlSP_E0_NS1_11comp_targetILNS1_3genE2ELNS1_11target_archE906ELNS1_3gpuE6ELNS1_3repE0EEENS1_30default_config_static_selectorELNS0_4arch9wavefront6targetE1EEEvT1_
	.globl	_ZN7rocprim17ROCPRIM_400000_NS6detail17trampoline_kernelINS0_14default_configENS1_20scan_config_selectorIiEEZZNS1_9scan_implILNS1_25lookback_scan_determinismE0ELb0ELb1ES3_N6thrust23THRUST_200600_302600_NS6detail15normal_iteratorINS9_10device_ptrIiEEEESE_iNS9_10multipliesIiEEiEEDaPvRmT3_T4_T5_mT6_P12ihipStream_tbENKUlT_T0_E_clISt17integral_constantIbLb1EESU_EEDaSP_SQ_EUlSP_E0_NS1_11comp_targetILNS1_3genE2ELNS1_11target_archE906ELNS1_3gpuE6ELNS1_3repE0EEENS1_30default_config_static_selectorELNS0_4arch9wavefront6targetE1EEEvT1_
	.p2align	8
	.type	_ZN7rocprim17ROCPRIM_400000_NS6detail17trampoline_kernelINS0_14default_configENS1_20scan_config_selectorIiEEZZNS1_9scan_implILNS1_25lookback_scan_determinismE0ELb0ELb1ES3_N6thrust23THRUST_200600_302600_NS6detail15normal_iteratorINS9_10device_ptrIiEEEESE_iNS9_10multipliesIiEEiEEDaPvRmT3_T4_T5_mT6_P12ihipStream_tbENKUlT_T0_E_clISt17integral_constantIbLb1EESU_EEDaSP_SQ_EUlSP_E0_NS1_11comp_targetILNS1_3genE2ELNS1_11target_archE906ELNS1_3gpuE6ELNS1_3repE0EEENS1_30default_config_static_selectorELNS0_4arch9wavefront6targetE1EEEvT1_,@function
_ZN7rocprim17ROCPRIM_400000_NS6detail17trampoline_kernelINS0_14default_configENS1_20scan_config_selectorIiEEZZNS1_9scan_implILNS1_25lookback_scan_determinismE0ELb0ELb1ES3_N6thrust23THRUST_200600_302600_NS6detail15normal_iteratorINS9_10device_ptrIiEEEESE_iNS9_10multipliesIiEEiEEDaPvRmT3_T4_T5_mT6_P12ihipStream_tbENKUlT_T0_E_clISt17integral_constantIbLb1EESU_EEDaSP_SQ_EUlSP_E0_NS1_11comp_targetILNS1_3genE2ELNS1_11target_archE906ELNS1_3gpuE6ELNS1_3repE0EEENS1_30default_config_static_selectorELNS0_4arch9wavefront6targetE1EEEvT1_: ; @_ZN7rocprim17ROCPRIM_400000_NS6detail17trampoline_kernelINS0_14default_configENS1_20scan_config_selectorIiEEZZNS1_9scan_implILNS1_25lookback_scan_determinismE0ELb0ELb1ES3_N6thrust23THRUST_200600_302600_NS6detail15normal_iteratorINS9_10device_ptrIiEEEESE_iNS9_10multipliesIiEEiEEDaPvRmT3_T4_T5_mT6_P12ihipStream_tbENKUlT_T0_E_clISt17integral_constantIbLb1EESU_EEDaSP_SQ_EUlSP_E0_NS1_11comp_targetILNS1_3genE2ELNS1_11target_archE906ELNS1_3gpuE6ELNS1_3repE0EEENS1_30default_config_static_selectorELNS0_4arch9wavefront6targetE1EEEvT1_
; %bb.0:
	.section	.rodata,"a",@progbits
	.p2align	6, 0x0
	.amdhsa_kernel _ZN7rocprim17ROCPRIM_400000_NS6detail17trampoline_kernelINS0_14default_configENS1_20scan_config_selectorIiEEZZNS1_9scan_implILNS1_25lookback_scan_determinismE0ELb0ELb1ES3_N6thrust23THRUST_200600_302600_NS6detail15normal_iteratorINS9_10device_ptrIiEEEESE_iNS9_10multipliesIiEEiEEDaPvRmT3_T4_T5_mT6_P12ihipStream_tbENKUlT_T0_E_clISt17integral_constantIbLb1EESU_EEDaSP_SQ_EUlSP_E0_NS1_11comp_targetILNS1_3genE2ELNS1_11target_archE906ELNS1_3gpuE6ELNS1_3repE0EEENS1_30default_config_static_selectorELNS0_4arch9wavefront6targetE1EEEvT1_
		.amdhsa_group_segment_fixed_size 0
		.amdhsa_private_segment_fixed_size 0
		.amdhsa_kernarg_size 32
		.amdhsa_user_sgpr_count 6
		.amdhsa_user_sgpr_private_segment_buffer 1
		.amdhsa_user_sgpr_dispatch_ptr 0
		.amdhsa_user_sgpr_queue_ptr 0
		.amdhsa_user_sgpr_kernarg_segment_ptr 1
		.amdhsa_user_sgpr_dispatch_id 0
		.amdhsa_user_sgpr_flat_scratch_init 0
		.amdhsa_user_sgpr_kernarg_preload_length 0
		.amdhsa_user_sgpr_kernarg_preload_offset 0
		.amdhsa_user_sgpr_private_segment_size 0
		.amdhsa_uses_dynamic_stack 0
		.amdhsa_system_sgpr_private_segment_wavefront_offset 0
		.amdhsa_system_sgpr_workgroup_id_x 1
		.amdhsa_system_sgpr_workgroup_id_y 0
		.amdhsa_system_sgpr_workgroup_id_z 0
		.amdhsa_system_sgpr_workgroup_info 0
		.amdhsa_system_vgpr_workitem_id 0
		.amdhsa_next_free_vgpr 1
		.amdhsa_next_free_sgpr 0
		.amdhsa_accum_offset 4
		.amdhsa_reserve_vcc 0
		.amdhsa_reserve_flat_scratch 0
		.amdhsa_float_round_mode_32 0
		.amdhsa_float_round_mode_16_64 0
		.amdhsa_float_denorm_mode_32 3
		.amdhsa_float_denorm_mode_16_64 3
		.amdhsa_dx10_clamp 1
		.amdhsa_ieee_mode 1
		.amdhsa_fp16_overflow 0
		.amdhsa_tg_split 0
		.amdhsa_exception_fp_ieee_invalid_op 0
		.amdhsa_exception_fp_denorm_src 0
		.amdhsa_exception_fp_ieee_div_zero 0
		.amdhsa_exception_fp_ieee_overflow 0
		.amdhsa_exception_fp_ieee_underflow 0
		.amdhsa_exception_fp_ieee_inexact 0
		.amdhsa_exception_int_div_zero 0
	.end_amdhsa_kernel
	.section	.text._ZN7rocprim17ROCPRIM_400000_NS6detail17trampoline_kernelINS0_14default_configENS1_20scan_config_selectorIiEEZZNS1_9scan_implILNS1_25lookback_scan_determinismE0ELb0ELb1ES3_N6thrust23THRUST_200600_302600_NS6detail15normal_iteratorINS9_10device_ptrIiEEEESE_iNS9_10multipliesIiEEiEEDaPvRmT3_T4_T5_mT6_P12ihipStream_tbENKUlT_T0_E_clISt17integral_constantIbLb1EESU_EEDaSP_SQ_EUlSP_E0_NS1_11comp_targetILNS1_3genE2ELNS1_11target_archE906ELNS1_3gpuE6ELNS1_3repE0EEENS1_30default_config_static_selectorELNS0_4arch9wavefront6targetE1EEEvT1_,"axG",@progbits,_ZN7rocprim17ROCPRIM_400000_NS6detail17trampoline_kernelINS0_14default_configENS1_20scan_config_selectorIiEEZZNS1_9scan_implILNS1_25lookback_scan_determinismE0ELb0ELb1ES3_N6thrust23THRUST_200600_302600_NS6detail15normal_iteratorINS9_10device_ptrIiEEEESE_iNS9_10multipliesIiEEiEEDaPvRmT3_T4_T5_mT6_P12ihipStream_tbENKUlT_T0_E_clISt17integral_constantIbLb1EESU_EEDaSP_SQ_EUlSP_E0_NS1_11comp_targetILNS1_3genE2ELNS1_11target_archE906ELNS1_3gpuE6ELNS1_3repE0EEENS1_30default_config_static_selectorELNS0_4arch9wavefront6targetE1EEEvT1_,comdat
.Lfunc_end619:
	.size	_ZN7rocprim17ROCPRIM_400000_NS6detail17trampoline_kernelINS0_14default_configENS1_20scan_config_selectorIiEEZZNS1_9scan_implILNS1_25lookback_scan_determinismE0ELb0ELb1ES3_N6thrust23THRUST_200600_302600_NS6detail15normal_iteratorINS9_10device_ptrIiEEEESE_iNS9_10multipliesIiEEiEEDaPvRmT3_T4_T5_mT6_P12ihipStream_tbENKUlT_T0_E_clISt17integral_constantIbLb1EESU_EEDaSP_SQ_EUlSP_E0_NS1_11comp_targetILNS1_3genE2ELNS1_11target_archE906ELNS1_3gpuE6ELNS1_3repE0EEENS1_30default_config_static_selectorELNS0_4arch9wavefront6targetE1EEEvT1_, .Lfunc_end619-_ZN7rocprim17ROCPRIM_400000_NS6detail17trampoline_kernelINS0_14default_configENS1_20scan_config_selectorIiEEZZNS1_9scan_implILNS1_25lookback_scan_determinismE0ELb0ELb1ES3_N6thrust23THRUST_200600_302600_NS6detail15normal_iteratorINS9_10device_ptrIiEEEESE_iNS9_10multipliesIiEEiEEDaPvRmT3_T4_T5_mT6_P12ihipStream_tbENKUlT_T0_E_clISt17integral_constantIbLb1EESU_EEDaSP_SQ_EUlSP_E0_NS1_11comp_targetILNS1_3genE2ELNS1_11target_archE906ELNS1_3gpuE6ELNS1_3repE0EEENS1_30default_config_static_selectorELNS0_4arch9wavefront6targetE1EEEvT1_
                                        ; -- End function
	.section	.AMDGPU.csdata,"",@progbits
; Kernel info:
; codeLenInByte = 0
; NumSgprs: 4
; NumVgprs: 0
; NumAgprs: 0
; TotalNumVgprs: 0
; ScratchSize: 0
; MemoryBound: 0
; FloatMode: 240
; IeeeMode: 1
; LDSByteSize: 0 bytes/workgroup (compile time only)
; SGPRBlocks: 0
; VGPRBlocks: 0
; NumSGPRsForWavesPerEU: 4
; NumVGPRsForWavesPerEU: 1
; AccumOffset: 4
; Occupancy: 8
; WaveLimiterHint : 0
; COMPUTE_PGM_RSRC2:SCRATCH_EN: 0
; COMPUTE_PGM_RSRC2:USER_SGPR: 6
; COMPUTE_PGM_RSRC2:TRAP_HANDLER: 0
; COMPUTE_PGM_RSRC2:TGID_X_EN: 1
; COMPUTE_PGM_RSRC2:TGID_Y_EN: 0
; COMPUTE_PGM_RSRC2:TGID_Z_EN: 0
; COMPUTE_PGM_RSRC2:TIDIG_COMP_CNT: 0
; COMPUTE_PGM_RSRC3_GFX90A:ACCUM_OFFSET: 0
; COMPUTE_PGM_RSRC3_GFX90A:TG_SPLIT: 0
	.section	.text._ZN7rocprim17ROCPRIM_400000_NS6detail17trampoline_kernelINS0_14default_configENS1_20scan_config_selectorIiEEZZNS1_9scan_implILNS1_25lookback_scan_determinismE0ELb0ELb1ES3_N6thrust23THRUST_200600_302600_NS6detail15normal_iteratorINS9_10device_ptrIiEEEESE_iNS9_10multipliesIiEEiEEDaPvRmT3_T4_T5_mT6_P12ihipStream_tbENKUlT_T0_E_clISt17integral_constantIbLb1EESU_EEDaSP_SQ_EUlSP_E0_NS1_11comp_targetILNS1_3genE10ELNS1_11target_archE1201ELNS1_3gpuE5ELNS1_3repE0EEENS1_30default_config_static_selectorELNS0_4arch9wavefront6targetE1EEEvT1_,"axG",@progbits,_ZN7rocprim17ROCPRIM_400000_NS6detail17trampoline_kernelINS0_14default_configENS1_20scan_config_selectorIiEEZZNS1_9scan_implILNS1_25lookback_scan_determinismE0ELb0ELb1ES3_N6thrust23THRUST_200600_302600_NS6detail15normal_iteratorINS9_10device_ptrIiEEEESE_iNS9_10multipliesIiEEiEEDaPvRmT3_T4_T5_mT6_P12ihipStream_tbENKUlT_T0_E_clISt17integral_constantIbLb1EESU_EEDaSP_SQ_EUlSP_E0_NS1_11comp_targetILNS1_3genE10ELNS1_11target_archE1201ELNS1_3gpuE5ELNS1_3repE0EEENS1_30default_config_static_selectorELNS0_4arch9wavefront6targetE1EEEvT1_,comdat
	.protected	_ZN7rocprim17ROCPRIM_400000_NS6detail17trampoline_kernelINS0_14default_configENS1_20scan_config_selectorIiEEZZNS1_9scan_implILNS1_25lookback_scan_determinismE0ELb0ELb1ES3_N6thrust23THRUST_200600_302600_NS6detail15normal_iteratorINS9_10device_ptrIiEEEESE_iNS9_10multipliesIiEEiEEDaPvRmT3_T4_T5_mT6_P12ihipStream_tbENKUlT_T0_E_clISt17integral_constantIbLb1EESU_EEDaSP_SQ_EUlSP_E0_NS1_11comp_targetILNS1_3genE10ELNS1_11target_archE1201ELNS1_3gpuE5ELNS1_3repE0EEENS1_30default_config_static_selectorELNS0_4arch9wavefront6targetE1EEEvT1_ ; -- Begin function _ZN7rocprim17ROCPRIM_400000_NS6detail17trampoline_kernelINS0_14default_configENS1_20scan_config_selectorIiEEZZNS1_9scan_implILNS1_25lookback_scan_determinismE0ELb0ELb1ES3_N6thrust23THRUST_200600_302600_NS6detail15normal_iteratorINS9_10device_ptrIiEEEESE_iNS9_10multipliesIiEEiEEDaPvRmT3_T4_T5_mT6_P12ihipStream_tbENKUlT_T0_E_clISt17integral_constantIbLb1EESU_EEDaSP_SQ_EUlSP_E0_NS1_11comp_targetILNS1_3genE10ELNS1_11target_archE1201ELNS1_3gpuE5ELNS1_3repE0EEENS1_30default_config_static_selectorELNS0_4arch9wavefront6targetE1EEEvT1_
	.globl	_ZN7rocprim17ROCPRIM_400000_NS6detail17trampoline_kernelINS0_14default_configENS1_20scan_config_selectorIiEEZZNS1_9scan_implILNS1_25lookback_scan_determinismE0ELb0ELb1ES3_N6thrust23THRUST_200600_302600_NS6detail15normal_iteratorINS9_10device_ptrIiEEEESE_iNS9_10multipliesIiEEiEEDaPvRmT3_T4_T5_mT6_P12ihipStream_tbENKUlT_T0_E_clISt17integral_constantIbLb1EESU_EEDaSP_SQ_EUlSP_E0_NS1_11comp_targetILNS1_3genE10ELNS1_11target_archE1201ELNS1_3gpuE5ELNS1_3repE0EEENS1_30default_config_static_selectorELNS0_4arch9wavefront6targetE1EEEvT1_
	.p2align	8
	.type	_ZN7rocprim17ROCPRIM_400000_NS6detail17trampoline_kernelINS0_14default_configENS1_20scan_config_selectorIiEEZZNS1_9scan_implILNS1_25lookback_scan_determinismE0ELb0ELb1ES3_N6thrust23THRUST_200600_302600_NS6detail15normal_iteratorINS9_10device_ptrIiEEEESE_iNS9_10multipliesIiEEiEEDaPvRmT3_T4_T5_mT6_P12ihipStream_tbENKUlT_T0_E_clISt17integral_constantIbLb1EESU_EEDaSP_SQ_EUlSP_E0_NS1_11comp_targetILNS1_3genE10ELNS1_11target_archE1201ELNS1_3gpuE5ELNS1_3repE0EEENS1_30default_config_static_selectorELNS0_4arch9wavefront6targetE1EEEvT1_,@function
_ZN7rocprim17ROCPRIM_400000_NS6detail17trampoline_kernelINS0_14default_configENS1_20scan_config_selectorIiEEZZNS1_9scan_implILNS1_25lookback_scan_determinismE0ELb0ELb1ES3_N6thrust23THRUST_200600_302600_NS6detail15normal_iteratorINS9_10device_ptrIiEEEESE_iNS9_10multipliesIiEEiEEDaPvRmT3_T4_T5_mT6_P12ihipStream_tbENKUlT_T0_E_clISt17integral_constantIbLb1EESU_EEDaSP_SQ_EUlSP_E0_NS1_11comp_targetILNS1_3genE10ELNS1_11target_archE1201ELNS1_3gpuE5ELNS1_3repE0EEENS1_30default_config_static_selectorELNS0_4arch9wavefront6targetE1EEEvT1_: ; @_ZN7rocprim17ROCPRIM_400000_NS6detail17trampoline_kernelINS0_14default_configENS1_20scan_config_selectorIiEEZZNS1_9scan_implILNS1_25lookback_scan_determinismE0ELb0ELb1ES3_N6thrust23THRUST_200600_302600_NS6detail15normal_iteratorINS9_10device_ptrIiEEEESE_iNS9_10multipliesIiEEiEEDaPvRmT3_T4_T5_mT6_P12ihipStream_tbENKUlT_T0_E_clISt17integral_constantIbLb1EESU_EEDaSP_SQ_EUlSP_E0_NS1_11comp_targetILNS1_3genE10ELNS1_11target_archE1201ELNS1_3gpuE5ELNS1_3repE0EEENS1_30default_config_static_selectorELNS0_4arch9wavefront6targetE1EEEvT1_
; %bb.0:
	.section	.rodata,"a",@progbits
	.p2align	6, 0x0
	.amdhsa_kernel _ZN7rocprim17ROCPRIM_400000_NS6detail17trampoline_kernelINS0_14default_configENS1_20scan_config_selectorIiEEZZNS1_9scan_implILNS1_25lookback_scan_determinismE0ELb0ELb1ES3_N6thrust23THRUST_200600_302600_NS6detail15normal_iteratorINS9_10device_ptrIiEEEESE_iNS9_10multipliesIiEEiEEDaPvRmT3_T4_T5_mT6_P12ihipStream_tbENKUlT_T0_E_clISt17integral_constantIbLb1EESU_EEDaSP_SQ_EUlSP_E0_NS1_11comp_targetILNS1_3genE10ELNS1_11target_archE1201ELNS1_3gpuE5ELNS1_3repE0EEENS1_30default_config_static_selectorELNS0_4arch9wavefront6targetE1EEEvT1_
		.amdhsa_group_segment_fixed_size 0
		.amdhsa_private_segment_fixed_size 0
		.amdhsa_kernarg_size 32
		.amdhsa_user_sgpr_count 6
		.amdhsa_user_sgpr_private_segment_buffer 1
		.amdhsa_user_sgpr_dispatch_ptr 0
		.amdhsa_user_sgpr_queue_ptr 0
		.amdhsa_user_sgpr_kernarg_segment_ptr 1
		.amdhsa_user_sgpr_dispatch_id 0
		.amdhsa_user_sgpr_flat_scratch_init 0
		.amdhsa_user_sgpr_kernarg_preload_length 0
		.amdhsa_user_sgpr_kernarg_preload_offset 0
		.amdhsa_user_sgpr_private_segment_size 0
		.amdhsa_uses_dynamic_stack 0
		.amdhsa_system_sgpr_private_segment_wavefront_offset 0
		.amdhsa_system_sgpr_workgroup_id_x 1
		.amdhsa_system_sgpr_workgroup_id_y 0
		.amdhsa_system_sgpr_workgroup_id_z 0
		.amdhsa_system_sgpr_workgroup_info 0
		.amdhsa_system_vgpr_workitem_id 0
		.amdhsa_next_free_vgpr 1
		.amdhsa_next_free_sgpr 0
		.amdhsa_accum_offset 4
		.amdhsa_reserve_vcc 0
		.amdhsa_reserve_flat_scratch 0
		.amdhsa_float_round_mode_32 0
		.amdhsa_float_round_mode_16_64 0
		.amdhsa_float_denorm_mode_32 3
		.amdhsa_float_denorm_mode_16_64 3
		.amdhsa_dx10_clamp 1
		.amdhsa_ieee_mode 1
		.amdhsa_fp16_overflow 0
		.amdhsa_tg_split 0
		.amdhsa_exception_fp_ieee_invalid_op 0
		.amdhsa_exception_fp_denorm_src 0
		.amdhsa_exception_fp_ieee_div_zero 0
		.amdhsa_exception_fp_ieee_overflow 0
		.amdhsa_exception_fp_ieee_underflow 0
		.amdhsa_exception_fp_ieee_inexact 0
		.amdhsa_exception_int_div_zero 0
	.end_amdhsa_kernel
	.section	.text._ZN7rocprim17ROCPRIM_400000_NS6detail17trampoline_kernelINS0_14default_configENS1_20scan_config_selectorIiEEZZNS1_9scan_implILNS1_25lookback_scan_determinismE0ELb0ELb1ES3_N6thrust23THRUST_200600_302600_NS6detail15normal_iteratorINS9_10device_ptrIiEEEESE_iNS9_10multipliesIiEEiEEDaPvRmT3_T4_T5_mT6_P12ihipStream_tbENKUlT_T0_E_clISt17integral_constantIbLb1EESU_EEDaSP_SQ_EUlSP_E0_NS1_11comp_targetILNS1_3genE10ELNS1_11target_archE1201ELNS1_3gpuE5ELNS1_3repE0EEENS1_30default_config_static_selectorELNS0_4arch9wavefront6targetE1EEEvT1_,"axG",@progbits,_ZN7rocprim17ROCPRIM_400000_NS6detail17trampoline_kernelINS0_14default_configENS1_20scan_config_selectorIiEEZZNS1_9scan_implILNS1_25lookback_scan_determinismE0ELb0ELb1ES3_N6thrust23THRUST_200600_302600_NS6detail15normal_iteratorINS9_10device_ptrIiEEEESE_iNS9_10multipliesIiEEiEEDaPvRmT3_T4_T5_mT6_P12ihipStream_tbENKUlT_T0_E_clISt17integral_constantIbLb1EESU_EEDaSP_SQ_EUlSP_E0_NS1_11comp_targetILNS1_3genE10ELNS1_11target_archE1201ELNS1_3gpuE5ELNS1_3repE0EEENS1_30default_config_static_selectorELNS0_4arch9wavefront6targetE1EEEvT1_,comdat
.Lfunc_end620:
	.size	_ZN7rocprim17ROCPRIM_400000_NS6detail17trampoline_kernelINS0_14default_configENS1_20scan_config_selectorIiEEZZNS1_9scan_implILNS1_25lookback_scan_determinismE0ELb0ELb1ES3_N6thrust23THRUST_200600_302600_NS6detail15normal_iteratorINS9_10device_ptrIiEEEESE_iNS9_10multipliesIiEEiEEDaPvRmT3_T4_T5_mT6_P12ihipStream_tbENKUlT_T0_E_clISt17integral_constantIbLb1EESU_EEDaSP_SQ_EUlSP_E0_NS1_11comp_targetILNS1_3genE10ELNS1_11target_archE1201ELNS1_3gpuE5ELNS1_3repE0EEENS1_30default_config_static_selectorELNS0_4arch9wavefront6targetE1EEEvT1_, .Lfunc_end620-_ZN7rocprim17ROCPRIM_400000_NS6detail17trampoline_kernelINS0_14default_configENS1_20scan_config_selectorIiEEZZNS1_9scan_implILNS1_25lookback_scan_determinismE0ELb0ELb1ES3_N6thrust23THRUST_200600_302600_NS6detail15normal_iteratorINS9_10device_ptrIiEEEESE_iNS9_10multipliesIiEEiEEDaPvRmT3_T4_T5_mT6_P12ihipStream_tbENKUlT_T0_E_clISt17integral_constantIbLb1EESU_EEDaSP_SQ_EUlSP_E0_NS1_11comp_targetILNS1_3genE10ELNS1_11target_archE1201ELNS1_3gpuE5ELNS1_3repE0EEENS1_30default_config_static_selectorELNS0_4arch9wavefront6targetE1EEEvT1_
                                        ; -- End function
	.section	.AMDGPU.csdata,"",@progbits
; Kernel info:
; codeLenInByte = 0
; NumSgprs: 4
; NumVgprs: 0
; NumAgprs: 0
; TotalNumVgprs: 0
; ScratchSize: 0
; MemoryBound: 0
; FloatMode: 240
; IeeeMode: 1
; LDSByteSize: 0 bytes/workgroup (compile time only)
; SGPRBlocks: 0
; VGPRBlocks: 0
; NumSGPRsForWavesPerEU: 4
; NumVGPRsForWavesPerEU: 1
; AccumOffset: 4
; Occupancy: 8
; WaveLimiterHint : 0
; COMPUTE_PGM_RSRC2:SCRATCH_EN: 0
; COMPUTE_PGM_RSRC2:USER_SGPR: 6
; COMPUTE_PGM_RSRC2:TRAP_HANDLER: 0
; COMPUTE_PGM_RSRC2:TGID_X_EN: 1
; COMPUTE_PGM_RSRC2:TGID_Y_EN: 0
; COMPUTE_PGM_RSRC2:TGID_Z_EN: 0
; COMPUTE_PGM_RSRC2:TIDIG_COMP_CNT: 0
; COMPUTE_PGM_RSRC3_GFX90A:ACCUM_OFFSET: 0
; COMPUTE_PGM_RSRC3_GFX90A:TG_SPLIT: 0
	.section	.text._ZN7rocprim17ROCPRIM_400000_NS6detail17trampoline_kernelINS0_14default_configENS1_20scan_config_selectorIiEEZZNS1_9scan_implILNS1_25lookback_scan_determinismE0ELb0ELb1ES3_N6thrust23THRUST_200600_302600_NS6detail15normal_iteratorINS9_10device_ptrIiEEEESE_iNS9_10multipliesIiEEiEEDaPvRmT3_T4_T5_mT6_P12ihipStream_tbENKUlT_T0_E_clISt17integral_constantIbLb1EESU_EEDaSP_SQ_EUlSP_E0_NS1_11comp_targetILNS1_3genE10ELNS1_11target_archE1200ELNS1_3gpuE4ELNS1_3repE0EEENS1_30default_config_static_selectorELNS0_4arch9wavefront6targetE1EEEvT1_,"axG",@progbits,_ZN7rocprim17ROCPRIM_400000_NS6detail17trampoline_kernelINS0_14default_configENS1_20scan_config_selectorIiEEZZNS1_9scan_implILNS1_25lookback_scan_determinismE0ELb0ELb1ES3_N6thrust23THRUST_200600_302600_NS6detail15normal_iteratorINS9_10device_ptrIiEEEESE_iNS9_10multipliesIiEEiEEDaPvRmT3_T4_T5_mT6_P12ihipStream_tbENKUlT_T0_E_clISt17integral_constantIbLb1EESU_EEDaSP_SQ_EUlSP_E0_NS1_11comp_targetILNS1_3genE10ELNS1_11target_archE1200ELNS1_3gpuE4ELNS1_3repE0EEENS1_30default_config_static_selectorELNS0_4arch9wavefront6targetE1EEEvT1_,comdat
	.protected	_ZN7rocprim17ROCPRIM_400000_NS6detail17trampoline_kernelINS0_14default_configENS1_20scan_config_selectorIiEEZZNS1_9scan_implILNS1_25lookback_scan_determinismE0ELb0ELb1ES3_N6thrust23THRUST_200600_302600_NS6detail15normal_iteratorINS9_10device_ptrIiEEEESE_iNS9_10multipliesIiEEiEEDaPvRmT3_T4_T5_mT6_P12ihipStream_tbENKUlT_T0_E_clISt17integral_constantIbLb1EESU_EEDaSP_SQ_EUlSP_E0_NS1_11comp_targetILNS1_3genE10ELNS1_11target_archE1200ELNS1_3gpuE4ELNS1_3repE0EEENS1_30default_config_static_selectorELNS0_4arch9wavefront6targetE1EEEvT1_ ; -- Begin function _ZN7rocprim17ROCPRIM_400000_NS6detail17trampoline_kernelINS0_14default_configENS1_20scan_config_selectorIiEEZZNS1_9scan_implILNS1_25lookback_scan_determinismE0ELb0ELb1ES3_N6thrust23THRUST_200600_302600_NS6detail15normal_iteratorINS9_10device_ptrIiEEEESE_iNS9_10multipliesIiEEiEEDaPvRmT3_T4_T5_mT6_P12ihipStream_tbENKUlT_T0_E_clISt17integral_constantIbLb1EESU_EEDaSP_SQ_EUlSP_E0_NS1_11comp_targetILNS1_3genE10ELNS1_11target_archE1200ELNS1_3gpuE4ELNS1_3repE0EEENS1_30default_config_static_selectorELNS0_4arch9wavefront6targetE1EEEvT1_
	.globl	_ZN7rocprim17ROCPRIM_400000_NS6detail17trampoline_kernelINS0_14default_configENS1_20scan_config_selectorIiEEZZNS1_9scan_implILNS1_25lookback_scan_determinismE0ELb0ELb1ES3_N6thrust23THRUST_200600_302600_NS6detail15normal_iteratorINS9_10device_ptrIiEEEESE_iNS9_10multipliesIiEEiEEDaPvRmT3_T4_T5_mT6_P12ihipStream_tbENKUlT_T0_E_clISt17integral_constantIbLb1EESU_EEDaSP_SQ_EUlSP_E0_NS1_11comp_targetILNS1_3genE10ELNS1_11target_archE1200ELNS1_3gpuE4ELNS1_3repE0EEENS1_30default_config_static_selectorELNS0_4arch9wavefront6targetE1EEEvT1_
	.p2align	8
	.type	_ZN7rocprim17ROCPRIM_400000_NS6detail17trampoline_kernelINS0_14default_configENS1_20scan_config_selectorIiEEZZNS1_9scan_implILNS1_25lookback_scan_determinismE0ELb0ELb1ES3_N6thrust23THRUST_200600_302600_NS6detail15normal_iteratorINS9_10device_ptrIiEEEESE_iNS9_10multipliesIiEEiEEDaPvRmT3_T4_T5_mT6_P12ihipStream_tbENKUlT_T0_E_clISt17integral_constantIbLb1EESU_EEDaSP_SQ_EUlSP_E0_NS1_11comp_targetILNS1_3genE10ELNS1_11target_archE1200ELNS1_3gpuE4ELNS1_3repE0EEENS1_30default_config_static_selectorELNS0_4arch9wavefront6targetE1EEEvT1_,@function
_ZN7rocprim17ROCPRIM_400000_NS6detail17trampoline_kernelINS0_14default_configENS1_20scan_config_selectorIiEEZZNS1_9scan_implILNS1_25lookback_scan_determinismE0ELb0ELb1ES3_N6thrust23THRUST_200600_302600_NS6detail15normal_iteratorINS9_10device_ptrIiEEEESE_iNS9_10multipliesIiEEiEEDaPvRmT3_T4_T5_mT6_P12ihipStream_tbENKUlT_T0_E_clISt17integral_constantIbLb1EESU_EEDaSP_SQ_EUlSP_E0_NS1_11comp_targetILNS1_3genE10ELNS1_11target_archE1200ELNS1_3gpuE4ELNS1_3repE0EEENS1_30default_config_static_selectorELNS0_4arch9wavefront6targetE1EEEvT1_: ; @_ZN7rocprim17ROCPRIM_400000_NS6detail17trampoline_kernelINS0_14default_configENS1_20scan_config_selectorIiEEZZNS1_9scan_implILNS1_25lookback_scan_determinismE0ELb0ELb1ES3_N6thrust23THRUST_200600_302600_NS6detail15normal_iteratorINS9_10device_ptrIiEEEESE_iNS9_10multipliesIiEEiEEDaPvRmT3_T4_T5_mT6_P12ihipStream_tbENKUlT_T0_E_clISt17integral_constantIbLb1EESU_EEDaSP_SQ_EUlSP_E0_NS1_11comp_targetILNS1_3genE10ELNS1_11target_archE1200ELNS1_3gpuE4ELNS1_3repE0EEENS1_30default_config_static_selectorELNS0_4arch9wavefront6targetE1EEEvT1_
; %bb.0:
	.section	.rodata,"a",@progbits
	.p2align	6, 0x0
	.amdhsa_kernel _ZN7rocprim17ROCPRIM_400000_NS6detail17trampoline_kernelINS0_14default_configENS1_20scan_config_selectorIiEEZZNS1_9scan_implILNS1_25lookback_scan_determinismE0ELb0ELb1ES3_N6thrust23THRUST_200600_302600_NS6detail15normal_iteratorINS9_10device_ptrIiEEEESE_iNS9_10multipliesIiEEiEEDaPvRmT3_T4_T5_mT6_P12ihipStream_tbENKUlT_T0_E_clISt17integral_constantIbLb1EESU_EEDaSP_SQ_EUlSP_E0_NS1_11comp_targetILNS1_3genE10ELNS1_11target_archE1200ELNS1_3gpuE4ELNS1_3repE0EEENS1_30default_config_static_selectorELNS0_4arch9wavefront6targetE1EEEvT1_
		.amdhsa_group_segment_fixed_size 0
		.amdhsa_private_segment_fixed_size 0
		.amdhsa_kernarg_size 32
		.amdhsa_user_sgpr_count 6
		.amdhsa_user_sgpr_private_segment_buffer 1
		.amdhsa_user_sgpr_dispatch_ptr 0
		.amdhsa_user_sgpr_queue_ptr 0
		.amdhsa_user_sgpr_kernarg_segment_ptr 1
		.amdhsa_user_sgpr_dispatch_id 0
		.amdhsa_user_sgpr_flat_scratch_init 0
		.amdhsa_user_sgpr_kernarg_preload_length 0
		.amdhsa_user_sgpr_kernarg_preload_offset 0
		.amdhsa_user_sgpr_private_segment_size 0
		.amdhsa_uses_dynamic_stack 0
		.amdhsa_system_sgpr_private_segment_wavefront_offset 0
		.amdhsa_system_sgpr_workgroup_id_x 1
		.amdhsa_system_sgpr_workgroup_id_y 0
		.amdhsa_system_sgpr_workgroup_id_z 0
		.amdhsa_system_sgpr_workgroup_info 0
		.amdhsa_system_vgpr_workitem_id 0
		.amdhsa_next_free_vgpr 1
		.amdhsa_next_free_sgpr 0
		.amdhsa_accum_offset 4
		.amdhsa_reserve_vcc 0
		.amdhsa_reserve_flat_scratch 0
		.amdhsa_float_round_mode_32 0
		.amdhsa_float_round_mode_16_64 0
		.amdhsa_float_denorm_mode_32 3
		.amdhsa_float_denorm_mode_16_64 3
		.amdhsa_dx10_clamp 1
		.amdhsa_ieee_mode 1
		.amdhsa_fp16_overflow 0
		.amdhsa_tg_split 0
		.amdhsa_exception_fp_ieee_invalid_op 0
		.amdhsa_exception_fp_denorm_src 0
		.amdhsa_exception_fp_ieee_div_zero 0
		.amdhsa_exception_fp_ieee_overflow 0
		.amdhsa_exception_fp_ieee_underflow 0
		.amdhsa_exception_fp_ieee_inexact 0
		.amdhsa_exception_int_div_zero 0
	.end_amdhsa_kernel
	.section	.text._ZN7rocprim17ROCPRIM_400000_NS6detail17trampoline_kernelINS0_14default_configENS1_20scan_config_selectorIiEEZZNS1_9scan_implILNS1_25lookback_scan_determinismE0ELb0ELb1ES3_N6thrust23THRUST_200600_302600_NS6detail15normal_iteratorINS9_10device_ptrIiEEEESE_iNS9_10multipliesIiEEiEEDaPvRmT3_T4_T5_mT6_P12ihipStream_tbENKUlT_T0_E_clISt17integral_constantIbLb1EESU_EEDaSP_SQ_EUlSP_E0_NS1_11comp_targetILNS1_3genE10ELNS1_11target_archE1200ELNS1_3gpuE4ELNS1_3repE0EEENS1_30default_config_static_selectorELNS0_4arch9wavefront6targetE1EEEvT1_,"axG",@progbits,_ZN7rocprim17ROCPRIM_400000_NS6detail17trampoline_kernelINS0_14default_configENS1_20scan_config_selectorIiEEZZNS1_9scan_implILNS1_25lookback_scan_determinismE0ELb0ELb1ES3_N6thrust23THRUST_200600_302600_NS6detail15normal_iteratorINS9_10device_ptrIiEEEESE_iNS9_10multipliesIiEEiEEDaPvRmT3_T4_T5_mT6_P12ihipStream_tbENKUlT_T0_E_clISt17integral_constantIbLb1EESU_EEDaSP_SQ_EUlSP_E0_NS1_11comp_targetILNS1_3genE10ELNS1_11target_archE1200ELNS1_3gpuE4ELNS1_3repE0EEENS1_30default_config_static_selectorELNS0_4arch9wavefront6targetE1EEEvT1_,comdat
.Lfunc_end621:
	.size	_ZN7rocprim17ROCPRIM_400000_NS6detail17trampoline_kernelINS0_14default_configENS1_20scan_config_selectorIiEEZZNS1_9scan_implILNS1_25lookback_scan_determinismE0ELb0ELb1ES3_N6thrust23THRUST_200600_302600_NS6detail15normal_iteratorINS9_10device_ptrIiEEEESE_iNS9_10multipliesIiEEiEEDaPvRmT3_T4_T5_mT6_P12ihipStream_tbENKUlT_T0_E_clISt17integral_constantIbLb1EESU_EEDaSP_SQ_EUlSP_E0_NS1_11comp_targetILNS1_3genE10ELNS1_11target_archE1200ELNS1_3gpuE4ELNS1_3repE0EEENS1_30default_config_static_selectorELNS0_4arch9wavefront6targetE1EEEvT1_, .Lfunc_end621-_ZN7rocprim17ROCPRIM_400000_NS6detail17trampoline_kernelINS0_14default_configENS1_20scan_config_selectorIiEEZZNS1_9scan_implILNS1_25lookback_scan_determinismE0ELb0ELb1ES3_N6thrust23THRUST_200600_302600_NS6detail15normal_iteratorINS9_10device_ptrIiEEEESE_iNS9_10multipliesIiEEiEEDaPvRmT3_T4_T5_mT6_P12ihipStream_tbENKUlT_T0_E_clISt17integral_constantIbLb1EESU_EEDaSP_SQ_EUlSP_E0_NS1_11comp_targetILNS1_3genE10ELNS1_11target_archE1200ELNS1_3gpuE4ELNS1_3repE0EEENS1_30default_config_static_selectorELNS0_4arch9wavefront6targetE1EEEvT1_
                                        ; -- End function
	.section	.AMDGPU.csdata,"",@progbits
; Kernel info:
; codeLenInByte = 0
; NumSgprs: 4
; NumVgprs: 0
; NumAgprs: 0
; TotalNumVgprs: 0
; ScratchSize: 0
; MemoryBound: 0
; FloatMode: 240
; IeeeMode: 1
; LDSByteSize: 0 bytes/workgroup (compile time only)
; SGPRBlocks: 0
; VGPRBlocks: 0
; NumSGPRsForWavesPerEU: 4
; NumVGPRsForWavesPerEU: 1
; AccumOffset: 4
; Occupancy: 8
; WaveLimiterHint : 0
; COMPUTE_PGM_RSRC2:SCRATCH_EN: 0
; COMPUTE_PGM_RSRC2:USER_SGPR: 6
; COMPUTE_PGM_RSRC2:TRAP_HANDLER: 0
; COMPUTE_PGM_RSRC2:TGID_X_EN: 1
; COMPUTE_PGM_RSRC2:TGID_Y_EN: 0
; COMPUTE_PGM_RSRC2:TGID_Z_EN: 0
; COMPUTE_PGM_RSRC2:TIDIG_COMP_CNT: 0
; COMPUTE_PGM_RSRC3_GFX90A:ACCUM_OFFSET: 0
; COMPUTE_PGM_RSRC3_GFX90A:TG_SPLIT: 0
	.section	.text._ZN7rocprim17ROCPRIM_400000_NS6detail17trampoline_kernelINS0_14default_configENS1_20scan_config_selectorIiEEZZNS1_9scan_implILNS1_25lookback_scan_determinismE0ELb0ELb1ES3_N6thrust23THRUST_200600_302600_NS6detail15normal_iteratorINS9_10device_ptrIiEEEESE_iNS9_10multipliesIiEEiEEDaPvRmT3_T4_T5_mT6_P12ihipStream_tbENKUlT_T0_E_clISt17integral_constantIbLb1EESU_EEDaSP_SQ_EUlSP_E0_NS1_11comp_targetILNS1_3genE9ELNS1_11target_archE1100ELNS1_3gpuE3ELNS1_3repE0EEENS1_30default_config_static_selectorELNS0_4arch9wavefront6targetE1EEEvT1_,"axG",@progbits,_ZN7rocprim17ROCPRIM_400000_NS6detail17trampoline_kernelINS0_14default_configENS1_20scan_config_selectorIiEEZZNS1_9scan_implILNS1_25lookback_scan_determinismE0ELb0ELb1ES3_N6thrust23THRUST_200600_302600_NS6detail15normal_iteratorINS9_10device_ptrIiEEEESE_iNS9_10multipliesIiEEiEEDaPvRmT3_T4_T5_mT6_P12ihipStream_tbENKUlT_T0_E_clISt17integral_constantIbLb1EESU_EEDaSP_SQ_EUlSP_E0_NS1_11comp_targetILNS1_3genE9ELNS1_11target_archE1100ELNS1_3gpuE3ELNS1_3repE0EEENS1_30default_config_static_selectorELNS0_4arch9wavefront6targetE1EEEvT1_,comdat
	.protected	_ZN7rocprim17ROCPRIM_400000_NS6detail17trampoline_kernelINS0_14default_configENS1_20scan_config_selectorIiEEZZNS1_9scan_implILNS1_25lookback_scan_determinismE0ELb0ELb1ES3_N6thrust23THRUST_200600_302600_NS6detail15normal_iteratorINS9_10device_ptrIiEEEESE_iNS9_10multipliesIiEEiEEDaPvRmT3_T4_T5_mT6_P12ihipStream_tbENKUlT_T0_E_clISt17integral_constantIbLb1EESU_EEDaSP_SQ_EUlSP_E0_NS1_11comp_targetILNS1_3genE9ELNS1_11target_archE1100ELNS1_3gpuE3ELNS1_3repE0EEENS1_30default_config_static_selectorELNS0_4arch9wavefront6targetE1EEEvT1_ ; -- Begin function _ZN7rocprim17ROCPRIM_400000_NS6detail17trampoline_kernelINS0_14default_configENS1_20scan_config_selectorIiEEZZNS1_9scan_implILNS1_25lookback_scan_determinismE0ELb0ELb1ES3_N6thrust23THRUST_200600_302600_NS6detail15normal_iteratorINS9_10device_ptrIiEEEESE_iNS9_10multipliesIiEEiEEDaPvRmT3_T4_T5_mT6_P12ihipStream_tbENKUlT_T0_E_clISt17integral_constantIbLb1EESU_EEDaSP_SQ_EUlSP_E0_NS1_11comp_targetILNS1_3genE9ELNS1_11target_archE1100ELNS1_3gpuE3ELNS1_3repE0EEENS1_30default_config_static_selectorELNS0_4arch9wavefront6targetE1EEEvT1_
	.globl	_ZN7rocprim17ROCPRIM_400000_NS6detail17trampoline_kernelINS0_14default_configENS1_20scan_config_selectorIiEEZZNS1_9scan_implILNS1_25lookback_scan_determinismE0ELb0ELb1ES3_N6thrust23THRUST_200600_302600_NS6detail15normal_iteratorINS9_10device_ptrIiEEEESE_iNS9_10multipliesIiEEiEEDaPvRmT3_T4_T5_mT6_P12ihipStream_tbENKUlT_T0_E_clISt17integral_constantIbLb1EESU_EEDaSP_SQ_EUlSP_E0_NS1_11comp_targetILNS1_3genE9ELNS1_11target_archE1100ELNS1_3gpuE3ELNS1_3repE0EEENS1_30default_config_static_selectorELNS0_4arch9wavefront6targetE1EEEvT1_
	.p2align	8
	.type	_ZN7rocprim17ROCPRIM_400000_NS6detail17trampoline_kernelINS0_14default_configENS1_20scan_config_selectorIiEEZZNS1_9scan_implILNS1_25lookback_scan_determinismE0ELb0ELb1ES3_N6thrust23THRUST_200600_302600_NS6detail15normal_iteratorINS9_10device_ptrIiEEEESE_iNS9_10multipliesIiEEiEEDaPvRmT3_T4_T5_mT6_P12ihipStream_tbENKUlT_T0_E_clISt17integral_constantIbLb1EESU_EEDaSP_SQ_EUlSP_E0_NS1_11comp_targetILNS1_3genE9ELNS1_11target_archE1100ELNS1_3gpuE3ELNS1_3repE0EEENS1_30default_config_static_selectorELNS0_4arch9wavefront6targetE1EEEvT1_,@function
_ZN7rocprim17ROCPRIM_400000_NS6detail17trampoline_kernelINS0_14default_configENS1_20scan_config_selectorIiEEZZNS1_9scan_implILNS1_25lookback_scan_determinismE0ELb0ELb1ES3_N6thrust23THRUST_200600_302600_NS6detail15normal_iteratorINS9_10device_ptrIiEEEESE_iNS9_10multipliesIiEEiEEDaPvRmT3_T4_T5_mT6_P12ihipStream_tbENKUlT_T0_E_clISt17integral_constantIbLb1EESU_EEDaSP_SQ_EUlSP_E0_NS1_11comp_targetILNS1_3genE9ELNS1_11target_archE1100ELNS1_3gpuE3ELNS1_3repE0EEENS1_30default_config_static_selectorELNS0_4arch9wavefront6targetE1EEEvT1_: ; @_ZN7rocprim17ROCPRIM_400000_NS6detail17trampoline_kernelINS0_14default_configENS1_20scan_config_selectorIiEEZZNS1_9scan_implILNS1_25lookback_scan_determinismE0ELb0ELb1ES3_N6thrust23THRUST_200600_302600_NS6detail15normal_iteratorINS9_10device_ptrIiEEEESE_iNS9_10multipliesIiEEiEEDaPvRmT3_T4_T5_mT6_P12ihipStream_tbENKUlT_T0_E_clISt17integral_constantIbLb1EESU_EEDaSP_SQ_EUlSP_E0_NS1_11comp_targetILNS1_3genE9ELNS1_11target_archE1100ELNS1_3gpuE3ELNS1_3repE0EEENS1_30default_config_static_selectorELNS0_4arch9wavefront6targetE1EEEvT1_
; %bb.0:
	.section	.rodata,"a",@progbits
	.p2align	6, 0x0
	.amdhsa_kernel _ZN7rocprim17ROCPRIM_400000_NS6detail17trampoline_kernelINS0_14default_configENS1_20scan_config_selectorIiEEZZNS1_9scan_implILNS1_25lookback_scan_determinismE0ELb0ELb1ES3_N6thrust23THRUST_200600_302600_NS6detail15normal_iteratorINS9_10device_ptrIiEEEESE_iNS9_10multipliesIiEEiEEDaPvRmT3_T4_T5_mT6_P12ihipStream_tbENKUlT_T0_E_clISt17integral_constantIbLb1EESU_EEDaSP_SQ_EUlSP_E0_NS1_11comp_targetILNS1_3genE9ELNS1_11target_archE1100ELNS1_3gpuE3ELNS1_3repE0EEENS1_30default_config_static_selectorELNS0_4arch9wavefront6targetE1EEEvT1_
		.amdhsa_group_segment_fixed_size 0
		.amdhsa_private_segment_fixed_size 0
		.amdhsa_kernarg_size 32
		.amdhsa_user_sgpr_count 6
		.amdhsa_user_sgpr_private_segment_buffer 1
		.amdhsa_user_sgpr_dispatch_ptr 0
		.amdhsa_user_sgpr_queue_ptr 0
		.amdhsa_user_sgpr_kernarg_segment_ptr 1
		.amdhsa_user_sgpr_dispatch_id 0
		.amdhsa_user_sgpr_flat_scratch_init 0
		.amdhsa_user_sgpr_kernarg_preload_length 0
		.amdhsa_user_sgpr_kernarg_preload_offset 0
		.amdhsa_user_sgpr_private_segment_size 0
		.amdhsa_uses_dynamic_stack 0
		.amdhsa_system_sgpr_private_segment_wavefront_offset 0
		.amdhsa_system_sgpr_workgroup_id_x 1
		.amdhsa_system_sgpr_workgroup_id_y 0
		.amdhsa_system_sgpr_workgroup_id_z 0
		.amdhsa_system_sgpr_workgroup_info 0
		.amdhsa_system_vgpr_workitem_id 0
		.amdhsa_next_free_vgpr 1
		.amdhsa_next_free_sgpr 0
		.amdhsa_accum_offset 4
		.amdhsa_reserve_vcc 0
		.amdhsa_reserve_flat_scratch 0
		.amdhsa_float_round_mode_32 0
		.amdhsa_float_round_mode_16_64 0
		.amdhsa_float_denorm_mode_32 3
		.amdhsa_float_denorm_mode_16_64 3
		.amdhsa_dx10_clamp 1
		.amdhsa_ieee_mode 1
		.amdhsa_fp16_overflow 0
		.amdhsa_tg_split 0
		.amdhsa_exception_fp_ieee_invalid_op 0
		.amdhsa_exception_fp_denorm_src 0
		.amdhsa_exception_fp_ieee_div_zero 0
		.amdhsa_exception_fp_ieee_overflow 0
		.amdhsa_exception_fp_ieee_underflow 0
		.amdhsa_exception_fp_ieee_inexact 0
		.amdhsa_exception_int_div_zero 0
	.end_amdhsa_kernel
	.section	.text._ZN7rocprim17ROCPRIM_400000_NS6detail17trampoline_kernelINS0_14default_configENS1_20scan_config_selectorIiEEZZNS1_9scan_implILNS1_25lookback_scan_determinismE0ELb0ELb1ES3_N6thrust23THRUST_200600_302600_NS6detail15normal_iteratorINS9_10device_ptrIiEEEESE_iNS9_10multipliesIiEEiEEDaPvRmT3_T4_T5_mT6_P12ihipStream_tbENKUlT_T0_E_clISt17integral_constantIbLb1EESU_EEDaSP_SQ_EUlSP_E0_NS1_11comp_targetILNS1_3genE9ELNS1_11target_archE1100ELNS1_3gpuE3ELNS1_3repE0EEENS1_30default_config_static_selectorELNS0_4arch9wavefront6targetE1EEEvT1_,"axG",@progbits,_ZN7rocprim17ROCPRIM_400000_NS6detail17trampoline_kernelINS0_14default_configENS1_20scan_config_selectorIiEEZZNS1_9scan_implILNS1_25lookback_scan_determinismE0ELb0ELb1ES3_N6thrust23THRUST_200600_302600_NS6detail15normal_iteratorINS9_10device_ptrIiEEEESE_iNS9_10multipliesIiEEiEEDaPvRmT3_T4_T5_mT6_P12ihipStream_tbENKUlT_T0_E_clISt17integral_constantIbLb1EESU_EEDaSP_SQ_EUlSP_E0_NS1_11comp_targetILNS1_3genE9ELNS1_11target_archE1100ELNS1_3gpuE3ELNS1_3repE0EEENS1_30default_config_static_selectorELNS0_4arch9wavefront6targetE1EEEvT1_,comdat
.Lfunc_end622:
	.size	_ZN7rocprim17ROCPRIM_400000_NS6detail17trampoline_kernelINS0_14default_configENS1_20scan_config_selectorIiEEZZNS1_9scan_implILNS1_25lookback_scan_determinismE0ELb0ELb1ES3_N6thrust23THRUST_200600_302600_NS6detail15normal_iteratorINS9_10device_ptrIiEEEESE_iNS9_10multipliesIiEEiEEDaPvRmT3_T4_T5_mT6_P12ihipStream_tbENKUlT_T0_E_clISt17integral_constantIbLb1EESU_EEDaSP_SQ_EUlSP_E0_NS1_11comp_targetILNS1_3genE9ELNS1_11target_archE1100ELNS1_3gpuE3ELNS1_3repE0EEENS1_30default_config_static_selectorELNS0_4arch9wavefront6targetE1EEEvT1_, .Lfunc_end622-_ZN7rocprim17ROCPRIM_400000_NS6detail17trampoline_kernelINS0_14default_configENS1_20scan_config_selectorIiEEZZNS1_9scan_implILNS1_25lookback_scan_determinismE0ELb0ELb1ES3_N6thrust23THRUST_200600_302600_NS6detail15normal_iteratorINS9_10device_ptrIiEEEESE_iNS9_10multipliesIiEEiEEDaPvRmT3_T4_T5_mT6_P12ihipStream_tbENKUlT_T0_E_clISt17integral_constantIbLb1EESU_EEDaSP_SQ_EUlSP_E0_NS1_11comp_targetILNS1_3genE9ELNS1_11target_archE1100ELNS1_3gpuE3ELNS1_3repE0EEENS1_30default_config_static_selectorELNS0_4arch9wavefront6targetE1EEEvT1_
                                        ; -- End function
	.section	.AMDGPU.csdata,"",@progbits
; Kernel info:
; codeLenInByte = 0
; NumSgprs: 4
; NumVgprs: 0
; NumAgprs: 0
; TotalNumVgprs: 0
; ScratchSize: 0
; MemoryBound: 0
; FloatMode: 240
; IeeeMode: 1
; LDSByteSize: 0 bytes/workgroup (compile time only)
; SGPRBlocks: 0
; VGPRBlocks: 0
; NumSGPRsForWavesPerEU: 4
; NumVGPRsForWavesPerEU: 1
; AccumOffset: 4
; Occupancy: 8
; WaveLimiterHint : 0
; COMPUTE_PGM_RSRC2:SCRATCH_EN: 0
; COMPUTE_PGM_RSRC2:USER_SGPR: 6
; COMPUTE_PGM_RSRC2:TRAP_HANDLER: 0
; COMPUTE_PGM_RSRC2:TGID_X_EN: 1
; COMPUTE_PGM_RSRC2:TGID_Y_EN: 0
; COMPUTE_PGM_RSRC2:TGID_Z_EN: 0
; COMPUTE_PGM_RSRC2:TIDIG_COMP_CNT: 0
; COMPUTE_PGM_RSRC3_GFX90A:ACCUM_OFFSET: 0
; COMPUTE_PGM_RSRC3_GFX90A:TG_SPLIT: 0
	.section	.text._ZN7rocprim17ROCPRIM_400000_NS6detail17trampoline_kernelINS0_14default_configENS1_20scan_config_selectorIiEEZZNS1_9scan_implILNS1_25lookback_scan_determinismE0ELb0ELb1ES3_N6thrust23THRUST_200600_302600_NS6detail15normal_iteratorINS9_10device_ptrIiEEEESE_iNS9_10multipliesIiEEiEEDaPvRmT3_T4_T5_mT6_P12ihipStream_tbENKUlT_T0_E_clISt17integral_constantIbLb1EESU_EEDaSP_SQ_EUlSP_E0_NS1_11comp_targetILNS1_3genE8ELNS1_11target_archE1030ELNS1_3gpuE2ELNS1_3repE0EEENS1_30default_config_static_selectorELNS0_4arch9wavefront6targetE1EEEvT1_,"axG",@progbits,_ZN7rocprim17ROCPRIM_400000_NS6detail17trampoline_kernelINS0_14default_configENS1_20scan_config_selectorIiEEZZNS1_9scan_implILNS1_25lookback_scan_determinismE0ELb0ELb1ES3_N6thrust23THRUST_200600_302600_NS6detail15normal_iteratorINS9_10device_ptrIiEEEESE_iNS9_10multipliesIiEEiEEDaPvRmT3_T4_T5_mT6_P12ihipStream_tbENKUlT_T0_E_clISt17integral_constantIbLb1EESU_EEDaSP_SQ_EUlSP_E0_NS1_11comp_targetILNS1_3genE8ELNS1_11target_archE1030ELNS1_3gpuE2ELNS1_3repE0EEENS1_30default_config_static_selectorELNS0_4arch9wavefront6targetE1EEEvT1_,comdat
	.protected	_ZN7rocprim17ROCPRIM_400000_NS6detail17trampoline_kernelINS0_14default_configENS1_20scan_config_selectorIiEEZZNS1_9scan_implILNS1_25lookback_scan_determinismE0ELb0ELb1ES3_N6thrust23THRUST_200600_302600_NS6detail15normal_iteratorINS9_10device_ptrIiEEEESE_iNS9_10multipliesIiEEiEEDaPvRmT3_T4_T5_mT6_P12ihipStream_tbENKUlT_T0_E_clISt17integral_constantIbLb1EESU_EEDaSP_SQ_EUlSP_E0_NS1_11comp_targetILNS1_3genE8ELNS1_11target_archE1030ELNS1_3gpuE2ELNS1_3repE0EEENS1_30default_config_static_selectorELNS0_4arch9wavefront6targetE1EEEvT1_ ; -- Begin function _ZN7rocprim17ROCPRIM_400000_NS6detail17trampoline_kernelINS0_14default_configENS1_20scan_config_selectorIiEEZZNS1_9scan_implILNS1_25lookback_scan_determinismE0ELb0ELb1ES3_N6thrust23THRUST_200600_302600_NS6detail15normal_iteratorINS9_10device_ptrIiEEEESE_iNS9_10multipliesIiEEiEEDaPvRmT3_T4_T5_mT6_P12ihipStream_tbENKUlT_T0_E_clISt17integral_constantIbLb1EESU_EEDaSP_SQ_EUlSP_E0_NS1_11comp_targetILNS1_3genE8ELNS1_11target_archE1030ELNS1_3gpuE2ELNS1_3repE0EEENS1_30default_config_static_selectorELNS0_4arch9wavefront6targetE1EEEvT1_
	.globl	_ZN7rocprim17ROCPRIM_400000_NS6detail17trampoline_kernelINS0_14default_configENS1_20scan_config_selectorIiEEZZNS1_9scan_implILNS1_25lookback_scan_determinismE0ELb0ELb1ES3_N6thrust23THRUST_200600_302600_NS6detail15normal_iteratorINS9_10device_ptrIiEEEESE_iNS9_10multipliesIiEEiEEDaPvRmT3_T4_T5_mT6_P12ihipStream_tbENKUlT_T0_E_clISt17integral_constantIbLb1EESU_EEDaSP_SQ_EUlSP_E0_NS1_11comp_targetILNS1_3genE8ELNS1_11target_archE1030ELNS1_3gpuE2ELNS1_3repE0EEENS1_30default_config_static_selectorELNS0_4arch9wavefront6targetE1EEEvT1_
	.p2align	8
	.type	_ZN7rocprim17ROCPRIM_400000_NS6detail17trampoline_kernelINS0_14default_configENS1_20scan_config_selectorIiEEZZNS1_9scan_implILNS1_25lookback_scan_determinismE0ELb0ELb1ES3_N6thrust23THRUST_200600_302600_NS6detail15normal_iteratorINS9_10device_ptrIiEEEESE_iNS9_10multipliesIiEEiEEDaPvRmT3_T4_T5_mT6_P12ihipStream_tbENKUlT_T0_E_clISt17integral_constantIbLb1EESU_EEDaSP_SQ_EUlSP_E0_NS1_11comp_targetILNS1_3genE8ELNS1_11target_archE1030ELNS1_3gpuE2ELNS1_3repE0EEENS1_30default_config_static_selectorELNS0_4arch9wavefront6targetE1EEEvT1_,@function
_ZN7rocprim17ROCPRIM_400000_NS6detail17trampoline_kernelINS0_14default_configENS1_20scan_config_selectorIiEEZZNS1_9scan_implILNS1_25lookback_scan_determinismE0ELb0ELb1ES3_N6thrust23THRUST_200600_302600_NS6detail15normal_iteratorINS9_10device_ptrIiEEEESE_iNS9_10multipliesIiEEiEEDaPvRmT3_T4_T5_mT6_P12ihipStream_tbENKUlT_T0_E_clISt17integral_constantIbLb1EESU_EEDaSP_SQ_EUlSP_E0_NS1_11comp_targetILNS1_3genE8ELNS1_11target_archE1030ELNS1_3gpuE2ELNS1_3repE0EEENS1_30default_config_static_selectorELNS0_4arch9wavefront6targetE1EEEvT1_: ; @_ZN7rocprim17ROCPRIM_400000_NS6detail17trampoline_kernelINS0_14default_configENS1_20scan_config_selectorIiEEZZNS1_9scan_implILNS1_25lookback_scan_determinismE0ELb0ELb1ES3_N6thrust23THRUST_200600_302600_NS6detail15normal_iteratorINS9_10device_ptrIiEEEESE_iNS9_10multipliesIiEEiEEDaPvRmT3_T4_T5_mT6_P12ihipStream_tbENKUlT_T0_E_clISt17integral_constantIbLb1EESU_EEDaSP_SQ_EUlSP_E0_NS1_11comp_targetILNS1_3genE8ELNS1_11target_archE1030ELNS1_3gpuE2ELNS1_3repE0EEENS1_30default_config_static_selectorELNS0_4arch9wavefront6targetE1EEEvT1_
; %bb.0:
	.section	.rodata,"a",@progbits
	.p2align	6, 0x0
	.amdhsa_kernel _ZN7rocprim17ROCPRIM_400000_NS6detail17trampoline_kernelINS0_14default_configENS1_20scan_config_selectorIiEEZZNS1_9scan_implILNS1_25lookback_scan_determinismE0ELb0ELb1ES3_N6thrust23THRUST_200600_302600_NS6detail15normal_iteratorINS9_10device_ptrIiEEEESE_iNS9_10multipliesIiEEiEEDaPvRmT3_T4_T5_mT6_P12ihipStream_tbENKUlT_T0_E_clISt17integral_constantIbLb1EESU_EEDaSP_SQ_EUlSP_E0_NS1_11comp_targetILNS1_3genE8ELNS1_11target_archE1030ELNS1_3gpuE2ELNS1_3repE0EEENS1_30default_config_static_selectorELNS0_4arch9wavefront6targetE1EEEvT1_
		.amdhsa_group_segment_fixed_size 0
		.amdhsa_private_segment_fixed_size 0
		.amdhsa_kernarg_size 32
		.amdhsa_user_sgpr_count 6
		.amdhsa_user_sgpr_private_segment_buffer 1
		.amdhsa_user_sgpr_dispatch_ptr 0
		.amdhsa_user_sgpr_queue_ptr 0
		.amdhsa_user_sgpr_kernarg_segment_ptr 1
		.amdhsa_user_sgpr_dispatch_id 0
		.amdhsa_user_sgpr_flat_scratch_init 0
		.amdhsa_user_sgpr_kernarg_preload_length 0
		.amdhsa_user_sgpr_kernarg_preload_offset 0
		.amdhsa_user_sgpr_private_segment_size 0
		.amdhsa_uses_dynamic_stack 0
		.amdhsa_system_sgpr_private_segment_wavefront_offset 0
		.amdhsa_system_sgpr_workgroup_id_x 1
		.amdhsa_system_sgpr_workgroup_id_y 0
		.amdhsa_system_sgpr_workgroup_id_z 0
		.amdhsa_system_sgpr_workgroup_info 0
		.amdhsa_system_vgpr_workitem_id 0
		.amdhsa_next_free_vgpr 1
		.amdhsa_next_free_sgpr 0
		.amdhsa_accum_offset 4
		.amdhsa_reserve_vcc 0
		.amdhsa_reserve_flat_scratch 0
		.amdhsa_float_round_mode_32 0
		.amdhsa_float_round_mode_16_64 0
		.amdhsa_float_denorm_mode_32 3
		.amdhsa_float_denorm_mode_16_64 3
		.amdhsa_dx10_clamp 1
		.amdhsa_ieee_mode 1
		.amdhsa_fp16_overflow 0
		.amdhsa_tg_split 0
		.amdhsa_exception_fp_ieee_invalid_op 0
		.amdhsa_exception_fp_denorm_src 0
		.amdhsa_exception_fp_ieee_div_zero 0
		.amdhsa_exception_fp_ieee_overflow 0
		.amdhsa_exception_fp_ieee_underflow 0
		.amdhsa_exception_fp_ieee_inexact 0
		.amdhsa_exception_int_div_zero 0
	.end_amdhsa_kernel
	.section	.text._ZN7rocprim17ROCPRIM_400000_NS6detail17trampoline_kernelINS0_14default_configENS1_20scan_config_selectorIiEEZZNS1_9scan_implILNS1_25lookback_scan_determinismE0ELb0ELb1ES3_N6thrust23THRUST_200600_302600_NS6detail15normal_iteratorINS9_10device_ptrIiEEEESE_iNS9_10multipliesIiEEiEEDaPvRmT3_T4_T5_mT6_P12ihipStream_tbENKUlT_T0_E_clISt17integral_constantIbLb1EESU_EEDaSP_SQ_EUlSP_E0_NS1_11comp_targetILNS1_3genE8ELNS1_11target_archE1030ELNS1_3gpuE2ELNS1_3repE0EEENS1_30default_config_static_selectorELNS0_4arch9wavefront6targetE1EEEvT1_,"axG",@progbits,_ZN7rocprim17ROCPRIM_400000_NS6detail17trampoline_kernelINS0_14default_configENS1_20scan_config_selectorIiEEZZNS1_9scan_implILNS1_25lookback_scan_determinismE0ELb0ELb1ES3_N6thrust23THRUST_200600_302600_NS6detail15normal_iteratorINS9_10device_ptrIiEEEESE_iNS9_10multipliesIiEEiEEDaPvRmT3_T4_T5_mT6_P12ihipStream_tbENKUlT_T0_E_clISt17integral_constantIbLb1EESU_EEDaSP_SQ_EUlSP_E0_NS1_11comp_targetILNS1_3genE8ELNS1_11target_archE1030ELNS1_3gpuE2ELNS1_3repE0EEENS1_30default_config_static_selectorELNS0_4arch9wavefront6targetE1EEEvT1_,comdat
.Lfunc_end623:
	.size	_ZN7rocprim17ROCPRIM_400000_NS6detail17trampoline_kernelINS0_14default_configENS1_20scan_config_selectorIiEEZZNS1_9scan_implILNS1_25lookback_scan_determinismE0ELb0ELb1ES3_N6thrust23THRUST_200600_302600_NS6detail15normal_iteratorINS9_10device_ptrIiEEEESE_iNS9_10multipliesIiEEiEEDaPvRmT3_T4_T5_mT6_P12ihipStream_tbENKUlT_T0_E_clISt17integral_constantIbLb1EESU_EEDaSP_SQ_EUlSP_E0_NS1_11comp_targetILNS1_3genE8ELNS1_11target_archE1030ELNS1_3gpuE2ELNS1_3repE0EEENS1_30default_config_static_selectorELNS0_4arch9wavefront6targetE1EEEvT1_, .Lfunc_end623-_ZN7rocprim17ROCPRIM_400000_NS6detail17trampoline_kernelINS0_14default_configENS1_20scan_config_selectorIiEEZZNS1_9scan_implILNS1_25lookback_scan_determinismE0ELb0ELb1ES3_N6thrust23THRUST_200600_302600_NS6detail15normal_iteratorINS9_10device_ptrIiEEEESE_iNS9_10multipliesIiEEiEEDaPvRmT3_T4_T5_mT6_P12ihipStream_tbENKUlT_T0_E_clISt17integral_constantIbLb1EESU_EEDaSP_SQ_EUlSP_E0_NS1_11comp_targetILNS1_3genE8ELNS1_11target_archE1030ELNS1_3gpuE2ELNS1_3repE0EEENS1_30default_config_static_selectorELNS0_4arch9wavefront6targetE1EEEvT1_
                                        ; -- End function
	.section	.AMDGPU.csdata,"",@progbits
; Kernel info:
; codeLenInByte = 0
; NumSgprs: 4
; NumVgprs: 0
; NumAgprs: 0
; TotalNumVgprs: 0
; ScratchSize: 0
; MemoryBound: 0
; FloatMode: 240
; IeeeMode: 1
; LDSByteSize: 0 bytes/workgroup (compile time only)
; SGPRBlocks: 0
; VGPRBlocks: 0
; NumSGPRsForWavesPerEU: 4
; NumVGPRsForWavesPerEU: 1
; AccumOffset: 4
; Occupancy: 8
; WaveLimiterHint : 0
; COMPUTE_PGM_RSRC2:SCRATCH_EN: 0
; COMPUTE_PGM_RSRC2:USER_SGPR: 6
; COMPUTE_PGM_RSRC2:TRAP_HANDLER: 0
; COMPUTE_PGM_RSRC2:TGID_X_EN: 1
; COMPUTE_PGM_RSRC2:TGID_Y_EN: 0
; COMPUTE_PGM_RSRC2:TGID_Z_EN: 0
; COMPUTE_PGM_RSRC2:TIDIG_COMP_CNT: 0
; COMPUTE_PGM_RSRC3_GFX90A:ACCUM_OFFSET: 0
; COMPUTE_PGM_RSRC3_GFX90A:TG_SPLIT: 0
	.section	.text._ZN7rocprim17ROCPRIM_400000_NS6detail17trampoline_kernelINS0_14default_configENS1_20scan_config_selectorIiEEZZNS1_9scan_implILNS1_25lookback_scan_determinismE0ELb0ELb1ES3_N6thrust23THRUST_200600_302600_NS6detail15normal_iteratorINS9_10device_ptrIiEEEESE_iNS9_10multipliesIiEEiEEDaPvRmT3_T4_T5_mT6_P12ihipStream_tbENKUlT_T0_E_clISt17integral_constantIbLb1EEST_IbLb0EEEEDaSP_SQ_EUlSP_E_NS1_11comp_targetILNS1_3genE0ELNS1_11target_archE4294967295ELNS1_3gpuE0ELNS1_3repE0EEENS1_30default_config_static_selectorELNS0_4arch9wavefront6targetE1EEEvT1_,"axG",@progbits,_ZN7rocprim17ROCPRIM_400000_NS6detail17trampoline_kernelINS0_14default_configENS1_20scan_config_selectorIiEEZZNS1_9scan_implILNS1_25lookback_scan_determinismE0ELb0ELb1ES3_N6thrust23THRUST_200600_302600_NS6detail15normal_iteratorINS9_10device_ptrIiEEEESE_iNS9_10multipliesIiEEiEEDaPvRmT3_T4_T5_mT6_P12ihipStream_tbENKUlT_T0_E_clISt17integral_constantIbLb1EEST_IbLb0EEEEDaSP_SQ_EUlSP_E_NS1_11comp_targetILNS1_3genE0ELNS1_11target_archE4294967295ELNS1_3gpuE0ELNS1_3repE0EEENS1_30default_config_static_selectorELNS0_4arch9wavefront6targetE1EEEvT1_,comdat
	.protected	_ZN7rocprim17ROCPRIM_400000_NS6detail17trampoline_kernelINS0_14default_configENS1_20scan_config_selectorIiEEZZNS1_9scan_implILNS1_25lookback_scan_determinismE0ELb0ELb1ES3_N6thrust23THRUST_200600_302600_NS6detail15normal_iteratorINS9_10device_ptrIiEEEESE_iNS9_10multipliesIiEEiEEDaPvRmT3_T4_T5_mT6_P12ihipStream_tbENKUlT_T0_E_clISt17integral_constantIbLb1EEST_IbLb0EEEEDaSP_SQ_EUlSP_E_NS1_11comp_targetILNS1_3genE0ELNS1_11target_archE4294967295ELNS1_3gpuE0ELNS1_3repE0EEENS1_30default_config_static_selectorELNS0_4arch9wavefront6targetE1EEEvT1_ ; -- Begin function _ZN7rocprim17ROCPRIM_400000_NS6detail17trampoline_kernelINS0_14default_configENS1_20scan_config_selectorIiEEZZNS1_9scan_implILNS1_25lookback_scan_determinismE0ELb0ELb1ES3_N6thrust23THRUST_200600_302600_NS6detail15normal_iteratorINS9_10device_ptrIiEEEESE_iNS9_10multipliesIiEEiEEDaPvRmT3_T4_T5_mT6_P12ihipStream_tbENKUlT_T0_E_clISt17integral_constantIbLb1EEST_IbLb0EEEEDaSP_SQ_EUlSP_E_NS1_11comp_targetILNS1_3genE0ELNS1_11target_archE4294967295ELNS1_3gpuE0ELNS1_3repE0EEENS1_30default_config_static_selectorELNS0_4arch9wavefront6targetE1EEEvT1_
	.globl	_ZN7rocprim17ROCPRIM_400000_NS6detail17trampoline_kernelINS0_14default_configENS1_20scan_config_selectorIiEEZZNS1_9scan_implILNS1_25lookback_scan_determinismE0ELb0ELb1ES3_N6thrust23THRUST_200600_302600_NS6detail15normal_iteratorINS9_10device_ptrIiEEEESE_iNS9_10multipliesIiEEiEEDaPvRmT3_T4_T5_mT6_P12ihipStream_tbENKUlT_T0_E_clISt17integral_constantIbLb1EEST_IbLb0EEEEDaSP_SQ_EUlSP_E_NS1_11comp_targetILNS1_3genE0ELNS1_11target_archE4294967295ELNS1_3gpuE0ELNS1_3repE0EEENS1_30default_config_static_selectorELNS0_4arch9wavefront6targetE1EEEvT1_
	.p2align	8
	.type	_ZN7rocprim17ROCPRIM_400000_NS6detail17trampoline_kernelINS0_14default_configENS1_20scan_config_selectorIiEEZZNS1_9scan_implILNS1_25lookback_scan_determinismE0ELb0ELb1ES3_N6thrust23THRUST_200600_302600_NS6detail15normal_iteratorINS9_10device_ptrIiEEEESE_iNS9_10multipliesIiEEiEEDaPvRmT3_T4_T5_mT6_P12ihipStream_tbENKUlT_T0_E_clISt17integral_constantIbLb1EEST_IbLb0EEEEDaSP_SQ_EUlSP_E_NS1_11comp_targetILNS1_3genE0ELNS1_11target_archE4294967295ELNS1_3gpuE0ELNS1_3repE0EEENS1_30default_config_static_selectorELNS0_4arch9wavefront6targetE1EEEvT1_,@function
_ZN7rocprim17ROCPRIM_400000_NS6detail17trampoline_kernelINS0_14default_configENS1_20scan_config_selectorIiEEZZNS1_9scan_implILNS1_25lookback_scan_determinismE0ELb0ELb1ES3_N6thrust23THRUST_200600_302600_NS6detail15normal_iteratorINS9_10device_ptrIiEEEESE_iNS9_10multipliesIiEEiEEDaPvRmT3_T4_T5_mT6_P12ihipStream_tbENKUlT_T0_E_clISt17integral_constantIbLb1EEST_IbLb0EEEEDaSP_SQ_EUlSP_E_NS1_11comp_targetILNS1_3genE0ELNS1_11target_archE4294967295ELNS1_3gpuE0ELNS1_3repE0EEENS1_30default_config_static_selectorELNS0_4arch9wavefront6targetE1EEEvT1_: ; @_ZN7rocprim17ROCPRIM_400000_NS6detail17trampoline_kernelINS0_14default_configENS1_20scan_config_selectorIiEEZZNS1_9scan_implILNS1_25lookback_scan_determinismE0ELb0ELb1ES3_N6thrust23THRUST_200600_302600_NS6detail15normal_iteratorINS9_10device_ptrIiEEEESE_iNS9_10multipliesIiEEiEEDaPvRmT3_T4_T5_mT6_P12ihipStream_tbENKUlT_T0_E_clISt17integral_constantIbLb1EEST_IbLb0EEEEDaSP_SQ_EUlSP_E_NS1_11comp_targetILNS1_3genE0ELNS1_11target_archE4294967295ELNS1_3gpuE0ELNS1_3repE0EEENS1_30default_config_static_selectorELNS0_4arch9wavefront6targetE1EEEvT1_
; %bb.0:
	.section	.rodata,"a",@progbits
	.p2align	6, 0x0
	.amdhsa_kernel _ZN7rocprim17ROCPRIM_400000_NS6detail17trampoline_kernelINS0_14default_configENS1_20scan_config_selectorIiEEZZNS1_9scan_implILNS1_25lookback_scan_determinismE0ELb0ELb1ES3_N6thrust23THRUST_200600_302600_NS6detail15normal_iteratorINS9_10device_ptrIiEEEESE_iNS9_10multipliesIiEEiEEDaPvRmT3_T4_T5_mT6_P12ihipStream_tbENKUlT_T0_E_clISt17integral_constantIbLb1EEST_IbLb0EEEEDaSP_SQ_EUlSP_E_NS1_11comp_targetILNS1_3genE0ELNS1_11target_archE4294967295ELNS1_3gpuE0ELNS1_3repE0EEENS1_30default_config_static_selectorELNS0_4arch9wavefront6targetE1EEEvT1_
		.amdhsa_group_segment_fixed_size 0
		.amdhsa_private_segment_fixed_size 0
		.amdhsa_kernarg_size 96
		.amdhsa_user_sgpr_count 6
		.amdhsa_user_sgpr_private_segment_buffer 1
		.amdhsa_user_sgpr_dispatch_ptr 0
		.amdhsa_user_sgpr_queue_ptr 0
		.amdhsa_user_sgpr_kernarg_segment_ptr 1
		.amdhsa_user_sgpr_dispatch_id 0
		.amdhsa_user_sgpr_flat_scratch_init 0
		.amdhsa_user_sgpr_kernarg_preload_length 0
		.amdhsa_user_sgpr_kernarg_preload_offset 0
		.amdhsa_user_sgpr_private_segment_size 0
		.amdhsa_uses_dynamic_stack 0
		.amdhsa_system_sgpr_private_segment_wavefront_offset 0
		.amdhsa_system_sgpr_workgroup_id_x 1
		.amdhsa_system_sgpr_workgroup_id_y 0
		.amdhsa_system_sgpr_workgroup_id_z 0
		.amdhsa_system_sgpr_workgroup_info 0
		.amdhsa_system_vgpr_workitem_id 0
		.amdhsa_next_free_vgpr 1
		.amdhsa_next_free_sgpr 0
		.amdhsa_accum_offset 4
		.amdhsa_reserve_vcc 0
		.amdhsa_reserve_flat_scratch 0
		.amdhsa_float_round_mode_32 0
		.amdhsa_float_round_mode_16_64 0
		.amdhsa_float_denorm_mode_32 3
		.amdhsa_float_denorm_mode_16_64 3
		.amdhsa_dx10_clamp 1
		.amdhsa_ieee_mode 1
		.amdhsa_fp16_overflow 0
		.amdhsa_tg_split 0
		.amdhsa_exception_fp_ieee_invalid_op 0
		.amdhsa_exception_fp_denorm_src 0
		.amdhsa_exception_fp_ieee_div_zero 0
		.amdhsa_exception_fp_ieee_overflow 0
		.amdhsa_exception_fp_ieee_underflow 0
		.amdhsa_exception_fp_ieee_inexact 0
		.amdhsa_exception_int_div_zero 0
	.end_amdhsa_kernel
	.section	.text._ZN7rocprim17ROCPRIM_400000_NS6detail17trampoline_kernelINS0_14default_configENS1_20scan_config_selectorIiEEZZNS1_9scan_implILNS1_25lookback_scan_determinismE0ELb0ELb1ES3_N6thrust23THRUST_200600_302600_NS6detail15normal_iteratorINS9_10device_ptrIiEEEESE_iNS9_10multipliesIiEEiEEDaPvRmT3_T4_T5_mT6_P12ihipStream_tbENKUlT_T0_E_clISt17integral_constantIbLb1EEST_IbLb0EEEEDaSP_SQ_EUlSP_E_NS1_11comp_targetILNS1_3genE0ELNS1_11target_archE4294967295ELNS1_3gpuE0ELNS1_3repE0EEENS1_30default_config_static_selectorELNS0_4arch9wavefront6targetE1EEEvT1_,"axG",@progbits,_ZN7rocprim17ROCPRIM_400000_NS6detail17trampoline_kernelINS0_14default_configENS1_20scan_config_selectorIiEEZZNS1_9scan_implILNS1_25lookback_scan_determinismE0ELb0ELb1ES3_N6thrust23THRUST_200600_302600_NS6detail15normal_iteratorINS9_10device_ptrIiEEEESE_iNS9_10multipliesIiEEiEEDaPvRmT3_T4_T5_mT6_P12ihipStream_tbENKUlT_T0_E_clISt17integral_constantIbLb1EEST_IbLb0EEEEDaSP_SQ_EUlSP_E_NS1_11comp_targetILNS1_3genE0ELNS1_11target_archE4294967295ELNS1_3gpuE0ELNS1_3repE0EEENS1_30default_config_static_selectorELNS0_4arch9wavefront6targetE1EEEvT1_,comdat
.Lfunc_end624:
	.size	_ZN7rocprim17ROCPRIM_400000_NS6detail17trampoline_kernelINS0_14default_configENS1_20scan_config_selectorIiEEZZNS1_9scan_implILNS1_25lookback_scan_determinismE0ELb0ELb1ES3_N6thrust23THRUST_200600_302600_NS6detail15normal_iteratorINS9_10device_ptrIiEEEESE_iNS9_10multipliesIiEEiEEDaPvRmT3_T4_T5_mT6_P12ihipStream_tbENKUlT_T0_E_clISt17integral_constantIbLb1EEST_IbLb0EEEEDaSP_SQ_EUlSP_E_NS1_11comp_targetILNS1_3genE0ELNS1_11target_archE4294967295ELNS1_3gpuE0ELNS1_3repE0EEENS1_30default_config_static_selectorELNS0_4arch9wavefront6targetE1EEEvT1_, .Lfunc_end624-_ZN7rocprim17ROCPRIM_400000_NS6detail17trampoline_kernelINS0_14default_configENS1_20scan_config_selectorIiEEZZNS1_9scan_implILNS1_25lookback_scan_determinismE0ELb0ELb1ES3_N6thrust23THRUST_200600_302600_NS6detail15normal_iteratorINS9_10device_ptrIiEEEESE_iNS9_10multipliesIiEEiEEDaPvRmT3_T4_T5_mT6_P12ihipStream_tbENKUlT_T0_E_clISt17integral_constantIbLb1EEST_IbLb0EEEEDaSP_SQ_EUlSP_E_NS1_11comp_targetILNS1_3genE0ELNS1_11target_archE4294967295ELNS1_3gpuE0ELNS1_3repE0EEENS1_30default_config_static_selectorELNS0_4arch9wavefront6targetE1EEEvT1_
                                        ; -- End function
	.section	.AMDGPU.csdata,"",@progbits
; Kernel info:
; codeLenInByte = 0
; NumSgprs: 4
; NumVgprs: 0
; NumAgprs: 0
; TotalNumVgprs: 0
; ScratchSize: 0
; MemoryBound: 0
; FloatMode: 240
; IeeeMode: 1
; LDSByteSize: 0 bytes/workgroup (compile time only)
; SGPRBlocks: 0
; VGPRBlocks: 0
; NumSGPRsForWavesPerEU: 4
; NumVGPRsForWavesPerEU: 1
; AccumOffset: 4
; Occupancy: 8
; WaveLimiterHint : 0
; COMPUTE_PGM_RSRC2:SCRATCH_EN: 0
; COMPUTE_PGM_RSRC2:USER_SGPR: 6
; COMPUTE_PGM_RSRC2:TRAP_HANDLER: 0
; COMPUTE_PGM_RSRC2:TGID_X_EN: 1
; COMPUTE_PGM_RSRC2:TGID_Y_EN: 0
; COMPUTE_PGM_RSRC2:TGID_Z_EN: 0
; COMPUTE_PGM_RSRC2:TIDIG_COMP_CNT: 0
; COMPUTE_PGM_RSRC3_GFX90A:ACCUM_OFFSET: 0
; COMPUTE_PGM_RSRC3_GFX90A:TG_SPLIT: 0
	.section	.text._ZN7rocprim17ROCPRIM_400000_NS6detail17trampoline_kernelINS0_14default_configENS1_20scan_config_selectorIiEEZZNS1_9scan_implILNS1_25lookback_scan_determinismE0ELb0ELb1ES3_N6thrust23THRUST_200600_302600_NS6detail15normal_iteratorINS9_10device_ptrIiEEEESE_iNS9_10multipliesIiEEiEEDaPvRmT3_T4_T5_mT6_P12ihipStream_tbENKUlT_T0_E_clISt17integral_constantIbLb1EEST_IbLb0EEEEDaSP_SQ_EUlSP_E_NS1_11comp_targetILNS1_3genE5ELNS1_11target_archE942ELNS1_3gpuE9ELNS1_3repE0EEENS1_30default_config_static_selectorELNS0_4arch9wavefront6targetE1EEEvT1_,"axG",@progbits,_ZN7rocprim17ROCPRIM_400000_NS6detail17trampoline_kernelINS0_14default_configENS1_20scan_config_selectorIiEEZZNS1_9scan_implILNS1_25lookback_scan_determinismE0ELb0ELb1ES3_N6thrust23THRUST_200600_302600_NS6detail15normal_iteratorINS9_10device_ptrIiEEEESE_iNS9_10multipliesIiEEiEEDaPvRmT3_T4_T5_mT6_P12ihipStream_tbENKUlT_T0_E_clISt17integral_constantIbLb1EEST_IbLb0EEEEDaSP_SQ_EUlSP_E_NS1_11comp_targetILNS1_3genE5ELNS1_11target_archE942ELNS1_3gpuE9ELNS1_3repE0EEENS1_30default_config_static_selectorELNS0_4arch9wavefront6targetE1EEEvT1_,comdat
	.protected	_ZN7rocprim17ROCPRIM_400000_NS6detail17trampoline_kernelINS0_14default_configENS1_20scan_config_selectorIiEEZZNS1_9scan_implILNS1_25lookback_scan_determinismE0ELb0ELb1ES3_N6thrust23THRUST_200600_302600_NS6detail15normal_iteratorINS9_10device_ptrIiEEEESE_iNS9_10multipliesIiEEiEEDaPvRmT3_T4_T5_mT6_P12ihipStream_tbENKUlT_T0_E_clISt17integral_constantIbLb1EEST_IbLb0EEEEDaSP_SQ_EUlSP_E_NS1_11comp_targetILNS1_3genE5ELNS1_11target_archE942ELNS1_3gpuE9ELNS1_3repE0EEENS1_30default_config_static_selectorELNS0_4arch9wavefront6targetE1EEEvT1_ ; -- Begin function _ZN7rocprim17ROCPRIM_400000_NS6detail17trampoline_kernelINS0_14default_configENS1_20scan_config_selectorIiEEZZNS1_9scan_implILNS1_25lookback_scan_determinismE0ELb0ELb1ES3_N6thrust23THRUST_200600_302600_NS6detail15normal_iteratorINS9_10device_ptrIiEEEESE_iNS9_10multipliesIiEEiEEDaPvRmT3_T4_T5_mT6_P12ihipStream_tbENKUlT_T0_E_clISt17integral_constantIbLb1EEST_IbLb0EEEEDaSP_SQ_EUlSP_E_NS1_11comp_targetILNS1_3genE5ELNS1_11target_archE942ELNS1_3gpuE9ELNS1_3repE0EEENS1_30default_config_static_selectorELNS0_4arch9wavefront6targetE1EEEvT1_
	.globl	_ZN7rocprim17ROCPRIM_400000_NS6detail17trampoline_kernelINS0_14default_configENS1_20scan_config_selectorIiEEZZNS1_9scan_implILNS1_25lookback_scan_determinismE0ELb0ELb1ES3_N6thrust23THRUST_200600_302600_NS6detail15normal_iteratorINS9_10device_ptrIiEEEESE_iNS9_10multipliesIiEEiEEDaPvRmT3_T4_T5_mT6_P12ihipStream_tbENKUlT_T0_E_clISt17integral_constantIbLb1EEST_IbLb0EEEEDaSP_SQ_EUlSP_E_NS1_11comp_targetILNS1_3genE5ELNS1_11target_archE942ELNS1_3gpuE9ELNS1_3repE0EEENS1_30default_config_static_selectorELNS0_4arch9wavefront6targetE1EEEvT1_
	.p2align	8
	.type	_ZN7rocprim17ROCPRIM_400000_NS6detail17trampoline_kernelINS0_14default_configENS1_20scan_config_selectorIiEEZZNS1_9scan_implILNS1_25lookback_scan_determinismE0ELb0ELb1ES3_N6thrust23THRUST_200600_302600_NS6detail15normal_iteratorINS9_10device_ptrIiEEEESE_iNS9_10multipliesIiEEiEEDaPvRmT3_T4_T5_mT6_P12ihipStream_tbENKUlT_T0_E_clISt17integral_constantIbLb1EEST_IbLb0EEEEDaSP_SQ_EUlSP_E_NS1_11comp_targetILNS1_3genE5ELNS1_11target_archE942ELNS1_3gpuE9ELNS1_3repE0EEENS1_30default_config_static_selectorELNS0_4arch9wavefront6targetE1EEEvT1_,@function
_ZN7rocprim17ROCPRIM_400000_NS6detail17trampoline_kernelINS0_14default_configENS1_20scan_config_selectorIiEEZZNS1_9scan_implILNS1_25lookback_scan_determinismE0ELb0ELb1ES3_N6thrust23THRUST_200600_302600_NS6detail15normal_iteratorINS9_10device_ptrIiEEEESE_iNS9_10multipliesIiEEiEEDaPvRmT3_T4_T5_mT6_P12ihipStream_tbENKUlT_T0_E_clISt17integral_constantIbLb1EEST_IbLb0EEEEDaSP_SQ_EUlSP_E_NS1_11comp_targetILNS1_3genE5ELNS1_11target_archE942ELNS1_3gpuE9ELNS1_3repE0EEENS1_30default_config_static_selectorELNS0_4arch9wavefront6targetE1EEEvT1_: ; @_ZN7rocprim17ROCPRIM_400000_NS6detail17trampoline_kernelINS0_14default_configENS1_20scan_config_selectorIiEEZZNS1_9scan_implILNS1_25lookback_scan_determinismE0ELb0ELb1ES3_N6thrust23THRUST_200600_302600_NS6detail15normal_iteratorINS9_10device_ptrIiEEEESE_iNS9_10multipliesIiEEiEEDaPvRmT3_T4_T5_mT6_P12ihipStream_tbENKUlT_T0_E_clISt17integral_constantIbLb1EEST_IbLb0EEEEDaSP_SQ_EUlSP_E_NS1_11comp_targetILNS1_3genE5ELNS1_11target_archE942ELNS1_3gpuE9ELNS1_3repE0EEENS1_30default_config_static_selectorELNS0_4arch9wavefront6targetE1EEEvT1_
; %bb.0:
	.section	.rodata,"a",@progbits
	.p2align	6, 0x0
	.amdhsa_kernel _ZN7rocprim17ROCPRIM_400000_NS6detail17trampoline_kernelINS0_14default_configENS1_20scan_config_selectorIiEEZZNS1_9scan_implILNS1_25lookback_scan_determinismE0ELb0ELb1ES3_N6thrust23THRUST_200600_302600_NS6detail15normal_iteratorINS9_10device_ptrIiEEEESE_iNS9_10multipliesIiEEiEEDaPvRmT3_T4_T5_mT6_P12ihipStream_tbENKUlT_T0_E_clISt17integral_constantIbLb1EEST_IbLb0EEEEDaSP_SQ_EUlSP_E_NS1_11comp_targetILNS1_3genE5ELNS1_11target_archE942ELNS1_3gpuE9ELNS1_3repE0EEENS1_30default_config_static_selectorELNS0_4arch9wavefront6targetE1EEEvT1_
		.amdhsa_group_segment_fixed_size 0
		.amdhsa_private_segment_fixed_size 0
		.amdhsa_kernarg_size 96
		.amdhsa_user_sgpr_count 6
		.amdhsa_user_sgpr_private_segment_buffer 1
		.amdhsa_user_sgpr_dispatch_ptr 0
		.amdhsa_user_sgpr_queue_ptr 0
		.amdhsa_user_sgpr_kernarg_segment_ptr 1
		.amdhsa_user_sgpr_dispatch_id 0
		.amdhsa_user_sgpr_flat_scratch_init 0
		.amdhsa_user_sgpr_kernarg_preload_length 0
		.amdhsa_user_sgpr_kernarg_preload_offset 0
		.amdhsa_user_sgpr_private_segment_size 0
		.amdhsa_uses_dynamic_stack 0
		.amdhsa_system_sgpr_private_segment_wavefront_offset 0
		.amdhsa_system_sgpr_workgroup_id_x 1
		.amdhsa_system_sgpr_workgroup_id_y 0
		.amdhsa_system_sgpr_workgroup_id_z 0
		.amdhsa_system_sgpr_workgroup_info 0
		.amdhsa_system_vgpr_workitem_id 0
		.amdhsa_next_free_vgpr 1
		.amdhsa_next_free_sgpr 0
		.amdhsa_accum_offset 4
		.amdhsa_reserve_vcc 0
		.amdhsa_reserve_flat_scratch 0
		.amdhsa_float_round_mode_32 0
		.amdhsa_float_round_mode_16_64 0
		.amdhsa_float_denorm_mode_32 3
		.amdhsa_float_denorm_mode_16_64 3
		.amdhsa_dx10_clamp 1
		.amdhsa_ieee_mode 1
		.amdhsa_fp16_overflow 0
		.amdhsa_tg_split 0
		.amdhsa_exception_fp_ieee_invalid_op 0
		.amdhsa_exception_fp_denorm_src 0
		.amdhsa_exception_fp_ieee_div_zero 0
		.amdhsa_exception_fp_ieee_overflow 0
		.amdhsa_exception_fp_ieee_underflow 0
		.amdhsa_exception_fp_ieee_inexact 0
		.amdhsa_exception_int_div_zero 0
	.end_amdhsa_kernel
	.section	.text._ZN7rocprim17ROCPRIM_400000_NS6detail17trampoline_kernelINS0_14default_configENS1_20scan_config_selectorIiEEZZNS1_9scan_implILNS1_25lookback_scan_determinismE0ELb0ELb1ES3_N6thrust23THRUST_200600_302600_NS6detail15normal_iteratorINS9_10device_ptrIiEEEESE_iNS9_10multipliesIiEEiEEDaPvRmT3_T4_T5_mT6_P12ihipStream_tbENKUlT_T0_E_clISt17integral_constantIbLb1EEST_IbLb0EEEEDaSP_SQ_EUlSP_E_NS1_11comp_targetILNS1_3genE5ELNS1_11target_archE942ELNS1_3gpuE9ELNS1_3repE0EEENS1_30default_config_static_selectorELNS0_4arch9wavefront6targetE1EEEvT1_,"axG",@progbits,_ZN7rocprim17ROCPRIM_400000_NS6detail17trampoline_kernelINS0_14default_configENS1_20scan_config_selectorIiEEZZNS1_9scan_implILNS1_25lookback_scan_determinismE0ELb0ELb1ES3_N6thrust23THRUST_200600_302600_NS6detail15normal_iteratorINS9_10device_ptrIiEEEESE_iNS9_10multipliesIiEEiEEDaPvRmT3_T4_T5_mT6_P12ihipStream_tbENKUlT_T0_E_clISt17integral_constantIbLb1EEST_IbLb0EEEEDaSP_SQ_EUlSP_E_NS1_11comp_targetILNS1_3genE5ELNS1_11target_archE942ELNS1_3gpuE9ELNS1_3repE0EEENS1_30default_config_static_selectorELNS0_4arch9wavefront6targetE1EEEvT1_,comdat
.Lfunc_end625:
	.size	_ZN7rocprim17ROCPRIM_400000_NS6detail17trampoline_kernelINS0_14default_configENS1_20scan_config_selectorIiEEZZNS1_9scan_implILNS1_25lookback_scan_determinismE0ELb0ELb1ES3_N6thrust23THRUST_200600_302600_NS6detail15normal_iteratorINS9_10device_ptrIiEEEESE_iNS9_10multipliesIiEEiEEDaPvRmT3_T4_T5_mT6_P12ihipStream_tbENKUlT_T0_E_clISt17integral_constantIbLb1EEST_IbLb0EEEEDaSP_SQ_EUlSP_E_NS1_11comp_targetILNS1_3genE5ELNS1_11target_archE942ELNS1_3gpuE9ELNS1_3repE0EEENS1_30default_config_static_selectorELNS0_4arch9wavefront6targetE1EEEvT1_, .Lfunc_end625-_ZN7rocprim17ROCPRIM_400000_NS6detail17trampoline_kernelINS0_14default_configENS1_20scan_config_selectorIiEEZZNS1_9scan_implILNS1_25lookback_scan_determinismE0ELb0ELb1ES3_N6thrust23THRUST_200600_302600_NS6detail15normal_iteratorINS9_10device_ptrIiEEEESE_iNS9_10multipliesIiEEiEEDaPvRmT3_T4_T5_mT6_P12ihipStream_tbENKUlT_T0_E_clISt17integral_constantIbLb1EEST_IbLb0EEEEDaSP_SQ_EUlSP_E_NS1_11comp_targetILNS1_3genE5ELNS1_11target_archE942ELNS1_3gpuE9ELNS1_3repE0EEENS1_30default_config_static_selectorELNS0_4arch9wavefront6targetE1EEEvT1_
                                        ; -- End function
	.section	.AMDGPU.csdata,"",@progbits
; Kernel info:
; codeLenInByte = 0
; NumSgprs: 4
; NumVgprs: 0
; NumAgprs: 0
; TotalNumVgprs: 0
; ScratchSize: 0
; MemoryBound: 0
; FloatMode: 240
; IeeeMode: 1
; LDSByteSize: 0 bytes/workgroup (compile time only)
; SGPRBlocks: 0
; VGPRBlocks: 0
; NumSGPRsForWavesPerEU: 4
; NumVGPRsForWavesPerEU: 1
; AccumOffset: 4
; Occupancy: 8
; WaveLimiterHint : 0
; COMPUTE_PGM_RSRC2:SCRATCH_EN: 0
; COMPUTE_PGM_RSRC2:USER_SGPR: 6
; COMPUTE_PGM_RSRC2:TRAP_HANDLER: 0
; COMPUTE_PGM_RSRC2:TGID_X_EN: 1
; COMPUTE_PGM_RSRC2:TGID_Y_EN: 0
; COMPUTE_PGM_RSRC2:TGID_Z_EN: 0
; COMPUTE_PGM_RSRC2:TIDIG_COMP_CNT: 0
; COMPUTE_PGM_RSRC3_GFX90A:ACCUM_OFFSET: 0
; COMPUTE_PGM_RSRC3_GFX90A:TG_SPLIT: 0
	.section	.text._ZN7rocprim17ROCPRIM_400000_NS6detail17trampoline_kernelINS0_14default_configENS1_20scan_config_selectorIiEEZZNS1_9scan_implILNS1_25lookback_scan_determinismE0ELb0ELb1ES3_N6thrust23THRUST_200600_302600_NS6detail15normal_iteratorINS9_10device_ptrIiEEEESE_iNS9_10multipliesIiEEiEEDaPvRmT3_T4_T5_mT6_P12ihipStream_tbENKUlT_T0_E_clISt17integral_constantIbLb1EEST_IbLb0EEEEDaSP_SQ_EUlSP_E_NS1_11comp_targetILNS1_3genE4ELNS1_11target_archE910ELNS1_3gpuE8ELNS1_3repE0EEENS1_30default_config_static_selectorELNS0_4arch9wavefront6targetE1EEEvT1_,"axG",@progbits,_ZN7rocprim17ROCPRIM_400000_NS6detail17trampoline_kernelINS0_14default_configENS1_20scan_config_selectorIiEEZZNS1_9scan_implILNS1_25lookback_scan_determinismE0ELb0ELb1ES3_N6thrust23THRUST_200600_302600_NS6detail15normal_iteratorINS9_10device_ptrIiEEEESE_iNS9_10multipliesIiEEiEEDaPvRmT3_T4_T5_mT6_P12ihipStream_tbENKUlT_T0_E_clISt17integral_constantIbLb1EEST_IbLb0EEEEDaSP_SQ_EUlSP_E_NS1_11comp_targetILNS1_3genE4ELNS1_11target_archE910ELNS1_3gpuE8ELNS1_3repE0EEENS1_30default_config_static_selectorELNS0_4arch9wavefront6targetE1EEEvT1_,comdat
	.protected	_ZN7rocprim17ROCPRIM_400000_NS6detail17trampoline_kernelINS0_14default_configENS1_20scan_config_selectorIiEEZZNS1_9scan_implILNS1_25lookback_scan_determinismE0ELb0ELb1ES3_N6thrust23THRUST_200600_302600_NS6detail15normal_iteratorINS9_10device_ptrIiEEEESE_iNS9_10multipliesIiEEiEEDaPvRmT3_T4_T5_mT6_P12ihipStream_tbENKUlT_T0_E_clISt17integral_constantIbLb1EEST_IbLb0EEEEDaSP_SQ_EUlSP_E_NS1_11comp_targetILNS1_3genE4ELNS1_11target_archE910ELNS1_3gpuE8ELNS1_3repE0EEENS1_30default_config_static_selectorELNS0_4arch9wavefront6targetE1EEEvT1_ ; -- Begin function _ZN7rocprim17ROCPRIM_400000_NS6detail17trampoline_kernelINS0_14default_configENS1_20scan_config_selectorIiEEZZNS1_9scan_implILNS1_25lookback_scan_determinismE0ELb0ELb1ES3_N6thrust23THRUST_200600_302600_NS6detail15normal_iteratorINS9_10device_ptrIiEEEESE_iNS9_10multipliesIiEEiEEDaPvRmT3_T4_T5_mT6_P12ihipStream_tbENKUlT_T0_E_clISt17integral_constantIbLb1EEST_IbLb0EEEEDaSP_SQ_EUlSP_E_NS1_11comp_targetILNS1_3genE4ELNS1_11target_archE910ELNS1_3gpuE8ELNS1_3repE0EEENS1_30default_config_static_selectorELNS0_4arch9wavefront6targetE1EEEvT1_
	.globl	_ZN7rocprim17ROCPRIM_400000_NS6detail17trampoline_kernelINS0_14default_configENS1_20scan_config_selectorIiEEZZNS1_9scan_implILNS1_25lookback_scan_determinismE0ELb0ELb1ES3_N6thrust23THRUST_200600_302600_NS6detail15normal_iteratorINS9_10device_ptrIiEEEESE_iNS9_10multipliesIiEEiEEDaPvRmT3_T4_T5_mT6_P12ihipStream_tbENKUlT_T0_E_clISt17integral_constantIbLb1EEST_IbLb0EEEEDaSP_SQ_EUlSP_E_NS1_11comp_targetILNS1_3genE4ELNS1_11target_archE910ELNS1_3gpuE8ELNS1_3repE0EEENS1_30default_config_static_selectorELNS0_4arch9wavefront6targetE1EEEvT1_
	.p2align	8
	.type	_ZN7rocprim17ROCPRIM_400000_NS6detail17trampoline_kernelINS0_14default_configENS1_20scan_config_selectorIiEEZZNS1_9scan_implILNS1_25lookback_scan_determinismE0ELb0ELb1ES3_N6thrust23THRUST_200600_302600_NS6detail15normal_iteratorINS9_10device_ptrIiEEEESE_iNS9_10multipliesIiEEiEEDaPvRmT3_T4_T5_mT6_P12ihipStream_tbENKUlT_T0_E_clISt17integral_constantIbLb1EEST_IbLb0EEEEDaSP_SQ_EUlSP_E_NS1_11comp_targetILNS1_3genE4ELNS1_11target_archE910ELNS1_3gpuE8ELNS1_3repE0EEENS1_30default_config_static_selectorELNS0_4arch9wavefront6targetE1EEEvT1_,@function
_ZN7rocprim17ROCPRIM_400000_NS6detail17trampoline_kernelINS0_14default_configENS1_20scan_config_selectorIiEEZZNS1_9scan_implILNS1_25lookback_scan_determinismE0ELb0ELb1ES3_N6thrust23THRUST_200600_302600_NS6detail15normal_iteratorINS9_10device_ptrIiEEEESE_iNS9_10multipliesIiEEiEEDaPvRmT3_T4_T5_mT6_P12ihipStream_tbENKUlT_T0_E_clISt17integral_constantIbLb1EEST_IbLb0EEEEDaSP_SQ_EUlSP_E_NS1_11comp_targetILNS1_3genE4ELNS1_11target_archE910ELNS1_3gpuE8ELNS1_3repE0EEENS1_30default_config_static_selectorELNS0_4arch9wavefront6targetE1EEEvT1_: ; @_ZN7rocprim17ROCPRIM_400000_NS6detail17trampoline_kernelINS0_14default_configENS1_20scan_config_selectorIiEEZZNS1_9scan_implILNS1_25lookback_scan_determinismE0ELb0ELb1ES3_N6thrust23THRUST_200600_302600_NS6detail15normal_iteratorINS9_10device_ptrIiEEEESE_iNS9_10multipliesIiEEiEEDaPvRmT3_T4_T5_mT6_P12ihipStream_tbENKUlT_T0_E_clISt17integral_constantIbLb1EEST_IbLb0EEEEDaSP_SQ_EUlSP_E_NS1_11comp_targetILNS1_3genE4ELNS1_11target_archE910ELNS1_3gpuE8ELNS1_3repE0EEENS1_30default_config_static_selectorELNS0_4arch9wavefront6targetE1EEEvT1_
; %bb.0:
	s_load_dwordx8 s[8:15], s[4:5], 0x0
	s_load_dword s1, s[4:5], 0x30
	s_mul_i32 s0, s6, 0x500
	v_lshlrev_b32_e32 v30, 2, v0
	s_waitcnt lgkmcnt(0)
	s_lshl_b64 s[10:11], s[10:11], 2
	s_add_u32 s2, s8, s10
	s_addc_u32 s3, s9, s11
	s_add_i32 s7, s1, -1
	s_mul_i32 s8, s7, 0x500
	s_sub_u32 s26, s14, s8
	s_subb_u32 s27, s15, 0
	s_mov_b32 s1, 0
	s_cmp_lg_u32 s6, s7
	s_cselect_b64 s[8:9], -1, 0
	s_lshl_b64 s[14:15], s[0:1], 2
	s_add_u32 s2, s2, s14
	s_addc_u32 s3, s3, s15
	s_mov_b64 s[0:1], -1
	s_and_b64 vcc, exec, s[8:9]
	s_cbranch_vccz .LBB626_2
; %bb.1:
	v_mov_b32_e32 v1, s3
	v_add_co_u32_e32 v2, vcc, s2, v30
	v_addc_co_u32_e32 v3, vcc, 0, v1, vcc
	flat_load_dword v1, v[2:3]
	flat_load_dword v4, v[2:3] offset:512
	flat_load_dword v5, v[2:3] offset:1024
	;; [unrolled: 1-line block ×7, first 2 shown]
	v_add_co_u32_e32 v2, vcc, 0x1000, v2
	v_addc_co_u32_e32 v3, vcc, 0, v3, vcc
	flat_load_dword v11, v[2:3]
	flat_load_dword v12, v[2:3] offset:512
	s_mov_b64 s[0:1], 0
	s_waitcnt vmcnt(0) lgkmcnt(0)
	ds_write2st64_b32 v30, v1, v4 offset1:2
	ds_write2st64_b32 v30, v5, v6 offset0:4 offset1:6
	ds_write2st64_b32 v30, v7, v8 offset0:8 offset1:10
	;; [unrolled: 1-line block ×4, first 2 shown]
	s_waitcnt lgkmcnt(0)
	s_barrier
.LBB626_2:
	s_load_dwordx2 s[24:25], s[4:5], 0x28
	s_andn2_b64 vcc, exec, s[0:1]
	v_cmp_gt_u32_e64 s[0:1], s26, v0
	s_cbranch_vccnz .LBB626_24
; %bb.3:
	v_pk_mov_b32 v[2:3], s[2:3], s[2:3] op_sel:[0,1]
	flat_load_dword v1, v[2:3]
	s_waitcnt vmcnt(0) lgkmcnt(0)
	v_mov_b32_e32 v2, v1
	v_mov_b32_e32 v3, v1
	;; [unrolled: 1-line block ×9, first 2 shown]
	s_and_saveexec_b64 s[16:17], s[0:1]
	s_cbranch_execz .LBB626_5
; %bb.4:
	v_mov_b32_e32 v11, s3
	v_add_co_u32_e32 v10, vcc, s2, v30
	v_addc_co_u32_e32 v11, vcc, 0, v11, vcc
	flat_load_dword v10, v[10:11]
.LBB626_5:
	s_or_b64 exec, exec, s[16:17]
	v_or_b32_e32 v11, 0x80, v0
	v_cmp_gt_u32_e32 vcc, s26, v11
	s_and_saveexec_b64 s[0:1], vcc
	s_cbranch_execz .LBB626_7
; %bb.6:
	v_mov_b32_e32 v1, s3
	v_add_co_u32_e32 v12, vcc, s2, v30
	v_addc_co_u32_e32 v13, vcc, 0, v1, vcc
	flat_load_dword v1, v[12:13] offset:512
.LBB626_7:
	s_or_b64 exec, exec, s[0:1]
	v_or_b32_e32 v11, 0x100, v0
	v_cmp_gt_u32_e32 vcc, s26, v11
	s_and_saveexec_b64 s[0:1], vcc
	s_cbranch_execz .LBB626_9
; %bb.8:
	v_mov_b32_e32 v2, s3
	v_add_co_u32_e32 v12, vcc, s2, v30
	v_addc_co_u32_e32 v13, vcc, 0, v2, vcc
	flat_load_dword v2, v[12:13] offset:1024
.LBB626_9:
	;; [unrolled: 11-line block ×7, first 2 shown]
	s_or_b64 exec, exec, s[0:1]
	v_or_b32_e32 v11, 0x400, v0
	v_cmp_gt_u32_e32 vcc, s26, v11
	s_and_saveexec_b64 s[0:1], vcc
	s_cbranch_execz .LBB626_21
; %bb.20:
	v_lshlrev_b32_e32 v8, 2, v11
	v_mov_b32_e32 v11, s3
	v_add_co_u32_e32 v12, vcc, s2, v8
	v_addc_co_u32_e32 v13, vcc, 0, v11, vcc
	flat_load_dword v8, v[12:13]
.LBB626_21:
	s_or_b64 exec, exec, s[0:1]
	v_or_b32_e32 v11, 0x480, v0
	v_cmp_gt_u32_e32 vcc, s26, v11
	s_and_saveexec_b64 s[0:1], vcc
	s_cbranch_execz .LBB626_23
; %bb.22:
	v_lshlrev_b32_e32 v9, 2, v11
	v_mov_b32_e32 v11, s3
	v_add_co_u32_e32 v12, vcc, s2, v9
	v_addc_co_u32_e32 v13, vcc, 0, v11, vcc
	flat_load_dword v9, v[12:13]
.LBB626_23:
	s_or_b64 exec, exec, s[0:1]
	s_waitcnt vmcnt(0) lgkmcnt(0)
	ds_write2st64_b32 v30, v10, v1 offset1:2
	ds_write2st64_b32 v30, v2, v3 offset0:4 offset1:6
	ds_write2st64_b32 v30, v4, v5 offset0:8 offset1:10
	;; [unrolled: 1-line block ×4, first 2 shown]
	s_waitcnt lgkmcnt(0)
	s_barrier
.LBB626_24:
	v_mul_u32_u24_e32 v31, 10, v0
	v_lshlrev_b32_e32 v1, 2, v31
	s_waitcnt lgkmcnt(0)
	ds_read2_b64 v[2:5], v1 offset1:1
	ds_read2_b64 v[24:27], v1 offset0:2 offset1:3
	ds_read_b64 v[28:29], v1 offset:32
	s_cmp_lg_u32 s6, 0
	v_lshrrev_b32_e32 v22, 5, v0
	v_cmp_gt_u32_e32 vcc, 64, v0
	s_waitcnt lgkmcnt(0)
	s_barrier
	s_cbranch_scc0 .LBB626_53
; %bb.25:
	v_mul_lo_u32 v6, v3, v2
	v_mul_lo_u32 v6, v6, v4
	;; [unrolled: 1-line block ×9, first 2 shown]
	v_add_lshl_u32 v7, v22, v0, 2
	ds_write_b32 v7, v6
	s_waitcnt lgkmcnt(0)
	s_barrier
	s_and_saveexec_b64 s[2:3], vcc
	s_cbranch_execz .LBB626_27
; %bb.26:
	v_lshlrev_b32_e32 v7, 1, v0
	v_lshrrev_b32_e32 v8, 4, v0
	v_add_lshl_u32 v7, v8, v7, 2
	ds_read2_b32 v[8:9], v7 offset1:1
	v_mbcnt_lo_u32_b32 v10, -1, 0
	v_mbcnt_hi_u32_b32 v10, -1, v10
	v_and_b32_e32 v11, 15, v10
	v_cmp_ne_u32_e64 s[0:1], 0, v11
	s_waitcnt lgkmcnt(0)
	v_mul_lo_u32 v9, v9, v8
	; wave barrier
	s_nop 1
	v_mov_b32_dpp v12, v9 row_shr:1 row_mask:0xf bank_mask:0xf
	v_cndmask_b32_e64 v12, 1, v12, s[0:1]
	v_mul_lo_u32 v9, v12, v9
	v_cmp_lt_u32_e64 s[0:1], 1, v11
	s_nop 0
	v_mov_b32_dpp v12, v9 row_shr:2 row_mask:0xf bank_mask:0xf
	v_cndmask_b32_e64 v12, 1, v12, s[0:1]
	v_mul_lo_u32 v9, v9, v12
	v_cmp_lt_u32_e64 s[0:1], 3, v11
	;; [unrolled: 5-line block ×3, first 2 shown]
	s_nop 0
	v_mov_b32_dpp v12, v9 row_shr:8 row_mask:0xf bank_mask:0xf
	v_cndmask_b32_e64 v11, 1, v12, s[0:1]
	v_mul_lo_u32 v9, v9, v11
	v_and_b32_e32 v12, 16, v10
	v_cmp_ne_u32_e64 s[0:1], 0, v12
	v_mov_b32_dpp v11, v9 row_bcast:15 row_mask:0xf bank_mask:0xf
	v_cndmask_b32_e64 v11, 1, v11, s[0:1]
	v_mul_lo_u32 v9, v9, v11
	v_cmp_lt_u32_e64 s[0:1], 31, v10
	v_and_b32_e32 v12, 64, v10
	v_mov_b32_dpp v11, v9 row_bcast:31 row_mask:0xf bank_mask:0xf
	v_cndmask_b32_e64 v11, 1, v11, s[0:1]
	v_mul_lo_u32 v9, v9, v11
	v_add_u32_e32 v11, -1, v10
	v_cmp_lt_i32_e64 s[0:1], v11, v12
	v_cndmask_b32_e64 v10, v11, v10, s[0:1]
	v_lshlrev_b32_e32 v10, 2, v10
	ds_bpermute_b32 v9, v10, v9
	v_cmp_eq_u32_e64 s[0:1], 0, v0
	s_waitcnt lgkmcnt(0)
	v_mul_lo_u32 v8, v9, v8
	v_cndmask_b32_e64 v6, v8, v6, s[0:1]
	ds_write_b32 v7, v6
	; wave barrier
	ds_read_b32 v8, v7 offset:4
	s_waitcnt lgkmcnt(0)
	v_mul_lo_u32 v6, v8, v6
	ds_write_b32 v7, v6 offset:4
.LBB626_27:
	s_or_b64 exec, exec, s[2:3]
	v_cmp_eq_u32_e64 s[0:1], 0, v0
	v_cmp_ne_u32_e64 s[2:3], 0, v0
	v_mov_b32_e32 v16, 1
	s_waitcnt lgkmcnt(0)
	s_barrier
	s_and_saveexec_b64 s[16:17], s[2:3]
	s_cbranch_execz .LBB626_29
; %bb.28:
	v_add_u32_e32 v6, -1, v0
	v_lshrrev_b32_e32 v7, 5, v6
	v_add_lshl_u32 v6, v7, v6, 2
	ds_read_b32 v16, v6
.LBB626_29:
	s_or_b64 exec, exec, s[16:17]
	s_and_saveexec_b64 s[16:17], vcc
	s_cbranch_execz .LBB626_52
; %bb.30:
	v_mov_b32_e32 v15, 0
	ds_read_b32 v6, v15 offset:520
	v_mbcnt_lo_u32_b32 v7, -1, 0
	v_mbcnt_hi_u32_b32 v9, -1, v7
	s_mov_b32 s21, 0
	v_cmp_eq_u32_e64 s[2:3], 0, v9
	s_and_saveexec_b64 s[18:19], s[2:3]
	s_cbranch_execz .LBB626_32
; %bb.31:
	s_add_i32 s20, s6, 64
	s_lshl_b64 s[20:21], s[20:21], 3
	s_add_u32 s20, s24, s20
	v_mov_b32_e32 v7, 1
	s_addc_u32 s21, s25, s21
	s_waitcnt lgkmcnt(0)
	global_store_dwordx2 v15, v[6:7], s[20:21]
.LBB626_32:
	s_or_b64 exec, exec, s[18:19]
	v_xad_u32 v8, v9, -1, s6
	v_add_u32_e32 v14, 64, v8
	v_lshlrev_b64 v[10:11], 3, v[14:15]
	v_mov_b32_e32 v7, s25
	v_add_co_u32_e32 v10, vcc, s24, v10
	v_addc_co_u32_e32 v11, vcc, v7, v11, vcc
	global_load_dwordx2 v[12:13], v[10:11], off glc
	s_waitcnt vmcnt(0)
	v_cmp_eq_u16_sdwa s[20:21], v13, v15 src0_sel:BYTE_0 src1_sel:DWORD
	s_and_saveexec_b64 s[18:19], s[20:21]
	s_cbranch_execz .LBB626_38
; %bb.33:
	s_mov_b32 s7, 1
	s_mov_b64 s[20:21], 0
	v_mov_b32_e32 v7, 0
.LBB626_34:                             ; =>This Loop Header: Depth=1
                                        ;     Child Loop BB626_35 Depth 2
	s_max_u32 s22, s7, 1
.LBB626_35:                             ;   Parent Loop BB626_34 Depth=1
                                        ; =>  This Inner Loop Header: Depth=2
	s_add_i32 s22, s22, -1
	s_cmp_eq_u32 s22, 0
	s_sleep 1
	s_cbranch_scc0 .LBB626_35
; %bb.36:                               ;   in Loop: Header=BB626_34 Depth=1
	global_load_dwordx2 v[12:13], v[10:11], off glc
	s_cmp_lt_u32 s7, 32
	s_cselect_b64 s[22:23], -1, 0
	s_cmp_lg_u64 s[22:23], 0
	s_addc_u32 s7, s7, 0
	s_waitcnt vmcnt(0)
	v_cmp_ne_u16_sdwa s[22:23], v13, v7 src0_sel:BYTE_0 src1_sel:DWORD
	s_or_b64 s[20:21], s[22:23], s[20:21]
	s_andn2_b64 exec, exec, s[20:21]
	s_cbranch_execnz .LBB626_34
; %bb.37:
	s_or_b64 exec, exec, s[20:21]
.LBB626_38:
	s_or_b64 exec, exec, s[18:19]
	v_and_b32_e32 v17, 63, v9
	v_mov_b32_e32 v7, 2
	v_cmp_ne_u32_e32 vcc, 63, v17
	v_cmp_eq_u16_sdwa s[18:19], v13, v7 src0_sel:BYTE_0 src1_sel:DWORD
	v_lshlrev_b64 v[10:11], v9, -1
	v_addc_co_u32_e32 v18, vcc, 0, v9, vcc
	v_and_b32_e32 v14, s19, v11
	v_lshlrev_b32_e32 v18, 2, v18
	v_or_b32_e32 v14, 0x80000000, v14
	ds_bpermute_b32 v19, v18, v12
	v_and_b32_e32 v15, s18, v10
	v_ffbl_b32_e32 v14, v14
	v_add_u32_e32 v14, 32, v14
	v_ffbl_b32_e32 v15, v15
	v_min_u32_e32 v14, v15, v14
	v_cmp_lt_u32_e32 vcc, v17, v14
	s_waitcnt lgkmcnt(0)
	v_cndmask_b32_e32 v15, 1, v19, vcc
	v_cmp_gt_u32_e32 vcc, 62, v17
	v_mul_lo_u32 v12, v15, v12
	v_cndmask_b32_e64 v15, 0, 1, vcc
	v_lshlrev_b32_e32 v15, 1, v15
	v_add_lshl_u32 v19, v15, v9, 2
	ds_bpermute_b32 v15, v19, v12
	v_add_u32_e32 v20, 2, v17
	v_cmp_le_u32_e32 vcc, v20, v14
	v_add_u32_e32 v23, 4, v17
	v_add_u32_e32 v33, 8, v17
	s_waitcnt lgkmcnt(0)
	v_cndmask_b32_e32 v15, 1, v15, vcc
	v_cmp_gt_u32_e32 vcc, 60, v17
	v_mul_lo_u32 v12, v12, v15
	v_cndmask_b32_e64 v15, 0, 1, vcc
	v_lshlrev_b32_e32 v15, 2, v15
	v_add_lshl_u32 v21, v15, v9, 2
	ds_bpermute_b32 v15, v21, v12
	v_cmp_le_u32_e32 vcc, v23, v14
	v_add_u32_e32 v36, 16, v17
	v_add_u32_e32 v38, 32, v17
	s_waitcnt lgkmcnt(0)
	v_cndmask_b32_e32 v15, 1, v15, vcc
	v_cmp_gt_u32_e32 vcc, 56, v17
	v_mul_lo_u32 v12, v12, v15
	v_cndmask_b32_e64 v15, 0, 1, vcc
	v_lshlrev_b32_e32 v15, 3, v15
	v_add_lshl_u32 v32, v15, v9, 2
	ds_bpermute_b32 v15, v32, v12
	v_cmp_le_u32_e32 vcc, v33, v14
	s_waitcnt lgkmcnt(0)
	v_cndmask_b32_e32 v15, 1, v15, vcc
	v_cmp_gt_u32_e32 vcc, 48, v17
	v_mul_lo_u32 v12, v12, v15
	v_cndmask_b32_e64 v15, 0, 1, vcc
	v_lshlrev_b32_e32 v15, 4, v15
	v_add_lshl_u32 v35, v15, v9, 2
	ds_bpermute_b32 v15, v35, v12
	v_cmp_le_u32_e32 vcc, v36, v14
	;; [unrolled: 9-line block ×3, first 2 shown]
	s_waitcnt lgkmcnt(0)
	v_cndmask_b32_e32 v9, 1, v9, vcc
	v_mul_lo_u32 v12, v12, v9
	v_mov_b32_e32 v9, 0
	s_branch .LBB626_40
.LBB626_39:                             ;   in Loop: Header=BB626_40 Depth=1
	s_or_b64 exec, exec, s[18:19]
	v_cmp_eq_u16_sdwa s[18:19], v13, v7 src0_sel:BYTE_0 src1_sel:DWORD
	v_and_b32_e32 v14, s19, v11
	v_or_b32_e32 v14, 0x80000000, v14
	ds_bpermute_b32 v39, v18, v12
	v_and_b32_e32 v15, s18, v10
	v_ffbl_b32_e32 v14, v14
	v_add_u32_e32 v14, 32, v14
	v_ffbl_b32_e32 v15, v15
	v_min_u32_e32 v14, v15, v14
	v_cmp_lt_u32_e32 vcc, v17, v14
	s_waitcnt lgkmcnt(0)
	v_cndmask_b32_e32 v15, 1, v39, vcc
	v_mul_lo_u32 v12, v15, v12
	ds_bpermute_b32 v15, v19, v12
	v_cmp_le_u32_e32 vcc, v20, v14
	v_subrev_u32_e32 v8, 64, v8
	s_waitcnt lgkmcnt(0)
	v_cndmask_b32_e32 v15, 1, v15, vcc
	v_mul_lo_u32 v12, v12, v15
	ds_bpermute_b32 v15, v21, v12
	v_cmp_le_u32_e32 vcc, v23, v14
	s_waitcnt lgkmcnt(0)
	v_cndmask_b32_e32 v15, 1, v15, vcc
	v_mul_lo_u32 v12, v12, v15
	ds_bpermute_b32 v15, v32, v12
	v_cmp_le_u32_e32 vcc, v33, v14
	;; [unrolled: 5-line block ×4, first 2 shown]
	s_waitcnt lgkmcnt(0)
	v_cndmask_b32_e32 v14, 1, v15, vcc
	v_mul_lo_u32 v14, v14, v34
	v_mul_lo_u32 v12, v14, v12
.LBB626_40:                             ; =>This Loop Header: Depth=1
                                        ;     Child Loop BB626_43 Depth 2
                                        ;       Child Loop BB626_44 Depth 3
	v_cmp_ne_u16_sdwa s[18:19], v13, v7 src0_sel:BYTE_0 src1_sel:DWORD
	v_cndmask_b32_e64 v13, 0, 1, s[18:19]
	;;#ASMSTART
	;;#ASMEND
	v_cmp_ne_u32_e32 vcc, 0, v13
	s_cmp_lg_u64 vcc, exec
	v_mov_b32_e32 v34, v12
	s_cbranch_scc1 .LBB626_47
; %bb.41:                               ;   in Loop: Header=BB626_40 Depth=1
	v_lshlrev_b64 v[12:13], 3, v[8:9]
	v_mov_b32_e32 v15, s25
	v_add_co_u32_e32 v14, vcc, s24, v12
	v_addc_co_u32_e32 v15, vcc, v15, v13, vcc
	global_load_dwordx2 v[12:13], v[14:15], off glc
	s_waitcnt vmcnt(0)
	v_cmp_eq_u16_sdwa s[20:21], v13, v9 src0_sel:BYTE_0 src1_sel:DWORD
	s_and_saveexec_b64 s[18:19], s[20:21]
	s_cbranch_execz .LBB626_39
; %bb.42:                               ;   in Loop: Header=BB626_40 Depth=1
	s_mov_b32 s7, 1
	s_mov_b64 s[20:21], 0
.LBB626_43:                             ;   Parent Loop BB626_40 Depth=1
                                        ; =>  This Loop Header: Depth=2
                                        ;       Child Loop BB626_44 Depth 3
	s_max_u32 s22, s7, 1
.LBB626_44:                             ;   Parent Loop BB626_40 Depth=1
                                        ;     Parent Loop BB626_43 Depth=2
                                        ; =>    This Inner Loop Header: Depth=3
	s_add_i32 s22, s22, -1
	s_cmp_eq_u32 s22, 0
	s_sleep 1
	s_cbranch_scc0 .LBB626_44
; %bb.45:                               ;   in Loop: Header=BB626_43 Depth=2
	global_load_dwordx2 v[12:13], v[14:15], off glc
	s_cmp_lt_u32 s7, 32
	s_cselect_b64 s[22:23], -1, 0
	s_cmp_lg_u64 s[22:23], 0
	s_addc_u32 s7, s7, 0
	s_waitcnt vmcnt(0)
	v_cmp_ne_u16_sdwa s[22:23], v13, v9 src0_sel:BYTE_0 src1_sel:DWORD
	s_or_b64 s[20:21], s[22:23], s[20:21]
	s_andn2_b64 exec, exec, s[20:21]
	s_cbranch_execnz .LBB626_43
; %bb.46:                               ;   in Loop: Header=BB626_40 Depth=1
	s_or_b64 exec, exec, s[20:21]
	s_branch .LBB626_39
.LBB626_47:                             ;   in Loop: Header=BB626_40 Depth=1
                                        ; implicit-def: $vgpr12
                                        ; implicit-def: $vgpr13
	s_cbranch_execz .LBB626_40
; %bb.48:
	s_and_saveexec_b64 s[18:19], s[2:3]
	s_cbranch_execz .LBB626_50
; %bb.49:
	s_add_i32 s2, s6, 64
	s_mov_b32 s3, 0
	s_lshl_b64 s[2:3], s[2:3], 3
	s_add_u32 s2, s24, s2
	v_mul_lo_u32 v6, v34, v6
	s_addc_u32 s3, s25, s3
	v_mov_b32_e32 v8, 0
	v_mov_b32_e32 v7, 2
	global_store_dwordx2 v8, v[6:7], s[2:3]
.LBB626_50:
	s_or_b64 exec, exec, s[18:19]
	s_and_b64 exec, exec, s[0:1]
	s_cbranch_execz .LBB626_52
; %bb.51:
	v_mov_b32_e32 v6, 0
	ds_write_b32 v6, v34
.LBB626_52:
	s_or_b64 exec, exec, s[16:17]
	v_mov_b32_e32 v6, 0
	s_waitcnt lgkmcnt(0)
	s_barrier
	ds_read_b32 v6, v6
	v_mul_lo_u32 v7, v16, v2
	s_waitcnt lgkmcnt(0)
	v_mul_lo_u32 v12, v7, v6
	v_mul_lo_u32 v13, v12, v3
	;; [unrolled: 1-line block ×10, first 2 shown]
	s_load_dwordx8 s[16:23], s[4:5], 0x38
	s_branch .LBB626_75
.LBB626_53:
                                        ; implicit-def: $vgpr12_vgpr13_vgpr14_vgpr15_vgpr16_vgpr17_vgpr18_vgpr19_vgpr20_vgpr21
	s_load_dwordx8 s[16:23], s[4:5], 0x38
	s_cbranch_execz .LBB626_75
; %bb.54:
	s_waitcnt lgkmcnt(0)
	s_cmp_lg_u64 s[20:21], 0
	s_cselect_b64 s[28:29], -1, 0
	s_cmp_eq_u64 s[20:21], 0
	v_cmp_eq_u32_e64 s[2:3], 0, v0
	s_cselect_b64 s[6:7], -1, 0
	v_cmp_ne_u32_e64 s[0:1], 0, v0
	s_and_b64 s[28:29], s[2:3], s[28:29]
	s_and_saveexec_b64 s[20:21], s[28:29]
	s_cbranch_execz .LBB626_56
; %bb.55:
	v_mov_b32_e32 v6, 0
	global_load_dword v6, v6, s[16:17]
	s_waitcnt vmcnt(0)
	v_mul_lo_u32 v2, v6, v2
.LBB626_56:
	s_or_b64 exec, exec, s[20:21]
	v_mul_lo_u32 v34, v3, v2
	v_mul_lo_u32 v33, v34, v4
	;; [unrolled: 1-line block ×9, first 2 shown]
	v_add_lshl_u32 v12, v22, v0, 2
	s_andn2_b64 vcc, exec, s[6:7]
	v_cmp_gt_u32_e64 s[6:7], 64, v0
	ds_write_b32 v12, v11
	s_waitcnt lgkmcnt(0)
	s_cbranch_vccnz .LBB626_64
; %bb.57:
	s_barrier
	s_and_saveexec_b64 s[16:17], s[6:7]
	s_cbranch_execz .LBB626_59
; %bb.58:
	v_lshlrev_b32_e32 v12, 1, v0
	v_lshrrev_b32_e32 v13, 4, v0
	v_add_lshl_u32 v14, v13, v12, 2
	ds_read2_b32 v[12:13], v14 offset1:1
	v_mbcnt_lo_u32_b32 v15, -1, 0
	v_mbcnt_hi_u32_b32 v15, -1, v15
	v_and_b32_e32 v16, 15, v15
	v_cmp_ne_u32_e32 vcc, 0, v16
	s_waitcnt lgkmcnt(0)
	v_mul_lo_u32 v13, v13, v12
	; wave barrier
	s_nop 1
	v_mov_b32_dpp v17, v13 row_shr:1 row_mask:0xf bank_mask:0xf
	v_cndmask_b32_e32 v17, 1, v17, vcc
	v_mul_lo_u32 v13, v17, v13
	v_cmp_lt_u32_e32 vcc, 1, v16
	s_nop 0
	v_mov_b32_dpp v17, v13 row_shr:2 row_mask:0xf bank_mask:0xf
	v_cndmask_b32_e32 v17, 1, v17, vcc
	v_mul_lo_u32 v13, v13, v17
	v_cmp_lt_u32_e32 vcc, 3, v16
	;; [unrolled: 5-line block ×3, first 2 shown]
	s_nop 0
	v_mov_b32_dpp v17, v13 row_shr:8 row_mask:0xf bank_mask:0xf
	v_cndmask_b32_e32 v16, 1, v17, vcc
	v_mul_lo_u32 v13, v13, v16
	v_and_b32_e32 v17, 16, v15
	v_cmp_ne_u32_e32 vcc, 0, v17
	v_mov_b32_dpp v16, v13 row_bcast:15 row_mask:0xf bank_mask:0xf
	v_cndmask_b32_e32 v16, 1, v16, vcc
	v_mul_lo_u32 v13, v13, v16
	v_cmp_lt_u32_e32 vcc, 31, v15
	v_and_b32_e32 v17, 64, v15
	v_mov_b32_dpp v16, v13 row_bcast:31 row_mask:0xf bank_mask:0xf
	v_cndmask_b32_e32 v16, 1, v16, vcc
	v_mul_lo_u32 v13, v13, v16
	v_add_u32_e32 v16, -1, v15
	v_cmp_lt_i32_e32 vcc, v16, v17
	v_cndmask_b32_e32 v15, v16, v15, vcc
	v_lshlrev_b32_e32 v15, 2, v15
	ds_bpermute_b32 v13, v15, v13
	s_waitcnt lgkmcnt(0)
	v_mul_lo_u32 v12, v13, v12
	v_cndmask_b32_e64 v12, v12, v11, s[2:3]
	ds_write_b32 v14, v12
	; wave barrier
	ds_read_b32 v13, v14 offset:4
	s_waitcnt lgkmcnt(0)
	v_mul_lo_u32 v12, v13, v12
	ds_write_b32 v14, v12 offset:4
.LBB626_59:
	s_or_b64 exec, exec, s[16:17]
	v_mov_b32_e32 v21, v11
	s_waitcnt lgkmcnt(0)
	s_barrier
	s_and_saveexec_b64 s[16:17], s[0:1]
	s_cbranch_execz .LBB626_61
; %bb.60:
	v_add_u32_e32 v12, -1, v0
	v_lshrrev_b32_e32 v13, 5, v12
	v_add_lshl_u32 v12, v13, v12, 2
	ds_read_b32 v21, v12
.LBB626_61:
	s_or_b64 exec, exec, s[16:17]
	s_load_dword s16, s[4:5], 0x20
	v_mov_b32_e32 v12, v10
	v_mov_b32_e32 v13, v9
	;; [unrolled: 1-line block ×9, first 2 shown]
	s_and_saveexec_b64 s[4:5], s[0:1]
	s_cbranch_execz .LBB626_63
; %bb.62:
	s_waitcnt lgkmcnt(0)
	v_mul_lo_u32 v14, v21, v2
	v_mul_lo_u32 v15, v14, v3
	;; [unrolled: 1-line block ×9, first 2 shown]
	;;#ASMSTART
	;;#ASMEND
.LBB626_63:
	s_or_b64 exec, exec, s[4:5]
	s_waitcnt lgkmcnt(0)
	v_mul_lo_u32 v14, v14, s16
	v_mul_lo_u32 v15, v15, s16
	;; [unrolled: 1-line block ×10, first 2 shown]
	v_pk_mov_b32 v[12:13], v[14:15], v[14:15] op_sel:[0,1]
	v_pk_mov_b32 v[14:15], v[16:17], v[16:17] op_sel:[0,1]
	;; [unrolled: 1-line block ×5, first 2 shown]
	s_branch .LBB626_72
.LBB626_64:
                                        ; implicit-def: $vgpr23
                                        ; implicit-def: $vgpr12_vgpr13_vgpr14_vgpr15_vgpr16_vgpr17_vgpr18_vgpr19_vgpr20_vgpr21
	s_cbranch_execz .LBB626_72
; %bb.65:
	s_barrier
	s_and_saveexec_b64 s[4:5], s[6:7]
	s_cbranch_execz .LBB626_67
; %bb.66:
	v_lshlrev_b32_e32 v12, 1, v0
	v_lshrrev_b32_e32 v13, 4, v0
	v_add_lshl_u32 v14, v13, v12, 2
	ds_read2_b32 v[12:13], v14 offset1:1
	v_mbcnt_lo_u32_b32 v15, -1, 0
	v_mbcnt_hi_u32_b32 v15, -1, v15
	v_and_b32_e32 v16, 15, v15
	v_cmp_ne_u32_e32 vcc, 0, v16
	s_waitcnt lgkmcnt(0)
	v_mul_lo_u32 v13, v13, v12
	; wave barrier
	s_nop 1
	v_mov_b32_dpp v17, v13 row_shr:1 row_mask:0xf bank_mask:0xf
	v_cndmask_b32_e32 v17, 1, v17, vcc
	v_mul_lo_u32 v13, v17, v13
	v_cmp_lt_u32_e32 vcc, 1, v16
	s_nop 0
	v_mov_b32_dpp v17, v13 row_shr:2 row_mask:0xf bank_mask:0xf
	v_cndmask_b32_e32 v17, 1, v17, vcc
	v_mul_lo_u32 v13, v13, v17
	v_cmp_lt_u32_e32 vcc, 3, v16
	;; [unrolled: 5-line block ×3, first 2 shown]
	s_nop 0
	v_mov_b32_dpp v17, v13 row_shr:8 row_mask:0xf bank_mask:0xf
	v_cndmask_b32_e32 v16, 1, v17, vcc
	v_mul_lo_u32 v13, v13, v16
	v_and_b32_e32 v17, 16, v15
	v_cmp_ne_u32_e32 vcc, 0, v17
	v_mov_b32_dpp v16, v13 row_bcast:15 row_mask:0xf bank_mask:0xf
	v_cndmask_b32_e32 v16, 1, v16, vcc
	v_mul_lo_u32 v13, v13, v16
	v_cmp_lt_u32_e32 vcc, 31, v15
	v_and_b32_e32 v17, 64, v15
	v_mov_b32_dpp v16, v13 row_bcast:31 row_mask:0xf bank_mask:0xf
	v_cndmask_b32_e32 v16, 1, v16, vcc
	v_mul_lo_u32 v13, v13, v16
	v_add_u32_e32 v16, -1, v15
	v_cmp_lt_i32_e32 vcc, v16, v17
	v_cndmask_b32_e32 v15, v16, v15, vcc
	v_lshlrev_b32_e32 v15, 2, v15
	ds_bpermute_b32 v13, v15, v13
	s_waitcnt lgkmcnt(0)
	v_mul_lo_u32 v12, v13, v12
	v_cndmask_b32_e64 v12, v12, v11, s[2:3]
	ds_write_b32 v14, v12
	; wave barrier
	ds_read_b32 v13, v14 offset:4
	s_waitcnt lgkmcnt(0)
	v_mul_lo_u32 v12, v13, v12
	ds_write_b32 v14, v12 offset:4
.LBB626_67:
	s_or_b64 exec, exec, s[4:5]
	v_mov_b32_e32 v12, v11
	s_waitcnt lgkmcnt(0)
	s_barrier
	s_and_saveexec_b64 s[2:3], s[0:1]
	s_cbranch_execz .LBB626_69
; %bb.68:
	v_add_u32_e32 v12, -1, v0
	v_lshrrev_b32_e32 v13, 5, v12
	v_add_lshl_u32 v12, v13, v12, 2
	ds_read_b32 v12, v12
.LBB626_69:
	s_or_b64 exec, exec, s[2:3]
	s_and_saveexec_b64 s[2:3], s[0:1]
	s_cbranch_execz .LBB626_71
; %bb.70:
	s_waitcnt lgkmcnt(0)
	v_mul_lo_u32 v2, v12, v2
	v_mul_lo_u32 v34, v2, v3
	;; [unrolled: 1-line block ×10, first 2 shown]
	;;#ASMSTART
	;;#ASMEND
.LBB626_71:
	s_or_b64 exec, exec, s[2:3]
	v_mov_b32_e32 v3, v34
	v_mov_b32_e32 v4, v33
	;; [unrolled: 1-line block ×3, first 2 shown]
	s_waitcnt lgkmcnt(0)
	v_pk_mov_b32 v[20:21], v[10:11], v[10:11] op_sel:[0,1]
	v_mov_b32_e32 v23, v11
	v_pk_mov_b32 v[18:19], v[8:9], v[8:9] op_sel:[0,1]
	v_pk_mov_b32 v[16:17], v[6:7], v[6:7] op_sel:[0,1]
	;; [unrolled: 1-line block ×4, first 2 shown]
.LBB626_72:
	s_movk_i32 s0, 0x7f
	v_cmp_eq_u32_e32 vcc, s0, v0
	s_and_saveexec_b64 s[0:1], vcc
	s_cbranch_execz .LBB626_74
; %bb.73:
	v_mov_b32_e32 v4, 0
	v_mov_b32_e32 v3, 2
	;; [unrolled: 1-line block ×3, first 2 shown]
	global_store_dwordx2 v4, v[2:3], s[24:25] offset:512
.LBB626_74:
	s_or_b64 exec, exec, s[0:1]
.LBB626_75:
	s_add_u32 s0, s12, s10
	s_addc_u32 s1, s13, s11
	s_add_u32 s2, s0, s14
	s_addc_u32 s3, s1, s15
	s_mov_b64 s[0:1], -1
	s_and_b64 vcc, exec, s[8:9]
	s_waitcnt lgkmcnt(0)
	s_barrier
	s_cbranch_vccz .LBB626_77
; %bb.76:
	ds_write2_b64 v1, v[12:13], v[14:15] offset1:1
	ds_write2_b64 v1, v[16:17], v[18:19] offset0:2 offset1:3
	ds_write_b64 v1, v[20:21] offset:32
	s_waitcnt lgkmcnt(0)
	s_barrier
	ds_read2st64_b32 v[2:3], v30 offset1:2
	ds_read2st64_b32 v[4:5], v30 offset0:4 offset1:6
	ds_read2st64_b32 v[6:7], v30 offset0:8 offset1:10
	;; [unrolled: 1-line block ×4, first 2 shown]
	v_mov_b32_e32 v23, s3
	v_add_co_u32_e32 v22, vcc, s2, v30
	v_addc_co_u32_e32 v23, vcc, 0, v23, vcc
	s_waitcnt lgkmcnt(4)
	flat_store_dword v[22:23], v2
	flat_store_dword v[22:23], v3 offset:512
	s_waitcnt lgkmcnt(0)
	flat_store_dword v[22:23], v4 offset:1024
	flat_store_dword v[22:23], v5 offset:1536
	;; [unrolled: 1-line block ×6, first 2 shown]
	v_add_co_u32_e32 v2, vcc, 0x1000, v22
	v_addc_co_u32_e32 v3, vcc, 0, v23, vcc
	flat_store_dword v[2:3], v10
	flat_store_dword v[2:3], v11 offset:512
	s_mov_b64 s[0:1], 0
.LBB626_77:
	s_andn2_b64 vcc, exec, s[0:1]
	s_cbranch_vccnz .LBB626_133
; %bb.78:
	ds_write2_b64 v1, v[12:13], v[14:15] offset1:1
	ds_write2_b64 v1, v[16:17], v[18:19] offset0:2 offset1:3
	ds_write_b64 v1, v[20:21] offset:32
	s_waitcnt lgkmcnt(0)
	s_barrier
	ds_read2st64_b32 v[2:3], v30 offset1:2
	ds_read2st64_b32 v[6:7], v30 offset0:4 offset1:6
	ds_read2st64_b32 v[4:5], v30 offset0:8 offset1:10
	;; [unrolled: 1-line block ×4, first 2 shown]
	v_mov_b32_e32 v13, s3
	v_add_co_u32_e32 v12, vcc, s2, v30
	v_addc_co_u32_e32 v13, vcc, 0, v13, vcc
	v_mov_b32_e32 v1, 0
	v_cmp_gt_u32_e32 vcc, s26, v0
	s_and_saveexec_b64 s[0:1], vcc
	s_cbranch_execz .LBB626_80
; %bb.79:
	s_waitcnt lgkmcnt(0)
	flat_store_dword v[12:13], v2
.LBB626_80:
	s_or_b64 exec, exec, s[0:1]
	v_or_b32_e32 v14, 0x80, v0
	v_cmp_gt_u32_e32 vcc, s26, v14
	s_and_saveexec_b64 s[0:1], vcc
	s_cbranch_execz .LBB626_82
; %bb.81:
	s_waitcnt lgkmcnt(0)
	flat_store_dword v[12:13], v3 offset:512
.LBB626_82:
	s_or_b64 exec, exec, s[0:1]
	v_or_b32_e32 v14, 0x100, v0
	v_cmp_gt_u32_e32 vcc, s26, v14
	s_and_saveexec_b64 s[0:1], vcc
	s_cbranch_execz .LBB626_84
; %bb.83:
	s_waitcnt lgkmcnt(0)
	flat_store_dword v[12:13], v6 offset:1024
.LBB626_84:
	;; [unrolled: 9-line block ×7, first 2 shown]
	s_or_b64 exec, exec, s[0:1]
	v_or_b32_e32 v14, 0x400, v0
	v_cmp_gt_u32_e32 vcc, s26, v14
	s_and_saveexec_b64 s[0:1], vcc
	s_cbranch_execz .LBB626_96
; %bb.95:
	v_add_co_u32_e32 v14, vcc, 0x1000, v12
	v_addc_co_u32_e32 v15, vcc, 0, v13, vcc
	s_waitcnt lgkmcnt(0)
	flat_store_dword v[14:15], v10
.LBB626_96:
	s_or_b64 exec, exec, s[0:1]
	v_or_b32_e32 v14, 0x480, v0
	v_cmp_gt_u32_e32 vcc, s26, v14
	s_and_saveexec_b64 s[0:1], vcc
	s_cbranch_execz .LBB626_98
; %bb.97:
	v_add_co_u32_e32 v12, vcc, 0x1000, v12
	v_addc_co_u32_e32 v13, vcc, 0, v13, vcc
	s_waitcnt lgkmcnt(0)
	flat_store_dword v[12:13], v11 offset:512
.LBB626_98:
	s_or_b64 exec, exec, s[0:1]
	v_cmp_lt_u64_e64 s[0:1], s[22:23], 2
	s_and_b64 vcc, exec, s[0:1]
	s_cbranch_vccnz .LBB626_133
; %bb.99:
	s_add_u32 s0, s26, -1
	s_addc_u32 s1, s27, -1
	s_add_u32 s2, 0, 0x99986000
	s_addc_u32 s3, 0, 0x59
	s_add_i32 s3, s3, 0x19999940
	s_mul_hi_u32 s7, s2, -10
	s_sub_i32 s7, s7, s2
	s_mul_i32 s8, s3, -10
	s_mul_i32 s4, s2, -10
	s_add_i32 s7, s7, s8
	s_mul_hi_u32 s5, s3, s4
	s_mul_i32 s6, s3, s4
	s_mul_i32 s9, s2, s7
	s_mul_hi_u32 s4, s2, s4
	s_mul_hi_u32 s8, s2, s7
	s_add_u32 s4, s4, s9
	s_addc_u32 s8, 0, s8
	s_add_u32 s4, s4, s6
	s_mul_hi_u32 s9, s3, s7
	s_addc_u32 s4, s8, s5
	s_addc_u32 s5, s9, 0
	s_mul_i32 s6, s3, s7
	s_add_u32 s4, s4, s6
	v_mov_b32_e32 v12, s4
	s_addc_u32 s5, 0, s5
	v_add_co_u32_e32 v12, vcc, s2, v12
	s_cmp_lg_u64 vcc, 0
	s_addc_u32 s2, s3, s5
	v_readfirstlane_b32 s5, v12
	s_mul_i32 s4, s0, s2
	s_mul_hi_u32 s6, s0, s5
	s_mul_hi_u32 s3, s0, s2
	s_add_u32 s4, s6, s4
	s_addc_u32 s3, 0, s3
	s_mul_hi_u32 s7, s1, s5
	s_mul_i32 s5, s1, s5
	s_add_u32 s4, s4, s5
	s_mul_hi_u32 s6, s1, s2
	s_addc_u32 s3, s3, s7
	s_addc_u32 s4, s6, 0
	s_mul_i32 s2, s1, s2
	s_add_u32 s2, s3, s2
	s_addc_u32 s3, 0, s4
	s_add_u32 s4, s2, 1
	s_addc_u32 s5, s3, 0
	s_add_u32 s6, s2, 2
	s_mul_i32 s8, s3, 10
	s_mul_hi_u32 s9, s2, 10
	s_addc_u32 s7, s3, 0
	s_add_i32 s9, s9, s8
	s_mul_i32 s8, s2, 10
	v_mov_b32_e32 v12, s8
	v_sub_co_u32_e32 v12, vcc, s0, v12
	s_cmp_lg_u64 vcc, 0
	s_subb_u32 s8, s1, s9
	v_subrev_co_u32_e32 v13, vcc, 10, v12
	s_cmp_lg_u64 vcc, 0
	s_subb_u32 s9, s8, 0
	v_readfirstlane_b32 s10, v13
	s_cmp_gt_u32 s10, 9
	s_cselect_b32 s10, -1, 0
	s_cmp_eq_u32 s9, 0
	s_cselect_b32 s9, s10, -1
	s_cmp_lg_u32 s9, 0
	s_cselect_b32 s4, s6, s4
	v_readfirstlane_b32 s6, v12
	s_cselect_b32 s5, s7, s5
	s_cmp_gt_u32 s6, 9
	s_cselect_b32 s6, -1, 0
	s_cmp_eq_u32 s8, 0
	s_cselect_b32 s6, s6, -1
	s_cmp_lg_u32 s6, 0
	s_cselect_b32 s3, s5, s3
	s_cselect_b32 s2, s4, s2
	v_cmp_eq_u64_e32 vcc, s[2:3], v[0:1]
	s_and_saveexec_b64 s[2:3], vcc
	s_cbranch_execz .LBB626_133
; %bb.100:
	v_mul_hi_u32_u24_e32 v1, 10, v0
	v_mov_b32_e32 v12, s1
	v_sub_co_u32_e32 v0, vcc, s0, v31
	v_subb_co_u32_e32 v1, vcc, v12, v1, vcc
	v_cmp_lt_i64_e32 vcc, 4, v[0:1]
	s_and_saveexec_b64 s[0:1], vcc
	s_xor_b64 s[0:1], exec, s[0:1]
	s_cbranch_execz .LBB626_118
; %bb.101:
	v_cmp_lt_i64_e32 vcc, 6, v[0:1]
	s_and_saveexec_b64 s[2:3], vcc
	s_xor_b64 s[2:3], exec, s[2:3]
	s_cbranch_execz .LBB626_111
; %bb.102:
	;; [unrolled: 5-line block ×4, first 2 shown]
	v_mov_b32_e32 v0, 0
	s_waitcnt lgkmcnt(0)
	global_store_dword v0, v11, s[18:19]
                                        ; implicit-def: $vgpr10_vgpr11
.LBB626_105:
	s_andn2_saveexec_b64 s[6:7], s[6:7]
	s_cbranch_execz .LBB626_107
; %bb.106:
	v_mov_b32_e32 v0, 0
	s_waitcnt lgkmcnt(0)
	global_store_dword v0, v10, s[18:19]
.LBB626_107:
	s_or_b64 exec, exec, s[6:7]
                                        ; implicit-def: $vgpr8_vgpr9
.LBB626_108:
	s_andn2_saveexec_b64 s[4:5], s[4:5]
	s_cbranch_execz .LBB626_110
; %bb.109:
	v_mov_b32_e32 v0, 0
	s_waitcnt lgkmcnt(0)
	global_store_dword v0, v9, s[18:19]
.LBB626_110:
	s_or_b64 exec, exec, s[4:5]
                                        ; implicit-def: $vgpr4_vgpr5
                                        ; implicit-def: $vgpr0_vgpr1
                                        ; implicit-def: $vgpr8_vgpr9
.LBB626_111:
	s_andn2_saveexec_b64 s[2:3], s[2:3]
	s_cbranch_execz .LBB626_117
; %bb.112:
	v_cmp_lt_i64_e32 vcc, 5, v[0:1]
	s_and_saveexec_b64 s[4:5], vcc
	s_xor_b64 s[4:5], exec, s[4:5]
	s_cbranch_execz .LBB626_114
; %bb.113:
	v_mov_b32_e32 v0, 0
	s_waitcnt lgkmcnt(0)
	global_store_dword v0, v8, s[18:19]
                                        ; implicit-def: $vgpr4_vgpr5
.LBB626_114:
	s_andn2_saveexec_b64 s[4:5], s[4:5]
	s_cbranch_execz .LBB626_116
; %bb.115:
	v_mov_b32_e32 v0, 0
	s_waitcnt lgkmcnt(0)
	global_store_dword v0, v5, s[18:19]
.LBB626_116:
	s_or_b64 exec, exec, s[4:5]
.LBB626_117:
	s_or_b64 exec, exec, s[2:3]
                                        ; implicit-def: $vgpr0_vgpr1
                                        ; implicit-def: $vgpr6_vgpr7
                                        ; implicit-def: $vgpr2_vgpr3
                                        ; implicit-def: $vgpr4_vgpr5
.LBB626_118:
	s_andn2_saveexec_b64 s[0:1], s[0:1]
	s_cbranch_execz .LBB626_133
; %bb.119:
	v_cmp_lt_i64_e32 vcc, 2, v[0:1]
	s_and_saveexec_b64 s[0:1], vcc
	s_xor_b64 s[0:1], exec, s[0:1]
	s_cbranch_execz .LBB626_125
; %bb.120:
	v_cmp_lt_i64_e32 vcc, 3, v[0:1]
	s_and_saveexec_b64 s[2:3], vcc
	s_xor_b64 s[2:3], exec, s[2:3]
	s_cbranch_execz .LBB626_122
; %bb.121:
	v_mov_b32_e32 v0, 0
	s_waitcnt lgkmcnt(0)
	global_store_dword v0, v4, s[18:19]
                                        ; implicit-def: $vgpr6_vgpr7
.LBB626_122:
	s_andn2_saveexec_b64 s[2:3], s[2:3]
	s_cbranch_execz .LBB626_124
; %bb.123:
	v_mov_b32_e32 v0, 0
	s_waitcnt lgkmcnt(0)
	global_store_dword v0, v7, s[18:19]
.LBB626_124:
	s_or_b64 exec, exec, s[2:3]
                                        ; implicit-def: $vgpr0_vgpr1
                                        ; implicit-def: $vgpr6_vgpr7
                                        ; implicit-def: $vgpr2_vgpr3
.LBB626_125:
	s_andn2_saveexec_b64 s[0:1], s[0:1]
	s_cbranch_execz .LBB626_133
; %bb.126:
	v_cmp_lt_i64_e32 vcc, 1, v[0:1]
	s_and_saveexec_b64 s[0:1], vcc
	s_xor_b64 s[0:1], exec, s[0:1]
	s_cbranch_execz .LBB626_128
; %bb.127:
	v_mov_b32_e32 v0, 0
	s_waitcnt lgkmcnt(0)
	global_store_dword v0, v6, s[18:19]
                                        ; implicit-def: $vgpr2_vgpr3
                                        ; implicit-def: $vgpr0_vgpr1
.LBB626_128:
	s_andn2_saveexec_b64 s[0:1], s[0:1]
	s_cbranch_execz .LBB626_133
; %bb.129:
	v_cmp_ne_u64_e32 vcc, 1, v[0:1]
	s_and_saveexec_b64 s[0:1], vcc
	s_xor_b64 s[0:1], exec, s[0:1]
	s_cbranch_execz .LBB626_131
; %bb.130:
	v_mov_b32_e32 v0, 0
	s_waitcnt lgkmcnt(0)
	global_store_dword v0, v2, s[18:19]
                                        ; implicit-def: $vgpr2_vgpr3
.LBB626_131:
	s_andn2_saveexec_b64 s[0:1], s[0:1]
	s_cbranch_execz .LBB626_133
; %bb.132:
	v_mov_b32_e32 v0, 0
	s_waitcnt lgkmcnt(0)
	global_store_dword v0, v3, s[18:19]
.LBB626_133:
	s_endpgm
	.section	.rodata,"a",@progbits
	.p2align	6, 0x0
	.amdhsa_kernel _ZN7rocprim17ROCPRIM_400000_NS6detail17trampoline_kernelINS0_14default_configENS1_20scan_config_selectorIiEEZZNS1_9scan_implILNS1_25lookback_scan_determinismE0ELb0ELb1ES3_N6thrust23THRUST_200600_302600_NS6detail15normal_iteratorINS9_10device_ptrIiEEEESE_iNS9_10multipliesIiEEiEEDaPvRmT3_T4_T5_mT6_P12ihipStream_tbENKUlT_T0_E_clISt17integral_constantIbLb1EEST_IbLb0EEEEDaSP_SQ_EUlSP_E_NS1_11comp_targetILNS1_3genE4ELNS1_11target_archE910ELNS1_3gpuE8ELNS1_3repE0EEENS1_30default_config_static_selectorELNS0_4arch9wavefront6targetE1EEEvT1_
		.amdhsa_group_segment_fixed_size 5120
		.amdhsa_private_segment_fixed_size 0
		.amdhsa_kernarg_size 96
		.amdhsa_user_sgpr_count 6
		.amdhsa_user_sgpr_private_segment_buffer 1
		.amdhsa_user_sgpr_dispatch_ptr 0
		.amdhsa_user_sgpr_queue_ptr 0
		.amdhsa_user_sgpr_kernarg_segment_ptr 1
		.amdhsa_user_sgpr_dispatch_id 0
		.amdhsa_user_sgpr_flat_scratch_init 0
		.amdhsa_user_sgpr_kernarg_preload_length 0
		.amdhsa_user_sgpr_kernarg_preload_offset 0
		.amdhsa_user_sgpr_private_segment_size 0
		.amdhsa_uses_dynamic_stack 0
		.amdhsa_system_sgpr_private_segment_wavefront_offset 0
		.amdhsa_system_sgpr_workgroup_id_x 1
		.amdhsa_system_sgpr_workgroup_id_y 0
		.amdhsa_system_sgpr_workgroup_id_z 0
		.amdhsa_system_sgpr_workgroup_info 0
		.amdhsa_system_vgpr_workitem_id 0
		.amdhsa_next_free_vgpr 40
		.amdhsa_next_free_sgpr 30
		.amdhsa_accum_offset 40
		.amdhsa_reserve_vcc 1
		.amdhsa_reserve_flat_scratch 0
		.amdhsa_float_round_mode_32 0
		.amdhsa_float_round_mode_16_64 0
		.amdhsa_float_denorm_mode_32 3
		.amdhsa_float_denorm_mode_16_64 3
		.amdhsa_dx10_clamp 1
		.amdhsa_ieee_mode 1
		.amdhsa_fp16_overflow 0
		.amdhsa_tg_split 0
		.amdhsa_exception_fp_ieee_invalid_op 0
		.amdhsa_exception_fp_denorm_src 0
		.amdhsa_exception_fp_ieee_div_zero 0
		.amdhsa_exception_fp_ieee_overflow 0
		.amdhsa_exception_fp_ieee_underflow 0
		.amdhsa_exception_fp_ieee_inexact 0
		.amdhsa_exception_int_div_zero 0
	.end_amdhsa_kernel
	.section	.text._ZN7rocprim17ROCPRIM_400000_NS6detail17trampoline_kernelINS0_14default_configENS1_20scan_config_selectorIiEEZZNS1_9scan_implILNS1_25lookback_scan_determinismE0ELb0ELb1ES3_N6thrust23THRUST_200600_302600_NS6detail15normal_iteratorINS9_10device_ptrIiEEEESE_iNS9_10multipliesIiEEiEEDaPvRmT3_T4_T5_mT6_P12ihipStream_tbENKUlT_T0_E_clISt17integral_constantIbLb1EEST_IbLb0EEEEDaSP_SQ_EUlSP_E_NS1_11comp_targetILNS1_3genE4ELNS1_11target_archE910ELNS1_3gpuE8ELNS1_3repE0EEENS1_30default_config_static_selectorELNS0_4arch9wavefront6targetE1EEEvT1_,"axG",@progbits,_ZN7rocprim17ROCPRIM_400000_NS6detail17trampoline_kernelINS0_14default_configENS1_20scan_config_selectorIiEEZZNS1_9scan_implILNS1_25lookback_scan_determinismE0ELb0ELb1ES3_N6thrust23THRUST_200600_302600_NS6detail15normal_iteratorINS9_10device_ptrIiEEEESE_iNS9_10multipliesIiEEiEEDaPvRmT3_T4_T5_mT6_P12ihipStream_tbENKUlT_T0_E_clISt17integral_constantIbLb1EEST_IbLb0EEEEDaSP_SQ_EUlSP_E_NS1_11comp_targetILNS1_3genE4ELNS1_11target_archE910ELNS1_3gpuE8ELNS1_3repE0EEENS1_30default_config_static_selectorELNS0_4arch9wavefront6targetE1EEEvT1_,comdat
.Lfunc_end626:
	.size	_ZN7rocprim17ROCPRIM_400000_NS6detail17trampoline_kernelINS0_14default_configENS1_20scan_config_selectorIiEEZZNS1_9scan_implILNS1_25lookback_scan_determinismE0ELb0ELb1ES3_N6thrust23THRUST_200600_302600_NS6detail15normal_iteratorINS9_10device_ptrIiEEEESE_iNS9_10multipliesIiEEiEEDaPvRmT3_T4_T5_mT6_P12ihipStream_tbENKUlT_T0_E_clISt17integral_constantIbLb1EEST_IbLb0EEEEDaSP_SQ_EUlSP_E_NS1_11comp_targetILNS1_3genE4ELNS1_11target_archE910ELNS1_3gpuE8ELNS1_3repE0EEENS1_30default_config_static_selectorELNS0_4arch9wavefront6targetE1EEEvT1_, .Lfunc_end626-_ZN7rocprim17ROCPRIM_400000_NS6detail17trampoline_kernelINS0_14default_configENS1_20scan_config_selectorIiEEZZNS1_9scan_implILNS1_25lookback_scan_determinismE0ELb0ELb1ES3_N6thrust23THRUST_200600_302600_NS6detail15normal_iteratorINS9_10device_ptrIiEEEESE_iNS9_10multipliesIiEEiEEDaPvRmT3_T4_T5_mT6_P12ihipStream_tbENKUlT_T0_E_clISt17integral_constantIbLb1EEST_IbLb0EEEEDaSP_SQ_EUlSP_E_NS1_11comp_targetILNS1_3genE4ELNS1_11target_archE910ELNS1_3gpuE8ELNS1_3repE0EEENS1_30default_config_static_selectorELNS0_4arch9wavefront6targetE1EEEvT1_
                                        ; -- End function
	.section	.AMDGPU.csdata,"",@progbits
; Kernel info:
; codeLenInByte = 5488
; NumSgprs: 34
; NumVgprs: 40
; NumAgprs: 0
; TotalNumVgprs: 40
; ScratchSize: 0
; MemoryBound: 0
; FloatMode: 240
; IeeeMode: 1
; LDSByteSize: 5120 bytes/workgroup (compile time only)
; SGPRBlocks: 4
; VGPRBlocks: 4
; NumSGPRsForWavesPerEU: 34
; NumVGPRsForWavesPerEU: 40
; AccumOffset: 40
; Occupancy: 6
; WaveLimiterHint : 1
; COMPUTE_PGM_RSRC2:SCRATCH_EN: 0
; COMPUTE_PGM_RSRC2:USER_SGPR: 6
; COMPUTE_PGM_RSRC2:TRAP_HANDLER: 0
; COMPUTE_PGM_RSRC2:TGID_X_EN: 1
; COMPUTE_PGM_RSRC2:TGID_Y_EN: 0
; COMPUTE_PGM_RSRC2:TGID_Z_EN: 0
; COMPUTE_PGM_RSRC2:TIDIG_COMP_CNT: 0
; COMPUTE_PGM_RSRC3_GFX90A:ACCUM_OFFSET: 9
; COMPUTE_PGM_RSRC3_GFX90A:TG_SPLIT: 0
	.section	.text._ZN7rocprim17ROCPRIM_400000_NS6detail17trampoline_kernelINS0_14default_configENS1_20scan_config_selectorIiEEZZNS1_9scan_implILNS1_25lookback_scan_determinismE0ELb0ELb1ES3_N6thrust23THRUST_200600_302600_NS6detail15normal_iteratorINS9_10device_ptrIiEEEESE_iNS9_10multipliesIiEEiEEDaPvRmT3_T4_T5_mT6_P12ihipStream_tbENKUlT_T0_E_clISt17integral_constantIbLb1EEST_IbLb0EEEEDaSP_SQ_EUlSP_E_NS1_11comp_targetILNS1_3genE3ELNS1_11target_archE908ELNS1_3gpuE7ELNS1_3repE0EEENS1_30default_config_static_selectorELNS0_4arch9wavefront6targetE1EEEvT1_,"axG",@progbits,_ZN7rocprim17ROCPRIM_400000_NS6detail17trampoline_kernelINS0_14default_configENS1_20scan_config_selectorIiEEZZNS1_9scan_implILNS1_25lookback_scan_determinismE0ELb0ELb1ES3_N6thrust23THRUST_200600_302600_NS6detail15normal_iteratorINS9_10device_ptrIiEEEESE_iNS9_10multipliesIiEEiEEDaPvRmT3_T4_T5_mT6_P12ihipStream_tbENKUlT_T0_E_clISt17integral_constantIbLb1EEST_IbLb0EEEEDaSP_SQ_EUlSP_E_NS1_11comp_targetILNS1_3genE3ELNS1_11target_archE908ELNS1_3gpuE7ELNS1_3repE0EEENS1_30default_config_static_selectorELNS0_4arch9wavefront6targetE1EEEvT1_,comdat
	.protected	_ZN7rocprim17ROCPRIM_400000_NS6detail17trampoline_kernelINS0_14default_configENS1_20scan_config_selectorIiEEZZNS1_9scan_implILNS1_25lookback_scan_determinismE0ELb0ELb1ES3_N6thrust23THRUST_200600_302600_NS6detail15normal_iteratorINS9_10device_ptrIiEEEESE_iNS9_10multipliesIiEEiEEDaPvRmT3_T4_T5_mT6_P12ihipStream_tbENKUlT_T0_E_clISt17integral_constantIbLb1EEST_IbLb0EEEEDaSP_SQ_EUlSP_E_NS1_11comp_targetILNS1_3genE3ELNS1_11target_archE908ELNS1_3gpuE7ELNS1_3repE0EEENS1_30default_config_static_selectorELNS0_4arch9wavefront6targetE1EEEvT1_ ; -- Begin function _ZN7rocprim17ROCPRIM_400000_NS6detail17trampoline_kernelINS0_14default_configENS1_20scan_config_selectorIiEEZZNS1_9scan_implILNS1_25lookback_scan_determinismE0ELb0ELb1ES3_N6thrust23THRUST_200600_302600_NS6detail15normal_iteratorINS9_10device_ptrIiEEEESE_iNS9_10multipliesIiEEiEEDaPvRmT3_T4_T5_mT6_P12ihipStream_tbENKUlT_T0_E_clISt17integral_constantIbLb1EEST_IbLb0EEEEDaSP_SQ_EUlSP_E_NS1_11comp_targetILNS1_3genE3ELNS1_11target_archE908ELNS1_3gpuE7ELNS1_3repE0EEENS1_30default_config_static_selectorELNS0_4arch9wavefront6targetE1EEEvT1_
	.globl	_ZN7rocprim17ROCPRIM_400000_NS6detail17trampoline_kernelINS0_14default_configENS1_20scan_config_selectorIiEEZZNS1_9scan_implILNS1_25lookback_scan_determinismE0ELb0ELb1ES3_N6thrust23THRUST_200600_302600_NS6detail15normal_iteratorINS9_10device_ptrIiEEEESE_iNS9_10multipliesIiEEiEEDaPvRmT3_T4_T5_mT6_P12ihipStream_tbENKUlT_T0_E_clISt17integral_constantIbLb1EEST_IbLb0EEEEDaSP_SQ_EUlSP_E_NS1_11comp_targetILNS1_3genE3ELNS1_11target_archE908ELNS1_3gpuE7ELNS1_3repE0EEENS1_30default_config_static_selectorELNS0_4arch9wavefront6targetE1EEEvT1_
	.p2align	8
	.type	_ZN7rocprim17ROCPRIM_400000_NS6detail17trampoline_kernelINS0_14default_configENS1_20scan_config_selectorIiEEZZNS1_9scan_implILNS1_25lookback_scan_determinismE0ELb0ELb1ES3_N6thrust23THRUST_200600_302600_NS6detail15normal_iteratorINS9_10device_ptrIiEEEESE_iNS9_10multipliesIiEEiEEDaPvRmT3_T4_T5_mT6_P12ihipStream_tbENKUlT_T0_E_clISt17integral_constantIbLb1EEST_IbLb0EEEEDaSP_SQ_EUlSP_E_NS1_11comp_targetILNS1_3genE3ELNS1_11target_archE908ELNS1_3gpuE7ELNS1_3repE0EEENS1_30default_config_static_selectorELNS0_4arch9wavefront6targetE1EEEvT1_,@function
_ZN7rocprim17ROCPRIM_400000_NS6detail17trampoline_kernelINS0_14default_configENS1_20scan_config_selectorIiEEZZNS1_9scan_implILNS1_25lookback_scan_determinismE0ELb0ELb1ES3_N6thrust23THRUST_200600_302600_NS6detail15normal_iteratorINS9_10device_ptrIiEEEESE_iNS9_10multipliesIiEEiEEDaPvRmT3_T4_T5_mT6_P12ihipStream_tbENKUlT_T0_E_clISt17integral_constantIbLb1EEST_IbLb0EEEEDaSP_SQ_EUlSP_E_NS1_11comp_targetILNS1_3genE3ELNS1_11target_archE908ELNS1_3gpuE7ELNS1_3repE0EEENS1_30default_config_static_selectorELNS0_4arch9wavefront6targetE1EEEvT1_: ; @_ZN7rocprim17ROCPRIM_400000_NS6detail17trampoline_kernelINS0_14default_configENS1_20scan_config_selectorIiEEZZNS1_9scan_implILNS1_25lookback_scan_determinismE0ELb0ELb1ES3_N6thrust23THRUST_200600_302600_NS6detail15normal_iteratorINS9_10device_ptrIiEEEESE_iNS9_10multipliesIiEEiEEDaPvRmT3_T4_T5_mT6_P12ihipStream_tbENKUlT_T0_E_clISt17integral_constantIbLb1EEST_IbLb0EEEEDaSP_SQ_EUlSP_E_NS1_11comp_targetILNS1_3genE3ELNS1_11target_archE908ELNS1_3gpuE7ELNS1_3repE0EEENS1_30default_config_static_selectorELNS0_4arch9wavefront6targetE1EEEvT1_
; %bb.0:
	.section	.rodata,"a",@progbits
	.p2align	6, 0x0
	.amdhsa_kernel _ZN7rocprim17ROCPRIM_400000_NS6detail17trampoline_kernelINS0_14default_configENS1_20scan_config_selectorIiEEZZNS1_9scan_implILNS1_25lookback_scan_determinismE0ELb0ELb1ES3_N6thrust23THRUST_200600_302600_NS6detail15normal_iteratorINS9_10device_ptrIiEEEESE_iNS9_10multipliesIiEEiEEDaPvRmT3_T4_T5_mT6_P12ihipStream_tbENKUlT_T0_E_clISt17integral_constantIbLb1EEST_IbLb0EEEEDaSP_SQ_EUlSP_E_NS1_11comp_targetILNS1_3genE3ELNS1_11target_archE908ELNS1_3gpuE7ELNS1_3repE0EEENS1_30default_config_static_selectorELNS0_4arch9wavefront6targetE1EEEvT1_
		.amdhsa_group_segment_fixed_size 0
		.amdhsa_private_segment_fixed_size 0
		.amdhsa_kernarg_size 96
		.amdhsa_user_sgpr_count 6
		.amdhsa_user_sgpr_private_segment_buffer 1
		.amdhsa_user_sgpr_dispatch_ptr 0
		.amdhsa_user_sgpr_queue_ptr 0
		.amdhsa_user_sgpr_kernarg_segment_ptr 1
		.amdhsa_user_sgpr_dispatch_id 0
		.amdhsa_user_sgpr_flat_scratch_init 0
		.amdhsa_user_sgpr_kernarg_preload_length 0
		.amdhsa_user_sgpr_kernarg_preload_offset 0
		.amdhsa_user_sgpr_private_segment_size 0
		.amdhsa_uses_dynamic_stack 0
		.amdhsa_system_sgpr_private_segment_wavefront_offset 0
		.amdhsa_system_sgpr_workgroup_id_x 1
		.amdhsa_system_sgpr_workgroup_id_y 0
		.amdhsa_system_sgpr_workgroup_id_z 0
		.amdhsa_system_sgpr_workgroup_info 0
		.amdhsa_system_vgpr_workitem_id 0
		.amdhsa_next_free_vgpr 1
		.amdhsa_next_free_sgpr 0
		.amdhsa_accum_offset 4
		.amdhsa_reserve_vcc 0
		.amdhsa_reserve_flat_scratch 0
		.amdhsa_float_round_mode_32 0
		.amdhsa_float_round_mode_16_64 0
		.amdhsa_float_denorm_mode_32 3
		.amdhsa_float_denorm_mode_16_64 3
		.amdhsa_dx10_clamp 1
		.amdhsa_ieee_mode 1
		.amdhsa_fp16_overflow 0
		.amdhsa_tg_split 0
		.amdhsa_exception_fp_ieee_invalid_op 0
		.amdhsa_exception_fp_denorm_src 0
		.amdhsa_exception_fp_ieee_div_zero 0
		.amdhsa_exception_fp_ieee_overflow 0
		.amdhsa_exception_fp_ieee_underflow 0
		.amdhsa_exception_fp_ieee_inexact 0
		.amdhsa_exception_int_div_zero 0
	.end_amdhsa_kernel
	.section	.text._ZN7rocprim17ROCPRIM_400000_NS6detail17trampoline_kernelINS0_14default_configENS1_20scan_config_selectorIiEEZZNS1_9scan_implILNS1_25lookback_scan_determinismE0ELb0ELb1ES3_N6thrust23THRUST_200600_302600_NS6detail15normal_iteratorINS9_10device_ptrIiEEEESE_iNS9_10multipliesIiEEiEEDaPvRmT3_T4_T5_mT6_P12ihipStream_tbENKUlT_T0_E_clISt17integral_constantIbLb1EEST_IbLb0EEEEDaSP_SQ_EUlSP_E_NS1_11comp_targetILNS1_3genE3ELNS1_11target_archE908ELNS1_3gpuE7ELNS1_3repE0EEENS1_30default_config_static_selectorELNS0_4arch9wavefront6targetE1EEEvT1_,"axG",@progbits,_ZN7rocprim17ROCPRIM_400000_NS6detail17trampoline_kernelINS0_14default_configENS1_20scan_config_selectorIiEEZZNS1_9scan_implILNS1_25lookback_scan_determinismE0ELb0ELb1ES3_N6thrust23THRUST_200600_302600_NS6detail15normal_iteratorINS9_10device_ptrIiEEEESE_iNS9_10multipliesIiEEiEEDaPvRmT3_T4_T5_mT6_P12ihipStream_tbENKUlT_T0_E_clISt17integral_constantIbLb1EEST_IbLb0EEEEDaSP_SQ_EUlSP_E_NS1_11comp_targetILNS1_3genE3ELNS1_11target_archE908ELNS1_3gpuE7ELNS1_3repE0EEENS1_30default_config_static_selectorELNS0_4arch9wavefront6targetE1EEEvT1_,comdat
.Lfunc_end627:
	.size	_ZN7rocprim17ROCPRIM_400000_NS6detail17trampoline_kernelINS0_14default_configENS1_20scan_config_selectorIiEEZZNS1_9scan_implILNS1_25lookback_scan_determinismE0ELb0ELb1ES3_N6thrust23THRUST_200600_302600_NS6detail15normal_iteratorINS9_10device_ptrIiEEEESE_iNS9_10multipliesIiEEiEEDaPvRmT3_T4_T5_mT6_P12ihipStream_tbENKUlT_T0_E_clISt17integral_constantIbLb1EEST_IbLb0EEEEDaSP_SQ_EUlSP_E_NS1_11comp_targetILNS1_3genE3ELNS1_11target_archE908ELNS1_3gpuE7ELNS1_3repE0EEENS1_30default_config_static_selectorELNS0_4arch9wavefront6targetE1EEEvT1_, .Lfunc_end627-_ZN7rocprim17ROCPRIM_400000_NS6detail17trampoline_kernelINS0_14default_configENS1_20scan_config_selectorIiEEZZNS1_9scan_implILNS1_25lookback_scan_determinismE0ELb0ELb1ES3_N6thrust23THRUST_200600_302600_NS6detail15normal_iteratorINS9_10device_ptrIiEEEESE_iNS9_10multipliesIiEEiEEDaPvRmT3_T4_T5_mT6_P12ihipStream_tbENKUlT_T0_E_clISt17integral_constantIbLb1EEST_IbLb0EEEEDaSP_SQ_EUlSP_E_NS1_11comp_targetILNS1_3genE3ELNS1_11target_archE908ELNS1_3gpuE7ELNS1_3repE0EEENS1_30default_config_static_selectorELNS0_4arch9wavefront6targetE1EEEvT1_
                                        ; -- End function
	.section	.AMDGPU.csdata,"",@progbits
; Kernel info:
; codeLenInByte = 0
; NumSgprs: 4
; NumVgprs: 0
; NumAgprs: 0
; TotalNumVgprs: 0
; ScratchSize: 0
; MemoryBound: 0
; FloatMode: 240
; IeeeMode: 1
; LDSByteSize: 0 bytes/workgroup (compile time only)
; SGPRBlocks: 0
; VGPRBlocks: 0
; NumSGPRsForWavesPerEU: 4
; NumVGPRsForWavesPerEU: 1
; AccumOffset: 4
; Occupancy: 8
; WaveLimiterHint : 0
; COMPUTE_PGM_RSRC2:SCRATCH_EN: 0
; COMPUTE_PGM_RSRC2:USER_SGPR: 6
; COMPUTE_PGM_RSRC2:TRAP_HANDLER: 0
; COMPUTE_PGM_RSRC2:TGID_X_EN: 1
; COMPUTE_PGM_RSRC2:TGID_Y_EN: 0
; COMPUTE_PGM_RSRC2:TGID_Z_EN: 0
; COMPUTE_PGM_RSRC2:TIDIG_COMP_CNT: 0
; COMPUTE_PGM_RSRC3_GFX90A:ACCUM_OFFSET: 0
; COMPUTE_PGM_RSRC3_GFX90A:TG_SPLIT: 0
	.section	.text._ZN7rocprim17ROCPRIM_400000_NS6detail17trampoline_kernelINS0_14default_configENS1_20scan_config_selectorIiEEZZNS1_9scan_implILNS1_25lookback_scan_determinismE0ELb0ELb1ES3_N6thrust23THRUST_200600_302600_NS6detail15normal_iteratorINS9_10device_ptrIiEEEESE_iNS9_10multipliesIiEEiEEDaPvRmT3_T4_T5_mT6_P12ihipStream_tbENKUlT_T0_E_clISt17integral_constantIbLb1EEST_IbLb0EEEEDaSP_SQ_EUlSP_E_NS1_11comp_targetILNS1_3genE2ELNS1_11target_archE906ELNS1_3gpuE6ELNS1_3repE0EEENS1_30default_config_static_selectorELNS0_4arch9wavefront6targetE1EEEvT1_,"axG",@progbits,_ZN7rocprim17ROCPRIM_400000_NS6detail17trampoline_kernelINS0_14default_configENS1_20scan_config_selectorIiEEZZNS1_9scan_implILNS1_25lookback_scan_determinismE0ELb0ELb1ES3_N6thrust23THRUST_200600_302600_NS6detail15normal_iteratorINS9_10device_ptrIiEEEESE_iNS9_10multipliesIiEEiEEDaPvRmT3_T4_T5_mT6_P12ihipStream_tbENKUlT_T0_E_clISt17integral_constantIbLb1EEST_IbLb0EEEEDaSP_SQ_EUlSP_E_NS1_11comp_targetILNS1_3genE2ELNS1_11target_archE906ELNS1_3gpuE6ELNS1_3repE0EEENS1_30default_config_static_selectorELNS0_4arch9wavefront6targetE1EEEvT1_,comdat
	.protected	_ZN7rocprim17ROCPRIM_400000_NS6detail17trampoline_kernelINS0_14default_configENS1_20scan_config_selectorIiEEZZNS1_9scan_implILNS1_25lookback_scan_determinismE0ELb0ELb1ES3_N6thrust23THRUST_200600_302600_NS6detail15normal_iteratorINS9_10device_ptrIiEEEESE_iNS9_10multipliesIiEEiEEDaPvRmT3_T4_T5_mT6_P12ihipStream_tbENKUlT_T0_E_clISt17integral_constantIbLb1EEST_IbLb0EEEEDaSP_SQ_EUlSP_E_NS1_11comp_targetILNS1_3genE2ELNS1_11target_archE906ELNS1_3gpuE6ELNS1_3repE0EEENS1_30default_config_static_selectorELNS0_4arch9wavefront6targetE1EEEvT1_ ; -- Begin function _ZN7rocprim17ROCPRIM_400000_NS6detail17trampoline_kernelINS0_14default_configENS1_20scan_config_selectorIiEEZZNS1_9scan_implILNS1_25lookback_scan_determinismE0ELb0ELb1ES3_N6thrust23THRUST_200600_302600_NS6detail15normal_iteratorINS9_10device_ptrIiEEEESE_iNS9_10multipliesIiEEiEEDaPvRmT3_T4_T5_mT6_P12ihipStream_tbENKUlT_T0_E_clISt17integral_constantIbLb1EEST_IbLb0EEEEDaSP_SQ_EUlSP_E_NS1_11comp_targetILNS1_3genE2ELNS1_11target_archE906ELNS1_3gpuE6ELNS1_3repE0EEENS1_30default_config_static_selectorELNS0_4arch9wavefront6targetE1EEEvT1_
	.globl	_ZN7rocprim17ROCPRIM_400000_NS6detail17trampoline_kernelINS0_14default_configENS1_20scan_config_selectorIiEEZZNS1_9scan_implILNS1_25lookback_scan_determinismE0ELb0ELb1ES3_N6thrust23THRUST_200600_302600_NS6detail15normal_iteratorINS9_10device_ptrIiEEEESE_iNS9_10multipliesIiEEiEEDaPvRmT3_T4_T5_mT6_P12ihipStream_tbENKUlT_T0_E_clISt17integral_constantIbLb1EEST_IbLb0EEEEDaSP_SQ_EUlSP_E_NS1_11comp_targetILNS1_3genE2ELNS1_11target_archE906ELNS1_3gpuE6ELNS1_3repE0EEENS1_30default_config_static_selectorELNS0_4arch9wavefront6targetE1EEEvT1_
	.p2align	8
	.type	_ZN7rocprim17ROCPRIM_400000_NS6detail17trampoline_kernelINS0_14default_configENS1_20scan_config_selectorIiEEZZNS1_9scan_implILNS1_25lookback_scan_determinismE0ELb0ELb1ES3_N6thrust23THRUST_200600_302600_NS6detail15normal_iteratorINS9_10device_ptrIiEEEESE_iNS9_10multipliesIiEEiEEDaPvRmT3_T4_T5_mT6_P12ihipStream_tbENKUlT_T0_E_clISt17integral_constantIbLb1EEST_IbLb0EEEEDaSP_SQ_EUlSP_E_NS1_11comp_targetILNS1_3genE2ELNS1_11target_archE906ELNS1_3gpuE6ELNS1_3repE0EEENS1_30default_config_static_selectorELNS0_4arch9wavefront6targetE1EEEvT1_,@function
_ZN7rocprim17ROCPRIM_400000_NS6detail17trampoline_kernelINS0_14default_configENS1_20scan_config_selectorIiEEZZNS1_9scan_implILNS1_25lookback_scan_determinismE0ELb0ELb1ES3_N6thrust23THRUST_200600_302600_NS6detail15normal_iteratorINS9_10device_ptrIiEEEESE_iNS9_10multipliesIiEEiEEDaPvRmT3_T4_T5_mT6_P12ihipStream_tbENKUlT_T0_E_clISt17integral_constantIbLb1EEST_IbLb0EEEEDaSP_SQ_EUlSP_E_NS1_11comp_targetILNS1_3genE2ELNS1_11target_archE906ELNS1_3gpuE6ELNS1_3repE0EEENS1_30default_config_static_selectorELNS0_4arch9wavefront6targetE1EEEvT1_: ; @_ZN7rocprim17ROCPRIM_400000_NS6detail17trampoline_kernelINS0_14default_configENS1_20scan_config_selectorIiEEZZNS1_9scan_implILNS1_25lookback_scan_determinismE0ELb0ELb1ES3_N6thrust23THRUST_200600_302600_NS6detail15normal_iteratorINS9_10device_ptrIiEEEESE_iNS9_10multipliesIiEEiEEDaPvRmT3_T4_T5_mT6_P12ihipStream_tbENKUlT_T0_E_clISt17integral_constantIbLb1EEST_IbLb0EEEEDaSP_SQ_EUlSP_E_NS1_11comp_targetILNS1_3genE2ELNS1_11target_archE906ELNS1_3gpuE6ELNS1_3repE0EEENS1_30default_config_static_selectorELNS0_4arch9wavefront6targetE1EEEvT1_
; %bb.0:
	.section	.rodata,"a",@progbits
	.p2align	6, 0x0
	.amdhsa_kernel _ZN7rocprim17ROCPRIM_400000_NS6detail17trampoline_kernelINS0_14default_configENS1_20scan_config_selectorIiEEZZNS1_9scan_implILNS1_25lookback_scan_determinismE0ELb0ELb1ES3_N6thrust23THRUST_200600_302600_NS6detail15normal_iteratorINS9_10device_ptrIiEEEESE_iNS9_10multipliesIiEEiEEDaPvRmT3_T4_T5_mT6_P12ihipStream_tbENKUlT_T0_E_clISt17integral_constantIbLb1EEST_IbLb0EEEEDaSP_SQ_EUlSP_E_NS1_11comp_targetILNS1_3genE2ELNS1_11target_archE906ELNS1_3gpuE6ELNS1_3repE0EEENS1_30default_config_static_selectorELNS0_4arch9wavefront6targetE1EEEvT1_
		.amdhsa_group_segment_fixed_size 0
		.amdhsa_private_segment_fixed_size 0
		.amdhsa_kernarg_size 96
		.amdhsa_user_sgpr_count 6
		.amdhsa_user_sgpr_private_segment_buffer 1
		.amdhsa_user_sgpr_dispatch_ptr 0
		.amdhsa_user_sgpr_queue_ptr 0
		.amdhsa_user_sgpr_kernarg_segment_ptr 1
		.amdhsa_user_sgpr_dispatch_id 0
		.amdhsa_user_sgpr_flat_scratch_init 0
		.amdhsa_user_sgpr_kernarg_preload_length 0
		.amdhsa_user_sgpr_kernarg_preload_offset 0
		.amdhsa_user_sgpr_private_segment_size 0
		.amdhsa_uses_dynamic_stack 0
		.amdhsa_system_sgpr_private_segment_wavefront_offset 0
		.amdhsa_system_sgpr_workgroup_id_x 1
		.amdhsa_system_sgpr_workgroup_id_y 0
		.amdhsa_system_sgpr_workgroup_id_z 0
		.amdhsa_system_sgpr_workgroup_info 0
		.amdhsa_system_vgpr_workitem_id 0
		.amdhsa_next_free_vgpr 1
		.amdhsa_next_free_sgpr 0
		.amdhsa_accum_offset 4
		.amdhsa_reserve_vcc 0
		.amdhsa_reserve_flat_scratch 0
		.amdhsa_float_round_mode_32 0
		.amdhsa_float_round_mode_16_64 0
		.amdhsa_float_denorm_mode_32 3
		.amdhsa_float_denorm_mode_16_64 3
		.amdhsa_dx10_clamp 1
		.amdhsa_ieee_mode 1
		.amdhsa_fp16_overflow 0
		.amdhsa_tg_split 0
		.amdhsa_exception_fp_ieee_invalid_op 0
		.amdhsa_exception_fp_denorm_src 0
		.amdhsa_exception_fp_ieee_div_zero 0
		.amdhsa_exception_fp_ieee_overflow 0
		.amdhsa_exception_fp_ieee_underflow 0
		.amdhsa_exception_fp_ieee_inexact 0
		.amdhsa_exception_int_div_zero 0
	.end_amdhsa_kernel
	.section	.text._ZN7rocprim17ROCPRIM_400000_NS6detail17trampoline_kernelINS0_14default_configENS1_20scan_config_selectorIiEEZZNS1_9scan_implILNS1_25lookback_scan_determinismE0ELb0ELb1ES3_N6thrust23THRUST_200600_302600_NS6detail15normal_iteratorINS9_10device_ptrIiEEEESE_iNS9_10multipliesIiEEiEEDaPvRmT3_T4_T5_mT6_P12ihipStream_tbENKUlT_T0_E_clISt17integral_constantIbLb1EEST_IbLb0EEEEDaSP_SQ_EUlSP_E_NS1_11comp_targetILNS1_3genE2ELNS1_11target_archE906ELNS1_3gpuE6ELNS1_3repE0EEENS1_30default_config_static_selectorELNS0_4arch9wavefront6targetE1EEEvT1_,"axG",@progbits,_ZN7rocprim17ROCPRIM_400000_NS6detail17trampoline_kernelINS0_14default_configENS1_20scan_config_selectorIiEEZZNS1_9scan_implILNS1_25lookback_scan_determinismE0ELb0ELb1ES3_N6thrust23THRUST_200600_302600_NS6detail15normal_iteratorINS9_10device_ptrIiEEEESE_iNS9_10multipliesIiEEiEEDaPvRmT3_T4_T5_mT6_P12ihipStream_tbENKUlT_T0_E_clISt17integral_constantIbLb1EEST_IbLb0EEEEDaSP_SQ_EUlSP_E_NS1_11comp_targetILNS1_3genE2ELNS1_11target_archE906ELNS1_3gpuE6ELNS1_3repE0EEENS1_30default_config_static_selectorELNS0_4arch9wavefront6targetE1EEEvT1_,comdat
.Lfunc_end628:
	.size	_ZN7rocprim17ROCPRIM_400000_NS6detail17trampoline_kernelINS0_14default_configENS1_20scan_config_selectorIiEEZZNS1_9scan_implILNS1_25lookback_scan_determinismE0ELb0ELb1ES3_N6thrust23THRUST_200600_302600_NS6detail15normal_iteratorINS9_10device_ptrIiEEEESE_iNS9_10multipliesIiEEiEEDaPvRmT3_T4_T5_mT6_P12ihipStream_tbENKUlT_T0_E_clISt17integral_constantIbLb1EEST_IbLb0EEEEDaSP_SQ_EUlSP_E_NS1_11comp_targetILNS1_3genE2ELNS1_11target_archE906ELNS1_3gpuE6ELNS1_3repE0EEENS1_30default_config_static_selectorELNS0_4arch9wavefront6targetE1EEEvT1_, .Lfunc_end628-_ZN7rocprim17ROCPRIM_400000_NS6detail17trampoline_kernelINS0_14default_configENS1_20scan_config_selectorIiEEZZNS1_9scan_implILNS1_25lookback_scan_determinismE0ELb0ELb1ES3_N6thrust23THRUST_200600_302600_NS6detail15normal_iteratorINS9_10device_ptrIiEEEESE_iNS9_10multipliesIiEEiEEDaPvRmT3_T4_T5_mT6_P12ihipStream_tbENKUlT_T0_E_clISt17integral_constantIbLb1EEST_IbLb0EEEEDaSP_SQ_EUlSP_E_NS1_11comp_targetILNS1_3genE2ELNS1_11target_archE906ELNS1_3gpuE6ELNS1_3repE0EEENS1_30default_config_static_selectorELNS0_4arch9wavefront6targetE1EEEvT1_
                                        ; -- End function
	.section	.AMDGPU.csdata,"",@progbits
; Kernel info:
; codeLenInByte = 0
; NumSgprs: 4
; NumVgprs: 0
; NumAgprs: 0
; TotalNumVgprs: 0
; ScratchSize: 0
; MemoryBound: 0
; FloatMode: 240
; IeeeMode: 1
; LDSByteSize: 0 bytes/workgroup (compile time only)
; SGPRBlocks: 0
; VGPRBlocks: 0
; NumSGPRsForWavesPerEU: 4
; NumVGPRsForWavesPerEU: 1
; AccumOffset: 4
; Occupancy: 8
; WaveLimiterHint : 0
; COMPUTE_PGM_RSRC2:SCRATCH_EN: 0
; COMPUTE_PGM_RSRC2:USER_SGPR: 6
; COMPUTE_PGM_RSRC2:TRAP_HANDLER: 0
; COMPUTE_PGM_RSRC2:TGID_X_EN: 1
; COMPUTE_PGM_RSRC2:TGID_Y_EN: 0
; COMPUTE_PGM_RSRC2:TGID_Z_EN: 0
; COMPUTE_PGM_RSRC2:TIDIG_COMP_CNT: 0
; COMPUTE_PGM_RSRC3_GFX90A:ACCUM_OFFSET: 0
; COMPUTE_PGM_RSRC3_GFX90A:TG_SPLIT: 0
	.section	.text._ZN7rocprim17ROCPRIM_400000_NS6detail17trampoline_kernelINS0_14default_configENS1_20scan_config_selectorIiEEZZNS1_9scan_implILNS1_25lookback_scan_determinismE0ELb0ELb1ES3_N6thrust23THRUST_200600_302600_NS6detail15normal_iteratorINS9_10device_ptrIiEEEESE_iNS9_10multipliesIiEEiEEDaPvRmT3_T4_T5_mT6_P12ihipStream_tbENKUlT_T0_E_clISt17integral_constantIbLb1EEST_IbLb0EEEEDaSP_SQ_EUlSP_E_NS1_11comp_targetILNS1_3genE10ELNS1_11target_archE1201ELNS1_3gpuE5ELNS1_3repE0EEENS1_30default_config_static_selectorELNS0_4arch9wavefront6targetE1EEEvT1_,"axG",@progbits,_ZN7rocprim17ROCPRIM_400000_NS6detail17trampoline_kernelINS0_14default_configENS1_20scan_config_selectorIiEEZZNS1_9scan_implILNS1_25lookback_scan_determinismE0ELb0ELb1ES3_N6thrust23THRUST_200600_302600_NS6detail15normal_iteratorINS9_10device_ptrIiEEEESE_iNS9_10multipliesIiEEiEEDaPvRmT3_T4_T5_mT6_P12ihipStream_tbENKUlT_T0_E_clISt17integral_constantIbLb1EEST_IbLb0EEEEDaSP_SQ_EUlSP_E_NS1_11comp_targetILNS1_3genE10ELNS1_11target_archE1201ELNS1_3gpuE5ELNS1_3repE0EEENS1_30default_config_static_selectorELNS0_4arch9wavefront6targetE1EEEvT1_,comdat
	.protected	_ZN7rocprim17ROCPRIM_400000_NS6detail17trampoline_kernelINS0_14default_configENS1_20scan_config_selectorIiEEZZNS1_9scan_implILNS1_25lookback_scan_determinismE0ELb0ELb1ES3_N6thrust23THRUST_200600_302600_NS6detail15normal_iteratorINS9_10device_ptrIiEEEESE_iNS9_10multipliesIiEEiEEDaPvRmT3_T4_T5_mT6_P12ihipStream_tbENKUlT_T0_E_clISt17integral_constantIbLb1EEST_IbLb0EEEEDaSP_SQ_EUlSP_E_NS1_11comp_targetILNS1_3genE10ELNS1_11target_archE1201ELNS1_3gpuE5ELNS1_3repE0EEENS1_30default_config_static_selectorELNS0_4arch9wavefront6targetE1EEEvT1_ ; -- Begin function _ZN7rocprim17ROCPRIM_400000_NS6detail17trampoline_kernelINS0_14default_configENS1_20scan_config_selectorIiEEZZNS1_9scan_implILNS1_25lookback_scan_determinismE0ELb0ELb1ES3_N6thrust23THRUST_200600_302600_NS6detail15normal_iteratorINS9_10device_ptrIiEEEESE_iNS9_10multipliesIiEEiEEDaPvRmT3_T4_T5_mT6_P12ihipStream_tbENKUlT_T0_E_clISt17integral_constantIbLb1EEST_IbLb0EEEEDaSP_SQ_EUlSP_E_NS1_11comp_targetILNS1_3genE10ELNS1_11target_archE1201ELNS1_3gpuE5ELNS1_3repE0EEENS1_30default_config_static_selectorELNS0_4arch9wavefront6targetE1EEEvT1_
	.globl	_ZN7rocprim17ROCPRIM_400000_NS6detail17trampoline_kernelINS0_14default_configENS1_20scan_config_selectorIiEEZZNS1_9scan_implILNS1_25lookback_scan_determinismE0ELb0ELb1ES3_N6thrust23THRUST_200600_302600_NS6detail15normal_iteratorINS9_10device_ptrIiEEEESE_iNS9_10multipliesIiEEiEEDaPvRmT3_T4_T5_mT6_P12ihipStream_tbENKUlT_T0_E_clISt17integral_constantIbLb1EEST_IbLb0EEEEDaSP_SQ_EUlSP_E_NS1_11comp_targetILNS1_3genE10ELNS1_11target_archE1201ELNS1_3gpuE5ELNS1_3repE0EEENS1_30default_config_static_selectorELNS0_4arch9wavefront6targetE1EEEvT1_
	.p2align	8
	.type	_ZN7rocprim17ROCPRIM_400000_NS6detail17trampoline_kernelINS0_14default_configENS1_20scan_config_selectorIiEEZZNS1_9scan_implILNS1_25lookback_scan_determinismE0ELb0ELb1ES3_N6thrust23THRUST_200600_302600_NS6detail15normal_iteratorINS9_10device_ptrIiEEEESE_iNS9_10multipliesIiEEiEEDaPvRmT3_T4_T5_mT6_P12ihipStream_tbENKUlT_T0_E_clISt17integral_constantIbLb1EEST_IbLb0EEEEDaSP_SQ_EUlSP_E_NS1_11comp_targetILNS1_3genE10ELNS1_11target_archE1201ELNS1_3gpuE5ELNS1_3repE0EEENS1_30default_config_static_selectorELNS0_4arch9wavefront6targetE1EEEvT1_,@function
_ZN7rocprim17ROCPRIM_400000_NS6detail17trampoline_kernelINS0_14default_configENS1_20scan_config_selectorIiEEZZNS1_9scan_implILNS1_25lookback_scan_determinismE0ELb0ELb1ES3_N6thrust23THRUST_200600_302600_NS6detail15normal_iteratorINS9_10device_ptrIiEEEESE_iNS9_10multipliesIiEEiEEDaPvRmT3_T4_T5_mT6_P12ihipStream_tbENKUlT_T0_E_clISt17integral_constantIbLb1EEST_IbLb0EEEEDaSP_SQ_EUlSP_E_NS1_11comp_targetILNS1_3genE10ELNS1_11target_archE1201ELNS1_3gpuE5ELNS1_3repE0EEENS1_30default_config_static_selectorELNS0_4arch9wavefront6targetE1EEEvT1_: ; @_ZN7rocprim17ROCPRIM_400000_NS6detail17trampoline_kernelINS0_14default_configENS1_20scan_config_selectorIiEEZZNS1_9scan_implILNS1_25lookback_scan_determinismE0ELb0ELb1ES3_N6thrust23THRUST_200600_302600_NS6detail15normal_iteratorINS9_10device_ptrIiEEEESE_iNS9_10multipliesIiEEiEEDaPvRmT3_T4_T5_mT6_P12ihipStream_tbENKUlT_T0_E_clISt17integral_constantIbLb1EEST_IbLb0EEEEDaSP_SQ_EUlSP_E_NS1_11comp_targetILNS1_3genE10ELNS1_11target_archE1201ELNS1_3gpuE5ELNS1_3repE0EEENS1_30default_config_static_selectorELNS0_4arch9wavefront6targetE1EEEvT1_
; %bb.0:
	.section	.rodata,"a",@progbits
	.p2align	6, 0x0
	.amdhsa_kernel _ZN7rocprim17ROCPRIM_400000_NS6detail17trampoline_kernelINS0_14default_configENS1_20scan_config_selectorIiEEZZNS1_9scan_implILNS1_25lookback_scan_determinismE0ELb0ELb1ES3_N6thrust23THRUST_200600_302600_NS6detail15normal_iteratorINS9_10device_ptrIiEEEESE_iNS9_10multipliesIiEEiEEDaPvRmT3_T4_T5_mT6_P12ihipStream_tbENKUlT_T0_E_clISt17integral_constantIbLb1EEST_IbLb0EEEEDaSP_SQ_EUlSP_E_NS1_11comp_targetILNS1_3genE10ELNS1_11target_archE1201ELNS1_3gpuE5ELNS1_3repE0EEENS1_30default_config_static_selectorELNS0_4arch9wavefront6targetE1EEEvT1_
		.amdhsa_group_segment_fixed_size 0
		.amdhsa_private_segment_fixed_size 0
		.amdhsa_kernarg_size 96
		.amdhsa_user_sgpr_count 6
		.amdhsa_user_sgpr_private_segment_buffer 1
		.amdhsa_user_sgpr_dispatch_ptr 0
		.amdhsa_user_sgpr_queue_ptr 0
		.amdhsa_user_sgpr_kernarg_segment_ptr 1
		.amdhsa_user_sgpr_dispatch_id 0
		.amdhsa_user_sgpr_flat_scratch_init 0
		.amdhsa_user_sgpr_kernarg_preload_length 0
		.amdhsa_user_sgpr_kernarg_preload_offset 0
		.amdhsa_user_sgpr_private_segment_size 0
		.amdhsa_uses_dynamic_stack 0
		.amdhsa_system_sgpr_private_segment_wavefront_offset 0
		.amdhsa_system_sgpr_workgroup_id_x 1
		.amdhsa_system_sgpr_workgroup_id_y 0
		.amdhsa_system_sgpr_workgroup_id_z 0
		.amdhsa_system_sgpr_workgroup_info 0
		.amdhsa_system_vgpr_workitem_id 0
		.amdhsa_next_free_vgpr 1
		.amdhsa_next_free_sgpr 0
		.amdhsa_accum_offset 4
		.amdhsa_reserve_vcc 0
		.amdhsa_reserve_flat_scratch 0
		.amdhsa_float_round_mode_32 0
		.amdhsa_float_round_mode_16_64 0
		.amdhsa_float_denorm_mode_32 3
		.amdhsa_float_denorm_mode_16_64 3
		.amdhsa_dx10_clamp 1
		.amdhsa_ieee_mode 1
		.amdhsa_fp16_overflow 0
		.amdhsa_tg_split 0
		.amdhsa_exception_fp_ieee_invalid_op 0
		.amdhsa_exception_fp_denorm_src 0
		.amdhsa_exception_fp_ieee_div_zero 0
		.amdhsa_exception_fp_ieee_overflow 0
		.amdhsa_exception_fp_ieee_underflow 0
		.amdhsa_exception_fp_ieee_inexact 0
		.amdhsa_exception_int_div_zero 0
	.end_amdhsa_kernel
	.section	.text._ZN7rocprim17ROCPRIM_400000_NS6detail17trampoline_kernelINS0_14default_configENS1_20scan_config_selectorIiEEZZNS1_9scan_implILNS1_25lookback_scan_determinismE0ELb0ELb1ES3_N6thrust23THRUST_200600_302600_NS6detail15normal_iteratorINS9_10device_ptrIiEEEESE_iNS9_10multipliesIiEEiEEDaPvRmT3_T4_T5_mT6_P12ihipStream_tbENKUlT_T0_E_clISt17integral_constantIbLb1EEST_IbLb0EEEEDaSP_SQ_EUlSP_E_NS1_11comp_targetILNS1_3genE10ELNS1_11target_archE1201ELNS1_3gpuE5ELNS1_3repE0EEENS1_30default_config_static_selectorELNS0_4arch9wavefront6targetE1EEEvT1_,"axG",@progbits,_ZN7rocprim17ROCPRIM_400000_NS6detail17trampoline_kernelINS0_14default_configENS1_20scan_config_selectorIiEEZZNS1_9scan_implILNS1_25lookback_scan_determinismE0ELb0ELb1ES3_N6thrust23THRUST_200600_302600_NS6detail15normal_iteratorINS9_10device_ptrIiEEEESE_iNS9_10multipliesIiEEiEEDaPvRmT3_T4_T5_mT6_P12ihipStream_tbENKUlT_T0_E_clISt17integral_constantIbLb1EEST_IbLb0EEEEDaSP_SQ_EUlSP_E_NS1_11comp_targetILNS1_3genE10ELNS1_11target_archE1201ELNS1_3gpuE5ELNS1_3repE0EEENS1_30default_config_static_selectorELNS0_4arch9wavefront6targetE1EEEvT1_,comdat
.Lfunc_end629:
	.size	_ZN7rocprim17ROCPRIM_400000_NS6detail17trampoline_kernelINS0_14default_configENS1_20scan_config_selectorIiEEZZNS1_9scan_implILNS1_25lookback_scan_determinismE0ELb0ELb1ES3_N6thrust23THRUST_200600_302600_NS6detail15normal_iteratorINS9_10device_ptrIiEEEESE_iNS9_10multipliesIiEEiEEDaPvRmT3_T4_T5_mT6_P12ihipStream_tbENKUlT_T0_E_clISt17integral_constantIbLb1EEST_IbLb0EEEEDaSP_SQ_EUlSP_E_NS1_11comp_targetILNS1_3genE10ELNS1_11target_archE1201ELNS1_3gpuE5ELNS1_3repE0EEENS1_30default_config_static_selectorELNS0_4arch9wavefront6targetE1EEEvT1_, .Lfunc_end629-_ZN7rocprim17ROCPRIM_400000_NS6detail17trampoline_kernelINS0_14default_configENS1_20scan_config_selectorIiEEZZNS1_9scan_implILNS1_25lookback_scan_determinismE0ELb0ELb1ES3_N6thrust23THRUST_200600_302600_NS6detail15normal_iteratorINS9_10device_ptrIiEEEESE_iNS9_10multipliesIiEEiEEDaPvRmT3_T4_T5_mT6_P12ihipStream_tbENKUlT_T0_E_clISt17integral_constantIbLb1EEST_IbLb0EEEEDaSP_SQ_EUlSP_E_NS1_11comp_targetILNS1_3genE10ELNS1_11target_archE1201ELNS1_3gpuE5ELNS1_3repE0EEENS1_30default_config_static_selectorELNS0_4arch9wavefront6targetE1EEEvT1_
                                        ; -- End function
	.section	.AMDGPU.csdata,"",@progbits
; Kernel info:
; codeLenInByte = 0
; NumSgprs: 4
; NumVgprs: 0
; NumAgprs: 0
; TotalNumVgprs: 0
; ScratchSize: 0
; MemoryBound: 0
; FloatMode: 240
; IeeeMode: 1
; LDSByteSize: 0 bytes/workgroup (compile time only)
; SGPRBlocks: 0
; VGPRBlocks: 0
; NumSGPRsForWavesPerEU: 4
; NumVGPRsForWavesPerEU: 1
; AccumOffset: 4
; Occupancy: 8
; WaveLimiterHint : 0
; COMPUTE_PGM_RSRC2:SCRATCH_EN: 0
; COMPUTE_PGM_RSRC2:USER_SGPR: 6
; COMPUTE_PGM_RSRC2:TRAP_HANDLER: 0
; COMPUTE_PGM_RSRC2:TGID_X_EN: 1
; COMPUTE_PGM_RSRC2:TGID_Y_EN: 0
; COMPUTE_PGM_RSRC2:TGID_Z_EN: 0
; COMPUTE_PGM_RSRC2:TIDIG_COMP_CNT: 0
; COMPUTE_PGM_RSRC3_GFX90A:ACCUM_OFFSET: 0
; COMPUTE_PGM_RSRC3_GFX90A:TG_SPLIT: 0
	.section	.text._ZN7rocprim17ROCPRIM_400000_NS6detail17trampoline_kernelINS0_14default_configENS1_20scan_config_selectorIiEEZZNS1_9scan_implILNS1_25lookback_scan_determinismE0ELb0ELb1ES3_N6thrust23THRUST_200600_302600_NS6detail15normal_iteratorINS9_10device_ptrIiEEEESE_iNS9_10multipliesIiEEiEEDaPvRmT3_T4_T5_mT6_P12ihipStream_tbENKUlT_T0_E_clISt17integral_constantIbLb1EEST_IbLb0EEEEDaSP_SQ_EUlSP_E_NS1_11comp_targetILNS1_3genE10ELNS1_11target_archE1200ELNS1_3gpuE4ELNS1_3repE0EEENS1_30default_config_static_selectorELNS0_4arch9wavefront6targetE1EEEvT1_,"axG",@progbits,_ZN7rocprim17ROCPRIM_400000_NS6detail17trampoline_kernelINS0_14default_configENS1_20scan_config_selectorIiEEZZNS1_9scan_implILNS1_25lookback_scan_determinismE0ELb0ELb1ES3_N6thrust23THRUST_200600_302600_NS6detail15normal_iteratorINS9_10device_ptrIiEEEESE_iNS9_10multipliesIiEEiEEDaPvRmT3_T4_T5_mT6_P12ihipStream_tbENKUlT_T0_E_clISt17integral_constantIbLb1EEST_IbLb0EEEEDaSP_SQ_EUlSP_E_NS1_11comp_targetILNS1_3genE10ELNS1_11target_archE1200ELNS1_3gpuE4ELNS1_3repE0EEENS1_30default_config_static_selectorELNS0_4arch9wavefront6targetE1EEEvT1_,comdat
	.protected	_ZN7rocprim17ROCPRIM_400000_NS6detail17trampoline_kernelINS0_14default_configENS1_20scan_config_selectorIiEEZZNS1_9scan_implILNS1_25lookback_scan_determinismE0ELb0ELb1ES3_N6thrust23THRUST_200600_302600_NS6detail15normal_iteratorINS9_10device_ptrIiEEEESE_iNS9_10multipliesIiEEiEEDaPvRmT3_T4_T5_mT6_P12ihipStream_tbENKUlT_T0_E_clISt17integral_constantIbLb1EEST_IbLb0EEEEDaSP_SQ_EUlSP_E_NS1_11comp_targetILNS1_3genE10ELNS1_11target_archE1200ELNS1_3gpuE4ELNS1_3repE0EEENS1_30default_config_static_selectorELNS0_4arch9wavefront6targetE1EEEvT1_ ; -- Begin function _ZN7rocprim17ROCPRIM_400000_NS6detail17trampoline_kernelINS0_14default_configENS1_20scan_config_selectorIiEEZZNS1_9scan_implILNS1_25lookback_scan_determinismE0ELb0ELb1ES3_N6thrust23THRUST_200600_302600_NS6detail15normal_iteratorINS9_10device_ptrIiEEEESE_iNS9_10multipliesIiEEiEEDaPvRmT3_T4_T5_mT6_P12ihipStream_tbENKUlT_T0_E_clISt17integral_constantIbLb1EEST_IbLb0EEEEDaSP_SQ_EUlSP_E_NS1_11comp_targetILNS1_3genE10ELNS1_11target_archE1200ELNS1_3gpuE4ELNS1_3repE0EEENS1_30default_config_static_selectorELNS0_4arch9wavefront6targetE1EEEvT1_
	.globl	_ZN7rocprim17ROCPRIM_400000_NS6detail17trampoline_kernelINS0_14default_configENS1_20scan_config_selectorIiEEZZNS1_9scan_implILNS1_25lookback_scan_determinismE0ELb0ELb1ES3_N6thrust23THRUST_200600_302600_NS6detail15normal_iteratorINS9_10device_ptrIiEEEESE_iNS9_10multipliesIiEEiEEDaPvRmT3_T4_T5_mT6_P12ihipStream_tbENKUlT_T0_E_clISt17integral_constantIbLb1EEST_IbLb0EEEEDaSP_SQ_EUlSP_E_NS1_11comp_targetILNS1_3genE10ELNS1_11target_archE1200ELNS1_3gpuE4ELNS1_3repE0EEENS1_30default_config_static_selectorELNS0_4arch9wavefront6targetE1EEEvT1_
	.p2align	8
	.type	_ZN7rocprim17ROCPRIM_400000_NS6detail17trampoline_kernelINS0_14default_configENS1_20scan_config_selectorIiEEZZNS1_9scan_implILNS1_25lookback_scan_determinismE0ELb0ELb1ES3_N6thrust23THRUST_200600_302600_NS6detail15normal_iteratorINS9_10device_ptrIiEEEESE_iNS9_10multipliesIiEEiEEDaPvRmT3_T4_T5_mT6_P12ihipStream_tbENKUlT_T0_E_clISt17integral_constantIbLb1EEST_IbLb0EEEEDaSP_SQ_EUlSP_E_NS1_11comp_targetILNS1_3genE10ELNS1_11target_archE1200ELNS1_3gpuE4ELNS1_3repE0EEENS1_30default_config_static_selectorELNS0_4arch9wavefront6targetE1EEEvT1_,@function
_ZN7rocprim17ROCPRIM_400000_NS6detail17trampoline_kernelINS0_14default_configENS1_20scan_config_selectorIiEEZZNS1_9scan_implILNS1_25lookback_scan_determinismE0ELb0ELb1ES3_N6thrust23THRUST_200600_302600_NS6detail15normal_iteratorINS9_10device_ptrIiEEEESE_iNS9_10multipliesIiEEiEEDaPvRmT3_T4_T5_mT6_P12ihipStream_tbENKUlT_T0_E_clISt17integral_constantIbLb1EEST_IbLb0EEEEDaSP_SQ_EUlSP_E_NS1_11comp_targetILNS1_3genE10ELNS1_11target_archE1200ELNS1_3gpuE4ELNS1_3repE0EEENS1_30default_config_static_selectorELNS0_4arch9wavefront6targetE1EEEvT1_: ; @_ZN7rocprim17ROCPRIM_400000_NS6detail17trampoline_kernelINS0_14default_configENS1_20scan_config_selectorIiEEZZNS1_9scan_implILNS1_25lookback_scan_determinismE0ELb0ELb1ES3_N6thrust23THRUST_200600_302600_NS6detail15normal_iteratorINS9_10device_ptrIiEEEESE_iNS9_10multipliesIiEEiEEDaPvRmT3_T4_T5_mT6_P12ihipStream_tbENKUlT_T0_E_clISt17integral_constantIbLb1EEST_IbLb0EEEEDaSP_SQ_EUlSP_E_NS1_11comp_targetILNS1_3genE10ELNS1_11target_archE1200ELNS1_3gpuE4ELNS1_3repE0EEENS1_30default_config_static_selectorELNS0_4arch9wavefront6targetE1EEEvT1_
; %bb.0:
	.section	.rodata,"a",@progbits
	.p2align	6, 0x0
	.amdhsa_kernel _ZN7rocprim17ROCPRIM_400000_NS6detail17trampoline_kernelINS0_14default_configENS1_20scan_config_selectorIiEEZZNS1_9scan_implILNS1_25lookback_scan_determinismE0ELb0ELb1ES3_N6thrust23THRUST_200600_302600_NS6detail15normal_iteratorINS9_10device_ptrIiEEEESE_iNS9_10multipliesIiEEiEEDaPvRmT3_T4_T5_mT6_P12ihipStream_tbENKUlT_T0_E_clISt17integral_constantIbLb1EEST_IbLb0EEEEDaSP_SQ_EUlSP_E_NS1_11comp_targetILNS1_3genE10ELNS1_11target_archE1200ELNS1_3gpuE4ELNS1_3repE0EEENS1_30default_config_static_selectorELNS0_4arch9wavefront6targetE1EEEvT1_
		.amdhsa_group_segment_fixed_size 0
		.amdhsa_private_segment_fixed_size 0
		.amdhsa_kernarg_size 96
		.amdhsa_user_sgpr_count 6
		.amdhsa_user_sgpr_private_segment_buffer 1
		.amdhsa_user_sgpr_dispatch_ptr 0
		.amdhsa_user_sgpr_queue_ptr 0
		.amdhsa_user_sgpr_kernarg_segment_ptr 1
		.amdhsa_user_sgpr_dispatch_id 0
		.amdhsa_user_sgpr_flat_scratch_init 0
		.amdhsa_user_sgpr_kernarg_preload_length 0
		.amdhsa_user_sgpr_kernarg_preload_offset 0
		.amdhsa_user_sgpr_private_segment_size 0
		.amdhsa_uses_dynamic_stack 0
		.amdhsa_system_sgpr_private_segment_wavefront_offset 0
		.amdhsa_system_sgpr_workgroup_id_x 1
		.amdhsa_system_sgpr_workgroup_id_y 0
		.amdhsa_system_sgpr_workgroup_id_z 0
		.amdhsa_system_sgpr_workgroup_info 0
		.amdhsa_system_vgpr_workitem_id 0
		.amdhsa_next_free_vgpr 1
		.amdhsa_next_free_sgpr 0
		.amdhsa_accum_offset 4
		.amdhsa_reserve_vcc 0
		.amdhsa_reserve_flat_scratch 0
		.amdhsa_float_round_mode_32 0
		.amdhsa_float_round_mode_16_64 0
		.amdhsa_float_denorm_mode_32 3
		.amdhsa_float_denorm_mode_16_64 3
		.amdhsa_dx10_clamp 1
		.amdhsa_ieee_mode 1
		.amdhsa_fp16_overflow 0
		.amdhsa_tg_split 0
		.amdhsa_exception_fp_ieee_invalid_op 0
		.amdhsa_exception_fp_denorm_src 0
		.amdhsa_exception_fp_ieee_div_zero 0
		.amdhsa_exception_fp_ieee_overflow 0
		.amdhsa_exception_fp_ieee_underflow 0
		.amdhsa_exception_fp_ieee_inexact 0
		.amdhsa_exception_int_div_zero 0
	.end_amdhsa_kernel
	.section	.text._ZN7rocprim17ROCPRIM_400000_NS6detail17trampoline_kernelINS0_14default_configENS1_20scan_config_selectorIiEEZZNS1_9scan_implILNS1_25lookback_scan_determinismE0ELb0ELb1ES3_N6thrust23THRUST_200600_302600_NS6detail15normal_iteratorINS9_10device_ptrIiEEEESE_iNS9_10multipliesIiEEiEEDaPvRmT3_T4_T5_mT6_P12ihipStream_tbENKUlT_T0_E_clISt17integral_constantIbLb1EEST_IbLb0EEEEDaSP_SQ_EUlSP_E_NS1_11comp_targetILNS1_3genE10ELNS1_11target_archE1200ELNS1_3gpuE4ELNS1_3repE0EEENS1_30default_config_static_selectorELNS0_4arch9wavefront6targetE1EEEvT1_,"axG",@progbits,_ZN7rocprim17ROCPRIM_400000_NS6detail17trampoline_kernelINS0_14default_configENS1_20scan_config_selectorIiEEZZNS1_9scan_implILNS1_25lookback_scan_determinismE0ELb0ELb1ES3_N6thrust23THRUST_200600_302600_NS6detail15normal_iteratorINS9_10device_ptrIiEEEESE_iNS9_10multipliesIiEEiEEDaPvRmT3_T4_T5_mT6_P12ihipStream_tbENKUlT_T0_E_clISt17integral_constantIbLb1EEST_IbLb0EEEEDaSP_SQ_EUlSP_E_NS1_11comp_targetILNS1_3genE10ELNS1_11target_archE1200ELNS1_3gpuE4ELNS1_3repE0EEENS1_30default_config_static_selectorELNS0_4arch9wavefront6targetE1EEEvT1_,comdat
.Lfunc_end630:
	.size	_ZN7rocprim17ROCPRIM_400000_NS6detail17trampoline_kernelINS0_14default_configENS1_20scan_config_selectorIiEEZZNS1_9scan_implILNS1_25lookback_scan_determinismE0ELb0ELb1ES3_N6thrust23THRUST_200600_302600_NS6detail15normal_iteratorINS9_10device_ptrIiEEEESE_iNS9_10multipliesIiEEiEEDaPvRmT3_T4_T5_mT6_P12ihipStream_tbENKUlT_T0_E_clISt17integral_constantIbLb1EEST_IbLb0EEEEDaSP_SQ_EUlSP_E_NS1_11comp_targetILNS1_3genE10ELNS1_11target_archE1200ELNS1_3gpuE4ELNS1_3repE0EEENS1_30default_config_static_selectorELNS0_4arch9wavefront6targetE1EEEvT1_, .Lfunc_end630-_ZN7rocprim17ROCPRIM_400000_NS6detail17trampoline_kernelINS0_14default_configENS1_20scan_config_selectorIiEEZZNS1_9scan_implILNS1_25lookback_scan_determinismE0ELb0ELb1ES3_N6thrust23THRUST_200600_302600_NS6detail15normal_iteratorINS9_10device_ptrIiEEEESE_iNS9_10multipliesIiEEiEEDaPvRmT3_T4_T5_mT6_P12ihipStream_tbENKUlT_T0_E_clISt17integral_constantIbLb1EEST_IbLb0EEEEDaSP_SQ_EUlSP_E_NS1_11comp_targetILNS1_3genE10ELNS1_11target_archE1200ELNS1_3gpuE4ELNS1_3repE0EEENS1_30default_config_static_selectorELNS0_4arch9wavefront6targetE1EEEvT1_
                                        ; -- End function
	.section	.AMDGPU.csdata,"",@progbits
; Kernel info:
; codeLenInByte = 0
; NumSgprs: 4
; NumVgprs: 0
; NumAgprs: 0
; TotalNumVgprs: 0
; ScratchSize: 0
; MemoryBound: 0
; FloatMode: 240
; IeeeMode: 1
; LDSByteSize: 0 bytes/workgroup (compile time only)
; SGPRBlocks: 0
; VGPRBlocks: 0
; NumSGPRsForWavesPerEU: 4
; NumVGPRsForWavesPerEU: 1
; AccumOffset: 4
; Occupancy: 8
; WaveLimiterHint : 0
; COMPUTE_PGM_RSRC2:SCRATCH_EN: 0
; COMPUTE_PGM_RSRC2:USER_SGPR: 6
; COMPUTE_PGM_RSRC2:TRAP_HANDLER: 0
; COMPUTE_PGM_RSRC2:TGID_X_EN: 1
; COMPUTE_PGM_RSRC2:TGID_Y_EN: 0
; COMPUTE_PGM_RSRC2:TGID_Z_EN: 0
; COMPUTE_PGM_RSRC2:TIDIG_COMP_CNT: 0
; COMPUTE_PGM_RSRC3_GFX90A:ACCUM_OFFSET: 0
; COMPUTE_PGM_RSRC3_GFX90A:TG_SPLIT: 0
	.section	.text._ZN7rocprim17ROCPRIM_400000_NS6detail17trampoline_kernelINS0_14default_configENS1_20scan_config_selectorIiEEZZNS1_9scan_implILNS1_25lookback_scan_determinismE0ELb0ELb1ES3_N6thrust23THRUST_200600_302600_NS6detail15normal_iteratorINS9_10device_ptrIiEEEESE_iNS9_10multipliesIiEEiEEDaPvRmT3_T4_T5_mT6_P12ihipStream_tbENKUlT_T0_E_clISt17integral_constantIbLb1EEST_IbLb0EEEEDaSP_SQ_EUlSP_E_NS1_11comp_targetILNS1_3genE9ELNS1_11target_archE1100ELNS1_3gpuE3ELNS1_3repE0EEENS1_30default_config_static_selectorELNS0_4arch9wavefront6targetE1EEEvT1_,"axG",@progbits,_ZN7rocprim17ROCPRIM_400000_NS6detail17trampoline_kernelINS0_14default_configENS1_20scan_config_selectorIiEEZZNS1_9scan_implILNS1_25lookback_scan_determinismE0ELb0ELb1ES3_N6thrust23THRUST_200600_302600_NS6detail15normal_iteratorINS9_10device_ptrIiEEEESE_iNS9_10multipliesIiEEiEEDaPvRmT3_T4_T5_mT6_P12ihipStream_tbENKUlT_T0_E_clISt17integral_constantIbLb1EEST_IbLb0EEEEDaSP_SQ_EUlSP_E_NS1_11comp_targetILNS1_3genE9ELNS1_11target_archE1100ELNS1_3gpuE3ELNS1_3repE0EEENS1_30default_config_static_selectorELNS0_4arch9wavefront6targetE1EEEvT1_,comdat
	.protected	_ZN7rocprim17ROCPRIM_400000_NS6detail17trampoline_kernelINS0_14default_configENS1_20scan_config_selectorIiEEZZNS1_9scan_implILNS1_25lookback_scan_determinismE0ELb0ELb1ES3_N6thrust23THRUST_200600_302600_NS6detail15normal_iteratorINS9_10device_ptrIiEEEESE_iNS9_10multipliesIiEEiEEDaPvRmT3_T4_T5_mT6_P12ihipStream_tbENKUlT_T0_E_clISt17integral_constantIbLb1EEST_IbLb0EEEEDaSP_SQ_EUlSP_E_NS1_11comp_targetILNS1_3genE9ELNS1_11target_archE1100ELNS1_3gpuE3ELNS1_3repE0EEENS1_30default_config_static_selectorELNS0_4arch9wavefront6targetE1EEEvT1_ ; -- Begin function _ZN7rocprim17ROCPRIM_400000_NS6detail17trampoline_kernelINS0_14default_configENS1_20scan_config_selectorIiEEZZNS1_9scan_implILNS1_25lookback_scan_determinismE0ELb0ELb1ES3_N6thrust23THRUST_200600_302600_NS6detail15normal_iteratorINS9_10device_ptrIiEEEESE_iNS9_10multipliesIiEEiEEDaPvRmT3_T4_T5_mT6_P12ihipStream_tbENKUlT_T0_E_clISt17integral_constantIbLb1EEST_IbLb0EEEEDaSP_SQ_EUlSP_E_NS1_11comp_targetILNS1_3genE9ELNS1_11target_archE1100ELNS1_3gpuE3ELNS1_3repE0EEENS1_30default_config_static_selectorELNS0_4arch9wavefront6targetE1EEEvT1_
	.globl	_ZN7rocprim17ROCPRIM_400000_NS6detail17trampoline_kernelINS0_14default_configENS1_20scan_config_selectorIiEEZZNS1_9scan_implILNS1_25lookback_scan_determinismE0ELb0ELb1ES3_N6thrust23THRUST_200600_302600_NS6detail15normal_iteratorINS9_10device_ptrIiEEEESE_iNS9_10multipliesIiEEiEEDaPvRmT3_T4_T5_mT6_P12ihipStream_tbENKUlT_T0_E_clISt17integral_constantIbLb1EEST_IbLb0EEEEDaSP_SQ_EUlSP_E_NS1_11comp_targetILNS1_3genE9ELNS1_11target_archE1100ELNS1_3gpuE3ELNS1_3repE0EEENS1_30default_config_static_selectorELNS0_4arch9wavefront6targetE1EEEvT1_
	.p2align	8
	.type	_ZN7rocprim17ROCPRIM_400000_NS6detail17trampoline_kernelINS0_14default_configENS1_20scan_config_selectorIiEEZZNS1_9scan_implILNS1_25lookback_scan_determinismE0ELb0ELb1ES3_N6thrust23THRUST_200600_302600_NS6detail15normal_iteratorINS9_10device_ptrIiEEEESE_iNS9_10multipliesIiEEiEEDaPvRmT3_T4_T5_mT6_P12ihipStream_tbENKUlT_T0_E_clISt17integral_constantIbLb1EEST_IbLb0EEEEDaSP_SQ_EUlSP_E_NS1_11comp_targetILNS1_3genE9ELNS1_11target_archE1100ELNS1_3gpuE3ELNS1_3repE0EEENS1_30default_config_static_selectorELNS0_4arch9wavefront6targetE1EEEvT1_,@function
_ZN7rocprim17ROCPRIM_400000_NS6detail17trampoline_kernelINS0_14default_configENS1_20scan_config_selectorIiEEZZNS1_9scan_implILNS1_25lookback_scan_determinismE0ELb0ELb1ES3_N6thrust23THRUST_200600_302600_NS6detail15normal_iteratorINS9_10device_ptrIiEEEESE_iNS9_10multipliesIiEEiEEDaPvRmT3_T4_T5_mT6_P12ihipStream_tbENKUlT_T0_E_clISt17integral_constantIbLb1EEST_IbLb0EEEEDaSP_SQ_EUlSP_E_NS1_11comp_targetILNS1_3genE9ELNS1_11target_archE1100ELNS1_3gpuE3ELNS1_3repE0EEENS1_30default_config_static_selectorELNS0_4arch9wavefront6targetE1EEEvT1_: ; @_ZN7rocprim17ROCPRIM_400000_NS6detail17trampoline_kernelINS0_14default_configENS1_20scan_config_selectorIiEEZZNS1_9scan_implILNS1_25lookback_scan_determinismE0ELb0ELb1ES3_N6thrust23THRUST_200600_302600_NS6detail15normal_iteratorINS9_10device_ptrIiEEEESE_iNS9_10multipliesIiEEiEEDaPvRmT3_T4_T5_mT6_P12ihipStream_tbENKUlT_T0_E_clISt17integral_constantIbLb1EEST_IbLb0EEEEDaSP_SQ_EUlSP_E_NS1_11comp_targetILNS1_3genE9ELNS1_11target_archE1100ELNS1_3gpuE3ELNS1_3repE0EEENS1_30default_config_static_selectorELNS0_4arch9wavefront6targetE1EEEvT1_
; %bb.0:
	.section	.rodata,"a",@progbits
	.p2align	6, 0x0
	.amdhsa_kernel _ZN7rocprim17ROCPRIM_400000_NS6detail17trampoline_kernelINS0_14default_configENS1_20scan_config_selectorIiEEZZNS1_9scan_implILNS1_25lookback_scan_determinismE0ELb0ELb1ES3_N6thrust23THRUST_200600_302600_NS6detail15normal_iteratorINS9_10device_ptrIiEEEESE_iNS9_10multipliesIiEEiEEDaPvRmT3_T4_T5_mT6_P12ihipStream_tbENKUlT_T0_E_clISt17integral_constantIbLb1EEST_IbLb0EEEEDaSP_SQ_EUlSP_E_NS1_11comp_targetILNS1_3genE9ELNS1_11target_archE1100ELNS1_3gpuE3ELNS1_3repE0EEENS1_30default_config_static_selectorELNS0_4arch9wavefront6targetE1EEEvT1_
		.amdhsa_group_segment_fixed_size 0
		.amdhsa_private_segment_fixed_size 0
		.amdhsa_kernarg_size 96
		.amdhsa_user_sgpr_count 6
		.amdhsa_user_sgpr_private_segment_buffer 1
		.amdhsa_user_sgpr_dispatch_ptr 0
		.amdhsa_user_sgpr_queue_ptr 0
		.amdhsa_user_sgpr_kernarg_segment_ptr 1
		.amdhsa_user_sgpr_dispatch_id 0
		.amdhsa_user_sgpr_flat_scratch_init 0
		.amdhsa_user_sgpr_kernarg_preload_length 0
		.amdhsa_user_sgpr_kernarg_preload_offset 0
		.amdhsa_user_sgpr_private_segment_size 0
		.amdhsa_uses_dynamic_stack 0
		.amdhsa_system_sgpr_private_segment_wavefront_offset 0
		.amdhsa_system_sgpr_workgroup_id_x 1
		.amdhsa_system_sgpr_workgroup_id_y 0
		.amdhsa_system_sgpr_workgroup_id_z 0
		.amdhsa_system_sgpr_workgroup_info 0
		.amdhsa_system_vgpr_workitem_id 0
		.amdhsa_next_free_vgpr 1
		.amdhsa_next_free_sgpr 0
		.amdhsa_accum_offset 4
		.amdhsa_reserve_vcc 0
		.amdhsa_reserve_flat_scratch 0
		.amdhsa_float_round_mode_32 0
		.amdhsa_float_round_mode_16_64 0
		.amdhsa_float_denorm_mode_32 3
		.amdhsa_float_denorm_mode_16_64 3
		.amdhsa_dx10_clamp 1
		.amdhsa_ieee_mode 1
		.amdhsa_fp16_overflow 0
		.amdhsa_tg_split 0
		.amdhsa_exception_fp_ieee_invalid_op 0
		.amdhsa_exception_fp_denorm_src 0
		.amdhsa_exception_fp_ieee_div_zero 0
		.amdhsa_exception_fp_ieee_overflow 0
		.amdhsa_exception_fp_ieee_underflow 0
		.amdhsa_exception_fp_ieee_inexact 0
		.amdhsa_exception_int_div_zero 0
	.end_amdhsa_kernel
	.section	.text._ZN7rocprim17ROCPRIM_400000_NS6detail17trampoline_kernelINS0_14default_configENS1_20scan_config_selectorIiEEZZNS1_9scan_implILNS1_25lookback_scan_determinismE0ELb0ELb1ES3_N6thrust23THRUST_200600_302600_NS6detail15normal_iteratorINS9_10device_ptrIiEEEESE_iNS9_10multipliesIiEEiEEDaPvRmT3_T4_T5_mT6_P12ihipStream_tbENKUlT_T0_E_clISt17integral_constantIbLb1EEST_IbLb0EEEEDaSP_SQ_EUlSP_E_NS1_11comp_targetILNS1_3genE9ELNS1_11target_archE1100ELNS1_3gpuE3ELNS1_3repE0EEENS1_30default_config_static_selectorELNS0_4arch9wavefront6targetE1EEEvT1_,"axG",@progbits,_ZN7rocprim17ROCPRIM_400000_NS6detail17trampoline_kernelINS0_14default_configENS1_20scan_config_selectorIiEEZZNS1_9scan_implILNS1_25lookback_scan_determinismE0ELb0ELb1ES3_N6thrust23THRUST_200600_302600_NS6detail15normal_iteratorINS9_10device_ptrIiEEEESE_iNS9_10multipliesIiEEiEEDaPvRmT3_T4_T5_mT6_P12ihipStream_tbENKUlT_T0_E_clISt17integral_constantIbLb1EEST_IbLb0EEEEDaSP_SQ_EUlSP_E_NS1_11comp_targetILNS1_3genE9ELNS1_11target_archE1100ELNS1_3gpuE3ELNS1_3repE0EEENS1_30default_config_static_selectorELNS0_4arch9wavefront6targetE1EEEvT1_,comdat
.Lfunc_end631:
	.size	_ZN7rocprim17ROCPRIM_400000_NS6detail17trampoline_kernelINS0_14default_configENS1_20scan_config_selectorIiEEZZNS1_9scan_implILNS1_25lookback_scan_determinismE0ELb0ELb1ES3_N6thrust23THRUST_200600_302600_NS6detail15normal_iteratorINS9_10device_ptrIiEEEESE_iNS9_10multipliesIiEEiEEDaPvRmT3_T4_T5_mT6_P12ihipStream_tbENKUlT_T0_E_clISt17integral_constantIbLb1EEST_IbLb0EEEEDaSP_SQ_EUlSP_E_NS1_11comp_targetILNS1_3genE9ELNS1_11target_archE1100ELNS1_3gpuE3ELNS1_3repE0EEENS1_30default_config_static_selectorELNS0_4arch9wavefront6targetE1EEEvT1_, .Lfunc_end631-_ZN7rocprim17ROCPRIM_400000_NS6detail17trampoline_kernelINS0_14default_configENS1_20scan_config_selectorIiEEZZNS1_9scan_implILNS1_25lookback_scan_determinismE0ELb0ELb1ES3_N6thrust23THRUST_200600_302600_NS6detail15normal_iteratorINS9_10device_ptrIiEEEESE_iNS9_10multipliesIiEEiEEDaPvRmT3_T4_T5_mT6_P12ihipStream_tbENKUlT_T0_E_clISt17integral_constantIbLb1EEST_IbLb0EEEEDaSP_SQ_EUlSP_E_NS1_11comp_targetILNS1_3genE9ELNS1_11target_archE1100ELNS1_3gpuE3ELNS1_3repE0EEENS1_30default_config_static_selectorELNS0_4arch9wavefront6targetE1EEEvT1_
                                        ; -- End function
	.section	.AMDGPU.csdata,"",@progbits
; Kernel info:
; codeLenInByte = 0
; NumSgprs: 4
; NumVgprs: 0
; NumAgprs: 0
; TotalNumVgprs: 0
; ScratchSize: 0
; MemoryBound: 0
; FloatMode: 240
; IeeeMode: 1
; LDSByteSize: 0 bytes/workgroup (compile time only)
; SGPRBlocks: 0
; VGPRBlocks: 0
; NumSGPRsForWavesPerEU: 4
; NumVGPRsForWavesPerEU: 1
; AccumOffset: 4
; Occupancy: 8
; WaveLimiterHint : 0
; COMPUTE_PGM_RSRC2:SCRATCH_EN: 0
; COMPUTE_PGM_RSRC2:USER_SGPR: 6
; COMPUTE_PGM_RSRC2:TRAP_HANDLER: 0
; COMPUTE_PGM_RSRC2:TGID_X_EN: 1
; COMPUTE_PGM_RSRC2:TGID_Y_EN: 0
; COMPUTE_PGM_RSRC2:TGID_Z_EN: 0
; COMPUTE_PGM_RSRC2:TIDIG_COMP_CNT: 0
; COMPUTE_PGM_RSRC3_GFX90A:ACCUM_OFFSET: 0
; COMPUTE_PGM_RSRC3_GFX90A:TG_SPLIT: 0
	.section	.text._ZN7rocprim17ROCPRIM_400000_NS6detail17trampoline_kernelINS0_14default_configENS1_20scan_config_selectorIiEEZZNS1_9scan_implILNS1_25lookback_scan_determinismE0ELb0ELb1ES3_N6thrust23THRUST_200600_302600_NS6detail15normal_iteratorINS9_10device_ptrIiEEEESE_iNS9_10multipliesIiEEiEEDaPvRmT3_T4_T5_mT6_P12ihipStream_tbENKUlT_T0_E_clISt17integral_constantIbLb1EEST_IbLb0EEEEDaSP_SQ_EUlSP_E_NS1_11comp_targetILNS1_3genE8ELNS1_11target_archE1030ELNS1_3gpuE2ELNS1_3repE0EEENS1_30default_config_static_selectorELNS0_4arch9wavefront6targetE1EEEvT1_,"axG",@progbits,_ZN7rocprim17ROCPRIM_400000_NS6detail17trampoline_kernelINS0_14default_configENS1_20scan_config_selectorIiEEZZNS1_9scan_implILNS1_25lookback_scan_determinismE0ELb0ELb1ES3_N6thrust23THRUST_200600_302600_NS6detail15normal_iteratorINS9_10device_ptrIiEEEESE_iNS9_10multipliesIiEEiEEDaPvRmT3_T4_T5_mT6_P12ihipStream_tbENKUlT_T0_E_clISt17integral_constantIbLb1EEST_IbLb0EEEEDaSP_SQ_EUlSP_E_NS1_11comp_targetILNS1_3genE8ELNS1_11target_archE1030ELNS1_3gpuE2ELNS1_3repE0EEENS1_30default_config_static_selectorELNS0_4arch9wavefront6targetE1EEEvT1_,comdat
	.protected	_ZN7rocprim17ROCPRIM_400000_NS6detail17trampoline_kernelINS0_14default_configENS1_20scan_config_selectorIiEEZZNS1_9scan_implILNS1_25lookback_scan_determinismE0ELb0ELb1ES3_N6thrust23THRUST_200600_302600_NS6detail15normal_iteratorINS9_10device_ptrIiEEEESE_iNS9_10multipliesIiEEiEEDaPvRmT3_T4_T5_mT6_P12ihipStream_tbENKUlT_T0_E_clISt17integral_constantIbLb1EEST_IbLb0EEEEDaSP_SQ_EUlSP_E_NS1_11comp_targetILNS1_3genE8ELNS1_11target_archE1030ELNS1_3gpuE2ELNS1_3repE0EEENS1_30default_config_static_selectorELNS0_4arch9wavefront6targetE1EEEvT1_ ; -- Begin function _ZN7rocprim17ROCPRIM_400000_NS6detail17trampoline_kernelINS0_14default_configENS1_20scan_config_selectorIiEEZZNS1_9scan_implILNS1_25lookback_scan_determinismE0ELb0ELb1ES3_N6thrust23THRUST_200600_302600_NS6detail15normal_iteratorINS9_10device_ptrIiEEEESE_iNS9_10multipliesIiEEiEEDaPvRmT3_T4_T5_mT6_P12ihipStream_tbENKUlT_T0_E_clISt17integral_constantIbLb1EEST_IbLb0EEEEDaSP_SQ_EUlSP_E_NS1_11comp_targetILNS1_3genE8ELNS1_11target_archE1030ELNS1_3gpuE2ELNS1_3repE0EEENS1_30default_config_static_selectorELNS0_4arch9wavefront6targetE1EEEvT1_
	.globl	_ZN7rocprim17ROCPRIM_400000_NS6detail17trampoline_kernelINS0_14default_configENS1_20scan_config_selectorIiEEZZNS1_9scan_implILNS1_25lookback_scan_determinismE0ELb0ELb1ES3_N6thrust23THRUST_200600_302600_NS6detail15normal_iteratorINS9_10device_ptrIiEEEESE_iNS9_10multipliesIiEEiEEDaPvRmT3_T4_T5_mT6_P12ihipStream_tbENKUlT_T0_E_clISt17integral_constantIbLb1EEST_IbLb0EEEEDaSP_SQ_EUlSP_E_NS1_11comp_targetILNS1_3genE8ELNS1_11target_archE1030ELNS1_3gpuE2ELNS1_3repE0EEENS1_30default_config_static_selectorELNS0_4arch9wavefront6targetE1EEEvT1_
	.p2align	8
	.type	_ZN7rocprim17ROCPRIM_400000_NS6detail17trampoline_kernelINS0_14default_configENS1_20scan_config_selectorIiEEZZNS1_9scan_implILNS1_25lookback_scan_determinismE0ELb0ELb1ES3_N6thrust23THRUST_200600_302600_NS6detail15normal_iteratorINS9_10device_ptrIiEEEESE_iNS9_10multipliesIiEEiEEDaPvRmT3_T4_T5_mT6_P12ihipStream_tbENKUlT_T0_E_clISt17integral_constantIbLb1EEST_IbLb0EEEEDaSP_SQ_EUlSP_E_NS1_11comp_targetILNS1_3genE8ELNS1_11target_archE1030ELNS1_3gpuE2ELNS1_3repE0EEENS1_30default_config_static_selectorELNS0_4arch9wavefront6targetE1EEEvT1_,@function
_ZN7rocprim17ROCPRIM_400000_NS6detail17trampoline_kernelINS0_14default_configENS1_20scan_config_selectorIiEEZZNS1_9scan_implILNS1_25lookback_scan_determinismE0ELb0ELb1ES3_N6thrust23THRUST_200600_302600_NS6detail15normal_iteratorINS9_10device_ptrIiEEEESE_iNS9_10multipliesIiEEiEEDaPvRmT3_T4_T5_mT6_P12ihipStream_tbENKUlT_T0_E_clISt17integral_constantIbLb1EEST_IbLb0EEEEDaSP_SQ_EUlSP_E_NS1_11comp_targetILNS1_3genE8ELNS1_11target_archE1030ELNS1_3gpuE2ELNS1_3repE0EEENS1_30default_config_static_selectorELNS0_4arch9wavefront6targetE1EEEvT1_: ; @_ZN7rocprim17ROCPRIM_400000_NS6detail17trampoline_kernelINS0_14default_configENS1_20scan_config_selectorIiEEZZNS1_9scan_implILNS1_25lookback_scan_determinismE0ELb0ELb1ES3_N6thrust23THRUST_200600_302600_NS6detail15normal_iteratorINS9_10device_ptrIiEEEESE_iNS9_10multipliesIiEEiEEDaPvRmT3_T4_T5_mT6_P12ihipStream_tbENKUlT_T0_E_clISt17integral_constantIbLb1EEST_IbLb0EEEEDaSP_SQ_EUlSP_E_NS1_11comp_targetILNS1_3genE8ELNS1_11target_archE1030ELNS1_3gpuE2ELNS1_3repE0EEENS1_30default_config_static_selectorELNS0_4arch9wavefront6targetE1EEEvT1_
; %bb.0:
	.section	.rodata,"a",@progbits
	.p2align	6, 0x0
	.amdhsa_kernel _ZN7rocprim17ROCPRIM_400000_NS6detail17trampoline_kernelINS0_14default_configENS1_20scan_config_selectorIiEEZZNS1_9scan_implILNS1_25lookback_scan_determinismE0ELb0ELb1ES3_N6thrust23THRUST_200600_302600_NS6detail15normal_iteratorINS9_10device_ptrIiEEEESE_iNS9_10multipliesIiEEiEEDaPvRmT3_T4_T5_mT6_P12ihipStream_tbENKUlT_T0_E_clISt17integral_constantIbLb1EEST_IbLb0EEEEDaSP_SQ_EUlSP_E_NS1_11comp_targetILNS1_3genE8ELNS1_11target_archE1030ELNS1_3gpuE2ELNS1_3repE0EEENS1_30default_config_static_selectorELNS0_4arch9wavefront6targetE1EEEvT1_
		.amdhsa_group_segment_fixed_size 0
		.amdhsa_private_segment_fixed_size 0
		.amdhsa_kernarg_size 96
		.amdhsa_user_sgpr_count 6
		.amdhsa_user_sgpr_private_segment_buffer 1
		.amdhsa_user_sgpr_dispatch_ptr 0
		.amdhsa_user_sgpr_queue_ptr 0
		.amdhsa_user_sgpr_kernarg_segment_ptr 1
		.amdhsa_user_sgpr_dispatch_id 0
		.amdhsa_user_sgpr_flat_scratch_init 0
		.amdhsa_user_sgpr_kernarg_preload_length 0
		.amdhsa_user_sgpr_kernarg_preload_offset 0
		.amdhsa_user_sgpr_private_segment_size 0
		.amdhsa_uses_dynamic_stack 0
		.amdhsa_system_sgpr_private_segment_wavefront_offset 0
		.amdhsa_system_sgpr_workgroup_id_x 1
		.amdhsa_system_sgpr_workgroup_id_y 0
		.amdhsa_system_sgpr_workgroup_id_z 0
		.amdhsa_system_sgpr_workgroup_info 0
		.amdhsa_system_vgpr_workitem_id 0
		.amdhsa_next_free_vgpr 1
		.amdhsa_next_free_sgpr 0
		.amdhsa_accum_offset 4
		.amdhsa_reserve_vcc 0
		.amdhsa_reserve_flat_scratch 0
		.amdhsa_float_round_mode_32 0
		.amdhsa_float_round_mode_16_64 0
		.amdhsa_float_denorm_mode_32 3
		.amdhsa_float_denorm_mode_16_64 3
		.amdhsa_dx10_clamp 1
		.amdhsa_ieee_mode 1
		.amdhsa_fp16_overflow 0
		.amdhsa_tg_split 0
		.amdhsa_exception_fp_ieee_invalid_op 0
		.amdhsa_exception_fp_denorm_src 0
		.amdhsa_exception_fp_ieee_div_zero 0
		.amdhsa_exception_fp_ieee_overflow 0
		.amdhsa_exception_fp_ieee_underflow 0
		.amdhsa_exception_fp_ieee_inexact 0
		.amdhsa_exception_int_div_zero 0
	.end_amdhsa_kernel
	.section	.text._ZN7rocprim17ROCPRIM_400000_NS6detail17trampoline_kernelINS0_14default_configENS1_20scan_config_selectorIiEEZZNS1_9scan_implILNS1_25lookback_scan_determinismE0ELb0ELb1ES3_N6thrust23THRUST_200600_302600_NS6detail15normal_iteratorINS9_10device_ptrIiEEEESE_iNS9_10multipliesIiEEiEEDaPvRmT3_T4_T5_mT6_P12ihipStream_tbENKUlT_T0_E_clISt17integral_constantIbLb1EEST_IbLb0EEEEDaSP_SQ_EUlSP_E_NS1_11comp_targetILNS1_3genE8ELNS1_11target_archE1030ELNS1_3gpuE2ELNS1_3repE0EEENS1_30default_config_static_selectorELNS0_4arch9wavefront6targetE1EEEvT1_,"axG",@progbits,_ZN7rocprim17ROCPRIM_400000_NS6detail17trampoline_kernelINS0_14default_configENS1_20scan_config_selectorIiEEZZNS1_9scan_implILNS1_25lookback_scan_determinismE0ELb0ELb1ES3_N6thrust23THRUST_200600_302600_NS6detail15normal_iteratorINS9_10device_ptrIiEEEESE_iNS9_10multipliesIiEEiEEDaPvRmT3_T4_T5_mT6_P12ihipStream_tbENKUlT_T0_E_clISt17integral_constantIbLb1EEST_IbLb0EEEEDaSP_SQ_EUlSP_E_NS1_11comp_targetILNS1_3genE8ELNS1_11target_archE1030ELNS1_3gpuE2ELNS1_3repE0EEENS1_30default_config_static_selectorELNS0_4arch9wavefront6targetE1EEEvT1_,comdat
.Lfunc_end632:
	.size	_ZN7rocprim17ROCPRIM_400000_NS6detail17trampoline_kernelINS0_14default_configENS1_20scan_config_selectorIiEEZZNS1_9scan_implILNS1_25lookback_scan_determinismE0ELb0ELb1ES3_N6thrust23THRUST_200600_302600_NS6detail15normal_iteratorINS9_10device_ptrIiEEEESE_iNS9_10multipliesIiEEiEEDaPvRmT3_T4_T5_mT6_P12ihipStream_tbENKUlT_T0_E_clISt17integral_constantIbLb1EEST_IbLb0EEEEDaSP_SQ_EUlSP_E_NS1_11comp_targetILNS1_3genE8ELNS1_11target_archE1030ELNS1_3gpuE2ELNS1_3repE0EEENS1_30default_config_static_selectorELNS0_4arch9wavefront6targetE1EEEvT1_, .Lfunc_end632-_ZN7rocprim17ROCPRIM_400000_NS6detail17trampoline_kernelINS0_14default_configENS1_20scan_config_selectorIiEEZZNS1_9scan_implILNS1_25lookback_scan_determinismE0ELb0ELb1ES3_N6thrust23THRUST_200600_302600_NS6detail15normal_iteratorINS9_10device_ptrIiEEEESE_iNS9_10multipliesIiEEiEEDaPvRmT3_T4_T5_mT6_P12ihipStream_tbENKUlT_T0_E_clISt17integral_constantIbLb1EEST_IbLb0EEEEDaSP_SQ_EUlSP_E_NS1_11comp_targetILNS1_3genE8ELNS1_11target_archE1030ELNS1_3gpuE2ELNS1_3repE0EEENS1_30default_config_static_selectorELNS0_4arch9wavefront6targetE1EEEvT1_
                                        ; -- End function
	.section	.AMDGPU.csdata,"",@progbits
; Kernel info:
; codeLenInByte = 0
; NumSgprs: 4
; NumVgprs: 0
; NumAgprs: 0
; TotalNumVgprs: 0
; ScratchSize: 0
; MemoryBound: 0
; FloatMode: 240
; IeeeMode: 1
; LDSByteSize: 0 bytes/workgroup (compile time only)
; SGPRBlocks: 0
; VGPRBlocks: 0
; NumSGPRsForWavesPerEU: 4
; NumVGPRsForWavesPerEU: 1
; AccumOffset: 4
; Occupancy: 8
; WaveLimiterHint : 0
; COMPUTE_PGM_RSRC2:SCRATCH_EN: 0
; COMPUTE_PGM_RSRC2:USER_SGPR: 6
; COMPUTE_PGM_RSRC2:TRAP_HANDLER: 0
; COMPUTE_PGM_RSRC2:TGID_X_EN: 1
; COMPUTE_PGM_RSRC2:TGID_Y_EN: 0
; COMPUTE_PGM_RSRC2:TGID_Z_EN: 0
; COMPUTE_PGM_RSRC2:TIDIG_COMP_CNT: 0
; COMPUTE_PGM_RSRC3_GFX90A:ACCUM_OFFSET: 0
; COMPUTE_PGM_RSRC3_GFX90A:TG_SPLIT: 0
	.section	.text._ZN7rocprim17ROCPRIM_400000_NS6detail17trampoline_kernelINS0_14default_configENS1_20scan_config_selectorIiEEZZNS1_9scan_implILNS1_25lookback_scan_determinismE0ELb0ELb1ES3_N6thrust23THRUST_200600_302600_NS6detail15normal_iteratorINS9_10device_ptrIiEEEESE_iNS9_10multipliesIiEEiEEDaPvRmT3_T4_T5_mT6_P12ihipStream_tbENKUlT_T0_E_clISt17integral_constantIbLb1EEST_IbLb0EEEEDaSP_SQ_EUlSP_E0_NS1_11comp_targetILNS1_3genE0ELNS1_11target_archE4294967295ELNS1_3gpuE0ELNS1_3repE0EEENS1_30default_config_static_selectorELNS0_4arch9wavefront6targetE1EEEvT1_,"axG",@progbits,_ZN7rocprim17ROCPRIM_400000_NS6detail17trampoline_kernelINS0_14default_configENS1_20scan_config_selectorIiEEZZNS1_9scan_implILNS1_25lookback_scan_determinismE0ELb0ELb1ES3_N6thrust23THRUST_200600_302600_NS6detail15normal_iteratorINS9_10device_ptrIiEEEESE_iNS9_10multipliesIiEEiEEDaPvRmT3_T4_T5_mT6_P12ihipStream_tbENKUlT_T0_E_clISt17integral_constantIbLb1EEST_IbLb0EEEEDaSP_SQ_EUlSP_E0_NS1_11comp_targetILNS1_3genE0ELNS1_11target_archE4294967295ELNS1_3gpuE0ELNS1_3repE0EEENS1_30default_config_static_selectorELNS0_4arch9wavefront6targetE1EEEvT1_,comdat
	.protected	_ZN7rocprim17ROCPRIM_400000_NS6detail17trampoline_kernelINS0_14default_configENS1_20scan_config_selectorIiEEZZNS1_9scan_implILNS1_25lookback_scan_determinismE0ELb0ELb1ES3_N6thrust23THRUST_200600_302600_NS6detail15normal_iteratorINS9_10device_ptrIiEEEESE_iNS9_10multipliesIiEEiEEDaPvRmT3_T4_T5_mT6_P12ihipStream_tbENKUlT_T0_E_clISt17integral_constantIbLb1EEST_IbLb0EEEEDaSP_SQ_EUlSP_E0_NS1_11comp_targetILNS1_3genE0ELNS1_11target_archE4294967295ELNS1_3gpuE0ELNS1_3repE0EEENS1_30default_config_static_selectorELNS0_4arch9wavefront6targetE1EEEvT1_ ; -- Begin function _ZN7rocprim17ROCPRIM_400000_NS6detail17trampoline_kernelINS0_14default_configENS1_20scan_config_selectorIiEEZZNS1_9scan_implILNS1_25lookback_scan_determinismE0ELb0ELb1ES3_N6thrust23THRUST_200600_302600_NS6detail15normal_iteratorINS9_10device_ptrIiEEEESE_iNS9_10multipliesIiEEiEEDaPvRmT3_T4_T5_mT6_P12ihipStream_tbENKUlT_T0_E_clISt17integral_constantIbLb1EEST_IbLb0EEEEDaSP_SQ_EUlSP_E0_NS1_11comp_targetILNS1_3genE0ELNS1_11target_archE4294967295ELNS1_3gpuE0ELNS1_3repE0EEENS1_30default_config_static_selectorELNS0_4arch9wavefront6targetE1EEEvT1_
	.globl	_ZN7rocprim17ROCPRIM_400000_NS6detail17trampoline_kernelINS0_14default_configENS1_20scan_config_selectorIiEEZZNS1_9scan_implILNS1_25lookback_scan_determinismE0ELb0ELb1ES3_N6thrust23THRUST_200600_302600_NS6detail15normal_iteratorINS9_10device_ptrIiEEEESE_iNS9_10multipliesIiEEiEEDaPvRmT3_T4_T5_mT6_P12ihipStream_tbENKUlT_T0_E_clISt17integral_constantIbLb1EEST_IbLb0EEEEDaSP_SQ_EUlSP_E0_NS1_11comp_targetILNS1_3genE0ELNS1_11target_archE4294967295ELNS1_3gpuE0ELNS1_3repE0EEENS1_30default_config_static_selectorELNS0_4arch9wavefront6targetE1EEEvT1_
	.p2align	8
	.type	_ZN7rocprim17ROCPRIM_400000_NS6detail17trampoline_kernelINS0_14default_configENS1_20scan_config_selectorIiEEZZNS1_9scan_implILNS1_25lookback_scan_determinismE0ELb0ELb1ES3_N6thrust23THRUST_200600_302600_NS6detail15normal_iteratorINS9_10device_ptrIiEEEESE_iNS9_10multipliesIiEEiEEDaPvRmT3_T4_T5_mT6_P12ihipStream_tbENKUlT_T0_E_clISt17integral_constantIbLb1EEST_IbLb0EEEEDaSP_SQ_EUlSP_E0_NS1_11comp_targetILNS1_3genE0ELNS1_11target_archE4294967295ELNS1_3gpuE0ELNS1_3repE0EEENS1_30default_config_static_selectorELNS0_4arch9wavefront6targetE1EEEvT1_,@function
_ZN7rocprim17ROCPRIM_400000_NS6detail17trampoline_kernelINS0_14default_configENS1_20scan_config_selectorIiEEZZNS1_9scan_implILNS1_25lookback_scan_determinismE0ELb0ELb1ES3_N6thrust23THRUST_200600_302600_NS6detail15normal_iteratorINS9_10device_ptrIiEEEESE_iNS9_10multipliesIiEEiEEDaPvRmT3_T4_T5_mT6_P12ihipStream_tbENKUlT_T0_E_clISt17integral_constantIbLb1EEST_IbLb0EEEEDaSP_SQ_EUlSP_E0_NS1_11comp_targetILNS1_3genE0ELNS1_11target_archE4294967295ELNS1_3gpuE0ELNS1_3repE0EEENS1_30default_config_static_selectorELNS0_4arch9wavefront6targetE1EEEvT1_: ; @_ZN7rocprim17ROCPRIM_400000_NS6detail17trampoline_kernelINS0_14default_configENS1_20scan_config_selectorIiEEZZNS1_9scan_implILNS1_25lookback_scan_determinismE0ELb0ELb1ES3_N6thrust23THRUST_200600_302600_NS6detail15normal_iteratorINS9_10device_ptrIiEEEESE_iNS9_10multipliesIiEEiEEDaPvRmT3_T4_T5_mT6_P12ihipStream_tbENKUlT_T0_E_clISt17integral_constantIbLb1EEST_IbLb0EEEEDaSP_SQ_EUlSP_E0_NS1_11comp_targetILNS1_3genE0ELNS1_11target_archE4294967295ELNS1_3gpuE0ELNS1_3repE0EEENS1_30default_config_static_selectorELNS0_4arch9wavefront6targetE1EEEvT1_
; %bb.0:
	.section	.rodata,"a",@progbits
	.p2align	6, 0x0
	.amdhsa_kernel _ZN7rocprim17ROCPRIM_400000_NS6detail17trampoline_kernelINS0_14default_configENS1_20scan_config_selectorIiEEZZNS1_9scan_implILNS1_25lookback_scan_determinismE0ELb0ELb1ES3_N6thrust23THRUST_200600_302600_NS6detail15normal_iteratorINS9_10device_ptrIiEEEESE_iNS9_10multipliesIiEEiEEDaPvRmT3_T4_T5_mT6_P12ihipStream_tbENKUlT_T0_E_clISt17integral_constantIbLb1EEST_IbLb0EEEEDaSP_SQ_EUlSP_E0_NS1_11comp_targetILNS1_3genE0ELNS1_11target_archE4294967295ELNS1_3gpuE0ELNS1_3repE0EEENS1_30default_config_static_selectorELNS0_4arch9wavefront6targetE1EEEvT1_
		.amdhsa_group_segment_fixed_size 0
		.amdhsa_private_segment_fixed_size 0
		.amdhsa_kernarg_size 32
		.amdhsa_user_sgpr_count 6
		.amdhsa_user_sgpr_private_segment_buffer 1
		.amdhsa_user_sgpr_dispatch_ptr 0
		.amdhsa_user_sgpr_queue_ptr 0
		.amdhsa_user_sgpr_kernarg_segment_ptr 1
		.amdhsa_user_sgpr_dispatch_id 0
		.amdhsa_user_sgpr_flat_scratch_init 0
		.amdhsa_user_sgpr_kernarg_preload_length 0
		.amdhsa_user_sgpr_kernarg_preload_offset 0
		.amdhsa_user_sgpr_private_segment_size 0
		.amdhsa_uses_dynamic_stack 0
		.amdhsa_system_sgpr_private_segment_wavefront_offset 0
		.amdhsa_system_sgpr_workgroup_id_x 1
		.amdhsa_system_sgpr_workgroup_id_y 0
		.amdhsa_system_sgpr_workgroup_id_z 0
		.amdhsa_system_sgpr_workgroup_info 0
		.amdhsa_system_vgpr_workitem_id 0
		.amdhsa_next_free_vgpr 1
		.amdhsa_next_free_sgpr 0
		.amdhsa_accum_offset 4
		.amdhsa_reserve_vcc 0
		.amdhsa_reserve_flat_scratch 0
		.amdhsa_float_round_mode_32 0
		.amdhsa_float_round_mode_16_64 0
		.amdhsa_float_denorm_mode_32 3
		.amdhsa_float_denorm_mode_16_64 3
		.amdhsa_dx10_clamp 1
		.amdhsa_ieee_mode 1
		.amdhsa_fp16_overflow 0
		.amdhsa_tg_split 0
		.amdhsa_exception_fp_ieee_invalid_op 0
		.amdhsa_exception_fp_denorm_src 0
		.amdhsa_exception_fp_ieee_div_zero 0
		.amdhsa_exception_fp_ieee_overflow 0
		.amdhsa_exception_fp_ieee_underflow 0
		.amdhsa_exception_fp_ieee_inexact 0
		.amdhsa_exception_int_div_zero 0
	.end_amdhsa_kernel
	.section	.text._ZN7rocprim17ROCPRIM_400000_NS6detail17trampoline_kernelINS0_14default_configENS1_20scan_config_selectorIiEEZZNS1_9scan_implILNS1_25lookback_scan_determinismE0ELb0ELb1ES3_N6thrust23THRUST_200600_302600_NS6detail15normal_iteratorINS9_10device_ptrIiEEEESE_iNS9_10multipliesIiEEiEEDaPvRmT3_T4_T5_mT6_P12ihipStream_tbENKUlT_T0_E_clISt17integral_constantIbLb1EEST_IbLb0EEEEDaSP_SQ_EUlSP_E0_NS1_11comp_targetILNS1_3genE0ELNS1_11target_archE4294967295ELNS1_3gpuE0ELNS1_3repE0EEENS1_30default_config_static_selectorELNS0_4arch9wavefront6targetE1EEEvT1_,"axG",@progbits,_ZN7rocprim17ROCPRIM_400000_NS6detail17trampoline_kernelINS0_14default_configENS1_20scan_config_selectorIiEEZZNS1_9scan_implILNS1_25lookback_scan_determinismE0ELb0ELb1ES3_N6thrust23THRUST_200600_302600_NS6detail15normal_iteratorINS9_10device_ptrIiEEEESE_iNS9_10multipliesIiEEiEEDaPvRmT3_T4_T5_mT6_P12ihipStream_tbENKUlT_T0_E_clISt17integral_constantIbLb1EEST_IbLb0EEEEDaSP_SQ_EUlSP_E0_NS1_11comp_targetILNS1_3genE0ELNS1_11target_archE4294967295ELNS1_3gpuE0ELNS1_3repE0EEENS1_30default_config_static_selectorELNS0_4arch9wavefront6targetE1EEEvT1_,comdat
.Lfunc_end633:
	.size	_ZN7rocprim17ROCPRIM_400000_NS6detail17trampoline_kernelINS0_14default_configENS1_20scan_config_selectorIiEEZZNS1_9scan_implILNS1_25lookback_scan_determinismE0ELb0ELb1ES3_N6thrust23THRUST_200600_302600_NS6detail15normal_iteratorINS9_10device_ptrIiEEEESE_iNS9_10multipliesIiEEiEEDaPvRmT3_T4_T5_mT6_P12ihipStream_tbENKUlT_T0_E_clISt17integral_constantIbLb1EEST_IbLb0EEEEDaSP_SQ_EUlSP_E0_NS1_11comp_targetILNS1_3genE0ELNS1_11target_archE4294967295ELNS1_3gpuE0ELNS1_3repE0EEENS1_30default_config_static_selectorELNS0_4arch9wavefront6targetE1EEEvT1_, .Lfunc_end633-_ZN7rocprim17ROCPRIM_400000_NS6detail17trampoline_kernelINS0_14default_configENS1_20scan_config_selectorIiEEZZNS1_9scan_implILNS1_25lookback_scan_determinismE0ELb0ELb1ES3_N6thrust23THRUST_200600_302600_NS6detail15normal_iteratorINS9_10device_ptrIiEEEESE_iNS9_10multipliesIiEEiEEDaPvRmT3_T4_T5_mT6_P12ihipStream_tbENKUlT_T0_E_clISt17integral_constantIbLb1EEST_IbLb0EEEEDaSP_SQ_EUlSP_E0_NS1_11comp_targetILNS1_3genE0ELNS1_11target_archE4294967295ELNS1_3gpuE0ELNS1_3repE0EEENS1_30default_config_static_selectorELNS0_4arch9wavefront6targetE1EEEvT1_
                                        ; -- End function
	.section	.AMDGPU.csdata,"",@progbits
; Kernel info:
; codeLenInByte = 0
; NumSgprs: 4
; NumVgprs: 0
; NumAgprs: 0
; TotalNumVgprs: 0
; ScratchSize: 0
; MemoryBound: 0
; FloatMode: 240
; IeeeMode: 1
; LDSByteSize: 0 bytes/workgroup (compile time only)
; SGPRBlocks: 0
; VGPRBlocks: 0
; NumSGPRsForWavesPerEU: 4
; NumVGPRsForWavesPerEU: 1
; AccumOffset: 4
; Occupancy: 8
; WaveLimiterHint : 0
; COMPUTE_PGM_RSRC2:SCRATCH_EN: 0
; COMPUTE_PGM_RSRC2:USER_SGPR: 6
; COMPUTE_PGM_RSRC2:TRAP_HANDLER: 0
; COMPUTE_PGM_RSRC2:TGID_X_EN: 1
; COMPUTE_PGM_RSRC2:TGID_Y_EN: 0
; COMPUTE_PGM_RSRC2:TGID_Z_EN: 0
; COMPUTE_PGM_RSRC2:TIDIG_COMP_CNT: 0
; COMPUTE_PGM_RSRC3_GFX90A:ACCUM_OFFSET: 0
; COMPUTE_PGM_RSRC3_GFX90A:TG_SPLIT: 0
	.section	.text._ZN7rocprim17ROCPRIM_400000_NS6detail17trampoline_kernelINS0_14default_configENS1_20scan_config_selectorIiEEZZNS1_9scan_implILNS1_25lookback_scan_determinismE0ELb0ELb1ES3_N6thrust23THRUST_200600_302600_NS6detail15normal_iteratorINS9_10device_ptrIiEEEESE_iNS9_10multipliesIiEEiEEDaPvRmT3_T4_T5_mT6_P12ihipStream_tbENKUlT_T0_E_clISt17integral_constantIbLb1EEST_IbLb0EEEEDaSP_SQ_EUlSP_E0_NS1_11comp_targetILNS1_3genE5ELNS1_11target_archE942ELNS1_3gpuE9ELNS1_3repE0EEENS1_30default_config_static_selectorELNS0_4arch9wavefront6targetE1EEEvT1_,"axG",@progbits,_ZN7rocprim17ROCPRIM_400000_NS6detail17trampoline_kernelINS0_14default_configENS1_20scan_config_selectorIiEEZZNS1_9scan_implILNS1_25lookback_scan_determinismE0ELb0ELb1ES3_N6thrust23THRUST_200600_302600_NS6detail15normal_iteratorINS9_10device_ptrIiEEEESE_iNS9_10multipliesIiEEiEEDaPvRmT3_T4_T5_mT6_P12ihipStream_tbENKUlT_T0_E_clISt17integral_constantIbLb1EEST_IbLb0EEEEDaSP_SQ_EUlSP_E0_NS1_11comp_targetILNS1_3genE5ELNS1_11target_archE942ELNS1_3gpuE9ELNS1_3repE0EEENS1_30default_config_static_selectorELNS0_4arch9wavefront6targetE1EEEvT1_,comdat
	.protected	_ZN7rocprim17ROCPRIM_400000_NS6detail17trampoline_kernelINS0_14default_configENS1_20scan_config_selectorIiEEZZNS1_9scan_implILNS1_25lookback_scan_determinismE0ELb0ELb1ES3_N6thrust23THRUST_200600_302600_NS6detail15normal_iteratorINS9_10device_ptrIiEEEESE_iNS9_10multipliesIiEEiEEDaPvRmT3_T4_T5_mT6_P12ihipStream_tbENKUlT_T0_E_clISt17integral_constantIbLb1EEST_IbLb0EEEEDaSP_SQ_EUlSP_E0_NS1_11comp_targetILNS1_3genE5ELNS1_11target_archE942ELNS1_3gpuE9ELNS1_3repE0EEENS1_30default_config_static_selectorELNS0_4arch9wavefront6targetE1EEEvT1_ ; -- Begin function _ZN7rocprim17ROCPRIM_400000_NS6detail17trampoline_kernelINS0_14default_configENS1_20scan_config_selectorIiEEZZNS1_9scan_implILNS1_25lookback_scan_determinismE0ELb0ELb1ES3_N6thrust23THRUST_200600_302600_NS6detail15normal_iteratorINS9_10device_ptrIiEEEESE_iNS9_10multipliesIiEEiEEDaPvRmT3_T4_T5_mT6_P12ihipStream_tbENKUlT_T0_E_clISt17integral_constantIbLb1EEST_IbLb0EEEEDaSP_SQ_EUlSP_E0_NS1_11comp_targetILNS1_3genE5ELNS1_11target_archE942ELNS1_3gpuE9ELNS1_3repE0EEENS1_30default_config_static_selectorELNS0_4arch9wavefront6targetE1EEEvT1_
	.globl	_ZN7rocprim17ROCPRIM_400000_NS6detail17trampoline_kernelINS0_14default_configENS1_20scan_config_selectorIiEEZZNS1_9scan_implILNS1_25lookback_scan_determinismE0ELb0ELb1ES3_N6thrust23THRUST_200600_302600_NS6detail15normal_iteratorINS9_10device_ptrIiEEEESE_iNS9_10multipliesIiEEiEEDaPvRmT3_T4_T5_mT6_P12ihipStream_tbENKUlT_T0_E_clISt17integral_constantIbLb1EEST_IbLb0EEEEDaSP_SQ_EUlSP_E0_NS1_11comp_targetILNS1_3genE5ELNS1_11target_archE942ELNS1_3gpuE9ELNS1_3repE0EEENS1_30default_config_static_selectorELNS0_4arch9wavefront6targetE1EEEvT1_
	.p2align	8
	.type	_ZN7rocprim17ROCPRIM_400000_NS6detail17trampoline_kernelINS0_14default_configENS1_20scan_config_selectorIiEEZZNS1_9scan_implILNS1_25lookback_scan_determinismE0ELb0ELb1ES3_N6thrust23THRUST_200600_302600_NS6detail15normal_iteratorINS9_10device_ptrIiEEEESE_iNS9_10multipliesIiEEiEEDaPvRmT3_T4_T5_mT6_P12ihipStream_tbENKUlT_T0_E_clISt17integral_constantIbLb1EEST_IbLb0EEEEDaSP_SQ_EUlSP_E0_NS1_11comp_targetILNS1_3genE5ELNS1_11target_archE942ELNS1_3gpuE9ELNS1_3repE0EEENS1_30default_config_static_selectorELNS0_4arch9wavefront6targetE1EEEvT1_,@function
_ZN7rocprim17ROCPRIM_400000_NS6detail17trampoline_kernelINS0_14default_configENS1_20scan_config_selectorIiEEZZNS1_9scan_implILNS1_25lookback_scan_determinismE0ELb0ELb1ES3_N6thrust23THRUST_200600_302600_NS6detail15normal_iteratorINS9_10device_ptrIiEEEESE_iNS9_10multipliesIiEEiEEDaPvRmT3_T4_T5_mT6_P12ihipStream_tbENKUlT_T0_E_clISt17integral_constantIbLb1EEST_IbLb0EEEEDaSP_SQ_EUlSP_E0_NS1_11comp_targetILNS1_3genE5ELNS1_11target_archE942ELNS1_3gpuE9ELNS1_3repE0EEENS1_30default_config_static_selectorELNS0_4arch9wavefront6targetE1EEEvT1_: ; @_ZN7rocprim17ROCPRIM_400000_NS6detail17trampoline_kernelINS0_14default_configENS1_20scan_config_selectorIiEEZZNS1_9scan_implILNS1_25lookback_scan_determinismE0ELb0ELb1ES3_N6thrust23THRUST_200600_302600_NS6detail15normal_iteratorINS9_10device_ptrIiEEEESE_iNS9_10multipliesIiEEiEEDaPvRmT3_T4_T5_mT6_P12ihipStream_tbENKUlT_T0_E_clISt17integral_constantIbLb1EEST_IbLb0EEEEDaSP_SQ_EUlSP_E0_NS1_11comp_targetILNS1_3genE5ELNS1_11target_archE942ELNS1_3gpuE9ELNS1_3repE0EEENS1_30default_config_static_selectorELNS0_4arch9wavefront6targetE1EEEvT1_
; %bb.0:
	.section	.rodata,"a",@progbits
	.p2align	6, 0x0
	.amdhsa_kernel _ZN7rocprim17ROCPRIM_400000_NS6detail17trampoline_kernelINS0_14default_configENS1_20scan_config_selectorIiEEZZNS1_9scan_implILNS1_25lookback_scan_determinismE0ELb0ELb1ES3_N6thrust23THRUST_200600_302600_NS6detail15normal_iteratorINS9_10device_ptrIiEEEESE_iNS9_10multipliesIiEEiEEDaPvRmT3_T4_T5_mT6_P12ihipStream_tbENKUlT_T0_E_clISt17integral_constantIbLb1EEST_IbLb0EEEEDaSP_SQ_EUlSP_E0_NS1_11comp_targetILNS1_3genE5ELNS1_11target_archE942ELNS1_3gpuE9ELNS1_3repE0EEENS1_30default_config_static_selectorELNS0_4arch9wavefront6targetE1EEEvT1_
		.amdhsa_group_segment_fixed_size 0
		.amdhsa_private_segment_fixed_size 0
		.amdhsa_kernarg_size 32
		.amdhsa_user_sgpr_count 6
		.amdhsa_user_sgpr_private_segment_buffer 1
		.amdhsa_user_sgpr_dispatch_ptr 0
		.amdhsa_user_sgpr_queue_ptr 0
		.amdhsa_user_sgpr_kernarg_segment_ptr 1
		.amdhsa_user_sgpr_dispatch_id 0
		.amdhsa_user_sgpr_flat_scratch_init 0
		.amdhsa_user_sgpr_kernarg_preload_length 0
		.amdhsa_user_sgpr_kernarg_preload_offset 0
		.amdhsa_user_sgpr_private_segment_size 0
		.amdhsa_uses_dynamic_stack 0
		.amdhsa_system_sgpr_private_segment_wavefront_offset 0
		.amdhsa_system_sgpr_workgroup_id_x 1
		.amdhsa_system_sgpr_workgroup_id_y 0
		.amdhsa_system_sgpr_workgroup_id_z 0
		.amdhsa_system_sgpr_workgroup_info 0
		.amdhsa_system_vgpr_workitem_id 0
		.amdhsa_next_free_vgpr 1
		.amdhsa_next_free_sgpr 0
		.amdhsa_accum_offset 4
		.amdhsa_reserve_vcc 0
		.amdhsa_reserve_flat_scratch 0
		.amdhsa_float_round_mode_32 0
		.amdhsa_float_round_mode_16_64 0
		.amdhsa_float_denorm_mode_32 3
		.amdhsa_float_denorm_mode_16_64 3
		.amdhsa_dx10_clamp 1
		.amdhsa_ieee_mode 1
		.amdhsa_fp16_overflow 0
		.amdhsa_tg_split 0
		.amdhsa_exception_fp_ieee_invalid_op 0
		.amdhsa_exception_fp_denorm_src 0
		.amdhsa_exception_fp_ieee_div_zero 0
		.amdhsa_exception_fp_ieee_overflow 0
		.amdhsa_exception_fp_ieee_underflow 0
		.amdhsa_exception_fp_ieee_inexact 0
		.amdhsa_exception_int_div_zero 0
	.end_amdhsa_kernel
	.section	.text._ZN7rocprim17ROCPRIM_400000_NS6detail17trampoline_kernelINS0_14default_configENS1_20scan_config_selectorIiEEZZNS1_9scan_implILNS1_25lookback_scan_determinismE0ELb0ELb1ES3_N6thrust23THRUST_200600_302600_NS6detail15normal_iteratorINS9_10device_ptrIiEEEESE_iNS9_10multipliesIiEEiEEDaPvRmT3_T4_T5_mT6_P12ihipStream_tbENKUlT_T0_E_clISt17integral_constantIbLb1EEST_IbLb0EEEEDaSP_SQ_EUlSP_E0_NS1_11comp_targetILNS1_3genE5ELNS1_11target_archE942ELNS1_3gpuE9ELNS1_3repE0EEENS1_30default_config_static_selectorELNS0_4arch9wavefront6targetE1EEEvT1_,"axG",@progbits,_ZN7rocprim17ROCPRIM_400000_NS6detail17trampoline_kernelINS0_14default_configENS1_20scan_config_selectorIiEEZZNS1_9scan_implILNS1_25lookback_scan_determinismE0ELb0ELb1ES3_N6thrust23THRUST_200600_302600_NS6detail15normal_iteratorINS9_10device_ptrIiEEEESE_iNS9_10multipliesIiEEiEEDaPvRmT3_T4_T5_mT6_P12ihipStream_tbENKUlT_T0_E_clISt17integral_constantIbLb1EEST_IbLb0EEEEDaSP_SQ_EUlSP_E0_NS1_11comp_targetILNS1_3genE5ELNS1_11target_archE942ELNS1_3gpuE9ELNS1_3repE0EEENS1_30default_config_static_selectorELNS0_4arch9wavefront6targetE1EEEvT1_,comdat
.Lfunc_end634:
	.size	_ZN7rocprim17ROCPRIM_400000_NS6detail17trampoline_kernelINS0_14default_configENS1_20scan_config_selectorIiEEZZNS1_9scan_implILNS1_25lookback_scan_determinismE0ELb0ELb1ES3_N6thrust23THRUST_200600_302600_NS6detail15normal_iteratorINS9_10device_ptrIiEEEESE_iNS9_10multipliesIiEEiEEDaPvRmT3_T4_T5_mT6_P12ihipStream_tbENKUlT_T0_E_clISt17integral_constantIbLb1EEST_IbLb0EEEEDaSP_SQ_EUlSP_E0_NS1_11comp_targetILNS1_3genE5ELNS1_11target_archE942ELNS1_3gpuE9ELNS1_3repE0EEENS1_30default_config_static_selectorELNS0_4arch9wavefront6targetE1EEEvT1_, .Lfunc_end634-_ZN7rocprim17ROCPRIM_400000_NS6detail17trampoline_kernelINS0_14default_configENS1_20scan_config_selectorIiEEZZNS1_9scan_implILNS1_25lookback_scan_determinismE0ELb0ELb1ES3_N6thrust23THRUST_200600_302600_NS6detail15normal_iteratorINS9_10device_ptrIiEEEESE_iNS9_10multipliesIiEEiEEDaPvRmT3_T4_T5_mT6_P12ihipStream_tbENKUlT_T0_E_clISt17integral_constantIbLb1EEST_IbLb0EEEEDaSP_SQ_EUlSP_E0_NS1_11comp_targetILNS1_3genE5ELNS1_11target_archE942ELNS1_3gpuE9ELNS1_3repE0EEENS1_30default_config_static_selectorELNS0_4arch9wavefront6targetE1EEEvT1_
                                        ; -- End function
	.section	.AMDGPU.csdata,"",@progbits
; Kernel info:
; codeLenInByte = 0
; NumSgprs: 4
; NumVgprs: 0
; NumAgprs: 0
; TotalNumVgprs: 0
; ScratchSize: 0
; MemoryBound: 0
; FloatMode: 240
; IeeeMode: 1
; LDSByteSize: 0 bytes/workgroup (compile time only)
; SGPRBlocks: 0
; VGPRBlocks: 0
; NumSGPRsForWavesPerEU: 4
; NumVGPRsForWavesPerEU: 1
; AccumOffset: 4
; Occupancy: 8
; WaveLimiterHint : 0
; COMPUTE_PGM_RSRC2:SCRATCH_EN: 0
; COMPUTE_PGM_RSRC2:USER_SGPR: 6
; COMPUTE_PGM_RSRC2:TRAP_HANDLER: 0
; COMPUTE_PGM_RSRC2:TGID_X_EN: 1
; COMPUTE_PGM_RSRC2:TGID_Y_EN: 0
; COMPUTE_PGM_RSRC2:TGID_Z_EN: 0
; COMPUTE_PGM_RSRC2:TIDIG_COMP_CNT: 0
; COMPUTE_PGM_RSRC3_GFX90A:ACCUM_OFFSET: 0
; COMPUTE_PGM_RSRC3_GFX90A:TG_SPLIT: 0
	.section	.text._ZN7rocprim17ROCPRIM_400000_NS6detail17trampoline_kernelINS0_14default_configENS1_20scan_config_selectorIiEEZZNS1_9scan_implILNS1_25lookback_scan_determinismE0ELb0ELb1ES3_N6thrust23THRUST_200600_302600_NS6detail15normal_iteratorINS9_10device_ptrIiEEEESE_iNS9_10multipliesIiEEiEEDaPvRmT3_T4_T5_mT6_P12ihipStream_tbENKUlT_T0_E_clISt17integral_constantIbLb1EEST_IbLb0EEEEDaSP_SQ_EUlSP_E0_NS1_11comp_targetILNS1_3genE4ELNS1_11target_archE910ELNS1_3gpuE8ELNS1_3repE0EEENS1_30default_config_static_selectorELNS0_4arch9wavefront6targetE1EEEvT1_,"axG",@progbits,_ZN7rocprim17ROCPRIM_400000_NS6detail17trampoline_kernelINS0_14default_configENS1_20scan_config_selectorIiEEZZNS1_9scan_implILNS1_25lookback_scan_determinismE0ELb0ELb1ES3_N6thrust23THRUST_200600_302600_NS6detail15normal_iteratorINS9_10device_ptrIiEEEESE_iNS9_10multipliesIiEEiEEDaPvRmT3_T4_T5_mT6_P12ihipStream_tbENKUlT_T0_E_clISt17integral_constantIbLb1EEST_IbLb0EEEEDaSP_SQ_EUlSP_E0_NS1_11comp_targetILNS1_3genE4ELNS1_11target_archE910ELNS1_3gpuE8ELNS1_3repE0EEENS1_30default_config_static_selectorELNS0_4arch9wavefront6targetE1EEEvT1_,comdat
	.protected	_ZN7rocprim17ROCPRIM_400000_NS6detail17trampoline_kernelINS0_14default_configENS1_20scan_config_selectorIiEEZZNS1_9scan_implILNS1_25lookback_scan_determinismE0ELb0ELb1ES3_N6thrust23THRUST_200600_302600_NS6detail15normal_iteratorINS9_10device_ptrIiEEEESE_iNS9_10multipliesIiEEiEEDaPvRmT3_T4_T5_mT6_P12ihipStream_tbENKUlT_T0_E_clISt17integral_constantIbLb1EEST_IbLb0EEEEDaSP_SQ_EUlSP_E0_NS1_11comp_targetILNS1_3genE4ELNS1_11target_archE910ELNS1_3gpuE8ELNS1_3repE0EEENS1_30default_config_static_selectorELNS0_4arch9wavefront6targetE1EEEvT1_ ; -- Begin function _ZN7rocprim17ROCPRIM_400000_NS6detail17trampoline_kernelINS0_14default_configENS1_20scan_config_selectorIiEEZZNS1_9scan_implILNS1_25lookback_scan_determinismE0ELb0ELb1ES3_N6thrust23THRUST_200600_302600_NS6detail15normal_iteratorINS9_10device_ptrIiEEEESE_iNS9_10multipliesIiEEiEEDaPvRmT3_T4_T5_mT6_P12ihipStream_tbENKUlT_T0_E_clISt17integral_constantIbLb1EEST_IbLb0EEEEDaSP_SQ_EUlSP_E0_NS1_11comp_targetILNS1_3genE4ELNS1_11target_archE910ELNS1_3gpuE8ELNS1_3repE0EEENS1_30default_config_static_selectorELNS0_4arch9wavefront6targetE1EEEvT1_
	.globl	_ZN7rocprim17ROCPRIM_400000_NS6detail17trampoline_kernelINS0_14default_configENS1_20scan_config_selectorIiEEZZNS1_9scan_implILNS1_25lookback_scan_determinismE0ELb0ELb1ES3_N6thrust23THRUST_200600_302600_NS6detail15normal_iteratorINS9_10device_ptrIiEEEESE_iNS9_10multipliesIiEEiEEDaPvRmT3_T4_T5_mT6_P12ihipStream_tbENKUlT_T0_E_clISt17integral_constantIbLb1EEST_IbLb0EEEEDaSP_SQ_EUlSP_E0_NS1_11comp_targetILNS1_3genE4ELNS1_11target_archE910ELNS1_3gpuE8ELNS1_3repE0EEENS1_30default_config_static_selectorELNS0_4arch9wavefront6targetE1EEEvT1_
	.p2align	8
	.type	_ZN7rocprim17ROCPRIM_400000_NS6detail17trampoline_kernelINS0_14default_configENS1_20scan_config_selectorIiEEZZNS1_9scan_implILNS1_25lookback_scan_determinismE0ELb0ELb1ES3_N6thrust23THRUST_200600_302600_NS6detail15normal_iteratorINS9_10device_ptrIiEEEESE_iNS9_10multipliesIiEEiEEDaPvRmT3_T4_T5_mT6_P12ihipStream_tbENKUlT_T0_E_clISt17integral_constantIbLb1EEST_IbLb0EEEEDaSP_SQ_EUlSP_E0_NS1_11comp_targetILNS1_3genE4ELNS1_11target_archE910ELNS1_3gpuE8ELNS1_3repE0EEENS1_30default_config_static_selectorELNS0_4arch9wavefront6targetE1EEEvT1_,@function
_ZN7rocprim17ROCPRIM_400000_NS6detail17trampoline_kernelINS0_14default_configENS1_20scan_config_selectorIiEEZZNS1_9scan_implILNS1_25lookback_scan_determinismE0ELb0ELb1ES3_N6thrust23THRUST_200600_302600_NS6detail15normal_iteratorINS9_10device_ptrIiEEEESE_iNS9_10multipliesIiEEiEEDaPvRmT3_T4_T5_mT6_P12ihipStream_tbENKUlT_T0_E_clISt17integral_constantIbLb1EEST_IbLb0EEEEDaSP_SQ_EUlSP_E0_NS1_11comp_targetILNS1_3genE4ELNS1_11target_archE910ELNS1_3gpuE8ELNS1_3repE0EEENS1_30default_config_static_selectorELNS0_4arch9wavefront6targetE1EEEvT1_: ; @_ZN7rocprim17ROCPRIM_400000_NS6detail17trampoline_kernelINS0_14default_configENS1_20scan_config_selectorIiEEZZNS1_9scan_implILNS1_25lookback_scan_determinismE0ELb0ELb1ES3_N6thrust23THRUST_200600_302600_NS6detail15normal_iteratorINS9_10device_ptrIiEEEESE_iNS9_10multipliesIiEEiEEDaPvRmT3_T4_T5_mT6_P12ihipStream_tbENKUlT_T0_E_clISt17integral_constantIbLb1EEST_IbLb0EEEEDaSP_SQ_EUlSP_E0_NS1_11comp_targetILNS1_3genE4ELNS1_11target_archE910ELNS1_3gpuE8ELNS1_3repE0EEENS1_30default_config_static_selectorELNS0_4arch9wavefront6targetE1EEEvT1_
; %bb.0:
	s_load_dwordx4 s[20:23], s[4:5], 0x0
	v_lshlrev_b32_e32 v18, 2, v0
	s_waitcnt lgkmcnt(0)
	s_load_dword s23, s[20:21], 0x0
	v_cmp_gt_u32_e32 vcc, s22, v0
	s_waitcnt lgkmcnt(0)
	v_mov_b32_e32 v1, s23
	s_and_saveexec_b64 s[0:1], vcc
	s_cbranch_execz .LBB635_2
; %bb.1:
	global_load_dword v1, v18, s[20:21]
.LBB635_2:
	s_or_b64 exec, exec, s[0:1]
	v_or_b32_e32 v2, 0x80, v0
	v_cmp_gt_u32_e64 s[0:1], s22, v2
	v_mov_b32_e32 v2, s23
	s_and_saveexec_b64 s[2:3], s[0:1]
	s_cbranch_execz .LBB635_4
; %bb.3:
	global_load_dword v2, v18, s[20:21] offset:512
.LBB635_4:
	s_or_b64 exec, exec, s[2:3]
	v_or_b32_e32 v3, 0x100, v0
	v_cmp_gt_u32_e64 s[2:3], s22, v3
	v_mov_b32_e32 v3, s23
	s_and_saveexec_b64 s[6:7], s[2:3]
	s_cbranch_execz .LBB635_6
; %bb.5:
	global_load_dword v3, v18, s[20:21] offset:1024
.LBB635_6:
	;; [unrolled: 9-line block ×7, first 2 shown]
	s_or_b64 exec, exec, s[14:15]
	v_or_b32_e32 v10, 0x400, v0
	v_cmp_gt_u32_e64 s[14:15], s22, v10
	v_mov_b32_e32 v9, s23
	s_and_saveexec_b64 s[16:17], s[14:15]
	s_cbranch_execz .LBB635_18
; %bb.17:
	v_lshlrev_b32_e32 v9, 2, v10
	global_load_dword v9, v9, s[20:21]
.LBB635_18:
	s_or_b64 exec, exec, s[16:17]
	v_or_b32_e32 v11, 0x480, v0
	v_cmp_gt_u32_e64 s[16:17], s22, v11
	v_mov_b32_e32 v10, s23
	s_and_saveexec_b64 s[22:23], s[16:17]
	s_cbranch_execz .LBB635_20
; %bb.19:
	v_lshlrev_b32_e32 v10, 2, v11
	global_load_dword v10, v10, s[20:21]
.LBB635_20:
	s_or_b64 exec, exec, s[22:23]
	s_waitcnt vmcnt(0)
	ds_write2st64_b32 v18, v1, v2 offset1:2
	ds_write2st64_b32 v18, v3, v4 offset0:4 offset1:6
	ds_write2st64_b32 v18, v5, v6 offset0:8 offset1:10
	ds_write2st64_b32 v18, v7, v8 offset0:12 offset1:14
	ds_write2st64_b32 v18, v9, v10 offset0:16 offset1:18
	v_mad_u32_u24 v1, v0, 36, v18
	s_waitcnt lgkmcnt(0)
	s_barrier
	ds_read2_b64 v[6:9], v1 offset1:1
	ds_read2_b64 v[2:5], v1 offset0:2 offset1:3
	ds_read_b64 v[10:11], v1 offset:32
	v_lshrrev_b32_e32 v20, 3, v0
	v_and_b32_e32 v20, 12, v20
	s_waitcnt lgkmcnt(2)
	v_mul_lo_u32 v1, v7, v6
	v_mul_lo_u32 v12, v1, v8
	;; [unrolled: 1-line block ×3, first 2 shown]
	s_waitcnt lgkmcnt(1)
	v_mul_lo_u32 v14, v13, v2
	v_mul_lo_u32 v17, v14, v3
	v_mul_lo_u32 v16, v17, v4
	v_mul_lo_u32 v15, v16, v5
	s_waitcnt lgkmcnt(0)
	v_mul_lo_u32 v19, v15, v10
	v_mul_lo_u32 v19, v19, v11
	v_add_u32_e32 v20, v18, v20
	v_cmp_gt_u32_e64 s[20:21], 64, v0
	s_barrier
	ds_write_b32 v20, v19
	s_waitcnt lgkmcnt(0)
	s_barrier
	s_and_saveexec_b64 s[22:23], s[20:21]
	s_cbranch_execz .LBB635_22
; %bb.21:
	v_lshlrev_b32_e32 v20, 1, v0
	v_lshrrev_b32_e32 v21, 4, v0
	v_add_lshl_u32 v22, v21, v20, 2
	ds_read2_b32 v[20:21], v22 offset1:1
	v_mbcnt_lo_u32_b32 v23, -1, 0
	v_mbcnt_hi_u32_b32 v23, -1, v23
	v_and_b32_e32 v24, 15, v23
	v_cmp_ne_u32_e64 s[20:21], 0, v24
	s_waitcnt lgkmcnt(0)
	v_mul_lo_u32 v21, v21, v20
	; wave barrier
	s_nop 1
	v_mov_b32_dpp v25, v21 row_shr:1 row_mask:0xf bank_mask:0xf
	v_cndmask_b32_e64 v25, 1, v25, s[20:21]
	v_mul_lo_u32 v21, v25, v21
	v_cmp_lt_u32_e64 s[20:21], 1, v24
	s_nop 0
	v_mov_b32_dpp v25, v21 row_shr:2 row_mask:0xf bank_mask:0xf
	v_cndmask_b32_e64 v25, 1, v25, s[20:21]
	v_mul_lo_u32 v21, v21, v25
	v_cmp_lt_u32_e64 s[20:21], 3, v24
	;; [unrolled: 5-line block ×3, first 2 shown]
	s_nop 0
	v_mov_b32_dpp v25, v21 row_shr:8 row_mask:0xf bank_mask:0xf
	v_cndmask_b32_e64 v24, 1, v25, s[20:21]
	v_mul_lo_u32 v21, v21, v24
	v_and_b32_e32 v25, 16, v23
	v_cmp_ne_u32_e64 s[20:21], 0, v25
	v_mov_b32_dpp v24, v21 row_bcast:15 row_mask:0xf bank_mask:0xf
	v_cndmask_b32_e64 v24, 1, v24, s[20:21]
	v_mul_lo_u32 v21, v21, v24
	v_cmp_lt_u32_e64 s[20:21], 31, v23
	v_and_b32_e32 v25, 64, v23
	v_mov_b32_dpp v24, v21 row_bcast:31 row_mask:0xf bank_mask:0xf
	v_cndmask_b32_e64 v24, 1, v24, s[20:21]
	v_mul_lo_u32 v21, v21, v24
	v_add_u32_e32 v24, -1, v23
	v_cmp_lt_i32_e64 s[20:21], v24, v25
	v_cndmask_b32_e64 v23, v24, v23, s[20:21]
	v_lshlrev_b32_e32 v23, 2, v23
	ds_bpermute_b32 v21, v23, v21
	v_cmp_eq_u32_e64 s[20:21], 0, v0
	s_waitcnt lgkmcnt(0)
	v_mul_lo_u32 v20, v21, v20
	v_cndmask_b32_e64 v20, v20, v19, s[20:21]
	ds_write_b32 v22, v20
	; wave barrier
	ds_read_b32 v21, v22 offset:4
	s_waitcnt lgkmcnt(0)
	v_mul_lo_u32 v20, v21, v20
	ds_write_b32 v22, v20 offset:4
.LBB635_22:
	s_or_b64 exec, exec, s[22:23]
	s_load_dwordx2 s[22:23], s[4:5], 0x18
	v_cmp_ne_u32_e64 s[20:21], 0, v0
	s_waitcnt lgkmcnt(0)
	s_barrier
	s_and_saveexec_b64 s[24:25], s[20:21]
	s_cbranch_execz .LBB635_24
; %bb.23:
	v_add_u32_e32 v19, -1, v0
	v_lshrrev_b32_e32 v20, 5, v19
	v_add_lshl_u32 v19, v20, v19, 2
	ds_read_b32 v19, v19
.LBB635_24:
	s_or_b64 exec, exec, s[24:25]
	s_load_dword s24, s[4:5], 0x10
	v_mul_u32_u24_e32 v20, 36, v0
	v_mov_b32_e32 v0, v6
	s_and_saveexec_b64 s[4:5], s[20:21]
	s_cbranch_execz .LBB635_26
; %bb.25:
	s_waitcnt lgkmcnt(0)
	v_mul_lo_u32 v0, v19, v6
	v_mul_lo_u32 v1, v0, v7
	v_mul_lo_u32 v12, v1, v8
	v_mul_lo_u32 v13, v12, v9
	v_mul_lo_u32 v14, v13, v2
	v_mul_lo_u32 v17, v14, v3
	v_mul_lo_u32 v16, v17, v4
	v_mul_lo_u32 v15, v16, v5
	;;#ASMSTART
	;;#ASMEND
.LBB635_26:
	s_or_b64 exec, exec, s[4:5]
	s_waitcnt lgkmcnt(0)
	v_mul_lo_u32 v8, v10, s24
	v_mul_lo_u32 v8, v8, v15
	;; [unrolled: 1-line block ×11, first 2 shown]
	v_add_u32_e32 v10, v18, v20
	s_barrier
	ds_write2_b64 v10, v[0:1], v[2:3] offset1:1
	ds_write2_b64 v10, v[4:5], v[6:7] offset0:2 offset1:3
	ds_write_b64 v10, v[8:9] offset:32
	s_waitcnt lgkmcnt(0)
	s_barrier
	ds_read2st64_b32 v[8:9], v18 offset0:2 offset1:4
	ds_read2st64_b32 v[6:7], v18 offset0:6 offset1:8
	;; [unrolled: 1-line block ×4, first 2 shown]
	ds_read_b32 v10, v18 offset:4608
	v_mov_b32_e32 v1, s23
	v_add_co_u32_e64 v0, s[4:5], s22, v18
	v_addc_co_u32_e64 v1, s[4:5], 0, v1, s[4:5]
	s_and_saveexec_b64 s[4:5], vcc
	s_cbranch_execnz .LBB635_37
; %bb.27:
	s_or_b64 exec, exec, s[4:5]
	s_and_saveexec_b64 s[4:5], s[0:1]
	s_cbranch_execnz .LBB635_38
.LBB635_28:
	s_or_b64 exec, exec, s[4:5]
	s_and_saveexec_b64 s[0:1], s[2:3]
	s_cbranch_execnz .LBB635_39
.LBB635_29:
	s_or_b64 exec, exec, s[0:1]
	s_and_saveexec_b64 s[0:1], s[18:19]
	s_cbranch_execnz .LBB635_40
.LBB635_30:
	s_or_b64 exec, exec, s[0:1]
	s_and_saveexec_b64 s[0:1], s[6:7]
	s_cbranch_execnz .LBB635_41
.LBB635_31:
	s_or_b64 exec, exec, s[0:1]
	s_and_saveexec_b64 s[0:1], s[8:9]
	s_cbranch_execnz .LBB635_42
.LBB635_32:
	s_or_b64 exec, exec, s[0:1]
	s_and_saveexec_b64 s[0:1], s[10:11]
	s_cbranch_execnz .LBB635_43
.LBB635_33:
	s_or_b64 exec, exec, s[0:1]
	s_and_saveexec_b64 s[0:1], s[12:13]
	s_cbranch_execnz .LBB635_44
.LBB635_34:
	s_or_b64 exec, exec, s[0:1]
	s_and_saveexec_b64 s[0:1], s[14:15]
	s_cbranch_execnz .LBB635_45
.LBB635_35:
	s_or_b64 exec, exec, s[0:1]
	s_and_saveexec_b64 s[0:1], s[16:17]
	s_cbranch_execnz .LBB635_46
.LBB635_36:
	s_endpgm
.LBB635_37:
	ds_read_b32 v11, v18
	s_waitcnt lgkmcnt(0)
	global_store_dword v[0:1], v11, off
	s_or_b64 exec, exec, s[4:5]
	s_and_saveexec_b64 s[4:5], s[0:1]
	s_cbranch_execz .LBB635_28
.LBB635_38:
	s_waitcnt lgkmcnt(4)
	global_store_dword v[0:1], v8, off offset:512
	s_or_b64 exec, exec, s[4:5]
	s_and_saveexec_b64 s[0:1], s[2:3]
	s_cbranch_execz .LBB635_29
.LBB635_39:
	s_waitcnt lgkmcnt(4)
	global_store_dword v[0:1], v9, off offset:1024
	s_or_b64 exec, exec, s[0:1]
	s_and_saveexec_b64 s[0:1], s[18:19]
	s_cbranch_execz .LBB635_30
.LBB635_40:
	s_waitcnt lgkmcnt(3)
	global_store_dword v[0:1], v6, off offset:1536
	s_or_b64 exec, exec, s[0:1]
	s_and_saveexec_b64 s[0:1], s[6:7]
	s_cbranch_execz .LBB635_31
.LBB635_41:
	s_waitcnt lgkmcnt(3)
	global_store_dword v[0:1], v7, off offset:2048
	s_or_b64 exec, exec, s[0:1]
	s_and_saveexec_b64 s[0:1], s[8:9]
	s_cbranch_execz .LBB635_32
.LBB635_42:
	s_waitcnt lgkmcnt(2)
	global_store_dword v[0:1], v4, off offset:2560
	s_or_b64 exec, exec, s[0:1]
	s_and_saveexec_b64 s[0:1], s[10:11]
	s_cbranch_execz .LBB635_33
.LBB635_43:
	s_waitcnt lgkmcnt(2)
	global_store_dword v[0:1], v5, off offset:3072
	s_or_b64 exec, exec, s[0:1]
	s_and_saveexec_b64 s[0:1], s[12:13]
	s_cbranch_execz .LBB635_34
.LBB635_44:
	s_waitcnt lgkmcnt(1)
	global_store_dword v[0:1], v2, off offset:3584
	s_or_b64 exec, exec, s[0:1]
	s_and_saveexec_b64 s[0:1], s[14:15]
	s_cbranch_execz .LBB635_35
.LBB635_45:
	s_waitcnt lgkmcnt(2)
	v_add_co_u32_e32 v4, vcc, 0x1000, v0
	v_addc_co_u32_e32 v5, vcc, 0, v1, vcc
	s_waitcnt lgkmcnt(1)
	global_store_dword v[4:5], v3, off
	s_or_b64 exec, exec, s[0:1]
	s_and_saveexec_b64 s[0:1], s[16:17]
	s_cbranch_execz .LBB635_36
.LBB635_46:
	v_add_co_u32_e32 v0, vcc, 0x1000, v0
	v_addc_co_u32_e32 v1, vcc, 0, v1, vcc
	s_waitcnt lgkmcnt(0)
	global_store_dword v[0:1], v10, off offset:512
	s_endpgm
	.section	.rodata,"a",@progbits
	.p2align	6, 0x0
	.amdhsa_kernel _ZN7rocprim17ROCPRIM_400000_NS6detail17trampoline_kernelINS0_14default_configENS1_20scan_config_selectorIiEEZZNS1_9scan_implILNS1_25lookback_scan_determinismE0ELb0ELb1ES3_N6thrust23THRUST_200600_302600_NS6detail15normal_iteratorINS9_10device_ptrIiEEEESE_iNS9_10multipliesIiEEiEEDaPvRmT3_T4_T5_mT6_P12ihipStream_tbENKUlT_T0_E_clISt17integral_constantIbLb1EEST_IbLb0EEEEDaSP_SQ_EUlSP_E0_NS1_11comp_targetILNS1_3genE4ELNS1_11target_archE910ELNS1_3gpuE8ELNS1_3repE0EEENS1_30default_config_static_selectorELNS0_4arch9wavefront6targetE1EEEvT1_
		.amdhsa_group_segment_fixed_size 5120
		.amdhsa_private_segment_fixed_size 0
		.amdhsa_kernarg_size 32
		.amdhsa_user_sgpr_count 6
		.amdhsa_user_sgpr_private_segment_buffer 1
		.amdhsa_user_sgpr_dispatch_ptr 0
		.amdhsa_user_sgpr_queue_ptr 0
		.amdhsa_user_sgpr_kernarg_segment_ptr 1
		.amdhsa_user_sgpr_dispatch_id 0
		.amdhsa_user_sgpr_flat_scratch_init 0
		.amdhsa_user_sgpr_kernarg_preload_length 0
		.amdhsa_user_sgpr_kernarg_preload_offset 0
		.amdhsa_user_sgpr_private_segment_size 0
		.amdhsa_uses_dynamic_stack 0
		.amdhsa_system_sgpr_private_segment_wavefront_offset 0
		.amdhsa_system_sgpr_workgroup_id_x 1
		.amdhsa_system_sgpr_workgroup_id_y 0
		.amdhsa_system_sgpr_workgroup_id_z 0
		.amdhsa_system_sgpr_workgroup_info 0
		.amdhsa_system_vgpr_workitem_id 0
		.amdhsa_next_free_vgpr 26
		.amdhsa_next_free_sgpr 26
		.amdhsa_accum_offset 28
		.amdhsa_reserve_vcc 1
		.amdhsa_reserve_flat_scratch 0
		.amdhsa_float_round_mode_32 0
		.amdhsa_float_round_mode_16_64 0
		.amdhsa_float_denorm_mode_32 3
		.amdhsa_float_denorm_mode_16_64 3
		.amdhsa_dx10_clamp 1
		.amdhsa_ieee_mode 1
		.amdhsa_fp16_overflow 0
		.amdhsa_tg_split 0
		.amdhsa_exception_fp_ieee_invalid_op 0
		.amdhsa_exception_fp_denorm_src 0
		.amdhsa_exception_fp_ieee_div_zero 0
		.amdhsa_exception_fp_ieee_overflow 0
		.amdhsa_exception_fp_ieee_underflow 0
		.amdhsa_exception_fp_ieee_inexact 0
		.amdhsa_exception_int_div_zero 0
	.end_amdhsa_kernel
	.section	.text._ZN7rocprim17ROCPRIM_400000_NS6detail17trampoline_kernelINS0_14default_configENS1_20scan_config_selectorIiEEZZNS1_9scan_implILNS1_25lookback_scan_determinismE0ELb0ELb1ES3_N6thrust23THRUST_200600_302600_NS6detail15normal_iteratorINS9_10device_ptrIiEEEESE_iNS9_10multipliesIiEEiEEDaPvRmT3_T4_T5_mT6_P12ihipStream_tbENKUlT_T0_E_clISt17integral_constantIbLb1EEST_IbLb0EEEEDaSP_SQ_EUlSP_E0_NS1_11comp_targetILNS1_3genE4ELNS1_11target_archE910ELNS1_3gpuE8ELNS1_3repE0EEENS1_30default_config_static_selectorELNS0_4arch9wavefront6targetE1EEEvT1_,"axG",@progbits,_ZN7rocprim17ROCPRIM_400000_NS6detail17trampoline_kernelINS0_14default_configENS1_20scan_config_selectorIiEEZZNS1_9scan_implILNS1_25lookback_scan_determinismE0ELb0ELb1ES3_N6thrust23THRUST_200600_302600_NS6detail15normal_iteratorINS9_10device_ptrIiEEEESE_iNS9_10multipliesIiEEiEEDaPvRmT3_T4_T5_mT6_P12ihipStream_tbENKUlT_T0_E_clISt17integral_constantIbLb1EEST_IbLb0EEEEDaSP_SQ_EUlSP_E0_NS1_11comp_targetILNS1_3genE4ELNS1_11target_archE910ELNS1_3gpuE8ELNS1_3repE0EEENS1_30default_config_static_selectorELNS0_4arch9wavefront6targetE1EEEvT1_,comdat
.Lfunc_end635:
	.size	_ZN7rocprim17ROCPRIM_400000_NS6detail17trampoline_kernelINS0_14default_configENS1_20scan_config_selectorIiEEZZNS1_9scan_implILNS1_25lookback_scan_determinismE0ELb0ELb1ES3_N6thrust23THRUST_200600_302600_NS6detail15normal_iteratorINS9_10device_ptrIiEEEESE_iNS9_10multipliesIiEEiEEDaPvRmT3_T4_T5_mT6_P12ihipStream_tbENKUlT_T0_E_clISt17integral_constantIbLb1EEST_IbLb0EEEEDaSP_SQ_EUlSP_E0_NS1_11comp_targetILNS1_3genE4ELNS1_11target_archE910ELNS1_3gpuE8ELNS1_3repE0EEENS1_30default_config_static_selectorELNS0_4arch9wavefront6targetE1EEEvT1_, .Lfunc_end635-_ZN7rocprim17ROCPRIM_400000_NS6detail17trampoline_kernelINS0_14default_configENS1_20scan_config_selectorIiEEZZNS1_9scan_implILNS1_25lookback_scan_determinismE0ELb0ELb1ES3_N6thrust23THRUST_200600_302600_NS6detail15normal_iteratorINS9_10device_ptrIiEEEESE_iNS9_10multipliesIiEEiEEDaPvRmT3_T4_T5_mT6_P12ihipStream_tbENKUlT_T0_E_clISt17integral_constantIbLb1EEST_IbLb0EEEEDaSP_SQ_EUlSP_E0_NS1_11comp_targetILNS1_3genE4ELNS1_11target_archE910ELNS1_3gpuE8ELNS1_3repE0EEENS1_30default_config_static_selectorELNS0_4arch9wavefront6targetE1EEEvT1_
                                        ; -- End function
	.section	.AMDGPU.csdata,"",@progbits
; Kernel info:
; codeLenInByte = 1748
; NumSgprs: 30
; NumVgprs: 26
; NumAgprs: 0
; TotalNumVgprs: 26
; ScratchSize: 0
; MemoryBound: 0
; FloatMode: 240
; IeeeMode: 1
; LDSByteSize: 5120 bytes/workgroup (compile time only)
; SGPRBlocks: 3
; VGPRBlocks: 3
; NumSGPRsForWavesPerEU: 30
; NumVGPRsForWavesPerEU: 26
; AccumOffset: 28
; Occupancy: 6
; WaveLimiterHint : 0
; COMPUTE_PGM_RSRC2:SCRATCH_EN: 0
; COMPUTE_PGM_RSRC2:USER_SGPR: 6
; COMPUTE_PGM_RSRC2:TRAP_HANDLER: 0
; COMPUTE_PGM_RSRC2:TGID_X_EN: 1
; COMPUTE_PGM_RSRC2:TGID_Y_EN: 0
; COMPUTE_PGM_RSRC2:TGID_Z_EN: 0
; COMPUTE_PGM_RSRC2:TIDIG_COMP_CNT: 0
; COMPUTE_PGM_RSRC3_GFX90A:ACCUM_OFFSET: 6
; COMPUTE_PGM_RSRC3_GFX90A:TG_SPLIT: 0
	.section	.text._ZN7rocprim17ROCPRIM_400000_NS6detail17trampoline_kernelINS0_14default_configENS1_20scan_config_selectorIiEEZZNS1_9scan_implILNS1_25lookback_scan_determinismE0ELb0ELb1ES3_N6thrust23THRUST_200600_302600_NS6detail15normal_iteratorINS9_10device_ptrIiEEEESE_iNS9_10multipliesIiEEiEEDaPvRmT3_T4_T5_mT6_P12ihipStream_tbENKUlT_T0_E_clISt17integral_constantIbLb1EEST_IbLb0EEEEDaSP_SQ_EUlSP_E0_NS1_11comp_targetILNS1_3genE3ELNS1_11target_archE908ELNS1_3gpuE7ELNS1_3repE0EEENS1_30default_config_static_selectorELNS0_4arch9wavefront6targetE1EEEvT1_,"axG",@progbits,_ZN7rocprim17ROCPRIM_400000_NS6detail17trampoline_kernelINS0_14default_configENS1_20scan_config_selectorIiEEZZNS1_9scan_implILNS1_25lookback_scan_determinismE0ELb0ELb1ES3_N6thrust23THRUST_200600_302600_NS6detail15normal_iteratorINS9_10device_ptrIiEEEESE_iNS9_10multipliesIiEEiEEDaPvRmT3_T4_T5_mT6_P12ihipStream_tbENKUlT_T0_E_clISt17integral_constantIbLb1EEST_IbLb0EEEEDaSP_SQ_EUlSP_E0_NS1_11comp_targetILNS1_3genE3ELNS1_11target_archE908ELNS1_3gpuE7ELNS1_3repE0EEENS1_30default_config_static_selectorELNS0_4arch9wavefront6targetE1EEEvT1_,comdat
	.protected	_ZN7rocprim17ROCPRIM_400000_NS6detail17trampoline_kernelINS0_14default_configENS1_20scan_config_selectorIiEEZZNS1_9scan_implILNS1_25lookback_scan_determinismE0ELb0ELb1ES3_N6thrust23THRUST_200600_302600_NS6detail15normal_iteratorINS9_10device_ptrIiEEEESE_iNS9_10multipliesIiEEiEEDaPvRmT3_T4_T5_mT6_P12ihipStream_tbENKUlT_T0_E_clISt17integral_constantIbLb1EEST_IbLb0EEEEDaSP_SQ_EUlSP_E0_NS1_11comp_targetILNS1_3genE3ELNS1_11target_archE908ELNS1_3gpuE7ELNS1_3repE0EEENS1_30default_config_static_selectorELNS0_4arch9wavefront6targetE1EEEvT1_ ; -- Begin function _ZN7rocprim17ROCPRIM_400000_NS6detail17trampoline_kernelINS0_14default_configENS1_20scan_config_selectorIiEEZZNS1_9scan_implILNS1_25lookback_scan_determinismE0ELb0ELb1ES3_N6thrust23THRUST_200600_302600_NS6detail15normal_iteratorINS9_10device_ptrIiEEEESE_iNS9_10multipliesIiEEiEEDaPvRmT3_T4_T5_mT6_P12ihipStream_tbENKUlT_T0_E_clISt17integral_constantIbLb1EEST_IbLb0EEEEDaSP_SQ_EUlSP_E0_NS1_11comp_targetILNS1_3genE3ELNS1_11target_archE908ELNS1_3gpuE7ELNS1_3repE0EEENS1_30default_config_static_selectorELNS0_4arch9wavefront6targetE1EEEvT1_
	.globl	_ZN7rocprim17ROCPRIM_400000_NS6detail17trampoline_kernelINS0_14default_configENS1_20scan_config_selectorIiEEZZNS1_9scan_implILNS1_25lookback_scan_determinismE0ELb0ELb1ES3_N6thrust23THRUST_200600_302600_NS6detail15normal_iteratorINS9_10device_ptrIiEEEESE_iNS9_10multipliesIiEEiEEDaPvRmT3_T4_T5_mT6_P12ihipStream_tbENKUlT_T0_E_clISt17integral_constantIbLb1EEST_IbLb0EEEEDaSP_SQ_EUlSP_E0_NS1_11comp_targetILNS1_3genE3ELNS1_11target_archE908ELNS1_3gpuE7ELNS1_3repE0EEENS1_30default_config_static_selectorELNS0_4arch9wavefront6targetE1EEEvT1_
	.p2align	8
	.type	_ZN7rocprim17ROCPRIM_400000_NS6detail17trampoline_kernelINS0_14default_configENS1_20scan_config_selectorIiEEZZNS1_9scan_implILNS1_25lookback_scan_determinismE0ELb0ELb1ES3_N6thrust23THRUST_200600_302600_NS6detail15normal_iteratorINS9_10device_ptrIiEEEESE_iNS9_10multipliesIiEEiEEDaPvRmT3_T4_T5_mT6_P12ihipStream_tbENKUlT_T0_E_clISt17integral_constantIbLb1EEST_IbLb0EEEEDaSP_SQ_EUlSP_E0_NS1_11comp_targetILNS1_3genE3ELNS1_11target_archE908ELNS1_3gpuE7ELNS1_3repE0EEENS1_30default_config_static_selectorELNS0_4arch9wavefront6targetE1EEEvT1_,@function
_ZN7rocprim17ROCPRIM_400000_NS6detail17trampoline_kernelINS0_14default_configENS1_20scan_config_selectorIiEEZZNS1_9scan_implILNS1_25lookback_scan_determinismE0ELb0ELb1ES3_N6thrust23THRUST_200600_302600_NS6detail15normal_iteratorINS9_10device_ptrIiEEEESE_iNS9_10multipliesIiEEiEEDaPvRmT3_T4_T5_mT6_P12ihipStream_tbENKUlT_T0_E_clISt17integral_constantIbLb1EEST_IbLb0EEEEDaSP_SQ_EUlSP_E0_NS1_11comp_targetILNS1_3genE3ELNS1_11target_archE908ELNS1_3gpuE7ELNS1_3repE0EEENS1_30default_config_static_selectorELNS0_4arch9wavefront6targetE1EEEvT1_: ; @_ZN7rocprim17ROCPRIM_400000_NS6detail17trampoline_kernelINS0_14default_configENS1_20scan_config_selectorIiEEZZNS1_9scan_implILNS1_25lookback_scan_determinismE0ELb0ELb1ES3_N6thrust23THRUST_200600_302600_NS6detail15normal_iteratorINS9_10device_ptrIiEEEESE_iNS9_10multipliesIiEEiEEDaPvRmT3_T4_T5_mT6_P12ihipStream_tbENKUlT_T0_E_clISt17integral_constantIbLb1EEST_IbLb0EEEEDaSP_SQ_EUlSP_E0_NS1_11comp_targetILNS1_3genE3ELNS1_11target_archE908ELNS1_3gpuE7ELNS1_3repE0EEENS1_30default_config_static_selectorELNS0_4arch9wavefront6targetE1EEEvT1_
; %bb.0:
	.section	.rodata,"a",@progbits
	.p2align	6, 0x0
	.amdhsa_kernel _ZN7rocprim17ROCPRIM_400000_NS6detail17trampoline_kernelINS0_14default_configENS1_20scan_config_selectorIiEEZZNS1_9scan_implILNS1_25lookback_scan_determinismE0ELb0ELb1ES3_N6thrust23THRUST_200600_302600_NS6detail15normal_iteratorINS9_10device_ptrIiEEEESE_iNS9_10multipliesIiEEiEEDaPvRmT3_T4_T5_mT6_P12ihipStream_tbENKUlT_T0_E_clISt17integral_constantIbLb1EEST_IbLb0EEEEDaSP_SQ_EUlSP_E0_NS1_11comp_targetILNS1_3genE3ELNS1_11target_archE908ELNS1_3gpuE7ELNS1_3repE0EEENS1_30default_config_static_selectorELNS0_4arch9wavefront6targetE1EEEvT1_
		.amdhsa_group_segment_fixed_size 0
		.amdhsa_private_segment_fixed_size 0
		.amdhsa_kernarg_size 32
		.amdhsa_user_sgpr_count 6
		.amdhsa_user_sgpr_private_segment_buffer 1
		.amdhsa_user_sgpr_dispatch_ptr 0
		.amdhsa_user_sgpr_queue_ptr 0
		.amdhsa_user_sgpr_kernarg_segment_ptr 1
		.amdhsa_user_sgpr_dispatch_id 0
		.amdhsa_user_sgpr_flat_scratch_init 0
		.amdhsa_user_sgpr_kernarg_preload_length 0
		.amdhsa_user_sgpr_kernarg_preload_offset 0
		.amdhsa_user_sgpr_private_segment_size 0
		.amdhsa_uses_dynamic_stack 0
		.amdhsa_system_sgpr_private_segment_wavefront_offset 0
		.amdhsa_system_sgpr_workgroup_id_x 1
		.amdhsa_system_sgpr_workgroup_id_y 0
		.amdhsa_system_sgpr_workgroup_id_z 0
		.amdhsa_system_sgpr_workgroup_info 0
		.amdhsa_system_vgpr_workitem_id 0
		.amdhsa_next_free_vgpr 1
		.amdhsa_next_free_sgpr 0
		.amdhsa_accum_offset 4
		.amdhsa_reserve_vcc 0
		.amdhsa_reserve_flat_scratch 0
		.amdhsa_float_round_mode_32 0
		.amdhsa_float_round_mode_16_64 0
		.amdhsa_float_denorm_mode_32 3
		.amdhsa_float_denorm_mode_16_64 3
		.amdhsa_dx10_clamp 1
		.amdhsa_ieee_mode 1
		.amdhsa_fp16_overflow 0
		.amdhsa_tg_split 0
		.amdhsa_exception_fp_ieee_invalid_op 0
		.amdhsa_exception_fp_denorm_src 0
		.amdhsa_exception_fp_ieee_div_zero 0
		.amdhsa_exception_fp_ieee_overflow 0
		.amdhsa_exception_fp_ieee_underflow 0
		.amdhsa_exception_fp_ieee_inexact 0
		.amdhsa_exception_int_div_zero 0
	.end_amdhsa_kernel
	.section	.text._ZN7rocprim17ROCPRIM_400000_NS6detail17trampoline_kernelINS0_14default_configENS1_20scan_config_selectorIiEEZZNS1_9scan_implILNS1_25lookback_scan_determinismE0ELb0ELb1ES3_N6thrust23THRUST_200600_302600_NS6detail15normal_iteratorINS9_10device_ptrIiEEEESE_iNS9_10multipliesIiEEiEEDaPvRmT3_T4_T5_mT6_P12ihipStream_tbENKUlT_T0_E_clISt17integral_constantIbLb1EEST_IbLb0EEEEDaSP_SQ_EUlSP_E0_NS1_11comp_targetILNS1_3genE3ELNS1_11target_archE908ELNS1_3gpuE7ELNS1_3repE0EEENS1_30default_config_static_selectorELNS0_4arch9wavefront6targetE1EEEvT1_,"axG",@progbits,_ZN7rocprim17ROCPRIM_400000_NS6detail17trampoline_kernelINS0_14default_configENS1_20scan_config_selectorIiEEZZNS1_9scan_implILNS1_25lookback_scan_determinismE0ELb0ELb1ES3_N6thrust23THRUST_200600_302600_NS6detail15normal_iteratorINS9_10device_ptrIiEEEESE_iNS9_10multipliesIiEEiEEDaPvRmT3_T4_T5_mT6_P12ihipStream_tbENKUlT_T0_E_clISt17integral_constantIbLb1EEST_IbLb0EEEEDaSP_SQ_EUlSP_E0_NS1_11comp_targetILNS1_3genE3ELNS1_11target_archE908ELNS1_3gpuE7ELNS1_3repE0EEENS1_30default_config_static_selectorELNS0_4arch9wavefront6targetE1EEEvT1_,comdat
.Lfunc_end636:
	.size	_ZN7rocprim17ROCPRIM_400000_NS6detail17trampoline_kernelINS0_14default_configENS1_20scan_config_selectorIiEEZZNS1_9scan_implILNS1_25lookback_scan_determinismE0ELb0ELb1ES3_N6thrust23THRUST_200600_302600_NS6detail15normal_iteratorINS9_10device_ptrIiEEEESE_iNS9_10multipliesIiEEiEEDaPvRmT3_T4_T5_mT6_P12ihipStream_tbENKUlT_T0_E_clISt17integral_constantIbLb1EEST_IbLb0EEEEDaSP_SQ_EUlSP_E0_NS1_11comp_targetILNS1_3genE3ELNS1_11target_archE908ELNS1_3gpuE7ELNS1_3repE0EEENS1_30default_config_static_selectorELNS0_4arch9wavefront6targetE1EEEvT1_, .Lfunc_end636-_ZN7rocprim17ROCPRIM_400000_NS6detail17trampoline_kernelINS0_14default_configENS1_20scan_config_selectorIiEEZZNS1_9scan_implILNS1_25lookback_scan_determinismE0ELb0ELb1ES3_N6thrust23THRUST_200600_302600_NS6detail15normal_iteratorINS9_10device_ptrIiEEEESE_iNS9_10multipliesIiEEiEEDaPvRmT3_T4_T5_mT6_P12ihipStream_tbENKUlT_T0_E_clISt17integral_constantIbLb1EEST_IbLb0EEEEDaSP_SQ_EUlSP_E0_NS1_11comp_targetILNS1_3genE3ELNS1_11target_archE908ELNS1_3gpuE7ELNS1_3repE0EEENS1_30default_config_static_selectorELNS0_4arch9wavefront6targetE1EEEvT1_
                                        ; -- End function
	.section	.AMDGPU.csdata,"",@progbits
; Kernel info:
; codeLenInByte = 0
; NumSgprs: 4
; NumVgprs: 0
; NumAgprs: 0
; TotalNumVgprs: 0
; ScratchSize: 0
; MemoryBound: 0
; FloatMode: 240
; IeeeMode: 1
; LDSByteSize: 0 bytes/workgroup (compile time only)
; SGPRBlocks: 0
; VGPRBlocks: 0
; NumSGPRsForWavesPerEU: 4
; NumVGPRsForWavesPerEU: 1
; AccumOffset: 4
; Occupancy: 8
; WaveLimiterHint : 0
; COMPUTE_PGM_RSRC2:SCRATCH_EN: 0
; COMPUTE_PGM_RSRC2:USER_SGPR: 6
; COMPUTE_PGM_RSRC2:TRAP_HANDLER: 0
; COMPUTE_PGM_RSRC2:TGID_X_EN: 1
; COMPUTE_PGM_RSRC2:TGID_Y_EN: 0
; COMPUTE_PGM_RSRC2:TGID_Z_EN: 0
; COMPUTE_PGM_RSRC2:TIDIG_COMP_CNT: 0
; COMPUTE_PGM_RSRC3_GFX90A:ACCUM_OFFSET: 0
; COMPUTE_PGM_RSRC3_GFX90A:TG_SPLIT: 0
	.section	.text._ZN7rocprim17ROCPRIM_400000_NS6detail17trampoline_kernelINS0_14default_configENS1_20scan_config_selectorIiEEZZNS1_9scan_implILNS1_25lookback_scan_determinismE0ELb0ELb1ES3_N6thrust23THRUST_200600_302600_NS6detail15normal_iteratorINS9_10device_ptrIiEEEESE_iNS9_10multipliesIiEEiEEDaPvRmT3_T4_T5_mT6_P12ihipStream_tbENKUlT_T0_E_clISt17integral_constantIbLb1EEST_IbLb0EEEEDaSP_SQ_EUlSP_E0_NS1_11comp_targetILNS1_3genE2ELNS1_11target_archE906ELNS1_3gpuE6ELNS1_3repE0EEENS1_30default_config_static_selectorELNS0_4arch9wavefront6targetE1EEEvT1_,"axG",@progbits,_ZN7rocprim17ROCPRIM_400000_NS6detail17trampoline_kernelINS0_14default_configENS1_20scan_config_selectorIiEEZZNS1_9scan_implILNS1_25lookback_scan_determinismE0ELb0ELb1ES3_N6thrust23THRUST_200600_302600_NS6detail15normal_iteratorINS9_10device_ptrIiEEEESE_iNS9_10multipliesIiEEiEEDaPvRmT3_T4_T5_mT6_P12ihipStream_tbENKUlT_T0_E_clISt17integral_constantIbLb1EEST_IbLb0EEEEDaSP_SQ_EUlSP_E0_NS1_11comp_targetILNS1_3genE2ELNS1_11target_archE906ELNS1_3gpuE6ELNS1_3repE0EEENS1_30default_config_static_selectorELNS0_4arch9wavefront6targetE1EEEvT1_,comdat
	.protected	_ZN7rocprim17ROCPRIM_400000_NS6detail17trampoline_kernelINS0_14default_configENS1_20scan_config_selectorIiEEZZNS1_9scan_implILNS1_25lookback_scan_determinismE0ELb0ELb1ES3_N6thrust23THRUST_200600_302600_NS6detail15normal_iteratorINS9_10device_ptrIiEEEESE_iNS9_10multipliesIiEEiEEDaPvRmT3_T4_T5_mT6_P12ihipStream_tbENKUlT_T0_E_clISt17integral_constantIbLb1EEST_IbLb0EEEEDaSP_SQ_EUlSP_E0_NS1_11comp_targetILNS1_3genE2ELNS1_11target_archE906ELNS1_3gpuE6ELNS1_3repE0EEENS1_30default_config_static_selectorELNS0_4arch9wavefront6targetE1EEEvT1_ ; -- Begin function _ZN7rocprim17ROCPRIM_400000_NS6detail17trampoline_kernelINS0_14default_configENS1_20scan_config_selectorIiEEZZNS1_9scan_implILNS1_25lookback_scan_determinismE0ELb0ELb1ES3_N6thrust23THRUST_200600_302600_NS6detail15normal_iteratorINS9_10device_ptrIiEEEESE_iNS9_10multipliesIiEEiEEDaPvRmT3_T4_T5_mT6_P12ihipStream_tbENKUlT_T0_E_clISt17integral_constantIbLb1EEST_IbLb0EEEEDaSP_SQ_EUlSP_E0_NS1_11comp_targetILNS1_3genE2ELNS1_11target_archE906ELNS1_3gpuE6ELNS1_3repE0EEENS1_30default_config_static_selectorELNS0_4arch9wavefront6targetE1EEEvT1_
	.globl	_ZN7rocprim17ROCPRIM_400000_NS6detail17trampoline_kernelINS0_14default_configENS1_20scan_config_selectorIiEEZZNS1_9scan_implILNS1_25lookback_scan_determinismE0ELb0ELb1ES3_N6thrust23THRUST_200600_302600_NS6detail15normal_iteratorINS9_10device_ptrIiEEEESE_iNS9_10multipliesIiEEiEEDaPvRmT3_T4_T5_mT6_P12ihipStream_tbENKUlT_T0_E_clISt17integral_constantIbLb1EEST_IbLb0EEEEDaSP_SQ_EUlSP_E0_NS1_11comp_targetILNS1_3genE2ELNS1_11target_archE906ELNS1_3gpuE6ELNS1_3repE0EEENS1_30default_config_static_selectorELNS0_4arch9wavefront6targetE1EEEvT1_
	.p2align	8
	.type	_ZN7rocprim17ROCPRIM_400000_NS6detail17trampoline_kernelINS0_14default_configENS1_20scan_config_selectorIiEEZZNS1_9scan_implILNS1_25lookback_scan_determinismE0ELb0ELb1ES3_N6thrust23THRUST_200600_302600_NS6detail15normal_iteratorINS9_10device_ptrIiEEEESE_iNS9_10multipliesIiEEiEEDaPvRmT3_T4_T5_mT6_P12ihipStream_tbENKUlT_T0_E_clISt17integral_constantIbLb1EEST_IbLb0EEEEDaSP_SQ_EUlSP_E0_NS1_11comp_targetILNS1_3genE2ELNS1_11target_archE906ELNS1_3gpuE6ELNS1_3repE0EEENS1_30default_config_static_selectorELNS0_4arch9wavefront6targetE1EEEvT1_,@function
_ZN7rocprim17ROCPRIM_400000_NS6detail17trampoline_kernelINS0_14default_configENS1_20scan_config_selectorIiEEZZNS1_9scan_implILNS1_25lookback_scan_determinismE0ELb0ELb1ES3_N6thrust23THRUST_200600_302600_NS6detail15normal_iteratorINS9_10device_ptrIiEEEESE_iNS9_10multipliesIiEEiEEDaPvRmT3_T4_T5_mT6_P12ihipStream_tbENKUlT_T0_E_clISt17integral_constantIbLb1EEST_IbLb0EEEEDaSP_SQ_EUlSP_E0_NS1_11comp_targetILNS1_3genE2ELNS1_11target_archE906ELNS1_3gpuE6ELNS1_3repE0EEENS1_30default_config_static_selectorELNS0_4arch9wavefront6targetE1EEEvT1_: ; @_ZN7rocprim17ROCPRIM_400000_NS6detail17trampoline_kernelINS0_14default_configENS1_20scan_config_selectorIiEEZZNS1_9scan_implILNS1_25lookback_scan_determinismE0ELb0ELb1ES3_N6thrust23THRUST_200600_302600_NS6detail15normal_iteratorINS9_10device_ptrIiEEEESE_iNS9_10multipliesIiEEiEEDaPvRmT3_T4_T5_mT6_P12ihipStream_tbENKUlT_T0_E_clISt17integral_constantIbLb1EEST_IbLb0EEEEDaSP_SQ_EUlSP_E0_NS1_11comp_targetILNS1_3genE2ELNS1_11target_archE906ELNS1_3gpuE6ELNS1_3repE0EEENS1_30default_config_static_selectorELNS0_4arch9wavefront6targetE1EEEvT1_
; %bb.0:
	.section	.rodata,"a",@progbits
	.p2align	6, 0x0
	.amdhsa_kernel _ZN7rocprim17ROCPRIM_400000_NS6detail17trampoline_kernelINS0_14default_configENS1_20scan_config_selectorIiEEZZNS1_9scan_implILNS1_25lookback_scan_determinismE0ELb0ELb1ES3_N6thrust23THRUST_200600_302600_NS6detail15normal_iteratorINS9_10device_ptrIiEEEESE_iNS9_10multipliesIiEEiEEDaPvRmT3_T4_T5_mT6_P12ihipStream_tbENKUlT_T0_E_clISt17integral_constantIbLb1EEST_IbLb0EEEEDaSP_SQ_EUlSP_E0_NS1_11comp_targetILNS1_3genE2ELNS1_11target_archE906ELNS1_3gpuE6ELNS1_3repE0EEENS1_30default_config_static_selectorELNS0_4arch9wavefront6targetE1EEEvT1_
		.amdhsa_group_segment_fixed_size 0
		.amdhsa_private_segment_fixed_size 0
		.amdhsa_kernarg_size 32
		.amdhsa_user_sgpr_count 6
		.amdhsa_user_sgpr_private_segment_buffer 1
		.amdhsa_user_sgpr_dispatch_ptr 0
		.amdhsa_user_sgpr_queue_ptr 0
		.amdhsa_user_sgpr_kernarg_segment_ptr 1
		.amdhsa_user_sgpr_dispatch_id 0
		.amdhsa_user_sgpr_flat_scratch_init 0
		.amdhsa_user_sgpr_kernarg_preload_length 0
		.amdhsa_user_sgpr_kernarg_preload_offset 0
		.amdhsa_user_sgpr_private_segment_size 0
		.amdhsa_uses_dynamic_stack 0
		.amdhsa_system_sgpr_private_segment_wavefront_offset 0
		.amdhsa_system_sgpr_workgroup_id_x 1
		.amdhsa_system_sgpr_workgroup_id_y 0
		.amdhsa_system_sgpr_workgroup_id_z 0
		.amdhsa_system_sgpr_workgroup_info 0
		.amdhsa_system_vgpr_workitem_id 0
		.amdhsa_next_free_vgpr 1
		.amdhsa_next_free_sgpr 0
		.amdhsa_accum_offset 4
		.amdhsa_reserve_vcc 0
		.amdhsa_reserve_flat_scratch 0
		.amdhsa_float_round_mode_32 0
		.amdhsa_float_round_mode_16_64 0
		.amdhsa_float_denorm_mode_32 3
		.amdhsa_float_denorm_mode_16_64 3
		.amdhsa_dx10_clamp 1
		.amdhsa_ieee_mode 1
		.amdhsa_fp16_overflow 0
		.amdhsa_tg_split 0
		.amdhsa_exception_fp_ieee_invalid_op 0
		.amdhsa_exception_fp_denorm_src 0
		.amdhsa_exception_fp_ieee_div_zero 0
		.amdhsa_exception_fp_ieee_overflow 0
		.amdhsa_exception_fp_ieee_underflow 0
		.amdhsa_exception_fp_ieee_inexact 0
		.amdhsa_exception_int_div_zero 0
	.end_amdhsa_kernel
	.section	.text._ZN7rocprim17ROCPRIM_400000_NS6detail17trampoline_kernelINS0_14default_configENS1_20scan_config_selectorIiEEZZNS1_9scan_implILNS1_25lookback_scan_determinismE0ELb0ELb1ES3_N6thrust23THRUST_200600_302600_NS6detail15normal_iteratorINS9_10device_ptrIiEEEESE_iNS9_10multipliesIiEEiEEDaPvRmT3_T4_T5_mT6_P12ihipStream_tbENKUlT_T0_E_clISt17integral_constantIbLb1EEST_IbLb0EEEEDaSP_SQ_EUlSP_E0_NS1_11comp_targetILNS1_3genE2ELNS1_11target_archE906ELNS1_3gpuE6ELNS1_3repE0EEENS1_30default_config_static_selectorELNS0_4arch9wavefront6targetE1EEEvT1_,"axG",@progbits,_ZN7rocprim17ROCPRIM_400000_NS6detail17trampoline_kernelINS0_14default_configENS1_20scan_config_selectorIiEEZZNS1_9scan_implILNS1_25lookback_scan_determinismE0ELb0ELb1ES3_N6thrust23THRUST_200600_302600_NS6detail15normal_iteratorINS9_10device_ptrIiEEEESE_iNS9_10multipliesIiEEiEEDaPvRmT3_T4_T5_mT6_P12ihipStream_tbENKUlT_T0_E_clISt17integral_constantIbLb1EEST_IbLb0EEEEDaSP_SQ_EUlSP_E0_NS1_11comp_targetILNS1_3genE2ELNS1_11target_archE906ELNS1_3gpuE6ELNS1_3repE0EEENS1_30default_config_static_selectorELNS0_4arch9wavefront6targetE1EEEvT1_,comdat
.Lfunc_end637:
	.size	_ZN7rocprim17ROCPRIM_400000_NS6detail17trampoline_kernelINS0_14default_configENS1_20scan_config_selectorIiEEZZNS1_9scan_implILNS1_25lookback_scan_determinismE0ELb0ELb1ES3_N6thrust23THRUST_200600_302600_NS6detail15normal_iteratorINS9_10device_ptrIiEEEESE_iNS9_10multipliesIiEEiEEDaPvRmT3_T4_T5_mT6_P12ihipStream_tbENKUlT_T0_E_clISt17integral_constantIbLb1EEST_IbLb0EEEEDaSP_SQ_EUlSP_E0_NS1_11comp_targetILNS1_3genE2ELNS1_11target_archE906ELNS1_3gpuE6ELNS1_3repE0EEENS1_30default_config_static_selectorELNS0_4arch9wavefront6targetE1EEEvT1_, .Lfunc_end637-_ZN7rocprim17ROCPRIM_400000_NS6detail17trampoline_kernelINS0_14default_configENS1_20scan_config_selectorIiEEZZNS1_9scan_implILNS1_25lookback_scan_determinismE0ELb0ELb1ES3_N6thrust23THRUST_200600_302600_NS6detail15normal_iteratorINS9_10device_ptrIiEEEESE_iNS9_10multipliesIiEEiEEDaPvRmT3_T4_T5_mT6_P12ihipStream_tbENKUlT_T0_E_clISt17integral_constantIbLb1EEST_IbLb0EEEEDaSP_SQ_EUlSP_E0_NS1_11comp_targetILNS1_3genE2ELNS1_11target_archE906ELNS1_3gpuE6ELNS1_3repE0EEENS1_30default_config_static_selectorELNS0_4arch9wavefront6targetE1EEEvT1_
                                        ; -- End function
	.section	.AMDGPU.csdata,"",@progbits
; Kernel info:
; codeLenInByte = 0
; NumSgprs: 4
; NumVgprs: 0
; NumAgprs: 0
; TotalNumVgprs: 0
; ScratchSize: 0
; MemoryBound: 0
; FloatMode: 240
; IeeeMode: 1
; LDSByteSize: 0 bytes/workgroup (compile time only)
; SGPRBlocks: 0
; VGPRBlocks: 0
; NumSGPRsForWavesPerEU: 4
; NumVGPRsForWavesPerEU: 1
; AccumOffset: 4
; Occupancy: 8
; WaveLimiterHint : 0
; COMPUTE_PGM_RSRC2:SCRATCH_EN: 0
; COMPUTE_PGM_RSRC2:USER_SGPR: 6
; COMPUTE_PGM_RSRC2:TRAP_HANDLER: 0
; COMPUTE_PGM_RSRC2:TGID_X_EN: 1
; COMPUTE_PGM_RSRC2:TGID_Y_EN: 0
; COMPUTE_PGM_RSRC2:TGID_Z_EN: 0
; COMPUTE_PGM_RSRC2:TIDIG_COMP_CNT: 0
; COMPUTE_PGM_RSRC3_GFX90A:ACCUM_OFFSET: 0
; COMPUTE_PGM_RSRC3_GFX90A:TG_SPLIT: 0
	.section	.text._ZN7rocprim17ROCPRIM_400000_NS6detail17trampoline_kernelINS0_14default_configENS1_20scan_config_selectorIiEEZZNS1_9scan_implILNS1_25lookback_scan_determinismE0ELb0ELb1ES3_N6thrust23THRUST_200600_302600_NS6detail15normal_iteratorINS9_10device_ptrIiEEEESE_iNS9_10multipliesIiEEiEEDaPvRmT3_T4_T5_mT6_P12ihipStream_tbENKUlT_T0_E_clISt17integral_constantIbLb1EEST_IbLb0EEEEDaSP_SQ_EUlSP_E0_NS1_11comp_targetILNS1_3genE10ELNS1_11target_archE1201ELNS1_3gpuE5ELNS1_3repE0EEENS1_30default_config_static_selectorELNS0_4arch9wavefront6targetE1EEEvT1_,"axG",@progbits,_ZN7rocprim17ROCPRIM_400000_NS6detail17trampoline_kernelINS0_14default_configENS1_20scan_config_selectorIiEEZZNS1_9scan_implILNS1_25lookback_scan_determinismE0ELb0ELb1ES3_N6thrust23THRUST_200600_302600_NS6detail15normal_iteratorINS9_10device_ptrIiEEEESE_iNS9_10multipliesIiEEiEEDaPvRmT3_T4_T5_mT6_P12ihipStream_tbENKUlT_T0_E_clISt17integral_constantIbLb1EEST_IbLb0EEEEDaSP_SQ_EUlSP_E0_NS1_11comp_targetILNS1_3genE10ELNS1_11target_archE1201ELNS1_3gpuE5ELNS1_3repE0EEENS1_30default_config_static_selectorELNS0_4arch9wavefront6targetE1EEEvT1_,comdat
	.protected	_ZN7rocprim17ROCPRIM_400000_NS6detail17trampoline_kernelINS0_14default_configENS1_20scan_config_selectorIiEEZZNS1_9scan_implILNS1_25lookback_scan_determinismE0ELb0ELb1ES3_N6thrust23THRUST_200600_302600_NS6detail15normal_iteratorINS9_10device_ptrIiEEEESE_iNS9_10multipliesIiEEiEEDaPvRmT3_T4_T5_mT6_P12ihipStream_tbENKUlT_T0_E_clISt17integral_constantIbLb1EEST_IbLb0EEEEDaSP_SQ_EUlSP_E0_NS1_11comp_targetILNS1_3genE10ELNS1_11target_archE1201ELNS1_3gpuE5ELNS1_3repE0EEENS1_30default_config_static_selectorELNS0_4arch9wavefront6targetE1EEEvT1_ ; -- Begin function _ZN7rocprim17ROCPRIM_400000_NS6detail17trampoline_kernelINS0_14default_configENS1_20scan_config_selectorIiEEZZNS1_9scan_implILNS1_25lookback_scan_determinismE0ELb0ELb1ES3_N6thrust23THRUST_200600_302600_NS6detail15normal_iteratorINS9_10device_ptrIiEEEESE_iNS9_10multipliesIiEEiEEDaPvRmT3_T4_T5_mT6_P12ihipStream_tbENKUlT_T0_E_clISt17integral_constantIbLb1EEST_IbLb0EEEEDaSP_SQ_EUlSP_E0_NS1_11comp_targetILNS1_3genE10ELNS1_11target_archE1201ELNS1_3gpuE5ELNS1_3repE0EEENS1_30default_config_static_selectorELNS0_4arch9wavefront6targetE1EEEvT1_
	.globl	_ZN7rocprim17ROCPRIM_400000_NS6detail17trampoline_kernelINS0_14default_configENS1_20scan_config_selectorIiEEZZNS1_9scan_implILNS1_25lookback_scan_determinismE0ELb0ELb1ES3_N6thrust23THRUST_200600_302600_NS6detail15normal_iteratorINS9_10device_ptrIiEEEESE_iNS9_10multipliesIiEEiEEDaPvRmT3_T4_T5_mT6_P12ihipStream_tbENKUlT_T0_E_clISt17integral_constantIbLb1EEST_IbLb0EEEEDaSP_SQ_EUlSP_E0_NS1_11comp_targetILNS1_3genE10ELNS1_11target_archE1201ELNS1_3gpuE5ELNS1_3repE0EEENS1_30default_config_static_selectorELNS0_4arch9wavefront6targetE1EEEvT1_
	.p2align	8
	.type	_ZN7rocprim17ROCPRIM_400000_NS6detail17trampoline_kernelINS0_14default_configENS1_20scan_config_selectorIiEEZZNS1_9scan_implILNS1_25lookback_scan_determinismE0ELb0ELb1ES3_N6thrust23THRUST_200600_302600_NS6detail15normal_iteratorINS9_10device_ptrIiEEEESE_iNS9_10multipliesIiEEiEEDaPvRmT3_T4_T5_mT6_P12ihipStream_tbENKUlT_T0_E_clISt17integral_constantIbLb1EEST_IbLb0EEEEDaSP_SQ_EUlSP_E0_NS1_11comp_targetILNS1_3genE10ELNS1_11target_archE1201ELNS1_3gpuE5ELNS1_3repE0EEENS1_30default_config_static_selectorELNS0_4arch9wavefront6targetE1EEEvT1_,@function
_ZN7rocprim17ROCPRIM_400000_NS6detail17trampoline_kernelINS0_14default_configENS1_20scan_config_selectorIiEEZZNS1_9scan_implILNS1_25lookback_scan_determinismE0ELb0ELb1ES3_N6thrust23THRUST_200600_302600_NS6detail15normal_iteratorINS9_10device_ptrIiEEEESE_iNS9_10multipliesIiEEiEEDaPvRmT3_T4_T5_mT6_P12ihipStream_tbENKUlT_T0_E_clISt17integral_constantIbLb1EEST_IbLb0EEEEDaSP_SQ_EUlSP_E0_NS1_11comp_targetILNS1_3genE10ELNS1_11target_archE1201ELNS1_3gpuE5ELNS1_3repE0EEENS1_30default_config_static_selectorELNS0_4arch9wavefront6targetE1EEEvT1_: ; @_ZN7rocprim17ROCPRIM_400000_NS6detail17trampoline_kernelINS0_14default_configENS1_20scan_config_selectorIiEEZZNS1_9scan_implILNS1_25lookback_scan_determinismE0ELb0ELb1ES3_N6thrust23THRUST_200600_302600_NS6detail15normal_iteratorINS9_10device_ptrIiEEEESE_iNS9_10multipliesIiEEiEEDaPvRmT3_T4_T5_mT6_P12ihipStream_tbENKUlT_T0_E_clISt17integral_constantIbLb1EEST_IbLb0EEEEDaSP_SQ_EUlSP_E0_NS1_11comp_targetILNS1_3genE10ELNS1_11target_archE1201ELNS1_3gpuE5ELNS1_3repE0EEENS1_30default_config_static_selectorELNS0_4arch9wavefront6targetE1EEEvT1_
; %bb.0:
	.section	.rodata,"a",@progbits
	.p2align	6, 0x0
	.amdhsa_kernel _ZN7rocprim17ROCPRIM_400000_NS6detail17trampoline_kernelINS0_14default_configENS1_20scan_config_selectorIiEEZZNS1_9scan_implILNS1_25lookback_scan_determinismE0ELb0ELb1ES3_N6thrust23THRUST_200600_302600_NS6detail15normal_iteratorINS9_10device_ptrIiEEEESE_iNS9_10multipliesIiEEiEEDaPvRmT3_T4_T5_mT6_P12ihipStream_tbENKUlT_T0_E_clISt17integral_constantIbLb1EEST_IbLb0EEEEDaSP_SQ_EUlSP_E0_NS1_11comp_targetILNS1_3genE10ELNS1_11target_archE1201ELNS1_3gpuE5ELNS1_3repE0EEENS1_30default_config_static_selectorELNS0_4arch9wavefront6targetE1EEEvT1_
		.amdhsa_group_segment_fixed_size 0
		.amdhsa_private_segment_fixed_size 0
		.amdhsa_kernarg_size 32
		.amdhsa_user_sgpr_count 6
		.amdhsa_user_sgpr_private_segment_buffer 1
		.amdhsa_user_sgpr_dispatch_ptr 0
		.amdhsa_user_sgpr_queue_ptr 0
		.amdhsa_user_sgpr_kernarg_segment_ptr 1
		.amdhsa_user_sgpr_dispatch_id 0
		.amdhsa_user_sgpr_flat_scratch_init 0
		.amdhsa_user_sgpr_kernarg_preload_length 0
		.amdhsa_user_sgpr_kernarg_preload_offset 0
		.amdhsa_user_sgpr_private_segment_size 0
		.amdhsa_uses_dynamic_stack 0
		.amdhsa_system_sgpr_private_segment_wavefront_offset 0
		.amdhsa_system_sgpr_workgroup_id_x 1
		.amdhsa_system_sgpr_workgroup_id_y 0
		.amdhsa_system_sgpr_workgroup_id_z 0
		.amdhsa_system_sgpr_workgroup_info 0
		.amdhsa_system_vgpr_workitem_id 0
		.amdhsa_next_free_vgpr 1
		.amdhsa_next_free_sgpr 0
		.amdhsa_accum_offset 4
		.amdhsa_reserve_vcc 0
		.amdhsa_reserve_flat_scratch 0
		.amdhsa_float_round_mode_32 0
		.amdhsa_float_round_mode_16_64 0
		.amdhsa_float_denorm_mode_32 3
		.amdhsa_float_denorm_mode_16_64 3
		.amdhsa_dx10_clamp 1
		.amdhsa_ieee_mode 1
		.amdhsa_fp16_overflow 0
		.amdhsa_tg_split 0
		.amdhsa_exception_fp_ieee_invalid_op 0
		.amdhsa_exception_fp_denorm_src 0
		.amdhsa_exception_fp_ieee_div_zero 0
		.amdhsa_exception_fp_ieee_overflow 0
		.amdhsa_exception_fp_ieee_underflow 0
		.amdhsa_exception_fp_ieee_inexact 0
		.amdhsa_exception_int_div_zero 0
	.end_amdhsa_kernel
	.section	.text._ZN7rocprim17ROCPRIM_400000_NS6detail17trampoline_kernelINS0_14default_configENS1_20scan_config_selectorIiEEZZNS1_9scan_implILNS1_25lookback_scan_determinismE0ELb0ELb1ES3_N6thrust23THRUST_200600_302600_NS6detail15normal_iteratorINS9_10device_ptrIiEEEESE_iNS9_10multipliesIiEEiEEDaPvRmT3_T4_T5_mT6_P12ihipStream_tbENKUlT_T0_E_clISt17integral_constantIbLb1EEST_IbLb0EEEEDaSP_SQ_EUlSP_E0_NS1_11comp_targetILNS1_3genE10ELNS1_11target_archE1201ELNS1_3gpuE5ELNS1_3repE0EEENS1_30default_config_static_selectorELNS0_4arch9wavefront6targetE1EEEvT1_,"axG",@progbits,_ZN7rocprim17ROCPRIM_400000_NS6detail17trampoline_kernelINS0_14default_configENS1_20scan_config_selectorIiEEZZNS1_9scan_implILNS1_25lookback_scan_determinismE0ELb0ELb1ES3_N6thrust23THRUST_200600_302600_NS6detail15normal_iteratorINS9_10device_ptrIiEEEESE_iNS9_10multipliesIiEEiEEDaPvRmT3_T4_T5_mT6_P12ihipStream_tbENKUlT_T0_E_clISt17integral_constantIbLb1EEST_IbLb0EEEEDaSP_SQ_EUlSP_E0_NS1_11comp_targetILNS1_3genE10ELNS1_11target_archE1201ELNS1_3gpuE5ELNS1_3repE0EEENS1_30default_config_static_selectorELNS0_4arch9wavefront6targetE1EEEvT1_,comdat
.Lfunc_end638:
	.size	_ZN7rocprim17ROCPRIM_400000_NS6detail17trampoline_kernelINS0_14default_configENS1_20scan_config_selectorIiEEZZNS1_9scan_implILNS1_25lookback_scan_determinismE0ELb0ELb1ES3_N6thrust23THRUST_200600_302600_NS6detail15normal_iteratorINS9_10device_ptrIiEEEESE_iNS9_10multipliesIiEEiEEDaPvRmT3_T4_T5_mT6_P12ihipStream_tbENKUlT_T0_E_clISt17integral_constantIbLb1EEST_IbLb0EEEEDaSP_SQ_EUlSP_E0_NS1_11comp_targetILNS1_3genE10ELNS1_11target_archE1201ELNS1_3gpuE5ELNS1_3repE0EEENS1_30default_config_static_selectorELNS0_4arch9wavefront6targetE1EEEvT1_, .Lfunc_end638-_ZN7rocprim17ROCPRIM_400000_NS6detail17trampoline_kernelINS0_14default_configENS1_20scan_config_selectorIiEEZZNS1_9scan_implILNS1_25lookback_scan_determinismE0ELb0ELb1ES3_N6thrust23THRUST_200600_302600_NS6detail15normal_iteratorINS9_10device_ptrIiEEEESE_iNS9_10multipliesIiEEiEEDaPvRmT3_T4_T5_mT6_P12ihipStream_tbENKUlT_T0_E_clISt17integral_constantIbLb1EEST_IbLb0EEEEDaSP_SQ_EUlSP_E0_NS1_11comp_targetILNS1_3genE10ELNS1_11target_archE1201ELNS1_3gpuE5ELNS1_3repE0EEENS1_30default_config_static_selectorELNS0_4arch9wavefront6targetE1EEEvT1_
                                        ; -- End function
	.section	.AMDGPU.csdata,"",@progbits
; Kernel info:
; codeLenInByte = 0
; NumSgprs: 4
; NumVgprs: 0
; NumAgprs: 0
; TotalNumVgprs: 0
; ScratchSize: 0
; MemoryBound: 0
; FloatMode: 240
; IeeeMode: 1
; LDSByteSize: 0 bytes/workgroup (compile time only)
; SGPRBlocks: 0
; VGPRBlocks: 0
; NumSGPRsForWavesPerEU: 4
; NumVGPRsForWavesPerEU: 1
; AccumOffset: 4
; Occupancy: 8
; WaveLimiterHint : 0
; COMPUTE_PGM_RSRC2:SCRATCH_EN: 0
; COMPUTE_PGM_RSRC2:USER_SGPR: 6
; COMPUTE_PGM_RSRC2:TRAP_HANDLER: 0
; COMPUTE_PGM_RSRC2:TGID_X_EN: 1
; COMPUTE_PGM_RSRC2:TGID_Y_EN: 0
; COMPUTE_PGM_RSRC2:TGID_Z_EN: 0
; COMPUTE_PGM_RSRC2:TIDIG_COMP_CNT: 0
; COMPUTE_PGM_RSRC3_GFX90A:ACCUM_OFFSET: 0
; COMPUTE_PGM_RSRC3_GFX90A:TG_SPLIT: 0
	.section	.text._ZN7rocprim17ROCPRIM_400000_NS6detail17trampoline_kernelINS0_14default_configENS1_20scan_config_selectorIiEEZZNS1_9scan_implILNS1_25lookback_scan_determinismE0ELb0ELb1ES3_N6thrust23THRUST_200600_302600_NS6detail15normal_iteratorINS9_10device_ptrIiEEEESE_iNS9_10multipliesIiEEiEEDaPvRmT3_T4_T5_mT6_P12ihipStream_tbENKUlT_T0_E_clISt17integral_constantIbLb1EEST_IbLb0EEEEDaSP_SQ_EUlSP_E0_NS1_11comp_targetILNS1_3genE10ELNS1_11target_archE1200ELNS1_3gpuE4ELNS1_3repE0EEENS1_30default_config_static_selectorELNS0_4arch9wavefront6targetE1EEEvT1_,"axG",@progbits,_ZN7rocprim17ROCPRIM_400000_NS6detail17trampoline_kernelINS0_14default_configENS1_20scan_config_selectorIiEEZZNS1_9scan_implILNS1_25lookback_scan_determinismE0ELb0ELb1ES3_N6thrust23THRUST_200600_302600_NS6detail15normal_iteratorINS9_10device_ptrIiEEEESE_iNS9_10multipliesIiEEiEEDaPvRmT3_T4_T5_mT6_P12ihipStream_tbENKUlT_T0_E_clISt17integral_constantIbLb1EEST_IbLb0EEEEDaSP_SQ_EUlSP_E0_NS1_11comp_targetILNS1_3genE10ELNS1_11target_archE1200ELNS1_3gpuE4ELNS1_3repE0EEENS1_30default_config_static_selectorELNS0_4arch9wavefront6targetE1EEEvT1_,comdat
	.protected	_ZN7rocprim17ROCPRIM_400000_NS6detail17trampoline_kernelINS0_14default_configENS1_20scan_config_selectorIiEEZZNS1_9scan_implILNS1_25lookback_scan_determinismE0ELb0ELb1ES3_N6thrust23THRUST_200600_302600_NS6detail15normal_iteratorINS9_10device_ptrIiEEEESE_iNS9_10multipliesIiEEiEEDaPvRmT3_T4_T5_mT6_P12ihipStream_tbENKUlT_T0_E_clISt17integral_constantIbLb1EEST_IbLb0EEEEDaSP_SQ_EUlSP_E0_NS1_11comp_targetILNS1_3genE10ELNS1_11target_archE1200ELNS1_3gpuE4ELNS1_3repE0EEENS1_30default_config_static_selectorELNS0_4arch9wavefront6targetE1EEEvT1_ ; -- Begin function _ZN7rocprim17ROCPRIM_400000_NS6detail17trampoline_kernelINS0_14default_configENS1_20scan_config_selectorIiEEZZNS1_9scan_implILNS1_25lookback_scan_determinismE0ELb0ELb1ES3_N6thrust23THRUST_200600_302600_NS6detail15normal_iteratorINS9_10device_ptrIiEEEESE_iNS9_10multipliesIiEEiEEDaPvRmT3_T4_T5_mT6_P12ihipStream_tbENKUlT_T0_E_clISt17integral_constantIbLb1EEST_IbLb0EEEEDaSP_SQ_EUlSP_E0_NS1_11comp_targetILNS1_3genE10ELNS1_11target_archE1200ELNS1_3gpuE4ELNS1_3repE0EEENS1_30default_config_static_selectorELNS0_4arch9wavefront6targetE1EEEvT1_
	.globl	_ZN7rocprim17ROCPRIM_400000_NS6detail17trampoline_kernelINS0_14default_configENS1_20scan_config_selectorIiEEZZNS1_9scan_implILNS1_25lookback_scan_determinismE0ELb0ELb1ES3_N6thrust23THRUST_200600_302600_NS6detail15normal_iteratorINS9_10device_ptrIiEEEESE_iNS9_10multipliesIiEEiEEDaPvRmT3_T4_T5_mT6_P12ihipStream_tbENKUlT_T0_E_clISt17integral_constantIbLb1EEST_IbLb0EEEEDaSP_SQ_EUlSP_E0_NS1_11comp_targetILNS1_3genE10ELNS1_11target_archE1200ELNS1_3gpuE4ELNS1_3repE0EEENS1_30default_config_static_selectorELNS0_4arch9wavefront6targetE1EEEvT1_
	.p2align	8
	.type	_ZN7rocprim17ROCPRIM_400000_NS6detail17trampoline_kernelINS0_14default_configENS1_20scan_config_selectorIiEEZZNS1_9scan_implILNS1_25lookback_scan_determinismE0ELb0ELb1ES3_N6thrust23THRUST_200600_302600_NS6detail15normal_iteratorINS9_10device_ptrIiEEEESE_iNS9_10multipliesIiEEiEEDaPvRmT3_T4_T5_mT6_P12ihipStream_tbENKUlT_T0_E_clISt17integral_constantIbLb1EEST_IbLb0EEEEDaSP_SQ_EUlSP_E0_NS1_11comp_targetILNS1_3genE10ELNS1_11target_archE1200ELNS1_3gpuE4ELNS1_3repE0EEENS1_30default_config_static_selectorELNS0_4arch9wavefront6targetE1EEEvT1_,@function
_ZN7rocprim17ROCPRIM_400000_NS6detail17trampoline_kernelINS0_14default_configENS1_20scan_config_selectorIiEEZZNS1_9scan_implILNS1_25lookback_scan_determinismE0ELb0ELb1ES3_N6thrust23THRUST_200600_302600_NS6detail15normal_iteratorINS9_10device_ptrIiEEEESE_iNS9_10multipliesIiEEiEEDaPvRmT3_T4_T5_mT6_P12ihipStream_tbENKUlT_T0_E_clISt17integral_constantIbLb1EEST_IbLb0EEEEDaSP_SQ_EUlSP_E0_NS1_11comp_targetILNS1_3genE10ELNS1_11target_archE1200ELNS1_3gpuE4ELNS1_3repE0EEENS1_30default_config_static_selectorELNS0_4arch9wavefront6targetE1EEEvT1_: ; @_ZN7rocprim17ROCPRIM_400000_NS6detail17trampoline_kernelINS0_14default_configENS1_20scan_config_selectorIiEEZZNS1_9scan_implILNS1_25lookback_scan_determinismE0ELb0ELb1ES3_N6thrust23THRUST_200600_302600_NS6detail15normal_iteratorINS9_10device_ptrIiEEEESE_iNS9_10multipliesIiEEiEEDaPvRmT3_T4_T5_mT6_P12ihipStream_tbENKUlT_T0_E_clISt17integral_constantIbLb1EEST_IbLb0EEEEDaSP_SQ_EUlSP_E0_NS1_11comp_targetILNS1_3genE10ELNS1_11target_archE1200ELNS1_3gpuE4ELNS1_3repE0EEENS1_30default_config_static_selectorELNS0_4arch9wavefront6targetE1EEEvT1_
; %bb.0:
	.section	.rodata,"a",@progbits
	.p2align	6, 0x0
	.amdhsa_kernel _ZN7rocprim17ROCPRIM_400000_NS6detail17trampoline_kernelINS0_14default_configENS1_20scan_config_selectorIiEEZZNS1_9scan_implILNS1_25lookback_scan_determinismE0ELb0ELb1ES3_N6thrust23THRUST_200600_302600_NS6detail15normal_iteratorINS9_10device_ptrIiEEEESE_iNS9_10multipliesIiEEiEEDaPvRmT3_T4_T5_mT6_P12ihipStream_tbENKUlT_T0_E_clISt17integral_constantIbLb1EEST_IbLb0EEEEDaSP_SQ_EUlSP_E0_NS1_11comp_targetILNS1_3genE10ELNS1_11target_archE1200ELNS1_3gpuE4ELNS1_3repE0EEENS1_30default_config_static_selectorELNS0_4arch9wavefront6targetE1EEEvT1_
		.amdhsa_group_segment_fixed_size 0
		.amdhsa_private_segment_fixed_size 0
		.amdhsa_kernarg_size 32
		.amdhsa_user_sgpr_count 6
		.amdhsa_user_sgpr_private_segment_buffer 1
		.amdhsa_user_sgpr_dispatch_ptr 0
		.amdhsa_user_sgpr_queue_ptr 0
		.amdhsa_user_sgpr_kernarg_segment_ptr 1
		.amdhsa_user_sgpr_dispatch_id 0
		.amdhsa_user_sgpr_flat_scratch_init 0
		.amdhsa_user_sgpr_kernarg_preload_length 0
		.amdhsa_user_sgpr_kernarg_preload_offset 0
		.amdhsa_user_sgpr_private_segment_size 0
		.amdhsa_uses_dynamic_stack 0
		.amdhsa_system_sgpr_private_segment_wavefront_offset 0
		.amdhsa_system_sgpr_workgroup_id_x 1
		.amdhsa_system_sgpr_workgroup_id_y 0
		.amdhsa_system_sgpr_workgroup_id_z 0
		.amdhsa_system_sgpr_workgroup_info 0
		.amdhsa_system_vgpr_workitem_id 0
		.amdhsa_next_free_vgpr 1
		.amdhsa_next_free_sgpr 0
		.amdhsa_accum_offset 4
		.amdhsa_reserve_vcc 0
		.amdhsa_reserve_flat_scratch 0
		.amdhsa_float_round_mode_32 0
		.amdhsa_float_round_mode_16_64 0
		.amdhsa_float_denorm_mode_32 3
		.amdhsa_float_denorm_mode_16_64 3
		.amdhsa_dx10_clamp 1
		.amdhsa_ieee_mode 1
		.amdhsa_fp16_overflow 0
		.amdhsa_tg_split 0
		.amdhsa_exception_fp_ieee_invalid_op 0
		.amdhsa_exception_fp_denorm_src 0
		.amdhsa_exception_fp_ieee_div_zero 0
		.amdhsa_exception_fp_ieee_overflow 0
		.amdhsa_exception_fp_ieee_underflow 0
		.amdhsa_exception_fp_ieee_inexact 0
		.amdhsa_exception_int_div_zero 0
	.end_amdhsa_kernel
	.section	.text._ZN7rocprim17ROCPRIM_400000_NS6detail17trampoline_kernelINS0_14default_configENS1_20scan_config_selectorIiEEZZNS1_9scan_implILNS1_25lookback_scan_determinismE0ELb0ELb1ES3_N6thrust23THRUST_200600_302600_NS6detail15normal_iteratorINS9_10device_ptrIiEEEESE_iNS9_10multipliesIiEEiEEDaPvRmT3_T4_T5_mT6_P12ihipStream_tbENKUlT_T0_E_clISt17integral_constantIbLb1EEST_IbLb0EEEEDaSP_SQ_EUlSP_E0_NS1_11comp_targetILNS1_3genE10ELNS1_11target_archE1200ELNS1_3gpuE4ELNS1_3repE0EEENS1_30default_config_static_selectorELNS0_4arch9wavefront6targetE1EEEvT1_,"axG",@progbits,_ZN7rocprim17ROCPRIM_400000_NS6detail17trampoline_kernelINS0_14default_configENS1_20scan_config_selectorIiEEZZNS1_9scan_implILNS1_25lookback_scan_determinismE0ELb0ELb1ES3_N6thrust23THRUST_200600_302600_NS6detail15normal_iteratorINS9_10device_ptrIiEEEESE_iNS9_10multipliesIiEEiEEDaPvRmT3_T4_T5_mT6_P12ihipStream_tbENKUlT_T0_E_clISt17integral_constantIbLb1EEST_IbLb0EEEEDaSP_SQ_EUlSP_E0_NS1_11comp_targetILNS1_3genE10ELNS1_11target_archE1200ELNS1_3gpuE4ELNS1_3repE0EEENS1_30default_config_static_selectorELNS0_4arch9wavefront6targetE1EEEvT1_,comdat
.Lfunc_end639:
	.size	_ZN7rocprim17ROCPRIM_400000_NS6detail17trampoline_kernelINS0_14default_configENS1_20scan_config_selectorIiEEZZNS1_9scan_implILNS1_25lookback_scan_determinismE0ELb0ELb1ES3_N6thrust23THRUST_200600_302600_NS6detail15normal_iteratorINS9_10device_ptrIiEEEESE_iNS9_10multipliesIiEEiEEDaPvRmT3_T4_T5_mT6_P12ihipStream_tbENKUlT_T0_E_clISt17integral_constantIbLb1EEST_IbLb0EEEEDaSP_SQ_EUlSP_E0_NS1_11comp_targetILNS1_3genE10ELNS1_11target_archE1200ELNS1_3gpuE4ELNS1_3repE0EEENS1_30default_config_static_selectorELNS0_4arch9wavefront6targetE1EEEvT1_, .Lfunc_end639-_ZN7rocprim17ROCPRIM_400000_NS6detail17trampoline_kernelINS0_14default_configENS1_20scan_config_selectorIiEEZZNS1_9scan_implILNS1_25lookback_scan_determinismE0ELb0ELb1ES3_N6thrust23THRUST_200600_302600_NS6detail15normal_iteratorINS9_10device_ptrIiEEEESE_iNS9_10multipliesIiEEiEEDaPvRmT3_T4_T5_mT6_P12ihipStream_tbENKUlT_T0_E_clISt17integral_constantIbLb1EEST_IbLb0EEEEDaSP_SQ_EUlSP_E0_NS1_11comp_targetILNS1_3genE10ELNS1_11target_archE1200ELNS1_3gpuE4ELNS1_3repE0EEENS1_30default_config_static_selectorELNS0_4arch9wavefront6targetE1EEEvT1_
                                        ; -- End function
	.section	.AMDGPU.csdata,"",@progbits
; Kernel info:
; codeLenInByte = 0
; NumSgprs: 4
; NumVgprs: 0
; NumAgprs: 0
; TotalNumVgprs: 0
; ScratchSize: 0
; MemoryBound: 0
; FloatMode: 240
; IeeeMode: 1
; LDSByteSize: 0 bytes/workgroup (compile time only)
; SGPRBlocks: 0
; VGPRBlocks: 0
; NumSGPRsForWavesPerEU: 4
; NumVGPRsForWavesPerEU: 1
; AccumOffset: 4
; Occupancy: 8
; WaveLimiterHint : 0
; COMPUTE_PGM_RSRC2:SCRATCH_EN: 0
; COMPUTE_PGM_RSRC2:USER_SGPR: 6
; COMPUTE_PGM_RSRC2:TRAP_HANDLER: 0
; COMPUTE_PGM_RSRC2:TGID_X_EN: 1
; COMPUTE_PGM_RSRC2:TGID_Y_EN: 0
; COMPUTE_PGM_RSRC2:TGID_Z_EN: 0
; COMPUTE_PGM_RSRC2:TIDIG_COMP_CNT: 0
; COMPUTE_PGM_RSRC3_GFX90A:ACCUM_OFFSET: 0
; COMPUTE_PGM_RSRC3_GFX90A:TG_SPLIT: 0
	.section	.text._ZN7rocprim17ROCPRIM_400000_NS6detail17trampoline_kernelINS0_14default_configENS1_20scan_config_selectorIiEEZZNS1_9scan_implILNS1_25lookback_scan_determinismE0ELb0ELb1ES3_N6thrust23THRUST_200600_302600_NS6detail15normal_iteratorINS9_10device_ptrIiEEEESE_iNS9_10multipliesIiEEiEEDaPvRmT3_T4_T5_mT6_P12ihipStream_tbENKUlT_T0_E_clISt17integral_constantIbLb1EEST_IbLb0EEEEDaSP_SQ_EUlSP_E0_NS1_11comp_targetILNS1_3genE9ELNS1_11target_archE1100ELNS1_3gpuE3ELNS1_3repE0EEENS1_30default_config_static_selectorELNS0_4arch9wavefront6targetE1EEEvT1_,"axG",@progbits,_ZN7rocprim17ROCPRIM_400000_NS6detail17trampoline_kernelINS0_14default_configENS1_20scan_config_selectorIiEEZZNS1_9scan_implILNS1_25lookback_scan_determinismE0ELb0ELb1ES3_N6thrust23THRUST_200600_302600_NS6detail15normal_iteratorINS9_10device_ptrIiEEEESE_iNS9_10multipliesIiEEiEEDaPvRmT3_T4_T5_mT6_P12ihipStream_tbENKUlT_T0_E_clISt17integral_constantIbLb1EEST_IbLb0EEEEDaSP_SQ_EUlSP_E0_NS1_11comp_targetILNS1_3genE9ELNS1_11target_archE1100ELNS1_3gpuE3ELNS1_3repE0EEENS1_30default_config_static_selectorELNS0_4arch9wavefront6targetE1EEEvT1_,comdat
	.protected	_ZN7rocprim17ROCPRIM_400000_NS6detail17trampoline_kernelINS0_14default_configENS1_20scan_config_selectorIiEEZZNS1_9scan_implILNS1_25lookback_scan_determinismE0ELb0ELb1ES3_N6thrust23THRUST_200600_302600_NS6detail15normal_iteratorINS9_10device_ptrIiEEEESE_iNS9_10multipliesIiEEiEEDaPvRmT3_T4_T5_mT6_P12ihipStream_tbENKUlT_T0_E_clISt17integral_constantIbLb1EEST_IbLb0EEEEDaSP_SQ_EUlSP_E0_NS1_11comp_targetILNS1_3genE9ELNS1_11target_archE1100ELNS1_3gpuE3ELNS1_3repE0EEENS1_30default_config_static_selectorELNS0_4arch9wavefront6targetE1EEEvT1_ ; -- Begin function _ZN7rocprim17ROCPRIM_400000_NS6detail17trampoline_kernelINS0_14default_configENS1_20scan_config_selectorIiEEZZNS1_9scan_implILNS1_25lookback_scan_determinismE0ELb0ELb1ES3_N6thrust23THRUST_200600_302600_NS6detail15normal_iteratorINS9_10device_ptrIiEEEESE_iNS9_10multipliesIiEEiEEDaPvRmT3_T4_T5_mT6_P12ihipStream_tbENKUlT_T0_E_clISt17integral_constantIbLb1EEST_IbLb0EEEEDaSP_SQ_EUlSP_E0_NS1_11comp_targetILNS1_3genE9ELNS1_11target_archE1100ELNS1_3gpuE3ELNS1_3repE0EEENS1_30default_config_static_selectorELNS0_4arch9wavefront6targetE1EEEvT1_
	.globl	_ZN7rocprim17ROCPRIM_400000_NS6detail17trampoline_kernelINS0_14default_configENS1_20scan_config_selectorIiEEZZNS1_9scan_implILNS1_25lookback_scan_determinismE0ELb0ELb1ES3_N6thrust23THRUST_200600_302600_NS6detail15normal_iteratorINS9_10device_ptrIiEEEESE_iNS9_10multipliesIiEEiEEDaPvRmT3_T4_T5_mT6_P12ihipStream_tbENKUlT_T0_E_clISt17integral_constantIbLb1EEST_IbLb0EEEEDaSP_SQ_EUlSP_E0_NS1_11comp_targetILNS1_3genE9ELNS1_11target_archE1100ELNS1_3gpuE3ELNS1_3repE0EEENS1_30default_config_static_selectorELNS0_4arch9wavefront6targetE1EEEvT1_
	.p2align	8
	.type	_ZN7rocprim17ROCPRIM_400000_NS6detail17trampoline_kernelINS0_14default_configENS1_20scan_config_selectorIiEEZZNS1_9scan_implILNS1_25lookback_scan_determinismE0ELb0ELb1ES3_N6thrust23THRUST_200600_302600_NS6detail15normal_iteratorINS9_10device_ptrIiEEEESE_iNS9_10multipliesIiEEiEEDaPvRmT3_T4_T5_mT6_P12ihipStream_tbENKUlT_T0_E_clISt17integral_constantIbLb1EEST_IbLb0EEEEDaSP_SQ_EUlSP_E0_NS1_11comp_targetILNS1_3genE9ELNS1_11target_archE1100ELNS1_3gpuE3ELNS1_3repE0EEENS1_30default_config_static_selectorELNS0_4arch9wavefront6targetE1EEEvT1_,@function
_ZN7rocprim17ROCPRIM_400000_NS6detail17trampoline_kernelINS0_14default_configENS1_20scan_config_selectorIiEEZZNS1_9scan_implILNS1_25lookback_scan_determinismE0ELb0ELb1ES3_N6thrust23THRUST_200600_302600_NS6detail15normal_iteratorINS9_10device_ptrIiEEEESE_iNS9_10multipliesIiEEiEEDaPvRmT3_T4_T5_mT6_P12ihipStream_tbENKUlT_T0_E_clISt17integral_constantIbLb1EEST_IbLb0EEEEDaSP_SQ_EUlSP_E0_NS1_11comp_targetILNS1_3genE9ELNS1_11target_archE1100ELNS1_3gpuE3ELNS1_3repE0EEENS1_30default_config_static_selectorELNS0_4arch9wavefront6targetE1EEEvT1_: ; @_ZN7rocprim17ROCPRIM_400000_NS6detail17trampoline_kernelINS0_14default_configENS1_20scan_config_selectorIiEEZZNS1_9scan_implILNS1_25lookback_scan_determinismE0ELb0ELb1ES3_N6thrust23THRUST_200600_302600_NS6detail15normal_iteratorINS9_10device_ptrIiEEEESE_iNS9_10multipliesIiEEiEEDaPvRmT3_T4_T5_mT6_P12ihipStream_tbENKUlT_T0_E_clISt17integral_constantIbLb1EEST_IbLb0EEEEDaSP_SQ_EUlSP_E0_NS1_11comp_targetILNS1_3genE9ELNS1_11target_archE1100ELNS1_3gpuE3ELNS1_3repE0EEENS1_30default_config_static_selectorELNS0_4arch9wavefront6targetE1EEEvT1_
; %bb.0:
	.section	.rodata,"a",@progbits
	.p2align	6, 0x0
	.amdhsa_kernel _ZN7rocprim17ROCPRIM_400000_NS6detail17trampoline_kernelINS0_14default_configENS1_20scan_config_selectorIiEEZZNS1_9scan_implILNS1_25lookback_scan_determinismE0ELb0ELb1ES3_N6thrust23THRUST_200600_302600_NS6detail15normal_iteratorINS9_10device_ptrIiEEEESE_iNS9_10multipliesIiEEiEEDaPvRmT3_T4_T5_mT6_P12ihipStream_tbENKUlT_T0_E_clISt17integral_constantIbLb1EEST_IbLb0EEEEDaSP_SQ_EUlSP_E0_NS1_11comp_targetILNS1_3genE9ELNS1_11target_archE1100ELNS1_3gpuE3ELNS1_3repE0EEENS1_30default_config_static_selectorELNS0_4arch9wavefront6targetE1EEEvT1_
		.amdhsa_group_segment_fixed_size 0
		.amdhsa_private_segment_fixed_size 0
		.amdhsa_kernarg_size 32
		.amdhsa_user_sgpr_count 6
		.amdhsa_user_sgpr_private_segment_buffer 1
		.amdhsa_user_sgpr_dispatch_ptr 0
		.amdhsa_user_sgpr_queue_ptr 0
		.amdhsa_user_sgpr_kernarg_segment_ptr 1
		.amdhsa_user_sgpr_dispatch_id 0
		.amdhsa_user_sgpr_flat_scratch_init 0
		.amdhsa_user_sgpr_kernarg_preload_length 0
		.amdhsa_user_sgpr_kernarg_preload_offset 0
		.amdhsa_user_sgpr_private_segment_size 0
		.amdhsa_uses_dynamic_stack 0
		.amdhsa_system_sgpr_private_segment_wavefront_offset 0
		.amdhsa_system_sgpr_workgroup_id_x 1
		.amdhsa_system_sgpr_workgroup_id_y 0
		.amdhsa_system_sgpr_workgroup_id_z 0
		.amdhsa_system_sgpr_workgroup_info 0
		.amdhsa_system_vgpr_workitem_id 0
		.amdhsa_next_free_vgpr 1
		.amdhsa_next_free_sgpr 0
		.amdhsa_accum_offset 4
		.amdhsa_reserve_vcc 0
		.amdhsa_reserve_flat_scratch 0
		.amdhsa_float_round_mode_32 0
		.amdhsa_float_round_mode_16_64 0
		.amdhsa_float_denorm_mode_32 3
		.amdhsa_float_denorm_mode_16_64 3
		.amdhsa_dx10_clamp 1
		.amdhsa_ieee_mode 1
		.amdhsa_fp16_overflow 0
		.amdhsa_tg_split 0
		.amdhsa_exception_fp_ieee_invalid_op 0
		.amdhsa_exception_fp_denorm_src 0
		.amdhsa_exception_fp_ieee_div_zero 0
		.amdhsa_exception_fp_ieee_overflow 0
		.amdhsa_exception_fp_ieee_underflow 0
		.amdhsa_exception_fp_ieee_inexact 0
		.amdhsa_exception_int_div_zero 0
	.end_amdhsa_kernel
	.section	.text._ZN7rocprim17ROCPRIM_400000_NS6detail17trampoline_kernelINS0_14default_configENS1_20scan_config_selectorIiEEZZNS1_9scan_implILNS1_25lookback_scan_determinismE0ELb0ELb1ES3_N6thrust23THRUST_200600_302600_NS6detail15normal_iteratorINS9_10device_ptrIiEEEESE_iNS9_10multipliesIiEEiEEDaPvRmT3_T4_T5_mT6_P12ihipStream_tbENKUlT_T0_E_clISt17integral_constantIbLb1EEST_IbLb0EEEEDaSP_SQ_EUlSP_E0_NS1_11comp_targetILNS1_3genE9ELNS1_11target_archE1100ELNS1_3gpuE3ELNS1_3repE0EEENS1_30default_config_static_selectorELNS0_4arch9wavefront6targetE1EEEvT1_,"axG",@progbits,_ZN7rocprim17ROCPRIM_400000_NS6detail17trampoline_kernelINS0_14default_configENS1_20scan_config_selectorIiEEZZNS1_9scan_implILNS1_25lookback_scan_determinismE0ELb0ELb1ES3_N6thrust23THRUST_200600_302600_NS6detail15normal_iteratorINS9_10device_ptrIiEEEESE_iNS9_10multipliesIiEEiEEDaPvRmT3_T4_T5_mT6_P12ihipStream_tbENKUlT_T0_E_clISt17integral_constantIbLb1EEST_IbLb0EEEEDaSP_SQ_EUlSP_E0_NS1_11comp_targetILNS1_3genE9ELNS1_11target_archE1100ELNS1_3gpuE3ELNS1_3repE0EEENS1_30default_config_static_selectorELNS0_4arch9wavefront6targetE1EEEvT1_,comdat
.Lfunc_end640:
	.size	_ZN7rocprim17ROCPRIM_400000_NS6detail17trampoline_kernelINS0_14default_configENS1_20scan_config_selectorIiEEZZNS1_9scan_implILNS1_25lookback_scan_determinismE0ELb0ELb1ES3_N6thrust23THRUST_200600_302600_NS6detail15normal_iteratorINS9_10device_ptrIiEEEESE_iNS9_10multipliesIiEEiEEDaPvRmT3_T4_T5_mT6_P12ihipStream_tbENKUlT_T0_E_clISt17integral_constantIbLb1EEST_IbLb0EEEEDaSP_SQ_EUlSP_E0_NS1_11comp_targetILNS1_3genE9ELNS1_11target_archE1100ELNS1_3gpuE3ELNS1_3repE0EEENS1_30default_config_static_selectorELNS0_4arch9wavefront6targetE1EEEvT1_, .Lfunc_end640-_ZN7rocprim17ROCPRIM_400000_NS6detail17trampoline_kernelINS0_14default_configENS1_20scan_config_selectorIiEEZZNS1_9scan_implILNS1_25lookback_scan_determinismE0ELb0ELb1ES3_N6thrust23THRUST_200600_302600_NS6detail15normal_iteratorINS9_10device_ptrIiEEEESE_iNS9_10multipliesIiEEiEEDaPvRmT3_T4_T5_mT6_P12ihipStream_tbENKUlT_T0_E_clISt17integral_constantIbLb1EEST_IbLb0EEEEDaSP_SQ_EUlSP_E0_NS1_11comp_targetILNS1_3genE9ELNS1_11target_archE1100ELNS1_3gpuE3ELNS1_3repE0EEENS1_30default_config_static_selectorELNS0_4arch9wavefront6targetE1EEEvT1_
                                        ; -- End function
	.section	.AMDGPU.csdata,"",@progbits
; Kernel info:
; codeLenInByte = 0
; NumSgprs: 4
; NumVgprs: 0
; NumAgprs: 0
; TotalNumVgprs: 0
; ScratchSize: 0
; MemoryBound: 0
; FloatMode: 240
; IeeeMode: 1
; LDSByteSize: 0 bytes/workgroup (compile time only)
; SGPRBlocks: 0
; VGPRBlocks: 0
; NumSGPRsForWavesPerEU: 4
; NumVGPRsForWavesPerEU: 1
; AccumOffset: 4
; Occupancy: 8
; WaveLimiterHint : 0
; COMPUTE_PGM_RSRC2:SCRATCH_EN: 0
; COMPUTE_PGM_RSRC2:USER_SGPR: 6
; COMPUTE_PGM_RSRC2:TRAP_HANDLER: 0
; COMPUTE_PGM_RSRC2:TGID_X_EN: 1
; COMPUTE_PGM_RSRC2:TGID_Y_EN: 0
; COMPUTE_PGM_RSRC2:TGID_Z_EN: 0
; COMPUTE_PGM_RSRC2:TIDIG_COMP_CNT: 0
; COMPUTE_PGM_RSRC3_GFX90A:ACCUM_OFFSET: 0
; COMPUTE_PGM_RSRC3_GFX90A:TG_SPLIT: 0
	.section	.text._ZN7rocprim17ROCPRIM_400000_NS6detail17trampoline_kernelINS0_14default_configENS1_20scan_config_selectorIiEEZZNS1_9scan_implILNS1_25lookback_scan_determinismE0ELb0ELb1ES3_N6thrust23THRUST_200600_302600_NS6detail15normal_iteratorINS9_10device_ptrIiEEEESE_iNS9_10multipliesIiEEiEEDaPvRmT3_T4_T5_mT6_P12ihipStream_tbENKUlT_T0_E_clISt17integral_constantIbLb1EEST_IbLb0EEEEDaSP_SQ_EUlSP_E0_NS1_11comp_targetILNS1_3genE8ELNS1_11target_archE1030ELNS1_3gpuE2ELNS1_3repE0EEENS1_30default_config_static_selectorELNS0_4arch9wavefront6targetE1EEEvT1_,"axG",@progbits,_ZN7rocprim17ROCPRIM_400000_NS6detail17trampoline_kernelINS0_14default_configENS1_20scan_config_selectorIiEEZZNS1_9scan_implILNS1_25lookback_scan_determinismE0ELb0ELb1ES3_N6thrust23THRUST_200600_302600_NS6detail15normal_iteratorINS9_10device_ptrIiEEEESE_iNS9_10multipliesIiEEiEEDaPvRmT3_T4_T5_mT6_P12ihipStream_tbENKUlT_T0_E_clISt17integral_constantIbLb1EEST_IbLb0EEEEDaSP_SQ_EUlSP_E0_NS1_11comp_targetILNS1_3genE8ELNS1_11target_archE1030ELNS1_3gpuE2ELNS1_3repE0EEENS1_30default_config_static_selectorELNS0_4arch9wavefront6targetE1EEEvT1_,comdat
	.protected	_ZN7rocprim17ROCPRIM_400000_NS6detail17trampoline_kernelINS0_14default_configENS1_20scan_config_selectorIiEEZZNS1_9scan_implILNS1_25lookback_scan_determinismE0ELb0ELb1ES3_N6thrust23THRUST_200600_302600_NS6detail15normal_iteratorINS9_10device_ptrIiEEEESE_iNS9_10multipliesIiEEiEEDaPvRmT3_T4_T5_mT6_P12ihipStream_tbENKUlT_T0_E_clISt17integral_constantIbLb1EEST_IbLb0EEEEDaSP_SQ_EUlSP_E0_NS1_11comp_targetILNS1_3genE8ELNS1_11target_archE1030ELNS1_3gpuE2ELNS1_3repE0EEENS1_30default_config_static_selectorELNS0_4arch9wavefront6targetE1EEEvT1_ ; -- Begin function _ZN7rocprim17ROCPRIM_400000_NS6detail17trampoline_kernelINS0_14default_configENS1_20scan_config_selectorIiEEZZNS1_9scan_implILNS1_25lookback_scan_determinismE0ELb0ELb1ES3_N6thrust23THRUST_200600_302600_NS6detail15normal_iteratorINS9_10device_ptrIiEEEESE_iNS9_10multipliesIiEEiEEDaPvRmT3_T4_T5_mT6_P12ihipStream_tbENKUlT_T0_E_clISt17integral_constantIbLb1EEST_IbLb0EEEEDaSP_SQ_EUlSP_E0_NS1_11comp_targetILNS1_3genE8ELNS1_11target_archE1030ELNS1_3gpuE2ELNS1_3repE0EEENS1_30default_config_static_selectorELNS0_4arch9wavefront6targetE1EEEvT1_
	.globl	_ZN7rocprim17ROCPRIM_400000_NS6detail17trampoline_kernelINS0_14default_configENS1_20scan_config_selectorIiEEZZNS1_9scan_implILNS1_25lookback_scan_determinismE0ELb0ELb1ES3_N6thrust23THRUST_200600_302600_NS6detail15normal_iteratorINS9_10device_ptrIiEEEESE_iNS9_10multipliesIiEEiEEDaPvRmT3_T4_T5_mT6_P12ihipStream_tbENKUlT_T0_E_clISt17integral_constantIbLb1EEST_IbLb0EEEEDaSP_SQ_EUlSP_E0_NS1_11comp_targetILNS1_3genE8ELNS1_11target_archE1030ELNS1_3gpuE2ELNS1_3repE0EEENS1_30default_config_static_selectorELNS0_4arch9wavefront6targetE1EEEvT1_
	.p2align	8
	.type	_ZN7rocprim17ROCPRIM_400000_NS6detail17trampoline_kernelINS0_14default_configENS1_20scan_config_selectorIiEEZZNS1_9scan_implILNS1_25lookback_scan_determinismE0ELb0ELb1ES3_N6thrust23THRUST_200600_302600_NS6detail15normal_iteratorINS9_10device_ptrIiEEEESE_iNS9_10multipliesIiEEiEEDaPvRmT3_T4_T5_mT6_P12ihipStream_tbENKUlT_T0_E_clISt17integral_constantIbLb1EEST_IbLb0EEEEDaSP_SQ_EUlSP_E0_NS1_11comp_targetILNS1_3genE8ELNS1_11target_archE1030ELNS1_3gpuE2ELNS1_3repE0EEENS1_30default_config_static_selectorELNS0_4arch9wavefront6targetE1EEEvT1_,@function
_ZN7rocprim17ROCPRIM_400000_NS6detail17trampoline_kernelINS0_14default_configENS1_20scan_config_selectorIiEEZZNS1_9scan_implILNS1_25lookback_scan_determinismE0ELb0ELb1ES3_N6thrust23THRUST_200600_302600_NS6detail15normal_iteratorINS9_10device_ptrIiEEEESE_iNS9_10multipliesIiEEiEEDaPvRmT3_T4_T5_mT6_P12ihipStream_tbENKUlT_T0_E_clISt17integral_constantIbLb1EEST_IbLb0EEEEDaSP_SQ_EUlSP_E0_NS1_11comp_targetILNS1_3genE8ELNS1_11target_archE1030ELNS1_3gpuE2ELNS1_3repE0EEENS1_30default_config_static_selectorELNS0_4arch9wavefront6targetE1EEEvT1_: ; @_ZN7rocprim17ROCPRIM_400000_NS6detail17trampoline_kernelINS0_14default_configENS1_20scan_config_selectorIiEEZZNS1_9scan_implILNS1_25lookback_scan_determinismE0ELb0ELb1ES3_N6thrust23THRUST_200600_302600_NS6detail15normal_iteratorINS9_10device_ptrIiEEEESE_iNS9_10multipliesIiEEiEEDaPvRmT3_T4_T5_mT6_P12ihipStream_tbENKUlT_T0_E_clISt17integral_constantIbLb1EEST_IbLb0EEEEDaSP_SQ_EUlSP_E0_NS1_11comp_targetILNS1_3genE8ELNS1_11target_archE1030ELNS1_3gpuE2ELNS1_3repE0EEENS1_30default_config_static_selectorELNS0_4arch9wavefront6targetE1EEEvT1_
; %bb.0:
	.section	.rodata,"a",@progbits
	.p2align	6, 0x0
	.amdhsa_kernel _ZN7rocprim17ROCPRIM_400000_NS6detail17trampoline_kernelINS0_14default_configENS1_20scan_config_selectorIiEEZZNS1_9scan_implILNS1_25lookback_scan_determinismE0ELb0ELb1ES3_N6thrust23THRUST_200600_302600_NS6detail15normal_iteratorINS9_10device_ptrIiEEEESE_iNS9_10multipliesIiEEiEEDaPvRmT3_T4_T5_mT6_P12ihipStream_tbENKUlT_T0_E_clISt17integral_constantIbLb1EEST_IbLb0EEEEDaSP_SQ_EUlSP_E0_NS1_11comp_targetILNS1_3genE8ELNS1_11target_archE1030ELNS1_3gpuE2ELNS1_3repE0EEENS1_30default_config_static_selectorELNS0_4arch9wavefront6targetE1EEEvT1_
		.amdhsa_group_segment_fixed_size 0
		.amdhsa_private_segment_fixed_size 0
		.amdhsa_kernarg_size 32
		.amdhsa_user_sgpr_count 6
		.amdhsa_user_sgpr_private_segment_buffer 1
		.amdhsa_user_sgpr_dispatch_ptr 0
		.amdhsa_user_sgpr_queue_ptr 0
		.amdhsa_user_sgpr_kernarg_segment_ptr 1
		.amdhsa_user_sgpr_dispatch_id 0
		.amdhsa_user_sgpr_flat_scratch_init 0
		.amdhsa_user_sgpr_kernarg_preload_length 0
		.amdhsa_user_sgpr_kernarg_preload_offset 0
		.amdhsa_user_sgpr_private_segment_size 0
		.amdhsa_uses_dynamic_stack 0
		.amdhsa_system_sgpr_private_segment_wavefront_offset 0
		.amdhsa_system_sgpr_workgroup_id_x 1
		.amdhsa_system_sgpr_workgroup_id_y 0
		.amdhsa_system_sgpr_workgroup_id_z 0
		.amdhsa_system_sgpr_workgroup_info 0
		.amdhsa_system_vgpr_workitem_id 0
		.amdhsa_next_free_vgpr 1
		.amdhsa_next_free_sgpr 0
		.amdhsa_accum_offset 4
		.amdhsa_reserve_vcc 0
		.amdhsa_reserve_flat_scratch 0
		.amdhsa_float_round_mode_32 0
		.amdhsa_float_round_mode_16_64 0
		.amdhsa_float_denorm_mode_32 3
		.amdhsa_float_denorm_mode_16_64 3
		.amdhsa_dx10_clamp 1
		.amdhsa_ieee_mode 1
		.amdhsa_fp16_overflow 0
		.amdhsa_tg_split 0
		.amdhsa_exception_fp_ieee_invalid_op 0
		.amdhsa_exception_fp_denorm_src 0
		.amdhsa_exception_fp_ieee_div_zero 0
		.amdhsa_exception_fp_ieee_overflow 0
		.amdhsa_exception_fp_ieee_underflow 0
		.amdhsa_exception_fp_ieee_inexact 0
		.amdhsa_exception_int_div_zero 0
	.end_amdhsa_kernel
	.section	.text._ZN7rocprim17ROCPRIM_400000_NS6detail17trampoline_kernelINS0_14default_configENS1_20scan_config_selectorIiEEZZNS1_9scan_implILNS1_25lookback_scan_determinismE0ELb0ELb1ES3_N6thrust23THRUST_200600_302600_NS6detail15normal_iteratorINS9_10device_ptrIiEEEESE_iNS9_10multipliesIiEEiEEDaPvRmT3_T4_T5_mT6_P12ihipStream_tbENKUlT_T0_E_clISt17integral_constantIbLb1EEST_IbLb0EEEEDaSP_SQ_EUlSP_E0_NS1_11comp_targetILNS1_3genE8ELNS1_11target_archE1030ELNS1_3gpuE2ELNS1_3repE0EEENS1_30default_config_static_selectorELNS0_4arch9wavefront6targetE1EEEvT1_,"axG",@progbits,_ZN7rocprim17ROCPRIM_400000_NS6detail17trampoline_kernelINS0_14default_configENS1_20scan_config_selectorIiEEZZNS1_9scan_implILNS1_25lookback_scan_determinismE0ELb0ELb1ES3_N6thrust23THRUST_200600_302600_NS6detail15normal_iteratorINS9_10device_ptrIiEEEESE_iNS9_10multipliesIiEEiEEDaPvRmT3_T4_T5_mT6_P12ihipStream_tbENKUlT_T0_E_clISt17integral_constantIbLb1EEST_IbLb0EEEEDaSP_SQ_EUlSP_E0_NS1_11comp_targetILNS1_3genE8ELNS1_11target_archE1030ELNS1_3gpuE2ELNS1_3repE0EEENS1_30default_config_static_selectorELNS0_4arch9wavefront6targetE1EEEvT1_,comdat
.Lfunc_end641:
	.size	_ZN7rocprim17ROCPRIM_400000_NS6detail17trampoline_kernelINS0_14default_configENS1_20scan_config_selectorIiEEZZNS1_9scan_implILNS1_25lookback_scan_determinismE0ELb0ELb1ES3_N6thrust23THRUST_200600_302600_NS6detail15normal_iteratorINS9_10device_ptrIiEEEESE_iNS9_10multipliesIiEEiEEDaPvRmT3_T4_T5_mT6_P12ihipStream_tbENKUlT_T0_E_clISt17integral_constantIbLb1EEST_IbLb0EEEEDaSP_SQ_EUlSP_E0_NS1_11comp_targetILNS1_3genE8ELNS1_11target_archE1030ELNS1_3gpuE2ELNS1_3repE0EEENS1_30default_config_static_selectorELNS0_4arch9wavefront6targetE1EEEvT1_, .Lfunc_end641-_ZN7rocprim17ROCPRIM_400000_NS6detail17trampoline_kernelINS0_14default_configENS1_20scan_config_selectorIiEEZZNS1_9scan_implILNS1_25lookback_scan_determinismE0ELb0ELb1ES3_N6thrust23THRUST_200600_302600_NS6detail15normal_iteratorINS9_10device_ptrIiEEEESE_iNS9_10multipliesIiEEiEEDaPvRmT3_T4_T5_mT6_P12ihipStream_tbENKUlT_T0_E_clISt17integral_constantIbLb1EEST_IbLb0EEEEDaSP_SQ_EUlSP_E0_NS1_11comp_targetILNS1_3genE8ELNS1_11target_archE1030ELNS1_3gpuE2ELNS1_3repE0EEENS1_30default_config_static_selectorELNS0_4arch9wavefront6targetE1EEEvT1_
                                        ; -- End function
	.section	.AMDGPU.csdata,"",@progbits
; Kernel info:
; codeLenInByte = 0
; NumSgprs: 4
; NumVgprs: 0
; NumAgprs: 0
; TotalNumVgprs: 0
; ScratchSize: 0
; MemoryBound: 0
; FloatMode: 240
; IeeeMode: 1
; LDSByteSize: 0 bytes/workgroup (compile time only)
; SGPRBlocks: 0
; VGPRBlocks: 0
; NumSGPRsForWavesPerEU: 4
; NumVGPRsForWavesPerEU: 1
; AccumOffset: 4
; Occupancy: 8
; WaveLimiterHint : 0
; COMPUTE_PGM_RSRC2:SCRATCH_EN: 0
; COMPUTE_PGM_RSRC2:USER_SGPR: 6
; COMPUTE_PGM_RSRC2:TRAP_HANDLER: 0
; COMPUTE_PGM_RSRC2:TGID_X_EN: 1
; COMPUTE_PGM_RSRC2:TGID_Y_EN: 0
; COMPUTE_PGM_RSRC2:TGID_Z_EN: 0
; COMPUTE_PGM_RSRC2:TIDIG_COMP_CNT: 0
; COMPUTE_PGM_RSRC3_GFX90A:ACCUM_OFFSET: 0
; COMPUTE_PGM_RSRC3_GFX90A:TG_SPLIT: 0
	.section	.text._ZN7rocprim17ROCPRIM_400000_NS6detail17trampoline_kernelINS0_14default_configENS1_20scan_config_selectorIiEEZZNS1_9scan_implILNS1_25lookback_scan_determinismE0ELb0ELb1ES3_N6thrust23THRUST_200600_302600_NS6detail15normal_iteratorINS9_10device_ptrIiEEEESE_iNS9_10multipliesIiEEiEEDaPvRmT3_T4_T5_mT6_P12ihipStream_tbENKUlT_T0_E_clISt17integral_constantIbLb0EEST_IbLb1EEEEDaSP_SQ_EUlSP_E_NS1_11comp_targetILNS1_3genE0ELNS1_11target_archE4294967295ELNS1_3gpuE0ELNS1_3repE0EEENS1_30default_config_static_selectorELNS0_4arch9wavefront6targetE1EEEvT1_,"axG",@progbits,_ZN7rocprim17ROCPRIM_400000_NS6detail17trampoline_kernelINS0_14default_configENS1_20scan_config_selectorIiEEZZNS1_9scan_implILNS1_25lookback_scan_determinismE0ELb0ELb1ES3_N6thrust23THRUST_200600_302600_NS6detail15normal_iteratorINS9_10device_ptrIiEEEESE_iNS9_10multipliesIiEEiEEDaPvRmT3_T4_T5_mT6_P12ihipStream_tbENKUlT_T0_E_clISt17integral_constantIbLb0EEST_IbLb1EEEEDaSP_SQ_EUlSP_E_NS1_11comp_targetILNS1_3genE0ELNS1_11target_archE4294967295ELNS1_3gpuE0ELNS1_3repE0EEENS1_30default_config_static_selectorELNS0_4arch9wavefront6targetE1EEEvT1_,comdat
	.protected	_ZN7rocprim17ROCPRIM_400000_NS6detail17trampoline_kernelINS0_14default_configENS1_20scan_config_selectorIiEEZZNS1_9scan_implILNS1_25lookback_scan_determinismE0ELb0ELb1ES3_N6thrust23THRUST_200600_302600_NS6detail15normal_iteratorINS9_10device_ptrIiEEEESE_iNS9_10multipliesIiEEiEEDaPvRmT3_T4_T5_mT6_P12ihipStream_tbENKUlT_T0_E_clISt17integral_constantIbLb0EEST_IbLb1EEEEDaSP_SQ_EUlSP_E_NS1_11comp_targetILNS1_3genE0ELNS1_11target_archE4294967295ELNS1_3gpuE0ELNS1_3repE0EEENS1_30default_config_static_selectorELNS0_4arch9wavefront6targetE1EEEvT1_ ; -- Begin function _ZN7rocprim17ROCPRIM_400000_NS6detail17trampoline_kernelINS0_14default_configENS1_20scan_config_selectorIiEEZZNS1_9scan_implILNS1_25lookback_scan_determinismE0ELb0ELb1ES3_N6thrust23THRUST_200600_302600_NS6detail15normal_iteratorINS9_10device_ptrIiEEEESE_iNS9_10multipliesIiEEiEEDaPvRmT3_T4_T5_mT6_P12ihipStream_tbENKUlT_T0_E_clISt17integral_constantIbLb0EEST_IbLb1EEEEDaSP_SQ_EUlSP_E_NS1_11comp_targetILNS1_3genE0ELNS1_11target_archE4294967295ELNS1_3gpuE0ELNS1_3repE0EEENS1_30default_config_static_selectorELNS0_4arch9wavefront6targetE1EEEvT1_
	.globl	_ZN7rocprim17ROCPRIM_400000_NS6detail17trampoline_kernelINS0_14default_configENS1_20scan_config_selectorIiEEZZNS1_9scan_implILNS1_25lookback_scan_determinismE0ELb0ELb1ES3_N6thrust23THRUST_200600_302600_NS6detail15normal_iteratorINS9_10device_ptrIiEEEESE_iNS9_10multipliesIiEEiEEDaPvRmT3_T4_T5_mT6_P12ihipStream_tbENKUlT_T0_E_clISt17integral_constantIbLb0EEST_IbLb1EEEEDaSP_SQ_EUlSP_E_NS1_11comp_targetILNS1_3genE0ELNS1_11target_archE4294967295ELNS1_3gpuE0ELNS1_3repE0EEENS1_30default_config_static_selectorELNS0_4arch9wavefront6targetE1EEEvT1_
	.p2align	8
	.type	_ZN7rocprim17ROCPRIM_400000_NS6detail17trampoline_kernelINS0_14default_configENS1_20scan_config_selectorIiEEZZNS1_9scan_implILNS1_25lookback_scan_determinismE0ELb0ELb1ES3_N6thrust23THRUST_200600_302600_NS6detail15normal_iteratorINS9_10device_ptrIiEEEESE_iNS9_10multipliesIiEEiEEDaPvRmT3_T4_T5_mT6_P12ihipStream_tbENKUlT_T0_E_clISt17integral_constantIbLb0EEST_IbLb1EEEEDaSP_SQ_EUlSP_E_NS1_11comp_targetILNS1_3genE0ELNS1_11target_archE4294967295ELNS1_3gpuE0ELNS1_3repE0EEENS1_30default_config_static_selectorELNS0_4arch9wavefront6targetE1EEEvT1_,@function
_ZN7rocprim17ROCPRIM_400000_NS6detail17trampoline_kernelINS0_14default_configENS1_20scan_config_selectorIiEEZZNS1_9scan_implILNS1_25lookback_scan_determinismE0ELb0ELb1ES3_N6thrust23THRUST_200600_302600_NS6detail15normal_iteratorINS9_10device_ptrIiEEEESE_iNS9_10multipliesIiEEiEEDaPvRmT3_T4_T5_mT6_P12ihipStream_tbENKUlT_T0_E_clISt17integral_constantIbLb0EEST_IbLb1EEEEDaSP_SQ_EUlSP_E_NS1_11comp_targetILNS1_3genE0ELNS1_11target_archE4294967295ELNS1_3gpuE0ELNS1_3repE0EEENS1_30default_config_static_selectorELNS0_4arch9wavefront6targetE1EEEvT1_: ; @_ZN7rocprim17ROCPRIM_400000_NS6detail17trampoline_kernelINS0_14default_configENS1_20scan_config_selectorIiEEZZNS1_9scan_implILNS1_25lookback_scan_determinismE0ELb0ELb1ES3_N6thrust23THRUST_200600_302600_NS6detail15normal_iteratorINS9_10device_ptrIiEEEESE_iNS9_10multipliesIiEEiEEDaPvRmT3_T4_T5_mT6_P12ihipStream_tbENKUlT_T0_E_clISt17integral_constantIbLb0EEST_IbLb1EEEEDaSP_SQ_EUlSP_E_NS1_11comp_targetILNS1_3genE0ELNS1_11target_archE4294967295ELNS1_3gpuE0ELNS1_3repE0EEENS1_30default_config_static_selectorELNS0_4arch9wavefront6targetE1EEEvT1_
; %bb.0:
	.section	.rodata,"a",@progbits
	.p2align	6, 0x0
	.amdhsa_kernel _ZN7rocprim17ROCPRIM_400000_NS6detail17trampoline_kernelINS0_14default_configENS1_20scan_config_selectorIiEEZZNS1_9scan_implILNS1_25lookback_scan_determinismE0ELb0ELb1ES3_N6thrust23THRUST_200600_302600_NS6detail15normal_iteratorINS9_10device_ptrIiEEEESE_iNS9_10multipliesIiEEiEEDaPvRmT3_T4_T5_mT6_P12ihipStream_tbENKUlT_T0_E_clISt17integral_constantIbLb0EEST_IbLb1EEEEDaSP_SQ_EUlSP_E_NS1_11comp_targetILNS1_3genE0ELNS1_11target_archE4294967295ELNS1_3gpuE0ELNS1_3repE0EEENS1_30default_config_static_selectorELNS0_4arch9wavefront6targetE1EEEvT1_
		.amdhsa_group_segment_fixed_size 0
		.amdhsa_private_segment_fixed_size 0
		.amdhsa_kernarg_size 96
		.amdhsa_user_sgpr_count 6
		.amdhsa_user_sgpr_private_segment_buffer 1
		.amdhsa_user_sgpr_dispatch_ptr 0
		.amdhsa_user_sgpr_queue_ptr 0
		.amdhsa_user_sgpr_kernarg_segment_ptr 1
		.amdhsa_user_sgpr_dispatch_id 0
		.amdhsa_user_sgpr_flat_scratch_init 0
		.amdhsa_user_sgpr_kernarg_preload_length 0
		.amdhsa_user_sgpr_kernarg_preload_offset 0
		.amdhsa_user_sgpr_private_segment_size 0
		.amdhsa_uses_dynamic_stack 0
		.amdhsa_system_sgpr_private_segment_wavefront_offset 0
		.amdhsa_system_sgpr_workgroup_id_x 1
		.amdhsa_system_sgpr_workgroup_id_y 0
		.amdhsa_system_sgpr_workgroup_id_z 0
		.amdhsa_system_sgpr_workgroup_info 0
		.amdhsa_system_vgpr_workitem_id 0
		.amdhsa_next_free_vgpr 1
		.amdhsa_next_free_sgpr 0
		.amdhsa_accum_offset 4
		.amdhsa_reserve_vcc 0
		.amdhsa_reserve_flat_scratch 0
		.amdhsa_float_round_mode_32 0
		.amdhsa_float_round_mode_16_64 0
		.amdhsa_float_denorm_mode_32 3
		.amdhsa_float_denorm_mode_16_64 3
		.amdhsa_dx10_clamp 1
		.amdhsa_ieee_mode 1
		.amdhsa_fp16_overflow 0
		.amdhsa_tg_split 0
		.amdhsa_exception_fp_ieee_invalid_op 0
		.amdhsa_exception_fp_denorm_src 0
		.amdhsa_exception_fp_ieee_div_zero 0
		.amdhsa_exception_fp_ieee_overflow 0
		.amdhsa_exception_fp_ieee_underflow 0
		.amdhsa_exception_fp_ieee_inexact 0
		.amdhsa_exception_int_div_zero 0
	.end_amdhsa_kernel
	.section	.text._ZN7rocprim17ROCPRIM_400000_NS6detail17trampoline_kernelINS0_14default_configENS1_20scan_config_selectorIiEEZZNS1_9scan_implILNS1_25lookback_scan_determinismE0ELb0ELb1ES3_N6thrust23THRUST_200600_302600_NS6detail15normal_iteratorINS9_10device_ptrIiEEEESE_iNS9_10multipliesIiEEiEEDaPvRmT3_T4_T5_mT6_P12ihipStream_tbENKUlT_T0_E_clISt17integral_constantIbLb0EEST_IbLb1EEEEDaSP_SQ_EUlSP_E_NS1_11comp_targetILNS1_3genE0ELNS1_11target_archE4294967295ELNS1_3gpuE0ELNS1_3repE0EEENS1_30default_config_static_selectorELNS0_4arch9wavefront6targetE1EEEvT1_,"axG",@progbits,_ZN7rocprim17ROCPRIM_400000_NS6detail17trampoline_kernelINS0_14default_configENS1_20scan_config_selectorIiEEZZNS1_9scan_implILNS1_25lookback_scan_determinismE0ELb0ELb1ES3_N6thrust23THRUST_200600_302600_NS6detail15normal_iteratorINS9_10device_ptrIiEEEESE_iNS9_10multipliesIiEEiEEDaPvRmT3_T4_T5_mT6_P12ihipStream_tbENKUlT_T0_E_clISt17integral_constantIbLb0EEST_IbLb1EEEEDaSP_SQ_EUlSP_E_NS1_11comp_targetILNS1_3genE0ELNS1_11target_archE4294967295ELNS1_3gpuE0ELNS1_3repE0EEENS1_30default_config_static_selectorELNS0_4arch9wavefront6targetE1EEEvT1_,comdat
.Lfunc_end642:
	.size	_ZN7rocprim17ROCPRIM_400000_NS6detail17trampoline_kernelINS0_14default_configENS1_20scan_config_selectorIiEEZZNS1_9scan_implILNS1_25lookback_scan_determinismE0ELb0ELb1ES3_N6thrust23THRUST_200600_302600_NS6detail15normal_iteratorINS9_10device_ptrIiEEEESE_iNS9_10multipliesIiEEiEEDaPvRmT3_T4_T5_mT6_P12ihipStream_tbENKUlT_T0_E_clISt17integral_constantIbLb0EEST_IbLb1EEEEDaSP_SQ_EUlSP_E_NS1_11comp_targetILNS1_3genE0ELNS1_11target_archE4294967295ELNS1_3gpuE0ELNS1_3repE0EEENS1_30default_config_static_selectorELNS0_4arch9wavefront6targetE1EEEvT1_, .Lfunc_end642-_ZN7rocprim17ROCPRIM_400000_NS6detail17trampoline_kernelINS0_14default_configENS1_20scan_config_selectorIiEEZZNS1_9scan_implILNS1_25lookback_scan_determinismE0ELb0ELb1ES3_N6thrust23THRUST_200600_302600_NS6detail15normal_iteratorINS9_10device_ptrIiEEEESE_iNS9_10multipliesIiEEiEEDaPvRmT3_T4_T5_mT6_P12ihipStream_tbENKUlT_T0_E_clISt17integral_constantIbLb0EEST_IbLb1EEEEDaSP_SQ_EUlSP_E_NS1_11comp_targetILNS1_3genE0ELNS1_11target_archE4294967295ELNS1_3gpuE0ELNS1_3repE0EEENS1_30default_config_static_selectorELNS0_4arch9wavefront6targetE1EEEvT1_
                                        ; -- End function
	.section	.AMDGPU.csdata,"",@progbits
; Kernel info:
; codeLenInByte = 0
; NumSgprs: 4
; NumVgprs: 0
; NumAgprs: 0
; TotalNumVgprs: 0
; ScratchSize: 0
; MemoryBound: 0
; FloatMode: 240
; IeeeMode: 1
; LDSByteSize: 0 bytes/workgroup (compile time only)
; SGPRBlocks: 0
; VGPRBlocks: 0
; NumSGPRsForWavesPerEU: 4
; NumVGPRsForWavesPerEU: 1
; AccumOffset: 4
; Occupancy: 8
; WaveLimiterHint : 0
; COMPUTE_PGM_RSRC2:SCRATCH_EN: 0
; COMPUTE_PGM_RSRC2:USER_SGPR: 6
; COMPUTE_PGM_RSRC2:TRAP_HANDLER: 0
; COMPUTE_PGM_RSRC2:TGID_X_EN: 1
; COMPUTE_PGM_RSRC2:TGID_Y_EN: 0
; COMPUTE_PGM_RSRC2:TGID_Z_EN: 0
; COMPUTE_PGM_RSRC2:TIDIG_COMP_CNT: 0
; COMPUTE_PGM_RSRC3_GFX90A:ACCUM_OFFSET: 0
; COMPUTE_PGM_RSRC3_GFX90A:TG_SPLIT: 0
	.section	.text._ZN7rocprim17ROCPRIM_400000_NS6detail17trampoline_kernelINS0_14default_configENS1_20scan_config_selectorIiEEZZNS1_9scan_implILNS1_25lookback_scan_determinismE0ELb0ELb1ES3_N6thrust23THRUST_200600_302600_NS6detail15normal_iteratorINS9_10device_ptrIiEEEESE_iNS9_10multipliesIiEEiEEDaPvRmT3_T4_T5_mT6_P12ihipStream_tbENKUlT_T0_E_clISt17integral_constantIbLb0EEST_IbLb1EEEEDaSP_SQ_EUlSP_E_NS1_11comp_targetILNS1_3genE5ELNS1_11target_archE942ELNS1_3gpuE9ELNS1_3repE0EEENS1_30default_config_static_selectorELNS0_4arch9wavefront6targetE1EEEvT1_,"axG",@progbits,_ZN7rocprim17ROCPRIM_400000_NS6detail17trampoline_kernelINS0_14default_configENS1_20scan_config_selectorIiEEZZNS1_9scan_implILNS1_25lookback_scan_determinismE0ELb0ELb1ES3_N6thrust23THRUST_200600_302600_NS6detail15normal_iteratorINS9_10device_ptrIiEEEESE_iNS9_10multipliesIiEEiEEDaPvRmT3_T4_T5_mT6_P12ihipStream_tbENKUlT_T0_E_clISt17integral_constantIbLb0EEST_IbLb1EEEEDaSP_SQ_EUlSP_E_NS1_11comp_targetILNS1_3genE5ELNS1_11target_archE942ELNS1_3gpuE9ELNS1_3repE0EEENS1_30default_config_static_selectorELNS0_4arch9wavefront6targetE1EEEvT1_,comdat
	.protected	_ZN7rocprim17ROCPRIM_400000_NS6detail17trampoline_kernelINS0_14default_configENS1_20scan_config_selectorIiEEZZNS1_9scan_implILNS1_25lookback_scan_determinismE0ELb0ELb1ES3_N6thrust23THRUST_200600_302600_NS6detail15normal_iteratorINS9_10device_ptrIiEEEESE_iNS9_10multipliesIiEEiEEDaPvRmT3_T4_T5_mT6_P12ihipStream_tbENKUlT_T0_E_clISt17integral_constantIbLb0EEST_IbLb1EEEEDaSP_SQ_EUlSP_E_NS1_11comp_targetILNS1_3genE5ELNS1_11target_archE942ELNS1_3gpuE9ELNS1_3repE0EEENS1_30default_config_static_selectorELNS0_4arch9wavefront6targetE1EEEvT1_ ; -- Begin function _ZN7rocprim17ROCPRIM_400000_NS6detail17trampoline_kernelINS0_14default_configENS1_20scan_config_selectorIiEEZZNS1_9scan_implILNS1_25lookback_scan_determinismE0ELb0ELb1ES3_N6thrust23THRUST_200600_302600_NS6detail15normal_iteratorINS9_10device_ptrIiEEEESE_iNS9_10multipliesIiEEiEEDaPvRmT3_T4_T5_mT6_P12ihipStream_tbENKUlT_T0_E_clISt17integral_constantIbLb0EEST_IbLb1EEEEDaSP_SQ_EUlSP_E_NS1_11comp_targetILNS1_3genE5ELNS1_11target_archE942ELNS1_3gpuE9ELNS1_3repE0EEENS1_30default_config_static_selectorELNS0_4arch9wavefront6targetE1EEEvT1_
	.globl	_ZN7rocprim17ROCPRIM_400000_NS6detail17trampoline_kernelINS0_14default_configENS1_20scan_config_selectorIiEEZZNS1_9scan_implILNS1_25lookback_scan_determinismE0ELb0ELb1ES3_N6thrust23THRUST_200600_302600_NS6detail15normal_iteratorINS9_10device_ptrIiEEEESE_iNS9_10multipliesIiEEiEEDaPvRmT3_T4_T5_mT6_P12ihipStream_tbENKUlT_T0_E_clISt17integral_constantIbLb0EEST_IbLb1EEEEDaSP_SQ_EUlSP_E_NS1_11comp_targetILNS1_3genE5ELNS1_11target_archE942ELNS1_3gpuE9ELNS1_3repE0EEENS1_30default_config_static_selectorELNS0_4arch9wavefront6targetE1EEEvT1_
	.p2align	8
	.type	_ZN7rocprim17ROCPRIM_400000_NS6detail17trampoline_kernelINS0_14default_configENS1_20scan_config_selectorIiEEZZNS1_9scan_implILNS1_25lookback_scan_determinismE0ELb0ELb1ES3_N6thrust23THRUST_200600_302600_NS6detail15normal_iteratorINS9_10device_ptrIiEEEESE_iNS9_10multipliesIiEEiEEDaPvRmT3_T4_T5_mT6_P12ihipStream_tbENKUlT_T0_E_clISt17integral_constantIbLb0EEST_IbLb1EEEEDaSP_SQ_EUlSP_E_NS1_11comp_targetILNS1_3genE5ELNS1_11target_archE942ELNS1_3gpuE9ELNS1_3repE0EEENS1_30default_config_static_selectorELNS0_4arch9wavefront6targetE1EEEvT1_,@function
_ZN7rocprim17ROCPRIM_400000_NS6detail17trampoline_kernelINS0_14default_configENS1_20scan_config_selectorIiEEZZNS1_9scan_implILNS1_25lookback_scan_determinismE0ELb0ELb1ES3_N6thrust23THRUST_200600_302600_NS6detail15normal_iteratorINS9_10device_ptrIiEEEESE_iNS9_10multipliesIiEEiEEDaPvRmT3_T4_T5_mT6_P12ihipStream_tbENKUlT_T0_E_clISt17integral_constantIbLb0EEST_IbLb1EEEEDaSP_SQ_EUlSP_E_NS1_11comp_targetILNS1_3genE5ELNS1_11target_archE942ELNS1_3gpuE9ELNS1_3repE0EEENS1_30default_config_static_selectorELNS0_4arch9wavefront6targetE1EEEvT1_: ; @_ZN7rocprim17ROCPRIM_400000_NS6detail17trampoline_kernelINS0_14default_configENS1_20scan_config_selectorIiEEZZNS1_9scan_implILNS1_25lookback_scan_determinismE0ELb0ELb1ES3_N6thrust23THRUST_200600_302600_NS6detail15normal_iteratorINS9_10device_ptrIiEEEESE_iNS9_10multipliesIiEEiEEDaPvRmT3_T4_T5_mT6_P12ihipStream_tbENKUlT_T0_E_clISt17integral_constantIbLb0EEST_IbLb1EEEEDaSP_SQ_EUlSP_E_NS1_11comp_targetILNS1_3genE5ELNS1_11target_archE942ELNS1_3gpuE9ELNS1_3repE0EEENS1_30default_config_static_selectorELNS0_4arch9wavefront6targetE1EEEvT1_
; %bb.0:
	.section	.rodata,"a",@progbits
	.p2align	6, 0x0
	.amdhsa_kernel _ZN7rocprim17ROCPRIM_400000_NS6detail17trampoline_kernelINS0_14default_configENS1_20scan_config_selectorIiEEZZNS1_9scan_implILNS1_25lookback_scan_determinismE0ELb0ELb1ES3_N6thrust23THRUST_200600_302600_NS6detail15normal_iteratorINS9_10device_ptrIiEEEESE_iNS9_10multipliesIiEEiEEDaPvRmT3_T4_T5_mT6_P12ihipStream_tbENKUlT_T0_E_clISt17integral_constantIbLb0EEST_IbLb1EEEEDaSP_SQ_EUlSP_E_NS1_11comp_targetILNS1_3genE5ELNS1_11target_archE942ELNS1_3gpuE9ELNS1_3repE0EEENS1_30default_config_static_selectorELNS0_4arch9wavefront6targetE1EEEvT1_
		.amdhsa_group_segment_fixed_size 0
		.amdhsa_private_segment_fixed_size 0
		.amdhsa_kernarg_size 96
		.amdhsa_user_sgpr_count 6
		.amdhsa_user_sgpr_private_segment_buffer 1
		.amdhsa_user_sgpr_dispatch_ptr 0
		.amdhsa_user_sgpr_queue_ptr 0
		.amdhsa_user_sgpr_kernarg_segment_ptr 1
		.amdhsa_user_sgpr_dispatch_id 0
		.amdhsa_user_sgpr_flat_scratch_init 0
		.amdhsa_user_sgpr_kernarg_preload_length 0
		.amdhsa_user_sgpr_kernarg_preload_offset 0
		.amdhsa_user_sgpr_private_segment_size 0
		.amdhsa_uses_dynamic_stack 0
		.amdhsa_system_sgpr_private_segment_wavefront_offset 0
		.amdhsa_system_sgpr_workgroup_id_x 1
		.amdhsa_system_sgpr_workgroup_id_y 0
		.amdhsa_system_sgpr_workgroup_id_z 0
		.amdhsa_system_sgpr_workgroup_info 0
		.amdhsa_system_vgpr_workitem_id 0
		.amdhsa_next_free_vgpr 1
		.amdhsa_next_free_sgpr 0
		.amdhsa_accum_offset 4
		.amdhsa_reserve_vcc 0
		.amdhsa_reserve_flat_scratch 0
		.amdhsa_float_round_mode_32 0
		.amdhsa_float_round_mode_16_64 0
		.amdhsa_float_denorm_mode_32 3
		.amdhsa_float_denorm_mode_16_64 3
		.amdhsa_dx10_clamp 1
		.amdhsa_ieee_mode 1
		.amdhsa_fp16_overflow 0
		.amdhsa_tg_split 0
		.amdhsa_exception_fp_ieee_invalid_op 0
		.amdhsa_exception_fp_denorm_src 0
		.amdhsa_exception_fp_ieee_div_zero 0
		.amdhsa_exception_fp_ieee_overflow 0
		.amdhsa_exception_fp_ieee_underflow 0
		.amdhsa_exception_fp_ieee_inexact 0
		.amdhsa_exception_int_div_zero 0
	.end_amdhsa_kernel
	.section	.text._ZN7rocprim17ROCPRIM_400000_NS6detail17trampoline_kernelINS0_14default_configENS1_20scan_config_selectorIiEEZZNS1_9scan_implILNS1_25lookback_scan_determinismE0ELb0ELb1ES3_N6thrust23THRUST_200600_302600_NS6detail15normal_iteratorINS9_10device_ptrIiEEEESE_iNS9_10multipliesIiEEiEEDaPvRmT3_T4_T5_mT6_P12ihipStream_tbENKUlT_T0_E_clISt17integral_constantIbLb0EEST_IbLb1EEEEDaSP_SQ_EUlSP_E_NS1_11comp_targetILNS1_3genE5ELNS1_11target_archE942ELNS1_3gpuE9ELNS1_3repE0EEENS1_30default_config_static_selectorELNS0_4arch9wavefront6targetE1EEEvT1_,"axG",@progbits,_ZN7rocprim17ROCPRIM_400000_NS6detail17trampoline_kernelINS0_14default_configENS1_20scan_config_selectorIiEEZZNS1_9scan_implILNS1_25lookback_scan_determinismE0ELb0ELb1ES3_N6thrust23THRUST_200600_302600_NS6detail15normal_iteratorINS9_10device_ptrIiEEEESE_iNS9_10multipliesIiEEiEEDaPvRmT3_T4_T5_mT6_P12ihipStream_tbENKUlT_T0_E_clISt17integral_constantIbLb0EEST_IbLb1EEEEDaSP_SQ_EUlSP_E_NS1_11comp_targetILNS1_3genE5ELNS1_11target_archE942ELNS1_3gpuE9ELNS1_3repE0EEENS1_30default_config_static_selectorELNS0_4arch9wavefront6targetE1EEEvT1_,comdat
.Lfunc_end643:
	.size	_ZN7rocprim17ROCPRIM_400000_NS6detail17trampoline_kernelINS0_14default_configENS1_20scan_config_selectorIiEEZZNS1_9scan_implILNS1_25lookback_scan_determinismE0ELb0ELb1ES3_N6thrust23THRUST_200600_302600_NS6detail15normal_iteratorINS9_10device_ptrIiEEEESE_iNS9_10multipliesIiEEiEEDaPvRmT3_T4_T5_mT6_P12ihipStream_tbENKUlT_T0_E_clISt17integral_constantIbLb0EEST_IbLb1EEEEDaSP_SQ_EUlSP_E_NS1_11comp_targetILNS1_3genE5ELNS1_11target_archE942ELNS1_3gpuE9ELNS1_3repE0EEENS1_30default_config_static_selectorELNS0_4arch9wavefront6targetE1EEEvT1_, .Lfunc_end643-_ZN7rocprim17ROCPRIM_400000_NS6detail17trampoline_kernelINS0_14default_configENS1_20scan_config_selectorIiEEZZNS1_9scan_implILNS1_25lookback_scan_determinismE0ELb0ELb1ES3_N6thrust23THRUST_200600_302600_NS6detail15normal_iteratorINS9_10device_ptrIiEEEESE_iNS9_10multipliesIiEEiEEDaPvRmT3_T4_T5_mT6_P12ihipStream_tbENKUlT_T0_E_clISt17integral_constantIbLb0EEST_IbLb1EEEEDaSP_SQ_EUlSP_E_NS1_11comp_targetILNS1_3genE5ELNS1_11target_archE942ELNS1_3gpuE9ELNS1_3repE0EEENS1_30default_config_static_selectorELNS0_4arch9wavefront6targetE1EEEvT1_
                                        ; -- End function
	.section	.AMDGPU.csdata,"",@progbits
; Kernel info:
; codeLenInByte = 0
; NumSgprs: 4
; NumVgprs: 0
; NumAgprs: 0
; TotalNumVgprs: 0
; ScratchSize: 0
; MemoryBound: 0
; FloatMode: 240
; IeeeMode: 1
; LDSByteSize: 0 bytes/workgroup (compile time only)
; SGPRBlocks: 0
; VGPRBlocks: 0
; NumSGPRsForWavesPerEU: 4
; NumVGPRsForWavesPerEU: 1
; AccumOffset: 4
; Occupancy: 8
; WaveLimiterHint : 0
; COMPUTE_PGM_RSRC2:SCRATCH_EN: 0
; COMPUTE_PGM_RSRC2:USER_SGPR: 6
; COMPUTE_PGM_RSRC2:TRAP_HANDLER: 0
; COMPUTE_PGM_RSRC2:TGID_X_EN: 1
; COMPUTE_PGM_RSRC2:TGID_Y_EN: 0
; COMPUTE_PGM_RSRC2:TGID_Z_EN: 0
; COMPUTE_PGM_RSRC2:TIDIG_COMP_CNT: 0
; COMPUTE_PGM_RSRC3_GFX90A:ACCUM_OFFSET: 0
; COMPUTE_PGM_RSRC3_GFX90A:TG_SPLIT: 0
	.section	.text._ZN7rocprim17ROCPRIM_400000_NS6detail17trampoline_kernelINS0_14default_configENS1_20scan_config_selectorIiEEZZNS1_9scan_implILNS1_25lookback_scan_determinismE0ELb0ELb1ES3_N6thrust23THRUST_200600_302600_NS6detail15normal_iteratorINS9_10device_ptrIiEEEESE_iNS9_10multipliesIiEEiEEDaPvRmT3_T4_T5_mT6_P12ihipStream_tbENKUlT_T0_E_clISt17integral_constantIbLb0EEST_IbLb1EEEEDaSP_SQ_EUlSP_E_NS1_11comp_targetILNS1_3genE4ELNS1_11target_archE910ELNS1_3gpuE8ELNS1_3repE0EEENS1_30default_config_static_selectorELNS0_4arch9wavefront6targetE1EEEvT1_,"axG",@progbits,_ZN7rocprim17ROCPRIM_400000_NS6detail17trampoline_kernelINS0_14default_configENS1_20scan_config_selectorIiEEZZNS1_9scan_implILNS1_25lookback_scan_determinismE0ELb0ELb1ES3_N6thrust23THRUST_200600_302600_NS6detail15normal_iteratorINS9_10device_ptrIiEEEESE_iNS9_10multipliesIiEEiEEDaPvRmT3_T4_T5_mT6_P12ihipStream_tbENKUlT_T0_E_clISt17integral_constantIbLb0EEST_IbLb1EEEEDaSP_SQ_EUlSP_E_NS1_11comp_targetILNS1_3genE4ELNS1_11target_archE910ELNS1_3gpuE8ELNS1_3repE0EEENS1_30default_config_static_selectorELNS0_4arch9wavefront6targetE1EEEvT1_,comdat
	.protected	_ZN7rocprim17ROCPRIM_400000_NS6detail17trampoline_kernelINS0_14default_configENS1_20scan_config_selectorIiEEZZNS1_9scan_implILNS1_25lookback_scan_determinismE0ELb0ELb1ES3_N6thrust23THRUST_200600_302600_NS6detail15normal_iteratorINS9_10device_ptrIiEEEESE_iNS9_10multipliesIiEEiEEDaPvRmT3_T4_T5_mT6_P12ihipStream_tbENKUlT_T0_E_clISt17integral_constantIbLb0EEST_IbLb1EEEEDaSP_SQ_EUlSP_E_NS1_11comp_targetILNS1_3genE4ELNS1_11target_archE910ELNS1_3gpuE8ELNS1_3repE0EEENS1_30default_config_static_selectorELNS0_4arch9wavefront6targetE1EEEvT1_ ; -- Begin function _ZN7rocprim17ROCPRIM_400000_NS6detail17trampoline_kernelINS0_14default_configENS1_20scan_config_selectorIiEEZZNS1_9scan_implILNS1_25lookback_scan_determinismE0ELb0ELb1ES3_N6thrust23THRUST_200600_302600_NS6detail15normal_iteratorINS9_10device_ptrIiEEEESE_iNS9_10multipliesIiEEiEEDaPvRmT3_T4_T5_mT6_P12ihipStream_tbENKUlT_T0_E_clISt17integral_constantIbLb0EEST_IbLb1EEEEDaSP_SQ_EUlSP_E_NS1_11comp_targetILNS1_3genE4ELNS1_11target_archE910ELNS1_3gpuE8ELNS1_3repE0EEENS1_30default_config_static_selectorELNS0_4arch9wavefront6targetE1EEEvT1_
	.globl	_ZN7rocprim17ROCPRIM_400000_NS6detail17trampoline_kernelINS0_14default_configENS1_20scan_config_selectorIiEEZZNS1_9scan_implILNS1_25lookback_scan_determinismE0ELb0ELb1ES3_N6thrust23THRUST_200600_302600_NS6detail15normal_iteratorINS9_10device_ptrIiEEEESE_iNS9_10multipliesIiEEiEEDaPvRmT3_T4_T5_mT6_P12ihipStream_tbENKUlT_T0_E_clISt17integral_constantIbLb0EEST_IbLb1EEEEDaSP_SQ_EUlSP_E_NS1_11comp_targetILNS1_3genE4ELNS1_11target_archE910ELNS1_3gpuE8ELNS1_3repE0EEENS1_30default_config_static_selectorELNS0_4arch9wavefront6targetE1EEEvT1_
	.p2align	8
	.type	_ZN7rocprim17ROCPRIM_400000_NS6detail17trampoline_kernelINS0_14default_configENS1_20scan_config_selectorIiEEZZNS1_9scan_implILNS1_25lookback_scan_determinismE0ELb0ELb1ES3_N6thrust23THRUST_200600_302600_NS6detail15normal_iteratorINS9_10device_ptrIiEEEESE_iNS9_10multipliesIiEEiEEDaPvRmT3_T4_T5_mT6_P12ihipStream_tbENKUlT_T0_E_clISt17integral_constantIbLb0EEST_IbLb1EEEEDaSP_SQ_EUlSP_E_NS1_11comp_targetILNS1_3genE4ELNS1_11target_archE910ELNS1_3gpuE8ELNS1_3repE0EEENS1_30default_config_static_selectorELNS0_4arch9wavefront6targetE1EEEvT1_,@function
_ZN7rocprim17ROCPRIM_400000_NS6detail17trampoline_kernelINS0_14default_configENS1_20scan_config_selectorIiEEZZNS1_9scan_implILNS1_25lookback_scan_determinismE0ELb0ELb1ES3_N6thrust23THRUST_200600_302600_NS6detail15normal_iteratorINS9_10device_ptrIiEEEESE_iNS9_10multipliesIiEEiEEDaPvRmT3_T4_T5_mT6_P12ihipStream_tbENKUlT_T0_E_clISt17integral_constantIbLb0EEST_IbLb1EEEEDaSP_SQ_EUlSP_E_NS1_11comp_targetILNS1_3genE4ELNS1_11target_archE910ELNS1_3gpuE8ELNS1_3repE0EEENS1_30default_config_static_selectorELNS0_4arch9wavefront6targetE1EEEvT1_: ; @_ZN7rocprim17ROCPRIM_400000_NS6detail17trampoline_kernelINS0_14default_configENS1_20scan_config_selectorIiEEZZNS1_9scan_implILNS1_25lookback_scan_determinismE0ELb0ELb1ES3_N6thrust23THRUST_200600_302600_NS6detail15normal_iteratorINS9_10device_ptrIiEEEESE_iNS9_10multipliesIiEEiEEDaPvRmT3_T4_T5_mT6_P12ihipStream_tbENKUlT_T0_E_clISt17integral_constantIbLb0EEST_IbLb1EEEEDaSP_SQ_EUlSP_E_NS1_11comp_targetILNS1_3genE4ELNS1_11target_archE910ELNS1_3gpuE8ELNS1_3repE0EEENS1_30default_config_static_selectorELNS0_4arch9wavefront6targetE1EEEvT1_
; %bb.0:
	s_load_dwordx2 s[6:7], s[4:5], 0x28
	v_cmp_ne_u32_e64 s[0:1], 0, v0
	v_cmp_eq_u32_e64 s[2:3], 0, v0
	s_and_saveexec_b64 s[8:9], s[2:3]
	s_cbranch_execz .LBB644_4
; %bb.1:
	s_mov_b64 s[12:13], exec
	v_mbcnt_lo_u32_b32 v1, s12, 0
	v_mbcnt_hi_u32_b32 v1, s13, v1
	v_cmp_eq_u32_e32 vcc, 0, v1
                                        ; implicit-def: $vgpr2
	s_and_saveexec_b64 s[10:11], vcc
	s_cbranch_execz .LBB644_3
; %bb.2:
	s_load_dwordx2 s[14:15], s[4:5], 0x58
	s_bcnt1_i32_b64 s12, s[12:13]
	v_mov_b32_e32 v2, 0
	v_mov_b32_e32 v3, s12
	s_waitcnt lgkmcnt(0)
	global_atomic_add v2, v2, v3, s[14:15] glc
.LBB644_3:
	s_or_b64 exec, exec, s[10:11]
	s_waitcnt vmcnt(0)
	v_readfirstlane_b32 s10, v2
	v_add_u32_e32 v1, s10, v1
	v_mov_b32_e32 v2, 0
	ds_write_b32 v2, v1
.LBB644_4:
	s_or_b64 exec, exec, s[8:9]
	s_load_dwordx8 s[16:23], s[4:5], 0x0
	s_load_dword s33, s[4:5], 0x20
	s_load_dword s24, s[4:5], 0x30
	s_load_dwordx8 s[8:15], s[4:5], 0x38
	v_mov_b32_e32 v1, 0
	s_waitcnt lgkmcnt(0)
	s_barrier
	ds_read_b32 v1, v1
	s_lshl_b64 s[18:19], s[18:19], 2
	s_add_u32 s25, s16, s18
	s_addc_u32 s26, s17, s19
	s_add_i32 s16, s24, -1
	s_mul_i32 s17, s16, 0x500
	s_sub_u32 s30, s22, s17
	s_waitcnt lgkmcnt(0)
	v_readfirstlane_b32 s34, v1
	s_subb_u32 s31, s23, 0
	s_mul_i32 s4, s34, 0x500
	s_mov_b32 s5, 0
	s_cmp_lg_u32 s34, s16
	s_cselect_b64 s[16:17], -1, 0
	s_lshl_b64 s[22:23], s[4:5], 2
	s_add_u32 s24, s25, s22
	s_addc_u32 s25, s26, s23
	s_mov_b64 s[4:5], -1
	s_and_b64 vcc, exec, s[16:17]
	v_lshlrev_b32_e32 v30, 2, v0
	s_barrier
	s_cbranch_vccz .LBB644_6
; %bb.5:
	v_mov_b32_e32 v1, s25
	v_add_co_u32_e32 v2, vcc, s24, v30
	v_addc_co_u32_e32 v3, vcc, 0, v1, vcc
	flat_load_dword v1, v[2:3]
	flat_load_dword v4, v[2:3] offset:512
	flat_load_dword v5, v[2:3] offset:1024
	;; [unrolled: 1-line block ×7, first 2 shown]
	v_add_co_u32_e32 v2, vcc, 0x1000, v2
	v_addc_co_u32_e32 v3, vcc, 0, v3, vcc
	flat_load_dword v11, v[2:3]
	flat_load_dword v12, v[2:3] offset:512
	s_mov_b64 s[4:5], 0
	s_waitcnt vmcnt(0) lgkmcnt(0)
	ds_write2st64_b32 v30, v1, v4 offset1:2
	ds_write2st64_b32 v30, v5, v6 offset0:4 offset1:6
	ds_write2st64_b32 v30, v7, v8 offset0:8 offset1:10
	;; [unrolled: 1-line block ×4, first 2 shown]
	s_waitcnt lgkmcnt(0)
	s_barrier
.LBB644_6:
	s_andn2_b64 vcc, exec, s[4:5]
	v_cmp_gt_u32_e64 s[4:5], s30, v0
	s_cbranch_vccnz .LBB644_28
; %bb.7:
	v_pk_mov_b32 v[2:3], s[24:25], s[24:25] op_sel:[0,1]
	flat_load_dword v1, v[2:3]
	s_waitcnt vmcnt(0) lgkmcnt(0)
	v_mov_b32_e32 v2, v1
	v_mov_b32_e32 v3, v1
	;; [unrolled: 1-line block ×9, first 2 shown]
	s_and_saveexec_b64 s[26:27], s[4:5]
	s_cbranch_execz .LBB644_9
; %bb.8:
	v_mov_b32_e32 v11, s25
	v_add_co_u32_e32 v10, vcc, s24, v30
	v_addc_co_u32_e32 v11, vcc, 0, v11, vcc
	flat_load_dword v10, v[10:11]
.LBB644_9:
	s_or_b64 exec, exec, s[26:27]
	v_or_b32_e32 v11, 0x80, v0
	v_cmp_gt_u32_e32 vcc, s30, v11
	s_and_saveexec_b64 s[4:5], vcc
	s_cbranch_execz .LBB644_11
; %bb.10:
	v_mov_b32_e32 v1, s25
	v_add_co_u32_e32 v12, vcc, s24, v30
	v_addc_co_u32_e32 v13, vcc, 0, v1, vcc
	flat_load_dword v1, v[12:13] offset:512
.LBB644_11:
	s_or_b64 exec, exec, s[4:5]
	v_or_b32_e32 v11, 0x100, v0
	v_cmp_gt_u32_e32 vcc, s30, v11
	s_and_saveexec_b64 s[4:5], vcc
	s_cbranch_execz .LBB644_13
; %bb.12:
	v_mov_b32_e32 v2, s25
	v_add_co_u32_e32 v12, vcc, s24, v30
	v_addc_co_u32_e32 v13, vcc, 0, v2, vcc
	flat_load_dword v2, v[12:13] offset:1024
.LBB644_13:
	;; [unrolled: 11-line block ×7, first 2 shown]
	s_or_b64 exec, exec, s[4:5]
	v_or_b32_e32 v11, 0x400, v0
	v_cmp_gt_u32_e32 vcc, s30, v11
	s_and_saveexec_b64 s[4:5], vcc
	s_cbranch_execz .LBB644_25
; %bb.24:
	v_lshlrev_b32_e32 v8, 2, v11
	v_mov_b32_e32 v11, s25
	v_add_co_u32_e32 v12, vcc, s24, v8
	v_addc_co_u32_e32 v13, vcc, 0, v11, vcc
	flat_load_dword v8, v[12:13]
.LBB644_25:
	s_or_b64 exec, exec, s[4:5]
	v_or_b32_e32 v11, 0x480, v0
	v_cmp_gt_u32_e32 vcc, s30, v11
	s_and_saveexec_b64 s[4:5], vcc
	s_cbranch_execz .LBB644_27
; %bb.26:
	v_lshlrev_b32_e32 v9, 2, v11
	v_mov_b32_e32 v11, s25
	v_add_co_u32_e32 v12, vcc, s24, v9
	v_addc_co_u32_e32 v13, vcc, 0, v11, vcc
	flat_load_dword v9, v[12:13]
.LBB644_27:
	s_or_b64 exec, exec, s[4:5]
	s_waitcnt vmcnt(0) lgkmcnt(0)
	ds_write2st64_b32 v30, v10, v1 offset1:2
	ds_write2st64_b32 v30, v2, v3 offset0:4 offset1:6
	ds_write2st64_b32 v30, v4, v5 offset0:8 offset1:10
	;; [unrolled: 1-line block ×4, first 2 shown]
	s_waitcnt lgkmcnt(0)
	s_barrier
.LBB644_28:
	v_mul_u32_u24_e32 v31, 10, v0
	v_lshlrev_b32_e32 v1, 2, v31
	ds_read2_b64 v[2:5], v1 offset1:1
	ds_read2_b64 v[24:27], v1 offset0:2 offset1:3
	ds_read_b64 v[28:29], v1 offset:32
	s_cmp_lg_u32 s34, 0
	v_lshrrev_b32_e32 v22, 5, v0
	v_cmp_gt_u32_e32 vcc, 64, v0
	s_waitcnt lgkmcnt(0)
	s_barrier
	s_cbranch_scc0 .LBB644_53
; %bb.29:
	v_mul_lo_u32 v6, v3, v2
	v_mul_lo_u32 v6, v6, v4
	;; [unrolled: 1-line block ×9, first 2 shown]
	v_add_lshl_u32 v7, v22, v0, 2
	ds_write_b32 v7, v6
	s_waitcnt lgkmcnt(0)
	s_barrier
	s_and_saveexec_b64 s[24:25], vcc
	s_cbranch_execz .LBB644_31
; %bb.30:
	v_lshlrev_b32_e32 v7, 1, v0
	v_lshrrev_b32_e32 v8, 4, v0
	v_add_lshl_u32 v7, v8, v7, 2
	ds_read2_b32 v[8:9], v7 offset1:1
	v_mbcnt_lo_u32_b32 v10, -1, 0
	v_mbcnt_hi_u32_b32 v10, -1, v10
	v_and_b32_e32 v11, 15, v10
	v_cmp_ne_u32_e64 s[4:5], 0, v11
	s_waitcnt lgkmcnt(0)
	v_mul_lo_u32 v9, v9, v8
	; wave barrier
	s_nop 1
	v_mov_b32_dpp v12, v9 row_shr:1 row_mask:0xf bank_mask:0xf
	v_cndmask_b32_e64 v12, 1, v12, s[4:5]
	v_mul_lo_u32 v9, v12, v9
	v_cmp_lt_u32_e64 s[4:5], 1, v11
	s_nop 0
	v_mov_b32_dpp v12, v9 row_shr:2 row_mask:0xf bank_mask:0xf
	v_cndmask_b32_e64 v12, 1, v12, s[4:5]
	v_mul_lo_u32 v9, v9, v12
	v_cmp_lt_u32_e64 s[4:5], 3, v11
	;; [unrolled: 5-line block ×3, first 2 shown]
	s_nop 0
	v_mov_b32_dpp v12, v9 row_shr:8 row_mask:0xf bank_mask:0xf
	v_cndmask_b32_e64 v11, 1, v12, s[4:5]
	v_mul_lo_u32 v9, v9, v11
	v_and_b32_e32 v12, 16, v10
	v_cmp_ne_u32_e64 s[4:5], 0, v12
	v_mov_b32_dpp v11, v9 row_bcast:15 row_mask:0xf bank_mask:0xf
	v_cndmask_b32_e64 v11, 1, v11, s[4:5]
	v_mul_lo_u32 v9, v9, v11
	v_cmp_lt_u32_e64 s[4:5], 31, v10
	v_and_b32_e32 v12, 64, v10
	v_mov_b32_dpp v11, v9 row_bcast:31 row_mask:0xf bank_mask:0xf
	v_cndmask_b32_e64 v11, 1, v11, s[4:5]
	v_mul_lo_u32 v9, v9, v11
	v_add_u32_e32 v11, -1, v10
	v_cmp_lt_i32_e64 s[4:5], v11, v12
	v_cndmask_b32_e64 v10, v11, v10, s[4:5]
	v_lshlrev_b32_e32 v10, 2, v10
	ds_bpermute_b32 v9, v10, v9
	s_waitcnt lgkmcnt(0)
	v_mul_lo_u32 v8, v9, v8
	v_cndmask_b32_e64 v6, v8, v6, s[2:3]
	ds_write_b32 v7, v6
	; wave barrier
	ds_read_b32 v8, v7 offset:4
	s_waitcnt lgkmcnt(0)
	v_mul_lo_u32 v6, v8, v6
	ds_write_b32 v7, v6 offset:4
.LBB644_31:
	s_or_b64 exec, exec, s[24:25]
	v_mov_b32_e32 v16, 1
	s_waitcnt lgkmcnt(0)
	s_barrier
	s_and_saveexec_b64 s[4:5], s[0:1]
	s_cbranch_execz .LBB644_33
; %bb.32:
	v_add_u32_e32 v6, -1, v0
	v_lshrrev_b32_e32 v7, 5, v6
	v_add_lshl_u32 v6, v7, v6, 2
	ds_read_b32 v16, v6
.LBB644_33:
	s_or_b64 exec, exec, s[4:5]
	s_and_saveexec_b64 s[24:25], vcc
	s_cbranch_execz .LBB644_52
; %bb.34:
	v_mov_b32_e32 v13, 0
	ds_read_b32 v6, v13 offset:520
	v_mbcnt_lo_u32_b32 v7, -1, 0
	v_mbcnt_hi_u32_b32 v9, -1, v7
	s_mov_b32 s29, 0
	v_cmp_eq_u32_e64 s[4:5], 0, v9
	s_and_saveexec_b64 s[26:27], s[4:5]
	s_cbranch_execz .LBB644_36
; %bb.35:
	s_add_i32 s28, s34, 64
	s_lshl_b64 s[28:29], s[28:29], 3
	s_add_u32 s28, s6, s28
	v_mov_b32_e32 v7, 1
	s_addc_u32 s29, s7, s29
	s_waitcnt lgkmcnt(0)
	global_store_dwordx2 v13, v[6:7], s[28:29]
.LBB644_36:
	s_or_b64 exec, exec, s[26:27]
	v_xad_u32 v8, v9, -1, s34
	v_add_u32_e32 v12, 64, v8
	v_lshlrev_b64 v[10:11], 3, v[12:13]
	v_mov_b32_e32 v7, s7
	v_add_co_u32_e32 v14, vcc, s6, v10
	v_addc_co_u32_e32 v15, vcc, v7, v11, vcc
	global_load_dwordx2 v[10:11], v[14:15], off glc
	s_waitcnt vmcnt(0)
	v_cmp_eq_u16_sdwa s[28:29], v11, v13 src0_sel:BYTE_0 src1_sel:DWORD
	s_and_saveexec_b64 s[26:27], s[28:29]
	s_cbranch_execz .LBB644_40
; %bb.37:
	s_mov_b64 s[28:29], 0
	v_mov_b32_e32 v7, 0
.LBB644_38:                             ; =>This Inner Loop Header: Depth=1
	global_load_dwordx2 v[10:11], v[14:15], off glc
	s_waitcnt vmcnt(0)
	v_cmp_ne_u16_sdwa s[36:37], v11, v7 src0_sel:BYTE_0 src1_sel:DWORD
	s_or_b64 s[28:29], s[36:37], s[28:29]
	s_andn2_b64 exec, exec, s[28:29]
	s_cbranch_execnz .LBB644_38
; %bb.39:
	s_or_b64 exec, exec, s[28:29]
.LBB644_40:
	s_or_b64 exec, exec, s[26:27]
	v_and_b32_e32 v17, 63, v9
	v_mov_b32_e32 v7, 2
	v_cmp_ne_u32_e32 vcc, 63, v17
	v_cmp_eq_u16_sdwa s[26:27], v11, v7 src0_sel:BYTE_0 src1_sel:DWORD
	v_lshlrev_b64 v[12:13], v9, -1
	v_addc_co_u32_e32 v18, vcc, 0, v9, vcc
	v_and_b32_e32 v14, s27, v13
	v_lshlrev_b32_e32 v18, 2, v18
	v_or_b32_e32 v14, 0x80000000, v14
	ds_bpermute_b32 v19, v18, v10
	v_and_b32_e32 v15, s26, v12
	v_ffbl_b32_e32 v14, v14
	v_add_u32_e32 v14, 32, v14
	v_ffbl_b32_e32 v15, v15
	v_min_u32_e32 v14, v15, v14
	v_cmp_lt_u32_e32 vcc, v17, v14
	s_waitcnt lgkmcnt(0)
	v_cndmask_b32_e32 v15, 1, v19, vcc
	v_cmp_gt_u32_e32 vcc, 62, v17
	v_mul_lo_u32 v10, v15, v10
	v_cndmask_b32_e64 v15, 0, 1, vcc
	v_lshlrev_b32_e32 v15, 1, v15
	v_add_lshl_u32 v19, v15, v9, 2
	ds_bpermute_b32 v15, v19, v10
	v_add_u32_e32 v20, 2, v17
	v_cmp_le_u32_e32 vcc, v20, v14
	v_add_u32_e32 v23, 4, v17
	v_add_u32_e32 v33, 8, v17
	s_waitcnt lgkmcnt(0)
	v_cndmask_b32_e32 v15, 1, v15, vcc
	v_cmp_gt_u32_e32 vcc, 60, v17
	v_mul_lo_u32 v10, v10, v15
	v_cndmask_b32_e64 v15, 0, 1, vcc
	v_lshlrev_b32_e32 v15, 2, v15
	v_add_lshl_u32 v21, v15, v9, 2
	ds_bpermute_b32 v15, v21, v10
	v_cmp_le_u32_e32 vcc, v23, v14
	v_add_u32_e32 v36, 16, v17
	v_add_u32_e32 v38, 32, v17
	s_waitcnt lgkmcnt(0)
	v_cndmask_b32_e32 v15, 1, v15, vcc
	v_cmp_gt_u32_e32 vcc, 56, v17
	v_mul_lo_u32 v10, v10, v15
	v_cndmask_b32_e64 v15, 0, 1, vcc
	v_lshlrev_b32_e32 v15, 3, v15
	v_add_lshl_u32 v32, v15, v9, 2
	ds_bpermute_b32 v15, v32, v10
	v_cmp_le_u32_e32 vcc, v33, v14
	s_waitcnt lgkmcnt(0)
	v_cndmask_b32_e32 v15, 1, v15, vcc
	v_cmp_gt_u32_e32 vcc, 48, v17
	v_mul_lo_u32 v10, v10, v15
	v_cndmask_b32_e64 v15, 0, 1, vcc
	v_lshlrev_b32_e32 v15, 4, v15
	v_add_lshl_u32 v35, v15, v9, 2
	ds_bpermute_b32 v15, v35, v10
	v_cmp_le_u32_e32 vcc, v36, v14
	;; [unrolled: 9-line block ×3, first 2 shown]
	s_waitcnt lgkmcnt(0)
	v_cndmask_b32_e32 v9, 1, v9, vcc
	v_mul_lo_u32 v10, v10, v9
	v_mov_b32_e32 v9, 0
	s_branch .LBB644_42
.LBB644_41:                             ;   in Loop: Header=BB644_42 Depth=1
	s_or_b64 exec, exec, s[26:27]
	v_cmp_eq_u16_sdwa s[26:27], v11, v7 src0_sel:BYTE_0 src1_sel:DWORD
	v_and_b32_e32 v14, s27, v13
	v_or_b32_e32 v14, 0x80000000, v14
	ds_bpermute_b32 v39, v18, v10
	v_and_b32_e32 v15, s26, v12
	v_ffbl_b32_e32 v14, v14
	v_add_u32_e32 v14, 32, v14
	v_ffbl_b32_e32 v15, v15
	v_min_u32_e32 v14, v15, v14
	v_cmp_lt_u32_e32 vcc, v17, v14
	s_waitcnt lgkmcnt(0)
	v_cndmask_b32_e32 v15, 1, v39, vcc
	v_mul_lo_u32 v10, v15, v10
	ds_bpermute_b32 v15, v19, v10
	v_cmp_le_u32_e32 vcc, v20, v14
	v_subrev_u32_e32 v8, 64, v8
	s_waitcnt lgkmcnt(0)
	v_cndmask_b32_e32 v15, 1, v15, vcc
	v_mul_lo_u32 v10, v10, v15
	ds_bpermute_b32 v15, v21, v10
	v_cmp_le_u32_e32 vcc, v23, v14
	s_waitcnt lgkmcnt(0)
	v_cndmask_b32_e32 v15, 1, v15, vcc
	v_mul_lo_u32 v10, v10, v15
	ds_bpermute_b32 v15, v32, v10
	v_cmp_le_u32_e32 vcc, v33, v14
	s_waitcnt lgkmcnt(0)
	v_cndmask_b32_e32 v15, 1, v15, vcc
	v_mul_lo_u32 v10, v10, v15
	ds_bpermute_b32 v15, v35, v10
	v_cmp_le_u32_e32 vcc, v36, v14
	s_waitcnt lgkmcnt(0)
	v_cndmask_b32_e32 v15, 1, v15, vcc
	v_mul_lo_u32 v10, v10, v15
	ds_bpermute_b32 v15, v37, v10
	v_cmp_le_u32_e32 vcc, v38, v14
	s_waitcnt lgkmcnt(0)
	v_cndmask_b32_e32 v14, 1, v15, vcc
	v_mul_lo_u32 v14, v14, v34
	v_mul_lo_u32 v10, v14, v10
.LBB644_42:                             ; =>This Loop Header: Depth=1
                                        ;     Child Loop BB644_45 Depth 2
	v_cmp_ne_u16_sdwa s[26:27], v11, v7 src0_sel:BYTE_0 src1_sel:DWORD
	v_cndmask_b32_e64 v11, 0, 1, s[26:27]
	;;#ASMSTART
	;;#ASMEND
	v_cmp_ne_u32_e32 vcc, 0, v11
	s_cmp_lg_u64 vcc, exec
	v_mov_b32_e32 v34, v10
	s_cbranch_scc1 .LBB644_47
; %bb.43:                               ;   in Loop: Header=BB644_42 Depth=1
	v_lshlrev_b64 v[10:11], 3, v[8:9]
	v_mov_b32_e32 v15, s7
	v_add_co_u32_e32 v14, vcc, s6, v10
	v_addc_co_u32_e32 v15, vcc, v15, v11, vcc
	global_load_dwordx2 v[10:11], v[14:15], off glc
	s_waitcnt vmcnt(0)
	v_cmp_eq_u16_sdwa s[28:29], v11, v9 src0_sel:BYTE_0 src1_sel:DWORD
	s_and_saveexec_b64 s[26:27], s[28:29]
	s_cbranch_execz .LBB644_41
; %bb.44:                               ;   in Loop: Header=BB644_42 Depth=1
	s_mov_b64 s[28:29], 0
.LBB644_45:                             ;   Parent Loop BB644_42 Depth=1
                                        ; =>  This Inner Loop Header: Depth=2
	global_load_dwordx2 v[10:11], v[14:15], off glc
	s_waitcnt vmcnt(0)
	v_cmp_ne_u16_sdwa s[36:37], v11, v9 src0_sel:BYTE_0 src1_sel:DWORD
	s_or_b64 s[28:29], s[36:37], s[28:29]
	s_andn2_b64 exec, exec, s[28:29]
	s_cbranch_execnz .LBB644_45
; %bb.46:                               ;   in Loop: Header=BB644_42 Depth=1
	s_or_b64 exec, exec, s[28:29]
	s_branch .LBB644_41
.LBB644_47:                             ;   in Loop: Header=BB644_42 Depth=1
                                        ; implicit-def: $vgpr10
                                        ; implicit-def: $vgpr11
	s_cbranch_execz .LBB644_42
; %bb.48:
	s_and_saveexec_b64 s[26:27], s[4:5]
	s_cbranch_execz .LBB644_50
; %bb.49:
	s_add_i32 s4, s34, 64
	s_mov_b32 s5, 0
	s_lshl_b64 s[4:5], s[4:5], 3
	s_add_u32 s4, s6, s4
	v_mul_lo_u32 v6, v34, v6
	s_addc_u32 s5, s7, s5
	v_mov_b32_e32 v8, 0
	v_mov_b32_e32 v7, 2
	global_store_dwordx2 v8, v[6:7], s[4:5]
.LBB644_50:
	s_or_b64 exec, exec, s[26:27]
	s_and_b64 exec, exec, s[2:3]
	s_cbranch_execz .LBB644_52
; %bb.51:
	v_mov_b32_e32 v6, 0
	ds_write_b32 v6, v34
.LBB644_52:
	s_or_b64 exec, exec, s[24:25]
	v_mov_b32_e32 v6, 0
	s_waitcnt lgkmcnt(0)
	s_barrier
	ds_read_b32 v6, v6
	v_mul_lo_u32 v7, v16, v2
	s_waitcnt lgkmcnt(0)
	v_mul_lo_u32 v12, v7, v6
	v_mul_lo_u32 v13, v12, v3
	;; [unrolled: 1-line block ×10, first 2 shown]
	s_branch .LBB644_75
.LBB644_53:
                                        ; implicit-def: $vgpr12_vgpr13_vgpr14_vgpr15_vgpr16_vgpr17_vgpr18_vgpr19_vgpr20_vgpr21
	s_cbranch_execz .LBB644_75
; %bb.54:
	s_cmp_lg_u64 s[12:13], 0
	s_cselect_b64 s[24:25], -1, 0
	s_cmp_eq_u64 s[12:13], 0
	s_cselect_b64 s[4:5], -1, 0
	s_and_b64 s[24:25], s[2:3], s[24:25]
	s_and_saveexec_b64 s[12:13], s[24:25]
	s_cbranch_execz .LBB644_56
; %bb.55:
	v_mov_b32_e32 v6, 0
	global_load_dword v6, v6, s[8:9]
	s_waitcnt vmcnt(0)
	v_mul_lo_u32 v2, v6, v2
.LBB644_56:
	s_or_b64 exec, exec, s[12:13]
	v_mul_lo_u32 v34, v3, v2
	v_mul_lo_u32 v33, v34, v4
	;; [unrolled: 1-line block ×9, first 2 shown]
	v_add_lshl_u32 v12, v22, v0, 2
	s_andn2_b64 vcc, exec, s[4:5]
	v_cmp_gt_u32_e64 s[4:5], 64, v0
	ds_write_b32 v12, v11
	s_waitcnt lgkmcnt(0)
	s_cbranch_vccnz .LBB644_64
; %bb.57:
	s_barrier
	s_and_saveexec_b64 s[8:9], s[4:5]
	s_cbranch_execz .LBB644_59
; %bb.58:
	v_lshlrev_b32_e32 v12, 1, v0
	v_lshrrev_b32_e32 v13, 4, v0
	v_add_lshl_u32 v14, v13, v12, 2
	ds_read2_b32 v[12:13], v14 offset1:1
	v_mbcnt_lo_u32_b32 v15, -1, 0
	v_mbcnt_hi_u32_b32 v15, -1, v15
	v_and_b32_e32 v16, 15, v15
	v_cmp_ne_u32_e32 vcc, 0, v16
	s_waitcnt lgkmcnt(0)
	v_mul_lo_u32 v13, v13, v12
	; wave barrier
	s_nop 1
	v_mov_b32_dpp v17, v13 row_shr:1 row_mask:0xf bank_mask:0xf
	v_cndmask_b32_e32 v17, 1, v17, vcc
	v_mul_lo_u32 v13, v17, v13
	v_cmp_lt_u32_e32 vcc, 1, v16
	s_nop 0
	v_mov_b32_dpp v17, v13 row_shr:2 row_mask:0xf bank_mask:0xf
	v_cndmask_b32_e32 v17, 1, v17, vcc
	v_mul_lo_u32 v13, v13, v17
	v_cmp_lt_u32_e32 vcc, 3, v16
	;; [unrolled: 5-line block ×3, first 2 shown]
	s_nop 0
	v_mov_b32_dpp v17, v13 row_shr:8 row_mask:0xf bank_mask:0xf
	v_cndmask_b32_e32 v16, 1, v17, vcc
	v_mul_lo_u32 v13, v13, v16
	v_and_b32_e32 v17, 16, v15
	v_cmp_ne_u32_e32 vcc, 0, v17
	v_mov_b32_dpp v16, v13 row_bcast:15 row_mask:0xf bank_mask:0xf
	v_cndmask_b32_e32 v16, 1, v16, vcc
	v_mul_lo_u32 v13, v13, v16
	v_cmp_lt_u32_e32 vcc, 31, v15
	v_and_b32_e32 v17, 64, v15
	v_mov_b32_dpp v16, v13 row_bcast:31 row_mask:0xf bank_mask:0xf
	v_cndmask_b32_e32 v16, 1, v16, vcc
	v_mul_lo_u32 v13, v13, v16
	v_add_u32_e32 v16, -1, v15
	v_cmp_lt_i32_e32 vcc, v16, v17
	v_cndmask_b32_e32 v15, v16, v15, vcc
	v_lshlrev_b32_e32 v15, 2, v15
	ds_bpermute_b32 v13, v15, v13
	s_waitcnt lgkmcnt(0)
	v_mul_lo_u32 v12, v13, v12
	v_cndmask_b32_e64 v12, v12, v11, s[2:3]
	ds_write_b32 v14, v12
	; wave barrier
	ds_read_b32 v13, v14 offset:4
	s_waitcnt lgkmcnt(0)
	v_mul_lo_u32 v12, v13, v12
	ds_write_b32 v14, v12 offset:4
.LBB644_59:
	s_or_b64 exec, exec, s[8:9]
	v_mov_b32_e32 v21, v11
	s_waitcnt lgkmcnt(0)
	s_barrier
	s_and_saveexec_b64 s[8:9], s[0:1]
	s_cbranch_execz .LBB644_61
; %bb.60:
	v_add_u32_e32 v12, -1, v0
	v_lshrrev_b32_e32 v13, 5, v12
	v_add_lshl_u32 v12, v13, v12, 2
	ds_read_b32 v21, v12
.LBB644_61:
	s_or_b64 exec, exec, s[8:9]
	v_mov_b32_e32 v12, v10
	v_mov_b32_e32 v13, v9
	;; [unrolled: 1-line block ×9, first 2 shown]
	s_and_saveexec_b64 s[8:9], s[0:1]
	s_cbranch_execz .LBB644_63
; %bb.62:
	s_waitcnt lgkmcnt(0)
	v_mul_lo_u32 v14, v21, v2
	v_mul_lo_u32 v15, v14, v3
	;; [unrolled: 1-line block ×9, first 2 shown]
	;;#ASMSTART
	;;#ASMEND
.LBB644_63:
	s_or_b64 exec, exec, s[8:9]
	v_mul_lo_u32 v14, v14, s33
	v_mul_lo_u32 v15, v15, s33
	;; [unrolled: 1-line block ×7, first 2 shown]
	s_waitcnt lgkmcnt(0)
	v_mul_lo_u32 v21, v13, s33
	v_mul_lo_u32 v22, v12, s33
	;; [unrolled: 1-line block ×3, first 2 shown]
	v_pk_mov_b32 v[12:13], v[14:15], v[14:15] op_sel:[0,1]
	v_pk_mov_b32 v[14:15], v[16:17], v[16:17] op_sel:[0,1]
	;; [unrolled: 1-line block ×5, first 2 shown]
	s_branch .LBB644_72
.LBB644_64:
                                        ; implicit-def: $vgpr23
                                        ; implicit-def: $vgpr12_vgpr13_vgpr14_vgpr15_vgpr16_vgpr17_vgpr18_vgpr19_vgpr20_vgpr21
	s_cbranch_execz .LBB644_72
; %bb.65:
	s_barrier
	s_and_saveexec_b64 s[8:9], s[4:5]
	s_cbranch_execz .LBB644_67
; %bb.66:
	v_lshlrev_b32_e32 v12, 1, v0
	v_lshrrev_b32_e32 v13, 4, v0
	v_add_lshl_u32 v14, v13, v12, 2
	ds_read2_b32 v[12:13], v14 offset1:1
	v_mbcnt_lo_u32_b32 v15, -1, 0
	v_mbcnt_hi_u32_b32 v15, -1, v15
	v_and_b32_e32 v16, 15, v15
	v_cmp_ne_u32_e32 vcc, 0, v16
	s_waitcnt lgkmcnt(0)
	v_mul_lo_u32 v13, v13, v12
	; wave barrier
	s_nop 1
	v_mov_b32_dpp v17, v13 row_shr:1 row_mask:0xf bank_mask:0xf
	v_cndmask_b32_e32 v17, 1, v17, vcc
	v_mul_lo_u32 v13, v17, v13
	v_cmp_lt_u32_e32 vcc, 1, v16
	s_nop 0
	v_mov_b32_dpp v17, v13 row_shr:2 row_mask:0xf bank_mask:0xf
	v_cndmask_b32_e32 v17, 1, v17, vcc
	v_mul_lo_u32 v13, v13, v17
	v_cmp_lt_u32_e32 vcc, 3, v16
	;; [unrolled: 5-line block ×3, first 2 shown]
	s_nop 0
	v_mov_b32_dpp v17, v13 row_shr:8 row_mask:0xf bank_mask:0xf
	v_cndmask_b32_e32 v16, 1, v17, vcc
	v_mul_lo_u32 v13, v13, v16
	v_and_b32_e32 v17, 16, v15
	v_cmp_ne_u32_e32 vcc, 0, v17
	v_mov_b32_dpp v16, v13 row_bcast:15 row_mask:0xf bank_mask:0xf
	v_cndmask_b32_e32 v16, 1, v16, vcc
	v_mul_lo_u32 v13, v13, v16
	v_cmp_lt_u32_e32 vcc, 31, v15
	v_and_b32_e32 v17, 64, v15
	v_mov_b32_dpp v16, v13 row_bcast:31 row_mask:0xf bank_mask:0xf
	v_cndmask_b32_e32 v16, 1, v16, vcc
	v_mul_lo_u32 v13, v13, v16
	v_add_u32_e32 v16, -1, v15
	v_cmp_lt_i32_e32 vcc, v16, v17
	v_cndmask_b32_e32 v15, v16, v15, vcc
	v_lshlrev_b32_e32 v15, 2, v15
	ds_bpermute_b32 v13, v15, v13
	s_waitcnt lgkmcnt(0)
	v_mul_lo_u32 v12, v13, v12
	v_cndmask_b32_e64 v12, v12, v11, s[2:3]
	ds_write_b32 v14, v12
	; wave barrier
	ds_read_b32 v13, v14 offset:4
	s_waitcnt lgkmcnt(0)
	v_mul_lo_u32 v12, v13, v12
	ds_write_b32 v14, v12 offset:4
.LBB644_67:
	s_or_b64 exec, exec, s[8:9]
	v_mov_b32_e32 v12, v11
	s_waitcnt lgkmcnt(0)
	s_barrier
	s_and_saveexec_b64 s[2:3], s[0:1]
	s_cbranch_execz .LBB644_69
; %bb.68:
	v_add_u32_e32 v12, -1, v0
	v_lshrrev_b32_e32 v13, 5, v12
	v_add_lshl_u32 v12, v13, v12, 2
	ds_read_b32 v12, v12
.LBB644_69:
	s_or_b64 exec, exec, s[2:3]
	s_and_saveexec_b64 s[2:3], s[0:1]
	s_cbranch_execz .LBB644_71
; %bb.70:
	s_waitcnt lgkmcnt(0)
	v_mul_lo_u32 v2, v12, v2
	v_mul_lo_u32 v34, v2, v3
	;; [unrolled: 1-line block ×10, first 2 shown]
	;;#ASMSTART
	;;#ASMEND
.LBB644_71:
	s_or_b64 exec, exec, s[2:3]
	v_mov_b32_e32 v3, v34
	v_mov_b32_e32 v4, v33
	;; [unrolled: 1-line block ×3, first 2 shown]
	s_waitcnt lgkmcnt(0)
	v_pk_mov_b32 v[20:21], v[10:11], v[10:11] op_sel:[0,1]
	v_mov_b32_e32 v23, v11
	v_pk_mov_b32 v[18:19], v[8:9], v[8:9] op_sel:[0,1]
	v_pk_mov_b32 v[16:17], v[6:7], v[6:7] op_sel:[0,1]
	v_pk_mov_b32 v[14:15], v[4:5], v[4:5] op_sel:[0,1]
	v_pk_mov_b32 v[12:13], v[2:3], v[2:3] op_sel:[0,1]
.LBB644_72:
	s_movk_i32 s0, 0x7f
	v_cmp_eq_u32_e32 vcc, s0, v0
	s_and_saveexec_b64 s[0:1], vcc
	s_cbranch_execz .LBB644_74
; %bb.73:
	v_mov_b32_e32 v4, 0
	v_mov_b32_e32 v3, 2
	v_mov_b32_e32 v2, v23
	global_store_dwordx2 v4, v[2:3], s[6:7] offset:512
.LBB644_74:
	s_or_b64 exec, exec, s[0:1]
.LBB644_75:
	s_add_u32 s0, s20, s18
	s_addc_u32 s1, s21, s19
	s_add_u32 s2, s0, s22
	s_addc_u32 s3, s1, s23
	s_mov_b64 s[0:1], -1
	s_and_b64 vcc, exec, s[16:17]
	s_barrier
	s_cbranch_vccz .LBB644_77
; %bb.76:
	ds_write2_b64 v1, v[12:13], v[14:15] offset1:1
	ds_write2_b64 v1, v[16:17], v[18:19] offset0:2 offset1:3
	ds_write_b64 v1, v[20:21] offset:32
	s_waitcnt lgkmcnt(0)
	s_barrier
	ds_read2st64_b32 v[2:3], v30 offset1:2
	ds_read2st64_b32 v[4:5], v30 offset0:4 offset1:6
	ds_read2st64_b32 v[6:7], v30 offset0:8 offset1:10
	ds_read2st64_b32 v[8:9], v30 offset0:12 offset1:14
	ds_read2st64_b32 v[10:11], v30 offset0:16 offset1:18
	v_mov_b32_e32 v23, s3
	v_add_co_u32_e32 v22, vcc, s2, v30
	v_addc_co_u32_e32 v23, vcc, 0, v23, vcc
	s_waitcnt lgkmcnt(4)
	flat_store_dword v[22:23], v2
	flat_store_dword v[22:23], v3 offset:512
	s_waitcnt lgkmcnt(0)
	flat_store_dword v[22:23], v4 offset:1024
	flat_store_dword v[22:23], v5 offset:1536
	;; [unrolled: 1-line block ×6, first 2 shown]
	v_add_co_u32_e32 v2, vcc, 0x1000, v22
	v_addc_co_u32_e32 v3, vcc, 0, v23, vcc
	flat_store_dword v[2:3], v10
	flat_store_dword v[2:3], v11 offset:512
	s_mov_b64 s[0:1], 0
.LBB644_77:
	s_andn2_b64 vcc, exec, s[0:1]
	s_cbranch_vccnz .LBB644_133
; %bb.78:
	ds_write2_b64 v1, v[12:13], v[14:15] offset1:1
	ds_write2_b64 v1, v[16:17], v[18:19] offset0:2 offset1:3
	ds_write_b64 v1, v[20:21] offset:32
	s_waitcnt lgkmcnt(0)
	s_barrier
	ds_read2st64_b32 v[2:3], v30 offset1:2
	ds_read2st64_b32 v[6:7], v30 offset0:4 offset1:6
	ds_read2st64_b32 v[4:5], v30 offset0:8 offset1:10
	;; [unrolled: 1-line block ×4, first 2 shown]
	v_mov_b32_e32 v13, s3
	v_add_co_u32_e32 v12, vcc, s2, v30
	v_addc_co_u32_e32 v13, vcc, 0, v13, vcc
	v_mov_b32_e32 v1, 0
	v_cmp_gt_u32_e32 vcc, s30, v0
	s_and_saveexec_b64 s[0:1], vcc
	s_cbranch_execz .LBB644_80
; %bb.79:
	s_waitcnt lgkmcnt(0)
	flat_store_dword v[12:13], v2
.LBB644_80:
	s_or_b64 exec, exec, s[0:1]
	v_or_b32_e32 v14, 0x80, v0
	v_cmp_gt_u32_e32 vcc, s30, v14
	s_and_saveexec_b64 s[0:1], vcc
	s_cbranch_execz .LBB644_82
; %bb.81:
	s_waitcnt lgkmcnt(0)
	flat_store_dword v[12:13], v3 offset:512
.LBB644_82:
	s_or_b64 exec, exec, s[0:1]
	v_or_b32_e32 v14, 0x100, v0
	v_cmp_gt_u32_e32 vcc, s30, v14
	s_and_saveexec_b64 s[0:1], vcc
	s_cbranch_execz .LBB644_84
; %bb.83:
	s_waitcnt lgkmcnt(0)
	flat_store_dword v[12:13], v6 offset:1024
.LBB644_84:
	;; [unrolled: 9-line block ×7, first 2 shown]
	s_or_b64 exec, exec, s[0:1]
	v_or_b32_e32 v14, 0x400, v0
	v_cmp_gt_u32_e32 vcc, s30, v14
	s_and_saveexec_b64 s[0:1], vcc
	s_cbranch_execz .LBB644_96
; %bb.95:
	v_add_co_u32_e32 v14, vcc, 0x1000, v12
	v_addc_co_u32_e32 v15, vcc, 0, v13, vcc
	s_waitcnt lgkmcnt(0)
	flat_store_dword v[14:15], v10
.LBB644_96:
	s_or_b64 exec, exec, s[0:1]
	v_or_b32_e32 v14, 0x480, v0
	v_cmp_gt_u32_e32 vcc, s30, v14
	s_and_saveexec_b64 s[0:1], vcc
	s_cbranch_execz .LBB644_98
; %bb.97:
	v_add_co_u32_e32 v12, vcc, 0x1000, v12
	v_addc_co_u32_e32 v13, vcc, 0, v13, vcc
	s_waitcnt lgkmcnt(0)
	flat_store_dword v[12:13], v11 offset:512
.LBB644_98:
	s_or_b64 exec, exec, s[0:1]
	v_cmp_lt_u64_e64 s[0:1], s[14:15], 2
	s_and_b64 vcc, exec, s[0:1]
	s_cbranch_vccnz .LBB644_133
; %bb.99:
	s_add_u32 s0, s30, -1
	s_addc_u32 s1, s31, -1
	s_add_u32 s2, 0, 0x99986000
	s_addc_u32 s3, 0, 0x59
	s_add_i32 s3, s3, 0x19999940
	s_mul_hi_u32 s7, s2, -10
	s_sub_i32 s7, s7, s2
	s_mul_i32 s8, s3, -10
	s_mul_i32 s4, s2, -10
	s_add_i32 s7, s7, s8
	s_mul_hi_u32 s5, s3, s4
	s_mul_i32 s6, s3, s4
	s_mul_i32 s9, s2, s7
	s_mul_hi_u32 s4, s2, s4
	s_mul_hi_u32 s8, s2, s7
	s_add_u32 s4, s4, s9
	s_addc_u32 s8, 0, s8
	s_add_u32 s4, s4, s6
	s_mul_hi_u32 s9, s3, s7
	s_addc_u32 s4, s8, s5
	s_addc_u32 s5, s9, 0
	s_mul_i32 s6, s3, s7
	s_add_u32 s4, s4, s6
	v_mov_b32_e32 v12, s4
	s_addc_u32 s5, 0, s5
	v_add_co_u32_e32 v12, vcc, s2, v12
	s_cmp_lg_u64 vcc, 0
	s_addc_u32 s2, s3, s5
	v_readfirstlane_b32 s5, v12
	s_mul_i32 s4, s0, s2
	s_mul_hi_u32 s6, s0, s5
	s_mul_hi_u32 s3, s0, s2
	s_add_u32 s4, s6, s4
	s_addc_u32 s3, 0, s3
	s_mul_hi_u32 s7, s1, s5
	s_mul_i32 s5, s1, s5
	s_add_u32 s4, s4, s5
	s_mul_hi_u32 s6, s1, s2
	s_addc_u32 s3, s3, s7
	s_addc_u32 s4, s6, 0
	s_mul_i32 s2, s1, s2
	s_add_u32 s2, s3, s2
	s_addc_u32 s3, 0, s4
	s_add_u32 s4, s2, 1
	s_addc_u32 s5, s3, 0
	s_add_u32 s6, s2, 2
	s_mul_i32 s8, s3, 10
	s_mul_hi_u32 s9, s2, 10
	s_addc_u32 s7, s3, 0
	s_add_i32 s9, s9, s8
	s_mul_i32 s8, s2, 10
	v_mov_b32_e32 v12, s8
	v_sub_co_u32_e32 v12, vcc, s0, v12
	s_cmp_lg_u64 vcc, 0
	s_subb_u32 s8, s1, s9
	v_subrev_co_u32_e32 v13, vcc, 10, v12
	s_cmp_lg_u64 vcc, 0
	s_subb_u32 s9, s8, 0
	v_readfirstlane_b32 s12, v13
	s_cmp_gt_u32 s12, 9
	s_cselect_b32 s12, -1, 0
	s_cmp_eq_u32 s9, 0
	s_cselect_b32 s9, s12, -1
	s_cmp_lg_u32 s9, 0
	s_cselect_b32 s4, s6, s4
	v_readfirstlane_b32 s6, v12
	s_cselect_b32 s5, s7, s5
	s_cmp_gt_u32 s6, 9
	s_cselect_b32 s6, -1, 0
	s_cmp_eq_u32 s8, 0
	s_cselect_b32 s6, s6, -1
	s_cmp_lg_u32 s6, 0
	s_cselect_b32 s3, s5, s3
	s_cselect_b32 s2, s4, s2
	v_cmp_eq_u64_e32 vcc, s[2:3], v[0:1]
	s_and_saveexec_b64 s[2:3], vcc
	s_cbranch_execz .LBB644_133
; %bb.100:
	v_mul_hi_u32_u24_e32 v1, 10, v0
	v_mov_b32_e32 v12, s1
	v_sub_co_u32_e32 v0, vcc, s0, v31
	v_subb_co_u32_e32 v1, vcc, v12, v1, vcc
	v_cmp_lt_i64_e32 vcc, 4, v[0:1]
	s_and_saveexec_b64 s[0:1], vcc
	s_xor_b64 s[0:1], exec, s[0:1]
	s_cbranch_execz .LBB644_118
; %bb.101:
	v_cmp_lt_i64_e32 vcc, 6, v[0:1]
	s_and_saveexec_b64 s[2:3], vcc
	s_xor_b64 s[2:3], exec, s[2:3]
	s_cbranch_execz .LBB644_111
; %bb.102:
	;; [unrolled: 5-line block ×4, first 2 shown]
	v_mov_b32_e32 v0, 0
	s_waitcnt lgkmcnt(0)
	global_store_dword v0, v11, s[10:11]
                                        ; implicit-def: $vgpr10_vgpr11
.LBB644_105:
	s_andn2_saveexec_b64 s[6:7], s[6:7]
	s_cbranch_execz .LBB644_107
; %bb.106:
	v_mov_b32_e32 v0, 0
	s_waitcnt lgkmcnt(0)
	global_store_dword v0, v10, s[10:11]
.LBB644_107:
	s_or_b64 exec, exec, s[6:7]
                                        ; implicit-def: $vgpr8_vgpr9
.LBB644_108:
	s_andn2_saveexec_b64 s[4:5], s[4:5]
	s_cbranch_execz .LBB644_110
; %bb.109:
	v_mov_b32_e32 v0, 0
	s_waitcnt lgkmcnt(0)
	global_store_dword v0, v9, s[10:11]
.LBB644_110:
	s_or_b64 exec, exec, s[4:5]
                                        ; implicit-def: $vgpr4_vgpr5
                                        ; implicit-def: $vgpr0_vgpr1
                                        ; implicit-def: $vgpr8_vgpr9
.LBB644_111:
	s_andn2_saveexec_b64 s[2:3], s[2:3]
	s_cbranch_execz .LBB644_117
; %bb.112:
	v_cmp_lt_i64_e32 vcc, 5, v[0:1]
	s_and_saveexec_b64 s[4:5], vcc
	s_xor_b64 s[4:5], exec, s[4:5]
	s_cbranch_execz .LBB644_114
; %bb.113:
	v_mov_b32_e32 v0, 0
	s_waitcnt lgkmcnt(0)
	global_store_dword v0, v8, s[10:11]
                                        ; implicit-def: $vgpr4_vgpr5
.LBB644_114:
	s_andn2_saveexec_b64 s[4:5], s[4:5]
	s_cbranch_execz .LBB644_116
; %bb.115:
	v_mov_b32_e32 v0, 0
	s_waitcnt lgkmcnt(0)
	global_store_dword v0, v5, s[10:11]
.LBB644_116:
	s_or_b64 exec, exec, s[4:5]
.LBB644_117:
	s_or_b64 exec, exec, s[2:3]
                                        ; implicit-def: $vgpr0_vgpr1
                                        ; implicit-def: $vgpr6_vgpr7
                                        ; implicit-def: $vgpr2_vgpr3
                                        ; implicit-def: $vgpr4_vgpr5
.LBB644_118:
	s_andn2_saveexec_b64 s[0:1], s[0:1]
	s_cbranch_execz .LBB644_133
; %bb.119:
	v_cmp_lt_i64_e32 vcc, 2, v[0:1]
	s_and_saveexec_b64 s[0:1], vcc
	s_xor_b64 s[0:1], exec, s[0:1]
	s_cbranch_execz .LBB644_125
; %bb.120:
	v_cmp_lt_i64_e32 vcc, 3, v[0:1]
	s_and_saveexec_b64 s[2:3], vcc
	s_xor_b64 s[2:3], exec, s[2:3]
	s_cbranch_execz .LBB644_122
; %bb.121:
	v_mov_b32_e32 v0, 0
	s_waitcnt lgkmcnt(0)
	global_store_dword v0, v4, s[10:11]
                                        ; implicit-def: $vgpr6_vgpr7
.LBB644_122:
	s_andn2_saveexec_b64 s[2:3], s[2:3]
	s_cbranch_execz .LBB644_124
; %bb.123:
	v_mov_b32_e32 v0, 0
	s_waitcnt lgkmcnt(0)
	global_store_dword v0, v7, s[10:11]
.LBB644_124:
	s_or_b64 exec, exec, s[2:3]
                                        ; implicit-def: $vgpr0_vgpr1
                                        ; implicit-def: $vgpr6_vgpr7
                                        ; implicit-def: $vgpr2_vgpr3
.LBB644_125:
	s_andn2_saveexec_b64 s[0:1], s[0:1]
	s_cbranch_execz .LBB644_133
; %bb.126:
	v_cmp_lt_i64_e32 vcc, 1, v[0:1]
	s_and_saveexec_b64 s[0:1], vcc
	s_xor_b64 s[0:1], exec, s[0:1]
	s_cbranch_execz .LBB644_128
; %bb.127:
	v_mov_b32_e32 v0, 0
	s_waitcnt lgkmcnt(0)
	global_store_dword v0, v6, s[10:11]
                                        ; implicit-def: $vgpr2_vgpr3
                                        ; implicit-def: $vgpr0_vgpr1
.LBB644_128:
	s_andn2_saveexec_b64 s[0:1], s[0:1]
	s_cbranch_execz .LBB644_133
; %bb.129:
	v_cmp_ne_u64_e32 vcc, 1, v[0:1]
	s_and_saveexec_b64 s[0:1], vcc
	s_xor_b64 s[0:1], exec, s[0:1]
	s_cbranch_execz .LBB644_131
; %bb.130:
	v_mov_b32_e32 v0, 0
	s_waitcnt lgkmcnt(0)
	global_store_dword v0, v2, s[10:11]
                                        ; implicit-def: $vgpr2_vgpr3
.LBB644_131:
	s_andn2_saveexec_b64 s[0:1], s[0:1]
	s_cbranch_execz .LBB644_133
; %bb.132:
	v_mov_b32_e32 v0, 0
	s_waitcnt lgkmcnt(0)
	global_store_dword v0, v3, s[10:11]
.LBB644_133:
	s_endpgm
	.section	.rodata,"a",@progbits
	.p2align	6, 0x0
	.amdhsa_kernel _ZN7rocprim17ROCPRIM_400000_NS6detail17trampoline_kernelINS0_14default_configENS1_20scan_config_selectorIiEEZZNS1_9scan_implILNS1_25lookback_scan_determinismE0ELb0ELb1ES3_N6thrust23THRUST_200600_302600_NS6detail15normal_iteratorINS9_10device_ptrIiEEEESE_iNS9_10multipliesIiEEiEEDaPvRmT3_T4_T5_mT6_P12ihipStream_tbENKUlT_T0_E_clISt17integral_constantIbLb0EEST_IbLb1EEEEDaSP_SQ_EUlSP_E_NS1_11comp_targetILNS1_3genE4ELNS1_11target_archE910ELNS1_3gpuE8ELNS1_3repE0EEENS1_30default_config_static_selectorELNS0_4arch9wavefront6targetE1EEEvT1_
		.amdhsa_group_segment_fixed_size 5120
		.amdhsa_private_segment_fixed_size 0
		.amdhsa_kernarg_size 96
		.amdhsa_user_sgpr_count 6
		.amdhsa_user_sgpr_private_segment_buffer 1
		.amdhsa_user_sgpr_dispatch_ptr 0
		.amdhsa_user_sgpr_queue_ptr 0
		.amdhsa_user_sgpr_kernarg_segment_ptr 1
		.amdhsa_user_sgpr_dispatch_id 0
		.amdhsa_user_sgpr_flat_scratch_init 0
		.amdhsa_user_sgpr_kernarg_preload_length 0
		.amdhsa_user_sgpr_kernarg_preload_offset 0
		.amdhsa_user_sgpr_private_segment_size 0
		.amdhsa_uses_dynamic_stack 0
		.amdhsa_system_sgpr_private_segment_wavefront_offset 0
		.amdhsa_system_sgpr_workgroup_id_x 1
		.amdhsa_system_sgpr_workgroup_id_y 0
		.amdhsa_system_sgpr_workgroup_id_z 0
		.amdhsa_system_sgpr_workgroup_info 0
		.amdhsa_system_vgpr_workitem_id 0
		.amdhsa_next_free_vgpr 40
		.amdhsa_next_free_sgpr 38
		.amdhsa_accum_offset 40
		.amdhsa_reserve_vcc 1
		.amdhsa_reserve_flat_scratch 0
		.amdhsa_float_round_mode_32 0
		.amdhsa_float_round_mode_16_64 0
		.amdhsa_float_denorm_mode_32 3
		.amdhsa_float_denorm_mode_16_64 3
		.amdhsa_dx10_clamp 1
		.amdhsa_ieee_mode 1
		.amdhsa_fp16_overflow 0
		.amdhsa_tg_split 0
		.amdhsa_exception_fp_ieee_invalid_op 0
		.amdhsa_exception_fp_denorm_src 0
		.amdhsa_exception_fp_ieee_div_zero 0
		.amdhsa_exception_fp_ieee_overflow 0
		.amdhsa_exception_fp_ieee_underflow 0
		.amdhsa_exception_fp_ieee_inexact 0
		.amdhsa_exception_int_div_zero 0
	.end_amdhsa_kernel
	.section	.text._ZN7rocprim17ROCPRIM_400000_NS6detail17trampoline_kernelINS0_14default_configENS1_20scan_config_selectorIiEEZZNS1_9scan_implILNS1_25lookback_scan_determinismE0ELb0ELb1ES3_N6thrust23THRUST_200600_302600_NS6detail15normal_iteratorINS9_10device_ptrIiEEEESE_iNS9_10multipliesIiEEiEEDaPvRmT3_T4_T5_mT6_P12ihipStream_tbENKUlT_T0_E_clISt17integral_constantIbLb0EEST_IbLb1EEEEDaSP_SQ_EUlSP_E_NS1_11comp_targetILNS1_3genE4ELNS1_11target_archE910ELNS1_3gpuE8ELNS1_3repE0EEENS1_30default_config_static_selectorELNS0_4arch9wavefront6targetE1EEEvT1_,"axG",@progbits,_ZN7rocprim17ROCPRIM_400000_NS6detail17trampoline_kernelINS0_14default_configENS1_20scan_config_selectorIiEEZZNS1_9scan_implILNS1_25lookback_scan_determinismE0ELb0ELb1ES3_N6thrust23THRUST_200600_302600_NS6detail15normal_iteratorINS9_10device_ptrIiEEEESE_iNS9_10multipliesIiEEiEEDaPvRmT3_T4_T5_mT6_P12ihipStream_tbENKUlT_T0_E_clISt17integral_constantIbLb0EEST_IbLb1EEEEDaSP_SQ_EUlSP_E_NS1_11comp_targetILNS1_3genE4ELNS1_11target_archE910ELNS1_3gpuE8ELNS1_3repE0EEENS1_30default_config_static_selectorELNS0_4arch9wavefront6targetE1EEEvT1_,comdat
.Lfunc_end644:
	.size	_ZN7rocprim17ROCPRIM_400000_NS6detail17trampoline_kernelINS0_14default_configENS1_20scan_config_selectorIiEEZZNS1_9scan_implILNS1_25lookback_scan_determinismE0ELb0ELb1ES3_N6thrust23THRUST_200600_302600_NS6detail15normal_iteratorINS9_10device_ptrIiEEEESE_iNS9_10multipliesIiEEiEEDaPvRmT3_T4_T5_mT6_P12ihipStream_tbENKUlT_T0_E_clISt17integral_constantIbLb0EEST_IbLb1EEEEDaSP_SQ_EUlSP_E_NS1_11comp_targetILNS1_3genE4ELNS1_11target_archE910ELNS1_3gpuE8ELNS1_3repE0EEENS1_30default_config_static_selectorELNS0_4arch9wavefront6targetE1EEEvT1_, .Lfunc_end644-_ZN7rocprim17ROCPRIM_400000_NS6detail17trampoline_kernelINS0_14default_configENS1_20scan_config_selectorIiEEZZNS1_9scan_implILNS1_25lookback_scan_determinismE0ELb0ELb1ES3_N6thrust23THRUST_200600_302600_NS6detail15normal_iteratorINS9_10device_ptrIiEEEESE_iNS9_10multipliesIiEEiEEDaPvRmT3_T4_T5_mT6_P12ihipStream_tbENKUlT_T0_E_clISt17integral_constantIbLb0EEST_IbLb1EEEEDaSP_SQ_EUlSP_E_NS1_11comp_targetILNS1_3genE4ELNS1_11target_archE910ELNS1_3gpuE8ELNS1_3repE0EEENS1_30default_config_static_selectorELNS0_4arch9wavefront6targetE1EEEvT1_
                                        ; -- End function
	.section	.AMDGPU.csdata,"",@progbits
; Kernel info:
; codeLenInByte = 5496
; NumSgprs: 42
; NumVgprs: 40
; NumAgprs: 0
; TotalNumVgprs: 40
; ScratchSize: 0
; MemoryBound: 0
; FloatMode: 240
; IeeeMode: 1
; LDSByteSize: 5120 bytes/workgroup (compile time only)
; SGPRBlocks: 5
; VGPRBlocks: 4
; NumSGPRsForWavesPerEU: 42
; NumVGPRsForWavesPerEU: 40
; AccumOffset: 40
; Occupancy: 6
; WaveLimiterHint : 1
; COMPUTE_PGM_RSRC2:SCRATCH_EN: 0
; COMPUTE_PGM_RSRC2:USER_SGPR: 6
; COMPUTE_PGM_RSRC2:TRAP_HANDLER: 0
; COMPUTE_PGM_RSRC2:TGID_X_EN: 1
; COMPUTE_PGM_RSRC2:TGID_Y_EN: 0
; COMPUTE_PGM_RSRC2:TGID_Z_EN: 0
; COMPUTE_PGM_RSRC2:TIDIG_COMP_CNT: 0
; COMPUTE_PGM_RSRC3_GFX90A:ACCUM_OFFSET: 9
; COMPUTE_PGM_RSRC3_GFX90A:TG_SPLIT: 0
	.section	.text._ZN7rocprim17ROCPRIM_400000_NS6detail17trampoline_kernelINS0_14default_configENS1_20scan_config_selectorIiEEZZNS1_9scan_implILNS1_25lookback_scan_determinismE0ELb0ELb1ES3_N6thrust23THRUST_200600_302600_NS6detail15normal_iteratorINS9_10device_ptrIiEEEESE_iNS9_10multipliesIiEEiEEDaPvRmT3_T4_T5_mT6_P12ihipStream_tbENKUlT_T0_E_clISt17integral_constantIbLb0EEST_IbLb1EEEEDaSP_SQ_EUlSP_E_NS1_11comp_targetILNS1_3genE3ELNS1_11target_archE908ELNS1_3gpuE7ELNS1_3repE0EEENS1_30default_config_static_selectorELNS0_4arch9wavefront6targetE1EEEvT1_,"axG",@progbits,_ZN7rocprim17ROCPRIM_400000_NS6detail17trampoline_kernelINS0_14default_configENS1_20scan_config_selectorIiEEZZNS1_9scan_implILNS1_25lookback_scan_determinismE0ELb0ELb1ES3_N6thrust23THRUST_200600_302600_NS6detail15normal_iteratorINS9_10device_ptrIiEEEESE_iNS9_10multipliesIiEEiEEDaPvRmT3_T4_T5_mT6_P12ihipStream_tbENKUlT_T0_E_clISt17integral_constantIbLb0EEST_IbLb1EEEEDaSP_SQ_EUlSP_E_NS1_11comp_targetILNS1_3genE3ELNS1_11target_archE908ELNS1_3gpuE7ELNS1_3repE0EEENS1_30default_config_static_selectorELNS0_4arch9wavefront6targetE1EEEvT1_,comdat
	.protected	_ZN7rocprim17ROCPRIM_400000_NS6detail17trampoline_kernelINS0_14default_configENS1_20scan_config_selectorIiEEZZNS1_9scan_implILNS1_25lookback_scan_determinismE0ELb0ELb1ES3_N6thrust23THRUST_200600_302600_NS6detail15normal_iteratorINS9_10device_ptrIiEEEESE_iNS9_10multipliesIiEEiEEDaPvRmT3_T4_T5_mT6_P12ihipStream_tbENKUlT_T0_E_clISt17integral_constantIbLb0EEST_IbLb1EEEEDaSP_SQ_EUlSP_E_NS1_11comp_targetILNS1_3genE3ELNS1_11target_archE908ELNS1_3gpuE7ELNS1_3repE0EEENS1_30default_config_static_selectorELNS0_4arch9wavefront6targetE1EEEvT1_ ; -- Begin function _ZN7rocprim17ROCPRIM_400000_NS6detail17trampoline_kernelINS0_14default_configENS1_20scan_config_selectorIiEEZZNS1_9scan_implILNS1_25lookback_scan_determinismE0ELb0ELb1ES3_N6thrust23THRUST_200600_302600_NS6detail15normal_iteratorINS9_10device_ptrIiEEEESE_iNS9_10multipliesIiEEiEEDaPvRmT3_T4_T5_mT6_P12ihipStream_tbENKUlT_T0_E_clISt17integral_constantIbLb0EEST_IbLb1EEEEDaSP_SQ_EUlSP_E_NS1_11comp_targetILNS1_3genE3ELNS1_11target_archE908ELNS1_3gpuE7ELNS1_3repE0EEENS1_30default_config_static_selectorELNS0_4arch9wavefront6targetE1EEEvT1_
	.globl	_ZN7rocprim17ROCPRIM_400000_NS6detail17trampoline_kernelINS0_14default_configENS1_20scan_config_selectorIiEEZZNS1_9scan_implILNS1_25lookback_scan_determinismE0ELb0ELb1ES3_N6thrust23THRUST_200600_302600_NS6detail15normal_iteratorINS9_10device_ptrIiEEEESE_iNS9_10multipliesIiEEiEEDaPvRmT3_T4_T5_mT6_P12ihipStream_tbENKUlT_T0_E_clISt17integral_constantIbLb0EEST_IbLb1EEEEDaSP_SQ_EUlSP_E_NS1_11comp_targetILNS1_3genE3ELNS1_11target_archE908ELNS1_3gpuE7ELNS1_3repE0EEENS1_30default_config_static_selectorELNS0_4arch9wavefront6targetE1EEEvT1_
	.p2align	8
	.type	_ZN7rocprim17ROCPRIM_400000_NS6detail17trampoline_kernelINS0_14default_configENS1_20scan_config_selectorIiEEZZNS1_9scan_implILNS1_25lookback_scan_determinismE0ELb0ELb1ES3_N6thrust23THRUST_200600_302600_NS6detail15normal_iteratorINS9_10device_ptrIiEEEESE_iNS9_10multipliesIiEEiEEDaPvRmT3_T4_T5_mT6_P12ihipStream_tbENKUlT_T0_E_clISt17integral_constantIbLb0EEST_IbLb1EEEEDaSP_SQ_EUlSP_E_NS1_11comp_targetILNS1_3genE3ELNS1_11target_archE908ELNS1_3gpuE7ELNS1_3repE0EEENS1_30default_config_static_selectorELNS0_4arch9wavefront6targetE1EEEvT1_,@function
_ZN7rocprim17ROCPRIM_400000_NS6detail17trampoline_kernelINS0_14default_configENS1_20scan_config_selectorIiEEZZNS1_9scan_implILNS1_25lookback_scan_determinismE0ELb0ELb1ES3_N6thrust23THRUST_200600_302600_NS6detail15normal_iteratorINS9_10device_ptrIiEEEESE_iNS9_10multipliesIiEEiEEDaPvRmT3_T4_T5_mT6_P12ihipStream_tbENKUlT_T0_E_clISt17integral_constantIbLb0EEST_IbLb1EEEEDaSP_SQ_EUlSP_E_NS1_11comp_targetILNS1_3genE3ELNS1_11target_archE908ELNS1_3gpuE7ELNS1_3repE0EEENS1_30default_config_static_selectorELNS0_4arch9wavefront6targetE1EEEvT1_: ; @_ZN7rocprim17ROCPRIM_400000_NS6detail17trampoline_kernelINS0_14default_configENS1_20scan_config_selectorIiEEZZNS1_9scan_implILNS1_25lookback_scan_determinismE0ELb0ELb1ES3_N6thrust23THRUST_200600_302600_NS6detail15normal_iteratorINS9_10device_ptrIiEEEESE_iNS9_10multipliesIiEEiEEDaPvRmT3_T4_T5_mT6_P12ihipStream_tbENKUlT_T0_E_clISt17integral_constantIbLb0EEST_IbLb1EEEEDaSP_SQ_EUlSP_E_NS1_11comp_targetILNS1_3genE3ELNS1_11target_archE908ELNS1_3gpuE7ELNS1_3repE0EEENS1_30default_config_static_selectorELNS0_4arch9wavefront6targetE1EEEvT1_
; %bb.0:
	.section	.rodata,"a",@progbits
	.p2align	6, 0x0
	.amdhsa_kernel _ZN7rocprim17ROCPRIM_400000_NS6detail17trampoline_kernelINS0_14default_configENS1_20scan_config_selectorIiEEZZNS1_9scan_implILNS1_25lookback_scan_determinismE0ELb0ELb1ES3_N6thrust23THRUST_200600_302600_NS6detail15normal_iteratorINS9_10device_ptrIiEEEESE_iNS9_10multipliesIiEEiEEDaPvRmT3_T4_T5_mT6_P12ihipStream_tbENKUlT_T0_E_clISt17integral_constantIbLb0EEST_IbLb1EEEEDaSP_SQ_EUlSP_E_NS1_11comp_targetILNS1_3genE3ELNS1_11target_archE908ELNS1_3gpuE7ELNS1_3repE0EEENS1_30default_config_static_selectorELNS0_4arch9wavefront6targetE1EEEvT1_
		.amdhsa_group_segment_fixed_size 0
		.amdhsa_private_segment_fixed_size 0
		.amdhsa_kernarg_size 96
		.amdhsa_user_sgpr_count 6
		.amdhsa_user_sgpr_private_segment_buffer 1
		.amdhsa_user_sgpr_dispatch_ptr 0
		.amdhsa_user_sgpr_queue_ptr 0
		.amdhsa_user_sgpr_kernarg_segment_ptr 1
		.amdhsa_user_sgpr_dispatch_id 0
		.amdhsa_user_sgpr_flat_scratch_init 0
		.amdhsa_user_sgpr_kernarg_preload_length 0
		.amdhsa_user_sgpr_kernarg_preload_offset 0
		.amdhsa_user_sgpr_private_segment_size 0
		.amdhsa_uses_dynamic_stack 0
		.amdhsa_system_sgpr_private_segment_wavefront_offset 0
		.amdhsa_system_sgpr_workgroup_id_x 1
		.amdhsa_system_sgpr_workgroup_id_y 0
		.amdhsa_system_sgpr_workgroup_id_z 0
		.amdhsa_system_sgpr_workgroup_info 0
		.amdhsa_system_vgpr_workitem_id 0
		.amdhsa_next_free_vgpr 1
		.amdhsa_next_free_sgpr 0
		.amdhsa_accum_offset 4
		.amdhsa_reserve_vcc 0
		.amdhsa_reserve_flat_scratch 0
		.amdhsa_float_round_mode_32 0
		.amdhsa_float_round_mode_16_64 0
		.amdhsa_float_denorm_mode_32 3
		.amdhsa_float_denorm_mode_16_64 3
		.amdhsa_dx10_clamp 1
		.amdhsa_ieee_mode 1
		.amdhsa_fp16_overflow 0
		.amdhsa_tg_split 0
		.amdhsa_exception_fp_ieee_invalid_op 0
		.amdhsa_exception_fp_denorm_src 0
		.amdhsa_exception_fp_ieee_div_zero 0
		.amdhsa_exception_fp_ieee_overflow 0
		.amdhsa_exception_fp_ieee_underflow 0
		.amdhsa_exception_fp_ieee_inexact 0
		.amdhsa_exception_int_div_zero 0
	.end_amdhsa_kernel
	.section	.text._ZN7rocprim17ROCPRIM_400000_NS6detail17trampoline_kernelINS0_14default_configENS1_20scan_config_selectorIiEEZZNS1_9scan_implILNS1_25lookback_scan_determinismE0ELb0ELb1ES3_N6thrust23THRUST_200600_302600_NS6detail15normal_iteratorINS9_10device_ptrIiEEEESE_iNS9_10multipliesIiEEiEEDaPvRmT3_T4_T5_mT6_P12ihipStream_tbENKUlT_T0_E_clISt17integral_constantIbLb0EEST_IbLb1EEEEDaSP_SQ_EUlSP_E_NS1_11comp_targetILNS1_3genE3ELNS1_11target_archE908ELNS1_3gpuE7ELNS1_3repE0EEENS1_30default_config_static_selectorELNS0_4arch9wavefront6targetE1EEEvT1_,"axG",@progbits,_ZN7rocprim17ROCPRIM_400000_NS6detail17trampoline_kernelINS0_14default_configENS1_20scan_config_selectorIiEEZZNS1_9scan_implILNS1_25lookback_scan_determinismE0ELb0ELb1ES3_N6thrust23THRUST_200600_302600_NS6detail15normal_iteratorINS9_10device_ptrIiEEEESE_iNS9_10multipliesIiEEiEEDaPvRmT3_T4_T5_mT6_P12ihipStream_tbENKUlT_T0_E_clISt17integral_constantIbLb0EEST_IbLb1EEEEDaSP_SQ_EUlSP_E_NS1_11comp_targetILNS1_3genE3ELNS1_11target_archE908ELNS1_3gpuE7ELNS1_3repE0EEENS1_30default_config_static_selectorELNS0_4arch9wavefront6targetE1EEEvT1_,comdat
.Lfunc_end645:
	.size	_ZN7rocprim17ROCPRIM_400000_NS6detail17trampoline_kernelINS0_14default_configENS1_20scan_config_selectorIiEEZZNS1_9scan_implILNS1_25lookback_scan_determinismE0ELb0ELb1ES3_N6thrust23THRUST_200600_302600_NS6detail15normal_iteratorINS9_10device_ptrIiEEEESE_iNS9_10multipliesIiEEiEEDaPvRmT3_T4_T5_mT6_P12ihipStream_tbENKUlT_T0_E_clISt17integral_constantIbLb0EEST_IbLb1EEEEDaSP_SQ_EUlSP_E_NS1_11comp_targetILNS1_3genE3ELNS1_11target_archE908ELNS1_3gpuE7ELNS1_3repE0EEENS1_30default_config_static_selectorELNS0_4arch9wavefront6targetE1EEEvT1_, .Lfunc_end645-_ZN7rocprim17ROCPRIM_400000_NS6detail17trampoline_kernelINS0_14default_configENS1_20scan_config_selectorIiEEZZNS1_9scan_implILNS1_25lookback_scan_determinismE0ELb0ELb1ES3_N6thrust23THRUST_200600_302600_NS6detail15normal_iteratorINS9_10device_ptrIiEEEESE_iNS9_10multipliesIiEEiEEDaPvRmT3_T4_T5_mT6_P12ihipStream_tbENKUlT_T0_E_clISt17integral_constantIbLb0EEST_IbLb1EEEEDaSP_SQ_EUlSP_E_NS1_11comp_targetILNS1_3genE3ELNS1_11target_archE908ELNS1_3gpuE7ELNS1_3repE0EEENS1_30default_config_static_selectorELNS0_4arch9wavefront6targetE1EEEvT1_
                                        ; -- End function
	.section	.AMDGPU.csdata,"",@progbits
; Kernel info:
; codeLenInByte = 0
; NumSgprs: 4
; NumVgprs: 0
; NumAgprs: 0
; TotalNumVgprs: 0
; ScratchSize: 0
; MemoryBound: 0
; FloatMode: 240
; IeeeMode: 1
; LDSByteSize: 0 bytes/workgroup (compile time only)
; SGPRBlocks: 0
; VGPRBlocks: 0
; NumSGPRsForWavesPerEU: 4
; NumVGPRsForWavesPerEU: 1
; AccumOffset: 4
; Occupancy: 8
; WaveLimiterHint : 0
; COMPUTE_PGM_RSRC2:SCRATCH_EN: 0
; COMPUTE_PGM_RSRC2:USER_SGPR: 6
; COMPUTE_PGM_RSRC2:TRAP_HANDLER: 0
; COMPUTE_PGM_RSRC2:TGID_X_EN: 1
; COMPUTE_PGM_RSRC2:TGID_Y_EN: 0
; COMPUTE_PGM_RSRC2:TGID_Z_EN: 0
; COMPUTE_PGM_RSRC2:TIDIG_COMP_CNT: 0
; COMPUTE_PGM_RSRC3_GFX90A:ACCUM_OFFSET: 0
; COMPUTE_PGM_RSRC3_GFX90A:TG_SPLIT: 0
	.section	.text._ZN7rocprim17ROCPRIM_400000_NS6detail17trampoline_kernelINS0_14default_configENS1_20scan_config_selectorIiEEZZNS1_9scan_implILNS1_25lookback_scan_determinismE0ELb0ELb1ES3_N6thrust23THRUST_200600_302600_NS6detail15normal_iteratorINS9_10device_ptrIiEEEESE_iNS9_10multipliesIiEEiEEDaPvRmT3_T4_T5_mT6_P12ihipStream_tbENKUlT_T0_E_clISt17integral_constantIbLb0EEST_IbLb1EEEEDaSP_SQ_EUlSP_E_NS1_11comp_targetILNS1_3genE2ELNS1_11target_archE906ELNS1_3gpuE6ELNS1_3repE0EEENS1_30default_config_static_selectorELNS0_4arch9wavefront6targetE1EEEvT1_,"axG",@progbits,_ZN7rocprim17ROCPRIM_400000_NS6detail17trampoline_kernelINS0_14default_configENS1_20scan_config_selectorIiEEZZNS1_9scan_implILNS1_25lookback_scan_determinismE0ELb0ELb1ES3_N6thrust23THRUST_200600_302600_NS6detail15normal_iteratorINS9_10device_ptrIiEEEESE_iNS9_10multipliesIiEEiEEDaPvRmT3_T4_T5_mT6_P12ihipStream_tbENKUlT_T0_E_clISt17integral_constantIbLb0EEST_IbLb1EEEEDaSP_SQ_EUlSP_E_NS1_11comp_targetILNS1_3genE2ELNS1_11target_archE906ELNS1_3gpuE6ELNS1_3repE0EEENS1_30default_config_static_selectorELNS0_4arch9wavefront6targetE1EEEvT1_,comdat
	.protected	_ZN7rocprim17ROCPRIM_400000_NS6detail17trampoline_kernelINS0_14default_configENS1_20scan_config_selectorIiEEZZNS1_9scan_implILNS1_25lookback_scan_determinismE0ELb0ELb1ES3_N6thrust23THRUST_200600_302600_NS6detail15normal_iteratorINS9_10device_ptrIiEEEESE_iNS9_10multipliesIiEEiEEDaPvRmT3_T4_T5_mT6_P12ihipStream_tbENKUlT_T0_E_clISt17integral_constantIbLb0EEST_IbLb1EEEEDaSP_SQ_EUlSP_E_NS1_11comp_targetILNS1_3genE2ELNS1_11target_archE906ELNS1_3gpuE6ELNS1_3repE0EEENS1_30default_config_static_selectorELNS0_4arch9wavefront6targetE1EEEvT1_ ; -- Begin function _ZN7rocprim17ROCPRIM_400000_NS6detail17trampoline_kernelINS0_14default_configENS1_20scan_config_selectorIiEEZZNS1_9scan_implILNS1_25lookback_scan_determinismE0ELb0ELb1ES3_N6thrust23THRUST_200600_302600_NS6detail15normal_iteratorINS9_10device_ptrIiEEEESE_iNS9_10multipliesIiEEiEEDaPvRmT3_T4_T5_mT6_P12ihipStream_tbENKUlT_T0_E_clISt17integral_constantIbLb0EEST_IbLb1EEEEDaSP_SQ_EUlSP_E_NS1_11comp_targetILNS1_3genE2ELNS1_11target_archE906ELNS1_3gpuE6ELNS1_3repE0EEENS1_30default_config_static_selectorELNS0_4arch9wavefront6targetE1EEEvT1_
	.globl	_ZN7rocprim17ROCPRIM_400000_NS6detail17trampoline_kernelINS0_14default_configENS1_20scan_config_selectorIiEEZZNS1_9scan_implILNS1_25lookback_scan_determinismE0ELb0ELb1ES3_N6thrust23THRUST_200600_302600_NS6detail15normal_iteratorINS9_10device_ptrIiEEEESE_iNS9_10multipliesIiEEiEEDaPvRmT3_T4_T5_mT6_P12ihipStream_tbENKUlT_T0_E_clISt17integral_constantIbLb0EEST_IbLb1EEEEDaSP_SQ_EUlSP_E_NS1_11comp_targetILNS1_3genE2ELNS1_11target_archE906ELNS1_3gpuE6ELNS1_3repE0EEENS1_30default_config_static_selectorELNS0_4arch9wavefront6targetE1EEEvT1_
	.p2align	8
	.type	_ZN7rocprim17ROCPRIM_400000_NS6detail17trampoline_kernelINS0_14default_configENS1_20scan_config_selectorIiEEZZNS1_9scan_implILNS1_25lookback_scan_determinismE0ELb0ELb1ES3_N6thrust23THRUST_200600_302600_NS6detail15normal_iteratorINS9_10device_ptrIiEEEESE_iNS9_10multipliesIiEEiEEDaPvRmT3_T4_T5_mT6_P12ihipStream_tbENKUlT_T0_E_clISt17integral_constantIbLb0EEST_IbLb1EEEEDaSP_SQ_EUlSP_E_NS1_11comp_targetILNS1_3genE2ELNS1_11target_archE906ELNS1_3gpuE6ELNS1_3repE0EEENS1_30default_config_static_selectorELNS0_4arch9wavefront6targetE1EEEvT1_,@function
_ZN7rocprim17ROCPRIM_400000_NS6detail17trampoline_kernelINS0_14default_configENS1_20scan_config_selectorIiEEZZNS1_9scan_implILNS1_25lookback_scan_determinismE0ELb0ELb1ES3_N6thrust23THRUST_200600_302600_NS6detail15normal_iteratorINS9_10device_ptrIiEEEESE_iNS9_10multipliesIiEEiEEDaPvRmT3_T4_T5_mT6_P12ihipStream_tbENKUlT_T0_E_clISt17integral_constantIbLb0EEST_IbLb1EEEEDaSP_SQ_EUlSP_E_NS1_11comp_targetILNS1_3genE2ELNS1_11target_archE906ELNS1_3gpuE6ELNS1_3repE0EEENS1_30default_config_static_selectorELNS0_4arch9wavefront6targetE1EEEvT1_: ; @_ZN7rocprim17ROCPRIM_400000_NS6detail17trampoline_kernelINS0_14default_configENS1_20scan_config_selectorIiEEZZNS1_9scan_implILNS1_25lookback_scan_determinismE0ELb0ELb1ES3_N6thrust23THRUST_200600_302600_NS6detail15normal_iteratorINS9_10device_ptrIiEEEESE_iNS9_10multipliesIiEEiEEDaPvRmT3_T4_T5_mT6_P12ihipStream_tbENKUlT_T0_E_clISt17integral_constantIbLb0EEST_IbLb1EEEEDaSP_SQ_EUlSP_E_NS1_11comp_targetILNS1_3genE2ELNS1_11target_archE906ELNS1_3gpuE6ELNS1_3repE0EEENS1_30default_config_static_selectorELNS0_4arch9wavefront6targetE1EEEvT1_
; %bb.0:
	.section	.rodata,"a",@progbits
	.p2align	6, 0x0
	.amdhsa_kernel _ZN7rocprim17ROCPRIM_400000_NS6detail17trampoline_kernelINS0_14default_configENS1_20scan_config_selectorIiEEZZNS1_9scan_implILNS1_25lookback_scan_determinismE0ELb0ELb1ES3_N6thrust23THRUST_200600_302600_NS6detail15normal_iteratorINS9_10device_ptrIiEEEESE_iNS9_10multipliesIiEEiEEDaPvRmT3_T4_T5_mT6_P12ihipStream_tbENKUlT_T0_E_clISt17integral_constantIbLb0EEST_IbLb1EEEEDaSP_SQ_EUlSP_E_NS1_11comp_targetILNS1_3genE2ELNS1_11target_archE906ELNS1_3gpuE6ELNS1_3repE0EEENS1_30default_config_static_selectorELNS0_4arch9wavefront6targetE1EEEvT1_
		.amdhsa_group_segment_fixed_size 0
		.amdhsa_private_segment_fixed_size 0
		.amdhsa_kernarg_size 96
		.amdhsa_user_sgpr_count 6
		.amdhsa_user_sgpr_private_segment_buffer 1
		.amdhsa_user_sgpr_dispatch_ptr 0
		.amdhsa_user_sgpr_queue_ptr 0
		.amdhsa_user_sgpr_kernarg_segment_ptr 1
		.amdhsa_user_sgpr_dispatch_id 0
		.amdhsa_user_sgpr_flat_scratch_init 0
		.amdhsa_user_sgpr_kernarg_preload_length 0
		.amdhsa_user_sgpr_kernarg_preload_offset 0
		.amdhsa_user_sgpr_private_segment_size 0
		.amdhsa_uses_dynamic_stack 0
		.amdhsa_system_sgpr_private_segment_wavefront_offset 0
		.amdhsa_system_sgpr_workgroup_id_x 1
		.amdhsa_system_sgpr_workgroup_id_y 0
		.amdhsa_system_sgpr_workgroup_id_z 0
		.amdhsa_system_sgpr_workgroup_info 0
		.amdhsa_system_vgpr_workitem_id 0
		.amdhsa_next_free_vgpr 1
		.amdhsa_next_free_sgpr 0
		.amdhsa_accum_offset 4
		.amdhsa_reserve_vcc 0
		.amdhsa_reserve_flat_scratch 0
		.amdhsa_float_round_mode_32 0
		.amdhsa_float_round_mode_16_64 0
		.amdhsa_float_denorm_mode_32 3
		.amdhsa_float_denorm_mode_16_64 3
		.amdhsa_dx10_clamp 1
		.amdhsa_ieee_mode 1
		.amdhsa_fp16_overflow 0
		.amdhsa_tg_split 0
		.amdhsa_exception_fp_ieee_invalid_op 0
		.amdhsa_exception_fp_denorm_src 0
		.amdhsa_exception_fp_ieee_div_zero 0
		.amdhsa_exception_fp_ieee_overflow 0
		.amdhsa_exception_fp_ieee_underflow 0
		.amdhsa_exception_fp_ieee_inexact 0
		.amdhsa_exception_int_div_zero 0
	.end_amdhsa_kernel
	.section	.text._ZN7rocprim17ROCPRIM_400000_NS6detail17trampoline_kernelINS0_14default_configENS1_20scan_config_selectorIiEEZZNS1_9scan_implILNS1_25lookback_scan_determinismE0ELb0ELb1ES3_N6thrust23THRUST_200600_302600_NS6detail15normal_iteratorINS9_10device_ptrIiEEEESE_iNS9_10multipliesIiEEiEEDaPvRmT3_T4_T5_mT6_P12ihipStream_tbENKUlT_T0_E_clISt17integral_constantIbLb0EEST_IbLb1EEEEDaSP_SQ_EUlSP_E_NS1_11comp_targetILNS1_3genE2ELNS1_11target_archE906ELNS1_3gpuE6ELNS1_3repE0EEENS1_30default_config_static_selectorELNS0_4arch9wavefront6targetE1EEEvT1_,"axG",@progbits,_ZN7rocprim17ROCPRIM_400000_NS6detail17trampoline_kernelINS0_14default_configENS1_20scan_config_selectorIiEEZZNS1_9scan_implILNS1_25lookback_scan_determinismE0ELb0ELb1ES3_N6thrust23THRUST_200600_302600_NS6detail15normal_iteratorINS9_10device_ptrIiEEEESE_iNS9_10multipliesIiEEiEEDaPvRmT3_T4_T5_mT6_P12ihipStream_tbENKUlT_T0_E_clISt17integral_constantIbLb0EEST_IbLb1EEEEDaSP_SQ_EUlSP_E_NS1_11comp_targetILNS1_3genE2ELNS1_11target_archE906ELNS1_3gpuE6ELNS1_3repE0EEENS1_30default_config_static_selectorELNS0_4arch9wavefront6targetE1EEEvT1_,comdat
.Lfunc_end646:
	.size	_ZN7rocprim17ROCPRIM_400000_NS6detail17trampoline_kernelINS0_14default_configENS1_20scan_config_selectorIiEEZZNS1_9scan_implILNS1_25lookback_scan_determinismE0ELb0ELb1ES3_N6thrust23THRUST_200600_302600_NS6detail15normal_iteratorINS9_10device_ptrIiEEEESE_iNS9_10multipliesIiEEiEEDaPvRmT3_T4_T5_mT6_P12ihipStream_tbENKUlT_T0_E_clISt17integral_constantIbLb0EEST_IbLb1EEEEDaSP_SQ_EUlSP_E_NS1_11comp_targetILNS1_3genE2ELNS1_11target_archE906ELNS1_3gpuE6ELNS1_3repE0EEENS1_30default_config_static_selectorELNS0_4arch9wavefront6targetE1EEEvT1_, .Lfunc_end646-_ZN7rocprim17ROCPRIM_400000_NS6detail17trampoline_kernelINS0_14default_configENS1_20scan_config_selectorIiEEZZNS1_9scan_implILNS1_25lookback_scan_determinismE0ELb0ELb1ES3_N6thrust23THRUST_200600_302600_NS6detail15normal_iteratorINS9_10device_ptrIiEEEESE_iNS9_10multipliesIiEEiEEDaPvRmT3_T4_T5_mT6_P12ihipStream_tbENKUlT_T0_E_clISt17integral_constantIbLb0EEST_IbLb1EEEEDaSP_SQ_EUlSP_E_NS1_11comp_targetILNS1_3genE2ELNS1_11target_archE906ELNS1_3gpuE6ELNS1_3repE0EEENS1_30default_config_static_selectorELNS0_4arch9wavefront6targetE1EEEvT1_
                                        ; -- End function
	.section	.AMDGPU.csdata,"",@progbits
; Kernel info:
; codeLenInByte = 0
; NumSgprs: 4
; NumVgprs: 0
; NumAgprs: 0
; TotalNumVgprs: 0
; ScratchSize: 0
; MemoryBound: 0
; FloatMode: 240
; IeeeMode: 1
; LDSByteSize: 0 bytes/workgroup (compile time only)
; SGPRBlocks: 0
; VGPRBlocks: 0
; NumSGPRsForWavesPerEU: 4
; NumVGPRsForWavesPerEU: 1
; AccumOffset: 4
; Occupancy: 8
; WaveLimiterHint : 0
; COMPUTE_PGM_RSRC2:SCRATCH_EN: 0
; COMPUTE_PGM_RSRC2:USER_SGPR: 6
; COMPUTE_PGM_RSRC2:TRAP_HANDLER: 0
; COMPUTE_PGM_RSRC2:TGID_X_EN: 1
; COMPUTE_PGM_RSRC2:TGID_Y_EN: 0
; COMPUTE_PGM_RSRC2:TGID_Z_EN: 0
; COMPUTE_PGM_RSRC2:TIDIG_COMP_CNT: 0
; COMPUTE_PGM_RSRC3_GFX90A:ACCUM_OFFSET: 0
; COMPUTE_PGM_RSRC3_GFX90A:TG_SPLIT: 0
	.section	.text._ZN7rocprim17ROCPRIM_400000_NS6detail17trampoline_kernelINS0_14default_configENS1_20scan_config_selectorIiEEZZNS1_9scan_implILNS1_25lookback_scan_determinismE0ELb0ELb1ES3_N6thrust23THRUST_200600_302600_NS6detail15normal_iteratorINS9_10device_ptrIiEEEESE_iNS9_10multipliesIiEEiEEDaPvRmT3_T4_T5_mT6_P12ihipStream_tbENKUlT_T0_E_clISt17integral_constantIbLb0EEST_IbLb1EEEEDaSP_SQ_EUlSP_E_NS1_11comp_targetILNS1_3genE10ELNS1_11target_archE1201ELNS1_3gpuE5ELNS1_3repE0EEENS1_30default_config_static_selectorELNS0_4arch9wavefront6targetE1EEEvT1_,"axG",@progbits,_ZN7rocprim17ROCPRIM_400000_NS6detail17trampoline_kernelINS0_14default_configENS1_20scan_config_selectorIiEEZZNS1_9scan_implILNS1_25lookback_scan_determinismE0ELb0ELb1ES3_N6thrust23THRUST_200600_302600_NS6detail15normal_iteratorINS9_10device_ptrIiEEEESE_iNS9_10multipliesIiEEiEEDaPvRmT3_T4_T5_mT6_P12ihipStream_tbENKUlT_T0_E_clISt17integral_constantIbLb0EEST_IbLb1EEEEDaSP_SQ_EUlSP_E_NS1_11comp_targetILNS1_3genE10ELNS1_11target_archE1201ELNS1_3gpuE5ELNS1_3repE0EEENS1_30default_config_static_selectorELNS0_4arch9wavefront6targetE1EEEvT1_,comdat
	.protected	_ZN7rocprim17ROCPRIM_400000_NS6detail17trampoline_kernelINS0_14default_configENS1_20scan_config_selectorIiEEZZNS1_9scan_implILNS1_25lookback_scan_determinismE0ELb0ELb1ES3_N6thrust23THRUST_200600_302600_NS6detail15normal_iteratorINS9_10device_ptrIiEEEESE_iNS9_10multipliesIiEEiEEDaPvRmT3_T4_T5_mT6_P12ihipStream_tbENKUlT_T0_E_clISt17integral_constantIbLb0EEST_IbLb1EEEEDaSP_SQ_EUlSP_E_NS1_11comp_targetILNS1_3genE10ELNS1_11target_archE1201ELNS1_3gpuE5ELNS1_3repE0EEENS1_30default_config_static_selectorELNS0_4arch9wavefront6targetE1EEEvT1_ ; -- Begin function _ZN7rocprim17ROCPRIM_400000_NS6detail17trampoline_kernelINS0_14default_configENS1_20scan_config_selectorIiEEZZNS1_9scan_implILNS1_25lookback_scan_determinismE0ELb0ELb1ES3_N6thrust23THRUST_200600_302600_NS6detail15normal_iteratorINS9_10device_ptrIiEEEESE_iNS9_10multipliesIiEEiEEDaPvRmT3_T4_T5_mT6_P12ihipStream_tbENKUlT_T0_E_clISt17integral_constantIbLb0EEST_IbLb1EEEEDaSP_SQ_EUlSP_E_NS1_11comp_targetILNS1_3genE10ELNS1_11target_archE1201ELNS1_3gpuE5ELNS1_3repE0EEENS1_30default_config_static_selectorELNS0_4arch9wavefront6targetE1EEEvT1_
	.globl	_ZN7rocprim17ROCPRIM_400000_NS6detail17trampoline_kernelINS0_14default_configENS1_20scan_config_selectorIiEEZZNS1_9scan_implILNS1_25lookback_scan_determinismE0ELb0ELb1ES3_N6thrust23THRUST_200600_302600_NS6detail15normal_iteratorINS9_10device_ptrIiEEEESE_iNS9_10multipliesIiEEiEEDaPvRmT3_T4_T5_mT6_P12ihipStream_tbENKUlT_T0_E_clISt17integral_constantIbLb0EEST_IbLb1EEEEDaSP_SQ_EUlSP_E_NS1_11comp_targetILNS1_3genE10ELNS1_11target_archE1201ELNS1_3gpuE5ELNS1_3repE0EEENS1_30default_config_static_selectorELNS0_4arch9wavefront6targetE1EEEvT1_
	.p2align	8
	.type	_ZN7rocprim17ROCPRIM_400000_NS6detail17trampoline_kernelINS0_14default_configENS1_20scan_config_selectorIiEEZZNS1_9scan_implILNS1_25lookback_scan_determinismE0ELb0ELb1ES3_N6thrust23THRUST_200600_302600_NS6detail15normal_iteratorINS9_10device_ptrIiEEEESE_iNS9_10multipliesIiEEiEEDaPvRmT3_T4_T5_mT6_P12ihipStream_tbENKUlT_T0_E_clISt17integral_constantIbLb0EEST_IbLb1EEEEDaSP_SQ_EUlSP_E_NS1_11comp_targetILNS1_3genE10ELNS1_11target_archE1201ELNS1_3gpuE5ELNS1_3repE0EEENS1_30default_config_static_selectorELNS0_4arch9wavefront6targetE1EEEvT1_,@function
_ZN7rocprim17ROCPRIM_400000_NS6detail17trampoline_kernelINS0_14default_configENS1_20scan_config_selectorIiEEZZNS1_9scan_implILNS1_25lookback_scan_determinismE0ELb0ELb1ES3_N6thrust23THRUST_200600_302600_NS6detail15normal_iteratorINS9_10device_ptrIiEEEESE_iNS9_10multipliesIiEEiEEDaPvRmT3_T4_T5_mT6_P12ihipStream_tbENKUlT_T0_E_clISt17integral_constantIbLb0EEST_IbLb1EEEEDaSP_SQ_EUlSP_E_NS1_11comp_targetILNS1_3genE10ELNS1_11target_archE1201ELNS1_3gpuE5ELNS1_3repE0EEENS1_30default_config_static_selectorELNS0_4arch9wavefront6targetE1EEEvT1_: ; @_ZN7rocprim17ROCPRIM_400000_NS6detail17trampoline_kernelINS0_14default_configENS1_20scan_config_selectorIiEEZZNS1_9scan_implILNS1_25lookback_scan_determinismE0ELb0ELb1ES3_N6thrust23THRUST_200600_302600_NS6detail15normal_iteratorINS9_10device_ptrIiEEEESE_iNS9_10multipliesIiEEiEEDaPvRmT3_T4_T5_mT6_P12ihipStream_tbENKUlT_T0_E_clISt17integral_constantIbLb0EEST_IbLb1EEEEDaSP_SQ_EUlSP_E_NS1_11comp_targetILNS1_3genE10ELNS1_11target_archE1201ELNS1_3gpuE5ELNS1_3repE0EEENS1_30default_config_static_selectorELNS0_4arch9wavefront6targetE1EEEvT1_
; %bb.0:
	.section	.rodata,"a",@progbits
	.p2align	6, 0x0
	.amdhsa_kernel _ZN7rocprim17ROCPRIM_400000_NS6detail17trampoline_kernelINS0_14default_configENS1_20scan_config_selectorIiEEZZNS1_9scan_implILNS1_25lookback_scan_determinismE0ELb0ELb1ES3_N6thrust23THRUST_200600_302600_NS6detail15normal_iteratorINS9_10device_ptrIiEEEESE_iNS9_10multipliesIiEEiEEDaPvRmT3_T4_T5_mT6_P12ihipStream_tbENKUlT_T0_E_clISt17integral_constantIbLb0EEST_IbLb1EEEEDaSP_SQ_EUlSP_E_NS1_11comp_targetILNS1_3genE10ELNS1_11target_archE1201ELNS1_3gpuE5ELNS1_3repE0EEENS1_30default_config_static_selectorELNS0_4arch9wavefront6targetE1EEEvT1_
		.amdhsa_group_segment_fixed_size 0
		.amdhsa_private_segment_fixed_size 0
		.amdhsa_kernarg_size 96
		.amdhsa_user_sgpr_count 6
		.amdhsa_user_sgpr_private_segment_buffer 1
		.amdhsa_user_sgpr_dispatch_ptr 0
		.amdhsa_user_sgpr_queue_ptr 0
		.amdhsa_user_sgpr_kernarg_segment_ptr 1
		.amdhsa_user_sgpr_dispatch_id 0
		.amdhsa_user_sgpr_flat_scratch_init 0
		.amdhsa_user_sgpr_kernarg_preload_length 0
		.amdhsa_user_sgpr_kernarg_preload_offset 0
		.amdhsa_user_sgpr_private_segment_size 0
		.amdhsa_uses_dynamic_stack 0
		.amdhsa_system_sgpr_private_segment_wavefront_offset 0
		.amdhsa_system_sgpr_workgroup_id_x 1
		.amdhsa_system_sgpr_workgroup_id_y 0
		.amdhsa_system_sgpr_workgroup_id_z 0
		.amdhsa_system_sgpr_workgroup_info 0
		.amdhsa_system_vgpr_workitem_id 0
		.amdhsa_next_free_vgpr 1
		.amdhsa_next_free_sgpr 0
		.amdhsa_accum_offset 4
		.amdhsa_reserve_vcc 0
		.amdhsa_reserve_flat_scratch 0
		.amdhsa_float_round_mode_32 0
		.amdhsa_float_round_mode_16_64 0
		.amdhsa_float_denorm_mode_32 3
		.amdhsa_float_denorm_mode_16_64 3
		.amdhsa_dx10_clamp 1
		.amdhsa_ieee_mode 1
		.amdhsa_fp16_overflow 0
		.amdhsa_tg_split 0
		.amdhsa_exception_fp_ieee_invalid_op 0
		.amdhsa_exception_fp_denorm_src 0
		.amdhsa_exception_fp_ieee_div_zero 0
		.amdhsa_exception_fp_ieee_overflow 0
		.amdhsa_exception_fp_ieee_underflow 0
		.amdhsa_exception_fp_ieee_inexact 0
		.amdhsa_exception_int_div_zero 0
	.end_amdhsa_kernel
	.section	.text._ZN7rocprim17ROCPRIM_400000_NS6detail17trampoline_kernelINS0_14default_configENS1_20scan_config_selectorIiEEZZNS1_9scan_implILNS1_25lookback_scan_determinismE0ELb0ELb1ES3_N6thrust23THRUST_200600_302600_NS6detail15normal_iteratorINS9_10device_ptrIiEEEESE_iNS9_10multipliesIiEEiEEDaPvRmT3_T4_T5_mT6_P12ihipStream_tbENKUlT_T0_E_clISt17integral_constantIbLb0EEST_IbLb1EEEEDaSP_SQ_EUlSP_E_NS1_11comp_targetILNS1_3genE10ELNS1_11target_archE1201ELNS1_3gpuE5ELNS1_3repE0EEENS1_30default_config_static_selectorELNS0_4arch9wavefront6targetE1EEEvT1_,"axG",@progbits,_ZN7rocprim17ROCPRIM_400000_NS6detail17trampoline_kernelINS0_14default_configENS1_20scan_config_selectorIiEEZZNS1_9scan_implILNS1_25lookback_scan_determinismE0ELb0ELb1ES3_N6thrust23THRUST_200600_302600_NS6detail15normal_iteratorINS9_10device_ptrIiEEEESE_iNS9_10multipliesIiEEiEEDaPvRmT3_T4_T5_mT6_P12ihipStream_tbENKUlT_T0_E_clISt17integral_constantIbLb0EEST_IbLb1EEEEDaSP_SQ_EUlSP_E_NS1_11comp_targetILNS1_3genE10ELNS1_11target_archE1201ELNS1_3gpuE5ELNS1_3repE0EEENS1_30default_config_static_selectorELNS0_4arch9wavefront6targetE1EEEvT1_,comdat
.Lfunc_end647:
	.size	_ZN7rocprim17ROCPRIM_400000_NS6detail17trampoline_kernelINS0_14default_configENS1_20scan_config_selectorIiEEZZNS1_9scan_implILNS1_25lookback_scan_determinismE0ELb0ELb1ES3_N6thrust23THRUST_200600_302600_NS6detail15normal_iteratorINS9_10device_ptrIiEEEESE_iNS9_10multipliesIiEEiEEDaPvRmT3_T4_T5_mT6_P12ihipStream_tbENKUlT_T0_E_clISt17integral_constantIbLb0EEST_IbLb1EEEEDaSP_SQ_EUlSP_E_NS1_11comp_targetILNS1_3genE10ELNS1_11target_archE1201ELNS1_3gpuE5ELNS1_3repE0EEENS1_30default_config_static_selectorELNS0_4arch9wavefront6targetE1EEEvT1_, .Lfunc_end647-_ZN7rocprim17ROCPRIM_400000_NS6detail17trampoline_kernelINS0_14default_configENS1_20scan_config_selectorIiEEZZNS1_9scan_implILNS1_25lookback_scan_determinismE0ELb0ELb1ES3_N6thrust23THRUST_200600_302600_NS6detail15normal_iteratorINS9_10device_ptrIiEEEESE_iNS9_10multipliesIiEEiEEDaPvRmT3_T4_T5_mT6_P12ihipStream_tbENKUlT_T0_E_clISt17integral_constantIbLb0EEST_IbLb1EEEEDaSP_SQ_EUlSP_E_NS1_11comp_targetILNS1_3genE10ELNS1_11target_archE1201ELNS1_3gpuE5ELNS1_3repE0EEENS1_30default_config_static_selectorELNS0_4arch9wavefront6targetE1EEEvT1_
                                        ; -- End function
	.section	.AMDGPU.csdata,"",@progbits
; Kernel info:
; codeLenInByte = 0
; NumSgprs: 4
; NumVgprs: 0
; NumAgprs: 0
; TotalNumVgprs: 0
; ScratchSize: 0
; MemoryBound: 0
; FloatMode: 240
; IeeeMode: 1
; LDSByteSize: 0 bytes/workgroup (compile time only)
; SGPRBlocks: 0
; VGPRBlocks: 0
; NumSGPRsForWavesPerEU: 4
; NumVGPRsForWavesPerEU: 1
; AccumOffset: 4
; Occupancy: 8
; WaveLimiterHint : 0
; COMPUTE_PGM_RSRC2:SCRATCH_EN: 0
; COMPUTE_PGM_RSRC2:USER_SGPR: 6
; COMPUTE_PGM_RSRC2:TRAP_HANDLER: 0
; COMPUTE_PGM_RSRC2:TGID_X_EN: 1
; COMPUTE_PGM_RSRC2:TGID_Y_EN: 0
; COMPUTE_PGM_RSRC2:TGID_Z_EN: 0
; COMPUTE_PGM_RSRC2:TIDIG_COMP_CNT: 0
; COMPUTE_PGM_RSRC3_GFX90A:ACCUM_OFFSET: 0
; COMPUTE_PGM_RSRC3_GFX90A:TG_SPLIT: 0
	.section	.text._ZN7rocprim17ROCPRIM_400000_NS6detail17trampoline_kernelINS0_14default_configENS1_20scan_config_selectorIiEEZZNS1_9scan_implILNS1_25lookback_scan_determinismE0ELb0ELb1ES3_N6thrust23THRUST_200600_302600_NS6detail15normal_iteratorINS9_10device_ptrIiEEEESE_iNS9_10multipliesIiEEiEEDaPvRmT3_T4_T5_mT6_P12ihipStream_tbENKUlT_T0_E_clISt17integral_constantIbLb0EEST_IbLb1EEEEDaSP_SQ_EUlSP_E_NS1_11comp_targetILNS1_3genE10ELNS1_11target_archE1200ELNS1_3gpuE4ELNS1_3repE0EEENS1_30default_config_static_selectorELNS0_4arch9wavefront6targetE1EEEvT1_,"axG",@progbits,_ZN7rocprim17ROCPRIM_400000_NS6detail17trampoline_kernelINS0_14default_configENS1_20scan_config_selectorIiEEZZNS1_9scan_implILNS1_25lookback_scan_determinismE0ELb0ELb1ES3_N6thrust23THRUST_200600_302600_NS6detail15normal_iteratorINS9_10device_ptrIiEEEESE_iNS9_10multipliesIiEEiEEDaPvRmT3_T4_T5_mT6_P12ihipStream_tbENKUlT_T0_E_clISt17integral_constantIbLb0EEST_IbLb1EEEEDaSP_SQ_EUlSP_E_NS1_11comp_targetILNS1_3genE10ELNS1_11target_archE1200ELNS1_3gpuE4ELNS1_3repE0EEENS1_30default_config_static_selectorELNS0_4arch9wavefront6targetE1EEEvT1_,comdat
	.protected	_ZN7rocprim17ROCPRIM_400000_NS6detail17trampoline_kernelINS0_14default_configENS1_20scan_config_selectorIiEEZZNS1_9scan_implILNS1_25lookback_scan_determinismE0ELb0ELb1ES3_N6thrust23THRUST_200600_302600_NS6detail15normal_iteratorINS9_10device_ptrIiEEEESE_iNS9_10multipliesIiEEiEEDaPvRmT3_T4_T5_mT6_P12ihipStream_tbENKUlT_T0_E_clISt17integral_constantIbLb0EEST_IbLb1EEEEDaSP_SQ_EUlSP_E_NS1_11comp_targetILNS1_3genE10ELNS1_11target_archE1200ELNS1_3gpuE4ELNS1_3repE0EEENS1_30default_config_static_selectorELNS0_4arch9wavefront6targetE1EEEvT1_ ; -- Begin function _ZN7rocprim17ROCPRIM_400000_NS6detail17trampoline_kernelINS0_14default_configENS1_20scan_config_selectorIiEEZZNS1_9scan_implILNS1_25lookback_scan_determinismE0ELb0ELb1ES3_N6thrust23THRUST_200600_302600_NS6detail15normal_iteratorINS9_10device_ptrIiEEEESE_iNS9_10multipliesIiEEiEEDaPvRmT3_T4_T5_mT6_P12ihipStream_tbENKUlT_T0_E_clISt17integral_constantIbLb0EEST_IbLb1EEEEDaSP_SQ_EUlSP_E_NS1_11comp_targetILNS1_3genE10ELNS1_11target_archE1200ELNS1_3gpuE4ELNS1_3repE0EEENS1_30default_config_static_selectorELNS0_4arch9wavefront6targetE1EEEvT1_
	.globl	_ZN7rocprim17ROCPRIM_400000_NS6detail17trampoline_kernelINS0_14default_configENS1_20scan_config_selectorIiEEZZNS1_9scan_implILNS1_25lookback_scan_determinismE0ELb0ELb1ES3_N6thrust23THRUST_200600_302600_NS6detail15normal_iteratorINS9_10device_ptrIiEEEESE_iNS9_10multipliesIiEEiEEDaPvRmT3_T4_T5_mT6_P12ihipStream_tbENKUlT_T0_E_clISt17integral_constantIbLb0EEST_IbLb1EEEEDaSP_SQ_EUlSP_E_NS1_11comp_targetILNS1_3genE10ELNS1_11target_archE1200ELNS1_3gpuE4ELNS1_3repE0EEENS1_30default_config_static_selectorELNS0_4arch9wavefront6targetE1EEEvT1_
	.p2align	8
	.type	_ZN7rocprim17ROCPRIM_400000_NS6detail17trampoline_kernelINS0_14default_configENS1_20scan_config_selectorIiEEZZNS1_9scan_implILNS1_25lookback_scan_determinismE0ELb0ELb1ES3_N6thrust23THRUST_200600_302600_NS6detail15normal_iteratorINS9_10device_ptrIiEEEESE_iNS9_10multipliesIiEEiEEDaPvRmT3_T4_T5_mT6_P12ihipStream_tbENKUlT_T0_E_clISt17integral_constantIbLb0EEST_IbLb1EEEEDaSP_SQ_EUlSP_E_NS1_11comp_targetILNS1_3genE10ELNS1_11target_archE1200ELNS1_3gpuE4ELNS1_3repE0EEENS1_30default_config_static_selectorELNS0_4arch9wavefront6targetE1EEEvT1_,@function
_ZN7rocprim17ROCPRIM_400000_NS6detail17trampoline_kernelINS0_14default_configENS1_20scan_config_selectorIiEEZZNS1_9scan_implILNS1_25lookback_scan_determinismE0ELb0ELb1ES3_N6thrust23THRUST_200600_302600_NS6detail15normal_iteratorINS9_10device_ptrIiEEEESE_iNS9_10multipliesIiEEiEEDaPvRmT3_T4_T5_mT6_P12ihipStream_tbENKUlT_T0_E_clISt17integral_constantIbLb0EEST_IbLb1EEEEDaSP_SQ_EUlSP_E_NS1_11comp_targetILNS1_3genE10ELNS1_11target_archE1200ELNS1_3gpuE4ELNS1_3repE0EEENS1_30default_config_static_selectorELNS0_4arch9wavefront6targetE1EEEvT1_: ; @_ZN7rocprim17ROCPRIM_400000_NS6detail17trampoline_kernelINS0_14default_configENS1_20scan_config_selectorIiEEZZNS1_9scan_implILNS1_25lookback_scan_determinismE0ELb0ELb1ES3_N6thrust23THRUST_200600_302600_NS6detail15normal_iteratorINS9_10device_ptrIiEEEESE_iNS9_10multipliesIiEEiEEDaPvRmT3_T4_T5_mT6_P12ihipStream_tbENKUlT_T0_E_clISt17integral_constantIbLb0EEST_IbLb1EEEEDaSP_SQ_EUlSP_E_NS1_11comp_targetILNS1_3genE10ELNS1_11target_archE1200ELNS1_3gpuE4ELNS1_3repE0EEENS1_30default_config_static_selectorELNS0_4arch9wavefront6targetE1EEEvT1_
; %bb.0:
	.section	.rodata,"a",@progbits
	.p2align	6, 0x0
	.amdhsa_kernel _ZN7rocprim17ROCPRIM_400000_NS6detail17trampoline_kernelINS0_14default_configENS1_20scan_config_selectorIiEEZZNS1_9scan_implILNS1_25lookback_scan_determinismE0ELb0ELb1ES3_N6thrust23THRUST_200600_302600_NS6detail15normal_iteratorINS9_10device_ptrIiEEEESE_iNS9_10multipliesIiEEiEEDaPvRmT3_T4_T5_mT6_P12ihipStream_tbENKUlT_T0_E_clISt17integral_constantIbLb0EEST_IbLb1EEEEDaSP_SQ_EUlSP_E_NS1_11comp_targetILNS1_3genE10ELNS1_11target_archE1200ELNS1_3gpuE4ELNS1_3repE0EEENS1_30default_config_static_selectorELNS0_4arch9wavefront6targetE1EEEvT1_
		.amdhsa_group_segment_fixed_size 0
		.amdhsa_private_segment_fixed_size 0
		.amdhsa_kernarg_size 96
		.amdhsa_user_sgpr_count 6
		.amdhsa_user_sgpr_private_segment_buffer 1
		.amdhsa_user_sgpr_dispatch_ptr 0
		.amdhsa_user_sgpr_queue_ptr 0
		.amdhsa_user_sgpr_kernarg_segment_ptr 1
		.amdhsa_user_sgpr_dispatch_id 0
		.amdhsa_user_sgpr_flat_scratch_init 0
		.amdhsa_user_sgpr_kernarg_preload_length 0
		.amdhsa_user_sgpr_kernarg_preload_offset 0
		.amdhsa_user_sgpr_private_segment_size 0
		.amdhsa_uses_dynamic_stack 0
		.amdhsa_system_sgpr_private_segment_wavefront_offset 0
		.amdhsa_system_sgpr_workgroup_id_x 1
		.amdhsa_system_sgpr_workgroup_id_y 0
		.amdhsa_system_sgpr_workgroup_id_z 0
		.amdhsa_system_sgpr_workgroup_info 0
		.amdhsa_system_vgpr_workitem_id 0
		.amdhsa_next_free_vgpr 1
		.amdhsa_next_free_sgpr 0
		.amdhsa_accum_offset 4
		.amdhsa_reserve_vcc 0
		.amdhsa_reserve_flat_scratch 0
		.amdhsa_float_round_mode_32 0
		.amdhsa_float_round_mode_16_64 0
		.amdhsa_float_denorm_mode_32 3
		.amdhsa_float_denorm_mode_16_64 3
		.amdhsa_dx10_clamp 1
		.amdhsa_ieee_mode 1
		.amdhsa_fp16_overflow 0
		.amdhsa_tg_split 0
		.amdhsa_exception_fp_ieee_invalid_op 0
		.amdhsa_exception_fp_denorm_src 0
		.amdhsa_exception_fp_ieee_div_zero 0
		.amdhsa_exception_fp_ieee_overflow 0
		.amdhsa_exception_fp_ieee_underflow 0
		.amdhsa_exception_fp_ieee_inexact 0
		.amdhsa_exception_int_div_zero 0
	.end_amdhsa_kernel
	.section	.text._ZN7rocprim17ROCPRIM_400000_NS6detail17trampoline_kernelINS0_14default_configENS1_20scan_config_selectorIiEEZZNS1_9scan_implILNS1_25lookback_scan_determinismE0ELb0ELb1ES3_N6thrust23THRUST_200600_302600_NS6detail15normal_iteratorINS9_10device_ptrIiEEEESE_iNS9_10multipliesIiEEiEEDaPvRmT3_T4_T5_mT6_P12ihipStream_tbENKUlT_T0_E_clISt17integral_constantIbLb0EEST_IbLb1EEEEDaSP_SQ_EUlSP_E_NS1_11comp_targetILNS1_3genE10ELNS1_11target_archE1200ELNS1_3gpuE4ELNS1_3repE0EEENS1_30default_config_static_selectorELNS0_4arch9wavefront6targetE1EEEvT1_,"axG",@progbits,_ZN7rocprim17ROCPRIM_400000_NS6detail17trampoline_kernelINS0_14default_configENS1_20scan_config_selectorIiEEZZNS1_9scan_implILNS1_25lookback_scan_determinismE0ELb0ELb1ES3_N6thrust23THRUST_200600_302600_NS6detail15normal_iteratorINS9_10device_ptrIiEEEESE_iNS9_10multipliesIiEEiEEDaPvRmT3_T4_T5_mT6_P12ihipStream_tbENKUlT_T0_E_clISt17integral_constantIbLb0EEST_IbLb1EEEEDaSP_SQ_EUlSP_E_NS1_11comp_targetILNS1_3genE10ELNS1_11target_archE1200ELNS1_3gpuE4ELNS1_3repE0EEENS1_30default_config_static_selectorELNS0_4arch9wavefront6targetE1EEEvT1_,comdat
.Lfunc_end648:
	.size	_ZN7rocprim17ROCPRIM_400000_NS6detail17trampoline_kernelINS0_14default_configENS1_20scan_config_selectorIiEEZZNS1_9scan_implILNS1_25lookback_scan_determinismE0ELb0ELb1ES3_N6thrust23THRUST_200600_302600_NS6detail15normal_iteratorINS9_10device_ptrIiEEEESE_iNS9_10multipliesIiEEiEEDaPvRmT3_T4_T5_mT6_P12ihipStream_tbENKUlT_T0_E_clISt17integral_constantIbLb0EEST_IbLb1EEEEDaSP_SQ_EUlSP_E_NS1_11comp_targetILNS1_3genE10ELNS1_11target_archE1200ELNS1_3gpuE4ELNS1_3repE0EEENS1_30default_config_static_selectorELNS0_4arch9wavefront6targetE1EEEvT1_, .Lfunc_end648-_ZN7rocprim17ROCPRIM_400000_NS6detail17trampoline_kernelINS0_14default_configENS1_20scan_config_selectorIiEEZZNS1_9scan_implILNS1_25lookback_scan_determinismE0ELb0ELb1ES3_N6thrust23THRUST_200600_302600_NS6detail15normal_iteratorINS9_10device_ptrIiEEEESE_iNS9_10multipliesIiEEiEEDaPvRmT3_T4_T5_mT6_P12ihipStream_tbENKUlT_T0_E_clISt17integral_constantIbLb0EEST_IbLb1EEEEDaSP_SQ_EUlSP_E_NS1_11comp_targetILNS1_3genE10ELNS1_11target_archE1200ELNS1_3gpuE4ELNS1_3repE0EEENS1_30default_config_static_selectorELNS0_4arch9wavefront6targetE1EEEvT1_
                                        ; -- End function
	.section	.AMDGPU.csdata,"",@progbits
; Kernel info:
; codeLenInByte = 0
; NumSgprs: 4
; NumVgprs: 0
; NumAgprs: 0
; TotalNumVgprs: 0
; ScratchSize: 0
; MemoryBound: 0
; FloatMode: 240
; IeeeMode: 1
; LDSByteSize: 0 bytes/workgroup (compile time only)
; SGPRBlocks: 0
; VGPRBlocks: 0
; NumSGPRsForWavesPerEU: 4
; NumVGPRsForWavesPerEU: 1
; AccumOffset: 4
; Occupancy: 8
; WaveLimiterHint : 0
; COMPUTE_PGM_RSRC2:SCRATCH_EN: 0
; COMPUTE_PGM_RSRC2:USER_SGPR: 6
; COMPUTE_PGM_RSRC2:TRAP_HANDLER: 0
; COMPUTE_PGM_RSRC2:TGID_X_EN: 1
; COMPUTE_PGM_RSRC2:TGID_Y_EN: 0
; COMPUTE_PGM_RSRC2:TGID_Z_EN: 0
; COMPUTE_PGM_RSRC2:TIDIG_COMP_CNT: 0
; COMPUTE_PGM_RSRC3_GFX90A:ACCUM_OFFSET: 0
; COMPUTE_PGM_RSRC3_GFX90A:TG_SPLIT: 0
	.section	.text._ZN7rocprim17ROCPRIM_400000_NS6detail17trampoline_kernelINS0_14default_configENS1_20scan_config_selectorIiEEZZNS1_9scan_implILNS1_25lookback_scan_determinismE0ELb0ELb1ES3_N6thrust23THRUST_200600_302600_NS6detail15normal_iteratorINS9_10device_ptrIiEEEESE_iNS9_10multipliesIiEEiEEDaPvRmT3_T4_T5_mT6_P12ihipStream_tbENKUlT_T0_E_clISt17integral_constantIbLb0EEST_IbLb1EEEEDaSP_SQ_EUlSP_E_NS1_11comp_targetILNS1_3genE9ELNS1_11target_archE1100ELNS1_3gpuE3ELNS1_3repE0EEENS1_30default_config_static_selectorELNS0_4arch9wavefront6targetE1EEEvT1_,"axG",@progbits,_ZN7rocprim17ROCPRIM_400000_NS6detail17trampoline_kernelINS0_14default_configENS1_20scan_config_selectorIiEEZZNS1_9scan_implILNS1_25lookback_scan_determinismE0ELb0ELb1ES3_N6thrust23THRUST_200600_302600_NS6detail15normal_iteratorINS9_10device_ptrIiEEEESE_iNS9_10multipliesIiEEiEEDaPvRmT3_T4_T5_mT6_P12ihipStream_tbENKUlT_T0_E_clISt17integral_constantIbLb0EEST_IbLb1EEEEDaSP_SQ_EUlSP_E_NS1_11comp_targetILNS1_3genE9ELNS1_11target_archE1100ELNS1_3gpuE3ELNS1_3repE0EEENS1_30default_config_static_selectorELNS0_4arch9wavefront6targetE1EEEvT1_,comdat
	.protected	_ZN7rocprim17ROCPRIM_400000_NS6detail17trampoline_kernelINS0_14default_configENS1_20scan_config_selectorIiEEZZNS1_9scan_implILNS1_25lookback_scan_determinismE0ELb0ELb1ES3_N6thrust23THRUST_200600_302600_NS6detail15normal_iteratorINS9_10device_ptrIiEEEESE_iNS9_10multipliesIiEEiEEDaPvRmT3_T4_T5_mT6_P12ihipStream_tbENKUlT_T0_E_clISt17integral_constantIbLb0EEST_IbLb1EEEEDaSP_SQ_EUlSP_E_NS1_11comp_targetILNS1_3genE9ELNS1_11target_archE1100ELNS1_3gpuE3ELNS1_3repE0EEENS1_30default_config_static_selectorELNS0_4arch9wavefront6targetE1EEEvT1_ ; -- Begin function _ZN7rocprim17ROCPRIM_400000_NS6detail17trampoline_kernelINS0_14default_configENS1_20scan_config_selectorIiEEZZNS1_9scan_implILNS1_25lookback_scan_determinismE0ELb0ELb1ES3_N6thrust23THRUST_200600_302600_NS6detail15normal_iteratorINS9_10device_ptrIiEEEESE_iNS9_10multipliesIiEEiEEDaPvRmT3_T4_T5_mT6_P12ihipStream_tbENKUlT_T0_E_clISt17integral_constantIbLb0EEST_IbLb1EEEEDaSP_SQ_EUlSP_E_NS1_11comp_targetILNS1_3genE9ELNS1_11target_archE1100ELNS1_3gpuE3ELNS1_3repE0EEENS1_30default_config_static_selectorELNS0_4arch9wavefront6targetE1EEEvT1_
	.globl	_ZN7rocprim17ROCPRIM_400000_NS6detail17trampoline_kernelINS0_14default_configENS1_20scan_config_selectorIiEEZZNS1_9scan_implILNS1_25lookback_scan_determinismE0ELb0ELb1ES3_N6thrust23THRUST_200600_302600_NS6detail15normal_iteratorINS9_10device_ptrIiEEEESE_iNS9_10multipliesIiEEiEEDaPvRmT3_T4_T5_mT6_P12ihipStream_tbENKUlT_T0_E_clISt17integral_constantIbLb0EEST_IbLb1EEEEDaSP_SQ_EUlSP_E_NS1_11comp_targetILNS1_3genE9ELNS1_11target_archE1100ELNS1_3gpuE3ELNS1_3repE0EEENS1_30default_config_static_selectorELNS0_4arch9wavefront6targetE1EEEvT1_
	.p2align	8
	.type	_ZN7rocprim17ROCPRIM_400000_NS6detail17trampoline_kernelINS0_14default_configENS1_20scan_config_selectorIiEEZZNS1_9scan_implILNS1_25lookback_scan_determinismE0ELb0ELb1ES3_N6thrust23THRUST_200600_302600_NS6detail15normal_iteratorINS9_10device_ptrIiEEEESE_iNS9_10multipliesIiEEiEEDaPvRmT3_T4_T5_mT6_P12ihipStream_tbENKUlT_T0_E_clISt17integral_constantIbLb0EEST_IbLb1EEEEDaSP_SQ_EUlSP_E_NS1_11comp_targetILNS1_3genE9ELNS1_11target_archE1100ELNS1_3gpuE3ELNS1_3repE0EEENS1_30default_config_static_selectorELNS0_4arch9wavefront6targetE1EEEvT1_,@function
_ZN7rocprim17ROCPRIM_400000_NS6detail17trampoline_kernelINS0_14default_configENS1_20scan_config_selectorIiEEZZNS1_9scan_implILNS1_25lookback_scan_determinismE0ELb0ELb1ES3_N6thrust23THRUST_200600_302600_NS6detail15normal_iteratorINS9_10device_ptrIiEEEESE_iNS9_10multipliesIiEEiEEDaPvRmT3_T4_T5_mT6_P12ihipStream_tbENKUlT_T0_E_clISt17integral_constantIbLb0EEST_IbLb1EEEEDaSP_SQ_EUlSP_E_NS1_11comp_targetILNS1_3genE9ELNS1_11target_archE1100ELNS1_3gpuE3ELNS1_3repE0EEENS1_30default_config_static_selectorELNS0_4arch9wavefront6targetE1EEEvT1_: ; @_ZN7rocprim17ROCPRIM_400000_NS6detail17trampoline_kernelINS0_14default_configENS1_20scan_config_selectorIiEEZZNS1_9scan_implILNS1_25lookback_scan_determinismE0ELb0ELb1ES3_N6thrust23THRUST_200600_302600_NS6detail15normal_iteratorINS9_10device_ptrIiEEEESE_iNS9_10multipliesIiEEiEEDaPvRmT3_T4_T5_mT6_P12ihipStream_tbENKUlT_T0_E_clISt17integral_constantIbLb0EEST_IbLb1EEEEDaSP_SQ_EUlSP_E_NS1_11comp_targetILNS1_3genE9ELNS1_11target_archE1100ELNS1_3gpuE3ELNS1_3repE0EEENS1_30default_config_static_selectorELNS0_4arch9wavefront6targetE1EEEvT1_
; %bb.0:
	.section	.rodata,"a",@progbits
	.p2align	6, 0x0
	.amdhsa_kernel _ZN7rocprim17ROCPRIM_400000_NS6detail17trampoline_kernelINS0_14default_configENS1_20scan_config_selectorIiEEZZNS1_9scan_implILNS1_25lookback_scan_determinismE0ELb0ELb1ES3_N6thrust23THRUST_200600_302600_NS6detail15normal_iteratorINS9_10device_ptrIiEEEESE_iNS9_10multipliesIiEEiEEDaPvRmT3_T4_T5_mT6_P12ihipStream_tbENKUlT_T0_E_clISt17integral_constantIbLb0EEST_IbLb1EEEEDaSP_SQ_EUlSP_E_NS1_11comp_targetILNS1_3genE9ELNS1_11target_archE1100ELNS1_3gpuE3ELNS1_3repE0EEENS1_30default_config_static_selectorELNS0_4arch9wavefront6targetE1EEEvT1_
		.amdhsa_group_segment_fixed_size 0
		.amdhsa_private_segment_fixed_size 0
		.amdhsa_kernarg_size 96
		.amdhsa_user_sgpr_count 6
		.amdhsa_user_sgpr_private_segment_buffer 1
		.amdhsa_user_sgpr_dispatch_ptr 0
		.amdhsa_user_sgpr_queue_ptr 0
		.amdhsa_user_sgpr_kernarg_segment_ptr 1
		.amdhsa_user_sgpr_dispatch_id 0
		.amdhsa_user_sgpr_flat_scratch_init 0
		.amdhsa_user_sgpr_kernarg_preload_length 0
		.amdhsa_user_sgpr_kernarg_preload_offset 0
		.amdhsa_user_sgpr_private_segment_size 0
		.amdhsa_uses_dynamic_stack 0
		.amdhsa_system_sgpr_private_segment_wavefront_offset 0
		.amdhsa_system_sgpr_workgroup_id_x 1
		.amdhsa_system_sgpr_workgroup_id_y 0
		.amdhsa_system_sgpr_workgroup_id_z 0
		.amdhsa_system_sgpr_workgroup_info 0
		.amdhsa_system_vgpr_workitem_id 0
		.amdhsa_next_free_vgpr 1
		.amdhsa_next_free_sgpr 0
		.amdhsa_accum_offset 4
		.amdhsa_reserve_vcc 0
		.amdhsa_reserve_flat_scratch 0
		.amdhsa_float_round_mode_32 0
		.amdhsa_float_round_mode_16_64 0
		.amdhsa_float_denorm_mode_32 3
		.amdhsa_float_denorm_mode_16_64 3
		.amdhsa_dx10_clamp 1
		.amdhsa_ieee_mode 1
		.amdhsa_fp16_overflow 0
		.amdhsa_tg_split 0
		.amdhsa_exception_fp_ieee_invalid_op 0
		.amdhsa_exception_fp_denorm_src 0
		.amdhsa_exception_fp_ieee_div_zero 0
		.amdhsa_exception_fp_ieee_overflow 0
		.amdhsa_exception_fp_ieee_underflow 0
		.amdhsa_exception_fp_ieee_inexact 0
		.amdhsa_exception_int_div_zero 0
	.end_amdhsa_kernel
	.section	.text._ZN7rocprim17ROCPRIM_400000_NS6detail17trampoline_kernelINS0_14default_configENS1_20scan_config_selectorIiEEZZNS1_9scan_implILNS1_25lookback_scan_determinismE0ELb0ELb1ES3_N6thrust23THRUST_200600_302600_NS6detail15normal_iteratorINS9_10device_ptrIiEEEESE_iNS9_10multipliesIiEEiEEDaPvRmT3_T4_T5_mT6_P12ihipStream_tbENKUlT_T0_E_clISt17integral_constantIbLb0EEST_IbLb1EEEEDaSP_SQ_EUlSP_E_NS1_11comp_targetILNS1_3genE9ELNS1_11target_archE1100ELNS1_3gpuE3ELNS1_3repE0EEENS1_30default_config_static_selectorELNS0_4arch9wavefront6targetE1EEEvT1_,"axG",@progbits,_ZN7rocprim17ROCPRIM_400000_NS6detail17trampoline_kernelINS0_14default_configENS1_20scan_config_selectorIiEEZZNS1_9scan_implILNS1_25lookback_scan_determinismE0ELb0ELb1ES3_N6thrust23THRUST_200600_302600_NS6detail15normal_iteratorINS9_10device_ptrIiEEEESE_iNS9_10multipliesIiEEiEEDaPvRmT3_T4_T5_mT6_P12ihipStream_tbENKUlT_T0_E_clISt17integral_constantIbLb0EEST_IbLb1EEEEDaSP_SQ_EUlSP_E_NS1_11comp_targetILNS1_3genE9ELNS1_11target_archE1100ELNS1_3gpuE3ELNS1_3repE0EEENS1_30default_config_static_selectorELNS0_4arch9wavefront6targetE1EEEvT1_,comdat
.Lfunc_end649:
	.size	_ZN7rocprim17ROCPRIM_400000_NS6detail17trampoline_kernelINS0_14default_configENS1_20scan_config_selectorIiEEZZNS1_9scan_implILNS1_25lookback_scan_determinismE0ELb0ELb1ES3_N6thrust23THRUST_200600_302600_NS6detail15normal_iteratorINS9_10device_ptrIiEEEESE_iNS9_10multipliesIiEEiEEDaPvRmT3_T4_T5_mT6_P12ihipStream_tbENKUlT_T0_E_clISt17integral_constantIbLb0EEST_IbLb1EEEEDaSP_SQ_EUlSP_E_NS1_11comp_targetILNS1_3genE9ELNS1_11target_archE1100ELNS1_3gpuE3ELNS1_3repE0EEENS1_30default_config_static_selectorELNS0_4arch9wavefront6targetE1EEEvT1_, .Lfunc_end649-_ZN7rocprim17ROCPRIM_400000_NS6detail17trampoline_kernelINS0_14default_configENS1_20scan_config_selectorIiEEZZNS1_9scan_implILNS1_25lookback_scan_determinismE0ELb0ELb1ES3_N6thrust23THRUST_200600_302600_NS6detail15normal_iteratorINS9_10device_ptrIiEEEESE_iNS9_10multipliesIiEEiEEDaPvRmT3_T4_T5_mT6_P12ihipStream_tbENKUlT_T0_E_clISt17integral_constantIbLb0EEST_IbLb1EEEEDaSP_SQ_EUlSP_E_NS1_11comp_targetILNS1_3genE9ELNS1_11target_archE1100ELNS1_3gpuE3ELNS1_3repE0EEENS1_30default_config_static_selectorELNS0_4arch9wavefront6targetE1EEEvT1_
                                        ; -- End function
	.section	.AMDGPU.csdata,"",@progbits
; Kernel info:
; codeLenInByte = 0
; NumSgprs: 4
; NumVgprs: 0
; NumAgprs: 0
; TotalNumVgprs: 0
; ScratchSize: 0
; MemoryBound: 0
; FloatMode: 240
; IeeeMode: 1
; LDSByteSize: 0 bytes/workgroup (compile time only)
; SGPRBlocks: 0
; VGPRBlocks: 0
; NumSGPRsForWavesPerEU: 4
; NumVGPRsForWavesPerEU: 1
; AccumOffset: 4
; Occupancy: 8
; WaveLimiterHint : 0
; COMPUTE_PGM_RSRC2:SCRATCH_EN: 0
; COMPUTE_PGM_RSRC2:USER_SGPR: 6
; COMPUTE_PGM_RSRC2:TRAP_HANDLER: 0
; COMPUTE_PGM_RSRC2:TGID_X_EN: 1
; COMPUTE_PGM_RSRC2:TGID_Y_EN: 0
; COMPUTE_PGM_RSRC2:TGID_Z_EN: 0
; COMPUTE_PGM_RSRC2:TIDIG_COMP_CNT: 0
; COMPUTE_PGM_RSRC3_GFX90A:ACCUM_OFFSET: 0
; COMPUTE_PGM_RSRC3_GFX90A:TG_SPLIT: 0
	.section	.text._ZN7rocprim17ROCPRIM_400000_NS6detail17trampoline_kernelINS0_14default_configENS1_20scan_config_selectorIiEEZZNS1_9scan_implILNS1_25lookback_scan_determinismE0ELb0ELb1ES3_N6thrust23THRUST_200600_302600_NS6detail15normal_iteratorINS9_10device_ptrIiEEEESE_iNS9_10multipliesIiEEiEEDaPvRmT3_T4_T5_mT6_P12ihipStream_tbENKUlT_T0_E_clISt17integral_constantIbLb0EEST_IbLb1EEEEDaSP_SQ_EUlSP_E_NS1_11comp_targetILNS1_3genE8ELNS1_11target_archE1030ELNS1_3gpuE2ELNS1_3repE0EEENS1_30default_config_static_selectorELNS0_4arch9wavefront6targetE1EEEvT1_,"axG",@progbits,_ZN7rocprim17ROCPRIM_400000_NS6detail17trampoline_kernelINS0_14default_configENS1_20scan_config_selectorIiEEZZNS1_9scan_implILNS1_25lookback_scan_determinismE0ELb0ELb1ES3_N6thrust23THRUST_200600_302600_NS6detail15normal_iteratorINS9_10device_ptrIiEEEESE_iNS9_10multipliesIiEEiEEDaPvRmT3_T4_T5_mT6_P12ihipStream_tbENKUlT_T0_E_clISt17integral_constantIbLb0EEST_IbLb1EEEEDaSP_SQ_EUlSP_E_NS1_11comp_targetILNS1_3genE8ELNS1_11target_archE1030ELNS1_3gpuE2ELNS1_3repE0EEENS1_30default_config_static_selectorELNS0_4arch9wavefront6targetE1EEEvT1_,comdat
	.protected	_ZN7rocprim17ROCPRIM_400000_NS6detail17trampoline_kernelINS0_14default_configENS1_20scan_config_selectorIiEEZZNS1_9scan_implILNS1_25lookback_scan_determinismE0ELb0ELb1ES3_N6thrust23THRUST_200600_302600_NS6detail15normal_iteratorINS9_10device_ptrIiEEEESE_iNS9_10multipliesIiEEiEEDaPvRmT3_T4_T5_mT6_P12ihipStream_tbENKUlT_T0_E_clISt17integral_constantIbLb0EEST_IbLb1EEEEDaSP_SQ_EUlSP_E_NS1_11comp_targetILNS1_3genE8ELNS1_11target_archE1030ELNS1_3gpuE2ELNS1_3repE0EEENS1_30default_config_static_selectorELNS0_4arch9wavefront6targetE1EEEvT1_ ; -- Begin function _ZN7rocprim17ROCPRIM_400000_NS6detail17trampoline_kernelINS0_14default_configENS1_20scan_config_selectorIiEEZZNS1_9scan_implILNS1_25lookback_scan_determinismE0ELb0ELb1ES3_N6thrust23THRUST_200600_302600_NS6detail15normal_iteratorINS9_10device_ptrIiEEEESE_iNS9_10multipliesIiEEiEEDaPvRmT3_T4_T5_mT6_P12ihipStream_tbENKUlT_T0_E_clISt17integral_constantIbLb0EEST_IbLb1EEEEDaSP_SQ_EUlSP_E_NS1_11comp_targetILNS1_3genE8ELNS1_11target_archE1030ELNS1_3gpuE2ELNS1_3repE0EEENS1_30default_config_static_selectorELNS0_4arch9wavefront6targetE1EEEvT1_
	.globl	_ZN7rocprim17ROCPRIM_400000_NS6detail17trampoline_kernelINS0_14default_configENS1_20scan_config_selectorIiEEZZNS1_9scan_implILNS1_25lookback_scan_determinismE0ELb0ELb1ES3_N6thrust23THRUST_200600_302600_NS6detail15normal_iteratorINS9_10device_ptrIiEEEESE_iNS9_10multipliesIiEEiEEDaPvRmT3_T4_T5_mT6_P12ihipStream_tbENKUlT_T0_E_clISt17integral_constantIbLb0EEST_IbLb1EEEEDaSP_SQ_EUlSP_E_NS1_11comp_targetILNS1_3genE8ELNS1_11target_archE1030ELNS1_3gpuE2ELNS1_3repE0EEENS1_30default_config_static_selectorELNS0_4arch9wavefront6targetE1EEEvT1_
	.p2align	8
	.type	_ZN7rocprim17ROCPRIM_400000_NS6detail17trampoline_kernelINS0_14default_configENS1_20scan_config_selectorIiEEZZNS1_9scan_implILNS1_25lookback_scan_determinismE0ELb0ELb1ES3_N6thrust23THRUST_200600_302600_NS6detail15normal_iteratorINS9_10device_ptrIiEEEESE_iNS9_10multipliesIiEEiEEDaPvRmT3_T4_T5_mT6_P12ihipStream_tbENKUlT_T0_E_clISt17integral_constantIbLb0EEST_IbLb1EEEEDaSP_SQ_EUlSP_E_NS1_11comp_targetILNS1_3genE8ELNS1_11target_archE1030ELNS1_3gpuE2ELNS1_3repE0EEENS1_30default_config_static_selectorELNS0_4arch9wavefront6targetE1EEEvT1_,@function
_ZN7rocprim17ROCPRIM_400000_NS6detail17trampoline_kernelINS0_14default_configENS1_20scan_config_selectorIiEEZZNS1_9scan_implILNS1_25lookback_scan_determinismE0ELb0ELb1ES3_N6thrust23THRUST_200600_302600_NS6detail15normal_iteratorINS9_10device_ptrIiEEEESE_iNS9_10multipliesIiEEiEEDaPvRmT3_T4_T5_mT6_P12ihipStream_tbENKUlT_T0_E_clISt17integral_constantIbLb0EEST_IbLb1EEEEDaSP_SQ_EUlSP_E_NS1_11comp_targetILNS1_3genE8ELNS1_11target_archE1030ELNS1_3gpuE2ELNS1_3repE0EEENS1_30default_config_static_selectorELNS0_4arch9wavefront6targetE1EEEvT1_: ; @_ZN7rocprim17ROCPRIM_400000_NS6detail17trampoline_kernelINS0_14default_configENS1_20scan_config_selectorIiEEZZNS1_9scan_implILNS1_25lookback_scan_determinismE0ELb0ELb1ES3_N6thrust23THRUST_200600_302600_NS6detail15normal_iteratorINS9_10device_ptrIiEEEESE_iNS9_10multipliesIiEEiEEDaPvRmT3_T4_T5_mT6_P12ihipStream_tbENKUlT_T0_E_clISt17integral_constantIbLb0EEST_IbLb1EEEEDaSP_SQ_EUlSP_E_NS1_11comp_targetILNS1_3genE8ELNS1_11target_archE1030ELNS1_3gpuE2ELNS1_3repE0EEENS1_30default_config_static_selectorELNS0_4arch9wavefront6targetE1EEEvT1_
; %bb.0:
	.section	.rodata,"a",@progbits
	.p2align	6, 0x0
	.amdhsa_kernel _ZN7rocprim17ROCPRIM_400000_NS6detail17trampoline_kernelINS0_14default_configENS1_20scan_config_selectorIiEEZZNS1_9scan_implILNS1_25lookback_scan_determinismE0ELb0ELb1ES3_N6thrust23THRUST_200600_302600_NS6detail15normal_iteratorINS9_10device_ptrIiEEEESE_iNS9_10multipliesIiEEiEEDaPvRmT3_T4_T5_mT6_P12ihipStream_tbENKUlT_T0_E_clISt17integral_constantIbLb0EEST_IbLb1EEEEDaSP_SQ_EUlSP_E_NS1_11comp_targetILNS1_3genE8ELNS1_11target_archE1030ELNS1_3gpuE2ELNS1_3repE0EEENS1_30default_config_static_selectorELNS0_4arch9wavefront6targetE1EEEvT1_
		.amdhsa_group_segment_fixed_size 0
		.amdhsa_private_segment_fixed_size 0
		.amdhsa_kernarg_size 96
		.amdhsa_user_sgpr_count 6
		.amdhsa_user_sgpr_private_segment_buffer 1
		.amdhsa_user_sgpr_dispatch_ptr 0
		.amdhsa_user_sgpr_queue_ptr 0
		.amdhsa_user_sgpr_kernarg_segment_ptr 1
		.amdhsa_user_sgpr_dispatch_id 0
		.amdhsa_user_sgpr_flat_scratch_init 0
		.amdhsa_user_sgpr_kernarg_preload_length 0
		.amdhsa_user_sgpr_kernarg_preload_offset 0
		.amdhsa_user_sgpr_private_segment_size 0
		.amdhsa_uses_dynamic_stack 0
		.amdhsa_system_sgpr_private_segment_wavefront_offset 0
		.amdhsa_system_sgpr_workgroup_id_x 1
		.amdhsa_system_sgpr_workgroup_id_y 0
		.amdhsa_system_sgpr_workgroup_id_z 0
		.amdhsa_system_sgpr_workgroup_info 0
		.amdhsa_system_vgpr_workitem_id 0
		.amdhsa_next_free_vgpr 1
		.amdhsa_next_free_sgpr 0
		.amdhsa_accum_offset 4
		.amdhsa_reserve_vcc 0
		.amdhsa_reserve_flat_scratch 0
		.amdhsa_float_round_mode_32 0
		.amdhsa_float_round_mode_16_64 0
		.amdhsa_float_denorm_mode_32 3
		.amdhsa_float_denorm_mode_16_64 3
		.amdhsa_dx10_clamp 1
		.amdhsa_ieee_mode 1
		.amdhsa_fp16_overflow 0
		.amdhsa_tg_split 0
		.amdhsa_exception_fp_ieee_invalid_op 0
		.amdhsa_exception_fp_denorm_src 0
		.amdhsa_exception_fp_ieee_div_zero 0
		.amdhsa_exception_fp_ieee_overflow 0
		.amdhsa_exception_fp_ieee_underflow 0
		.amdhsa_exception_fp_ieee_inexact 0
		.amdhsa_exception_int_div_zero 0
	.end_amdhsa_kernel
	.section	.text._ZN7rocprim17ROCPRIM_400000_NS6detail17trampoline_kernelINS0_14default_configENS1_20scan_config_selectorIiEEZZNS1_9scan_implILNS1_25lookback_scan_determinismE0ELb0ELb1ES3_N6thrust23THRUST_200600_302600_NS6detail15normal_iteratorINS9_10device_ptrIiEEEESE_iNS9_10multipliesIiEEiEEDaPvRmT3_T4_T5_mT6_P12ihipStream_tbENKUlT_T0_E_clISt17integral_constantIbLb0EEST_IbLb1EEEEDaSP_SQ_EUlSP_E_NS1_11comp_targetILNS1_3genE8ELNS1_11target_archE1030ELNS1_3gpuE2ELNS1_3repE0EEENS1_30default_config_static_selectorELNS0_4arch9wavefront6targetE1EEEvT1_,"axG",@progbits,_ZN7rocprim17ROCPRIM_400000_NS6detail17trampoline_kernelINS0_14default_configENS1_20scan_config_selectorIiEEZZNS1_9scan_implILNS1_25lookback_scan_determinismE0ELb0ELb1ES3_N6thrust23THRUST_200600_302600_NS6detail15normal_iteratorINS9_10device_ptrIiEEEESE_iNS9_10multipliesIiEEiEEDaPvRmT3_T4_T5_mT6_P12ihipStream_tbENKUlT_T0_E_clISt17integral_constantIbLb0EEST_IbLb1EEEEDaSP_SQ_EUlSP_E_NS1_11comp_targetILNS1_3genE8ELNS1_11target_archE1030ELNS1_3gpuE2ELNS1_3repE0EEENS1_30default_config_static_selectorELNS0_4arch9wavefront6targetE1EEEvT1_,comdat
.Lfunc_end650:
	.size	_ZN7rocprim17ROCPRIM_400000_NS6detail17trampoline_kernelINS0_14default_configENS1_20scan_config_selectorIiEEZZNS1_9scan_implILNS1_25lookback_scan_determinismE0ELb0ELb1ES3_N6thrust23THRUST_200600_302600_NS6detail15normal_iteratorINS9_10device_ptrIiEEEESE_iNS9_10multipliesIiEEiEEDaPvRmT3_T4_T5_mT6_P12ihipStream_tbENKUlT_T0_E_clISt17integral_constantIbLb0EEST_IbLb1EEEEDaSP_SQ_EUlSP_E_NS1_11comp_targetILNS1_3genE8ELNS1_11target_archE1030ELNS1_3gpuE2ELNS1_3repE0EEENS1_30default_config_static_selectorELNS0_4arch9wavefront6targetE1EEEvT1_, .Lfunc_end650-_ZN7rocprim17ROCPRIM_400000_NS6detail17trampoline_kernelINS0_14default_configENS1_20scan_config_selectorIiEEZZNS1_9scan_implILNS1_25lookback_scan_determinismE0ELb0ELb1ES3_N6thrust23THRUST_200600_302600_NS6detail15normal_iteratorINS9_10device_ptrIiEEEESE_iNS9_10multipliesIiEEiEEDaPvRmT3_T4_T5_mT6_P12ihipStream_tbENKUlT_T0_E_clISt17integral_constantIbLb0EEST_IbLb1EEEEDaSP_SQ_EUlSP_E_NS1_11comp_targetILNS1_3genE8ELNS1_11target_archE1030ELNS1_3gpuE2ELNS1_3repE0EEENS1_30default_config_static_selectorELNS0_4arch9wavefront6targetE1EEEvT1_
                                        ; -- End function
	.section	.AMDGPU.csdata,"",@progbits
; Kernel info:
; codeLenInByte = 0
; NumSgprs: 4
; NumVgprs: 0
; NumAgprs: 0
; TotalNumVgprs: 0
; ScratchSize: 0
; MemoryBound: 0
; FloatMode: 240
; IeeeMode: 1
; LDSByteSize: 0 bytes/workgroup (compile time only)
; SGPRBlocks: 0
; VGPRBlocks: 0
; NumSGPRsForWavesPerEU: 4
; NumVGPRsForWavesPerEU: 1
; AccumOffset: 4
; Occupancy: 8
; WaveLimiterHint : 0
; COMPUTE_PGM_RSRC2:SCRATCH_EN: 0
; COMPUTE_PGM_RSRC2:USER_SGPR: 6
; COMPUTE_PGM_RSRC2:TRAP_HANDLER: 0
; COMPUTE_PGM_RSRC2:TGID_X_EN: 1
; COMPUTE_PGM_RSRC2:TGID_Y_EN: 0
; COMPUTE_PGM_RSRC2:TGID_Z_EN: 0
; COMPUTE_PGM_RSRC2:TIDIG_COMP_CNT: 0
; COMPUTE_PGM_RSRC3_GFX90A:ACCUM_OFFSET: 0
; COMPUTE_PGM_RSRC3_GFX90A:TG_SPLIT: 0
	.section	.text._ZN7rocprim17ROCPRIM_400000_NS6detail17trampoline_kernelINS0_14default_configENS1_20scan_config_selectorIiEEZZNS1_9scan_implILNS1_25lookback_scan_determinismE0ELb0ELb1ES3_N6thrust23THRUST_200600_302600_NS6detail15normal_iteratorINS9_10device_ptrIiEEEESE_iNS9_10multipliesIiEEiEEDaPvRmT3_T4_T5_mT6_P12ihipStream_tbENKUlT_T0_E_clISt17integral_constantIbLb0EEST_IbLb1EEEEDaSP_SQ_EUlSP_E0_NS1_11comp_targetILNS1_3genE0ELNS1_11target_archE4294967295ELNS1_3gpuE0ELNS1_3repE0EEENS1_30default_config_static_selectorELNS0_4arch9wavefront6targetE1EEEvT1_,"axG",@progbits,_ZN7rocprim17ROCPRIM_400000_NS6detail17trampoline_kernelINS0_14default_configENS1_20scan_config_selectorIiEEZZNS1_9scan_implILNS1_25lookback_scan_determinismE0ELb0ELb1ES3_N6thrust23THRUST_200600_302600_NS6detail15normal_iteratorINS9_10device_ptrIiEEEESE_iNS9_10multipliesIiEEiEEDaPvRmT3_T4_T5_mT6_P12ihipStream_tbENKUlT_T0_E_clISt17integral_constantIbLb0EEST_IbLb1EEEEDaSP_SQ_EUlSP_E0_NS1_11comp_targetILNS1_3genE0ELNS1_11target_archE4294967295ELNS1_3gpuE0ELNS1_3repE0EEENS1_30default_config_static_selectorELNS0_4arch9wavefront6targetE1EEEvT1_,comdat
	.protected	_ZN7rocprim17ROCPRIM_400000_NS6detail17trampoline_kernelINS0_14default_configENS1_20scan_config_selectorIiEEZZNS1_9scan_implILNS1_25lookback_scan_determinismE0ELb0ELb1ES3_N6thrust23THRUST_200600_302600_NS6detail15normal_iteratorINS9_10device_ptrIiEEEESE_iNS9_10multipliesIiEEiEEDaPvRmT3_T4_T5_mT6_P12ihipStream_tbENKUlT_T0_E_clISt17integral_constantIbLb0EEST_IbLb1EEEEDaSP_SQ_EUlSP_E0_NS1_11comp_targetILNS1_3genE0ELNS1_11target_archE4294967295ELNS1_3gpuE0ELNS1_3repE0EEENS1_30default_config_static_selectorELNS0_4arch9wavefront6targetE1EEEvT1_ ; -- Begin function _ZN7rocprim17ROCPRIM_400000_NS6detail17trampoline_kernelINS0_14default_configENS1_20scan_config_selectorIiEEZZNS1_9scan_implILNS1_25lookback_scan_determinismE0ELb0ELb1ES3_N6thrust23THRUST_200600_302600_NS6detail15normal_iteratorINS9_10device_ptrIiEEEESE_iNS9_10multipliesIiEEiEEDaPvRmT3_T4_T5_mT6_P12ihipStream_tbENKUlT_T0_E_clISt17integral_constantIbLb0EEST_IbLb1EEEEDaSP_SQ_EUlSP_E0_NS1_11comp_targetILNS1_3genE0ELNS1_11target_archE4294967295ELNS1_3gpuE0ELNS1_3repE0EEENS1_30default_config_static_selectorELNS0_4arch9wavefront6targetE1EEEvT1_
	.globl	_ZN7rocprim17ROCPRIM_400000_NS6detail17trampoline_kernelINS0_14default_configENS1_20scan_config_selectorIiEEZZNS1_9scan_implILNS1_25lookback_scan_determinismE0ELb0ELb1ES3_N6thrust23THRUST_200600_302600_NS6detail15normal_iteratorINS9_10device_ptrIiEEEESE_iNS9_10multipliesIiEEiEEDaPvRmT3_T4_T5_mT6_P12ihipStream_tbENKUlT_T0_E_clISt17integral_constantIbLb0EEST_IbLb1EEEEDaSP_SQ_EUlSP_E0_NS1_11comp_targetILNS1_3genE0ELNS1_11target_archE4294967295ELNS1_3gpuE0ELNS1_3repE0EEENS1_30default_config_static_selectorELNS0_4arch9wavefront6targetE1EEEvT1_
	.p2align	8
	.type	_ZN7rocprim17ROCPRIM_400000_NS6detail17trampoline_kernelINS0_14default_configENS1_20scan_config_selectorIiEEZZNS1_9scan_implILNS1_25lookback_scan_determinismE0ELb0ELb1ES3_N6thrust23THRUST_200600_302600_NS6detail15normal_iteratorINS9_10device_ptrIiEEEESE_iNS9_10multipliesIiEEiEEDaPvRmT3_T4_T5_mT6_P12ihipStream_tbENKUlT_T0_E_clISt17integral_constantIbLb0EEST_IbLb1EEEEDaSP_SQ_EUlSP_E0_NS1_11comp_targetILNS1_3genE0ELNS1_11target_archE4294967295ELNS1_3gpuE0ELNS1_3repE0EEENS1_30default_config_static_selectorELNS0_4arch9wavefront6targetE1EEEvT1_,@function
_ZN7rocprim17ROCPRIM_400000_NS6detail17trampoline_kernelINS0_14default_configENS1_20scan_config_selectorIiEEZZNS1_9scan_implILNS1_25lookback_scan_determinismE0ELb0ELb1ES3_N6thrust23THRUST_200600_302600_NS6detail15normal_iteratorINS9_10device_ptrIiEEEESE_iNS9_10multipliesIiEEiEEDaPvRmT3_T4_T5_mT6_P12ihipStream_tbENKUlT_T0_E_clISt17integral_constantIbLb0EEST_IbLb1EEEEDaSP_SQ_EUlSP_E0_NS1_11comp_targetILNS1_3genE0ELNS1_11target_archE4294967295ELNS1_3gpuE0ELNS1_3repE0EEENS1_30default_config_static_selectorELNS0_4arch9wavefront6targetE1EEEvT1_: ; @_ZN7rocprim17ROCPRIM_400000_NS6detail17trampoline_kernelINS0_14default_configENS1_20scan_config_selectorIiEEZZNS1_9scan_implILNS1_25lookback_scan_determinismE0ELb0ELb1ES3_N6thrust23THRUST_200600_302600_NS6detail15normal_iteratorINS9_10device_ptrIiEEEESE_iNS9_10multipliesIiEEiEEDaPvRmT3_T4_T5_mT6_P12ihipStream_tbENKUlT_T0_E_clISt17integral_constantIbLb0EEST_IbLb1EEEEDaSP_SQ_EUlSP_E0_NS1_11comp_targetILNS1_3genE0ELNS1_11target_archE4294967295ELNS1_3gpuE0ELNS1_3repE0EEENS1_30default_config_static_selectorELNS0_4arch9wavefront6targetE1EEEvT1_
; %bb.0:
	.section	.rodata,"a",@progbits
	.p2align	6, 0x0
	.amdhsa_kernel _ZN7rocprim17ROCPRIM_400000_NS6detail17trampoline_kernelINS0_14default_configENS1_20scan_config_selectorIiEEZZNS1_9scan_implILNS1_25lookback_scan_determinismE0ELb0ELb1ES3_N6thrust23THRUST_200600_302600_NS6detail15normal_iteratorINS9_10device_ptrIiEEEESE_iNS9_10multipliesIiEEiEEDaPvRmT3_T4_T5_mT6_P12ihipStream_tbENKUlT_T0_E_clISt17integral_constantIbLb0EEST_IbLb1EEEEDaSP_SQ_EUlSP_E0_NS1_11comp_targetILNS1_3genE0ELNS1_11target_archE4294967295ELNS1_3gpuE0ELNS1_3repE0EEENS1_30default_config_static_selectorELNS0_4arch9wavefront6targetE1EEEvT1_
		.amdhsa_group_segment_fixed_size 0
		.amdhsa_private_segment_fixed_size 0
		.amdhsa_kernarg_size 32
		.amdhsa_user_sgpr_count 6
		.amdhsa_user_sgpr_private_segment_buffer 1
		.amdhsa_user_sgpr_dispatch_ptr 0
		.amdhsa_user_sgpr_queue_ptr 0
		.amdhsa_user_sgpr_kernarg_segment_ptr 1
		.amdhsa_user_sgpr_dispatch_id 0
		.amdhsa_user_sgpr_flat_scratch_init 0
		.amdhsa_user_sgpr_kernarg_preload_length 0
		.amdhsa_user_sgpr_kernarg_preload_offset 0
		.amdhsa_user_sgpr_private_segment_size 0
		.amdhsa_uses_dynamic_stack 0
		.amdhsa_system_sgpr_private_segment_wavefront_offset 0
		.amdhsa_system_sgpr_workgroup_id_x 1
		.amdhsa_system_sgpr_workgroup_id_y 0
		.amdhsa_system_sgpr_workgroup_id_z 0
		.amdhsa_system_sgpr_workgroup_info 0
		.amdhsa_system_vgpr_workitem_id 0
		.amdhsa_next_free_vgpr 1
		.amdhsa_next_free_sgpr 0
		.amdhsa_accum_offset 4
		.amdhsa_reserve_vcc 0
		.amdhsa_reserve_flat_scratch 0
		.amdhsa_float_round_mode_32 0
		.amdhsa_float_round_mode_16_64 0
		.amdhsa_float_denorm_mode_32 3
		.amdhsa_float_denorm_mode_16_64 3
		.amdhsa_dx10_clamp 1
		.amdhsa_ieee_mode 1
		.amdhsa_fp16_overflow 0
		.amdhsa_tg_split 0
		.amdhsa_exception_fp_ieee_invalid_op 0
		.amdhsa_exception_fp_denorm_src 0
		.amdhsa_exception_fp_ieee_div_zero 0
		.amdhsa_exception_fp_ieee_overflow 0
		.amdhsa_exception_fp_ieee_underflow 0
		.amdhsa_exception_fp_ieee_inexact 0
		.amdhsa_exception_int_div_zero 0
	.end_amdhsa_kernel
	.section	.text._ZN7rocprim17ROCPRIM_400000_NS6detail17trampoline_kernelINS0_14default_configENS1_20scan_config_selectorIiEEZZNS1_9scan_implILNS1_25lookback_scan_determinismE0ELb0ELb1ES3_N6thrust23THRUST_200600_302600_NS6detail15normal_iteratorINS9_10device_ptrIiEEEESE_iNS9_10multipliesIiEEiEEDaPvRmT3_T4_T5_mT6_P12ihipStream_tbENKUlT_T0_E_clISt17integral_constantIbLb0EEST_IbLb1EEEEDaSP_SQ_EUlSP_E0_NS1_11comp_targetILNS1_3genE0ELNS1_11target_archE4294967295ELNS1_3gpuE0ELNS1_3repE0EEENS1_30default_config_static_selectorELNS0_4arch9wavefront6targetE1EEEvT1_,"axG",@progbits,_ZN7rocprim17ROCPRIM_400000_NS6detail17trampoline_kernelINS0_14default_configENS1_20scan_config_selectorIiEEZZNS1_9scan_implILNS1_25lookback_scan_determinismE0ELb0ELb1ES3_N6thrust23THRUST_200600_302600_NS6detail15normal_iteratorINS9_10device_ptrIiEEEESE_iNS9_10multipliesIiEEiEEDaPvRmT3_T4_T5_mT6_P12ihipStream_tbENKUlT_T0_E_clISt17integral_constantIbLb0EEST_IbLb1EEEEDaSP_SQ_EUlSP_E0_NS1_11comp_targetILNS1_3genE0ELNS1_11target_archE4294967295ELNS1_3gpuE0ELNS1_3repE0EEENS1_30default_config_static_selectorELNS0_4arch9wavefront6targetE1EEEvT1_,comdat
.Lfunc_end651:
	.size	_ZN7rocprim17ROCPRIM_400000_NS6detail17trampoline_kernelINS0_14default_configENS1_20scan_config_selectorIiEEZZNS1_9scan_implILNS1_25lookback_scan_determinismE0ELb0ELb1ES3_N6thrust23THRUST_200600_302600_NS6detail15normal_iteratorINS9_10device_ptrIiEEEESE_iNS9_10multipliesIiEEiEEDaPvRmT3_T4_T5_mT6_P12ihipStream_tbENKUlT_T0_E_clISt17integral_constantIbLb0EEST_IbLb1EEEEDaSP_SQ_EUlSP_E0_NS1_11comp_targetILNS1_3genE0ELNS1_11target_archE4294967295ELNS1_3gpuE0ELNS1_3repE0EEENS1_30default_config_static_selectorELNS0_4arch9wavefront6targetE1EEEvT1_, .Lfunc_end651-_ZN7rocprim17ROCPRIM_400000_NS6detail17trampoline_kernelINS0_14default_configENS1_20scan_config_selectorIiEEZZNS1_9scan_implILNS1_25lookback_scan_determinismE0ELb0ELb1ES3_N6thrust23THRUST_200600_302600_NS6detail15normal_iteratorINS9_10device_ptrIiEEEESE_iNS9_10multipliesIiEEiEEDaPvRmT3_T4_T5_mT6_P12ihipStream_tbENKUlT_T0_E_clISt17integral_constantIbLb0EEST_IbLb1EEEEDaSP_SQ_EUlSP_E0_NS1_11comp_targetILNS1_3genE0ELNS1_11target_archE4294967295ELNS1_3gpuE0ELNS1_3repE0EEENS1_30default_config_static_selectorELNS0_4arch9wavefront6targetE1EEEvT1_
                                        ; -- End function
	.section	.AMDGPU.csdata,"",@progbits
; Kernel info:
; codeLenInByte = 0
; NumSgprs: 4
; NumVgprs: 0
; NumAgprs: 0
; TotalNumVgprs: 0
; ScratchSize: 0
; MemoryBound: 0
; FloatMode: 240
; IeeeMode: 1
; LDSByteSize: 0 bytes/workgroup (compile time only)
; SGPRBlocks: 0
; VGPRBlocks: 0
; NumSGPRsForWavesPerEU: 4
; NumVGPRsForWavesPerEU: 1
; AccumOffset: 4
; Occupancy: 8
; WaveLimiterHint : 0
; COMPUTE_PGM_RSRC2:SCRATCH_EN: 0
; COMPUTE_PGM_RSRC2:USER_SGPR: 6
; COMPUTE_PGM_RSRC2:TRAP_HANDLER: 0
; COMPUTE_PGM_RSRC2:TGID_X_EN: 1
; COMPUTE_PGM_RSRC2:TGID_Y_EN: 0
; COMPUTE_PGM_RSRC2:TGID_Z_EN: 0
; COMPUTE_PGM_RSRC2:TIDIG_COMP_CNT: 0
; COMPUTE_PGM_RSRC3_GFX90A:ACCUM_OFFSET: 0
; COMPUTE_PGM_RSRC3_GFX90A:TG_SPLIT: 0
	.section	.text._ZN7rocprim17ROCPRIM_400000_NS6detail17trampoline_kernelINS0_14default_configENS1_20scan_config_selectorIiEEZZNS1_9scan_implILNS1_25lookback_scan_determinismE0ELb0ELb1ES3_N6thrust23THRUST_200600_302600_NS6detail15normal_iteratorINS9_10device_ptrIiEEEESE_iNS9_10multipliesIiEEiEEDaPvRmT3_T4_T5_mT6_P12ihipStream_tbENKUlT_T0_E_clISt17integral_constantIbLb0EEST_IbLb1EEEEDaSP_SQ_EUlSP_E0_NS1_11comp_targetILNS1_3genE5ELNS1_11target_archE942ELNS1_3gpuE9ELNS1_3repE0EEENS1_30default_config_static_selectorELNS0_4arch9wavefront6targetE1EEEvT1_,"axG",@progbits,_ZN7rocprim17ROCPRIM_400000_NS6detail17trampoline_kernelINS0_14default_configENS1_20scan_config_selectorIiEEZZNS1_9scan_implILNS1_25lookback_scan_determinismE0ELb0ELb1ES3_N6thrust23THRUST_200600_302600_NS6detail15normal_iteratorINS9_10device_ptrIiEEEESE_iNS9_10multipliesIiEEiEEDaPvRmT3_T4_T5_mT6_P12ihipStream_tbENKUlT_T0_E_clISt17integral_constantIbLb0EEST_IbLb1EEEEDaSP_SQ_EUlSP_E0_NS1_11comp_targetILNS1_3genE5ELNS1_11target_archE942ELNS1_3gpuE9ELNS1_3repE0EEENS1_30default_config_static_selectorELNS0_4arch9wavefront6targetE1EEEvT1_,comdat
	.protected	_ZN7rocprim17ROCPRIM_400000_NS6detail17trampoline_kernelINS0_14default_configENS1_20scan_config_selectorIiEEZZNS1_9scan_implILNS1_25lookback_scan_determinismE0ELb0ELb1ES3_N6thrust23THRUST_200600_302600_NS6detail15normal_iteratorINS9_10device_ptrIiEEEESE_iNS9_10multipliesIiEEiEEDaPvRmT3_T4_T5_mT6_P12ihipStream_tbENKUlT_T0_E_clISt17integral_constantIbLb0EEST_IbLb1EEEEDaSP_SQ_EUlSP_E0_NS1_11comp_targetILNS1_3genE5ELNS1_11target_archE942ELNS1_3gpuE9ELNS1_3repE0EEENS1_30default_config_static_selectorELNS0_4arch9wavefront6targetE1EEEvT1_ ; -- Begin function _ZN7rocprim17ROCPRIM_400000_NS6detail17trampoline_kernelINS0_14default_configENS1_20scan_config_selectorIiEEZZNS1_9scan_implILNS1_25lookback_scan_determinismE0ELb0ELb1ES3_N6thrust23THRUST_200600_302600_NS6detail15normal_iteratorINS9_10device_ptrIiEEEESE_iNS9_10multipliesIiEEiEEDaPvRmT3_T4_T5_mT6_P12ihipStream_tbENKUlT_T0_E_clISt17integral_constantIbLb0EEST_IbLb1EEEEDaSP_SQ_EUlSP_E0_NS1_11comp_targetILNS1_3genE5ELNS1_11target_archE942ELNS1_3gpuE9ELNS1_3repE0EEENS1_30default_config_static_selectorELNS0_4arch9wavefront6targetE1EEEvT1_
	.globl	_ZN7rocprim17ROCPRIM_400000_NS6detail17trampoline_kernelINS0_14default_configENS1_20scan_config_selectorIiEEZZNS1_9scan_implILNS1_25lookback_scan_determinismE0ELb0ELb1ES3_N6thrust23THRUST_200600_302600_NS6detail15normal_iteratorINS9_10device_ptrIiEEEESE_iNS9_10multipliesIiEEiEEDaPvRmT3_T4_T5_mT6_P12ihipStream_tbENKUlT_T0_E_clISt17integral_constantIbLb0EEST_IbLb1EEEEDaSP_SQ_EUlSP_E0_NS1_11comp_targetILNS1_3genE5ELNS1_11target_archE942ELNS1_3gpuE9ELNS1_3repE0EEENS1_30default_config_static_selectorELNS0_4arch9wavefront6targetE1EEEvT1_
	.p2align	8
	.type	_ZN7rocprim17ROCPRIM_400000_NS6detail17trampoline_kernelINS0_14default_configENS1_20scan_config_selectorIiEEZZNS1_9scan_implILNS1_25lookback_scan_determinismE0ELb0ELb1ES3_N6thrust23THRUST_200600_302600_NS6detail15normal_iteratorINS9_10device_ptrIiEEEESE_iNS9_10multipliesIiEEiEEDaPvRmT3_T4_T5_mT6_P12ihipStream_tbENKUlT_T0_E_clISt17integral_constantIbLb0EEST_IbLb1EEEEDaSP_SQ_EUlSP_E0_NS1_11comp_targetILNS1_3genE5ELNS1_11target_archE942ELNS1_3gpuE9ELNS1_3repE0EEENS1_30default_config_static_selectorELNS0_4arch9wavefront6targetE1EEEvT1_,@function
_ZN7rocprim17ROCPRIM_400000_NS6detail17trampoline_kernelINS0_14default_configENS1_20scan_config_selectorIiEEZZNS1_9scan_implILNS1_25lookback_scan_determinismE0ELb0ELb1ES3_N6thrust23THRUST_200600_302600_NS6detail15normal_iteratorINS9_10device_ptrIiEEEESE_iNS9_10multipliesIiEEiEEDaPvRmT3_T4_T5_mT6_P12ihipStream_tbENKUlT_T0_E_clISt17integral_constantIbLb0EEST_IbLb1EEEEDaSP_SQ_EUlSP_E0_NS1_11comp_targetILNS1_3genE5ELNS1_11target_archE942ELNS1_3gpuE9ELNS1_3repE0EEENS1_30default_config_static_selectorELNS0_4arch9wavefront6targetE1EEEvT1_: ; @_ZN7rocprim17ROCPRIM_400000_NS6detail17trampoline_kernelINS0_14default_configENS1_20scan_config_selectorIiEEZZNS1_9scan_implILNS1_25lookback_scan_determinismE0ELb0ELb1ES3_N6thrust23THRUST_200600_302600_NS6detail15normal_iteratorINS9_10device_ptrIiEEEESE_iNS9_10multipliesIiEEiEEDaPvRmT3_T4_T5_mT6_P12ihipStream_tbENKUlT_T0_E_clISt17integral_constantIbLb0EEST_IbLb1EEEEDaSP_SQ_EUlSP_E0_NS1_11comp_targetILNS1_3genE5ELNS1_11target_archE942ELNS1_3gpuE9ELNS1_3repE0EEENS1_30default_config_static_selectorELNS0_4arch9wavefront6targetE1EEEvT1_
; %bb.0:
	.section	.rodata,"a",@progbits
	.p2align	6, 0x0
	.amdhsa_kernel _ZN7rocprim17ROCPRIM_400000_NS6detail17trampoline_kernelINS0_14default_configENS1_20scan_config_selectorIiEEZZNS1_9scan_implILNS1_25lookback_scan_determinismE0ELb0ELb1ES3_N6thrust23THRUST_200600_302600_NS6detail15normal_iteratorINS9_10device_ptrIiEEEESE_iNS9_10multipliesIiEEiEEDaPvRmT3_T4_T5_mT6_P12ihipStream_tbENKUlT_T0_E_clISt17integral_constantIbLb0EEST_IbLb1EEEEDaSP_SQ_EUlSP_E0_NS1_11comp_targetILNS1_3genE5ELNS1_11target_archE942ELNS1_3gpuE9ELNS1_3repE0EEENS1_30default_config_static_selectorELNS0_4arch9wavefront6targetE1EEEvT1_
		.amdhsa_group_segment_fixed_size 0
		.amdhsa_private_segment_fixed_size 0
		.amdhsa_kernarg_size 32
		.amdhsa_user_sgpr_count 6
		.amdhsa_user_sgpr_private_segment_buffer 1
		.amdhsa_user_sgpr_dispatch_ptr 0
		.amdhsa_user_sgpr_queue_ptr 0
		.amdhsa_user_sgpr_kernarg_segment_ptr 1
		.amdhsa_user_sgpr_dispatch_id 0
		.amdhsa_user_sgpr_flat_scratch_init 0
		.amdhsa_user_sgpr_kernarg_preload_length 0
		.amdhsa_user_sgpr_kernarg_preload_offset 0
		.amdhsa_user_sgpr_private_segment_size 0
		.amdhsa_uses_dynamic_stack 0
		.amdhsa_system_sgpr_private_segment_wavefront_offset 0
		.amdhsa_system_sgpr_workgroup_id_x 1
		.amdhsa_system_sgpr_workgroup_id_y 0
		.amdhsa_system_sgpr_workgroup_id_z 0
		.amdhsa_system_sgpr_workgroup_info 0
		.amdhsa_system_vgpr_workitem_id 0
		.amdhsa_next_free_vgpr 1
		.amdhsa_next_free_sgpr 0
		.amdhsa_accum_offset 4
		.amdhsa_reserve_vcc 0
		.amdhsa_reserve_flat_scratch 0
		.amdhsa_float_round_mode_32 0
		.amdhsa_float_round_mode_16_64 0
		.amdhsa_float_denorm_mode_32 3
		.amdhsa_float_denorm_mode_16_64 3
		.amdhsa_dx10_clamp 1
		.amdhsa_ieee_mode 1
		.amdhsa_fp16_overflow 0
		.amdhsa_tg_split 0
		.amdhsa_exception_fp_ieee_invalid_op 0
		.amdhsa_exception_fp_denorm_src 0
		.amdhsa_exception_fp_ieee_div_zero 0
		.amdhsa_exception_fp_ieee_overflow 0
		.amdhsa_exception_fp_ieee_underflow 0
		.amdhsa_exception_fp_ieee_inexact 0
		.amdhsa_exception_int_div_zero 0
	.end_amdhsa_kernel
	.section	.text._ZN7rocprim17ROCPRIM_400000_NS6detail17trampoline_kernelINS0_14default_configENS1_20scan_config_selectorIiEEZZNS1_9scan_implILNS1_25lookback_scan_determinismE0ELb0ELb1ES3_N6thrust23THRUST_200600_302600_NS6detail15normal_iteratorINS9_10device_ptrIiEEEESE_iNS9_10multipliesIiEEiEEDaPvRmT3_T4_T5_mT6_P12ihipStream_tbENKUlT_T0_E_clISt17integral_constantIbLb0EEST_IbLb1EEEEDaSP_SQ_EUlSP_E0_NS1_11comp_targetILNS1_3genE5ELNS1_11target_archE942ELNS1_3gpuE9ELNS1_3repE0EEENS1_30default_config_static_selectorELNS0_4arch9wavefront6targetE1EEEvT1_,"axG",@progbits,_ZN7rocprim17ROCPRIM_400000_NS6detail17trampoline_kernelINS0_14default_configENS1_20scan_config_selectorIiEEZZNS1_9scan_implILNS1_25lookback_scan_determinismE0ELb0ELb1ES3_N6thrust23THRUST_200600_302600_NS6detail15normal_iteratorINS9_10device_ptrIiEEEESE_iNS9_10multipliesIiEEiEEDaPvRmT3_T4_T5_mT6_P12ihipStream_tbENKUlT_T0_E_clISt17integral_constantIbLb0EEST_IbLb1EEEEDaSP_SQ_EUlSP_E0_NS1_11comp_targetILNS1_3genE5ELNS1_11target_archE942ELNS1_3gpuE9ELNS1_3repE0EEENS1_30default_config_static_selectorELNS0_4arch9wavefront6targetE1EEEvT1_,comdat
.Lfunc_end652:
	.size	_ZN7rocprim17ROCPRIM_400000_NS6detail17trampoline_kernelINS0_14default_configENS1_20scan_config_selectorIiEEZZNS1_9scan_implILNS1_25lookback_scan_determinismE0ELb0ELb1ES3_N6thrust23THRUST_200600_302600_NS6detail15normal_iteratorINS9_10device_ptrIiEEEESE_iNS9_10multipliesIiEEiEEDaPvRmT3_T4_T5_mT6_P12ihipStream_tbENKUlT_T0_E_clISt17integral_constantIbLb0EEST_IbLb1EEEEDaSP_SQ_EUlSP_E0_NS1_11comp_targetILNS1_3genE5ELNS1_11target_archE942ELNS1_3gpuE9ELNS1_3repE0EEENS1_30default_config_static_selectorELNS0_4arch9wavefront6targetE1EEEvT1_, .Lfunc_end652-_ZN7rocprim17ROCPRIM_400000_NS6detail17trampoline_kernelINS0_14default_configENS1_20scan_config_selectorIiEEZZNS1_9scan_implILNS1_25lookback_scan_determinismE0ELb0ELb1ES3_N6thrust23THRUST_200600_302600_NS6detail15normal_iteratorINS9_10device_ptrIiEEEESE_iNS9_10multipliesIiEEiEEDaPvRmT3_T4_T5_mT6_P12ihipStream_tbENKUlT_T0_E_clISt17integral_constantIbLb0EEST_IbLb1EEEEDaSP_SQ_EUlSP_E0_NS1_11comp_targetILNS1_3genE5ELNS1_11target_archE942ELNS1_3gpuE9ELNS1_3repE0EEENS1_30default_config_static_selectorELNS0_4arch9wavefront6targetE1EEEvT1_
                                        ; -- End function
	.section	.AMDGPU.csdata,"",@progbits
; Kernel info:
; codeLenInByte = 0
; NumSgprs: 4
; NumVgprs: 0
; NumAgprs: 0
; TotalNumVgprs: 0
; ScratchSize: 0
; MemoryBound: 0
; FloatMode: 240
; IeeeMode: 1
; LDSByteSize: 0 bytes/workgroup (compile time only)
; SGPRBlocks: 0
; VGPRBlocks: 0
; NumSGPRsForWavesPerEU: 4
; NumVGPRsForWavesPerEU: 1
; AccumOffset: 4
; Occupancy: 8
; WaveLimiterHint : 0
; COMPUTE_PGM_RSRC2:SCRATCH_EN: 0
; COMPUTE_PGM_RSRC2:USER_SGPR: 6
; COMPUTE_PGM_RSRC2:TRAP_HANDLER: 0
; COMPUTE_PGM_RSRC2:TGID_X_EN: 1
; COMPUTE_PGM_RSRC2:TGID_Y_EN: 0
; COMPUTE_PGM_RSRC2:TGID_Z_EN: 0
; COMPUTE_PGM_RSRC2:TIDIG_COMP_CNT: 0
; COMPUTE_PGM_RSRC3_GFX90A:ACCUM_OFFSET: 0
; COMPUTE_PGM_RSRC3_GFX90A:TG_SPLIT: 0
	.section	.text._ZN7rocprim17ROCPRIM_400000_NS6detail17trampoline_kernelINS0_14default_configENS1_20scan_config_selectorIiEEZZNS1_9scan_implILNS1_25lookback_scan_determinismE0ELb0ELb1ES3_N6thrust23THRUST_200600_302600_NS6detail15normal_iteratorINS9_10device_ptrIiEEEESE_iNS9_10multipliesIiEEiEEDaPvRmT3_T4_T5_mT6_P12ihipStream_tbENKUlT_T0_E_clISt17integral_constantIbLb0EEST_IbLb1EEEEDaSP_SQ_EUlSP_E0_NS1_11comp_targetILNS1_3genE4ELNS1_11target_archE910ELNS1_3gpuE8ELNS1_3repE0EEENS1_30default_config_static_selectorELNS0_4arch9wavefront6targetE1EEEvT1_,"axG",@progbits,_ZN7rocprim17ROCPRIM_400000_NS6detail17trampoline_kernelINS0_14default_configENS1_20scan_config_selectorIiEEZZNS1_9scan_implILNS1_25lookback_scan_determinismE0ELb0ELb1ES3_N6thrust23THRUST_200600_302600_NS6detail15normal_iteratorINS9_10device_ptrIiEEEESE_iNS9_10multipliesIiEEiEEDaPvRmT3_T4_T5_mT6_P12ihipStream_tbENKUlT_T0_E_clISt17integral_constantIbLb0EEST_IbLb1EEEEDaSP_SQ_EUlSP_E0_NS1_11comp_targetILNS1_3genE4ELNS1_11target_archE910ELNS1_3gpuE8ELNS1_3repE0EEENS1_30default_config_static_selectorELNS0_4arch9wavefront6targetE1EEEvT1_,comdat
	.protected	_ZN7rocprim17ROCPRIM_400000_NS6detail17trampoline_kernelINS0_14default_configENS1_20scan_config_selectorIiEEZZNS1_9scan_implILNS1_25lookback_scan_determinismE0ELb0ELb1ES3_N6thrust23THRUST_200600_302600_NS6detail15normal_iteratorINS9_10device_ptrIiEEEESE_iNS9_10multipliesIiEEiEEDaPvRmT3_T4_T5_mT6_P12ihipStream_tbENKUlT_T0_E_clISt17integral_constantIbLb0EEST_IbLb1EEEEDaSP_SQ_EUlSP_E0_NS1_11comp_targetILNS1_3genE4ELNS1_11target_archE910ELNS1_3gpuE8ELNS1_3repE0EEENS1_30default_config_static_selectorELNS0_4arch9wavefront6targetE1EEEvT1_ ; -- Begin function _ZN7rocprim17ROCPRIM_400000_NS6detail17trampoline_kernelINS0_14default_configENS1_20scan_config_selectorIiEEZZNS1_9scan_implILNS1_25lookback_scan_determinismE0ELb0ELb1ES3_N6thrust23THRUST_200600_302600_NS6detail15normal_iteratorINS9_10device_ptrIiEEEESE_iNS9_10multipliesIiEEiEEDaPvRmT3_T4_T5_mT6_P12ihipStream_tbENKUlT_T0_E_clISt17integral_constantIbLb0EEST_IbLb1EEEEDaSP_SQ_EUlSP_E0_NS1_11comp_targetILNS1_3genE4ELNS1_11target_archE910ELNS1_3gpuE8ELNS1_3repE0EEENS1_30default_config_static_selectorELNS0_4arch9wavefront6targetE1EEEvT1_
	.globl	_ZN7rocprim17ROCPRIM_400000_NS6detail17trampoline_kernelINS0_14default_configENS1_20scan_config_selectorIiEEZZNS1_9scan_implILNS1_25lookback_scan_determinismE0ELb0ELb1ES3_N6thrust23THRUST_200600_302600_NS6detail15normal_iteratorINS9_10device_ptrIiEEEESE_iNS9_10multipliesIiEEiEEDaPvRmT3_T4_T5_mT6_P12ihipStream_tbENKUlT_T0_E_clISt17integral_constantIbLb0EEST_IbLb1EEEEDaSP_SQ_EUlSP_E0_NS1_11comp_targetILNS1_3genE4ELNS1_11target_archE910ELNS1_3gpuE8ELNS1_3repE0EEENS1_30default_config_static_selectorELNS0_4arch9wavefront6targetE1EEEvT1_
	.p2align	8
	.type	_ZN7rocprim17ROCPRIM_400000_NS6detail17trampoline_kernelINS0_14default_configENS1_20scan_config_selectorIiEEZZNS1_9scan_implILNS1_25lookback_scan_determinismE0ELb0ELb1ES3_N6thrust23THRUST_200600_302600_NS6detail15normal_iteratorINS9_10device_ptrIiEEEESE_iNS9_10multipliesIiEEiEEDaPvRmT3_T4_T5_mT6_P12ihipStream_tbENKUlT_T0_E_clISt17integral_constantIbLb0EEST_IbLb1EEEEDaSP_SQ_EUlSP_E0_NS1_11comp_targetILNS1_3genE4ELNS1_11target_archE910ELNS1_3gpuE8ELNS1_3repE0EEENS1_30default_config_static_selectorELNS0_4arch9wavefront6targetE1EEEvT1_,@function
_ZN7rocprim17ROCPRIM_400000_NS6detail17trampoline_kernelINS0_14default_configENS1_20scan_config_selectorIiEEZZNS1_9scan_implILNS1_25lookback_scan_determinismE0ELb0ELb1ES3_N6thrust23THRUST_200600_302600_NS6detail15normal_iteratorINS9_10device_ptrIiEEEESE_iNS9_10multipliesIiEEiEEDaPvRmT3_T4_T5_mT6_P12ihipStream_tbENKUlT_T0_E_clISt17integral_constantIbLb0EEST_IbLb1EEEEDaSP_SQ_EUlSP_E0_NS1_11comp_targetILNS1_3genE4ELNS1_11target_archE910ELNS1_3gpuE8ELNS1_3repE0EEENS1_30default_config_static_selectorELNS0_4arch9wavefront6targetE1EEEvT1_: ; @_ZN7rocprim17ROCPRIM_400000_NS6detail17trampoline_kernelINS0_14default_configENS1_20scan_config_selectorIiEEZZNS1_9scan_implILNS1_25lookback_scan_determinismE0ELb0ELb1ES3_N6thrust23THRUST_200600_302600_NS6detail15normal_iteratorINS9_10device_ptrIiEEEESE_iNS9_10multipliesIiEEiEEDaPvRmT3_T4_T5_mT6_P12ihipStream_tbENKUlT_T0_E_clISt17integral_constantIbLb0EEST_IbLb1EEEEDaSP_SQ_EUlSP_E0_NS1_11comp_targetILNS1_3genE4ELNS1_11target_archE910ELNS1_3gpuE8ELNS1_3repE0EEENS1_30default_config_static_selectorELNS0_4arch9wavefront6targetE1EEEvT1_
; %bb.0:
	s_load_dwordx4 s[20:23], s[4:5], 0x0
	v_lshlrev_b32_e32 v18, 2, v0
	s_waitcnt lgkmcnt(0)
	s_load_dword s23, s[20:21], 0x0
	v_cmp_gt_u32_e32 vcc, s22, v0
	s_waitcnt lgkmcnt(0)
	v_mov_b32_e32 v1, s23
	s_and_saveexec_b64 s[0:1], vcc
	s_cbranch_execz .LBB653_2
; %bb.1:
	global_load_dword v1, v18, s[20:21]
.LBB653_2:
	s_or_b64 exec, exec, s[0:1]
	v_or_b32_e32 v2, 0x80, v0
	v_cmp_gt_u32_e64 s[0:1], s22, v2
	v_mov_b32_e32 v2, s23
	s_and_saveexec_b64 s[2:3], s[0:1]
	s_cbranch_execz .LBB653_4
; %bb.3:
	global_load_dword v2, v18, s[20:21] offset:512
.LBB653_4:
	s_or_b64 exec, exec, s[2:3]
	v_or_b32_e32 v3, 0x100, v0
	v_cmp_gt_u32_e64 s[2:3], s22, v3
	v_mov_b32_e32 v3, s23
	s_and_saveexec_b64 s[6:7], s[2:3]
	s_cbranch_execz .LBB653_6
; %bb.5:
	global_load_dword v3, v18, s[20:21] offset:1024
.LBB653_6:
	;; [unrolled: 9-line block ×7, first 2 shown]
	s_or_b64 exec, exec, s[14:15]
	v_or_b32_e32 v10, 0x400, v0
	v_cmp_gt_u32_e64 s[14:15], s22, v10
	v_mov_b32_e32 v9, s23
	s_and_saveexec_b64 s[16:17], s[14:15]
	s_cbranch_execz .LBB653_18
; %bb.17:
	v_lshlrev_b32_e32 v9, 2, v10
	global_load_dword v9, v9, s[20:21]
.LBB653_18:
	s_or_b64 exec, exec, s[16:17]
	v_or_b32_e32 v11, 0x480, v0
	v_cmp_gt_u32_e64 s[16:17], s22, v11
	v_mov_b32_e32 v10, s23
	s_and_saveexec_b64 s[22:23], s[16:17]
	s_cbranch_execz .LBB653_20
; %bb.19:
	v_lshlrev_b32_e32 v10, 2, v11
	global_load_dword v10, v10, s[20:21]
.LBB653_20:
	s_or_b64 exec, exec, s[22:23]
	s_waitcnt vmcnt(0)
	ds_write2st64_b32 v18, v1, v2 offset1:2
	ds_write2st64_b32 v18, v3, v4 offset0:4 offset1:6
	ds_write2st64_b32 v18, v5, v6 offset0:8 offset1:10
	ds_write2st64_b32 v18, v7, v8 offset0:12 offset1:14
	ds_write2st64_b32 v18, v9, v10 offset0:16 offset1:18
	v_mad_u32_u24 v1, v0, 36, v18
	s_waitcnt lgkmcnt(0)
	s_barrier
	ds_read2_b64 v[6:9], v1 offset1:1
	ds_read2_b64 v[2:5], v1 offset0:2 offset1:3
	ds_read_b64 v[10:11], v1 offset:32
	v_lshrrev_b32_e32 v20, 3, v0
	v_and_b32_e32 v20, 12, v20
	s_waitcnt lgkmcnt(2)
	v_mul_lo_u32 v1, v7, v6
	v_mul_lo_u32 v12, v1, v8
	;; [unrolled: 1-line block ×3, first 2 shown]
	s_waitcnt lgkmcnt(1)
	v_mul_lo_u32 v14, v13, v2
	v_mul_lo_u32 v17, v14, v3
	;; [unrolled: 1-line block ×4, first 2 shown]
	s_waitcnt lgkmcnt(0)
	v_mul_lo_u32 v19, v15, v10
	v_mul_lo_u32 v19, v19, v11
	v_add_u32_e32 v20, v18, v20
	v_cmp_gt_u32_e64 s[20:21], 64, v0
	s_barrier
	ds_write_b32 v20, v19
	s_waitcnt lgkmcnt(0)
	s_barrier
	s_and_saveexec_b64 s[22:23], s[20:21]
	s_cbranch_execz .LBB653_22
; %bb.21:
	v_lshlrev_b32_e32 v20, 1, v0
	v_lshrrev_b32_e32 v21, 4, v0
	v_add_lshl_u32 v22, v21, v20, 2
	ds_read2_b32 v[20:21], v22 offset1:1
	v_mbcnt_lo_u32_b32 v23, -1, 0
	v_mbcnt_hi_u32_b32 v23, -1, v23
	v_and_b32_e32 v24, 15, v23
	v_cmp_ne_u32_e64 s[20:21], 0, v24
	s_waitcnt lgkmcnt(0)
	v_mul_lo_u32 v21, v21, v20
	; wave barrier
	s_nop 1
	v_mov_b32_dpp v25, v21 row_shr:1 row_mask:0xf bank_mask:0xf
	v_cndmask_b32_e64 v25, 1, v25, s[20:21]
	v_mul_lo_u32 v21, v25, v21
	v_cmp_lt_u32_e64 s[20:21], 1, v24
	s_nop 0
	v_mov_b32_dpp v25, v21 row_shr:2 row_mask:0xf bank_mask:0xf
	v_cndmask_b32_e64 v25, 1, v25, s[20:21]
	v_mul_lo_u32 v21, v21, v25
	v_cmp_lt_u32_e64 s[20:21], 3, v24
	;; [unrolled: 5-line block ×3, first 2 shown]
	s_nop 0
	v_mov_b32_dpp v25, v21 row_shr:8 row_mask:0xf bank_mask:0xf
	v_cndmask_b32_e64 v24, 1, v25, s[20:21]
	v_mul_lo_u32 v21, v21, v24
	v_and_b32_e32 v25, 16, v23
	v_cmp_ne_u32_e64 s[20:21], 0, v25
	v_mov_b32_dpp v24, v21 row_bcast:15 row_mask:0xf bank_mask:0xf
	v_cndmask_b32_e64 v24, 1, v24, s[20:21]
	v_mul_lo_u32 v21, v21, v24
	v_cmp_lt_u32_e64 s[20:21], 31, v23
	v_and_b32_e32 v25, 64, v23
	v_mov_b32_dpp v24, v21 row_bcast:31 row_mask:0xf bank_mask:0xf
	v_cndmask_b32_e64 v24, 1, v24, s[20:21]
	v_mul_lo_u32 v21, v21, v24
	v_add_u32_e32 v24, -1, v23
	v_cmp_lt_i32_e64 s[20:21], v24, v25
	v_cndmask_b32_e64 v23, v24, v23, s[20:21]
	v_lshlrev_b32_e32 v23, 2, v23
	ds_bpermute_b32 v21, v23, v21
	v_cmp_eq_u32_e64 s[20:21], 0, v0
	s_waitcnt lgkmcnt(0)
	v_mul_lo_u32 v20, v21, v20
	v_cndmask_b32_e64 v20, v20, v19, s[20:21]
	ds_write_b32 v22, v20
	; wave barrier
	ds_read_b32 v21, v22 offset:4
	s_waitcnt lgkmcnt(0)
	v_mul_lo_u32 v20, v21, v20
	ds_write_b32 v22, v20 offset:4
.LBB653_22:
	s_or_b64 exec, exec, s[22:23]
	s_load_dwordx2 s[22:23], s[4:5], 0x18
	v_cmp_ne_u32_e64 s[20:21], 0, v0
	s_waitcnt lgkmcnt(0)
	s_barrier
	s_and_saveexec_b64 s[24:25], s[20:21]
	s_cbranch_execz .LBB653_24
; %bb.23:
	v_add_u32_e32 v19, -1, v0
	v_lshrrev_b32_e32 v20, 5, v19
	v_add_lshl_u32 v19, v20, v19, 2
	ds_read_b32 v19, v19
.LBB653_24:
	s_or_b64 exec, exec, s[24:25]
	s_load_dword s24, s[4:5], 0x10
	v_mul_u32_u24_e32 v20, 36, v0
	v_mov_b32_e32 v0, v6
	s_and_saveexec_b64 s[4:5], s[20:21]
	s_cbranch_execz .LBB653_26
; %bb.25:
	s_waitcnt lgkmcnt(0)
	v_mul_lo_u32 v0, v19, v6
	v_mul_lo_u32 v1, v0, v7
	;; [unrolled: 1-line block ×8, first 2 shown]
	;;#ASMSTART
	;;#ASMEND
.LBB653_26:
	s_or_b64 exec, exec, s[4:5]
	s_waitcnt lgkmcnt(0)
	v_mul_lo_u32 v8, v10, s24
	v_mul_lo_u32 v8, v8, v15
	;; [unrolled: 1-line block ×11, first 2 shown]
	v_add_u32_e32 v10, v18, v20
	s_barrier
	ds_write2_b64 v10, v[0:1], v[2:3] offset1:1
	ds_write2_b64 v10, v[4:5], v[6:7] offset0:2 offset1:3
	ds_write_b64 v10, v[8:9] offset:32
	s_waitcnt lgkmcnt(0)
	s_barrier
	ds_read2st64_b32 v[8:9], v18 offset0:2 offset1:4
	ds_read2st64_b32 v[6:7], v18 offset0:6 offset1:8
	;; [unrolled: 1-line block ×4, first 2 shown]
	ds_read_b32 v10, v18 offset:4608
	v_mov_b32_e32 v1, s23
	v_add_co_u32_e64 v0, s[4:5], s22, v18
	v_addc_co_u32_e64 v1, s[4:5], 0, v1, s[4:5]
	s_and_saveexec_b64 s[4:5], vcc
	s_cbranch_execnz .LBB653_37
; %bb.27:
	s_or_b64 exec, exec, s[4:5]
	s_and_saveexec_b64 s[4:5], s[0:1]
	s_cbranch_execnz .LBB653_38
.LBB653_28:
	s_or_b64 exec, exec, s[4:5]
	s_and_saveexec_b64 s[0:1], s[2:3]
	s_cbranch_execnz .LBB653_39
.LBB653_29:
	s_or_b64 exec, exec, s[0:1]
	s_and_saveexec_b64 s[0:1], s[18:19]
	s_cbranch_execnz .LBB653_40
.LBB653_30:
	s_or_b64 exec, exec, s[0:1]
	s_and_saveexec_b64 s[0:1], s[6:7]
	s_cbranch_execnz .LBB653_41
.LBB653_31:
	s_or_b64 exec, exec, s[0:1]
	s_and_saveexec_b64 s[0:1], s[8:9]
	s_cbranch_execnz .LBB653_42
.LBB653_32:
	s_or_b64 exec, exec, s[0:1]
	s_and_saveexec_b64 s[0:1], s[10:11]
	s_cbranch_execnz .LBB653_43
.LBB653_33:
	s_or_b64 exec, exec, s[0:1]
	s_and_saveexec_b64 s[0:1], s[12:13]
	s_cbranch_execnz .LBB653_44
.LBB653_34:
	s_or_b64 exec, exec, s[0:1]
	s_and_saveexec_b64 s[0:1], s[14:15]
	s_cbranch_execnz .LBB653_45
.LBB653_35:
	s_or_b64 exec, exec, s[0:1]
	s_and_saveexec_b64 s[0:1], s[16:17]
	s_cbranch_execnz .LBB653_46
.LBB653_36:
	s_endpgm
.LBB653_37:
	ds_read_b32 v11, v18
	s_waitcnt lgkmcnt(0)
	global_store_dword v[0:1], v11, off
	s_or_b64 exec, exec, s[4:5]
	s_and_saveexec_b64 s[4:5], s[0:1]
	s_cbranch_execz .LBB653_28
.LBB653_38:
	s_waitcnt lgkmcnt(4)
	global_store_dword v[0:1], v8, off offset:512
	s_or_b64 exec, exec, s[4:5]
	s_and_saveexec_b64 s[0:1], s[2:3]
	s_cbranch_execz .LBB653_29
.LBB653_39:
	s_waitcnt lgkmcnt(4)
	global_store_dword v[0:1], v9, off offset:1024
	s_or_b64 exec, exec, s[0:1]
	s_and_saveexec_b64 s[0:1], s[18:19]
	s_cbranch_execz .LBB653_30
.LBB653_40:
	s_waitcnt lgkmcnt(3)
	global_store_dword v[0:1], v6, off offset:1536
	s_or_b64 exec, exec, s[0:1]
	s_and_saveexec_b64 s[0:1], s[6:7]
	s_cbranch_execz .LBB653_31
.LBB653_41:
	s_waitcnt lgkmcnt(3)
	global_store_dword v[0:1], v7, off offset:2048
	s_or_b64 exec, exec, s[0:1]
	s_and_saveexec_b64 s[0:1], s[8:9]
	s_cbranch_execz .LBB653_32
.LBB653_42:
	s_waitcnt lgkmcnt(2)
	global_store_dword v[0:1], v4, off offset:2560
	s_or_b64 exec, exec, s[0:1]
	s_and_saveexec_b64 s[0:1], s[10:11]
	s_cbranch_execz .LBB653_33
.LBB653_43:
	s_waitcnt lgkmcnt(2)
	global_store_dword v[0:1], v5, off offset:3072
	s_or_b64 exec, exec, s[0:1]
	s_and_saveexec_b64 s[0:1], s[12:13]
	s_cbranch_execz .LBB653_34
.LBB653_44:
	s_waitcnt lgkmcnt(1)
	global_store_dword v[0:1], v2, off offset:3584
	s_or_b64 exec, exec, s[0:1]
	s_and_saveexec_b64 s[0:1], s[14:15]
	s_cbranch_execz .LBB653_35
.LBB653_45:
	s_waitcnt lgkmcnt(2)
	v_add_co_u32_e32 v4, vcc, 0x1000, v0
	v_addc_co_u32_e32 v5, vcc, 0, v1, vcc
	s_waitcnt lgkmcnt(1)
	global_store_dword v[4:5], v3, off
	s_or_b64 exec, exec, s[0:1]
	s_and_saveexec_b64 s[0:1], s[16:17]
	s_cbranch_execz .LBB653_36
.LBB653_46:
	v_add_co_u32_e32 v0, vcc, 0x1000, v0
	v_addc_co_u32_e32 v1, vcc, 0, v1, vcc
	s_waitcnt lgkmcnt(0)
	global_store_dword v[0:1], v10, off offset:512
	s_endpgm
	.section	.rodata,"a",@progbits
	.p2align	6, 0x0
	.amdhsa_kernel _ZN7rocprim17ROCPRIM_400000_NS6detail17trampoline_kernelINS0_14default_configENS1_20scan_config_selectorIiEEZZNS1_9scan_implILNS1_25lookback_scan_determinismE0ELb0ELb1ES3_N6thrust23THRUST_200600_302600_NS6detail15normal_iteratorINS9_10device_ptrIiEEEESE_iNS9_10multipliesIiEEiEEDaPvRmT3_T4_T5_mT6_P12ihipStream_tbENKUlT_T0_E_clISt17integral_constantIbLb0EEST_IbLb1EEEEDaSP_SQ_EUlSP_E0_NS1_11comp_targetILNS1_3genE4ELNS1_11target_archE910ELNS1_3gpuE8ELNS1_3repE0EEENS1_30default_config_static_selectorELNS0_4arch9wavefront6targetE1EEEvT1_
		.amdhsa_group_segment_fixed_size 5120
		.amdhsa_private_segment_fixed_size 0
		.amdhsa_kernarg_size 32
		.amdhsa_user_sgpr_count 6
		.amdhsa_user_sgpr_private_segment_buffer 1
		.amdhsa_user_sgpr_dispatch_ptr 0
		.amdhsa_user_sgpr_queue_ptr 0
		.amdhsa_user_sgpr_kernarg_segment_ptr 1
		.amdhsa_user_sgpr_dispatch_id 0
		.amdhsa_user_sgpr_flat_scratch_init 0
		.amdhsa_user_sgpr_kernarg_preload_length 0
		.amdhsa_user_sgpr_kernarg_preload_offset 0
		.amdhsa_user_sgpr_private_segment_size 0
		.amdhsa_uses_dynamic_stack 0
		.amdhsa_system_sgpr_private_segment_wavefront_offset 0
		.amdhsa_system_sgpr_workgroup_id_x 1
		.amdhsa_system_sgpr_workgroup_id_y 0
		.amdhsa_system_sgpr_workgroup_id_z 0
		.amdhsa_system_sgpr_workgroup_info 0
		.amdhsa_system_vgpr_workitem_id 0
		.amdhsa_next_free_vgpr 26
		.amdhsa_next_free_sgpr 26
		.amdhsa_accum_offset 28
		.amdhsa_reserve_vcc 1
		.amdhsa_reserve_flat_scratch 0
		.amdhsa_float_round_mode_32 0
		.amdhsa_float_round_mode_16_64 0
		.amdhsa_float_denorm_mode_32 3
		.amdhsa_float_denorm_mode_16_64 3
		.amdhsa_dx10_clamp 1
		.amdhsa_ieee_mode 1
		.amdhsa_fp16_overflow 0
		.amdhsa_tg_split 0
		.amdhsa_exception_fp_ieee_invalid_op 0
		.amdhsa_exception_fp_denorm_src 0
		.amdhsa_exception_fp_ieee_div_zero 0
		.amdhsa_exception_fp_ieee_overflow 0
		.amdhsa_exception_fp_ieee_underflow 0
		.amdhsa_exception_fp_ieee_inexact 0
		.amdhsa_exception_int_div_zero 0
	.end_amdhsa_kernel
	.section	.text._ZN7rocprim17ROCPRIM_400000_NS6detail17trampoline_kernelINS0_14default_configENS1_20scan_config_selectorIiEEZZNS1_9scan_implILNS1_25lookback_scan_determinismE0ELb0ELb1ES3_N6thrust23THRUST_200600_302600_NS6detail15normal_iteratorINS9_10device_ptrIiEEEESE_iNS9_10multipliesIiEEiEEDaPvRmT3_T4_T5_mT6_P12ihipStream_tbENKUlT_T0_E_clISt17integral_constantIbLb0EEST_IbLb1EEEEDaSP_SQ_EUlSP_E0_NS1_11comp_targetILNS1_3genE4ELNS1_11target_archE910ELNS1_3gpuE8ELNS1_3repE0EEENS1_30default_config_static_selectorELNS0_4arch9wavefront6targetE1EEEvT1_,"axG",@progbits,_ZN7rocprim17ROCPRIM_400000_NS6detail17trampoline_kernelINS0_14default_configENS1_20scan_config_selectorIiEEZZNS1_9scan_implILNS1_25lookback_scan_determinismE0ELb0ELb1ES3_N6thrust23THRUST_200600_302600_NS6detail15normal_iteratorINS9_10device_ptrIiEEEESE_iNS9_10multipliesIiEEiEEDaPvRmT3_T4_T5_mT6_P12ihipStream_tbENKUlT_T0_E_clISt17integral_constantIbLb0EEST_IbLb1EEEEDaSP_SQ_EUlSP_E0_NS1_11comp_targetILNS1_3genE4ELNS1_11target_archE910ELNS1_3gpuE8ELNS1_3repE0EEENS1_30default_config_static_selectorELNS0_4arch9wavefront6targetE1EEEvT1_,comdat
.Lfunc_end653:
	.size	_ZN7rocprim17ROCPRIM_400000_NS6detail17trampoline_kernelINS0_14default_configENS1_20scan_config_selectorIiEEZZNS1_9scan_implILNS1_25lookback_scan_determinismE0ELb0ELb1ES3_N6thrust23THRUST_200600_302600_NS6detail15normal_iteratorINS9_10device_ptrIiEEEESE_iNS9_10multipliesIiEEiEEDaPvRmT3_T4_T5_mT6_P12ihipStream_tbENKUlT_T0_E_clISt17integral_constantIbLb0EEST_IbLb1EEEEDaSP_SQ_EUlSP_E0_NS1_11comp_targetILNS1_3genE4ELNS1_11target_archE910ELNS1_3gpuE8ELNS1_3repE0EEENS1_30default_config_static_selectorELNS0_4arch9wavefront6targetE1EEEvT1_, .Lfunc_end653-_ZN7rocprim17ROCPRIM_400000_NS6detail17trampoline_kernelINS0_14default_configENS1_20scan_config_selectorIiEEZZNS1_9scan_implILNS1_25lookback_scan_determinismE0ELb0ELb1ES3_N6thrust23THRUST_200600_302600_NS6detail15normal_iteratorINS9_10device_ptrIiEEEESE_iNS9_10multipliesIiEEiEEDaPvRmT3_T4_T5_mT6_P12ihipStream_tbENKUlT_T0_E_clISt17integral_constantIbLb0EEST_IbLb1EEEEDaSP_SQ_EUlSP_E0_NS1_11comp_targetILNS1_3genE4ELNS1_11target_archE910ELNS1_3gpuE8ELNS1_3repE0EEENS1_30default_config_static_selectorELNS0_4arch9wavefront6targetE1EEEvT1_
                                        ; -- End function
	.section	.AMDGPU.csdata,"",@progbits
; Kernel info:
; codeLenInByte = 1748
; NumSgprs: 30
; NumVgprs: 26
; NumAgprs: 0
; TotalNumVgprs: 26
; ScratchSize: 0
; MemoryBound: 0
; FloatMode: 240
; IeeeMode: 1
; LDSByteSize: 5120 bytes/workgroup (compile time only)
; SGPRBlocks: 3
; VGPRBlocks: 3
; NumSGPRsForWavesPerEU: 30
; NumVGPRsForWavesPerEU: 26
; AccumOffset: 28
; Occupancy: 6
; WaveLimiterHint : 0
; COMPUTE_PGM_RSRC2:SCRATCH_EN: 0
; COMPUTE_PGM_RSRC2:USER_SGPR: 6
; COMPUTE_PGM_RSRC2:TRAP_HANDLER: 0
; COMPUTE_PGM_RSRC2:TGID_X_EN: 1
; COMPUTE_PGM_RSRC2:TGID_Y_EN: 0
; COMPUTE_PGM_RSRC2:TGID_Z_EN: 0
; COMPUTE_PGM_RSRC2:TIDIG_COMP_CNT: 0
; COMPUTE_PGM_RSRC3_GFX90A:ACCUM_OFFSET: 6
; COMPUTE_PGM_RSRC3_GFX90A:TG_SPLIT: 0
	.section	.text._ZN7rocprim17ROCPRIM_400000_NS6detail17trampoline_kernelINS0_14default_configENS1_20scan_config_selectorIiEEZZNS1_9scan_implILNS1_25lookback_scan_determinismE0ELb0ELb1ES3_N6thrust23THRUST_200600_302600_NS6detail15normal_iteratorINS9_10device_ptrIiEEEESE_iNS9_10multipliesIiEEiEEDaPvRmT3_T4_T5_mT6_P12ihipStream_tbENKUlT_T0_E_clISt17integral_constantIbLb0EEST_IbLb1EEEEDaSP_SQ_EUlSP_E0_NS1_11comp_targetILNS1_3genE3ELNS1_11target_archE908ELNS1_3gpuE7ELNS1_3repE0EEENS1_30default_config_static_selectorELNS0_4arch9wavefront6targetE1EEEvT1_,"axG",@progbits,_ZN7rocprim17ROCPRIM_400000_NS6detail17trampoline_kernelINS0_14default_configENS1_20scan_config_selectorIiEEZZNS1_9scan_implILNS1_25lookback_scan_determinismE0ELb0ELb1ES3_N6thrust23THRUST_200600_302600_NS6detail15normal_iteratorINS9_10device_ptrIiEEEESE_iNS9_10multipliesIiEEiEEDaPvRmT3_T4_T5_mT6_P12ihipStream_tbENKUlT_T0_E_clISt17integral_constantIbLb0EEST_IbLb1EEEEDaSP_SQ_EUlSP_E0_NS1_11comp_targetILNS1_3genE3ELNS1_11target_archE908ELNS1_3gpuE7ELNS1_3repE0EEENS1_30default_config_static_selectorELNS0_4arch9wavefront6targetE1EEEvT1_,comdat
	.protected	_ZN7rocprim17ROCPRIM_400000_NS6detail17trampoline_kernelINS0_14default_configENS1_20scan_config_selectorIiEEZZNS1_9scan_implILNS1_25lookback_scan_determinismE0ELb0ELb1ES3_N6thrust23THRUST_200600_302600_NS6detail15normal_iteratorINS9_10device_ptrIiEEEESE_iNS9_10multipliesIiEEiEEDaPvRmT3_T4_T5_mT6_P12ihipStream_tbENKUlT_T0_E_clISt17integral_constantIbLb0EEST_IbLb1EEEEDaSP_SQ_EUlSP_E0_NS1_11comp_targetILNS1_3genE3ELNS1_11target_archE908ELNS1_3gpuE7ELNS1_3repE0EEENS1_30default_config_static_selectorELNS0_4arch9wavefront6targetE1EEEvT1_ ; -- Begin function _ZN7rocprim17ROCPRIM_400000_NS6detail17trampoline_kernelINS0_14default_configENS1_20scan_config_selectorIiEEZZNS1_9scan_implILNS1_25lookback_scan_determinismE0ELb0ELb1ES3_N6thrust23THRUST_200600_302600_NS6detail15normal_iteratorINS9_10device_ptrIiEEEESE_iNS9_10multipliesIiEEiEEDaPvRmT3_T4_T5_mT6_P12ihipStream_tbENKUlT_T0_E_clISt17integral_constantIbLb0EEST_IbLb1EEEEDaSP_SQ_EUlSP_E0_NS1_11comp_targetILNS1_3genE3ELNS1_11target_archE908ELNS1_3gpuE7ELNS1_3repE0EEENS1_30default_config_static_selectorELNS0_4arch9wavefront6targetE1EEEvT1_
	.globl	_ZN7rocprim17ROCPRIM_400000_NS6detail17trampoline_kernelINS0_14default_configENS1_20scan_config_selectorIiEEZZNS1_9scan_implILNS1_25lookback_scan_determinismE0ELb0ELb1ES3_N6thrust23THRUST_200600_302600_NS6detail15normal_iteratorINS9_10device_ptrIiEEEESE_iNS9_10multipliesIiEEiEEDaPvRmT3_T4_T5_mT6_P12ihipStream_tbENKUlT_T0_E_clISt17integral_constantIbLb0EEST_IbLb1EEEEDaSP_SQ_EUlSP_E0_NS1_11comp_targetILNS1_3genE3ELNS1_11target_archE908ELNS1_3gpuE7ELNS1_3repE0EEENS1_30default_config_static_selectorELNS0_4arch9wavefront6targetE1EEEvT1_
	.p2align	8
	.type	_ZN7rocprim17ROCPRIM_400000_NS6detail17trampoline_kernelINS0_14default_configENS1_20scan_config_selectorIiEEZZNS1_9scan_implILNS1_25lookback_scan_determinismE0ELb0ELb1ES3_N6thrust23THRUST_200600_302600_NS6detail15normal_iteratorINS9_10device_ptrIiEEEESE_iNS9_10multipliesIiEEiEEDaPvRmT3_T4_T5_mT6_P12ihipStream_tbENKUlT_T0_E_clISt17integral_constantIbLb0EEST_IbLb1EEEEDaSP_SQ_EUlSP_E0_NS1_11comp_targetILNS1_3genE3ELNS1_11target_archE908ELNS1_3gpuE7ELNS1_3repE0EEENS1_30default_config_static_selectorELNS0_4arch9wavefront6targetE1EEEvT1_,@function
_ZN7rocprim17ROCPRIM_400000_NS6detail17trampoline_kernelINS0_14default_configENS1_20scan_config_selectorIiEEZZNS1_9scan_implILNS1_25lookback_scan_determinismE0ELb0ELb1ES3_N6thrust23THRUST_200600_302600_NS6detail15normal_iteratorINS9_10device_ptrIiEEEESE_iNS9_10multipliesIiEEiEEDaPvRmT3_T4_T5_mT6_P12ihipStream_tbENKUlT_T0_E_clISt17integral_constantIbLb0EEST_IbLb1EEEEDaSP_SQ_EUlSP_E0_NS1_11comp_targetILNS1_3genE3ELNS1_11target_archE908ELNS1_3gpuE7ELNS1_3repE0EEENS1_30default_config_static_selectorELNS0_4arch9wavefront6targetE1EEEvT1_: ; @_ZN7rocprim17ROCPRIM_400000_NS6detail17trampoline_kernelINS0_14default_configENS1_20scan_config_selectorIiEEZZNS1_9scan_implILNS1_25lookback_scan_determinismE0ELb0ELb1ES3_N6thrust23THRUST_200600_302600_NS6detail15normal_iteratorINS9_10device_ptrIiEEEESE_iNS9_10multipliesIiEEiEEDaPvRmT3_T4_T5_mT6_P12ihipStream_tbENKUlT_T0_E_clISt17integral_constantIbLb0EEST_IbLb1EEEEDaSP_SQ_EUlSP_E0_NS1_11comp_targetILNS1_3genE3ELNS1_11target_archE908ELNS1_3gpuE7ELNS1_3repE0EEENS1_30default_config_static_selectorELNS0_4arch9wavefront6targetE1EEEvT1_
; %bb.0:
	.section	.rodata,"a",@progbits
	.p2align	6, 0x0
	.amdhsa_kernel _ZN7rocprim17ROCPRIM_400000_NS6detail17trampoline_kernelINS0_14default_configENS1_20scan_config_selectorIiEEZZNS1_9scan_implILNS1_25lookback_scan_determinismE0ELb0ELb1ES3_N6thrust23THRUST_200600_302600_NS6detail15normal_iteratorINS9_10device_ptrIiEEEESE_iNS9_10multipliesIiEEiEEDaPvRmT3_T4_T5_mT6_P12ihipStream_tbENKUlT_T0_E_clISt17integral_constantIbLb0EEST_IbLb1EEEEDaSP_SQ_EUlSP_E0_NS1_11comp_targetILNS1_3genE3ELNS1_11target_archE908ELNS1_3gpuE7ELNS1_3repE0EEENS1_30default_config_static_selectorELNS0_4arch9wavefront6targetE1EEEvT1_
		.amdhsa_group_segment_fixed_size 0
		.amdhsa_private_segment_fixed_size 0
		.amdhsa_kernarg_size 32
		.amdhsa_user_sgpr_count 6
		.amdhsa_user_sgpr_private_segment_buffer 1
		.amdhsa_user_sgpr_dispatch_ptr 0
		.amdhsa_user_sgpr_queue_ptr 0
		.amdhsa_user_sgpr_kernarg_segment_ptr 1
		.amdhsa_user_sgpr_dispatch_id 0
		.amdhsa_user_sgpr_flat_scratch_init 0
		.amdhsa_user_sgpr_kernarg_preload_length 0
		.amdhsa_user_sgpr_kernarg_preload_offset 0
		.amdhsa_user_sgpr_private_segment_size 0
		.amdhsa_uses_dynamic_stack 0
		.amdhsa_system_sgpr_private_segment_wavefront_offset 0
		.amdhsa_system_sgpr_workgroup_id_x 1
		.amdhsa_system_sgpr_workgroup_id_y 0
		.amdhsa_system_sgpr_workgroup_id_z 0
		.amdhsa_system_sgpr_workgroup_info 0
		.amdhsa_system_vgpr_workitem_id 0
		.amdhsa_next_free_vgpr 1
		.amdhsa_next_free_sgpr 0
		.amdhsa_accum_offset 4
		.amdhsa_reserve_vcc 0
		.amdhsa_reserve_flat_scratch 0
		.amdhsa_float_round_mode_32 0
		.amdhsa_float_round_mode_16_64 0
		.amdhsa_float_denorm_mode_32 3
		.amdhsa_float_denorm_mode_16_64 3
		.amdhsa_dx10_clamp 1
		.amdhsa_ieee_mode 1
		.amdhsa_fp16_overflow 0
		.amdhsa_tg_split 0
		.amdhsa_exception_fp_ieee_invalid_op 0
		.amdhsa_exception_fp_denorm_src 0
		.amdhsa_exception_fp_ieee_div_zero 0
		.amdhsa_exception_fp_ieee_overflow 0
		.amdhsa_exception_fp_ieee_underflow 0
		.amdhsa_exception_fp_ieee_inexact 0
		.amdhsa_exception_int_div_zero 0
	.end_amdhsa_kernel
	.section	.text._ZN7rocprim17ROCPRIM_400000_NS6detail17trampoline_kernelINS0_14default_configENS1_20scan_config_selectorIiEEZZNS1_9scan_implILNS1_25lookback_scan_determinismE0ELb0ELb1ES3_N6thrust23THRUST_200600_302600_NS6detail15normal_iteratorINS9_10device_ptrIiEEEESE_iNS9_10multipliesIiEEiEEDaPvRmT3_T4_T5_mT6_P12ihipStream_tbENKUlT_T0_E_clISt17integral_constantIbLb0EEST_IbLb1EEEEDaSP_SQ_EUlSP_E0_NS1_11comp_targetILNS1_3genE3ELNS1_11target_archE908ELNS1_3gpuE7ELNS1_3repE0EEENS1_30default_config_static_selectorELNS0_4arch9wavefront6targetE1EEEvT1_,"axG",@progbits,_ZN7rocprim17ROCPRIM_400000_NS6detail17trampoline_kernelINS0_14default_configENS1_20scan_config_selectorIiEEZZNS1_9scan_implILNS1_25lookback_scan_determinismE0ELb0ELb1ES3_N6thrust23THRUST_200600_302600_NS6detail15normal_iteratorINS9_10device_ptrIiEEEESE_iNS9_10multipliesIiEEiEEDaPvRmT3_T4_T5_mT6_P12ihipStream_tbENKUlT_T0_E_clISt17integral_constantIbLb0EEST_IbLb1EEEEDaSP_SQ_EUlSP_E0_NS1_11comp_targetILNS1_3genE3ELNS1_11target_archE908ELNS1_3gpuE7ELNS1_3repE0EEENS1_30default_config_static_selectorELNS0_4arch9wavefront6targetE1EEEvT1_,comdat
.Lfunc_end654:
	.size	_ZN7rocprim17ROCPRIM_400000_NS6detail17trampoline_kernelINS0_14default_configENS1_20scan_config_selectorIiEEZZNS1_9scan_implILNS1_25lookback_scan_determinismE0ELb0ELb1ES3_N6thrust23THRUST_200600_302600_NS6detail15normal_iteratorINS9_10device_ptrIiEEEESE_iNS9_10multipliesIiEEiEEDaPvRmT3_T4_T5_mT6_P12ihipStream_tbENKUlT_T0_E_clISt17integral_constantIbLb0EEST_IbLb1EEEEDaSP_SQ_EUlSP_E0_NS1_11comp_targetILNS1_3genE3ELNS1_11target_archE908ELNS1_3gpuE7ELNS1_3repE0EEENS1_30default_config_static_selectorELNS0_4arch9wavefront6targetE1EEEvT1_, .Lfunc_end654-_ZN7rocprim17ROCPRIM_400000_NS6detail17trampoline_kernelINS0_14default_configENS1_20scan_config_selectorIiEEZZNS1_9scan_implILNS1_25lookback_scan_determinismE0ELb0ELb1ES3_N6thrust23THRUST_200600_302600_NS6detail15normal_iteratorINS9_10device_ptrIiEEEESE_iNS9_10multipliesIiEEiEEDaPvRmT3_T4_T5_mT6_P12ihipStream_tbENKUlT_T0_E_clISt17integral_constantIbLb0EEST_IbLb1EEEEDaSP_SQ_EUlSP_E0_NS1_11comp_targetILNS1_3genE3ELNS1_11target_archE908ELNS1_3gpuE7ELNS1_3repE0EEENS1_30default_config_static_selectorELNS0_4arch9wavefront6targetE1EEEvT1_
                                        ; -- End function
	.section	.AMDGPU.csdata,"",@progbits
; Kernel info:
; codeLenInByte = 0
; NumSgprs: 4
; NumVgprs: 0
; NumAgprs: 0
; TotalNumVgprs: 0
; ScratchSize: 0
; MemoryBound: 0
; FloatMode: 240
; IeeeMode: 1
; LDSByteSize: 0 bytes/workgroup (compile time only)
; SGPRBlocks: 0
; VGPRBlocks: 0
; NumSGPRsForWavesPerEU: 4
; NumVGPRsForWavesPerEU: 1
; AccumOffset: 4
; Occupancy: 8
; WaveLimiterHint : 0
; COMPUTE_PGM_RSRC2:SCRATCH_EN: 0
; COMPUTE_PGM_RSRC2:USER_SGPR: 6
; COMPUTE_PGM_RSRC2:TRAP_HANDLER: 0
; COMPUTE_PGM_RSRC2:TGID_X_EN: 1
; COMPUTE_PGM_RSRC2:TGID_Y_EN: 0
; COMPUTE_PGM_RSRC2:TGID_Z_EN: 0
; COMPUTE_PGM_RSRC2:TIDIG_COMP_CNT: 0
; COMPUTE_PGM_RSRC3_GFX90A:ACCUM_OFFSET: 0
; COMPUTE_PGM_RSRC3_GFX90A:TG_SPLIT: 0
	.section	.text._ZN7rocprim17ROCPRIM_400000_NS6detail17trampoline_kernelINS0_14default_configENS1_20scan_config_selectorIiEEZZNS1_9scan_implILNS1_25lookback_scan_determinismE0ELb0ELb1ES3_N6thrust23THRUST_200600_302600_NS6detail15normal_iteratorINS9_10device_ptrIiEEEESE_iNS9_10multipliesIiEEiEEDaPvRmT3_T4_T5_mT6_P12ihipStream_tbENKUlT_T0_E_clISt17integral_constantIbLb0EEST_IbLb1EEEEDaSP_SQ_EUlSP_E0_NS1_11comp_targetILNS1_3genE2ELNS1_11target_archE906ELNS1_3gpuE6ELNS1_3repE0EEENS1_30default_config_static_selectorELNS0_4arch9wavefront6targetE1EEEvT1_,"axG",@progbits,_ZN7rocprim17ROCPRIM_400000_NS6detail17trampoline_kernelINS0_14default_configENS1_20scan_config_selectorIiEEZZNS1_9scan_implILNS1_25lookback_scan_determinismE0ELb0ELb1ES3_N6thrust23THRUST_200600_302600_NS6detail15normal_iteratorINS9_10device_ptrIiEEEESE_iNS9_10multipliesIiEEiEEDaPvRmT3_T4_T5_mT6_P12ihipStream_tbENKUlT_T0_E_clISt17integral_constantIbLb0EEST_IbLb1EEEEDaSP_SQ_EUlSP_E0_NS1_11comp_targetILNS1_3genE2ELNS1_11target_archE906ELNS1_3gpuE6ELNS1_3repE0EEENS1_30default_config_static_selectorELNS0_4arch9wavefront6targetE1EEEvT1_,comdat
	.protected	_ZN7rocprim17ROCPRIM_400000_NS6detail17trampoline_kernelINS0_14default_configENS1_20scan_config_selectorIiEEZZNS1_9scan_implILNS1_25lookback_scan_determinismE0ELb0ELb1ES3_N6thrust23THRUST_200600_302600_NS6detail15normal_iteratorINS9_10device_ptrIiEEEESE_iNS9_10multipliesIiEEiEEDaPvRmT3_T4_T5_mT6_P12ihipStream_tbENKUlT_T0_E_clISt17integral_constantIbLb0EEST_IbLb1EEEEDaSP_SQ_EUlSP_E0_NS1_11comp_targetILNS1_3genE2ELNS1_11target_archE906ELNS1_3gpuE6ELNS1_3repE0EEENS1_30default_config_static_selectorELNS0_4arch9wavefront6targetE1EEEvT1_ ; -- Begin function _ZN7rocprim17ROCPRIM_400000_NS6detail17trampoline_kernelINS0_14default_configENS1_20scan_config_selectorIiEEZZNS1_9scan_implILNS1_25lookback_scan_determinismE0ELb0ELb1ES3_N6thrust23THRUST_200600_302600_NS6detail15normal_iteratorINS9_10device_ptrIiEEEESE_iNS9_10multipliesIiEEiEEDaPvRmT3_T4_T5_mT6_P12ihipStream_tbENKUlT_T0_E_clISt17integral_constantIbLb0EEST_IbLb1EEEEDaSP_SQ_EUlSP_E0_NS1_11comp_targetILNS1_3genE2ELNS1_11target_archE906ELNS1_3gpuE6ELNS1_3repE0EEENS1_30default_config_static_selectorELNS0_4arch9wavefront6targetE1EEEvT1_
	.globl	_ZN7rocprim17ROCPRIM_400000_NS6detail17trampoline_kernelINS0_14default_configENS1_20scan_config_selectorIiEEZZNS1_9scan_implILNS1_25lookback_scan_determinismE0ELb0ELb1ES3_N6thrust23THRUST_200600_302600_NS6detail15normal_iteratorINS9_10device_ptrIiEEEESE_iNS9_10multipliesIiEEiEEDaPvRmT3_T4_T5_mT6_P12ihipStream_tbENKUlT_T0_E_clISt17integral_constantIbLb0EEST_IbLb1EEEEDaSP_SQ_EUlSP_E0_NS1_11comp_targetILNS1_3genE2ELNS1_11target_archE906ELNS1_3gpuE6ELNS1_3repE0EEENS1_30default_config_static_selectorELNS0_4arch9wavefront6targetE1EEEvT1_
	.p2align	8
	.type	_ZN7rocprim17ROCPRIM_400000_NS6detail17trampoline_kernelINS0_14default_configENS1_20scan_config_selectorIiEEZZNS1_9scan_implILNS1_25lookback_scan_determinismE0ELb0ELb1ES3_N6thrust23THRUST_200600_302600_NS6detail15normal_iteratorINS9_10device_ptrIiEEEESE_iNS9_10multipliesIiEEiEEDaPvRmT3_T4_T5_mT6_P12ihipStream_tbENKUlT_T0_E_clISt17integral_constantIbLb0EEST_IbLb1EEEEDaSP_SQ_EUlSP_E0_NS1_11comp_targetILNS1_3genE2ELNS1_11target_archE906ELNS1_3gpuE6ELNS1_3repE0EEENS1_30default_config_static_selectorELNS0_4arch9wavefront6targetE1EEEvT1_,@function
_ZN7rocprim17ROCPRIM_400000_NS6detail17trampoline_kernelINS0_14default_configENS1_20scan_config_selectorIiEEZZNS1_9scan_implILNS1_25lookback_scan_determinismE0ELb0ELb1ES3_N6thrust23THRUST_200600_302600_NS6detail15normal_iteratorINS9_10device_ptrIiEEEESE_iNS9_10multipliesIiEEiEEDaPvRmT3_T4_T5_mT6_P12ihipStream_tbENKUlT_T0_E_clISt17integral_constantIbLb0EEST_IbLb1EEEEDaSP_SQ_EUlSP_E0_NS1_11comp_targetILNS1_3genE2ELNS1_11target_archE906ELNS1_3gpuE6ELNS1_3repE0EEENS1_30default_config_static_selectorELNS0_4arch9wavefront6targetE1EEEvT1_: ; @_ZN7rocprim17ROCPRIM_400000_NS6detail17trampoline_kernelINS0_14default_configENS1_20scan_config_selectorIiEEZZNS1_9scan_implILNS1_25lookback_scan_determinismE0ELb0ELb1ES3_N6thrust23THRUST_200600_302600_NS6detail15normal_iteratorINS9_10device_ptrIiEEEESE_iNS9_10multipliesIiEEiEEDaPvRmT3_T4_T5_mT6_P12ihipStream_tbENKUlT_T0_E_clISt17integral_constantIbLb0EEST_IbLb1EEEEDaSP_SQ_EUlSP_E0_NS1_11comp_targetILNS1_3genE2ELNS1_11target_archE906ELNS1_3gpuE6ELNS1_3repE0EEENS1_30default_config_static_selectorELNS0_4arch9wavefront6targetE1EEEvT1_
; %bb.0:
	.section	.rodata,"a",@progbits
	.p2align	6, 0x0
	.amdhsa_kernel _ZN7rocprim17ROCPRIM_400000_NS6detail17trampoline_kernelINS0_14default_configENS1_20scan_config_selectorIiEEZZNS1_9scan_implILNS1_25lookback_scan_determinismE0ELb0ELb1ES3_N6thrust23THRUST_200600_302600_NS6detail15normal_iteratorINS9_10device_ptrIiEEEESE_iNS9_10multipliesIiEEiEEDaPvRmT3_T4_T5_mT6_P12ihipStream_tbENKUlT_T0_E_clISt17integral_constantIbLb0EEST_IbLb1EEEEDaSP_SQ_EUlSP_E0_NS1_11comp_targetILNS1_3genE2ELNS1_11target_archE906ELNS1_3gpuE6ELNS1_3repE0EEENS1_30default_config_static_selectorELNS0_4arch9wavefront6targetE1EEEvT1_
		.amdhsa_group_segment_fixed_size 0
		.amdhsa_private_segment_fixed_size 0
		.amdhsa_kernarg_size 32
		.amdhsa_user_sgpr_count 6
		.amdhsa_user_sgpr_private_segment_buffer 1
		.amdhsa_user_sgpr_dispatch_ptr 0
		.amdhsa_user_sgpr_queue_ptr 0
		.amdhsa_user_sgpr_kernarg_segment_ptr 1
		.amdhsa_user_sgpr_dispatch_id 0
		.amdhsa_user_sgpr_flat_scratch_init 0
		.amdhsa_user_sgpr_kernarg_preload_length 0
		.amdhsa_user_sgpr_kernarg_preload_offset 0
		.amdhsa_user_sgpr_private_segment_size 0
		.amdhsa_uses_dynamic_stack 0
		.amdhsa_system_sgpr_private_segment_wavefront_offset 0
		.amdhsa_system_sgpr_workgroup_id_x 1
		.amdhsa_system_sgpr_workgroup_id_y 0
		.amdhsa_system_sgpr_workgroup_id_z 0
		.amdhsa_system_sgpr_workgroup_info 0
		.amdhsa_system_vgpr_workitem_id 0
		.amdhsa_next_free_vgpr 1
		.amdhsa_next_free_sgpr 0
		.amdhsa_accum_offset 4
		.amdhsa_reserve_vcc 0
		.amdhsa_reserve_flat_scratch 0
		.amdhsa_float_round_mode_32 0
		.amdhsa_float_round_mode_16_64 0
		.amdhsa_float_denorm_mode_32 3
		.amdhsa_float_denorm_mode_16_64 3
		.amdhsa_dx10_clamp 1
		.amdhsa_ieee_mode 1
		.amdhsa_fp16_overflow 0
		.amdhsa_tg_split 0
		.amdhsa_exception_fp_ieee_invalid_op 0
		.amdhsa_exception_fp_denorm_src 0
		.amdhsa_exception_fp_ieee_div_zero 0
		.amdhsa_exception_fp_ieee_overflow 0
		.amdhsa_exception_fp_ieee_underflow 0
		.amdhsa_exception_fp_ieee_inexact 0
		.amdhsa_exception_int_div_zero 0
	.end_amdhsa_kernel
	.section	.text._ZN7rocprim17ROCPRIM_400000_NS6detail17trampoline_kernelINS0_14default_configENS1_20scan_config_selectorIiEEZZNS1_9scan_implILNS1_25lookback_scan_determinismE0ELb0ELb1ES3_N6thrust23THRUST_200600_302600_NS6detail15normal_iteratorINS9_10device_ptrIiEEEESE_iNS9_10multipliesIiEEiEEDaPvRmT3_T4_T5_mT6_P12ihipStream_tbENKUlT_T0_E_clISt17integral_constantIbLb0EEST_IbLb1EEEEDaSP_SQ_EUlSP_E0_NS1_11comp_targetILNS1_3genE2ELNS1_11target_archE906ELNS1_3gpuE6ELNS1_3repE0EEENS1_30default_config_static_selectorELNS0_4arch9wavefront6targetE1EEEvT1_,"axG",@progbits,_ZN7rocprim17ROCPRIM_400000_NS6detail17trampoline_kernelINS0_14default_configENS1_20scan_config_selectorIiEEZZNS1_9scan_implILNS1_25lookback_scan_determinismE0ELb0ELb1ES3_N6thrust23THRUST_200600_302600_NS6detail15normal_iteratorINS9_10device_ptrIiEEEESE_iNS9_10multipliesIiEEiEEDaPvRmT3_T4_T5_mT6_P12ihipStream_tbENKUlT_T0_E_clISt17integral_constantIbLb0EEST_IbLb1EEEEDaSP_SQ_EUlSP_E0_NS1_11comp_targetILNS1_3genE2ELNS1_11target_archE906ELNS1_3gpuE6ELNS1_3repE0EEENS1_30default_config_static_selectorELNS0_4arch9wavefront6targetE1EEEvT1_,comdat
.Lfunc_end655:
	.size	_ZN7rocprim17ROCPRIM_400000_NS6detail17trampoline_kernelINS0_14default_configENS1_20scan_config_selectorIiEEZZNS1_9scan_implILNS1_25lookback_scan_determinismE0ELb0ELb1ES3_N6thrust23THRUST_200600_302600_NS6detail15normal_iteratorINS9_10device_ptrIiEEEESE_iNS9_10multipliesIiEEiEEDaPvRmT3_T4_T5_mT6_P12ihipStream_tbENKUlT_T0_E_clISt17integral_constantIbLb0EEST_IbLb1EEEEDaSP_SQ_EUlSP_E0_NS1_11comp_targetILNS1_3genE2ELNS1_11target_archE906ELNS1_3gpuE6ELNS1_3repE0EEENS1_30default_config_static_selectorELNS0_4arch9wavefront6targetE1EEEvT1_, .Lfunc_end655-_ZN7rocprim17ROCPRIM_400000_NS6detail17trampoline_kernelINS0_14default_configENS1_20scan_config_selectorIiEEZZNS1_9scan_implILNS1_25lookback_scan_determinismE0ELb0ELb1ES3_N6thrust23THRUST_200600_302600_NS6detail15normal_iteratorINS9_10device_ptrIiEEEESE_iNS9_10multipliesIiEEiEEDaPvRmT3_T4_T5_mT6_P12ihipStream_tbENKUlT_T0_E_clISt17integral_constantIbLb0EEST_IbLb1EEEEDaSP_SQ_EUlSP_E0_NS1_11comp_targetILNS1_3genE2ELNS1_11target_archE906ELNS1_3gpuE6ELNS1_3repE0EEENS1_30default_config_static_selectorELNS0_4arch9wavefront6targetE1EEEvT1_
                                        ; -- End function
	.section	.AMDGPU.csdata,"",@progbits
; Kernel info:
; codeLenInByte = 0
; NumSgprs: 4
; NumVgprs: 0
; NumAgprs: 0
; TotalNumVgprs: 0
; ScratchSize: 0
; MemoryBound: 0
; FloatMode: 240
; IeeeMode: 1
; LDSByteSize: 0 bytes/workgroup (compile time only)
; SGPRBlocks: 0
; VGPRBlocks: 0
; NumSGPRsForWavesPerEU: 4
; NumVGPRsForWavesPerEU: 1
; AccumOffset: 4
; Occupancy: 8
; WaveLimiterHint : 0
; COMPUTE_PGM_RSRC2:SCRATCH_EN: 0
; COMPUTE_PGM_RSRC2:USER_SGPR: 6
; COMPUTE_PGM_RSRC2:TRAP_HANDLER: 0
; COMPUTE_PGM_RSRC2:TGID_X_EN: 1
; COMPUTE_PGM_RSRC2:TGID_Y_EN: 0
; COMPUTE_PGM_RSRC2:TGID_Z_EN: 0
; COMPUTE_PGM_RSRC2:TIDIG_COMP_CNT: 0
; COMPUTE_PGM_RSRC3_GFX90A:ACCUM_OFFSET: 0
; COMPUTE_PGM_RSRC3_GFX90A:TG_SPLIT: 0
	.section	.text._ZN7rocprim17ROCPRIM_400000_NS6detail17trampoline_kernelINS0_14default_configENS1_20scan_config_selectorIiEEZZNS1_9scan_implILNS1_25lookback_scan_determinismE0ELb0ELb1ES3_N6thrust23THRUST_200600_302600_NS6detail15normal_iteratorINS9_10device_ptrIiEEEESE_iNS9_10multipliesIiEEiEEDaPvRmT3_T4_T5_mT6_P12ihipStream_tbENKUlT_T0_E_clISt17integral_constantIbLb0EEST_IbLb1EEEEDaSP_SQ_EUlSP_E0_NS1_11comp_targetILNS1_3genE10ELNS1_11target_archE1201ELNS1_3gpuE5ELNS1_3repE0EEENS1_30default_config_static_selectorELNS0_4arch9wavefront6targetE1EEEvT1_,"axG",@progbits,_ZN7rocprim17ROCPRIM_400000_NS6detail17trampoline_kernelINS0_14default_configENS1_20scan_config_selectorIiEEZZNS1_9scan_implILNS1_25lookback_scan_determinismE0ELb0ELb1ES3_N6thrust23THRUST_200600_302600_NS6detail15normal_iteratorINS9_10device_ptrIiEEEESE_iNS9_10multipliesIiEEiEEDaPvRmT3_T4_T5_mT6_P12ihipStream_tbENKUlT_T0_E_clISt17integral_constantIbLb0EEST_IbLb1EEEEDaSP_SQ_EUlSP_E0_NS1_11comp_targetILNS1_3genE10ELNS1_11target_archE1201ELNS1_3gpuE5ELNS1_3repE0EEENS1_30default_config_static_selectorELNS0_4arch9wavefront6targetE1EEEvT1_,comdat
	.protected	_ZN7rocprim17ROCPRIM_400000_NS6detail17trampoline_kernelINS0_14default_configENS1_20scan_config_selectorIiEEZZNS1_9scan_implILNS1_25lookback_scan_determinismE0ELb0ELb1ES3_N6thrust23THRUST_200600_302600_NS6detail15normal_iteratorINS9_10device_ptrIiEEEESE_iNS9_10multipliesIiEEiEEDaPvRmT3_T4_T5_mT6_P12ihipStream_tbENKUlT_T0_E_clISt17integral_constantIbLb0EEST_IbLb1EEEEDaSP_SQ_EUlSP_E0_NS1_11comp_targetILNS1_3genE10ELNS1_11target_archE1201ELNS1_3gpuE5ELNS1_3repE0EEENS1_30default_config_static_selectorELNS0_4arch9wavefront6targetE1EEEvT1_ ; -- Begin function _ZN7rocprim17ROCPRIM_400000_NS6detail17trampoline_kernelINS0_14default_configENS1_20scan_config_selectorIiEEZZNS1_9scan_implILNS1_25lookback_scan_determinismE0ELb0ELb1ES3_N6thrust23THRUST_200600_302600_NS6detail15normal_iteratorINS9_10device_ptrIiEEEESE_iNS9_10multipliesIiEEiEEDaPvRmT3_T4_T5_mT6_P12ihipStream_tbENKUlT_T0_E_clISt17integral_constantIbLb0EEST_IbLb1EEEEDaSP_SQ_EUlSP_E0_NS1_11comp_targetILNS1_3genE10ELNS1_11target_archE1201ELNS1_3gpuE5ELNS1_3repE0EEENS1_30default_config_static_selectorELNS0_4arch9wavefront6targetE1EEEvT1_
	.globl	_ZN7rocprim17ROCPRIM_400000_NS6detail17trampoline_kernelINS0_14default_configENS1_20scan_config_selectorIiEEZZNS1_9scan_implILNS1_25lookback_scan_determinismE0ELb0ELb1ES3_N6thrust23THRUST_200600_302600_NS6detail15normal_iteratorINS9_10device_ptrIiEEEESE_iNS9_10multipliesIiEEiEEDaPvRmT3_T4_T5_mT6_P12ihipStream_tbENKUlT_T0_E_clISt17integral_constantIbLb0EEST_IbLb1EEEEDaSP_SQ_EUlSP_E0_NS1_11comp_targetILNS1_3genE10ELNS1_11target_archE1201ELNS1_3gpuE5ELNS1_3repE0EEENS1_30default_config_static_selectorELNS0_4arch9wavefront6targetE1EEEvT1_
	.p2align	8
	.type	_ZN7rocprim17ROCPRIM_400000_NS6detail17trampoline_kernelINS0_14default_configENS1_20scan_config_selectorIiEEZZNS1_9scan_implILNS1_25lookback_scan_determinismE0ELb0ELb1ES3_N6thrust23THRUST_200600_302600_NS6detail15normal_iteratorINS9_10device_ptrIiEEEESE_iNS9_10multipliesIiEEiEEDaPvRmT3_T4_T5_mT6_P12ihipStream_tbENKUlT_T0_E_clISt17integral_constantIbLb0EEST_IbLb1EEEEDaSP_SQ_EUlSP_E0_NS1_11comp_targetILNS1_3genE10ELNS1_11target_archE1201ELNS1_3gpuE5ELNS1_3repE0EEENS1_30default_config_static_selectorELNS0_4arch9wavefront6targetE1EEEvT1_,@function
_ZN7rocprim17ROCPRIM_400000_NS6detail17trampoline_kernelINS0_14default_configENS1_20scan_config_selectorIiEEZZNS1_9scan_implILNS1_25lookback_scan_determinismE0ELb0ELb1ES3_N6thrust23THRUST_200600_302600_NS6detail15normal_iteratorINS9_10device_ptrIiEEEESE_iNS9_10multipliesIiEEiEEDaPvRmT3_T4_T5_mT6_P12ihipStream_tbENKUlT_T0_E_clISt17integral_constantIbLb0EEST_IbLb1EEEEDaSP_SQ_EUlSP_E0_NS1_11comp_targetILNS1_3genE10ELNS1_11target_archE1201ELNS1_3gpuE5ELNS1_3repE0EEENS1_30default_config_static_selectorELNS0_4arch9wavefront6targetE1EEEvT1_: ; @_ZN7rocprim17ROCPRIM_400000_NS6detail17trampoline_kernelINS0_14default_configENS1_20scan_config_selectorIiEEZZNS1_9scan_implILNS1_25lookback_scan_determinismE0ELb0ELb1ES3_N6thrust23THRUST_200600_302600_NS6detail15normal_iteratorINS9_10device_ptrIiEEEESE_iNS9_10multipliesIiEEiEEDaPvRmT3_T4_T5_mT6_P12ihipStream_tbENKUlT_T0_E_clISt17integral_constantIbLb0EEST_IbLb1EEEEDaSP_SQ_EUlSP_E0_NS1_11comp_targetILNS1_3genE10ELNS1_11target_archE1201ELNS1_3gpuE5ELNS1_3repE0EEENS1_30default_config_static_selectorELNS0_4arch9wavefront6targetE1EEEvT1_
; %bb.0:
	.section	.rodata,"a",@progbits
	.p2align	6, 0x0
	.amdhsa_kernel _ZN7rocprim17ROCPRIM_400000_NS6detail17trampoline_kernelINS0_14default_configENS1_20scan_config_selectorIiEEZZNS1_9scan_implILNS1_25lookback_scan_determinismE0ELb0ELb1ES3_N6thrust23THRUST_200600_302600_NS6detail15normal_iteratorINS9_10device_ptrIiEEEESE_iNS9_10multipliesIiEEiEEDaPvRmT3_T4_T5_mT6_P12ihipStream_tbENKUlT_T0_E_clISt17integral_constantIbLb0EEST_IbLb1EEEEDaSP_SQ_EUlSP_E0_NS1_11comp_targetILNS1_3genE10ELNS1_11target_archE1201ELNS1_3gpuE5ELNS1_3repE0EEENS1_30default_config_static_selectorELNS0_4arch9wavefront6targetE1EEEvT1_
		.amdhsa_group_segment_fixed_size 0
		.amdhsa_private_segment_fixed_size 0
		.amdhsa_kernarg_size 32
		.amdhsa_user_sgpr_count 6
		.amdhsa_user_sgpr_private_segment_buffer 1
		.amdhsa_user_sgpr_dispatch_ptr 0
		.amdhsa_user_sgpr_queue_ptr 0
		.amdhsa_user_sgpr_kernarg_segment_ptr 1
		.amdhsa_user_sgpr_dispatch_id 0
		.amdhsa_user_sgpr_flat_scratch_init 0
		.amdhsa_user_sgpr_kernarg_preload_length 0
		.amdhsa_user_sgpr_kernarg_preload_offset 0
		.amdhsa_user_sgpr_private_segment_size 0
		.amdhsa_uses_dynamic_stack 0
		.amdhsa_system_sgpr_private_segment_wavefront_offset 0
		.amdhsa_system_sgpr_workgroup_id_x 1
		.amdhsa_system_sgpr_workgroup_id_y 0
		.amdhsa_system_sgpr_workgroup_id_z 0
		.amdhsa_system_sgpr_workgroup_info 0
		.amdhsa_system_vgpr_workitem_id 0
		.amdhsa_next_free_vgpr 1
		.amdhsa_next_free_sgpr 0
		.amdhsa_accum_offset 4
		.amdhsa_reserve_vcc 0
		.amdhsa_reserve_flat_scratch 0
		.amdhsa_float_round_mode_32 0
		.amdhsa_float_round_mode_16_64 0
		.amdhsa_float_denorm_mode_32 3
		.amdhsa_float_denorm_mode_16_64 3
		.amdhsa_dx10_clamp 1
		.amdhsa_ieee_mode 1
		.amdhsa_fp16_overflow 0
		.amdhsa_tg_split 0
		.amdhsa_exception_fp_ieee_invalid_op 0
		.amdhsa_exception_fp_denorm_src 0
		.amdhsa_exception_fp_ieee_div_zero 0
		.amdhsa_exception_fp_ieee_overflow 0
		.amdhsa_exception_fp_ieee_underflow 0
		.amdhsa_exception_fp_ieee_inexact 0
		.amdhsa_exception_int_div_zero 0
	.end_amdhsa_kernel
	.section	.text._ZN7rocprim17ROCPRIM_400000_NS6detail17trampoline_kernelINS0_14default_configENS1_20scan_config_selectorIiEEZZNS1_9scan_implILNS1_25lookback_scan_determinismE0ELb0ELb1ES3_N6thrust23THRUST_200600_302600_NS6detail15normal_iteratorINS9_10device_ptrIiEEEESE_iNS9_10multipliesIiEEiEEDaPvRmT3_T4_T5_mT6_P12ihipStream_tbENKUlT_T0_E_clISt17integral_constantIbLb0EEST_IbLb1EEEEDaSP_SQ_EUlSP_E0_NS1_11comp_targetILNS1_3genE10ELNS1_11target_archE1201ELNS1_3gpuE5ELNS1_3repE0EEENS1_30default_config_static_selectorELNS0_4arch9wavefront6targetE1EEEvT1_,"axG",@progbits,_ZN7rocprim17ROCPRIM_400000_NS6detail17trampoline_kernelINS0_14default_configENS1_20scan_config_selectorIiEEZZNS1_9scan_implILNS1_25lookback_scan_determinismE0ELb0ELb1ES3_N6thrust23THRUST_200600_302600_NS6detail15normal_iteratorINS9_10device_ptrIiEEEESE_iNS9_10multipliesIiEEiEEDaPvRmT3_T4_T5_mT6_P12ihipStream_tbENKUlT_T0_E_clISt17integral_constantIbLb0EEST_IbLb1EEEEDaSP_SQ_EUlSP_E0_NS1_11comp_targetILNS1_3genE10ELNS1_11target_archE1201ELNS1_3gpuE5ELNS1_3repE0EEENS1_30default_config_static_selectorELNS0_4arch9wavefront6targetE1EEEvT1_,comdat
.Lfunc_end656:
	.size	_ZN7rocprim17ROCPRIM_400000_NS6detail17trampoline_kernelINS0_14default_configENS1_20scan_config_selectorIiEEZZNS1_9scan_implILNS1_25lookback_scan_determinismE0ELb0ELb1ES3_N6thrust23THRUST_200600_302600_NS6detail15normal_iteratorINS9_10device_ptrIiEEEESE_iNS9_10multipliesIiEEiEEDaPvRmT3_T4_T5_mT6_P12ihipStream_tbENKUlT_T0_E_clISt17integral_constantIbLb0EEST_IbLb1EEEEDaSP_SQ_EUlSP_E0_NS1_11comp_targetILNS1_3genE10ELNS1_11target_archE1201ELNS1_3gpuE5ELNS1_3repE0EEENS1_30default_config_static_selectorELNS0_4arch9wavefront6targetE1EEEvT1_, .Lfunc_end656-_ZN7rocprim17ROCPRIM_400000_NS6detail17trampoline_kernelINS0_14default_configENS1_20scan_config_selectorIiEEZZNS1_9scan_implILNS1_25lookback_scan_determinismE0ELb0ELb1ES3_N6thrust23THRUST_200600_302600_NS6detail15normal_iteratorINS9_10device_ptrIiEEEESE_iNS9_10multipliesIiEEiEEDaPvRmT3_T4_T5_mT6_P12ihipStream_tbENKUlT_T0_E_clISt17integral_constantIbLb0EEST_IbLb1EEEEDaSP_SQ_EUlSP_E0_NS1_11comp_targetILNS1_3genE10ELNS1_11target_archE1201ELNS1_3gpuE5ELNS1_3repE0EEENS1_30default_config_static_selectorELNS0_4arch9wavefront6targetE1EEEvT1_
                                        ; -- End function
	.section	.AMDGPU.csdata,"",@progbits
; Kernel info:
; codeLenInByte = 0
; NumSgprs: 4
; NumVgprs: 0
; NumAgprs: 0
; TotalNumVgprs: 0
; ScratchSize: 0
; MemoryBound: 0
; FloatMode: 240
; IeeeMode: 1
; LDSByteSize: 0 bytes/workgroup (compile time only)
; SGPRBlocks: 0
; VGPRBlocks: 0
; NumSGPRsForWavesPerEU: 4
; NumVGPRsForWavesPerEU: 1
; AccumOffset: 4
; Occupancy: 8
; WaveLimiterHint : 0
; COMPUTE_PGM_RSRC2:SCRATCH_EN: 0
; COMPUTE_PGM_RSRC2:USER_SGPR: 6
; COMPUTE_PGM_RSRC2:TRAP_HANDLER: 0
; COMPUTE_PGM_RSRC2:TGID_X_EN: 1
; COMPUTE_PGM_RSRC2:TGID_Y_EN: 0
; COMPUTE_PGM_RSRC2:TGID_Z_EN: 0
; COMPUTE_PGM_RSRC2:TIDIG_COMP_CNT: 0
; COMPUTE_PGM_RSRC3_GFX90A:ACCUM_OFFSET: 0
; COMPUTE_PGM_RSRC3_GFX90A:TG_SPLIT: 0
	.section	.text._ZN7rocprim17ROCPRIM_400000_NS6detail17trampoline_kernelINS0_14default_configENS1_20scan_config_selectorIiEEZZNS1_9scan_implILNS1_25lookback_scan_determinismE0ELb0ELb1ES3_N6thrust23THRUST_200600_302600_NS6detail15normal_iteratorINS9_10device_ptrIiEEEESE_iNS9_10multipliesIiEEiEEDaPvRmT3_T4_T5_mT6_P12ihipStream_tbENKUlT_T0_E_clISt17integral_constantIbLb0EEST_IbLb1EEEEDaSP_SQ_EUlSP_E0_NS1_11comp_targetILNS1_3genE10ELNS1_11target_archE1200ELNS1_3gpuE4ELNS1_3repE0EEENS1_30default_config_static_selectorELNS0_4arch9wavefront6targetE1EEEvT1_,"axG",@progbits,_ZN7rocprim17ROCPRIM_400000_NS6detail17trampoline_kernelINS0_14default_configENS1_20scan_config_selectorIiEEZZNS1_9scan_implILNS1_25lookback_scan_determinismE0ELb0ELb1ES3_N6thrust23THRUST_200600_302600_NS6detail15normal_iteratorINS9_10device_ptrIiEEEESE_iNS9_10multipliesIiEEiEEDaPvRmT3_T4_T5_mT6_P12ihipStream_tbENKUlT_T0_E_clISt17integral_constantIbLb0EEST_IbLb1EEEEDaSP_SQ_EUlSP_E0_NS1_11comp_targetILNS1_3genE10ELNS1_11target_archE1200ELNS1_3gpuE4ELNS1_3repE0EEENS1_30default_config_static_selectorELNS0_4arch9wavefront6targetE1EEEvT1_,comdat
	.protected	_ZN7rocprim17ROCPRIM_400000_NS6detail17trampoline_kernelINS0_14default_configENS1_20scan_config_selectorIiEEZZNS1_9scan_implILNS1_25lookback_scan_determinismE0ELb0ELb1ES3_N6thrust23THRUST_200600_302600_NS6detail15normal_iteratorINS9_10device_ptrIiEEEESE_iNS9_10multipliesIiEEiEEDaPvRmT3_T4_T5_mT6_P12ihipStream_tbENKUlT_T0_E_clISt17integral_constantIbLb0EEST_IbLb1EEEEDaSP_SQ_EUlSP_E0_NS1_11comp_targetILNS1_3genE10ELNS1_11target_archE1200ELNS1_3gpuE4ELNS1_3repE0EEENS1_30default_config_static_selectorELNS0_4arch9wavefront6targetE1EEEvT1_ ; -- Begin function _ZN7rocprim17ROCPRIM_400000_NS6detail17trampoline_kernelINS0_14default_configENS1_20scan_config_selectorIiEEZZNS1_9scan_implILNS1_25lookback_scan_determinismE0ELb0ELb1ES3_N6thrust23THRUST_200600_302600_NS6detail15normal_iteratorINS9_10device_ptrIiEEEESE_iNS9_10multipliesIiEEiEEDaPvRmT3_T4_T5_mT6_P12ihipStream_tbENKUlT_T0_E_clISt17integral_constantIbLb0EEST_IbLb1EEEEDaSP_SQ_EUlSP_E0_NS1_11comp_targetILNS1_3genE10ELNS1_11target_archE1200ELNS1_3gpuE4ELNS1_3repE0EEENS1_30default_config_static_selectorELNS0_4arch9wavefront6targetE1EEEvT1_
	.globl	_ZN7rocprim17ROCPRIM_400000_NS6detail17trampoline_kernelINS0_14default_configENS1_20scan_config_selectorIiEEZZNS1_9scan_implILNS1_25lookback_scan_determinismE0ELb0ELb1ES3_N6thrust23THRUST_200600_302600_NS6detail15normal_iteratorINS9_10device_ptrIiEEEESE_iNS9_10multipliesIiEEiEEDaPvRmT3_T4_T5_mT6_P12ihipStream_tbENKUlT_T0_E_clISt17integral_constantIbLb0EEST_IbLb1EEEEDaSP_SQ_EUlSP_E0_NS1_11comp_targetILNS1_3genE10ELNS1_11target_archE1200ELNS1_3gpuE4ELNS1_3repE0EEENS1_30default_config_static_selectorELNS0_4arch9wavefront6targetE1EEEvT1_
	.p2align	8
	.type	_ZN7rocprim17ROCPRIM_400000_NS6detail17trampoline_kernelINS0_14default_configENS1_20scan_config_selectorIiEEZZNS1_9scan_implILNS1_25lookback_scan_determinismE0ELb0ELb1ES3_N6thrust23THRUST_200600_302600_NS6detail15normal_iteratorINS9_10device_ptrIiEEEESE_iNS9_10multipliesIiEEiEEDaPvRmT3_T4_T5_mT6_P12ihipStream_tbENKUlT_T0_E_clISt17integral_constantIbLb0EEST_IbLb1EEEEDaSP_SQ_EUlSP_E0_NS1_11comp_targetILNS1_3genE10ELNS1_11target_archE1200ELNS1_3gpuE4ELNS1_3repE0EEENS1_30default_config_static_selectorELNS0_4arch9wavefront6targetE1EEEvT1_,@function
_ZN7rocprim17ROCPRIM_400000_NS6detail17trampoline_kernelINS0_14default_configENS1_20scan_config_selectorIiEEZZNS1_9scan_implILNS1_25lookback_scan_determinismE0ELb0ELb1ES3_N6thrust23THRUST_200600_302600_NS6detail15normal_iteratorINS9_10device_ptrIiEEEESE_iNS9_10multipliesIiEEiEEDaPvRmT3_T4_T5_mT6_P12ihipStream_tbENKUlT_T0_E_clISt17integral_constantIbLb0EEST_IbLb1EEEEDaSP_SQ_EUlSP_E0_NS1_11comp_targetILNS1_3genE10ELNS1_11target_archE1200ELNS1_3gpuE4ELNS1_3repE0EEENS1_30default_config_static_selectorELNS0_4arch9wavefront6targetE1EEEvT1_: ; @_ZN7rocprim17ROCPRIM_400000_NS6detail17trampoline_kernelINS0_14default_configENS1_20scan_config_selectorIiEEZZNS1_9scan_implILNS1_25lookback_scan_determinismE0ELb0ELb1ES3_N6thrust23THRUST_200600_302600_NS6detail15normal_iteratorINS9_10device_ptrIiEEEESE_iNS9_10multipliesIiEEiEEDaPvRmT3_T4_T5_mT6_P12ihipStream_tbENKUlT_T0_E_clISt17integral_constantIbLb0EEST_IbLb1EEEEDaSP_SQ_EUlSP_E0_NS1_11comp_targetILNS1_3genE10ELNS1_11target_archE1200ELNS1_3gpuE4ELNS1_3repE0EEENS1_30default_config_static_selectorELNS0_4arch9wavefront6targetE1EEEvT1_
; %bb.0:
	.section	.rodata,"a",@progbits
	.p2align	6, 0x0
	.amdhsa_kernel _ZN7rocprim17ROCPRIM_400000_NS6detail17trampoline_kernelINS0_14default_configENS1_20scan_config_selectorIiEEZZNS1_9scan_implILNS1_25lookback_scan_determinismE0ELb0ELb1ES3_N6thrust23THRUST_200600_302600_NS6detail15normal_iteratorINS9_10device_ptrIiEEEESE_iNS9_10multipliesIiEEiEEDaPvRmT3_T4_T5_mT6_P12ihipStream_tbENKUlT_T0_E_clISt17integral_constantIbLb0EEST_IbLb1EEEEDaSP_SQ_EUlSP_E0_NS1_11comp_targetILNS1_3genE10ELNS1_11target_archE1200ELNS1_3gpuE4ELNS1_3repE0EEENS1_30default_config_static_selectorELNS0_4arch9wavefront6targetE1EEEvT1_
		.amdhsa_group_segment_fixed_size 0
		.amdhsa_private_segment_fixed_size 0
		.amdhsa_kernarg_size 32
		.amdhsa_user_sgpr_count 6
		.amdhsa_user_sgpr_private_segment_buffer 1
		.amdhsa_user_sgpr_dispatch_ptr 0
		.amdhsa_user_sgpr_queue_ptr 0
		.amdhsa_user_sgpr_kernarg_segment_ptr 1
		.amdhsa_user_sgpr_dispatch_id 0
		.amdhsa_user_sgpr_flat_scratch_init 0
		.amdhsa_user_sgpr_kernarg_preload_length 0
		.amdhsa_user_sgpr_kernarg_preload_offset 0
		.amdhsa_user_sgpr_private_segment_size 0
		.amdhsa_uses_dynamic_stack 0
		.amdhsa_system_sgpr_private_segment_wavefront_offset 0
		.amdhsa_system_sgpr_workgroup_id_x 1
		.amdhsa_system_sgpr_workgroup_id_y 0
		.amdhsa_system_sgpr_workgroup_id_z 0
		.amdhsa_system_sgpr_workgroup_info 0
		.amdhsa_system_vgpr_workitem_id 0
		.amdhsa_next_free_vgpr 1
		.amdhsa_next_free_sgpr 0
		.amdhsa_accum_offset 4
		.amdhsa_reserve_vcc 0
		.amdhsa_reserve_flat_scratch 0
		.amdhsa_float_round_mode_32 0
		.amdhsa_float_round_mode_16_64 0
		.amdhsa_float_denorm_mode_32 3
		.amdhsa_float_denorm_mode_16_64 3
		.amdhsa_dx10_clamp 1
		.amdhsa_ieee_mode 1
		.amdhsa_fp16_overflow 0
		.amdhsa_tg_split 0
		.amdhsa_exception_fp_ieee_invalid_op 0
		.amdhsa_exception_fp_denorm_src 0
		.amdhsa_exception_fp_ieee_div_zero 0
		.amdhsa_exception_fp_ieee_overflow 0
		.amdhsa_exception_fp_ieee_underflow 0
		.amdhsa_exception_fp_ieee_inexact 0
		.amdhsa_exception_int_div_zero 0
	.end_amdhsa_kernel
	.section	.text._ZN7rocprim17ROCPRIM_400000_NS6detail17trampoline_kernelINS0_14default_configENS1_20scan_config_selectorIiEEZZNS1_9scan_implILNS1_25lookback_scan_determinismE0ELb0ELb1ES3_N6thrust23THRUST_200600_302600_NS6detail15normal_iteratorINS9_10device_ptrIiEEEESE_iNS9_10multipliesIiEEiEEDaPvRmT3_T4_T5_mT6_P12ihipStream_tbENKUlT_T0_E_clISt17integral_constantIbLb0EEST_IbLb1EEEEDaSP_SQ_EUlSP_E0_NS1_11comp_targetILNS1_3genE10ELNS1_11target_archE1200ELNS1_3gpuE4ELNS1_3repE0EEENS1_30default_config_static_selectorELNS0_4arch9wavefront6targetE1EEEvT1_,"axG",@progbits,_ZN7rocprim17ROCPRIM_400000_NS6detail17trampoline_kernelINS0_14default_configENS1_20scan_config_selectorIiEEZZNS1_9scan_implILNS1_25lookback_scan_determinismE0ELb0ELb1ES3_N6thrust23THRUST_200600_302600_NS6detail15normal_iteratorINS9_10device_ptrIiEEEESE_iNS9_10multipliesIiEEiEEDaPvRmT3_T4_T5_mT6_P12ihipStream_tbENKUlT_T0_E_clISt17integral_constantIbLb0EEST_IbLb1EEEEDaSP_SQ_EUlSP_E0_NS1_11comp_targetILNS1_3genE10ELNS1_11target_archE1200ELNS1_3gpuE4ELNS1_3repE0EEENS1_30default_config_static_selectorELNS0_4arch9wavefront6targetE1EEEvT1_,comdat
.Lfunc_end657:
	.size	_ZN7rocprim17ROCPRIM_400000_NS6detail17trampoline_kernelINS0_14default_configENS1_20scan_config_selectorIiEEZZNS1_9scan_implILNS1_25lookback_scan_determinismE0ELb0ELb1ES3_N6thrust23THRUST_200600_302600_NS6detail15normal_iteratorINS9_10device_ptrIiEEEESE_iNS9_10multipliesIiEEiEEDaPvRmT3_T4_T5_mT6_P12ihipStream_tbENKUlT_T0_E_clISt17integral_constantIbLb0EEST_IbLb1EEEEDaSP_SQ_EUlSP_E0_NS1_11comp_targetILNS1_3genE10ELNS1_11target_archE1200ELNS1_3gpuE4ELNS1_3repE0EEENS1_30default_config_static_selectorELNS0_4arch9wavefront6targetE1EEEvT1_, .Lfunc_end657-_ZN7rocprim17ROCPRIM_400000_NS6detail17trampoline_kernelINS0_14default_configENS1_20scan_config_selectorIiEEZZNS1_9scan_implILNS1_25lookback_scan_determinismE0ELb0ELb1ES3_N6thrust23THRUST_200600_302600_NS6detail15normal_iteratorINS9_10device_ptrIiEEEESE_iNS9_10multipliesIiEEiEEDaPvRmT3_T4_T5_mT6_P12ihipStream_tbENKUlT_T0_E_clISt17integral_constantIbLb0EEST_IbLb1EEEEDaSP_SQ_EUlSP_E0_NS1_11comp_targetILNS1_3genE10ELNS1_11target_archE1200ELNS1_3gpuE4ELNS1_3repE0EEENS1_30default_config_static_selectorELNS0_4arch9wavefront6targetE1EEEvT1_
                                        ; -- End function
	.section	.AMDGPU.csdata,"",@progbits
; Kernel info:
; codeLenInByte = 0
; NumSgprs: 4
; NumVgprs: 0
; NumAgprs: 0
; TotalNumVgprs: 0
; ScratchSize: 0
; MemoryBound: 0
; FloatMode: 240
; IeeeMode: 1
; LDSByteSize: 0 bytes/workgroup (compile time only)
; SGPRBlocks: 0
; VGPRBlocks: 0
; NumSGPRsForWavesPerEU: 4
; NumVGPRsForWavesPerEU: 1
; AccumOffset: 4
; Occupancy: 8
; WaveLimiterHint : 0
; COMPUTE_PGM_RSRC2:SCRATCH_EN: 0
; COMPUTE_PGM_RSRC2:USER_SGPR: 6
; COMPUTE_PGM_RSRC2:TRAP_HANDLER: 0
; COMPUTE_PGM_RSRC2:TGID_X_EN: 1
; COMPUTE_PGM_RSRC2:TGID_Y_EN: 0
; COMPUTE_PGM_RSRC2:TGID_Z_EN: 0
; COMPUTE_PGM_RSRC2:TIDIG_COMP_CNT: 0
; COMPUTE_PGM_RSRC3_GFX90A:ACCUM_OFFSET: 0
; COMPUTE_PGM_RSRC3_GFX90A:TG_SPLIT: 0
	.section	.text._ZN7rocprim17ROCPRIM_400000_NS6detail17trampoline_kernelINS0_14default_configENS1_20scan_config_selectorIiEEZZNS1_9scan_implILNS1_25lookback_scan_determinismE0ELb0ELb1ES3_N6thrust23THRUST_200600_302600_NS6detail15normal_iteratorINS9_10device_ptrIiEEEESE_iNS9_10multipliesIiEEiEEDaPvRmT3_T4_T5_mT6_P12ihipStream_tbENKUlT_T0_E_clISt17integral_constantIbLb0EEST_IbLb1EEEEDaSP_SQ_EUlSP_E0_NS1_11comp_targetILNS1_3genE9ELNS1_11target_archE1100ELNS1_3gpuE3ELNS1_3repE0EEENS1_30default_config_static_selectorELNS0_4arch9wavefront6targetE1EEEvT1_,"axG",@progbits,_ZN7rocprim17ROCPRIM_400000_NS6detail17trampoline_kernelINS0_14default_configENS1_20scan_config_selectorIiEEZZNS1_9scan_implILNS1_25lookback_scan_determinismE0ELb0ELb1ES3_N6thrust23THRUST_200600_302600_NS6detail15normal_iteratorINS9_10device_ptrIiEEEESE_iNS9_10multipliesIiEEiEEDaPvRmT3_T4_T5_mT6_P12ihipStream_tbENKUlT_T0_E_clISt17integral_constantIbLb0EEST_IbLb1EEEEDaSP_SQ_EUlSP_E0_NS1_11comp_targetILNS1_3genE9ELNS1_11target_archE1100ELNS1_3gpuE3ELNS1_3repE0EEENS1_30default_config_static_selectorELNS0_4arch9wavefront6targetE1EEEvT1_,comdat
	.protected	_ZN7rocprim17ROCPRIM_400000_NS6detail17trampoline_kernelINS0_14default_configENS1_20scan_config_selectorIiEEZZNS1_9scan_implILNS1_25lookback_scan_determinismE0ELb0ELb1ES3_N6thrust23THRUST_200600_302600_NS6detail15normal_iteratorINS9_10device_ptrIiEEEESE_iNS9_10multipliesIiEEiEEDaPvRmT3_T4_T5_mT6_P12ihipStream_tbENKUlT_T0_E_clISt17integral_constantIbLb0EEST_IbLb1EEEEDaSP_SQ_EUlSP_E0_NS1_11comp_targetILNS1_3genE9ELNS1_11target_archE1100ELNS1_3gpuE3ELNS1_3repE0EEENS1_30default_config_static_selectorELNS0_4arch9wavefront6targetE1EEEvT1_ ; -- Begin function _ZN7rocprim17ROCPRIM_400000_NS6detail17trampoline_kernelINS0_14default_configENS1_20scan_config_selectorIiEEZZNS1_9scan_implILNS1_25lookback_scan_determinismE0ELb0ELb1ES3_N6thrust23THRUST_200600_302600_NS6detail15normal_iteratorINS9_10device_ptrIiEEEESE_iNS9_10multipliesIiEEiEEDaPvRmT3_T4_T5_mT6_P12ihipStream_tbENKUlT_T0_E_clISt17integral_constantIbLb0EEST_IbLb1EEEEDaSP_SQ_EUlSP_E0_NS1_11comp_targetILNS1_3genE9ELNS1_11target_archE1100ELNS1_3gpuE3ELNS1_3repE0EEENS1_30default_config_static_selectorELNS0_4arch9wavefront6targetE1EEEvT1_
	.globl	_ZN7rocprim17ROCPRIM_400000_NS6detail17trampoline_kernelINS0_14default_configENS1_20scan_config_selectorIiEEZZNS1_9scan_implILNS1_25lookback_scan_determinismE0ELb0ELb1ES3_N6thrust23THRUST_200600_302600_NS6detail15normal_iteratorINS9_10device_ptrIiEEEESE_iNS9_10multipliesIiEEiEEDaPvRmT3_T4_T5_mT6_P12ihipStream_tbENKUlT_T0_E_clISt17integral_constantIbLb0EEST_IbLb1EEEEDaSP_SQ_EUlSP_E0_NS1_11comp_targetILNS1_3genE9ELNS1_11target_archE1100ELNS1_3gpuE3ELNS1_3repE0EEENS1_30default_config_static_selectorELNS0_4arch9wavefront6targetE1EEEvT1_
	.p2align	8
	.type	_ZN7rocprim17ROCPRIM_400000_NS6detail17trampoline_kernelINS0_14default_configENS1_20scan_config_selectorIiEEZZNS1_9scan_implILNS1_25lookback_scan_determinismE0ELb0ELb1ES3_N6thrust23THRUST_200600_302600_NS6detail15normal_iteratorINS9_10device_ptrIiEEEESE_iNS9_10multipliesIiEEiEEDaPvRmT3_T4_T5_mT6_P12ihipStream_tbENKUlT_T0_E_clISt17integral_constantIbLb0EEST_IbLb1EEEEDaSP_SQ_EUlSP_E0_NS1_11comp_targetILNS1_3genE9ELNS1_11target_archE1100ELNS1_3gpuE3ELNS1_3repE0EEENS1_30default_config_static_selectorELNS0_4arch9wavefront6targetE1EEEvT1_,@function
_ZN7rocprim17ROCPRIM_400000_NS6detail17trampoline_kernelINS0_14default_configENS1_20scan_config_selectorIiEEZZNS1_9scan_implILNS1_25lookback_scan_determinismE0ELb0ELb1ES3_N6thrust23THRUST_200600_302600_NS6detail15normal_iteratorINS9_10device_ptrIiEEEESE_iNS9_10multipliesIiEEiEEDaPvRmT3_T4_T5_mT6_P12ihipStream_tbENKUlT_T0_E_clISt17integral_constantIbLb0EEST_IbLb1EEEEDaSP_SQ_EUlSP_E0_NS1_11comp_targetILNS1_3genE9ELNS1_11target_archE1100ELNS1_3gpuE3ELNS1_3repE0EEENS1_30default_config_static_selectorELNS0_4arch9wavefront6targetE1EEEvT1_: ; @_ZN7rocprim17ROCPRIM_400000_NS6detail17trampoline_kernelINS0_14default_configENS1_20scan_config_selectorIiEEZZNS1_9scan_implILNS1_25lookback_scan_determinismE0ELb0ELb1ES3_N6thrust23THRUST_200600_302600_NS6detail15normal_iteratorINS9_10device_ptrIiEEEESE_iNS9_10multipliesIiEEiEEDaPvRmT3_T4_T5_mT6_P12ihipStream_tbENKUlT_T0_E_clISt17integral_constantIbLb0EEST_IbLb1EEEEDaSP_SQ_EUlSP_E0_NS1_11comp_targetILNS1_3genE9ELNS1_11target_archE1100ELNS1_3gpuE3ELNS1_3repE0EEENS1_30default_config_static_selectorELNS0_4arch9wavefront6targetE1EEEvT1_
; %bb.0:
	.section	.rodata,"a",@progbits
	.p2align	6, 0x0
	.amdhsa_kernel _ZN7rocprim17ROCPRIM_400000_NS6detail17trampoline_kernelINS0_14default_configENS1_20scan_config_selectorIiEEZZNS1_9scan_implILNS1_25lookback_scan_determinismE0ELb0ELb1ES3_N6thrust23THRUST_200600_302600_NS6detail15normal_iteratorINS9_10device_ptrIiEEEESE_iNS9_10multipliesIiEEiEEDaPvRmT3_T4_T5_mT6_P12ihipStream_tbENKUlT_T0_E_clISt17integral_constantIbLb0EEST_IbLb1EEEEDaSP_SQ_EUlSP_E0_NS1_11comp_targetILNS1_3genE9ELNS1_11target_archE1100ELNS1_3gpuE3ELNS1_3repE0EEENS1_30default_config_static_selectorELNS0_4arch9wavefront6targetE1EEEvT1_
		.amdhsa_group_segment_fixed_size 0
		.amdhsa_private_segment_fixed_size 0
		.amdhsa_kernarg_size 32
		.amdhsa_user_sgpr_count 6
		.amdhsa_user_sgpr_private_segment_buffer 1
		.amdhsa_user_sgpr_dispatch_ptr 0
		.amdhsa_user_sgpr_queue_ptr 0
		.amdhsa_user_sgpr_kernarg_segment_ptr 1
		.amdhsa_user_sgpr_dispatch_id 0
		.amdhsa_user_sgpr_flat_scratch_init 0
		.amdhsa_user_sgpr_kernarg_preload_length 0
		.amdhsa_user_sgpr_kernarg_preload_offset 0
		.amdhsa_user_sgpr_private_segment_size 0
		.amdhsa_uses_dynamic_stack 0
		.amdhsa_system_sgpr_private_segment_wavefront_offset 0
		.amdhsa_system_sgpr_workgroup_id_x 1
		.amdhsa_system_sgpr_workgroup_id_y 0
		.amdhsa_system_sgpr_workgroup_id_z 0
		.amdhsa_system_sgpr_workgroup_info 0
		.amdhsa_system_vgpr_workitem_id 0
		.amdhsa_next_free_vgpr 1
		.amdhsa_next_free_sgpr 0
		.amdhsa_accum_offset 4
		.amdhsa_reserve_vcc 0
		.amdhsa_reserve_flat_scratch 0
		.amdhsa_float_round_mode_32 0
		.amdhsa_float_round_mode_16_64 0
		.amdhsa_float_denorm_mode_32 3
		.amdhsa_float_denorm_mode_16_64 3
		.amdhsa_dx10_clamp 1
		.amdhsa_ieee_mode 1
		.amdhsa_fp16_overflow 0
		.amdhsa_tg_split 0
		.amdhsa_exception_fp_ieee_invalid_op 0
		.amdhsa_exception_fp_denorm_src 0
		.amdhsa_exception_fp_ieee_div_zero 0
		.amdhsa_exception_fp_ieee_overflow 0
		.amdhsa_exception_fp_ieee_underflow 0
		.amdhsa_exception_fp_ieee_inexact 0
		.amdhsa_exception_int_div_zero 0
	.end_amdhsa_kernel
	.section	.text._ZN7rocprim17ROCPRIM_400000_NS6detail17trampoline_kernelINS0_14default_configENS1_20scan_config_selectorIiEEZZNS1_9scan_implILNS1_25lookback_scan_determinismE0ELb0ELb1ES3_N6thrust23THRUST_200600_302600_NS6detail15normal_iteratorINS9_10device_ptrIiEEEESE_iNS9_10multipliesIiEEiEEDaPvRmT3_T4_T5_mT6_P12ihipStream_tbENKUlT_T0_E_clISt17integral_constantIbLb0EEST_IbLb1EEEEDaSP_SQ_EUlSP_E0_NS1_11comp_targetILNS1_3genE9ELNS1_11target_archE1100ELNS1_3gpuE3ELNS1_3repE0EEENS1_30default_config_static_selectorELNS0_4arch9wavefront6targetE1EEEvT1_,"axG",@progbits,_ZN7rocprim17ROCPRIM_400000_NS6detail17trampoline_kernelINS0_14default_configENS1_20scan_config_selectorIiEEZZNS1_9scan_implILNS1_25lookback_scan_determinismE0ELb0ELb1ES3_N6thrust23THRUST_200600_302600_NS6detail15normal_iteratorINS9_10device_ptrIiEEEESE_iNS9_10multipliesIiEEiEEDaPvRmT3_T4_T5_mT6_P12ihipStream_tbENKUlT_T0_E_clISt17integral_constantIbLb0EEST_IbLb1EEEEDaSP_SQ_EUlSP_E0_NS1_11comp_targetILNS1_3genE9ELNS1_11target_archE1100ELNS1_3gpuE3ELNS1_3repE0EEENS1_30default_config_static_selectorELNS0_4arch9wavefront6targetE1EEEvT1_,comdat
.Lfunc_end658:
	.size	_ZN7rocprim17ROCPRIM_400000_NS6detail17trampoline_kernelINS0_14default_configENS1_20scan_config_selectorIiEEZZNS1_9scan_implILNS1_25lookback_scan_determinismE0ELb0ELb1ES3_N6thrust23THRUST_200600_302600_NS6detail15normal_iteratorINS9_10device_ptrIiEEEESE_iNS9_10multipliesIiEEiEEDaPvRmT3_T4_T5_mT6_P12ihipStream_tbENKUlT_T0_E_clISt17integral_constantIbLb0EEST_IbLb1EEEEDaSP_SQ_EUlSP_E0_NS1_11comp_targetILNS1_3genE9ELNS1_11target_archE1100ELNS1_3gpuE3ELNS1_3repE0EEENS1_30default_config_static_selectorELNS0_4arch9wavefront6targetE1EEEvT1_, .Lfunc_end658-_ZN7rocprim17ROCPRIM_400000_NS6detail17trampoline_kernelINS0_14default_configENS1_20scan_config_selectorIiEEZZNS1_9scan_implILNS1_25lookback_scan_determinismE0ELb0ELb1ES3_N6thrust23THRUST_200600_302600_NS6detail15normal_iteratorINS9_10device_ptrIiEEEESE_iNS9_10multipliesIiEEiEEDaPvRmT3_T4_T5_mT6_P12ihipStream_tbENKUlT_T0_E_clISt17integral_constantIbLb0EEST_IbLb1EEEEDaSP_SQ_EUlSP_E0_NS1_11comp_targetILNS1_3genE9ELNS1_11target_archE1100ELNS1_3gpuE3ELNS1_3repE0EEENS1_30default_config_static_selectorELNS0_4arch9wavefront6targetE1EEEvT1_
                                        ; -- End function
	.section	.AMDGPU.csdata,"",@progbits
; Kernel info:
; codeLenInByte = 0
; NumSgprs: 4
; NumVgprs: 0
; NumAgprs: 0
; TotalNumVgprs: 0
; ScratchSize: 0
; MemoryBound: 0
; FloatMode: 240
; IeeeMode: 1
; LDSByteSize: 0 bytes/workgroup (compile time only)
; SGPRBlocks: 0
; VGPRBlocks: 0
; NumSGPRsForWavesPerEU: 4
; NumVGPRsForWavesPerEU: 1
; AccumOffset: 4
; Occupancy: 8
; WaveLimiterHint : 0
; COMPUTE_PGM_RSRC2:SCRATCH_EN: 0
; COMPUTE_PGM_RSRC2:USER_SGPR: 6
; COMPUTE_PGM_RSRC2:TRAP_HANDLER: 0
; COMPUTE_PGM_RSRC2:TGID_X_EN: 1
; COMPUTE_PGM_RSRC2:TGID_Y_EN: 0
; COMPUTE_PGM_RSRC2:TGID_Z_EN: 0
; COMPUTE_PGM_RSRC2:TIDIG_COMP_CNT: 0
; COMPUTE_PGM_RSRC3_GFX90A:ACCUM_OFFSET: 0
; COMPUTE_PGM_RSRC3_GFX90A:TG_SPLIT: 0
	.section	.text._ZN7rocprim17ROCPRIM_400000_NS6detail17trampoline_kernelINS0_14default_configENS1_20scan_config_selectorIiEEZZNS1_9scan_implILNS1_25lookback_scan_determinismE0ELb0ELb1ES3_N6thrust23THRUST_200600_302600_NS6detail15normal_iteratorINS9_10device_ptrIiEEEESE_iNS9_10multipliesIiEEiEEDaPvRmT3_T4_T5_mT6_P12ihipStream_tbENKUlT_T0_E_clISt17integral_constantIbLb0EEST_IbLb1EEEEDaSP_SQ_EUlSP_E0_NS1_11comp_targetILNS1_3genE8ELNS1_11target_archE1030ELNS1_3gpuE2ELNS1_3repE0EEENS1_30default_config_static_selectorELNS0_4arch9wavefront6targetE1EEEvT1_,"axG",@progbits,_ZN7rocprim17ROCPRIM_400000_NS6detail17trampoline_kernelINS0_14default_configENS1_20scan_config_selectorIiEEZZNS1_9scan_implILNS1_25lookback_scan_determinismE0ELb0ELb1ES3_N6thrust23THRUST_200600_302600_NS6detail15normal_iteratorINS9_10device_ptrIiEEEESE_iNS9_10multipliesIiEEiEEDaPvRmT3_T4_T5_mT6_P12ihipStream_tbENKUlT_T0_E_clISt17integral_constantIbLb0EEST_IbLb1EEEEDaSP_SQ_EUlSP_E0_NS1_11comp_targetILNS1_3genE8ELNS1_11target_archE1030ELNS1_3gpuE2ELNS1_3repE0EEENS1_30default_config_static_selectorELNS0_4arch9wavefront6targetE1EEEvT1_,comdat
	.protected	_ZN7rocprim17ROCPRIM_400000_NS6detail17trampoline_kernelINS0_14default_configENS1_20scan_config_selectorIiEEZZNS1_9scan_implILNS1_25lookback_scan_determinismE0ELb0ELb1ES3_N6thrust23THRUST_200600_302600_NS6detail15normal_iteratorINS9_10device_ptrIiEEEESE_iNS9_10multipliesIiEEiEEDaPvRmT3_T4_T5_mT6_P12ihipStream_tbENKUlT_T0_E_clISt17integral_constantIbLb0EEST_IbLb1EEEEDaSP_SQ_EUlSP_E0_NS1_11comp_targetILNS1_3genE8ELNS1_11target_archE1030ELNS1_3gpuE2ELNS1_3repE0EEENS1_30default_config_static_selectorELNS0_4arch9wavefront6targetE1EEEvT1_ ; -- Begin function _ZN7rocprim17ROCPRIM_400000_NS6detail17trampoline_kernelINS0_14default_configENS1_20scan_config_selectorIiEEZZNS1_9scan_implILNS1_25lookback_scan_determinismE0ELb0ELb1ES3_N6thrust23THRUST_200600_302600_NS6detail15normal_iteratorINS9_10device_ptrIiEEEESE_iNS9_10multipliesIiEEiEEDaPvRmT3_T4_T5_mT6_P12ihipStream_tbENKUlT_T0_E_clISt17integral_constantIbLb0EEST_IbLb1EEEEDaSP_SQ_EUlSP_E0_NS1_11comp_targetILNS1_3genE8ELNS1_11target_archE1030ELNS1_3gpuE2ELNS1_3repE0EEENS1_30default_config_static_selectorELNS0_4arch9wavefront6targetE1EEEvT1_
	.globl	_ZN7rocprim17ROCPRIM_400000_NS6detail17trampoline_kernelINS0_14default_configENS1_20scan_config_selectorIiEEZZNS1_9scan_implILNS1_25lookback_scan_determinismE0ELb0ELb1ES3_N6thrust23THRUST_200600_302600_NS6detail15normal_iteratorINS9_10device_ptrIiEEEESE_iNS9_10multipliesIiEEiEEDaPvRmT3_T4_T5_mT6_P12ihipStream_tbENKUlT_T0_E_clISt17integral_constantIbLb0EEST_IbLb1EEEEDaSP_SQ_EUlSP_E0_NS1_11comp_targetILNS1_3genE8ELNS1_11target_archE1030ELNS1_3gpuE2ELNS1_3repE0EEENS1_30default_config_static_selectorELNS0_4arch9wavefront6targetE1EEEvT1_
	.p2align	8
	.type	_ZN7rocprim17ROCPRIM_400000_NS6detail17trampoline_kernelINS0_14default_configENS1_20scan_config_selectorIiEEZZNS1_9scan_implILNS1_25lookback_scan_determinismE0ELb0ELb1ES3_N6thrust23THRUST_200600_302600_NS6detail15normal_iteratorINS9_10device_ptrIiEEEESE_iNS9_10multipliesIiEEiEEDaPvRmT3_T4_T5_mT6_P12ihipStream_tbENKUlT_T0_E_clISt17integral_constantIbLb0EEST_IbLb1EEEEDaSP_SQ_EUlSP_E0_NS1_11comp_targetILNS1_3genE8ELNS1_11target_archE1030ELNS1_3gpuE2ELNS1_3repE0EEENS1_30default_config_static_selectorELNS0_4arch9wavefront6targetE1EEEvT1_,@function
_ZN7rocprim17ROCPRIM_400000_NS6detail17trampoline_kernelINS0_14default_configENS1_20scan_config_selectorIiEEZZNS1_9scan_implILNS1_25lookback_scan_determinismE0ELb0ELb1ES3_N6thrust23THRUST_200600_302600_NS6detail15normal_iteratorINS9_10device_ptrIiEEEESE_iNS9_10multipliesIiEEiEEDaPvRmT3_T4_T5_mT6_P12ihipStream_tbENKUlT_T0_E_clISt17integral_constantIbLb0EEST_IbLb1EEEEDaSP_SQ_EUlSP_E0_NS1_11comp_targetILNS1_3genE8ELNS1_11target_archE1030ELNS1_3gpuE2ELNS1_3repE0EEENS1_30default_config_static_selectorELNS0_4arch9wavefront6targetE1EEEvT1_: ; @_ZN7rocprim17ROCPRIM_400000_NS6detail17trampoline_kernelINS0_14default_configENS1_20scan_config_selectorIiEEZZNS1_9scan_implILNS1_25lookback_scan_determinismE0ELb0ELb1ES3_N6thrust23THRUST_200600_302600_NS6detail15normal_iteratorINS9_10device_ptrIiEEEESE_iNS9_10multipliesIiEEiEEDaPvRmT3_T4_T5_mT6_P12ihipStream_tbENKUlT_T0_E_clISt17integral_constantIbLb0EEST_IbLb1EEEEDaSP_SQ_EUlSP_E0_NS1_11comp_targetILNS1_3genE8ELNS1_11target_archE1030ELNS1_3gpuE2ELNS1_3repE0EEENS1_30default_config_static_selectorELNS0_4arch9wavefront6targetE1EEEvT1_
; %bb.0:
	.section	.rodata,"a",@progbits
	.p2align	6, 0x0
	.amdhsa_kernel _ZN7rocprim17ROCPRIM_400000_NS6detail17trampoline_kernelINS0_14default_configENS1_20scan_config_selectorIiEEZZNS1_9scan_implILNS1_25lookback_scan_determinismE0ELb0ELb1ES3_N6thrust23THRUST_200600_302600_NS6detail15normal_iteratorINS9_10device_ptrIiEEEESE_iNS9_10multipliesIiEEiEEDaPvRmT3_T4_T5_mT6_P12ihipStream_tbENKUlT_T0_E_clISt17integral_constantIbLb0EEST_IbLb1EEEEDaSP_SQ_EUlSP_E0_NS1_11comp_targetILNS1_3genE8ELNS1_11target_archE1030ELNS1_3gpuE2ELNS1_3repE0EEENS1_30default_config_static_selectorELNS0_4arch9wavefront6targetE1EEEvT1_
		.amdhsa_group_segment_fixed_size 0
		.amdhsa_private_segment_fixed_size 0
		.amdhsa_kernarg_size 32
		.amdhsa_user_sgpr_count 6
		.amdhsa_user_sgpr_private_segment_buffer 1
		.amdhsa_user_sgpr_dispatch_ptr 0
		.amdhsa_user_sgpr_queue_ptr 0
		.amdhsa_user_sgpr_kernarg_segment_ptr 1
		.amdhsa_user_sgpr_dispatch_id 0
		.amdhsa_user_sgpr_flat_scratch_init 0
		.amdhsa_user_sgpr_kernarg_preload_length 0
		.amdhsa_user_sgpr_kernarg_preload_offset 0
		.amdhsa_user_sgpr_private_segment_size 0
		.amdhsa_uses_dynamic_stack 0
		.amdhsa_system_sgpr_private_segment_wavefront_offset 0
		.amdhsa_system_sgpr_workgroup_id_x 1
		.amdhsa_system_sgpr_workgroup_id_y 0
		.amdhsa_system_sgpr_workgroup_id_z 0
		.amdhsa_system_sgpr_workgroup_info 0
		.amdhsa_system_vgpr_workitem_id 0
		.amdhsa_next_free_vgpr 1
		.amdhsa_next_free_sgpr 0
		.amdhsa_accum_offset 4
		.amdhsa_reserve_vcc 0
		.amdhsa_reserve_flat_scratch 0
		.amdhsa_float_round_mode_32 0
		.amdhsa_float_round_mode_16_64 0
		.amdhsa_float_denorm_mode_32 3
		.amdhsa_float_denorm_mode_16_64 3
		.amdhsa_dx10_clamp 1
		.amdhsa_ieee_mode 1
		.amdhsa_fp16_overflow 0
		.amdhsa_tg_split 0
		.amdhsa_exception_fp_ieee_invalid_op 0
		.amdhsa_exception_fp_denorm_src 0
		.amdhsa_exception_fp_ieee_div_zero 0
		.amdhsa_exception_fp_ieee_overflow 0
		.amdhsa_exception_fp_ieee_underflow 0
		.amdhsa_exception_fp_ieee_inexact 0
		.amdhsa_exception_int_div_zero 0
	.end_amdhsa_kernel
	.section	.text._ZN7rocprim17ROCPRIM_400000_NS6detail17trampoline_kernelINS0_14default_configENS1_20scan_config_selectorIiEEZZNS1_9scan_implILNS1_25lookback_scan_determinismE0ELb0ELb1ES3_N6thrust23THRUST_200600_302600_NS6detail15normal_iteratorINS9_10device_ptrIiEEEESE_iNS9_10multipliesIiEEiEEDaPvRmT3_T4_T5_mT6_P12ihipStream_tbENKUlT_T0_E_clISt17integral_constantIbLb0EEST_IbLb1EEEEDaSP_SQ_EUlSP_E0_NS1_11comp_targetILNS1_3genE8ELNS1_11target_archE1030ELNS1_3gpuE2ELNS1_3repE0EEENS1_30default_config_static_selectorELNS0_4arch9wavefront6targetE1EEEvT1_,"axG",@progbits,_ZN7rocprim17ROCPRIM_400000_NS6detail17trampoline_kernelINS0_14default_configENS1_20scan_config_selectorIiEEZZNS1_9scan_implILNS1_25lookback_scan_determinismE0ELb0ELb1ES3_N6thrust23THRUST_200600_302600_NS6detail15normal_iteratorINS9_10device_ptrIiEEEESE_iNS9_10multipliesIiEEiEEDaPvRmT3_T4_T5_mT6_P12ihipStream_tbENKUlT_T0_E_clISt17integral_constantIbLb0EEST_IbLb1EEEEDaSP_SQ_EUlSP_E0_NS1_11comp_targetILNS1_3genE8ELNS1_11target_archE1030ELNS1_3gpuE2ELNS1_3repE0EEENS1_30default_config_static_selectorELNS0_4arch9wavefront6targetE1EEEvT1_,comdat
.Lfunc_end659:
	.size	_ZN7rocprim17ROCPRIM_400000_NS6detail17trampoline_kernelINS0_14default_configENS1_20scan_config_selectorIiEEZZNS1_9scan_implILNS1_25lookback_scan_determinismE0ELb0ELb1ES3_N6thrust23THRUST_200600_302600_NS6detail15normal_iteratorINS9_10device_ptrIiEEEESE_iNS9_10multipliesIiEEiEEDaPvRmT3_T4_T5_mT6_P12ihipStream_tbENKUlT_T0_E_clISt17integral_constantIbLb0EEST_IbLb1EEEEDaSP_SQ_EUlSP_E0_NS1_11comp_targetILNS1_3genE8ELNS1_11target_archE1030ELNS1_3gpuE2ELNS1_3repE0EEENS1_30default_config_static_selectorELNS0_4arch9wavefront6targetE1EEEvT1_, .Lfunc_end659-_ZN7rocprim17ROCPRIM_400000_NS6detail17trampoline_kernelINS0_14default_configENS1_20scan_config_selectorIiEEZZNS1_9scan_implILNS1_25lookback_scan_determinismE0ELb0ELb1ES3_N6thrust23THRUST_200600_302600_NS6detail15normal_iteratorINS9_10device_ptrIiEEEESE_iNS9_10multipliesIiEEiEEDaPvRmT3_T4_T5_mT6_P12ihipStream_tbENKUlT_T0_E_clISt17integral_constantIbLb0EEST_IbLb1EEEEDaSP_SQ_EUlSP_E0_NS1_11comp_targetILNS1_3genE8ELNS1_11target_archE1030ELNS1_3gpuE2ELNS1_3repE0EEENS1_30default_config_static_selectorELNS0_4arch9wavefront6targetE1EEEvT1_
                                        ; -- End function
	.section	.AMDGPU.csdata,"",@progbits
; Kernel info:
; codeLenInByte = 0
; NumSgprs: 4
; NumVgprs: 0
; NumAgprs: 0
; TotalNumVgprs: 0
; ScratchSize: 0
; MemoryBound: 0
; FloatMode: 240
; IeeeMode: 1
; LDSByteSize: 0 bytes/workgroup (compile time only)
; SGPRBlocks: 0
; VGPRBlocks: 0
; NumSGPRsForWavesPerEU: 4
; NumVGPRsForWavesPerEU: 1
; AccumOffset: 4
; Occupancy: 8
; WaveLimiterHint : 0
; COMPUTE_PGM_RSRC2:SCRATCH_EN: 0
; COMPUTE_PGM_RSRC2:USER_SGPR: 6
; COMPUTE_PGM_RSRC2:TRAP_HANDLER: 0
; COMPUTE_PGM_RSRC2:TGID_X_EN: 1
; COMPUTE_PGM_RSRC2:TGID_Y_EN: 0
; COMPUTE_PGM_RSRC2:TGID_Z_EN: 0
; COMPUTE_PGM_RSRC2:TIDIG_COMP_CNT: 0
; COMPUTE_PGM_RSRC3_GFX90A:ACCUM_OFFSET: 0
; COMPUTE_PGM_RSRC3_GFX90A:TG_SPLIT: 0
	.section	.text._ZN7rocprim17ROCPRIM_400000_NS6detail17trampoline_kernelINS0_14default_configENS1_20scan_config_selectorIiEEZZNS1_9scan_implILNS1_25lookback_scan_determinismE0ELb1ELb1ES3_N6thrust23THRUST_200600_302600_NS6detail15normal_iteratorINS9_10device_ptrIiEEEESE_iNS9_4plusIiEEiEEDaPvRmT3_T4_T5_mT6_P12ihipStream_tbENKUlT_T0_E_clISt17integral_constantIbLb0EESU_EEDaSP_SQ_EUlSP_E_NS1_11comp_targetILNS1_3genE0ELNS1_11target_archE4294967295ELNS1_3gpuE0ELNS1_3repE0EEENS1_30default_config_static_selectorELNS0_4arch9wavefront6targetE1EEEvT1_,"axG",@progbits,_ZN7rocprim17ROCPRIM_400000_NS6detail17trampoline_kernelINS0_14default_configENS1_20scan_config_selectorIiEEZZNS1_9scan_implILNS1_25lookback_scan_determinismE0ELb1ELb1ES3_N6thrust23THRUST_200600_302600_NS6detail15normal_iteratorINS9_10device_ptrIiEEEESE_iNS9_4plusIiEEiEEDaPvRmT3_T4_T5_mT6_P12ihipStream_tbENKUlT_T0_E_clISt17integral_constantIbLb0EESU_EEDaSP_SQ_EUlSP_E_NS1_11comp_targetILNS1_3genE0ELNS1_11target_archE4294967295ELNS1_3gpuE0ELNS1_3repE0EEENS1_30default_config_static_selectorELNS0_4arch9wavefront6targetE1EEEvT1_,comdat
	.protected	_ZN7rocprim17ROCPRIM_400000_NS6detail17trampoline_kernelINS0_14default_configENS1_20scan_config_selectorIiEEZZNS1_9scan_implILNS1_25lookback_scan_determinismE0ELb1ELb1ES3_N6thrust23THRUST_200600_302600_NS6detail15normal_iteratorINS9_10device_ptrIiEEEESE_iNS9_4plusIiEEiEEDaPvRmT3_T4_T5_mT6_P12ihipStream_tbENKUlT_T0_E_clISt17integral_constantIbLb0EESU_EEDaSP_SQ_EUlSP_E_NS1_11comp_targetILNS1_3genE0ELNS1_11target_archE4294967295ELNS1_3gpuE0ELNS1_3repE0EEENS1_30default_config_static_selectorELNS0_4arch9wavefront6targetE1EEEvT1_ ; -- Begin function _ZN7rocprim17ROCPRIM_400000_NS6detail17trampoline_kernelINS0_14default_configENS1_20scan_config_selectorIiEEZZNS1_9scan_implILNS1_25lookback_scan_determinismE0ELb1ELb1ES3_N6thrust23THRUST_200600_302600_NS6detail15normal_iteratorINS9_10device_ptrIiEEEESE_iNS9_4plusIiEEiEEDaPvRmT3_T4_T5_mT6_P12ihipStream_tbENKUlT_T0_E_clISt17integral_constantIbLb0EESU_EEDaSP_SQ_EUlSP_E_NS1_11comp_targetILNS1_3genE0ELNS1_11target_archE4294967295ELNS1_3gpuE0ELNS1_3repE0EEENS1_30default_config_static_selectorELNS0_4arch9wavefront6targetE1EEEvT1_
	.globl	_ZN7rocprim17ROCPRIM_400000_NS6detail17trampoline_kernelINS0_14default_configENS1_20scan_config_selectorIiEEZZNS1_9scan_implILNS1_25lookback_scan_determinismE0ELb1ELb1ES3_N6thrust23THRUST_200600_302600_NS6detail15normal_iteratorINS9_10device_ptrIiEEEESE_iNS9_4plusIiEEiEEDaPvRmT3_T4_T5_mT6_P12ihipStream_tbENKUlT_T0_E_clISt17integral_constantIbLb0EESU_EEDaSP_SQ_EUlSP_E_NS1_11comp_targetILNS1_3genE0ELNS1_11target_archE4294967295ELNS1_3gpuE0ELNS1_3repE0EEENS1_30default_config_static_selectorELNS0_4arch9wavefront6targetE1EEEvT1_
	.p2align	8
	.type	_ZN7rocprim17ROCPRIM_400000_NS6detail17trampoline_kernelINS0_14default_configENS1_20scan_config_selectorIiEEZZNS1_9scan_implILNS1_25lookback_scan_determinismE0ELb1ELb1ES3_N6thrust23THRUST_200600_302600_NS6detail15normal_iteratorINS9_10device_ptrIiEEEESE_iNS9_4plusIiEEiEEDaPvRmT3_T4_T5_mT6_P12ihipStream_tbENKUlT_T0_E_clISt17integral_constantIbLb0EESU_EEDaSP_SQ_EUlSP_E_NS1_11comp_targetILNS1_3genE0ELNS1_11target_archE4294967295ELNS1_3gpuE0ELNS1_3repE0EEENS1_30default_config_static_selectorELNS0_4arch9wavefront6targetE1EEEvT1_,@function
_ZN7rocprim17ROCPRIM_400000_NS6detail17trampoline_kernelINS0_14default_configENS1_20scan_config_selectorIiEEZZNS1_9scan_implILNS1_25lookback_scan_determinismE0ELb1ELb1ES3_N6thrust23THRUST_200600_302600_NS6detail15normal_iteratorINS9_10device_ptrIiEEEESE_iNS9_4plusIiEEiEEDaPvRmT3_T4_T5_mT6_P12ihipStream_tbENKUlT_T0_E_clISt17integral_constantIbLb0EESU_EEDaSP_SQ_EUlSP_E_NS1_11comp_targetILNS1_3genE0ELNS1_11target_archE4294967295ELNS1_3gpuE0ELNS1_3repE0EEENS1_30default_config_static_selectorELNS0_4arch9wavefront6targetE1EEEvT1_: ; @_ZN7rocprim17ROCPRIM_400000_NS6detail17trampoline_kernelINS0_14default_configENS1_20scan_config_selectorIiEEZZNS1_9scan_implILNS1_25lookback_scan_determinismE0ELb1ELb1ES3_N6thrust23THRUST_200600_302600_NS6detail15normal_iteratorINS9_10device_ptrIiEEEESE_iNS9_4plusIiEEiEEDaPvRmT3_T4_T5_mT6_P12ihipStream_tbENKUlT_T0_E_clISt17integral_constantIbLb0EESU_EEDaSP_SQ_EUlSP_E_NS1_11comp_targetILNS1_3genE0ELNS1_11target_archE4294967295ELNS1_3gpuE0ELNS1_3repE0EEENS1_30default_config_static_selectorELNS0_4arch9wavefront6targetE1EEEvT1_
; %bb.0:
	.section	.rodata,"a",@progbits
	.p2align	6, 0x0
	.amdhsa_kernel _ZN7rocprim17ROCPRIM_400000_NS6detail17trampoline_kernelINS0_14default_configENS1_20scan_config_selectorIiEEZZNS1_9scan_implILNS1_25lookback_scan_determinismE0ELb1ELb1ES3_N6thrust23THRUST_200600_302600_NS6detail15normal_iteratorINS9_10device_ptrIiEEEESE_iNS9_4plusIiEEiEEDaPvRmT3_T4_T5_mT6_P12ihipStream_tbENKUlT_T0_E_clISt17integral_constantIbLb0EESU_EEDaSP_SQ_EUlSP_E_NS1_11comp_targetILNS1_3genE0ELNS1_11target_archE4294967295ELNS1_3gpuE0ELNS1_3repE0EEENS1_30default_config_static_selectorELNS0_4arch9wavefront6targetE1EEEvT1_
		.amdhsa_group_segment_fixed_size 0
		.amdhsa_private_segment_fixed_size 0
		.amdhsa_kernarg_size 96
		.amdhsa_user_sgpr_count 6
		.amdhsa_user_sgpr_private_segment_buffer 1
		.amdhsa_user_sgpr_dispatch_ptr 0
		.amdhsa_user_sgpr_queue_ptr 0
		.amdhsa_user_sgpr_kernarg_segment_ptr 1
		.amdhsa_user_sgpr_dispatch_id 0
		.amdhsa_user_sgpr_flat_scratch_init 0
		.amdhsa_user_sgpr_kernarg_preload_length 0
		.amdhsa_user_sgpr_kernarg_preload_offset 0
		.amdhsa_user_sgpr_private_segment_size 0
		.amdhsa_uses_dynamic_stack 0
		.amdhsa_system_sgpr_private_segment_wavefront_offset 0
		.amdhsa_system_sgpr_workgroup_id_x 1
		.amdhsa_system_sgpr_workgroup_id_y 0
		.amdhsa_system_sgpr_workgroup_id_z 0
		.amdhsa_system_sgpr_workgroup_info 0
		.amdhsa_system_vgpr_workitem_id 0
		.amdhsa_next_free_vgpr 1
		.amdhsa_next_free_sgpr 0
		.amdhsa_accum_offset 4
		.amdhsa_reserve_vcc 0
		.amdhsa_reserve_flat_scratch 0
		.amdhsa_float_round_mode_32 0
		.amdhsa_float_round_mode_16_64 0
		.amdhsa_float_denorm_mode_32 3
		.amdhsa_float_denorm_mode_16_64 3
		.amdhsa_dx10_clamp 1
		.amdhsa_ieee_mode 1
		.amdhsa_fp16_overflow 0
		.amdhsa_tg_split 0
		.amdhsa_exception_fp_ieee_invalid_op 0
		.amdhsa_exception_fp_denorm_src 0
		.amdhsa_exception_fp_ieee_div_zero 0
		.amdhsa_exception_fp_ieee_overflow 0
		.amdhsa_exception_fp_ieee_underflow 0
		.amdhsa_exception_fp_ieee_inexact 0
		.amdhsa_exception_int_div_zero 0
	.end_amdhsa_kernel
	.section	.text._ZN7rocprim17ROCPRIM_400000_NS6detail17trampoline_kernelINS0_14default_configENS1_20scan_config_selectorIiEEZZNS1_9scan_implILNS1_25lookback_scan_determinismE0ELb1ELb1ES3_N6thrust23THRUST_200600_302600_NS6detail15normal_iteratorINS9_10device_ptrIiEEEESE_iNS9_4plusIiEEiEEDaPvRmT3_T4_T5_mT6_P12ihipStream_tbENKUlT_T0_E_clISt17integral_constantIbLb0EESU_EEDaSP_SQ_EUlSP_E_NS1_11comp_targetILNS1_3genE0ELNS1_11target_archE4294967295ELNS1_3gpuE0ELNS1_3repE0EEENS1_30default_config_static_selectorELNS0_4arch9wavefront6targetE1EEEvT1_,"axG",@progbits,_ZN7rocprim17ROCPRIM_400000_NS6detail17trampoline_kernelINS0_14default_configENS1_20scan_config_selectorIiEEZZNS1_9scan_implILNS1_25lookback_scan_determinismE0ELb1ELb1ES3_N6thrust23THRUST_200600_302600_NS6detail15normal_iteratorINS9_10device_ptrIiEEEESE_iNS9_4plusIiEEiEEDaPvRmT3_T4_T5_mT6_P12ihipStream_tbENKUlT_T0_E_clISt17integral_constantIbLb0EESU_EEDaSP_SQ_EUlSP_E_NS1_11comp_targetILNS1_3genE0ELNS1_11target_archE4294967295ELNS1_3gpuE0ELNS1_3repE0EEENS1_30default_config_static_selectorELNS0_4arch9wavefront6targetE1EEEvT1_,comdat
.Lfunc_end660:
	.size	_ZN7rocprim17ROCPRIM_400000_NS6detail17trampoline_kernelINS0_14default_configENS1_20scan_config_selectorIiEEZZNS1_9scan_implILNS1_25lookback_scan_determinismE0ELb1ELb1ES3_N6thrust23THRUST_200600_302600_NS6detail15normal_iteratorINS9_10device_ptrIiEEEESE_iNS9_4plusIiEEiEEDaPvRmT3_T4_T5_mT6_P12ihipStream_tbENKUlT_T0_E_clISt17integral_constantIbLb0EESU_EEDaSP_SQ_EUlSP_E_NS1_11comp_targetILNS1_3genE0ELNS1_11target_archE4294967295ELNS1_3gpuE0ELNS1_3repE0EEENS1_30default_config_static_selectorELNS0_4arch9wavefront6targetE1EEEvT1_, .Lfunc_end660-_ZN7rocprim17ROCPRIM_400000_NS6detail17trampoline_kernelINS0_14default_configENS1_20scan_config_selectorIiEEZZNS1_9scan_implILNS1_25lookback_scan_determinismE0ELb1ELb1ES3_N6thrust23THRUST_200600_302600_NS6detail15normal_iteratorINS9_10device_ptrIiEEEESE_iNS9_4plusIiEEiEEDaPvRmT3_T4_T5_mT6_P12ihipStream_tbENKUlT_T0_E_clISt17integral_constantIbLb0EESU_EEDaSP_SQ_EUlSP_E_NS1_11comp_targetILNS1_3genE0ELNS1_11target_archE4294967295ELNS1_3gpuE0ELNS1_3repE0EEENS1_30default_config_static_selectorELNS0_4arch9wavefront6targetE1EEEvT1_
                                        ; -- End function
	.section	.AMDGPU.csdata,"",@progbits
; Kernel info:
; codeLenInByte = 0
; NumSgprs: 4
; NumVgprs: 0
; NumAgprs: 0
; TotalNumVgprs: 0
; ScratchSize: 0
; MemoryBound: 0
; FloatMode: 240
; IeeeMode: 1
; LDSByteSize: 0 bytes/workgroup (compile time only)
; SGPRBlocks: 0
; VGPRBlocks: 0
; NumSGPRsForWavesPerEU: 4
; NumVGPRsForWavesPerEU: 1
; AccumOffset: 4
; Occupancy: 8
; WaveLimiterHint : 0
; COMPUTE_PGM_RSRC2:SCRATCH_EN: 0
; COMPUTE_PGM_RSRC2:USER_SGPR: 6
; COMPUTE_PGM_RSRC2:TRAP_HANDLER: 0
; COMPUTE_PGM_RSRC2:TGID_X_EN: 1
; COMPUTE_PGM_RSRC2:TGID_Y_EN: 0
; COMPUTE_PGM_RSRC2:TGID_Z_EN: 0
; COMPUTE_PGM_RSRC2:TIDIG_COMP_CNT: 0
; COMPUTE_PGM_RSRC3_GFX90A:ACCUM_OFFSET: 0
; COMPUTE_PGM_RSRC3_GFX90A:TG_SPLIT: 0
	.section	.text._ZN7rocprim17ROCPRIM_400000_NS6detail17trampoline_kernelINS0_14default_configENS1_20scan_config_selectorIiEEZZNS1_9scan_implILNS1_25lookback_scan_determinismE0ELb1ELb1ES3_N6thrust23THRUST_200600_302600_NS6detail15normal_iteratorINS9_10device_ptrIiEEEESE_iNS9_4plusIiEEiEEDaPvRmT3_T4_T5_mT6_P12ihipStream_tbENKUlT_T0_E_clISt17integral_constantIbLb0EESU_EEDaSP_SQ_EUlSP_E_NS1_11comp_targetILNS1_3genE5ELNS1_11target_archE942ELNS1_3gpuE9ELNS1_3repE0EEENS1_30default_config_static_selectorELNS0_4arch9wavefront6targetE1EEEvT1_,"axG",@progbits,_ZN7rocprim17ROCPRIM_400000_NS6detail17trampoline_kernelINS0_14default_configENS1_20scan_config_selectorIiEEZZNS1_9scan_implILNS1_25lookback_scan_determinismE0ELb1ELb1ES3_N6thrust23THRUST_200600_302600_NS6detail15normal_iteratorINS9_10device_ptrIiEEEESE_iNS9_4plusIiEEiEEDaPvRmT3_T4_T5_mT6_P12ihipStream_tbENKUlT_T0_E_clISt17integral_constantIbLb0EESU_EEDaSP_SQ_EUlSP_E_NS1_11comp_targetILNS1_3genE5ELNS1_11target_archE942ELNS1_3gpuE9ELNS1_3repE0EEENS1_30default_config_static_selectorELNS0_4arch9wavefront6targetE1EEEvT1_,comdat
	.protected	_ZN7rocprim17ROCPRIM_400000_NS6detail17trampoline_kernelINS0_14default_configENS1_20scan_config_selectorIiEEZZNS1_9scan_implILNS1_25lookback_scan_determinismE0ELb1ELb1ES3_N6thrust23THRUST_200600_302600_NS6detail15normal_iteratorINS9_10device_ptrIiEEEESE_iNS9_4plusIiEEiEEDaPvRmT3_T4_T5_mT6_P12ihipStream_tbENKUlT_T0_E_clISt17integral_constantIbLb0EESU_EEDaSP_SQ_EUlSP_E_NS1_11comp_targetILNS1_3genE5ELNS1_11target_archE942ELNS1_3gpuE9ELNS1_3repE0EEENS1_30default_config_static_selectorELNS0_4arch9wavefront6targetE1EEEvT1_ ; -- Begin function _ZN7rocprim17ROCPRIM_400000_NS6detail17trampoline_kernelINS0_14default_configENS1_20scan_config_selectorIiEEZZNS1_9scan_implILNS1_25lookback_scan_determinismE0ELb1ELb1ES3_N6thrust23THRUST_200600_302600_NS6detail15normal_iteratorINS9_10device_ptrIiEEEESE_iNS9_4plusIiEEiEEDaPvRmT3_T4_T5_mT6_P12ihipStream_tbENKUlT_T0_E_clISt17integral_constantIbLb0EESU_EEDaSP_SQ_EUlSP_E_NS1_11comp_targetILNS1_3genE5ELNS1_11target_archE942ELNS1_3gpuE9ELNS1_3repE0EEENS1_30default_config_static_selectorELNS0_4arch9wavefront6targetE1EEEvT1_
	.globl	_ZN7rocprim17ROCPRIM_400000_NS6detail17trampoline_kernelINS0_14default_configENS1_20scan_config_selectorIiEEZZNS1_9scan_implILNS1_25lookback_scan_determinismE0ELb1ELb1ES3_N6thrust23THRUST_200600_302600_NS6detail15normal_iteratorINS9_10device_ptrIiEEEESE_iNS9_4plusIiEEiEEDaPvRmT3_T4_T5_mT6_P12ihipStream_tbENKUlT_T0_E_clISt17integral_constantIbLb0EESU_EEDaSP_SQ_EUlSP_E_NS1_11comp_targetILNS1_3genE5ELNS1_11target_archE942ELNS1_3gpuE9ELNS1_3repE0EEENS1_30default_config_static_selectorELNS0_4arch9wavefront6targetE1EEEvT1_
	.p2align	8
	.type	_ZN7rocprim17ROCPRIM_400000_NS6detail17trampoline_kernelINS0_14default_configENS1_20scan_config_selectorIiEEZZNS1_9scan_implILNS1_25lookback_scan_determinismE0ELb1ELb1ES3_N6thrust23THRUST_200600_302600_NS6detail15normal_iteratorINS9_10device_ptrIiEEEESE_iNS9_4plusIiEEiEEDaPvRmT3_T4_T5_mT6_P12ihipStream_tbENKUlT_T0_E_clISt17integral_constantIbLb0EESU_EEDaSP_SQ_EUlSP_E_NS1_11comp_targetILNS1_3genE5ELNS1_11target_archE942ELNS1_3gpuE9ELNS1_3repE0EEENS1_30default_config_static_selectorELNS0_4arch9wavefront6targetE1EEEvT1_,@function
_ZN7rocprim17ROCPRIM_400000_NS6detail17trampoline_kernelINS0_14default_configENS1_20scan_config_selectorIiEEZZNS1_9scan_implILNS1_25lookback_scan_determinismE0ELb1ELb1ES3_N6thrust23THRUST_200600_302600_NS6detail15normal_iteratorINS9_10device_ptrIiEEEESE_iNS9_4plusIiEEiEEDaPvRmT3_T4_T5_mT6_P12ihipStream_tbENKUlT_T0_E_clISt17integral_constantIbLb0EESU_EEDaSP_SQ_EUlSP_E_NS1_11comp_targetILNS1_3genE5ELNS1_11target_archE942ELNS1_3gpuE9ELNS1_3repE0EEENS1_30default_config_static_selectorELNS0_4arch9wavefront6targetE1EEEvT1_: ; @_ZN7rocprim17ROCPRIM_400000_NS6detail17trampoline_kernelINS0_14default_configENS1_20scan_config_selectorIiEEZZNS1_9scan_implILNS1_25lookback_scan_determinismE0ELb1ELb1ES3_N6thrust23THRUST_200600_302600_NS6detail15normal_iteratorINS9_10device_ptrIiEEEESE_iNS9_4plusIiEEiEEDaPvRmT3_T4_T5_mT6_P12ihipStream_tbENKUlT_T0_E_clISt17integral_constantIbLb0EESU_EEDaSP_SQ_EUlSP_E_NS1_11comp_targetILNS1_3genE5ELNS1_11target_archE942ELNS1_3gpuE9ELNS1_3repE0EEENS1_30default_config_static_selectorELNS0_4arch9wavefront6targetE1EEEvT1_
; %bb.0:
	.section	.rodata,"a",@progbits
	.p2align	6, 0x0
	.amdhsa_kernel _ZN7rocprim17ROCPRIM_400000_NS6detail17trampoline_kernelINS0_14default_configENS1_20scan_config_selectorIiEEZZNS1_9scan_implILNS1_25lookback_scan_determinismE0ELb1ELb1ES3_N6thrust23THRUST_200600_302600_NS6detail15normal_iteratorINS9_10device_ptrIiEEEESE_iNS9_4plusIiEEiEEDaPvRmT3_T4_T5_mT6_P12ihipStream_tbENKUlT_T0_E_clISt17integral_constantIbLb0EESU_EEDaSP_SQ_EUlSP_E_NS1_11comp_targetILNS1_3genE5ELNS1_11target_archE942ELNS1_3gpuE9ELNS1_3repE0EEENS1_30default_config_static_selectorELNS0_4arch9wavefront6targetE1EEEvT1_
		.amdhsa_group_segment_fixed_size 0
		.amdhsa_private_segment_fixed_size 0
		.amdhsa_kernarg_size 96
		.amdhsa_user_sgpr_count 6
		.amdhsa_user_sgpr_private_segment_buffer 1
		.amdhsa_user_sgpr_dispatch_ptr 0
		.amdhsa_user_sgpr_queue_ptr 0
		.amdhsa_user_sgpr_kernarg_segment_ptr 1
		.amdhsa_user_sgpr_dispatch_id 0
		.amdhsa_user_sgpr_flat_scratch_init 0
		.amdhsa_user_sgpr_kernarg_preload_length 0
		.amdhsa_user_sgpr_kernarg_preload_offset 0
		.amdhsa_user_sgpr_private_segment_size 0
		.amdhsa_uses_dynamic_stack 0
		.amdhsa_system_sgpr_private_segment_wavefront_offset 0
		.amdhsa_system_sgpr_workgroup_id_x 1
		.amdhsa_system_sgpr_workgroup_id_y 0
		.amdhsa_system_sgpr_workgroup_id_z 0
		.amdhsa_system_sgpr_workgroup_info 0
		.amdhsa_system_vgpr_workitem_id 0
		.amdhsa_next_free_vgpr 1
		.amdhsa_next_free_sgpr 0
		.amdhsa_accum_offset 4
		.amdhsa_reserve_vcc 0
		.amdhsa_reserve_flat_scratch 0
		.amdhsa_float_round_mode_32 0
		.amdhsa_float_round_mode_16_64 0
		.amdhsa_float_denorm_mode_32 3
		.amdhsa_float_denorm_mode_16_64 3
		.amdhsa_dx10_clamp 1
		.amdhsa_ieee_mode 1
		.amdhsa_fp16_overflow 0
		.amdhsa_tg_split 0
		.amdhsa_exception_fp_ieee_invalid_op 0
		.amdhsa_exception_fp_denorm_src 0
		.amdhsa_exception_fp_ieee_div_zero 0
		.amdhsa_exception_fp_ieee_overflow 0
		.amdhsa_exception_fp_ieee_underflow 0
		.amdhsa_exception_fp_ieee_inexact 0
		.amdhsa_exception_int_div_zero 0
	.end_amdhsa_kernel
	.section	.text._ZN7rocprim17ROCPRIM_400000_NS6detail17trampoline_kernelINS0_14default_configENS1_20scan_config_selectorIiEEZZNS1_9scan_implILNS1_25lookback_scan_determinismE0ELb1ELb1ES3_N6thrust23THRUST_200600_302600_NS6detail15normal_iteratorINS9_10device_ptrIiEEEESE_iNS9_4plusIiEEiEEDaPvRmT3_T4_T5_mT6_P12ihipStream_tbENKUlT_T0_E_clISt17integral_constantIbLb0EESU_EEDaSP_SQ_EUlSP_E_NS1_11comp_targetILNS1_3genE5ELNS1_11target_archE942ELNS1_3gpuE9ELNS1_3repE0EEENS1_30default_config_static_selectorELNS0_4arch9wavefront6targetE1EEEvT1_,"axG",@progbits,_ZN7rocprim17ROCPRIM_400000_NS6detail17trampoline_kernelINS0_14default_configENS1_20scan_config_selectorIiEEZZNS1_9scan_implILNS1_25lookback_scan_determinismE0ELb1ELb1ES3_N6thrust23THRUST_200600_302600_NS6detail15normal_iteratorINS9_10device_ptrIiEEEESE_iNS9_4plusIiEEiEEDaPvRmT3_T4_T5_mT6_P12ihipStream_tbENKUlT_T0_E_clISt17integral_constantIbLb0EESU_EEDaSP_SQ_EUlSP_E_NS1_11comp_targetILNS1_3genE5ELNS1_11target_archE942ELNS1_3gpuE9ELNS1_3repE0EEENS1_30default_config_static_selectorELNS0_4arch9wavefront6targetE1EEEvT1_,comdat
.Lfunc_end661:
	.size	_ZN7rocprim17ROCPRIM_400000_NS6detail17trampoline_kernelINS0_14default_configENS1_20scan_config_selectorIiEEZZNS1_9scan_implILNS1_25lookback_scan_determinismE0ELb1ELb1ES3_N6thrust23THRUST_200600_302600_NS6detail15normal_iteratorINS9_10device_ptrIiEEEESE_iNS9_4plusIiEEiEEDaPvRmT3_T4_T5_mT6_P12ihipStream_tbENKUlT_T0_E_clISt17integral_constantIbLb0EESU_EEDaSP_SQ_EUlSP_E_NS1_11comp_targetILNS1_3genE5ELNS1_11target_archE942ELNS1_3gpuE9ELNS1_3repE0EEENS1_30default_config_static_selectorELNS0_4arch9wavefront6targetE1EEEvT1_, .Lfunc_end661-_ZN7rocprim17ROCPRIM_400000_NS6detail17trampoline_kernelINS0_14default_configENS1_20scan_config_selectorIiEEZZNS1_9scan_implILNS1_25lookback_scan_determinismE0ELb1ELb1ES3_N6thrust23THRUST_200600_302600_NS6detail15normal_iteratorINS9_10device_ptrIiEEEESE_iNS9_4plusIiEEiEEDaPvRmT3_T4_T5_mT6_P12ihipStream_tbENKUlT_T0_E_clISt17integral_constantIbLb0EESU_EEDaSP_SQ_EUlSP_E_NS1_11comp_targetILNS1_3genE5ELNS1_11target_archE942ELNS1_3gpuE9ELNS1_3repE0EEENS1_30default_config_static_selectorELNS0_4arch9wavefront6targetE1EEEvT1_
                                        ; -- End function
	.section	.AMDGPU.csdata,"",@progbits
; Kernel info:
; codeLenInByte = 0
; NumSgprs: 4
; NumVgprs: 0
; NumAgprs: 0
; TotalNumVgprs: 0
; ScratchSize: 0
; MemoryBound: 0
; FloatMode: 240
; IeeeMode: 1
; LDSByteSize: 0 bytes/workgroup (compile time only)
; SGPRBlocks: 0
; VGPRBlocks: 0
; NumSGPRsForWavesPerEU: 4
; NumVGPRsForWavesPerEU: 1
; AccumOffset: 4
; Occupancy: 8
; WaveLimiterHint : 0
; COMPUTE_PGM_RSRC2:SCRATCH_EN: 0
; COMPUTE_PGM_RSRC2:USER_SGPR: 6
; COMPUTE_PGM_RSRC2:TRAP_HANDLER: 0
; COMPUTE_PGM_RSRC2:TGID_X_EN: 1
; COMPUTE_PGM_RSRC2:TGID_Y_EN: 0
; COMPUTE_PGM_RSRC2:TGID_Z_EN: 0
; COMPUTE_PGM_RSRC2:TIDIG_COMP_CNT: 0
; COMPUTE_PGM_RSRC3_GFX90A:ACCUM_OFFSET: 0
; COMPUTE_PGM_RSRC3_GFX90A:TG_SPLIT: 0
	.section	.text._ZN7rocprim17ROCPRIM_400000_NS6detail17trampoline_kernelINS0_14default_configENS1_20scan_config_selectorIiEEZZNS1_9scan_implILNS1_25lookback_scan_determinismE0ELb1ELb1ES3_N6thrust23THRUST_200600_302600_NS6detail15normal_iteratorINS9_10device_ptrIiEEEESE_iNS9_4plusIiEEiEEDaPvRmT3_T4_T5_mT6_P12ihipStream_tbENKUlT_T0_E_clISt17integral_constantIbLb0EESU_EEDaSP_SQ_EUlSP_E_NS1_11comp_targetILNS1_3genE4ELNS1_11target_archE910ELNS1_3gpuE8ELNS1_3repE0EEENS1_30default_config_static_selectorELNS0_4arch9wavefront6targetE1EEEvT1_,"axG",@progbits,_ZN7rocprim17ROCPRIM_400000_NS6detail17trampoline_kernelINS0_14default_configENS1_20scan_config_selectorIiEEZZNS1_9scan_implILNS1_25lookback_scan_determinismE0ELb1ELb1ES3_N6thrust23THRUST_200600_302600_NS6detail15normal_iteratorINS9_10device_ptrIiEEEESE_iNS9_4plusIiEEiEEDaPvRmT3_T4_T5_mT6_P12ihipStream_tbENKUlT_T0_E_clISt17integral_constantIbLb0EESU_EEDaSP_SQ_EUlSP_E_NS1_11comp_targetILNS1_3genE4ELNS1_11target_archE910ELNS1_3gpuE8ELNS1_3repE0EEENS1_30default_config_static_selectorELNS0_4arch9wavefront6targetE1EEEvT1_,comdat
	.protected	_ZN7rocprim17ROCPRIM_400000_NS6detail17trampoline_kernelINS0_14default_configENS1_20scan_config_selectorIiEEZZNS1_9scan_implILNS1_25lookback_scan_determinismE0ELb1ELb1ES3_N6thrust23THRUST_200600_302600_NS6detail15normal_iteratorINS9_10device_ptrIiEEEESE_iNS9_4plusIiEEiEEDaPvRmT3_T4_T5_mT6_P12ihipStream_tbENKUlT_T0_E_clISt17integral_constantIbLb0EESU_EEDaSP_SQ_EUlSP_E_NS1_11comp_targetILNS1_3genE4ELNS1_11target_archE910ELNS1_3gpuE8ELNS1_3repE0EEENS1_30default_config_static_selectorELNS0_4arch9wavefront6targetE1EEEvT1_ ; -- Begin function _ZN7rocprim17ROCPRIM_400000_NS6detail17trampoline_kernelINS0_14default_configENS1_20scan_config_selectorIiEEZZNS1_9scan_implILNS1_25lookback_scan_determinismE0ELb1ELb1ES3_N6thrust23THRUST_200600_302600_NS6detail15normal_iteratorINS9_10device_ptrIiEEEESE_iNS9_4plusIiEEiEEDaPvRmT3_T4_T5_mT6_P12ihipStream_tbENKUlT_T0_E_clISt17integral_constantIbLb0EESU_EEDaSP_SQ_EUlSP_E_NS1_11comp_targetILNS1_3genE4ELNS1_11target_archE910ELNS1_3gpuE8ELNS1_3repE0EEENS1_30default_config_static_selectorELNS0_4arch9wavefront6targetE1EEEvT1_
	.globl	_ZN7rocprim17ROCPRIM_400000_NS6detail17trampoline_kernelINS0_14default_configENS1_20scan_config_selectorIiEEZZNS1_9scan_implILNS1_25lookback_scan_determinismE0ELb1ELb1ES3_N6thrust23THRUST_200600_302600_NS6detail15normal_iteratorINS9_10device_ptrIiEEEESE_iNS9_4plusIiEEiEEDaPvRmT3_T4_T5_mT6_P12ihipStream_tbENKUlT_T0_E_clISt17integral_constantIbLb0EESU_EEDaSP_SQ_EUlSP_E_NS1_11comp_targetILNS1_3genE4ELNS1_11target_archE910ELNS1_3gpuE8ELNS1_3repE0EEENS1_30default_config_static_selectorELNS0_4arch9wavefront6targetE1EEEvT1_
	.p2align	8
	.type	_ZN7rocprim17ROCPRIM_400000_NS6detail17trampoline_kernelINS0_14default_configENS1_20scan_config_selectorIiEEZZNS1_9scan_implILNS1_25lookback_scan_determinismE0ELb1ELb1ES3_N6thrust23THRUST_200600_302600_NS6detail15normal_iteratorINS9_10device_ptrIiEEEESE_iNS9_4plusIiEEiEEDaPvRmT3_T4_T5_mT6_P12ihipStream_tbENKUlT_T0_E_clISt17integral_constantIbLb0EESU_EEDaSP_SQ_EUlSP_E_NS1_11comp_targetILNS1_3genE4ELNS1_11target_archE910ELNS1_3gpuE8ELNS1_3repE0EEENS1_30default_config_static_selectorELNS0_4arch9wavefront6targetE1EEEvT1_,@function
_ZN7rocprim17ROCPRIM_400000_NS6detail17trampoline_kernelINS0_14default_configENS1_20scan_config_selectorIiEEZZNS1_9scan_implILNS1_25lookback_scan_determinismE0ELb1ELb1ES3_N6thrust23THRUST_200600_302600_NS6detail15normal_iteratorINS9_10device_ptrIiEEEESE_iNS9_4plusIiEEiEEDaPvRmT3_T4_T5_mT6_P12ihipStream_tbENKUlT_T0_E_clISt17integral_constantIbLb0EESU_EEDaSP_SQ_EUlSP_E_NS1_11comp_targetILNS1_3genE4ELNS1_11target_archE910ELNS1_3gpuE8ELNS1_3repE0EEENS1_30default_config_static_selectorELNS0_4arch9wavefront6targetE1EEEvT1_: ; @_ZN7rocprim17ROCPRIM_400000_NS6detail17trampoline_kernelINS0_14default_configENS1_20scan_config_selectorIiEEZZNS1_9scan_implILNS1_25lookback_scan_determinismE0ELb1ELb1ES3_N6thrust23THRUST_200600_302600_NS6detail15normal_iteratorINS9_10device_ptrIiEEEESE_iNS9_4plusIiEEiEEDaPvRmT3_T4_T5_mT6_P12ihipStream_tbENKUlT_T0_E_clISt17integral_constantIbLb0EESU_EEDaSP_SQ_EUlSP_E_NS1_11comp_targetILNS1_3genE4ELNS1_11target_archE910ELNS1_3gpuE8ELNS1_3repE0EEENS1_30default_config_static_selectorELNS0_4arch9wavefront6targetE1EEEvT1_
; %bb.0:
	s_load_dwordx8 s[8:15], s[4:5], 0x0
	s_load_dword s1, s[4:5], 0x30
	s_mul_i32 s0, s6, 0x500
	v_lshlrev_b32_e32 v22, 2, v0
	s_waitcnt lgkmcnt(0)
	s_lshl_b64 s[10:11], s[10:11], 2
	s_add_u32 s27, s8, s10
	s_addc_u32 s28, s9, s11
	s_add_i32 s2, s1, -1
	s_mul_i32 s3, s2, 0x500
	s_sub_u32 s7, s14, s3
	s_subb_u32 s26, s15, 0
	s_mov_b32 s1, 0
	s_cmp_lg_u32 s6, s2
	s_cselect_b64 s[8:9], -1, 0
	s_lshl_b64 s[14:15], s[0:1], 2
	s_add_u32 s2, s27, s14
	s_addc_u32 s3, s28, s15
	s_mov_b64 s[0:1], -1
	s_and_b64 vcc, exec, s[8:9]
	s_cbranch_vccz .LBB662_2
; %bb.1:
	v_mov_b32_e32 v1, s3
	v_add_co_u32_e32 v2, vcc, s2, v22
	v_addc_co_u32_e32 v3, vcc, 0, v1, vcc
	flat_load_dword v1, v[2:3]
	flat_load_dword v4, v[2:3] offset:512
	flat_load_dword v5, v[2:3] offset:1024
	;; [unrolled: 1-line block ×7, first 2 shown]
	v_add_co_u32_e32 v2, vcc, 0x1000, v2
	v_addc_co_u32_e32 v3, vcc, 0, v3, vcc
	flat_load_dword v11, v[2:3]
	flat_load_dword v12, v[2:3] offset:512
	s_mov_b64 s[0:1], 0
	s_waitcnt vmcnt(0) lgkmcnt(0)
	ds_write2st64_b32 v22, v1, v4 offset1:2
	ds_write2st64_b32 v22, v5, v6 offset0:4 offset1:6
	ds_write2st64_b32 v22, v7, v8 offset0:8 offset1:10
	ds_write2st64_b32 v22, v9, v10 offset0:12 offset1:14
	ds_write2st64_b32 v22, v11, v12 offset0:16 offset1:18
	s_waitcnt lgkmcnt(0)
	s_barrier
.LBB662_2:
	s_load_dwordx2 s[24:25], s[4:5], 0x28
	s_andn2_b64 vcc, exec, s[0:1]
	v_cmp_gt_u32_e64 s[0:1], s7, v0
	s_cbranch_vccnz .LBB662_24
; %bb.3:
	v_pk_mov_b32 v[2:3], s[2:3], s[2:3] op_sel:[0,1]
	flat_load_dword v1, v[2:3]
	s_waitcnt vmcnt(0) lgkmcnt(0)
	v_mov_b32_e32 v2, v1
	v_mov_b32_e32 v3, v1
	;; [unrolled: 1-line block ×9, first 2 shown]
	s_and_saveexec_b64 s[16:17], s[0:1]
	s_cbranch_execz .LBB662_5
; %bb.4:
	v_mov_b32_e32 v11, s3
	v_add_co_u32_e32 v10, vcc, s2, v22
	v_addc_co_u32_e32 v11, vcc, 0, v11, vcc
	flat_load_dword v10, v[10:11]
.LBB662_5:
	s_or_b64 exec, exec, s[16:17]
	v_or_b32_e32 v11, 0x80, v0
	v_cmp_gt_u32_e32 vcc, s7, v11
	s_and_saveexec_b64 s[0:1], vcc
	s_cbranch_execz .LBB662_7
; %bb.6:
	v_mov_b32_e32 v1, s3
	v_add_co_u32_e32 v12, vcc, s2, v22
	v_addc_co_u32_e32 v13, vcc, 0, v1, vcc
	flat_load_dword v1, v[12:13] offset:512
.LBB662_7:
	s_or_b64 exec, exec, s[0:1]
	v_or_b32_e32 v11, 0x100, v0
	v_cmp_gt_u32_e32 vcc, s7, v11
	s_and_saveexec_b64 s[0:1], vcc
	s_cbranch_execz .LBB662_9
; %bb.8:
	v_mov_b32_e32 v2, s3
	v_add_co_u32_e32 v12, vcc, s2, v22
	v_addc_co_u32_e32 v13, vcc, 0, v2, vcc
	flat_load_dword v2, v[12:13] offset:1024
.LBB662_9:
	;; [unrolled: 11-line block ×7, first 2 shown]
	s_or_b64 exec, exec, s[0:1]
	v_or_b32_e32 v11, 0x400, v0
	v_cmp_gt_u32_e32 vcc, s7, v11
	s_and_saveexec_b64 s[0:1], vcc
	s_cbranch_execz .LBB662_21
; %bb.20:
	v_lshlrev_b32_e32 v8, 2, v11
	v_mov_b32_e32 v11, s3
	v_add_co_u32_e32 v12, vcc, s2, v8
	v_addc_co_u32_e32 v13, vcc, 0, v11, vcc
	flat_load_dword v8, v[12:13]
.LBB662_21:
	s_or_b64 exec, exec, s[0:1]
	v_or_b32_e32 v11, 0x480, v0
	v_cmp_gt_u32_e32 vcc, s7, v11
	s_and_saveexec_b64 s[0:1], vcc
	s_cbranch_execz .LBB662_23
; %bb.22:
	v_lshlrev_b32_e32 v9, 2, v11
	v_mov_b32_e32 v11, s3
	v_add_co_u32_e32 v12, vcc, s2, v9
	v_addc_co_u32_e32 v13, vcc, 0, v11, vcc
	flat_load_dword v9, v[12:13]
.LBB662_23:
	s_or_b64 exec, exec, s[0:1]
	s_waitcnt vmcnt(0) lgkmcnt(0)
	ds_write2st64_b32 v22, v10, v1 offset1:2
	ds_write2st64_b32 v22, v2, v3 offset0:4 offset1:6
	ds_write2st64_b32 v22, v4, v5 offset0:8 offset1:10
	;; [unrolled: 1-line block ×4, first 2 shown]
	s_waitcnt lgkmcnt(0)
	s_barrier
.LBB662_24:
	v_mul_u32_u24_e32 v23, 10, v0
	v_lshlrev_b32_e32 v1, 2, v23
	s_waitcnt lgkmcnt(0)
	ds_read2_b64 v[16:19], v1 offset1:1
	ds_read2_b64 v[12:15], v1 offset0:2 offset1:3
	ds_read_b64 v[20:21], v1 offset:32
	s_cmp_lg_u32 s6, 0
	v_lshrrev_b32_e32 v24, 5, v0
	s_waitcnt lgkmcnt(2)
	v_add_u32_e32 v2, v17, v16
	v_add3_u32 v25, v2, v18, v19
	v_cmp_gt_u32_e32 vcc, 64, v0
	s_waitcnt lgkmcnt(0)
	s_barrier
	s_cbranch_scc0 .LBB662_49
; %bb.25:
	v_add3_u32 v2, v25, v12, v13
	v_add3_u32 v2, v2, v14, v15
	;; [unrolled: 1-line block ×3, first 2 shown]
	v_add_lshl_u32 v3, v24, v0, 2
	ds_write_b32 v3, v2
	s_waitcnt lgkmcnt(0)
	s_barrier
	s_and_saveexec_b64 s[2:3], vcc
	s_cbranch_execz .LBB662_27
; %bb.26:
	v_lshlrev_b32_e32 v3, 1, v0
	v_lshrrev_b32_e32 v4, 4, v0
	v_add_lshl_u32 v3, v4, v3, 2
	ds_read2_b32 v[4:5], v3 offset1:1
	v_mbcnt_lo_u32_b32 v6, -1, 0
	v_mbcnt_hi_u32_b32 v6, -1, v6
	v_and_b32_e32 v7, 15, v6
	v_cmp_ne_u32_e64 s[0:1], 0, v7
	s_waitcnt lgkmcnt(0)
	v_add_u32_e32 v5, v5, v4
	; wave barrier
	s_nop 1
	v_mov_b32_dpp v8, v5 row_shr:1 row_mask:0xf bank_mask:0xf
	v_cndmask_b32_e64 v8, 0, v8, s[0:1]
	v_add_u32_e32 v5, v8, v5
	v_cmp_lt_u32_e64 s[0:1], 1, v7
	s_nop 0
	v_mov_b32_dpp v8, v5 row_shr:2 row_mask:0xf bank_mask:0xf
	v_cndmask_b32_e64 v8, 0, v8, s[0:1]
	v_add_u32_e32 v5, v5, v8
	v_cmp_lt_u32_e64 s[0:1], 3, v7
	;; [unrolled: 5-line block ×3, first 2 shown]
	s_nop 0
	v_mov_b32_dpp v8, v5 row_shr:8 row_mask:0xf bank_mask:0xf
	v_cndmask_b32_e64 v7, 0, v8, s[0:1]
	v_add_u32_e32 v5, v5, v7
	v_bfe_i32 v8, v6, 4, 1
	v_cmp_lt_u32_e64 s[0:1], 31, v6
	v_mov_b32_dpp v7, v5 row_bcast:15 row_mask:0xf bank_mask:0xf
	v_and_b32_e32 v7, v8, v7
	v_add_u32_e32 v5, v5, v7
	v_and_b32_e32 v8, 64, v6
	s_nop 0
	v_mov_b32_dpp v7, v5 row_bcast:31 row_mask:0xf bank_mask:0xf
	v_cndmask_b32_e64 v7, 0, v7, s[0:1]
	v_add_u32_e32 v5, v5, v7
	v_add_u32_e32 v7, -1, v6
	v_cmp_lt_i32_e64 s[0:1], v7, v8
	v_cndmask_b32_e64 v6, v7, v6, s[0:1]
	v_lshlrev_b32_e32 v6, 2, v6
	ds_bpermute_b32 v5, v6, v5
	v_cmp_eq_u32_e64 s[0:1], 0, v0
	s_waitcnt lgkmcnt(0)
	v_add_u32_e32 v4, v5, v4
	v_cndmask_b32_e64 v2, v4, v2, s[0:1]
	ds_write_b32 v3, v2
	; wave barrier
	ds_read_b32 v4, v3 offset:4
	s_waitcnt lgkmcnt(0)
	v_add_u32_e32 v2, v4, v2
	ds_write_b32 v3, v2 offset:4
.LBB662_27:
	s_or_b64 exec, exec, s[2:3]
	v_cmp_eq_u32_e64 s[0:1], 0, v0
	v_cmp_ne_u32_e64 s[2:3], 0, v0
	v_mov_b32_e32 v26, 0
	s_waitcnt lgkmcnt(0)
	s_barrier
	s_and_saveexec_b64 s[16:17], s[2:3]
	s_cbranch_execz .LBB662_29
; %bb.28:
	v_add_u32_e32 v2, -1, v0
	v_lshrrev_b32_e32 v3, 5, v2
	v_add_lshl_u32 v2, v3, v2, 2
	ds_read_b32 v26, v2
.LBB662_29:
	s_or_b64 exec, exec, s[16:17]
	s_and_saveexec_b64 s[16:17], vcc
	s_cbranch_execz .LBB662_48
; %bb.30:
	v_mov_b32_e32 v9, 0
	ds_read_b32 v2, v9 offset:520
	v_mbcnt_lo_u32_b32 v3, -1, 0
	v_mbcnt_hi_u32_b32 v5, -1, v3
	s_mov_b32 s21, 0
	v_cmp_eq_u32_e64 s[2:3], 0, v5
	s_and_saveexec_b64 s[18:19], s[2:3]
	s_cbranch_execz .LBB662_32
; %bb.31:
	s_add_i32 s20, s6, 64
	s_lshl_b64 s[20:21], s[20:21], 3
	s_add_u32 s20, s24, s20
	v_mov_b32_e32 v3, 1
	s_addc_u32 s21, s25, s21
	s_waitcnt lgkmcnt(0)
	global_store_dwordx2 v9, v[2:3], s[20:21]
.LBB662_32:
	s_or_b64 exec, exec, s[18:19]
	v_xad_u32 v4, v5, -1, s6
	v_add_u32_e32 v8, 64, v4
	v_lshlrev_b64 v[6:7], 3, v[8:9]
	v_mov_b32_e32 v3, s25
	v_add_co_u32_e32 v10, vcc, s24, v6
	v_addc_co_u32_e32 v11, vcc, v3, v7, vcc
	global_load_dwordx2 v[6:7], v[10:11], off glc
	s_waitcnt vmcnt(0)
	v_cmp_eq_u16_sdwa s[20:21], v7, v9 src0_sel:BYTE_0 src1_sel:DWORD
	s_and_saveexec_b64 s[18:19], s[20:21]
	s_cbranch_execz .LBB662_36
; %bb.33:
	s_mov_b64 s[20:21], 0
	v_mov_b32_e32 v3, 0
.LBB662_34:                             ; =>This Inner Loop Header: Depth=1
	global_load_dwordx2 v[6:7], v[10:11], off glc
	s_waitcnt vmcnt(0)
	v_cmp_ne_u16_sdwa s[22:23], v7, v3 src0_sel:BYTE_0 src1_sel:DWORD
	s_or_b64 s[20:21], s[22:23], s[20:21]
	s_andn2_b64 exec, exec, s[20:21]
	s_cbranch_execnz .LBB662_34
; %bb.35:
	s_or_b64 exec, exec, s[20:21]
.LBB662_36:
	s_or_b64 exec, exec, s[18:19]
	v_and_b32_e32 v27, 63, v5
	v_mov_b32_e32 v3, 2
	v_cmp_ne_u32_e32 vcc, 63, v27
	v_cmp_eq_u16_sdwa s[18:19], v7, v3 src0_sel:BYTE_0 src1_sel:DWORD
	v_lshlrev_b64 v[8:9], v5, -1
	v_addc_co_u32_e32 v28, vcc, 0, v5, vcc
	v_and_b32_e32 v10, s19, v9
	v_lshlrev_b32_e32 v28, 2, v28
	v_or_b32_e32 v10, 0x80000000, v10
	ds_bpermute_b32 v29, v28, v6
	v_and_b32_e32 v11, s18, v8
	v_ffbl_b32_e32 v10, v10
	v_add_u32_e32 v10, 32, v10
	v_ffbl_b32_e32 v11, v11
	v_min_u32_e32 v10, v11, v10
	v_cmp_lt_u32_e32 vcc, v27, v10
	s_waitcnt lgkmcnt(0)
	v_cndmask_b32_e32 v11, 0, v29, vcc
	v_cmp_gt_u32_e32 vcc, 62, v27
	v_add_u32_e32 v6, v11, v6
	v_cndmask_b32_e64 v11, 0, 1, vcc
	v_lshlrev_b32_e32 v11, 1, v11
	v_add_lshl_u32 v29, v11, v5, 2
	ds_bpermute_b32 v11, v29, v6
	v_add_u32_e32 v30, 2, v27
	v_cmp_le_u32_e32 vcc, v30, v10
	v_add_u32_e32 v32, 4, v27
	v_add_u32_e32 v34, 8, v27
	s_waitcnt lgkmcnt(0)
	v_cndmask_b32_e32 v11, 0, v11, vcc
	v_cmp_gt_u32_e32 vcc, 60, v27
	v_add_u32_e32 v6, v6, v11
	v_cndmask_b32_e64 v11, 0, 1, vcc
	v_lshlrev_b32_e32 v11, 2, v11
	v_add_lshl_u32 v31, v11, v5, 2
	ds_bpermute_b32 v11, v31, v6
	v_cmp_le_u32_e32 vcc, v32, v10
	v_add_u32_e32 v37, 16, v27
	v_add_u32_e32 v39, 32, v27
	s_waitcnt lgkmcnt(0)
	v_cndmask_b32_e32 v11, 0, v11, vcc
	v_cmp_gt_u32_e32 vcc, 56, v27
	v_add_u32_e32 v6, v6, v11
	v_cndmask_b32_e64 v11, 0, 1, vcc
	v_lshlrev_b32_e32 v11, 3, v11
	v_add_lshl_u32 v33, v11, v5, 2
	ds_bpermute_b32 v11, v33, v6
	v_cmp_le_u32_e32 vcc, v34, v10
	s_waitcnt lgkmcnt(0)
	v_cndmask_b32_e32 v11, 0, v11, vcc
	v_cmp_gt_u32_e32 vcc, 48, v27
	v_add_u32_e32 v6, v6, v11
	v_cndmask_b32_e64 v11, 0, 1, vcc
	v_lshlrev_b32_e32 v11, 4, v11
	v_add_lshl_u32 v36, v11, v5, 2
	ds_bpermute_b32 v11, v36, v6
	v_cmp_le_u32_e32 vcc, v37, v10
	;; [unrolled: 9-line block ×3, first 2 shown]
	s_waitcnt lgkmcnt(0)
	v_cndmask_b32_e32 v5, 0, v5, vcc
	v_add_u32_e32 v6, v6, v5
	v_mov_b32_e32 v5, 0
	s_branch .LBB662_38
.LBB662_37:                             ;   in Loop: Header=BB662_38 Depth=1
	s_or_b64 exec, exec, s[18:19]
	v_cmp_eq_u16_sdwa s[18:19], v7, v3 src0_sel:BYTE_0 src1_sel:DWORD
	v_and_b32_e32 v10, s19, v9
	v_or_b32_e32 v10, 0x80000000, v10
	ds_bpermute_b32 v40, v28, v6
	v_and_b32_e32 v11, s18, v8
	v_ffbl_b32_e32 v10, v10
	v_add_u32_e32 v10, 32, v10
	v_ffbl_b32_e32 v11, v11
	v_min_u32_e32 v10, v11, v10
	v_cmp_lt_u32_e32 vcc, v27, v10
	s_waitcnt lgkmcnt(0)
	v_cndmask_b32_e32 v11, 0, v40, vcc
	v_add_u32_e32 v6, v11, v6
	ds_bpermute_b32 v11, v29, v6
	v_cmp_le_u32_e32 vcc, v30, v10
	v_subrev_u32_e32 v4, 64, v4
	s_waitcnt lgkmcnt(0)
	v_cndmask_b32_e32 v11, 0, v11, vcc
	v_add_u32_e32 v6, v6, v11
	ds_bpermute_b32 v11, v31, v6
	v_cmp_le_u32_e32 vcc, v32, v10
	s_waitcnt lgkmcnt(0)
	v_cndmask_b32_e32 v11, 0, v11, vcc
	v_add_u32_e32 v6, v6, v11
	ds_bpermute_b32 v11, v33, v6
	v_cmp_le_u32_e32 vcc, v34, v10
	;; [unrolled: 5-line block ×4, first 2 shown]
	s_waitcnt lgkmcnt(0)
	v_cndmask_b32_e32 v10, 0, v11, vcc
	v_add3_u32 v6, v10, v35, v6
.LBB662_38:                             ; =>This Loop Header: Depth=1
                                        ;     Child Loop BB662_41 Depth 2
	v_cmp_ne_u16_sdwa s[18:19], v7, v3 src0_sel:BYTE_0 src1_sel:DWORD
	v_cndmask_b32_e64 v7, 0, 1, s[18:19]
	;;#ASMSTART
	;;#ASMEND
	v_cmp_ne_u32_e32 vcc, 0, v7
	s_cmp_lg_u64 vcc, exec
	v_mov_b32_e32 v35, v6
	s_cbranch_scc1 .LBB662_43
; %bb.39:                               ;   in Loop: Header=BB662_38 Depth=1
	v_lshlrev_b64 v[6:7], 3, v[4:5]
	v_mov_b32_e32 v11, s25
	v_add_co_u32_e32 v10, vcc, s24, v6
	v_addc_co_u32_e32 v11, vcc, v11, v7, vcc
	global_load_dwordx2 v[6:7], v[10:11], off glc
	s_waitcnt vmcnt(0)
	v_cmp_eq_u16_sdwa s[20:21], v7, v5 src0_sel:BYTE_0 src1_sel:DWORD
	s_and_saveexec_b64 s[18:19], s[20:21]
	s_cbranch_execz .LBB662_37
; %bb.40:                               ;   in Loop: Header=BB662_38 Depth=1
	s_mov_b64 s[20:21], 0
.LBB662_41:                             ;   Parent Loop BB662_38 Depth=1
                                        ; =>  This Inner Loop Header: Depth=2
	global_load_dwordx2 v[6:7], v[10:11], off glc
	s_waitcnt vmcnt(0)
	v_cmp_ne_u16_sdwa s[22:23], v7, v5 src0_sel:BYTE_0 src1_sel:DWORD
	s_or_b64 s[20:21], s[22:23], s[20:21]
	s_andn2_b64 exec, exec, s[20:21]
	s_cbranch_execnz .LBB662_41
; %bb.42:                               ;   in Loop: Header=BB662_38 Depth=1
	s_or_b64 exec, exec, s[20:21]
	s_branch .LBB662_37
.LBB662_43:                             ;   in Loop: Header=BB662_38 Depth=1
                                        ; implicit-def: $vgpr6
                                        ; implicit-def: $vgpr7
	s_cbranch_execz .LBB662_38
; %bb.44:
	s_and_saveexec_b64 s[18:19], s[2:3]
	s_cbranch_execz .LBB662_46
; %bb.45:
	s_add_i32 s2, s6, 64
	s_mov_b32 s3, 0
	s_lshl_b64 s[2:3], s[2:3], 3
	s_add_u32 s2, s24, s2
	v_add_u32_e32 v2, v35, v2
	v_mov_b32_e32 v3, 2
	s_addc_u32 s3, s25, s3
	v_mov_b32_e32 v4, 0
	global_store_dwordx2 v4, v[2:3], s[2:3]
.LBB662_46:
	s_or_b64 exec, exec, s[18:19]
	s_and_b64 exec, exec, s[0:1]
	s_cbranch_execz .LBB662_48
; %bb.47:
	v_mov_b32_e32 v2, 0
	ds_write_b32 v2, v35
.LBB662_48:
	s_or_b64 exec, exec, s[16:17]
	v_mov_b32_e32 v2, 0
	s_waitcnt lgkmcnt(0)
	s_barrier
	ds_read_b32 v2, v2
	s_waitcnt lgkmcnt(0)
	v_add_u32_e32 v2, v2, v26
	v_add_u32_e32 v3, v2, v16
	v_add_u32_e32 v4, v3, v17
	v_add_u32_e32 v5, v4, v18
	v_add_u32_e32 v6, v5, v19
	v_add_u32_e32 v7, v6, v12
	v_add_u32_e32 v8, v7, v13
	v_add_u32_e32 v9, v8, v14
	v_add_u32_e32 v10, v9, v15
	v_add_u32_e32 v11, v10, v20
	s_load_dwordx8 s[16:23], s[4:5], 0x38
	s_branch .LBB662_59
.LBB662_49:
                                        ; implicit-def: $vgpr2_vgpr3_vgpr4_vgpr5_vgpr6_vgpr7_vgpr8_vgpr9_vgpr10_vgpr11
	s_load_dwordx8 s[16:23], s[4:5], 0x38
	s_cbranch_execz .LBB662_59
; %bb.50:
	s_load_dword s0, s[4:5], 0x20
	s_waitcnt lgkmcnt(0)
	s_cmp_eq_u64 s[20:21], 0
	v_mov_b32_e32 v26, s0
	s_cbranch_scc1 .LBB662_52
; %bb.51:
	v_mov_b32_e32 v3, s28
	v_add_co_u32_e64 v2, vcc, -4, s27
	v_addc_co_u32_e32 v3, vcc, -1, v3, vcc
	v_mov_b32_e32 v4, 0
	flat_load_dword v5, v[2:3]
	global_load_dword v6, v4, s[16:17]
	s_waitcnt vmcnt(0) lgkmcnt(0)
	v_add_u32_e32 v26, v6, v5
.LBB662_52:
	v_add3_u32 v2, v25, v12, v13
	v_add3_u32 v2, v2, v14, v15
	;; [unrolled: 1-line block ×3, first 2 shown]
	v_add_lshl_u32 v3, v24, v0, 2
	v_cmp_gt_u32_e32 vcc, 64, v0
	ds_write_b32 v3, v2
	s_waitcnt lgkmcnt(0)
	s_barrier
	s_and_saveexec_b64 s[0:1], vcc
	s_cbranch_execz .LBB662_54
; %bb.53:
	v_lshlrev_b32_e32 v3, 1, v0
	v_lshrrev_b32_e32 v4, 4, v0
	v_add_lshl_u32 v3, v4, v3, 2
	ds_read2_b32 v[4:5], v3 offset1:1
	v_mbcnt_lo_u32_b32 v6, -1, 0
	v_mbcnt_hi_u32_b32 v6, -1, v6
	v_and_b32_e32 v7, 15, v6
	v_cmp_ne_u32_e32 vcc, 0, v7
	s_waitcnt lgkmcnt(0)
	v_add_u32_e32 v5, v5, v4
	; wave barrier
	s_nop 1
	v_mov_b32_dpp v8, v5 row_shr:1 row_mask:0xf bank_mask:0xf
	v_cndmask_b32_e32 v8, 0, v8, vcc
	v_add_u32_e32 v5, v8, v5
	v_cmp_lt_u32_e32 vcc, 1, v7
	s_nop 0
	v_mov_b32_dpp v8, v5 row_shr:2 row_mask:0xf bank_mask:0xf
	v_cndmask_b32_e32 v8, 0, v8, vcc
	v_add_u32_e32 v5, v5, v8
	v_cmp_lt_u32_e32 vcc, 3, v7
	s_nop 0
	v_mov_b32_dpp v8, v5 row_shr:4 row_mask:0xf bank_mask:0xf
	v_cndmask_b32_e32 v8, 0, v8, vcc
	v_add_u32_e32 v5, v5, v8
	v_cmp_lt_u32_e32 vcc, 7, v7
	s_nop 0
	v_mov_b32_dpp v8, v5 row_shr:8 row_mask:0xf bank_mask:0xf
	v_cndmask_b32_e32 v7, 0, v8, vcc
	v_add_u32_e32 v5, v5, v7
	v_bfe_i32 v8, v6, 4, 1
	v_cmp_lt_u32_e32 vcc, 31, v6
	v_mov_b32_dpp v7, v5 row_bcast:15 row_mask:0xf bank_mask:0xf
	v_and_b32_e32 v7, v8, v7
	v_add_u32_e32 v5, v5, v7
	v_and_b32_e32 v8, 64, v6
	s_nop 0
	v_mov_b32_dpp v7, v5 row_bcast:31 row_mask:0xf bank_mask:0xf
	v_cndmask_b32_e32 v7, 0, v7, vcc
	v_add_u32_e32 v5, v5, v7
	v_add_u32_e32 v7, -1, v6
	v_cmp_lt_i32_e32 vcc, v7, v8
	v_cndmask_b32_e32 v6, v7, v6, vcc
	v_lshlrev_b32_e32 v6, 2, v6
	ds_bpermute_b32 v5, v6, v5
	v_cmp_eq_u32_e32 vcc, 0, v0
	s_waitcnt lgkmcnt(0)
	v_add_u32_e32 v4, v5, v4
	v_cndmask_b32_e32 v2, v4, v2, vcc
	ds_write_b32 v3, v2
	; wave barrier
	ds_read_b32 v4, v3 offset:4
	s_waitcnt lgkmcnt(0)
	v_add_u32_e32 v2, v4, v2
	ds_write_b32 v3, v2 offset:4
.LBB662_54:
	s_or_b64 exec, exec, s[0:1]
	v_cmp_eq_u32_e32 vcc, 0, v0
	v_cmp_ne_u32_e64 s[0:1], 0, v0
	v_mov_b32_e32 v2, v26
	s_waitcnt lgkmcnt(0)
	s_barrier
	s_and_saveexec_b64 s[2:3], s[0:1]
	s_cbranch_execz .LBB662_56
; %bb.55:
	v_add_u32_e32 v2, -1, v0
	v_lshrrev_b32_e32 v3, 5, v2
	v_add_lshl_u32 v2, v3, v2, 2
	ds_read_b32 v2, v2
	s_waitcnt lgkmcnt(0)
	v_add_u32_e32 v2, v2, v26
.LBB662_56:
	s_or_b64 exec, exec, s[2:3]
	v_add_u32_e32 v3, v2, v16
	v_add_u32_e32 v4, v3, v17
	v_add_u32_e32 v5, v4, v18
	v_add_u32_e32 v6, v5, v19
	v_add_u32_e32 v7, v6, v12
	v_add_u32_e32 v8, v7, v13
	v_add_u32_e32 v9, v8, v14
	v_add_u32_e32 v10, v9, v15
	v_add_u32_e32 v11, v10, v20
	s_and_saveexec_b64 s[0:1], vcc
	s_cbranch_execz .LBB662_58
; %bb.57:
	v_mov_b32_e32 v14, 0
	ds_read_b32 v12, v14 offset:520
	v_mov_b32_e32 v13, 2
	s_waitcnt lgkmcnt(0)
	v_add_u32_e32 v12, v12, v26
	global_store_dwordx2 v14, v[12:13], s[24:25] offset:512
.LBB662_58:
	s_or_b64 exec, exec, s[0:1]
.LBB662_59:
	s_add_u32 s0, s12, s10
	s_addc_u32 s1, s13, s11
	s_add_u32 s2, s0, s14
	s_addc_u32 s3, s1, s15
	s_mov_b64 s[0:1], -1
	s_and_b64 vcc, exec, s[8:9]
	s_waitcnt lgkmcnt(0)
	s_barrier
	s_cbranch_vccz .LBB662_61
; %bb.60:
	ds_write2_b64 v1, v[2:3], v[4:5] offset1:1
	ds_write2_b64 v1, v[6:7], v[8:9] offset0:2 offset1:3
	ds_write_b64 v1, v[10:11] offset:32
	s_waitcnt lgkmcnt(0)
	s_barrier
	ds_read2st64_b32 v[12:13], v22 offset1:2
	ds_read2st64_b32 v[14:15], v22 offset0:4 offset1:6
	ds_read2st64_b32 v[16:17], v22 offset0:8 offset1:10
	ds_read2st64_b32 v[18:19], v22 offset0:12 offset1:14
	ds_read2st64_b32 v[20:21], v22 offset0:16 offset1:18
	v_mov_b32_e32 v25, s3
	v_add_co_u32_e32 v24, vcc, s2, v22
	v_addc_co_u32_e32 v25, vcc, 0, v25, vcc
	s_waitcnt lgkmcnt(4)
	flat_store_dword v[24:25], v12
	flat_store_dword v[24:25], v13 offset:512
	s_waitcnt lgkmcnt(0)
	flat_store_dword v[24:25], v14 offset:1024
	flat_store_dword v[24:25], v15 offset:1536
	;; [unrolled: 1-line block ×6, first 2 shown]
	v_add_co_u32_e32 v12, vcc, 0x1000, v24
	v_addc_co_u32_e32 v13, vcc, 0, v25, vcc
	flat_store_dword v[12:13], v20
	flat_store_dword v[12:13], v21 offset:512
	s_mov_b64 s[0:1], 0
.LBB662_61:
	s_andn2_b64 vcc, exec, s[0:1]
	s_cbranch_vccnz .LBB662_117
; %bb.62:
	ds_write2_b64 v1, v[2:3], v[4:5] offset1:1
	ds_write2_b64 v1, v[6:7], v[8:9] offset0:2 offset1:3
	ds_write_b64 v1, v[10:11] offset:32
	s_waitcnt lgkmcnt(0)
	s_barrier
	ds_read2st64_b32 v[2:3], v22 offset1:2
	ds_read2st64_b32 v[6:7], v22 offset0:4 offset1:6
	ds_read2st64_b32 v[4:5], v22 offset0:8 offset1:10
	;; [unrolled: 1-line block ×4, first 2 shown]
	v_mov_b32_e32 v13, s3
	v_add_co_u32_e32 v12, vcc, s2, v22
	v_addc_co_u32_e32 v13, vcc, 0, v13, vcc
	v_mov_b32_e32 v1, 0
	v_cmp_gt_u32_e32 vcc, s7, v0
	s_and_saveexec_b64 s[0:1], vcc
	s_cbranch_execz .LBB662_64
; %bb.63:
	s_waitcnt lgkmcnt(0)
	flat_store_dword v[12:13], v2
.LBB662_64:
	s_or_b64 exec, exec, s[0:1]
	v_or_b32_e32 v14, 0x80, v0
	v_cmp_gt_u32_e32 vcc, s7, v14
	s_and_saveexec_b64 s[0:1], vcc
	s_cbranch_execz .LBB662_66
; %bb.65:
	s_waitcnt lgkmcnt(0)
	flat_store_dword v[12:13], v3 offset:512
.LBB662_66:
	s_or_b64 exec, exec, s[0:1]
	v_or_b32_e32 v14, 0x100, v0
	v_cmp_gt_u32_e32 vcc, s7, v14
	s_and_saveexec_b64 s[0:1], vcc
	s_cbranch_execz .LBB662_68
; %bb.67:
	s_waitcnt lgkmcnt(0)
	flat_store_dword v[12:13], v6 offset:1024
.LBB662_68:
	s_or_b64 exec, exec, s[0:1]
	v_or_b32_e32 v14, 0x180, v0
	v_cmp_gt_u32_e32 vcc, s7, v14
	s_and_saveexec_b64 s[0:1], vcc
	s_cbranch_execz .LBB662_70
; %bb.69:
	s_waitcnt lgkmcnt(0)
	flat_store_dword v[12:13], v7 offset:1536
.LBB662_70:
	s_or_b64 exec, exec, s[0:1]
	v_or_b32_e32 v14, 0x200, v0
	v_cmp_gt_u32_e32 vcc, s7, v14
	s_and_saveexec_b64 s[0:1], vcc
	s_cbranch_execz .LBB662_72
; %bb.71:
	s_waitcnt lgkmcnt(0)
	flat_store_dword v[12:13], v4 offset:2048
.LBB662_72:
	s_or_b64 exec, exec, s[0:1]
	v_or_b32_e32 v14, 0x280, v0
	v_cmp_gt_u32_e32 vcc, s7, v14
	s_and_saveexec_b64 s[0:1], vcc
	s_cbranch_execz .LBB662_74
; %bb.73:
	s_waitcnt lgkmcnt(0)
	flat_store_dword v[12:13], v5 offset:2560
.LBB662_74:
	s_or_b64 exec, exec, s[0:1]
	v_or_b32_e32 v14, 0x300, v0
	v_cmp_gt_u32_e32 vcc, s7, v14
	s_and_saveexec_b64 s[0:1], vcc
	s_cbranch_execz .LBB662_76
; %bb.75:
	s_waitcnt lgkmcnt(0)
	flat_store_dword v[12:13], v8 offset:3072
.LBB662_76:
	s_or_b64 exec, exec, s[0:1]
	v_or_b32_e32 v14, 0x380, v0
	v_cmp_gt_u32_e32 vcc, s7, v14
	s_and_saveexec_b64 s[0:1], vcc
	s_cbranch_execz .LBB662_78
; %bb.77:
	s_waitcnt lgkmcnt(0)
	flat_store_dword v[12:13], v9 offset:3584
.LBB662_78:
	s_or_b64 exec, exec, s[0:1]
	v_or_b32_e32 v14, 0x400, v0
	v_cmp_gt_u32_e32 vcc, s7, v14
	s_and_saveexec_b64 s[0:1], vcc
	s_cbranch_execz .LBB662_80
; %bb.79:
	v_add_co_u32_e32 v14, vcc, 0x1000, v12
	v_addc_co_u32_e32 v15, vcc, 0, v13, vcc
	s_waitcnt lgkmcnt(0)
	flat_store_dword v[14:15], v10
.LBB662_80:
	s_or_b64 exec, exec, s[0:1]
	v_or_b32_e32 v14, 0x480, v0
	v_cmp_gt_u32_e32 vcc, s7, v14
	s_and_saveexec_b64 s[0:1], vcc
	s_cbranch_execz .LBB662_82
; %bb.81:
	v_add_co_u32_e32 v12, vcc, 0x1000, v12
	v_addc_co_u32_e32 v13, vcc, 0, v13, vcc
	s_waitcnt lgkmcnt(0)
	flat_store_dword v[12:13], v11 offset:512
.LBB662_82:
	s_or_b64 exec, exec, s[0:1]
	v_cmp_lt_u64_e64 s[0:1], s[22:23], 2
	s_and_b64 vcc, exec, s[0:1]
	s_cbranch_vccnz .LBB662_117
; %bb.83:
	s_add_u32 s0, s7, -1
	s_addc_u32 s1, s26, -1
	s_add_u32 s2, 0, 0x99986000
	s_addc_u32 s3, 0, 0x59
	s_add_i32 s3, s3, 0x19999940
	s_mul_hi_u32 s7, s2, -10
	s_sub_i32 s7, s7, s2
	s_mul_i32 s8, s3, -10
	s_mul_i32 s4, s2, -10
	s_add_i32 s7, s7, s8
	s_mul_hi_u32 s5, s3, s4
	s_mul_i32 s6, s3, s4
	s_mul_i32 s9, s2, s7
	s_mul_hi_u32 s4, s2, s4
	s_mul_hi_u32 s8, s2, s7
	s_add_u32 s4, s4, s9
	s_addc_u32 s8, 0, s8
	s_add_u32 s4, s4, s6
	s_mul_hi_u32 s9, s3, s7
	s_addc_u32 s4, s8, s5
	s_addc_u32 s5, s9, 0
	s_mul_i32 s6, s3, s7
	s_add_u32 s4, s4, s6
	v_mov_b32_e32 v12, s4
	s_addc_u32 s5, 0, s5
	v_add_co_u32_e32 v12, vcc, s2, v12
	s_cmp_lg_u64 vcc, 0
	s_addc_u32 s2, s3, s5
	v_readfirstlane_b32 s5, v12
	s_mul_i32 s4, s0, s2
	s_mul_hi_u32 s6, s0, s5
	s_mul_hi_u32 s3, s0, s2
	s_add_u32 s4, s6, s4
	s_addc_u32 s3, 0, s3
	s_mul_hi_u32 s7, s1, s5
	s_mul_i32 s5, s1, s5
	s_add_u32 s4, s4, s5
	s_mul_hi_u32 s6, s1, s2
	s_addc_u32 s3, s3, s7
	s_addc_u32 s4, s6, 0
	s_mul_i32 s2, s1, s2
	s_add_u32 s2, s3, s2
	s_addc_u32 s3, 0, s4
	s_add_u32 s4, s2, 1
	s_addc_u32 s5, s3, 0
	s_add_u32 s6, s2, 2
	s_mul_i32 s8, s3, 10
	s_mul_hi_u32 s9, s2, 10
	s_addc_u32 s7, s3, 0
	s_add_i32 s9, s9, s8
	s_mul_i32 s8, s2, 10
	v_mov_b32_e32 v12, s8
	v_sub_co_u32_e32 v12, vcc, s0, v12
	s_cmp_lg_u64 vcc, 0
	s_subb_u32 s8, s1, s9
	v_subrev_co_u32_e32 v13, vcc, 10, v12
	s_cmp_lg_u64 vcc, 0
	s_subb_u32 s9, s8, 0
	v_readfirstlane_b32 s10, v13
	s_cmp_gt_u32 s10, 9
	s_cselect_b32 s10, -1, 0
	s_cmp_eq_u32 s9, 0
	s_cselect_b32 s9, s10, -1
	s_cmp_lg_u32 s9, 0
	s_cselect_b32 s4, s6, s4
	v_readfirstlane_b32 s6, v12
	s_cselect_b32 s5, s7, s5
	s_cmp_gt_u32 s6, 9
	s_cselect_b32 s6, -1, 0
	s_cmp_eq_u32 s8, 0
	s_cselect_b32 s6, s6, -1
	s_cmp_lg_u32 s6, 0
	s_cselect_b32 s3, s5, s3
	s_cselect_b32 s2, s4, s2
	v_cmp_eq_u64_e32 vcc, s[2:3], v[0:1]
	s_and_saveexec_b64 s[2:3], vcc
	s_cbranch_execz .LBB662_117
; %bb.84:
	v_mul_hi_u32_u24_e32 v1, 10, v0
	v_mov_b32_e32 v12, s1
	v_sub_co_u32_e32 v0, vcc, s0, v23
	v_subb_co_u32_e32 v1, vcc, v12, v1, vcc
	v_cmp_lt_i64_e32 vcc, 4, v[0:1]
	s_and_saveexec_b64 s[0:1], vcc
	s_xor_b64 s[0:1], exec, s[0:1]
	s_cbranch_execz .LBB662_102
; %bb.85:
	v_cmp_lt_i64_e32 vcc, 6, v[0:1]
	s_and_saveexec_b64 s[2:3], vcc
	s_xor_b64 s[2:3], exec, s[2:3]
	s_cbranch_execz .LBB662_95
; %bb.86:
	v_cmp_lt_i64_e32 vcc, 7, v[0:1]
	s_and_saveexec_b64 s[4:5], vcc
	s_xor_b64 s[4:5], exec, s[4:5]
	s_cbranch_execz .LBB662_92
; %bb.87:
	v_cmp_lt_i64_e32 vcc, 8, v[0:1]
	s_and_saveexec_b64 s[6:7], vcc
	s_xor_b64 s[6:7], exec, s[6:7]
	s_cbranch_execz .LBB662_89
; %bb.88:
	v_mov_b32_e32 v0, 0
	s_waitcnt lgkmcnt(0)
	global_store_dword v0, v11, s[18:19]
                                        ; implicit-def: $vgpr10_vgpr11
.LBB662_89:
	s_andn2_saveexec_b64 s[6:7], s[6:7]
	s_cbranch_execz .LBB662_91
; %bb.90:
	v_mov_b32_e32 v0, 0
	s_waitcnt lgkmcnt(0)
	global_store_dword v0, v10, s[18:19]
.LBB662_91:
	s_or_b64 exec, exec, s[6:7]
                                        ; implicit-def: $vgpr8_vgpr9
.LBB662_92:
	s_andn2_saveexec_b64 s[4:5], s[4:5]
	s_cbranch_execz .LBB662_94
; %bb.93:
	v_mov_b32_e32 v0, 0
	s_waitcnt lgkmcnt(0)
	global_store_dword v0, v9, s[18:19]
.LBB662_94:
	s_or_b64 exec, exec, s[4:5]
                                        ; implicit-def: $vgpr4_vgpr5
                                        ; implicit-def: $vgpr0_vgpr1
                                        ; implicit-def: $vgpr8_vgpr9
.LBB662_95:
	s_andn2_saveexec_b64 s[2:3], s[2:3]
	s_cbranch_execz .LBB662_101
; %bb.96:
	v_cmp_lt_i64_e32 vcc, 5, v[0:1]
	s_and_saveexec_b64 s[4:5], vcc
	s_xor_b64 s[4:5], exec, s[4:5]
	s_cbranch_execz .LBB662_98
; %bb.97:
	v_mov_b32_e32 v0, 0
	s_waitcnt lgkmcnt(0)
	global_store_dword v0, v8, s[18:19]
                                        ; implicit-def: $vgpr4_vgpr5
.LBB662_98:
	s_andn2_saveexec_b64 s[4:5], s[4:5]
	s_cbranch_execz .LBB662_100
; %bb.99:
	v_mov_b32_e32 v0, 0
	s_waitcnt lgkmcnt(0)
	global_store_dword v0, v5, s[18:19]
.LBB662_100:
	s_or_b64 exec, exec, s[4:5]
.LBB662_101:
	s_or_b64 exec, exec, s[2:3]
                                        ; implicit-def: $vgpr0_vgpr1
                                        ; implicit-def: $vgpr6_vgpr7
                                        ; implicit-def: $vgpr2_vgpr3
                                        ; implicit-def: $vgpr4_vgpr5
.LBB662_102:
	s_andn2_saveexec_b64 s[0:1], s[0:1]
	s_cbranch_execz .LBB662_117
; %bb.103:
	v_cmp_lt_i64_e32 vcc, 2, v[0:1]
	s_and_saveexec_b64 s[0:1], vcc
	s_xor_b64 s[0:1], exec, s[0:1]
	s_cbranch_execz .LBB662_109
; %bb.104:
	v_cmp_lt_i64_e32 vcc, 3, v[0:1]
	s_and_saveexec_b64 s[2:3], vcc
	s_xor_b64 s[2:3], exec, s[2:3]
	s_cbranch_execz .LBB662_106
; %bb.105:
	v_mov_b32_e32 v0, 0
	s_waitcnt lgkmcnt(0)
	global_store_dword v0, v4, s[18:19]
                                        ; implicit-def: $vgpr6_vgpr7
.LBB662_106:
	s_andn2_saveexec_b64 s[2:3], s[2:3]
	s_cbranch_execz .LBB662_108
; %bb.107:
	v_mov_b32_e32 v0, 0
	s_waitcnt lgkmcnt(0)
	global_store_dword v0, v7, s[18:19]
.LBB662_108:
	s_or_b64 exec, exec, s[2:3]
                                        ; implicit-def: $vgpr0_vgpr1
                                        ; implicit-def: $vgpr6_vgpr7
                                        ; implicit-def: $vgpr2_vgpr3
.LBB662_109:
	s_andn2_saveexec_b64 s[0:1], s[0:1]
	s_cbranch_execz .LBB662_117
; %bb.110:
	v_cmp_lt_i64_e32 vcc, 1, v[0:1]
	s_and_saveexec_b64 s[0:1], vcc
	s_xor_b64 s[0:1], exec, s[0:1]
	s_cbranch_execz .LBB662_112
; %bb.111:
	v_mov_b32_e32 v0, 0
	s_waitcnt lgkmcnt(0)
	global_store_dword v0, v6, s[18:19]
                                        ; implicit-def: $vgpr2_vgpr3
                                        ; implicit-def: $vgpr0_vgpr1
.LBB662_112:
	s_andn2_saveexec_b64 s[0:1], s[0:1]
	s_cbranch_execz .LBB662_117
; %bb.113:
	v_cmp_ne_u64_e32 vcc, 1, v[0:1]
	s_and_saveexec_b64 s[0:1], vcc
	s_xor_b64 s[0:1], exec, s[0:1]
	s_cbranch_execz .LBB662_115
; %bb.114:
	v_mov_b32_e32 v0, 0
	s_waitcnt lgkmcnt(0)
	global_store_dword v0, v2, s[18:19]
                                        ; implicit-def: $vgpr2_vgpr3
.LBB662_115:
	s_andn2_saveexec_b64 s[0:1], s[0:1]
	s_cbranch_execz .LBB662_117
; %bb.116:
	v_mov_b32_e32 v0, 0
	s_waitcnt lgkmcnt(0)
	global_store_dword v0, v3, s[18:19]
.LBB662_117:
	s_endpgm
	.section	.rodata,"a",@progbits
	.p2align	6, 0x0
	.amdhsa_kernel _ZN7rocprim17ROCPRIM_400000_NS6detail17trampoline_kernelINS0_14default_configENS1_20scan_config_selectorIiEEZZNS1_9scan_implILNS1_25lookback_scan_determinismE0ELb1ELb1ES3_N6thrust23THRUST_200600_302600_NS6detail15normal_iteratorINS9_10device_ptrIiEEEESE_iNS9_4plusIiEEiEEDaPvRmT3_T4_T5_mT6_P12ihipStream_tbENKUlT_T0_E_clISt17integral_constantIbLb0EESU_EEDaSP_SQ_EUlSP_E_NS1_11comp_targetILNS1_3genE4ELNS1_11target_archE910ELNS1_3gpuE8ELNS1_3repE0EEENS1_30default_config_static_selectorELNS0_4arch9wavefront6targetE1EEEvT1_
		.amdhsa_group_segment_fixed_size 5120
		.amdhsa_private_segment_fixed_size 0
		.amdhsa_kernarg_size 96
		.amdhsa_user_sgpr_count 6
		.amdhsa_user_sgpr_private_segment_buffer 1
		.amdhsa_user_sgpr_dispatch_ptr 0
		.amdhsa_user_sgpr_queue_ptr 0
		.amdhsa_user_sgpr_kernarg_segment_ptr 1
		.amdhsa_user_sgpr_dispatch_id 0
		.amdhsa_user_sgpr_flat_scratch_init 0
		.amdhsa_user_sgpr_kernarg_preload_length 0
		.amdhsa_user_sgpr_kernarg_preload_offset 0
		.amdhsa_user_sgpr_private_segment_size 0
		.amdhsa_uses_dynamic_stack 0
		.amdhsa_system_sgpr_private_segment_wavefront_offset 0
		.amdhsa_system_sgpr_workgroup_id_x 1
		.amdhsa_system_sgpr_workgroup_id_y 0
		.amdhsa_system_sgpr_workgroup_id_z 0
		.amdhsa_system_sgpr_workgroup_info 0
		.amdhsa_system_vgpr_workitem_id 0
		.amdhsa_next_free_vgpr 41
		.amdhsa_next_free_sgpr 29
		.amdhsa_accum_offset 44
		.amdhsa_reserve_vcc 1
		.amdhsa_reserve_flat_scratch 0
		.amdhsa_float_round_mode_32 0
		.amdhsa_float_round_mode_16_64 0
		.amdhsa_float_denorm_mode_32 3
		.amdhsa_float_denorm_mode_16_64 3
		.amdhsa_dx10_clamp 1
		.amdhsa_ieee_mode 1
		.amdhsa_fp16_overflow 0
		.amdhsa_tg_split 0
		.amdhsa_exception_fp_ieee_invalid_op 0
		.amdhsa_exception_fp_denorm_src 0
		.amdhsa_exception_fp_ieee_div_zero 0
		.amdhsa_exception_fp_ieee_overflow 0
		.amdhsa_exception_fp_ieee_underflow 0
		.amdhsa_exception_fp_ieee_inexact 0
		.amdhsa_exception_int_div_zero 0
	.end_amdhsa_kernel
	.section	.text._ZN7rocprim17ROCPRIM_400000_NS6detail17trampoline_kernelINS0_14default_configENS1_20scan_config_selectorIiEEZZNS1_9scan_implILNS1_25lookback_scan_determinismE0ELb1ELb1ES3_N6thrust23THRUST_200600_302600_NS6detail15normal_iteratorINS9_10device_ptrIiEEEESE_iNS9_4plusIiEEiEEDaPvRmT3_T4_T5_mT6_P12ihipStream_tbENKUlT_T0_E_clISt17integral_constantIbLb0EESU_EEDaSP_SQ_EUlSP_E_NS1_11comp_targetILNS1_3genE4ELNS1_11target_archE910ELNS1_3gpuE8ELNS1_3repE0EEENS1_30default_config_static_selectorELNS0_4arch9wavefront6targetE1EEEvT1_,"axG",@progbits,_ZN7rocprim17ROCPRIM_400000_NS6detail17trampoline_kernelINS0_14default_configENS1_20scan_config_selectorIiEEZZNS1_9scan_implILNS1_25lookback_scan_determinismE0ELb1ELb1ES3_N6thrust23THRUST_200600_302600_NS6detail15normal_iteratorINS9_10device_ptrIiEEEESE_iNS9_4plusIiEEiEEDaPvRmT3_T4_T5_mT6_P12ihipStream_tbENKUlT_T0_E_clISt17integral_constantIbLb0EESU_EEDaSP_SQ_EUlSP_E_NS1_11comp_targetILNS1_3genE4ELNS1_11target_archE910ELNS1_3gpuE8ELNS1_3repE0EEENS1_30default_config_static_selectorELNS0_4arch9wavefront6targetE1EEEvT1_,comdat
.Lfunc_end662:
	.size	_ZN7rocprim17ROCPRIM_400000_NS6detail17trampoline_kernelINS0_14default_configENS1_20scan_config_selectorIiEEZZNS1_9scan_implILNS1_25lookback_scan_determinismE0ELb1ELb1ES3_N6thrust23THRUST_200600_302600_NS6detail15normal_iteratorINS9_10device_ptrIiEEEESE_iNS9_4plusIiEEiEEDaPvRmT3_T4_T5_mT6_P12ihipStream_tbENKUlT_T0_E_clISt17integral_constantIbLb0EESU_EEDaSP_SQ_EUlSP_E_NS1_11comp_targetILNS1_3genE4ELNS1_11target_archE910ELNS1_3gpuE8ELNS1_3repE0EEENS1_30default_config_static_selectorELNS0_4arch9wavefront6targetE1EEEvT1_, .Lfunc_end662-_ZN7rocprim17ROCPRIM_400000_NS6detail17trampoline_kernelINS0_14default_configENS1_20scan_config_selectorIiEEZZNS1_9scan_implILNS1_25lookback_scan_determinismE0ELb1ELb1ES3_N6thrust23THRUST_200600_302600_NS6detail15normal_iteratorINS9_10device_ptrIiEEEESE_iNS9_4plusIiEEiEEDaPvRmT3_T4_T5_mT6_P12ihipStream_tbENKUlT_T0_E_clISt17integral_constantIbLb0EESU_EEDaSP_SQ_EUlSP_E_NS1_11comp_targetILNS1_3genE4ELNS1_11target_archE910ELNS1_3gpuE8ELNS1_3repE0EEENS1_30default_config_static_selectorELNS0_4arch9wavefront6targetE1EEEvT1_
                                        ; -- End function
	.section	.AMDGPU.csdata,"",@progbits
; Kernel info:
; codeLenInByte = 4404
; NumSgprs: 33
; NumVgprs: 41
; NumAgprs: 0
; TotalNumVgprs: 41
; ScratchSize: 0
; MemoryBound: 0
; FloatMode: 240
; IeeeMode: 1
; LDSByteSize: 5120 bytes/workgroup (compile time only)
; SGPRBlocks: 4
; VGPRBlocks: 5
; NumSGPRsForWavesPerEU: 33
; NumVGPRsForWavesPerEU: 41
; AccumOffset: 44
; Occupancy: 6
; WaveLimiterHint : 1
; COMPUTE_PGM_RSRC2:SCRATCH_EN: 0
; COMPUTE_PGM_RSRC2:USER_SGPR: 6
; COMPUTE_PGM_RSRC2:TRAP_HANDLER: 0
; COMPUTE_PGM_RSRC2:TGID_X_EN: 1
; COMPUTE_PGM_RSRC2:TGID_Y_EN: 0
; COMPUTE_PGM_RSRC2:TGID_Z_EN: 0
; COMPUTE_PGM_RSRC2:TIDIG_COMP_CNT: 0
; COMPUTE_PGM_RSRC3_GFX90A:ACCUM_OFFSET: 10
; COMPUTE_PGM_RSRC3_GFX90A:TG_SPLIT: 0
	.section	.text._ZN7rocprim17ROCPRIM_400000_NS6detail17trampoline_kernelINS0_14default_configENS1_20scan_config_selectorIiEEZZNS1_9scan_implILNS1_25lookback_scan_determinismE0ELb1ELb1ES3_N6thrust23THRUST_200600_302600_NS6detail15normal_iteratorINS9_10device_ptrIiEEEESE_iNS9_4plusIiEEiEEDaPvRmT3_T4_T5_mT6_P12ihipStream_tbENKUlT_T0_E_clISt17integral_constantIbLb0EESU_EEDaSP_SQ_EUlSP_E_NS1_11comp_targetILNS1_3genE3ELNS1_11target_archE908ELNS1_3gpuE7ELNS1_3repE0EEENS1_30default_config_static_selectorELNS0_4arch9wavefront6targetE1EEEvT1_,"axG",@progbits,_ZN7rocprim17ROCPRIM_400000_NS6detail17trampoline_kernelINS0_14default_configENS1_20scan_config_selectorIiEEZZNS1_9scan_implILNS1_25lookback_scan_determinismE0ELb1ELb1ES3_N6thrust23THRUST_200600_302600_NS6detail15normal_iteratorINS9_10device_ptrIiEEEESE_iNS9_4plusIiEEiEEDaPvRmT3_T4_T5_mT6_P12ihipStream_tbENKUlT_T0_E_clISt17integral_constantIbLb0EESU_EEDaSP_SQ_EUlSP_E_NS1_11comp_targetILNS1_3genE3ELNS1_11target_archE908ELNS1_3gpuE7ELNS1_3repE0EEENS1_30default_config_static_selectorELNS0_4arch9wavefront6targetE1EEEvT1_,comdat
	.protected	_ZN7rocprim17ROCPRIM_400000_NS6detail17trampoline_kernelINS0_14default_configENS1_20scan_config_selectorIiEEZZNS1_9scan_implILNS1_25lookback_scan_determinismE0ELb1ELb1ES3_N6thrust23THRUST_200600_302600_NS6detail15normal_iteratorINS9_10device_ptrIiEEEESE_iNS9_4plusIiEEiEEDaPvRmT3_T4_T5_mT6_P12ihipStream_tbENKUlT_T0_E_clISt17integral_constantIbLb0EESU_EEDaSP_SQ_EUlSP_E_NS1_11comp_targetILNS1_3genE3ELNS1_11target_archE908ELNS1_3gpuE7ELNS1_3repE0EEENS1_30default_config_static_selectorELNS0_4arch9wavefront6targetE1EEEvT1_ ; -- Begin function _ZN7rocprim17ROCPRIM_400000_NS6detail17trampoline_kernelINS0_14default_configENS1_20scan_config_selectorIiEEZZNS1_9scan_implILNS1_25lookback_scan_determinismE0ELb1ELb1ES3_N6thrust23THRUST_200600_302600_NS6detail15normal_iteratorINS9_10device_ptrIiEEEESE_iNS9_4plusIiEEiEEDaPvRmT3_T4_T5_mT6_P12ihipStream_tbENKUlT_T0_E_clISt17integral_constantIbLb0EESU_EEDaSP_SQ_EUlSP_E_NS1_11comp_targetILNS1_3genE3ELNS1_11target_archE908ELNS1_3gpuE7ELNS1_3repE0EEENS1_30default_config_static_selectorELNS0_4arch9wavefront6targetE1EEEvT1_
	.globl	_ZN7rocprim17ROCPRIM_400000_NS6detail17trampoline_kernelINS0_14default_configENS1_20scan_config_selectorIiEEZZNS1_9scan_implILNS1_25lookback_scan_determinismE0ELb1ELb1ES3_N6thrust23THRUST_200600_302600_NS6detail15normal_iteratorINS9_10device_ptrIiEEEESE_iNS9_4plusIiEEiEEDaPvRmT3_T4_T5_mT6_P12ihipStream_tbENKUlT_T0_E_clISt17integral_constantIbLb0EESU_EEDaSP_SQ_EUlSP_E_NS1_11comp_targetILNS1_3genE3ELNS1_11target_archE908ELNS1_3gpuE7ELNS1_3repE0EEENS1_30default_config_static_selectorELNS0_4arch9wavefront6targetE1EEEvT1_
	.p2align	8
	.type	_ZN7rocprim17ROCPRIM_400000_NS6detail17trampoline_kernelINS0_14default_configENS1_20scan_config_selectorIiEEZZNS1_9scan_implILNS1_25lookback_scan_determinismE0ELb1ELb1ES3_N6thrust23THRUST_200600_302600_NS6detail15normal_iteratorINS9_10device_ptrIiEEEESE_iNS9_4plusIiEEiEEDaPvRmT3_T4_T5_mT6_P12ihipStream_tbENKUlT_T0_E_clISt17integral_constantIbLb0EESU_EEDaSP_SQ_EUlSP_E_NS1_11comp_targetILNS1_3genE3ELNS1_11target_archE908ELNS1_3gpuE7ELNS1_3repE0EEENS1_30default_config_static_selectorELNS0_4arch9wavefront6targetE1EEEvT1_,@function
_ZN7rocprim17ROCPRIM_400000_NS6detail17trampoline_kernelINS0_14default_configENS1_20scan_config_selectorIiEEZZNS1_9scan_implILNS1_25lookback_scan_determinismE0ELb1ELb1ES3_N6thrust23THRUST_200600_302600_NS6detail15normal_iteratorINS9_10device_ptrIiEEEESE_iNS9_4plusIiEEiEEDaPvRmT3_T4_T5_mT6_P12ihipStream_tbENKUlT_T0_E_clISt17integral_constantIbLb0EESU_EEDaSP_SQ_EUlSP_E_NS1_11comp_targetILNS1_3genE3ELNS1_11target_archE908ELNS1_3gpuE7ELNS1_3repE0EEENS1_30default_config_static_selectorELNS0_4arch9wavefront6targetE1EEEvT1_: ; @_ZN7rocprim17ROCPRIM_400000_NS6detail17trampoline_kernelINS0_14default_configENS1_20scan_config_selectorIiEEZZNS1_9scan_implILNS1_25lookback_scan_determinismE0ELb1ELb1ES3_N6thrust23THRUST_200600_302600_NS6detail15normal_iteratorINS9_10device_ptrIiEEEESE_iNS9_4plusIiEEiEEDaPvRmT3_T4_T5_mT6_P12ihipStream_tbENKUlT_T0_E_clISt17integral_constantIbLb0EESU_EEDaSP_SQ_EUlSP_E_NS1_11comp_targetILNS1_3genE3ELNS1_11target_archE908ELNS1_3gpuE7ELNS1_3repE0EEENS1_30default_config_static_selectorELNS0_4arch9wavefront6targetE1EEEvT1_
; %bb.0:
	.section	.rodata,"a",@progbits
	.p2align	6, 0x0
	.amdhsa_kernel _ZN7rocprim17ROCPRIM_400000_NS6detail17trampoline_kernelINS0_14default_configENS1_20scan_config_selectorIiEEZZNS1_9scan_implILNS1_25lookback_scan_determinismE0ELb1ELb1ES3_N6thrust23THRUST_200600_302600_NS6detail15normal_iteratorINS9_10device_ptrIiEEEESE_iNS9_4plusIiEEiEEDaPvRmT3_T4_T5_mT6_P12ihipStream_tbENKUlT_T0_E_clISt17integral_constantIbLb0EESU_EEDaSP_SQ_EUlSP_E_NS1_11comp_targetILNS1_3genE3ELNS1_11target_archE908ELNS1_3gpuE7ELNS1_3repE0EEENS1_30default_config_static_selectorELNS0_4arch9wavefront6targetE1EEEvT1_
		.amdhsa_group_segment_fixed_size 0
		.amdhsa_private_segment_fixed_size 0
		.amdhsa_kernarg_size 96
		.amdhsa_user_sgpr_count 6
		.amdhsa_user_sgpr_private_segment_buffer 1
		.amdhsa_user_sgpr_dispatch_ptr 0
		.amdhsa_user_sgpr_queue_ptr 0
		.amdhsa_user_sgpr_kernarg_segment_ptr 1
		.amdhsa_user_sgpr_dispatch_id 0
		.amdhsa_user_sgpr_flat_scratch_init 0
		.amdhsa_user_sgpr_kernarg_preload_length 0
		.amdhsa_user_sgpr_kernarg_preload_offset 0
		.amdhsa_user_sgpr_private_segment_size 0
		.amdhsa_uses_dynamic_stack 0
		.amdhsa_system_sgpr_private_segment_wavefront_offset 0
		.amdhsa_system_sgpr_workgroup_id_x 1
		.amdhsa_system_sgpr_workgroup_id_y 0
		.amdhsa_system_sgpr_workgroup_id_z 0
		.amdhsa_system_sgpr_workgroup_info 0
		.amdhsa_system_vgpr_workitem_id 0
		.amdhsa_next_free_vgpr 1
		.amdhsa_next_free_sgpr 0
		.amdhsa_accum_offset 4
		.amdhsa_reserve_vcc 0
		.amdhsa_reserve_flat_scratch 0
		.amdhsa_float_round_mode_32 0
		.amdhsa_float_round_mode_16_64 0
		.amdhsa_float_denorm_mode_32 3
		.amdhsa_float_denorm_mode_16_64 3
		.amdhsa_dx10_clamp 1
		.amdhsa_ieee_mode 1
		.amdhsa_fp16_overflow 0
		.amdhsa_tg_split 0
		.amdhsa_exception_fp_ieee_invalid_op 0
		.amdhsa_exception_fp_denorm_src 0
		.amdhsa_exception_fp_ieee_div_zero 0
		.amdhsa_exception_fp_ieee_overflow 0
		.amdhsa_exception_fp_ieee_underflow 0
		.amdhsa_exception_fp_ieee_inexact 0
		.amdhsa_exception_int_div_zero 0
	.end_amdhsa_kernel
	.section	.text._ZN7rocprim17ROCPRIM_400000_NS6detail17trampoline_kernelINS0_14default_configENS1_20scan_config_selectorIiEEZZNS1_9scan_implILNS1_25lookback_scan_determinismE0ELb1ELb1ES3_N6thrust23THRUST_200600_302600_NS6detail15normal_iteratorINS9_10device_ptrIiEEEESE_iNS9_4plusIiEEiEEDaPvRmT3_T4_T5_mT6_P12ihipStream_tbENKUlT_T0_E_clISt17integral_constantIbLb0EESU_EEDaSP_SQ_EUlSP_E_NS1_11comp_targetILNS1_3genE3ELNS1_11target_archE908ELNS1_3gpuE7ELNS1_3repE0EEENS1_30default_config_static_selectorELNS0_4arch9wavefront6targetE1EEEvT1_,"axG",@progbits,_ZN7rocprim17ROCPRIM_400000_NS6detail17trampoline_kernelINS0_14default_configENS1_20scan_config_selectorIiEEZZNS1_9scan_implILNS1_25lookback_scan_determinismE0ELb1ELb1ES3_N6thrust23THRUST_200600_302600_NS6detail15normal_iteratorINS9_10device_ptrIiEEEESE_iNS9_4plusIiEEiEEDaPvRmT3_T4_T5_mT6_P12ihipStream_tbENKUlT_T0_E_clISt17integral_constantIbLb0EESU_EEDaSP_SQ_EUlSP_E_NS1_11comp_targetILNS1_3genE3ELNS1_11target_archE908ELNS1_3gpuE7ELNS1_3repE0EEENS1_30default_config_static_selectorELNS0_4arch9wavefront6targetE1EEEvT1_,comdat
.Lfunc_end663:
	.size	_ZN7rocprim17ROCPRIM_400000_NS6detail17trampoline_kernelINS0_14default_configENS1_20scan_config_selectorIiEEZZNS1_9scan_implILNS1_25lookback_scan_determinismE0ELb1ELb1ES3_N6thrust23THRUST_200600_302600_NS6detail15normal_iteratorINS9_10device_ptrIiEEEESE_iNS9_4plusIiEEiEEDaPvRmT3_T4_T5_mT6_P12ihipStream_tbENKUlT_T0_E_clISt17integral_constantIbLb0EESU_EEDaSP_SQ_EUlSP_E_NS1_11comp_targetILNS1_3genE3ELNS1_11target_archE908ELNS1_3gpuE7ELNS1_3repE0EEENS1_30default_config_static_selectorELNS0_4arch9wavefront6targetE1EEEvT1_, .Lfunc_end663-_ZN7rocprim17ROCPRIM_400000_NS6detail17trampoline_kernelINS0_14default_configENS1_20scan_config_selectorIiEEZZNS1_9scan_implILNS1_25lookback_scan_determinismE0ELb1ELb1ES3_N6thrust23THRUST_200600_302600_NS6detail15normal_iteratorINS9_10device_ptrIiEEEESE_iNS9_4plusIiEEiEEDaPvRmT3_T4_T5_mT6_P12ihipStream_tbENKUlT_T0_E_clISt17integral_constantIbLb0EESU_EEDaSP_SQ_EUlSP_E_NS1_11comp_targetILNS1_3genE3ELNS1_11target_archE908ELNS1_3gpuE7ELNS1_3repE0EEENS1_30default_config_static_selectorELNS0_4arch9wavefront6targetE1EEEvT1_
                                        ; -- End function
	.section	.AMDGPU.csdata,"",@progbits
; Kernel info:
; codeLenInByte = 0
; NumSgprs: 4
; NumVgprs: 0
; NumAgprs: 0
; TotalNumVgprs: 0
; ScratchSize: 0
; MemoryBound: 0
; FloatMode: 240
; IeeeMode: 1
; LDSByteSize: 0 bytes/workgroup (compile time only)
; SGPRBlocks: 0
; VGPRBlocks: 0
; NumSGPRsForWavesPerEU: 4
; NumVGPRsForWavesPerEU: 1
; AccumOffset: 4
; Occupancy: 8
; WaveLimiterHint : 0
; COMPUTE_PGM_RSRC2:SCRATCH_EN: 0
; COMPUTE_PGM_RSRC2:USER_SGPR: 6
; COMPUTE_PGM_RSRC2:TRAP_HANDLER: 0
; COMPUTE_PGM_RSRC2:TGID_X_EN: 1
; COMPUTE_PGM_RSRC2:TGID_Y_EN: 0
; COMPUTE_PGM_RSRC2:TGID_Z_EN: 0
; COMPUTE_PGM_RSRC2:TIDIG_COMP_CNT: 0
; COMPUTE_PGM_RSRC3_GFX90A:ACCUM_OFFSET: 0
; COMPUTE_PGM_RSRC3_GFX90A:TG_SPLIT: 0
	.section	.text._ZN7rocprim17ROCPRIM_400000_NS6detail17trampoline_kernelINS0_14default_configENS1_20scan_config_selectorIiEEZZNS1_9scan_implILNS1_25lookback_scan_determinismE0ELb1ELb1ES3_N6thrust23THRUST_200600_302600_NS6detail15normal_iteratorINS9_10device_ptrIiEEEESE_iNS9_4plusIiEEiEEDaPvRmT3_T4_T5_mT6_P12ihipStream_tbENKUlT_T0_E_clISt17integral_constantIbLb0EESU_EEDaSP_SQ_EUlSP_E_NS1_11comp_targetILNS1_3genE2ELNS1_11target_archE906ELNS1_3gpuE6ELNS1_3repE0EEENS1_30default_config_static_selectorELNS0_4arch9wavefront6targetE1EEEvT1_,"axG",@progbits,_ZN7rocprim17ROCPRIM_400000_NS6detail17trampoline_kernelINS0_14default_configENS1_20scan_config_selectorIiEEZZNS1_9scan_implILNS1_25lookback_scan_determinismE0ELb1ELb1ES3_N6thrust23THRUST_200600_302600_NS6detail15normal_iteratorINS9_10device_ptrIiEEEESE_iNS9_4plusIiEEiEEDaPvRmT3_T4_T5_mT6_P12ihipStream_tbENKUlT_T0_E_clISt17integral_constantIbLb0EESU_EEDaSP_SQ_EUlSP_E_NS1_11comp_targetILNS1_3genE2ELNS1_11target_archE906ELNS1_3gpuE6ELNS1_3repE0EEENS1_30default_config_static_selectorELNS0_4arch9wavefront6targetE1EEEvT1_,comdat
	.protected	_ZN7rocprim17ROCPRIM_400000_NS6detail17trampoline_kernelINS0_14default_configENS1_20scan_config_selectorIiEEZZNS1_9scan_implILNS1_25lookback_scan_determinismE0ELb1ELb1ES3_N6thrust23THRUST_200600_302600_NS6detail15normal_iteratorINS9_10device_ptrIiEEEESE_iNS9_4plusIiEEiEEDaPvRmT3_T4_T5_mT6_P12ihipStream_tbENKUlT_T0_E_clISt17integral_constantIbLb0EESU_EEDaSP_SQ_EUlSP_E_NS1_11comp_targetILNS1_3genE2ELNS1_11target_archE906ELNS1_3gpuE6ELNS1_3repE0EEENS1_30default_config_static_selectorELNS0_4arch9wavefront6targetE1EEEvT1_ ; -- Begin function _ZN7rocprim17ROCPRIM_400000_NS6detail17trampoline_kernelINS0_14default_configENS1_20scan_config_selectorIiEEZZNS1_9scan_implILNS1_25lookback_scan_determinismE0ELb1ELb1ES3_N6thrust23THRUST_200600_302600_NS6detail15normal_iteratorINS9_10device_ptrIiEEEESE_iNS9_4plusIiEEiEEDaPvRmT3_T4_T5_mT6_P12ihipStream_tbENKUlT_T0_E_clISt17integral_constantIbLb0EESU_EEDaSP_SQ_EUlSP_E_NS1_11comp_targetILNS1_3genE2ELNS1_11target_archE906ELNS1_3gpuE6ELNS1_3repE0EEENS1_30default_config_static_selectorELNS0_4arch9wavefront6targetE1EEEvT1_
	.globl	_ZN7rocprim17ROCPRIM_400000_NS6detail17trampoline_kernelINS0_14default_configENS1_20scan_config_selectorIiEEZZNS1_9scan_implILNS1_25lookback_scan_determinismE0ELb1ELb1ES3_N6thrust23THRUST_200600_302600_NS6detail15normal_iteratorINS9_10device_ptrIiEEEESE_iNS9_4plusIiEEiEEDaPvRmT3_T4_T5_mT6_P12ihipStream_tbENKUlT_T0_E_clISt17integral_constantIbLb0EESU_EEDaSP_SQ_EUlSP_E_NS1_11comp_targetILNS1_3genE2ELNS1_11target_archE906ELNS1_3gpuE6ELNS1_3repE0EEENS1_30default_config_static_selectorELNS0_4arch9wavefront6targetE1EEEvT1_
	.p2align	8
	.type	_ZN7rocprim17ROCPRIM_400000_NS6detail17trampoline_kernelINS0_14default_configENS1_20scan_config_selectorIiEEZZNS1_9scan_implILNS1_25lookback_scan_determinismE0ELb1ELb1ES3_N6thrust23THRUST_200600_302600_NS6detail15normal_iteratorINS9_10device_ptrIiEEEESE_iNS9_4plusIiEEiEEDaPvRmT3_T4_T5_mT6_P12ihipStream_tbENKUlT_T0_E_clISt17integral_constantIbLb0EESU_EEDaSP_SQ_EUlSP_E_NS1_11comp_targetILNS1_3genE2ELNS1_11target_archE906ELNS1_3gpuE6ELNS1_3repE0EEENS1_30default_config_static_selectorELNS0_4arch9wavefront6targetE1EEEvT1_,@function
_ZN7rocprim17ROCPRIM_400000_NS6detail17trampoline_kernelINS0_14default_configENS1_20scan_config_selectorIiEEZZNS1_9scan_implILNS1_25lookback_scan_determinismE0ELb1ELb1ES3_N6thrust23THRUST_200600_302600_NS6detail15normal_iteratorINS9_10device_ptrIiEEEESE_iNS9_4plusIiEEiEEDaPvRmT3_T4_T5_mT6_P12ihipStream_tbENKUlT_T0_E_clISt17integral_constantIbLb0EESU_EEDaSP_SQ_EUlSP_E_NS1_11comp_targetILNS1_3genE2ELNS1_11target_archE906ELNS1_3gpuE6ELNS1_3repE0EEENS1_30default_config_static_selectorELNS0_4arch9wavefront6targetE1EEEvT1_: ; @_ZN7rocprim17ROCPRIM_400000_NS6detail17trampoline_kernelINS0_14default_configENS1_20scan_config_selectorIiEEZZNS1_9scan_implILNS1_25lookback_scan_determinismE0ELb1ELb1ES3_N6thrust23THRUST_200600_302600_NS6detail15normal_iteratorINS9_10device_ptrIiEEEESE_iNS9_4plusIiEEiEEDaPvRmT3_T4_T5_mT6_P12ihipStream_tbENKUlT_T0_E_clISt17integral_constantIbLb0EESU_EEDaSP_SQ_EUlSP_E_NS1_11comp_targetILNS1_3genE2ELNS1_11target_archE906ELNS1_3gpuE6ELNS1_3repE0EEENS1_30default_config_static_selectorELNS0_4arch9wavefront6targetE1EEEvT1_
; %bb.0:
	.section	.rodata,"a",@progbits
	.p2align	6, 0x0
	.amdhsa_kernel _ZN7rocprim17ROCPRIM_400000_NS6detail17trampoline_kernelINS0_14default_configENS1_20scan_config_selectorIiEEZZNS1_9scan_implILNS1_25lookback_scan_determinismE0ELb1ELb1ES3_N6thrust23THRUST_200600_302600_NS6detail15normal_iteratorINS9_10device_ptrIiEEEESE_iNS9_4plusIiEEiEEDaPvRmT3_T4_T5_mT6_P12ihipStream_tbENKUlT_T0_E_clISt17integral_constantIbLb0EESU_EEDaSP_SQ_EUlSP_E_NS1_11comp_targetILNS1_3genE2ELNS1_11target_archE906ELNS1_3gpuE6ELNS1_3repE0EEENS1_30default_config_static_selectorELNS0_4arch9wavefront6targetE1EEEvT1_
		.amdhsa_group_segment_fixed_size 0
		.amdhsa_private_segment_fixed_size 0
		.amdhsa_kernarg_size 96
		.amdhsa_user_sgpr_count 6
		.amdhsa_user_sgpr_private_segment_buffer 1
		.amdhsa_user_sgpr_dispatch_ptr 0
		.amdhsa_user_sgpr_queue_ptr 0
		.amdhsa_user_sgpr_kernarg_segment_ptr 1
		.amdhsa_user_sgpr_dispatch_id 0
		.amdhsa_user_sgpr_flat_scratch_init 0
		.amdhsa_user_sgpr_kernarg_preload_length 0
		.amdhsa_user_sgpr_kernarg_preload_offset 0
		.amdhsa_user_sgpr_private_segment_size 0
		.amdhsa_uses_dynamic_stack 0
		.amdhsa_system_sgpr_private_segment_wavefront_offset 0
		.amdhsa_system_sgpr_workgroup_id_x 1
		.amdhsa_system_sgpr_workgroup_id_y 0
		.amdhsa_system_sgpr_workgroup_id_z 0
		.amdhsa_system_sgpr_workgroup_info 0
		.amdhsa_system_vgpr_workitem_id 0
		.amdhsa_next_free_vgpr 1
		.amdhsa_next_free_sgpr 0
		.amdhsa_accum_offset 4
		.amdhsa_reserve_vcc 0
		.amdhsa_reserve_flat_scratch 0
		.amdhsa_float_round_mode_32 0
		.amdhsa_float_round_mode_16_64 0
		.amdhsa_float_denorm_mode_32 3
		.amdhsa_float_denorm_mode_16_64 3
		.amdhsa_dx10_clamp 1
		.amdhsa_ieee_mode 1
		.amdhsa_fp16_overflow 0
		.amdhsa_tg_split 0
		.amdhsa_exception_fp_ieee_invalid_op 0
		.amdhsa_exception_fp_denorm_src 0
		.amdhsa_exception_fp_ieee_div_zero 0
		.amdhsa_exception_fp_ieee_overflow 0
		.amdhsa_exception_fp_ieee_underflow 0
		.amdhsa_exception_fp_ieee_inexact 0
		.amdhsa_exception_int_div_zero 0
	.end_amdhsa_kernel
	.section	.text._ZN7rocprim17ROCPRIM_400000_NS6detail17trampoline_kernelINS0_14default_configENS1_20scan_config_selectorIiEEZZNS1_9scan_implILNS1_25lookback_scan_determinismE0ELb1ELb1ES3_N6thrust23THRUST_200600_302600_NS6detail15normal_iteratorINS9_10device_ptrIiEEEESE_iNS9_4plusIiEEiEEDaPvRmT3_T4_T5_mT6_P12ihipStream_tbENKUlT_T0_E_clISt17integral_constantIbLb0EESU_EEDaSP_SQ_EUlSP_E_NS1_11comp_targetILNS1_3genE2ELNS1_11target_archE906ELNS1_3gpuE6ELNS1_3repE0EEENS1_30default_config_static_selectorELNS0_4arch9wavefront6targetE1EEEvT1_,"axG",@progbits,_ZN7rocprim17ROCPRIM_400000_NS6detail17trampoline_kernelINS0_14default_configENS1_20scan_config_selectorIiEEZZNS1_9scan_implILNS1_25lookback_scan_determinismE0ELb1ELb1ES3_N6thrust23THRUST_200600_302600_NS6detail15normal_iteratorINS9_10device_ptrIiEEEESE_iNS9_4plusIiEEiEEDaPvRmT3_T4_T5_mT6_P12ihipStream_tbENKUlT_T0_E_clISt17integral_constantIbLb0EESU_EEDaSP_SQ_EUlSP_E_NS1_11comp_targetILNS1_3genE2ELNS1_11target_archE906ELNS1_3gpuE6ELNS1_3repE0EEENS1_30default_config_static_selectorELNS0_4arch9wavefront6targetE1EEEvT1_,comdat
.Lfunc_end664:
	.size	_ZN7rocprim17ROCPRIM_400000_NS6detail17trampoline_kernelINS0_14default_configENS1_20scan_config_selectorIiEEZZNS1_9scan_implILNS1_25lookback_scan_determinismE0ELb1ELb1ES3_N6thrust23THRUST_200600_302600_NS6detail15normal_iteratorINS9_10device_ptrIiEEEESE_iNS9_4plusIiEEiEEDaPvRmT3_T4_T5_mT6_P12ihipStream_tbENKUlT_T0_E_clISt17integral_constantIbLb0EESU_EEDaSP_SQ_EUlSP_E_NS1_11comp_targetILNS1_3genE2ELNS1_11target_archE906ELNS1_3gpuE6ELNS1_3repE0EEENS1_30default_config_static_selectorELNS0_4arch9wavefront6targetE1EEEvT1_, .Lfunc_end664-_ZN7rocprim17ROCPRIM_400000_NS6detail17trampoline_kernelINS0_14default_configENS1_20scan_config_selectorIiEEZZNS1_9scan_implILNS1_25lookback_scan_determinismE0ELb1ELb1ES3_N6thrust23THRUST_200600_302600_NS6detail15normal_iteratorINS9_10device_ptrIiEEEESE_iNS9_4plusIiEEiEEDaPvRmT3_T4_T5_mT6_P12ihipStream_tbENKUlT_T0_E_clISt17integral_constantIbLb0EESU_EEDaSP_SQ_EUlSP_E_NS1_11comp_targetILNS1_3genE2ELNS1_11target_archE906ELNS1_3gpuE6ELNS1_3repE0EEENS1_30default_config_static_selectorELNS0_4arch9wavefront6targetE1EEEvT1_
                                        ; -- End function
	.section	.AMDGPU.csdata,"",@progbits
; Kernel info:
; codeLenInByte = 0
; NumSgprs: 4
; NumVgprs: 0
; NumAgprs: 0
; TotalNumVgprs: 0
; ScratchSize: 0
; MemoryBound: 0
; FloatMode: 240
; IeeeMode: 1
; LDSByteSize: 0 bytes/workgroup (compile time only)
; SGPRBlocks: 0
; VGPRBlocks: 0
; NumSGPRsForWavesPerEU: 4
; NumVGPRsForWavesPerEU: 1
; AccumOffset: 4
; Occupancy: 8
; WaveLimiterHint : 0
; COMPUTE_PGM_RSRC2:SCRATCH_EN: 0
; COMPUTE_PGM_RSRC2:USER_SGPR: 6
; COMPUTE_PGM_RSRC2:TRAP_HANDLER: 0
; COMPUTE_PGM_RSRC2:TGID_X_EN: 1
; COMPUTE_PGM_RSRC2:TGID_Y_EN: 0
; COMPUTE_PGM_RSRC2:TGID_Z_EN: 0
; COMPUTE_PGM_RSRC2:TIDIG_COMP_CNT: 0
; COMPUTE_PGM_RSRC3_GFX90A:ACCUM_OFFSET: 0
; COMPUTE_PGM_RSRC3_GFX90A:TG_SPLIT: 0
	.section	.text._ZN7rocprim17ROCPRIM_400000_NS6detail17trampoline_kernelINS0_14default_configENS1_20scan_config_selectorIiEEZZNS1_9scan_implILNS1_25lookback_scan_determinismE0ELb1ELb1ES3_N6thrust23THRUST_200600_302600_NS6detail15normal_iteratorINS9_10device_ptrIiEEEESE_iNS9_4plusIiEEiEEDaPvRmT3_T4_T5_mT6_P12ihipStream_tbENKUlT_T0_E_clISt17integral_constantIbLb0EESU_EEDaSP_SQ_EUlSP_E_NS1_11comp_targetILNS1_3genE10ELNS1_11target_archE1201ELNS1_3gpuE5ELNS1_3repE0EEENS1_30default_config_static_selectorELNS0_4arch9wavefront6targetE1EEEvT1_,"axG",@progbits,_ZN7rocprim17ROCPRIM_400000_NS6detail17trampoline_kernelINS0_14default_configENS1_20scan_config_selectorIiEEZZNS1_9scan_implILNS1_25lookback_scan_determinismE0ELb1ELb1ES3_N6thrust23THRUST_200600_302600_NS6detail15normal_iteratorINS9_10device_ptrIiEEEESE_iNS9_4plusIiEEiEEDaPvRmT3_T4_T5_mT6_P12ihipStream_tbENKUlT_T0_E_clISt17integral_constantIbLb0EESU_EEDaSP_SQ_EUlSP_E_NS1_11comp_targetILNS1_3genE10ELNS1_11target_archE1201ELNS1_3gpuE5ELNS1_3repE0EEENS1_30default_config_static_selectorELNS0_4arch9wavefront6targetE1EEEvT1_,comdat
	.protected	_ZN7rocprim17ROCPRIM_400000_NS6detail17trampoline_kernelINS0_14default_configENS1_20scan_config_selectorIiEEZZNS1_9scan_implILNS1_25lookback_scan_determinismE0ELb1ELb1ES3_N6thrust23THRUST_200600_302600_NS6detail15normal_iteratorINS9_10device_ptrIiEEEESE_iNS9_4plusIiEEiEEDaPvRmT3_T4_T5_mT6_P12ihipStream_tbENKUlT_T0_E_clISt17integral_constantIbLb0EESU_EEDaSP_SQ_EUlSP_E_NS1_11comp_targetILNS1_3genE10ELNS1_11target_archE1201ELNS1_3gpuE5ELNS1_3repE0EEENS1_30default_config_static_selectorELNS0_4arch9wavefront6targetE1EEEvT1_ ; -- Begin function _ZN7rocprim17ROCPRIM_400000_NS6detail17trampoline_kernelINS0_14default_configENS1_20scan_config_selectorIiEEZZNS1_9scan_implILNS1_25lookback_scan_determinismE0ELb1ELb1ES3_N6thrust23THRUST_200600_302600_NS6detail15normal_iteratorINS9_10device_ptrIiEEEESE_iNS9_4plusIiEEiEEDaPvRmT3_T4_T5_mT6_P12ihipStream_tbENKUlT_T0_E_clISt17integral_constantIbLb0EESU_EEDaSP_SQ_EUlSP_E_NS1_11comp_targetILNS1_3genE10ELNS1_11target_archE1201ELNS1_3gpuE5ELNS1_3repE0EEENS1_30default_config_static_selectorELNS0_4arch9wavefront6targetE1EEEvT1_
	.globl	_ZN7rocprim17ROCPRIM_400000_NS6detail17trampoline_kernelINS0_14default_configENS1_20scan_config_selectorIiEEZZNS1_9scan_implILNS1_25lookback_scan_determinismE0ELb1ELb1ES3_N6thrust23THRUST_200600_302600_NS6detail15normal_iteratorINS9_10device_ptrIiEEEESE_iNS9_4plusIiEEiEEDaPvRmT3_T4_T5_mT6_P12ihipStream_tbENKUlT_T0_E_clISt17integral_constantIbLb0EESU_EEDaSP_SQ_EUlSP_E_NS1_11comp_targetILNS1_3genE10ELNS1_11target_archE1201ELNS1_3gpuE5ELNS1_3repE0EEENS1_30default_config_static_selectorELNS0_4arch9wavefront6targetE1EEEvT1_
	.p2align	8
	.type	_ZN7rocprim17ROCPRIM_400000_NS6detail17trampoline_kernelINS0_14default_configENS1_20scan_config_selectorIiEEZZNS1_9scan_implILNS1_25lookback_scan_determinismE0ELb1ELb1ES3_N6thrust23THRUST_200600_302600_NS6detail15normal_iteratorINS9_10device_ptrIiEEEESE_iNS9_4plusIiEEiEEDaPvRmT3_T4_T5_mT6_P12ihipStream_tbENKUlT_T0_E_clISt17integral_constantIbLb0EESU_EEDaSP_SQ_EUlSP_E_NS1_11comp_targetILNS1_3genE10ELNS1_11target_archE1201ELNS1_3gpuE5ELNS1_3repE0EEENS1_30default_config_static_selectorELNS0_4arch9wavefront6targetE1EEEvT1_,@function
_ZN7rocprim17ROCPRIM_400000_NS6detail17trampoline_kernelINS0_14default_configENS1_20scan_config_selectorIiEEZZNS1_9scan_implILNS1_25lookback_scan_determinismE0ELb1ELb1ES3_N6thrust23THRUST_200600_302600_NS6detail15normal_iteratorINS9_10device_ptrIiEEEESE_iNS9_4plusIiEEiEEDaPvRmT3_T4_T5_mT6_P12ihipStream_tbENKUlT_T0_E_clISt17integral_constantIbLb0EESU_EEDaSP_SQ_EUlSP_E_NS1_11comp_targetILNS1_3genE10ELNS1_11target_archE1201ELNS1_3gpuE5ELNS1_3repE0EEENS1_30default_config_static_selectorELNS0_4arch9wavefront6targetE1EEEvT1_: ; @_ZN7rocprim17ROCPRIM_400000_NS6detail17trampoline_kernelINS0_14default_configENS1_20scan_config_selectorIiEEZZNS1_9scan_implILNS1_25lookback_scan_determinismE0ELb1ELb1ES3_N6thrust23THRUST_200600_302600_NS6detail15normal_iteratorINS9_10device_ptrIiEEEESE_iNS9_4plusIiEEiEEDaPvRmT3_T4_T5_mT6_P12ihipStream_tbENKUlT_T0_E_clISt17integral_constantIbLb0EESU_EEDaSP_SQ_EUlSP_E_NS1_11comp_targetILNS1_3genE10ELNS1_11target_archE1201ELNS1_3gpuE5ELNS1_3repE0EEENS1_30default_config_static_selectorELNS0_4arch9wavefront6targetE1EEEvT1_
; %bb.0:
	.section	.rodata,"a",@progbits
	.p2align	6, 0x0
	.amdhsa_kernel _ZN7rocprim17ROCPRIM_400000_NS6detail17trampoline_kernelINS0_14default_configENS1_20scan_config_selectorIiEEZZNS1_9scan_implILNS1_25lookback_scan_determinismE0ELb1ELb1ES3_N6thrust23THRUST_200600_302600_NS6detail15normal_iteratorINS9_10device_ptrIiEEEESE_iNS9_4plusIiEEiEEDaPvRmT3_T4_T5_mT6_P12ihipStream_tbENKUlT_T0_E_clISt17integral_constantIbLb0EESU_EEDaSP_SQ_EUlSP_E_NS1_11comp_targetILNS1_3genE10ELNS1_11target_archE1201ELNS1_3gpuE5ELNS1_3repE0EEENS1_30default_config_static_selectorELNS0_4arch9wavefront6targetE1EEEvT1_
		.amdhsa_group_segment_fixed_size 0
		.amdhsa_private_segment_fixed_size 0
		.amdhsa_kernarg_size 96
		.amdhsa_user_sgpr_count 6
		.amdhsa_user_sgpr_private_segment_buffer 1
		.amdhsa_user_sgpr_dispatch_ptr 0
		.amdhsa_user_sgpr_queue_ptr 0
		.amdhsa_user_sgpr_kernarg_segment_ptr 1
		.amdhsa_user_sgpr_dispatch_id 0
		.amdhsa_user_sgpr_flat_scratch_init 0
		.amdhsa_user_sgpr_kernarg_preload_length 0
		.amdhsa_user_sgpr_kernarg_preload_offset 0
		.amdhsa_user_sgpr_private_segment_size 0
		.amdhsa_uses_dynamic_stack 0
		.amdhsa_system_sgpr_private_segment_wavefront_offset 0
		.amdhsa_system_sgpr_workgroup_id_x 1
		.amdhsa_system_sgpr_workgroup_id_y 0
		.amdhsa_system_sgpr_workgroup_id_z 0
		.amdhsa_system_sgpr_workgroup_info 0
		.amdhsa_system_vgpr_workitem_id 0
		.amdhsa_next_free_vgpr 1
		.amdhsa_next_free_sgpr 0
		.amdhsa_accum_offset 4
		.amdhsa_reserve_vcc 0
		.amdhsa_reserve_flat_scratch 0
		.amdhsa_float_round_mode_32 0
		.amdhsa_float_round_mode_16_64 0
		.amdhsa_float_denorm_mode_32 3
		.amdhsa_float_denorm_mode_16_64 3
		.amdhsa_dx10_clamp 1
		.amdhsa_ieee_mode 1
		.amdhsa_fp16_overflow 0
		.amdhsa_tg_split 0
		.amdhsa_exception_fp_ieee_invalid_op 0
		.amdhsa_exception_fp_denorm_src 0
		.amdhsa_exception_fp_ieee_div_zero 0
		.amdhsa_exception_fp_ieee_overflow 0
		.amdhsa_exception_fp_ieee_underflow 0
		.amdhsa_exception_fp_ieee_inexact 0
		.amdhsa_exception_int_div_zero 0
	.end_amdhsa_kernel
	.section	.text._ZN7rocprim17ROCPRIM_400000_NS6detail17trampoline_kernelINS0_14default_configENS1_20scan_config_selectorIiEEZZNS1_9scan_implILNS1_25lookback_scan_determinismE0ELb1ELb1ES3_N6thrust23THRUST_200600_302600_NS6detail15normal_iteratorINS9_10device_ptrIiEEEESE_iNS9_4plusIiEEiEEDaPvRmT3_T4_T5_mT6_P12ihipStream_tbENKUlT_T0_E_clISt17integral_constantIbLb0EESU_EEDaSP_SQ_EUlSP_E_NS1_11comp_targetILNS1_3genE10ELNS1_11target_archE1201ELNS1_3gpuE5ELNS1_3repE0EEENS1_30default_config_static_selectorELNS0_4arch9wavefront6targetE1EEEvT1_,"axG",@progbits,_ZN7rocprim17ROCPRIM_400000_NS6detail17trampoline_kernelINS0_14default_configENS1_20scan_config_selectorIiEEZZNS1_9scan_implILNS1_25lookback_scan_determinismE0ELb1ELb1ES3_N6thrust23THRUST_200600_302600_NS6detail15normal_iteratorINS9_10device_ptrIiEEEESE_iNS9_4plusIiEEiEEDaPvRmT3_T4_T5_mT6_P12ihipStream_tbENKUlT_T0_E_clISt17integral_constantIbLb0EESU_EEDaSP_SQ_EUlSP_E_NS1_11comp_targetILNS1_3genE10ELNS1_11target_archE1201ELNS1_3gpuE5ELNS1_3repE0EEENS1_30default_config_static_selectorELNS0_4arch9wavefront6targetE1EEEvT1_,comdat
.Lfunc_end665:
	.size	_ZN7rocprim17ROCPRIM_400000_NS6detail17trampoline_kernelINS0_14default_configENS1_20scan_config_selectorIiEEZZNS1_9scan_implILNS1_25lookback_scan_determinismE0ELb1ELb1ES3_N6thrust23THRUST_200600_302600_NS6detail15normal_iteratorINS9_10device_ptrIiEEEESE_iNS9_4plusIiEEiEEDaPvRmT3_T4_T5_mT6_P12ihipStream_tbENKUlT_T0_E_clISt17integral_constantIbLb0EESU_EEDaSP_SQ_EUlSP_E_NS1_11comp_targetILNS1_3genE10ELNS1_11target_archE1201ELNS1_3gpuE5ELNS1_3repE0EEENS1_30default_config_static_selectorELNS0_4arch9wavefront6targetE1EEEvT1_, .Lfunc_end665-_ZN7rocprim17ROCPRIM_400000_NS6detail17trampoline_kernelINS0_14default_configENS1_20scan_config_selectorIiEEZZNS1_9scan_implILNS1_25lookback_scan_determinismE0ELb1ELb1ES3_N6thrust23THRUST_200600_302600_NS6detail15normal_iteratorINS9_10device_ptrIiEEEESE_iNS9_4plusIiEEiEEDaPvRmT3_T4_T5_mT6_P12ihipStream_tbENKUlT_T0_E_clISt17integral_constantIbLb0EESU_EEDaSP_SQ_EUlSP_E_NS1_11comp_targetILNS1_3genE10ELNS1_11target_archE1201ELNS1_3gpuE5ELNS1_3repE0EEENS1_30default_config_static_selectorELNS0_4arch9wavefront6targetE1EEEvT1_
                                        ; -- End function
	.section	.AMDGPU.csdata,"",@progbits
; Kernel info:
; codeLenInByte = 0
; NumSgprs: 4
; NumVgprs: 0
; NumAgprs: 0
; TotalNumVgprs: 0
; ScratchSize: 0
; MemoryBound: 0
; FloatMode: 240
; IeeeMode: 1
; LDSByteSize: 0 bytes/workgroup (compile time only)
; SGPRBlocks: 0
; VGPRBlocks: 0
; NumSGPRsForWavesPerEU: 4
; NumVGPRsForWavesPerEU: 1
; AccumOffset: 4
; Occupancy: 8
; WaveLimiterHint : 0
; COMPUTE_PGM_RSRC2:SCRATCH_EN: 0
; COMPUTE_PGM_RSRC2:USER_SGPR: 6
; COMPUTE_PGM_RSRC2:TRAP_HANDLER: 0
; COMPUTE_PGM_RSRC2:TGID_X_EN: 1
; COMPUTE_PGM_RSRC2:TGID_Y_EN: 0
; COMPUTE_PGM_RSRC2:TGID_Z_EN: 0
; COMPUTE_PGM_RSRC2:TIDIG_COMP_CNT: 0
; COMPUTE_PGM_RSRC3_GFX90A:ACCUM_OFFSET: 0
; COMPUTE_PGM_RSRC3_GFX90A:TG_SPLIT: 0
	.section	.text._ZN7rocprim17ROCPRIM_400000_NS6detail17trampoline_kernelINS0_14default_configENS1_20scan_config_selectorIiEEZZNS1_9scan_implILNS1_25lookback_scan_determinismE0ELb1ELb1ES3_N6thrust23THRUST_200600_302600_NS6detail15normal_iteratorINS9_10device_ptrIiEEEESE_iNS9_4plusIiEEiEEDaPvRmT3_T4_T5_mT6_P12ihipStream_tbENKUlT_T0_E_clISt17integral_constantIbLb0EESU_EEDaSP_SQ_EUlSP_E_NS1_11comp_targetILNS1_3genE10ELNS1_11target_archE1200ELNS1_3gpuE4ELNS1_3repE0EEENS1_30default_config_static_selectorELNS0_4arch9wavefront6targetE1EEEvT1_,"axG",@progbits,_ZN7rocprim17ROCPRIM_400000_NS6detail17trampoline_kernelINS0_14default_configENS1_20scan_config_selectorIiEEZZNS1_9scan_implILNS1_25lookback_scan_determinismE0ELb1ELb1ES3_N6thrust23THRUST_200600_302600_NS6detail15normal_iteratorINS9_10device_ptrIiEEEESE_iNS9_4plusIiEEiEEDaPvRmT3_T4_T5_mT6_P12ihipStream_tbENKUlT_T0_E_clISt17integral_constantIbLb0EESU_EEDaSP_SQ_EUlSP_E_NS1_11comp_targetILNS1_3genE10ELNS1_11target_archE1200ELNS1_3gpuE4ELNS1_3repE0EEENS1_30default_config_static_selectorELNS0_4arch9wavefront6targetE1EEEvT1_,comdat
	.protected	_ZN7rocprim17ROCPRIM_400000_NS6detail17trampoline_kernelINS0_14default_configENS1_20scan_config_selectorIiEEZZNS1_9scan_implILNS1_25lookback_scan_determinismE0ELb1ELb1ES3_N6thrust23THRUST_200600_302600_NS6detail15normal_iteratorINS9_10device_ptrIiEEEESE_iNS9_4plusIiEEiEEDaPvRmT3_T4_T5_mT6_P12ihipStream_tbENKUlT_T0_E_clISt17integral_constantIbLb0EESU_EEDaSP_SQ_EUlSP_E_NS1_11comp_targetILNS1_3genE10ELNS1_11target_archE1200ELNS1_3gpuE4ELNS1_3repE0EEENS1_30default_config_static_selectorELNS0_4arch9wavefront6targetE1EEEvT1_ ; -- Begin function _ZN7rocprim17ROCPRIM_400000_NS6detail17trampoline_kernelINS0_14default_configENS1_20scan_config_selectorIiEEZZNS1_9scan_implILNS1_25lookback_scan_determinismE0ELb1ELb1ES3_N6thrust23THRUST_200600_302600_NS6detail15normal_iteratorINS9_10device_ptrIiEEEESE_iNS9_4plusIiEEiEEDaPvRmT3_T4_T5_mT6_P12ihipStream_tbENKUlT_T0_E_clISt17integral_constantIbLb0EESU_EEDaSP_SQ_EUlSP_E_NS1_11comp_targetILNS1_3genE10ELNS1_11target_archE1200ELNS1_3gpuE4ELNS1_3repE0EEENS1_30default_config_static_selectorELNS0_4arch9wavefront6targetE1EEEvT1_
	.globl	_ZN7rocprim17ROCPRIM_400000_NS6detail17trampoline_kernelINS0_14default_configENS1_20scan_config_selectorIiEEZZNS1_9scan_implILNS1_25lookback_scan_determinismE0ELb1ELb1ES3_N6thrust23THRUST_200600_302600_NS6detail15normal_iteratorINS9_10device_ptrIiEEEESE_iNS9_4plusIiEEiEEDaPvRmT3_T4_T5_mT6_P12ihipStream_tbENKUlT_T0_E_clISt17integral_constantIbLb0EESU_EEDaSP_SQ_EUlSP_E_NS1_11comp_targetILNS1_3genE10ELNS1_11target_archE1200ELNS1_3gpuE4ELNS1_3repE0EEENS1_30default_config_static_selectorELNS0_4arch9wavefront6targetE1EEEvT1_
	.p2align	8
	.type	_ZN7rocprim17ROCPRIM_400000_NS6detail17trampoline_kernelINS0_14default_configENS1_20scan_config_selectorIiEEZZNS1_9scan_implILNS1_25lookback_scan_determinismE0ELb1ELb1ES3_N6thrust23THRUST_200600_302600_NS6detail15normal_iteratorINS9_10device_ptrIiEEEESE_iNS9_4plusIiEEiEEDaPvRmT3_T4_T5_mT6_P12ihipStream_tbENKUlT_T0_E_clISt17integral_constantIbLb0EESU_EEDaSP_SQ_EUlSP_E_NS1_11comp_targetILNS1_3genE10ELNS1_11target_archE1200ELNS1_3gpuE4ELNS1_3repE0EEENS1_30default_config_static_selectorELNS0_4arch9wavefront6targetE1EEEvT1_,@function
_ZN7rocprim17ROCPRIM_400000_NS6detail17trampoline_kernelINS0_14default_configENS1_20scan_config_selectorIiEEZZNS1_9scan_implILNS1_25lookback_scan_determinismE0ELb1ELb1ES3_N6thrust23THRUST_200600_302600_NS6detail15normal_iteratorINS9_10device_ptrIiEEEESE_iNS9_4plusIiEEiEEDaPvRmT3_T4_T5_mT6_P12ihipStream_tbENKUlT_T0_E_clISt17integral_constantIbLb0EESU_EEDaSP_SQ_EUlSP_E_NS1_11comp_targetILNS1_3genE10ELNS1_11target_archE1200ELNS1_3gpuE4ELNS1_3repE0EEENS1_30default_config_static_selectorELNS0_4arch9wavefront6targetE1EEEvT1_: ; @_ZN7rocprim17ROCPRIM_400000_NS6detail17trampoline_kernelINS0_14default_configENS1_20scan_config_selectorIiEEZZNS1_9scan_implILNS1_25lookback_scan_determinismE0ELb1ELb1ES3_N6thrust23THRUST_200600_302600_NS6detail15normal_iteratorINS9_10device_ptrIiEEEESE_iNS9_4plusIiEEiEEDaPvRmT3_T4_T5_mT6_P12ihipStream_tbENKUlT_T0_E_clISt17integral_constantIbLb0EESU_EEDaSP_SQ_EUlSP_E_NS1_11comp_targetILNS1_3genE10ELNS1_11target_archE1200ELNS1_3gpuE4ELNS1_3repE0EEENS1_30default_config_static_selectorELNS0_4arch9wavefront6targetE1EEEvT1_
; %bb.0:
	.section	.rodata,"a",@progbits
	.p2align	6, 0x0
	.amdhsa_kernel _ZN7rocprim17ROCPRIM_400000_NS6detail17trampoline_kernelINS0_14default_configENS1_20scan_config_selectorIiEEZZNS1_9scan_implILNS1_25lookback_scan_determinismE0ELb1ELb1ES3_N6thrust23THRUST_200600_302600_NS6detail15normal_iteratorINS9_10device_ptrIiEEEESE_iNS9_4plusIiEEiEEDaPvRmT3_T4_T5_mT6_P12ihipStream_tbENKUlT_T0_E_clISt17integral_constantIbLb0EESU_EEDaSP_SQ_EUlSP_E_NS1_11comp_targetILNS1_3genE10ELNS1_11target_archE1200ELNS1_3gpuE4ELNS1_3repE0EEENS1_30default_config_static_selectorELNS0_4arch9wavefront6targetE1EEEvT1_
		.amdhsa_group_segment_fixed_size 0
		.amdhsa_private_segment_fixed_size 0
		.amdhsa_kernarg_size 96
		.amdhsa_user_sgpr_count 6
		.amdhsa_user_sgpr_private_segment_buffer 1
		.amdhsa_user_sgpr_dispatch_ptr 0
		.amdhsa_user_sgpr_queue_ptr 0
		.amdhsa_user_sgpr_kernarg_segment_ptr 1
		.amdhsa_user_sgpr_dispatch_id 0
		.amdhsa_user_sgpr_flat_scratch_init 0
		.amdhsa_user_sgpr_kernarg_preload_length 0
		.amdhsa_user_sgpr_kernarg_preload_offset 0
		.amdhsa_user_sgpr_private_segment_size 0
		.amdhsa_uses_dynamic_stack 0
		.amdhsa_system_sgpr_private_segment_wavefront_offset 0
		.amdhsa_system_sgpr_workgroup_id_x 1
		.amdhsa_system_sgpr_workgroup_id_y 0
		.amdhsa_system_sgpr_workgroup_id_z 0
		.amdhsa_system_sgpr_workgroup_info 0
		.amdhsa_system_vgpr_workitem_id 0
		.amdhsa_next_free_vgpr 1
		.amdhsa_next_free_sgpr 0
		.amdhsa_accum_offset 4
		.amdhsa_reserve_vcc 0
		.amdhsa_reserve_flat_scratch 0
		.amdhsa_float_round_mode_32 0
		.amdhsa_float_round_mode_16_64 0
		.amdhsa_float_denorm_mode_32 3
		.amdhsa_float_denorm_mode_16_64 3
		.amdhsa_dx10_clamp 1
		.amdhsa_ieee_mode 1
		.amdhsa_fp16_overflow 0
		.amdhsa_tg_split 0
		.amdhsa_exception_fp_ieee_invalid_op 0
		.amdhsa_exception_fp_denorm_src 0
		.amdhsa_exception_fp_ieee_div_zero 0
		.amdhsa_exception_fp_ieee_overflow 0
		.amdhsa_exception_fp_ieee_underflow 0
		.amdhsa_exception_fp_ieee_inexact 0
		.amdhsa_exception_int_div_zero 0
	.end_amdhsa_kernel
	.section	.text._ZN7rocprim17ROCPRIM_400000_NS6detail17trampoline_kernelINS0_14default_configENS1_20scan_config_selectorIiEEZZNS1_9scan_implILNS1_25lookback_scan_determinismE0ELb1ELb1ES3_N6thrust23THRUST_200600_302600_NS6detail15normal_iteratorINS9_10device_ptrIiEEEESE_iNS9_4plusIiEEiEEDaPvRmT3_T4_T5_mT6_P12ihipStream_tbENKUlT_T0_E_clISt17integral_constantIbLb0EESU_EEDaSP_SQ_EUlSP_E_NS1_11comp_targetILNS1_3genE10ELNS1_11target_archE1200ELNS1_3gpuE4ELNS1_3repE0EEENS1_30default_config_static_selectorELNS0_4arch9wavefront6targetE1EEEvT1_,"axG",@progbits,_ZN7rocprim17ROCPRIM_400000_NS6detail17trampoline_kernelINS0_14default_configENS1_20scan_config_selectorIiEEZZNS1_9scan_implILNS1_25lookback_scan_determinismE0ELb1ELb1ES3_N6thrust23THRUST_200600_302600_NS6detail15normal_iteratorINS9_10device_ptrIiEEEESE_iNS9_4plusIiEEiEEDaPvRmT3_T4_T5_mT6_P12ihipStream_tbENKUlT_T0_E_clISt17integral_constantIbLb0EESU_EEDaSP_SQ_EUlSP_E_NS1_11comp_targetILNS1_3genE10ELNS1_11target_archE1200ELNS1_3gpuE4ELNS1_3repE0EEENS1_30default_config_static_selectorELNS0_4arch9wavefront6targetE1EEEvT1_,comdat
.Lfunc_end666:
	.size	_ZN7rocprim17ROCPRIM_400000_NS6detail17trampoline_kernelINS0_14default_configENS1_20scan_config_selectorIiEEZZNS1_9scan_implILNS1_25lookback_scan_determinismE0ELb1ELb1ES3_N6thrust23THRUST_200600_302600_NS6detail15normal_iteratorINS9_10device_ptrIiEEEESE_iNS9_4plusIiEEiEEDaPvRmT3_T4_T5_mT6_P12ihipStream_tbENKUlT_T0_E_clISt17integral_constantIbLb0EESU_EEDaSP_SQ_EUlSP_E_NS1_11comp_targetILNS1_3genE10ELNS1_11target_archE1200ELNS1_3gpuE4ELNS1_3repE0EEENS1_30default_config_static_selectorELNS0_4arch9wavefront6targetE1EEEvT1_, .Lfunc_end666-_ZN7rocprim17ROCPRIM_400000_NS6detail17trampoline_kernelINS0_14default_configENS1_20scan_config_selectorIiEEZZNS1_9scan_implILNS1_25lookback_scan_determinismE0ELb1ELb1ES3_N6thrust23THRUST_200600_302600_NS6detail15normal_iteratorINS9_10device_ptrIiEEEESE_iNS9_4plusIiEEiEEDaPvRmT3_T4_T5_mT6_P12ihipStream_tbENKUlT_T0_E_clISt17integral_constantIbLb0EESU_EEDaSP_SQ_EUlSP_E_NS1_11comp_targetILNS1_3genE10ELNS1_11target_archE1200ELNS1_3gpuE4ELNS1_3repE0EEENS1_30default_config_static_selectorELNS0_4arch9wavefront6targetE1EEEvT1_
                                        ; -- End function
	.section	.AMDGPU.csdata,"",@progbits
; Kernel info:
; codeLenInByte = 0
; NumSgprs: 4
; NumVgprs: 0
; NumAgprs: 0
; TotalNumVgprs: 0
; ScratchSize: 0
; MemoryBound: 0
; FloatMode: 240
; IeeeMode: 1
; LDSByteSize: 0 bytes/workgroup (compile time only)
; SGPRBlocks: 0
; VGPRBlocks: 0
; NumSGPRsForWavesPerEU: 4
; NumVGPRsForWavesPerEU: 1
; AccumOffset: 4
; Occupancy: 8
; WaveLimiterHint : 0
; COMPUTE_PGM_RSRC2:SCRATCH_EN: 0
; COMPUTE_PGM_RSRC2:USER_SGPR: 6
; COMPUTE_PGM_RSRC2:TRAP_HANDLER: 0
; COMPUTE_PGM_RSRC2:TGID_X_EN: 1
; COMPUTE_PGM_RSRC2:TGID_Y_EN: 0
; COMPUTE_PGM_RSRC2:TGID_Z_EN: 0
; COMPUTE_PGM_RSRC2:TIDIG_COMP_CNT: 0
; COMPUTE_PGM_RSRC3_GFX90A:ACCUM_OFFSET: 0
; COMPUTE_PGM_RSRC3_GFX90A:TG_SPLIT: 0
	.section	.text._ZN7rocprim17ROCPRIM_400000_NS6detail17trampoline_kernelINS0_14default_configENS1_20scan_config_selectorIiEEZZNS1_9scan_implILNS1_25lookback_scan_determinismE0ELb1ELb1ES3_N6thrust23THRUST_200600_302600_NS6detail15normal_iteratorINS9_10device_ptrIiEEEESE_iNS9_4plusIiEEiEEDaPvRmT3_T4_T5_mT6_P12ihipStream_tbENKUlT_T0_E_clISt17integral_constantIbLb0EESU_EEDaSP_SQ_EUlSP_E_NS1_11comp_targetILNS1_3genE9ELNS1_11target_archE1100ELNS1_3gpuE3ELNS1_3repE0EEENS1_30default_config_static_selectorELNS0_4arch9wavefront6targetE1EEEvT1_,"axG",@progbits,_ZN7rocprim17ROCPRIM_400000_NS6detail17trampoline_kernelINS0_14default_configENS1_20scan_config_selectorIiEEZZNS1_9scan_implILNS1_25lookback_scan_determinismE0ELb1ELb1ES3_N6thrust23THRUST_200600_302600_NS6detail15normal_iteratorINS9_10device_ptrIiEEEESE_iNS9_4plusIiEEiEEDaPvRmT3_T4_T5_mT6_P12ihipStream_tbENKUlT_T0_E_clISt17integral_constantIbLb0EESU_EEDaSP_SQ_EUlSP_E_NS1_11comp_targetILNS1_3genE9ELNS1_11target_archE1100ELNS1_3gpuE3ELNS1_3repE0EEENS1_30default_config_static_selectorELNS0_4arch9wavefront6targetE1EEEvT1_,comdat
	.protected	_ZN7rocprim17ROCPRIM_400000_NS6detail17trampoline_kernelINS0_14default_configENS1_20scan_config_selectorIiEEZZNS1_9scan_implILNS1_25lookback_scan_determinismE0ELb1ELb1ES3_N6thrust23THRUST_200600_302600_NS6detail15normal_iteratorINS9_10device_ptrIiEEEESE_iNS9_4plusIiEEiEEDaPvRmT3_T4_T5_mT6_P12ihipStream_tbENKUlT_T0_E_clISt17integral_constantIbLb0EESU_EEDaSP_SQ_EUlSP_E_NS1_11comp_targetILNS1_3genE9ELNS1_11target_archE1100ELNS1_3gpuE3ELNS1_3repE0EEENS1_30default_config_static_selectorELNS0_4arch9wavefront6targetE1EEEvT1_ ; -- Begin function _ZN7rocprim17ROCPRIM_400000_NS6detail17trampoline_kernelINS0_14default_configENS1_20scan_config_selectorIiEEZZNS1_9scan_implILNS1_25lookback_scan_determinismE0ELb1ELb1ES3_N6thrust23THRUST_200600_302600_NS6detail15normal_iteratorINS9_10device_ptrIiEEEESE_iNS9_4plusIiEEiEEDaPvRmT3_T4_T5_mT6_P12ihipStream_tbENKUlT_T0_E_clISt17integral_constantIbLb0EESU_EEDaSP_SQ_EUlSP_E_NS1_11comp_targetILNS1_3genE9ELNS1_11target_archE1100ELNS1_3gpuE3ELNS1_3repE0EEENS1_30default_config_static_selectorELNS0_4arch9wavefront6targetE1EEEvT1_
	.globl	_ZN7rocprim17ROCPRIM_400000_NS6detail17trampoline_kernelINS0_14default_configENS1_20scan_config_selectorIiEEZZNS1_9scan_implILNS1_25lookback_scan_determinismE0ELb1ELb1ES3_N6thrust23THRUST_200600_302600_NS6detail15normal_iteratorINS9_10device_ptrIiEEEESE_iNS9_4plusIiEEiEEDaPvRmT3_T4_T5_mT6_P12ihipStream_tbENKUlT_T0_E_clISt17integral_constantIbLb0EESU_EEDaSP_SQ_EUlSP_E_NS1_11comp_targetILNS1_3genE9ELNS1_11target_archE1100ELNS1_3gpuE3ELNS1_3repE0EEENS1_30default_config_static_selectorELNS0_4arch9wavefront6targetE1EEEvT1_
	.p2align	8
	.type	_ZN7rocprim17ROCPRIM_400000_NS6detail17trampoline_kernelINS0_14default_configENS1_20scan_config_selectorIiEEZZNS1_9scan_implILNS1_25lookback_scan_determinismE0ELb1ELb1ES3_N6thrust23THRUST_200600_302600_NS6detail15normal_iteratorINS9_10device_ptrIiEEEESE_iNS9_4plusIiEEiEEDaPvRmT3_T4_T5_mT6_P12ihipStream_tbENKUlT_T0_E_clISt17integral_constantIbLb0EESU_EEDaSP_SQ_EUlSP_E_NS1_11comp_targetILNS1_3genE9ELNS1_11target_archE1100ELNS1_3gpuE3ELNS1_3repE0EEENS1_30default_config_static_selectorELNS0_4arch9wavefront6targetE1EEEvT1_,@function
_ZN7rocprim17ROCPRIM_400000_NS6detail17trampoline_kernelINS0_14default_configENS1_20scan_config_selectorIiEEZZNS1_9scan_implILNS1_25lookback_scan_determinismE0ELb1ELb1ES3_N6thrust23THRUST_200600_302600_NS6detail15normal_iteratorINS9_10device_ptrIiEEEESE_iNS9_4plusIiEEiEEDaPvRmT3_T4_T5_mT6_P12ihipStream_tbENKUlT_T0_E_clISt17integral_constantIbLb0EESU_EEDaSP_SQ_EUlSP_E_NS1_11comp_targetILNS1_3genE9ELNS1_11target_archE1100ELNS1_3gpuE3ELNS1_3repE0EEENS1_30default_config_static_selectorELNS0_4arch9wavefront6targetE1EEEvT1_: ; @_ZN7rocprim17ROCPRIM_400000_NS6detail17trampoline_kernelINS0_14default_configENS1_20scan_config_selectorIiEEZZNS1_9scan_implILNS1_25lookback_scan_determinismE0ELb1ELb1ES3_N6thrust23THRUST_200600_302600_NS6detail15normal_iteratorINS9_10device_ptrIiEEEESE_iNS9_4plusIiEEiEEDaPvRmT3_T4_T5_mT6_P12ihipStream_tbENKUlT_T0_E_clISt17integral_constantIbLb0EESU_EEDaSP_SQ_EUlSP_E_NS1_11comp_targetILNS1_3genE9ELNS1_11target_archE1100ELNS1_3gpuE3ELNS1_3repE0EEENS1_30default_config_static_selectorELNS0_4arch9wavefront6targetE1EEEvT1_
; %bb.0:
	.section	.rodata,"a",@progbits
	.p2align	6, 0x0
	.amdhsa_kernel _ZN7rocprim17ROCPRIM_400000_NS6detail17trampoline_kernelINS0_14default_configENS1_20scan_config_selectorIiEEZZNS1_9scan_implILNS1_25lookback_scan_determinismE0ELb1ELb1ES3_N6thrust23THRUST_200600_302600_NS6detail15normal_iteratorINS9_10device_ptrIiEEEESE_iNS9_4plusIiEEiEEDaPvRmT3_T4_T5_mT6_P12ihipStream_tbENKUlT_T0_E_clISt17integral_constantIbLb0EESU_EEDaSP_SQ_EUlSP_E_NS1_11comp_targetILNS1_3genE9ELNS1_11target_archE1100ELNS1_3gpuE3ELNS1_3repE0EEENS1_30default_config_static_selectorELNS0_4arch9wavefront6targetE1EEEvT1_
		.amdhsa_group_segment_fixed_size 0
		.amdhsa_private_segment_fixed_size 0
		.amdhsa_kernarg_size 96
		.amdhsa_user_sgpr_count 6
		.amdhsa_user_sgpr_private_segment_buffer 1
		.amdhsa_user_sgpr_dispatch_ptr 0
		.amdhsa_user_sgpr_queue_ptr 0
		.amdhsa_user_sgpr_kernarg_segment_ptr 1
		.amdhsa_user_sgpr_dispatch_id 0
		.amdhsa_user_sgpr_flat_scratch_init 0
		.amdhsa_user_sgpr_kernarg_preload_length 0
		.amdhsa_user_sgpr_kernarg_preload_offset 0
		.amdhsa_user_sgpr_private_segment_size 0
		.amdhsa_uses_dynamic_stack 0
		.amdhsa_system_sgpr_private_segment_wavefront_offset 0
		.amdhsa_system_sgpr_workgroup_id_x 1
		.amdhsa_system_sgpr_workgroup_id_y 0
		.amdhsa_system_sgpr_workgroup_id_z 0
		.amdhsa_system_sgpr_workgroup_info 0
		.amdhsa_system_vgpr_workitem_id 0
		.amdhsa_next_free_vgpr 1
		.amdhsa_next_free_sgpr 0
		.amdhsa_accum_offset 4
		.amdhsa_reserve_vcc 0
		.amdhsa_reserve_flat_scratch 0
		.amdhsa_float_round_mode_32 0
		.amdhsa_float_round_mode_16_64 0
		.amdhsa_float_denorm_mode_32 3
		.amdhsa_float_denorm_mode_16_64 3
		.amdhsa_dx10_clamp 1
		.amdhsa_ieee_mode 1
		.amdhsa_fp16_overflow 0
		.amdhsa_tg_split 0
		.amdhsa_exception_fp_ieee_invalid_op 0
		.amdhsa_exception_fp_denorm_src 0
		.amdhsa_exception_fp_ieee_div_zero 0
		.amdhsa_exception_fp_ieee_overflow 0
		.amdhsa_exception_fp_ieee_underflow 0
		.amdhsa_exception_fp_ieee_inexact 0
		.amdhsa_exception_int_div_zero 0
	.end_amdhsa_kernel
	.section	.text._ZN7rocprim17ROCPRIM_400000_NS6detail17trampoline_kernelINS0_14default_configENS1_20scan_config_selectorIiEEZZNS1_9scan_implILNS1_25lookback_scan_determinismE0ELb1ELb1ES3_N6thrust23THRUST_200600_302600_NS6detail15normal_iteratorINS9_10device_ptrIiEEEESE_iNS9_4plusIiEEiEEDaPvRmT3_T4_T5_mT6_P12ihipStream_tbENKUlT_T0_E_clISt17integral_constantIbLb0EESU_EEDaSP_SQ_EUlSP_E_NS1_11comp_targetILNS1_3genE9ELNS1_11target_archE1100ELNS1_3gpuE3ELNS1_3repE0EEENS1_30default_config_static_selectorELNS0_4arch9wavefront6targetE1EEEvT1_,"axG",@progbits,_ZN7rocprim17ROCPRIM_400000_NS6detail17trampoline_kernelINS0_14default_configENS1_20scan_config_selectorIiEEZZNS1_9scan_implILNS1_25lookback_scan_determinismE0ELb1ELb1ES3_N6thrust23THRUST_200600_302600_NS6detail15normal_iteratorINS9_10device_ptrIiEEEESE_iNS9_4plusIiEEiEEDaPvRmT3_T4_T5_mT6_P12ihipStream_tbENKUlT_T0_E_clISt17integral_constantIbLb0EESU_EEDaSP_SQ_EUlSP_E_NS1_11comp_targetILNS1_3genE9ELNS1_11target_archE1100ELNS1_3gpuE3ELNS1_3repE0EEENS1_30default_config_static_selectorELNS0_4arch9wavefront6targetE1EEEvT1_,comdat
.Lfunc_end667:
	.size	_ZN7rocprim17ROCPRIM_400000_NS6detail17trampoline_kernelINS0_14default_configENS1_20scan_config_selectorIiEEZZNS1_9scan_implILNS1_25lookback_scan_determinismE0ELb1ELb1ES3_N6thrust23THRUST_200600_302600_NS6detail15normal_iteratorINS9_10device_ptrIiEEEESE_iNS9_4plusIiEEiEEDaPvRmT3_T4_T5_mT6_P12ihipStream_tbENKUlT_T0_E_clISt17integral_constantIbLb0EESU_EEDaSP_SQ_EUlSP_E_NS1_11comp_targetILNS1_3genE9ELNS1_11target_archE1100ELNS1_3gpuE3ELNS1_3repE0EEENS1_30default_config_static_selectorELNS0_4arch9wavefront6targetE1EEEvT1_, .Lfunc_end667-_ZN7rocprim17ROCPRIM_400000_NS6detail17trampoline_kernelINS0_14default_configENS1_20scan_config_selectorIiEEZZNS1_9scan_implILNS1_25lookback_scan_determinismE0ELb1ELb1ES3_N6thrust23THRUST_200600_302600_NS6detail15normal_iteratorINS9_10device_ptrIiEEEESE_iNS9_4plusIiEEiEEDaPvRmT3_T4_T5_mT6_P12ihipStream_tbENKUlT_T0_E_clISt17integral_constantIbLb0EESU_EEDaSP_SQ_EUlSP_E_NS1_11comp_targetILNS1_3genE9ELNS1_11target_archE1100ELNS1_3gpuE3ELNS1_3repE0EEENS1_30default_config_static_selectorELNS0_4arch9wavefront6targetE1EEEvT1_
                                        ; -- End function
	.section	.AMDGPU.csdata,"",@progbits
; Kernel info:
; codeLenInByte = 0
; NumSgprs: 4
; NumVgprs: 0
; NumAgprs: 0
; TotalNumVgprs: 0
; ScratchSize: 0
; MemoryBound: 0
; FloatMode: 240
; IeeeMode: 1
; LDSByteSize: 0 bytes/workgroup (compile time only)
; SGPRBlocks: 0
; VGPRBlocks: 0
; NumSGPRsForWavesPerEU: 4
; NumVGPRsForWavesPerEU: 1
; AccumOffset: 4
; Occupancy: 8
; WaveLimiterHint : 0
; COMPUTE_PGM_RSRC2:SCRATCH_EN: 0
; COMPUTE_PGM_RSRC2:USER_SGPR: 6
; COMPUTE_PGM_RSRC2:TRAP_HANDLER: 0
; COMPUTE_PGM_RSRC2:TGID_X_EN: 1
; COMPUTE_PGM_RSRC2:TGID_Y_EN: 0
; COMPUTE_PGM_RSRC2:TGID_Z_EN: 0
; COMPUTE_PGM_RSRC2:TIDIG_COMP_CNT: 0
; COMPUTE_PGM_RSRC3_GFX90A:ACCUM_OFFSET: 0
; COMPUTE_PGM_RSRC3_GFX90A:TG_SPLIT: 0
	.section	.text._ZN7rocprim17ROCPRIM_400000_NS6detail17trampoline_kernelINS0_14default_configENS1_20scan_config_selectorIiEEZZNS1_9scan_implILNS1_25lookback_scan_determinismE0ELb1ELb1ES3_N6thrust23THRUST_200600_302600_NS6detail15normal_iteratorINS9_10device_ptrIiEEEESE_iNS9_4plusIiEEiEEDaPvRmT3_T4_T5_mT6_P12ihipStream_tbENKUlT_T0_E_clISt17integral_constantIbLb0EESU_EEDaSP_SQ_EUlSP_E_NS1_11comp_targetILNS1_3genE8ELNS1_11target_archE1030ELNS1_3gpuE2ELNS1_3repE0EEENS1_30default_config_static_selectorELNS0_4arch9wavefront6targetE1EEEvT1_,"axG",@progbits,_ZN7rocprim17ROCPRIM_400000_NS6detail17trampoline_kernelINS0_14default_configENS1_20scan_config_selectorIiEEZZNS1_9scan_implILNS1_25lookback_scan_determinismE0ELb1ELb1ES3_N6thrust23THRUST_200600_302600_NS6detail15normal_iteratorINS9_10device_ptrIiEEEESE_iNS9_4plusIiEEiEEDaPvRmT3_T4_T5_mT6_P12ihipStream_tbENKUlT_T0_E_clISt17integral_constantIbLb0EESU_EEDaSP_SQ_EUlSP_E_NS1_11comp_targetILNS1_3genE8ELNS1_11target_archE1030ELNS1_3gpuE2ELNS1_3repE0EEENS1_30default_config_static_selectorELNS0_4arch9wavefront6targetE1EEEvT1_,comdat
	.protected	_ZN7rocprim17ROCPRIM_400000_NS6detail17trampoline_kernelINS0_14default_configENS1_20scan_config_selectorIiEEZZNS1_9scan_implILNS1_25lookback_scan_determinismE0ELb1ELb1ES3_N6thrust23THRUST_200600_302600_NS6detail15normal_iteratorINS9_10device_ptrIiEEEESE_iNS9_4plusIiEEiEEDaPvRmT3_T4_T5_mT6_P12ihipStream_tbENKUlT_T0_E_clISt17integral_constantIbLb0EESU_EEDaSP_SQ_EUlSP_E_NS1_11comp_targetILNS1_3genE8ELNS1_11target_archE1030ELNS1_3gpuE2ELNS1_3repE0EEENS1_30default_config_static_selectorELNS0_4arch9wavefront6targetE1EEEvT1_ ; -- Begin function _ZN7rocprim17ROCPRIM_400000_NS6detail17trampoline_kernelINS0_14default_configENS1_20scan_config_selectorIiEEZZNS1_9scan_implILNS1_25lookback_scan_determinismE0ELb1ELb1ES3_N6thrust23THRUST_200600_302600_NS6detail15normal_iteratorINS9_10device_ptrIiEEEESE_iNS9_4plusIiEEiEEDaPvRmT3_T4_T5_mT6_P12ihipStream_tbENKUlT_T0_E_clISt17integral_constantIbLb0EESU_EEDaSP_SQ_EUlSP_E_NS1_11comp_targetILNS1_3genE8ELNS1_11target_archE1030ELNS1_3gpuE2ELNS1_3repE0EEENS1_30default_config_static_selectorELNS0_4arch9wavefront6targetE1EEEvT1_
	.globl	_ZN7rocprim17ROCPRIM_400000_NS6detail17trampoline_kernelINS0_14default_configENS1_20scan_config_selectorIiEEZZNS1_9scan_implILNS1_25lookback_scan_determinismE0ELb1ELb1ES3_N6thrust23THRUST_200600_302600_NS6detail15normal_iteratorINS9_10device_ptrIiEEEESE_iNS9_4plusIiEEiEEDaPvRmT3_T4_T5_mT6_P12ihipStream_tbENKUlT_T0_E_clISt17integral_constantIbLb0EESU_EEDaSP_SQ_EUlSP_E_NS1_11comp_targetILNS1_3genE8ELNS1_11target_archE1030ELNS1_3gpuE2ELNS1_3repE0EEENS1_30default_config_static_selectorELNS0_4arch9wavefront6targetE1EEEvT1_
	.p2align	8
	.type	_ZN7rocprim17ROCPRIM_400000_NS6detail17trampoline_kernelINS0_14default_configENS1_20scan_config_selectorIiEEZZNS1_9scan_implILNS1_25lookback_scan_determinismE0ELb1ELb1ES3_N6thrust23THRUST_200600_302600_NS6detail15normal_iteratorINS9_10device_ptrIiEEEESE_iNS9_4plusIiEEiEEDaPvRmT3_T4_T5_mT6_P12ihipStream_tbENKUlT_T0_E_clISt17integral_constantIbLb0EESU_EEDaSP_SQ_EUlSP_E_NS1_11comp_targetILNS1_3genE8ELNS1_11target_archE1030ELNS1_3gpuE2ELNS1_3repE0EEENS1_30default_config_static_selectorELNS0_4arch9wavefront6targetE1EEEvT1_,@function
_ZN7rocprim17ROCPRIM_400000_NS6detail17trampoline_kernelINS0_14default_configENS1_20scan_config_selectorIiEEZZNS1_9scan_implILNS1_25lookback_scan_determinismE0ELb1ELb1ES3_N6thrust23THRUST_200600_302600_NS6detail15normal_iteratorINS9_10device_ptrIiEEEESE_iNS9_4plusIiEEiEEDaPvRmT3_T4_T5_mT6_P12ihipStream_tbENKUlT_T0_E_clISt17integral_constantIbLb0EESU_EEDaSP_SQ_EUlSP_E_NS1_11comp_targetILNS1_3genE8ELNS1_11target_archE1030ELNS1_3gpuE2ELNS1_3repE0EEENS1_30default_config_static_selectorELNS0_4arch9wavefront6targetE1EEEvT1_: ; @_ZN7rocprim17ROCPRIM_400000_NS6detail17trampoline_kernelINS0_14default_configENS1_20scan_config_selectorIiEEZZNS1_9scan_implILNS1_25lookback_scan_determinismE0ELb1ELb1ES3_N6thrust23THRUST_200600_302600_NS6detail15normal_iteratorINS9_10device_ptrIiEEEESE_iNS9_4plusIiEEiEEDaPvRmT3_T4_T5_mT6_P12ihipStream_tbENKUlT_T0_E_clISt17integral_constantIbLb0EESU_EEDaSP_SQ_EUlSP_E_NS1_11comp_targetILNS1_3genE8ELNS1_11target_archE1030ELNS1_3gpuE2ELNS1_3repE0EEENS1_30default_config_static_selectorELNS0_4arch9wavefront6targetE1EEEvT1_
; %bb.0:
	.section	.rodata,"a",@progbits
	.p2align	6, 0x0
	.amdhsa_kernel _ZN7rocprim17ROCPRIM_400000_NS6detail17trampoline_kernelINS0_14default_configENS1_20scan_config_selectorIiEEZZNS1_9scan_implILNS1_25lookback_scan_determinismE0ELb1ELb1ES3_N6thrust23THRUST_200600_302600_NS6detail15normal_iteratorINS9_10device_ptrIiEEEESE_iNS9_4plusIiEEiEEDaPvRmT3_T4_T5_mT6_P12ihipStream_tbENKUlT_T0_E_clISt17integral_constantIbLb0EESU_EEDaSP_SQ_EUlSP_E_NS1_11comp_targetILNS1_3genE8ELNS1_11target_archE1030ELNS1_3gpuE2ELNS1_3repE0EEENS1_30default_config_static_selectorELNS0_4arch9wavefront6targetE1EEEvT1_
		.amdhsa_group_segment_fixed_size 0
		.amdhsa_private_segment_fixed_size 0
		.amdhsa_kernarg_size 96
		.amdhsa_user_sgpr_count 6
		.amdhsa_user_sgpr_private_segment_buffer 1
		.amdhsa_user_sgpr_dispatch_ptr 0
		.amdhsa_user_sgpr_queue_ptr 0
		.amdhsa_user_sgpr_kernarg_segment_ptr 1
		.amdhsa_user_sgpr_dispatch_id 0
		.amdhsa_user_sgpr_flat_scratch_init 0
		.amdhsa_user_sgpr_kernarg_preload_length 0
		.amdhsa_user_sgpr_kernarg_preload_offset 0
		.amdhsa_user_sgpr_private_segment_size 0
		.amdhsa_uses_dynamic_stack 0
		.amdhsa_system_sgpr_private_segment_wavefront_offset 0
		.amdhsa_system_sgpr_workgroup_id_x 1
		.amdhsa_system_sgpr_workgroup_id_y 0
		.amdhsa_system_sgpr_workgroup_id_z 0
		.amdhsa_system_sgpr_workgroup_info 0
		.amdhsa_system_vgpr_workitem_id 0
		.amdhsa_next_free_vgpr 1
		.amdhsa_next_free_sgpr 0
		.amdhsa_accum_offset 4
		.amdhsa_reserve_vcc 0
		.amdhsa_reserve_flat_scratch 0
		.amdhsa_float_round_mode_32 0
		.amdhsa_float_round_mode_16_64 0
		.amdhsa_float_denorm_mode_32 3
		.amdhsa_float_denorm_mode_16_64 3
		.amdhsa_dx10_clamp 1
		.amdhsa_ieee_mode 1
		.amdhsa_fp16_overflow 0
		.amdhsa_tg_split 0
		.amdhsa_exception_fp_ieee_invalid_op 0
		.amdhsa_exception_fp_denorm_src 0
		.amdhsa_exception_fp_ieee_div_zero 0
		.amdhsa_exception_fp_ieee_overflow 0
		.amdhsa_exception_fp_ieee_underflow 0
		.amdhsa_exception_fp_ieee_inexact 0
		.amdhsa_exception_int_div_zero 0
	.end_amdhsa_kernel
	.section	.text._ZN7rocprim17ROCPRIM_400000_NS6detail17trampoline_kernelINS0_14default_configENS1_20scan_config_selectorIiEEZZNS1_9scan_implILNS1_25lookback_scan_determinismE0ELb1ELb1ES3_N6thrust23THRUST_200600_302600_NS6detail15normal_iteratorINS9_10device_ptrIiEEEESE_iNS9_4plusIiEEiEEDaPvRmT3_T4_T5_mT6_P12ihipStream_tbENKUlT_T0_E_clISt17integral_constantIbLb0EESU_EEDaSP_SQ_EUlSP_E_NS1_11comp_targetILNS1_3genE8ELNS1_11target_archE1030ELNS1_3gpuE2ELNS1_3repE0EEENS1_30default_config_static_selectorELNS0_4arch9wavefront6targetE1EEEvT1_,"axG",@progbits,_ZN7rocprim17ROCPRIM_400000_NS6detail17trampoline_kernelINS0_14default_configENS1_20scan_config_selectorIiEEZZNS1_9scan_implILNS1_25lookback_scan_determinismE0ELb1ELb1ES3_N6thrust23THRUST_200600_302600_NS6detail15normal_iteratorINS9_10device_ptrIiEEEESE_iNS9_4plusIiEEiEEDaPvRmT3_T4_T5_mT6_P12ihipStream_tbENKUlT_T0_E_clISt17integral_constantIbLb0EESU_EEDaSP_SQ_EUlSP_E_NS1_11comp_targetILNS1_3genE8ELNS1_11target_archE1030ELNS1_3gpuE2ELNS1_3repE0EEENS1_30default_config_static_selectorELNS0_4arch9wavefront6targetE1EEEvT1_,comdat
.Lfunc_end668:
	.size	_ZN7rocprim17ROCPRIM_400000_NS6detail17trampoline_kernelINS0_14default_configENS1_20scan_config_selectorIiEEZZNS1_9scan_implILNS1_25lookback_scan_determinismE0ELb1ELb1ES3_N6thrust23THRUST_200600_302600_NS6detail15normal_iteratorINS9_10device_ptrIiEEEESE_iNS9_4plusIiEEiEEDaPvRmT3_T4_T5_mT6_P12ihipStream_tbENKUlT_T0_E_clISt17integral_constantIbLb0EESU_EEDaSP_SQ_EUlSP_E_NS1_11comp_targetILNS1_3genE8ELNS1_11target_archE1030ELNS1_3gpuE2ELNS1_3repE0EEENS1_30default_config_static_selectorELNS0_4arch9wavefront6targetE1EEEvT1_, .Lfunc_end668-_ZN7rocprim17ROCPRIM_400000_NS6detail17trampoline_kernelINS0_14default_configENS1_20scan_config_selectorIiEEZZNS1_9scan_implILNS1_25lookback_scan_determinismE0ELb1ELb1ES3_N6thrust23THRUST_200600_302600_NS6detail15normal_iteratorINS9_10device_ptrIiEEEESE_iNS9_4plusIiEEiEEDaPvRmT3_T4_T5_mT6_P12ihipStream_tbENKUlT_T0_E_clISt17integral_constantIbLb0EESU_EEDaSP_SQ_EUlSP_E_NS1_11comp_targetILNS1_3genE8ELNS1_11target_archE1030ELNS1_3gpuE2ELNS1_3repE0EEENS1_30default_config_static_selectorELNS0_4arch9wavefront6targetE1EEEvT1_
                                        ; -- End function
	.section	.AMDGPU.csdata,"",@progbits
; Kernel info:
; codeLenInByte = 0
; NumSgprs: 4
; NumVgprs: 0
; NumAgprs: 0
; TotalNumVgprs: 0
; ScratchSize: 0
; MemoryBound: 0
; FloatMode: 240
; IeeeMode: 1
; LDSByteSize: 0 bytes/workgroup (compile time only)
; SGPRBlocks: 0
; VGPRBlocks: 0
; NumSGPRsForWavesPerEU: 4
; NumVGPRsForWavesPerEU: 1
; AccumOffset: 4
; Occupancy: 8
; WaveLimiterHint : 0
; COMPUTE_PGM_RSRC2:SCRATCH_EN: 0
; COMPUTE_PGM_RSRC2:USER_SGPR: 6
; COMPUTE_PGM_RSRC2:TRAP_HANDLER: 0
; COMPUTE_PGM_RSRC2:TGID_X_EN: 1
; COMPUTE_PGM_RSRC2:TGID_Y_EN: 0
; COMPUTE_PGM_RSRC2:TGID_Z_EN: 0
; COMPUTE_PGM_RSRC2:TIDIG_COMP_CNT: 0
; COMPUTE_PGM_RSRC3_GFX90A:ACCUM_OFFSET: 0
; COMPUTE_PGM_RSRC3_GFX90A:TG_SPLIT: 0
	.section	.text._ZN7rocprim17ROCPRIM_400000_NS6detail17trampoline_kernelINS0_14default_configENS1_20scan_config_selectorIiEEZZNS1_9scan_implILNS1_25lookback_scan_determinismE0ELb1ELb1ES3_N6thrust23THRUST_200600_302600_NS6detail15normal_iteratorINS9_10device_ptrIiEEEESE_iNS9_4plusIiEEiEEDaPvRmT3_T4_T5_mT6_P12ihipStream_tbENKUlT_T0_E_clISt17integral_constantIbLb0EESU_EEDaSP_SQ_EUlSP_E0_NS1_11comp_targetILNS1_3genE0ELNS1_11target_archE4294967295ELNS1_3gpuE0ELNS1_3repE0EEENS1_30default_config_static_selectorELNS0_4arch9wavefront6targetE1EEEvT1_,"axG",@progbits,_ZN7rocprim17ROCPRIM_400000_NS6detail17trampoline_kernelINS0_14default_configENS1_20scan_config_selectorIiEEZZNS1_9scan_implILNS1_25lookback_scan_determinismE0ELb1ELb1ES3_N6thrust23THRUST_200600_302600_NS6detail15normal_iteratorINS9_10device_ptrIiEEEESE_iNS9_4plusIiEEiEEDaPvRmT3_T4_T5_mT6_P12ihipStream_tbENKUlT_T0_E_clISt17integral_constantIbLb0EESU_EEDaSP_SQ_EUlSP_E0_NS1_11comp_targetILNS1_3genE0ELNS1_11target_archE4294967295ELNS1_3gpuE0ELNS1_3repE0EEENS1_30default_config_static_selectorELNS0_4arch9wavefront6targetE1EEEvT1_,comdat
	.protected	_ZN7rocprim17ROCPRIM_400000_NS6detail17trampoline_kernelINS0_14default_configENS1_20scan_config_selectorIiEEZZNS1_9scan_implILNS1_25lookback_scan_determinismE0ELb1ELb1ES3_N6thrust23THRUST_200600_302600_NS6detail15normal_iteratorINS9_10device_ptrIiEEEESE_iNS9_4plusIiEEiEEDaPvRmT3_T4_T5_mT6_P12ihipStream_tbENKUlT_T0_E_clISt17integral_constantIbLb0EESU_EEDaSP_SQ_EUlSP_E0_NS1_11comp_targetILNS1_3genE0ELNS1_11target_archE4294967295ELNS1_3gpuE0ELNS1_3repE0EEENS1_30default_config_static_selectorELNS0_4arch9wavefront6targetE1EEEvT1_ ; -- Begin function _ZN7rocprim17ROCPRIM_400000_NS6detail17trampoline_kernelINS0_14default_configENS1_20scan_config_selectorIiEEZZNS1_9scan_implILNS1_25lookback_scan_determinismE0ELb1ELb1ES3_N6thrust23THRUST_200600_302600_NS6detail15normal_iteratorINS9_10device_ptrIiEEEESE_iNS9_4plusIiEEiEEDaPvRmT3_T4_T5_mT6_P12ihipStream_tbENKUlT_T0_E_clISt17integral_constantIbLb0EESU_EEDaSP_SQ_EUlSP_E0_NS1_11comp_targetILNS1_3genE0ELNS1_11target_archE4294967295ELNS1_3gpuE0ELNS1_3repE0EEENS1_30default_config_static_selectorELNS0_4arch9wavefront6targetE1EEEvT1_
	.globl	_ZN7rocprim17ROCPRIM_400000_NS6detail17trampoline_kernelINS0_14default_configENS1_20scan_config_selectorIiEEZZNS1_9scan_implILNS1_25lookback_scan_determinismE0ELb1ELb1ES3_N6thrust23THRUST_200600_302600_NS6detail15normal_iteratorINS9_10device_ptrIiEEEESE_iNS9_4plusIiEEiEEDaPvRmT3_T4_T5_mT6_P12ihipStream_tbENKUlT_T0_E_clISt17integral_constantIbLb0EESU_EEDaSP_SQ_EUlSP_E0_NS1_11comp_targetILNS1_3genE0ELNS1_11target_archE4294967295ELNS1_3gpuE0ELNS1_3repE0EEENS1_30default_config_static_selectorELNS0_4arch9wavefront6targetE1EEEvT1_
	.p2align	8
	.type	_ZN7rocprim17ROCPRIM_400000_NS6detail17trampoline_kernelINS0_14default_configENS1_20scan_config_selectorIiEEZZNS1_9scan_implILNS1_25lookback_scan_determinismE0ELb1ELb1ES3_N6thrust23THRUST_200600_302600_NS6detail15normal_iteratorINS9_10device_ptrIiEEEESE_iNS9_4plusIiEEiEEDaPvRmT3_T4_T5_mT6_P12ihipStream_tbENKUlT_T0_E_clISt17integral_constantIbLb0EESU_EEDaSP_SQ_EUlSP_E0_NS1_11comp_targetILNS1_3genE0ELNS1_11target_archE4294967295ELNS1_3gpuE0ELNS1_3repE0EEENS1_30default_config_static_selectorELNS0_4arch9wavefront6targetE1EEEvT1_,@function
_ZN7rocprim17ROCPRIM_400000_NS6detail17trampoline_kernelINS0_14default_configENS1_20scan_config_selectorIiEEZZNS1_9scan_implILNS1_25lookback_scan_determinismE0ELb1ELb1ES3_N6thrust23THRUST_200600_302600_NS6detail15normal_iteratorINS9_10device_ptrIiEEEESE_iNS9_4plusIiEEiEEDaPvRmT3_T4_T5_mT6_P12ihipStream_tbENKUlT_T0_E_clISt17integral_constantIbLb0EESU_EEDaSP_SQ_EUlSP_E0_NS1_11comp_targetILNS1_3genE0ELNS1_11target_archE4294967295ELNS1_3gpuE0ELNS1_3repE0EEENS1_30default_config_static_selectorELNS0_4arch9wavefront6targetE1EEEvT1_: ; @_ZN7rocprim17ROCPRIM_400000_NS6detail17trampoline_kernelINS0_14default_configENS1_20scan_config_selectorIiEEZZNS1_9scan_implILNS1_25lookback_scan_determinismE0ELb1ELb1ES3_N6thrust23THRUST_200600_302600_NS6detail15normal_iteratorINS9_10device_ptrIiEEEESE_iNS9_4plusIiEEiEEDaPvRmT3_T4_T5_mT6_P12ihipStream_tbENKUlT_T0_E_clISt17integral_constantIbLb0EESU_EEDaSP_SQ_EUlSP_E0_NS1_11comp_targetILNS1_3genE0ELNS1_11target_archE4294967295ELNS1_3gpuE0ELNS1_3repE0EEENS1_30default_config_static_selectorELNS0_4arch9wavefront6targetE1EEEvT1_
; %bb.0:
	.section	.rodata,"a",@progbits
	.p2align	6, 0x0
	.amdhsa_kernel _ZN7rocprim17ROCPRIM_400000_NS6detail17trampoline_kernelINS0_14default_configENS1_20scan_config_selectorIiEEZZNS1_9scan_implILNS1_25lookback_scan_determinismE0ELb1ELb1ES3_N6thrust23THRUST_200600_302600_NS6detail15normal_iteratorINS9_10device_ptrIiEEEESE_iNS9_4plusIiEEiEEDaPvRmT3_T4_T5_mT6_P12ihipStream_tbENKUlT_T0_E_clISt17integral_constantIbLb0EESU_EEDaSP_SQ_EUlSP_E0_NS1_11comp_targetILNS1_3genE0ELNS1_11target_archE4294967295ELNS1_3gpuE0ELNS1_3repE0EEENS1_30default_config_static_selectorELNS0_4arch9wavefront6targetE1EEEvT1_
		.amdhsa_group_segment_fixed_size 0
		.amdhsa_private_segment_fixed_size 0
		.amdhsa_kernarg_size 32
		.amdhsa_user_sgpr_count 6
		.amdhsa_user_sgpr_private_segment_buffer 1
		.amdhsa_user_sgpr_dispatch_ptr 0
		.amdhsa_user_sgpr_queue_ptr 0
		.amdhsa_user_sgpr_kernarg_segment_ptr 1
		.amdhsa_user_sgpr_dispatch_id 0
		.amdhsa_user_sgpr_flat_scratch_init 0
		.amdhsa_user_sgpr_kernarg_preload_length 0
		.amdhsa_user_sgpr_kernarg_preload_offset 0
		.amdhsa_user_sgpr_private_segment_size 0
		.amdhsa_uses_dynamic_stack 0
		.amdhsa_system_sgpr_private_segment_wavefront_offset 0
		.amdhsa_system_sgpr_workgroup_id_x 1
		.amdhsa_system_sgpr_workgroup_id_y 0
		.amdhsa_system_sgpr_workgroup_id_z 0
		.amdhsa_system_sgpr_workgroup_info 0
		.amdhsa_system_vgpr_workitem_id 0
		.amdhsa_next_free_vgpr 1
		.amdhsa_next_free_sgpr 0
		.amdhsa_accum_offset 4
		.amdhsa_reserve_vcc 0
		.amdhsa_reserve_flat_scratch 0
		.amdhsa_float_round_mode_32 0
		.amdhsa_float_round_mode_16_64 0
		.amdhsa_float_denorm_mode_32 3
		.amdhsa_float_denorm_mode_16_64 3
		.amdhsa_dx10_clamp 1
		.amdhsa_ieee_mode 1
		.amdhsa_fp16_overflow 0
		.amdhsa_tg_split 0
		.amdhsa_exception_fp_ieee_invalid_op 0
		.amdhsa_exception_fp_denorm_src 0
		.amdhsa_exception_fp_ieee_div_zero 0
		.amdhsa_exception_fp_ieee_overflow 0
		.amdhsa_exception_fp_ieee_underflow 0
		.amdhsa_exception_fp_ieee_inexact 0
		.amdhsa_exception_int_div_zero 0
	.end_amdhsa_kernel
	.section	.text._ZN7rocprim17ROCPRIM_400000_NS6detail17trampoline_kernelINS0_14default_configENS1_20scan_config_selectorIiEEZZNS1_9scan_implILNS1_25lookback_scan_determinismE0ELb1ELb1ES3_N6thrust23THRUST_200600_302600_NS6detail15normal_iteratorINS9_10device_ptrIiEEEESE_iNS9_4plusIiEEiEEDaPvRmT3_T4_T5_mT6_P12ihipStream_tbENKUlT_T0_E_clISt17integral_constantIbLb0EESU_EEDaSP_SQ_EUlSP_E0_NS1_11comp_targetILNS1_3genE0ELNS1_11target_archE4294967295ELNS1_3gpuE0ELNS1_3repE0EEENS1_30default_config_static_selectorELNS0_4arch9wavefront6targetE1EEEvT1_,"axG",@progbits,_ZN7rocprim17ROCPRIM_400000_NS6detail17trampoline_kernelINS0_14default_configENS1_20scan_config_selectorIiEEZZNS1_9scan_implILNS1_25lookback_scan_determinismE0ELb1ELb1ES3_N6thrust23THRUST_200600_302600_NS6detail15normal_iteratorINS9_10device_ptrIiEEEESE_iNS9_4plusIiEEiEEDaPvRmT3_T4_T5_mT6_P12ihipStream_tbENKUlT_T0_E_clISt17integral_constantIbLb0EESU_EEDaSP_SQ_EUlSP_E0_NS1_11comp_targetILNS1_3genE0ELNS1_11target_archE4294967295ELNS1_3gpuE0ELNS1_3repE0EEENS1_30default_config_static_selectorELNS0_4arch9wavefront6targetE1EEEvT1_,comdat
.Lfunc_end669:
	.size	_ZN7rocprim17ROCPRIM_400000_NS6detail17trampoline_kernelINS0_14default_configENS1_20scan_config_selectorIiEEZZNS1_9scan_implILNS1_25lookback_scan_determinismE0ELb1ELb1ES3_N6thrust23THRUST_200600_302600_NS6detail15normal_iteratorINS9_10device_ptrIiEEEESE_iNS9_4plusIiEEiEEDaPvRmT3_T4_T5_mT6_P12ihipStream_tbENKUlT_T0_E_clISt17integral_constantIbLb0EESU_EEDaSP_SQ_EUlSP_E0_NS1_11comp_targetILNS1_3genE0ELNS1_11target_archE4294967295ELNS1_3gpuE0ELNS1_3repE0EEENS1_30default_config_static_selectorELNS0_4arch9wavefront6targetE1EEEvT1_, .Lfunc_end669-_ZN7rocprim17ROCPRIM_400000_NS6detail17trampoline_kernelINS0_14default_configENS1_20scan_config_selectorIiEEZZNS1_9scan_implILNS1_25lookback_scan_determinismE0ELb1ELb1ES3_N6thrust23THRUST_200600_302600_NS6detail15normal_iteratorINS9_10device_ptrIiEEEESE_iNS9_4plusIiEEiEEDaPvRmT3_T4_T5_mT6_P12ihipStream_tbENKUlT_T0_E_clISt17integral_constantIbLb0EESU_EEDaSP_SQ_EUlSP_E0_NS1_11comp_targetILNS1_3genE0ELNS1_11target_archE4294967295ELNS1_3gpuE0ELNS1_3repE0EEENS1_30default_config_static_selectorELNS0_4arch9wavefront6targetE1EEEvT1_
                                        ; -- End function
	.section	.AMDGPU.csdata,"",@progbits
; Kernel info:
; codeLenInByte = 0
; NumSgprs: 4
; NumVgprs: 0
; NumAgprs: 0
; TotalNumVgprs: 0
; ScratchSize: 0
; MemoryBound: 0
; FloatMode: 240
; IeeeMode: 1
; LDSByteSize: 0 bytes/workgroup (compile time only)
; SGPRBlocks: 0
; VGPRBlocks: 0
; NumSGPRsForWavesPerEU: 4
; NumVGPRsForWavesPerEU: 1
; AccumOffset: 4
; Occupancy: 8
; WaveLimiterHint : 0
; COMPUTE_PGM_RSRC2:SCRATCH_EN: 0
; COMPUTE_PGM_RSRC2:USER_SGPR: 6
; COMPUTE_PGM_RSRC2:TRAP_HANDLER: 0
; COMPUTE_PGM_RSRC2:TGID_X_EN: 1
; COMPUTE_PGM_RSRC2:TGID_Y_EN: 0
; COMPUTE_PGM_RSRC2:TGID_Z_EN: 0
; COMPUTE_PGM_RSRC2:TIDIG_COMP_CNT: 0
; COMPUTE_PGM_RSRC3_GFX90A:ACCUM_OFFSET: 0
; COMPUTE_PGM_RSRC3_GFX90A:TG_SPLIT: 0
	.section	.text._ZN7rocprim17ROCPRIM_400000_NS6detail17trampoline_kernelINS0_14default_configENS1_20scan_config_selectorIiEEZZNS1_9scan_implILNS1_25lookback_scan_determinismE0ELb1ELb1ES3_N6thrust23THRUST_200600_302600_NS6detail15normal_iteratorINS9_10device_ptrIiEEEESE_iNS9_4plusIiEEiEEDaPvRmT3_T4_T5_mT6_P12ihipStream_tbENKUlT_T0_E_clISt17integral_constantIbLb0EESU_EEDaSP_SQ_EUlSP_E0_NS1_11comp_targetILNS1_3genE5ELNS1_11target_archE942ELNS1_3gpuE9ELNS1_3repE0EEENS1_30default_config_static_selectorELNS0_4arch9wavefront6targetE1EEEvT1_,"axG",@progbits,_ZN7rocprim17ROCPRIM_400000_NS6detail17trampoline_kernelINS0_14default_configENS1_20scan_config_selectorIiEEZZNS1_9scan_implILNS1_25lookback_scan_determinismE0ELb1ELb1ES3_N6thrust23THRUST_200600_302600_NS6detail15normal_iteratorINS9_10device_ptrIiEEEESE_iNS9_4plusIiEEiEEDaPvRmT3_T4_T5_mT6_P12ihipStream_tbENKUlT_T0_E_clISt17integral_constantIbLb0EESU_EEDaSP_SQ_EUlSP_E0_NS1_11comp_targetILNS1_3genE5ELNS1_11target_archE942ELNS1_3gpuE9ELNS1_3repE0EEENS1_30default_config_static_selectorELNS0_4arch9wavefront6targetE1EEEvT1_,comdat
	.protected	_ZN7rocprim17ROCPRIM_400000_NS6detail17trampoline_kernelINS0_14default_configENS1_20scan_config_selectorIiEEZZNS1_9scan_implILNS1_25lookback_scan_determinismE0ELb1ELb1ES3_N6thrust23THRUST_200600_302600_NS6detail15normal_iteratorINS9_10device_ptrIiEEEESE_iNS9_4plusIiEEiEEDaPvRmT3_T4_T5_mT6_P12ihipStream_tbENKUlT_T0_E_clISt17integral_constantIbLb0EESU_EEDaSP_SQ_EUlSP_E0_NS1_11comp_targetILNS1_3genE5ELNS1_11target_archE942ELNS1_3gpuE9ELNS1_3repE0EEENS1_30default_config_static_selectorELNS0_4arch9wavefront6targetE1EEEvT1_ ; -- Begin function _ZN7rocprim17ROCPRIM_400000_NS6detail17trampoline_kernelINS0_14default_configENS1_20scan_config_selectorIiEEZZNS1_9scan_implILNS1_25lookback_scan_determinismE0ELb1ELb1ES3_N6thrust23THRUST_200600_302600_NS6detail15normal_iteratorINS9_10device_ptrIiEEEESE_iNS9_4plusIiEEiEEDaPvRmT3_T4_T5_mT6_P12ihipStream_tbENKUlT_T0_E_clISt17integral_constantIbLb0EESU_EEDaSP_SQ_EUlSP_E0_NS1_11comp_targetILNS1_3genE5ELNS1_11target_archE942ELNS1_3gpuE9ELNS1_3repE0EEENS1_30default_config_static_selectorELNS0_4arch9wavefront6targetE1EEEvT1_
	.globl	_ZN7rocprim17ROCPRIM_400000_NS6detail17trampoline_kernelINS0_14default_configENS1_20scan_config_selectorIiEEZZNS1_9scan_implILNS1_25lookback_scan_determinismE0ELb1ELb1ES3_N6thrust23THRUST_200600_302600_NS6detail15normal_iteratorINS9_10device_ptrIiEEEESE_iNS9_4plusIiEEiEEDaPvRmT3_T4_T5_mT6_P12ihipStream_tbENKUlT_T0_E_clISt17integral_constantIbLb0EESU_EEDaSP_SQ_EUlSP_E0_NS1_11comp_targetILNS1_3genE5ELNS1_11target_archE942ELNS1_3gpuE9ELNS1_3repE0EEENS1_30default_config_static_selectorELNS0_4arch9wavefront6targetE1EEEvT1_
	.p2align	8
	.type	_ZN7rocprim17ROCPRIM_400000_NS6detail17trampoline_kernelINS0_14default_configENS1_20scan_config_selectorIiEEZZNS1_9scan_implILNS1_25lookback_scan_determinismE0ELb1ELb1ES3_N6thrust23THRUST_200600_302600_NS6detail15normal_iteratorINS9_10device_ptrIiEEEESE_iNS9_4plusIiEEiEEDaPvRmT3_T4_T5_mT6_P12ihipStream_tbENKUlT_T0_E_clISt17integral_constantIbLb0EESU_EEDaSP_SQ_EUlSP_E0_NS1_11comp_targetILNS1_3genE5ELNS1_11target_archE942ELNS1_3gpuE9ELNS1_3repE0EEENS1_30default_config_static_selectorELNS0_4arch9wavefront6targetE1EEEvT1_,@function
_ZN7rocprim17ROCPRIM_400000_NS6detail17trampoline_kernelINS0_14default_configENS1_20scan_config_selectorIiEEZZNS1_9scan_implILNS1_25lookback_scan_determinismE0ELb1ELb1ES3_N6thrust23THRUST_200600_302600_NS6detail15normal_iteratorINS9_10device_ptrIiEEEESE_iNS9_4plusIiEEiEEDaPvRmT3_T4_T5_mT6_P12ihipStream_tbENKUlT_T0_E_clISt17integral_constantIbLb0EESU_EEDaSP_SQ_EUlSP_E0_NS1_11comp_targetILNS1_3genE5ELNS1_11target_archE942ELNS1_3gpuE9ELNS1_3repE0EEENS1_30default_config_static_selectorELNS0_4arch9wavefront6targetE1EEEvT1_: ; @_ZN7rocprim17ROCPRIM_400000_NS6detail17trampoline_kernelINS0_14default_configENS1_20scan_config_selectorIiEEZZNS1_9scan_implILNS1_25lookback_scan_determinismE0ELb1ELb1ES3_N6thrust23THRUST_200600_302600_NS6detail15normal_iteratorINS9_10device_ptrIiEEEESE_iNS9_4plusIiEEiEEDaPvRmT3_T4_T5_mT6_P12ihipStream_tbENKUlT_T0_E_clISt17integral_constantIbLb0EESU_EEDaSP_SQ_EUlSP_E0_NS1_11comp_targetILNS1_3genE5ELNS1_11target_archE942ELNS1_3gpuE9ELNS1_3repE0EEENS1_30default_config_static_selectorELNS0_4arch9wavefront6targetE1EEEvT1_
; %bb.0:
	.section	.rodata,"a",@progbits
	.p2align	6, 0x0
	.amdhsa_kernel _ZN7rocprim17ROCPRIM_400000_NS6detail17trampoline_kernelINS0_14default_configENS1_20scan_config_selectorIiEEZZNS1_9scan_implILNS1_25lookback_scan_determinismE0ELb1ELb1ES3_N6thrust23THRUST_200600_302600_NS6detail15normal_iteratorINS9_10device_ptrIiEEEESE_iNS9_4plusIiEEiEEDaPvRmT3_T4_T5_mT6_P12ihipStream_tbENKUlT_T0_E_clISt17integral_constantIbLb0EESU_EEDaSP_SQ_EUlSP_E0_NS1_11comp_targetILNS1_3genE5ELNS1_11target_archE942ELNS1_3gpuE9ELNS1_3repE0EEENS1_30default_config_static_selectorELNS0_4arch9wavefront6targetE1EEEvT1_
		.amdhsa_group_segment_fixed_size 0
		.amdhsa_private_segment_fixed_size 0
		.amdhsa_kernarg_size 32
		.amdhsa_user_sgpr_count 6
		.amdhsa_user_sgpr_private_segment_buffer 1
		.amdhsa_user_sgpr_dispatch_ptr 0
		.amdhsa_user_sgpr_queue_ptr 0
		.amdhsa_user_sgpr_kernarg_segment_ptr 1
		.amdhsa_user_sgpr_dispatch_id 0
		.amdhsa_user_sgpr_flat_scratch_init 0
		.amdhsa_user_sgpr_kernarg_preload_length 0
		.amdhsa_user_sgpr_kernarg_preload_offset 0
		.amdhsa_user_sgpr_private_segment_size 0
		.amdhsa_uses_dynamic_stack 0
		.amdhsa_system_sgpr_private_segment_wavefront_offset 0
		.amdhsa_system_sgpr_workgroup_id_x 1
		.amdhsa_system_sgpr_workgroup_id_y 0
		.amdhsa_system_sgpr_workgroup_id_z 0
		.amdhsa_system_sgpr_workgroup_info 0
		.amdhsa_system_vgpr_workitem_id 0
		.amdhsa_next_free_vgpr 1
		.amdhsa_next_free_sgpr 0
		.amdhsa_accum_offset 4
		.amdhsa_reserve_vcc 0
		.amdhsa_reserve_flat_scratch 0
		.amdhsa_float_round_mode_32 0
		.amdhsa_float_round_mode_16_64 0
		.amdhsa_float_denorm_mode_32 3
		.amdhsa_float_denorm_mode_16_64 3
		.amdhsa_dx10_clamp 1
		.amdhsa_ieee_mode 1
		.amdhsa_fp16_overflow 0
		.amdhsa_tg_split 0
		.amdhsa_exception_fp_ieee_invalid_op 0
		.amdhsa_exception_fp_denorm_src 0
		.amdhsa_exception_fp_ieee_div_zero 0
		.amdhsa_exception_fp_ieee_overflow 0
		.amdhsa_exception_fp_ieee_underflow 0
		.amdhsa_exception_fp_ieee_inexact 0
		.amdhsa_exception_int_div_zero 0
	.end_amdhsa_kernel
	.section	.text._ZN7rocprim17ROCPRIM_400000_NS6detail17trampoline_kernelINS0_14default_configENS1_20scan_config_selectorIiEEZZNS1_9scan_implILNS1_25lookback_scan_determinismE0ELb1ELb1ES3_N6thrust23THRUST_200600_302600_NS6detail15normal_iteratorINS9_10device_ptrIiEEEESE_iNS9_4plusIiEEiEEDaPvRmT3_T4_T5_mT6_P12ihipStream_tbENKUlT_T0_E_clISt17integral_constantIbLb0EESU_EEDaSP_SQ_EUlSP_E0_NS1_11comp_targetILNS1_3genE5ELNS1_11target_archE942ELNS1_3gpuE9ELNS1_3repE0EEENS1_30default_config_static_selectorELNS0_4arch9wavefront6targetE1EEEvT1_,"axG",@progbits,_ZN7rocprim17ROCPRIM_400000_NS6detail17trampoline_kernelINS0_14default_configENS1_20scan_config_selectorIiEEZZNS1_9scan_implILNS1_25lookback_scan_determinismE0ELb1ELb1ES3_N6thrust23THRUST_200600_302600_NS6detail15normal_iteratorINS9_10device_ptrIiEEEESE_iNS9_4plusIiEEiEEDaPvRmT3_T4_T5_mT6_P12ihipStream_tbENKUlT_T0_E_clISt17integral_constantIbLb0EESU_EEDaSP_SQ_EUlSP_E0_NS1_11comp_targetILNS1_3genE5ELNS1_11target_archE942ELNS1_3gpuE9ELNS1_3repE0EEENS1_30default_config_static_selectorELNS0_4arch9wavefront6targetE1EEEvT1_,comdat
.Lfunc_end670:
	.size	_ZN7rocprim17ROCPRIM_400000_NS6detail17trampoline_kernelINS0_14default_configENS1_20scan_config_selectorIiEEZZNS1_9scan_implILNS1_25lookback_scan_determinismE0ELb1ELb1ES3_N6thrust23THRUST_200600_302600_NS6detail15normal_iteratorINS9_10device_ptrIiEEEESE_iNS9_4plusIiEEiEEDaPvRmT3_T4_T5_mT6_P12ihipStream_tbENKUlT_T0_E_clISt17integral_constantIbLb0EESU_EEDaSP_SQ_EUlSP_E0_NS1_11comp_targetILNS1_3genE5ELNS1_11target_archE942ELNS1_3gpuE9ELNS1_3repE0EEENS1_30default_config_static_selectorELNS0_4arch9wavefront6targetE1EEEvT1_, .Lfunc_end670-_ZN7rocprim17ROCPRIM_400000_NS6detail17trampoline_kernelINS0_14default_configENS1_20scan_config_selectorIiEEZZNS1_9scan_implILNS1_25lookback_scan_determinismE0ELb1ELb1ES3_N6thrust23THRUST_200600_302600_NS6detail15normal_iteratorINS9_10device_ptrIiEEEESE_iNS9_4plusIiEEiEEDaPvRmT3_T4_T5_mT6_P12ihipStream_tbENKUlT_T0_E_clISt17integral_constantIbLb0EESU_EEDaSP_SQ_EUlSP_E0_NS1_11comp_targetILNS1_3genE5ELNS1_11target_archE942ELNS1_3gpuE9ELNS1_3repE0EEENS1_30default_config_static_selectorELNS0_4arch9wavefront6targetE1EEEvT1_
                                        ; -- End function
	.section	.AMDGPU.csdata,"",@progbits
; Kernel info:
; codeLenInByte = 0
; NumSgprs: 4
; NumVgprs: 0
; NumAgprs: 0
; TotalNumVgprs: 0
; ScratchSize: 0
; MemoryBound: 0
; FloatMode: 240
; IeeeMode: 1
; LDSByteSize: 0 bytes/workgroup (compile time only)
; SGPRBlocks: 0
; VGPRBlocks: 0
; NumSGPRsForWavesPerEU: 4
; NumVGPRsForWavesPerEU: 1
; AccumOffset: 4
; Occupancy: 8
; WaveLimiterHint : 0
; COMPUTE_PGM_RSRC2:SCRATCH_EN: 0
; COMPUTE_PGM_RSRC2:USER_SGPR: 6
; COMPUTE_PGM_RSRC2:TRAP_HANDLER: 0
; COMPUTE_PGM_RSRC2:TGID_X_EN: 1
; COMPUTE_PGM_RSRC2:TGID_Y_EN: 0
; COMPUTE_PGM_RSRC2:TGID_Z_EN: 0
; COMPUTE_PGM_RSRC2:TIDIG_COMP_CNT: 0
; COMPUTE_PGM_RSRC3_GFX90A:ACCUM_OFFSET: 0
; COMPUTE_PGM_RSRC3_GFX90A:TG_SPLIT: 0
	.section	.text._ZN7rocprim17ROCPRIM_400000_NS6detail17trampoline_kernelINS0_14default_configENS1_20scan_config_selectorIiEEZZNS1_9scan_implILNS1_25lookback_scan_determinismE0ELb1ELb1ES3_N6thrust23THRUST_200600_302600_NS6detail15normal_iteratorINS9_10device_ptrIiEEEESE_iNS9_4plusIiEEiEEDaPvRmT3_T4_T5_mT6_P12ihipStream_tbENKUlT_T0_E_clISt17integral_constantIbLb0EESU_EEDaSP_SQ_EUlSP_E0_NS1_11comp_targetILNS1_3genE4ELNS1_11target_archE910ELNS1_3gpuE8ELNS1_3repE0EEENS1_30default_config_static_selectorELNS0_4arch9wavefront6targetE1EEEvT1_,"axG",@progbits,_ZN7rocprim17ROCPRIM_400000_NS6detail17trampoline_kernelINS0_14default_configENS1_20scan_config_selectorIiEEZZNS1_9scan_implILNS1_25lookback_scan_determinismE0ELb1ELb1ES3_N6thrust23THRUST_200600_302600_NS6detail15normal_iteratorINS9_10device_ptrIiEEEESE_iNS9_4plusIiEEiEEDaPvRmT3_T4_T5_mT6_P12ihipStream_tbENKUlT_T0_E_clISt17integral_constantIbLb0EESU_EEDaSP_SQ_EUlSP_E0_NS1_11comp_targetILNS1_3genE4ELNS1_11target_archE910ELNS1_3gpuE8ELNS1_3repE0EEENS1_30default_config_static_selectorELNS0_4arch9wavefront6targetE1EEEvT1_,comdat
	.protected	_ZN7rocprim17ROCPRIM_400000_NS6detail17trampoline_kernelINS0_14default_configENS1_20scan_config_selectorIiEEZZNS1_9scan_implILNS1_25lookback_scan_determinismE0ELb1ELb1ES3_N6thrust23THRUST_200600_302600_NS6detail15normal_iteratorINS9_10device_ptrIiEEEESE_iNS9_4plusIiEEiEEDaPvRmT3_T4_T5_mT6_P12ihipStream_tbENKUlT_T0_E_clISt17integral_constantIbLb0EESU_EEDaSP_SQ_EUlSP_E0_NS1_11comp_targetILNS1_3genE4ELNS1_11target_archE910ELNS1_3gpuE8ELNS1_3repE0EEENS1_30default_config_static_selectorELNS0_4arch9wavefront6targetE1EEEvT1_ ; -- Begin function _ZN7rocprim17ROCPRIM_400000_NS6detail17trampoline_kernelINS0_14default_configENS1_20scan_config_selectorIiEEZZNS1_9scan_implILNS1_25lookback_scan_determinismE0ELb1ELb1ES3_N6thrust23THRUST_200600_302600_NS6detail15normal_iteratorINS9_10device_ptrIiEEEESE_iNS9_4plusIiEEiEEDaPvRmT3_T4_T5_mT6_P12ihipStream_tbENKUlT_T0_E_clISt17integral_constantIbLb0EESU_EEDaSP_SQ_EUlSP_E0_NS1_11comp_targetILNS1_3genE4ELNS1_11target_archE910ELNS1_3gpuE8ELNS1_3repE0EEENS1_30default_config_static_selectorELNS0_4arch9wavefront6targetE1EEEvT1_
	.globl	_ZN7rocprim17ROCPRIM_400000_NS6detail17trampoline_kernelINS0_14default_configENS1_20scan_config_selectorIiEEZZNS1_9scan_implILNS1_25lookback_scan_determinismE0ELb1ELb1ES3_N6thrust23THRUST_200600_302600_NS6detail15normal_iteratorINS9_10device_ptrIiEEEESE_iNS9_4plusIiEEiEEDaPvRmT3_T4_T5_mT6_P12ihipStream_tbENKUlT_T0_E_clISt17integral_constantIbLb0EESU_EEDaSP_SQ_EUlSP_E0_NS1_11comp_targetILNS1_3genE4ELNS1_11target_archE910ELNS1_3gpuE8ELNS1_3repE0EEENS1_30default_config_static_selectorELNS0_4arch9wavefront6targetE1EEEvT1_
	.p2align	8
	.type	_ZN7rocprim17ROCPRIM_400000_NS6detail17trampoline_kernelINS0_14default_configENS1_20scan_config_selectorIiEEZZNS1_9scan_implILNS1_25lookback_scan_determinismE0ELb1ELb1ES3_N6thrust23THRUST_200600_302600_NS6detail15normal_iteratorINS9_10device_ptrIiEEEESE_iNS9_4plusIiEEiEEDaPvRmT3_T4_T5_mT6_P12ihipStream_tbENKUlT_T0_E_clISt17integral_constantIbLb0EESU_EEDaSP_SQ_EUlSP_E0_NS1_11comp_targetILNS1_3genE4ELNS1_11target_archE910ELNS1_3gpuE8ELNS1_3repE0EEENS1_30default_config_static_selectorELNS0_4arch9wavefront6targetE1EEEvT1_,@function
_ZN7rocprim17ROCPRIM_400000_NS6detail17trampoline_kernelINS0_14default_configENS1_20scan_config_selectorIiEEZZNS1_9scan_implILNS1_25lookback_scan_determinismE0ELb1ELb1ES3_N6thrust23THRUST_200600_302600_NS6detail15normal_iteratorINS9_10device_ptrIiEEEESE_iNS9_4plusIiEEiEEDaPvRmT3_T4_T5_mT6_P12ihipStream_tbENKUlT_T0_E_clISt17integral_constantIbLb0EESU_EEDaSP_SQ_EUlSP_E0_NS1_11comp_targetILNS1_3genE4ELNS1_11target_archE910ELNS1_3gpuE8ELNS1_3repE0EEENS1_30default_config_static_selectorELNS0_4arch9wavefront6targetE1EEEvT1_: ; @_ZN7rocprim17ROCPRIM_400000_NS6detail17trampoline_kernelINS0_14default_configENS1_20scan_config_selectorIiEEZZNS1_9scan_implILNS1_25lookback_scan_determinismE0ELb1ELb1ES3_N6thrust23THRUST_200600_302600_NS6detail15normal_iteratorINS9_10device_ptrIiEEEESE_iNS9_4plusIiEEiEEDaPvRmT3_T4_T5_mT6_P12ihipStream_tbENKUlT_T0_E_clISt17integral_constantIbLb0EESU_EEDaSP_SQ_EUlSP_E0_NS1_11comp_targetILNS1_3genE4ELNS1_11target_archE910ELNS1_3gpuE8ELNS1_3repE0EEENS1_30default_config_static_selectorELNS0_4arch9wavefront6targetE1EEEvT1_
; %bb.0:
	s_load_dwordx4 s[20:23], s[4:5], 0x0
	v_lshlrev_b32_e32 v14, 2, v0
	s_waitcnt lgkmcnt(0)
	s_load_dword s23, s[20:21], 0x0
	v_cmp_gt_u32_e32 vcc, s22, v0
	s_waitcnt lgkmcnt(0)
	v_mov_b32_e32 v1, s23
	s_and_saveexec_b64 s[0:1], vcc
	s_cbranch_execz .LBB671_2
; %bb.1:
	global_load_dword v1, v14, s[20:21]
.LBB671_2:
	s_or_b64 exec, exec, s[0:1]
	v_or_b32_e32 v2, 0x80, v0
	v_cmp_gt_u32_e64 s[0:1], s22, v2
	v_mov_b32_e32 v2, s23
	s_and_saveexec_b64 s[2:3], s[0:1]
	s_cbranch_execz .LBB671_4
; %bb.3:
	global_load_dword v2, v14, s[20:21] offset:512
.LBB671_4:
	s_or_b64 exec, exec, s[2:3]
	v_or_b32_e32 v3, 0x100, v0
	v_cmp_gt_u32_e64 s[2:3], s22, v3
	v_mov_b32_e32 v3, s23
	s_and_saveexec_b64 s[6:7], s[2:3]
	s_cbranch_execz .LBB671_6
; %bb.5:
	global_load_dword v3, v14, s[20:21] offset:1024
.LBB671_6:
	;; [unrolled: 9-line block ×7, first 2 shown]
	s_or_b64 exec, exec, s[14:15]
	v_or_b32_e32 v10, 0x400, v0
	v_cmp_gt_u32_e64 s[14:15], s22, v10
	v_mov_b32_e32 v9, s23
	s_and_saveexec_b64 s[16:17], s[14:15]
	s_cbranch_execz .LBB671_18
; %bb.17:
	v_lshlrev_b32_e32 v9, 2, v10
	global_load_dword v9, v9, s[20:21]
.LBB671_18:
	s_or_b64 exec, exec, s[16:17]
	s_load_dword s24, s[4:5], 0x10
	v_or_b32_e32 v11, 0x480, v0
	v_cmp_gt_u32_e64 s[16:17], s22, v11
	v_mov_b32_e32 v10, s23
	s_and_saveexec_b64 s[22:23], s[16:17]
	s_cbranch_execz .LBB671_20
; %bb.19:
	v_lshlrev_b32_e32 v10, 2, v11
	global_load_dword v10, v10, s[20:21]
.LBB671_20:
	s_or_b64 exec, exec, s[22:23]
	s_waitcnt vmcnt(0)
	ds_write2st64_b32 v14, v1, v2 offset1:2
	ds_write2st64_b32 v14, v3, v4 offset0:4 offset1:6
	ds_write2st64_b32 v14, v5, v6 offset0:8 offset1:10
	ds_write2st64_b32 v14, v7, v8 offset0:12 offset1:14
	ds_write2st64_b32 v14, v9, v10 offset0:16 offset1:18
	v_mad_u32_u24 v1, v0, 36, v14
	s_waitcnt lgkmcnt(0)
	s_barrier
	ds_read2_b64 v[6:9], v1 offset1:1
	ds_read2_b64 v[2:5], v1 offset0:2 offset1:3
	ds_read_b64 v[10:11], v1 offset:32
	s_load_dwordx2 s[20:21], s[4:5], 0x18
	v_cmp_gt_u32_e64 s[4:5], 64, v0
	s_waitcnt lgkmcnt(0)
	v_add_u32_e32 v1, v7, v6
	v_add3_u32 v1, v1, v8, v9
	v_add3_u32 v1, v1, v2, v3
	;; [unrolled: 1-line block ×4, first 2 shown]
	v_lshrrev_b32_e32 v11, 3, v0
	v_and_b32_e32 v11, 12, v11
	v_add_u32_e32 v11, v14, v11
	s_barrier
	ds_write_b32 v11, v1
	s_waitcnt lgkmcnt(0)
	s_barrier
	s_and_saveexec_b64 s[22:23], s[4:5]
	s_cbranch_execz .LBB671_22
; %bb.21:
	v_lshlrev_b32_e32 v11, 1, v0
	v_lshrrev_b32_e32 v12, 4, v0
	v_add_lshl_u32 v11, v12, v11, 2
	ds_read2_b32 v[12:13], v11 offset1:1
	v_mbcnt_lo_u32_b32 v15, -1, 0
	v_mbcnt_hi_u32_b32 v15, -1, v15
	v_and_b32_e32 v16, 15, v15
	v_cmp_ne_u32_e64 s[4:5], 0, v16
	s_waitcnt lgkmcnt(0)
	v_add_u32_e32 v13, v13, v12
	; wave barrier
	s_nop 1
	v_mov_b32_dpp v17, v13 row_shr:1 row_mask:0xf bank_mask:0xf
	v_cndmask_b32_e64 v17, 0, v17, s[4:5]
	v_add_u32_e32 v13, v17, v13
	v_cmp_lt_u32_e64 s[4:5], 1, v16
	s_nop 0
	v_mov_b32_dpp v17, v13 row_shr:2 row_mask:0xf bank_mask:0xf
	v_cndmask_b32_e64 v17, 0, v17, s[4:5]
	v_add_u32_e32 v13, v13, v17
	v_cmp_lt_u32_e64 s[4:5], 3, v16
	;; [unrolled: 5-line block ×3, first 2 shown]
	s_nop 0
	v_mov_b32_dpp v17, v13 row_shr:8 row_mask:0xf bank_mask:0xf
	v_cndmask_b32_e64 v16, 0, v17, s[4:5]
	v_add_u32_e32 v13, v13, v16
	v_bfe_i32 v17, v15, 4, 1
	v_cmp_lt_u32_e64 s[4:5], 31, v15
	v_mov_b32_dpp v16, v13 row_bcast:15 row_mask:0xf bank_mask:0xf
	v_and_b32_e32 v16, v17, v16
	v_add_u32_e32 v13, v13, v16
	v_and_b32_e32 v17, 64, v15
	s_nop 0
	v_mov_b32_dpp v16, v13 row_bcast:31 row_mask:0xf bank_mask:0xf
	v_cndmask_b32_e64 v16, 0, v16, s[4:5]
	v_add_u32_e32 v13, v13, v16
	v_add_u32_e32 v16, -1, v15
	v_cmp_lt_i32_e64 s[4:5], v16, v17
	v_cndmask_b32_e64 v15, v16, v15, s[4:5]
	v_lshlrev_b32_e32 v15, 2, v15
	ds_bpermute_b32 v13, v15, v13
	v_cmp_eq_u32_e64 s[4:5], 0, v0
	s_waitcnt lgkmcnt(0)
	v_add_u32_e32 v12, v13, v12
	v_cndmask_b32_e64 v1, v12, v1, s[4:5]
	ds_write_b32 v11, v1
	; wave barrier
	ds_read_b32 v12, v11 offset:4
	s_waitcnt lgkmcnt(0)
	v_add_u32_e32 v1, v12, v1
	ds_write_b32 v11, v1 offset:4
.LBB671_22:
	s_or_b64 exec, exec, s[22:23]
	v_mul_u32_u24_e32 v1, 36, v0
	v_cmp_ne_u32_e64 s[4:5], 0, v0
	v_mov_b32_e32 v12, s24
	s_waitcnt lgkmcnt(0)
	s_barrier
	s_and_saveexec_b64 s[22:23], s[4:5]
	s_cbranch_execz .LBB671_24
; %bb.23:
	v_add_u32_e32 v0, -1, v0
	v_lshrrev_b32_e32 v11, 5, v0
	v_add_lshl_u32 v0, v11, v0, 2
	ds_read_b32 v0, v0
	s_waitcnt lgkmcnt(0)
	v_add_u32_e32 v12, s24, v0
.LBB671_24:
	s_or_b64 exec, exec, s[22:23]
	v_add_u32_e32 v13, v12, v6
	v_add_u32_e32 v6, v13, v7
	;; [unrolled: 1-line block ×10, first 2 shown]
	s_barrier
	ds_write2_b64 v0, v[12:13], v[6:7] offset1:1
	ds_write2_b64 v0, v[8:9], v[2:3] offset0:2 offset1:3
	ds_write_b64 v0, v[4:5] offset:32
	s_waitcnt lgkmcnt(0)
	s_barrier
	ds_read2st64_b32 v[8:9], v14 offset0:2 offset1:4
	ds_read2st64_b32 v[6:7], v14 offset0:6 offset1:8
	;; [unrolled: 1-line block ×4, first 2 shown]
	ds_read_b32 v10, v14 offset:4608
	v_mov_b32_e32 v1, s21
	v_add_co_u32_e64 v0, s[4:5], s20, v14
	v_addc_co_u32_e64 v1, s[4:5], 0, v1, s[4:5]
	s_and_saveexec_b64 s[4:5], vcc
	s_cbranch_execnz .LBB671_35
; %bb.25:
	s_or_b64 exec, exec, s[4:5]
	s_and_saveexec_b64 s[4:5], s[0:1]
	s_cbranch_execnz .LBB671_36
.LBB671_26:
	s_or_b64 exec, exec, s[4:5]
	s_and_saveexec_b64 s[0:1], s[2:3]
	s_cbranch_execnz .LBB671_37
.LBB671_27:
	s_or_b64 exec, exec, s[0:1]
	s_and_saveexec_b64 s[0:1], s[18:19]
	s_cbranch_execnz .LBB671_38
.LBB671_28:
	s_or_b64 exec, exec, s[0:1]
	s_and_saveexec_b64 s[0:1], s[6:7]
	s_cbranch_execnz .LBB671_39
.LBB671_29:
	s_or_b64 exec, exec, s[0:1]
	s_and_saveexec_b64 s[0:1], s[8:9]
	s_cbranch_execnz .LBB671_40
.LBB671_30:
	s_or_b64 exec, exec, s[0:1]
	s_and_saveexec_b64 s[0:1], s[10:11]
	s_cbranch_execnz .LBB671_41
.LBB671_31:
	s_or_b64 exec, exec, s[0:1]
	s_and_saveexec_b64 s[0:1], s[12:13]
	s_cbranch_execnz .LBB671_42
.LBB671_32:
	s_or_b64 exec, exec, s[0:1]
	s_and_saveexec_b64 s[0:1], s[14:15]
	s_cbranch_execnz .LBB671_43
.LBB671_33:
	s_or_b64 exec, exec, s[0:1]
	s_and_saveexec_b64 s[0:1], s[16:17]
	s_cbranch_execnz .LBB671_44
.LBB671_34:
	s_endpgm
.LBB671_35:
	ds_read_b32 v11, v14
	s_waitcnt lgkmcnt(0)
	global_store_dword v[0:1], v11, off
	s_or_b64 exec, exec, s[4:5]
	s_and_saveexec_b64 s[4:5], s[0:1]
	s_cbranch_execz .LBB671_26
.LBB671_36:
	s_waitcnt lgkmcnt(4)
	global_store_dword v[0:1], v8, off offset:512
	s_or_b64 exec, exec, s[4:5]
	s_and_saveexec_b64 s[0:1], s[2:3]
	s_cbranch_execz .LBB671_27
.LBB671_37:
	s_waitcnt lgkmcnt(4)
	global_store_dword v[0:1], v9, off offset:1024
	s_or_b64 exec, exec, s[0:1]
	s_and_saveexec_b64 s[0:1], s[18:19]
	s_cbranch_execz .LBB671_28
.LBB671_38:
	s_waitcnt lgkmcnt(3)
	global_store_dword v[0:1], v6, off offset:1536
	s_or_b64 exec, exec, s[0:1]
	s_and_saveexec_b64 s[0:1], s[6:7]
	s_cbranch_execz .LBB671_29
.LBB671_39:
	s_waitcnt lgkmcnt(3)
	global_store_dword v[0:1], v7, off offset:2048
	s_or_b64 exec, exec, s[0:1]
	s_and_saveexec_b64 s[0:1], s[8:9]
	s_cbranch_execz .LBB671_30
.LBB671_40:
	s_waitcnt lgkmcnt(2)
	global_store_dword v[0:1], v4, off offset:2560
	s_or_b64 exec, exec, s[0:1]
	s_and_saveexec_b64 s[0:1], s[10:11]
	s_cbranch_execz .LBB671_31
.LBB671_41:
	s_waitcnt lgkmcnt(2)
	global_store_dword v[0:1], v5, off offset:3072
	s_or_b64 exec, exec, s[0:1]
	s_and_saveexec_b64 s[0:1], s[12:13]
	s_cbranch_execz .LBB671_32
.LBB671_42:
	s_waitcnt lgkmcnt(1)
	global_store_dword v[0:1], v2, off offset:3584
	s_or_b64 exec, exec, s[0:1]
	s_and_saveexec_b64 s[0:1], s[14:15]
	s_cbranch_execz .LBB671_33
.LBB671_43:
	s_waitcnt lgkmcnt(2)
	v_add_co_u32_e32 v4, vcc, 0x1000, v0
	v_addc_co_u32_e32 v5, vcc, 0, v1, vcc
	s_waitcnt lgkmcnt(1)
	global_store_dword v[4:5], v3, off
	s_or_b64 exec, exec, s[0:1]
	s_and_saveexec_b64 s[0:1], s[16:17]
	s_cbranch_execz .LBB671_34
.LBB671_44:
	v_add_co_u32_e32 v0, vcc, 0x1000, v0
	v_addc_co_u32_e32 v1, vcc, 0, v1, vcc
	s_waitcnt lgkmcnt(0)
	global_store_dword v[0:1], v10, off offset:512
	s_endpgm
	.section	.rodata,"a",@progbits
	.p2align	6, 0x0
	.amdhsa_kernel _ZN7rocprim17ROCPRIM_400000_NS6detail17trampoline_kernelINS0_14default_configENS1_20scan_config_selectorIiEEZZNS1_9scan_implILNS1_25lookback_scan_determinismE0ELb1ELb1ES3_N6thrust23THRUST_200600_302600_NS6detail15normal_iteratorINS9_10device_ptrIiEEEESE_iNS9_4plusIiEEiEEDaPvRmT3_T4_T5_mT6_P12ihipStream_tbENKUlT_T0_E_clISt17integral_constantIbLb0EESU_EEDaSP_SQ_EUlSP_E0_NS1_11comp_targetILNS1_3genE4ELNS1_11target_archE910ELNS1_3gpuE8ELNS1_3repE0EEENS1_30default_config_static_selectorELNS0_4arch9wavefront6targetE1EEEvT1_
		.amdhsa_group_segment_fixed_size 5120
		.amdhsa_private_segment_fixed_size 0
		.amdhsa_kernarg_size 32
		.amdhsa_user_sgpr_count 6
		.amdhsa_user_sgpr_private_segment_buffer 1
		.amdhsa_user_sgpr_dispatch_ptr 0
		.amdhsa_user_sgpr_queue_ptr 0
		.amdhsa_user_sgpr_kernarg_segment_ptr 1
		.amdhsa_user_sgpr_dispatch_id 0
		.amdhsa_user_sgpr_flat_scratch_init 0
		.amdhsa_user_sgpr_kernarg_preload_length 0
		.amdhsa_user_sgpr_kernarg_preload_offset 0
		.amdhsa_user_sgpr_private_segment_size 0
		.amdhsa_uses_dynamic_stack 0
		.amdhsa_system_sgpr_private_segment_wavefront_offset 0
		.amdhsa_system_sgpr_workgroup_id_x 1
		.amdhsa_system_sgpr_workgroup_id_y 0
		.amdhsa_system_sgpr_workgroup_id_z 0
		.amdhsa_system_sgpr_workgroup_info 0
		.amdhsa_system_vgpr_workitem_id 0
		.amdhsa_next_free_vgpr 18
		.amdhsa_next_free_sgpr 25
		.amdhsa_accum_offset 20
		.amdhsa_reserve_vcc 1
		.amdhsa_reserve_flat_scratch 0
		.amdhsa_float_round_mode_32 0
		.amdhsa_float_round_mode_16_64 0
		.amdhsa_float_denorm_mode_32 3
		.amdhsa_float_denorm_mode_16_64 3
		.amdhsa_dx10_clamp 1
		.amdhsa_ieee_mode 1
		.amdhsa_fp16_overflow 0
		.amdhsa_tg_split 0
		.amdhsa_exception_fp_ieee_invalid_op 0
		.amdhsa_exception_fp_denorm_src 0
		.amdhsa_exception_fp_ieee_div_zero 0
		.amdhsa_exception_fp_ieee_overflow 0
		.amdhsa_exception_fp_ieee_underflow 0
		.amdhsa_exception_fp_ieee_inexact 0
		.amdhsa_exception_int_div_zero 0
	.end_amdhsa_kernel
	.section	.text._ZN7rocprim17ROCPRIM_400000_NS6detail17trampoline_kernelINS0_14default_configENS1_20scan_config_selectorIiEEZZNS1_9scan_implILNS1_25lookback_scan_determinismE0ELb1ELb1ES3_N6thrust23THRUST_200600_302600_NS6detail15normal_iteratorINS9_10device_ptrIiEEEESE_iNS9_4plusIiEEiEEDaPvRmT3_T4_T5_mT6_P12ihipStream_tbENKUlT_T0_E_clISt17integral_constantIbLb0EESU_EEDaSP_SQ_EUlSP_E0_NS1_11comp_targetILNS1_3genE4ELNS1_11target_archE910ELNS1_3gpuE8ELNS1_3repE0EEENS1_30default_config_static_selectorELNS0_4arch9wavefront6targetE1EEEvT1_,"axG",@progbits,_ZN7rocprim17ROCPRIM_400000_NS6detail17trampoline_kernelINS0_14default_configENS1_20scan_config_selectorIiEEZZNS1_9scan_implILNS1_25lookback_scan_determinismE0ELb1ELb1ES3_N6thrust23THRUST_200600_302600_NS6detail15normal_iteratorINS9_10device_ptrIiEEEESE_iNS9_4plusIiEEiEEDaPvRmT3_T4_T5_mT6_P12ihipStream_tbENKUlT_T0_E_clISt17integral_constantIbLb0EESU_EEDaSP_SQ_EUlSP_E0_NS1_11comp_targetILNS1_3genE4ELNS1_11target_archE910ELNS1_3gpuE8ELNS1_3repE0EEENS1_30default_config_static_selectorELNS0_4arch9wavefront6targetE1EEEvT1_,comdat
.Lfunc_end671:
	.size	_ZN7rocprim17ROCPRIM_400000_NS6detail17trampoline_kernelINS0_14default_configENS1_20scan_config_selectorIiEEZZNS1_9scan_implILNS1_25lookback_scan_determinismE0ELb1ELb1ES3_N6thrust23THRUST_200600_302600_NS6detail15normal_iteratorINS9_10device_ptrIiEEEESE_iNS9_4plusIiEEiEEDaPvRmT3_T4_T5_mT6_P12ihipStream_tbENKUlT_T0_E_clISt17integral_constantIbLb0EESU_EEDaSP_SQ_EUlSP_E0_NS1_11comp_targetILNS1_3genE4ELNS1_11target_archE910ELNS1_3gpuE8ELNS1_3repE0EEENS1_30default_config_static_selectorELNS0_4arch9wavefront6targetE1EEEvT1_, .Lfunc_end671-_ZN7rocprim17ROCPRIM_400000_NS6detail17trampoline_kernelINS0_14default_configENS1_20scan_config_selectorIiEEZZNS1_9scan_implILNS1_25lookback_scan_determinismE0ELb1ELb1ES3_N6thrust23THRUST_200600_302600_NS6detail15normal_iteratorINS9_10device_ptrIiEEEESE_iNS9_4plusIiEEiEEDaPvRmT3_T4_T5_mT6_P12ihipStream_tbENKUlT_T0_E_clISt17integral_constantIbLb0EESU_EEDaSP_SQ_EUlSP_E0_NS1_11comp_targetILNS1_3genE4ELNS1_11target_archE910ELNS1_3gpuE8ELNS1_3repE0EEENS1_30default_config_static_selectorELNS0_4arch9wavefront6targetE1EEEvT1_
                                        ; -- End function
	.section	.AMDGPU.csdata,"",@progbits
; Kernel info:
; codeLenInByte = 1536
; NumSgprs: 29
; NumVgprs: 18
; NumAgprs: 0
; TotalNumVgprs: 18
; ScratchSize: 0
; MemoryBound: 0
; FloatMode: 240
; IeeeMode: 1
; LDSByteSize: 5120 bytes/workgroup (compile time only)
; SGPRBlocks: 3
; VGPRBlocks: 2
; NumSGPRsForWavesPerEU: 29
; NumVGPRsForWavesPerEU: 18
; AccumOffset: 20
; Occupancy: 6
; WaveLimiterHint : 0
; COMPUTE_PGM_RSRC2:SCRATCH_EN: 0
; COMPUTE_PGM_RSRC2:USER_SGPR: 6
; COMPUTE_PGM_RSRC2:TRAP_HANDLER: 0
; COMPUTE_PGM_RSRC2:TGID_X_EN: 1
; COMPUTE_PGM_RSRC2:TGID_Y_EN: 0
; COMPUTE_PGM_RSRC2:TGID_Z_EN: 0
; COMPUTE_PGM_RSRC2:TIDIG_COMP_CNT: 0
; COMPUTE_PGM_RSRC3_GFX90A:ACCUM_OFFSET: 4
; COMPUTE_PGM_RSRC3_GFX90A:TG_SPLIT: 0
	.section	.text._ZN7rocprim17ROCPRIM_400000_NS6detail17trampoline_kernelINS0_14default_configENS1_20scan_config_selectorIiEEZZNS1_9scan_implILNS1_25lookback_scan_determinismE0ELb1ELb1ES3_N6thrust23THRUST_200600_302600_NS6detail15normal_iteratorINS9_10device_ptrIiEEEESE_iNS9_4plusIiEEiEEDaPvRmT3_T4_T5_mT6_P12ihipStream_tbENKUlT_T0_E_clISt17integral_constantIbLb0EESU_EEDaSP_SQ_EUlSP_E0_NS1_11comp_targetILNS1_3genE3ELNS1_11target_archE908ELNS1_3gpuE7ELNS1_3repE0EEENS1_30default_config_static_selectorELNS0_4arch9wavefront6targetE1EEEvT1_,"axG",@progbits,_ZN7rocprim17ROCPRIM_400000_NS6detail17trampoline_kernelINS0_14default_configENS1_20scan_config_selectorIiEEZZNS1_9scan_implILNS1_25lookback_scan_determinismE0ELb1ELb1ES3_N6thrust23THRUST_200600_302600_NS6detail15normal_iteratorINS9_10device_ptrIiEEEESE_iNS9_4plusIiEEiEEDaPvRmT3_T4_T5_mT6_P12ihipStream_tbENKUlT_T0_E_clISt17integral_constantIbLb0EESU_EEDaSP_SQ_EUlSP_E0_NS1_11comp_targetILNS1_3genE3ELNS1_11target_archE908ELNS1_3gpuE7ELNS1_3repE0EEENS1_30default_config_static_selectorELNS0_4arch9wavefront6targetE1EEEvT1_,comdat
	.protected	_ZN7rocprim17ROCPRIM_400000_NS6detail17trampoline_kernelINS0_14default_configENS1_20scan_config_selectorIiEEZZNS1_9scan_implILNS1_25lookback_scan_determinismE0ELb1ELb1ES3_N6thrust23THRUST_200600_302600_NS6detail15normal_iteratorINS9_10device_ptrIiEEEESE_iNS9_4plusIiEEiEEDaPvRmT3_T4_T5_mT6_P12ihipStream_tbENKUlT_T0_E_clISt17integral_constantIbLb0EESU_EEDaSP_SQ_EUlSP_E0_NS1_11comp_targetILNS1_3genE3ELNS1_11target_archE908ELNS1_3gpuE7ELNS1_3repE0EEENS1_30default_config_static_selectorELNS0_4arch9wavefront6targetE1EEEvT1_ ; -- Begin function _ZN7rocprim17ROCPRIM_400000_NS6detail17trampoline_kernelINS0_14default_configENS1_20scan_config_selectorIiEEZZNS1_9scan_implILNS1_25lookback_scan_determinismE0ELb1ELb1ES3_N6thrust23THRUST_200600_302600_NS6detail15normal_iteratorINS9_10device_ptrIiEEEESE_iNS9_4plusIiEEiEEDaPvRmT3_T4_T5_mT6_P12ihipStream_tbENKUlT_T0_E_clISt17integral_constantIbLb0EESU_EEDaSP_SQ_EUlSP_E0_NS1_11comp_targetILNS1_3genE3ELNS1_11target_archE908ELNS1_3gpuE7ELNS1_3repE0EEENS1_30default_config_static_selectorELNS0_4arch9wavefront6targetE1EEEvT1_
	.globl	_ZN7rocprim17ROCPRIM_400000_NS6detail17trampoline_kernelINS0_14default_configENS1_20scan_config_selectorIiEEZZNS1_9scan_implILNS1_25lookback_scan_determinismE0ELb1ELb1ES3_N6thrust23THRUST_200600_302600_NS6detail15normal_iteratorINS9_10device_ptrIiEEEESE_iNS9_4plusIiEEiEEDaPvRmT3_T4_T5_mT6_P12ihipStream_tbENKUlT_T0_E_clISt17integral_constantIbLb0EESU_EEDaSP_SQ_EUlSP_E0_NS1_11comp_targetILNS1_3genE3ELNS1_11target_archE908ELNS1_3gpuE7ELNS1_3repE0EEENS1_30default_config_static_selectorELNS0_4arch9wavefront6targetE1EEEvT1_
	.p2align	8
	.type	_ZN7rocprim17ROCPRIM_400000_NS6detail17trampoline_kernelINS0_14default_configENS1_20scan_config_selectorIiEEZZNS1_9scan_implILNS1_25lookback_scan_determinismE0ELb1ELb1ES3_N6thrust23THRUST_200600_302600_NS6detail15normal_iteratorINS9_10device_ptrIiEEEESE_iNS9_4plusIiEEiEEDaPvRmT3_T4_T5_mT6_P12ihipStream_tbENKUlT_T0_E_clISt17integral_constantIbLb0EESU_EEDaSP_SQ_EUlSP_E0_NS1_11comp_targetILNS1_3genE3ELNS1_11target_archE908ELNS1_3gpuE7ELNS1_3repE0EEENS1_30default_config_static_selectorELNS0_4arch9wavefront6targetE1EEEvT1_,@function
_ZN7rocprim17ROCPRIM_400000_NS6detail17trampoline_kernelINS0_14default_configENS1_20scan_config_selectorIiEEZZNS1_9scan_implILNS1_25lookback_scan_determinismE0ELb1ELb1ES3_N6thrust23THRUST_200600_302600_NS6detail15normal_iteratorINS9_10device_ptrIiEEEESE_iNS9_4plusIiEEiEEDaPvRmT3_T4_T5_mT6_P12ihipStream_tbENKUlT_T0_E_clISt17integral_constantIbLb0EESU_EEDaSP_SQ_EUlSP_E0_NS1_11comp_targetILNS1_3genE3ELNS1_11target_archE908ELNS1_3gpuE7ELNS1_3repE0EEENS1_30default_config_static_selectorELNS0_4arch9wavefront6targetE1EEEvT1_: ; @_ZN7rocprim17ROCPRIM_400000_NS6detail17trampoline_kernelINS0_14default_configENS1_20scan_config_selectorIiEEZZNS1_9scan_implILNS1_25lookback_scan_determinismE0ELb1ELb1ES3_N6thrust23THRUST_200600_302600_NS6detail15normal_iteratorINS9_10device_ptrIiEEEESE_iNS9_4plusIiEEiEEDaPvRmT3_T4_T5_mT6_P12ihipStream_tbENKUlT_T0_E_clISt17integral_constantIbLb0EESU_EEDaSP_SQ_EUlSP_E0_NS1_11comp_targetILNS1_3genE3ELNS1_11target_archE908ELNS1_3gpuE7ELNS1_3repE0EEENS1_30default_config_static_selectorELNS0_4arch9wavefront6targetE1EEEvT1_
; %bb.0:
	.section	.rodata,"a",@progbits
	.p2align	6, 0x0
	.amdhsa_kernel _ZN7rocprim17ROCPRIM_400000_NS6detail17trampoline_kernelINS0_14default_configENS1_20scan_config_selectorIiEEZZNS1_9scan_implILNS1_25lookback_scan_determinismE0ELb1ELb1ES3_N6thrust23THRUST_200600_302600_NS6detail15normal_iteratorINS9_10device_ptrIiEEEESE_iNS9_4plusIiEEiEEDaPvRmT3_T4_T5_mT6_P12ihipStream_tbENKUlT_T0_E_clISt17integral_constantIbLb0EESU_EEDaSP_SQ_EUlSP_E0_NS1_11comp_targetILNS1_3genE3ELNS1_11target_archE908ELNS1_3gpuE7ELNS1_3repE0EEENS1_30default_config_static_selectorELNS0_4arch9wavefront6targetE1EEEvT1_
		.amdhsa_group_segment_fixed_size 0
		.amdhsa_private_segment_fixed_size 0
		.amdhsa_kernarg_size 32
		.amdhsa_user_sgpr_count 6
		.amdhsa_user_sgpr_private_segment_buffer 1
		.amdhsa_user_sgpr_dispatch_ptr 0
		.amdhsa_user_sgpr_queue_ptr 0
		.amdhsa_user_sgpr_kernarg_segment_ptr 1
		.amdhsa_user_sgpr_dispatch_id 0
		.amdhsa_user_sgpr_flat_scratch_init 0
		.amdhsa_user_sgpr_kernarg_preload_length 0
		.amdhsa_user_sgpr_kernarg_preload_offset 0
		.amdhsa_user_sgpr_private_segment_size 0
		.amdhsa_uses_dynamic_stack 0
		.amdhsa_system_sgpr_private_segment_wavefront_offset 0
		.amdhsa_system_sgpr_workgroup_id_x 1
		.amdhsa_system_sgpr_workgroup_id_y 0
		.amdhsa_system_sgpr_workgroup_id_z 0
		.amdhsa_system_sgpr_workgroup_info 0
		.amdhsa_system_vgpr_workitem_id 0
		.amdhsa_next_free_vgpr 1
		.amdhsa_next_free_sgpr 0
		.amdhsa_accum_offset 4
		.amdhsa_reserve_vcc 0
		.amdhsa_reserve_flat_scratch 0
		.amdhsa_float_round_mode_32 0
		.amdhsa_float_round_mode_16_64 0
		.amdhsa_float_denorm_mode_32 3
		.amdhsa_float_denorm_mode_16_64 3
		.amdhsa_dx10_clamp 1
		.amdhsa_ieee_mode 1
		.amdhsa_fp16_overflow 0
		.amdhsa_tg_split 0
		.amdhsa_exception_fp_ieee_invalid_op 0
		.amdhsa_exception_fp_denorm_src 0
		.amdhsa_exception_fp_ieee_div_zero 0
		.amdhsa_exception_fp_ieee_overflow 0
		.amdhsa_exception_fp_ieee_underflow 0
		.amdhsa_exception_fp_ieee_inexact 0
		.amdhsa_exception_int_div_zero 0
	.end_amdhsa_kernel
	.section	.text._ZN7rocprim17ROCPRIM_400000_NS6detail17trampoline_kernelINS0_14default_configENS1_20scan_config_selectorIiEEZZNS1_9scan_implILNS1_25lookback_scan_determinismE0ELb1ELb1ES3_N6thrust23THRUST_200600_302600_NS6detail15normal_iteratorINS9_10device_ptrIiEEEESE_iNS9_4plusIiEEiEEDaPvRmT3_T4_T5_mT6_P12ihipStream_tbENKUlT_T0_E_clISt17integral_constantIbLb0EESU_EEDaSP_SQ_EUlSP_E0_NS1_11comp_targetILNS1_3genE3ELNS1_11target_archE908ELNS1_3gpuE7ELNS1_3repE0EEENS1_30default_config_static_selectorELNS0_4arch9wavefront6targetE1EEEvT1_,"axG",@progbits,_ZN7rocprim17ROCPRIM_400000_NS6detail17trampoline_kernelINS0_14default_configENS1_20scan_config_selectorIiEEZZNS1_9scan_implILNS1_25lookback_scan_determinismE0ELb1ELb1ES3_N6thrust23THRUST_200600_302600_NS6detail15normal_iteratorINS9_10device_ptrIiEEEESE_iNS9_4plusIiEEiEEDaPvRmT3_T4_T5_mT6_P12ihipStream_tbENKUlT_T0_E_clISt17integral_constantIbLb0EESU_EEDaSP_SQ_EUlSP_E0_NS1_11comp_targetILNS1_3genE3ELNS1_11target_archE908ELNS1_3gpuE7ELNS1_3repE0EEENS1_30default_config_static_selectorELNS0_4arch9wavefront6targetE1EEEvT1_,comdat
.Lfunc_end672:
	.size	_ZN7rocprim17ROCPRIM_400000_NS6detail17trampoline_kernelINS0_14default_configENS1_20scan_config_selectorIiEEZZNS1_9scan_implILNS1_25lookback_scan_determinismE0ELb1ELb1ES3_N6thrust23THRUST_200600_302600_NS6detail15normal_iteratorINS9_10device_ptrIiEEEESE_iNS9_4plusIiEEiEEDaPvRmT3_T4_T5_mT6_P12ihipStream_tbENKUlT_T0_E_clISt17integral_constantIbLb0EESU_EEDaSP_SQ_EUlSP_E0_NS1_11comp_targetILNS1_3genE3ELNS1_11target_archE908ELNS1_3gpuE7ELNS1_3repE0EEENS1_30default_config_static_selectorELNS0_4arch9wavefront6targetE1EEEvT1_, .Lfunc_end672-_ZN7rocprim17ROCPRIM_400000_NS6detail17trampoline_kernelINS0_14default_configENS1_20scan_config_selectorIiEEZZNS1_9scan_implILNS1_25lookback_scan_determinismE0ELb1ELb1ES3_N6thrust23THRUST_200600_302600_NS6detail15normal_iteratorINS9_10device_ptrIiEEEESE_iNS9_4plusIiEEiEEDaPvRmT3_T4_T5_mT6_P12ihipStream_tbENKUlT_T0_E_clISt17integral_constantIbLb0EESU_EEDaSP_SQ_EUlSP_E0_NS1_11comp_targetILNS1_3genE3ELNS1_11target_archE908ELNS1_3gpuE7ELNS1_3repE0EEENS1_30default_config_static_selectorELNS0_4arch9wavefront6targetE1EEEvT1_
                                        ; -- End function
	.section	.AMDGPU.csdata,"",@progbits
; Kernel info:
; codeLenInByte = 0
; NumSgprs: 4
; NumVgprs: 0
; NumAgprs: 0
; TotalNumVgprs: 0
; ScratchSize: 0
; MemoryBound: 0
; FloatMode: 240
; IeeeMode: 1
; LDSByteSize: 0 bytes/workgroup (compile time only)
; SGPRBlocks: 0
; VGPRBlocks: 0
; NumSGPRsForWavesPerEU: 4
; NumVGPRsForWavesPerEU: 1
; AccumOffset: 4
; Occupancy: 8
; WaveLimiterHint : 0
; COMPUTE_PGM_RSRC2:SCRATCH_EN: 0
; COMPUTE_PGM_RSRC2:USER_SGPR: 6
; COMPUTE_PGM_RSRC2:TRAP_HANDLER: 0
; COMPUTE_PGM_RSRC2:TGID_X_EN: 1
; COMPUTE_PGM_RSRC2:TGID_Y_EN: 0
; COMPUTE_PGM_RSRC2:TGID_Z_EN: 0
; COMPUTE_PGM_RSRC2:TIDIG_COMP_CNT: 0
; COMPUTE_PGM_RSRC3_GFX90A:ACCUM_OFFSET: 0
; COMPUTE_PGM_RSRC3_GFX90A:TG_SPLIT: 0
	.section	.text._ZN7rocprim17ROCPRIM_400000_NS6detail17trampoline_kernelINS0_14default_configENS1_20scan_config_selectorIiEEZZNS1_9scan_implILNS1_25lookback_scan_determinismE0ELb1ELb1ES3_N6thrust23THRUST_200600_302600_NS6detail15normal_iteratorINS9_10device_ptrIiEEEESE_iNS9_4plusIiEEiEEDaPvRmT3_T4_T5_mT6_P12ihipStream_tbENKUlT_T0_E_clISt17integral_constantIbLb0EESU_EEDaSP_SQ_EUlSP_E0_NS1_11comp_targetILNS1_3genE2ELNS1_11target_archE906ELNS1_3gpuE6ELNS1_3repE0EEENS1_30default_config_static_selectorELNS0_4arch9wavefront6targetE1EEEvT1_,"axG",@progbits,_ZN7rocprim17ROCPRIM_400000_NS6detail17trampoline_kernelINS0_14default_configENS1_20scan_config_selectorIiEEZZNS1_9scan_implILNS1_25lookback_scan_determinismE0ELb1ELb1ES3_N6thrust23THRUST_200600_302600_NS6detail15normal_iteratorINS9_10device_ptrIiEEEESE_iNS9_4plusIiEEiEEDaPvRmT3_T4_T5_mT6_P12ihipStream_tbENKUlT_T0_E_clISt17integral_constantIbLb0EESU_EEDaSP_SQ_EUlSP_E0_NS1_11comp_targetILNS1_3genE2ELNS1_11target_archE906ELNS1_3gpuE6ELNS1_3repE0EEENS1_30default_config_static_selectorELNS0_4arch9wavefront6targetE1EEEvT1_,comdat
	.protected	_ZN7rocprim17ROCPRIM_400000_NS6detail17trampoline_kernelINS0_14default_configENS1_20scan_config_selectorIiEEZZNS1_9scan_implILNS1_25lookback_scan_determinismE0ELb1ELb1ES3_N6thrust23THRUST_200600_302600_NS6detail15normal_iteratorINS9_10device_ptrIiEEEESE_iNS9_4plusIiEEiEEDaPvRmT3_T4_T5_mT6_P12ihipStream_tbENKUlT_T0_E_clISt17integral_constantIbLb0EESU_EEDaSP_SQ_EUlSP_E0_NS1_11comp_targetILNS1_3genE2ELNS1_11target_archE906ELNS1_3gpuE6ELNS1_3repE0EEENS1_30default_config_static_selectorELNS0_4arch9wavefront6targetE1EEEvT1_ ; -- Begin function _ZN7rocprim17ROCPRIM_400000_NS6detail17trampoline_kernelINS0_14default_configENS1_20scan_config_selectorIiEEZZNS1_9scan_implILNS1_25lookback_scan_determinismE0ELb1ELb1ES3_N6thrust23THRUST_200600_302600_NS6detail15normal_iteratorINS9_10device_ptrIiEEEESE_iNS9_4plusIiEEiEEDaPvRmT3_T4_T5_mT6_P12ihipStream_tbENKUlT_T0_E_clISt17integral_constantIbLb0EESU_EEDaSP_SQ_EUlSP_E0_NS1_11comp_targetILNS1_3genE2ELNS1_11target_archE906ELNS1_3gpuE6ELNS1_3repE0EEENS1_30default_config_static_selectorELNS0_4arch9wavefront6targetE1EEEvT1_
	.globl	_ZN7rocprim17ROCPRIM_400000_NS6detail17trampoline_kernelINS0_14default_configENS1_20scan_config_selectorIiEEZZNS1_9scan_implILNS1_25lookback_scan_determinismE0ELb1ELb1ES3_N6thrust23THRUST_200600_302600_NS6detail15normal_iteratorINS9_10device_ptrIiEEEESE_iNS9_4plusIiEEiEEDaPvRmT3_T4_T5_mT6_P12ihipStream_tbENKUlT_T0_E_clISt17integral_constantIbLb0EESU_EEDaSP_SQ_EUlSP_E0_NS1_11comp_targetILNS1_3genE2ELNS1_11target_archE906ELNS1_3gpuE6ELNS1_3repE0EEENS1_30default_config_static_selectorELNS0_4arch9wavefront6targetE1EEEvT1_
	.p2align	8
	.type	_ZN7rocprim17ROCPRIM_400000_NS6detail17trampoline_kernelINS0_14default_configENS1_20scan_config_selectorIiEEZZNS1_9scan_implILNS1_25lookback_scan_determinismE0ELb1ELb1ES3_N6thrust23THRUST_200600_302600_NS6detail15normal_iteratorINS9_10device_ptrIiEEEESE_iNS9_4plusIiEEiEEDaPvRmT3_T4_T5_mT6_P12ihipStream_tbENKUlT_T0_E_clISt17integral_constantIbLb0EESU_EEDaSP_SQ_EUlSP_E0_NS1_11comp_targetILNS1_3genE2ELNS1_11target_archE906ELNS1_3gpuE6ELNS1_3repE0EEENS1_30default_config_static_selectorELNS0_4arch9wavefront6targetE1EEEvT1_,@function
_ZN7rocprim17ROCPRIM_400000_NS6detail17trampoline_kernelINS0_14default_configENS1_20scan_config_selectorIiEEZZNS1_9scan_implILNS1_25lookback_scan_determinismE0ELb1ELb1ES3_N6thrust23THRUST_200600_302600_NS6detail15normal_iteratorINS9_10device_ptrIiEEEESE_iNS9_4plusIiEEiEEDaPvRmT3_T4_T5_mT6_P12ihipStream_tbENKUlT_T0_E_clISt17integral_constantIbLb0EESU_EEDaSP_SQ_EUlSP_E0_NS1_11comp_targetILNS1_3genE2ELNS1_11target_archE906ELNS1_3gpuE6ELNS1_3repE0EEENS1_30default_config_static_selectorELNS0_4arch9wavefront6targetE1EEEvT1_: ; @_ZN7rocprim17ROCPRIM_400000_NS6detail17trampoline_kernelINS0_14default_configENS1_20scan_config_selectorIiEEZZNS1_9scan_implILNS1_25lookback_scan_determinismE0ELb1ELb1ES3_N6thrust23THRUST_200600_302600_NS6detail15normal_iteratorINS9_10device_ptrIiEEEESE_iNS9_4plusIiEEiEEDaPvRmT3_T4_T5_mT6_P12ihipStream_tbENKUlT_T0_E_clISt17integral_constantIbLb0EESU_EEDaSP_SQ_EUlSP_E0_NS1_11comp_targetILNS1_3genE2ELNS1_11target_archE906ELNS1_3gpuE6ELNS1_3repE0EEENS1_30default_config_static_selectorELNS0_4arch9wavefront6targetE1EEEvT1_
; %bb.0:
	.section	.rodata,"a",@progbits
	.p2align	6, 0x0
	.amdhsa_kernel _ZN7rocprim17ROCPRIM_400000_NS6detail17trampoline_kernelINS0_14default_configENS1_20scan_config_selectorIiEEZZNS1_9scan_implILNS1_25lookback_scan_determinismE0ELb1ELb1ES3_N6thrust23THRUST_200600_302600_NS6detail15normal_iteratorINS9_10device_ptrIiEEEESE_iNS9_4plusIiEEiEEDaPvRmT3_T4_T5_mT6_P12ihipStream_tbENKUlT_T0_E_clISt17integral_constantIbLb0EESU_EEDaSP_SQ_EUlSP_E0_NS1_11comp_targetILNS1_3genE2ELNS1_11target_archE906ELNS1_3gpuE6ELNS1_3repE0EEENS1_30default_config_static_selectorELNS0_4arch9wavefront6targetE1EEEvT1_
		.amdhsa_group_segment_fixed_size 0
		.amdhsa_private_segment_fixed_size 0
		.amdhsa_kernarg_size 32
		.amdhsa_user_sgpr_count 6
		.amdhsa_user_sgpr_private_segment_buffer 1
		.amdhsa_user_sgpr_dispatch_ptr 0
		.amdhsa_user_sgpr_queue_ptr 0
		.amdhsa_user_sgpr_kernarg_segment_ptr 1
		.amdhsa_user_sgpr_dispatch_id 0
		.amdhsa_user_sgpr_flat_scratch_init 0
		.amdhsa_user_sgpr_kernarg_preload_length 0
		.amdhsa_user_sgpr_kernarg_preload_offset 0
		.amdhsa_user_sgpr_private_segment_size 0
		.amdhsa_uses_dynamic_stack 0
		.amdhsa_system_sgpr_private_segment_wavefront_offset 0
		.amdhsa_system_sgpr_workgroup_id_x 1
		.amdhsa_system_sgpr_workgroup_id_y 0
		.amdhsa_system_sgpr_workgroup_id_z 0
		.amdhsa_system_sgpr_workgroup_info 0
		.amdhsa_system_vgpr_workitem_id 0
		.amdhsa_next_free_vgpr 1
		.amdhsa_next_free_sgpr 0
		.amdhsa_accum_offset 4
		.amdhsa_reserve_vcc 0
		.amdhsa_reserve_flat_scratch 0
		.amdhsa_float_round_mode_32 0
		.amdhsa_float_round_mode_16_64 0
		.amdhsa_float_denorm_mode_32 3
		.amdhsa_float_denorm_mode_16_64 3
		.amdhsa_dx10_clamp 1
		.amdhsa_ieee_mode 1
		.amdhsa_fp16_overflow 0
		.amdhsa_tg_split 0
		.amdhsa_exception_fp_ieee_invalid_op 0
		.amdhsa_exception_fp_denorm_src 0
		.amdhsa_exception_fp_ieee_div_zero 0
		.amdhsa_exception_fp_ieee_overflow 0
		.amdhsa_exception_fp_ieee_underflow 0
		.amdhsa_exception_fp_ieee_inexact 0
		.amdhsa_exception_int_div_zero 0
	.end_amdhsa_kernel
	.section	.text._ZN7rocprim17ROCPRIM_400000_NS6detail17trampoline_kernelINS0_14default_configENS1_20scan_config_selectorIiEEZZNS1_9scan_implILNS1_25lookback_scan_determinismE0ELb1ELb1ES3_N6thrust23THRUST_200600_302600_NS6detail15normal_iteratorINS9_10device_ptrIiEEEESE_iNS9_4plusIiEEiEEDaPvRmT3_T4_T5_mT6_P12ihipStream_tbENKUlT_T0_E_clISt17integral_constantIbLb0EESU_EEDaSP_SQ_EUlSP_E0_NS1_11comp_targetILNS1_3genE2ELNS1_11target_archE906ELNS1_3gpuE6ELNS1_3repE0EEENS1_30default_config_static_selectorELNS0_4arch9wavefront6targetE1EEEvT1_,"axG",@progbits,_ZN7rocprim17ROCPRIM_400000_NS6detail17trampoline_kernelINS0_14default_configENS1_20scan_config_selectorIiEEZZNS1_9scan_implILNS1_25lookback_scan_determinismE0ELb1ELb1ES3_N6thrust23THRUST_200600_302600_NS6detail15normal_iteratorINS9_10device_ptrIiEEEESE_iNS9_4plusIiEEiEEDaPvRmT3_T4_T5_mT6_P12ihipStream_tbENKUlT_T0_E_clISt17integral_constantIbLb0EESU_EEDaSP_SQ_EUlSP_E0_NS1_11comp_targetILNS1_3genE2ELNS1_11target_archE906ELNS1_3gpuE6ELNS1_3repE0EEENS1_30default_config_static_selectorELNS0_4arch9wavefront6targetE1EEEvT1_,comdat
.Lfunc_end673:
	.size	_ZN7rocprim17ROCPRIM_400000_NS6detail17trampoline_kernelINS0_14default_configENS1_20scan_config_selectorIiEEZZNS1_9scan_implILNS1_25lookback_scan_determinismE0ELb1ELb1ES3_N6thrust23THRUST_200600_302600_NS6detail15normal_iteratorINS9_10device_ptrIiEEEESE_iNS9_4plusIiEEiEEDaPvRmT3_T4_T5_mT6_P12ihipStream_tbENKUlT_T0_E_clISt17integral_constantIbLb0EESU_EEDaSP_SQ_EUlSP_E0_NS1_11comp_targetILNS1_3genE2ELNS1_11target_archE906ELNS1_3gpuE6ELNS1_3repE0EEENS1_30default_config_static_selectorELNS0_4arch9wavefront6targetE1EEEvT1_, .Lfunc_end673-_ZN7rocprim17ROCPRIM_400000_NS6detail17trampoline_kernelINS0_14default_configENS1_20scan_config_selectorIiEEZZNS1_9scan_implILNS1_25lookback_scan_determinismE0ELb1ELb1ES3_N6thrust23THRUST_200600_302600_NS6detail15normal_iteratorINS9_10device_ptrIiEEEESE_iNS9_4plusIiEEiEEDaPvRmT3_T4_T5_mT6_P12ihipStream_tbENKUlT_T0_E_clISt17integral_constantIbLb0EESU_EEDaSP_SQ_EUlSP_E0_NS1_11comp_targetILNS1_3genE2ELNS1_11target_archE906ELNS1_3gpuE6ELNS1_3repE0EEENS1_30default_config_static_selectorELNS0_4arch9wavefront6targetE1EEEvT1_
                                        ; -- End function
	.section	.AMDGPU.csdata,"",@progbits
; Kernel info:
; codeLenInByte = 0
; NumSgprs: 4
; NumVgprs: 0
; NumAgprs: 0
; TotalNumVgprs: 0
; ScratchSize: 0
; MemoryBound: 0
; FloatMode: 240
; IeeeMode: 1
; LDSByteSize: 0 bytes/workgroup (compile time only)
; SGPRBlocks: 0
; VGPRBlocks: 0
; NumSGPRsForWavesPerEU: 4
; NumVGPRsForWavesPerEU: 1
; AccumOffset: 4
; Occupancy: 8
; WaveLimiterHint : 0
; COMPUTE_PGM_RSRC2:SCRATCH_EN: 0
; COMPUTE_PGM_RSRC2:USER_SGPR: 6
; COMPUTE_PGM_RSRC2:TRAP_HANDLER: 0
; COMPUTE_PGM_RSRC2:TGID_X_EN: 1
; COMPUTE_PGM_RSRC2:TGID_Y_EN: 0
; COMPUTE_PGM_RSRC2:TGID_Z_EN: 0
; COMPUTE_PGM_RSRC2:TIDIG_COMP_CNT: 0
; COMPUTE_PGM_RSRC3_GFX90A:ACCUM_OFFSET: 0
; COMPUTE_PGM_RSRC3_GFX90A:TG_SPLIT: 0
	.section	.text._ZN7rocprim17ROCPRIM_400000_NS6detail17trampoline_kernelINS0_14default_configENS1_20scan_config_selectorIiEEZZNS1_9scan_implILNS1_25lookback_scan_determinismE0ELb1ELb1ES3_N6thrust23THRUST_200600_302600_NS6detail15normal_iteratorINS9_10device_ptrIiEEEESE_iNS9_4plusIiEEiEEDaPvRmT3_T4_T5_mT6_P12ihipStream_tbENKUlT_T0_E_clISt17integral_constantIbLb0EESU_EEDaSP_SQ_EUlSP_E0_NS1_11comp_targetILNS1_3genE10ELNS1_11target_archE1201ELNS1_3gpuE5ELNS1_3repE0EEENS1_30default_config_static_selectorELNS0_4arch9wavefront6targetE1EEEvT1_,"axG",@progbits,_ZN7rocprim17ROCPRIM_400000_NS6detail17trampoline_kernelINS0_14default_configENS1_20scan_config_selectorIiEEZZNS1_9scan_implILNS1_25lookback_scan_determinismE0ELb1ELb1ES3_N6thrust23THRUST_200600_302600_NS6detail15normal_iteratorINS9_10device_ptrIiEEEESE_iNS9_4plusIiEEiEEDaPvRmT3_T4_T5_mT6_P12ihipStream_tbENKUlT_T0_E_clISt17integral_constantIbLb0EESU_EEDaSP_SQ_EUlSP_E0_NS1_11comp_targetILNS1_3genE10ELNS1_11target_archE1201ELNS1_3gpuE5ELNS1_3repE0EEENS1_30default_config_static_selectorELNS0_4arch9wavefront6targetE1EEEvT1_,comdat
	.protected	_ZN7rocprim17ROCPRIM_400000_NS6detail17trampoline_kernelINS0_14default_configENS1_20scan_config_selectorIiEEZZNS1_9scan_implILNS1_25lookback_scan_determinismE0ELb1ELb1ES3_N6thrust23THRUST_200600_302600_NS6detail15normal_iteratorINS9_10device_ptrIiEEEESE_iNS9_4plusIiEEiEEDaPvRmT3_T4_T5_mT6_P12ihipStream_tbENKUlT_T0_E_clISt17integral_constantIbLb0EESU_EEDaSP_SQ_EUlSP_E0_NS1_11comp_targetILNS1_3genE10ELNS1_11target_archE1201ELNS1_3gpuE5ELNS1_3repE0EEENS1_30default_config_static_selectorELNS0_4arch9wavefront6targetE1EEEvT1_ ; -- Begin function _ZN7rocprim17ROCPRIM_400000_NS6detail17trampoline_kernelINS0_14default_configENS1_20scan_config_selectorIiEEZZNS1_9scan_implILNS1_25lookback_scan_determinismE0ELb1ELb1ES3_N6thrust23THRUST_200600_302600_NS6detail15normal_iteratorINS9_10device_ptrIiEEEESE_iNS9_4plusIiEEiEEDaPvRmT3_T4_T5_mT6_P12ihipStream_tbENKUlT_T0_E_clISt17integral_constantIbLb0EESU_EEDaSP_SQ_EUlSP_E0_NS1_11comp_targetILNS1_3genE10ELNS1_11target_archE1201ELNS1_3gpuE5ELNS1_3repE0EEENS1_30default_config_static_selectorELNS0_4arch9wavefront6targetE1EEEvT1_
	.globl	_ZN7rocprim17ROCPRIM_400000_NS6detail17trampoline_kernelINS0_14default_configENS1_20scan_config_selectorIiEEZZNS1_9scan_implILNS1_25lookback_scan_determinismE0ELb1ELb1ES3_N6thrust23THRUST_200600_302600_NS6detail15normal_iteratorINS9_10device_ptrIiEEEESE_iNS9_4plusIiEEiEEDaPvRmT3_T4_T5_mT6_P12ihipStream_tbENKUlT_T0_E_clISt17integral_constantIbLb0EESU_EEDaSP_SQ_EUlSP_E0_NS1_11comp_targetILNS1_3genE10ELNS1_11target_archE1201ELNS1_3gpuE5ELNS1_3repE0EEENS1_30default_config_static_selectorELNS0_4arch9wavefront6targetE1EEEvT1_
	.p2align	8
	.type	_ZN7rocprim17ROCPRIM_400000_NS6detail17trampoline_kernelINS0_14default_configENS1_20scan_config_selectorIiEEZZNS1_9scan_implILNS1_25lookback_scan_determinismE0ELb1ELb1ES3_N6thrust23THRUST_200600_302600_NS6detail15normal_iteratorINS9_10device_ptrIiEEEESE_iNS9_4plusIiEEiEEDaPvRmT3_T4_T5_mT6_P12ihipStream_tbENKUlT_T0_E_clISt17integral_constantIbLb0EESU_EEDaSP_SQ_EUlSP_E0_NS1_11comp_targetILNS1_3genE10ELNS1_11target_archE1201ELNS1_3gpuE5ELNS1_3repE0EEENS1_30default_config_static_selectorELNS0_4arch9wavefront6targetE1EEEvT1_,@function
_ZN7rocprim17ROCPRIM_400000_NS6detail17trampoline_kernelINS0_14default_configENS1_20scan_config_selectorIiEEZZNS1_9scan_implILNS1_25lookback_scan_determinismE0ELb1ELb1ES3_N6thrust23THRUST_200600_302600_NS6detail15normal_iteratorINS9_10device_ptrIiEEEESE_iNS9_4plusIiEEiEEDaPvRmT3_T4_T5_mT6_P12ihipStream_tbENKUlT_T0_E_clISt17integral_constantIbLb0EESU_EEDaSP_SQ_EUlSP_E0_NS1_11comp_targetILNS1_3genE10ELNS1_11target_archE1201ELNS1_3gpuE5ELNS1_3repE0EEENS1_30default_config_static_selectorELNS0_4arch9wavefront6targetE1EEEvT1_: ; @_ZN7rocprim17ROCPRIM_400000_NS6detail17trampoline_kernelINS0_14default_configENS1_20scan_config_selectorIiEEZZNS1_9scan_implILNS1_25lookback_scan_determinismE0ELb1ELb1ES3_N6thrust23THRUST_200600_302600_NS6detail15normal_iteratorINS9_10device_ptrIiEEEESE_iNS9_4plusIiEEiEEDaPvRmT3_T4_T5_mT6_P12ihipStream_tbENKUlT_T0_E_clISt17integral_constantIbLb0EESU_EEDaSP_SQ_EUlSP_E0_NS1_11comp_targetILNS1_3genE10ELNS1_11target_archE1201ELNS1_3gpuE5ELNS1_3repE0EEENS1_30default_config_static_selectorELNS0_4arch9wavefront6targetE1EEEvT1_
; %bb.0:
	.section	.rodata,"a",@progbits
	.p2align	6, 0x0
	.amdhsa_kernel _ZN7rocprim17ROCPRIM_400000_NS6detail17trampoline_kernelINS0_14default_configENS1_20scan_config_selectorIiEEZZNS1_9scan_implILNS1_25lookback_scan_determinismE0ELb1ELb1ES3_N6thrust23THRUST_200600_302600_NS6detail15normal_iteratorINS9_10device_ptrIiEEEESE_iNS9_4plusIiEEiEEDaPvRmT3_T4_T5_mT6_P12ihipStream_tbENKUlT_T0_E_clISt17integral_constantIbLb0EESU_EEDaSP_SQ_EUlSP_E0_NS1_11comp_targetILNS1_3genE10ELNS1_11target_archE1201ELNS1_3gpuE5ELNS1_3repE0EEENS1_30default_config_static_selectorELNS0_4arch9wavefront6targetE1EEEvT1_
		.amdhsa_group_segment_fixed_size 0
		.amdhsa_private_segment_fixed_size 0
		.amdhsa_kernarg_size 32
		.amdhsa_user_sgpr_count 6
		.amdhsa_user_sgpr_private_segment_buffer 1
		.amdhsa_user_sgpr_dispatch_ptr 0
		.amdhsa_user_sgpr_queue_ptr 0
		.amdhsa_user_sgpr_kernarg_segment_ptr 1
		.amdhsa_user_sgpr_dispatch_id 0
		.amdhsa_user_sgpr_flat_scratch_init 0
		.amdhsa_user_sgpr_kernarg_preload_length 0
		.amdhsa_user_sgpr_kernarg_preload_offset 0
		.amdhsa_user_sgpr_private_segment_size 0
		.amdhsa_uses_dynamic_stack 0
		.amdhsa_system_sgpr_private_segment_wavefront_offset 0
		.amdhsa_system_sgpr_workgroup_id_x 1
		.amdhsa_system_sgpr_workgroup_id_y 0
		.amdhsa_system_sgpr_workgroup_id_z 0
		.amdhsa_system_sgpr_workgroup_info 0
		.amdhsa_system_vgpr_workitem_id 0
		.amdhsa_next_free_vgpr 1
		.amdhsa_next_free_sgpr 0
		.amdhsa_accum_offset 4
		.amdhsa_reserve_vcc 0
		.amdhsa_reserve_flat_scratch 0
		.amdhsa_float_round_mode_32 0
		.amdhsa_float_round_mode_16_64 0
		.amdhsa_float_denorm_mode_32 3
		.amdhsa_float_denorm_mode_16_64 3
		.amdhsa_dx10_clamp 1
		.amdhsa_ieee_mode 1
		.amdhsa_fp16_overflow 0
		.amdhsa_tg_split 0
		.amdhsa_exception_fp_ieee_invalid_op 0
		.amdhsa_exception_fp_denorm_src 0
		.amdhsa_exception_fp_ieee_div_zero 0
		.amdhsa_exception_fp_ieee_overflow 0
		.amdhsa_exception_fp_ieee_underflow 0
		.amdhsa_exception_fp_ieee_inexact 0
		.amdhsa_exception_int_div_zero 0
	.end_amdhsa_kernel
	.section	.text._ZN7rocprim17ROCPRIM_400000_NS6detail17trampoline_kernelINS0_14default_configENS1_20scan_config_selectorIiEEZZNS1_9scan_implILNS1_25lookback_scan_determinismE0ELb1ELb1ES3_N6thrust23THRUST_200600_302600_NS6detail15normal_iteratorINS9_10device_ptrIiEEEESE_iNS9_4plusIiEEiEEDaPvRmT3_T4_T5_mT6_P12ihipStream_tbENKUlT_T0_E_clISt17integral_constantIbLb0EESU_EEDaSP_SQ_EUlSP_E0_NS1_11comp_targetILNS1_3genE10ELNS1_11target_archE1201ELNS1_3gpuE5ELNS1_3repE0EEENS1_30default_config_static_selectorELNS0_4arch9wavefront6targetE1EEEvT1_,"axG",@progbits,_ZN7rocprim17ROCPRIM_400000_NS6detail17trampoline_kernelINS0_14default_configENS1_20scan_config_selectorIiEEZZNS1_9scan_implILNS1_25lookback_scan_determinismE0ELb1ELb1ES3_N6thrust23THRUST_200600_302600_NS6detail15normal_iteratorINS9_10device_ptrIiEEEESE_iNS9_4plusIiEEiEEDaPvRmT3_T4_T5_mT6_P12ihipStream_tbENKUlT_T0_E_clISt17integral_constantIbLb0EESU_EEDaSP_SQ_EUlSP_E0_NS1_11comp_targetILNS1_3genE10ELNS1_11target_archE1201ELNS1_3gpuE5ELNS1_3repE0EEENS1_30default_config_static_selectorELNS0_4arch9wavefront6targetE1EEEvT1_,comdat
.Lfunc_end674:
	.size	_ZN7rocprim17ROCPRIM_400000_NS6detail17trampoline_kernelINS0_14default_configENS1_20scan_config_selectorIiEEZZNS1_9scan_implILNS1_25lookback_scan_determinismE0ELb1ELb1ES3_N6thrust23THRUST_200600_302600_NS6detail15normal_iteratorINS9_10device_ptrIiEEEESE_iNS9_4plusIiEEiEEDaPvRmT3_T4_T5_mT6_P12ihipStream_tbENKUlT_T0_E_clISt17integral_constantIbLb0EESU_EEDaSP_SQ_EUlSP_E0_NS1_11comp_targetILNS1_3genE10ELNS1_11target_archE1201ELNS1_3gpuE5ELNS1_3repE0EEENS1_30default_config_static_selectorELNS0_4arch9wavefront6targetE1EEEvT1_, .Lfunc_end674-_ZN7rocprim17ROCPRIM_400000_NS6detail17trampoline_kernelINS0_14default_configENS1_20scan_config_selectorIiEEZZNS1_9scan_implILNS1_25lookback_scan_determinismE0ELb1ELb1ES3_N6thrust23THRUST_200600_302600_NS6detail15normal_iteratorINS9_10device_ptrIiEEEESE_iNS9_4plusIiEEiEEDaPvRmT3_T4_T5_mT6_P12ihipStream_tbENKUlT_T0_E_clISt17integral_constantIbLb0EESU_EEDaSP_SQ_EUlSP_E0_NS1_11comp_targetILNS1_3genE10ELNS1_11target_archE1201ELNS1_3gpuE5ELNS1_3repE0EEENS1_30default_config_static_selectorELNS0_4arch9wavefront6targetE1EEEvT1_
                                        ; -- End function
	.section	.AMDGPU.csdata,"",@progbits
; Kernel info:
; codeLenInByte = 0
; NumSgprs: 4
; NumVgprs: 0
; NumAgprs: 0
; TotalNumVgprs: 0
; ScratchSize: 0
; MemoryBound: 0
; FloatMode: 240
; IeeeMode: 1
; LDSByteSize: 0 bytes/workgroup (compile time only)
; SGPRBlocks: 0
; VGPRBlocks: 0
; NumSGPRsForWavesPerEU: 4
; NumVGPRsForWavesPerEU: 1
; AccumOffset: 4
; Occupancy: 8
; WaveLimiterHint : 0
; COMPUTE_PGM_RSRC2:SCRATCH_EN: 0
; COMPUTE_PGM_RSRC2:USER_SGPR: 6
; COMPUTE_PGM_RSRC2:TRAP_HANDLER: 0
; COMPUTE_PGM_RSRC2:TGID_X_EN: 1
; COMPUTE_PGM_RSRC2:TGID_Y_EN: 0
; COMPUTE_PGM_RSRC2:TGID_Z_EN: 0
; COMPUTE_PGM_RSRC2:TIDIG_COMP_CNT: 0
; COMPUTE_PGM_RSRC3_GFX90A:ACCUM_OFFSET: 0
; COMPUTE_PGM_RSRC3_GFX90A:TG_SPLIT: 0
	.section	.text._ZN7rocprim17ROCPRIM_400000_NS6detail17trampoline_kernelINS0_14default_configENS1_20scan_config_selectorIiEEZZNS1_9scan_implILNS1_25lookback_scan_determinismE0ELb1ELb1ES3_N6thrust23THRUST_200600_302600_NS6detail15normal_iteratorINS9_10device_ptrIiEEEESE_iNS9_4plusIiEEiEEDaPvRmT3_T4_T5_mT6_P12ihipStream_tbENKUlT_T0_E_clISt17integral_constantIbLb0EESU_EEDaSP_SQ_EUlSP_E0_NS1_11comp_targetILNS1_3genE10ELNS1_11target_archE1200ELNS1_3gpuE4ELNS1_3repE0EEENS1_30default_config_static_selectorELNS0_4arch9wavefront6targetE1EEEvT1_,"axG",@progbits,_ZN7rocprim17ROCPRIM_400000_NS6detail17trampoline_kernelINS0_14default_configENS1_20scan_config_selectorIiEEZZNS1_9scan_implILNS1_25lookback_scan_determinismE0ELb1ELb1ES3_N6thrust23THRUST_200600_302600_NS6detail15normal_iteratorINS9_10device_ptrIiEEEESE_iNS9_4plusIiEEiEEDaPvRmT3_T4_T5_mT6_P12ihipStream_tbENKUlT_T0_E_clISt17integral_constantIbLb0EESU_EEDaSP_SQ_EUlSP_E0_NS1_11comp_targetILNS1_3genE10ELNS1_11target_archE1200ELNS1_3gpuE4ELNS1_3repE0EEENS1_30default_config_static_selectorELNS0_4arch9wavefront6targetE1EEEvT1_,comdat
	.protected	_ZN7rocprim17ROCPRIM_400000_NS6detail17trampoline_kernelINS0_14default_configENS1_20scan_config_selectorIiEEZZNS1_9scan_implILNS1_25lookback_scan_determinismE0ELb1ELb1ES3_N6thrust23THRUST_200600_302600_NS6detail15normal_iteratorINS9_10device_ptrIiEEEESE_iNS9_4plusIiEEiEEDaPvRmT3_T4_T5_mT6_P12ihipStream_tbENKUlT_T0_E_clISt17integral_constantIbLb0EESU_EEDaSP_SQ_EUlSP_E0_NS1_11comp_targetILNS1_3genE10ELNS1_11target_archE1200ELNS1_3gpuE4ELNS1_3repE0EEENS1_30default_config_static_selectorELNS0_4arch9wavefront6targetE1EEEvT1_ ; -- Begin function _ZN7rocprim17ROCPRIM_400000_NS6detail17trampoline_kernelINS0_14default_configENS1_20scan_config_selectorIiEEZZNS1_9scan_implILNS1_25lookback_scan_determinismE0ELb1ELb1ES3_N6thrust23THRUST_200600_302600_NS6detail15normal_iteratorINS9_10device_ptrIiEEEESE_iNS9_4plusIiEEiEEDaPvRmT3_T4_T5_mT6_P12ihipStream_tbENKUlT_T0_E_clISt17integral_constantIbLb0EESU_EEDaSP_SQ_EUlSP_E0_NS1_11comp_targetILNS1_3genE10ELNS1_11target_archE1200ELNS1_3gpuE4ELNS1_3repE0EEENS1_30default_config_static_selectorELNS0_4arch9wavefront6targetE1EEEvT1_
	.globl	_ZN7rocprim17ROCPRIM_400000_NS6detail17trampoline_kernelINS0_14default_configENS1_20scan_config_selectorIiEEZZNS1_9scan_implILNS1_25lookback_scan_determinismE0ELb1ELb1ES3_N6thrust23THRUST_200600_302600_NS6detail15normal_iteratorINS9_10device_ptrIiEEEESE_iNS9_4plusIiEEiEEDaPvRmT3_T4_T5_mT6_P12ihipStream_tbENKUlT_T0_E_clISt17integral_constantIbLb0EESU_EEDaSP_SQ_EUlSP_E0_NS1_11comp_targetILNS1_3genE10ELNS1_11target_archE1200ELNS1_3gpuE4ELNS1_3repE0EEENS1_30default_config_static_selectorELNS0_4arch9wavefront6targetE1EEEvT1_
	.p2align	8
	.type	_ZN7rocprim17ROCPRIM_400000_NS6detail17trampoline_kernelINS0_14default_configENS1_20scan_config_selectorIiEEZZNS1_9scan_implILNS1_25lookback_scan_determinismE0ELb1ELb1ES3_N6thrust23THRUST_200600_302600_NS6detail15normal_iteratorINS9_10device_ptrIiEEEESE_iNS9_4plusIiEEiEEDaPvRmT3_T4_T5_mT6_P12ihipStream_tbENKUlT_T0_E_clISt17integral_constantIbLb0EESU_EEDaSP_SQ_EUlSP_E0_NS1_11comp_targetILNS1_3genE10ELNS1_11target_archE1200ELNS1_3gpuE4ELNS1_3repE0EEENS1_30default_config_static_selectorELNS0_4arch9wavefront6targetE1EEEvT1_,@function
_ZN7rocprim17ROCPRIM_400000_NS6detail17trampoline_kernelINS0_14default_configENS1_20scan_config_selectorIiEEZZNS1_9scan_implILNS1_25lookback_scan_determinismE0ELb1ELb1ES3_N6thrust23THRUST_200600_302600_NS6detail15normal_iteratorINS9_10device_ptrIiEEEESE_iNS9_4plusIiEEiEEDaPvRmT3_T4_T5_mT6_P12ihipStream_tbENKUlT_T0_E_clISt17integral_constantIbLb0EESU_EEDaSP_SQ_EUlSP_E0_NS1_11comp_targetILNS1_3genE10ELNS1_11target_archE1200ELNS1_3gpuE4ELNS1_3repE0EEENS1_30default_config_static_selectorELNS0_4arch9wavefront6targetE1EEEvT1_: ; @_ZN7rocprim17ROCPRIM_400000_NS6detail17trampoline_kernelINS0_14default_configENS1_20scan_config_selectorIiEEZZNS1_9scan_implILNS1_25lookback_scan_determinismE0ELb1ELb1ES3_N6thrust23THRUST_200600_302600_NS6detail15normal_iteratorINS9_10device_ptrIiEEEESE_iNS9_4plusIiEEiEEDaPvRmT3_T4_T5_mT6_P12ihipStream_tbENKUlT_T0_E_clISt17integral_constantIbLb0EESU_EEDaSP_SQ_EUlSP_E0_NS1_11comp_targetILNS1_3genE10ELNS1_11target_archE1200ELNS1_3gpuE4ELNS1_3repE0EEENS1_30default_config_static_selectorELNS0_4arch9wavefront6targetE1EEEvT1_
; %bb.0:
	.section	.rodata,"a",@progbits
	.p2align	6, 0x0
	.amdhsa_kernel _ZN7rocprim17ROCPRIM_400000_NS6detail17trampoline_kernelINS0_14default_configENS1_20scan_config_selectorIiEEZZNS1_9scan_implILNS1_25lookback_scan_determinismE0ELb1ELb1ES3_N6thrust23THRUST_200600_302600_NS6detail15normal_iteratorINS9_10device_ptrIiEEEESE_iNS9_4plusIiEEiEEDaPvRmT3_T4_T5_mT6_P12ihipStream_tbENKUlT_T0_E_clISt17integral_constantIbLb0EESU_EEDaSP_SQ_EUlSP_E0_NS1_11comp_targetILNS1_3genE10ELNS1_11target_archE1200ELNS1_3gpuE4ELNS1_3repE0EEENS1_30default_config_static_selectorELNS0_4arch9wavefront6targetE1EEEvT1_
		.amdhsa_group_segment_fixed_size 0
		.amdhsa_private_segment_fixed_size 0
		.amdhsa_kernarg_size 32
		.amdhsa_user_sgpr_count 6
		.amdhsa_user_sgpr_private_segment_buffer 1
		.amdhsa_user_sgpr_dispatch_ptr 0
		.amdhsa_user_sgpr_queue_ptr 0
		.amdhsa_user_sgpr_kernarg_segment_ptr 1
		.amdhsa_user_sgpr_dispatch_id 0
		.amdhsa_user_sgpr_flat_scratch_init 0
		.amdhsa_user_sgpr_kernarg_preload_length 0
		.amdhsa_user_sgpr_kernarg_preload_offset 0
		.amdhsa_user_sgpr_private_segment_size 0
		.amdhsa_uses_dynamic_stack 0
		.amdhsa_system_sgpr_private_segment_wavefront_offset 0
		.amdhsa_system_sgpr_workgroup_id_x 1
		.amdhsa_system_sgpr_workgroup_id_y 0
		.amdhsa_system_sgpr_workgroup_id_z 0
		.amdhsa_system_sgpr_workgroup_info 0
		.amdhsa_system_vgpr_workitem_id 0
		.amdhsa_next_free_vgpr 1
		.amdhsa_next_free_sgpr 0
		.amdhsa_accum_offset 4
		.amdhsa_reserve_vcc 0
		.amdhsa_reserve_flat_scratch 0
		.amdhsa_float_round_mode_32 0
		.amdhsa_float_round_mode_16_64 0
		.amdhsa_float_denorm_mode_32 3
		.amdhsa_float_denorm_mode_16_64 3
		.amdhsa_dx10_clamp 1
		.amdhsa_ieee_mode 1
		.amdhsa_fp16_overflow 0
		.amdhsa_tg_split 0
		.amdhsa_exception_fp_ieee_invalid_op 0
		.amdhsa_exception_fp_denorm_src 0
		.amdhsa_exception_fp_ieee_div_zero 0
		.amdhsa_exception_fp_ieee_overflow 0
		.amdhsa_exception_fp_ieee_underflow 0
		.amdhsa_exception_fp_ieee_inexact 0
		.amdhsa_exception_int_div_zero 0
	.end_amdhsa_kernel
	.section	.text._ZN7rocprim17ROCPRIM_400000_NS6detail17trampoline_kernelINS0_14default_configENS1_20scan_config_selectorIiEEZZNS1_9scan_implILNS1_25lookback_scan_determinismE0ELb1ELb1ES3_N6thrust23THRUST_200600_302600_NS6detail15normal_iteratorINS9_10device_ptrIiEEEESE_iNS9_4plusIiEEiEEDaPvRmT3_T4_T5_mT6_P12ihipStream_tbENKUlT_T0_E_clISt17integral_constantIbLb0EESU_EEDaSP_SQ_EUlSP_E0_NS1_11comp_targetILNS1_3genE10ELNS1_11target_archE1200ELNS1_3gpuE4ELNS1_3repE0EEENS1_30default_config_static_selectorELNS0_4arch9wavefront6targetE1EEEvT1_,"axG",@progbits,_ZN7rocprim17ROCPRIM_400000_NS6detail17trampoline_kernelINS0_14default_configENS1_20scan_config_selectorIiEEZZNS1_9scan_implILNS1_25lookback_scan_determinismE0ELb1ELb1ES3_N6thrust23THRUST_200600_302600_NS6detail15normal_iteratorINS9_10device_ptrIiEEEESE_iNS9_4plusIiEEiEEDaPvRmT3_T4_T5_mT6_P12ihipStream_tbENKUlT_T0_E_clISt17integral_constantIbLb0EESU_EEDaSP_SQ_EUlSP_E0_NS1_11comp_targetILNS1_3genE10ELNS1_11target_archE1200ELNS1_3gpuE4ELNS1_3repE0EEENS1_30default_config_static_selectorELNS0_4arch9wavefront6targetE1EEEvT1_,comdat
.Lfunc_end675:
	.size	_ZN7rocprim17ROCPRIM_400000_NS6detail17trampoline_kernelINS0_14default_configENS1_20scan_config_selectorIiEEZZNS1_9scan_implILNS1_25lookback_scan_determinismE0ELb1ELb1ES3_N6thrust23THRUST_200600_302600_NS6detail15normal_iteratorINS9_10device_ptrIiEEEESE_iNS9_4plusIiEEiEEDaPvRmT3_T4_T5_mT6_P12ihipStream_tbENKUlT_T0_E_clISt17integral_constantIbLb0EESU_EEDaSP_SQ_EUlSP_E0_NS1_11comp_targetILNS1_3genE10ELNS1_11target_archE1200ELNS1_3gpuE4ELNS1_3repE0EEENS1_30default_config_static_selectorELNS0_4arch9wavefront6targetE1EEEvT1_, .Lfunc_end675-_ZN7rocprim17ROCPRIM_400000_NS6detail17trampoline_kernelINS0_14default_configENS1_20scan_config_selectorIiEEZZNS1_9scan_implILNS1_25lookback_scan_determinismE0ELb1ELb1ES3_N6thrust23THRUST_200600_302600_NS6detail15normal_iteratorINS9_10device_ptrIiEEEESE_iNS9_4plusIiEEiEEDaPvRmT3_T4_T5_mT6_P12ihipStream_tbENKUlT_T0_E_clISt17integral_constantIbLb0EESU_EEDaSP_SQ_EUlSP_E0_NS1_11comp_targetILNS1_3genE10ELNS1_11target_archE1200ELNS1_3gpuE4ELNS1_3repE0EEENS1_30default_config_static_selectorELNS0_4arch9wavefront6targetE1EEEvT1_
                                        ; -- End function
	.section	.AMDGPU.csdata,"",@progbits
; Kernel info:
; codeLenInByte = 0
; NumSgprs: 4
; NumVgprs: 0
; NumAgprs: 0
; TotalNumVgprs: 0
; ScratchSize: 0
; MemoryBound: 0
; FloatMode: 240
; IeeeMode: 1
; LDSByteSize: 0 bytes/workgroup (compile time only)
; SGPRBlocks: 0
; VGPRBlocks: 0
; NumSGPRsForWavesPerEU: 4
; NumVGPRsForWavesPerEU: 1
; AccumOffset: 4
; Occupancy: 8
; WaveLimiterHint : 0
; COMPUTE_PGM_RSRC2:SCRATCH_EN: 0
; COMPUTE_PGM_RSRC2:USER_SGPR: 6
; COMPUTE_PGM_RSRC2:TRAP_HANDLER: 0
; COMPUTE_PGM_RSRC2:TGID_X_EN: 1
; COMPUTE_PGM_RSRC2:TGID_Y_EN: 0
; COMPUTE_PGM_RSRC2:TGID_Z_EN: 0
; COMPUTE_PGM_RSRC2:TIDIG_COMP_CNT: 0
; COMPUTE_PGM_RSRC3_GFX90A:ACCUM_OFFSET: 0
; COMPUTE_PGM_RSRC3_GFX90A:TG_SPLIT: 0
	.section	.text._ZN7rocprim17ROCPRIM_400000_NS6detail17trampoline_kernelINS0_14default_configENS1_20scan_config_selectorIiEEZZNS1_9scan_implILNS1_25lookback_scan_determinismE0ELb1ELb1ES3_N6thrust23THRUST_200600_302600_NS6detail15normal_iteratorINS9_10device_ptrIiEEEESE_iNS9_4plusIiEEiEEDaPvRmT3_T4_T5_mT6_P12ihipStream_tbENKUlT_T0_E_clISt17integral_constantIbLb0EESU_EEDaSP_SQ_EUlSP_E0_NS1_11comp_targetILNS1_3genE9ELNS1_11target_archE1100ELNS1_3gpuE3ELNS1_3repE0EEENS1_30default_config_static_selectorELNS0_4arch9wavefront6targetE1EEEvT1_,"axG",@progbits,_ZN7rocprim17ROCPRIM_400000_NS6detail17trampoline_kernelINS0_14default_configENS1_20scan_config_selectorIiEEZZNS1_9scan_implILNS1_25lookback_scan_determinismE0ELb1ELb1ES3_N6thrust23THRUST_200600_302600_NS6detail15normal_iteratorINS9_10device_ptrIiEEEESE_iNS9_4plusIiEEiEEDaPvRmT3_T4_T5_mT6_P12ihipStream_tbENKUlT_T0_E_clISt17integral_constantIbLb0EESU_EEDaSP_SQ_EUlSP_E0_NS1_11comp_targetILNS1_3genE9ELNS1_11target_archE1100ELNS1_3gpuE3ELNS1_3repE0EEENS1_30default_config_static_selectorELNS0_4arch9wavefront6targetE1EEEvT1_,comdat
	.protected	_ZN7rocprim17ROCPRIM_400000_NS6detail17trampoline_kernelINS0_14default_configENS1_20scan_config_selectorIiEEZZNS1_9scan_implILNS1_25lookback_scan_determinismE0ELb1ELb1ES3_N6thrust23THRUST_200600_302600_NS6detail15normal_iteratorINS9_10device_ptrIiEEEESE_iNS9_4plusIiEEiEEDaPvRmT3_T4_T5_mT6_P12ihipStream_tbENKUlT_T0_E_clISt17integral_constantIbLb0EESU_EEDaSP_SQ_EUlSP_E0_NS1_11comp_targetILNS1_3genE9ELNS1_11target_archE1100ELNS1_3gpuE3ELNS1_3repE0EEENS1_30default_config_static_selectorELNS0_4arch9wavefront6targetE1EEEvT1_ ; -- Begin function _ZN7rocprim17ROCPRIM_400000_NS6detail17trampoline_kernelINS0_14default_configENS1_20scan_config_selectorIiEEZZNS1_9scan_implILNS1_25lookback_scan_determinismE0ELb1ELb1ES3_N6thrust23THRUST_200600_302600_NS6detail15normal_iteratorINS9_10device_ptrIiEEEESE_iNS9_4plusIiEEiEEDaPvRmT3_T4_T5_mT6_P12ihipStream_tbENKUlT_T0_E_clISt17integral_constantIbLb0EESU_EEDaSP_SQ_EUlSP_E0_NS1_11comp_targetILNS1_3genE9ELNS1_11target_archE1100ELNS1_3gpuE3ELNS1_3repE0EEENS1_30default_config_static_selectorELNS0_4arch9wavefront6targetE1EEEvT1_
	.globl	_ZN7rocprim17ROCPRIM_400000_NS6detail17trampoline_kernelINS0_14default_configENS1_20scan_config_selectorIiEEZZNS1_9scan_implILNS1_25lookback_scan_determinismE0ELb1ELb1ES3_N6thrust23THRUST_200600_302600_NS6detail15normal_iteratorINS9_10device_ptrIiEEEESE_iNS9_4plusIiEEiEEDaPvRmT3_T4_T5_mT6_P12ihipStream_tbENKUlT_T0_E_clISt17integral_constantIbLb0EESU_EEDaSP_SQ_EUlSP_E0_NS1_11comp_targetILNS1_3genE9ELNS1_11target_archE1100ELNS1_3gpuE3ELNS1_3repE0EEENS1_30default_config_static_selectorELNS0_4arch9wavefront6targetE1EEEvT1_
	.p2align	8
	.type	_ZN7rocprim17ROCPRIM_400000_NS6detail17trampoline_kernelINS0_14default_configENS1_20scan_config_selectorIiEEZZNS1_9scan_implILNS1_25lookback_scan_determinismE0ELb1ELb1ES3_N6thrust23THRUST_200600_302600_NS6detail15normal_iteratorINS9_10device_ptrIiEEEESE_iNS9_4plusIiEEiEEDaPvRmT3_T4_T5_mT6_P12ihipStream_tbENKUlT_T0_E_clISt17integral_constantIbLb0EESU_EEDaSP_SQ_EUlSP_E0_NS1_11comp_targetILNS1_3genE9ELNS1_11target_archE1100ELNS1_3gpuE3ELNS1_3repE0EEENS1_30default_config_static_selectorELNS0_4arch9wavefront6targetE1EEEvT1_,@function
_ZN7rocprim17ROCPRIM_400000_NS6detail17trampoline_kernelINS0_14default_configENS1_20scan_config_selectorIiEEZZNS1_9scan_implILNS1_25lookback_scan_determinismE0ELb1ELb1ES3_N6thrust23THRUST_200600_302600_NS6detail15normal_iteratorINS9_10device_ptrIiEEEESE_iNS9_4plusIiEEiEEDaPvRmT3_T4_T5_mT6_P12ihipStream_tbENKUlT_T0_E_clISt17integral_constantIbLb0EESU_EEDaSP_SQ_EUlSP_E0_NS1_11comp_targetILNS1_3genE9ELNS1_11target_archE1100ELNS1_3gpuE3ELNS1_3repE0EEENS1_30default_config_static_selectorELNS0_4arch9wavefront6targetE1EEEvT1_: ; @_ZN7rocprim17ROCPRIM_400000_NS6detail17trampoline_kernelINS0_14default_configENS1_20scan_config_selectorIiEEZZNS1_9scan_implILNS1_25lookback_scan_determinismE0ELb1ELb1ES3_N6thrust23THRUST_200600_302600_NS6detail15normal_iteratorINS9_10device_ptrIiEEEESE_iNS9_4plusIiEEiEEDaPvRmT3_T4_T5_mT6_P12ihipStream_tbENKUlT_T0_E_clISt17integral_constantIbLb0EESU_EEDaSP_SQ_EUlSP_E0_NS1_11comp_targetILNS1_3genE9ELNS1_11target_archE1100ELNS1_3gpuE3ELNS1_3repE0EEENS1_30default_config_static_selectorELNS0_4arch9wavefront6targetE1EEEvT1_
; %bb.0:
	.section	.rodata,"a",@progbits
	.p2align	6, 0x0
	.amdhsa_kernel _ZN7rocprim17ROCPRIM_400000_NS6detail17trampoline_kernelINS0_14default_configENS1_20scan_config_selectorIiEEZZNS1_9scan_implILNS1_25lookback_scan_determinismE0ELb1ELb1ES3_N6thrust23THRUST_200600_302600_NS6detail15normal_iteratorINS9_10device_ptrIiEEEESE_iNS9_4plusIiEEiEEDaPvRmT3_T4_T5_mT6_P12ihipStream_tbENKUlT_T0_E_clISt17integral_constantIbLb0EESU_EEDaSP_SQ_EUlSP_E0_NS1_11comp_targetILNS1_3genE9ELNS1_11target_archE1100ELNS1_3gpuE3ELNS1_3repE0EEENS1_30default_config_static_selectorELNS0_4arch9wavefront6targetE1EEEvT1_
		.amdhsa_group_segment_fixed_size 0
		.amdhsa_private_segment_fixed_size 0
		.amdhsa_kernarg_size 32
		.amdhsa_user_sgpr_count 6
		.amdhsa_user_sgpr_private_segment_buffer 1
		.amdhsa_user_sgpr_dispatch_ptr 0
		.amdhsa_user_sgpr_queue_ptr 0
		.amdhsa_user_sgpr_kernarg_segment_ptr 1
		.amdhsa_user_sgpr_dispatch_id 0
		.amdhsa_user_sgpr_flat_scratch_init 0
		.amdhsa_user_sgpr_kernarg_preload_length 0
		.amdhsa_user_sgpr_kernarg_preload_offset 0
		.amdhsa_user_sgpr_private_segment_size 0
		.amdhsa_uses_dynamic_stack 0
		.amdhsa_system_sgpr_private_segment_wavefront_offset 0
		.amdhsa_system_sgpr_workgroup_id_x 1
		.amdhsa_system_sgpr_workgroup_id_y 0
		.amdhsa_system_sgpr_workgroup_id_z 0
		.amdhsa_system_sgpr_workgroup_info 0
		.amdhsa_system_vgpr_workitem_id 0
		.amdhsa_next_free_vgpr 1
		.amdhsa_next_free_sgpr 0
		.amdhsa_accum_offset 4
		.amdhsa_reserve_vcc 0
		.amdhsa_reserve_flat_scratch 0
		.amdhsa_float_round_mode_32 0
		.amdhsa_float_round_mode_16_64 0
		.amdhsa_float_denorm_mode_32 3
		.amdhsa_float_denorm_mode_16_64 3
		.amdhsa_dx10_clamp 1
		.amdhsa_ieee_mode 1
		.amdhsa_fp16_overflow 0
		.amdhsa_tg_split 0
		.amdhsa_exception_fp_ieee_invalid_op 0
		.amdhsa_exception_fp_denorm_src 0
		.amdhsa_exception_fp_ieee_div_zero 0
		.amdhsa_exception_fp_ieee_overflow 0
		.amdhsa_exception_fp_ieee_underflow 0
		.amdhsa_exception_fp_ieee_inexact 0
		.amdhsa_exception_int_div_zero 0
	.end_amdhsa_kernel
	.section	.text._ZN7rocprim17ROCPRIM_400000_NS6detail17trampoline_kernelINS0_14default_configENS1_20scan_config_selectorIiEEZZNS1_9scan_implILNS1_25lookback_scan_determinismE0ELb1ELb1ES3_N6thrust23THRUST_200600_302600_NS6detail15normal_iteratorINS9_10device_ptrIiEEEESE_iNS9_4plusIiEEiEEDaPvRmT3_T4_T5_mT6_P12ihipStream_tbENKUlT_T0_E_clISt17integral_constantIbLb0EESU_EEDaSP_SQ_EUlSP_E0_NS1_11comp_targetILNS1_3genE9ELNS1_11target_archE1100ELNS1_3gpuE3ELNS1_3repE0EEENS1_30default_config_static_selectorELNS0_4arch9wavefront6targetE1EEEvT1_,"axG",@progbits,_ZN7rocprim17ROCPRIM_400000_NS6detail17trampoline_kernelINS0_14default_configENS1_20scan_config_selectorIiEEZZNS1_9scan_implILNS1_25lookback_scan_determinismE0ELb1ELb1ES3_N6thrust23THRUST_200600_302600_NS6detail15normal_iteratorINS9_10device_ptrIiEEEESE_iNS9_4plusIiEEiEEDaPvRmT3_T4_T5_mT6_P12ihipStream_tbENKUlT_T0_E_clISt17integral_constantIbLb0EESU_EEDaSP_SQ_EUlSP_E0_NS1_11comp_targetILNS1_3genE9ELNS1_11target_archE1100ELNS1_3gpuE3ELNS1_3repE0EEENS1_30default_config_static_selectorELNS0_4arch9wavefront6targetE1EEEvT1_,comdat
.Lfunc_end676:
	.size	_ZN7rocprim17ROCPRIM_400000_NS6detail17trampoline_kernelINS0_14default_configENS1_20scan_config_selectorIiEEZZNS1_9scan_implILNS1_25lookback_scan_determinismE0ELb1ELb1ES3_N6thrust23THRUST_200600_302600_NS6detail15normal_iteratorINS9_10device_ptrIiEEEESE_iNS9_4plusIiEEiEEDaPvRmT3_T4_T5_mT6_P12ihipStream_tbENKUlT_T0_E_clISt17integral_constantIbLb0EESU_EEDaSP_SQ_EUlSP_E0_NS1_11comp_targetILNS1_3genE9ELNS1_11target_archE1100ELNS1_3gpuE3ELNS1_3repE0EEENS1_30default_config_static_selectorELNS0_4arch9wavefront6targetE1EEEvT1_, .Lfunc_end676-_ZN7rocprim17ROCPRIM_400000_NS6detail17trampoline_kernelINS0_14default_configENS1_20scan_config_selectorIiEEZZNS1_9scan_implILNS1_25lookback_scan_determinismE0ELb1ELb1ES3_N6thrust23THRUST_200600_302600_NS6detail15normal_iteratorINS9_10device_ptrIiEEEESE_iNS9_4plusIiEEiEEDaPvRmT3_T4_T5_mT6_P12ihipStream_tbENKUlT_T0_E_clISt17integral_constantIbLb0EESU_EEDaSP_SQ_EUlSP_E0_NS1_11comp_targetILNS1_3genE9ELNS1_11target_archE1100ELNS1_3gpuE3ELNS1_3repE0EEENS1_30default_config_static_selectorELNS0_4arch9wavefront6targetE1EEEvT1_
                                        ; -- End function
	.section	.AMDGPU.csdata,"",@progbits
; Kernel info:
; codeLenInByte = 0
; NumSgprs: 4
; NumVgprs: 0
; NumAgprs: 0
; TotalNumVgprs: 0
; ScratchSize: 0
; MemoryBound: 0
; FloatMode: 240
; IeeeMode: 1
; LDSByteSize: 0 bytes/workgroup (compile time only)
; SGPRBlocks: 0
; VGPRBlocks: 0
; NumSGPRsForWavesPerEU: 4
; NumVGPRsForWavesPerEU: 1
; AccumOffset: 4
; Occupancy: 8
; WaveLimiterHint : 0
; COMPUTE_PGM_RSRC2:SCRATCH_EN: 0
; COMPUTE_PGM_RSRC2:USER_SGPR: 6
; COMPUTE_PGM_RSRC2:TRAP_HANDLER: 0
; COMPUTE_PGM_RSRC2:TGID_X_EN: 1
; COMPUTE_PGM_RSRC2:TGID_Y_EN: 0
; COMPUTE_PGM_RSRC2:TGID_Z_EN: 0
; COMPUTE_PGM_RSRC2:TIDIG_COMP_CNT: 0
; COMPUTE_PGM_RSRC3_GFX90A:ACCUM_OFFSET: 0
; COMPUTE_PGM_RSRC3_GFX90A:TG_SPLIT: 0
	.section	.text._ZN7rocprim17ROCPRIM_400000_NS6detail17trampoline_kernelINS0_14default_configENS1_20scan_config_selectorIiEEZZNS1_9scan_implILNS1_25lookback_scan_determinismE0ELb1ELb1ES3_N6thrust23THRUST_200600_302600_NS6detail15normal_iteratorINS9_10device_ptrIiEEEESE_iNS9_4plusIiEEiEEDaPvRmT3_T4_T5_mT6_P12ihipStream_tbENKUlT_T0_E_clISt17integral_constantIbLb0EESU_EEDaSP_SQ_EUlSP_E0_NS1_11comp_targetILNS1_3genE8ELNS1_11target_archE1030ELNS1_3gpuE2ELNS1_3repE0EEENS1_30default_config_static_selectorELNS0_4arch9wavefront6targetE1EEEvT1_,"axG",@progbits,_ZN7rocprim17ROCPRIM_400000_NS6detail17trampoline_kernelINS0_14default_configENS1_20scan_config_selectorIiEEZZNS1_9scan_implILNS1_25lookback_scan_determinismE0ELb1ELb1ES3_N6thrust23THRUST_200600_302600_NS6detail15normal_iteratorINS9_10device_ptrIiEEEESE_iNS9_4plusIiEEiEEDaPvRmT3_T4_T5_mT6_P12ihipStream_tbENKUlT_T0_E_clISt17integral_constantIbLb0EESU_EEDaSP_SQ_EUlSP_E0_NS1_11comp_targetILNS1_3genE8ELNS1_11target_archE1030ELNS1_3gpuE2ELNS1_3repE0EEENS1_30default_config_static_selectorELNS0_4arch9wavefront6targetE1EEEvT1_,comdat
	.protected	_ZN7rocprim17ROCPRIM_400000_NS6detail17trampoline_kernelINS0_14default_configENS1_20scan_config_selectorIiEEZZNS1_9scan_implILNS1_25lookback_scan_determinismE0ELb1ELb1ES3_N6thrust23THRUST_200600_302600_NS6detail15normal_iteratorINS9_10device_ptrIiEEEESE_iNS9_4plusIiEEiEEDaPvRmT3_T4_T5_mT6_P12ihipStream_tbENKUlT_T0_E_clISt17integral_constantIbLb0EESU_EEDaSP_SQ_EUlSP_E0_NS1_11comp_targetILNS1_3genE8ELNS1_11target_archE1030ELNS1_3gpuE2ELNS1_3repE0EEENS1_30default_config_static_selectorELNS0_4arch9wavefront6targetE1EEEvT1_ ; -- Begin function _ZN7rocprim17ROCPRIM_400000_NS6detail17trampoline_kernelINS0_14default_configENS1_20scan_config_selectorIiEEZZNS1_9scan_implILNS1_25lookback_scan_determinismE0ELb1ELb1ES3_N6thrust23THRUST_200600_302600_NS6detail15normal_iteratorINS9_10device_ptrIiEEEESE_iNS9_4plusIiEEiEEDaPvRmT3_T4_T5_mT6_P12ihipStream_tbENKUlT_T0_E_clISt17integral_constantIbLb0EESU_EEDaSP_SQ_EUlSP_E0_NS1_11comp_targetILNS1_3genE8ELNS1_11target_archE1030ELNS1_3gpuE2ELNS1_3repE0EEENS1_30default_config_static_selectorELNS0_4arch9wavefront6targetE1EEEvT1_
	.globl	_ZN7rocprim17ROCPRIM_400000_NS6detail17trampoline_kernelINS0_14default_configENS1_20scan_config_selectorIiEEZZNS1_9scan_implILNS1_25lookback_scan_determinismE0ELb1ELb1ES3_N6thrust23THRUST_200600_302600_NS6detail15normal_iteratorINS9_10device_ptrIiEEEESE_iNS9_4plusIiEEiEEDaPvRmT3_T4_T5_mT6_P12ihipStream_tbENKUlT_T0_E_clISt17integral_constantIbLb0EESU_EEDaSP_SQ_EUlSP_E0_NS1_11comp_targetILNS1_3genE8ELNS1_11target_archE1030ELNS1_3gpuE2ELNS1_3repE0EEENS1_30default_config_static_selectorELNS0_4arch9wavefront6targetE1EEEvT1_
	.p2align	8
	.type	_ZN7rocprim17ROCPRIM_400000_NS6detail17trampoline_kernelINS0_14default_configENS1_20scan_config_selectorIiEEZZNS1_9scan_implILNS1_25lookback_scan_determinismE0ELb1ELb1ES3_N6thrust23THRUST_200600_302600_NS6detail15normal_iteratorINS9_10device_ptrIiEEEESE_iNS9_4plusIiEEiEEDaPvRmT3_T4_T5_mT6_P12ihipStream_tbENKUlT_T0_E_clISt17integral_constantIbLb0EESU_EEDaSP_SQ_EUlSP_E0_NS1_11comp_targetILNS1_3genE8ELNS1_11target_archE1030ELNS1_3gpuE2ELNS1_3repE0EEENS1_30default_config_static_selectorELNS0_4arch9wavefront6targetE1EEEvT1_,@function
_ZN7rocprim17ROCPRIM_400000_NS6detail17trampoline_kernelINS0_14default_configENS1_20scan_config_selectorIiEEZZNS1_9scan_implILNS1_25lookback_scan_determinismE0ELb1ELb1ES3_N6thrust23THRUST_200600_302600_NS6detail15normal_iteratorINS9_10device_ptrIiEEEESE_iNS9_4plusIiEEiEEDaPvRmT3_T4_T5_mT6_P12ihipStream_tbENKUlT_T0_E_clISt17integral_constantIbLb0EESU_EEDaSP_SQ_EUlSP_E0_NS1_11comp_targetILNS1_3genE8ELNS1_11target_archE1030ELNS1_3gpuE2ELNS1_3repE0EEENS1_30default_config_static_selectorELNS0_4arch9wavefront6targetE1EEEvT1_: ; @_ZN7rocprim17ROCPRIM_400000_NS6detail17trampoline_kernelINS0_14default_configENS1_20scan_config_selectorIiEEZZNS1_9scan_implILNS1_25lookback_scan_determinismE0ELb1ELb1ES3_N6thrust23THRUST_200600_302600_NS6detail15normal_iteratorINS9_10device_ptrIiEEEESE_iNS9_4plusIiEEiEEDaPvRmT3_T4_T5_mT6_P12ihipStream_tbENKUlT_T0_E_clISt17integral_constantIbLb0EESU_EEDaSP_SQ_EUlSP_E0_NS1_11comp_targetILNS1_3genE8ELNS1_11target_archE1030ELNS1_3gpuE2ELNS1_3repE0EEENS1_30default_config_static_selectorELNS0_4arch9wavefront6targetE1EEEvT1_
; %bb.0:
	.section	.rodata,"a",@progbits
	.p2align	6, 0x0
	.amdhsa_kernel _ZN7rocprim17ROCPRIM_400000_NS6detail17trampoline_kernelINS0_14default_configENS1_20scan_config_selectorIiEEZZNS1_9scan_implILNS1_25lookback_scan_determinismE0ELb1ELb1ES3_N6thrust23THRUST_200600_302600_NS6detail15normal_iteratorINS9_10device_ptrIiEEEESE_iNS9_4plusIiEEiEEDaPvRmT3_T4_T5_mT6_P12ihipStream_tbENKUlT_T0_E_clISt17integral_constantIbLb0EESU_EEDaSP_SQ_EUlSP_E0_NS1_11comp_targetILNS1_3genE8ELNS1_11target_archE1030ELNS1_3gpuE2ELNS1_3repE0EEENS1_30default_config_static_selectorELNS0_4arch9wavefront6targetE1EEEvT1_
		.amdhsa_group_segment_fixed_size 0
		.amdhsa_private_segment_fixed_size 0
		.amdhsa_kernarg_size 32
		.amdhsa_user_sgpr_count 6
		.amdhsa_user_sgpr_private_segment_buffer 1
		.amdhsa_user_sgpr_dispatch_ptr 0
		.amdhsa_user_sgpr_queue_ptr 0
		.amdhsa_user_sgpr_kernarg_segment_ptr 1
		.amdhsa_user_sgpr_dispatch_id 0
		.amdhsa_user_sgpr_flat_scratch_init 0
		.amdhsa_user_sgpr_kernarg_preload_length 0
		.amdhsa_user_sgpr_kernarg_preload_offset 0
		.amdhsa_user_sgpr_private_segment_size 0
		.amdhsa_uses_dynamic_stack 0
		.amdhsa_system_sgpr_private_segment_wavefront_offset 0
		.amdhsa_system_sgpr_workgroup_id_x 1
		.amdhsa_system_sgpr_workgroup_id_y 0
		.amdhsa_system_sgpr_workgroup_id_z 0
		.amdhsa_system_sgpr_workgroup_info 0
		.amdhsa_system_vgpr_workitem_id 0
		.amdhsa_next_free_vgpr 1
		.amdhsa_next_free_sgpr 0
		.amdhsa_accum_offset 4
		.amdhsa_reserve_vcc 0
		.amdhsa_reserve_flat_scratch 0
		.amdhsa_float_round_mode_32 0
		.amdhsa_float_round_mode_16_64 0
		.amdhsa_float_denorm_mode_32 3
		.amdhsa_float_denorm_mode_16_64 3
		.amdhsa_dx10_clamp 1
		.amdhsa_ieee_mode 1
		.amdhsa_fp16_overflow 0
		.amdhsa_tg_split 0
		.amdhsa_exception_fp_ieee_invalid_op 0
		.amdhsa_exception_fp_denorm_src 0
		.amdhsa_exception_fp_ieee_div_zero 0
		.amdhsa_exception_fp_ieee_overflow 0
		.amdhsa_exception_fp_ieee_underflow 0
		.amdhsa_exception_fp_ieee_inexact 0
		.amdhsa_exception_int_div_zero 0
	.end_amdhsa_kernel
	.section	.text._ZN7rocprim17ROCPRIM_400000_NS6detail17trampoline_kernelINS0_14default_configENS1_20scan_config_selectorIiEEZZNS1_9scan_implILNS1_25lookback_scan_determinismE0ELb1ELb1ES3_N6thrust23THRUST_200600_302600_NS6detail15normal_iteratorINS9_10device_ptrIiEEEESE_iNS9_4plusIiEEiEEDaPvRmT3_T4_T5_mT6_P12ihipStream_tbENKUlT_T0_E_clISt17integral_constantIbLb0EESU_EEDaSP_SQ_EUlSP_E0_NS1_11comp_targetILNS1_3genE8ELNS1_11target_archE1030ELNS1_3gpuE2ELNS1_3repE0EEENS1_30default_config_static_selectorELNS0_4arch9wavefront6targetE1EEEvT1_,"axG",@progbits,_ZN7rocprim17ROCPRIM_400000_NS6detail17trampoline_kernelINS0_14default_configENS1_20scan_config_selectorIiEEZZNS1_9scan_implILNS1_25lookback_scan_determinismE0ELb1ELb1ES3_N6thrust23THRUST_200600_302600_NS6detail15normal_iteratorINS9_10device_ptrIiEEEESE_iNS9_4plusIiEEiEEDaPvRmT3_T4_T5_mT6_P12ihipStream_tbENKUlT_T0_E_clISt17integral_constantIbLb0EESU_EEDaSP_SQ_EUlSP_E0_NS1_11comp_targetILNS1_3genE8ELNS1_11target_archE1030ELNS1_3gpuE2ELNS1_3repE0EEENS1_30default_config_static_selectorELNS0_4arch9wavefront6targetE1EEEvT1_,comdat
.Lfunc_end677:
	.size	_ZN7rocprim17ROCPRIM_400000_NS6detail17trampoline_kernelINS0_14default_configENS1_20scan_config_selectorIiEEZZNS1_9scan_implILNS1_25lookback_scan_determinismE0ELb1ELb1ES3_N6thrust23THRUST_200600_302600_NS6detail15normal_iteratorINS9_10device_ptrIiEEEESE_iNS9_4plusIiEEiEEDaPvRmT3_T4_T5_mT6_P12ihipStream_tbENKUlT_T0_E_clISt17integral_constantIbLb0EESU_EEDaSP_SQ_EUlSP_E0_NS1_11comp_targetILNS1_3genE8ELNS1_11target_archE1030ELNS1_3gpuE2ELNS1_3repE0EEENS1_30default_config_static_selectorELNS0_4arch9wavefront6targetE1EEEvT1_, .Lfunc_end677-_ZN7rocprim17ROCPRIM_400000_NS6detail17trampoline_kernelINS0_14default_configENS1_20scan_config_selectorIiEEZZNS1_9scan_implILNS1_25lookback_scan_determinismE0ELb1ELb1ES3_N6thrust23THRUST_200600_302600_NS6detail15normal_iteratorINS9_10device_ptrIiEEEESE_iNS9_4plusIiEEiEEDaPvRmT3_T4_T5_mT6_P12ihipStream_tbENKUlT_T0_E_clISt17integral_constantIbLb0EESU_EEDaSP_SQ_EUlSP_E0_NS1_11comp_targetILNS1_3genE8ELNS1_11target_archE1030ELNS1_3gpuE2ELNS1_3repE0EEENS1_30default_config_static_selectorELNS0_4arch9wavefront6targetE1EEEvT1_
                                        ; -- End function
	.section	.AMDGPU.csdata,"",@progbits
; Kernel info:
; codeLenInByte = 0
; NumSgprs: 4
; NumVgprs: 0
; NumAgprs: 0
; TotalNumVgprs: 0
; ScratchSize: 0
; MemoryBound: 0
; FloatMode: 240
; IeeeMode: 1
; LDSByteSize: 0 bytes/workgroup (compile time only)
; SGPRBlocks: 0
; VGPRBlocks: 0
; NumSGPRsForWavesPerEU: 4
; NumVGPRsForWavesPerEU: 1
; AccumOffset: 4
; Occupancy: 8
; WaveLimiterHint : 0
; COMPUTE_PGM_RSRC2:SCRATCH_EN: 0
; COMPUTE_PGM_RSRC2:USER_SGPR: 6
; COMPUTE_PGM_RSRC2:TRAP_HANDLER: 0
; COMPUTE_PGM_RSRC2:TGID_X_EN: 1
; COMPUTE_PGM_RSRC2:TGID_Y_EN: 0
; COMPUTE_PGM_RSRC2:TGID_Z_EN: 0
; COMPUTE_PGM_RSRC2:TIDIG_COMP_CNT: 0
; COMPUTE_PGM_RSRC3_GFX90A:ACCUM_OFFSET: 0
; COMPUTE_PGM_RSRC3_GFX90A:TG_SPLIT: 0
	.section	.text._ZN7rocprim17ROCPRIM_400000_NS6detail17trampoline_kernelINS0_14default_configENS1_20scan_config_selectorIiEEZZNS1_9scan_implILNS1_25lookback_scan_determinismE0ELb1ELb1ES3_N6thrust23THRUST_200600_302600_NS6detail15normal_iteratorINS9_10device_ptrIiEEEESE_iNS9_4plusIiEEiEEDaPvRmT3_T4_T5_mT6_P12ihipStream_tbENKUlT_T0_E_clISt17integral_constantIbLb1EESU_EEDaSP_SQ_EUlSP_E_NS1_11comp_targetILNS1_3genE0ELNS1_11target_archE4294967295ELNS1_3gpuE0ELNS1_3repE0EEENS1_30default_config_static_selectorELNS0_4arch9wavefront6targetE1EEEvT1_,"axG",@progbits,_ZN7rocprim17ROCPRIM_400000_NS6detail17trampoline_kernelINS0_14default_configENS1_20scan_config_selectorIiEEZZNS1_9scan_implILNS1_25lookback_scan_determinismE0ELb1ELb1ES3_N6thrust23THRUST_200600_302600_NS6detail15normal_iteratorINS9_10device_ptrIiEEEESE_iNS9_4plusIiEEiEEDaPvRmT3_T4_T5_mT6_P12ihipStream_tbENKUlT_T0_E_clISt17integral_constantIbLb1EESU_EEDaSP_SQ_EUlSP_E_NS1_11comp_targetILNS1_3genE0ELNS1_11target_archE4294967295ELNS1_3gpuE0ELNS1_3repE0EEENS1_30default_config_static_selectorELNS0_4arch9wavefront6targetE1EEEvT1_,comdat
	.protected	_ZN7rocprim17ROCPRIM_400000_NS6detail17trampoline_kernelINS0_14default_configENS1_20scan_config_selectorIiEEZZNS1_9scan_implILNS1_25lookback_scan_determinismE0ELb1ELb1ES3_N6thrust23THRUST_200600_302600_NS6detail15normal_iteratorINS9_10device_ptrIiEEEESE_iNS9_4plusIiEEiEEDaPvRmT3_T4_T5_mT6_P12ihipStream_tbENKUlT_T0_E_clISt17integral_constantIbLb1EESU_EEDaSP_SQ_EUlSP_E_NS1_11comp_targetILNS1_3genE0ELNS1_11target_archE4294967295ELNS1_3gpuE0ELNS1_3repE0EEENS1_30default_config_static_selectorELNS0_4arch9wavefront6targetE1EEEvT1_ ; -- Begin function _ZN7rocprim17ROCPRIM_400000_NS6detail17trampoline_kernelINS0_14default_configENS1_20scan_config_selectorIiEEZZNS1_9scan_implILNS1_25lookback_scan_determinismE0ELb1ELb1ES3_N6thrust23THRUST_200600_302600_NS6detail15normal_iteratorINS9_10device_ptrIiEEEESE_iNS9_4plusIiEEiEEDaPvRmT3_T4_T5_mT6_P12ihipStream_tbENKUlT_T0_E_clISt17integral_constantIbLb1EESU_EEDaSP_SQ_EUlSP_E_NS1_11comp_targetILNS1_3genE0ELNS1_11target_archE4294967295ELNS1_3gpuE0ELNS1_3repE0EEENS1_30default_config_static_selectorELNS0_4arch9wavefront6targetE1EEEvT1_
	.globl	_ZN7rocprim17ROCPRIM_400000_NS6detail17trampoline_kernelINS0_14default_configENS1_20scan_config_selectorIiEEZZNS1_9scan_implILNS1_25lookback_scan_determinismE0ELb1ELb1ES3_N6thrust23THRUST_200600_302600_NS6detail15normal_iteratorINS9_10device_ptrIiEEEESE_iNS9_4plusIiEEiEEDaPvRmT3_T4_T5_mT6_P12ihipStream_tbENKUlT_T0_E_clISt17integral_constantIbLb1EESU_EEDaSP_SQ_EUlSP_E_NS1_11comp_targetILNS1_3genE0ELNS1_11target_archE4294967295ELNS1_3gpuE0ELNS1_3repE0EEENS1_30default_config_static_selectorELNS0_4arch9wavefront6targetE1EEEvT1_
	.p2align	8
	.type	_ZN7rocprim17ROCPRIM_400000_NS6detail17trampoline_kernelINS0_14default_configENS1_20scan_config_selectorIiEEZZNS1_9scan_implILNS1_25lookback_scan_determinismE0ELb1ELb1ES3_N6thrust23THRUST_200600_302600_NS6detail15normal_iteratorINS9_10device_ptrIiEEEESE_iNS9_4plusIiEEiEEDaPvRmT3_T4_T5_mT6_P12ihipStream_tbENKUlT_T0_E_clISt17integral_constantIbLb1EESU_EEDaSP_SQ_EUlSP_E_NS1_11comp_targetILNS1_3genE0ELNS1_11target_archE4294967295ELNS1_3gpuE0ELNS1_3repE0EEENS1_30default_config_static_selectorELNS0_4arch9wavefront6targetE1EEEvT1_,@function
_ZN7rocprim17ROCPRIM_400000_NS6detail17trampoline_kernelINS0_14default_configENS1_20scan_config_selectorIiEEZZNS1_9scan_implILNS1_25lookback_scan_determinismE0ELb1ELb1ES3_N6thrust23THRUST_200600_302600_NS6detail15normal_iteratorINS9_10device_ptrIiEEEESE_iNS9_4plusIiEEiEEDaPvRmT3_T4_T5_mT6_P12ihipStream_tbENKUlT_T0_E_clISt17integral_constantIbLb1EESU_EEDaSP_SQ_EUlSP_E_NS1_11comp_targetILNS1_3genE0ELNS1_11target_archE4294967295ELNS1_3gpuE0ELNS1_3repE0EEENS1_30default_config_static_selectorELNS0_4arch9wavefront6targetE1EEEvT1_: ; @_ZN7rocprim17ROCPRIM_400000_NS6detail17trampoline_kernelINS0_14default_configENS1_20scan_config_selectorIiEEZZNS1_9scan_implILNS1_25lookback_scan_determinismE0ELb1ELb1ES3_N6thrust23THRUST_200600_302600_NS6detail15normal_iteratorINS9_10device_ptrIiEEEESE_iNS9_4plusIiEEiEEDaPvRmT3_T4_T5_mT6_P12ihipStream_tbENKUlT_T0_E_clISt17integral_constantIbLb1EESU_EEDaSP_SQ_EUlSP_E_NS1_11comp_targetILNS1_3genE0ELNS1_11target_archE4294967295ELNS1_3gpuE0ELNS1_3repE0EEENS1_30default_config_static_selectorELNS0_4arch9wavefront6targetE1EEEvT1_
; %bb.0:
	.section	.rodata,"a",@progbits
	.p2align	6, 0x0
	.amdhsa_kernel _ZN7rocprim17ROCPRIM_400000_NS6detail17trampoline_kernelINS0_14default_configENS1_20scan_config_selectorIiEEZZNS1_9scan_implILNS1_25lookback_scan_determinismE0ELb1ELb1ES3_N6thrust23THRUST_200600_302600_NS6detail15normal_iteratorINS9_10device_ptrIiEEEESE_iNS9_4plusIiEEiEEDaPvRmT3_T4_T5_mT6_P12ihipStream_tbENKUlT_T0_E_clISt17integral_constantIbLb1EESU_EEDaSP_SQ_EUlSP_E_NS1_11comp_targetILNS1_3genE0ELNS1_11target_archE4294967295ELNS1_3gpuE0ELNS1_3repE0EEENS1_30default_config_static_selectorELNS0_4arch9wavefront6targetE1EEEvT1_
		.amdhsa_group_segment_fixed_size 0
		.amdhsa_private_segment_fixed_size 0
		.amdhsa_kernarg_size 96
		.amdhsa_user_sgpr_count 6
		.amdhsa_user_sgpr_private_segment_buffer 1
		.amdhsa_user_sgpr_dispatch_ptr 0
		.amdhsa_user_sgpr_queue_ptr 0
		.amdhsa_user_sgpr_kernarg_segment_ptr 1
		.amdhsa_user_sgpr_dispatch_id 0
		.amdhsa_user_sgpr_flat_scratch_init 0
		.amdhsa_user_sgpr_kernarg_preload_length 0
		.amdhsa_user_sgpr_kernarg_preload_offset 0
		.amdhsa_user_sgpr_private_segment_size 0
		.amdhsa_uses_dynamic_stack 0
		.amdhsa_system_sgpr_private_segment_wavefront_offset 0
		.amdhsa_system_sgpr_workgroup_id_x 1
		.amdhsa_system_sgpr_workgroup_id_y 0
		.amdhsa_system_sgpr_workgroup_id_z 0
		.amdhsa_system_sgpr_workgroup_info 0
		.amdhsa_system_vgpr_workitem_id 0
		.amdhsa_next_free_vgpr 1
		.amdhsa_next_free_sgpr 0
		.amdhsa_accum_offset 4
		.amdhsa_reserve_vcc 0
		.amdhsa_reserve_flat_scratch 0
		.amdhsa_float_round_mode_32 0
		.amdhsa_float_round_mode_16_64 0
		.amdhsa_float_denorm_mode_32 3
		.amdhsa_float_denorm_mode_16_64 3
		.amdhsa_dx10_clamp 1
		.amdhsa_ieee_mode 1
		.amdhsa_fp16_overflow 0
		.amdhsa_tg_split 0
		.amdhsa_exception_fp_ieee_invalid_op 0
		.amdhsa_exception_fp_denorm_src 0
		.amdhsa_exception_fp_ieee_div_zero 0
		.amdhsa_exception_fp_ieee_overflow 0
		.amdhsa_exception_fp_ieee_underflow 0
		.amdhsa_exception_fp_ieee_inexact 0
		.amdhsa_exception_int_div_zero 0
	.end_amdhsa_kernel
	.section	.text._ZN7rocprim17ROCPRIM_400000_NS6detail17trampoline_kernelINS0_14default_configENS1_20scan_config_selectorIiEEZZNS1_9scan_implILNS1_25lookback_scan_determinismE0ELb1ELb1ES3_N6thrust23THRUST_200600_302600_NS6detail15normal_iteratorINS9_10device_ptrIiEEEESE_iNS9_4plusIiEEiEEDaPvRmT3_T4_T5_mT6_P12ihipStream_tbENKUlT_T0_E_clISt17integral_constantIbLb1EESU_EEDaSP_SQ_EUlSP_E_NS1_11comp_targetILNS1_3genE0ELNS1_11target_archE4294967295ELNS1_3gpuE0ELNS1_3repE0EEENS1_30default_config_static_selectorELNS0_4arch9wavefront6targetE1EEEvT1_,"axG",@progbits,_ZN7rocprim17ROCPRIM_400000_NS6detail17trampoline_kernelINS0_14default_configENS1_20scan_config_selectorIiEEZZNS1_9scan_implILNS1_25lookback_scan_determinismE0ELb1ELb1ES3_N6thrust23THRUST_200600_302600_NS6detail15normal_iteratorINS9_10device_ptrIiEEEESE_iNS9_4plusIiEEiEEDaPvRmT3_T4_T5_mT6_P12ihipStream_tbENKUlT_T0_E_clISt17integral_constantIbLb1EESU_EEDaSP_SQ_EUlSP_E_NS1_11comp_targetILNS1_3genE0ELNS1_11target_archE4294967295ELNS1_3gpuE0ELNS1_3repE0EEENS1_30default_config_static_selectorELNS0_4arch9wavefront6targetE1EEEvT1_,comdat
.Lfunc_end678:
	.size	_ZN7rocprim17ROCPRIM_400000_NS6detail17trampoline_kernelINS0_14default_configENS1_20scan_config_selectorIiEEZZNS1_9scan_implILNS1_25lookback_scan_determinismE0ELb1ELb1ES3_N6thrust23THRUST_200600_302600_NS6detail15normal_iteratorINS9_10device_ptrIiEEEESE_iNS9_4plusIiEEiEEDaPvRmT3_T4_T5_mT6_P12ihipStream_tbENKUlT_T0_E_clISt17integral_constantIbLb1EESU_EEDaSP_SQ_EUlSP_E_NS1_11comp_targetILNS1_3genE0ELNS1_11target_archE4294967295ELNS1_3gpuE0ELNS1_3repE0EEENS1_30default_config_static_selectorELNS0_4arch9wavefront6targetE1EEEvT1_, .Lfunc_end678-_ZN7rocprim17ROCPRIM_400000_NS6detail17trampoline_kernelINS0_14default_configENS1_20scan_config_selectorIiEEZZNS1_9scan_implILNS1_25lookback_scan_determinismE0ELb1ELb1ES3_N6thrust23THRUST_200600_302600_NS6detail15normal_iteratorINS9_10device_ptrIiEEEESE_iNS9_4plusIiEEiEEDaPvRmT3_T4_T5_mT6_P12ihipStream_tbENKUlT_T0_E_clISt17integral_constantIbLb1EESU_EEDaSP_SQ_EUlSP_E_NS1_11comp_targetILNS1_3genE0ELNS1_11target_archE4294967295ELNS1_3gpuE0ELNS1_3repE0EEENS1_30default_config_static_selectorELNS0_4arch9wavefront6targetE1EEEvT1_
                                        ; -- End function
	.section	.AMDGPU.csdata,"",@progbits
; Kernel info:
; codeLenInByte = 0
; NumSgprs: 4
; NumVgprs: 0
; NumAgprs: 0
; TotalNumVgprs: 0
; ScratchSize: 0
; MemoryBound: 0
; FloatMode: 240
; IeeeMode: 1
; LDSByteSize: 0 bytes/workgroup (compile time only)
; SGPRBlocks: 0
; VGPRBlocks: 0
; NumSGPRsForWavesPerEU: 4
; NumVGPRsForWavesPerEU: 1
; AccumOffset: 4
; Occupancy: 8
; WaveLimiterHint : 0
; COMPUTE_PGM_RSRC2:SCRATCH_EN: 0
; COMPUTE_PGM_RSRC2:USER_SGPR: 6
; COMPUTE_PGM_RSRC2:TRAP_HANDLER: 0
; COMPUTE_PGM_RSRC2:TGID_X_EN: 1
; COMPUTE_PGM_RSRC2:TGID_Y_EN: 0
; COMPUTE_PGM_RSRC2:TGID_Z_EN: 0
; COMPUTE_PGM_RSRC2:TIDIG_COMP_CNT: 0
; COMPUTE_PGM_RSRC3_GFX90A:ACCUM_OFFSET: 0
; COMPUTE_PGM_RSRC3_GFX90A:TG_SPLIT: 0
	.section	.text._ZN7rocprim17ROCPRIM_400000_NS6detail17trampoline_kernelINS0_14default_configENS1_20scan_config_selectorIiEEZZNS1_9scan_implILNS1_25lookback_scan_determinismE0ELb1ELb1ES3_N6thrust23THRUST_200600_302600_NS6detail15normal_iteratorINS9_10device_ptrIiEEEESE_iNS9_4plusIiEEiEEDaPvRmT3_T4_T5_mT6_P12ihipStream_tbENKUlT_T0_E_clISt17integral_constantIbLb1EESU_EEDaSP_SQ_EUlSP_E_NS1_11comp_targetILNS1_3genE5ELNS1_11target_archE942ELNS1_3gpuE9ELNS1_3repE0EEENS1_30default_config_static_selectorELNS0_4arch9wavefront6targetE1EEEvT1_,"axG",@progbits,_ZN7rocprim17ROCPRIM_400000_NS6detail17trampoline_kernelINS0_14default_configENS1_20scan_config_selectorIiEEZZNS1_9scan_implILNS1_25lookback_scan_determinismE0ELb1ELb1ES3_N6thrust23THRUST_200600_302600_NS6detail15normal_iteratorINS9_10device_ptrIiEEEESE_iNS9_4plusIiEEiEEDaPvRmT3_T4_T5_mT6_P12ihipStream_tbENKUlT_T0_E_clISt17integral_constantIbLb1EESU_EEDaSP_SQ_EUlSP_E_NS1_11comp_targetILNS1_3genE5ELNS1_11target_archE942ELNS1_3gpuE9ELNS1_3repE0EEENS1_30default_config_static_selectorELNS0_4arch9wavefront6targetE1EEEvT1_,comdat
	.protected	_ZN7rocprim17ROCPRIM_400000_NS6detail17trampoline_kernelINS0_14default_configENS1_20scan_config_selectorIiEEZZNS1_9scan_implILNS1_25lookback_scan_determinismE0ELb1ELb1ES3_N6thrust23THRUST_200600_302600_NS6detail15normal_iteratorINS9_10device_ptrIiEEEESE_iNS9_4plusIiEEiEEDaPvRmT3_T4_T5_mT6_P12ihipStream_tbENKUlT_T0_E_clISt17integral_constantIbLb1EESU_EEDaSP_SQ_EUlSP_E_NS1_11comp_targetILNS1_3genE5ELNS1_11target_archE942ELNS1_3gpuE9ELNS1_3repE0EEENS1_30default_config_static_selectorELNS0_4arch9wavefront6targetE1EEEvT1_ ; -- Begin function _ZN7rocprim17ROCPRIM_400000_NS6detail17trampoline_kernelINS0_14default_configENS1_20scan_config_selectorIiEEZZNS1_9scan_implILNS1_25lookback_scan_determinismE0ELb1ELb1ES3_N6thrust23THRUST_200600_302600_NS6detail15normal_iteratorINS9_10device_ptrIiEEEESE_iNS9_4plusIiEEiEEDaPvRmT3_T4_T5_mT6_P12ihipStream_tbENKUlT_T0_E_clISt17integral_constantIbLb1EESU_EEDaSP_SQ_EUlSP_E_NS1_11comp_targetILNS1_3genE5ELNS1_11target_archE942ELNS1_3gpuE9ELNS1_3repE0EEENS1_30default_config_static_selectorELNS0_4arch9wavefront6targetE1EEEvT1_
	.globl	_ZN7rocprim17ROCPRIM_400000_NS6detail17trampoline_kernelINS0_14default_configENS1_20scan_config_selectorIiEEZZNS1_9scan_implILNS1_25lookback_scan_determinismE0ELb1ELb1ES3_N6thrust23THRUST_200600_302600_NS6detail15normal_iteratorINS9_10device_ptrIiEEEESE_iNS9_4plusIiEEiEEDaPvRmT3_T4_T5_mT6_P12ihipStream_tbENKUlT_T0_E_clISt17integral_constantIbLb1EESU_EEDaSP_SQ_EUlSP_E_NS1_11comp_targetILNS1_3genE5ELNS1_11target_archE942ELNS1_3gpuE9ELNS1_3repE0EEENS1_30default_config_static_selectorELNS0_4arch9wavefront6targetE1EEEvT1_
	.p2align	8
	.type	_ZN7rocprim17ROCPRIM_400000_NS6detail17trampoline_kernelINS0_14default_configENS1_20scan_config_selectorIiEEZZNS1_9scan_implILNS1_25lookback_scan_determinismE0ELb1ELb1ES3_N6thrust23THRUST_200600_302600_NS6detail15normal_iteratorINS9_10device_ptrIiEEEESE_iNS9_4plusIiEEiEEDaPvRmT3_T4_T5_mT6_P12ihipStream_tbENKUlT_T0_E_clISt17integral_constantIbLb1EESU_EEDaSP_SQ_EUlSP_E_NS1_11comp_targetILNS1_3genE5ELNS1_11target_archE942ELNS1_3gpuE9ELNS1_3repE0EEENS1_30default_config_static_selectorELNS0_4arch9wavefront6targetE1EEEvT1_,@function
_ZN7rocprim17ROCPRIM_400000_NS6detail17trampoline_kernelINS0_14default_configENS1_20scan_config_selectorIiEEZZNS1_9scan_implILNS1_25lookback_scan_determinismE0ELb1ELb1ES3_N6thrust23THRUST_200600_302600_NS6detail15normal_iteratorINS9_10device_ptrIiEEEESE_iNS9_4plusIiEEiEEDaPvRmT3_T4_T5_mT6_P12ihipStream_tbENKUlT_T0_E_clISt17integral_constantIbLb1EESU_EEDaSP_SQ_EUlSP_E_NS1_11comp_targetILNS1_3genE5ELNS1_11target_archE942ELNS1_3gpuE9ELNS1_3repE0EEENS1_30default_config_static_selectorELNS0_4arch9wavefront6targetE1EEEvT1_: ; @_ZN7rocprim17ROCPRIM_400000_NS6detail17trampoline_kernelINS0_14default_configENS1_20scan_config_selectorIiEEZZNS1_9scan_implILNS1_25lookback_scan_determinismE0ELb1ELb1ES3_N6thrust23THRUST_200600_302600_NS6detail15normal_iteratorINS9_10device_ptrIiEEEESE_iNS9_4plusIiEEiEEDaPvRmT3_T4_T5_mT6_P12ihipStream_tbENKUlT_T0_E_clISt17integral_constantIbLb1EESU_EEDaSP_SQ_EUlSP_E_NS1_11comp_targetILNS1_3genE5ELNS1_11target_archE942ELNS1_3gpuE9ELNS1_3repE0EEENS1_30default_config_static_selectorELNS0_4arch9wavefront6targetE1EEEvT1_
; %bb.0:
	.section	.rodata,"a",@progbits
	.p2align	6, 0x0
	.amdhsa_kernel _ZN7rocprim17ROCPRIM_400000_NS6detail17trampoline_kernelINS0_14default_configENS1_20scan_config_selectorIiEEZZNS1_9scan_implILNS1_25lookback_scan_determinismE0ELb1ELb1ES3_N6thrust23THRUST_200600_302600_NS6detail15normal_iteratorINS9_10device_ptrIiEEEESE_iNS9_4plusIiEEiEEDaPvRmT3_T4_T5_mT6_P12ihipStream_tbENKUlT_T0_E_clISt17integral_constantIbLb1EESU_EEDaSP_SQ_EUlSP_E_NS1_11comp_targetILNS1_3genE5ELNS1_11target_archE942ELNS1_3gpuE9ELNS1_3repE0EEENS1_30default_config_static_selectorELNS0_4arch9wavefront6targetE1EEEvT1_
		.amdhsa_group_segment_fixed_size 0
		.amdhsa_private_segment_fixed_size 0
		.amdhsa_kernarg_size 96
		.amdhsa_user_sgpr_count 6
		.amdhsa_user_sgpr_private_segment_buffer 1
		.amdhsa_user_sgpr_dispatch_ptr 0
		.amdhsa_user_sgpr_queue_ptr 0
		.amdhsa_user_sgpr_kernarg_segment_ptr 1
		.amdhsa_user_sgpr_dispatch_id 0
		.amdhsa_user_sgpr_flat_scratch_init 0
		.amdhsa_user_sgpr_kernarg_preload_length 0
		.amdhsa_user_sgpr_kernarg_preload_offset 0
		.amdhsa_user_sgpr_private_segment_size 0
		.amdhsa_uses_dynamic_stack 0
		.amdhsa_system_sgpr_private_segment_wavefront_offset 0
		.amdhsa_system_sgpr_workgroup_id_x 1
		.amdhsa_system_sgpr_workgroup_id_y 0
		.amdhsa_system_sgpr_workgroup_id_z 0
		.amdhsa_system_sgpr_workgroup_info 0
		.amdhsa_system_vgpr_workitem_id 0
		.amdhsa_next_free_vgpr 1
		.amdhsa_next_free_sgpr 0
		.amdhsa_accum_offset 4
		.amdhsa_reserve_vcc 0
		.amdhsa_reserve_flat_scratch 0
		.amdhsa_float_round_mode_32 0
		.amdhsa_float_round_mode_16_64 0
		.amdhsa_float_denorm_mode_32 3
		.amdhsa_float_denorm_mode_16_64 3
		.amdhsa_dx10_clamp 1
		.amdhsa_ieee_mode 1
		.amdhsa_fp16_overflow 0
		.amdhsa_tg_split 0
		.amdhsa_exception_fp_ieee_invalid_op 0
		.amdhsa_exception_fp_denorm_src 0
		.amdhsa_exception_fp_ieee_div_zero 0
		.amdhsa_exception_fp_ieee_overflow 0
		.amdhsa_exception_fp_ieee_underflow 0
		.amdhsa_exception_fp_ieee_inexact 0
		.amdhsa_exception_int_div_zero 0
	.end_amdhsa_kernel
	.section	.text._ZN7rocprim17ROCPRIM_400000_NS6detail17trampoline_kernelINS0_14default_configENS1_20scan_config_selectorIiEEZZNS1_9scan_implILNS1_25lookback_scan_determinismE0ELb1ELb1ES3_N6thrust23THRUST_200600_302600_NS6detail15normal_iteratorINS9_10device_ptrIiEEEESE_iNS9_4plusIiEEiEEDaPvRmT3_T4_T5_mT6_P12ihipStream_tbENKUlT_T0_E_clISt17integral_constantIbLb1EESU_EEDaSP_SQ_EUlSP_E_NS1_11comp_targetILNS1_3genE5ELNS1_11target_archE942ELNS1_3gpuE9ELNS1_3repE0EEENS1_30default_config_static_selectorELNS0_4arch9wavefront6targetE1EEEvT1_,"axG",@progbits,_ZN7rocprim17ROCPRIM_400000_NS6detail17trampoline_kernelINS0_14default_configENS1_20scan_config_selectorIiEEZZNS1_9scan_implILNS1_25lookback_scan_determinismE0ELb1ELb1ES3_N6thrust23THRUST_200600_302600_NS6detail15normal_iteratorINS9_10device_ptrIiEEEESE_iNS9_4plusIiEEiEEDaPvRmT3_T4_T5_mT6_P12ihipStream_tbENKUlT_T0_E_clISt17integral_constantIbLb1EESU_EEDaSP_SQ_EUlSP_E_NS1_11comp_targetILNS1_3genE5ELNS1_11target_archE942ELNS1_3gpuE9ELNS1_3repE0EEENS1_30default_config_static_selectorELNS0_4arch9wavefront6targetE1EEEvT1_,comdat
.Lfunc_end679:
	.size	_ZN7rocprim17ROCPRIM_400000_NS6detail17trampoline_kernelINS0_14default_configENS1_20scan_config_selectorIiEEZZNS1_9scan_implILNS1_25lookback_scan_determinismE0ELb1ELb1ES3_N6thrust23THRUST_200600_302600_NS6detail15normal_iteratorINS9_10device_ptrIiEEEESE_iNS9_4plusIiEEiEEDaPvRmT3_T4_T5_mT6_P12ihipStream_tbENKUlT_T0_E_clISt17integral_constantIbLb1EESU_EEDaSP_SQ_EUlSP_E_NS1_11comp_targetILNS1_3genE5ELNS1_11target_archE942ELNS1_3gpuE9ELNS1_3repE0EEENS1_30default_config_static_selectorELNS0_4arch9wavefront6targetE1EEEvT1_, .Lfunc_end679-_ZN7rocprim17ROCPRIM_400000_NS6detail17trampoline_kernelINS0_14default_configENS1_20scan_config_selectorIiEEZZNS1_9scan_implILNS1_25lookback_scan_determinismE0ELb1ELb1ES3_N6thrust23THRUST_200600_302600_NS6detail15normal_iteratorINS9_10device_ptrIiEEEESE_iNS9_4plusIiEEiEEDaPvRmT3_T4_T5_mT6_P12ihipStream_tbENKUlT_T0_E_clISt17integral_constantIbLb1EESU_EEDaSP_SQ_EUlSP_E_NS1_11comp_targetILNS1_3genE5ELNS1_11target_archE942ELNS1_3gpuE9ELNS1_3repE0EEENS1_30default_config_static_selectorELNS0_4arch9wavefront6targetE1EEEvT1_
                                        ; -- End function
	.section	.AMDGPU.csdata,"",@progbits
; Kernel info:
; codeLenInByte = 0
; NumSgprs: 4
; NumVgprs: 0
; NumAgprs: 0
; TotalNumVgprs: 0
; ScratchSize: 0
; MemoryBound: 0
; FloatMode: 240
; IeeeMode: 1
; LDSByteSize: 0 bytes/workgroup (compile time only)
; SGPRBlocks: 0
; VGPRBlocks: 0
; NumSGPRsForWavesPerEU: 4
; NumVGPRsForWavesPerEU: 1
; AccumOffset: 4
; Occupancy: 8
; WaveLimiterHint : 0
; COMPUTE_PGM_RSRC2:SCRATCH_EN: 0
; COMPUTE_PGM_RSRC2:USER_SGPR: 6
; COMPUTE_PGM_RSRC2:TRAP_HANDLER: 0
; COMPUTE_PGM_RSRC2:TGID_X_EN: 1
; COMPUTE_PGM_RSRC2:TGID_Y_EN: 0
; COMPUTE_PGM_RSRC2:TGID_Z_EN: 0
; COMPUTE_PGM_RSRC2:TIDIG_COMP_CNT: 0
; COMPUTE_PGM_RSRC3_GFX90A:ACCUM_OFFSET: 0
; COMPUTE_PGM_RSRC3_GFX90A:TG_SPLIT: 0
	.section	.text._ZN7rocprim17ROCPRIM_400000_NS6detail17trampoline_kernelINS0_14default_configENS1_20scan_config_selectorIiEEZZNS1_9scan_implILNS1_25lookback_scan_determinismE0ELb1ELb1ES3_N6thrust23THRUST_200600_302600_NS6detail15normal_iteratorINS9_10device_ptrIiEEEESE_iNS9_4plusIiEEiEEDaPvRmT3_T4_T5_mT6_P12ihipStream_tbENKUlT_T0_E_clISt17integral_constantIbLb1EESU_EEDaSP_SQ_EUlSP_E_NS1_11comp_targetILNS1_3genE4ELNS1_11target_archE910ELNS1_3gpuE8ELNS1_3repE0EEENS1_30default_config_static_selectorELNS0_4arch9wavefront6targetE1EEEvT1_,"axG",@progbits,_ZN7rocprim17ROCPRIM_400000_NS6detail17trampoline_kernelINS0_14default_configENS1_20scan_config_selectorIiEEZZNS1_9scan_implILNS1_25lookback_scan_determinismE0ELb1ELb1ES3_N6thrust23THRUST_200600_302600_NS6detail15normal_iteratorINS9_10device_ptrIiEEEESE_iNS9_4plusIiEEiEEDaPvRmT3_T4_T5_mT6_P12ihipStream_tbENKUlT_T0_E_clISt17integral_constantIbLb1EESU_EEDaSP_SQ_EUlSP_E_NS1_11comp_targetILNS1_3genE4ELNS1_11target_archE910ELNS1_3gpuE8ELNS1_3repE0EEENS1_30default_config_static_selectorELNS0_4arch9wavefront6targetE1EEEvT1_,comdat
	.protected	_ZN7rocprim17ROCPRIM_400000_NS6detail17trampoline_kernelINS0_14default_configENS1_20scan_config_selectorIiEEZZNS1_9scan_implILNS1_25lookback_scan_determinismE0ELb1ELb1ES3_N6thrust23THRUST_200600_302600_NS6detail15normal_iteratorINS9_10device_ptrIiEEEESE_iNS9_4plusIiEEiEEDaPvRmT3_T4_T5_mT6_P12ihipStream_tbENKUlT_T0_E_clISt17integral_constantIbLb1EESU_EEDaSP_SQ_EUlSP_E_NS1_11comp_targetILNS1_3genE4ELNS1_11target_archE910ELNS1_3gpuE8ELNS1_3repE0EEENS1_30default_config_static_selectorELNS0_4arch9wavefront6targetE1EEEvT1_ ; -- Begin function _ZN7rocprim17ROCPRIM_400000_NS6detail17trampoline_kernelINS0_14default_configENS1_20scan_config_selectorIiEEZZNS1_9scan_implILNS1_25lookback_scan_determinismE0ELb1ELb1ES3_N6thrust23THRUST_200600_302600_NS6detail15normal_iteratorINS9_10device_ptrIiEEEESE_iNS9_4plusIiEEiEEDaPvRmT3_T4_T5_mT6_P12ihipStream_tbENKUlT_T0_E_clISt17integral_constantIbLb1EESU_EEDaSP_SQ_EUlSP_E_NS1_11comp_targetILNS1_3genE4ELNS1_11target_archE910ELNS1_3gpuE8ELNS1_3repE0EEENS1_30default_config_static_selectorELNS0_4arch9wavefront6targetE1EEEvT1_
	.globl	_ZN7rocprim17ROCPRIM_400000_NS6detail17trampoline_kernelINS0_14default_configENS1_20scan_config_selectorIiEEZZNS1_9scan_implILNS1_25lookback_scan_determinismE0ELb1ELb1ES3_N6thrust23THRUST_200600_302600_NS6detail15normal_iteratorINS9_10device_ptrIiEEEESE_iNS9_4plusIiEEiEEDaPvRmT3_T4_T5_mT6_P12ihipStream_tbENKUlT_T0_E_clISt17integral_constantIbLb1EESU_EEDaSP_SQ_EUlSP_E_NS1_11comp_targetILNS1_3genE4ELNS1_11target_archE910ELNS1_3gpuE8ELNS1_3repE0EEENS1_30default_config_static_selectorELNS0_4arch9wavefront6targetE1EEEvT1_
	.p2align	8
	.type	_ZN7rocprim17ROCPRIM_400000_NS6detail17trampoline_kernelINS0_14default_configENS1_20scan_config_selectorIiEEZZNS1_9scan_implILNS1_25lookback_scan_determinismE0ELb1ELb1ES3_N6thrust23THRUST_200600_302600_NS6detail15normal_iteratorINS9_10device_ptrIiEEEESE_iNS9_4plusIiEEiEEDaPvRmT3_T4_T5_mT6_P12ihipStream_tbENKUlT_T0_E_clISt17integral_constantIbLb1EESU_EEDaSP_SQ_EUlSP_E_NS1_11comp_targetILNS1_3genE4ELNS1_11target_archE910ELNS1_3gpuE8ELNS1_3repE0EEENS1_30default_config_static_selectorELNS0_4arch9wavefront6targetE1EEEvT1_,@function
_ZN7rocprim17ROCPRIM_400000_NS6detail17trampoline_kernelINS0_14default_configENS1_20scan_config_selectorIiEEZZNS1_9scan_implILNS1_25lookback_scan_determinismE0ELb1ELb1ES3_N6thrust23THRUST_200600_302600_NS6detail15normal_iteratorINS9_10device_ptrIiEEEESE_iNS9_4plusIiEEiEEDaPvRmT3_T4_T5_mT6_P12ihipStream_tbENKUlT_T0_E_clISt17integral_constantIbLb1EESU_EEDaSP_SQ_EUlSP_E_NS1_11comp_targetILNS1_3genE4ELNS1_11target_archE910ELNS1_3gpuE8ELNS1_3repE0EEENS1_30default_config_static_selectorELNS0_4arch9wavefront6targetE1EEEvT1_: ; @_ZN7rocprim17ROCPRIM_400000_NS6detail17trampoline_kernelINS0_14default_configENS1_20scan_config_selectorIiEEZZNS1_9scan_implILNS1_25lookback_scan_determinismE0ELb1ELb1ES3_N6thrust23THRUST_200600_302600_NS6detail15normal_iteratorINS9_10device_ptrIiEEEESE_iNS9_4plusIiEEiEEDaPvRmT3_T4_T5_mT6_P12ihipStream_tbENKUlT_T0_E_clISt17integral_constantIbLb1EESU_EEDaSP_SQ_EUlSP_E_NS1_11comp_targetILNS1_3genE4ELNS1_11target_archE910ELNS1_3gpuE8ELNS1_3repE0EEENS1_30default_config_static_selectorELNS0_4arch9wavefront6targetE1EEEvT1_
; %bb.0:
	s_load_dword s33, s[4:5], 0x20
	s_load_dwordx2 s[6:7], s[4:5], 0x28
	v_cmp_ne_u32_e64 s[2:3], 0, v0
	v_cmp_eq_u32_e64 s[0:1], 0, v0
	s_and_saveexec_b64 s[8:9], s[0:1]
	s_cbranch_execz .LBB680_4
; %bb.1:
	s_mov_b64 s[12:13], exec
	v_mbcnt_lo_u32_b32 v1, s12, 0
	v_mbcnt_hi_u32_b32 v1, s13, v1
	v_cmp_eq_u32_e32 vcc, 0, v1
                                        ; implicit-def: $vgpr2
	s_and_saveexec_b64 s[10:11], vcc
	s_cbranch_execz .LBB680_3
; %bb.2:
	s_load_dwordx2 s[14:15], s[4:5], 0x58
	s_bcnt1_i32_b64 s12, s[12:13]
	v_mov_b32_e32 v2, 0
	v_mov_b32_e32 v3, s12
	s_waitcnt lgkmcnt(0)
	global_atomic_add v2, v2, v3, s[14:15] glc
.LBB680_3:
	s_or_b64 exec, exec, s[10:11]
	s_waitcnt vmcnt(0)
	v_readfirstlane_b32 s10, v2
	v_add_u32_e32 v1, s10, v1
	v_mov_b32_e32 v2, 0
	ds_write_b32 v2, v1
.LBB680_4:
	s_or_b64 exec, exec, s[8:9]
	s_load_dwordx8 s[16:23], s[4:5], 0x0
	s_load_dword s24, s[4:5], 0x30
	s_load_dwordx8 s[8:15], s[4:5], 0x38
	v_mov_b32_e32 v1, 0
	s_waitcnt lgkmcnt(0)
	s_barrier
	ds_read_b32 v1, v1
	s_lshl_b64 s[18:19], s[18:19], 2
	s_add_u32 s34, s16, s18
	s_addc_u32 s35, s17, s19
	s_add_i32 s16, s24, -1
	s_mul_i32 s17, s16, 0x500
	s_sub_u32 s30, s22, s17
	s_waitcnt lgkmcnt(0)
	v_readfirstlane_b32 s36, v1
	s_subb_u32 s31, s23, 0
	s_mul_i32 s4, s36, 0x500
	s_mov_b32 s5, 0
	s_cmp_lg_u32 s36, s16
	s_cselect_b64 s[16:17], -1, 0
	s_lshl_b64 s[22:23], s[4:5], 2
	s_add_u32 s24, s34, s22
	s_addc_u32 s25, s35, s23
	s_mov_b64 s[4:5], -1
	s_and_b64 vcc, exec, s[16:17]
	v_lshlrev_b32_e32 v22, 2, v0
	s_barrier
	s_cbranch_vccz .LBB680_6
; %bb.5:
	v_mov_b32_e32 v1, s25
	v_add_co_u32_e32 v2, vcc, s24, v22
	v_addc_co_u32_e32 v3, vcc, 0, v1, vcc
	flat_load_dword v1, v[2:3]
	flat_load_dword v4, v[2:3] offset:512
	flat_load_dword v5, v[2:3] offset:1024
	;; [unrolled: 1-line block ×7, first 2 shown]
	v_add_co_u32_e32 v2, vcc, 0x1000, v2
	v_addc_co_u32_e32 v3, vcc, 0, v3, vcc
	flat_load_dword v11, v[2:3]
	flat_load_dword v12, v[2:3] offset:512
	s_mov_b64 s[4:5], 0
	s_waitcnt vmcnt(0) lgkmcnt(0)
	ds_write2st64_b32 v22, v1, v4 offset1:2
	ds_write2st64_b32 v22, v5, v6 offset0:4 offset1:6
	ds_write2st64_b32 v22, v7, v8 offset0:8 offset1:10
	ds_write2st64_b32 v22, v9, v10 offset0:12 offset1:14
	ds_write2st64_b32 v22, v11, v12 offset0:16 offset1:18
	s_waitcnt lgkmcnt(0)
	s_barrier
.LBB680_6:
	s_andn2_b64 vcc, exec, s[4:5]
	v_cmp_gt_u32_e64 s[4:5], s30, v0
	s_cbranch_vccnz .LBB680_28
; %bb.7:
	v_pk_mov_b32 v[2:3], s[24:25], s[24:25] op_sel:[0,1]
	flat_load_dword v1, v[2:3]
	s_waitcnt vmcnt(0) lgkmcnt(0)
	v_mov_b32_e32 v2, v1
	v_mov_b32_e32 v3, v1
	v_mov_b32_e32 v4, v1
	v_mov_b32_e32 v5, v1
	v_mov_b32_e32 v6, v1
	v_mov_b32_e32 v7, v1
	v_mov_b32_e32 v8, v1
	v_mov_b32_e32 v9, v1
	v_mov_b32_e32 v10, v1
	s_and_saveexec_b64 s[26:27], s[4:5]
	s_cbranch_execz .LBB680_9
; %bb.8:
	v_mov_b32_e32 v11, s25
	v_add_co_u32_e32 v10, vcc, s24, v22
	v_addc_co_u32_e32 v11, vcc, 0, v11, vcc
	flat_load_dword v10, v[10:11]
.LBB680_9:
	s_or_b64 exec, exec, s[26:27]
	v_or_b32_e32 v11, 0x80, v0
	v_cmp_gt_u32_e32 vcc, s30, v11
	s_and_saveexec_b64 s[4:5], vcc
	s_cbranch_execz .LBB680_11
; %bb.10:
	v_mov_b32_e32 v1, s25
	v_add_co_u32_e32 v12, vcc, s24, v22
	v_addc_co_u32_e32 v13, vcc, 0, v1, vcc
	flat_load_dword v1, v[12:13] offset:512
.LBB680_11:
	s_or_b64 exec, exec, s[4:5]
	v_or_b32_e32 v11, 0x100, v0
	v_cmp_gt_u32_e32 vcc, s30, v11
	s_and_saveexec_b64 s[4:5], vcc
	s_cbranch_execz .LBB680_13
; %bb.12:
	v_mov_b32_e32 v2, s25
	v_add_co_u32_e32 v12, vcc, s24, v22
	v_addc_co_u32_e32 v13, vcc, 0, v2, vcc
	flat_load_dword v2, v[12:13] offset:1024
.LBB680_13:
	;; [unrolled: 11-line block ×7, first 2 shown]
	s_or_b64 exec, exec, s[4:5]
	v_or_b32_e32 v11, 0x400, v0
	v_cmp_gt_u32_e32 vcc, s30, v11
	s_and_saveexec_b64 s[4:5], vcc
	s_cbranch_execz .LBB680_25
; %bb.24:
	v_lshlrev_b32_e32 v8, 2, v11
	v_mov_b32_e32 v11, s25
	v_add_co_u32_e32 v12, vcc, s24, v8
	v_addc_co_u32_e32 v13, vcc, 0, v11, vcc
	flat_load_dword v8, v[12:13]
.LBB680_25:
	s_or_b64 exec, exec, s[4:5]
	v_or_b32_e32 v11, 0x480, v0
	v_cmp_gt_u32_e32 vcc, s30, v11
	s_and_saveexec_b64 s[4:5], vcc
	s_cbranch_execz .LBB680_27
; %bb.26:
	v_lshlrev_b32_e32 v9, 2, v11
	v_mov_b32_e32 v11, s25
	v_add_co_u32_e32 v12, vcc, s24, v9
	v_addc_co_u32_e32 v13, vcc, 0, v11, vcc
	flat_load_dword v9, v[12:13]
.LBB680_27:
	s_or_b64 exec, exec, s[4:5]
	s_waitcnt vmcnt(0) lgkmcnt(0)
	ds_write2st64_b32 v22, v10, v1 offset1:2
	ds_write2st64_b32 v22, v2, v3 offset0:4 offset1:6
	ds_write2st64_b32 v22, v4, v5 offset0:8 offset1:10
	;; [unrolled: 1-line block ×4, first 2 shown]
	s_waitcnt lgkmcnt(0)
	s_barrier
.LBB680_28:
	v_mul_u32_u24_e32 v23, 10, v0
	v_lshlrev_b32_e32 v1, 2, v23
	ds_read2_b64 v[16:19], v1 offset1:1
	ds_read2_b64 v[12:15], v1 offset0:2 offset1:3
	ds_read_b64 v[20:21], v1 offset:32
	s_cmp_lg_u32 s36, 0
	v_lshrrev_b32_e32 v24, 5, v0
	s_waitcnt lgkmcnt(2)
	v_add_u32_e32 v2, v17, v16
	v_add3_u32 v25, v2, v18, v19
	v_cmp_gt_u32_e32 vcc, 64, v0
	s_waitcnt lgkmcnt(0)
	s_barrier
	s_cbranch_scc0 .LBB680_57
; %bb.29:
	v_add3_u32 v2, v25, v12, v13
	v_add3_u32 v2, v2, v14, v15
	v_add3_u32 v2, v2, v20, v21
	v_add_lshl_u32 v3, v24, v0, 2
	ds_write_b32 v3, v2
	s_waitcnt lgkmcnt(0)
	s_barrier
	s_and_saveexec_b64 s[24:25], vcc
	s_cbranch_execz .LBB680_31
; %bb.30:
	v_lshlrev_b32_e32 v3, 1, v0
	v_lshrrev_b32_e32 v4, 4, v0
	v_add_lshl_u32 v3, v4, v3, 2
	ds_read2_b32 v[4:5], v3 offset1:1
	v_mbcnt_lo_u32_b32 v6, -1, 0
	v_mbcnt_hi_u32_b32 v6, -1, v6
	v_and_b32_e32 v7, 15, v6
	v_cmp_ne_u32_e64 s[4:5], 0, v7
	s_waitcnt lgkmcnt(0)
	v_add_u32_e32 v5, v5, v4
	; wave barrier
	s_nop 1
	v_mov_b32_dpp v8, v5 row_shr:1 row_mask:0xf bank_mask:0xf
	v_cndmask_b32_e64 v8, 0, v8, s[4:5]
	v_add_u32_e32 v5, v8, v5
	v_cmp_lt_u32_e64 s[4:5], 1, v7
	s_nop 0
	v_mov_b32_dpp v8, v5 row_shr:2 row_mask:0xf bank_mask:0xf
	v_cndmask_b32_e64 v8, 0, v8, s[4:5]
	v_add_u32_e32 v5, v5, v8
	v_cmp_lt_u32_e64 s[4:5], 3, v7
	;; [unrolled: 5-line block ×3, first 2 shown]
	s_nop 0
	v_mov_b32_dpp v8, v5 row_shr:8 row_mask:0xf bank_mask:0xf
	v_cndmask_b32_e64 v7, 0, v8, s[4:5]
	v_add_u32_e32 v5, v5, v7
	v_bfe_i32 v8, v6, 4, 1
	v_cmp_lt_u32_e64 s[4:5], 31, v6
	v_mov_b32_dpp v7, v5 row_bcast:15 row_mask:0xf bank_mask:0xf
	v_and_b32_e32 v7, v8, v7
	v_add_u32_e32 v5, v5, v7
	v_and_b32_e32 v8, 64, v6
	s_nop 0
	v_mov_b32_dpp v7, v5 row_bcast:31 row_mask:0xf bank_mask:0xf
	v_cndmask_b32_e64 v7, 0, v7, s[4:5]
	v_add_u32_e32 v5, v5, v7
	v_add_u32_e32 v7, -1, v6
	v_cmp_lt_i32_e64 s[4:5], v7, v8
	v_cndmask_b32_e64 v6, v7, v6, s[4:5]
	v_lshlrev_b32_e32 v6, 2, v6
	ds_bpermute_b32 v5, v6, v5
	s_waitcnt lgkmcnt(0)
	v_add_u32_e32 v4, v5, v4
	v_cndmask_b32_e64 v2, v4, v2, s[0:1]
	ds_write_b32 v3, v2
	; wave barrier
	ds_read_b32 v4, v3 offset:4
	s_waitcnt lgkmcnt(0)
	v_add_u32_e32 v2, v4, v2
	ds_write_b32 v3, v2 offset:4
.LBB680_31:
	s_or_b64 exec, exec, s[24:25]
	v_mov_b32_e32 v26, 0
	s_waitcnt lgkmcnt(0)
	s_barrier
	s_and_saveexec_b64 s[4:5], s[2:3]
	s_cbranch_execz .LBB680_33
; %bb.32:
	v_add_u32_e32 v2, -1, v0
	v_lshrrev_b32_e32 v3, 5, v2
	v_add_lshl_u32 v2, v3, v2, 2
	ds_read_b32 v26, v2
.LBB680_33:
	s_or_b64 exec, exec, s[4:5]
	s_and_saveexec_b64 s[24:25], vcc
	s_cbranch_execz .LBB680_56
; %bb.34:
	v_mov_b32_e32 v11, 0
	ds_read_b32 v2, v11 offset:520
	v_mbcnt_lo_u32_b32 v3, -1, 0
	v_mbcnt_hi_u32_b32 v5, -1, v3
	s_mov_b32 s29, 0
	v_cmp_eq_u32_e64 s[4:5], 0, v5
	s_and_saveexec_b64 s[26:27], s[4:5]
	s_cbranch_execz .LBB680_36
; %bb.35:
	s_add_i32 s28, s36, 64
	s_lshl_b64 s[28:29], s[28:29], 3
	s_add_u32 s28, s6, s28
	v_mov_b32_e32 v3, 1
	s_addc_u32 s29, s7, s29
	s_waitcnt lgkmcnt(0)
	global_store_dwordx2 v11, v[2:3], s[28:29]
.LBB680_36:
	s_or_b64 exec, exec, s[26:27]
	v_xad_u32 v4, v5, -1, s36
	v_add_u32_e32 v10, 64, v4
	v_lshlrev_b64 v[6:7], 3, v[10:11]
	v_mov_b32_e32 v3, s7
	v_add_co_u32_e32 v6, vcc, s6, v6
	v_addc_co_u32_e32 v7, vcc, v3, v7, vcc
	global_load_dwordx2 v[8:9], v[6:7], off glc
	s_waitcnt vmcnt(0)
	v_cmp_eq_u16_sdwa s[28:29], v9, v11 src0_sel:BYTE_0 src1_sel:DWORD
	s_and_saveexec_b64 s[26:27], s[28:29]
	s_cbranch_execz .LBB680_42
; %bb.37:
	s_mov_b32 s37, 1
	s_mov_b64 s[28:29], 0
	v_mov_b32_e32 v3, 0
.LBB680_38:                             ; =>This Loop Header: Depth=1
                                        ;     Child Loop BB680_39 Depth 2
	s_max_u32 s38, s37, 1
.LBB680_39:                             ;   Parent Loop BB680_38 Depth=1
                                        ; =>  This Inner Loop Header: Depth=2
	s_add_i32 s38, s38, -1
	s_cmp_eq_u32 s38, 0
	s_sleep 1
	s_cbranch_scc0 .LBB680_39
; %bb.40:                               ;   in Loop: Header=BB680_38 Depth=1
	global_load_dwordx2 v[8:9], v[6:7], off glc
	s_cmp_lt_u32 s37, 32
	s_cselect_b64 s[38:39], -1, 0
	s_cmp_lg_u64 s[38:39], 0
	s_addc_u32 s37, s37, 0
	s_waitcnt vmcnt(0)
	v_cmp_ne_u16_sdwa s[38:39], v9, v3 src0_sel:BYTE_0 src1_sel:DWORD
	s_or_b64 s[28:29], s[38:39], s[28:29]
	s_andn2_b64 exec, exec, s[28:29]
	s_cbranch_execnz .LBB680_38
; %bb.41:
	s_or_b64 exec, exec, s[28:29]
.LBB680_42:
	s_or_b64 exec, exec, s[26:27]
	v_and_b32_e32 v27, 63, v5
	v_mov_b32_e32 v3, 2
	v_cmp_ne_u32_e32 vcc, 63, v27
	v_cmp_eq_u16_sdwa s[26:27], v9, v3 src0_sel:BYTE_0 src1_sel:DWORD
	v_lshlrev_b64 v[6:7], v5, -1
	v_addc_co_u32_e32 v28, vcc, 0, v5, vcc
	v_and_b32_e32 v10, s27, v7
	v_lshlrev_b32_e32 v28, 2, v28
	v_or_b32_e32 v10, 0x80000000, v10
	ds_bpermute_b32 v29, v28, v8
	v_and_b32_e32 v11, s26, v6
	v_ffbl_b32_e32 v10, v10
	v_add_u32_e32 v10, 32, v10
	v_ffbl_b32_e32 v11, v11
	v_min_u32_e32 v10, v11, v10
	v_cmp_lt_u32_e32 vcc, v27, v10
	s_waitcnt lgkmcnt(0)
	v_cndmask_b32_e32 v11, 0, v29, vcc
	v_cmp_gt_u32_e32 vcc, 62, v27
	v_add_u32_e32 v8, v11, v8
	v_cndmask_b32_e64 v11, 0, 1, vcc
	v_lshlrev_b32_e32 v11, 1, v11
	v_add_lshl_u32 v29, v11, v5, 2
	ds_bpermute_b32 v11, v29, v8
	v_add_u32_e32 v30, 2, v27
	v_cmp_le_u32_e32 vcc, v30, v10
	v_add_u32_e32 v32, 4, v27
	v_add_u32_e32 v34, 8, v27
	s_waitcnt lgkmcnt(0)
	v_cndmask_b32_e32 v11, 0, v11, vcc
	v_cmp_gt_u32_e32 vcc, 60, v27
	v_add_u32_e32 v8, v8, v11
	v_cndmask_b32_e64 v11, 0, 1, vcc
	v_lshlrev_b32_e32 v11, 2, v11
	v_add_lshl_u32 v31, v11, v5, 2
	ds_bpermute_b32 v11, v31, v8
	v_cmp_le_u32_e32 vcc, v32, v10
	v_add_u32_e32 v37, 16, v27
	v_add_u32_e32 v39, 32, v27
	s_waitcnt lgkmcnt(0)
	v_cndmask_b32_e32 v11, 0, v11, vcc
	v_cmp_gt_u32_e32 vcc, 56, v27
	v_add_u32_e32 v8, v8, v11
	v_cndmask_b32_e64 v11, 0, 1, vcc
	v_lshlrev_b32_e32 v11, 3, v11
	v_add_lshl_u32 v33, v11, v5, 2
	ds_bpermute_b32 v11, v33, v8
	v_cmp_le_u32_e32 vcc, v34, v10
	s_waitcnt lgkmcnt(0)
	v_cndmask_b32_e32 v11, 0, v11, vcc
	v_cmp_gt_u32_e32 vcc, 48, v27
	v_add_u32_e32 v8, v8, v11
	v_cndmask_b32_e64 v11, 0, 1, vcc
	v_lshlrev_b32_e32 v11, 4, v11
	v_add_lshl_u32 v36, v11, v5, 2
	ds_bpermute_b32 v11, v36, v8
	v_cmp_le_u32_e32 vcc, v37, v10
	;; [unrolled: 9-line block ×3, first 2 shown]
	s_waitcnt lgkmcnt(0)
	v_cndmask_b32_e32 v5, 0, v5, vcc
	v_add_u32_e32 v8, v8, v5
	v_mov_b32_e32 v5, 0
	s_branch .LBB680_44
.LBB680_43:                             ;   in Loop: Header=BB680_44 Depth=1
	s_or_b64 exec, exec, s[26:27]
	v_cmp_eq_u16_sdwa s[26:27], v9, v3 src0_sel:BYTE_0 src1_sel:DWORD
	v_and_b32_e32 v10, s27, v7
	v_or_b32_e32 v10, 0x80000000, v10
	ds_bpermute_b32 v40, v28, v8
	v_and_b32_e32 v11, s26, v6
	v_ffbl_b32_e32 v10, v10
	v_add_u32_e32 v10, 32, v10
	v_ffbl_b32_e32 v11, v11
	v_min_u32_e32 v10, v11, v10
	v_cmp_lt_u32_e32 vcc, v27, v10
	s_waitcnt lgkmcnt(0)
	v_cndmask_b32_e32 v11, 0, v40, vcc
	v_add_u32_e32 v8, v11, v8
	ds_bpermute_b32 v11, v29, v8
	v_cmp_le_u32_e32 vcc, v30, v10
	v_subrev_u32_e32 v4, 64, v4
	s_waitcnt lgkmcnt(0)
	v_cndmask_b32_e32 v11, 0, v11, vcc
	v_add_u32_e32 v8, v8, v11
	ds_bpermute_b32 v11, v31, v8
	v_cmp_le_u32_e32 vcc, v32, v10
	s_waitcnt lgkmcnt(0)
	v_cndmask_b32_e32 v11, 0, v11, vcc
	v_add_u32_e32 v8, v8, v11
	ds_bpermute_b32 v11, v33, v8
	v_cmp_le_u32_e32 vcc, v34, v10
	;; [unrolled: 5-line block ×4, first 2 shown]
	s_waitcnt lgkmcnt(0)
	v_cndmask_b32_e32 v10, 0, v11, vcc
	v_add3_u32 v8, v10, v35, v8
.LBB680_44:                             ; =>This Loop Header: Depth=1
                                        ;     Child Loop BB680_47 Depth 2
                                        ;       Child Loop BB680_48 Depth 3
	v_cmp_ne_u16_sdwa s[26:27], v9, v3 src0_sel:BYTE_0 src1_sel:DWORD
	v_cndmask_b32_e64 v9, 0, 1, s[26:27]
	;;#ASMSTART
	;;#ASMEND
	v_cmp_ne_u32_e32 vcc, 0, v9
	s_cmp_lg_u64 vcc, exec
	v_mov_b32_e32 v35, v8
	s_cbranch_scc1 .LBB680_51
; %bb.45:                               ;   in Loop: Header=BB680_44 Depth=1
	v_lshlrev_b64 v[8:9], 3, v[4:5]
	v_mov_b32_e32 v11, s7
	v_add_co_u32_e32 v10, vcc, s6, v8
	v_addc_co_u32_e32 v11, vcc, v11, v9, vcc
	global_load_dwordx2 v[8:9], v[10:11], off glc
	s_waitcnt vmcnt(0)
	v_cmp_eq_u16_sdwa s[28:29], v9, v5 src0_sel:BYTE_0 src1_sel:DWORD
	s_and_saveexec_b64 s[26:27], s[28:29]
	s_cbranch_execz .LBB680_43
; %bb.46:                               ;   in Loop: Header=BB680_44 Depth=1
	s_mov_b32 s37, 1
	s_mov_b64 s[28:29], 0
.LBB680_47:                             ;   Parent Loop BB680_44 Depth=1
                                        ; =>  This Loop Header: Depth=2
                                        ;       Child Loop BB680_48 Depth 3
	s_max_u32 s38, s37, 1
.LBB680_48:                             ;   Parent Loop BB680_44 Depth=1
                                        ;     Parent Loop BB680_47 Depth=2
                                        ; =>    This Inner Loop Header: Depth=3
	s_add_i32 s38, s38, -1
	s_cmp_eq_u32 s38, 0
	s_sleep 1
	s_cbranch_scc0 .LBB680_48
; %bb.49:                               ;   in Loop: Header=BB680_47 Depth=2
	global_load_dwordx2 v[8:9], v[10:11], off glc
	s_cmp_lt_u32 s37, 32
	s_cselect_b64 s[38:39], -1, 0
	s_cmp_lg_u64 s[38:39], 0
	s_addc_u32 s37, s37, 0
	s_waitcnt vmcnt(0)
	v_cmp_ne_u16_sdwa s[38:39], v9, v5 src0_sel:BYTE_0 src1_sel:DWORD
	s_or_b64 s[28:29], s[38:39], s[28:29]
	s_andn2_b64 exec, exec, s[28:29]
	s_cbranch_execnz .LBB680_47
; %bb.50:                               ;   in Loop: Header=BB680_44 Depth=1
	s_or_b64 exec, exec, s[28:29]
	s_branch .LBB680_43
.LBB680_51:                             ;   in Loop: Header=BB680_44 Depth=1
                                        ; implicit-def: $vgpr8
                                        ; implicit-def: $vgpr9
	s_cbranch_execz .LBB680_44
; %bb.52:
	s_and_saveexec_b64 s[26:27], s[4:5]
	s_cbranch_execz .LBB680_54
; %bb.53:
	s_add_i32 s4, s36, 64
	s_mov_b32 s5, 0
	s_lshl_b64 s[4:5], s[4:5], 3
	s_add_u32 s4, s6, s4
	v_add_u32_e32 v2, v35, v2
	v_mov_b32_e32 v3, 2
	s_addc_u32 s5, s7, s5
	v_mov_b32_e32 v4, 0
	global_store_dwordx2 v4, v[2:3], s[4:5]
.LBB680_54:
	s_or_b64 exec, exec, s[26:27]
	s_and_b64 exec, exec, s[0:1]
	s_cbranch_execz .LBB680_56
; %bb.55:
	v_mov_b32_e32 v2, 0
	ds_write_b32 v2, v35
.LBB680_56:
	s_or_b64 exec, exec, s[24:25]
	v_mov_b32_e32 v2, 0
	s_waitcnt lgkmcnt(0)
	s_barrier
	ds_read_b32 v2, v2
	s_waitcnt lgkmcnt(0)
	v_add_u32_e32 v2, v2, v26
	v_add_u32_e32 v3, v2, v16
	;; [unrolled: 1-line block ×10, first 2 shown]
	s_branch .LBB680_67
.LBB680_57:
                                        ; implicit-def: $vgpr2_vgpr3_vgpr4_vgpr5_vgpr6_vgpr7_vgpr8_vgpr9_vgpr10_vgpr11
	s_cbranch_execz .LBB680_67
; %bb.58:
	s_cmp_eq_u64 s[12:13], 0
	v_mov_b32_e32 v26, s33
	s_cbranch_scc1 .LBB680_60
; %bb.59:
	v_mov_b32_e32 v3, s35
	v_add_co_u32_e64 v2, vcc, -4, s34
	v_addc_co_u32_e32 v3, vcc, -1, v3, vcc
	v_mov_b32_e32 v4, 0
	flat_load_dword v5, v[2:3]
	global_load_dword v6, v4, s[8:9]
	s_waitcnt vmcnt(0) lgkmcnt(0)
	v_add_u32_e32 v26, v6, v5
.LBB680_60:
	v_add3_u32 v2, v25, v12, v13
	v_add3_u32 v2, v2, v14, v15
	v_add3_u32 v2, v2, v20, v21
	v_add_lshl_u32 v3, v24, v0, 2
	v_cmp_gt_u32_e32 vcc, 64, v0
	ds_write_b32 v3, v2
	s_waitcnt lgkmcnt(0)
	s_barrier
	s_and_saveexec_b64 s[4:5], vcc
	s_cbranch_execz .LBB680_62
; %bb.61:
	v_lshlrev_b32_e32 v3, 1, v0
	v_lshrrev_b32_e32 v4, 4, v0
	v_add_lshl_u32 v3, v4, v3, 2
	ds_read2_b32 v[4:5], v3 offset1:1
	v_mbcnt_lo_u32_b32 v6, -1, 0
	v_mbcnt_hi_u32_b32 v6, -1, v6
	v_and_b32_e32 v7, 15, v6
	v_cmp_ne_u32_e32 vcc, 0, v7
	s_waitcnt lgkmcnt(0)
	v_add_u32_e32 v5, v5, v4
	; wave barrier
	s_nop 1
	v_mov_b32_dpp v8, v5 row_shr:1 row_mask:0xf bank_mask:0xf
	v_cndmask_b32_e32 v8, 0, v8, vcc
	v_add_u32_e32 v5, v8, v5
	v_cmp_lt_u32_e32 vcc, 1, v7
	s_nop 0
	v_mov_b32_dpp v8, v5 row_shr:2 row_mask:0xf bank_mask:0xf
	v_cndmask_b32_e32 v8, 0, v8, vcc
	v_add_u32_e32 v5, v5, v8
	v_cmp_lt_u32_e32 vcc, 3, v7
	;; [unrolled: 5-line block ×3, first 2 shown]
	s_nop 0
	v_mov_b32_dpp v8, v5 row_shr:8 row_mask:0xf bank_mask:0xf
	v_cndmask_b32_e32 v7, 0, v8, vcc
	v_add_u32_e32 v5, v5, v7
	v_bfe_i32 v8, v6, 4, 1
	v_cmp_lt_u32_e32 vcc, 31, v6
	v_mov_b32_dpp v7, v5 row_bcast:15 row_mask:0xf bank_mask:0xf
	v_and_b32_e32 v7, v8, v7
	v_add_u32_e32 v5, v5, v7
	v_and_b32_e32 v8, 64, v6
	s_nop 0
	v_mov_b32_dpp v7, v5 row_bcast:31 row_mask:0xf bank_mask:0xf
	v_cndmask_b32_e32 v7, 0, v7, vcc
	v_add_u32_e32 v5, v5, v7
	v_add_u32_e32 v7, -1, v6
	v_cmp_lt_i32_e32 vcc, v7, v8
	v_cndmask_b32_e32 v6, v7, v6, vcc
	v_lshlrev_b32_e32 v6, 2, v6
	ds_bpermute_b32 v5, v6, v5
	s_waitcnt lgkmcnt(0)
	v_add_u32_e32 v4, v5, v4
	v_cndmask_b32_e64 v2, v4, v2, s[0:1]
	ds_write_b32 v3, v2
	; wave barrier
	ds_read_b32 v4, v3 offset:4
	s_waitcnt lgkmcnt(0)
	v_add_u32_e32 v2, v4, v2
	ds_write_b32 v3, v2 offset:4
.LBB680_62:
	s_or_b64 exec, exec, s[4:5]
	v_mov_b32_e32 v2, v26
	s_waitcnt lgkmcnt(0)
	s_barrier
	s_and_saveexec_b64 s[4:5], s[2:3]
	s_cbranch_execz .LBB680_64
; %bb.63:
	v_add_u32_e32 v2, -1, v0
	v_lshrrev_b32_e32 v3, 5, v2
	v_add_lshl_u32 v2, v3, v2, 2
	ds_read_b32 v2, v2
	s_waitcnt lgkmcnt(0)
	v_add_u32_e32 v2, v2, v26
.LBB680_64:
	s_or_b64 exec, exec, s[4:5]
	v_add_u32_e32 v3, v2, v16
	v_add_u32_e32 v4, v3, v17
	v_add_u32_e32 v5, v4, v18
	v_add_u32_e32 v6, v5, v19
	v_add_u32_e32 v7, v6, v12
	v_add_u32_e32 v8, v7, v13
	v_add_u32_e32 v9, v8, v14
	v_add_u32_e32 v10, v9, v15
	v_add_u32_e32 v11, v10, v20
	s_and_saveexec_b64 s[2:3], s[0:1]
	s_cbranch_execz .LBB680_66
; %bb.65:
	v_mov_b32_e32 v14, 0
	ds_read_b32 v12, v14 offset:520
	v_mov_b32_e32 v13, 2
	s_waitcnt lgkmcnt(0)
	v_add_u32_e32 v12, v12, v26
	global_store_dwordx2 v14, v[12:13], s[6:7] offset:512
.LBB680_66:
	s_or_b64 exec, exec, s[2:3]
.LBB680_67:
	s_add_u32 s0, s20, s18
	s_addc_u32 s1, s21, s19
	s_add_u32 s2, s0, s22
	s_addc_u32 s3, s1, s23
	s_mov_b64 s[0:1], -1
	s_and_b64 vcc, exec, s[16:17]
	s_barrier
	s_cbranch_vccz .LBB680_69
; %bb.68:
	ds_write2_b64 v1, v[2:3], v[4:5] offset1:1
	ds_write2_b64 v1, v[6:7], v[8:9] offset0:2 offset1:3
	ds_write_b64 v1, v[10:11] offset:32
	s_waitcnt lgkmcnt(0)
	s_barrier
	ds_read2st64_b32 v[12:13], v22 offset1:2
	ds_read2st64_b32 v[14:15], v22 offset0:4 offset1:6
	ds_read2st64_b32 v[16:17], v22 offset0:8 offset1:10
	;; [unrolled: 1-line block ×4, first 2 shown]
	v_mov_b32_e32 v25, s3
	v_add_co_u32_e32 v24, vcc, s2, v22
	v_addc_co_u32_e32 v25, vcc, 0, v25, vcc
	s_waitcnt lgkmcnt(4)
	flat_store_dword v[24:25], v12
	flat_store_dword v[24:25], v13 offset:512
	s_waitcnt lgkmcnt(0)
	flat_store_dword v[24:25], v14 offset:1024
	flat_store_dword v[24:25], v15 offset:1536
	;; [unrolled: 1-line block ×6, first 2 shown]
	v_add_co_u32_e32 v12, vcc, 0x1000, v24
	v_addc_co_u32_e32 v13, vcc, 0, v25, vcc
	flat_store_dword v[12:13], v20
	flat_store_dword v[12:13], v21 offset:512
	s_mov_b64 s[0:1], 0
.LBB680_69:
	s_andn2_b64 vcc, exec, s[0:1]
	s_cbranch_vccnz .LBB680_125
; %bb.70:
	ds_write2_b64 v1, v[2:3], v[4:5] offset1:1
	ds_write2_b64 v1, v[6:7], v[8:9] offset0:2 offset1:3
	ds_write_b64 v1, v[10:11] offset:32
	s_waitcnt lgkmcnt(0)
	s_barrier
	ds_read2st64_b32 v[2:3], v22 offset1:2
	ds_read2st64_b32 v[6:7], v22 offset0:4 offset1:6
	ds_read2st64_b32 v[4:5], v22 offset0:8 offset1:10
	;; [unrolled: 1-line block ×4, first 2 shown]
	v_mov_b32_e32 v13, s3
	v_add_co_u32_e32 v12, vcc, s2, v22
	v_addc_co_u32_e32 v13, vcc, 0, v13, vcc
	v_mov_b32_e32 v1, 0
	v_cmp_gt_u32_e32 vcc, s30, v0
	s_and_saveexec_b64 s[0:1], vcc
	s_cbranch_execz .LBB680_72
; %bb.71:
	s_waitcnt lgkmcnt(0)
	flat_store_dword v[12:13], v2
.LBB680_72:
	s_or_b64 exec, exec, s[0:1]
	v_or_b32_e32 v14, 0x80, v0
	v_cmp_gt_u32_e32 vcc, s30, v14
	s_and_saveexec_b64 s[0:1], vcc
	s_cbranch_execz .LBB680_74
; %bb.73:
	s_waitcnt lgkmcnt(0)
	flat_store_dword v[12:13], v3 offset:512
.LBB680_74:
	s_or_b64 exec, exec, s[0:1]
	v_or_b32_e32 v14, 0x100, v0
	v_cmp_gt_u32_e32 vcc, s30, v14
	s_and_saveexec_b64 s[0:1], vcc
	s_cbranch_execz .LBB680_76
; %bb.75:
	s_waitcnt lgkmcnt(0)
	flat_store_dword v[12:13], v6 offset:1024
.LBB680_76:
	;; [unrolled: 9-line block ×7, first 2 shown]
	s_or_b64 exec, exec, s[0:1]
	v_or_b32_e32 v14, 0x400, v0
	v_cmp_gt_u32_e32 vcc, s30, v14
	s_and_saveexec_b64 s[0:1], vcc
	s_cbranch_execz .LBB680_88
; %bb.87:
	v_add_co_u32_e32 v14, vcc, 0x1000, v12
	v_addc_co_u32_e32 v15, vcc, 0, v13, vcc
	s_waitcnt lgkmcnt(0)
	flat_store_dword v[14:15], v10
.LBB680_88:
	s_or_b64 exec, exec, s[0:1]
	v_or_b32_e32 v14, 0x480, v0
	v_cmp_gt_u32_e32 vcc, s30, v14
	s_and_saveexec_b64 s[0:1], vcc
	s_cbranch_execz .LBB680_90
; %bb.89:
	v_add_co_u32_e32 v12, vcc, 0x1000, v12
	v_addc_co_u32_e32 v13, vcc, 0, v13, vcc
	s_waitcnt lgkmcnt(0)
	flat_store_dword v[12:13], v11 offset:512
.LBB680_90:
	s_or_b64 exec, exec, s[0:1]
	v_cmp_lt_u64_e64 s[0:1], s[14:15], 2
	s_and_b64 vcc, exec, s[0:1]
	s_cbranch_vccnz .LBB680_125
; %bb.91:
	s_add_u32 s0, s30, -1
	s_addc_u32 s1, s31, -1
	s_add_u32 s2, 0, 0x99986000
	s_addc_u32 s3, 0, 0x59
	s_add_i32 s3, s3, 0x19999940
	s_mul_hi_u32 s7, s2, -10
	s_sub_i32 s7, s7, s2
	s_mul_i32 s8, s3, -10
	s_mul_i32 s4, s2, -10
	s_add_i32 s7, s7, s8
	s_mul_hi_u32 s5, s3, s4
	s_mul_i32 s6, s3, s4
	s_mul_i32 s9, s2, s7
	s_mul_hi_u32 s4, s2, s4
	s_mul_hi_u32 s8, s2, s7
	s_add_u32 s4, s4, s9
	s_addc_u32 s8, 0, s8
	s_add_u32 s4, s4, s6
	s_mul_hi_u32 s9, s3, s7
	s_addc_u32 s4, s8, s5
	s_addc_u32 s5, s9, 0
	s_mul_i32 s6, s3, s7
	s_add_u32 s4, s4, s6
	v_mov_b32_e32 v12, s4
	s_addc_u32 s5, 0, s5
	v_add_co_u32_e32 v12, vcc, s2, v12
	s_cmp_lg_u64 vcc, 0
	s_addc_u32 s2, s3, s5
	v_readfirstlane_b32 s5, v12
	s_mul_i32 s4, s0, s2
	s_mul_hi_u32 s6, s0, s5
	s_mul_hi_u32 s3, s0, s2
	s_add_u32 s4, s6, s4
	s_addc_u32 s3, 0, s3
	s_mul_hi_u32 s7, s1, s5
	s_mul_i32 s5, s1, s5
	s_add_u32 s4, s4, s5
	s_mul_hi_u32 s6, s1, s2
	s_addc_u32 s3, s3, s7
	s_addc_u32 s4, s6, 0
	s_mul_i32 s2, s1, s2
	s_add_u32 s2, s3, s2
	s_addc_u32 s3, 0, s4
	s_add_u32 s4, s2, 1
	s_addc_u32 s5, s3, 0
	s_add_u32 s6, s2, 2
	s_mul_i32 s8, s3, 10
	s_mul_hi_u32 s9, s2, 10
	s_addc_u32 s7, s3, 0
	s_add_i32 s9, s9, s8
	s_mul_i32 s8, s2, 10
	v_mov_b32_e32 v12, s8
	v_sub_co_u32_e32 v12, vcc, s0, v12
	s_cmp_lg_u64 vcc, 0
	s_subb_u32 s8, s1, s9
	v_subrev_co_u32_e32 v13, vcc, 10, v12
	s_cmp_lg_u64 vcc, 0
	s_subb_u32 s9, s8, 0
	v_readfirstlane_b32 s12, v13
	s_cmp_gt_u32 s12, 9
	s_cselect_b32 s12, -1, 0
	s_cmp_eq_u32 s9, 0
	s_cselect_b32 s9, s12, -1
	s_cmp_lg_u32 s9, 0
	s_cselect_b32 s4, s6, s4
	v_readfirstlane_b32 s6, v12
	s_cselect_b32 s5, s7, s5
	s_cmp_gt_u32 s6, 9
	s_cselect_b32 s6, -1, 0
	s_cmp_eq_u32 s8, 0
	s_cselect_b32 s6, s6, -1
	s_cmp_lg_u32 s6, 0
	s_cselect_b32 s3, s5, s3
	s_cselect_b32 s2, s4, s2
	v_cmp_eq_u64_e32 vcc, s[2:3], v[0:1]
	s_and_saveexec_b64 s[2:3], vcc
	s_cbranch_execz .LBB680_125
; %bb.92:
	v_mul_hi_u32_u24_e32 v1, 10, v0
	v_mov_b32_e32 v12, s1
	v_sub_co_u32_e32 v0, vcc, s0, v23
	v_subb_co_u32_e32 v1, vcc, v12, v1, vcc
	v_cmp_lt_i64_e32 vcc, 4, v[0:1]
	s_and_saveexec_b64 s[0:1], vcc
	s_xor_b64 s[0:1], exec, s[0:1]
	s_cbranch_execz .LBB680_110
; %bb.93:
	v_cmp_lt_i64_e32 vcc, 6, v[0:1]
	s_and_saveexec_b64 s[2:3], vcc
	s_xor_b64 s[2:3], exec, s[2:3]
	s_cbranch_execz .LBB680_103
; %bb.94:
	;; [unrolled: 5-line block ×4, first 2 shown]
	v_mov_b32_e32 v0, 0
	s_waitcnt lgkmcnt(0)
	global_store_dword v0, v11, s[10:11]
                                        ; implicit-def: $vgpr10_vgpr11
.LBB680_97:
	s_andn2_saveexec_b64 s[6:7], s[6:7]
	s_cbranch_execz .LBB680_99
; %bb.98:
	v_mov_b32_e32 v0, 0
	s_waitcnt lgkmcnt(0)
	global_store_dword v0, v10, s[10:11]
.LBB680_99:
	s_or_b64 exec, exec, s[6:7]
                                        ; implicit-def: $vgpr8_vgpr9
.LBB680_100:
	s_andn2_saveexec_b64 s[4:5], s[4:5]
	s_cbranch_execz .LBB680_102
; %bb.101:
	v_mov_b32_e32 v0, 0
	s_waitcnt lgkmcnt(0)
	global_store_dword v0, v9, s[10:11]
.LBB680_102:
	s_or_b64 exec, exec, s[4:5]
                                        ; implicit-def: $vgpr4_vgpr5
                                        ; implicit-def: $vgpr0_vgpr1
                                        ; implicit-def: $vgpr8_vgpr9
.LBB680_103:
	s_andn2_saveexec_b64 s[2:3], s[2:3]
	s_cbranch_execz .LBB680_109
; %bb.104:
	v_cmp_lt_i64_e32 vcc, 5, v[0:1]
	s_and_saveexec_b64 s[4:5], vcc
	s_xor_b64 s[4:5], exec, s[4:5]
	s_cbranch_execz .LBB680_106
; %bb.105:
	v_mov_b32_e32 v0, 0
	s_waitcnt lgkmcnt(0)
	global_store_dword v0, v8, s[10:11]
                                        ; implicit-def: $vgpr4_vgpr5
.LBB680_106:
	s_andn2_saveexec_b64 s[4:5], s[4:5]
	s_cbranch_execz .LBB680_108
; %bb.107:
	v_mov_b32_e32 v0, 0
	s_waitcnt lgkmcnt(0)
	global_store_dword v0, v5, s[10:11]
.LBB680_108:
	s_or_b64 exec, exec, s[4:5]
.LBB680_109:
	s_or_b64 exec, exec, s[2:3]
                                        ; implicit-def: $vgpr0_vgpr1
                                        ; implicit-def: $vgpr6_vgpr7
                                        ; implicit-def: $vgpr2_vgpr3
                                        ; implicit-def: $vgpr4_vgpr5
.LBB680_110:
	s_andn2_saveexec_b64 s[0:1], s[0:1]
	s_cbranch_execz .LBB680_125
; %bb.111:
	v_cmp_lt_i64_e32 vcc, 2, v[0:1]
	s_and_saveexec_b64 s[0:1], vcc
	s_xor_b64 s[0:1], exec, s[0:1]
	s_cbranch_execz .LBB680_117
; %bb.112:
	v_cmp_lt_i64_e32 vcc, 3, v[0:1]
	s_and_saveexec_b64 s[2:3], vcc
	s_xor_b64 s[2:3], exec, s[2:3]
	s_cbranch_execz .LBB680_114
; %bb.113:
	v_mov_b32_e32 v0, 0
	s_waitcnt lgkmcnt(0)
	global_store_dword v0, v4, s[10:11]
                                        ; implicit-def: $vgpr6_vgpr7
.LBB680_114:
	s_andn2_saveexec_b64 s[2:3], s[2:3]
	s_cbranch_execz .LBB680_116
; %bb.115:
	v_mov_b32_e32 v0, 0
	s_waitcnt lgkmcnt(0)
	global_store_dword v0, v7, s[10:11]
.LBB680_116:
	s_or_b64 exec, exec, s[2:3]
                                        ; implicit-def: $vgpr0_vgpr1
                                        ; implicit-def: $vgpr6_vgpr7
                                        ; implicit-def: $vgpr2_vgpr3
.LBB680_117:
	s_andn2_saveexec_b64 s[0:1], s[0:1]
	s_cbranch_execz .LBB680_125
; %bb.118:
	v_cmp_lt_i64_e32 vcc, 1, v[0:1]
	s_and_saveexec_b64 s[0:1], vcc
	s_xor_b64 s[0:1], exec, s[0:1]
	s_cbranch_execz .LBB680_120
; %bb.119:
	v_mov_b32_e32 v0, 0
	s_waitcnt lgkmcnt(0)
	global_store_dword v0, v6, s[10:11]
                                        ; implicit-def: $vgpr2_vgpr3
                                        ; implicit-def: $vgpr0_vgpr1
.LBB680_120:
	s_andn2_saveexec_b64 s[0:1], s[0:1]
	s_cbranch_execz .LBB680_125
; %bb.121:
	v_cmp_ne_u64_e32 vcc, 1, v[0:1]
	s_and_saveexec_b64 s[0:1], vcc
	s_xor_b64 s[0:1], exec, s[0:1]
	s_cbranch_execz .LBB680_123
; %bb.122:
	v_mov_b32_e32 v0, 0
	s_waitcnt lgkmcnt(0)
	global_store_dword v0, v2, s[10:11]
                                        ; implicit-def: $vgpr2_vgpr3
.LBB680_123:
	s_andn2_saveexec_b64 s[0:1], s[0:1]
	s_cbranch_execz .LBB680_125
; %bb.124:
	v_mov_b32_e32 v0, 0
	s_waitcnt lgkmcnt(0)
	global_store_dword v0, v3, s[10:11]
.LBB680_125:
	s_endpgm
	.section	.rodata,"a",@progbits
	.p2align	6, 0x0
	.amdhsa_kernel _ZN7rocprim17ROCPRIM_400000_NS6detail17trampoline_kernelINS0_14default_configENS1_20scan_config_selectorIiEEZZNS1_9scan_implILNS1_25lookback_scan_determinismE0ELb1ELb1ES3_N6thrust23THRUST_200600_302600_NS6detail15normal_iteratorINS9_10device_ptrIiEEEESE_iNS9_4plusIiEEiEEDaPvRmT3_T4_T5_mT6_P12ihipStream_tbENKUlT_T0_E_clISt17integral_constantIbLb1EESU_EEDaSP_SQ_EUlSP_E_NS1_11comp_targetILNS1_3genE4ELNS1_11target_archE910ELNS1_3gpuE8ELNS1_3repE0EEENS1_30default_config_static_selectorELNS0_4arch9wavefront6targetE1EEEvT1_
		.amdhsa_group_segment_fixed_size 5120
		.amdhsa_private_segment_fixed_size 0
		.amdhsa_kernarg_size 96
		.amdhsa_user_sgpr_count 6
		.amdhsa_user_sgpr_private_segment_buffer 1
		.amdhsa_user_sgpr_dispatch_ptr 0
		.amdhsa_user_sgpr_queue_ptr 0
		.amdhsa_user_sgpr_kernarg_segment_ptr 1
		.amdhsa_user_sgpr_dispatch_id 0
		.amdhsa_user_sgpr_flat_scratch_init 0
		.amdhsa_user_sgpr_kernarg_preload_length 0
		.amdhsa_user_sgpr_kernarg_preload_offset 0
		.amdhsa_user_sgpr_private_segment_size 0
		.amdhsa_uses_dynamic_stack 0
		.amdhsa_system_sgpr_private_segment_wavefront_offset 0
		.amdhsa_system_sgpr_workgroup_id_x 1
		.amdhsa_system_sgpr_workgroup_id_y 0
		.amdhsa_system_sgpr_workgroup_id_z 0
		.amdhsa_system_sgpr_workgroup_info 0
		.amdhsa_system_vgpr_workitem_id 0
		.amdhsa_next_free_vgpr 41
		.amdhsa_next_free_sgpr 40
		.amdhsa_accum_offset 44
		.amdhsa_reserve_vcc 1
		.amdhsa_reserve_flat_scratch 0
		.amdhsa_float_round_mode_32 0
		.amdhsa_float_round_mode_16_64 0
		.amdhsa_float_denorm_mode_32 3
		.amdhsa_float_denorm_mode_16_64 3
		.amdhsa_dx10_clamp 1
		.amdhsa_ieee_mode 1
		.amdhsa_fp16_overflow 0
		.amdhsa_tg_split 0
		.amdhsa_exception_fp_ieee_invalid_op 0
		.amdhsa_exception_fp_denorm_src 0
		.amdhsa_exception_fp_ieee_div_zero 0
		.amdhsa_exception_fp_ieee_overflow 0
		.amdhsa_exception_fp_ieee_underflow 0
		.amdhsa_exception_fp_ieee_inexact 0
		.amdhsa_exception_int_div_zero 0
	.end_amdhsa_kernel
	.section	.text._ZN7rocprim17ROCPRIM_400000_NS6detail17trampoline_kernelINS0_14default_configENS1_20scan_config_selectorIiEEZZNS1_9scan_implILNS1_25lookback_scan_determinismE0ELb1ELb1ES3_N6thrust23THRUST_200600_302600_NS6detail15normal_iteratorINS9_10device_ptrIiEEEESE_iNS9_4plusIiEEiEEDaPvRmT3_T4_T5_mT6_P12ihipStream_tbENKUlT_T0_E_clISt17integral_constantIbLb1EESU_EEDaSP_SQ_EUlSP_E_NS1_11comp_targetILNS1_3genE4ELNS1_11target_archE910ELNS1_3gpuE8ELNS1_3repE0EEENS1_30default_config_static_selectorELNS0_4arch9wavefront6targetE1EEEvT1_,"axG",@progbits,_ZN7rocprim17ROCPRIM_400000_NS6detail17trampoline_kernelINS0_14default_configENS1_20scan_config_selectorIiEEZZNS1_9scan_implILNS1_25lookback_scan_determinismE0ELb1ELb1ES3_N6thrust23THRUST_200600_302600_NS6detail15normal_iteratorINS9_10device_ptrIiEEEESE_iNS9_4plusIiEEiEEDaPvRmT3_T4_T5_mT6_P12ihipStream_tbENKUlT_T0_E_clISt17integral_constantIbLb1EESU_EEDaSP_SQ_EUlSP_E_NS1_11comp_targetILNS1_3genE4ELNS1_11target_archE910ELNS1_3gpuE8ELNS1_3repE0EEENS1_30default_config_static_selectorELNS0_4arch9wavefront6targetE1EEEvT1_,comdat
.Lfunc_end680:
	.size	_ZN7rocprim17ROCPRIM_400000_NS6detail17trampoline_kernelINS0_14default_configENS1_20scan_config_selectorIiEEZZNS1_9scan_implILNS1_25lookback_scan_determinismE0ELb1ELb1ES3_N6thrust23THRUST_200600_302600_NS6detail15normal_iteratorINS9_10device_ptrIiEEEESE_iNS9_4plusIiEEiEEDaPvRmT3_T4_T5_mT6_P12ihipStream_tbENKUlT_T0_E_clISt17integral_constantIbLb1EESU_EEDaSP_SQ_EUlSP_E_NS1_11comp_targetILNS1_3genE4ELNS1_11target_archE910ELNS1_3gpuE8ELNS1_3repE0EEENS1_30default_config_static_selectorELNS0_4arch9wavefront6targetE1EEEvT1_, .Lfunc_end680-_ZN7rocprim17ROCPRIM_400000_NS6detail17trampoline_kernelINS0_14default_configENS1_20scan_config_selectorIiEEZZNS1_9scan_implILNS1_25lookback_scan_determinismE0ELb1ELb1ES3_N6thrust23THRUST_200600_302600_NS6detail15normal_iteratorINS9_10device_ptrIiEEEESE_iNS9_4plusIiEEiEEDaPvRmT3_T4_T5_mT6_P12ihipStream_tbENKUlT_T0_E_clISt17integral_constantIbLb1EESU_EEDaSP_SQ_EUlSP_E_NS1_11comp_targetILNS1_3genE4ELNS1_11target_archE910ELNS1_3gpuE8ELNS1_3repE0EEENS1_30default_config_static_selectorELNS0_4arch9wavefront6targetE1EEEvT1_
                                        ; -- End function
	.section	.AMDGPU.csdata,"",@progbits
; Kernel info:
; codeLenInByte = 4576
; NumSgprs: 44
; NumVgprs: 41
; NumAgprs: 0
; TotalNumVgprs: 41
; ScratchSize: 0
; MemoryBound: 0
; FloatMode: 240
; IeeeMode: 1
; LDSByteSize: 5120 bytes/workgroup (compile time only)
; SGPRBlocks: 5
; VGPRBlocks: 5
; NumSGPRsForWavesPerEU: 44
; NumVGPRsForWavesPerEU: 41
; AccumOffset: 44
; Occupancy: 6
; WaveLimiterHint : 1
; COMPUTE_PGM_RSRC2:SCRATCH_EN: 0
; COMPUTE_PGM_RSRC2:USER_SGPR: 6
; COMPUTE_PGM_RSRC2:TRAP_HANDLER: 0
; COMPUTE_PGM_RSRC2:TGID_X_EN: 1
; COMPUTE_PGM_RSRC2:TGID_Y_EN: 0
; COMPUTE_PGM_RSRC2:TGID_Z_EN: 0
; COMPUTE_PGM_RSRC2:TIDIG_COMP_CNT: 0
; COMPUTE_PGM_RSRC3_GFX90A:ACCUM_OFFSET: 10
; COMPUTE_PGM_RSRC3_GFX90A:TG_SPLIT: 0
	.section	.text._ZN7rocprim17ROCPRIM_400000_NS6detail17trampoline_kernelINS0_14default_configENS1_20scan_config_selectorIiEEZZNS1_9scan_implILNS1_25lookback_scan_determinismE0ELb1ELb1ES3_N6thrust23THRUST_200600_302600_NS6detail15normal_iteratorINS9_10device_ptrIiEEEESE_iNS9_4plusIiEEiEEDaPvRmT3_T4_T5_mT6_P12ihipStream_tbENKUlT_T0_E_clISt17integral_constantIbLb1EESU_EEDaSP_SQ_EUlSP_E_NS1_11comp_targetILNS1_3genE3ELNS1_11target_archE908ELNS1_3gpuE7ELNS1_3repE0EEENS1_30default_config_static_selectorELNS0_4arch9wavefront6targetE1EEEvT1_,"axG",@progbits,_ZN7rocprim17ROCPRIM_400000_NS6detail17trampoline_kernelINS0_14default_configENS1_20scan_config_selectorIiEEZZNS1_9scan_implILNS1_25lookback_scan_determinismE0ELb1ELb1ES3_N6thrust23THRUST_200600_302600_NS6detail15normal_iteratorINS9_10device_ptrIiEEEESE_iNS9_4plusIiEEiEEDaPvRmT3_T4_T5_mT6_P12ihipStream_tbENKUlT_T0_E_clISt17integral_constantIbLb1EESU_EEDaSP_SQ_EUlSP_E_NS1_11comp_targetILNS1_3genE3ELNS1_11target_archE908ELNS1_3gpuE7ELNS1_3repE0EEENS1_30default_config_static_selectorELNS0_4arch9wavefront6targetE1EEEvT1_,comdat
	.protected	_ZN7rocprim17ROCPRIM_400000_NS6detail17trampoline_kernelINS0_14default_configENS1_20scan_config_selectorIiEEZZNS1_9scan_implILNS1_25lookback_scan_determinismE0ELb1ELb1ES3_N6thrust23THRUST_200600_302600_NS6detail15normal_iteratorINS9_10device_ptrIiEEEESE_iNS9_4plusIiEEiEEDaPvRmT3_T4_T5_mT6_P12ihipStream_tbENKUlT_T0_E_clISt17integral_constantIbLb1EESU_EEDaSP_SQ_EUlSP_E_NS1_11comp_targetILNS1_3genE3ELNS1_11target_archE908ELNS1_3gpuE7ELNS1_3repE0EEENS1_30default_config_static_selectorELNS0_4arch9wavefront6targetE1EEEvT1_ ; -- Begin function _ZN7rocprim17ROCPRIM_400000_NS6detail17trampoline_kernelINS0_14default_configENS1_20scan_config_selectorIiEEZZNS1_9scan_implILNS1_25lookback_scan_determinismE0ELb1ELb1ES3_N6thrust23THRUST_200600_302600_NS6detail15normal_iteratorINS9_10device_ptrIiEEEESE_iNS9_4plusIiEEiEEDaPvRmT3_T4_T5_mT6_P12ihipStream_tbENKUlT_T0_E_clISt17integral_constantIbLb1EESU_EEDaSP_SQ_EUlSP_E_NS1_11comp_targetILNS1_3genE3ELNS1_11target_archE908ELNS1_3gpuE7ELNS1_3repE0EEENS1_30default_config_static_selectorELNS0_4arch9wavefront6targetE1EEEvT1_
	.globl	_ZN7rocprim17ROCPRIM_400000_NS6detail17trampoline_kernelINS0_14default_configENS1_20scan_config_selectorIiEEZZNS1_9scan_implILNS1_25lookback_scan_determinismE0ELb1ELb1ES3_N6thrust23THRUST_200600_302600_NS6detail15normal_iteratorINS9_10device_ptrIiEEEESE_iNS9_4plusIiEEiEEDaPvRmT3_T4_T5_mT6_P12ihipStream_tbENKUlT_T0_E_clISt17integral_constantIbLb1EESU_EEDaSP_SQ_EUlSP_E_NS1_11comp_targetILNS1_3genE3ELNS1_11target_archE908ELNS1_3gpuE7ELNS1_3repE0EEENS1_30default_config_static_selectorELNS0_4arch9wavefront6targetE1EEEvT1_
	.p2align	8
	.type	_ZN7rocprim17ROCPRIM_400000_NS6detail17trampoline_kernelINS0_14default_configENS1_20scan_config_selectorIiEEZZNS1_9scan_implILNS1_25lookback_scan_determinismE0ELb1ELb1ES3_N6thrust23THRUST_200600_302600_NS6detail15normal_iteratorINS9_10device_ptrIiEEEESE_iNS9_4plusIiEEiEEDaPvRmT3_T4_T5_mT6_P12ihipStream_tbENKUlT_T0_E_clISt17integral_constantIbLb1EESU_EEDaSP_SQ_EUlSP_E_NS1_11comp_targetILNS1_3genE3ELNS1_11target_archE908ELNS1_3gpuE7ELNS1_3repE0EEENS1_30default_config_static_selectorELNS0_4arch9wavefront6targetE1EEEvT1_,@function
_ZN7rocprim17ROCPRIM_400000_NS6detail17trampoline_kernelINS0_14default_configENS1_20scan_config_selectorIiEEZZNS1_9scan_implILNS1_25lookback_scan_determinismE0ELb1ELb1ES3_N6thrust23THRUST_200600_302600_NS6detail15normal_iteratorINS9_10device_ptrIiEEEESE_iNS9_4plusIiEEiEEDaPvRmT3_T4_T5_mT6_P12ihipStream_tbENKUlT_T0_E_clISt17integral_constantIbLb1EESU_EEDaSP_SQ_EUlSP_E_NS1_11comp_targetILNS1_3genE3ELNS1_11target_archE908ELNS1_3gpuE7ELNS1_3repE0EEENS1_30default_config_static_selectorELNS0_4arch9wavefront6targetE1EEEvT1_: ; @_ZN7rocprim17ROCPRIM_400000_NS6detail17trampoline_kernelINS0_14default_configENS1_20scan_config_selectorIiEEZZNS1_9scan_implILNS1_25lookback_scan_determinismE0ELb1ELb1ES3_N6thrust23THRUST_200600_302600_NS6detail15normal_iteratorINS9_10device_ptrIiEEEESE_iNS9_4plusIiEEiEEDaPvRmT3_T4_T5_mT6_P12ihipStream_tbENKUlT_T0_E_clISt17integral_constantIbLb1EESU_EEDaSP_SQ_EUlSP_E_NS1_11comp_targetILNS1_3genE3ELNS1_11target_archE908ELNS1_3gpuE7ELNS1_3repE0EEENS1_30default_config_static_selectorELNS0_4arch9wavefront6targetE1EEEvT1_
; %bb.0:
	.section	.rodata,"a",@progbits
	.p2align	6, 0x0
	.amdhsa_kernel _ZN7rocprim17ROCPRIM_400000_NS6detail17trampoline_kernelINS0_14default_configENS1_20scan_config_selectorIiEEZZNS1_9scan_implILNS1_25lookback_scan_determinismE0ELb1ELb1ES3_N6thrust23THRUST_200600_302600_NS6detail15normal_iteratorINS9_10device_ptrIiEEEESE_iNS9_4plusIiEEiEEDaPvRmT3_T4_T5_mT6_P12ihipStream_tbENKUlT_T0_E_clISt17integral_constantIbLb1EESU_EEDaSP_SQ_EUlSP_E_NS1_11comp_targetILNS1_3genE3ELNS1_11target_archE908ELNS1_3gpuE7ELNS1_3repE0EEENS1_30default_config_static_selectorELNS0_4arch9wavefront6targetE1EEEvT1_
		.amdhsa_group_segment_fixed_size 0
		.amdhsa_private_segment_fixed_size 0
		.amdhsa_kernarg_size 96
		.amdhsa_user_sgpr_count 6
		.amdhsa_user_sgpr_private_segment_buffer 1
		.amdhsa_user_sgpr_dispatch_ptr 0
		.amdhsa_user_sgpr_queue_ptr 0
		.amdhsa_user_sgpr_kernarg_segment_ptr 1
		.amdhsa_user_sgpr_dispatch_id 0
		.amdhsa_user_sgpr_flat_scratch_init 0
		.amdhsa_user_sgpr_kernarg_preload_length 0
		.amdhsa_user_sgpr_kernarg_preload_offset 0
		.amdhsa_user_sgpr_private_segment_size 0
		.amdhsa_uses_dynamic_stack 0
		.amdhsa_system_sgpr_private_segment_wavefront_offset 0
		.amdhsa_system_sgpr_workgroup_id_x 1
		.amdhsa_system_sgpr_workgroup_id_y 0
		.amdhsa_system_sgpr_workgroup_id_z 0
		.amdhsa_system_sgpr_workgroup_info 0
		.amdhsa_system_vgpr_workitem_id 0
		.amdhsa_next_free_vgpr 1
		.amdhsa_next_free_sgpr 0
		.amdhsa_accum_offset 4
		.amdhsa_reserve_vcc 0
		.amdhsa_reserve_flat_scratch 0
		.amdhsa_float_round_mode_32 0
		.amdhsa_float_round_mode_16_64 0
		.amdhsa_float_denorm_mode_32 3
		.amdhsa_float_denorm_mode_16_64 3
		.amdhsa_dx10_clamp 1
		.amdhsa_ieee_mode 1
		.amdhsa_fp16_overflow 0
		.amdhsa_tg_split 0
		.amdhsa_exception_fp_ieee_invalid_op 0
		.amdhsa_exception_fp_denorm_src 0
		.amdhsa_exception_fp_ieee_div_zero 0
		.amdhsa_exception_fp_ieee_overflow 0
		.amdhsa_exception_fp_ieee_underflow 0
		.amdhsa_exception_fp_ieee_inexact 0
		.amdhsa_exception_int_div_zero 0
	.end_amdhsa_kernel
	.section	.text._ZN7rocprim17ROCPRIM_400000_NS6detail17trampoline_kernelINS0_14default_configENS1_20scan_config_selectorIiEEZZNS1_9scan_implILNS1_25lookback_scan_determinismE0ELb1ELb1ES3_N6thrust23THRUST_200600_302600_NS6detail15normal_iteratorINS9_10device_ptrIiEEEESE_iNS9_4plusIiEEiEEDaPvRmT3_T4_T5_mT6_P12ihipStream_tbENKUlT_T0_E_clISt17integral_constantIbLb1EESU_EEDaSP_SQ_EUlSP_E_NS1_11comp_targetILNS1_3genE3ELNS1_11target_archE908ELNS1_3gpuE7ELNS1_3repE0EEENS1_30default_config_static_selectorELNS0_4arch9wavefront6targetE1EEEvT1_,"axG",@progbits,_ZN7rocprim17ROCPRIM_400000_NS6detail17trampoline_kernelINS0_14default_configENS1_20scan_config_selectorIiEEZZNS1_9scan_implILNS1_25lookback_scan_determinismE0ELb1ELb1ES3_N6thrust23THRUST_200600_302600_NS6detail15normal_iteratorINS9_10device_ptrIiEEEESE_iNS9_4plusIiEEiEEDaPvRmT3_T4_T5_mT6_P12ihipStream_tbENKUlT_T0_E_clISt17integral_constantIbLb1EESU_EEDaSP_SQ_EUlSP_E_NS1_11comp_targetILNS1_3genE3ELNS1_11target_archE908ELNS1_3gpuE7ELNS1_3repE0EEENS1_30default_config_static_selectorELNS0_4arch9wavefront6targetE1EEEvT1_,comdat
.Lfunc_end681:
	.size	_ZN7rocprim17ROCPRIM_400000_NS6detail17trampoline_kernelINS0_14default_configENS1_20scan_config_selectorIiEEZZNS1_9scan_implILNS1_25lookback_scan_determinismE0ELb1ELb1ES3_N6thrust23THRUST_200600_302600_NS6detail15normal_iteratorINS9_10device_ptrIiEEEESE_iNS9_4plusIiEEiEEDaPvRmT3_T4_T5_mT6_P12ihipStream_tbENKUlT_T0_E_clISt17integral_constantIbLb1EESU_EEDaSP_SQ_EUlSP_E_NS1_11comp_targetILNS1_3genE3ELNS1_11target_archE908ELNS1_3gpuE7ELNS1_3repE0EEENS1_30default_config_static_selectorELNS0_4arch9wavefront6targetE1EEEvT1_, .Lfunc_end681-_ZN7rocprim17ROCPRIM_400000_NS6detail17trampoline_kernelINS0_14default_configENS1_20scan_config_selectorIiEEZZNS1_9scan_implILNS1_25lookback_scan_determinismE0ELb1ELb1ES3_N6thrust23THRUST_200600_302600_NS6detail15normal_iteratorINS9_10device_ptrIiEEEESE_iNS9_4plusIiEEiEEDaPvRmT3_T4_T5_mT6_P12ihipStream_tbENKUlT_T0_E_clISt17integral_constantIbLb1EESU_EEDaSP_SQ_EUlSP_E_NS1_11comp_targetILNS1_3genE3ELNS1_11target_archE908ELNS1_3gpuE7ELNS1_3repE0EEENS1_30default_config_static_selectorELNS0_4arch9wavefront6targetE1EEEvT1_
                                        ; -- End function
	.section	.AMDGPU.csdata,"",@progbits
; Kernel info:
; codeLenInByte = 0
; NumSgprs: 4
; NumVgprs: 0
; NumAgprs: 0
; TotalNumVgprs: 0
; ScratchSize: 0
; MemoryBound: 0
; FloatMode: 240
; IeeeMode: 1
; LDSByteSize: 0 bytes/workgroup (compile time only)
; SGPRBlocks: 0
; VGPRBlocks: 0
; NumSGPRsForWavesPerEU: 4
; NumVGPRsForWavesPerEU: 1
; AccumOffset: 4
; Occupancy: 8
; WaveLimiterHint : 0
; COMPUTE_PGM_RSRC2:SCRATCH_EN: 0
; COMPUTE_PGM_RSRC2:USER_SGPR: 6
; COMPUTE_PGM_RSRC2:TRAP_HANDLER: 0
; COMPUTE_PGM_RSRC2:TGID_X_EN: 1
; COMPUTE_PGM_RSRC2:TGID_Y_EN: 0
; COMPUTE_PGM_RSRC2:TGID_Z_EN: 0
; COMPUTE_PGM_RSRC2:TIDIG_COMP_CNT: 0
; COMPUTE_PGM_RSRC3_GFX90A:ACCUM_OFFSET: 0
; COMPUTE_PGM_RSRC3_GFX90A:TG_SPLIT: 0
	.section	.text._ZN7rocprim17ROCPRIM_400000_NS6detail17trampoline_kernelINS0_14default_configENS1_20scan_config_selectorIiEEZZNS1_9scan_implILNS1_25lookback_scan_determinismE0ELb1ELb1ES3_N6thrust23THRUST_200600_302600_NS6detail15normal_iteratorINS9_10device_ptrIiEEEESE_iNS9_4plusIiEEiEEDaPvRmT3_T4_T5_mT6_P12ihipStream_tbENKUlT_T0_E_clISt17integral_constantIbLb1EESU_EEDaSP_SQ_EUlSP_E_NS1_11comp_targetILNS1_3genE2ELNS1_11target_archE906ELNS1_3gpuE6ELNS1_3repE0EEENS1_30default_config_static_selectorELNS0_4arch9wavefront6targetE1EEEvT1_,"axG",@progbits,_ZN7rocprim17ROCPRIM_400000_NS6detail17trampoline_kernelINS0_14default_configENS1_20scan_config_selectorIiEEZZNS1_9scan_implILNS1_25lookback_scan_determinismE0ELb1ELb1ES3_N6thrust23THRUST_200600_302600_NS6detail15normal_iteratorINS9_10device_ptrIiEEEESE_iNS9_4plusIiEEiEEDaPvRmT3_T4_T5_mT6_P12ihipStream_tbENKUlT_T0_E_clISt17integral_constantIbLb1EESU_EEDaSP_SQ_EUlSP_E_NS1_11comp_targetILNS1_3genE2ELNS1_11target_archE906ELNS1_3gpuE6ELNS1_3repE0EEENS1_30default_config_static_selectorELNS0_4arch9wavefront6targetE1EEEvT1_,comdat
	.protected	_ZN7rocprim17ROCPRIM_400000_NS6detail17trampoline_kernelINS0_14default_configENS1_20scan_config_selectorIiEEZZNS1_9scan_implILNS1_25lookback_scan_determinismE0ELb1ELb1ES3_N6thrust23THRUST_200600_302600_NS6detail15normal_iteratorINS9_10device_ptrIiEEEESE_iNS9_4plusIiEEiEEDaPvRmT3_T4_T5_mT6_P12ihipStream_tbENKUlT_T0_E_clISt17integral_constantIbLb1EESU_EEDaSP_SQ_EUlSP_E_NS1_11comp_targetILNS1_3genE2ELNS1_11target_archE906ELNS1_3gpuE6ELNS1_3repE0EEENS1_30default_config_static_selectorELNS0_4arch9wavefront6targetE1EEEvT1_ ; -- Begin function _ZN7rocprim17ROCPRIM_400000_NS6detail17trampoline_kernelINS0_14default_configENS1_20scan_config_selectorIiEEZZNS1_9scan_implILNS1_25lookback_scan_determinismE0ELb1ELb1ES3_N6thrust23THRUST_200600_302600_NS6detail15normal_iteratorINS9_10device_ptrIiEEEESE_iNS9_4plusIiEEiEEDaPvRmT3_T4_T5_mT6_P12ihipStream_tbENKUlT_T0_E_clISt17integral_constantIbLb1EESU_EEDaSP_SQ_EUlSP_E_NS1_11comp_targetILNS1_3genE2ELNS1_11target_archE906ELNS1_3gpuE6ELNS1_3repE0EEENS1_30default_config_static_selectorELNS0_4arch9wavefront6targetE1EEEvT1_
	.globl	_ZN7rocprim17ROCPRIM_400000_NS6detail17trampoline_kernelINS0_14default_configENS1_20scan_config_selectorIiEEZZNS1_9scan_implILNS1_25lookback_scan_determinismE0ELb1ELb1ES3_N6thrust23THRUST_200600_302600_NS6detail15normal_iteratorINS9_10device_ptrIiEEEESE_iNS9_4plusIiEEiEEDaPvRmT3_T4_T5_mT6_P12ihipStream_tbENKUlT_T0_E_clISt17integral_constantIbLb1EESU_EEDaSP_SQ_EUlSP_E_NS1_11comp_targetILNS1_3genE2ELNS1_11target_archE906ELNS1_3gpuE6ELNS1_3repE0EEENS1_30default_config_static_selectorELNS0_4arch9wavefront6targetE1EEEvT1_
	.p2align	8
	.type	_ZN7rocprim17ROCPRIM_400000_NS6detail17trampoline_kernelINS0_14default_configENS1_20scan_config_selectorIiEEZZNS1_9scan_implILNS1_25lookback_scan_determinismE0ELb1ELb1ES3_N6thrust23THRUST_200600_302600_NS6detail15normal_iteratorINS9_10device_ptrIiEEEESE_iNS9_4plusIiEEiEEDaPvRmT3_T4_T5_mT6_P12ihipStream_tbENKUlT_T0_E_clISt17integral_constantIbLb1EESU_EEDaSP_SQ_EUlSP_E_NS1_11comp_targetILNS1_3genE2ELNS1_11target_archE906ELNS1_3gpuE6ELNS1_3repE0EEENS1_30default_config_static_selectorELNS0_4arch9wavefront6targetE1EEEvT1_,@function
_ZN7rocprim17ROCPRIM_400000_NS6detail17trampoline_kernelINS0_14default_configENS1_20scan_config_selectorIiEEZZNS1_9scan_implILNS1_25lookback_scan_determinismE0ELb1ELb1ES3_N6thrust23THRUST_200600_302600_NS6detail15normal_iteratorINS9_10device_ptrIiEEEESE_iNS9_4plusIiEEiEEDaPvRmT3_T4_T5_mT6_P12ihipStream_tbENKUlT_T0_E_clISt17integral_constantIbLb1EESU_EEDaSP_SQ_EUlSP_E_NS1_11comp_targetILNS1_3genE2ELNS1_11target_archE906ELNS1_3gpuE6ELNS1_3repE0EEENS1_30default_config_static_selectorELNS0_4arch9wavefront6targetE1EEEvT1_: ; @_ZN7rocprim17ROCPRIM_400000_NS6detail17trampoline_kernelINS0_14default_configENS1_20scan_config_selectorIiEEZZNS1_9scan_implILNS1_25lookback_scan_determinismE0ELb1ELb1ES3_N6thrust23THRUST_200600_302600_NS6detail15normal_iteratorINS9_10device_ptrIiEEEESE_iNS9_4plusIiEEiEEDaPvRmT3_T4_T5_mT6_P12ihipStream_tbENKUlT_T0_E_clISt17integral_constantIbLb1EESU_EEDaSP_SQ_EUlSP_E_NS1_11comp_targetILNS1_3genE2ELNS1_11target_archE906ELNS1_3gpuE6ELNS1_3repE0EEENS1_30default_config_static_selectorELNS0_4arch9wavefront6targetE1EEEvT1_
; %bb.0:
	.section	.rodata,"a",@progbits
	.p2align	6, 0x0
	.amdhsa_kernel _ZN7rocprim17ROCPRIM_400000_NS6detail17trampoline_kernelINS0_14default_configENS1_20scan_config_selectorIiEEZZNS1_9scan_implILNS1_25lookback_scan_determinismE0ELb1ELb1ES3_N6thrust23THRUST_200600_302600_NS6detail15normal_iteratorINS9_10device_ptrIiEEEESE_iNS9_4plusIiEEiEEDaPvRmT3_T4_T5_mT6_P12ihipStream_tbENKUlT_T0_E_clISt17integral_constantIbLb1EESU_EEDaSP_SQ_EUlSP_E_NS1_11comp_targetILNS1_3genE2ELNS1_11target_archE906ELNS1_3gpuE6ELNS1_3repE0EEENS1_30default_config_static_selectorELNS0_4arch9wavefront6targetE1EEEvT1_
		.amdhsa_group_segment_fixed_size 0
		.amdhsa_private_segment_fixed_size 0
		.amdhsa_kernarg_size 96
		.amdhsa_user_sgpr_count 6
		.amdhsa_user_sgpr_private_segment_buffer 1
		.amdhsa_user_sgpr_dispatch_ptr 0
		.amdhsa_user_sgpr_queue_ptr 0
		.amdhsa_user_sgpr_kernarg_segment_ptr 1
		.amdhsa_user_sgpr_dispatch_id 0
		.amdhsa_user_sgpr_flat_scratch_init 0
		.amdhsa_user_sgpr_kernarg_preload_length 0
		.amdhsa_user_sgpr_kernarg_preload_offset 0
		.amdhsa_user_sgpr_private_segment_size 0
		.amdhsa_uses_dynamic_stack 0
		.amdhsa_system_sgpr_private_segment_wavefront_offset 0
		.amdhsa_system_sgpr_workgroup_id_x 1
		.amdhsa_system_sgpr_workgroup_id_y 0
		.amdhsa_system_sgpr_workgroup_id_z 0
		.amdhsa_system_sgpr_workgroup_info 0
		.amdhsa_system_vgpr_workitem_id 0
		.amdhsa_next_free_vgpr 1
		.amdhsa_next_free_sgpr 0
		.amdhsa_accum_offset 4
		.amdhsa_reserve_vcc 0
		.amdhsa_reserve_flat_scratch 0
		.amdhsa_float_round_mode_32 0
		.amdhsa_float_round_mode_16_64 0
		.amdhsa_float_denorm_mode_32 3
		.amdhsa_float_denorm_mode_16_64 3
		.amdhsa_dx10_clamp 1
		.amdhsa_ieee_mode 1
		.amdhsa_fp16_overflow 0
		.amdhsa_tg_split 0
		.amdhsa_exception_fp_ieee_invalid_op 0
		.amdhsa_exception_fp_denorm_src 0
		.amdhsa_exception_fp_ieee_div_zero 0
		.amdhsa_exception_fp_ieee_overflow 0
		.amdhsa_exception_fp_ieee_underflow 0
		.amdhsa_exception_fp_ieee_inexact 0
		.amdhsa_exception_int_div_zero 0
	.end_amdhsa_kernel
	.section	.text._ZN7rocprim17ROCPRIM_400000_NS6detail17trampoline_kernelINS0_14default_configENS1_20scan_config_selectorIiEEZZNS1_9scan_implILNS1_25lookback_scan_determinismE0ELb1ELb1ES3_N6thrust23THRUST_200600_302600_NS6detail15normal_iteratorINS9_10device_ptrIiEEEESE_iNS9_4plusIiEEiEEDaPvRmT3_T4_T5_mT6_P12ihipStream_tbENKUlT_T0_E_clISt17integral_constantIbLb1EESU_EEDaSP_SQ_EUlSP_E_NS1_11comp_targetILNS1_3genE2ELNS1_11target_archE906ELNS1_3gpuE6ELNS1_3repE0EEENS1_30default_config_static_selectorELNS0_4arch9wavefront6targetE1EEEvT1_,"axG",@progbits,_ZN7rocprim17ROCPRIM_400000_NS6detail17trampoline_kernelINS0_14default_configENS1_20scan_config_selectorIiEEZZNS1_9scan_implILNS1_25lookback_scan_determinismE0ELb1ELb1ES3_N6thrust23THRUST_200600_302600_NS6detail15normal_iteratorINS9_10device_ptrIiEEEESE_iNS9_4plusIiEEiEEDaPvRmT3_T4_T5_mT6_P12ihipStream_tbENKUlT_T0_E_clISt17integral_constantIbLb1EESU_EEDaSP_SQ_EUlSP_E_NS1_11comp_targetILNS1_3genE2ELNS1_11target_archE906ELNS1_3gpuE6ELNS1_3repE0EEENS1_30default_config_static_selectorELNS0_4arch9wavefront6targetE1EEEvT1_,comdat
.Lfunc_end682:
	.size	_ZN7rocprim17ROCPRIM_400000_NS6detail17trampoline_kernelINS0_14default_configENS1_20scan_config_selectorIiEEZZNS1_9scan_implILNS1_25lookback_scan_determinismE0ELb1ELb1ES3_N6thrust23THRUST_200600_302600_NS6detail15normal_iteratorINS9_10device_ptrIiEEEESE_iNS9_4plusIiEEiEEDaPvRmT3_T4_T5_mT6_P12ihipStream_tbENKUlT_T0_E_clISt17integral_constantIbLb1EESU_EEDaSP_SQ_EUlSP_E_NS1_11comp_targetILNS1_3genE2ELNS1_11target_archE906ELNS1_3gpuE6ELNS1_3repE0EEENS1_30default_config_static_selectorELNS0_4arch9wavefront6targetE1EEEvT1_, .Lfunc_end682-_ZN7rocprim17ROCPRIM_400000_NS6detail17trampoline_kernelINS0_14default_configENS1_20scan_config_selectorIiEEZZNS1_9scan_implILNS1_25lookback_scan_determinismE0ELb1ELb1ES3_N6thrust23THRUST_200600_302600_NS6detail15normal_iteratorINS9_10device_ptrIiEEEESE_iNS9_4plusIiEEiEEDaPvRmT3_T4_T5_mT6_P12ihipStream_tbENKUlT_T0_E_clISt17integral_constantIbLb1EESU_EEDaSP_SQ_EUlSP_E_NS1_11comp_targetILNS1_3genE2ELNS1_11target_archE906ELNS1_3gpuE6ELNS1_3repE0EEENS1_30default_config_static_selectorELNS0_4arch9wavefront6targetE1EEEvT1_
                                        ; -- End function
	.section	.AMDGPU.csdata,"",@progbits
; Kernel info:
; codeLenInByte = 0
; NumSgprs: 4
; NumVgprs: 0
; NumAgprs: 0
; TotalNumVgprs: 0
; ScratchSize: 0
; MemoryBound: 0
; FloatMode: 240
; IeeeMode: 1
; LDSByteSize: 0 bytes/workgroup (compile time only)
; SGPRBlocks: 0
; VGPRBlocks: 0
; NumSGPRsForWavesPerEU: 4
; NumVGPRsForWavesPerEU: 1
; AccumOffset: 4
; Occupancy: 8
; WaveLimiterHint : 0
; COMPUTE_PGM_RSRC2:SCRATCH_EN: 0
; COMPUTE_PGM_RSRC2:USER_SGPR: 6
; COMPUTE_PGM_RSRC2:TRAP_HANDLER: 0
; COMPUTE_PGM_RSRC2:TGID_X_EN: 1
; COMPUTE_PGM_RSRC2:TGID_Y_EN: 0
; COMPUTE_PGM_RSRC2:TGID_Z_EN: 0
; COMPUTE_PGM_RSRC2:TIDIG_COMP_CNT: 0
; COMPUTE_PGM_RSRC3_GFX90A:ACCUM_OFFSET: 0
; COMPUTE_PGM_RSRC3_GFX90A:TG_SPLIT: 0
	.section	.text._ZN7rocprim17ROCPRIM_400000_NS6detail17trampoline_kernelINS0_14default_configENS1_20scan_config_selectorIiEEZZNS1_9scan_implILNS1_25lookback_scan_determinismE0ELb1ELb1ES3_N6thrust23THRUST_200600_302600_NS6detail15normal_iteratorINS9_10device_ptrIiEEEESE_iNS9_4plusIiEEiEEDaPvRmT3_T4_T5_mT6_P12ihipStream_tbENKUlT_T0_E_clISt17integral_constantIbLb1EESU_EEDaSP_SQ_EUlSP_E_NS1_11comp_targetILNS1_3genE10ELNS1_11target_archE1201ELNS1_3gpuE5ELNS1_3repE0EEENS1_30default_config_static_selectorELNS0_4arch9wavefront6targetE1EEEvT1_,"axG",@progbits,_ZN7rocprim17ROCPRIM_400000_NS6detail17trampoline_kernelINS0_14default_configENS1_20scan_config_selectorIiEEZZNS1_9scan_implILNS1_25lookback_scan_determinismE0ELb1ELb1ES3_N6thrust23THRUST_200600_302600_NS6detail15normal_iteratorINS9_10device_ptrIiEEEESE_iNS9_4plusIiEEiEEDaPvRmT3_T4_T5_mT6_P12ihipStream_tbENKUlT_T0_E_clISt17integral_constantIbLb1EESU_EEDaSP_SQ_EUlSP_E_NS1_11comp_targetILNS1_3genE10ELNS1_11target_archE1201ELNS1_3gpuE5ELNS1_3repE0EEENS1_30default_config_static_selectorELNS0_4arch9wavefront6targetE1EEEvT1_,comdat
	.protected	_ZN7rocprim17ROCPRIM_400000_NS6detail17trampoline_kernelINS0_14default_configENS1_20scan_config_selectorIiEEZZNS1_9scan_implILNS1_25lookback_scan_determinismE0ELb1ELb1ES3_N6thrust23THRUST_200600_302600_NS6detail15normal_iteratorINS9_10device_ptrIiEEEESE_iNS9_4plusIiEEiEEDaPvRmT3_T4_T5_mT6_P12ihipStream_tbENKUlT_T0_E_clISt17integral_constantIbLb1EESU_EEDaSP_SQ_EUlSP_E_NS1_11comp_targetILNS1_3genE10ELNS1_11target_archE1201ELNS1_3gpuE5ELNS1_3repE0EEENS1_30default_config_static_selectorELNS0_4arch9wavefront6targetE1EEEvT1_ ; -- Begin function _ZN7rocprim17ROCPRIM_400000_NS6detail17trampoline_kernelINS0_14default_configENS1_20scan_config_selectorIiEEZZNS1_9scan_implILNS1_25lookback_scan_determinismE0ELb1ELb1ES3_N6thrust23THRUST_200600_302600_NS6detail15normal_iteratorINS9_10device_ptrIiEEEESE_iNS9_4plusIiEEiEEDaPvRmT3_T4_T5_mT6_P12ihipStream_tbENKUlT_T0_E_clISt17integral_constantIbLb1EESU_EEDaSP_SQ_EUlSP_E_NS1_11comp_targetILNS1_3genE10ELNS1_11target_archE1201ELNS1_3gpuE5ELNS1_3repE0EEENS1_30default_config_static_selectorELNS0_4arch9wavefront6targetE1EEEvT1_
	.globl	_ZN7rocprim17ROCPRIM_400000_NS6detail17trampoline_kernelINS0_14default_configENS1_20scan_config_selectorIiEEZZNS1_9scan_implILNS1_25lookback_scan_determinismE0ELb1ELb1ES3_N6thrust23THRUST_200600_302600_NS6detail15normal_iteratorINS9_10device_ptrIiEEEESE_iNS9_4plusIiEEiEEDaPvRmT3_T4_T5_mT6_P12ihipStream_tbENKUlT_T0_E_clISt17integral_constantIbLb1EESU_EEDaSP_SQ_EUlSP_E_NS1_11comp_targetILNS1_3genE10ELNS1_11target_archE1201ELNS1_3gpuE5ELNS1_3repE0EEENS1_30default_config_static_selectorELNS0_4arch9wavefront6targetE1EEEvT1_
	.p2align	8
	.type	_ZN7rocprim17ROCPRIM_400000_NS6detail17trampoline_kernelINS0_14default_configENS1_20scan_config_selectorIiEEZZNS1_9scan_implILNS1_25lookback_scan_determinismE0ELb1ELb1ES3_N6thrust23THRUST_200600_302600_NS6detail15normal_iteratorINS9_10device_ptrIiEEEESE_iNS9_4plusIiEEiEEDaPvRmT3_T4_T5_mT6_P12ihipStream_tbENKUlT_T0_E_clISt17integral_constantIbLb1EESU_EEDaSP_SQ_EUlSP_E_NS1_11comp_targetILNS1_3genE10ELNS1_11target_archE1201ELNS1_3gpuE5ELNS1_3repE0EEENS1_30default_config_static_selectorELNS0_4arch9wavefront6targetE1EEEvT1_,@function
_ZN7rocprim17ROCPRIM_400000_NS6detail17trampoline_kernelINS0_14default_configENS1_20scan_config_selectorIiEEZZNS1_9scan_implILNS1_25lookback_scan_determinismE0ELb1ELb1ES3_N6thrust23THRUST_200600_302600_NS6detail15normal_iteratorINS9_10device_ptrIiEEEESE_iNS9_4plusIiEEiEEDaPvRmT3_T4_T5_mT6_P12ihipStream_tbENKUlT_T0_E_clISt17integral_constantIbLb1EESU_EEDaSP_SQ_EUlSP_E_NS1_11comp_targetILNS1_3genE10ELNS1_11target_archE1201ELNS1_3gpuE5ELNS1_3repE0EEENS1_30default_config_static_selectorELNS0_4arch9wavefront6targetE1EEEvT1_: ; @_ZN7rocprim17ROCPRIM_400000_NS6detail17trampoline_kernelINS0_14default_configENS1_20scan_config_selectorIiEEZZNS1_9scan_implILNS1_25lookback_scan_determinismE0ELb1ELb1ES3_N6thrust23THRUST_200600_302600_NS6detail15normal_iteratorINS9_10device_ptrIiEEEESE_iNS9_4plusIiEEiEEDaPvRmT3_T4_T5_mT6_P12ihipStream_tbENKUlT_T0_E_clISt17integral_constantIbLb1EESU_EEDaSP_SQ_EUlSP_E_NS1_11comp_targetILNS1_3genE10ELNS1_11target_archE1201ELNS1_3gpuE5ELNS1_3repE0EEENS1_30default_config_static_selectorELNS0_4arch9wavefront6targetE1EEEvT1_
; %bb.0:
	.section	.rodata,"a",@progbits
	.p2align	6, 0x0
	.amdhsa_kernel _ZN7rocprim17ROCPRIM_400000_NS6detail17trampoline_kernelINS0_14default_configENS1_20scan_config_selectorIiEEZZNS1_9scan_implILNS1_25lookback_scan_determinismE0ELb1ELb1ES3_N6thrust23THRUST_200600_302600_NS6detail15normal_iteratorINS9_10device_ptrIiEEEESE_iNS9_4plusIiEEiEEDaPvRmT3_T4_T5_mT6_P12ihipStream_tbENKUlT_T0_E_clISt17integral_constantIbLb1EESU_EEDaSP_SQ_EUlSP_E_NS1_11comp_targetILNS1_3genE10ELNS1_11target_archE1201ELNS1_3gpuE5ELNS1_3repE0EEENS1_30default_config_static_selectorELNS0_4arch9wavefront6targetE1EEEvT1_
		.amdhsa_group_segment_fixed_size 0
		.amdhsa_private_segment_fixed_size 0
		.amdhsa_kernarg_size 96
		.amdhsa_user_sgpr_count 6
		.amdhsa_user_sgpr_private_segment_buffer 1
		.amdhsa_user_sgpr_dispatch_ptr 0
		.amdhsa_user_sgpr_queue_ptr 0
		.amdhsa_user_sgpr_kernarg_segment_ptr 1
		.amdhsa_user_sgpr_dispatch_id 0
		.amdhsa_user_sgpr_flat_scratch_init 0
		.amdhsa_user_sgpr_kernarg_preload_length 0
		.amdhsa_user_sgpr_kernarg_preload_offset 0
		.amdhsa_user_sgpr_private_segment_size 0
		.amdhsa_uses_dynamic_stack 0
		.amdhsa_system_sgpr_private_segment_wavefront_offset 0
		.amdhsa_system_sgpr_workgroup_id_x 1
		.amdhsa_system_sgpr_workgroup_id_y 0
		.amdhsa_system_sgpr_workgroup_id_z 0
		.amdhsa_system_sgpr_workgroup_info 0
		.amdhsa_system_vgpr_workitem_id 0
		.amdhsa_next_free_vgpr 1
		.amdhsa_next_free_sgpr 0
		.amdhsa_accum_offset 4
		.amdhsa_reserve_vcc 0
		.amdhsa_reserve_flat_scratch 0
		.amdhsa_float_round_mode_32 0
		.amdhsa_float_round_mode_16_64 0
		.amdhsa_float_denorm_mode_32 3
		.amdhsa_float_denorm_mode_16_64 3
		.amdhsa_dx10_clamp 1
		.amdhsa_ieee_mode 1
		.amdhsa_fp16_overflow 0
		.amdhsa_tg_split 0
		.amdhsa_exception_fp_ieee_invalid_op 0
		.amdhsa_exception_fp_denorm_src 0
		.amdhsa_exception_fp_ieee_div_zero 0
		.amdhsa_exception_fp_ieee_overflow 0
		.amdhsa_exception_fp_ieee_underflow 0
		.amdhsa_exception_fp_ieee_inexact 0
		.amdhsa_exception_int_div_zero 0
	.end_amdhsa_kernel
	.section	.text._ZN7rocprim17ROCPRIM_400000_NS6detail17trampoline_kernelINS0_14default_configENS1_20scan_config_selectorIiEEZZNS1_9scan_implILNS1_25lookback_scan_determinismE0ELb1ELb1ES3_N6thrust23THRUST_200600_302600_NS6detail15normal_iteratorINS9_10device_ptrIiEEEESE_iNS9_4plusIiEEiEEDaPvRmT3_T4_T5_mT6_P12ihipStream_tbENKUlT_T0_E_clISt17integral_constantIbLb1EESU_EEDaSP_SQ_EUlSP_E_NS1_11comp_targetILNS1_3genE10ELNS1_11target_archE1201ELNS1_3gpuE5ELNS1_3repE0EEENS1_30default_config_static_selectorELNS0_4arch9wavefront6targetE1EEEvT1_,"axG",@progbits,_ZN7rocprim17ROCPRIM_400000_NS6detail17trampoline_kernelINS0_14default_configENS1_20scan_config_selectorIiEEZZNS1_9scan_implILNS1_25lookback_scan_determinismE0ELb1ELb1ES3_N6thrust23THRUST_200600_302600_NS6detail15normal_iteratorINS9_10device_ptrIiEEEESE_iNS9_4plusIiEEiEEDaPvRmT3_T4_T5_mT6_P12ihipStream_tbENKUlT_T0_E_clISt17integral_constantIbLb1EESU_EEDaSP_SQ_EUlSP_E_NS1_11comp_targetILNS1_3genE10ELNS1_11target_archE1201ELNS1_3gpuE5ELNS1_3repE0EEENS1_30default_config_static_selectorELNS0_4arch9wavefront6targetE1EEEvT1_,comdat
.Lfunc_end683:
	.size	_ZN7rocprim17ROCPRIM_400000_NS6detail17trampoline_kernelINS0_14default_configENS1_20scan_config_selectorIiEEZZNS1_9scan_implILNS1_25lookback_scan_determinismE0ELb1ELb1ES3_N6thrust23THRUST_200600_302600_NS6detail15normal_iteratorINS9_10device_ptrIiEEEESE_iNS9_4plusIiEEiEEDaPvRmT3_T4_T5_mT6_P12ihipStream_tbENKUlT_T0_E_clISt17integral_constantIbLb1EESU_EEDaSP_SQ_EUlSP_E_NS1_11comp_targetILNS1_3genE10ELNS1_11target_archE1201ELNS1_3gpuE5ELNS1_3repE0EEENS1_30default_config_static_selectorELNS0_4arch9wavefront6targetE1EEEvT1_, .Lfunc_end683-_ZN7rocprim17ROCPRIM_400000_NS6detail17trampoline_kernelINS0_14default_configENS1_20scan_config_selectorIiEEZZNS1_9scan_implILNS1_25lookback_scan_determinismE0ELb1ELb1ES3_N6thrust23THRUST_200600_302600_NS6detail15normal_iteratorINS9_10device_ptrIiEEEESE_iNS9_4plusIiEEiEEDaPvRmT3_T4_T5_mT6_P12ihipStream_tbENKUlT_T0_E_clISt17integral_constantIbLb1EESU_EEDaSP_SQ_EUlSP_E_NS1_11comp_targetILNS1_3genE10ELNS1_11target_archE1201ELNS1_3gpuE5ELNS1_3repE0EEENS1_30default_config_static_selectorELNS0_4arch9wavefront6targetE1EEEvT1_
                                        ; -- End function
	.section	.AMDGPU.csdata,"",@progbits
; Kernel info:
; codeLenInByte = 0
; NumSgprs: 4
; NumVgprs: 0
; NumAgprs: 0
; TotalNumVgprs: 0
; ScratchSize: 0
; MemoryBound: 0
; FloatMode: 240
; IeeeMode: 1
; LDSByteSize: 0 bytes/workgroup (compile time only)
; SGPRBlocks: 0
; VGPRBlocks: 0
; NumSGPRsForWavesPerEU: 4
; NumVGPRsForWavesPerEU: 1
; AccumOffset: 4
; Occupancy: 8
; WaveLimiterHint : 0
; COMPUTE_PGM_RSRC2:SCRATCH_EN: 0
; COMPUTE_PGM_RSRC2:USER_SGPR: 6
; COMPUTE_PGM_RSRC2:TRAP_HANDLER: 0
; COMPUTE_PGM_RSRC2:TGID_X_EN: 1
; COMPUTE_PGM_RSRC2:TGID_Y_EN: 0
; COMPUTE_PGM_RSRC2:TGID_Z_EN: 0
; COMPUTE_PGM_RSRC2:TIDIG_COMP_CNT: 0
; COMPUTE_PGM_RSRC3_GFX90A:ACCUM_OFFSET: 0
; COMPUTE_PGM_RSRC3_GFX90A:TG_SPLIT: 0
	.section	.text._ZN7rocprim17ROCPRIM_400000_NS6detail17trampoline_kernelINS0_14default_configENS1_20scan_config_selectorIiEEZZNS1_9scan_implILNS1_25lookback_scan_determinismE0ELb1ELb1ES3_N6thrust23THRUST_200600_302600_NS6detail15normal_iteratorINS9_10device_ptrIiEEEESE_iNS9_4plusIiEEiEEDaPvRmT3_T4_T5_mT6_P12ihipStream_tbENKUlT_T0_E_clISt17integral_constantIbLb1EESU_EEDaSP_SQ_EUlSP_E_NS1_11comp_targetILNS1_3genE10ELNS1_11target_archE1200ELNS1_3gpuE4ELNS1_3repE0EEENS1_30default_config_static_selectorELNS0_4arch9wavefront6targetE1EEEvT1_,"axG",@progbits,_ZN7rocprim17ROCPRIM_400000_NS6detail17trampoline_kernelINS0_14default_configENS1_20scan_config_selectorIiEEZZNS1_9scan_implILNS1_25lookback_scan_determinismE0ELb1ELb1ES3_N6thrust23THRUST_200600_302600_NS6detail15normal_iteratorINS9_10device_ptrIiEEEESE_iNS9_4plusIiEEiEEDaPvRmT3_T4_T5_mT6_P12ihipStream_tbENKUlT_T0_E_clISt17integral_constantIbLb1EESU_EEDaSP_SQ_EUlSP_E_NS1_11comp_targetILNS1_3genE10ELNS1_11target_archE1200ELNS1_3gpuE4ELNS1_3repE0EEENS1_30default_config_static_selectorELNS0_4arch9wavefront6targetE1EEEvT1_,comdat
	.protected	_ZN7rocprim17ROCPRIM_400000_NS6detail17trampoline_kernelINS0_14default_configENS1_20scan_config_selectorIiEEZZNS1_9scan_implILNS1_25lookback_scan_determinismE0ELb1ELb1ES3_N6thrust23THRUST_200600_302600_NS6detail15normal_iteratorINS9_10device_ptrIiEEEESE_iNS9_4plusIiEEiEEDaPvRmT3_T4_T5_mT6_P12ihipStream_tbENKUlT_T0_E_clISt17integral_constantIbLb1EESU_EEDaSP_SQ_EUlSP_E_NS1_11comp_targetILNS1_3genE10ELNS1_11target_archE1200ELNS1_3gpuE4ELNS1_3repE0EEENS1_30default_config_static_selectorELNS0_4arch9wavefront6targetE1EEEvT1_ ; -- Begin function _ZN7rocprim17ROCPRIM_400000_NS6detail17trampoline_kernelINS0_14default_configENS1_20scan_config_selectorIiEEZZNS1_9scan_implILNS1_25lookback_scan_determinismE0ELb1ELb1ES3_N6thrust23THRUST_200600_302600_NS6detail15normal_iteratorINS9_10device_ptrIiEEEESE_iNS9_4plusIiEEiEEDaPvRmT3_T4_T5_mT6_P12ihipStream_tbENKUlT_T0_E_clISt17integral_constantIbLb1EESU_EEDaSP_SQ_EUlSP_E_NS1_11comp_targetILNS1_3genE10ELNS1_11target_archE1200ELNS1_3gpuE4ELNS1_3repE0EEENS1_30default_config_static_selectorELNS0_4arch9wavefront6targetE1EEEvT1_
	.globl	_ZN7rocprim17ROCPRIM_400000_NS6detail17trampoline_kernelINS0_14default_configENS1_20scan_config_selectorIiEEZZNS1_9scan_implILNS1_25lookback_scan_determinismE0ELb1ELb1ES3_N6thrust23THRUST_200600_302600_NS6detail15normal_iteratorINS9_10device_ptrIiEEEESE_iNS9_4plusIiEEiEEDaPvRmT3_T4_T5_mT6_P12ihipStream_tbENKUlT_T0_E_clISt17integral_constantIbLb1EESU_EEDaSP_SQ_EUlSP_E_NS1_11comp_targetILNS1_3genE10ELNS1_11target_archE1200ELNS1_3gpuE4ELNS1_3repE0EEENS1_30default_config_static_selectorELNS0_4arch9wavefront6targetE1EEEvT1_
	.p2align	8
	.type	_ZN7rocprim17ROCPRIM_400000_NS6detail17trampoline_kernelINS0_14default_configENS1_20scan_config_selectorIiEEZZNS1_9scan_implILNS1_25lookback_scan_determinismE0ELb1ELb1ES3_N6thrust23THRUST_200600_302600_NS6detail15normal_iteratorINS9_10device_ptrIiEEEESE_iNS9_4plusIiEEiEEDaPvRmT3_T4_T5_mT6_P12ihipStream_tbENKUlT_T0_E_clISt17integral_constantIbLb1EESU_EEDaSP_SQ_EUlSP_E_NS1_11comp_targetILNS1_3genE10ELNS1_11target_archE1200ELNS1_3gpuE4ELNS1_3repE0EEENS1_30default_config_static_selectorELNS0_4arch9wavefront6targetE1EEEvT1_,@function
_ZN7rocprim17ROCPRIM_400000_NS6detail17trampoline_kernelINS0_14default_configENS1_20scan_config_selectorIiEEZZNS1_9scan_implILNS1_25lookback_scan_determinismE0ELb1ELb1ES3_N6thrust23THRUST_200600_302600_NS6detail15normal_iteratorINS9_10device_ptrIiEEEESE_iNS9_4plusIiEEiEEDaPvRmT3_T4_T5_mT6_P12ihipStream_tbENKUlT_T0_E_clISt17integral_constantIbLb1EESU_EEDaSP_SQ_EUlSP_E_NS1_11comp_targetILNS1_3genE10ELNS1_11target_archE1200ELNS1_3gpuE4ELNS1_3repE0EEENS1_30default_config_static_selectorELNS0_4arch9wavefront6targetE1EEEvT1_: ; @_ZN7rocprim17ROCPRIM_400000_NS6detail17trampoline_kernelINS0_14default_configENS1_20scan_config_selectorIiEEZZNS1_9scan_implILNS1_25lookback_scan_determinismE0ELb1ELb1ES3_N6thrust23THRUST_200600_302600_NS6detail15normal_iteratorINS9_10device_ptrIiEEEESE_iNS9_4plusIiEEiEEDaPvRmT3_T4_T5_mT6_P12ihipStream_tbENKUlT_T0_E_clISt17integral_constantIbLb1EESU_EEDaSP_SQ_EUlSP_E_NS1_11comp_targetILNS1_3genE10ELNS1_11target_archE1200ELNS1_3gpuE4ELNS1_3repE0EEENS1_30default_config_static_selectorELNS0_4arch9wavefront6targetE1EEEvT1_
; %bb.0:
	.section	.rodata,"a",@progbits
	.p2align	6, 0x0
	.amdhsa_kernel _ZN7rocprim17ROCPRIM_400000_NS6detail17trampoline_kernelINS0_14default_configENS1_20scan_config_selectorIiEEZZNS1_9scan_implILNS1_25lookback_scan_determinismE0ELb1ELb1ES3_N6thrust23THRUST_200600_302600_NS6detail15normal_iteratorINS9_10device_ptrIiEEEESE_iNS9_4plusIiEEiEEDaPvRmT3_T4_T5_mT6_P12ihipStream_tbENKUlT_T0_E_clISt17integral_constantIbLb1EESU_EEDaSP_SQ_EUlSP_E_NS1_11comp_targetILNS1_3genE10ELNS1_11target_archE1200ELNS1_3gpuE4ELNS1_3repE0EEENS1_30default_config_static_selectorELNS0_4arch9wavefront6targetE1EEEvT1_
		.amdhsa_group_segment_fixed_size 0
		.amdhsa_private_segment_fixed_size 0
		.amdhsa_kernarg_size 96
		.amdhsa_user_sgpr_count 6
		.amdhsa_user_sgpr_private_segment_buffer 1
		.amdhsa_user_sgpr_dispatch_ptr 0
		.amdhsa_user_sgpr_queue_ptr 0
		.amdhsa_user_sgpr_kernarg_segment_ptr 1
		.amdhsa_user_sgpr_dispatch_id 0
		.amdhsa_user_sgpr_flat_scratch_init 0
		.amdhsa_user_sgpr_kernarg_preload_length 0
		.amdhsa_user_sgpr_kernarg_preload_offset 0
		.amdhsa_user_sgpr_private_segment_size 0
		.amdhsa_uses_dynamic_stack 0
		.amdhsa_system_sgpr_private_segment_wavefront_offset 0
		.amdhsa_system_sgpr_workgroup_id_x 1
		.amdhsa_system_sgpr_workgroup_id_y 0
		.amdhsa_system_sgpr_workgroup_id_z 0
		.amdhsa_system_sgpr_workgroup_info 0
		.amdhsa_system_vgpr_workitem_id 0
		.amdhsa_next_free_vgpr 1
		.amdhsa_next_free_sgpr 0
		.amdhsa_accum_offset 4
		.amdhsa_reserve_vcc 0
		.amdhsa_reserve_flat_scratch 0
		.amdhsa_float_round_mode_32 0
		.amdhsa_float_round_mode_16_64 0
		.amdhsa_float_denorm_mode_32 3
		.amdhsa_float_denorm_mode_16_64 3
		.amdhsa_dx10_clamp 1
		.amdhsa_ieee_mode 1
		.amdhsa_fp16_overflow 0
		.amdhsa_tg_split 0
		.amdhsa_exception_fp_ieee_invalid_op 0
		.amdhsa_exception_fp_denorm_src 0
		.amdhsa_exception_fp_ieee_div_zero 0
		.amdhsa_exception_fp_ieee_overflow 0
		.amdhsa_exception_fp_ieee_underflow 0
		.amdhsa_exception_fp_ieee_inexact 0
		.amdhsa_exception_int_div_zero 0
	.end_amdhsa_kernel
	.section	.text._ZN7rocprim17ROCPRIM_400000_NS6detail17trampoline_kernelINS0_14default_configENS1_20scan_config_selectorIiEEZZNS1_9scan_implILNS1_25lookback_scan_determinismE0ELb1ELb1ES3_N6thrust23THRUST_200600_302600_NS6detail15normal_iteratorINS9_10device_ptrIiEEEESE_iNS9_4plusIiEEiEEDaPvRmT3_T4_T5_mT6_P12ihipStream_tbENKUlT_T0_E_clISt17integral_constantIbLb1EESU_EEDaSP_SQ_EUlSP_E_NS1_11comp_targetILNS1_3genE10ELNS1_11target_archE1200ELNS1_3gpuE4ELNS1_3repE0EEENS1_30default_config_static_selectorELNS0_4arch9wavefront6targetE1EEEvT1_,"axG",@progbits,_ZN7rocprim17ROCPRIM_400000_NS6detail17trampoline_kernelINS0_14default_configENS1_20scan_config_selectorIiEEZZNS1_9scan_implILNS1_25lookback_scan_determinismE0ELb1ELb1ES3_N6thrust23THRUST_200600_302600_NS6detail15normal_iteratorINS9_10device_ptrIiEEEESE_iNS9_4plusIiEEiEEDaPvRmT3_T4_T5_mT6_P12ihipStream_tbENKUlT_T0_E_clISt17integral_constantIbLb1EESU_EEDaSP_SQ_EUlSP_E_NS1_11comp_targetILNS1_3genE10ELNS1_11target_archE1200ELNS1_3gpuE4ELNS1_3repE0EEENS1_30default_config_static_selectorELNS0_4arch9wavefront6targetE1EEEvT1_,comdat
.Lfunc_end684:
	.size	_ZN7rocprim17ROCPRIM_400000_NS6detail17trampoline_kernelINS0_14default_configENS1_20scan_config_selectorIiEEZZNS1_9scan_implILNS1_25lookback_scan_determinismE0ELb1ELb1ES3_N6thrust23THRUST_200600_302600_NS6detail15normal_iteratorINS9_10device_ptrIiEEEESE_iNS9_4plusIiEEiEEDaPvRmT3_T4_T5_mT6_P12ihipStream_tbENKUlT_T0_E_clISt17integral_constantIbLb1EESU_EEDaSP_SQ_EUlSP_E_NS1_11comp_targetILNS1_3genE10ELNS1_11target_archE1200ELNS1_3gpuE4ELNS1_3repE0EEENS1_30default_config_static_selectorELNS0_4arch9wavefront6targetE1EEEvT1_, .Lfunc_end684-_ZN7rocprim17ROCPRIM_400000_NS6detail17trampoline_kernelINS0_14default_configENS1_20scan_config_selectorIiEEZZNS1_9scan_implILNS1_25lookback_scan_determinismE0ELb1ELb1ES3_N6thrust23THRUST_200600_302600_NS6detail15normal_iteratorINS9_10device_ptrIiEEEESE_iNS9_4plusIiEEiEEDaPvRmT3_T4_T5_mT6_P12ihipStream_tbENKUlT_T0_E_clISt17integral_constantIbLb1EESU_EEDaSP_SQ_EUlSP_E_NS1_11comp_targetILNS1_3genE10ELNS1_11target_archE1200ELNS1_3gpuE4ELNS1_3repE0EEENS1_30default_config_static_selectorELNS0_4arch9wavefront6targetE1EEEvT1_
                                        ; -- End function
	.section	.AMDGPU.csdata,"",@progbits
; Kernel info:
; codeLenInByte = 0
; NumSgprs: 4
; NumVgprs: 0
; NumAgprs: 0
; TotalNumVgprs: 0
; ScratchSize: 0
; MemoryBound: 0
; FloatMode: 240
; IeeeMode: 1
; LDSByteSize: 0 bytes/workgroup (compile time only)
; SGPRBlocks: 0
; VGPRBlocks: 0
; NumSGPRsForWavesPerEU: 4
; NumVGPRsForWavesPerEU: 1
; AccumOffset: 4
; Occupancy: 8
; WaveLimiterHint : 0
; COMPUTE_PGM_RSRC2:SCRATCH_EN: 0
; COMPUTE_PGM_RSRC2:USER_SGPR: 6
; COMPUTE_PGM_RSRC2:TRAP_HANDLER: 0
; COMPUTE_PGM_RSRC2:TGID_X_EN: 1
; COMPUTE_PGM_RSRC2:TGID_Y_EN: 0
; COMPUTE_PGM_RSRC2:TGID_Z_EN: 0
; COMPUTE_PGM_RSRC2:TIDIG_COMP_CNT: 0
; COMPUTE_PGM_RSRC3_GFX90A:ACCUM_OFFSET: 0
; COMPUTE_PGM_RSRC3_GFX90A:TG_SPLIT: 0
	.section	.text._ZN7rocprim17ROCPRIM_400000_NS6detail17trampoline_kernelINS0_14default_configENS1_20scan_config_selectorIiEEZZNS1_9scan_implILNS1_25lookback_scan_determinismE0ELb1ELb1ES3_N6thrust23THRUST_200600_302600_NS6detail15normal_iteratorINS9_10device_ptrIiEEEESE_iNS9_4plusIiEEiEEDaPvRmT3_T4_T5_mT6_P12ihipStream_tbENKUlT_T0_E_clISt17integral_constantIbLb1EESU_EEDaSP_SQ_EUlSP_E_NS1_11comp_targetILNS1_3genE9ELNS1_11target_archE1100ELNS1_3gpuE3ELNS1_3repE0EEENS1_30default_config_static_selectorELNS0_4arch9wavefront6targetE1EEEvT1_,"axG",@progbits,_ZN7rocprim17ROCPRIM_400000_NS6detail17trampoline_kernelINS0_14default_configENS1_20scan_config_selectorIiEEZZNS1_9scan_implILNS1_25lookback_scan_determinismE0ELb1ELb1ES3_N6thrust23THRUST_200600_302600_NS6detail15normal_iteratorINS9_10device_ptrIiEEEESE_iNS9_4plusIiEEiEEDaPvRmT3_T4_T5_mT6_P12ihipStream_tbENKUlT_T0_E_clISt17integral_constantIbLb1EESU_EEDaSP_SQ_EUlSP_E_NS1_11comp_targetILNS1_3genE9ELNS1_11target_archE1100ELNS1_3gpuE3ELNS1_3repE0EEENS1_30default_config_static_selectorELNS0_4arch9wavefront6targetE1EEEvT1_,comdat
	.protected	_ZN7rocprim17ROCPRIM_400000_NS6detail17trampoline_kernelINS0_14default_configENS1_20scan_config_selectorIiEEZZNS1_9scan_implILNS1_25lookback_scan_determinismE0ELb1ELb1ES3_N6thrust23THRUST_200600_302600_NS6detail15normal_iteratorINS9_10device_ptrIiEEEESE_iNS9_4plusIiEEiEEDaPvRmT3_T4_T5_mT6_P12ihipStream_tbENKUlT_T0_E_clISt17integral_constantIbLb1EESU_EEDaSP_SQ_EUlSP_E_NS1_11comp_targetILNS1_3genE9ELNS1_11target_archE1100ELNS1_3gpuE3ELNS1_3repE0EEENS1_30default_config_static_selectorELNS0_4arch9wavefront6targetE1EEEvT1_ ; -- Begin function _ZN7rocprim17ROCPRIM_400000_NS6detail17trampoline_kernelINS0_14default_configENS1_20scan_config_selectorIiEEZZNS1_9scan_implILNS1_25lookback_scan_determinismE0ELb1ELb1ES3_N6thrust23THRUST_200600_302600_NS6detail15normal_iteratorINS9_10device_ptrIiEEEESE_iNS9_4plusIiEEiEEDaPvRmT3_T4_T5_mT6_P12ihipStream_tbENKUlT_T0_E_clISt17integral_constantIbLb1EESU_EEDaSP_SQ_EUlSP_E_NS1_11comp_targetILNS1_3genE9ELNS1_11target_archE1100ELNS1_3gpuE3ELNS1_3repE0EEENS1_30default_config_static_selectorELNS0_4arch9wavefront6targetE1EEEvT1_
	.globl	_ZN7rocprim17ROCPRIM_400000_NS6detail17trampoline_kernelINS0_14default_configENS1_20scan_config_selectorIiEEZZNS1_9scan_implILNS1_25lookback_scan_determinismE0ELb1ELb1ES3_N6thrust23THRUST_200600_302600_NS6detail15normal_iteratorINS9_10device_ptrIiEEEESE_iNS9_4plusIiEEiEEDaPvRmT3_T4_T5_mT6_P12ihipStream_tbENKUlT_T0_E_clISt17integral_constantIbLb1EESU_EEDaSP_SQ_EUlSP_E_NS1_11comp_targetILNS1_3genE9ELNS1_11target_archE1100ELNS1_3gpuE3ELNS1_3repE0EEENS1_30default_config_static_selectorELNS0_4arch9wavefront6targetE1EEEvT1_
	.p2align	8
	.type	_ZN7rocprim17ROCPRIM_400000_NS6detail17trampoline_kernelINS0_14default_configENS1_20scan_config_selectorIiEEZZNS1_9scan_implILNS1_25lookback_scan_determinismE0ELb1ELb1ES3_N6thrust23THRUST_200600_302600_NS6detail15normal_iteratorINS9_10device_ptrIiEEEESE_iNS9_4plusIiEEiEEDaPvRmT3_T4_T5_mT6_P12ihipStream_tbENKUlT_T0_E_clISt17integral_constantIbLb1EESU_EEDaSP_SQ_EUlSP_E_NS1_11comp_targetILNS1_3genE9ELNS1_11target_archE1100ELNS1_3gpuE3ELNS1_3repE0EEENS1_30default_config_static_selectorELNS0_4arch9wavefront6targetE1EEEvT1_,@function
_ZN7rocprim17ROCPRIM_400000_NS6detail17trampoline_kernelINS0_14default_configENS1_20scan_config_selectorIiEEZZNS1_9scan_implILNS1_25lookback_scan_determinismE0ELb1ELb1ES3_N6thrust23THRUST_200600_302600_NS6detail15normal_iteratorINS9_10device_ptrIiEEEESE_iNS9_4plusIiEEiEEDaPvRmT3_T4_T5_mT6_P12ihipStream_tbENKUlT_T0_E_clISt17integral_constantIbLb1EESU_EEDaSP_SQ_EUlSP_E_NS1_11comp_targetILNS1_3genE9ELNS1_11target_archE1100ELNS1_3gpuE3ELNS1_3repE0EEENS1_30default_config_static_selectorELNS0_4arch9wavefront6targetE1EEEvT1_: ; @_ZN7rocprim17ROCPRIM_400000_NS6detail17trampoline_kernelINS0_14default_configENS1_20scan_config_selectorIiEEZZNS1_9scan_implILNS1_25lookback_scan_determinismE0ELb1ELb1ES3_N6thrust23THRUST_200600_302600_NS6detail15normal_iteratorINS9_10device_ptrIiEEEESE_iNS9_4plusIiEEiEEDaPvRmT3_T4_T5_mT6_P12ihipStream_tbENKUlT_T0_E_clISt17integral_constantIbLb1EESU_EEDaSP_SQ_EUlSP_E_NS1_11comp_targetILNS1_3genE9ELNS1_11target_archE1100ELNS1_3gpuE3ELNS1_3repE0EEENS1_30default_config_static_selectorELNS0_4arch9wavefront6targetE1EEEvT1_
; %bb.0:
	.section	.rodata,"a",@progbits
	.p2align	6, 0x0
	.amdhsa_kernel _ZN7rocprim17ROCPRIM_400000_NS6detail17trampoline_kernelINS0_14default_configENS1_20scan_config_selectorIiEEZZNS1_9scan_implILNS1_25lookback_scan_determinismE0ELb1ELb1ES3_N6thrust23THRUST_200600_302600_NS6detail15normal_iteratorINS9_10device_ptrIiEEEESE_iNS9_4plusIiEEiEEDaPvRmT3_T4_T5_mT6_P12ihipStream_tbENKUlT_T0_E_clISt17integral_constantIbLb1EESU_EEDaSP_SQ_EUlSP_E_NS1_11comp_targetILNS1_3genE9ELNS1_11target_archE1100ELNS1_3gpuE3ELNS1_3repE0EEENS1_30default_config_static_selectorELNS0_4arch9wavefront6targetE1EEEvT1_
		.amdhsa_group_segment_fixed_size 0
		.amdhsa_private_segment_fixed_size 0
		.amdhsa_kernarg_size 96
		.amdhsa_user_sgpr_count 6
		.amdhsa_user_sgpr_private_segment_buffer 1
		.amdhsa_user_sgpr_dispatch_ptr 0
		.amdhsa_user_sgpr_queue_ptr 0
		.amdhsa_user_sgpr_kernarg_segment_ptr 1
		.amdhsa_user_sgpr_dispatch_id 0
		.amdhsa_user_sgpr_flat_scratch_init 0
		.amdhsa_user_sgpr_kernarg_preload_length 0
		.amdhsa_user_sgpr_kernarg_preload_offset 0
		.amdhsa_user_sgpr_private_segment_size 0
		.amdhsa_uses_dynamic_stack 0
		.amdhsa_system_sgpr_private_segment_wavefront_offset 0
		.amdhsa_system_sgpr_workgroup_id_x 1
		.amdhsa_system_sgpr_workgroup_id_y 0
		.amdhsa_system_sgpr_workgroup_id_z 0
		.amdhsa_system_sgpr_workgroup_info 0
		.amdhsa_system_vgpr_workitem_id 0
		.amdhsa_next_free_vgpr 1
		.amdhsa_next_free_sgpr 0
		.amdhsa_accum_offset 4
		.amdhsa_reserve_vcc 0
		.amdhsa_reserve_flat_scratch 0
		.amdhsa_float_round_mode_32 0
		.amdhsa_float_round_mode_16_64 0
		.amdhsa_float_denorm_mode_32 3
		.amdhsa_float_denorm_mode_16_64 3
		.amdhsa_dx10_clamp 1
		.amdhsa_ieee_mode 1
		.amdhsa_fp16_overflow 0
		.amdhsa_tg_split 0
		.amdhsa_exception_fp_ieee_invalid_op 0
		.amdhsa_exception_fp_denorm_src 0
		.amdhsa_exception_fp_ieee_div_zero 0
		.amdhsa_exception_fp_ieee_overflow 0
		.amdhsa_exception_fp_ieee_underflow 0
		.amdhsa_exception_fp_ieee_inexact 0
		.amdhsa_exception_int_div_zero 0
	.end_amdhsa_kernel
	.section	.text._ZN7rocprim17ROCPRIM_400000_NS6detail17trampoline_kernelINS0_14default_configENS1_20scan_config_selectorIiEEZZNS1_9scan_implILNS1_25lookback_scan_determinismE0ELb1ELb1ES3_N6thrust23THRUST_200600_302600_NS6detail15normal_iteratorINS9_10device_ptrIiEEEESE_iNS9_4plusIiEEiEEDaPvRmT3_T4_T5_mT6_P12ihipStream_tbENKUlT_T0_E_clISt17integral_constantIbLb1EESU_EEDaSP_SQ_EUlSP_E_NS1_11comp_targetILNS1_3genE9ELNS1_11target_archE1100ELNS1_3gpuE3ELNS1_3repE0EEENS1_30default_config_static_selectorELNS0_4arch9wavefront6targetE1EEEvT1_,"axG",@progbits,_ZN7rocprim17ROCPRIM_400000_NS6detail17trampoline_kernelINS0_14default_configENS1_20scan_config_selectorIiEEZZNS1_9scan_implILNS1_25lookback_scan_determinismE0ELb1ELb1ES3_N6thrust23THRUST_200600_302600_NS6detail15normal_iteratorINS9_10device_ptrIiEEEESE_iNS9_4plusIiEEiEEDaPvRmT3_T4_T5_mT6_P12ihipStream_tbENKUlT_T0_E_clISt17integral_constantIbLb1EESU_EEDaSP_SQ_EUlSP_E_NS1_11comp_targetILNS1_3genE9ELNS1_11target_archE1100ELNS1_3gpuE3ELNS1_3repE0EEENS1_30default_config_static_selectorELNS0_4arch9wavefront6targetE1EEEvT1_,comdat
.Lfunc_end685:
	.size	_ZN7rocprim17ROCPRIM_400000_NS6detail17trampoline_kernelINS0_14default_configENS1_20scan_config_selectorIiEEZZNS1_9scan_implILNS1_25lookback_scan_determinismE0ELb1ELb1ES3_N6thrust23THRUST_200600_302600_NS6detail15normal_iteratorINS9_10device_ptrIiEEEESE_iNS9_4plusIiEEiEEDaPvRmT3_T4_T5_mT6_P12ihipStream_tbENKUlT_T0_E_clISt17integral_constantIbLb1EESU_EEDaSP_SQ_EUlSP_E_NS1_11comp_targetILNS1_3genE9ELNS1_11target_archE1100ELNS1_3gpuE3ELNS1_3repE0EEENS1_30default_config_static_selectorELNS0_4arch9wavefront6targetE1EEEvT1_, .Lfunc_end685-_ZN7rocprim17ROCPRIM_400000_NS6detail17trampoline_kernelINS0_14default_configENS1_20scan_config_selectorIiEEZZNS1_9scan_implILNS1_25lookback_scan_determinismE0ELb1ELb1ES3_N6thrust23THRUST_200600_302600_NS6detail15normal_iteratorINS9_10device_ptrIiEEEESE_iNS9_4plusIiEEiEEDaPvRmT3_T4_T5_mT6_P12ihipStream_tbENKUlT_T0_E_clISt17integral_constantIbLb1EESU_EEDaSP_SQ_EUlSP_E_NS1_11comp_targetILNS1_3genE9ELNS1_11target_archE1100ELNS1_3gpuE3ELNS1_3repE0EEENS1_30default_config_static_selectorELNS0_4arch9wavefront6targetE1EEEvT1_
                                        ; -- End function
	.section	.AMDGPU.csdata,"",@progbits
; Kernel info:
; codeLenInByte = 0
; NumSgprs: 4
; NumVgprs: 0
; NumAgprs: 0
; TotalNumVgprs: 0
; ScratchSize: 0
; MemoryBound: 0
; FloatMode: 240
; IeeeMode: 1
; LDSByteSize: 0 bytes/workgroup (compile time only)
; SGPRBlocks: 0
; VGPRBlocks: 0
; NumSGPRsForWavesPerEU: 4
; NumVGPRsForWavesPerEU: 1
; AccumOffset: 4
; Occupancy: 8
; WaveLimiterHint : 0
; COMPUTE_PGM_RSRC2:SCRATCH_EN: 0
; COMPUTE_PGM_RSRC2:USER_SGPR: 6
; COMPUTE_PGM_RSRC2:TRAP_HANDLER: 0
; COMPUTE_PGM_RSRC2:TGID_X_EN: 1
; COMPUTE_PGM_RSRC2:TGID_Y_EN: 0
; COMPUTE_PGM_RSRC2:TGID_Z_EN: 0
; COMPUTE_PGM_RSRC2:TIDIG_COMP_CNT: 0
; COMPUTE_PGM_RSRC3_GFX90A:ACCUM_OFFSET: 0
; COMPUTE_PGM_RSRC3_GFX90A:TG_SPLIT: 0
	.section	.text._ZN7rocprim17ROCPRIM_400000_NS6detail17trampoline_kernelINS0_14default_configENS1_20scan_config_selectorIiEEZZNS1_9scan_implILNS1_25lookback_scan_determinismE0ELb1ELb1ES3_N6thrust23THRUST_200600_302600_NS6detail15normal_iteratorINS9_10device_ptrIiEEEESE_iNS9_4plusIiEEiEEDaPvRmT3_T4_T5_mT6_P12ihipStream_tbENKUlT_T0_E_clISt17integral_constantIbLb1EESU_EEDaSP_SQ_EUlSP_E_NS1_11comp_targetILNS1_3genE8ELNS1_11target_archE1030ELNS1_3gpuE2ELNS1_3repE0EEENS1_30default_config_static_selectorELNS0_4arch9wavefront6targetE1EEEvT1_,"axG",@progbits,_ZN7rocprim17ROCPRIM_400000_NS6detail17trampoline_kernelINS0_14default_configENS1_20scan_config_selectorIiEEZZNS1_9scan_implILNS1_25lookback_scan_determinismE0ELb1ELb1ES3_N6thrust23THRUST_200600_302600_NS6detail15normal_iteratorINS9_10device_ptrIiEEEESE_iNS9_4plusIiEEiEEDaPvRmT3_T4_T5_mT6_P12ihipStream_tbENKUlT_T0_E_clISt17integral_constantIbLb1EESU_EEDaSP_SQ_EUlSP_E_NS1_11comp_targetILNS1_3genE8ELNS1_11target_archE1030ELNS1_3gpuE2ELNS1_3repE0EEENS1_30default_config_static_selectorELNS0_4arch9wavefront6targetE1EEEvT1_,comdat
	.protected	_ZN7rocprim17ROCPRIM_400000_NS6detail17trampoline_kernelINS0_14default_configENS1_20scan_config_selectorIiEEZZNS1_9scan_implILNS1_25lookback_scan_determinismE0ELb1ELb1ES3_N6thrust23THRUST_200600_302600_NS6detail15normal_iteratorINS9_10device_ptrIiEEEESE_iNS9_4plusIiEEiEEDaPvRmT3_T4_T5_mT6_P12ihipStream_tbENKUlT_T0_E_clISt17integral_constantIbLb1EESU_EEDaSP_SQ_EUlSP_E_NS1_11comp_targetILNS1_3genE8ELNS1_11target_archE1030ELNS1_3gpuE2ELNS1_3repE0EEENS1_30default_config_static_selectorELNS0_4arch9wavefront6targetE1EEEvT1_ ; -- Begin function _ZN7rocprim17ROCPRIM_400000_NS6detail17trampoline_kernelINS0_14default_configENS1_20scan_config_selectorIiEEZZNS1_9scan_implILNS1_25lookback_scan_determinismE0ELb1ELb1ES3_N6thrust23THRUST_200600_302600_NS6detail15normal_iteratorINS9_10device_ptrIiEEEESE_iNS9_4plusIiEEiEEDaPvRmT3_T4_T5_mT6_P12ihipStream_tbENKUlT_T0_E_clISt17integral_constantIbLb1EESU_EEDaSP_SQ_EUlSP_E_NS1_11comp_targetILNS1_3genE8ELNS1_11target_archE1030ELNS1_3gpuE2ELNS1_3repE0EEENS1_30default_config_static_selectorELNS0_4arch9wavefront6targetE1EEEvT1_
	.globl	_ZN7rocprim17ROCPRIM_400000_NS6detail17trampoline_kernelINS0_14default_configENS1_20scan_config_selectorIiEEZZNS1_9scan_implILNS1_25lookback_scan_determinismE0ELb1ELb1ES3_N6thrust23THRUST_200600_302600_NS6detail15normal_iteratorINS9_10device_ptrIiEEEESE_iNS9_4plusIiEEiEEDaPvRmT3_T4_T5_mT6_P12ihipStream_tbENKUlT_T0_E_clISt17integral_constantIbLb1EESU_EEDaSP_SQ_EUlSP_E_NS1_11comp_targetILNS1_3genE8ELNS1_11target_archE1030ELNS1_3gpuE2ELNS1_3repE0EEENS1_30default_config_static_selectorELNS0_4arch9wavefront6targetE1EEEvT1_
	.p2align	8
	.type	_ZN7rocprim17ROCPRIM_400000_NS6detail17trampoline_kernelINS0_14default_configENS1_20scan_config_selectorIiEEZZNS1_9scan_implILNS1_25lookback_scan_determinismE0ELb1ELb1ES3_N6thrust23THRUST_200600_302600_NS6detail15normal_iteratorINS9_10device_ptrIiEEEESE_iNS9_4plusIiEEiEEDaPvRmT3_T4_T5_mT6_P12ihipStream_tbENKUlT_T0_E_clISt17integral_constantIbLb1EESU_EEDaSP_SQ_EUlSP_E_NS1_11comp_targetILNS1_3genE8ELNS1_11target_archE1030ELNS1_3gpuE2ELNS1_3repE0EEENS1_30default_config_static_selectorELNS0_4arch9wavefront6targetE1EEEvT1_,@function
_ZN7rocprim17ROCPRIM_400000_NS6detail17trampoline_kernelINS0_14default_configENS1_20scan_config_selectorIiEEZZNS1_9scan_implILNS1_25lookback_scan_determinismE0ELb1ELb1ES3_N6thrust23THRUST_200600_302600_NS6detail15normal_iteratorINS9_10device_ptrIiEEEESE_iNS9_4plusIiEEiEEDaPvRmT3_T4_T5_mT6_P12ihipStream_tbENKUlT_T0_E_clISt17integral_constantIbLb1EESU_EEDaSP_SQ_EUlSP_E_NS1_11comp_targetILNS1_3genE8ELNS1_11target_archE1030ELNS1_3gpuE2ELNS1_3repE0EEENS1_30default_config_static_selectorELNS0_4arch9wavefront6targetE1EEEvT1_: ; @_ZN7rocprim17ROCPRIM_400000_NS6detail17trampoline_kernelINS0_14default_configENS1_20scan_config_selectorIiEEZZNS1_9scan_implILNS1_25lookback_scan_determinismE0ELb1ELb1ES3_N6thrust23THRUST_200600_302600_NS6detail15normal_iteratorINS9_10device_ptrIiEEEESE_iNS9_4plusIiEEiEEDaPvRmT3_T4_T5_mT6_P12ihipStream_tbENKUlT_T0_E_clISt17integral_constantIbLb1EESU_EEDaSP_SQ_EUlSP_E_NS1_11comp_targetILNS1_3genE8ELNS1_11target_archE1030ELNS1_3gpuE2ELNS1_3repE0EEENS1_30default_config_static_selectorELNS0_4arch9wavefront6targetE1EEEvT1_
; %bb.0:
	.section	.rodata,"a",@progbits
	.p2align	6, 0x0
	.amdhsa_kernel _ZN7rocprim17ROCPRIM_400000_NS6detail17trampoline_kernelINS0_14default_configENS1_20scan_config_selectorIiEEZZNS1_9scan_implILNS1_25lookback_scan_determinismE0ELb1ELb1ES3_N6thrust23THRUST_200600_302600_NS6detail15normal_iteratorINS9_10device_ptrIiEEEESE_iNS9_4plusIiEEiEEDaPvRmT3_T4_T5_mT6_P12ihipStream_tbENKUlT_T0_E_clISt17integral_constantIbLb1EESU_EEDaSP_SQ_EUlSP_E_NS1_11comp_targetILNS1_3genE8ELNS1_11target_archE1030ELNS1_3gpuE2ELNS1_3repE0EEENS1_30default_config_static_selectorELNS0_4arch9wavefront6targetE1EEEvT1_
		.amdhsa_group_segment_fixed_size 0
		.amdhsa_private_segment_fixed_size 0
		.amdhsa_kernarg_size 96
		.amdhsa_user_sgpr_count 6
		.amdhsa_user_sgpr_private_segment_buffer 1
		.amdhsa_user_sgpr_dispatch_ptr 0
		.amdhsa_user_sgpr_queue_ptr 0
		.amdhsa_user_sgpr_kernarg_segment_ptr 1
		.amdhsa_user_sgpr_dispatch_id 0
		.amdhsa_user_sgpr_flat_scratch_init 0
		.amdhsa_user_sgpr_kernarg_preload_length 0
		.amdhsa_user_sgpr_kernarg_preload_offset 0
		.amdhsa_user_sgpr_private_segment_size 0
		.amdhsa_uses_dynamic_stack 0
		.amdhsa_system_sgpr_private_segment_wavefront_offset 0
		.amdhsa_system_sgpr_workgroup_id_x 1
		.amdhsa_system_sgpr_workgroup_id_y 0
		.amdhsa_system_sgpr_workgroup_id_z 0
		.amdhsa_system_sgpr_workgroup_info 0
		.amdhsa_system_vgpr_workitem_id 0
		.amdhsa_next_free_vgpr 1
		.amdhsa_next_free_sgpr 0
		.amdhsa_accum_offset 4
		.amdhsa_reserve_vcc 0
		.amdhsa_reserve_flat_scratch 0
		.amdhsa_float_round_mode_32 0
		.amdhsa_float_round_mode_16_64 0
		.amdhsa_float_denorm_mode_32 3
		.amdhsa_float_denorm_mode_16_64 3
		.amdhsa_dx10_clamp 1
		.amdhsa_ieee_mode 1
		.amdhsa_fp16_overflow 0
		.amdhsa_tg_split 0
		.amdhsa_exception_fp_ieee_invalid_op 0
		.amdhsa_exception_fp_denorm_src 0
		.amdhsa_exception_fp_ieee_div_zero 0
		.amdhsa_exception_fp_ieee_overflow 0
		.amdhsa_exception_fp_ieee_underflow 0
		.amdhsa_exception_fp_ieee_inexact 0
		.amdhsa_exception_int_div_zero 0
	.end_amdhsa_kernel
	.section	.text._ZN7rocprim17ROCPRIM_400000_NS6detail17trampoline_kernelINS0_14default_configENS1_20scan_config_selectorIiEEZZNS1_9scan_implILNS1_25lookback_scan_determinismE0ELb1ELb1ES3_N6thrust23THRUST_200600_302600_NS6detail15normal_iteratorINS9_10device_ptrIiEEEESE_iNS9_4plusIiEEiEEDaPvRmT3_T4_T5_mT6_P12ihipStream_tbENKUlT_T0_E_clISt17integral_constantIbLb1EESU_EEDaSP_SQ_EUlSP_E_NS1_11comp_targetILNS1_3genE8ELNS1_11target_archE1030ELNS1_3gpuE2ELNS1_3repE0EEENS1_30default_config_static_selectorELNS0_4arch9wavefront6targetE1EEEvT1_,"axG",@progbits,_ZN7rocprim17ROCPRIM_400000_NS6detail17trampoline_kernelINS0_14default_configENS1_20scan_config_selectorIiEEZZNS1_9scan_implILNS1_25lookback_scan_determinismE0ELb1ELb1ES3_N6thrust23THRUST_200600_302600_NS6detail15normal_iteratorINS9_10device_ptrIiEEEESE_iNS9_4plusIiEEiEEDaPvRmT3_T4_T5_mT6_P12ihipStream_tbENKUlT_T0_E_clISt17integral_constantIbLb1EESU_EEDaSP_SQ_EUlSP_E_NS1_11comp_targetILNS1_3genE8ELNS1_11target_archE1030ELNS1_3gpuE2ELNS1_3repE0EEENS1_30default_config_static_selectorELNS0_4arch9wavefront6targetE1EEEvT1_,comdat
.Lfunc_end686:
	.size	_ZN7rocprim17ROCPRIM_400000_NS6detail17trampoline_kernelINS0_14default_configENS1_20scan_config_selectorIiEEZZNS1_9scan_implILNS1_25lookback_scan_determinismE0ELb1ELb1ES3_N6thrust23THRUST_200600_302600_NS6detail15normal_iteratorINS9_10device_ptrIiEEEESE_iNS9_4plusIiEEiEEDaPvRmT3_T4_T5_mT6_P12ihipStream_tbENKUlT_T0_E_clISt17integral_constantIbLb1EESU_EEDaSP_SQ_EUlSP_E_NS1_11comp_targetILNS1_3genE8ELNS1_11target_archE1030ELNS1_3gpuE2ELNS1_3repE0EEENS1_30default_config_static_selectorELNS0_4arch9wavefront6targetE1EEEvT1_, .Lfunc_end686-_ZN7rocprim17ROCPRIM_400000_NS6detail17trampoline_kernelINS0_14default_configENS1_20scan_config_selectorIiEEZZNS1_9scan_implILNS1_25lookback_scan_determinismE0ELb1ELb1ES3_N6thrust23THRUST_200600_302600_NS6detail15normal_iteratorINS9_10device_ptrIiEEEESE_iNS9_4plusIiEEiEEDaPvRmT3_T4_T5_mT6_P12ihipStream_tbENKUlT_T0_E_clISt17integral_constantIbLb1EESU_EEDaSP_SQ_EUlSP_E_NS1_11comp_targetILNS1_3genE8ELNS1_11target_archE1030ELNS1_3gpuE2ELNS1_3repE0EEENS1_30default_config_static_selectorELNS0_4arch9wavefront6targetE1EEEvT1_
                                        ; -- End function
	.section	.AMDGPU.csdata,"",@progbits
; Kernel info:
; codeLenInByte = 0
; NumSgprs: 4
; NumVgprs: 0
; NumAgprs: 0
; TotalNumVgprs: 0
; ScratchSize: 0
; MemoryBound: 0
; FloatMode: 240
; IeeeMode: 1
; LDSByteSize: 0 bytes/workgroup (compile time only)
; SGPRBlocks: 0
; VGPRBlocks: 0
; NumSGPRsForWavesPerEU: 4
; NumVGPRsForWavesPerEU: 1
; AccumOffset: 4
; Occupancy: 8
; WaveLimiterHint : 0
; COMPUTE_PGM_RSRC2:SCRATCH_EN: 0
; COMPUTE_PGM_RSRC2:USER_SGPR: 6
; COMPUTE_PGM_RSRC2:TRAP_HANDLER: 0
; COMPUTE_PGM_RSRC2:TGID_X_EN: 1
; COMPUTE_PGM_RSRC2:TGID_Y_EN: 0
; COMPUTE_PGM_RSRC2:TGID_Z_EN: 0
; COMPUTE_PGM_RSRC2:TIDIG_COMP_CNT: 0
; COMPUTE_PGM_RSRC3_GFX90A:ACCUM_OFFSET: 0
; COMPUTE_PGM_RSRC3_GFX90A:TG_SPLIT: 0
	.section	.text._ZN7rocprim17ROCPRIM_400000_NS6detail17trampoline_kernelINS0_14default_configENS1_20scan_config_selectorIiEEZZNS1_9scan_implILNS1_25lookback_scan_determinismE0ELb1ELb1ES3_N6thrust23THRUST_200600_302600_NS6detail15normal_iteratorINS9_10device_ptrIiEEEESE_iNS9_4plusIiEEiEEDaPvRmT3_T4_T5_mT6_P12ihipStream_tbENKUlT_T0_E_clISt17integral_constantIbLb1EESU_EEDaSP_SQ_EUlSP_E0_NS1_11comp_targetILNS1_3genE0ELNS1_11target_archE4294967295ELNS1_3gpuE0ELNS1_3repE0EEENS1_30default_config_static_selectorELNS0_4arch9wavefront6targetE1EEEvT1_,"axG",@progbits,_ZN7rocprim17ROCPRIM_400000_NS6detail17trampoline_kernelINS0_14default_configENS1_20scan_config_selectorIiEEZZNS1_9scan_implILNS1_25lookback_scan_determinismE0ELb1ELb1ES3_N6thrust23THRUST_200600_302600_NS6detail15normal_iteratorINS9_10device_ptrIiEEEESE_iNS9_4plusIiEEiEEDaPvRmT3_T4_T5_mT6_P12ihipStream_tbENKUlT_T0_E_clISt17integral_constantIbLb1EESU_EEDaSP_SQ_EUlSP_E0_NS1_11comp_targetILNS1_3genE0ELNS1_11target_archE4294967295ELNS1_3gpuE0ELNS1_3repE0EEENS1_30default_config_static_selectorELNS0_4arch9wavefront6targetE1EEEvT1_,comdat
	.protected	_ZN7rocprim17ROCPRIM_400000_NS6detail17trampoline_kernelINS0_14default_configENS1_20scan_config_selectorIiEEZZNS1_9scan_implILNS1_25lookback_scan_determinismE0ELb1ELb1ES3_N6thrust23THRUST_200600_302600_NS6detail15normal_iteratorINS9_10device_ptrIiEEEESE_iNS9_4plusIiEEiEEDaPvRmT3_T4_T5_mT6_P12ihipStream_tbENKUlT_T0_E_clISt17integral_constantIbLb1EESU_EEDaSP_SQ_EUlSP_E0_NS1_11comp_targetILNS1_3genE0ELNS1_11target_archE4294967295ELNS1_3gpuE0ELNS1_3repE0EEENS1_30default_config_static_selectorELNS0_4arch9wavefront6targetE1EEEvT1_ ; -- Begin function _ZN7rocprim17ROCPRIM_400000_NS6detail17trampoline_kernelINS0_14default_configENS1_20scan_config_selectorIiEEZZNS1_9scan_implILNS1_25lookback_scan_determinismE0ELb1ELb1ES3_N6thrust23THRUST_200600_302600_NS6detail15normal_iteratorINS9_10device_ptrIiEEEESE_iNS9_4plusIiEEiEEDaPvRmT3_T4_T5_mT6_P12ihipStream_tbENKUlT_T0_E_clISt17integral_constantIbLb1EESU_EEDaSP_SQ_EUlSP_E0_NS1_11comp_targetILNS1_3genE0ELNS1_11target_archE4294967295ELNS1_3gpuE0ELNS1_3repE0EEENS1_30default_config_static_selectorELNS0_4arch9wavefront6targetE1EEEvT1_
	.globl	_ZN7rocprim17ROCPRIM_400000_NS6detail17trampoline_kernelINS0_14default_configENS1_20scan_config_selectorIiEEZZNS1_9scan_implILNS1_25lookback_scan_determinismE0ELb1ELb1ES3_N6thrust23THRUST_200600_302600_NS6detail15normal_iteratorINS9_10device_ptrIiEEEESE_iNS9_4plusIiEEiEEDaPvRmT3_T4_T5_mT6_P12ihipStream_tbENKUlT_T0_E_clISt17integral_constantIbLb1EESU_EEDaSP_SQ_EUlSP_E0_NS1_11comp_targetILNS1_3genE0ELNS1_11target_archE4294967295ELNS1_3gpuE0ELNS1_3repE0EEENS1_30default_config_static_selectorELNS0_4arch9wavefront6targetE1EEEvT1_
	.p2align	8
	.type	_ZN7rocprim17ROCPRIM_400000_NS6detail17trampoline_kernelINS0_14default_configENS1_20scan_config_selectorIiEEZZNS1_9scan_implILNS1_25lookback_scan_determinismE0ELb1ELb1ES3_N6thrust23THRUST_200600_302600_NS6detail15normal_iteratorINS9_10device_ptrIiEEEESE_iNS9_4plusIiEEiEEDaPvRmT3_T4_T5_mT6_P12ihipStream_tbENKUlT_T0_E_clISt17integral_constantIbLb1EESU_EEDaSP_SQ_EUlSP_E0_NS1_11comp_targetILNS1_3genE0ELNS1_11target_archE4294967295ELNS1_3gpuE0ELNS1_3repE0EEENS1_30default_config_static_selectorELNS0_4arch9wavefront6targetE1EEEvT1_,@function
_ZN7rocprim17ROCPRIM_400000_NS6detail17trampoline_kernelINS0_14default_configENS1_20scan_config_selectorIiEEZZNS1_9scan_implILNS1_25lookback_scan_determinismE0ELb1ELb1ES3_N6thrust23THRUST_200600_302600_NS6detail15normal_iteratorINS9_10device_ptrIiEEEESE_iNS9_4plusIiEEiEEDaPvRmT3_T4_T5_mT6_P12ihipStream_tbENKUlT_T0_E_clISt17integral_constantIbLb1EESU_EEDaSP_SQ_EUlSP_E0_NS1_11comp_targetILNS1_3genE0ELNS1_11target_archE4294967295ELNS1_3gpuE0ELNS1_3repE0EEENS1_30default_config_static_selectorELNS0_4arch9wavefront6targetE1EEEvT1_: ; @_ZN7rocprim17ROCPRIM_400000_NS6detail17trampoline_kernelINS0_14default_configENS1_20scan_config_selectorIiEEZZNS1_9scan_implILNS1_25lookback_scan_determinismE0ELb1ELb1ES3_N6thrust23THRUST_200600_302600_NS6detail15normal_iteratorINS9_10device_ptrIiEEEESE_iNS9_4plusIiEEiEEDaPvRmT3_T4_T5_mT6_P12ihipStream_tbENKUlT_T0_E_clISt17integral_constantIbLb1EESU_EEDaSP_SQ_EUlSP_E0_NS1_11comp_targetILNS1_3genE0ELNS1_11target_archE4294967295ELNS1_3gpuE0ELNS1_3repE0EEENS1_30default_config_static_selectorELNS0_4arch9wavefront6targetE1EEEvT1_
; %bb.0:
	.section	.rodata,"a",@progbits
	.p2align	6, 0x0
	.amdhsa_kernel _ZN7rocprim17ROCPRIM_400000_NS6detail17trampoline_kernelINS0_14default_configENS1_20scan_config_selectorIiEEZZNS1_9scan_implILNS1_25lookback_scan_determinismE0ELb1ELb1ES3_N6thrust23THRUST_200600_302600_NS6detail15normal_iteratorINS9_10device_ptrIiEEEESE_iNS9_4plusIiEEiEEDaPvRmT3_T4_T5_mT6_P12ihipStream_tbENKUlT_T0_E_clISt17integral_constantIbLb1EESU_EEDaSP_SQ_EUlSP_E0_NS1_11comp_targetILNS1_3genE0ELNS1_11target_archE4294967295ELNS1_3gpuE0ELNS1_3repE0EEENS1_30default_config_static_selectorELNS0_4arch9wavefront6targetE1EEEvT1_
		.amdhsa_group_segment_fixed_size 0
		.amdhsa_private_segment_fixed_size 0
		.amdhsa_kernarg_size 32
		.amdhsa_user_sgpr_count 6
		.amdhsa_user_sgpr_private_segment_buffer 1
		.amdhsa_user_sgpr_dispatch_ptr 0
		.amdhsa_user_sgpr_queue_ptr 0
		.amdhsa_user_sgpr_kernarg_segment_ptr 1
		.amdhsa_user_sgpr_dispatch_id 0
		.amdhsa_user_sgpr_flat_scratch_init 0
		.amdhsa_user_sgpr_kernarg_preload_length 0
		.amdhsa_user_sgpr_kernarg_preload_offset 0
		.amdhsa_user_sgpr_private_segment_size 0
		.amdhsa_uses_dynamic_stack 0
		.amdhsa_system_sgpr_private_segment_wavefront_offset 0
		.amdhsa_system_sgpr_workgroup_id_x 1
		.amdhsa_system_sgpr_workgroup_id_y 0
		.amdhsa_system_sgpr_workgroup_id_z 0
		.amdhsa_system_sgpr_workgroup_info 0
		.amdhsa_system_vgpr_workitem_id 0
		.amdhsa_next_free_vgpr 1
		.amdhsa_next_free_sgpr 0
		.amdhsa_accum_offset 4
		.amdhsa_reserve_vcc 0
		.amdhsa_reserve_flat_scratch 0
		.amdhsa_float_round_mode_32 0
		.amdhsa_float_round_mode_16_64 0
		.amdhsa_float_denorm_mode_32 3
		.amdhsa_float_denorm_mode_16_64 3
		.amdhsa_dx10_clamp 1
		.amdhsa_ieee_mode 1
		.amdhsa_fp16_overflow 0
		.amdhsa_tg_split 0
		.amdhsa_exception_fp_ieee_invalid_op 0
		.amdhsa_exception_fp_denorm_src 0
		.amdhsa_exception_fp_ieee_div_zero 0
		.amdhsa_exception_fp_ieee_overflow 0
		.amdhsa_exception_fp_ieee_underflow 0
		.amdhsa_exception_fp_ieee_inexact 0
		.amdhsa_exception_int_div_zero 0
	.end_amdhsa_kernel
	.section	.text._ZN7rocprim17ROCPRIM_400000_NS6detail17trampoline_kernelINS0_14default_configENS1_20scan_config_selectorIiEEZZNS1_9scan_implILNS1_25lookback_scan_determinismE0ELb1ELb1ES3_N6thrust23THRUST_200600_302600_NS6detail15normal_iteratorINS9_10device_ptrIiEEEESE_iNS9_4plusIiEEiEEDaPvRmT3_T4_T5_mT6_P12ihipStream_tbENKUlT_T0_E_clISt17integral_constantIbLb1EESU_EEDaSP_SQ_EUlSP_E0_NS1_11comp_targetILNS1_3genE0ELNS1_11target_archE4294967295ELNS1_3gpuE0ELNS1_3repE0EEENS1_30default_config_static_selectorELNS0_4arch9wavefront6targetE1EEEvT1_,"axG",@progbits,_ZN7rocprim17ROCPRIM_400000_NS6detail17trampoline_kernelINS0_14default_configENS1_20scan_config_selectorIiEEZZNS1_9scan_implILNS1_25lookback_scan_determinismE0ELb1ELb1ES3_N6thrust23THRUST_200600_302600_NS6detail15normal_iteratorINS9_10device_ptrIiEEEESE_iNS9_4plusIiEEiEEDaPvRmT3_T4_T5_mT6_P12ihipStream_tbENKUlT_T0_E_clISt17integral_constantIbLb1EESU_EEDaSP_SQ_EUlSP_E0_NS1_11comp_targetILNS1_3genE0ELNS1_11target_archE4294967295ELNS1_3gpuE0ELNS1_3repE0EEENS1_30default_config_static_selectorELNS0_4arch9wavefront6targetE1EEEvT1_,comdat
.Lfunc_end687:
	.size	_ZN7rocprim17ROCPRIM_400000_NS6detail17trampoline_kernelINS0_14default_configENS1_20scan_config_selectorIiEEZZNS1_9scan_implILNS1_25lookback_scan_determinismE0ELb1ELb1ES3_N6thrust23THRUST_200600_302600_NS6detail15normal_iteratorINS9_10device_ptrIiEEEESE_iNS9_4plusIiEEiEEDaPvRmT3_T4_T5_mT6_P12ihipStream_tbENKUlT_T0_E_clISt17integral_constantIbLb1EESU_EEDaSP_SQ_EUlSP_E0_NS1_11comp_targetILNS1_3genE0ELNS1_11target_archE4294967295ELNS1_3gpuE0ELNS1_3repE0EEENS1_30default_config_static_selectorELNS0_4arch9wavefront6targetE1EEEvT1_, .Lfunc_end687-_ZN7rocprim17ROCPRIM_400000_NS6detail17trampoline_kernelINS0_14default_configENS1_20scan_config_selectorIiEEZZNS1_9scan_implILNS1_25lookback_scan_determinismE0ELb1ELb1ES3_N6thrust23THRUST_200600_302600_NS6detail15normal_iteratorINS9_10device_ptrIiEEEESE_iNS9_4plusIiEEiEEDaPvRmT3_T4_T5_mT6_P12ihipStream_tbENKUlT_T0_E_clISt17integral_constantIbLb1EESU_EEDaSP_SQ_EUlSP_E0_NS1_11comp_targetILNS1_3genE0ELNS1_11target_archE4294967295ELNS1_3gpuE0ELNS1_3repE0EEENS1_30default_config_static_selectorELNS0_4arch9wavefront6targetE1EEEvT1_
                                        ; -- End function
	.section	.AMDGPU.csdata,"",@progbits
; Kernel info:
; codeLenInByte = 0
; NumSgprs: 4
; NumVgprs: 0
; NumAgprs: 0
; TotalNumVgprs: 0
; ScratchSize: 0
; MemoryBound: 0
; FloatMode: 240
; IeeeMode: 1
; LDSByteSize: 0 bytes/workgroup (compile time only)
; SGPRBlocks: 0
; VGPRBlocks: 0
; NumSGPRsForWavesPerEU: 4
; NumVGPRsForWavesPerEU: 1
; AccumOffset: 4
; Occupancy: 8
; WaveLimiterHint : 0
; COMPUTE_PGM_RSRC2:SCRATCH_EN: 0
; COMPUTE_PGM_RSRC2:USER_SGPR: 6
; COMPUTE_PGM_RSRC2:TRAP_HANDLER: 0
; COMPUTE_PGM_RSRC2:TGID_X_EN: 1
; COMPUTE_PGM_RSRC2:TGID_Y_EN: 0
; COMPUTE_PGM_RSRC2:TGID_Z_EN: 0
; COMPUTE_PGM_RSRC2:TIDIG_COMP_CNT: 0
; COMPUTE_PGM_RSRC3_GFX90A:ACCUM_OFFSET: 0
; COMPUTE_PGM_RSRC3_GFX90A:TG_SPLIT: 0
	.section	.text._ZN7rocprim17ROCPRIM_400000_NS6detail17trampoline_kernelINS0_14default_configENS1_20scan_config_selectorIiEEZZNS1_9scan_implILNS1_25lookback_scan_determinismE0ELb1ELb1ES3_N6thrust23THRUST_200600_302600_NS6detail15normal_iteratorINS9_10device_ptrIiEEEESE_iNS9_4plusIiEEiEEDaPvRmT3_T4_T5_mT6_P12ihipStream_tbENKUlT_T0_E_clISt17integral_constantIbLb1EESU_EEDaSP_SQ_EUlSP_E0_NS1_11comp_targetILNS1_3genE5ELNS1_11target_archE942ELNS1_3gpuE9ELNS1_3repE0EEENS1_30default_config_static_selectorELNS0_4arch9wavefront6targetE1EEEvT1_,"axG",@progbits,_ZN7rocprim17ROCPRIM_400000_NS6detail17trampoline_kernelINS0_14default_configENS1_20scan_config_selectorIiEEZZNS1_9scan_implILNS1_25lookback_scan_determinismE0ELb1ELb1ES3_N6thrust23THRUST_200600_302600_NS6detail15normal_iteratorINS9_10device_ptrIiEEEESE_iNS9_4plusIiEEiEEDaPvRmT3_T4_T5_mT6_P12ihipStream_tbENKUlT_T0_E_clISt17integral_constantIbLb1EESU_EEDaSP_SQ_EUlSP_E0_NS1_11comp_targetILNS1_3genE5ELNS1_11target_archE942ELNS1_3gpuE9ELNS1_3repE0EEENS1_30default_config_static_selectorELNS0_4arch9wavefront6targetE1EEEvT1_,comdat
	.protected	_ZN7rocprim17ROCPRIM_400000_NS6detail17trampoline_kernelINS0_14default_configENS1_20scan_config_selectorIiEEZZNS1_9scan_implILNS1_25lookback_scan_determinismE0ELb1ELb1ES3_N6thrust23THRUST_200600_302600_NS6detail15normal_iteratorINS9_10device_ptrIiEEEESE_iNS9_4plusIiEEiEEDaPvRmT3_T4_T5_mT6_P12ihipStream_tbENKUlT_T0_E_clISt17integral_constantIbLb1EESU_EEDaSP_SQ_EUlSP_E0_NS1_11comp_targetILNS1_3genE5ELNS1_11target_archE942ELNS1_3gpuE9ELNS1_3repE0EEENS1_30default_config_static_selectorELNS0_4arch9wavefront6targetE1EEEvT1_ ; -- Begin function _ZN7rocprim17ROCPRIM_400000_NS6detail17trampoline_kernelINS0_14default_configENS1_20scan_config_selectorIiEEZZNS1_9scan_implILNS1_25lookback_scan_determinismE0ELb1ELb1ES3_N6thrust23THRUST_200600_302600_NS6detail15normal_iteratorINS9_10device_ptrIiEEEESE_iNS9_4plusIiEEiEEDaPvRmT3_T4_T5_mT6_P12ihipStream_tbENKUlT_T0_E_clISt17integral_constantIbLb1EESU_EEDaSP_SQ_EUlSP_E0_NS1_11comp_targetILNS1_3genE5ELNS1_11target_archE942ELNS1_3gpuE9ELNS1_3repE0EEENS1_30default_config_static_selectorELNS0_4arch9wavefront6targetE1EEEvT1_
	.globl	_ZN7rocprim17ROCPRIM_400000_NS6detail17trampoline_kernelINS0_14default_configENS1_20scan_config_selectorIiEEZZNS1_9scan_implILNS1_25lookback_scan_determinismE0ELb1ELb1ES3_N6thrust23THRUST_200600_302600_NS6detail15normal_iteratorINS9_10device_ptrIiEEEESE_iNS9_4plusIiEEiEEDaPvRmT3_T4_T5_mT6_P12ihipStream_tbENKUlT_T0_E_clISt17integral_constantIbLb1EESU_EEDaSP_SQ_EUlSP_E0_NS1_11comp_targetILNS1_3genE5ELNS1_11target_archE942ELNS1_3gpuE9ELNS1_3repE0EEENS1_30default_config_static_selectorELNS0_4arch9wavefront6targetE1EEEvT1_
	.p2align	8
	.type	_ZN7rocprim17ROCPRIM_400000_NS6detail17trampoline_kernelINS0_14default_configENS1_20scan_config_selectorIiEEZZNS1_9scan_implILNS1_25lookback_scan_determinismE0ELb1ELb1ES3_N6thrust23THRUST_200600_302600_NS6detail15normal_iteratorINS9_10device_ptrIiEEEESE_iNS9_4plusIiEEiEEDaPvRmT3_T4_T5_mT6_P12ihipStream_tbENKUlT_T0_E_clISt17integral_constantIbLb1EESU_EEDaSP_SQ_EUlSP_E0_NS1_11comp_targetILNS1_3genE5ELNS1_11target_archE942ELNS1_3gpuE9ELNS1_3repE0EEENS1_30default_config_static_selectorELNS0_4arch9wavefront6targetE1EEEvT1_,@function
_ZN7rocprim17ROCPRIM_400000_NS6detail17trampoline_kernelINS0_14default_configENS1_20scan_config_selectorIiEEZZNS1_9scan_implILNS1_25lookback_scan_determinismE0ELb1ELb1ES3_N6thrust23THRUST_200600_302600_NS6detail15normal_iteratorINS9_10device_ptrIiEEEESE_iNS9_4plusIiEEiEEDaPvRmT3_T4_T5_mT6_P12ihipStream_tbENKUlT_T0_E_clISt17integral_constantIbLb1EESU_EEDaSP_SQ_EUlSP_E0_NS1_11comp_targetILNS1_3genE5ELNS1_11target_archE942ELNS1_3gpuE9ELNS1_3repE0EEENS1_30default_config_static_selectorELNS0_4arch9wavefront6targetE1EEEvT1_: ; @_ZN7rocprim17ROCPRIM_400000_NS6detail17trampoline_kernelINS0_14default_configENS1_20scan_config_selectorIiEEZZNS1_9scan_implILNS1_25lookback_scan_determinismE0ELb1ELb1ES3_N6thrust23THRUST_200600_302600_NS6detail15normal_iteratorINS9_10device_ptrIiEEEESE_iNS9_4plusIiEEiEEDaPvRmT3_T4_T5_mT6_P12ihipStream_tbENKUlT_T0_E_clISt17integral_constantIbLb1EESU_EEDaSP_SQ_EUlSP_E0_NS1_11comp_targetILNS1_3genE5ELNS1_11target_archE942ELNS1_3gpuE9ELNS1_3repE0EEENS1_30default_config_static_selectorELNS0_4arch9wavefront6targetE1EEEvT1_
; %bb.0:
	.section	.rodata,"a",@progbits
	.p2align	6, 0x0
	.amdhsa_kernel _ZN7rocprim17ROCPRIM_400000_NS6detail17trampoline_kernelINS0_14default_configENS1_20scan_config_selectorIiEEZZNS1_9scan_implILNS1_25lookback_scan_determinismE0ELb1ELb1ES3_N6thrust23THRUST_200600_302600_NS6detail15normal_iteratorINS9_10device_ptrIiEEEESE_iNS9_4plusIiEEiEEDaPvRmT3_T4_T5_mT6_P12ihipStream_tbENKUlT_T0_E_clISt17integral_constantIbLb1EESU_EEDaSP_SQ_EUlSP_E0_NS1_11comp_targetILNS1_3genE5ELNS1_11target_archE942ELNS1_3gpuE9ELNS1_3repE0EEENS1_30default_config_static_selectorELNS0_4arch9wavefront6targetE1EEEvT1_
		.amdhsa_group_segment_fixed_size 0
		.amdhsa_private_segment_fixed_size 0
		.amdhsa_kernarg_size 32
		.amdhsa_user_sgpr_count 6
		.amdhsa_user_sgpr_private_segment_buffer 1
		.amdhsa_user_sgpr_dispatch_ptr 0
		.amdhsa_user_sgpr_queue_ptr 0
		.amdhsa_user_sgpr_kernarg_segment_ptr 1
		.amdhsa_user_sgpr_dispatch_id 0
		.amdhsa_user_sgpr_flat_scratch_init 0
		.amdhsa_user_sgpr_kernarg_preload_length 0
		.amdhsa_user_sgpr_kernarg_preload_offset 0
		.amdhsa_user_sgpr_private_segment_size 0
		.amdhsa_uses_dynamic_stack 0
		.amdhsa_system_sgpr_private_segment_wavefront_offset 0
		.amdhsa_system_sgpr_workgroup_id_x 1
		.amdhsa_system_sgpr_workgroup_id_y 0
		.amdhsa_system_sgpr_workgroup_id_z 0
		.amdhsa_system_sgpr_workgroup_info 0
		.amdhsa_system_vgpr_workitem_id 0
		.amdhsa_next_free_vgpr 1
		.amdhsa_next_free_sgpr 0
		.amdhsa_accum_offset 4
		.amdhsa_reserve_vcc 0
		.amdhsa_reserve_flat_scratch 0
		.amdhsa_float_round_mode_32 0
		.amdhsa_float_round_mode_16_64 0
		.amdhsa_float_denorm_mode_32 3
		.amdhsa_float_denorm_mode_16_64 3
		.amdhsa_dx10_clamp 1
		.amdhsa_ieee_mode 1
		.amdhsa_fp16_overflow 0
		.amdhsa_tg_split 0
		.amdhsa_exception_fp_ieee_invalid_op 0
		.amdhsa_exception_fp_denorm_src 0
		.amdhsa_exception_fp_ieee_div_zero 0
		.amdhsa_exception_fp_ieee_overflow 0
		.amdhsa_exception_fp_ieee_underflow 0
		.amdhsa_exception_fp_ieee_inexact 0
		.amdhsa_exception_int_div_zero 0
	.end_amdhsa_kernel
	.section	.text._ZN7rocprim17ROCPRIM_400000_NS6detail17trampoline_kernelINS0_14default_configENS1_20scan_config_selectorIiEEZZNS1_9scan_implILNS1_25lookback_scan_determinismE0ELb1ELb1ES3_N6thrust23THRUST_200600_302600_NS6detail15normal_iteratorINS9_10device_ptrIiEEEESE_iNS9_4plusIiEEiEEDaPvRmT3_T4_T5_mT6_P12ihipStream_tbENKUlT_T0_E_clISt17integral_constantIbLb1EESU_EEDaSP_SQ_EUlSP_E0_NS1_11comp_targetILNS1_3genE5ELNS1_11target_archE942ELNS1_3gpuE9ELNS1_3repE0EEENS1_30default_config_static_selectorELNS0_4arch9wavefront6targetE1EEEvT1_,"axG",@progbits,_ZN7rocprim17ROCPRIM_400000_NS6detail17trampoline_kernelINS0_14default_configENS1_20scan_config_selectorIiEEZZNS1_9scan_implILNS1_25lookback_scan_determinismE0ELb1ELb1ES3_N6thrust23THRUST_200600_302600_NS6detail15normal_iteratorINS9_10device_ptrIiEEEESE_iNS9_4plusIiEEiEEDaPvRmT3_T4_T5_mT6_P12ihipStream_tbENKUlT_T0_E_clISt17integral_constantIbLb1EESU_EEDaSP_SQ_EUlSP_E0_NS1_11comp_targetILNS1_3genE5ELNS1_11target_archE942ELNS1_3gpuE9ELNS1_3repE0EEENS1_30default_config_static_selectorELNS0_4arch9wavefront6targetE1EEEvT1_,comdat
.Lfunc_end688:
	.size	_ZN7rocprim17ROCPRIM_400000_NS6detail17trampoline_kernelINS0_14default_configENS1_20scan_config_selectorIiEEZZNS1_9scan_implILNS1_25lookback_scan_determinismE0ELb1ELb1ES3_N6thrust23THRUST_200600_302600_NS6detail15normal_iteratorINS9_10device_ptrIiEEEESE_iNS9_4plusIiEEiEEDaPvRmT3_T4_T5_mT6_P12ihipStream_tbENKUlT_T0_E_clISt17integral_constantIbLb1EESU_EEDaSP_SQ_EUlSP_E0_NS1_11comp_targetILNS1_3genE5ELNS1_11target_archE942ELNS1_3gpuE9ELNS1_3repE0EEENS1_30default_config_static_selectorELNS0_4arch9wavefront6targetE1EEEvT1_, .Lfunc_end688-_ZN7rocprim17ROCPRIM_400000_NS6detail17trampoline_kernelINS0_14default_configENS1_20scan_config_selectorIiEEZZNS1_9scan_implILNS1_25lookback_scan_determinismE0ELb1ELb1ES3_N6thrust23THRUST_200600_302600_NS6detail15normal_iteratorINS9_10device_ptrIiEEEESE_iNS9_4plusIiEEiEEDaPvRmT3_T4_T5_mT6_P12ihipStream_tbENKUlT_T0_E_clISt17integral_constantIbLb1EESU_EEDaSP_SQ_EUlSP_E0_NS1_11comp_targetILNS1_3genE5ELNS1_11target_archE942ELNS1_3gpuE9ELNS1_3repE0EEENS1_30default_config_static_selectorELNS0_4arch9wavefront6targetE1EEEvT1_
                                        ; -- End function
	.section	.AMDGPU.csdata,"",@progbits
; Kernel info:
; codeLenInByte = 0
; NumSgprs: 4
; NumVgprs: 0
; NumAgprs: 0
; TotalNumVgprs: 0
; ScratchSize: 0
; MemoryBound: 0
; FloatMode: 240
; IeeeMode: 1
; LDSByteSize: 0 bytes/workgroup (compile time only)
; SGPRBlocks: 0
; VGPRBlocks: 0
; NumSGPRsForWavesPerEU: 4
; NumVGPRsForWavesPerEU: 1
; AccumOffset: 4
; Occupancy: 8
; WaveLimiterHint : 0
; COMPUTE_PGM_RSRC2:SCRATCH_EN: 0
; COMPUTE_PGM_RSRC2:USER_SGPR: 6
; COMPUTE_PGM_RSRC2:TRAP_HANDLER: 0
; COMPUTE_PGM_RSRC2:TGID_X_EN: 1
; COMPUTE_PGM_RSRC2:TGID_Y_EN: 0
; COMPUTE_PGM_RSRC2:TGID_Z_EN: 0
; COMPUTE_PGM_RSRC2:TIDIG_COMP_CNT: 0
; COMPUTE_PGM_RSRC3_GFX90A:ACCUM_OFFSET: 0
; COMPUTE_PGM_RSRC3_GFX90A:TG_SPLIT: 0
	.section	.text._ZN7rocprim17ROCPRIM_400000_NS6detail17trampoline_kernelINS0_14default_configENS1_20scan_config_selectorIiEEZZNS1_9scan_implILNS1_25lookback_scan_determinismE0ELb1ELb1ES3_N6thrust23THRUST_200600_302600_NS6detail15normal_iteratorINS9_10device_ptrIiEEEESE_iNS9_4plusIiEEiEEDaPvRmT3_T4_T5_mT6_P12ihipStream_tbENKUlT_T0_E_clISt17integral_constantIbLb1EESU_EEDaSP_SQ_EUlSP_E0_NS1_11comp_targetILNS1_3genE4ELNS1_11target_archE910ELNS1_3gpuE8ELNS1_3repE0EEENS1_30default_config_static_selectorELNS0_4arch9wavefront6targetE1EEEvT1_,"axG",@progbits,_ZN7rocprim17ROCPRIM_400000_NS6detail17trampoline_kernelINS0_14default_configENS1_20scan_config_selectorIiEEZZNS1_9scan_implILNS1_25lookback_scan_determinismE0ELb1ELb1ES3_N6thrust23THRUST_200600_302600_NS6detail15normal_iteratorINS9_10device_ptrIiEEEESE_iNS9_4plusIiEEiEEDaPvRmT3_T4_T5_mT6_P12ihipStream_tbENKUlT_T0_E_clISt17integral_constantIbLb1EESU_EEDaSP_SQ_EUlSP_E0_NS1_11comp_targetILNS1_3genE4ELNS1_11target_archE910ELNS1_3gpuE8ELNS1_3repE0EEENS1_30default_config_static_selectorELNS0_4arch9wavefront6targetE1EEEvT1_,comdat
	.protected	_ZN7rocprim17ROCPRIM_400000_NS6detail17trampoline_kernelINS0_14default_configENS1_20scan_config_selectorIiEEZZNS1_9scan_implILNS1_25lookback_scan_determinismE0ELb1ELb1ES3_N6thrust23THRUST_200600_302600_NS6detail15normal_iteratorINS9_10device_ptrIiEEEESE_iNS9_4plusIiEEiEEDaPvRmT3_T4_T5_mT6_P12ihipStream_tbENKUlT_T0_E_clISt17integral_constantIbLb1EESU_EEDaSP_SQ_EUlSP_E0_NS1_11comp_targetILNS1_3genE4ELNS1_11target_archE910ELNS1_3gpuE8ELNS1_3repE0EEENS1_30default_config_static_selectorELNS0_4arch9wavefront6targetE1EEEvT1_ ; -- Begin function _ZN7rocprim17ROCPRIM_400000_NS6detail17trampoline_kernelINS0_14default_configENS1_20scan_config_selectorIiEEZZNS1_9scan_implILNS1_25lookback_scan_determinismE0ELb1ELb1ES3_N6thrust23THRUST_200600_302600_NS6detail15normal_iteratorINS9_10device_ptrIiEEEESE_iNS9_4plusIiEEiEEDaPvRmT3_T4_T5_mT6_P12ihipStream_tbENKUlT_T0_E_clISt17integral_constantIbLb1EESU_EEDaSP_SQ_EUlSP_E0_NS1_11comp_targetILNS1_3genE4ELNS1_11target_archE910ELNS1_3gpuE8ELNS1_3repE0EEENS1_30default_config_static_selectorELNS0_4arch9wavefront6targetE1EEEvT1_
	.globl	_ZN7rocprim17ROCPRIM_400000_NS6detail17trampoline_kernelINS0_14default_configENS1_20scan_config_selectorIiEEZZNS1_9scan_implILNS1_25lookback_scan_determinismE0ELb1ELb1ES3_N6thrust23THRUST_200600_302600_NS6detail15normal_iteratorINS9_10device_ptrIiEEEESE_iNS9_4plusIiEEiEEDaPvRmT3_T4_T5_mT6_P12ihipStream_tbENKUlT_T0_E_clISt17integral_constantIbLb1EESU_EEDaSP_SQ_EUlSP_E0_NS1_11comp_targetILNS1_3genE4ELNS1_11target_archE910ELNS1_3gpuE8ELNS1_3repE0EEENS1_30default_config_static_selectorELNS0_4arch9wavefront6targetE1EEEvT1_
	.p2align	8
	.type	_ZN7rocprim17ROCPRIM_400000_NS6detail17trampoline_kernelINS0_14default_configENS1_20scan_config_selectorIiEEZZNS1_9scan_implILNS1_25lookback_scan_determinismE0ELb1ELb1ES3_N6thrust23THRUST_200600_302600_NS6detail15normal_iteratorINS9_10device_ptrIiEEEESE_iNS9_4plusIiEEiEEDaPvRmT3_T4_T5_mT6_P12ihipStream_tbENKUlT_T0_E_clISt17integral_constantIbLb1EESU_EEDaSP_SQ_EUlSP_E0_NS1_11comp_targetILNS1_3genE4ELNS1_11target_archE910ELNS1_3gpuE8ELNS1_3repE0EEENS1_30default_config_static_selectorELNS0_4arch9wavefront6targetE1EEEvT1_,@function
_ZN7rocprim17ROCPRIM_400000_NS6detail17trampoline_kernelINS0_14default_configENS1_20scan_config_selectorIiEEZZNS1_9scan_implILNS1_25lookback_scan_determinismE0ELb1ELb1ES3_N6thrust23THRUST_200600_302600_NS6detail15normal_iteratorINS9_10device_ptrIiEEEESE_iNS9_4plusIiEEiEEDaPvRmT3_T4_T5_mT6_P12ihipStream_tbENKUlT_T0_E_clISt17integral_constantIbLb1EESU_EEDaSP_SQ_EUlSP_E0_NS1_11comp_targetILNS1_3genE4ELNS1_11target_archE910ELNS1_3gpuE8ELNS1_3repE0EEENS1_30default_config_static_selectorELNS0_4arch9wavefront6targetE1EEEvT1_: ; @_ZN7rocprim17ROCPRIM_400000_NS6detail17trampoline_kernelINS0_14default_configENS1_20scan_config_selectorIiEEZZNS1_9scan_implILNS1_25lookback_scan_determinismE0ELb1ELb1ES3_N6thrust23THRUST_200600_302600_NS6detail15normal_iteratorINS9_10device_ptrIiEEEESE_iNS9_4plusIiEEiEEDaPvRmT3_T4_T5_mT6_P12ihipStream_tbENKUlT_T0_E_clISt17integral_constantIbLb1EESU_EEDaSP_SQ_EUlSP_E0_NS1_11comp_targetILNS1_3genE4ELNS1_11target_archE910ELNS1_3gpuE8ELNS1_3repE0EEENS1_30default_config_static_selectorELNS0_4arch9wavefront6targetE1EEEvT1_
; %bb.0:
	s_load_dwordx4 s[20:23], s[4:5], 0x0
	v_lshlrev_b32_e32 v14, 2, v0
	s_waitcnt lgkmcnt(0)
	s_load_dword s23, s[20:21], 0x0
	v_cmp_gt_u32_e32 vcc, s22, v0
	s_waitcnt lgkmcnt(0)
	v_mov_b32_e32 v1, s23
	s_and_saveexec_b64 s[0:1], vcc
	s_cbranch_execz .LBB689_2
; %bb.1:
	global_load_dword v1, v14, s[20:21]
.LBB689_2:
	s_or_b64 exec, exec, s[0:1]
	v_or_b32_e32 v2, 0x80, v0
	v_cmp_gt_u32_e64 s[0:1], s22, v2
	v_mov_b32_e32 v2, s23
	s_and_saveexec_b64 s[2:3], s[0:1]
	s_cbranch_execz .LBB689_4
; %bb.3:
	global_load_dword v2, v14, s[20:21] offset:512
.LBB689_4:
	s_or_b64 exec, exec, s[2:3]
	v_or_b32_e32 v3, 0x100, v0
	v_cmp_gt_u32_e64 s[2:3], s22, v3
	v_mov_b32_e32 v3, s23
	s_and_saveexec_b64 s[6:7], s[2:3]
	s_cbranch_execz .LBB689_6
; %bb.5:
	global_load_dword v3, v14, s[20:21] offset:1024
.LBB689_6:
	s_or_b64 exec, exec, s[6:7]
	v_or_b32_e32 v4, 0x180, v0
	v_cmp_gt_u32_e64 s[18:19], s22, v4
	v_mov_b32_e32 v4, s23
	s_and_saveexec_b64 s[6:7], s[18:19]
	s_cbranch_execz .LBB689_8
; %bb.7:
	global_load_dword v4, v14, s[20:21] offset:1536
.LBB689_8:
	s_or_b64 exec, exec, s[6:7]
	v_or_b32_e32 v5, 0x200, v0
	v_cmp_gt_u32_e64 s[6:7], s22, v5
	v_mov_b32_e32 v5, s23
	s_and_saveexec_b64 s[8:9], s[6:7]
	s_cbranch_execz .LBB689_10
; %bb.9:
	global_load_dword v5, v14, s[20:21] offset:2048
.LBB689_10:
	s_or_b64 exec, exec, s[8:9]
	v_or_b32_e32 v6, 0x280, v0
	v_cmp_gt_u32_e64 s[8:9], s22, v6
	v_mov_b32_e32 v6, s23
	s_and_saveexec_b64 s[10:11], s[8:9]
	s_cbranch_execz .LBB689_12
; %bb.11:
	global_load_dword v6, v14, s[20:21] offset:2560
.LBB689_12:
	s_or_b64 exec, exec, s[10:11]
	v_or_b32_e32 v7, 0x300, v0
	v_cmp_gt_u32_e64 s[10:11], s22, v7
	v_mov_b32_e32 v7, s23
	s_and_saveexec_b64 s[12:13], s[10:11]
	s_cbranch_execz .LBB689_14
; %bb.13:
	global_load_dword v7, v14, s[20:21] offset:3072
.LBB689_14:
	s_or_b64 exec, exec, s[12:13]
	v_or_b32_e32 v8, 0x380, v0
	v_cmp_gt_u32_e64 s[12:13], s22, v8
	v_mov_b32_e32 v8, s23
	s_and_saveexec_b64 s[14:15], s[12:13]
	s_cbranch_execz .LBB689_16
; %bb.15:
	global_load_dword v8, v14, s[20:21] offset:3584
.LBB689_16:
	s_or_b64 exec, exec, s[14:15]
	v_or_b32_e32 v10, 0x400, v0
	v_cmp_gt_u32_e64 s[14:15], s22, v10
	v_mov_b32_e32 v9, s23
	s_and_saveexec_b64 s[16:17], s[14:15]
	s_cbranch_execz .LBB689_18
; %bb.17:
	v_lshlrev_b32_e32 v9, 2, v10
	global_load_dword v9, v9, s[20:21]
.LBB689_18:
	s_or_b64 exec, exec, s[16:17]
	s_load_dword s24, s[4:5], 0x10
	v_or_b32_e32 v11, 0x480, v0
	v_cmp_gt_u32_e64 s[16:17], s22, v11
	v_mov_b32_e32 v10, s23
	s_and_saveexec_b64 s[22:23], s[16:17]
	s_cbranch_execz .LBB689_20
; %bb.19:
	v_lshlrev_b32_e32 v10, 2, v11
	global_load_dword v10, v10, s[20:21]
.LBB689_20:
	s_or_b64 exec, exec, s[22:23]
	s_waitcnt vmcnt(0)
	ds_write2st64_b32 v14, v1, v2 offset1:2
	ds_write2st64_b32 v14, v3, v4 offset0:4 offset1:6
	ds_write2st64_b32 v14, v5, v6 offset0:8 offset1:10
	ds_write2st64_b32 v14, v7, v8 offset0:12 offset1:14
	ds_write2st64_b32 v14, v9, v10 offset0:16 offset1:18
	v_mad_u32_u24 v1, v0, 36, v14
	s_waitcnt lgkmcnt(0)
	s_barrier
	ds_read2_b64 v[6:9], v1 offset1:1
	ds_read2_b64 v[2:5], v1 offset0:2 offset1:3
	ds_read_b64 v[10:11], v1 offset:32
	s_load_dwordx2 s[20:21], s[4:5], 0x18
	v_cmp_gt_u32_e64 s[4:5], 64, v0
	s_waitcnt lgkmcnt(0)
	v_add_u32_e32 v1, v7, v6
	v_add3_u32 v1, v1, v8, v9
	v_add3_u32 v1, v1, v2, v3
	;; [unrolled: 1-line block ×4, first 2 shown]
	v_lshrrev_b32_e32 v11, 3, v0
	v_and_b32_e32 v11, 12, v11
	v_add_u32_e32 v11, v14, v11
	s_barrier
	ds_write_b32 v11, v1
	s_waitcnt lgkmcnt(0)
	s_barrier
	s_and_saveexec_b64 s[22:23], s[4:5]
	s_cbranch_execz .LBB689_22
; %bb.21:
	v_lshlrev_b32_e32 v11, 1, v0
	v_lshrrev_b32_e32 v12, 4, v0
	v_add_lshl_u32 v11, v12, v11, 2
	ds_read2_b32 v[12:13], v11 offset1:1
	v_mbcnt_lo_u32_b32 v15, -1, 0
	v_mbcnt_hi_u32_b32 v15, -1, v15
	v_and_b32_e32 v16, 15, v15
	v_cmp_ne_u32_e64 s[4:5], 0, v16
	s_waitcnt lgkmcnt(0)
	v_add_u32_e32 v13, v13, v12
	; wave barrier
	s_nop 1
	v_mov_b32_dpp v17, v13 row_shr:1 row_mask:0xf bank_mask:0xf
	v_cndmask_b32_e64 v17, 0, v17, s[4:5]
	v_add_u32_e32 v13, v17, v13
	v_cmp_lt_u32_e64 s[4:5], 1, v16
	s_nop 0
	v_mov_b32_dpp v17, v13 row_shr:2 row_mask:0xf bank_mask:0xf
	v_cndmask_b32_e64 v17, 0, v17, s[4:5]
	v_add_u32_e32 v13, v13, v17
	v_cmp_lt_u32_e64 s[4:5], 3, v16
	;; [unrolled: 5-line block ×3, first 2 shown]
	s_nop 0
	v_mov_b32_dpp v17, v13 row_shr:8 row_mask:0xf bank_mask:0xf
	v_cndmask_b32_e64 v16, 0, v17, s[4:5]
	v_add_u32_e32 v13, v13, v16
	v_bfe_i32 v17, v15, 4, 1
	v_cmp_lt_u32_e64 s[4:5], 31, v15
	v_mov_b32_dpp v16, v13 row_bcast:15 row_mask:0xf bank_mask:0xf
	v_and_b32_e32 v16, v17, v16
	v_add_u32_e32 v13, v13, v16
	v_and_b32_e32 v17, 64, v15
	s_nop 0
	v_mov_b32_dpp v16, v13 row_bcast:31 row_mask:0xf bank_mask:0xf
	v_cndmask_b32_e64 v16, 0, v16, s[4:5]
	v_add_u32_e32 v13, v13, v16
	v_add_u32_e32 v16, -1, v15
	v_cmp_lt_i32_e64 s[4:5], v16, v17
	v_cndmask_b32_e64 v15, v16, v15, s[4:5]
	v_lshlrev_b32_e32 v15, 2, v15
	ds_bpermute_b32 v13, v15, v13
	v_cmp_eq_u32_e64 s[4:5], 0, v0
	s_waitcnt lgkmcnt(0)
	v_add_u32_e32 v12, v13, v12
	v_cndmask_b32_e64 v1, v12, v1, s[4:5]
	ds_write_b32 v11, v1
	; wave barrier
	ds_read_b32 v12, v11 offset:4
	s_waitcnt lgkmcnt(0)
	v_add_u32_e32 v1, v12, v1
	ds_write_b32 v11, v1 offset:4
.LBB689_22:
	s_or_b64 exec, exec, s[22:23]
	v_mul_u32_u24_e32 v1, 36, v0
	v_cmp_ne_u32_e64 s[4:5], 0, v0
	v_mov_b32_e32 v12, s24
	s_waitcnt lgkmcnt(0)
	s_barrier
	s_and_saveexec_b64 s[22:23], s[4:5]
	s_cbranch_execz .LBB689_24
; %bb.23:
	v_add_u32_e32 v0, -1, v0
	v_lshrrev_b32_e32 v11, 5, v0
	v_add_lshl_u32 v0, v11, v0, 2
	ds_read_b32 v0, v0
	s_waitcnt lgkmcnt(0)
	v_add_u32_e32 v12, s24, v0
.LBB689_24:
	s_or_b64 exec, exec, s[22:23]
	v_add_u32_e32 v13, v12, v6
	v_add_u32_e32 v6, v13, v7
	;; [unrolled: 1-line block ×10, first 2 shown]
	s_barrier
	ds_write2_b64 v0, v[12:13], v[6:7] offset1:1
	ds_write2_b64 v0, v[8:9], v[2:3] offset0:2 offset1:3
	ds_write_b64 v0, v[4:5] offset:32
	s_waitcnt lgkmcnt(0)
	s_barrier
	ds_read2st64_b32 v[8:9], v14 offset0:2 offset1:4
	ds_read2st64_b32 v[6:7], v14 offset0:6 offset1:8
	;; [unrolled: 1-line block ×4, first 2 shown]
	ds_read_b32 v10, v14 offset:4608
	v_mov_b32_e32 v1, s21
	v_add_co_u32_e64 v0, s[4:5], s20, v14
	v_addc_co_u32_e64 v1, s[4:5], 0, v1, s[4:5]
	s_and_saveexec_b64 s[4:5], vcc
	s_cbranch_execnz .LBB689_35
; %bb.25:
	s_or_b64 exec, exec, s[4:5]
	s_and_saveexec_b64 s[4:5], s[0:1]
	s_cbranch_execnz .LBB689_36
.LBB689_26:
	s_or_b64 exec, exec, s[4:5]
	s_and_saveexec_b64 s[0:1], s[2:3]
	s_cbranch_execnz .LBB689_37
.LBB689_27:
	s_or_b64 exec, exec, s[0:1]
	s_and_saveexec_b64 s[0:1], s[18:19]
	s_cbranch_execnz .LBB689_38
.LBB689_28:
	s_or_b64 exec, exec, s[0:1]
	s_and_saveexec_b64 s[0:1], s[6:7]
	s_cbranch_execnz .LBB689_39
.LBB689_29:
	s_or_b64 exec, exec, s[0:1]
	s_and_saveexec_b64 s[0:1], s[8:9]
	s_cbranch_execnz .LBB689_40
.LBB689_30:
	s_or_b64 exec, exec, s[0:1]
	s_and_saveexec_b64 s[0:1], s[10:11]
	s_cbranch_execnz .LBB689_41
.LBB689_31:
	s_or_b64 exec, exec, s[0:1]
	s_and_saveexec_b64 s[0:1], s[12:13]
	s_cbranch_execnz .LBB689_42
.LBB689_32:
	s_or_b64 exec, exec, s[0:1]
	s_and_saveexec_b64 s[0:1], s[14:15]
	s_cbranch_execnz .LBB689_43
.LBB689_33:
	s_or_b64 exec, exec, s[0:1]
	s_and_saveexec_b64 s[0:1], s[16:17]
	s_cbranch_execnz .LBB689_44
.LBB689_34:
	s_endpgm
.LBB689_35:
	ds_read_b32 v11, v14
	s_waitcnt lgkmcnt(0)
	global_store_dword v[0:1], v11, off
	s_or_b64 exec, exec, s[4:5]
	s_and_saveexec_b64 s[4:5], s[0:1]
	s_cbranch_execz .LBB689_26
.LBB689_36:
	s_waitcnt lgkmcnt(4)
	global_store_dword v[0:1], v8, off offset:512
	s_or_b64 exec, exec, s[4:5]
	s_and_saveexec_b64 s[0:1], s[2:3]
	s_cbranch_execz .LBB689_27
.LBB689_37:
	s_waitcnt lgkmcnt(4)
	global_store_dword v[0:1], v9, off offset:1024
	s_or_b64 exec, exec, s[0:1]
	s_and_saveexec_b64 s[0:1], s[18:19]
	s_cbranch_execz .LBB689_28
.LBB689_38:
	s_waitcnt lgkmcnt(3)
	global_store_dword v[0:1], v6, off offset:1536
	s_or_b64 exec, exec, s[0:1]
	s_and_saveexec_b64 s[0:1], s[6:7]
	s_cbranch_execz .LBB689_29
.LBB689_39:
	s_waitcnt lgkmcnt(3)
	global_store_dword v[0:1], v7, off offset:2048
	s_or_b64 exec, exec, s[0:1]
	s_and_saveexec_b64 s[0:1], s[8:9]
	s_cbranch_execz .LBB689_30
.LBB689_40:
	s_waitcnt lgkmcnt(2)
	global_store_dword v[0:1], v4, off offset:2560
	s_or_b64 exec, exec, s[0:1]
	s_and_saveexec_b64 s[0:1], s[10:11]
	s_cbranch_execz .LBB689_31
.LBB689_41:
	s_waitcnt lgkmcnt(2)
	global_store_dword v[0:1], v5, off offset:3072
	s_or_b64 exec, exec, s[0:1]
	s_and_saveexec_b64 s[0:1], s[12:13]
	s_cbranch_execz .LBB689_32
.LBB689_42:
	s_waitcnt lgkmcnt(1)
	global_store_dword v[0:1], v2, off offset:3584
	s_or_b64 exec, exec, s[0:1]
	s_and_saveexec_b64 s[0:1], s[14:15]
	s_cbranch_execz .LBB689_33
.LBB689_43:
	s_waitcnt lgkmcnt(2)
	v_add_co_u32_e32 v4, vcc, 0x1000, v0
	v_addc_co_u32_e32 v5, vcc, 0, v1, vcc
	s_waitcnt lgkmcnt(1)
	global_store_dword v[4:5], v3, off
	s_or_b64 exec, exec, s[0:1]
	s_and_saveexec_b64 s[0:1], s[16:17]
	s_cbranch_execz .LBB689_34
.LBB689_44:
	v_add_co_u32_e32 v0, vcc, 0x1000, v0
	v_addc_co_u32_e32 v1, vcc, 0, v1, vcc
	s_waitcnt lgkmcnt(0)
	global_store_dword v[0:1], v10, off offset:512
	s_endpgm
	.section	.rodata,"a",@progbits
	.p2align	6, 0x0
	.amdhsa_kernel _ZN7rocprim17ROCPRIM_400000_NS6detail17trampoline_kernelINS0_14default_configENS1_20scan_config_selectorIiEEZZNS1_9scan_implILNS1_25lookback_scan_determinismE0ELb1ELb1ES3_N6thrust23THRUST_200600_302600_NS6detail15normal_iteratorINS9_10device_ptrIiEEEESE_iNS9_4plusIiEEiEEDaPvRmT3_T4_T5_mT6_P12ihipStream_tbENKUlT_T0_E_clISt17integral_constantIbLb1EESU_EEDaSP_SQ_EUlSP_E0_NS1_11comp_targetILNS1_3genE4ELNS1_11target_archE910ELNS1_3gpuE8ELNS1_3repE0EEENS1_30default_config_static_selectorELNS0_4arch9wavefront6targetE1EEEvT1_
		.amdhsa_group_segment_fixed_size 5120
		.amdhsa_private_segment_fixed_size 0
		.amdhsa_kernarg_size 32
		.amdhsa_user_sgpr_count 6
		.amdhsa_user_sgpr_private_segment_buffer 1
		.amdhsa_user_sgpr_dispatch_ptr 0
		.amdhsa_user_sgpr_queue_ptr 0
		.amdhsa_user_sgpr_kernarg_segment_ptr 1
		.amdhsa_user_sgpr_dispatch_id 0
		.amdhsa_user_sgpr_flat_scratch_init 0
		.amdhsa_user_sgpr_kernarg_preload_length 0
		.amdhsa_user_sgpr_kernarg_preload_offset 0
		.amdhsa_user_sgpr_private_segment_size 0
		.amdhsa_uses_dynamic_stack 0
		.amdhsa_system_sgpr_private_segment_wavefront_offset 0
		.amdhsa_system_sgpr_workgroup_id_x 1
		.amdhsa_system_sgpr_workgroup_id_y 0
		.amdhsa_system_sgpr_workgroup_id_z 0
		.amdhsa_system_sgpr_workgroup_info 0
		.amdhsa_system_vgpr_workitem_id 0
		.amdhsa_next_free_vgpr 18
		.amdhsa_next_free_sgpr 25
		.amdhsa_accum_offset 20
		.amdhsa_reserve_vcc 1
		.amdhsa_reserve_flat_scratch 0
		.amdhsa_float_round_mode_32 0
		.amdhsa_float_round_mode_16_64 0
		.amdhsa_float_denorm_mode_32 3
		.amdhsa_float_denorm_mode_16_64 3
		.amdhsa_dx10_clamp 1
		.amdhsa_ieee_mode 1
		.amdhsa_fp16_overflow 0
		.amdhsa_tg_split 0
		.amdhsa_exception_fp_ieee_invalid_op 0
		.amdhsa_exception_fp_denorm_src 0
		.amdhsa_exception_fp_ieee_div_zero 0
		.amdhsa_exception_fp_ieee_overflow 0
		.amdhsa_exception_fp_ieee_underflow 0
		.amdhsa_exception_fp_ieee_inexact 0
		.amdhsa_exception_int_div_zero 0
	.end_amdhsa_kernel
	.section	.text._ZN7rocprim17ROCPRIM_400000_NS6detail17trampoline_kernelINS0_14default_configENS1_20scan_config_selectorIiEEZZNS1_9scan_implILNS1_25lookback_scan_determinismE0ELb1ELb1ES3_N6thrust23THRUST_200600_302600_NS6detail15normal_iteratorINS9_10device_ptrIiEEEESE_iNS9_4plusIiEEiEEDaPvRmT3_T4_T5_mT6_P12ihipStream_tbENKUlT_T0_E_clISt17integral_constantIbLb1EESU_EEDaSP_SQ_EUlSP_E0_NS1_11comp_targetILNS1_3genE4ELNS1_11target_archE910ELNS1_3gpuE8ELNS1_3repE0EEENS1_30default_config_static_selectorELNS0_4arch9wavefront6targetE1EEEvT1_,"axG",@progbits,_ZN7rocprim17ROCPRIM_400000_NS6detail17trampoline_kernelINS0_14default_configENS1_20scan_config_selectorIiEEZZNS1_9scan_implILNS1_25lookback_scan_determinismE0ELb1ELb1ES3_N6thrust23THRUST_200600_302600_NS6detail15normal_iteratorINS9_10device_ptrIiEEEESE_iNS9_4plusIiEEiEEDaPvRmT3_T4_T5_mT6_P12ihipStream_tbENKUlT_T0_E_clISt17integral_constantIbLb1EESU_EEDaSP_SQ_EUlSP_E0_NS1_11comp_targetILNS1_3genE4ELNS1_11target_archE910ELNS1_3gpuE8ELNS1_3repE0EEENS1_30default_config_static_selectorELNS0_4arch9wavefront6targetE1EEEvT1_,comdat
.Lfunc_end689:
	.size	_ZN7rocprim17ROCPRIM_400000_NS6detail17trampoline_kernelINS0_14default_configENS1_20scan_config_selectorIiEEZZNS1_9scan_implILNS1_25lookback_scan_determinismE0ELb1ELb1ES3_N6thrust23THRUST_200600_302600_NS6detail15normal_iteratorINS9_10device_ptrIiEEEESE_iNS9_4plusIiEEiEEDaPvRmT3_T4_T5_mT6_P12ihipStream_tbENKUlT_T0_E_clISt17integral_constantIbLb1EESU_EEDaSP_SQ_EUlSP_E0_NS1_11comp_targetILNS1_3genE4ELNS1_11target_archE910ELNS1_3gpuE8ELNS1_3repE0EEENS1_30default_config_static_selectorELNS0_4arch9wavefront6targetE1EEEvT1_, .Lfunc_end689-_ZN7rocprim17ROCPRIM_400000_NS6detail17trampoline_kernelINS0_14default_configENS1_20scan_config_selectorIiEEZZNS1_9scan_implILNS1_25lookback_scan_determinismE0ELb1ELb1ES3_N6thrust23THRUST_200600_302600_NS6detail15normal_iteratorINS9_10device_ptrIiEEEESE_iNS9_4plusIiEEiEEDaPvRmT3_T4_T5_mT6_P12ihipStream_tbENKUlT_T0_E_clISt17integral_constantIbLb1EESU_EEDaSP_SQ_EUlSP_E0_NS1_11comp_targetILNS1_3genE4ELNS1_11target_archE910ELNS1_3gpuE8ELNS1_3repE0EEENS1_30default_config_static_selectorELNS0_4arch9wavefront6targetE1EEEvT1_
                                        ; -- End function
	.section	.AMDGPU.csdata,"",@progbits
; Kernel info:
; codeLenInByte = 1536
; NumSgprs: 29
; NumVgprs: 18
; NumAgprs: 0
; TotalNumVgprs: 18
; ScratchSize: 0
; MemoryBound: 0
; FloatMode: 240
; IeeeMode: 1
; LDSByteSize: 5120 bytes/workgroup (compile time only)
; SGPRBlocks: 3
; VGPRBlocks: 2
; NumSGPRsForWavesPerEU: 29
; NumVGPRsForWavesPerEU: 18
; AccumOffset: 20
; Occupancy: 6
; WaveLimiterHint : 0
; COMPUTE_PGM_RSRC2:SCRATCH_EN: 0
; COMPUTE_PGM_RSRC2:USER_SGPR: 6
; COMPUTE_PGM_RSRC2:TRAP_HANDLER: 0
; COMPUTE_PGM_RSRC2:TGID_X_EN: 1
; COMPUTE_PGM_RSRC2:TGID_Y_EN: 0
; COMPUTE_PGM_RSRC2:TGID_Z_EN: 0
; COMPUTE_PGM_RSRC2:TIDIG_COMP_CNT: 0
; COMPUTE_PGM_RSRC3_GFX90A:ACCUM_OFFSET: 4
; COMPUTE_PGM_RSRC3_GFX90A:TG_SPLIT: 0
	.section	.text._ZN7rocprim17ROCPRIM_400000_NS6detail17trampoline_kernelINS0_14default_configENS1_20scan_config_selectorIiEEZZNS1_9scan_implILNS1_25lookback_scan_determinismE0ELb1ELb1ES3_N6thrust23THRUST_200600_302600_NS6detail15normal_iteratorINS9_10device_ptrIiEEEESE_iNS9_4plusIiEEiEEDaPvRmT3_T4_T5_mT6_P12ihipStream_tbENKUlT_T0_E_clISt17integral_constantIbLb1EESU_EEDaSP_SQ_EUlSP_E0_NS1_11comp_targetILNS1_3genE3ELNS1_11target_archE908ELNS1_3gpuE7ELNS1_3repE0EEENS1_30default_config_static_selectorELNS0_4arch9wavefront6targetE1EEEvT1_,"axG",@progbits,_ZN7rocprim17ROCPRIM_400000_NS6detail17trampoline_kernelINS0_14default_configENS1_20scan_config_selectorIiEEZZNS1_9scan_implILNS1_25lookback_scan_determinismE0ELb1ELb1ES3_N6thrust23THRUST_200600_302600_NS6detail15normal_iteratorINS9_10device_ptrIiEEEESE_iNS9_4plusIiEEiEEDaPvRmT3_T4_T5_mT6_P12ihipStream_tbENKUlT_T0_E_clISt17integral_constantIbLb1EESU_EEDaSP_SQ_EUlSP_E0_NS1_11comp_targetILNS1_3genE3ELNS1_11target_archE908ELNS1_3gpuE7ELNS1_3repE0EEENS1_30default_config_static_selectorELNS0_4arch9wavefront6targetE1EEEvT1_,comdat
	.protected	_ZN7rocprim17ROCPRIM_400000_NS6detail17trampoline_kernelINS0_14default_configENS1_20scan_config_selectorIiEEZZNS1_9scan_implILNS1_25lookback_scan_determinismE0ELb1ELb1ES3_N6thrust23THRUST_200600_302600_NS6detail15normal_iteratorINS9_10device_ptrIiEEEESE_iNS9_4plusIiEEiEEDaPvRmT3_T4_T5_mT6_P12ihipStream_tbENKUlT_T0_E_clISt17integral_constantIbLb1EESU_EEDaSP_SQ_EUlSP_E0_NS1_11comp_targetILNS1_3genE3ELNS1_11target_archE908ELNS1_3gpuE7ELNS1_3repE0EEENS1_30default_config_static_selectorELNS0_4arch9wavefront6targetE1EEEvT1_ ; -- Begin function _ZN7rocprim17ROCPRIM_400000_NS6detail17trampoline_kernelINS0_14default_configENS1_20scan_config_selectorIiEEZZNS1_9scan_implILNS1_25lookback_scan_determinismE0ELb1ELb1ES3_N6thrust23THRUST_200600_302600_NS6detail15normal_iteratorINS9_10device_ptrIiEEEESE_iNS9_4plusIiEEiEEDaPvRmT3_T4_T5_mT6_P12ihipStream_tbENKUlT_T0_E_clISt17integral_constantIbLb1EESU_EEDaSP_SQ_EUlSP_E0_NS1_11comp_targetILNS1_3genE3ELNS1_11target_archE908ELNS1_3gpuE7ELNS1_3repE0EEENS1_30default_config_static_selectorELNS0_4arch9wavefront6targetE1EEEvT1_
	.globl	_ZN7rocprim17ROCPRIM_400000_NS6detail17trampoline_kernelINS0_14default_configENS1_20scan_config_selectorIiEEZZNS1_9scan_implILNS1_25lookback_scan_determinismE0ELb1ELb1ES3_N6thrust23THRUST_200600_302600_NS6detail15normal_iteratorINS9_10device_ptrIiEEEESE_iNS9_4plusIiEEiEEDaPvRmT3_T4_T5_mT6_P12ihipStream_tbENKUlT_T0_E_clISt17integral_constantIbLb1EESU_EEDaSP_SQ_EUlSP_E0_NS1_11comp_targetILNS1_3genE3ELNS1_11target_archE908ELNS1_3gpuE7ELNS1_3repE0EEENS1_30default_config_static_selectorELNS0_4arch9wavefront6targetE1EEEvT1_
	.p2align	8
	.type	_ZN7rocprim17ROCPRIM_400000_NS6detail17trampoline_kernelINS0_14default_configENS1_20scan_config_selectorIiEEZZNS1_9scan_implILNS1_25lookback_scan_determinismE0ELb1ELb1ES3_N6thrust23THRUST_200600_302600_NS6detail15normal_iteratorINS9_10device_ptrIiEEEESE_iNS9_4plusIiEEiEEDaPvRmT3_T4_T5_mT6_P12ihipStream_tbENKUlT_T0_E_clISt17integral_constantIbLb1EESU_EEDaSP_SQ_EUlSP_E0_NS1_11comp_targetILNS1_3genE3ELNS1_11target_archE908ELNS1_3gpuE7ELNS1_3repE0EEENS1_30default_config_static_selectorELNS0_4arch9wavefront6targetE1EEEvT1_,@function
_ZN7rocprim17ROCPRIM_400000_NS6detail17trampoline_kernelINS0_14default_configENS1_20scan_config_selectorIiEEZZNS1_9scan_implILNS1_25lookback_scan_determinismE0ELb1ELb1ES3_N6thrust23THRUST_200600_302600_NS6detail15normal_iteratorINS9_10device_ptrIiEEEESE_iNS9_4plusIiEEiEEDaPvRmT3_T4_T5_mT6_P12ihipStream_tbENKUlT_T0_E_clISt17integral_constantIbLb1EESU_EEDaSP_SQ_EUlSP_E0_NS1_11comp_targetILNS1_3genE3ELNS1_11target_archE908ELNS1_3gpuE7ELNS1_3repE0EEENS1_30default_config_static_selectorELNS0_4arch9wavefront6targetE1EEEvT1_: ; @_ZN7rocprim17ROCPRIM_400000_NS6detail17trampoline_kernelINS0_14default_configENS1_20scan_config_selectorIiEEZZNS1_9scan_implILNS1_25lookback_scan_determinismE0ELb1ELb1ES3_N6thrust23THRUST_200600_302600_NS6detail15normal_iteratorINS9_10device_ptrIiEEEESE_iNS9_4plusIiEEiEEDaPvRmT3_T4_T5_mT6_P12ihipStream_tbENKUlT_T0_E_clISt17integral_constantIbLb1EESU_EEDaSP_SQ_EUlSP_E0_NS1_11comp_targetILNS1_3genE3ELNS1_11target_archE908ELNS1_3gpuE7ELNS1_3repE0EEENS1_30default_config_static_selectorELNS0_4arch9wavefront6targetE1EEEvT1_
; %bb.0:
	.section	.rodata,"a",@progbits
	.p2align	6, 0x0
	.amdhsa_kernel _ZN7rocprim17ROCPRIM_400000_NS6detail17trampoline_kernelINS0_14default_configENS1_20scan_config_selectorIiEEZZNS1_9scan_implILNS1_25lookback_scan_determinismE0ELb1ELb1ES3_N6thrust23THRUST_200600_302600_NS6detail15normal_iteratorINS9_10device_ptrIiEEEESE_iNS9_4plusIiEEiEEDaPvRmT3_T4_T5_mT6_P12ihipStream_tbENKUlT_T0_E_clISt17integral_constantIbLb1EESU_EEDaSP_SQ_EUlSP_E0_NS1_11comp_targetILNS1_3genE3ELNS1_11target_archE908ELNS1_3gpuE7ELNS1_3repE0EEENS1_30default_config_static_selectorELNS0_4arch9wavefront6targetE1EEEvT1_
		.amdhsa_group_segment_fixed_size 0
		.amdhsa_private_segment_fixed_size 0
		.amdhsa_kernarg_size 32
		.amdhsa_user_sgpr_count 6
		.amdhsa_user_sgpr_private_segment_buffer 1
		.amdhsa_user_sgpr_dispatch_ptr 0
		.amdhsa_user_sgpr_queue_ptr 0
		.amdhsa_user_sgpr_kernarg_segment_ptr 1
		.amdhsa_user_sgpr_dispatch_id 0
		.amdhsa_user_sgpr_flat_scratch_init 0
		.amdhsa_user_sgpr_kernarg_preload_length 0
		.amdhsa_user_sgpr_kernarg_preload_offset 0
		.amdhsa_user_sgpr_private_segment_size 0
		.amdhsa_uses_dynamic_stack 0
		.amdhsa_system_sgpr_private_segment_wavefront_offset 0
		.amdhsa_system_sgpr_workgroup_id_x 1
		.amdhsa_system_sgpr_workgroup_id_y 0
		.amdhsa_system_sgpr_workgroup_id_z 0
		.amdhsa_system_sgpr_workgroup_info 0
		.amdhsa_system_vgpr_workitem_id 0
		.amdhsa_next_free_vgpr 1
		.amdhsa_next_free_sgpr 0
		.amdhsa_accum_offset 4
		.amdhsa_reserve_vcc 0
		.amdhsa_reserve_flat_scratch 0
		.amdhsa_float_round_mode_32 0
		.amdhsa_float_round_mode_16_64 0
		.amdhsa_float_denorm_mode_32 3
		.amdhsa_float_denorm_mode_16_64 3
		.amdhsa_dx10_clamp 1
		.amdhsa_ieee_mode 1
		.amdhsa_fp16_overflow 0
		.amdhsa_tg_split 0
		.amdhsa_exception_fp_ieee_invalid_op 0
		.amdhsa_exception_fp_denorm_src 0
		.amdhsa_exception_fp_ieee_div_zero 0
		.amdhsa_exception_fp_ieee_overflow 0
		.amdhsa_exception_fp_ieee_underflow 0
		.amdhsa_exception_fp_ieee_inexact 0
		.amdhsa_exception_int_div_zero 0
	.end_amdhsa_kernel
	.section	.text._ZN7rocprim17ROCPRIM_400000_NS6detail17trampoline_kernelINS0_14default_configENS1_20scan_config_selectorIiEEZZNS1_9scan_implILNS1_25lookback_scan_determinismE0ELb1ELb1ES3_N6thrust23THRUST_200600_302600_NS6detail15normal_iteratorINS9_10device_ptrIiEEEESE_iNS9_4plusIiEEiEEDaPvRmT3_T4_T5_mT6_P12ihipStream_tbENKUlT_T0_E_clISt17integral_constantIbLb1EESU_EEDaSP_SQ_EUlSP_E0_NS1_11comp_targetILNS1_3genE3ELNS1_11target_archE908ELNS1_3gpuE7ELNS1_3repE0EEENS1_30default_config_static_selectorELNS0_4arch9wavefront6targetE1EEEvT1_,"axG",@progbits,_ZN7rocprim17ROCPRIM_400000_NS6detail17trampoline_kernelINS0_14default_configENS1_20scan_config_selectorIiEEZZNS1_9scan_implILNS1_25lookback_scan_determinismE0ELb1ELb1ES3_N6thrust23THRUST_200600_302600_NS6detail15normal_iteratorINS9_10device_ptrIiEEEESE_iNS9_4plusIiEEiEEDaPvRmT3_T4_T5_mT6_P12ihipStream_tbENKUlT_T0_E_clISt17integral_constantIbLb1EESU_EEDaSP_SQ_EUlSP_E0_NS1_11comp_targetILNS1_3genE3ELNS1_11target_archE908ELNS1_3gpuE7ELNS1_3repE0EEENS1_30default_config_static_selectorELNS0_4arch9wavefront6targetE1EEEvT1_,comdat
.Lfunc_end690:
	.size	_ZN7rocprim17ROCPRIM_400000_NS6detail17trampoline_kernelINS0_14default_configENS1_20scan_config_selectorIiEEZZNS1_9scan_implILNS1_25lookback_scan_determinismE0ELb1ELb1ES3_N6thrust23THRUST_200600_302600_NS6detail15normal_iteratorINS9_10device_ptrIiEEEESE_iNS9_4plusIiEEiEEDaPvRmT3_T4_T5_mT6_P12ihipStream_tbENKUlT_T0_E_clISt17integral_constantIbLb1EESU_EEDaSP_SQ_EUlSP_E0_NS1_11comp_targetILNS1_3genE3ELNS1_11target_archE908ELNS1_3gpuE7ELNS1_3repE0EEENS1_30default_config_static_selectorELNS0_4arch9wavefront6targetE1EEEvT1_, .Lfunc_end690-_ZN7rocprim17ROCPRIM_400000_NS6detail17trampoline_kernelINS0_14default_configENS1_20scan_config_selectorIiEEZZNS1_9scan_implILNS1_25lookback_scan_determinismE0ELb1ELb1ES3_N6thrust23THRUST_200600_302600_NS6detail15normal_iteratorINS9_10device_ptrIiEEEESE_iNS9_4plusIiEEiEEDaPvRmT3_T4_T5_mT6_P12ihipStream_tbENKUlT_T0_E_clISt17integral_constantIbLb1EESU_EEDaSP_SQ_EUlSP_E0_NS1_11comp_targetILNS1_3genE3ELNS1_11target_archE908ELNS1_3gpuE7ELNS1_3repE0EEENS1_30default_config_static_selectorELNS0_4arch9wavefront6targetE1EEEvT1_
                                        ; -- End function
	.section	.AMDGPU.csdata,"",@progbits
; Kernel info:
; codeLenInByte = 0
; NumSgprs: 4
; NumVgprs: 0
; NumAgprs: 0
; TotalNumVgprs: 0
; ScratchSize: 0
; MemoryBound: 0
; FloatMode: 240
; IeeeMode: 1
; LDSByteSize: 0 bytes/workgroup (compile time only)
; SGPRBlocks: 0
; VGPRBlocks: 0
; NumSGPRsForWavesPerEU: 4
; NumVGPRsForWavesPerEU: 1
; AccumOffset: 4
; Occupancy: 8
; WaveLimiterHint : 0
; COMPUTE_PGM_RSRC2:SCRATCH_EN: 0
; COMPUTE_PGM_RSRC2:USER_SGPR: 6
; COMPUTE_PGM_RSRC2:TRAP_HANDLER: 0
; COMPUTE_PGM_RSRC2:TGID_X_EN: 1
; COMPUTE_PGM_RSRC2:TGID_Y_EN: 0
; COMPUTE_PGM_RSRC2:TGID_Z_EN: 0
; COMPUTE_PGM_RSRC2:TIDIG_COMP_CNT: 0
; COMPUTE_PGM_RSRC3_GFX90A:ACCUM_OFFSET: 0
; COMPUTE_PGM_RSRC3_GFX90A:TG_SPLIT: 0
	.section	.text._ZN7rocprim17ROCPRIM_400000_NS6detail17trampoline_kernelINS0_14default_configENS1_20scan_config_selectorIiEEZZNS1_9scan_implILNS1_25lookback_scan_determinismE0ELb1ELb1ES3_N6thrust23THRUST_200600_302600_NS6detail15normal_iteratorINS9_10device_ptrIiEEEESE_iNS9_4plusIiEEiEEDaPvRmT3_T4_T5_mT6_P12ihipStream_tbENKUlT_T0_E_clISt17integral_constantIbLb1EESU_EEDaSP_SQ_EUlSP_E0_NS1_11comp_targetILNS1_3genE2ELNS1_11target_archE906ELNS1_3gpuE6ELNS1_3repE0EEENS1_30default_config_static_selectorELNS0_4arch9wavefront6targetE1EEEvT1_,"axG",@progbits,_ZN7rocprim17ROCPRIM_400000_NS6detail17trampoline_kernelINS0_14default_configENS1_20scan_config_selectorIiEEZZNS1_9scan_implILNS1_25lookback_scan_determinismE0ELb1ELb1ES3_N6thrust23THRUST_200600_302600_NS6detail15normal_iteratorINS9_10device_ptrIiEEEESE_iNS9_4plusIiEEiEEDaPvRmT3_T4_T5_mT6_P12ihipStream_tbENKUlT_T0_E_clISt17integral_constantIbLb1EESU_EEDaSP_SQ_EUlSP_E0_NS1_11comp_targetILNS1_3genE2ELNS1_11target_archE906ELNS1_3gpuE6ELNS1_3repE0EEENS1_30default_config_static_selectorELNS0_4arch9wavefront6targetE1EEEvT1_,comdat
	.protected	_ZN7rocprim17ROCPRIM_400000_NS6detail17trampoline_kernelINS0_14default_configENS1_20scan_config_selectorIiEEZZNS1_9scan_implILNS1_25lookback_scan_determinismE0ELb1ELb1ES3_N6thrust23THRUST_200600_302600_NS6detail15normal_iteratorINS9_10device_ptrIiEEEESE_iNS9_4plusIiEEiEEDaPvRmT3_T4_T5_mT6_P12ihipStream_tbENKUlT_T0_E_clISt17integral_constantIbLb1EESU_EEDaSP_SQ_EUlSP_E0_NS1_11comp_targetILNS1_3genE2ELNS1_11target_archE906ELNS1_3gpuE6ELNS1_3repE0EEENS1_30default_config_static_selectorELNS0_4arch9wavefront6targetE1EEEvT1_ ; -- Begin function _ZN7rocprim17ROCPRIM_400000_NS6detail17trampoline_kernelINS0_14default_configENS1_20scan_config_selectorIiEEZZNS1_9scan_implILNS1_25lookback_scan_determinismE0ELb1ELb1ES3_N6thrust23THRUST_200600_302600_NS6detail15normal_iteratorINS9_10device_ptrIiEEEESE_iNS9_4plusIiEEiEEDaPvRmT3_T4_T5_mT6_P12ihipStream_tbENKUlT_T0_E_clISt17integral_constantIbLb1EESU_EEDaSP_SQ_EUlSP_E0_NS1_11comp_targetILNS1_3genE2ELNS1_11target_archE906ELNS1_3gpuE6ELNS1_3repE0EEENS1_30default_config_static_selectorELNS0_4arch9wavefront6targetE1EEEvT1_
	.globl	_ZN7rocprim17ROCPRIM_400000_NS6detail17trampoline_kernelINS0_14default_configENS1_20scan_config_selectorIiEEZZNS1_9scan_implILNS1_25lookback_scan_determinismE0ELb1ELb1ES3_N6thrust23THRUST_200600_302600_NS6detail15normal_iteratorINS9_10device_ptrIiEEEESE_iNS9_4plusIiEEiEEDaPvRmT3_T4_T5_mT6_P12ihipStream_tbENKUlT_T0_E_clISt17integral_constantIbLb1EESU_EEDaSP_SQ_EUlSP_E0_NS1_11comp_targetILNS1_3genE2ELNS1_11target_archE906ELNS1_3gpuE6ELNS1_3repE0EEENS1_30default_config_static_selectorELNS0_4arch9wavefront6targetE1EEEvT1_
	.p2align	8
	.type	_ZN7rocprim17ROCPRIM_400000_NS6detail17trampoline_kernelINS0_14default_configENS1_20scan_config_selectorIiEEZZNS1_9scan_implILNS1_25lookback_scan_determinismE0ELb1ELb1ES3_N6thrust23THRUST_200600_302600_NS6detail15normal_iteratorINS9_10device_ptrIiEEEESE_iNS9_4plusIiEEiEEDaPvRmT3_T4_T5_mT6_P12ihipStream_tbENKUlT_T0_E_clISt17integral_constantIbLb1EESU_EEDaSP_SQ_EUlSP_E0_NS1_11comp_targetILNS1_3genE2ELNS1_11target_archE906ELNS1_3gpuE6ELNS1_3repE0EEENS1_30default_config_static_selectorELNS0_4arch9wavefront6targetE1EEEvT1_,@function
_ZN7rocprim17ROCPRIM_400000_NS6detail17trampoline_kernelINS0_14default_configENS1_20scan_config_selectorIiEEZZNS1_9scan_implILNS1_25lookback_scan_determinismE0ELb1ELb1ES3_N6thrust23THRUST_200600_302600_NS6detail15normal_iteratorINS9_10device_ptrIiEEEESE_iNS9_4plusIiEEiEEDaPvRmT3_T4_T5_mT6_P12ihipStream_tbENKUlT_T0_E_clISt17integral_constantIbLb1EESU_EEDaSP_SQ_EUlSP_E0_NS1_11comp_targetILNS1_3genE2ELNS1_11target_archE906ELNS1_3gpuE6ELNS1_3repE0EEENS1_30default_config_static_selectorELNS0_4arch9wavefront6targetE1EEEvT1_: ; @_ZN7rocprim17ROCPRIM_400000_NS6detail17trampoline_kernelINS0_14default_configENS1_20scan_config_selectorIiEEZZNS1_9scan_implILNS1_25lookback_scan_determinismE0ELb1ELb1ES3_N6thrust23THRUST_200600_302600_NS6detail15normal_iteratorINS9_10device_ptrIiEEEESE_iNS9_4plusIiEEiEEDaPvRmT3_T4_T5_mT6_P12ihipStream_tbENKUlT_T0_E_clISt17integral_constantIbLb1EESU_EEDaSP_SQ_EUlSP_E0_NS1_11comp_targetILNS1_3genE2ELNS1_11target_archE906ELNS1_3gpuE6ELNS1_3repE0EEENS1_30default_config_static_selectorELNS0_4arch9wavefront6targetE1EEEvT1_
; %bb.0:
	.section	.rodata,"a",@progbits
	.p2align	6, 0x0
	.amdhsa_kernel _ZN7rocprim17ROCPRIM_400000_NS6detail17trampoline_kernelINS0_14default_configENS1_20scan_config_selectorIiEEZZNS1_9scan_implILNS1_25lookback_scan_determinismE0ELb1ELb1ES3_N6thrust23THRUST_200600_302600_NS6detail15normal_iteratorINS9_10device_ptrIiEEEESE_iNS9_4plusIiEEiEEDaPvRmT3_T4_T5_mT6_P12ihipStream_tbENKUlT_T0_E_clISt17integral_constantIbLb1EESU_EEDaSP_SQ_EUlSP_E0_NS1_11comp_targetILNS1_3genE2ELNS1_11target_archE906ELNS1_3gpuE6ELNS1_3repE0EEENS1_30default_config_static_selectorELNS0_4arch9wavefront6targetE1EEEvT1_
		.amdhsa_group_segment_fixed_size 0
		.amdhsa_private_segment_fixed_size 0
		.amdhsa_kernarg_size 32
		.amdhsa_user_sgpr_count 6
		.amdhsa_user_sgpr_private_segment_buffer 1
		.amdhsa_user_sgpr_dispatch_ptr 0
		.amdhsa_user_sgpr_queue_ptr 0
		.amdhsa_user_sgpr_kernarg_segment_ptr 1
		.amdhsa_user_sgpr_dispatch_id 0
		.amdhsa_user_sgpr_flat_scratch_init 0
		.amdhsa_user_sgpr_kernarg_preload_length 0
		.amdhsa_user_sgpr_kernarg_preload_offset 0
		.amdhsa_user_sgpr_private_segment_size 0
		.amdhsa_uses_dynamic_stack 0
		.amdhsa_system_sgpr_private_segment_wavefront_offset 0
		.amdhsa_system_sgpr_workgroup_id_x 1
		.amdhsa_system_sgpr_workgroup_id_y 0
		.amdhsa_system_sgpr_workgroup_id_z 0
		.amdhsa_system_sgpr_workgroup_info 0
		.amdhsa_system_vgpr_workitem_id 0
		.amdhsa_next_free_vgpr 1
		.amdhsa_next_free_sgpr 0
		.amdhsa_accum_offset 4
		.amdhsa_reserve_vcc 0
		.amdhsa_reserve_flat_scratch 0
		.amdhsa_float_round_mode_32 0
		.amdhsa_float_round_mode_16_64 0
		.amdhsa_float_denorm_mode_32 3
		.amdhsa_float_denorm_mode_16_64 3
		.amdhsa_dx10_clamp 1
		.amdhsa_ieee_mode 1
		.amdhsa_fp16_overflow 0
		.amdhsa_tg_split 0
		.amdhsa_exception_fp_ieee_invalid_op 0
		.amdhsa_exception_fp_denorm_src 0
		.amdhsa_exception_fp_ieee_div_zero 0
		.amdhsa_exception_fp_ieee_overflow 0
		.amdhsa_exception_fp_ieee_underflow 0
		.amdhsa_exception_fp_ieee_inexact 0
		.amdhsa_exception_int_div_zero 0
	.end_amdhsa_kernel
	.section	.text._ZN7rocprim17ROCPRIM_400000_NS6detail17trampoline_kernelINS0_14default_configENS1_20scan_config_selectorIiEEZZNS1_9scan_implILNS1_25lookback_scan_determinismE0ELb1ELb1ES3_N6thrust23THRUST_200600_302600_NS6detail15normal_iteratorINS9_10device_ptrIiEEEESE_iNS9_4plusIiEEiEEDaPvRmT3_T4_T5_mT6_P12ihipStream_tbENKUlT_T0_E_clISt17integral_constantIbLb1EESU_EEDaSP_SQ_EUlSP_E0_NS1_11comp_targetILNS1_3genE2ELNS1_11target_archE906ELNS1_3gpuE6ELNS1_3repE0EEENS1_30default_config_static_selectorELNS0_4arch9wavefront6targetE1EEEvT1_,"axG",@progbits,_ZN7rocprim17ROCPRIM_400000_NS6detail17trampoline_kernelINS0_14default_configENS1_20scan_config_selectorIiEEZZNS1_9scan_implILNS1_25lookback_scan_determinismE0ELb1ELb1ES3_N6thrust23THRUST_200600_302600_NS6detail15normal_iteratorINS9_10device_ptrIiEEEESE_iNS9_4plusIiEEiEEDaPvRmT3_T4_T5_mT6_P12ihipStream_tbENKUlT_T0_E_clISt17integral_constantIbLb1EESU_EEDaSP_SQ_EUlSP_E0_NS1_11comp_targetILNS1_3genE2ELNS1_11target_archE906ELNS1_3gpuE6ELNS1_3repE0EEENS1_30default_config_static_selectorELNS0_4arch9wavefront6targetE1EEEvT1_,comdat
.Lfunc_end691:
	.size	_ZN7rocprim17ROCPRIM_400000_NS6detail17trampoline_kernelINS0_14default_configENS1_20scan_config_selectorIiEEZZNS1_9scan_implILNS1_25lookback_scan_determinismE0ELb1ELb1ES3_N6thrust23THRUST_200600_302600_NS6detail15normal_iteratorINS9_10device_ptrIiEEEESE_iNS9_4plusIiEEiEEDaPvRmT3_T4_T5_mT6_P12ihipStream_tbENKUlT_T0_E_clISt17integral_constantIbLb1EESU_EEDaSP_SQ_EUlSP_E0_NS1_11comp_targetILNS1_3genE2ELNS1_11target_archE906ELNS1_3gpuE6ELNS1_3repE0EEENS1_30default_config_static_selectorELNS0_4arch9wavefront6targetE1EEEvT1_, .Lfunc_end691-_ZN7rocprim17ROCPRIM_400000_NS6detail17trampoline_kernelINS0_14default_configENS1_20scan_config_selectorIiEEZZNS1_9scan_implILNS1_25lookback_scan_determinismE0ELb1ELb1ES3_N6thrust23THRUST_200600_302600_NS6detail15normal_iteratorINS9_10device_ptrIiEEEESE_iNS9_4plusIiEEiEEDaPvRmT3_T4_T5_mT6_P12ihipStream_tbENKUlT_T0_E_clISt17integral_constantIbLb1EESU_EEDaSP_SQ_EUlSP_E0_NS1_11comp_targetILNS1_3genE2ELNS1_11target_archE906ELNS1_3gpuE6ELNS1_3repE0EEENS1_30default_config_static_selectorELNS0_4arch9wavefront6targetE1EEEvT1_
                                        ; -- End function
	.section	.AMDGPU.csdata,"",@progbits
; Kernel info:
; codeLenInByte = 0
; NumSgprs: 4
; NumVgprs: 0
; NumAgprs: 0
; TotalNumVgprs: 0
; ScratchSize: 0
; MemoryBound: 0
; FloatMode: 240
; IeeeMode: 1
; LDSByteSize: 0 bytes/workgroup (compile time only)
; SGPRBlocks: 0
; VGPRBlocks: 0
; NumSGPRsForWavesPerEU: 4
; NumVGPRsForWavesPerEU: 1
; AccumOffset: 4
; Occupancy: 8
; WaveLimiterHint : 0
; COMPUTE_PGM_RSRC2:SCRATCH_EN: 0
; COMPUTE_PGM_RSRC2:USER_SGPR: 6
; COMPUTE_PGM_RSRC2:TRAP_HANDLER: 0
; COMPUTE_PGM_RSRC2:TGID_X_EN: 1
; COMPUTE_PGM_RSRC2:TGID_Y_EN: 0
; COMPUTE_PGM_RSRC2:TGID_Z_EN: 0
; COMPUTE_PGM_RSRC2:TIDIG_COMP_CNT: 0
; COMPUTE_PGM_RSRC3_GFX90A:ACCUM_OFFSET: 0
; COMPUTE_PGM_RSRC3_GFX90A:TG_SPLIT: 0
	.section	.text._ZN7rocprim17ROCPRIM_400000_NS6detail17trampoline_kernelINS0_14default_configENS1_20scan_config_selectorIiEEZZNS1_9scan_implILNS1_25lookback_scan_determinismE0ELb1ELb1ES3_N6thrust23THRUST_200600_302600_NS6detail15normal_iteratorINS9_10device_ptrIiEEEESE_iNS9_4plusIiEEiEEDaPvRmT3_T4_T5_mT6_P12ihipStream_tbENKUlT_T0_E_clISt17integral_constantIbLb1EESU_EEDaSP_SQ_EUlSP_E0_NS1_11comp_targetILNS1_3genE10ELNS1_11target_archE1201ELNS1_3gpuE5ELNS1_3repE0EEENS1_30default_config_static_selectorELNS0_4arch9wavefront6targetE1EEEvT1_,"axG",@progbits,_ZN7rocprim17ROCPRIM_400000_NS6detail17trampoline_kernelINS0_14default_configENS1_20scan_config_selectorIiEEZZNS1_9scan_implILNS1_25lookback_scan_determinismE0ELb1ELb1ES3_N6thrust23THRUST_200600_302600_NS6detail15normal_iteratorINS9_10device_ptrIiEEEESE_iNS9_4plusIiEEiEEDaPvRmT3_T4_T5_mT6_P12ihipStream_tbENKUlT_T0_E_clISt17integral_constantIbLb1EESU_EEDaSP_SQ_EUlSP_E0_NS1_11comp_targetILNS1_3genE10ELNS1_11target_archE1201ELNS1_3gpuE5ELNS1_3repE0EEENS1_30default_config_static_selectorELNS0_4arch9wavefront6targetE1EEEvT1_,comdat
	.protected	_ZN7rocprim17ROCPRIM_400000_NS6detail17trampoline_kernelINS0_14default_configENS1_20scan_config_selectorIiEEZZNS1_9scan_implILNS1_25lookback_scan_determinismE0ELb1ELb1ES3_N6thrust23THRUST_200600_302600_NS6detail15normal_iteratorINS9_10device_ptrIiEEEESE_iNS9_4plusIiEEiEEDaPvRmT3_T4_T5_mT6_P12ihipStream_tbENKUlT_T0_E_clISt17integral_constantIbLb1EESU_EEDaSP_SQ_EUlSP_E0_NS1_11comp_targetILNS1_3genE10ELNS1_11target_archE1201ELNS1_3gpuE5ELNS1_3repE0EEENS1_30default_config_static_selectorELNS0_4arch9wavefront6targetE1EEEvT1_ ; -- Begin function _ZN7rocprim17ROCPRIM_400000_NS6detail17trampoline_kernelINS0_14default_configENS1_20scan_config_selectorIiEEZZNS1_9scan_implILNS1_25lookback_scan_determinismE0ELb1ELb1ES3_N6thrust23THRUST_200600_302600_NS6detail15normal_iteratorINS9_10device_ptrIiEEEESE_iNS9_4plusIiEEiEEDaPvRmT3_T4_T5_mT6_P12ihipStream_tbENKUlT_T0_E_clISt17integral_constantIbLb1EESU_EEDaSP_SQ_EUlSP_E0_NS1_11comp_targetILNS1_3genE10ELNS1_11target_archE1201ELNS1_3gpuE5ELNS1_3repE0EEENS1_30default_config_static_selectorELNS0_4arch9wavefront6targetE1EEEvT1_
	.globl	_ZN7rocprim17ROCPRIM_400000_NS6detail17trampoline_kernelINS0_14default_configENS1_20scan_config_selectorIiEEZZNS1_9scan_implILNS1_25lookback_scan_determinismE0ELb1ELb1ES3_N6thrust23THRUST_200600_302600_NS6detail15normal_iteratorINS9_10device_ptrIiEEEESE_iNS9_4plusIiEEiEEDaPvRmT3_T4_T5_mT6_P12ihipStream_tbENKUlT_T0_E_clISt17integral_constantIbLb1EESU_EEDaSP_SQ_EUlSP_E0_NS1_11comp_targetILNS1_3genE10ELNS1_11target_archE1201ELNS1_3gpuE5ELNS1_3repE0EEENS1_30default_config_static_selectorELNS0_4arch9wavefront6targetE1EEEvT1_
	.p2align	8
	.type	_ZN7rocprim17ROCPRIM_400000_NS6detail17trampoline_kernelINS0_14default_configENS1_20scan_config_selectorIiEEZZNS1_9scan_implILNS1_25lookback_scan_determinismE0ELb1ELb1ES3_N6thrust23THRUST_200600_302600_NS6detail15normal_iteratorINS9_10device_ptrIiEEEESE_iNS9_4plusIiEEiEEDaPvRmT3_T4_T5_mT6_P12ihipStream_tbENKUlT_T0_E_clISt17integral_constantIbLb1EESU_EEDaSP_SQ_EUlSP_E0_NS1_11comp_targetILNS1_3genE10ELNS1_11target_archE1201ELNS1_3gpuE5ELNS1_3repE0EEENS1_30default_config_static_selectorELNS0_4arch9wavefront6targetE1EEEvT1_,@function
_ZN7rocprim17ROCPRIM_400000_NS6detail17trampoline_kernelINS0_14default_configENS1_20scan_config_selectorIiEEZZNS1_9scan_implILNS1_25lookback_scan_determinismE0ELb1ELb1ES3_N6thrust23THRUST_200600_302600_NS6detail15normal_iteratorINS9_10device_ptrIiEEEESE_iNS9_4plusIiEEiEEDaPvRmT3_T4_T5_mT6_P12ihipStream_tbENKUlT_T0_E_clISt17integral_constantIbLb1EESU_EEDaSP_SQ_EUlSP_E0_NS1_11comp_targetILNS1_3genE10ELNS1_11target_archE1201ELNS1_3gpuE5ELNS1_3repE0EEENS1_30default_config_static_selectorELNS0_4arch9wavefront6targetE1EEEvT1_: ; @_ZN7rocprim17ROCPRIM_400000_NS6detail17trampoline_kernelINS0_14default_configENS1_20scan_config_selectorIiEEZZNS1_9scan_implILNS1_25lookback_scan_determinismE0ELb1ELb1ES3_N6thrust23THRUST_200600_302600_NS6detail15normal_iteratorINS9_10device_ptrIiEEEESE_iNS9_4plusIiEEiEEDaPvRmT3_T4_T5_mT6_P12ihipStream_tbENKUlT_T0_E_clISt17integral_constantIbLb1EESU_EEDaSP_SQ_EUlSP_E0_NS1_11comp_targetILNS1_3genE10ELNS1_11target_archE1201ELNS1_3gpuE5ELNS1_3repE0EEENS1_30default_config_static_selectorELNS0_4arch9wavefront6targetE1EEEvT1_
; %bb.0:
	.section	.rodata,"a",@progbits
	.p2align	6, 0x0
	.amdhsa_kernel _ZN7rocprim17ROCPRIM_400000_NS6detail17trampoline_kernelINS0_14default_configENS1_20scan_config_selectorIiEEZZNS1_9scan_implILNS1_25lookback_scan_determinismE0ELb1ELb1ES3_N6thrust23THRUST_200600_302600_NS6detail15normal_iteratorINS9_10device_ptrIiEEEESE_iNS9_4plusIiEEiEEDaPvRmT3_T4_T5_mT6_P12ihipStream_tbENKUlT_T0_E_clISt17integral_constantIbLb1EESU_EEDaSP_SQ_EUlSP_E0_NS1_11comp_targetILNS1_3genE10ELNS1_11target_archE1201ELNS1_3gpuE5ELNS1_3repE0EEENS1_30default_config_static_selectorELNS0_4arch9wavefront6targetE1EEEvT1_
		.amdhsa_group_segment_fixed_size 0
		.amdhsa_private_segment_fixed_size 0
		.amdhsa_kernarg_size 32
		.amdhsa_user_sgpr_count 6
		.amdhsa_user_sgpr_private_segment_buffer 1
		.amdhsa_user_sgpr_dispatch_ptr 0
		.amdhsa_user_sgpr_queue_ptr 0
		.amdhsa_user_sgpr_kernarg_segment_ptr 1
		.amdhsa_user_sgpr_dispatch_id 0
		.amdhsa_user_sgpr_flat_scratch_init 0
		.amdhsa_user_sgpr_kernarg_preload_length 0
		.amdhsa_user_sgpr_kernarg_preload_offset 0
		.amdhsa_user_sgpr_private_segment_size 0
		.amdhsa_uses_dynamic_stack 0
		.amdhsa_system_sgpr_private_segment_wavefront_offset 0
		.amdhsa_system_sgpr_workgroup_id_x 1
		.amdhsa_system_sgpr_workgroup_id_y 0
		.amdhsa_system_sgpr_workgroup_id_z 0
		.amdhsa_system_sgpr_workgroup_info 0
		.amdhsa_system_vgpr_workitem_id 0
		.amdhsa_next_free_vgpr 1
		.amdhsa_next_free_sgpr 0
		.amdhsa_accum_offset 4
		.amdhsa_reserve_vcc 0
		.amdhsa_reserve_flat_scratch 0
		.amdhsa_float_round_mode_32 0
		.amdhsa_float_round_mode_16_64 0
		.amdhsa_float_denorm_mode_32 3
		.amdhsa_float_denorm_mode_16_64 3
		.amdhsa_dx10_clamp 1
		.amdhsa_ieee_mode 1
		.amdhsa_fp16_overflow 0
		.amdhsa_tg_split 0
		.amdhsa_exception_fp_ieee_invalid_op 0
		.amdhsa_exception_fp_denorm_src 0
		.amdhsa_exception_fp_ieee_div_zero 0
		.amdhsa_exception_fp_ieee_overflow 0
		.amdhsa_exception_fp_ieee_underflow 0
		.amdhsa_exception_fp_ieee_inexact 0
		.amdhsa_exception_int_div_zero 0
	.end_amdhsa_kernel
	.section	.text._ZN7rocprim17ROCPRIM_400000_NS6detail17trampoline_kernelINS0_14default_configENS1_20scan_config_selectorIiEEZZNS1_9scan_implILNS1_25lookback_scan_determinismE0ELb1ELb1ES3_N6thrust23THRUST_200600_302600_NS6detail15normal_iteratorINS9_10device_ptrIiEEEESE_iNS9_4plusIiEEiEEDaPvRmT3_T4_T5_mT6_P12ihipStream_tbENKUlT_T0_E_clISt17integral_constantIbLb1EESU_EEDaSP_SQ_EUlSP_E0_NS1_11comp_targetILNS1_3genE10ELNS1_11target_archE1201ELNS1_3gpuE5ELNS1_3repE0EEENS1_30default_config_static_selectorELNS0_4arch9wavefront6targetE1EEEvT1_,"axG",@progbits,_ZN7rocprim17ROCPRIM_400000_NS6detail17trampoline_kernelINS0_14default_configENS1_20scan_config_selectorIiEEZZNS1_9scan_implILNS1_25lookback_scan_determinismE0ELb1ELb1ES3_N6thrust23THRUST_200600_302600_NS6detail15normal_iteratorINS9_10device_ptrIiEEEESE_iNS9_4plusIiEEiEEDaPvRmT3_T4_T5_mT6_P12ihipStream_tbENKUlT_T0_E_clISt17integral_constantIbLb1EESU_EEDaSP_SQ_EUlSP_E0_NS1_11comp_targetILNS1_3genE10ELNS1_11target_archE1201ELNS1_3gpuE5ELNS1_3repE0EEENS1_30default_config_static_selectorELNS0_4arch9wavefront6targetE1EEEvT1_,comdat
.Lfunc_end692:
	.size	_ZN7rocprim17ROCPRIM_400000_NS6detail17trampoline_kernelINS0_14default_configENS1_20scan_config_selectorIiEEZZNS1_9scan_implILNS1_25lookback_scan_determinismE0ELb1ELb1ES3_N6thrust23THRUST_200600_302600_NS6detail15normal_iteratorINS9_10device_ptrIiEEEESE_iNS9_4plusIiEEiEEDaPvRmT3_T4_T5_mT6_P12ihipStream_tbENKUlT_T0_E_clISt17integral_constantIbLb1EESU_EEDaSP_SQ_EUlSP_E0_NS1_11comp_targetILNS1_3genE10ELNS1_11target_archE1201ELNS1_3gpuE5ELNS1_3repE0EEENS1_30default_config_static_selectorELNS0_4arch9wavefront6targetE1EEEvT1_, .Lfunc_end692-_ZN7rocprim17ROCPRIM_400000_NS6detail17trampoline_kernelINS0_14default_configENS1_20scan_config_selectorIiEEZZNS1_9scan_implILNS1_25lookback_scan_determinismE0ELb1ELb1ES3_N6thrust23THRUST_200600_302600_NS6detail15normal_iteratorINS9_10device_ptrIiEEEESE_iNS9_4plusIiEEiEEDaPvRmT3_T4_T5_mT6_P12ihipStream_tbENKUlT_T0_E_clISt17integral_constantIbLb1EESU_EEDaSP_SQ_EUlSP_E0_NS1_11comp_targetILNS1_3genE10ELNS1_11target_archE1201ELNS1_3gpuE5ELNS1_3repE0EEENS1_30default_config_static_selectorELNS0_4arch9wavefront6targetE1EEEvT1_
                                        ; -- End function
	.section	.AMDGPU.csdata,"",@progbits
; Kernel info:
; codeLenInByte = 0
; NumSgprs: 4
; NumVgprs: 0
; NumAgprs: 0
; TotalNumVgprs: 0
; ScratchSize: 0
; MemoryBound: 0
; FloatMode: 240
; IeeeMode: 1
; LDSByteSize: 0 bytes/workgroup (compile time only)
; SGPRBlocks: 0
; VGPRBlocks: 0
; NumSGPRsForWavesPerEU: 4
; NumVGPRsForWavesPerEU: 1
; AccumOffset: 4
; Occupancy: 8
; WaveLimiterHint : 0
; COMPUTE_PGM_RSRC2:SCRATCH_EN: 0
; COMPUTE_PGM_RSRC2:USER_SGPR: 6
; COMPUTE_PGM_RSRC2:TRAP_HANDLER: 0
; COMPUTE_PGM_RSRC2:TGID_X_EN: 1
; COMPUTE_PGM_RSRC2:TGID_Y_EN: 0
; COMPUTE_PGM_RSRC2:TGID_Z_EN: 0
; COMPUTE_PGM_RSRC2:TIDIG_COMP_CNT: 0
; COMPUTE_PGM_RSRC3_GFX90A:ACCUM_OFFSET: 0
; COMPUTE_PGM_RSRC3_GFX90A:TG_SPLIT: 0
	.section	.text._ZN7rocprim17ROCPRIM_400000_NS6detail17trampoline_kernelINS0_14default_configENS1_20scan_config_selectorIiEEZZNS1_9scan_implILNS1_25lookback_scan_determinismE0ELb1ELb1ES3_N6thrust23THRUST_200600_302600_NS6detail15normal_iteratorINS9_10device_ptrIiEEEESE_iNS9_4plusIiEEiEEDaPvRmT3_T4_T5_mT6_P12ihipStream_tbENKUlT_T0_E_clISt17integral_constantIbLb1EESU_EEDaSP_SQ_EUlSP_E0_NS1_11comp_targetILNS1_3genE10ELNS1_11target_archE1200ELNS1_3gpuE4ELNS1_3repE0EEENS1_30default_config_static_selectorELNS0_4arch9wavefront6targetE1EEEvT1_,"axG",@progbits,_ZN7rocprim17ROCPRIM_400000_NS6detail17trampoline_kernelINS0_14default_configENS1_20scan_config_selectorIiEEZZNS1_9scan_implILNS1_25lookback_scan_determinismE0ELb1ELb1ES3_N6thrust23THRUST_200600_302600_NS6detail15normal_iteratorINS9_10device_ptrIiEEEESE_iNS9_4plusIiEEiEEDaPvRmT3_T4_T5_mT6_P12ihipStream_tbENKUlT_T0_E_clISt17integral_constantIbLb1EESU_EEDaSP_SQ_EUlSP_E0_NS1_11comp_targetILNS1_3genE10ELNS1_11target_archE1200ELNS1_3gpuE4ELNS1_3repE0EEENS1_30default_config_static_selectorELNS0_4arch9wavefront6targetE1EEEvT1_,comdat
	.protected	_ZN7rocprim17ROCPRIM_400000_NS6detail17trampoline_kernelINS0_14default_configENS1_20scan_config_selectorIiEEZZNS1_9scan_implILNS1_25lookback_scan_determinismE0ELb1ELb1ES3_N6thrust23THRUST_200600_302600_NS6detail15normal_iteratorINS9_10device_ptrIiEEEESE_iNS9_4plusIiEEiEEDaPvRmT3_T4_T5_mT6_P12ihipStream_tbENKUlT_T0_E_clISt17integral_constantIbLb1EESU_EEDaSP_SQ_EUlSP_E0_NS1_11comp_targetILNS1_3genE10ELNS1_11target_archE1200ELNS1_3gpuE4ELNS1_3repE0EEENS1_30default_config_static_selectorELNS0_4arch9wavefront6targetE1EEEvT1_ ; -- Begin function _ZN7rocprim17ROCPRIM_400000_NS6detail17trampoline_kernelINS0_14default_configENS1_20scan_config_selectorIiEEZZNS1_9scan_implILNS1_25lookback_scan_determinismE0ELb1ELb1ES3_N6thrust23THRUST_200600_302600_NS6detail15normal_iteratorINS9_10device_ptrIiEEEESE_iNS9_4plusIiEEiEEDaPvRmT3_T4_T5_mT6_P12ihipStream_tbENKUlT_T0_E_clISt17integral_constantIbLb1EESU_EEDaSP_SQ_EUlSP_E0_NS1_11comp_targetILNS1_3genE10ELNS1_11target_archE1200ELNS1_3gpuE4ELNS1_3repE0EEENS1_30default_config_static_selectorELNS0_4arch9wavefront6targetE1EEEvT1_
	.globl	_ZN7rocprim17ROCPRIM_400000_NS6detail17trampoline_kernelINS0_14default_configENS1_20scan_config_selectorIiEEZZNS1_9scan_implILNS1_25lookback_scan_determinismE0ELb1ELb1ES3_N6thrust23THRUST_200600_302600_NS6detail15normal_iteratorINS9_10device_ptrIiEEEESE_iNS9_4plusIiEEiEEDaPvRmT3_T4_T5_mT6_P12ihipStream_tbENKUlT_T0_E_clISt17integral_constantIbLb1EESU_EEDaSP_SQ_EUlSP_E0_NS1_11comp_targetILNS1_3genE10ELNS1_11target_archE1200ELNS1_3gpuE4ELNS1_3repE0EEENS1_30default_config_static_selectorELNS0_4arch9wavefront6targetE1EEEvT1_
	.p2align	8
	.type	_ZN7rocprim17ROCPRIM_400000_NS6detail17trampoline_kernelINS0_14default_configENS1_20scan_config_selectorIiEEZZNS1_9scan_implILNS1_25lookback_scan_determinismE0ELb1ELb1ES3_N6thrust23THRUST_200600_302600_NS6detail15normal_iteratorINS9_10device_ptrIiEEEESE_iNS9_4plusIiEEiEEDaPvRmT3_T4_T5_mT6_P12ihipStream_tbENKUlT_T0_E_clISt17integral_constantIbLb1EESU_EEDaSP_SQ_EUlSP_E0_NS1_11comp_targetILNS1_3genE10ELNS1_11target_archE1200ELNS1_3gpuE4ELNS1_3repE0EEENS1_30default_config_static_selectorELNS0_4arch9wavefront6targetE1EEEvT1_,@function
_ZN7rocprim17ROCPRIM_400000_NS6detail17trampoline_kernelINS0_14default_configENS1_20scan_config_selectorIiEEZZNS1_9scan_implILNS1_25lookback_scan_determinismE0ELb1ELb1ES3_N6thrust23THRUST_200600_302600_NS6detail15normal_iteratorINS9_10device_ptrIiEEEESE_iNS9_4plusIiEEiEEDaPvRmT3_T4_T5_mT6_P12ihipStream_tbENKUlT_T0_E_clISt17integral_constantIbLb1EESU_EEDaSP_SQ_EUlSP_E0_NS1_11comp_targetILNS1_3genE10ELNS1_11target_archE1200ELNS1_3gpuE4ELNS1_3repE0EEENS1_30default_config_static_selectorELNS0_4arch9wavefront6targetE1EEEvT1_: ; @_ZN7rocprim17ROCPRIM_400000_NS6detail17trampoline_kernelINS0_14default_configENS1_20scan_config_selectorIiEEZZNS1_9scan_implILNS1_25lookback_scan_determinismE0ELb1ELb1ES3_N6thrust23THRUST_200600_302600_NS6detail15normal_iteratorINS9_10device_ptrIiEEEESE_iNS9_4plusIiEEiEEDaPvRmT3_T4_T5_mT6_P12ihipStream_tbENKUlT_T0_E_clISt17integral_constantIbLb1EESU_EEDaSP_SQ_EUlSP_E0_NS1_11comp_targetILNS1_3genE10ELNS1_11target_archE1200ELNS1_3gpuE4ELNS1_3repE0EEENS1_30default_config_static_selectorELNS0_4arch9wavefront6targetE1EEEvT1_
; %bb.0:
	.section	.rodata,"a",@progbits
	.p2align	6, 0x0
	.amdhsa_kernel _ZN7rocprim17ROCPRIM_400000_NS6detail17trampoline_kernelINS0_14default_configENS1_20scan_config_selectorIiEEZZNS1_9scan_implILNS1_25lookback_scan_determinismE0ELb1ELb1ES3_N6thrust23THRUST_200600_302600_NS6detail15normal_iteratorINS9_10device_ptrIiEEEESE_iNS9_4plusIiEEiEEDaPvRmT3_T4_T5_mT6_P12ihipStream_tbENKUlT_T0_E_clISt17integral_constantIbLb1EESU_EEDaSP_SQ_EUlSP_E0_NS1_11comp_targetILNS1_3genE10ELNS1_11target_archE1200ELNS1_3gpuE4ELNS1_3repE0EEENS1_30default_config_static_selectorELNS0_4arch9wavefront6targetE1EEEvT1_
		.amdhsa_group_segment_fixed_size 0
		.amdhsa_private_segment_fixed_size 0
		.amdhsa_kernarg_size 32
		.amdhsa_user_sgpr_count 6
		.amdhsa_user_sgpr_private_segment_buffer 1
		.amdhsa_user_sgpr_dispatch_ptr 0
		.amdhsa_user_sgpr_queue_ptr 0
		.amdhsa_user_sgpr_kernarg_segment_ptr 1
		.amdhsa_user_sgpr_dispatch_id 0
		.amdhsa_user_sgpr_flat_scratch_init 0
		.amdhsa_user_sgpr_kernarg_preload_length 0
		.amdhsa_user_sgpr_kernarg_preload_offset 0
		.amdhsa_user_sgpr_private_segment_size 0
		.amdhsa_uses_dynamic_stack 0
		.amdhsa_system_sgpr_private_segment_wavefront_offset 0
		.amdhsa_system_sgpr_workgroup_id_x 1
		.amdhsa_system_sgpr_workgroup_id_y 0
		.amdhsa_system_sgpr_workgroup_id_z 0
		.amdhsa_system_sgpr_workgroup_info 0
		.amdhsa_system_vgpr_workitem_id 0
		.amdhsa_next_free_vgpr 1
		.amdhsa_next_free_sgpr 0
		.amdhsa_accum_offset 4
		.amdhsa_reserve_vcc 0
		.amdhsa_reserve_flat_scratch 0
		.amdhsa_float_round_mode_32 0
		.amdhsa_float_round_mode_16_64 0
		.amdhsa_float_denorm_mode_32 3
		.amdhsa_float_denorm_mode_16_64 3
		.amdhsa_dx10_clamp 1
		.amdhsa_ieee_mode 1
		.amdhsa_fp16_overflow 0
		.amdhsa_tg_split 0
		.amdhsa_exception_fp_ieee_invalid_op 0
		.amdhsa_exception_fp_denorm_src 0
		.amdhsa_exception_fp_ieee_div_zero 0
		.amdhsa_exception_fp_ieee_overflow 0
		.amdhsa_exception_fp_ieee_underflow 0
		.amdhsa_exception_fp_ieee_inexact 0
		.amdhsa_exception_int_div_zero 0
	.end_amdhsa_kernel
	.section	.text._ZN7rocprim17ROCPRIM_400000_NS6detail17trampoline_kernelINS0_14default_configENS1_20scan_config_selectorIiEEZZNS1_9scan_implILNS1_25lookback_scan_determinismE0ELb1ELb1ES3_N6thrust23THRUST_200600_302600_NS6detail15normal_iteratorINS9_10device_ptrIiEEEESE_iNS9_4plusIiEEiEEDaPvRmT3_T4_T5_mT6_P12ihipStream_tbENKUlT_T0_E_clISt17integral_constantIbLb1EESU_EEDaSP_SQ_EUlSP_E0_NS1_11comp_targetILNS1_3genE10ELNS1_11target_archE1200ELNS1_3gpuE4ELNS1_3repE0EEENS1_30default_config_static_selectorELNS0_4arch9wavefront6targetE1EEEvT1_,"axG",@progbits,_ZN7rocprim17ROCPRIM_400000_NS6detail17trampoline_kernelINS0_14default_configENS1_20scan_config_selectorIiEEZZNS1_9scan_implILNS1_25lookback_scan_determinismE0ELb1ELb1ES3_N6thrust23THRUST_200600_302600_NS6detail15normal_iteratorINS9_10device_ptrIiEEEESE_iNS9_4plusIiEEiEEDaPvRmT3_T4_T5_mT6_P12ihipStream_tbENKUlT_T0_E_clISt17integral_constantIbLb1EESU_EEDaSP_SQ_EUlSP_E0_NS1_11comp_targetILNS1_3genE10ELNS1_11target_archE1200ELNS1_3gpuE4ELNS1_3repE0EEENS1_30default_config_static_selectorELNS0_4arch9wavefront6targetE1EEEvT1_,comdat
.Lfunc_end693:
	.size	_ZN7rocprim17ROCPRIM_400000_NS6detail17trampoline_kernelINS0_14default_configENS1_20scan_config_selectorIiEEZZNS1_9scan_implILNS1_25lookback_scan_determinismE0ELb1ELb1ES3_N6thrust23THRUST_200600_302600_NS6detail15normal_iteratorINS9_10device_ptrIiEEEESE_iNS9_4plusIiEEiEEDaPvRmT3_T4_T5_mT6_P12ihipStream_tbENKUlT_T0_E_clISt17integral_constantIbLb1EESU_EEDaSP_SQ_EUlSP_E0_NS1_11comp_targetILNS1_3genE10ELNS1_11target_archE1200ELNS1_3gpuE4ELNS1_3repE0EEENS1_30default_config_static_selectorELNS0_4arch9wavefront6targetE1EEEvT1_, .Lfunc_end693-_ZN7rocprim17ROCPRIM_400000_NS6detail17trampoline_kernelINS0_14default_configENS1_20scan_config_selectorIiEEZZNS1_9scan_implILNS1_25lookback_scan_determinismE0ELb1ELb1ES3_N6thrust23THRUST_200600_302600_NS6detail15normal_iteratorINS9_10device_ptrIiEEEESE_iNS9_4plusIiEEiEEDaPvRmT3_T4_T5_mT6_P12ihipStream_tbENKUlT_T0_E_clISt17integral_constantIbLb1EESU_EEDaSP_SQ_EUlSP_E0_NS1_11comp_targetILNS1_3genE10ELNS1_11target_archE1200ELNS1_3gpuE4ELNS1_3repE0EEENS1_30default_config_static_selectorELNS0_4arch9wavefront6targetE1EEEvT1_
                                        ; -- End function
	.section	.AMDGPU.csdata,"",@progbits
; Kernel info:
; codeLenInByte = 0
; NumSgprs: 4
; NumVgprs: 0
; NumAgprs: 0
; TotalNumVgprs: 0
; ScratchSize: 0
; MemoryBound: 0
; FloatMode: 240
; IeeeMode: 1
; LDSByteSize: 0 bytes/workgroup (compile time only)
; SGPRBlocks: 0
; VGPRBlocks: 0
; NumSGPRsForWavesPerEU: 4
; NumVGPRsForWavesPerEU: 1
; AccumOffset: 4
; Occupancy: 8
; WaveLimiterHint : 0
; COMPUTE_PGM_RSRC2:SCRATCH_EN: 0
; COMPUTE_PGM_RSRC2:USER_SGPR: 6
; COMPUTE_PGM_RSRC2:TRAP_HANDLER: 0
; COMPUTE_PGM_RSRC2:TGID_X_EN: 1
; COMPUTE_PGM_RSRC2:TGID_Y_EN: 0
; COMPUTE_PGM_RSRC2:TGID_Z_EN: 0
; COMPUTE_PGM_RSRC2:TIDIG_COMP_CNT: 0
; COMPUTE_PGM_RSRC3_GFX90A:ACCUM_OFFSET: 0
; COMPUTE_PGM_RSRC3_GFX90A:TG_SPLIT: 0
	.section	.text._ZN7rocprim17ROCPRIM_400000_NS6detail17trampoline_kernelINS0_14default_configENS1_20scan_config_selectorIiEEZZNS1_9scan_implILNS1_25lookback_scan_determinismE0ELb1ELb1ES3_N6thrust23THRUST_200600_302600_NS6detail15normal_iteratorINS9_10device_ptrIiEEEESE_iNS9_4plusIiEEiEEDaPvRmT3_T4_T5_mT6_P12ihipStream_tbENKUlT_T0_E_clISt17integral_constantIbLb1EESU_EEDaSP_SQ_EUlSP_E0_NS1_11comp_targetILNS1_3genE9ELNS1_11target_archE1100ELNS1_3gpuE3ELNS1_3repE0EEENS1_30default_config_static_selectorELNS0_4arch9wavefront6targetE1EEEvT1_,"axG",@progbits,_ZN7rocprim17ROCPRIM_400000_NS6detail17trampoline_kernelINS0_14default_configENS1_20scan_config_selectorIiEEZZNS1_9scan_implILNS1_25lookback_scan_determinismE0ELb1ELb1ES3_N6thrust23THRUST_200600_302600_NS6detail15normal_iteratorINS9_10device_ptrIiEEEESE_iNS9_4plusIiEEiEEDaPvRmT3_T4_T5_mT6_P12ihipStream_tbENKUlT_T0_E_clISt17integral_constantIbLb1EESU_EEDaSP_SQ_EUlSP_E0_NS1_11comp_targetILNS1_3genE9ELNS1_11target_archE1100ELNS1_3gpuE3ELNS1_3repE0EEENS1_30default_config_static_selectorELNS0_4arch9wavefront6targetE1EEEvT1_,comdat
	.protected	_ZN7rocprim17ROCPRIM_400000_NS6detail17trampoline_kernelINS0_14default_configENS1_20scan_config_selectorIiEEZZNS1_9scan_implILNS1_25lookback_scan_determinismE0ELb1ELb1ES3_N6thrust23THRUST_200600_302600_NS6detail15normal_iteratorINS9_10device_ptrIiEEEESE_iNS9_4plusIiEEiEEDaPvRmT3_T4_T5_mT6_P12ihipStream_tbENKUlT_T0_E_clISt17integral_constantIbLb1EESU_EEDaSP_SQ_EUlSP_E0_NS1_11comp_targetILNS1_3genE9ELNS1_11target_archE1100ELNS1_3gpuE3ELNS1_3repE0EEENS1_30default_config_static_selectorELNS0_4arch9wavefront6targetE1EEEvT1_ ; -- Begin function _ZN7rocprim17ROCPRIM_400000_NS6detail17trampoline_kernelINS0_14default_configENS1_20scan_config_selectorIiEEZZNS1_9scan_implILNS1_25lookback_scan_determinismE0ELb1ELb1ES3_N6thrust23THRUST_200600_302600_NS6detail15normal_iteratorINS9_10device_ptrIiEEEESE_iNS9_4plusIiEEiEEDaPvRmT3_T4_T5_mT6_P12ihipStream_tbENKUlT_T0_E_clISt17integral_constantIbLb1EESU_EEDaSP_SQ_EUlSP_E0_NS1_11comp_targetILNS1_3genE9ELNS1_11target_archE1100ELNS1_3gpuE3ELNS1_3repE0EEENS1_30default_config_static_selectorELNS0_4arch9wavefront6targetE1EEEvT1_
	.globl	_ZN7rocprim17ROCPRIM_400000_NS6detail17trampoline_kernelINS0_14default_configENS1_20scan_config_selectorIiEEZZNS1_9scan_implILNS1_25lookback_scan_determinismE0ELb1ELb1ES3_N6thrust23THRUST_200600_302600_NS6detail15normal_iteratorINS9_10device_ptrIiEEEESE_iNS9_4plusIiEEiEEDaPvRmT3_T4_T5_mT6_P12ihipStream_tbENKUlT_T0_E_clISt17integral_constantIbLb1EESU_EEDaSP_SQ_EUlSP_E0_NS1_11comp_targetILNS1_3genE9ELNS1_11target_archE1100ELNS1_3gpuE3ELNS1_3repE0EEENS1_30default_config_static_selectorELNS0_4arch9wavefront6targetE1EEEvT1_
	.p2align	8
	.type	_ZN7rocprim17ROCPRIM_400000_NS6detail17trampoline_kernelINS0_14default_configENS1_20scan_config_selectorIiEEZZNS1_9scan_implILNS1_25lookback_scan_determinismE0ELb1ELb1ES3_N6thrust23THRUST_200600_302600_NS6detail15normal_iteratorINS9_10device_ptrIiEEEESE_iNS9_4plusIiEEiEEDaPvRmT3_T4_T5_mT6_P12ihipStream_tbENKUlT_T0_E_clISt17integral_constantIbLb1EESU_EEDaSP_SQ_EUlSP_E0_NS1_11comp_targetILNS1_3genE9ELNS1_11target_archE1100ELNS1_3gpuE3ELNS1_3repE0EEENS1_30default_config_static_selectorELNS0_4arch9wavefront6targetE1EEEvT1_,@function
_ZN7rocprim17ROCPRIM_400000_NS6detail17trampoline_kernelINS0_14default_configENS1_20scan_config_selectorIiEEZZNS1_9scan_implILNS1_25lookback_scan_determinismE0ELb1ELb1ES3_N6thrust23THRUST_200600_302600_NS6detail15normal_iteratorINS9_10device_ptrIiEEEESE_iNS9_4plusIiEEiEEDaPvRmT3_T4_T5_mT6_P12ihipStream_tbENKUlT_T0_E_clISt17integral_constantIbLb1EESU_EEDaSP_SQ_EUlSP_E0_NS1_11comp_targetILNS1_3genE9ELNS1_11target_archE1100ELNS1_3gpuE3ELNS1_3repE0EEENS1_30default_config_static_selectorELNS0_4arch9wavefront6targetE1EEEvT1_: ; @_ZN7rocprim17ROCPRIM_400000_NS6detail17trampoline_kernelINS0_14default_configENS1_20scan_config_selectorIiEEZZNS1_9scan_implILNS1_25lookback_scan_determinismE0ELb1ELb1ES3_N6thrust23THRUST_200600_302600_NS6detail15normal_iteratorINS9_10device_ptrIiEEEESE_iNS9_4plusIiEEiEEDaPvRmT3_T4_T5_mT6_P12ihipStream_tbENKUlT_T0_E_clISt17integral_constantIbLb1EESU_EEDaSP_SQ_EUlSP_E0_NS1_11comp_targetILNS1_3genE9ELNS1_11target_archE1100ELNS1_3gpuE3ELNS1_3repE0EEENS1_30default_config_static_selectorELNS0_4arch9wavefront6targetE1EEEvT1_
; %bb.0:
	.section	.rodata,"a",@progbits
	.p2align	6, 0x0
	.amdhsa_kernel _ZN7rocprim17ROCPRIM_400000_NS6detail17trampoline_kernelINS0_14default_configENS1_20scan_config_selectorIiEEZZNS1_9scan_implILNS1_25lookback_scan_determinismE0ELb1ELb1ES3_N6thrust23THRUST_200600_302600_NS6detail15normal_iteratorINS9_10device_ptrIiEEEESE_iNS9_4plusIiEEiEEDaPvRmT3_T4_T5_mT6_P12ihipStream_tbENKUlT_T0_E_clISt17integral_constantIbLb1EESU_EEDaSP_SQ_EUlSP_E0_NS1_11comp_targetILNS1_3genE9ELNS1_11target_archE1100ELNS1_3gpuE3ELNS1_3repE0EEENS1_30default_config_static_selectorELNS0_4arch9wavefront6targetE1EEEvT1_
		.amdhsa_group_segment_fixed_size 0
		.amdhsa_private_segment_fixed_size 0
		.amdhsa_kernarg_size 32
		.amdhsa_user_sgpr_count 6
		.amdhsa_user_sgpr_private_segment_buffer 1
		.amdhsa_user_sgpr_dispatch_ptr 0
		.amdhsa_user_sgpr_queue_ptr 0
		.amdhsa_user_sgpr_kernarg_segment_ptr 1
		.amdhsa_user_sgpr_dispatch_id 0
		.amdhsa_user_sgpr_flat_scratch_init 0
		.amdhsa_user_sgpr_kernarg_preload_length 0
		.amdhsa_user_sgpr_kernarg_preload_offset 0
		.amdhsa_user_sgpr_private_segment_size 0
		.amdhsa_uses_dynamic_stack 0
		.amdhsa_system_sgpr_private_segment_wavefront_offset 0
		.amdhsa_system_sgpr_workgroup_id_x 1
		.amdhsa_system_sgpr_workgroup_id_y 0
		.amdhsa_system_sgpr_workgroup_id_z 0
		.amdhsa_system_sgpr_workgroup_info 0
		.amdhsa_system_vgpr_workitem_id 0
		.amdhsa_next_free_vgpr 1
		.amdhsa_next_free_sgpr 0
		.amdhsa_accum_offset 4
		.amdhsa_reserve_vcc 0
		.amdhsa_reserve_flat_scratch 0
		.amdhsa_float_round_mode_32 0
		.amdhsa_float_round_mode_16_64 0
		.amdhsa_float_denorm_mode_32 3
		.amdhsa_float_denorm_mode_16_64 3
		.amdhsa_dx10_clamp 1
		.amdhsa_ieee_mode 1
		.amdhsa_fp16_overflow 0
		.amdhsa_tg_split 0
		.amdhsa_exception_fp_ieee_invalid_op 0
		.amdhsa_exception_fp_denorm_src 0
		.amdhsa_exception_fp_ieee_div_zero 0
		.amdhsa_exception_fp_ieee_overflow 0
		.amdhsa_exception_fp_ieee_underflow 0
		.amdhsa_exception_fp_ieee_inexact 0
		.amdhsa_exception_int_div_zero 0
	.end_amdhsa_kernel
	.section	.text._ZN7rocprim17ROCPRIM_400000_NS6detail17trampoline_kernelINS0_14default_configENS1_20scan_config_selectorIiEEZZNS1_9scan_implILNS1_25lookback_scan_determinismE0ELb1ELb1ES3_N6thrust23THRUST_200600_302600_NS6detail15normal_iteratorINS9_10device_ptrIiEEEESE_iNS9_4plusIiEEiEEDaPvRmT3_T4_T5_mT6_P12ihipStream_tbENKUlT_T0_E_clISt17integral_constantIbLb1EESU_EEDaSP_SQ_EUlSP_E0_NS1_11comp_targetILNS1_3genE9ELNS1_11target_archE1100ELNS1_3gpuE3ELNS1_3repE0EEENS1_30default_config_static_selectorELNS0_4arch9wavefront6targetE1EEEvT1_,"axG",@progbits,_ZN7rocprim17ROCPRIM_400000_NS6detail17trampoline_kernelINS0_14default_configENS1_20scan_config_selectorIiEEZZNS1_9scan_implILNS1_25lookback_scan_determinismE0ELb1ELb1ES3_N6thrust23THRUST_200600_302600_NS6detail15normal_iteratorINS9_10device_ptrIiEEEESE_iNS9_4plusIiEEiEEDaPvRmT3_T4_T5_mT6_P12ihipStream_tbENKUlT_T0_E_clISt17integral_constantIbLb1EESU_EEDaSP_SQ_EUlSP_E0_NS1_11comp_targetILNS1_3genE9ELNS1_11target_archE1100ELNS1_3gpuE3ELNS1_3repE0EEENS1_30default_config_static_selectorELNS0_4arch9wavefront6targetE1EEEvT1_,comdat
.Lfunc_end694:
	.size	_ZN7rocprim17ROCPRIM_400000_NS6detail17trampoline_kernelINS0_14default_configENS1_20scan_config_selectorIiEEZZNS1_9scan_implILNS1_25lookback_scan_determinismE0ELb1ELb1ES3_N6thrust23THRUST_200600_302600_NS6detail15normal_iteratorINS9_10device_ptrIiEEEESE_iNS9_4plusIiEEiEEDaPvRmT3_T4_T5_mT6_P12ihipStream_tbENKUlT_T0_E_clISt17integral_constantIbLb1EESU_EEDaSP_SQ_EUlSP_E0_NS1_11comp_targetILNS1_3genE9ELNS1_11target_archE1100ELNS1_3gpuE3ELNS1_3repE0EEENS1_30default_config_static_selectorELNS0_4arch9wavefront6targetE1EEEvT1_, .Lfunc_end694-_ZN7rocprim17ROCPRIM_400000_NS6detail17trampoline_kernelINS0_14default_configENS1_20scan_config_selectorIiEEZZNS1_9scan_implILNS1_25lookback_scan_determinismE0ELb1ELb1ES3_N6thrust23THRUST_200600_302600_NS6detail15normal_iteratorINS9_10device_ptrIiEEEESE_iNS9_4plusIiEEiEEDaPvRmT3_T4_T5_mT6_P12ihipStream_tbENKUlT_T0_E_clISt17integral_constantIbLb1EESU_EEDaSP_SQ_EUlSP_E0_NS1_11comp_targetILNS1_3genE9ELNS1_11target_archE1100ELNS1_3gpuE3ELNS1_3repE0EEENS1_30default_config_static_selectorELNS0_4arch9wavefront6targetE1EEEvT1_
                                        ; -- End function
	.section	.AMDGPU.csdata,"",@progbits
; Kernel info:
; codeLenInByte = 0
; NumSgprs: 4
; NumVgprs: 0
; NumAgprs: 0
; TotalNumVgprs: 0
; ScratchSize: 0
; MemoryBound: 0
; FloatMode: 240
; IeeeMode: 1
; LDSByteSize: 0 bytes/workgroup (compile time only)
; SGPRBlocks: 0
; VGPRBlocks: 0
; NumSGPRsForWavesPerEU: 4
; NumVGPRsForWavesPerEU: 1
; AccumOffset: 4
; Occupancy: 8
; WaveLimiterHint : 0
; COMPUTE_PGM_RSRC2:SCRATCH_EN: 0
; COMPUTE_PGM_RSRC2:USER_SGPR: 6
; COMPUTE_PGM_RSRC2:TRAP_HANDLER: 0
; COMPUTE_PGM_RSRC2:TGID_X_EN: 1
; COMPUTE_PGM_RSRC2:TGID_Y_EN: 0
; COMPUTE_PGM_RSRC2:TGID_Z_EN: 0
; COMPUTE_PGM_RSRC2:TIDIG_COMP_CNT: 0
; COMPUTE_PGM_RSRC3_GFX90A:ACCUM_OFFSET: 0
; COMPUTE_PGM_RSRC3_GFX90A:TG_SPLIT: 0
	.section	.text._ZN7rocprim17ROCPRIM_400000_NS6detail17trampoline_kernelINS0_14default_configENS1_20scan_config_selectorIiEEZZNS1_9scan_implILNS1_25lookback_scan_determinismE0ELb1ELb1ES3_N6thrust23THRUST_200600_302600_NS6detail15normal_iteratorINS9_10device_ptrIiEEEESE_iNS9_4plusIiEEiEEDaPvRmT3_T4_T5_mT6_P12ihipStream_tbENKUlT_T0_E_clISt17integral_constantIbLb1EESU_EEDaSP_SQ_EUlSP_E0_NS1_11comp_targetILNS1_3genE8ELNS1_11target_archE1030ELNS1_3gpuE2ELNS1_3repE0EEENS1_30default_config_static_selectorELNS0_4arch9wavefront6targetE1EEEvT1_,"axG",@progbits,_ZN7rocprim17ROCPRIM_400000_NS6detail17trampoline_kernelINS0_14default_configENS1_20scan_config_selectorIiEEZZNS1_9scan_implILNS1_25lookback_scan_determinismE0ELb1ELb1ES3_N6thrust23THRUST_200600_302600_NS6detail15normal_iteratorINS9_10device_ptrIiEEEESE_iNS9_4plusIiEEiEEDaPvRmT3_T4_T5_mT6_P12ihipStream_tbENKUlT_T0_E_clISt17integral_constantIbLb1EESU_EEDaSP_SQ_EUlSP_E0_NS1_11comp_targetILNS1_3genE8ELNS1_11target_archE1030ELNS1_3gpuE2ELNS1_3repE0EEENS1_30default_config_static_selectorELNS0_4arch9wavefront6targetE1EEEvT1_,comdat
	.protected	_ZN7rocprim17ROCPRIM_400000_NS6detail17trampoline_kernelINS0_14default_configENS1_20scan_config_selectorIiEEZZNS1_9scan_implILNS1_25lookback_scan_determinismE0ELb1ELb1ES3_N6thrust23THRUST_200600_302600_NS6detail15normal_iteratorINS9_10device_ptrIiEEEESE_iNS9_4plusIiEEiEEDaPvRmT3_T4_T5_mT6_P12ihipStream_tbENKUlT_T0_E_clISt17integral_constantIbLb1EESU_EEDaSP_SQ_EUlSP_E0_NS1_11comp_targetILNS1_3genE8ELNS1_11target_archE1030ELNS1_3gpuE2ELNS1_3repE0EEENS1_30default_config_static_selectorELNS0_4arch9wavefront6targetE1EEEvT1_ ; -- Begin function _ZN7rocprim17ROCPRIM_400000_NS6detail17trampoline_kernelINS0_14default_configENS1_20scan_config_selectorIiEEZZNS1_9scan_implILNS1_25lookback_scan_determinismE0ELb1ELb1ES3_N6thrust23THRUST_200600_302600_NS6detail15normal_iteratorINS9_10device_ptrIiEEEESE_iNS9_4plusIiEEiEEDaPvRmT3_T4_T5_mT6_P12ihipStream_tbENKUlT_T0_E_clISt17integral_constantIbLb1EESU_EEDaSP_SQ_EUlSP_E0_NS1_11comp_targetILNS1_3genE8ELNS1_11target_archE1030ELNS1_3gpuE2ELNS1_3repE0EEENS1_30default_config_static_selectorELNS0_4arch9wavefront6targetE1EEEvT1_
	.globl	_ZN7rocprim17ROCPRIM_400000_NS6detail17trampoline_kernelINS0_14default_configENS1_20scan_config_selectorIiEEZZNS1_9scan_implILNS1_25lookback_scan_determinismE0ELb1ELb1ES3_N6thrust23THRUST_200600_302600_NS6detail15normal_iteratorINS9_10device_ptrIiEEEESE_iNS9_4plusIiEEiEEDaPvRmT3_T4_T5_mT6_P12ihipStream_tbENKUlT_T0_E_clISt17integral_constantIbLb1EESU_EEDaSP_SQ_EUlSP_E0_NS1_11comp_targetILNS1_3genE8ELNS1_11target_archE1030ELNS1_3gpuE2ELNS1_3repE0EEENS1_30default_config_static_selectorELNS0_4arch9wavefront6targetE1EEEvT1_
	.p2align	8
	.type	_ZN7rocprim17ROCPRIM_400000_NS6detail17trampoline_kernelINS0_14default_configENS1_20scan_config_selectorIiEEZZNS1_9scan_implILNS1_25lookback_scan_determinismE0ELb1ELb1ES3_N6thrust23THRUST_200600_302600_NS6detail15normal_iteratorINS9_10device_ptrIiEEEESE_iNS9_4plusIiEEiEEDaPvRmT3_T4_T5_mT6_P12ihipStream_tbENKUlT_T0_E_clISt17integral_constantIbLb1EESU_EEDaSP_SQ_EUlSP_E0_NS1_11comp_targetILNS1_3genE8ELNS1_11target_archE1030ELNS1_3gpuE2ELNS1_3repE0EEENS1_30default_config_static_selectorELNS0_4arch9wavefront6targetE1EEEvT1_,@function
_ZN7rocprim17ROCPRIM_400000_NS6detail17trampoline_kernelINS0_14default_configENS1_20scan_config_selectorIiEEZZNS1_9scan_implILNS1_25lookback_scan_determinismE0ELb1ELb1ES3_N6thrust23THRUST_200600_302600_NS6detail15normal_iteratorINS9_10device_ptrIiEEEESE_iNS9_4plusIiEEiEEDaPvRmT3_T4_T5_mT6_P12ihipStream_tbENKUlT_T0_E_clISt17integral_constantIbLb1EESU_EEDaSP_SQ_EUlSP_E0_NS1_11comp_targetILNS1_3genE8ELNS1_11target_archE1030ELNS1_3gpuE2ELNS1_3repE0EEENS1_30default_config_static_selectorELNS0_4arch9wavefront6targetE1EEEvT1_: ; @_ZN7rocprim17ROCPRIM_400000_NS6detail17trampoline_kernelINS0_14default_configENS1_20scan_config_selectorIiEEZZNS1_9scan_implILNS1_25lookback_scan_determinismE0ELb1ELb1ES3_N6thrust23THRUST_200600_302600_NS6detail15normal_iteratorINS9_10device_ptrIiEEEESE_iNS9_4plusIiEEiEEDaPvRmT3_T4_T5_mT6_P12ihipStream_tbENKUlT_T0_E_clISt17integral_constantIbLb1EESU_EEDaSP_SQ_EUlSP_E0_NS1_11comp_targetILNS1_3genE8ELNS1_11target_archE1030ELNS1_3gpuE2ELNS1_3repE0EEENS1_30default_config_static_selectorELNS0_4arch9wavefront6targetE1EEEvT1_
; %bb.0:
	.section	.rodata,"a",@progbits
	.p2align	6, 0x0
	.amdhsa_kernel _ZN7rocprim17ROCPRIM_400000_NS6detail17trampoline_kernelINS0_14default_configENS1_20scan_config_selectorIiEEZZNS1_9scan_implILNS1_25lookback_scan_determinismE0ELb1ELb1ES3_N6thrust23THRUST_200600_302600_NS6detail15normal_iteratorINS9_10device_ptrIiEEEESE_iNS9_4plusIiEEiEEDaPvRmT3_T4_T5_mT6_P12ihipStream_tbENKUlT_T0_E_clISt17integral_constantIbLb1EESU_EEDaSP_SQ_EUlSP_E0_NS1_11comp_targetILNS1_3genE8ELNS1_11target_archE1030ELNS1_3gpuE2ELNS1_3repE0EEENS1_30default_config_static_selectorELNS0_4arch9wavefront6targetE1EEEvT1_
		.amdhsa_group_segment_fixed_size 0
		.amdhsa_private_segment_fixed_size 0
		.amdhsa_kernarg_size 32
		.amdhsa_user_sgpr_count 6
		.amdhsa_user_sgpr_private_segment_buffer 1
		.amdhsa_user_sgpr_dispatch_ptr 0
		.amdhsa_user_sgpr_queue_ptr 0
		.amdhsa_user_sgpr_kernarg_segment_ptr 1
		.amdhsa_user_sgpr_dispatch_id 0
		.amdhsa_user_sgpr_flat_scratch_init 0
		.amdhsa_user_sgpr_kernarg_preload_length 0
		.amdhsa_user_sgpr_kernarg_preload_offset 0
		.amdhsa_user_sgpr_private_segment_size 0
		.amdhsa_uses_dynamic_stack 0
		.amdhsa_system_sgpr_private_segment_wavefront_offset 0
		.amdhsa_system_sgpr_workgroup_id_x 1
		.amdhsa_system_sgpr_workgroup_id_y 0
		.amdhsa_system_sgpr_workgroup_id_z 0
		.amdhsa_system_sgpr_workgroup_info 0
		.amdhsa_system_vgpr_workitem_id 0
		.amdhsa_next_free_vgpr 1
		.amdhsa_next_free_sgpr 0
		.amdhsa_accum_offset 4
		.amdhsa_reserve_vcc 0
		.amdhsa_reserve_flat_scratch 0
		.amdhsa_float_round_mode_32 0
		.amdhsa_float_round_mode_16_64 0
		.amdhsa_float_denorm_mode_32 3
		.amdhsa_float_denorm_mode_16_64 3
		.amdhsa_dx10_clamp 1
		.amdhsa_ieee_mode 1
		.amdhsa_fp16_overflow 0
		.amdhsa_tg_split 0
		.amdhsa_exception_fp_ieee_invalid_op 0
		.amdhsa_exception_fp_denorm_src 0
		.amdhsa_exception_fp_ieee_div_zero 0
		.amdhsa_exception_fp_ieee_overflow 0
		.amdhsa_exception_fp_ieee_underflow 0
		.amdhsa_exception_fp_ieee_inexact 0
		.amdhsa_exception_int_div_zero 0
	.end_amdhsa_kernel
	.section	.text._ZN7rocprim17ROCPRIM_400000_NS6detail17trampoline_kernelINS0_14default_configENS1_20scan_config_selectorIiEEZZNS1_9scan_implILNS1_25lookback_scan_determinismE0ELb1ELb1ES3_N6thrust23THRUST_200600_302600_NS6detail15normal_iteratorINS9_10device_ptrIiEEEESE_iNS9_4plusIiEEiEEDaPvRmT3_T4_T5_mT6_P12ihipStream_tbENKUlT_T0_E_clISt17integral_constantIbLb1EESU_EEDaSP_SQ_EUlSP_E0_NS1_11comp_targetILNS1_3genE8ELNS1_11target_archE1030ELNS1_3gpuE2ELNS1_3repE0EEENS1_30default_config_static_selectorELNS0_4arch9wavefront6targetE1EEEvT1_,"axG",@progbits,_ZN7rocprim17ROCPRIM_400000_NS6detail17trampoline_kernelINS0_14default_configENS1_20scan_config_selectorIiEEZZNS1_9scan_implILNS1_25lookback_scan_determinismE0ELb1ELb1ES3_N6thrust23THRUST_200600_302600_NS6detail15normal_iteratorINS9_10device_ptrIiEEEESE_iNS9_4plusIiEEiEEDaPvRmT3_T4_T5_mT6_P12ihipStream_tbENKUlT_T0_E_clISt17integral_constantIbLb1EESU_EEDaSP_SQ_EUlSP_E0_NS1_11comp_targetILNS1_3genE8ELNS1_11target_archE1030ELNS1_3gpuE2ELNS1_3repE0EEENS1_30default_config_static_selectorELNS0_4arch9wavefront6targetE1EEEvT1_,comdat
.Lfunc_end695:
	.size	_ZN7rocprim17ROCPRIM_400000_NS6detail17trampoline_kernelINS0_14default_configENS1_20scan_config_selectorIiEEZZNS1_9scan_implILNS1_25lookback_scan_determinismE0ELb1ELb1ES3_N6thrust23THRUST_200600_302600_NS6detail15normal_iteratorINS9_10device_ptrIiEEEESE_iNS9_4plusIiEEiEEDaPvRmT3_T4_T5_mT6_P12ihipStream_tbENKUlT_T0_E_clISt17integral_constantIbLb1EESU_EEDaSP_SQ_EUlSP_E0_NS1_11comp_targetILNS1_3genE8ELNS1_11target_archE1030ELNS1_3gpuE2ELNS1_3repE0EEENS1_30default_config_static_selectorELNS0_4arch9wavefront6targetE1EEEvT1_, .Lfunc_end695-_ZN7rocprim17ROCPRIM_400000_NS6detail17trampoline_kernelINS0_14default_configENS1_20scan_config_selectorIiEEZZNS1_9scan_implILNS1_25lookback_scan_determinismE0ELb1ELb1ES3_N6thrust23THRUST_200600_302600_NS6detail15normal_iteratorINS9_10device_ptrIiEEEESE_iNS9_4plusIiEEiEEDaPvRmT3_T4_T5_mT6_P12ihipStream_tbENKUlT_T0_E_clISt17integral_constantIbLb1EESU_EEDaSP_SQ_EUlSP_E0_NS1_11comp_targetILNS1_3genE8ELNS1_11target_archE1030ELNS1_3gpuE2ELNS1_3repE0EEENS1_30default_config_static_selectorELNS0_4arch9wavefront6targetE1EEEvT1_
                                        ; -- End function
	.section	.AMDGPU.csdata,"",@progbits
; Kernel info:
; codeLenInByte = 0
; NumSgprs: 4
; NumVgprs: 0
; NumAgprs: 0
; TotalNumVgprs: 0
; ScratchSize: 0
; MemoryBound: 0
; FloatMode: 240
; IeeeMode: 1
; LDSByteSize: 0 bytes/workgroup (compile time only)
; SGPRBlocks: 0
; VGPRBlocks: 0
; NumSGPRsForWavesPerEU: 4
; NumVGPRsForWavesPerEU: 1
; AccumOffset: 4
; Occupancy: 8
; WaveLimiterHint : 0
; COMPUTE_PGM_RSRC2:SCRATCH_EN: 0
; COMPUTE_PGM_RSRC2:USER_SGPR: 6
; COMPUTE_PGM_RSRC2:TRAP_HANDLER: 0
; COMPUTE_PGM_RSRC2:TGID_X_EN: 1
; COMPUTE_PGM_RSRC2:TGID_Y_EN: 0
; COMPUTE_PGM_RSRC2:TGID_Z_EN: 0
; COMPUTE_PGM_RSRC2:TIDIG_COMP_CNT: 0
; COMPUTE_PGM_RSRC3_GFX90A:ACCUM_OFFSET: 0
; COMPUTE_PGM_RSRC3_GFX90A:TG_SPLIT: 0
	.section	.text._ZN7rocprim17ROCPRIM_400000_NS6detail17trampoline_kernelINS0_14default_configENS1_20scan_config_selectorIiEEZZNS1_9scan_implILNS1_25lookback_scan_determinismE0ELb1ELb1ES3_N6thrust23THRUST_200600_302600_NS6detail15normal_iteratorINS9_10device_ptrIiEEEESE_iNS9_4plusIiEEiEEDaPvRmT3_T4_T5_mT6_P12ihipStream_tbENKUlT_T0_E_clISt17integral_constantIbLb1EEST_IbLb0EEEEDaSP_SQ_EUlSP_E_NS1_11comp_targetILNS1_3genE0ELNS1_11target_archE4294967295ELNS1_3gpuE0ELNS1_3repE0EEENS1_30default_config_static_selectorELNS0_4arch9wavefront6targetE1EEEvT1_,"axG",@progbits,_ZN7rocprim17ROCPRIM_400000_NS6detail17trampoline_kernelINS0_14default_configENS1_20scan_config_selectorIiEEZZNS1_9scan_implILNS1_25lookback_scan_determinismE0ELb1ELb1ES3_N6thrust23THRUST_200600_302600_NS6detail15normal_iteratorINS9_10device_ptrIiEEEESE_iNS9_4plusIiEEiEEDaPvRmT3_T4_T5_mT6_P12ihipStream_tbENKUlT_T0_E_clISt17integral_constantIbLb1EEST_IbLb0EEEEDaSP_SQ_EUlSP_E_NS1_11comp_targetILNS1_3genE0ELNS1_11target_archE4294967295ELNS1_3gpuE0ELNS1_3repE0EEENS1_30default_config_static_selectorELNS0_4arch9wavefront6targetE1EEEvT1_,comdat
	.protected	_ZN7rocprim17ROCPRIM_400000_NS6detail17trampoline_kernelINS0_14default_configENS1_20scan_config_selectorIiEEZZNS1_9scan_implILNS1_25lookback_scan_determinismE0ELb1ELb1ES3_N6thrust23THRUST_200600_302600_NS6detail15normal_iteratorINS9_10device_ptrIiEEEESE_iNS9_4plusIiEEiEEDaPvRmT3_T4_T5_mT6_P12ihipStream_tbENKUlT_T0_E_clISt17integral_constantIbLb1EEST_IbLb0EEEEDaSP_SQ_EUlSP_E_NS1_11comp_targetILNS1_3genE0ELNS1_11target_archE4294967295ELNS1_3gpuE0ELNS1_3repE0EEENS1_30default_config_static_selectorELNS0_4arch9wavefront6targetE1EEEvT1_ ; -- Begin function _ZN7rocprim17ROCPRIM_400000_NS6detail17trampoline_kernelINS0_14default_configENS1_20scan_config_selectorIiEEZZNS1_9scan_implILNS1_25lookback_scan_determinismE0ELb1ELb1ES3_N6thrust23THRUST_200600_302600_NS6detail15normal_iteratorINS9_10device_ptrIiEEEESE_iNS9_4plusIiEEiEEDaPvRmT3_T4_T5_mT6_P12ihipStream_tbENKUlT_T0_E_clISt17integral_constantIbLb1EEST_IbLb0EEEEDaSP_SQ_EUlSP_E_NS1_11comp_targetILNS1_3genE0ELNS1_11target_archE4294967295ELNS1_3gpuE0ELNS1_3repE0EEENS1_30default_config_static_selectorELNS0_4arch9wavefront6targetE1EEEvT1_
	.globl	_ZN7rocprim17ROCPRIM_400000_NS6detail17trampoline_kernelINS0_14default_configENS1_20scan_config_selectorIiEEZZNS1_9scan_implILNS1_25lookback_scan_determinismE0ELb1ELb1ES3_N6thrust23THRUST_200600_302600_NS6detail15normal_iteratorINS9_10device_ptrIiEEEESE_iNS9_4plusIiEEiEEDaPvRmT3_T4_T5_mT6_P12ihipStream_tbENKUlT_T0_E_clISt17integral_constantIbLb1EEST_IbLb0EEEEDaSP_SQ_EUlSP_E_NS1_11comp_targetILNS1_3genE0ELNS1_11target_archE4294967295ELNS1_3gpuE0ELNS1_3repE0EEENS1_30default_config_static_selectorELNS0_4arch9wavefront6targetE1EEEvT1_
	.p2align	8
	.type	_ZN7rocprim17ROCPRIM_400000_NS6detail17trampoline_kernelINS0_14default_configENS1_20scan_config_selectorIiEEZZNS1_9scan_implILNS1_25lookback_scan_determinismE0ELb1ELb1ES3_N6thrust23THRUST_200600_302600_NS6detail15normal_iteratorINS9_10device_ptrIiEEEESE_iNS9_4plusIiEEiEEDaPvRmT3_T4_T5_mT6_P12ihipStream_tbENKUlT_T0_E_clISt17integral_constantIbLb1EEST_IbLb0EEEEDaSP_SQ_EUlSP_E_NS1_11comp_targetILNS1_3genE0ELNS1_11target_archE4294967295ELNS1_3gpuE0ELNS1_3repE0EEENS1_30default_config_static_selectorELNS0_4arch9wavefront6targetE1EEEvT1_,@function
_ZN7rocprim17ROCPRIM_400000_NS6detail17trampoline_kernelINS0_14default_configENS1_20scan_config_selectorIiEEZZNS1_9scan_implILNS1_25lookback_scan_determinismE0ELb1ELb1ES3_N6thrust23THRUST_200600_302600_NS6detail15normal_iteratorINS9_10device_ptrIiEEEESE_iNS9_4plusIiEEiEEDaPvRmT3_T4_T5_mT6_P12ihipStream_tbENKUlT_T0_E_clISt17integral_constantIbLb1EEST_IbLb0EEEEDaSP_SQ_EUlSP_E_NS1_11comp_targetILNS1_3genE0ELNS1_11target_archE4294967295ELNS1_3gpuE0ELNS1_3repE0EEENS1_30default_config_static_selectorELNS0_4arch9wavefront6targetE1EEEvT1_: ; @_ZN7rocprim17ROCPRIM_400000_NS6detail17trampoline_kernelINS0_14default_configENS1_20scan_config_selectorIiEEZZNS1_9scan_implILNS1_25lookback_scan_determinismE0ELb1ELb1ES3_N6thrust23THRUST_200600_302600_NS6detail15normal_iteratorINS9_10device_ptrIiEEEESE_iNS9_4plusIiEEiEEDaPvRmT3_T4_T5_mT6_P12ihipStream_tbENKUlT_T0_E_clISt17integral_constantIbLb1EEST_IbLb0EEEEDaSP_SQ_EUlSP_E_NS1_11comp_targetILNS1_3genE0ELNS1_11target_archE4294967295ELNS1_3gpuE0ELNS1_3repE0EEENS1_30default_config_static_selectorELNS0_4arch9wavefront6targetE1EEEvT1_
; %bb.0:
	.section	.rodata,"a",@progbits
	.p2align	6, 0x0
	.amdhsa_kernel _ZN7rocprim17ROCPRIM_400000_NS6detail17trampoline_kernelINS0_14default_configENS1_20scan_config_selectorIiEEZZNS1_9scan_implILNS1_25lookback_scan_determinismE0ELb1ELb1ES3_N6thrust23THRUST_200600_302600_NS6detail15normal_iteratorINS9_10device_ptrIiEEEESE_iNS9_4plusIiEEiEEDaPvRmT3_T4_T5_mT6_P12ihipStream_tbENKUlT_T0_E_clISt17integral_constantIbLb1EEST_IbLb0EEEEDaSP_SQ_EUlSP_E_NS1_11comp_targetILNS1_3genE0ELNS1_11target_archE4294967295ELNS1_3gpuE0ELNS1_3repE0EEENS1_30default_config_static_selectorELNS0_4arch9wavefront6targetE1EEEvT1_
		.amdhsa_group_segment_fixed_size 0
		.amdhsa_private_segment_fixed_size 0
		.amdhsa_kernarg_size 96
		.amdhsa_user_sgpr_count 6
		.amdhsa_user_sgpr_private_segment_buffer 1
		.amdhsa_user_sgpr_dispatch_ptr 0
		.amdhsa_user_sgpr_queue_ptr 0
		.amdhsa_user_sgpr_kernarg_segment_ptr 1
		.amdhsa_user_sgpr_dispatch_id 0
		.amdhsa_user_sgpr_flat_scratch_init 0
		.amdhsa_user_sgpr_kernarg_preload_length 0
		.amdhsa_user_sgpr_kernarg_preload_offset 0
		.amdhsa_user_sgpr_private_segment_size 0
		.amdhsa_uses_dynamic_stack 0
		.amdhsa_system_sgpr_private_segment_wavefront_offset 0
		.amdhsa_system_sgpr_workgroup_id_x 1
		.amdhsa_system_sgpr_workgroup_id_y 0
		.amdhsa_system_sgpr_workgroup_id_z 0
		.amdhsa_system_sgpr_workgroup_info 0
		.amdhsa_system_vgpr_workitem_id 0
		.amdhsa_next_free_vgpr 1
		.amdhsa_next_free_sgpr 0
		.amdhsa_accum_offset 4
		.amdhsa_reserve_vcc 0
		.amdhsa_reserve_flat_scratch 0
		.amdhsa_float_round_mode_32 0
		.amdhsa_float_round_mode_16_64 0
		.amdhsa_float_denorm_mode_32 3
		.amdhsa_float_denorm_mode_16_64 3
		.amdhsa_dx10_clamp 1
		.amdhsa_ieee_mode 1
		.amdhsa_fp16_overflow 0
		.amdhsa_tg_split 0
		.amdhsa_exception_fp_ieee_invalid_op 0
		.amdhsa_exception_fp_denorm_src 0
		.amdhsa_exception_fp_ieee_div_zero 0
		.amdhsa_exception_fp_ieee_overflow 0
		.amdhsa_exception_fp_ieee_underflow 0
		.amdhsa_exception_fp_ieee_inexact 0
		.amdhsa_exception_int_div_zero 0
	.end_amdhsa_kernel
	.section	.text._ZN7rocprim17ROCPRIM_400000_NS6detail17trampoline_kernelINS0_14default_configENS1_20scan_config_selectorIiEEZZNS1_9scan_implILNS1_25lookback_scan_determinismE0ELb1ELb1ES3_N6thrust23THRUST_200600_302600_NS6detail15normal_iteratorINS9_10device_ptrIiEEEESE_iNS9_4plusIiEEiEEDaPvRmT3_T4_T5_mT6_P12ihipStream_tbENKUlT_T0_E_clISt17integral_constantIbLb1EEST_IbLb0EEEEDaSP_SQ_EUlSP_E_NS1_11comp_targetILNS1_3genE0ELNS1_11target_archE4294967295ELNS1_3gpuE0ELNS1_3repE0EEENS1_30default_config_static_selectorELNS0_4arch9wavefront6targetE1EEEvT1_,"axG",@progbits,_ZN7rocprim17ROCPRIM_400000_NS6detail17trampoline_kernelINS0_14default_configENS1_20scan_config_selectorIiEEZZNS1_9scan_implILNS1_25lookback_scan_determinismE0ELb1ELb1ES3_N6thrust23THRUST_200600_302600_NS6detail15normal_iteratorINS9_10device_ptrIiEEEESE_iNS9_4plusIiEEiEEDaPvRmT3_T4_T5_mT6_P12ihipStream_tbENKUlT_T0_E_clISt17integral_constantIbLb1EEST_IbLb0EEEEDaSP_SQ_EUlSP_E_NS1_11comp_targetILNS1_3genE0ELNS1_11target_archE4294967295ELNS1_3gpuE0ELNS1_3repE0EEENS1_30default_config_static_selectorELNS0_4arch9wavefront6targetE1EEEvT1_,comdat
.Lfunc_end696:
	.size	_ZN7rocprim17ROCPRIM_400000_NS6detail17trampoline_kernelINS0_14default_configENS1_20scan_config_selectorIiEEZZNS1_9scan_implILNS1_25lookback_scan_determinismE0ELb1ELb1ES3_N6thrust23THRUST_200600_302600_NS6detail15normal_iteratorINS9_10device_ptrIiEEEESE_iNS9_4plusIiEEiEEDaPvRmT3_T4_T5_mT6_P12ihipStream_tbENKUlT_T0_E_clISt17integral_constantIbLb1EEST_IbLb0EEEEDaSP_SQ_EUlSP_E_NS1_11comp_targetILNS1_3genE0ELNS1_11target_archE4294967295ELNS1_3gpuE0ELNS1_3repE0EEENS1_30default_config_static_selectorELNS0_4arch9wavefront6targetE1EEEvT1_, .Lfunc_end696-_ZN7rocprim17ROCPRIM_400000_NS6detail17trampoline_kernelINS0_14default_configENS1_20scan_config_selectorIiEEZZNS1_9scan_implILNS1_25lookback_scan_determinismE0ELb1ELb1ES3_N6thrust23THRUST_200600_302600_NS6detail15normal_iteratorINS9_10device_ptrIiEEEESE_iNS9_4plusIiEEiEEDaPvRmT3_T4_T5_mT6_P12ihipStream_tbENKUlT_T0_E_clISt17integral_constantIbLb1EEST_IbLb0EEEEDaSP_SQ_EUlSP_E_NS1_11comp_targetILNS1_3genE0ELNS1_11target_archE4294967295ELNS1_3gpuE0ELNS1_3repE0EEENS1_30default_config_static_selectorELNS0_4arch9wavefront6targetE1EEEvT1_
                                        ; -- End function
	.section	.AMDGPU.csdata,"",@progbits
; Kernel info:
; codeLenInByte = 0
; NumSgprs: 4
; NumVgprs: 0
; NumAgprs: 0
; TotalNumVgprs: 0
; ScratchSize: 0
; MemoryBound: 0
; FloatMode: 240
; IeeeMode: 1
; LDSByteSize: 0 bytes/workgroup (compile time only)
; SGPRBlocks: 0
; VGPRBlocks: 0
; NumSGPRsForWavesPerEU: 4
; NumVGPRsForWavesPerEU: 1
; AccumOffset: 4
; Occupancy: 8
; WaveLimiterHint : 0
; COMPUTE_PGM_RSRC2:SCRATCH_EN: 0
; COMPUTE_PGM_RSRC2:USER_SGPR: 6
; COMPUTE_PGM_RSRC2:TRAP_HANDLER: 0
; COMPUTE_PGM_RSRC2:TGID_X_EN: 1
; COMPUTE_PGM_RSRC2:TGID_Y_EN: 0
; COMPUTE_PGM_RSRC2:TGID_Z_EN: 0
; COMPUTE_PGM_RSRC2:TIDIG_COMP_CNT: 0
; COMPUTE_PGM_RSRC3_GFX90A:ACCUM_OFFSET: 0
; COMPUTE_PGM_RSRC3_GFX90A:TG_SPLIT: 0
	.section	.text._ZN7rocprim17ROCPRIM_400000_NS6detail17trampoline_kernelINS0_14default_configENS1_20scan_config_selectorIiEEZZNS1_9scan_implILNS1_25lookback_scan_determinismE0ELb1ELb1ES3_N6thrust23THRUST_200600_302600_NS6detail15normal_iteratorINS9_10device_ptrIiEEEESE_iNS9_4plusIiEEiEEDaPvRmT3_T4_T5_mT6_P12ihipStream_tbENKUlT_T0_E_clISt17integral_constantIbLb1EEST_IbLb0EEEEDaSP_SQ_EUlSP_E_NS1_11comp_targetILNS1_3genE5ELNS1_11target_archE942ELNS1_3gpuE9ELNS1_3repE0EEENS1_30default_config_static_selectorELNS0_4arch9wavefront6targetE1EEEvT1_,"axG",@progbits,_ZN7rocprim17ROCPRIM_400000_NS6detail17trampoline_kernelINS0_14default_configENS1_20scan_config_selectorIiEEZZNS1_9scan_implILNS1_25lookback_scan_determinismE0ELb1ELb1ES3_N6thrust23THRUST_200600_302600_NS6detail15normal_iteratorINS9_10device_ptrIiEEEESE_iNS9_4plusIiEEiEEDaPvRmT3_T4_T5_mT6_P12ihipStream_tbENKUlT_T0_E_clISt17integral_constantIbLb1EEST_IbLb0EEEEDaSP_SQ_EUlSP_E_NS1_11comp_targetILNS1_3genE5ELNS1_11target_archE942ELNS1_3gpuE9ELNS1_3repE0EEENS1_30default_config_static_selectorELNS0_4arch9wavefront6targetE1EEEvT1_,comdat
	.protected	_ZN7rocprim17ROCPRIM_400000_NS6detail17trampoline_kernelINS0_14default_configENS1_20scan_config_selectorIiEEZZNS1_9scan_implILNS1_25lookback_scan_determinismE0ELb1ELb1ES3_N6thrust23THRUST_200600_302600_NS6detail15normal_iteratorINS9_10device_ptrIiEEEESE_iNS9_4plusIiEEiEEDaPvRmT3_T4_T5_mT6_P12ihipStream_tbENKUlT_T0_E_clISt17integral_constantIbLb1EEST_IbLb0EEEEDaSP_SQ_EUlSP_E_NS1_11comp_targetILNS1_3genE5ELNS1_11target_archE942ELNS1_3gpuE9ELNS1_3repE0EEENS1_30default_config_static_selectorELNS0_4arch9wavefront6targetE1EEEvT1_ ; -- Begin function _ZN7rocprim17ROCPRIM_400000_NS6detail17trampoline_kernelINS0_14default_configENS1_20scan_config_selectorIiEEZZNS1_9scan_implILNS1_25lookback_scan_determinismE0ELb1ELb1ES3_N6thrust23THRUST_200600_302600_NS6detail15normal_iteratorINS9_10device_ptrIiEEEESE_iNS9_4plusIiEEiEEDaPvRmT3_T4_T5_mT6_P12ihipStream_tbENKUlT_T0_E_clISt17integral_constantIbLb1EEST_IbLb0EEEEDaSP_SQ_EUlSP_E_NS1_11comp_targetILNS1_3genE5ELNS1_11target_archE942ELNS1_3gpuE9ELNS1_3repE0EEENS1_30default_config_static_selectorELNS0_4arch9wavefront6targetE1EEEvT1_
	.globl	_ZN7rocprim17ROCPRIM_400000_NS6detail17trampoline_kernelINS0_14default_configENS1_20scan_config_selectorIiEEZZNS1_9scan_implILNS1_25lookback_scan_determinismE0ELb1ELb1ES3_N6thrust23THRUST_200600_302600_NS6detail15normal_iteratorINS9_10device_ptrIiEEEESE_iNS9_4plusIiEEiEEDaPvRmT3_T4_T5_mT6_P12ihipStream_tbENKUlT_T0_E_clISt17integral_constantIbLb1EEST_IbLb0EEEEDaSP_SQ_EUlSP_E_NS1_11comp_targetILNS1_3genE5ELNS1_11target_archE942ELNS1_3gpuE9ELNS1_3repE0EEENS1_30default_config_static_selectorELNS0_4arch9wavefront6targetE1EEEvT1_
	.p2align	8
	.type	_ZN7rocprim17ROCPRIM_400000_NS6detail17trampoline_kernelINS0_14default_configENS1_20scan_config_selectorIiEEZZNS1_9scan_implILNS1_25lookback_scan_determinismE0ELb1ELb1ES3_N6thrust23THRUST_200600_302600_NS6detail15normal_iteratorINS9_10device_ptrIiEEEESE_iNS9_4plusIiEEiEEDaPvRmT3_T4_T5_mT6_P12ihipStream_tbENKUlT_T0_E_clISt17integral_constantIbLb1EEST_IbLb0EEEEDaSP_SQ_EUlSP_E_NS1_11comp_targetILNS1_3genE5ELNS1_11target_archE942ELNS1_3gpuE9ELNS1_3repE0EEENS1_30default_config_static_selectorELNS0_4arch9wavefront6targetE1EEEvT1_,@function
_ZN7rocprim17ROCPRIM_400000_NS6detail17trampoline_kernelINS0_14default_configENS1_20scan_config_selectorIiEEZZNS1_9scan_implILNS1_25lookback_scan_determinismE0ELb1ELb1ES3_N6thrust23THRUST_200600_302600_NS6detail15normal_iteratorINS9_10device_ptrIiEEEESE_iNS9_4plusIiEEiEEDaPvRmT3_T4_T5_mT6_P12ihipStream_tbENKUlT_T0_E_clISt17integral_constantIbLb1EEST_IbLb0EEEEDaSP_SQ_EUlSP_E_NS1_11comp_targetILNS1_3genE5ELNS1_11target_archE942ELNS1_3gpuE9ELNS1_3repE0EEENS1_30default_config_static_selectorELNS0_4arch9wavefront6targetE1EEEvT1_: ; @_ZN7rocprim17ROCPRIM_400000_NS6detail17trampoline_kernelINS0_14default_configENS1_20scan_config_selectorIiEEZZNS1_9scan_implILNS1_25lookback_scan_determinismE0ELb1ELb1ES3_N6thrust23THRUST_200600_302600_NS6detail15normal_iteratorINS9_10device_ptrIiEEEESE_iNS9_4plusIiEEiEEDaPvRmT3_T4_T5_mT6_P12ihipStream_tbENKUlT_T0_E_clISt17integral_constantIbLb1EEST_IbLb0EEEEDaSP_SQ_EUlSP_E_NS1_11comp_targetILNS1_3genE5ELNS1_11target_archE942ELNS1_3gpuE9ELNS1_3repE0EEENS1_30default_config_static_selectorELNS0_4arch9wavefront6targetE1EEEvT1_
; %bb.0:
	.section	.rodata,"a",@progbits
	.p2align	6, 0x0
	.amdhsa_kernel _ZN7rocprim17ROCPRIM_400000_NS6detail17trampoline_kernelINS0_14default_configENS1_20scan_config_selectorIiEEZZNS1_9scan_implILNS1_25lookback_scan_determinismE0ELb1ELb1ES3_N6thrust23THRUST_200600_302600_NS6detail15normal_iteratorINS9_10device_ptrIiEEEESE_iNS9_4plusIiEEiEEDaPvRmT3_T4_T5_mT6_P12ihipStream_tbENKUlT_T0_E_clISt17integral_constantIbLb1EEST_IbLb0EEEEDaSP_SQ_EUlSP_E_NS1_11comp_targetILNS1_3genE5ELNS1_11target_archE942ELNS1_3gpuE9ELNS1_3repE0EEENS1_30default_config_static_selectorELNS0_4arch9wavefront6targetE1EEEvT1_
		.amdhsa_group_segment_fixed_size 0
		.amdhsa_private_segment_fixed_size 0
		.amdhsa_kernarg_size 96
		.amdhsa_user_sgpr_count 6
		.amdhsa_user_sgpr_private_segment_buffer 1
		.amdhsa_user_sgpr_dispatch_ptr 0
		.amdhsa_user_sgpr_queue_ptr 0
		.amdhsa_user_sgpr_kernarg_segment_ptr 1
		.amdhsa_user_sgpr_dispatch_id 0
		.amdhsa_user_sgpr_flat_scratch_init 0
		.amdhsa_user_sgpr_kernarg_preload_length 0
		.amdhsa_user_sgpr_kernarg_preload_offset 0
		.amdhsa_user_sgpr_private_segment_size 0
		.amdhsa_uses_dynamic_stack 0
		.amdhsa_system_sgpr_private_segment_wavefront_offset 0
		.amdhsa_system_sgpr_workgroup_id_x 1
		.amdhsa_system_sgpr_workgroup_id_y 0
		.amdhsa_system_sgpr_workgroup_id_z 0
		.amdhsa_system_sgpr_workgroup_info 0
		.amdhsa_system_vgpr_workitem_id 0
		.amdhsa_next_free_vgpr 1
		.amdhsa_next_free_sgpr 0
		.amdhsa_accum_offset 4
		.amdhsa_reserve_vcc 0
		.amdhsa_reserve_flat_scratch 0
		.amdhsa_float_round_mode_32 0
		.amdhsa_float_round_mode_16_64 0
		.amdhsa_float_denorm_mode_32 3
		.amdhsa_float_denorm_mode_16_64 3
		.amdhsa_dx10_clamp 1
		.amdhsa_ieee_mode 1
		.amdhsa_fp16_overflow 0
		.amdhsa_tg_split 0
		.amdhsa_exception_fp_ieee_invalid_op 0
		.amdhsa_exception_fp_denorm_src 0
		.amdhsa_exception_fp_ieee_div_zero 0
		.amdhsa_exception_fp_ieee_overflow 0
		.amdhsa_exception_fp_ieee_underflow 0
		.amdhsa_exception_fp_ieee_inexact 0
		.amdhsa_exception_int_div_zero 0
	.end_amdhsa_kernel
	.section	.text._ZN7rocprim17ROCPRIM_400000_NS6detail17trampoline_kernelINS0_14default_configENS1_20scan_config_selectorIiEEZZNS1_9scan_implILNS1_25lookback_scan_determinismE0ELb1ELb1ES3_N6thrust23THRUST_200600_302600_NS6detail15normal_iteratorINS9_10device_ptrIiEEEESE_iNS9_4plusIiEEiEEDaPvRmT3_T4_T5_mT6_P12ihipStream_tbENKUlT_T0_E_clISt17integral_constantIbLb1EEST_IbLb0EEEEDaSP_SQ_EUlSP_E_NS1_11comp_targetILNS1_3genE5ELNS1_11target_archE942ELNS1_3gpuE9ELNS1_3repE0EEENS1_30default_config_static_selectorELNS0_4arch9wavefront6targetE1EEEvT1_,"axG",@progbits,_ZN7rocprim17ROCPRIM_400000_NS6detail17trampoline_kernelINS0_14default_configENS1_20scan_config_selectorIiEEZZNS1_9scan_implILNS1_25lookback_scan_determinismE0ELb1ELb1ES3_N6thrust23THRUST_200600_302600_NS6detail15normal_iteratorINS9_10device_ptrIiEEEESE_iNS9_4plusIiEEiEEDaPvRmT3_T4_T5_mT6_P12ihipStream_tbENKUlT_T0_E_clISt17integral_constantIbLb1EEST_IbLb0EEEEDaSP_SQ_EUlSP_E_NS1_11comp_targetILNS1_3genE5ELNS1_11target_archE942ELNS1_3gpuE9ELNS1_3repE0EEENS1_30default_config_static_selectorELNS0_4arch9wavefront6targetE1EEEvT1_,comdat
.Lfunc_end697:
	.size	_ZN7rocprim17ROCPRIM_400000_NS6detail17trampoline_kernelINS0_14default_configENS1_20scan_config_selectorIiEEZZNS1_9scan_implILNS1_25lookback_scan_determinismE0ELb1ELb1ES3_N6thrust23THRUST_200600_302600_NS6detail15normal_iteratorINS9_10device_ptrIiEEEESE_iNS9_4plusIiEEiEEDaPvRmT3_T4_T5_mT6_P12ihipStream_tbENKUlT_T0_E_clISt17integral_constantIbLb1EEST_IbLb0EEEEDaSP_SQ_EUlSP_E_NS1_11comp_targetILNS1_3genE5ELNS1_11target_archE942ELNS1_3gpuE9ELNS1_3repE0EEENS1_30default_config_static_selectorELNS0_4arch9wavefront6targetE1EEEvT1_, .Lfunc_end697-_ZN7rocprim17ROCPRIM_400000_NS6detail17trampoline_kernelINS0_14default_configENS1_20scan_config_selectorIiEEZZNS1_9scan_implILNS1_25lookback_scan_determinismE0ELb1ELb1ES3_N6thrust23THRUST_200600_302600_NS6detail15normal_iteratorINS9_10device_ptrIiEEEESE_iNS9_4plusIiEEiEEDaPvRmT3_T4_T5_mT6_P12ihipStream_tbENKUlT_T0_E_clISt17integral_constantIbLb1EEST_IbLb0EEEEDaSP_SQ_EUlSP_E_NS1_11comp_targetILNS1_3genE5ELNS1_11target_archE942ELNS1_3gpuE9ELNS1_3repE0EEENS1_30default_config_static_selectorELNS0_4arch9wavefront6targetE1EEEvT1_
                                        ; -- End function
	.section	.AMDGPU.csdata,"",@progbits
; Kernel info:
; codeLenInByte = 0
; NumSgprs: 4
; NumVgprs: 0
; NumAgprs: 0
; TotalNumVgprs: 0
; ScratchSize: 0
; MemoryBound: 0
; FloatMode: 240
; IeeeMode: 1
; LDSByteSize: 0 bytes/workgroup (compile time only)
; SGPRBlocks: 0
; VGPRBlocks: 0
; NumSGPRsForWavesPerEU: 4
; NumVGPRsForWavesPerEU: 1
; AccumOffset: 4
; Occupancy: 8
; WaveLimiterHint : 0
; COMPUTE_PGM_RSRC2:SCRATCH_EN: 0
; COMPUTE_PGM_RSRC2:USER_SGPR: 6
; COMPUTE_PGM_RSRC2:TRAP_HANDLER: 0
; COMPUTE_PGM_RSRC2:TGID_X_EN: 1
; COMPUTE_PGM_RSRC2:TGID_Y_EN: 0
; COMPUTE_PGM_RSRC2:TGID_Z_EN: 0
; COMPUTE_PGM_RSRC2:TIDIG_COMP_CNT: 0
; COMPUTE_PGM_RSRC3_GFX90A:ACCUM_OFFSET: 0
; COMPUTE_PGM_RSRC3_GFX90A:TG_SPLIT: 0
	.section	.text._ZN7rocprim17ROCPRIM_400000_NS6detail17trampoline_kernelINS0_14default_configENS1_20scan_config_selectorIiEEZZNS1_9scan_implILNS1_25lookback_scan_determinismE0ELb1ELb1ES3_N6thrust23THRUST_200600_302600_NS6detail15normal_iteratorINS9_10device_ptrIiEEEESE_iNS9_4plusIiEEiEEDaPvRmT3_T4_T5_mT6_P12ihipStream_tbENKUlT_T0_E_clISt17integral_constantIbLb1EEST_IbLb0EEEEDaSP_SQ_EUlSP_E_NS1_11comp_targetILNS1_3genE4ELNS1_11target_archE910ELNS1_3gpuE8ELNS1_3repE0EEENS1_30default_config_static_selectorELNS0_4arch9wavefront6targetE1EEEvT1_,"axG",@progbits,_ZN7rocprim17ROCPRIM_400000_NS6detail17trampoline_kernelINS0_14default_configENS1_20scan_config_selectorIiEEZZNS1_9scan_implILNS1_25lookback_scan_determinismE0ELb1ELb1ES3_N6thrust23THRUST_200600_302600_NS6detail15normal_iteratorINS9_10device_ptrIiEEEESE_iNS9_4plusIiEEiEEDaPvRmT3_T4_T5_mT6_P12ihipStream_tbENKUlT_T0_E_clISt17integral_constantIbLb1EEST_IbLb0EEEEDaSP_SQ_EUlSP_E_NS1_11comp_targetILNS1_3genE4ELNS1_11target_archE910ELNS1_3gpuE8ELNS1_3repE0EEENS1_30default_config_static_selectorELNS0_4arch9wavefront6targetE1EEEvT1_,comdat
	.protected	_ZN7rocprim17ROCPRIM_400000_NS6detail17trampoline_kernelINS0_14default_configENS1_20scan_config_selectorIiEEZZNS1_9scan_implILNS1_25lookback_scan_determinismE0ELb1ELb1ES3_N6thrust23THRUST_200600_302600_NS6detail15normal_iteratorINS9_10device_ptrIiEEEESE_iNS9_4plusIiEEiEEDaPvRmT3_T4_T5_mT6_P12ihipStream_tbENKUlT_T0_E_clISt17integral_constantIbLb1EEST_IbLb0EEEEDaSP_SQ_EUlSP_E_NS1_11comp_targetILNS1_3genE4ELNS1_11target_archE910ELNS1_3gpuE8ELNS1_3repE0EEENS1_30default_config_static_selectorELNS0_4arch9wavefront6targetE1EEEvT1_ ; -- Begin function _ZN7rocprim17ROCPRIM_400000_NS6detail17trampoline_kernelINS0_14default_configENS1_20scan_config_selectorIiEEZZNS1_9scan_implILNS1_25lookback_scan_determinismE0ELb1ELb1ES3_N6thrust23THRUST_200600_302600_NS6detail15normal_iteratorINS9_10device_ptrIiEEEESE_iNS9_4plusIiEEiEEDaPvRmT3_T4_T5_mT6_P12ihipStream_tbENKUlT_T0_E_clISt17integral_constantIbLb1EEST_IbLb0EEEEDaSP_SQ_EUlSP_E_NS1_11comp_targetILNS1_3genE4ELNS1_11target_archE910ELNS1_3gpuE8ELNS1_3repE0EEENS1_30default_config_static_selectorELNS0_4arch9wavefront6targetE1EEEvT1_
	.globl	_ZN7rocprim17ROCPRIM_400000_NS6detail17trampoline_kernelINS0_14default_configENS1_20scan_config_selectorIiEEZZNS1_9scan_implILNS1_25lookback_scan_determinismE0ELb1ELb1ES3_N6thrust23THRUST_200600_302600_NS6detail15normal_iteratorINS9_10device_ptrIiEEEESE_iNS9_4plusIiEEiEEDaPvRmT3_T4_T5_mT6_P12ihipStream_tbENKUlT_T0_E_clISt17integral_constantIbLb1EEST_IbLb0EEEEDaSP_SQ_EUlSP_E_NS1_11comp_targetILNS1_3genE4ELNS1_11target_archE910ELNS1_3gpuE8ELNS1_3repE0EEENS1_30default_config_static_selectorELNS0_4arch9wavefront6targetE1EEEvT1_
	.p2align	8
	.type	_ZN7rocprim17ROCPRIM_400000_NS6detail17trampoline_kernelINS0_14default_configENS1_20scan_config_selectorIiEEZZNS1_9scan_implILNS1_25lookback_scan_determinismE0ELb1ELb1ES3_N6thrust23THRUST_200600_302600_NS6detail15normal_iteratorINS9_10device_ptrIiEEEESE_iNS9_4plusIiEEiEEDaPvRmT3_T4_T5_mT6_P12ihipStream_tbENKUlT_T0_E_clISt17integral_constantIbLb1EEST_IbLb0EEEEDaSP_SQ_EUlSP_E_NS1_11comp_targetILNS1_3genE4ELNS1_11target_archE910ELNS1_3gpuE8ELNS1_3repE0EEENS1_30default_config_static_selectorELNS0_4arch9wavefront6targetE1EEEvT1_,@function
_ZN7rocprim17ROCPRIM_400000_NS6detail17trampoline_kernelINS0_14default_configENS1_20scan_config_selectorIiEEZZNS1_9scan_implILNS1_25lookback_scan_determinismE0ELb1ELb1ES3_N6thrust23THRUST_200600_302600_NS6detail15normal_iteratorINS9_10device_ptrIiEEEESE_iNS9_4plusIiEEiEEDaPvRmT3_T4_T5_mT6_P12ihipStream_tbENKUlT_T0_E_clISt17integral_constantIbLb1EEST_IbLb0EEEEDaSP_SQ_EUlSP_E_NS1_11comp_targetILNS1_3genE4ELNS1_11target_archE910ELNS1_3gpuE8ELNS1_3repE0EEENS1_30default_config_static_selectorELNS0_4arch9wavefront6targetE1EEEvT1_: ; @_ZN7rocprim17ROCPRIM_400000_NS6detail17trampoline_kernelINS0_14default_configENS1_20scan_config_selectorIiEEZZNS1_9scan_implILNS1_25lookback_scan_determinismE0ELb1ELb1ES3_N6thrust23THRUST_200600_302600_NS6detail15normal_iteratorINS9_10device_ptrIiEEEESE_iNS9_4plusIiEEiEEDaPvRmT3_T4_T5_mT6_P12ihipStream_tbENKUlT_T0_E_clISt17integral_constantIbLb1EEST_IbLb0EEEEDaSP_SQ_EUlSP_E_NS1_11comp_targetILNS1_3genE4ELNS1_11target_archE910ELNS1_3gpuE8ELNS1_3repE0EEENS1_30default_config_static_selectorELNS0_4arch9wavefront6targetE1EEEvT1_
; %bb.0:
	s_load_dwordx8 s[8:15], s[4:5], 0x0
	s_load_dword s1, s[4:5], 0x30
	s_mul_i32 s0, s6, 0x500
	v_lshlrev_b32_e32 v22, 2, v0
	s_waitcnt lgkmcnt(0)
	s_lshl_b64 s[10:11], s[10:11], 2
	s_add_u32 s27, s8, s10
	s_addc_u32 s28, s9, s11
	s_add_i32 s2, s1, -1
	s_mul_i32 s3, s2, 0x500
	s_sub_u32 s7, s14, s3
	s_subb_u32 s26, s15, 0
	s_mov_b32 s1, 0
	s_cmp_lg_u32 s6, s2
	s_cselect_b64 s[8:9], -1, 0
	s_lshl_b64 s[14:15], s[0:1], 2
	s_add_u32 s2, s27, s14
	s_addc_u32 s3, s28, s15
	s_mov_b64 s[0:1], -1
	s_and_b64 vcc, exec, s[8:9]
	s_cbranch_vccz .LBB698_2
; %bb.1:
	v_mov_b32_e32 v1, s3
	v_add_co_u32_e32 v2, vcc, s2, v22
	v_addc_co_u32_e32 v3, vcc, 0, v1, vcc
	flat_load_dword v1, v[2:3]
	flat_load_dword v4, v[2:3] offset:512
	flat_load_dword v5, v[2:3] offset:1024
	;; [unrolled: 1-line block ×7, first 2 shown]
	v_add_co_u32_e32 v2, vcc, 0x1000, v2
	v_addc_co_u32_e32 v3, vcc, 0, v3, vcc
	flat_load_dword v11, v[2:3]
	flat_load_dword v12, v[2:3] offset:512
	s_mov_b64 s[0:1], 0
	s_waitcnt vmcnt(0) lgkmcnt(0)
	ds_write2st64_b32 v22, v1, v4 offset1:2
	ds_write2st64_b32 v22, v5, v6 offset0:4 offset1:6
	ds_write2st64_b32 v22, v7, v8 offset0:8 offset1:10
	;; [unrolled: 1-line block ×4, first 2 shown]
	s_waitcnt lgkmcnt(0)
	s_barrier
.LBB698_2:
	s_load_dwordx2 s[24:25], s[4:5], 0x28
	s_andn2_b64 vcc, exec, s[0:1]
	v_cmp_gt_u32_e64 s[0:1], s7, v0
	s_cbranch_vccnz .LBB698_24
; %bb.3:
	v_pk_mov_b32 v[2:3], s[2:3], s[2:3] op_sel:[0,1]
	flat_load_dword v1, v[2:3]
	s_waitcnt vmcnt(0) lgkmcnt(0)
	v_mov_b32_e32 v2, v1
	v_mov_b32_e32 v3, v1
	;; [unrolled: 1-line block ×9, first 2 shown]
	s_and_saveexec_b64 s[16:17], s[0:1]
	s_cbranch_execz .LBB698_5
; %bb.4:
	v_mov_b32_e32 v11, s3
	v_add_co_u32_e32 v10, vcc, s2, v22
	v_addc_co_u32_e32 v11, vcc, 0, v11, vcc
	flat_load_dword v10, v[10:11]
.LBB698_5:
	s_or_b64 exec, exec, s[16:17]
	v_or_b32_e32 v11, 0x80, v0
	v_cmp_gt_u32_e32 vcc, s7, v11
	s_and_saveexec_b64 s[0:1], vcc
	s_cbranch_execz .LBB698_7
; %bb.6:
	v_mov_b32_e32 v1, s3
	v_add_co_u32_e32 v12, vcc, s2, v22
	v_addc_co_u32_e32 v13, vcc, 0, v1, vcc
	flat_load_dword v1, v[12:13] offset:512
.LBB698_7:
	s_or_b64 exec, exec, s[0:1]
	v_or_b32_e32 v11, 0x100, v0
	v_cmp_gt_u32_e32 vcc, s7, v11
	s_and_saveexec_b64 s[0:1], vcc
	s_cbranch_execz .LBB698_9
; %bb.8:
	v_mov_b32_e32 v2, s3
	v_add_co_u32_e32 v12, vcc, s2, v22
	v_addc_co_u32_e32 v13, vcc, 0, v2, vcc
	flat_load_dword v2, v[12:13] offset:1024
.LBB698_9:
	;; [unrolled: 11-line block ×7, first 2 shown]
	s_or_b64 exec, exec, s[0:1]
	v_or_b32_e32 v11, 0x400, v0
	v_cmp_gt_u32_e32 vcc, s7, v11
	s_and_saveexec_b64 s[0:1], vcc
	s_cbranch_execz .LBB698_21
; %bb.20:
	v_lshlrev_b32_e32 v8, 2, v11
	v_mov_b32_e32 v11, s3
	v_add_co_u32_e32 v12, vcc, s2, v8
	v_addc_co_u32_e32 v13, vcc, 0, v11, vcc
	flat_load_dword v8, v[12:13]
.LBB698_21:
	s_or_b64 exec, exec, s[0:1]
	v_or_b32_e32 v11, 0x480, v0
	v_cmp_gt_u32_e32 vcc, s7, v11
	s_and_saveexec_b64 s[0:1], vcc
	s_cbranch_execz .LBB698_23
; %bb.22:
	v_lshlrev_b32_e32 v9, 2, v11
	v_mov_b32_e32 v11, s3
	v_add_co_u32_e32 v12, vcc, s2, v9
	v_addc_co_u32_e32 v13, vcc, 0, v11, vcc
	flat_load_dword v9, v[12:13]
.LBB698_23:
	s_or_b64 exec, exec, s[0:1]
	s_waitcnt vmcnt(0) lgkmcnt(0)
	ds_write2st64_b32 v22, v10, v1 offset1:2
	ds_write2st64_b32 v22, v2, v3 offset0:4 offset1:6
	ds_write2st64_b32 v22, v4, v5 offset0:8 offset1:10
	;; [unrolled: 1-line block ×4, first 2 shown]
	s_waitcnt lgkmcnt(0)
	s_barrier
.LBB698_24:
	v_mul_u32_u24_e32 v23, 10, v0
	v_lshlrev_b32_e32 v1, 2, v23
	s_waitcnt lgkmcnt(0)
	ds_read2_b64 v[16:19], v1 offset1:1
	ds_read2_b64 v[12:15], v1 offset0:2 offset1:3
	ds_read_b64 v[20:21], v1 offset:32
	s_cmp_lg_u32 s6, 0
	v_lshrrev_b32_e32 v24, 5, v0
	s_waitcnt lgkmcnt(2)
	v_add_u32_e32 v2, v17, v16
	v_add3_u32 v25, v2, v18, v19
	v_cmp_gt_u32_e32 vcc, 64, v0
	s_waitcnt lgkmcnt(0)
	s_barrier
	s_cbranch_scc0 .LBB698_53
; %bb.25:
	v_add3_u32 v2, v25, v12, v13
	v_add3_u32 v2, v2, v14, v15
	;; [unrolled: 1-line block ×3, first 2 shown]
	v_add_lshl_u32 v3, v24, v0, 2
	ds_write_b32 v3, v2
	s_waitcnt lgkmcnt(0)
	s_barrier
	s_and_saveexec_b64 s[2:3], vcc
	s_cbranch_execz .LBB698_27
; %bb.26:
	v_lshlrev_b32_e32 v3, 1, v0
	v_lshrrev_b32_e32 v4, 4, v0
	v_add_lshl_u32 v3, v4, v3, 2
	ds_read2_b32 v[4:5], v3 offset1:1
	v_mbcnt_lo_u32_b32 v6, -1, 0
	v_mbcnt_hi_u32_b32 v6, -1, v6
	v_and_b32_e32 v7, 15, v6
	v_cmp_ne_u32_e64 s[0:1], 0, v7
	s_waitcnt lgkmcnt(0)
	v_add_u32_e32 v5, v5, v4
	; wave barrier
	s_nop 1
	v_mov_b32_dpp v8, v5 row_shr:1 row_mask:0xf bank_mask:0xf
	v_cndmask_b32_e64 v8, 0, v8, s[0:1]
	v_add_u32_e32 v5, v8, v5
	v_cmp_lt_u32_e64 s[0:1], 1, v7
	s_nop 0
	v_mov_b32_dpp v8, v5 row_shr:2 row_mask:0xf bank_mask:0xf
	v_cndmask_b32_e64 v8, 0, v8, s[0:1]
	v_add_u32_e32 v5, v5, v8
	v_cmp_lt_u32_e64 s[0:1], 3, v7
	s_nop 0
	v_mov_b32_dpp v8, v5 row_shr:4 row_mask:0xf bank_mask:0xf
	v_cndmask_b32_e64 v8, 0, v8, s[0:1]
	v_add_u32_e32 v5, v5, v8
	v_cmp_lt_u32_e64 s[0:1], 7, v7
	s_nop 0
	v_mov_b32_dpp v8, v5 row_shr:8 row_mask:0xf bank_mask:0xf
	v_cndmask_b32_e64 v7, 0, v8, s[0:1]
	v_add_u32_e32 v5, v5, v7
	v_bfe_i32 v8, v6, 4, 1
	v_cmp_lt_u32_e64 s[0:1], 31, v6
	v_mov_b32_dpp v7, v5 row_bcast:15 row_mask:0xf bank_mask:0xf
	v_and_b32_e32 v7, v8, v7
	v_add_u32_e32 v5, v5, v7
	v_and_b32_e32 v8, 64, v6
	s_nop 0
	v_mov_b32_dpp v7, v5 row_bcast:31 row_mask:0xf bank_mask:0xf
	v_cndmask_b32_e64 v7, 0, v7, s[0:1]
	v_add_u32_e32 v5, v5, v7
	v_add_u32_e32 v7, -1, v6
	v_cmp_lt_i32_e64 s[0:1], v7, v8
	v_cndmask_b32_e64 v6, v7, v6, s[0:1]
	v_lshlrev_b32_e32 v6, 2, v6
	ds_bpermute_b32 v5, v6, v5
	v_cmp_eq_u32_e64 s[0:1], 0, v0
	s_waitcnt lgkmcnt(0)
	v_add_u32_e32 v4, v5, v4
	v_cndmask_b32_e64 v2, v4, v2, s[0:1]
	ds_write_b32 v3, v2
	; wave barrier
	ds_read_b32 v4, v3 offset:4
	s_waitcnt lgkmcnt(0)
	v_add_u32_e32 v2, v4, v2
	ds_write_b32 v3, v2 offset:4
.LBB698_27:
	s_or_b64 exec, exec, s[2:3]
	v_cmp_eq_u32_e64 s[0:1], 0, v0
	v_cmp_ne_u32_e64 s[2:3], 0, v0
	v_mov_b32_e32 v26, 0
	s_waitcnt lgkmcnt(0)
	s_barrier
	s_and_saveexec_b64 s[16:17], s[2:3]
	s_cbranch_execz .LBB698_29
; %bb.28:
	v_add_u32_e32 v2, -1, v0
	v_lshrrev_b32_e32 v3, 5, v2
	v_add_lshl_u32 v2, v3, v2, 2
	ds_read_b32 v26, v2
.LBB698_29:
	s_or_b64 exec, exec, s[16:17]
	s_and_saveexec_b64 s[16:17], vcc
	s_cbranch_execz .LBB698_52
; %bb.30:
	v_mov_b32_e32 v11, 0
	ds_read_b32 v2, v11 offset:520
	v_mbcnt_lo_u32_b32 v3, -1, 0
	v_mbcnt_hi_u32_b32 v5, -1, v3
	s_mov_b32 s21, 0
	v_cmp_eq_u32_e64 s[2:3], 0, v5
	s_and_saveexec_b64 s[18:19], s[2:3]
	s_cbranch_execz .LBB698_32
; %bb.31:
	s_add_i32 s20, s6, 64
	s_lshl_b64 s[20:21], s[20:21], 3
	s_add_u32 s20, s24, s20
	v_mov_b32_e32 v3, 1
	s_addc_u32 s21, s25, s21
	s_waitcnt lgkmcnt(0)
	global_store_dwordx2 v11, v[2:3], s[20:21]
.LBB698_32:
	s_or_b64 exec, exec, s[18:19]
	v_xad_u32 v4, v5, -1, s6
	v_add_u32_e32 v10, 64, v4
	v_lshlrev_b64 v[6:7], 3, v[10:11]
	v_mov_b32_e32 v3, s25
	v_add_co_u32_e32 v6, vcc, s24, v6
	v_addc_co_u32_e32 v7, vcc, v3, v7, vcc
	global_load_dwordx2 v[8:9], v[6:7], off glc
	s_waitcnt vmcnt(0)
	v_cmp_eq_u16_sdwa s[20:21], v9, v11 src0_sel:BYTE_0 src1_sel:DWORD
	s_and_saveexec_b64 s[18:19], s[20:21]
	s_cbranch_execz .LBB698_38
; %bb.33:
	s_mov_b32 s22, 1
	s_mov_b64 s[20:21], 0
	v_mov_b32_e32 v3, 0
.LBB698_34:                             ; =>This Loop Header: Depth=1
                                        ;     Child Loop BB698_35 Depth 2
	s_max_u32 s23, s22, 1
.LBB698_35:                             ;   Parent Loop BB698_34 Depth=1
                                        ; =>  This Inner Loop Header: Depth=2
	s_add_i32 s23, s23, -1
	s_cmp_eq_u32 s23, 0
	s_sleep 1
	s_cbranch_scc0 .LBB698_35
; %bb.36:                               ;   in Loop: Header=BB698_34 Depth=1
	global_load_dwordx2 v[8:9], v[6:7], off glc
	s_cmp_lt_u32 s22, 32
	s_cselect_b64 s[30:31], -1, 0
	s_cmp_lg_u64 s[30:31], 0
	s_addc_u32 s22, s22, 0
	s_waitcnt vmcnt(0)
	v_cmp_ne_u16_sdwa s[30:31], v9, v3 src0_sel:BYTE_0 src1_sel:DWORD
	s_or_b64 s[20:21], s[30:31], s[20:21]
	s_andn2_b64 exec, exec, s[20:21]
	s_cbranch_execnz .LBB698_34
; %bb.37:
	s_or_b64 exec, exec, s[20:21]
.LBB698_38:
	s_or_b64 exec, exec, s[18:19]
	v_and_b32_e32 v27, 63, v5
	v_mov_b32_e32 v3, 2
	v_cmp_ne_u32_e32 vcc, 63, v27
	v_cmp_eq_u16_sdwa s[18:19], v9, v3 src0_sel:BYTE_0 src1_sel:DWORD
	v_lshlrev_b64 v[6:7], v5, -1
	v_addc_co_u32_e32 v28, vcc, 0, v5, vcc
	v_and_b32_e32 v10, s19, v7
	v_lshlrev_b32_e32 v28, 2, v28
	v_or_b32_e32 v10, 0x80000000, v10
	ds_bpermute_b32 v29, v28, v8
	v_and_b32_e32 v11, s18, v6
	v_ffbl_b32_e32 v10, v10
	v_add_u32_e32 v10, 32, v10
	v_ffbl_b32_e32 v11, v11
	v_min_u32_e32 v10, v11, v10
	v_cmp_lt_u32_e32 vcc, v27, v10
	s_waitcnt lgkmcnt(0)
	v_cndmask_b32_e32 v11, 0, v29, vcc
	v_cmp_gt_u32_e32 vcc, 62, v27
	v_add_u32_e32 v8, v11, v8
	v_cndmask_b32_e64 v11, 0, 1, vcc
	v_lshlrev_b32_e32 v11, 1, v11
	v_add_lshl_u32 v29, v11, v5, 2
	ds_bpermute_b32 v11, v29, v8
	v_add_u32_e32 v30, 2, v27
	v_cmp_le_u32_e32 vcc, v30, v10
	v_add_u32_e32 v32, 4, v27
	v_add_u32_e32 v34, 8, v27
	s_waitcnt lgkmcnt(0)
	v_cndmask_b32_e32 v11, 0, v11, vcc
	v_cmp_gt_u32_e32 vcc, 60, v27
	v_add_u32_e32 v8, v8, v11
	v_cndmask_b32_e64 v11, 0, 1, vcc
	v_lshlrev_b32_e32 v11, 2, v11
	v_add_lshl_u32 v31, v11, v5, 2
	ds_bpermute_b32 v11, v31, v8
	v_cmp_le_u32_e32 vcc, v32, v10
	v_add_u32_e32 v37, 16, v27
	v_add_u32_e32 v39, 32, v27
	s_waitcnt lgkmcnt(0)
	v_cndmask_b32_e32 v11, 0, v11, vcc
	v_cmp_gt_u32_e32 vcc, 56, v27
	v_add_u32_e32 v8, v8, v11
	v_cndmask_b32_e64 v11, 0, 1, vcc
	v_lshlrev_b32_e32 v11, 3, v11
	v_add_lshl_u32 v33, v11, v5, 2
	ds_bpermute_b32 v11, v33, v8
	v_cmp_le_u32_e32 vcc, v34, v10
	s_waitcnt lgkmcnt(0)
	v_cndmask_b32_e32 v11, 0, v11, vcc
	v_cmp_gt_u32_e32 vcc, 48, v27
	v_add_u32_e32 v8, v8, v11
	v_cndmask_b32_e64 v11, 0, 1, vcc
	v_lshlrev_b32_e32 v11, 4, v11
	v_add_lshl_u32 v36, v11, v5, 2
	ds_bpermute_b32 v11, v36, v8
	v_cmp_le_u32_e32 vcc, v37, v10
	;; [unrolled: 9-line block ×3, first 2 shown]
	s_waitcnt lgkmcnt(0)
	v_cndmask_b32_e32 v5, 0, v5, vcc
	v_add_u32_e32 v8, v8, v5
	v_mov_b32_e32 v5, 0
	s_branch .LBB698_40
.LBB698_39:                             ;   in Loop: Header=BB698_40 Depth=1
	s_or_b64 exec, exec, s[18:19]
	v_cmp_eq_u16_sdwa s[18:19], v9, v3 src0_sel:BYTE_0 src1_sel:DWORD
	v_and_b32_e32 v10, s19, v7
	v_or_b32_e32 v10, 0x80000000, v10
	ds_bpermute_b32 v40, v28, v8
	v_and_b32_e32 v11, s18, v6
	v_ffbl_b32_e32 v10, v10
	v_add_u32_e32 v10, 32, v10
	v_ffbl_b32_e32 v11, v11
	v_min_u32_e32 v10, v11, v10
	v_cmp_lt_u32_e32 vcc, v27, v10
	s_waitcnt lgkmcnt(0)
	v_cndmask_b32_e32 v11, 0, v40, vcc
	v_add_u32_e32 v8, v11, v8
	ds_bpermute_b32 v11, v29, v8
	v_cmp_le_u32_e32 vcc, v30, v10
	v_subrev_u32_e32 v4, 64, v4
	s_waitcnt lgkmcnt(0)
	v_cndmask_b32_e32 v11, 0, v11, vcc
	v_add_u32_e32 v8, v8, v11
	ds_bpermute_b32 v11, v31, v8
	v_cmp_le_u32_e32 vcc, v32, v10
	s_waitcnt lgkmcnt(0)
	v_cndmask_b32_e32 v11, 0, v11, vcc
	v_add_u32_e32 v8, v8, v11
	ds_bpermute_b32 v11, v33, v8
	v_cmp_le_u32_e32 vcc, v34, v10
	;; [unrolled: 5-line block ×4, first 2 shown]
	s_waitcnt lgkmcnt(0)
	v_cndmask_b32_e32 v10, 0, v11, vcc
	v_add3_u32 v8, v10, v35, v8
.LBB698_40:                             ; =>This Loop Header: Depth=1
                                        ;     Child Loop BB698_43 Depth 2
                                        ;       Child Loop BB698_44 Depth 3
	v_cmp_ne_u16_sdwa s[18:19], v9, v3 src0_sel:BYTE_0 src1_sel:DWORD
	v_cndmask_b32_e64 v9, 0, 1, s[18:19]
	;;#ASMSTART
	;;#ASMEND
	v_cmp_ne_u32_e32 vcc, 0, v9
	s_cmp_lg_u64 vcc, exec
	v_mov_b32_e32 v35, v8
	s_cbranch_scc1 .LBB698_47
; %bb.41:                               ;   in Loop: Header=BB698_40 Depth=1
	v_lshlrev_b64 v[8:9], 3, v[4:5]
	v_mov_b32_e32 v11, s25
	v_add_co_u32_e32 v10, vcc, s24, v8
	v_addc_co_u32_e32 v11, vcc, v11, v9, vcc
	global_load_dwordx2 v[8:9], v[10:11], off glc
	s_waitcnt vmcnt(0)
	v_cmp_eq_u16_sdwa s[20:21], v9, v5 src0_sel:BYTE_0 src1_sel:DWORD
	s_and_saveexec_b64 s[18:19], s[20:21]
	s_cbranch_execz .LBB698_39
; %bb.42:                               ;   in Loop: Header=BB698_40 Depth=1
	s_mov_b32 s22, 1
	s_mov_b64 s[20:21], 0
.LBB698_43:                             ;   Parent Loop BB698_40 Depth=1
                                        ; =>  This Loop Header: Depth=2
                                        ;       Child Loop BB698_44 Depth 3
	s_max_u32 s23, s22, 1
.LBB698_44:                             ;   Parent Loop BB698_40 Depth=1
                                        ;     Parent Loop BB698_43 Depth=2
                                        ; =>    This Inner Loop Header: Depth=3
	s_add_i32 s23, s23, -1
	s_cmp_eq_u32 s23, 0
	s_sleep 1
	s_cbranch_scc0 .LBB698_44
; %bb.45:                               ;   in Loop: Header=BB698_43 Depth=2
	global_load_dwordx2 v[8:9], v[10:11], off glc
	s_cmp_lt_u32 s22, 32
	s_cselect_b64 s[30:31], -1, 0
	s_cmp_lg_u64 s[30:31], 0
	s_addc_u32 s22, s22, 0
	s_waitcnt vmcnt(0)
	v_cmp_ne_u16_sdwa s[30:31], v9, v5 src0_sel:BYTE_0 src1_sel:DWORD
	s_or_b64 s[20:21], s[30:31], s[20:21]
	s_andn2_b64 exec, exec, s[20:21]
	s_cbranch_execnz .LBB698_43
; %bb.46:                               ;   in Loop: Header=BB698_40 Depth=1
	s_or_b64 exec, exec, s[20:21]
	s_branch .LBB698_39
.LBB698_47:                             ;   in Loop: Header=BB698_40 Depth=1
                                        ; implicit-def: $vgpr8
                                        ; implicit-def: $vgpr9
	s_cbranch_execz .LBB698_40
; %bb.48:
	s_and_saveexec_b64 s[18:19], s[2:3]
	s_cbranch_execz .LBB698_50
; %bb.49:
	s_add_i32 s2, s6, 64
	s_mov_b32 s3, 0
	s_lshl_b64 s[2:3], s[2:3], 3
	s_add_u32 s2, s24, s2
	v_add_u32_e32 v2, v35, v2
	v_mov_b32_e32 v3, 2
	s_addc_u32 s3, s25, s3
	v_mov_b32_e32 v4, 0
	global_store_dwordx2 v4, v[2:3], s[2:3]
.LBB698_50:
	s_or_b64 exec, exec, s[18:19]
	s_and_b64 exec, exec, s[0:1]
	s_cbranch_execz .LBB698_52
; %bb.51:
	v_mov_b32_e32 v2, 0
	ds_write_b32 v2, v35
.LBB698_52:
	s_or_b64 exec, exec, s[16:17]
	v_mov_b32_e32 v2, 0
	s_waitcnt lgkmcnt(0)
	s_barrier
	ds_read_b32 v2, v2
	s_waitcnt lgkmcnt(0)
	v_add_u32_e32 v2, v2, v26
	v_add_u32_e32 v3, v2, v16
	;; [unrolled: 1-line block ×10, first 2 shown]
	s_load_dwordx8 s[16:23], s[4:5], 0x38
	s_branch .LBB698_63
.LBB698_53:
                                        ; implicit-def: $vgpr2_vgpr3_vgpr4_vgpr5_vgpr6_vgpr7_vgpr8_vgpr9_vgpr10_vgpr11
	s_load_dwordx8 s[16:23], s[4:5], 0x38
	s_cbranch_execz .LBB698_63
; %bb.54:
	s_load_dword s0, s[4:5], 0x20
	s_waitcnt lgkmcnt(0)
	s_cmp_eq_u64 s[20:21], 0
	v_mov_b32_e32 v26, s0
	s_cbranch_scc1 .LBB698_56
; %bb.55:
	v_mov_b32_e32 v3, s28
	v_add_co_u32_e64 v2, vcc, -4, s27
	v_addc_co_u32_e32 v3, vcc, -1, v3, vcc
	v_mov_b32_e32 v4, 0
	flat_load_dword v5, v[2:3]
	global_load_dword v6, v4, s[16:17]
	s_waitcnt vmcnt(0) lgkmcnt(0)
	v_add_u32_e32 v26, v6, v5
.LBB698_56:
	v_add3_u32 v2, v25, v12, v13
	v_add3_u32 v2, v2, v14, v15
	;; [unrolled: 1-line block ×3, first 2 shown]
	v_add_lshl_u32 v3, v24, v0, 2
	v_cmp_gt_u32_e32 vcc, 64, v0
	ds_write_b32 v3, v2
	s_waitcnt lgkmcnt(0)
	s_barrier
	s_and_saveexec_b64 s[0:1], vcc
	s_cbranch_execz .LBB698_58
; %bb.57:
	v_lshlrev_b32_e32 v3, 1, v0
	v_lshrrev_b32_e32 v4, 4, v0
	v_add_lshl_u32 v3, v4, v3, 2
	ds_read2_b32 v[4:5], v3 offset1:1
	v_mbcnt_lo_u32_b32 v6, -1, 0
	v_mbcnt_hi_u32_b32 v6, -1, v6
	v_and_b32_e32 v7, 15, v6
	v_cmp_ne_u32_e32 vcc, 0, v7
	s_waitcnt lgkmcnt(0)
	v_add_u32_e32 v5, v5, v4
	; wave barrier
	s_nop 1
	v_mov_b32_dpp v8, v5 row_shr:1 row_mask:0xf bank_mask:0xf
	v_cndmask_b32_e32 v8, 0, v8, vcc
	v_add_u32_e32 v5, v8, v5
	v_cmp_lt_u32_e32 vcc, 1, v7
	s_nop 0
	v_mov_b32_dpp v8, v5 row_shr:2 row_mask:0xf bank_mask:0xf
	v_cndmask_b32_e32 v8, 0, v8, vcc
	v_add_u32_e32 v5, v5, v8
	v_cmp_lt_u32_e32 vcc, 3, v7
	;; [unrolled: 5-line block ×3, first 2 shown]
	s_nop 0
	v_mov_b32_dpp v8, v5 row_shr:8 row_mask:0xf bank_mask:0xf
	v_cndmask_b32_e32 v7, 0, v8, vcc
	v_add_u32_e32 v5, v5, v7
	v_bfe_i32 v8, v6, 4, 1
	v_cmp_lt_u32_e32 vcc, 31, v6
	v_mov_b32_dpp v7, v5 row_bcast:15 row_mask:0xf bank_mask:0xf
	v_and_b32_e32 v7, v8, v7
	v_add_u32_e32 v5, v5, v7
	v_and_b32_e32 v8, 64, v6
	s_nop 0
	v_mov_b32_dpp v7, v5 row_bcast:31 row_mask:0xf bank_mask:0xf
	v_cndmask_b32_e32 v7, 0, v7, vcc
	v_add_u32_e32 v5, v5, v7
	v_add_u32_e32 v7, -1, v6
	v_cmp_lt_i32_e32 vcc, v7, v8
	v_cndmask_b32_e32 v6, v7, v6, vcc
	v_lshlrev_b32_e32 v6, 2, v6
	ds_bpermute_b32 v5, v6, v5
	v_cmp_eq_u32_e32 vcc, 0, v0
	s_waitcnt lgkmcnt(0)
	v_add_u32_e32 v4, v5, v4
	v_cndmask_b32_e32 v2, v4, v2, vcc
	ds_write_b32 v3, v2
	; wave barrier
	ds_read_b32 v4, v3 offset:4
	s_waitcnt lgkmcnt(0)
	v_add_u32_e32 v2, v4, v2
	ds_write_b32 v3, v2 offset:4
.LBB698_58:
	s_or_b64 exec, exec, s[0:1]
	v_cmp_eq_u32_e32 vcc, 0, v0
	v_cmp_ne_u32_e64 s[0:1], 0, v0
	v_mov_b32_e32 v2, v26
	s_waitcnt lgkmcnt(0)
	s_barrier
	s_and_saveexec_b64 s[2:3], s[0:1]
	s_cbranch_execz .LBB698_60
; %bb.59:
	v_add_u32_e32 v2, -1, v0
	v_lshrrev_b32_e32 v3, 5, v2
	v_add_lshl_u32 v2, v3, v2, 2
	ds_read_b32 v2, v2
	s_waitcnt lgkmcnt(0)
	v_add_u32_e32 v2, v2, v26
.LBB698_60:
	s_or_b64 exec, exec, s[2:3]
	v_add_u32_e32 v3, v2, v16
	v_add_u32_e32 v4, v3, v17
	;; [unrolled: 1-line block ×9, first 2 shown]
	s_and_saveexec_b64 s[0:1], vcc
	s_cbranch_execz .LBB698_62
; %bb.61:
	v_mov_b32_e32 v14, 0
	ds_read_b32 v12, v14 offset:520
	v_mov_b32_e32 v13, 2
	s_waitcnt lgkmcnt(0)
	v_add_u32_e32 v12, v12, v26
	global_store_dwordx2 v14, v[12:13], s[24:25] offset:512
.LBB698_62:
	s_or_b64 exec, exec, s[0:1]
.LBB698_63:
	s_add_u32 s0, s12, s10
	s_addc_u32 s1, s13, s11
	s_add_u32 s2, s0, s14
	s_addc_u32 s3, s1, s15
	s_mov_b64 s[0:1], -1
	s_and_b64 vcc, exec, s[8:9]
	s_waitcnt lgkmcnt(0)
	s_barrier
	s_cbranch_vccz .LBB698_65
; %bb.64:
	ds_write2_b64 v1, v[2:3], v[4:5] offset1:1
	ds_write2_b64 v1, v[6:7], v[8:9] offset0:2 offset1:3
	ds_write_b64 v1, v[10:11] offset:32
	s_waitcnt lgkmcnt(0)
	s_barrier
	ds_read2st64_b32 v[12:13], v22 offset1:2
	ds_read2st64_b32 v[14:15], v22 offset0:4 offset1:6
	ds_read2st64_b32 v[16:17], v22 offset0:8 offset1:10
	ds_read2st64_b32 v[18:19], v22 offset0:12 offset1:14
	ds_read2st64_b32 v[20:21], v22 offset0:16 offset1:18
	v_mov_b32_e32 v25, s3
	v_add_co_u32_e32 v24, vcc, s2, v22
	v_addc_co_u32_e32 v25, vcc, 0, v25, vcc
	s_waitcnt lgkmcnt(4)
	flat_store_dword v[24:25], v12
	flat_store_dword v[24:25], v13 offset:512
	s_waitcnt lgkmcnt(0)
	flat_store_dword v[24:25], v14 offset:1024
	flat_store_dword v[24:25], v15 offset:1536
	;; [unrolled: 1-line block ×6, first 2 shown]
	v_add_co_u32_e32 v12, vcc, 0x1000, v24
	v_addc_co_u32_e32 v13, vcc, 0, v25, vcc
	flat_store_dword v[12:13], v20
	flat_store_dword v[12:13], v21 offset:512
	s_mov_b64 s[0:1], 0
.LBB698_65:
	s_andn2_b64 vcc, exec, s[0:1]
	s_cbranch_vccnz .LBB698_121
; %bb.66:
	ds_write2_b64 v1, v[2:3], v[4:5] offset1:1
	ds_write2_b64 v1, v[6:7], v[8:9] offset0:2 offset1:3
	ds_write_b64 v1, v[10:11] offset:32
	s_waitcnt lgkmcnt(0)
	s_barrier
	ds_read2st64_b32 v[2:3], v22 offset1:2
	ds_read2st64_b32 v[6:7], v22 offset0:4 offset1:6
	ds_read2st64_b32 v[4:5], v22 offset0:8 offset1:10
	;; [unrolled: 1-line block ×4, first 2 shown]
	v_mov_b32_e32 v13, s3
	v_add_co_u32_e32 v12, vcc, s2, v22
	v_addc_co_u32_e32 v13, vcc, 0, v13, vcc
	v_mov_b32_e32 v1, 0
	v_cmp_gt_u32_e32 vcc, s7, v0
	s_and_saveexec_b64 s[0:1], vcc
	s_cbranch_execz .LBB698_68
; %bb.67:
	s_waitcnt lgkmcnt(0)
	flat_store_dword v[12:13], v2
.LBB698_68:
	s_or_b64 exec, exec, s[0:1]
	v_or_b32_e32 v14, 0x80, v0
	v_cmp_gt_u32_e32 vcc, s7, v14
	s_and_saveexec_b64 s[0:1], vcc
	s_cbranch_execz .LBB698_70
; %bb.69:
	s_waitcnt lgkmcnt(0)
	flat_store_dword v[12:13], v3 offset:512
.LBB698_70:
	s_or_b64 exec, exec, s[0:1]
	v_or_b32_e32 v14, 0x100, v0
	v_cmp_gt_u32_e32 vcc, s7, v14
	s_and_saveexec_b64 s[0:1], vcc
	s_cbranch_execz .LBB698_72
; %bb.71:
	s_waitcnt lgkmcnt(0)
	flat_store_dword v[12:13], v6 offset:1024
.LBB698_72:
	;; [unrolled: 9-line block ×7, first 2 shown]
	s_or_b64 exec, exec, s[0:1]
	v_or_b32_e32 v14, 0x400, v0
	v_cmp_gt_u32_e32 vcc, s7, v14
	s_and_saveexec_b64 s[0:1], vcc
	s_cbranch_execz .LBB698_84
; %bb.83:
	v_add_co_u32_e32 v14, vcc, 0x1000, v12
	v_addc_co_u32_e32 v15, vcc, 0, v13, vcc
	s_waitcnt lgkmcnt(0)
	flat_store_dword v[14:15], v10
.LBB698_84:
	s_or_b64 exec, exec, s[0:1]
	v_or_b32_e32 v14, 0x480, v0
	v_cmp_gt_u32_e32 vcc, s7, v14
	s_and_saveexec_b64 s[0:1], vcc
	s_cbranch_execz .LBB698_86
; %bb.85:
	v_add_co_u32_e32 v12, vcc, 0x1000, v12
	v_addc_co_u32_e32 v13, vcc, 0, v13, vcc
	s_waitcnt lgkmcnt(0)
	flat_store_dword v[12:13], v11 offset:512
.LBB698_86:
	s_or_b64 exec, exec, s[0:1]
	v_cmp_lt_u64_e64 s[0:1], s[22:23], 2
	s_and_b64 vcc, exec, s[0:1]
	s_cbranch_vccnz .LBB698_121
; %bb.87:
	s_add_u32 s0, s7, -1
	s_addc_u32 s1, s26, -1
	s_add_u32 s2, 0, 0x99986000
	s_addc_u32 s3, 0, 0x59
	s_add_i32 s3, s3, 0x19999940
	s_mul_hi_u32 s7, s2, -10
	s_sub_i32 s7, s7, s2
	s_mul_i32 s8, s3, -10
	s_mul_i32 s4, s2, -10
	s_add_i32 s7, s7, s8
	s_mul_hi_u32 s5, s3, s4
	s_mul_i32 s6, s3, s4
	s_mul_i32 s9, s2, s7
	s_mul_hi_u32 s4, s2, s4
	s_mul_hi_u32 s8, s2, s7
	s_add_u32 s4, s4, s9
	s_addc_u32 s8, 0, s8
	s_add_u32 s4, s4, s6
	s_mul_hi_u32 s9, s3, s7
	s_addc_u32 s4, s8, s5
	s_addc_u32 s5, s9, 0
	s_mul_i32 s6, s3, s7
	s_add_u32 s4, s4, s6
	v_mov_b32_e32 v12, s4
	s_addc_u32 s5, 0, s5
	v_add_co_u32_e32 v12, vcc, s2, v12
	s_cmp_lg_u64 vcc, 0
	s_addc_u32 s2, s3, s5
	v_readfirstlane_b32 s5, v12
	s_mul_i32 s4, s0, s2
	s_mul_hi_u32 s6, s0, s5
	s_mul_hi_u32 s3, s0, s2
	s_add_u32 s4, s6, s4
	s_addc_u32 s3, 0, s3
	s_mul_hi_u32 s7, s1, s5
	s_mul_i32 s5, s1, s5
	s_add_u32 s4, s4, s5
	s_mul_hi_u32 s6, s1, s2
	s_addc_u32 s3, s3, s7
	s_addc_u32 s4, s6, 0
	s_mul_i32 s2, s1, s2
	s_add_u32 s2, s3, s2
	s_addc_u32 s3, 0, s4
	s_add_u32 s4, s2, 1
	s_addc_u32 s5, s3, 0
	s_add_u32 s6, s2, 2
	s_mul_i32 s8, s3, 10
	s_mul_hi_u32 s9, s2, 10
	s_addc_u32 s7, s3, 0
	s_add_i32 s9, s9, s8
	s_mul_i32 s8, s2, 10
	v_mov_b32_e32 v12, s8
	v_sub_co_u32_e32 v12, vcc, s0, v12
	s_cmp_lg_u64 vcc, 0
	s_subb_u32 s8, s1, s9
	v_subrev_co_u32_e32 v13, vcc, 10, v12
	s_cmp_lg_u64 vcc, 0
	s_subb_u32 s9, s8, 0
	v_readfirstlane_b32 s10, v13
	s_cmp_gt_u32 s10, 9
	s_cselect_b32 s10, -1, 0
	s_cmp_eq_u32 s9, 0
	s_cselect_b32 s9, s10, -1
	s_cmp_lg_u32 s9, 0
	s_cselect_b32 s4, s6, s4
	v_readfirstlane_b32 s6, v12
	s_cselect_b32 s5, s7, s5
	s_cmp_gt_u32 s6, 9
	s_cselect_b32 s6, -1, 0
	s_cmp_eq_u32 s8, 0
	s_cselect_b32 s6, s6, -1
	s_cmp_lg_u32 s6, 0
	s_cselect_b32 s3, s5, s3
	s_cselect_b32 s2, s4, s2
	v_cmp_eq_u64_e32 vcc, s[2:3], v[0:1]
	s_and_saveexec_b64 s[2:3], vcc
	s_cbranch_execz .LBB698_121
; %bb.88:
	v_mul_hi_u32_u24_e32 v1, 10, v0
	v_mov_b32_e32 v12, s1
	v_sub_co_u32_e32 v0, vcc, s0, v23
	v_subb_co_u32_e32 v1, vcc, v12, v1, vcc
	v_cmp_lt_i64_e32 vcc, 4, v[0:1]
	s_and_saveexec_b64 s[0:1], vcc
	s_xor_b64 s[0:1], exec, s[0:1]
	s_cbranch_execz .LBB698_106
; %bb.89:
	v_cmp_lt_i64_e32 vcc, 6, v[0:1]
	s_and_saveexec_b64 s[2:3], vcc
	s_xor_b64 s[2:3], exec, s[2:3]
	s_cbranch_execz .LBB698_99
; %bb.90:
	;; [unrolled: 5-line block ×4, first 2 shown]
	v_mov_b32_e32 v0, 0
	s_waitcnt lgkmcnt(0)
	global_store_dword v0, v11, s[18:19]
                                        ; implicit-def: $vgpr10_vgpr11
.LBB698_93:
	s_andn2_saveexec_b64 s[6:7], s[6:7]
	s_cbranch_execz .LBB698_95
; %bb.94:
	v_mov_b32_e32 v0, 0
	s_waitcnt lgkmcnt(0)
	global_store_dword v0, v10, s[18:19]
.LBB698_95:
	s_or_b64 exec, exec, s[6:7]
                                        ; implicit-def: $vgpr8_vgpr9
.LBB698_96:
	s_andn2_saveexec_b64 s[4:5], s[4:5]
	s_cbranch_execz .LBB698_98
; %bb.97:
	v_mov_b32_e32 v0, 0
	s_waitcnt lgkmcnt(0)
	global_store_dword v0, v9, s[18:19]
.LBB698_98:
	s_or_b64 exec, exec, s[4:5]
                                        ; implicit-def: $vgpr4_vgpr5
                                        ; implicit-def: $vgpr0_vgpr1
                                        ; implicit-def: $vgpr8_vgpr9
.LBB698_99:
	s_andn2_saveexec_b64 s[2:3], s[2:3]
	s_cbranch_execz .LBB698_105
; %bb.100:
	v_cmp_lt_i64_e32 vcc, 5, v[0:1]
	s_and_saveexec_b64 s[4:5], vcc
	s_xor_b64 s[4:5], exec, s[4:5]
	s_cbranch_execz .LBB698_102
; %bb.101:
	v_mov_b32_e32 v0, 0
	s_waitcnt lgkmcnt(0)
	global_store_dword v0, v8, s[18:19]
                                        ; implicit-def: $vgpr4_vgpr5
.LBB698_102:
	s_andn2_saveexec_b64 s[4:5], s[4:5]
	s_cbranch_execz .LBB698_104
; %bb.103:
	v_mov_b32_e32 v0, 0
	s_waitcnt lgkmcnt(0)
	global_store_dword v0, v5, s[18:19]
.LBB698_104:
	s_or_b64 exec, exec, s[4:5]
.LBB698_105:
	s_or_b64 exec, exec, s[2:3]
                                        ; implicit-def: $vgpr0_vgpr1
                                        ; implicit-def: $vgpr6_vgpr7
                                        ; implicit-def: $vgpr2_vgpr3
                                        ; implicit-def: $vgpr4_vgpr5
.LBB698_106:
	s_andn2_saveexec_b64 s[0:1], s[0:1]
	s_cbranch_execz .LBB698_121
; %bb.107:
	v_cmp_lt_i64_e32 vcc, 2, v[0:1]
	s_and_saveexec_b64 s[0:1], vcc
	s_xor_b64 s[0:1], exec, s[0:1]
	s_cbranch_execz .LBB698_113
; %bb.108:
	v_cmp_lt_i64_e32 vcc, 3, v[0:1]
	s_and_saveexec_b64 s[2:3], vcc
	s_xor_b64 s[2:3], exec, s[2:3]
	s_cbranch_execz .LBB698_110
; %bb.109:
	v_mov_b32_e32 v0, 0
	s_waitcnt lgkmcnt(0)
	global_store_dword v0, v4, s[18:19]
                                        ; implicit-def: $vgpr6_vgpr7
.LBB698_110:
	s_andn2_saveexec_b64 s[2:3], s[2:3]
	s_cbranch_execz .LBB698_112
; %bb.111:
	v_mov_b32_e32 v0, 0
	s_waitcnt lgkmcnt(0)
	global_store_dword v0, v7, s[18:19]
.LBB698_112:
	s_or_b64 exec, exec, s[2:3]
                                        ; implicit-def: $vgpr0_vgpr1
                                        ; implicit-def: $vgpr6_vgpr7
                                        ; implicit-def: $vgpr2_vgpr3
.LBB698_113:
	s_andn2_saveexec_b64 s[0:1], s[0:1]
	s_cbranch_execz .LBB698_121
; %bb.114:
	v_cmp_lt_i64_e32 vcc, 1, v[0:1]
	s_and_saveexec_b64 s[0:1], vcc
	s_xor_b64 s[0:1], exec, s[0:1]
	s_cbranch_execz .LBB698_116
; %bb.115:
	v_mov_b32_e32 v0, 0
	s_waitcnt lgkmcnt(0)
	global_store_dword v0, v6, s[18:19]
                                        ; implicit-def: $vgpr2_vgpr3
                                        ; implicit-def: $vgpr0_vgpr1
.LBB698_116:
	s_andn2_saveexec_b64 s[0:1], s[0:1]
	s_cbranch_execz .LBB698_121
; %bb.117:
	v_cmp_ne_u64_e32 vcc, 1, v[0:1]
	s_and_saveexec_b64 s[0:1], vcc
	s_xor_b64 s[0:1], exec, s[0:1]
	s_cbranch_execz .LBB698_119
; %bb.118:
	v_mov_b32_e32 v0, 0
	s_waitcnt lgkmcnt(0)
	global_store_dword v0, v2, s[18:19]
                                        ; implicit-def: $vgpr2_vgpr3
.LBB698_119:
	s_andn2_saveexec_b64 s[0:1], s[0:1]
	s_cbranch_execz .LBB698_121
; %bb.120:
	v_mov_b32_e32 v0, 0
	s_waitcnt lgkmcnt(0)
	global_store_dword v0, v3, s[18:19]
.LBB698_121:
	s_endpgm
	.section	.rodata,"a",@progbits
	.p2align	6, 0x0
	.amdhsa_kernel _ZN7rocprim17ROCPRIM_400000_NS6detail17trampoline_kernelINS0_14default_configENS1_20scan_config_selectorIiEEZZNS1_9scan_implILNS1_25lookback_scan_determinismE0ELb1ELb1ES3_N6thrust23THRUST_200600_302600_NS6detail15normal_iteratorINS9_10device_ptrIiEEEESE_iNS9_4plusIiEEiEEDaPvRmT3_T4_T5_mT6_P12ihipStream_tbENKUlT_T0_E_clISt17integral_constantIbLb1EEST_IbLb0EEEEDaSP_SQ_EUlSP_E_NS1_11comp_targetILNS1_3genE4ELNS1_11target_archE910ELNS1_3gpuE8ELNS1_3repE0EEENS1_30default_config_static_selectorELNS0_4arch9wavefront6targetE1EEEvT1_
		.amdhsa_group_segment_fixed_size 5120
		.amdhsa_private_segment_fixed_size 0
		.amdhsa_kernarg_size 96
		.amdhsa_user_sgpr_count 6
		.amdhsa_user_sgpr_private_segment_buffer 1
		.amdhsa_user_sgpr_dispatch_ptr 0
		.amdhsa_user_sgpr_queue_ptr 0
		.amdhsa_user_sgpr_kernarg_segment_ptr 1
		.amdhsa_user_sgpr_dispatch_id 0
		.amdhsa_user_sgpr_flat_scratch_init 0
		.amdhsa_user_sgpr_kernarg_preload_length 0
		.amdhsa_user_sgpr_kernarg_preload_offset 0
		.amdhsa_user_sgpr_private_segment_size 0
		.amdhsa_uses_dynamic_stack 0
		.amdhsa_system_sgpr_private_segment_wavefront_offset 0
		.amdhsa_system_sgpr_workgroup_id_x 1
		.amdhsa_system_sgpr_workgroup_id_y 0
		.amdhsa_system_sgpr_workgroup_id_z 0
		.amdhsa_system_sgpr_workgroup_info 0
		.amdhsa_system_vgpr_workitem_id 0
		.amdhsa_next_free_vgpr 41
		.amdhsa_next_free_sgpr 32
		.amdhsa_accum_offset 44
		.amdhsa_reserve_vcc 1
		.amdhsa_reserve_flat_scratch 0
		.amdhsa_float_round_mode_32 0
		.amdhsa_float_round_mode_16_64 0
		.amdhsa_float_denorm_mode_32 3
		.amdhsa_float_denorm_mode_16_64 3
		.amdhsa_dx10_clamp 1
		.amdhsa_ieee_mode 1
		.amdhsa_fp16_overflow 0
		.amdhsa_tg_split 0
		.amdhsa_exception_fp_ieee_invalid_op 0
		.amdhsa_exception_fp_denorm_src 0
		.amdhsa_exception_fp_ieee_div_zero 0
		.amdhsa_exception_fp_ieee_overflow 0
		.amdhsa_exception_fp_ieee_underflow 0
		.amdhsa_exception_fp_ieee_inexact 0
		.amdhsa_exception_int_div_zero 0
	.end_amdhsa_kernel
	.section	.text._ZN7rocprim17ROCPRIM_400000_NS6detail17trampoline_kernelINS0_14default_configENS1_20scan_config_selectorIiEEZZNS1_9scan_implILNS1_25lookback_scan_determinismE0ELb1ELb1ES3_N6thrust23THRUST_200600_302600_NS6detail15normal_iteratorINS9_10device_ptrIiEEEESE_iNS9_4plusIiEEiEEDaPvRmT3_T4_T5_mT6_P12ihipStream_tbENKUlT_T0_E_clISt17integral_constantIbLb1EEST_IbLb0EEEEDaSP_SQ_EUlSP_E_NS1_11comp_targetILNS1_3genE4ELNS1_11target_archE910ELNS1_3gpuE8ELNS1_3repE0EEENS1_30default_config_static_selectorELNS0_4arch9wavefront6targetE1EEEvT1_,"axG",@progbits,_ZN7rocprim17ROCPRIM_400000_NS6detail17trampoline_kernelINS0_14default_configENS1_20scan_config_selectorIiEEZZNS1_9scan_implILNS1_25lookback_scan_determinismE0ELb1ELb1ES3_N6thrust23THRUST_200600_302600_NS6detail15normal_iteratorINS9_10device_ptrIiEEEESE_iNS9_4plusIiEEiEEDaPvRmT3_T4_T5_mT6_P12ihipStream_tbENKUlT_T0_E_clISt17integral_constantIbLb1EEST_IbLb0EEEEDaSP_SQ_EUlSP_E_NS1_11comp_targetILNS1_3genE4ELNS1_11target_archE910ELNS1_3gpuE8ELNS1_3repE0EEENS1_30default_config_static_selectorELNS0_4arch9wavefront6targetE1EEEvT1_,comdat
.Lfunc_end698:
	.size	_ZN7rocprim17ROCPRIM_400000_NS6detail17trampoline_kernelINS0_14default_configENS1_20scan_config_selectorIiEEZZNS1_9scan_implILNS1_25lookback_scan_determinismE0ELb1ELb1ES3_N6thrust23THRUST_200600_302600_NS6detail15normal_iteratorINS9_10device_ptrIiEEEESE_iNS9_4plusIiEEiEEDaPvRmT3_T4_T5_mT6_P12ihipStream_tbENKUlT_T0_E_clISt17integral_constantIbLb1EEST_IbLb0EEEEDaSP_SQ_EUlSP_E_NS1_11comp_targetILNS1_3genE4ELNS1_11target_archE910ELNS1_3gpuE8ELNS1_3repE0EEENS1_30default_config_static_selectorELNS0_4arch9wavefront6targetE1EEEvT1_, .Lfunc_end698-_ZN7rocprim17ROCPRIM_400000_NS6detail17trampoline_kernelINS0_14default_configENS1_20scan_config_selectorIiEEZZNS1_9scan_implILNS1_25lookback_scan_determinismE0ELb1ELb1ES3_N6thrust23THRUST_200600_302600_NS6detail15normal_iteratorINS9_10device_ptrIiEEEESE_iNS9_4plusIiEEiEEDaPvRmT3_T4_T5_mT6_P12ihipStream_tbENKUlT_T0_E_clISt17integral_constantIbLb1EEST_IbLb0EEEEDaSP_SQ_EUlSP_E_NS1_11comp_targetILNS1_3genE4ELNS1_11target_archE910ELNS1_3gpuE8ELNS1_3repE0EEENS1_30default_config_static_selectorELNS0_4arch9wavefront6targetE1EEEvT1_
                                        ; -- End function
	.section	.AMDGPU.csdata,"",@progbits
; Kernel info:
; codeLenInByte = 4484
; NumSgprs: 36
; NumVgprs: 41
; NumAgprs: 0
; TotalNumVgprs: 41
; ScratchSize: 0
; MemoryBound: 0
; FloatMode: 240
; IeeeMode: 1
; LDSByteSize: 5120 bytes/workgroup (compile time only)
; SGPRBlocks: 4
; VGPRBlocks: 5
; NumSGPRsForWavesPerEU: 36
; NumVGPRsForWavesPerEU: 41
; AccumOffset: 44
; Occupancy: 6
; WaveLimiterHint : 1
; COMPUTE_PGM_RSRC2:SCRATCH_EN: 0
; COMPUTE_PGM_RSRC2:USER_SGPR: 6
; COMPUTE_PGM_RSRC2:TRAP_HANDLER: 0
; COMPUTE_PGM_RSRC2:TGID_X_EN: 1
; COMPUTE_PGM_RSRC2:TGID_Y_EN: 0
; COMPUTE_PGM_RSRC2:TGID_Z_EN: 0
; COMPUTE_PGM_RSRC2:TIDIG_COMP_CNT: 0
; COMPUTE_PGM_RSRC3_GFX90A:ACCUM_OFFSET: 10
; COMPUTE_PGM_RSRC3_GFX90A:TG_SPLIT: 0
	.section	.text._ZN7rocprim17ROCPRIM_400000_NS6detail17trampoline_kernelINS0_14default_configENS1_20scan_config_selectorIiEEZZNS1_9scan_implILNS1_25lookback_scan_determinismE0ELb1ELb1ES3_N6thrust23THRUST_200600_302600_NS6detail15normal_iteratorINS9_10device_ptrIiEEEESE_iNS9_4plusIiEEiEEDaPvRmT3_T4_T5_mT6_P12ihipStream_tbENKUlT_T0_E_clISt17integral_constantIbLb1EEST_IbLb0EEEEDaSP_SQ_EUlSP_E_NS1_11comp_targetILNS1_3genE3ELNS1_11target_archE908ELNS1_3gpuE7ELNS1_3repE0EEENS1_30default_config_static_selectorELNS0_4arch9wavefront6targetE1EEEvT1_,"axG",@progbits,_ZN7rocprim17ROCPRIM_400000_NS6detail17trampoline_kernelINS0_14default_configENS1_20scan_config_selectorIiEEZZNS1_9scan_implILNS1_25lookback_scan_determinismE0ELb1ELb1ES3_N6thrust23THRUST_200600_302600_NS6detail15normal_iteratorINS9_10device_ptrIiEEEESE_iNS9_4plusIiEEiEEDaPvRmT3_T4_T5_mT6_P12ihipStream_tbENKUlT_T0_E_clISt17integral_constantIbLb1EEST_IbLb0EEEEDaSP_SQ_EUlSP_E_NS1_11comp_targetILNS1_3genE3ELNS1_11target_archE908ELNS1_3gpuE7ELNS1_3repE0EEENS1_30default_config_static_selectorELNS0_4arch9wavefront6targetE1EEEvT1_,comdat
	.protected	_ZN7rocprim17ROCPRIM_400000_NS6detail17trampoline_kernelINS0_14default_configENS1_20scan_config_selectorIiEEZZNS1_9scan_implILNS1_25lookback_scan_determinismE0ELb1ELb1ES3_N6thrust23THRUST_200600_302600_NS6detail15normal_iteratorINS9_10device_ptrIiEEEESE_iNS9_4plusIiEEiEEDaPvRmT3_T4_T5_mT6_P12ihipStream_tbENKUlT_T0_E_clISt17integral_constantIbLb1EEST_IbLb0EEEEDaSP_SQ_EUlSP_E_NS1_11comp_targetILNS1_3genE3ELNS1_11target_archE908ELNS1_3gpuE7ELNS1_3repE0EEENS1_30default_config_static_selectorELNS0_4arch9wavefront6targetE1EEEvT1_ ; -- Begin function _ZN7rocprim17ROCPRIM_400000_NS6detail17trampoline_kernelINS0_14default_configENS1_20scan_config_selectorIiEEZZNS1_9scan_implILNS1_25lookback_scan_determinismE0ELb1ELb1ES3_N6thrust23THRUST_200600_302600_NS6detail15normal_iteratorINS9_10device_ptrIiEEEESE_iNS9_4plusIiEEiEEDaPvRmT3_T4_T5_mT6_P12ihipStream_tbENKUlT_T0_E_clISt17integral_constantIbLb1EEST_IbLb0EEEEDaSP_SQ_EUlSP_E_NS1_11comp_targetILNS1_3genE3ELNS1_11target_archE908ELNS1_3gpuE7ELNS1_3repE0EEENS1_30default_config_static_selectorELNS0_4arch9wavefront6targetE1EEEvT1_
	.globl	_ZN7rocprim17ROCPRIM_400000_NS6detail17trampoline_kernelINS0_14default_configENS1_20scan_config_selectorIiEEZZNS1_9scan_implILNS1_25lookback_scan_determinismE0ELb1ELb1ES3_N6thrust23THRUST_200600_302600_NS6detail15normal_iteratorINS9_10device_ptrIiEEEESE_iNS9_4plusIiEEiEEDaPvRmT3_T4_T5_mT6_P12ihipStream_tbENKUlT_T0_E_clISt17integral_constantIbLb1EEST_IbLb0EEEEDaSP_SQ_EUlSP_E_NS1_11comp_targetILNS1_3genE3ELNS1_11target_archE908ELNS1_3gpuE7ELNS1_3repE0EEENS1_30default_config_static_selectorELNS0_4arch9wavefront6targetE1EEEvT1_
	.p2align	8
	.type	_ZN7rocprim17ROCPRIM_400000_NS6detail17trampoline_kernelINS0_14default_configENS1_20scan_config_selectorIiEEZZNS1_9scan_implILNS1_25lookback_scan_determinismE0ELb1ELb1ES3_N6thrust23THRUST_200600_302600_NS6detail15normal_iteratorINS9_10device_ptrIiEEEESE_iNS9_4plusIiEEiEEDaPvRmT3_T4_T5_mT6_P12ihipStream_tbENKUlT_T0_E_clISt17integral_constantIbLb1EEST_IbLb0EEEEDaSP_SQ_EUlSP_E_NS1_11comp_targetILNS1_3genE3ELNS1_11target_archE908ELNS1_3gpuE7ELNS1_3repE0EEENS1_30default_config_static_selectorELNS0_4arch9wavefront6targetE1EEEvT1_,@function
_ZN7rocprim17ROCPRIM_400000_NS6detail17trampoline_kernelINS0_14default_configENS1_20scan_config_selectorIiEEZZNS1_9scan_implILNS1_25lookback_scan_determinismE0ELb1ELb1ES3_N6thrust23THRUST_200600_302600_NS6detail15normal_iteratorINS9_10device_ptrIiEEEESE_iNS9_4plusIiEEiEEDaPvRmT3_T4_T5_mT6_P12ihipStream_tbENKUlT_T0_E_clISt17integral_constantIbLb1EEST_IbLb0EEEEDaSP_SQ_EUlSP_E_NS1_11comp_targetILNS1_3genE3ELNS1_11target_archE908ELNS1_3gpuE7ELNS1_3repE0EEENS1_30default_config_static_selectorELNS0_4arch9wavefront6targetE1EEEvT1_: ; @_ZN7rocprim17ROCPRIM_400000_NS6detail17trampoline_kernelINS0_14default_configENS1_20scan_config_selectorIiEEZZNS1_9scan_implILNS1_25lookback_scan_determinismE0ELb1ELb1ES3_N6thrust23THRUST_200600_302600_NS6detail15normal_iteratorINS9_10device_ptrIiEEEESE_iNS9_4plusIiEEiEEDaPvRmT3_T4_T5_mT6_P12ihipStream_tbENKUlT_T0_E_clISt17integral_constantIbLb1EEST_IbLb0EEEEDaSP_SQ_EUlSP_E_NS1_11comp_targetILNS1_3genE3ELNS1_11target_archE908ELNS1_3gpuE7ELNS1_3repE0EEENS1_30default_config_static_selectorELNS0_4arch9wavefront6targetE1EEEvT1_
; %bb.0:
	.section	.rodata,"a",@progbits
	.p2align	6, 0x0
	.amdhsa_kernel _ZN7rocprim17ROCPRIM_400000_NS6detail17trampoline_kernelINS0_14default_configENS1_20scan_config_selectorIiEEZZNS1_9scan_implILNS1_25lookback_scan_determinismE0ELb1ELb1ES3_N6thrust23THRUST_200600_302600_NS6detail15normal_iteratorINS9_10device_ptrIiEEEESE_iNS9_4plusIiEEiEEDaPvRmT3_T4_T5_mT6_P12ihipStream_tbENKUlT_T0_E_clISt17integral_constantIbLb1EEST_IbLb0EEEEDaSP_SQ_EUlSP_E_NS1_11comp_targetILNS1_3genE3ELNS1_11target_archE908ELNS1_3gpuE7ELNS1_3repE0EEENS1_30default_config_static_selectorELNS0_4arch9wavefront6targetE1EEEvT1_
		.amdhsa_group_segment_fixed_size 0
		.amdhsa_private_segment_fixed_size 0
		.amdhsa_kernarg_size 96
		.amdhsa_user_sgpr_count 6
		.amdhsa_user_sgpr_private_segment_buffer 1
		.amdhsa_user_sgpr_dispatch_ptr 0
		.amdhsa_user_sgpr_queue_ptr 0
		.amdhsa_user_sgpr_kernarg_segment_ptr 1
		.amdhsa_user_sgpr_dispatch_id 0
		.amdhsa_user_sgpr_flat_scratch_init 0
		.amdhsa_user_sgpr_kernarg_preload_length 0
		.amdhsa_user_sgpr_kernarg_preload_offset 0
		.amdhsa_user_sgpr_private_segment_size 0
		.amdhsa_uses_dynamic_stack 0
		.amdhsa_system_sgpr_private_segment_wavefront_offset 0
		.amdhsa_system_sgpr_workgroup_id_x 1
		.amdhsa_system_sgpr_workgroup_id_y 0
		.amdhsa_system_sgpr_workgroup_id_z 0
		.amdhsa_system_sgpr_workgroup_info 0
		.amdhsa_system_vgpr_workitem_id 0
		.amdhsa_next_free_vgpr 1
		.amdhsa_next_free_sgpr 0
		.amdhsa_accum_offset 4
		.amdhsa_reserve_vcc 0
		.amdhsa_reserve_flat_scratch 0
		.amdhsa_float_round_mode_32 0
		.amdhsa_float_round_mode_16_64 0
		.amdhsa_float_denorm_mode_32 3
		.amdhsa_float_denorm_mode_16_64 3
		.amdhsa_dx10_clamp 1
		.amdhsa_ieee_mode 1
		.amdhsa_fp16_overflow 0
		.amdhsa_tg_split 0
		.amdhsa_exception_fp_ieee_invalid_op 0
		.amdhsa_exception_fp_denorm_src 0
		.amdhsa_exception_fp_ieee_div_zero 0
		.amdhsa_exception_fp_ieee_overflow 0
		.amdhsa_exception_fp_ieee_underflow 0
		.amdhsa_exception_fp_ieee_inexact 0
		.amdhsa_exception_int_div_zero 0
	.end_amdhsa_kernel
	.section	.text._ZN7rocprim17ROCPRIM_400000_NS6detail17trampoline_kernelINS0_14default_configENS1_20scan_config_selectorIiEEZZNS1_9scan_implILNS1_25lookback_scan_determinismE0ELb1ELb1ES3_N6thrust23THRUST_200600_302600_NS6detail15normal_iteratorINS9_10device_ptrIiEEEESE_iNS9_4plusIiEEiEEDaPvRmT3_T4_T5_mT6_P12ihipStream_tbENKUlT_T0_E_clISt17integral_constantIbLb1EEST_IbLb0EEEEDaSP_SQ_EUlSP_E_NS1_11comp_targetILNS1_3genE3ELNS1_11target_archE908ELNS1_3gpuE7ELNS1_3repE0EEENS1_30default_config_static_selectorELNS0_4arch9wavefront6targetE1EEEvT1_,"axG",@progbits,_ZN7rocprim17ROCPRIM_400000_NS6detail17trampoline_kernelINS0_14default_configENS1_20scan_config_selectorIiEEZZNS1_9scan_implILNS1_25lookback_scan_determinismE0ELb1ELb1ES3_N6thrust23THRUST_200600_302600_NS6detail15normal_iteratorINS9_10device_ptrIiEEEESE_iNS9_4plusIiEEiEEDaPvRmT3_T4_T5_mT6_P12ihipStream_tbENKUlT_T0_E_clISt17integral_constantIbLb1EEST_IbLb0EEEEDaSP_SQ_EUlSP_E_NS1_11comp_targetILNS1_3genE3ELNS1_11target_archE908ELNS1_3gpuE7ELNS1_3repE0EEENS1_30default_config_static_selectorELNS0_4arch9wavefront6targetE1EEEvT1_,comdat
.Lfunc_end699:
	.size	_ZN7rocprim17ROCPRIM_400000_NS6detail17trampoline_kernelINS0_14default_configENS1_20scan_config_selectorIiEEZZNS1_9scan_implILNS1_25lookback_scan_determinismE0ELb1ELb1ES3_N6thrust23THRUST_200600_302600_NS6detail15normal_iteratorINS9_10device_ptrIiEEEESE_iNS9_4plusIiEEiEEDaPvRmT3_T4_T5_mT6_P12ihipStream_tbENKUlT_T0_E_clISt17integral_constantIbLb1EEST_IbLb0EEEEDaSP_SQ_EUlSP_E_NS1_11comp_targetILNS1_3genE3ELNS1_11target_archE908ELNS1_3gpuE7ELNS1_3repE0EEENS1_30default_config_static_selectorELNS0_4arch9wavefront6targetE1EEEvT1_, .Lfunc_end699-_ZN7rocprim17ROCPRIM_400000_NS6detail17trampoline_kernelINS0_14default_configENS1_20scan_config_selectorIiEEZZNS1_9scan_implILNS1_25lookback_scan_determinismE0ELb1ELb1ES3_N6thrust23THRUST_200600_302600_NS6detail15normal_iteratorINS9_10device_ptrIiEEEESE_iNS9_4plusIiEEiEEDaPvRmT3_T4_T5_mT6_P12ihipStream_tbENKUlT_T0_E_clISt17integral_constantIbLb1EEST_IbLb0EEEEDaSP_SQ_EUlSP_E_NS1_11comp_targetILNS1_3genE3ELNS1_11target_archE908ELNS1_3gpuE7ELNS1_3repE0EEENS1_30default_config_static_selectorELNS0_4arch9wavefront6targetE1EEEvT1_
                                        ; -- End function
	.section	.AMDGPU.csdata,"",@progbits
; Kernel info:
; codeLenInByte = 0
; NumSgprs: 4
; NumVgprs: 0
; NumAgprs: 0
; TotalNumVgprs: 0
; ScratchSize: 0
; MemoryBound: 0
; FloatMode: 240
; IeeeMode: 1
; LDSByteSize: 0 bytes/workgroup (compile time only)
; SGPRBlocks: 0
; VGPRBlocks: 0
; NumSGPRsForWavesPerEU: 4
; NumVGPRsForWavesPerEU: 1
; AccumOffset: 4
; Occupancy: 8
; WaveLimiterHint : 0
; COMPUTE_PGM_RSRC2:SCRATCH_EN: 0
; COMPUTE_PGM_RSRC2:USER_SGPR: 6
; COMPUTE_PGM_RSRC2:TRAP_HANDLER: 0
; COMPUTE_PGM_RSRC2:TGID_X_EN: 1
; COMPUTE_PGM_RSRC2:TGID_Y_EN: 0
; COMPUTE_PGM_RSRC2:TGID_Z_EN: 0
; COMPUTE_PGM_RSRC2:TIDIG_COMP_CNT: 0
; COMPUTE_PGM_RSRC3_GFX90A:ACCUM_OFFSET: 0
; COMPUTE_PGM_RSRC3_GFX90A:TG_SPLIT: 0
	.section	.text._ZN7rocprim17ROCPRIM_400000_NS6detail17trampoline_kernelINS0_14default_configENS1_20scan_config_selectorIiEEZZNS1_9scan_implILNS1_25lookback_scan_determinismE0ELb1ELb1ES3_N6thrust23THRUST_200600_302600_NS6detail15normal_iteratorINS9_10device_ptrIiEEEESE_iNS9_4plusIiEEiEEDaPvRmT3_T4_T5_mT6_P12ihipStream_tbENKUlT_T0_E_clISt17integral_constantIbLb1EEST_IbLb0EEEEDaSP_SQ_EUlSP_E_NS1_11comp_targetILNS1_3genE2ELNS1_11target_archE906ELNS1_3gpuE6ELNS1_3repE0EEENS1_30default_config_static_selectorELNS0_4arch9wavefront6targetE1EEEvT1_,"axG",@progbits,_ZN7rocprim17ROCPRIM_400000_NS6detail17trampoline_kernelINS0_14default_configENS1_20scan_config_selectorIiEEZZNS1_9scan_implILNS1_25lookback_scan_determinismE0ELb1ELb1ES3_N6thrust23THRUST_200600_302600_NS6detail15normal_iteratorINS9_10device_ptrIiEEEESE_iNS9_4plusIiEEiEEDaPvRmT3_T4_T5_mT6_P12ihipStream_tbENKUlT_T0_E_clISt17integral_constantIbLb1EEST_IbLb0EEEEDaSP_SQ_EUlSP_E_NS1_11comp_targetILNS1_3genE2ELNS1_11target_archE906ELNS1_3gpuE6ELNS1_3repE0EEENS1_30default_config_static_selectorELNS0_4arch9wavefront6targetE1EEEvT1_,comdat
	.protected	_ZN7rocprim17ROCPRIM_400000_NS6detail17trampoline_kernelINS0_14default_configENS1_20scan_config_selectorIiEEZZNS1_9scan_implILNS1_25lookback_scan_determinismE0ELb1ELb1ES3_N6thrust23THRUST_200600_302600_NS6detail15normal_iteratorINS9_10device_ptrIiEEEESE_iNS9_4plusIiEEiEEDaPvRmT3_T4_T5_mT6_P12ihipStream_tbENKUlT_T0_E_clISt17integral_constantIbLb1EEST_IbLb0EEEEDaSP_SQ_EUlSP_E_NS1_11comp_targetILNS1_3genE2ELNS1_11target_archE906ELNS1_3gpuE6ELNS1_3repE0EEENS1_30default_config_static_selectorELNS0_4arch9wavefront6targetE1EEEvT1_ ; -- Begin function _ZN7rocprim17ROCPRIM_400000_NS6detail17trampoline_kernelINS0_14default_configENS1_20scan_config_selectorIiEEZZNS1_9scan_implILNS1_25lookback_scan_determinismE0ELb1ELb1ES3_N6thrust23THRUST_200600_302600_NS6detail15normal_iteratorINS9_10device_ptrIiEEEESE_iNS9_4plusIiEEiEEDaPvRmT3_T4_T5_mT6_P12ihipStream_tbENKUlT_T0_E_clISt17integral_constantIbLb1EEST_IbLb0EEEEDaSP_SQ_EUlSP_E_NS1_11comp_targetILNS1_3genE2ELNS1_11target_archE906ELNS1_3gpuE6ELNS1_3repE0EEENS1_30default_config_static_selectorELNS0_4arch9wavefront6targetE1EEEvT1_
	.globl	_ZN7rocprim17ROCPRIM_400000_NS6detail17trampoline_kernelINS0_14default_configENS1_20scan_config_selectorIiEEZZNS1_9scan_implILNS1_25lookback_scan_determinismE0ELb1ELb1ES3_N6thrust23THRUST_200600_302600_NS6detail15normal_iteratorINS9_10device_ptrIiEEEESE_iNS9_4plusIiEEiEEDaPvRmT3_T4_T5_mT6_P12ihipStream_tbENKUlT_T0_E_clISt17integral_constantIbLb1EEST_IbLb0EEEEDaSP_SQ_EUlSP_E_NS1_11comp_targetILNS1_3genE2ELNS1_11target_archE906ELNS1_3gpuE6ELNS1_3repE0EEENS1_30default_config_static_selectorELNS0_4arch9wavefront6targetE1EEEvT1_
	.p2align	8
	.type	_ZN7rocprim17ROCPRIM_400000_NS6detail17trampoline_kernelINS0_14default_configENS1_20scan_config_selectorIiEEZZNS1_9scan_implILNS1_25lookback_scan_determinismE0ELb1ELb1ES3_N6thrust23THRUST_200600_302600_NS6detail15normal_iteratorINS9_10device_ptrIiEEEESE_iNS9_4plusIiEEiEEDaPvRmT3_T4_T5_mT6_P12ihipStream_tbENKUlT_T0_E_clISt17integral_constantIbLb1EEST_IbLb0EEEEDaSP_SQ_EUlSP_E_NS1_11comp_targetILNS1_3genE2ELNS1_11target_archE906ELNS1_3gpuE6ELNS1_3repE0EEENS1_30default_config_static_selectorELNS0_4arch9wavefront6targetE1EEEvT1_,@function
_ZN7rocprim17ROCPRIM_400000_NS6detail17trampoline_kernelINS0_14default_configENS1_20scan_config_selectorIiEEZZNS1_9scan_implILNS1_25lookback_scan_determinismE0ELb1ELb1ES3_N6thrust23THRUST_200600_302600_NS6detail15normal_iteratorINS9_10device_ptrIiEEEESE_iNS9_4plusIiEEiEEDaPvRmT3_T4_T5_mT6_P12ihipStream_tbENKUlT_T0_E_clISt17integral_constantIbLb1EEST_IbLb0EEEEDaSP_SQ_EUlSP_E_NS1_11comp_targetILNS1_3genE2ELNS1_11target_archE906ELNS1_3gpuE6ELNS1_3repE0EEENS1_30default_config_static_selectorELNS0_4arch9wavefront6targetE1EEEvT1_: ; @_ZN7rocprim17ROCPRIM_400000_NS6detail17trampoline_kernelINS0_14default_configENS1_20scan_config_selectorIiEEZZNS1_9scan_implILNS1_25lookback_scan_determinismE0ELb1ELb1ES3_N6thrust23THRUST_200600_302600_NS6detail15normal_iteratorINS9_10device_ptrIiEEEESE_iNS9_4plusIiEEiEEDaPvRmT3_T4_T5_mT6_P12ihipStream_tbENKUlT_T0_E_clISt17integral_constantIbLb1EEST_IbLb0EEEEDaSP_SQ_EUlSP_E_NS1_11comp_targetILNS1_3genE2ELNS1_11target_archE906ELNS1_3gpuE6ELNS1_3repE0EEENS1_30default_config_static_selectorELNS0_4arch9wavefront6targetE1EEEvT1_
; %bb.0:
	.section	.rodata,"a",@progbits
	.p2align	6, 0x0
	.amdhsa_kernel _ZN7rocprim17ROCPRIM_400000_NS6detail17trampoline_kernelINS0_14default_configENS1_20scan_config_selectorIiEEZZNS1_9scan_implILNS1_25lookback_scan_determinismE0ELb1ELb1ES3_N6thrust23THRUST_200600_302600_NS6detail15normal_iteratorINS9_10device_ptrIiEEEESE_iNS9_4plusIiEEiEEDaPvRmT3_T4_T5_mT6_P12ihipStream_tbENKUlT_T0_E_clISt17integral_constantIbLb1EEST_IbLb0EEEEDaSP_SQ_EUlSP_E_NS1_11comp_targetILNS1_3genE2ELNS1_11target_archE906ELNS1_3gpuE6ELNS1_3repE0EEENS1_30default_config_static_selectorELNS0_4arch9wavefront6targetE1EEEvT1_
		.amdhsa_group_segment_fixed_size 0
		.amdhsa_private_segment_fixed_size 0
		.amdhsa_kernarg_size 96
		.amdhsa_user_sgpr_count 6
		.amdhsa_user_sgpr_private_segment_buffer 1
		.amdhsa_user_sgpr_dispatch_ptr 0
		.amdhsa_user_sgpr_queue_ptr 0
		.amdhsa_user_sgpr_kernarg_segment_ptr 1
		.amdhsa_user_sgpr_dispatch_id 0
		.amdhsa_user_sgpr_flat_scratch_init 0
		.amdhsa_user_sgpr_kernarg_preload_length 0
		.amdhsa_user_sgpr_kernarg_preload_offset 0
		.amdhsa_user_sgpr_private_segment_size 0
		.amdhsa_uses_dynamic_stack 0
		.amdhsa_system_sgpr_private_segment_wavefront_offset 0
		.amdhsa_system_sgpr_workgroup_id_x 1
		.amdhsa_system_sgpr_workgroup_id_y 0
		.amdhsa_system_sgpr_workgroup_id_z 0
		.amdhsa_system_sgpr_workgroup_info 0
		.amdhsa_system_vgpr_workitem_id 0
		.amdhsa_next_free_vgpr 1
		.amdhsa_next_free_sgpr 0
		.amdhsa_accum_offset 4
		.amdhsa_reserve_vcc 0
		.amdhsa_reserve_flat_scratch 0
		.amdhsa_float_round_mode_32 0
		.amdhsa_float_round_mode_16_64 0
		.amdhsa_float_denorm_mode_32 3
		.amdhsa_float_denorm_mode_16_64 3
		.amdhsa_dx10_clamp 1
		.amdhsa_ieee_mode 1
		.amdhsa_fp16_overflow 0
		.amdhsa_tg_split 0
		.amdhsa_exception_fp_ieee_invalid_op 0
		.amdhsa_exception_fp_denorm_src 0
		.amdhsa_exception_fp_ieee_div_zero 0
		.amdhsa_exception_fp_ieee_overflow 0
		.amdhsa_exception_fp_ieee_underflow 0
		.amdhsa_exception_fp_ieee_inexact 0
		.amdhsa_exception_int_div_zero 0
	.end_amdhsa_kernel
	.section	.text._ZN7rocprim17ROCPRIM_400000_NS6detail17trampoline_kernelINS0_14default_configENS1_20scan_config_selectorIiEEZZNS1_9scan_implILNS1_25lookback_scan_determinismE0ELb1ELb1ES3_N6thrust23THRUST_200600_302600_NS6detail15normal_iteratorINS9_10device_ptrIiEEEESE_iNS9_4plusIiEEiEEDaPvRmT3_T4_T5_mT6_P12ihipStream_tbENKUlT_T0_E_clISt17integral_constantIbLb1EEST_IbLb0EEEEDaSP_SQ_EUlSP_E_NS1_11comp_targetILNS1_3genE2ELNS1_11target_archE906ELNS1_3gpuE6ELNS1_3repE0EEENS1_30default_config_static_selectorELNS0_4arch9wavefront6targetE1EEEvT1_,"axG",@progbits,_ZN7rocprim17ROCPRIM_400000_NS6detail17trampoline_kernelINS0_14default_configENS1_20scan_config_selectorIiEEZZNS1_9scan_implILNS1_25lookback_scan_determinismE0ELb1ELb1ES3_N6thrust23THRUST_200600_302600_NS6detail15normal_iteratorINS9_10device_ptrIiEEEESE_iNS9_4plusIiEEiEEDaPvRmT3_T4_T5_mT6_P12ihipStream_tbENKUlT_T0_E_clISt17integral_constantIbLb1EEST_IbLb0EEEEDaSP_SQ_EUlSP_E_NS1_11comp_targetILNS1_3genE2ELNS1_11target_archE906ELNS1_3gpuE6ELNS1_3repE0EEENS1_30default_config_static_selectorELNS0_4arch9wavefront6targetE1EEEvT1_,comdat
.Lfunc_end700:
	.size	_ZN7rocprim17ROCPRIM_400000_NS6detail17trampoline_kernelINS0_14default_configENS1_20scan_config_selectorIiEEZZNS1_9scan_implILNS1_25lookback_scan_determinismE0ELb1ELb1ES3_N6thrust23THRUST_200600_302600_NS6detail15normal_iteratorINS9_10device_ptrIiEEEESE_iNS9_4plusIiEEiEEDaPvRmT3_T4_T5_mT6_P12ihipStream_tbENKUlT_T0_E_clISt17integral_constantIbLb1EEST_IbLb0EEEEDaSP_SQ_EUlSP_E_NS1_11comp_targetILNS1_3genE2ELNS1_11target_archE906ELNS1_3gpuE6ELNS1_3repE0EEENS1_30default_config_static_selectorELNS0_4arch9wavefront6targetE1EEEvT1_, .Lfunc_end700-_ZN7rocprim17ROCPRIM_400000_NS6detail17trampoline_kernelINS0_14default_configENS1_20scan_config_selectorIiEEZZNS1_9scan_implILNS1_25lookback_scan_determinismE0ELb1ELb1ES3_N6thrust23THRUST_200600_302600_NS6detail15normal_iteratorINS9_10device_ptrIiEEEESE_iNS9_4plusIiEEiEEDaPvRmT3_T4_T5_mT6_P12ihipStream_tbENKUlT_T0_E_clISt17integral_constantIbLb1EEST_IbLb0EEEEDaSP_SQ_EUlSP_E_NS1_11comp_targetILNS1_3genE2ELNS1_11target_archE906ELNS1_3gpuE6ELNS1_3repE0EEENS1_30default_config_static_selectorELNS0_4arch9wavefront6targetE1EEEvT1_
                                        ; -- End function
	.section	.AMDGPU.csdata,"",@progbits
; Kernel info:
; codeLenInByte = 0
; NumSgprs: 4
; NumVgprs: 0
; NumAgprs: 0
; TotalNumVgprs: 0
; ScratchSize: 0
; MemoryBound: 0
; FloatMode: 240
; IeeeMode: 1
; LDSByteSize: 0 bytes/workgroup (compile time only)
; SGPRBlocks: 0
; VGPRBlocks: 0
; NumSGPRsForWavesPerEU: 4
; NumVGPRsForWavesPerEU: 1
; AccumOffset: 4
; Occupancy: 8
; WaveLimiterHint : 0
; COMPUTE_PGM_RSRC2:SCRATCH_EN: 0
; COMPUTE_PGM_RSRC2:USER_SGPR: 6
; COMPUTE_PGM_RSRC2:TRAP_HANDLER: 0
; COMPUTE_PGM_RSRC2:TGID_X_EN: 1
; COMPUTE_PGM_RSRC2:TGID_Y_EN: 0
; COMPUTE_PGM_RSRC2:TGID_Z_EN: 0
; COMPUTE_PGM_RSRC2:TIDIG_COMP_CNT: 0
; COMPUTE_PGM_RSRC3_GFX90A:ACCUM_OFFSET: 0
; COMPUTE_PGM_RSRC3_GFX90A:TG_SPLIT: 0
	.section	.text._ZN7rocprim17ROCPRIM_400000_NS6detail17trampoline_kernelINS0_14default_configENS1_20scan_config_selectorIiEEZZNS1_9scan_implILNS1_25lookback_scan_determinismE0ELb1ELb1ES3_N6thrust23THRUST_200600_302600_NS6detail15normal_iteratorINS9_10device_ptrIiEEEESE_iNS9_4plusIiEEiEEDaPvRmT3_T4_T5_mT6_P12ihipStream_tbENKUlT_T0_E_clISt17integral_constantIbLb1EEST_IbLb0EEEEDaSP_SQ_EUlSP_E_NS1_11comp_targetILNS1_3genE10ELNS1_11target_archE1201ELNS1_3gpuE5ELNS1_3repE0EEENS1_30default_config_static_selectorELNS0_4arch9wavefront6targetE1EEEvT1_,"axG",@progbits,_ZN7rocprim17ROCPRIM_400000_NS6detail17trampoline_kernelINS0_14default_configENS1_20scan_config_selectorIiEEZZNS1_9scan_implILNS1_25lookback_scan_determinismE0ELb1ELb1ES3_N6thrust23THRUST_200600_302600_NS6detail15normal_iteratorINS9_10device_ptrIiEEEESE_iNS9_4plusIiEEiEEDaPvRmT3_T4_T5_mT6_P12ihipStream_tbENKUlT_T0_E_clISt17integral_constantIbLb1EEST_IbLb0EEEEDaSP_SQ_EUlSP_E_NS1_11comp_targetILNS1_3genE10ELNS1_11target_archE1201ELNS1_3gpuE5ELNS1_3repE0EEENS1_30default_config_static_selectorELNS0_4arch9wavefront6targetE1EEEvT1_,comdat
	.protected	_ZN7rocprim17ROCPRIM_400000_NS6detail17trampoline_kernelINS0_14default_configENS1_20scan_config_selectorIiEEZZNS1_9scan_implILNS1_25lookback_scan_determinismE0ELb1ELb1ES3_N6thrust23THRUST_200600_302600_NS6detail15normal_iteratorINS9_10device_ptrIiEEEESE_iNS9_4plusIiEEiEEDaPvRmT3_T4_T5_mT6_P12ihipStream_tbENKUlT_T0_E_clISt17integral_constantIbLb1EEST_IbLb0EEEEDaSP_SQ_EUlSP_E_NS1_11comp_targetILNS1_3genE10ELNS1_11target_archE1201ELNS1_3gpuE5ELNS1_3repE0EEENS1_30default_config_static_selectorELNS0_4arch9wavefront6targetE1EEEvT1_ ; -- Begin function _ZN7rocprim17ROCPRIM_400000_NS6detail17trampoline_kernelINS0_14default_configENS1_20scan_config_selectorIiEEZZNS1_9scan_implILNS1_25lookback_scan_determinismE0ELb1ELb1ES3_N6thrust23THRUST_200600_302600_NS6detail15normal_iteratorINS9_10device_ptrIiEEEESE_iNS9_4plusIiEEiEEDaPvRmT3_T4_T5_mT6_P12ihipStream_tbENKUlT_T0_E_clISt17integral_constantIbLb1EEST_IbLb0EEEEDaSP_SQ_EUlSP_E_NS1_11comp_targetILNS1_3genE10ELNS1_11target_archE1201ELNS1_3gpuE5ELNS1_3repE0EEENS1_30default_config_static_selectorELNS0_4arch9wavefront6targetE1EEEvT1_
	.globl	_ZN7rocprim17ROCPRIM_400000_NS6detail17trampoline_kernelINS0_14default_configENS1_20scan_config_selectorIiEEZZNS1_9scan_implILNS1_25lookback_scan_determinismE0ELb1ELb1ES3_N6thrust23THRUST_200600_302600_NS6detail15normal_iteratorINS9_10device_ptrIiEEEESE_iNS9_4plusIiEEiEEDaPvRmT3_T4_T5_mT6_P12ihipStream_tbENKUlT_T0_E_clISt17integral_constantIbLb1EEST_IbLb0EEEEDaSP_SQ_EUlSP_E_NS1_11comp_targetILNS1_3genE10ELNS1_11target_archE1201ELNS1_3gpuE5ELNS1_3repE0EEENS1_30default_config_static_selectorELNS0_4arch9wavefront6targetE1EEEvT1_
	.p2align	8
	.type	_ZN7rocprim17ROCPRIM_400000_NS6detail17trampoline_kernelINS0_14default_configENS1_20scan_config_selectorIiEEZZNS1_9scan_implILNS1_25lookback_scan_determinismE0ELb1ELb1ES3_N6thrust23THRUST_200600_302600_NS6detail15normal_iteratorINS9_10device_ptrIiEEEESE_iNS9_4plusIiEEiEEDaPvRmT3_T4_T5_mT6_P12ihipStream_tbENKUlT_T0_E_clISt17integral_constantIbLb1EEST_IbLb0EEEEDaSP_SQ_EUlSP_E_NS1_11comp_targetILNS1_3genE10ELNS1_11target_archE1201ELNS1_3gpuE5ELNS1_3repE0EEENS1_30default_config_static_selectorELNS0_4arch9wavefront6targetE1EEEvT1_,@function
_ZN7rocprim17ROCPRIM_400000_NS6detail17trampoline_kernelINS0_14default_configENS1_20scan_config_selectorIiEEZZNS1_9scan_implILNS1_25lookback_scan_determinismE0ELb1ELb1ES3_N6thrust23THRUST_200600_302600_NS6detail15normal_iteratorINS9_10device_ptrIiEEEESE_iNS9_4plusIiEEiEEDaPvRmT3_T4_T5_mT6_P12ihipStream_tbENKUlT_T0_E_clISt17integral_constantIbLb1EEST_IbLb0EEEEDaSP_SQ_EUlSP_E_NS1_11comp_targetILNS1_3genE10ELNS1_11target_archE1201ELNS1_3gpuE5ELNS1_3repE0EEENS1_30default_config_static_selectorELNS0_4arch9wavefront6targetE1EEEvT1_: ; @_ZN7rocprim17ROCPRIM_400000_NS6detail17trampoline_kernelINS0_14default_configENS1_20scan_config_selectorIiEEZZNS1_9scan_implILNS1_25lookback_scan_determinismE0ELb1ELb1ES3_N6thrust23THRUST_200600_302600_NS6detail15normal_iteratorINS9_10device_ptrIiEEEESE_iNS9_4plusIiEEiEEDaPvRmT3_T4_T5_mT6_P12ihipStream_tbENKUlT_T0_E_clISt17integral_constantIbLb1EEST_IbLb0EEEEDaSP_SQ_EUlSP_E_NS1_11comp_targetILNS1_3genE10ELNS1_11target_archE1201ELNS1_3gpuE5ELNS1_3repE0EEENS1_30default_config_static_selectorELNS0_4arch9wavefront6targetE1EEEvT1_
; %bb.0:
	.section	.rodata,"a",@progbits
	.p2align	6, 0x0
	.amdhsa_kernel _ZN7rocprim17ROCPRIM_400000_NS6detail17trampoline_kernelINS0_14default_configENS1_20scan_config_selectorIiEEZZNS1_9scan_implILNS1_25lookback_scan_determinismE0ELb1ELb1ES3_N6thrust23THRUST_200600_302600_NS6detail15normal_iteratorINS9_10device_ptrIiEEEESE_iNS9_4plusIiEEiEEDaPvRmT3_T4_T5_mT6_P12ihipStream_tbENKUlT_T0_E_clISt17integral_constantIbLb1EEST_IbLb0EEEEDaSP_SQ_EUlSP_E_NS1_11comp_targetILNS1_3genE10ELNS1_11target_archE1201ELNS1_3gpuE5ELNS1_3repE0EEENS1_30default_config_static_selectorELNS0_4arch9wavefront6targetE1EEEvT1_
		.amdhsa_group_segment_fixed_size 0
		.amdhsa_private_segment_fixed_size 0
		.amdhsa_kernarg_size 96
		.amdhsa_user_sgpr_count 6
		.amdhsa_user_sgpr_private_segment_buffer 1
		.amdhsa_user_sgpr_dispatch_ptr 0
		.amdhsa_user_sgpr_queue_ptr 0
		.amdhsa_user_sgpr_kernarg_segment_ptr 1
		.amdhsa_user_sgpr_dispatch_id 0
		.amdhsa_user_sgpr_flat_scratch_init 0
		.amdhsa_user_sgpr_kernarg_preload_length 0
		.amdhsa_user_sgpr_kernarg_preload_offset 0
		.amdhsa_user_sgpr_private_segment_size 0
		.amdhsa_uses_dynamic_stack 0
		.amdhsa_system_sgpr_private_segment_wavefront_offset 0
		.amdhsa_system_sgpr_workgroup_id_x 1
		.amdhsa_system_sgpr_workgroup_id_y 0
		.amdhsa_system_sgpr_workgroup_id_z 0
		.amdhsa_system_sgpr_workgroup_info 0
		.amdhsa_system_vgpr_workitem_id 0
		.amdhsa_next_free_vgpr 1
		.amdhsa_next_free_sgpr 0
		.amdhsa_accum_offset 4
		.amdhsa_reserve_vcc 0
		.amdhsa_reserve_flat_scratch 0
		.amdhsa_float_round_mode_32 0
		.amdhsa_float_round_mode_16_64 0
		.amdhsa_float_denorm_mode_32 3
		.amdhsa_float_denorm_mode_16_64 3
		.amdhsa_dx10_clamp 1
		.amdhsa_ieee_mode 1
		.amdhsa_fp16_overflow 0
		.amdhsa_tg_split 0
		.amdhsa_exception_fp_ieee_invalid_op 0
		.amdhsa_exception_fp_denorm_src 0
		.amdhsa_exception_fp_ieee_div_zero 0
		.amdhsa_exception_fp_ieee_overflow 0
		.amdhsa_exception_fp_ieee_underflow 0
		.amdhsa_exception_fp_ieee_inexact 0
		.amdhsa_exception_int_div_zero 0
	.end_amdhsa_kernel
	.section	.text._ZN7rocprim17ROCPRIM_400000_NS6detail17trampoline_kernelINS0_14default_configENS1_20scan_config_selectorIiEEZZNS1_9scan_implILNS1_25lookback_scan_determinismE0ELb1ELb1ES3_N6thrust23THRUST_200600_302600_NS6detail15normal_iteratorINS9_10device_ptrIiEEEESE_iNS9_4plusIiEEiEEDaPvRmT3_T4_T5_mT6_P12ihipStream_tbENKUlT_T0_E_clISt17integral_constantIbLb1EEST_IbLb0EEEEDaSP_SQ_EUlSP_E_NS1_11comp_targetILNS1_3genE10ELNS1_11target_archE1201ELNS1_3gpuE5ELNS1_3repE0EEENS1_30default_config_static_selectorELNS0_4arch9wavefront6targetE1EEEvT1_,"axG",@progbits,_ZN7rocprim17ROCPRIM_400000_NS6detail17trampoline_kernelINS0_14default_configENS1_20scan_config_selectorIiEEZZNS1_9scan_implILNS1_25lookback_scan_determinismE0ELb1ELb1ES3_N6thrust23THRUST_200600_302600_NS6detail15normal_iteratorINS9_10device_ptrIiEEEESE_iNS9_4plusIiEEiEEDaPvRmT3_T4_T5_mT6_P12ihipStream_tbENKUlT_T0_E_clISt17integral_constantIbLb1EEST_IbLb0EEEEDaSP_SQ_EUlSP_E_NS1_11comp_targetILNS1_3genE10ELNS1_11target_archE1201ELNS1_3gpuE5ELNS1_3repE0EEENS1_30default_config_static_selectorELNS0_4arch9wavefront6targetE1EEEvT1_,comdat
.Lfunc_end701:
	.size	_ZN7rocprim17ROCPRIM_400000_NS6detail17trampoline_kernelINS0_14default_configENS1_20scan_config_selectorIiEEZZNS1_9scan_implILNS1_25lookback_scan_determinismE0ELb1ELb1ES3_N6thrust23THRUST_200600_302600_NS6detail15normal_iteratorINS9_10device_ptrIiEEEESE_iNS9_4plusIiEEiEEDaPvRmT3_T4_T5_mT6_P12ihipStream_tbENKUlT_T0_E_clISt17integral_constantIbLb1EEST_IbLb0EEEEDaSP_SQ_EUlSP_E_NS1_11comp_targetILNS1_3genE10ELNS1_11target_archE1201ELNS1_3gpuE5ELNS1_3repE0EEENS1_30default_config_static_selectorELNS0_4arch9wavefront6targetE1EEEvT1_, .Lfunc_end701-_ZN7rocprim17ROCPRIM_400000_NS6detail17trampoline_kernelINS0_14default_configENS1_20scan_config_selectorIiEEZZNS1_9scan_implILNS1_25lookback_scan_determinismE0ELb1ELb1ES3_N6thrust23THRUST_200600_302600_NS6detail15normal_iteratorINS9_10device_ptrIiEEEESE_iNS9_4plusIiEEiEEDaPvRmT3_T4_T5_mT6_P12ihipStream_tbENKUlT_T0_E_clISt17integral_constantIbLb1EEST_IbLb0EEEEDaSP_SQ_EUlSP_E_NS1_11comp_targetILNS1_3genE10ELNS1_11target_archE1201ELNS1_3gpuE5ELNS1_3repE0EEENS1_30default_config_static_selectorELNS0_4arch9wavefront6targetE1EEEvT1_
                                        ; -- End function
	.section	.AMDGPU.csdata,"",@progbits
; Kernel info:
; codeLenInByte = 0
; NumSgprs: 4
; NumVgprs: 0
; NumAgprs: 0
; TotalNumVgprs: 0
; ScratchSize: 0
; MemoryBound: 0
; FloatMode: 240
; IeeeMode: 1
; LDSByteSize: 0 bytes/workgroup (compile time only)
; SGPRBlocks: 0
; VGPRBlocks: 0
; NumSGPRsForWavesPerEU: 4
; NumVGPRsForWavesPerEU: 1
; AccumOffset: 4
; Occupancy: 8
; WaveLimiterHint : 0
; COMPUTE_PGM_RSRC2:SCRATCH_EN: 0
; COMPUTE_PGM_RSRC2:USER_SGPR: 6
; COMPUTE_PGM_RSRC2:TRAP_HANDLER: 0
; COMPUTE_PGM_RSRC2:TGID_X_EN: 1
; COMPUTE_PGM_RSRC2:TGID_Y_EN: 0
; COMPUTE_PGM_RSRC2:TGID_Z_EN: 0
; COMPUTE_PGM_RSRC2:TIDIG_COMP_CNT: 0
; COMPUTE_PGM_RSRC3_GFX90A:ACCUM_OFFSET: 0
; COMPUTE_PGM_RSRC3_GFX90A:TG_SPLIT: 0
	.section	.text._ZN7rocprim17ROCPRIM_400000_NS6detail17trampoline_kernelINS0_14default_configENS1_20scan_config_selectorIiEEZZNS1_9scan_implILNS1_25lookback_scan_determinismE0ELb1ELb1ES3_N6thrust23THRUST_200600_302600_NS6detail15normal_iteratorINS9_10device_ptrIiEEEESE_iNS9_4plusIiEEiEEDaPvRmT3_T4_T5_mT6_P12ihipStream_tbENKUlT_T0_E_clISt17integral_constantIbLb1EEST_IbLb0EEEEDaSP_SQ_EUlSP_E_NS1_11comp_targetILNS1_3genE10ELNS1_11target_archE1200ELNS1_3gpuE4ELNS1_3repE0EEENS1_30default_config_static_selectorELNS0_4arch9wavefront6targetE1EEEvT1_,"axG",@progbits,_ZN7rocprim17ROCPRIM_400000_NS6detail17trampoline_kernelINS0_14default_configENS1_20scan_config_selectorIiEEZZNS1_9scan_implILNS1_25lookback_scan_determinismE0ELb1ELb1ES3_N6thrust23THRUST_200600_302600_NS6detail15normal_iteratorINS9_10device_ptrIiEEEESE_iNS9_4plusIiEEiEEDaPvRmT3_T4_T5_mT6_P12ihipStream_tbENKUlT_T0_E_clISt17integral_constantIbLb1EEST_IbLb0EEEEDaSP_SQ_EUlSP_E_NS1_11comp_targetILNS1_3genE10ELNS1_11target_archE1200ELNS1_3gpuE4ELNS1_3repE0EEENS1_30default_config_static_selectorELNS0_4arch9wavefront6targetE1EEEvT1_,comdat
	.protected	_ZN7rocprim17ROCPRIM_400000_NS6detail17trampoline_kernelINS0_14default_configENS1_20scan_config_selectorIiEEZZNS1_9scan_implILNS1_25lookback_scan_determinismE0ELb1ELb1ES3_N6thrust23THRUST_200600_302600_NS6detail15normal_iteratorINS9_10device_ptrIiEEEESE_iNS9_4plusIiEEiEEDaPvRmT3_T4_T5_mT6_P12ihipStream_tbENKUlT_T0_E_clISt17integral_constantIbLb1EEST_IbLb0EEEEDaSP_SQ_EUlSP_E_NS1_11comp_targetILNS1_3genE10ELNS1_11target_archE1200ELNS1_3gpuE4ELNS1_3repE0EEENS1_30default_config_static_selectorELNS0_4arch9wavefront6targetE1EEEvT1_ ; -- Begin function _ZN7rocprim17ROCPRIM_400000_NS6detail17trampoline_kernelINS0_14default_configENS1_20scan_config_selectorIiEEZZNS1_9scan_implILNS1_25lookback_scan_determinismE0ELb1ELb1ES3_N6thrust23THRUST_200600_302600_NS6detail15normal_iteratorINS9_10device_ptrIiEEEESE_iNS9_4plusIiEEiEEDaPvRmT3_T4_T5_mT6_P12ihipStream_tbENKUlT_T0_E_clISt17integral_constantIbLb1EEST_IbLb0EEEEDaSP_SQ_EUlSP_E_NS1_11comp_targetILNS1_3genE10ELNS1_11target_archE1200ELNS1_3gpuE4ELNS1_3repE0EEENS1_30default_config_static_selectorELNS0_4arch9wavefront6targetE1EEEvT1_
	.globl	_ZN7rocprim17ROCPRIM_400000_NS6detail17trampoline_kernelINS0_14default_configENS1_20scan_config_selectorIiEEZZNS1_9scan_implILNS1_25lookback_scan_determinismE0ELb1ELb1ES3_N6thrust23THRUST_200600_302600_NS6detail15normal_iteratorINS9_10device_ptrIiEEEESE_iNS9_4plusIiEEiEEDaPvRmT3_T4_T5_mT6_P12ihipStream_tbENKUlT_T0_E_clISt17integral_constantIbLb1EEST_IbLb0EEEEDaSP_SQ_EUlSP_E_NS1_11comp_targetILNS1_3genE10ELNS1_11target_archE1200ELNS1_3gpuE4ELNS1_3repE0EEENS1_30default_config_static_selectorELNS0_4arch9wavefront6targetE1EEEvT1_
	.p2align	8
	.type	_ZN7rocprim17ROCPRIM_400000_NS6detail17trampoline_kernelINS0_14default_configENS1_20scan_config_selectorIiEEZZNS1_9scan_implILNS1_25lookback_scan_determinismE0ELb1ELb1ES3_N6thrust23THRUST_200600_302600_NS6detail15normal_iteratorINS9_10device_ptrIiEEEESE_iNS9_4plusIiEEiEEDaPvRmT3_T4_T5_mT6_P12ihipStream_tbENKUlT_T0_E_clISt17integral_constantIbLb1EEST_IbLb0EEEEDaSP_SQ_EUlSP_E_NS1_11comp_targetILNS1_3genE10ELNS1_11target_archE1200ELNS1_3gpuE4ELNS1_3repE0EEENS1_30default_config_static_selectorELNS0_4arch9wavefront6targetE1EEEvT1_,@function
_ZN7rocprim17ROCPRIM_400000_NS6detail17trampoline_kernelINS0_14default_configENS1_20scan_config_selectorIiEEZZNS1_9scan_implILNS1_25lookback_scan_determinismE0ELb1ELb1ES3_N6thrust23THRUST_200600_302600_NS6detail15normal_iteratorINS9_10device_ptrIiEEEESE_iNS9_4plusIiEEiEEDaPvRmT3_T4_T5_mT6_P12ihipStream_tbENKUlT_T0_E_clISt17integral_constantIbLb1EEST_IbLb0EEEEDaSP_SQ_EUlSP_E_NS1_11comp_targetILNS1_3genE10ELNS1_11target_archE1200ELNS1_3gpuE4ELNS1_3repE0EEENS1_30default_config_static_selectorELNS0_4arch9wavefront6targetE1EEEvT1_: ; @_ZN7rocprim17ROCPRIM_400000_NS6detail17trampoline_kernelINS0_14default_configENS1_20scan_config_selectorIiEEZZNS1_9scan_implILNS1_25lookback_scan_determinismE0ELb1ELb1ES3_N6thrust23THRUST_200600_302600_NS6detail15normal_iteratorINS9_10device_ptrIiEEEESE_iNS9_4plusIiEEiEEDaPvRmT3_T4_T5_mT6_P12ihipStream_tbENKUlT_T0_E_clISt17integral_constantIbLb1EEST_IbLb0EEEEDaSP_SQ_EUlSP_E_NS1_11comp_targetILNS1_3genE10ELNS1_11target_archE1200ELNS1_3gpuE4ELNS1_3repE0EEENS1_30default_config_static_selectorELNS0_4arch9wavefront6targetE1EEEvT1_
; %bb.0:
	.section	.rodata,"a",@progbits
	.p2align	6, 0x0
	.amdhsa_kernel _ZN7rocprim17ROCPRIM_400000_NS6detail17trampoline_kernelINS0_14default_configENS1_20scan_config_selectorIiEEZZNS1_9scan_implILNS1_25lookback_scan_determinismE0ELb1ELb1ES3_N6thrust23THRUST_200600_302600_NS6detail15normal_iteratorINS9_10device_ptrIiEEEESE_iNS9_4plusIiEEiEEDaPvRmT3_T4_T5_mT6_P12ihipStream_tbENKUlT_T0_E_clISt17integral_constantIbLb1EEST_IbLb0EEEEDaSP_SQ_EUlSP_E_NS1_11comp_targetILNS1_3genE10ELNS1_11target_archE1200ELNS1_3gpuE4ELNS1_3repE0EEENS1_30default_config_static_selectorELNS0_4arch9wavefront6targetE1EEEvT1_
		.amdhsa_group_segment_fixed_size 0
		.amdhsa_private_segment_fixed_size 0
		.amdhsa_kernarg_size 96
		.amdhsa_user_sgpr_count 6
		.amdhsa_user_sgpr_private_segment_buffer 1
		.amdhsa_user_sgpr_dispatch_ptr 0
		.amdhsa_user_sgpr_queue_ptr 0
		.amdhsa_user_sgpr_kernarg_segment_ptr 1
		.amdhsa_user_sgpr_dispatch_id 0
		.amdhsa_user_sgpr_flat_scratch_init 0
		.amdhsa_user_sgpr_kernarg_preload_length 0
		.amdhsa_user_sgpr_kernarg_preload_offset 0
		.amdhsa_user_sgpr_private_segment_size 0
		.amdhsa_uses_dynamic_stack 0
		.amdhsa_system_sgpr_private_segment_wavefront_offset 0
		.amdhsa_system_sgpr_workgroup_id_x 1
		.amdhsa_system_sgpr_workgroup_id_y 0
		.amdhsa_system_sgpr_workgroup_id_z 0
		.amdhsa_system_sgpr_workgroup_info 0
		.amdhsa_system_vgpr_workitem_id 0
		.amdhsa_next_free_vgpr 1
		.amdhsa_next_free_sgpr 0
		.amdhsa_accum_offset 4
		.amdhsa_reserve_vcc 0
		.amdhsa_reserve_flat_scratch 0
		.amdhsa_float_round_mode_32 0
		.amdhsa_float_round_mode_16_64 0
		.amdhsa_float_denorm_mode_32 3
		.amdhsa_float_denorm_mode_16_64 3
		.amdhsa_dx10_clamp 1
		.amdhsa_ieee_mode 1
		.amdhsa_fp16_overflow 0
		.amdhsa_tg_split 0
		.amdhsa_exception_fp_ieee_invalid_op 0
		.amdhsa_exception_fp_denorm_src 0
		.amdhsa_exception_fp_ieee_div_zero 0
		.amdhsa_exception_fp_ieee_overflow 0
		.amdhsa_exception_fp_ieee_underflow 0
		.amdhsa_exception_fp_ieee_inexact 0
		.amdhsa_exception_int_div_zero 0
	.end_amdhsa_kernel
	.section	.text._ZN7rocprim17ROCPRIM_400000_NS6detail17trampoline_kernelINS0_14default_configENS1_20scan_config_selectorIiEEZZNS1_9scan_implILNS1_25lookback_scan_determinismE0ELb1ELb1ES3_N6thrust23THRUST_200600_302600_NS6detail15normal_iteratorINS9_10device_ptrIiEEEESE_iNS9_4plusIiEEiEEDaPvRmT3_T4_T5_mT6_P12ihipStream_tbENKUlT_T0_E_clISt17integral_constantIbLb1EEST_IbLb0EEEEDaSP_SQ_EUlSP_E_NS1_11comp_targetILNS1_3genE10ELNS1_11target_archE1200ELNS1_3gpuE4ELNS1_3repE0EEENS1_30default_config_static_selectorELNS0_4arch9wavefront6targetE1EEEvT1_,"axG",@progbits,_ZN7rocprim17ROCPRIM_400000_NS6detail17trampoline_kernelINS0_14default_configENS1_20scan_config_selectorIiEEZZNS1_9scan_implILNS1_25lookback_scan_determinismE0ELb1ELb1ES3_N6thrust23THRUST_200600_302600_NS6detail15normal_iteratorINS9_10device_ptrIiEEEESE_iNS9_4plusIiEEiEEDaPvRmT3_T4_T5_mT6_P12ihipStream_tbENKUlT_T0_E_clISt17integral_constantIbLb1EEST_IbLb0EEEEDaSP_SQ_EUlSP_E_NS1_11comp_targetILNS1_3genE10ELNS1_11target_archE1200ELNS1_3gpuE4ELNS1_3repE0EEENS1_30default_config_static_selectorELNS0_4arch9wavefront6targetE1EEEvT1_,comdat
.Lfunc_end702:
	.size	_ZN7rocprim17ROCPRIM_400000_NS6detail17trampoline_kernelINS0_14default_configENS1_20scan_config_selectorIiEEZZNS1_9scan_implILNS1_25lookback_scan_determinismE0ELb1ELb1ES3_N6thrust23THRUST_200600_302600_NS6detail15normal_iteratorINS9_10device_ptrIiEEEESE_iNS9_4plusIiEEiEEDaPvRmT3_T4_T5_mT6_P12ihipStream_tbENKUlT_T0_E_clISt17integral_constantIbLb1EEST_IbLb0EEEEDaSP_SQ_EUlSP_E_NS1_11comp_targetILNS1_3genE10ELNS1_11target_archE1200ELNS1_3gpuE4ELNS1_3repE0EEENS1_30default_config_static_selectorELNS0_4arch9wavefront6targetE1EEEvT1_, .Lfunc_end702-_ZN7rocprim17ROCPRIM_400000_NS6detail17trampoline_kernelINS0_14default_configENS1_20scan_config_selectorIiEEZZNS1_9scan_implILNS1_25lookback_scan_determinismE0ELb1ELb1ES3_N6thrust23THRUST_200600_302600_NS6detail15normal_iteratorINS9_10device_ptrIiEEEESE_iNS9_4plusIiEEiEEDaPvRmT3_T4_T5_mT6_P12ihipStream_tbENKUlT_T0_E_clISt17integral_constantIbLb1EEST_IbLb0EEEEDaSP_SQ_EUlSP_E_NS1_11comp_targetILNS1_3genE10ELNS1_11target_archE1200ELNS1_3gpuE4ELNS1_3repE0EEENS1_30default_config_static_selectorELNS0_4arch9wavefront6targetE1EEEvT1_
                                        ; -- End function
	.section	.AMDGPU.csdata,"",@progbits
; Kernel info:
; codeLenInByte = 0
; NumSgprs: 4
; NumVgprs: 0
; NumAgprs: 0
; TotalNumVgprs: 0
; ScratchSize: 0
; MemoryBound: 0
; FloatMode: 240
; IeeeMode: 1
; LDSByteSize: 0 bytes/workgroup (compile time only)
; SGPRBlocks: 0
; VGPRBlocks: 0
; NumSGPRsForWavesPerEU: 4
; NumVGPRsForWavesPerEU: 1
; AccumOffset: 4
; Occupancy: 8
; WaveLimiterHint : 0
; COMPUTE_PGM_RSRC2:SCRATCH_EN: 0
; COMPUTE_PGM_RSRC2:USER_SGPR: 6
; COMPUTE_PGM_RSRC2:TRAP_HANDLER: 0
; COMPUTE_PGM_RSRC2:TGID_X_EN: 1
; COMPUTE_PGM_RSRC2:TGID_Y_EN: 0
; COMPUTE_PGM_RSRC2:TGID_Z_EN: 0
; COMPUTE_PGM_RSRC2:TIDIG_COMP_CNT: 0
; COMPUTE_PGM_RSRC3_GFX90A:ACCUM_OFFSET: 0
; COMPUTE_PGM_RSRC3_GFX90A:TG_SPLIT: 0
	.section	.text._ZN7rocprim17ROCPRIM_400000_NS6detail17trampoline_kernelINS0_14default_configENS1_20scan_config_selectorIiEEZZNS1_9scan_implILNS1_25lookback_scan_determinismE0ELb1ELb1ES3_N6thrust23THRUST_200600_302600_NS6detail15normal_iteratorINS9_10device_ptrIiEEEESE_iNS9_4plusIiEEiEEDaPvRmT3_T4_T5_mT6_P12ihipStream_tbENKUlT_T0_E_clISt17integral_constantIbLb1EEST_IbLb0EEEEDaSP_SQ_EUlSP_E_NS1_11comp_targetILNS1_3genE9ELNS1_11target_archE1100ELNS1_3gpuE3ELNS1_3repE0EEENS1_30default_config_static_selectorELNS0_4arch9wavefront6targetE1EEEvT1_,"axG",@progbits,_ZN7rocprim17ROCPRIM_400000_NS6detail17trampoline_kernelINS0_14default_configENS1_20scan_config_selectorIiEEZZNS1_9scan_implILNS1_25lookback_scan_determinismE0ELb1ELb1ES3_N6thrust23THRUST_200600_302600_NS6detail15normal_iteratorINS9_10device_ptrIiEEEESE_iNS9_4plusIiEEiEEDaPvRmT3_T4_T5_mT6_P12ihipStream_tbENKUlT_T0_E_clISt17integral_constantIbLb1EEST_IbLb0EEEEDaSP_SQ_EUlSP_E_NS1_11comp_targetILNS1_3genE9ELNS1_11target_archE1100ELNS1_3gpuE3ELNS1_3repE0EEENS1_30default_config_static_selectorELNS0_4arch9wavefront6targetE1EEEvT1_,comdat
	.protected	_ZN7rocprim17ROCPRIM_400000_NS6detail17trampoline_kernelINS0_14default_configENS1_20scan_config_selectorIiEEZZNS1_9scan_implILNS1_25lookback_scan_determinismE0ELb1ELb1ES3_N6thrust23THRUST_200600_302600_NS6detail15normal_iteratorINS9_10device_ptrIiEEEESE_iNS9_4plusIiEEiEEDaPvRmT3_T4_T5_mT6_P12ihipStream_tbENKUlT_T0_E_clISt17integral_constantIbLb1EEST_IbLb0EEEEDaSP_SQ_EUlSP_E_NS1_11comp_targetILNS1_3genE9ELNS1_11target_archE1100ELNS1_3gpuE3ELNS1_3repE0EEENS1_30default_config_static_selectorELNS0_4arch9wavefront6targetE1EEEvT1_ ; -- Begin function _ZN7rocprim17ROCPRIM_400000_NS6detail17trampoline_kernelINS0_14default_configENS1_20scan_config_selectorIiEEZZNS1_9scan_implILNS1_25lookback_scan_determinismE0ELb1ELb1ES3_N6thrust23THRUST_200600_302600_NS6detail15normal_iteratorINS9_10device_ptrIiEEEESE_iNS9_4plusIiEEiEEDaPvRmT3_T4_T5_mT6_P12ihipStream_tbENKUlT_T0_E_clISt17integral_constantIbLb1EEST_IbLb0EEEEDaSP_SQ_EUlSP_E_NS1_11comp_targetILNS1_3genE9ELNS1_11target_archE1100ELNS1_3gpuE3ELNS1_3repE0EEENS1_30default_config_static_selectorELNS0_4arch9wavefront6targetE1EEEvT1_
	.globl	_ZN7rocprim17ROCPRIM_400000_NS6detail17trampoline_kernelINS0_14default_configENS1_20scan_config_selectorIiEEZZNS1_9scan_implILNS1_25lookback_scan_determinismE0ELb1ELb1ES3_N6thrust23THRUST_200600_302600_NS6detail15normal_iteratorINS9_10device_ptrIiEEEESE_iNS9_4plusIiEEiEEDaPvRmT3_T4_T5_mT6_P12ihipStream_tbENKUlT_T0_E_clISt17integral_constantIbLb1EEST_IbLb0EEEEDaSP_SQ_EUlSP_E_NS1_11comp_targetILNS1_3genE9ELNS1_11target_archE1100ELNS1_3gpuE3ELNS1_3repE0EEENS1_30default_config_static_selectorELNS0_4arch9wavefront6targetE1EEEvT1_
	.p2align	8
	.type	_ZN7rocprim17ROCPRIM_400000_NS6detail17trampoline_kernelINS0_14default_configENS1_20scan_config_selectorIiEEZZNS1_9scan_implILNS1_25lookback_scan_determinismE0ELb1ELb1ES3_N6thrust23THRUST_200600_302600_NS6detail15normal_iteratorINS9_10device_ptrIiEEEESE_iNS9_4plusIiEEiEEDaPvRmT3_T4_T5_mT6_P12ihipStream_tbENKUlT_T0_E_clISt17integral_constantIbLb1EEST_IbLb0EEEEDaSP_SQ_EUlSP_E_NS1_11comp_targetILNS1_3genE9ELNS1_11target_archE1100ELNS1_3gpuE3ELNS1_3repE0EEENS1_30default_config_static_selectorELNS0_4arch9wavefront6targetE1EEEvT1_,@function
_ZN7rocprim17ROCPRIM_400000_NS6detail17trampoline_kernelINS0_14default_configENS1_20scan_config_selectorIiEEZZNS1_9scan_implILNS1_25lookback_scan_determinismE0ELb1ELb1ES3_N6thrust23THRUST_200600_302600_NS6detail15normal_iteratorINS9_10device_ptrIiEEEESE_iNS9_4plusIiEEiEEDaPvRmT3_T4_T5_mT6_P12ihipStream_tbENKUlT_T0_E_clISt17integral_constantIbLb1EEST_IbLb0EEEEDaSP_SQ_EUlSP_E_NS1_11comp_targetILNS1_3genE9ELNS1_11target_archE1100ELNS1_3gpuE3ELNS1_3repE0EEENS1_30default_config_static_selectorELNS0_4arch9wavefront6targetE1EEEvT1_: ; @_ZN7rocprim17ROCPRIM_400000_NS6detail17trampoline_kernelINS0_14default_configENS1_20scan_config_selectorIiEEZZNS1_9scan_implILNS1_25lookback_scan_determinismE0ELb1ELb1ES3_N6thrust23THRUST_200600_302600_NS6detail15normal_iteratorINS9_10device_ptrIiEEEESE_iNS9_4plusIiEEiEEDaPvRmT3_T4_T5_mT6_P12ihipStream_tbENKUlT_T0_E_clISt17integral_constantIbLb1EEST_IbLb0EEEEDaSP_SQ_EUlSP_E_NS1_11comp_targetILNS1_3genE9ELNS1_11target_archE1100ELNS1_3gpuE3ELNS1_3repE0EEENS1_30default_config_static_selectorELNS0_4arch9wavefront6targetE1EEEvT1_
; %bb.0:
	.section	.rodata,"a",@progbits
	.p2align	6, 0x0
	.amdhsa_kernel _ZN7rocprim17ROCPRIM_400000_NS6detail17trampoline_kernelINS0_14default_configENS1_20scan_config_selectorIiEEZZNS1_9scan_implILNS1_25lookback_scan_determinismE0ELb1ELb1ES3_N6thrust23THRUST_200600_302600_NS6detail15normal_iteratorINS9_10device_ptrIiEEEESE_iNS9_4plusIiEEiEEDaPvRmT3_T4_T5_mT6_P12ihipStream_tbENKUlT_T0_E_clISt17integral_constantIbLb1EEST_IbLb0EEEEDaSP_SQ_EUlSP_E_NS1_11comp_targetILNS1_3genE9ELNS1_11target_archE1100ELNS1_3gpuE3ELNS1_3repE0EEENS1_30default_config_static_selectorELNS0_4arch9wavefront6targetE1EEEvT1_
		.amdhsa_group_segment_fixed_size 0
		.amdhsa_private_segment_fixed_size 0
		.amdhsa_kernarg_size 96
		.amdhsa_user_sgpr_count 6
		.amdhsa_user_sgpr_private_segment_buffer 1
		.amdhsa_user_sgpr_dispatch_ptr 0
		.amdhsa_user_sgpr_queue_ptr 0
		.amdhsa_user_sgpr_kernarg_segment_ptr 1
		.amdhsa_user_sgpr_dispatch_id 0
		.amdhsa_user_sgpr_flat_scratch_init 0
		.amdhsa_user_sgpr_kernarg_preload_length 0
		.amdhsa_user_sgpr_kernarg_preload_offset 0
		.amdhsa_user_sgpr_private_segment_size 0
		.amdhsa_uses_dynamic_stack 0
		.amdhsa_system_sgpr_private_segment_wavefront_offset 0
		.amdhsa_system_sgpr_workgroup_id_x 1
		.amdhsa_system_sgpr_workgroup_id_y 0
		.amdhsa_system_sgpr_workgroup_id_z 0
		.amdhsa_system_sgpr_workgroup_info 0
		.amdhsa_system_vgpr_workitem_id 0
		.amdhsa_next_free_vgpr 1
		.amdhsa_next_free_sgpr 0
		.amdhsa_accum_offset 4
		.amdhsa_reserve_vcc 0
		.amdhsa_reserve_flat_scratch 0
		.amdhsa_float_round_mode_32 0
		.amdhsa_float_round_mode_16_64 0
		.amdhsa_float_denorm_mode_32 3
		.amdhsa_float_denorm_mode_16_64 3
		.amdhsa_dx10_clamp 1
		.amdhsa_ieee_mode 1
		.amdhsa_fp16_overflow 0
		.amdhsa_tg_split 0
		.amdhsa_exception_fp_ieee_invalid_op 0
		.amdhsa_exception_fp_denorm_src 0
		.amdhsa_exception_fp_ieee_div_zero 0
		.amdhsa_exception_fp_ieee_overflow 0
		.amdhsa_exception_fp_ieee_underflow 0
		.amdhsa_exception_fp_ieee_inexact 0
		.amdhsa_exception_int_div_zero 0
	.end_amdhsa_kernel
	.section	.text._ZN7rocprim17ROCPRIM_400000_NS6detail17trampoline_kernelINS0_14default_configENS1_20scan_config_selectorIiEEZZNS1_9scan_implILNS1_25lookback_scan_determinismE0ELb1ELb1ES3_N6thrust23THRUST_200600_302600_NS6detail15normal_iteratorINS9_10device_ptrIiEEEESE_iNS9_4plusIiEEiEEDaPvRmT3_T4_T5_mT6_P12ihipStream_tbENKUlT_T0_E_clISt17integral_constantIbLb1EEST_IbLb0EEEEDaSP_SQ_EUlSP_E_NS1_11comp_targetILNS1_3genE9ELNS1_11target_archE1100ELNS1_3gpuE3ELNS1_3repE0EEENS1_30default_config_static_selectorELNS0_4arch9wavefront6targetE1EEEvT1_,"axG",@progbits,_ZN7rocprim17ROCPRIM_400000_NS6detail17trampoline_kernelINS0_14default_configENS1_20scan_config_selectorIiEEZZNS1_9scan_implILNS1_25lookback_scan_determinismE0ELb1ELb1ES3_N6thrust23THRUST_200600_302600_NS6detail15normal_iteratorINS9_10device_ptrIiEEEESE_iNS9_4plusIiEEiEEDaPvRmT3_T4_T5_mT6_P12ihipStream_tbENKUlT_T0_E_clISt17integral_constantIbLb1EEST_IbLb0EEEEDaSP_SQ_EUlSP_E_NS1_11comp_targetILNS1_3genE9ELNS1_11target_archE1100ELNS1_3gpuE3ELNS1_3repE0EEENS1_30default_config_static_selectorELNS0_4arch9wavefront6targetE1EEEvT1_,comdat
.Lfunc_end703:
	.size	_ZN7rocprim17ROCPRIM_400000_NS6detail17trampoline_kernelINS0_14default_configENS1_20scan_config_selectorIiEEZZNS1_9scan_implILNS1_25lookback_scan_determinismE0ELb1ELb1ES3_N6thrust23THRUST_200600_302600_NS6detail15normal_iteratorINS9_10device_ptrIiEEEESE_iNS9_4plusIiEEiEEDaPvRmT3_T4_T5_mT6_P12ihipStream_tbENKUlT_T0_E_clISt17integral_constantIbLb1EEST_IbLb0EEEEDaSP_SQ_EUlSP_E_NS1_11comp_targetILNS1_3genE9ELNS1_11target_archE1100ELNS1_3gpuE3ELNS1_3repE0EEENS1_30default_config_static_selectorELNS0_4arch9wavefront6targetE1EEEvT1_, .Lfunc_end703-_ZN7rocprim17ROCPRIM_400000_NS6detail17trampoline_kernelINS0_14default_configENS1_20scan_config_selectorIiEEZZNS1_9scan_implILNS1_25lookback_scan_determinismE0ELb1ELb1ES3_N6thrust23THRUST_200600_302600_NS6detail15normal_iteratorINS9_10device_ptrIiEEEESE_iNS9_4plusIiEEiEEDaPvRmT3_T4_T5_mT6_P12ihipStream_tbENKUlT_T0_E_clISt17integral_constantIbLb1EEST_IbLb0EEEEDaSP_SQ_EUlSP_E_NS1_11comp_targetILNS1_3genE9ELNS1_11target_archE1100ELNS1_3gpuE3ELNS1_3repE0EEENS1_30default_config_static_selectorELNS0_4arch9wavefront6targetE1EEEvT1_
                                        ; -- End function
	.section	.AMDGPU.csdata,"",@progbits
; Kernel info:
; codeLenInByte = 0
; NumSgprs: 4
; NumVgprs: 0
; NumAgprs: 0
; TotalNumVgprs: 0
; ScratchSize: 0
; MemoryBound: 0
; FloatMode: 240
; IeeeMode: 1
; LDSByteSize: 0 bytes/workgroup (compile time only)
; SGPRBlocks: 0
; VGPRBlocks: 0
; NumSGPRsForWavesPerEU: 4
; NumVGPRsForWavesPerEU: 1
; AccumOffset: 4
; Occupancy: 8
; WaveLimiterHint : 0
; COMPUTE_PGM_RSRC2:SCRATCH_EN: 0
; COMPUTE_PGM_RSRC2:USER_SGPR: 6
; COMPUTE_PGM_RSRC2:TRAP_HANDLER: 0
; COMPUTE_PGM_RSRC2:TGID_X_EN: 1
; COMPUTE_PGM_RSRC2:TGID_Y_EN: 0
; COMPUTE_PGM_RSRC2:TGID_Z_EN: 0
; COMPUTE_PGM_RSRC2:TIDIG_COMP_CNT: 0
; COMPUTE_PGM_RSRC3_GFX90A:ACCUM_OFFSET: 0
; COMPUTE_PGM_RSRC3_GFX90A:TG_SPLIT: 0
	.section	.text._ZN7rocprim17ROCPRIM_400000_NS6detail17trampoline_kernelINS0_14default_configENS1_20scan_config_selectorIiEEZZNS1_9scan_implILNS1_25lookback_scan_determinismE0ELb1ELb1ES3_N6thrust23THRUST_200600_302600_NS6detail15normal_iteratorINS9_10device_ptrIiEEEESE_iNS9_4plusIiEEiEEDaPvRmT3_T4_T5_mT6_P12ihipStream_tbENKUlT_T0_E_clISt17integral_constantIbLb1EEST_IbLb0EEEEDaSP_SQ_EUlSP_E_NS1_11comp_targetILNS1_3genE8ELNS1_11target_archE1030ELNS1_3gpuE2ELNS1_3repE0EEENS1_30default_config_static_selectorELNS0_4arch9wavefront6targetE1EEEvT1_,"axG",@progbits,_ZN7rocprim17ROCPRIM_400000_NS6detail17trampoline_kernelINS0_14default_configENS1_20scan_config_selectorIiEEZZNS1_9scan_implILNS1_25lookback_scan_determinismE0ELb1ELb1ES3_N6thrust23THRUST_200600_302600_NS6detail15normal_iteratorINS9_10device_ptrIiEEEESE_iNS9_4plusIiEEiEEDaPvRmT3_T4_T5_mT6_P12ihipStream_tbENKUlT_T0_E_clISt17integral_constantIbLb1EEST_IbLb0EEEEDaSP_SQ_EUlSP_E_NS1_11comp_targetILNS1_3genE8ELNS1_11target_archE1030ELNS1_3gpuE2ELNS1_3repE0EEENS1_30default_config_static_selectorELNS0_4arch9wavefront6targetE1EEEvT1_,comdat
	.protected	_ZN7rocprim17ROCPRIM_400000_NS6detail17trampoline_kernelINS0_14default_configENS1_20scan_config_selectorIiEEZZNS1_9scan_implILNS1_25lookback_scan_determinismE0ELb1ELb1ES3_N6thrust23THRUST_200600_302600_NS6detail15normal_iteratorINS9_10device_ptrIiEEEESE_iNS9_4plusIiEEiEEDaPvRmT3_T4_T5_mT6_P12ihipStream_tbENKUlT_T0_E_clISt17integral_constantIbLb1EEST_IbLb0EEEEDaSP_SQ_EUlSP_E_NS1_11comp_targetILNS1_3genE8ELNS1_11target_archE1030ELNS1_3gpuE2ELNS1_3repE0EEENS1_30default_config_static_selectorELNS0_4arch9wavefront6targetE1EEEvT1_ ; -- Begin function _ZN7rocprim17ROCPRIM_400000_NS6detail17trampoline_kernelINS0_14default_configENS1_20scan_config_selectorIiEEZZNS1_9scan_implILNS1_25lookback_scan_determinismE0ELb1ELb1ES3_N6thrust23THRUST_200600_302600_NS6detail15normal_iteratorINS9_10device_ptrIiEEEESE_iNS9_4plusIiEEiEEDaPvRmT3_T4_T5_mT6_P12ihipStream_tbENKUlT_T0_E_clISt17integral_constantIbLb1EEST_IbLb0EEEEDaSP_SQ_EUlSP_E_NS1_11comp_targetILNS1_3genE8ELNS1_11target_archE1030ELNS1_3gpuE2ELNS1_3repE0EEENS1_30default_config_static_selectorELNS0_4arch9wavefront6targetE1EEEvT1_
	.globl	_ZN7rocprim17ROCPRIM_400000_NS6detail17trampoline_kernelINS0_14default_configENS1_20scan_config_selectorIiEEZZNS1_9scan_implILNS1_25lookback_scan_determinismE0ELb1ELb1ES3_N6thrust23THRUST_200600_302600_NS6detail15normal_iteratorINS9_10device_ptrIiEEEESE_iNS9_4plusIiEEiEEDaPvRmT3_T4_T5_mT6_P12ihipStream_tbENKUlT_T0_E_clISt17integral_constantIbLb1EEST_IbLb0EEEEDaSP_SQ_EUlSP_E_NS1_11comp_targetILNS1_3genE8ELNS1_11target_archE1030ELNS1_3gpuE2ELNS1_3repE0EEENS1_30default_config_static_selectorELNS0_4arch9wavefront6targetE1EEEvT1_
	.p2align	8
	.type	_ZN7rocprim17ROCPRIM_400000_NS6detail17trampoline_kernelINS0_14default_configENS1_20scan_config_selectorIiEEZZNS1_9scan_implILNS1_25lookback_scan_determinismE0ELb1ELb1ES3_N6thrust23THRUST_200600_302600_NS6detail15normal_iteratorINS9_10device_ptrIiEEEESE_iNS9_4plusIiEEiEEDaPvRmT3_T4_T5_mT6_P12ihipStream_tbENKUlT_T0_E_clISt17integral_constantIbLb1EEST_IbLb0EEEEDaSP_SQ_EUlSP_E_NS1_11comp_targetILNS1_3genE8ELNS1_11target_archE1030ELNS1_3gpuE2ELNS1_3repE0EEENS1_30default_config_static_selectorELNS0_4arch9wavefront6targetE1EEEvT1_,@function
_ZN7rocprim17ROCPRIM_400000_NS6detail17trampoline_kernelINS0_14default_configENS1_20scan_config_selectorIiEEZZNS1_9scan_implILNS1_25lookback_scan_determinismE0ELb1ELb1ES3_N6thrust23THRUST_200600_302600_NS6detail15normal_iteratorINS9_10device_ptrIiEEEESE_iNS9_4plusIiEEiEEDaPvRmT3_T4_T5_mT6_P12ihipStream_tbENKUlT_T0_E_clISt17integral_constantIbLb1EEST_IbLb0EEEEDaSP_SQ_EUlSP_E_NS1_11comp_targetILNS1_3genE8ELNS1_11target_archE1030ELNS1_3gpuE2ELNS1_3repE0EEENS1_30default_config_static_selectorELNS0_4arch9wavefront6targetE1EEEvT1_: ; @_ZN7rocprim17ROCPRIM_400000_NS6detail17trampoline_kernelINS0_14default_configENS1_20scan_config_selectorIiEEZZNS1_9scan_implILNS1_25lookback_scan_determinismE0ELb1ELb1ES3_N6thrust23THRUST_200600_302600_NS6detail15normal_iteratorINS9_10device_ptrIiEEEESE_iNS9_4plusIiEEiEEDaPvRmT3_T4_T5_mT6_P12ihipStream_tbENKUlT_T0_E_clISt17integral_constantIbLb1EEST_IbLb0EEEEDaSP_SQ_EUlSP_E_NS1_11comp_targetILNS1_3genE8ELNS1_11target_archE1030ELNS1_3gpuE2ELNS1_3repE0EEENS1_30default_config_static_selectorELNS0_4arch9wavefront6targetE1EEEvT1_
; %bb.0:
	.section	.rodata,"a",@progbits
	.p2align	6, 0x0
	.amdhsa_kernel _ZN7rocprim17ROCPRIM_400000_NS6detail17trampoline_kernelINS0_14default_configENS1_20scan_config_selectorIiEEZZNS1_9scan_implILNS1_25lookback_scan_determinismE0ELb1ELb1ES3_N6thrust23THRUST_200600_302600_NS6detail15normal_iteratorINS9_10device_ptrIiEEEESE_iNS9_4plusIiEEiEEDaPvRmT3_T4_T5_mT6_P12ihipStream_tbENKUlT_T0_E_clISt17integral_constantIbLb1EEST_IbLb0EEEEDaSP_SQ_EUlSP_E_NS1_11comp_targetILNS1_3genE8ELNS1_11target_archE1030ELNS1_3gpuE2ELNS1_3repE0EEENS1_30default_config_static_selectorELNS0_4arch9wavefront6targetE1EEEvT1_
		.amdhsa_group_segment_fixed_size 0
		.amdhsa_private_segment_fixed_size 0
		.amdhsa_kernarg_size 96
		.amdhsa_user_sgpr_count 6
		.amdhsa_user_sgpr_private_segment_buffer 1
		.amdhsa_user_sgpr_dispatch_ptr 0
		.amdhsa_user_sgpr_queue_ptr 0
		.amdhsa_user_sgpr_kernarg_segment_ptr 1
		.amdhsa_user_sgpr_dispatch_id 0
		.amdhsa_user_sgpr_flat_scratch_init 0
		.amdhsa_user_sgpr_kernarg_preload_length 0
		.amdhsa_user_sgpr_kernarg_preload_offset 0
		.amdhsa_user_sgpr_private_segment_size 0
		.amdhsa_uses_dynamic_stack 0
		.amdhsa_system_sgpr_private_segment_wavefront_offset 0
		.amdhsa_system_sgpr_workgroup_id_x 1
		.amdhsa_system_sgpr_workgroup_id_y 0
		.amdhsa_system_sgpr_workgroup_id_z 0
		.amdhsa_system_sgpr_workgroup_info 0
		.amdhsa_system_vgpr_workitem_id 0
		.amdhsa_next_free_vgpr 1
		.amdhsa_next_free_sgpr 0
		.amdhsa_accum_offset 4
		.amdhsa_reserve_vcc 0
		.amdhsa_reserve_flat_scratch 0
		.amdhsa_float_round_mode_32 0
		.amdhsa_float_round_mode_16_64 0
		.amdhsa_float_denorm_mode_32 3
		.amdhsa_float_denorm_mode_16_64 3
		.amdhsa_dx10_clamp 1
		.amdhsa_ieee_mode 1
		.amdhsa_fp16_overflow 0
		.amdhsa_tg_split 0
		.amdhsa_exception_fp_ieee_invalid_op 0
		.amdhsa_exception_fp_denorm_src 0
		.amdhsa_exception_fp_ieee_div_zero 0
		.amdhsa_exception_fp_ieee_overflow 0
		.amdhsa_exception_fp_ieee_underflow 0
		.amdhsa_exception_fp_ieee_inexact 0
		.amdhsa_exception_int_div_zero 0
	.end_amdhsa_kernel
	.section	.text._ZN7rocprim17ROCPRIM_400000_NS6detail17trampoline_kernelINS0_14default_configENS1_20scan_config_selectorIiEEZZNS1_9scan_implILNS1_25lookback_scan_determinismE0ELb1ELb1ES3_N6thrust23THRUST_200600_302600_NS6detail15normal_iteratorINS9_10device_ptrIiEEEESE_iNS9_4plusIiEEiEEDaPvRmT3_T4_T5_mT6_P12ihipStream_tbENKUlT_T0_E_clISt17integral_constantIbLb1EEST_IbLb0EEEEDaSP_SQ_EUlSP_E_NS1_11comp_targetILNS1_3genE8ELNS1_11target_archE1030ELNS1_3gpuE2ELNS1_3repE0EEENS1_30default_config_static_selectorELNS0_4arch9wavefront6targetE1EEEvT1_,"axG",@progbits,_ZN7rocprim17ROCPRIM_400000_NS6detail17trampoline_kernelINS0_14default_configENS1_20scan_config_selectorIiEEZZNS1_9scan_implILNS1_25lookback_scan_determinismE0ELb1ELb1ES3_N6thrust23THRUST_200600_302600_NS6detail15normal_iteratorINS9_10device_ptrIiEEEESE_iNS9_4plusIiEEiEEDaPvRmT3_T4_T5_mT6_P12ihipStream_tbENKUlT_T0_E_clISt17integral_constantIbLb1EEST_IbLb0EEEEDaSP_SQ_EUlSP_E_NS1_11comp_targetILNS1_3genE8ELNS1_11target_archE1030ELNS1_3gpuE2ELNS1_3repE0EEENS1_30default_config_static_selectorELNS0_4arch9wavefront6targetE1EEEvT1_,comdat
.Lfunc_end704:
	.size	_ZN7rocprim17ROCPRIM_400000_NS6detail17trampoline_kernelINS0_14default_configENS1_20scan_config_selectorIiEEZZNS1_9scan_implILNS1_25lookback_scan_determinismE0ELb1ELb1ES3_N6thrust23THRUST_200600_302600_NS6detail15normal_iteratorINS9_10device_ptrIiEEEESE_iNS9_4plusIiEEiEEDaPvRmT3_T4_T5_mT6_P12ihipStream_tbENKUlT_T0_E_clISt17integral_constantIbLb1EEST_IbLb0EEEEDaSP_SQ_EUlSP_E_NS1_11comp_targetILNS1_3genE8ELNS1_11target_archE1030ELNS1_3gpuE2ELNS1_3repE0EEENS1_30default_config_static_selectorELNS0_4arch9wavefront6targetE1EEEvT1_, .Lfunc_end704-_ZN7rocprim17ROCPRIM_400000_NS6detail17trampoline_kernelINS0_14default_configENS1_20scan_config_selectorIiEEZZNS1_9scan_implILNS1_25lookback_scan_determinismE0ELb1ELb1ES3_N6thrust23THRUST_200600_302600_NS6detail15normal_iteratorINS9_10device_ptrIiEEEESE_iNS9_4plusIiEEiEEDaPvRmT3_T4_T5_mT6_P12ihipStream_tbENKUlT_T0_E_clISt17integral_constantIbLb1EEST_IbLb0EEEEDaSP_SQ_EUlSP_E_NS1_11comp_targetILNS1_3genE8ELNS1_11target_archE1030ELNS1_3gpuE2ELNS1_3repE0EEENS1_30default_config_static_selectorELNS0_4arch9wavefront6targetE1EEEvT1_
                                        ; -- End function
	.section	.AMDGPU.csdata,"",@progbits
; Kernel info:
; codeLenInByte = 0
; NumSgprs: 4
; NumVgprs: 0
; NumAgprs: 0
; TotalNumVgprs: 0
; ScratchSize: 0
; MemoryBound: 0
; FloatMode: 240
; IeeeMode: 1
; LDSByteSize: 0 bytes/workgroup (compile time only)
; SGPRBlocks: 0
; VGPRBlocks: 0
; NumSGPRsForWavesPerEU: 4
; NumVGPRsForWavesPerEU: 1
; AccumOffset: 4
; Occupancy: 8
; WaveLimiterHint : 0
; COMPUTE_PGM_RSRC2:SCRATCH_EN: 0
; COMPUTE_PGM_RSRC2:USER_SGPR: 6
; COMPUTE_PGM_RSRC2:TRAP_HANDLER: 0
; COMPUTE_PGM_RSRC2:TGID_X_EN: 1
; COMPUTE_PGM_RSRC2:TGID_Y_EN: 0
; COMPUTE_PGM_RSRC2:TGID_Z_EN: 0
; COMPUTE_PGM_RSRC2:TIDIG_COMP_CNT: 0
; COMPUTE_PGM_RSRC3_GFX90A:ACCUM_OFFSET: 0
; COMPUTE_PGM_RSRC3_GFX90A:TG_SPLIT: 0
	.section	.text._ZN7rocprim17ROCPRIM_400000_NS6detail17trampoline_kernelINS0_14default_configENS1_20scan_config_selectorIiEEZZNS1_9scan_implILNS1_25lookback_scan_determinismE0ELb1ELb1ES3_N6thrust23THRUST_200600_302600_NS6detail15normal_iteratorINS9_10device_ptrIiEEEESE_iNS9_4plusIiEEiEEDaPvRmT3_T4_T5_mT6_P12ihipStream_tbENKUlT_T0_E_clISt17integral_constantIbLb1EEST_IbLb0EEEEDaSP_SQ_EUlSP_E0_NS1_11comp_targetILNS1_3genE0ELNS1_11target_archE4294967295ELNS1_3gpuE0ELNS1_3repE0EEENS1_30default_config_static_selectorELNS0_4arch9wavefront6targetE1EEEvT1_,"axG",@progbits,_ZN7rocprim17ROCPRIM_400000_NS6detail17trampoline_kernelINS0_14default_configENS1_20scan_config_selectorIiEEZZNS1_9scan_implILNS1_25lookback_scan_determinismE0ELb1ELb1ES3_N6thrust23THRUST_200600_302600_NS6detail15normal_iteratorINS9_10device_ptrIiEEEESE_iNS9_4plusIiEEiEEDaPvRmT3_T4_T5_mT6_P12ihipStream_tbENKUlT_T0_E_clISt17integral_constantIbLb1EEST_IbLb0EEEEDaSP_SQ_EUlSP_E0_NS1_11comp_targetILNS1_3genE0ELNS1_11target_archE4294967295ELNS1_3gpuE0ELNS1_3repE0EEENS1_30default_config_static_selectorELNS0_4arch9wavefront6targetE1EEEvT1_,comdat
	.protected	_ZN7rocprim17ROCPRIM_400000_NS6detail17trampoline_kernelINS0_14default_configENS1_20scan_config_selectorIiEEZZNS1_9scan_implILNS1_25lookback_scan_determinismE0ELb1ELb1ES3_N6thrust23THRUST_200600_302600_NS6detail15normal_iteratorINS9_10device_ptrIiEEEESE_iNS9_4plusIiEEiEEDaPvRmT3_T4_T5_mT6_P12ihipStream_tbENKUlT_T0_E_clISt17integral_constantIbLb1EEST_IbLb0EEEEDaSP_SQ_EUlSP_E0_NS1_11comp_targetILNS1_3genE0ELNS1_11target_archE4294967295ELNS1_3gpuE0ELNS1_3repE0EEENS1_30default_config_static_selectorELNS0_4arch9wavefront6targetE1EEEvT1_ ; -- Begin function _ZN7rocprim17ROCPRIM_400000_NS6detail17trampoline_kernelINS0_14default_configENS1_20scan_config_selectorIiEEZZNS1_9scan_implILNS1_25lookback_scan_determinismE0ELb1ELb1ES3_N6thrust23THRUST_200600_302600_NS6detail15normal_iteratorINS9_10device_ptrIiEEEESE_iNS9_4plusIiEEiEEDaPvRmT3_T4_T5_mT6_P12ihipStream_tbENKUlT_T0_E_clISt17integral_constantIbLb1EEST_IbLb0EEEEDaSP_SQ_EUlSP_E0_NS1_11comp_targetILNS1_3genE0ELNS1_11target_archE4294967295ELNS1_3gpuE0ELNS1_3repE0EEENS1_30default_config_static_selectorELNS0_4arch9wavefront6targetE1EEEvT1_
	.globl	_ZN7rocprim17ROCPRIM_400000_NS6detail17trampoline_kernelINS0_14default_configENS1_20scan_config_selectorIiEEZZNS1_9scan_implILNS1_25lookback_scan_determinismE0ELb1ELb1ES3_N6thrust23THRUST_200600_302600_NS6detail15normal_iteratorINS9_10device_ptrIiEEEESE_iNS9_4plusIiEEiEEDaPvRmT3_T4_T5_mT6_P12ihipStream_tbENKUlT_T0_E_clISt17integral_constantIbLb1EEST_IbLb0EEEEDaSP_SQ_EUlSP_E0_NS1_11comp_targetILNS1_3genE0ELNS1_11target_archE4294967295ELNS1_3gpuE0ELNS1_3repE0EEENS1_30default_config_static_selectorELNS0_4arch9wavefront6targetE1EEEvT1_
	.p2align	8
	.type	_ZN7rocprim17ROCPRIM_400000_NS6detail17trampoline_kernelINS0_14default_configENS1_20scan_config_selectorIiEEZZNS1_9scan_implILNS1_25lookback_scan_determinismE0ELb1ELb1ES3_N6thrust23THRUST_200600_302600_NS6detail15normal_iteratorINS9_10device_ptrIiEEEESE_iNS9_4plusIiEEiEEDaPvRmT3_T4_T5_mT6_P12ihipStream_tbENKUlT_T0_E_clISt17integral_constantIbLb1EEST_IbLb0EEEEDaSP_SQ_EUlSP_E0_NS1_11comp_targetILNS1_3genE0ELNS1_11target_archE4294967295ELNS1_3gpuE0ELNS1_3repE0EEENS1_30default_config_static_selectorELNS0_4arch9wavefront6targetE1EEEvT1_,@function
_ZN7rocprim17ROCPRIM_400000_NS6detail17trampoline_kernelINS0_14default_configENS1_20scan_config_selectorIiEEZZNS1_9scan_implILNS1_25lookback_scan_determinismE0ELb1ELb1ES3_N6thrust23THRUST_200600_302600_NS6detail15normal_iteratorINS9_10device_ptrIiEEEESE_iNS9_4plusIiEEiEEDaPvRmT3_T4_T5_mT6_P12ihipStream_tbENKUlT_T0_E_clISt17integral_constantIbLb1EEST_IbLb0EEEEDaSP_SQ_EUlSP_E0_NS1_11comp_targetILNS1_3genE0ELNS1_11target_archE4294967295ELNS1_3gpuE0ELNS1_3repE0EEENS1_30default_config_static_selectorELNS0_4arch9wavefront6targetE1EEEvT1_: ; @_ZN7rocprim17ROCPRIM_400000_NS6detail17trampoline_kernelINS0_14default_configENS1_20scan_config_selectorIiEEZZNS1_9scan_implILNS1_25lookback_scan_determinismE0ELb1ELb1ES3_N6thrust23THRUST_200600_302600_NS6detail15normal_iteratorINS9_10device_ptrIiEEEESE_iNS9_4plusIiEEiEEDaPvRmT3_T4_T5_mT6_P12ihipStream_tbENKUlT_T0_E_clISt17integral_constantIbLb1EEST_IbLb0EEEEDaSP_SQ_EUlSP_E0_NS1_11comp_targetILNS1_3genE0ELNS1_11target_archE4294967295ELNS1_3gpuE0ELNS1_3repE0EEENS1_30default_config_static_selectorELNS0_4arch9wavefront6targetE1EEEvT1_
; %bb.0:
	.section	.rodata,"a",@progbits
	.p2align	6, 0x0
	.amdhsa_kernel _ZN7rocprim17ROCPRIM_400000_NS6detail17trampoline_kernelINS0_14default_configENS1_20scan_config_selectorIiEEZZNS1_9scan_implILNS1_25lookback_scan_determinismE0ELb1ELb1ES3_N6thrust23THRUST_200600_302600_NS6detail15normal_iteratorINS9_10device_ptrIiEEEESE_iNS9_4plusIiEEiEEDaPvRmT3_T4_T5_mT6_P12ihipStream_tbENKUlT_T0_E_clISt17integral_constantIbLb1EEST_IbLb0EEEEDaSP_SQ_EUlSP_E0_NS1_11comp_targetILNS1_3genE0ELNS1_11target_archE4294967295ELNS1_3gpuE0ELNS1_3repE0EEENS1_30default_config_static_selectorELNS0_4arch9wavefront6targetE1EEEvT1_
		.amdhsa_group_segment_fixed_size 0
		.amdhsa_private_segment_fixed_size 0
		.amdhsa_kernarg_size 32
		.amdhsa_user_sgpr_count 6
		.amdhsa_user_sgpr_private_segment_buffer 1
		.amdhsa_user_sgpr_dispatch_ptr 0
		.amdhsa_user_sgpr_queue_ptr 0
		.amdhsa_user_sgpr_kernarg_segment_ptr 1
		.amdhsa_user_sgpr_dispatch_id 0
		.amdhsa_user_sgpr_flat_scratch_init 0
		.amdhsa_user_sgpr_kernarg_preload_length 0
		.amdhsa_user_sgpr_kernarg_preload_offset 0
		.amdhsa_user_sgpr_private_segment_size 0
		.amdhsa_uses_dynamic_stack 0
		.amdhsa_system_sgpr_private_segment_wavefront_offset 0
		.amdhsa_system_sgpr_workgroup_id_x 1
		.amdhsa_system_sgpr_workgroup_id_y 0
		.amdhsa_system_sgpr_workgroup_id_z 0
		.amdhsa_system_sgpr_workgroup_info 0
		.amdhsa_system_vgpr_workitem_id 0
		.amdhsa_next_free_vgpr 1
		.amdhsa_next_free_sgpr 0
		.amdhsa_accum_offset 4
		.amdhsa_reserve_vcc 0
		.amdhsa_reserve_flat_scratch 0
		.amdhsa_float_round_mode_32 0
		.amdhsa_float_round_mode_16_64 0
		.amdhsa_float_denorm_mode_32 3
		.amdhsa_float_denorm_mode_16_64 3
		.amdhsa_dx10_clamp 1
		.amdhsa_ieee_mode 1
		.amdhsa_fp16_overflow 0
		.amdhsa_tg_split 0
		.amdhsa_exception_fp_ieee_invalid_op 0
		.amdhsa_exception_fp_denorm_src 0
		.amdhsa_exception_fp_ieee_div_zero 0
		.amdhsa_exception_fp_ieee_overflow 0
		.amdhsa_exception_fp_ieee_underflow 0
		.amdhsa_exception_fp_ieee_inexact 0
		.amdhsa_exception_int_div_zero 0
	.end_amdhsa_kernel
	.section	.text._ZN7rocprim17ROCPRIM_400000_NS6detail17trampoline_kernelINS0_14default_configENS1_20scan_config_selectorIiEEZZNS1_9scan_implILNS1_25lookback_scan_determinismE0ELb1ELb1ES3_N6thrust23THRUST_200600_302600_NS6detail15normal_iteratorINS9_10device_ptrIiEEEESE_iNS9_4plusIiEEiEEDaPvRmT3_T4_T5_mT6_P12ihipStream_tbENKUlT_T0_E_clISt17integral_constantIbLb1EEST_IbLb0EEEEDaSP_SQ_EUlSP_E0_NS1_11comp_targetILNS1_3genE0ELNS1_11target_archE4294967295ELNS1_3gpuE0ELNS1_3repE0EEENS1_30default_config_static_selectorELNS0_4arch9wavefront6targetE1EEEvT1_,"axG",@progbits,_ZN7rocprim17ROCPRIM_400000_NS6detail17trampoline_kernelINS0_14default_configENS1_20scan_config_selectorIiEEZZNS1_9scan_implILNS1_25lookback_scan_determinismE0ELb1ELb1ES3_N6thrust23THRUST_200600_302600_NS6detail15normal_iteratorINS9_10device_ptrIiEEEESE_iNS9_4plusIiEEiEEDaPvRmT3_T4_T5_mT6_P12ihipStream_tbENKUlT_T0_E_clISt17integral_constantIbLb1EEST_IbLb0EEEEDaSP_SQ_EUlSP_E0_NS1_11comp_targetILNS1_3genE0ELNS1_11target_archE4294967295ELNS1_3gpuE0ELNS1_3repE0EEENS1_30default_config_static_selectorELNS0_4arch9wavefront6targetE1EEEvT1_,comdat
.Lfunc_end705:
	.size	_ZN7rocprim17ROCPRIM_400000_NS6detail17trampoline_kernelINS0_14default_configENS1_20scan_config_selectorIiEEZZNS1_9scan_implILNS1_25lookback_scan_determinismE0ELb1ELb1ES3_N6thrust23THRUST_200600_302600_NS6detail15normal_iteratorINS9_10device_ptrIiEEEESE_iNS9_4plusIiEEiEEDaPvRmT3_T4_T5_mT6_P12ihipStream_tbENKUlT_T0_E_clISt17integral_constantIbLb1EEST_IbLb0EEEEDaSP_SQ_EUlSP_E0_NS1_11comp_targetILNS1_3genE0ELNS1_11target_archE4294967295ELNS1_3gpuE0ELNS1_3repE0EEENS1_30default_config_static_selectorELNS0_4arch9wavefront6targetE1EEEvT1_, .Lfunc_end705-_ZN7rocprim17ROCPRIM_400000_NS6detail17trampoline_kernelINS0_14default_configENS1_20scan_config_selectorIiEEZZNS1_9scan_implILNS1_25lookback_scan_determinismE0ELb1ELb1ES3_N6thrust23THRUST_200600_302600_NS6detail15normal_iteratorINS9_10device_ptrIiEEEESE_iNS9_4plusIiEEiEEDaPvRmT3_T4_T5_mT6_P12ihipStream_tbENKUlT_T0_E_clISt17integral_constantIbLb1EEST_IbLb0EEEEDaSP_SQ_EUlSP_E0_NS1_11comp_targetILNS1_3genE0ELNS1_11target_archE4294967295ELNS1_3gpuE0ELNS1_3repE0EEENS1_30default_config_static_selectorELNS0_4arch9wavefront6targetE1EEEvT1_
                                        ; -- End function
	.section	.AMDGPU.csdata,"",@progbits
; Kernel info:
; codeLenInByte = 0
; NumSgprs: 4
; NumVgprs: 0
; NumAgprs: 0
; TotalNumVgprs: 0
; ScratchSize: 0
; MemoryBound: 0
; FloatMode: 240
; IeeeMode: 1
; LDSByteSize: 0 bytes/workgroup (compile time only)
; SGPRBlocks: 0
; VGPRBlocks: 0
; NumSGPRsForWavesPerEU: 4
; NumVGPRsForWavesPerEU: 1
; AccumOffset: 4
; Occupancy: 8
; WaveLimiterHint : 0
; COMPUTE_PGM_RSRC2:SCRATCH_EN: 0
; COMPUTE_PGM_RSRC2:USER_SGPR: 6
; COMPUTE_PGM_RSRC2:TRAP_HANDLER: 0
; COMPUTE_PGM_RSRC2:TGID_X_EN: 1
; COMPUTE_PGM_RSRC2:TGID_Y_EN: 0
; COMPUTE_PGM_RSRC2:TGID_Z_EN: 0
; COMPUTE_PGM_RSRC2:TIDIG_COMP_CNT: 0
; COMPUTE_PGM_RSRC3_GFX90A:ACCUM_OFFSET: 0
; COMPUTE_PGM_RSRC3_GFX90A:TG_SPLIT: 0
	.section	.text._ZN7rocprim17ROCPRIM_400000_NS6detail17trampoline_kernelINS0_14default_configENS1_20scan_config_selectorIiEEZZNS1_9scan_implILNS1_25lookback_scan_determinismE0ELb1ELb1ES3_N6thrust23THRUST_200600_302600_NS6detail15normal_iteratorINS9_10device_ptrIiEEEESE_iNS9_4plusIiEEiEEDaPvRmT3_T4_T5_mT6_P12ihipStream_tbENKUlT_T0_E_clISt17integral_constantIbLb1EEST_IbLb0EEEEDaSP_SQ_EUlSP_E0_NS1_11comp_targetILNS1_3genE5ELNS1_11target_archE942ELNS1_3gpuE9ELNS1_3repE0EEENS1_30default_config_static_selectorELNS0_4arch9wavefront6targetE1EEEvT1_,"axG",@progbits,_ZN7rocprim17ROCPRIM_400000_NS6detail17trampoline_kernelINS0_14default_configENS1_20scan_config_selectorIiEEZZNS1_9scan_implILNS1_25lookback_scan_determinismE0ELb1ELb1ES3_N6thrust23THRUST_200600_302600_NS6detail15normal_iteratorINS9_10device_ptrIiEEEESE_iNS9_4plusIiEEiEEDaPvRmT3_T4_T5_mT6_P12ihipStream_tbENKUlT_T0_E_clISt17integral_constantIbLb1EEST_IbLb0EEEEDaSP_SQ_EUlSP_E0_NS1_11comp_targetILNS1_3genE5ELNS1_11target_archE942ELNS1_3gpuE9ELNS1_3repE0EEENS1_30default_config_static_selectorELNS0_4arch9wavefront6targetE1EEEvT1_,comdat
	.protected	_ZN7rocprim17ROCPRIM_400000_NS6detail17trampoline_kernelINS0_14default_configENS1_20scan_config_selectorIiEEZZNS1_9scan_implILNS1_25lookback_scan_determinismE0ELb1ELb1ES3_N6thrust23THRUST_200600_302600_NS6detail15normal_iteratorINS9_10device_ptrIiEEEESE_iNS9_4plusIiEEiEEDaPvRmT3_T4_T5_mT6_P12ihipStream_tbENKUlT_T0_E_clISt17integral_constantIbLb1EEST_IbLb0EEEEDaSP_SQ_EUlSP_E0_NS1_11comp_targetILNS1_3genE5ELNS1_11target_archE942ELNS1_3gpuE9ELNS1_3repE0EEENS1_30default_config_static_selectorELNS0_4arch9wavefront6targetE1EEEvT1_ ; -- Begin function _ZN7rocprim17ROCPRIM_400000_NS6detail17trampoline_kernelINS0_14default_configENS1_20scan_config_selectorIiEEZZNS1_9scan_implILNS1_25lookback_scan_determinismE0ELb1ELb1ES3_N6thrust23THRUST_200600_302600_NS6detail15normal_iteratorINS9_10device_ptrIiEEEESE_iNS9_4plusIiEEiEEDaPvRmT3_T4_T5_mT6_P12ihipStream_tbENKUlT_T0_E_clISt17integral_constantIbLb1EEST_IbLb0EEEEDaSP_SQ_EUlSP_E0_NS1_11comp_targetILNS1_3genE5ELNS1_11target_archE942ELNS1_3gpuE9ELNS1_3repE0EEENS1_30default_config_static_selectorELNS0_4arch9wavefront6targetE1EEEvT1_
	.globl	_ZN7rocprim17ROCPRIM_400000_NS6detail17trampoline_kernelINS0_14default_configENS1_20scan_config_selectorIiEEZZNS1_9scan_implILNS1_25lookback_scan_determinismE0ELb1ELb1ES3_N6thrust23THRUST_200600_302600_NS6detail15normal_iteratorINS9_10device_ptrIiEEEESE_iNS9_4plusIiEEiEEDaPvRmT3_T4_T5_mT6_P12ihipStream_tbENKUlT_T0_E_clISt17integral_constantIbLb1EEST_IbLb0EEEEDaSP_SQ_EUlSP_E0_NS1_11comp_targetILNS1_3genE5ELNS1_11target_archE942ELNS1_3gpuE9ELNS1_3repE0EEENS1_30default_config_static_selectorELNS0_4arch9wavefront6targetE1EEEvT1_
	.p2align	8
	.type	_ZN7rocprim17ROCPRIM_400000_NS6detail17trampoline_kernelINS0_14default_configENS1_20scan_config_selectorIiEEZZNS1_9scan_implILNS1_25lookback_scan_determinismE0ELb1ELb1ES3_N6thrust23THRUST_200600_302600_NS6detail15normal_iteratorINS9_10device_ptrIiEEEESE_iNS9_4plusIiEEiEEDaPvRmT3_T4_T5_mT6_P12ihipStream_tbENKUlT_T0_E_clISt17integral_constantIbLb1EEST_IbLb0EEEEDaSP_SQ_EUlSP_E0_NS1_11comp_targetILNS1_3genE5ELNS1_11target_archE942ELNS1_3gpuE9ELNS1_3repE0EEENS1_30default_config_static_selectorELNS0_4arch9wavefront6targetE1EEEvT1_,@function
_ZN7rocprim17ROCPRIM_400000_NS6detail17trampoline_kernelINS0_14default_configENS1_20scan_config_selectorIiEEZZNS1_9scan_implILNS1_25lookback_scan_determinismE0ELb1ELb1ES3_N6thrust23THRUST_200600_302600_NS6detail15normal_iteratorINS9_10device_ptrIiEEEESE_iNS9_4plusIiEEiEEDaPvRmT3_T4_T5_mT6_P12ihipStream_tbENKUlT_T0_E_clISt17integral_constantIbLb1EEST_IbLb0EEEEDaSP_SQ_EUlSP_E0_NS1_11comp_targetILNS1_3genE5ELNS1_11target_archE942ELNS1_3gpuE9ELNS1_3repE0EEENS1_30default_config_static_selectorELNS0_4arch9wavefront6targetE1EEEvT1_: ; @_ZN7rocprim17ROCPRIM_400000_NS6detail17trampoline_kernelINS0_14default_configENS1_20scan_config_selectorIiEEZZNS1_9scan_implILNS1_25lookback_scan_determinismE0ELb1ELb1ES3_N6thrust23THRUST_200600_302600_NS6detail15normal_iteratorINS9_10device_ptrIiEEEESE_iNS9_4plusIiEEiEEDaPvRmT3_T4_T5_mT6_P12ihipStream_tbENKUlT_T0_E_clISt17integral_constantIbLb1EEST_IbLb0EEEEDaSP_SQ_EUlSP_E0_NS1_11comp_targetILNS1_3genE5ELNS1_11target_archE942ELNS1_3gpuE9ELNS1_3repE0EEENS1_30default_config_static_selectorELNS0_4arch9wavefront6targetE1EEEvT1_
; %bb.0:
	.section	.rodata,"a",@progbits
	.p2align	6, 0x0
	.amdhsa_kernel _ZN7rocprim17ROCPRIM_400000_NS6detail17trampoline_kernelINS0_14default_configENS1_20scan_config_selectorIiEEZZNS1_9scan_implILNS1_25lookback_scan_determinismE0ELb1ELb1ES3_N6thrust23THRUST_200600_302600_NS6detail15normal_iteratorINS9_10device_ptrIiEEEESE_iNS9_4plusIiEEiEEDaPvRmT3_T4_T5_mT6_P12ihipStream_tbENKUlT_T0_E_clISt17integral_constantIbLb1EEST_IbLb0EEEEDaSP_SQ_EUlSP_E0_NS1_11comp_targetILNS1_3genE5ELNS1_11target_archE942ELNS1_3gpuE9ELNS1_3repE0EEENS1_30default_config_static_selectorELNS0_4arch9wavefront6targetE1EEEvT1_
		.amdhsa_group_segment_fixed_size 0
		.amdhsa_private_segment_fixed_size 0
		.amdhsa_kernarg_size 32
		.amdhsa_user_sgpr_count 6
		.amdhsa_user_sgpr_private_segment_buffer 1
		.amdhsa_user_sgpr_dispatch_ptr 0
		.amdhsa_user_sgpr_queue_ptr 0
		.amdhsa_user_sgpr_kernarg_segment_ptr 1
		.amdhsa_user_sgpr_dispatch_id 0
		.amdhsa_user_sgpr_flat_scratch_init 0
		.amdhsa_user_sgpr_kernarg_preload_length 0
		.amdhsa_user_sgpr_kernarg_preload_offset 0
		.amdhsa_user_sgpr_private_segment_size 0
		.amdhsa_uses_dynamic_stack 0
		.amdhsa_system_sgpr_private_segment_wavefront_offset 0
		.amdhsa_system_sgpr_workgroup_id_x 1
		.amdhsa_system_sgpr_workgroup_id_y 0
		.amdhsa_system_sgpr_workgroup_id_z 0
		.amdhsa_system_sgpr_workgroup_info 0
		.amdhsa_system_vgpr_workitem_id 0
		.amdhsa_next_free_vgpr 1
		.amdhsa_next_free_sgpr 0
		.amdhsa_accum_offset 4
		.amdhsa_reserve_vcc 0
		.amdhsa_reserve_flat_scratch 0
		.amdhsa_float_round_mode_32 0
		.amdhsa_float_round_mode_16_64 0
		.amdhsa_float_denorm_mode_32 3
		.amdhsa_float_denorm_mode_16_64 3
		.amdhsa_dx10_clamp 1
		.amdhsa_ieee_mode 1
		.amdhsa_fp16_overflow 0
		.amdhsa_tg_split 0
		.amdhsa_exception_fp_ieee_invalid_op 0
		.amdhsa_exception_fp_denorm_src 0
		.amdhsa_exception_fp_ieee_div_zero 0
		.amdhsa_exception_fp_ieee_overflow 0
		.amdhsa_exception_fp_ieee_underflow 0
		.amdhsa_exception_fp_ieee_inexact 0
		.amdhsa_exception_int_div_zero 0
	.end_amdhsa_kernel
	.section	.text._ZN7rocprim17ROCPRIM_400000_NS6detail17trampoline_kernelINS0_14default_configENS1_20scan_config_selectorIiEEZZNS1_9scan_implILNS1_25lookback_scan_determinismE0ELb1ELb1ES3_N6thrust23THRUST_200600_302600_NS6detail15normal_iteratorINS9_10device_ptrIiEEEESE_iNS9_4plusIiEEiEEDaPvRmT3_T4_T5_mT6_P12ihipStream_tbENKUlT_T0_E_clISt17integral_constantIbLb1EEST_IbLb0EEEEDaSP_SQ_EUlSP_E0_NS1_11comp_targetILNS1_3genE5ELNS1_11target_archE942ELNS1_3gpuE9ELNS1_3repE0EEENS1_30default_config_static_selectorELNS0_4arch9wavefront6targetE1EEEvT1_,"axG",@progbits,_ZN7rocprim17ROCPRIM_400000_NS6detail17trampoline_kernelINS0_14default_configENS1_20scan_config_selectorIiEEZZNS1_9scan_implILNS1_25lookback_scan_determinismE0ELb1ELb1ES3_N6thrust23THRUST_200600_302600_NS6detail15normal_iteratorINS9_10device_ptrIiEEEESE_iNS9_4plusIiEEiEEDaPvRmT3_T4_T5_mT6_P12ihipStream_tbENKUlT_T0_E_clISt17integral_constantIbLb1EEST_IbLb0EEEEDaSP_SQ_EUlSP_E0_NS1_11comp_targetILNS1_3genE5ELNS1_11target_archE942ELNS1_3gpuE9ELNS1_3repE0EEENS1_30default_config_static_selectorELNS0_4arch9wavefront6targetE1EEEvT1_,comdat
.Lfunc_end706:
	.size	_ZN7rocprim17ROCPRIM_400000_NS6detail17trampoline_kernelINS0_14default_configENS1_20scan_config_selectorIiEEZZNS1_9scan_implILNS1_25lookback_scan_determinismE0ELb1ELb1ES3_N6thrust23THRUST_200600_302600_NS6detail15normal_iteratorINS9_10device_ptrIiEEEESE_iNS9_4plusIiEEiEEDaPvRmT3_T4_T5_mT6_P12ihipStream_tbENKUlT_T0_E_clISt17integral_constantIbLb1EEST_IbLb0EEEEDaSP_SQ_EUlSP_E0_NS1_11comp_targetILNS1_3genE5ELNS1_11target_archE942ELNS1_3gpuE9ELNS1_3repE0EEENS1_30default_config_static_selectorELNS0_4arch9wavefront6targetE1EEEvT1_, .Lfunc_end706-_ZN7rocprim17ROCPRIM_400000_NS6detail17trampoline_kernelINS0_14default_configENS1_20scan_config_selectorIiEEZZNS1_9scan_implILNS1_25lookback_scan_determinismE0ELb1ELb1ES3_N6thrust23THRUST_200600_302600_NS6detail15normal_iteratorINS9_10device_ptrIiEEEESE_iNS9_4plusIiEEiEEDaPvRmT3_T4_T5_mT6_P12ihipStream_tbENKUlT_T0_E_clISt17integral_constantIbLb1EEST_IbLb0EEEEDaSP_SQ_EUlSP_E0_NS1_11comp_targetILNS1_3genE5ELNS1_11target_archE942ELNS1_3gpuE9ELNS1_3repE0EEENS1_30default_config_static_selectorELNS0_4arch9wavefront6targetE1EEEvT1_
                                        ; -- End function
	.section	.AMDGPU.csdata,"",@progbits
; Kernel info:
; codeLenInByte = 0
; NumSgprs: 4
; NumVgprs: 0
; NumAgprs: 0
; TotalNumVgprs: 0
; ScratchSize: 0
; MemoryBound: 0
; FloatMode: 240
; IeeeMode: 1
; LDSByteSize: 0 bytes/workgroup (compile time only)
; SGPRBlocks: 0
; VGPRBlocks: 0
; NumSGPRsForWavesPerEU: 4
; NumVGPRsForWavesPerEU: 1
; AccumOffset: 4
; Occupancy: 8
; WaveLimiterHint : 0
; COMPUTE_PGM_RSRC2:SCRATCH_EN: 0
; COMPUTE_PGM_RSRC2:USER_SGPR: 6
; COMPUTE_PGM_RSRC2:TRAP_HANDLER: 0
; COMPUTE_PGM_RSRC2:TGID_X_EN: 1
; COMPUTE_PGM_RSRC2:TGID_Y_EN: 0
; COMPUTE_PGM_RSRC2:TGID_Z_EN: 0
; COMPUTE_PGM_RSRC2:TIDIG_COMP_CNT: 0
; COMPUTE_PGM_RSRC3_GFX90A:ACCUM_OFFSET: 0
; COMPUTE_PGM_RSRC3_GFX90A:TG_SPLIT: 0
	.section	.text._ZN7rocprim17ROCPRIM_400000_NS6detail17trampoline_kernelINS0_14default_configENS1_20scan_config_selectorIiEEZZNS1_9scan_implILNS1_25lookback_scan_determinismE0ELb1ELb1ES3_N6thrust23THRUST_200600_302600_NS6detail15normal_iteratorINS9_10device_ptrIiEEEESE_iNS9_4plusIiEEiEEDaPvRmT3_T4_T5_mT6_P12ihipStream_tbENKUlT_T0_E_clISt17integral_constantIbLb1EEST_IbLb0EEEEDaSP_SQ_EUlSP_E0_NS1_11comp_targetILNS1_3genE4ELNS1_11target_archE910ELNS1_3gpuE8ELNS1_3repE0EEENS1_30default_config_static_selectorELNS0_4arch9wavefront6targetE1EEEvT1_,"axG",@progbits,_ZN7rocprim17ROCPRIM_400000_NS6detail17trampoline_kernelINS0_14default_configENS1_20scan_config_selectorIiEEZZNS1_9scan_implILNS1_25lookback_scan_determinismE0ELb1ELb1ES3_N6thrust23THRUST_200600_302600_NS6detail15normal_iteratorINS9_10device_ptrIiEEEESE_iNS9_4plusIiEEiEEDaPvRmT3_T4_T5_mT6_P12ihipStream_tbENKUlT_T0_E_clISt17integral_constantIbLb1EEST_IbLb0EEEEDaSP_SQ_EUlSP_E0_NS1_11comp_targetILNS1_3genE4ELNS1_11target_archE910ELNS1_3gpuE8ELNS1_3repE0EEENS1_30default_config_static_selectorELNS0_4arch9wavefront6targetE1EEEvT1_,comdat
	.protected	_ZN7rocprim17ROCPRIM_400000_NS6detail17trampoline_kernelINS0_14default_configENS1_20scan_config_selectorIiEEZZNS1_9scan_implILNS1_25lookback_scan_determinismE0ELb1ELb1ES3_N6thrust23THRUST_200600_302600_NS6detail15normal_iteratorINS9_10device_ptrIiEEEESE_iNS9_4plusIiEEiEEDaPvRmT3_T4_T5_mT6_P12ihipStream_tbENKUlT_T0_E_clISt17integral_constantIbLb1EEST_IbLb0EEEEDaSP_SQ_EUlSP_E0_NS1_11comp_targetILNS1_3genE4ELNS1_11target_archE910ELNS1_3gpuE8ELNS1_3repE0EEENS1_30default_config_static_selectorELNS0_4arch9wavefront6targetE1EEEvT1_ ; -- Begin function _ZN7rocprim17ROCPRIM_400000_NS6detail17trampoline_kernelINS0_14default_configENS1_20scan_config_selectorIiEEZZNS1_9scan_implILNS1_25lookback_scan_determinismE0ELb1ELb1ES3_N6thrust23THRUST_200600_302600_NS6detail15normal_iteratorINS9_10device_ptrIiEEEESE_iNS9_4plusIiEEiEEDaPvRmT3_T4_T5_mT6_P12ihipStream_tbENKUlT_T0_E_clISt17integral_constantIbLb1EEST_IbLb0EEEEDaSP_SQ_EUlSP_E0_NS1_11comp_targetILNS1_3genE4ELNS1_11target_archE910ELNS1_3gpuE8ELNS1_3repE0EEENS1_30default_config_static_selectorELNS0_4arch9wavefront6targetE1EEEvT1_
	.globl	_ZN7rocprim17ROCPRIM_400000_NS6detail17trampoline_kernelINS0_14default_configENS1_20scan_config_selectorIiEEZZNS1_9scan_implILNS1_25lookback_scan_determinismE0ELb1ELb1ES3_N6thrust23THRUST_200600_302600_NS6detail15normal_iteratorINS9_10device_ptrIiEEEESE_iNS9_4plusIiEEiEEDaPvRmT3_T4_T5_mT6_P12ihipStream_tbENKUlT_T0_E_clISt17integral_constantIbLb1EEST_IbLb0EEEEDaSP_SQ_EUlSP_E0_NS1_11comp_targetILNS1_3genE4ELNS1_11target_archE910ELNS1_3gpuE8ELNS1_3repE0EEENS1_30default_config_static_selectorELNS0_4arch9wavefront6targetE1EEEvT1_
	.p2align	8
	.type	_ZN7rocprim17ROCPRIM_400000_NS6detail17trampoline_kernelINS0_14default_configENS1_20scan_config_selectorIiEEZZNS1_9scan_implILNS1_25lookback_scan_determinismE0ELb1ELb1ES3_N6thrust23THRUST_200600_302600_NS6detail15normal_iteratorINS9_10device_ptrIiEEEESE_iNS9_4plusIiEEiEEDaPvRmT3_T4_T5_mT6_P12ihipStream_tbENKUlT_T0_E_clISt17integral_constantIbLb1EEST_IbLb0EEEEDaSP_SQ_EUlSP_E0_NS1_11comp_targetILNS1_3genE4ELNS1_11target_archE910ELNS1_3gpuE8ELNS1_3repE0EEENS1_30default_config_static_selectorELNS0_4arch9wavefront6targetE1EEEvT1_,@function
_ZN7rocprim17ROCPRIM_400000_NS6detail17trampoline_kernelINS0_14default_configENS1_20scan_config_selectorIiEEZZNS1_9scan_implILNS1_25lookback_scan_determinismE0ELb1ELb1ES3_N6thrust23THRUST_200600_302600_NS6detail15normal_iteratorINS9_10device_ptrIiEEEESE_iNS9_4plusIiEEiEEDaPvRmT3_T4_T5_mT6_P12ihipStream_tbENKUlT_T0_E_clISt17integral_constantIbLb1EEST_IbLb0EEEEDaSP_SQ_EUlSP_E0_NS1_11comp_targetILNS1_3genE4ELNS1_11target_archE910ELNS1_3gpuE8ELNS1_3repE0EEENS1_30default_config_static_selectorELNS0_4arch9wavefront6targetE1EEEvT1_: ; @_ZN7rocprim17ROCPRIM_400000_NS6detail17trampoline_kernelINS0_14default_configENS1_20scan_config_selectorIiEEZZNS1_9scan_implILNS1_25lookback_scan_determinismE0ELb1ELb1ES3_N6thrust23THRUST_200600_302600_NS6detail15normal_iteratorINS9_10device_ptrIiEEEESE_iNS9_4plusIiEEiEEDaPvRmT3_T4_T5_mT6_P12ihipStream_tbENKUlT_T0_E_clISt17integral_constantIbLb1EEST_IbLb0EEEEDaSP_SQ_EUlSP_E0_NS1_11comp_targetILNS1_3genE4ELNS1_11target_archE910ELNS1_3gpuE8ELNS1_3repE0EEENS1_30default_config_static_selectorELNS0_4arch9wavefront6targetE1EEEvT1_
; %bb.0:
	s_load_dwordx4 s[20:23], s[4:5], 0x0
	v_lshlrev_b32_e32 v14, 2, v0
	s_waitcnt lgkmcnt(0)
	s_load_dword s23, s[20:21], 0x0
	v_cmp_gt_u32_e32 vcc, s22, v0
	s_waitcnt lgkmcnt(0)
	v_mov_b32_e32 v1, s23
	s_and_saveexec_b64 s[0:1], vcc
	s_cbranch_execz .LBB707_2
; %bb.1:
	global_load_dword v1, v14, s[20:21]
.LBB707_2:
	s_or_b64 exec, exec, s[0:1]
	v_or_b32_e32 v2, 0x80, v0
	v_cmp_gt_u32_e64 s[0:1], s22, v2
	v_mov_b32_e32 v2, s23
	s_and_saveexec_b64 s[2:3], s[0:1]
	s_cbranch_execz .LBB707_4
; %bb.3:
	global_load_dword v2, v14, s[20:21] offset:512
.LBB707_4:
	s_or_b64 exec, exec, s[2:3]
	v_or_b32_e32 v3, 0x100, v0
	v_cmp_gt_u32_e64 s[2:3], s22, v3
	v_mov_b32_e32 v3, s23
	s_and_saveexec_b64 s[6:7], s[2:3]
	s_cbranch_execz .LBB707_6
; %bb.5:
	global_load_dword v3, v14, s[20:21] offset:1024
.LBB707_6:
	;; [unrolled: 9-line block ×7, first 2 shown]
	s_or_b64 exec, exec, s[14:15]
	v_or_b32_e32 v10, 0x400, v0
	v_cmp_gt_u32_e64 s[14:15], s22, v10
	v_mov_b32_e32 v9, s23
	s_and_saveexec_b64 s[16:17], s[14:15]
	s_cbranch_execz .LBB707_18
; %bb.17:
	v_lshlrev_b32_e32 v9, 2, v10
	global_load_dword v9, v9, s[20:21]
.LBB707_18:
	s_or_b64 exec, exec, s[16:17]
	s_load_dword s24, s[4:5], 0x10
	v_or_b32_e32 v11, 0x480, v0
	v_cmp_gt_u32_e64 s[16:17], s22, v11
	v_mov_b32_e32 v10, s23
	s_and_saveexec_b64 s[22:23], s[16:17]
	s_cbranch_execz .LBB707_20
; %bb.19:
	v_lshlrev_b32_e32 v10, 2, v11
	global_load_dword v10, v10, s[20:21]
.LBB707_20:
	s_or_b64 exec, exec, s[22:23]
	s_waitcnt vmcnt(0)
	ds_write2st64_b32 v14, v1, v2 offset1:2
	ds_write2st64_b32 v14, v3, v4 offset0:4 offset1:6
	ds_write2st64_b32 v14, v5, v6 offset0:8 offset1:10
	;; [unrolled: 1-line block ×4, first 2 shown]
	v_mad_u32_u24 v1, v0, 36, v14
	s_waitcnt lgkmcnt(0)
	s_barrier
	ds_read2_b64 v[6:9], v1 offset1:1
	ds_read2_b64 v[2:5], v1 offset0:2 offset1:3
	ds_read_b64 v[10:11], v1 offset:32
	s_load_dwordx2 s[20:21], s[4:5], 0x18
	v_cmp_gt_u32_e64 s[4:5], 64, v0
	s_waitcnt lgkmcnt(0)
	v_add_u32_e32 v1, v7, v6
	v_add3_u32 v1, v1, v8, v9
	v_add3_u32 v1, v1, v2, v3
	;; [unrolled: 1-line block ×4, first 2 shown]
	v_lshrrev_b32_e32 v11, 3, v0
	v_and_b32_e32 v11, 12, v11
	v_add_u32_e32 v11, v14, v11
	s_barrier
	ds_write_b32 v11, v1
	s_waitcnt lgkmcnt(0)
	s_barrier
	s_and_saveexec_b64 s[22:23], s[4:5]
	s_cbranch_execz .LBB707_22
; %bb.21:
	v_lshlrev_b32_e32 v11, 1, v0
	v_lshrrev_b32_e32 v12, 4, v0
	v_add_lshl_u32 v11, v12, v11, 2
	ds_read2_b32 v[12:13], v11 offset1:1
	v_mbcnt_lo_u32_b32 v15, -1, 0
	v_mbcnt_hi_u32_b32 v15, -1, v15
	v_and_b32_e32 v16, 15, v15
	v_cmp_ne_u32_e64 s[4:5], 0, v16
	s_waitcnt lgkmcnt(0)
	v_add_u32_e32 v13, v13, v12
	; wave barrier
	s_nop 1
	v_mov_b32_dpp v17, v13 row_shr:1 row_mask:0xf bank_mask:0xf
	v_cndmask_b32_e64 v17, 0, v17, s[4:5]
	v_add_u32_e32 v13, v17, v13
	v_cmp_lt_u32_e64 s[4:5], 1, v16
	s_nop 0
	v_mov_b32_dpp v17, v13 row_shr:2 row_mask:0xf bank_mask:0xf
	v_cndmask_b32_e64 v17, 0, v17, s[4:5]
	v_add_u32_e32 v13, v13, v17
	v_cmp_lt_u32_e64 s[4:5], 3, v16
	;; [unrolled: 5-line block ×3, first 2 shown]
	s_nop 0
	v_mov_b32_dpp v17, v13 row_shr:8 row_mask:0xf bank_mask:0xf
	v_cndmask_b32_e64 v16, 0, v17, s[4:5]
	v_add_u32_e32 v13, v13, v16
	v_bfe_i32 v17, v15, 4, 1
	v_cmp_lt_u32_e64 s[4:5], 31, v15
	v_mov_b32_dpp v16, v13 row_bcast:15 row_mask:0xf bank_mask:0xf
	v_and_b32_e32 v16, v17, v16
	v_add_u32_e32 v13, v13, v16
	v_and_b32_e32 v17, 64, v15
	s_nop 0
	v_mov_b32_dpp v16, v13 row_bcast:31 row_mask:0xf bank_mask:0xf
	v_cndmask_b32_e64 v16, 0, v16, s[4:5]
	v_add_u32_e32 v13, v13, v16
	v_add_u32_e32 v16, -1, v15
	v_cmp_lt_i32_e64 s[4:5], v16, v17
	v_cndmask_b32_e64 v15, v16, v15, s[4:5]
	v_lshlrev_b32_e32 v15, 2, v15
	ds_bpermute_b32 v13, v15, v13
	v_cmp_eq_u32_e64 s[4:5], 0, v0
	s_waitcnt lgkmcnt(0)
	v_add_u32_e32 v12, v13, v12
	v_cndmask_b32_e64 v1, v12, v1, s[4:5]
	ds_write_b32 v11, v1
	; wave barrier
	ds_read_b32 v12, v11 offset:4
	s_waitcnt lgkmcnt(0)
	v_add_u32_e32 v1, v12, v1
	ds_write_b32 v11, v1 offset:4
.LBB707_22:
	s_or_b64 exec, exec, s[22:23]
	v_mul_u32_u24_e32 v1, 36, v0
	v_cmp_ne_u32_e64 s[4:5], 0, v0
	v_mov_b32_e32 v12, s24
	s_waitcnt lgkmcnt(0)
	s_barrier
	s_and_saveexec_b64 s[22:23], s[4:5]
	s_cbranch_execz .LBB707_24
; %bb.23:
	v_add_u32_e32 v0, -1, v0
	v_lshrrev_b32_e32 v11, 5, v0
	v_add_lshl_u32 v0, v11, v0, 2
	ds_read_b32 v0, v0
	s_waitcnt lgkmcnt(0)
	v_add_u32_e32 v12, s24, v0
.LBB707_24:
	s_or_b64 exec, exec, s[22:23]
	v_add_u32_e32 v13, v12, v6
	v_add_u32_e32 v6, v13, v7
	;; [unrolled: 1-line block ×10, first 2 shown]
	s_barrier
	ds_write2_b64 v0, v[12:13], v[6:7] offset1:1
	ds_write2_b64 v0, v[8:9], v[2:3] offset0:2 offset1:3
	ds_write_b64 v0, v[4:5] offset:32
	s_waitcnt lgkmcnt(0)
	s_barrier
	ds_read2st64_b32 v[8:9], v14 offset0:2 offset1:4
	ds_read2st64_b32 v[6:7], v14 offset0:6 offset1:8
	;; [unrolled: 1-line block ×4, first 2 shown]
	ds_read_b32 v10, v14 offset:4608
	v_mov_b32_e32 v1, s21
	v_add_co_u32_e64 v0, s[4:5], s20, v14
	v_addc_co_u32_e64 v1, s[4:5], 0, v1, s[4:5]
	s_and_saveexec_b64 s[4:5], vcc
	s_cbranch_execnz .LBB707_35
; %bb.25:
	s_or_b64 exec, exec, s[4:5]
	s_and_saveexec_b64 s[4:5], s[0:1]
	s_cbranch_execnz .LBB707_36
.LBB707_26:
	s_or_b64 exec, exec, s[4:5]
	s_and_saveexec_b64 s[0:1], s[2:3]
	s_cbranch_execnz .LBB707_37
.LBB707_27:
	s_or_b64 exec, exec, s[0:1]
	s_and_saveexec_b64 s[0:1], s[18:19]
	s_cbranch_execnz .LBB707_38
.LBB707_28:
	s_or_b64 exec, exec, s[0:1]
	s_and_saveexec_b64 s[0:1], s[6:7]
	s_cbranch_execnz .LBB707_39
.LBB707_29:
	s_or_b64 exec, exec, s[0:1]
	s_and_saveexec_b64 s[0:1], s[8:9]
	s_cbranch_execnz .LBB707_40
.LBB707_30:
	s_or_b64 exec, exec, s[0:1]
	s_and_saveexec_b64 s[0:1], s[10:11]
	s_cbranch_execnz .LBB707_41
.LBB707_31:
	s_or_b64 exec, exec, s[0:1]
	s_and_saveexec_b64 s[0:1], s[12:13]
	s_cbranch_execnz .LBB707_42
.LBB707_32:
	s_or_b64 exec, exec, s[0:1]
	s_and_saveexec_b64 s[0:1], s[14:15]
	s_cbranch_execnz .LBB707_43
.LBB707_33:
	s_or_b64 exec, exec, s[0:1]
	s_and_saveexec_b64 s[0:1], s[16:17]
	s_cbranch_execnz .LBB707_44
.LBB707_34:
	s_endpgm
.LBB707_35:
	ds_read_b32 v11, v14
	s_waitcnt lgkmcnt(0)
	global_store_dword v[0:1], v11, off
	s_or_b64 exec, exec, s[4:5]
	s_and_saveexec_b64 s[4:5], s[0:1]
	s_cbranch_execz .LBB707_26
.LBB707_36:
	s_waitcnt lgkmcnt(4)
	global_store_dword v[0:1], v8, off offset:512
	s_or_b64 exec, exec, s[4:5]
	s_and_saveexec_b64 s[0:1], s[2:3]
	s_cbranch_execz .LBB707_27
.LBB707_37:
	s_waitcnt lgkmcnt(4)
	global_store_dword v[0:1], v9, off offset:1024
	s_or_b64 exec, exec, s[0:1]
	s_and_saveexec_b64 s[0:1], s[18:19]
	s_cbranch_execz .LBB707_28
.LBB707_38:
	s_waitcnt lgkmcnt(3)
	global_store_dword v[0:1], v6, off offset:1536
	s_or_b64 exec, exec, s[0:1]
	s_and_saveexec_b64 s[0:1], s[6:7]
	s_cbranch_execz .LBB707_29
.LBB707_39:
	s_waitcnt lgkmcnt(3)
	global_store_dword v[0:1], v7, off offset:2048
	s_or_b64 exec, exec, s[0:1]
	s_and_saveexec_b64 s[0:1], s[8:9]
	s_cbranch_execz .LBB707_30
.LBB707_40:
	s_waitcnt lgkmcnt(2)
	global_store_dword v[0:1], v4, off offset:2560
	s_or_b64 exec, exec, s[0:1]
	s_and_saveexec_b64 s[0:1], s[10:11]
	s_cbranch_execz .LBB707_31
.LBB707_41:
	s_waitcnt lgkmcnt(2)
	global_store_dword v[0:1], v5, off offset:3072
	s_or_b64 exec, exec, s[0:1]
	s_and_saveexec_b64 s[0:1], s[12:13]
	s_cbranch_execz .LBB707_32
.LBB707_42:
	s_waitcnt lgkmcnt(1)
	global_store_dword v[0:1], v2, off offset:3584
	s_or_b64 exec, exec, s[0:1]
	s_and_saveexec_b64 s[0:1], s[14:15]
	s_cbranch_execz .LBB707_33
.LBB707_43:
	s_waitcnt lgkmcnt(2)
	v_add_co_u32_e32 v4, vcc, 0x1000, v0
	v_addc_co_u32_e32 v5, vcc, 0, v1, vcc
	s_waitcnt lgkmcnt(1)
	global_store_dword v[4:5], v3, off
	s_or_b64 exec, exec, s[0:1]
	s_and_saveexec_b64 s[0:1], s[16:17]
	s_cbranch_execz .LBB707_34
.LBB707_44:
	v_add_co_u32_e32 v0, vcc, 0x1000, v0
	v_addc_co_u32_e32 v1, vcc, 0, v1, vcc
	s_waitcnt lgkmcnt(0)
	global_store_dword v[0:1], v10, off offset:512
	s_endpgm
	.section	.rodata,"a",@progbits
	.p2align	6, 0x0
	.amdhsa_kernel _ZN7rocprim17ROCPRIM_400000_NS6detail17trampoline_kernelINS0_14default_configENS1_20scan_config_selectorIiEEZZNS1_9scan_implILNS1_25lookback_scan_determinismE0ELb1ELb1ES3_N6thrust23THRUST_200600_302600_NS6detail15normal_iteratorINS9_10device_ptrIiEEEESE_iNS9_4plusIiEEiEEDaPvRmT3_T4_T5_mT6_P12ihipStream_tbENKUlT_T0_E_clISt17integral_constantIbLb1EEST_IbLb0EEEEDaSP_SQ_EUlSP_E0_NS1_11comp_targetILNS1_3genE4ELNS1_11target_archE910ELNS1_3gpuE8ELNS1_3repE0EEENS1_30default_config_static_selectorELNS0_4arch9wavefront6targetE1EEEvT1_
		.amdhsa_group_segment_fixed_size 5120
		.amdhsa_private_segment_fixed_size 0
		.amdhsa_kernarg_size 32
		.amdhsa_user_sgpr_count 6
		.amdhsa_user_sgpr_private_segment_buffer 1
		.amdhsa_user_sgpr_dispatch_ptr 0
		.amdhsa_user_sgpr_queue_ptr 0
		.amdhsa_user_sgpr_kernarg_segment_ptr 1
		.amdhsa_user_sgpr_dispatch_id 0
		.amdhsa_user_sgpr_flat_scratch_init 0
		.amdhsa_user_sgpr_kernarg_preload_length 0
		.amdhsa_user_sgpr_kernarg_preload_offset 0
		.amdhsa_user_sgpr_private_segment_size 0
		.amdhsa_uses_dynamic_stack 0
		.amdhsa_system_sgpr_private_segment_wavefront_offset 0
		.amdhsa_system_sgpr_workgroup_id_x 1
		.amdhsa_system_sgpr_workgroup_id_y 0
		.amdhsa_system_sgpr_workgroup_id_z 0
		.amdhsa_system_sgpr_workgroup_info 0
		.amdhsa_system_vgpr_workitem_id 0
		.amdhsa_next_free_vgpr 18
		.amdhsa_next_free_sgpr 25
		.amdhsa_accum_offset 20
		.amdhsa_reserve_vcc 1
		.amdhsa_reserve_flat_scratch 0
		.amdhsa_float_round_mode_32 0
		.amdhsa_float_round_mode_16_64 0
		.amdhsa_float_denorm_mode_32 3
		.amdhsa_float_denorm_mode_16_64 3
		.amdhsa_dx10_clamp 1
		.amdhsa_ieee_mode 1
		.amdhsa_fp16_overflow 0
		.amdhsa_tg_split 0
		.amdhsa_exception_fp_ieee_invalid_op 0
		.amdhsa_exception_fp_denorm_src 0
		.amdhsa_exception_fp_ieee_div_zero 0
		.amdhsa_exception_fp_ieee_overflow 0
		.amdhsa_exception_fp_ieee_underflow 0
		.amdhsa_exception_fp_ieee_inexact 0
		.amdhsa_exception_int_div_zero 0
	.end_amdhsa_kernel
	.section	.text._ZN7rocprim17ROCPRIM_400000_NS6detail17trampoline_kernelINS0_14default_configENS1_20scan_config_selectorIiEEZZNS1_9scan_implILNS1_25lookback_scan_determinismE0ELb1ELb1ES3_N6thrust23THRUST_200600_302600_NS6detail15normal_iteratorINS9_10device_ptrIiEEEESE_iNS9_4plusIiEEiEEDaPvRmT3_T4_T5_mT6_P12ihipStream_tbENKUlT_T0_E_clISt17integral_constantIbLb1EEST_IbLb0EEEEDaSP_SQ_EUlSP_E0_NS1_11comp_targetILNS1_3genE4ELNS1_11target_archE910ELNS1_3gpuE8ELNS1_3repE0EEENS1_30default_config_static_selectorELNS0_4arch9wavefront6targetE1EEEvT1_,"axG",@progbits,_ZN7rocprim17ROCPRIM_400000_NS6detail17trampoline_kernelINS0_14default_configENS1_20scan_config_selectorIiEEZZNS1_9scan_implILNS1_25lookback_scan_determinismE0ELb1ELb1ES3_N6thrust23THRUST_200600_302600_NS6detail15normal_iteratorINS9_10device_ptrIiEEEESE_iNS9_4plusIiEEiEEDaPvRmT3_T4_T5_mT6_P12ihipStream_tbENKUlT_T0_E_clISt17integral_constantIbLb1EEST_IbLb0EEEEDaSP_SQ_EUlSP_E0_NS1_11comp_targetILNS1_3genE4ELNS1_11target_archE910ELNS1_3gpuE8ELNS1_3repE0EEENS1_30default_config_static_selectorELNS0_4arch9wavefront6targetE1EEEvT1_,comdat
.Lfunc_end707:
	.size	_ZN7rocprim17ROCPRIM_400000_NS6detail17trampoline_kernelINS0_14default_configENS1_20scan_config_selectorIiEEZZNS1_9scan_implILNS1_25lookback_scan_determinismE0ELb1ELb1ES3_N6thrust23THRUST_200600_302600_NS6detail15normal_iteratorINS9_10device_ptrIiEEEESE_iNS9_4plusIiEEiEEDaPvRmT3_T4_T5_mT6_P12ihipStream_tbENKUlT_T0_E_clISt17integral_constantIbLb1EEST_IbLb0EEEEDaSP_SQ_EUlSP_E0_NS1_11comp_targetILNS1_3genE4ELNS1_11target_archE910ELNS1_3gpuE8ELNS1_3repE0EEENS1_30default_config_static_selectorELNS0_4arch9wavefront6targetE1EEEvT1_, .Lfunc_end707-_ZN7rocprim17ROCPRIM_400000_NS6detail17trampoline_kernelINS0_14default_configENS1_20scan_config_selectorIiEEZZNS1_9scan_implILNS1_25lookback_scan_determinismE0ELb1ELb1ES3_N6thrust23THRUST_200600_302600_NS6detail15normal_iteratorINS9_10device_ptrIiEEEESE_iNS9_4plusIiEEiEEDaPvRmT3_T4_T5_mT6_P12ihipStream_tbENKUlT_T0_E_clISt17integral_constantIbLb1EEST_IbLb0EEEEDaSP_SQ_EUlSP_E0_NS1_11comp_targetILNS1_3genE4ELNS1_11target_archE910ELNS1_3gpuE8ELNS1_3repE0EEENS1_30default_config_static_selectorELNS0_4arch9wavefront6targetE1EEEvT1_
                                        ; -- End function
	.section	.AMDGPU.csdata,"",@progbits
; Kernel info:
; codeLenInByte = 1536
; NumSgprs: 29
; NumVgprs: 18
; NumAgprs: 0
; TotalNumVgprs: 18
; ScratchSize: 0
; MemoryBound: 0
; FloatMode: 240
; IeeeMode: 1
; LDSByteSize: 5120 bytes/workgroup (compile time only)
; SGPRBlocks: 3
; VGPRBlocks: 2
; NumSGPRsForWavesPerEU: 29
; NumVGPRsForWavesPerEU: 18
; AccumOffset: 20
; Occupancy: 6
; WaveLimiterHint : 0
; COMPUTE_PGM_RSRC2:SCRATCH_EN: 0
; COMPUTE_PGM_RSRC2:USER_SGPR: 6
; COMPUTE_PGM_RSRC2:TRAP_HANDLER: 0
; COMPUTE_PGM_RSRC2:TGID_X_EN: 1
; COMPUTE_PGM_RSRC2:TGID_Y_EN: 0
; COMPUTE_PGM_RSRC2:TGID_Z_EN: 0
; COMPUTE_PGM_RSRC2:TIDIG_COMP_CNT: 0
; COMPUTE_PGM_RSRC3_GFX90A:ACCUM_OFFSET: 4
; COMPUTE_PGM_RSRC3_GFX90A:TG_SPLIT: 0
	.section	.text._ZN7rocprim17ROCPRIM_400000_NS6detail17trampoline_kernelINS0_14default_configENS1_20scan_config_selectorIiEEZZNS1_9scan_implILNS1_25lookback_scan_determinismE0ELb1ELb1ES3_N6thrust23THRUST_200600_302600_NS6detail15normal_iteratorINS9_10device_ptrIiEEEESE_iNS9_4plusIiEEiEEDaPvRmT3_T4_T5_mT6_P12ihipStream_tbENKUlT_T0_E_clISt17integral_constantIbLb1EEST_IbLb0EEEEDaSP_SQ_EUlSP_E0_NS1_11comp_targetILNS1_3genE3ELNS1_11target_archE908ELNS1_3gpuE7ELNS1_3repE0EEENS1_30default_config_static_selectorELNS0_4arch9wavefront6targetE1EEEvT1_,"axG",@progbits,_ZN7rocprim17ROCPRIM_400000_NS6detail17trampoline_kernelINS0_14default_configENS1_20scan_config_selectorIiEEZZNS1_9scan_implILNS1_25lookback_scan_determinismE0ELb1ELb1ES3_N6thrust23THRUST_200600_302600_NS6detail15normal_iteratorINS9_10device_ptrIiEEEESE_iNS9_4plusIiEEiEEDaPvRmT3_T4_T5_mT6_P12ihipStream_tbENKUlT_T0_E_clISt17integral_constantIbLb1EEST_IbLb0EEEEDaSP_SQ_EUlSP_E0_NS1_11comp_targetILNS1_3genE3ELNS1_11target_archE908ELNS1_3gpuE7ELNS1_3repE0EEENS1_30default_config_static_selectorELNS0_4arch9wavefront6targetE1EEEvT1_,comdat
	.protected	_ZN7rocprim17ROCPRIM_400000_NS6detail17trampoline_kernelINS0_14default_configENS1_20scan_config_selectorIiEEZZNS1_9scan_implILNS1_25lookback_scan_determinismE0ELb1ELb1ES3_N6thrust23THRUST_200600_302600_NS6detail15normal_iteratorINS9_10device_ptrIiEEEESE_iNS9_4plusIiEEiEEDaPvRmT3_T4_T5_mT6_P12ihipStream_tbENKUlT_T0_E_clISt17integral_constantIbLb1EEST_IbLb0EEEEDaSP_SQ_EUlSP_E0_NS1_11comp_targetILNS1_3genE3ELNS1_11target_archE908ELNS1_3gpuE7ELNS1_3repE0EEENS1_30default_config_static_selectorELNS0_4arch9wavefront6targetE1EEEvT1_ ; -- Begin function _ZN7rocprim17ROCPRIM_400000_NS6detail17trampoline_kernelINS0_14default_configENS1_20scan_config_selectorIiEEZZNS1_9scan_implILNS1_25lookback_scan_determinismE0ELb1ELb1ES3_N6thrust23THRUST_200600_302600_NS6detail15normal_iteratorINS9_10device_ptrIiEEEESE_iNS9_4plusIiEEiEEDaPvRmT3_T4_T5_mT6_P12ihipStream_tbENKUlT_T0_E_clISt17integral_constantIbLb1EEST_IbLb0EEEEDaSP_SQ_EUlSP_E0_NS1_11comp_targetILNS1_3genE3ELNS1_11target_archE908ELNS1_3gpuE7ELNS1_3repE0EEENS1_30default_config_static_selectorELNS0_4arch9wavefront6targetE1EEEvT1_
	.globl	_ZN7rocprim17ROCPRIM_400000_NS6detail17trampoline_kernelINS0_14default_configENS1_20scan_config_selectorIiEEZZNS1_9scan_implILNS1_25lookback_scan_determinismE0ELb1ELb1ES3_N6thrust23THRUST_200600_302600_NS6detail15normal_iteratorINS9_10device_ptrIiEEEESE_iNS9_4plusIiEEiEEDaPvRmT3_T4_T5_mT6_P12ihipStream_tbENKUlT_T0_E_clISt17integral_constantIbLb1EEST_IbLb0EEEEDaSP_SQ_EUlSP_E0_NS1_11comp_targetILNS1_3genE3ELNS1_11target_archE908ELNS1_3gpuE7ELNS1_3repE0EEENS1_30default_config_static_selectorELNS0_4arch9wavefront6targetE1EEEvT1_
	.p2align	8
	.type	_ZN7rocprim17ROCPRIM_400000_NS6detail17trampoline_kernelINS0_14default_configENS1_20scan_config_selectorIiEEZZNS1_9scan_implILNS1_25lookback_scan_determinismE0ELb1ELb1ES3_N6thrust23THRUST_200600_302600_NS6detail15normal_iteratorINS9_10device_ptrIiEEEESE_iNS9_4plusIiEEiEEDaPvRmT3_T4_T5_mT6_P12ihipStream_tbENKUlT_T0_E_clISt17integral_constantIbLb1EEST_IbLb0EEEEDaSP_SQ_EUlSP_E0_NS1_11comp_targetILNS1_3genE3ELNS1_11target_archE908ELNS1_3gpuE7ELNS1_3repE0EEENS1_30default_config_static_selectorELNS0_4arch9wavefront6targetE1EEEvT1_,@function
_ZN7rocprim17ROCPRIM_400000_NS6detail17trampoline_kernelINS0_14default_configENS1_20scan_config_selectorIiEEZZNS1_9scan_implILNS1_25lookback_scan_determinismE0ELb1ELb1ES3_N6thrust23THRUST_200600_302600_NS6detail15normal_iteratorINS9_10device_ptrIiEEEESE_iNS9_4plusIiEEiEEDaPvRmT3_T4_T5_mT6_P12ihipStream_tbENKUlT_T0_E_clISt17integral_constantIbLb1EEST_IbLb0EEEEDaSP_SQ_EUlSP_E0_NS1_11comp_targetILNS1_3genE3ELNS1_11target_archE908ELNS1_3gpuE7ELNS1_3repE0EEENS1_30default_config_static_selectorELNS0_4arch9wavefront6targetE1EEEvT1_: ; @_ZN7rocprim17ROCPRIM_400000_NS6detail17trampoline_kernelINS0_14default_configENS1_20scan_config_selectorIiEEZZNS1_9scan_implILNS1_25lookback_scan_determinismE0ELb1ELb1ES3_N6thrust23THRUST_200600_302600_NS6detail15normal_iteratorINS9_10device_ptrIiEEEESE_iNS9_4plusIiEEiEEDaPvRmT3_T4_T5_mT6_P12ihipStream_tbENKUlT_T0_E_clISt17integral_constantIbLb1EEST_IbLb0EEEEDaSP_SQ_EUlSP_E0_NS1_11comp_targetILNS1_3genE3ELNS1_11target_archE908ELNS1_3gpuE7ELNS1_3repE0EEENS1_30default_config_static_selectorELNS0_4arch9wavefront6targetE1EEEvT1_
; %bb.0:
	.section	.rodata,"a",@progbits
	.p2align	6, 0x0
	.amdhsa_kernel _ZN7rocprim17ROCPRIM_400000_NS6detail17trampoline_kernelINS0_14default_configENS1_20scan_config_selectorIiEEZZNS1_9scan_implILNS1_25lookback_scan_determinismE0ELb1ELb1ES3_N6thrust23THRUST_200600_302600_NS6detail15normal_iteratorINS9_10device_ptrIiEEEESE_iNS9_4plusIiEEiEEDaPvRmT3_T4_T5_mT6_P12ihipStream_tbENKUlT_T0_E_clISt17integral_constantIbLb1EEST_IbLb0EEEEDaSP_SQ_EUlSP_E0_NS1_11comp_targetILNS1_3genE3ELNS1_11target_archE908ELNS1_3gpuE7ELNS1_3repE0EEENS1_30default_config_static_selectorELNS0_4arch9wavefront6targetE1EEEvT1_
		.amdhsa_group_segment_fixed_size 0
		.amdhsa_private_segment_fixed_size 0
		.amdhsa_kernarg_size 32
		.amdhsa_user_sgpr_count 6
		.amdhsa_user_sgpr_private_segment_buffer 1
		.amdhsa_user_sgpr_dispatch_ptr 0
		.amdhsa_user_sgpr_queue_ptr 0
		.amdhsa_user_sgpr_kernarg_segment_ptr 1
		.amdhsa_user_sgpr_dispatch_id 0
		.amdhsa_user_sgpr_flat_scratch_init 0
		.amdhsa_user_sgpr_kernarg_preload_length 0
		.amdhsa_user_sgpr_kernarg_preload_offset 0
		.amdhsa_user_sgpr_private_segment_size 0
		.amdhsa_uses_dynamic_stack 0
		.amdhsa_system_sgpr_private_segment_wavefront_offset 0
		.amdhsa_system_sgpr_workgroup_id_x 1
		.amdhsa_system_sgpr_workgroup_id_y 0
		.amdhsa_system_sgpr_workgroup_id_z 0
		.amdhsa_system_sgpr_workgroup_info 0
		.amdhsa_system_vgpr_workitem_id 0
		.amdhsa_next_free_vgpr 1
		.amdhsa_next_free_sgpr 0
		.amdhsa_accum_offset 4
		.amdhsa_reserve_vcc 0
		.amdhsa_reserve_flat_scratch 0
		.amdhsa_float_round_mode_32 0
		.amdhsa_float_round_mode_16_64 0
		.amdhsa_float_denorm_mode_32 3
		.amdhsa_float_denorm_mode_16_64 3
		.amdhsa_dx10_clamp 1
		.amdhsa_ieee_mode 1
		.amdhsa_fp16_overflow 0
		.amdhsa_tg_split 0
		.amdhsa_exception_fp_ieee_invalid_op 0
		.amdhsa_exception_fp_denorm_src 0
		.amdhsa_exception_fp_ieee_div_zero 0
		.amdhsa_exception_fp_ieee_overflow 0
		.amdhsa_exception_fp_ieee_underflow 0
		.amdhsa_exception_fp_ieee_inexact 0
		.amdhsa_exception_int_div_zero 0
	.end_amdhsa_kernel
	.section	.text._ZN7rocprim17ROCPRIM_400000_NS6detail17trampoline_kernelINS0_14default_configENS1_20scan_config_selectorIiEEZZNS1_9scan_implILNS1_25lookback_scan_determinismE0ELb1ELb1ES3_N6thrust23THRUST_200600_302600_NS6detail15normal_iteratorINS9_10device_ptrIiEEEESE_iNS9_4plusIiEEiEEDaPvRmT3_T4_T5_mT6_P12ihipStream_tbENKUlT_T0_E_clISt17integral_constantIbLb1EEST_IbLb0EEEEDaSP_SQ_EUlSP_E0_NS1_11comp_targetILNS1_3genE3ELNS1_11target_archE908ELNS1_3gpuE7ELNS1_3repE0EEENS1_30default_config_static_selectorELNS0_4arch9wavefront6targetE1EEEvT1_,"axG",@progbits,_ZN7rocprim17ROCPRIM_400000_NS6detail17trampoline_kernelINS0_14default_configENS1_20scan_config_selectorIiEEZZNS1_9scan_implILNS1_25lookback_scan_determinismE0ELb1ELb1ES3_N6thrust23THRUST_200600_302600_NS6detail15normal_iteratorINS9_10device_ptrIiEEEESE_iNS9_4plusIiEEiEEDaPvRmT3_T4_T5_mT6_P12ihipStream_tbENKUlT_T0_E_clISt17integral_constantIbLb1EEST_IbLb0EEEEDaSP_SQ_EUlSP_E0_NS1_11comp_targetILNS1_3genE3ELNS1_11target_archE908ELNS1_3gpuE7ELNS1_3repE0EEENS1_30default_config_static_selectorELNS0_4arch9wavefront6targetE1EEEvT1_,comdat
.Lfunc_end708:
	.size	_ZN7rocprim17ROCPRIM_400000_NS6detail17trampoline_kernelINS0_14default_configENS1_20scan_config_selectorIiEEZZNS1_9scan_implILNS1_25lookback_scan_determinismE0ELb1ELb1ES3_N6thrust23THRUST_200600_302600_NS6detail15normal_iteratorINS9_10device_ptrIiEEEESE_iNS9_4plusIiEEiEEDaPvRmT3_T4_T5_mT6_P12ihipStream_tbENKUlT_T0_E_clISt17integral_constantIbLb1EEST_IbLb0EEEEDaSP_SQ_EUlSP_E0_NS1_11comp_targetILNS1_3genE3ELNS1_11target_archE908ELNS1_3gpuE7ELNS1_3repE0EEENS1_30default_config_static_selectorELNS0_4arch9wavefront6targetE1EEEvT1_, .Lfunc_end708-_ZN7rocprim17ROCPRIM_400000_NS6detail17trampoline_kernelINS0_14default_configENS1_20scan_config_selectorIiEEZZNS1_9scan_implILNS1_25lookback_scan_determinismE0ELb1ELb1ES3_N6thrust23THRUST_200600_302600_NS6detail15normal_iteratorINS9_10device_ptrIiEEEESE_iNS9_4plusIiEEiEEDaPvRmT3_T4_T5_mT6_P12ihipStream_tbENKUlT_T0_E_clISt17integral_constantIbLb1EEST_IbLb0EEEEDaSP_SQ_EUlSP_E0_NS1_11comp_targetILNS1_3genE3ELNS1_11target_archE908ELNS1_3gpuE7ELNS1_3repE0EEENS1_30default_config_static_selectorELNS0_4arch9wavefront6targetE1EEEvT1_
                                        ; -- End function
	.section	.AMDGPU.csdata,"",@progbits
; Kernel info:
; codeLenInByte = 0
; NumSgprs: 4
; NumVgprs: 0
; NumAgprs: 0
; TotalNumVgprs: 0
; ScratchSize: 0
; MemoryBound: 0
; FloatMode: 240
; IeeeMode: 1
; LDSByteSize: 0 bytes/workgroup (compile time only)
; SGPRBlocks: 0
; VGPRBlocks: 0
; NumSGPRsForWavesPerEU: 4
; NumVGPRsForWavesPerEU: 1
; AccumOffset: 4
; Occupancy: 8
; WaveLimiterHint : 0
; COMPUTE_PGM_RSRC2:SCRATCH_EN: 0
; COMPUTE_PGM_RSRC2:USER_SGPR: 6
; COMPUTE_PGM_RSRC2:TRAP_HANDLER: 0
; COMPUTE_PGM_RSRC2:TGID_X_EN: 1
; COMPUTE_PGM_RSRC2:TGID_Y_EN: 0
; COMPUTE_PGM_RSRC2:TGID_Z_EN: 0
; COMPUTE_PGM_RSRC2:TIDIG_COMP_CNT: 0
; COMPUTE_PGM_RSRC3_GFX90A:ACCUM_OFFSET: 0
; COMPUTE_PGM_RSRC3_GFX90A:TG_SPLIT: 0
	.section	.text._ZN7rocprim17ROCPRIM_400000_NS6detail17trampoline_kernelINS0_14default_configENS1_20scan_config_selectorIiEEZZNS1_9scan_implILNS1_25lookback_scan_determinismE0ELb1ELb1ES3_N6thrust23THRUST_200600_302600_NS6detail15normal_iteratorINS9_10device_ptrIiEEEESE_iNS9_4plusIiEEiEEDaPvRmT3_T4_T5_mT6_P12ihipStream_tbENKUlT_T0_E_clISt17integral_constantIbLb1EEST_IbLb0EEEEDaSP_SQ_EUlSP_E0_NS1_11comp_targetILNS1_3genE2ELNS1_11target_archE906ELNS1_3gpuE6ELNS1_3repE0EEENS1_30default_config_static_selectorELNS0_4arch9wavefront6targetE1EEEvT1_,"axG",@progbits,_ZN7rocprim17ROCPRIM_400000_NS6detail17trampoline_kernelINS0_14default_configENS1_20scan_config_selectorIiEEZZNS1_9scan_implILNS1_25lookback_scan_determinismE0ELb1ELb1ES3_N6thrust23THRUST_200600_302600_NS6detail15normal_iteratorINS9_10device_ptrIiEEEESE_iNS9_4plusIiEEiEEDaPvRmT3_T4_T5_mT6_P12ihipStream_tbENKUlT_T0_E_clISt17integral_constantIbLb1EEST_IbLb0EEEEDaSP_SQ_EUlSP_E0_NS1_11comp_targetILNS1_3genE2ELNS1_11target_archE906ELNS1_3gpuE6ELNS1_3repE0EEENS1_30default_config_static_selectorELNS0_4arch9wavefront6targetE1EEEvT1_,comdat
	.protected	_ZN7rocprim17ROCPRIM_400000_NS6detail17trampoline_kernelINS0_14default_configENS1_20scan_config_selectorIiEEZZNS1_9scan_implILNS1_25lookback_scan_determinismE0ELb1ELb1ES3_N6thrust23THRUST_200600_302600_NS6detail15normal_iteratorINS9_10device_ptrIiEEEESE_iNS9_4plusIiEEiEEDaPvRmT3_T4_T5_mT6_P12ihipStream_tbENKUlT_T0_E_clISt17integral_constantIbLb1EEST_IbLb0EEEEDaSP_SQ_EUlSP_E0_NS1_11comp_targetILNS1_3genE2ELNS1_11target_archE906ELNS1_3gpuE6ELNS1_3repE0EEENS1_30default_config_static_selectorELNS0_4arch9wavefront6targetE1EEEvT1_ ; -- Begin function _ZN7rocprim17ROCPRIM_400000_NS6detail17trampoline_kernelINS0_14default_configENS1_20scan_config_selectorIiEEZZNS1_9scan_implILNS1_25lookback_scan_determinismE0ELb1ELb1ES3_N6thrust23THRUST_200600_302600_NS6detail15normal_iteratorINS9_10device_ptrIiEEEESE_iNS9_4plusIiEEiEEDaPvRmT3_T4_T5_mT6_P12ihipStream_tbENKUlT_T0_E_clISt17integral_constantIbLb1EEST_IbLb0EEEEDaSP_SQ_EUlSP_E0_NS1_11comp_targetILNS1_3genE2ELNS1_11target_archE906ELNS1_3gpuE6ELNS1_3repE0EEENS1_30default_config_static_selectorELNS0_4arch9wavefront6targetE1EEEvT1_
	.globl	_ZN7rocprim17ROCPRIM_400000_NS6detail17trampoline_kernelINS0_14default_configENS1_20scan_config_selectorIiEEZZNS1_9scan_implILNS1_25lookback_scan_determinismE0ELb1ELb1ES3_N6thrust23THRUST_200600_302600_NS6detail15normal_iteratorINS9_10device_ptrIiEEEESE_iNS9_4plusIiEEiEEDaPvRmT3_T4_T5_mT6_P12ihipStream_tbENKUlT_T0_E_clISt17integral_constantIbLb1EEST_IbLb0EEEEDaSP_SQ_EUlSP_E0_NS1_11comp_targetILNS1_3genE2ELNS1_11target_archE906ELNS1_3gpuE6ELNS1_3repE0EEENS1_30default_config_static_selectorELNS0_4arch9wavefront6targetE1EEEvT1_
	.p2align	8
	.type	_ZN7rocprim17ROCPRIM_400000_NS6detail17trampoline_kernelINS0_14default_configENS1_20scan_config_selectorIiEEZZNS1_9scan_implILNS1_25lookback_scan_determinismE0ELb1ELb1ES3_N6thrust23THRUST_200600_302600_NS6detail15normal_iteratorINS9_10device_ptrIiEEEESE_iNS9_4plusIiEEiEEDaPvRmT3_T4_T5_mT6_P12ihipStream_tbENKUlT_T0_E_clISt17integral_constantIbLb1EEST_IbLb0EEEEDaSP_SQ_EUlSP_E0_NS1_11comp_targetILNS1_3genE2ELNS1_11target_archE906ELNS1_3gpuE6ELNS1_3repE0EEENS1_30default_config_static_selectorELNS0_4arch9wavefront6targetE1EEEvT1_,@function
_ZN7rocprim17ROCPRIM_400000_NS6detail17trampoline_kernelINS0_14default_configENS1_20scan_config_selectorIiEEZZNS1_9scan_implILNS1_25lookback_scan_determinismE0ELb1ELb1ES3_N6thrust23THRUST_200600_302600_NS6detail15normal_iteratorINS9_10device_ptrIiEEEESE_iNS9_4plusIiEEiEEDaPvRmT3_T4_T5_mT6_P12ihipStream_tbENKUlT_T0_E_clISt17integral_constantIbLb1EEST_IbLb0EEEEDaSP_SQ_EUlSP_E0_NS1_11comp_targetILNS1_3genE2ELNS1_11target_archE906ELNS1_3gpuE6ELNS1_3repE0EEENS1_30default_config_static_selectorELNS0_4arch9wavefront6targetE1EEEvT1_: ; @_ZN7rocprim17ROCPRIM_400000_NS6detail17trampoline_kernelINS0_14default_configENS1_20scan_config_selectorIiEEZZNS1_9scan_implILNS1_25lookback_scan_determinismE0ELb1ELb1ES3_N6thrust23THRUST_200600_302600_NS6detail15normal_iteratorINS9_10device_ptrIiEEEESE_iNS9_4plusIiEEiEEDaPvRmT3_T4_T5_mT6_P12ihipStream_tbENKUlT_T0_E_clISt17integral_constantIbLb1EEST_IbLb0EEEEDaSP_SQ_EUlSP_E0_NS1_11comp_targetILNS1_3genE2ELNS1_11target_archE906ELNS1_3gpuE6ELNS1_3repE0EEENS1_30default_config_static_selectorELNS0_4arch9wavefront6targetE1EEEvT1_
; %bb.0:
	.section	.rodata,"a",@progbits
	.p2align	6, 0x0
	.amdhsa_kernel _ZN7rocprim17ROCPRIM_400000_NS6detail17trampoline_kernelINS0_14default_configENS1_20scan_config_selectorIiEEZZNS1_9scan_implILNS1_25lookback_scan_determinismE0ELb1ELb1ES3_N6thrust23THRUST_200600_302600_NS6detail15normal_iteratorINS9_10device_ptrIiEEEESE_iNS9_4plusIiEEiEEDaPvRmT3_T4_T5_mT6_P12ihipStream_tbENKUlT_T0_E_clISt17integral_constantIbLb1EEST_IbLb0EEEEDaSP_SQ_EUlSP_E0_NS1_11comp_targetILNS1_3genE2ELNS1_11target_archE906ELNS1_3gpuE6ELNS1_3repE0EEENS1_30default_config_static_selectorELNS0_4arch9wavefront6targetE1EEEvT1_
		.amdhsa_group_segment_fixed_size 0
		.amdhsa_private_segment_fixed_size 0
		.amdhsa_kernarg_size 32
		.amdhsa_user_sgpr_count 6
		.amdhsa_user_sgpr_private_segment_buffer 1
		.amdhsa_user_sgpr_dispatch_ptr 0
		.amdhsa_user_sgpr_queue_ptr 0
		.amdhsa_user_sgpr_kernarg_segment_ptr 1
		.amdhsa_user_sgpr_dispatch_id 0
		.amdhsa_user_sgpr_flat_scratch_init 0
		.amdhsa_user_sgpr_kernarg_preload_length 0
		.amdhsa_user_sgpr_kernarg_preload_offset 0
		.amdhsa_user_sgpr_private_segment_size 0
		.amdhsa_uses_dynamic_stack 0
		.amdhsa_system_sgpr_private_segment_wavefront_offset 0
		.amdhsa_system_sgpr_workgroup_id_x 1
		.amdhsa_system_sgpr_workgroup_id_y 0
		.amdhsa_system_sgpr_workgroup_id_z 0
		.amdhsa_system_sgpr_workgroup_info 0
		.amdhsa_system_vgpr_workitem_id 0
		.amdhsa_next_free_vgpr 1
		.amdhsa_next_free_sgpr 0
		.amdhsa_accum_offset 4
		.amdhsa_reserve_vcc 0
		.amdhsa_reserve_flat_scratch 0
		.amdhsa_float_round_mode_32 0
		.amdhsa_float_round_mode_16_64 0
		.amdhsa_float_denorm_mode_32 3
		.amdhsa_float_denorm_mode_16_64 3
		.amdhsa_dx10_clamp 1
		.amdhsa_ieee_mode 1
		.amdhsa_fp16_overflow 0
		.amdhsa_tg_split 0
		.amdhsa_exception_fp_ieee_invalid_op 0
		.amdhsa_exception_fp_denorm_src 0
		.amdhsa_exception_fp_ieee_div_zero 0
		.amdhsa_exception_fp_ieee_overflow 0
		.amdhsa_exception_fp_ieee_underflow 0
		.amdhsa_exception_fp_ieee_inexact 0
		.amdhsa_exception_int_div_zero 0
	.end_amdhsa_kernel
	.section	.text._ZN7rocprim17ROCPRIM_400000_NS6detail17trampoline_kernelINS0_14default_configENS1_20scan_config_selectorIiEEZZNS1_9scan_implILNS1_25lookback_scan_determinismE0ELb1ELb1ES3_N6thrust23THRUST_200600_302600_NS6detail15normal_iteratorINS9_10device_ptrIiEEEESE_iNS9_4plusIiEEiEEDaPvRmT3_T4_T5_mT6_P12ihipStream_tbENKUlT_T0_E_clISt17integral_constantIbLb1EEST_IbLb0EEEEDaSP_SQ_EUlSP_E0_NS1_11comp_targetILNS1_3genE2ELNS1_11target_archE906ELNS1_3gpuE6ELNS1_3repE0EEENS1_30default_config_static_selectorELNS0_4arch9wavefront6targetE1EEEvT1_,"axG",@progbits,_ZN7rocprim17ROCPRIM_400000_NS6detail17trampoline_kernelINS0_14default_configENS1_20scan_config_selectorIiEEZZNS1_9scan_implILNS1_25lookback_scan_determinismE0ELb1ELb1ES3_N6thrust23THRUST_200600_302600_NS6detail15normal_iteratorINS9_10device_ptrIiEEEESE_iNS9_4plusIiEEiEEDaPvRmT3_T4_T5_mT6_P12ihipStream_tbENKUlT_T0_E_clISt17integral_constantIbLb1EEST_IbLb0EEEEDaSP_SQ_EUlSP_E0_NS1_11comp_targetILNS1_3genE2ELNS1_11target_archE906ELNS1_3gpuE6ELNS1_3repE0EEENS1_30default_config_static_selectorELNS0_4arch9wavefront6targetE1EEEvT1_,comdat
.Lfunc_end709:
	.size	_ZN7rocprim17ROCPRIM_400000_NS6detail17trampoline_kernelINS0_14default_configENS1_20scan_config_selectorIiEEZZNS1_9scan_implILNS1_25lookback_scan_determinismE0ELb1ELb1ES3_N6thrust23THRUST_200600_302600_NS6detail15normal_iteratorINS9_10device_ptrIiEEEESE_iNS9_4plusIiEEiEEDaPvRmT3_T4_T5_mT6_P12ihipStream_tbENKUlT_T0_E_clISt17integral_constantIbLb1EEST_IbLb0EEEEDaSP_SQ_EUlSP_E0_NS1_11comp_targetILNS1_3genE2ELNS1_11target_archE906ELNS1_3gpuE6ELNS1_3repE0EEENS1_30default_config_static_selectorELNS0_4arch9wavefront6targetE1EEEvT1_, .Lfunc_end709-_ZN7rocprim17ROCPRIM_400000_NS6detail17trampoline_kernelINS0_14default_configENS1_20scan_config_selectorIiEEZZNS1_9scan_implILNS1_25lookback_scan_determinismE0ELb1ELb1ES3_N6thrust23THRUST_200600_302600_NS6detail15normal_iteratorINS9_10device_ptrIiEEEESE_iNS9_4plusIiEEiEEDaPvRmT3_T4_T5_mT6_P12ihipStream_tbENKUlT_T0_E_clISt17integral_constantIbLb1EEST_IbLb0EEEEDaSP_SQ_EUlSP_E0_NS1_11comp_targetILNS1_3genE2ELNS1_11target_archE906ELNS1_3gpuE6ELNS1_3repE0EEENS1_30default_config_static_selectorELNS0_4arch9wavefront6targetE1EEEvT1_
                                        ; -- End function
	.section	.AMDGPU.csdata,"",@progbits
; Kernel info:
; codeLenInByte = 0
; NumSgprs: 4
; NumVgprs: 0
; NumAgprs: 0
; TotalNumVgprs: 0
; ScratchSize: 0
; MemoryBound: 0
; FloatMode: 240
; IeeeMode: 1
; LDSByteSize: 0 bytes/workgroup (compile time only)
; SGPRBlocks: 0
; VGPRBlocks: 0
; NumSGPRsForWavesPerEU: 4
; NumVGPRsForWavesPerEU: 1
; AccumOffset: 4
; Occupancy: 8
; WaveLimiterHint : 0
; COMPUTE_PGM_RSRC2:SCRATCH_EN: 0
; COMPUTE_PGM_RSRC2:USER_SGPR: 6
; COMPUTE_PGM_RSRC2:TRAP_HANDLER: 0
; COMPUTE_PGM_RSRC2:TGID_X_EN: 1
; COMPUTE_PGM_RSRC2:TGID_Y_EN: 0
; COMPUTE_PGM_RSRC2:TGID_Z_EN: 0
; COMPUTE_PGM_RSRC2:TIDIG_COMP_CNT: 0
; COMPUTE_PGM_RSRC3_GFX90A:ACCUM_OFFSET: 0
; COMPUTE_PGM_RSRC3_GFX90A:TG_SPLIT: 0
	.section	.text._ZN7rocprim17ROCPRIM_400000_NS6detail17trampoline_kernelINS0_14default_configENS1_20scan_config_selectorIiEEZZNS1_9scan_implILNS1_25lookback_scan_determinismE0ELb1ELb1ES3_N6thrust23THRUST_200600_302600_NS6detail15normal_iteratorINS9_10device_ptrIiEEEESE_iNS9_4plusIiEEiEEDaPvRmT3_T4_T5_mT6_P12ihipStream_tbENKUlT_T0_E_clISt17integral_constantIbLb1EEST_IbLb0EEEEDaSP_SQ_EUlSP_E0_NS1_11comp_targetILNS1_3genE10ELNS1_11target_archE1201ELNS1_3gpuE5ELNS1_3repE0EEENS1_30default_config_static_selectorELNS0_4arch9wavefront6targetE1EEEvT1_,"axG",@progbits,_ZN7rocprim17ROCPRIM_400000_NS6detail17trampoline_kernelINS0_14default_configENS1_20scan_config_selectorIiEEZZNS1_9scan_implILNS1_25lookback_scan_determinismE0ELb1ELb1ES3_N6thrust23THRUST_200600_302600_NS6detail15normal_iteratorINS9_10device_ptrIiEEEESE_iNS9_4plusIiEEiEEDaPvRmT3_T4_T5_mT6_P12ihipStream_tbENKUlT_T0_E_clISt17integral_constantIbLb1EEST_IbLb0EEEEDaSP_SQ_EUlSP_E0_NS1_11comp_targetILNS1_3genE10ELNS1_11target_archE1201ELNS1_3gpuE5ELNS1_3repE0EEENS1_30default_config_static_selectorELNS0_4arch9wavefront6targetE1EEEvT1_,comdat
	.protected	_ZN7rocprim17ROCPRIM_400000_NS6detail17trampoline_kernelINS0_14default_configENS1_20scan_config_selectorIiEEZZNS1_9scan_implILNS1_25lookback_scan_determinismE0ELb1ELb1ES3_N6thrust23THRUST_200600_302600_NS6detail15normal_iteratorINS9_10device_ptrIiEEEESE_iNS9_4plusIiEEiEEDaPvRmT3_T4_T5_mT6_P12ihipStream_tbENKUlT_T0_E_clISt17integral_constantIbLb1EEST_IbLb0EEEEDaSP_SQ_EUlSP_E0_NS1_11comp_targetILNS1_3genE10ELNS1_11target_archE1201ELNS1_3gpuE5ELNS1_3repE0EEENS1_30default_config_static_selectorELNS0_4arch9wavefront6targetE1EEEvT1_ ; -- Begin function _ZN7rocprim17ROCPRIM_400000_NS6detail17trampoline_kernelINS0_14default_configENS1_20scan_config_selectorIiEEZZNS1_9scan_implILNS1_25lookback_scan_determinismE0ELb1ELb1ES3_N6thrust23THRUST_200600_302600_NS6detail15normal_iteratorINS9_10device_ptrIiEEEESE_iNS9_4plusIiEEiEEDaPvRmT3_T4_T5_mT6_P12ihipStream_tbENKUlT_T0_E_clISt17integral_constantIbLb1EEST_IbLb0EEEEDaSP_SQ_EUlSP_E0_NS1_11comp_targetILNS1_3genE10ELNS1_11target_archE1201ELNS1_3gpuE5ELNS1_3repE0EEENS1_30default_config_static_selectorELNS0_4arch9wavefront6targetE1EEEvT1_
	.globl	_ZN7rocprim17ROCPRIM_400000_NS6detail17trampoline_kernelINS0_14default_configENS1_20scan_config_selectorIiEEZZNS1_9scan_implILNS1_25lookback_scan_determinismE0ELb1ELb1ES3_N6thrust23THRUST_200600_302600_NS6detail15normal_iteratorINS9_10device_ptrIiEEEESE_iNS9_4plusIiEEiEEDaPvRmT3_T4_T5_mT6_P12ihipStream_tbENKUlT_T0_E_clISt17integral_constantIbLb1EEST_IbLb0EEEEDaSP_SQ_EUlSP_E0_NS1_11comp_targetILNS1_3genE10ELNS1_11target_archE1201ELNS1_3gpuE5ELNS1_3repE0EEENS1_30default_config_static_selectorELNS0_4arch9wavefront6targetE1EEEvT1_
	.p2align	8
	.type	_ZN7rocprim17ROCPRIM_400000_NS6detail17trampoline_kernelINS0_14default_configENS1_20scan_config_selectorIiEEZZNS1_9scan_implILNS1_25lookback_scan_determinismE0ELb1ELb1ES3_N6thrust23THRUST_200600_302600_NS6detail15normal_iteratorINS9_10device_ptrIiEEEESE_iNS9_4plusIiEEiEEDaPvRmT3_T4_T5_mT6_P12ihipStream_tbENKUlT_T0_E_clISt17integral_constantIbLb1EEST_IbLb0EEEEDaSP_SQ_EUlSP_E0_NS1_11comp_targetILNS1_3genE10ELNS1_11target_archE1201ELNS1_3gpuE5ELNS1_3repE0EEENS1_30default_config_static_selectorELNS0_4arch9wavefront6targetE1EEEvT1_,@function
_ZN7rocprim17ROCPRIM_400000_NS6detail17trampoline_kernelINS0_14default_configENS1_20scan_config_selectorIiEEZZNS1_9scan_implILNS1_25lookback_scan_determinismE0ELb1ELb1ES3_N6thrust23THRUST_200600_302600_NS6detail15normal_iteratorINS9_10device_ptrIiEEEESE_iNS9_4plusIiEEiEEDaPvRmT3_T4_T5_mT6_P12ihipStream_tbENKUlT_T0_E_clISt17integral_constantIbLb1EEST_IbLb0EEEEDaSP_SQ_EUlSP_E0_NS1_11comp_targetILNS1_3genE10ELNS1_11target_archE1201ELNS1_3gpuE5ELNS1_3repE0EEENS1_30default_config_static_selectorELNS0_4arch9wavefront6targetE1EEEvT1_: ; @_ZN7rocprim17ROCPRIM_400000_NS6detail17trampoline_kernelINS0_14default_configENS1_20scan_config_selectorIiEEZZNS1_9scan_implILNS1_25lookback_scan_determinismE0ELb1ELb1ES3_N6thrust23THRUST_200600_302600_NS6detail15normal_iteratorINS9_10device_ptrIiEEEESE_iNS9_4plusIiEEiEEDaPvRmT3_T4_T5_mT6_P12ihipStream_tbENKUlT_T0_E_clISt17integral_constantIbLb1EEST_IbLb0EEEEDaSP_SQ_EUlSP_E0_NS1_11comp_targetILNS1_3genE10ELNS1_11target_archE1201ELNS1_3gpuE5ELNS1_3repE0EEENS1_30default_config_static_selectorELNS0_4arch9wavefront6targetE1EEEvT1_
; %bb.0:
	.section	.rodata,"a",@progbits
	.p2align	6, 0x0
	.amdhsa_kernel _ZN7rocprim17ROCPRIM_400000_NS6detail17trampoline_kernelINS0_14default_configENS1_20scan_config_selectorIiEEZZNS1_9scan_implILNS1_25lookback_scan_determinismE0ELb1ELb1ES3_N6thrust23THRUST_200600_302600_NS6detail15normal_iteratorINS9_10device_ptrIiEEEESE_iNS9_4plusIiEEiEEDaPvRmT3_T4_T5_mT6_P12ihipStream_tbENKUlT_T0_E_clISt17integral_constantIbLb1EEST_IbLb0EEEEDaSP_SQ_EUlSP_E0_NS1_11comp_targetILNS1_3genE10ELNS1_11target_archE1201ELNS1_3gpuE5ELNS1_3repE0EEENS1_30default_config_static_selectorELNS0_4arch9wavefront6targetE1EEEvT1_
		.amdhsa_group_segment_fixed_size 0
		.amdhsa_private_segment_fixed_size 0
		.amdhsa_kernarg_size 32
		.amdhsa_user_sgpr_count 6
		.amdhsa_user_sgpr_private_segment_buffer 1
		.amdhsa_user_sgpr_dispatch_ptr 0
		.amdhsa_user_sgpr_queue_ptr 0
		.amdhsa_user_sgpr_kernarg_segment_ptr 1
		.amdhsa_user_sgpr_dispatch_id 0
		.amdhsa_user_sgpr_flat_scratch_init 0
		.amdhsa_user_sgpr_kernarg_preload_length 0
		.amdhsa_user_sgpr_kernarg_preload_offset 0
		.amdhsa_user_sgpr_private_segment_size 0
		.amdhsa_uses_dynamic_stack 0
		.amdhsa_system_sgpr_private_segment_wavefront_offset 0
		.amdhsa_system_sgpr_workgroup_id_x 1
		.amdhsa_system_sgpr_workgroup_id_y 0
		.amdhsa_system_sgpr_workgroup_id_z 0
		.amdhsa_system_sgpr_workgroup_info 0
		.amdhsa_system_vgpr_workitem_id 0
		.amdhsa_next_free_vgpr 1
		.amdhsa_next_free_sgpr 0
		.amdhsa_accum_offset 4
		.amdhsa_reserve_vcc 0
		.amdhsa_reserve_flat_scratch 0
		.amdhsa_float_round_mode_32 0
		.amdhsa_float_round_mode_16_64 0
		.amdhsa_float_denorm_mode_32 3
		.amdhsa_float_denorm_mode_16_64 3
		.amdhsa_dx10_clamp 1
		.amdhsa_ieee_mode 1
		.amdhsa_fp16_overflow 0
		.amdhsa_tg_split 0
		.amdhsa_exception_fp_ieee_invalid_op 0
		.amdhsa_exception_fp_denorm_src 0
		.amdhsa_exception_fp_ieee_div_zero 0
		.amdhsa_exception_fp_ieee_overflow 0
		.amdhsa_exception_fp_ieee_underflow 0
		.amdhsa_exception_fp_ieee_inexact 0
		.amdhsa_exception_int_div_zero 0
	.end_amdhsa_kernel
	.section	.text._ZN7rocprim17ROCPRIM_400000_NS6detail17trampoline_kernelINS0_14default_configENS1_20scan_config_selectorIiEEZZNS1_9scan_implILNS1_25lookback_scan_determinismE0ELb1ELb1ES3_N6thrust23THRUST_200600_302600_NS6detail15normal_iteratorINS9_10device_ptrIiEEEESE_iNS9_4plusIiEEiEEDaPvRmT3_T4_T5_mT6_P12ihipStream_tbENKUlT_T0_E_clISt17integral_constantIbLb1EEST_IbLb0EEEEDaSP_SQ_EUlSP_E0_NS1_11comp_targetILNS1_3genE10ELNS1_11target_archE1201ELNS1_3gpuE5ELNS1_3repE0EEENS1_30default_config_static_selectorELNS0_4arch9wavefront6targetE1EEEvT1_,"axG",@progbits,_ZN7rocprim17ROCPRIM_400000_NS6detail17trampoline_kernelINS0_14default_configENS1_20scan_config_selectorIiEEZZNS1_9scan_implILNS1_25lookback_scan_determinismE0ELb1ELb1ES3_N6thrust23THRUST_200600_302600_NS6detail15normal_iteratorINS9_10device_ptrIiEEEESE_iNS9_4plusIiEEiEEDaPvRmT3_T4_T5_mT6_P12ihipStream_tbENKUlT_T0_E_clISt17integral_constantIbLb1EEST_IbLb0EEEEDaSP_SQ_EUlSP_E0_NS1_11comp_targetILNS1_3genE10ELNS1_11target_archE1201ELNS1_3gpuE5ELNS1_3repE0EEENS1_30default_config_static_selectorELNS0_4arch9wavefront6targetE1EEEvT1_,comdat
.Lfunc_end710:
	.size	_ZN7rocprim17ROCPRIM_400000_NS6detail17trampoline_kernelINS0_14default_configENS1_20scan_config_selectorIiEEZZNS1_9scan_implILNS1_25lookback_scan_determinismE0ELb1ELb1ES3_N6thrust23THRUST_200600_302600_NS6detail15normal_iteratorINS9_10device_ptrIiEEEESE_iNS9_4plusIiEEiEEDaPvRmT3_T4_T5_mT6_P12ihipStream_tbENKUlT_T0_E_clISt17integral_constantIbLb1EEST_IbLb0EEEEDaSP_SQ_EUlSP_E0_NS1_11comp_targetILNS1_3genE10ELNS1_11target_archE1201ELNS1_3gpuE5ELNS1_3repE0EEENS1_30default_config_static_selectorELNS0_4arch9wavefront6targetE1EEEvT1_, .Lfunc_end710-_ZN7rocprim17ROCPRIM_400000_NS6detail17trampoline_kernelINS0_14default_configENS1_20scan_config_selectorIiEEZZNS1_9scan_implILNS1_25lookback_scan_determinismE0ELb1ELb1ES3_N6thrust23THRUST_200600_302600_NS6detail15normal_iteratorINS9_10device_ptrIiEEEESE_iNS9_4plusIiEEiEEDaPvRmT3_T4_T5_mT6_P12ihipStream_tbENKUlT_T0_E_clISt17integral_constantIbLb1EEST_IbLb0EEEEDaSP_SQ_EUlSP_E0_NS1_11comp_targetILNS1_3genE10ELNS1_11target_archE1201ELNS1_3gpuE5ELNS1_3repE0EEENS1_30default_config_static_selectorELNS0_4arch9wavefront6targetE1EEEvT1_
                                        ; -- End function
	.section	.AMDGPU.csdata,"",@progbits
; Kernel info:
; codeLenInByte = 0
; NumSgprs: 4
; NumVgprs: 0
; NumAgprs: 0
; TotalNumVgprs: 0
; ScratchSize: 0
; MemoryBound: 0
; FloatMode: 240
; IeeeMode: 1
; LDSByteSize: 0 bytes/workgroup (compile time only)
; SGPRBlocks: 0
; VGPRBlocks: 0
; NumSGPRsForWavesPerEU: 4
; NumVGPRsForWavesPerEU: 1
; AccumOffset: 4
; Occupancy: 8
; WaveLimiterHint : 0
; COMPUTE_PGM_RSRC2:SCRATCH_EN: 0
; COMPUTE_PGM_RSRC2:USER_SGPR: 6
; COMPUTE_PGM_RSRC2:TRAP_HANDLER: 0
; COMPUTE_PGM_RSRC2:TGID_X_EN: 1
; COMPUTE_PGM_RSRC2:TGID_Y_EN: 0
; COMPUTE_PGM_RSRC2:TGID_Z_EN: 0
; COMPUTE_PGM_RSRC2:TIDIG_COMP_CNT: 0
; COMPUTE_PGM_RSRC3_GFX90A:ACCUM_OFFSET: 0
; COMPUTE_PGM_RSRC3_GFX90A:TG_SPLIT: 0
	.section	.text._ZN7rocprim17ROCPRIM_400000_NS6detail17trampoline_kernelINS0_14default_configENS1_20scan_config_selectorIiEEZZNS1_9scan_implILNS1_25lookback_scan_determinismE0ELb1ELb1ES3_N6thrust23THRUST_200600_302600_NS6detail15normal_iteratorINS9_10device_ptrIiEEEESE_iNS9_4plusIiEEiEEDaPvRmT3_T4_T5_mT6_P12ihipStream_tbENKUlT_T0_E_clISt17integral_constantIbLb1EEST_IbLb0EEEEDaSP_SQ_EUlSP_E0_NS1_11comp_targetILNS1_3genE10ELNS1_11target_archE1200ELNS1_3gpuE4ELNS1_3repE0EEENS1_30default_config_static_selectorELNS0_4arch9wavefront6targetE1EEEvT1_,"axG",@progbits,_ZN7rocprim17ROCPRIM_400000_NS6detail17trampoline_kernelINS0_14default_configENS1_20scan_config_selectorIiEEZZNS1_9scan_implILNS1_25lookback_scan_determinismE0ELb1ELb1ES3_N6thrust23THRUST_200600_302600_NS6detail15normal_iteratorINS9_10device_ptrIiEEEESE_iNS9_4plusIiEEiEEDaPvRmT3_T4_T5_mT6_P12ihipStream_tbENKUlT_T0_E_clISt17integral_constantIbLb1EEST_IbLb0EEEEDaSP_SQ_EUlSP_E0_NS1_11comp_targetILNS1_3genE10ELNS1_11target_archE1200ELNS1_3gpuE4ELNS1_3repE0EEENS1_30default_config_static_selectorELNS0_4arch9wavefront6targetE1EEEvT1_,comdat
	.protected	_ZN7rocprim17ROCPRIM_400000_NS6detail17trampoline_kernelINS0_14default_configENS1_20scan_config_selectorIiEEZZNS1_9scan_implILNS1_25lookback_scan_determinismE0ELb1ELb1ES3_N6thrust23THRUST_200600_302600_NS6detail15normal_iteratorINS9_10device_ptrIiEEEESE_iNS9_4plusIiEEiEEDaPvRmT3_T4_T5_mT6_P12ihipStream_tbENKUlT_T0_E_clISt17integral_constantIbLb1EEST_IbLb0EEEEDaSP_SQ_EUlSP_E0_NS1_11comp_targetILNS1_3genE10ELNS1_11target_archE1200ELNS1_3gpuE4ELNS1_3repE0EEENS1_30default_config_static_selectorELNS0_4arch9wavefront6targetE1EEEvT1_ ; -- Begin function _ZN7rocprim17ROCPRIM_400000_NS6detail17trampoline_kernelINS0_14default_configENS1_20scan_config_selectorIiEEZZNS1_9scan_implILNS1_25lookback_scan_determinismE0ELb1ELb1ES3_N6thrust23THRUST_200600_302600_NS6detail15normal_iteratorINS9_10device_ptrIiEEEESE_iNS9_4plusIiEEiEEDaPvRmT3_T4_T5_mT6_P12ihipStream_tbENKUlT_T0_E_clISt17integral_constantIbLb1EEST_IbLb0EEEEDaSP_SQ_EUlSP_E0_NS1_11comp_targetILNS1_3genE10ELNS1_11target_archE1200ELNS1_3gpuE4ELNS1_3repE0EEENS1_30default_config_static_selectorELNS0_4arch9wavefront6targetE1EEEvT1_
	.globl	_ZN7rocprim17ROCPRIM_400000_NS6detail17trampoline_kernelINS0_14default_configENS1_20scan_config_selectorIiEEZZNS1_9scan_implILNS1_25lookback_scan_determinismE0ELb1ELb1ES3_N6thrust23THRUST_200600_302600_NS6detail15normal_iteratorINS9_10device_ptrIiEEEESE_iNS9_4plusIiEEiEEDaPvRmT3_T4_T5_mT6_P12ihipStream_tbENKUlT_T0_E_clISt17integral_constantIbLb1EEST_IbLb0EEEEDaSP_SQ_EUlSP_E0_NS1_11comp_targetILNS1_3genE10ELNS1_11target_archE1200ELNS1_3gpuE4ELNS1_3repE0EEENS1_30default_config_static_selectorELNS0_4arch9wavefront6targetE1EEEvT1_
	.p2align	8
	.type	_ZN7rocprim17ROCPRIM_400000_NS6detail17trampoline_kernelINS0_14default_configENS1_20scan_config_selectorIiEEZZNS1_9scan_implILNS1_25lookback_scan_determinismE0ELb1ELb1ES3_N6thrust23THRUST_200600_302600_NS6detail15normal_iteratorINS9_10device_ptrIiEEEESE_iNS9_4plusIiEEiEEDaPvRmT3_T4_T5_mT6_P12ihipStream_tbENKUlT_T0_E_clISt17integral_constantIbLb1EEST_IbLb0EEEEDaSP_SQ_EUlSP_E0_NS1_11comp_targetILNS1_3genE10ELNS1_11target_archE1200ELNS1_3gpuE4ELNS1_3repE0EEENS1_30default_config_static_selectorELNS0_4arch9wavefront6targetE1EEEvT1_,@function
_ZN7rocprim17ROCPRIM_400000_NS6detail17trampoline_kernelINS0_14default_configENS1_20scan_config_selectorIiEEZZNS1_9scan_implILNS1_25lookback_scan_determinismE0ELb1ELb1ES3_N6thrust23THRUST_200600_302600_NS6detail15normal_iteratorINS9_10device_ptrIiEEEESE_iNS9_4plusIiEEiEEDaPvRmT3_T4_T5_mT6_P12ihipStream_tbENKUlT_T0_E_clISt17integral_constantIbLb1EEST_IbLb0EEEEDaSP_SQ_EUlSP_E0_NS1_11comp_targetILNS1_3genE10ELNS1_11target_archE1200ELNS1_3gpuE4ELNS1_3repE0EEENS1_30default_config_static_selectorELNS0_4arch9wavefront6targetE1EEEvT1_: ; @_ZN7rocprim17ROCPRIM_400000_NS6detail17trampoline_kernelINS0_14default_configENS1_20scan_config_selectorIiEEZZNS1_9scan_implILNS1_25lookback_scan_determinismE0ELb1ELb1ES3_N6thrust23THRUST_200600_302600_NS6detail15normal_iteratorINS9_10device_ptrIiEEEESE_iNS9_4plusIiEEiEEDaPvRmT3_T4_T5_mT6_P12ihipStream_tbENKUlT_T0_E_clISt17integral_constantIbLb1EEST_IbLb0EEEEDaSP_SQ_EUlSP_E0_NS1_11comp_targetILNS1_3genE10ELNS1_11target_archE1200ELNS1_3gpuE4ELNS1_3repE0EEENS1_30default_config_static_selectorELNS0_4arch9wavefront6targetE1EEEvT1_
; %bb.0:
	.section	.rodata,"a",@progbits
	.p2align	6, 0x0
	.amdhsa_kernel _ZN7rocprim17ROCPRIM_400000_NS6detail17trampoline_kernelINS0_14default_configENS1_20scan_config_selectorIiEEZZNS1_9scan_implILNS1_25lookback_scan_determinismE0ELb1ELb1ES3_N6thrust23THRUST_200600_302600_NS6detail15normal_iteratorINS9_10device_ptrIiEEEESE_iNS9_4plusIiEEiEEDaPvRmT3_T4_T5_mT6_P12ihipStream_tbENKUlT_T0_E_clISt17integral_constantIbLb1EEST_IbLb0EEEEDaSP_SQ_EUlSP_E0_NS1_11comp_targetILNS1_3genE10ELNS1_11target_archE1200ELNS1_3gpuE4ELNS1_3repE0EEENS1_30default_config_static_selectorELNS0_4arch9wavefront6targetE1EEEvT1_
		.amdhsa_group_segment_fixed_size 0
		.amdhsa_private_segment_fixed_size 0
		.amdhsa_kernarg_size 32
		.amdhsa_user_sgpr_count 6
		.amdhsa_user_sgpr_private_segment_buffer 1
		.amdhsa_user_sgpr_dispatch_ptr 0
		.amdhsa_user_sgpr_queue_ptr 0
		.amdhsa_user_sgpr_kernarg_segment_ptr 1
		.amdhsa_user_sgpr_dispatch_id 0
		.amdhsa_user_sgpr_flat_scratch_init 0
		.amdhsa_user_sgpr_kernarg_preload_length 0
		.amdhsa_user_sgpr_kernarg_preload_offset 0
		.amdhsa_user_sgpr_private_segment_size 0
		.amdhsa_uses_dynamic_stack 0
		.amdhsa_system_sgpr_private_segment_wavefront_offset 0
		.amdhsa_system_sgpr_workgroup_id_x 1
		.amdhsa_system_sgpr_workgroup_id_y 0
		.amdhsa_system_sgpr_workgroup_id_z 0
		.amdhsa_system_sgpr_workgroup_info 0
		.amdhsa_system_vgpr_workitem_id 0
		.amdhsa_next_free_vgpr 1
		.amdhsa_next_free_sgpr 0
		.amdhsa_accum_offset 4
		.amdhsa_reserve_vcc 0
		.amdhsa_reserve_flat_scratch 0
		.amdhsa_float_round_mode_32 0
		.amdhsa_float_round_mode_16_64 0
		.amdhsa_float_denorm_mode_32 3
		.amdhsa_float_denorm_mode_16_64 3
		.amdhsa_dx10_clamp 1
		.amdhsa_ieee_mode 1
		.amdhsa_fp16_overflow 0
		.amdhsa_tg_split 0
		.amdhsa_exception_fp_ieee_invalid_op 0
		.amdhsa_exception_fp_denorm_src 0
		.amdhsa_exception_fp_ieee_div_zero 0
		.amdhsa_exception_fp_ieee_overflow 0
		.amdhsa_exception_fp_ieee_underflow 0
		.amdhsa_exception_fp_ieee_inexact 0
		.amdhsa_exception_int_div_zero 0
	.end_amdhsa_kernel
	.section	.text._ZN7rocprim17ROCPRIM_400000_NS6detail17trampoline_kernelINS0_14default_configENS1_20scan_config_selectorIiEEZZNS1_9scan_implILNS1_25lookback_scan_determinismE0ELb1ELb1ES3_N6thrust23THRUST_200600_302600_NS6detail15normal_iteratorINS9_10device_ptrIiEEEESE_iNS9_4plusIiEEiEEDaPvRmT3_T4_T5_mT6_P12ihipStream_tbENKUlT_T0_E_clISt17integral_constantIbLb1EEST_IbLb0EEEEDaSP_SQ_EUlSP_E0_NS1_11comp_targetILNS1_3genE10ELNS1_11target_archE1200ELNS1_3gpuE4ELNS1_3repE0EEENS1_30default_config_static_selectorELNS0_4arch9wavefront6targetE1EEEvT1_,"axG",@progbits,_ZN7rocprim17ROCPRIM_400000_NS6detail17trampoline_kernelINS0_14default_configENS1_20scan_config_selectorIiEEZZNS1_9scan_implILNS1_25lookback_scan_determinismE0ELb1ELb1ES3_N6thrust23THRUST_200600_302600_NS6detail15normal_iteratorINS9_10device_ptrIiEEEESE_iNS9_4plusIiEEiEEDaPvRmT3_T4_T5_mT6_P12ihipStream_tbENKUlT_T0_E_clISt17integral_constantIbLb1EEST_IbLb0EEEEDaSP_SQ_EUlSP_E0_NS1_11comp_targetILNS1_3genE10ELNS1_11target_archE1200ELNS1_3gpuE4ELNS1_3repE0EEENS1_30default_config_static_selectorELNS0_4arch9wavefront6targetE1EEEvT1_,comdat
.Lfunc_end711:
	.size	_ZN7rocprim17ROCPRIM_400000_NS6detail17trampoline_kernelINS0_14default_configENS1_20scan_config_selectorIiEEZZNS1_9scan_implILNS1_25lookback_scan_determinismE0ELb1ELb1ES3_N6thrust23THRUST_200600_302600_NS6detail15normal_iteratorINS9_10device_ptrIiEEEESE_iNS9_4plusIiEEiEEDaPvRmT3_T4_T5_mT6_P12ihipStream_tbENKUlT_T0_E_clISt17integral_constantIbLb1EEST_IbLb0EEEEDaSP_SQ_EUlSP_E0_NS1_11comp_targetILNS1_3genE10ELNS1_11target_archE1200ELNS1_3gpuE4ELNS1_3repE0EEENS1_30default_config_static_selectorELNS0_4arch9wavefront6targetE1EEEvT1_, .Lfunc_end711-_ZN7rocprim17ROCPRIM_400000_NS6detail17trampoline_kernelINS0_14default_configENS1_20scan_config_selectorIiEEZZNS1_9scan_implILNS1_25lookback_scan_determinismE0ELb1ELb1ES3_N6thrust23THRUST_200600_302600_NS6detail15normal_iteratorINS9_10device_ptrIiEEEESE_iNS9_4plusIiEEiEEDaPvRmT3_T4_T5_mT6_P12ihipStream_tbENKUlT_T0_E_clISt17integral_constantIbLb1EEST_IbLb0EEEEDaSP_SQ_EUlSP_E0_NS1_11comp_targetILNS1_3genE10ELNS1_11target_archE1200ELNS1_3gpuE4ELNS1_3repE0EEENS1_30default_config_static_selectorELNS0_4arch9wavefront6targetE1EEEvT1_
                                        ; -- End function
	.section	.AMDGPU.csdata,"",@progbits
; Kernel info:
; codeLenInByte = 0
; NumSgprs: 4
; NumVgprs: 0
; NumAgprs: 0
; TotalNumVgprs: 0
; ScratchSize: 0
; MemoryBound: 0
; FloatMode: 240
; IeeeMode: 1
; LDSByteSize: 0 bytes/workgroup (compile time only)
; SGPRBlocks: 0
; VGPRBlocks: 0
; NumSGPRsForWavesPerEU: 4
; NumVGPRsForWavesPerEU: 1
; AccumOffset: 4
; Occupancy: 8
; WaveLimiterHint : 0
; COMPUTE_PGM_RSRC2:SCRATCH_EN: 0
; COMPUTE_PGM_RSRC2:USER_SGPR: 6
; COMPUTE_PGM_RSRC2:TRAP_HANDLER: 0
; COMPUTE_PGM_RSRC2:TGID_X_EN: 1
; COMPUTE_PGM_RSRC2:TGID_Y_EN: 0
; COMPUTE_PGM_RSRC2:TGID_Z_EN: 0
; COMPUTE_PGM_RSRC2:TIDIG_COMP_CNT: 0
; COMPUTE_PGM_RSRC3_GFX90A:ACCUM_OFFSET: 0
; COMPUTE_PGM_RSRC3_GFX90A:TG_SPLIT: 0
	.section	.text._ZN7rocprim17ROCPRIM_400000_NS6detail17trampoline_kernelINS0_14default_configENS1_20scan_config_selectorIiEEZZNS1_9scan_implILNS1_25lookback_scan_determinismE0ELb1ELb1ES3_N6thrust23THRUST_200600_302600_NS6detail15normal_iteratorINS9_10device_ptrIiEEEESE_iNS9_4plusIiEEiEEDaPvRmT3_T4_T5_mT6_P12ihipStream_tbENKUlT_T0_E_clISt17integral_constantIbLb1EEST_IbLb0EEEEDaSP_SQ_EUlSP_E0_NS1_11comp_targetILNS1_3genE9ELNS1_11target_archE1100ELNS1_3gpuE3ELNS1_3repE0EEENS1_30default_config_static_selectorELNS0_4arch9wavefront6targetE1EEEvT1_,"axG",@progbits,_ZN7rocprim17ROCPRIM_400000_NS6detail17trampoline_kernelINS0_14default_configENS1_20scan_config_selectorIiEEZZNS1_9scan_implILNS1_25lookback_scan_determinismE0ELb1ELb1ES3_N6thrust23THRUST_200600_302600_NS6detail15normal_iteratorINS9_10device_ptrIiEEEESE_iNS9_4plusIiEEiEEDaPvRmT3_T4_T5_mT6_P12ihipStream_tbENKUlT_T0_E_clISt17integral_constantIbLb1EEST_IbLb0EEEEDaSP_SQ_EUlSP_E0_NS1_11comp_targetILNS1_3genE9ELNS1_11target_archE1100ELNS1_3gpuE3ELNS1_3repE0EEENS1_30default_config_static_selectorELNS0_4arch9wavefront6targetE1EEEvT1_,comdat
	.protected	_ZN7rocprim17ROCPRIM_400000_NS6detail17trampoline_kernelINS0_14default_configENS1_20scan_config_selectorIiEEZZNS1_9scan_implILNS1_25lookback_scan_determinismE0ELb1ELb1ES3_N6thrust23THRUST_200600_302600_NS6detail15normal_iteratorINS9_10device_ptrIiEEEESE_iNS9_4plusIiEEiEEDaPvRmT3_T4_T5_mT6_P12ihipStream_tbENKUlT_T0_E_clISt17integral_constantIbLb1EEST_IbLb0EEEEDaSP_SQ_EUlSP_E0_NS1_11comp_targetILNS1_3genE9ELNS1_11target_archE1100ELNS1_3gpuE3ELNS1_3repE0EEENS1_30default_config_static_selectorELNS0_4arch9wavefront6targetE1EEEvT1_ ; -- Begin function _ZN7rocprim17ROCPRIM_400000_NS6detail17trampoline_kernelINS0_14default_configENS1_20scan_config_selectorIiEEZZNS1_9scan_implILNS1_25lookback_scan_determinismE0ELb1ELb1ES3_N6thrust23THRUST_200600_302600_NS6detail15normal_iteratorINS9_10device_ptrIiEEEESE_iNS9_4plusIiEEiEEDaPvRmT3_T4_T5_mT6_P12ihipStream_tbENKUlT_T0_E_clISt17integral_constantIbLb1EEST_IbLb0EEEEDaSP_SQ_EUlSP_E0_NS1_11comp_targetILNS1_3genE9ELNS1_11target_archE1100ELNS1_3gpuE3ELNS1_3repE0EEENS1_30default_config_static_selectorELNS0_4arch9wavefront6targetE1EEEvT1_
	.globl	_ZN7rocprim17ROCPRIM_400000_NS6detail17trampoline_kernelINS0_14default_configENS1_20scan_config_selectorIiEEZZNS1_9scan_implILNS1_25lookback_scan_determinismE0ELb1ELb1ES3_N6thrust23THRUST_200600_302600_NS6detail15normal_iteratorINS9_10device_ptrIiEEEESE_iNS9_4plusIiEEiEEDaPvRmT3_T4_T5_mT6_P12ihipStream_tbENKUlT_T0_E_clISt17integral_constantIbLb1EEST_IbLb0EEEEDaSP_SQ_EUlSP_E0_NS1_11comp_targetILNS1_3genE9ELNS1_11target_archE1100ELNS1_3gpuE3ELNS1_3repE0EEENS1_30default_config_static_selectorELNS0_4arch9wavefront6targetE1EEEvT1_
	.p2align	8
	.type	_ZN7rocprim17ROCPRIM_400000_NS6detail17trampoline_kernelINS0_14default_configENS1_20scan_config_selectorIiEEZZNS1_9scan_implILNS1_25lookback_scan_determinismE0ELb1ELb1ES3_N6thrust23THRUST_200600_302600_NS6detail15normal_iteratorINS9_10device_ptrIiEEEESE_iNS9_4plusIiEEiEEDaPvRmT3_T4_T5_mT6_P12ihipStream_tbENKUlT_T0_E_clISt17integral_constantIbLb1EEST_IbLb0EEEEDaSP_SQ_EUlSP_E0_NS1_11comp_targetILNS1_3genE9ELNS1_11target_archE1100ELNS1_3gpuE3ELNS1_3repE0EEENS1_30default_config_static_selectorELNS0_4arch9wavefront6targetE1EEEvT1_,@function
_ZN7rocprim17ROCPRIM_400000_NS6detail17trampoline_kernelINS0_14default_configENS1_20scan_config_selectorIiEEZZNS1_9scan_implILNS1_25lookback_scan_determinismE0ELb1ELb1ES3_N6thrust23THRUST_200600_302600_NS6detail15normal_iteratorINS9_10device_ptrIiEEEESE_iNS9_4plusIiEEiEEDaPvRmT3_T4_T5_mT6_P12ihipStream_tbENKUlT_T0_E_clISt17integral_constantIbLb1EEST_IbLb0EEEEDaSP_SQ_EUlSP_E0_NS1_11comp_targetILNS1_3genE9ELNS1_11target_archE1100ELNS1_3gpuE3ELNS1_3repE0EEENS1_30default_config_static_selectorELNS0_4arch9wavefront6targetE1EEEvT1_: ; @_ZN7rocprim17ROCPRIM_400000_NS6detail17trampoline_kernelINS0_14default_configENS1_20scan_config_selectorIiEEZZNS1_9scan_implILNS1_25lookback_scan_determinismE0ELb1ELb1ES3_N6thrust23THRUST_200600_302600_NS6detail15normal_iteratorINS9_10device_ptrIiEEEESE_iNS9_4plusIiEEiEEDaPvRmT3_T4_T5_mT6_P12ihipStream_tbENKUlT_T0_E_clISt17integral_constantIbLb1EEST_IbLb0EEEEDaSP_SQ_EUlSP_E0_NS1_11comp_targetILNS1_3genE9ELNS1_11target_archE1100ELNS1_3gpuE3ELNS1_3repE0EEENS1_30default_config_static_selectorELNS0_4arch9wavefront6targetE1EEEvT1_
; %bb.0:
	.section	.rodata,"a",@progbits
	.p2align	6, 0x0
	.amdhsa_kernel _ZN7rocprim17ROCPRIM_400000_NS6detail17trampoline_kernelINS0_14default_configENS1_20scan_config_selectorIiEEZZNS1_9scan_implILNS1_25lookback_scan_determinismE0ELb1ELb1ES3_N6thrust23THRUST_200600_302600_NS6detail15normal_iteratorINS9_10device_ptrIiEEEESE_iNS9_4plusIiEEiEEDaPvRmT3_T4_T5_mT6_P12ihipStream_tbENKUlT_T0_E_clISt17integral_constantIbLb1EEST_IbLb0EEEEDaSP_SQ_EUlSP_E0_NS1_11comp_targetILNS1_3genE9ELNS1_11target_archE1100ELNS1_3gpuE3ELNS1_3repE0EEENS1_30default_config_static_selectorELNS0_4arch9wavefront6targetE1EEEvT1_
		.amdhsa_group_segment_fixed_size 0
		.amdhsa_private_segment_fixed_size 0
		.amdhsa_kernarg_size 32
		.amdhsa_user_sgpr_count 6
		.amdhsa_user_sgpr_private_segment_buffer 1
		.amdhsa_user_sgpr_dispatch_ptr 0
		.amdhsa_user_sgpr_queue_ptr 0
		.amdhsa_user_sgpr_kernarg_segment_ptr 1
		.amdhsa_user_sgpr_dispatch_id 0
		.amdhsa_user_sgpr_flat_scratch_init 0
		.amdhsa_user_sgpr_kernarg_preload_length 0
		.amdhsa_user_sgpr_kernarg_preload_offset 0
		.amdhsa_user_sgpr_private_segment_size 0
		.amdhsa_uses_dynamic_stack 0
		.amdhsa_system_sgpr_private_segment_wavefront_offset 0
		.amdhsa_system_sgpr_workgroup_id_x 1
		.amdhsa_system_sgpr_workgroup_id_y 0
		.amdhsa_system_sgpr_workgroup_id_z 0
		.amdhsa_system_sgpr_workgroup_info 0
		.amdhsa_system_vgpr_workitem_id 0
		.amdhsa_next_free_vgpr 1
		.amdhsa_next_free_sgpr 0
		.amdhsa_accum_offset 4
		.amdhsa_reserve_vcc 0
		.amdhsa_reserve_flat_scratch 0
		.amdhsa_float_round_mode_32 0
		.amdhsa_float_round_mode_16_64 0
		.amdhsa_float_denorm_mode_32 3
		.amdhsa_float_denorm_mode_16_64 3
		.amdhsa_dx10_clamp 1
		.amdhsa_ieee_mode 1
		.amdhsa_fp16_overflow 0
		.amdhsa_tg_split 0
		.amdhsa_exception_fp_ieee_invalid_op 0
		.amdhsa_exception_fp_denorm_src 0
		.amdhsa_exception_fp_ieee_div_zero 0
		.amdhsa_exception_fp_ieee_overflow 0
		.amdhsa_exception_fp_ieee_underflow 0
		.amdhsa_exception_fp_ieee_inexact 0
		.amdhsa_exception_int_div_zero 0
	.end_amdhsa_kernel
	.section	.text._ZN7rocprim17ROCPRIM_400000_NS6detail17trampoline_kernelINS0_14default_configENS1_20scan_config_selectorIiEEZZNS1_9scan_implILNS1_25lookback_scan_determinismE0ELb1ELb1ES3_N6thrust23THRUST_200600_302600_NS6detail15normal_iteratorINS9_10device_ptrIiEEEESE_iNS9_4plusIiEEiEEDaPvRmT3_T4_T5_mT6_P12ihipStream_tbENKUlT_T0_E_clISt17integral_constantIbLb1EEST_IbLb0EEEEDaSP_SQ_EUlSP_E0_NS1_11comp_targetILNS1_3genE9ELNS1_11target_archE1100ELNS1_3gpuE3ELNS1_3repE0EEENS1_30default_config_static_selectorELNS0_4arch9wavefront6targetE1EEEvT1_,"axG",@progbits,_ZN7rocprim17ROCPRIM_400000_NS6detail17trampoline_kernelINS0_14default_configENS1_20scan_config_selectorIiEEZZNS1_9scan_implILNS1_25lookback_scan_determinismE0ELb1ELb1ES3_N6thrust23THRUST_200600_302600_NS6detail15normal_iteratorINS9_10device_ptrIiEEEESE_iNS9_4plusIiEEiEEDaPvRmT3_T4_T5_mT6_P12ihipStream_tbENKUlT_T0_E_clISt17integral_constantIbLb1EEST_IbLb0EEEEDaSP_SQ_EUlSP_E0_NS1_11comp_targetILNS1_3genE9ELNS1_11target_archE1100ELNS1_3gpuE3ELNS1_3repE0EEENS1_30default_config_static_selectorELNS0_4arch9wavefront6targetE1EEEvT1_,comdat
.Lfunc_end712:
	.size	_ZN7rocprim17ROCPRIM_400000_NS6detail17trampoline_kernelINS0_14default_configENS1_20scan_config_selectorIiEEZZNS1_9scan_implILNS1_25lookback_scan_determinismE0ELb1ELb1ES3_N6thrust23THRUST_200600_302600_NS6detail15normal_iteratorINS9_10device_ptrIiEEEESE_iNS9_4plusIiEEiEEDaPvRmT3_T4_T5_mT6_P12ihipStream_tbENKUlT_T0_E_clISt17integral_constantIbLb1EEST_IbLb0EEEEDaSP_SQ_EUlSP_E0_NS1_11comp_targetILNS1_3genE9ELNS1_11target_archE1100ELNS1_3gpuE3ELNS1_3repE0EEENS1_30default_config_static_selectorELNS0_4arch9wavefront6targetE1EEEvT1_, .Lfunc_end712-_ZN7rocprim17ROCPRIM_400000_NS6detail17trampoline_kernelINS0_14default_configENS1_20scan_config_selectorIiEEZZNS1_9scan_implILNS1_25lookback_scan_determinismE0ELb1ELb1ES3_N6thrust23THRUST_200600_302600_NS6detail15normal_iteratorINS9_10device_ptrIiEEEESE_iNS9_4plusIiEEiEEDaPvRmT3_T4_T5_mT6_P12ihipStream_tbENKUlT_T0_E_clISt17integral_constantIbLb1EEST_IbLb0EEEEDaSP_SQ_EUlSP_E0_NS1_11comp_targetILNS1_3genE9ELNS1_11target_archE1100ELNS1_3gpuE3ELNS1_3repE0EEENS1_30default_config_static_selectorELNS0_4arch9wavefront6targetE1EEEvT1_
                                        ; -- End function
	.section	.AMDGPU.csdata,"",@progbits
; Kernel info:
; codeLenInByte = 0
; NumSgprs: 4
; NumVgprs: 0
; NumAgprs: 0
; TotalNumVgprs: 0
; ScratchSize: 0
; MemoryBound: 0
; FloatMode: 240
; IeeeMode: 1
; LDSByteSize: 0 bytes/workgroup (compile time only)
; SGPRBlocks: 0
; VGPRBlocks: 0
; NumSGPRsForWavesPerEU: 4
; NumVGPRsForWavesPerEU: 1
; AccumOffset: 4
; Occupancy: 8
; WaveLimiterHint : 0
; COMPUTE_PGM_RSRC2:SCRATCH_EN: 0
; COMPUTE_PGM_RSRC2:USER_SGPR: 6
; COMPUTE_PGM_RSRC2:TRAP_HANDLER: 0
; COMPUTE_PGM_RSRC2:TGID_X_EN: 1
; COMPUTE_PGM_RSRC2:TGID_Y_EN: 0
; COMPUTE_PGM_RSRC2:TGID_Z_EN: 0
; COMPUTE_PGM_RSRC2:TIDIG_COMP_CNT: 0
; COMPUTE_PGM_RSRC3_GFX90A:ACCUM_OFFSET: 0
; COMPUTE_PGM_RSRC3_GFX90A:TG_SPLIT: 0
	.section	.text._ZN7rocprim17ROCPRIM_400000_NS6detail17trampoline_kernelINS0_14default_configENS1_20scan_config_selectorIiEEZZNS1_9scan_implILNS1_25lookback_scan_determinismE0ELb1ELb1ES3_N6thrust23THRUST_200600_302600_NS6detail15normal_iteratorINS9_10device_ptrIiEEEESE_iNS9_4plusIiEEiEEDaPvRmT3_T4_T5_mT6_P12ihipStream_tbENKUlT_T0_E_clISt17integral_constantIbLb1EEST_IbLb0EEEEDaSP_SQ_EUlSP_E0_NS1_11comp_targetILNS1_3genE8ELNS1_11target_archE1030ELNS1_3gpuE2ELNS1_3repE0EEENS1_30default_config_static_selectorELNS0_4arch9wavefront6targetE1EEEvT1_,"axG",@progbits,_ZN7rocprim17ROCPRIM_400000_NS6detail17trampoline_kernelINS0_14default_configENS1_20scan_config_selectorIiEEZZNS1_9scan_implILNS1_25lookback_scan_determinismE0ELb1ELb1ES3_N6thrust23THRUST_200600_302600_NS6detail15normal_iteratorINS9_10device_ptrIiEEEESE_iNS9_4plusIiEEiEEDaPvRmT3_T4_T5_mT6_P12ihipStream_tbENKUlT_T0_E_clISt17integral_constantIbLb1EEST_IbLb0EEEEDaSP_SQ_EUlSP_E0_NS1_11comp_targetILNS1_3genE8ELNS1_11target_archE1030ELNS1_3gpuE2ELNS1_3repE0EEENS1_30default_config_static_selectorELNS0_4arch9wavefront6targetE1EEEvT1_,comdat
	.protected	_ZN7rocprim17ROCPRIM_400000_NS6detail17trampoline_kernelINS0_14default_configENS1_20scan_config_selectorIiEEZZNS1_9scan_implILNS1_25lookback_scan_determinismE0ELb1ELb1ES3_N6thrust23THRUST_200600_302600_NS6detail15normal_iteratorINS9_10device_ptrIiEEEESE_iNS9_4plusIiEEiEEDaPvRmT3_T4_T5_mT6_P12ihipStream_tbENKUlT_T0_E_clISt17integral_constantIbLb1EEST_IbLb0EEEEDaSP_SQ_EUlSP_E0_NS1_11comp_targetILNS1_3genE8ELNS1_11target_archE1030ELNS1_3gpuE2ELNS1_3repE0EEENS1_30default_config_static_selectorELNS0_4arch9wavefront6targetE1EEEvT1_ ; -- Begin function _ZN7rocprim17ROCPRIM_400000_NS6detail17trampoline_kernelINS0_14default_configENS1_20scan_config_selectorIiEEZZNS1_9scan_implILNS1_25lookback_scan_determinismE0ELb1ELb1ES3_N6thrust23THRUST_200600_302600_NS6detail15normal_iteratorINS9_10device_ptrIiEEEESE_iNS9_4plusIiEEiEEDaPvRmT3_T4_T5_mT6_P12ihipStream_tbENKUlT_T0_E_clISt17integral_constantIbLb1EEST_IbLb0EEEEDaSP_SQ_EUlSP_E0_NS1_11comp_targetILNS1_3genE8ELNS1_11target_archE1030ELNS1_3gpuE2ELNS1_3repE0EEENS1_30default_config_static_selectorELNS0_4arch9wavefront6targetE1EEEvT1_
	.globl	_ZN7rocprim17ROCPRIM_400000_NS6detail17trampoline_kernelINS0_14default_configENS1_20scan_config_selectorIiEEZZNS1_9scan_implILNS1_25lookback_scan_determinismE0ELb1ELb1ES3_N6thrust23THRUST_200600_302600_NS6detail15normal_iteratorINS9_10device_ptrIiEEEESE_iNS9_4plusIiEEiEEDaPvRmT3_T4_T5_mT6_P12ihipStream_tbENKUlT_T0_E_clISt17integral_constantIbLb1EEST_IbLb0EEEEDaSP_SQ_EUlSP_E0_NS1_11comp_targetILNS1_3genE8ELNS1_11target_archE1030ELNS1_3gpuE2ELNS1_3repE0EEENS1_30default_config_static_selectorELNS0_4arch9wavefront6targetE1EEEvT1_
	.p2align	8
	.type	_ZN7rocprim17ROCPRIM_400000_NS6detail17trampoline_kernelINS0_14default_configENS1_20scan_config_selectorIiEEZZNS1_9scan_implILNS1_25lookback_scan_determinismE0ELb1ELb1ES3_N6thrust23THRUST_200600_302600_NS6detail15normal_iteratorINS9_10device_ptrIiEEEESE_iNS9_4plusIiEEiEEDaPvRmT3_T4_T5_mT6_P12ihipStream_tbENKUlT_T0_E_clISt17integral_constantIbLb1EEST_IbLb0EEEEDaSP_SQ_EUlSP_E0_NS1_11comp_targetILNS1_3genE8ELNS1_11target_archE1030ELNS1_3gpuE2ELNS1_3repE0EEENS1_30default_config_static_selectorELNS0_4arch9wavefront6targetE1EEEvT1_,@function
_ZN7rocprim17ROCPRIM_400000_NS6detail17trampoline_kernelINS0_14default_configENS1_20scan_config_selectorIiEEZZNS1_9scan_implILNS1_25lookback_scan_determinismE0ELb1ELb1ES3_N6thrust23THRUST_200600_302600_NS6detail15normal_iteratorINS9_10device_ptrIiEEEESE_iNS9_4plusIiEEiEEDaPvRmT3_T4_T5_mT6_P12ihipStream_tbENKUlT_T0_E_clISt17integral_constantIbLb1EEST_IbLb0EEEEDaSP_SQ_EUlSP_E0_NS1_11comp_targetILNS1_3genE8ELNS1_11target_archE1030ELNS1_3gpuE2ELNS1_3repE0EEENS1_30default_config_static_selectorELNS0_4arch9wavefront6targetE1EEEvT1_: ; @_ZN7rocprim17ROCPRIM_400000_NS6detail17trampoline_kernelINS0_14default_configENS1_20scan_config_selectorIiEEZZNS1_9scan_implILNS1_25lookback_scan_determinismE0ELb1ELb1ES3_N6thrust23THRUST_200600_302600_NS6detail15normal_iteratorINS9_10device_ptrIiEEEESE_iNS9_4plusIiEEiEEDaPvRmT3_T4_T5_mT6_P12ihipStream_tbENKUlT_T0_E_clISt17integral_constantIbLb1EEST_IbLb0EEEEDaSP_SQ_EUlSP_E0_NS1_11comp_targetILNS1_3genE8ELNS1_11target_archE1030ELNS1_3gpuE2ELNS1_3repE0EEENS1_30default_config_static_selectorELNS0_4arch9wavefront6targetE1EEEvT1_
; %bb.0:
	.section	.rodata,"a",@progbits
	.p2align	6, 0x0
	.amdhsa_kernel _ZN7rocprim17ROCPRIM_400000_NS6detail17trampoline_kernelINS0_14default_configENS1_20scan_config_selectorIiEEZZNS1_9scan_implILNS1_25lookback_scan_determinismE0ELb1ELb1ES3_N6thrust23THRUST_200600_302600_NS6detail15normal_iteratorINS9_10device_ptrIiEEEESE_iNS9_4plusIiEEiEEDaPvRmT3_T4_T5_mT6_P12ihipStream_tbENKUlT_T0_E_clISt17integral_constantIbLb1EEST_IbLb0EEEEDaSP_SQ_EUlSP_E0_NS1_11comp_targetILNS1_3genE8ELNS1_11target_archE1030ELNS1_3gpuE2ELNS1_3repE0EEENS1_30default_config_static_selectorELNS0_4arch9wavefront6targetE1EEEvT1_
		.amdhsa_group_segment_fixed_size 0
		.amdhsa_private_segment_fixed_size 0
		.amdhsa_kernarg_size 32
		.amdhsa_user_sgpr_count 6
		.amdhsa_user_sgpr_private_segment_buffer 1
		.amdhsa_user_sgpr_dispatch_ptr 0
		.amdhsa_user_sgpr_queue_ptr 0
		.amdhsa_user_sgpr_kernarg_segment_ptr 1
		.amdhsa_user_sgpr_dispatch_id 0
		.amdhsa_user_sgpr_flat_scratch_init 0
		.amdhsa_user_sgpr_kernarg_preload_length 0
		.amdhsa_user_sgpr_kernarg_preload_offset 0
		.amdhsa_user_sgpr_private_segment_size 0
		.amdhsa_uses_dynamic_stack 0
		.amdhsa_system_sgpr_private_segment_wavefront_offset 0
		.amdhsa_system_sgpr_workgroup_id_x 1
		.amdhsa_system_sgpr_workgroup_id_y 0
		.amdhsa_system_sgpr_workgroup_id_z 0
		.amdhsa_system_sgpr_workgroup_info 0
		.amdhsa_system_vgpr_workitem_id 0
		.amdhsa_next_free_vgpr 1
		.amdhsa_next_free_sgpr 0
		.amdhsa_accum_offset 4
		.amdhsa_reserve_vcc 0
		.amdhsa_reserve_flat_scratch 0
		.amdhsa_float_round_mode_32 0
		.amdhsa_float_round_mode_16_64 0
		.amdhsa_float_denorm_mode_32 3
		.amdhsa_float_denorm_mode_16_64 3
		.amdhsa_dx10_clamp 1
		.amdhsa_ieee_mode 1
		.amdhsa_fp16_overflow 0
		.amdhsa_tg_split 0
		.amdhsa_exception_fp_ieee_invalid_op 0
		.amdhsa_exception_fp_denorm_src 0
		.amdhsa_exception_fp_ieee_div_zero 0
		.amdhsa_exception_fp_ieee_overflow 0
		.amdhsa_exception_fp_ieee_underflow 0
		.amdhsa_exception_fp_ieee_inexact 0
		.amdhsa_exception_int_div_zero 0
	.end_amdhsa_kernel
	.section	.text._ZN7rocprim17ROCPRIM_400000_NS6detail17trampoline_kernelINS0_14default_configENS1_20scan_config_selectorIiEEZZNS1_9scan_implILNS1_25lookback_scan_determinismE0ELb1ELb1ES3_N6thrust23THRUST_200600_302600_NS6detail15normal_iteratorINS9_10device_ptrIiEEEESE_iNS9_4plusIiEEiEEDaPvRmT3_T4_T5_mT6_P12ihipStream_tbENKUlT_T0_E_clISt17integral_constantIbLb1EEST_IbLb0EEEEDaSP_SQ_EUlSP_E0_NS1_11comp_targetILNS1_3genE8ELNS1_11target_archE1030ELNS1_3gpuE2ELNS1_3repE0EEENS1_30default_config_static_selectorELNS0_4arch9wavefront6targetE1EEEvT1_,"axG",@progbits,_ZN7rocprim17ROCPRIM_400000_NS6detail17trampoline_kernelINS0_14default_configENS1_20scan_config_selectorIiEEZZNS1_9scan_implILNS1_25lookback_scan_determinismE0ELb1ELb1ES3_N6thrust23THRUST_200600_302600_NS6detail15normal_iteratorINS9_10device_ptrIiEEEESE_iNS9_4plusIiEEiEEDaPvRmT3_T4_T5_mT6_P12ihipStream_tbENKUlT_T0_E_clISt17integral_constantIbLb1EEST_IbLb0EEEEDaSP_SQ_EUlSP_E0_NS1_11comp_targetILNS1_3genE8ELNS1_11target_archE1030ELNS1_3gpuE2ELNS1_3repE0EEENS1_30default_config_static_selectorELNS0_4arch9wavefront6targetE1EEEvT1_,comdat
.Lfunc_end713:
	.size	_ZN7rocprim17ROCPRIM_400000_NS6detail17trampoline_kernelINS0_14default_configENS1_20scan_config_selectorIiEEZZNS1_9scan_implILNS1_25lookback_scan_determinismE0ELb1ELb1ES3_N6thrust23THRUST_200600_302600_NS6detail15normal_iteratorINS9_10device_ptrIiEEEESE_iNS9_4plusIiEEiEEDaPvRmT3_T4_T5_mT6_P12ihipStream_tbENKUlT_T0_E_clISt17integral_constantIbLb1EEST_IbLb0EEEEDaSP_SQ_EUlSP_E0_NS1_11comp_targetILNS1_3genE8ELNS1_11target_archE1030ELNS1_3gpuE2ELNS1_3repE0EEENS1_30default_config_static_selectorELNS0_4arch9wavefront6targetE1EEEvT1_, .Lfunc_end713-_ZN7rocprim17ROCPRIM_400000_NS6detail17trampoline_kernelINS0_14default_configENS1_20scan_config_selectorIiEEZZNS1_9scan_implILNS1_25lookback_scan_determinismE0ELb1ELb1ES3_N6thrust23THRUST_200600_302600_NS6detail15normal_iteratorINS9_10device_ptrIiEEEESE_iNS9_4plusIiEEiEEDaPvRmT3_T4_T5_mT6_P12ihipStream_tbENKUlT_T0_E_clISt17integral_constantIbLb1EEST_IbLb0EEEEDaSP_SQ_EUlSP_E0_NS1_11comp_targetILNS1_3genE8ELNS1_11target_archE1030ELNS1_3gpuE2ELNS1_3repE0EEENS1_30default_config_static_selectorELNS0_4arch9wavefront6targetE1EEEvT1_
                                        ; -- End function
	.section	.AMDGPU.csdata,"",@progbits
; Kernel info:
; codeLenInByte = 0
; NumSgprs: 4
; NumVgprs: 0
; NumAgprs: 0
; TotalNumVgprs: 0
; ScratchSize: 0
; MemoryBound: 0
; FloatMode: 240
; IeeeMode: 1
; LDSByteSize: 0 bytes/workgroup (compile time only)
; SGPRBlocks: 0
; VGPRBlocks: 0
; NumSGPRsForWavesPerEU: 4
; NumVGPRsForWavesPerEU: 1
; AccumOffset: 4
; Occupancy: 8
; WaveLimiterHint : 0
; COMPUTE_PGM_RSRC2:SCRATCH_EN: 0
; COMPUTE_PGM_RSRC2:USER_SGPR: 6
; COMPUTE_PGM_RSRC2:TRAP_HANDLER: 0
; COMPUTE_PGM_RSRC2:TGID_X_EN: 1
; COMPUTE_PGM_RSRC2:TGID_Y_EN: 0
; COMPUTE_PGM_RSRC2:TGID_Z_EN: 0
; COMPUTE_PGM_RSRC2:TIDIG_COMP_CNT: 0
; COMPUTE_PGM_RSRC3_GFX90A:ACCUM_OFFSET: 0
; COMPUTE_PGM_RSRC3_GFX90A:TG_SPLIT: 0
	.section	.text._ZN7rocprim17ROCPRIM_400000_NS6detail17trampoline_kernelINS0_14default_configENS1_20scan_config_selectorIiEEZZNS1_9scan_implILNS1_25lookback_scan_determinismE0ELb1ELb1ES3_N6thrust23THRUST_200600_302600_NS6detail15normal_iteratorINS9_10device_ptrIiEEEESE_iNS9_4plusIiEEiEEDaPvRmT3_T4_T5_mT6_P12ihipStream_tbENKUlT_T0_E_clISt17integral_constantIbLb0EEST_IbLb1EEEEDaSP_SQ_EUlSP_E_NS1_11comp_targetILNS1_3genE0ELNS1_11target_archE4294967295ELNS1_3gpuE0ELNS1_3repE0EEENS1_30default_config_static_selectorELNS0_4arch9wavefront6targetE1EEEvT1_,"axG",@progbits,_ZN7rocprim17ROCPRIM_400000_NS6detail17trampoline_kernelINS0_14default_configENS1_20scan_config_selectorIiEEZZNS1_9scan_implILNS1_25lookback_scan_determinismE0ELb1ELb1ES3_N6thrust23THRUST_200600_302600_NS6detail15normal_iteratorINS9_10device_ptrIiEEEESE_iNS9_4plusIiEEiEEDaPvRmT3_T4_T5_mT6_P12ihipStream_tbENKUlT_T0_E_clISt17integral_constantIbLb0EEST_IbLb1EEEEDaSP_SQ_EUlSP_E_NS1_11comp_targetILNS1_3genE0ELNS1_11target_archE4294967295ELNS1_3gpuE0ELNS1_3repE0EEENS1_30default_config_static_selectorELNS0_4arch9wavefront6targetE1EEEvT1_,comdat
	.protected	_ZN7rocprim17ROCPRIM_400000_NS6detail17trampoline_kernelINS0_14default_configENS1_20scan_config_selectorIiEEZZNS1_9scan_implILNS1_25lookback_scan_determinismE0ELb1ELb1ES3_N6thrust23THRUST_200600_302600_NS6detail15normal_iteratorINS9_10device_ptrIiEEEESE_iNS9_4plusIiEEiEEDaPvRmT3_T4_T5_mT6_P12ihipStream_tbENKUlT_T0_E_clISt17integral_constantIbLb0EEST_IbLb1EEEEDaSP_SQ_EUlSP_E_NS1_11comp_targetILNS1_3genE0ELNS1_11target_archE4294967295ELNS1_3gpuE0ELNS1_3repE0EEENS1_30default_config_static_selectorELNS0_4arch9wavefront6targetE1EEEvT1_ ; -- Begin function _ZN7rocprim17ROCPRIM_400000_NS6detail17trampoline_kernelINS0_14default_configENS1_20scan_config_selectorIiEEZZNS1_9scan_implILNS1_25lookback_scan_determinismE0ELb1ELb1ES3_N6thrust23THRUST_200600_302600_NS6detail15normal_iteratorINS9_10device_ptrIiEEEESE_iNS9_4plusIiEEiEEDaPvRmT3_T4_T5_mT6_P12ihipStream_tbENKUlT_T0_E_clISt17integral_constantIbLb0EEST_IbLb1EEEEDaSP_SQ_EUlSP_E_NS1_11comp_targetILNS1_3genE0ELNS1_11target_archE4294967295ELNS1_3gpuE0ELNS1_3repE0EEENS1_30default_config_static_selectorELNS0_4arch9wavefront6targetE1EEEvT1_
	.globl	_ZN7rocprim17ROCPRIM_400000_NS6detail17trampoline_kernelINS0_14default_configENS1_20scan_config_selectorIiEEZZNS1_9scan_implILNS1_25lookback_scan_determinismE0ELb1ELb1ES3_N6thrust23THRUST_200600_302600_NS6detail15normal_iteratorINS9_10device_ptrIiEEEESE_iNS9_4plusIiEEiEEDaPvRmT3_T4_T5_mT6_P12ihipStream_tbENKUlT_T0_E_clISt17integral_constantIbLb0EEST_IbLb1EEEEDaSP_SQ_EUlSP_E_NS1_11comp_targetILNS1_3genE0ELNS1_11target_archE4294967295ELNS1_3gpuE0ELNS1_3repE0EEENS1_30default_config_static_selectorELNS0_4arch9wavefront6targetE1EEEvT1_
	.p2align	8
	.type	_ZN7rocprim17ROCPRIM_400000_NS6detail17trampoline_kernelINS0_14default_configENS1_20scan_config_selectorIiEEZZNS1_9scan_implILNS1_25lookback_scan_determinismE0ELb1ELb1ES3_N6thrust23THRUST_200600_302600_NS6detail15normal_iteratorINS9_10device_ptrIiEEEESE_iNS9_4plusIiEEiEEDaPvRmT3_T4_T5_mT6_P12ihipStream_tbENKUlT_T0_E_clISt17integral_constantIbLb0EEST_IbLb1EEEEDaSP_SQ_EUlSP_E_NS1_11comp_targetILNS1_3genE0ELNS1_11target_archE4294967295ELNS1_3gpuE0ELNS1_3repE0EEENS1_30default_config_static_selectorELNS0_4arch9wavefront6targetE1EEEvT1_,@function
_ZN7rocprim17ROCPRIM_400000_NS6detail17trampoline_kernelINS0_14default_configENS1_20scan_config_selectorIiEEZZNS1_9scan_implILNS1_25lookback_scan_determinismE0ELb1ELb1ES3_N6thrust23THRUST_200600_302600_NS6detail15normal_iteratorINS9_10device_ptrIiEEEESE_iNS9_4plusIiEEiEEDaPvRmT3_T4_T5_mT6_P12ihipStream_tbENKUlT_T0_E_clISt17integral_constantIbLb0EEST_IbLb1EEEEDaSP_SQ_EUlSP_E_NS1_11comp_targetILNS1_3genE0ELNS1_11target_archE4294967295ELNS1_3gpuE0ELNS1_3repE0EEENS1_30default_config_static_selectorELNS0_4arch9wavefront6targetE1EEEvT1_: ; @_ZN7rocprim17ROCPRIM_400000_NS6detail17trampoline_kernelINS0_14default_configENS1_20scan_config_selectorIiEEZZNS1_9scan_implILNS1_25lookback_scan_determinismE0ELb1ELb1ES3_N6thrust23THRUST_200600_302600_NS6detail15normal_iteratorINS9_10device_ptrIiEEEESE_iNS9_4plusIiEEiEEDaPvRmT3_T4_T5_mT6_P12ihipStream_tbENKUlT_T0_E_clISt17integral_constantIbLb0EEST_IbLb1EEEEDaSP_SQ_EUlSP_E_NS1_11comp_targetILNS1_3genE0ELNS1_11target_archE4294967295ELNS1_3gpuE0ELNS1_3repE0EEENS1_30default_config_static_selectorELNS0_4arch9wavefront6targetE1EEEvT1_
; %bb.0:
	.section	.rodata,"a",@progbits
	.p2align	6, 0x0
	.amdhsa_kernel _ZN7rocprim17ROCPRIM_400000_NS6detail17trampoline_kernelINS0_14default_configENS1_20scan_config_selectorIiEEZZNS1_9scan_implILNS1_25lookback_scan_determinismE0ELb1ELb1ES3_N6thrust23THRUST_200600_302600_NS6detail15normal_iteratorINS9_10device_ptrIiEEEESE_iNS9_4plusIiEEiEEDaPvRmT3_T4_T5_mT6_P12ihipStream_tbENKUlT_T0_E_clISt17integral_constantIbLb0EEST_IbLb1EEEEDaSP_SQ_EUlSP_E_NS1_11comp_targetILNS1_3genE0ELNS1_11target_archE4294967295ELNS1_3gpuE0ELNS1_3repE0EEENS1_30default_config_static_selectorELNS0_4arch9wavefront6targetE1EEEvT1_
		.amdhsa_group_segment_fixed_size 0
		.amdhsa_private_segment_fixed_size 0
		.amdhsa_kernarg_size 96
		.amdhsa_user_sgpr_count 6
		.amdhsa_user_sgpr_private_segment_buffer 1
		.amdhsa_user_sgpr_dispatch_ptr 0
		.amdhsa_user_sgpr_queue_ptr 0
		.amdhsa_user_sgpr_kernarg_segment_ptr 1
		.amdhsa_user_sgpr_dispatch_id 0
		.amdhsa_user_sgpr_flat_scratch_init 0
		.amdhsa_user_sgpr_kernarg_preload_length 0
		.amdhsa_user_sgpr_kernarg_preload_offset 0
		.amdhsa_user_sgpr_private_segment_size 0
		.amdhsa_uses_dynamic_stack 0
		.amdhsa_system_sgpr_private_segment_wavefront_offset 0
		.amdhsa_system_sgpr_workgroup_id_x 1
		.amdhsa_system_sgpr_workgroup_id_y 0
		.amdhsa_system_sgpr_workgroup_id_z 0
		.amdhsa_system_sgpr_workgroup_info 0
		.amdhsa_system_vgpr_workitem_id 0
		.amdhsa_next_free_vgpr 1
		.amdhsa_next_free_sgpr 0
		.amdhsa_accum_offset 4
		.amdhsa_reserve_vcc 0
		.amdhsa_reserve_flat_scratch 0
		.amdhsa_float_round_mode_32 0
		.amdhsa_float_round_mode_16_64 0
		.amdhsa_float_denorm_mode_32 3
		.amdhsa_float_denorm_mode_16_64 3
		.amdhsa_dx10_clamp 1
		.amdhsa_ieee_mode 1
		.amdhsa_fp16_overflow 0
		.amdhsa_tg_split 0
		.amdhsa_exception_fp_ieee_invalid_op 0
		.amdhsa_exception_fp_denorm_src 0
		.amdhsa_exception_fp_ieee_div_zero 0
		.amdhsa_exception_fp_ieee_overflow 0
		.amdhsa_exception_fp_ieee_underflow 0
		.amdhsa_exception_fp_ieee_inexact 0
		.amdhsa_exception_int_div_zero 0
	.end_amdhsa_kernel
	.section	.text._ZN7rocprim17ROCPRIM_400000_NS6detail17trampoline_kernelINS0_14default_configENS1_20scan_config_selectorIiEEZZNS1_9scan_implILNS1_25lookback_scan_determinismE0ELb1ELb1ES3_N6thrust23THRUST_200600_302600_NS6detail15normal_iteratorINS9_10device_ptrIiEEEESE_iNS9_4plusIiEEiEEDaPvRmT3_T4_T5_mT6_P12ihipStream_tbENKUlT_T0_E_clISt17integral_constantIbLb0EEST_IbLb1EEEEDaSP_SQ_EUlSP_E_NS1_11comp_targetILNS1_3genE0ELNS1_11target_archE4294967295ELNS1_3gpuE0ELNS1_3repE0EEENS1_30default_config_static_selectorELNS0_4arch9wavefront6targetE1EEEvT1_,"axG",@progbits,_ZN7rocprim17ROCPRIM_400000_NS6detail17trampoline_kernelINS0_14default_configENS1_20scan_config_selectorIiEEZZNS1_9scan_implILNS1_25lookback_scan_determinismE0ELb1ELb1ES3_N6thrust23THRUST_200600_302600_NS6detail15normal_iteratorINS9_10device_ptrIiEEEESE_iNS9_4plusIiEEiEEDaPvRmT3_T4_T5_mT6_P12ihipStream_tbENKUlT_T0_E_clISt17integral_constantIbLb0EEST_IbLb1EEEEDaSP_SQ_EUlSP_E_NS1_11comp_targetILNS1_3genE0ELNS1_11target_archE4294967295ELNS1_3gpuE0ELNS1_3repE0EEENS1_30default_config_static_selectorELNS0_4arch9wavefront6targetE1EEEvT1_,comdat
.Lfunc_end714:
	.size	_ZN7rocprim17ROCPRIM_400000_NS6detail17trampoline_kernelINS0_14default_configENS1_20scan_config_selectorIiEEZZNS1_9scan_implILNS1_25lookback_scan_determinismE0ELb1ELb1ES3_N6thrust23THRUST_200600_302600_NS6detail15normal_iteratorINS9_10device_ptrIiEEEESE_iNS9_4plusIiEEiEEDaPvRmT3_T4_T5_mT6_P12ihipStream_tbENKUlT_T0_E_clISt17integral_constantIbLb0EEST_IbLb1EEEEDaSP_SQ_EUlSP_E_NS1_11comp_targetILNS1_3genE0ELNS1_11target_archE4294967295ELNS1_3gpuE0ELNS1_3repE0EEENS1_30default_config_static_selectorELNS0_4arch9wavefront6targetE1EEEvT1_, .Lfunc_end714-_ZN7rocprim17ROCPRIM_400000_NS6detail17trampoline_kernelINS0_14default_configENS1_20scan_config_selectorIiEEZZNS1_9scan_implILNS1_25lookback_scan_determinismE0ELb1ELb1ES3_N6thrust23THRUST_200600_302600_NS6detail15normal_iteratorINS9_10device_ptrIiEEEESE_iNS9_4plusIiEEiEEDaPvRmT3_T4_T5_mT6_P12ihipStream_tbENKUlT_T0_E_clISt17integral_constantIbLb0EEST_IbLb1EEEEDaSP_SQ_EUlSP_E_NS1_11comp_targetILNS1_3genE0ELNS1_11target_archE4294967295ELNS1_3gpuE0ELNS1_3repE0EEENS1_30default_config_static_selectorELNS0_4arch9wavefront6targetE1EEEvT1_
                                        ; -- End function
	.section	.AMDGPU.csdata,"",@progbits
; Kernel info:
; codeLenInByte = 0
; NumSgprs: 4
; NumVgprs: 0
; NumAgprs: 0
; TotalNumVgprs: 0
; ScratchSize: 0
; MemoryBound: 0
; FloatMode: 240
; IeeeMode: 1
; LDSByteSize: 0 bytes/workgroup (compile time only)
; SGPRBlocks: 0
; VGPRBlocks: 0
; NumSGPRsForWavesPerEU: 4
; NumVGPRsForWavesPerEU: 1
; AccumOffset: 4
; Occupancy: 8
; WaveLimiterHint : 0
; COMPUTE_PGM_RSRC2:SCRATCH_EN: 0
; COMPUTE_PGM_RSRC2:USER_SGPR: 6
; COMPUTE_PGM_RSRC2:TRAP_HANDLER: 0
; COMPUTE_PGM_RSRC2:TGID_X_EN: 1
; COMPUTE_PGM_RSRC2:TGID_Y_EN: 0
; COMPUTE_PGM_RSRC2:TGID_Z_EN: 0
; COMPUTE_PGM_RSRC2:TIDIG_COMP_CNT: 0
; COMPUTE_PGM_RSRC3_GFX90A:ACCUM_OFFSET: 0
; COMPUTE_PGM_RSRC3_GFX90A:TG_SPLIT: 0
	.section	.text._ZN7rocprim17ROCPRIM_400000_NS6detail17trampoline_kernelINS0_14default_configENS1_20scan_config_selectorIiEEZZNS1_9scan_implILNS1_25lookback_scan_determinismE0ELb1ELb1ES3_N6thrust23THRUST_200600_302600_NS6detail15normal_iteratorINS9_10device_ptrIiEEEESE_iNS9_4plusIiEEiEEDaPvRmT3_T4_T5_mT6_P12ihipStream_tbENKUlT_T0_E_clISt17integral_constantIbLb0EEST_IbLb1EEEEDaSP_SQ_EUlSP_E_NS1_11comp_targetILNS1_3genE5ELNS1_11target_archE942ELNS1_3gpuE9ELNS1_3repE0EEENS1_30default_config_static_selectorELNS0_4arch9wavefront6targetE1EEEvT1_,"axG",@progbits,_ZN7rocprim17ROCPRIM_400000_NS6detail17trampoline_kernelINS0_14default_configENS1_20scan_config_selectorIiEEZZNS1_9scan_implILNS1_25lookback_scan_determinismE0ELb1ELb1ES3_N6thrust23THRUST_200600_302600_NS6detail15normal_iteratorINS9_10device_ptrIiEEEESE_iNS9_4plusIiEEiEEDaPvRmT3_T4_T5_mT6_P12ihipStream_tbENKUlT_T0_E_clISt17integral_constantIbLb0EEST_IbLb1EEEEDaSP_SQ_EUlSP_E_NS1_11comp_targetILNS1_3genE5ELNS1_11target_archE942ELNS1_3gpuE9ELNS1_3repE0EEENS1_30default_config_static_selectorELNS0_4arch9wavefront6targetE1EEEvT1_,comdat
	.protected	_ZN7rocprim17ROCPRIM_400000_NS6detail17trampoline_kernelINS0_14default_configENS1_20scan_config_selectorIiEEZZNS1_9scan_implILNS1_25lookback_scan_determinismE0ELb1ELb1ES3_N6thrust23THRUST_200600_302600_NS6detail15normal_iteratorINS9_10device_ptrIiEEEESE_iNS9_4plusIiEEiEEDaPvRmT3_T4_T5_mT6_P12ihipStream_tbENKUlT_T0_E_clISt17integral_constantIbLb0EEST_IbLb1EEEEDaSP_SQ_EUlSP_E_NS1_11comp_targetILNS1_3genE5ELNS1_11target_archE942ELNS1_3gpuE9ELNS1_3repE0EEENS1_30default_config_static_selectorELNS0_4arch9wavefront6targetE1EEEvT1_ ; -- Begin function _ZN7rocprim17ROCPRIM_400000_NS6detail17trampoline_kernelINS0_14default_configENS1_20scan_config_selectorIiEEZZNS1_9scan_implILNS1_25lookback_scan_determinismE0ELb1ELb1ES3_N6thrust23THRUST_200600_302600_NS6detail15normal_iteratorINS9_10device_ptrIiEEEESE_iNS9_4plusIiEEiEEDaPvRmT3_T4_T5_mT6_P12ihipStream_tbENKUlT_T0_E_clISt17integral_constantIbLb0EEST_IbLb1EEEEDaSP_SQ_EUlSP_E_NS1_11comp_targetILNS1_3genE5ELNS1_11target_archE942ELNS1_3gpuE9ELNS1_3repE0EEENS1_30default_config_static_selectorELNS0_4arch9wavefront6targetE1EEEvT1_
	.globl	_ZN7rocprim17ROCPRIM_400000_NS6detail17trampoline_kernelINS0_14default_configENS1_20scan_config_selectorIiEEZZNS1_9scan_implILNS1_25lookback_scan_determinismE0ELb1ELb1ES3_N6thrust23THRUST_200600_302600_NS6detail15normal_iteratorINS9_10device_ptrIiEEEESE_iNS9_4plusIiEEiEEDaPvRmT3_T4_T5_mT6_P12ihipStream_tbENKUlT_T0_E_clISt17integral_constantIbLb0EEST_IbLb1EEEEDaSP_SQ_EUlSP_E_NS1_11comp_targetILNS1_3genE5ELNS1_11target_archE942ELNS1_3gpuE9ELNS1_3repE0EEENS1_30default_config_static_selectorELNS0_4arch9wavefront6targetE1EEEvT1_
	.p2align	8
	.type	_ZN7rocprim17ROCPRIM_400000_NS6detail17trampoline_kernelINS0_14default_configENS1_20scan_config_selectorIiEEZZNS1_9scan_implILNS1_25lookback_scan_determinismE0ELb1ELb1ES3_N6thrust23THRUST_200600_302600_NS6detail15normal_iteratorINS9_10device_ptrIiEEEESE_iNS9_4plusIiEEiEEDaPvRmT3_T4_T5_mT6_P12ihipStream_tbENKUlT_T0_E_clISt17integral_constantIbLb0EEST_IbLb1EEEEDaSP_SQ_EUlSP_E_NS1_11comp_targetILNS1_3genE5ELNS1_11target_archE942ELNS1_3gpuE9ELNS1_3repE0EEENS1_30default_config_static_selectorELNS0_4arch9wavefront6targetE1EEEvT1_,@function
_ZN7rocprim17ROCPRIM_400000_NS6detail17trampoline_kernelINS0_14default_configENS1_20scan_config_selectorIiEEZZNS1_9scan_implILNS1_25lookback_scan_determinismE0ELb1ELb1ES3_N6thrust23THRUST_200600_302600_NS6detail15normal_iteratorINS9_10device_ptrIiEEEESE_iNS9_4plusIiEEiEEDaPvRmT3_T4_T5_mT6_P12ihipStream_tbENKUlT_T0_E_clISt17integral_constantIbLb0EEST_IbLb1EEEEDaSP_SQ_EUlSP_E_NS1_11comp_targetILNS1_3genE5ELNS1_11target_archE942ELNS1_3gpuE9ELNS1_3repE0EEENS1_30default_config_static_selectorELNS0_4arch9wavefront6targetE1EEEvT1_: ; @_ZN7rocprim17ROCPRIM_400000_NS6detail17trampoline_kernelINS0_14default_configENS1_20scan_config_selectorIiEEZZNS1_9scan_implILNS1_25lookback_scan_determinismE0ELb1ELb1ES3_N6thrust23THRUST_200600_302600_NS6detail15normal_iteratorINS9_10device_ptrIiEEEESE_iNS9_4plusIiEEiEEDaPvRmT3_T4_T5_mT6_P12ihipStream_tbENKUlT_T0_E_clISt17integral_constantIbLb0EEST_IbLb1EEEEDaSP_SQ_EUlSP_E_NS1_11comp_targetILNS1_3genE5ELNS1_11target_archE942ELNS1_3gpuE9ELNS1_3repE0EEENS1_30default_config_static_selectorELNS0_4arch9wavefront6targetE1EEEvT1_
; %bb.0:
	.section	.rodata,"a",@progbits
	.p2align	6, 0x0
	.amdhsa_kernel _ZN7rocprim17ROCPRIM_400000_NS6detail17trampoline_kernelINS0_14default_configENS1_20scan_config_selectorIiEEZZNS1_9scan_implILNS1_25lookback_scan_determinismE0ELb1ELb1ES3_N6thrust23THRUST_200600_302600_NS6detail15normal_iteratorINS9_10device_ptrIiEEEESE_iNS9_4plusIiEEiEEDaPvRmT3_T4_T5_mT6_P12ihipStream_tbENKUlT_T0_E_clISt17integral_constantIbLb0EEST_IbLb1EEEEDaSP_SQ_EUlSP_E_NS1_11comp_targetILNS1_3genE5ELNS1_11target_archE942ELNS1_3gpuE9ELNS1_3repE0EEENS1_30default_config_static_selectorELNS0_4arch9wavefront6targetE1EEEvT1_
		.amdhsa_group_segment_fixed_size 0
		.amdhsa_private_segment_fixed_size 0
		.amdhsa_kernarg_size 96
		.amdhsa_user_sgpr_count 6
		.amdhsa_user_sgpr_private_segment_buffer 1
		.amdhsa_user_sgpr_dispatch_ptr 0
		.amdhsa_user_sgpr_queue_ptr 0
		.amdhsa_user_sgpr_kernarg_segment_ptr 1
		.amdhsa_user_sgpr_dispatch_id 0
		.amdhsa_user_sgpr_flat_scratch_init 0
		.amdhsa_user_sgpr_kernarg_preload_length 0
		.amdhsa_user_sgpr_kernarg_preload_offset 0
		.amdhsa_user_sgpr_private_segment_size 0
		.amdhsa_uses_dynamic_stack 0
		.amdhsa_system_sgpr_private_segment_wavefront_offset 0
		.amdhsa_system_sgpr_workgroup_id_x 1
		.amdhsa_system_sgpr_workgroup_id_y 0
		.amdhsa_system_sgpr_workgroup_id_z 0
		.amdhsa_system_sgpr_workgroup_info 0
		.amdhsa_system_vgpr_workitem_id 0
		.amdhsa_next_free_vgpr 1
		.amdhsa_next_free_sgpr 0
		.amdhsa_accum_offset 4
		.amdhsa_reserve_vcc 0
		.amdhsa_reserve_flat_scratch 0
		.amdhsa_float_round_mode_32 0
		.amdhsa_float_round_mode_16_64 0
		.amdhsa_float_denorm_mode_32 3
		.amdhsa_float_denorm_mode_16_64 3
		.amdhsa_dx10_clamp 1
		.amdhsa_ieee_mode 1
		.amdhsa_fp16_overflow 0
		.amdhsa_tg_split 0
		.amdhsa_exception_fp_ieee_invalid_op 0
		.amdhsa_exception_fp_denorm_src 0
		.amdhsa_exception_fp_ieee_div_zero 0
		.amdhsa_exception_fp_ieee_overflow 0
		.amdhsa_exception_fp_ieee_underflow 0
		.amdhsa_exception_fp_ieee_inexact 0
		.amdhsa_exception_int_div_zero 0
	.end_amdhsa_kernel
	.section	.text._ZN7rocprim17ROCPRIM_400000_NS6detail17trampoline_kernelINS0_14default_configENS1_20scan_config_selectorIiEEZZNS1_9scan_implILNS1_25lookback_scan_determinismE0ELb1ELb1ES3_N6thrust23THRUST_200600_302600_NS6detail15normal_iteratorINS9_10device_ptrIiEEEESE_iNS9_4plusIiEEiEEDaPvRmT3_T4_T5_mT6_P12ihipStream_tbENKUlT_T0_E_clISt17integral_constantIbLb0EEST_IbLb1EEEEDaSP_SQ_EUlSP_E_NS1_11comp_targetILNS1_3genE5ELNS1_11target_archE942ELNS1_3gpuE9ELNS1_3repE0EEENS1_30default_config_static_selectorELNS0_4arch9wavefront6targetE1EEEvT1_,"axG",@progbits,_ZN7rocprim17ROCPRIM_400000_NS6detail17trampoline_kernelINS0_14default_configENS1_20scan_config_selectorIiEEZZNS1_9scan_implILNS1_25lookback_scan_determinismE0ELb1ELb1ES3_N6thrust23THRUST_200600_302600_NS6detail15normal_iteratorINS9_10device_ptrIiEEEESE_iNS9_4plusIiEEiEEDaPvRmT3_T4_T5_mT6_P12ihipStream_tbENKUlT_T0_E_clISt17integral_constantIbLb0EEST_IbLb1EEEEDaSP_SQ_EUlSP_E_NS1_11comp_targetILNS1_3genE5ELNS1_11target_archE942ELNS1_3gpuE9ELNS1_3repE0EEENS1_30default_config_static_selectorELNS0_4arch9wavefront6targetE1EEEvT1_,comdat
.Lfunc_end715:
	.size	_ZN7rocprim17ROCPRIM_400000_NS6detail17trampoline_kernelINS0_14default_configENS1_20scan_config_selectorIiEEZZNS1_9scan_implILNS1_25lookback_scan_determinismE0ELb1ELb1ES3_N6thrust23THRUST_200600_302600_NS6detail15normal_iteratorINS9_10device_ptrIiEEEESE_iNS9_4plusIiEEiEEDaPvRmT3_T4_T5_mT6_P12ihipStream_tbENKUlT_T0_E_clISt17integral_constantIbLb0EEST_IbLb1EEEEDaSP_SQ_EUlSP_E_NS1_11comp_targetILNS1_3genE5ELNS1_11target_archE942ELNS1_3gpuE9ELNS1_3repE0EEENS1_30default_config_static_selectorELNS0_4arch9wavefront6targetE1EEEvT1_, .Lfunc_end715-_ZN7rocprim17ROCPRIM_400000_NS6detail17trampoline_kernelINS0_14default_configENS1_20scan_config_selectorIiEEZZNS1_9scan_implILNS1_25lookback_scan_determinismE0ELb1ELb1ES3_N6thrust23THRUST_200600_302600_NS6detail15normal_iteratorINS9_10device_ptrIiEEEESE_iNS9_4plusIiEEiEEDaPvRmT3_T4_T5_mT6_P12ihipStream_tbENKUlT_T0_E_clISt17integral_constantIbLb0EEST_IbLb1EEEEDaSP_SQ_EUlSP_E_NS1_11comp_targetILNS1_3genE5ELNS1_11target_archE942ELNS1_3gpuE9ELNS1_3repE0EEENS1_30default_config_static_selectorELNS0_4arch9wavefront6targetE1EEEvT1_
                                        ; -- End function
	.section	.AMDGPU.csdata,"",@progbits
; Kernel info:
; codeLenInByte = 0
; NumSgprs: 4
; NumVgprs: 0
; NumAgprs: 0
; TotalNumVgprs: 0
; ScratchSize: 0
; MemoryBound: 0
; FloatMode: 240
; IeeeMode: 1
; LDSByteSize: 0 bytes/workgroup (compile time only)
; SGPRBlocks: 0
; VGPRBlocks: 0
; NumSGPRsForWavesPerEU: 4
; NumVGPRsForWavesPerEU: 1
; AccumOffset: 4
; Occupancy: 8
; WaveLimiterHint : 0
; COMPUTE_PGM_RSRC2:SCRATCH_EN: 0
; COMPUTE_PGM_RSRC2:USER_SGPR: 6
; COMPUTE_PGM_RSRC2:TRAP_HANDLER: 0
; COMPUTE_PGM_RSRC2:TGID_X_EN: 1
; COMPUTE_PGM_RSRC2:TGID_Y_EN: 0
; COMPUTE_PGM_RSRC2:TGID_Z_EN: 0
; COMPUTE_PGM_RSRC2:TIDIG_COMP_CNT: 0
; COMPUTE_PGM_RSRC3_GFX90A:ACCUM_OFFSET: 0
; COMPUTE_PGM_RSRC3_GFX90A:TG_SPLIT: 0
	.section	.text._ZN7rocprim17ROCPRIM_400000_NS6detail17trampoline_kernelINS0_14default_configENS1_20scan_config_selectorIiEEZZNS1_9scan_implILNS1_25lookback_scan_determinismE0ELb1ELb1ES3_N6thrust23THRUST_200600_302600_NS6detail15normal_iteratorINS9_10device_ptrIiEEEESE_iNS9_4plusIiEEiEEDaPvRmT3_T4_T5_mT6_P12ihipStream_tbENKUlT_T0_E_clISt17integral_constantIbLb0EEST_IbLb1EEEEDaSP_SQ_EUlSP_E_NS1_11comp_targetILNS1_3genE4ELNS1_11target_archE910ELNS1_3gpuE8ELNS1_3repE0EEENS1_30default_config_static_selectorELNS0_4arch9wavefront6targetE1EEEvT1_,"axG",@progbits,_ZN7rocprim17ROCPRIM_400000_NS6detail17trampoline_kernelINS0_14default_configENS1_20scan_config_selectorIiEEZZNS1_9scan_implILNS1_25lookback_scan_determinismE0ELb1ELb1ES3_N6thrust23THRUST_200600_302600_NS6detail15normal_iteratorINS9_10device_ptrIiEEEESE_iNS9_4plusIiEEiEEDaPvRmT3_T4_T5_mT6_P12ihipStream_tbENKUlT_T0_E_clISt17integral_constantIbLb0EEST_IbLb1EEEEDaSP_SQ_EUlSP_E_NS1_11comp_targetILNS1_3genE4ELNS1_11target_archE910ELNS1_3gpuE8ELNS1_3repE0EEENS1_30default_config_static_selectorELNS0_4arch9wavefront6targetE1EEEvT1_,comdat
	.protected	_ZN7rocprim17ROCPRIM_400000_NS6detail17trampoline_kernelINS0_14default_configENS1_20scan_config_selectorIiEEZZNS1_9scan_implILNS1_25lookback_scan_determinismE0ELb1ELb1ES3_N6thrust23THRUST_200600_302600_NS6detail15normal_iteratorINS9_10device_ptrIiEEEESE_iNS9_4plusIiEEiEEDaPvRmT3_T4_T5_mT6_P12ihipStream_tbENKUlT_T0_E_clISt17integral_constantIbLb0EEST_IbLb1EEEEDaSP_SQ_EUlSP_E_NS1_11comp_targetILNS1_3genE4ELNS1_11target_archE910ELNS1_3gpuE8ELNS1_3repE0EEENS1_30default_config_static_selectorELNS0_4arch9wavefront6targetE1EEEvT1_ ; -- Begin function _ZN7rocprim17ROCPRIM_400000_NS6detail17trampoline_kernelINS0_14default_configENS1_20scan_config_selectorIiEEZZNS1_9scan_implILNS1_25lookback_scan_determinismE0ELb1ELb1ES3_N6thrust23THRUST_200600_302600_NS6detail15normal_iteratorINS9_10device_ptrIiEEEESE_iNS9_4plusIiEEiEEDaPvRmT3_T4_T5_mT6_P12ihipStream_tbENKUlT_T0_E_clISt17integral_constantIbLb0EEST_IbLb1EEEEDaSP_SQ_EUlSP_E_NS1_11comp_targetILNS1_3genE4ELNS1_11target_archE910ELNS1_3gpuE8ELNS1_3repE0EEENS1_30default_config_static_selectorELNS0_4arch9wavefront6targetE1EEEvT1_
	.globl	_ZN7rocprim17ROCPRIM_400000_NS6detail17trampoline_kernelINS0_14default_configENS1_20scan_config_selectorIiEEZZNS1_9scan_implILNS1_25lookback_scan_determinismE0ELb1ELb1ES3_N6thrust23THRUST_200600_302600_NS6detail15normal_iteratorINS9_10device_ptrIiEEEESE_iNS9_4plusIiEEiEEDaPvRmT3_T4_T5_mT6_P12ihipStream_tbENKUlT_T0_E_clISt17integral_constantIbLb0EEST_IbLb1EEEEDaSP_SQ_EUlSP_E_NS1_11comp_targetILNS1_3genE4ELNS1_11target_archE910ELNS1_3gpuE8ELNS1_3repE0EEENS1_30default_config_static_selectorELNS0_4arch9wavefront6targetE1EEEvT1_
	.p2align	8
	.type	_ZN7rocprim17ROCPRIM_400000_NS6detail17trampoline_kernelINS0_14default_configENS1_20scan_config_selectorIiEEZZNS1_9scan_implILNS1_25lookback_scan_determinismE0ELb1ELb1ES3_N6thrust23THRUST_200600_302600_NS6detail15normal_iteratorINS9_10device_ptrIiEEEESE_iNS9_4plusIiEEiEEDaPvRmT3_T4_T5_mT6_P12ihipStream_tbENKUlT_T0_E_clISt17integral_constantIbLb0EEST_IbLb1EEEEDaSP_SQ_EUlSP_E_NS1_11comp_targetILNS1_3genE4ELNS1_11target_archE910ELNS1_3gpuE8ELNS1_3repE0EEENS1_30default_config_static_selectorELNS0_4arch9wavefront6targetE1EEEvT1_,@function
_ZN7rocprim17ROCPRIM_400000_NS6detail17trampoline_kernelINS0_14default_configENS1_20scan_config_selectorIiEEZZNS1_9scan_implILNS1_25lookback_scan_determinismE0ELb1ELb1ES3_N6thrust23THRUST_200600_302600_NS6detail15normal_iteratorINS9_10device_ptrIiEEEESE_iNS9_4plusIiEEiEEDaPvRmT3_T4_T5_mT6_P12ihipStream_tbENKUlT_T0_E_clISt17integral_constantIbLb0EEST_IbLb1EEEEDaSP_SQ_EUlSP_E_NS1_11comp_targetILNS1_3genE4ELNS1_11target_archE910ELNS1_3gpuE8ELNS1_3repE0EEENS1_30default_config_static_selectorELNS0_4arch9wavefront6targetE1EEEvT1_: ; @_ZN7rocprim17ROCPRIM_400000_NS6detail17trampoline_kernelINS0_14default_configENS1_20scan_config_selectorIiEEZZNS1_9scan_implILNS1_25lookback_scan_determinismE0ELb1ELb1ES3_N6thrust23THRUST_200600_302600_NS6detail15normal_iteratorINS9_10device_ptrIiEEEESE_iNS9_4plusIiEEiEEDaPvRmT3_T4_T5_mT6_P12ihipStream_tbENKUlT_T0_E_clISt17integral_constantIbLb0EEST_IbLb1EEEEDaSP_SQ_EUlSP_E_NS1_11comp_targetILNS1_3genE4ELNS1_11target_archE910ELNS1_3gpuE8ELNS1_3repE0EEENS1_30default_config_static_selectorELNS0_4arch9wavefront6targetE1EEEvT1_
; %bb.0:
	s_load_dword s33, s[4:5], 0x20
	s_load_dwordx2 s[6:7], s[4:5], 0x28
	v_cmp_ne_u32_e64 s[2:3], 0, v0
	v_cmp_eq_u32_e64 s[0:1], 0, v0
	s_and_saveexec_b64 s[8:9], s[0:1]
	s_cbranch_execz .LBB716_4
; %bb.1:
	s_mov_b64 s[12:13], exec
	v_mbcnt_lo_u32_b32 v1, s12, 0
	v_mbcnt_hi_u32_b32 v1, s13, v1
	v_cmp_eq_u32_e32 vcc, 0, v1
                                        ; implicit-def: $vgpr2
	s_and_saveexec_b64 s[10:11], vcc
	s_cbranch_execz .LBB716_3
; %bb.2:
	s_load_dwordx2 s[14:15], s[4:5], 0x58
	s_bcnt1_i32_b64 s12, s[12:13]
	v_mov_b32_e32 v2, 0
	v_mov_b32_e32 v3, s12
	s_waitcnt lgkmcnt(0)
	global_atomic_add v2, v2, v3, s[14:15] glc
.LBB716_3:
	s_or_b64 exec, exec, s[10:11]
	s_waitcnt vmcnt(0)
	v_readfirstlane_b32 s10, v2
	v_add_u32_e32 v1, s10, v1
	v_mov_b32_e32 v2, 0
	ds_write_b32 v2, v1
.LBB716_4:
	s_or_b64 exec, exec, s[8:9]
	s_load_dwordx8 s[16:23], s[4:5], 0x0
	s_load_dword s24, s[4:5], 0x30
	s_load_dwordx8 s[8:15], s[4:5], 0x38
	v_mov_b32_e32 v1, 0
	s_waitcnt lgkmcnt(0)
	s_barrier
	ds_read_b32 v1, v1
	s_lshl_b64 s[18:19], s[18:19], 2
	s_add_u32 s34, s16, s18
	s_addc_u32 s35, s17, s19
	s_add_i32 s16, s24, -1
	s_mul_i32 s17, s16, 0x500
	s_sub_u32 s30, s22, s17
	s_waitcnt lgkmcnt(0)
	v_readfirstlane_b32 s36, v1
	s_subb_u32 s31, s23, 0
	s_mul_i32 s4, s36, 0x500
	s_mov_b32 s5, 0
	s_cmp_lg_u32 s36, s16
	s_cselect_b64 s[16:17], -1, 0
	s_lshl_b64 s[22:23], s[4:5], 2
	s_add_u32 s24, s34, s22
	s_addc_u32 s25, s35, s23
	s_mov_b64 s[4:5], -1
	s_and_b64 vcc, exec, s[16:17]
	v_lshlrev_b32_e32 v22, 2, v0
	s_barrier
	s_cbranch_vccz .LBB716_6
; %bb.5:
	v_mov_b32_e32 v1, s25
	v_add_co_u32_e32 v2, vcc, s24, v22
	v_addc_co_u32_e32 v3, vcc, 0, v1, vcc
	flat_load_dword v1, v[2:3]
	flat_load_dword v4, v[2:3] offset:512
	flat_load_dword v5, v[2:3] offset:1024
	;; [unrolled: 1-line block ×7, first 2 shown]
	v_add_co_u32_e32 v2, vcc, 0x1000, v2
	v_addc_co_u32_e32 v3, vcc, 0, v3, vcc
	flat_load_dword v11, v[2:3]
	flat_load_dword v12, v[2:3] offset:512
	s_mov_b64 s[4:5], 0
	s_waitcnt vmcnt(0) lgkmcnt(0)
	ds_write2st64_b32 v22, v1, v4 offset1:2
	ds_write2st64_b32 v22, v5, v6 offset0:4 offset1:6
	ds_write2st64_b32 v22, v7, v8 offset0:8 offset1:10
	;; [unrolled: 1-line block ×4, first 2 shown]
	s_waitcnt lgkmcnt(0)
	s_barrier
.LBB716_6:
	s_andn2_b64 vcc, exec, s[4:5]
	v_cmp_gt_u32_e64 s[4:5], s30, v0
	s_cbranch_vccnz .LBB716_28
; %bb.7:
	v_pk_mov_b32 v[2:3], s[24:25], s[24:25] op_sel:[0,1]
	flat_load_dword v1, v[2:3]
	s_waitcnt vmcnt(0) lgkmcnt(0)
	v_mov_b32_e32 v2, v1
	v_mov_b32_e32 v3, v1
	;; [unrolled: 1-line block ×9, first 2 shown]
	s_and_saveexec_b64 s[26:27], s[4:5]
	s_cbranch_execz .LBB716_9
; %bb.8:
	v_mov_b32_e32 v11, s25
	v_add_co_u32_e32 v10, vcc, s24, v22
	v_addc_co_u32_e32 v11, vcc, 0, v11, vcc
	flat_load_dword v10, v[10:11]
.LBB716_9:
	s_or_b64 exec, exec, s[26:27]
	v_or_b32_e32 v11, 0x80, v0
	v_cmp_gt_u32_e32 vcc, s30, v11
	s_and_saveexec_b64 s[4:5], vcc
	s_cbranch_execz .LBB716_11
; %bb.10:
	v_mov_b32_e32 v1, s25
	v_add_co_u32_e32 v12, vcc, s24, v22
	v_addc_co_u32_e32 v13, vcc, 0, v1, vcc
	flat_load_dword v1, v[12:13] offset:512
.LBB716_11:
	s_or_b64 exec, exec, s[4:5]
	v_or_b32_e32 v11, 0x100, v0
	v_cmp_gt_u32_e32 vcc, s30, v11
	s_and_saveexec_b64 s[4:5], vcc
	s_cbranch_execz .LBB716_13
; %bb.12:
	v_mov_b32_e32 v2, s25
	v_add_co_u32_e32 v12, vcc, s24, v22
	v_addc_co_u32_e32 v13, vcc, 0, v2, vcc
	flat_load_dword v2, v[12:13] offset:1024
.LBB716_13:
	s_or_b64 exec, exec, s[4:5]
	v_or_b32_e32 v11, 0x180, v0
	v_cmp_gt_u32_e32 vcc, s30, v11
	s_and_saveexec_b64 s[4:5], vcc
	s_cbranch_execz .LBB716_15
; %bb.14:
	v_mov_b32_e32 v3, s25
	v_add_co_u32_e32 v12, vcc, s24, v22
	v_addc_co_u32_e32 v13, vcc, 0, v3, vcc
	flat_load_dword v3, v[12:13] offset:1536
.LBB716_15:
	s_or_b64 exec, exec, s[4:5]
	v_or_b32_e32 v11, 0x200, v0
	v_cmp_gt_u32_e32 vcc, s30, v11
	s_and_saveexec_b64 s[4:5], vcc
	s_cbranch_execz .LBB716_17
; %bb.16:
	v_mov_b32_e32 v4, s25
	v_add_co_u32_e32 v12, vcc, s24, v22
	v_addc_co_u32_e32 v13, vcc, 0, v4, vcc
	flat_load_dword v4, v[12:13] offset:2048
.LBB716_17:
	s_or_b64 exec, exec, s[4:5]
	v_or_b32_e32 v11, 0x280, v0
	v_cmp_gt_u32_e32 vcc, s30, v11
	s_and_saveexec_b64 s[4:5], vcc
	s_cbranch_execz .LBB716_19
; %bb.18:
	v_mov_b32_e32 v5, s25
	v_add_co_u32_e32 v12, vcc, s24, v22
	v_addc_co_u32_e32 v13, vcc, 0, v5, vcc
	flat_load_dword v5, v[12:13] offset:2560
.LBB716_19:
	s_or_b64 exec, exec, s[4:5]
	v_or_b32_e32 v11, 0x300, v0
	v_cmp_gt_u32_e32 vcc, s30, v11
	s_and_saveexec_b64 s[4:5], vcc
	s_cbranch_execz .LBB716_21
; %bb.20:
	v_mov_b32_e32 v6, s25
	v_add_co_u32_e32 v12, vcc, s24, v22
	v_addc_co_u32_e32 v13, vcc, 0, v6, vcc
	flat_load_dword v6, v[12:13] offset:3072
.LBB716_21:
	s_or_b64 exec, exec, s[4:5]
	v_or_b32_e32 v11, 0x380, v0
	v_cmp_gt_u32_e32 vcc, s30, v11
	s_and_saveexec_b64 s[4:5], vcc
	s_cbranch_execz .LBB716_23
; %bb.22:
	v_mov_b32_e32 v7, s25
	v_add_co_u32_e32 v12, vcc, s24, v22
	v_addc_co_u32_e32 v13, vcc, 0, v7, vcc
	flat_load_dword v7, v[12:13] offset:3584
.LBB716_23:
	s_or_b64 exec, exec, s[4:5]
	v_or_b32_e32 v11, 0x400, v0
	v_cmp_gt_u32_e32 vcc, s30, v11
	s_and_saveexec_b64 s[4:5], vcc
	s_cbranch_execz .LBB716_25
; %bb.24:
	v_lshlrev_b32_e32 v8, 2, v11
	v_mov_b32_e32 v11, s25
	v_add_co_u32_e32 v12, vcc, s24, v8
	v_addc_co_u32_e32 v13, vcc, 0, v11, vcc
	flat_load_dword v8, v[12:13]
.LBB716_25:
	s_or_b64 exec, exec, s[4:5]
	v_or_b32_e32 v11, 0x480, v0
	v_cmp_gt_u32_e32 vcc, s30, v11
	s_and_saveexec_b64 s[4:5], vcc
	s_cbranch_execz .LBB716_27
; %bb.26:
	v_lshlrev_b32_e32 v9, 2, v11
	v_mov_b32_e32 v11, s25
	v_add_co_u32_e32 v12, vcc, s24, v9
	v_addc_co_u32_e32 v13, vcc, 0, v11, vcc
	flat_load_dword v9, v[12:13]
.LBB716_27:
	s_or_b64 exec, exec, s[4:5]
	s_waitcnt vmcnt(0) lgkmcnt(0)
	ds_write2st64_b32 v22, v10, v1 offset1:2
	ds_write2st64_b32 v22, v2, v3 offset0:4 offset1:6
	ds_write2st64_b32 v22, v4, v5 offset0:8 offset1:10
	;; [unrolled: 1-line block ×4, first 2 shown]
	s_waitcnt lgkmcnt(0)
	s_barrier
.LBB716_28:
	v_mul_u32_u24_e32 v23, 10, v0
	v_lshlrev_b32_e32 v1, 2, v23
	ds_read2_b64 v[16:19], v1 offset1:1
	ds_read2_b64 v[12:15], v1 offset0:2 offset1:3
	ds_read_b64 v[20:21], v1 offset:32
	s_cmp_lg_u32 s36, 0
	v_lshrrev_b32_e32 v24, 5, v0
	s_waitcnt lgkmcnt(2)
	v_add_u32_e32 v2, v17, v16
	v_add3_u32 v25, v2, v18, v19
	v_cmp_gt_u32_e32 vcc, 64, v0
	s_waitcnt lgkmcnt(0)
	s_barrier
	s_cbranch_scc0 .LBB716_53
; %bb.29:
	v_add3_u32 v2, v25, v12, v13
	v_add3_u32 v2, v2, v14, v15
	;; [unrolled: 1-line block ×3, first 2 shown]
	v_add_lshl_u32 v3, v24, v0, 2
	ds_write_b32 v3, v2
	s_waitcnt lgkmcnt(0)
	s_barrier
	s_and_saveexec_b64 s[24:25], vcc
	s_cbranch_execz .LBB716_31
; %bb.30:
	v_lshlrev_b32_e32 v3, 1, v0
	v_lshrrev_b32_e32 v4, 4, v0
	v_add_lshl_u32 v3, v4, v3, 2
	ds_read2_b32 v[4:5], v3 offset1:1
	v_mbcnt_lo_u32_b32 v6, -1, 0
	v_mbcnt_hi_u32_b32 v6, -1, v6
	v_and_b32_e32 v7, 15, v6
	v_cmp_ne_u32_e64 s[4:5], 0, v7
	s_waitcnt lgkmcnt(0)
	v_add_u32_e32 v5, v5, v4
	; wave barrier
	s_nop 1
	v_mov_b32_dpp v8, v5 row_shr:1 row_mask:0xf bank_mask:0xf
	v_cndmask_b32_e64 v8, 0, v8, s[4:5]
	v_add_u32_e32 v5, v8, v5
	v_cmp_lt_u32_e64 s[4:5], 1, v7
	s_nop 0
	v_mov_b32_dpp v8, v5 row_shr:2 row_mask:0xf bank_mask:0xf
	v_cndmask_b32_e64 v8, 0, v8, s[4:5]
	v_add_u32_e32 v5, v5, v8
	v_cmp_lt_u32_e64 s[4:5], 3, v7
	;; [unrolled: 5-line block ×3, first 2 shown]
	s_nop 0
	v_mov_b32_dpp v8, v5 row_shr:8 row_mask:0xf bank_mask:0xf
	v_cndmask_b32_e64 v7, 0, v8, s[4:5]
	v_add_u32_e32 v5, v5, v7
	v_bfe_i32 v8, v6, 4, 1
	v_cmp_lt_u32_e64 s[4:5], 31, v6
	v_mov_b32_dpp v7, v5 row_bcast:15 row_mask:0xf bank_mask:0xf
	v_and_b32_e32 v7, v8, v7
	v_add_u32_e32 v5, v5, v7
	v_and_b32_e32 v8, 64, v6
	s_nop 0
	v_mov_b32_dpp v7, v5 row_bcast:31 row_mask:0xf bank_mask:0xf
	v_cndmask_b32_e64 v7, 0, v7, s[4:5]
	v_add_u32_e32 v5, v5, v7
	v_add_u32_e32 v7, -1, v6
	v_cmp_lt_i32_e64 s[4:5], v7, v8
	v_cndmask_b32_e64 v6, v7, v6, s[4:5]
	v_lshlrev_b32_e32 v6, 2, v6
	ds_bpermute_b32 v5, v6, v5
	s_waitcnt lgkmcnt(0)
	v_add_u32_e32 v4, v5, v4
	v_cndmask_b32_e64 v2, v4, v2, s[0:1]
	ds_write_b32 v3, v2
	; wave barrier
	ds_read_b32 v4, v3 offset:4
	s_waitcnt lgkmcnt(0)
	v_add_u32_e32 v2, v4, v2
	ds_write_b32 v3, v2 offset:4
.LBB716_31:
	s_or_b64 exec, exec, s[24:25]
	v_mov_b32_e32 v26, 0
	s_waitcnt lgkmcnt(0)
	s_barrier
	s_and_saveexec_b64 s[4:5], s[2:3]
	s_cbranch_execz .LBB716_33
; %bb.32:
	v_add_u32_e32 v2, -1, v0
	v_lshrrev_b32_e32 v3, 5, v2
	v_add_lshl_u32 v2, v3, v2, 2
	ds_read_b32 v26, v2
.LBB716_33:
	s_or_b64 exec, exec, s[4:5]
	s_and_saveexec_b64 s[24:25], vcc
	s_cbranch_execz .LBB716_52
; %bb.34:
	v_mov_b32_e32 v9, 0
	ds_read_b32 v2, v9 offset:520
	v_mbcnt_lo_u32_b32 v3, -1, 0
	v_mbcnt_hi_u32_b32 v5, -1, v3
	s_mov_b32 s29, 0
	v_cmp_eq_u32_e64 s[4:5], 0, v5
	s_and_saveexec_b64 s[26:27], s[4:5]
	s_cbranch_execz .LBB716_36
; %bb.35:
	s_add_i32 s28, s36, 64
	s_lshl_b64 s[28:29], s[28:29], 3
	s_add_u32 s28, s6, s28
	v_mov_b32_e32 v3, 1
	s_addc_u32 s29, s7, s29
	s_waitcnt lgkmcnt(0)
	global_store_dwordx2 v9, v[2:3], s[28:29]
.LBB716_36:
	s_or_b64 exec, exec, s[26:27]
	v_xad_u32 v4, v5, -1, s36
	v_add_u32_e32 v8, 64, v4
	v_lshlrev_b64 v[6:7], 3, v[8:9]
	v_mov_b32_e32 v3, s7
	v_add_co_u32_e32 v10, vcc, s6, v6
	v_addc_co_u32_e32 v11, vcc, v3, v7, vcc
	global_load_dwordx2 v[6:7], v[10:11], off glc
	s_waitcnt vmcnt(0)
	v_cmp_eq_u16_sdwa s[28:29], v7, v9 src0_sel:BYTE_0 src1_sel:DWORD
	s_and_saveexec_b64 s[26:27], s[28:29]
	s_cbranch_execz .LBB716_40
; %bb.37:
	s_mov_b64 s[28:29], 0
	v_mov_b32_e32 v3, 0
.LBB716_38:                             ; =>This Inner Loop Header: Depth=1
	global_load_dwordx2 v[6:7], v[10:11], off glc
	s_waitcnt vmcnt(0)
	v_cmp_ne_u16_sdwa s[38:39], v7, v3 src0_sel:BYTE_0 src1_sel:DWORD
	s_or_b64 s[28:29], s[38:39], s[28:29]
	s_andn2_b64 exec, exec, s[28:29]
	s_cbranch_execnz .LBB716_38
; %bb.39:
	s_or_b64 exec, exec, s[28:29]
.LBB716_40:
	s_or_b64 exec, exec, s[26:27]
	v_and_b32_e32 v27, 63, v5
	v_mov_b32_e32 v3, 2
	v_cmp_ne_u32_e32 vcc, 63, v27
	v_cmp_eq_u16_sdwa s[26:27], v7, v3 src0_sel:BYTE_0 src1_sel:DWORD
	v_lshlrev_b64 v[8:9], v5, -1
	v_addc_co_u32_e32 v28, vcc, 0, v5, vcc
	v_and_b32_e32 v10, s27, v9
	v_lshlrev_b32_e32 v28, 2, v28
	v_or_b32_e32 v10, 0x80000000, v10
	ds_bpermute_b32 v29, v28, v6
	v_and_b32_e32 v11, s26, v8
	v_ffbl_b32_e32 v10, v10
	v_add_u32_e32 v10, 32, v10
	v_ffbl_b32_e32 v11, v11
	v_min_u32_e32 v10, v11, v10
	v_cmp_lt_u32_e32 vcc, v27, v10
	s_waitcnt lgkmcnt(0)
	v_cndmask_b32_e32 v11, 0, v29, vcc
	v_cmp_gt_u32_e32 vcc, 62, v27
	v_add_u32_e32 v6, v11, v6
	v_cndmask_b32_e64 v11, 0, 1, vcc
	v_lshlrev_b32_e32 v11, 1, v11
	v_add_lshl_u32 v29, v11, v5, 2
	ds_bpermute_b32 v11, v29, v6
	v_add_u32_e32 v30, 2, v27
	v_cmp_le_u32_e32 vcc, v30, v10
	v_add_u32_e32 v32, 4, v27
	v_add_u32_e32 v34, 8, v27
	s_waitcnt lgkmcnt(0)
	v_cndmask_b32_e32 v11, 0, v11, vcc
	v_cmp_gt_u32_e32 vcc, 60, v27
	v_add_u32_e32 v6, v6, v11
	v_cndmask_b32_e64 v11, 0, 1, vcc
	v_lshlrev_b32_e32 v11, 2, v11
	v_add_lshl_u32 v31, v11, v5, 2
	ds_bpermute_b32 v11, v31, v6
	v_cmp_le_u32_e32 vcc, v32, v10
	v_add_u32_e32 v37, 16, v27
	v_add_u32_e32 v39, 32, v27
	s_waitcnt lgkmcnt(0)
	v_cndmask_b32_e32 v11, 0, v11, vcc
	v_cmp_gt_u32_e32 vcc, 56, v27
	v_add_u32_e32 v6, v6, v11
	v_cndmask_b32_e64 v11, 0, 1, vcc
	v_lshlrev_b32_e32 v11, 3, v11
	v_add_lshl_u32 v33, v11, v5, 2
	ds_bpermute_b32 v11, v33, v6
	v_cmp_le_u32_e32 vcc, v34, v10
	s_waitcnt lgkmcnt(0)
	v_cndmask_b32_e32 v11, 0, v11, vcc
	v_cmp_gt_u32_e32 vcc, 48, v27
	v_add_u32_e32 v6, v6, v11
	v_cndmask_b32_e64 v11, 0, 1, vcc
	v_lshlrev_b32_e32 v11, 4, v11
	v_add_lshl_u32 v36, v11, v5, 2
	ds_bpermute_b32 v11, v36, v6
	v_cmp_le_u32_e32 vcc, v37, v10
	;; [unrolled: 9-line block ×3, first 2 shown]
	s_waitcnt lgkmcnt(0)
	v_cndmask_b32_e32 v5, 0, v5, vcc
	v_add_u32_e32 v6, v6, v5
	v_mov_b32_e32 v5, 0
	s_branch .LBB716_42
.LBB716_41:                             ;   in Loop: Header=BB716_42 Depth=1
	s_or_b64 exec, exec, s[26:27]
	v_cmp_eq_u16_sdwa s[26:27], v7, v3 src0_sel:BYTE_0 src1_sel:DWORD
	v_and_b32_e32 v10, s27, v9
	v_or_b32_e32 v10, 0x80000000, v10
	ds_bpermute_b32 v40, v28, v6
	v_and_b32_e32 v11, s26, v8
	v_ffbl_b32_e32 v10, v10
	v_add_u32_e32 v10, 32, v10
	v_ffbl_b32_e32 v11, v11
	v_min_u32_e32 v10, v11, v10
	v_cmp_lt_u32_e32 vcc, v27, v10
	s_waitcnt lgkmcnt(0)
	v_cndmask_b32_e32 v11, 0, v40, vcc
	v_add_u32_e32 v6, v11, v6
	ds_bpermute_b32 v11, v29, v6
	v_cmp_le_u32_e32 vcc, v30, v10
	v_subrev_u32_e32 v4, 64, v4
	s_waitcnt lgkmcnt(0)
	v_cndmask_b32_e32 v11, 0, v11, vcc
	v_add_u32_e32 v6, v6, v11
	ds_bpermute_b32 v11, v31, v6
	v_cmp_le_u32_e32 vcc, v32, v10
	s_waitcnt lgkmcnt(0)
	v_cndmask_b32_e32 v11, 0, v11, vcc
	v_add_u32_e32 v6, v6, v11
	ds_bpermute_b32 v11, v33, v6
	v_cmp_le_u32_e32 vcc, v34, v10
	;; [unrolled: 5-line block ×4, first 2 shown]
	s_waitcnt lgkmcnt(0)
	v_cndmask_b32_e32 v10, 0, v11, vcc
	v_add3_u32 v6, v10, v35, v6
.LBB716_42:                             ; =>This Loop Header: Depth=1
                                        ;     Child Loop BB716_45 Depth 2
	v_cmp_ne_u16_sdwa s[26:27], v7, v3 src0_sel:BYTE_0 src1_sel:DWORD
	v_cndmask_b32_e64 v7, 0, 1, s[26:27]
	;;#ASMSTART
	;;#ASMEND
	v_cmp_ne_u32_e32 vcc, 0, v7
	s_cmp_lg_u64 vcc, exec
	v_mov_b32_e32 v35, v6
	s_cbranch_scc1 .LBB716_47
; %bb.43:                               ;   in Loop: Header=BB716_42 Depth=1
	v_lshlrev_b64 v[6:7], 3, v[4:5]
	v_mov_b32_e32 v11, s7
	v_add_co_u32_e32 v10, vcc, s6, v6
	v_addc_co_u32_e32 v11, vcc, v11, v7, vcc
	global_load_dwordx2 v[6:7], v[10:11], off glc
	s_waitcnt vmcnt(0)
	v_cmp_eq_u16_sdwa s[28:29], v7, v5 src0_sel:BYTE_0 src1_sel:DWORD
	s_and_saveexec_b64 s[26:27], s[28:29]
	s_cbranch_execz .LBB716_41
; %bb.44:                               ;   in Loop: Header=BB716_42 Depth=1
	s_mov_b64 s[28:29], 0
.LBB716_45:                             ;   Parent Loop BB716_42 Depth=1
                                        ; =>  This Inner Loop Header: Depth=2
	global_load_dwordx2 v[6:7], v[10:11], off glc
	s_waitcnt vmcnt(0)
	v_cmp_ne_u16_sdwa s[38:39], v7, v5 src0_sel:BYTE_0 src1_sel:DWORD
	s_or_b64 s[28:29], s[38:39], s[28:29]
	s_andn2_b64 exec, exec, s[28:29]
	s_cbranch_execnz .LBB716_45
; %bb.46:                               ;   in Loop: Header=BB716_42 Depth=1
	s_or_b64 exec, exec, s[28:29]
	s_branch .LBB716_41
.LBB716_47:                             ;   in Loop: Header=BB716_42 Depth=1
                                        ; implicit-def: $vgpr6
                                        ; implicit-def: $vgpr7
	s_cbranch_execz .LBB716_42
; %bb.48:
	s_and_saveexec_b64 s[26:27], s[4:5]
	s_cbranch_execz .LBB716_50
; %bb.49:
	s_add_i32 s4, s36, 64
	s_mov_b32 s5, 0
	s_lshl_b64 s[4:5], s[4:5], 3
	s_add_u32 s4, s6, s4
	v_add_u32_e32 v2, v35, v2
	v_mov_b32_e32 v3, 2
	s_addc_u32 s5, s7, s5
	v_mov_b32_e32 v4, 0
	global_store_dwordx2 v4, v[2:3], s[4:5]
.LBB716_50:
	s_or_b64 exec, exec, s[26:27]
	s_and_b64 exec, exec, s[0:1]
	s_cbranch_execz .LBB716_52
; %bb.51:
	v_mov_b32_e32 v2, 0
	ds_write_b32 v2, v35
.LBB716_52:
	s_or_b64 exec, exec, s[24:25]
	v_mov_b32_e32 v2, 0
	s_waitcnt lgkmcnt(0)
	s_barrier
	ds_read_b32 v2, v2
	s_waitcnt lgkmcnt(0)
	v_add_u32_e32 v2, v2, v26
	v_add_u32_e32 v3, v2, v16
	v_add_u32_e32 v4, v3, v17
	v_add_u32_e32 v5, v4, v18
	v_add_u32_e32 v6, v5, v19
	v_add_u32_e32 v7, v6, v12
	v_add_u32_e32 v8, v7, v13
	v_add_u32_e32 v9, v8, v14
	v_add_u32_e32 v10, v9, v15
	v_add_u32_e32 v11, v10, v20
	s_branch .LBB716_63
.LBB716_53:
                                        ; implicit-def: $vgpr2_vgpr3_vgpr4_vgpr5_vgpr6_vgpr7_vgpr8_vgpr9_vgpr10_vgpr11
	s_cbranch_execz .LBB716_63
; %bb.54:
	s_cmp_eq_u64 s[12:13], 0
	v_mov_b32_e32 v26, s33
	s_cbranch_scc1 .LBB716_56
; %bb.55:
	v_mov_b32_e32 v3, s35
	v_add_co_u32_e64 v2, vcc, -4, s34
	v_addc_co_u32_e32 v3, vcc, -1, v3, vcc
	v_mov_b32_e32 v4, 0
	flat_load_dword v5, v[2:3]
	global_load_dword v6, v4, s[8:9]
	s_waitcnt vmcnt(0) lgkmcnt(0)
	v_add_u32_e32 v26, v6, v5
.LBB716_56:
	v_add3_u32 v2, v25, v12, v13
	v_add3_u32 v2, v2, v14, v15
	;; [unrolled: 1-line block ×3, first 2 shown]
	v_add_lshl_u32 v3, v24, v0, 2
	v_cmp_gt_u32_e32 vcc, 64, v0
	ds_write_b32 v3, v2
	s_waitcnt lgkmcnt(0)
	s_barrier
	s_and_saveexec_b64 s[4:5], vcc
	s_cbranch_execz .LBB716_58
; %bb.57:
	v_lshlrev_b32_e32 v3, 1, v0
	v_lshrrev_b32_e32 v4, 4, v0
	v_add_lshl_u32 v3, v4, v3, 2
	ds_read2_b32 v[4:5], v3 offset1:1
	v_mbcnt_lo_u32_b32 v6, -1, 0
	v_mbcnt_hi_u32_b32 v6, -1, v6
	v_and_b32_e32 v7, 15, v6
	v_cmp_ne_u32_e32 vcc, 0, v7
	s_waitcnt lgkmcnt(0)
	v_add_u32_e32 v5, v5, v4
	; wave barrier
	s_nop 1
	v_mov_b32_dpp v8, v5 row_shr:1 row_mask:0xf bank_mask:0xf
	v_cndmask_b32_e32 v8, 0, v8, vcc
	v_add_u32_e32 v5, v8, v5
	v_cmp_lt_u32_e32 vcc, 1, v7
	s_nop 0
	v_mov_b32_dpp v8, v5 row_shr:2 row_mask:0xf bank_mask:0xf
	v_cndmask_b32_e32 v8, 0, v8, vcc
	v_add_u32_e32 v5, v5, v8
	v_cmp_lt_u32_e32 vcc, 3, v7
	s_nop 0
	v_mov_b32_dpp v8, v5 row_shr:4 row_mask:0xf bank_mask:0xf
	v_cndmask_b32_e32 v8, 0, v8, vcc
	v_add_u32_e32 v5, v5, v8
	v_cmp_lt_u32_e32 vcc, 7, v7
	s_nop 0
	v_mov_b32_dpp v8, v5 row_shr:8 row_mask:0xf bank_mask:0xf
	v_cndmask_b32_e32 v7, 0, v8, vcc
	v_add_u32_e32 v5, v5, v7
	v_bfe_i32 v8, v6, 4, 1
	v_cmp_lt_u32_e32 vcc, 31, v6
	v_mov_b32_dpp v7, v5 row_bcast:15 row_mask:0xf bank_mask:0xf
	v_and_b32_e32 v7, v8, v7
	v_add_u32_e32 v5, v5, v7
	v_and_b32_e32 v8, 64, v6
	s_nop 0
	v_mov_b32_dpp v7, v5 row_bcast:31 row_mask:0xf bank_mask:0xf
	v_cndmask_b32_e32 v7, 0, v7, vcc
	v_add_u32_e32 v5, v5, v7
	v_add_u32_e32 v7, -1, v6
	v_cmp_lt_i32_e32 vcc, v7, v8
	v_cndmask_b32_e32 v6, v7, v6, vcc
	v_lshlrev_b32_e32 v6, 2, v6
	ds_bpermute_b32 v5, v6, v5
	s_waitcnt lgkmcnt(0)
	v_add_u32_e32 v4, v5, v4
	v_cndmask_b32_e64 v2, v4, v2, s[0:1]
	ds_write_b32 v3, v2
	; wave barrier
	ds_read_b32 v4, v3 offset:4
	s_waitcnt lgkmcnt(0)
	v_add_u32_e32 v2, v4, v2
	ds_write_b32 v3, v2 offset:4
.LBB716_58:
	s_or_b64 exec, exec, s[4:5]
	v_mov_b32_e32 v2, v26
	s_waitcnt lgkmcnt(0)
	s_barrier
	s_and_saveexec_b64 s[4:5], s[2:3]
	s_cbranch_execz .LBB716_60
; %bb.59:
	v_add_u32_e32 v2, -1, v0
	v_lshrrev_b32_e32 v3, 5, v2
	v_add_lshl_u32 v2, v3, v2, 2
	ds_read_b32 v2, v2
	s_waitcnt lgkmcnt(0)
	v_add_u32_e32 v2, v2, v26
.LBB716_60:
	s_or_b64 exec, exec, s[4:5]
	v_add_u32_e32 v3, v2, v16
	v_add_u32_e32 v4, v3, v17
	;; [unrolled: 1-line block ×9, first 2 shown]
	s_and_saveexec_b64 s[2:3], s[0:1]
	s_cbranch_execz .LBB716_62
; %bb.61:
	v_mov_b32_e32 v14, 0
	ds_read_b32 v12, v14 offset:520
	v_mov_b32_e32 v13, 2
	s_waitcnt lgkmcnt(0)
	v_add_u32_e32 v12, v12, v26
	global_store_dwordx2 v14, v[12:13], s[6:7] offset:512
.LBB716_62:
	s_or_b64 exec, exec, s[2:3]
.LBB716_63:
	s_add_u32 s0, s20, s18
	s_addc_u32 s1, s21, s19
	s_add_u32 s2, s0, s22
	s_addc_u32 s3, s1, s23
	s_mov_b64 s[0:1], -1
	s_and_b64 vcc, exec, s[16:17]
	s_barrier
	s_cbranch_vccz .LBB716_65
; %bb.64:
	ds_write2_b64 v1, v[2:3], v[4:5] offset1:1
	ds_write2_b64 v1, v[6:7], v[8:9] offset0:2 offset1:3
	ds_write_b64 v1, v[10:11] offset:32
	s_waitcnt lgkmcnt(0)
	s_barrier
	ds_read2st64_b32 v[12:13], v22 offset1:2
	ds_read2st64_b32 v[14:15], v22 offset0:4 offset1:6
	ds_read2st64_b32 v[16:17], v22 offset0:8 offset1:10
	;; [unrolled: 1-line block ×4, first 2 shown]
	v_mov_b32_e32 v25, s3
	v_add_co_u32_e32 v24, vcc, s2, v22
	v_addc_co_u32_e32 v25, vcc, 0, v25, vcc
	s_waitcnt lgkmcnt(4)
	flat_store_dword v[24:25], v12
	flat_store_dword v[24:25], v13 offset:512
	s_waitcnt lgkmcnt(0)
	flat_store_dword v[24:25], v14 offset:1024
	flat_store_dword v[24:25], v15 offset:1536
	flat_store_dword v[24:25], v16 offset:2048
	flat_store_dword v[24:25], v17 offset:2560
	flat_store_dword v[24:25], v18 offset:3072
	flat_store_dword v[24:25], v19 offset:3584
	v_add_co_u32_e32 v12, vcc, 0x1000, v24
	v_addc_co_u32_e32 v13, vcc, 0, v25, vcc
	flat_store_dword v[12:13], v20
	flat_store_dword v[12:13], v21 offset:512
	s_mov_b64 s[0:1], 0
.LBB716_65:
	s_andn2_b64 vcc, exec, s[0:1]
	s_cbranch_vccnz .LBB716_121
; %bb.66:
	ds_write2_b64 v1, v[2:3], v[4:5] offset1:1
	ds_write2_b64 v1, v[6:7], v[8:9] offset0:2 offset1:3
	ds_write_b64 v1, v[10:11] offset:32
	s_waitcnt lgkmcnt(0)
	s_barrier
	ds_read2st64_b32 v[2:3], v22 offset1:2
	ds_read2st64_b32 v[6:7], v22 offset0:4 offset1:6
	ds_read2st64_b32 v[4:5], v22 offset0:8 offset1:10
	;; [unrolled: 1-line block ×4, first 2 shown]
	v_mov_b32_e32 v13, s3
	v_add_co_u32_e32 v12, vcc, s2, v22
	v_addc_co_u32_e32 v13, vcc, 0, v13, vcc
	v_mov_b32_e32 v1, 0
	v_cmp_gt_u32_e32 vcc, s30, v0
	s_and_saveexec_b64 s[0:1], vcc
	s_cbranch_execz .LBB716_68
; %bb.67:
	s_waitcnt lgkmcnt(0)
	flat_store_dword v[12:13], v2
.LBB716_68:
	s_or_b64 exec, exec, s[0:1]
	v_or_b32_e32 v14, 0x80, v0
	v_cmp_gt_u32_e32 vcc, s30, v14
	s_and_saveexec_b64 s[0:1], vcc
	s_cbranch_execz .LBB716_70
; %bb.69:
	s_waitcnt lgkmcnt(0)
	flat_store_dword v[12:13], v3 offset:512
.LBB716_70:
	s_or_b64 exec, exec, s[0:1]
	v_or_b32_e32 v14, 0x100, v0
	v_cmp_gt_u32_e32 vcc, s30, v14
	s_and_saveexec_b64 s[0:1], vcc
	s_cbranch_execz .LBB716_72
; %bb.71:
	s_waitcnt lgkmcnt(0)
	flat_store_dword v[12:13], v6 offset:1024
.LBB716_72:
	;; [unrolled: 9-line block ×7, first 2 shown]
	s_or_b64 exec, exec, s[0:1]
	v_or_b32_e32 v14, 0x400, v0
	v_cmp_gt_u32_e32 vcc, s30, v14
	s_and_saveexec_b64 s[0:1], vcc
	s_cbranch_execz .LBB716_84
; %bb.83:
	v_add_co_u32_e32 v14, vcc, 0x1000, v12
	v_addc_co_u32_e32 v15, vcc, 0, v13, vcc
	s_waitcnt lgkmcnt(0)
	flat_store_dword v[14:15], v10
.LBB716_84:
	s_or_b64 exec, exec, s[0:1]
	v_or_b32_e32 v14, 0x480, v0
	v_cmp_gt_u32_e32 vcc, s30, v14
	s_and_saveexec_b64 s[0:1], vcc
	s_cbranch_execz .LBB716_86
; %bb.85:
	v_add_co_u32_e32 v12, vcc, 0x1000, v12
	v_addc_co_u32_e32 v13, vcc, 0, v13, vcc
	s_waitcnt lgkmcnt(0)
	flat_store_dword v[12:13], v11 offset:512
.LBB716_86:
	s_or_b64 exec, exec, s[0:1]
	v_cmp_lt_u64_e64 s[0:1], s[14:15], 2
	s_and_b64 vcc, exec, s[0:1]
	s_cbranch_vccnz .LBB716_121
; %bb.87:
	s_add_u32 s0, s30, -1
	s_addc_u32 s1, s31, -1
	s_add_u32 s2, 0, 0x99986000
	s_addc_u32 s3, 0, 0x59
	s_add_i32 s3, s3, 0x19999940
	s_mul_hi_u32 s7, s2, -10
	s_sub_i32 s7, s7, s2
	s_mul_i32 s8, s3, -10
	s_mul_i32 s4, s2, -10
	s_add_i32 s7, s7, s8
	s_mul_hi_u32 s5, s3, s4
	s_mul_i32 s6, s3, s4
	s_mul_i32 s9, s2, s7
	s_mul_hi_u32 s4, s2, s4
	s_mul_hi_u32 s8, s2, s7
	s_add_u32 s4, s4, s9
	s_addc_u32 s8, 0, s8
	s_add_u32 s4, s4, s6
	s_mul_hi_u32 s9, s3, s7
	s_addc_u32 s4, s8, s5
	s_addc_u32 s5, s9, 0
	s_mul_i32 s6, s3, s7
	s_add_u32 s4, s4, s6
	v_mov_b32_e32 v12, s4
	s_addc_u32 s5, 0, s5
	v_add_co_u32_e32 v12, vcc, s2, v12
	s_cmp_lg_u64 vcc, 0
	s_addc_u32 s2, s3, s5
	v_readfirstlane_b32 s5, v12
	s_mul_i32 s4, s0, s2
	s_mul_hi_u32 s6, s0, s5
	s_mul_hi_u32 s3, s0, s2
	s_add_u32 s4, s6, s4
	s_addc_u32 s3, 0, s3
	s_mul_hi_u32 s7, s1, s5
	s_mul_i32 s5, s1, s5
	s_add_u32 s4, s4, s5
	s_mul_hi_u32 s6, s1, s2
	s_addc_u32 s3, s3, s7
	s_addc_u32 s4, s6, 0
	s_mul_i32 s2, s1, s2
	s_add_u32 s2, s3, s2
	s_addc_u32 s3, 0, s4
	s_add_u32 s4, s2, 1
	s_addc_u32 s5, s3, 0
	s_add_u32 s6, s2, 2
	s_mul_i32 s8, s3, 10
	s_mul_hi_u32 s9, s2, 10
	s_addc_u32 s7, s3, 0
	s_add_i32 s9, s9, s8
	s_mul_i32 s8, s2, 10
	v_mov_b32_e32 v12, s8
	v_sub_co_u32_e32 v12, vcc, s0, v12
	s_cmp_lg_u64 vcc, 0
	s_subb_u32 s8, s1, s9
	v_subrev_co_u32_e32 v13, vcc, 10, v12
	s_cmp_lg_u64 vcc, 0
	s_subb_u32 s9, s8, 0
	v_readfirstlane_b32 s12, v13
	s_cmp_gt_u32 s12, 9
	s_cselect_b32 s12, -1, 0
	s_cmp_eq_u32 s9, 0
	s_cselect_b32 s9, s12, -1
	s_cmp_lg_u32 s9, 0
	s_cselect_b32 s4, s6, s4
	v_readfirstlane_b32 s6, v12
	s_cselect_b32 s5, s7, s5
	s_cmp_gt_u32 s6, 9
	s_cselect_b32 s6, -1, 0
	s_cmp_eq_u32 s8, 0
	s_cselect_b32 s6, s6, -1
	s_cmp_lg_u32 s6, 0
	s_cselect_b32 s3, s5, s3
	s_cselect_b32 s2, s4, s2
	v_cmp_eq_u64_e32 vcc, s[2:3], v[0:1]
	s_and_saveexec_b64 s[2:3], vcc
	s_cbranch_execz .LBB716_121
; %bb.88:
	v_mul_hi_u32_u24_e32 v1, 10, v0
	v_mov_b32_e32 v12, s1
	v_sub_co_u32_e32 v0, vcc, s0, v23
	v_subb_co_u32_e32 v1, vcc, v12, v1, vcc
	v_cmp_lt_i64_e32 vcc, 4, v[0:1]
	s_and_saveexec_b64 s[0:1], vcc
	s_xor_b64 s[0:1], exec, s[0:1]
	s_cbranch_execz .LBB716_106
; %bb.89:
	v_cmp_lt_i64_e32 vcc, 6, v[0:1]
	s_and_saveexec_b64 s[2:3], vcc
	s_xor_b64 s[2:3], exec, s[2:3]
	s_cbranch_execz .LBB716_99
; %bb.90:
	;; [unrolled: 5-line block ×4, first 2 shown]
	v_mov_b32_e32 v0, 0
	s_waitcnt lgkmcnt(0)
	global_store_dword v0, v11, s[10:11]
                                        ; implicit-def: $vgpr10_vgpr11
.LBB716_93:
	s_andn2_saveexec_b64 s[6:7], s[6:7]
	s_cbranch_execz .LBB716_95
; %bb.94:
	v_mov_b32_e32 v0, 0
	s_waitcnt lgkmcnt(0)
	global_store_dword v0, v10, s[10:11]
.LBB716_95:
	s_or_b64 exec, exec, s[6:7]
                                        ; implicit-def: $vgpr8_vgpr9
.LBB716_96:
	s_andn2_saveexec_b64 s[4:5], s[4:5]
	s_cbranch_execz .LBB716_98
; %bb.97:
	v_mov_b32_e32 v0, 0
	s_waitcnt lgkmcnt(0)
	global_store_dword v0, v9, s[10:11]
.LBB716_98:
	s_or_b64 exec, exec, s[4:5]
                                        ; implicit-def: $vgpr4_vgpr5
                                        ; implicit-def: $vgpr0_vgpr1
                                        ; implicit-def: $vgpr8_vgpr9
.LBB716_99:
	s_andn2_saveexec_b64 s[2:3], s[2:3]
	s_cbranch_execz .LBB716_105
; %bb.100:
	v_cmp_lt_i64_e32 vcc, 5, v[0:1]
	s_and_saveexec_b64 s[4:5], vcc
	s_xor_b64 s[4:5], exec, s[4:5]
	s_cbranch_execz .LBB716_102
; %bb.101:
	v_mov_b32_e32 v0, 0
	s_waitcnt lgkmcnt(0)
	global_store_dword v0, v8, s[10:11]
                                        ; implicit-def: $vgpr4_vgpr5
.LBB716_102:
	s_andn2_saveexec_b64 s[4:5], s[4:5]
	s_cbranch_execz .LBB716_104
; %bb.103:
	v_mov_b32_e32 v0, 0
	s_waitcnt lgkmcnt(0)
	global_store_dword v0, v5, s[10:11]
.LBB716_104:
	s_or_b64 exec, exec, s[4:5]
.LBB716_105:
	s_or_b64 exec, exec, s[2:3]
                                        ; implicit-def: $vgpr0_vgpr1
                                        ; implicit-def: $vgpr6_vgpr7
                                        ; implicit-def: $vgpr2_vgpr3
                                        ; implicit-def: $vgpr4_vgpr5
.LBB716_106:
	s_andn2_saveexec_b64 s[0:1], s[0:1]
	s_cbranch_execz .LBB716_121
; %bb.107:
	v_cmp_lt_i64_e32 vcc, 2, v[0:1]
	s_and_saveexec_b64 s[0:1], vcc
	s_xor_b64 s[0:1], exec, s[0:1]
	s_cbranch_execz .LBB716_113
; %bb.108:
	v_cmp_lt_i64_e32 vcc, 3, v[0:1]
	s_and_saveexec_b64 s[2:3], vcc
	s_xor_b64 s[2:3], exec, s[2:3]
	s_cbranch_execz .LBB716_110
; %bb.109:
	v_mov_b32_e32 v0, 0
	s_waitcnt lgkmcnt(0)
	global_store_dword v0, v4, s[10:11]
                                        ; implicit-def: $vgpr6_vgpr7
.LBB716_110:
	s_andn2_saveexec_b64 s[2:3], s[2:3]
	s_cbranch_execz .LBB716_112
; %bb.111:
	v_mov_b32_e32 v0, 0
	s_waitcnt lgkmcnt(0)
	global_store_dword v0, v7, s[10:11]
.LBB716_112:
	s_or_b64 exec, exec, s[2:3]
                                        ; implicit-def: $vgpr0_vgpr1
                                        ; implicit-def: $vgpr6_vgpr7
                                        ; implicit-def: $vgpr2_vgpr3
.LBB716_113:
	s_andn2_saveexec_b64 s[0:1], s[0:1]
	s_cbranch_execz .LBB716_121
; %bb.114:
	v_cmp_lt_i64_e32 vcc, 1, v[0:1]
	s_and_saveexec_b64 s[0:1], vcc
	s_xor_b64 s[0:1], exec, s[0:1]
	s_cbranch_execz .LBB716_116
; %bb.115:
	v_mov_b32_e32 v0, 0
	s_waitcnt lgkmcnt(0)
	global_store_dword v0, v6, s[10:11]
                                        ; implicit-def: $vgpr2_vgpr3
                                        ; implicit-def: $vgpr0_vgpr1
.LBB716_116:
	s_andn2_saveexec_b64 s[0:1], s[0:1]
	s_cbranch_execz .LBB716_121
; %bb.117:
	v_cmp_ne_u64_e32 vcc, 1, v[0:1]
	s_and_saveexec_b64 s[0:1], vcc
	s_xor_b64 s[0:1], exec, s[0:1]
	s_cbranch_execz .LBB716_119
; %bb.118:
	v_mov_b32_e32 v0, 0
	s_waitcnt lgkmcnt(0)
	global_store_dword v0, v2, s[10:11]
                                        ; implicit-def: $vgpr2_vgpr3
.LBB716_119:
	s_andn2_saveexec_b64 s[0:1], s[0:1]
	s_cbranch_execz .LBB716_121
; %bb.120:
	v_mov_b32_e32 v0, 0
	s_waitcnt lgkmcnt(0)
	global_store_dword v0, v3, s[10:11]
.LBB716_121:
	s_endpgm
	.section	.rodata,"a",@progbits
	.p2align	6, 0x0
	.amdhsa_kernel _ZN7rocprim17ROCPRIM_400000_NS6detail17trampoline_kernelINS0_14default_configENS1_20scan_config_selectorIiEEZZNS1_9scan_implILNS1_25lookback_scan_determinismE0ELb1ELb1ES3_N6thrust23THRUST_200600_302600_NS6detail15normal_iteratorINS9_10device_ptrIiEEEESE_iNS9_4plusIiEEiEEDaPvRmT3_T4_T5_mT6_P12ihipStream_tbENKUlT_T0_E_clISt17integral_constantIbLb0EEST_IbLb1EEEEDaSP_SQ_EUlSP_E_NS1_11comp_targetILNS1_3genE4ELNS1_11target_archE910ELNS1_3gpuE8ELNS1_3repE0EEENS1_30default_config_static_selectorELNS0_4arch9wavefront6targetE1EEEvT1_
		.amdhsa_group_segment_fixed_size 5120
		.amdhsa_private_segment_fixed_size 0
		.amdhsa_kernarg_size 96
		.amdhsa_user_sgpr_count 6
		.amdhsa_user_sgpr_private_segment_buffer 1
		.amdhsa_user_sgpr_dispatch_ptr 0
		.amdhsa_user_sgpr_queue_ptr 0
		.amdhsa_user_sgpr_kernarg_segment_ptr 1
		.amdhsa_user_sgpr_dispatch_id 0
		.amdhsa_user_sgpr_flat_scratch_init 0
		.amdhsa_user_sgpr_kernarg_preload_length 0
		.amdhsa_user_sgpr_kernarg_preload_offset 0
		.amdhsa_user_sgpr_private_segment_size 0
		.amdhsa_uses_dynamic_stack 0
		.amdhsa_system_sgpr_private_segment_wavefront_offset 0
		.amdhsa_system_sgpr_workgroup_id_x 1
		.amdhsa_system_sgpr_workgroup_id_y 0
		.amdhsa_system_sgpr_workgroup_id_z 0
		.amdhsa_system_sgpr_workgroup_info 0
		.amdhsa_system_vgpr_workitem_id 0
		.amdhsa_next_free_vgpr 41
		.amdhsa_next_free_sgpr 40
		.amdhsa_accum_offset 44
		.amdhsa_reserve_vcc 1
		.amdhsa_reserve_flat_scratch 0
		.amdhsa_float_round_mode_32 0
		.amdhsa_float_round_mode_16_64 0
		.amdhsa_float_denorm_mode_32 3
		.amdhsa_float_denorm_mode_16_64 3
		.amdhsa_dx10_clamp 1
		.amdhsa_ieee_mode 1
		.amdhsa_fp16_overflow 0
		.amdhsa_tg_split 0
		.amdhsa_exception_fp_ieee_invalid_op 0
		.amdhsa_exception_fp_denorm_src 0
		.amdhsa_exception_fp_ieee_div_zero 0
		.amdhsa_exception_fp_ieee_overflow 0
		.amdhsa_exception_fp_ieee_underflow 0
		.amdhsa_exception_fp_ieee_inexact 0
		.amdhsa_exception_int_div_zero 0
	.end_amdhsa_kernel
	.section	.text._ZN7rocprim17ROCPRIM_400000_NS6detail17trampoline_kernelINS0_14default_configENS1_20scan_config_selectorIiEEZZNS1_9scan_implILNS1_25lookback_scan_determinismE0ELb1ELb1ES3_N6thrust23THRUST_200600_302600_NS6detail15normal_iteratorINS9_10device_ptrIiEEEESE_iNS9_4plusIiEEiEEDaPvRmT3_T4_T5_mT6_P12ihipStream_tbENKUlT_T0_E_clISt17integral_constantIbLb0EEST_IbLb1EEEEDaSP_SQ_EUlSP_E_NS1_11comp_targetILNS1_3genE4ELNS1_11target_archE910ELNS1_3gpuE8ELNS1_3repE0EEENS1_30default_config_static_selectorELNS0_4arch9wavefront6targetE1EEEvT1_,"axG",@progbits,_ZN7rocprim17ROCPRIM_400000_NS6detail17trampoline_kernelINS0_14default_configENS1_20scan_config_selectorIiEEZZNS1_9scan_implILNS1_25lookback_scan_determinismE0ELb1ELb1ES3_N6thrust23THRUST_200600_302600_NS6detail15normal_iteratorINS9_10device_ptrIiEEEESE_iNS9_4plusIiEEiEEDaPvRmT3_T4_T5_mT6_P12ihipStream_tbENKUlT_T0_E_clISt17integral_constantIbLb0EEST_IbLb1EEEEDaSP_SQ_EUlSP_E_NS1_11comp_targetILNS1_3genE4ELNS1_11target_archE910ELNS1_3gpuE8ELNS1_3repE0EEENS1_30default_config_static_selectorELNS0_4arch9wavefront6targetE1EEEvT1_,comdat
.Lfunc_end716:
	.size	_ZN7rocprim17ROCPRIM_400000_NS6detail17trampoline_kernelINS0_14default_configENS1_20scan_config_selectorIiEEZZNS1_9scan_implILNS1_25lookback_scan_determinismE0ELb1ELb1ES3_N6thrust23THRUST_200600_302600_NS6detail15normal_iteratorINS9_10device_ptrIiEEEESE_iNS9_4plusIiEEiEEDaPvRmT3_T4_T5_mT6_P12ihipStream_tbENKUlT_T0_E_clISt17integral_constantIbLb0EEST_IbLb1EEEEDaSP_SQ_EUlSP_E_NS1_11comp_targetILNS1_3genE4ELNS1_11target_archE910ELNS1_3gpuE8ELNS1_3repE0EEENS1_30default_config_static_selectorELNS0_4arch9wavefront6targetE1EEEvT1_, .Lfunc_end716-_ZN7rocprim17ROCPRIM_400000_NS6detail17trampoline_kernelINS0_14default_configENS1_20scan_config_selectorIiEEZZNS1_9scan_implILNS1_25lookback_scan_determinismE0ELb1ELb1ES3_N6thrust23THRUST_200600_302600_NS6detail15normal_iteratorINS9_10device_ptrIiEEEESE_iNS9_4plusIiEEiEEDaPvRmT3_T4_T5_mT6_P12ihipStream_tbENKUlT_T0_E_clISt17integral_constantIbLb0EEST_IbLb1EEEEDaSP_SQ_EUlSP_E_NS1_11comp_targetILNS1_3genE4ELNS1_11target_archE910ELNS1_3gpuE8ELNS1_3repE0EEENS1_30default_config_static_selectorELNS0_4arch9wavefront6targetE1EEEvT1_
                                        ; -- End function
	.section	.AMDGPU.csdata,"",@progbits
; Kernel info:
; codeLenInByte = 4496
; NumSgprs: 44
; NumVgprs: 41
; NumAgprs: 0
; TotalNumVgprs: 41
; ScratchSize: 0
; MemoryBound: 0
; FloatMode: 240
; IeeeMode: 1
; LDSByteSize: 5120 bytes/workgroup (compile time only)
; SGPRBlocks: 5
; VGPRBlocks: 5
; NumSGPRsForWavesPerEU: 44
; NumVGPRsForWavesPerEU: 41
; AccumOffset: 44
; Occupancy: 6
; WaveLimiterHint : 1
; COMPUTE_PGM_RSRC2:SCRATCH_EN: 0
; COMPUTE_PGM_RSRC2:USER_SGPR: 6
; COMPUTE_PGM_RSRC2:TRAP_HANDLER: 0
; COMPUTE_PGM_RSRC2:TGID_X_EN: 1
; COMPUTE_PGM_RSRC2:TGID_Y_EN: 0
; COMPUTE_PGM_RSRC2:TGID_Z_EN: 0
; COMPUTE_PGM_RSRC2:TIDIG_COMP_CNT: 0
; COMPUTE_PGM_RSRC3_GFX90A:ACCUM_OFFSET: 10
; COMPUTE_PGM_RSRC3_GFX90A:TG_SPLIT: 0
	.section	.text._ZN7rocprim17ROCPRIM_400000_NS6detail17trampoline_kernelINS0_14default_configENS1_20scan_config_selectorIiEEZZNS1_9scan_implILNS1_25lookback_scan_determinismE0ELb1ELb1ES3_N6thrust23THRUST_200600_302600_NS6detail15normal_iteratorINS9_10device_ptrIiEEEESE_iNS9_4plusIiEEiEEDaPvRmT3_T4_T5_mT6_P12ihipStream_tbENKUlT_T0_E_clISt17integral_constantIbLb0EEST_IbLb1EEEEDaSP_SQ_EUlSP_E_NS1_11comp_targetILNS1_3genE3ELNS1_11target_archE908ELNS1_3gpuE7ELNS1_3repE0EEENS1_30default_config_static_selectorELNS0_4arch9wavefront6targetE1EEEvT1_,"axG",@progbits,_ZN7rocprim17ROCPRIM_400000_NS6detail17trampoline_kernelINS0_14default_configENS1_20scan_config_selectorIiEEZZNS1_9scan_implILNS1_25lookback_scan_determinismE0ELb1ELb1ES3_N6thrust23THRUST_200600_302600_NS6detail15normal_iteratorINS9_10device_ptrIiEEEESE_iNS9_4plusIiEEiEEDaPvRmT3_T4_T5_mT6_P12ihipStream_tbENKUlT_T0_E_clISt17integral_constantIbLb0EEST_IbLb1EEEEDaSP_SQ_EUlSP_E_NS1_11comp_targetILNS1_3genE3ELNS1_11target_archE908ELNS1_3gpuE7ELNS1_3repE0EEENS1_30default_config_static_selectorELNS0_4arch9wavefront6targetE1EEEvT1_,comdat
	.protected	_ZN7rocprim17ROCPRIM_400000_NS6detail17trampoline_kernelINS0_14default_configENS1_20scan_config_selectorIiEEZZNS1_9scan_implILNS1_25lookback_scan_determinismE0ELb1ELb1ES3_N6thrust23THRUST_200600_302600_NS6detail15normal_iteratorINS9_10device_ptrIiEEEESE_iNS9_4plusIiEEiEEDaPvRmT3_T4_T5_mT6_P12ihipStream_tbENKUlT_T0_E_clISt17integral_constantIbLb0EEST_IbLb1EEEEDaSP_SQ_EUlSP_E_NS1_11comp_targetILNS1_3genE3ELNS1_11target_archE908ELNS1_3gpuE7ELNS1_3repE0EEENS1_30default_config_static_selectorELNS0_4arch9wavefront6targetE1EEEvT1_ ; -- Begin function _ZN7rocprim17ROCPRIM_400000_NS6detail17trampoline_kernelINS0_14default_configENS1_20scan_config_selectorIiEEZZNS1_9scan_implILNS1_25lookback_scan_determinismE0ELb1ELb1ES3_N6thrust23THRUST_200600_302600_NS6detail15normal_iteratorINS9_10device_ptrIiEEEESE_iNS9_4plusIiEEiEEDaPvRmT3_T4_T5_mT6_P12ihipStream_tbENKUlT_T0_E_clISt17integral_constantIbLb0EEST_IbLb1EEEEDaSP_SQ_EUlSP_E_NS1_11comp_targetILNS1_3genE3ELNS1_11target_archE908ELNS1_3gpuE7ELNS1_3repE0EEENS1_30default_config_static_selectorELNS0_4arch9wavefront6targetE1EEEvT1_
	.globl	_ZN7rocprim17ROCPRIM_400000_NS6detail17trampoline_kernelINS0_14default_configENS1_20scan_config_selectorIiEEZZNS1_9scan_implILNS1_25lookback_scan_determinismE0ELb1ELb1ES3_N6thrust23THRUST_200600_302600_NS6detail15normal_iteratorINS9_10device_ptrIiEEEESE_iNS9_4plusIiEEiEEDaPvRmT3_T4_T5_mT6_P12ihipStream_tbENKUlT_T0_E_clISt17integral_constantIbLb0EEST_IbLb1EEEEDaSP_SQ_EUlSP_E_NS1_11comp_targetILNS1_3genE3ELNS1_11target_archE908ELNS1_3gpuE7ELNS1_3repE0EEENS1_30default_config_static_selectorELNS0_4arch9wavefront6targetE1EEEvT1_
	.p2align	8
	.type	_ZN7rocprim17ROCPRIM_400000_NS6detail17trampoline_kernelINS0_14default_configENS1_20scan_config_selectorIiEEZZNS1_9scan_implILNS1_25lookback_scan_determinismE0ELb1ELb1ES3_N6thrust23THRUST_200600_302600_NS6detail15normal_iteratorINS9_10device_ptrIiEEEESE_iNS9_4plusIiEEiEEDaPvRmT3_T4_T5_mT6_P12ihipStream_tbENKUlT_T0_E_clISt17integral_constantIbLb0EEST_IbLb1EEEEDaSP_SQ_EUlSP_E_NS1_11comp_targetILNS1_3genE3ELNS1_11target_archE908ELNS1_3gpuE7ELNS1_3repE0EEENS1_30default_config_static_selectorELNS0_4arch9wavefront6targetE1EEEvT1_,@function
_ZN7rocprim17ROCPRIM_400000_NS6detail17trampoline_kernelINS0_14default_configENS1_20scan_config_selectorIiEEZZNS1_9scan_implILNS1_25lookback_scan_determinismE0ELb1ELb1ES3_N6thrust23THRUST_200600_302600_NS6detail15normal_iteratorINS9_10device_ptrIiEEEESE_iNS9_4plusIiEEiEEDaPvRmT3_T4_T5_mT6_P12ihipStream_tbENKUlT_T0_E_clISt17integral_constantIbLb0EEST_IbLb1EEEEDaSP_SQ_EUlSP_E_NS1_11comp_targetILNS1_3genE3ELNS1_11target_archE908ELNS1_3gpuE7ELNS1_3repE0EEENS1_30default_config_static_selectorELNS0_4arch9wavefront6targetE1EEEvT1_: ; @_ZN7rocprim17ROCPRIM_400000_NS6detail17trampoline_kernelINS0_14default_configENS1_20scan_config_selectorIiEEZZNS1_9scan_implILNS1_25lookback_scan_determinismE0ELb1ELb1ES3_N6thrust23THRUST_200600_302600_NS6detail15normal_iteratorINS9_10device_ptrIiEEEESE_iNS9_4plusIiEEiEEDaPvRmT3_T4_T5_mT6_P12ihipStream_tbENKUlT_T0_E_clISt17integral_constantIbLb0EEST_IbLb1EEEEDaSP_SQ_EUlSP_E_NS1_11comp_targetILNS1_3genE3ELNS1_11target_archE908ELNS1_3gpuE7ELNS1_3repE0EEENS1_30default_config_static_selectorELNS0_4arch9wavefront6targetE1EEEvT1_
; %bb.0:
	.section	.rodata,"a",@progbits
	.p2align	6, 0x0
	.amdhsa_kernel _ZN7rocprim17ROCPRIM_400000_NS6detail17trampoline_kernelINS0_14default_configENS1_20scan_config_selectorIiEEZZNS1_9scan_implILNS1_25lookback_scan_determinismE0ELb1ELb1ES3_N6thrust23THRUST_200600_302600_NS6detail15normal_iteratorINS9_10device_ptrIiEEEESE_iNS9_4plusIiEEiEEDaPvRmT3_T4_T5_mT6_P12ihipStream_tbENKUlT_T0_E_clISt17integral_constantIbLb0EEST_IbLb1EEEEDaSP_SQ_EUlSP_E_NS1_11comp_targetILNS1_3genE3ELNS1_11target_archE908ELNS1_3gpuE7ELNS1_3repE0EEENS1_30default_config_static_selectorELNS0_4arch9wavefront6targetE1EEEvT1_
		.amdhsa_group_segment_fixed_size 0
		.amdhsa_private_segment_fixed_size 0
		.amdhsa_kernarg_size 96
		.amdhsa_user_sgpr_count 6
		.amdhsa_user_sgpr_private_segment_buffer 1
		.amdhsa_user_sgpr_dispatch_ptr 0
		.amdhsa_user_sgpr_queue_ptr 0
		.amdhsa_user_sgpr_kernarg_segment_ptr 1
		.amdhsa_user_sgpr_dispatch_id 0
		.amdhsa_user_sgpr_flat_scratch_init 0
		.amdhsa_user_sgpr_kernarg_preload_length 0
		.amdhsa_user_sgpr_kernarg_preload_offset 0
		.amdhsa_user_sgpr_private_segment_size 0
		.amdhsa_uses_dynamic_stack 0
		.amdhsa_system_sgpr_private_segment_wavefront_offset 0
		.amdhsa_system_sgpr_workgroup_id_x 1
		.amdhsa_system_sgpr_workgroup_id_y 0
		.amdhsa_system_sgpr_workgroup_id_z 0
		.amdhsa_system_sgpr_workgroup_info 0
		.amdhsa_system_vgpr_workitem_id 0
		.amdhsa_next_free_vgpr 1
		.amdhsa_next_free_sgpr 0
		.amdhsa_accum_offset 4
		.amdhsa_reserve_vcc 0
		.amdhsa_reserve_flat_scratch 0
		.amdhsa_float_round_mode_32 0
		.amdhsa_float_round_mode_16_64 0
		.amdhsa_float_denorm_mode_32 3
		.amdhsa_float_denorm_mode_16_64 3
		.amdhsa_dx10_clamp 1
		.amdhsa_ieee_mode 1
		.amdhsa_fp16_overflow 0
		.amdhsa_tg_split 0
		.amdhsa_exception_fp_ieee_invalid_op 0
		.amdhsa_exception_fp_denorm_src 0
		.amdhsa_exception_fp_ieee_div_zero 0
		.amdhsa_exception_fp_ieee_overflow 0
		.amdhsa_exception_fp_ieee_underflow 0
		.amdhsa_exception_fp_ieee_inexact 0
		.amdhsa_exception_int_div_zero 0
	.end_amdhsa_kernel
	.section	.text._ZN7rocprim17ROCPRIM_400000_NS6detail17trampoline_kernelINS0_14default_configENS1_20scan_config_selectorIiEEZZNS1_9scan_implILNS1_25lookback_scan_determinismE0ELb1ELb1ES3_N6thrust23THRUST_200600_302600_NS6detail15normal_iteratorINS9_10device_ptrIiEEEESE_iNS9_4plusIiEEiEEDaPvRmT3_T4_T5_mT6_P12ihipStream_tbENKUlT_T0_E_clISt17integral_constantIbLb0EEST_IbLb1EEEEDaSP_SQ_EUlSP_E_NS1_11comp_targetILNS1_3genE3ELNS1_11target_archE908ELNS1_3gpuE7ELNS1_3repE0EEENS1_30default_config_static_selectorELNS0_4arch9wavefront6targetE1EEEvT1_,"axG",@progbits,_ZN7rocprim17ROCPRIM_400000_NS6detail17trampoline_kernelINS0_14default_configENS1_20scan_config_selectorIiEEZZNS1_9scan_implILNS1_25lookback_scan_determinismE0ELb1ELb1ES3_N6thrust23THRUST_200600_302600_NS6detail15normal_iteratorINS9_10device_ptrIiEEEESE_iNS9_4plusIiEEiEEDaPvRmT3_T4_T5_mT6_P12ihipStream_tbENKUlT_T0_E_clISt17integral_constantIbLb0EEST_IbLb1EEEEDaSP_SQ_EUlSP_E_NS1_11comp_targetILNS1_3genE3ELNS1_11target_archE908ELNS1_3gpuE7ELNS1_3repE0EEENS1_30default_config_static_selectorELNS0_4arch9wavefront6targetE1EEEvT1_,comdat
.Lfunc_end717:
	.size	_ZN7rocprim17ROCPRIM_400000_NS6detail17trampoline_kernelINS0_14default_configENS1_20scan_config_selectorIiEEZZNS1_9scan_implILNS1_25lookback_scan_determinismE0ELb1ELb1ES3_N6thrust23THRUST_200600_302600_NS6detail15normal_iteratorINS9_10device_ptrIiEEEESE_iNS9_4plusIiEEiEEDaPvRmT3_T4_T5_mT6_P12ihipStream_tbENKUlT_T0_E_clISt17integral_constantIbLb0EEST_IbLb1EEEEDaSP_SQ_EUlSP_E_NS1_11comp_targetILNS1_3genE3ELNS1_11target_archE908ELNS1_3gpuE7ELNS1_3repE0EEENS1_30default_config_static_selectorELNS0_4arch9wavefront6targetE1EEEvT1_, .Lfunc_end717-_ZN7rocprim17ROCPRIM_400000_NS6detail17trampoline_kernelINS0_14default_configENS1_20scan_config_selectorIiEEZZNS1_9scan_implILNS1_25lookback_scan_determinismE0ELb1ELb1ES3_N6thrust23THRUST_200600_302600_NS6detail15normal_iteratorINS9_10device_ptrIiEEEESE_iNS9_4plusIiEEiEEDaPvRmT3_T4_T5_mT6_P12ihipStream_tbENKUlT_T0_E_clISt17integral_constantIbLb0EEST_IbLb1EEEEDaSP_SQ_EUlSP_E_NS1_11comp_targetILNS1_3genE3ELNS1_11target_archE908ELNS1_3gpuE7ELNS1_3repE0EEENS1_30default_config_static_selectorELNS0_4arch9wavefront6targetE1EEEvT1_
                                        ; -- End function
	.section	.AMDGPU.csdata,"",@progbits
; Kernel info:
; codeLenInByte = 0
; NumSgprs: 4
; NumVgprs: 0
; NumAgprs: 0
; TotalNumVgprs: 0
; ScratchSize: 0
; MemoryBound: 0
; FloatMode: 240
; IeeeMode: 1
; LDSByteSize: 0 bytes/workgroup (compile time only)
; SGPRBlocks: 0
; VGPRBlocks: 0
; NumSGPRsForWavesPerEU: 4
; NumVGPRsForWavesPerEU: 1
; AccumOffset: 4
; Occupancy: 8
; WaveLimiterHint : 0
; COMPUTE_PGM_RSRC2:SCRATCH_EN: 0
; COMPUTE_PGM_RSRC2:USER_SGPR: 6
; COMPUTE_PGM_RSRC2:TRAP_HANDLER: 0
; COMPUTE_PGM_RSRC2:TGID_X_EN: 1
; COMPUTE_PGM_RSRC2:TGID_Y_EN: 0
; COMPUTE_PGM_RSRC2:TGID_Z_EN: 0
; COMPUTE_PGM_RSRC2:TIDIG_COMP_CNT: 0
; COMPUTE_PGM_RSRC3_GFX90A:ACCUM_OFFSET: 0
; COMPUTE_PGM_RSRC3_GFX90A:TG_SPLIT: 0
	.section	.text._ZN7rocprim17ROCPRIM_400000_NS6detail17trampoline_kernelINS0_14default_configENS1_20scan_config_selectorIiEEZZNS1_9scan_implILNS1_25lookback_scan_determinismE0ELb1ELb1ES3_N6thrust23THRUST_200600_302600_NS6detail15normal_iteratorINS9_10device_ptrIiEEEESE_iNS9_4plusIiEEiEEDaPvRmT3_T4_T5_mT6_P12ihipStream_tbENKUlT_T0_E_clISt17integral_constantIbLb0EEST_IbLb1EEEEDaSP_SQ_EUlSP_E_NS1_11comp_targetILNS1_3genE2ELNS1_11target_archE906ELNS1_3gpuE6ELNS1_3repE0EEENS1_30default_config_static_selectorELNS0_4arch9wavefront6targetE1EEEvT1_,"axG",@progbits,_ZN7rocprim17ROCPRIM_400000_NS6detail17trampoline_kernelINS0_14default_configENS1_20scan_config_selectorIiEEZZNS1_9scan_implILNS1_25lookback_scan_determinismE0ELb1ELb1ES3_N6thrust23THRUST_200600_302600_NS6detail15normal_iteratorINS9_10device_ptrIiEEEESE_iNS9_4plusIiEEiEEDaPvRmT3_T4_T5_mT6_P12ihipStream_tbENKUlT_T0_E_clISt17integral_constantIbLb0EEST_IbLb1EEEEDaSP_SQ_EUlSP_E_NS1_11comp_targetILNS1_3genE2ELNS1_11target_archE906ELNS1_3gpuE6ELNS1_3repE0EEENS1_30default_config_static_selectorELNS0_4arch9wavefront6targetE1EEEvT1_,comdat
	.protected	_ZN7rocprim17ROCPRIM_400000_NS6detail17trampoline_kernelINS0_14default_configENS1_20scan_config_selectorIiEEZZNS1_9scan_implILNS1_25lookback_scan_determinismE0ELb1ELb1ES3_N6thrust23THRUST_200600_302600_NS6detail15normal_iteratorINS9_10device_ptrIiEEEESE_iNS9_4plusIiEEiEEDaPvRmT3_T4_T5_mT6_P12ihipStream_tbENKUlT_T0_E_clISt17integral_constantIbLb0EEST_IbLb1EEEEDaSP_SQ_EUlSP_E_NS1_11comp_targetILNS1_3genE2ELNS1_11target_archE906ELNS1_3gpuE6ELNS1_3repE0EEENS1_30default_config_static_selectorELNS0_4arch9wavefront6targetE1EEEvT1_ ; -- Begin function _ZN7rocprim17ROCPRIM_400000_NS6detail17trampoline_kernelINS0_14default_configENS1_20scan_config_selectorIiEEZZNS1_9scan_implILNS1_25lookback_scan_determinismE0ELb1ELb1ES3_N6thrust23THRUST_200600_302600_NS6detail15normal_iteratorINS9_10device_ptrIiEEEESE_iNS9_4plusIiEEiEEDaPvRmT3_T4_T5_mT6_P12ihipStream_tbENKUlT_T0_E_clISt17integral_constantIbLb0EEST_IbLb1EEEEDaSP_SQ_EUlSP_E_NS1_11comp_targetILNS1_3genE2ELNS1_11target_archE906ELNS1_3gpuE6ELNS1_3repE0EEENS1_30default_config_static_selectorELNS0_4arch9wavefront6targetE1EEEvT1_
	.globl	_ZN7rocprim17ROCPRIM_400000_NS6detail17trampoline_kernelINS0_14default_configENS1_20scan_config_selectorIiEEZZNS1_9scan_implILNS1_25lookback_scan_determinismE0ELb1ELb1ES3_N6thrust23THRUST_200600_302600_NS6detail15normal_iteratorINS9_10device_ptrIiEEEESE_iNS9_4plusIiEEiEEDaPvRmT3_T4_T5_mT6_P12ihipStream_tbENKUlT_T0_E_clISt17integral_constantIbLb0EEST_IbLb1EEEEDaSP_SQ_EUlSP_E_NS1_11comp_targetILNS1_3genE2ELNS1_11target_archE906ELNS1_3gpuE6ELNS1_3repE0EEENS1_30default_config_static_selectorELNS0_4arch9wavefront6targetE1EEEvT1_
	.p2align	8
	.type	_ZN7rocprim17ROCPRIM_400000_NS6detail17trampoline_kernelINS0_14default_configENS1_20scan_config_selectorIiEEZZNS1_9scan_implILNS1_25lookback_scan_determinismE0ELb1ELb1ES3_N6thrust23THRUST_200600_302600_NS6detail15normal_iteratorINS9_10device_ptrIiEEEESE_iNS9_4plusIiEEiEEDaPvRmT3_T4_T5_mT6_P12ihipStream_tbENKUlT_T0_E_clISt17integral_constantIbLb0EEST_IbLb1EEEEDaSP_SQ_EUlSP_E_NS1_11comp_targetILNS1_3genE2ELNS1_11target_archE906ELNS1_3gpuE6ELNS1_3repE0EEENS1_30default_config_static_selectorELNS0_4arch9wavefront6targetE1EEEvT1_,@function
_ZN7rocprim17ROCPRIM_400000_NS6detail17trampoline_kernelINS0_14default_configENS1_20scan_config_selectorIiEEZZNS1_9scan_implILNS1_25lookback_scan_determinismE0ELb1ELb1ES3_N6thrust23THRUST_200600_302600_NS6detail15normal_iteratorINS9_10device_ptrIiEEEESE_iNS9_4plusIiEEiEEDaPvRmT3_T4_T5_mT6_P12ihipStream_tbENKUlT_T0_E_clISt17integral_constantIbLb0EEST_IbLb1EEEEDaSP_SQ_EUlSP_E_NS1_11comp_targetILNS1_3genE2ELNS1_11target_archE906ELNS1_3gpuE6ELNS1_3repE0EEENS1_30default_config_static_selectorELNS0_4arch9wavefront6targetE1EEEvT1_: ; @_ZN7rocprim17ROCPRIM_400000_NS6detail17trampoline_kernelINS0_14default_configENS1_20scan_config_selectorIiEEZZNS1_9scan_implILNS1_25lookback_scan_determinismE0ELb1ELb1ES3_N6thrust23THRUST_200600_302600_NS6detail15normal_iteratorINS9_10device_ptrIiEEEESE_iNS9_4plusIiEEiEEDaPvRmT3_T4_T5_mT6_P12ihipStream_tbENKUlT_T0_E_clISt17integral_constantIbLb0EEST_IbLb1EEEEDaSP_SQ_EUlSP_E_NS1_11comp_targetILNS1_3genE2ELNS1_11target_archE906ELNS1_3gpuE6ELNS1_3repE0EEENS1_30default_config_static_selectorELNS0_4arch9wavefront6targetE1EEEvT1_
; %bb.0:
	.section	.rodata,"a",@progbits
	.p2align	6, 0x0
	.amdhsa_kernel _ZN7rocprim17ROCPRIM_400000_NS6detail17trampoline_kernelINS0_14default_configENS1_20scan_config_selectorIiEEZZNS1_9scan_implILNS1_25lookback_scan_determinismE0ELb1ELb1ES3_N6thrust23THRUST_200600_302600_NS6detail15normal_iteratorINS9_10device_ptrIiEEEESE_iNS9_4plusIiEEiEEDaPvRmT3_T4_T5_mT6_P12ihipStream_tbENKUlT_T0_E_clISt17integral_constantIbLb0EEST_IbLb1EEEEDaSP_SQ_EUlSP_E_NS1_11comp_targetILNS1_3genE2ELNS1_11target_archE906ELNS1_3gpuE6ELNS1_3repE0EEENS1_30default_config_static_selectorELNS0_4arch9wavefront6targetE1EEEvT1_
		.amdhsa_group_segment_fixed_size 0
		.amdhsa_private_segment_fixed_size 0
		.amdhsa_kernarg_size 96
		.amdhsa_user_sgpr_count 6
		.amdhsa_user_sgpr_private_segment_buffer 1
		.amdhsa_user_sgpr_dispatch_ptr 0
		.amdhsa_user_sgpr_queue_ptr 0
		.amdhsa_user_sgpr_kernarg_segment_ptr 1
		.amdhsa_user_sgpr_dispatch_id 0
		.amdhsa_user_sgpr_flat_scratch_init 0
		.amdhsa_user_sgpr_kernarg_preload_length 0
		.amdhsa_user_sgpr_kernarg_preload_offset 0
		.amdhsa_user_sgpr_private_segment_size 0
		.amdhsa_uses_dynamic_stack 0
		.amdhsa_system_sgpr_private_segment_wavefront_offset 0
		.amdhsa_system_sgpr_workgroup_id_x 1
		.amdhsa_system_sgpr_workgroup_id_y 0
		.amdhsa_system_sgpr_workgroup_id_z 0
		.amdhsa_system_sgpr_workgroup_info 0
		.amdhsa_system_vgpr_workitem_id 0
		.amdhsa_next_free_vgpr 1
		.amdhsa_next_free_sgpr 0
		.amdhsa_accum_offset 4
		.amdhsa_reserve_vcc 0
		.amdhsa_reserve_flat_scratch 0
		.amdhsa_float_round_mode_32 0
		.amdhsa_float_round_mode_16_64 0
		.amdhsa_float_denorm_mode_32 3
		.amdhsa_float_denorm_mode_16_64 3
		.amdhsa_dx10_clamp 1
		.amdhsa_ieee_mode 1
		.amdhsa_fp16_overflow 0
		.amdhsa_tg_split 0
		.amdhsa_exception_fp_ieee_invalid_op 0
		.amdhsa_exception_fp_denorm_src 0
		.amdhsa_exception_fp_ieee_div_zero 0
		.amdhsa_exception_fp_ieee_overflow 0
		.amdhsa_exception_fp_ieee_underflow 0
		.amdhsa_exception_fp_ieee_inexact 0
		.amdhsa_exception_int_div_zero 0
	.end_amdhsa_kernel
	.section	.text._ZN7rocprim17ROCPRIM_400000_NS6detail17trampoline_kernelINS0_14default_configENS1_20scan_config_selectorIiEEZZNS1_9scan_implILNS1_25lookback_scan_determinismE0ELb1ELb1ES3_N6thrust23THRUST_200600_302600_NS6detail15normal_iteratorINS9_10device_ptrIiEEEESE_iNS9_4plusIiEEiEEDaPvRmT3_T4_T5_mT6_P12ihipStream_tbENKUlT_T0_E_clISt17integral_constantIbLb0EEST_IbLb1EEEEDaSP_SQ_EUlSP_E_NS1_11comp_targetILNS1_3genE2ELNS1_11target_archE906ELNS1_3gpuE6ELNS1_3repE0EEENS1_30default_config_static_selectorELNS0_4arch9wavefront6targetE1EEEvT1_,"axG",@progbits,_ZN7rocprim17ROCPRIM_400000_NS6detail17trampoline_kernelINS0_14default_configENS1_20scan_config_selectorIiEEZZNS1_9scan_implILNS1_25lookback_scan_determinismE0ELb1ELb1ES3_N6thrust23THRUST_200600_302600_NS6detail15normal_iteratorINS9_10device_ptrIiEEEESE_iNS9_4plusIiEEiEEDaPvRmT3_T4_T5_mT6_P12ihipStream_tbENKUlT_T0_E_clISt17integral_constantIbLb0EEST_IbLb1EEEEDaSP_SQ_EUlSP_E_NS1_11comp_targetILNS1_3genE2ELNS1_11target_archE906ELNS1_3gpuE6ELNS1_3repE0EEENS1_30default_config_static_selectorELNS0_4arch9wavefront6targetE1EEEvT1_,comdat
.Lfunc_end718:
	.size	_ZN7rocprim17ROCPRIM_400000_NS6detail17trampoline_kernelINS0_14default_configENS1_20scan_config_selectorIiEEZZNS1_9scan_implILNS1_25lookback_scan_determinismE0ELb1ELb1ES3_N6thrust23THRUST_200600_302600_NS6detail15normal_iteratorINS9_10device_ptrIiEEEESE_iNS9_4plusIiEEiEEDaPvRmT3_T4_T5_mT6_P12ihipStream_tbENKUlT_T0_E_clISt17integral_constantIbLb0EEST_IbLb1EEEEDaSP_SQ_EUlSP_E_NS1_11comp_targetILNS1_3genE2ELNS1_11target_archE906ELNS1_3gpuE6ELNS1_3repE0EEENS1_30default_config_static_selectorELNS0_4arch9wavefront6targetE1EEEvT1_, .Lfunc_end718-_ZN7rocprim17ROCPRIM_400000_NS6detail17trampoline_kernelINS0_14default_configENS1_20scan_config_selectorIiEEZZNS1_9scan_implILNS1_25lookback_scan_determinismE0ELb1ELb1ES3_N6thrust23THRUST_200600_302600_NS6detail15normal_iteratorINS9_10device_ptrIiEEEESE_iNS9_4plusIiEEiEEDaPvRmT3_T4_T5_mT6_P12ihipStream_tbENKUlT_T0_E_clISt17integral_constantIbLb0EEST_IbLb1EEEEDaSP_SQ_EUlSP_E_NS1_11comp_targetILNS1_3genE2ELNS1_11target_archE906ELNS1_3gpuE6ELNS1_3repE0EEENS1_30default_config_static_selectorELNS0_4arch9wavefront6targetE1EEEvT1_
                                        ; -- End function
	.section	.AMDGPU.csdata,"",@progbits
; Kernel info:
; codeLenInByte = 0
; NumSgprs: 4
; NumVgprs: 0
; NumAgprs: 0
; TotalNumVgprs: 0
; ScratchSize: 0
; MemoryBound: 0
; FloatMode: 240
; IeeeMode: 1
; LDSByteSize: 0 bytes/workgroup (compile time only)
; SGPRBlocks: 0
; VGPRBlocks: 0
; NumSGPRsForWavesPerEU: 4
; NumVGPRsForWavesPerEU: 1
; AccumOffset: 4
; Occupancy: 8
; WaveLimiterHint : 0
; COMPUTE_PGM_RSRC2:SCRATCH_EN: 0
; COMPUTE_PGM_RSRC2:USER_SGPR: 6
; COMPUTE_PGM_RSRC2:TRAP_HANDLER: 0
; COMPUTE_PGM_RSRC2:TGID_X_EN: 1
; COMPUTE_PGM_RSRC2:TGID_Y_EN: 0
; COMPUTE_PGM_RSRC2:TGID_Z_EN: 0
; COMPUTE_PGM_RSRC2:TIDIG_COMP_CNT: 0
; COMPUTE_PGM_RSRC3_GFX90A:ACCUM_OFFSET: 0
; COMPUTE_PGM_RSRC3_GFX90A:TG_SPLIT: 0
	.section	.text._ZN7rocprim17ROCPRIM_400000_NS6detail17trampoline_kernelINS0_14default_configENS1_20scan_config_selectorIiEEZZNS1_9scan_implILNS1_25lookback_scan_determinismE0ELb1ELb1ES3_N6thrust23THRUST_200600_302600_NS6detail15normal_iteratorINS9_10device_ptrIiEEEESE_iNS9_4plusIiEEiEEDaPvRmT3_T4_T5_mT6_P12ihipStream_tbENKUlT_T0_E_clISt17integral_constantIbLb0EEST_IbLb1EEEEDaSP_SQ_EUlSP_E_NS1_11comp_targetILNS1_3genE10ELNS1_11target_archE1201ELNS1_3gpuE5ELNS1_3repE0EEENS1_30default_config_static_selectorELNS0_4arch9wavefront6targetE1EEEvT1_,"axG",@progbits,_ZN7rocprim17ROCPRIM_400000_NS6detail17trampoline_kernelINS0_14default_configENS1_20scan_config_selectorIiEEZZNS1_9scan_implILNS1_25lookback_scan_determinismE0ELb1ELb1ES3_N6thrust23THRUST_200600_302600_NS6detail15normal_iteratorINS9_10device_ptrIiEEEESE_iNS9_4plusIiEEiEEDaPvRmT3_T4_T5_mT6_P12ihipStream_tbENKUlT_T0_E_clISt17integral_constantIbLb0EEST_IbLb1EEEEDaSP_SQ_EUlSP_E_NS1_11comp_targetILNS1_3genE10ELNS1_11target_archE1201ELNS1_3gpuE5ELNS1_3repE0EEENS1_30default_config_static_selectorELNS0_4arch9wavefront6targetE1EEEvT1_,comdat
	.protected	_ZN7rocprim17ROCPRIM_400000_NS6detail17trampoline_kernelINS0_14default_configENS1_20scan_config_selectorIiEEZZNS1_9scan_implILNS1_25lookback_scan_determinismE0ELb1ELb1ES3_N6thrust23THRUST_200600_302600_NS6detail15normal_iteratorINS9_10device_ptrIiEEEESE_iNS9_4plusIiEEiEEDaPvRmT3_T4_T5_mT6_P12ihipStream_tbENKUlT_T0_E_clISt17integral_constantIbLb0EEST_IbLb1EEEEDaSP_SQ_EUlSP_E_NS1_11comp_targetILNS1_3genE10ELNS1_11target_archE1201ELNS1_3gpuE5ELNS1_3repE0EEENS1_30default_config_static_selectorELNS0_4arch9wavefront6targetE1EEEvT1_ ; -- Begin function _ZN7rocprim17ROCPRIM_400000_NS6detail17trampoline_kernelINS0_14default_configENS1_20scan_config_selectorIiEEZZNS1_9scan_implILNS1_25lookback_scan_determinismE0ELb1ELb1ES3_N6thrust23THRUST_200600_302600_NS6detail15normal_iteratorINS9_10device_ptrIiEEEESE_iNS9_4plusIiEEiEEDaPvRmT3_T4_T5_mT6_P12ihipStream_tbENKUlT_T0_E_clISt17integral_constantIbLb0EEST_IbLb1EEEEDaSP_SQ_EUlSP_E_NS1_11comp_targetILNS1_3genE10ELNS1_11target_archE1201ELNS1_3gpuE5ELNS1_3repE0EEENS1_30default_config_static_selectorELNS0_4arch9wavefront6targetE1EEEvT1_
	.globl	_ZN7rocprim17ROCPRIM_400000_NS6detail17trampoline_kernelINS0_14default_configENS1_20scan_config_selectorIiEEZZNS1_9scan_implILNS1_25lookback_scan_determinismE0ELb1ELb1ES3_N6thrust23THRUST_200600_302600_NS6detail15normal_iteratorINS9_10device_ptrIiEEEESE_iNS9_4plusIiEEiEEDaPvRmT3_T4_T5_mT6_P12ihipStream_tbENKUlT_T0_E_clISt17integral_constantIbLb0EEST_IbLb1EEEEDaSP_SQ_EUlSP_E_NS1_11comp_targetILNS1_3genE10ELNS1_11target_archE1201ELNS1_3gpuE5ELNS1_3repE0EEENS1_30default_config_static_selectorELNS0_4arch9wavefront6targetE1EEEvT1_
	.p2align	8
	.type	_ZN7rocprim17ROCPRIM_400000_NS6detail17trampoline_kernelINS0_14default_configENS1_20scan_config_selectorIiEEZZNS1_9scan_implILNS1_25lookback_scan_determinismE0ELb1ELb1ES3_N6thrust23THRUST_200600_302600_NS6detail15normal_iteratorINS9_10device_ptrIiEEEESE_iNS9_4plusIiEEiEEDaPvRmT3_T4_T5_mT6_P12ihipStream_tbENKUlT_T0_E_clISt17integral_constantIbLb0EEST_IbLb1EEEEDaSP_SQ_EUlSP_E_NS1_11comp_targetILNS1_3genE10ELNS1_11target_archE1201ELNS1_3gpuE5ELNS1_3repE0EEENS1_30default_config_static_selectorELNS0_4arch9wavefront6targetE1EEEvT1_,@function
_ZN7rocprim17ROCPRIM_400000_NS6detail17trampoline_kernelINS0_14default_configENS1_20scan_config_selectorIiEEZZNS1_9scan_implILNS1_25lookback_scan_determinismE0ELb1ELb1ES3_N6thrust23THRUST_200600_302600_NS6detail15normal_iteratorINS9_10device_ptrIiEEEESE_iNS9_4plusIiEEiEEDaPvRmT3_T4_T5_mT6_P12ihipStream_tbENKUlT_T0_E_clISt17integral_constantIbLb0EEST_IbLb1EEEEDaSP_SQ_EUlSP_E_NS1_11comp_targetILNS1_3genE10ELNS1_11target_archE1201ELNS1_3gpuE5ELNS1_3repE0EEENS1_30default_config_static_selectorELNS0_4arch9wavefront6targetE1EEEvT1_: ; @_ZN7rocprim17ROCPRIM_400000_NS6detail17trampoline_kernelINS0_14default_configENS1_20scan_config_selectorIiEEZZNS1_9scan_implILNS1_25lookback_scan_determinismE0ELb1ELb1ES3_N6thrust23THRUST_200600_302600_NS6detail15normal_iteratorINS9_10device_ptrIiEEEESE_iNS9_4plusIiEEiEEDaPvRmT3_T4_T5_mT6_P12ihipStream_tbENKUlT_T0_E_clISt17integral_constantIbLb0EEST_IbLb1EEEEDaSP_SQ_EUlSP_E_NS1_11comp_targetILNS1_3genE10ELNS1_11target_archE1201ELNS1_3gpuE5ELNS1_3repE0EEENS1_30default_config_static_selectorELNS0_4arch9wavefront6targetE1EEEvT1_
; %bb.0:
	.section	.rodata,"a",@progbits
	.p2align	6, 0x0
	.amdhsa_kernel _ZN7rocprim17ROCPRIM_400000_NS6detail17trampoline_kernelINS0_14default_configENS1_20scan_config_selectorIiEEZZNS1_9scan_implILNS1_25lookback_scan_determinismE0ELb1ELb1ES3_N6thrust23THRUST_200600_302600_NS6detail15normal_iteratorINS9_10device_ptrIiEEEESE_iNS9_4plusIiEEiEEDaPvRmT3_T4_T5_mT6_P12ihipStream_tbENKUlT_T0_E_clISt17integral_constantIbLb0EEST_IbLb1EEEEDaSP_SQ_EUlSP_E_NS1_11comp_targetILNS1_3genE10ELNS1_11target_archE1201ELNS1_3gpuE5ELNS1_3repE0EEENS1_30default_config_static_selectorELNS0_4arch9wavefront6targetE1EEEvT1_
		.amdhsa_group_segment_fixed_size 0
		.amdhsa_private_segment_fixed_size 0
		.amdhsa_kernarg_size 96
		.amdhsa_user_sgpr_count 6
		.amdhsa_user_sgpr_private_segment_buffer 1
		.amdhsa_user_sgpr_dispatch_ptr 0
		.amdhsa_user_sgpr_queue_ptr 0
		.amdhsa_user_sgpr_kernarg_segment_ptr 1
		.amdhsa_user_sgpr_dispatch_id 0
		.amdhsa_user_sgpr_flat_scratch_init 0
		.amdhsa_user_sgpr_kernarg_preload_length 0
		.amdhsa_user_sgpr_kernarg_preload_offset 0
		.amdhsa_user_sgpr_private_segment_size 0
		.amdhsa_uses_dynamic_stack 0
		.amdhsa_system_sgpr_private_segment_wavefront_offset 0
		.amdhsa_system_sgpr_workgroup_id_x 1
		.amdhsa_system_sgpr_workgroup_id_y 0
		.amdhsa_system_sgpr_workgroup_id_z 0
		.amdhsa_system_sgpr_workgroup_info 0
		.amdhsa_system_vgpr_workitem_id 0
		.amdhsa_next_free_vgpr 1
		.amdhsa_next_free_sgpr 0
		.amdhsa_accum_offset 4
		.amdhsa_reserve_vcc 0
		.amdhsa_reserve_flat_scratch 0
		.amdhsa_float_round_mode_32 0
		.amdhsa_float_round_mode_16_64 0
		.amdhsa_float_denorm_mode_32 3
		.amdhsa_float_denorm_mode_16_64 3
		.amdhsa_dx10_clamp 1
		.amdhsa_ieee_mode 1
		.amdhsa_fp16_overflow 0
		.amdhsa_tg_split 0
		.amdhsa_exception_fp_ieee_invalid_op 0
		.amdhsa_exception_fp_denorm_src 0
		.amdhsa_exception_fp_ieee_div_zero 0
		.amdhsa_exception_fp_ieee_overflow 0
		.amdhsa_exception_fp_ieee_underflow 0
		.amdhsa_exception_fp_ieee_inexact 0
		.amdhsa_exception_int_div_zero 0
	.end_amdhsa_kernel
	.section	.text._ZN7rocprim17ROCPRIM_400000_NS6detail17trampoline_kernelINS0_14default_configENS1_20scan_config_selectorIiEEZZNS1_9scan_implILNS1_25lookback_scan_determinismE0ELb1ELb1ES3_N6thrust23THRUST_200600_302600_NS6detail15normal_iteratorINS9_10device_ptrIiEEEESE_iNS9_4plusIiEEiEEDaPvRmT3_T4_T5_mT6_P12ihipStream_tbENKUlT_T0_E_clISt17integral_constantIbLb0EEST_IbLb1EEEEDaSP_SQ_EUlSP_E_NS1_11comp_targetILNS1_3genE10ELNS1_11target_archE1201ELNS1_3gpuE5ELNS1_3repE0EEENS1_30default_config_static_selectorELNS0_4arch9wavefront6targetE1EEEvT1_,"axG",@progbits,_ZN7rocprim17ROCPRIM_400000_NS6detail17trampoline_kernelINS0_14default_configENS1_20scan_config_selectorIiEEZZNS1_9scan_implILNS1_25lookback_scan_determinismE0ELb1ELb1ES3_N6thrust23THRUST_200600_302600_NS6detail15normal_iteratorINS9_10device_ptrIiEEEESE_iNS9_4plusIiEEiEEDaPvRmT3_T4_T5_mT6_P12ihipStream_tbENKUlT_T0_E_clISt17integral_constantIbLb0EEST_IbLb1EEEEDaSP_SQ_EUlSP_E_NS1_11comp_targetILNS1_3genE10ELNS1_11target_archE1201ELNS1_3gpuE5ELNS1_3repE0EEENS1_30default_config_static_selectorELNS0_4arch9wavefront6targetE1EEEvT1_,comdat
.Lfunc_end719:
	.size	_ZN7rocprim17ROCPRIM_400000_NS6detail17trampoline_kernelINS0_14default_configENS1_20scan_config_selectorIiEEZZNS1_9scan_implILNS1_25lookback_scan_determinismE0ELb1ELb1ES3_N6thrust23THRUST_200600_302600_NS6detail15normal_iteratorINS9_10device_ptrIiEEEESE_iNS9_4plusIiEEiEEDaPvRmT3_T4_T5_mT6_P12ihipStream_tbENKUlT_T0_E_clISt17integral_constantIbLb0EEST_IbLb1EEEEDaSP_SQ_EUlSP_E_NS1_11comp_targetILNS1_3genE10ELNS1_11target_archE1201ELNS1_3gpuE5ELNS1_3repE0EEENS1_30default_config_static_selectorELNS0_4arch9wavefront6targetE1EEEvT1_, .Lfunc_end719-_ZN7rocprim17ROCPRIM_400000_NS6detail17trampoline_kernelINS0_14default_configENS1_20scan_config_selectorIiEEZZNS1_9scan_implILNS1_25lookback_scan_determinismE0ELb1ELb1ES3_N6thrust23THRUST_200600_302600_NS6detail15normal_iteratorINS9_10device_ptrIiEEEESE_iNS9_4plusIiEEiEEDaPvRmT3_T4_T5_mT6_P12ihipStream_tbENKUlT_T0_E_clISt17integral_constantIbLb0EEST_IbLb1EEEEDaSP_SQ_EUlSP_E_NS1_11comp_targetILNS1_3genE10ELNS1_11target_archE1201ELNS1_3gpuE5ELNS1_3repE0EEENS1_30default_config_static_selectorELNS0_4arch9wavefront6targetE1EEEvT1_
                                        ; -- End function
	.section	.AMDGPU.csdata,"",@progbits
; Kernel info:
; codeLenInByte = 0
; NumSgprs: 4
; NumVgprs: 0
; NumAgprs: 0
; TotalNumVgprs: 0
; ScratchSize: 0
; MemoryBound: 0
; FloatMode: 240
; IeeeMode: 1
; LDSByteSize: 0 bytes/workgroup (compile time only)
; SGPRBlocks: 0
; VGPRBlocks: 0
; NumSGPRsForWavesPerEU: 4
; NumVGPRsForWavesPerEU: 1
; AccumOffset: 4
; Occupancy: 8
; WaveLimiterHint : 0
; COMPUTE_PGM_RSRC2:SCRATCH_EN: 0
; COMPUTE_PGM_RSRC2:USER_SGPR: 6
; COMPUTE_PGM_RSRC2:TRAP_HANDLER: 0
; COMPUTE_PGM_RSRC2:TGID_X_EN: 1
; COMPUTE_PGM_RSRC2:TGID_Y_EN: 0
; COMPUTE_PGM_RSRC2:TGID_Z_EN: 0
; COMPUTE_PGM_RSRC2:TIDIG_COMP_CNT: 0
; COMPUTE_PGM_RSRC3_GFX90A:ACCUM_OFFSET: 0
; COMPUTE_PGM_RSRC3_GFX90A:TG_SPLIT: 0
	.section	.text._ZN7rocprim17ROCPRIM_400000_NS6detail17trampoline_kernelINS0_14default_configENS1_20scan_config_selectorIiEEZZNS1_9scan_implILNS1_25lookback_scan_determinismE0ELb1ELb1ES3_N6thrust23THRUST_200600_302600_NS6detail15normal_iteratorINS9_10device_ptrIiEEEESE_iNS9_4plusIiEEiEEDaPvRmT3_T4_T5_mT6_P12ihipStream_tbENKUlT_T0_E_clISt17integral_constantIbLb0EEST_IbLb1EEEEDaSP_SQ_EUlSP_E_NS1_11comp_targetILNS1_3genE10ELNS1_11target_archE1200ELNS1_3gpuE4ELNS1_3repE0EEENS1_30default_config_static_selectorELNS0_4arch9wavefront6targetE1EEEvT1_,"axG",@progbits,_ZN7rocprim17ROCPRIM_400000_NS6detail17trampoline_kernelINS0_14default_configENS1_20scan_config_selectorIiEEZZNS1_9scan_implILNS1_25lookback_scan_determinismE0ELb1ELb1ES3_N6thrust23THRUST_200600_302600_NS6detail15normal_iteratorINS9_10device_ptrIiEEEESE_iNS9_4plusIiEEiEEDaPvRmT3_T4_T5_mT6_P12ihipStream_tbENKUlT_T0_E_clISt17integral_constantIbLb0EEST_IbLb1EEEEDaSP_SQ_EUlSP_E_NS1_11comp_targetILNS1_3genE10ELNS1_11target_archE1200ELNS1_3gpuE4ELNS1_3repE0EEENS1_30default_config_static_selectorELNS0_4arch9wavefront6targetE1EEEvT1_,comdat
	.protected	_ZN7rocprim17ROCPRIM_400000_NS6detail17trampoline_kernelINS0_14default_configENS1_20scan_config_selectorIiEEZZNS1_9scan_implILNS1_25lookback_scan_determinismE0ELb1ELb1ES3_N6thrust23THRUST_200600_302600_NS6detail15normal_iteratorINS9_10device_ptrIiEEEESE_iNS9_4plusIiEEiEEDaPvRmT3_T4_T5_mT6_P12ihipStream_tbENKUlT_T0_E_clISt17integral_constantIbLb0EEST_IbLb1EEEEDaSP_SQ_EUlSP_E_NS1_11comp_targetILNS1_3genE10ELNS1_11target_archE1200ELNS1_3gpuE4ELNS1_3repE0EEENS1_30default_config_static_selectorELNS0_4arch9wavefront6targetE1EEEvT1_ ; -- Begin function _ZN7rocprim17ROCPRIM_400000_NS6detail17trampoline_kernelINS0_14default_configENS1_20scan_config_selectorIiEEZZNS1_9scan_implILNS1_25lookback_scan_determinismE0ELb1ELb1ES3_N6thrust23THRUST_200600_302600_NS6detail15normal_iteratorINS9_10device_ptrIiEEEESE_iNS9_4plusIiEEiEEDaPvRmT3_T4_T5_mT6_P12ihipStream_tbENKUlT_T0_E_clISt17integral_constantIbLb0EEST_IbLb1EEEEDaSP_SQ_EUlSP_E_NS1_11comp_targetILNS1_3genE10ELNS1_11target_archE1200ELNS1_3gpuE4ELNS1_3repE0EEENS1_30default_config_static_selectorELNS0_4arch9wavefront6targetE1EEEvT1_
	.globl	_ZN7rocprim17ROCPRIM_400000_NS6detail17trampoline_kernelINS0_14default_configENS1_20scan_config_selectorIiEEZZNS1_9scan_implILNS1_25lookback_scan_determinismE0ELb1ELb1ES3_N6thrust23THRUST_200600_302600_NS6detail15normal_iteratorINS9_10device_ptrIiEEEESE_iNS9_4plusIiEEiEEDaPvRmT3_T4_T5_mT6_P12ihipStream_tbENKUlT_T0_E_clISt17integral_constantIbLb0EEST_IbLb1EEEEDaSP_SQ_EUlSP_E_NS1_11comp_targetILNS1_3genE10ELNS1_11target_archE1200ELNS1_3gpuE4ELNS1_3repE0EEENS1_30default_config_static_selectorELNS0_4arch9wavefront6targetE1EEEvT1_
	.p2align	8
	.type	_ZN7rocprim17ROCPRIM_400000_NS6detail17trampoline_kernelINS0_14default_configENS1_20scan_config_selectorIiEEZZNS1_9scan_implILNS1_25lookback_scan_determinismE0ELb1ELb1ES3_N6thrust23THRUST_200600_302600_NS6detail15normal_iteratorINS9_10device_ptrIiEEEESE_iNS9_4plusIiEEiEEDaPvRmT3_T4_T5_mT6_P12ihipStream_tbENKUlT_T0_E_clISt17integral_constantIbLb0EEST_IbLb1EEEEDaSP_SQ_EUlSP_E_NS1_11comp_targetILNS1_3genE10ELNS1_11target_archE1200ELNS1_3gpuE4ELNS1_3repE0EEENS1_30default_config_static_selectorELNS0_4arch9wavefront6targetE1EEEvT1_,@function
_ZN7rocprim17ROCPRIM_400000_NS6detail17trampoline_kernelINS0_14default_configENS1_20scan_config_selectorIiEEZZNS1_9scan_implILNS1_25lookback_scan_determinismE0ELb1ELb1ES3_N6thrust23THRUST_200600_302600_NS6detail15normal_iteratorINS9_10device_ptrIiEEEESE_iNS9_4plusIiEEiEEDaPvRmT3_T4_T5_mT6_P12ihipStream_tbENKUlT_T0_E_clISt17integral_constantIbLb0EEST_IbLb1EEEEDaSP_SQ_EUlSP_E_NS1_11comp_targetILNS1_3genE10ELNS1_11target_archE1200ELNS1_3gpuE4ELNS1_3repE0EEENS1_30default_config_static_selectorELNS0_4arch9wavefront6targetE1EEEvT1_: ; @_ZN7rocprim17ROCPRIM_400000_NS6detail17trampoline_kernelINS0_14default_configENS1_20scan_config_selectorIiEEZZNS1_9scan_implILNS1_25lookback_scan_determinismE0ELb1ELb1ES3_N6thrust23THRUST_200600_302600_NS6detail15normal_iteratorINS9_10device_ptrIiEEEESE_iNS9_4plusIiEEiEEDaPvRmT3_T4_T5_mT6_P12ihipStream_tbENKUlT_T0_E_clISt17integral_constantIbLb0EEST_IbLb1EEEEDaSP_SQ_EUlSP_E_NS1_11comp_targetILNS1_3genE10ELNS1_11target_archE1200ELNS1_3gpuE4ELNS1_3repE0EEENS1_30default_config_static_selectorELNS0_4arch9wavefront6targetE1EEEvT1_
; %bb.0:
	.section	.rodata,"a",@progbits
	.p2align	6, 0x0
	.amdhsa_kernel _ZN7rocprim17ROCPRIM_400000_NS6detail17trampoline_kernelINS0_14default_configENS1_20scan_config_selectorIiEEZZNS1_9scan_implILNS1_25lookback_scan_determinismE0ELb1ELb1ES3_N6thrust23THRUST_200600_302600_NS6detail15normal_iteratorINS9_10device_ptrIiEEEESE_iNS9_4plusIiEEiEEDaPvRmT3_T4_T5_mT6_P12ihipStream_tbENKUlT_T0_E_clISt17integral_constantIbLb0EEST_IbLb1EEEEDaSP_SQ_EUlSP_E_NS1_11comp_targetILNS1_3genE10ELNS1_11target_archE1200ELNS1_3gpuE4ELNS1_3repE0EEENS1_30default_config_static_selectorELNS0_4arch9wavefront6targetE1EEEvT1_
		.amdhsa_group_segment_fixed_size 0
		.amdhsa_private_segment_fixed_size 0
		.amdhsa_kernarg_size 96
		.amdhsa_user_sgpr_count 6
		.amdhsa_user_sgpr_private_segment_buffer 1
		.amdhsa_user_sgpr_dispatch_ptr 0
		.amdhsa_user_sgpr_queue_ptr 0
		.amdhsa_user_sgpr_kernarg_segment_ptr 1
		.amdhsa_user_sgpr_dispatch_id 0
		.amdhsa_user_sgpr_flat_scratch_init 0
		.amdhsa_user_sgpr_kernarg_preload_length 0
		.amdhsa_user_sgpr_kernarg_preload_offset 0
		.amdhsa_user_sgpr_private_segment_size 0
		.amdhsa_uses_dynamic_stack 0
		.amdhsa_system_sgpr_private_segment_wavefront_offset 0
		.amdhsa_system_sgpr_workgroup_id_x 1
		.amdhsa_system_sgpr_workgroup_id_y 0
		.amdhsa_system_sgpr_workgroup_id_z 0
		.amdhsa_system_sgpr_workgroup_info 0
		.amdhsa_system_vgpr_workitem_id 0
		.amdhsa_next_free_vgpr 1
		.amdhsa_next_free_sgpr 0
		.amdhsa_accum_offset 4
		.amdhsa_reserve_vcc 0
		.amdhsa_reserve_flat_scratch 0
		.amdhsa_float_round_mode_32 0
		.amdhsa_float_round_mode_16_64 0
		.amdhsa_float_denorm_mode_32 3
		.amdhsa_float_denorm_mode_16_64 3
		.amdhsa_dx10_clamp 1
		.amdhsa_ieee_mode 1
		.amdhsa_fp16_overflow 0
		.amdhsa_tg_split 0
		.amdhsa_exception_fp_ieee_invalid_op 0
		.amdhsa_exception_fp_denorm_src 0
		.amdhsa_exception_fp_ieee_div_zero 0
		.amdhsa_exception_fp_ieee_overflow 0
		.amdhsa_exception_fp_ieee_underflow 0
		.amdhsa_exception_fp_ieee_inexact 0
		.amdhsa_exception_int_div_zero 0
	.end_amdhsa_kernel
	.section	.text._ZN7rocprim17ROCPRIM_400000_NS6detail17trampoline_kernelINS0_14default_configENS1_20scan_config_selectorIiEEZZNS1_9scan_implILNS1_25lookback_scan_determinismE0ELb1ELb1ES3_N6thrust23THRUST_200600_302600_NS6detail15normal_iteratorINS9_10device_ptrIiEEEESE_iNS9_4plusIiEEiEEDaPvRmT3_T4_T5_mT6_P12ihipStream_tbENKUlT_T0_E_clISt17integral_constantIbLb0EEST_IbLb1EEEEDaSP_SQ_EUlSP_E_NS1_11comp_targetILNS1_3genE10ELNS1_11target_archE1200ELNS1_3gpuE4ELNS1_3repE0EEENS1_30default_config_static_selectorELNS0_4arch9wavefront6targetE1EEEvT1_,"axG",@progbits,_ZN7rocprim17ROCPRIM_400000_NS6detail17trampoline_kernelINS0_14default_configENS1_20scan_config_selectorIiEEZZNS1_9scan_implILNS1_25lookback_scan_determinismE0ELb1ELb1ES3_N6thrust23THRUST_200600_302600_NS6detail15normal_iteratorINS9_10device_ptrIiEEEESE_iNS9_4plusIiEEiEEDaPvRmT3_T4_T5_mT6_P12ihipStream_tbENKUlT_T0_E_clISt17integral_constantIbLb0EEST_IbLb1EEEEDaSP_SQ_EUlSP_E_NS1_11comp_targetILNS1_3genE10ELNS1_11target_archE1200ELNS1_3gpuE4ELNS1_3repE0EEENS1_30default_config_static_selectorELNS0_4arch9wavefront6targetE1EEEvT1_,comdat
.Lfunc_end720:
	.size	_ZN7rocprim17ROCPRIM_400000_NS6detail17trampoline_kernelINS0_14default_configENS1_20scan_config_selectorIiEEZZNS1_9scan_implILNS1_25lookback_scan_determinismE0ELb1ELb1ES3_N6thrust23THRUST_200600_302600_NS6detail15normal_iteratorINS9_10device_ptrIiEEEESE_iNS9_4plusIiEEiEEDaPvRmT3_T4_T5_mT6_P12ihipStream_tbENKUlT_T0_E_clISt17integral_constantIbLb0EEST_IbLb1EEEEDaSP_SQ_EUlSP_E_NS1_11comp_targetILNS1_3genE10ELNS1_11target_archE1200ELNS1_3gpuE4ELNS1_3repE0EEENS1_30default_config_static_selectorELNS0_4arch9wavefront6targetE1EEEvT1_, .Lfunc_end720-_ZN7rocprim17ROCPRIM_400000_NS6detail17trampoline_kernelINS0_14default_configENS1_20scan_config_selectorIiEEZZNS1_9scan_implILNS1_25lookback_scan_determinismE0ELb1ELb1ES3_N6thrust23THRUST_200600_302600_NS6detail15normal_iteratorINS9_10device_ptrIiEEEESE_iNS9_4plusIiEEiEEDaPvRmT3_T4_T5_mT6_P12ihipStream_tbENKUlT_T0_E_clISt17integral_constantIbLb0EEST_IbLb1EEEEDaSP_SQ_EUlSP_E_NS1_11comp_targetILNS1_3genE10ELNS1_11target_archE1200ELNS1_3gpuE4ELNS1_3repE0EEENS1_30default_config_static_selectorELNS0_4arch9wavefront6targetE1EEEvT1_
                                        ; -- End function
	.section	.AMDGPU.csdata,"",@progbits
; Kernel info:
; codeLenInByte = 0
; NumSgprs: 4
; NumVgprs: 0
; NumAgprs: 0
; TotalNumVgprs: 0
; ScratchSize: 0
; MemoryBound: 0
; FloatMode: 240
; IeeeMode: 1
; LDSByteSize: 0 bytes/workgroup (compile time only)
; SGPRBlocks: 0
; VGPRBlocks: 0
; NumSGPRsForWavesPerEU: 4
; NumVGPRsForWavesPerEU: 1
; AccumOffset: 4
; Occupancy: 8
; WaveLimiterHint : 0
; COMPUTE_PGM_RSRC2:SCRATCH_EN: 0
; COMPUTE_PGM_RSRC2:USER_SGPR: 6
; COMPUTE_PGM_RSRC2:TRAP_HANDLER: 0
; COMPUTE_PGM_RSRC2:TGID_X_EN: 1
; COMPUTE_PGM_RSRC2:TGID_Y_EN: 0
; COMPUTE_PGM_RSRC2:TGID_Z_EN: 0
; COMPUTE_PGM_RSRC2:TIDIG_COMP_CNT: 0
; COMPUTE_PGM_RSRC3_GFX90A:ACCUM_OFFSET: 0
; COMPUTE_PGM_RSRC3_GFX90A:TG_SPLIT: 0
	.section	.text._ZN7rocprim17ROCPRIM_400000_NS6detail17trampoline_kernelINS0_14default_configENS1_20scan_config_selectorIiEEZZNS1_9scan_implILNS1_25lookback_scan_determinismE0ELb1ELb1ES3_N6thrust23THRUST_200600_302600_NS6detail15normal_iteratorINS9_10device_ptrIiEEEESE_iNS9_4plusIiEEiEEDaPvRmT3_T4_T5_mT6_P12ihipStream_tbENKUlT_T0_E_clISt17integral_constantIbLb0EEST_IbLb1EEEEDaSP_SQ_EUlSP_E_NS1_11comp_targetILNS1_3genE9ELNS1_11target_archE1100ELNS1_3gpuE3ELNS1_3repE0EEENS1_30default_config_static_selectorELNS0_4arch9wavefront6targetE1EEEvT1_,"axG",@progbits,_ZN7rocprim17ROCPRIM_400000_NS6detail17trampoline_kernelINS0_14default_configENS1_20scan_config_selectorIiEEZZNS1_9scan_implILNS1_25lookback_scan_determinismE0ELb1ELb1ES3_N6thrust23THRUST_200600_302600_NS6detail15normal_iteratorINS9_10device_ptrIiEEEESE_iNS9_4plusIiEEiEEDaPvRmT3_T4_T5_mT6_P12ihipStream_tbENKUlT_T0_E_clISt17integral_constantIbLb0EEST_IbLb1EEEEDaSP_SQ_EUlSP_E_NS1_11comp_targetILNS1_3genE9ELNS1_11target_archE1100ELNS1_3gpuE3ELNS1_3repE0EEENS1_30default_config_static_selectorELNS0_4arch9wavefront6targetE1EEEvT1_,comdat
	.protected	_ZN7rocprim17ROCPRIM_400000_NS6detail17trampoline_kernelINS0_14default_configENS1_20scan_config_selectorIiEEZZNS1_9scan_implILNS1_25lookback_scan_determinismE0ELb1ELb1ES3_N6thrust23THRUST_200600_302600_NS6detail15normal_iteratorINS9_10device_ptrIiEEEESE_iNS9_4plusIiEEiEEDaPvRmT3_T4_T5_mT6_P12ihipStream_tbENKUlT_T0_E_clISt17integral_constantIbLb0EEST_IbLb1EEEEDaSP_SQ_EUlSP_E_NS1_11comp_targetILNS1_3genE9ELNS1_11target_archE1100ELNS1_3gpuE3ELNS1_3repE0EEENS1_30default_config_static_selectorELNS0_4arch9wavefront6targetE1EEEvT1_ ; -- Begin function _ZN7rocprim17ROCPRIM_400000_NS6detail17trampoline_kernelINS0_14default_configENS1_20scan_config_selectorIiEEZZNS1_9scan_implILNS1_25lookback_scan_determinismE0ELb1ELb1ES3_N6thrust23THRUST_200600_302600_NS6detail15normal_iteratorINS9_10device_ptrIiEEEESE_iNS9_4plusIiEEiEEDaPvRmT3_T4_T5_mT6_P12ihipStream_tbENKUlT_T0_E_clISt17integral_constantIbLb0EEST_IbLb1EEEEDaSP_SQ_EUlSP_E_NS1_11comp_targetILNS1_3genE9ELNS1_11target_archE1100ELNS1_3gpuE3ELNS1_3repE0EEENS1_30default_config_static_selectorELNS0_4arch9wavefront6targetE1EEEvT1_
	.globl	_ZN7rocprim17ROCPRIM_400000_NS6detail17trampoline_kernelINS0_14default_configENS1_20scan_config_selectorIiEEZZNS1_9scan_implILNS1_25lookback_scan_determinismE0ELb1ELb1ES3_N6thrust23THRUST_200600_302600_NS6detail15normal_iteratorINS9_10device_ptrIiEEEESE_iNS9_4plusIiEEiEEDaPvRmT3_T4_T5_mT6_P12ihipStream_tbENKUlT_T0_E_clISt17integral_constantIbLb0EEST_IbLb1EEEEDaSP_SQ_EUlSP_E_NS1_11comp_targetILNS1_3genE9ELNS1_11target_archE1100ELNS1_3gpuE3ELNS1_3repE0EEENS1_30default_config_static_selectorELNS0_4arch9wavefront6targetE1EEEvT1_
	.p2align	8
	.type	_ZN7rocprim17ROCPRIM_400000_NS6detail17trampoline_kernelINS0_14default_configENS1_20scan_config_selectorIiEEZZNS1_9scan_implILNS1_25lookback_scan_determinismE0ELb1ELb1ES3_N6thrust23THRUST_200600_302600_NS6detail15normal_iteratorINS9_10device_ptrIiEEEESE_iNS9_4plusIiEEiEEDaPvRmT3_T4_T5_mT6_P12ihipStream_tbENKUlT_T0_E_clISt17integral_constantIbLb0EEST_IbLb1EEEEDaSP_SQ_EUlSP_E_NS1_11comp_targetILNS1_3genE9ELNS1_11target_archE1100ELNS1_3gpuE3ELNS1_3repE0EEENS1_30default_config_static_selectorELNS0_4arch9wavefront6targetE1EEEvT1_,@function
_ZN7rocprim17ROCPRIM_400000_NS6detail17trampoline_kernelINS0_14default_configENS1_20scan_config_selectorIiEEZZNS1_9scan_implILNS1_25lookback_scan_determinismE0ELb1ELb1ES3_N6thrust23THRUST_200600_302600_NS6detail15normal_iteratorINS9_10device_ptrIiEEEESE_iNS9_4plusIiEEiEEDaPvRmT3_T4_T5_mT6_P12ihipStream_tbENKUlT_T0_E_clISt17integral_constantIbLb0EEST_IbLb1EEEEDaSP_SQ_EUlSP_E_NS1_11comp_targetILNS1_3genE9ELNS1_11target_archE1100ELNS1_3gpuE3ELNS1_3repE0EEENS1_30default_config_static_selectorELNS0_4arch9wavefront6targetE1EEEvT1_: ; @_ZN7rocprim17ROCPRIM_400000_NS6detail17trampoline_kernelINS0_14default_configENS1_20scan_config_selectorIiEEZZNS1_9scan_implILNS1_25lookback_scan_determinismE0ELb1ELb1ES3_N6thrust23THRUST_200600_302600_NS6detail15normal_iteratorINS9_10device_ptrIiEEEESE_iNS9_4plusIiEEiEEDaPvRmT3_T4_T5_mT6_P12ihipStream_tbENKUlT_T0_E_clISt17integral_constantIbLb0EEST_IbLb1EEEEDaSP_SQ_EUlSP_E_NS1_11comp_targetILNS1_3genE9ELNS1_11target_archE1100ELNS1_3gpuE3ELNS1_3repE0EEENS1_30default_config_static_selectorELNS0_4arch9wavefront6targetE1EEEvT1_
; %bb.0:
	.section	.rodata,"a",@progbits
	.p2align	6, 0x0
	.amdhsa_kernel _ZN7rocprim17ROCPRIM_400000_NS6detail17trampoline_kernelINS0_14default_configENS1_20scan_config_selectorIiEEZZNS1_9scan_implILNS1_25lookback_scan_determinismE0ELb1ELb1ES3_N6thrust23THRUST_200600_302600_NS6detail15normal_iteratorINS9_10device_ptrIiEEEESE_iNS9_4plusIiEEiEEDaPvRmT3_T4_T5_mT6_P12ihipStream_tbENKUlT_T0_E_clISt17integral_constantIbLb0EEST_IbLb1EEEEDaSP_SQ_EUlSP_E_NS1_11comp_targetILNS1_3genE9ELNS1_11target_archE1100ELNS1_3gpuE3ELNS1_3repE0EEENS1_30default_config_static_selectorELNS0_4arch9wavefront6targetE1EEEvT1_
		.amdhsa_group_segment_fixed_size 0
		.amdhsa_private_segment_fixed_size 0
		.amdhsa_kernarg_size 96
		.amdhsa_user_sgpr_count 6
		.amdhsa_user_sgpr_private_segment_buffer 1
		.amdhsa_user_sgpr_dispatch_ptr 0
		.amdhsa_user_sgpr_queue_ptr 0
		.amdhsa_user_sgpr_kernarg_segment_ptr 1
		.amdhsa_user_sgpr_dispatch_id 0
		.amdhsa_user_sgpr_flat_scratch_init 0
		.amdhsa_user_sgpr_kernarg_preload_length 0
		.amdhsa_user_sgpr_kernarg_preload_offset 0
		.amdhsa_user_sgpr_private_segment_size 0
		.amdhsa_uses_dynamic_stack 0
		.amdhsa_system_sgpr_private_segment_wavefront_offset 0
		.amdhsa_system_sgpr_workgroup_id_x 1
		.amdhsa_system_sgpr_workgroup_id_y 0
		.amdhsa_system_sgpr_workgroup_id_z 0
		.amdhsa_system_sgpr_workgroup_info 0
		.amdhsa_system_vgpr_workitem_id 0
		.amdhsa_next_free_vgpr 1
		.amdhsa_next_free_sgpr 0
		.amdhsa_accum_offset 4
		.amdhsa_reserve_vcc 0
		.amdhsa_reserve_flat_scratch 0
		.amdhsa_float_round_mode_32 0
		.amdhsa_float_round_mode_16_64 0
		.amdhsa_float_denorm_mode_32 3
		.amdhsa_float_denorm_mode_16_64 3
		.amdhsa_dx10_clamp 1
		.amdhsa_ieee_mode 1
		.amdhsa_fp16_overflow 0
		.amdhsa_tg_split 0
		.amdhsa_exception_fp_ieee_invalid_op 0
		.amdhsa_exception_fp_denorm_src 0
		.amdhsa_exception_fp_ieee_div_zero 0
		.amdhsa_exception_fp_ieee_overflow 0
		.amdhsa_exception_fp_ieee_underflow 0
		.amdhsa_exception_fp_ieee_inexact 0
		.amdhsa_exception_int_div_zero 0
	.end_amdhsa_kernel
	.section	.text._ZN7rocprim17ROCPRIM_400000_NS6detail17trampoline_kernelINS0_14default_configENS1_20scan_config_selectorIiEEZZNS1_9scan_implILNS1_25lookback_scan_determinismE0ELb1ELb1ES3_N6thrust23THRUST_200600_302600_NS6detail15normal_iteratorINS9_10device_ptrIiEEEESE_iNS9_4plusIiEEiEEDaPvRmT3_T4_T5_mT6_P12ihipStream_tbENKUlT_T0_E_clISt17integral_constantIbLb0EEST_IbLb1EEEEDaSP_SQ_EUlSP_E_NS1_11comp_targetILNS1_3genE9ELNS1_11target_archE1100ELNS1_3gpuE3ELNS1_3repE0EEENS1_30default_config_static_selectorELNS0_4arch9wavefront6targetE1EEEvT1_,"axG",@progbits,_ZN7rocprim17ROCPRIM_400000_NS6detail17trampoline_kernelINS0_14default_configENS1_20scan_config_selectorIiEEZZNS1_9scan_implILNS1_25lookback_scan_determinismE0ELb1ELb1ES3_N6thrust23THRUST_200600_302600_NS6detail15normal_iteratorINS9_10device_ptrIiEEEESE_iNS9_4plusIiEEiEEDaPvRmT3_T4_T5_mT6_P12ihipStream_tbENKUlT_T0_E_clISt17integral_constantIbLb0EEST_IbLb1EEEEDaSP_SQ_EUlSP_E_NS1_11comp_targetILNS1_3genE9ELNS1_11target_archE1100ELNS1_3gpuE3ELNS1_3repE0EEENS1_30default_config_static_selectorELNS0_4arch9wavefront6targetE1EEEvT1_,comdat
.Lfunc_end721:
	.size	_ZN7rocprim17ROCPRIM_400000_NS6detail17trampoline_kernelINS0_14default_configENS1_20scan_config_selectorIiEEZZNS1_9scan_implILNS1_25lookback_scan_determinismE0ELb1ELb1ES3_N6thrust23THRUST_200600_302600_NS6detail15normal_iteratorINS9_10device_ptrIiEEEESE_iNS9_4plusIiEEiEEDaPvRmT3_T4_T5_mT6_P12ihipStream_tbENKUlT_T0_E_clISt17integral_constantIbLb0EEST_IbLb1EEEEDaSP_SQ_EUlSP_E_NS1_11comp_targetILNS1_3genE9ELNS1_11target_archE1100ELNS1_3gpuE3ELNS1_3repE0EEENS1_30default_config_static_selectorELNS0_4arch9wavefront6targetE1EEEvT1_, .Lfunc_end721-_ZN7rocprim17ROCPRIM_400000_NS6detail17trampoline_kernelINS0_14default_configENS1_20scan_config_selectorIiEEZZNS1_9scan_implILNS1_25lookback_scan_determinismE0ELb1ELb1ES3_N6thrust23THRUST_200600_302600_NS6detail15normal_iteratorINS9_10device_ptrIiEEEESE_iNS9_4plusIiEEiEEDaPvRmT3_T4_T5_mT6_P12ihipStream_tbENKUlT_T0_E_clISt17integral_constantIbLb0EEST_IbLb1EEEEDaSP_SQ_EUlSP_E_NS1_11comp_targetILNS1_3genE9ELNS1_11target_archE1100ELNS1_3gpuE3ELNS1_3repE0EEENS1_30default_config_static_selectorELNS0_4arch9wavefront6targetE1EEEvT1_
                                        ; -- End function
	.section	.AMDGPU.csdata,"",@progbits
; Kernel info:
; codeLenInByte = 0
; NumSgprs: 4
; NumVgprs: 0
; NumAgprs: 0
; TotalNumVgprs: 0
; ScratchSize: 0
; MemoryBound: 0
; FloatMode: 240
; IeeeMode: 1
; LDSByteSize: 0 bytes/workgroup (compile time only)
; SGPRBlocks: 0
; VGPRBlocks: 0
; NumSGPRsForWavesPerEU: 4
; NumVGPRsForWavesPerEU: 1
; AccumOffset: 4
; Occupancy: 8
; WaveLimiterHint : 0
; COMPUTE_PGM_RSRC2:SCRATCH_EN: 0
; COMPUTE_PGM_RSRC2:USER_SGPR: 6
; COMPUTE_PGM_RSRC2:TRAP_HANDLER: 0
; COMPUTE_PGM_RSRC2:TGID_X_EN: 1
; COMPUTE_PGM_RSRC2:TGID_Y_EN: 0
; COMPUTE_PGM_RSRC2:TGID_Z_EN: 0
; COMPUTE_PGM_RSRC2:TIDIG_COMP_CNT: 0
; COMPUTE_PGM_RSRC3_GFX90A:ACCUM_OFFSET: 0
; COMPUTE_PGM_RSRC3_GFX90A:TG_SPLIT: 0
	.section	.text._ZN7rocprim17ROCPRIM_400000_NS6detail17trampoline_kernelINS0_14default_configENS1_20scan_config_selectorIiEEZZNS1_9scan_implILNS1_25lookback_scan_determinismE0ELb1ELb1ES3_N6thrust23THRUST_200600_302600_NS6detail15normal_iteratorINS9_10device_ptrIiEEEESE_iNS9_4plusIiEEiEEDaPvRmT3_T4_T5_mT6_P12ihipStream_tbENKUlT_T0_E_clISt17integral_constantIbLb0EEST_IbLb1EEEEDaSP_SQ_EUlSP_E_NS1_11comp_targetILNS1_3genE8ELNS1_11target_archE1030ELNS1_3gpuE2ELNS1_3repE0EEENS1_30default_config_static_selectorELNS0_4arch9wavefront6targetE1EEEvT1_,"axG",@progbits,_ZN7rocprim17ROCPRIM_400000_NS6detail17trampoline_kernelINS0_14default_configENS1_20scan_config_selectorIiEEZZNS1_9scan_implILNS1_25lookback_scan_determinismE0ELb1ELb1ES3_N6thrust23THRUST_200600_302600_NS6detail15normal_iteratorINS9_10device_ptrIiEEEESE_iNS9_4plusIiEEiEEDaPvRmT3_T4_T5_mT6_P12ihipStream_tbENKUlT_T0_E_clISt17integral_constantIbLb0EEST_IbLb1EEEEDaSP_SQ_EUlSP_E_NS1_11comp_targetILNS1_3genE8ELNS1_11target_archE1030ELNS1_3gpuE2ELNS1_3repE0EEENS1_30default_config_static_selectorELNS0_4arch9wavefront6targetE1EEEvT1_,comdat
	.protected	_ZN7rocprim17ROCPRIM_400000_NS6detail17trampoline_kernelINS0_14default_configENS1_20scan_config_selectorIiEEZZNS1_9scan_implILNS1_25lookback_scan_determinismE0ELb1ELb1ES3_N6thrust23THRUST_200600_302600_NS6detail15normal_iteratorINS9_10device_ptrIiEEEESE_iNS9_4plusIiEEiEEDaPvRmT3_T4_T5_mT6_P12ihipStream_tbENKUlT_T0_E_clISt17integral_constantIbLb0EEST_IbLb1EEEEDaSP_SQ_EUlSP_E_NS1_11comp_targetILNS1_3genE8ELNS1_11target_archE1030ELNS1_3gpuE2ELNS1_3repE0EEENS1_30default_config_static_selectorELNS0_4arch9wavefront6targetE1EEEvT1_ ; -- Begin function _ZN7rocprim17ROCPRIM_400000_NS6detail17trampoline_kernelINS0_14default_configENS1_20scan_config_selectorIiEEZZNS1_9scan_implILNS1_25lookback_scan_determinismE0ELb1ELb1ES3_N6thrust23THRUST_200600_302600_NS6detail15normal_iteratorINS9_10device_ptrIiEEEESE_iNS9_4plusIiEEiEEDaPvRmT3_T4_T5_mT6_P12ihipStream_tbENKUlT_T0_E_clISt17integral_constantIbLb0EEST_IbLb1EEEEDaSP_SQ_EUlSP_E_NS1_11comp_targetILNS1_3genE8ELNS1_11target_archE1030ELNS1_3gpuE2ELNS1_3repE0EEENS1_30default_config_static_selectorELNS0_4arch9wavefront6targetE1EEEvT1_
	.globl	_ZN7rocprim17ROCPRIM_400000_NS6detail17trampoline_kernelINS0_14default_configENS1_20scan_config_selectorIiEEZZNS1_9scan_implILNS1_25lookback_scan_determinismE0ELb1ELb1ES3_N6thrust23THRUST_200600_302600_NS6detail15normal_iteratorINS9_10device_ptrIiEEEESE_iNS9_4plusIiEEiEEDaPvRmT3_T4_T5_mT6_P12ihipStream_tbENKUlT_T0_E_clISt17integral_constantIbLb0EEST_IbLb1EEEEDaSP_SQ_EUlSP_E_NS1_11comp_targetILNS1_3genE8ELNS1_11target_archE1030ELNS1_3gpuE2ELNS1_3repE0EEENS1_30default_config_static_selectorELNS0_4arch9wavefront6targetE1EEEvT1_
	.p2align	8
	.type	_ZN7rocprim17ROCPRIM_400000_NS6detail17trampoline_kernelINS0_14default_configENS1_20scan_config_selectorIiEEZZNS1_9scan_implILNS1_25lookback_scan_determinismE0ELb1ELb1ES3_N6thrust23THRUST_200600_302600_NS6detail15normal_iteratorINS9_10device_ptrIiEEEESE_iNS9_4plusIiEEiEEDaPvRmT3_T4_T5_mT6_P12ihipStream_tbENKUlT_T0_E_clISt17integral_constantIbLb0EEST_IbLb1EEEEDaSP_SQ_EUlSP_E_NS1_11comp_targetILNS1_3genE8ELNS1_11target_archE1030ELNS1_3gpuE2ELNS1_3repE0EEENS1_30default_config_static_selectorELNS0_4arch9wavefront6targetE1EEEvT1_,@function
_ZN7rocprim17ROCPRIM_400000_NS6detail17trampoline_kernelINS0_14default_configENS1_20scan_config_selectorIiEEZZNS1_9scan_implILNS1_25lookback_scan_determinismE0ELb1ELb1ES3_N6thrust23THRUST_200600_302600_NS6detail15normal_iteratorINS9_10device_ptrIiEEEESE_iNS9_4plusIiEEiEEDaPvRmT3_T4_T5_mT6_P12ihipStream_tbENKUlT_T0_E_clISt17integral_constantIbLb0EEST_IbLb1EEEEDaSP_SQ_EUlSP_E_NS1_11comp_targetILNS1_3genE8ELNS1_11target_archE1030ELNS1_3gpuE2ELNS1_3repE0EEENS1_30default_config_static_selectorELNS0_4arch9wavefront6targetE1EEEvT1_: ; @_ZN7rocprim17ROCPRIM_400000_NS6detail17trampoline_kernelINS0_14default_configENS1_20scan_config_selectorIiEEZZNS1_9scan_implILNS1_25lookback_scan_determinismE0ELb1ELb1ES3_N6thrust23THRUST_200600_302600_NS6detail15normal_iteratorINS9_10device_ptrIiEEEESE_iNS9_4plusIiEEiEEDaPvRmT3_T4_T5_mT6_P12ihipStream_tbENKUlT_T0_E_clISt17integral_constantIbLb0EEST_IbLb1EEEEDaSP_SQ_EUlSP_E_NS1_11comp_targetILNS1_3genE8ELNS1_11target_archE1030ELNS1_3gpuE2ELNS1_3repE0EEENS1_30default_config_static_selectorELNS0_4arch9wavefront6targetE1EEEvT1_
; %bb.0:
	.section	.rodata,"a",@progbits
	.p2align	6, 0x0
	.amdhsa_kernel _ZN7rocprim17ROCPRIM_400000_NS6detail17trampoline_kernelINS0_14default_configENS1_20scan_config_selectorIiEEZZNS1_9scan_implILNS1_25lookback_scan_determinismE0ELb1ELb1ES3_N6thrust23THRUST_200600_302600_NS6detail15normal_iteratorINS9_10device_ptrIiEEEESE_iNS9_4plusIiEEiEEDaPvRmT3_T4_T5_mT6_P12ihipStream_tbENKUlT_T0_E_clISt17integral_constantIbLb0EEST_IbLb1EEEEDaSP_SQ_EUlSP_E_NS1_11comp_targetILNS1_3genE8ELNS1_11target_archE1030ELNS1_3gpuE2ELNS1_3repE0EEENS1_30default_config_static_selectorELNS0_4arch9wavefront6targetE1EEEvT1_
		.amdhsa_group_segment_fixed_size 0
		.amdhsa_private_segment_fixed_size 0
		.amdhsa_kernarg_size 96
		.amdhsa_user_sgpr_count 6
		.amdhsa_user_sgpr_private_segment_buffer 1
		.amdhsa_user_sgpr_dispatch_ptr 0
		.amdhsa_user_sgpr_queue_ptr 0
		.amdhsa_user_sgpr_kernarg_segment_ptr 1
		.amdhsa_user_sgpr_dispatch_id 0
		.amdhsa_user_sgpr_flat_scratch_init 0
		.amdhsa_user_sgpr_kernarg_preload_length 0
		.amdhsa_user_sgpr_kernarg_preload_offset 0
		.amdhsa_user_sgpr_private_segment_size 0
		.amdhsa_uses_dynamic_stack 0
		.amdhsa_system_sgpr_private_segment_wavefront_offset 0
		.amdhsa_system_sgpr_workgroup_id_x 1
		.amdhsa_system_sgpr_workgroup_id_y 0
		.amdhsa_system_sgpr_workgroup_id_z 0
		.amdhsa_system_sgpr_workgroup_info 0
		.amdhsa_system_vgpr_workitem_id 0
		.amdhsa_next_free_vgpr 1
		.amdhsa_next_free_sgpr 0
		.amdhsa_accum_offset 4
		.amdhsa_reserve_vcc 0
		.amdhsa_reserve_flat_scratch 0
		.amdhsa_float_round_mode_32 0
		.amdhsa_float_round_mode_16_64 0
		.amdhsa_float_denorm_mode_32 3
		.amdhsa_float_denorm_mode_16_64 3
		.amdhsa_dx10_clamp 1
		.amdhsa_ieee_mode 1
		.amdhsa_fp16_overflow 0
		.amdhsa_tg_split 0
		.amdhsa_exception_fp_ieee_invalid_op 0
		.amdhsa_exception_fp_denorm_src 0
		.amdhsa_exception_fp_ieee_div_zero 0
		.amdhsa_exception_fp_ieee_overflow 0
		.amdhsa_exception_fp_ieee_underflow 0
		.amdhsa_exception_fp_ieee_inexact 0
		.amdhsa_exception_int_div_zero 0
	.end_amdhsa_kernel
	.section	.text._ZN7rocprim17ROCPRIM_400000_NS6detail17trampoline_kernelINS0_14default_configENS1_20scan_config_selectorIiEEZZNS1_9scan_implILNS1_25lookback_scan_determinismE0ELb1ELb1ES3_N6thrust23THRUST_200600_302600_NS6detail15normal_iteratorINS9_10device_ptrIiEEEESE_iNS9_4plusIiEEiEEDaPvRmT3_T4_T5_mT6_P12ihipStream_tbENKUlT_T0_E_clISt17integral_constantIbLb0EEST_IbLb1EEEEDaSP_SQ_EUlSP_E_NS1_11comp_targetILNS1_3genE8ELNS1_11target_archE1030ELNS1_3gpuE2ELNS1_3repE0EEENS1_30default_config_static_selectorELNS0_4arch9wavefront6targetE1EEEvT1_,"axG",@progbits,_ZN7rocprim17ROCPRIM_400000_NS6detail17trampoline_kernelINS0_14default_configENS1_20scan_config_selectorIiEEZZNS1_9scan_implILNS1_25lookback_scan_determinismE0ELb1ELb1ES3_N6thrust23THRUST_200600_302600_NS6detail15normal_iteratorINS9_10device_ptrIiEEEESE_iNS9_4plusIiEEiEEDaPvRmT3_T4_T5_mT6_P12ihipStream_tbENKUlT_T0_E_clISt17integral_constantIbLb0EEST_IbLb1EEEEDaSP_SQ_EUlSP_E_NS1_11comp_targetILNS1_3genE8ELNS1_11target_archE1030ELNS1_3gpuE2ELNS1_3repE0EEENS1_30default_config_static_selectorELNS0_4arch9wavefront6targetE1EEEvT1_,comdat
.Lfunc_end722:
	.size	_ZN7rocprim17ROCPRIM_400000_NS6detail17trampoline_kernelINS0_14default_configENS1_20scan_config_selectorIiEEZZNS1_9scan_implILNS1_25lookback_scan_determinismE0ELb1ELb1ES3_N6thrust23THRUST_200600_302600_NS6detail15normal_iteratorINS9_10device_ptrIiEEEESE_iNS9_4plusIiEEiEEDaPvRmT3_T4_T5_mT6_P12ihipStream_tbENKUlT_T0_E_clISt17integral_constantIbLb0EEST_IbLb1EEEEDaSP_SQ_EUlSP_E_NS1_11comp_targetILNS1_3genE8ELNS1_11target_archE1030ELNS1_3gpuE2ELNS1_3repE0EEENS1_30default_config_static_selectorELNS0_4arch9wavefront6targetE1EEEvT1_, .Lfunc_end722-_ZN7rocprim17ROCPRIM_400000_NS6detail17trampoline_kernelINS0_14default_configENS1_20scan_config_selectorIiEEZZNS1_9scan_implILNS1_25lookback_scan_determinismE0ELb1ELb1ES3_N6thrust23THRUST_200600_302600_NS6detail15normal_iteratorINS9_10device_ptrIiEEEESE_iNS9_4plusIiEEiEEDaPvRmT3_T4_T5_mT6_P12ihipStream_tbENKUlT_T0_E_clISt17integral_constantIbLb0EEST_IbLb1EEEEDaSP_SQ_EUlSP_E_NS1_11comp_targetILNS1_3genE8ELNS1_11target_archE1030ELNS1_3gpuE2ELNS1_3repE0EEENS1_30default_config_static_selectorELNS0_4arch9wavefront6targetE1EEEvT1_
                                        ; -- End function
	.section	.AMDGPU.csdata,"",@progbits
; Kernel info:
; codeLenInByte = 0
; NumSgprs: 4
; NumVgprs: 0
; NumAgprs: 0
; TotalNumVgprs: 0
; ScratchSize: 0
; MemoryBound: 0
; FloatMode: 240
; IeeeMode: 1
; LDSByteSize: 0 bytes/workgroup (compile time only)
; SGPRBlocks: 0
; VGPRBlocks: 0
; NumSGPRsForWavesPerEU: 4
; NumVGPRsForWavesPerEU: 1
; AccumOffset: 4
; Occupancy: 8
; WaveLimiterHint : 0
; COMPUTE_PGM_RSRC2:SCRATCH_EN: 0
; COMPUTE_PGM_RSRC2:USER_SGPR: 6
; COMPUTE_PGM_RSRC2:TRAP_HANDLER: 0
; COMPUTE_PGM_RSRC2:TGID_X_EN: 1
; COMPUTE_PGM_RSRC2:TGID_Y_EN: 0
; COMPUTE_PGM_RSRC2:TGID_Z_EN: 0
; COMPUTE_PGM_RSRC2:TIDIG_COMP_CNT: 0
; COMPUTE_PGM_RSRC3_GFX90A:ACCUM_OFFSET: 0
; COMPUTE_PGM_RSRC3_GFX90A:TG_SPLIT: 0
	.section	.text._ZN7rocprim17ROCPRIM_400000_NS6detail17trampoline_kernelINS0_14default_configENS1_20scan_config_selectorIiEEZZNS1_9scan_implILNS1_25lookback_scan_determinismE0ELb1ELb1ES3_N6thrust23THRUST_200600_302600_NS6detail15normal_iteratorINS9_10device_ptrIiEEEESE_iNS9_4plusIiEEiEEDaPvRmT3_T4_T5_mT6_P12ihipStream_tbENKUlT_T0_E_clISt17integral_constantIbLb0EEST_IbLb1EEEEDaSP_SQ_EUlSP_E0_NS1_11comp_targetILNS1_3genE0ELNS1_11target_archE4294967295ELNS1_3gpuE0ELNS1_3repE0EEENS1_30default_config_static_selectorELNS0_4arch9wavefront6targetE1EEEvT1_,"axG",@progbits,_ZN7rocprim17ROCPRIM_400000_NS6detail17trampoline_kernelINS0_14default_configENS1_20scan_config_selectorIiEEZZNS1_9scan_implILNS1_25lookback_scan_determinismE0ELb1ELb1ES3_N6thrust23THRUST_200600_302600_NS6detail15normal_iteratorINS9_10device_ptrIiEEEESE_iNS9_4plusIiEEiEEDaPvRmT3_T4_T5_mT6_P12ihipStream_tbENKUlT_T0_E_clISt17integral_constantIbLb0EEST_IbLb1EEEEDaSP_SQ_EUlSP_E0_NS1_11comp_targetILNS1_3genE0ELNS1_11target_archE4294967295ELNS1_3gpuE0ELNS1_3repE0EEENS1_30default_config_static_selectorELNS0_4arch9wavefront6targetE1EEEvT1_,comdat
	.protected	_ZN7rocprim17ROCPRIM_400000_NS6detail17trampoline_kernelINS0_14default_configENS1_20scan_config_selectorIiEEZZNS1_9scan_implILNS1_25lookback_scan_determinismE0ELb1ELb1ES3_N6thrust23THRUST_200600_302600_NS6detail15normal_iteratorINS9_10device_ptrIiEEEESE_iNS9_4plusIiEEiEEDaPvRmT3_T4_T5_mT6_P12ihipStream_tbENKUlT_T0_E_clISt17integral_constantIbLb0EEST_IbLb1EEEEDaSP_SQ_EUlSP_E0_NS1_11comp_targetILNS1_3genE0ELNS1_11target_archE4294967295ELNS1_3gpuE0ELNS1_3repE0EEENS1_30default_config_static_selectorELNS0_4arch9wavefront6targetE1EEEvT1_ ; -- Begin function _ZN7rocprim17ROCPRIM_400000_NS6detail17trampoline_kernelINS0_14default_configENS1_20scan_config_selectorIiEEZZNS1_9scan_implILNS1_25lookback_scan_determinismE0ELb1ELb1ES3_N6thrust23THRUST_200600_302600_NS6detail15normal_iteratorINS9_10device_ptrIiEEEESE_iNS9_4plusIiEEiEEDaPvRmT3_T4_T5_mT6_P12ihipStream_tbENKUlT_T0_E_clISt17integral_constantIbLb0EEST_IbLb1EEEEDaSP_SQ_EUlSP_E0_NS1_11comp_targetILNS1_3genE0ELNS1_11target_archE4294967295ELNS1_3gpuE0ELNS1_3repE0EEENS1_30default_config_static_selectorELNS0_4arch9wavefront6targetE1EEEvT1_
	.globl	_ZN7rocprim17ROCPRIM_400000_NS6detail17trampoline_kernelINS0_14default_configENS1_20scan_config_selectorIiEEZZNS1_9scan_implILNS1_25lookback_scan_determinismE0ELb1ELb1ES3_N6thrust23THRUST_200600_302600_NS6detail15normal_iteratorINS9_10device_ptrIiEEEESE_iNS9_4plusIiEEiEEDaPvRmT3_T4_T5_mT6_P12ihipStream_tbENKUlT_T0_E_clISt17integral_constantIbLb0EEST_IbLb1EEEEDaSP_SQ_EUlSP_E0_NS1_11comp_targetILNS1_3genE0ELNS1_11target_archE4294967295ELNS1_3gpuE0ELNS1_3repE0EEENS1_30default_config_static_selectorELNS0_4arch9wavefront6targetE1EEEvT1_
	.p2align	8
	.type	_ZN7rocprim17ROCPRIM_400000_NS6detail17trampoline_kernelINS0_14default_configENS1_20scan_config_selectorIiEEZZNS1_9scan_implILNS1_25lookback_scan_determinismE0ELb1ELb1ES3_N6thrust23THRUST_200600_302600_NS6detail15normal_iteratorINS9_10device_ptrIiEEEESE_iNS9_4plusIiEEiEEDaPvRmT3_T4_T5_mT6_P12ihipStream_tbENKUlT_T0_E_clISt17integral_constantIbLb0EEST_IbLb1EEEEDaSP_SQ_EUlSP_E0_NS1_11comp_targetILNS1_3genE0ELNS1_11target_archE4294967295ELNS1_3gpuE0ELNS1_3repE0EEENS1_30default_config_static_selectorELNS0_4arch9wavefront6targetE1EEEvT1_,@function
_ZN7rocprim17ROCPRIM_400000_NS6detail17trampoline_kernelINS0_14default_configENS1_20scan_config_selectorIiEEZZNS1_9scan_implILNS1_25lookback_scan_determinismE0ELb1ELb1ES3_N6thrust23THRUST_200600_302600_NS6detail15normal_iteratorINS9_10device_ptrIiEEEESE_iNS9_4plusIiEEiEEDaPvRmT3_T4_T5_mT6_P12ihipStream_tbENKUlT_T0_E_clISt17integral_constantIbLb0EEST_IbLb1EEEEDaSP_SQ_EUlSP_E0_NS1_11comp_targetILNS1_3genE0ELNS1_11target_archE4294967295ELNS1_3gpuE0ELNS1_3repE0EEENS1_30default_config_static_selectorELNS0_4arch9wavefront6targetE1EEEvT1_: ; @_ZN7rocprim17ROCPRIM_400000_NS6detail17trampoline_kernelINS0_14default_configENS1_20scan_config_selectorIiEEZZNS1_9scan_implILNS1_25lookback_scan_determinismE0ELb1ELb1ES3_N6thrust23THRUST_200600_302600_NS6detail15normal_iteratorINS9_10device_ptrIiEEEESE_iNS9_4plusIiEEiEEDaPvRmT3_T4_T5_mT6_P12ihipStream_tbENKUlT_T0_E_clISt17integral_constantIbLb0EEST_IbLb1EEEEDaSP_SQ_EUlSP_E0_NS1_11comp_targetILNS1_3genE0ELNS1_11target_archE4294967295ELNS1_3gpuE0ELNS1_3repE0EEENS1_30default_config_static_selectorELNS0_4arch9wavefront6targetE1EEEvT1_
; %bb.0:
	.section	.rodata,"a",@progbits
	.p2align	6, 0x0
	.amdhsa_kernel _ZN7rocprim17ROCPRIM_400000_NS6detail17trampoline_kernelINS0_14default_configENS1_20scan_config_selectorIiEEZZNS1_9scan_implILNS1_25lookback_scan_determinismE0ELb1ELb1ES3_N6thrust23THRUST_200600_302600_NS6detail15normal_iteratorINS9_10device_ptrIiEEEESE_iNS9_4plusIiEEiEEDaPvRmT3_T4_T5_mT6_P12ihipStream_tbENKUlT_T0_E_clISt17integral_constantIbLb0EEST_IbLb1EEEEDaSP_SQ_EUlSP_E0_NS1_11comp_targetILNS1_3genE0ELNS1_11target_archE4294967295ELNS1_3gpuE0ELNS1_3repE0EEENS1_30default_config_static_selectorELNS0_4arch9wavefront6targetE1EEEvT1_
		.amdhsa_group_segment_fixed_size 0
		.amdhsa_private_segment_fixed_size 0
		.amdhsa_kernarg_size 32
		.amdhsa_user_sgpr_count 6
		.amdhsa_user_sgpr_private_segment_buffer 1
		.amdhsa_user_sgpr_dispatch_ptr 0
		.amdhsa_user_sgpr_queue_ptr 0
		.amdhsa_user_sgpr_kernarg_segment_ptr 1
		.amdhsa_user_sgpr_dispatch_id 0
		.amdhsa_user_sgpr_flat_scratch_init 0
		.amdhsa_user_sgpr_kernarg_preload_length 0
		.amdhsa_user_sgpr_kernarg_preload_offset 0
		.amdhsa_user_sgpr_private_segment_size 0
		.amdhsa_uses_dynamic_stack 0
		.amdhsa_system_sgpr_private_segment_wavefront_offset 0
		.amdhsa_system_sgpr_workgroup_id_x 1
		.amdhsa_system_sgpr_workgroup_id_y 0
		.amdhsa_system_sgpr_workgroup_id_z 0
		.amdhsa_system_sgpr_workgroup_info 0
		.amdhsa_system_vgpr_workitem_id 0
		.amdhsa_next_free_vgpr 1
		.amdhsa_next_free_sgpr 0
		.amdhsa_accum_offset 4
		.amdhsa_reserve_vcc 0
		.amdhsa_reserve_flat_scratch 0
		.amdhsa_float_round_mode_32 0
		.amdhsa_float_round_mode_16_64 0
		.amdhsa_float_denorm_mode_32 3
		.amdhsa_float_denorm_mode_16_64 3
		.amdhsa_dx10_clamp 1
		.amdhsa_ieee_mode 1
		.amdhsa_fp16_overflow 0
		.amdhsa_tg_split 0
		.amdhsa_exception_fp_ieee_invalid_op 0
		.amdhsa_exception_fp_denorm_src 0
		.amdhsa_exception_fp_ieee_div_zero 0
		.amdhsa_exception_fp_ieee_overflow 0
		.amdhsa_exception_fp_ieee_underflow 0
		.amdhsa_exception_fp_ieee_inexact 0
		.amdhsa_exception_int_div_zero 0
	.end_amdhsa_kernel
	.section	.text._ZN7rocprim17ROCPRIM_400000_NS6detail17trampoline_kernelINS0_14default_configENS1_20scan_config_selectorIiEEZZNS1_9scan_implILNS1_25lookback_scan_determinismE0ELb1ELb1ES3_N6thrust23THRUST_200600_302600_NS6detail15normal_iteratorINS9_10device_ptrIiEEEESE_iNS9_4plusIiEEiEEDaPvRmT3_T4_T5_mT6_P12ihipStream_tbENKUlT_T0_E_clISt17integral_constantIbLb0EEST_IbLb1EEEEDaSP_SQ_EUlSP_E0_NS1_11comp_targetILNS1_3genE0ELNS1_11target_archE4294967295ELNS1_3gpuE0ELNS1_3repE0EEENS1_30default_config_static_selectorELNS0_4arch9wavefront6targetE1EEEvT1_,"axG",@progbits,_ZN7rocprim17ROCPRIM_400000_NS6detail17trampoline_kernelINS0_14default_configENS1_20scan_config_selectorIiEEZZNS1_9scan_implILNS1_25lookback_scan_determinismE0ELb1ELb1ES3_N6thrust23THRUST_200600_302600_NS6detail15normal_iteratorINS9_10device_ptrIiEEEESE_iNS9_4plusIiEEiEEDaPvRmT3_T4_T5_mT6_P12ihipStream_tbENKUlT_T0_E_clISt17integral_constantIbLb0EEST_IbLb1EEEEDaSP_SQ_EUlSP_E0_NS1_11comp_targetILNS1_3genE0ELNS1_11target_archE4294967295ELNS1_3gpuE0ELNS1_3repE0EEENS1_30default_config_static_selectorELNS0_4arch9wavefront6targetE1EEEvT1_,comdat
.Lfunc_end723:
	.size	_ZN7rocprim17ROCPRIM_400000_NS6detail17trampoline_kernelINS0_14default_configENS1_20scan_config_selectorIiEEZZNS1_9scan_implILNS1_25lookback_scan_determinismE0ELb1ELb1ES3_N6thrust23THRUST_200600_302600_NS6detail15normal_iteratorINS9_10device_ptrIiEEEESE_iNS9_4plusIiEEiEEDaPvRmT3_T4_T5_mT6_P12ihipStream_tbENKUlT_T0_E_clISt17integral_constantIbLb0EEST_IbLb1EEEEDaSP_SQ_EUlSP_E0_NS1_11comp_targetILNS1_3genE0ELNS1_11target_archE4294967295ELNS1_3gpuE0ELNS1_3repE0EEENS1_30default_config_static_selectorELNS0_4arch9wavefront6targetE1EEEvT1_, .Lfunc_end723-_ZN7rocprim17ROCPRIM_400000_NS6detail17trampoline_kernelINS0_14default_configENS1_20scan_config_selectorIiEEZZNS1_9scan_implILNS1_25lookback_scan_determinismE0ELb1ELb1ES3_N6thrust23THRUST_200600_302600_NS6detail15normal_iteratorINS9_10device_ptrIiEEEESE_iNS9_4plusIiEEiEEDaPvRmT3_T4_T5_mT6_P12ihipStream_tbENKUlT_T0_E_clISt17integral_constantIbLb0EEST_IbLb1EEEEDaSP_SQ_EUlSP_E0_NS1_11comp_targetILNS1_3genE0ELNS1_11target_archE4294967295ELNS1_3gpuE0ELNS1_3repE0EEENS1_30default_config_static_selectorELNS0_4arch9wavefront6targetE1EEEvT1_
                                        ; -- End function
	.section	.AMDGPU.csdata,"",@progbits
; Kernel info:
; codeLenInByte = 0
; NumSgprs: 4
; NumVgprs: 0
; NumAgprs: 0
; TotalNumVgprs: 0
; ScratchSize: 0
; MemoryBound: 0
; FloatMode: 240
; IeeeMode: 1
; LDSByteSize: 0 bytes/workgroup (compile time only)
; SGPRBlocks: 0
; VGPRBlocks: 0
; NumSGPRsForWavesPerEU: 4
; NumVGPRsForWavesPerEU: 1
; AccumOffset: 4
; Occupancy: 8
; WaveLimiterHint : 0
; COMPUTE_PGM_RSRC2:SCRATCH_EN: 0
; COMPUTE_PGM_RSRC2:USER_SGPR: 6
; COMPUTE_PGM_RSRC2:TRAP_HANDLER: 0
; COMPUTE_PGM_RSRC2:TGID_X_EN: 1
; COMPUTE_PGM_RSRC2:TGID_Y_EN: 0
; COMPUTE_PGM_RSRC2:TGID_Z_EN: 0
; COMPUTE_PGM_RSRC2:TIDIG_COMP_CNT: 0
; COMPUTE_PGM_RSRC3_GFX90A:ACCUM_OFFSET: 0
; COMPUTE_PGM_RSRC3_GFX90A:TG_SPLIT: 0
	.section	.text._ZN7rocprim17ROCPRIM_400000_NS6detail17trampoline_kernelINS0_14default_configENS1_20scan_config_selectorIiEEZZNS1_9scan_implILNS1_25lookback_scan_determinismE0ELb1ELb1ES3_N6thrust23THRUST_200600_302600_NS6detail15normal_iteratorINS9_10device_ptrIiEEEESE_iNS9_4plusIiEEiEEDaPvRmT3_T4_T5_mT6_P12ihipStream_tbENKUlT_T0_E_clISt17integral_constantIbLb0EEST_IbLb1EEEEDaSP_SQ_EUlSP_E0_NS1_11comp_targetILNS1_3genE5ELNS1_11target_archE942ELNS1_3gpuE9ELNS1_3repE0EEENS1_30default_config_static_selectorELNS0_4arch9wavefront6targetE1EEEvT1_,"axG",@progbits,_ZN7rocprim17ROCPRIM_400000_NS6detail17trampoline_kernelINS0_14default_configENS1_20scan_config_selectorIiEEZZNS1_9scan_implILNS1_25lookback_scan_determinismE0ELb1ELb1ES3_N6thrust23THRUST_200600_302600_NS6detail15normal_iteratorINS9_10device_ptrIiEEEESE_iNS9_4plusIiEEiEEDaPvRmT3_T4_T5_mT6_P12ihipStream_tbENKUlT_T0_E_clISt17integral_constantIbLb0EEST_IbLb1EEEEDaSP_SQ_EUlSP_E0_NS1_11comp_targetILNS1_3genE5ELNS1_11target_archE942ELNS1_3gpuE9ELNS1_3repE0EEENS1_30default_config_static_selectorELNS0_4arch9wavefront6targetE1EEEvT1_,comdat
	.protected	_ZN7rocprim17ROCPRIM_400000_NS6detail17trampoline_kernelINS0_14default_configENS1_20scan_config_selectorIiEEZZNS1_9scan_implILNS1_25lookback_scan_determinismE0ELb1ELb1ES3_N6thrust23THRUST_200600_302600_NS6detail15normal_iteratorINS9_10device_ptrIiEEEESE_iNS9_4plusIiEEiEEDaPvRmT3_T4_T5_mT6_P12ihipStream_tbENKUlT_T0_E_clISt17integral_constantIbLb0EEST_IbLb1EEEEDaSP_SQ_EUlSP_E0_NS1_11comp_targetILNS1_3genE5ELNS1_11target_archE942ELNS1_3gpuE9ELNS1_3repE0EEENS1_30default_config_static_selectorELNS0_4arch9wavefront6targetE1EEEvT1_ ; -- Begin function _ZN7rocprim17ROCPRIM_400000_NS6detail17trampoline_kernelINS0_14default_configENS1_20scan_config_selectorIiEEZZNS1_9scan_implILNS1_25lookback_scan_determinismE0ELb1ELb1ES3_N6thrust23THRUST_200600_302600_NS6detail15normal_iteratorINS9_10device_ptrIiEEEESE_iNS9_4plusIiEEiEEDaPvRmT3_T4_T5_mT6_P12ihipStream_tbENKUlT_T0_E_clISt17integral_constantIbLb0EEST_IbLb1EEEEDaSP_SQ_EUlSP_E0_NS1_11comp_targetILNS1_3genE5ELNS1_11target_archE942ELNS1_3gpuE9ELNS1_3repE0EEENS1_30default_config_static_selectorELNS0_4arch9wavefront6targetE1EEEvT1_
	.globl	_ZN7rocprim17ROCPRIM_400000_NS6detail17trampoline_kernelINS0_14default_configENS1_20scan_config_selectorIiEEZZNS1_9scan_implILNS1_25lookback_scan_determinismE0ELb1ELb1ES3_N6thrust23THRUST_200600_302600_NS6detail15normal_iteratorINS9_10device_ptrIiEEEESE_iNS9_4plusIiEEiEEDaPvRmT3_T4_T5_mT6_P12ihipStream_tbENKUlT_T0_E_clISt17integral_constantIbLb0EEST_IbLb1EEEEDaSP_SQ_EUlSP_E0_NS1_11comp_targetILNS1_3genE5ELNS1_11target_archE942ELNS1_3gpuE9ELNS1_3repE0EEENS1_30default_config_static_selectorELNS0_4arch9wavefront6targetE1EEEvT1_
	.p2align	8
	.type	_ZN7rocprim17ROCPRIM_400000_NS6detail17trampoline_kernelINS0_14default_configENS1_20scan_config_selectorIiEEZZNS1_9scan_implILNS1_25lookback_scan_determinismE0ELb1ELb1ES3_N6thrust23THRUST_200600_302600_NS6detail15normal_iteratorINS9_10device_ptrIiEEEESE_iNS9_4plusIiEEiEEDaPvRmT3_T4_T5_mT6_P12ihipStream_tbENKUlT_T0_E_clISt17integral_constantIbLb0EEST_IbLb1EEEEDaSP_SQ_EUlSP_E0_NS1_11comp_targetILNS1_3genE5ELNS1_11target_archE942ELNS1_3gpuE9ELNS1_3repE0EEENS1_30default_config_static_selectorELNS0_4arch9wavefront6targetE1EEEvT1_,@function
_ZN7rocprim17ROCPRIM_400000_NS6detail17trampoline_kernelINS0_14default_configENS1_20scan_config_selectorIiEEZZNS1_9scan_implILNS1_25lookback_scan_determinismE0ELb1ELb1ES3_N6thrust23THRUST_200600_302600_NS6detail15normal_iteratorINS9_10device_ptrIiEEEESE_iNS9_4plusIiEEiEEDaPvRmT3_T4_T5_mT6_P12ihipStream_tbENKUlT_T0_E_clISt17integral_constantIbLb0EEST_IbLb1EEEEDaSP_SQ_EUlSP_E0_NS1_11comp_targetILNS1_3genE5ELNS1_11target_archE942ELNS1_3gpuE9ELNS1_3repE0EEENS1_30default_config_static_selectorELNS0_4arch9wavefront6targetE1EEEvT1_: ; @_ZN7rocprim17ROCPRIM_400000_NS6detail17trampoline_kernelINS0_14default_configENS1_20scan_config_selectorIiEEZZNS1_9scan_implILNS1_25lookback_scan_determinismE0ELb1ELb1ES3_N6thrust23THRUST_200600_302600_NS6detail15normal_iteratorINS9_10device_ptrIiEEEESE_iNS9_4plusIiEEiEEDaPvRmT3_T4_T5_mT6_P12ihipStream_tbENKUlT_T0_E_clISt17integral_constantIbLb0EEST_IbLb1EEEEDaSP_SQ_EUlSP_E0_NS1_11comp_targetILNS1_3genE5ELNS1_11target_archE942ELNS1_3gpuE9ELNS1_3repE0EEENS1_30default_config_static_selectorELNS0_4arch9wavefront6targetE1EEEvT1_
; %bb.0:
	.section	.rodata,"a",@progbits
	.p2align	6, 0x0
	.amdhsa_kernel _ZN7rocprim17ROCPRIM_400000_NS6detail17trampoline_kernelINS0_14default_configENS1_20scan_config_selectorIiEEZZNS1_9scan_implILNS1_25lookback_scan_determinismE0ELb1ELb1ES3_N6thrust23THRUST_200600_302600_NS6detail15normal_iteratorINS9_10device_ptrIiEEEESE_iNS9_4plusIiEEiEEDaPvRmT3_T4_T5_mT6_P12ihipStream_tbENKUlT_T0_E_clISt17integral_constantIbLb0EEST_IbLb1EEEEDaSP_SQ_EUlSP_E0_NS1_11comp_targetILNS1_3genE5ELNS1_11target_archE942ELNS1_3gpuE9ELNS1_3repE0EEENS1_30default_config_static_selectorELNS0_4arch9wavefront6targetE1EEEvT1_
		.amdhsa_group_segment_fixed_size 0
		.amdhsa_private_segment_fixed_size 0
		.amdhsa_kernarg_size 32
		.amdhsa_user_sgpr_count 6
		.amdhsa_user_sgpr_private_segment_buffer 1
		.amdhsa_user_sgpr_dispatch_ptr 0
		.amdhsa_user_sgpr_queue_ptr 0
		.amdhsa_user_sgpr_kernarg_segment_ptr 1
		.amdhsa_user_sgpr_dispatch_id 0
		.amdhsa_user_sgpr_flat_scratch_init 0
		.amdhsa_user_sgpr_kernarg_preload_length 0
		.amdhsa_user_sgpr_kernarg_preload_offset 0
		.amdhsa_user_sgpr_private_segment_size 0
		.amdhsa_uses_dynamic_stack 0
		.amdhsa_system_sgpr_private_segment_wavefront_offset 0
		.amdhsa_system_sgpr_workgroup_id_x 1
		.amdhsa_system_sgpr_workgroup_id_y 0
		.amdhsa_system_sgpr_workgroup_id_z 0
		.amdhsa_system_sgpr_workgroup_info 0
		.amdhsa_system_vgpr_workitem_id 0
		.amdhsa_next_free_vgpr 1
		.amdhsa_next_free_sgpr 0
		.amdhsa_accum_offset 4
		.amdhsa_reserve_vcc 0
		.amdhsa_reserve_flat_scratch 0
		.amdhsa_float_round_mode_32 0
		.amdhsa_float_round_mode_16_64 0
		.amdhsa_float_denorm_mode_32 3
		.amdhsa_float_denorm_mode_16_64 3
		.amdhsa_dx10_clamp 1
		.amdhsa_ieee_mode 1
		.amdhsa_fp16_overflow 0
		.amdhsa_tg_split 0
		.amdhsa_exception_fp_ieee_invalid_op 0
		.amdhsa_exception_fp_denorm_src 0
		.amdhsa_exception_fp_ieee_div_zero 0
		.amdhsa_exception_fp_ieee_overflow 0
		.amdhsa_exception_fp_ieee_underflow 0
		.amdhsa_exception_fp_ieee_inexact 0
		.amdhsa_exception_int_div_zero 0
	.end_amdhsa_kernel
	.section	.text._ZN7rocprim17ROCPRIM_400000_NS6detail17trampoline_kernelINS0_14default_configENS1_20scan_config_selectorIiEEZZNS1_9scan_implILNS1_25lookback_scan_determinismE0ELb1ELb1ES3_N6thrust23THRUST_200600_302600_NS6detail15normal_iteratorINS9_10device_ptrIiEEEESE_iNS9_4plusIiEEiEEDaPvRmT3_T4_T5_mT6_P12ihipStream_tbENKUlT_T0_E_clISt17integral_constantIbLb0EEST_IbLb1EEEEDaSP_SQ_EUlSP_E0_NS1_11comp_targetILNS1_3genE5ELNS1_11target_archE942ELNS1_3gpuE9ELNS1_3repE0EEENS1_30default_config_static_selectorELNS0_4arch9wavefront6targetE1EEEvT1_,"axG",@progbits,_ZN7rocprim17ROCPRIM_400000_NS6detail17trampoline_kernelINS0_14default_configENS1_20scan_config_selectorIiEEZZNS1_9scan_implILNS1_25lookback_scan_determinismE0ELb1ELb1ES3_N6thrust23THRUST_200600_302600_NS6detail15normal_iteratorINS9_10device_ptrIiEEEESE_iNS9_4plusIiEEiEEDaPvRmT3_T4_T5_mT6_P12ihipStream_tbENKUlT_T0_E_clISt17integral_constantIbLb0EEST_IbLb1EEEEDaSP_SQ_EUlSP_E0_NS1_11comp_targetILNS1_3genE5ELNS1_11target_archE942ELNS1_3gpuE9ELNS1_3repE0EEENS1_30default_config_static_selectorELNS0_4arch9wavefront6targetE1EEEvT1_,comdat
.Lfunc_end724:
	.size	_ZN7rocprim17ROCPRIM_400000_NS6detail17trampoline_kernelINS0_14default_configENS1_20scan_config_selectorIiEEZZNS1_9scan_implILNS1_25lookback_scan_determinismE0ELb1ELb1ES3_N6thrust23THRUST_200600_302600_NS6detail15normal_iteratorINS9_10device_ptrIiEEEESE_iNS9_4plusIiEEiEEDaPvRmT3_T4_T5_mT6_P12ihipStream_tbENKUlT_T0_E_clISt17integral_constantIbLb0EEST_IbLb1EEEEDaSP_SQ_EUlSP_E0_NS1_11comp_targetILNS1_3genE5ELNS1_11target_archE942ELNS1_3gpuE9ELNS1_3repE0EEENS1_30default_config_static_selectorELNS0_4arch9wavefront6targetE1EEEvT1_, .Lfunc_end724-_ZN7rocprim17ROCPRIM_400000_NS6detail17trampoline_kernelINS0_14default_configENS1_20scan_config_selectorIiEEZZNS1_9scan_implILNS1_25lookback_scan_determinismE0ELb1ELb1ES3_N6thrust23THRUST_200600_302600_NS6detail15normal_iteratorINS9_10device_ptrIiEEEESE_iNS9_4plusIiEEiEEDaPvRmT3_T4_T5_mT6_P12ihipStream_tbENKUlT_T0_E_clISt17integral_constantIbLb0EEST_IbLb1EEEEDaSP_SQ_EUlSP_E0_NS1_11comp_targetILNS1_3genE5ELNS1_11target_archE942ELNS1_3gpuE9ELNS1_3repE0EEENS1_30default_config_static_selectorELNS0_4arch9wavefront6targetE1EEEvT1_
                                        ; -- End function
	.section	.AMDGPU.csdata,"",@progbits
; Kernel info:
; codeLenInByte = 0
; NumSgprs: 4
; NumVgprs: 0
; NumAgprs: 0
; TotalNumVgprs: 0
; ScratchSize: 0
; MemoryBound: 0
; FloatMode: 240
; IeeeMode: 1
; LDSByteSize: 0 bytes/workgroup (compile time only)
; SGPRBlocks: 0
; VGPRBlocks: 0
; NumSGPRsForWavesPerEU: 4
; NumVGPRsForWavesPerEU: 1
; AccumOffset: 4
; Occupancy: 8
; WaveLimiterHint : 0
; COMPUTE_PGM_RSRC2:SCRATCH_EN: 0
; COMPUTE_PGM_RSRC2:USER_SGPR: 6
; COMPUTE_PGM_RSRC2:TRAP_HANDLER: 0
; COMPUTE_PGM_RSRC2:TGID_X_EN: 1
; COMPUTE_PGM_RSRC2:TGID_Y_EN: 0
; COMPUTE_PGM_RSRC2:TGID_Z_EN: 0
; COMPUTE_PGM_RSRC2:TIDIG_COMP_CNT: 0
; COMPUTE_PGM_RSRC3_GFX90A:ACCUM_OFFSET: 0
; COMPUTE_PGM_RSRC3_GFX90A:TG_SPLIT: 0
	.section	.text._ZN7rocprim17ROCPRIM_400000_NS6detail17trampoline_kernelINS0_14default_configENS1_20scan_config_selectorIiEEZZNS1_9scan_implILNS1_25lookback_scan_determinismE0ELb1ELb1ES3_N6thrust23THRUST_200600_302600_NS6detail15normal_iteratorINS9_10device_ptrIiEEEESE_iNS9_4plusIiEEiEEDaPvRmT3_T4_T5_mT6_P12ihipStream_tbENKUlT_T0_E_clISt17integral_constantIbLb0EEST_IbLb1EEEEDaSP_SQ_EUlSP_E0_NS1_11comp_targetILNS1_3genE4ELNS1_11target_archE910ELNS1_3gpuE8ELNS1_3repE0EEENS1_30default_config_static_selectorELNS0_4arch9wavefront6targetE1EEEvT1_,"axG",@progbits,_ZN7rocprim17ROCPRIM_400000_NS6detail17trampoline_kernelINS0_14default_configENS1_20scan_config_selectorIiEEZZNS1_9scan_implILNS1_25lookback_scan_determinismE0ELb1ELb1ES3_N6thrust23THRUST_200600_302600_NS6detail15normal_iteratorINS9_10device_ptrIiEEEESE_iNS9_4plusIiEEiEEDaPvRmT3_T4_T5_mT6_P12ihipStream_tbENKUlT_T0_E_clISt17integral_constantIbLb0EEST_IbLb1EEEEDaSP_SQ_EUlSP_E0_NS1_11comp_targetILNS1_3genE4ELNS1_11target_archE910ELNS1_3gpuE8ELNS1_3repE0EEENS1_30default_config_static_selectorELNS0_4arch9wavefront6targetE1EEEvT1_,comdat
	.protected	_ZN7rocprim17ROCPRIM_400000_NS6detail17trampoline_kernelINS0_14default_configENS1_20scan_config_selectorIiEEZZNS1_9scan_implILNS1_25lookback_scan_determinismE0ELb1ELb1ES3_N6thrust23THRUST_200600_302600_NS6detail15normal_iteratorINS9_10device_ptrIiEEEESE_iNS9_4plusIiEEiEEDaPvRmT3_T4_T5_mT6_P12ihipStream_tbENKUlT_T0_E_clISt17integral_constantIbLb0EEST_IbLb1EEEEDaSP_SQ_EUlSP_E0_NS1_11comp_targetILNS1_3genE4ELNS1_11target_archE910ELNS1_3gpuE8ELNS1_3repE0EEENS1_30default_config_static_selectorELNS0_4arch9wavefront6targetE1EEEvT1_ ; -- Begin function _ZN7rocprim17ROCPRIM_400000_NS6detail17trampoline_kernelINS0_14default_configENS1_20scan_config_selectorIiEEZZNS1_9scan_implILNS1_25lookback_scan_determinismE0ELb1ELb1ES3_N6thrust23THRUST_200600_302600_NS6detail15normal_iteratorINS9_10device_ptrIiEEEESE_iNS9_4plusIiEEiEEDaPvRmT3_T4_T5_mT6_P12ihipStream_tbENKUlT_T0_E_clISt17integral_constantIbLb0EEST_IbLb1EEEEDaSP_SQ_EUlSP_E0_NS1_11comp_targetILNS1_3genE4ELNS1_11target_archE910ELNS1_3gpuE8ELNS1_3repE0EEENS1_30default_config_static_selectorELNS0_4arch9wavefront6targetE1EEEvT1_
	.globl	_ZN7rocprim17ROCPRIM_400000_NS6detail17trampoline_kernelINS0_14default_configENS1_20scan_config_selectorIiEEZZNS1_9scan_implILNS1_25lookback_scan_determinismE0ELb1ELb1ES3_N6thrust23THRUST_200600_302600_NS6detail15normal_iteratorINS9_10device_ptrIiEEEESE_iNS9_4plusIiEEiEEDaPvRmT3_T4_T5_mT6_P12ihipStream_tbENKUlT_T0_E_clISt17integral_constantIbLb0EEST_IbLb1EEEEDaSP_SQ_EUlSP_E0_NS1_11comp_targetILNS1_3genE4ELNS1_11target_archE910ELNS1_3gpuE8ELNS1_3repE0EEENS1_30default_config_static_selectorELNS0_4arch9wavefront6targetE1EEEvT1_
	.p2align	8
	.type	_ZN7rocprim17ROCPRIM_400000_NS6detail17trampoline_kernelINS0_14default_configENS1_20scan_config_selectorIiEEZZNS1_9scan_implILNS1_25lookback_scan_determinismE0ELb1ELb1ES3_N6thrust23THRUST_200600_302600_NS6detail15normal_iteratorINS9_10device_ptrIiEEEESE_iNS9_4plusIiEEiEEDaPvRmT3_T4_T5_mT6_P12ihipStream_tbENKUlT_T0_E_clISt17integral_constantIbLb0EEST_IbLb1EEEEDaSP_SQ_EUlSP_E0_NS1_11comp_targetILNS1_3genE4ELNS1_11target_archE910ELNS1_3gpuE8ELNS1_3repE0EEENS1_30default_config_static_selectorELNS0_4arch9wavefront6targetE1EEEvT1_,@function
_ZN7rocprim17ROCPRIM_400000_NS6detail17trampoline_kernelINS0_14default_configENS1_20scan_config_selectorIiEEZZNS1_9scan_implILNS1_25lookback_scan_determinismE0ELb1ELb1ES3_N6thrust23THRUST_200600_302600_NS6detail15normal_iteratorINS9_10device_ptrIiEEEESE_iNS9_4plusIiEEiEEDaPvRmT3_T4_T5_mT6_P12ihipStream_tbENKUlT_T0_E_clISt17integral_constantIbLb0EEST_IbLb1EEEEDaSP_SQ_EUlSP_E0_NS1_11comp_targetILNS1_3genE4ELNS1_11target_archE910ELNS1_3gpuE8ELNS1_3repE0EEENS1_30default_config_static_selectorELNS0_4arch9wavefront6targetE1EEEvT1_: ; @_ZN7rocprim17ROCPRIM_400000_NS6detail17trampoline_kernelINS0_14default_configENS1_20scan_config_selectorIiEEZZNS1_9scan_implILNS1_25lookback_scan_determinismE0ELb1ELb1ES3_N6thrust23THRUST_200600_302600_NS6detail15normal_iteratorINS9_10device_ptrIiEEEESE_iNS9_4plusIiEEiEEDaPvRmT3_T4_T5_mT6_P12ihipStream_tbENKUlT_T0_E_clISt17integral_constantIbLb0EEST_IbLb1EEEEDaSP_SQ_EUlSP_E0_NS1_11comp_targetILNS1_3genE4ELNS1_11target_archE910ELNS1_3gpuE8ELNS1_3repE0EEENS1_30default_config_static_selectorELNS0_4arch9wavefront6targetE1EEEvT1_
; %bb.0:
	s_load_dwordx4 s[20:23], s[4:5], 0x0
	v_lshlrev_b32_e32 v14, 2, v0
	s_waitcnt lgkmcnt(0)
	s_load_dword s23, s[20:21], 0x0
	v_cmp_gt_u32_e32 vcc, s22, v0
	s_waitcnt lgkmcnt(0)
	v_mov_b32_e32 v1, s23
	s_and_saveexec_b64 s[0:1], vcc
	s_cbranch_execz .LBB725_2
; %bb.1:
	global_load_dword v1, v14, s[20:21]
.LBB725_2:
	s_or_b64 exec, exec, s[0:1]
	v_or_b32_e32 v2, 0x80, v0
	v_cmp_gt_u32_e64 s[0:1], s22, v2
	v_mov_b32_e32 v2, s23
	s_and_saveexec_b64 s[2:3], s[0:1]
	s_cbranch_execz .LBB725_4
; %bb.3:
	global_load_dword v2, v14, s[20:21] offset:512
.LBB725_4:
	s_or_b64 exec, exec, s[2:3]
	v_or_b32_e32 v3, 0x100, v0
	v_cmp_gt_u32_e64 s[2:3], s22, v3
	v_mov_b32_e32 v3, s23
	s_and_saveexec_b64 s[6:7], s[2:3]
	s_cbranch_execz .LBB725_6
; %bb.5:
	global_load_dword v3, v14, s[20:21] offset:1024
.LBB725_6:
	;; [unrolled: 9-line block ×7, first 2 shown]
	s_or_b64 exec, exec, s[14:15]
	v_or_b32_e32 v10, 0x400, v0
	v_cmp_gt_u32_e64 s[14:15], s22, v10
	v_mov_b32_e32 v9, s23
	s_and_saveexec_b64 s[16:17], s[14:15]
	s_cbranch_execz .LBB725_18
; %bb.17:
	v_lshlrev_b32_e32 v9, 2, v10
	global_load_dword v9, v9, s[20:21]
.LBB725_18:
	s_or_b64 exec, exec, s[16:17]
	s_load_dword s24, s[4:5], 0x10
	v_or_b32_e32 v11, 0x480, v0
	v_cmp_gt_u32_e64 s[16:17], s22, v11
	v_mov_b32_e32 v10, s23
	s_and_saveexec_b64 s[22:23], s[16:17]
	s_cbranch_execz .LBB725_20
; %bb.19:
	v_lshlrev_b32_e32 v10, 2, v11
	global_load_dword v10, v10, s[20:21]
.LBB725_20:
	s_or_b64 exec, exec, s[22:23]
	s_waitcnt vmcnt(0)
	ds_write2st64_b32 v14, v1, v2 offset1:2
	ds_write2st64_b32 v14, v3, v4 offset0:4 offset1:6
	ds_write2st64_b32 v14, v5, v6 offset0:8 offset1:10
	;; [unrolled: 1-line block ×4, first 2 shown]
	v_mad_u32_u24 v1, v0, 36, v14
	s_waitcnt lgkmcnt(0)
	s_barrier
	ds_read2_b64 v[6:9], v1 offset1:1
	ds_read2_b64 v[2:5], v1 offset0:2 offset1:3
	ds_read_b64 v[10:11], v1 offset:32
	s_load_dwordx2 s[20:21], s[4:5], 0x18
	v_cmp_gt_u32_e64 s[4:5], 64, v0
	s_waitcnt lgkmcnt(0)
	v_add_u32_e32 v1, v7, v6
	v_add3_u32 v1, v1, v8, v9
	v_add3_u32 v1, v1, v2, v3
	v_add3_u32 v1, v1, v4, v5
	v_add3_u32 v1, v1, v10, v11
	v_lshrrev_b32_e32 v11, 3, v0
	v_and_b32_e32 v11, 12, v11
	v_add_u32_e32 v11, v14, v11
	s_barrier
	ds_write_b32 v11, v1
	s_waitcnt lgkmcnt(0)
	s_barrier
	s_and_saveexec_b64 s[22:23], s[4:5]
	s_cbranch_execz .LBB725_22
; %bb.21:
	v_lshlrev_b32_e32 v11, 1, v0
	v_lshrrev_b32_e32 v12, 4, v0
	v_add_lshl_u32 v11, v12, v11, 2
	ds_read2_b32 v[12:13], v11 offset1:1
	v_mbcnt_lo_u32_b32 v15, -1, 0
	v_mbcnt_hi_u32_b32 v15, -1, v15
	v_and_b32_e32 v16, 15, v15
	v_cmp_ne_u32_e64 s[4:5], 0, v16
	s_waitcnt lgkmcnt(0)
	v_add_u32_e32 v13, v13, v12
	; wave barrier
	s_nop 1
	v_mov_b32_dpp v17, v13 row_shr:1 row_mask:0xf bank_mask:0xf
	v_cndmask_b32_e64 v17, 0, v17, s[4:5]
	v_add_u32_e32 v13, v17, v13
	v_cmp_lt_u32_e64 s[4:5], 1, v16
	s_nop 0
	v_mov_b32_dpp v17, v13 row_shr:2 row_mask:0xf bank_mask:0xf
	v_cndmask_b32_e64 v17, 0, v17, s[4:5]
	v_add_u32_e32 v13, v13, v17
	v_cmp_lt_u32_e64 s[4:5], 3, v16
	;; [unrolled: 5-line block ×3, first 2 shown]
	s_nop 0
	v_mov_b32_dpp v17, v13 row_shr:8 row_mask:0xf bank_mask:0xf
	v_cndmask_b32_e64 v16, 0, v17, s[4:5]
	v_add_u32_e32 v13, v13, v16
	v_bfe_i32 v17, v15, 4, 1
	v_cmp_lt_u32_e64 s[4:5], 31, v15
	v_mov_b32_dpp v16, v13 row_bcast:15 row_mask:0xf bank_mask:0xf
	v_and_b32_e32 v16, v17, v16
	v_add_u32_e32 v13, v13, v16
	v_and_b32_e32 v17, 64, v15
	s_nop 0
	v_mov_b32_dpp v16, v13 row_bcast:31 row_mask:0xf bank_mask:0xf
	v_cndmask_b32_e64 v16, 0, v16, s[4:5]
	v_add_u32_e32 v13, v13, v16
	v_add_u32_e32 v16, -1, v15
	v_cmp_lt_i32_e64 s[4:5], v16, v17
	v_cndmask_b32_e64 v15, v16, v15, s[4:5]
	v_lshlrev_b32_e32 v15, 2, v15
	ds_bpermute_b32 v13, v15, v13
	v_cmp_eq_u32_e64 s[4:5], 0, v0
	s_waitcnt lgkmcnt(0)
	v_add_u32_e32 v12, v13, v12
	v_cndmask_b32_e64 v1, v12, v1, s[4:5]
	ds_write_b32 v11, v1
	; wave barrier
	ds_read_b32 v12, v11 offset:4
	s_waitcnt lgkmcnt(0)
	v_add_u32_e32 v1, v12, v1
	ds_write_b32 v11, v1 offset:4
.LBB725_22:
	s_or_b64 exec, exec, s[22:23]
	v_mul_u32_u24_e32 v1, 36, v0
	v_cmp_ne_u32_e64 s[4:5], 0, v0
	v_mov_b32_e32 v12, s24
	s_waitcnt lgkmcnt(0)
	s_barrier
	s_and_saveexec_b64 s[22:23], s[4:5]
	s_cbranch_execz .LBB725_24
; %bb.23:
	v_add_u32_e32 v0, -1, v0
	v_lshrrev_b32_e32 v11, 5, v0
	v_add_lshl_u32 v0, v11, v0, 2
	ds_read_b32 v0, v0
	s_waitcnt lgkmcnt(0)
	v_add_u32_e32 v12, s24, v0
.LBB725_24:
	s_or_b64 exec, exec, s[22:23]
	v_add_u32_e32 v13, v12, v6
	v_add_u32_e32 v6, v13, v7
	;; [unrolled: 1-line block ×10, first 2 shown]
	s_barrier
	ds_write2_b64 v0, v[12:13], v[6:7] offset1:1
	ds_write2_b64 v0, v[8:9], v[2:3] offset0:2 offset1:3
	ds_write_b64 v0, v[4:5] offset:32
	s_waitcnt lgkmcnt(0)
	s_barrier
	ds_read2st64_b32 v[8:9], v14 offset0:2 offset1:4
	ds_read2st64_b32 v[6:7], v14 offset0:6 offset1:8
	;; [unrolled: 1-line block ×4, first 2 shown]
	ds_read_b32 v10, v14 offset:4608
	v_mov_b32_e32 v1, s21
	v_add_co_u32_e64 v0, s[4:5], s20, v14
	v_addc_co_u32_e64 v1, s[4:5], 0, v1, s[4:5]
	s_and_saveexec_b64 s[4:5], vcc
	s_cbranch_execnz .LBB725_35
; %bb.25:
	s_or_b64 exec, exec, s[4:5]
	s_and_saveexec_b64 s[4:5], s[0:1]
	s_cbranch_execnz .LBB725_36
.LBB725_26:
	s_or_b64 exec, exec, s[4:5]
	s_and_saveexec_b64 s[0:1], s[2:3]
	s_cbranch_execnz .LBB725_37
.LBB725_27:
	s_or_b64 exec, exec, s[0:1]
	s_and_saveexec_b64 s[0:1], s[18:19]
	s_cbranch_execnz .LBB725_38
.LBB725_28:
	s_or_b64 exec, exec, s[0:1]
	s_and_saveexec_b64 s[0:1], s[6:7]
	s_cbranch_execnz .LBB725_39
.LBB725_29:
	s_or_b64 exec, exec, s[0:1]
	s_and_saveexec_b64 s[0:1], s[8:9]
	s_cbranch_execnz .LBB725_40
.LBB725_30:
	s_or_b64 exec, exec, s[0:1]
	s_and_saveexec_b64 s[0:1], s[10:11]
	s_cbranch_execnz .LBB725_41
.LBB725_31:
	s_or_b64 exec, exec, s[0:1]
	s_and_saveexec_b64 s[0:1], s[12:13]
	s_cbranch_execnz .LBB725_42
.LBB725_32:
	s_or_b64 exec, exec, s[0:1]
	s_and_saveexec_b64 s[0:1], s[14:15]
	s_cbranch_execnz .LBB725_43
.LBB725_33:
	s_or_b64 exec, exec, s[0:1]
	s_and_saveexec_b64 s[0:1], s[16:17]
	s_cbranch_execnz .LBB725_44
.LBB725_34:
	s_endpgm
.LBB725_35:
	ds_read_b32 v11, v14
	s_waitcnt lgkmcnt(0)
	global_store_dword v[0:1], v11, off
	s_or_b64 exec, exec, s[4:5]
	s_and_saveexec_b64 s[4:5], s[0:1]
	s_cbranch_execz .LBB725_26
.LBB725_36:
	s_waitcnt lgkmcnt(4)
	global_store_dword v[0:1], v8, off offset:512
	s_or_b64 exec, exec, s[4:5]
	s_and_saveexec_b64 s[0:1], s[2:3]
	s_cbranch_execz .LBB725_27
.LBB725_37:
	s_waitcnt lgkmcnt(4)
	global_store_dword v[0:1], v9, off offset:1024
	s_or_b64 exec, exec, s[0:1]
	s_and_saveexec_b64 s[0:1], s[18:19]
	s_cbranch_execz .LBB725_28
.LBB725_38:
	s_waitcnt lgkmcnt(3)
	global_store_dword v[0:1], v6, off offset:1536
	s_or_b64 exec, exec, s[0:1]
	s_and_saveexec_b64 s[0:1], s[6:7]
	s_cbranch_execz .LBB725_29
.LBB725_39:
	s_waitcnt lgkmcnt(3)
	global_store_dword v[0:1], v7, off offset:2048
	s_or_b64 exec, exec, s[0:1]
	s_and_saveexec_b64 s[0:1], s[8:9]
	s_cbranch_execz .LBB725_30
.LBB725_40:
	s_waitcnt lgkmcnt(2)
	global_store_dword v[0:1], v4, off offset:2560
	s_or_b64 exec, exec, s[0:1]
	s_and_saveexec_b64 s[0:1], s[10:11]
	s_cbranch_execz .LBB725_31
.LBB725_41:
	s_waitcnt lgkmcnt(2)
	global_store_dword v[0:1], v5, off offset:3072
	s_or_b64 exec, exec, s[0:1]
	s_and_saveexec_b64 s[0:1], s[12:13]
	s_cbranch_execz .LBB725_32
.LBB725_42:
	s_waitcnt lgkmcnt(1)
	global_store_dword v[0:1], v2, off offset:3584
	s_or_b64 exec, exec, s[0:1]
	s_and_saveexec_b64 s[0:1], s[14:15]
	s_cbranch_execz .LBB725_33
.LBB725_43:
	s_waitcnt lgkmcnt(2)
	v_add_co_u32_e32 v4, vcc, 0x1000, v0
	v_addc_co_u32_e32 v5, vcc, 0, v1, vcc
	s_waitcnt lgkmcnt(1)
	global_store_dword v[4:5], v3, off
	s_or_b64 exec, exec, s[0:1]
	s_and_saveexec_b64 s[0:1], s[16:17]
	s_cbranch_execz .LBB725_34
.LBB725_44:
	v_add_co_u32_e32 v0, vcc, 0x1000, v0
	v_addc_co_u32_e32 v1, vcc, 0, v1, vcc
	s_waitcnt lgkmcnt(0)
	global_store_dword v[0:1], v10, off offset:512
	s_endpgm
	.section	.rodata,"a",@progbits
	.p2align	6, 0x0
	.amdhsa_kernel _ZN7rocprim17ROCPRIM_400000_NS6detail17trampoline_kernelINS0_14default_configENS1_20scan_config_selectorIiEEZZNS1_9scan_implILNS1_25lookback_scan_determinismE0ELb1ELb1ES3_N6thrust23THRUST_200600_302600_NS6detail15normal_iteratorINS9_10device_ptrIiEEEESE_iNS9_4plusIiEEiEEDaPvRmT3_T4_T5_mT6_P12ihipStream_tbENKUlT_T0_E_clISt17integral_constantIbLb0EEST_IbLb1EEEEDaSP_SQ_EUlSP_E0_NS1_11comp_targetILNS1_3genE4ELNS1_11target_archE910ELNS1_3gpuE8ELNS1_3repE0EEENS1_30default_config_static_selectorELNS0_4arch9wavefront6targetE1EEEvT1_
		.amdhsa_group_segment_fixed_size 5120
		.amdhsa_private_segment_fixed_size 0
		.amdhsa_kernarg_size 32
		.amdhsa_user_sgpr_count 6
		.amdhsa_user_sgpr_private_segment_buffer 1
		.amdhsa_user_sgpr_dispatch_ptr 0
		.amdhsa_user_sgpr_queue_ptr 0
		.amdhsa_user_sgpr_kernarg_segment_ptr 1
		.amdhsa_user_sgpr_dispatch_id 0
		.amdhsa_user_sgpr_flat_scratch_init 0
		.amdhsa_user_sgpr_kernarg_preload_length 0
		.amdhsa_user_sgpr_kernarg_preload_offset 0
		.amdhsa_user_sgpr_private_segment_size 0
		.amdhsa_uses_dynamic_stack 0
		.amdhsa_system_sgpr_private_segment_wavefront_offset 0
		.amdhsa_system_sgpr_workgroup_id_x 1
		.amdhsa_system_sgpr_workgroup_id_y 0
		.amdhsa_system_sgpr_workgroup_id_z 0
		.amdhsa_system_sgpr_workgroup_info 0
		.amdhsa_system_vgpr_workitem_id 0
		.amdhsa_next_free_vgpr 18
		.amdhsa_next_free_sgpr 25
		.amdhsa_accum_offset 20
		.amdhsa_reserve_vcc 1
		.amdhsa_reserve_flat_scratch 0
		.amdhsa_float_round_mode_32 0
		.amdhsa_float_round_mode_16_64 0
		.amdhsa_float_denorm_mode_32 3
		.amdhsa_float_denorm_mode_16_64 3
		.amdhsa_dx10_clamp 1
		.amdhsa_ieee_mode 1
		.amdhsa_fp16_overflow 0
		.amdhsa_tg_split 0
		.amdhsa_exception_fp_ieee_invalid_op 0
		.amdhsa_exception_fp_denorm_src 0
		.amdhsa_exception_fp_ieee_div_zero 0
		.amdhsa_exception_fp_ieee_overflow 0
		.amdhsa_exception_fp_ieee_underflow 0
		.amdhsa_exception_fp_ieee_inexact 0
		.amdhsa_exception_int_div_zero 0
	.end_amdhsa_kernel
	.section	.text._ZN7rocprim17ROCPRIM_400000_NS6detail17trampoline_kernelINS0_14default_configENS1_20scan_config_selectorIiEEZZNS1_9scan_implILNS1_25lookback_scan_determinismE0ELb1ELb1ES3_N6thrust23THRUST_200600_302600_NS6detail15normal_iteratorINS9_10device_ptrIiEEEESE_iNS9_4plusIiEEiEEDaPvRmT3_T4_T5_mT6_P12ihipStream_tbENKUlT_T0_E_clISt17integral_constantIbLb0EEST_IbLb1EEEEDaSP_SQ_EUlSP_E0_NS1_11comp_targetILNS1_3genE4ELNS1_11target_archE910ELNS1_3gpuE8ELNS1_3repE0EEENS1_30default_config_static_selectorELNS0_4arch9wavefront6targetE1EEEvT1_,"axG",@progbits,_ZN7rocprim17ROCPRIM_400000_NS6detail17trampoline_kernelINS0_14default_configENS1_20scan_config_selectorIiEEZZNS1_9scan_implILNS1_25lookback_scan_determinismE0ELb1ELb1ES3_N6thrust23THRUST_200600_302600_NS6detail15normal_iteratorINS9_10device_ptrIiEEEESE_iNS9_4plusIiEEiEEDaPvRmT3_T4_T5_mT6_P12ihipStream_tbENKUlT_T0_E_clISt17integral_constantIbLb0EEST_IbLb1EEEEDaSP_SQ_EUlSP_E0_NS1_11comp_targetILNS1_3genE4ELNS1_11target_archE910ELNS1_3gpuE8ELNS1_3repE0EEENS1_30default_config_static_selectorELNS0_4arch9wavefront6targetE1EEEvT1_,comdat
.Lfunc_end725:
	.size	_ZN7rocprim17ROCPRIM_400000_NS6detail17trampoline_kernelINS0_14default_configENS1_20scan_config_selectorIiEEZZNS1_9scan_implILNS1_25lookback_scan_determinismE0ELb1ELb1ES3_N6thrust23THRUST_200600_302600_NS6detail15normal_iteratorINS9_10device_ptrIiEEEESE_iNS9_4plusIiEEiEEDaPvRmT3_T4_T5_mT6_P12ihipStream_tbENKUlT_T0_E_clISt17integral_constantIbLb0EEST_IbLb1EEEEDaSP_SQ_EUlSP_E0_NS1_11comp_targetILNS1_3genE4ELNS1_11target_archE910ELNS1_3gpuE8ELNS1_3repE0EEENS1_30default_config_static_selectorELNS0_4arch9wavefront6targetE1EEEvT1_, .Lfunc_end725-_ZN7rocprim17ROCPRIM_400000_NS6detail17trampoline_kernelINS0_14default_configENS1_20scan_config_selectorIiEEZZNS1_9scan_implILNS1_25lookback_scan_determinismE0ELb1ELb1ES3_N6thrust23THRUST_200600_302600_NS6detail15normal_iteratorINS9_10device_ptrIiEEEESE_iNS9_4plusIiEEiEEDaPvRmT3_T4_T5_mT6_P12ihipStream_tbENKUlT_T0_E_clISt17integral_constantIbLb0EEST_IbLb1EEEEDaSP_SQ_EUlSP_E0_NS1_11comp_targetILNS1_3genE4ELNS1_11target_archE910ELNS1_3gpuE8ELNS1_3repE0EEENS1_30default_config_static_selectorELNS0_4arch9wavefront6targetE1EEEvT1_
                                        ; -- End function
	.section	.AMDGPU.csdata,"",@progbits
; Kernel info:
; codeLenInByte = 1536
; NumSgprs: 29
; NumVgprs: 18
; NumAgprs: 0
; TotalNumVgprs: 18
; ScratchSize: 0
; MemoryBound: 0
; FloatMode: 240
; IeeeMode: 1
; LDSByteSize: 5120 bytes/workgroup (compile time only)
; SGPRBlocks: 3
; VGPRBlocks: 2
; NumSGPRsForWavesPerEU: 29
; NumVGPRsForWavesPerEU: 18
; AccumOffset: 20
; Occupancy: 6
; WaveLimiterHint : 0
; COMPUTE_PGM_RSRC2:SCRATCH_EN: 0
; COMPUTE_PGM_RSRC2:USER_SGPR: 6
; COMPUTE_PGM_RSRC2:TRAP_HANDLER: 0
; COMPUTE_PGM_RSRC2:TGID_X_EN: 1
; COMPUTE_PGM_RSRC2:TGID_Y_EN: 0
; COMPUTE_PGM_RSRC2:TGID_Z_EN: 0
; COMPUTE_PGM_RSRC2:TIDIG_COMP_CNT: 0
; COMPUTE_PGM_RSRC3_GFX90A:ACCUM_OFFSET: 4
; COMPUTE_PGM_RSRC3_GFX90A:TG_SPLIT: 0
	.section	.text._ZN7rocprim17ROCPRIM_400000_NS6detail17trampoline_kernelINS0_14default_configENS1_20scan_config_selectorIiEEZZNS1_9scan_implILNS1_25lookback_scan_determinismE0ELb1ELb1ES3_N6thrust23THRUST_200600_302600_NS6detail15normal_iteratorINS9_10device_ptrIiEEEESE_iNS9_4plusIiEEiEEDaPvRmT3_T4_T5_mT6_P12ihipStream_tbENKUlT_T0_E_clISt17integral_constantIbLb0EEST_IbLb1EEEEDaSP_SQ_EUlSP_E0_NS1_11comp_targetILNS1_3genE3ELNS1_11target_archE908ELNS1_3gpuE7ELNS1_3repE0EEENS1_30default_config_static_selectorELNS0_4arch9wavefront6targetE1EEEvT1_,"axG",@progbits,_ZN7rocprim17ROCPRIM_400000_NS6detail17trampoline_kernelINS0_14default_configENS1_20scan_config_selectorIiEEZZNS1_9scan_implILNS1_25lookback_scan_determinismE0ELb1ELb1ES3_N6thrust23THRUST_200600_302600_NS6detail15normal_iteratorINS9_10device_ptrIiEEEESE_iNS9_4plusIiEEiEEDaPvRmT3_T4_T5_mT6_P12ihipStream_tbENKUlT_T0_E_clISt17integral_constantIbLb0EEST_IbLb1EEEEDaSP_SQ_EUlSP_E0_NS1_11comp_targetILNS1_3genE3ELNS1_11target_archE908ELNS1_3gpuE7ELNS1_3repE0EEENS1_30default_config_static_selectorELNS0_4arch9wavefront6targetE1EEEvT1_,comdat
	.protected	_ZN7rocprim17ROCPRIM_400000_NS6detail17trampoline_kernelINS0_14default_configENS1_20scan_config_selectorIiEEZZNS1_9scan_implILNS1_25lookback_scan_determinismE0ELb1ELb1ES3_N6thrust23THRUST_200600_302600_NS6detail15normal_iteratorINS9_10device_ptrIiEEEESE_iNS9_4plusIiEEiEEDaPvRmT3_T4_T5_mT6_P12ihipStream_tbENKUlT_T0_E_clISt17integral_constantIbLb0EEST_IbLb1EEEEDaSP_SQ_EUlSP_E0_NS1_11comp_targetILNS1_3genE3ELNS1_11target_archE908ELNS1_3gpuE7ELNS1_3repE0EEENS1_30default_config_static_selectorELNS0_4arch9wavefront6targetE1EEEvT1_ ; -- Begin function _ZN7rocprim17ROCPRIM_400000_NS6detail17trampoline_kernelINS0_14default_configENS1_20scan_config_selectorIiEEZZNS1_9scan_implILNS1_25lookback_scan_determinismE0ELb1ELb1ES3_N6thrust23THRUST_200600_302600_NS6detail15normal_iteratorINS9_10device_ptrIiEEEESE_iNS9_4plusIiEEiEEDaPvRmT3_T4_T5_mT6_P12ihipStream_tbENKUlT_T0_E_clISt17integral_constantIbLb0EEST_IbLb1EEEEDaSP_SQ_EUlSP_E0_NS1_11comp_targetILNS1_3genE3ELNS1_11target_archE908ELNS1_3gpuE7ELNS1_3repE0EEENS1_30default_config_static_selectorELNS0_4arch9wavefront6targetE1EEEvT1_
	.globl	_ZN7rocprim17ROCPRIM_400000_NS6detail17trampoline_kernelINS0_14default_configENS1_20scan_config_selectorIiEEZZNS1_9scan_implILNS1_25lookback_scan_determinismE0ELb1ELb1ES3_N6thrust23THRUST_200600_302600_NS6detail15normal_iteratorINS9_10device_ptrIiEEEESE_iNS9_4plusIiEEiEEDaPvRmT3_T4_T5_mT6_P12ihipStream_tbENKUlT_T0_E_clISt17integral_constantIbLb0EEST_IbLb1EEEEDaSP_SQ_EUlSP_E0_NS1_11comp_targetILNS1_3genE3ELNS1_11target_archE908ELNS1_3gpuE7ELNS1_3repE0EEENS1_30default_config_static_selectorELNS0_4arch9wavefront6targetE1EEEvT1_
	.p2align	8
	.type	_ZN7rocprim17ROCPRIM_400000_NS6detail17trampoline_kernelINS0_14default_configENS1_20scan_config_selectorIiEEZZNS1_9scan_implILNS1_25lookback_scan_determinismE0ELb1ELb1ES3_N6thrust23THRUST_200600_302600_NS6detail15normal_iteratorINS9_10device_ptrIiEEEESE_iNS9_4plusIiEEiEEDaPvRmT3_T4_T5_mT6_P12ihipStream_tbENKUlT_T0_E_clISt17integral_constantIbLb0EEST_IbLb1EEEEDaSP_SQ_EUlSP_E0_NS1_11comp_targetILNS1_3genE3ELNS1_11target_archE908ELNS1_3gpuE7ELNS1_3repE0EEENS1_30default_config_static_selectorELNS0_4arch9wavefront6targetE1EEEvT1_,@function
_ZN7rocprim17ROCPRIM_400000_NS6detail17trampoline_kernelINS0_14default_configENS1_20scan_config_selectorIiEEZZNS1_9scan_implILNS1_25lookback_scan_determinismE0ELb1ELb1ES3_N6thrust23THRUST_200600_302600_NS6detail15normal_iteratorINS9_10device_ptrIiEEEESE_iNS9_4plusIiEEiEEDaPvRmT3_T4_T5_mT6_P12ihipStream_tbENKUlT_T0_E_clISt17integral_constantIbLb0EEST_IbLb1EEEEDaSP_SQ_EUlSP_E0_NS1_11comp_targetILNS1_3genE3ELNS1_11target_archE908ELNS1_3gpuE7ELNS1_3repE0EEENS1_30default_config_static_selectorELNS0_4arch9wavefront6targetE1EEEvT1_: ; @_ZN7rocprim17ROCPRIM_400000_NS6detail17trampoline_kernelINS0_14default_configENS1_20scan_config_selectorIiEEZZNS1_9scan_implILNS1_25lookback_scan_determinismE0ELb1ELb1ES3_N6thrust23THRUST_200600_302600_NS6detail15normal_iteratorINS9_10device_ptrIiEEEESE_iNS9_4plusIiEEiEEDaPvRmT3_T4_T5_mT6_P12ihipStream_tbENKUlT_T0_E_clISt17integral_constantIbLb0EEST_IbLb1EEEEDaSP_SQ_EUlSP_E0_NS1_11comp_targetILNS1_3genE3ELNS1_11target_archE908ELNS1_3gpuE7ELNS1_3repE0EEENS1_30default_config_static_selectorELNS0_4arch9wavefront6targetE1EEEvT1_
; %bb.0:
	.section	.rodata,"a",@progbits
	.p2align	6, 0x0
	.amdhsa_kernel _ZN7rocprim17ROCPRIM_400000_NS6detail17trampoline_kernelINS0_14default_configENS1_20scan_config_selectorIiEEZZNS1_9scan_implILNS1_25lookback_scan_determinismE0ELb1ELb1ES3_N6thrust23THRUST_200600_302600_NS6detail15normal_iteratorINS9_10device_ptrIiEEEESE_iNS9_4plusIiEEiEEDaPvRmT3_T4_T5_mT6_P12ihipStream_tbENKUlT_T0_E_clISt17integral_constantIbLb0EEST_IbLb1EEEEDaSP_SQ_EUlSP_E0_NS1_11comp_targetILNS1_3genE3ELNS1_11target_archE908ELNS1_3gpuE7ELNS1_3repE0EEENS1_30default_config_static_selectorELNS0_4arch9wavefront6targetE1EEEvT1_
		.amdhsa_group_segment_fixed_size 0
		.amdhsa_private_segment_fixed_size 0
		.amdhsa_kernarg_size 32
		.amdhsa_user_sgpr_count 6
		.amdhsa_user_sgpr_private_segment_buffer 1
		.amdhsa_user_sgpr_dispatch_ptr 0
		.amdhsa_user_sgpr_queue_ptr 0
		.amdhsa_user_sgpr_kernarg_segment_ptr 1
		.amdhsa_user_sgpr_dispatch_id 0
		.amdhsa_user_sgpr_flat_scratch_init 0
		.amdhsa_user_sgpr_kernarg_preload_length 0
		.amdhsa_user_sgpr_kernarg_preload_offset 0
		.amdhsa_user_sgpr_private_segment_size 0
		.amdhsa_uses_dynamic_stack 0
		.amdhsa_system_sgpr_private_segment_wavefront_offset 0
		.amdhsa_system_sgpr_workgroup_id_x 1
		.amdhsa_system_sgpr_workgroup_id_y 0
		.amdhsa_system_sgpr_workgroup_id_z 0
		.amdhsa_system_sgpr_workgroup_info 0
		.amdhsa_system_vgpr_workitem_id 0
		.amdhsa_next_free_vgpr 1
		.amdhsa_next_free_sgpr 0
		.amdhsa_accum_offset 4
		.amdhsa_reserve_vcc 0
		.amdhsa_reserve_flat_scratch 0
		.amdhsa_float_round_mode_32 0
		.amdhsa_float_round_mode_16_64 0
		.amdhsa_float_denorm_mode_32 3
		.amdhsa_float_denorm_mode_16_64 3
		.amdhsa_dx10_clamp 1
		.amdhsa_ieee_mode 1
		.amdhsa_fp16_overflow 0
		.amdhsa_tg_split 0
		.amdhsa_exception_fp_ieee_invalid_op 0
		.amdhsa_exception_fp_denorm_src 0
		.amdhsa_exception_fp_ieee_div_zero 0
		.amdhsa_exception_fp_ieee_overflow 0
		.amdhsa_exception_fp_ieee_underflow 0
		.amdhsa_exception_fp_ieee_inexact 0
		.amdhsa_exception_int_div_zero 0
	.end_amdhsa_kernel
	.section	.text._ZN7rocprim17ROCPRIM_400000_NS6detail17trampoline_kernelINS0_14default_configENS1_20scan_config_selectorIiEEZZNS1_9scan_implILNS1_25lookback_scan_determinismE0ELb1ELb1ES3_N6thrust23THRUST_200600_302600_NS6detail15normal_iteratorINS9_10device_ptrIiEEEESE_iNS9_4plusIiEEiEEDaPvRmT3_T4_T5_mT6_P12ihipStream_tbENKUlT_T0_E_clISt17integral_constantIbLb0EEST_IbLb1EEEEDaSP_SQ_EUlSP_E0_NS1_11comp_targetILNS1_3genE3ELNS1_11target_archE908ELNS1_3gpuE7ELNS1_3repE0EEENS1_30default_config_static_selectorELNS0_4arch9wavefront6targetE1EEEvT1_,"axG",@progbits,_ZN7rocprim17ROCPRIM_400000_NS6detail17trampoline_kernelINS0_14default_configENS1_20scan_config_selectorIiEEZZNS1_9scan_implILNS1_25lookback_scan_determinismE0ELb1ELb1ES3_N6thrust23THRUST_200600_302600_NS6detail15normal_iteratorINS9_10device_ptrIiEEEESE_iNS9_4plusIiEEiEEDaPvRmT3_T4_T5_mT6_P12ihipStream_tbENKUlT_T0_E_clISt17integral_constantIbLb0EEST_IbLb1EEEEDaSP_SQ_EUlSP_E0_NS1_11comp_targetILNS1_3genE3ELNS1_11target_archE908ELNS1_3gpuE7ELNS1_3repE0EEENS1_30default_config_static_selectorELNS0_4arch9wavefront6targetE1EEEvT1_,comdat
.Lfunc_end726:
	.size	_ZN7rocprim17ROCPRIM_400000_NS6detail17trampoline_kernelINS0_14default_configENS1_20scan_config_selectorIiEEZZNS1_9scan_implILNS1_25lookback_scan_determinismE0ELb1ELb1ES3_N6thrust23THRUST_200600_302600_NS6detail15normal_iteratorINS9_10device_ptrIiEEEESE_iNS9_4plusIiEEiEEDaPvRmT3_T4_T5_mT6_P12ihipStream_tbENKUlT_T0_E_clISt17integral_constantIbLb0EEST_IbLb1EEEEDaSP_SQ_EUlSP_E0_NS1_11comp_targetILNS1_3genE3ELNS1_11target_archE908ELNS1_3gpuE7ELNS1_3repE0EEENS1_30default_config_static_selectorELNS0_4arch9wavefront6targetE1EEEvT1_, .Lfunc_end726-_ZN7rocprim17ROCPRIM_400000_NS6detail17trampoline_kernelINS0_14default_configENS1_20scan_config_selectorIiEEZZNS1_9scan_implILNS1_25lookback_scan_determinismE0ELb1ELb1ES3_N6thrust23THRUST_200600_302600_NS6detail15normal_iteratorINS9_10device_ptrIiEEEESE_iNS9_4plusIiEEiEEDaPvRmT3_T4_T5_mT6_P12ihipStream_tbENKUlT_T0_E_clISt17integral_constantIbLb0EEST_IbLb1EEEEDaSP_SQ_EUlSP_E0_NS1_11comp_targetILNS1_3genE3ELNS1_11target_archE908ELNS1_3gpuE7ELNS1_3repE0EEENS1_30default_config_static_selectorELNS0_4arch9wavefront6targetE1EEEvT1_
                                        ; -- End function
	.section	.AMDGPU.csdata,"",@progbits
; Kernel info:
; codeLenInByte = 0
; NumSgprs: 4
; NumVgprs: 0
; NumAgprs: 0
; TotalNumVgprs: 0
; ScratchSize: 0
; MemoryBound: 0
; FloatMode: 240
; IeeeMode: 1
; LDSByteSize: 0 bytes/workgroup (compile time only)
; SGPRBlocks: 0
; VGPRBlocks: 0
; NumSGPRsForWavesPerEU: 4
; NumVGPRsForWavesPerEU: 1
; AccumOffset: 4
; Occupancy: 8
; WaveLimiterHint : 0
; COMPUTE_PGM_RSRC2:SCRATCH_EN: 0
; COMPUTE_PGM_RSRC2:USER_SGPR: 6
; COMPUTE_PGM_RSRC2:TRAP_HANDLER: 0
; COMPUTE_PGM_RSRC2:TGID_X_EN: 1
; COMPUTE_PGM_RSRC2:TGID_Y_EN: 0
; COMPUTE_PGM_RSRC2:TGID_Z_EN: 0
; COMPUTE_PGM_RSRC2:TIDIG_COMP_CNT: 0
; COMPUTE_PGM_RSRC3_GFX90A:ACCUM_OFFSET: 0
; COMPUTE_PGM_RSRC3_GFX90A:TG_SPLIT: 0
	.section	.text._ZN7rocprim17ROCPRIM_400000_NS6detail17trampoline_kernelINS0_14default_configENS1_20scan_config_selectorIiEEZZNS1_9scan_implILNS1_25lookback_scan_determinismE0ELb1ELb1ES3_N6thrust23THRUST_200600_302600_NS6detail15normal_iteratorINS9_10device_ptrIiEEEESE_iNS9_4plusIiEEiEEDaPvRmT3_T4_T5_mT6_P12ihipStream_tbENKUlT_T0_E_clISt17integral_constantIbLb0EEST_IbLb1EEEEDaSP_SQ_EUlSP_E0_NS1_11comp_targetILNS1_3genE2ELNS1_11target_archE906ELNS1_3gpuE6ELNS1_3repE0EEENS1_30default_config_static_selectorELNS0_4arch9wavefront6targetE1EEEvT1_,"axG",@progbits,_ZN7rocprim17ROCPRIM_400000_NS6detail17trampoline_kernelINS0_14default_configENS1_20scan_config_selectorIiEEZZNS1_9scan_implILNS1_25lookback_scan_determinismE0ELb1ELb1ES3_N6thrust23THRUST_200600_302600_NS6detail15normal_iteratorINS9_10device_ptrIiEEEESE_iNS9_4plusIiEEiEEDaPvRmT3_T4_T5_mT6_P12ihipStream_tbENKUlT_T0_E_clISt17integral_constantIbLb0EEST_IbLb1EEEEDaSP_SQ_EUlSP_E0_NS1_11comp_targetILNS1_3genE2ELNS1_11target_archE906ELNS1_3gpuE6ELNS1_3repE0EEENS1_30default_config_static_selectorELNS0_4arch9wavefront6targetE1EEEvT1_,comdat
	.protected	_ZN7rocprim17ROCPRIM_400000_NS6detail17trampoline_kernelINS0_14default_configENS1_20scan_config_selectorIiEEZZNS1_9scan_implILNS1_25lookback_scan_determinismE0ELb1ELb1ES3_N6thrust23THRUST_200600_302600_NS6detail15normal_iteratorINS9_10device_ptrIiEEEESE_iNS9_4plusIiEEiEEDaPvRmT3_T4_T5_mT6_P12ihipStream_tbENKUlT_T0_E_clISt17integral_constantIbLb0EEST_IbLb1EEEEDaSP_SQ_EUlSP_E0_NS1_11comp_targetILNS1_3genE2ELNS1_11target_archE906ELNS1_3gpuE6ELNS1_3repE0EEENS1_30default_config_static_selectorELNS0_4arch9wavefront6targetE1EEEvT1_ ; -- Begin function _ZN7rocprim17ROCPRIM_400000_NS6detail17trampoline_kernelINS0_14default_configENS1_20scan_config_selectorIiEEZZNS1_9scan_implILNS1_25lookback_scan_determinismE0ELb1ELb1ES3_N6thrust23THRUST_200600_302600_NS6detail15normal_iteratorINS9_10device_ptrIiEEEESE_iNS9_4plusIiEEiEEDaPvRmT3_T4_T5_mT6_P12ihipStream_tbENKUlT_T0_E_clISt17integral_constantIbLb0EEST_IbLb1EEEEDaSP_SQ_EUlSP_E0_NS1_11comp_targetILNS1_3genE2ELNS1_11target_archE906ELNS1_3gpuE6ELNS1_3repE0EEENS1_30default_config_static_selectorELNS0_4arch9wavefront6targetE1EEEvT1_
	.globl	_ZN7rocprim17ROCPRIM_400000_NS6detail17trampoline_kernelINS0_14default_configENS1_20scan_config_selectorIiEEZZNS1_9scan_implILNS1_25lookback_scan_determinismE0ELb1ELb1ES3_N6thrust23THRUST_200600_302600_NS6detail15normal_iteratorINS9_10device_ptrIiEEEESE_iNS9_4plusIiEEiEEDaPvRmT3_T4_T5_mT6_P12ihipStream_tbENKUlT_T0_E_clISt17integral_constantIbLb0EEST_IbLb1EEEEDaSP_SQ_EUlSP_E0_NS1_11comp_targetILNS1_3genE2ELNS1_11target_archE906ELNS1_3gpuE6ELNS1_3repE0EEENS1_30default_config_static_selectorELNS0_4arch9wavefront6targetE1EEEvT1_
	.p2align	8
	.type	_ZN7rocprim17ROCPRIM_400000_NS6detail17trampoline_kernelINS0_14default_configENS1_20scan_config_selectorIiEEZZNS1_9scan_implILNS1_25lookback_scan_determinismE0ELb1ELb1ES3_N6thrust23THRUST_200600_302600_NS6detail15normal_iteratorINS9_10device_ptrIiEEEESE_iNS9_4plusIiEEiEEDaPvRmT3_T4_T5_mT6_P12ihipStream_tbENKUlT_T0_E_clISt17integral_constantIbLb0EEST_IbLb1EEEEDaSP_SQ_EUlSP_E0_NS1_11comp_targetILNS1_3genE2ELNS1_11target_archE906ELNS1_3gpuE6ELNS1_3repE0EEENS1_30default_config_static_selectorELNS0_4arch9wavefront6targetE1EEEvT1_,@function
_ZN7rocprim17ROCPRIM_400000_NS6detail17trampoline_kernelINS0_14default_configENS1_20scan_config_selectorIiEEZZNS1_9scan_implILNS1_25lookback_scan_determinismE0ELb1ELb1ES3_N6thrust23THRUST_200600_302600_NS6detail15normal_iteratorINS9_10device_ptrIiEEEESE_iNS9_4plusIiEEiEEDaPvRmT3_T4_T5_mT6_P12ihipStream_tbENKUlT_T0_E_clISt17integral_constantIbLb0EEST_IbLb1EEEEDaSP_SQ_EUlSP_E0_NS1_11comp_targetILNS1_3genE2ELNS1_11target_archE906ELNS1_3gpuE6ELNS1_3repE0EEENS1_30default_config_static_selectorELNS0_4arch9wavefront6targetE1EEEvT1_: ; @_ZN7rocprim17ROCPRIM_400000_NS6detail17trampoline_kernelINS0_14default_configENS1_20scan_config_selectorIiEEZZNS1_9scan_implILNS1_25lookback_scan_determinismE0ELb1ELb1ES3_N6thrust23THRUST_200600_302600_NS6detail15normal_iteratorINS9_10device_ptrIiEEEESE_iNS9_4plusIiEEiEEDaPvRmT3_T4_T5_mT6_P12ihipStream_tbENKUlT_T0_E_clISt17integral_constantIbLb0EEST_IbLb1EEEEDaSP_SQ_EUlSP_E0_NS1_11comp_targetILNS1_3genE2ELNS1_11target_archE906ELNS1_3gpuE6ELNS1_3repE0EEENS1_30default_config_static_selectorELNS0_4arch9wavefront6targetE1EEEvT1_
; %bb.0:
	.section	.rodata,"a",@progbits
	.p2align	6, 0x0
	.amdhsa_kernel _ZN7rocprim17ROCPRIM_400000_NS6detail17trampoline_kernelINS0_14default_configENS1_20scan_config_selectorIiEEZZNS1_9scan_implILNS1_25lookback_scan_determinismE0ELb1ELb1ES3_N6thrust23THRUST_200600_302600_NS6detail15normal_iteratorINS9_10device_ptrIiEEEESE_iNS9_4plusIiEEiEEDaPvRmT3_T4_T5_mT6_P12ihipStream_tbENKUlT_T0_E_clISt17integral_constantIbLb0EEST_IbLb1EEEEDaSP_SQ_EUlSP_E0_NS1_11comp_targetILNS1_3genE2ELNS1_11target_archE906ELNS1_3gpuE6ELNS1_3repE0EEENS1_30default_config_static_selectorELNS0_4arch9wavefront6targetE1EEEvT1_
		.amdhsa_group_segment_fixed_size 0
		.amdhsa_private_segment_fixed_size 0
		.amdhsa_kernarg_size 32
		.amdhsa_user_sgpr_count 6
		.amdhsa_user_sgpr_private_segment_buffer 1
		.amdhsa_user_sgpr_dispatch_ptr 0
		.amdhsa_user_sgpr_queue_ptr 0
		.amdhsa_user_sgpr_kernarg_segment_ptr 1
		.amdhsa_user_sgpr_dispatch_id 0
		.amdhsa_user_sgpr_flat_scratch_init 0
		.amdhsa_user_sgpr_kernarg_preload_length 0
		.amdhsa_user_sgpr_kernarg_preload_offset 0
		.amdhsa_user_sgpr_private_segment_size 0
		.amdhsa_uses_dynamic_stack 0
		.amdhsa_system_sgpr_private_segment_wavefront_offset 0
		.amdhsa_system_sgpr_workgroup_id_x 1
		.amdhsa_system_sgpr_workgroup_id_y 0
		.amdhsa_system_sgpr_workgroup_id_z 0
		.amdhsa_system_sgpr_workgroup_info 0
		.amdhsa_system_vgpr_workitem_id 0
		.amdhsa_next_free_vgpr 1
		.amdhsa_next_free_sgpr 0
		.amdhsa_accum_offset 4
		.amdhsa_reserve_vcc 0
		.amdhsa_reserve_flat_scratch 0
		.amdhsa_float_round_mode_32 0
		.amdhsa_float_round_mode_16_64 0
		.amdhsa_float_denorm_mode_32 3
		.amdhsa_float_denorm_mode_16_64 3
		.amdhsa_dx10_clamp 1
		.amdhsa_ieee_mode 1
		.amdhsa_fp16_overflow 0
		.amdhsa_tg_split 0
		.amdhsa_exception_fp_ieee_invalid_op 0
		.amdhsa_exception_fp_denorm_src 0
		.amdhsa_exception_fp_ieee_div_zero 0
		.amdhsa_exception_fp_ieee_overflow 0
		.amdhsa_exception_fp_ieee_underflow 0
		.amdhsa_exception_fp_ieee_inexact 0
		.amdhsa_exception_int_div_zero 0
	.end_amdhsa_kernel
	.section	.text._ZN7rocprim17ROCPRIM_400000_NS6detail17trampoline_kernelINS0_14default_configENS1_20scan_config_selectorIiEEZZNS1_9scan_implILNS1_25lookback_scan_determinismE0ELb1ELb1ES3_N6thrust23THRUST_200600_302600_NS6detail15normal_iteratorINS9_10device_ptrIiEEEESE_iNS9_4plusIiEEiEEDaPvRmT3_T4_T5_mT6_P12ihipStream_tbENKUlT_T0_E_clISt17integral_constantIbLb0EEST_IbLb1EEEEDaSP_SQ_EUlSP_E0_NS1_11comp_targetILNS1_3genE2ELNS1_11target_archE906ELNS1_3gpuE6ELNS1_3repE0EEENS1_30default_config_static_selectorELNS0_4arch9wavefront6targetE1EEEvT1_,"axG",@progbits,_ZN7rocprim17ROCPRIM_400000_NS6detail17trampoline_kernelINS0_14default_configENS1_20scan_config_selectorIiEEZZNS1_9scan_implILNS1_25lookback_scan_determinismE0ELb1ELb1ES3_N6thrust23THRUST_200600_302600_NS6detail15normal_iteratorINS9_10device_ptrIiEEEESE_iNS9_4plusIiEEiEEDaPvRmT3_T4_T5_mT6_P12ihipStream_tbENKUlT_T0_E_clISt17integral_constantIbLb0EEST_IbLb1EEEEDaSP_SQ_EUlSP_E0_NS1_11comp_targetILNS1_3genE2ELNS1_11target_archE906ELNS1_3gpuE6ELNS1_3repE0EEENS1_30default_config_static_selectorELNS0_4arch9wavefront6targetE1EEEvT1_,comdat
.Lfunc_end727:
	.size	_ZN7rocprim17ROCPRIM_400000_NS6detail17trampoline_kernelINS0_14default_configENS1_20scan_config_selectorIiEEZZNS1_9scan_implILNS1_25lookback_scan_determinismE0ELb1ELb1ES3_N6thrust23THRUST_200600_302600_NS6detail15normal_iteratorINS9_10device_ptrIiEEEESE_iNS9_4plusIiEEiEEDaPvRmT3_T4_T5_mT6_P12ihipStream_tbENKUlT_T0_E_clISt17integral_constantIbLb0EEST_IbLb1EEEEDaSP_SQ_EUlSP_E0_NS1_11comp_targetILNS1_3genE2ELNS1_11target_archE906ELNS1_3gpuE6ELNS1_3repE0EEENS1_30default_config_static_selectorELNS0_4arch9wavefront6targetE1EEEvT1_, .Lfunc_end727-_ZN7rocprim17ROCPRIM_400000_NS6detail17trampoline_kernelINS0_14default_configENS1_20scan_config_selectorIiEEZZNS1_9scan_implILNS1_25lookback_scan_determinismE0ELb1ELb1ES3_N6thrust23THRUST_200600_302600_NS6detail15normal_iteratorINS9_10device_ptrIiEEEESE_iNS9_4plusIiEEiEEDaPvRmT3_T4_T5_mT6_P12ihipStream_tbENKUlT_T0_E_clISt17integral_constantIbLb0EEST_IbLb1EEEEDaSP_SQ_EUlSP_E0_NS1_11comp_targetILNS1_3genE2ELNS1_11target_archE906ELNS1_3gpuE6ELNS1_3repE0EEENS1_30default_config_static_selectorELNS0_4arch9wavefront6targetE1EEEvT1_
                                        ; -- End function
	.section	.AMDGPU.csdata,"",@progbits
; Kernel info:
; codeLenInByte = 0
; NumSgprs: 4
; NumVgprs: 0
; NumAgprs: 0
; TotalNumVgprs: 0
; ScratchSize: 0
; MemoryBound: 0
; FloatMode: 240
; IeeeMode: 1
; LDSByteSize: 0 bytes/workgroup (compile time only)
; SGPRBlocks: 0
; VGPRBlocks: 0
; NumSGPRsForWavesPerEU: 4
; NumVGPRsForWavesPerEU: 1
; AccumOffset: 4
; Occupancy: 8
; WaveLimiterHint : 0
; COMPUTE_PGM_RSRC2:SCRATCH_EN: 0
; COMPUTE_PGM_RSRC2:USER_SGPR: 6
; COMPUTE_PGM_RSRC2:TRAP_HANDLER: 0
; COMPUTE_PGM_RSRC2:TGID_X_EN: 1
; COMPUTE_PGM_RSRC2:TGID_Y_EN: 0
; COMPUTE_PGM_RSRC2:TGID_Z_EN: 0
; COMPUTE_PGM_RSRC2:TIDIG_COMP_CNT: 0
; COMPUTE_PGM_RSRC3_GFX90A:ACCUM_OFFSET: 0
; COMPUTE_PGM_RSRC3_GFX90A:TG_SPLIT: 0
	.section	.text._ZN7rocprim17ROCPRIM_400000_NS6detail17trampoline_kernelINS0_14default_configENS1_20scan_config_selectorIiEEZZNS1_9scan_implILNS1_25lookback_scan_determinismE0ELb1ELb1ES3_N6thrust23THRUST_200600_302600_NS6detail15normal_iteratorINS9_10device_ptrIiEEEESE_iNS9_4plusIiEEiEEDaPvRmT3_T4_T5_mT6_P12ihipStream_tbENKUlT_T0_E_clISt17integral_constantIbLb0EEST_IbLb1EEEEDaSP_SQ_EUlSP_E0_NS1_11comp_targetILNS1_3genE10ELNS1_11target_archE1201ELNS1_3gpuE5ELNS1_3repE0EEENS1_30default_config_static_selectorELNS0_4arch9wavefront6targetE1EEEvT1_,"axG",@progbits,_ZN7rocprim17ROCPRIM_400000_NS6detail17trampoline_kernelINS0_14default_configENS1_20scan_config_selectorIiEEZZNS1_9scan_implILNS1_25lookback_scan_determinismE0ELb1ELb1ES3_N6thrust23THRUST_200600_302600_NS6detail15normal_iteratorINS9_10device_ptrIiEEEESE_iNS9_4plusIiEEiEEDaPvRmT3_T4_T5_mT6_P12ihipStream_tbENKUlT_T0_E_clISt17integral_constantIbLb0EEST_IbLb1EEEEDaSP_SQ_EUlSP_E0_NS1_11comp_targetILNS1_3genE10ELNS1_11target_archE1201ELNS1_3gpuE5ELNS1_3repE0EEENS1_30default_config_static_selectorELNS0_4arch9wavefront6targetE1EEEvT1_,comdat
	.protected	_ZN7rocprim17ROCPRIM_400000_NS6detail17trampoline_kernelINS0_14default_configENS1_20scan_config_selectorIiEEZZNS1_9scan_implILNS1_25lookback_scan_determinismE0ELb1ELb1ES3_N6thrust23THRUST_200600_302600_NS6detail15normal_iteratorINS9_10device_ptrIiEEEESE_iNS9_4plusIiEEiEEDaPvRmT3_T4_T5_mT6_P12ihipStream_tbENKUlT_T0_E_clISt17integral_constantIbLb0EEST_IbLb1EEEEDaSP_SQ_EUlSP_E0_NS1_11comp_targetILNS1_3genE10ELNS1_11target_archE1201ELNS1_3gpuE5ELNS1_3repE0EEENS1_30default_config_static_selectorELNS0_4arch9wavefront6targetE1EEEvT1_ ; -- Begin function _ZN7rocprim17ROCPRIM_400000_NS6detail17trampoline_kernelINS0_14default_configENS1_20scan_config_selectorIiEEZZNS1_9scan_implILNS1_25lookback_scan_determinismE0ELb1ELb1ES3_N6thrust23THRUST_200600_302600_NS6detail15normal_iteratorINS9_10device_ptrIiEEEESE_iNS9_4plusIiEEiEEDaPvRmT3_T4_T5_mT6_P12ihipStream_tbENKUlT_T0_E_clISt17integral_constantIbLb0EEST_IbLb1EEEEDaSP_SQ_EUlSP_E0_NS1_11comp_targetILNS1_3genE10ELNS1_11target_archE1201ELNS1_3gpuE5ELNS1_3repE0EEENS1_30default_config_static_selectorELNS0_4arch9wavefront6targetE1EEEvT1_
	.globl	_ZN7rocprim17ROCPRIM_400000_NS6detail17trampoline_kernelINS0_14default_configENS1_20scan_config_selectorIiEEZZNS1_9scan_implILNS1_25lookback_scan_determinismE0ELb1ELb1ES3_N6thrust23THRUST_200600_302600_NS6detail15normal_iteratorINS9_10device_ptrIiEEEESE_iNS9_4plusIiEEiEEDaPvRmT3_T4_T5_mT6_P12ihipStream_tbENKUlT_T0_E_clISt17integral_constantIbLb0EEST_IbLb1EEEEDaSP_SQ_EUlSP_E0_NS1_11comp_targetILNS1_3genE10ELNS1_11target_archE1201ELNS1_3gpuE5ELNS1_3repE0EEENS1_30default_config_static_selectorELNS0_4arch9wavefront6targetE1EEEvT1_
	.p2align	8
	.type	_ZN7rocprim17ROCPRIM_400000_NS6detail17trampoline_kernelINS0_14default_configENS1_20scan_config_selectorIiEEZZNS1_9scan_implILNS1_25lookback_scan_determinismE0ELb1ELb1ES3_N6thrust23THRUST_200600_302600_NS6detail15normal_iteratorINS9_10device_ptrIiEEEESE_iNS9_4plusIiEEiEEDaPvRmT3_T4_T5_mT6_P12ihipStream_tbENKUlT_T0_E_clISt17integral_constantIbLb0EEST_IbLb1EEEEDaSP_SQ_EUlSP_E0_NS1_11comp_targetILNS1_3genE10ELNS1_11target_archE1201ELNS1_3gpuE5ELNS1_3repE0EEENS1_30default_config_static_selectorELNS0_4arch9wavefront6targetE1EEEvT1_,@function
_ZN7rocprim17ROCPRIM_400000_NS6detail17trampoline_kernelINS0_14default_configENS1_20scan_config_selectorIiEEZZNS1_9scan_implILNS1_25lookback_scan_determinismE0ELb1ELb1ES3_N6thrust23THRUST_200600_302600_NS6detail15normal_iteratorINS9_10device_ptrIiEEEESE_iNS9_4plusIiEEiEEDaPvRmT3_T4_T5_mT6_P12ihipStream_tbENKUlT_T0_E_clISt17integral_constantIbLb0EEST_IbLb1EEEEDaSP_SQ_EUlSP_E0_NS1_11comp_targetILNS1_3genE10ELNS1_11target_archE1201ELNS1_3gpuE5ELNS1_3repE0EEENS1_30default_config_static_selectorELNS0_4arch9wavefront6targetE1EEEvT1_: ; @_ZN7rocprim17ROCPRIM_400000_NS6detail17trampoline_kernelINS0_14default_configENS1_20scan_config_selectorIiEEZZNS1_9scan_implILNS1_25lookback_scan_determinismE0ELb1ELb1ES3_N6thrust23THRUST_200600_302600_NS6detail15normal_iteratorINS9_10device_ptrIiEEEESE_iNS9_4plusIiEEiEEDaPvRmT3_T4_T5_mT6_P12ihipStream_tbENKUlT_T0_E_clISt17integral_constantIbLb0EEST_IbLb1EEEEDaSP_SQ_EUlSP_E0_NS1_11comp_targetILNS1_3genE10ELNS1_11target_archE1201ELNS1_3gpuE5ELNS1_3repE0EEENS1_30default_config_static_selectorELNS0_4arch9wavefront6targetE1EEEvT1_
; %bb.0:
	.section	.rodata,"a",@progbits
	.p2align	6, 0x0
	.amdhsa_kernel _ZN7rocprim17ROCPRIM_400000_NS6detail17trampoline_kernelINS0_14default_configENS1_20scan_config_selectorIiEEZZNS1_9scan_implILNS1_25lookback_scan_determinismE0ELb1ELb1ES3_N6thrust23THRUST_200600_302600_NS6detail15normal_iteratorINS9_10device_ptrIiEEEESE_iNS9_4plusIiEEiEEDaPvRmT3_T4_T5_mT6_P12ihipStream_tbENKUlT_T0_E_clISt17integral_constantIbLb0EEST_IbLb1EEEEDaSP_SQ_EUlSP_E0_NS1_11comp_targetILNS1_3genE10ELNS1_11target_archE1201ELNS1_3gpuE5ELNS1_3repE0EEENS1_30default_config_static_selectorELNS0_4arch9wavefront6targetE1EEEvT1_
		.amdhsa_group_segment_fixed_size 0
		.amdhsa_private_segment_fixed_size 0
		.amdhsa_kernarg_size 32
		.amdhsa_user_sgpr_count 6
		.amdhsa_user_sgpr_private_segment_buffer 1
		.amdhsa_user_sgpr_dispatch_ptr 0
		.amdhsa_user_sgpr_queue_ptr 0
		.amdhsa_user_sgpr_kernarg_segment_ptr 1
		.amdhsa_user_sgpr_dispatch_id 0
		.amdhsa_user_sgpr_flat_scratch_init 0
		.amdhsa_user_sgpr_kernarg_preload_length 0
		.amdhsa_user_sgpr_kernarg_preload_offset 0
		.amdhsa_user_sgpr_private_segment_size 0
		.amdhsa_uses_dynamic_stack 0
		.amdhsa_system_sgpr_private_segment_wavefront_offset 0
		.amdhsa_system_sgpr_workgroup_id_x 1
		.amdhsa_system_sgpr_workgroup_id_y 0
		.amdhsa_system_sgpr_workgroup_id_z 0
		.amdhsa_system_sgpr_workgroup_info 0
		.amdhsa_system_vgpr_workitem_id 0
		.amdhsa_next_free_vgpr 1
		.amdhsa_next_free_sgpr 0
		.amdhsa_accum_offset 4
		.amdhsa_reserve_vcc 0
		.amdhsa_reserve_flat_scratch 0
		.amdhsa_float_round_mode_32 0
		.amdhsa_float_round_mode_16_64 0
		.amdhsa_float_denorm_mode_32 3
		.amdhsa_float_denorm_mode_16_64 3
		.amdhsa_dx10_clamp 1
		.amdhsa_ieee_mode 1
		.amdhsa_fp16_overflow 0
		.amdhsa_tg_split 0
		.amdhsa_exception_fp_ieee_invalid_op 0
		.amdhsa_exception_fp_denorm_src 0
		.amdhsa_exception_fp_ieee_div_zero 0
		.amdhsa_exception_fp_ieee_overflow 0
		.amdhsa_exception_fp_ieee_underflow 0
		.amdhsa_exception_fp_ieee_inexact 0
		.amdhsa_exception_int_div_zero 0
	.end_amdhsa_kernel
	.section	.text._ZN7rocprim17ROCPRIM_400000_NS6detail17trampoline_kernelINS0_14default_configENS1_20scan_config_selectorIiEEZZNS1_9scan_implILNS1_25lookback_scan_determinismE0ELb1ELb1ES3_N6thrust23THRUST_200600_302600_NS6detail15normal_iteratorINS9_10device_ptrIiEEEESE_iNS9_4plusIiEEiEEDaPvRmT3_T4_T5_mT6_P12ihipStream_tbENKUlT_T0_E_clISt17integral_constantIbLb0EEST_IbLb1EEEEDaSP_SQ_EUlSP_E0_NS1_11comp_targetILNS1_3genE10ELNS1_11target_archE1201ELNS1_3gpuE5ELNS1_3repE0EEENS1_30default_config_static_selectorELNS0_4arch9wavefront6targetE1EEEvT1_,"axG",@progbits,_ZN7rocprim17ROCPRIM_400000_NS6detail17trampoline_kernelINS0_14default_configENS1_20scan_config_selectorIiEEZZNS1_9scan_implILNS1_25lookback_scan_determinismE0ELb1ELb1ES3_N6thrust23THRUST_200600_302600_NS6detail15normal_iteratorINS9_10device_ptrIiEEEESE_iNS9_4plusIiEEiEEDaPvRmT3_T4_T5_mT6_P12ihipStream_tbENKUlT_T0_E_clISt17integral_constantIbLb0EEST_IbLb1EEEEDaSP_SQ_EUlSP_E0_NS1_11comp_targetILNS1_3genE10ELNS1_11target_archE1201ELNS1_3gpuE5ELNS1_3repE0EEENS1_30default_config_static_selectorELNS0_4arch9wavefront6targetE1EEEvT1_,comdat
.Lfunc_end728:
	.size	_ZN7rocprim17ROCPRIM_400000_NS6detail17trampoline_kernelINS0_14default_configENS1_20scan_config_selectorIiEEZZNS1_9scan_implILNS1_25lookback_scan_determinismE0ELb1ELb1ES3_N6thrust23THRUST_200600_302600_NS6detail15normal_iteratorINS9_10device_ptrIiEEEESE_iNS9_4plusIiEEiEEDaPvRmT3_T4_T5_mT6_P12ihipStream_tbENKUlT_T0_E_clISt17integral_constantIbLb0EEST_IbLb1EEEEDaSP_SQ_EUlSP_E0_NS1_11comp_targetILNS1_3genE10ELNS1_11target_archE1201ELNS1_3gpuE5ELNS1_3repE0EEENS1_30default_config_static_selectorELNS0_4arch9wavefront6targetE1EEEvT1_, .Lfunc_end728-_ZN7rocprim17ROCPRIM_400000_NS6detail17trampoline_kernelINS0_14default_configENS1_20scan_config_selectorIiEEZZNS1_9scan_implILNS1_25lookback_scan_determinismE0ELb1ELb1ES3_N6thrust23THRUST_200600_302600_NS6detail15normal_iteratorINS9_10device_ptrIiEEEESE_iNS9_4plusIiEEiEEDaPvRmT3_T4_T5_mT6_P12ihipStream_tbENKUlT_T0_E_clISt17integral_constantIbLb0EEST_IbLb1EEEEDaSP_SQ_EUlSP_E0_NS1_11comp_targetILNS1_3genE10ELNS1_11target_archE1201ELNS1_3gpuE5ELNS1_3repE0EEENS1_30default_config_static_selectorELNS0_4arch9wavefront6targetE1EEEvT1_
                                        ; -- End function
	.section	.AMDGPU.csdata,"",@progbits
; Kernel info:
; codeLenInByte = 0
; NumSgprs: 4
; NumVgprs: 0
; NumAgprs: 0
; TotalNumVgprs: 0
; ScratchSize: 0
; MemoryBound: 0
; FloatMode: 240
; IeeeMode: 1
; LDSByteSize: 0 bytes/workgroup (compile time only)
; SGPRBlocks: 0
; VGPRBlocks: 0
; NumSGPRsForWavesPerEU: 4
; NumVGPRsForWavesPerEU: 1
; AccumOffset: 4
; Occupancy: 8
; WaveLimiterHint : 0
; COMPUTE_PGM_RSRC2:SCRATCH_EN: 0
; COMPUTE_PGM_RSRC2:USER_SGPR: 6
; COMPUTE_PGM_RSRC2:TRAP_HANDLER: 0
; COMPUTE_PGM_RSRC2:TGID_X_EN: 1
; COMPUTE_PGM_RSRC2:TGID_Y_EN: 0
; COMPUTE_PGM_RSRC2:TGID_Z_EN: 0
; COMPUTE_PGM_RSRC2:TIDIG_COMP_CNT: 0
; COMPUTE_PGM_RSRC3_GFX90A:ACCUM_OFFSET: 0
; COMPUTE_PGM_RSRC3_GFX90A:TG_SPLIT: 0
	.section	.text._ZN7rocprim17ROCPRIM_400000_NS6detail17trampoline_kernelINS0_14default_configENS1_20scan_config_selectorIiEEZZNS1_9scan_implILNS1_25lookback_scan_determinismE0ELb1ELb1ES3_N6thrust23THRUST_200600_302600_NS6detail15normal_iteratorINS9_10device_ptrIiEEEESE_iNS9_4plusIiEEiEEDaPvRmT3_T4_T5_mT6_P12ihipStream_tbENKUlT_T0_E_clISt17integral_constantIbLb0EEST_IbLb1EEEEDaSP_SQ_EUlSP_E0_NS1_11comp_targetILNS1_3genE10ELNS1_11target_archE1200ELNS1_3gpuE4ELNS1_3repE0EEENS1_30default_config_static_selectorELNS0_4arch9wavefront6targetE1EEEvT1_,"axG",@progbits,_ZN7rocprim17ROCPRIM_400000_NS6detail17trampoline_kernelINS0_14default_configENS1_20scan_config_selectorIiEEZZNS1_9scan_implILNS1_25lookback_scan_determinismE0ELb1ELb1ES3_N6thrust23THRUST_200600_302600_NS6detail15normal_iteratorINS9_10device_ptrIiEEEESE_iNS9_4plusIiEEiEEDaPvRmT3_T4_T5_mT6_P12ihipStream_tbENKUlT_T0_E_clISt17integral_constantIbLb0EEST_IbLb1EEEEDaSP_SQ_EUlSP_E0_NS1_11comp_targetILNS1_3genE10ELNS1_11target_archE1200ELNS1_3gpuE4ELNS1_3repE0EEENS1_30default_config_static_selectorELNS0_4arch9wavefront6targetE1EEEvT1_,comdat
	.protected	_ZN7rocprim17ROCPRIM_400000_NS6detail17trampoline_kernelINS0_14default_configENS1_20scan_config_selectorIiEEZZNS1_9scan_implILNS1_25lookback_scan_determinismE0ELb1ELb1ES3_N6thrust23THRUST_200600_302600_NS6detail15normal_iteratorINS9_10device_ptrIiEEEESE_iNS9_4plusIiEEiEEDaPvRmT3_T4_T5_mT6_P12ihipStream_tbENKUlT_T0_E_clISt17integral_constantIbLb0EEST_IbLb1EEEEDaSP_SQ_EUlSP_E0_NS1_11comp_targetILNS1_3genE10ELNS1_11target_archE1200ELNS1_3gpuE4ELNS1_3repE0EEENS1_30default_config_static_selectorELNS0_4arch9wavefront6targetE1EEEvT1_ ; -- Begin function _ZN7rocprim17ROCPRIM_400000_NS6detail17trampoline_kernelINS0_14default_configENS1_20scan_config_selectorIiEEZZNS1_9scan_implILNS1_25lookback_scan_determinismE0ELb1ELb1ES3_N6thrust23THRUST_200600_302600_NS6detail15normal_iteratorINS9_10device_ptrIiEEEESE_iNS9_4plusIiEEiEEDaPvRmT3_T4_T5_mT6_P12ihipStream_tbENKUlT_T0_E_clISt17integral_constantIbLb0EEST_IbLb1EEEEDaSP_SQ_EUlSP_E0_NS1_11comp_targetILNS1_3genE10ELNS1_11target_archE1200ELNS1_3gpuE4ELNS1_3repE0EEENS1_30default_config_static_selectorELNS0_4arch9wavefront6targetE1EEEvT1_
	.globl	_ZN7rocprim17ROCPRIM_400000_NS6detail17trampoline_kernelINS0_14default_configENS1_20scan_config_selectorIiEEZZNS1_9scan_implILNS1_25lookback_scan_determinismE0ELb1ELb1ES3_N6thrust23THRUST_200600_302600_NS6detail15normal_iteratorINS9_10device_ptrIiEEEESE_iNS9_4plusIiEEiEEDaPvRmT3_T4_T5_mT6_P12ihipStream_tbENKUlT_T0_E_clISt17integral_constantIbLb0EEST_IbLb1EEEEDaSP_SQ_EUlSP_E0_NS1_11comp_targetILNS1_3genE10ELNS1_11target_archE1200ELNS1_3gpuE4ELNS1_3repE0EEENS1_30default_config_static_selectorELNS0_4arch9wavefront6targetE1EEEvT1_
	.p2align	8
	.type	_ZN7rocprim17ROCPRIM_400000_NS6detail17trampoline_kernelINS0_14default_configENS1_20scan_config_selectorIiEEZZNS1_9scan_implILNS1_25lookback_scan_determinismE0ELb1ELb1ES3_N6thrust23THRUST_200600_302600_NS6detail15normal_iteratorINS9_10device_ptrIiEEEESE_iNS9_4plusIiEEiEEDaPvRmT3_T4_T5_mT6_P12ihipStream_tbENKUlT_T0_E_clISt17integral_constantIbLb0EEST_IbLb1EEEEDaSP_SQ_EUlSP_E0_NS1_11comp_targetILNS1_3genE10ELNS1_11target_archE1200ELNS1_3gpuE4ELNS1_3repE0EEENS1_30default_config_static_selectorELNS0_4arch9wavefront6targetE1EEEvT1_,@function
_ZN7rocprim17ROCPRIM_400000_NS6detail17trampoline_kernelINS0_14default_configENS1_20scan_config_selectorIiEEZZNS1_9scan_implILNS1_25lookback_scan_determinismE0ELb1ELb1ES3_N6thrust23THRUST_200600_302600_NS6detail15normal_iteratorINS9_10device_ptrIiEEEESE_iNS9_4plusIiEEiEEDaPvRmT3_T4_T5_mT6_P12ihipStream_tbENKUlT_T0_E_clISt17integral_constantIbLb0EEST_IbLb1EEEEDaSP_SQ_EUlSP_E0_NS1_11comp_targetILNS1_3genE10ELNS1_11target_archE1200ELNS1_3gpuE4ELNS1_3repE0EEENS1_30default_config_static_selectorELNS0_4arch9wavefront6targetE1EEEvT1_: ; @_ZN7rocprim17ROCPRIM_400000_NS6detail17trampoline_kernelINS0_14default_configENS1_20scan_config_selectorIiEEZZNS1_9scan_implILNS1_25lookback_scan_determinismE0ELb1ELb1ES3_N6thrust23THRUST_200600_302600_NS6detail15normal_iteratorINS9_10device_ptrIiEEEESE_iNS9_4plusIiEEiEEDaPvRmT3_T4_T5_mT6_P12ihipStream_tbENKUlT_T0_E_clISt17integral_constantIbLb0EEST_IbLb1EEEEDaSP_SQ_EUlSP_E0_NS1_11comp_targetILNS1_3genE10ELNS1_11target_archE1200ELNS1_3gpuE4ELNS1_3repE0EEENS1_30default_config_static_selectorELNS0_4arch9wavefront6targetE1EEEvT1_
; %bb.0:
	.section	.rodata,"a",@progbits
	.p2align	6, 0x0
	.amdhsa_kernel _ZN7rocprim17ROCPRIM_400000_NS6detail17trampoline_kernelINS0_14default_configENS1_20scan_config_selectorIiEEZZNS1_9scan_implILNS1_25lookback_scan_determinismE0ELb1ELb1ES3_N6thrust23THRUST_200600_302600_NS6detail15normal_iteratorINS9_10device_ptrIiEEEESE_iNS9_4plusIiEEiEEDaPvRmT3_T4_T5_mT6_P12ihipStream_tbENKUlT_T0_E_clISt17integral_constantIbLb0EEST_IbLb1EEEEDaSP_SQ_EUlSP_E0_NS1_11comp_targetILNS1_3genE10ELNS1_11target_archE1200ELNS1_3gpuE4ELNS1_3repE0EEENS1_30default_config_static_selectorELNS0_4arch9wavefront6targetE1EEEvT1_
		.amdhsa_group_segment_fixed_size 0
		.amdhsa_private_segment_fixed_size 0
		.amdhsa_kernarg_size 32
		.amdhsa_user_sgpr_count 6
		.amdhsa_user_sgpr_private_segment_buffer 1
		.amdhsa_user_sgpr_dispatch_ptr 0
		.amdhsa_user_sgpr_queue_ptr 0
		.amdhsa_user_sgpr_kernarg_segment_ptr 1
		.amdhsa_user_sgpr_dispatch_id 0
		.amdhsa_user_sgpr_flat_scratch_init 0
		.amdhsa_user_sgpr_kernarg_preload_length 0
		.amdhsa_user_sgpr_kernarg_preload_offset 0
		.amdhsa_user_sgpr_private_segment_size 0
		.amdhsa_uses_dynamic_stack 0
		.amdhsa_system_sgpr_private_segment_wavefront_offset 0
		.amdhsa_system_sgpr_workgroup_id_x 1
		.amdhsa_system_sgpr_workgroup_id_y 0
		.amdhsa_system_sgpr_workgroup_id_z 0
		.amdhsa_system_sgpr_workgroup_info 0
		.amdhsa_system_vgpr_workitem_id 0
		.amdhsa_next_free_vgpr 1
		.amdhsa_next_free_sgpr 0
		.amdhsa_accum_offset 4
		.amdhsa_reserve_vcc 0
		.amdhsa_reserve_flat_scratch 0
		.amdhsa_float_round_mode_32 0
		.amdhsa_float_round_mode_16_64 0
		.amdhsa_float_denorm_mode_32 3
		.amdhsa_float_denorm_mode_16_64 3
		.amdhsa_dx10_clamp 1
		.amdhsa_ieee_mode 1
		.amdhsa_fp16_overflow 0
		.amdhsa_tg_split 0
		.amdhsa_exception_fp_ieee_invalid_op 0
		.amdhsa_exception_fp_denorm_src 0
		.amdhsa_exception_fp_ieee_div_zero 0
		.amdhsa_exception_fp_ieee_overflow 0
		.amdhsa_exception_fp_ieee_underflow 0
		.amdhsa_exception_fp_ieee_inexact 0
		.amdhsa_exception_int_div_zero 0
	.end_amdhsa_kernel
	.section	.text._ZN7rocprim17ROCPRIM_400000_NS6detail17trampoline_kernelINS0_14default_configENS1_20scan_config_selectorIiEEZZNS1_9scan_implILNS1_25lookback_scan_determinismE0ELb1ELb1ES3_N6thrust23THRUST_200600_302600_NS6detail15normal_iteratorINS9_10device_ptrIiEEEESE_iNS9_4plusIiEEiEEDaPvRmT3_T4_T5_mT6_P12ihipStream_tbENKUlT_T0_E_clISt17integral_constantIbLb0EEST_IbLb1EEEEDaSP_SQ_EUlSP_E0_NS1_11comp_targetILNS1_3genE10ELNS1_11target_archE1200ELNS1_3gpuE4ELNS1_3repE0EEENS1_30default_config_static_selectorELNS0_4arch9wavefront6targetE1EEEvT1_,"axG",@progbits,_ZN7rocprim17ROCPRIM_400000_NS6detail17trampoline_kernelINS0_14default_configENS1_20scan_config_selectorIiEEZZNS1_9scan_implILNS1_25lookback_scan_determinismE0ELb1ELb1ES3_N6thrust23THRUST_200600_302600_NS6detail15normal_iteratorINS9_10device_ptrIiEEEESE_iNS9_4plusIiEEiEEDaPvRmT3_T4_T5_mT6_P12ihipStream_tbENKUlT_T0_E_clISt17integral_constantIbLb0EEST_IbLb1EEEEDaSP_SQ_EUlSP_E0_NS1_11comp_targetILNS1_3genE10ELNS1_11target_archE1200ELNS1_3gpuE4ELNS1_3repE0EEENS1_30default_config_static_selectorELNS0_4arch9wavefront6targetE1EEEvT1_,comdat
.Lfunc_end729:
	.size	_ZN7rocprim17ROCPRIM_400000_NS6detail17trampoline_kernelINS0_14default_configENS1_20scan_config_selectorIiEEZZNS1_9scan_implILNS1_25lookback_scan_determinismE0ELb1ELb1ES3_N6thrust23THRUST_200600_302600_NS6detail15normal_iteratorINS9_10device_ptrIiEEEESE_iNS9_4plusIiEEiEEDaPvRmT3_T4_T5_mT6_P12ihipStream_tbENKUlT_T0_E_clISt17integral_constantIbLb0EEST_IbLb1EEEEDaSP_SQ_EUlSP_E0_NS1_11comp_targetILNS1_3genE10ELNS1_11target_archE1200ELNS1_3gpuE4ELNS1_3repE0EEENS1_30default_config_static_selectorELNS0_4arch9wavefront6targetE1EEEvT1_, .Lfunc_end729-_ZN7rocprim17ROCPRIM_400000_NS6detail17trampoline_kernelINS0_14default_configENS1_20scan_config_selectorIiEEZZNS1_9scan_implILNS1_25lookback_scan_determinismE0ELb1ELb1ES3_N6thrust23THRUST_200600_302600_NS6detail15normal_iteratorINS9_10device_ptrIiEEEESE_iNS9_4plusIiEEiEEDaPvRmT3_T4_T5_mT6_P12ihipStream_tbENKUlT_T0_E_clISt17integral_constantIbLb0EEST_IbLb1EEEEDaSP_SQ_EUlSP_E0_NS1_11comp_targetILNS1_3genE10ELNS1_11target_archE1200ELNS1_3gpuE4ELNS1_3repE0EEENS1_30default_config_static_selectorELNS0_4arch9wavefront6targetE1EEEvT1_
                                        ; -- End function
	.section	.AMDGPU.csdata,"",@progbits
; Kernel info:
; codeLenInByte = 0
; NumSgprs: 4
; NumVgprs: 0
; NumAgprs: 0
; TotalNumVgprs: 0
; ScratchSize: 0
; MemoryBound: 0
; FloatMode: 240
; IeeeMode: 1
; LDSByteSize: 0 bytes/workgroup (compile time only)
; SGPRBlocks: 0
; VGPRBlocks: 0
; NumSGPRsForWavesPerEU: 4
; NumVGPRsForWavesPerEU: 1
; AccumOffset: 4
; Occupancy: 8
; WaveLimiterHint : 0
; COMPUTE_PGM_RSRC2:SCRATCH_EN: 0
; COMPUTE_PGM_RSRC2:USER_SGPR: 6
; COMPUTE_PGM_RSRC2:TRAP_HANDLER: 0
; COMPUTE_PGM_RSRC2:TGID_X_EN: 1
; COMPUTE_PGM_RSRC2:TGID_Y_EN: 0
; COMPUTE_PGM_RSRC2:TGID_Z_EN: 0
; COMPUTE_PGM_RSRC2:TIDIG_COMP_CNT: 0
; COMPUTE_PGM_RSRC3_GFX90A:ACCUM_OFFSET: 0
; COMPUTE_PGM_RSRC3_GFX90A:TG_SPLIT: 0
	.section	.text._ZN7rocprim17ROCPRIM_400000_NS6detail17trampoline_kernelINS0_14default_configENS1_20scan_config_selectorIiEEZZNS1_9scan_implILNS1_25lookback_scan_determinismE0ELb1ELb1ES3_N6thrust23THRUST_200600_302600_NS6detail15normal_iteratorINS9_10device_ptrIiEEEESE_iNS9_4plusIiEEiEEDaPvRmT3_T4_T5_mT6_P12ihipStream_tbENKUlT_T0_E_clISt17integral_constantIbLb0EEST_IbLb1EEEEDaSP_SQ_EUlSP_E0_NS1_11comp_targetILNS1_3genE9ELNS1_11target_archE1100ELNS1_3gpuE3ELNS1_3repE0EEENS1_30default_config_static_selectorELNS0_4arch9wavefront6targetE1EEEvT1_,"axG",@progbits,_ZN7rocprim17ROCPRIM_400000_NS6detail17trampoline_kernelINS0_14default_configENS1_20scan_config_selectorIiEEZZNS1_9scan_implILNS1_25lookback_scan_determinismE0ELb1ELb1ES3_N6thrust23THRUST_200600_302600_NS6detail15normal_iteratorINS9_10device_ptrIiEEEESE_iNS9_4plusIiEEiEEDaPvRmT3_T4_T5_mT6_P12ihipStream_tbENKUlT_T0_E_clISt17integral_constantIbLb0EEST_IbLb1EEEEDaSP_SQ_EUlSP_E0_NS1_11comp_targetILNS1_3genE9ELNS1_11target_archE1100ELNS1_3gpuE3ELNS1_3repE0EEENS1_30default_config_static_selectorELNS0_4arch9wavefront6targetE1EEEvT1_,comdat
	.protected	_ZN7rocprim17ROCPRIM_400000_NS6detail17trampoline_kernelINS0_14default_configENS1_20scan_config_selectorIiEEZZNS1_9scan_implILNS1_25lookback_scan_determinismE0ELb1ELb1ES3_N6thrust23THRUST_200600_302600_NS6detail15normal_iteratorINS9_10device_ptrIiEEEESE_iNS9_4plusIiEEiEEDaPvRmT3_T4_T5_mT6_P12ihipStream_tbENKUlT_T0_E_clISt17integral_constantIbLb0EEST_IbLb1EEEEDaSP_SQ_EUlSP_E0_NS1_11comp_targetILNS1_3genE9ELNS1_11target_archE1100ELNS1_3gpuE3ELNS1_3repE0EEENS1_30default_config_static_selectorELNS0_4arch9wavefront6targetE1EEEvT1_ ; -- Begin function _ZN7rocprim17ROCPRIM_400000_NS6detail17trampoline_kernelINS0_14default_configENS1_20scan_config_selectorIiEEZZNS1_9scan_implILNS1_25lookback_scan_determinismE0ELb1ELb1ES3_N6thrust23THRUST_200600_302600_NS6detail15normal_iteratorINS9_10device_ptrIiEEEESE_iNS9_4plusIiEEiEEDaPvRmT3_T4_T5_mT6_P12ihipStream_tbENKUlT_T0_E_clISt17integral_constantIbLb0EEST_IbLb1EEEEDaSP_SQ_EUlSP_E0_NS1_11comp_targetILNS1_3genE9ELNS1_11target_archE1100ELNS1_3gpuE3ELNS1_3repE0EEENS1_30default_config_static_selectorELNS0_4arch9wavefront6targetE1EEEvT1_
	.globl	_ZN7rocprim17ROCPRIM_400000_NS6detail17trampoline_kernelINS0_14default_configENS1_20scan_config_selectorIiEEZZNS1_9scan_implILNS1_25lookback_scan_determinismE0ELb1ELb1ES3_N6thrust23THRUST_200600_302600_NS6detail15normal_iteratorINS9_10device_ptrIiEEEESE_iNS9_4plusIiEEiEEDaPvRmT3_T4_T5_mT6_P12ihipStream_tbENKUlT_T0_E_clISt17integral_constantIbLb0EEST_IbLb1EEEEDaSP_SQ_EUlSP_E0_NS1_11comp_targetILNS1_3genE9ELNS1_11target_archE1100ELNS1_3gpuE3ELNS1_3repE0EEENS1_30default_config_static_selectorELNS0_4arch9wavefront6targetE1EEEvT1_
	.p2align	8
	.type	_ZN7rocprim17ROCPRIM_400000_NS6detail17trampoline_kernelINS0_14default_configENS1_20scan_config_selectorIiEEZZNS1_9scan_implILNS1_25lookback_scan_determinismE0ELb1ELb1ES3_N6thrust23THRUST_200600_302600_NS6detail15normal_iteratorINS9_10device_ptrIiEEEESE_iNS9_4plusIiEEiEEDaPvRmT3_T4_T5_mT6_P12ihipStream_tbENKUlT_T0_E_clISt17integral_constantIbLb0EEST_IbLb1EEEEDaSP_SQ_EUlSP_E0_NS1_11comp_targetILNS1_3genE9ELNS1_11target_archE1100ELNS1_3gpuE3ELNS1_3repE0EEENS1_30default_config_static_selectorELNS0_4arch9wavefront6targetE1EEEvT1_,@function
_ZN7rocprim17ROCPRIM_400000_NS6detail17trampoline_kernelINS0_14default_configENS1_20scan_config_selectorIiEEZZNS1_9scan_implILNS1_25lookback_scan_determinismE0ELb1ELb1ES3_N6thrust23THRUST_200600_302600_NS6detail15normal_iteratorINS9_10device_ptrIiEEEESE_iNS9_4plusIiEEiEEDaPvRmT3_T4_T5_mT6_P12ihipStream_tbENKUlT_T0_E_clISt17integral_constantIbLb0EEST_IbLb1EEEEDaSP_SQ_EUlSP_E0_NS1_11comp_targetILNS1_3genE9ELNS1_11target_archE1100ELNS1_3gpuE3ELNS1_3repE0EEENS1_30default_config_static_selectorELNS0_4arch9wavefront6targetE1EEEvT1_: ; @_ZN7rocprim17ROCPRIM_400000_NS6detail17trampoline_kernelINS0_14default_configENS1_20scan_config_selectorIiEEZZNS1_9scan_implILNS1_25lookback_scan_determinismE0ELb1ELb1ES3_N6thrust23THRUST_200600_302600_NS6detail15normal_iteratorINS9_10device_ptrIiEEEESE_iNS9_4plusIiEEiEEDaPvRmT3_T4_T5_mT6_P12ihipStream_tbENKUlT_T0_E_clISt17integral_constantIbLb0EEST_IbLb1EEEEDaSP_SQ_EUlSP_E0_NS1_11comp_targetILNS1_3genE9ELNS1_11target_archE1100ELNS1_3gpuE3ELNS1_3repE0EEENS1_30default_config_static_selectorELNS0_4arch9wavefront6targetE1EEEvT1_
; %bb.0:
	.section	.rodata,"a",@progbits
	.p2align	6, 0x0
	.amdhsa_kernel _ZN7rocprim17ROCPRIM_400000_NS6detail17trampoline_kernelINS0_14default_configENS1_20scan_config_selectorIiEEZZNS1_9scan_implILNS1_25lookback_scan_determinismE0ELb1ELb1ES3_N6thrust23THRUST_200600_302600_NS6detail15normal_iteratorINS9_10device_ptrIiEEEESE_iNS9_4plusIiEEiEEDaPvRmT3_T4_T5_mT6_P12ihipStream_tbENKUlT_T0_E_clISt17integral_constantIbLb0EEST_IbLb1EEEEDaSP_SQ_EUlSP_E0_NS1_11comp_targetILNS1_3genE9ELNS1_11target_archE1100ELNS1_3gpuE3ELNS1_3repE0EEENS1_30default_config_static_selectorELNS0_4arch9wavefront6targetE1EEEvT1_
		.amdhsa_group_segment_fixed_size 0
		.amdhsa_private_segment_fixed_size 0
		.amdhsa_kernarg_size 32
		.amdhsa_user_sgpr_count 6
		.amdhsa_user_sgpr_private_segment_buffer 1
		.amdhsa_user_sgpr_dispatch_ptr 0
		.amdhsa_user_sgpr_queue_ptr 0
		.amdhsa_user_sgpr_kernarg_segment_ptr 1
		.amdhsa_user_sgpr_dispatch_id 0
		.amdhsa_user_sgpr_flat_scratch_init 0
		.amdhsa_user_sgpr_kernarg_preload_length 0
		.amdhsa_user_sgpr_kernarg_preload_offset 0
		.amdhsa_user_sgpr_private_segment_size 0
		.amdhsa_uses_dynamic_stack 0
		.amdhsa_system_sgpr_private_segment_wavefront_offset 0
		.amdhsa_system_sgpr_workgroup_id_x 1
		.amdhsa_system_sgpr_workgroup_id_y 0
		.amdhsa_system_sgpr_workgroup_id_z 0
		.amdhsa_system_sgpr_workgroup_info 0
		.amdhsa_system_vgpr_workitem_id 0
		.amdhsa_next_free_vgpr 1
		.amdhsa_next_free_sgpr 0
		.amdhsa_accum_offset 4
		.amdhsa_reserve_vcc 0
		.amdhsa_reserve_flat_scratch 0
		.amdhsa_float_round_mode_32 0
		.amdhsa_float_round_mode_16_64 0
		.amdhsa_float_denorm_mode_32 3
		.amdhsa_float_denorm_mode_16_64 3
		.amdhsa_dx10_clamp 1
		.amdhsa_ieee_mode 1
		.amdhsa_fp16_overflow 0
		.amdhsa_tg_split 0
		.amdhsa_exception_fp_ieee_invalid_op 0
		.amdhsa_exception_fp_denorm_src 0
		.amdhsa_exception_fp_ieee_div_zero 0
		.amdhsa_exception_fp_ieee_overflow 0
		.amdhsa_exception_fp_ieee_underflow 0
		.amdhsa_exception_fp_ieee_inexact 0
		.amdhsa_exception_int_div_zero 0
	.end_amdhsa_kernel
	.section	.text._ZN7rocprim17ROCPRIM_400000_NS6detail17trampoline_kernelINS0_14default_configENS1_20scan_config_selectorIiEEZZNS1_9scan_implILNS1_25lookback_scan_determinismE0ELb1ELb1ES3_N6thrust23THRUST_200600_302600_NS6detail15normal_iteratorINS9_10device_ptrIiEEEESE_iNS9_4plusIiEEiEEDaPvRmT3_T4_T5_mT6_P12ihipStream_tbENKUlT_T0_E_clISt17integral_constantIbLb0EEST_IbLb1EEEEDaSP_SQ_EUlSP_E0_NS1_11comp_targetILNS1_3genE9ELNS1_11target_archE1100ELNS1_3gpuE3ELNS1_3repE0EEENS1_30default_config_static_selectorELNS0_4arch9wavefront6targetE1EEEvT1_,"axG",@progbits,_ZN7rocprim17ROCPRIM_400000_NS6detail17trampoline_kernelINS0_14default_configENS1_20scan_config_selectorIiEEZZNS1_9scan_implILNS1_25lookback_scan_determinismE0ELb1ELb1ES3_N6thrust23THRUST_200600_302600_NS6detail15normal_iteratorINS9_10device_ptrIiEEEESE_iNS9_4plusIiEEiEEDaPvRmT3_T4_T5_mT6_P12ihipStream_tbENKUlT_T0_E_clISt17integral_constantIbLb0EEST_IbLb1EEEEDaSP_SQ_EUlSP_E0_NS1_11comp_targetILNS1_3genE9ELNS1_11target_archE1100ELNS1_3gpuE3ELNS1_3repE0EEENS1_30default_config_static_selectorELNS0_4arch9wavefront6targetE1EEEvT1_,comdat
.Lfunc_end730:
	.size	_ZN7rocprim17ROCPRIM_400000_NS6detail17trampoline_kernelINS0_14default_configENS1_20scan_config_selectorIiEEZZNS1_9scan_implILNS1_25lookback_scan_determinismE0ELb1ELb1ES3_N6thrust23THRUST_200600_302600_NS6detail15normal_iteratorINS9_10device_ptrIiEEEESE_iNS9_4plusIiEEiEEDaPvRmT3_T4_T5_mT6_P12ihipStream_tbENKUlT_T0_E_clISt17integral_constantIbLb0EEST_IbLb1EEEEDaSP_SQ_EUlSP_E0_NS1_11comp_targetILNS1_3genE9ELNS1_11target_archE1100ELNS1_3gpuE3ELNS1_3repE0EEENS1_30default_config_static_selectorELNS0_4arch9wavefront6targetE1EEEvT1_, .Lfunc_end730-_ZN7rocprim17ROCPRIM_400000_NS6detail17trampoline_kernelINS0_14default_configENS1_20scan_config_selectorIiEEZZNS1_9scan_implILNS1_25lookback_scan_determinismE0ELb1ELb1ES3_N6thrust23THRUST_200600_302600_NS6detail15normal_iteratorINS9_10device_ptrIiEEEESE_iNS9_4plusIiEEiEEDaPvRmT3_T4_T5_mT6_P12ihipStream_tbENKUlT_T0_E_clISt17integral_constantIbLb0EEST_IbLb1EEEEDaSP_SQ_EUlSP_E0_NS1_11comp_targetILNS1_3genE9ELNS1_11target_archE1100ELNS1_3gpuE3ELNS1_3repE0EEENS1_30default_config_static_selectorELNS0_4arch9wavefront6targetE1EEEvT1_
                                        ; -- End function
	.section	.AMDGPU.csdata,"",@progbits
; Kernel info:
; codeLenInByte = 0
; NumSgprs: 4
; NumVgprs: 0
; NumAgprs: 0
; TotalNumVgprs: 0
; ScratchSize: 0
; MemoryBound: 0
; FloatMode: 240
; IeeeMode: 1
; LDSByteSize: 0 bytes/workgroup (compile time only)
; SGPRBlocks: 0
; VGPRBlocks: 0
; NumSGPRsForWavesPerEU: 4
; NumVGPRsForWavesPerEU: 1
; AccumOffset: 4
; Occupancy: 8
; WaveLimiterHint : 0
; COMPUTE_PGM_RSRC2:SCRATCH_EN: 0
; COMPUTE_PGM_RSRC2:USER_SGPR: 6
; COMPUTE_PGM_RSRC2:TRAP_HANDLER: 0
; COMPUTE_PGM_RSRC2:TGID_X_EN: 1
; COMPUTE_PGM_RSRC2:TGID_Y_EN: 0
; COMPUTE_PGM_RSRC2:TGID_Z_EN: 0
; COMPUTE_PGM_RSRC2:TIDIG_COMP_CNT: 0
; COMPUTE_PGM_RSRC3_GFX90A:ACCUM_OFFSET: 0
; COMPUTE_PGM_RSRC3_GFX90A:TG_SPLIT: 0
	.section	.text._ZN7rocprim17ROCPRIM_400000_NS6detail17trampoline_kernelINS0_14default_configENS1_20scan_config_selectorIiEEZZNS1_9scan_implILNS1_25lookback_scan_determinismE0ELb1ELb1ES3_N6thrust23THRUST_200600_302600_NS6detail15normal_iteratorINS9_10device_ptrIiEEEESE_iNS9_4plusIiEEiEEDaPvRmT3_T4_T5_mT6_P12ihipStream_tbENKUlT_T0_E_clISt17integral_constantIbLb0EEST_IbLb1EEEEDaSP_SQ_EUlSP_E0_NS1_11comp_targetILNS1_3genE8ELNS1_11target_archE1030ELNS1_3gpuE2ELNS1_3repE0EEENS1_30default_config_static_selectorELNS0_4arch9wavefront6targetE1EEEvT1_,"axG",@progbits,_ZN7rocprim17ROCPRIM_400000_NS6detail17trampoline_kernelINS0_14default_configENS1_20scan_config_selectorIiEEZZNS1_9scan_implILNS1_25lookback_scan_determinismE0ELb1ELb1ES3_N6thrust23THRUST_200600_302600_NS6detail15normal_iteratorINS9_10device_ptrIiEEEESE_iNS9_4plusIiEEiEEDaPvRmT3_T4_T5_mT6_P12ihipStream_tbENKUlT_T0_E_clISt17integral_constantIbLb0EEST_IbLb1EEEEDaSP_SQ_EUlSP_E0_NS1_11comp_targetILNS1_3genE8ELNS1_11target_archE1030ELNS1_3gpuE2ELNS1_3repE0EEENS1_30default_config_static_selectorELNS0_4arch9wavefront6targetE1EEEvT1_,comdat
	.protected	_ZN7rocprim17ROCPRIM_400000_NS6detail17trampoline_kernelINS0_14default_configENS1_20scan_config_selectorIiEEZZNS1_9scan_implILNS1_25lookback_scan_determinismE0ELb1ELb1ES3_N6thrust23THRUST_200600_302600_NS6detail15normal_iteratorINS9_10device_ptrIiEEEESE_iNS9_4plusIiEEiEEDaPvRmT3_T4_T5_mT6_P12ihipStream_tbENKUlT_T0_E_clISt17integral_constantIbLb0EEST_IbLb1EEEEDaSP_SQ_EUlSP_E0_NS1_11comp_targetILNS1_3genE8ELNS1_11target_archE1030ELNS1_3gpuE2ELNS1_3repE0EEENS1_30default_config_static_selectorELNS0_4arch9wavefront6targetE1EEEvT1_ ; -- Begin function _ZN7rocprim17ROCPRIM_400000_NS6detail17trampoline_kernelINS0_14default_configENS1_20scan_config_selectorIiEEZZNS1_9scan_implILNS1_25lookback_scan_determinismE0ELb1ELb1ES3_N6thrust23THRUST_200600_302600_NS6detail15normal_iteratorINS9_10device_ptrIiEEEESE_iNS9_4plusIiEEiEEDaPvRmT3_T4_T5_mT6_P12ihipStream_tbENKUlT_T0_E_clISt17integral_constantIbLb0EEST_IbLb1EEEEDaSP_SQ_EUlSP_E0_NS1_11comp_targetILNS1_3genE8ELNS1_11target_archE1030ELNS1_3gpuE2ELNS1_3repE0EEENS1_30default_config_static_selectorELNS0_4arch9wavefront6targetE1EEEvT1_
	.globl	_ZN7rocprim17ROCPRIM_400000_NS6detail17trampoline_kernelINS0_14default_configENS1_20scan_config_selectorIiEEZZNS1_9scan_implILNS1_25lookback_scan_determinismE0ELb1ELb1ES3_N6thrust23THRUST_200600_302600_NS6detail15normal_iteratorINS9_10device_ptrIiEEEESE_iNS9_4plusIiEEiEEDaPvRmT3_T4_T5_mT6_P12ihipStream_tbENKUlT_T0_E_clISt17integral_constantIbLb0EEST_IbLb1EEEEDaSP_SQ_EUlSP_E0_NS1_11comp_targetILNS1_3genE8ELNS1_11target_archE1030ELNS1_3gpuE2ELNS1_3repE0EEENS1_30default_config_static_selectorELNS0_4arch9wavefront6targetE1EEEvT1_
	.p2align	8
	.type	_ZN7rocprim17ROCPRIM_400000_NS6detail17trampoline_kernelINS0_14default_configENS1_20scan_config_selectorIiEEZZNS1_9scan_implILNS1_25lookback_scan_determinismE0ELb1ELb1ES3_N6thrust23THRUST_200600_302600_NS6detail15normal_iteratorINS9_10device_ptrIiEEEESE_iNS9_4plusIiEEiEEDaPvRmT3_T4_T5_mT6_P12ihipStream_tbENKUlT_T0_E_clISt17integral_constantIbLb0EEST_IbLb1EEEEDaSP_SQ_EUlSP_E0_NS1_11comp_targetILNS1_3genE8ELNS1_11target_archE1030ELNS1_3gpuE2ELNS1_3repE0EEENS1_30default_config_static_selectorELNS0_4arch9wavefront6targetE1EEEvT1_,@function
_ZN7rocprim17ROCPRIM_400000_NS6detail17trampoline_kernelINS0_14default_configENS1_20scan_config_selectorIiEEZZNS1_9scan_implILNS1_25lookback_scan_determinismE0ELb1ELb1ES3_N6thrust23THRUST_200600_302600_NS6detail15normal_iteratorINS9_10device_ptrIiEEEESE_iNS9_4plusIiEEiEEDaPvRmT3_T4_T5_mT6_P12ihipStream_tbENKUlT_T0_E_clISt17integral_constantIbLb0EEST_IbLb1EEEEDaSP_SQ_EUlSP_E0_NS1_11comp_targetILNS1_3genE8ELNS1_11target_archE1030ELNS1_3gpuE2ELNS1_3repE0EEENS1_30default_config_static_selectorELNS0_4arch9wavefront6targetE1EEEvT1_: ; @_ZN7rocprim17ROCPRIM_400000_NS6detail17trampoline_kernelINS0_14default_configENS1_20scan_config_selectorIiEEZZNS1_9scan_implILNS1_25lookback_scan_determinismE0ELb1ELb1ES3_N6thrust23THRUST_200600_302600_NS6detail15normal_iteratorINS9_10device_ptrIiEEEESE_iNS9_4plusIiEEiEEDaPvRmT3_T4_T5_mT6_P12ihipStream_tbENKUlT_T0_E_clISt17integral_constantIbLb0EEST_IbLb1EEEEDaSP_SQ_EUlSP_E0_NS1_11comp_targetILNS1_3genE8ELNS1_11target_archE1030ELNS1_3gpuE2ELNS1_3repE0EEENS1_30default_config_static_selectorELNS0_4arch9wavefront6targetE1EEEvT1_
; %bb.0:
	.section	.rodata,"a",@progbits
	.p2align	6, 0x0
	.amdhsa_kernel _ZN7rocprim17ROCPRIM_400000_NS6detail17trampoline_kernelINS0_14default_configENS1_20scan_config_selectorIiEEZZNS1_9scan_implILNS1_25lookback_scan_determinismE0ELb1ELb1ES3_N6thrust23THRUST_200600_302600_NS6detail15normal_iteratorINS9_10device_ptrIiEEEESE_iNS9_4plusIiEEiEEDaPvRmT3_T4_T5_mT6_P12ihipStream_tbENKUlT_T0_E_clISt17integral_constantIbLb0EEST_IbLb1EEEEDaSP_SQ_EUlSP_E0_NS1_11comp_targetILNS1_3genE8ELNS1_11target_archE1030ELNS1_3gpuE2ELNS1_3repE0EEENS1_30default_config_static_selectorELNS0_4arch9wavefront6targetE1EEEvT1_
		.amdhsa_group_segment_fixed_size 0
		.amdhsa_private_segment_fixed_size 0
		.amdhsa_kernarg_size 32
		.amdhsa_user_sgpr_count 6
		.amdhsa_user_sgpr_private_segment_buffer 1
		.amdhsa_user_sgpr_dispatch_ptr 0
		.amdhsa_user_sgpr_queue_ptr 0
		.amdhsa_user_sgpr_kernarg_segment_ptr 1
		.amdhsa_user_sgpr_dispatch_id 0
		.amdhsa_user_sgpr_flat_scratch_init 0
		.amdhsa_user_sgpr_kernarg_preload_length 0
		.amdhsa_user_sgpr_kernarg_preload_offset 0
		.amdhsa_user_sgpr_private_segment_size 0
		.amdhsa_uses_dynamic_stack 0
		.amdhsa_system_sgpr_private_segment_wavefront_offset 0
		.amdhsa_system_sgpr_workgroup_id_x 1
		.amdhsa_system_sgpr_workgroup_id_y 0
		.amdhsa_system_sgpr_workgroup_id_z 0
		.amdhsa_system_sgpr_workgroup_info 0
		.amdhsa_system_vgpr_workitem_id 0
		.amdhsa_next_free_vgpr 1
		.amdhsa_next_free_sgpr 0
		.amdhsa_accum_offset 4
		.amdhsa_reserve_vcc 0
		.amdhsa_reserve_flat_scratch 0
		.amdhsa_float_round_mode_32 0
		.amdhsa_float_round_mode_16_64 0
		.amdhsa_float_denorm_mode_32 3
		.amdhsa_float_denorm_mode_16_64 3
		.amdhsa_dx10_clamp 1
		.amdhsa_ieee_mode 1
		.amdhsa_fp16_overflow 0
		.amdhsa_tg_split 0
		.amdhsa_exception_fp_ieee_invalid_op 0
		.amdhsa_exception_fp_denorm_src 0
		.amdhsa_exception_fp_ieee_div_zero 0
		.amdhsa_exception_fp_ieee_overflow 0
		.amdhsa_exception_fp_ieee_underflow 0
		.amdhsa_exception_fp_ieee_inexact 0
		.amdhsa_exception_int_div_zero 0
	.end_amdhsa_kernel
	.section	.text._ZN7rocprim17ROCPRIM_400000_NS6detail17trampoline_kernelINS0_14default_configENS1_20scan_config_selectorIiEEZZNS1_9scan_implILNS1_25lookback_scan_determinismE0ELb1ELb1ES3_N6thrust23THRUST_200600_302600_NS6detail15normal_iteratorINS9_10device_ptrIiEEEESE_iNS9_4plusIiEEiEEDaPvRmT3_T4_T5_mT6_P12ihipStream_tbENKUlT_T0_E_clISt17integral_constantIbLb0EEST_IbLb1EEEEDaSP_SQ_EUlSP_E0_NS1_11comp_targetILNS1_3genE8ELNS1_11target_archE1030ELNS1_3gpuE2ELNS1_3repE0EEENS1_30default_config_static_selectorELNS0_4arch9wavefront6targetE1EEEvT1_,"axG",@progbits,_ZN7rocprim17ROCPRIM_400000_NS6detail17trampoline_kernelINS0_14default_configENS1_20scan_config_selectorIiEEZZNS1_9scan_implILNS1_25lookback_scan_determinismE0ELb1ELb1ES3_N6thrust23THRUST_200600_302600_NS6detail15normal_iteratorINS9_10device_ptrIiEEEESE_iNS9_4plusIiEEiEEDaPvRmT3_T4_T5_mT6_P12ihipStream_tbENKUlT_T0_E_clISt17integral_constantIbLb0EEST_IbLb1EEEEDaSP_SQ_EUlSP_E0_NS1_11comp_targetILNS1_3genE8ELNS1_11target_archE1030ELNS1_3gpuE2ELNS1_3repE0EEENS1_30default_config_static_selectorELNS0_4arch9wavefront6targetE1EEEvT1_,comdat
.Lfunc_end731:
	.size	_ZN7rocprim17ROCPRIM_400000_NS6detail17trampoline_kernelINS0_14default_configENS1_20scan_config_selectorIiEEZZNS1_9scan_implILNS1_25lookback_scan_determinismE0ELb1ELb1ES3_N6thrust23THRUST_200600_302600_NS6detail15normal_iteratorINS9_10device_ptrIiEEEESE_iNS9_4plusIiEEiEEDaPvRmT3_T4_T5_mT6_P12ihipStream_tbENKUlT_T0_E_clISt17integral_constantIbLb0EEST_IbLb1EEEEDaSP_SQ_EUlSP_E0_NS1_11comp_targetILNS1_3genE8ELNS1_11target_archE1030ELNS1_3gpuE2ELNS1_3repE0EEENS1_30default_config_static_selectorELNS0_4arch9wavefront6targetE1EEEvT1_, .Lfunc_end731-_ZN7rocprim17ROCPRIM_400000_NS6detail17trampoline_kernelINS0_14default_configENS1_20scan_config_selectorIiEEZZNS1_9scan_implILNS1_25lookback_scan_determinismE0ELb1ELb1ES3_N6thrust23THRUST_200600_302600_NS6detail15normal_iteratorINS9_10device_ptrIiEEEESE_iNS9_4plusIiEEiEEDaPvRmT3_T4_T5_mT6_P12ihipStream_tbENKUlT_T0_E_clISt17integral_constantIbLb0EEST_IbLb1EEEEDaSP_SQ_EUlSP_E0_NS1_11comp_targetILNS1_3genE8ELNS1_11target_archE1030ELNS1_3gpuE2ELNS1_3repE0EEENS1_30default_config_static_selectorELNS0_4arch9wavefront6targetE1EEEvT1_
                                        ; -- End function
	.section	.AMDGPU.csdata,"",@progbits
; Kernel info:
; codeLenInByte = 0
; NumSgprs: 4
; NumVgprs: 0
; NumAgprs: 0
; TotalNumVgprs: 0
; ScratchSize: 0
; MemoryBound: 0
; FloatMode: 240
; IeeeMode: 1
; LDSByteSize: 0 bytes/workgroup (compile time only)
; SGPRBlocks: 0
; VGPRBlocks: 0
; NumSGPRsForWavesPerEU: 4
; NumVGPRsForWavesPerEU: 1
; AccumOffset: 4
; Occupancy: 8
; WaveLimiterHint : 0
; COMPUTE_PGM_RSRC2:SCRATCH_EN: 0
; COMPUTE_PGM_RSRC2:USER_SGPR: 6
; COMPUTE_PGM_RSRC2:TRAP_HANDLER: 0
; COMPUTE_PGM_RSRC2:TGID_X_EN: 1
; COMPUTE_PGM_RSRC2:TGID_Y_EN: 0
; COMPUTE_PGM_RSRC2:TGID_Z_EN: 0
; COMPUTE_PGM_RSRC2:TIDIG_COMP_CNT: 0
; COMPUTE_PGM_RSRC3_GFX90A:ACCUM_OFFSET: 0
; COMPUTE_PGM_RSRC3_GFX90A:TG_SPLIT: 0
	.section	.text._ZN7rocprim17ROCPRIM_400000_NS6detail17trampoline_kernelINS0_14default_configENS1_20scan_config_selectorIiEEZZNS1_9scan_implILNS1_25lookback_scan_determinismE0ELb0ELb1ES3_N6thrust23THRUST_200600_302600_NS6detail15normal_iteratorINS9_10device_ptrIiEEEESE_iNS9_4plusIiEEiEEDaPvRmT3_T4_T5_mT6_P12ihipStream_tbENKUlT_T0_E_clISt17integral_constantIbLb0EESU_EEDaSP_SQ_EUlSP_E_NS1_11comp_targetILNS1_3genE0ELNS1_11target_archE4294967295ELNS1_3gpuE0ELNS1_3repE0EEENS1_30default_config_static_selectorELNS0_4arch9wavefront6targetE1EEEvT1_,"axG",@progbits,_ZN7rocprim17ROCPRIM_400000_NS6detail17trampoline_kernelINS0_14default_configENS1_20scan_config_selectorIiEEZZNS1_9scan_implILNS1_25lookback_scan_determinismE0ELb0ELb1ES3_N6thrust23THRUST_200600_302600_NS6detail15normal_iteratorINS9_10device_ptrIiEEEESE_iNS9_4plusIiEEiEEDaPvRmT3_T4_T5_mT6_P12ihipStream_tbENKUlT_T0_E_clISt17integral_constantIbLb0EESU_EEDaSP_SQ_EUlSP_E_NS1_11comp_targetILNS1_3genE0ELNS1_11target_archE4294967295ELNS1_3gpuE0ELNS1_3repE0EEENS1_30default_config_static_selectorELNS0_4arch9wavefront6targetE1EEEvT1_,comdat
	.protected	_ZN7rocprim17ROCPRIM_400000_NS6detail17trampoline_kernelINS0_14default_configENS1_20scan_config_selectorIiEEZZNS1_9scan_implILNS1_25lookback_scan_determinismE0ELb0ELb1ES3_N6thrust23THRUST_200600_302600_NS6detail15normal_iteratorINS9_10device_ptrIiEEEESE_iNS9_4plusIiEEiEEDaPvRmT3_T4_T5_mT6_P12ihipStream_tbENKUlT_T0_E_clISt17integral_constantIbLb0EESU_EEDaSP_SQ_EUlSP_E_NS1_11comp_targetILNS1_3genE0ELNS1_11target_archE4294967295ELNS1_3gpuE0ELNS1_3repE0EEENS1_30default_config_static_selectorELNS0_4arch9wavefront6targetE1EEEvT1_ ; -- Begin function _ZN7rocprim17ROCPRIM_400000_NS6detail17trampoline_kernelINS0_14default_configENS1_20scan_config_selectorIiEEZZNS1_9scan_implILNS1_25lookback_scan_determinismE0ELb0ELb1ES3_N6thrust23THRUST_200600_302600_NS6detail15normal_iteratorINS9_10device_ptrIiEEEESE_iNS9_4plusIiEEiEEDaPvRmT3_T4_T5_mT6_P12ihipStream_tbENKUlT_T0_E_clISt17integral_constantIbLb0EESU_EEDaSP_SQ_EUlSP_E_NS1_11comp_targetILNS1_3genE0ELNS1_11target_archE4294967295ELNS1_3gpuE0ELNS1_3repE0EEENS1_30default_config_static_selectorELNS0_4arch9wavefront6targetE1EEEvT1_
	.globl	_ZN7rocprim17ROCPRIM_400000_NS6detail17trampoline_kernelINS0_14default_configENS1_20scan_config_selectorIiEEZZNS1_9scan_implILNS1_25lookback_scan_determinismE0ELb0ELb1ES3_N6thrust23THRUST_200600_302600_NS6detail15normal_iteratorINS9_10device_ptrIiEEEESE_iNS9_4plusIiEEiEEDaPvRmT3_T4_T5_mT6_P12ihipStream_tbENKUlT_T0_E_clISt17integral_constantIbLb0EESU_EEDaSP_SQ_EUlSP_E_NS1_11comp_targetILNS1_3genE0ELNS1_11target_archE4294967295ELNS1_3gpuE0ELNS1_3repE0EEENS1_30default_config_static_selectorELNS0_4arch9wavefront6targetE1EEEvT1_
	.p2align	8
	.type	_ZN7rocprim17ROCPRIM_400000_NS6detail17trampoline_kernelINS0_14default_configENS1_20scan_config_selectorIiEEZZNS1_9scan_implILNS1_25lookback_scan_determinismE0ELb0ELb1ES3_N6thrust23THRUST_200600_302600_NS6detail15normal_iteratorINS9_10device_ptrIiEEEESE_iNS9_4plusIiEEiEEDaPvRmT3_T4_T5_mT6_P12ihipStream_tbENKUlT_T0_E_clISt17integral_constantIbLb0EESU_EEDaSP_SQ_EUlSP_E_NS1_11comp_targetILNS1_3genE0ELNS1_11target_archE4294967295ELNS1_3gpuE0ELNS1_3repE0EEENS1_30default_config_static_selectorELNS0_4arch9wavefront6targetE1EEEvT1_,@function
_ZN7rocprim17ROCPRIM_400000_NS6detail17trampoline_kernelINS0_14default_configENS1_20scan_config_selectorIiEEZZNS1_9scan_implILNS1_25lookback_scan_determinismE0ELb0ELb1ES3_N6thrust23THRUST_200600_302600_NS6detail15normal_iteratorINS9_10device_ptrIiEEEESE_iNS9_4plusIiEEiEEDaPvRmT3_T4_T5_mT6_P12ihipStream_tbENKUlT_T0_E_clISt17integral_constantIbLb0EESU_EEDaSP_SQ_EUlSP_E_NS1_11comp_targetILNS1_3genE0ELNS1_11target_archE4294967295ELNS1_3gpuE0ELNS1_3repE0EEENS1_30default_config_static_selectorELNS0_4arch9wavefront6targetE1EEEvT1_: ; @_ZN7rocprim17ROCPRIM_400000_NS6detail17trampoline_kernelINS0_14default_configENS1_20scan_config_selectorIiEEZZNS1_9scan_implILNS1_25lookback_scan_determinismE0ELb0ELb1ES3_N6thrust23THRUST_200600_302600_NS6detail15normal_iteratorINS9_10device_ptrIiEEEESE_iNS9_4plusIiEEiEEDaPvRmT3_T4_T5_mT6_P12ihipStream_tbENKUlT_T0_E_clISt17integral_constantIbLb0EESU_EEDaSP_SQ_EUlSP_E_NS1_11comp_targetILNS1_3genE0ELNS1_11target_archE4294967295ELNS1_3gpuE0ELNS1_3repE0EEENS1_30default_config_static_selectorELNS0_4arch9wavefront6targetE1EEEvT1_
; %bb.0:
	.section	.rodata,"a",@progbits
	.p2align	6, 0x0
	.amdhsa_kernel _ZN7rocprim17ROCPRIM_400000_NS6detail17trampoline_kernelINS0_14default_configENS1_20scan_config_selectorIiEEZZNS1_9scan_implILNS1_25lookback_scan_determinismE0ELb0ELb1ES3_N6thrust23THRUST_200600_302600_NS6detail15normal_iteratorINS9_10device_ptrIiEEEESE_iNS9_4plusIiEEiEEDaPvRmT3_T4_T5_mT6_P12ihipStream_tbENKUlT_T0_E_clISt17integral_constantIbLb0EESU_EEDaSP_SQ_EUlSP_E_NS1_11comp_targetILNS1_3genE0ELNS1_11target_archE4294967295ELNS1_3gpuE0ELNS1_3repE0EEENS1_30default_config_static_selectorELNS0_4arch9wavefront6targetE1EEEvT1_
		.amdhsa_group_segment_fixed_size 0
		.amdhsa_private_segment_fixed_size 0
		.amdhsa_kernarg_size 96
		.amdhsa_user_sgpr_count 6
		.amdhsa_user_sgpr_private_segment_buffer 1
		.amdhsa_user_sgpr_dispatch_ptr 0
		.amdhsa_user_sgpr_queue_ptr 0
		.amdhsa_user_sgpr_kernarg_segment_ptr 1
		.amdhsa_user_sgpr_dispatch_id 0
		.amdhsa_user_sgpr_flat_scratch_init 0
		.amdhsa_user_sgpr_kernarg_preload_length 0
		.amdhsa_user_sgpr_kernarg_preload_offset 0
		.amdhsa_user_sgpr_private_segment_size 0
		.amdhsa_uses_dynamic_stack 0
		.amdhsa_system_sgpr_private_segment_wavefront_offset 0
		.amdhsa_system_sgpr_workgroup_id_x 1
		.amdhsa_system_sgpr_workgroup_id_y 0
		.amdhsa_system_sgpr_workgroup_id_z 0
		.amdhsa_system_sgpr_workgroup_info 0
		.amdhsa_system_vgpr_workitem_id 0
		.amdhsa_next_free_vgpr 1
		.amdhsa_next_free_sgpr 0
		.amdhsa_accum_offset 4
		.amdhsa_reserve_vcc 0
		.amdhsa_reserve_flat_scratch 0
		.amdhsa_float_round_mode_32 0
		.amdhsa_float_round_mode_16_64 0
		.amdhsa_float_denorm_mode_32 3
		.amdhsa_float_denorm_mode_16_64 3
		.amdhsa_dx10_clamp 1
		.amdhsa_ieee_mode 1
		.amdhsa_fp16_overflow 0
		.amdhsa_tg_split 0
		.amdhsa_exception_fp_ieee_invalid_op 0
		.amdhsa_exception_fp_denorm_src 0
		.amdhsa_exception_fp_ieee_div_zero 0
		.amdhsa_exception_fp_ieee_overflow 0
		.amdhsa_exception_fp_ieee_underflow 0
		.amdhsa_exception_fp_ieee_inexact 0
		.amdhsa_exception_int_div_zero 0
	.end_amdhsa_kernel
	.section	.text._ZN7rocprim17ROCPRIM_400000_NS6detail17trampoline_kernelINS0_14default_configENS1_20scan_config_selectorIiEEZZNS1_9scan_implILNS1_25lookback_scan_determinismE0ELb0ELb1ES3_N6thrust23THRUST_200600_302600_NS6detail15normal_iteratorINS9_10device_ptrIiEEEESE_iNS9_4plusIiEEiEEDaPvRmT3_T4_T5_mT6_P12ihipStream_tbENKUlT_T0_E_clISt17integral_constantIbLb0EESU_EEDaSP_SQ_EUlSP_E_NS1_11comp_targetILNS1_3genE0ELNS1_11target_archE4294967295ELNS1_3gpuE0ELNS1_3repE0EEENS1_30default_config_static_selectorELNS0_4arch9wavefront6targetE1EEEvT1_,"axG",@progbits,_ZN7rocprim17ROCPRIM_400000_NS6detail17trampoline_kernelINS0_14default_configENS1_20scan_config_selectorIiEEZZNS1_9scan_implILNS1_25lookback_scan_determinismE0ELb0ELb1ES3_N6thrust23THRUST_200600_302600_NS6detail15normal_iteratorINS9_10device_ptrIiEEEESE_iNS9_4plusIiEEiEEDaPvRmT3_T4_T5_mT6_P12ihipStream_tbENKUlT_T0_E_clISt17integral_constantIbLb0EESU_EEDaSP_SQ_EUlSP_E_NS1_11comp_targetILNS1_3genE0ELNS1_11target_archE4294967295ELNS1_3gpuE0ELNS1_3repE0EEENS1_30default_config_static_selectorELNS0_4arch9wavefront6targetE1EEEvT1_,comdat
.Lfunc_end732:
	.size	_ZN7rocprim17ROCPRIM_400000_NS6detail17trampoline_kernelINS0_14default_configENS1_20scan_config_selectorIiEEZZNS1_9scan_implILNS1_25lookback_scan_determinismE0ELb0ELb1ES3_N6thrust23THRUST_200600_302600_NS6detail15normal_iteratorINS9_10device_ptrIiEEEESE_iNS9_4plusIiEEiEEDaPvRmT3_T4_T5_mT6_P12ihipStream_tbENKUlT_T0_E_clISt17integral_constantIbLb0EESU_EEDaSP_SQ_EUlSP_E_NS1_11comp_targetILNS1_3genE0ELNS1_11target_archE4294967295ELNS1_3gpuE0ELNS1_3repE0EEENS1_30default_config_static_selectorELNS0_4arch9wavefront6targetE1EEEvT1_, .Lfunc_end732-_ZN7rocprim17ROCPRIM_400000_NS6detail17trampoline_kernelINS0_14default_configENS1_20scan_config_selectorIiEEZZNS1_9scan_implILNS1_25lookback_scan_determinismE0ELb0ELb1ES3_N6thrust23THRUST_200600_302600_NS6detail15normal_iteratorINS9_10device_ptrIiEEEESE_iNS9_4plusIiEEiEEDaPvRmT3_T4_T5_mT6_P12ihipStream_tbENKUlT_T0_E_clISt17integral_constantIbLb0EESU_EEDaSP_SQ_EUlSP_E_NS1_11comp_targetILNS1_3genE0ELNS1_11target_archE4294967295ELNS1_3gpuE0ELNS1_3repE0EEENS1_30default_config_static_selectorELNS0_4arch9wavefront6targetE1EEEvT1_
                                        ; -- End function
	.section	.AMDGPU.csdata,"",@progbits
; Kernel info:
; codeLenInByte = 0
; NumSgprs: 4
; NumVgprs: 0
; NumAgprs: 0
; TotalNumVgprs: 0
; ScratchSize: 0
; MemoryBound: 0
; FloatMode: 240
; IeeeMode: 1
; LDSByteSize: 0 bytes/workgroup (compile time only)
; SGPRBlocks: 0
; VGPRBlocks: 0
; NumSGPRsForWavesPerEU: 4
; NumVGPRsForWavesPerEU: 1
; AccumOffset: 4
; Occupancy: 8
; WaveLimiterHint : 0
; COMPUTE_PGM_RSRC2:SCRATCH_EN: 0
; COMPUTE_PGM_RSRC2:USER_SGPR: 6
; COMPUTE_PGM_RSRC2:TRAP_HANDLER: 0
; COMPUTE_PGM_RSRC2:TGID_X_EN: 1
; COMPUTE_PGM_RSRC2:TGID_Y_EN: 0
; COMPUTE_PGM_RSRC2:TGID_Z_EN: 0
; COMPUTE_PGM_RSRC2:TIDIG_COMP_CNT: 0
; COMPUTE_PGM_RSRC3_GFX90A:ACCUM_OFFSET: 0
; COMPUTE_PGM_RSRC3_GFX90A:TG_SPLIT: 0
	.section	.text._ZN7rocprim17ROCPRIM_400000_NS6detail17trampoline_kernelINS0_14default_configENS1_20scan_config_selectorIiEEZZNS1_9scan_implILNS1_25lookback_scan_determinismE0ELb0ELb1ES3_N6thrust23THRUST_200600_302600_NS6detail15normal_iteratorINS9_10device_ptrIiEEEESE_iNS9_4plusIiEEiEEDaPvRmT3_T4_T5_mT6_P12ihipStream_tbENKUlT_T0_E_clISt17integral_constantIbLb0EESU_EEDaSP_SQ_EUlSP_E_NS1_11comp_targetILNS1_3genE5ELNS1_11target_archE942ELNS1_3gpuE9ELNS1_3repE0EEENS1_30default_config_static_selectorELNS0_4arch9wavefront6targetE1EEEvT1_,"axG",@progbits,_ZN7rocprim17ROCPRIM_400000_NS6detail17trampoline_kernelINS0_14default_configENS1_20scan_config_selectorIiEEZZNS1_9scan_implILNS1_25lookback_scan_determinismE0ELb0ELb1ES3_N6thrust23THRUST_200600_302600_NS6detail15normal_iteratorINS9_10device_ptrIiEEEESE_iNS9_4plusIiEEiEEDaPvRmT3_T4_T5_mT6_P12ihipStream_tbENKUlT_T0_E_clISt17integral_constantIbLb0EESU_EEDaSP_SQ_EUlSP_E_NS1_11comp_targetILNS1_3genE5ELNS1_11target_archE942ELNS1_3gpuE9ELNS1_3repE0EEENS1_30default_config_static_selectorELNS0_4arch9wavefront6targetE1EEEvT1_,comdat
	.protected	_ZN7rocprim17ROCPRIM_400000_NS6detail17trampoline_kernelINS0_14default_configENS1_20scan_config_selectorIiEEZZNS1_9scan_implILNS1_25lookback_scan_determinismE0ELb0ELb1ES3_N6thrust23THRUST_200600_302600_NS6detail15normal_iteratorINS9_10device_ptrIiEEEESE_iNS9_4plusIiEEiEEDaPvRmT3_T4_T5_mT6_P12ihipStream_tbENKUlT_T0_E_clISt17integral_constantIbLb0EESU_EEDaSP_SQ_EUlSP_E_NS1_11comp_targetILNS1_3genE5ELNS1_11target_archE942ELNS1_3gpuE9ELNS1_3repE0EEENS1_30default_config_static_selectorELNS0_4arch9wavefront6targetE1EEEvT1_ ; -- Begin function _ZN7rocprim17ROCPRIM_400000_NS6detail17trampoline_kernelINS0_14default_configENS1_20scan_config_selectorIiEEZZNS1_9scan_implILNS1_25lookback_scan_determinismE0ELb0ELb1ES3_N6thrust23THRUST_200600_302600_NS6detail15normal_iteratorINS9_10device_ptrIiEEEESE_iNS9_4plusIiEEiEEDaPvRmT3_T4_T5_mT6_P12ihipStream_tbENKUlT_T0_E_clISt17integral_constantIbLb0EESU_EEDaSP_SQ_EUlSP_E_NS1_11comp_targetILNS1_3genE5ELNS1_11target_archE942ELNS1_3gpuE9ELNS1_3repE0EEENS1_30default_config_static_selectorELNS0_4arch9wavefront6targetE1EEEvT1_
	.globl	_ZN7rocprim17ROCPRIM_400000_NS6detail17trampoline_kernelINS0_14default_configENS1_20scan_config_selectorIiEEZZNS1_9scan_implILNS1_25lookback_scan_determinismE0ELb0ELb1ES3_N6thrust23THRUST_200600_302600_NS6detail15normal_iteratorINS9_10device_ptrIiEEEESE_iNS9_4plusIiEEiEEDaPvRmT3_T4_T5_mT6_P12ihipStream_tbENKUlT_T0_E_clISt17integral_constantIbLb0EESU_EEDaSP_SQ_EUlSP_E_NS1_11comp_targetILNS1_3genE5ELNS1_11target_archE942ELNS1_3gpuE9ELNS1_3repE0EEENS1_30default_config_static_selectorELNS0_4arch9wavefront6targetE1EEEvT1_
	.p2align	8
	.type	_ZN7rocprim17ROCPRIM_400000_NS6detail17trampoline_kernelINS0_14default_configENS1_20scan_config_selectorIiEEZZNS1_9scan_implILNS1_25lookback_scan_determinismE0ELb0ELb1ES3_N6thrust23THRUST_200600_302600_NS6detail15normal_iteratorINS9_10device_ptrIiEEEESE_iNS9_4plusIiEEiEEDaPvRmT3_T4_T5_mT6_P12ihipStream_tbENKUlT_T0_E_clISt17integral_constantIbLb0EESU_EEDaSP_SQ_EUlSP_E_NS1_11comp_targetILNS1_3genE5ELNS1_11target_archE942ELNS1_3gpuE9ELNS1_3repE0EEENS1_30default_config_static_selectorELNS0_4arch9wavefront6targetE1EEEvT1_,@function
_ZN7rocprim17ROCPRIM_400000_NS6detail17trampoline_kernelINS0_14default_configENS1_20scan_config_selectorIiEEZZNS1_9scan_implILNS1_25lookback_scan_determinismE0ELb0ELb1ES3_N6thrust23THRUST_200600_302600_NS6detail15normal_iteratorINS9_10device_ptrIiEEEESE_iNS9_4plusIiEEiEEDaPvRmT3_T4_T5_mT6_P12ihipStream_tbENKUlT_T0_E_clISt17integral_constantIbLb0EESU_EEDaSP_SQ_EUlSP_E_NS1_11comp_targetILNS1_3genE5ELNS1_11target_archE942ELNS1_3gpuE9ELNS1_3repE0EEENS1_30default_config_static_selectorELNS0_4arch9wavefront6targetE1EEEvT1_: ; @_ZN7rocprim17ROCPRIM_400000_NS6detail17trampoline_kernelINS0_14default_configENS1_20scan_config_selectorIiEEZZNS1_9scan_implILNS1_25lookback_scan_determinismE0ELb0ELb1ES3_N6thrust23THRUST_200600_302600_NS6detail15normal_iteratorINS9_10device_ptrIiEEEESE_iNS9_4plusIiEEiEEDaPvRmT3_T4_T5_mT6_P12ihipStream_tbENKUlT_T0_E_clISt17integral_constantIbLb0EESU_EEDaSP_SQ_EUlSP_E_NS1_11comp_targetILNS1_3genE5ELNS1_11target_archE942ELNS1_3gpuE9ELNS1_3repE0EEENS1_30default_config_static_selectorELNS0_4arch9wavefront6targetE1EEEvT1_
; %bb.0:
	.section	.rodata,"a",@progbits
	.p2align	6, 0x0
	.amdhsa_kernel _ZN7rocprim17ROCPRIM_400000_NS6detail17trampoline_kernelINS0_14default_configENS1_20scan_config_selectorIiEEZZNS1_9scan_implILNS1_25lookback_scan_determinismE0ELb0ELb1ES3_N6thrust23THRUST_200600_302600_NS6detail15normal_iteratorINS9_10device_ptrIiEEEESE_iNS9_4plusIiEEiEEDaPvRmT3_T4_T5_mT6_P12ihipStream_tbENKUlT_T0_E_clISt17integral_constantIbLb0EESU_EEDaSP_SQ_EUlSP_E_NS1_11comp_targetILNS1_3genE5ELNS1_11target_archE942ELNS1_3gpuE9ELNS1_3repE0EEENS1_30default_config_static_selectorELNS0_4arch9wavefront6targetE1EEEvT1_
		.amdhsa_group_segment_fixed_size 0
		.amdhsa_private_segment_fixed_size 0
		.amdhsa_kernarg_size 96
		.amdhsa_user_sgpr_count 6
		.amdhsa_user_sgpr_private_segment_buffer 1
		.amdhsa_user_sgpr_dispatch_ptr 0
		.amdhsa_user_sgpr_queue_ptr 0
		.amdhsa_user_sgpr_kernarg_segment_ptr 1
		.amdhsa_user_sgpr_dispatch_id 0
		.amdhsa_user_sgpr_flat_scratch_init 0
		.amdhsa_user_sgpr_kernarg_preload_length 0
		.amdhsa_user_sgpr_kernarg_preload_offset 0
		.amdhsa_user_sgpr_private_segment_size 0
		.amdhsa_uses_dynamic_stack 0
		.amdhsa_system_sgpr_private_segment_wavefront_offset 0
		.amdhsa_system_sgpr_workgroup_id_x 1
		.amdhsa_system_sgpr_workgroup_id_y 0
		.amdhsa_system_sgpr_workgroup_id_z 0
		.amdhsa_system_sgpr_workgroup_info 0
		.amdhsa_system_vgpr_workitem_id 0
		.amdhsa_next_free_vgpr 1
		.amdhsa_next_free_sgpr 0
		.amdhsa_accum_offset 4
		.amdhsa_reserve_vcc 0
		.amdhsa_reserve_flat_scratch 0
		.amdhsa_float_round_mode_32 0
		.amdhsa_float_round_mode_16_64 0
		.amdhsa_float_denorm_mode_32 3
		.amdhsa_float_denorm_mode_16_64 3
		.amdhsa_dx10_clamp 1
		.amdhsa_ieee_mode 1
		.amdhsa_fp16_overflow 0
		.amdhsa_tg_split 0
		.amdhsa_exception_fp_ieee_invalid_op 0
		.amdhsa_exception_fp_denorm_src 0
		.amdhsa_exception_fp_ieee_div_zero 0
		.amdhsa_exception_fp_ieee_overflow 0
		.amdhsa_exception_fp_ieee_underflow 0
		.amdhsa_exception_fp_ieee_inexact 0
		.amdhsa_exception_int_div_zero 0
	.end_amdhsa_kernel
	.section	.text._ZN7rocprim17ROCPRIM_400000_NS6detail17trampoline_kernelINS0_14default_configENS1_20scan_config_selectorIiEEZZNS1_9scan_implILNS1_25lookback_scan_determinismE0ELb0ELb1ES3_N6thrust23THRUST_200600_302600_NS6detail15normal_iteratorINS9_10device_ptrIiEEEESE_iNS9_4plusIiEEiEEDaPvRmT3_T4_T5_mT6_P12ihipStream_tbENKUlT_T0_E_clISt17integral_constantIbLb0EESU_EEDaSP_SQ_EUlSP_E_NS1_11comp_targetILNS1_3genE5ELNS1_11target_archE942ELNS1_3gpuE9ELNS1_3repE0EEENS1_30default_config_static_selectorELNS0_4arch9wavefront6targetE1EEEvT1_,"axG",@progbits,_ZN7rocprim17ROCPRIM_400000_NS6detail17trampoline_kernelINS0_14default_configENS1_20scan_config_selectorIiEEZZNS1_9scan_implILNS1_25lookback_scan_determinismE0ELb0ELb1ES3_N6thrust23THRUST_200600_302600_NS6detail15normal_iteratorINS9_10device_ptrIiEEEESE_iNS9_4plusIiEEiEEDaPvRmT3_T4_T5_mT6_P12ihipStream_tbENKUlT_T0_E_clISt17integral_constantIbLb0EESU_EEDaSP_SQ_EUlSP_E_NS1_11comp_targetILNS1_3genE5ELNS1_11target_archE942ELNS1_3gpuE9ELNS1_3repE0EEENS1_30default_config_static_selectorELNS0_4arch9wavefront6targetE1EEEvT1_,comdat
.Lfunc_end733:
	.size	_ZN7rocprim17ROCPRIM_400000_NS6detail17trampoline_kernelINS0_14default_configENS1_20scan_config_selectorIiEEZZNS1_9scan_implILNS1_25lookback_scan_determinismE0ELb0ELb1ES3_N6thrust23THRUST_200600_302600_NS6detail15normal_iteratorINS9_10device_ptrIiEEEESE_iNS9_4plusIiEEiEEDaPvRmT3_T4_T5_mT6_P12ihipStream_tbENKUlT_T0_E_clISt17integral_constantIbLb0EESU_EEDaSP_SQ_EUlSP_E_NS1_11comp_targetILNS1_3genE5ELNS1_11target_archE942ELNS1_3gpuE9ELNS1_3repE0EEENS1_30default_config_static_selectorELNS0_4arch9wavefront6targetE1EEEvT1_, .Lfunc_end733-_ZN7rocprim17ROCPRIM_400000_NS6detail17trampoline_kernelINS0_14default_configENS1_20scan_config_selectorIiEEZZNS1_9scan_implILNS1_25lookback_scan_determinismE0ELb0ELb1ES3_N6thrust23THRUST_200600_302600_NS6detail15normal_iteratorINS9_10device_ptrIiEEEESE_iNS9_4plusIiEEiEEDaPvRmT3_T4_T5_mT6_P12ihipStream_tbENKUlT_T0_E_clISt17integral_constantIbLb0EESU_EEDaSP_SQ_EUlSP_E_NS1_11comp_targetILNS1_3genE5ELNS1_11target_archE942ELNS1_3gpuE9ELNS1_3repE0EEENS1_30default_config_static_selectorELNS0_4arch9wavefront6targetE1EEEvT1_
                                        ; -- End function
	.section	.AMDGPU.csdata,"",@progbits
; Kernel info:
; codeLenInByte = 0
; NumSgprs: 4
; NumVgprs: 0
; NumAgprs: 0
; TotalNumVgprs: 0
; ScratchSize: 0
; MemoryBound: 0
; FloatMode: 240
; IeeeMode: 1
; LDSByteSize: 0 bytes/workgroup (compile time only)
; SGPRBlocks: 0
; VGPRBlocks: 0
; NumSGPRsForWavesPerEU: 4
; NumVGPRsForWavesPerEU: 1
; AccumOffset: 4
; Occupancy: 8
; WaveLimiterHint : 0
; COMPUTE_PGM_RSRC2:SCRATCH_EN: 0
; COMPUTE_PGM_RSRC2:USER_SGPR: 6
; COMPUTE_PGM_RSRC2:TRAP_HANDLER: 0
; COMPUTE_PGM_RSRC2:TGID_X_EN: 1
; COMPUTE_PGM_RSRC2:TGID_Y_EN: 0
; COMPUTE_PGM_RSRC2:TGID_Z_EN: 0
; COMPUTE_PGM_RSRC2:TIDIG_COMP_CNT: 0
; COMPUTE_PGM_RSRC3_GFX90A:ACCUM_OFFSET: 0
; COMPUTE_PGM_RSRC3_GFX90A:TG_SPLIT: 0
	.section	.text._ZN7rocprim17ROCPRIM_400000_NS6detail17trampoline_kernelINS0_14default_configENS1_20scan_config_selectorIiEEZZNS1_9scan_implILNS1_25lookback_scan_determinismE0ELb0ELb1ES3_N6thrust23THRUST_200600_302600_NS6detail15normal_iteratorINS9_10device_ptrIiEEEESE_iNS9_4plusIiEEiEEDaPvRmT3_T4_T5_mT6_P12ihipStream_tbENKUlT_T0_E_clISt17integral_constantIbLb0EESU_EEDaSP_SQ_EUlSP_E_NS1_11comp_targetILNS1_3genE4ELNS1_11target_archE910ELNS1_3gpuE8ELNS1_3repE0EEENS1_30default_config_static_selectorELNS0_4arch9wavefront6targetE1EEEvT1_,"axG",@progbits,_ZN7rocprim17ROCPRIM_400000_NS6detail17trampoline_kernelINS0_14default_configENS1_20scan_config_selectorIiEEZZNS1_9scan_implILNS1_25lookback_scan_determinismE0ELb0ELb1ES3_N6thrust23THRUST_200600_302600_NS6detail15normal_iteratorINS9_10device_ptrIiEEEESE_iNS9_4plusIiEEiEEDaPvRmT3_T4_T5_mT6_P12ihipStream_tbENKUlT_T0_E_clISt17integral_constantIbLb0EESU_EEDaSP_SQ_EUlSP_E_NS1_11comp_targetILNS1_3genE4ELNS1_11target_archE910ELNS1_3gpuE8ELNS1_3repE0EEENS1_30default_config_static_selectorELNS0_4arch9wavefront6targetE1EEEvT1_,comdat
	.protected	_ZN7rocprim17ROCPRIM_400000_NS6detail17trampoline_kernelINS0_14default_configENS1_20scan_config_selectorIiEEZZNS1_9scan_implILNS1_25lookback_scan_determinismE0ELb0ELb1ES3_N6thrust23THRUST_200600_302600_NS6detail15normal_iteratorINS9_10device_ptrIiEEEESE_iNS9_4plusIiEEiEEDaPvRmT3_T4_T5_mT6_P12ihipStream_tbENKUlT_T0_E_clISt17integral_constantIbLb0EESU_EEDaSP_SQ_EUlSP_E_NS1_11comp_targetILNS1_3genE4ELNS1_11target_archE910ELNS1_3gpuE8ELNS1_3repE0EEENS1_30default_config_static_selectorELNS0_4arch9wavefront6targetE1EEEvT1_ ; -- Begin function _ZN7rocprim17ROCPRIM_400000_NS6detail17trampoline_kernelINS0_14default_configENS1_20scan_config_selectorIiEEZZNS1_9scan_implILNS1_25lookback_scan_determinismE0ELb0ELb1ES3_N6thrust23THRUST_200600_302600_NS6detail15normal_iteratorINS9_10device_ptrIiEEEESE_iNS9_4plusIiEEiEEDaPvRmT3_T4_T5_mT6_P12ihipStream_tbENKUlT_T0_E_clISt17integral_constantIbLb0EESU_EEDaSP_SQ_EUlSP_E_NS1_11comp_targetILNS1_3genE4ELNS1_11target_archE910ELNS1_3gpuE8ELNS1_3repE0EEENS1_30default_config_static_selectorELNS0_4arch9wavefront6targetE1EEEvT1_
	.globl	_ZN7rocprim17ROCPRIM_400000_NS6detail17trampoline_kernelINS0_14default_configENS1_20scan_config_selectorIiEEZZNS1_9scan_implILNS1_25lookback_scan_determinismE0ELb0ELb1ES3_N6thrust23THRUST_200600_302600_NS6detail15normal_iteratorINS9_10device_ptrIiEEEESE_iNS9_4plusIiEEiEEDaPvRmT3_T4_T5_mT6_P12ihipStream_tbENKUlT_T0_E_clISt17integral_constantIbLb0EESU_EEDaSP_SQ_EUlSP_E_NS1_11comp_targetILNS1_3genE4ELNS1_11target_archE910ELNS1_3gpuE8ELNS1_3repE0EEENS1_30default_config_static_selectorELNS0_4arch9wavefront6targetE1EEEvT1_
	.p2align	8
	.type	_ZN7rocprim17ROCPRIM_400000_NS6detail17trampoline_kernelINS0_14default_configENS1_20scan_config_selectorIiEEZZNS1_9scan_implILNS1_25lookback_scan_determinismE0ELb0ELb1ES3_N6thrust23THRUST_200600_302600_NS6detail15normal_iteratorINS9_10device_ptrIiEEEESE_iNS9_4plusIiEEiEEDaPvRmT3_T4_T5_mT6_P12ihipStream_tbENKUlT_T0_E_clISt17integral_constantIbLb0EESU_EEDaSP_SQ_EUlSP_E_NS1_11comp_targetILNS1_3genE4ELNS1_11target_archE910ELNS1_3gpuE8ELNS1_3repE0EEENS1_30default_config_static_selectorELNS0_4arch9wavefront6targetE1EEEvT1_,@function
_ZN7rocprim17ROCPRIM_400000_NS6detail17trampoline_kernelINS0_14default_configENS1_20scan_config_selectorIiEEZZNS1_9scan_implILNS1_25lookback_scan_determinismE0ELb0ELb1ES3_N6thrust23THRUST_200600_302600_NS6detail15normal_iteratorINS9_10device_ptrIiEEEESE_iNS9_4plusIiEEiEEDaPvRmT3_T4_T5_mT6_P12ihipStream_tbENKUlT_T0_E_clISt17integral_constantIbLb0EESU_EEDaSP_SQ_EUlSP_E_NS1_11comp_targetILNS1_3genE4ELNS1_11target_archE910ELNS1_3gpuE8ELNS1_3repE0EEENS1_30default_config_static_selectorELNS0_4arch9wavefront6targetE1EEEvT1_: ; @_ZN7rocprim17ROCPRIM_400000_NS6detail17trampoline_kernelINS0_14default_configENS1_20scan_config_selectorIiEEZZNS1_9scan_implILNS1_25lookback_scan_determinismE0ELb0ELb1ES3_N6thrust23THRUST_200600_302600_NS6detail15normal_iteratorINS9_10device_ptrIiEEEESE_iNS9_4plusIiEEiEEDaPvRmT3_T4_T5_mT6_P12ihipStream_tbENKUlT_T0_E_clISt17integral_constantIbLb0EESU_EEDaSP_SQ_EUlSP_E_NS1_11comp_targetILNS1_3genE4ELNS1_11target_archE910ELNS1_3gpuE8ELNS1_3repE0EEENS1_30default_config_static_selectorELNS0_4arch9wavefront6targetE1EEEvT1_
; %bb.0:
	s_load_dwordx8 s[8:15], s[4:5], 0x0
	s_load_dword s1, s[4:5], 0x30
	s_mul_i32 s0, s6, 0x500
	v_lshlrev_b32_e32 v30, 2, v0
	s_waitcnt lgkmcnt(0)
	s_lshl_b64 s[10:11], s[10:11], 2
	s_add_u32 s2, s8, s10
	s_addc_u32 s3, s9, s11
	s_add_i32 s7, s1, -1
	s_mul_i32 s8, s7, 0x500
	s_sub_u32 s26, s14, s8
	s_subb_u32 s27, s15, 0
	s_mov_b32 s1, 0
	s_cmp_lg_u32 s6, s7
	s_cselect_b64 s[8:9], -1, 0
	s_lshl_b64 s[14:15], s[0:1], 2
	s_add_u32 s2, s2, s14
	s_addc_u32 s3, s3, s15
	s_mov_b64 s[0:1], -1
	s_and_b64 vcc, exec, s[8:9]
	s_cbranch_vccz .LBB734_2
; %bb.1:
	v_mov_b32_e32 v1, s3
	v_add_co_u32_e32 v2, vcc, s2, v30
	v_addc_co_u32_e32 v3, vcc, 0, v1, vcc
	flat_load_dword v1, v[2:3]
	flat_load_dword v4, v[2:3] offset:512
	flat_load_dword v5, v[2:3] offset:1024
	;; [unrolled: 1-line block ×7, first 2 shown]
	v_add_co_u32_e32 v2, vcc, 0x1000, v2
	v_addc_co_u32_e32 v3, vcc, 0, v3, vcc
	flat_load_dword v11, v[2:3]
	flat_load_dword v12, v[2:3] offset:512
	s_mov_b64 s[0:1], 0
	s_waitcnt vmcnt(0) lgkmcnt(0)
	ds_write2st64_b32 v30, v1, v4 offset1:2
	ds_write2st64_b32 v30, v5, v6 offset0:4 offset1:6
	ds_write2st64_b32 v30, v7, v8 offset0:8 offset1:10
	;; [unrolled: 1-line block ×4, first 2 shown]
	s_waitcnt lgkmcnt(0)
	s_barrier
.LBB734_2:
	s_load_dwordx2 s[24:25], s[4:5], 0x28
	s_andn2_b64 vcc, exec, s[0:1]
	v_cmp_gt_u32_e64 s[0:1], s26, v0
	s_cbranch_vccnz .LBB734_24
; %bb.3:
	v_pk_mov_b32 v[2:3], s[2:3], s[2:3] op_sel:[0,1]
	flat_load_dword v1, v[2:3]
	s_waitcnt vmcnt(0) lgkmcnt(0)
	v_mov_b32_e32 v2, v1
	v_mov_b32_e32 v3, v1
	;; [unrolled: 1-line block ×9, first 2 shown]
	s_and_saveexec_b64 s[16:17], s[0:1]
	s_cbranch_execz .LBB734_5
; %bb.4:
	v_mov_b32_e32 v11, s3
	v_add_co_u32_e32 v10, vcc, s2, v30
	v_addc_co_u32_e32 v11, vcc, 0, v11, vcc
	flat_load_dword v10, v[10:11]
.LBB734_5:
	s_or_b64 exec, exec, s[16:17]
	v_or_b32_e32 v11, 0x80, v0
	v_cmp_gt_u32_e32 vcc, s26, v11
	s_and_saveexec_b64 s[0:1], vcc
	s_cbranch_execz .LBB734_7
; %bb.6:
	v_mov_b32_e32 v1, s3
	v_add_co_u32_e32 v12, vcc, s2, v30
	v_addc_co_u32_e32 v13, vcc, 0, v1, vcc
	flat_load_dword v1, v[12:13] offset:512
.LBB734_7:
	s_or_b64 exec, exec, s[0:1]
	v_or_b32_e32 v11, 0x100, v0
	v_cmp_gt_u32_e32 vcc, s26, v11
	s_and_saveexec_b64 s[0:1], vcc
	s_cbranch_execz .LBB734_9
; %bb.8:
	v_mov_b32_e32 v2, s3
	v_add_co_u32_e32 v12, vcc, s2, v30
	v_addc_co_u32_e32 v13, vcc, 0, v2, vcc
	flat_load_dword v2, v[12:13] offset:1024
.LBB734_9:
	;; [unrolled: 11-line block ×7, first 2 shown]
	s_or_b64 exec, exec, s[0:1]
	v_or_b32_e32 v11, 0x400, v0
	v_cmp_gt_u32_e32 vcc, s26, v11
	s_and_saveexec_b64 s[0:1], vcc
	s_cbranch_execz .LBB734_21
; %bb.20:
	v_lshlrev_b32_e32 v8, 2, v11
	v_mov_b32_e32 v11, s3
	v_add_co_u32_e32 v12, vcc, s2, v8
	v_addc_co_u32_e32 v13, vcc, 0, v11, vcc
	flat_load_dword v8, v[12:13]
.LBB734_21:
	s_or_b64 exec, exec, s[0:1]
	v_or_b32_e32 v11, 0x480, v0
	v_cmp_gt_u32_e32 vcc, s26, v11
	s_and_saveexec_b64 s[0:1], vcc
	s_cbranch_execz .LBB734_23
; %bb.22:
	v_lshlrev_b32_e32 v9, 2, v11
	v_mov_b32_e32 v11, s3
	v_add_co_u32_e32 v12, vcc, s2, v9
	v_addc_co_u32_e32 v13, vcc, 0, v11, vcc
	flat_load_dword v9, v[12:13]
.LBB734_23:
	s_or_b64 exec, exec, s[0:1]
	s_waitcnt vmcnt(0) lgkmcnt(0)
	ds_write2st64_b32 v30, v10, v1 offset1:2
	ds_write2st64_b32 v30, v2, v3 offset0:4 offset1:6
	ds_write2st64_b32 v30, v4, v5 offset0:8 offset1:10
	;; [unrolled: 1-line block ×4, first 2 shown]
	s_waitcnt lgkmcnt(0)
	s_barrier
.LBB734_24:
	v_mul_u32_u24_e32 v31, 10, v0
	v_lshlrev_b32_e32 v1, 2, v31
	s_waitcnt lgkmcnt(0)
	ds_read2_b64 v[2:5], v1 offset1:1
	ds_read2_b64 v[24:27], v1 offset0:2 offset1:3
	ds_read_b64 v[28:29], v1 offset:32
	s_cmp_lg_u32 s6, 0
	v_lshrrev_b32_e32 v22, 5, v0
	v_cmp_gt_u32_e32 vcc, 64, v0
	s_waitcnt lgkmcnt(0)
	s_barrier
	s_cbranch_scc0 .LBB734_49
; %bb.25:
	v_add_u32_e32 v6, v3, v2
	v_add3_u32 v6, v6, v4, v5
	v_add3_u32 v6, v6, v24, v25
	;; [unrolled: 1-line block ×4, first 2 shown]
	v_add_lshl_u32 v7, v22, v0, 2
	ds_write_b32 v7, v6
	s_waitcnt lgkmcnt(0)
	s_barrier
	s_and_saveexec_b64 s[2:3], vcc
	s_cbranch_execz .LBB734_27
; %bb.26:
	v_lshlrev_b32_e32 v7, 1, v0
	v_lshrrev_b32_e32 v8, 4, v0
	v_add_lshl_u32 v7, v8, v7, 2
	ds_read2_b32 v[8:9], v7 offset1:1
	v_mbcnt_lo_u32_b32 v10, -1, 0
	v_mbcnt_hi_u32_b32 v10, -1, v10
	v_and_b32_e32 v11, 15, v10
	v_cmp_ne_u32_e64 s[0:1], 0, v11
	s_waitcnt lgkmcnt(0)
	v_add_u32_e32 v9, v9, v8
	; wave barrier
	s_nop 1
	v_mov_b32_dpp v12, v9 row_shr:1 row_mask:0xf bank_mask:0xf
	v_cndmask_b32_e64 v12, 0, v12, s[0:1]
	v_add_u32_e32 v9, v12, v9
	v_cmp_lt_u32_e64 s[0:1], 1, v11
	s_nop 0
	v_mov_b32_dpp v12, v9 row_shr:2 row_mask:0xf bank_mask:0xf
	v_cndmask_b32_e64 v12, 0, v12, s[0:1]
	v_add_u32_e32 v9, v9, v12
	v_cmp_lt_u32_e64 s[0:1], 3, v11
	;; [unrolled: 5-line block ×3, first 2 shown]
	s_nop 0
	v_mov_b32_dpp v12, v9 row_shr:8 row_mask:0xf bank_mask:0xf
	v_cndmask_b32_e64 v11, 0, v12, s[0:1]
	v_add_u32_e32 v9, v9, v11
	v_bfe_i32 v12, v10, 4, 1
	v_cmp_lt_u32_e64 s[0:1], 31, v10
	v_mov_b32_dpp v11, v9 row_bcast:15 row_mask:0xf bank_mask:0xf
	v_and_b32_e32 v11, v12, v11
	v_add_u32_e32 v9, v9, v11
	v_and_b32_e32 v12, 64, v10
	s_nop 0
	v_mov_b32_dpp v11, v9 row_bcast:31 row_mask:0xf bank_mask:0xf
	v_cndmask_b32_e64 v11, 0, v11, s[0:1]
	v_add_u32_e32 v9, v9, v11
	v_add_u32_e32 v11, -1, v10
	v_cmp_lt_i32_e64 s[0:1], v11, v12
	v_cndmask_b32_e64 v10, v11, v10, s[0:1]
	v_lshlrev_b32_e32 v10, 2, v10
	ds_bpermute_b32 v9, v10, v9
	v_cmp_eq_u32_e64 s[0:1], 0, v0
	s_waitcnt lgkmcnt(0)
	v_add_u32_e32 v8, v9, v8
	v_cndmask_b32_e64 v6, v8, v6, s[0:1]
	ds_write_b32 v7, v6
	; wave barrier
	ds_read_b32 v8, v7 offset:4
	s_waitcnt lgkmcnt(0)
	v_add_u32_e32 v6, v8, v6
	ds_write_b32 v7, v6 offset:4
.LBB734_27:
	s_or_b64 exec, exec, s[2:3]
	v_cmp_eq_u32_e64 s[0:1], 0, v0
	v_cmp_ne_u32_e64 s[2:3], 0, v0
	v_mov_b32_e32 v16, 0
	s_waitcnt lgkmcnt(0)
	s_barrier
	s_and_saveexec_b64 s[16:17], s[2:3]
	s_cbranch_execz .LBB734_29
; %bb.28:
	v_add_u32_e32 v6, -1, v0
	v_lshrrev_b32_e32 v7, 5, v6
	v_add_lshl_u32 v6, v7, v6, 2
	ds_read_b32 v16, v6
.LBB734_29:
	s_or_b64 exec, exec, s[16:17]
	s_and_saveexec_b64 s[16:17], vcc
	s_cbranch_execz .LBB734_48
; %bb.30:
	v_mov_b32_e32 v13, 0
	ds_read_b32 v6, v13 offset:520
	v_mbcnt_lo_u32_b32 v7, -1, 0
	v_mbcnt_hi_u32_b32 v9, -1, v7
	s_mov_b32 s21, 0
	v_cmp_eq_u32_e64 s[2:3], 0, v9
	s_and_saveexec_b64 s[18:19], s[2:3]
	s_cbranch_execz .LBB734_32
; %bb.31:
	s_add_i32 s20, s6, 64
	s_lshl_b64 s[20:21], s[20:21], 3
	s_add_u32 s20, s24, s20
	v_mov_b32_e32 v7, 1
	s_addc_u32 s21, s25, s21
	s_waitcnt lgkmcnt(0)
	global_store_dwordx2 v13, v[6:7], s[20:21]
.LBB734_32:
	s_or_b64 exec, exec, s[18:19]
	v_xad_u32 v8, v9, -1, s6
	v_add_u32_e32 v12, 64, v8
	v_lshlrev_b64 v[10:11], 3, v[12:13]
	v_mov_b32_e32 v7, s25
	v_add_co_u32_e32 v14, vcc, s24, v10
	v_addc_co_u32_e32 v15, vcc, v7, v11, vcc
	global_load_dwordx2 v[10:11], v[14:15], off glc
	s_waitcnt vmcnt(0)
	v_cmp_eq_u16_sdwa s[20:21], v11, v13 src0_sel:BYTE_0 src1_sel:DWORD
	s_and_saveexec_b64 s[18:19], s[20:21]
	s_cbranch_execz .LBB734_36
; %bb.33:
	s_mov_b64 s[20:21], 0
	v_mov_b32_e32 v7, 0
.LBB734_34:                             ; =>This Inner Loop Header: Depth=1
	global_load_dwordx2 v[10:11], v[14:15], off glc
	s_waitcnt vmcnt(0)
	v_cmp_ne_u16_sdwa s[22:23], v11, v7 src0_sel:BYTE_0 src1_sel:DWORD
	s_or_b64 s[20:21], s[22:23], s[20:21]
	s_andn2_b64 exec, exec, s[20:21]
	s_cbranch_execnz .LBB734_34
; %bb.35:
	s_or_b64 exec, exec, s[20:21]
.LBB734_36:
	s_or_b64 exec, exec, s[18:19]
	v_and_b32_e32 v17, 63, v9
	v_mov_b32_e32 v7, 2
	v_cmp_ne_u32_e32 vcc, 63, v17
	v_cmp_eq_u16_sdwa s[18:19], v11, v7 src0_sel:BYTE_0 src1_sel:DWORD
	v_lshlrev_b64 v[12:13], v9, -1
	v_addc_co_u32_e32 v18, vcc, 0, v9, vcc
	v_and_b32_e32 v14, s19, v13
	v_lshlrev_b32_e32 v18, 2, v18
	v_or_b32_e32 v14, 0x80000000, v14
	ds_bpermute_b32 v19, v18, v10
	v_and_b32_e32 v15, s18, v12
	v_ffbl_b32_e32 v14, v14
	v_add_u32_e32 v14, 32, v14
	v_ffbl_b32_e32 v15, v15
	v_min_u32_e32 v14, v15, v14
	v_cmp_lt_u32_e32 vcc, v17, v14
	s_waitcnt lgkmcnt(0)
	v_cndmask_b32_e32 v15, 0, v19, vcc
	v_cmp_gt_u32_e32 vcc, 62, v17
	v_add_u32_e32 v10, v15, v10
	v_cndmask_b32_e64 v15, 0, 1, vcc
	v_lshlrev_b32_e32 v15, 1, v15
	v_add_lshl_u32 v19, v15, v9, 2
	ds_bpermute_b32 v15, v19, v10
	v_add_u32_e32 v20, 2, v17
	v_cmp_le_u32_e32 vcc, v20, v14
	v_add_u32_e32 v23, 4, v17
	v_add_u32_e32 v33, 8, v17
	s_waitcnt lgkmcnt(0)
	v_cndmask_b32_e32 v15, 0, v15, vcc
	v_cmp_gt_u32_e32 vcc, 60, v17
	v_add_u32_e32 v10, v10, v15
	v_cndmask_b32_e64 v15, 0, 1, vcc
	v_lshlrev_b32_e32 v15, 2, v15
	v_add_lshl_u32 v21, v15, v9, 2
	ds_bpermute_b32 v15, v21, v10
	v_cmp_le_u32_e32 vcc, v23, v14
	v_add_u32_e32 v36, 16, v17
	v_add_u32_e32 v38, 32, v17
	s_waitcnt lgkmcnt(0)
	v_cndmask_b32_e32 v15, 0, v15, vcc
	v_cmp_gt_u32_e32 vcc, 56, v17
	v_add_u32_e32 v10, v10, v15
	v_cndmask_b32_e64 v15, 0, 1, vcc
	v_lshlrev_b32_e32 v15, 3, v15
	v_add_lshl_u32 v32, v15, v9, 2
	ds_bpermute_b32 v15, v32, v10
	v_cmp_le_u32_e32 vcc, v33, v14
	s_waitcnt lgkmcnt(0)
	v_cndmask_b32_e32 v15, 0, v15, vcc
	v_cmp_gt_u32_e32 vcc, 48, v17
	v_add_u32_e32 v10, v10, v15
	v_cndmask_b32_e64 v15, 0, 1, vcc
	v_lshlrev_b32_e32 v15, 4, v15
	v_add_lshl_u32 v35, v15, v9, 2
	ds_bpermute_b32 v15, v35, v10
	v_cmp_le_u32_e32 vcc, v36, v14
	;; [unrolled: 9-line block ×3, first 2 shown]
	s_waitcnt lgkmcnt(0)
	v_cndmask_b32_e32 v9, 0, v9, vcc
	v_add_u32_e32 v10, v10, v9
	v_mov_b32_e32 v9, 0
	s_branch .LBB734_38
.LBB734_37:                             ;   in Loop: Header=BB734_38 Depth=1
	s_or_b64 exec, exec, s[18:19]
	v_cmp_eq_u16_sdwa s[18:19], v11, v7 src0_sel:BYTE_0 src1_sel:DWORD
	v_and_b32_e32 v14, s19, v13
	v_or_b32_e32 v14, 0x80000000, v14
	ds_bpermute_b32 v39, v18, v10
	v_and_b32_e32 v15, s18, v12
	v_ffbl_b32_e32 v14, v14
	v_add_u32_e32 v14, 32, v14
	v_ffbl_b32_e32 v15, v15
	v_min_u32_e32 v14, v15, v14
	v_cmp_lt_u32_e32 vcc, v17, v14
	s_waitcnt lgkmcnt(0)
	v_cndmask_b32_e32 v15, 0, v39, vcc
	v_add_u32_e32 v10, v15, v10
	ds_bpermute_b32 v15, v19, v10
	v_cmp_le_u32_e32 vcc, v20, v14
	v_subrev_u32_e32 v8, 64, v8
	s_waitcnt lgkmcnt(0)
	v_cndmask_b32_e32 v15, 0, v15, vcc
	v_add_u32_e32 v10, v10, v15
	ds_bpermute_b32 v15, v21, v10
	v_cmp_le_u32_e32 vcc, v23, v14
	s_waitcnt lgkmcnt(0)
	v_cndmask_b32_e32 v15, 0, v15, vcc
	v_add_u32_e32 v10, v10, v15
	ds_bpermute_b32 v15, v32, v10
	v_cmp_le_u32_e32 vcc, v33, v14
	;; [unrolled: 5-line block ×4, first 2 shown]
	s_waitcnt lgkmcnt(0)
	v_cndmask_b32_e32 v14, 0, v15, vcc
	v_add3_u32 v10, v14, v34, v10
.LBB734_38:                             ; =>This Loop Header: Depth=1
                                        ;     Child Loop BB734_41 Depth 2
	v_cmp_ne_u16_sdwa s[18:19], v11, v7 src0_sel:BYTE_0 src1_sel:DWORD
	v_cndmask_b32_e64 v11, 0, 1, s[18:19]
	;;#ASMSTART
	;;#ASMEND
	v_cmp_ne_u32_e32 vcc, 0, v11
	s_cmp_lg_u64 vcc, exec
	v_mov_b32_e32 v34, v10
	s_cbranch_scc1 .LBB734_43
; %bb.39:                               ;   in Loop: Header=BB734_38 Depth=1
	v_lshlrev_b64 v[10:11], 3, v[8:9]
	v_mov_b32_e32 v15, s25
	v_add_co_u32_e32 v14, vcc, s24, v10
	v_addc_co_u32_e32 v15, vcc, v15, v11, vcc
	global_load_dwordx2 v[10:11], v[14:15], off glc
	s_waitcnt vmcnt(0)
	v_cmp_eq_u16_sdwa s[20:21], v11, v9 src0_sel:BYTE_0 src1_sel:DWORD
	s_and_saveexec_b64 s[18:19], s[20:21]
	s_cbranch_execz .LBB734_37
; %bb.40:                               ;   in Loop: Header=BB734_38 Depth=1
	s_mov_b64 s[20:21], 0
.LBB734_41:                             ;   Parent Loop BB734_38 Depth=1
                                        ; =>  This Inner Loop Header: Depth=2
	global_load_dwordx2 v[10:11], v[14:15], off glc
	s_waitcnt vmcnt(0)
	v_cmp_ne_u16_sdwa s[22:23], v11, v9 src0_sel:BYTE_0 src1_sel:DWORD
	s_or_b64 s[20:21], s[22:23], s[20:21]
	s_andn2_b64 exec, exec, s[20:21]
	s_cbranch_execnz .LBB734_41
; %bb.42:                               ;   in Loop: Header=BB734_38 Depth=1
	s_or_b64 exec, exec, s[20:21]
	s_branch .LBB734_37
.LBB734_43:                             ;   in Loop: Header=BB734_38 Depth=1
                                        ; implicit-def: $vgpr10
                                        ; implicit-def: $vgpr11
	s_cbranch_execz .LBB734_38
; %bb.44:
	s_and_saveexec_b64 s[18:19], s[2:3]
	s_cbranch_execz .LBB734_46
; %bb.45:
	s_add_i32 s2, s6, 64
	s_mov_b32 s3, 0
	s_lshl_b64 s[2:3], s[2:3], 3
	s_add_u32 s2, s24, s2
	v_add_u32_e32 v6, v34, v6
	v_mov_b32_e32 v7, 2
	s_addc_u32 s3, s25, s3
	v_mov_b32_e32 v8, 0
	global_store_dwordx2 v8, v[6:7], s[2:3]
.LBB734_46:
	s_or_b64 exec, exec, s[18:19]
	s_and_b64 exec, exec, s[0:1]
	s_cbranch_execz .LBB734_48
; %bb.47:
	v_mov_b32_e32 v6, 0
	ds_write_b32 v6, v34
.LBB734_48:
	s_or_b64 exec, exec, s[16:17]
	v_mov_b32_e32 v6, 0
	s_waitcnt lgkmcnt(0)
	s_barrier
	ds_read_b32 v6, v6
	s_waitcnt lgkmcnt(0)
	v_add3_u32 v12, v16, v2, v6
	v_add_u32_e32 v13, v12, v3
	v_add_u32_e32 v14, v13, v4
	;; [unrolled: 1-line block ×9, first 2 shown]
	s_load_dwordx8 s[16:23], s[4:5], 0x38
	s_branch .LBB734_71
.LBB734_49:
                                        ; implicit-def: $vgpr12_vgpr13_vgpr14_vgpr15_vgpr16_vgpr17_vgpr18_vgpr19_vgpr20_vgpr21
	s_load_dwordx8 s[16:23], s[4:5], 0x38
	s_cbranch_execz .LBB734_71
; %bb.50:
	s_waitcnt lgkmcnt(0)
	s_cmp_lg_u64 s[20:21], 0
	s_cselect_b64 s[28:29], -1, 0
	s_cmp_eq_u64 s[20:21], 0
	v_cmp_eq_u32_e64 s[2:3], 0, v0
	s_cselect_b64 s[6:7], -1, 0
	v_cmp_ne_u32_e64 s[0:1], 0, v0
	s_and_b64 s[28:29], s[2:3], s[28:29]
	s_and_saveexec_b64 s[20:21], s[28:29]
	s_cbranch_execz .LBB734_52
; %bb.51:
	v_mov_b32_e32 v6, 0
	global_load_dword v6, v6, s[16:17]
	s_waitcnt vmcnt(0)
	v_add_u32_e32 v2, v6, v2
.LBB734_52:
	s_or_b64 exec, exec, s[20:21]
	v_add_u32_e32 v34, v3, v2
	v_add_u32_e32 v33, v34, v4
	v_add_u32_e32 v32, v33, v5
	v_add_u32_e32 v6, v32, v24
	v_add_u32_e32 v7, v6, v25
	v_add_u32_e32 v8, v7, v26
	v_add_u32_e32 v9, v8, v27
	v_add_u32_e32 v10, v9, v28
	v_add_u32_e32 v11, v10, v29
	v_add_lshl_u32 v12, v22, v0, 2
	s_andn2_b64 vcc, exec, s[6:7]
	v_cmp_gt_u32_e64 s[6:7], 64, v0
	ds_write_b32 v12, v11
	s_waitcnt lgkmcnt(0)
	s_cbranch_vccnz .LBB734_60
; %bb.53:
	s_barrier
	s_and_saveexec_b64 s[16:17], s[6:7]
	s_cbranch_execz .LBB734_55
; %bb.54:
	v_lshlrev_b32_e32 v12, 1, v0
	v_lshrrev_b32_e32 v13, 4, v0
	v_add_lshl_u32 v14, v13, v12, 2
	ds_read2_b32 v[12:13], v14 offset1:1
	v_mbcnt_lo_u32_b32 v15, -1, 0
	v_mbcnt_hi_u32_b32 v15, -1, v15
	v_and_b32_e32 v16, 15, v15
	v_cmp_ne_u32_e32 vcc, 0, v16
	s_waitcnt lgkmcnt(0)
	v_add_u32_e32 v13, v13, v12
	; wave barrier
	s_nop 1
	v_mov_b32_dpp v17, v13 row_shr:1 row_mask:0xf bank_mask:0xf
	v_cndmask_b32_e32 v17, 0, v17, vcc
	v_add_u32_e32 v13, v17, v13
	v_cmp_lt_u32_e32 vcc, 1, v16
	s_nop 0
	v_mov_b32_dpp v17, v13 row_shr:2 row_mask:0xf bank_mask:0xf
	v_cndmask_b32_e32 v17, 0, v17, vcc
	v_add_u32_e32 v13, v13, v17
	v_cmp_lt_u32_e32 vcc, 3, v16
	;; [unrolled: 5-line block ×3, first 2 shown]
	s_nop 0
	v_mov_b32_dpp v17, v13 row_shr:8 row_mask:0xf bank_mask:0xf
	v_cndmask_b32_e32 v16, 0, v17, vcc
	v_add_u32_e32 v13, v13, v16
	v_bfe_i32 v17, v15, 4, 1
	v_cmp_lt_u32_e32 vcc, 31, v15
	v_mov_b32_dpp v16, v13 row_bcast:15 row_mask:0xf bank_mask:0xf
	v_and_b32_e32 v16, v17, v16
	v_add_u32_e32 v13, v13, v16
	v_and_b32_e32 v17, 64, v15
	s_nop 0
	v_mov_b32_dpp v16, v13 row_bcast:31 row_mask:0xf bank_mask:0xf
	v_cndmask_b32_e32 v16, 0, v16, vcc
	v_add_u32_e32 v13, v13, v16
	v_add_u32_e32 v16, -1, v15
	v_cmp_lt_i32_e32 vcc, v16, v17
	v_cndmask_b32_e32 v15, v16, v15, vcc
	v_lshlrev_b32_e32 v15, 2, v15
	ds_bpermute_b32 v13, v15, v13
	s_waitcnt lgkmcnt(0)
	v_add_u32_e32 v12, v13, v12
	v_cndmask_b32_e64 v12, v12, v11, s[2:3]
	ds_write_b32 v14, v12
	; wave barrier
	ds_read_b32 v13, v14 offset:4
	s_waitcnt lgkmcnt(0)
	v_add_u32_e32 v12, v13, v12
	ds_write_b32 v14, v12 offset:4
.LBB734_55:
	s_or_b64 exec, exec, s[16:17]
	v_mov_b32_e32 v21, v11
	s_waitcnt lgkmcnt(0)
	s_barrier
	s_and_saveexec_b64 s[16:17], s[0:1]
	s_cbranch_execz .LBB734_57
; %bb.56:
	v_add_u32_e32 v12, -1, v0
	v_lshrrev_b32_e32 v13, 5, v12
	v_add_lshl_u32 v12, v13, v12, 2
	ds_read_b32 v21, v12
.LBB734_57:
	s_or_b64 exec, exec, s[16:17]
	s_load_dword s16, s[4:5], 0x20
	v_mov_b32_e32 v12, v10
	v_mov_b32_e32 v13, v9
	;; [unrolled: 1-line block ×9, first 2 shown]
	s_and_saveexec_b64 s[4:5], s[0:1]
	s_cbranch_execz .LBB734_59
; %bb.58:
	s_waitcnt lgkmcnt(0)
	v_add_u32_e32 v14, v21, v2
	v_add_u32_e32 v15, v14, v3
	;; [unrolled: 1-line block ×9, first 2 shown]
	;;#ASMSTART
	;;#ASMEND
.LBB734_59:
	s_or_b64 exec, exec, s[4:5]
	s_waitcnt lgkmcnt(0)
	v_add_u32_e32 v14, s16, v14
	v_add_u32_e32 v15, s16, v15
	;; [unrolled: 1-line block ×10, first 2 shown]
	v_pk_mov_b32 v[12:13], v[14:15], v[14:15] op_sel:[0,1]
	v_pk_mov_b32 v[14:15], v[16:17], v[16:17] op_sel:[0,1]
	;; [unrolled: 1-line block ×5, first 2 shown]
	s_branch .LBB734_68
.LBB734_60:
                                        ; implicit-def: $vgpr23
                                        ; implicit-def: $vgpr12_vgpr13_vgpr14_vgpr15_vgpr16_vgpr17_vgpr18_vgpr19_vgpr20_vgpr21
	s_cbranch_execz .LBB734_68
; %bb.61:
	s_barrier
	s_and_saveexec_b64 s[4:5], s[6:7]
	s_cbranch_execz .LBB734_63
; %bb.62:
	v_lshlrev_b32_e32 v12, 1, v0
	v_lshrrev_b32_e32 v13, 4, v0
	v_add_lshl_u32 v14, v13, v12, 2
	ds_read2_b32 v[12:13], v14 offset1:1
	v_mbcnt_lo_u32_b32 v15, -1, 0
	v_mbcnt_hi_u32_b32 v15, -1, v15
	v_and_b32_e32 v16, 15, v15
	v_cmp_ne_u32_e32 vcc, 0, v16
	s_waitcnt lgkmcnt(0)
	v_add_u32_e32 v13, v13, v12
	; wave barrier
	s_nop 1
	v_mov_b32_dpp v17, v13 row_shr:1 row_mask:0xf bank_mask:0xf
	v_cndmask_b32_e32 v17, 0, v17, vcc
	v_add_u32_e32 v13, v17, v13
	v_cmp_lt_u32_e32 vcc, 1, v16
	s_nop 0
	v_mov_b32_dpp v17, v13 row_shr:2 row_mask:0xf bank_mask:0xf
	v_cndmask_b32_e32 v17, 0, v17, vcc
	v_add_u32_e32 v13, v13, v17
	v_cmp_lt_u32_e32 vcc, 3, v16
	s_nop 0
	v_mov_b32_dpp v17, v13 row_shr:4 row_mask:0xf bank_mask:0xf
	v_cndmask_b32_e32 v17, 0, v17, vcc
	v_add_u32_e32 v13, v13, v17
	v_cmp_lt_u32_e32 vcc, 7, v16
	s_nop 0
	v_mov_b32_dpp v17, v13 row_shr:8 row_mask:0xf bank_mask:0xf
	v_cndmask_b32_e32 v16, 0, v17, vcc
	v_add_u32_e32 v13, v13, v16
	v_bfe_i32 v17, v15, 4, 1
	v_cmp_lt_u32_e32 vcc, 31, v15
	v_mov_b32_dpp v16, v13 row_bcast:15 row_mask:0xf bank_mask:0xf
	v_and_b32_e32 v16, v17, v16
	v_add_u32_e32 v13, v13, v16
	v_and_b32_e32 v17, 64, v15
	s_nop 0
	v_mov_b32_dpp v16, v13 row_bcast:31 row_mask:0xf bank_mask:0xf
	v_cndmask_b32_e32 v16, 0, v16, vcc
	v_add_u32_e32 v13, v13, v16
	v_add_u32_e32 v16, -1, v15
	v_cmp_lt_i32_e32 vcc, v16, v17
	v_cndmask_b32_e32 v15, v16, v15, vcc
	v_lshlrev_b32_e32 v15, 2, v15
	ds_bpermute_b32 v13, v15, v13
	s_waitcnt lgkmcnt(0)
	v_add_u32_e32 v12, v13, v12
	v_cndmask_b32_e64 v12, v12, v11, s[2:3]
	ds_write_b32 v14, v12
	; wave barrier
	ds_read_b32 v13, v14 offset:4
	s_waitcnt lgkmcnt(0)
	v_add_u32_e32 v12, v13, v12
	ds_write_b32 v14, v12 offset:4
.LBB734_63:
	s_or_b64 exec, exec, s[4:5]
	v_mov_b32_e32 v12, v11
	s_waitcnt lgkmcnt(0)
	s_barrier
	s_and_saveexec_b64 s[2:3], s[0:1]
	s_cbranch_execz .LBB734_65
; %bb.64:
	v_add_u32_e32 v12, -1, v0
	v_lshrrev_b32_e32 v13, 5, v12
	v_add_lshl_u32 v12, v13, v12, 2
	ds_read_b32 v12, v12
.LBB734_65:
	s_or_b64 exec, exec, s[2:3]
	s_and_saveexec_b64 s[2:3], s[0:1]
	s_cbranch_execz .LBB734_67
; %bb.66:
	s_waitcnt lgkmcnt(0)
	v_add_u32_e32 v2, v12, v2
	v_add_u32_e32 v34, v2, v3
	;; [unrolled: 1-line block ×10, first 2 shown]
	;;#ASMSTART
	;;#ASMEND
.LBB734_67:
	s_or_b64 exec, exec, s[2:3]
	v_mov_b32_e32 v3, v34
	v_mov_b32_e32 v4, v33
	;; [unrolled: 1-line block ×3, first 2 shown]
	s_waitcnt lgkmcnt(0)
	v_pk_mov_b32 v[20:21], v[10:11], v[10:11] op_sel:[0,1]
	v_mov_b32_e32 v23, v11
	v_pk_mov_b32 v[18:19], v[8:9], v[8:9] op_sel:[0,1]
	v_pk_mov_b32 v[16:17], v[6:7], v[6:7] op_sel:[0,1]
	;; [unrolled: 1-line block ×4, first 2 shown]
.LBB734_68:
	s_movk_i32 s0, 0x7f
	v_cmp_eq_u32_e32 vcc, s0, v0
	s_and_saveexec_b64 s[0:1], vcc
	s_cbranch_execz .LBB734_70
; %bb.69:
	v_mov_b32_e32 v4, 0
	v_mov_b32_e32 v3, 2
	;; [unrolled: 1-line block ×3, first 2 shown]
	global_store_dwordx2 v4, v[2:3], s[24:25] offset:512
.LBB734_70:
	s_or_b64 exec, exec, s[0:1]
.LBB734_71:
	s_add_u32 s0, s12, s10
	s_addc_u32 s1, s13, s11
	s_add_u32 s2, s0, s14
	s_addc_u32 s3, s1, s15
	s_mov_b64 s[0:1], -1
	s_and_b64 vcc, exec, s[8:9]
	s_waitcnt lgkmcnt(0)
	s_barrier
	s_cbranch_vccz .LBB734_73
; %bb.72:
	ds_write2_b64 v1, v[12:13], v[14:15] offset1:1
	ds_write2_b64 v1, v[16:17], v[18:19] offset0:2 offset1:3
	ds_write_b64 v1, v[20:21] offset:32
	s_waitcnt lgkmcnt(0)
	s_barrier
	ds_read2st64_b32 v[2:3], v30 offset1:2
	ds_read2st64_b32 v[4:5], v30 offset0:4 offset1:6
	ds_read2st64_b32 v[6:7], v30 offset0:8 offset1:10
	;; [unrolled: 1-line block ×4, first 2 shown]
	v_mov_b32_e32 v23, s3
	v_add_co_u32_e32 v22, vcc, s2, v30
	v_addc_co_u32_e32 v23, vcc, 0, v23, vcc
	s_waitcnt lgkmcnt(4)
	flat_store_dword v[22:23], v2
	flat_store_dword v[22:23], v3 offset:512
	s_waitcnt lgkmcnt(0)
	flat_store_dword v[22:23], v4 offset:1024
	flat_store_dword v[22:23], v5 offset:1536
	;; [unrolled: 1-line block ×6, first 2 shown]
	v_add_co_u32_e32 v2, vcc, 0x1000, v22
	v_addc_co_u32_e32 v3, vcc, 0, v23, vcc
	flat_store_dword v[2:3], v10
	flat_store_dword v[2:3], v11 offset:512
	s_mov_b64 s[0:1], 0
.LBB734_73:
	s_andn2_b64 vcc, exec, s[0:1]
	s_cbranch_vccnz .LBB734_129
; %bb.74:
	ds_write2_b64 v1, v[12:13], v[14:15] offset1:1
	ds_write2_b64 v1, v[16:17], v[18:19] offset0:2 offset1:3
	ds_write_b64 v1, v[20:21] offset:32
	s_waitcnt lgkmcnt(0)
	s_barrier
	ds_read2st64_b32 v[2:3], v30 offset1:2
	ds_read2st64_b32 v[6:7], v30 offset0:4 offset1:6
	ds_read2st64_b32 v[4:5], v30 offset0:8 offset1:10
	;; [unrolled: 1-line block ×4, first 2 shown]
	v_mov_b32_e32 v13, s3
	v_add_co_u32_e32 v12, vcc, s2, v30
	v_addc_co_u32_e32 v13, vcc, 0, v13, vcc
	v_mov_b32_e32 v1, 0
	v_cmp_gt_u32_e32 vcc, s26, v0
	s_and_saveexec_b64 s[0:1], vcc
	s_cbranch_execz .LBB734_76
; %bb.75:
	s_waitcnt lgkmcnt(0)
	flat_store_dword v[12:13], v2
.LBB734_76:
	s_or_b64 exec, exec, s[0:1]
	v_or_b32_e32 v14, 0x80, v0
	v_cmp_gt_u32_e32 vcc, s26, v14
	s_and_saveexec_b64 s[0:1], vcc
	s_cbranch_execz .LBB734_78
; %bb.77:
	s_waitcnt lgkmcnt(0)
	flat_store_dword v[12:13], v3 offset:512
.LBB734_78:
	s_or_b64 exec, exec, s[0:1]
	v_or_b32_e32 v14, 0x100, v0
	v_cmp_gt_u32_e32 vcc, s26, v14
	s_and_saveexec_b64 s[0:1], vcc
	s_cbranch_execz .LBB734_80
; %bb.79:
	s_waitcnt lgkmcnt(0)
	flat_store_dword v[12:13], v6 offset:1024
.LBB734_80:
	;; [unrolled: 9-line block ×7, first 2 shown]
	s_or_b64 exec, exec, s[0:1]
	v_or_b32_e32 v14, 0x400, v0
	v_cmp_gt_u32_e32 vcc, s26, v14
	s_and_saveexec_b64 s[0:1], vcc
	s_cbranch_execz .LBB734_92
; %bb.91:
	v_add_co_u32_e32 v14, vcc, 0x1000, v12
	v_addc_co_u32_e32 v15, vcc, 0, v13, vcc
	s_waitcnt lgkmcnt(0)
	flat_store_dword v[14:15], v10
.LBB734_92:
	s_or_b64 exec, exec, s[0:1]
	v_or_b32_e32 v14, 0x480, v0
	v_cmp_gt_u32_e32 vcc, s26, v14
	s_and_saveexec_b64 s[0:1], vcc
	s_cbranch_execz .LBB734_94
; %bb.93:
	v_add_co_u32_e32 v12, vcc, 0x1000, v12
	v_addc_co_u32_e32 v13, vcc, 0, v13, vcc
	s_waitcnt lgkmcnt(0)
	flat_store_dword v[12:13], v11 offset:512
.LBB734_94:
	s_or_b64 exec, exec, s[0:1]
	v_cmp_lt_u64_e64 s[0:1], s[22:23], 2
	s_and_b64 vcc, exec, s[0:1]
	s_cbranch_vccnz .LBB734_129
; %bb.95:
	s_add_u32 s0, s26, -1
	s_addc_u32 s1, s27, -1
	s_add_u32 s2, 0, 0x99986000
	s_addc_u32 s3, 0, 0x59
	s_add_i32 s3, s3, 0x19999940
	s_mul_hi_u32 s7, s2, -10
	s_sub_i32 s7, s7, s2
	s_mul_i32 s8, s3, -10
	s_mul_i32 s4, s2, -10
	s_add_i32 s7, s7, s8
	s_mul_hi_u32 s5, s3, s4
	s_mul_i32 s6, s3, s4
	s_mul_i32 s9, s2, s7
	s_mul_hi_u32 s4, s2, s4
	s_mul_hi_u32 s8, s2, s7
	s_add_u32 s4, s4, s9
	s_addc_u32 s8, 0, s8
	s_add_u32 s4, s4, s6
	s_mul_hi_u32 s9, s3, s7
	s_addc_u32 s4, s8, s5
	s_addc_u32 s5, s9, 0
	s_mul_i32 s6, s3, s7
	s_add_u32 s4, s4, s6
	v_mov_b32_e32 v12, s4
	s_addc_u32 s5, 0, s5
	v_add_co_u32_e32 v12, vcc, s2, v12
	s_cmp_lg_u64 vcc, 0
	s_addc_u32 s2, s3, s5
	v_readfirstlane_b32 s5, v12
	s_mul_i32 s4, s0, s2
	s_mul_hi_u32 s6, s0, s5
	s_mul_hi_u32 s3, s0, s2
	s_add_u32 s4, s6, s4
	s_addc_u32 s3, 0, s3
	s_mul_hi_u32 s7, s1, s5
	s_mul_i32 s5, s1, s5
	s_add_u32 s4, s4, s5
	s_mul_hi_u32 s6, s1, s2
	s_addc_u32 s3, s3, s7
	s_addc_u32 s4, s6, 0
	s_mul_i32 s2, s1, s2
	s_add_u32 s2, s3, s2
	s_addc_u32 s3, 0, s4
	s_add_u32 s4, s2, 1
	s_addc_u32 s5, s3, 0
	s_add_u32 s6, s2, 2
	s_mul_i32 s8, s3, 10
	s_mul_hi_u32 s9, s2, 10
	s_addc_u32 s7, s3, 0
	s_add_i32 s9, s9, s8
	s_mul_i32 s8, s2, 10
	v_mov_b32_e32 v12, s8
	v_sub_co_u32_e32 v12, vcc, s0, v12
	s_cmp_lg_u64 vcc, 0
	s_subb_u32 s8, s1, s9
	v_subrev_co_u32_e32 v13, vcc, 10, v12
	s_cmp_lg_u64 vcc, 0
	s_subb_u32 s9, s8, 0
	v_readfirstlane_b32 s10, v13
	s_cmp_gt_u32 s10, 9
	s_cselect_b32 s10, -1, 0
	s_cmp_eq_u32 s9, 0
	s_cselect_b32 s9, s10, -1
	s_cmp_lg_u32 s9, 0
	s_cselect_b32 s4, s6, s4
	v_readfirstlane_b32 s6, v12
	s_cselect_b32 s5, s7, s5
	s_cmp_gt_u32 s6, 9
	s_cselect_b32 s6, -1, 0
	s_cmp_eq_u32 s8, 0
	s_cselect_b32 s6, s6, -1
	s_cmp_lg_u32 s6, 0
	s_cselect_b32 s3, s5, s3
	s_cselect_b32 s2, s4, s2
	v_cmp_eq_u64_e32 vcc, s[2:3], v[0:1]
	s_and_saveexec_b64 s[2:3], vcc
	s_cbranch_execz .LBB734_129
; %bb.96:
	v_mul_hi_u32_u24_e32 v1, 10, v0
	v_mov_b32_e32 v12, s1
	v_sub_co_u32_e32 v0, vcc, s0, v31
	v_subb_co_u32_e32 v1, vcc, v12, v1, vcc
	v_cmp_lt_i64_e32 vcc, 4, v[0:1]
	s_and_saveexec_b64 s[0:1], vcc
	s_xor_b64 s[0:1], exec, s[0:1]
	s_cbranch_execz .LBB734_114
; %bb.97:
	v_cmp_lt_i64_e32 vcc, 6, v[0:1]
	s_and_saveexec_b64 s[2:3], vcc
	s_xor_b64 s[2:3], exec, s[2:3]
	s_cbranch_execz .LBB734_107
; %bb.98:
	;; [unrolled: 5-line block ×4, first 2 shown]
	v_mov_b32_e32 v0, 0
	s_waitcnt lgkmcnt(0)
	global_store_dword v0, v11, s[18:19]
                                        ; implicit-def: $vgpr10_vgpr11
.LBB734_101:
	s_andn2_saveexec_b64 s[6:7], s[6:7]
	s_cbranch_execz .LBB734_103
; %bb.102:
	v_mov_b32_e32 v0, 0
	s_waitcnt lgkmcnt(0)
	global_store_dword v0, v10, s[18:19]
.LBB734_103:
	s_or_b64 exec, exec, s[6:7]
                                        ; implicit-def: $vgpr8_vgpr9
.LBB734_104:
	s_andn2_saveexec_b64 s[4:5], s[4:5]
	s_cbranch_execz .LBB734_106
; %bb.105:
	v_mov_b32_e32 v0, 0
	s_waitcnt lgkmcnt(0)
	global_store_dword v0, v9, s[18:19]
.LBB734_106:
	s_or_b64 exec, exec, s[4:5]
                                        ; implicit-def: $vgpr4_vgpr5
                                        ; implicit-def: $vgpr0_vgpr1
                                        ; implicit-def: $vgpr8_vgpr9
.LBB734_107:
	s_andn2_saveexec_b64 s[2:3], s[2:3]
	s_cbranch_execz .LBB734_113
; %bb.108:
	v_cmp_lt_i64_e32 vcc, 5, v[0:1]
	s_and_saveexec_b64 s[4:5], vcc
	s_xor_b64 s[4:5], exec, s[4:5]
	s_cbranch_execz .LBB734_110
; %bb.109:
	v_mov_b32_e32 v0, 0
	s_waitcnt lgkmcnt(0)
	global_store_dword v0, v8, s[18:19]
                                        ; implicit-def: $vgpr4_vgpr5
.LBB734_110:
	s_andn2_saveexec_b64 s[4:5], s[4:5]
	s_cbranch_execz .LBB734_112
; %bb.111:
	v_mov_b32_e32 v0, 0
	s_waitcnt lgkmcnt(0)
	global_store_dword v0, v5, s[18:19]
.LBB734_112:
	s_or_b64 exec, exec, s[4:5]
.LBB734_113:
	s_or_b64 exec, exec, s[2:3]
                                        ; implicit-def: $vgpr0_vgpr1
                                        ; implicit-def: $vgpr6_vgpr7
                                        ; implicit-def: $vgpr2_vgpr3
                                        ; implicit-def: $vgpr4_vgpr5
.LBB734_114:
	s_andn2_saveexec_b64 s[0:1], s[0:1]
	s_cbranch_execz .LBB734_129
; %bb.115:
	v_cmp_lt_i64_e32 vcc, 2, v[0:1]
	s_and_saveexec_b64 s[0:1], vcc
	s_xor_b64 s[0:1], exec, s[0:1]
	s_cbranch_execz .LBB734_121
; %bb.116:
	v_cmp_lt_i64_e32 vcc, 3, v[0:1]
	s_and_saveexec_b64 s[2:3], vcc
	s_xor_b64 s[2:3], exec, s[2:3]
	s_cbranch_execz .LBB734_118
; %bb.117:
	v_mov_b32_e32 v0, 0
	s_waitcnt lgkmcnt(0)
	global_store_dword v0, v4, s[18:19]
                                        ; implicit-def: $vgpr6_vgpr7
.LBB734_118:
	s_andn2_saveexec_b64 s[2:3], s[2:3]
	s_cbranch_execz .LBB734_120
; %bb.119:
	v_mov_b32_e32 v0, 0
	s_waitcnt lgkmcnt(0)
	global_store_dword v0, v7, s[18:19]
.LBB734_120:
	s_or_b64 exec, exec, s[2:3]
                                        ; implicit-def: $vgpr0_vgpr1
                                        ; implicit-def: $vgpr6_vgpr7
                                        ; implicit-def: $vgpr2_vgpr3
.LBB734_121:
	s_andn2_saveexec_b64 s[0:1], s[0:1]
	s_cbranch_execz .LBB734_129
; %bb.122:
	v_cmp_lt_i64_e32 vcc, 1, v[0:1]
	s_and_saveexec_b64 s[0:1], vcc
	s_xor_b64 s[0:1], exec, s[0:1]
	s_cbranch_execz .LBB734_124
; %bb.123:
	v_mov_b32_e32 v0, 0
	s_waitcnt lgkmcnt(0)
	global_store_dword v0, v6, s[18:19]
                                        ; implicit-def: $vgpr2_vgpr3
                                        ; implicit-def: $vgpr0_vgpr1
.LBB734_124:
	s_andn2_saveexec_b64 s[0:1], s[0:1]
	s_cbranch_execz .LBB734_129
; %bb.125:
	v_cmp_ne_u64_e32 vcc, 1, v[0:1]
	s_and_saveexec_b64 s[0:1], vcc
	s_xor_b64 s[0:1], exec, s[0:1]
	s_cbranch_execz .LBB734_127
; %bb.126:
	v_mov_b32_e32 v0, 0
	s_waitcnt lgkmcnt(0)
	global_store_dword v0, v2, s[18:19]
                                        ; implicit-def: $vgpr2_vgpr3
.LBB734_127:
	s_andn2_saveexec_b64 s[0:1], s[0:1]
	s_cbranch_execz .LBB734_129
; %bb.128:
	v_mov_b32_e32 v0, 0
	s_waitcnt lgkmcnt(0)
	global_store_dword v0, v3, s[18:19]
.LBB734_129:
	s_endpgm
	.section	.rodata,"a",@progbits
	.p2align	6, 0x0
	.amdhsa_kernel _ZN7rocprim17ROCPRIM_400000_NS6detail17trampoline_kernelINS0_14default_configENS1_20scan_config_selectorIiEEZZNS1_9scan_implILNS1_25lookback_scan_determinismE0ELb0ELb1ES3_N6thrust23THRUST_200600_302600_NS6detail15normal_iteratorINS9_10device_ptrIiEEEESE_iNS9_4plusIiEEiEEDaPvRmT3_T4_T5_mT6_P12ihipStream_tbENKUlT_T0_E_clISt17integral_constantIbLb0EESU_EEDaSP_SQ_EUlSP_E_NS1_11comp_targetILNS1_3genE4ELNS1_11target_archE910ELNS1_3gpuE8ELNS1_3repE0EEENS1_30default_config_static_selectorELNS0_4arch9wavefront6targetE1EEEvT1_
		.amdhsa_group_segment_fixed_size 5120
		.amdhsa_private_segment_fixed_size 0
		.amdhsa_kernarg_size 96
		.amdhsa_user_sgpr_count 6
		.amdhsa_user_sgpr_private_segment_buffer 1
		.amdhsa_user_sgpr_dispatch_ptr 0
		.amdhsa_user_sgpr_queue_ptr 0
		.amdhsa_user_sgpr_kernarg_segment_ptr 1
		.amdhsa_user_sgpr_dispatch_id 0
		.amdhsa_user_sgpr_flat_scratch_init 0
		.amdhsa_user_sgpr_kernarg_preload_length 0
		.amdhsa_user_sgpr_kernarg_preload_offset 0
		.amdhsa_user_sgpr_private_segment_size 0
		.amdhsa_uses_dynamic_stack 0
		.amdhsa_system_sgpr_private_segment_wavefront_offset 0
		.amdhsa_system_sgpr_workgroup_id_x 1
		.amdhsa_system_sgpr_workgroup_id_y 0
		.amdhsa_system_sgpr_workgroup_id_z 0
		.amdhsa_system_sgpr_workgroup_info 0
		.amdhsa_system_vgpr_workitem_id 0
		.amdhsa_next_free_vgpr 40
		.amdhsa_next_free_sgpr 30
		.amdhsa_accum_offset 40
		.amdhsa_reserve_vcc 1
		.amdhsa_reserve_flat_scratch 0
		.amdhsa_float_round_mode_32 0
		.amdhsa_float_round_mode_16_64 0
		.amdhsa_float_denorm_mode_32 3
		.amdhsa_float_denorm_mode_16_64 3
		.amdhsa_dx10_clamp 1
		.amdhsa_ieee_mode 1
		.amdhsa_fp16_overflow 0
		.amdhsa_tg_split 0
		.amdhsa_exception_fp_ieee_invalid_op 0
		.amdhsa_exception_fp_denorm_src 0
		.amdhsa_exception_fp_ieee_div_zero 0
		.amdhsa_exception_fp_ieee_overflow 0
		.amdhsa_exception_fp_ieee_underflow 0
		.amdhsa_exception_fp_ieee_inexact 0
		.amdhsa_exception_int_div_zero 0
	.end_amdhsa_kernel
	.section	.text._ZN7rocprim17ROCPRIM_400000_NS6detail17trampoline_kernelINS0_14default_configENS1_20scan_config_selectorIiEEZZNS1_9scan_implILNS1_25lookback_scan_determinismE0ELb0ELb1ES3_N6thrust23THRUST_200600_302600_NS6detail15normal_iteratorINS9_10device_ptrIiEEEESE_iNS9_4plusIiEEiEEDaPvRmT3_T4_T5_mT6_P12ihipStream_tbENKUlT_T0_E_clISt17integral_constantIbLb0EESU_EEDaSP_SQ_EUlSP_E_NS1_11comp_targetILNS1_3genE4ELNS1_11target_archE910ELNS1_3gpuE8ELNS1_3repE0EEENS1_30default_config_static_selectorELNS0_4arch9wavefront6targetE1EEEvT1_,"axG",@progbits,_ZN7rocprim17ROCPRIM_400000_NS6detail17trampoline_kernelINS0_14default_configENS1_20scan_config_selectorIiEEZZNS1_9scan_implILNS1_25lookback_scan_determinismE0ELb0ELb1ES3_N6thrust23THRUST_200600_302600_NS6detail15normal_iteratorINS9_10device_ptrIiEEEESE_iNS9_4plusIiEEiEEDaPvRmT3_T4_T5_mT6_P12ihipStream_tbENKUlT_T0_E_clISt17integral_constantIbLb0EESU_EEDaSP_SQ_EUlSP_E_NS1_11comp_targetILNS1_3genE4ELNS1_11target_archE910ELNS1_3gpuE8ELNS1_3repE0EEENS1_30default_config_static_selectorELNS0_4arch9wavefront6targetE1EEEvT1_,comdat
.Lfunc_end734:
	.size	_ZN7rocprim17ROCPRIM_400000_NS6detail17trampoline_kernelINS0_14default_configENS1_20scan_config_selectorIiEEZZNS1_9scan_implILNS1_25lookback_scan_determinismE0ELb0ELb1ES3_N6thrust23THRUST_200600_302600_NS6detail15normal_iteratorINS9_10device_ptrIiEEEESE_iNS9_4plusIiEEiEEDaPvRmT3_T4_T5_mT6_P12ihipStream_tbENKUlT_T0_E_clISt17integral_constantIbLb0EESU_EEDaSP_SQ_EUlSP_E_NS1_11comp_targetILNS1_3genE4ELNS1_11target_archE910ELNS1_3gpuE8ELNS1_3repE0EEENS1_30default_config_static_selectorELNS0_4arch9wavefront6targetE1EEEvT1_, .Lfunc_end734-_ZN7rocprim17ROCPRIM_400000_NS6detail17trampoline_kernelINS0_14default_configENS1_20scan_config_selectorIiEEZZNS1_9scan_implILNS1_25lookback_scan_determinismE0ELb0ELb1ES3_N6thrust23THRUST_200600_302600_NS6detail15normal_iteratorINS9_10device_ptrIiEEEESE_iNS9_4plusIiEEiEEDaPvRmT3_T4_T5_mT6_P12ihipStream_tbENKUlT_T0_E_clISt17integral_constantIbLb0EESU_EEDaSP_SQ_EUlSP_E_NS1_11comp_targetILNS1_3genE4ELNS1_11target_archE910ELNS1_3gpuE8ELNS1_3repE0EEENS1_30default_config_static_selectorELNS0_4arch9wavefront6targetE1EEEvT1_
                                        ; -- End function
	.section	.AMDGPU.csdata,"",@progbits
; Kernel info:
; codeLenInByte = 5012
; NumSgprs: 34
; NumVgprs: 40
; NumAgprs: 0
; TotalNumVgprs: 40
; ScratchSize: 0
; MemoryBound: 0
; FloatMode: 240
; IeeeMode: 1
; LDSByteSize: 5120 bytes/workgroup (compile time only)
; SGPRBlocks: 4
; VGPRBlocks: 4
; NumSGPRsForWavesPerEU: 34
; NumVGPRsForWavesPerEU: 40
; AccumOffset: 40
; Occupancy: 6
; WaveLimiterHint : 1
; COMPUTE_PGM_RSRC2:SCRATCH_EN: 0
; COMPUTE_PGM_RSRC2:USER_SGPR: 6
; COMPUTE_PGM_RSRC2:TRAP_HANDLER: 0
; COMPUTE_PGM_RSRC2:TGID_X_EN: 1
; COMPUTE_PGM_RSRC2:TGID_Y_EN: 0
; COMPUTE_PGM_RSRC2:TGID_Z_EN: 0
; COMPUTE_PGM_RSRC2:TIDIG_COMP_CNT: 0
; COMPUTE_PGM_RSRC3_GFX90A:ACCUM_OFFSET: 9
; COMPUTE_PGM_RSRC3_GFX90A:TG_SPLIT: 0
	.section	.text._ZN7rocprim17ROCPRIM_400000_NS6detail17trampoline_kernelINS0_14default_configENS1_20scan_config_selectorIiEEZZNS1_9scan_implILNS1_25lookback_scan_determinismE0ELb0ELb1ES3_N6thrust23THRUST_200600_302600_NS6detail15normal_iteratorINS9_10device_ptrIiEEEESE_iNS9_4plusIiEEiEEDaPvRmT3_T4_T5_mT6_P12ihipStream_tbENKUlT_T0_E_clISt17integral_constantIbLb0EESU_EEDaSP_SQ_EUlSP_E_NS1_11comp_targetILNS1_3genE3ELNS1_11target_archE908ELNS1_3gpuE7ELNS1_3repE0EEENS1_30default_config_static_selectorELNS0_4arch9wavefront6targetE1EEEvT1_,"axG",@progbits,_ZN7rocprim17ROCPRIM_400000_NS6detail17trampoline_kernelINS0_14default_configENS1_20scan_config_selectorIiEEZZNS1_9scan_implILNS1_25lookback_scan_determinismE0ELb0ELb1ES3_N6thrust23THRUST_200600_302600_NS6detail15normal_iteratorINS9_10device_ptrIiEEEESE_iNS9_4plusIiEEiEEDaPvRmT3_T4_T5_mT6_P12ihipStream_tbENKUlT_T0_E_clISt17integral_constantIbLb0EESU_EEDaSP_SQ_EUlSP_E_NS1_11comp_targetILNS1_3genE3ELNS1_11target_archE908ELNS1_3gpuE7ELNS1_3repE0EEENS1_30default_config_static_selectorELNS0_4arch9wavefront6targetE1EEEvT1_,comdat
	.protected	_ZN7rocprim17ROCPRIM_400000_NS6detail17trampoline_kernelINS0_14default_configENS1_20scan_config_selectorIiEEZZNS1_9scan_implILNS1_25lookback_scan_determinismE0ELb0ELb1ES3_N6thrust23THRUST_200600_302600_NS6detail15normal_iteratorINS9_10device_ptrIiEEEESE_iNS9_4plusIiEEiEEDaPvRmT3_T4_T5_mT6_P12ihipStream_tbENKUlT_T0_E_clISt17integral_constantIbLb0EESU_EEDaSP_SQ_EUlSP_E_NS1_11comp_targetILNS1_3genE3ELNS1_11target_archE908ELNS1_3gpuE7ELNS1_3repE0EEENS1_30default_config_static_selectorELNS0_4arch9wavefront6targetE1EEEvT1_ ; -- Begin function _ZN7rocprim17ROCPRIM_400000_NS6detail17trampoline_kernelINS0_14default_configENS1_20scan_config_selectorIiEEZZNS1_9scan_implILNS1_25lookback_scan_determinismE0ELb0ELb1ES3_N6thrust23THRUST_200600_302600_NS6detail15normal_iteratorINS9_10device_ptrIiEEEESE_iNS9_4plusIiEEiEEDaPvRmT3_T4_T5_mT6_P12ihipStream_tbENKUlT_T0_E_clISt17integral_constantIbLb0EESU_EEDaSP_SQ_EUlSP_E_NS1_11comp_targetILNS1_3genE3ELNS1_11target_archE908ELNS1_3gpuE7ELNS1_3repE0EEENS1_30default_config_static_selectorELNS0_4arch9wavefront6targetE1EEEvT1_
	.globl	_ZN7rocprim17ROCPRIM_400000_NS6detail17trampoline_kernelINS0_14default_configENS1_20scan_config_selectorIiEEZZNS1_9scan_implILNS1_25lookback_scan_determinismE0ELb0ELb1ES3_N6thrust23THRUST_200600_302600_NS6detail15normal_iteratorINS9_10device_ptrIiEEEESE_iNS9_4plusIiEEiEEDaPvRmT3_T4_T5_mT6_P12ihipStream_tbENKUlT_T0_E_clISt17integral_constantIbLb0EESU_EEDaSP_SQ_EUlSP_E_NS1_11comp_targetILNS1_3genE3ELNS1_11target_archE908ELNS1_3gpuE7ELNS1_3repE0EEENS1_30default_config_static_selectorELNS0_4arch9wavefront6targetE1EEEvT1_
	.p2align	8
	.type	_ZN7rocprim17ROCPRIM_400000_NS6detail17trampoline_kernelINS0_14default_configENS1_20scan_config_selectorIiEEZZNS1_9scan_implILNS1_25lookback_scan_determinismE0ELb0ELb1ES3_N6thrust23THRUST_200600_302600_NS6detail15normal_iteratorINS9_10device_ptrIiEEEESE_iNS9_4plusIiEEiEEDaPvRmT3_T4_T5_mT6_P12ihipStream_tbENKUlT_T0_E_clISt17integral_constantIbLb0EESU_EEDaSP_SQ_EUlSP_E_NS1_11comp_targetILNS1_3genE3ELNS1_11target_archE908ELNS1_3gpuE7ELNS1_3repE0EEENS1_30default_config_static_selectorELNS0_4arch9wavefront6targetE1EEEvT1_,@function
_ZN7rocprim17ROCPRIM_400000_NS6detail17trampoline_kernelINS0_14default_configENS1_20scan_config_selectorIiEEZZNS1_9scan_implILNS1_25lookback_scan_determinismE0ELb0ELb1ES3_N6thrust23THRUST_200600_302600_NS6detail15normal_iteratorINS9_10device_ptrIiEEEESE_iNS9_4plusIiEEiEEDaPvRmT3_T4_T5_mT6_P12ihipStream_tbENKUlT_T0_E_clISt17integral_constantIbLb0EESU_EEDaSP_SQ_EUlSP_E_NS1_11comp_targetILNS1_3genE3ELNS1_11target_archE908ELNS1_3gpuE7ELNS1_3repE0EEENS1_30default_config_static_selectorELNS0_4arch9wavefront6targetE1EEEvT1_: ; @_ZN7rocprim17ROCPRIM_400000_NS6detail17trampoline_kernelINS0_14default_configENS1_20scan_config_selectorIiEEZZNS1_9scan_implILNS1_25lookback_scan_determinismE0ELb0ELb1ES3_N6thrust23THRUST_200600_302600_NS6detail15normal_iteratorINS9_10device_ptrIiEEEESE_iNS9_4plusIiEEiEEDaPvRmT3_T4_T5_mT6_P12ihipStream_tbENKUlT_T0_E_clISt17integral_constantIbLb0EESU_EEDaSP_SQ_EUlSP_E_NS1_11comp_targetILNS1_3genE3ELNS1_11target_archE908ELNS1_3gpuE7ELNS1_3repE0EEENS1_30default_config_static_selectorELNS0_4arch9wavefront6targetE1EEEvT1_
; %bb.0:
	.section	.rodata,"a",@progbits
	.p2align	6, 0x0
	.amdhsa_kernel _ZN7rocprim17ROCPRIM_400000_NS6detail17trampoline_kernelINS0_14default_configENS1_20scan_config_selectorIiEEZZNS1_9scan_implILNS1_25lookback_scan_determinismE0ELb0ELb1ES3_N6thrust23THRUST_200600_302600_NS6detail15normal_iteratorINS9_10device_ptrIiEEEESE_iNS9_4plusIiEEiEEDaPvRmT3_T4_T5_mT6_P12ihipStream_tbENKUlT_T0_E_clISt17integral_constantIbLb0EESU_EEDaSP_SQ_EUlSP_E_NS1_11comp_targetILNS1_3genE3ELNS1_11target_archE908ELNS1_3gpuE7ELNS1_3repE0EEENS1_30default_config_static_selectorELNS0_4arch9wavefront6targetE1EEEvT1_
		.amdhsa_group_segment_fixed_size 0
		.amdhsa_private_segment_fixed_size 0
		.amdhsa_kernarg_size 96
		.amdhsa_user_sgpr_count 6
		.amdhsa_user_sgpr_private_segment_buffer 1
		.amdhsa_user_sgpr_dispatch_ptr 0
		.amdhsa_user_sgpr_queue_ptr 0
		.amdhsa_user_sgpr_kernarg_segment_ptr 1
		.amdhsa_user_sgpr_dispatch_id 0
		.amdhsa_user_sgpr_flat_scratch_init 0
		.amdhsa_user_sgpr_kernarg_preload_length 0
		.amdhsa_user_sgpr_kernarg_preload_offset 0
		.amdhsa_user_sgpr_private_segment_size 0
		.amdhsa_uses_dynamic_stack 0
		.amdhsa_system_sgpr_private_segment_wavefront_offset 0
		.amdhsa_system_sgpr_workgroup_id_x 1
		.amdhsa_system_sgpr_workgroup_id_y 0
		.amdhsa_system_sgpr_workgroup_id_z 0
		.amdhsa_system_sgpr_workgroup_info 0
		.amdhsa_system_vgpr_workitem_id 0
		.amdhsa_next_free_vgpr 1
		.amdhsa_next_free_sgpr 0
		.amdhsa_accum_offset 4
		.amdhsa_reserve_vcc 0
		.amdhsa_reserve_flat_scratch 0
		.amdhsa_float_round_mode_32 0
		.amdhsa_float_round_mode_16_64 0
		.amdhsa_float_denorm_mode_32 3
		.amdhsa_float_denorm_mode_16_64 3
		.amdhsa_dx10_clamp 1
		.amdhsa_ieee_mode 1
		.amdhsa_fp16_overflow 0
		.amdhsa_tg_split 0
		.amdhsa_exception_fp_ieee_invalid_op 0
		.amdhsa_exception_fp_denorm_src 0
		.amdhsa_exception_fp_ieee_div_zero 0
		.amdhsa_exception_fp_ieee_overflow 0
		.amdhsa_exception_fp_ieee_underflow 0
		.amdhsa_exception_fp_ieee_inexact 0
		.amdhsa_exception_int_div_zero 0
	.end_amdhsa_kernel
	.section	.text._ZN7rocprim17ROCPRIM_400000_NS6detail17trampoline_kernelINS0_14default_configENS1_20scan_config_selectorIiEEZZNS1_9scan_implILNS1_25lookback_scan_determinismE0ELb0ELb1ES3_N6thrust23THRUST_200600_302600_NS6detail15normal_iteratorINS9_10device_ptrIiEEEESE_iNS9_4plusIiEEiEEDaPvRmT3_T4_T5_mT6_P12ihipStream_tbENKUlT_T0_E_clISt17integral_constantIbLb0EESU_EEDaSP_SQ_EUlSP_E_NS1_11comp_targetILNS1_3genE3ELNS1_11target_archE908ELNS1_3gpuE7ELNS1_3repE0EEENS1_30default_config_static_selectorELNS0_4arch9wavefront6targetE1EEEvT1_,"axG",@progbits,_ZN7rocprim17ROCPRIM_400000_NS6detail17trampoline_kernelINS0_14default_configENS1_20scan_config_selectorIiEEZZNS1_9scan_implILNS1_25lookback_scan_determinismE0ELb0ELb1ES3_N6thrust23THRUST_200600_302600_NS6detail15normal_iteratorINS9_10device_ptrIiEEEESE_iNS9_4plusIiEEiEEDaPvRmT3_T4_T5_mT6_P12ihipStream_tbENKUlT_T0_E_clISt17integral_constantIbLb0EESU_EEDaSP_SQ_EUlSP_E_NS1_11comp_targetILNS1_3genE3ELNS1_11target_archE908ELNS1_3gpuE7ELNS1_3repE0EEENS1_30default_config_static_selectorELNS0_4arch9wavefront6targetE1EEEvT1_,comdat
.Lfunc_end735:
	.size	_ZN7rocprim17ROCPRIM_400000_NS6detail17trampoline_kernelINS0_14default_configENS1_20scan_config_selectorIiEEZZNS1_9scan_implILNS1_25lookback_scan_determinismE0ELb0ELb1ES3_N6thrust23THRUST_200600_302600_NS6detail15normal_iteratorINS9_10device_ptrIiEEEESE_iNS9_4plusIiEEiEEDaPvRmT3_T4_T5_mT6_P12ihipStream_tbENKUlT_T0_E_clISt17integral_constantIbLb0EESU_EEDaSP_SQ_EUlSP_E_NS1_11comp_targetILNS1_3genE3ELNS1_11target_archE908ELNS1_3gpuE7ELNS1_3repE0EEENS1_30default_config_static_selectorELNS0_4arch9wavefront6targetE1EEEvT1_, .Lfunc_end735-_ZN7rocprim17ROCPRIM_400000_NS6detail17trampoline_kernelINS0_14default_configENS1_20scan_config_selectorIiEEZZNS1_9scan_implILNS1_25lookback_scan_determinismE0ELb0ELb1ES3_N6thrust23THRUST_200600_302600_NS6detail15normal_iteratorINS9_10device_ptrIiEEEESE_iNS9_4plusIiEEiEEDaPvRmT3_T4_T5_mT6_P12ihipStream_tbENKUlT_T0_E_clISt17integral_constantIbLb0EESU_EEDaSP_SQ_EUlSP_E_NS1_11comp_targetILNS1_3genE3ELNS1_11target_archE908ELNS1_3gpuE7ELNS1_3repE0EEENS1_30default_config_static_selectorELNS0_4arch9wavefront6targetE1EEEvT1_
                                        ; -- End function
	.section	.AMDGPU.csdata,"",@progbits
; Kernel info:
; codeLenInByte = 0
; NumSgprs: 4
; NumVgprs: 0
; NumAgprs: 0
; TotalNumVgprs: 0
; ScratchSize: 0
; MemoryBound: 0
; FloatMode: 240
; IeeeMode: 1
; LDSByteSize: 0 bytes/workgroup (compile time only)
; SGPRBlocks: 0
; VGPRBlocks: 0
; NumSGPRsForWavesPerEU: 4
; NumVGPRsForWavesPerEU: 1
; AccumOffset: 4
; Occupancy: 8
; WaveLimiterHint : 0
; COMPUTE_PGM_RSRC2:SCRATCH_EN: 0
; COMPUTE_PGM_RSRC2:USER_SGPR: 6
; COMPUTE_PGM_RSRC2:TRAP_HANDLER: 0
; COMPUTE_PGM_RSRC2:TGID_X_EN: 1
; COMPUTE_PGM_RSRC2:TGID_Y_EN: 0
; COMPUTE_PGM_RSRC2:TGID_Z_EN: 0
; COMPUTE_PGM_RSRC2:TIDIG_COMP_CNT: 0
; COMPUTE_PGM_RSRC3_GFX90A:ACCUM_OFFSET: 0
; COMPUTE_PGM_RSRC3_GFX90A:TG_SPLIT: 0
	.section	.text._ZN7rocprim17ROCPRIM_400000_NS6detail17trampoline_kernelINS0_14default_configENS1_20scan_config_selectorIiEEZZNS1_9scan_implILNS1_25lookback_scan_determinismE0ELb0ELb1ES3_N6thrust23THRUST_200600_302600_NS6detail15normal_iteratorINS9_10device_ptrIiEEEESE_iNS9_4plusIiEEiEEDaPvRmT3_T4_T5_mT6_P12ihipStream_tbENKUlT_T0_E_clISt17integral_constantIbLb0EESU_EEDaSP_SQ_EUlSP_E_NS1_11comp_targetILNS1_3genE2ELNS1_11target_archE906ELNS1_3gpuE6ELNS1_3repE0EEENS1_30default_config_static_selectorELNS0_4arch9wavefront6targetE1EEEvT1_,"axG",@progbits,_ZN7rocprim17ROCPRIM_400000_NS6detail17trampoline_kernelINS0_14default_configENS1_20scan_config_selectorIiEEZZNS1_9scan_implILNS1_25lookback_scan_determinismE0ELb0ELb1ES3_N6thrust23THRUST_200600_302600_NS6detail15normal_iteratorINS9_10device_ptrIiEEEESE_iNS9_4plusIiEEiEEDaPvRmT3_T4_T5_mT6_P12ihipStream_tbENKUlT_T0_E_clISt17integral_constantIbLb0EESU_EEDaSP_SQ_EUlSP_E_NS1_11comp_targetILNS1_3genE2ELNS1_11target_archE906ELNS1_3gpuE6ELNS1_3repE0EEENS1_30default_config_static_selectorELNS0_4arch9wavefront6targetE1EEEvT1_,comdat
	.protected	_ZN7rocprim17ROCPRIM_400000_NS6detail17trampoline_kernelINS0_14default_configENS1_20scan_config_selectorIiEEZZNS1_9scan_implILNS1_25lookback_scan_determinismE0ELb0ELb1ES3_N6thrust23THRUST_200600_302600_NS6detail15normal_iteratorINS9_10device_ptrIiEEEESE_iNS9_4plusIiEEiEEDaPvRmT3_T4_T5_mT6_P12ihipStream_tbENKUlT_T0_E_clISt17integral_constantIbLb0EESU_EEDaSP_SQ_EUlSP_E_NS1_11comp_targetILNS1_3genE2ELNS1_11target_archE906ELNS1_3gpuE6ELNS1_3repE0EEENS1_30default_config_static_selectorELNS0_4arch9wavefront6targetE1EEEvT1_ ; -- Begin function _ZN7rocprim17ROCPRIM_400000_NS6detail17trampoline_kernelINS0_14default_configENS1_20scan_config_selectorIiEEZZNS1_9scan_implILNS1_25lookback_scan_determinismE0ELb0ELb1ES3_N6thrust23THRUST_200600_302600_NS6detail15normal_iteratorINS9_10device_ptrIiEEEESE_iNS9_4plusIiEEiEEDaPvRmT3_T4_T5_mT6_P12ihipStream_tbENKUlT_T0_E_clISt17integral_constantIbLb0EESU_EEDaSP_SQ_EUlSP_E_NS1_11comp_targetILNS1_3genE2ELNS1_11target_archE906ELNS1_3gpuE6ELNS1_3repE0EEENS1_30default_config_static_selectorELNS0_4arch9wavefront6targetE1EEEvT1_
	.globl	_ZN7rocprim17ROCPRIM_400000_NS6detail17trampoline_kernelINS0_14default_configENS1_20scan_config_selectorIiEEZZNS1_9scan_implILNS1_25lookback_scan_determinismE0ELb0ELb1ES3_N6thrust23THRUST_200600_302600_NS6detail15normal_iteratorINS9_10device_ptrIiEEEESE_iNS9_4plusIiEEiEEDaPvRmT3_T4_T5_mT6_P12ihipStream_tbENKUlT_T0_E_clISt17integral_constantIbLb0EESU_EEDaSP_SQ_EUlSP_E_NS1_11comp_targetILNS1_3genE2ELNS1_11target_archE906ELNS1_3gpuE6ELNS1_3repE0EEENS1_30default_config_static_selectorELNS0_4arch9wavefront6targetE1EEEvT1_
	.p2align	8
	.type	_ZN7rocprim17ROCPRIM_400000_NS6detail17trampoline_kernelINS0_14default_configENS1_20scan_config_selectorIiEEZZNS1_9scan_implILNS1_25lookback_scan_determinismE0ELb0ELb1ES3_N6thrust23THRUST_200600_302600_NS6detail15normal_iteratorINS9_10device_ptrIiEEEESE_iNS9_4plusIiEEiEEDaPvRmT3_T4_T5_mT6_P12ihipStream_tbENKUlT_T0_E_clISt17integral_constantIbLb0EESU_EEDaSP_SQ_EUlSP_E_NS1_11comp_targetILNS1_3genE2ELNS1_11target_archE906ELNS1_3gpuE6ELNS1_3repE0EEENS1_30default_config_static_selectorELNS0_4arch9wavefront6targetE1EEEvT1_,@function
_ZN7rocprim17ROCPRIM_400000_NS6detail17trampoline_kernelINS0_14default_configENS1_20scan_config_selectorIiEEZZNS1_9scan_implILNS1_25lookback_scan_determinismE0ELb0ELb1ES3_N6thrust23THRUST_200600_302600_NS6detail15normal_iteratorINS9_10device_ptrIiEEEESE_iNS9_4plusIiEEiEEDaPvRmT3_T4_T5_mT6_P12ihipStream_tbENKUlT_T0_E_clISt17integral_constantIbLb0EESU_EEDaSP_SQ_EUlSP_E_NS1_11comp_targetILNS1_3genE2ELNS1_11target_archE906ELNS1_3gpuE6ELNS1_3repE0EEENS1_30default_config_static_selectorELNS0_4arch9wavefront6targetE1EEEvT1_: ; @_ZN7rocprim17ROCPRIM_400000_NS6detail17trampoline_kernelINS0_14default_configENS1_20scan_config_selectorIiEEZZNS1_9scan_implILNS1_25lookback_scan_determinismE0ELb0ELb1ES3_N6thrust23THRUST_200600_302600_NS6detail15normal_iteratorINS9_10device_ptrIiEEEESE_iNS9_4plusIiEEiEEDaPvRmT3_T4_T5_mT6_P12ihipStream_tbENKUlT_T0_E_clISt17integral_constantIbLb0EESU_EEDaSP_SQ_EUlSP_E_NS1_11comp_targetILNS1_3genE2ELNS1_11target_archE906ELNS1_3gpuE6ELNS1_3repE0EEENS1_30default_config_static_selectorELNS0_4arch9wavefront6targetE1EEEvT1_
; %bb.0:
	.section	.rodata,"a",@progbits
	.p2align	6, 0x0
	.amdhsa_kernel _ZN7rocprim17ROCPRIM_400000_NS6detail17trampoline_kernelINS0_14default_configENS1_20scan_config_selectorIiEEZZNS1_9scan_implILNS1_25lookback_scan_determinismE0ELb0ELb1ES3_N6thrust23THRUST_200600_302600_NS6detail15normal_iteratorINS9_10device_ptrIiEEEESE_iNS9_4plusIiEEiEEDaPvRmT3_T4_T5_mT6_P12ihipStream_tbENKUlT_T0_E_clISt17integral_constantIbLb0EESU_EEDaSP_SQ_EUlSP_E_NS1_11comp_targetILNS1_3genE2ELNS1_11target_archE906ELNS1_3gpuE6ELNS1_3repE0EEENS1_30default_config_static_selectorELNS0_4arch9wavefront6targetE1EEEvT1_
		.amdhsa_group_segment_fixed_size 0
		.amdhsa_private_segment_fixed_size 0
		.amdhsa_kernarg_size 96
		.amdhsa_user_sgpr_count 6
		.amdhsa_user_sgpr_private_segment_buffer 1
		.amdhsa_user_sgpr_dispatch_ptr 0
		.amdhsa_user_sgpr_queue_ptr 0
		.amdhsa_user_sgpr_kernarg_segment_ptr 1
		.amdhsa_user_sgpr_dispatch_id 0
		.amdhsa_user_sgpr_flat_scratch_init 0
		.amdhsa_user_sgpr_kernarg_preload_length 0
		.amdhsa_user_sgpr_kernarg_preload_offset 0
		.amdhsa_user_sgpr_private_segment_size 0
		.amdhsa_uses_dynamic_stack 0
		.amdhsa_system_sgpr_private_segment_wavefront_offset 0
		.amdhsa_system_sgpr_workgroup_id_x 1
		.amdhsa_system_sgpr_workgroup_id_y 0
		.amdhsa_system_sgpr_workgroup_id_z 0
		.amdhsa_system_sgpr_workgroup_info 0
		.amdhsa_system_vgpr_workitem_id 0
		.amdhsa_next_free_vgpr 1
		.amdhsa_next_free_sgpr 0
		.amdhsa_accum_offset 4
		.amdhsa_reserve_vcc 0
		.amdhsa_reserve_flat_scratch 0
		.amdhsa_float_round_mode_32 0
		.amdhsa_float_round_mode_16_64 0
		.amdhsa_float_denorm_mode_32 3
		.amdhsa_float_denorm_mode_16_64 3
		.amdhsa_dx10_clamp 1
		.amdhsa_ieee_mode 1
		.amdhsa_fp16_overflow 0
		.amdhsa_tg_split 0
		.amdhsa_exception_fp_ieee_invalid_op 0
		.amdhsa_exception_fp_denorm_src 0
		.amdhsa_exception_fp_ieee_div_zero 0
		.amdhsa_exception_fp_ieee_overflow 0
		.amdhsa_exception_fp_ieee_underflow 0
		.amdhsa_exception_fp_ieee_inexact 0
		.amdhsa_exception_int_div_zero 0
	.end_amdhsa_kernel
	.section	.text._ZN7rocprim17ROCPRIM_400000_NS6detail17trampoline_kernelINS0_14default_configENS1_20scan_config_selectorIiEEZZNS1_9scan_implILNS1_25lookback_scan_determinismE0ELb0ELb1ES3_N6thrust23THRUST_200600_302600_NS6detail15normal_iteratorINS9_10device_ptrIiEEEESE_iNS9_4plusIiEEiEEDaPvRmT3_T4_T5_mT6_P12ihipStream_tbENKUlT_T0_E_clISt17integral_constantIbLb0EESU_EEDaSP_SQ_EUlSP_E_NS1_11comp_targetILNS1_3genE2ELNS1_11target_archE906ELNS1_3gpuE6ELNS1_3repE0EEENS1_30default_config_static_selectorELNS0_4arch9wavefront6targetE1EEEvT1_,"axG",@progbits,_ZN7rocprim17ROCPRIM_400000_NS6detail17trampoline_kernelINS0_14default_configENS1_20scan_config_selectorIiEEZZNS1_9scan_implILNS1_25lookback_scan_determinismE0ELb0ELb1ES3_N6thrust23THRUST_200600_302600_NS6detail15normal_iteratorINS9_10device_ptrIiEEEESE_iNS9_4plusIiEEiEEDaPvRmT3_T4_T5_mT6_P12ihipStream_tbENKUlT_T0_E_clISt17integral_constantIbLb0EESU_EEDaSP_SQ_EUlSP_E_NS1_11comp_targetILNS1_3genE2ELNS1_11target_archE906ELNS1_3gpuE6ELNS1_3repE0EEENS1_30default_config_static_selectorELNS0_4arch9wavefront6targetE1EEEvT1_,comdat
.Lfunc_end736:
	.size	_ZN7rocprim17ROCPRIM_400000_NS6detail17trampoline_kernelINS0_14default_configENS1_20scan_config_selectorIiEEZZNS1_9scan_implILNS1_25lookback_scan_determinismE0ELb0ELb1ES3_N6thrust23THRUST_200600_302600_NS6detail15normal_iteratorINS9_10device_ptrIiEEEESE_iNS9_4plusIiEEiEEDaPvRmT3_T4_T5_mT6_P12ihipStream_tbENKUlT_T0_E_clISt17integral_constantIbLb0EESU_EEDaSP_SQ_EUlSP_E_NS1_11comp_targetILNS1_3genE2ELNS1_11target_archE906ELNS1_3gpuE6ELNS1_3repE0EEENS1_30default_config_static_selectorELNS0_4arch9wavefront6targetE1EEEvT1_, .Lfunc_end736-_ZN7rocprim17ROCPRIM_400000_NS6detail17trampoline_kernelINS0_14default_configENS1_20scan_config_selectorIiEEZZNS1_9scan_implILNS1_25lookback_scan_determinismE0ELb0ELb1ES3_N6thrust23THRUST_200600_302600_NS6detail15normal_iteratorINS9_10device_ptrIiEEEESE_iNS9_4plusIiEEiEEDaPvRmT3_T4_T5_mT6_P12ihipStream_tbENKUlT_T0_E_clISt17integral_constantIbLb0EESU_EEDaSP_SQ_EUlSP_E_NS1_11comp_targetILNS1_3genE2ELNS1_11target_archE906ELNS1_3gpuE6ELNS1_3repE0EEENS1_30default_config_static_selectorELNS0_4arch9wavefront6targetE1EEEvT1_
                                        ; -- End function
	.section	.AMDGPU.csdata,"",@progbits
; Kernel info:
; codeLenInByte = 0
; NumSgprs: 4
; NumVgprs: 0
; NumAgprs: 0
; TotalNumVgprs: 0
; ScratchSize: 0
; MemoryBound: 0
; FloatMode: 240
; IeeeMode: 1
; LDSByteSize: 0 bytes/workgroup (compile time only)
; SGPRBlocks: 0
; VGPRBlocks: 0
; NumSGPRsForWavesPerEU: 4
; NumVGPRsForWavesPerEU: 1
; AccumOffset: 4
; Occupancy: 8
; WaveLimiterHint : 0
; COMPUTE_PGM_RSRC2:SCRATCH_EN: 0
; COMPUTE_PGM_RSRC2:USER_SGPR: 6
; COMPUTE_PGM_RSRC2:TRAP_HANDLER: 0
; COMPUTE_PGM_RSRC2:TGID_X_EN: 1
; COMPUTE_PGM_RSRC2:TGID_Y_EN: 0
; COMPUTE_PGM_RSRC2:TGID_Z_EN: 0
; COMPUTE_PGM_RSRC2:TIDIG_COMP_CNT: 0
; COMPUTE_PGM_RSRC3_GFX90A:ACCUM_OFFSET: 0
; COMPUTE_PGM_RSRC3_GFX90A:TG_SPLIT: 0
	.section	.text._ZN7rocprim17ROCPRIM_400000_NS6detail17trampoline_kernelINS0_14default_configENS1_20scan_config_selectorIiEEZZNS1_9scan_implILNS1_25lookback_scan_determinismE0ELb0ELb1ES3_N6thrust23THRUST_200600_302600_NS6detail15normal_iteratorINS9_10device_ptrIiEEEESE_iNS9_4plusIiEEiEEDaPvRmT3_T4_T5_mT6_P12ihipStream_tbENKUlT_T0_E_clISt17integral_constantIbLb0EESU_EEDaSP_SQ_EUlSP_E_NS1_11comp_targetILNS1_3genE10ELNS1_11target_archE1201ELNS1_3gpuE5ELNS1_3repE0EEENS1_30default_config_static_selectorELNS0_4arch9wavefront6targetE1EEEvT1_,"axG",@progbits,_ZN7rocprim17ROCPRIM_400000_NS6detail17trampoline_kernelINS0_14default_configENS1_20scan_config_selectorIiEEZZNS1_9scan_implILNS1_25lookback_scan_determinismE0ELb0ELb1ES3_N6thrust23THRUST_200600_302600_NS6detail15normal_iteratorINS9_10device_ptrIiEEEESE_iNS9_4plusIiEEiEEDaPvRmT3_T4_T5_mT6_P12ihipStream_tbENKUlT_T0_E_clISt17integral_constantIbLb0EESU_EEDaSP_SQ_EUlSP_E_NS1_11comp_targetILNS1_3genE10ELNS1_11target_archE1201ELNS1_3gpuE5ELNS1_3repE0EEENS1_30default_config_static_selectorELNS0_4arch9wavefront6targetE1EEEvT1_,comdat
	.protected	_ZN7rocprim17ROCPRIM_400000_NS6detail17trampoline_kernelINS0_14default_configENS1_20scan_config_selectorIiEEZZNS1_9scan_implILNS1_25lookback_scan_determinismE0ELb0ELb1ES3_N6thrust23THRUST_200600_302600_NS6detail15normal_iteratorINS9_10device_ptrIiEEEESE_iNS9_4plusIiEEiEEDaPvRmT3_T4_T5_mT6_P12ihipStream_tbENKUlT_T0_E_clISt17integral_constantIbLb0EESU_EEDaSP_SQ_EUlSP_E_NS1_11comp_targetILNS1_3genE10ELNS1_11target_archE1201ELNS1_3gpuE5ELNS1_3repE0EEENS1_30default_config_static_selectorELNS0_4arch9wavefront6targetE1EEEvT1_ ; -- Begin function _ZN7rocprim17ROCPRIM_400000_NS6detail17trampoline_kernelINS0_14default_configENS1_20scan_config_selectorIiEEZZNS1_9scan_implILNS1_25lookback_scan_determinismE0ELb0ELb1ES3_N6thrust23THRUST_200600_302600_NS6detail15normal_iteratorINS9_10device_ptrIiEEEESE_iNS9_4plusIiEEiEEDaPvRmT3_T4_T5_mT6_P12ihipStream_tbENKUlT_T0_E_clISt17integral_constantIbLb0EESU_EEDaSP_SQ_EUlSP_E_NS1_11comp_targetILNS1_3genE10ELNS1_11target_archE1201ELNS1_3gpuE5ELNS1_3repE0EEENS1_30default_config_static_selectorELNS0_4arch9wavefront6targetE1EEEvT1_
	.globl	_ZN7rocprim17ROCPRIM_400000_NS6detail17trampoline_kernelINS0_14default_configENS1_20scan_config_selectorIiEEZZNS1_9scan_implILNS1_25lookback_scan_determinismE0ELb0ELb1ES3_N6thrust23THRUST_200600_302600_NS6detail15normal_iteratorINS9_10device_ptrIiEEEESE_iNS9_4plusIiEEiEEDaPvRmT3_T4_T5_mT6_P12ihipStream_tbENKUlT_T0_E_clISt17integral_constantIbLb0EESU_EEDaSP_SQ_EUlSP_E_NS1_11comp_targetILNS1_3genE10ELNS1_11target_archE1201ELNS1_3gpuE5ELNS1_3repE0EEENS1_30default_config_static_selectorELNS0_4arch9wavefront6targetE1EEEvT1_
	.p2align	8
	.type	_ZN7rocprim17ROCPRIM_400000_NS6detail17trampoline_kernelINS0_14default_configENS1_20scan_config_selectorIiEEZZNS1_9scan_implILNS1_25lookback_scan_determinismE0ELb0ELb1ES3_N6thrust23THRUST_200600_302600_NS6detail15normal_iteratorINS9_10device_ptrIiEEEESE_iNS9_4plusIiEEiEEDaPvRmT3_T4_T5_mT6_P12ihipStream_tbENKUlT_T0_E_clISt17integral_constantIbLb0EESU_EEDaSP_SQ_EUlSP_E_NS1_11comp_targetILNS1_3genE10ELNS1_11target_archE1201ELNS1_3gpuE5ELNS1_3repE0EEENS1_30default_config_static_selectorELNS0_4arch9wavefront6targetE1EEEvT1_,@function
_ZN7rocprim17ROCPRIM_400000_NS6detail17trampoline_kernelINS0_14default_configENS1_20scan_config_selectorIiEEZZNS1_9scan_implILNS1_25lookback_scan_determinismE0ELb0ELb1ES3_N6thrust23THRUST_200600_302600_NS6detail15normal_iteratorINS9_10device_ptrIiEEEESE_iNS9_4plusIiEEiEEDaPvRmT3_T4_T5_mT6_P12ihipStream_tbENKUlT_T0_E_clISt17integral_constantIbLb0EESU_EEDaSP_SQ_EUlSP_E_NS1_11comp_targetILNS1_3genE10ELNS1_11target_archE1201ELNS1_3gpuE5ELNS1_3repE0EEENS1_30default_config_static_selectorELNS0_4arch9wavefront6targetE1EEEvT1_: ; @_ZN7rocprim17ROCPRIM_400000_NS6detail17trampoline_kernelINS0_14default_configENS1_20scan_config_selectorIiEEZZNS1_9scan_implILNS1_25lookback_scan_determinismE0ELb0ELb1ES3_N6thrust23THRUST_200600_302600_NS6detail15normal_iteratorINS9_10device_ptrIiEEEESE_iNS9_4plusIiEEiEEDaPvRmT3_T4_T5_mT6_P12ihipStream_tbENKUlT_T0_E_clISt17integral_constantIbLb0EESU_EEDaSP_SQ_EUlSP_E_NS1_11comp_targetILNS1_3genE10ELNS1_11target_archE1201ELNS1_3gpuE5ELNS1_3repE0EEENS1_30default_config_static_selectorELNS0_4arch9wavefront6targetE1EEEvT1_
; %bb.0:
	.section	.rodata,"a",@progbits
	.p2align	6, 0x0
	.amdhsa_kernel _ZN7rocprim17ROCPRIM_400000_NS6detail17trampoline_kernelINS0_14default_configENS1_20scan_config_selectorIiEEZZNS1_9scan_implILNS1_25lookback_scan_determinismE0ELb0ELb1ES3_N6thrust23THRUST_200600_302600_NS6detail15normal_iteratorINS9_10device_ptrIiEEEESE_iNS9_4plusIiEEiEEDaPvRmT3_T4_T5_mT6_P12ihipStream_tbENKUlT_T0_E_clISt17integral_constantIbLb0EESU_EEDaSP_SQ_EUlSP_E_NS1_11comp_targetILNS1_3genE10ELNS1_11target_archE1201ELNS1_3gpuE5ELNS1_3repE0EEENS1_30default_config_static_selectorELNS0_4arch9wavefront6targetE1EEEvT1_
		.amdhsa_group_segment_fixed_size 0
		.amdhsa_private_segment_fixed_size 0
		.amdhsa_kernarg_size 96
		.amdhsa_user_sgpr_count 6
		.amdhsa_user_sgpr_private_segment_buffer 1
		.amdhsa_user_sgpr_dispatch_ptr 0
		.amdhsa_user_sgpr_queue_ptr 0
		.amdhsa_user_sgpr_kernarg_segment_ptr 1
		.amdhsa_user_sgpr_dispatch_id 0
		.amdhsa_user_sgpr_flat_scratch_init 0
		.amdhsa_user_sgpr_kernarg_preload_length 0
		.amdhsa_user_sgpr_kernarg_preload_offset 0
		.amdhsa_user_sgpr_private_segment_size 0
		.amdhsa_uses_dynamic_stack 0
		.amdhsa_system_sgpr_private_segment_wavefront_offset 0
		.amdhsa_system_sgpr_workgroup_id_x 1
		.amdhsa_system_sgpr_workgroup_id_y 0
		.amdhsa_system_sgpr_workgroup_id_z 0
		.amdhsa_system_sgpr_workgroup_info 0
		.amdhsa_system_vgpr_workitem_id 0
		.amdhsa_next_free_vgpr 1
		.amdhsa_next_free_sgpr 0
		.amdhsa_accum_offset 4
		.amdhsa_reserve_vcc 0
		.amdhsa_reserve_flat_scratch 0
		.amdhsa_float_round_mode_32 0
		.amdhsa_float_round_mode_16_64 0
		.amdhsa_float_denorm_mode_32 3
		.amdhsa_float_denorm_mode_16_64 3
		.amdhsa_dx10_clamp 1
		.amdhsa_ieee_mode 1
		.amdhsa_fp16_overflow 0
		.amdhsa_tg_split 0
		.amdhsa_exception_fp_ieee_invalid_op 0
		.amdhsa_exception_fp_denorm_src 0
		.amdhsa_exception_fp_ieee_div_zero 0
		.amdhsa_exception_fp_ieee_overflow 0
		.amdhsa_exception_fp_ieee_underflow 0
		.amdhsa_exception_fp_ieee_inexact 0
		.amdhsa_exception_int_div_zero 0
	.end_amdhsa_kernel
	.section	.text._ZN7rocprim17ROCPRIM_400000_NS6detail17trampoline_kernelINS0_14default_configENS1_20scan_config_selectorIiEEZZNS1_9scan_implILNS1_25lookback_scan_determinismE0ELb0ELb1ES3_N6thrust23THRUST_200600_302600_NS6detail15normal_iteratorINS9_10device_ptrIiEEEESE_iNS9_4plusIiEEiEEDaPvRmT3_T4_T5_mT6_P12ihipStream_tbENKUlT_T0_E_clISt17integral_constantIbLb0EESU_EEDaSP_SQ_EUlSP_E_NS1_11comp_targetILNS1_3genE10ELNS1_11target_archE1201ELNS1_3gpuE5ELNS1_3repE0EEENS1_30default_config_static_selectorELNS0_4arch9wavefront6targetE1EEEvT1_,"axG",@progbits,_ZN7rocprim17ROCPRIM_400000_NS6detail17trampoline_kernelINS0_14default_configENS1_20scan_config_selectorIiEEZZNS1_9scan_implILNS1_25lookback_scan_determinismE0ELb0ELb1ES3_N6thrust23THRUST_200600_302600_NS6detail15normal_iteratorINS9_10device_ptrIiEEEESE_iNS9_4plusIiEEiEEDaPvRmT3_T4_T5_mT6_P12ihipStream_tbENKUlT_T0_E_clISt17integral_constantIbLb0EESU_EEDaSP_SQ_EUlSP_E_NS1_11comp_targetILNS1_3genE10ELNS1_11target_archE1201ELNS1_3gpuE5ELNS1_3repE0EEENS1_30default_config_static_selectorELNS0_4arch9wavefront6targetE1EEEvT1_,comdat
.Lfunc_end737:
	.size	_ZN7rocprim17ROCPRIM_400000_NS6detail17trampoline_kernelINS0_14default_configENS1_20scan_config_selectorIiEEZZNS1_9scan_implILNS1_25lookback_scan_determinismE0ELb0ELb1ES3_N6thrust23THRUST_200600_302600_NS6detail15normal_iteratorINS9_10device_ptrIiEEEESE_iNS9_4plusIiEEiEEDaPvRmT3_T4_T5_mT6_P12ihipStream_tbENKUlT_T0_E_clISt17integral_constantIbLb0EESU_EEDaSP_SQ_EUlSP_E_NS1_11comp_targetILNS1_3genE10ELNS1_11target_archE1201ELNS1_3gpuE5ELNS1_3repE0EEENS1_30default_config_static_selectorELNS0_4arch9wavefront6targetE1EEEvT1_, .Lfunc_end737-_ZN7rocprim17ROCPRIM_400000_NS6detail17trampoline_kernelINS0_14default_configENS1_20scan_config_selectorIiEEZZNS1_9scan_implILNS1_25lookback_scan_determinismE0ELb0ELb1ES3_N6thrust23THRUST_200600_302600_NS6detail15normal_iteratorINS9_10device_ptrIiEEEESE_iNS9_4plusIiEEiEEDaPvRmT3_T4_T5_mT6_P12ihipStream_tbENKUlT_T0_E_clISt17integral_constantIbLb0EESU_EEDaSP_SQ_EUlSP_E_NS1_11comp_targetILNS1_3genE10ELNS1_11target_archE1201ELNS1_3gpuE5ELNS1_3repE0EEENS1_30default_config_static_selectorELNS0_4arch9wavefront6targetE1EEEvT1_
                                        ; -- End function
	.section	.AMDGPU.csdata,"",@progbits
; Kernel info:
; codeLenInByte = 0
; NumSgprs: 4
; NumVgprs: 0
; NumAgprs: 0
; TotalNumVgprs: 0
; ScratchSize: 0
; MemoryBound: 0
; FloatMode: 240
; IeeeMode: 1
; LDSByteSize: 0 bytes/workgroup (compile time only)
; SGPRBlocks: 0
; VGPRBlocks: 0
; NumSGPRsForWavesPerEU: 4
; NumVGPRsForWavesPerEU: 1
; AccumOffset: 4
; Occupancy: 8
; WaveLimiterHint : 0
; COMPUTE_PGM_RSRC2:SCRATCH_EN: 0
; COMPUTE_PGM_RSRC2:USER_SGPR: 6
; COMPUTE_PGM_RSRC2:TRAP_HANDLER: 0
; COMPUTE_PGM_RSRC2:TGID_X_EN: 1
; COMPUTE_PGM_RSRC2:TGID_Y_EN: 0
; COMPUTE_PGM_RSRC2:TGID_Z_EN: 0
; COMPUTE_PGM_RSRC2:TIDIG_COMP_CNT: 0
; COMPUTE_PGM_RSRC3_GFX90A:ACCUM_OFFSET: 0
; COMPUTE_PGM_RSRC3_GFX90A:TG_SPLIT: 0
	.section	.text._ZN7rocprim17ROCPRIM_400000_NS6detail17trampoline_kernelINS0_14default_configENS1_20scan_config_selectorIiEEZZNS1_9scan_implILNS1_25lookback_scan_determinismE0ELb0ELb1ES3_N6thrust23THRUST_200600_302600_NS6detail15normal_iteratorINS9_10device_ptrIiEEEESE_iNS9_4plusIiEEiEEDaPvRmT3_T4_T5_mT6_P12ihipStream_tbENKUlT_T0_E_clISt17integral_constantIbLb0EESU_EEDaSP_SQ_EUlSP_E_NS1_11comp_targetILNS1_3genE10ELNS1_11target_archE1200ELNS1_3gpuE4ELNS1_3repE0EEENS1_30default_config_static_selectorELNS0_4arch9wavefront6targetE1EEEvT1_,"axG",@progbits,_ZN7rocprim17ROCPRIM_400000_NS6detail17trampoline_kernelINS0_14default_configENS1_20scan_config_selectorIiEEZZNS1_9scan_implILNS1_25lookback_scan_determinismE0ELb0ELb1ES3_N6thrust23THRUST_200600_302600_NS6detail15normal_iteratorINS9_10device_ptrIiEEEESE_iNS9_4plusIiEEiEEDaPvRmT3_T4_T5_mT6_P12ihipStream_tbENKUlT_T0_E_clISt17integral_constantIbLb0EESU_EEDaSP_SQ_EUlSP_E_NS1_11comp_targetILNS1_3genE10ELNS1_11target_archE1200ELNS1_3gpuE4ELNS1_3repE0EEENS1_30default_config_static_selectorELNS0_4arch9wavefront6targetE1EEEvT1_,comdat
	.protected	_ZN7rocprim17ROCPRIM_400000_NS6detail17trampoline_kernelINS0_14default_configENS1_20scan_config_selectorIiEEZZNS1_9scan_implILNS1_25lookback_scan_determinismE0ELb0ELb1ES3_N6thrust23THRUST_200600_302600_NS6detail15normal_iteratorINS9_10device_ptrIiEEEESE_iNS9_4plusIiEEiEEDaPvRmT3_T4_T5_mT6_P12ihipStream_tbENKUlT_T0_E_clISt17integral_constantIbLb0EESU_EEDaSP_SQ_EUlSP_E_NS1_11comp_targetILNS1_3genE10ELNS1_11target_archE1200ELNS1_3gpuE4ELNS1_3repE0EEENS1_30default_config_static_selectorELNS0_4arch9wavefront6targetE1EEEvT1_ ; -- Begin function _ZN7rocprim17ROCPRIM_400000_NS6detail17trampoline_kernelINS0_14default_configENS1_20scan_config_selectorIiEEZZNS1_9scan_implILNS1_25lookback_scan_determinismE0ELb0ELb1ES3_N6thrust23THRUST_200600_302600_NS6detail15normal_iteratorINS9_10device_ptrIiEEEESE_iNS9_4plusIiEEiEEDaPvRmT3_T4_T5_mT6_P12ihipStream_tbENKUlT_T0_E_clISt17integral_constantIbLb0EESU_EEDaSP_SQ_EUlSP_E_NS1_11comp_targetILNS1_3genE10ELNS1_11target_archE1200ELNS1_3gpuE4ELNS1_3repE0EEENS1_30default_config_static_selectorELNS0_4arch9wavefront6targetE1EEEvT1_
	.globl	_ZN7rocprim17ROCPRIM_400000_NS6detail17trampoline_kernelINS0_14default_configENS1_20scan_config_selectorIiEEZZNS1_9scan_implILNS1_25lookback_scan_determinismE0ELb0ELb1ES3_N6thrust23THRUST_200600_302600_NS6detail15normal_iteratorINS9_10device_ptrIiEEEESE_iNS9_4plusIiEEiEEDaPvRmT3_T4_T5_mT6_P12ihipStream_tbENKUlT_T0_E_clISt17integral_constantIbLb0EESU_EEDaSP_SQ_EUlSP_E_NS1_11comp_targetILNS1_3genE10ELNS1_11target_archE1200ELNS1_3gpuE4ELNS1_3repE0EEENS1_30default_config_static_selectorELNS0_4arch9wavefront6targetE1EEEvT1_
	.p2align	8
	.type	_ZN7rocprim17ROCPRIM_400000_NS6detail17trampoline_kernelINS0_14default_configENS1_20scan_config_selectorIiEEZZNS1_9scan_implILNS1_25lookback_scan_determinismE0ELb0ELb1ES3_N6thrust23THRUST_200600_302600_NS6detail15normal_iteratorINS9_10device_ptrIiEEEESE_iNS9_4plusIiEEiEEDaPvRmT3_T4_T5_mT6_P12ihipStream_tbENKUlT_T0_E_clISt17integral_constantIbLb0EESU_EEDaSP_SQ_EUlSP_E_NS1_11comp_targetILNS1_3genE10ELNS1_11target_archE1200ELNS1_3gpuE4ELNS1_3repE0EEENS1_30default_config_static_selectorELNS0_4arch9wavefront6targetE1EEEvT1_,@function
_ZN7rocprim17ROCPRIM_400000_NS6detail17trampoline_kernelINS0_14default_configENS1_20scan_config_selectorIiEEZZNS1_9scan_implILNS1_25lookback_scan_determinismE0ELb0ELb1ES3_N6thrust23THRUST_200600_302600_NS6detail15normal_iteratorINS9_10device_ptrIiEEEESE_iNS9_4plusIiEEiEEDaPvRmT3_T4_T5_mT6_P12ihipStream_tbENKUlT_T0_E_clISt17integral_constantIbLb0EESU_EEDaSP_SQ_EUlSP_E_NS1_11comp_targetILNS1_3genE10ELNS1_11target_archE1200ELNS1_3gpuE4ELNS1_3repE0EEENS1_30default_config_static_selectorELNS0_4arch9wavefront6targetE1EEEvT1_: ; @_ZN7rocprim17ROCPRIM_400000_NS6detail17trampoline_kernelINS0_14default_configENS1_20scan_config_selectorIiEEZZNS1_9scan_implILNS1_25lookback_scan_determinismE0ELb0ELb1ES3_N6thrust23THRUST_200600_302600_NS6detail15normal_iteratorINS9_10device_ptrIiEEEESE_iNS9_4plusIiEEiEEDaPvRmT3_T4_T5_mT6_P12ihipStream_tbENKUlT_T0_E_clISt17integral_constantIbLb0EESU_EEDaSP_SQ_EUlSP_E_NS1_11comp_targetILNS1_3genE10ELNS1_11target_archE1200ELNS1_3gpuE4ELNS1_3repE0EEENS1_30default_config_static_selectorELNS0_4arch9wavefront6targetE1EEEvT1_
; %bb.0:
	.section	.rodata,"a",@progbits
	.p2align	6, 0x0
	.amdhsa_kernel _ZN7rocprim17ROCPRIM_400000_NS6detail17trampoline_kernelINS0_14default_configENS1_20scan_config_selectorIiEEZZNS1_9scan_implILNS1_25lookback_scan_determinismE0ELb0ELb1ES3_N6thrust23THRUST_200600_302600_NS6detail15normal_iteratorINS9_10device_ptrIiEEEESE_iNS9_4plusIiEEiEEDaPvRmT3_T4_T5_mT6_P12ihipStream_tbENKUlT_T0_E_clISt17integral_constantIbLb0EESU_EEDaSP_SQ_EUlSP_E_NS1_11comp_targetILNS1_3genE10ELNS1_11target_archE1200ELNS1_3gpuE4ELNS1_3repE0EEENS1_30default_config_static_selectorELNS0_4arch9wavefront6targetE1EEEvT1_
		.amdhsa_group_segment_fixed_size 0
		.amdhsa_private_segment_fixed_size 0
		.amdhsa_kernarg_size 96
		.amdhsa_user_sgpr_count 6
		.amdhsa_user_sgpr_private_segment_buffer 1
		.amdhsa_user_sgpr_dispatch_ptr 0
		.amdhsa_user_sgpr_queue_ptr 0
		.amdhsa_user_sgpr_kernarg_segment_ptr 1
		.amdhsa_user_sgpr_dispatch_id 0
		.amdhsa_user_sgpr_flat_scratch_init 0
		.amdhsa_user_sgpr_kernarg_preload_length 0
		.amdhsa_user_sgpr_kernarg_preload_offset 0
		.amdhsa_user_sgpr_private_segment_size 0
		.amdhsa_uses_dynamic_stack 0
		.amdhsa_system_sgpr_private_segment_wavefront_offset 0
		.amdhsa_system_sgpr_workgroup_id_x 1
		.amdhsa_system_sgpr_workgroup_id_y 0
		.amdhsa_system_sgpr_workgroup_id_z 0
		.amdhsa_system_sgpr_workgroup_info 0
		.amdhsa_system_vgpr_workitem_id 0
		.amdhsa_next_free_vgpr 1
		.amdhsa_next_free_sgpr 0
		.amdhsa_accum_offset 4
		.amdhsa_reserve_vcc 0
		.amdhsa_reserve_flat_scratch 0
		.amdhsa_float_round_mode_32 0
		.amdhsa_float_round_mode_16_64 0
		.amdhsa_float_denorm_mode_32 3
		.amdhsa_float_denorm_mode_16_64 3
		.amdhsa_dx10_clamp 1
		.amdhsa_ieee_mode 1
		.amdhsa_fp16_overflow 0
		.amdhsa_tg_split 0
		.amdhsa_exception_fp_ieee_invalid_op 0
		.amdhsa_exception_fp_denorm_src 0
		.amdhsa_exception_fp_ieee_div_zero 0
		.amdhsa_exception_fp_ieee_overflow 0
		.amdhsa_exception_fp_ieee_underflow 0
		.amdhsa_exception_fp_ieee_inexact 0
		.amdhsa_exception_int_div_zero 0
	.end_amdhsa_kernel
	.section	.text._ZN7rocprim17ROCPRIM_400000_NS6detail17trampoline_kernelINS0_14default_configENS1_20scan_config_selectorIiEEZZNS1_9scan_implILNS1_25lookback_scan_determinismE0ELb0ELb1ES3_N6thrust23THRUST_200600_302600_NS6detail15normal_iteratorINS9_10device_ptrIiEEEESE_iNS9_4plusIiEEiEEDaPvRmT3_T4_T5_mT6_P12ihipStream_tbENKUlT_T0_E_clISt17integral_constantIbLb0EESU_EEDaSP_SQ_EUlSP_E_NS1_11comp_targetILNS1_3genE10ELNS1_11target_archE1200ELNS1_3gpuE4ELNS1_3repE0EEENS1_30default_config_static_selectorELNS0_4arch9wavefront6targetE1EEEvT1_,"axG",@progbits,_ZN7rocprim17ROCPRIM_400000_NS6detail17trampoline_kernelINS0_14default_configENS1_20scan_config_selectorIiEEZZNS1_9scan_implILNS1_25lookback_scan_determinismE0ELb0ELb1ES3_N6thrust23THRUST_200600_302600_NS6detail15normal_iteratorINS9_10device_ptrIiEEEESE_iNS9_4plusIiEEiEEDaPvRmT3_T4_T5_mT6_P12ihipStream_tbENKUlT_T0_E_clISt17integral_constantIbLb0EESU_EEDaSP_SQ_EUlSP_E_NS1_11comp_targetILNS1_3genE10ELNS1_11target_archE1200ELNS1_3gpuE4ELNS1_3repE0EEENS1_30default_config_static_selectorELNS0_4arch9wavefront6targetE1EEEvT1_,comdat
.Lfunc_end738:
	.size	_ZN7rocprim17ROCPRIM_400000_NS6detail17trampoline_kernelINS0_14default_configENS1_20scan_config_selectorIiEEZZNS1_9scan_implILNS1_25lookback_scan_determinismE0ELb0ELb1ES3_N6thrust23THRUST_200600_302600_NS6detail15normal_iteratorINS9_10device_ptrIiEEEESE_iNS9_4plusIiEEiEEDaPvRmT3_T4_T5_mT6_P12ihipStream_tbENKUlT_T0_E_clISt17integral_constantIbLb0EESU_EEDaSP_SQ_EUlSP_E_NS1_11comp_targetILNS1_3genE10ELNS1_11target_archE1200ELNS1_3gpuE4ELNS1_3repE0EEENS1_30default_config_static_selectorELNS0_4arch9wavefront6targetE1EEEvT1_, .Lfunc_end738-_ZN7rocprim17ROCPRIM_400000_NS6detail17trampoline_kernelINS0_14default_configENS1_20scan_config_selectorIiEEZZNS1_9scan_implILNS1_25lookback_scan_determinismE0ELb0ELb1ES3_N6thrust23THRUST_200600_302600_NS6detail15normal_iteratorINS9_10device_ptrIiEEEESE_iNS9_4plusIiEEiEEDaPvRmT3_T4_T5_mT6_P12ihipStream_tbENKUlT_T0_E_clISt17integral_constantIbLb0EESU_EEDaSP_SQ_EUlSP_E_NS1_11comp_targetILNS1_3genE10ELNS1_11target_archE1200ELNS1_3gpuE4ELNS1_3repE0EEENS1_30default_config_static_selectorELNS0_4arch9wavefront6targetE1EEEvT1_
                                        ; -- End function
	.section	.AMDGPU.csdata,"",@progbits
; Kernel info:
; codeLenInByte = 0
; NumSgprs: 4
; NumVgprs: 0
; NumAgprs: 0
; TotalNumVgprs: 0
; ScratchSize: 0
; MemoryBound: 0
; FloatMode: 240
; IeeeMode: 1
; LDSByteSize: 0 bytes/workgroup (compile time only)
; SGPRBlocks: 0
; VGPRBlocks: 0
; NumSGPRsForWavesPerEU: 4
; NumVGPRsForWavesPerEU: 1
; AccumOffset: 4
; Occupancy: 8
; WaveLimiterHint : 0
; COMPUTE_PGM_RSRC2:SCRATCH_EN: 0
; COMPUTE_PGM_RSRC2:USER_SGPR: 6
; COMPUTE_PGM_RSRC2:TRAP_HANDLER: 0
; COMPUTE_PGM_RSRC2:TGID_X_EN: 1
; COMPUTE_PGM_RSRC2:TGID_Y_EN: 0
; COMPUTE_PGM_RSRC2:TGID_Z_EN: 0
; COMPUTE_PGM_RSRC2:TIDIG_COMP_CNT: 0
; COMPUTE_PGM_RSRC3_GFX90A:ACCUM_OFFSET: 0
; COMPUTE_PGM_RSRC3_GFX90A:TG_SPLIT: 0
	.section	.text._ZN7rocprim17ROCPRIM_400000_NS6detail17trampoline_kernelINS0_14default_configENS1_20scan_config_selectorIiEEZZNS1_9scan_implILNS1_25lookback_scan_determinismE0ELb0ELb1ES3_N6thrust23THRUST_200600_302600_NS6detail15normal_iteratorINS9_10device_ptrIiEEEESE_iNS9_4plusIiEEiEEDaPvRmT3_T4_T5_mT6_P12ihipStream_tbENKUlT_T0_E_clISt17integral_constantIbLb0EESU_EEDaSP_SQ_EUlSP_E_NS1_11comp_targetILNS1_3genE9ELNS1_11target_archE1100ELNS1_3gpuE3ELNS1_3repE0EEENS1_30default_config_static_selectorELNS0_4arch9wavefront6targetE1EEEvT1_,"axG",@progbits,_ZN7rocprim17ROCPRIM_400000_NS6detail17trampoline_kernelINS0_14default_configENS1_20scan_config_selectorIiEEZZNS1_9scan_implILNS1_25lookback_scan_determinismE0ELb0ELb1ES3_N6thrust23THRUST_200600_302600_NS6detail15normal_iteratorINS9_10device_ptrIiEEEESE_iNS9_4plusIiEEiEEDaPvRmT3_T4_T5_mT6_P12ihipStream_tbENKUlT_T0_E_clISt17integral_constantIbLb0EESU_EEDaSP_SQ_EUlSP_E_NS1_11comp_targetILNS1_3genE9ELNS1_11target_archE1100ELNS1_3gpuE3ELNS1_3repE0EEENS1_30default_config_static_selectorELNS0_4arch9wavefront6targetE1EEEvT1_,comdat
	.protected	_ZN7rocprim17ROCPRIM_400000_NS6detail17trampoline_kernelINS0_14default_configENS1_20scan_config_selectorIiEEZZNS1_9scan_implILNS1_25lookback_scan_determinismE0ELb0ELb1ES3_N6thrust23THRUST_200600_302600_NS6detail15normal_iteratorINS9_10device_ptrIiEEEESE_iNS9_4plusIiEEiEEDaPvRmT3_T4_T5_mT6_P12ihipStream_tbENKUlT_T0_E_clISt17integral_constantIbLb0EESU_EEDaSP_SQ_EUlSP_E_NS1_11comp_targetILNS1_3genE9ELNS1_11target_archE1100ELNS1_3gpuE3ELNS1_3repE0EEENS1_30default_config_static_selectorELNS0_4arch9wavefront6targetE1EEEvT1_ ; -- Begin function _ZN7rocprim17ROCPRIM_400000_NS6detail17trampoline_kernelINS0_14default_configENS1_20scan_config_selectorIiEEZZNS1_9scan_implILNS1_25lookback_scan_determinismE0ELb0ELb1ES3_N6thrust23THRUST_200600_302600_NS6detail15normal_iteratorINS9_10device_ptrIiEEEESE_iNS9_4plusIiEEiEEDaPvRmT3_T4_T5_mT6_P12ihipStream_tbENKUlT_T0_E_clISt17integral_constantIbLb0EESU_EEDaSP_SQ_EUlSP_E_NS1_11comp_targetILNS1_3genE9ELNS1_11target_archE1100ELNS1_3gpuE3ELNS1_3repE0EEENS1_30default_config_static_selectorELNS0_4arch9wavefront6targetE1EEEvT1_
	.globl	_ZN7rocprim17ROCPRIM_400000_NS6detail17trampoline_kernelINS0_14default_configENS1_20scan_config_selectorIiEEZZNS1_9scan_implILNS1_25lookback_scan_determinismE0ELb0ELb1ES3_N6thrust23THRUST_200600_302600_NS6detail15normal_iteratorINS9_10device_ptrIiEEEESE_iNS9_4plusIiEEiEEDaPvRmT3_T4_T5_mT6_P12ihipStream_tbENKUlT_T0_E_clISt17integral_constantIbLb0EESU_EEDaSP_SQ_EUlSP_E_NS1_11comp_targetILNS1_3genE9ELNS1_11target_archE1100ELNS1_3gpuE3ELNS1_3repE0EEENS1_30default_config_static_selectorELNS0_4arch9wavefront6targetE1EEEvT1_
	.p2align	8
	.type	_ZN7rocprim17ROCPRIM_400000_NS6detail17trampoline_kernelINS0_14default_configENS1_20scan_config_selectorIiEEZZNS1_9scan_implILNS1_25lookback_scan_determinismE0ELb0ELb1ES3_N6thrust23THRUST_200600_302600_NS6detail15normal_iteratorINS9_10device_ptrIiEEEESE_iNS9_4plusIiEEiEEDaPvRmT3_T4_T5_mT6_P12ihipStream_tbENKUlT_T0_E_clISt17integral_constantIbLb0EESU_EEDaSP_SQ_EUlSP_E_NS1_11comp_targetILNS1_3genE9ELNS1_11target_archE1100ELNS1_3gpuE3ELNS1_3repE0EEENS1_30default_config_static_selectorELNS0_4arch9wavefront6targetE1EEEvT1_,@function
_ZN7rocprim17ROCPRIM_400000_NS6detail17trampoline_kernelINS0_14default_configENS1_20scan_config_selectorIiEEZZNS1_9scan_implILNS1_25lookback_scan_determinismE0ELb0ELb1ES3_N6thrust23THRUST_200600_302600_NS6detail15normal_iteratorINS9_10device_ptrIiEEEESE_iNS9_4plusIiEEiEEDaPvRmT3_T4_T5_mT6_P12ihipStream_tbENKUlT_T0_E_clISt17integral_constantIbLb0EESU_EEDaSP_SQ_EUlSP_E_NS1_11comp_targetILNS1_3genE9ELNS1_11target_archE1100ELNS1_3gpuE3ELNS1_3repE0EEENS1_30default_config_static_selectorELNS0_4arch9wavefront6targetE1EEEvT1_: ; @_ZN7rocprim17ROCPRIM_400000_NS6detail17trampoline_kernelINS0_14default_configENS1_20scan_config_selectorIiEEZZNS1_9scan_implILNS1_25lookback_scan_determinismE0ELb0ELb1ES3_N6thrust23THRUST_200600_302600_NS6detail15normal_iteratorINS9_10device_ptrIiEEEESE_iNS9_4plusIiEEiEEDaPvRmT3_T4_T5_mT6_P12ihipStream_tbENKUlT_T0_E_clISt17integral_constantIbLb0EESU_EEDaSP_SQ_EUlSP_E_NS1_11comp_targetILNS1_3genE9ELNS1_11target_archE1100ELNS1_3gpuE3ELNS1_3repE0EEENS1_30default_config_static_selectorELNS0_4arch9wavefront6targetE1EEEvT1_
; %bb.0:
	.section	.rodata,"a",@progbits
	.p2align	6, 0x0
	.amdhsa_kernel _ZN7rocprim17ROCPRIM_400000_NS6detail17trampoline_kernelINS0_14default_configENS1_20scan_config_selectorIiEEZZNS1_9scan_implILNS1_25lookback_scan_determinismE0ELb0ELb1ES3_N6thrust23THRUST_200600_302600_NS6detail15normal_iteratorINS9_10device_ptrIiEEEESE_iNS9_4plusIiEEiEEDaPvRmT3_T4_T5_mT6_P12ihipStream_tbENKUlT_T0_E_clISt17integral_constantIbLb0EESU_EEDaSP_SQ_EUlSP_E_NS1_11comp_targetILNS1_3genE9ELNS1_11target_archE1100ELNS1_3gpuE3ELNS1_3repE0EEENS1_30default_config_static_selectorELNS0_4arch9wavefront6targetE1EEEvT1_
		.amdhsa_group_segment_fixed_size 0
		.amdhsa_private_segment_fixed_size 0
		.amdhsa_kernarg_size 96
		.amdhsa_user_sgpr_count 6
		.amdhsa_user_sgpr_private_segment_buffer 1
		.amdhsa_user_sgpr_dispatch_ptr 0
		.amdhsa_user_sgpr_queue_ptr 0
		.amdhsa_user_sgpr_kernarg_segment_ptr 1
		.amdhsa_user_sgpr_dispatch_id 0
		.amdhsa_user_sgpr_flat_scratch_init 0
		.amdhsa_user_sgpr_kernarg_preload_length 0
		.amdhsa_user_sgpr_kernarg_preload_offset 0
		.amdhsa_user_sgpr_private_segment_size 0
		.amdhsa_uses_dynamic_stack 0
		.amdhsa_system_sgpr_private_segment_wavefront_offset 0
		.amdhsa_system_sgpr_workgroup_id_x 1
		.amdhsa_system_sgpr_workgroup_id_y 0
		.amdhsa_system_sgpr_workgroup_id_z 0
		.amdhsa_system_sgpr_workgroup_info 0
		.amdhsa_system_vgpr_workitem_id 0
		.amdhsa_next_free_vgpr 1
		.amdhsa_next_free_sgpr 0
		.amdhsa_accum_offset 4
		.amdhsa_reserve_vcc 0
		.amdhsa_reserve_flat_scratch 0
		.amdhsa_float_round_mode_32 0
		.amdhsa_float_round_mode_16_64 0
		.amdhsa_float_denorm_mode_32 3
		.amdhsa_float_denorm_mode_16_64 3
		.amdhsa_dx10_clamp 1
		.amdhsa_ieee_mode 1
		.amdhsa_fp16_overflow 0
		.amdhsa_tg_split 0
		.amdhsa_exception_fp_ieee_invalid_op 0
		.amdhsa_exception_fp_denorm_src 0
		.amdhsa_exception_fp_ieee_div_zero 0
		.amdhsa_exception_fp_ieee_overflow 0
		.amdhsa_exception_fp_ieee_underflow 0
		.amdhsa_exception_fp_ieee_inexact 0
		.amdhsa_exception_int_div_zero 0
	.end_amdhsa_kernel
	.section	.text._ZN7rocprim17ROCPRIM_400000_NS6detail17trampoline_kernelINS0_14default_configENS1_20scan_config_selectorIiEEZZNS1_9scan_implILNS1_25lookback_scan_determinismE0ELb0ELb1ES3_N6thrust23THRUST_200600_302600_NS6detail15normal_iteratorINS9_10device_ptrIiEEEESE_iNS9_4plusIiEEiEEDaPvRmT3_T4_T5_mT6_P12ihipStream_tbENKUlT_T0_E_clISt17integral_constantIbLb0EESU_EEDaSP_SQ_EUlSP_E_NS1_11comp_targetILNS1_3genE9ELNS1_11target_archE1100ELNS1_3gpuE3ELNS1_3repE0EEENS1_30default_config_static_selectorELNS0_4arch9wavefront6targetE1EEEvT1_,"axG",@progbits,_ZN7rocprim17ROCPRIM_400000_NS6detail17trampoline_kernelINS0_14default_configENS1_20scan_config_selectorIiEEZZNS1_9scan_implILNS1_25lookback_scan_determinismE0ELb0ELb1ES3_N6thrust23THRUST_200600_302600_NS6detail15normal_iteratorINS9_10device_ptrIiEEEESE_iNS9_4plusIiEEiEEDaPvRmT3_T4_T5_mT6_P12ihipStream_tbENKUlT_T0_E_clISt17integral_constantIbLb0EESU_EEDaSP_SQ_EUlSP_E_NS1_11comp_targetILNS1_3genE9ELNS1_11target_archE1100ELNS1_3gpuE3ELNS1_3repE0EEENS1_30default_config_static_selectorELNS0_4arch9wavefront6targetE1EEEvT1_,comdat
.Lfunc_end739:
	.size	_ZN7rocprim17ROCPRIM_400000_NS6detail17trampoline_kernelINS0_14default_configENS1_20scan_config_selectorIiEEZZNS1_9scan_implILNS1_25lookback_scan_determinismE0ELb0ELb1ES3_N6thrust23THRUST_200600_302600_NS6detail15normal_iteratorINS9_10device_ptrIiEEEESE_iNS9_4plusIiEEiEEDaPvRmT3_T4_T5_mT6_P12ihipStream_tbENKUlT_T0_E_clISt17integral_constantIbLb0EESU_EEDaSP_SQ_EUlSP_E_NS1_11comp_targetILNS1_3genE9ELNS1_11target_archE1100ELNS1_3gpuE3ELNS1_3repE0EEENS1_30default_config_static_selectorELNS0_4arch9wavefront6targetE1EEEvT1_, .Lfunc_end739-_ZN7rocprim17ROCPRIM_400000_NS6detail17trampoline_kernelINS0_14default_configENS1_20scan_config_selectorIiEEZZNS1_9scan_implILNS1_25lookback_scan_determinismE0ELb0ELb1ES3_N6thrust23THRUST_200600_302600_NS6detail15normal_iteratorINS9_10device_ptrIiEEEESE_iNS9_4plusIiEEiEEDaPvRmT3_T4_T5_mT6_P12ihipStream_tbENKUlT_T0_E_clISt17integral_constantIbLb0EESU_EEDaSP_SQ_EUlSP_E_NS1_11comp_targetILNS1_3genE9ELNS1_11target_archE1100ELNS1_3gpuE3ELNS1_3repE0EEENS1_30default_config_static_selectorELNS0_4arch9wavefront6targetE1EEEvT1_
                                        ; -- End function
	.section	.AMDGPU.csdata,"",@progbits
; Kernel info:
; codeLenInByte = 0
; NumSgprs: 4
; NumVgprs: 0
; NumAgprs: 0
; TotalNumVgprs: 0
; ScratchSize: 0
; MemoryBound: 0
; FloatMode: 240
; IeeeMode: 1
; LDSByteSize: 0 bytes/workgroup (compile time only)
; SGPRBlocks: 0
; VGPRBlocks: 0
; NumSGPRsForWavesPerEU: 4
; NumVGPRsForWavesPerEU: 1
; AccumOffset: 4
; Occupancy: 8
; WaveLimiterHint : 0
; COMPUTE_PGM_RSRC2:SCRATCH_EN: 0
; COMPUTE_PGM_RSRC2:USER_SGPR: 6
; COMPUTE_PGM_RSRC2:TRAP_HANDLER: 0
; COMPUTE_PGM_RSRC2:TGID_X_EN: 1
; COMPUTE_PGM_RSRC2:TGID_Y_EN: 0
; COMPUTE_PGM_RSRC2:TGID_Z_EN: 0
; COMPUTE_PGM_RSRC2:TIDIG_COMP_CNT: 0
; COMPUTE_PGM_RSRC3_GFX90A:ACCUM_OFFSET: 0
; COMPUTE_PGM_RSRC3_GFX90A:TG_SPLIT: 0
	.section	.text._ZN7rocprim17ROCPRIM_400000_NS6detail17trampoline_kernelINS0_14default_configENS1_20scan_config_selectorIiEEZZNS1_9scan_implILNS1_25lookback_scan_determinismE0ELb0ELb1ES3_N6thrust23THRUST_200600_302600_NS6detail15normal_iteratorINS9_10device_ptrIiEEEESE_iNS9_4plusIiEEiEEDaPvRmT3_T4_T5_mT6_P12ihipStream_tbENKUlT_T0_E_clISt17integral_constantIbLb0EESU_EEDaSP_SQ_EUlSP_E_NS1_11comp_targetILNS1_3genE8ELNS1_11target_archE1030ELNS1_3gpuE2ELNS1_3repE0EEENS1_30default_config_static_selectorELNS0_4arch9wavefront6targetE1EEEvT1_,"axG",@progbits,_ZN7rocprim17ROCPRIM_400000_NS6detail17trampoline_kernelINS0_14default_configENS1_20scan_config_selectorIiEEZZNS1_9scan_implILNS1_25lookback_scan_determinismE0ELb0ELb1ES3_N6thrust23THRUST_200600_302600_NS6detail15normal_iteratorINS9_10device_ptrIiEEEESE_iNS9_4plusIiEEiEEDaPvRmT3_T4_T5_mT6_P12ihipStream_tbENKUlT_T0_E_clISt17integral_constantIbLb0EESU_EEDaSP_SQ_EUlSP_E_NS1_11comp_targetILNS1_3genE8ELNS1_11target_archE1030ELNS1_3gpuE2ELNS1_3repE0EEENS1_30default_config_static_selectorELNS0_4arch9wavefront6targetE1EEEvT1_,comdat
	.protected	_ZN7rocprim17ROCPRIM_400000_NS6detail17trampoline_kernelINS0_14default_configENS1_20scan_config_selectorIiEEZZNS1_9scan_implILNS1_25lookback_scan_determinismE0ELb0ELb1ES3_N6thrust23THRUST_200600_302600_NS6detail15normal_iteratorINS9_10device_ptrIiEEEESE_iNS9_4plusIiEEiEEDaPvRmT3_T4_T5_mT6_P12ihipStream_tbENKUlT_T0_E_clISt17integral_constantIbLb0EESU_EEDaSP_SQ_EUlSP_E_NS1_11comp_targetILNS1_3genE8ELNS1_11target_archE1030ELNS1_3gpuE2ELNS1_3repE0EEENS1_30default_config_static_selectorELNS0_4arch9wavefront6targetE1EEEvT1_ ; -- Begin function _ZN7rocprim17ROCPRIM_400000_NS6detail17trampoline_kernelINS0_14default_configENS1_20scan_config_selectorIiEEZZNS1_9scan_implILNS1_25lookback_scan_determinismE0ELb0ELb1ES3_N6thrust23THRUST_200600_302600_NS6detail15normal_iteratorINS9_10device_ptrIiEEEESE_iNS9_4plusIiEEiEEDaPvRmT3_T4_T5_mT6_P12ihipStream_tbENKUlT_T0_E_clISt17integral_constantIbLb0EESU_EEDaSP_SQ_EUlSP_E_NS1_11comp_targetILNS1_3genE8ELNS1_11target_archE1030ELNS1_3gpuE2ELNS1_3repE0EEENS1_30default_config_static_selectorELNS0_4arch9wavefront6targetE1EEEvT1_
	.globl	_ZN7rocprim17ROCPRIM_400000_NS6detail17trampoline_kernelINS0_14default_configENS1_20scan_config_selectorIiEEZZNS1_9scan_implILNS1_25lookback_scan_determinismE0ELb0ELb1ES3_N6thrust23THRUST_200600_302600_NS6detail15normal_iteratorINS9_10device_ptrIiEEEESE_iNS9_4plusIiEEiEEDaPvRmT3_T4_T5_mT6_P12ihipStream_tbENKUlT_T0_E_clISt17integral_constantIbLb0EESU_EEDaSP_SQ_EUlSP_E_NS1_11comp_targetILNS1_3genE8ELNS1_11target_archE1030ELNS1_3gpuE2ELNS1_3repE0EEENS1_30default_config_static_selectorELNS0_4arch9wavefront6targetE1EEEvT1_
	.p2align	8
	.type	_ZN7rocprim17ROCPRIM_400000_NS6detail17trampoline_kernelINS0_14default_configENS1_20scan_config_selectorIiEEZZNS1_9scan_implILNS1_25lookback_scan_determinismE0ELb0ELb1ES3_N6thrust23THRUST_200600_302600_NS6detail15normal_iteratorINS9_10device_ptrIiEEEESE_iNS9_4plusIiEEiEEDaPvRmT3_T4_T5_mT6_P12ihipStream_tbENKUlT_T0_E_clISt17integral_constantIbLb0EESU_EEDaSP_SQ_EUlSP_E_NS1_11comp_targetILNS1_3genE8ELNS1_11target_archE1030ELNS1_3gpuE2ELNS1_3repE0EEENS1_30default_config_static_selectorELNS0_4arch9wavefront6targetE1EEEvT1_,@function
_ZN7rocprim17ROCPRIM_400000_NS6detail17trampoline_kernelINS0_14default_configENS1_20scan_config_selectorIiEEZZNS1_9scan_implILNS1_25lookback_scan_determinismE0ELb0ELb1ES3_N6thrust23THRUST_200600_302600_NS6detail15normal_iteratorINS9_10device_ptrIiEEEESE_iNS9_4plusIiEEiEEDaPvRmT3_T4_T5_mT6_P12ihipStream_tbENKUlT_T0_E_clISt17integral_constantIbLb0EESU_EEDaSP_SQ_EUlSP_E_NS1_11comp_targetILNS1_3genE8ELNS1_11target_archE1030ELNS1_3gpuE2ELNS1_3repE0EEENS1_30default_config_static_selectorELNS0_4arch9wavefront6targetE1EEEvT1_: ; @_ZN7rocprim17ROCPRIM_400000_NS6detail17trampoline_kernelINS0_14default_configENS1_20scan_config_selectorIiEEZZNS1_9scan_implILNS1_25lookback_scan_determinismE0ELb0ELb1ES3_N6thrust23THRUST_200600_302600_NS6detail15normal_iteratorINS9_10device_ptrIiEEEESE_iNS9_4plusIiEEiEEDaPvRmT3_T4_T5_mT6_P12ihipStream_tbENKUlT_T0_E_clISt17integral_constantIbLb0EESU_EEDaSP_SQ_EUlSP_E_NS1_11comp_targetILNS1_3genE8ELNS1_11target_archE1030ELNS1_3gpuE2ELNS1_3repE0EEENS1_30default_config_static_selectorELNS0_4arch9wavefront6targetE1EEEvT1_
; %bb.0:
	.section	.rodata,"a",@progbits
	.p2align	6, 0x0
	.amdhsa_kernel _ZN7rocprim17ROCPRIM_400000_NS6detail17trampoline_kernelINS0_14default_configENS1_20scan_config_selectorIiEEZZNS1_9scan_implILNS1_25lookback_scan_determinismE0ELb0ELb1ES3_N6thrust23THRUST_200600_302600_NS6detail15normal_iteratorINS9_10device_ptrIiEEEESE_iNS9_4plusIiEEiEEDaPvRmT3_T4_T5_mT6_P12ihipStream_tbENKUlT_T0_E_clISt17integral_constantIbLb0EESU_EEDaSP_SQ_EUlSP_E_NS1_11comp_targetILNS1_3genE8ELNS1_11target_archE1030ELNS1_3gpuE2ELNS1_3repE0EEENS1_30default_config_static_selectorELNS0_4arch9wavefront6targetE1EEEvT1_
		.amdhsa_group_segment_fixed_size 0
		.amdhsa_private_segment_fixed_size 0
		.amdhsa_kernarg_size 96
		.amdhsa_user_sgpr_count 6
		.amdhsa_user_sgpr_private_segment_buffer 1
		.amdhsa_user_sgpr_dispatch_ptr 0
		.amdhsa_user_sgpr_queue_ptr 0
		.amdhsa_user_sgpr_kernarg_segment_ptr 1
		.amdhsa_user_sgpr_dispatch_id 0
		.amdhsa_user_sgpr_flat_scratch_init 0
		.amdhsa_user_sgpr_kernarg_preload_length 0
		.amdhsa_user_sgpr_kernarg_preload_offset 0
		.amdhsa_user_sgpr_private_segment_size 0
		.amdhsa_uses_dynamic_stack 0
		.amdhsa_system_sgpr_private_segment_wavefront_offset 0
		.amdhsa_system_sgpr_workgroup_id_x 1
		.amdhsa_system_sgpr_workgroup_id_y 0
		.amdhsa_system_sgpr_workgroup_id_z 0
		.amdhsa_system_sgpr_workgroup_info 0
		.amdhsa_system_vgpr_workitem_id 0
		.amdhsa_next_free_vgpr 1
		.amdhsa_next_free_sgpr 0
		.amdhsa_accum_offset 4
		.amdhsa_reserve_vcc 0
		.amdhsa_reserve_flat_scratch 0
		.amdhsa_float_round_mode_32 0
		.amdhsa_float_round_mode_16_64 0
		.amdhsa_float_denorm_mode_32 3
		.amdhsa_float_denorm_mode_16_64 3
		.amdhsa_dx10_clamp 1
		.amdhsa_ieee_mode 1
		.amdhsa_fp16_overflow 0
		.amdhsa_tg_split 0
		.amdhsa_exception_fp_ieee_invalid_op 0
		.amdhsa_exception_fp_denorm_src 0
		.amdhsa_exception_fp_ieee_div_zero 0
		.amdhsa_exception_fp_ieee_overflow 0
		.amdhsa_exception_fp_ieee_underflow 0
		.amdhsa_exception_fp_ieee_inexact 0
		.amdhsa_exception_int_div_zero 0
	.end_amdhsa_kernel
	.section	.text._ZN7rocprim17ROCPRIM_400000_NS6detail17trampoline_kernelINS0_14default_configENS1_20scan_config_selectorIiEEZZNS1_9scan_implILNS1_25lookback_scan_determinismE0ELb0ELb1ES3_N6thrust23THRUST_200600_302600_NS6detail15normal_iteratorINS9_10device_ptrIiEEEESE_iNS9_4plusIiEEiEEDaPvRmT3_T4_T5_mT6_P12ihipStream_tbENKUlT_T0_E_clISt17integral_constantIbLb0EESU_EEDaSP_SQ_EUlSP_E_NS1_11comp_targetILNS1_3genE8ELNS1_11target_archE1030ELNS1_3gpuE2ELNS1_3repE0EEENS1_30default_config_static_selectorELNS0_4arch9wavefront6targetE1EEEvT1_,"axG",@progbits,_ZN7rocprim17ROCPRIM_400000_NS6detail17trampoline_kernelINS0_14default_configENS1_20scan_config_selectorIiEEZZNS1_9scan_implILNS1_25lookback_scan_determinismE0ELb0ELb1ES3_N6thrust23THRUST_200600_302600_NS6detail15normal_iteratorINS9_10device_ptrIiEEEESE_iNS9_4plusIiEEiEEDaPvRmT3_T4_T5_mT6_P12ihipStream_tbENKUlT_T0_E_clISt17integral_constantIbLb0EESU_EEDaSP_SQ_EUlSP_E_NS1_11comp_targetILNS1_3genE8ELNS1_11target_archE1030ELNS1_3gpuE2ELNS1_3repE0EEENS1_30default_config_static_selectorELNS0_4arch9wavefront6targetE1EEEvT1_,comdat
.Lfunc_end740:
	.size	_ZN7rocprim17ROCPRIM_400000_NS6detail17trampoline_kernelINS0_14default_configENS1_20scan_config_selectorIiEEZZNS1_9scan_implILNS1_25lookback_scan_determinismE0ELb0ELb1ES3_N6thrust23THRUST_200600_302600_NS6detail15normal_iteratorINS9_10device_ptrIiEEEESE_iNS9_4plusIiEEiEEDaPvRmT3_T4_T5_mT6_P12ihipStream_tbENKUlT_T0_E_clISt17integral_constantIbLb0EESU_EEDaSP_SQ_EUlSP_E_NS1_11comp_targetILNS1_3genE8ELNS1_11target_archE1030ELNS1_3gpuE2ELNS1_3repE0EEENS1_30default_config_static_selectorELNS0_4arch9wavefront6targetE1EEEvT1_, .Lfunc_end740-_ZN7rocprim17ROCPRIM_400000_NS6detail17trampoline_kernelINS0_14default_configENS1_20scan_config_selectorIiEEZZNS1_9scan_implILNS1_25lookback_scan_determinismE0ELb0ELb1ES3_N6thrust23THRUST_200600_302600_NS6detail15normal_iteratorINS9_10device_ptrIiEEEESE_iNS9_4plusIiEEiEEDaPvRmT3_T4_T5_mT6_P12ihipStream_tbENKUlT_T0_E_clISt17integral_constantIbLb0EESU_EEDaSP_SQ_EUlSP_E_NS1_11comp_targetILNS1_3genE8ELNS1_11target_archE1030ELNS1_3gpuE2ELNS1_3repE0EEENS1_30default_config_static_selectorELNS0_4arch9wavefront6targetE1EEEvT1_
                                        ; -- End function
	.section	.AMDGPU.csdata,"",@progbits
; Kernel info:
; codeLenInByte = 0
; NumSgprs: 4
; NumVgprs: 0
; NumAgprs: 0
; TotalNumVgprs: 0
; ScratchSize: 0
; MemoryBound: 0
; FloatMode: 240
; IeeeMode: 1
; LDSByteSize: 0 bytes/workgroup (compile time only)
; SGPRBlocks: 0
; VGPRBlocks: 0
; NumSGPRsForWavesPerEU: 4
; NumVGPRsForWavesPerEU: 1
; AccumOffset: 4
; Occupancy: 8
; WaveLimiterHint : 0
; COMPUTE_PGM_RSRC2:SCRATCH_EN: 0
; COMPUTE_PGM_RSRC2:USER_SGPR: 6
; COMPUTE_PGM_RSRC2:TRAP_HANDLER: 0
; COMPUTE_PGM_RSRC2:TGID_X_EN: 1
; COMPUTE_PGM_RSRC2:TGID_Y_EN: 0
; COMPUTE_PGM_RSRC2:TGID_Z_EN: 0
; COMPUTE_PGM_RSRC2:TIDIG_COMP_CNT: 0
; COMPUTE_PGM_RSRC3_GFX90A:ACCUM_OFFSET: 0
; COMPUTE_PGM_RSRC3_GFX90A:TG_SPLIT: 0
	.section	.text._ZN7rocprim17ROCPRIM_400000_NS6detail17trampoline_kernelINS0_14default_configENS1_20scan_config_selectorIiEEZZNS1_9scan_implILNS1_25lookback_scan_determinismE0ELb0ELb1ES3_N6thrust23THRUST_200600_302600_NS6detail15normal_iteratorINS9_10device_ptrIiEEEESE_iNS9_4plusIiEEiEEDaPvRmT3_T4_T5_mT6_P12ihipStream_tbENKUlT_T0_E_clISt17integral_constantIbLb0EESU_EEDaSP_SQ_EUlSP_E0_NS1_11comp_targetILNS1_3genE0ELNS1_11target_archE4294967295ELNS1_3gpuE0ELNS1_3repE0EEENS1_30default_config_static_selectorELNS0_4arch9wavefront6targetE1EEEvT1_,"axG",@progbits,_ZN7rocprim17ROCPRIM_400000_NS6detail17trampoline_kernelINS0_14default_configENS1_20scan_config_selectorIiEEZZNS1_9scan_implILNS1_25lookback_scan_determinismE0ELb0ELb1ES3_N6thrust23THRUST_200600_302600_NS6detail15normal_iteratorINS9_10device_ptrIiEEEESE_iNS9_4plusIiEEiEEDaPvRmT3_T4_T5_mT6_P12ihipStream_tbENKUlT_T0_E_clISt17integral_constantIbLb0EESU_EEDaSP_SQ_EUlSP_E0_NS1_11comp_targetILNS1_3genE0ELNS1_11target_archE4294967295ELNS1_3gpuE0ELNS1_3repE0EEENS1_30default_config_static_selectorELNS0_4arch9wavefront6targetE1EEEvT1_,comdat
	.protected	_ZN7rocprim17ROCPRIM_400000_NS6detail17trampoline_kernelINS0_14default_configENS1_20scan_config_selectorIiEEZZNS1_9scan_implILNS1_25lookback_scan_determinismE0ELb0ELb1ES3_N6thrust23THRUST_200600_302600_NS6detail15normal_iteratorINS9_10device_ptrIiEEEESE_iNS9_4plusIiEEiEEDaPvRmT3_T4_T5_mT6_P12ihipStream_tbENKUlT_T0_E_clISt17integral_constantIbLb0EESU_EEDaSP_SQ_EUlSP_E0_NS1_11comp_targetILNS1_3genE0ELNS1_11target_archE4294967295ELNS1_3gpuE0ELNS1_3repE0EEENS1_30default_config_static_selectorELNS0_4arch9wavefront6targetE1EEEvT1_ ; -- Begin function _ZN7rocprim17ROCPRIM_400000_NS6detail17trampoline_kernelINS0_14default_configENS1_20scan_config_selectorIiEEZZNS1_9scan_implILNS1_25lookback_scan_determinismE0ELb0ELb1ES3_N6thrust23THRUST_200600_302600_NS6detail15normal_iteratorINS9_10device_ptrIiEEEESE_iNS9_4plusIiEEiEEDaPvRmT3_T4_T5_mT6_P12ihipStream_tbENKUlT_T0_E_clISt17integral_constantIbLb0EESU_EEDaSP_SQ_EUlSP_E0_NS1_11comp_targetILNS1_3genE0ELNS1_11target_archE4294967295ELNS1_3gpuE0ELNS1_3repE0EEENS1_30default_config_static_selectorELNS0_4arch9wavefront6targetE1EEEvT1_
	.globl	_ZN7rocprim17ROCPRIM_400000_NS6detail17trampoline_kernelINS0_14default_configENS1_20scan_config_selectorIiEEZZNS1_9scan_implILNS1_25lookback_scan_determinismE0ELb0ELb1ES3_N6thrust23THRUST_200600_302600_NS6detail15normal_iteratorINS9_10device_ptrIiEEEESE_iNS9_4plusIiEEiEEDaPvRmT3_T4_T5_mT6_P12ihipStream_tbENKUlT_T0_E_clISt17integral_constantIbLb0EESU_EEDaSP_SQ_EUlSP_E0_NS1_11comp_targetILNS1_3genE0ELNS1_11target_archE4294967295ELNS1_3gpuE0ELNS1_3repE0EEENS1_30default_config_static_selectorELNS0_4arch9wavefront6targetE1EEEvT1_
	.p2align	8
	.type	_ZN7rocprim17ROCPRIM_400000_NS6detail17trampoline_kernelINS0_14default_configENS1_20scan_config_selectorIiEEZZNS1_9scan_implILNS1_25lookback_scan_determinismE0ELb0ELb1ES3_N6thrust23THRUST_200600_302600_NS6detail15normal_iteratorINS9_10device_ptrIiEEEESE_iNS9_4plusIiEEiEEDaPvRmT3_T4_T5_mT6_P12ihipStream_tbENKUlT_T0_E_clISt17integral_constantIbLb0EESU_EEDaSP_SQ_EUlSP_E0_NS1_11comp_targetILNS1_3genE0ELNS1_11target_archE4294967295ELNS1_3gpuE0ELNS1_3repE0EEENS1_30default_config_static_selectorELNS0_4arch9wavefront6targetE1EEEvT1_,@function
_ZN7rocprim17ROCPRIM_400000_NS6detail17trampoline_kernelINS0_14default_configENS1_20scan_config_selectorIiEEZZNS1_9scan_implILNS1_25lookback_scan_determinismE0ELb0ELb1ES3_N6thrust23THRUST_200600_302600_NS6detail15normal_iteratorINS9_10device_ptrIiEEEESE_iNS9_4plusIiEEiEEDaPvRmT3_T4_T5_mT6_P12ihipStream_tbENKUlT_T0_E_clISt17integral_constantIbLb0EESU_EEDaSP_SQ_EUlSP_E0_NS1_11comp_targetILNS1_3genE0ELNS1_11target_archE4294967295ELNS1_3gpuE0ELNS1_3repE0EEENS1_30default_config_static_selectorELNS0_4arch9wavefront6targetE1EEEvT1_: ; @_ZN7rocprim17ROCPRIM_400000_NS6detail17trampoline_kernelINS0_14default_configENS1_20scan_config_selectorIiEEZZNS1_9scan_implILNS1_25lookback_scan_determinismE0ELb0ELb1ES3_N6thrust23THRUST_200600_302600_NS6detail15normal_iteratorINS9_10device_ptrIiEEEESE_iNS9_4plusIiEEiEEDaPvRmT3_T4_T5_mT6_P12ihipStream_tbENKUlT_T0_E_clISt17integral_constantIbLb0EESU_EEDaSP_SQ_EUlSP_E0_NS1_11comp_targetILNS1_3genE0ELNS1_11target_archE4294967295ELNS1_3gpuE0ELNS1_3repE0EEENS1_30default_config_static_selectorELNS0_4arch9wavefront6targetE1EEEvT1_
; %bb.0:
	.section	.rodata,"a",@progbits
	.p2align	6, 0x0
	.amdhsa_kernel _ZN7rocprim17ROCPRIM_400000_NS6detail17trampoline_kernelINS0_14default_configENS1_20scan_config_selectorIiEEZZNS1_9scan_implILNS1_25lookback_scan_determinismE0ELb0ELb1ES3_N6thrust23THRUST_200600_302600_NS6detail15normal_iteratorINS9_10device_ptrIiEEEESE_iNS9_4plusIiEEiEEDaPvRmT3_T4_T5_mT6_P12ihipStream_tbENKUlT_T0_E_clISt17integral_constantIbLb0EESU_EEDaSP_SQ_EUlSP_E0_NS1_11comp_targetILNS1_3genE0ELNS1_11target_archE4294967295ELNS1_3gpuE0ELNS1_3repE0EEENS1_30default_config_static_selectorELNS0_4arch9wavefront6targetE1EEEvT1_
		.amdhsa_group_segment_fixed_size 0
		.amdhsa_private_segment_fixed_size 0
		.amdhsa_kernarg_size 32
		.amdhsa_user_sgpr_count 6
		.amdhsa_user_sgpr_private_segment_buffer 1
		.amdhsa_user_sgpr_dispatch_ptr 0
		.amdhsa_user_sgpr_queue_ptr 0
		.amdhsa_user_sgpr_kernarg_segment_ptr 1
		.amdhsa_user_sgpr_dispatch_id 0
		.amdhsa_user_sgpr_flat_scratch_init 0
		.amdhsa_user_sgpr_kernarg_preload_length 0
		.amdhsa_user_sgpr_kernarg_preload_offset 0
		.amdhsa_user_sgpr_private_segment_size 0
		.amdhsa_uses_dynamic_stack 0
		.amdhsa_system_sgpr_private_segment_wavefront_offset 0
		.amdhsa_system_sgpr_workgroup_id_x 1
		.amdhsa_system_sgpr_workgroup_id_y 0
		.amdhsa_system_sgpr_workgroup_id_z 0
		.amdhsa_system_sgpr_workgroup_info 0
		.amdhsa_system_vgpr_workitem_id 0
		.amdhsa_next_free_vgpr 1
		.amdhsa_next_free_sgpr 0
		.amdhsa_accum_offset 4
		.amdhsa_reserve_vcc 0
		.amdhsa_reserve_flat_scratch 0
		.amdhsa_float_round_mode_32 0
		.amdhsa_float_round_mode_16_64 0
		.amdhsa_float_denorm_mode_32 3
		.amdhsa_float_denorm_mode_16_64 3
		.amdhsa_dx10_clamp 1
		.amdhsa_ieee_mode 1
		.amdhsa_fp16_overflow 0
		.amdhsa_tg_split 0
		.amdhsa_exception_fp_ieee_invalid_op 0
		.amdhsa_exception_fp_denorm_src 0
		.amdhsa_exception_fp_ieee_div_zero 0
		.amdhsa_exception_fp_ieee_overflow 0
		.amdhsa_exception_fp_ieee_underflow 0
		.amdhsa_exception_fp_ieee_inexact 0
		.amdhsa_exception_int_div_zero 0
	.end_amdhsa_kernel
	.section	.text._ZN7rocprim17ROCPRIM_400000_NS6detail17trampoline_kernelINS0_14default_configENS1_20scan_config_selectorIiEEZZNS1_9scan_implILNS1_25lookback_scan_determinismE0ELb0ELb1ES3_N6thrust23THRUST_200600_302600_NS6detail15normal_iteratorINS9_10device_ptrIiEEEESE_iNS9_4plusIiEEiEEDaPvRmT3_T4_T5_mT6_P12ihipStream_tbENKUlT_T0_E_clISt17integral_constantIbLb0EESU_EEDaSP_SQ_EUlSP_E0_NS1_11comp_targetILNS1_3genE0ELNS1_11target_archE4294967295ELNS1_3gpuE0ELNS1_3repE0EEENS1_30default_config_static_selectorELNS0_4arch9wavefront6targetE1EEEvT1_,"axG",@progbits,_ZN7rocprim17ROCPRIM_400000_NS6detail17trampoline_kernelINS0_14default_configENS1_20scan_config_selectorIiEEZZNS1_9scan_implILNS1_25lookback_scan_determinismE0ELb0ELb1ES3_N6thrust23THRUST_200600_302600_NS6detail15normal_iteratorINS9_10device_ptrIiEEEESE_iNS9_4plusIiEEiEEDaPvRmT3_T4_T5_mT6_P12ihipStream_tbENKUlT_T0_E_clISt17integral_constantIbLb0EESU_EEDaSP_SQ_EUlSP_E0_NS1_11comp_targetILNS1_3genE0ELNS1_11target_archE4294967295ELNS1_3gpuE0ELNS1_3repE0EEENS1_30default_config_static_selectorELNS0_4arch9wavefront6targetE1EEEvT1_,comdat
.Lfunc_end741:
	.size	_ZN7rocprim17ROCPRIM_400000_NS6detail17trampoline_kernelINS0_14default_configENS1_20scan_config_selectorIiEEZZNS1_9scan_implILNS1_25lookback_scan_determinismE0ELb0ELb1ES3_N6thrust23THRUST_200600_302600_NS6detail15normal_iteratorINS9_10device_ptrIiEEEESE_iNS9_4plusIiEEiEEDaPvRmT3_T4_T5_mT6_P12ihipStream_tbENKUlT_T0_E_clISt17integral_constantIbLb0EESU_EEDaSP_SQ_EUlSP_E0_NS1_11comp_targetILNS1_3genE0ELNS1_11target_archE4294967295ELNS1_3gpuE0ELNS1_3repE0EEENS1_30default_config_static_selectorELNS0_4arch9wavefront6targetE1EEEvT1_, .Lfunc_end741-_ZN7rocprim17ROCPRIM_400000_NS6detail17trampoline_kernelINS0_14default_configENS1_20scan_config_selectorIiEEZZNS1_9scan_implILNS1_25lookback_scan_determinismE0ELb0ELb1ES3_N6thrust23THRUST_200600_302600_NS6detail15normal_iteratorINS9_10device_ptrIiEEEESE_iNS9_4plusIiEEiEEDaPvRmT3_T4_T5_mT6_P12ihipStream_tbENKUlT_T0_E_clISt17integral_constantIbLb0EESU_EEDaSP_SQ_EUlSP_E0_NS1_11comp_targetILNS1_3genE0ELNS1_11target_archE4294967295ELNS1_3gpuE0ELNS1_3repE0EEENS1_30default_config_static_selectorELNS0_4arch9wavefront6targetE1EEEvT1_
                                        ; -- End function
	.section	.AMDGPU.csdata,"",@progbits
; Kernel info:
; codeLenInByte = 0
; NumSgprs: 4
; NumVgprs: 0
; NumAgprs: 0
; TotalNumVgprs: 0
; ScratchSize: 0
; MemoryBound: 0
; FloatMode: 240
; IeeeMode: 1
; LDSByteSize: 0 bytes/workgroup (compile time only)
; SGPRBlocks: 0
; VGPRBlocks: 0
; NumSGPRsForWavesPerEU: 4
; NumVGPRsForWavesPerEU: 1
; AccumOffset: 4
; Occupancy: 8
; WaveLimiterHint : 0
; COMPUTE_PGM_RSRC2:SCRATCH_EN: 0
; COMPUTE_PGM_RSRC2:USER_SGPR: 6
; COMPUTE_PGM_RSRC2:TRAP_HANDLER: 0
; COMPUTE_PGM_RSRC2:TGID_X_EN: 1
; COMPUTE_PGM_RSRC2:TGID_Y_EN: 0
; COMPUTE_PGM_RSRC2:TGID_Z_EN: 0
; COMPUTE_PGM_RSRC2:TIDIG_COMP_CNT: 0
; COMPUTE_PGM_RSRC3_GFX90A:ACCUM_OFFSET: 0
; COMPUTE_PGM_RSRC3_GFX90A:TG_SPLIT: 0
	.section	.text._ZN7rocprim17ROCPRIM_400000_NS6detail17trampoline_kernelINS0_14default_configENS1_20scan_config_selectorIiEEZZNS1_9scan_implILNS1_25lookback_scan_determinismE0ELb0ELb1ES3_N6thrust23THRUST_200600_302600_NS6detail15normal_iteratorINS9_10device_ptrIiEEEESE_iNS9_4plusIiEEiEEDaPvRmT3_T4_T5_mT6_P12ihipStream_tbENKUlT_T0_E_clISt17integral_constantIbLb0EESU_EEDaSP_SQ_EUlSP_E0_NS1_11comp_targetILNS1_3genE5ELNS1_11target_archE942ELNS1_3gpuE9ELNS1_3repE0EEENS1_30default_config_static_selectorELNS0_4arch9wavefront6targetE1EEEvT1_,"axG",@progbits,_ZN7rocprim17ROCPRIM_400000_NS6detail17trampoline_kernelINS0_14default_configENS1_20scan_config_selectorIiEEZZNS1_9scan_implILNS1_25lookback_scan_determinismE0ELb0ELb1ES3_N6thrust23THRUST_200600_302600_NS6detail15normal_iteratorINS9_10device_ptrIiEEEESE_iNS9_4plusIiEEiEEDaPvRmT3_T4_T5_mT6_P12ihipStream_tbENKUlT_T0_E_clISt17integral_constantIbLb0EESU_EEDaSP_SQ_EUlSP_E0_NS1_11comp_targetILNS1_3genE5ELNS1_11target_archE942ELNS1_3gpuE9ELNS1_3repE0EEENS1_30default_config_static_selectorELNS0_4arch9wavefront6targetE1EEEvT1_,comdat
	.protected	_ZN7rocprim17ROCPRIM_400000_NS6detail17trampoline_kernelINS0_14default_configENS1_20scan_config_selectorIiEEZZNS1_9scan_implILNS1_25lookback_scan_determinismE0ELb0ELb1ES3_N6thrust23THRUST_200600_302600_NS6detail15normal_iteratorINS9_10device_ptrIiEEEESE_iNS9_4plusIiEEiEEDaPvRmT3_T4_T5_mT6_P12ihipStream_tbENKUlT_T0_E_clISt17integral_constantIbLb0EESU_EEDaSP_SQ_EUlSP_E0_NS1_11comp_targetILNS1_3genE5ELNS1_11target_archE942ELNS1_3gpuE9ELNS1_3repE0EEENS1_30default_config_static_selectorELNS0_4arch9wavefront6targetE1EEEvT1_ ; -- Begin function _ZN7rocprim17ROCPRIM_400000_NS6detail17trampoline_kernelINS0_14default_configENS1_20scan_config_selectorIiEEZZNS1_9scan_implILNS1_25lookback_scan_determinismE0ELb0ELb1ES3_N6thrust23THRUST_200600_302600_NS6detail15normal_iteratorINS9_10device_ptrIiEEEESE_iNS9_4plusIiEEiEEDaPvRmT3_T4_T5_mT6_P12ihipStream_tbENKUlT_T0_E_clISt17integral_constantIbLb0EESU_EEDaSP_SQ_EUlSP_E0_NS1_11comp_targetILNS1_3genE5ELNS1_11target_archE942ELNS1_3gpuE9ELNS1_3repE0EEENS1_30default_config_static_selectorELNS0_4arch9wavefront6targetE1EEEvT1_
	.globl	_ZN7rocprim17ROCPRIM_400000_NS6detail17trampoline_kernelINS0_14default_configENS1_20scan_config_selectorIiEEZZNS1_9scan_implILNS1_25lookback_scan_determinismE0ELb0ELb1ES3_N6thrust23THRUST_200600_302600_NS6detail15normal_iteratorINS9_10device_ptrIiEEEESE_iNS9_4plusIiEEiEEDaPvRmT3_T4_T5_mT6_P12ihipStream_tbENKUlT_T0_E_clISt17integral_constantIbLb0EESU_EEDaSP_SQ_EUlSP_E0_NS1_11comp_targetILNS1_3genE5ELNS1_11target_archE942ELNS1_3gpuE9ELNS1_3repE0EEENS1_30default_config_static_selectorELNS0_4arch9wavefront6targetE1EEEvT1_
	.p2align	8
	.type	_ZN7rocprim17ROCPRIM_400000_NS6detail17trampoline_kernelINS0_14default_configENS1_20scan_config_selectorIiEEZZNS1_9scan_implILNS1_25lookback_scan_determinismE0ELb0ELb1ES3_N6thrust23THRUST_200600_302600_NS6detail15normal_iteratorINS9_10device_ptrIiEEEESE_iNS9_4plusIiEEiEEDaPvRmT3_T4_T5_mT6_P12ihipStream_tbENKUlT_T0_E_clISt17integral_constantIbLb0EESU_EEDaSP_SQ_EUlSP_E0_NS1_11comp_targetILNS1_3genE5ELNS1_11target_archE942ELNS1_3gpuE9ELNS1_3repE0EEENS1_30default_config_static_selectorELNS0_4arch9wavefront6targetE1EEEvT1_,@function
_ZN7rocprim17ROCPRIM_400000_NS6detail17trampoline_kernelINS0_14default_configENS1_20scan_config_selectorIiEEZZNS1_9scan_implILNS1_25lookback_scan_determinismE0ELb0ELb1ES3_N6thrust23THRUST_200600_302600_NS6detail15normal_iteratorINS9_10device_ptrIiEEEESE_iNS9_4plusIiEEiEEDaPvRmT3_T4_T5_mT6_P12ihipStream_tbENKUlT_T0_E_clISt17integral_constantIbLb0EESU_EEDaSP_SQ_EUlSP_E0_NS1_11comp_targetILNS1_3genE5ELNS1_11target_archE942ELNS1_3gpuE9ELNS1_3repE0EEENS1_30default_config_static_selectorELNS0_4arch9wavefront6targetE1EEEvT1_: ; @_ZN7rocprim17ROCPRIM_400000_NS6detail17trampoline_kernelINS0_14default_configENS1_20scan_config_selectorIiEEZZNS1_9scan_implILNS1_25lookback_scan_determinismE0ELb0ELb1ES3_N6thrust23THRUST_200600_302600_NS6detail15normal_iteratorINS9_10device_ptrIiEEEESE_iNS9_4plusIiEEiEEDaPvRmT3_T4_T5_mT6_P12ihipStream_tbENKUlT_T0_E_clISt17integral_constantIbLb0EESU_EEDaSP_SQ_EUlSP_E0_NS1_11comp_targetILNS1_3genE5ELNS1_11target_archE942ELNS1_3gpuE9ELNS1_3repE0EEENS1_30default_config_static_selectorELNS0_4arch9wavefront6targetE1EEEvT1_
; %bb.0:
	.section	.rodata,"a",@progbits
	.p2align	6, 0x0
	.amdhsa_kernel _ZN7rocprim17ROCPRIM_400000_NS6detail17trampoline_kernelINS0_14default_configENS1_20scan_config_selectorIiEEZZNS1_9scan_implILNS1_25lookback_scan_determinismE0ELb0ELb1ES3_N6thrust23THRUST_200600_302600_NS6detail15normal_iteratorINS9_10device_ptrIiEEEESE_iNS9_4plusIiEEiEEDaPvRmT3_T4_T5_mT6_P12ihipStream_tbENKUlT_T0_E_clISt17integral_constantIbLb0EESU_EEDaSP_SQ_EUlSP_E0_NS1_11comp_targetILNS1_3genE5ELNS1_11target_archE942ELNS1_3gpuE9ELNS1_3repE0EEENS1_30default_config_static_selectorELNS0_4arch9wavefront6targetE1EEEvT1_
		.amdhsa_group_segment_fixed_size 0
		.amdhsa_private_segment_fixed_size 0
		.amdhsa_kernarg_size 32
		.amdhsa_user_sgpr_count 6
		.amdhsa_user_sgpr_private_segment_buffer 1
		.amdhsa_user_sgpr_dispatch_ptr 0
		.amdhsa_user_sgpr_queue_ptr 0
		.amdhsa_user_sgpr_kernarg_segment_ptr 1
		.amdhsa_user_sgpr_dispatch_id 0
		.amdhsa_user_sgpr_flat_scratch_init 0
		.amdhsa_user_sgpr_kernarg_preload_length 0
		.amdhsa_user_sgpr_kernarg_preload_offset 0
		.amdhsa_user_sgpr_private_segment_size 0
		.amdhsa_uses_dynamic_stack 0
		.amdhsa_system_sgpr_private_segment_wavefront_offset 0
		.amdhsa_system_sgpr_workgroup_id_x 1
		.amdhsa_system_sgpr_workgroup_id_y 0
		.amdhsa_system_sgpr_workgroup_id_z 0
		.amdhsa_system_sgpr_workgroup_info 0
		.amdhsa_system_vgpr_workitem_id 0
		.amdhsa_next_free_vgpr 1
		.amdhsa_next_free_sgpr 0
		.amdhsa_accum_offset 4
		.amdhsa_reserve_vcc 0
		.amdhsa_reserve_flat_scratch 0
		.amdhsa_float_round_mode_32 0
		.amdhsa_float_round_mode_16_64 0
		.amdhsa_float_denorm_mode_32 3
		.amdhsa_float_denorm_mode_16_64 3
		.amdhsa_dx10_clamp 1
		.amdhsa_ieee_mode 1
		.amdhsa_fp16_overflow 0
		.amdhsa_tg_split 0
		.amdhsa_exception_fp_ieee_invalid_op 0
		.amdhsa_exception_fp_denorm_src 0
		.amdhsa_exception_fp_ieee_div_zero 0
		.amdhsa_exception_fp_ieee_overflow 0
		.amdhsa_exception_fp_ieee_underflow 0
		.amdhsa_exception_fp_ieee_inexact 0
		.amdhsa_exception_int_div_zero 0
	.end_amdhsa_kernel
	.section	.text._ZN7rocprim17ROCPRIM_400000_NS6detail17trampoline_kernelINS0_14default_configENS1_20scan_config_selectorIiEEZZNS1_9scan_implILNS1_25lookback_scan_determinismE0ELb0ELb1ES3_N6thrust23THRUST_200600_302600_NS6detail15normal_iteratorINS9_10device_ptrIiEEEESE_iNS9_4plusIiEEiEEDaPvRmT3_T4_T5_mT6_P12ihipStream_tbENKUlT_T0_E_clISt17integral_constantIbLb0EESU_EEDaSP_SQ_EUlSP_E0_NS1_11comp_targetILNS1_3genE5ELNS1_11target_archE942ELNS1_3gpuE9ELNS1_3repE0EEENS1_30default_config_static_selectorELNS0_4arch9wavefront6targetE1EEEvT1_,"axG",@progbits,_ZN7rocprim17ROCPRIM_400000_NS6detail17trampoline_kernelINS0_14default_configENS1_20scan_config_selectorIiEEZZNS1_9scan_implILNS1_25lookback_scan_determinismE0ELb0ELb1ES3_N6thrust23THRUST_200600_302600_NS6detail15normal_iteratorINS9_10device_ptrIiEEEESE_iNS9_4plusIiEEiEEDaPvRmT3_T4_T5_mT6_P12ihipStream_tbENKUlT_T0_E_clISt17integral_constantIbLb0EESU_EEDaSP_SQ_EUlSP_E0_NS1_11comp_targetILNS1_3genE5ELNS1_11target_archE942ELNS1_3gpuE9ELNS1_3repE0EEENS1_30default_config_static_selectorELNS0_4arch9wavefront6targetE1EEEvT1_,comdat
.Lfunc_end742:
	.size	_ZN7rocprim17ROCPRIM_400000_NS6detail17trampoline_kernelINS0_14default_configENS1_20scan_config_selectorIiEEZZNS1_9scan_implILNS1_25lookback_scan_determinismE0ELb0ELb1ES3_N6thrust23THRUST_200600_302600_NS6detail15normal_iteratorINS9_10device_ptrIiEEEESE_iNS9_4plusIiEEiEEDaPvRmT3_T4_T5_mT6_P12ihipStream_tbENKUlT_T0_E_clISt17integral_constantIbLb0EESU_EEDaSP_SQ_EUlSP_E0_NS1_11comp_targetILNS1_3genE5ELNS1_11target_archE942ELNS1_3gpuE9ELNS1_3repE0EEENS1_30default_config_static_selectorELNS0_4arch9wavefront6targetE1EEEvT1_, .Lfunc_end742-_ZN7rocprim17ROCPRIM_400000_NS6detail17trampoline_kernelINS0_14default_configENS1_20scan_config_selectorIiEEZZNS1_9scan_implILNS1_25lookback_scan_determinismE0ELb0ELb1ES3_N6thrust23THRUST_200600_302600_NS6detail15normal_iteratorINS9_10device_ptrIiEEEESE_iNS9_4plusIiEEiEEDaPvRmT3_T4_T5_mT6_P12ihipStream_tbENKUlT_T0_E_clISt17integral_constantIbLb0EESU_EEDaSP_SQ_EUlSP_E0_NS1_11comp_targetILNS1_3genE5ELNS1_11target_archE942ELNS1_3gpuE9ELNS1_3repE0EEENS1_30default_config_static_selectorELNS0_4arch9wavefront6targetE1EEEvT1_
                                        ; -- End function
	.section	.AMDGPU.csdata,"",@progbits
; Kernel info:
; codeLenInByte = 0
; NumSgprs: 4
; NumVgprs: 0
; NumAgprs: 0
; TotalNumVgprs: 0
; ScratchSize: 0
; MemoryBound: 0
; FloatMode: 240
; IeeeMode: 1
; LDSByteSize: 0 bytes/workgroup (compile time only)
; SGPRBlocks: 0
; VGPRBlocks: 0
; NumSGPRsForWavesPerEU: 4
; NumVGPRsForWavesPerEU: 1
; AccumOffset: 4
; Occupancy: 8
; WaveLimiterHint : 0
; COMPUTE_PGM_RSRC2:SCRATCH_EN: 0
; COMPUTE_PGM_RSRC2:USER_SGPR: 6
; COMPUTE_PGM_RSRC2:TRAP_HANDLER: 0
; COMPUTE_PGM_RSRC2:TGID_X_EN: 1
; COMPUTE_PGM_RSRC2:TGID_Y_EN: 0
; COMPUTE_PGM_RSRC2:TGID_Z_EN: 0
; COMPUTE_PGM_RSRC2:TIDIG_COMP_CNT: 0
; COMPUTE_PGM_RSRC3_GFX90A:ACCUM_OFFSET: 0
; COMPUTE_PGM_RSRC3_GFX90A:TG_SPLIT: 0
	.section	.text._ZN7rocprim17ROCPRIM_400000_NS6detail17trampoline_kernelINS0_14default_configENS1_20scan_config_selectorIiEEZZNS1_9scan_implILNS1_25lookback_scan_determinismE0ELb0ELb1ES3_N6thrust23THRUST_200600_302600_NS6detail15normal_iteratorINS9_10device_ptrIiEEEESE_iNS9_4plusIiEEiEEDaPvRmT3_T4_T5_mT6_P12ihipStream_tbENKUlT_T0_E_clISt17integral_constantIbLb0EESU_EEDaSP_SQ_EUlSP_E0_NS1_11comp_targetILNS1_3genE4ELNS1_11target_archE910ELNS1_3gpuE8ELNS1_3repE0EEENS1_30default_config_static_selectorELNS0_4arch9wavefront6targetE1EEEvT1_,"axG",@progbits,_ZN7rocprim17ROCPRIM_400000_NS6detail17trampoline_kernelINS0_14default_configENS1_20scan_config_selectorIiEEZZNS1_9scan_implILNS1_25lookback_scan_determinismE0ELb0ELb1ES3_N6thrust23THRUST_200600_302600_NS6detail15normal_iteratorINS9_10device_ptrIiEEEESE_iNS9_4plusIiEEiEEDaPvRmT3_T4_T5_mT6_P12ihipStream_tbENKUlT_T0_E_clISt17integral_constantIbLb0EESU_EEDaSP_SQ_EUlSP_E0_NS1_11comp_targetILNS1_3genE4ELNS1_11target_archE910ELNS1_3gpuE8ELNS1_3repE0EEENS1_30default_config_static_selectorELNS0_4arch9wavefront6targetE1EEEvT1_,comdat
	.protected	_ZN7rocprim17ROCPRIM_400000_NS6detail17trampoline_kernelINS0_14default_configENS1_20scan_config_selectorIiEEZZNS1_9scan_implILNS1_25lookback_scan_determinismE0ELb0ELb1ES3_N6thrust23THRUST_200600_302600_NS6detail15normal_iteratorINS9_10device_ptrIiEEEESE_iNS9_4plusIiEEiEEDaPvRmT3_T4_T5_mT6_P12ihipStream_tbENKUlT_T0_E_clISt17integral_constantIbLb0EESU_EEDaSP_SQ_EUlSP_E0_NS1_11comp_targetILNS1_3genE4ELNS1_11target_archE910ELNS1_3gpuE8ELNS1_3repE0EEENS1_30default_config_static_selectorELNS0_4arch9wavefront6targetE1EEEvT1_ ; -- Begin function _ZN7rocprim17ROCPRIM_400000_NS6detail17trampoline_kernelINS0_14default_configENS1_20scan_config_selectorIiEEZZNS1_9scan_implILNS1_25lookback_scan_determinismE0ELb0ELb1ES3_N6thrust23THRUST_200600_302600_NS6detail15normal_iteratorINS9_10device_ptrIiEEEESE_iNS9_4plusIiEEiEEDaPvRmT3_T4_T5_mT6_P12ihipStream_tbENKUlT_T0_E_clISt17integral_constantIbLb0EESU_EEDaSP_SQ_EUlSP_E0_NS1_11comp_targetILNS1_3genE4ELNS1_11target_archE910ELNS1_3gpuE8ELNS1_3repE0EEENS1_30default_config_static_selectorELNS0_4arch9wavefront6targetE1EEEvT1_
	.globl	_ZN7rocprim17ROCPRIM_400000_NS6detail17trampoline_kernelINS0_14default_configENS1_20scan_config_selectorIiEEZZNS1_9scan_implILNS1_25lookback_scan_determinismE0ELb0ELb1ES3_N6thrust23THRUST_200600_302600_NS6detail15normal_iteratorINS9_10device_ptrIiEEEESE_iNS9_4plusIiEEiEEDaPvRmT3_T4_T5_mT6_P12ihipStream_tbENKUlT_T0_E_clISt17integral_constantIbLb0EESU_EEDaSP_SQ_EUlSP_E0_NS1_11comp_targetILNS1_3genE4ELNS1_11target_archE910ELNS1_3gpuE8ELNS1_3repE0EEENS1_30default_config_static_selectorELNS0_4arch9wavefront6targetE1EEEvT1_
	.p2align	8
	.type	_ZN7rocprim17ROCPRIM_400000_NS6detail17trampoline_kernelINS0_14default_configENS1_20scan_config_selectorIiEEZZNS1_9scan_implILNS1_25lookback_scan_determinismE0ELb0ELb1ES3_N6thrust23THRUST_200600_302600_NS6detail15normal_iteratorINS9_10device_ptrIiEEEESE_iNS9_4plusIiEEiEEDaPvRmT3_T4_T5_mT6_P12ihipStream_tbENKUlT_T0_E_clISt17integral_constantIbLb0EESU_EEDaSP_SQ_EUlSP_E0_NS1_11comp_targetILNS1_3genE4ELNS1_11target_archE910ELNS1_3gpuE8ELNS1_3repE0EEENS1_30default_config_static_selectorELNS0_4arch9wavefront6targetE1EEEvT1_,@function
_ZN7rocprim17ROCPRIM_400000_NS6detail17trampoline_kernelINS0_14default_configENS1_20scan_config_selectorIiEEZZNS1_9scan_implILNS1_25lookback_scan_determinismE0ELb0ELb1ES3_N6thrust23THRUST_200600_302600_NS6detail15normal_iteratorINS9_10device_ptrIiEEEESE_iNS9_4plusIiEEiEEDaPvRmT3_T4_T5_mT6_P12ihipStream_tbENKUlT_T0_E_clISt17integral_constantIbLb0EESU_EEDaSP_SQ_EUlSP_E0_NS1_11comp_targetILNS1_3genE4ELNS1_11target_archE910ELNS1_3gpuE8ELNS1_3repE0EEENS1_30default_config_static_selectorELNS0_4arch9wavefront6targetE1EEEvT1_: ; @_ZN7rocprim17ROCPRIM_400000_NS6detail17trampoline_kernelINS0_14default_configENS1_20scan_config_selectorIiEEZZNS1_9scan_implILNS1_25lookback_scan_determinismE0ELb0ELb1ES3_N6thrust23THRUST_200600_302600_NS6detail15normal_iteratorINS9_10device_ptrIiEEEESE_iNS9_4plusIiEEiEEDaPvRmT3_T4_T5_mT6_P12ihipStream_tbENKUlT_T0_E_clISt17integral_constantIbLb0EESU_EEDaSP_SQ_EUlSP_E0_NS1_11comp_targetILNS1_3genE4ELNS1_11target_archE910ELNS1_3gpuE8ELNS1_3repE0EEENS1_30default_config_static_selectorELNS0_4arch9wavefront6targetE1EEEvT1_
; %bb.0:
	s_load_dwordx4 s[20:23], s[4:5], 0x0
	v_lshlrev_b32_e32 v18, 2, v0
	s_waitcnt lgkmcnt(0)
	s_load_dword s23, s[20:21], 0x0
	v_cmp_gt_u32_e32 vcc, s22, v0
	s_waitcnt lgkmcnt(0)
	v_mov_b32_e32 v1, s23
	s_and_saveexec_b64 s[0:1], vcc
	s_cbranch_execz .LBB743_2
; %bb.1:
	global_load_dword v1, v18, s[20:21]
.LBB743_2:
	s_or_b64 exec, exec, s[0:1]
	v_or_b32_e32 v2, 0x80, v0
	v_cmp_gt_u32_e64 s[0:1], s22, v2
	v_mov_b32_e32 v2, s23
	s_and_saveexec_b64 s[2:3], s[0:1]
	s_cbranch_execz .LBB743_4
; %bb.3:
	global_load_dword v2, v18, s[20:21] offset:512
.LBB743_4:
	s_or_b64 exec, exec, s[2:3]
	v_or_b32_e32 v3, 0x100, v0
	v_cmp_gt_u32_e64 s[2:3], s22, v3
	v_mov_b32_e32 v3, s23
	s_and_saveexec_b64 s[6:7], s[2:3]
	s_cbranch_execz .LBB743_6
; %bb.5:
	global_load_dword v3, v18, s[20:21] offset:1024
.LBB743_6:
	;; [unrolled: 9-line block ×7, first 2 shown]
	s_or_b64 exec, exec, s[14:15]
	v_or_b32_e32 v10, 0x400, v0
	v_cmp_gt_u32_e64 s[14:15], s22, v10
	v_mov_b32_e32 v9, s23
	s_and_saveexec_b64 s[16:17], s[14:15]
	s_cbranch_execz .LBB743_18
; %bb.17:
	v_lshlrev_b32_e32 v9, 2, v10
	global_load_dword v9, v9, s[20:21]
.LBB743_18:
	s_or_b64 exec, exec, s[16:17]
	v_or_b32_e32 v11, 0x480, v0
	v_cmp_gt_u32_e64 s[16:17], s22, v11
	v_mov_b32_e32 v10, s23
	s_and_saveexec_b64 s[22:23], s[16:17]
	s_cbranch_execz .LBB743_20
; %bb.19:
	v_lshlrev_b32_e32 v10, 2, v11
	global_load_dword v10, v10, s[20:21]
.LBB743_20:
	s_or_b64 exec, exec, s[22:23]
	s_waitcnt vmcnt(0)
	ds_write2st64_b32 v18, v1, v2 offset1:2
	ds_write2st64_b32 v18, v3, v4 offset0:4 offset1:6
	ds_write2st64_b32 v18, v5, v6 offset0:8 offset1:10
	;; [unrolled: 1-line block ×4, first 2 shown]
	v_mad_u32_u24 v1, v0, 36, v18
	s_waitcnt lgkmcnt(0)
	s_barrier
	ds_read2_b64 v[6:9], v1 offset1:1
	ds_read2_b64 v[2:5], v1 offset0:2 offset1:3
	ds_read_b64 v[10:11], v1 offset:32
	v_lshrrev_b32_e32 v20, 3, v0
	v_and_b32_e32 v20, 12, v20
	s_waitcnt lgkmcnt(2)
	v_add_u32_e32 v1, v7, v6
	v_add_u32_e32 v12, v1, v8
	;; [unrolled: 1-line block ×3, first 2 shown]
	s_waitcnt lgkmcnt(1)
	v_add_u32_e32 v14, v13, v2
	v_add_u32_e32 v17, v14, v3
	;; [unrolled: 1-line block ×4, first 2 shown]
	s_waitcnt lgkmcnt(0)
	v_add3_u32 v19, v15, v10, v11
	v_add_u32_e32 v20, v18, v20
	v_cmp_gt_u32_e64 s[20:21], 64, v0
	s_barrier
	ds_write_b32 v20, v19
	s_waitcnt lgkmcnt(0)
	s_barrier
	s_and_saveexec_b64 s[22:23], s[20:21]
	s_cbranch_execz .LBB743_22
; %bb.21:
	v_lshlrev_b32_e32 v20, 1, v0
	v_lshrrev_b32_e32 v21, 4, v0
	v_add_lshl_u32 v22, v21, v20, 2
	ds_read2_b32 v[20:21], v22 offset1:1
	v_mbcnt_lo_u32_b32 v23, -1, 0
	v_mbcnt_hi_u32_b32 v23, -1, v23
	v_and_b32_e32 v24, 15, v23
	v_cmp_ne_u32_e64 s[20:21], 0, v24
	s_waitcnt lgkmcnt(0)
	v_add_u32_e32 v21, v21, v20
	; wave barrier
	s_nop 1
	v_mov_b32_dpp v25, v21 row_shr:1 row_mask:0xf bank_mask:0xf
	v_cndmask_b32_e64 v25, 0, v25, s[20:21]
	v_add_u32_e32 v21, v25, v21
	v_cmp_lt_u32_e64 s[20:21], 1, v24
	s_nop 0
	v_mov_b32_dpp v25, v21 row_shr:2 row_mask:0xf bank_mask:0xf
	v_cndmask_b32_e64 v25, 0, v25, s[20:21]
	v_add_u32_e32 v21, v21, v25
	v_cmp_lt_u32_e64 s[20:21], 3, v24
	;; [unrolled: 5-line block ×3, first 2 shown]
	s_nop 0
	v_mov_b32_dpp v25, v21 row_shr:8 row_mask:0xf bank_mask:0xf
	v_cndmask_b32_e64 v24, 0, v25, s[20:21]
	v_add_u32_e32 v21, v21, v24
	v_bfe_i32 v25, v23, 4, 1
	v_cmp_lt_u32_e64 s[20:21], 31, v23
	v_mov_b32_dpp v24, v21 row_bcast:15 row_mask:0xf bank_mask:0xf
	v_and_b32_e32 v24, v25, v24
	v_add_u32_e32 v21, v21, v24
	v_and_b32_e32 v25, 64, v23
	s_nop 0
	v_mov_b32_dpp v24, v21 row_bcast:31 row_mask:0xf bank_mask:0xf
	v_cndmask_b32_e64 v24, 0, v24, s[20:21]
	v_add_u32_e32 v21, v21, v24
	v_add_u32_e32 v24, -1, v23
	v_cmp_lt_i32_e64 s[20:21], v24, v25
	v_cndmask_b32_e64 v23, v24, v23, s[20:21]
	v_lshlrev_b32_e32 v23, 2, v23
	ds_bpermute_b32 v21, v23, v21
	v_cmp_eq_u32_e64 s[20:21], 0, v0
	s_waitcnt lgkmcnt(0)
	v_add_u32_e32 v20, v21, v20
	v_cndmask_b32_e64 v20, v20, v19, s[20:21]
	ds_write_b32 v22, v20
	; wave barrier
	ds_read_b32 v21, v22 offset:4
	s_waitcnt lgkmcnt(0)
	v_add_u32_e32 v20, v21, v20
	ds_write_b32 v22, v20 offset:4
.LBB743_22:
	s_or_b64 exec, exec, s[22:23]
	s_load_dwordx2 s[22:23], s[4:5], 0x18
	v_cmp_ne_u32_e64 s[20:21], 0, v0
	s_waitcnt lgkmcnt(0)
	s_barrier
	s_and_saveexec_b64 s[24:25], s[20:21]
	s_cbranch_execz .LBB743_24
; %bb.23:
	v_add_u32_e32 v19, -1, v0
	v_lshrrev_b32_e32 v20, 5, v19
	v_add_lshl_u32 v19, v20, v19, 2
	ds_read_b32 v19, v19
.LBB743_24:
	s_or_b64 exec, exec, s[24:25]
	s_load_dword s24, s[4:5], 0x10
	v_mul_u32_u24_e32 v20, 36, v0
	v_mov_b32_e32 v0, v6
	s_and_saveexec_b64 s[4:5], s[20:21]
	s_cbranch_execz .LBB743_26
; %bb.25:
	s_waitcnt lgkmcnt(0)
	v_add_u32_e32 v0, v19, v6
	v_add_u32_e32 v1, v0, v7
	v_add_u32_e32 v12, v1, v8
	v_add_u32_e32 v13, v12, v9
	v_add_u32_e32 v14, v13, v2
	v_add_u32_e32 v17, v14, v3
	v_add_u32_e32 v16, v17, v4
	v_add_u32_e32 v15, v16, v5
	;;#ASMSTART
	;;#ASMEND
.LBB743_26:
	s_or_b64 exec, exec, s[4:5]
	s_waitcnt lgkmcnt(0)
	v_add3_u32 v8, v10, s24, v15
	v_add_u32_e32 v1, s24, v1
	v_add_u32_e32 v0, s24, v0
	;; [unrolled: 1-line block ×10, first 2 shown]
	s_barrier
	ds_write2_b64 v10, v[0:1], v[2:3] offset1:1
	ds_write2_b64 v10, v[4:5], v[6:7] offset0:2 offset1:3
	ds_write_b64 v10, v[8:9] offset:32
	s_waitcnt lgkmcnt(0)
	s_barrier
	ds_read2st64_b32 v[8:9], v18 offset0:2 offset1:4
	ds_read2st64_b32 v[6:7], v18 offset0:6 offset1:8
	;; [unrolled: 1-line block ×4, first 2 shown]
	ds_read_b32 v10, v18 offset:4608
	v_mov_b32_e32 v1, s23
	v_add_co_u32_e64 v0, s[4:5], s22, v18
	v_addc_co_u32_e64 v1, s[4:5], 0, v1, s[4:5]
	s_and_saveexec_b64 s[4:5], vcc
	s_cbranch_execnz .LBB743_37
; %bb.27:
	s_or_b64 exec, exec, s[4:5]
	s_and_saveexec_b64 s[4:5], s[0:1]
	s_cbranch_execnz .LBB743_38
.LBB743_28:
	s_or_b64 exec, exec, s[4:5]
	s_and_saveexec_b64 s[0:1], s[2:3]
	s_cbranch_execnz .LBB743_39
.LBB743_29:
	s_or_b64 exec, exec, s[0:1]
	s_and_saveexec_b64 s[0:1], s[18:19]
	s_cbranch_execnz .LBB743_40
.LBB743_30:
	s_or_b64 exec, exec, s[0:1]
	s_and_saveexec_b64 s[0:1], s[6:7]
	s_cbranch_execnz .LBB743_41
.LBB743_31:
	s_or_b64 exec, exec, s[0:1]
	s_and_saveexec_b64 s[0:1], s[8:9]
	s_cbranch_execnz .LBB743_42
.LBB743_32:
	s_or_b64 exec, exec, s[0:1]
	s_and_saveexec_b64 s[0:1], s[10:11]
	s_cbranch_execnz .LBB743_43
.LBB743_33:
	s_or_b64 exec, exec, s[0:1]
	s_and_saveexec_b64 s[0:1], s[12:13]
	s_cbranch_execnz .LBB743_44
.LBB743_34:
	s_or_b64 exec, exec, s[0:1]
	s_and_saveexec_b64 s[0:1], s[14:15]
	s_cbranch_execnz .LBB743_45
.LBB743_35:
	s_or_b64 exec, exec, s[0:1]
	s_and_saveexec_b64 s[0:1], s[16:17]
	s_cbranch_execnz .LBB743_46
.LBB743_36:
	s_endpgm
.LBB743_37:
	ds_read_b32 v11, v18
	s_waitcnt lgkmcnt(0)
	global_store_dword v[0:1], v11, off
	s_or_b64 exec, exec, s[4:5]
	s_and_saveexec_b64 s[4:5], s[0:1]
	s_cbranch_execz .LBB743_28
.LBB743_38:
	s_waitcnt lgkmcnt(4)
	global_store_dword v[0:1], v8, off offset:512
	s_or_b64 exec, exec, s[4:5]
	s_and_saveexec_b64 s[0:1], s[2:3]
	s_cbranch_execz .LBB743_29
.LBB743_39:
	s_waitcnt lgkmcnt(4)
	global_store_dword v[0:1], v9, off offset:1024
	s_or_b64 exec, exec, s[0:1]
	s_and_saveexec_b64 s[0:1], s[18:19]
	s_cbranch_execz .LBB743_30
.LBB743_40:
	s_waitcnt lgkmcnt(3)
	global_store_dword v[0:1], v6, off offset:1536
	s_or_b64 exec, exec, s[0:1]
	s_and_saveexec_b64 s[0:1], s[6:7]
	s_cbranch_execz .LBB743_31
.LBB743_41:
	s_waitcnt lgkmcnt(3)
	global_store_dword v[0:1], v7, off offset:2048
	s_or_b64 exec, exec, s[0:1]
	s_and_saveexec_b64 s[0:1], s[8:9]
	s_cbranch_execz .LBB743_32
.LBB743_42:
	s_waitcnt lgkmcnt(2)
	global_store_dword v[0:1], v4, off offset:2560
	s_or_b64 exec, exec, s[0:1]
	s_and_saveexec_b64 s[0:1], s[10:11]
	s_cbranch_execz .LBB743_33
.LBB743_43:
	s_waitcnt lgkmcnt(2)
	global_store_dword v[0:1], v5, off offset:3072
	s_or_b64 exec, exec, s[0:1]
	s_and_saveexec_b64 s[0:1], s[12:13]
	s_cbranch_execz .LBB743_34
.LBB743_44:
	s_waitcnt lgkmcnt(1)
	global_store_dword v[0:1], v2, off offset:3584
	s_or_b64 exec, exec, s[0:1]
	s_and_saveexec_b64 s[0:1], s[14:15]
	s_cbranch_execz .LBB743_35
.LBB743_45:
	s_waitcnt lgkmcnt(2)
	v_add_co_u32_e32 v4, vcc, 0x1000, v0
	v_addc_co_u32_e32 v5, vcc, 0, v1, vcc
	s_waitcnt lgkmcnt(1)
	global_store_dword v[4:5], v3, off
	s_or_b64 exec, exec, s[0:1]
	s_and_saveexec_b64 s[0:1], s[16:17]
	s_cbranch_execz .LBB743_36
.LBB743_46:
	v_add_co_u32_e32 v0, vcc, 0x1000, v0
	v_addc_co_u32_e32 v1, vcc, 0, v1, vcc
	s_waitcnt lgkmcnt(0)
	global_store_dword v[0:1], v10, off offset:512
	s_endpgm
	.section	.rodata,"a",@progbits
	.p2align	6, 0x0
	.amdhsa_kernel _ZN7rocprim17ROCPRIM_400000_NS6detail17trampoline_kernelINS0_14default_configENS1_20scan_config_selectorIiEEZZNS1_9scan_implILNS1_25lookback_scan_determinismE0ELb0ELb1ES3_N6thrust23THRUST_200600_302600_NS6detail15normal_iteratorINS9_10device_ptrIiEEEESE_iNS9_4plusIiEEiEEDaPvRmT3_T4_T5_mT6_P12ihipStream_tbENKUlT_T0_E_clISt17integral_constantIbLb0EESU_EEDaSP_SQ_EUlSP_E0_NS1_11comp_targetILNS1_3genE4ELNS1_11target_archE910ELNS1_3gpuE8ELNS1_3repE0EEENS1_30default_config_static_selectorELNS0_4arch9wavefront6targetE1EEEvT1_
		.amdhsa_group_segment_fixed_size 5120
		.amdhsa_private_segment_fixed_size 0
		.amdhsa_kernarg_size 32
		.amdhsa_user_sgpr_count 6
		.amdhsa_user_sgpr_private_segment_buffer 1
		.amdhsa_user_sgpr_dispatch_ptr 0
		.amdhsa_user_sgpr_queue_ptr 0
		.amdhsa_user_sgpr_kernarg_segment_ptr 1
		.amdhsa_user_sgpr_dispatch_id 0
		.amdhsa_user_sgpr_flat_scratch_init 0
		.amdhsa_user_sgpr_kernarg_preload_length 0
		.amdhsa_user_sgpr_kernarg_preload_offset 0
		.amdhsa_user_sgpr_private_segment_size 0
		.amdhsa_uses_dynamic_stack 0
		.amdhsa_system_sgpr_private_segment_wavefront_offset 0
		.amdhsa_system_sgpr_workgroup_id_x 1
		.amdhsa_system_sgpr_workgroup_id_y 0
		.amdhsa_system_sgpr_workgroup_id_z 0
		.amdhsa_system_sgpr_workgroup_info 0
		.amdhsa_system_vgpr_workitem_id 0
		.amdhsa_next_free_vgpr 26
		.amdhsa_next_free_sgpr 26
		.amdhsa_accum_offset 28
		.amdhsa_reserve_vcc 1
		.amdhsa_reserve_flat_scratch 0
		.amdhsa_float_round_mode_32 0
		.amdhsa_float_round_mode_16_64 0
		.amdhsa_float_denorm_mode_32 3
		.amdhsa_float_denorm_mode_16_64 3
		.amdhsa_dx10_clamp 1
		.amdhsa_ieee_mode 1
		.amdhsa_fp16_overflow 0
		.amdhsa_tg_split 0
		.amdhsa_exception_fp_ieee_invalid_op 0
		.amdhsa_exception_fp_denorm_src 0
		.amdhsa_exception_fp_ieee_div_zero 0
		.amdhsa_exception_fp_ieee_overflow 0
		.amdhsa_exception_fp_ieee_underflow 0
		.amdhsa_exception_fp_ieee_inexact 0
		.amdhsa_exception_int_div_zero 0
	.end_amdhsa_kernel
	.section	.text._ZN7rocprim17ROCPRIM_400000_NS6detail17trampoline_kernelINS0_14default_configENS1_20scan_config_selectorIiEEZZNS1_9scan_implILNS1_25lookback_scan_determinismE0ELb0ELb1ES3_N6thrust23THRUST_200600_302600_NS6detail15normal_iteratorINS9_10device_ptrIiEEEESE_iNS9_4plusIiEEiEEDaPvRmT3_T4_T5_mT6_P12ihipStream_tbENKUlT_T0_E_clISt17integral_constantIbLb0EESU_EEDaSP_SQ_EUlSP_E0_NS1_11comp_targetILNS1_3genE4ELNS1_11target_archE910ELNS1_3gpuE8ELNS1_3repE0EEENS1_30default_config_static_selectorELNS0_4arch9wavefront6targetE1EEEvT1_,"axG",@progbits,_ZN7rocprim17ROCPRIM_400000_NS6detail17trampoline_kernelINS0_14default_configENS1_20scan_config_selectorIiEEZZNS1_9scan_implILNS1_25lookback_scan_determinismE0ELb0ELb1ES3_N6thrust23THRUST_200600_302600_NS6detail15normal_iteratorINS9_10device_ptrIiEEEESE_iNS9_4plusIiEEiEEDaPvRmT3_T4_T5_mT6_P12ihipStream_tbENKUlT_T0_E_clISt17integral_constantIbLb0EESU_EEDaSP_SQ_EUlSP_E0_NS1_11comp_targetILNS1_3genE4ELNS1_11target_archE910ELNS1_3gpuE8ELNS1_3repE0EEENS1_30default_config_static_selectorELNS0_4arch9wavefront6targetE1EEEvT1_,comdat
.Lfunc_end743:
	.size	_ZN7rocprim17ROCPRIM_400000_NS6detail17trampoline_kernelINS0_14default_configENS1_20scan_config_selectorIiEEZZNS1_9scan_implILNS1_25lookback_scan_determinismE0ELb0ELb1ES3_N6thrust23THRUST_200600_302600_NS6detail15normal_iteratorINS9_10device_ptrIiEEEESE_iNS9_4plusIiEEiEEDaPvRmT3_T4_T5_mT6_P12ihipStream_tbENKUlT_T0_E_clISt17integral_constantIbLb0EESU_EEDaSP_SQ_EUlSP_E0_NS1_11comp_targetILNS1_3genE4ELNS1_11target_archE910ELNS1_3gpuE8ELNS1_3repE0EEENS1_30default_config_static_selectorELNS0_4arch9wavefront6targetE1EEEvT1_, .Lfunc_end743-_ZN7rocprim17ROCPRIM_400000_NS6detail17trampoline_kernelINS0_14default_configENS1_20scan_config_selectorIiEEZZNS1_9scan_implILNS1_25lookback_scan_determinismE0ELb0ELb1ES3_N6thrust23THRUST_200600_302600_NS6detail15normal_iteratorINS9_10device_ptrIiEEEESE_iNS9_4plusIiEEiEEDaPvRmT3_T4_T5_mT6_P12ihipStream_tbENKUlT_T0_E_clISt17integral_constantIbLb0EESU_EEDaSP_SQ_EUlSP_E0_NS1_11comp_targetILNS1_3genE4ELNS1_11target_archE910ELNS1_3gpuE8ELNS1_3repE0EEENS1_30default_config_static_selectorELNS0_4arch9wavefront6targetE1EEEvT1_
                                        ; -- End function
	.section	.AMDGPU.csdata,"",@progbits
; Kernel info:
; codeLenInByte = 1596
; NumSgprs: 30
; NumVgprs: 26
; NumAgprs: 0
; TotalNumVgprs: 26
; ScratchSize: 0
; MemoryBound: 0
; FloatMode: 240
; IeeeMode: 1
; LDSByteSize: 5120 bytes/workgroup (compile time only)
; SGPRBlocks: 3
; VGPRBlocks: 3
; NumSGPRsForWavesPerEU: 30
; NumVGPRsForWavesPerEU: 26
; AccumOffset: 28
; Occupancy: 6
; WaveLimiterHint : 0
; COMPUTE_PGM_RSRC2:SCRATCH_EN: 0
; COMPUTE_PGM_RSRC2:USER_SGPR: 6
; COMPUTE_PGM_RSRC2:TRAP_HANDLER: 0
; COMPUTE_PGM_RSRC2:TGID_X_EN: 1
; COMPUTE_PGM_RSRC2:TGID_Y_EN: 0
; COMPUTE_PGM_RSRC2:TGID_Z_EN: 0
; COMPUTE_PGM_RSRC2:TIDIG_COMP_CNT: 0
; COMPUTE_PGM_RSRC3_GFX90A:ACCUM_OFFSET: 6
; COMPUTE_PGM_RSRC3_GFX90A:TG_SPLIT: 0
	.section	.text._ZN7rocprim17ROCPRIM_400000_NS6detail17trampoline_kernelINS0_14default_configENS1_20scan_config_selectorIiEEZZNS1_9scan_implILNS1_25lookback_scan_determinismE0ELb0ELb1ES3_N6thrust23THRUST_200600_302600_NS6detail15normal_iteratorINS9_10device_ptrIiEEEESE_iNS9_4plusIiEEiEEDaPvRmT3_T4_T5_mT6_P12ihipStream_tbENKUlT_T0_E_clISt17integral_constantIbLb0EESU_EEDaSP_SQ_EUlSP_E0_NS1_11comp_targetILNS1_3genE3ELNS1_11target_archE908ELNS1_3gpuE7ELNS1_3repE0EEENS1_30default_config_static_selectorELNS0_4arch9wavefront6targetE1EEEvT1_,"axG",@progbits,_ZN7rocprim17ROCPRIM_400000_NS6detail17trampoline_kernelINS0_14default_configENS1_20scan_config_selectorIiEEZZNS1_9scan_implILNS1_25lookback_scan_determinismE0ELb0ELb1ES3_N6thrust23THRUST_200600_302600_NS6detail15normal_iteratorINS9_10device_ptrIiEEEESE_iNS9_4plusIiEEiEEDaPvRmT3_T4_T5_mT6_P12ihipStream_tbENKUlT_T0_E_clISt17integral_constantIbLb0EESU_EEDaSP_SQ_EUlSP_E0_NS1_11comp_targetILNS1_3genE3ELNS1_11target_archE908ELNS1_3gpuE7ELNS1_3repE0EEENS1_30default_config_static_selectorELNS0_4arch9wavefront6targetE1EEEvT1_,comdat
	.protected	_ZN7rocprim17ROCPRIM_400000_NS6detail17trampoline_kernelINS0_14default_configENS1_20scan_config_selectorIiEEZZNS1_9scan_implILNS1_25lookback_scan_determinismE0ELb0ELb1ES3_N6thrust23THRUST_200600_302600_NS6detail15normal_iteratorINS9_10device_ptrIiEEEESE_iNS9_4plusIiEEiEEDaPvRmT3_T4_T5_mT6_P12ihipStream_tbENKUlT_T0_E_clISt17integral_constantIbLb0EESU_EEDaSP_SQ_EUlSP_E0_NS1_11comp_targetILNS1_3genE3ELNS1_11target_archE908ELNS1_3gpuE7ELNS1_3repE0EEENS1_30default_config_static_selectorELNS0_4arch9wavefront6targetE1EEEvT1_ ; -- Begin function _ZN7rocprim17ROCPRIM_400000_NS6detail17trampoline_kernelINS0_14default_configENS1_20scan_config_selectorIiEEZZNS1_9scan_implILNS1_25lookback_scan_determinismE0ELb0ELb1ES3_N6thrust23THRUST_200600_302600_NS6detail15normal_iteratorINS9_10device_ptrIiEEEESE_iNS9_4plusIiEEiEEDaPvRmT3_T4_T5_mT6_P12ihipStream_tbENKUlT_T0_E_clISt17integral_constantIbLb0EESU_EEDaSP_SQ_EUlSP_E0_NS1_11comp_targetILNS1_3genE3ELNS1_11target_archE908ELNS1_3gpuE7ELNS1_3repE0EEENS1_30default_config_static_selectorELNS0_4arch9wavefront6targetE1EEEvT1_
	.globl	_ZN7rocprim17ROCPRIM_400000_NS6detail17trampoline_kernelINS0_14default_configENS1_20scan_config_selectorIiEEZZNS1_9scan_implILNS1_25lookback_scan_determinismE0ELb0ELb1ES3_N6thrust23THRUST_200600_302600_NS6detail15normal_iteratorINS9_10device_ptrIiEEEESE_iNS9_4plusIiEEiEEDaPvRmT3_T4_T5_mT6_P12ihipStream_tbENKUlT_T0_E_clISt17integral_constantIbLb0EESU_EEDaSP_SQ_EUlSP_E0_NS1_11comp_targetILNS1_3genE3ELNS1_11target_archE908ELNS1_3gpuE7ELNS1_3repE0EEENS1_30default_config_static_selectorELNS0_4arch9wavefront6targetE1EEEvT1_
	.p2align	8
	.type	_ZN7rocprim17ROCPRIM_400000_NS6detail17trampoline_kernelINS0_14default_configENS1_20scan_config_selectorIiEEZZNS1_9scan_implILNS1_25lookback_scan_determinismE0ELb0ELb1ES3_N6thrust23THRUST_200600_302600_NS6detail15normal_iteratorINS9_10device_ptrIiEEEESE_iNS9_4plusIiEEiEEDaPvRmT3_T4_T5_mT6_P12ihipStream_tbENKUlT_T0_E_clISt17integral_constantIbLb0EESU_EEDaSP_SQ_EUlSP_E0_NS1_11comp_targetILNS1_3genE3ELNS1_11target_archE908ELNS1_3gpuE7ELNS1_3repE0EEENS1_30default_config_static_selectorELNS0_4arch9wavefront6targetE1EEEvT1_,@function
_ZN7rocprim17ROCPRIM_400000_NS6detail17trampoline_kernelINS0_14default_configENS1_20scan_config_selectorIiEEZZNS1_9scan_implILNS1_25lookback_scan_determinismE0ELb0ELb1ES3_N6thrust23THRUST_200600_302600_NS6detail15normal_iteratorINS9_10device_ptrIiEEEESE_iNS9_4plusIiEEiEEDaPvRmT3_T4_T5_mT6_P12ihipStream_tbENKUlT_T0_E_clISt17integral_constantIbLb0EESU_EEDaSP_SQ_EUlSP_E0_NS1_11comp_targetILNS1_3genE3ELNS1_11target_archE908ELNS1_3gpuE7ELNS1_3repE0EEENS1_30default_config_static_selectorELNS0_4arch9wavefront6targetE1EEEvT1_: ; @_ZN7rocprim17ROCPRIM_400000_NS6detail17trampoline_kernelINS0_14default_configENS1_20scan_config_selectorIiEEZZNS1_9scan_implILNS1_25lookback_scan_determinismE0ELb0ELb1ES3_N6thrust23THRUST_200600_302600_NS6detail15normal_iteratorINS9_10device_ptrIiEEEESE_iNS9_4plusIiEEiEEDaPvRmT3_T4_T5_mT6_P12ihipStream_tbENKUlT_T0_E_clISt17integral_constantIbLb0EESU_EEDaSP_SQ_EUlSP_E0_NS1_11comp_targetILNS1_3genE3ELNS1_11target_archE908ELNS1_3gpuE7ELNS1_3repE0EEENS1_30default_config_static_selectorELNS0_4arch9wavefront6targetE1EEEvT1_
; %bb.0:
	.section	.rodata,"a",@progbits
	.p2align	6, 0x0
	.amdhsa_kernel _ZN7rocprim17ROCPRIM_400000_NS6detail17trampoline_kernelINS0_14default_configENS1_20scan_config_selectorIiEEZZNS1_9scan_implILNS1_25lookback_scan_determinismE0ELb0ELb1ES3_N6thrust23THRUST_200600_302600_NS6detail15normal_iteratorINS9_10device_ptrIiEEEESE_iNS9_4plusIiEEiEEDaPvRmT3_T4_T5_mT6_P12ihipStream_tbENKUlT_T0_E_clISt17integral_constantIbLb0EESU_EEDaSP_SQ_EUlSP_E0_NS1_11comp_targetILNS1_3genE3ELNS1_11target_archE908ELNS1_3gpuE7ELNS1_3repE0EEENS1_30default_config_static_selectorELNS0_4arch9wavefront6targetE1EEEvT1_
		.amdhsa_group_segment_fixed_size 0
		.amdhsa_private_segment_fixed_size 0
		.amdhsa_kernarg_size 32
		.amdhsa_user_sgpr_count 6
		.amdhsa_user_sgpr_private_segment_buffer 1
		.amdhsa_user_sgpr_dispatch_ptr 0
		.amdhsa_user_sgpr_queue_ptr 0
		.amdhsa_user_sgpr_kernarg_segment_ptr 1
		.amdhsa_user_sgpr_dispatch_id 0
		.amdhsa_user_sgpr_flat_scratch_init 0
		.amdhsa_user_sgpr_kernarg_preload_length 0
		.amdhsa_user_sgpr_kernarg_preload_offset 0
		.amdhsa_user_sgpr_private_segment_size 0
		.amdhsa_uses_dynamic_stack 0
		.amdhsa_system_sgpr_private_segment_wavefront_offset 0
		.amdhsa_system_sgpr_workgroup_id_x 1
		.amdhsa_system_sgpr_workgroup_id_y 0
		.amdhsa_system_sgpr_workgroup_id_z 0
		.amdhsa_system_sgpr_workgroup_info 0
		.amdhsa_system_vgpr_workitem_id 0
		.amdhsa_next_free_vgpr 1
		.amdhsa_next_free_sgpr 0
		.amdhsa_accum_offset 4
		.amdhsa_reserve_vcc 0
		.amdhsa_reserve_flat_scratch 0
		.amdhsa_float_round_mode_32 0
		.amdhsa_float_round_mode_16_64 0
		.amdhsa_float_denorm_mode_32 3
		.amdhsa_float_denorm_mode_16_64 3
		.amdhsa_dx10_clamp 1
		.amdhsa_ieee_mode 1
		.amdhsa_fp16_overflow 0
		.amdhsa_tg_split 0
		.amdhsa_exception_fp_ieee_invalid_op 0
		.amdhsa_exception_fp_denorm_src 0
		.amdhsa_exception_fp_ieee_div_zero 0
		.amdhsa_exception_fp_ieee_overflow 0
		.amdhsa_exception_fp_ieee_underflow 0
		.amdhsa_exception_fp_ieee_inexact 0
		.amdhsa_exception_int_div_zero 0
	.end_amdhsa_kernel
	.section	.text._ZN7rocprim17ROCPRIM_400000_NS6detail17trampoline_kernelINS0_14default_configENS1_20scan_config_selectorIiEEZZNS1_9scan_implILNS1_25lookback_scan_determinismE0ELb0ELb1ES3_N6thrust23THRUST_200600_302600_NS6detail15normal_iteratorINS9_10device_ptrIiEEEESE_iNS9_4plusIiEEiEEDaPvRmT3_T4_T5_mT6_P12ihipStream_tbENKUlT_T0_E_clISt17integral_constantIbLb0EESU_EEDaSP_SQ_EUlSP_E0_NS1_11comp_targetILNS1_3genE3ELNS1_11target_archE908ELNS1_3gpuE7ELNS1_3repE0EEENS1_30default_config_static_selectorELNS0_4arch9wavefront6targetE1EEEvT1_,"axG",@progbits,_ZN7rocprim17ROCPRIM_400000_NS6detail17trampoline_kernelINS0_14default_configENS1_20scan_config_selectorIiEEZZNS1_9scan_implILNS1_25lookback_scan_determinismE0ELb0ELb1ES3_N6thrust23THRUST_200600_302600_NS6detail15normal_iteratorINS9_10device_ptrIiEEEESE_iNS9_4plusIiEEiEEDaPvRmT3_T4_T5_mT6_P12ihipStream_tbENKUlT_T0_E_clISt17integral_constantIbLb0EESU_EEDaSP_SQ_EUlSP_E0_NS1_11comp_targetILNS1_3genE3ELNS1_11target_archE908ELNS1_3gpuE7ELNS1_3repE0EEENS1_30default_config_static_selectorELNS0_4arch9wavefront6targetE1EEEvT1_,comdat
.Lfunc_end744:
	.size	_ZN7rocprim17ROCPRIM_400000_NS6detail17trampoline_kernelINS0_14default_configENS1_20scan_config_selectorIiEEZZNS1_9scan_implILNS1_25lookback_scan_determinismE0ELb0ELb1ES3_N6thrust23THRUST_200600_302600_NS6detail15normal_iteratorINS9_10device_ptrIiEEEESE_iNS9_4plusIiEEiEEDaPvRmT3_T4_T5_mT6_P12ihipStream_tbENKUlT_T0_E_clISt17integral_constantIbLb0EESU_EEDaSP_SQ_EUlSP_E0_NS1_11comp_targetILNS1_3genE3ELNS1_11target_archE908ELNS1_3gpuE7ELNS1_3repE0EEENS1_30default_config_static_selectorELNS0_4arch9wavefront6targetE1EEEvT1_, .Lfunc_end744-_ZN7rocprim17ROCPRIM_400000_NS6detail17trampoline_kernelINS0_14default_configENS1_20scan_config_selectorIiEEZZNS1_9scan_implILNS1_25lookback_scan_determinismE0ELb0ELb1ES3_N6thrust23THRUST_200600_302600_NS6detail15normal_iteratorINS9_10device_ptrIiEEEESE_iNS9_4plusIiEEiEEDaPvRmT3_T4_T5_mT6_P12ihipStream_tbENKUlT_T0_E_clISt17integral_constantIbLb0EESU_EEDaSP_SQ_EUlSP_E0_NS1_11comp_targetILNS1_3genE3ELNS1_11target_archE908ELNS1_3gpuE7ELNS1_3repE0EEENS1_30default_config_static_selectorELNS0_4arch9wavefront6targetE1EEEvT1_
                                        ; -- End function
	.section	.AMDGPU.csdata,"",@progbits
; Kernel info:
; codeLenInByte = 0
; NumSgprs: 4
; NumVgprs: 0
; NumAgprs: 0
; TotalNumVgprs: 0
; ScratchSize: 0
; MemoryBound: 0
; FloatMode: 240
; IeeeMode: 1
; LDSByteSize: 0 bytes/workgroup (compile time only)
; SGPRBlocks: 0
; VGPRBlocks: 0
; NumSGPRsForWavesPerEU: 4
; NumVGPRsForWavesPerEU: 1
; AccumOffset: 4
; Occupancy: 8
; WaveLimiterHint : 0
; COMPUTE_PGM_RSRC2:SCRATCH_EN: 0
; COMPUTE_PGM_RSRC2:USER_SGPR: 6
; COMPUTE_PGM_RSRC2:TRAP_HANDLER: 0
; COMPUTE_PGM_RSRC2:TGID_X_EN: 1
; COMPUTE_PGM_RSRC2:TGID_Y_EN: 0
; COMPUTE_PGM_RSRC2:TGID_Z_EN: 0
; COMPUTE_PGM_RSRC2:TIDIG_COMP_CNT: 0
; COMPUTE_PGM_RSRC3_GFX90A:ACCUM_OFFSET: 0
; COMPUTE_PGM_RSRC3_GFX90A:TG_SPLIT: 0
	.section	.text._ZN7rocprim17ROCPRIM_400000_NS6detail17trampoline_kernelINS0_14default_configENS1_20scan_config_selectorIiEEZZNS1_9scan_implILNS1_25lookback_scan_determinismE0ELb0ELb1ES3_N6thrust23THRUST_200600_302600_NS6detail15normal_iteratorINS9_10device_ptrIiEEEESE_iNS9_4plusIiEEiEEDaPvRmT3_T4_T5_mT6_P12ihipStream_tbENKUlT_T0_E_clISt17integral_constantIbLb0EESU_EEDaSP_SQ_EUlSP_E0_NS1_11comp_targetILNS1_3genE2ELNS1_11target_archE906ELNS1_3gpuE6ELNS1_3repE0EEENS1_30default_config_static_selectorELNS0_4arch9wavefront6targetE1EEEvT1_,"axG",@progbits,_ZN7rocprim17ROCPRIM_400000_NS6detail17trampoline_kernelINS0_14default_configENS1_20scan_config_selectorIiEEZZNS1_9scan_implILNS1_25lookback_scan_determinismE0ELb0ELb1ES3_N6thrust23THRUST_200600_302600_NS6detail15normal_iteratorINS9_10device_ptrIiEEEESE_iNS9_4plusIiEEiEEDaPvRmT3_T4_T5_mT6_P12ihipStream_tbENKUlT_T0_E_clISt17integral_constantIbLb0EESU_EEDaSP_SQ_EUlSP_E0_NS1_11comp_targetILNS1_3genE2ELNS1_11target_archE906ELNS1_3gpuE6ELNS1_3repE0EEENS1_30default_config_static_selectorELNS0_4arch9wavefront6targetE1EEEvT1_,comdat
	.protected	_ZN7rocprim17ROCPRIM_400000_NS6detail17trampoline_kernelINS0_14default_configENS1_20scan_config_selectorIiEEZZNS1_9scan_implILNS1_25lookback_scan_determinismE0ELb0ELb1ES3_N6thrust23THRUST_200600_302600_NS6detail15normal_iteratorINS9_10device_ptrIiEEEESE_iNS9_4plusIiEEiEEDaPvRmT3_T4_T5_mT6_P12ihipStream_tbENKUlT_T0_E_clISt17integral_constantIbLb0EESU_EEDaSP_SQ_EUlSP_E0_NS1_11comp_targetILNS1_3genE2ELNS1_11target_archE906ELNS1_3gpuE6ELNS1_3repE0EEENS1_30default_config_static_selectorELNS0_4arch9wavefront6targetE1EEEvT1_ ; -- Begin function _ZN7rocprim17ROCPRIM_400000_NS6detail17trampoline_kernelINS0_14default_configENS1_20scan_config_selectorIiEEZZNS1_9scan_implILNS1_25lookback_scan_determinismE0ELb0ELb1ES3_N6thrust23THRUST_200600_302600_NS6detail15normal_iteratorINS9_10device_ptrIiEEEESE_iNS9_4plusIiEEiEEDaPvRmT3_T4_T5_mT6_P12ihipStream_tbENKUlT_T0_E_clISt17integral_constantIbLb0EESU_EEDaSP_SQ_EUlSP_E0_NS1_11comp_targetILNS1_3genE2ELNS1_11target_archE906ELNS1_3gpuE6ELNS1_3repE0EEENS1_30default_config_static_selectorELNS0_4arch9wavefront6targetE1EEEvT1_
	.globl	_ZN7rocprim17ROCPRIM_400000_NS6detail17trampoline_kernelINS0_14default_configENS1_20scan_config_selectorIiEEZZNS1_9scan_implILNS1_25lookback_scan_determinismE0ELb0ELb1ES3_N6thrust23THRUST_200600_302600_NS6detail15normal_iteratorINS9_10device_ptrIiEEEESE_iNS9_4plusIiEEiEEDaPvRmT3_T4_T5_mT6_P12ihipStream_tbENKUlT_T0_E_clISt17integral_constantIbLb0EESU_EEDaSP_SQ_EUlSP_E0_NS1_11comp_targetILNS1_3genE2ELNS1_11target_archE906ELNS1_3gpuE6ELNS1_3repE0EEENS1_30default_config_static_selectorELNS0_4arch9wavefront6targetE1EEEvT1_
	.p2align	8
	.type	_ZN7rocprim17ROCPRIM_400000_NS6detail17trampoline_kernelINS0_14default_configENS1_20scan_config_selectorIiEEZZNS1_9scan_implILNS1_25lookback_scan_determinismE0ELb0ELb1ES3_N6thrust23THRUST_200600_302600_NS6detail15normal_iteratorINS9_10device_ptrIiEEEESE_iNS9_4plusIiEEiEEDaPvRmT3_T4_T5_mT6_P12ihipStream_tbENKUlT_T0_E_clISt17integral_constantIbLb0EESU_EEDaSP_SQ_EUlSP_E0_NS1_11comp_targetILNS1_3genE2ELNS1_11target_archE906ELNS1_3gpuE6ELNS1_3repE0EEENS1_30default_config_static_selectorELNS0_4arch9wavefront6targetE1EEEvT1_,@function
_ZN7rocprim17ROCPRIM_400000_NS6detail17trampoline_kernelINS0_14default_configENS1_20scan_config_selectorIiEEZZNS1_9scan_implILNS1_25lookback_scan_determinismE0ELb0ELb1ES3_N6thrust23THRUST_200600_302600_NS6detail15normal_iteratorINS9_10device_ptrIiEEEESE_iNS9_4plusIiEEiEEDaPvRmT3_T4_T5_mT6_P12ihipStream_tbENKUlT_T0_E_clISt17integral_constantIbLb0EESU_EEDaSP_SQ_EUlSP_E0_NS1_11comp_targetILNS1_3genE2ELNS1_11target_archE906ELNS1_3gpuE6ELNS1_3repE0EEENS1_30default_config_static_selectorELNS0_4arch9wavefront6targetE1EEEvT1_: ; @_ZN7rocprim17ROCPRIM_400000_NS6detail17trampoline_kernelINS0_14default_configENS1_20scan_config_selectorIiEEZZNS1_9scan_implILNS1_25lookback_scan_determinismE0ELb0ELb1ES3_N6thrust23THRUST_200600_302600_NS6detail15normal_iteratorINS9_10device_ptrIiEEEESE_iNS9_4plusIiEEiEEDaPvRmT3_T4_T5_mT6_P12ihipStream_tbENKUlT_T0_E_clISt17integral_constantIbLb0EESU_EEDaSP_SQ_EUlSP_E0_NS1_11comp_targetILNS1_3genE2ELNS1_11target_archE906ELNS1_3gpuE6ELNS1_3repE0EEENS1_30default_config_static_selectorELNS0_4arch9wavefront6targetE1EEEvT1_
; %bb.0:
	.section	.rodata,"a",@progbits
	.p2align	6, 0x0
	.amdhsa_kernel _ZN7rocprim17ROCPRIM_400000_NS6detail17trampoline_kernelINS0_14default_configENS1_20scan_config_selectorIiEEZZNS1_9scan_implILNS1_25lookback_scan_determinismE0ELb0ELb1ES3_N6thrust23THRUST_200600_302600_NS6detail15normal_iteratorINS9_10device_ptrIiEEEESE_iNS9_4plusIiEEiEEDaPvRmT3_T4_T5_mT6_P12ihipStream_tbENKUlT_T0_E_clISt17integral_constantIbLb0EESU_EEDaSP_SQ_EUlSP_E0_NS1_11comp_targetILNS1_3genE2ELNS1_11target_archE906ELNS1_3gpuE6ELNS1_3repE0EEENS1_30default_config_static_selectorELNS0_4arch9wavefront6targetE1EEEvT1_
		.amdhsa_group_segment_fixed_size 0
		.amdhsa_private_segment_fixed_size 0
		.amdhsa_kernarg_size 32
		.amdhsa_user_sgpr_count 6
		.amdhsa_user_sgpr_private_segment_buffer 1
		.amdhsa_user_sgpr_dispatch_ptr 0
		.amdhsa_user_sgpr_queue_ptr 0
		.amdhsa_user_sgpr_kernarg_segment_ptr 1
		.amdhsa_user_sgpr_dispatch_id 0
		.amdhsa_user_sgpr_flat_scratch_init 0
		.amdhsa_user_sgpr_kernarg_preload_length 0
		.amdhsa_user_sgpr_kernarg_preload_offset 0
		.amdhsa_user_sgpr_private_segment_size 0
		.amdhsa_uses_dynamic_stack 0
		.amdhsa_system_sgpr_private_segment_wavefront_offset 0
		.amdhsa_system_sgpr_workgroup_id_x 1
		.amdhsa_system_sgpr_workgroup_id_y 0
		.amdhsa_system_sgpr_workgroup_id_z 0
		.amdhsa_system_sgpr_workgroup_info 0
		.amdhsa_system_vgpr_workitem_id 0
		.amdhsa_next_free_vgpr 1
		.amdhsa_next_free_sgpr 0
		.amdhsa_accum_offset 4
		.amdhsa_reserve_vcc 0
		.amdhsa_reserve_flat_scratch 0
		.amdhsa_float_round_mode_32 0
		.amdhsa_float_round_mode_16_64 0
		.amdhsa_float_denorm_mode_32 3
		.amdhsa_float_denorm_mode_16_64 3
		.amdhsa_dx10_clamp 1
		.amdhsa_ieee_mode 1
		.amdhsa_fp16_overflow 0
		.amdhsa_tg_split 0
		.amdhsa_exception_fp_ieee_invalid_op 0
		.amdhsa_exception_fp_denorm_src 0
		.amdhsa_exception_fp_ieee_div_zero 0
		.amdhsa_exception_fp_ieee_overflow 0
		.amdhsa_exception_fp_ieee_underflow 0
		.amdhsa_exception_fp_ieee_inexact 0
		.amdhsa_exception_int_div_zero 0
	.end_amdhsa_kernel
	.section	.text._ZN7rocprim17ROCPRIM_400000_NS6detail17trampoline_kernelINS0_14default_configENS1_20scan_config_selectorIiEEZZNS1_9scan_implILNS1_25lookback_scan_determinismE0ELb0ELb1ES3_N6thrust23THRUST_200600_302600_NS6detail15normal_iteratorINS9_10device_ptrIiEEEESE_iNS9_4plusIiEEiEEDaPvRmT3_T4_T5_mT6_P12ihipStream_tbENKUlT_T0_E_clISt17integral_constantIbLb0EESU_EEDaSP_SQ_EUlSP_E0_NS1_11comp_targetILNS1_3genE2ELNS1_11target_archE906ELNS1_3gpuE6ELNS1_3repE0EEENS1_30default_config_static_selectorELNS0_4arch9wavefront6targetE1EEEvT1_,"axG",@progbits,_ZN7rocprim17ROCPRIM_400000_NS6detail17trampoline_kernelINS0_14default_configENS1_20scan_config_selectorIiEEZZNS1_9scan_implILNS1_25lookback_scan_determinismE0ELb0ELb1ES3_N6thrust23THRUST_200600_302600_NS6detail15normal_iteratorINS9_10device_ptrIiEEEESE_iNS9_4plusIiEEiEEDaPvRmT3_T4_T5_mT6_P12ihipStream_tbENKUlT_T0_E_clISt17integral_constantIbLb0EESU_EEDaSP_SQ_EUlSP_E0_NS1_11comp_targetILNS1_3genE2ELNS1_11target_archE906ELNS1_3gpuE6ELNS1_3repE0EEENS1_30default_config_static_selectorELNS0_4arch9wavefront6targetE1EEEvT1_,comdat
.Lfunc_end745:
	.size	_ZN7rocprim17ROCPRIM_400000_NS6detail17trampoline_kernelINS0_14default_configENS1_20scan_config_selectorIiEEZZNS1_9scan_implILNS1_25lookback_scan_determinismE0ELb0ELb1ES3_N6thrust23THRUST_200600_302600_NS6detail15normal_iteratorINS9_10device_ptrIiEEEESE_iNS9_4plusIiEEiEEDaPvRmT3_T4_T5_mT6_P12ihipStream_tbENKUlT_T0_E_clISt17integral_constantIbLb0EESU_EEDaSP_SQ_EUlSP_E0_NS1_11comp_targetILNS1_3genE2ELNS1_11target_archE906ELNS1_3gpuE6ELNS1_3repE0EEENS1_30default_config_static_selectorELNS0_4arch9wavefront6targetE1EEEvT1_, .Lfunc_end745-_ZN7rocprim17ROCPRIM_400000_NS6detail17trampoline_kernelINS0_14default_configENS1_20scan_config_selectorIiEEZZNS1_9scan_implILNS1_25lookback_scan_determinismE0ELb0ELb1ES3_N6thrust23THRUST_200600_302600_NS6detail15normal_iteratorINS9_10device_ptrIiEEEESE_iNS9_4plusIiEEiEEDaPvRmT3_T4_T5_mT6_P12ihipStream_tbENKUlT_T0_E_clISt17integral_constantIbLb0EESU_EEDaSP_SQ_EUlSP_E0_NS1_11comp_targetILNS1_3genE2ELNS1_11target_archE906ELNS1_3gpuE6ELNS1_3repE0EEENS1_30default_config_static_selectorELNS0_4arch9wavefront6targetE1EEEvT1_
                                        ; -- End function
	.section	.AMDGPU.csdata,"",@progbits
; Kernel info:
; codeLenInByte = 0
; NumSgprs: 4
; NumVgprs: 0
; NumAgprs: 0
; TotalNumVgprs: 0
; ScratchSize: 0
; MemoryBound: 0
; FloatMode: 240
; IeeeMode: 1
; LDSByteSize: 0 bytes/workgroup (compile time only)
; SGPRBlocks: 0
; VGPRBlocks: 0
; NumSGPRsForWavesPerEU: 4
; NumVGPRsForWavesPerEU: 1
; AccumOffset: 4
; Occupancy: 8
; WaveLimiterHint : 0
; COMPUTE_PGM_RSRC2:SCRATCH_EN: 0
; COMPUTE_PGM_RSRC2:USER_SGPR: 6
; COMPUTE_PGM_RSRC2:TRAP_HANDLER: 0
; COMPUTE_PGM_RSRC2:TGID_X_EN: 1
; COMPUTE_PGM_RSRC2:TGID_Y_EN: 0
; COMPUTE_PGM_RSRC2:TGID_Z_EN: 0
; COMPUTE_PGM_RSRC2:TIDIG_COMP_CNT: 0
; COMPUTE_PGM_RSRC3_GFX90A:ACCUM_OFFSET: 0
; COMPUTE_PGM_RSRC3_GFX90A:TG_SPLIT: 0
	.section	.text._ZN7rocprim17ROCPRIM_400000_NS6detail17trampoline_kernelINS0_14default_configENS1_20scan_config_selectorIiEEZZNS1_9scan_implILNS1_25lookback_scan_determinismE0ELb0ELb1ES3_N6thrust23THRUST_200600_302600_NS6detail15normal_iteratorINS9_10device_ptrIiEEEESE_iNS9_4plusIiEEiEEDaPvRmT3_T4_T5_mT6_P12ihipStream_tbENKUlT_T0_E_clISt17integral_constantIbLb0EESU_EEDaSP_SQ_EUlSP_E0_NS1_11comp_targetILNS1_3genE10ELNS1_11target_archE1201ELNS1_3gpuE5ELNS1_3repE0EEENS1_30default_config_static_selectorELNS0_4arch9wavefront6targetE1EEEvT1_,"axG",@progbits,_ZN7rocprim17ROCPRIM_400000_NS6detail17trampoline_kernelINS0_14default_configENS1_20scan_config_selectorIiEEZZNS1_9scan_implILNS1_25lookback_scan_determinismE0ELb0ELb1ES3_N6thrust23THRUST_200600_302600_NS6detail15normal_iteratorINS9_10device_ptrIiEEEESE_iNS9_4plusIiEEiEEDaPvRmT3_T4_T5_mT6_P12ihipStream_tbENKUlT_T0_E_clISt17integral_constantIbLb0EESU_EEDaSP_SQ_EUlSP_E0_NS1_11comp_targetILNS1_3genE10ELNS1_11target_archE1201ELNS1_3gpuE5ELNS1_3repE0EEENS1_30default_config_static_selectorELNS0_4arch9wavefront6targetE1EEEvT1_,comdat
	.protected	_ZN7rocprim17ROCPRIM_400000_NS6detail17trampoline_kernelINS0_14default_configENS1_20scan_config_selectorIiEEZZNS1_9scan_implILNS1_25lookback_scan_determinismE0ELb0ELb1ES3_N6thrust23THRUST_200600_302600_NS6detail15normal_iteratorINS9_10device_ptrIiEEEESE_iNS9_4plusIiEEiEEDaPvRmT3_T4_T5_mT6_P12ihipStream_tbENKUlT_T0_E_clISt17integral_constantIbLb0EESU_EEDaSP_SQ_EUlSP_E0_NS1_11comp_targetILNS1_3genE10ELNS1_11target_archE1201ELNS1_3gpuE5ELNS1_3repE0EEENS1_30default_config_static_selectorELNS0_4arch9wavefront6targetE1EEEvT1_ ; -- Begin function _ZN7rocprim17ROCPRIM_400000_NS6detail17trampoline_kernelINS0_14default_configENS1_20scan_config_selectorIiEEZZNS1_9scan_implILNS1_25lookback_scan_determinismE0ELb0ELb1ES3_N6thrust23THRUST_200600_302600_NS6detail15normal_iteratorINS9_10device_ptrIiEEEESE_iNS9_4plusIiEEiEEDaPvRmT3_T4_T5_mT6_P12ihipStream_tbENKUlT_T0_E_clISt17integral_constantIbLb0EESU_EEDaSP_SQ_EUlSP_E0_NS1_11comp_targetILNS1_3genE10ELNS1_11target_archE1201ELNS1_3gpuE5ELNS1_3repE0EEENS1_30default_config_static_selectorELNS0_4arch9wavefront6targetE1EEEvT1_
	.globl	_ZN7rocprim17ROCPRIM_400000_NS6detail17trampoline_kernelINS0_14default_configENS1_20scan_config_selectorIiEEZZNS1_9scan_implILNS1_25lookback_scan_determinismE0ELb0ELb1ES3_N6thrust23THRUST_200600_302600_NS6detail15normal_iteratorINS9_10device_ptrIiEEEESE_iNS9_4plusIiEEiEEDaPvRmT3_T4_T5_mT6_P12ihipStream_tbENKUlT_T0_E_clISt17integral_constantIbLb0EESU_EEDaSP_SQ_EUlSP_E0_NS1_11comp_targetILNS1_3genE10ELNS1_11target_archE1201ELNS1_3gpuE5ELNS1_3repE0EEENS1_30default_config_static_selectorELNS0_4arch9wavefront6targetE1EEEvT1_
	.p2align	8
	.type	_ZN7rocprim17ROCPRIM_400000_NS6detail17trampoline_kernelINS0_14default_configENS1_20scan_config_selectorIiEEZZNS1_9scan_implILNS1_25lookback_scan_determinismE0ELb0ELb1ES3_N6thrust23THRUST_200600_302600_NS6detail15normal_iteratorINS9_10device_ptrIiEEEESE_iNS9_4plusIiEEiEEDaPvRmT3_T4_T5_mT6_P12ihipStream_tbENKUlT_T0_E_clISt17integral_constantIbLb0EESU_EEDaSP_SQ_EUlSP_E0_NS1_11comp_targetILNS1_3genE10ELNS1_11target_archE1201ELNS1_3gpuE5ELNS1_3repE0EEENS1_30default_config_static_selectorELNS0_4arch9wavefront6targetE1EEEvT1_,@function
_ZN7rocprim17ROCPRIM_400000_NS6detail17trampoline_kernelINS0_14default_configENS1_20scan_config_selectorIiEEZZNS1_9scan_implILNS1_25lookback_scan_determinismE0ELb0ELb1ES3_N6thrust23THRUST_200600_302600_NS6detail15normal_iteratorINS9_10device_ptrIiEEEESE_iNS9_4plusIiEEiEEDaPvRmT3_T4_T5_mT6_P12ihipStream_tbENKUlT_T0_E_clISt17integral_constantIbLb0EESU_EEDaSP_SQ_EUlSP_E0_NS1_11comp_targetILNS1_3genE10ELNS1_11target_archE1201ELNS1_3gpuE5ELNS1_3repE0EEENS1_30default_config_static_selectorELNS0_4arch9wavefront6targetE1EEEvT1_: ; @_ZN7rocprim17ROCPRIM_400000_NS6detail17trampoline_kernelINS0_14default_configENS1_20scan_config_selectorIiEEZZNS1_9scan_implILNS1_25lookback_scan_determinismE0ELb0ELb1ES3_N6thrust23THRUST_200600_302600_NS6detail15normal_iteratorINS9_10device_ptrIiEEEESE_iNS9_4plusIiEEiEEDaPvRmT3_T4_T5_mT6_P12ihipStream_tbENKUlT_T0_E_clISt17integral_constantIbLb0EESU_EEDaSP_SQ_EUlSP_E0_NS1_11comp_targetILNS1_3genE10ELNS1_11target_archE1201ELNS1_3gpuE5ELNS1_3repE0EEENS1_30default_config_static_selectorELNS0_4arch9wavefront6targetE1EEEvT1_
; %bb.0:
	.section	.rodata,"a",@progbits
	.p2align	6, 0x0
	.amdhsa_kernel _ZN7rocprim17ROCPRIM_400000_NS6detail17trampoline_kernelINS0_14default_configENS1_20scan_config_selectorIiEEZZNS1_9scan_implILNS1_25lookback_scan_determinismE0ELb0ELb1ES3_N6thrust23THRUST_200600_302600_NS6detail15normal_iteratorINS9_10device_ptrIiEEEESE_iNS9_4plusIiEEiEEDaPvRmT3_T4_T5_mT6_P12ihipStream_tbENKUlT_T0_E_clISt17integral_constantIbLb0EESU_EEDaSP_SQ_EUlSP_E0_NS1_11comp_targetILNS1_3genE10ELNS1_11target_archE1201ELNS1_3gpuE5ELNS1_3repE0EEENS1_30default_config_static_selectorELNS0_4arch9wavefront6targetE1EEEvT1_
		.amdhsa_group_segment_fixed_size 0
		.amdhsa_private_segment_fixed_size 0
		.amdhsa_kernarg_size 32
		.amdhsa_user_sgpr_count 6
		.amdhsa_user_sgpr_private_segment_buffer 1
		.amdhsa_user_sgpr_dispatch_ptr 0
		.amdhsa_user_sgpr_queue_ptr 0
		.amdhsa_user_sgpr_kernarg_segment_ptr 1
		.amdhsa_user_sgpr_dispatch_id 0
		.amdhsa_user_sgpr_flat_scratch_init 0
		.amdhsa_user_sgpr_kernarg_preload_length 0
		.amdhsa_user_sgpr_kernarg_preload_offset 0
		.amdhsa_user_sgpr_private_segment_size 0
		.amdhsa_uses_dynamic_stack 0
		.amdhsa_system_sgpr_private_segment_wavefront_offset 0
		.amdhsa_system_sgpr_workgroup_id_x 1
		.amdhsa_system_sgpr_workgroup_id_y 0
		.amdhsa_system_sgpr_workgroup_id_z 0
		.amdhsa_system_sgpr_workgroup_info 0
		.amdhsa_system_vgpr_workitem_id 0
		.amdhsa_next_free_vgpr 1
		.amdhsa_next_free_sgpr 0
		.amdhsa_accum_offset 4
		.amdhsa_reserve_vcc 0
		.amdhsa_reserve_flat_scratch 0
		.amdhsa_float_round_mode_32 0
		.amdhsa_float_round_mode_16_64 0
		.amdhsa_float_denorm_mode_32 3
		.amdhsa_float_denorm_mode_16_64 3
		.amdhsa_dx10_clamp 1
		.amdhsa_ieee_mode 1
		.amdhsa_fp16_overflow 0
		.amdhsa_tg_split 0
		.amdhsa_exception_fp_ieee_invalid_op 0
		.amdhsa_exception_fp_denorm_src 0
		.amdhsa_exception_fp_ieee_div_zero 0
		.amdhsa_exception_fp_ieee_overflow 0
		.amdhsa_exception_fp_ieee_underflow 0
		.amdhsa_exception_fp_ieee_inexact 0
		.amdhsa_exception_int_div_zero 0
	.end_amdhsa_kernel
	.section	.text._ZN7rocprim17ROCPRIM_400000_NS6detail17trampoline_kernelINS0_14default_configENS1_20scan_config_selectorIiEEZZNS1_9scan_implILNS1_25lookback_scan_determinismE0ELb0ELb1ES3_N6thrust23THRUST_200600_302600_NS6detail15normal_iteratorINS9_10device_ptrIiEEEESE_iNS9_4plusIiEEiEEDaPvRmT3_T4_T5_mT6_P12ihipStream_tbENKUlT_T0_E_clISt17integral_constantIbLb0EESU_EEDaSP_SQ_EUlSP_E0_NS1_11comp_targetILNS1_3genE10ELNS1_11target_archE1201ELNS1_3gpuE5ELNS1_3repE0EEENS1_30default_config_static_selectorELNS0_4arch9wavefront6targetE1EEEvT1_,"axG",@progbits,_ZN7rocprim17ROCPRIM_400000_NS6detail17trampoline_kernelINS0_14default_configENS1_20scan_config_selectorIiEEZZNS1_9scan_implILNS1_25lookback_scan_determinismE0ELb0ELb1ES3_N6thrust23THRUST_200600_302600_NS6detail15normal_iteratorINS9_10device_ptrIiEEEESE_iNS9_4plusIiEEiEEDaPvRmT3_T4_T5_mT6_P12ihipStream_tbENKUlT_T0_E_clISt17integral_constantIbLb0EESU_EEDaSP_SQ_EUlSP_E0_NS1_11comp_targetILNS1_3genE10ELNS1_11target_archE1201ELNS1_3gpuE5ELNS1_3repE0EEENS1_30default_config_static_selectorELNS0_4arch9wavefront6targetE1EEEvT1_,comdat
.Lfunc_end746:
	.size	_ZN7rocprim17ROCPRIM_400000_NS6detail17trampoline_kernelINS0_14default_configENS1_20scan_config_selectorIiEEZZNS1_9scan_implILNS1_25lookback_scan_determinismE0ELb0ELb1ES3_N6thrust23THRUST_200600_302600_NS6detail15normal_iteratorINS9_10device_ptrIiEEEESE_iNS9_4plusIiEEiEEDaPvRmT3_T4_T5_mT6_P12ihipStream_tbENKUlT_T0_E_clISt17integral_constantIbLb0EESU_EEDaSP_SQ_EUlSP_E0_NS1_11comp_targetILNS1_3genE10ELNS1_11target_archE1201ELNS1_3gpuE5ELNS1_3repE0EEENS1_30default_config_static_selectorELNS0_4arch9wavefront6targetE1EEEvT1_, .Lfunc_end746-_ZN7rocprim17ROCPRIM_400000_NS6detail17trampoline_kernelINS0_14default_configENS1_20scan_config_selectorIiEEZZNS1_9scan_implILNS1_25lookback_scan_determinismE0ELb0ELb1ES3_N6thrust23THRUST_200600_302600_NS6detail15normal_iteratorINS9_10device_ptrIiEEEESE_iNS9_4plusIiEEiEEDaPvRmT3_T4_T5_mT6_P12ihipStream_tbENKUlT_T0_E_clISt17integral_constantIbLb0EESU_EEDaSP_SQ_EUlSP_E0_NS1_11comp_targetILNS1_3genE10ELNS1_11target_archE1201ELNS1_3gpuE5ELNS1_3repE0EEENS1_30default_config_static_selectorELNS0_4arch9wavefront6targetE1EEEvT1_
                                        ; -- End function
	.section	.AMDGPU.csdata,"",@progbits
; Kernel info:
; codeLenInByte = 0
; NumSgprs: 4
; NumVgprs: 0
; NumAgprs: 0
; TotalNumVgprs: 0
; ScratchSize: 0
; MemoryBound: 0
; FloatMode: 240
; IeeeMode: 1
; LDSByteSize: 0 bytes/workgroup (compile time only)
; SGPRBlocks: 0
; VGPRBlocks: 0
; NumSGPRsForWavesPerEU: 4
; NumVGPRsForWavesPerEU: 1
; AccumOffset: 4
; Occupancy: 8
; WaveLimiterHint : 0
; COMPUTE_PGM_RSRC2:SCRATCH_EN: 0
; COMPUTE_PGM_RSRC2:USER_SGPR: 6
; COMPUTE_PGM_RSRC2:TRAP_HANDLER: 0
; COMPUTE_PGM_RSRC2:TGID_X_EN: 1
; COMPUTE_PGM_RSRC2:TGID_Y_EN: 0
; COMPUTE_PGM_RSRC2:TGID_Z_EN: 0
; COMPUTE_PGM_RSRC2:TIDIG_COMP_CNT: 0
; COMPUTE_PGM_RSRC3_GFX90A:ACCUM_OFFSET: 0
; COMPUTE_PGM_RSRC3_GFX90A:TG_SPLIT: 0
	.section	.text._ZN7rocprim17ROCPRIM_400000_NS6detail17trampoline_kernelINS0_14default_configENS1_20scan_config_selectorIiEEZZNS1_9scan_implILNS1_25lookback_scan_determinismE0ELb0ELb1ES3_N6thrust23THRUST_200600_302600_NS6detail15normal_iteratorINS9_10device_ptrIiEEEESE_iNS9_4plusIiEEiEEDaPvRmT3_T4_T5_mT6_P12ihipStream_tbENKUlT_T0_E_clISt17integral_constantIbLb0EESU_EEDaSP_SQ_EUlSP_E0_NS1_11comp_targetILNS1_3genE10ELNS1_11target_archE1200ELNS1_3gpuE4ELNS1_3repE0EEENS1_30default_config_static_selectorELNS0_4arch9wavefront6targetE1EEEvT1_,"axG",@progbits,_ZN7rocprim17ROCPRIM_400000_NS6detail17trampoline_kernelINS0_14default_configENS1_20scan_config_selectorIiEEZZNS1_9scan_implILNS1_25lookback_scan_determinismE0ELb0ELb1ES3_N6thrust23THRUST_200600_302600_NS6detail15normal_iteratorINS9_10device_ptrIiEEEESE_iNS9_4plusIiEEiEEDaPvRmT3_T4_T5_mT6_P12ihipStream_tbENKUlT_T0_E_clISt17integral_constantIbLb0EESU_EEDaSP_SQ_EUlSP_E0_NS1_11comp_targetILNS1_3genE10ELNS1_11target_archE1200ELNS1_3gpuE4ELNS1_3repE0EEENS1_30default_config_static_selectorELNS0_4arch9wavefront6targetE1EEEvT1_,comdat
	.protected	_ZN7rocprim17ROCPRIM_400000_NS6detail17trampoline_kernelINS0_14default_configENS1_20scan_config_selectorIiEEZZNS1_9scan_implILNS1_25lookback_scan_determinismE0ELb0ELb1ES3_N6thrust23THRUST_200600_302600_NS6detail15normal_iteratorINS9_10device_ptrIiEEEESE_iNS9_4plusIiEEiEEDaPvRmT3_T4_T5_mT6_P12ihipStream_tbENKUlT_T0_E_clISt17integral_constantIbLb0EESU_EEDaSP_SQ_EUlSP_E0_NS1_11comp_targetILNS1_3genE10ELNS1_11target_archE1200ELNS1_3gpuE4ELNS1_3repE0EEENS1_30default_config_static_selectorELNS0_4arch9wavefront6targetE1EEEvT1_ ; -- Begin function _ZN7rocprim17ROCPRIM_400000_NS6detail17trampoline_kernelINS0_14default_configENS1_20scan_config_selectorIiEEZZNS1_9scan_implILNS1_25lookback_scan_determinismE0ELb0ELb1ES3_N6thrust23THRUST_200600_302600_NS6detail15normal_iteratorINS9_10device_ptrIiEEEESE_iNS9_4plusIiEEiEEDaPvRmT3_T4_T5_mT6_P12ihipStream_tbENKUlT_T0_E_clISt17integral_constantIbLb0EESU_EEDaSP_SQ_EUlSP_E0_NS1_11comp_targetILNS1_3genE10ELNS1_11target_archE1200ELNS1_3gpuE4ELNS1_3repE0EEENS1_30default_config_static_selectorELNS0_4arch9wavefront6targetE1EEEvT1_
	.globl	_ZN7rocprim17ROCPRIM_400000_NS6detail17trampoline_kernelINS0_14default_configENS1_20scan_config_selectorIiEEZZNS1_9scan_implILNS1_25lookback_scan_determinismE0ELb0ELb1ES3_N6thrust23THRUST_200600_302600_NS6detail15normal_iteratorINS9_10device_ptrIiEEEESE_iNS9_4plusIiEEiEEDaPvRmT3_T4_T5_mT6_P12ihipStream_tbENKUlT_T0_E_clISt17integral_constantIbLb0EESU_EEDaSP_SQ_EUlSP_E0_NS1_11comp_targetILNS1_3genE10ELNS1_11target_archE1200ELNS1_3gpuE4ELNS1_3repE0EEENS1_30default_config_static_selectorELNS0_4arch9wavefront6targetE1EEEvT1_
	.p2align	8
	.type	_ZN7rocprim17ROCPRIM_400000_NS6detail17trampoline_kernelINS0_14default_configENS1_20scan_config_selectorIiEEZZNS1_9scan_implILNS1_25lookback_scan_determinismE0ELb0ELb1ES3_N6thrust23THRUST_200600_302600_NS6detail15normal_iteratorINS9_10device_ptrIiEEEESE_iNS9_4plusIiEEiEEDaPvRmT3_T4_T5_mT6_P12ihipStream_tbENKUlT_T0_E_clISt17integral_constantIbLb0EESU_EEDaSP_SQ_EUlSP_E0_NS1_11comp_targetILNS1_3genE10ELNS1_11target_archE1200ELNS1_3gpuE4ELNS1_3repE0EEENS1_30default_config_static_selectorELNS0_4arch9wavefront6targetE1EEEvT1_,@function
_ZN7rocprim17ROCPRIM_400000_NS6detail17trampoline_kernelINS0_14default_configENS1_20scan_config_selectorIiEEZZNS1_9scan_implILNS1_25lookback_scan_determinismE0ELb0ELb1ES3_N6thrust23THRUST_200600_302600_NS6detail15normal_iteratorINS9_10device_ptrIiEEEESE_iNS9_4plusIiEEiEEDaPvRmT3_T4_T5_mT6_P12ihipStream_tbENKUlT_T0_E_clISt17integral_constantIbLb0EESU_EEDaSP_SQ_EUlSP_E0_NS1_11comp_targetILNS1_3genE10ELNS1_11target_archE1200ELNS1_3gpuE4ELNS1_3repE0EEENS1_30default_config_static_selectorELNS0_4arch9wavefront6targetE1EEEvT1_: ; @_ZN7rocprim17ROCPRIM_400000_NS6detail17trampoline_kernelINS0_14default_configENS1_20scan_config_selectorIiEEZZNS1_9scan_implILNS1_25lookback_scan_determinismE0ELb0ELb1ES3_N6thrust23THRUST_200600_302600_NS6detail15normal_iteratorINS9_10device_ptrIiEEEESE_iNS9_4plusIiEEiEEDaPvRmT3_T4_T5_mT6_P12ihipStream_tbENKUlT_T0_E_clISt17integral_constantIbLb0EESU_EEDaSP_SQ_EUlSP_E0_NS1_11comp_targetILNS1_3genE10ELNS1_11target_archE1200ELNS1_3gpuE4ELNS1_3repE0EEENS1_30default_config_static_selectorELNS0_4arch9wavefront6targetE1EEEvT1_
; %bb.0:
	.section	.rodata,"a",@progbits
	.p2align	6, 0x0
	.amdhsa_kernel _ZN7rocprim17ROCPRIM_400000_NS6detail17trampoline_kernelINS0_14default_configENS1_20scan_config_selectorIiEEZZNS1_9scan_implILNS1_25lookback_scan_determinismE0ELb0ELb1ES3_N6thrust23THRUST_200600_302600_NS6detail15normal_iteratorINS9_10device_ptrIiEEEESE_iNS9_4plusIiEEiEEDaPvRmT3_T4_T5_mT6_P12ihipStream_tbENKUlT_T0_E_clISt17integral_constantIbLb0EESU_EEDaSP_SQ_EUlSP_E0_NS1_11comp_targetILNS1_3genE10ELNS1_11target_archE1200ELNS1_3gpuE4ELNS1_3repE0EEENS1_30default_config_static_selectorELNS0_4arch9wavefront6targetE1EEEvT1_
		.amdhsa_group_segment_fixed_size 0
		.amdhsa_private_segment_fixed_size 0
		.amdhsa_kernarg_size 32
		.amdhsa_user_sgpr_count 6
		.amdhsa_user_sgpr_private_segment_buffer 1
		.amdhsa_user_sgpr_dispatch_ptr 0
		.amdhsa_user_sgpr_queue_ptr 0
		.amdhsa_user_sgpr_kernarg_segment_ptr 1
		.amdhsa_user_sgpr_dispatch_id 0
		.amdhsa_user_sgpr_flat_scratch_init 0
		.amdhsa_user_sgpr_kernarg_preload_length 0
		.amdhsa_user_sgpr_kernarg_preload_offset 0
		.amdhsa_user_sgpr_private_segment_size 0
		.amdhsa_uses_dynamic_stack 0
		.amdhsa_system_sgpr_private_segment_wavefront_offset 0
		.amdhsa_system_sgpr_workgroup_id_x 1
		.amdhsa_system_sgpr_workgroup_id_y 0
		.amdhsa_system_sgpr_workgroup_id_z 0
		.amdhsa_system_sgpr_workgroup_info 0
		.amdhsa_system_vgpr_workitem_id 0
		.amdhsa_next_free_vgpr 1
		.amdhsa_next_free_sgpr 0
		.amdhsa_accum_offset 4
		.amdhsa_reserve_vcc 0
		.amdhsa_reserve_flat_scratch 0
		.amdhsa_float_round_mode_32 0
		.amdhsa_float_round_mode_16_64 0
		.amdhsa_float_denorm_mode_32 3
		.amdhsa_float_denorm_mode_16_64 3
		.amdhsa_dx10_clamp 1
		.amdhsa_ieee_mode 1
		.amdhsa_fp16_overflow 0
		.amdhsa_tg_split 0
		.amdhsa_exception_fp_ieee_invalid_op 0
		.amdhsa_exception_fp_denorm_src 0
		.amdhsa_exception_fp_ieee_div_zero 0
		.amdhsa_exception_fp_ieee_overflow 0
		.amdhsa_exception_fp_ieee_underflow 0
		.amdhsa_exception_fp_ieee_inexact 0
		.amdhsa_exception_int_div_zero 0
	.end_amdhsa_kernel
	.section	.text._ZN7rocprim17ROCPRIM_400000_NS6detail17trampoline_kernelINS0_14default_configENS1_20scan_config_selectorIiEEZZNS1_9scan_implILNS1_25lookback_scan_determinismE0ELb0ELb1ES3_N6thrust23THRUST_200600_302600_NS6detail15normal_iteratorINS9_10device_ptrIiEEEESE_iNS9_4plusIiEEiEEDaPvRmT3_T4_T5_mT6_P12ihipStream_tbENKUlT_T0_E_clISt17integral_constantIbLb0EESU_EEDaSP_SQ_EUlSP_E0_NS1_11comp_targetILNS1_3genE10ELNS1_11target_archE1200ELNS1_3gpuE4ELNS1_3repE0EEENS1_30default_config_static_selectorELNS0_4arch9wavefront6targetE1EEEvT1_,"axG",@progbits,_ZN7rocprim17ROCPRIM_400000_NS6detail17trampoline_kernelINS0_14default_configENS1_20scan_config_selectorIiEEZZNS1_9scan_implILNS1_25lookback_scan_determinismE0ELb0ELb1ES3_N6thrust23THRUST_200600_302600_NS6detail15normal_iteratorINS9_10device_ptrIiEEEESE_iNS9_4plusIiEEiEEDaPvRmT3_T4_T5_mT6_P12ihipStream_tbENKUlT_T0_E_clISt17integral_constantIbLb0EESU_EEDaSP_SQ_EUlSP_E0_NS1_11comp_targetILNS1_3genE10ELNS1_11target_archE1200ELNS1_3gpuE4ELNS1_3repE0EEENS1_30default_config_static_selectorELNS0_4arch9wavefront6targetE1EEEvT1_,comdat
.Lfunc_end747:
	.size	_ZN7rocprim17ROCPRIM_400000_NS6detail17trampoline_kernelINS0_14default_configENS1_20scan_config_selectorIiEEZZNS1_9scan_implILNS1_25lookback_scan_determinismE0ELb0ELb1ES3_N6thrust23THRUST_200600_302600_NS6detail15normal_iteratorINS9_10device_ptrIiEEEESE_iNS9_4plusIiEEiEEDaPvRmT3_T4_T5_mT6_P12ihipStream_tbENKUlT_T0_E_clISt17integral_constantIbLb0EESU_EEDaSP_SQ_EUlSP_E0_NS1_11comp_targetILNS1_3genE10ELNS1_11target_archE1200ELNS1_3gpuE4ELNS1_3repE0EEENS1_30default_config_static_selectorELNS0_4arch9wavefront6targetE1EEEvT1_, .Lfunc_end747-_ZN7rocprim17ROCPRIM_400000_NS6detail17trampoline_kernelINS0_14default_configENS1_20scan_config_selectorIiEEZZNS1_9scan_implILNS1_25lookback_scan_determinismE0ELb0ELb1ES3_N6thrust23THRUST_200600_302600_NS6detail15normal_iteratorINS9_10device_ptrIiEEEESE_iNS9_4plusIiEEiEEDaPvRmT3_T4_T5_mT6_P12ihipStream_tbENKUlT_T0_E_clISt17integral_constantIbLb0EESU_EEDaSP_SQ_EUlSP_E0_NS1_11comp_targetILNS1_3genE10ELNS1_11target_archE1200ELNS1_3gpuE4ELNS1_3repE0EEENS1_30default_config_static_selectorELNS0_4arch9wavefront6targetE1EEEvT1_
                                        ; -- End function
	.section	.AMDGPU.csdata,"",@progbits
; Kernel info:
; codeLenInByte = 0
; NumSgprs: 4
; NumVgprs: 0
; NumAgprs: 0
; TotalNumVgprs: 0
; ScratchSize: 0
; MemoryBound: 0
; FloatMode: 240
; IeeeMode: 1
; LDSByteSize: 0 bytes/workgroup (compile time only)
; SGPRBlocks: 0
; VGPRBlocks: 0
; NumSGPRsForWavesPerEU: 4
; NumVGPRsForWavesPerEU: 1
; AccumOffset: 4
; Occupancy: 8
; WaveLimiterHint : 0
; COMPUTE_PGM_RSRC2:SCRATCH_EN: 0
; COMPUTE_PGM_RSRC2:USER_SGPR: 6
; COMPUTE_PGM_RSRC2:TRAP_HANDLER: 0
; COMPUTE_PGM_RSRC2:TGID_X_EN: 1
; COMPUTE_PGM_RSRC2:TGID_Y_EN: 0
; COMPUTE_PGM_RSRC2:TGID_Z_EN: 0
; COMPUTE_PGM_RSRC2:TIDIG_COMP_CNT: 0
; COMPUTE_PGM_RSRC3_GFX90A:ACCUM_OFFSET: 0
; COMPUTE_PGM_RSRC3_GFX90A:TG_SPLIT: 0
	.section	.text._ZN7rocprim17ROCPRIM_400000_NS6detail17trampoline_kernelINS0_14default_configENS1_20scan_config_selectorIiEEZZNS1_9scan_implILNS1_25lookback_scan_determinismE0ELb0ELb1ES3_N6thrust23THRUST_200600_302600_NS6detail15normal_iteratorINS9_10device_ptrIiEEEESE_iNS9_4plusIiEEiEEDaPvRmT3_T4_T5_mT6_P12ihipStream_tbENKUlT_T0_E_clISt17integral_constantIbLb0EESU_EEDaSP_SQ_EUlSP_E0_NS1_11comp_targetILNS1_3genE9ELNS1_11target_archE1100ELNS1_3gpuE3ELNS1_3repE0EEENS1_30default_config_static_selectorELNS0_4arch9wavefront6targetE1EEEvT1_,"axG",@progbits,_ZN7rocprim17ROCPRIM_400000_NS6detail17trampoline_kernelINS0_14default_configENS1_20scan_config_selectorIiEEZZNS1_9scan_implILNS1_25lookback_scan_determinismE0ELb0ELb1ES3_N6thrust23THRUST_200600_302600_NS6detail15normal_iteratorINS9_10device_ptrIiEEEESE_iNS9_4plusIiEEiEEDaPvRmT3_T4_T5_mT6_P12ihipStream_tbENKUlT_T0_E_clISt17integral_constantIbLb0EESU_EEDaSP_SQ_EUlSP_E0_NS1_11comp_targetILNS1_3genE9ELNS1_11target_archE1100ELNS1_3gpuE3ELNS1_3repE0EEENS1_30default_config_static_selectorELNS0_4arch9wavefront6targetE1EEEvT1_,comdat
	.protected	_ZN7rocprim17ROCPRIM_400000_NS6detail17trampoline_kernelINS0_14default_configENS1_20scan_config_selectorIiEEZZNS1_9scan_implILNS1_25lookback_scan_determinismE0ELb0ELb1ES3_N6thrust23THRUST_200600_302600_NS6detail15normal_iteratorINS9_10device_ptrIiEEEESE_iNS9_4plusIiEEiEEDaPvRmT3_T4_T5_mT6_P12ihipStream_tbENKUlT_T0_E_clISt17integral_constantIbLb0EESU_EEDaSP_SQ_EUlSP_E0_NS1_11comp_targetILNS1_3genE9ELNS1_11target_archE1100ELNS1_3gpuE3ELNS1_3repE0EEENS1_30default_config_static_selectorELNS0_4arch9wavefront6targetE1EEEvT1_ ; -- Begin function _ZN7rocprim17ROCPRIM_400000_NS6detail17trampoline_kernelINS0_14default_configENS1_20scan_config_selectorIiEEZZNS1_9scan_implILNS1_25lookback_scan_determinismE0ELb0ELb1ES3_N6thrust23THRUST_200600_302600_NS6detail15normal_iteratorINS9_10device_ptrIiEEEESE_iNS9_4plusIiEEiEEDaPvRmT3_T4_T5_mT6_P12ihipStream_tbENKUlT_T0_E_clISt17integral_constantIbLb0EESU_EEDaSP_SQ_EUlSP_E0_NS1_11comp_targetILNS1_3genE9ELNS1_11target_archE1100ELNS1_3gpuE3ELNS1_3repE0EEENS1_30default_config_static_selectorELNS0_4arch9wavefront6targetE1EEEvT1_
	.globl	_ZN7rocprim17ROCPRIM_400000_NS6detail17trampoline_kernelINS0_14default_configENS1_20scan_config_selectorIiEEZZNS1_9scan_implILNS1_25lookback_scan_determinismE0ELb0ELb1ES3_N6thrust23THRUST_200600_302600_NS6detail15normal_iteratorINS9_10device_ptrIiEEEESE_iNS9_4plusIiEEiEEDaPvRmT3_T4_T5_mT6_P12ihipStream_tbENKUlT_T0_E_clISt17integral_constantIbLb0EESU_EEDaSP_SQ_EUlSP_E0_NS1_11comp_targetILNS1_3genE9ELNS1_11target_archE1100ELNS1_3gpuE3ELNS1_3repE0EEENS1_30default_config_static_selectorELNS0_4arch9wavefront6targetE1EEEvT1_
	.p2align	8
	.type	_ZN7rocprim17ROCPRIM_400000_NS6detail17trampoline_kernelINS0_14default_configENS1_20scan_config_selectorIiEEZZNS1_9scan_implILNS1_25lookback_scan_determinismE0ELb0ELb1ES3_N6thrust23THRUST_200600_302600_NS6detail15normal_iteratorINS9_10device_ptrIiEEEESE_iNS9_4plusIiEEiEEDaPvRmT3_T4_T5_mT6_P12ihipStream_tbENKUlT_T0_E_clISt17integral_constantIbLb0EESU_EEDaSP_SQ_EUlSP_E0_NS1_11comp_targetILNS1_3genE9ELNS1_11target_archE1100ELNS1_3gpuE3ELNS1_3repE0EEENS1_30default_config_static_selectorELNS0_4arch9wavefront6targetE1EEEvT1_,@function
_ZN7rocprim17ROCPRIM_400000_NS6detail17trampoline_kernelINS0_14default_configENS1_20scan_config_selectorIiEEZZNS1_9scan_implILNS1_25lookback_scan_determinismE0ELb0ELb1ES3_N6thrust23THRUST_200600_302600_NS6detail15normal_iteratorINS9_10device_ptrIiEEEESE_iNS9_4plusIiEEiEEDaPvRmT3_T4_T5_mT6_P12ihipStream_tbENKUlT_T0_E_clISt17integral_constantIbLb0EESU_EEDaSP_SQ_EUlSP_E0_NS1_11comp_targetILNS1_3genE9ELNS1_11target_archE1100ELNS1_3gpuE3ELNS1_3repE0EEENS1_30default_config_static_selectorELNS0_4arch9wavefront6targetE1EEEvT1_: ; @_ZN7rocprim17ROCPRIM_400000_NS6detail17trampoline_kernelINS0_14default_configENS1_20scan_config_selectorIiEEZZNS1_9scan_implILNS1_25lookback_scan_determinismE0ELb0ELb1ES3_N6thrust23THRUST_200600_302600_NS6detail15normal_iteratorINS9_10device_ptrIiEEEESE_iNS9_4plusIiEEiEEDaPvRmT3_T4_T5_mT6_P12ihipStream_tbENKUlT_T0_E_clISt17integral_constantIbLb0EESU_EEDaSP_SQ_EUlSP_E0_NS1_11comp_targetILNS1_3genE9ELNS1_11target_archE1100ELNS1_3gpuE3ELNS1_3repE0EEENS1_30default_config_static_selectorELNS0_4arch9wavefront6targetE1EEEvT1_
; %bb.0:
	.section	.rodata,"a",@progbits
	.p2align	6, 0x0
	.amdhsa_kernel _ZN7rocprim17ROCPRIM_400000_NS6detail17trampoline_kernelINS0_14default_configENS1_20scan_config_selectorIiEEZZNS1_9scan_implILNS1_25lookback_scan_determinismE0ELb0ELb1ES3_N6thrust23THRUST_200600_302600_NS6detail15normal_iteratorINS9_10device_ptrIiEEEESE_iNS9_4plusIiEEiEEDaPvRmT3_T4_T5_mT6_P12ihipStream_tbENKUlT_T0_E_clISt17integral_constantIbLb0EESU_EEDaSP_SQ_EUlSP_E0_NS1_11comp_targetILNS1_3genE9ELNS1_11target_archE1100ELNS1_3gpuE3ELNS1_3repE0EEENS1_30default_config_static_selectorELNS0_4arch9wavefront6targetE1EEEvT1_
		.amdhsa_group_segment_fixed_size 0
		.amdhsa_private_segment_fixed_size 0
		.amdhsa_kernarg_size 32
		.amdhsa_user_sgpr_count 6
		.amdhsa_user_sgpr_private_segment_buffer 1
		.amdhsa_user_sgpr_dispatch_ptr 0
		.amdhsa_user_sgpr_queue_ptr 0
		.amdhsa_user_sgpr_kernarg_segment_ptr 1
		.amdhsa_user_sgpr_dispatch_id 0
		.amdhsa_user_sgpr_flat_scratch_init 0
		.amdhsa_user_sgpr_kernarg_preload_length 0
		.amdhsa_user_sgpr_kernarg_preload_offset 0
		.amdhsa_user_sgpr_private_segment_size 0
		.amdhsa_uses_dynamic_stack 0
		.amdhsa_system_sgpr_private_segment_wavefront_offset 0
		.amdhsa_system_sgpr_workgroup_id_x 1
		.amdhsa_system_sgpr_workgroup_id_y 0
		.amdhsa_system_sgpr_workgroup_id_z 0
		.amdhsa_system_sgpr_workgroup_info 0
		.amdhsa_system_vgpr_workitem_id 0
		.amdhsa_next_free_vgpr 1
		.amdhsa_next_free_sgpr 0
		.amdhsa_accum_offset 4
		.amdhsa_reserve_vcc 0
		.amdhsa_reserve_flat_scratch 0
		.amdhsa_float_round_mode_32 0
		.amdhsa_float_round_mode_16_64 0
		.amdhsa_float_denorm_mode_32 3
		.amdhsa_float_denorm_mode_16_64 3
		.amdhsa_dx10_clamp 1
		.amdhsa_ieee_mode 1
		.amdhsa_fp16_overflow 0
		.amdhsa_tg_split 0
		.amdhsa_exception_fp_ieee_invalid_op 0
		.amdhsa_exception_fp_denorm_src 0
		.amdhsa_exception_fp_ieee_div_zero 0
		.amdhsa_exception_fp_ieee_overflow 0
		.amdhsa_exception_fp_ieee_underflow 0
		.amdhsa_exception_fp_ieee_inexact 0
		.amdhsa_exception_int_div_zero 0
	.end_amdhsa_kernel
	.section	.text._ZN7rocprim17ROCPRIM_400000_NS6detail17trampoline_kernelINS0_14default_configENS1_20scan_config_selectorIiEEZZNS1_9scan_implILNS1_25lookback_scan_determinismE0ELb0ELb1ES3_N6thrust23THRUST_200600_302600_NS6detail15normal_iteratorINS9_10device_ptrIiEEEESE_iNS9_4plusIiEEiEEDaPvRmT3_T4_T5_mT6_P12ihipStream_tbENKUlT_T0_E_clISt17integral_constantIbLb0EESU_EEDaSP_SQ_EUlSP_E0_NS1_11comp_targetILNS1_3genE9ELNS1_11target_archE1100ELNS1_3gpuE3ELNS1_3repE0EEENS1_30default_config_static_selectorELNS0_4arch9wavefront6targetE1EEEvT1_,"axG",@progbits,_ZN7rocprim17ROCPRIM_400000_NS6detail17trampoline_kernelINS0_14default_configENS1_20scan_config_selectorIiEEZZNS1_9scan_implILNS1_25lookback_scan_determinismE0ELb0ELb1ES3_N6thrust23THRUST_200600_302600_NS6detail15normal_iteratorINS9_10device_ptrIiEEEESE_iNS9_4plusIiEEiEEDaPvRmT3_T4_T5_mT6_P12ihipStream_tbENKUlT_T0_E_clISt17integral_constantIbLb0EESU_EEDaSP_SQ_EUlSP_E0_NS1_11comp_targetILNS1_3genE9ELNS1_11target_archE1100ELNS1_3gpuE3ELNS1_3repE0EEENS1_30default_config_static_selectorELNS0_4arch9wavefront6targetE1EEEvT1_,comdat
.Lfunc_end748:
	.size	_ZN7rocprim17ROCPRIM_400000_NS6detail17trampoline_kernelINS0_14default_configENS1_20scan_config_selectorIiEEZZNS1_9scan_implILNS1_25lookback_scan_determinismE0ELb0ELb1ES3_N6thrust23THRUST_200600_302600_NS6detail15normal_iteratorINS9_10device_ptrIiEEEESE_iNS9_4plusIiEEiEEDaPvRmT3_T4_T5_mT6_P12ihipStream_tbENKUlT_T0_E_clISt17integral_constantIbLb0EESU_EEDaSP_SQ_EUlSP_E0_NS1_11comp_targetILNS1_3genE9ELNS1_11target_archE1100ELNS1_3gpuE3ELNS1_3repE0EEENS1_30default_config_static_selectorELNS0_4arch9wavefront6targetE1EEEvT1_, .Lfunc_end748-_ZN7rocprim17ROCPRIM_400000_NS6detail17trampoline_kernelINS0_14default_configENS1_20scan_config_selectorIiEEZZNS1_9scan_implILNS1_25lookback_scan_determinismE0ELb0ELb1ES3_N6thrust23THRUST_200600_302600_NS6detail15normal_iteratorINS9_10device_ptrIiEEEESE_iNS9_4plusIiEEiEEDaPvRmT3_T4_T5_mT6_P12ihipStream_tbENKUlT_T0_E_clISt17integral_constantIbLb0EESU_EEDaSP_SQ_EUlSP_E0_NS1_11comp_targetILNS1_3genE9ELNS1_11target_archE1100ELNS1_3gpuE3ELNS1_3repE0EEENS1_30default_config_static_selectorELNS0_4arch9wavefront6targetE1EEEvT1_
                                        ; -- End function
	.section	.AMDGPU.csdata,"",@progbits
; Kernel info:
; codeLenInByte = 0
; NumSgprs: 4
; NumVgprs: 0
; NumAgprs: 0
; TotalNumVgprs: 0
; ScratchSize: 0
; MemoryBound: 0
; FloatMode: 240
; IeeeMode: 1
; LDSByteSize: 0 bytes/workgroup (compile time only)
; SGPRBlocks: 0
; VGPRBlocks: 0
; NumSGPRsForWavesPerEU: 4
; NumVGPRsForWavesPerEU: 1
; AccumOffset: 4
; Occupancy: 8
; WaveLimiterHint : 0
; COMPUTE_PGM_RSRC2:SCRATCH_EN: 0
; COMPUTE_PGM_RSRC2:USER_SGPR: 6
; COMPUTE_PGM_RSRC2:TRAP_HANDLER: 0
; COMPUTE_PGM_RSRC2:TGID_X_EN: 1
; COMPUTE_PGM_RSRC2:TGID_Y_EN: 0
; COMPUTE_PGM_RSRC2:TGID_Z_EN: 0
; COMPUTE_PGM_RSRC2:TIDIG_COMP_CNT: 0
; COMPUTE_PGM_RSRC3_GFX90A:ACCUM_OFFSET: 0
; COMPUTE_PGM_RSRC3_GFX90A:TG_SPLIT: 0
	.section	.text._ZN7rocprim17ROCPRIM_400000_NS6detail17trampoline_kernelINS0_14default_configENS1_20scan_config_selectorIiEEZZNS1_9scan_implILNS1_25lookback_scan_determinismE0ELb0ELb1ES3_N6thrust23THRUST_200600_302600_NS6detail15normal_iteratorINS9_10device_ptrIiEEEESE_iNS9_4plusIiEEiEEDaPvRmT3_T4_T5_mT6_P12ihipStream_tbENKUlT_T0_E_clISt17integral_constantIbLb0EESU_EEDaSP_SQ_EUlSP_E0_NS1_11comp_targetILNS1_3genE8ELNS1_11target_archE1030ELNS1_3gpuE2ELNS1_3repE0EEENS1_30default_config_static_selectorELNS0_4arch9wavefront6targetE1EEEvT1_,"axG",@progbits,_ZN7rocprim17ROCPRIM_400000_NS6detail17trampoline_kernelINS0_14default_configENS1_20scan_config_selectorIiEEZZNS1_9scan_implILNS1_25lookback_scan_determinismE0ELb0ELb1ES3_N6thrust23THRUST_200600_302600_NS6detail15normal_iteratorINS9_10device_ptrIiEEEESE_iNS9_4plusIiEEiEEDaPvRmT3_T4_T5_mT6_P12ihipStream_tbENKUlT_T0_E_clISt17integral_constantIbLb0EESU_EEDaSP_SQ_EUlSP_E0_NS1_11comp_targetILNS1_3genE8ELNS1_11target_archE1030ELNS1_3gpuE2ELNS1_3repE0EEENS1_30default_config_static_selectorELNS0_4arch9wavefront6targetE1EEEvT1_,comdat
	.protected	_ZN7rocprim17ROCPRIM_400000_NS6detail17trampoline_kernelINS0_14default_configENS1_20scan_config_selectorIiEEZZNS1_9scan_implILNS1_25lookback_scan_determinismE0ELb0ELb1ES3_N6thrust23THRUST_200600_302600_NS6detail15normal_iteratorINS9_10device_ptrIiEEEESE_iNS9_4plusIiEEiEEDaPvRmT3_T4_T5_mT6_P12ihipStream_tbENKUlT_T0_E_clISt17integral_constantIbLb0EESU_EEDaSP_SQ_EUlSP_E0_NS1_11comp_targetILNS1_3genE8ELNS1_11target_archE1030ELNS1_3gpuE2ELNS1_3repE0EEENS1_30default_config_static_selectorELNS0_4arch9wavefront6targetE1EEEvT1_ ; -- Begin function _ZN7rocprim17ROCPRIM_400000_NS6detail17trampoline_kernelINS0_14default_configENS1_20scan_config_selectorIiEEZZNS1_9scan_implILNS1_25lookback_scan_determinismE0ELb0ELb1ES3_N6thrust23THRUST_200600_302600_NS6detail15normal_iteratorINS9_10device_ptrIiEEEESE_iNS9_4plusIiEEiEEDaPvRmT3_T4_T5_mT6_P12ihipStream_tbENKUlT_T0_E_clISt17integral_constantIbLb0EESU_EEDaSP_SQ_EUlSP_E0_NS1_11comp_targetILNS1_3genE8ELNS1_11target_archE1030ELNS1_3gpuE2ELNS1_3repE0EEENS1_30default_config_static_selectorELNS0_4arch9wavefront6targetE1EEEvT1_
	.globl	_ZN7rocprim17ROCPRIM_400000_NS6detail17trampoline_kernelINS0_14default_configENS1_20scan_config_selectorIiEEZZNS1_9scan_implILNS1_25lookback_scan_determinismE0ELb0ELb1ES3_N6thrust23THRUST_200600_302600_NS6detail15normal_iteratorINS9_10device_ptrIiEEEESE_iNS9_4plusIiEEiEEDaPvRmT3_T4_T5_mT6_P12ihipStream_tbENKUlT_T0_E_clISt17integral_constantIbLb0EESU_EEDaSP_SQ_EUlSP_E0_NS1_11comp_targetILNS1_3genE8ELNS1_11target_archE1030ELNS1_3gpuE2ELNS1_3repE0EEENS1_30default_config_static_selectorELNS0_4arch9wavefront6targetE1EEEvT1_
	.p2align	8
	.type	_ZN7rocprim17ROCPRIM_400000_NS6detail17trampoline_kernelINS0_14default_configENS1_20scan_config_selectorIiEEZZNS1_9scan_implILNS1_25lookback_scan_determinismE0ELb0ELb1ES3_N6thrust23THRUST_200600_302600_NS6detail15normal_iteratorINS9_10device_ptrIiEEEESE_iNS9_4plusIiEEiEEDaPvRmT3_T4_T5_mT6_P12ihipStream_tbENKUlT_T0_E_clISt17integral_constantIbLb0EESU_EEDaSP_SQ_EUlSP_E0_NS1_11comp_targetILNS1_3genE8ELNS1_11target_archE1030ELNS1_3gpuE2ELNS1_3repE0EEENS1_30default_config_static_selectorELNS0_4arch9wavefront6targetE1EEEvT1_,@function
_ZN7rocprim17ROCPRIM_400000_NS6detail17trampoline_kernelINS0_14default_configENS1_20scan_config_selectorIiEEZZNS1_9scan_implILNS1_25lookback_scan_determinismE0ELb0ELb1ES3_N6thrust23THRUST_200600_302600_NS6detail15normal_iteratorINS9_10device_ptrIiEEEESE_iNS9_4plusIiEEiEEDaPvRmT3_T4_T5_mT6_P12ihipStream_tbENKUlT_T0_E_clISt17integral_constantIbLb0EESU_EEDaSP_SQ_EUlSP_E0_NS1_11comp_targetILNS1_3genE8ELNS1_11target_archE1030ELNS1_3gpuE2ELNS1_3repE0EEENS1_30default_config_static_selectorELNS0_4arch9wavefront6targetE1EEEvT1_: ; @_ZN7rocprim17ROCPRIM_400000_NS6detail17trampoline_kernelINS0_14default_configENS1_20scan_config_selectorIiEEZZNS1_9scan_implILNS1_25lookback_scan_determinismE0ELb0ELb1ES3_N6thrust23THRUST_200600_302600_NS6detail15normal_iteratorINS9_10device_ptrIiEEEESE_iNS9_4plusIiEEiEEDaPvRmT3_T4_T5_mT6_P12ihipStream_tbENKUlT_T0_E_clISt17integral_constantIbLb0EESU_EEDaSP_SQ_EUlSP_E0_NS1_11comp_targetILNS1_3genE8ELNS1_11target_archE1030ELNS1_3gpuE2ELNS1_3repE0EEENS1_30default_config_static_selectorELNS0_4arch9wavefront6targetE1EEEvT1_
; %bb.0:
	.section	.rodata,"a",@progbits
	.p2align	6, 0x0
	.amdhsa_kernel _ZN7rocprim17ROCPRIM_400000_NS6detail17trampoline_kernelINS0_14default_configENS1_20scan_config_selectorIiEEZZNS1_9scan_implILNS1_25lookback_scan_determinismE0ELb0ELb1ES3_N6thrust23THRUST_200600_302600_NS6detail15normal_iteratorINS9_10device_ptrIiEEEESE_iNS9_4plusIiEEiEEDaPvRmT3_T4_T5_mT6_P12ihipStream_tbENKUlT_T0_E_clISt17integral_constantIbLb0EESU_EEDaSP_SQ_EUlSP_E0_NS1_11comp_targetILNS1_3genE8ELNS1_11target_archE1030ELNS1_3gpuE2ELNS1_3repE0EEENS1_30default_config_static_selectorELNS0_4arch9wavefront6targetE1EEEvT1_
		.amdhsa_group_segment_fixed_size 0
		.amdhsa_private_segment_fixed_size 0
		.amdhsa_kernarg_size 32
		.amdhsa_user_sgpr_count 6
		.amdhsa_user_sgpr_private_segment_buffer 1
		.amdhsa_user_sgpr_dispatch_ptr 0
		.amdhsa_user_sgpr_queue_ptr 0
		.amdhsa_user_sgpr_kernarg_segment_ptr 1
		.amdhsa_user_sgpr_dispatch_id 0
		.amdhsa_user_sgpr_flat_scratch_init 0
		.amdhsa_user_sgpr_kernarg_preload_length 0
		.amdhsa_user_sgpr_kernarg_preload_offset 0
		.amdhsa_user_sgpr_private_segment_size 0
		.amdhsa_uses_dynamic_stack 0
		.amdhsa_system_sgpr_private_segment_wavefront_offset 0
		.amdhsa_system_sgpr_workgroup_id_x 1
		.amdhsa_system_sgpr_workgroup_id_y 0
		.amdhsa_system_sgpr_workgroup_id_z 0
		.amdhsa_system_sgpr_workgroup_info 0
		.amdhsa_system_vgpr_workitem_id 0
		.amdhsa_next_free_vgpr 1
		.amdhsa_next_free_sgpr 0
		.amdhsa_accum_offset 4
		.amdhsa_reserve_vcc 0
		.amdhsa_reserve_flat_scratch 0
		.amdhsa_float_round_mode_32 0
		.amdhsa_float_round_mode_16_64 0
		.amdhsa_float_denorm_mode_32 3
		.amdhsa_float_denorm_mode_16_64 3
		.amdhsa_dx10_clamp 1
		.amdhsa_ieee_mode 1
		.amdhsa_fp16_overflow 0
		.amdhsa_tg_split 0
		.amdhsa_exception_fp_ieee_invalid_op 0
		.amdhsa_exception_fp_denorm_src 0
		.amdhsa_exception_fp_ieee_div_zero 0
		.amdhsa_exception_fp_ieee_overflow 0
		.amdhsa_exception_fp_ieee_underflow 0
		.amdhsa_exception_fp_ieee_inexact 0
		.amdhsa_exception_int_div_zero 0
	.end_amdhsa_kernel
	.section	.text._ZN7rocprim17ROCPRIM_400000_NS6detail17trampoline_kernelINS0_14default_configENS1_20scan_config_selectorIiEEZZNS1_9scan_implILNS1_25lookback_scan_determinismE0ELb0ELb1ES3_N6thrust23THRUST_200600_302600_NS6detail15normal_iteratorINS9_10device_ptrIiEEEESE_iNS9_4plusIiEEiEEDaPvRmT3_T4_T5_mT6_P12ihipStream_tbENKUlT_T0_E_clISt17integral_constantIbLb0EESU_EEDaSP_SQ_EUlSP_E0_NS1_11comp_targetILNS1_3genE8ELNS1_11target_archE1030ELNS1_3gpuE2ELNS1_3repE0EEENS1_30default_config_static_selectorELNS0_4arch9wavefront6targetE1EEEvT1_,"axG",@progbits,_ZN7rocprim17ROCPRIM_400000_NS6detail17trampoline_kernelINS0_14default_configENS1_20scan_config_selectorIiEEZZNS1_9scan_implILNS1_25lookback_scan_determinismE0ELb0ELb1ES3_N6thrust23THRUST_200600_302600_NS6detail15normal_iteratorINS9_10device_ptrIiEEEESE_iNS9_4plusIiEEiEEDaPvRmT3_T4_T5_mT6_P12ihipStream_tbENKUlT_T0_E_clISt17integral_constantIbLb0EESU_EEDaSP_SQ_EUlSP_E0_NS1_11comp_targetILNS1_3genE8ELNS1_11target_archE1030ELNS1_3gpuE2ELNS1_3repE0EEENS1_30default_config_static_selectorELNS0_4arch9wavefront6targetE1EEEvT1_,comdat
.Lfunc_end749:
	.size	_ZN7rocprim17ROCPRIM_400000_NS6detail17trampoline_kernelINS0_14default_configENS1_20scan_config_selectorIiEEZZNS1_9scan_implILNS1_25lookback_scan_determinismE0ELb0ELb1ES3_N6thrust23THRUST_200600_302600_NS6detail15normal_iteratorINS9_10device_ptrIiEEEESE_iNS9_4plusIiEEiEEDaPvRmT3_T4_T5_mT6_P12ihipStream_tbENKUlT_T0_E_clISt17integral_constantIbLb0EESU_EEDaSP_SQ_EUlSP_E0_NS1_11comp_targetILNS1_3genE8ELNS1_11target_archE1030ELNS1_3gpuE2ELNS1_3repE0EEENS1_30default_config_static_selectorELNS0_4arch9wavefront6targetE1EEEvT1_, .Lfunc_end749-_ZN7rocprim17ROCPRIM_400000_NS6detail17trampoline_kernelINS0_14default_configENS1_20scan_config_selectorIiEEZZNS1_9scan_implILNS1_25lookback_scan_determinismE0ELb0ELb1ES3_N6thrust23THRUST_200600_302600_NS6detail15normal_iteratorINS9_10device_ptrIiEEEESE_iNS9_4plusIiEEiEEDaPvRmT3_T4_T5_mT6_P12ihipStream_tbENKUlT_T0_E_clISt17integral_constantIbLb0EESU_EEDaSP_SQ_EUlSP_E0_NS1_11comp_targetILNS1_3genE8ELNS1_11target_archE1030ELNS1_3gpuE2ELNS1_3repE0EEENS1_30default_config_static_selectorELNS0_4arch9wavefront6targetE1EEEvT1_
                                        ; -- End function
	.section	.AMDGPU.csdata,"",@progbits
; Kernel info:
; codeLenInByte = 0
; NumSgprs: 4
; NumVgprs: 0
; NumAgprs: 0
; TotalNumVgprs: 0
; ScratchSize: 0
; MemoryBound: 0
; FloatMode: 240
; IeeeMode: 1
; LDSByteSize: 0 bytes/workgroup (compile time only)
; SGPRBlocks: 0
; VGPRBlocks: 0
; NumSGPRsForWavesPerEU: 4
; NumVGPRsForWavesPerEU: 1
; AccumOffset: 4
; Occupancy: 8
; WaveLimiterHint : 0
; COMPUTE_PGM_RSRC2:SCRATCH_EN: 0
; COMPUTE_PGM_RSRC2:USER_SGPR: 6
; COMPUTE_PGM_RSRC2:TRAP_HANDLER: 0
; COMPUTE_PGM_RSRC2:TGID_X_EN: 1
; COMPUTE_PGM_RSRC2:TGID_Y_EN: 0
; COMPUTE_PGM_RSRC2:TGID_Z_EN: 0
; COMPUTE_PGM_RSRC2:TIDIG_COMP_CNT: 0
; COMPUTE_PGM_RSRC3_GFX90A:ACCUM_OFFSET: 0
; COMPUTE_PGM_RSRC3_GFX90A:TG_SPLIT: 0
	.section	.text._ZN7rocprim17ROCPRIM_400000_NS6detail17trampoline_kernelINS0_14default_configENS1_20scan_config_selectorIiEEZZNS1_9scan_implILNS1_25lookback_scan_determinismE0ELb0ELb1ES3_N6thrust23THRUST_200600_302600_NS6detail15normal_iteratorINS9_10device_ptrIiEEEESE_iNS9_4plusIiEEiEEDaPvRmT3_T4_T5_mT6_P12ihipStream_tbENKUlT_T0_E_clISt17integral_constantIbLb1EESU_EEDaSP_SQ_EUlSP_E_NS1_11comp_targetILNS1_3genE0ELNS1_11target_archE4294967295ELNS1_3gpuE0ELNS1_3repE0EEENS1_30default_config_static_selectorELNS0_4arch9wavefront6targetE1EEEvT1_,"axG",@progbits,_ZN7rocprim17ROCPRIM_400000_NS6detail17trampoline_kernelINS0_14default_configENS1_20scan_config_selectorIiEEZZNS1_9scan_implILNS1_25lookback_scan_determinismE0ELb0ELb1ES3_N6thrust23THRUST_200600_302600_NS6detail15normal_iteratorINS9_10device_ptrIiEEEESE_iNS9_4plusIiEEiEEDaPvRmT3_T4_T5_mT6_P12ihipStream_tbENKUlT_T0_E_clISt17integral_constantIbLb1EESU_EEDaSP_SQ_EUlSP_E_NS1_11comp_targetILNS1_3genE0ELNS1_11target_archE4294967295ELNS1_3gpuE0ELNS1_3repE0EEENS1_30default_config_static_selectorELNS0_4arch9wavefront6targetE1EEEvT1_,comdat
	.protected	_ZN7rocprim17ROCPRIM_400000_NS6detail17trampoline_kernelINS0_14default_configENS1_20scan_config_selectorIiEEZZNS1_9scan_implILNS1_25lookback_scan_determinismE0ELb0ELb1ES3_N6thrust23THRUST_200600_302600_NS6detail15normal_iteratorINS9_10device_ptrIiEEEESE_iNS9_4plusIiEEiEEDaPvRmT3_T4_T5_mT6_P12ihipStream_tbENKUlT_T0_E_clISt17integral_constantIbLb1EESU_EEDaSP_SQ_EUlSP_E_NS1_11comp_targetILNS1_3genE0ELNS1_11target_archE4294967295ELNS1_3gpuE0ELNS1_3repE0EEENS1_30default_config_static_selectorELNS0_4arch9wavefront6targetE1EEEvT1_ ; -- Begin function _ZN7rocprim17ROCPRIM_400000_NS6detail17trampoline_kernelINS0_14default_configENS1_20scan_config_selectorIiEEZZNS1_9scan_implILNS1_25lookback_scan_determinismE0ELb0ELb1ES3_N6thrust23THRUST_200600_302600_NS6detail15normal_iteratorINS9_10device_ptrIiEEEESE_iNS9_4plusIiEEiEEDaPvRmT3_T4_T5_mT6_P12ihipStream_tbENKUlT_T0_E_clISt17integral_constantIbLb1EESU_EEDaSP_SQ_EUlSP_E_NS1_11comp_targetILNS1_3genE0ELNS1_11target_archE4294967295ELNS1_3gpuE0ELNS1_3repE0EEENS1_30default_config_static_selectorELNS0_4arch9wavefront6targetE1EEEvT1_
	.globl	_ZN7rocprim17ROCPRIM_400000_NS6detail17trampoline_kernelINS0_14default_configENS1_20scan_config_selectorIiEEZZNS1_9scan_implILNS1_25lookback_scan_determinismE0ELb0ELb1ES3_N6thrust23THRUST_200600_302600_NS6detail15normal_iteratorINS9_10device_ptrIiEEEESE_iNS9_4plusIiEEiEEDaPvRmT3_T4_T5_mT6_P12ihipStream_tbENKUlT_T0_E_clISt17integral_constantIbLb1EESU_EEDaSP_SQ_EUlSP_E_NS1_11comp_targetILNS1_3genE0ELNS1_11target_archE4294967295ELNS1_3gpuE0ELNS1_3repE0EEENS1_30default_config_static_selectorELNS0_4arch9wavefront6targetE1EEEvT1_
	.p2align	8
	.type	_ZN7rocprim17ROCPRIM_400000_NS6detail17trampoline_kernelINS0_14default_configENS1_20scan_config_selectorIiEEZZNS1_9scan_implILNS1_25lookback_scan_determinismE0ELb0ELb1ES3_N6thrust23THRUST_200600_302600_NS6detail15normal_iteratorINS9_10device_ptrIiEEEESE_iNS9_4plusIiEEiEEDaPvRmT3_T4_T5_mT6_P12ihipStream_tbENKUlT_T0_E_clISt17integral_constantIbLb1EESU_EEDaSP_SQ_EUlSP_E_NS1_11comp_targetILNS1_3genE0ELNS1_11target_archE4294967295ELNS1_3gpuE0ELNS1_3repE0EEENS1_30default_config_static_selectorELNS0_4arch9wavefront6targetE1EEEvT1_,@function
_ZN7rocprim17ROCPRIM_400000_NS6detail17trampoline_kernelINS0_14default_configENS1_20scan_config_selectorIiEEZZNS1_9scan_implILNS1_25lookback_scan_determinismE0ELb0ELb1ES3_N6thrust23THRUST_200600_302600_NS6detail15normal_iteratorINS9_10device_ptrIiEEEESE_iNS9_4plusIiEEiEEDaPvRmT3_T4_T5_mT6_P12ihipStream_tbENKUlT_T0_E_clISt17integral_constantIbLb1EESU_EEDaSP_SQ_EUlSP_E_NS1_11comp_targetILNS1_3genE0ELNS1_11target_archE4294967295ELNS1_3gpuE0ELNS1_3repE0EEENS1_30default_config_static_selectorELNS0_4arch9wavefront6targetE1EEEvT1_: ; @_ZN7rocprim17ROCPRIM_400000_NS6detail17trampoline_kernelINS0_14default_configENS1_20scan_config_selectorIiEEZZNS1_9scan_implILNS1_25lookback_scan_determinismE0ELb0ELb1ES3_N6thrust23THRUST_200600_302600_NS6detail15normal_iteratorINS9_10device_ptrIiEEEESE_iNS9_4plusIiEEiEEDaPvRmT3_T4_T5_mT6_P12ihipStream_tbENKUlT_T0_E_clISt17integral_constantIbLb1EESU_EEDaSP_SQ_EUlSP_E_NS1_11comp_targetILNS1_3genE0ELNS1_11target_archE4294967295ELNS1_3gpuE0ELNS1_3repE0EEENS1_30default_config_static_selectorELNS0_4arch9wavefront6targetE1EEEvT1_
; %bb.0:
	.section	.rodata,"a",@progbits
	.p2align	6, 0x0
	.amdhsa_kernel _ZN7rocprim17ROCPRIM_400000_NS6detail17trampoline_kernelINS0_14default_configENS1_20scan_config_selectorIiEEZZNS1_9scan_implILNS1_25lookback_scan_determinismE0ELb0ELb1ES3_N6thrust23THRUST_200600_302600_NS6detail15normal_iteratorINS9_10device_ptrIiEEEESE_iNS9_4plusIiEEiEEDaPvRmT3_T4_T5_mT6_P12ihipStream_tbENKUlT_T0_E_clISt17integral_constantIbLb1EESU_EEDaSP_SQ_EUlSP_E_NS1_11comp_targetILNS1_3genE0ELNS1_11target_archE4294967295ELNS1_3gpuE0ELNS1_3repE0EEENS1_30default_config_static_selectorELNS0_4arch9wavefront6targetE1EEEvT1_
		.amdhsa_group_segment_fixed_size 0
		.amdhsa_private_segment_fixed_size 0
		.amdhsa_kernarg_size 96
		.amdhsa_user_sgpr_count 6
		.amdhsa_user_sgpr_private_segment_buffer 1
		.amdhsa_user_sgpr_dispatch_ptr 0
		.amdhsa_user_sgpr_queue_ptr 0
		.amdhsa_user_sgpr_kernarg_segment_ptr 1
		.amdhsa_user_sgpr_dispatch_id 0
		.amdhsa_user_sgpr_flat_scratch_init 0
		.amdhsa_user_sgpr_kernarg_preload_length 0
		.amdhsa_user_sgpr_kernarg_preload_offset 0
		.amdhsa_user_sgpr_private_segment_size 0
		.amdhsa_uses_dynamic_stack 0
		.amdhsa_system_sgpr_private_segment_wavefront_offset 0
		.amdhsa_system_sgpr_workgroup_id_x 1
		.amdhsa_system_sgpr_workgroup_id_y 0
		.amdhsa_system_sgpr_workgroup_id_z 0
		.amdhsa_system_sgpr_workgroup_info 0
		.amdhsa_system_vgpr_workitem_id 0
		.amdhsa_next_free_vgpr 1
		.amdhsa_next_free_sgpr 0
		.amdhsa_accum_offset 4
		.amdhsa_reserve_vcc 0
		.amdhsa_reserve_flat_scratch 0
		.amdhsa_float_round_mode_32 0
		.amdhsa_float_round_mode_16_64 0
		.amdhsa_float_denorm_mode_32 3
		.amdhsa_float_denorm_mode_16_64 3
		.amdhsa_dx10_clamp 1
		.amdhsa_ieee_mode 1
		.amdhsa_fp16_overflow 0
		.amdhsa_tg_split 0
		.amdhsa_exception_fp_ieee_invalid_op 0
		.amdhsa_exception_fp_denorm_src 0
		.amdhsa_exception_fp_ieee_div_zero 0
		.amdhsa_exception_fp_ieee_overflow 0
		.amdhsa_exception_fp_ieee_underflow 0
		.amdhsa_exception_fp_ieee_inexact 0
		.amdhsa_exception_int_div_zero 0
	.end_amdhsa_kernel
	.section	.text._ZN7rocprim17ROCPRIM_400000_NS6detail17trampoline_kernelINS0_14default_configENS1_20scan_config_selectorIiEEZZNS1_9scan_implILNS1_25lookback_scan_determinismE0ELb0ELb1ES3_N6thrust23THRUST_200600_302600_NS6detail15normal_iteratorINS9_10device_ptrIiEEEESE_iNS9_4plusIiEEiEEDaPvRmT3_T4_T5_mT6_P12ihipStream_tbENKUlT_T0_E_clISt17integral_constantIbLb1EESU_EEDaSP_SQ_EUlSP_E_NS1_11comp_targetILNS1_3genE0ELNS1_11target_archE4294967295ELNS1_3gpuE0ELNS1_3repE0EEENS1_30default_config_static_selectorELNS0_4arch9wavefront6targetE1EEEvT1_,"axG",@progbits,_ZN7rocprim17ROCPRIM_400000_NS6detail17trampoline_kernelINS0_14default_configENS1_20scan_config_selectorIiEEZZNS1_9scan_implILNS1_25lookback_scan_determinismE0ELb0ELb1ES3_N6thrust23THRUST_200600_302600_NS6detail15normal_iteratorINS9_10device_ptrIiEEEESE_iNS9_4plusIiEEiEEDaPvRmT3_T4_T5_mT6_P12ihipStream_tbENKUlT_T0_E_clISt17integral_constantIbLb1EESU_EEDaSP_SQ_EUlSP_E_NS1_11comp_targetILNS1_3genE0ELNS1_11target_archE4294967295ELNS1_3gpuE0ELNS1_3repE0EEENS1_30default_config_static_selectorELNS0_4arch9wavefront6targetE1EEEvT1_,comdat
.Lfunc_end750:
	.size	_ZN7rocprim17ROCPRIM_400000_NS6detail17trampoline_kernelINS0_14default_configENS1_20scan_config_selectorIiEEZZNS1_9scan_implILNS1_25lookback_scan_determinismE0ELb0ELb1ES3_N6thrust23THRUST_200600_302600_NS6detail15normal_iteratorINS9_10device_ptrIiEEEESE_iNS9_4plusIiEEiEEDaPvRmT3_T4_T5_mT6_P12ihipStream_tbENKUlT_T0_E_clISt17integral_constantIbLb1EESU_EEDaSP_SQ_EUlSP_E_NS1_11comp_targetILNS1_3genE0ELNS1_11target_archE4294967295ELNS1_3gpuE0ELNS1_3repE0EEENS1_30default_config_static_selectorELNS0_4arch9wavefront6targetE1EEEvT1_, .Lfunc_end750-_ZN7rocprim17ROCPRIM_400000_NS6detail17trampoline_kernelINS0_14default_configENS1_20scan_config_selectorIiEEZZNS1_9scan_implILNS1_25lookback_scan_determinismE0ELb0ELb1ES3_N6thrust23THRUST_200600_302600_NS6detail15normal_iteratorINS9_10device_ptrIiEEEESE_iNS9_4plusIiEEiEEDaPvRmT3_T4_T5_mT6_P12ihipStream_tbENKUlT_T0_E_clISt17integral_constantIbLb1EESU_EEDaSP_SQ_EUlSP_E_NS1_11comp_targetILNS1_3genE0ELNS1_11target_archE4294967295ELNS1_3gpuE0ELNS1_3repE0EEENS1_30default_config_static_selectorELNS0_4arch9wavefront6targetE1EEEvT1_
                                        ; -- End function
	.section	.AMDGPU.csdata,"",@progbits
; Kernel info:
; codeLenInByte = 0
; NumSgprs: 4
; NumVgprs: 0
; NumAgprs: 0
; TotalNumVgprs: 0
; ScratchSize: 0
; MemoryBound: 0
; FloatMode: 240
; IeeeMode: 1
; LDSByteSize: 0 bytes/workgroup (compile time only)
; SGPRBlocks: 0
; VGPRBlocks: 0
; NumSGPRsForWavesPerEU: 4
; NumVGPRsForWavesPerEU: 1
; AccumOffset: 4
; Occupancy: 8
; WaveLimiterHint : 0
; COMPUTE_PGM_RSRC2:SCRATCH_EN: 0
; COMPUTE_PGM_RSRC2:USER_SGPR: 6
; COMPUTE_PGM_RSRC2:TRAP_HANDLER: 0
; COMPUTE_PGM_RSRC2:TGID_X_EN: 1
; COMPUTE_PGM_RSRC2:TGID_Y_EN: 0
; COMPUTE_PGM_RSRC2:TGID_Z_EN: 0
; COMPUTE_PGM_RSRC2:TIDIG_COMP_CNT: 0
; COMPUTE_PGM_RSRC3_GFX90A:ACCUM_OFFSET: 0
; COMPUTE_PGM_RSRC3_GFX90A:TG_SPLIT: 0
	.section	.text._ZN7rocprim17ROCPRIM_400000_NS6detail17trampoline_kernelINS0_14default_configENS1_20scan_config_selectorIiEEZZNS1_9scan_implILNS1_25lookback_scan_determinismE0ELb0ELb1ES3_N6thrust23THRUST_200600_302600_NS6detail15normal_iteratorINS9_10device_ptrIiEEEESE_iNS9_4plusIiEEiEEDaPvRmT3_T4_T5_mT6_P12ihipStream_tbENKUlT_T0_E_clISt17integral_constantIbLb1EESU_EEDaSP_SQ_EUlSP_E_NS1_11comp_targetILNS1_3genE5ELNS1_11target_archE942ELNS1_3gpuE9ELNS1_3repE0EEENS1_30default_config_static_selectorELNS0_4arch9wavefront6targetE1EEEvT1_,"axG",@progbits,_ZN7rocprim17ROCPRIM_400000_NS6detail17trampoline_kernelINS0_14default_configENS1_20scan_config_selectorIiEEZZNS1_9scan_implILNS1_25lookback_scan_determinismE0ELb0ELb1ES3_N6thrust23THRUST_200600_302600_NS6detail15normal_iteratorINS9_10device_ptrIiEEEESE_iNS9_4plusIiEEiEEDaPvRmT3_T4_T5_mT6_P12ihipStream_tbENKUlT_T0_E_clISt17integral_constantIbLb1EESU_EEDaSP_SQ_EUlSP_E_NS1_11comp_targetILNS1_3genE5ELNS1_11target_archE942ELNS1_3gpuE9ELNS1_3repE0EEENS1_30default_config_static_selectorELNS0_4arch9wavefront6targetE1EEEvT1_,comdat
	.protected	_ZN7rocprim17ROCPRIM_400000_NS6detail17trampoline_kernelINS0_14default_configENS1_20scan_config_selectorIiEEZZNS1_9scan_implILNS1_25lookback_scan_determinismE0ELb0ELb1ES3_N6thrust23THRUST_200600_302600_NS6detail15normal_iteratorINS9_10device_ptrIiEEEESE_iNS9_4plusIiEEiEEDaPvRmT3_T4_T5_mT6_P12ihipStream_tbENKUlT_T0_E_clISt17integral_constantIbLb1EESU_EEDaSP_SQ_EUlSP_E_NS1_11comp_targetILNS1_3genE5ELNS1_11target_archE942ELNS1_3gpuE9ELNS1_3repE0EEENS1_30default_config_static_selectorELNS0_4arch9wavefront6targetE1EEEvT1_ ; -- Begin function _ZN7rocprim17ROCPRIM_400000_NS6detail17trampoline_kernelINS0_14default_configENS1_20scan_config_selectorIiEEZZNS1_9scan_implILNS1_25lookback_scan_determinismE0ELb0ELb1ES3_N6thrust23THRUST_200600_302600_NS6detail15normal_iteratorINS9_10device_ptrIiEEEESE_iNS9_4plusIiEEiEEDaPvRmT3_T4_T5_mT6_P12ihipStream_tbENKUlT_T0_E_clISt17integral_constantIbLb1EESU_EEDaSP_SQ_EUlSP_E_NS1_11comp_targetILNS1_3genE5ELNS1_11target_archE942ELNS1_3gpuE9ELNS1_3repE0EEENS1_30default_config_static_selectorELNS0_4arch9wavefront6targetE1EEEvT1_
	.globl	_ZN7rocprim17ROCPRIM_400000_NS6detail17trampoline_kernelINS0_14default_configENS1_20scan_config_selectorIiEEZZNS1_9scan_implILNS1_25lookback_scan_determinismE0ELb0ELb1ES3_N6thrust23THRUST_200600_302600_NS6detail15normal_iteratorINS9_10device_ptrIiEEEESE_iNS9_4plusIiEEiEEDaPvRmT3_T4_T5_mT6_P12ihipStream_tbENKUlT_T0_E_clISt17integral_constantIbLb1EESU_EEDaSP_SQ_EUlSP_E_NS1_11comp_targetILNS1_3genE5ELNS1_11target_archE942ELNS1_3gpuE9ELNS1_3repE0EEENS1_30default_config_static_selectorELNS0_4arch9wavefront6targetE1EEEvT1_
	.p2align	8
	.type	_ZN7rocprim17ROCPRIM_400000_NS6detail17trampoline_kernelINS0_14default_configENS1_20scan_config_selectorIiEEZZNS1_9scan_implILNS1_25lookback_scan_determinismE0ELb0ELb1ES3_N6thrust23THRUST_200600_302600_NS6detail15normal_iteratorINS9_10device_ptrIiEEEESE_iNS9_4plusIiEEiEEDaPvRmT3_T4_T5_mT6_P12ihipStream_tbENKUlT_T0_E_clISt17integral_constantIbLb1EESU_EEDaSP_SQ_EUlSP_E_NS1_11comp_targetILNS1_3genE5ELNS1_11target_archE942ELNS1_3gpuE9ELNS1_3repE0EEENS1_30default_config_static_selectorELNS0_4arch9wavefront6targetE1EEEvT1_,@function
_ZN7rocprim17ROCPRIM_400000_NS6detail17trampoline_kernelINS0_14default_configENS1_20scan_config_selectorIiEEZZNS1_9scan_implILNS1_25lookback_scan_determinismE0ELb0ELb1ES3_N6thrust23THRUST_200600_302600_NS6detail15normal_iteratorINS9_10device_ptrIiEEEESE_iNS9_4plusIiEEiEEDaPvRmT3_T4_T5_mT6_P12ihipStream_tbENKUlT_T0_E_clISt17integral_constantIbLb1EESU_EEDaSP_SQ_EUlSP_E_NS1_11comp_targetILNS1_3genE5ELNS1_11target_archE942ELNS1_3gpuE9ELNS1_3repE0EEENS1_30default_config_static_selectorELNS0_4arch9wavefront6targetE1EEEvT1_: ; @_ZN7rocprim17ROCPRIM_400000_NS6detail17trampoline_kernelINS0_14default_configENS1_20scan_config_selectorIiEEZZNS1_9scan_implILNS1_25lookback_scan_determinismE0ELb0ELb1ES3_N6thrust23THRUST_200600_302600_NS6detail15normal_iteratorINS9_10device_ptrIiEEEESE_iNS9_4plusIiEEiEEDaPvRmT3_T4_T5_mT6_P12ihipStream_tbENKUlT_T0_E_clISt17integral_constantIbLb1EESU_EEDaSP_SQ_EUlSP_E_NS1_11comp_targetILNS1_3genE5ELNS1_11target_archE942ELNS1_3gpuE9ELNS1_3repE0EEENS1_30default_config_static_selectorELNS0_4arch9wavefront6targetE1EEEvT1_
; %bb.0:
	.section	.rodata,"a",@progbits
	.p2align	6, 0x0
	.amdhsa_kernel _ZN7rocprim17ROCPRIM_400000_NS6detail17trampoline_kernelINS0_14default_configENS1_20scan_config_selectorIiEEZZNS1_9scan_implILNS1_25lookback_scan_determinismE0ELb0ELb1ES3_N6thrust23THRUST_200600_302600_NS6detail15normal_iteratorINS9_10device_ptrIiEEEESE_iNS9_4plusIiEEiEEDaPvRmT3_T4_T5_mT6_P12ihipStream_tbENKUlT_T0_E_clISt17integral_constantIbLb1EESU_EEDaSP_SQ_EUlSP_E_NS1_11comp_targetILNS1_3genE5ELNS1_11target_archE942ELNS1_3gpuE9ELNS1_3repE0EEENS1_30default_config_static_selectorELNS0_4arch9wavefront6targetE1EEEvT1_
		.amdhsa_group_segment_fixed_size 0
		.amdhsa_private_segment_fixed_size 0
		.amdhsa_kernarg_size 96
		.amdhsa_user_sgpr_count 6
		.amdhsa_user_sgpr_private_segment_buffer 1
		.amdhsa_user_sgpr_dispatch_ptr 0
		.amdhsa_user_sgpr_queue_ptr 0
		.amdhsa_user_sgpr_kernarg_segment_ptr 1
		.amdhsa_user_sgpr_dispatch_id 0
		.amdhsa_user_sgpr_flat_scratch_init 0
		.amdhsa_user_sgpr_kernarg_preload_length 0
		.amdhsa_user_sgpr_kernarg_preload_offset 0
		.amdhsa_user_sgpr_private_segment_size 0
		.amdhsa_uses_dynamic_stack 0
		.amdhsa_system_sgpr_private_segment_wavefront_offset 0
		.amdhsa_system_sgpr_workgroup_id_x 1
		.amdhsa_system_sgpr_workgroup_id_y 0
		.amdhsa_system_sgpr_workgroup_id_z 0
		.amdhsa_system_sgpr_workgroup_info 0
		.amdhsa_system_vgpr_workitem_id 0
		.amdhsa_next_free_vgpr 1
		.amdhsa_next_free_sgpr 0
		.amdhsa_accum_offset 4
		.amdhsa_reserve_vcc 0
		.amdhsa_reserve_flat_scratch 0
		.amdhsa_float_round_mode_32 0
		.amdhsa_float_round_mode_16_64 0
		.amdhsa_float_denorm_mode_32 3
		.amdhsa_float_denorm_mode_16_64 3
		.amdhsa_dx10_clamp 1
		.amdhsa_ieee_mode 1
		.amdhsa_fp16_overflow 0
		.amdhsa_tg_split 0
		.amdhsa_exception_fp_ieee_invalid_op 0
		.amdhsa_exception_fp_denorm_src 0
		.amdhsa_exception_fp_ieee_div_zero 0
		.amdhsa_exception_fp_ieee_overflow 0
		.amdhsa_exception_fp_ieee_underflow 0
		.amdhsa_exception_fp_ieee_inexact 0
		.amdhsa_exception_int_div_zero 0
	.end_amdhsa_kernel
	.section	.text._ZN7rocprim17ROCPRIM_400000_NS6detail17trampoline_kernelINS0_14default_configENS1_20scan_config_selectorIiEEZZNS1_9scan_implILNS1_25lookback_scan_determinismE0ELb0ELb1ES3_N6thrust23THRUST_200600_302600_NS6detail15normal_iteratorINS9_10device_ptrIiEEEESE_iNS9_4plusIiEEiEEDaPvRmT3_T4_T5_mT6_P12ihipStream_tbENKUlT_T0_E_clISt17integral_constantIbLb1EESU_EEDaSP_SQ_EUlSP_E_NS1_11comp_targetILNS1_3genE5ELNS1_11target_archE942ELNS1_3gpuE9ELNS1_3repE0EEENS1_30default_config_static_selectorELNS0_4arch9wavefront6targetE1EEEvT1_,"axG",@progbits,_ZN7rocprim17ROCPRIM_400000_NS6detail17trampoline_kernelINS0_14default_configENS1_20scan_config_selectorIiEEZZNS1_9scan_implILNS1_25lookback_scan_determinismE0ELb0ELb1ES3_N6thrust23THRUST_200600_302600_NS6detail15normal_iteratorINS9_10device_ptrIiEEEESE_iNS9_4plusIiEEiEEDaPvRmT3_T4_T5_mT6_P12ihipStream_tbENKUlT_T0_E_clISt17integral_constantIbLb1EESU_EEDaSP_SQ_EUlSP_E_NS1_11comp_targetILNS1_3genE5ELNS1_11target_archE942ELNS1_3gpuE9ELNS1_3repE0EEENS1_30default_config_static_selectorELNS0_4arch9wavefront6targetE1EEEvT1_,comdat
.Lfunc_end751:
	.size	_ZN7rocprim17ROCPRIM_400000_NS6detail17trampoline_kernelINS0_14default_configENS1_20scan_config_selectorIiEEZZNS1_9scan_implILNS1_25lookback_scan_determinismE0ELb0ELb1ES3_N6thrust23THRUST_200600_302600_NS6detail15normal_iteratorINS9_10device_ptrIiEEEESE_iNS9_4plusIiEEiEEDaPvRmT3_T4_T5_mT6_P12ihipStream_tbENKUlT_T0_E_clISt17integral_constantIbLb1EESU_EEDaSP_SQ_EUlSP_E_NS1_11comp_targetILNS1_3genE5ELNS1_11target_archE942ELNS1_3gpuE9ELNS1_3repE0EEENS1_30default_config_static_selectorELNS0_4arch9wavefront6targetE1EEEvT1_, .Lfunc_end751-_ZN7rocprim17ROCPRIM_400000_NS6detail17trampoline_kernelINS0_14default_configENS1_20scan_config_selectorIiEEZZNS1_9scan_implILNS1_25lookback_scan_determinismE0ELb0ELb1ES3_N6thrust23THRUST_200600_302600_NS6detail15normal_iteratorINS9_10device_ptrIiEEEESE_iNS9_4plusIiEEiEEDaPvRmT3_T4_T5_mT6_P12ihipStream_tbENKUlT_T0_E_clISt17integral_constantIbLb1EESU_EEDaSP_SQ_EUlSP_E_NS1_11comp_targetILNS1_3genE5ELNS1_11target_archE942ELNS1_3gpuE9ELNS1_3repE0EEENS1_30default_config_static_selectorELNS0_4arch9wavefront6targetE1EEEvT1_
                                        ; -- End function
	.section	.AMDGPU.csdata,"",@progbits
; Kernel info:
; codeLenInByte = 0
; NumSgprs: 4
; NumVgprs: 0
; NumAgprs: 0
; TotalNumVgprs: 0
; ScratchSize: 0
; MemoryBound: 0
; FloatMode: 240
; IeeeMode: 1
; LDSByteSize: 0 bytes/workgroup (compile time only)
; SGPRBlocks: 0
; VGPRBlocks: 0
; NumSGPRsForWavesPerEU: 4
; NumVGPRsForWavesPerEU: 1
; AccumOffset: 4
; Occupancy: 8
; WaveLimiterHint : 0
; COMPUTE_PGM_RSRC2:SCRATCH_EN: 0
; COMPUTE_PGM_RSRC2:USER_SGPR: 6
; COMPUTE_PGM_RSRC2:TRAP_HANDLER: 0
; COMPUTE_PGM_RSRC2:TGID_X_EN: 1
; COMPUTE_PGM_RSRC2:TGID_Y_EN: 0
; COMPUTE_PGM_RSRC2:TGID_Z_EN: 0
; COMPUTE_PGM_RSRC2:TIDIG_COMP_CNT: 0
; COMPUTE_PGM_RSRC3_GFX90A:ACCUM_OFFSET: 0
; COMPUTE_PGM_RSRC3_GFX90A:TG_SPLIT: 0
	.section	.text._ZN7rocprim17ROCPRIM_400000_NS6detail17trampoline_kernelINS0_14default_configENS1_20scan_config_selectorIiEEZZNS1_9scan_implILNS1_25lookback_scan_determinismE0ELb0ELb1ES3_N6thrust23THRUST_200600_302600_NS6detail15normal_iteratorINS9_10device_ptrIiEEEESE_iNS9_4plusIiEEiEEDaPvRmT3_T4_T5_mT6_P12ihipStream_tbENKUlT_T0_E_clISt17integral_constantIbLb1EESU_EEDaSP_SQ_EUlSP_E_NS1_11comp_targetILNS1_3genE4ELNS1_11target_archE910ELNS1_3gpuE8ELNS1_3repE0EEENS1_30default_config_static_selectorELNS0_4arch9wavefront6targetE1EEEvT1_,"axG",@progbits,_ZN7rocprim17ROCPRIM_400000_NS6detail17trampoline_kernelINS0_14default_configENS1_20scan_config_selectorIiEEZZNS1_9scan_implILNS1_25lookback_scan_determinismE0ELb0ELb1ES3_N6thrust23THRUST_200600_302600_NS6detail15normal_iteratorINS9_10device_ptrIiEEEESE_iNS9_4plusIiEEiEEDaPvRmT3_T4_T5_mT6_P12ihipStream_tbENKUlT_T0_E_clISt17integral_constantIbLb1EESU_EEDaSP_SQ_EUlSP_E_NS1_11comp_targetILNS1_3genE4ELNS1_11target_archE910ELNS1_3gpuE8ELNS1_3repE0EEENS1_30default_config_static_selectorELNS0_4arch9wavefront6targetE1EEEvT1_,comdat
	.protected	_ZN7rocprim17ROCPRIM_400000_NS6detail17trampoline_kernelINS0_14default_configENS1_20scan_config_selectorIiEEZZNS1_9scan_implILNS1_25lookback_scan_determinismE0ELb0ELb1ES3_N6thrust23THRUST_200600_302600_NS6detail15normal_iteratorINS9_10device_ptrIiEEEESE_iNS9_4plusIiEEiEEDaPvRmT3_T4_T5_mT6_P12ihipStream_tbENKUlT_T0_E_clISt17integral_constantIbLb1EESU_EEDaSP_SQ_EUlSP_E_NS1_11comp_targetILNS1_3genE4ELNS1_11target_archE910ELNS1_3gpuE8ELNS1_3repE0EEENS1_30default_config_static_selectorELNS0_4arch9wavefront6targetE1EEEvT1_ ; -- Begin function _ZN7rocprim17ROCPRIM_400000_NS6detail17trampoline_kernelINS0_14default_configENS1_20scan_config_selectorIiEEZZNS1_9scan_implILNS1_25lookback_scan_determinismE0ELb0ELb1ES3_N6thrust23THRUST_200600_302600_NS6detail15normal_iteratorINS9_10device_ptrIiEEEESE_iNS9_4plusIiEEiEEDaPvRmT3_T4_T5_mT6_P12ihipStream_tbENKUlT_T0_E_clISt17integral_constantIbLb1EESU_EEDaSP_SQ_EUlSP_E_NS1_11comp_targetILNS1_3genE4ELNS1_11target_archE910ELNS1_3gpuE8ELNS1_3repE0EEENS1_30default_config_static_selectorELNS0_4arch9wavefront6targetE1EEEvT1_
	.globl	_ZN7rocprim17ROCPRIM_400000_NS6detail17trampoline_kernelINS0_14default_configENS1_20scan_config_selectorIiEEZZNS1_9scan_implILNS1_25lookback_scan_determinismE0ELb0ELb1ES3_N6thrust23THRUST_200600_302600_NS6detail15normal_iteratorINS9_10device_ptrIiEEEESE_iNS9_4plusIiEEiEEDaPvRmT3_T4_T5_mT6_P12ihipStream_tbENKUlT_T0_E_clISt17integral_constantIbLb1EESU_EEDaSP_SQ_EUlSP_E_NS1_11comp_targetILNS1_3genE4ELNS1_11target_archE910ELNS1_3gpuE8ELNS1_3repE0EEENS1_30default_config_static_selectorELNS0_4arch9wavefront6targetE1EEEvT1_
	.p2align	8
	.type	_ZN7rocprim17ROCPRIM_400000_NS6detail17trampoline_kernelINS0_14default_configENS1_20scan_config_selectorIiEEZZNS1_9scan_implILNS1_25lookback_scan_determinismE0ELb0ELb1ES3_N6thrust23THRUST_200600_302600_NS6detail15normal_iteratorINS9_10device_ptrIiEEEESE_iNS9_4plusIiEEiEEDaPvRmT3_T4_T5_mT6_P12ihipStream_tbENKUlT_T0_E_clISt17integral_constantIbLb1EESU_EEDaSP_SQ_EUlSP_E_NS1_11comp_targetILNS1_3genE4ELNS1_11target_archE910ELNS1_3gpuE8ELNS1_3repE0EEENS1_30default_config_static_selectorELNS0_4arch9wavefront6targetE1EEEvT1_,@function
_ZN7rocprim17ROCPRIM_400000_NS6detail17trampoline_kernelINS0_14default_configENS1_20scan_config_selectorIiEEZZNS1_9scan_implILNS1_25lookback_scan_determinismE0ELb0ELb1ES3_N6thrust23THRUST_200600_302600_NS6detail15normal_iteratorINS9_10device_ptrIiEEEESE_iNS9_4plusIiEEiEEDaPvRmT3_T4_T5_mT6_P12ihipStream_tbENKUlT_T0_E_clISt17integral_constantIbLb1EESU_EEDaSP_SQ_EUlSP_E_NS1_11comp_targetILNS1_3genE4ELNS1_11target_archE910ELNS1_3gpuE8ELNS1_3repE0EEENS1_30default_config_static_selectorELNS0_4arch9wavefront6targetE1EEEvT1_: ; @_ZN7rocprim17ROCPRIM_400000_NS6detail17trampoline_kernelINS0_14default_configENS1_20scan_config_selectorIiEEZZNS1_9scan_implILNS1_25lookback_scan_determinismE0ELb0ELb1ES3_N6thrust23THRUST_200600_302600_NS6detail15normal_iteratorINS9_10device_ptrIiEEEESE_iNS9_4plusIiEEiEEDaPvRmT3_T4_T5_mT6_P12ihipStream_tbENKUlT_T0_E_clISt17integral_constantIbLb1EESU_EEDaSP_SQ_EUlSP_E_NS1_11comp_targetILNS1_3genE4ELNS1_11target_archE910ELNS1_3gpuE8ELNS1_3repE0EEENS1_30default_config_static_selectorELNS0_4arch9wavefront6targetE1EEEvT1_
; %bb.0:
	s_load_dwordx2 s[6:7], s[4:5], 0x28
	v_cmp_ne_u32_e64 s[0:1], 0, v0
	v_cmp_eq_u32_e64 s[2:3], 0, v0
	s_and_saveexec_b64 s[8:9], s[2:3]
	s_cbranch_execz .LBB752_4
; %bb.1:
	s_mov_b64 s[12:13], exec
	v_mbcnt_lo_u32_b32 v1, s12, 0
	v_mbcnt_hi_u32_b32 v1, s13, v1
	v_cmp_eq_u32_e32 vcc, 0, v1
                                        ; implicit-def: $vgpr2
	s_and_saveexec_b64 s[10:11], vcc
	s_cbranch_execz .LBB752_3
; %bb.2:
	s_load_dwordx2 s[14:15], s[4:5], 0x58
	s_bcnt1_i32_b64 s12, s[12:13]
	v_mov_b32_e32 v2, 0
	v_mov_b32_e32 v3, s12
	s_waitcnt lgkmcnt(0)
	global_atomic_add v2, v2, v3, s[14:15] glc
.LBB752_3:
	s_or_b64 exec, exec, s[10:11]
	s_waitcnt vmcnt(0)
	v_readfirstlane_b32 s10, v2
	v_add_u32_e32 v1, s10, v1
	v_mov_b32_e32 v2, 0
	ds_write_b32 v2, v1
.LBB752_4:
	s_or_b64 exec, exec, s[8:9]
	s_load_dwordx8 s[16:23], s[4:5], 0x0
	s_load_dword s33, s[4:5], 0x20
	s_load_dword s24, s[4:5], 0x30
	s_load_dwordx8 s[8:15], s[4:5], 0x38
	v_mov_b32_e32 v1, 0
	s_waitcnt lgkmcnt(0)
	s_barrier
	ds_read_b32 v1, v1
	s_lshl_b64 s[18:19], s[18:19], 2
	s_add_u32 s25, s16, s18
	s_addc_u32 s26, s17, s19
	s_add_i32 s16, s24, -1
	s_mul_i32 s17, s16, 0x500
	s_sub_u32 s30, s22, s17
	s_waitcnt lgkmcnt(0)
	v_readfirstlane_b32 s34, v1
	s_subb_u32 s31, s23, 0
	s_mul_i32 s4, s34, 0x500
	s_mov_b32 s5, 0
	s_cmp_lg_u32 s34, s16
	s_cselect_b64 s[16:17], -1, 0
	s_lshl_b64 s[22:23], s[4:5], 2
	s_add_u32 s24, s25, s22
	s_addc_u32 s25, s26, s23
	s_mov_b64 s[4:5], -1
	s_and_b64 vcc, exec, s[16:17]
	v_lshlrev_b32_e32 v30, 2, v0
	s_barrier
	s_cbranch_vccz .LBB752_6
; %bb.5:
	v_mov_b32_e32 v1, s25
	v_add_co_u32_e32 v2, vcc, s24, v30
	v_addc_co_u32_e32 v3, vcc, 0, v1, vcc
	flat_load_dword v1, v[2:3]
	flat_load_dword v4, v[2:3] offset:512
	flat_load_dword v5, v[2:3] offset:1024
	;; [unrolled: 1-line block ×7, first 2 shown]
	v_add_co_u32_e32 v2, vcc, 0x1000, v2
	v_addc_co_u32_e32 v3, vcc, 0, v3, vcc
	flat_load_dword v11, v[2:3]
	flat_load_dword v12, v[2:3] offset:512
	s_mov_b64 s[4:5], 0
	s_waitcnt vmcnt(0) lgkmcnt(0)
	ds_write2st64_b32 v30, v1, v4 offset1:2
	ds_write2st64_b32 v30, v5, v6 offset0:4 offset1:6
	ds_write2st64_b32 v30, v7, v8 offset0:8 offset1:10
	;; [unrolled: 1-line block ×4, first 2 shown]
	s_waitcnt lgkmcnt(0)
	s_barrier
.LBB752_6:
	s_andn2_b64 vcc, exec, s[4:5]
	v_cmp_gt_u32_e64 s[4:5], s30, v0
	s_cbranch_vccnz .LBB752_28
; %bb.7:
	v_pk_mov_b32 v[2:3], s[24:25], s[24:25] op_sel:[0,1]
	flat_load_dword v1, v[2:3]
	s_waitcnt vmcnt(0) lgkmcnt(0)
	v_mov_b32_e32 v2, v1
	v_mov_b32_e32 v3, v1
	;; [unrolled: 1-line block ×9, first 2 shown]
	s_and_saveexec_b64 s[26:27], s[4:5]
	s_cbranch_execz .LBB752_9
; %bb.8:
	v_mov_b32_e32 v11, s25
	v_add_co_u32_e32 v10, vcc, s24, v30
	v_addc_co_u32_e32 v11, vcc, 0, v11, vcc
	flat_load_dword v10, v[10:11]
.LBB752_9:
	s_or_b64 exec, exec, s[26:27]
	v_or_b32_e32 v11, 0x80, v0
	v_cmp_gt_u32_e32 vcc, s30, v11
	s_and_saveexec_b64 s[4:5], vcc
	s_cbranch_execz .LBB752_11
; %bb.10:
	v_mov_b32_e32 v1, s25
	v_add_co_u32_e32 v12, vcc, s24, v30
	v_addc_co_u32_e32 v13, vcc, 0, v1, vcc
	flat_load_dword v1, v[12:13] offset:512
.LBB752_11:
	s_or_b64 exec, exec, s[4:5]
	v_or_b32_e32 v11, 0x100, v0
	v_cmp_gt_u32_e32 vcc, s30, v11
	s_and_saveexec_b64 s[4:5], vcc
	s_cbranch_execz .LBB752_13
; %bb.12:
	v_mov_b32_e32 v2, s25
	v_add_co_u32_e32 v12, vcc, s24, v30
	v_addc_co_u32_e32 v13, vcc, 0, v2, vcc
	flat_load_dword v2, v[12:13] offset:1024
.LBB752_13:
	;; [unrolled: 11-line block ×7, first 2 shown]
	s_or_b64 exec, exec, s[4:5]
	v_or_b32_e32 v11, 0x400, v0
	v_cmp_gt_u32_e32 vcc, s30, v11
	s_and_saveexec_b64 s[4:5], vcc
	s_cbranch_execz .LBB752_25
; %bb.24:
	v_lshlrev_b32_e32 v8, 2, v11
	v_mov_b32_e32 v11, s25
	v_add_co_u32_e32 v12, vcc, s24, v8
	v_addc_co_u32_e32 v13, vcc, 0, v11, vcc
	flat_load_dword v8, v[12:13]
.LBB752_25:
	s_or_b64 exec, exec, s[4:5]
	v_or_b32_e32 v11, 0x480, v0
	v_cmp_gt_u32_e32 vcc, s30, v11
	s_and_saveexec_b64 s[4:5], vcc
	s_cbranch_execz .LBB752_27
; %bb.26:
	v_lshlrev_b32_e32 v9, 2, v11
	v_mov_b32_e32 v11, s25
	v_add_co_u32_e32 v12, vcc, s24, v9
	v_addc_co_u32_e32 v13, vcc, 0, v11, vcc
	flat_load_dword v9, v[12:13]
.LBB752_27:
	s_or_b64 exec, exec, s[4:5]
	s_waitcnt vmcnt(0) lgkmcnt(0)
	ds_write2st64_b32 v30, v10, v1 offset1:2
	ds_write2st64_b32 v30, v2, v3 offset0:4 offset1:6
	ds_write2st64_b32 v30, v4, v5 offset0:8 offset1:10
	;; [unrolled: 1-line block ×4, first 2 shown]
	s_waitcnt lgkmcnt(0)
	s_barrier
.LBB752_28:
	v_mul_u32_u24_e32 v31, 10, v0
	v_lshlrev_b32_e32 v1, 2, v31
	ds_read2_b64 v[2:5], v1 offset1:1
	ds_read2_b64 v[24:27], v1 offset0:2 offset1:3
	ds_read_b64 v[28:29], v1 offset:32
	s_cmp_lg_u32 s34, 0
	v_lshrrev_b32_e32 v22, 5, v0
	v_cmp_gt_u32_e32 vcc, 64, v0
	s_waitcnt lgkmcnt(0)
	s_barrier
	s_cbranch_scc0 .LBB752_57
; %bb.29:
	v_add_u32_e32 v6, v3, v2
	v_add3_u32 v6, v6, v4, v5
	v_add3_u32 v6, v6, v24, v25
	;; [unrolled: 1-line block ×4, first 2 shown]
	v_add_lshl_u32 v7, v22, v0, 2
	ds_write_b32 v7, v6
	s_waitcnt lgkmcnt(0)
	s_barrier
	s_and_saveexec_b64 s[24:25], vcc
	s_cbranch_execz .LBB752_31
; %bb.30:
	v_lshlrev_b32_e32 v7, 1, v0
	v_lshrrev_b32_e32 v8, 4, v0
	v_add_lshl_u32 v7, v8, v7, 2
	ds_read2_b32 v[8:9], v7 offset1:1
	v_mbcnt_lo_u32_b32 v10, -1, 0
	v_mbcnt_hi_u32_b32 v10, -1, v10
	v_and_b32_e32 v11, 15, v10
	v_cmp_ne_u32_e64 s[4:5], 0, v11
	s_waitcnt lgkmcnt(0)
	v_add_u32_e32 v9, v9, v8
	; wave barrier
	s_nop 1
	v_mov_b32_dpp v12, v9 row_shr:1 row_mask:0xf bank_mask:0xf
	v_cndmask_b32_e64 v12, 0, v12, s[4:5]
	v_add_u32_e32 v9, v12, v9
	v_cmp_lt_u32_e64 s[4:5], 1, v11
	s_nop 0
	v_mov_b32_dpp v12, v9 row_shr:2 row_mask:0xf bank_mask:0xf
	v_cndmask_b32_e64 v12, 0, v12, s[4:5]
	v_add_u32_e32 v9, v9, v12
	v_cmp_lt_u32_e64 s[4:5], 3, v11
	;; [unrolled: 5-line block ×3, first 2 shown]
	s_nop 0
	v_mov_b32_dpp v12, v9 row_shr:8 row_mask:0xf bank_mask:0xf
	v_cndmask_b32_e64 v11, 0, v12, s[4:5]
	v_add_u32_e32 v9, v9, v11
	v_bfe_i32 v12, v10, 4, 1
	v_cmp_lt_u32_e64 s[4:5], 31, v10
	v_mov_b32_dpp v11, v9 row_bcast:15 row_mask:0xf bank_mask:0xf
	v_and_b32_e32 v11, v12, v11
	v_add_u32_e32 v9, v9, v11
	v_and_b32_e32 v12, 64, v10
	s_nop 0
	v_mov_b32_dpp v11, v9 row_bcast:31 row_mask:0xf bank_mask:0xf
	v_cndmask_b32_e64 v11, 0, v11, s[4:5]
	v_add_u32_e32 v9, v9, v11
	v_add_u32_e32 v11, -1, v10
	v_cmp_lt_i32_e64 s[4:5], v11, v12
	v_cndmask_b32_e64 v10, v11, v10, s[4:5]
	v_lshlrev_b32_e32 v10, 2, v10
	ds_bpermute_b32 v9, v10, v9
	s_waitcnt lgkmcnt(0)
	v_add_u32_e32 v8, v9, v8
	v_cndmask_b32_e64 v6, v8, v6, s[2:3]
	ds_write_b32 v7, v6
	; wave barrier
	ds_read_b32 v8, v7 offset:4
	s_waitcnt lgkmcnt(0)
	v_add_u32_e32 v6, v8, v6
	ds_write_b32 v7, v6 offset:4
.LBB752_31:
	s_or_b64 exec, exec, s[24:25]
	v_mov_b32_e32 v16, 0
	s_waitcnt lgkmcnt(0)
	s_barrier
	s_and_saveexec_b64 s[4:5], s[0:1]
	s_cbranch_execz .LBB752_33
; %bb.32:
	v_add_u32_e32 v6, -1, v0
	v_lshrrev_b32_e32 v7, 5, v6
	v_add_lshl_u32 v6, v7, v6, 2
	ds_read_b32 v16, v6
.LBB752_33:
	s_or_b64 exec, exec, s[4:5]
	s_and_saveexec_b64 s[24:25], vcc
	s_cbranch_execz .LBB752_56
; %bb.34:
	v_mov_b32_e32 v15, 0
	ds_read_b32 v6, v15 offset:520
	v_mbcnt_lo_u32_b32 v7, -1, 0
	v_mbcnt_hi_u32_b32 v9, -1, v7
	s_mov_b32 s29, 0
	v_cmp_eq_u32_e64 s[4:5], 0, v9
	s_and_saveexec_b64 s[26:27], s[4:5]
	s_cbranch_execz .LBB752_36
; %bb.35:
	s_add_i32 s28, s34, 64
	s_lshl_b64 s[28:29], s[28:29], 3
	s_add_u32 s28, s6, s28
	v_mov_b32_e32 v7, 1
	s_addc_u32 s29, s7, s29
	s_waitcnt lgkmcnt(0)
	global_store_dwordx2 v15, v[6:7], s[28:29]
.LBB752_36:
	s_or_b64 exec, exec, s[26:27]
	v_xad_u32 v8, v9, -1, s34
	v_add_u32_e32 v14, 64, v8
	v_lshlrev_b64 v[10:11], 3, v[14:15]
	v_mov_b32_e32 v7, s7
	v_add_co_u32_e32 v10, vcc, s6, v10
	v_addc_co_u32_e32 v11, vcc, v7, v11, vcc
	global_load_dwordx2 v[12:13], v[10:11], off glc
	s_waitcnt vmcnt(0)
	v_cmp_eq_u16_sdwa s[28:29], v13, v15 src0_sel:BYTE_0 src1_sel:DWORD
	s_and_saveexec_b64 s[26:27], s[28:29]
	s_cbranch_execz .LBB752_42
; %bb.37:
	s_mov_b32 s35, 1
	s_mov_b64 s[28:29], 0
	v_mov_b32_e32 v7, 0
.LBB752_38:                             ; =>This Loop Header: Depth=1
                                        ;     Child Loop BB752_39 Depth 2
	s_max_u32 s36, s35, 1
.LBB752_39:                             ;   Parent Loop BB752_38 Depth=1
                                        ; =>  This Inner Loop Header: Depth=2
	s_add_i32 s36, s36, -1
	s_cmp_eq_u32 s36, 0
	s_sleep 1
	s_cbranch_scc0 .LBB752_39
; %bb.40:                               ;   in Loop: Header=BB752_38 Depth=1
	global_load_dwordx2 v[12:13], v[10:11], off glc
	s_cmp_lt_u32 s35, 32
	s_cselect_b64 s[36:37], -1, 0
	s_cmp_lg_u64 s[36:37], 0
	s_addc_u32 s35, s35, 0
	s_waitcnt vmcnt(0)
	v_cmp_ne_u16_sdwa s[36:37], v13, v7 src0_sel:BYTE_0 src1_sel:DWORD
	s_or_b64 s[28:29], s[36:37], s[28:29]
	s_andn2_b64 exec, exec, s[28:29]
	s_cbranch_execnz .LBB752_38
; %bb.41:
	s_or_b64 exec, exec, s[28:29]
.LBB752_42:
	s_or_b64 exec, exec, s[26:27]
	v_and_b32_e32 v17, 63, v9
	v_mov_b32_e32 v7, 2
	v_cmp_ne_u32_e32 vcc, 63, v17
	v_cmp_eq_u16_sdwa s[26:27], v13, v7 src0_sel:BYTE_0 src1_sel:DWORD
	v_lshlrev_b64 v[10:11], v9, -1
	v_addc_co_u32_e32 v18, vcc, 0, v9, vcc
	v_and_b32_e32 v14, s27, v11
	v_lshlrev_b32_e32 v18, 2, v18
	v_or_b32_e32 v14, 0x80000000, v14
	ds_bpermute_b32 v19, v18, v12
	v_and_b32_e32 v15, s26, v10
	v_ffbl_b32_e32 v14, v14
	v_add_u32_e32 v14, 32, v14
	v_ffbl_b32_e32 v15, v15
	v_min_u32_e32 v14, v15, v14
	v_cmp_lt_u32_e32 vcc, v17, v14
	s_waitcnt lgkmcnt(0)
	v_cndmask_b32_e32 v15, 0, v19, vcc
	v_cmp_gt_u32_e32 vcc, 62, v17
	v_add_u32_e32 v12, v15, v12
	v_cndmask_b32_e64 v15, 0, 1, vcc
	v_lshlrev_b32_e32 v15, 1, v15
	v_add_lshl_u32 v19, v15, v9, 2
	ds_bpermute_b32 v15, v19, v12
	v_add_u32_e32 v20, 2, v17
	v_cmp_le_u32_e32 vcc, v20, v14
	v_add_u32_e32 v23, 4, v17
	v_add_u32_e32 v33, 8, v17
	s_waitcnt lgkmcnt(0)
	v_cndmask_b32_e32 v15, 0, v15, vcc
	v_cmp_gt_u32_e32 vcc, 60, v17
	v_add_u32_e32 v12, v12, v15
	v_cndmask_b32_e64 v15, 0, 1, vcc
	v_lshlrev_b32_e32 v15, 2, v15
	v_add_lshl_u32 v21, v15, v9, 2
	ds_bpermute_b32 v15, v21, v12
	v_cmp_le_u32_e32 vcc, v23, v14
	v_add_u32_e32 v36, 16, v17
	v_add_u32_e32 v38, 32, v17
	s_waitcnt lgkmcnt(0)
	v_cndmask_b32_e32 v15, 0, v15, vcc
	v_cmp_gt_u32_e32 vcc, 56, v17
	v_add_u32_e32 v12, v12, v15
	v_cndmask_b32_e64 v15, 0, 1, vcc
	v_lshlrev_b32_e32 v15, 3, v15
	v_add_lshl_u32 v32, v15, v9, 2
	ds_bpermute_b32 v15, v32, v12
	v_cmp_le_u32_e32 vcc, v33, v14
	s_waitcnt lgkmcnt(0)
	v_cndmask_b32_e32 v15, 0, v15, vcc
	v_cmp_gt_u32_e32 vcc, 48, v17
	v_add_u32_e32 v12, v12, v15
	v_cndmask_b32_e64 v15, 0, 1, vcc
	v_lshlrev_b32_e32 v15, 4, v15
	v_add_lshl_u32 v35, v15, v9, 2
	ds_bpermute_b32 v15, v35, v12
	v_cmp_le_u32_e32 vcc, v36, v14
	;; [unrolled: 9-line block ×3, first 2 shown]
	s_waitcnt lgkmcnt(0)
	v_cndmask_b32_e32 v9, 0, v9, vcc
	v_add_u32_e32 v12, v12, v9
	v_mov_b32_e32 v9, 0
	s_branch .LBB752_44
.LBB752_43:                             ;   in Loop: Header=BB752_44 Depth=1
	s_or_b64 exec, exec, s[26:27]
	v_cmp_eq_u16_sdwa s[26:27], v13, v7 src0_sel:BYTE_0 src1_sel:DWORD
	v_and_b32_e32 v14, s27, v11
	v_or_b32_e32 v14, 0x80000000, v14
	ds_bpermute_b32 v39, v18, v12
	v_and_b32_e32 v15, s26, v10
	v_ffbl_b32_e32 v14, v14
	v_add_u32_e32 v14, 32, v14
	v_ffbl_b32_e32 v15, v15
	v_min_u32_e32 v14, v15, v14
	v_cmp_lt_u32_e32 vcc, v17, v14
	s_waitcnt lgkmcnt(0)
	v_cndmask_b32_e32 v15, 0, v39, vcc
	v_add_u32_e32 v12, v15, v12
	ds_bpermute_b32 v15, v19, v12
	v_cmp_le_u32_e32 vcc, v20, v14
	v_subrev_u32_e32 v8, 64, v8
	s_waitcnt lgkmcnt(0)
	v_cndmask_b32_e32 v15, 0, v15, vcc
	v_add_u32_e32 v12, v12, v15
	ds_bpermute_b32 v15, v21, v12
	v_cmp_le_u32_e32 vcc, v23, v14
	s_waitcnt lgkmcnt(0)
	v_cndmask_b32_e32 v15, 0, v15, vcc
	v_add_u32_e32 v12, v12, v15
	ds_bpermute_b32 v15, v32, v12
	v_cmp_le_u32_e32 vcc, v33, v14
	;; [unrolled: 5-line block ×4, first 2 shown]
	s_waitcnt lgkmcnt(0)
	v_cndmask_b32_e32 v14, 0, v15, vcc
	v_add3_u32 v12, v14, v34, v12
.LBB752_44:                             ; =>This Loop Header: Depth=1
                                        ;     Child Loop BB752_47 Depth 2
                                        ;       Child Loop BB752_48 Depth 3
	v_cmp_ne_u16_sdwa s[26:27], v13, v7 src0_sel:BYTE_0 src1_sel:DWORD
	v_cndmask_b32_e64 v13, 0, 1, s[26:27]
	;;#ASMSTART
	;;#ASMEND
	v_cmp_ne_u32_e32 vcc, 0, v13
	s_cmp_lg_u64 vcc, exec
	v_mov_b32_e32 v34, v12
	s_cbranch_scc1 .LBB752_51
; %bb.45:                               ;   in Loop: Header=BB752_44 Depth=1
	v_lshlrev_b64 v[12:13], 3, v[8:9]
	v_mov_b32_e32 v15, s7
	v_add_co_u32_e32 v14, vcc, s6, v12
	v_addc_co_u32_e32 v15, vcc, v15, v13, vcc
	global_load_dwordx2 v[12:13], v[14:15], off glc
	s_waitcnt vmcnt(0)
	v_cmp_eq_u16_sdwa s[28:29], v13, v9 src0_sel:BYTE_0 src1_sel:DWORD
	s_and_saveexec_b64 s[26:27], s[28:29]
	s_cbranch_execz .LBB752_43
; %bb.46:                               ;   in Loop: Header=BB752_44 Depth=1
	s_mov_b32 s35, 1
	s_mov_b64 s[28:29], 0
.LBB752_47:                             ;   Parent Loop BB752_44 Depth=1
                                        ; =>  This Loop Header: Depth=2
                                        ;       Child Loop BB752_48 Depth 3
	s_max_u32 s36, s35, 1
.LBB752_48:                             ;   Parent Loop BB752_44 Depth=1
                                        ;     Parent Loop BB752_47 Depth=2
                                        ; =>    This Inner Loop Header: Depth=3
	s_add_i32 s36, s36, -1
	s_cmp_eq_u32 s36, 0
	s_sleep 1
	s_cbranch_scc0 .LBB752_48
; %bb.49:                               ;   in Loop: Header=BB752_47 Depth=2
	global_load_dwordx2 v[12:13], v[14:15], off glc
	s_cmp_lt_u32 s35, 32
	s_cselect_b64 s[36:37], -1, 0
	s_cmp_lg_u64 s[36:37], 0
	s_addc_u32 s35, s35, 0
	s_waitcnt vmcnt(0)
	v_cmp_ne_u16_sdwa s[36:37], v13, v9 src0_sel:BYTE_0 src1_sel:DWORD
	s_or_b64 s[28:29], s[36:37], s[28:29]
	s_andn2_b64 exec, exec, s[28:29]
	s_cbranch_execnz .LBB752_47
; %bb.50:                               ;   in Loop: Header=BB752_44 Depth=1
	s_or_b64 exec, exec, s[28:29]
	s_branch .LBB752_43
.LBB752_51:                             ;   in Loop: Header=BB752_44 Depth=1
                                        ; implicit-def: $vgpr12
                                        ; implicit-def: $vgpr13
	s_cbranch_execz .LBB752_44
; %bb.52:
	s_and_saveexec_b64 s[26:27], s[4:5]
	s_cbranch_execz .LBB752_54
; %bb.53:
	s_add_i32 s4, s34, 64
	s_mov_b32 s5, 0
	s_lshl_b64 s[4:5], s[4:5], 3
	s_add_u32 s4, s6, s4
	v_add_u32_e32 v6, v34, v6
	v_mov_b32_e32 v7, 2
	s_addc_u32 s5, s7, s5
	v_mov_b32_e32 v8, 0
	global_store_dwordx2 v8, v[6:7], s[4:5]
.LBB752_54:
	s_or_b64 exec, exec, s[26:27]
	s_and_b64 exec, exec, s[2:3]
	s_cbranch_execz .LBB752_56
; %bb.55:
	v_mov_b32_e32 v6, 0
	ds_write_b32 v6, v34
.LBB752_56:
	s_or_b64 exec, exec, s[24:25]
	v_mov_b32_e32 v6, 0
	s_waitcnt lgkmcnt(0)
	s_barrier
	ds_read_b32 v6, v6
	s_waitcnt lgkmcnt(0)
	v_add3_u32 v12, v16, v2, v6
	v_add_u32_e32 v13, v12, v3
	v_add_u32_e32 v14, v13, v4
	;; [unrolled: 1-line block ×9, first 2 shown]
	s_branch .LBB752_79
.LBB752_57:
                                        ; implicit-def: $vgpr12_vgpr13_vgpr14_vgpr15_vgpr16_vgpr17_vgpr18_vgpr19_vgpr20_vgpr21
	s_cbranch_execz .LBB752_79
; %bb.58:
	s_cmp_lg_u64 s[12:13], 0
	s_cselect_b64 s[24:25], -1, 0
	s_cmp_eq_u64 s[12:13], 0
	s_cselect_b64 s[4:5], -1, 0
	s_and_b64 s[24:25], s[2:3], s[24:25]
	s_and_saveexec_b64 s[12:13], s[24:25]
	s_cbranch_execz .LBB752_60
; %bb.59:
	v_mov_b32_e32 v6, 0
	global_load_dword v6, v6, s[8:9]
	s_waitcnt vmcnt(0)
	v_add_u32_e32 v2, v6, v2
.LBB752_60:
	s_or_b64 exec, exec, s[12:13]
	v_add_u32_e32 v34, v3, v2
	v_add_u32_e32 v33, v34, v4
	;; [unrolled: 1-line block ×9, first 2 shown]
	v_add_lshl_u32 v12, v22, v0, 2
	s_andn2_b64 vcc, exec, s[4:5]
	v_cmp_gt_u32_e64 s[4:5], 64, v0
	ds_write_b32 v12, v11
	s_waitcnt lgkmcnt(0)
	s_cbranch_vccnz .LBB752_68
; %bb.61:
	s_barrier
	s_and_saveexec_b64 s[8:9], s[4:5]
	s_cbranch_execz .LBB752_63
; %bb.62:
	v_lshlrev_b32_e32 v12, 1, v0
	v_lshrrev_b32_e32 v13, 4, v0
	v_add_lshl_u32 v14, v13, v12, 2
	ds_read2_b32 v[12:13], v14 offset1:1
	v_mbcnt_lo_u32_b32 v15, -1, 0
	v_mbcnt_hi_u32_b32 v15, -1, v15
	v_and_b32_e32 v16, 15, v15
	v_cmp_ne_u32_e32 vcc, 0, v16
	s_waitcnt lgkmcnt(0)
	v_add_u32_e32 v13, v13, v12
	; wave barrier
	s_nop 1
	v_mov_b32_dpp v17, v13 row_shr:1 row_mask:0xf bank_mask:0xf
	v_cndmask_b32_e32 v17, 0, v17, vcc
	v_add_u32_e32 v13, v17, v13
	v_cmp_lt_u32_e32 vcc, 1, v16
	s_nop 0
	v_mov_b32_dpp v17, v13 row_shr:2 row_mask:0xf bank_mask:0xf
	v_cndmask_b32_e32 v17, 0, v17, vcc
	v_add_u32_e32 v13, v13, v17
	v_cmp_lt_u32_e32 vcc, 3, v16
	;; [unrolled: 5-line block ×3, first 2 shown]
	s_nop 0
	v_mov_b32_dpp v17, v13 row_shr:8 row_mask:0xf bank_mask:0xf
	v_cndmask_b32_e32 v16, 0, v17, vcc
	v_add_u32_e32 v13, v13, v16
	v_bfe_i32 v17, v15, 4, 1
	v_cmp_lt_u32_e32 vcc, 31, v15
	v_mov_b32_dpp v16, v13 row_bcast:15 row_mask:0xf bank_mask:0xf
	v_and_b32_e32 v16, v17, v16
	v_add_u32_e32 v13, v13, v16
	v_and_b32_e32 v17, 64, v15
	s_nop 0
	v_mov_b32_dpp v16, v13 row_bcast:31 row_mask:0xf bank_mask:0xf
	v_cndmask_b32_e32 v16, 0, v16, vcc
	v_add_u32_e32 v13, v13, v16
	v_add_u32_e32 v16, -1, v15
	v_cmp_lt_i32_e32 vcc, v16, v17
	v_cndmask_b32_e32 v15, v16, v15, vcc
	v_lshlrev_b32_e32 v15, 2, v15
	ds_bpermute_b32 v13, v15, v13
	s_waitcnt lgkmcnt(0)
	v_add_u32_e32 v12, v13, v12
	v_cndmask_b32_e64 v12, v12, v11, s[2:3]
	ds_write_b32 v14, v12
	; wave barrier
	ds_read_b32 v13, v14 offset:4
	s_waitcnt lgkmcnt(0)
	v_add_u32_e32 v12, v13, v12
	ds_write_b32 v14, v12 offset:4
.LBB752_63:
	s_or_b64 exec, exec, s[8:9]
	v_mov_b32_e32 v21, v11
	s_waitcnt lgkmcnt(0)
	s_barrier
	s_and_saveexec_b64 s[8:9], s[0:1]
	s_cbranch_execz .LBB752_65
; %bb.64:
	v_add_u32_e32 v12, -1, v0
	v_lshrrev_b32_e32 v13, 5, v12
	v_add_lshl_u32 v12, v13, v12, 2
	ds_read_b32 v21, v12
.LBB752_65:
	s_or_b64 exec, exec, s[8:9]
	v_mov_b32_e32 v12, v10
	v_mov_b32_e32 v13, v9
	;; [unrolled: 1-line block ×9, first 2 shown]
	s_and_saveexec_b64 s[8:9], s[0:1]
	s_cbranch_execz .LBB752_67
; %bb.66:
	s_waitcnt lgkmcnt(0)
	v_add_u32_e32 v14, v21, v2
	v_add_u32_e32 v15, v14, v3
	v_add_u32_e32 v16, v15, v4
	v_add_u32_e32 v17, v16, v5
	v_add_u32_e32 v18, v17, v24
	v_add_u32_e32 v19, v18, v25
	v_add_u32_e32 v20, v19, v26
	v_add_u32_e32 v13, v20, v27
	v_add_u32_e32 v12, v13, v28
	;;#ASMSTART
	;;#ASMEND
.LBB752_67:
	s_or_b64 exec, exec, s[8:9]
	v_add_u32_e32 v14, s33, v14
	v_add_u32_e32 v15, s33, v15
	;; [unrolled: 1-line block ×7, first 2 shown]
	s_waitcnt lgkmcnt(0)
	v_add_u32_e32 v21, s33, v13
	v_add_u32_e32 v22, s33, v12
	;; [unrolled: 1-line block ×3, first 2 shown]
	v_pk_mov_b32 v[12:13], v[14:15], v[14:15] op_sel:[0,1]
	v_pk_mov_b32 v[14:15], v[16:17], v[16:17] op_sel:[0,1]
	;; [unrolled: 1-line block ×5, first 2 shown]
	s_branch .LBB752_76
.LBB752_68:
                                        ; implicit-def: $vgpr23
                                        ; implicit-def: $vgpr12_vgpr13_vgpr14_vgpr15_vgpr16_vgpr17_vgpr18_vgpr19_vgpr20_vgpr21
	s_cbranch_execz .LBB752_76
; %bb.69:
	s_barrier
	s_and_saveexec_b64 s[8:9], s[4:5]
	s_cbranch_execz .LBB752_71
; %bb.70:
	v_lshlrev_b32_e32 v12, 1, v0
	v_lshrrev_b32_e32 v13, 4, v0
	v_add_lshl_u32 v14, v13, v12, 2
	ds_read2_b32 v[12:13], v14 offset1:1
	v_mbcnt_lo_u32_b32 v15, -1, 0
	v_mbcnt_hi_u32_b32 v15, -1, v15
	v_and_b32_e32 v16, 15, v15
	v_cmp_ne_u32_e32 vcc, 0, v16
	s_waitcnt lgkmcnt(0)
	v_add_u32_e32 v13, v13, v12
	; wave barrier
	s_nop 1
	v_mov_b32_dpp v17, v13 row_shr:1 row_mask:0xf bank_mask:0xf
	v_cndmask_b32_e32 v17, 0, v17, vcc
	v_add_u32_e32 v13, v17, v13
	v_cmp_lt_u32_e32 vcc, 1, v16
	s_nop 0
	v_mov_b32_dpp v17, v13 row_shr:2 row_mask:0xf bank_mask:0xf
	v_cndmask_b32_e32 v17, 0, v17, vcc
	v_add_u32_e32 v13, v13, v17
	v_cmp_lt_u32_e32 vcc, 3, v16
	;; [unrolled: 5-line block ×3, first 2 shown]
	s_nop 0
	v_mov_b32_dpp v17, v13 row_shr:8 row_mask:0xf bank_mask:0xf
	v_cndmask_b32_e32 v16, 0, v17, vcc
	v_add_u32_e32 v13, v13, v16
	v_bfe_i32 v17, v15, 4, 1
	v_cmp_lt_u32_e32 vcc, 31, v15
	v_mov_b32_dpp v16, v13 row_bcast:15 row_mask:0xf bank_mask:0xf
	v_and_b32_e32 v16, v17, v16
	v_add_u32_e32 v13, v13, v16
	v_and_b32_e32 v17, 64, v15
	s_nop 0
	v_mov_b32_dpp v16, v13 row_bcast:31 row_mask:0xf bank_mask:0xf
	v_cndmask_b32_e32 v16, 0, v16, vcc
	v_add_u32_e32 v13, v13, v16
	v_add_u32_e32 v16, -1, v15
	v_cmp_lt_i32_e32 vcc, v16, v17
	v_cndmask_b32_e32 v15, v16, v15, vcc
	v_lshlrev_b32_e32 v15, 2, v15
	ds_bpermute_b32 v13, v15, v13
	s_waitcnt lgkmcnt(0)
	v_add_u32_e32 v12, v13, v12
	v_cndmask_b32_e64 v12, v12, v11, s[2:3]
	ds_write_b32 v14, v12
	; wave barrier
	ds_read_b32 v13, v14 offset:4
	s_waitcnt lgkmcnt(0)
	v_add_u32_e32 v12, v13, v12
	ds_write_b32 v14, v12 offset:4
.LBB752_71:
	s_or_b64 exec, exec, s[8:9]
	v_mov_b32_e32 v12, v11
	s_waitcnt lgkmcnt(0)
	s_barrier
	s_and_saveexec_b64 s[2:3], s[0:1]
	s_cbranch_execz .LBB752_73
; %bb.72:
	v_add_u32_e32 v12, -1, v0
	v_lshrrev_b32_e32 v13, 5, v12
	v_add_lshl_u32 v12, v13, v12, 2
	ds_read_b32 v12, v12
.LBB752_73:
	s_or_b64 exec, exec, s[2:3]
	s_and_saveexec_b64 s[2:3], s[0:1]
	s_cbranch_execz .LBB752_75
; %bb.74:
	s_waitcnt lgkmcnt(0)
	v_add_u32_e32 v2, v12, v2
	v_add_u32_e32 v34, v2, v3
	;; [unrolled: 1-line block ×10, first 2 shown]
	;;#ASMSTART
	;;#ASMEND
.LBB752_75:
	s_or_b64 exec, exec, s[2:3]
	v_mov_b32_e32 v3, v34
	v_mov_b32_e32 v4, v33
	;; [unrolled: 1-line block ×3, first 2 shown]
	s_waitcnt lgkmcnt(0)
	v_pk_mov_b32 v[20:21], v[10:11], v[10:11] op_sel:[0,1]
	v_mov_b32_e32 v23, v11
	v_pk_mov_b32 v[18:19], v[8:9], v[8:9] op_sel:[0,1]
	v_pk_mov_b32 v[16:17], v[6:7], v[6:7] op_sel:[0,1]
	;; [unrolled: 1-line block ×4, first 2 shown]
.LBB752_76:
	s_movk_i32 s0, 0x7f
	v_cmp_eq_u32_e32 vcc, s0, v0
	s_and_saveexec_b64 s[0:1], vcc
	s_cbranch_execz .LBB752_78
; %bb.77:
	v_mov_b32_e32 v4, 0
	v_mov_b32_e32 v3, 2
	;; [unrolled: 1-line block ×3, first 2 shown]
	global_store_dwordx2 v4, v[2:3], s[6:7] offset:512
.LBB752_78:
	s_or_b64 exec, exec, s[0:1]
.LBB752_79:
	s_add_u32 s0, s20, s18
	s_addc_u32 s1, s21, s19
	s_add_u32 s2, s0, s22
	s_addc_u32 s3, s1, s23
	s_mov_b64 s[0:1], -1
	s_and_b64 vcc, exec, s[16:17]
	s_barrier
	s_cbranch_vccz .LBB752_81
; %bb.80:
	ds_write2_b64 v1, v[12:13], v[14:15] offset1:1
	ds_write2_b64 v1, v[16:17], v[18:19] offset0:2 offset1:3
	ds_write_b64 v1, v[20:21] offset:32
	s_waitcnt lgkmcnt(0)
	s_barrier
	ds_read2st64_b32 v[2:3], v30 offset1:2
	ds_read2st64_b32 v[4:5], v30 offset0:4 offset1:6
	ds_read2st64_b32 v[6:7], v30 offset0:8 offset1:10
	ds_read2st64_b32 v[8:9], v30 offset0:12 offset1:14
	ds_read2st64_b32 v[10:11], v30 offset0:16 offset1:18
	v_mov_b32_e32 v23, s3
	v_add_co_u32_e32 v22, vcc, s2, v30
	v_addc_co_u32_e32 v23, vcc, 0, v23, vcc
	s_waitcnt lgkmcnt(4)
	flat_store_dword v[22:23], v2
	flat_store_dword v[22:23], v3 offset:512
	s_waitcnt lgkmcnt(0)
	flat_store_dword v[22:23], v4 offset:1024
	flat_store_dword v[22:23], v5 offset:1536
	;; [unrolled: 1-line block ×6, first 2 shown]
	v_add_co_u32_e32 v2, vcc, 0x1000, v22
	v_addc_co_u32_e32 v3, vcc, 0, v23, vcc
	flat_store_dword v[2:3], v10
	flat_store_dword v[2:3], v11 offset:512
	s_mov_b64 s[0:1], 0
.LBB752_81:
	s_andn2_b64 vcc, exec, s[0:1]
	s_cbranch_vccnz .LBB752_137
; %bb.82:
	ds_write2_b64 v1, v[12:13], v[14:15] offset1:1
	ds_write2_b64 v1, v[16:17], v[18:19] offset0:2 offset1:3
	ds_write_b64 v1, v[20:21] offset:32
	s_waitcnt lgkmcnt(0)
	s_barrier
	ds_read2st64_b32 v[2:3], v30 offset1:2
	ds_read2st64_b32 v[6:7], v30 offset0:4 offset1:6
	ds_read2st64_b32 v[4:5], v30 offset0:8 offset1:10
	;; [unrolled: 1-line block ×4, first 2 shown]
	v_mov_b32_e32 v13, s3
	v_add_co_u32_e32 v12, vcc, s2, v30
	v_addc_co_u32_e32 v13, vcc, 0, v13, vcc
	v_mov_b32_e32 v1, 0
	v_cmp_gt_u32_e32 vcc, s30, v0
	s_and_saveexec_b64 s[0:1], vcc
	s_cbranch_execz .LBB752_84
; %bb.83:
	s_waitcnt lgkmcnt(0)
	flat_store_dword v[12:13], v2
.LBB752_84:
	s_or_b64 exec, exec, s[0:1]
	v_or_b32_e32 v14, 0x80, v0
	v_cmp_gt_u32_e32 vcc, s30, v14
	s_and_saveexec_b64 s[0:1], vcc
	s_cbranch_execz .LBB752_86
; %bb.85:
	s_waitcnt lgkmcnt(0)
	flat_store_dword v[12:13], v3 offset:512
.LBB752_86:
	s_or_b64 exec, exec, s[0:1]
	v_or_b32_e32 v14, 0x100, v0
	v_cmp_gt_u32_e32 vcc, s30, v14
	s_and_saveexec_b64 s[0:1], vcc
	s_cbranch_execz .LBB752_88
; %bb.87:
	s_waitcnt lgkmcnt(0)
	flat_store_dword v[12:13], v6 offset:1024
.LBB752_88:
	;; [unrolled: 9-line block ×7, first 2 shown]
	s_or_b64 exec, exec, s[0:1]
	v_or_b32_e32 v14, 0x400, v0
	v_cmp_gt_u32_e32 vcc, s30, v14
	s_and_saveexec_b64 s[0:1], vcc
	s_cbranch_execz .LBB752_100
; %bb.99:
	v_add_co_u32_e32 v14, vcc, 0x1000, v12
	v_addc_co_u32_e32 v15, vcc, 0, v13, vcc
	s_waitcnt lgkmcnt(0)
	flat_store_dword v[14:15], v10
.LBB752_100:
	s_or_b64 exec, exec, s[0:1]
	v_or_b32_e32 v14, 0x480, v0
	v_cmp_gt_u32_e32 vcc, s30, v14
	s_and_saveexec_b64 s[0:1], vcc
	s_cbranch_execz .LBB752_102
; %bb.101:
	v_add_co_u32_e32 v12, vcc, 0x1000, v12
	v_addc_co_u32_e32 v13, vcc, 0, v13, vcc
	s_waitcnt lgkmcnt(0)
	flat_store_dword v[12:13], v11 offset:512
.LBB752_102:
	s_or_b64 exec, exec, s[0:1]
	v_cmp_lt_u64_e64 s[0:1], s[14:15], 2
	s_and_b64 vcc, exec, s[0:1]
	s_cbranch_vccnz .LBB752_137
; %bb.103:
	s_add_u32 s0, s30, -1
	s_addc_u32 s1, s31, -1
	s_add_u32 s2, 0, 0x99986000
	s_addc_u32 s3, 0, 0x59
	s_add_i32 s3, s3, 0x19999940
	s_mul_hi_u32 s7, s2, -10
	s_sub_i32 s7, s7, s2
	s_mul_i32 s8, s3, -10
	s_mul_i32 s4, s2, -10
	s_add_i32 s7, s7, s8
	s_mul_hi_u32 s5, s3, s4
	s_mul_i32 s6, s3, s4
	s_mul_i32 s9, s2, s7
	s_mul_hi_u32 s4, s2, s4
	s_mul_hi_u32 s8, s2, s7
	s_add_u32 s4, s4, s9
	s_addc_u32 s8, 0, s8
	s_add_u32 s4, s4, s6
	s_mul_hi_u32 s9, s3, s7
	s_addc_u32 s4, s8, s5
	s_addc_u32 s5, s9, 0
	s_mul_i32 s6, s3, s7
	s_add_u32 s4, s4, s6
	v_mov_b32_e32 v12, s4
	s_addc_u32 s5, 0, s5
	v_add_co_u32_e32 v12, vcc, s2, v12
	s_cmp_lg_u64 vcc, 0
	s_addc_u32 s2, s3, s5
	v_readfirstlane_b32 s5, v12
	s_mul_i32 s4, s0, s2
	s_mul_hi_u32 s6, s0, s5
	s_mul_hi_u32 s3, s0, s2
	s_add_u32 s4, s6, s4
	s_addc_u32 s3, 0, s3
	s_mul_hi_u32 s7, s1, s5
	s_mul_i32 s5, s1, s5
	s_add_u32 s4, s4, s5
	s_mul_hi_u32 s6, s1, s2
	s_addc_u32 s3, s3, s7
	s_addc_u32 s4, s6, 0
	s_mul_i32 s2, s1, s2
	s_add_u32 s2, s3, s2
	s_addc_u32 s3, 0, s4
	s_add_u32 s4, s2, 1
	s_addc_u32 s5, s3, 0
	s_add_u32 s6, s2, 2
	s_mul_i32 s8, s3, 10
	s_mul_hi_u32 s9, s2, 10
	s_addc_u32 s7, s3, 0
	s_add_i32 s9, s9, s8
	s_mul_i32 s8, s2, 10
	v_mov_b32_e32 v12, s8
	v_sub_co_u32_e32 v12, vcc, s0, v12
	s_cmp_lg_u64 vcc, 0
	s_subb_u32 s8, s1, s9
	v_subrev_co_u32_e32 v13, vcc, 10, v12
	s_cmp_lg_u64 vcc, 0
	s_subb_u32 s9, s8, 0
	v_readfirstlane_b32 s12, v13
	s_cmp_gt_u32 s12, 9
	s_cselect_b32 s12, -1, 0
	s_cmp_eq_u32 s9, 0
	s_cselect_b32 s9, s12, -1
	s_cmp_lg_u32 s9, 0
	s_cselect_b32 s4, s6, s4
	v_readfirstlane_b32 s6, v12
	s_cselect_b32 s5, s7, s5
	s_cmp_gt_u32 s6, 9
	s_cselect_b32 s6, -1, 0
	s_cmp_eq_u32 s8, 0
	s_cselect_b32 s6, s6, -1
	s_cmp_lg_u32 s6, 0
	s_cselect_b32 s3, s5, s3
	s_cselect_b32 s2, s4, s2
	v_cmp_eq_u64_e32 vcc, s[2:3], v[0:1]
	s_and_saveexec_b64 s[2:3], vcc
	s_cbranch_execz .LBB752_137
; %bb.104:
	v_mul_hi_u32_u24_e32 v1, 10, v0
	v_mov_b32_e32 v12, s1
	v_sub_co_u32_e32 v0, vcc, s0, v31
	v_subb_co_u32_e32 v1, vcc, v12, v1, vcc
	v_cmp_lt_i64_e32 vcc, 4, v[0:1]
	s_and_saveexec_b64 s[0:1], vcc
	s_xor_b64 s[0:1], exec, s[0:1]
	s_cbranch_execz .LBB752_122
; %bb.105:
	v_cmp_lt_i64_e32 vcc, 6, v[0:1]
	s_and_saveexec_b64 s[2:3], vcc
	s_xor_b64 s[2:3], exec, s[2:3]
	s_cbranch_execz .LBB752_115
; %bb.106:
	;; [unrolled: 5-line block ×4, first 2 shown]
	v_mov_b32_e32 v0, 0
	s_waitcnt lgkmcnt(0)
	global_store_dword v0, v11, s[10:11]
                                        ; implicit-def: $vgpr10_vgpr11
.LBB752_109:
	s_andn2_saveexec_b64 s[6:7], s[6:7]
	s_cbranch_execz .LBB752_111
; %bb.110:
	v_mov_b32_e32 v0, 0
	s_waitcnt lgkmcnt(0)
	global_store_dword v0, v10, s[10:11]
.LBB752_111:
	s_or_b64 exec, exec, s[6:7]
                                        ; implicit-def: $vgpr8_vgpr9
.LBB752_112:
	s_andn2_saveexec_b64 s[4:5], s[4:5]
	s_cbranch_execz .LBB752_114
; %bb.113:
	v_mov_b32_e32 v0, 0
	s_waitcnt lgkmcnt(0)
	global_store_dword v0, v9, s[10:11]
.LBB752_114:
	s_or_b64 exec, exec, s[4:5]
                                        ; implicit-def: $vgpr4_vgpr5
                                        ; implicit-def: $vgpr0_vgpr1
                                        ; implicit-def: $vgpr8_vgpr9
.LBB752_115:
	s_andn2_saveexec_b64 s[2:3], s[2:3]
	s_cbranch_execz .LBB752_121
; %bb.116:
	v_cmp_lt_i64_e32 vcc, 5, v[0:1]
	s_and_saveexec_b64 s[4:5], vcc
	s_xor_b64 s[4:5], exec, s[4:5]
	s_cbranch_execz .LBB752_118
; %bb.117:
	v_mov_b32_e32 v0, 0
	s_waitcnt lgkmcnt(0)
	global_store_dword v0, v8, s[10:11]
                                        ; implicit-def: $vgpr4_vgpr5
.LBB752_118:
	s_andn2_saveexec_b64 s[4:5], s[4:5]
	s_cbranch_execz .LBB752_120
; %bb.119:
	v_mov_b32_e32 v0, 0
	s_waitcnt lgkmcnt(0)
	global_store_dword v0, v5, s[10:11]
.LBB752_120:
	s_or_b64 exec, exec, s[4:5]
.LBB752_121:
	s_or_b64 exec, exec, s[2:3]
                                        ; implicit-def: $vgpr0_vgpr1
                                        ; implicit-def: $vgpr6_vgpr7
                                        ; implicit-def: $vgpr2_vgpr3
                                        ; implicit-def: $vgpr4_vgpr5
.LBB752_122:
	s_andn2_saveexec_b64 s[0:1], s[0:1]
	s_cbranch_execz .LBB752_137
; %bb.123:
	v_cmp_lt_i64_e32 vcc, 2, v[0:1]
	s_and_saveexec_b64 s[0:1], vcc
	s_xor_b64 s[0:1], exec, s[0:1]
	s_cbranch_execz .LBB752_129
; %bb.124:
	v_cmp_lt_i64_e32 vcc, 3, v[0:1]
	s_and_saveexec_b64 s[2:3], vcc
	s_xor_b64 s[2:3], exec, s[2:3]
	s_cbranch_execz .LBB752_126
; %bb.125:
	v_mov_b32_e32 v0, 0
	s_waitcnt lgkmcnt(0)
	global_store_dword v0, v4, s[10:11]
                                        ; implicit-def: $vgpr6_vgpr7
.LBB752_126:
	s_andn2_saveexec_b64 s[2:3], s[2:3]
	s_cbranch_execz .LBB752_128
; %bb.127:
	v_mov_b32_e32 v0, 0
	s_waitcnt lgkmcnt(0)
	global_store_dword v0, v7, s[10:11]
.LBB752_128:
	s_or_b64 exec, exec, s[2:3]
                                        ; implicit-def: $vgpr0_vgpr1
                                        ; implicit-def: $vgpr6_vgpr7
                                        ; implicit-def: $vgpr2_vgpr3
.LBB752_129:
	s_andn2_saveexec_b64 s[0:1], s[0:1]
	s_cbranch_execz .LBB752_137
; %bb.130:
	v_cmp_lt_i64_e32 vcc, 1, v[0:1]
	s_and_saveexec_b64 s[0:1], vcc
	s_xor_b64 s[0:1], exec, s[0:1]
	s_cbranch_execz .LBB752_132
; %bb.131:
	v_mov_b32_e32 v0, 0
	s_waitcnt lgkmcnt(0)
	global_store_dword v0, v6, s[10:11]
                                        ; implicit-def: $vgpr2_vgpr3
                                        ; implicit-def: $vgpr0_vgpr1
.LBB752_132:
	s_andn2_saveexec_b64 s[0:1], s[0:1]
	s_cbranch_execz .LBB752_137
; %bb.133:
	v_cmp_ne_u64_e32 vcc, 1, v[0:1]
	s_and_saveexec_b64 s[0:1], vcc
	s_xor_b64 s[0:1], exec, s[0:1]
	s_cbranch_execz .LBB752_135
; %bb.134:
	v_mov_b32_e32 v0, 0
	s_waitcnt lgkmcnt(0)
	global_store_dword v0, v2, s[10:11]
                                        ; implicit-def: $vgpr2_vgpr3
.LBB752_135:
	s_andn2_saveexec_b64 s[0:1], s[0:1]
	s_cbranch_execz .LBB752_137
; %bb.136:
	v_mov_b32_e32 v0, 0
	s_waitcnt lgkmcnt(0)
	global_store_dword v0, v3, s[10:11]
.LBB752_137:
	s_endpgm
	.section	.rodata,"a",@progbits
	.p2align	6, 0x0
	.amdhsa_kernel _ZN7rocprim17ROCPRIM_400000_NS6detail17trampoline_kernelINS0_14default_configENS1_20scan_config_selectorIiEEZZNS1_9scan_implILNS1_25lookback_scan_determinismE0ELb0ELb1ES3_N6thrust23THRUST_200600_302600_NS6detail15normal_iteratorINS9_10device_ptrIiEEEESE_iNS9_4plusIiEEiEEDaPvRmT3_T4_T5_mT6_P12ihipStream_tbENKUlT_T0_E_clISt17integral_constantIbLb1EESU_EEDaSP_SQ_EUlSP_E_NS1_11comp_targetILNS1_3genE4ELNS1_11target_archE910ELNS1_3gpuE8ELNS1_3repE0EEENS1_30default_config_static_selectorELNS0_4arch9wavefront6targetE1EEEvT1_
		.amdhsa_group_segment_fixed_size 5120
		.amdhsa_private_segment_fixed_size 0
		.amdhsa_kernarg_size 96
		.amdhsa_user_sgpr_count 6
		.amdhsa_user_sgpr_private_segment_buffer 1
		.amdhsa_user_sgpr_dispatch_ptr 0
		.amdhsa_user_sgpr_queue_ptr 0
		.amdhsa_user_sgpr_kernarg_segment_ptr 1
		.amdhsa_user_sgpr_dispatch_id 0
		.amdhsa_user_sgpr_flat_scratch_init 0
		.amdhsa_user_sgpr_kernarg_preload_length 0
		.amdhsa_user_sgpr_kernarg_preload_offset 0
		.amdhsa_user_sgpr_private_segment_size 0
		.amdhsa_uses_dynamic_stack 0
		.amdhsa_system_sgpr_private_segment_wavefront_offset 0
		.amdhsa_system_sgpr_workgroup_id_x 1
		.amdhsa_system_sgpr_workgroup_id_y 0
		.amdhsa_system_sgpr_workgroup_id_z 0
		.amdhsa_system_sgpr_workgroup_info 0
		.amdhsa_system_vgpr_workitem_id 0
		.amdhsa_next_free_vgpr 40
		.amdhsa_next_free_sgpr 38
		.amdhsa_accum_offset 40
		.amdhsa_reserve_vcc 1
		.amdhsa_reserve_flat_scratch 0
		.amdhsa_float_round_mode_32 0
		.amdhsa_float_round_mode_16_64 0
		.amdhsa_float_denorm_mode_32 3
		.amdhsa_float_denorm_mode_16_64 3
		.amdhsa_dx10_clamp 1
		.amdhsa_ieee_mode 1
		.amdhsa_fp16_overflow 0
		.amdhsa_tg_split 0
		.amdhsa_exception_fp_ieee_invalid_op 0
		.amdhsa_exception_fp_denorm_src 0
		.amdhsa_exception_fp_ieee_div_zero 0
		.amdhsa_exception_fp_ieee_overflow 0
		.amdhsa_exception_fp_ieee_underflow 0
		.amdhsa_exception_fp_ieee_inexact 0
		.amdhsa_exception_int_div_zero 0
	.end_amdhsa_kernel
	.section	.text._ZN7rocprim17ROCPRIM_400000_NS6detail17trampoline_kernelINS0_14default_configENS1_20scan_config_selectorIiEEZZNS1_9scan_implILNS1_25lookback_scan_determinismE0ELb0ELb1ES3_N6thrust23THRUST_200600_302600_NS6detail15normal_iteratorINS9_10device_ptrIiEEEESE_iNS9_4plusIiEEiEEDaPvRmT3_T4_T5_mT6_P12ihipStream_tbENKUlT_T0_E_clISt17integral_constantIbLb1EESU_EEDaSP_SQ_EUlSP_E_NS1_11comp_targetILNS1_3genE4ELNS1_11target_archE910ELNS1_3gpuE8ELNS1_3repE0EEENS1_30default_config_static_selectorELNS0_4arch9wavefront6targetE1EEEvT1_,"axG",@progbits,_ZN7rocprim17ROCPRIM_400000_NS6detail17trampoline_kernelINS0_14default_configENS1_20scan_config_selectorIiEEZZNS1_9scan_implILNS1_25lookback_scan_determinismE0ELb0ELb1ES3_N6thrust23THRUST_200600_302600_NS6detail15normal_iteratorINS9_10device_ptrIiEEEESE_iNS9_4plusIiEEiEEDaPvRmT3_T4_T5_mT6_P12ihipStream_tbENKUlT_T0_E_clISt17integral_constantIbLb1EESU_EEDaSP_SQ_EUlSP_E_NS1_11comp_targetILNS1_3genE4ELNS1_11target_archE910ELNS1_3gpuE8ELNS1_3repE0EEENS1_30default_config_static_selectorELNS0_4arch9wavefront6targetE1EEEvT1_,comdat
.Lfunc_end752:
	.size	_ZN7rocprim17ROCPRIM_400000_NS6detail17trampoline_kernelINS0_14default_configENS1_20scan_config_selectorIiEEZZNS1_9scan_implILNS1_25lookback_scan_determinismE0ELb0ELb1ES3_N6thrust23THRUST_200600_302600_NS6detail15normal_iteratorINS9_10device_ptrIiEEEESE_iNS9_4plusIiEEiEEDaPvRmT3_T4_T5_mT6_P12ihipStream_tbENKUlT_T0_E_clISt17integral_constantIbLb1EESU_EEDaSP_SQ_EUlSP_E_NS1_11comp_targetILNS1_3genE4ELNS1_11target_archE910ELNS1_3gpuE8ELNS1_3repE0EEENS1_30default_config_static_selectorELNS0_4arch9wavefront6targetE1EEEvT1_, .Lfunc_end752-_ZN7rocprim17ROCPRIM_400000_NS6detail17trampoline_kernelINS0_14default_configENS1_20scan_config_selectorIiEEZZNS1_9scan_implILNS1_25lookback_scan_determinismE0ELb0ELb1ES3_N6thrust23THRUST_200600_302600_NS6detail15normal_iteratorINS9_10device_ptrIiEEEESE_iNS9_4plusIiEEiEEDaPvRmT3_T4_T5_mT6_P12ihipStream_tbENKUlT_T0_E_clISt17integral_constantIbLb1EESU_EEDaSP_SQ_EUlSP_E_NS1_11comp_targetILNS1_3genE4ELNS1_11target_archE910ELNS1_3gpuE8ELNS1_3repE0EEENS1_30default_config_static_selectorELNS0_4arch9wavefront6targetE1EEEvT1_
                                        ; -- End function
	.section	.AMDGPU.csdata,"",@progbits
; Kernel info:
; codeLenInByte = 5180
; NumSgprs: 42
; NumVgprs: 40
; NumAgprs: 0
; TotalNumVgprs: 40
; ScratchSize: 0
; MemoryBound: 0
; FloatMode: 240
; IeeeMode: 1
; LDSByteSize: 5120 bytes/workgroup (compile time only)
; SGPRBlocks: 5
; VGPRBlocks: 4
; NumSGPRsForWavesPerEU: 42
; NumVGPRsForWavesPerEU: 40
; AccumOffset: 40
; Occupancy: 6
; WaveLimiterHint : 1
; COMPUTE_PGM_RSRC2:SCRATCH_EN: 0
; COMPUTE_PGM_RSRC2:USER_SGPR: 6
; COMPUTE_PGM_RSRC2:TRAP_HANDLER: 0
; COMPUTE_PGM_RSRC2:TGID_X_EN: 1
; COMPUTE_PGM_RSRC2:TGID_Y_EN: 0
; COMPUTE_PGM_RSRC2:TGID_Z_EN: 0
; COMPUTE_PGM_RSRC2:TIDIG_COMP_CNT: 0
; COMPUTE_PGM_RSRC3_GFX90A:ACCUM_OFFSET: 9
; COMPUTE_PGM_RSRC3_GFX90A:TG_SPLIT: 0
	.section	.text._ZN7rocprim17ROCPRIM_400000_NS6detail17trampoline_kernelINS0_14default_configENS1_20scan_config_selectorIiEEZZNS1_9scan_implILNS1_25lookback_scan_determinismE0ELb0ELb1ES3_N6thrust23THRUST_200600_302600_NS6detail15normal_iteratorINS9_10device_ptrIiEEEESE_iNS9_4plusIiEEiEEDaPvRmT3_T4_T5_mT6_P12ihipStream_tbENKUlT_T0_E_clISt17integral_constantIbLb1EESU_EEDaSP_SQ_EUlSP_E_NS1_11comp_targetILNS1_3genE3ELNS1_11target_archE908ELNS1_3gpuE7ELNS1_3repE0EEENS1_30default_config_static_selectorELNS0_4arch9wavefront6targetE1EEEvT1_,"axG",@progbits,_ZN7rocprim17ROCPRIM_400000_NS6detail17trampoline_kernelINS0_14default_configENS1_20scan_config_selectorIiEEZZNS1_9scan_implILNS1_25lookback_scan_determinismE0ELb0ELb1ES3_N6thrust23THRUST_200600_302600_NS6detail15normal_iteratorINS9_10device_ptrIiEEEESE_iNS9_4plusIiEEiEEDaPvRmT3_T4_T5_mT6_P12ihipStream_tbENKUlT_T0_E_clISt17integral_constantIbLb1EESU_EEDaSP_SQ_EUlSP_E_NS1_11comp_targetILNS1_3genE3ELNS1_11target_archE908ELNS1_3gpuE7ELNS1_3repE0EEENS1_30default_config_static_selectorELNS0_4arch9wavefront6targetE1EEEvT1_,comdat
	.protected	_ZN7rocprim17ROCPRIM_400000_NS6detail17trampoline_kernelINS0_14default_configENS1_20scan_config_selectorIiEEZZNS1_9scan_implILNS1_25lookback_scan_determinismE0ELb0ELb1ES3_N6thrust23THRUST_200600_302600_NS6detail15normal_iteratorINS9_10device_ptrIiEEEESE_iNS9_4plusIiEEiEEDaPvRmT3_T4_T5_mT6_P12ihipStream_tbENKUlT_T0_E_clISt17integral_constantIbLb1EESU_EEDaSP_SQ_EUlSP_E_NS1_11comp_targetILNS1_3genE3ELNS1_11target_archE908ELNS1_3gpuE7ELNS1_3repE0EEENS1_30default_config_static_selectorELNS0_4arch9wavefront6targetE1EEEvT1_ ; -- Begin function _ZN7rocprim17ROCPRIM_400000_NS6detail17trampoline_kernelINS0_14default_configENS1_20scan_config_selectorIiEEZZNS1_9scan_implILNS1_25lookback_scan_determinismE0ELb0ELb1ES3_N6thrust23THRUST_200600_302600_NS6detail15normal_iteratorINS9_10device_ptrIiEEEESE_iNS9_4plusIiEEiEEDaPvRmT3_T4_T5_mT6_P12ihipStream_tbENKUlT_T0_E_clISt17integral_constantIbLb1EESU_EEDaSP_SQ_EUlSP_E_NS1_11comp_targetILNS1_3genE3ELNS1_11target_archE908ELNS1_3gpuE7ELNS1_3repE0EEENS1_30default_config_static_selectorELNS0_4arch9wavefront6targetE1EEEvT1_
	.globl	_ZN7rocprim17ROCPRIM_400000_NS6detail17trampoline_kernelINS0_14default_configENS1_20scan_config_selectorIiEEZZNS1_9scan_implILNS1_25lookback_scan_determinismE0ELb0ELb1ES3_N6thrust23THRUST_200600_302600_NS6detail15normal_iteratorINS9_10device_ptrIiEEEESE_iNS9_4plusIiEEiEEDaPvRmT3_T4_T5_mT6_P12ihipStream_tbENKUlT_T0_E_clISt17integral_constantIbLb1EESU_EEDaSP_SQ_EUlSP_E_NS1_11comp_targetILNS1_3genE3ELNS1_11target_archE908ELNS1_3gpuE7ELNS1_3repE0EEENS1_30default_config_static_selectorELNS0_4arch9wavefront6targetE1EEEvT1_
	.p2align	8
	.type	_ZN7rocprim17ROCPRIM_400000_NS6detail17trampoline_kernelINS0_14default_configENS1_20scan_config_selectorIiEEZZNS1_9scan_implILNS1_25lookback_scan_determinismE0ELb0ELb1ES3_N6thrust23THRUST_200600_302600_NS6detail15normal_iteratorINS9_10device_ptrIiEEEESE_iNS9_4plusIiEEiEEDaPvRmT3_T4_T5_mT6_P12ihipStream_tbENKUlT_T0_E_clISt17integral_constantIbLb1EESU_EEDaSP_SQ_EUlSP_E_NS1_11comp_targetILNS1_3genE3ELNS1_11target_archE908ELNS1_3gpuE7ELNS1_3repE0EEENS1_30default_config_static_selectorELNS0_4arch9wavefront6targetE1EEEvT1_,@function
_ZN7rocprim17ROCPRIM_400000_NS6detail17trampoline_kernelINS0_14default_configENS1_20scan_config_selectorIiEEZZNS1_9scan_implILNS1_25lookback_scan_determinismE0ELb0ELb1ES3_N6thrust23THRUST_200600_302600_NS6detail15normal_iteratorINS9_10device_ptrIiEEEESE_iNS9_4plusIiEEiEEDaPvRmT3_T4_T5_mT6_P12ihipStream_tbENKUlT_T0_E_clISt17integral_constantIbLb1EESU_EEDaSP_SQ_EUlSP_E_NS1_11comp_targetILNS1_3genE3ELNS1_11target_archE908ELNS1_3gpuE7ELNS1_3repE0EEENS1_30default_config_static_selectorELNS0_4arch9wavefront6targetE1EEEvT1_: ; @_ZN7rocprim17ROCPRIM_400000_NS6detail17trampoline_kernelINS0_14default_configENS1_20scan_config_selectorIiEEZZNS1_9scan_implILNS1_25lookback_scan_determinismE0ELb0ELb1ES3_N6thrust23THRUST_200600_302600_NS6detail15normal_iteratorINS9_10device_ptrIiEEEESE_iNS9_4plusIiEEiEEDaPvRmT3_T4_T5_mT6_P12ihipStream_tbENKUlT_T0_E_clISt17integral_constantIbLb1EESU_EEDaSP_SQ_EUlSP_E_NS1_11comp_targetILNS1_3genE3ELNS1_11target_archE908ELNS1_3gpuE7ELNS1_3repE0EEENS1_30default_config_static_selectorELNS0_4arch9wavefront6targetE1EEEvT1_
; %bb.0:
	.section	.rodata,"a",@progbits
	.p2align	6, 0x0
	.amdhsa_kernel _ZN7rocprim17ROCPRIM_400000_NS6detail17trampoline_kernelINS0_14default_configENS1_20scan_config_selectorIiEEZZNS1_9scan_implILNS1_25lookback_scan_determinismE0ELb0ELb1ES3_N6thrust23THRUST_200600_302600_NS6detail15normal_iteratorINS9_10device_ptrIiEEEESE_iNS9_4plusIiEEiEEDaPvRmT3_T4_T5_mT6_P12ihipStream_tbENKUlT_T0_E_clISt17integral_constantIbLb1EESU_EEDaSP_SQ_EUlSP_E_NS1_11comp_targetILNS1_3genE3ELNS1_11target_archE908ELNS1_3gpuE7ELNS1_3repE0EEENS1_30default_config_static_selectorELNS0_4arch9wavefront6targetE1EEEvT1_
		.amdhsa_group_segment_fixed_size 0
		.amdhsa_private_segment_fixed_size 0
		.amdhsa_kernarg_size 96
		.amdhsa_user_sgpr_count 6
		.amdhsa_user_sgpr_private_segment_buffer 1
		.amdhsa_user_sgpr_dispatch_ptr 0
		.amdhsa_user_sgpr_queue_ptr 0
		.amdhsa_user_sgpr_kernarg_segment_ptr 1
		.amdhsa_user_sgpr_dispatch_id 0
		.amdhsa_user_sgpr_flat_scratch_init 0
		.amdhsa_user_sgpr_kernarg_preload_length 0
		.amdhsa_user_sgpr_kernarg_preload_offset 0
		.amdhsa_user_sgpr_private_segment_size 0
		.amdhsa_uses_dynamic_stack 0
		.amdhsa_system_sgpr_private_segment_wavefront_offset 0
		.amdhsa_system_sgpr_workgroup_id_x 1
		.amdhsa_system_sgpr_workgroup_id_y 0
		.amdhsa_system_sgpr_workgroup_id_z 0
		.amdhsa_system_sgpr_workgroup_info 0
		.amdhsa_system_vgpr_workitem_id 0
		.amdhsa_next_free_vgpr 1
		.amdhsa_next_free_sgpr 0
		.amdhsa_accum_offset 4
		.amdhsa_reserve_vcc 0
		.amdhsa_reserve_flat_scratch 0
		.amdhsa_float_round_mode_32 0
		.amdhsa_float_round_mode_16_64 0
		.amdhsa_float_denorm_mode_32 3
		.amdhsa_float_denorm_mode_16_64 3
		.amdhsa_dx10_clamp 1
		.amdhsa_ieee_mode 1
		.amdhsa_fp16_overflow 0
		.amdhsa_tg_split 0
		.amdhsa_exception_fp_ieee_invalid_op 0
		.amdhsa_exception_fp_denorm_src 0
		.amdhsa_exception_fp_ieee_div_zero 0
		.amdhsa_exception_fp_ieee_overflow 0
		.amdhsa_exception_fp_ieee_underflow 0
		.amdhsa_exception_fp_ieee_inexact 0
		.amdhsa_exception_int_div_zero 0
	.end_amdhsa_kernel
	.section	.text._ZN7rocprim17ROCPRIM_400000_NS6detail17trampoline_kernelINS0_14default_configENS1_20scan_config_selectorIiEEZZNS1_9scan_implILNS1_25lookback_scan_determinismE0ELb0ELb1ES3_N6thrust23THRUST_200600_302600_NS6detail15normal_iteratorINS9_10device_ptrIiEEEESE_iNS9_4plusIiEEiEEDaPvRmT3_T4_T5_mT6_P12ihipStream_tbENKUlT_T0_E_clISt17integral_constantIbLb1EESU_EEDaSP_SQ_EUlSP_E_NS1_11comp_targetILNS1_3genE3ELNS1_11target_archE908ELNS1_3gpuE7ELNS1_3repE0EEENS1_30default_config_static_selectorELNS0_4arch9wavefront6targetE1EEEvT1_,"axG",@progbits,_ZN7rocprim17ROCPRIM_400000_NS6detail17trampoline_kernelINS0_14default_configENS1_20scan_config_selectorIiEEZZNS1_9scan_implILNS1_25lookback_scan_determinismE0ELb0ELb1ES3_N6thrust23THRUST_200600_302600_NS6detail15normal_iteratorINS9_10device_ptrIiEEEESE_iNS9_4plusIiEEiEEDaPvRmT3_T4_T5_mT6_P12ihipStream_tbENKUlT_T0_E_clISt17integral_constantIbLb1EESU_EEDaSP_SQ_EUlSP_E_NS1_11comp_targetILNS1_3genE3ELNS1_11target_archE908ELNS1_3gpuE7ELNS1_3repE0EEENS1_30default_config_static_selectorELNS0_4arch9wavefront6targetE1EEEvT1_,comdat
.Lfunc_end753:
	.size	_ZN7rocprim17ROCPRIM_400000_NS6detail17trampoline_kernelINS0_14default_configENS1_20scan_config_selectorIiEEZZNS1_9scan_implILNS1_25lookback_scan_determinismE0ELb0ELb1ES3_N6thrust23THRUST_200600_302600_NS6detail15normal_iteratorINS9_10device_ptrIiEEEESE_iNS9_4plusIiEEiEEDaPvRmT3_T4_T5_mT6_P12ihipStream_tbENKUlT_T0_E_clISt17integral_constantIbLb1EESU_EEDaSP_SQ_EUlSP_E_NS1_11comp_targetILNS1_3genE3ELNS1_11target_archE908ELNS1_3gpuE7ELNS1_3repE0EEENS1_30default_config_static_selectorELNS0_4arch9wavefront6targetE1EEEvT1_, .Lfunc_end753-_ZN7rocprim17ROCPRIM_400000_NS6detail17trampoline_kernelINS0_14default_configENS1_20scan_config_selectorIiEEZZNS1_9scan_implILNS1_25lookback_scan_determinismE0ELb0ELb1ES3_N6thrust23THRUST_200600_302600_NS6detail15normal_iteratorINS9_10device_ptrIiEEEESE_iNS9_4plusIiEEiEEDaPvRmT3_T4_T5_mT6_P12ihipStream_tbENKUlT_T0_E_clISt17integral_constantIbLb1EESU_EEDaSP_SQ_EUlSP_E_NS1_11comp_targetILNS1_3genE3ELNS1_11target_archE908ELNS1_3gpuE7ELNS1_3repE0EEENS1_30default_config_static_selectorELNS0_4arch9wavefront6targetE1EEEvT1_
                                        ; -- End function
	.section	.AMDGPU.csdata,"",@progbits
; Kernel info:
; codeLenInByte = 0
; NumSgprs: 4
; NumVgprs: 0
; NumAgprs: 0
; TotalNumVgprs: 0
; ScratchSize: 0
; MemoryBound: 0
; FloatMode: 240
; IeeeMode: 1
; LDSByteSize: 0 bytes/workgroup (compile time only)
; SGPRBlocks: 0
; VGPRBlocks: 0
; NumSGPRsForWavesPerEU: 4
; NumVGPRsForWavesPerEU: 1
; AccumOffset: 4
; Occupancy: 8
; WaveLimiterHint : 0
; COMPUTE_PGM_RSRC2:SCRATCH_EN: 0
; COMPUTE_PGM_RSRC2:USER_SGPR: 6
; COMPUTE_PGM_RSRC2:TRAP_HANDLER: 0
; COMPUTE_PGM_RSRC2:TGID_X_EN: 1
; COMPUTE_PGM_RSRC2:TGID_Y_EN: 0
; COMPUTE_PGM_RSRC2:TGID_Z_EN: 0
; COMPUTE_PGM_RSRC2:TIDIG_COMP_CNT: 0
; COMPUTE_PGM_RSRC3_GFX90A:ACCUM_OFFSET: 0
; COMPUTE_PGM_RSRC3_GFX90A:TG_SPLIT: 0
	.section	.text._ZN7rocprim17ROCPRIM_400000_NS6detail17trampoline_kernelINS0_14default_configENS1_20scan_config_selectorIiEEZZNS1_9scan_implILNS1_25lookback_scan_determinismE0ELb0ELb1ES3_N6thrust23THRUST_200600_302600_NS6detail15normal_iteratorINS9_10device_ptrIiEEEESE_iNS9_4plusIiEEiEEDaPvRmT3_T4_T5_mT6_P12ihipStream_tbENKUlT_T0_E_clISt17integral_constantIbLb1EESU_EEDaSP_SQ_EUlSP_E_NS1_11comp_targetILNS1_3genE2ELNS1_11target_archE906ELNS1_3gpuE6ELNS1_3repE0EEENS1_30default_config_static_selectorELNS0_4arch9wavefront6targetE1EEEvT1_,"axG",@progbits,_ZN7rocprim17ROCPRIM_400000_NS6detail17trampoline_kernelINS0_14default_configENS1_20scan_config_selectorIiEEZZNS1_9scan_implILNS1_25lookback_scan_determinismE0ELb0ELb1ES3_N6thrust23THRUST_200600_302600_NS6detail15normal_iteratorINS9_10device_ptrIiEEEESE_iNS9_4plusIiEEiEEDaPvRmT3_T4_T5_mT6_P12ihipStream_tbENKUlT_T0_E_clISt17integral_constantIbLb1EESU_EEDaSP_SQ_EUlSP_E_NS1_11comp_targetILNS1_3genE2ELNS1_11target_archE906ELNS1_3gpuE6ELNS1_3repE0EEENS1_30default_config_static_selectorELNS0_4arch9wavefront6targetE1EEEvT1_,comdat
	.protected	_ZN7rocprim17ROCPRIM_400000_NS6detail17trampoline_kernelINS0_14default_configENS1_20scan_config_selectorIiEEZZNS1_9scan_implILNS1_25lookback_scan_determinismE0ELb0ELb1ES3_N6thrust23THRUST_200600_302600_NS6detail15normal_iteratorINS9_10device_ptrIiEEEESE_iNS9_4plusIiEEiEEDaPvRmT3_T4_T5_mT6_P12ihipStream_tbENKUlT_T0_E_clISt17integral_constantIbLb1EESU_EEDaSP_SQ_EUlSP_E_NS1_11comp_targetILNS1_3genE2ELNS1_11target_archE906ELNS1_3gpuE6ELNS1_3repE0EEENS1_30default_config_static_selectorELNS0_4arch9wavefront6targetE1EEEvT1_ ; -- Begin function _ZN7rocprim17ROCPRIM_400000_NS6detail17trampoline_kernelINS0_14default_configENS1_20scan_config_selectorIiEEZZNS1_9scan_implILNS1_25lookback_scan_determinismE0ELb0ELb1ES3_N6thrust23THRUST_200600_302600_NS6detail15normal_iteratorINS9_10device_ptrIiEEEESE_iNS9_4plusIiEEiEEDaPvRmT3_T4_T5_mT6_P12ihipStream_tbENKUlT_T0_E_clISt17integral_constantIbLb1EESU_EEDaSP_SQ_EUlSP_E_NS1_11comp_targetILNS1_3genE2ELNS1_11target_archE906ELNS1_3gpuE6ELNS1_3repE0EEENS1_30default_config_static_selectorELNS0_4arch9wavefront6targetE1EEEvT1_
	.globl	_ZN7rocprim17ROCPRIM_400000_NS6detail17trampoline_kernelINS0_14default_configENS1_20scan_config_selectorIiEEZZNS1_9scan_implILNS1_25lookback_scan_determinismE0ELb0ELb1ES3_N6thrust23THRUST_200600_302600_NS6detail15normal_iteratorINS9_10device_ptrIiEEEESE_iNS9_4plusIiEEiEEDaPvRmT3_T4_T5_mT6_P12ihipStream_tbENKUlT_T0_E_clISt17integral_constantIbLb1EESU_EEDaSP_SQ_EUlSP_E_NS1_11comp_targetILNS1_3genE2ELNS1_11target_archE906ELNS1_3gpuE6ELNS1_3repE0EEENS1_30default_config_static_selectorELNS0_4arch9wavefront6targetE1EEEvT1_
	.p2align	8
	.type	_ZN7rocprim17ROCPRIM_400000_NS6detail17trampoline_kernelINS0_14default_configENS1_20scan_config_selectorIiEEZZNS1_9scan_implILNS1_25lookback_scan_determinismE0ELb0ELb1ES3_N6thrust23THRUST_200600_302600_NS6detail15normal_iteratorINS9_10device_ptrIiEEEESE_iNS9_4plusIiEEiEEDaPvRmT3_T4_T5_mT6_P12ihipStream_tbENKUlT_T0_E_clISt17integral_constantIbLb1EESU_EEDaSP_SQ_EUlSP_E_NS1_11comp_targetILNS1_3genE2ELNS1_11target_archE906ELNS1_3gpuE6ELNS1_3repE0EEENS1_30default_config_static_selectorELNS0_4arch9wavefront6targetE1EEEvT1_,@function
_ZN7rocprim17ROCPRIM_400000_NS6detail17trampoline_kernelINS0_14default_configENS1_20scan_config_selectorIiEEZZNS1_9scan_implILNS1_25lookback_scan_determinismE0ELb0ELb1ES3_N6thrust23THRUST_200600_302600_NS6detail15normal_iteratorINS9_10device_ptrIiEEEESE_iNS9_4plusIiEEiEEDaPvRmT3_T4_T5_mT6_P12ihipStream_tbENKUlT_T0_E_clISt17integral_constantIbLb1EESU_EEDaSP_SQ_EUlSP_E_NS1_11comp_targetILNS1_3genE2ELNS1_11target_archE906ELNS1_3gpuE6ELNS1_3repE0EEENS1_30default_config_static_selectorELNS0_4arch9wavefront6targetE1EEEvT1_: ; @_ZN7rocprim17ROCPRIM_400000_NS6detail17trampoline_kernelINS0_14default_configENS1_20scan_config_selectorIiEEZZNS1_9scan_implILNS1_25lookback_scan_determinismE0ELb0ELb1ES3_N6thrust23THRUST_200600_302600_NS6detail15normal_iteratorINS9_10device_ptrIiEEEESE_iNS9_4plusIiEEiEEDaPvRmT3_T4_T5_mT6_P12ihipStream_tbENKUlT_T0_E_clISt17integral_constantIbLb1EESU_EEDaSP_SQ_EUlSP_E_NS1_11comp_targetILNS1_3genE2ELNS1_11target_archE906ELNS1_3gpuE6ELNS1_3repE0EEENS1_30default_config_static_selectorELNS0_4arch9wavefront6targetE1EEEvT1_
; %bb.0:
	.section	.rodata,"a",@progbits
	.p2align	6, 0x0
	.amdhsa_kernel _ZN7rocprim17ROCPRIM_400000_NS6detail17trampoline_kernelINS0_14default_configENS1_20scan_config_selectorIiEEZZNS1_9scan_implILNS1_25lookback_scan_determinismE0ELb0ELb1ES3_N6thrust23THRUST_200600_302600_NS6detail15normal_iteratorINS9_10device_ptrIiEEEESE_iNS9_4plusIiEEiEEDaPvRmT3_T4_T5_mT6_P12ihipStream_tbENKUlT_T0_E_clISt17integral_constantIbLb1EESU_EEDaSP_SQ_EUlSP_E_NS1_11comp_targetILNS1_3genE2ELNS1_11target_archE906ELNS1_3gpuE6ELNS1_3repE0EEENS1_30default_config_static_selectorELNS0_4arch9wavefront6targetE1EEEvT1_
		.amdhsa_group_segment_fixed_size 0
		.amdhsa_private_segment_fixed_size 0
		.amdhsa_kernarg_size 96
		.amdhsa_user_sgpr_count 6
		.amdhsa_user_sgpr_private_segment_buffer 1
		.amdhsa_user_sgpr_dispatch_ptr 0
		.amdhsa_user_sgpr_queue_ptr 0
		.amdhsa_user_sgpr_kernarg_segment_ptr 1
		.amdhsa_user_sgpr_dispatch_id 0
		.amdhsa_user_sgpr_flat_scratch_init 0
		.amdhsa_user_sgpr_kernarg_preload_length 0
		.amdhsa_user_sgpr_kernarg_preload_offset 0
		.amdhsa_user_sgpr_private_segment_size 0
		.amdhsa_uses_dynamic_stack 0
		.amdhsa_system_sgpr_private_segment_wavefront_offset 0
		.amdhsa_system_sgpr_workgroup_id_x 1
		.amdhsa_system_sgpr_workgroup_id_y 0
		.amdhsa_system_sgpr_workgroup_id_z 0
		.amdhsa_system_sgpr_workgroup_info 0
		.amdhsa_system_vgpr_workitem_id 0
		.amdhsa_next_free_vgpr 1
		.amdhsa_next_free_sgpr 0
		.amdhsa_accum_offset 4
		.amdhsa_reserve_vcc 0
		.amdhsa_reserve_flat_scratch 0
		.amdhsa_float_round_mode_32 0
		.amdhsa_float_round_mode_16_64 0
		.amdhsa_float_denorm_mode_32 3
		.amdhsa_float_denorm_mode_16_64 3
		.amdhsa_dx10_clamp 1
		.amdhsa_ieee_mode 1
		.amdhsa_fp16_overflow 0
		.amdhsa_tg_split 0
		.amdhsa_exception_fp_ieee_invalid_op 0
		.amdhsa_exception_fp_denorm_src 0
		.amdhsa_exception_fp_ieee_div_zero 0
		.amdhsa_exception_fp_ieee_overflow 0
		.amdhsa_exception_fp_ieee_underflow 0
		.amdhsa_exception_fp_ieee_inexact 0
		.amdhsa_exception_int_div_zero 0
	.end_amdhsa_kernel
	.section	.text._ZN7rocprim17ROCPRIM_400000_NS6detail17trampoline_kernelINS0_14default_configENS1_20scan_config_selectorIiEEZZNS1_9scan_implILNS1_25lookback_scan_determinismE0ELb0ELb1ES3_N6thrust23THRUST_200600_302600_NS6detail15normal_iteratorINS9_10device_ptrIiEEEESE_iNS9_4plusIiEEiEEDaPvRmT3_T4_T5_mT6_P12ihipStream_tbENKUlT_T0_E_clISt17integral_constantIbLb1EESU_EEDaSP_SQ_EUlSP_E_NS1_11comp_targetILNS1_3genE2ELNS1_11target_archE906ELNS1_3gpuE6ELNS1_3repE0EEENS1_30default_config_static_selectorELNS0_4arch9wavefront6targetE1EEEvT1_,"axG",@progbits,_ZN7rocprim17ROCPRIM_400000_NS6detail17trampoline_kernelINS0_14default_configENS1_20scan_config_selectorIiEEZZNS1_9scan_implILNS1_25lookback_scan_determinismE0ELb0ELb1ES3_N6thrust23THRUST_200600_302600_NS6detail15normal_iteratorINS9_10device_ptrIiEEEESE_iNS9_4plusIiEEiEEDaPvRmT3_T4_T5_mT6_P12ihipStream_tbENKUlT_T0_E_clISt17integral_constantIbLb1EESU_EEDaSP_SQ_EUlSP_E_NS1_11comp_targetILNS1_3genE2ELNS1_11target_archE906ELNS1_3gpuE6ELNS1_3repE0EEENS1_30default_config_static_selectorELNS0_4arch9wavefront6targetE1EEEvT1_,comdat
.Lfunc_end754:
	.size	_ZN7rocprim17ROCPRIM_400000_NS6detail17trampoline_kernelINS0_14default_configENS1_20scan_config_selectorIiEEZZNS1_9scan_implILNS1_25lookback_scan_determinismE0ELb0ELb1ES3_N6thrust23THRUST_200600_302600_NS6detail15normal_iteratorINS9_10device_ptrIiEEEESE_iNS9_4plusIiEEiEEDaPvRmT3_T4_T5_mT6_P12ihipStream_tbENKUlT_T0_E_clISt17integral_constantIbLb1EESU_EEDaSP_SQ_EUlSP_E_NS1_11comp_targetILNS1_3genE2ELNS1_11target_archE906ELNS1_3gpuE6ELNS1_3repE0EEENS1_30default_config_static_selectorELNS0_4arch9wavefront6targetE1EEEvT1_, .Lfunc_end754-_ZN7rocprim17ROCPRIM_400000_NS6detail17trampoline_kernelINS0_14default_configENS1_20scan_config_selectorIiEEZZNS1_9scan_implILNS1_25lookback_scan_determinismE0ELb0ELb1ES3_N6thrust23THRUST_200600_302600_NS6detail15normal_iteratorINS9_10device_ptrIiEEEESE_iNS9_4plusIiEEiEEDaPvRmT3_T4_T5_mT6_P12ihipStream_tbENKUlT_T0_E_clISt17integral_constantIbLb1EESU_EEDaSP_SQ_EUlSP_E_NS1_11comp_targetILNS1_3genE2ELNS1_11target_archE906ELNS1_3gpuE6ELNS1_3repE0EEENS1_30default_config_static_selectorELNS0_4arch9wavefront6targetE1EEEvT1_
                                        ; -- End function
	.section	.AMDGPU.csdata,"",@progbits
; Kernel info:
; codeLenInByte = 0
; NumSgprs: 4
; NumVgprs: 0
; NumAgprs: 0
; TotalNumVgprs: 0
; ScratchSize: 0
; MemoryBound: 0
; FloatMode: 240
; IeeeMode: 1
; LDSByteSize: 0 bytes/workgroup (compile time only)
; SGPRBlocks: 0
; VGPRBlocks: 0
; NumSGPRsForWavesPerEU: 4
; NumVGPRsForWavesPerEU: 1
; AccumOffset: 4
; Occupancy: 8
; WaveLimiterHint : 0
; COMPUTE_PGM_RSRC2:SCRATCH_EN: 0
; COMPUTE_PGM_RSRC2:USER_SGPR: 6
; COMPUTE_PGM_RSRC2:TRAP_HANDLER: 0
; COMPUTE_PGM_RSRC2:TGID_X_EN: 1
; COMPUTE_PGM_RSRC2:TGID_Y_EN: 0
; COMPUTE_PGM_RSRC2:TGID_Z_EN: 0
; COMPUTE_PGM_RSRC2:TIDIG_COMP_CNT: 0
; COMPUTE_PGM_RSRC3_GFX90A:ACCUM_OFFSET: 0
; COMPUTE_PGM_RSRC3_GFX90A:TG_SPLIT: 0
	.section	.text._ZN7rocprim17ROCPRIM_400000_NS6detail17trampoline_kernelINS0_14default_configENS1_20scan_config_selectorIiEEZZNS1_9scan_implILNS1_25lookback_scan_determinismE0ELb0ELb1ES3_N6thrust23THRUST_200600_302600_NS6detail15normal_iteratorINS9_10device_ptrIiEEEESE_iNS9_4plusIiEEiEEDaPvRmT3_T4_T5_mT6_P12ihipStream_tbENKUlT_T0_E_clISt17integral_constantIbLb1EESU_EEDaSP_SQ_EUlSP_E_NS1_11comp_targetILNS1_3genE10ELNS1_11target_archE1201ELNS1_3gpuE5ELNS1_3repE0EEENS1_30default_config_static_selectorELNS0_4arch9wavefront6targetE1EEEvT1_,"axG",@progbits,_ZN7rocprim17ROCPRIM_400000_NS6detail17trampoline_kernelINS0_14default_configENS1_20scan_config_selectorIiEEZZNS1_9scan_implILNS1_25lookback_scan_determinismE0ELb0ELb1ES3_N6thrust23THRUST_200600_302600_NS6detail15normal_iteratorINS9_10device_ptrIiEEEESE_iNS9_4plusIiEEiEEDaPvRmT3_T4_T5_mT6_P12ihipStream_tbENKUlT_T0_E_clISt17integral_constantIbLb1EESU_EEDaSP_SQ_EUlSP_E_NS1_11comp_targetILNS1_3genE10ELNS1_11target_archE1201ELNS1_3gpuE5ELNS1_3repE0EEENS1_30default_config_static_selectorELNS0_4arch9wavefront6targetE1EEEvT1_,comdat
	.protected	_ZN7rocprim17ROCPRIM_400000_NS6detail17trampoline_kernelINS0_14default_configENS1_20scan_config_selectorIiEEZZNS1_9scan_implILNS1_25lookback_scan_determinismE0ELb0ELb1ES3_N6thrust23THRUST_200600_302600_NS6detail15normal_iteratorINS9_10device_ptrIiEEEESE_iNS9_4plusIiEEiEEDaPvRmT3_T4_T5_mT6_P12ihipStream_tbENKUlT_T0_E_clISt17integral_constantIbLb1EESU_EEDaSP_SQ_EUlSP_E_NS1_11comp_targetILNS1_3genE10ELNS1_11target_archE1201ELNS1_3gpuE5ELNS1_3repE0EEENS1_30default_config_static_selectorELNS0_4arch9wavefront6targetE1EEEvT1_ ; -- Begin function _ZN7rocprim17ROCPRIM_400000_NS6detail17trampoline_kernelINS0_14default_configENS1_20scan_config_selectorIiEEZZNS1_9scan_implILNS1_25lookback_scan_determinismE0ELb0ELb1ES3_N6thrust23THRUST_200600_302600_NS6detail15normal_iteratorINS9_10device_ptrIiEEEESE_iNS9_4plusIiEEiEEDaPvRmT3_T4_T5_mT6_P12ihipStream_tbENKUlT_T0_E_clISt17integral_constantIbLb1EESU_EEDaSP_SQ_EUlSP_E_NS1_11comp_targetILNS1_3genE10ELNS1_11target_archE1201ELNS1_3gpuE5ELNS1_3repE0EEENS1_30default_config_static_selectorELNS0_4arch9wavefront6targetE1EEEvT1_
	.globl	_ZN7rocprim17ROCPRIM_400000_NS6detail17trampoline_kernelINS0_14default_configENS1_20scan_config_selectorIiEEZZNS1_9scan_implILNS1_25lookback_scan_determinismE0ELb0ELb1ES3_N6thrust23THRUST_200600_302600_NS6detail15normal_iteratorINS9_10device_ptrIiEEEESE_iNS9_4plusIiEEiEEDaPvRmT3_T4_T5_mT6_P12ihipStream_tbENKUlT_T0_E_clISt17integral_constantIbLb1EESU_EEDaSP_SQ_EUlSP_E_NS1_11comp_targetILNS1_3genE10ELNS1_11target_archE1201ELNS1_3gpuE5ELNS1_3repE0EEENS1_30default_config_static_selectorELNS0_4arch9wavefront6targetE1EEEvT1_
	.p2align	8
	.type	_ZN7rocprim17ROCPRIM_400000_NS6detail17trampoline_kernelINS0_14default_configENS1_20scan_config_selectorIiEEZZNS1_9scan_implILNS1_25lookback_scan_determinismE0ELb0ELb1ES3_N6thrust23THRUST_200600_302600_NS6detail15normal_iteratorINS9_10device_ptrIiEEEESE_iNS9_4plusIiEEiEEDaPvRmT3_T4_T5_mT6_P12ihipStream_tbENKUlT_T0_E_clISt17integral_constantIbLb1EESU_EEDaSP_SQ_EUlSP_E_NS1_11comp_targetILNS1_3genE10ELNS1_11target_archE1201ELNS1_3gpuE5ELNS1_3repE0EEENS1_30default_config_static_selectorELNS0_4arch9wavefront6targetE1EEEvT1_,@function
_ZN7rocprim17ROCPRIM_400000_NS6detail17trampoline_kernelINS0_14default_configENS1_20scan_config_selectorIiEEZZNS1_9scan_implILNS1_25lookback_scan_determinismE0ELb0ELb1ES3_N6thrust23THRUST_200600_302600_NS6detail15normal_iteratorINS9_10device_ptrIiEEEESE_iNS9_4plusIiEEiEEDaPvRmT3_T4_T5_mT6_P12ihipStream_tbENKUlT_T0_E_clISt17integral_constantIbLb1EESU_EEDaSP_SQ_EUlSP_E_NS1_11comp_targetILNS1_3genE10ELNS1_11target_archE1201ELNS1_3gpuE5ELNS1_3repE0EEENS1_30default_config_static_selectorELNS0_4arch9wavefront6targetE1EEEvT1_: ; @_ZN7rocprim17ROCPRIM_400000_NS6detail17trampoline_kernelINS0_14default_configENS1_20scan_config_selectorIiEEZZNS1_9scan_implILNS1_25lookback_scan_determinismE0ELb0ELb1ES3_N6thrust23THRUST_200600_302600_NS6detail15normal_iteratorINS9_10device_ptrIiEEEESE_iNS9_4plusIiEEiEEDaPvRmT3_T4_T5_mT6_P12ihipStream_tbENKUlT_T0_E_clISt17integral_constantIbLb1EESU_EEDaSP_SQ_EUlSP_E_NS1_11comp_targetILNS1_3genE10ELNS1_11target_archE1201ELNS1_3gpuE5ELNS1_3repE0EEENS1_30default_config_static_selectorELNS0_4arch9wavefront6targetE1EEEvT1_
; %bb.0:
	.section	.rodata,"a",@progbits
	.p2align	6, 0x0
	.amdhsa_kernel _ZN7rocprim17ROCPRIM_400000_NS6detail17trampoline_kernelINS0_14default_configENS1_20scan_config_selectorIiEEZZNS1_9scan_implILNS1_25lookback_scan_determinismE0ELb0ELb1ES3_N6thrust23THRUST_200600_302600_NS6detail15normal_iteratorINS9_10device_ptrIiEEEESE_iNS9_4plusIiEEiEEDaPvRmT3_T4_T5_mT6_P12ihipStream_tbENKUlT_T0_E_clISt17integral_constantIbLb1EESU_EEDaSP_SQ_EUlSP_E_NS1_11comp_targetILNS1_3genE10ELNS1_11target_archE1201ELNS1_3gpuE5ELNS1_3repE0EEENS1_30default_config_static_selectorELNS0_4arch9wavefront6targetE1EEEvT1_
		.amdhsa_group_segment_fixed_size 0
		.amdhsa_private_segment_fixed_size 0
		.amdhsa_kernarg_size 96
		.amdhsa_user_sgpr_count 6
		.amdhsa_user_sgpr_private_segment_buffer 1
		.amdhsa_user_sgpr_dispatch_ptr 0
		.amdhsa_user_sgpr_queue_ptr 0
		.amdhsa_user_sgpr_kernarg_segment_ptr 1
		.amdhsa_user_sgpr_dispatch_id 0
		.amdhsa_user_sgpr_flat_scratch_init 0
		.amdhsa_user_sgpr_kernarg_preload_length 0
		.amdhsa_user_sgpr_kernarg_preload_offset 0
		.amdhsa_user_sgpr_private_segment_size 0
		.amdhsa_uses_dynamic_stack 0
		.amdhsa_system_sgpr_private_segment_wavefront_offset 0
		.amdhsa_system_sgpr_workgroup_id_x 1
		.amdhsa_system_sgpr_workgroup_id_y 0
		.amdhsa_system_sgpr_workgroup_id_z 0
		.amdhsa_system_sgpr_workgroup_info 0
		.amdhsa_system_vgpr_workitem_id 0
		.amdhsa_next_free_vgpr 1
		.amdhsa_next_free_sgpr 0
		.amdhsa_accum_offset 4
		.amdhsa_reserve_vcc 0
		.amdhsa_reserve_flat_scratch 0
		.amdhsa_float_round_mode_32 0
		.amdhsa_float_round_mode_16_64 0
		.amdhsa_float_denorm_mode_32 3
		.amdhsa_float_denorm_mode_16_64 3
		.amdhsa_dx10_clamp 1
		.amdhsa_ieee_mode 1
		.amdhsa_fp16_overflow 0
		.amdhsa_tg_split 0
		.amdhsa_exception_fp_ieee_invalid_op 0
		.amdhsa_exception_fp_denorm_src 0
		.amdhsa_exception_fp_ieee_div_zero 0
		.amdhsa_exception_fp_ieee_overflow 0
		.amdhsa_exception_fp_ieee_underflow 0
		.amdhsa_exception_fp_ieee_inexact 0
		.amdhsa_exception_int_div_zero 0
	.end_amdhsa_kernel
	.section	.text._ZN7rocprim17ROCPRIM_400000_NS6detail17trampoline_kernelINS0_14default_configENS1_20scan_config_selectorIiEEZZNS1_9scan_implILNS1_25lookback_scan_determinismE0ELb0ELb1ES3_N6thrust23THRUST_200600_302600_NS6detail15normal_iteratorINS9_10device_ptrIiEEEESE_iNS9_4plusIiEEiEEDaPvRmT3_T4_T5_mT6_P12ihipStream_tbENKUlT_T0_E_clISt17integral_constantIbLb1EESU_EEDaSP_SQ_EUlSP_E_NS1_11comp_targetILNS1_3genE10ELNS1_11target_archE1201ELNS1_3gpuE5ELNS1_3repE0EEENS1_30default_config_static_selectorELNS0_4arch9wavefront6targetE1EEEvT1_,"axG",@progbits,_ZN7rocprim17ROCPRIM_400000_NS6detail17trampoline_kernelINS0_14default_configENS1_20scan_config_selectorIiEEZZNS1_9scan_implILNS1_25lookback_scan_determinismE0ELb0ELb1ES3_N6thrust23THRUST_200600_302600_NS6detail15normal_iteratorINS9_10device_ptrIiEEEESE_iNS9_4plusIiEEiEEDaPvRmT3_T4_T5_mT6_P12ihipStream_tbENKUlT_T0_E_clISt17integral_constantIbLb1EESU_EEDaSP_SQ_EUlSP_E_NS1_11comp_targetILNS1_3genE10ELNS1_11target_archE1201ELNS1_3gpuE5ELNS1_3repE0EEENS1_30default_config_static_selectorELNS0_4arch9wavefront6targetE1EEEvT1_,comdat
.Lfunc_end755:
	.size	_ZN7rocprim17ROCPRIM_400000_NS6detail17trampoline_kernelINS0_14default_configENS1_20scan_config_selectorIiEEZZNS1_9scan_implILNS1_25lookback_scan_determinismE0ELb0ELb1ES3_N6thrust23THRUST_200600_302600_NS6detail15normal_iteratorINS9_10device_ptrIiEEEESE_iNS9_4plusIiEEiEEDaPvRmT3_T4_T5_mT6_P12ihipStream_tbENKUlT_T0_E_clISt17integral_constantIbLb1EESU_EEDaSP_SQ_EUlSP_E_NS1_11comp_targetILNS1_3genE10ELNS1_11target_archE1201ELNS1_3gpuE5ELNS1_3repE0EEENS1_30default_config_static_selectorELNS0_4arch9wavefront6targetE1EEEvT1_, .Lfunc_end755-_ZN7rocprim17ROCPRIM_400000_NS6detail17trampoline_kernelINS0_14default_configENS1_20scan_config_selectorIiEEZZNS1_9scan_implILNS1_25lookback_scan_determinismE0ELb0ELb1ES3_N6thrust23THRUST_200600_302600_NS6detail15normal_iteratorINS9_10device_ptrIiEEEESE_iNS9_4plusIiEEiEEDaPvRmT3_T4_T5_mT6_P12ihipStream_tbENKUlT_T0_E_clISt17integral_constantIbLb1EESU_EEDaSP_SQ_EUlSP_E_NS1_11comp_targetILNS1_3genE10ELNS1_11target_archE1201ELNS1_3gpuE5ELNS1_3repE0EEENS1_30default_config_static_selectorELNS0_4arch9wavefront6targetE1EEEvT1_
                                        ; -- End function
	.section	.AMDGPU.csdata,"",@progbits
; Kernel info:
; codeLenInByte = 0
; NumSgprs: 4
; NumVgprs: 0
; NumAgprs: 0
; TotalNumVgprs: 0
; ScratchSize: 0
; MemoryBound: 0
; FloatMode: 240
; IeeeMode: 1
; LDSByteSize: 0 bytes/workgroup (compile time only)
; SGPRBlocks: 0
; VGPRBlocks: 0
; NumSGPRsForWavesPerEU: 4
; NumVGPRsForWavesPerEU: 1
; AccumOffset: 4
; Occupancy: 8
; WaveLimiterHint : 0
; COMPUTE_PGM_RSRC2:SCRATCH_EN: 0
; COMPUTE_PGM_RSRC2:USER_SGPR: 6
; COMPUTE_PGM_RSRC2:TRAP_HANDLER: 0
; COMPUTE_PGM_RSRC2:TGID_X_EN: 1
; COMPUTE_PGM_RSRC2:TGID_Y_EN: 0
; COMPUTE_PGM_RSRC2:TGID_Z_EN: 0
; COMPUTE_PGM_RSRC2:TIDIG_COMP_CNT: 0
; COMPUTE_PGM_RSRC3_GFX90A:ACCUM_OFFSET: 0
; COMPUTE_PGM_RSRC3_GFX90A:TG_SPLIT: 0
	.section	.text._ZN7rocprim17ROCPRIM_400000_NS6detail17trampoline_kernelINS0_14default_configENS1_20scan_config_selectorIiEEZZNS1_9scan_implILNS1_25lookback_scan_determinismE0ELb0ELb1ES3_N6thrust23THRUST_200600_302600_NS6detail15normal_iteratorINS9_10device_ptrIiEEEESE_iNS9_4plusIiEEiEEDaPvRmT3_T4_T5_mT6_P12ihipStream_tbENKUlT_T0_E_clISt17integral_constantIbLb1EESU_EEDaSP_SQ_EUlSP_E_NS1_11comp_targetILNS1_3genE10ELNS1_11target_archE1200ELNS1_3gpuE4ELNS1_3repE0EEENS1_30default_config_static_selectorELNS0_4arch9wavefront6targetE1EEEvT1_,"axG",@progbits,_ZN7rocprim17ROCPRIM_400000_NS6detail17trampoline_kernelINS0_14default_configENS1_20scan_config_selectorIiEEZZNS1_9scan_implILNS1_25lookback_scan_determinismE0ELb0ELb1ES3_N6thrust23THRUST_200600_302600_NS6detail15normal_iteratorINS9_10device_ptrIiEEEESE_iNS9_4plusIiEEiEEDaPvRmT3_T4_T5_mT6_P12ihipStream_tbENKUlT_T0_E_clISt17integral_constantIbLb1EESU_EEDaSP_SQ_EUlSP_E_NS1_11comp_targetILNS1_3genE10ELNS1_11target_archE1200ELNS1_3gpuE4ELNS1_3repE0EEENS1_30default_config_static_selectorELNS0_4arch9wavefront6targetE1EEEvT1_,comdat
	.protected	_ZN7rocprim17ROCPRIM_400000_NS6detail17trampoline_kernelINS0_14default_configENS1_20scan_config_selectorIiEEZZNS1_9scan_implILNS1_25lookback_scan_determinismE0ELb0ELb1ES3_N6thrust23THRUST_200600_302600_NS6detail15normal_iteratorINS9_10device_ptrIiEEEESE_iNS9_4plusIiEEiEEDaPvRmT3_T4_T5_mT6_P12ihipStream_tbENKUlT_T0_E_clISt17integral_constantIbLb1EESU_EEDaSP_SQ_EUlSP_E_NS1_11comp_targetILNS1_3genE10ELNS1_11target_archE1200ELNS1_3gpuE4ELNS1_3repE0EEENS1_30default_config_static_selectorELNS0_4arch9wavefront6targetE1EEEvT1_ ; -- Begin function _ZN7rocprim17ROCPRIM_400000_NS6detail17trampoline_kernelINS0_14default_configENS1_20scan_config_selectorIiEEZZNS1_9scan_implILNS1_25lookback_scan_determinismE0ELb0ELb1ES3_N6thrust23THRUST_200600_302600_NS6detail15normal_iteratorINS9_10device_ptrIiEEEESE_iNS9_4plusIiEEiEEDaPvRmT3_T4_T5_mT6_P12ihipStream_tbENKUlT_T0_E_clISt17integral_constantIbLb1EESU_EEDaSP_SQ_EUlSP_E_NS1_11comp_targetILNS1_3genE10ELNS1_11target_archE1200ELNS1_3gpuE4ELNS1_3repE0EEENS1_30default_config_static_selectorELNS0_4arch9wavefront6targetE1EEEvT1_
	.globl	_ZN7rocprim17ROCPRIM_400000_NS6detail17trampoline_kernelINS0_14default_configENS1_20scan_config_selectorIiEEZZNS1_9scan_implILNS1_25lookback_scan_determinismE0ELb0ELb1ES3_N6thrust23THRUST_200600_302600_NS6detail15normal_iteratorINS9_10device_ptrIiEEEESE_iNS9_4plusIiEEiEEDaPvRmT3_T4_T5_mT6_P12ihipStream_tbENKUlT_T0_E_clISt17integral_constantIbLb1EESU_EEDaSP_SQ_EUlSP_E_NS1_11comp_targetILNS1_3genE10ELNS1_11target_archE1200ELNS1_3gpuE4ELNS1_3repE0EEENS1_30default_config_static_selectorELNS0_4arch9wavefront6targetE1EEEvT1_
	.p2align	8
	.type	_ZN7rocprim17ROCPRIM_400000_NS6detail17trampoline_kernelINS0_14default_configENS1_20scan_config_selectorIiEEZZNS1_9scan_implILNS1_25lookback_scan_determinismE0ELb0ELb1ES3_N6thrust23THRUST_200600_302600_NS6detail15normal_iteratorINS9_10device_ptrIiEEEESE_iNS9_4plusIiEEiEEDaPvRmT3_T4_T5_mT6_P12ihipStream_tbENKUlT_T0_E_clISt17integral_constantIbLb1EESU_EEDaSP_SQ_EUlSP_E_NS1_11comp_targetILNS1_3genE10ELNS1_11target_archE1200ELNS1_3gpuE4ELNS1_3repE0EEENS1_30default_config_static_selectorELNS0_4arch9wavefront6targetE1EEEvT1_,@function
_ZN7rocprim17ROCPRIM_400000_NS6detail17trampoline_kernelINS0_14default_configENS1_20scan_config_selectorIiEEZZNS1_9scan_implILNS1_25lookback_scan_determinismE0ELb0ELb1ES3_N6thrust23THRUST_200600_302600_NS6detail15normal_iteratorINS9_10device_ptrIiEEEESE_iNS9_4plusIiEEiEEDaPvRmT3_T4_T5_mT6_P12ihipStream_tbENKUlT_T0_E_clISt17integral_constantIbLb1EESU_EEDaSP_SQ_EUlSP_E_NS1_11comp_targetILNS1_3genE10ELNS1_11target_archE1200ELNS1_3gpuE4ELNS1_3repE0EEENS1_30default_config_static_selectorELNS0_4arch9wavefront6targetE1EEEvT1_: ; @_ZN7rocprim17ROCPRIM_400000_NS6detail17trampoline_kernelINS0_14default_configENS1_20scan_config_selectorIiEEZZNS1_9scan_implILNS1_25lookback_scan_determinismE0ELb0ELb1ES3_N6thrust23THRUST_200600_302600_NS6detail15normal_iteratorINS9_10device_ptrIiEEEESE_iNS9_4plusIiEEiEEDaPvRmT3_T4_T5_mT6_P12ihipStream_tbENKUlT_T0_E_clISt17integral_constantIbLb1EESU_EEDaSP_SQ_EUlSP_E_NS1_11comp_targetILNS1_3genE10ELNS1_11target_archE1200ELNS1_3gpuE4ELNS1_3repE0EEENS1_30default_config_static_selectorELNS0_4arch9wavefront6targetE1EEEvT1_
; %bb.0:
	.section	.rodata,"a",@progbits
	.p2align	6, 0x0
	.amdhsa_kernel _ZN7rocprim17ROCPRIM_400000_NS6detail17trampoline_kernelINS0_14default_configENS1_20scan_config_selectorIiEEZZNS1_9scan_implILNS1_25lookback_scan_determinismE0ELb0ELb1ES3_N6thrust23THRUST_200600_302600_NS6detail15normal_iteratorINS9_10device_ptrIiEEEESE_iNS9_4plusIiEEiEEDaPvRmT3_T4_T5_mT6_P12ihipStream_tbENKUlT_T0_E_clISt17integral_constantIbLb1EESU_EEDaSP_SQ_EUlSP_E_NS1_11comp_targetILNS1_3genE10ELNS1_11target_archE1200ELNS1_3gpuE4ELNS1_3repE0EEENS1_30default_config_static_selectorELNS0_4arch9wavefront6targetE1EEEvT1_
		.amdhsa_group_segment_fixed_size 0
		.amdhsa_private_segment_fixed_size 0
		.amdhsa_kernarg_size 96
		.amdhsa_user_sgpr_count 6
		.amdhsa_user_sgpr_private_segment_buffer 1
		.amdhsa_user_sgpr_dispatch_ptr 0
		.amdhsa_user_sgpr_queue_ptr 0
		.amdhsa_user_sgpr_kernarg_segment_ptr 1
		.amdhsa_user_sgpr_dispatch_id 0
		.amdhsa_user_sgpr_flat_scratch_init 0
		.amdhsa_user_sgpr_kernarg_preload_length 0
		.amdhsa_user_sgpr_kernarg_preload_offset 0
		.amdhsa_user_sgpr_private_segment_size 0
		.amdhsa_uses_dynamic_stack 0
		.amdhsa_system_sgpr_private_segment_wavefront_offset 0
		.amdhsa_system_sgpr_workgroup_id_x 1
		.amdhsa_system_sgpr_workgroup_id_y 0
		.amdhsa_system_sgpr_workgroup_id_z 0
		.amdhsa_system_sgpr_workgroup_info 0
		.amdhsa_system_vgpr_workitem_id 0
		.amdhsa_next_free_vgpr 1
		.amdhsa_next_free_sgpr 0
		.amdhsa_accum_offset 4
		.amdhsa_reserve_vcc 0
		.amdhsa_reserve_flat_scratch 0
		.amdhsa_float_round_mode_32 0
		.amdhsa_float_round_mode_16_64 0
		.amdhsa_float_denorm_mode_32 3
		.amdhsa_float_denorm_mode_16_64 3
		.amdhsa_dx10_clamp 1
		.amdhsa_ieee_mode 1
		.amdhsa_fp16_overflow 0
		.amdhsa_tg_split 0
		.amdhsa_exception_fp_ieee_invalid_op 0
		.amdhsa_exception_fp_denorm_src 0
		.amdhsa_exception_fp_ieee_div_zero 0
		.amdhsa_exception_fp_ieee_overflow 0
		.amdhsa_exception_fp_ieee_underflow 0
		.amdhsa_exception_fp_ieee_inexact 0
		.amdhsa_exception_int_div_zero 0
	.end_amdhsa_kernel
	.section	.text._ZN7rocprim17ROCPRIM_400000_NS6detail17trampoline_kernelINS0_14default_configENS1_20scan_config_selectorIiEEZZNS1_9scan_implILNS1_25lookback_scan_determinismE0ELb0ELb1ES3_N6thrust23THRUST_200600_302600_NS6detail15normal_iteratorINS9_10device_ptrIiEEEESE_iNS9_4plusIiEEiEEDaPvRmT3_T4_T5_mT6_P12ihipStream_tbENKUlT_T0_E_clISt17integral_constantIbLb1EESU_EEDaSP_SQ_EUlSP_E_NS1_11comp_targetILNS1_3genE10ELNS1_11target_archE1200ELNS1_3gpuE4ELNS1_3repE0EEENS1_30default_config_static_selectorELNS0_4arch9wavefront6targetE1EEEvT1_,"axG",@progbits,_ZN7rocprim17ROCPRIM_400000_NS6detail17trampoline_kernelINS0_14default_configENS1_20scan_config_selectorIiEEZZNS1_9scan_implILNS1_25lookback_scan_determinismE0ELb0ELb1ES3_N6thrust23THRUST_200600_302600_NS6detail15normal_iteratorINS9_10device_ptrIiEEEESE_iNS9_4plusIiEEiEEDaPvRmT3_T4_T5_mT6_P12ihipStream_tbENKUlT_T0_E_clISt17integral_constantIbLb1EESU_EEDaSP_SQ_EUlSP_E_NS1_11comp_targetILNS1_3genE10ELNS1_11target_archE1200ELNS1_3gpuE4ELNS1_3repE0EEENS1_30default_config_static_selectorELNS0_4arch9wavefront6targetE1EEEvT1_,comdat
.Lfunc_end756:
	.size	_ZN7rocprim17ROCPRIM_400000_NS6detail17trampoline_kernelINS0_14default_configENS1_20scan_config_selectorIiEEZZNS1_9scan_implILNS1_25lookback_scan_determinismE0ELb0ELb1ES3_N6thrust23THRUST_200600_302600_NS6detail15normal_iteratorINS9_10device_ptrIiEEEESE_iNS9_4plusIiEEiEEDaPvRmT3_T4_T5_mT6_P12ihipStream_tbENKUlT_T0_E_clISt17integral_constantIbLb1EESU_EEDaSP_SQ_EUlSP_E_NS1_11comp_targetILNS1_3genE10ELNS1_11target_archE1200ELNS1_3gpuE4ELNS1_3repE0EEENS1_30default_config_static_selectorELNS0_4arch9wavefront6targetE1EEEvT1_, .Lfunc_end756-_ZN7rocprim17ROCPRIM_400000_NS6detail17trampoline_kernelINS0_14default_configENS1_20scan_config_selectorIiEEZZNS1_9scan_implILNS1_25lookback_scan_determinismE0ELb0ELb1ES3_N6thrust23THRUST_200600_302600_NS6detail15normal_iteratorINS9_10device_ptrIiEEEESE_iNS9_4plusIiEEiEEDaPvRmT3_T4_T5_mT6_P12ihipStream_tbENKUlT_T0_E_clISt17integral_constantIbLb1EESU_EEDaSP_SQ_EUlSP_E_NS1_11comp_targetILNS1_3genE10ELNS1_11target_archE1200ELNS1_3gpuE4ELNS1_3repE0EEENS1_30default_config_static_selectorELNS0_4arch9wavefront6targetE1EEEvT1_
                                        ; -- End function
	.section	.AMDGPU.csdata,"",@progbits
; Kernel info:
; codeLenInByte = 0
; NumSgprs: 4
; NumVgprs: 0
; NumAgprs: 0
; TotalNumVgprs: 0
; ScratchSize: 0
; MemoryBound: 0
; FloatMode: 240
; IeeeMode: 1
; LDSByteSize: 0 bytes/workgroup (compile time only)
; SGPRBlocks: 0
; VGPRBlocks: 0
; NumSGPRsForWavesPerEU: 4
; NumVGPRsForWavesPerEU: 1
; AccumOffset: 4
; Occupancy: 8
; WaveLimiterHint : 0
; COMPUTE_PGM_RSRC2:SCRATCH_EN: 0
; COMPUTE_PGM_RSRC2:USER_SGPR: 6
; COMPUTE_PGM_RSRC2:TRAP_HANDLER: 0
; COMPUTE_PGM_RSRC2:TGID_X_EN: 1
; COMPUTE_PGM_RSRC2:TGID_Y_EN: 0
; COMPUTE_PGM_RSRC2:TGID_Z_EN: 0
; COMPUTE_PGM_RSRC2:TIDIG_COMP_CNT: 0
; COMPUTE_PGM_RSRC3_GFX90A:ACCUM_OFFSET: 0
; COMPUTE_PGM_RSRC3_GFX90A:TG_SPLIT: 0
	.section	.text._ZN7rocprim17ROCPRIM_400000_NS6detail17trampoline_kernelINS0_14default_configENS1_20scan_config_selectorIiEEZZNS1_9scan_implILNS1_25lookback_scan_determinismE0ELb0ELb1ES3_N6thrust23THRUST_200600_302600_NS6detail15normal_iteratorINS9_10device_ptrIiEEEESE_iNS9_4plusIiEEiEEDaPvRmT3_T4_T5_mT6_P12ihipStream_tbENKUlT_T0_E_clISt17integral_constantIbLb1EESU_EEDaSP_SQ_EUlSP_E_NS1_11comp_targetILNS1_3genE9ELNS1_11target_archE1100ELNS1_3gpuE3ELNS1_3repE0EEENS1_30default_config_static_selectorELNS0_4arch9wavefront6targetE1EEEvT1_,"axG",@progbits,_ZN7rocprim17ROCPRIM_400000_NS6detail17trampoline_kernelINS0_14default_configENS1_20scan_config_selectorIiEEZZNS1_9scan_implILNS1_25lookback_scan_determinismE0ELb0ELb1ES3_N6thrust23THRUST_200600_302600_NS6detail15normal_iteratorINS9_10device_ptrIiEEEESE_iNS9_4plusIiEEiEEDaPvRmT3_T4_T5_mT6_P12ihipStream_tbENKUlT_T0_E_clISt17integral_constantIbLb1EESU_EEDaSP_SQ_EUlSP_E_NS1_11comp_targetILNS1_3genE9ELNS1_11target_archE1100ELNS1_3gpuE3ELNS1_3repE0EEENS1_30default_config_static_selectorELNS0_4arch9wavefront6targetE1EEEvT1_,comdat
	.protected	_ZN7rocprim17ROCPRIM_400000_NS6detail17trampoline_kernelINS0_14default_configENS1_20scan_config_selectorIiEEZZNS1_9scan_implILNS1_25lookback_scan_determinismE0ELb0ELb1ES3_N6thrust23THRUST_200600_302600_NS6detail15normal_iteratorINS9_10device_ptrIiEEEESE_iNS9_4plusIiEEiEEDaPvRmT3_T4_T5_mT6_P12ihipStream_tbENKUlT_T0_E_clISt17integral_constantIbLb1EESU_EEDaSP_SQ_EUlSP_E_NS1_11comp_targetILNS1_3genE9ELNS1_11target_archE1100ELNS1_3gpuE3ELNS1_3repE0EEENS1_30default_config_static_selectorELNS0_4arch9wavefront6targetE1EEEvT1_ ; -- Begin function _ZN7rocprim17ROCPRIM_400000_NS6detail17trampoline_kernelINS0_14default_configENS1_20scan_config_selectorIiEEZZNS1_9scan_implILNS1_25lookback_scan_determinismE0ELb0ELb1ES3_N6thrust23THRUST_200600_302600_NS6detail15normal_iteratorINS9_10device_ptrIiEEEESE_iNS9_4plusIiEEiEEDaPvRmT3_T4_T5_mT6_P12ihipStream_tbENKUlT_T0_E_clISt17integral_constantIbLb1EESU_EEDaSP_SQ_EUlSP_E_NS1_11comp_targetILNS1_3genE9ELNS1_11target_archE1100ELNS1_3gpuE3ELNS1_3repE0EEENS1_30default_config_static_selectorELNS0_4arch9wavefront6targetE1EEEvT1_
	.globl	_ZN7rocprim17ROCPRIM_400000_NS6detail17trampoline_kernelINS0_14default_configENS1_20scan_config_selectorIiEEZZNS1_9scan_implILNS1_25lookback_scan_determinismE0ELb0ELb1ES3_N6thrust23THRUST_200600_302600_NS6detail15normal_iteratorINS9_10device_ptrIiEEEESE_iNS9_4plusIiEEiEEDaPvRmT3_T4_T5_mT6_P12ihipStream_tbENKUlT_T0_E_clISt17integral_constantIbLb1EESU_EEDaSP_SQ_EUlSP_E_NS1_11comp_targetILNS1_3genE9ELNS1_11target_archE1100ELNS1_3gpuE3ELNS1_3repE0EEENS1_30default_config_static_selectorELNS0_4arch9wavefront6targetE1EEEvT1_
	.p2align	8
	.type	_ZN7rocprim17ROCPRIM_400000_NS6detail17trampoline_kernelINS0_14default_configENS1_20scan_config_selectorIiEEZZNS1_9scan_implILNS1_25lookback_scan_determinismE0ELb0ELb1ES3_N6thrust23THRUST_200600_302600_NS6detail15normal_iteratorINS9_10device_ptrIiEEEESE_iNS9_4plusIiEEiEEDaPvRmT3_T4_T5_mT6_P12ihipStream_tbENKUlT_T0_E_clISt17integral_constantIbLb1EESU_EEDaSP_SQ_EUlSP_E_NS1_11comp_targetILNS1_3genE9ELNS1_11target_archE1100ELNS1_3gpuE3ELNS1_3repE0EEENS1_30default_config_static_selectorELNS0_4arch9wavefront6targetE1EEEvT1_,@function
_ZN7rocprim17ROCPRIM_400000_NS6detail17trampoline_kernelINS0_14default_configENS1_20scan_config_selectorIiEEZZNS1_9scan_implILNS1_25lookback_scan_determinismE0ELb0ELb1ES3_N6thrust23THRUST_200600_302600_NS6detail15normal_iteratorINS9_10device_ptrIiEEEESE_iNS9_4plusIiEEiEEDaPvRmT3_T4_T5_mT6_P12ihipStream_tbENKUlT_T0_E_clISt17integral_constantIbLb1EESU_EEDaSP_SQ_EUlSP_E_NS1_11comp_targetILNS1_3genE9ELNS1_11target_archE1100ELNS1_3gpuE3ELNS1_3repE0EEENS1_30default_config_static_selectorELNS0_4arch9wavefront6targetE1EEEvT1_: ; @_ZN7rocprim17ROCPRIM_400000_NS6detail17trampoline_kernelINS0_14default_configENS1_20scan_config_selectorIiEEZZNS1_9scan_implILNS1_25lookback_scan_determinismE0ELb0ELb1ES3_N6thrust23THRUST_200600_302600_NS6detail15normal_iteratorINS9_10device_ptrIiEEEESE_iNS9_4plusIiEEiEEDaPvRmT3_T4_T5_mT6_P12ihipStream_tbENKUlT_T0_E_clISt17integral_constantIbLb1EESU_EEDaSP_SQ_EUlSP_E_NS1_11comp_targetILNS1_3genE9ELNS1_11target_archE1100ELNS1_3gpuE3ELNS1_3repE0EEENS1_30default_config_static_selectorELNS0_4arch9wavefront6targetE1EEEvT1_
; %bb.0:
	.section	.rodata,"a",@progbits
	.p2align	6, 0x0
	.amdhsa_kernel _ZN7rocprim17ROCPRIM_400000_NS6detail17trampoline_kernelINS0_14default_configENS1_20scan_config_selectorIiEEZZNS1_9scan_implILNS1_25lookback_scan_determinismE0ELb0ELb1ES3_N6thrust23THRUST_200600_302600_NS6detail15normal_iteratorINS9_10device_ptrIiEEEESE_iNS9_4plusIiEEiEEDaPvRmT3_T4_T5_mT6_P12ihipStream_tbENKUlT_T0_E_clISt17integral_constantIbLb1EESU_EEDaSP_SQ_EUlSP_E_NS1_11comp_targetILNS1_3genE9ELNS1_11target_archE1100ELNS1_3gpuE3ELNS1_3repE0EEENS1_30default_config_static_selectorELNS0_4arch9wavefront6targetE1EEEvT1_
		.amdhsa_group_segment_fixed_size 0
		.amdhsa_private_segment_fixed_size 0
		.amdhsa_kernarg_size 96
		.amdhsa_user_sgpr_count 6
		.amdhsa_user_sgpr_private_segment_buffer 1
		.amdhsa_user_sgpr_dispatch_ptr 0
		.amdhsa_user_sgpr_queue_ptr 0
		.amdhsa_user_sgpr_kernarg_segment_ptr 1
		.amdhsa_user_sgpr_dispatch_id 0
		.amdhsa_user_sgpr_flat_scratch_init 0
		.amdhsa_user_sgpr_kernarg_preload_length 0
		.amdhsa_user_sgpr_kernarg_preload_offset 0
		.amdhsa_user_sgpr_private_segment_size 0
		.amdhsa_uses_dynamic_stack 0
		.amdhsa_system_sgpr_private_segment_wavefront_offset 0
		.amdhsa_system_sgpr_workgroup_id_x 1
		.amdhsa_system_sgpr_workgroup_id_y 0
		.amdhsa_system_sgpr_workgroup_id_z 0
		.amdhsa_system_sgpr_workgroup_info 0
		.amdhsa_system_vgpr_workitem_id 0
		.amdhsa_next_free_vgpr 1
		.amdhsa_next_free_sgpr 0
		.amdhsa_accum_offset 4
		.amdhsa_reserve_vcc 0
		.amdhsa_reserve_flat_scratch 0
		.amdhsa_float_round_mode_32 0
		.amdhsa_float_round_mode_16_64 0
		.amdhsa_float_denorm_mode_32 3
		.amdhsa_float_denorm_mode_16_64 3
		.amdhsa_dx10_clamp 1
		.amdhsa_ieee_mode 1
		.amdhsa_fp16_overflow 0
		.amdhsa_tg_split 0
		.amdhsa_exception_fp_ieee_invalid_op 0
		.amdhsa_exception_fp_denorm_src 0
		.amdhsa_exception_fp_ieee_div_zero 0
		.amdhsa_exception_fp_ieee_overflow 0
		.amdhsa_exception_fp_ieee_underflow 0
		.amdhsa_exception_fp_ieee_inexact 0
		.amdhsa_exception_int_div_zero 0
	.end_amdhsa_kernel
	.section	.text._ZN7rocprim17ROCPRIM_400000_NS6detail17trampoline_kernelINS0_14default_configENS1_20scan_config_selectorIiEEZZNS1_9scan_implILNS1_25lookback_scan_determinismE0ELb0ELb1ES3_N6thrust23THRUST_200600_302600_NS6detail15normal_iteratorINS9_10device_ptrIiEEEESE_iNS9_4plusIiEEiEEDaPvRmT3_T4_T5_mT6_P12ihipStream_tbENKUlT_T0_E_clISt17integral_constantIbLb1EESU_EEDaSP_SQ_EUlSP_E_NS1_11comp_targetILNS1_3genE9ELNS1_11target_archE1100ELNS1_3gpuE3ELNS1_3repE0EEENS1_30default_config_static_selectorELNS0_4arch9wavefront6targetE1EEEvT1_,"axG",@progbits,_ZN7rocprim17ROCPRIM_400000_NS6detail17trampoline_kernelINS0_14default_configENS1_20scan_config_selectorIiEEZZNS1_9scan_implILNS1_25lookback_scan_determinismE0ELb0ELb1ES3_N6thrust23THRUST_200600_302600_NS6detail15normal_iteratorINS9_10device_ptrIiEEEESE_iNS9_4plusIiEEiEEDaPvRmT3_T4_T5_mT6_P12ihipStream_tbENKUlT_T0_E_clISt17integral_constantIbLb1EESU_EEDaSP_SQ_EUlSP_E_NS1_11comp_targetILNS1_3genE9ELNS1_11target_archE1100ELNS1_3gpuE3ELNS1_3repE0EEENS1_30default_config_static_selectorELNS0_4arch9wavefront6targetE1EEEvT1_,comdat
.Lfunc_end757:
	.size	_ZN7rocprim17ROCPRIM_400000_NS6detail17trampoline_kernelINS0_14default_configENS1_20scan_config_selectorIiEEZZNS1_9scan_implILNS1_25lookback_scan_determinismE0ELb0ELb1ES3_N6thrust23THRUST_200600_302600_NS6detail15normal_iteratorINS9_10device_ptrIiEEEESE_iNS9_4plusIiEEiEEDaPvRmT3_T4_T5_mT6_P12ihipStream_tbENKUlT_T0_E_clISt17integral_constantIbLb1EESU_EEDaSP_SQ_EUlSP_E_NS1_11comp_targetILNS1_3genE9ELNS1_11target_archE1100ELNS1_3gpuE3ELNS1_3repE0EEENS1_30default_config_static_selectorELNS0_4arch9wavefront6targetE1EEEvT1_, .Lfunc_end757-_ZN7rocprim17ROCPRIM_400000_NS6detail17trampoline_kernelINS0_14default_configENS1_20scan_config_selectorIiEEZZNS1_9scan_implILNS1_25lookback_scan_determinismE0ELb0ELb1ES3_N6thrust23THRUST_200600_302600_NS6detail15normal_iteratorINS9_10device_ptrIiEEEESE_iNS9_4plusIiEEiEEDaPvRmT3_T4_T5_mT6_P12ihipStream_tbENKUlT_T0_E_clISt17integral_constantIbLb1EESU_EEDaSP_SQ_EUlSP_E_NS1_11comp_targetILNS1_3genE9ELNS1_11target_archE1100ELNS1_3gpuE3ELNS1_3repE0EEENS1_30default_config_static_selectorELNS0_4arch9wavefront6targetE1EEEvT1_
                                        ; -- End function
	.section	.AMDGPU.csdata,"",@progbits
; Kernel info:
; codeLenInByte = 0
; NumSgprs: 4
; NumVgprs: 0
; NumAgprs: 0
; TotalNumVgprs: 0
; ScratchSize: 0
; MemoryBound: 0
; FloatMode: 240
; IeeeMode: 1
; LDSByteSize: 0 bytes/workgroup (compile time only)
; SGPRBlocks: 0
; VGPRBlocks: 0
; NumSGPRsForWavesPerEU: 4
; NumVGPRsForWavesPerEU: 1
; AccumOffset: 4
; Occupancy: 8
; WaveLimiterHint : 0
; COMPUTE_PGM_RSRC2:SCRATCH_EN: 0
; COMPUTE_PGM_RSRC2:USER_SGPR: 6
; COMPUTE_PGM_RSRC2:TRAP_HANDLER: 0
; COMPUTE_PGM_RSRC2:TGID_X_EN: 1
; COMPUTE_PGM_RSRC2:TGID_Y_EN: 0
; COMPUTE_PGM_RSRC2:TGID_Z_EN: 0
; COMPUTE_PGM_RSRC2:TIDIG_COMP_CNT: 0
; COMPUTE_PGM_RSRC3_GFX90A:ACCUM_OFFSET: 0
; COMPUTE_PGM_RSRC3_GFX90A:TG_SPLIT: 0
	.section	.text._ZN7rocprim17ROCPRIM_400000_NS6detail17trampoline_kernelINS0_14default_configENS1_20scan_config_selectorIiEEZZNS1_9scan_implILNS1_25lookback_scan_determinismE0ELb0ELb1ES3_N6thrust23THRUST_200600_302600_NS6detail15normal_iteratorINS9_10device_ptrIiEEEESE_iNS9_4plusIiEEiEEDaPvRmT3_T4_T5_mT6_P12ihipStream_tbENKUlT_T0_E_clISt17integral_constantIbLb1EESU_EEDaSP_SQ_EUlSP_E_NS1_11comp_targetILNS1_3genE8ELNS1_11target_archE1030ELNS1_3gpuE2ELNS1_3repE0EEENS1_30default_config_static_selectorELNS0_4arch9wavefront6targetE1EEEvT1_,"axG",@progbits,_ZN7rocprim17ROCPRIM_400000_NS6detail17trampoline_kernelINS0_14default_configENS1_20scan_config_selectorIiEEZZNS1_9scan_implILNS1_25lookback_scan_determinismE0ELb0ELb1ES3_N6thrust23THRUST_200600_302600_NS6detail15normal_iteratorINS9_10device_ptrIiEEEESE_iNS9_4plusIiEEiEEDaPvRmT3_T4_T5_mT6_P12ihipStream_tbENKUlT_T0_E_clISt17integral_constantIbLb1EESU_EEDaSP_SQ_EUlSP_E_NS1_11comp_targetILNS1_3genE8ELNS1_11target_archE1030ELNS1_3gpuE2ELNS1_3repE0EEENS1_30default_config_static_selectorELNS0_4arch9wavefront6targetE1EEEvT1_,comdat
	.protected	_ZN7rocprim17ROCPRIM_400000_NS6detail17trampoline_kernelINS0_14default_configENS1_20scan_config_selectorIiEEZZNS1_9scan_implILNS1_25lookback_scan_determinismE0ELb0ELb1ES3_N6thrust23THRUST_200600_302600_NS6detail15normal_iteratorINS9_10device_ptrIiEEEESE_iNS9_4plusIiEEiEEDaPvRmT3_T4_T5_mT6_P12ihipStream_tbENKUlT_T0_E_clISt17integral_constantIbLb1EESU_EEDaSP_SQ_EUlSP_E_NS1_11comp_targetILNS1_3genE8ELNS1_11target_archE1030ELNS1_3gpuE2ELNS1_3repE0EEENS1_30default_config_static_selectorELNS0_4arch9wavefront6targetE1EEEvT1_ ; -- Begin function _ZN7rocprim17ROCPRIM_400000_NS6detail17trampoline_kernelINS0_14default_configENS1_20scan_config_selectorIiEEZZNS1_9scan_implILNS1_25lookback_scan_determinismE0ELb0ELb1ES3_N6thrust23THRUST_200600_302600_NS6detail15normal_iteratorINS9_10device_ptrIiEEEESE_iNS9_4plusIiEEiEEDaPvRmT3_T4_T5_mT6_P12ihipStream_tbENKUlT_T0_E_clISt17integral_constantIbLb1EESU_EEDaSP_SQ_EUlSP_E_NS1_11comp_targetILNS1_3genE8ELNS1_11target_archE1030ELNS1_3gpuE2ELNS1_3repE0EEENS1_30default_config_static_selectorELNS0_4arch9wavefront6targetE1EEEvT1_
	.globl	_ZN7rocprim17ROCPRIM_400000_NS6detail17trampoline_kernelINS0_14default_configENS1_20scan_config_selectorIiEEZZNS1_9scan_implILNS1_25lookback_scan_determinismE0ELb0ELb1ES3_N6thrust23THRUST_200600_302600_NS6detail15normal_iteratorINS9_10device_ptrIiEEEESE_iNS9_4plusIiEEiEEDaPvRmT3_T4_T5_mT6_P12ihipStream_tbENKUlT_T0_E_clISt17integral_constantIbLb1EESU_EEDaSP_SQ_EUlSP_E_NS1_11comp_targetILNS1_3genE8ELNS1_11target_archE1030ELNS1_3gpuE2ELNS1_3repE0EEENS1_30default_config_static_selectorELNS0_4arch9wavefront6targetE1EEEvT1_
	.p2align	8
	.type	_ZN7rocprim17ROCPRIM_400000_NS6detail17trampoline_kernelINS0_14default_configENS1_20scan_config_selectorIiEEZZNS1_9scan_implILNS1_25lookback_scan_determinismE0ELb0ELb1ES3_N6thrust23THRUST_200600_302600_NS6detail15normal_iteratorINS9_10device_ptrIiEEEESE_iNS9_4plusIiEEiEEDaPvRmT3_T4_T5_mT6_P12ihipStream_tbENKUlT_T0_E_clISt17integral_constantIbLb1EESU_EEDaSP_SQ_EUlSP_E_NS1_11comp_targetILNS1_3genE8ELNS1_11target_archE1030ELNS1_3gpuE2ELNS1_3repE0EEENS1_30default_config_static_selectorELNS0_4arch9wavefront6targetE1EEEvT1_,@function
_ZN7rocprim17ROCPRIM_400000_NS6detail17trampoline_kernelINS0_14default_configENS1_20scan_config_selectorIiEEZZNS1_9scan_implILNS1_25lookback_scan_determinismE0ELb0ELb1ES3_N6thrust23THRUST_200600_302600_NS6detail15normal_iteratorINS9_10device_ptrIiEEEESE_iNS9_4plusIiEEiEEDaPvRmT3_T4_T5_mT6_P12ihipStream_tbENKUlT_T0_E_clISt17integral_constantIbLb1EESU_EEDaSP_SQ_EUlSP_E_NS1_11comp_targetILNS1_3genE8ELNS1_11target_archE1030ELNS1_3gpuE2ELNS1_3repE0EEENS1_30default_config_static_selectorELNS0_4arch9wavefront6targetE1EEEvT1_: ; @_ZN7rocprim17ROCPRIM_400000_NS6detail17trampoline_kernelINS0_14default_configENS1_20scan_config_selectorIiEEZZNS1_9scan_implILNS1_25lookback_scan_determinismE0ELb0ELb1ES3_N6thrust23THRUST_200600_302600_NS6detail15normal_iteratorINS9_10device_ptrIiEEEESE_iNS9_4plusIiEEiEEDaPvRmT3_T4_T5_mT6_P12ihipStream_tbENKUlT_T0_E_clISt17integral_constantIbLb1EESU_EEDaSP_SQ_EUlSP_E_NS1_11comp_targetILNS1_3genE8ELNS1_11target_archE1030ELNS1_3gpuE2ELNS1_3repE0EEENS1_30default_config_static_selectorELNS0_4arch9wavefront6targetE1EEEvT1_
; %bb.0:
	.section	.rodata,"a",@progbits
	.p2align	6, 0x0
	.amdhsa_kernel _ZN7rocprim17ROCPRIM_400000_NS6detail17trampoline_kernelINS0_14default_configENS1_20scan_config_selectorIiEEZZNS1_9scan_implILNS1_25lookback_scan_determinismE0ELb0ELb1ES3_N6thrust23THRUST_200600_302600_NS6detail15normal_iteratorINS9_10device_ptrIiEEEESE_iNS9_4plusIiEEiEEDaPvRmT3_T4_T5_mT6_P12ihipStream_tbENKUlT_T0_E_clISt17integral_constantIbLb1EESU_EEDaSP_SQ_EUlSP_E_NS1_11comp_targetILNS1_3genE8ELNS1_11target_archE1030ELNS1_3gpuE2ELNS1_3repE0EEENS1_30default_config_static_selectorELNS0_4arch9wavefront6targetE1EEEvT1_
		.amdhsa_group_segment_fixed_size 0
		.amdhsa_private_segment_fixed_size 0
		.amdhsa_kernarg_size 96
		.amdhsa_user_sgpr_count 6
		.amdhsa_user_sgpr_private_segment_buffer 1
		.amdhsa_user_sgpr_dispatch_ptr 0
		.amdhsa_user_sgpr_queue_ptr 0
		.amdhsa_user_sgpr_kernarg_segment_ptr 1
		.amdhsa_user_sgpr_dispatch_id 0
		.amdhsa_user_sgpr_flat_scratch_init 0
		.amdhsa_user_sgpr_kernarg_preload_length 0
		.amdhsa_user_sgpr_kernarg_preload_offset 0
		.amdhsa_user_sgpr_private_segment_size 0
		.amdhsa_uses_dynamic_stack 0
		.amdhsa_system_sgpr_private_segment_wavefront_offset 0
		.amdhsa_system_sgpr_workgroup_id_x 1
		.amdhsa_system_sgpr_workgroup_id_y 0
		.amdhsa_system_sgpr_workgroup_id_z 0
		.amdhsa_system_sgpr_workgroup_info 0
		.amdhsa_system_vgpr_workitem_id 0
		.amdhsa_next_free_vgpr 1
		.amdhsa_next_free_sgpr 0
		.amdhsa_accum_offset 4
		.amdhsa_reserve_vcc 0
		.amdhsa_reserve_flat_scratch 0
		.amdhsa_float_round_mode_32 0
		.amdhsa_float_round_mode_16_64 0
		.amdhsa_float_denorm_mode_32 3
		.amdhsa_float_denorm_mode_16_64 3
		.amdhsa_dx10_clamp 1
		.amdhsa_ieee_mode 1
		.amdhsa_fp16_overflow 0
		.amdhsa_tg_split 0
		.amdhsa_exception_fp_ieee_invalid_op 0
		.amdhsa_exception_fp_denorm_src 0
		.amdhsa_exception_fp_ieee_div_zero 0
		.amdhsa_exception_fp_ieee_overflow 0
		.amdhsa_exception_fp_ieee_underflow 0
		.amdhsa_exception_fp_ieee_inexact 0
		.amdhsa_exception_int_div_zero 0
	.end_amdhsa_kernel
	.section	.text._ZN7rocprim17ROCPRIM_400000_NS6detail17trampoline_kernelINS0_14default_configENS1_20scan_config_selectorIiEEZZNS1_9scan_implILNS1_25lookback_scan_determinismE0ELb0ELb1ES3_N6thrust23THRUST_200600_302600_NS6detail15normal_iteratorINS9_10device_ptrIiEEEESE_iNS9_4plusIiEEiEEDaPvRmT3_T4_T5_mT6_P12ihipStream_tbENKUlT_T0_E_clISt17integral_constantIbLb1EESU_EEDaSP_SQ_EUlSP_E_NS1_11comp_targetILNS1_3genE8ELNS1_11target_archE1030ELNS1_3gpuE2ELNS1_3repE0EEENS1_30default_config_static_selectorELNS0_4arch9wavefront6targetE1EEEvT1_,"axG",@progbits,_ZN7rocprim17ROCPRIM_400000_NS6detail17trampoline_kernelINS0_14default_configENS1_20scan_config_selectorIiEEZZNS1_9scan_implILNS1_25lookback_scan_determinismE0ELb0ELb1ES3_N6thrust23THRUST_200600_302600_NS6detail15normal_iteratorINS9_10device_ptrIiEEEESE_iNS9_4plusIiEEiEEDaPvRmT3_T4_T5_mT6_P12ihipStream_tbENKUlT_T0_E_clISt17integral_constantIbLb1EESU_EEDaSP_SQ_EUlSP_E_NS1_11comp_targetILNS1_3genE8ELNS1_11target_archE1030ELNS1_3gpuE2ELNS1_3repE0EEENS1_30default_config_static_selectorELNS0_4arch9wavefront6targetE1EEEvT1_,comdat
.Lfunc_end758:
	.size	_ZN7rocprim17ROCPRIM_400000_NS6detail17trampoline_kernelINS0_14default_configENS1_20scan_config_selectorIiEEZZNS1_9scan_implILNS1_25lookback_scan_determinismE0ELb0ELb1ES3_N6thrust23THRUST_200600_302600_NS6detail15normal_iteratorINS9_10device_ptrIiEEEESE_iNS9_4plusIiEEiEEDaPvRmT3_T4_T5_mT6_P12ihipStream_tbENKUlT_T0_E_clISt17integral_constantIbLb1EESU_EEDaSP_SQ_EUlSP_E_NS1_11comp_targetILNS1_3genE8ELNS1_11target_archE1030ELNS1_3gpuE2ELNS1_3repE0EEENS1_30default_config_static_selectorELNS0_4arch9wavefront6targetE1EEEvT1_, .Lfunc_end758-_ZN7rocprim17ROCPRIM_400000_NS6detail17trampoline_kernelINS0_14default_configENS1_20scan_config_selectorIiEEZZNS1_9scan_implILNS1_25lookback_scan_determinismE0ELb0ELb1ES3_N6thrust23THRUST_200600_302600_NS6detail15normal_iteratorINS9_10device_ptrIiEEEESE_iNS9_4plusIiEEiEEDaPvRmT3_T4_T5_mT6_P12ihipStream_tbENKUlT_T0_E_clISt17integral_constantIbLb1EESU_EEDaSP_SQ_EUlSP_E_NS1_11comp_targetILNS1_3genE8ELNS1_11target_archE1030ELNS1_3gpuE2ELNS1_3repE0EEENS1_30default_config_static_selectorELNS0_4arch9wavefront6targetE1EEEvT1_
                                        ; -- End function
	.section	.AMDGPU.csdata,"",@progbits
; Kernel info:
; codeLenInByte = 0
; NumSgprs: 4
; NumVgprs: 0
; NumAgprs: 0
; TotalNumVgprs: 0
; ScratchSize: 0
; MemoryBound: 0
; FloatMode: 240
; IeeeMode: 1
; LDSByteSize: 0 bytes/workgroup (compile time only)
; SGPRBlocks: 0
; VGPRBlocks: 0
; NumSGPRsForWavesPerEU: 4
; NumVGPRsForWavesPerEU: 1
; AccumOffset: 4
; Occupancy: 8
; WaveLimiterHint : 0
; COMPUTE_PGM_RSRC2:SCRATCH_EN: 0
; COMPUTE_PGM_RSRC2:USER_SGPR: 6
; COMPUTE_PGM_RSRC2:TRAP_HANDLER: 0
; COMPUTE_PGM_RSRC2:TGID_X_EN: 1
; COMPUTE_PGM_RSRC2:TGID_Y_EN: 0
; COMPUTE_PGM_RSRC2:TGID_Z_EN: 0
; COMPUTE_PGM_RSRC2:TIDIG_COMP_CNT: 0
; COMPUTE_PGM_RSRC3_GFX90A:ACCUM_OFFSET: 0
; COMPUTE_PGM_RSRC3_GFX90A:TG_SPLIT: 0
	.section	.text._ZN7rocprim17ROCPRIM_400000_NS6detail17trampoline_kernelINS0_14default_configENS1_20scan_config_selectorIiEEZZNS1_9scan_implILNS1_25lookback_scan_determinismE0ELb0ELb1ES3_N6thrust23THRUST_200600_302600_NS6detail15normal_iteratorINS9_10device_ptrIiEEEESE_iNS9_4plusIiEEiEEDaPvRmT3_T4_T5_mT6_P12ihipStream_tbENKUlT_T0_E_clISt17integral_constantIbLb1EESU_EEDaSP_SQ_EUlSP_E0_NS1_11comp_targetILNS1_3genE0ELNS1_11target_archE4294967295ELNS1_3gpuE0ELNS1_3repE0EEENS1_30default_config_static_selectorELNS0_4arch9wavefront6targetE1EEEvT1_,"axG",@progbits,_ZN7rocprim17ROCPRIM_400000_NS6detail17trampoline_kernelINS0_14default_configENS1_20scan_config_selectorIiEEZZNS1_9scan_implILNS1_25lookback_scan_determinismE0ELb0ELb1ES3_N6thrust23THRUST_200600_302600_NS6detail15normal_iteratorINS9_10device_ptrIiEEEESE_iNS9_4plusIiEEiEEDaPvRmT3_T4_T5_mT6_P12ihipStream_tbENKUlT_T0_E_clISt17integral_constantIbLb1EESU_EEDaSP_SQ_EUlSP_E0_NS1_11comp_targetILNS1_3genE0ELNS1_11target_archE4294967295ELNS1_3gpuE0ELNS1_3repE0EEENS1_30default_config_static_selectorELNS0_4arch9wavefront6targetE1EEEvT1_,comdat
	.protected	_ZN7rocprim17ROCPRIM_400000_NS6detail17trampoline_kernelINS0_14default_configENS1_20scan_config_selectorIiEEZZNS1_9scan_implILNS1_25lookback_scan_determinismE0ELb0ELb1ES3_N6thrust23THRUST_200600_302600_NS6detail15normal_iteratorINS9_10device_ptrIiEEEESE_iNS9_4plusIiEEiEEDaPvRmT3_T4_T5_mT6_P12ihipStream_tbENKUlT_T0_E_clISt17integral_constantIbLb1EESU_EEDaSP_SQ_EUlSP_E0_NS1_11comp_targetILNS1_3genE0ELNS1_11target_archE4294967295ELNS1_3gpuE0ELNS1_3repE0EEENS1_30default_config_static_selectorELNS0_4arch9wavefront6targetE1EEEvT1_ ; -- Begin function _ZN7rocprim17ROCPRIM_400000_NS6detail17trampoline_kernelINS0_14default_configENS1_20scan_config_selectorIiEEZZNS1_9scan_implILNS1_25lookback_scan_determinismE0ELb0ELb1ES3_N6thrust23THRUST_200600_302600_NS6detail15normal_iteratorINS9_10device_ptrIiEEEESE_iNS9_4plusIiEEiEEDaPvRmT3_T4_T5_mT6_P12ihipStream_tbENKUlT_T0_E_clISt17integral_constantIbLb1EESU_EEDaSP_SQ_EUlSP_E0_NS1_11comp_targetILNS1_3genE0ELNS1_11target_archE4294967295ELNS1_3gpuE0ELNS1_3repE0EEENS1_30default_config_static_selectorELNS0_4arch9wavefront6targetE1EEEvT1_
	.globl	_ZN7rocprim17ROCPRIM_400000_NS6detail17trampoline_kernelINS0_14default_configENS1_20scan_config_selectorIiEEZZNS1_9scan_implILNS1_25lookback_scan_determinismE0ELb0ELb1ES3_N6thrust23THRUST_200600_302600_NS6detail15normal_iteratorINS9_10device_ptrIiEEEESE_iNS9_4plusIiEEiEEDaPvRmT3_T4_T5_mT6_P12ihipStream_tbENKUlT_T0_E_clISt17integral_constantIbLb1EESU_EEDaSP_SQ_EUlSP_E0_NS1_11comp_targetILNS1_3genE0ELNS1_11target_archE4294967295ELNS1_3gpuE0ELNS1_3repE0EEENS1_30default_config_static_selectorELNS0_4arch9wavefront6targetE1EEEvT1_
	.p2align	8
	.type	_ZN7rocprim17ROCPRIM_400000_NS6detail17trampoline_kernelINS0_14default_configENS1_20scan_config_selectorIiEEZZNS1_9scan_implILNS1_25lookback_scan_determinismE0ELb0ELb1ES3_N6thrust23THRUST_200600_302600_NS6detail15normal_iteratorINS9_10device_ptrIiEEEESE_iNS9_4plusIiEEiEEDaPvRmT3_T4_T5_mT6_P12ihipStream_tbENKUlT_T0_E_clISt17integral_constantIbLb1EESU_EEDaSP_SQ_EUlSP_E0_NS1_11comp_targetILNS1_3genE0ELNS1_11target_archE4294967295ELNS1_3gpuE0ELNS1_3repE0EEENS1_30default_config_static_selectorELNS0_4arch9wavefront6targetE1EEEvT1_,@function
_ZN7rocprim17ROCPRIM_400000_NS6detail17trampoline_kernelINS0_14default_configENS1_20scan_config_selectorIiEEZZNS1_9scan_implILNS1_25lookback_scan_determinismE0ELb0ELb1ES3_N6thrust23THRUST_200600_302600_NS6detail15normal_iteratorINS9_10device_ptrIiEEEESE_iNS9_4plusIiEEiEEDaPvRmT3_T4_T5_mT6_P12ihipStream_tbENKUlT_T0_E_clISt17integral_constantIbLb1EESU_EEDaSP_SQ_EUlSP_E0_NS1_11comp_targetILNS1_3genE0ELNS1_11target_archE4294967295ELNS1_3gpuE0ELNS1_3repE0EEENS1_30default_config_static_selectorELNS0_4arch9wavefront6targetE1EEEvT1_: ; @_ZN7rocprim17ROCPRIM_400000_NS6detail17trampoline_kernelINS0_14default_configENS1_20scan_config_selectorIiEEZZNS1_9scan_implILNS1_25lookback_scan_determinismE0ELb0ELb1ES3_N6thrust23THRUST_200600_302600_NS6detail15normal_iteratorINS9_10device_ptrIiEEEESE_iNS9_4plusIiEEiEEDaPvRmT3_T4_T5_mT6_P12ihipStream_tbENKUlT_T0_E_clISt17integral_constantIbLb1EESU_EEDaSP_SQ_EUlSP_E0_NS1_11comp_targetILNS1_3genE0ELNS1_11target_archE4294967295ELNS1_3gpuE0ELNS1_3repE0EEENS1_30default_config_static_selectorELNS0_4arch9wavefront6targetE1EEEvT1_
; %bb.0:
	.section	.rodata,"a",@progbits
	.p2align	6, 0x0
	.amdhsa_kernel _ZN7rocprim17ROCPRIM_400000_NS6detail17trampoline_kernelINS0_14default_configENS1_20scan_config_selectorIiEEZZNS1_9scan_implILNS1_25lookback_scan_determinismE0ELb0ELb1ES3_N6thrust23THRUST_200600_302600_NS6detail15normal_iteratorINS9_10device_ptrIiEEEESE_iNS9_4plusIiEEiEEDaPvRmT3_T4_T5_mT6_P12ihipStream_tbENKUlT_T0_E_clISt17integral_constantIbLb1EESU_EEDaSP_SQ_EUlSP_E0_NS1_11comp_targetILNS1_3genE0ELNS1_11target_archE4294967295ELNS1_3gpuE0ELNS1_3repE0EEENS1_30default_config_static_selectorELNS0_4arch9wavefront6targetE1EEEvT1_
		.amdhsa_group_segment_fixed_size 0
		.amdhsa_private_segment_fixed_size 0
		.amdhsa_kernarg_size 32
		.amdhsa_user_sgpr_count 6
		.amdhsa_user_sgpr_private_segment_buffer 1
		.amdhsa_user_sgpr_dispatch_ptr 0
		.amdhsa_user_sgpr_queue_ptr 0
		.amdhsa_user_sgpr_kernarg_segment_ptr 1
		.amdhsa_user_sgpr_dispatch_id 0
		.amdhsa_user_sgpr_flat_scratch_init 0
		.amdhsa_user_sgpr_kernarg_preload_length 0
		.amdhsa_user_sgpr_kernarg_preload_offset 0
		.amdhsa_user_sgpr_private_segment_size 0
		.amdhsa_uses_dynamic_stack 0
		.amdhsa_system_sgpr_private_segment_wavefront_offset 0
		.amdhsa_system_sgpr_workgroup_id_x 1
		.amdhsa_system_sgpr_workgroup_id_y 0
		.amdhsa_system_sgpr_workgroup_id_z 0
		.amdhsa_system_sgpr_workgroup_info 0
		.amdhsa_system_vgpr_workitem_id 0
		.amdhsa_next_free_vgpr 1
		.amdhsa_next_free_sgpr 0
		.amdhsa_accum_offset 4
		.amdhsa_reserve_vcc 0
		.amdhsa_reserve_flat_scratch 0
		.amdhsa_float_round_mode_32 0
		.amdhsa_float_round_mode_16_64 0
		.amdhsa_float_denorm_mode_32 3
		.amdhsa_float_denorm_mode_16_64 3
		.amdhsa_dx10_clamp 1
		.amdhsa_ieee_mode 1
		.amdhsa_fp16_overflow 0
		.amdhsa_tg_split 0
		.amdhsa_exception_fp_ieee_invalid_op 0
		.amdhsa_exception_fp_denorm_src 0
		.amdhsa_exception_fp_ieee_div_zero 0
		.amdhsa_exception_fp_ieee_overflow 0
		.amdhsa_exception_fp_ieee_underflow 0
		.amdhsa_exception_fp_ieee_inexact 0
		.amdhsa_exception_int_div_zero 0
	.end_amdhsa_kernel
	.section	.text._ZN7rocprim17ROCPRIM_400000_NS6detail17trampoline_kernelINS0_14default_configENS1_20scan_config_selectorIiEEZZNS1_9scan_implILNS1_25lookback_scan_determinismE0ELb0ELb1ES3_N6thrust23THRUST_200600_302600_NS6detail15normal_iteratorINS9_10device_ptrIiEEEESE_iNS9_4plusIiEEiEEDaPvRmT3_T4_T5_mT6_P12ihipStream_tbENKUlT_T0_E_clISt17integral_constantIbLb1EESU_EEDaSP_SQ_EUlSP_E0_NS1_11comp_targetILNS1_3genE0ELNS1_11target_archE4294967295ELNS1_3gpuE0ELNS1_3repE0EEENS1_30default_config_static_selectorELNS0_4arch9wavefront6targetE1EEEvT1_,"axG",@progbits,_ZN7rocprim17ROCPRIM_400000_NS6detail17trampoline_kernelINS0_14default_configENS1_20scan_config_selectorIiEEZZNS1_9scan_implILNS1_25lookback_scan_determinismE0ELb0ELb1ES3_N6thrust23THRUST_200600_302600_NS6detail15normal_iteratorINS9_10device_ptrIiEEEESE_iNS9_4plusIiEEiEEDaPvRmT3_T4_T5_mT6_P12ihipStream_tbENKUlT_T0_E_clISt17integral_constantIbLb1EESU_EEDaSP_SQ_EUlSP_E0_NS1_11comp_targetILNS1_3genE0ELNS1_11target_archE4294967295ELNS1_3gpuE0ELNS1_3repE0EEENS1_30default_config_static_selectorELNS0_4arch9wavefront6targetE1EEEvT1_,comdat
.Lfunc_end759:
	.size	_ZN7rocprim17ROCPRIM_400000_NS6detail17trampoline_kernelINS0_14default_configENS1_20scan_config_selectorIiEEZZNS1_9scan_implILNS1_25lookback_scan_determinismE0ELb0ELb1ES3_N6thrust23THRUST_200600_302600_NS6detail15normal_iteratorINS9_10device_ptrIiEEEESE_iNS9_4plusIiEEiEEDaPvRmT3_T4_T5_mT6_P12ihipStream_tbENKUlT_T0_E_clISt17integral_constantIbLb1EESU_EEDaSP_SQ_EUlSP_E0_NS1_11comp_targetILNS1_3genE0ELNS1_11target_archE4294967295ELNS1_3gpuE0ELNS1_3repE0EEENS1_30default_config_static_selectorELNS0_4arch9wavefront6targetE1EEEvT1_, .Lfunc_end759-_ZN7rocprim17ROCPRIM_400000_NS6detail17trampoline_kernelINS0_14default_configENS1_20scan_config_selectorIiEEZZNS1_9scan_implILNS1_25lookback_scan_determinismE0ELb0ELb1ES3_N6thrust23THRUST_200600_302600_NS6detail15normal_iteratorINS9_10device_ptrIiEEEESE_iNS9_4plusIiEEiEEDaPvRmT3_T4_T5_mT6_P12ihipStream_tbENKUlT_T0_E_clISt17integral_constantIbLb1EESU_EEDaSP_SQ_EUlSP_E0_NS1_11comp_targetILNS1_3genE0ELNS1_11target_archE4294967295ELNS1_3gpuE0ELNS1_3repE0EEENS1_30default_config_static_selectorELNS0_4arch9wavefront6targetE1EEEvT1_
                                        ; -- End function
	.section	.AMDGPU.csdata,"",@progbits
; Kernel info:
; codeLenInByte = 0
; NumSgprs: 4
; NumVgprs: 0
; NumAgprs: 0
; TotalNumVgprs: 0
; ScratchSize: 0
; MemoryBound: 0
; FloatMode: 240
; IeeeMode: 1
; LDSByteSize: 0 bytes/workgroup (compile time only)
; SGPRBlocks: 0
; VGPRBlocks: 0
; NumSGPRsForWavesPerEU: 4
; NumVGPRsForWavesPerEU: 1
; AccumOffset: 4
; Occupancy: 8
; WaveLimiterHint : 0
; COMPUTE_PGM_RSRC2:SCRATCH_EN: 0
; COMPUTE_PGM_RSRC2:USER_SGPR: 6
; COMPUTE_PGM_RSRC2:TRAP_HANDLER: 0
; COMPUTE_PGM_RSRC2:TGID_X_EN: 1
; COMPUTE_PGM_RSRC2:TGID_Y_EN: 0
; COMPUTE_PGM_RSRC2:TGID_Z_EN: 0
; COMPUTE_PGM_RSRC2:TIDIG_COMP_CNT: 0
; COMPUTE_PGM_RSRC3_GFX90A:ACCUM_OFFSET: 0
; COMPUTE_PGM_RSRC3_GFX90A:TG_SPLIT: 0
	.section	.text._ZN7rocprim17ROCPRIM_400000_NS6detail17trampoline_kernelINS0_14default_configENS1_20scan_config_selectorIiEEZZNS1_9scan_implILNS1_25lookback_scan_determinismE0ELb0ELb1ES3_N6thrust23THRUST_200600_302600_NS6detail15normal_iteratorINS9_10device_ptrIiEEEESE_iNS9_4plusIiEEiEEDaPvRmT3_T4_T5_mT6_P12ihipStream_tbENKUlT_T0_E_clISt17integral_constantIbLb1EESU_EEDaSP_SQ_EUlSP_E0_NS1_11comp_targetILNS1_3genE5ELNS1_11target_archE942ELNS1_3gpuE9ELNS1_3repE0EEENS1_30default_config_static_selectorELNS0_4arch9wavefront6targetE1EEEvT1_,"axG",@progbits,_ZN7rocprim17ROCPRIM_400000_NS6detail17trampoline_kernelINS0_14default_configENS1_20scan_config_selectorIiEEZZNS1_9scan_implILNS1_25lookback_scan_determinismE0ELb0ELb1ES3_N6thrust23THRUST_200600_302600_NS6detail15normal_iteratorINS9_10device_ptrIiEEEESE_iNS9_4plusIiEEiEEDaPvRmT3_T4_T5_mT6_P12ihipStream_tbENKUlT_T0_E_clISt17integral_constantIbLb1EESU_EEDaSP_SQ_EUlSP_E0_NS1_11comp_targetILNS1_3genE5ELNS1_11target_archE942ELNS1_3gpuE9ELNS1_3repE0EEENS1_30default_config_static_selectorELNS0_4arch9wavefront6targetE1EEEvT1_,comdat
	.protected	_ZN7rocprim17ROCPRIM_400000_NS6detail17trampoline_kernelINS0_14default_configENS1_20scan_config_selectorIiEEZZNS1_9scan_implILNS1_25lookback_scan_determinismE0ELb0ELb1ES3_N6thrust23THRUST_200600_302600_NS6detail15normal_iteratorINS9_10device_ptrIiEEEESE_iNS9_4plusIiEEiEEDaPvRmT3_T4_T5_mT6_P12ihipStream_tbENKUlT_T0_E_clISt17integral_constantIbLb1EESU_EEDaSP_SQ_EUlSP_E0_NS1_11comp_targetILNS1_3genE5ELNS1_11target_archE942ELNS1_3gpuE9ELNS1_3repE0EEENS1_30default_config_static_selectorELNS0_4arch9wavefront6targetE1EEEvT1_ ; -- Begin function _ZN7rocprim17ROCPRIM_400000_NS6detail17trampoline_kernelINS0_14default_configENS1_20scan_config_selectorIiEEZZNS1_9scan_implILNS1_25lookback_scan_determinismE0ELb0ELb1ES3_N6thrust23THRUST_200600_302600_NS6detail15normal_iteratorINS9_10device_ptrIiEEEESE_iNS9_4plusIiEEiEEDaPvRmT3_T4_T5_mT6_P12ihipStream_tbENKUlT_T0_E_clISt17integral_constantIbLb1EESU_EEDaSP_SQ_EUlSP_E0_NS1_11comp_targetILNS1_3genE5ELNS1_11target_archE942ELNS1_3gpuE9ELNS1_3repE0EEENS1_30default_config_static_selectorELNS0_4arch9wavefront6targetE1EEEvT1_
	.globl	_ZN7rocprim17ROCPRIM_400000_NS6detail17trampoline_kernelINS0_14default_configENS1_20scan_config_selectorIiEEZZNS1_9scan_implILNS1_25lookback_scan_determinismE0ELb0ELb1ES3_N6thrust23THRUST_200600_302600_NS6detail15normal_iteratorINS9_10device_ptrIiEEEESE_iNS9_4plusIiEEiEEDaPvRmT3_T4_T5_mT6_P12ihipStream_tbENKUlT_T0_E_clISt17integral_constantIbLb1EESU_EEDaSP_SQ_EUlSP_E0_NS1_11comp_targetILNS1_3genE5ELNS1_11target_archE942ELNS1_3gpuE9ELNS1_3repE0EEENS1_30default_config_static_selectorELNS0_4arch9wavefront6targetE1EEEvT1_
	.p2align	8
	.type	_ZN7rocprim17ROCPRIM_400000_NS6detail17trampoline_kernelINS0_14default_configENS1_20scan_config_selectorIiEEZZNS1_9scan_implILNS1_25lookback_scan_determinismE0ELb0ELb1ES3_N6thrust23THRUST_200600_302600_NS6detail15normal_iteratorINS9_10device_ptrIiEEEESE_iNS9_4plusIiEEiEEDaPvRmT3_T4_T5_mT6_P12ihipStream_tbENKUlT_T0_E_clISt17integral_constantIbLb1EESU_EEDaSP_SQ_EUlSP_E0_NS1_11comp_targetILNS1_3genE5ELNS1_11target_archE942ELNS1_3gpuE9ELNS1_3repE0EEENS1_30default_config_static_selectorELNS0_4arch9wavefront6targetE1EEEvT1_,@function
_ZN7rocprim17ROCPRIM_400000_NS6detail17trampoline_kernelINS0_14default_configENS1_20scan_config_selectorIiEEZZNS1_9scan_implILNS1_25lookback_scan_determinismE0ELb0ELb1ES3_N6thrust23THRUST_200600_302600_NS6detail15normal_iteratorINS9_10device_ptrIiEEEESE_iNS9_4plusIiEEiEEDaPvRmT3_T4_T5_mT6_P12ihipStream_tbENKUlT_T0_E_clISt17integral_constantIbLb1EESU_EEDaSP_SQ_EUlSP_E0_NS1_11comp_targetILNS1_3genE5ELNS1_11target_archE942ELNS1_3gpuE9ELNS1_3repE0EEENS1_30default_config_static_selectorELNS0_4arch9wavefront6targetE1EEEvT1_: ; @_ZN7rocprim17ROCPRIM_400000_NS6detail17trampoline_kernelINS0_14default_configENS1_20scan_config_selectorIiEEZZNS1_9scan_implILNS1_25lookback_scan_determinismE0ELb0ELb1ES3_N6thrust23THRUST_200600_302600_NS6detail15normal_iteratorINS9_10device_ptrIiEEEESE_iNS9_4plusIiEEiEEDaPvRmT3_T4_T5_mT6_P12ihipStream_tbENKUlT_T0_E_clISt17integral_constantIbLb1EESU_EEDaSP_SQ_EUlSP_E0_NS1_11comp_targetILNS1_3genE5ELNS1_11target_archE942ELNS1_3gpuE9ELNS1_3repE0EEENS1_30default_config_static_selectorELNS0_4arch9wavefront6targetE1EEEvT1_
; %bb.0:
	.section	.rodata,"a",@progbits
	.p2align	6, 0x0
	.amdhsa_kernel _ZN7rocprim17ROCPRIM_400000_NS6detail17trampoline_kernelINS0_14default_configENS1_20scan_config_selectorIiEEZZNS1_9scan_implILNS1_25lookback_scan_determinismE0ELb0ELb1ES3_N6thrust23THRUST_200600_302600_NS6detail15normal_iteratorINS9_10device_ptrIiEEEESE_iNS9_4plusIiEEiEEDaPvRmT3_T4_T5_mT6_P12ihipStream_tbENKUlT_T0_E_clISt17integral_constantIbLb1EESU_EEDaSP_SQ_EUlSP_E0_NS1_11comp_targetILNS1_3genE5ELNS1_11target_archE942ELNS1_3gpuE9ELNS1_3repE0EEENS1_30default_config_static_selectorELNS0_4arch9wavefront6targetE1EEEvT1_
		.amdhsa_group_segment_fixed_size 0
		.amdhsa_private_segment_fixed_size 0
		.amdhsa_kernarg_size 32
		.amdhsa_user_sgpr_count 6
		.amdhsa_user_sgpr_private_segment_buffer 1
		.amdhsa_user_sgpr_dispatch_ptr 0
		.amdhsa_user_sgpr_queue_ptr 0
		.amdhsa_user_sgpr_kernarg_segment_ptr 1
		.amdhsa_user_sgpr_dispatch_id 0
		.amdhsa_user_sgpr_flat_scratch_init 0
		.amdhsa_user_sgpr_kernarg_preload_length 0
		.amdhsa_user_sgpr_kernarg_preload_offset 0
		.amdhsa_user_sgpr_private_segment_size 0
		.amdhsa_uses_dynamic_stack 0
		.amdhsa_system_sgpr_private_segment_wavefront_offset 0
		.amdhsa_system_sgpr_workgroup_id_x 1
		.amdhsa_system_sgpr_workgroup_id_y 0
		.amdhsa_system_sgpr_workgroup_id_z 0
		.amdhsa_system_sgpr_workgroup_info 0
		.amdhsa_system_vgpr_workitem_id 0
		.amdhsa_next_free_vgpr 1
		.amdhsa_next_free_sgpr 0
		.amdhsa_accum_offset 4
		.amdhsa_reserve_vcc 0
		.amdhsa_reserve_flat_scratch 0
		.amdhsa_float_round_mode_32 0
		.amdhsa_float_round_mode_16_64 0
		.amdhsa_float_denorm_mode_32 3
		.amdhsa_float_denorm_mode_16_64 3
		.amdhsa_dx10_clamp 1
		.amdhsa_ieee_mode 1
		.amdhsa_fp16_overflow 0
		.amdhsa_tg_split 0
		.amdhsa_exception_fp_ieee_invalid_op 0
		.amdhsa_exception_fp_denorm_src 0
		.amdhsa_exception_fp_ieee_div_zero 0
		.amdhsa_exception_fp_ieee_overflow 0
		.amdhsa_exception_fp_ieee_underflow 0
		.amdhsa_exception_fp_ieee_inexact 0
		.amdhsa_exception_int_div_zero 0
	.end_amdhsa_kernel
	.section	.text._ZN7rocprim17ROCPRIM_400000_NS6detail17trampoline_kernelINS0_14default_configENS1_20scan_config_selectorIiEEZZNS1_9scan_implILNS1_25lookback_scan_determinismE0ELb0ELb1ES3_N6thrust23THRUST_200600_302600_NS6detail15normal_iteratorINS9_10device_ptrIiEEEESE_iNS9_4plusIiEEiEEDaPvRmT3_T4_T5_mT6_P12ihipStream_tbENKUlT_T0_E_clISt17integral_constantIbLb1EESU_EEDaSP_SQ_EUlSP_E0_NS1_11comp_targetILNS1_3genE5ELNS1_11target_archE942ELNS1_3gpuE9ELNS1_3repE0EEENS1_30default_config_static_selectorELNS0_4arch9wavefront6targetE1EEEvT1_,"axG",@progbits,_ZN7rocprim17ROCPRIM_400000_NS6detail17trampoline_kernelINS0_14default_configENS1_20scan_config_selectorIiEEZZNS1_9scan_implILNS1_25lookback_scan_determinismE0ELb0ELb1ES3_N6thrust23THRUST_200600_302600_NS6detail15normal_iteratorINS9_10device_ptrIiEEEESE_iNS9_4plusIiEEiEEDaPvRmT3_T4_T5_mT6_P12ihipStream_tbENKUlT_T0_E_clISt17integral_constantIbLb1EESU_EEDaSP_SQ_EUlSP_E0_NS1_11comp_targetILNS1_3genE5ELNS1_11target_archE942ELNS1_3gpuE9ELNS1_3repE0EEENS1_30default_config_static_selectorELNS0_4arch9wavefront6targetE1EEEvT1_,comdat
.Lfunc_end760:
	.size	_ZN7rocprim17ROCPRIM_400000_NS6detail17trampoline_kernelINS0_14default_configENS1_20scan_config_selectorIiEEZZNS1_9scan_implILNS1_25lookback_scan_determinismE0ELb0ELb1ES3_N6thrust23THRUST_200600_302600_NS6detail15normal_iteratorINS9_10device_ptrIiEEEESE_iNS9_4plusIiEEiEEDaPvRmT3_T4_T5_mT6_P12ihipStream_tbENKUlT_T0_E_clISt17integral_constantIbLb1EESU_EEDaSP_SQ_EUlSP_E0_NS1_11comp_targetILNS1_3genE5ELNS1_11target_archE942ELNS1_3gpuE9ELNS1_3repE0EEENS1_30default_config_static_selectorELNS0_4arch9wavefront6targetE1EEEvT1_, .Lfunc_end760-_ZN7rocprim17ROCPRIM_400000_NS6detail17trampoline_kernelINS0_14default_configENS1_20scan_config_selectorIiEEZZNS1_9scan_implILNS1_25lookback_scan_determinismE0ELb0ELb1ES3_N6thrust23THRUST_200600_302600_NS6detail15normal_iteratorINS9_10device_ptrIiEEEESE_iNS9_4plusIiEEiEEDaPvRmT3_T4_T5_mT6_P12ihipStream_tbENKUlT_T0_E_clISt17integral_constantIbLb1EESU_EEDaSP_SQ_EUlSP_E0_NS1_11comp_targetILNS1_3genE5ELNS1_11target_archE942ELNS1_3gpuE9ELNS1_3repE0EEENS1_30default_config_static_selectorELNS0_4arch9wavefront6targetE1EEEvT1_
                                        ; -- End function
	.section	.AMDGPU.csdata,"",@progbits
; Kernel info:
; codeLenInByte = 0
; NumSgprs: 4
; NumVgprs: 0
; NumAgprs: 0
; TotalNumVgprs: 0
; ScratchSize: 0
; MemoryBound: 0
; FloatMode: 240
; IeeeMode: 1
; LDSByteSize: 0 bytes/workgroup (compile time only)
; SGPRBlocks: 0
; VGPRBlocks: 0
; NumSGPRsForWavesPerEU: 4
; NumVGPRsForWavesPerEU: 1
; AccumOffset: 4
; Occupancy: 8
; WaveLimiterHint : 0
; COMPUTE_PGM_RSRC2:SCRATCH_EN: 0
; COMPUTE_PGM_RSRC2:USER_SGPR: 6
; COMPUTE_PGM_RSRC2:TRAP_HANDLER: 0
; COMPUTE_PGM_RSRC2:TGID_X_EN: 1
; COMPUTE_PGM_RSRC2:TGID_Y_EN: 0
; COMPUTE_PGM_RSRC2:TGID_Z_EN: 0
; COMPUTE_PGM_RSRC2:TIDIG_COMP_CNT: 0
; COMPUTE_PGM_RSRC3_GFX90A:ACCUM_OFFSET: 0
; COMPUTE_PGM_RSRC3_GFX90A:TG_SPLIT: 0
	.section	.text._ZN7rocprim17ROCPRIM_400000_NS6detail17trampoline_kernelINS0_14default_configENS1_20scan_config_selectorIiEEZZNS1_9scan_implILNS1_25lookback_scan_determinismE0ELb0ELb1ES3_N6thrust23THRUST_200600_302600_NS6detail15normal_iteratorINS9_10device_ptrIiEEEESE_iNS9_4plusIiEEiEEDaPvRmT3_T4_T5_mT6_P12ihipStream_tbENKUlT_T0_E_clISt17integral_constantIbLb1EESU_EEDaSP_SQ_EUlSP_E0_NS1_11comp_targetILNS1_3genE4ELNS1_11target_archE910ELNS1_3gpuE8ELNS1_3repE0EEENS1_30default_config_static_selectorELNS0_4arch9wavefront6targetE1EEEvT1_,"axG",@progbits,_ZN7rocprim17ROCPRIM_400000_NS6detail17trampoline_kernelINS0_14default_configENS1_20scan_config_selectorIiEEZZNS1_9scan_implILNS1_25lookback_scan_determinismE0ELb0ELb1ES3_N6thrust23THRUST_200600_302600_NS6detail15normal_iteratorINS9_10device_ptrIiEEEESE_iNS9_4plusIiEEiEEDaPvRmT3_T4_T5_mT6_P12ihipStream_tbENKUlT_T0_E_clISt17integral_constantIbLb1EESU_EEDaSP_SQ_EUlSP_E0_NS1_11comp_targetILNS1_3genE4ELNS1_11target_archE910ELNS1_3gpuE8ELNS1_3repE0EEENS1_30default_config_static_selectorELNS0_4arch9wavefront6targetE1EEEvT1_,comdat
	.protected	_ZN7rocprim17ROCPRIM_400000_NS6detail17trampoline_kernelINS0_14default_configENS1_20scan_config_selectorIiEEZZNS1_9scan_implILNS1_25lookback_scan_determinismE0ELb0ELb1ES3_N6thrust23THRUST_200600_302600_NS6detail15normal_iteratorINS9_10device_ptrIiEEEESE_iNS9_4plusIiEEiEEDaPvRmT3_T4_T5_mT6_P12ihipStream_tbENKUlT_T0_E_clISt17integral_constantIbLb1EESU_EEDaSP_SQ_EUlSP_E0_NS1_11comp_targetILNS1_3genE4ELNS1_11target_archE910ELNS1_3gpuE8ELNS1_3repE0EEENS1_30default_config_static_selectorELNS0_4arch9wavefront6targetE1EEEvT1_ ; -- Begin function _ZN7rocprim17ROCPRIM_400000_NS6detail17trampoline_kernelINS0_14default_configENS1_20scan_config_selectorIiEEZZNS1_9scan_implILNS1_25lookback_scan_determinismE0ELb0ELb1ES3_N6thrust23THRUST_200600_302600_NS6detail15normal_iteratorINS9_10device_ptrIiEEEESE_iNS9_4plusIiEEiEEDaPvRmT3_T4_T5_mT6_P12ihipStream_tbENKUlT_T0_E_clISt17integral_constantIbLb1EESU_EEDaSP_SQ_EUlSP_E0_NS1_11comp_targetILNS1_3genE4ELNS1_11target_archE910ELNS1_3gpuE8ELNS1_3repE0EEENS1_30default_config_static_selectorELNS0_4arch9wavefront6targetE1EEEvT1_
	.globl	_ZN7rocprim17ROCPRIM_400000_NS6detail17trampoline_kernelINS0_14default_configENS1_20scan_config_selectorIiEEZZNS1_9scan_implILNS1_25lookback_scan_determinismE0ELb0ELb1ES3_N6thrust23THRUST_200600_302600_NS6detail15normal_iteratorINS9_10device_ptrIiEEEESE_iNS9_4plusIiEEiEEDaPvRmT3_T4_T5_mT6_P12ihipStream_tbENKUlT_T0_E_clISt17integral_constantIbLb1EESU_EEDaSP_SQ_EUlSP_E0_NS1_11comp_targetILNS1_3genE4ELNS1_11target_archE910ELNS1_3gpuE8ELNS1_3repE0EEENS1_30default_config_static_selectorELNS0_4arch9wavefront6targetE1EEEvT1_
	.p2align	8
	.type	_ZN7rocprim17ROCPRIM_400000_NS6detail17trampoline_kernelINS0_14default_configENS1_20scan_config_selectorIiEEZZNS1_9scan_implILNS1_25lookback_scan_determinismE0ELb0ELb1ES3_N6thrust23THRUST_200600_302600_NS6detail15normal_iteratorINS9_10device_ptrIiEEEESE_iNS9_4plusIiEEiEEDaPvRmT3_T4_T5_mT6_P12ihipStream_tbENKUlT_T0_E_clISt17integral_constantIbLb1EESU_EEDaSP_SQ_EUlSP_E0_NS1_11comp_targetILNS1_3genE4ELNS1_11target_archE910ELNS1_3gpuE8ELNS1_3repE0EEENS1_30default_config_static_selectorELNS0_4arch9wavefront6targetE1EEEvT1_,@function
_ZN7rocprim17ROCPRIM_400000_NS6detail17trampoline_kernelINS0_14default_configENS1_20scan_config_selectorIiEEZZNS1_9scan_implILNS1_25lookback_scan_determinismE0ELb0ELb1ES3_N6thrust23THRUST_200600_302600_NS6detail15normal_iteratorINS9_10device_ptrIiEEEESE_iNS9_4plusIiEEiEEDaPvRmT3_T4_T5_mT6_P12ihipStream_tbENKUlT_T0_E_clISt17integral_constantIbLb1EESU_EEDaSP_SQ_EUlSP_E0_NS1_11comp_targetILNS1_3genE4ELNS1_11target_archE910ELNS1_3gpuE8ELNS1_3repE0EEENS1_30default_config_static_selectorELNS0_4arch9wavefront6targetE1EEEvT1_: ; @_ZN7rocprim17ROCPRIM_400000_NS6detail17trampoline_kernelINS0_14default_configENS1_20scan_config_selectorIiEEZZNS1_9scan_implILNS1_25lookback_scan_determinismE0ELb0ELb1ES3_N6thrust23THRUST_200600_302600_NS6detail15normal_iteratorINS9_10device_ptrIiEEEESE_iNS9_4plusIiEEiEEDaPvRmT3_T4_T5_mT6_P12ihipStream_tbENKUlT_T0_E_clISt17integral_constantIbLb1EESU_EEDaSP_SQ_EUlSP_E0_NS1_11comp_targetILNS1_3genE4ELNS1_11target_archE910ELNS1_3gpuE8ELNS1_3repE0EEENS1_30default_config_static_selectorELNS0_4arch9wavefront6targetE1EEEvT1_
; %bb.0:
	s_load_dwordx4 s[20:23], s[4:5], 0x0
	v_lshlrev_b32_e32 v18, 2, v0
	s_waitcnt lgkmcnt(0)
	s_load_dword s23, s[20:21], 0x0
	v_cmp_gt_u32_e32 vcc, s22, v0
	s_waitcnt lgkmcnt(0)
	v_mov_b32_e32 v1, s23
	s_and_saveexec_b64 s[0:1], vcc
	s_cbranch_execz .LBB761_2
; %bb.1:
	global_load_dword v1, v18, s[20:21]
.LBB761_2:
	s_or_b64 exec, exec, s[0:1]
	v_or_b32_e32 v2, 0x80, v0
	v_cmp_gt_u32_e64 s[0:1], s22, v2
	v_mov_b32_e32 v2, s23
	s_and_saveexec_b64 s[2:3], s[0:1]
	s_cbranch_execz .LBB761_4
; %bb.3:
	global_load_dword v2, v18, s[20:21] offset:512
.LBB761_4:
	s_or_b64 exec, exec, s[2:3]
	v_or_b32_e32 v3, 0x100, v0
	v_cmp_gt_u32_e64 s[2:3], s22, v3
	v_mov_b32_e32 v3, s23
	s_and_saveexec_b64 s[6:7], s[2:3]
	s_cbranch_execz .LBB761_6
; %bb.5:
	global_load_dword v3, v18, s[20:21] offset:1024
.LBB761_6:
	;; [unrolled: 9-line block ×7, first 2 shown]
	s_or_b64 exec, exec, s[14:15]
	v_or_b32_e32 v10, 0x400, v0
	v_cmp_gt_u32_e64 s[14:15], s22, v10
	v_mov_b32_e32 v9, s23
	s_and_saveexec_b64 s[16:17], s[14:15]
	s_cbranch_execz .LBB761_18
; %bb.17:
	v_lshlrev_b32_e32 v9, 2, v10
	global_load_dword v9, v9, s[20:21]
.LBB761_18:
	s_or_b64 exec, exec, s[16:17]
	v_or_b32_e32 v11, 0x480, v0
	v_cmp_gt_u32_e64 s[16:17], s22, v11
	v_mov_b32_e32 v10, s23
	s_and_saveexec_b64 s[22:23], s[16:17]
	s_cbranch_execz .LBB761_20
; %bb.19:
	v_lshlrev_b32_e32 v10, 2, v11
	global_load_dword v10, v10, s[20:21]
.LBB761_20:
	s_or_b64 exec, exec, s[22:23]
	s_waitcnt vmcnt(0)
	ds_write2st64_b32 v18, v1, v2 offset1:2
	ds_write2st64_b32 v18, v3, v4 offset0:4 offset1:6
	ds_write2st64_b32 v18, v5, v6 offset0:8 offset1:10
	;; [unrolled: 1-line block ×4, first 2 shown]
	v_mad_u32_u24 v1, v0, 36, v18
	s_waitcnt lgkmcnt(0)
	s_barrier
	ds_read2_b64 v[6:9], v1 offset1:1
	ds_read2_b64 v[2:5], v1 offset0:2 offset1:3
	ds_read_b64 v[10:11], v1 offset:32
	v_lshrrev_b32_e32 v20, 3, v0
	v_and_b32_e32 v20, 12, v20
	s_waitcnt lgkmcnt(2)
	v_add_u32_e32 v1, v7, v6
	v_add_u32_e32 v12, v1, v8
	;; [unrolled: 1-line block ×3, first 2 shown]
	s_waitcnt lgkmcnt(1)
	v_add_u32_e32 v14, v13, v2
	v_add_u32_e32 v17, v14, v3
	;; [unrolled: 1-line block ×4, first 2 shown]
	s_waitcnt lgkmcnt(0)
	v_add3_u32 v19, v15, v10, v11
	v_add_u32_e32 v20, v18, v20
	v_cmp_gt_u32_e64 s[20:21], 64, v0
	s_barrier
	ds_write_b32 v20, v19
	s_waitcnt lgkmcnt(0)
	s_barrier
	s_and_saveexec_b64 s[22:23], s[20:21]
	s_cbranch_execz .LBB761_22
; %bb.21:
	v_lshlrev_b32_e32 v20, 1, v0
	v_lshrrev_b32_e32 v21, 4, v0
	v_add_lshl_u32 v22, v21, v20, 2
	ds_read2_b32 v[20:21], v22 offset1:1
	v_mbcnt_lo_u32_b32 v23, -1, 0
	v_mbcnt_hi_u32_b32 v23, -1, v23
	v_and_b32_e32 v24, 15, v23
	v_cmp_ne_u32_e64 s[20:21], 0, v24
	s_waitcnt lgkmcnt(0)
	v_add_u32_e32 v21, v21, v20
	; wave barrier
	s_nop 1
	v_mov_b32_dpp v25, v21 row_shr:1 row_mask:0xf bank_mask:0xf
	v_cndmask_b32_e64 v25, 0, v25, s[20:21]
	v_add_u32_e32 v21, v25, v21
	v_cmp_lt_u32_e64 s[20:21], 1, v24
	s_nop 0
	v_mov_b32_dpp v25, v21 row_shr:2 row_mask:0xf bank_mask:0xf
	v_cndmask_b32_e64 v25, 0, v25, s[20:21]
	v_add_u32_e32 v21, v21, v25
	v_cmp_lt_u32_e64 s[20:21], 3, v24
	;; [unrolled: 5-line block ×3, first 2 shown]
	s_nop 0
	v_mov_b32_dpp v25, v21 row_shr:8 row_mask:0xf bank_mask:0xf
	v_cndmask_b32_e64 v24, 0, v25, s[20:21]
	v_add_u32_e32 v21, v21, v24
	v_bfe_i32 v25, v23, 4, 1
	v_cmp_lt_u32_e64 s[20:21], 31, v23
	v_mov_b32_dpp v24, v21 row_bcast:15 row_mask:0xf bank_mask:0xf
	v_and_b32_e32 v24, v25, v24
	v_add_u32_e32 v21, v21, v24
	v_and_b32_e32 v25, 64, v23
	s_nop 0
	v_mov_b32_dpp v24, v21 row_bcast:31 row_mask:0xf bank_mask:0xf
	v_cndmask_b32_e64 v24, 0, v24, s[20:21]
	v_add_u32_e32 v21, v21, v24
	v_add_u32_e32 v24, -1, v23
	v_cmp_lt_i32_e64 s[20:21], v24, v25
	v_cndmask_b32_e64 v23, v24, v23, s[20:21]
	v_lshlrev_b32_e32 v23, 2, v23
	ds_bpermute_b32 v21, v23, v21
	v_cmp_eq_u32_e64 s[20:21], 0, v0
	s_waitcnt lgkmcnt(0)
	v_add_u32_e32 v20, v21, v20
	v_cndmask_b32_e64 v20, v20, v19, s[20:21]
	ds_write_b32 v22, v20
	; wave barrier
	ds_read_b32 v21, v22 offset:4
	s_waitcnt lgkmcnt(0)
	v_add_u32_e32 v20, v21, v20
	ds_write_b32 v22, v20 offset:4
.LBB761_22:
	s_or_b64 exec, exec, s[22:23]
	s_load_dwordx2 s[22:23], s[4:5], 0x18
	v_cmp_ne_u32_e64 s[20:21], 0, v0
	s_waitcnt lgkmcnt(0)
	s_barrier
	s_and_saveexec_b64 s[24:25], s[20:21]
	s_cbranch_execz .LBB761_24
; %bb.23:
	v_add_u32_e32 v19, -1, v0
	v_lshrrev_b32_e32 v20, 5, v19
	v_add_lshl_u32 v19, v20, v19, 2
	ds_read_b32 v19, v19
.LBB761_24:
	s_or_b64 exec, exec, s[24:25]
	s_load_dword s24, s[4:5], 0x10
	v_mul_u32_u24_e32 v20, 36, v0
	v_mov_b32_e32 v0, v6
	s_and_saveexec_b64 s[4:5], s[20:21]
	s_cbranch_execz .LBB761_26
; %bb.25:
	s_waitcnt lgkmcnt(0)
	v_add_u32_e32 v0, v19, v6
	v_add_u32_e32 v1, v0, v7
	;; [unrolled: 1-line block ×8, first 2 shown]
	;;#ASMSTART
	;;#ASMEND
.LBB761_26:
	s_or_b64 exec, exec, s[4:5]
	s_waitcnt lgkmcnt(0)
	v_add3_u32 v8, v10, s24, v15
	v_add_u32_e32 v1, s24, v1
	v_add_u32_e32 v0, s24, v0
	;; [unrolled: 1-line block ×10, first 2 shown]
	s_barrier
	ds_write2_b64 v10, v[0:1], v[2:3] offset1:1
	ds_write2_b64 v10, v[4:5], v[6:7] offset0:2 offset1:3
	ds_write_b64 v10, v[8:9] offset:32
	s_waitcnt lgkmcnt(0)
	s_barrier
	ds_read2st64_b32 v[8:9], v18 offset0:2 offset1:4
	ds_read2st64_b32 v[6:7], v18 offset0:6 offset1:8
	;; [unrolled: 1-line block ×4, first 2 shown]
	ds_read_b32 v10, v18 offset:4608
	v_mov_b32_e32 v1, s23
	v_add_co_u32_e64 v0, s[4:5], s22, v18
	v_addc_co_u32_e64 v1, s[4:5], 0, v1, s[4:5]
	s_and_saveexec_b64 s[4:5], vcc
	s_cbranch_execnz .LBB761_37
; %bb.27:
	s_or_b64 exec, exec, s[4:5]
	s_and_saveexec_b64 s[4:5], s[0:1]
	s_cbranch_execnz .LBB761_38
.LBB761_28:
	s_or_b64 exec, exec, s[4:5]
	s_and_saveexec_b64 s[0:1], s[2:3]
	s_cbranch_execnz .LBB761_39
.LBB761_29:
	s_or_b64 exec, exec, s[0:1]
	s_and_saveexec_b64 s[0:1], s[18:19]
	s_cbranch_execnz .LBB761_40
.LBB761_30:
	s_or_b64 exec, exec, s[0:1]
	s_and_saveexec_b64 s[0:1], s[6:7]
	s_cbranch_execnz .LBB761_41
.LBB761_31:
	s_or_b64 exec, exec, s[0:1]
	s_and_saveexec_b64 s[0:1], s[8:9]
	s_cbranch_execnz .LBB761_42
.LBB761_32:
	s_or_b64 exec, exec, s[0:1]
	s_and_saveexec_b64 s[0:1], s[10:11]
	s_cbranch_execnz .LBB761_43
.LBB761_33:
	s_or_b64 exec, exec, s[0:1]
	s_and_saveexec_b64 s[0:1], s[12:13]
	s_cbranch_execnz .LBB761_44
.LBB761_34:
	s_or_b64 exec, exec, s[0:1]
	s_and_saveexec_b64 s[0:1], s[14:15]
	s_cbranch_execnz .LBB761_45
.LBB761_35:
	s_or_b64 exec, exec, s[0:1]
	s_and_saveexec_b64 s[0:1], s[16:17]
	s_cbranch_execnz .LBB761_46
.LBB761_36:
	s_endpgm
.LBB761_37:
	ds_read_b32 v11, v18
	s_waitcnt lgkmcnt(0)
	global_store_dword v[0:1], v11, off
	s_or_b64 exec, exec, s[4:5]
	s_and_saveexec_b64 s[4:5], s[0:1]
	s_cbranch_execz .LBB761_28
.LBB761_38:
	s_waitcnt lgkmcnt(4)
	global_store_dword v[0:1], v8, off offset:512
	s_or_b64 exec, exec, s[4:5]
	s_and_saveexec_b64 s[0:1], s[2:3]
	s_cbranch_execz .LBB761_29
.LBB761_39:
	s_waitcnt lgkmcnt(4)
	global_store_dword v[0:1], v9, off offset:1024
	s_or_b64 exec, exec, s[0:1]
	s_and_saveexec_b64 s[0:1], s[18:19]
	s_cbranch_execz .LBB761_30
.LBB761_40:
	s_waitcnt lgkmcnt(3)
	global_store_dword v[0:1], v6, off offset:1536
	s_or_b64 exec, exec, s[0:1]
	s_and_saveexec_b64 s[0:1], s[6:7]
	s_cbranch_execz .LBB761_31
.LBB761_41:
	s_waitcnt lgkmcnt(3)
	global_store_dword v[0:1], v7, off offset:2048
	s_or_b64 exec, exec, s[0:1]
	s_and_saveexec_b64 s[0:1], s[8:9]
	s_cbranch_execz .LBB761_32
.LBB761_42:
	s_waitcnt lgkmcnt(2)
	global_store_dword v[0:1], v4, off offset:2560
	s_or_b64 exec, exec, s[0:1]
	s_and_saveexec_b64 s[0:1], s[10:11]
	s_cbranch_execz .LBB761_33
.LBB761_43:
	s_waitcnt lgkmcnt(2)
	global_store_dword v[0:1], v5, off offset:3072
	s_or_b64 exec, exec, s[0:1]
	s_and_saveexec_b64 s[0:1], s[12:13]
	s_cbranch_execz .LBB761_34
.LBB761_44:
	s_waitcnt lgkmcnt(1)
	global_store_dword v[0:1], v2, off offset:3584
	s_or_b64 exec, exec, s[0:1]
	s_and_saveexec_b64 s[0:1], s[14:15]
	s_cbranch_execz .LBB761_35
.LBB761_45:
	s_waitcnt lgkmcnt(2)
	v_add_co_u32_e32 v4, vcc, 0x1000, v0
	v_addc_co_u32_e32 v5, vcc, 0, v1, vcc
	s_waitcnt lgkmcnt(1)
	global_store_dword v[4:5], v3, off
	s_or_b64 exec, exec, s[0:1]
	s_and_saveexec_b64 s[0:1], s[16:17]
	s_cbranch_execz .LBB761_36
.LBB761_46:
	v_add_co_u32_e32 v0, vcc, 0x1000, v0
	v_addc_co_u32_e32 v1, vcc, 0, v1, vcc
	s_waitcnt lgkmcnt(0)
	global_store_dword v[0:1], v10, off offset:512
	s_endpgm
	.section	.rodata,"a",@progbits
	.p2align	6, 0x0
	.amdhsa_kernel _ZN7rocprim17ROCPRIM_400000_NS6detail17trampoline_kernelINS0_14default_configENS1_20scan_config_selectorIiEEZZNS1_9scan_implILNS1_25lookback_scan_determinismE0ELb0ELb1ES3_N6thrust23THRUST_200600_302600_NS6detail15normal_iteratorINS9_10device_ptrIiEEEESE_iNS9_4plusIiEEiEEDaPvRmT3_T4_T5_mT6_P12ihipStream_tbENKUlT_T0_E_clISt17integral_constantIbLb1EESU_EEDaSP_SQ_EUlSP_E0_NS1_11comp_targetILNS1_3genE4ELNS1_11target_archE910ELNS1_3gpuE8ELNS1_3repE0EEENS1_30default_config_static_selectorELNS0_4arch9wavefront6targetE1EEEvT1_
		.amdhsa_group_segment_fixed_size 5120
		.amdhsa_private_segment_fixed_size 0
		.amdhsa_kernarg_size 32
		.amdhsa_user_sgpr_count 6
		.amdhsa_user_sgpr_private_segment_buffer 1
		.amdhsa_user_sgpr_dispatch_ptr 0
		.amdhsa_user_sgpr_queue_ptr 0
		.amdhsa_user_sgpr_kernarg_segment_ptr 1
		.amdhsa_user_sgpr_dispatch_id 0
		.amdhsa_user_sgpr_flat_scratch_init 0
		.amdhsa_user_sgpr_kernarg_preload_length 0
		.amdhsa_user_sgpr_kernarg_preload_offset 0
		.amdhsa_user_sgpr_private_segment_size 0
		.amdhsa_uses_dynamic_stack 0
		.amdhsa_system_sgpr_private_segment_wavefront_offset 0
		.amdhsa_system_sgpr_workgroup_id_x 1
		.amdhsa_system_sgpr_workgroup_id_y 0
		.amdhsa_system_sgpr_workgroup_id_z 0
		.amdhsa_system_sgpr_workgroup_info 0
		.amdhsa_system_vgpr_workitem_id 0
		.amdhsa_next_free_vgpr 26
		.amdhsa_next_free_sgpr 26
		.amdhsa_accum_offset 28
		.amdhsa_reserve_vcc 1
		.amdhsa_reserve_flat_scratch 0
		.amdhsa_float_round_mode_32 0
		.amdhsa_float_round_mode_16_64 0
		.amdhsa_float_denorm_mode_32 3
		.amdhsa_float_denorm_mode_16_64 3
		.amdhsa_dx10_clamp 1
		.amdhsa_ieee_mode 1
		.amdhsa_fp16_overflow 0
		.amdhsa_tg_split 0
		.amdhsa_exception_fp_ieee_invalid_op 0
		.amdhsa_exception_fp_denorm_src 0
		.amdhsa_exception_fp_ieee_div_zero 0
		.amdhsa_exception_fp_ieee_overflow 0
		.amdhsa_exception_fp_ieee_underflow 0
		.amdhsa_exception_fp_ieee_inexact 0
		.amdhsa_exception_int_div_zero 0
	.end_amdhsa_kernel
	.section	.text._ZN7rocprim17ROCPRIM_400000_NS6detail17trampoline_kernelINS0_14default_configENS1_20scan_config_selectorIiEEZZNS1_9scan_implILNS1_25lookback_scan_determinismE0ELb0ELb1ES3_N6thrust23THRUST_200600_302600_NS6detail15normal_iteratorINS9_10device_ptrIiEEEESE_iNS9_4plusIiEEiEEDaPvRmT3_T4_T5_mT6_P12ihipStream_tbENKUlT_T0_E_clISt17integral_constantIbLb1EESU_EEDaSP_SQ_EUlSP_E0_NS1_11comp_targetILNS1_3genE4ELNS1_11target_archE910ELNS1_3gpuE8ELNS1_3repE0EEENS1_30default_config_static_selectorELNS0_4arch9wavefront6targetE1EEEvT1_,"axG",@progbits,_ZN7rocprim17ROCPRIM_400000_NS6detail17trampoline_kernelINS0_14default_configENS1_20scan_config_selectorIiEEZZNS1_9scan_implILNS1_25lookback_scan_determinismE0ELb0ELb1ES3_N6thrust23THRUST_200600_302600_NS6detail15normal_iteratorINS9_10device_ptrIiEEEESE_iNS9_4plusIiEEiEEDaPvRmT3_T4_T5_mT6_P12ihipStream_tbENKUlT_T0_E_clISt17integral_constantIbLb1EESU_EEDaSP_SQ_EUlSP_E0_NS1_11comp_targetILNS1_3genE4ELNS1_11target_archE910ELNS1_3gpuE8ELNS1_3repE0EEENS1_30default_config_static_selectorELNS0_4arch9wavefront6targetE1EEEvT1_,comdat
.Lfunc_end761:
	.size	_ZN7rocprim17ROCPRIM_400000_NS6detail17trampoline_kernelINS0_14default_configENS1_20scan_config_selectorIiEEZZNS1_9scan_implILNS1_25lookback_scan_determinismE0ELb0ELb1ES3_N6thrust23THRUST_200600_302600_NS6detail15normal_iteratorINS9_10device_ptrIiEEEESE_iNS9_4plusIiEEiEEDaPvRmT3_T4_T5_mT6_P12ihipStream_tbENKUlT_T0_E_clISt17integral_constantIbLb1EESU_EEDaSP_SQ_EUlSP_E0_NS1_11comp_targetILNS1_3genE4ELNS1_11target_archE910ELNS1_3gpuE8ELNS1_3repE0EEENS1_30default_config_static_selectorELNS0_4arch9wavefront6targetE1EEEvT1_, .Lfunc_end761-_ZN7rocprim17ROCPRIM_400000_NS6detail17trampoline_kernelINS0_14default_configENS1_20scan_config_selectorIiEEZZNS1_9scan_implILNS1_25lookback_scan_determinismE0ELb0ELb1ES3_N6thrust23THRUST_200600_302600_NS6detail15normal_iteratorINS9_10device_ptrIiEEEESE_iNS9_4plusIiEEiEEDaPvRmT3_T4_T5_mT6_P12ihipStream_tbENKUlT_T0_E_clISt17integral_constantIbLb1EESU_EEDaSP_SQ_EUlSP_E0_NS1_11comp_targetILNS1_3genE4ELNS1_11target_archE910ELNS1_3gpuE8ELNS1_3repE0EEENS1_30default_config_static_selectorELNS0_4arch9wavefront6targetE1EEEvT1_
                                        ; -- End function
	.section	.AMDGPU.csdata,"",@progbits
; Kernel info:
; codeLenInByte = 1596
; NumSgprs: 30
; NumVgprs: 26
; NumAgprs: 0
; TotalNumVgprs: 26
; ScratchSize: 0
; MemoryBound: 0
; FloatMode: 240
; IeeeMode: 1
; LDSByteSize: 5120 bytes/workgroup (compile time only)
; SGPRBlocks: 3
; VGPRBlocks: 3
; NumSGPRsForWavesPerEU: 30
; NumVGPRsForWavesPerEU: 26
; AccumOffset: 28
; Occupancy: 6
; WaveLimiterHint : 0
; COMPUTE_PGM_RSRC2:SCRATCH_EN: 0
; COMPUTE_PGM_RSRC2:USER_SGPR: 6
; COMPUTE_PGM_RSRC2:TRAP_HANDLER: 0
; COMPUTE_PGM_RSRC2:TGID_X_EN: 1
; COMPUTE_PGM_RSRC2:TGID_Y_EN: 0
; COMPUTE_PGM_RSRC2:TGID_Z_EN: 0
; COMPUTE_PGM_RSRC2:TIDIG_COMP_CNT: 0
; COMPUTE_PGM_RSRC3_GFX90A:ACCUM_OFFSET: 6
; COMPUTE_PGM_RSRC3_GFX90A:TG_SPLIT: 0
	.section	.text._ZN7rocprim17ROCPRIM_400000_NS6detail17trampoline_kernelINS0_14default_configENS1_20scan_config_selectorIiEEZZNS1_9scan_implILNS1_25lookback_scan_determinismE0ELb0ELb1ES3_N6thrust23THRUST_200600_302600_NS6detail15normal_iteratorINS9_10device_ptrIiEEEESE_iNS9_4plusIiEEiEEDaPvRmT3_T4_T5_mT6_P12ihipStream_tbENKUlT_T0_E_clISt17integral_constantIbLb1EESU_EEDaSP_SQ_EUlSP_E0_NS1_11comp_targetILNS1_3genE3ELNS1_11target_archE908ELNS1_3gpuE7ELNS1_3repE0EEENS1_30default_config_static_selectorELNS0_4arch9wavefront6targetE1EEEvT1_,"axG",@progbits,_ZN7rocprim17ROCPRIM_400000_NS6detail17trampoline_kernelINS0_14default_configENS1_20scan_config_selectorIiEEZZNS1_9scan_implILNS1_25lookback_scan_determinismE0ELb0ELb1ES3_N6thrust23THRUST_200600_302600_NS6detail15normal_iteratorINS9_10device_ptrIiEEEESE_iNS9_4plusIiEEiEEDaPvRmT3_T4_T5_mT6_P12ihipStream_tbENKUlT_T0_E_clISt17integral_constantIbLb1EESU_EEDaSP_SQ_EUlSP_E0_NS1_11comp_targetILNS1_3genE3ELNS1_11target_archE908ELNS1_3gpuE7ELNS1_3repE0EEENS1_30default_config_static_selectorELNS0_4arch9wavefront6targetE1EEEvT1_,comdat
	.protected	_ZN7rocprim17ROCPRIM_400000_NS6detail17trampoline_kernelINS0_14default_configENS1_20scan_config_selectorIiEEZZNS1_9scan_implILNS1_25lookback_scan_determinismE0ELb0ELb1ES3_N6thrust23THRUST_200600_302600_NS6detail15normal_iteratorINS9_10device_ptrIiEEEESE_iNS9_4plusIiEEiEEDaPvRmT3_T4_T5_mT6_P12ihipStream_tbENKUlT_T0_E_clISt17integral_constantIbLb1EESU_EEDaSP_SQ_EUlSP_E0_NS1_11comp_targetILNS1_3genE3ELNS1_11target_archE908ELNS1_3gpuE7ELNS1_3repE0EEENS1_30default_config_static_selectorELNS0_4arch9wavefront6targetE1EEEvT1_ ; -- Begin function _ZN7rocprim17ROCPRIM_400000_NS6detail17trampoline_kernelINS0_14default_configENS1_20scan_config_selectorIiEEZZNS1_9scan_implILNS1_25lookback_scan_determinismE0ELb0ELb1ES3_N6thrust23THRUST_200600_302600_NS6detail15normal_iteratorINS9_10device_ptrIiEEEESE_iNS9_4plusIiEEiEEDaPvRmT3_T4_T5_mT6_P12ihipStream_tbENKUlT_T0_E_clISt17integral_constantIbLb1EESU_EEDaSP_SQ_EUlSP_E0_NS1_11comp_targetILNS1_3genE3ELNS1_11target_archE908ELNS1_3gpuE7ELNS1_3repE0EEENS1_30default_config_static_selectorELNS0_4arch9wavefront6targetE1EEEvT1_
	.globl	_ZN7rocprim17ROCPRIM_400000_NS6detail17trampoline_kernelINS0_14default_configENS1_20scan_config_selectorIiEEZZNS1_9scan_implILNS1_25lookback_scan_determinismE0ELb0ELb1ES3_N6thrust23THRUST_200600_302600_NS6detail15normal_iteratorINS9_10device_ptrIiEEEESE_iNS9_4plusIiEEiEEDaPvRmT3_T4_T5_mT6_P12ihipStream_tbENKUlT_T0_E_clISt17integral_constantIbLb1EESU_EEDaSP_SQ_EUlSP_E0_NS1_11comp_targetILNS1_3genE3ELNS1_11target_archE908ELNS1_3gpuE7ELNS1_3repE0EEENS1_30default_config_static_selectorELNS0_4arch9wavefront6targetE1EEEvT1_
	.p2align	8
	.type	_ZN7rocprim17ROCPRIM_400000_NS6detail17trampoline_kernelINS0_14default_configENS1_20scan_config_selectorIiEEZZNS1_9scan_implILNS1_25lookback_scan_determinismE0ELb0ELb1ES3_N6thrust23THRUST_200600_302600_NS6detail15normal_iteratorINS9_10device_ptrIiEEEESE_iNS9_4plusIiEEiEEDaPvRmT3_T4_T5_mT6_P12ihipStream_tbENKUlT_T0_E_clISt17integral_constantIbLb1EESU_EEDaSP_SQ_EUlSP_E0_NS1_11comp_targetILNS1_3genE3ELNS1_11target_archE908ELNS1_3gpuE7ELNS1_3repE0EEENS1_30default_config_static_selectorELNS0_4arch9wavefront6targetE1EEEvT1_,@function
_ZN7rocprim17ROCPRIM_400000_NS6detail17trampoline_kernelINS0_14default_configENS1_20scan_config_selectorIiEEZZNS1_9scan_implILNS1_25lookback_scan_determinismE0ELb0ELb1ES3_N6thrust23THRUST_200600_302600_NS6detail15normal_iteratorINS9_10device_ptrIiEEEESE_iNS9_4plusIiEEiEEDaPvRmT3_T4_T5_mT6_P12ihipStream_tbENKUlT_T0_E_clISt17integral_constantIbLb1EESU_EEDaSP_SQ_EUlSP_E0_NS1_11comp_targetILNS1_3genE3ELNS1_11target_archE908ELNS1_3gpuE7ELNS1_3repE0EEENS1_30default_config_static_selectorELNS0_4arch9wavefront6targetE1EEEvT1_: ; @_ZN7rocprim17ROCPRIM_400000_NS6detail17trampoline_kernelINS0_14default_configENS1_20scan_config_selectorIiEEZZNS1_9scan_implILNS1_25lookback_scan_determinismE0ELb0ELb1ES3_N6thrust23THRUST_200600_302600_NS6detail15normal_iteratorINS9_10device_ptrIiEEEESE_iNS9_4plusIiEEiEEDaPvRmT3_T4_T5_mT6_P12ihipStream_tbENKUlT_T0_E_clISt17integral_constantIbLb1EESU_EEDaSP_SQ_EUlSP_E0_NS1_11comp_targetILNS1_3genE3ELNS1_11target_archE908ELNS1_3gpuE7ELNS1_3repE0EEENS1_30default_config_static_selectorELNS0_4arch9wavefront6targetE1EEEvT1_
; %bb.0:
	.section	.rodata,"a",@progbits
	.p2align	6, 0x0
	.amdhsa_kernel _ZN7rocprim17ROCPRIM_400000_NS6detail17trampoline_kernelINS0_14default_configENS1_20scan_config_selectorIiEEZZNS1_9scan_implILNS1_25lookback_scan_determinismE0ELb0ELb1ES3_N6thrust23THRUST_200600_302600_NS6detail15normal_iteratorINS9_10device_ptrIiEEEESE_iNS9_4plusIiEEiEEDaPvRmT3_T4_T5_mT6_P12ihipStream_tbENKUlT_T0_E_clISt17integral_constantIbLb1EESU_EEDaSP_SQ_EUlSP_E0_NS1_11comp_targetILNS1_3genE3ELNS1_11target_archE908ELNS1_3gpuE7ELNS1_3repE0EEENS1_30default_config_static_selectorELNS0_4arch9wavefront6targetE1EEEvT1_
		.amdhsa_group_segment_fixed_size 0
		.amdhsa_private_segment_fixed_size 0
		.amdhsa_kernarg_size 32
		.amdhsa_user_sgpr_count 6
		.amdhsa_user_sgpr_private_segment_buffer 1
		.amdhsa_user_sgpr_dispatch_ptr 0
		.amdhsa_user_sgpr_queue_ptr 0
		.amdhsa_user_sgpr_kernarg_segment_ptr 1
		.amdhsa_user_sgpr_dispatch_id 0
		.amdhsa_user_sgpr_flat_scratch_init 0
		.amdhsa_user_sgpr_kernarg_preload_length 0
		.amdhsa_user_sgpr_kernarg_preload_offset 0
		.amdhsa_user_sgpr_private_segment_size 0
		.amdhsa_uses_dynamic_stack 0
		.amdhsa_system_sgpr_private_segment_wavefront_offset 0
		.amdhsa_system_sgpr_workgroup_id_x 1
		.amdhsa_system_sgpr_workgroup_id_y 0
		.amdhsa_system_sgpr_workgroup_id_z 0
		.amdhsa_system_sgpr_workgroup_info 0
		.amdhsa_system_vgpr_workitem_id 0
		.amdhsa_next_free_vgpr 1
		.amdhsa_next_free_sgpr 0
		.amdhsa_accum_offset 4
		.amdhsa_reserve_vcc 0
		.amdhsa_reserve_flat_scratch 0
		.amdhsa_float_round_mode_32 0
		.amdhsa_float_round_mode_16_64 0
		.amdhsa_float_denorm_mode_32 3
		.amdhsa_float_denorm_mode_16_64 3
		.amdhsa_dx10_clamp 1
		.amdhsa_ieee_mode 1
		.amdhsa_fp16_overflow 0
		.amdhsa_tg_split 0
		.amdhsa_exception_fp_ieee_invalid_op 0
		.amdhsa_exception_fp_denorm_src 0
		.amdhsa_exception_fp_ieee_div_zero 0
		.amdhsa_exception_fp_ieee_overflow 0
		.amdhsa_exception_fp_ieee_underflow 0
		.amdhsa_exception_fp_ieee_inexact 0
		.amdhsa_exception_int_div_zero 0
	.end_amdhsa_kernel
	.section	.text._ZN7rocprim17ROCPRIM_400000_NS6detail17trampoline_kernelINS0_14default_configENS1_20scan_config_selectorIiEEZZNS1_9scan_implILNS1_25lookback_scan_determinismE0ELb0ELb1ES3_N6thrust23THRUST_200600_302600_NS6detail15normal_iteratorINS9_10device_ptrIiEEEESE_iNS9_4plusIiEEiEEDaPvRmT3_T4_T5_mT6_P12ihipStream_tbENKUlT_T0_E_clISt17integral_constantIbLb1EESU_EEDaSP_SQ_EUlSP_E0_NS1_11comp_targetILNS1_3genE3ELNS1_11target_archE908ELNS1_3gpuE7ELNS1_3repE0EEENS1_30default_config_static_selectorELNS0_4arch9wavefront6targetE1EEEvT1_,"axG",@progbits,_ZN7rocprim17ROCPRIM_400000_NS6detail17trampoline_kernelINS0_14default_configENS1_20scan_config_selectorIiEEZZNS1_9scan_implILNS1_25lookback_scan_determinismE0ELb0ELb1ES3_N6thrust23THRUST_200600_302600_NS6detail15normal_iteratorINS9_10device_ptrIiEEEESE_iNS9_4plusIiEEiEEDaPvRmT3_T4_T5_mT6_P12ihipStream_tbENKUlT_T0_E_clISt17integral_constantIbLb1EESU_EEDaSP_SQ_EUlSP_E0_NS1_11comp_targetILNS1_3genE3ELNS1_11target_archE908ELNS1_3gpuE7ELNS1_3repE0EEENS1_30default_config_static_selectorELNS0_4arch9wavefront6targetE1EEEvT1_,comdat
.Lfunc_end762:
	.size	_ZN7rocprim17ROCPRIM_400000_NS6detail17trampoline_kernelINS0_14default_configENS1_20scan_config_selectorIiEEZZNS1_9scan_implILNS1_25lookback_scan_determinismE0ELb0ELb1ES3_N6thrust23THRUST_200600_302600_NS6detail15normal_iteratorINS9_10device_ptrIiEEEESE_iNS9_4plusIiEEiEEDaPvRmT3_T4_T5_mT6_P12ihipStream_tbENKUlT_T0_E_clISt17integral_constantIbLb1EESU_EEDaSP_SQ_EUlSP_E0_NS1_11comp_targetILNS1_3genE3ELNS1_11target_archE908ELNS1_3gpuE7ELNS1_3repE0EEENS1_30default_config_static_selectorELNS0_4arch9wavefront6targetE1EEEvT1_, .Lfunc_end762-_ZN7rocprim17ROCPRIM_400000_NS6detail17trampoline_kernelINS0_14default_configENS1_20scan_config_selectorIiEEZZNS1_9scan_implILNS1_25lookback_scan_determinismE0ELb0ELb1ES3_N6thrust23THRUST_200600_302600_NS6detail15normal_iteratorINS9_10device_ptrIiEEEESE_iNS9_4plusIiEEiEEDaPvRmT3_T4_T5_mT6_P12ihipStream_tbENKUlT_T0_E_clISt17integral_constantIbLb1EESU_EEDaSP_SQ_EUlSP_E0_NS1_11comp_targetILNS1_3genE3ELNS1_11target_archE908ELNS1_3gpuE7ELNS1_3repE0EEENS1_30default_config_static_selectorELNS0_4arch9wavefront6targetE1EEEvT1_
                                        ; -- End function
	.section	.AMDGPU.csdata,"",@progbits
; Kernel info:
; codeLenInByte = 0
; NumSgprs: 4
; NumVgprs: 0
; NumAgprs: 0
; TotalNumVgprs: 0
; ScratchSize: 0
; MemoryBound: 0
; FloatMode: 240
; IeeeMode: 1
; LDSByteSize: 0 bytes/workgroup (compile time only)
; SGPRBlocks: 0
; VGPRBlocks: 0
; NumSGPRsForWavesPerEU: 4
; NumVGPRsForWavesPerEU: 1
; AccumOffset: 4
; Occupancy: 8
; WaveLimiterHint : 0
; COMPUTE_PGM_RSRC2:SCRATCH_EN: 0
; COMPUTE_PGM_RSRC2:USER_SGPR: 6
; COMPUTE_PGM_RSRC2:TRAP_HANDLER: 0
; COMPUTE_PGM_RSRC2:TGID_X_EN: 1
; COMPUTE_PGM_RSRC2:TGID_Y_EN: 0
; COMPUTE_PGM_RSRC2:TGID_Z_EN: 0
; COMPUTE_PGM_RSRC2:TIDIG_COMP_CNT: 0
; COMPUTE_PGM_RSRC3_GFX90A:ACCUM_OFFSET: 0
; COMPUTE_PGM_RSRC3_GFX90A:TG_SPLIT: 0
	.section	.text._ZN7rocprim17ROCPRIM_400000_NS6detail17trampoline_kernelINS0_14default_configENS1_20scan_config_selectorIiEEZZNS1_9scan_implILNS1_25lookback_scan_determinismE0ELb0ELb1ES3_N6thrust23THRUST_200600_302600_NS6detail15normal_iteratorINS9_10device_ptrIiEEEESE_iNS9_4plusIiEEiEEDaPvRmT3_T4_T5_mT6_P12ihipStream_tbENKUlT_T0_E_clISt17integral_constantIbLb1EESU_EEDaSP_SQ_EUlSP_E0_NS1_11comp_targetILNS1_3genE2ELNS1_11target_archE906ELNS1_3gpuE6ELNS1_3repE0EEENS1_30default_config_static_selectorELNS0_4arch9wavefront6targetE1EEEvT1_,"axG",@progbits,_ZN7rocprim17ROCPRIM_400000_NS6detail17trampoline_kernelINS0_14default_configENS1_20scan_config_selectorIiEEZZNS1_9scan_implILNS1_25lookback_scan_determinismE0ELb0ELb1ES3_N6thrust23THRUST_200600_302600_NS6detail15normal_iteratorINS9_10device_ptrIiEEEESE_iNS9_4plusIiEEiEEDaPvRmT3_T4_T5_mT6_P12ihipStream_tbENKUlT_T0_E_clISt17integral_constantIbLb1EESU_EEDaSP_SQ_EUlSP_E0_NS1_11comp_targetILNS1_3genE2ELNS1_11target_archE906ELNS1_3gpuE6ELNS1_3repE0EEENS1_30default_config_static_selectorELNS0_4arch9wavefront6targetE1EEEvT1_,comdat
	.protected	_ZN7rocprim17ROCPRIM_400000_NS6detail17trampoline_kernelINS0_14default_configENS1_20scan_config_selectorIiEEZZNS1_9scan_implILNS1_25lookback_scan_determinismE0ELb0ELb1ES3_N6thrust23THRUST_200600_302600_NS6detail15normal_iteratorINS9_10device_ptrIiEEEESE_iNS9_4plusIiEEiEEDaPvRmT3_T4_T5_mT6_P12ihipStream_tbENKUlT_T0_E_clISt17integral_constantIbLb1EESU_EEDaSP_SQ_EUlSP_E0_NS1_11comp_targetILNS1_3genE2ELNS1_11target_archE906ELNS1_3gpuE6ELNS1_3repE0EEENS1_30default_config_static_selectorELNS0_4arch9wavefront6targetE1EEEvT1_ ; -- Begin function _ZN7rocprim17ROCPRIM_400000_NS6detail17trampoline_kernelINS0_14default_configENS1_20scan_config_selectorIiEEZZNS1_9scan_implILNS1_25lookback_scan_determinismE0ELb0ELb1ES3_N6thrust23THRUST_200600_302600_NS6detail15normal_iteratorINS9_10device_ptrIiEEEESE_iNS9_4plusIiEEiEEDaPvRmT3_T4_T5_mT6_P12ihipStream_tbENKUlT_T0_E_clISt17integral_constantIbLb1EESU_EEDaSP_SQ_EUlSP_E0_NS1_11comp_targetILNS1_3genE2ELNS1_11target_archE906ELNS1_3gpuE6ELNS1_3repE0EEENS1_30default_config_static_selectorELNS0_4arch9wavefront6targetE1EEEvT1_
	.globl	_ZN7rocprim17ROCPRIM_400000_NS6detail17trampoline_kernelINS0_14default_configENS1_20scan_config_selectorIiEEZZNS1_9scan_implILNS1_25lookback_scan_determinismE0ELb0ELb1ES3_N6thrust23THRUST_200600_302600_NS6detail15normal_iteratorINS9_10device_ptrIiEEEESE_iNS9_4plusIiEEiEEDaPvRmT3_T4_T5_mT6_P12ihipStream_tbENKUlT_T0_E_clISt17integral_constantIbLb1EESU_EEDaSP_SQ_EUlSP_E0_NS1_11comp_targetILNS1_3genE2ELNS1_11target_archE906ELNS1_3gpuE6ELNS1_3repE0EEENS1_30default_config_static_selectorELNS0_4arch9wavefront6targetE1EEEvT1_
	.p2align	8
	.type	_ZN7rocprim17ROCPRIM_400000_NS6detail17trampoline_kernelINS0_14default_configENS1_20scan_config_selectorIiEEZZNS1_9scan_implILNS1_25lookback_scan_determinismE0ELb0ELb1ES3_N6thrust23THRUST_200600_302600_NS6detail15normal_iteratorINS9_10device_ptrIiEEEESE_iNS9_4plusIiEEiEEDaPvRmT3_T4_T5_mT6_P12ihipStream_tbENKUlT_T0_E_clISt17integral_constantIbLb1EESU_EEDaSP_SQ_EUlSP_E0_NS1_11comp_targetILNS1_3genE2ELNS1_11target_archE906ELNS1_3gpuE6ELNS1_3repE0EEENS1_30default_config_static_selectorELNS0_4arch9wavefront6targetE1EEEvT1_,@function
_ZN7rocprim17ROCPRIM_400000_NS6detail17trampoline_kernelINS0_14default_configENS1_20scan_config_selectorIiEEZZNS1_9scan_implILNS1_25lookback_scan_determinismE0ELb0ELb1ES3_N6thrust23THRUST_200600_302600_NS6detail15normal_iteratorINS9_10device_ptrIiEEEESE_iNS9_4plusIiEEiEEDaPvRmT3_T4_T5_mT6_P12ihipStream_tbENKUlT_T0_E_clISt17integral_constantIbLb1EESU_EEDaSP_SQ_EUlSP_E0_NS1_11comp_targetILNS1_3genE2ELNS1_11target_archE906ELNS1_3gpuE6ELNS1_3repE0EEENS1_30default_config_static_selectorELNS0_4arch9wavefront6targetE1EEEvT1_: ; @_ZN7rocprim17ROCPRIM_400000_NS6detail17trampoline_kernelINS0_14default_configENS1_20scan_config_selectorIiEEZZNS1_9scan_implILNS1_25lookback_scan_determinismE0ELb0ELb1ES3_N6thrust23THRUST_200600_302600_NS6detail15normal_iteratorINS9_10device_ptrIiEEEESE_iNS9_4plusIiEEiEEDaPvRmT3_T4_T5_mT6_P12ihipStream_tbENKUlT_T0_E_clISt17integral_constantIbLb1EESU_EEDaSP_SQ_EUlSP_E0_NS1_11comp_targetILNS1_3genE2ELNS1_11target_archE906ELNS1_3gpuE6ELNS1_3repE0EEENS1_30default_config_static_selectorELNS0_4arch9wavefront6targetE1EEEvT1_
; %bb.0:
	.section	.rodata,"a",@progbits
	.p2align	6, 0x0
	.amdhsa_kernel _ZN7rocprim17ROCPRIM_400000_NS6detail17trampoline_kernelINS0_14default_configENS1_20scan_config_selectorIiEEZZNS1_9scan_implILNS1_25lookback_scan_determinismE0ELb0ELb1ES3_N6thrust23THRUST_200600_302600_NS6detail15normal_iteratorINS9_10device_ptrIiEEEESE_iNS9_4plusIiEEiEEDaPvRmT3_T4_T5_mT6_P12ihipStream_tbENKUlT_T0_E_clISt17integral_constantIbLb1EESU_EEDaSP_SQ_EUlSP_E0_NS1_11comp_targetILNS1_3genE2ELNS1_11target_archE906ELNS1_3gpuE6ELNS1_3repE0EEENS1_30default_config_static_selectorELNS0_4arch9wavefront6targetE1EEEvT1_
		.amdhsa_group_segment_fixed_size 0
		.amdhsa_private_segment_fixed_size 0
		.amdhsa_kernarg_size 32
		.amdhsa_user_sgpr_count 6
		.amdhsa_user_sgpr_private_segment_buffer 1
		.amdhsa_user_sgpr_dispatch_ptr 0
		.amdhsa_user_sgpr_queue_ptr 0
		.amdhsa_user_sgpr_kernarg_segment_ptr 1
		.amdhsa_user_sgpr_dispatch_id 0
		.amdhsa_user_sgpr_flat_scratch_init 0
		.amdhsa_user_sgpr_kernarg_preload_length 0
		.amdhsa_user_sgpr_kernarg_preload_offset 0
		.amdhsa_user_sgpr_private_segment_size 0
		.amdhsa_uses_dynamic_stack 0
		.amdhsa_system_sgpr_private_segment_wavefront_offset 0
		.amdhsa_system_sgpr_workgroup_id_x 1
		.amdhsa_system_sgpr_workgroup_id_y 0
		.amdhsa_system_sgpr_workgroup_id_z 0
		.amdhsa_system_sgpr_workgroup_info 0
		.amdhsa_system_vgpr_workitem_id 0
		.amdhsa_next_free_vgpr 1
		.amdhsa_next_free_sgpr 0
		.amdhsa_accum_offset 4
		.amdhsa_reserve_vcc 0
		.amdhsa_reserve_flat_scratch 0
		.amdhsa_float_round_mode_32 0
		.amdhsa_float_round_mode_16_64 0
		.amdhsa_float_denorm_mode_32 3
		.amdhsa_float_denorm_mode_16_64 3
		.amdhsa_dx10_clamp 1
		.amdhsa_ieee_mode 1
		.amdhsa_fp16_overflow 0
		.amdhsa_tg_split 0
		.amdhsa_exception_fp_ieee_invalid_op 0
		.amdhsa_exception_fp_denorm_src 0
		.amdhsa_exception_fp_ieee_div_zero 0
		.amdhsa_exception_fp_ieee_overflow 0
		.amdhsa_exception_fp_ieee_underflow 0
		.amdhsa_exception_fp_ieee_inexact 0
		.amdhsa_exception_int_div_zero 0
	.end_amdhsa_kernel
	.section	.text._ZN7rocprim17ROCPRIM_400000_NS6detail17trampoline_kernelINS0_14default_configENS1_20scan_config_selectorIiEEZZNS1_9scan_implILNS1_25lookback_scan_determinismE0ELb0ELb1ES3_N6thrust23THRUST_200600_302600_NS6detail15normal_iteratorINS9_10device_ptrIiEEEESE_iNS9_4plusIiEEiEEDaPvRmT3_T4_T5_mT6_P12ihipStream_tbENKUlT_T0_E_clISt17integral_constantIbLb1EESU_EEDaSP_SQ_EUlSP_E0_NS1_11comp_targetILNS1_3genE2ELNS1_11target_archE906ELNS1_3gpuE6ELNS1_3repE0EEENS1_30default_config_static_selectorELNS0_4arch9wavefront6targetE1EEEvT1_,"axG",@progbits,_ZN7rocprim17ROCPRIM_400000_NS6detail17trampoline_kernelINS0_14default_configENS1_20scan_config_selectorIiEEZZNS1_9scan_implILNS1_25lookback_scan_determinismE0ELb0ELb1ES3_N6thrust23THRUST_200600_302600_NS6detail15normal_iteratorINS9_10device_ptrIiEEEESE_iNS9_4plusIiEEiEEDaPvRmT3_T4_T5_mT6_P12ihipStream_tbENKUlT_T0_E_clISt17integral_constantIbLb1EESU_EEDaSP_SQ_EUlSP_E0_NS1_11comp_targetILNS1_3genE2ELNS1_11target_archE906ELNS1_3gpuE6ELNS1_3repE0EEENS1_30default_config_static_selectorELNS0_4arch9wavefront6targetE1EEEvT1_,comdat
.Lfunc_end763:
	.size	_ZN7rocprim17ROCPRIM_400000_NS6detail17trampoline_kernelINS0_14default_configENS1_20scan_config_selectorIiEEZZNS1_9scan_implILNS1_25lookback_scan_determinismE0ELb0ELb1ES3_N6thrust23THRUST_200600_302600_NS6detail15normal_iteratorINS9_10device_ptrIiEEEESE_iNS9_4plusIiEEiEEDaPvRmT3_T4_T5_mT6_P12ihipStream_tbENKUlT_T0_E_clISt17integral_constantIbLb1EESU_EEDaSP_SQ_EUlSP_E0_NS1_11comp_targetILNS1_3genE2ELNS1_11target_archE906ELNS1_3gpuE6ELNS1_3repE0EEENS1_30default_config_static_selectorELNS0_4arch9wavefront6targetE1EEEvT1_, .Lfunc_end763-_ZN7rocprim17ROCPRIM_400000_NS6detail17trampoline_kernelINS0_14default_configENS1_20scan_config_selectorIiEEZZNS1_9scan_implILNS1_25lookback_scan_determinismE0ELb0ELb1ES3_N6thrust23THRUST_200600_302600_NS6detail15normal_iteratorINS9_10device_ptrIiEEEESE_iNS9_4plusIiEEiEEDaPvRmT3_T4_T5_mT6_P12ihipStream_tbENKUlT_T0_E_clISt17integral_constantIbLb1EESU_EEDaSP_SQ_EUlSP_E0_NS1_11comp_targetILNS1_3genE2ELNS1_11target_archE906ELNS1_3gpuE6ELNS1_3repE0EEENS1_30default_config_static_selectorELNS0_4arch9wavefront6targetE1EEEvT1_
                                        ; -- End function
	.section	.AMDGPU.csdata,"",@progbits
; Kernel info:
; codeLenInByte = 0
; NumSgprs: 4
; NumVgprs: 0
; NumAgprs: 0
; TotalNumVgprs: 0
; ScratchSize: 0
; MemoryBound: 0
; FloatMode: 240
; IeeeMode: 1
; LDSByteSize: 0 bytes/workgroup (compile time only)
; SGPRBlocks: 0
; VGPRBlocks: 0
; NumSGPRsForWavesPerEU: 4
; NumVGPRsForWavesPerEU: 1
; AccumOffset: 4
; Occupancy: 8
; WaveLimiterHint : 0
; COMPUTE_PGM_RSRC2:SCRATCH_EN: 0
; COMPUTE_PGM_RSRC2:USER_SGPR: 6
; COMPUTE_PGM_RSRC2:TRAP_HANDLER: 0
; COMPUTE_PGM_RSRC2:TGID_X_EN: 1
; COMPUTE_PGM_RSRC2:TGID_Y_EN: 0
; COMPUTE_PGM_RSRC2:TGID_Z_EN: 0
; COMPUTE_PGM_RSRC2:TIDIG_COMP_CNT: 0
; COMPUTE_PGM_RSRC3_GFX90A:ACCUM_OFFSET: 0
; COMPUTE_PGM_RSRC3_GFX90A:TG_SPLIT: 0
	.section	.text._ZN7rocprim17ROCPRIM_400000_NS6detail17trampoline_kernelINS0_14default_configENS1_20scan_config_selectorIiEEZZNS1_9scan_implILNS1_25lookback_scan_determinismE0ELb0ELb1ES3_N6thrust23THRUST_200600_302600_NS6detail15normal_iteratorINS9_10device_ptrIiEEEESE_iNS9_4plusIiEEiEEDaPvRmT3_T4_T5_mT6_P12ihipStream_tbENKUlT_T0_E_clISt17integral_constantIbLb1EESU_EEDaSP_SQ_EUlSP_E0_NS1_11comp_targetILNS1_3genE10ELNS1_11target_archE1201ELNS1_3gpuE5ELNS1_3repE0EEENS1_30default_config_static_selectorELNS0_4arch9wavefront6targetE1EEEvT1_,"axG",@progbits,_ZN7rocprim17ROCPRIM_400000_NS6detail17trampoline_kernelINS0_14default_configENS1_20scan_config_selectorIiEEZZNS1_9scan_implILNS1_25lookback_scan_determinismE0ELb0ELb1ES3_N6thrust23THRUST_200600_302600_NS6detail15normal_iteratorINS9_10device_ptrIiEEEESE_iNS9_4plusIiEEiEEDaPvRmT3_T4_T5_mT6_P12ihipStream_tbENKUlT_T0_E_clISt17integral_constantIbLb1EESU_EEDaSP_SQ_EUlSP_E0_NS1_11comp_targetILNS1_3genE10ELNS1_11target_archE1201ELNS1_3gpuE5ELNS1_3repE0EEENS1_30default_config_static_selectorELNS0_4arch9wavefront6targetE1EEEvT1_,comdat
	.protected	_ZN7rocprim17ROCPRIM_400000_NS6detail17trampoline_kernelINS0_14default_configENS1_20scan_config_selectorIiEEZZNS1_9scan_implILNS1_25lookback_scan_determinismE0ELb0ELb1ES3_N6thrust23THRUST_200600_302600_NS6detail15normal_iteratorINS9_10device_ptrIiEEEESE_iNS9_4plusIiEEiEEDaPvRmT3_T4_T5_mT6_P12ihipStream_tbENKUlT_T0_E_clISt17integral_constantIbLb1EESU_EEDaSP_SQ_EUlSP_E0_NS1_11comp_targetILNS1_3genE10ELNS1_11target_archE1201ELNS1_3gpuE5ELNS1_3repE0EEENS1_30default_config_static_selectorELNS0_4arch9wavefront6targetE1EEEvT1_ ; -- Begin function _ZN7rocprim17ROCPRIM_400000_NS6detail17trampoline_kernelINS0_14default_configENS1_20scan_config_selectorIiEEZZNS1_9scan_implILNS1_25lookback_scan_determinismE0ELb0ELb1ES3_N6thrust23THRUST_200600_302600_NS6detail15normal_iteratorINS9_10device_ptrIiEEEESE_iNS9_4plusIiEEiEEDaPvRmT3_T4_T5_mT6_P12ihipStream_tbENKUlT_T0_E_clISt17integral_constantIbLb1EESU_EEDaSP_SQ_EUlSP_E0_NS1_11comp_targetILNS1_3genE10ELNS1_11target_archE1201ELNS1_3gpuE5ELNS1_3repE0EEENS1_30default_config_static_selectorELNS0_4arch9wavefront6targetE1EEEvT1_
	.globl	_ZN7rocprim17ROCPRIM_400000_NS6detail17trampoline_kernelINS0_14default_configENS1_20scan_config_selectorIiEEZZNS1_9scan_implILNS1_25lookback_scan_determinismE0ELb0ELb1ES3_N6thrust23THRUST_200600_302600_NS6detail15normal_iteratorINS9_10device_ptrIiEEEESE_iNS9_4plusIiEEiEEDaPvRmT3_T4_T5_mT6_P12ihipStream_tbENKUlT_T0_E_clISt17integral_constantIbLb1EESU_EEDaSP_SQ_EUlSP_E0_NS1_11comp_targetILNS1_3genE10ELNS1_11target_archE1201ELNS1_3gpuE5ELNS1_3repE0EEENS1_30default_config_static_selectorELNS0_4arch9wavefront6targetE1EEEvT1_
	.p2align	8
	.type	_ZN7rocprim17ROCPRIM_400000_NS6detail17trampoline_kernelINS0_14default_configENS1_20scan_config_selectorIiEEZZNS1_9scan_implILNS1_25lookback_scan_determinismE0ELb0ELb1ES3_N6thrust23THRUST_200600_302600_NS6detail15normal_iteratorINS9_10device_ptrIiEEEESE_iNS9_4plusIiEEiEEDaPvRmT3_T4_T5_mT6_P12ihipStream_tbENKUlT_T0_E_clISt17integral_constantIbLb1EESU_EEDaSP_SQ_EUlSP_E0_NS1_11comp_targetILNS1_3genE10ELNS1_11target_archE1201ELNS1_3gpuE5ELNS1_3repE0EEENS1_30default_config_static_selectorELNS0_4arch9wavefront6targetE1EEEvT1_,@function
_ZN7rocprim17ROCPRIM_400000_NS6detail17trampoline_kernelINS0_14default_configENS1_20scan_config_selectorIiEEZZNS1_9scan_implILNS1_25lookback_scan_determinismE0ELb0ELb1ES3_N6thrust23THRUST_200600_302600_NS6detail15normal_iteratorINS9_10device_ptrIiEEEESE_iNS9_4plusIiEEiEEDaPvRmT3_T4_T5_mT6_P12ihipStream_tbENKUlT_T0_E_clISt17integral_constantIbLb1EESU_EEDaSP_SQ_EUlSP_E0_NS1_11comp_targetILNS1_3genE10ELNS1_11target_archE1201ELNS1_3gpuE5ELNS1_3repE0EEENS1_30default_config_static_selectorELNS0_4arch9wavefront6targetE1EEEvT1_: ; @_ZN7rocprim17ROCPRIM_400000_NS6detail17trampoline_kernelINS0_14default_configENS1_20scan_config_selectorIiEEZZNS1_9scan_implILNS1_25lookback_scan_determinismE0ELb0ELb1ES3_N6thrust23THRUST_200600_302600_NS6detail15normal_iteratorINS9_10device_ptrIiEEEESE_iNS9_4plusIiEEiEEDaPvRmT3_T4_T5_mT6_P12ihipStream_tbENKUlT_T0_E_clISt17integral_constantIbLb1EESU_EEDaSP_SQ_EUlSP_E0_NS1_11comp_targetILNS1_3genE10ELNS1_11target_archE1201ELNS1_3gpuE5ELNS1_3repE0EEENS1_30default_config_static_selectorELNS0_4arch9wavefront6targetE1EEEvT1_
; %bb.0:
	.section	.rodata,"a",@progbits
	.p2align	6, 0x0
	.amdhsa_kernel _ZN7rocprim17ROCPRIM_400000_NS6detail17trampoline_kernelINS0_14default_configENS1_20scan_config_selectorIiEEZZNS1_9scan_implILNS1_25lookback_scan_determinismE0ELb0ELb1ES3_N6thrust23THRUST_200600_302600_NS6detail15normal_iteratorINS9_10device_ptrIiEEEESE_iNS9_4plusIiEEiEEDaPvRmT3_T4_T5_mT6_P12ihipStream_tbENKUlT_T0_E_clISt17integral_constantIbLb1EESU_EEDaSP_SQ_EUlSP_E0_NS1_11comp_targetILNS1_3genE10ELNS1_11target_archE1201ELNS1_3gpuE5ELNS1_3repE0EEENS1_30default_config_static_selectorELNS0_4arch9wavefront6targetE1EEEvT1_
		.amdhsa_group_segment_fixed_size 0
		.amdhsa_private_segment_fixed_size 0
		.amdhsa_kernarg_size 32
		.amdhsa_user_sgpr_count 6
		.amdhsa_user_sgpr_private_segment_buffer 1
		.amdhsa_user_sgpr_dispatch_ptr 0
		.amdhsa_user_sgpr_queue_ptr 0
		.amdhsa_user_sgpr_kernarg_segment_ptr 1
		.amdhsa_user_sgpr_dispatch_id 0
		.amdhsa_user_sgpr_flat_scratch_init 0
		.amdhsa_user_sgpr_kernarg_preload_length 0
		.amdhsa_user_sgpr_kernarg_preload_offset 0
		.amdhsa_user_sgpr_private_segment_size 0
		.amdhsa_uses_dynamic_stack 0
		.amdhsa_system_sgpr_private_segment_wavefront_offset 0
		.amdhsa_system_sgpr_workgroup_id_x 1
		.amdhsa_system_sgpr_workgroup_id_y 0
		.amdhsa_system_sgpr_workgroup_id_z 0
		.amdhsa_system_sgpr_workgroup_info 0
		.amdhsa_system_vgpr_workitem_id 0
		.amdhsa_next_free_vgpr 1
		.amdhsa_next_free_sgpr 0
		.amdhsa_accum_offset 4
		.amdhsa_reserve_vcc 0
		.amdhsa_reserve_flat_scratch 0
		.amdhsa_float_round_mode_32 0
		.amdhsa_float_round_mode_16_64 0
		.amdhsa_float_denorm_mode_32 3
		.amdhsa_float_denorm_mode_16_64 3
		.amdhsa_dx10_clamp 1
		.amdhsa_ieee_mode 1
		.amdhsa_fp16_overflow 0
		.amdhsa_tg_split 0
		.amdhsa_exception_fp_ieee_invalid_op 0
		.amdhsa_exception_fp_denorm_src 0
		.amdhsa_exception_fp_ieee_div_zero 0
		.amdhsa_exception_fp_ieee_overflow 0
		.amdhsa_exception_fp_ieee_underflow 0
		.amdhsa_exception_fp_ieee_inexact 0
		.amdhsa_exception_int_div_zero 0
	.end_amdhsa_kernel
	.section	.text._ZN7rocprim17ROCPRIM_400000_NS6detail17trampoline_kernelINS0_14default_configENS1_20scan_config_selectorIiEEZZNS1_9scan_implILNS1_25lookback_scan_determinismE0ELb0ELb1ES3_N6thrust23THRUST_200600_302600_NS6detail15normal_iteratorINS9_10device_ptrIiEEEESE_iNS9_4plusIiEEiEEDaPvRmT3_T4_T5_mT6_P12ihipStream_tbENKUlT_T0_E_clISt17integral_constantIbLb1EESU_EEDaSP_SQ_EUlSP_E0_NS1_11comp_targetILNS1_3genE10ELNS1_11target_archE1201ELNS1_3gpuE5ELNS1_3repE0EEENS1_30default_config_static_selectorELNS0_4arch9wavefront6targetE1EEEvT1_,"axG",@progbits,_ZN7rocprim17ROCPRIM_400000_NS6detail17trampoline_kernelINS0_14default_configENS1_20scan_config_selectorIiEEZZNS1_9scan_implILNS1_25lookback_scan_determinismE0ELb0ELb1ES3_N6thrust23THRUST_200600_302600_NS6detail15normal_iteratorINS9_10device_ptrIiEEEESE_iNS9_4plusIiEEiEEDaPvRmT3_T4_T5_mT6_P12ihipStream_tbENKUlT_T0_E_clISt17integral_constantIbLb1EESU_EEDaSP_SQ_EUlSP_E0_NS1_11comp_targetILNS1_3genE10ELNS1_11target_archE1201ELNS1_3gpuE5ELNS1_3repE0EEENS1_30default_config_static_selectorELNS0_4arch9wavefront6targetE1EEEvT1_,comdat
.Lfunc_end764:
	.size	_ZN7rocprim17ROCPRIM_400000_NS6detail17trampoline_kernelINS0_14default_configENS1_20scan_config_selectorIiEEZZNS1_9scan_implILNS1_25lookback_scan_determinismE0ELb0ELb1ES3_N6thrust23THRUST_200600_302600_NS6detail15normal_iteratorINS9_10device_ptrIiEEEESE_iNS9_4plusIiEEiEEDaPvRmT3_T4_T5_mT6_P12ihipStream_tbENKUlT_T0_E_clISt17integral_constantIbLb1EESU_EEDaSP_SQ_EUlSP_E0_NS1_11comp_targetILNS1_3genE10ELNS1_11target_archE1201ELNS1_3gpuE5ELNS1_3repE0EEENS1_30default_config_static_selectorELNS0_4arch9wavefront6targetE1EEEvT1_, .Lfunc_end764-_ZN7rocprim17ROCPRIM_400000_NS6detail17trampoline_kernelINS0_14default_configENS1_20scan_config_selectorIiEEZZNS1_9scan_implILNS1_25lookback_scan_determinismE0ELb0ELb1ES3_N6thrust23THRUST_200600_302600_NS6detail15normal_iteratorINS9_10device_ptrIiEEEESE_iNS9_4plusIiEEiEEDaPvRmT3_T4_T5_mT6_P12ihipStream_tbENKUlT_T0_E_clISt17integral_constantIbLb1EESU_EEDaSP_SQ_EUlSP_E0_NS1_11comp_targetILNS1_3genE10ELNS1_11target_archE1201ELNS1_3gpuE5ELNS1_3repE0EEENS1_30default_config_static_selectorELNS0_4arch9wavefront6targetE1EEEvT1_
                                        ; -- End function
	.section	.AMDGPU.csdata,"",@progbits
; Kernel info:
; codeLenInByte = 0
; NumSgprs: 4
; NumVgprs: 0
; NumAgprs: 0
; TotalNumVgprs: 0
; ScratchSize: 0
; MemoryBound: 0
; FloatMode: 240
; IeeeMode: 1
; LDSByteSize: 0 bytes/workgroup (compile time only)
; SGPRBlocks: 0
; VGPRBlocks: 0
; NumSGPRsForWavesPerEU: 4
; NumVGPRsForWavesPerEU: 1
; AccumOffset: 4
; Occupancy: 8
; WaveLimiterHint : 0
; COMPUTE_PGM_RSRC2:SCRATCH_EN: 0
; COMPUTE_PGM_RSRC2:USER_SGPR: 6
; COMPUTE_PGM_RSRC2:TRAP_HANDLER: 0
; COMPUTE_PGM_RSRC2:TGID_X_EN: 1
; COMPUTE_PGM_RSRC2:TGID_Y_EN: 0
; COMPUTE_PGM_RSRC2:TGID_Z_EN: 0
; COMPUTE_PGM_RSRC2:TIDIG_COMP_CNT: 0
; COMPUTE_PGM_RSRC3_GFX90A:ACCUM_OFFSET: 0
; COMPUTE_PGM_RSRC3_GFX90A:TG_SPLIT: 0
	.section	.text._ZN7rocprim17ROCPRIM_400000_NS6detail17trampoline_kernelINS0_14default_configENS1_20scan_config_selectorIiEEZZNS1_9scan_implILNS1_25lookback_scan_determinismE0ELb0ELb1ES3_N6thrust23THRUST_200600_302600_NS6detail15normal_iteratorINS9_10device_ptrIiEEEESE_iNS9_4plusIiEEiEEDaPvRmT3_T4_T5_mT6_P12ihipStream_tbENKUlT_T0_E_clISt17integral_constantIbLb1EESU_EEDaSP_SQ_EUlSP_E0_NS1_11comp_targetILNS1_3genE10ELNS1_11target_archE1200ELNS1_3gpuE4ELNS1_3repE0EEENS1_30default_config_static_selectorELNS0_4arch9wavefront6targetE1EEEvT1_,"axG",@progbits,_ZN7rocprim17ROCPRIM_400000_NS6detail17trampoline_kernelINS0_14default_configENS1_20scan_config_selectorIiEEZZNS1_9scan_implILNS1_25lookback_scan_determinismE0ELb0ELb1ES3_N6thrust23THRUST_200600_302600_NS6detail15normal_iteratorINS9_10device_ptrIiEEEESE_iNS9_4plusIiEEiEEDaPvRmT3_T4_T5_mT6_P12ihipStream_tbENKUlT_T0_E_clISt17integral_constantIbLb1EESU_EEDaSP_SQ_EUlSP_E0_NS1_11comp_targetILNS1_3genE10ELNS1_11target_archE1200ELNS1_3gpuE4ELNS1_3repE0EEENS1_30default_config_static_selectorELNS0_4arch9wavefront6targetE1EEEvT1_,comdat
	.protected	_ZN7rocprim17ROCPRIM_400000_NS6detail17trampoline_kernelINS0_14default_configENS1_20scan_config_selectorIiEEZZNS1_9scan_implILNS1_25lookback_scan_determinismE0ELb0ELb1ES3_N6thrust23THRUST_200600_302600_NS6detail15normal_iteratorINS9_10device_ptrIiEEEESE_iNS9_4plusIiEEiEEDaPvRmT3_T4_T5_mT6_P12ihipStream_tbENKUlT_T0_E_clISt17integral_constantIbLb1EESU_EEDaSP_SQ_EUlSP_E0_NS1_11comp_targetILNS1_3genE10ELNS1_11target_archE1200ELNS1_3gpuE4ELNS1_3repE0EEENS1_30default_config_static_selectorELNS0_4arch9wavefront6targetE1EEEvT1_ ; -- Begin function _ZN7rocprim17ROCPRIM_400000_NS6detail17trampoline_kernelINS0_14default_configENS1_20scan_config_selectorIiEEZZNS1_9scan_implILNS1_25lookback_scan_determinismE0ELb0ELb1ES3_N6thrust23THRUST_200600_302600_NS6detail15normal_iteratorINS9_10device_ptrIiEEEESE_iNS9_4plusIiEEiEEDaPvRmT3_T4_T5_mT6_P12ihipStream_tbENKUlT_T0_E_clISt17integral_constantIbLb1EESU_EEDaSP_SQ_EUlSP_E0_NS1_11comp_targetILNS1_3genE10ELNS1_11target_archE1200ELNS1_3gpuE4ELNS1_3repE0EEENS1_30default_config_static_selectorELNS0_4arch9wavefront6targetE1EEEvT1_
	.globl	_ZN7rocprim17ROCPRIM_400000_NS6detail17trampoline_kernelINS0_14default_configENS1_20scan_config_selectorIiEEZZNS1_9scan_implILNS1_25lookback_scan_determinismE0ELb0ELb1ES3_N6thrust23THRUST_200600_302600_NS6detail15normal_iteratorINS9_10device_ptrIiEEEESE_iNS9_4plusIiEEiEEDaPvRmT3_T4_T5_mT6_P12ihipStream_tbENKUlT_T0_E_clISt17integral_constantIbLb1EESU_EEDaSP_SQ_EUlSP_E0_NS1_11comp_targetILNS1_3genE10ELNS1_11target_archE1200ELNS1_3gpuE4ELNS1_3repE0EEENS1_30default_config_static_selectorELNS0_4arch9wavefront6targetE1EEEvT1_
	.p2align	8
	.type	_ZN7rocprim17ROCPRIM_400000_NS6detail17trampoline_kernelINS0_14default_configENS1_20scan_config_selectorIiEEZZNS1_9scan_implILNS1_25lookback_scan_determinismE0ELb0ELb1ES3_N6thrust23THRUST_200600_302600_NS6detail15normal_iteratorINS9_10device_ptrIiEEEESE_iNS9_4plusIiEEiEEDaPvRmT3_T4_T5_mT6_P12ihipStream_tbENKUlT_T0_E_clISt17integral_constantIbLb1EESU_EEDaSP_SQ_EUlSP_E0_NS1_11comp_targetILNS1_3genE10ELNS1_11target_archE1200ELNS1_3gpuE4ELNS1_3repE0EEENS1_30default_config_static_selectorELNS0_4arch9wavefront6targetE1EEEvT1_,@function
_ZN7rocprim17ROCPRIM_400000_NS6detail17trampoline_kernelINS0_14default_configENS1_20scan_config_selectorIiEEZZNS1_9scan_implILNS1_25lookback_scan_determinismE0ELb0ELb1ES3_N6thrust23THRUST_200600_302600_NS6detail15normal_iteratorINS9_10device_ptrIiEEEESE_iNS9_4plusIiEEiEEDaPvRmT3_T4_T5_mT6_P12ihipStream_tbENKUlT_T0_E_clISt17integral_constantIbLb1EESU_EEDaSP_SQ_EUlSP_E0_NS1_11comp_targetILNS1_3genE10ELNS1_11target_archE1200ELNS1_3gpuE4ELNS1_3repE0EEENS1_30default_config_static_selectorELNS0_4arch9wavefront6targetE1EEEvT1_: ; @_ZN7rocprim17ROCPRIM_400000_NS6detail17trampoline_kernelINS0_14default_configENS1_20scan_config_selectorIiEEZZNS1_9scan_implILNS1_25lookback_scan_determinismE0ELb0ELb1ES3_N6thrust23THRUST_200600_302600_NS6detail15normal_iteratorINS9_10device_ptrIiEEEESE_iNS9_4plusIiEEiEEDaPvRmT3_T4_T5_mT6_P12ihipStream_tbENKUlT_T0_E_clISt17integral_constantIbLb1EESU_EEDaSP_SQ_EUlSP_E0_NS1_11comp_targetILNS1_3genE10ELNS1_11target_archE1200ELNS1_3gpuE4ELNS1_3repE0EEENS1_30default_config_static_selectorELNS0_4arch9wavefront6targetE1EEEvT1_
; %bb.0:
	.section	.rodata,"a",@progbits
	.p2align	6, 0x0
	.amdhsa_kernel _ZN7rocprim17ROCPRIM_400000_NS6detail17trampoline_kernelINS0_14default_configENS1_20scan_config_selectorIiEEZZNS1_9scan_implILNS1_25lookback_scan_determinismE0ELb0ELb1ES3_N6thrust23THRUST_200600_302600_NS6detail15normal_iteratorINS9_10device_ptrIiEEEESE_iNS9_4plusIiEEiEEDaPvRmT3_T4_T5_mT6_P12ihipStream_tbENKUlT_T0_E_clISt17integral_constantIbLb1EESU_EEDaSP_SQ_EUlSP_E0_NS1_11comp_targetILNS1_3genE10ELNS1_11target_archE1200ELNS1_3gpuE4ELNS1_3repE0EEENS1_30default_config_static_selectorELNS0_4arch9wavefront6targetE1EEEvT1_
		.amdhsa_group_segment_fixed_size 0
		.amdhsa_private_segment_fixed_size 0
		.amdhsa_kernarg_size 32
		.amdhsa_user_sgpr_count 6
		.amdhsa_user_sgpr_private_segment_buffer 1
		.amdhsa_user_sgpr_dispatch_ptr 0
		.amdhsa_user_sgpr_queue_ptr 0
		.amdhsa_user_sgpr_kernarg_segment_ptr 1
		.amdhsa_user_sgpr_dispatch_id 0
		.amdhsa_user_sgpr_flat_scratch_init 0
		.amdhsa_user_sgpr_kernarg_preload_length 0
		.amdhsa_user_sgpr_kernarg_preload_offset 0
		.amdhsa_user_sgpr_private_segment_size 0
		.amdhsa_uses_dynamic_stack 0
		.amdhsa_system_sgpr_private_segment_wavefront_offset 0
		.amdhsa_system_sgpr_workgroup_id_x 1
		.amdhsa_system_sgpr_workgroup_id_y 0
		.amdhsa_system_sgpr_workgroup_id_z 0
		.amdhsa_system_sgpr_workgroup_info 0
		.amdhsa_system_vgpr_workitem_id 0
		.amdhsa_next_free_vgpr 1
		.amdhsa_next_free_sgpr 0
		.amdhsa_accum_offset 4
		.amdhsa_reserve_vcc 0
		.amdhsa_reserve_flat_scratch 0
		.amdhsa_float_round_mode_32 0
		.amdhsa_float_round_mode_16_64 0
		.amdhsa_float_denorm_mode_32 3
		.amdhsa_float_denorm_mode_16_64 3
		.amdhsa_dx10_clamp 1
		.amdhsa_ieee_mode 1
		.amdhsa_fp16_overflow 0
		.amdhsa_tg_split 0
		.amdhsa_exception_fp_ieee_invalid_op 0
		.amdhsa_exception_fp_denorm_src 0
		.amdhsa_exception_fp_ieee_div_zero 0
		.amdhsa_exception_fp_ieee_overflow 0
		.amdhsa_exception_fp_ieee_underflow 0
		.amdhsa_exception_fp_ieee_inexact 0
		.amdhsa_exception_int_div_zero 0
	.end_amdhsa_kernel
	.section	.text._ZN7rocprim17ROCPRIM_400000_NS6detail17trampoline_kernelINS0_14default_configENS1_20scan_config_selectorIiEEZZNS1_9scan_implILNS1_25lookback_scan_determinismE0ELb0ELb1ES3_N6thrust23THRUST_200600_302600_NS6detail15normal_iteratorINS9_10device_ptrIiEEEESE_iNS9_4plusIiEEiEEDaPvRmT3_T4_T5_mT6_P12ihipStream_tbENKUlT_T0_E_clISt17integral_constantIbLb1EESU_EEDaSP_SQ_EUlSP_E0_NS1_11comp_targetILNS1_3genE10ELNS1_11target_archE1200ELNS1_3gpuE4ELNS1_3repE0EEENS1_30default_config_static_selectorELNS0_4arch9wavefront6targetE1EEEvT1_,"axG",@progbits,_ZN7rocprim17ROCPRIM_400000_NS6detail17trampoline_kernelINS0_14default_configENS1_20scan_config_selectorIiEEZZNS1_9scan_implILNS1_25lookback_scan_determinismE0ELb0ELb1ES3_N6thrust23THRUST_200600_302600_NS6detail15normal_iteratorINS9_10device_ptrIiEEEESE_iNS9_4plusIiEEiEEDaPvRmT3_T4_T5_mT6_P12ihipStream_tbENKUlT_T0_E_clISt17integral_constantIbLb1EESU_EEDaSP_SQ_EUlSP_E0_NS1_11comp_targetILNS1_3genE10ELNS1_11target_archE1200ELNS1_3gpuE4ELNS1_3repE0EEENS1_30default_config_static_selectorELNS0_4arch9wavefront6targetE1EEEvT1_,comdat
.Lfunc_end765:
	.size	_ZN7rocprim17ROCPRIM_400000_NS6detail17trampoline_kernelINS0_14default_configENS1_20scan_config_selectorIiEEZZNS1_9scan_implILNS1_25lookback_scan_determinismE0ELb0ELb1ES3_N6thrust23THRUST_200600_302600_NS6detail15normal_iteratorINS9_10device_ptrIiEEEESE_iNS9_4plusIiEEiEEDaPvRmT3_T4_T5_mT6_P12ihipStream_tbENKUlT_T0_E_clISt17integral_constantIbLb1EESU_EEDaSP_SQ_EUlSP_E0_NS1_11comp_targetILNS1_3genE10ELNS1_11target_archE1200ELNS1_3gpuE4ELNS1_3repE0EEENS1_30default_config_static_selectorELNS0_4arch9wavefront6targetE1EEEvT1_, .Lfunc_end765-_ZN7rocprim17ROCPRIM_400000_NS6detail17trampoline_kernelINS0_14default_configENS1_20scan_config_selectorIiEEZZNS1_9scan_implILNS1_25lookback_scan_determinismE0ELb0ELb1ES3_N6thrust23THRUST_200600_302600_NS6detail15normal_iteratorINS9_10device_ptrIiEEEESE_iNS9_4plusIiEEiEEDaPvRmT3_T4_T5_mT6_P12ihipStream_tbENKUlT_T0_E_clISt17integral_constantIbLb1EESU_EEDaSP_SQ_EUlSP_E0_NS1_11comp_targetILNS1_3genE10ELNS1_11target_archE1200ELNS1_3gpuE4ELNS1_3repE0EEENS1_30default_config_static_selectorELNS0_4arch9wavefront6targetE1EEEvT1_
                                        ; -- End function
	.section	.AMDGPU.csdata,"",@progbits
; Kernel info:
; codeLenInByte = 0
; NumSgprs: 4
; NumVgprs: 0
; NumAgprs: 0
; TotalNumVgprs: 0
; ScratchSize: 0
; MemoryBound: 0
; FloatMode: 240
; IeeeMode: 1
; LDSByteSize: 0 bytes/workgroup (compile time only)
; SGPRBlocks: 0
; VGPRBlocks: 0
; NumSGPRsForWavesPerEU: 4
; NumVGPRsForWavesPerEU: 1
; AccumOffset: 4
; Occupancy: 8
; WaveLimiterHint : 0
; COMPUTE_PGM_RSRC2:SCRATCH_EN: 0
; COMPUTE_PGM_RSRC2:USER_SGPR: 6
; COMPUTE_PGM_RSRC2:TRAP_HANDLER: 0
; COMPUTE_PGM_RSRC2:TGID_X_EN: 1
; COMPUTE_PGM_RSRC2:TGID_Y_EN: 0
; COMPUTE_PGM_RSRC2:TGID_Z_EN: 0
; COMPUTE_PGM_RSRC2:TIDIG_COMP_CNT: 0
; COMPUTE_PGM_RSRC3_GFX90A:ACCUM_OFFSET: 0
; COMPUTE_PGM_RSRC3_GFX90A:TG_SPLIT: 0
	.section	.text._ZN7rocprim17ROCPRIM_400000_NS6detail17trampoline_kernelINS0_14default_configENS1_20scan_config_selectorIiEEZZNS1_9scan_implILNS1_25lookback_scan_determinismE0ELb0ELb1ES3_N6thrust23THRUST_200600_302600_NS6detail15normal_iteratorINS9_10device_ptrIiEEEESE_iNS9_4plusIiEEiEEDaPvRmT3_T4_T5_mT6_P12ihipStream_tbENKUlT_T0_E_clISt17integral_constantIbLb1EESU_EEDaSP_SQ_EUlSP_E0_NS1_11comp_targetILNS1_3genE9ELNS1_11target_archE1100ELNS1_3gpuE3ELNS1_3repE0EEENS1_30default_config_static_selectorELNS0_4arch9wavefront6targetE1EEEvT1_,"axG",@progbits,_ZN7rocprim17ROCPRIM_400000_NS6detail17trampoline_kernelINS0_14default_configENS1_20scan_config_selectorIiEEZZNS1_9scan_implILNS1_25lookback_scan_determinismE0ELb0ELb1ES3_N6thrust23THRUST_200600_302600_NS6detail15normal_iteratorINS9_10device_ptrIiEEEESE_iNS9_4plusIiEEiEEDaPvRmT3_T4_T5_mT6_P12ihipStream_tbENKUlT_T0_E_clISt17integral_constantIbLb1EESU_EEDaSP_SQ_EUlSP_E0_NS1_11comp_targetILNS1_3genE9ELNS1_11target_archE1100ELNS1_3gpuE3ELNS1_3repE0EEENS1_30default_config_static_selectorELNS0_4arch9wavefront6targetE1EEEvT1_,comdat
	.protected	_ZN7rocprim17ROCPRIM_400000_NS6detail17trampoline_kernelINS0_14default_configENS1_20scan_config_selectorIiEEZZNS1_9scan_implILNS1_25lookback_scan_determinismE0ELb0ELb1ES3_N6thrust23THRUST_200600_302600_NS6detail15normal_iteratorINS9_10device_ptrIiEEEESE_iNS9_4plusIiEEiEEDaPvRmT3_T4_T5_mT6_P12ihipStream_tbENKUlT_T0_E_clISt17integral_constantIbLb1EESU_EEDaSP_SQ_EUlSP_E0_NS1_11comp_targetILNS1_3genE9ELNS1_11target_archE1100ELNS1_3gpuE3ELNS1_3repE0EEENS1_30default_config_static_selectorELNS0_4arch9wavefront6targetE1EEEvT1_ ; -- Begin function _ZN7rocprim17ROCPRIM_400000_NS6detail17trampoline_kernelINS0_14default_configENS1_20scan_config_selectorIiEEZZNS1_9scan_implILNS1_25lookback_scan_determinismE0ELb0ELb1ES3_N6thrust23THRUST_200600_302600_NS6detail15normal_iteratorINS9_10device_ptrIiEEEESE_iNS9_4plusIiEEiEEDaPvRmT3_T4_T5_mT6_P12ihipStream_tbENKUlT_T0_E_clISt17integral_constantIbLb1EESU_EEDaSP_SQ_EUlSP_E0_NS1_11comp_targetILNS1_3genE9ELNS1_11target_archE1100ELNS1_3gpuE3ELNS1_3repE0EEENS1_30default_config_static_selectorELNS0_4arch9wavefront6targetE1EEEvT1_
	.globl	_ZN7rocprim17ROCPRIM_400000_NS6detail17trampoline_kernelINS0_14default_configENS1_20scan_config_selectorIiEEZZNS1_9scan_implILNS1_25lookback_scan_determinismE0ELb0ELb1ES3_N6thrust23THRUST_200600_302600_NS6detail15normal_iteratorINS9_10device_ptrIiEEEESE_iNS9_4plusIiEEiEEDaPvRmT3_T4_T5_mT6_P12ihipStream_tbENKUlT_T0_E_clISt17integral_constantIbLb1EESU_EEDaSP_SQ_EUlSP_E0_NS1_11comp_targetILNS1_3genE9ELNS1_11target_archE1100ELNS1_3gpuE3ELNS1_3repE0EEENS1_30default_config_static_selectorELNS0_4arch9wavefront6targetE1EEEvT1_
	.p2align	8
	.type	_ZN7rocprim17ROCPRIM_400000_NS6detail17trampoline_kernelINS0_14default_configENS1_20scan_config_selectorIiEEZZNS1_9scan_implILNS1_25lookback_scan_determinismE0ELb0ELb1ES3_N6thrust23THRUST_200600_302600_NS6detail15normal_iteratorINS9_10device_ptrIiEEEESE_iNS9_4plusIiEEiEEDaPvRmT3_T4_T5_mT6_P12ihipStream_tbENKUlT_T0_E_clISt17integral_constantIbLb1EESU_EEDaSP_SQ_EUlSP_E0_NS1_11comp_targetILNS1_3genE9ELNS1_11target_archE1100ELNS1_3gpuE3ELNS1_3repE0EEENS1_30default_config_static_selectorELNS0_4arch9wavefront6targetE1EEEvT1_,@function
_ZN7rocprim17ROCPRIM_400000_NS6detail17trampoline_kernelINS0_14default_configENS1_20scan_config_selectorIiEEZZNS1_9scan_implILNS1_25lookback_scan_determinismE0ELb0ELb1ES3_N6thrust23THRUST_200600_302600_NS6detail15normal_iteratorINS9_10device_ptrIiEEEESE_iNS9_4plusIiEEiEEDaPvRmT3_T4_T5_mT6_P12ihipStream_tbENKUlT_T0_E_clISt17integral_constantIbLb1EESU_EEDaSP_SQ_EUlSP_E0_NS1_11comp_targetILNS1_3genE9ELNS1_11target_archE1100ELNS1_3gpuE3ELNS1_3repE0EEENS1_30default_config_static_selectorELNS0_4arch9wavefront6targetE1EEEvT1_: ; @_ZN7rocprim17ROCPRIM_400000_NS6detail17trampoline_kernelINS0_14default_configENS1_20scan_config_selectorIiEEZZNS1_9scan_implILNS1_25lookback_scan_determinismE0ELb0ELb1ES3_N6thrust23THRUST_200600_302600_NS6detail15normal_iteratorINS9_10device_ptrIiEEEESE_iNS9_4plusIiEEiEEDaPvRmT3_T4_T5_mT6_P12ihipStream_tbENKUlT_T0_E_clISt17integral_constantIbLb1EESU_EEDaSP_SQ_EUlSP_E0_NS1_11comp_targetILNS1_3genE9ELNS1_11target_archE1100ELNS1_3gpuE3ELNS1_3repE0EEENS1_30default_config_static_selectorELNS0_4arch9wavefront6targetE1EEEvT1_
; %bb.0:
	.section	.rodata,"a",@progbits
	.p2align	6, 0x0
	.amdhsa_kernel _ZN7rocprim17ROCPRIM_400000_NS6detail17trampoline_kernelINS0_14default_configENS1_20scan_config_selectorIiEEZZNS1_9scan_implILNS1_25lookback_scan_determinismE0ELb0ELb1ES3_N6thrust23THRUST_200600_302600_NS6detail15normal_iteratorINS9_10device_ptrIiEEEESE_iNS9_4plusIiEEiEEDaPvRmT3_T4_T5_mT6_P12ihipStream_tbENKUlT_T0_E_clISt17integral_constantIbLb1EESU_EEDaSP_SQ_EUlSP_E0_NS1_11comp_targetILNS1_3genE9ELNS1_11target_archE1100ELNS1_3gpuE3ELNS1_3repE0EEENS1_30default_config_static_selectorELNS0_4arch9wavefront6targetE1EEEvT1_
		.amdhsa_group_segment_fixed_size 0
		.amdhsa_private_segment_fixed_size 0
		.amdhsa_kernarg_size 32
		.amdhsa_user_sgpr_count 6
		.amdhsa_user_sgpr_private_segment_buffer 1
		.amdhsa_user_sgpr_dispatch_ptr 0
		.amdhsa_user_sgpr_queue_ptr 0
		.amdhsa_user_sgpr_kernarg_segment_ptr 1
		.amdhsa_user_sgpr_dispatch_id 0
		.amdhsa_user_sgpr_flat_scratch_init 0
		.amdhsa_user_sgpr_kernarg_preload_length 0
		.amdhsa_user_sgpr_kernarg_preload_offset 0
		.amdhsa_user_sgpr_private_segment_size 0
		.amdhsa_uses_dynamic_stack 0
		.amdhsa_system_sgpr_private_segment_wavefront_offset 0
		.amdhsa_system_sgpr_workgroup_id_x 1
		.amdhsa_system_sgpr_workgroup_id_y 0
		.amdhsa_system_sgpr_workgroup_id_z 0
		.amdhsa_system_sgpr_workgroup_info 0
		.amdhsa_system_vgpr_workitem_id 0
		.amdhsa_next_free_vgpr 1
		.amdhsa_next_free_sgpr 0
		.amdhsa_accum_offset 4
		.amdhsa_reserve_vcc 0
		.amdhsa_reserve_flat_scratch 0
		.amdhsa_float_round_mode_32 0
		.amdhsa_float_round_mode_16_64 0
		.amdhsa_float_denorm_mode_32 3
		.amdhsa_float_denorm_mode_16_64 3
		.amdhsa_dx10_clamp 1
		.amdhsa_ieee_mode 1
		.amdhsa_fp16_overflow 0
		.amdhsa_tg_split 0
		.amdhsa_exception_fp_ieee_invalid_op 0
		.amdhsa_exception_fp_denorm_src 0
		.amdhsa_exception_fp_ieee_div_zero 0
		.amdhsa_exception_fp_ieee_overflow 0
		.amdhsa_exception_fp_ieee_underflow 0
		.amdhsa_exception_fp_ieee_inexact 0
		.amdhsa_exception_int_div_zero 0
	.end_amdhsa_kernel
	.section	.text._ZN7rocprim17ROCPRIM_400000_NS6detail17trampoline_kernelINS0_14default_configENS1_20scan_config_selectorIiEEZZNS1_9scan_implILNS1_25lookback_scan_determinismE0ELb0ELb1ES3_N6thrust23THRUST_200600_302600_NS6detail15normal_iteratorINS9_10device_ptrIiEEEESE_iNS9_4plusIiEEiEEDaPvRmT3_T4_T5_mT6_P12ihipStream_tbENKUlT_T0_E_clISt17integral_constantIbLb1EESU_EEDaSP_SQ_EUlSP_E0_NS1_11comp_targetILNS1_3genE9ELNS1_11target_archE1100ELNS1_3gpuE3ELNS1_3repE0EEENS1_30default_config_static_selectorELNS0_4arch9wavefront6targetE1EEEvT1_,"axG",@progbits,_ZN7rocprim17ROCPRIM_400000_NS6detail17trampoline_kernelINS0_14default_configENS1_20scan_config_selectorIiEEZZNS1_9scan_implILNS1_25lookback_scan_determinismE0ELb0ELb1ES3_N6thrust23THRUST_200600_302600_NS6detail15normal_iteratorINS9_10device_ptrIiEEEESE_iNS9_4plusIiEEiEEDaPvRmT3_T4_T5_mT6_P12ihipStream_tbENKUlT_T0_E_clISt17integral_constantIbLb1EESU_EEDaSP_SQ_EUlSP_E0_NS1_11comp_targetILNS1_3genE9ELNS1_11target_archE1100ELNS1_3gpuE3ELNS1_3repE0EEENS1_30default_config_static_selectorELNS0_4arch9wavefront6targetE1EEEvT1_,comdat
.Lfunc_end766:
	.size	_ZN7rocprim17ROCPRIM_400000_NS6detail17trampoline_kernelINS0_14default_configENS1_20scan_config_selectorIiEEZZNS1_9scan_implILNS1_25lookback_scan_determinismE0ELb0ELb1ES3_N6thrust23THRUST_200600_302600_NS6detail15normal_iteratorINS9_10device_ptrIiEEEESE_iNS9_4plusIiEEiEEDaPvRmT3_T4_T5_mT6_P12ihipStream_tbENKUlT_T0_E_clISt17integral_constantIbLb1EESU_EEDaSP_SQ_EUlSP_E0_NS1_11comp_targetILNS1_3genE9ELNS1_11target_archE1100ELNS1_3gpuE3ELNS1_3repE0EEENS1_30default_config_static_selectorELNS0_4arch9wavefront6targetE1EEEvT1_, .Lfunc_end766-_ZN7rocprim17ROCPRIM_400000_NS6detail17trampoline_kernelINS0_14default_configENS1_20scan_config_selectorIiEEZZNS1_9scan_implILNS1_25lookback_scan_determinismE0ELb0ELb1ES3_N6thrust23THRUST_200600_302600_NS6detail15normal_iteratorINS9_10device_ptrIiEEEESE_iNS9_4plusIiEEiEEDaPvRmT3_T4_T5_mT6_P12ihipStream_tbENKUlT_T0_E_clISt17integral_constantIbLb1EESU_EEDaSP_SQ_EUlSP_E0_NS1_11comp_targetILNS1_3genE9ELNS1_11target_archE1100ELNS1_3gpuE3ELNS1_3repE0EEENS1_30default_config_static_selectorELNS0_4arch9wavefront6targetE1EEEvT1_
                                        ; -- End function
	.section	.AMDGPU.csdata,"",@progbits
; Kernel info:
; codeLenInByte = 0
; NumSgprs: 4
; NumVgprs: 0
; NumAgprs: 0
; TotalNumVgprs: 0
; ScratchSize: 0
; MemoryBound: 0
; FloatMode: 240
; IeeeMode: 1
; LDSByteSize: 0 bytes/workgroup (compile time only)
; SGPRBlocks: 0
; VGPRBlocks: 0
; NumSGPRsForWavesPerEU: 4
; NumVGPRsForWavesPerEU: 1
; AccumOffset: 4
; Occupancy: 8
; WaveLimiterHint : 0
; COMPUTE_PGM_RSRC2:SCRATCH_EN: 0
; COMPUTE_PGM_RSRC2:USER_SGPR: 6
; COMPUTE_PGM_RSRC2:TRAP_HANDLER: 0
; COMPUTE_PGM_RSRC2:TGID_X_EN: 1
; COMPUTE_PGM_RSRC2:TGID_Y_EN: 0
; COMPUTE_PGM_RSRC2:TGID_Z_EN: 0
; COMPUTE_PGM_RSRC2:TIDIG_COMP_CNT: 0
; COMPUTE_PGM_RSRC3_GFX90A:ACCUM_OFFSET: 0
; COMPUTE_PGM_RSRC3_GFX90A:TG_SPLIT: 0
	.section	.text._ZN7rocprim17ROCPRIM_400000_NS6detail17trampoline_kernelINS0_14default_configENS1_20scan_config_selectorIiEEZZNS1_9scan_implILNS1_25lookback_scan_determinismE0ELb0ELb1ES3_N6thrust23THRUST_200600_302600_NS6detail15normal_iteratorINS9_10device_ptrIiEEEESE_iNS9_4plusIiEEiEEDaPvRmT3_T4_T5_mT6_P12ihipStream_tbENKUlT_T0_E_clISt17integral_constantIbLb1EESU_EEDaSP_SQ_EUlSP_E0_NS1_11comp_targetILNS1_3genE8ELNS1_11target_archE1030ELNS1_3gpuE2ELNS1_3repE0EEENS1_30default_config_static_selectorELNS0_4arch9wavefront6targetE1EEEvT1_,"axG",@progbits,_ZN7rocprim17ROCPRIM_400000_NS6detail17trampoline_kernelINS0_14default_configENS1_20scan_config_selectorIiEEZZNS1_9scan_implILNS1_25lookback_scan_determinismE0ELb0ELb1ES3_N6thrust23THRUST_200600_302600_NS6detail15normal_iteratorINS9_10device_ptrIiEEEESE_iNS9_4plusIiEEiEEDaPvRmT3_T4_T5_mT6_P12ihipStream_tbENKUlT_T0_E_clISt17integral_constantIbLb1EESU_EEDaSP_SQ_EUlSP_E0_NS1_11comp_targetILNS1_3genE8ELNS1_11target_archE1030ELNS1_3gpuE2ELNS1_3repE0EEENS1_30default_config_static_selectorELNS0_4arch9wavefront6targetE1EEEvT1_,comdat
	.protected	_ZN7rocprim17ROCPRIM_400000_NS6detail17trampoline_kernelINS0_14default_configENS1_20scan_config_selectorIiEEZZNS1_9scan_implILNS1_25lookback_scan_determinismE0ELb0ELb1ES3_N6thrust23THRUST_200600_302600_NS6detail15normal_iteratorINS9_10device_ptrIiEEEESE_iNS9_4plusIiEEiEEDaPvRmT3_T4_T5_mT6_P12ihipStream_tbENKUlT_T0_E_clISt17integral_constantIbLb1EESU_EEDaSP_SQ_EUlSP_E0_NS1_11comp_targetILNS1_3genE8ELNS1_11target_archE1030ELNS1_3gpuE2ELNS1_3repE0EEENS1_30default_config_static_selectorELNS0_4arch9wavefront6targetE1EEEvT1_ ; -- Begin function _ZN7rocprim17ROCPRIM_400000_NS6detail17trampoline_kernelINS0_14default_configENS1_20scan_config_selectorIiEEZZNS1_9scan_implILNS1_25lookback_scan_determinismE0ELb0ELb1ES3_N6thrust23THRUST_200600_302600_NS6detail15normal_iteratorINS9_10device_ptrIiEEEESE_iNS9_4plusIiEEiEEDaPvRmT3_T4_T5_mT6_P12ihipStream_tbENKUlT_T0_E_clISt17integral_constantIbLb1EESU_EEDaSP_SQ_EUlSP_E0_NS1_11comp_targetILNS1_3genE8ELNS1_11target_archE1030ELNS1_3gpuE2ELNS1_3repE0EEENS1_30default_config_static_selectorELNS0_4arch9wavefront6targetE1EEEvT1_
	.globl	_ZN7rocprim17ROCPRIM_400000_NS6detail17trampoline_kernelINS0_14default_configENS1_20scan_config_selectorIiEEZZNS1_9scan_implILNS1_25lookback_scan_determinismE0ELb0ELb1ES3_N6thrust23THRUST_200600_302600_NS6detail15normal_iteratorINS9_10device_ptrIiEEEESE_iNS9_4plusIiEEiEEDaPvRmT3_T4_T5_mT6_P12ihipStream_tbENKUlT_T0_E_clISt17integral_constantIbLb1EESU_EEDaSP_SQ_EUlSP_E0_NS1_11comp_targetILNS1_3genE8ELNS1_11target_archE1030ELNS1_3gpuE2ELNS1_3repE0EEENS1_30default_config_static_selectorELNS0_4arch9wavefront6targetE1EEEvT1_
	.p2align	8
	.type	_ZN7rocprim17ROCPRIM_400000_NS6detail17trampoline_kernelINS0_14default_configENS1_20scan_config_selectorIiEEZZNS1_9scan_implILNS1_25lookback_scan_determinismE0ELb0ELb1ES3_N6thrust23THRUST_200600_302600_NS6detail15normal_iteratorINS9_10device_ptrIiEEEESE_iNS9_4plusIiEEiEEDaPvRmT3_T4_T5_mT6_P12ihipStream_tbENKUlT_T0_E_clISt17integral_constantIbLb1EESU_EEDaSP_SQ_EUlSP_E0_NS1_11comp_targetILNS1_3genE8ELNS1_11target_archE1030ELNS1_3gpuE2ELNS1_3repE0EEENS1_30default_config_static_selectorELNS0_4arch9wavefront6targetE1EEEvT1_,@function
_ZN7rocprim17ROCPRIM_400000_NS6detail17trampoline_kernelINS0_14default_configENS1_20scan_config_selectorIiEEZZNS1_9scan_implILNS1_25lookback_scan_determinismE0ELb0ELb1ES3_N6thrust23THRUST_200600_302600_NS6detail15normal_iteratorINS9_10device_ptrIiEEEESE_iNS9_4plusIiEEiEEDaPvRmT3_T4_T5_mT6_P12ihipStream_tbENKUlT_T0_E_clISt17integral_constantIbLb1EESU_EEDaSP_SQ_EUlSP_E0_NS1_11comp_targetILNS1_3genE8ELNS1_11target_archE1030ELNS1_3gpuE2ELNS1_3repE0EEENS1_30default_config_static_selectorELNS0_4arch9wavefront6targetE1EEEvT1_: ; @_ZN7rocprim17ROCPRIM_400000_NS6detail17trampoline_kernelINS0_14default_configENS1_20scan_config_selectorIiEEZZNS1_9scan_implILNS1_25lookback_scan_determinismE0ELb0ELb1ES3_N6thrust23THRUST_200600_302600_NS6detail15normal_iteratorINS9_10device_ptrIiEEEESE_iNS9_4plusIiEEiEEDaPvRmT3_T4_T5_mT6_P12ihipStream_tbENKUlT_T0_E_clISt17integral_constantIbLb1EESU_EEDaSP_SQ_EUlSP_E0_NS1_11comp_targetILNS1_3genE8ELNS1_11target_archE1030ELNS1_3gpuE2ELNS1_3repE0EEENS1_30default_config_static_selectorELNS0_4arch9wavefront6targetE1EEEvT1_
; %bb.0:
	.section	.rodata,"a",@progbits
	.p2align	6, 0x0
	.amdhsa_kernel _ZN7rocprim17ROCPRIM_400000_NS6detail17trampoline_kernelINS0_14default_configENS1_20scan_config_selectorIiEEZZNS1_9scan_implILNS1_25lookback_scan_determinismE0ELb0ELb1ES3_N6thrust23THRUST_200600_302600_NS6detail15normal_iteratorINS9_10device_ptrIiEEEESE_iNS9_4plusIiEEiEEDaPvRmT3_T4_T5_mT6_P12ihipStream_tbENKUlT_T0_E_clISt17integral_constantIbLb1EESU_EEDaSP_SQ_EUlSP_E0_NS1_11comp_targetILNS1_3genE8ELNS1_11target_archE1030ELNS1_3gpuE2ELNS1_3repE0EEENS1_30default_config_static_selectorELNS0_4arch9wavefront6targetE1EEEvT1_
		.amdhsa_group_segment_fixed_size 0
		.amdhsa_private_segment_fixed_size 0
		.amdhsa_kernarg_size 32
		.amdhsa_user_sgpr_count 6
		.amdhsa_user_sgpr_private_segment_buffer 1
		.amdhsa_user_sgpr_dispatch_ptr 0
		.amdhsa_user_sgpr_queue_ptr 0
		.amdhsa_user_sgpr_kernarg_segment_ptr 1
		.amdhsa_user_sgpr_dispatch_id 0
		.amdhsa_user_sgpr_flat_scratch_init 0
		.amdhsa_user_sgpr_kernarg_preload_length 0
		.amdhsa_user_sgpr_kernarg_preload_offset 0
		.amdhsa_user_sgpr_private_segment_size 0
		.amdhsa_uses_dynamic_stack 0
		.amdhsa_system_sgpr_private_segment_wavefront_offset 0
		.amdhsa_system_sgpr_workgroup_id_x 1
		.amdhsa_system_sgpr_workgroup_id_y 0
		.amdhsa_system_sgpr_workgroup_id_z 0
		.amdhsa_system_sgpr_workgroup_info 0
		.amdhsa_system_vgpr_workitem_id 0
		.amdhsa_next_free_vgpr 1
		.amdhsa_next_free_sgpr 0
		.amdhsa_accum_offset 4
		.amdhsa_reserve_vcc 0
		.amdhsa_reserve_flat_scratch 0
		.amdhsa_float_round_mode_32 0
		.amdhsa_float_round_mode_16_64 0
		.amdhsa_float_denorm_mode_32 3
		.amdhsa_float_denorm_mode_16_64 3
		.amdhsa_dx10_clamp 1
		.amdhsa_ieee_mode 1
		.amdhsa_fp16_overflow 0
		.amdhsa_tg_split 0
		.amdhsa_exception_fp_ieee_invalid_op 0
		.amdhsa_exception_fp_denorm_src 0
		.amdhsa_exception_fp_ieee_div_zero 0
		.amdhsa_exception_fp_ieee_overflow 0
		.amdhsa_exception_fp_ieee_underflow 0
		.amdhsa_exception_fp_ieee_inexact 0
		.amdhsa_exception_int_div_zero 0
	.end_amdhsa_kernel
	.section	.text._ZN7rocprim17ROCPRIM_400000_NS6detail17trampoline_kernelINS0_14default_configENS1_20scan_config_selectorIiEEZZNS1_9scan_implILNS1_25lookback_scan_determinismE0ELb0ELb1ES3_N6thrust23THRUST_200600_302600_NS6detail15normal_iteratorINS9_10device_ptrIiEEEESE_iNS9_4plusIiEEiEEDaPvRmT3_T4_T5_mT6_P12ihipStream_tbENKUlT_T0_E_clISt17integral_constantIbLb1EESU_EEDaSP_SQ_EUlSP_E0_NS1_11comp_targetILNS1_3genE8ELNS1_11target_archE1030ELNS1_3gpuE2ELNS1_3repE0EEENS1_30default_config_static_selectorELNS0_4arch9wavefront6targetE1EEEvT1_,"axG",@progbits,_ZN7rocprim17ROCPRIM_400000_NS6detail17trampoline_kernelINS0_14default_configENS1_20scan_config_selectorIiEEZZNS1_9scan_implILNS1_25lookback_scan_determinismE0ELb0ELb1ES3_N6thrust23THRUST_200600_302600_NS6detail15normal_iteratorINS9_10device_ptrIiEEEESE_iNS9_4plusIiEEiEEDaPvRmT3_T4_T5_mT6_P12ihipStream_tbENKUlT_T0_E_clISt17integral_constantIbLb1EESU_EEDaSP_SQ_EUlSP_E0_NS1_11comp_targetILNS1_3genE8ELNS1_11target_archE1030ELNS1_3gpuE2ELNS1_3repE0EEENS1_30default_config_static_selectorELNS0_4arch9wavefront6targetE1EEEvT1_,comdat
.Lfunc_end767:
	.size	_ZN7rocprim17ROCPRIM_400000_NS6detail17trampoline_kernelINS0_14default_configENS1_20scan_config_selectorIiEEZZNS1_9scan_implILNS1_25lookback_scan_determinismE0ELb0ELb1ES3_N6thrust23THRUST_200600_302600_NS6detail15normal_iteratorINS9_10device_ptrIiEEEESE_iNS9_4plusIiEEiEEDaPvRmT3_T4_T5_mT6_P12ihipStream_tbENKUlT_T0_E_clISt17integral_constantIbLb1EESU_EEDaSP_SQ_EUlSP_E0_NS1_11comp_targetILNS1_3genE8ELNS1_11target_archE1030ELNS1_3gpuE2ELNS1_3repE0EEENS1_30default_config_static_selectorELNS0_4arch9wavefront6targetE1EEEvT1_, .Lfunc_end767-_ZN7rocprim17ROCPRIM_400000_NS6detail17trampoline_kernelINS0_14default_configENS1_20scan_config_selectorIiEEZZNS1_9scan_implILNS1_25lookback_scan_determinismE0ELb0ELb1ES3_N6thrust23THRUST_200600_302600_NS6detail15normal_iteratorINS9_10device_ptrIiEEEESE_iNS9_4plusIiEEiEEDaPvRmT3_T4_T5_mT6_P12ihipStream_tbENKUlT_T0_E_clISt17integral_constantIbLb1EESU_EEDaSP_SQ_EUlSP_E0_NS1_11comp_targetILNS1_3genE8ELNS1_11target_archE1030ELNS1_3gpuE2ELNS1_3repE0EEENS1_30default_config_static_selectorELNS0_4arch9wavefront6targetE1EEEvT1_
                                        ; -- End function
	.section	.AMDGPU.csdata,"",@progbits
; Kernel info:
; codeLenInByte = 0
; NumSgprs: 4
; NumVgprs: 0
; NumAgprs: 0
; TotalNumVgprs: 0
; ScratchSize: 0
; MemoryBound: 0
; FloatMode: 240
; IeeeMode: 1
; LDSByteSize: 0 bytes/workgroup (compile time only)
; SGPRBlocks: 0
; VGPRBlocks: 0
; NumSGPRsForWavesPerEU: 4
; NumVGPRsForWavesPerEU: 1
; AccumOffset: 4
; Occupancy: 8
; WaveLimiterHint : 0
; COMPUTE_PGM_RSRC2:SCRATCH_EN: 0
; COMPUTE_PGM_RSRC2:USER_SGPR: 6
; COMPUTE_PGM_RSRC2:TRAP_HANDLER: 0
; COMPUTE_PGM_RSRC2:TGID_X_EN: 1
; COMPUTE_PGM_RSRC2:TGID_Y_EN: 0
; COMPUTE_PGM_RSRC2:TGID_Z_EN: 0
; COMPUTE_PGM_RSRC2:TIDIG_COMP_CNT: 0
; COMPUTE_PGM_RSRC3_GFX90A:ACCUM_OFFSET: 0
; COMPUTE_PGM_RSRC3_GFX90A:TG_SPLIT: 0
	.section	.text._ZN7rocprim17ROCPRIM_400000_NS6detail17trampoline_kernelINS0_14default_configENS1_20scan_config_selectorIiEEZZNS1_9scan_implILNS1_25lookback_scan_determinismE0ELb0ELb1ES3_N6thrust23THRUST_200600_302600_NS6detail15normal_iteratorINS9_10device_ptrIiEEEESE_iNS9_4plusIiEEiEEDaPvRmT3_T4_T5_mT6_P12ihipStream_tbENKUlT_T0_E_clISt17integral_constantIbLb1EEST_IbLb0EEEEDaSP_SQ_EUlSP_E_NS1_11comp_targetILNS1_3genE0ELNS1_11target_archE4294967295ELNS1_3gpuE0ELNS1_3repE0EEENS1_30default_config_static_selectorELNS0_4arch9wavefront6targetE1EEEvT1_,"axG",@progbits,_ZN7rocprim17ROCPRIM_400000_NS6detail17trampoline_kernelINS0_14default_configENS1_20scan_config_selectorIiEEZZNS1_9scan_implILNS1_25lookback_scan_determinismE0ELb0ELb1ES3_N6thrust23THRUST_200600_302600_NS6detail15normal_iteratorINS9_10device_ptrIiEEEESE_iNS9_4plusIiEEiEEDaPvRmT3_T4_T5_mT6_P12ihipStream_tbENKUlT_T0_E_clISt17integral_constantIbLb1EEST_IbLb0EEEEDaSP_SQ_EUlSP_E_NS1_11comp_targetILNS1_3genE0ELNS1_11target_archE4294967295ELNS1_3gpuE0ELNS1_3repE0EEENS1_30default_config_static_selectorELNS0_4arch9wavefront6targetE1EEEvT1_,comdat
	.protected	_ZN7rocprim17ROCPRIM_400000_NS6detail17trampoline_kernelINS0_14default_configENS1_20scan_config_selectorIiEEZZNS1_9scan_implILNS1_25lookback_scan_determinismE0ELb0ELb1ES3_N6thrust23THRUST_200600_302600_NS6detail15normal_iteratorINS9_10device_ptrIiEEEESE_iNS9_4plusIiEEiEEDaPvRmT3_T4_T5_mT6_P12ihipStream_tbENKUlT_T0_E_clISt17integral_constantIbLb1EEST_IbLb0EEEEDaSP_SQ_EUlSP_E_NS1_11comp_targetILNS1_3genE0ELNS1_11target_archE4294967295ELNS1_3gpuE0ELNS1_3repE0EEENS1_30default_config_static_selectorELNS0_4arch9wavefront6targetE1EEEvT1_ ; -- Begin function _ZN7rocprim17ROCPRIM_400000_NS6detail17trampoline_kernelINS0_14default_configENS1_20scan_config_selectorIiEEZZNS1_9scan_implILNS1_25lookback_scan_determinismE0ELb0ELb1ES3_N6thrust23THRUST_200600_302600_NS6detail15normal_iteratorINS9_10device_ptrIiEEEESE_iNS9_4plusIiEEiEEDaPvRmT3_T4_T5_mT6_P12ihipStream_tbENKUlT_T0_E_clISt17integral_constantIbLb1EEST_IbLb0EEEEDaSP_SQ_EUlSP_E_NS1_11comp_targetILNS1_3genE0ELNS1_11target_archE4294967295ELNS1_3gpuE0ELNS1_3repE0EEENS1_30default_config_static_selectorELNS0_4arch9wavefront6targetE1EEEvT1_
	.globl	_ZN7rocprim17ROCPRIM_400000_NS6detail17trampoline_kernelINS0_14default_configENS1_20scan_config_selectorIiEEZZNS1_9scan_implILNS1_25lookback_scan_determinismE0ELb0ELb1ES3_N6thrust23THRUST_200600_302600_NS6detail15normal_iteratorINS9_10device_ptrIiEEEESE_iNS9_4plusIiEEiEEDaPvRmT3_T4_T5_mT6_P12ihipStream_tbENKUlT_T0_E_clISt17integral_constantIbLb1EEST_IbLb0EEEEDaSP_SQ_EUlSP_E_NS1_11comp_targetILNS1_3genE0ELNS1_11target_archE4294967295ELNS1_3gpuE0ELNS1_3repE0EEENS1_30default_config_static_selectorELNS0_4arch9wavefront6targetE1EEEvT1_
	.p2align	8
	.type	_ZN7rocprim17ROCPRIM_400000_NS6detail17trampoline_kernelINS0_14default_configENS1_20scan_config_selectorIiEEZZNS1_9scan_implILNS1_25lookback_scan_determinismE0ELb0ELb1ES3_N6thrust23THRUST_200600_302600_NS6detail15normal_iteratorINS9_10device_ptrIiEEEESE_iNS9_4plusIiEEiEEDaPvRmT3_T4_T5_mT6_P12ihipStream_tbENKUlT_T0_E_clISt17integral_constantIbLb1EEST_IbLb0EEEEDaSP_SQ_EUlSP_E_NS1_11comp_targetILNS1_3genE0ELNS1_11target_archE4294967295ELNS1_3gpuE0ELNS1_3repE0EEENS1_30default_config_static_selectorELNS0_4arch9wavefront6targetE1EEEvT1_,@function
_ZN7rocprim17ROCPRIM_400000_NS6detail17trampoline_kernelINS0_14default_configENS1_20scan_config_selectorIiEEZZNS1_9scan_implILNS1_25lookback_scan_determinismE0ELb0ELb1ES3_N6thrust23THRUST_200600_302600_NS6detail15normal_iteratorINS9_10device_ptrIiEEEESE_iNS9_4plusIiEEiEEDaPvRmT3_T4_T5_mT6_P12ihipStream_tbENKUlT_T0_E_clISt17integral_constantIbLb1EEST_IbLb0EEEEDaSP_SQ_EUlSP_E_NS1_11comp_targetILNS1_3genE0ELNS1_11target_archE4294967295ELNS1_3gpuE0ELNS1_3repE0EEENS1_30default_config_static_selectorELNS0_4arch9wavefront6targetE1EEEvT1_: ; @_ZN7rocprim17ROCPRIM_400000_NS6detail17trampoline_kernelINS0_14default_configENS1_20scan_config_selectorIiEEZZNS1_9scan_implILNS1_25lookback_scan_determinismE0ELb0ELb1ES3_N6thrust23THRUST_200600_302600_NS6detail15normal_iteratorINS9_10device_ptrIiEEEESE_iNS9_4plusIiEEiEEDaPvRmT3_T4_T5_mT6_P12ihipStream_tbENKUlT_T0_E_clISt17integral_constantIbLb1EEST_IbLb0EEEEDaSP_SQ_EUlSP_E_NS1_11comp_targetILNS1_3genE0ELNS1_11target_archE4294967295ELNS1_3gpuE0ELNS1_3repE0EEENS1_30default_config_static_selectorELNS0_4arch9wavefront6targetE1EEEvT1_
; %bb.0:
	.section	.rodata,"a",@progbits
	.p2align	6, 0x0
	.amdhsa_kernel _ZN7rocprim17ROCPRIM_400000_NS6detail17trampoline_kernelINS0_14default_configENS1_20scan_config_selectorIiEEZZNS1_9scan_implILNS1_25lookback_scan_determinismE0ELb0ELb1ES3_N6thrust23THRUST_200600_302600_NS6detail15normal_iteratorINS9_10device_ptrIiEEEESE_iNS9_4plusIiEEiEEDaPvRmT3_T4_T5_mT6_P12ihipStream_tbENKUlT_T0_E_clISt17integral_constantIbLb1EEST_IbLb0EEEEDaSP_SQ_EUlSP_E_NS1_11comp_targetILNS1_3genE0ELNS1_11target_archE4294967295ELNS1_3gpuE0ELNS1_3repE0EEENS1_30default_config_static_selectorELNS0_4arch9wavefront6targetE1EEEvT1_
		.amdhsa_group_segment_fixed_size 0
		.amdhsa_private_segment_fixed_size 0
		.amdhsa_kernarg_size 96
		.amdhsa_user_sgpr_count 6
		.amdhsa_user_sgpr_private_segment_buffer 1
		.amdhsa_user_sgpr_dispatch_ptr 0
		.amdhsa_user_sgpr_queue_ptr 0
		.amdhsa_user_sgpr_kernarg_segment_ptr 1
		.amdhsa_user_sgpr_dispatch_id 0
		.amdhsa_user_sgpr_flat_scratch_init 0
		.amdhsa_user_sgpr_kernarg_preload_length 0
		.amdhsa_user_sgpr_kernarg_preload_offset 0
		.amdhsa_user_sgpr_private_segment_size 0
		.amdhsa_uses_dynamic_stack 0
		.amdhsa_system_sgpr_private_segment_wavefront_offset 0
		.amdhsa_system_sgpr_workgroup_id_x 1
		.amdhsa_system_sgpr_workgroup_id_y 0
		.amdhsa_system_sgpr_workgroup_id_z 0
		.amdhsa_system_sgpr_workgroup_info 0
		.amdhsa_system_vgpr_workitem_id 0
		.amdhsa_next_free_vgpr 1
		.amdhsa_next_free_sgpr 0
		.amdhsa_accum_offset 4
		.amdhsa_reserve_vcc 0
		.amdhsa_reserve_flat_scratch 0
		.amdhsa_float_round_mode_32 0
		.amdhsa_float_round_mode_16_64 0
		.amdhsa_float_denorm_mode_32 3
		.amdhsa_float_denorm_mode_16_64 3
		.amdhsa_dx10_clamp 1
		.amdhsa_ieee_mode 1
		.amdhsa_fp16_overflow 0
		.amdhsa_tg_split 0
		.amdhsa_exception_fp_ieee_invalid_op 0
		.amdhsa_exception_fp_denorm_src 0
		.amdhsa_exception_fp_ieee_div_zero 0
		.amdhsa_exception_fp_ieee_overflow 0
		.amdhsa_exception_fp_ieee_underflow 0
		.amdhsa_exception_fp_ieee_inexact 0
		.amdhsa_exception_int_div_zero 0
	.end_amdhsa_kernel
	.section	.text._ZN7rocprim17ROCPRIM_400000_NS6detail17trampoline_kernelINS0_14default_configENS1_20scan_config_selectorIiEEZZNS1_9scan_implILNS1_25lookback_scan_determinismE0ELb0ELb1ES3_N6thrust23THRUST_200600_302600_NS6detail15normal_iteratorINS9_10device_ptrIiEEEESE_iNS9_4plusIiEEiEEDaPvRmT3_T4_T5_mT6_P12ihipStream_tbENKUlT_T0_E_clISt17integral_constantIbLb1EEST_IbLb0EEEEDaSP_SQ_EUlSP_E_NS1_11comp_targetILNS1_3genE0ELNS1_11target_archE4294967295ELNS1_3gpuE0ELNS1_3repE0EEENS1_30default_config_static_selectorELNS0_4arch9wavefront6targetE1EEEvT1_,"axG",@progbits,_ZN7rocprim17ROCPRIM_400000_NS6detail17trampoline_kernelINS0_14default_configENS1_20scan_config_selectorIiEEZZNS1_9scan_implILNS1_25lookback_scan_determinismE0ELb0ELb1ES3_N6thrust23THRUST_200600_302600_NS6detail15normal_iteratorINS9_10device_ptrIiEEEESE_iNS9_4plusIiEEiEEDaPvRmT3_T4_T5_mT6_P12ihipStream_tbENKUlT_T0_E_clISt17integral_constantIbLb1EEST_IbLb0EEEEDaSP_SQ_EUlSP_E_NS1_11comp_targetILNS1_3genE0ELNS1_11target_archE4294967295ELNS1_3gpuE0ELNS1_3repE0EEENS1_30default_config_static_selectorELNS0_4arch9wavefront6targetE1EEEvT1_,comdat
.Lfunc_end768:
	.size	_ZN7rocprim17ROCPRIM_400000_NS6detail17trampoline_kernelINS0_14default_configENS1_20scan_config_selectorIiEEZZNS1_9scan_implILNS1_25lookback_scan_determinismE0ELb0ELb1ES3_N6thrust23THRUST_200600_302600_NS6detail15normal_iteratorINS9_10device_ptrIiEEEESE_iNS9_4plusIiEEiEEDaPvRmT3_T4_T5_mT6_P12ihipStream_tbENKUlT_T0_E_clISt17integral_constantIbLb1EEST_IbLb0EEEEDaSP_SQ_EUlSP_E_NS1_11comp_targetILNS1_3genE0ELNS1_11target_archE4294967295ELNS1_3gpuE0ELNS1_3repE0EEENS1_30default_config_static_selectorELNS0_4arch9wavefront6targetE1EEEvT1_, .Lfunc_end768-_ZN7rocprim17ROCPRIM_400000_NS6detail17trampoline_kernelINS0_14default_configENS1_20scan_config_selectorIiEEZZNS1_9scan_implILNS1_25lookback_scan_determinismE0ELb0ELb1ES3_N6thrust23THRUST_200600_302600_NS6detail15normal_iteratorINS9_10device_ptrIiEEEESE_iNS9_4plusIiEEiEEDaPvRmT3_T4_T5_mT6_P12ihipStream_tbENKUlT_T0_E_clISt17integral_constantIbLb1EEST_IbLb0EEEEDaSP_SQ_EUlSP_E_NS1_11comp_targetILNS1_3genE0ELNS1_11target_archE4294967295ELNS1_3gpuE0ELNS1_3repE0EEENS1_30default_config_static_selectorELNS0_4arch9wavefront6targetE1EEEvT1_
                                        ; -- End function
	.section	.AMDGPU.csdata,"",@progbits
; Kernel info:
; codeLenInByte = 0
; NumSgprs: 4
; NumVgprs: 0
; NumAgprs: 0
; TotalNumVgprs: 0
; ScratchSize: 0
; MemoryBound: 0
; FloatMode: 240
; IeeeMode: 1
; LDSByteSize: 0 bytes/workgroup (compile time only)
; SGPRBlocks: 0
; VGPRBlocks: 0
; NumSGPRsForWavesPerEU: 4
; NumVGPRsForWavesPerEU: 1
; AccumOffset: 4
; Occupancy: 8
; WaveLimiterHint : 0
; COMPUTE_PGM_RSRC2:SCRATCH_EN: 0
; COMPUTE_PGM_RSRC2:USER_SGPR: 6
; COMPUTE_PGM_RSRC2:TRAP_HANDLER: 0
; COMPUTE_PGM_RSRC2:TGID_X_EN: 1
; COMPUTE_PGM_RSRC2:TGID_Y_EN: 0
; COMPUTE_PGM_RSRC2:TGID_Z_EN: 0
; COMPUTE_PGM_RSRC2:TIDIG_COMP_CNT: 0
; COMPUTE_PGM_RSRC3_GFX90A:ACCUM_OFFSET: 0
; COMPUTE_PGM_RSRC3_GFX90A:TG_SPLIT: 0
	.section	.text._ZN7rocprim17ROCPRIM_400000_NS6detail17trampoline_kernelINS0_14default_configENS1_20scan_config_selectorIiEEZZNS1_9scan_implILNS1_25lookback_scan_determinismE0ELb0ELb1ES3_N6thrust23THRUST_200600_302600_NS6detail15normal_iteratorINS9_10device_ptrIiEEEESE_iNS9_4plusIiEEiEEDaPvRmT3_T4_T5_mT6_P12ihipStream_tbENKUlT_T0_E_clISt17integral_constantIbLb1EEST_IbLb0EEEEDaSP_SQ_EUlSP_E_NS1_11comp_targetILNS1_3genE5ELNS1_11target_archE942ELNS1_3gpuE9ELNS1_3repE0EEENS1_30default_config_static_selectorELNS0_4arch9wavefront6targetE1EEEvT1_,"axG",@progbits,_ZN7rocprim17ROCPRIM_400000_NS6detail17trampoline_kernelINS0_14default_configENS1_20scan_config_selectorIiEEZZNS1_9scan_implILNS1_25lookback_scan_determinismE0ELb0ELb1ES3_N6thrust23THRUST_200600_302600_NS6detail15normal_iteratorINS9_10device_ptrIiEEEESE_iNS9_4plusIiEEiEEDaPvRmT3_T4_T5_mT6_P12ihipStream_tbENKUlT_T0_E_clISt17integral_constantIbLb1EEST_IbLb0EEEEDaSP_SQ_EUlSP_E_NS1_11comp_targetILNS1_3genE5ELNS1_11target_archE942ELNS1_3gpuE9ELNS1_3repE0EEENS1_30default_config_static_selectorELNS0_4arch9wavefront6targetE1EEEvT1_,comdat
	.protected	_ZN7rocprim17ROCPRIM_400000_NS6detail17trampoline_kernelINS0_14default_configENS1_20scan_config_selectorIiEEZZNS1_9scan_implILNS1_25lookback_scan_determinismE0ELb0ELb1ES3_N6thrust23THRUST_200600_302600_NS6detail15normal_iteratorINS9_10device_ptrIiEEEESE_iNS9_4plusIiEEiEEDaPvRmT3_T4_T5_mT6_P12ihipStream_tbENKUlT_T0_E_clISt17integral_constantIbLb1EEST_IbLb0EEEEDaSP_SQ_EUlSP_E_NS1_11comp_targetILNS1_3genE5ELNS1_11target_archE942ELNS1_3gpuE9ELNS1_3repE0EEENS1_30default_config_static_selectorELNS0_4arch9wavefront6targetE1EEEvT1_ ; -- Begin function _ZN7rocprim17ROCPRIM_400000_NS6detail17trampoline_kernelINS0_14default_configENS1_20scan_config_selectorIiEEZZNS1_9scan_implILNS1_25lookback_scan_determinismE0ELb0ELb1ES3_N6thrust23THRUST_200600_302600_NS6detail15normal_iteratorINS9_10device_ptrIiEEEESE_iNS9_4plusIiEEiEEDaPvRmT3_T4_T5_mT6_P12ihipStream_tbENKUlT_T0_E_clISt17integral_constantIbLb1EEST_IbLb0EEEEDaSP_SQ_EUlSP_E_NS1_11comp_targetILNS1_3genE5ELNS1_11target_archE942ELNS1_3gpuE9ELNS1_3repE0EEENS1_30default_config_static_selectorELNS0_4arch9wavefront6targetE1EEEvT1_
	.globl	_ZN7rocprim17ROCPRIM_400000_NS6detail17trampoline_kernelINS0_14default_configENS1_20scan_config_selectorIiEEZZNS1_9scan_implILNS1_25lookback_scan_determinismE0ELb0ELb1ES3_N6thrust23THRUST_200600_302600_NS6detail15normal_iteratorINS9_10device_ptrIiEEEESE_iNS9_4plusIiEEiEEDaPvRmT3_T4_T5_mT6_P12ihipStream_tbENKUlT_T0_E_clISt17integral_constantIbLb1EEST_IbLb0EEEEDaSP_SQ_EUlSP_E_NS1_11comp_targetILNS1_3genE5ELNS1_11target_archE942ELNS1_3gpuE9ELNS1_3repE0EEENS1_30default_config_static_selectorELNS0_4arch9wavefront6targetE1EEEvT1_
	.p2align	8
	.type	_ZN7rocprim17ROCPRIM_400000_NS6detail17trampoline_kernelINS0_14default_configENS1_20scan_config_selectorIiEEZZNS1_9scan_implILNS1_25lookback_scan_determinismE0ELb0ELb1ES3_N6thrust23THRUST_200600_302600_NS6detail15normal_iteratorINS9_10device_ptrIiEEEESE_iNS9_4plusIiEEiEEDaPvRmT3_T4_T5_mT6_P12ihipStream_tbENKUlT_T0_E_clISt17integral_constantIbLb1EEST_IbLb0EEEEDaSP_SQ_EUlSP_E_NS1_11comp_targetILNS1_3genE5ELNS1_11target_archE942ELNS1_3gpuE9ELNS1_3repE0EEENS1_30default_config_static_selectorELNS0_4arch9wavefront6targetE1EEEvT1_,@function
_ZN7rocprim17ROCPRIM_400000_NS6detail17trampoline_kernelINS0_14default_configENS1_20scan_config_selectorIiEEZZNS1_9scan_implILNS1_25lookback_scan_determinismE0ELb0ELb1ES3_N6thrust23THRUST_200600_302600_NS6detail15normal_iteratorINS9_10device_ptrIiEEEESE_iNS9_4plusIiEEiEEDaPvRmT3_T4_T5_mT6_P12ihipStream_tbENKUlT_T0_E_clISt17integral_constantIbLb1EEST_IbLb0EEEEDaSP_SQ_EUlSP_E_NS1_11comp_targetILNS1_3genE5ELNS1_11target_archE942ELNS1_3gpuE9ELNS1_3repE0EEENS1_30default_config_static_selectorELNS0_4arch9wavefront6targetE1EEEvT1_: ; @_ZN7rocprim17ROCPRIM_400000_NS6detail17trampoline_kernelINS0_14default_configENS1_20scan_config_selectorIiEEZZNS1_9scan_implILNS1_25lookback_scan_determinismE0ELb0ELb1ES3_N6thrust23THRUST_200600_302600_NS6detail15normal_iteratorINS9_10device_ptrIiEEEESE_iNS9_4plusIiEEiEEDaPvRmT3_T4_T5_mT6_P12ihipStream_tbENKUlT_T0_E_clISt17integral_constantIbLb1EEST_IbLb0EEEEDaSP_SQ_EUlSP_E_NS1_11comp_targetILNS1_3genE5ELNS1_11target_archE942ELNS1_3gpuE9ELNS1_3repE0EEENS1_30default_config_static_selectorELNS0_4arch9wavefront6targetE1EEEvT1_
; %bb.0:
	.section	.rodata,"a",@progbits
	.p2align	6, 0x0
	.amdhsa_kernel _ZN7rocprim17ROCPRIM_400000_NS6detail17trampoline_kernelINS0_14default_configENS1_20scan_config_selectorIiEEZZNS1_9scan_implILNS1_25lookback_scan_determinismE0ELb0ELb1ES3_N6thrust23THRUST_200600_302600_NS6detail15normal_iteratorINS9_10device_ptrIiEEEESE_iNS9_4plusIiEEiEEDaPvRmT3_T4_T5_mT6_P12ihipStream_tbENKUlT_T0_E_clISt17integral_constantIbLb1EEST_IbLb0EEEEDaSP_SQ_EUlSP_E_NS1_11comp_targetILNS1_3genE5ELNS1_11target_archE942ELNS1_3gpuE9ELNS1_3repE0EEENS1_30default_config_static_selectorELNS0_4arch9wavefront6targetE1EEEvT1_
		.amdhsa_group_segment_fixed_size 0
		.amdhsa_private_segment_fixed_size 0
		.amdhsa_kernarg_size 96
		.amdhsa_user_sgpr_count 6
		.amdhsa_user_sgpr_private_segment_buffer 1
		.amdhsa_user_sgpr_dispatch_ptr 0
		.amdhsa_user_sgpr_queue_ptr 0
		.amdhsa_user_sgpr_kernarg_segment_ptr 1
		.amdhsa_user_sgpr_dispatch_id 0
		.amdhsa_user_sgpr_flat_scratch_init 0
		.amdhsa_user_sgpr_kernarg_preload_length 0
		.amdhsa_user_sgpr_kernarg_preload_offset 0
		.amdhsa_user_sgpr_private_segment_size 0
		.amdhsa_uses_dynamic_stack 0
		.amdhsa_system_sgpr_private_segment_wavefront_offset 0
		.amdhsa_system_sgpr_workgroup_id_x 1
		.amdhsa_system_sgpr_workgroup_id_y 0
		.amdhsa_system_sgpr_workgroup_id_z 0
		.amdhsa_system_sgpr_workgroup_info 0
		.amdhsa_system_vgpr_workitem_id 0
		.amdhsa_next_free_vgpr 1
		.amdhsa_next_free_sgpr 0
		.amdhsa_accum_offset 4
		.amdhsa_reserve_vcc 0
		.amdhsa_reserve_flat_scratch 0
		.amdhsa_float_round_mode_32 0
		.amdhsa_float_round_mode_16_64 0
		.amdhsa_float_denorm_mode_32 3
		.amdhsa_float_denorm_mode_16_64 3
		.amdhsa_dx10_clamp 1
		.amdhsa_ieee_mode 1
		.amdhsa_fp16_overflow 0
		.amdhsa_tg_split 0
		.amdhsa_exception_fp_ieee_invalid_op 0
		.amdhsa_exception_fp_denorm_src 0
		.amdhsa_exception_fp_ieee_div_zero 0
		.amdhsa_exception_fp_ieee_overflow 0
		.amdhsa_exception_fp_ieee_underflow 0
		.amdhsa_exception_fp_ieee_inexact 0
		.amdhsa_exception_int_div_zero 0
	.end_amdhsa_kernel
	.section	.text._ZN7rocprim17ROCPRIM_400000_NS6detail17trampoline_kernelINS0_14default_configENS1_20scan_config_selectorIiEEZZNS1_9scan_implILNS1_25lookback_scan_determinismE0ELb0ELb1ES3_N6thrust23THRUST_200600_302600_NS6detail15normal_iteratorINS9_10device_ptrIiEEEESE_iNS9_4plusIiEEiEEDaPvRmT3_T4_T5_mT6_P12ihipStream_tbENKUlT_T0_E_clISt17integral_constantIbLb1EEST_IbLb0EEEEDaSP_SQ_EUlSP_E_NS1_11comp_targetILNS1_3genE5ELNS1_11target_archE942ELNS1_3gpuE9ELNS1_3repE0EEENS1_30default_config_static_selectorELNS0_4arch9wavefront6targetE1EEEvT1_,"axG",@progbits,_ZN7rocprim17ROCPRIM_400000_NS6detail17trampoline_kernelINS0_14default_configENS1_20scan_config_selectorIiEEZZNS1_9scan_implILNS1_25lookback_scan_determinismE0ELb0ELb1ES3_N6thrust23THRUST_200600_302600_NS6detail15normal_iteratorINS9_10device_ptrIiEEEESE_iNS9_4plusIiEEiEEDaPvRmT3_T4_T5_mT6_P12ihipStream_tbENKUlT_T0_E_clISt17integral_constantIbLb1EEST_IbLb0EEEEDaSP_SQ_EUlSP_E_NS1_11comp_targetILNS1_3genE5ELNS1_11target_archE942ELNS1_3gpuE9ELNS1_3repE0EEENS1_30default_config_static_selectorELNS0_4arch9wavefront6targetE1EEEvT1_,comdat
.Lfunc_end769:
	.size	_ZN7rocprim17ROCPRIM_400000_NS6detail17trampoline_kernelINS0_14default_configENS1_20scan_config_selectorIiEEZZNS1_9scan_implILNS1_25lookback_scan_determinismE0ELb0ELb1ES3_N6thrust23THRUST_200600_302600_NS6detail15normal_iteratorINS9_10device_ptrIiEEEESE_iNS9_4plusIiEEiEEDaPvRmT3_T4_T5_mT6_P12ihipStream_tbENKUlT_T0_E_clISt17integral_constantIbLb1EEST_IbLb0EEEEDaSP_SQ_EUlSP_E_NS1_11comp_targetILNS1_3genE5ELNS1_11target_archE942ELNS1_3gpuE9ELNS1_3repE0EEENS1_30default_config_static_selectorELNS0_4arch9wavefront6targetE1EEEvT1_, .Lfunc_end769-_ZN7rocprim17ROCPRIM_400000_NS6detail17trampoline_kernelINS0_14default_configENS1_20scan_config_selectorIiEEZZNS1_9scan_implILNS1_25lookback_scan_determinismE0ELb0ELb1ES3_N6thrust23THRUST_200600_302600_NS6detail15normal_iteratorINS9_10device_ptrIiEEEESE_iNS9_4plusIiEEiEEDaPvRmT3_T4_T5_mT6_P12ihipStream_tbENKUlT_T0_E_clISt17integral_constantIbLb1EEST_IbLb0EEEEDaSP_SQ_EUlSP_E_NS1_11comp_targetILNS1_3genE5ELNS1_11target_archE942ELNS1_3gpuE9ELNS1_3repE0EEENS1_30default_config_static_selectorELNS0_4arch9wavefront6targetE1EEEvT1_
                                        ; -- End function
	.section	.AMDGPU.csdata,"",@progbits
; Kernel info:
; codeLenInByte = 0
; NumSgprs: 4
; NumVgprs: 0
; NumAgprs: 0
; TotalNumVgprs: 0
; ScratchSize: 0
; MemoryBound: 0
; FloatMode: 240
; IeeeMode: 1
; LDSByteSize: 0 bytes/workgroup (compile time only)
; SGPRBlocks: 0
; VGPRBlocks: 0
; NumSGPRsForWavesPerEU: 4
; NumVGPRsForWavesPerEU: 1
; AccumOffset: 4
; Occupancy: 8
; WaveLimiterHint : 0
; COMPUTE_PGM_RSRC2:SCRATCH_EN: 0
; COMPUTE_PGM_RSRC2:USER_SGPR: 6
; COMPUTE_PGM_RSRC2:TRAP_HANDLER: 0
; COMPUTE_PGM_RSRC2:TGID_X_EN: 1
; COMPUTE_PGM_RSRC2:TGID_Y_EN: 0
; COMPUTE_PGM_RSRC2:TGID_Z_EN: 0
; COMPUTE_PGM_RSRC2:TIDIG_COMP_CNT: 0
; COMPUTE_PGM_RSRC3_GFX90A:ACCUM_OFFSET: 0
; COMPUTE_PGM_RSRC3_GFX90A:TG_SPLIT: 0
	.section	.text._ZN7rocprim17ROCPRIM_400000_NS6detail17trampoline_kernelINS0_14default_configENS1_20scan_config_selectorIiEEZZNS1_9scan_implILNS1_25lookback_scan_determinismE0ELb0ELb1ES3_N6thrust23THRUST_200600_302600_NS6detail15normal_iteratorINS9_10device_ptrIiEEEESE_iNS9_4plusIiEEiEEDaPvRmT3_T4_T5_mT6_P12ihipStream_tbENKUlT_T0_E_clISt17integral_constantIbLb1EEST_IbLb0EEEEDaSP_SQ_EUlSP_E_NS1_11comp_targetILNS1_3genE4ELNS1_11target_archE910ELNS1_3gpuE8ELNS1_3repE0EEENS1_30default_config_static_selectorELNS0_4arch9wavefront6targetE1EEEvT1_,"axG",@progbits,_ZN7rocprim17ROCPRIM_400000_NS6detail17trampoline_kernelINS0_14default_configENS1_20scan_config_selectorIiEEZZNS1_9scan_implILNS1_25lookback_scan_determinismE0ELb0ELb1ES3_N6thrust23THRUST_200600_302600_NS6detail15normal_iteratorINS9_10device_ptrIiEEEESE_iNS9_4plusIiEEiEEDaPvRmT3_T4_T5_mT6_P12ihipStream_tbENKUlT_T0_E_clISt17integral_constantIbLb1EEST_IbLb0EEEEDaSP_SQ_EUlSP_E_NS1_11comp_targetILNS1_3genE4ELNS1_11target_archE910ELNS1_3gpuE8ELNS1_3repE0EEENS1_30default_config_static_selectorELNS0_4arch9wavefront6targetE1EEEvT1_,comdat
	.protected	_ZN7rocprim17ROCPRIM_400000_NS6detail17trampoline_kernelINS0_14default_configENS1_20scan_config_selectorIiEEZZNS1_9scan_implILNS1_25lookback_scan_determinismE0ELb0ELb1ES3_N6thrust23THRUST_200600_302600_NS6detail15normal_iteratorINS9_10device_ptrIiEEEESE_iNS9_4plusIiEEiEEDaPvRmT3_T4_T5_mT6_P12ihipStream_tbENKUlT_T0_E_clISt17integral_constantIbLb1EEST_IbLb0EEEEDaSP_SQ_EUlSP_E_NS1_11comp_targetILNS1_3genE4ELNS1_11target_archE910ELNS1_3gpuE8ELNS1_3repE0EEENS1_30default_config_static_selectorELNS0_4arch9wavefront6targetE1EEEvT1_ ; -- Begin function _ZN7rocprim17ROCPRIM_400000_NS6detail17trampoline_kernelINS0_14default_configENS1_20scan_config_selectorIiEEZZNS1_9scan_implILNS1_25lookback_scan_determinismE0ELb0ELb1ES3_N6thrust23THRUST_200600_302600_NS6detail15normal_iteratorINS9_10device_ptrIiEEEESE_iNS9_4plusIiEEiEEDaPvRmT3_T4_T5_mT6_P12ihipStream_tbENKUlT_T0_E_clISt17integral_constantIbLb1EEST_IbLb0EEEEDaSP_SQ_EUlSP_E_NS1_11comp_targetILNS1_3genE4ELNS1_11target_archE910ELNS1_3gpuE8ELNS1_3repE0EEENS1_30default_config_static_selectorELNS0_4arch9wavefront6targetE1EEEvT1_
	.globl	_ZN7rocprim17ROCPRIM_400000_NS6detail17trampoline_kernelINS0_14default_configENS1_20scan_config_selectorIiEEZZNS1_9scan_implILNS1_25lookback_scan_determinismE0ELb0ELb1ES3_N6thrust23THRUST_200600_302600_NS6detail15normal_iteratorINS9_10device_ptrIiEEEESE_iNS9_4plusIiEEiEEDaPvRmT3_T4_T5_mT6_P12ihipStream_tbENKUlT_T0_E_clISt17integral_constantIbLb1EEST_IbLb0EEEEDaSP_SQ_EUlSP_E_NS1_11comp_targetILNS1_3genE4ELNS1_11target_archE910ELNS1_3gpuE8ELNS1_3repE0EEENS1_30default_config_static_selectorELNS0_4arch9wavefront6targetE1EEEvT1_
	.p2align	8
	.type	_ZN7rocprim17ROCPRIM_400000_NS6detail17trampoline_kernelINS0_14default_configENS1_20scan_config_selectorIiEEZZNS1_9scan_implILNS1_25lookback_scan_determinismE0ELb0ELb1ES3_N6thrust23THRUST_200600_302600_NS6detail15normal_iteratorINS9_10device_ptrIiEEEESE_iNS9_4plusIiEEiEEDaPvRmT3_T4_T5_mT6_P12ihipStream_tbENKUlT_T0_E_clISt17integral_constantIbLb1EEST_IbLb0EEEEDaSP_SQ_EUlSP_E_NS1_11comp_targetILNS1_3genE4ELNS1_11target_archE910ELNS1_3gpuE8ELNS1_3repE0EEENS1_30default_config_static_selectorELNS0_4arch9wavefront6targetE1EEEvT1_,@function
_ZN7rocprim17ROCPRIM_400000_NS6detail17trampoline_kernelINS0_14default_configENS1_20scan_config_selectorIiEEZZNS1_9scan_implILNS1_25lookback_scan_determinismE0ELb0ELb1ES3_N6thrust23THRUST_200600_302600_NS6detail15normal_iteratorINS9_10device_ptrIiEEEESE_iNS9_4plusIiEEiEEDaPvRmT3_T4_T5_mT6_P12ihipStream_tbENKUlT_T0_E_clISt17integral_constantIbLb1EEST_IbLb0EEEEDaSP_SQ_EUlSP_E_NS1_11comp_targetILNS1_3genE4ELNS1_11target_archE910ELNS1_3gpuE8ELNS1_3repE0EEENS1_30default_config_static_selectorELNS0_4arch9wavefront6targetE1EEEvT1_: ; @_ZN7rocprim17ROCPRIM_400000_NS6detail17trampoline_kernelINS0_14default_configENS1_20scan_config_selectorIiEEZZNS1_9scan_implILNS1_25lookback_scan_determinismE0ELb0ELb1ES3_N6thrust23THRUST_200600_302600_NS6detail15normal_iteratorINS9_10device_ptrIiEEEESE_iNS9_4plusIiEEiEEDaPvRmT3_T4_T5_mT6_P12ihipStream_tbENKUlT_T0_E_clISt17integral_constantIbLb1EEST_IbLb0EEEEDaSP_SQ_EUlSP_E_NS1_11comp_targetILNS1_3genE4ELNS1_11target_archE910ELNS1_3gpuE8ELNS1_3repE0EEENS1_30default_config_static_selectorELNS0_4arch9wavefront6targetE1EEEvT1_
; %bb.0:
	s_load_dwordx8 s[8:15], s[4:5], 0x0
	s_load_dword s1, s[4:5], 0x30
	s_mul_i32 s0, s6, 0x500
	v_lshlrev_b32_e32 v30, 2, v0
	s_waitcnt lgkmcnt(0)
	s_lshl_b64 s[10:11], s[10:11], 2
	s_add_u32 s2, s8, s10
	s_addc_u32 s3, s9, s11
	s_add_i32 s7, s1, -1
	s_mul_i32 s8, s7, 0x500
	s_sub_u32 s26, s14, s8
	s_subb_u32 s27, s15, 0
	s_mov_b32 s1, 0
	s_cmp_lg_u32 s6, s7
	s_cselect_b64 s[8:9], -1, 0
	s_lshl_b64 s[14:15], s[0:1], 2
	s_add_u32 s2, s2, s14
	s_addc_u32 s3, s3, s15
	s_mov_b64 s[0:1], -1
	s_and_b64 vcc, exec, s[8:9]
	s_cbranch_vccz .LBB770_2
; %bb.1:
	v_mov_b32_e32 v1, s3
	v_add_co_u32_e32 v2, vcc, s2, v30
	v_addc_co_u32_e32 v3, vcc, 0, v1, vcc
	flat_load_dword v1, v[2:3]
	flat_load_dword v4, v[2:3] offset:512
	flat_load_dword v5, v[2:3] offset:1024
	;; [unrolled: 1-line block ×7, first 2 shown]
	v_add_co_u32_e32 v2, vcc, 0x1000, v2
	v_addc_co_u32_e32 v3, vcc, 0, v3, vcc
	flat_load_dword v11, v[2:3]
	flat_load_dword v12, v[2:3] offset:512
	s_mov_b64 s[0:1], 0
	s_waitcnt vmcnt(0) lgkmcnt(0)
	ds_write2st64_b32 v30, v1, v4 offset1:2
	ds_write2st64_b32 v30, v5, v6 offset0:4 offset1:6
	ds_write2st64_b32 v30, v7, v8 offset0:8 offset1:10
	;; [unrolled: 1-line block ×4, first 2 shown]
	s_waitcnt lgkmcnt(0)
	s_barrier
.LBB770_2:
	s_load_dwordx2 s[24:25], s[4:5], 0x28
	s_andn2_b64 vcc, exec, s[0:1]
	v_cmp_gt_u32_e64 s[0:1], s26, v0
	s_cbranch_vccnz .LBB770_24
; %bb.3:
	v_pk_mov_b32 v[2:3], s[2:3], s[2:3] op_sel:[0,1]
	flat_load_dword v1, v[2:3]
	s_waitcnt vmcnt(0) lgkmcnt(0)
	v_mov_b32_e32 v2, v1
	v_mov_b32_e32 v3, v1
	;; [unrolled: 1-line block ×9, first 2 shown]
	s_and_saveexec_b64 s[16:17], s[0:1]
	s_cbranch_execz .LBB770_5
; %bb.4:
	v_mov_b32_e32 v11, s3
	v_add_co_u32_e32 v10, vcc, s2, v30
	v_addc_co_u32_e32 v11, vcc, 0, v11, vcc
	flat_load_dword v10, v[10:11]
.LBB770_5:
	s_or_b64 exec, exec, s[16:17]
	v_or_b32_e32 v11, 0x80, v0
	v_cmp_gt_u32_e32 vcc, s26, v11
	s_and_saveexec_b64 s[0:1], vcc
	s_cbranch_execz .LBB770_7
; %bb.6:
	v_mov_b32_e32 v1, s3
	v_add_co_u32_e32 v12, vcc, s2, v30
	v_addc_co_u32_e32 v13, vcc, 0, v1, vcc
	flat_load_dword v1, v[12:13] offset:512
.LBB770_7:
	s_or_b64 exec, exec, s[0:1]
	v_or_b32_e32 v11, 0x100, v0
	v_cmp_gt_u32_e32 vcc, s26, v11
	s_and_saveexec_b64 s[0:1], vcc
	s_cbranch_execz .LBB770_9
; %bb.8:
	v_mov_b32_e32 v2, s3
	v_add_co_u32_e32 v12, vcc, s2, v30
	v_addc_co_u32_e32 v13, vcc, 0, v2, vcc
	flat_load_dword v2, v[12:13] offset:1024
.LBB770_9:
	;; [unrolled: 11-line block ×7, first 2 shown]
	s_or_b64 exec, exec, s[0:1]
	v_or_b32_e32 v11, 0x400, v0
	v_cmp_gt_u32_e32 vcc, s26, v11
	s_and_saveexec_b64 s[0:1], vcc
	s_cbranch_execz .LBB770_21
; %bb.20:
	v_lshlrev_b32_e32 v8, 2, v11
	v_mov_b32_e32 v11, s3
	v_add_co_u32_e32 v12, vcc, s2, v8
	v_addc_co_u32_e32 v13, vcc, 0, v11, vcc
	flat_load_dword v8, v[12:13]
.LBB770_21:
	s_or_b64 exec, exec, s[0:1]
	v_or_b32_e32 v11, 0x480, v0
	v_cmp_gt_u32_e32 vcc, s26, v11
	s_and_saveexec_b64 s[0:1], vcc
	s_cbranch_execz .LBB770_23
; %bb.22:
	v_lshlrev_b32_e32 v9, 2, v11
	v_mov_b32_e32 v11, s3
	v_add_co_u32_e32 v12, vcc, s2, v9
	v_addc_co_u32_e32 v13, vcc, 0, v11, vcc
	flat_load_dword v9, v[12:13]
.LBB770_23:
	s_or_b64 exec, exec, s[0:1]
	s_waitcnt vmcnt(0) lgkmcnt(0)
	ds_write2st64_b32 v30, v10, v1 offset1:2
	ds_write2st64_b32 v30, v2, v3 offset0:4 offset1:6
	ds_write2st64_b32 v30, v4, v5 offset0:8 offset1:10
	;; [unrolled: 1-line block ×4, first 2 shown]
	s_waitcnt lgkmcnt(0)
	s_barrier
.LBB770_24:
	v_mul_u32_u24_e32 v31, 10, v0
	v_lshlrev_b32_e32 v1, 2, v31
	s_waitcnt lgkmcnt(0)
	ds_read2_b64 v[2:5], v1 offset1:1
	ds_read2_b64 v[24:27], v1 offset0:2 offset1:3
	ds_read_b64 v[28:29], v1 offset:32
	s_cmp_lg_u32 s6, 0
	v_lshrrev_b32_e32 v22, 5, v0
	v_cmp_gt_u32_e32 vcc, 64, v0
	s_waitcnt lgkmcnt(0)
	s_barrier
	s_cbranch_scc0 .LBB770_53
; %bb.25:
	v_add_u32_e32 v6, v3, v2
	v_add3_u32 v6, v6, v4, v5
	v_add3_u32 v6, v6, v24, v25
	;; [unrolled: 1-line block ×4, first 2 shown]
	v_add_lshl_u32 v7, v22, v0, 2
	ds_write_b32 v7, v6
	s_waitcnt lgkmcnt(0)
	s_barrier
	s_and_saveexec_b64 s[2:3], vcc
	s_cbranch_execz .LBB770_27
; %bb.26:
	v_lshlrev_b32_e32 v7, 1, v0
	v_lshrrev_b32_e32 v8, 4, v0
	v_add_lshl_u32 v7, v8, v7, 2
	ds_read2_b32 v[8:9], v7 offset1:1
	v_mbcnt_lo_u32_b32 v10, -1, 0
	v_mbcnt_hi_u32_b32 v10, -1, v10
	v_and_b32_e32 v11, 15, v10
	v_cmp_ne_u32_e64 s[0:1], 0, v11
	s_waitcnt lgkmcnt(0)
	v_add_u32_e32 v9, v9, v8
	; wave barrier
	s_nop 1
	v_mov_b32_dpp v12, v9 row_shr:1 row_mask:0xf bank_mask:0xf
	v_cndmask_b32_e64 v12, 0, v12, s[0:1]
	v_add_u32_e32 v9, v12, v9
	v_cmp_lt_u32_e64 s[0:1], 1, v11
	s_nop 0
	v_mov_b32_dpp v12, v9 row_shr:2 row_mask:0xf bank_mask:0xf
	v_cndmask_b32_e64 v12, 0, v12, s[0:1]
	v_add_u32_e32 v9, v9, v12
	v_cmp_lt_u32_e64 s[0:1], 3, v11
	;; [unrolled: 5-line block ×3, first 2 shown]
	s_nop 0
	v_mov_b32_dpp v12, v9 row_shr:8 row_mask:0xf bank_mask:0xf
	v_cndmask_b32_e64 v11, 0, v12, s[0:1]
	v_add_u32_e32 v9, v9, v11
	v_bfe_i32 v12, v10, 4, 1
	v_cmp_lt_u32_e64 s[0:1], 31, v10
	v_mov_b32_dpp v11, v9 row_bcast:15 row_mask:0xf bank_mask:0xf
	v_and_b32_e32 v11, v12, v11
	v_add_u32_e32 v9, v9, v11
	v_and_b32_e32 v12, 64, v10
	s_nop 0
	v_mov_b32_dpp v11, v9 row_bcast:31 row_mask:0xf bank_mask:0xf
	v_cndmask_b32_e64 v11, 0, v11, s[0:1]
	v_add_u32_e32 v9, v9, v11
	v_add_u32_e32 v11, -1, v10
	v_cmp_lt_i32_e64 s[0:1], v11, v12
	v_cndmask_b32_e64 v10, v11, v10, s[0:1]
	v_lshlrev_b32_e32 v10, 2, v10
	ds_bpermute_b32 v9, v10, v9
	v_cmp_eq_u32_e64 s[0:1], 0, v0
	s_waitcnt lgkmcnt(0)
	v_add_u32_e32 v8, v9, v8
	v_cndmask_b32_e64 v6, v8, v6, s[0:1]
	ds_write_b32 v7, v6
	; wave barrier
	ds_read_b32 v8, v7 offset:4
	s_waitcnt lgkmcnt(0)
	v_add_u32_e32 v6, v8, v6
	ds_write_b32 v7, v6 offset:4
.LBB770_27:
	s_or_b64 exec, exec, s[2:3]
	v_cmp_eq_u32_e64 s[0:1], 0, v0
	v_cmp_ne_u32_e64 s[2:3], 0, v0
	v_mov_b32_e32 v16, 0
	s_waitcnt lgkmcnt(0)
	s_barrier
	s_and_saveexec_b64 s[16:17], s[2:3]
	s_cbranch_execz .LBB770_29
; %bb.28:
	v_add_u32_e32 v6, -1, v0
	v_lshrrev_b32_e32 v7, 5, v6
	v_add_lshl_u32 v6, v7, v6, 2
	ds_read_b32 v16, v6
.LBB770_29:
	s_or_b64 exec, exec, s[16:17]
	s_and_saveexec_b64 s[16:17], vcc
	s_cbranch_execz .LBB770_52
; %bb.30:
	v_mov_b32_e32 v15, 0
	ds_read_b32 v6, v15 offset:520
	v_mbcnt_lo_u32_b32 v7, -1, 0
	v_mbcnt_hi_u32_b32 v9, -1, v7
	s_mov_b32 s21, 0
	v_cmp_eq_u32_e64 s[2:3], 0, v9
	s_and_saveexec_b64 s[18:19], s[2:3]
	s_cbranch_execz .LBB770_32
; %bb.31:
	s_add_i32 s20, s6, 64
	s_lshl_b64 s[20:21], s[20:21], 3
	s_add_u32 s20, s24, s20
	v_mov_b32_e32 v7, 1
	s_addc_u32 s21, s25, s21
	s_waitcnt lgkmcnt(0)
	global_store_dwordx2 v15, v[6:7], s[20:21]
.LBB770_32:
	s_or_b64 exec, exec, s[18:19]
	v_xad_u32 v8, v9, -1, s6
	v_add_u32_e32 v14, 64, v8
	v_lshlrev_b64 v[10:11], 3, v[14:15]
	v_mov_b32_e32 v7, s25
	v_add_co_u32_e32 v10, vcc, s24, v10
	v_addc_co_u32_e32 v11, vcc, v7, v11, vcc
	global_load_dwordx2 v[12:13], v[10:11], off glc
	s_waitcnt vmcnt(0)
	v_cmp_eq_u16_sdwa s[20:21], v13, v15 src0_sel:BYTE_0 src1_sel:DWORD
	s_and_saveexec_b64 s[18:19], s[20:21]
	s_cbranch_execz .LBB770_38
; %bb.33:
	s_mov_b32 s7, 1
	s_mov_b64 s[20:21], 0
	v_mov_b32_e32 v7, 0
.LBB770_34:                             ; =>This Loop Header: Depth=1
                                        ;     Child Loop BB770_35 Depth 2
	s_max_u32 s22, s7, 1
.LBB770_35:                             ;   Parent Loop BB770_34 Depth=1
                                        ; =>  This Inner Loop Header: Depth=2
	s_add_i32 s22, s22, -1
	s_cmp_eq_u32 s22, 0
	s_sleep 1
	s_cbranch_scc0 .LBB770_35
; %bb.36:                               ;   in Loop: Header=BB770_34 Depth=1
	global_load_dwordx2 v[12:13], v[10:11], off glc
	s_cmp_lt_u32 s7, 32
	s_cselect_b64 s[22:23], -1, 0
	s_cmp_lg_u64 s[22:23], 0
	s_addc_u32 s7, s7, 0
	s_waitcnt vmcnt(0)
	v_cmp_ne_u16_sdwa s[22:23], v13, v7 src0_sel:BYTE_0 src1_sel:DWORD
	s_or_b64 s[20:21], s[22:23], s[20:21]
	s_andn2_b64 exec, exec, s[20:21]
	s_cbranch_execnz .LBB770_34
; %bb.37:
	s_or_b64 exec, exec, s[20:21]
.LBB770_38:
	s_or_b64 exec, exec, s[18:19]
	v_and_b32_e32 v17, 63, v9
	v_mov_b32_e32 v7, 2
	v_cmp_ne_u32_e32 vcc, 63, v17
	v_cmp_eq_u16_sdwa s[18:19], v13, v7 src0_sel:BYTE_0 src1_sel:DWORD
	v_lshlrev_b64 v[10:11], v9, -1
	v_addc_co_u32_e32 v18, vcc, 0, v9, vcc
	v_and_b32_e32 v14, s19, v11
	v_lshlrev_b32_e32 v18, 2, v18
	v_or_b32_e32 v14, 0x80000000, v14
	ds_bpermute_b32 v19, v18, v12
	v_and_b32_e32 v15, s18, v10
	v_ffbl_b32_e32 v14, v14
	v_add_u32_e32 v14, 32, v14
	v_ffbl_b32_e32 v15, v15
	v_min_u32_e32 v14, v15, v14
	v_cmp_lt_u32_e32 vcc, v17, v14
	s_waitcnt lgkmcnt(0)
	v_cndmask_b32_e32 v15, 0, v19, vcc
	v_cmp_gt_u32_e32 vcc, 62, v17
	v_add_u32_e32 v12, v15, v12
	v_cndmask_b32_e64 v15, 0, 1, vcc
	v_lshlrev_b32_e32 v15, 1, v15
	v_add_lshl_u32 v19, v15, v9, 2
	ds_bpermute_b32 v15, v19, v12
	v_add_u32_e32 v20, 2, v17
	v_cmp_le_u32_e32 vcc, v20, v14
	v_add_u32_e32 v23, 4, v17
	v_add_u32_e32 v33, 8, v17
	s_waitcnt lgkmcnt(0)
	v_cndmask_b32_e32 v15, 0, v15, vcc
	v_cmp_gt_u32_e32 vcc, 60, v17
	v_add_u32_e32 v12, v12, v15
	v_cndmask_b32_e64 v15, 0, 1, vcc
	v_lshlrev_b32_e32 v15, 2, v15
	v_add_lshl_u32 v21, v15, v9, 2
	ds_bpermute_b32 v15, v21, v12
	v_cmp_le_u32_e32 vcc, v23, v14
	v_add_u32_e32 v36, 16, v17
	v_add_u32_e32 v38, 32, v17
	s_waitcnt lgkmcnt(0)
	v_cndmask_b32_e32 v15, 0, v15, vcc
	v_cmp_gt_u32_e32 vcc, 56, v17
	v_add_u32_e32 v12, v12, v15
	v_cndmask_b32_e64 v15, 0, 1, vcc
	v_lshlrev_b32_e32 v15, 3, v15
	v_add_lshl_u32 v32, v15, v9, 2
	ds_bpermute_b32 v15, v32, v12
	v_cmp_le_u32_e32 vcc, v33, v14
	s_waitcnt lgkmcnt(0)
	v_cndmask_b32_e32 v15, 0, v15, vcc
	v_cmp_gt_u32_e32 vcc, 48, v17
	v_add_u32_e32 v12, v12, v15
	v_cndmask_b32_e64 v15, 0, 1, vcc
	v_lshlrev_b32_e32 v15, 4, v15
	v_add_lshl_u32 v35, v15, v9, 2
	ds_bpermute_b32 v15, v35, v12
	v_cmp_le_u32_e32 vcc, v36, v14
	;; [unrolled: 9-line block ×3, first 2 shown]
	s_waitcnt lgkmcnt(0)
	v_cndmask_b32_e32 v9, 0, v9, vcc
	v_add_u32_e32 v12, v12, v9
	v_mov_b32_e32 v9, 0
	s_branch .LBB770_40
.LBB770_39:                             ;   in Loop: Header=BB770_40 Depth=1
	s_or_b64 exec, exec, s[18:19]
	v_cmp_eq_u16_sdwa s[18:19], v13, v7 src0_sel:BYTE_0 src1_sel:DWORD
	v_and_b32_e32 v14, s19, v11
	v_or_b32_e32 v14, 0x80000000, v14
	ds_bpermute_b32 v39, v18, v12
	v_and_b32_e32 v15, s18, v10
	v_ffbl_b32_e32 v14, v14
	v_add_u32_e32 v14, 32, v14
	v_ffbl_b32_e32 v15, v15
	v_min_u32_e32 v14, v15, v14
	v_cmp_lt_u32_e32 vcc, v17, v14
	s_waitcnt lgkmcnt(0)
	v_cndmask_b32_e32 v15, 0, v39, vcc
	v_add_u32_e32 v12, v15, v12
	ds_bpermute_b32 v15, v19, v12
	v_cmp_le_u32_e32 vcc, v20, v14
	v_subrev_u32_e32 v8, 64, v8
	s_waitcnt lgkmcnt(0)
	v_cndmask_b32_e32 v15, 0, v15, vcc
	v_add_u32_e32 v12, v12, v15
	ds_bpermute_b32 v15, v21, v12
	v_cmp_le_u32_e32 vcc, v23, v14
	s_waitcnt lgkmcnt(0)
	v_cndmask_b32_e32 v15, 0, v15, vcc
	v_add_u32_e32 v12, v12, v15
	ds_bpermute_b32 v15, v32, v12
	v_cmp_le_u32_e32 vcc, v33, v14
	;; [unrolled: 5-line block ×4, first 2 shown]
	s_waitcnt lgkmcnt(0)
	v_cndmask_b32_e32 v14, 0, v15, vcc
	v_add3_u32 v12, v14, v34, v12
.LBB770_40:                             ; =>This Loop Header: Depth=1
                                        ;     Child Loop BB770_43 Depth 2
                                        ;       Child Loop BB770_44 Depth 3
	v_cmp_ne_u16_sdwa s[18:19], v13, v7 src0_sel:BYTE_0 src1_sel:DWORD
	v_cndmask_b32_e64 v13, 0, 1, s[18:19]
	;;#ASMSTART
	;;#ASMEND
	v_cmp_ne_u32_e32 vcc, 0, v13
	s_cmp_lg_u64 vcc, exec
	v_mov_b32_e32 v34, v12
	s_cbranch_scc1 .LBB770_47
; %bb.41:                               ;   in Loop: Header=BB770_40 Depth=1
	v_lshlrev_b64 v[12:13], 3, v[8:9]
	v_mov_b32_e32 v15, s25
	v_add_co_u32_e32 v14, vcc, s24, v12
	v_addc_co_u32_e32 v15, vcc, v15, v13, vcc
	global_load_dwordx2 v[12:13], v[14:15], off glc
	s_waitcnt vmcnt(0)
	v_cmp_eq_u16_sdwa s[20:21], v13, v9 src0_sel:BYTE_0 src1_sel:DWORD
	s_and_saveexec_b64 s[18:19], s[20:21]
	s_cbranch_execz .LBB770_39
; %bb.42:                               ;   in Loop: Header=BB770_40 Depth=1
	s_mov_b32 s7, 1
	s_mov_b64 s[20:21], 0
.LBB770_43:                             ;   Parent Loop BB770_40 Depth=1
                                        ; =>  This Loop Header: Depth=2
                                        ;       Child Loop BB770_44 Depth 3
	s_max_u32 s22, s7, 1
.LBB770_44:                             ;   Parent Loop BB770_40 Depth=1
                                        ;     Parent Loop BB770_43 Depth=2
                                        ; =>    This Inner Loop Header: Depth=3
	s_add_i32 s22, s22, -1
	s_cmp_eq_u32 s22, 0
	s_sleep 1
	s_cbranch_scc0 .LBB770_44
; %bb.45:                               ;   in Loop: Header=BB770_43 Depth=2
	global_load_dwordx2 v[12:13], v[14:15], off glc
	s_cmp_lt_u32 s7, 32
	s_cselect_b64 s[22:23], -1, 0
	s_cmp_lg_u64 s[22:23], 0
	s_addc_u32 s7, s7, 0
	s_waitcnt vmcnt(0)
	v_cmp_ne_u16_sdwa s[22:23], v13, v9 src0_sel:BYTE_0 src1_sel:DWORD
	s_or_b64 s[20:21], s[22:23], s[20:21]
	s_andn2_b64 exec, exec, s[20:21]
	s_cbranch_execnz .LBB770_43
; %bb.46:                               ;   in Loop: Header=BB770_40 Depth=1
	s_or_b64 exec, exec, s[20:21]
	s_branch .LBB770_39
.LBB770_47:                             ;   in Loop: Header=BB770_40 Depth=1
                                        ; implicit-def: $vgpr12
                                        ; implicit-def: $vgpr13
	s_cbranch_execz .LBB770_40
; %bb.48:
	s_and_saveexec_b64 s[18:19], s[2:3]
	s_cbranch_execz .LBB770_50
; %bb.49:
	s_add_i32 s2, s6, 64
	s_mov_b32 s3, 0
	s_lshl_b64 s[2:3], s[2:3], 3
	s_add_u32 s2, s24, s2
	v_add_u32_e32 v6, v34, v6
	v_mov_b32_e32 v7, 2
	s_addc_u32 s3, s25, s3
	v_mov_b32_e32 v8, 0
	global_store_dwordx2 v8, v[6:7], s[2:3]
.LBB770_50:
	s_or_b64 exec, exec, s[18:19]
	s_and_b64 exec, exec, s[0:1]
	s_cbranch_execz .LBB770_52
; %bb.51:
	v_mov_b32_e32 v6, 0
	ds_write_b32 v6, v34
.LBB770_52:
	s_or_b64 exec, exec, s[16:17]
	v_mov_b32_e32 v6, 0
	s_waitcnt lgkmcnt(0)
	s_barrier
	ds_read_b32 v6, v6
	s_waitcnt lgkmcnt(0)
	v_add3_u32 v12, v16, v2, v6
	v_add_u32_e32 v13, v12, v3
	v_add_u32_e32 v14, v13, v4
	;; [unrolled: 1-line block ×9, first 2 shown]
	s_load_dwordx8 s[16:23], s[4:5], 0x38
	s_branch .LBB770_75
.LBB770_53:
                                        ; implicit-def: $vgpr12_vgpr13_vgpr14_vgpr15_vgpr16_vgpr17_vgpr18_vgpr19_vgpr20_vgpr21
	s_load_dwordx8 s[16:23], s[4:5], 0x38
	s_cbranch_execz .LBB770_75
; %bb.54:
	s_waitcnt lgkmcnt(0)
	s_cmp_lg_u64 s[20:21], 0
	s_cselect_b64 s[28:29], -1, 0
	s_cmp_eq_u64 s[20:21], 0
	v_cmp_eq_u32_e64 s[2:3], 0, v0
	s_cselect_b64 s[6:7], -1, 0
	v_cmp_ne_u32_e64 s[0:1], 0, v0
	s_and_b64 s[28:29], s[2:3], s[28:29]
	s_and_saveexec_b64 s[20:21], s[28:29]
	s_cbranch_execz .LBB770_56
; %bb.55:
	v_mov_b32_e32 v6, 0
	global_load_dword v6, v6, s[16:17]
	s_waitcnt vmcnt(0)
	v_add_u32_e32 v2, v6, v2
.LBB770_56:
	s_or_b64 exec, exec, s[20:21]
	v_add_u32_e32 v34, v3, v2
	v_add_u32_e32 v33, v34, v4
	;; [unrolled: 1-line block ×9, first 2 shown]
	v_add_lshl_u32 v12, v22, v0, 2
	s_andn2_b64 vcc, exec, s[6:7]
	v_cmp_gt_u32_e64 s[6:7], 64, v0
	ds_write_b32 v12, v11
	s_waitcnt lgkmcnt(0)
	s_cbranch_vccnz .LBB770_64
; %bb.57:
	s_barrier
	s_and_saveexec_b64 s[16:17], s[6:7]
	s_cbranch_execz .LBB770_59
; %bb.58:
	v_lshlrev_b32_e32 v12, 1, v0
	v_lshrrev_b32_e32 v13, 4, v0
	v_add_lshl_u32 v14, v13, v12, 2
	ds_read2_b32 v[12:13], v14 offset1:1
	v_mbcnt_lo_u32_b32 v15, -1, 0
	v_mbcnt_hi_u32_b32 v15, -1, v15
	v_and_b32_e32 v16, 15, v15
	v_cmp_ne_u32_e32 vcc, 0, v16
	s_waitcnt lgkmcnt(0)
	v_add_u32_e32 v13, v13, v12
	; wave barrier
	s_nop 1
	v_mov_b32_dpp v17, v13 row_shr:1 row_mask:0xf bank_mask:0xf
	v_cndmask_b32_e32 v17, 0, v17, vcc
	v_add_u32_e32 v13, v17, v13
	v_cmp_lt_u32_e32 vcc, 1, v16
	s_nop 0
	v_mov_b32_dpp v17, v13 row_shr:2 row_mask:0xf bank_mask:0xf
	v_cndmask_b32_e32 v17, 0, v17, vcc
	v_add_u32_e32 v13, v13, v17
	v_cmp_lt_u32_e32 vcc, 3, v16
	;; [unrolled: 5-line block ×3, first 2 shown]
	s_nop 0
	v_mov_b32_dpp v17, v13 row_shr:8 row_mask:0xf bank_mask:0xf
	v_cndmask_b32_e32 v16, 0, v17, vcc
	v_add_u32_e32 v13, v13, v16
	v_bfe_i32 v17, v15, 4, 1
	v_cmp_lt_u32_e32 vcc, 31, v15
	v_mov_b32_dpp v16, v13 row_bcast:15 row_mask:0xf bank_mask:0xf
	v_and_b32_e32 v16, v17, v16
	v_add_u32_e32 v13, v13, v16
	v_and_b32_e32 v17, 64, v15
	s_nop 0
	v_mov_b32_dpp v16, v13 row_bcast:31 row_mask:0xf bank_mask:0xf
	v_cndmask_b32_e32 v16, 0, v16, vcc
	v_add_u32_e32 v13, v13, v16
	v_add_u32_e32 v16, -1, v15
	v_cmp_lt_i32_e32 vcc, v16, v17
	v_cndmask_b32_e32 v15, v16, v15, vcc
	v_lshlrev_b32_e32 v15, 2, v15
	ds_bpermute_b32 v13, v15, v13
	s_waitcnt lgkmcnt(0)
	v_add_u32_e32 v12, v13, v12
	v_cndmask_b32_e64 v12, v12, v11, s[2:3]
	ds_write_b32 v14, v12
	; wave barrier
	ds_read_b32 v13, v14 offset:4
	s_waitcnt lgkmcnt(0)
	v_add_u32_e32 v12, v13, v12
	ds_write_b32 v14, v12 offset:4
.LBB770_59:
	s_or_b64 exec, exec, s[16:17]
	v_mov_b32_e32 v21, v11
	s_waitcnt lgkmcnt(0)
	s_barrier
	s_and_saveexec_b64 s[16:17], s[0:1]
	s_cbranch_execz .LBB770_61
; %bb.60:
	v_add_u32_e32 v12, -1, v0
	v_lshrrev_b32_e32 v13, 5, v12
	v_add_lshl_u32 v12, v13, v12, 2
	ds_read_b32 v21, v12
.LBB770_61:
	s_or_b64 exec, exec, s[16:17]
	s_load_dword s16, s[4:5], 0x20
	v_mov_b32_e32 v12, v10
	v_mov_b32_e32 v13, v9
	;; [unrolled: 1-line block ×9, first 2 shown]
	s_and_saveexec_b64 s[4:5], s[0:1]
	s_cbranch_execz .LBB770_63
; %bb.62:
	s_waitcnt lgkmcnt(0)
	v_add_u32_e32 v14, v21, v2
	v_add_u32_e32 v15, v14, v3
	v_add_u32_e32 v16, v15, v4
	v_add_u32_e32 v17, v16, v5
	v_add_u32_e32 v18, v17, v24
	v_add_u32_e32 v19, v18, v25
	v_add_u32_e32 v20, v19, v26
	v_add_u32_e32 v13, v20, v27
	v_add_u32_e32 v12, v13, v28
	;;#ASMSTART
	;;#ASMEND
.LBB770_63:
	s_or_b64 exec, exec, s[4:5]
	s_waitcnt lgkmcnt(0)
	v_add_u32_e32 v14, s16, v14
	v_add_u32_e32 v15, s16, v15
	v_add_u32_e32 v16, s16, v16
	v_add_u32_e32 v17, s16, v17
	v_add_u32_e32 v18, s16, v18
	v_add_u32_e32 v19, s16, v19
	v_add_u32_e32 v20, s16, v20
	v_add_u32_e32 v21, s16, v13
	v_add_u32_e32 v22, s16, v12
	v_add_u32_e32 v23, v22, v29
	v_pk_mov_b32 v[12:13], v[14:15], v[14:15] op_sel:[0,1]
	v_pk_mov_b32 v[14:15], v[16:17], v[16:17] op_sel:[0,1]
	;; [unrolled: 1-line block ×5, first 2 shown]
	s_branch .LBB770_72
.LBB770_64:
                                        ; implicit-def: $vgpr23
                                        ; implicit-def: $vgpr12_vgpr13_vgpr14_vgpr15_vgpr16_vgpr17_vgpr18_vgpr19_vgpr20_vgpr21
	s_cbranch_execz .LBB770_72
; %bb.65:
	s_barrier
	s_and_saveexec_b64 s[4:5], s[6:7]
	s_cbranch_execz .LBB770_67
; %bb.66:
	v_lshlrev_b32_e32 v12, 1, v0
	v_lshrrev_b32_e32 v13, 4, v0
	v_add_lshl_u32 v14, v13, v12, 2
	ds_read2_b32 v[12:13], v14 offset1:1
	v_mbcnt_lo_u32_b32 v15, -1, 0
	v_mbcnt_hi_u32_b32 v15, -1, v15
	v_and_b32_e32 v16, 15, v15
	v_cmp_ne_u32_e32 vcc, 0, v16
	s_waitcnt lgkmcnt(0)
	v_add_u32_e32 v13, v13, v12
	; wave barrier
	s_nop 1
	v_mov_b32_dpp v17, v13 row_shr:1 row_mask:0xf bank_mask:0xf
	v_cndmask_b32_e32 v17, 0, v17, vcc
	v_add_u32_e32 v13, v17, v13
	v_cmp_lt_u32_e32 vcc, 1, v16
	s_nop 0
	v_mov_b32_dpp v17, v13 row_shr:2 row_mask:0xf bank_mask:0xf
	v_cndmask_b32_e32 v17, 0, v17, vcc
	v_add_u32_e32 v13, v13, v17
	v_cmp_lt_u32_e32 vcc, 3, v16
	;; [unrolled: 5-line block ×3, first 2 shown]
	s_nop 0
	v_mov_b32_dpp v17, v13 row_shr:8 row_mask:0xf bank_mask:0xf
	v_cndmask_b32_e32 v16, 0, v17, vcc
	v_add_u32_e32 v13, v13, v16
	v_bfe_i32 v17, v15, 4, 1
	v_cmp_lt_u32_e32 vcc, 31, v15
	v_mov_b32_dpp v16, v13 row_bcast:15 row_mask:0xf bank_mask:0xf
	v_and_b32_e32 v16, v17, v16
	v_add_u32_e32 v13, v13, v16
	v_and_b32_e32 v17, 64, v15
	s_nop 0
	v_mov_b32_dpp v16, v13 row_bcast:31 row_mask:0xf bank_mask:0xf
	v_cndmask_b32_e32 v16, 0, v16, vcc
	v_add_u32_e32 v13, v13, v16
	v_add_u32_e32 v16, -1, v15
	v_cmp_lt_i32_e32 vcc, v16, v17
	v_cndmask_b32_e32 v15, v16, v15, vcc
	v_lshlrev_b32_e32 v15, 2, v15
	ds_bpermute_b32 v13, v15, v13
	s_waitcnt lgkmcnt(0)
	v_add_u32_e32 v12, v13, v12
	v_cndmask_b32_e64 v12, v12, v11, s[2:3]
	ds_write_b32 v14, v12
	; wave barrier
	ds_read_b32 v13, v14 offset:4
	s_waitcnt lgkmcnt(0)
	v_add_u32_e32 v12, v13, v12
	ds_write_b32 v14, v12 offset:4
.LBB770_67:
	s_or_b64 exec, exec, s[4:5]
	v_mov_b32_e32 v12, v11
	s_waitcnt lgkmcnt(0)
	s_barrier
	s_and_saveexec_b64 s[2:3], s[0:1]
	s_cbranch_execz .LBB770_69
; %bb.68:
	v_add_u32_e32 v12, -1, v0
	v_lshrrev_b32_e32 v13, 5, v12
	v_add_lshl_u32 v12, v13, v12, 2
	ds_read_b32 v12, v12
.LBB770_69:
	s_or_b64 exec, exec, s[2:3]
	s_and_saveexec_b64 s[2:3], s[0:1]
	s_cbranch_execz .LBB770_71
; %bb.70:
	s_waitcnt lgkmcnt(0)
	v_add_u32_e32 v2, v12, v2
	v_add_u32_e32 v34, v2, v3
	;; [unrolled: 1-line block ×10, first 2 shown]
	;;#ASMSTART
	;;#ASMEND
.LBB770_71:
	s_or_b64 exec, exec, s[2:3]
	v_mov_b32_e32 v3, v34
	v_mov_b32_e32 v4, v33
	;; [unrolled: 1-line block ×3, first 2 shown]
	s_waitcnt lgkmcnt(0)
	v_pk_mov_b32 v[20:21], v[10:11], v[10:11] op_sel:[0,1]
	v_mov_b32_e32 v23, v11
	v_pk_mov_b32 v[18:19], v[8:9], v[8:9] op_sel:[0,1]
	v_pk_mov_b32 v[16:17], v[6:7], v[6:7] op_sel:[0,1]
	;; [unrolled: 1-line block ×4, first 2 shown]
.LBB770_72:
	s_movk_i32 s0, 0x7f
	v_cmp_eq_u32_e32 vcc, s0, v0
	s_and_saveexec_b64 s[0:1], vcc
	s_cbranch_execz .LBB770_74
; %bb.73:
	v_mov_b32_e32 v4, 0
	v_mov_b32_e32 v3, 2
	;; [unrolled: 1-line block ×3, first 2 shown]
	global_store_dwordx2 v4, v[2:3], s[24:25] offset:512
.LBB770_74:
	s_or_b64 exec, exec, s[0:1]
.LBB770_75:
	s_add_u32 s0, s12, s10
	s_addc_u32 s1, s13, s11
	s_add_u32 s2, s0, s14
	s_addc_u32 s3, s1, s15
	s_mov_b64 s[0:1], -1
	s_and_b64 vcc, exec, s[8:9]
	s_waitcnt lgkmcnt(0)
	s_barrier
	s_cbranch_vccz .LBB770_77
; %bb.76:
	ds_write2_b64 v1, v[12:13], v[14:15] offset1:1
	ds_write2_b64 v1, v[16:17], v[18:19] offset0:2 offset1:3
	ds_write_b64 v1, v[20:21] offset:32
	s_waitcnt lgkmcnt(0)
	s_barrier
	ds_read2st64_b32 v[2:3], v30 offset1:2
	ds_read2st64_b32 v[4:5], v30 offset0:4 offset1:6
	ds_read2st64_b32 v[6:7], v30 offset0:8 offset1:10
	;; [unrolled: 1-line block ×4, first 2 shown]
	v_mov_b32_e32 v23, s3
	v_add_co_u32_e32 v22, vcc, s2, v30
	v_addc_co_u32_e32 v23, vcc, 0, v23, vcc
	s_waitcnt lgkmcnt(4)
	flat_store_dword v[22:23], v2
	flat_store_dword v[22:23], v3 offset:512
	s_waitcnt lgkmcnt(0)
	flat_store_dword v[22:23], v4 offset:1024
	flat_store_dword v[22:23], v5 offset:1536
	;; [unrolled: 1-line block ×6, first 2 shown]
	v_add_co_u32_e32 v2, vcc, 0x1000, v22
	v_addc_co_u32_e32 v3, vcc, 0, v23, vcc
	flat_store_dword v[2:3], v10
	flat_store_dword v[2:3], v11 offset:512
	s_mov_b64 s[0:1], 0
.LBB770_77:
	s_andn2_b64 vcc, exec, s[0:1]
	s_cbranch_vccnz .LBB770_133
; %bb.78:
	ds_write2_b64 v1, v[12:13], v[14:15] offset1:1
	ds_write2_b64 v1, v[16:17], v[18:19] offset0:2 offset1:3
	ds_write_b64 v1, v[20:21] offset:32
	s_waitcnt lgkmcnt(0)
	s_barrier
	ds_read2st64_b32 v[2:3], v30 offset1:2
	ds_read2st64_b32 v[6:7], v30 offset0:4 offset1:6
	ds_read2st64_b32 v[4:5], v30 offset0:8 offset1:10
	;; [unrolled: 1-line block ×4, first 2 shown]
	v_mov_b32_e32 v13, s3
	v_add_co_u32_e32 v12, vcc, s2, v30
	v_addc_co_u32_e32 v13, vcc, 0, v13, vcc
	v_mov_b32_e32 v1, 0
	v_cmp_gt_u32_e32 vcc, s26, v0
	s_and_saveexec_b64 s[0:1], vcc
	s_cbranch_execz .LBB770_80
; %bb.79:
	s_waitcnt lgkmcnt(0)
	flat_store_dword v[12:13], v2
.LBB770_80:
	s_or_b64 exec, exec, s[0:1]
	v_or_b32_e32 v14, 0x80, v0
	v_cmp_gt_u32_e32 vcc, s26, v14
	s_and_saveexec_b64 s[0:1], vcc
	s_cbranch_execz .LBB770_82
; %bb.81:
	s_waitcnt lgkmcnt(0)
	flat_store_dword v[12:13], v3 offset:512
.LBB770_82:
	s_or_b64 exec, exec, s[0:1]
	v_or_b32_e32 v14, 0x100, v0
	v_cmp_gt_u32_e32 vcc, s26, v14
	s_and_saveexec_b64 s[0:1], vcc
	s_cbranch_execz .LBB770_84
; %bb.83:
	s_waitcnt lgkmcnt(0)
	flat_store_dword v[12:13], v6 offset:1024
.LBB770_84:
	;; [unrolled: 9-line block ×7, first 2 shown]
	s_or_b64 exec, exec, s[0:1]
	v_or_b32_e32 v14, 0x400, v0
	v_cmp_gt_u32_e32 vcc, s26, v14
	s_and_saveexec_b64 s[0:1], vcc
	s_cbranch_execz .LBB770_96
; %bb.95:
	v_add_co_u32_e32 v14, vcc, 0x1000, v12
	v_addc_co_u32_e32 v15, vcc, 0, v13, vcc
	s_waitcnt lgkmcnt(0)
	flat_store_dword v[14:15], v10
.LBB770_96:
	s_or_b64 exec, exec, s[0:1]
	v_or_b32_e32 v14, 0x480, v0
	v_cmp_gt_u32_e32 vcc, s26, v14
	s_and_saveexec_b64 s[0:1], vcc
	s_cbranch_execz .LBB770_98
; %bb.97:
	v_add_co_u32_e32 v12, vcc, 0x1000, v12
	v_addc_co_u32_e32 v13, vcc, 0, v13, vcc
	s_waitcnt lgkmcnt(0)
	flat_store_dword v[12:13], v11 offset:512
.LBB770_98:
	s_or_b64 exec, exec, s[0:1]
	v_cmp_lt_u64_e64 s[0:1], s[22:23], 2
	s_and_b64 vcc, exec, s[0:1]
	s_cbranch_vccnz .LBB770_133
; %bb.99:
	s_add_u32 s0, s26, -1
	s_addc_u32 s1, s27, -1
	s_add_u32 s2, 0, 0x99986000
	s_addc_u32 s3, 0, 0x59
	s_add_i32 s3, s3, 0x19999940
	s_mul_hi_u32 s7, s2, -10
	s_sub_i32 s7, s7, s2
	s_mul_i32 s8, s3, -10
	s_mul_i32 s4, s2, -10
	s_add_i32 s7, s7, s8
	s_mul_hi_u32 s5, s3, s4
	s_mul_i32 s6, s3, s4
	s_mul_i32 s9, s2, s7
	s_mul_hi_u32 s4, s2, s4
	s_mul_hi_u32 s8, s2, s7
	s_add_u32 s4, s4, s9
	s_addc_u32 s8, 0, s8
	s_add_u32 s4, s4, s6
	s_mul_hi_u32 s9, s3, s7
	s_addc_u32 s4, s8, s5
	s_addc_u32 s5, s9, 0
	s_mul_i32 s6, s3, s7
	s_add_u32 s4, s4, s6
	v_mov_b32_e32 v12, s4
	s_addc_u32 s5, 0, s5
	v_add_co_u32_e32 v12, vcc, s2, v12
	s_cmp_lg_u64 vcc, 0
	s_addc_u32 s2, s3, s5
	v_readfirstlane_b32 s5, v12
	s_mul_i32 s4, s0, s2
	s_mul_hi_u32 s6, s0, s5
	s_mul_hi_u32 s3, s0, s2
	s_add_u32 s4, s6, s4
	s_addc_u32 s3, 0, s3
	s_mul_hi_u32 s7, s1, s5
	s_mul_i32 s5, s1, s5
	s_add_u32 s4, s4, s5
	s_mul_hi_u32 s6, s1, s2
	s_addc_u32 s3, s3, s7
	s_addc_u32 s4, s6, 0
	s_mul_i32 s2, s1, s2
	s_add_u32 s2, s3, s2
	s_addc_u32 s3, 0, s4
	s_add_u32 s4, s2, 1
	s_addc_u32 s5, s3, 0
	s_add_u32 s6, s2, 2
	s_mul_i32 s8, s3, 10
	s_mul_hi_u32 s9, s2, 10
	s_addc_u32 s7, s3, 0
	s_add_i32 s9, s9, s8
	s_mul_i32 s8, s2, 10
	v_mov_b32_e32 v12, s8
	v_sub_co_u32_e32 v12, vcc, s0, v12
	s_cmp_lg_u64 vcc, 0
	s_subb_u32 s8, s1, s9
	v_subrev_co_u32_e32 v13, vcc, 10, v12
	s_cmp_lg_u64 vcc, 0
	s_subb_u32 s9, s8, 0
	v_readfirstlane_b32 s10, v13
	s_cmp_gt_u32 s10, 9
	s_cselect_b32 s10, -1, 0
	s_cmp_eq_u32 s9, 0
	s_cselect_b32 s9, s10, -1
	s_cmp_lg_u32 s9, 0
	s_cselect_b32 s4, s6, s4
	v_readfirstlane_b32 s6, v12
	s_cselect_b32 s5, s7, s5
	s_cmp_gt_u32 s6, 9
	s_cselect_b32 s6, -1, 0
	s_cmp_eq_u32 s8, 0
	s_cselect_b32 s6, s6, -1
	s_cmp_lg_u32 s6, 0
	s_cselect_b32 s3, s5, s3
	s_cselect_b32 s2, s4, s2
	v_cmp_eq_u64_e32 vcc, s[2:3], v[0:1]
	s_and_saveexec_b64 s[2:3], vcc
	s_cbranch_execz .LBB770_133
; %bb.100:
	v_mul_hi_u32_u24_e32 v1, 10, v0
	v_mov_b32_e32 v12, s1
	v_sub_co_u32_e32 v0, vcc, s0, v31
	v_subb_co_u32_e32 v1, vcc, v12, v1, vcc
	v_cmp_lt_i64_e32 vcc, 4, v[0:1]
	s_and_saveexec_b64 s[0:1], vcc
	s_xor_b64 s[0:1], exec, s[0:1]
	s_cbranch_execz .LBB770_118
; %bb.101:
	v_cmp_lt_i64_e32 vcc, 6, v[0:1]
	s_and_saveexec_b64 s[2:3], vcc
	s_xor_b64 s[2:3], exec, s[2:3]
	s_cbranch_execz .LBB770_111
; %bb.102:
	v_cmp_lt_i64_e32 vcc, 7, v[0:1]
	s_and_saveexec_b64 s[4:5], vcc
	s_xor_b64 s[4:5], exec, s[4:5]
	s_cbranch_execz .LBB770_108
; %bb.103:
	v_cmp_lt_i64_e32 vcc, 8, v[0:1]
	s_and_saveexec_b64 s[6:7], vcc
	s_xor_b64 s[6:7], exec, s[6:7]
	s_cbranch_execz .LBB770_105
; %bb.104:
	v_mov_b32_e32 v0, 0
	s_waitcnt lgkmcnt(0)
	global_store_dword v0, v11, s[18:19]
                                        ; implicit-def: $vgpr10_vgpr11
.LBB770_105:
	s_andn2_saveexec_b64 s[6:7], s[6:7]
	s_cbranch_execz .LBB770_107
; %bb.106:
	v_mov_b32_e32 v0, 0
	s_waitcnt lgkmcnt(0)
	global_store_dword v0, v10, s[18:19]
.LBB770_107:
	s_or_b64 exec, exec, s[6:7]
                                        ; implicit-def: $vgpr8_vgpr9
.LBB770_108:
	s_andn2_saveexec_b64 s[4:5], s[4:5]
	s_cbranch_execz .LBB770_110
; %bb.109:
	v_mov_b32_e32 v0, 0
	s_waitcnt lgkmcnt(0)
	global_store_dword v0, v9, s[18:19]
.LBB770_110:
	s_or_b64 exec, exec, s[4:5]
                                        ; implicit-def: $vgpr4_vgpr5
                                        ; implicit-def: $vgpr0_vgpr1
                                        ; implicit-def: $vgpr8_vgpr9
.LBB770_111:
	s_andn2_saveexec_b64 s[2:3], s[2:3]
	s_cbranch_execz .LBB770_117
; %bb.112:
	v_cmp_lt_i64_e32 vcc, 5, v[0:1]
	s_and_saveexec_b64 s[4:5], vcc
	s_xor_b64 s[4:5], exec, s[4:5]
	s_cbranch_execz .LBB770_114
; %bb.113:
	v_mov_b32_e32 v0, 0
	s_waitcnt lgkmcnt(0)
	global_store_dword v0, v8, s[18:19]
                                        ; implicit-def: $vgpr4_vgpr5
.LBB770_114:
	s_andn2_saveexec_b64 s[4:5], s[4:5]
	s_cbranch_execz .LBB770_116
; %bb.115:
	v_mov_b32_e32 v0, 0
	s_waitcnt lgkmcnt(0)
	global_store_dword v0, v5, s[18:19]
.LBB770_116:
	s_or_b64 exec, exec, s[4:5]
.LBB770_117:
	s_or_b64 exec, exec, s[2:3]
                                        ; implicit-def: $vgpr0_vgpr1
                                        ; implicit-def: $vgpr6_vgpr7
                                        ; implicit-def: $vgpr2_vgpr3
                                        ; implicit-def: $vgpr4_vgpr5
.LBB770_118:
	s_andn2_saveexec_b64 s[0:1], s[0:1]
	s_cbranch_execz .LBB770_133
; %bb.119:
	v_cmp_lt_i64_e32 vcc, 2, v[0:1]
	s_and_saveexec_b64 s[0:1], vcc
	s_xor_b64 s[0:1], exec, s[0:1]
	s_cbranch_execz .LBB770_125
; %bb.120:
	v_cmp_lt_i64_e32 vcc, 3, v[0:1]
	s_and_saveexec_b64 s[2:3], vcc
	s_xor_b64 s[2:3], exec, s[2:3]
	s_cbranch_execz .LBB770_122
; %bb.121:
	v_mov_b32_e32 v0, 0
	s_waitcnt lgkmcnt(0)
	global_store_dword v0, v4, s[18:19]
                                        ; implicit-def: $vgpr6_vgpr7
.LBB770_122:
	s_andn2_saveexec_b64 s[2:3], s[2:3]
	s_cbranch_execz .LBB770_124
; %bb.123:
	v_mov_b32_e32 v0, 0
	s_waitcnt lgkmcnt(0)
	global_store_dword v0, v7, s[18:19]
.LBB770_124:
	s_or_b64 exec, exec, s[2:3]
                                        ; implicit-def: $vgpr0_vgpr1
                                        ; implicit-def: $vgpr6_vgpr7
                                        ; implicit-def: $vgpr2_vgpr3
.LBB770_125:
	s_andn2_saveexec_b64 s[0:1], s[0:1]
	s_cbranch_execz .LBB770_133
; %bb.126:
	v_cmp_lt_i64_e32 vcc, 1, v[0:1]
	s_and_saveexec_b64 s[0:1], vcc
	s_xor_b64 s[0:1], exec, s[0:1]
	s_cbranch_execz .LBB770_128
; %bb.127:
	v_mov_b32_e32 v0, 0
	s_waitcnt lgkmcnt(0)
	global_store_dword v0, v6, s[18:19]
                                        ; implicit-def: $vgpr2_vgpr3
                                        ; implicit-def: $vgpr0_vgpr1
.LBB770_128:
	s_andn2_saveexec_b64 s[0:1], s[0:1]
	s_cbranch_execz .LBB770_133
; %bb.129:
	v_cmp_ne_u64_e32 vcc, 1, v[0:1]
	s_and_saveexec_b64 s[0:1], vcc
	s_xor_b64 s[0:1], exec, s[0:1]
	s_cbranch_execz .LBB770_131
; %bb.130:
	v_mov_b32_e32 v0, 0
	s_waitcnt lgkmcnt(0)
	global_store_dword v0, v2, s[18:19]
                                        ; implicit-def: $vgpr2_vgpr3
.LBB770_131:
	s_andn2_saveexec_b64 s[0:1], s[0:1]
	s_cbranch_execz .LBB770_133
; %bb.132:
	v_mov_b32_e32 v0, 0
	s_waitcnt lgkmcnt(0)
	global_store_dword v0, v3, s[18:19]
.LBB770_133:
	s_endpgm
	.section	.rodata,"a",@progbits
	.p2align	6, 0x0
	.amdhsa_kernel _ZN7rocprim17ROCPRIM_400000_NS6detail17trampoline_kernelINS0_14default_configENS1_20scan_config_selectorIiEEZZNS1_9scan_implILNS1_25lookback_scan_determinismE0ELb0ELb1ES3_N6thrust23THRUST_200600_302600_NS6detail15normal_iteratorINS9_10device_ptrIiEEEESE_iNS9_4plusIiEEiEEDaPvRmT3_T4_T5_mT6_P12ihipStream_tbENKUlT_T0_E_clISt17integral_constantIbLb1EEST_IbLb0EEEEDaSP_SQ_EUlSP_E_NS1_11comp_targetILNS1_3genE4ELNS1_11target_archE910ELNS1_3gpuE8ELNS1_3repE0EEENS1_30default_config_static_selectorELNS0_4arch9wavefront6targetE1EEEvT1_
		.amdhsa_group_segment_fixed_size 5120
		.amdhsa_private_segment_fixed_size 0
		.amdhsa_kernarg_size 96
		.amdhsa_user_sgpr_count 6
		.amdhsa_user_sgpr_private_segment_buffer 1
		.amdhsa_user_sgpr_dispatch_ptr 0
		.amdhsa_user_sgpr_queue_ptr 0
		.amdhsa_user_sgpr_kernarg_segment_ptr 1
		.amdhsa_user_sgpr_dispatch_id 0
		.amdhsa_user_sgpr_flat_scratch_init 0
		.amdhsa_user_sgpr_kernarg_preload_length 0
		.amdhsa_user_sgpr_kernarg_preload_offset 0
		.amdhsa_user_sgpr_private_segment_size 0
		.amdhsa_uses_dynamic_stack 0
		.amdhsa_system_sgpr_private_segment_wavefront_offset 0
		.amdhsa_system_sgpr_workgroup_id_x 1
		.amdhsa_system_sgpr_workgroup_id_y 0
		.amdhsa_system_sgpr_workgroup_id_z 0
		.amdhsa_system_sgpr_workgroup_info 0
		.amdhsa_system_vgpr_workitem_id 0
		.amdhsa_next_free_vgpr 40
		.amdhsa_next_free_sgpr 30
		.amdhsa_accum_offset 40
		.amdhsa_reserve_vcc 1
		.amdhsa_reserve_flat_scratch 0
		.amdhsa_float_round_mode_32 0
		.amdhsa_float_round_mode_16_64 0
		.amdhsa_float_denorm_mode_32 3
		.amdhsa_float_denorm_mode_16_64 3
		.amdhsa_dx10_clamp 1
		.amdhsa_ieee_mode 1
		.amdhsa_fp16_overflow 0
		.amdhsa_tg_split 0
		.amdhsa_exception_fp_ieee_invalid_op 0
		.amdhsa_exception_fp_denorm_src 0
		.amdhsa_exception_fp_ieee_div_zero 0
		.amdhsa_exception_fp_ieee_overflow 0
		.amdhsa_exception_fp_ieee_underflow 0
		.amdhsa_exception_fp_ieee_inexact 0
		.amdhsa_exception_int_div_zero 0
	.end_amdhsa_kernel
	.section	.text._ZN7rocprim17ROCPRIM_400000_NS6detail17trampoline_kernelINS0_14default_configENS1_20scan_config_selectorIiEEZZNS1_9scan_implILNS1_25lookback_scan_determinismE0ELb0ELb1ES3_N6thrust23THRUST_200600_302600_NS6detail15normal_iteratorINS9_10device_ptrIiEEEESE_iNS9_4plusIiEEiEEDaPvRmT3_T4_T5_mT6_P12ihipStream_tbENKUlT_T0_E_clISt17integral_constantIbLb1EEST_IbLb0EEEEDaSP_SQ_EUlSP_E_NS1_11comp_targetILNS1_3genE4ELNS1_11target_archE910ELNS1_3gpuE8ELNS1_3repE0EEENS1_30default_config_static_selectorELNS0_4arch9wavefront6targetE1EEEvT1_,"axG",@progbits,_ZN7rocprim17ROCPRIM_400000_NS6detail17trampoline_kernelINS0_14default_configENS1_20scan_config_selectorIiEEZZNS1_9scan_implILNS1_25lookback_scan_determinismE0ELb0ELb1ES3_N6thrust23THRUST_200600_302600_NS6detail15normal_iteratorINS9_10device_ptrIiEEEESE_iNS9_4plusIiEEiEEDaPvRmT3_T4_T5_mT6_P12ihipStream_tbENKUlT_T0_E_clISt17integral_constantIbLb1EEST_IbLb0EEEEDaSP_SQ_EUlSP_E_NS1_11comp_targetILNS1_3genE4ELNS1_11target_archE910ELNS1_3gpuE8ELNS1_3repE0EEENS1_30default_config_static_selectorELNS0_4arch9wavefront6targetE1EEEvT1_,comdat
.Lfunc_end770:
	.size	_ZN7rocprim17ROCPRIM_400000_NS6detail17trampoline_kernelINS0_14default_configENS1_20scan_config_selectorIiEEZZNS1_9scan_implILNS1_25lookback_scan_determinismE0ELb0ELb1ES3_N6thrust23THRUST_200600_302600_NS6detail15normal_iteratorINS9_10device_ptrIiEEEESE_iNS9_4plusIiEEiEEDaPvRmT3_T4_T5_mT6_P12ihipStream_tbENKUlT_T0_E_clISt17integral_constantIbLb1EEST_IbLb0EEEEDaSP_SQ_EUlSP_E_NS1_11comp_targetILNS1_3genE4ELNS1_11target_archE910ELNS1_3gpuE8ELNS1_3repE0EEENS1_30default_config_static_selectorELNS0_4arch9wavefront6targetE1EEEvT1_, .Lfunc_end770-_ZN7rocprim17ROCPRIM_400000_NS6detail17trampoline_kernelINS0_14default_configENS1_20scan_config_selectorIiEEZZNS1_9scan_implILNS1_25lookback_scan_determinismE0ELb0ELb1ES3_N6thrust23THRUST_200600_302600_NS6detail15normal_iteratorINS9_10device_ptrIiEEEESE_iNS9_4plusIiEEiEEDaPvRmT3_T4_T5_mT6_P12ihipStream_tbENKUlT_T0_E_clISt17integral_constantIbLb1EEST_IbLb0EEEEDaSP_SQ_EUlSP_E_NS1_11comp_targetILNS1_3genE4ELNS1_11target_archE910ELNS1_3gpuE8ELNS1_3repE0EEENS1_30default_config_static_selectorELNS0_4arch9wavefront6targetE1EEEvT1_
                                        ; -- End function
	.section	.AMDGPU.csdata,"",@progbits
; Kernel info:
; codeLenInByte = 5092
; NumSgprs: 34
; NumVgprs: 40
; NumAgprs: 0
; TotalNumVgprs: 40
; ScratchSize: 0
; MemoryBound: 0
; FloatMode: 240
; IeeeMode: 1
; LDSByteSize: 5120 bytes/workgroup (compile time only)
; SGPRBlocks: 4
; VGPRBlocks: 4
; NumSGPRsForWavesPerEU: 34
; NumVGPRsForWavesPerEU: 40
; AccumOffset: 40
; Occupancy: 6
; WaveLimiterHint : 1
; COMPUTE_PGM_RSRC2:SCRATCH_EN: 0
; COMPUTE_PGM_RSRC2:USER_SGPR: 6
; COMPUTE_PGM_RSRC2:TRAP_HANDLER: 0
; COMPUTE_PGM_RSRC2:TGID_X_EN: 1
; COMPUTE_PGM_RSRC2:TGID_Y_EN: 0
; COMPUTE_PGM_RSRC2:TGID_Z_EN: 0
; COMPUTE_PGM_RSRC2:TIDIG_COMP_CNT: 0
; COMPUTE_PGM_RSRC3_GFX90A:ACCUM_OFFSET: 9
; COMPUTE_PGM_RSRC3_GFX90A:TG_SPLIT: 0
	.section	.text._ZN7rocprim17ROCPRIM_400000_NS6detail17trampoline_kernelINS0_14default_configENS1_20scan_config_selectorIiEEZZNS1_9scan_implILNS1_25lookback_scan_determinismE0ELb0ELb1ES3_N6thrust23THRUST_200600_302600_NS6detail15normal_iteratorINS9_10device_ptrIiEEEESE_iNS9_4plusIiEEiEEDaPvRmT3_T4_T5_mT6_P12ihipStream_tbENKUlT_T0_E_clISt17integral_constantIbLb1EEST_IbLb0EEEEDaSP_SQ_EUlSP_E_NS1_11comp_targetILNS1_3genE3ELNS1_11target_archE908ELNS1_3gpuE7ELNS1_3repE0EEENS1_30default_config_static_selectorELNS0_4arch9wavefront6targetE1EEEvT1_,"axG",@progbits,_ZN7rocprim17ROCPRIM_400000_NS6detail17trampoline_kernelINS0_14default_configENS1_20scan_config_selectorIiEEZZNS1_9scan_implILNS1_25lookback_scan_determinismE0ELb0ELb1ES3_N6thrust23THRUST_200600_302600_NS6detail15normal_iteratorINS9_10device_ptrIiEEEESE_iNS9_4plusIiEEiEEDaPvRmT3_T4_T5_mT6_P12ihipStream_tbENKUlT_T0_E_clISt17integral_constantIbLb1EEST_IbLb0EEEEDaSP_SQ_EUlSP_E_NS1_11comp_targetILNS1_3genE3ELNS1_11target_archE908ELNS1_3gpuE7ELNS1_3repE0EEENS1_30default_config_static_selectorELNS0_4arch9wavefront6targetE1EEEvT1_,comdat
	.protected	_ZN7rocprim17ROCPRIM_400000_NS6detail17trampoline_kernelINS0_14default_configENS1_20scan_config_selectorIiEEZZNS1_9scan_implILNS1_25lookback_scan_determinismE0ELb0ELb1ES3_N6thrust23THRUST_200600_302600_NS6detail15normal_iteratorINS9_10device_ptrIiEEEESE_iNS9_4plusIiEEiEEDaPvRmT3_T4_T5_mT6_P12ihipStream_tbENKUlT_T0_E_clISt17integral_constantIbLb1EEST_IbLb0EEEEDaSP_SQ_EUlSP_E_NS1_11comp_targetILNS1_3genE3ELNS1_11target_archE908ELNS1_3gpuE7ELNS1_3repE0EEENS1_30default_config_static_selectorELNS0_4arch9wavefront6targetE1EEEvT1_ ; -- Begin function _ZN7rocprim17ROCPRIM_400000_NS6detail17trampoline_kernelINS0_14default_configENS1_20scan_config_selectorIiEEZZNS1_9scan_implILNS1_25lookback_scan_determinismE0ELb0ELb1ES3_N6thrust23THRUST_200600_302600_NS6detail15normal_iteratorINS9_10device_ptrIiEEEESE_iNS9_4plusIiEEiEEDaPvRmT3_T4_T5_mT6_P12ihipStream_tbENKUlT_T0_E_clISt17integral_constantIbLb1EEST_IbLb0EEEEDaSP_SQ_EUlSP_E_NS1_11comp_targetILNS1_3genE3ELNS1_11target_archE908ELNS1_3gpuE7ELNS1_3repE0EEENS1_30default_config_static_selectorELNS0_4arch9wavefront6targetE1EEEvT1_
	.globl	_ZN7rocprim17ROCPRIM_400000_NS6detail17trampoline_kernelINS0_14default_configENS1_20scan_config_selectorIiEEZZNS1_9scan_implILNS1_25lookback_scan_determinismE0ELb0ELb1ES3_N6thrust23THRUST_200600_302600_NS6detail15normal_iteratorINS9_10device_ptrIiEEEESE_iNS9_4plusIiEEiEEDaPvRmT3_T4_T5_mT6_P12ihipStream_tbENKUlT_T0_E_clISt17integral_constantIbLb1EEST_IbLb0EEEEDaSP_SQ_EUlSP_E_NS1_11comp_targetILNS1_3genE3ELNS1_11target_archE908ELNS1_3gpuE7ELNS1_3repE0EEENS1_30default_config_static_selectorELNS0_4arch9wavefront6targetE1EEEvT1_
	.p2align	8
	.type	_ZN7rocprim17ROCPRIM_400000_NS6detail17trampoline_kernelINS0_14default_configENS1_20scan_config_selectorIiEEZZNS1_9scan_implILNS1_25lookback_scan_determinismE0ELb0ELb1ES3_N6thrust23THRUST_200600_302600_NS6detail15normal_iteratorINS9_10device_ptrIiEEEESE_iNS9_4plusIiEEiEEDaPvRmT3_T4_T5_mT6_P12ihipStream_tbENKUlT_T0_E_clISt17integral_constantIbLb1EEST_IbLb0EEEEDaSP_SQ_EUlSP_E_NS1_11comp_targetILNS1_3genE3ELNS1_11target_archE908ELNS1_3gpuE7ELNS1_3repE0EEENS1_30default_config_static_selectorELNS0_4arch9wavefront6targetE1EEEvT1_,@function
_ZN7rocprim17ROCPRIM_400000_NS6detail17trampoline_kernelINS0_14default_configENS1_20scan_config_selectorIiEEZZNS1_9scan_implILNS1_25lookback_scan_determinismE0ELb0ELb1ES3_N6thrust23THRUST_200600_302600_NS6detail15normal_iteratorINS9_10device_ptrIiEEEESE_iNS9_4plusIiEEiEEDaPvRmT3_T4_T5_mT6_P12ihipStream_tbENKUlT_T0_E_clISt17integral_constantIbLb1EEST_IbLb0EEEEDaSP_SQ_EUlSP_E_NS1_11comp_targetILNS1_3genE3ELNS1_11target_archE908ELNS1_3gpuE7ELNS1_3repE0EEENS1_30default_config_static_selectorELNS0_4arch9wavefront6targetE1EEEvT1_: ; @_ZN7rocprim17ROCPRIM_400000_NS6detail17trampoline_kernelINS0_14default_configENS1_20scan_config_selectorIiEEZZNS1_9scan_implILNS1_25lookback_scan_determinismE0ELb0ELb1ES3_N6thrust23THRUST_200600_302600_NS6detail15normal_iteratorINS9_10device_ptrIiEEEESE_iNS9_4plusIiEEiEEDaPvRmT3_T4_T5_mT6_P12ihipStream_tbENKUlT_T0_E_clISt17integral_constantIbLb1EEST_IbLb0EEEEDaSP_SQ_EUlSP_E_NS1_11comp_targetILNS1_3genE3ELNS1_11target_archE908ELNS1_3gpuE7ELNS1_3repE0EEENS1_30default_config_static_selectorELNS0_4arch9wavefront6targetE1EEEvT1_
; %bb.0:
	.section	.rodata,"a",@progbits
	.p2align	6, 0x0
	.amdhsa_kernel _ZN7rocprim17ROCPRIM_400000_NS6detail17trampoline_kernelINS0_14default_configENS1_20scan_config_selectorIiEEZZNS1_9scan_implILNS1_25lookback_scan_determinismE0ELb0ELb1ES3_N6thrust23THRUST_200600_302600_NS6detail15normal_iteratorINS9_10device_ptrIiEEEESE_iNS9_4plusIiEEiEEDaPvRmT3_T4_T5_mT6_P12ihipStream_tbENKUlT_T0_E_clISt17integral_constantIbLb1EEST_IbLb0EEEEDaSP_SQ_EUlSP_E_NS1_11comp_targetILNS1_3genE3ELNS1_11target_archE908ELNS1_3gpuE7ELNS1_3repE0EEENS1_30default_config_static_selectorELNS0_4arch9wavefront6targetE1EEEvT1_
		.amdhsa_group_segment_fixed_size 0
		.amdhsa_private_segment_fixed_size 0
		.amdhsa_kernarg_size 96
		.amdhsa_user_sgpr_count 6
		.amdhsa_user_sgpr_private_segment_buffer 1
		.amdhsa_user_sgpr_dispatch_ptr 0
		.amdhsa_user_sgpr_queue_ptr 0
		.amdhsa_user_sgpr_kernarg_segment_ptr 1
		.amdhsa_user_sgpr_dispatch_id 0
		.amdhsa_user_sgpr_flat_scratch_init 0
		.amdhsa_user_sgpr_kernarg_preload_length 0
		.amdhsa_user_sgpr_kernarg_preload_offset 0
		.amdhsa_user_sgpr_private_segment_size 0
		.amdhsa_uses_dynamic_stack 0
		.amdhsa_system_sgpr_private_segment_wavefront_offset 0
		.amdhsa_system_sgpr_workgroup_id_x 1
		.amdhsa_system_sgpr_workgroup_id_y 0
		.amdhsa_system_sgpr_workgroup_id_z 0
		.amdhsa_system_sgpr_workgroup_info 0
		.amdhsa_system_vgpr_workitem_id 0
		.amdhsa_next_free_vgpr 1
		.amdhsa_next_free_sgpr 0
		.amdhsa_accum_offset 4
		.amdhsa_reserve_vcc 0
		.amdhsa_reserve_flat_scratch 0
		.amdhsa_float_round_mode_32 0
		.amdhsa_float_round_mode_16_64 0
		.amdhsa_float_denorm_mode_32 3
		.amdhsa_float_denorm_mode_16_64 3
		.amdhsa_dx10_clamp 1
		.amdhsa_ieee_mode 1
		.amdhsa_fp16_overflow 0
		.amdhsa_tg_split 0
		.amdhsa_exception_fp_ieee_invalid_op 0
		.amdhsa_exception_fp_denorm_src 0
		.amdhsa_exception_fp_ieee_div_zero 0
		.amdhsa_exception_fp_ieee_overflow 0
		.amdhsa_exception_fp_ieee_underflow 0
		.amdhsa_exception_fp_ieee_inexact 0
		.amdhsa_exception_int_div_zero 0
	.end_amdhsa_kernel
	.section	.text._ZN7rocprim17ROCPRIM_400000_NS6detail17trampoline_kernelINS0_14default_configENS1_20scan_config_selectorIiEEZZNS1_9scan_implILNS1_25lookback_scan_determinismE0ELb0ELb1ES3_N6thrust23THRUST_200600_302600_NS6detail15normal_iteratorINS9_10device_ptrIiEEEESE_iNS9_4plusIiEEiEEDaPvRmT3_T4_T5_mT6_P12ihipStream_tbENKUlT_T0_E_clISt17integral_constantIbLb1EEST_IbLb0EEEEDaSP_SQ_EUlSP_E_NS1_11comp_targetILNS1_3genE3ELNS1_11target_archE908ELNS1_3gpuE7ELNS1_3repE0EEENS1_30default_config_static_selectorELNS0_4arch9wavefront6targetE1EEEvT1_,"axG",@progbits,_ZN7rocprim17ROCPRIM_400000_NS6detail17trampoline_kernelINS0_14default_configENS1_20scan_config_selectorIiEEZZNS1_9scan_implILNS1_25lookback_scan_determinismE0ELb0ELb1ES3_N6thrust23THRUST_200600_302600_NS6detail15normal_iteratorINS9_10device_ptrIiEEEESE_iNS9_4plusIiEEiEEDaPvRmT3_T4_T5_mT6_P12ihipStream_tbENKUlT_T0_E_clISt17integral_constantIbLb1EEST_IbLb0EEEEDaSP_SQ_EUlSP_E_NS1_11comp_targetILNS1_3genE3ELNS1_11target_archE908ELNS1_3gpuE7ELNS1_3repE0EEENS1_30default_config_static_selectorELNS0_4arch9wavefront6targetE1EEEvT1_,comdat
.Lfunc_end771:
	.size	_ZN7rocprim17ROCPRIM_400000_NS6detail17trampoline_kernelINS0_14default_configENS1_20scan_config_selectorIiEEZZNS1_9scan_implILNS1_25lookback_scan_determinismE0ELb0ELb1ES3_N6thrust23THRUST_200600_302600_NS6detail15normal_iteratorINS9_10device_ptrIiEEEESE_iNS9_4plusIiEEiEEDaPvRmT3_T4_T5_mT6_P12ihipStream_tbENKUlT_T0_E_clISt17integral_constantIbLb1EEST_IbLb0EEEEDaSP_SQ_EUlSP_E_NS1_11comp_targetILNS1_3genE3ELNS1_11target_archE908ELNS1_3gpuE7ELNS1_3repE0EEENS1_30default_config_static_selectorELNS0_4arch9wavefront6targetE1EEEvT1_, .Lfunc_end771-_ZN7rocprim17ROCPRIM_400000_NS6detail17trampoline_kernelINS0_14default_configENS1_20scan_config_selectorIiEEZZNS1_9scan_implILNS1_25lookback_scan_determinismE0ELb0ELb1ES3_N6thrust23THRUST_200600_302600_NS6detail15normal_iteratorINS9_10device_ptrIiEEEESE_iNS9_4plusIiEEiEEDaPvRmT3_T4_T5_mT6_P12ihipStream_tbENKUlT_T0_E_clISt17integral_constantIbLb1EEST_IbLb0EEEEDaSP_SQ_EUlSP_E_NS1_11comp_targetILNS1_3genE3ELNS1_11target_archE908ELNS1_3gpuE7ELNS1_3repE0EEENS1_30default_config_static_selectorELNS0_4arch9wavefront6targetE1EEEvT1_
                                        ; -- End function
	.section	.AMDGPU.csdata,"",@progbits
; Kernel info:
; codeLenInByte = 0
; NumSgprs: 4
; NumVgprs: 0
; NumAgprs: 0
; TotalNumVgprs: 0
; ScratchSize: 0
; MemoryBound: 0
; FloatMode: 240
; IeeeMode: 1
; LDSByteSize: 0 bytes/workgroup (compile time only)
; SGPRBlocks: 0
; VGPRBlocks: 0
; NumSGPRsForWavesPerEU: 4
; NumVGPRsForWavesPerEU: 1
; AccumOffset: 4
; Occupancy: 8
; WaveLimiterHint : 0
; COMPUTE_PGM_RSRC2:SCRATCH_EN: 0
; COMPUTE_PGM_RSRC2:USER_SGPR: 6
; COMPUTE_PGM_RSRC2:TRAP_HANDLER: 0
; COMPUTE_PGM_RSRC2:TGID_X_EN: 1
; COMPUTE_PGM_RSRC2:TGID_Y_EN: 0
; COMPUTE_PGM_RSRC2:TGID_Z_EN: 0
; COMPUTE_PGM_RSRC2:TIDIG_COMP_CNT: 0
; COMPUTE_PGM_RSRC3_GFX90A:ACCUM_OFFSET: 0
; COMPUTE_PGM_RSRC3_GFX90A:TG_SPLIT: 0
	.section	.text._ZN7rocprim17ROCPRIM_400000_NS6detail17trampoline_kernelINS0_14default_configENS1_20scan_config_selectorIiEEZZNS1_9scan_implILNS1_25lookback_scan_determinismE0ELb0ELb1ES3_N6thrust23THRUST_200600_302600_NS6detail15normal_iteratorINS9_10device_ptrIiEEEESE_iNS9_4plusIiEEiEEDaPvRmT3_T4_T5_mT6_P12ihipStream_tbENKUlT_T0_E_clISt17integral_constantIbLb1EEST_IbLb0EEEEDaSP_SQ_EUlSP_E_NS1_11comp_targetILNS1_3genE2ELNS1_11target_archE906ELNS1_3gpuE6ELNS1_3repE0EEENS1_30default_config_static_selectorELNS0_4arch9wavefront6targetE1EEEvT1_,"axG",@progbits,_ZN7rocprim17ROCPRIM_400000_NS6detail17trampoline_kernelINS0_14default_configENS1_20scan_config_selectorIiEEZZNS1_9scan_implILNS1_25lookback_scan_determinismE0ELb0ELb1ES3_N6thrust23THRUST_200600_302600_NS6detail15normal_iteratorINS9_10device_ptrIiEEEESE_iNS9_4plusIiEEiEEDaPvRmT3_T4_T5_mT6_P12ihipStream_tbENKUlT_T0_E_clISt17integral_constantIbLb1EEST_IbLb0EEEEDaSP_SQ_EUlSP_E_NS1_11comp_targetILNS1_3genE2ELNS1_11target_archE906ELNS1_3gpuE6ELNS1_3repE0EEENS1_30default_config_static_selectorELNS0_4arch9wavefront6targetE1EEEvT1_,comdat
	.protected	_ZN7rocprim17ROCPRIM_400000_NS6detail17trampoline_kernelINS0_14default_configENS1_20scan_config_selectorIiEEZZNS1_9scan_implILNS1_25lookback_scan_determinismE0ELb0ELb1ES3_N6thrust23THRUST_200600_302600_NS6detail15normal_iteratorINS9_10device_ptrIiEEEESE_iNS9_4plusIiEEiEEDaPvRmT3_T4_T5_mT6_P12ihipStream_tbENKUlT_T0_E_clISt17integral_constantIbLb1EEST_IbLb0EEEEDaSP_SQ_EUlSP_E_NS1_11comp_targetILNS1_3genE2ELNS1_11target_archE906ELNS1_3gpuE6ELNS1_3repE0EEENS1_30default_config_static_selectorELNS0_4arch9wavefront6targetE1EEEvT1_ ; -- Begin function _ZN7rocprim17ROCPRIM_400000_NS6detail17trampoline_kernelINS0_14default_configENS1_20scan_config_selectorIiEEZZNS1_9scan_implILNS1_25lookback_scan_determinismE0ELb0ELb1ES3_N6thrust23THRUST_200600_302600_NS6detail15normal_iteratorINS9_10device_ptrIiEEEESE_iNS9_4plusIiEEiEEDaPvRmT3_T4_T5_mT6_P12ihipStream_tbENKUlT_T0_E_clISt17integral_constantIbLb1EEST_IbLb0EEEEDaSP_SQ_EUlSP_E_NS1_11comp_targetILNS1_3genE2ELNS1_11target_archE906ELNS1_3gpuE6ELNS1_3repE0EEENS1_30default_config_static_selectorELNS0_4arch9wavefront6targetE1EEEvT1_
	.globl	_ZN7rocprim17ROCPRIM_400000_NS6detail17trampoline_kernelINS0_14default_configENS1_20scan_config_selectorIiEEZZNS1_9scan_implILNS1_25lookback_scan_determinismE0ELb0ELb1ES3_N6thrust23THRUST_200600_302600_NS6detail15normal_iteratorINS9_10device_ptrIiEEEESE_iNS9_4plusIiEEiEEDaPvRmT3_T4_T5_mT6_P12ihipStream_tbENKUlT_T0_E_clISt17integral_constantIbLb1EEST_IbLb0EEEEDaSP_SQ_EUlSP_E_NS1_11comp_targetILNS1_3genE2ELNS1_11target_archE906ELNS1_3gpuE6ELNS1_3repE0EEENS1_30default_config_static_selectorELNS0_4arch9wavefront6targetE1EEEvT1_
	.p2align	8
	.type	_ZN7rocprim17ROCPRIM_400000_NS6detail17trampoline_kernelINS0_14default_configENS1_20scan_config_selectorIiEEZZNS1_9scan_implILNS1_25lookback_scan_determinismE0ELb0ELb1ES3_N6thrust23THRUST_200600_302600_NS6detail15normal_iteratorINS9_10device_ptrIiEEEESE_iNS9_4plusIiEEiEEDaPvRmT3_T4_T5_mT6_P12ihipStream_tbENKUlT_T0_E_clISt17integral_constantIbLb1EEST_IbLb0EEEEDaSP_SQ_EUlSP_E_NS1_11comp_targetILNS1_3genE2ELNS1_11target_archE906ELNS1_3gpuE6ELNS1_3repE0EEENS1_30default_config_static_selectorELNS0_4arch9wavefront6targetE1EEEvT1_,@function
_ZN7rocprim17ROCPRIM_400000_NS6detail17trampoline_kernelINS0_14default_configENS1_20scan_config_selectorIiEEZZNS1_9scan_implILNS1_25lookback_scan_determinismE0ELb0ELb1ES3_N6thrust23THRUST_200600_302600_NS6detail15normal_iteratorINS9_10device_ptrIiEEEESE_iNS9_4plusIiEEiEEDaPvRmT3_T4_T5_mT6_P12ihipStream_tbENKUlT_T0_E_clISt17integral_constantIbLb1EEST_IbLb0EEEEDaSP_SQ_EUlSP_E_NS1_11comp_targetILNS1_3genE2ELNS1_11target_archE906ELNS1_3gpuE6ELNS1_3repE0EEENS1_30default_config_static_selectorELNS0_4arch9wavefront6targetE1EEEvT1_: ; @_ZN7rocprim17ROCPRIM_400000_NS6detail17trampoline_kernelINS0_14default_configENS1_20scan_config_selectorIiEEZZNS1_9scan_implILNS1_25lookback_scan_determinismE0ELb0ELb1ES3_N6thrust23THRUST_200600_302600_NS6detail15normal_iteratorINS9_10device_ptrIiEEEESE_iNS9_4plusIiEEiEEDaPvRmT3_T4_T5_mT6_P12ihipStream_tbENKUlT_T0_E_clISt17integral_constantIbLb1EEST_IbLb0EEEEDaSP_SQ_EUlSP_E_NS1_11comp_targetILNS1_3genE2ELNS1_11target_archE906ELNS1_3gpuE6ELNS1_3repE0EEENS1_30default_config_static_selectorELNS0_4arch9wavefront6targetE1EEEvT1_
; %bb.0:
	.section	.rodata,"a",@progbits
	.p2align	6, 0x0
	.amdhsa_kernel _ZN7rocprim17ROCPRIM_400000_NS6detail17trampoline_kernelINS0_14default_configENS1_20scan_config_selectorIiEEZZNS1_9scan_implILNS1_25lookback_scan_determinismE0ELb0ELb1ES3_N6thrust23THRUST_200600_302600_NS6detail15normal_iteratorINS9_10device_ptrIiEEEESE_iNS9_4plusIiEEiEEDaPvRmT3_T4_T5_mT6_P12ihipStream_tbENKUlT_T0_E_clISt17integral_constantIbLb1EEST_IbLb0EEEEDaSP_SQ_EUlSP_E_NS1_11comp_targetILNS1_3genE2ELNS1_11target_archE906ELNS1_3gpuE6ELNS1_3repE0EEENS1_30default_config_static_selectorELNS0_4arch9wavefront6targetE1EEEvT1_
		.amdhsa_group_segment_fixed_size 0
		.amdhsa_private_segment_fixed_size 0
		.amdhsa_kernarg_size 96
		.amdhsa_user_sgpr_count 6
		.amdhsa_user_sgpr_private_segment_buffer 1
		.amdhsa_user_sgpr_dispatch_ptr 0
		.amdhsa_user_sgpr_queue_ptr 0
		.amdhsa_user_sgpr_kernarg_segment_ptr 1
		.amdhsa_user_sgpr_dispatch_id 0
		.amdhsa_user_sgpr_flat_scratch_init 0
		.amdhsa_user_sgpr_kernarg_preload_length 0
		.amdhsa_user_sgpr_kernarg_preload_offset 0
		.amdhsa_user_sgpr_private_segment_size 0
		.amdhsa_uses_dynamic_stack 0
		.amdhsa_system_sgpr_private_segment_wavefront_offset 0
		.amdhsa_system_sgpr_workgroup_id_x 1
		.amdhsa_system_sgpr_workgroup_id_y 0
		.amdhsa_system_sgpr_workgroup_id_z 0
		.amdhsa_system_sgpr_workgroup_info 0
		.amdhsa_system_vgpr_workitem_id 0
		.amdhsa_next_free_vgpr 1
		.amdhsa_next_free_sgpr 0
		.amdhsa_accum_offset 4
		.amdhsa_reserve_vcc 0
		.amdhsa_reserve_flat_scratch 0
		.amdhsa_float_round_mode_32 0
		.amdhsa_float_round_mode_16_64 0
		.amdhsa_float_denorm_mode_32 3
		.amdhsa_float_denorm_mode_16_64 3
		.amdhsa_dx10_clamp 1
		.amdhsa_ieee_mode 1
		.amdhsa_fp16_overflow 0
		.amdhsa_tg_split 0
		.amdhsa_exception_fp_ieee_invalid_op 0
		.amdhsa_exception_fp_denorm_src 0
		.amdhsa_exception_fp_ieee_div_zero 0
		.amdhsa_exception_fp_ieee_overflow 0
		.amdhsa_exception_fp_ieee_underflow 0
		.amdhsa_exception_fp_ieee_inexact 0
		.amdhsa_exception_int_div_zero 0
	.end_amdhsa_kernel
	.section	.text._ZN7rocprim17ROCPRIM_400000_NS6detail17trampoline_kernelINS0_14default_configENS1_20scan_config_selectorIiEEZZNS1_9scan_implILNS1_25lookback_scan_determinismE0ELb0ELb1ES3_N6thrust23THRUST_200600_302600_NS6detail15normal_iteratorINS9_10device_ptrIiEEEESE_iNS9_4plusIiEEiEEDaPvRmT3_T4_T5_mT6_P12ihipStream_tbENKUlT_T0_E_clISt17integral_constantIbLb1EEST_IbLb0EEEEDaSP_SQ_EUlSP_E_NS1_11comp_targetILNS1_3genE2ELNS1_11target_archE906ELNS1_3gpuE6ELNS1_3repE0EEENS1_30default_config_static_selectorELNS0_4arch9wavefront6targetE1EEEvT1_,"axG",@progbits,_ZN7rocprim17ROCPRIM_400000_NS6detail17trampoline_kernelINS0_14default_configENS1_20scan_config_selectorIiEEZZNS1_9scan_implILNS1_25lookback_scan_determinismE0ELb0ELb1ES3_N6thrust23THRUST_200600_302600_NS6detail15normal_iteratorINS9_10device_ptrIiEEEESE_iNS9_4plusIiEEiEEDaPvRmT3_T4_T5_mT6_P12ihipStream_tbENKUlT_T0_E_clISt17integral_constantIbLb1EEST_IbLb0EEEEDaSP_SQ_EUlSP_E_NS1_11comp_targetILNS1_3genE2ELNS1_11target_archE906ELNS1_3gpuE6ELNS1_3repE0EEENS1_30default_config_static_selectorELNS0_4arch9wavefront6targetE1EEEvT1_,comdat
.Lfunc_end772:
	.size	_ZN7rocprim17ROCPRIM_400000_NS6detail17trampoline_kernelINS0_14default_configENS1_20scan_config_selectorIiEEZZNS1_9scan_implILNS1_25lookback_scan_determinismE0ELb0ELb1ES3_N6thrust23THRUST_200600_302600_NS6detail15normal_iteratorINS9_10device_ptrIiEEEESE_iNS9_4plusIiEEiEEDaPvRmT3_T4_T5_mT6_P12ihipStream_tbENKUlT_T0_E_clISt17integral_constantIbLb1EEST_IbLb0EEEEDaSP_SQ_EUlSP_E_NS1_11comp_targetILNS1_3genE2ELNS1_11target_archE906ELNS1_3gpuE6ELNS1_3repE0EEENS1_30default_config_static_selectorELNS0_4arch9wavefront6targetE1EEEvT1_, .Lfunc_end772-_ZN7rocprim17ROCPRIM_400000_NS6detail17trampoline_kernelINS0_14default_configENS1_20scan_config_selectorIiEEZZNS1_9scan_implILNS1_25lookback_scan_determinismE0ELb0ELb1ES3_N6thrust23THRUST_200600_302600_NS6detail15normal_iteratorINS9_10device_ptrIiEEEESE_iNS9_4plusIiEEiEEDaPvRmT3_T4_T5_mT6_P12ihipStream_tbENKUlT_T0_E_clISt17integral_constantIbLb1EEST_IbLb0EEEEDaSP_SQ_EUlSP_E_NS1_11comp_targetILNS1_3genE2ELNS1_11target_archE906ELNS1_3gpuE6ELNS1_3repE0EEENS1_30default_config_static_selectorELNS0_4arch9wavefront6targetE1EEEvT1_
                                        ; -- End function
	.section	.AMDGPU.csdata,"",@progbits
; Kernel info:
; codeLenInByte = 0
; NumSgprs: 4
; NumVgprs: 0
; NumAgprs: 0
; TotalNumVgprs: 0
; ScratchSize: 0
; MemoryBound: 0
; FloatMode: 240
; IeeeMode: 1
; LDSByteSize: 0 bytes/workgroup (compile time only)
; SGPRBlocks: 0
; VGPRBlocks: 0
; NumSGPRsForWavesPerEU: 4
; NumVGPRsForWavesPerEU: 1
; AccumOffset: 4
; Occupancy: 8
; WaveLimiterHint : 0
; COMPUTE_PGM_RSRC2:SCRATCH_EN: 0
; COMPUTE_PGM_RSRC2:USER_SGPR: 6
; COMPUTE_PGM_RSRC2:TRAP_HANDLER: 0
; COMPUTE_PGM_RSRC2:TGID_X_EN: 1
; COMPUTE_PGM_RSRC2:TGID_Y_EN: 0
; COMPUTE_PGM_RSRC2:TGID_Z_EN: 0
; COMPUTE_PGM_RSRC2:TIDIG_COMP_CNT: 0
; COMPUTE_PGM_RSRC3_GFX90A:ACCUM_OFFSET: 0
; COMPUTE_PGM_RSRC3_GFX90A:TG_SPLIT: 0
	.section	.text._ZN7rocprim17ROCPRIM_400000_NS6detail17trampoline_kernelINS0_14default_configENS1_20scan_config_selectorIiEEZZNS1_9scan_implILNS1_25lookback_scan_determinismE0ELb0ELb1ES3_N6thrust23THRUST_200600_302600_NS6detail15normal_iteratorINS9_10device_ptrIiEEEESE_iNS9_4plusIiEEiEEDaPvRmT3_T4_T5_mT6_P12ihipStream_tbENKUlT_T0_E_clISt17integral_constantIbLb1EEST_IbLb0EEEEDaSP_SQ_EUlSP_E_NS1_11comp_targetILNS1_3genE10ELNS1_11target_archE1201ELNS1_3gpuE5ELNS1_3repE0EEENS1_30default_config_static_selectorELNS0_4arch9wavefront6targetE1EEEvT1_,"axG",@progbits,_ZN7rocprim17ROCPRIM_400000_NS6detail17trampoline_kernelINS0_14default_configENS1_20scan_config_selectorIiEEZZNS1_9scan_implILNS1_25lookback_scan_determinismE0ELb0ELb1ES3_N6thrust23THRUST_200600_302600_NS6detail15normal_iteratorINS9_10device_ptrIiEEEESE_iNS9_4plusIiEEiEEDaPvRmT3_T4_T5_mT6_P12ihipStream_tbENKUlT_T0_E_clISt17integral_constantIbLb1EEST_IbLb0EEEEDaSP_SQ_EUlSP_E_NS1_11comp_targetILNS1_3genE10ELNS1_11target_archE1201ELNS1_3gpuE5ELNS1_3repE0EEENS1_30default_config_static_selectorELNS0_4arch9wavefront6targetE1EEEvT1_,comdat
	.protected	_ZN7rocprim17ROCPRIM_400000_NS6detail17trampoline_kernelINS0_14default_configENS1_20scan_config_selectorIiEEZZNS1_9scan_implILNS1_25lookback_scan_determinismE0ELb0ELb1ES3_N6thrust23THRUST_200600_302600_NS6detail15normal_iteratorINS9_10device_ptrIiEEEESE_iNS9_4plusIiEEiEEDaPvRmT3_T4_T5_mT6_P12ihipStream_tbENKUlT_T0_E_clISt17integral_constantIbLb1EEST_IbLb0EEEEDaSP_SQ_EUlSP_E_NS1_11comp_targetILNS1_3genE10ELNS1_11target_archE1201ELNS1_3gpuE5ELNS1_3repE0EEENS1_30default_config_static_selectorELNS0_4arch9wavefront6targetE1EEEvT1_ ; -- Begin function _ZN7rocprim17ROCPRIM_400000_NS6detail17trampoline_kernelINS0_14default_configENS1_20scan_config_selectorIiEEZZNS1_9scan_implILNS1_25lookback_scan_determinismE0ELb0ELb1ES3_N6thrust23THRUST_200600_302600_NS6detail15normal_iteratorINS9_10device_ptrIiEEEESE_iNS9_4plusIiEEiEEDaPvRmT3_T4_T5_mT6_P12ihipStream_tbENKUlT_T0_E_clISt17integral_constantIbLb1EEST_IbLb0EEEEDaSP_SQ_EUlSP_E_NS1_11comp_targetILNS1_3genE10ELNS1_11target_archE1201ELNS1_3gpuE5ELNS1_3repE0EEENS1_30default_config_static_selectorELNS0_4arch9wavefront6targetE1EEEvT1_
	.globl	_ZN7rocprim17ROCPRIM_400000_NS6detail17trampoline_kernelINS0_14default_configENS1_20scan_config_selectorIiEEZZNS1_9scan_implILNS1_25lookback_scan_determinismE0ELb0ELb1ES3_N6thrust23THRUST_200600_302600_NS6detail15normal_iteratorINS9_10device_ptrIiEEEESE_iNS9_4plusIiEEiEEDaPvRmT3_T4_T5_mT6_P12ihipStream_tbENKUlT_T0_E_clISt17integral_constantIbLb1EEST_IbLb0EEEEDaSP_SQ_EUlSP_E_NS1_11comp_targetILNS1_3genE10ELNS1_11target_archE1201ELNS1_3gpuE5ELNS1_3repE0EEENS1_30default_config_static_selectorELNS0_4arch9wavefront6targetE1EEEvT1_
	.p2align	8
	.type	_ZN7rocprim17ROCPRIM_400000_NS6detail17trampoline_kernelINS0_14default_configENS1_20scan_config_selectorIiEEZZNS1_9scan_implILNS1_25lookback_scan_determinismE0ELb0ELb1ES3_N6thrust23THRUST_200600_302600_NS6detail15normal_iteratorINS9_10device_ptrIiEEEESE_iNS9_4plusIiEEiEEDaPvRmT3_T4_T5_mT6_P12ihipStream_tbENKUlT_T0_E_clISt17integral_constantIbLb1EEST_IbLb0EEEEDaSP_SQ_EUlSP_E_NS1_11comp_targetILNS1_3genE10ELNS1_11target_archE1201ELNS1_3gpuE5ELNS1_3repE0EEENS1_30default_config_static_selectorELNS0_4arch9wavefront6targetE1EEEvT1_,@function
_ZN7rocprim17ROCPRIM_400000_NS6detail17trampoline_kernelINS0_14default_configENS1_20scan_config_selectorIiEEZZNS1_9scan_implILNS1_25lookback_scan_determinismE0ELb0ELb1ES3_N6thrust23THRUST_200600_302600_NS6detail15normal_iteratorINS9_10device_ptrIiEEEESE_iNS9_4plusIiEEiEEDaPvRmT3_T4_T5_mT6_P12ihipStream_tbENKUlT_T0_E_clISt17integral_constantIbLb1EEST_IbLb0EEEEDaSP_SQ_EUlSP_E_NS1_11comp_targetILNS1_3genE10ELNS1_11target_archE1201ELNS1_3gpuE5ELNS1_3repE0EEENS1_30default_config_static_selectorELNS0_4arch9wavefront6targetE1EEEvT1_: ; @_ZN7rocprim17ROCPRIM_400000_NS6detail17trampoline_kernelINS0_14default_configENS1_20scan_config_selectorIiEEZZNS1_9scan_implILNS1_25lookback_scan_determinismE0ELb0ELb1ES3_N6thrust23THRUST_200600_302600_NS6detail15normal_iteratorINS9_10device_ptrIiEEEESE_iNS9_4plusIiEEiEEDaPvRmT3_T4_T5_mT6_P12ihipStream_tbENKUlT_T0_E_clISt17integral_constantIbLb1EEST_IbLb0EEEEDaSP_SQ_EUlSP_E_NS1_11comp_targetILNS1_3genE10ELNS1_11target_archE1201ELNS1_3gpuE5ELNS1_3repE0EEENS1_30default_config_static_selectorELNS0_4arch9wavefront6targetE1EEEvT1_
; %bb.0:
	.section	.rodata,"a",@progbits
	.p2align	6, 0x0
	.amdhsa_kernel _ZN7rocprim17ROCPRIM_400000_NS6detail17trampoline_kernelINS0_14default_configENS1_20scan_config_selectorIiEEZZNS1_9scan_implILNS1_25lookback_scan_determinismE0ELb0ELb1ES3_N6thrust23THRUST_200600_302600_NS6detail15normal_iteratorINS9_10device_ptrIiEEEESE_iNS9_4plusIiEEiEEDaPvRmT3_T4_T5_mT6_P12ihipStream_tbENKUlT_T0_E_clISt17integral_constantIbLb1EEST_IbLb0EEEEDaSP_SQ_EUlSP_E_NS1_11comp_targetILNS1_3genE10ELNS1_11target_archE1201ELNS1_3gpuE5ELNS1_3repE0EEENS1_30default_config_static_selectorELNS0_4arch9wavefront6targetE1EEEvT1_
		.amdhsa_group_segment_fixed_size 0
		.amdhsa_private_segment_fixed_size 0
		.amdhsa_kernarg_size 96
		.amdhsa_user_sgpr_count 6
		.amdhsa_user_sgpr_private_segment_buffer 1
		.amdhsa_user_sgpr_dispatch_ptr 0
		.amdhsa_user_sgpr_queue_ptr 0
		.amdhsa_user_sgpr_kernarg_segment_ptr 1
		.amdhsa_user_sgpr_dispatch_id 0
		.amdhsa_user_sgpr_flat_scratch_init 0
		.amdhsa_user_sgpr_kernarg_preload_length 0
		.amdhsa_user_sgpr_kernarg_preload_offset 0
		.amdhsa_user_sgpr_private_segment_size 0
		.amdhsa_uses_dynamic_stack 0
		.amdhsa_system_sgpr_private_segment_wavefront_offset 0
		.amdhsa_system_sgpr_workgroup_id_x 1
		.amdhsa_system_sgpr_workgroup_id_y 0
		.amdhsa_system_sgpr_workgroup_id_z 0
		.amdhsa_system_sgpr_workgroup_info 0
		.amdhsa_system_vgpr_workitem_id 0
		.amdhsa_next_free_vgpr 1
		.amdhsa_next_free_sgpr 0
		.amdhsa_accum_offset 4
		.amdhsa_reserve_vcc 0
		.amdhsa_reserve_flat_scratch 0
		.amdhsa_float_round_mode_32 0
		.amdhsa_float_round_mode_16_64 0
		.amdhsa_float_denorm_mode_32 3
		.amdhsa_float_denorm_mode_16_64 3
		.amdhsa_dx10_clamp 1
		.amdhsa_ieee_mode 1
		.amdhsa_fp16_overflow 0
		.amdhsa_tg_split 0
		.amdhsa_exception_fp_ieee_invalid_op 0
		.amdhsa_exception_fp_denorm_src 0
		.amdhsa_exception_fp_ieee_div_zero 0
		.amdhsa_exception_fp_ieee_overflow 0
		.amdhsa_exception_fp_ieee_underflow 0
		.amdhsa_exception_fp_ieee_inexact 0
		.amdhsa_exception_int_div_zero 0
	.end_amdhsa_kernel
	.section	.text._ZN7rocprim17ROCPRIM_400000_NS6detail17trampoline_kernelINS0_14default_configENS1_20scan_config_selectorIiEEZZNS1_9scan_implILNS1_25lookback_scan_determinismE0ELb0ELb1ES3_N6thrust23THRUST_200600_302600_NS6detail15normal_iteratorINS9_10device_ptrIiEEEESE_iNS9_4plusIiEEiEEDaPvRmT3_T4_T5_mT6_P12ihipStream_tbENKUlT_T0_E_clISt17integral_constantIbLb1EEST_IbLb0EEEEDaSP_SQ_EUlSP_E_NS1_11comp_targetILNS1_3genE10ELNS1_11target_archE1201ELNS1_3gpuE5ELNS1_3repE0EEENS1_30default_config_static_selectorELNS0_4arch9wavefront6targetE1EEEvT1_,"axG",@progbits,_ZN7rocprim17ROCPRIM_400000_NS6detail17trampoline_kernelINS0_14default_configENS1_20scan_config_selectorIiEEZZNS1_9scan_implILNS1_25lookback_scan_determinismE0ELb0ELb1ES3_N6thrust23THRUST_200600_302600_NS6detail15normal_iteratorINS9_10device_ptrIiEEEESE_iNS9_4plusIiEEiEEDaPvRmT3_T4_T5_mT6_P12ihipStream_tbENKUlT_T0_E_clISt17integral_constantIbLb1EEST_IbLb0EEEEDaSP_SQ_EUlSP_E_NS1_11comp_targetILNS1_3genE10ELNS1_11target_archE1201ELNS1_3gpuE5ELNS1_3repE0EEENS1_30default_config_static_selectorELNS0_4arch9wavefront6targetE1EEEvT1_,comdat
.Lfunc_end773:
	.size	_ZN7rocprim17ROCPRIM_400000_NS6detail17trampoline_kernelINS0_14default_configENS1_20scan_config_selectorIiEEZZNS1_9scan_implILNS1_25lookback_scan_determinismE0ELb0ELb1ES3_N6thrust23THRUST_200600_302600_NS6detail15normal_iteratorINS9_10device_ptrIiEEEESE_iNS9_4plusIiEEiEEDaPvRmT3_T4_T5_mT6_P12ihipStream_tbENKUlT_T0_E_clISt17integral_constantIbLb1EEST_IbLb0EEEEDaSP_SQ_EUlSP_E_NS1_11comp_targetILNS1_3genE10ELNS1_11target_archE1201ELNS1_3gpuE5ELNS1_3repE0EEENS1_30default_config_static_selectorELNS0_4arch9wavefront6targetE1EEEvT1_, .Lfunc_end773-_ZN7rocprim17ROCPRIM_400000_NS6detail17trampoline_kernelINS0_14default_configENS1_20scan_config_selectorIiEEZZNS1_9scan_implILNS1_25lookback_scan_determinismE0ELb0ELb1ES3_N6thrust23THRUST_200600_302600_NS6detail15normal_iteratorINS9_10device_ptrIiEEEESE_iNS9_4plusIiEEiEEDaPvRmT3_T4_T5_mT6_P12ihipStream_tbENKUlT_T0_E_clISt17integral_constantIbLb1EEST_IbLb0EEEEDaSP_SQ_EUlSP_E_NS1_11comp_targetILNS1_3genE10ELNS1_11target_archE1201ELNS1_3gpuE5ELNS1_3repE0EEENS1_30default_config_static_selectorELNS0_4arch9wavefront6targetE1EEEvT1_
                                        ; -- End function
	.section	.AMDGPU.csdata,"",@progbits
; Kernel info:
; codeLenInByte = 0
; NumSgprs: 4
; NumVgprs: 0
; NumAgprs: 0
; TotalNumVgprs: 0
; ScratchSize: 0
; MemoryBound: 0
; FloatMode: 240
; IeeeMode: 1
; LDSByteSize: 0 bytes/workgroup (compile time only)
; SGPRBlocks: 0
; VGPRBlocks: 0
; NumSGPRsForWavesPerEU: 4
; NumVGPRsForWavesPerEU: 1
; AccumOffset: 4
; Occupancy: 8
; WaveLimiterHint : 0
; COMPUTE_PGM_RSRC2:SCRATCH_EN: 0
; COMPUTE_PGM_RSRC2:USER_SGPR: 6
; COMPUTE_PGM_RSRC2:TRAP_HANDLER: 0
; COMPUTE_PGM_RSRC2:TGID_X_EN: 1
; COMPUTE_PGM_RSRC2:TGID_Y_EN: 0
; COMPUTE_PGM_RSRC2:TGID_Z_EN: 0
; COMPUTE_PGM_RSRC2:TIDIG_COMP_CNT: 0
; COMPUTE_PGM_RSRC3_GFX90A:ACCUM_OFFSET: 0
; COMPUTE_PGM_RSRC3_GFX90A:TG_SPLIT: 0
	.section	.text._ZN7rocprim17ROCPRIM_400000_NS6detail17trampoline_kernelINS0_14default_configENS1_20scan_config_selectorIiEEZZNS1_9scan_implILNS1_25lookback_scan_determinismE0ELb0ELb1ES3_N6thrust23THRUST_200600_302600_NS6detail15normal_iteratorINS9_10device_ptrIiEEEESE_iNS9_4plusIiEEiEEDaPvRmT3_T4_T5_mT6_P12ihipStream_tbENKUlT_T0_E_clISt17integral_constantIbLb1EEST_IbLb0EEEEDaSP_SQ_EUlSP_E_NS1_11comp_targetILNS1_3genE10ELNS1_11target_archE1200ELNS1_3gpuE4ELNS1_3repE0EEENS1_30default_config_static_selectorELNS0_4arch9wavefront6targetE1EEEvT1_,"axG",@progbits,_ZN7rocprim17ROCPRIM_400000_NS6detail17trampoline_kernelINS0_14default_configENS1_20scan_config_selectorIiEEZZNS1_9scan_implILNS1_25lookback_scan_determinismE0ELb0ELb1ES3_N6thrust23THRUST_200600_302600_NS6detail15normal_iteratorINS9_10device_ptrIiEEEESE_iNS9_4plusIiEEiEEDaPvRmT3_T4_T5_mT6_P12ihipStream_tbENKUlT_T0_E_clISt17integral_constantIbLb1EEST_IbLb0EEEEDaSP_SQ_EUlSP_E_NS1_11comp_targetILNS1_3genE10ELNS1_11target_archE1200ELNS1_3gpuE4ELNS1_3repE0EEENS1_30default_config_static_selectorELNS0_4arch9wavefront6targetE1EEEvT1_,comdat
	.protected	_ZN7rocprim17ROCPRIM_400000_NS6detail17trampoline_kernelINS0_14default_configENS1_20scan_config_selectorIiEEZZNS1_9scan_implILNS1_25lookback_scan_determinismE0ELb0ELb1ES3_N6thrust23THRUST_200600_302600_NS6detail15normal_iteratorINS9_10device_ptrIiEEEESE_iNS9_4plusIiEEiEEDaPvRmT3_T4_T5_mT6_P12ihipStream_tbENKUlT_T0_E_clISt17integral_constantIbLb1EEST_IbLb0EEEEDaSP_SQ_EUlSP_E_NS1_11comp_targetILNS1_3genE10ELNS1_11target_archE1200ELNS1_3gpuE4ELNS1_3repE0EEENS1_30default_config_static_selectorELNS0_4arch9wavefront6targetE1EEEvT1_ ; -- Begin function _ZN7rocprim17ROCPRIM_400000_NS6detail17trampoline_kernelINS0_14default_configENS1_20scan_config_selectorIiEEZZNS1_9scan_implILNS1_25lookback_scan_determinismE0ELb0ELb1ES3_N6thrust23THRUST_200600_302600_NS6detail15normal_iteratorINS9_10device_ptrIiEEEESE_iNS9_4plusIiEEiEEDaPvRmT3_T4_T5_mT6_P12ihipStream_tbENKUlT_T0_E_clISt17integral_constantIbLb1EEST_IbLb0EEEEDaSP_SQ_EUlSP_E_NS1_11comp_targetILNS1_3genE10ELNS1_11target_archE1200ELNS1_3gpuE4ELNS1_3repE0EEENS1_30default_config_static_selectorELNS0_4arch9wavefront6targetE1EEEvT1_
	.globl	_ZN7rocprim17ROCPRIM_400000_NS6detail17trampoline_kernelINS0_14default_configENS1_20scan_config_selectorIiEEZZNS1_9scan_implILNS1_25lookback_scan_determinismE0ELb0ELb1ES3_N6thrust23THRUST_200600_302600_NS6detail15normal_iteratorINS9_10device_ptrIiEEEESE_iNS9_4plusIiEEiEEDaPvRmT3_T4_T5_mT6_P12ihipStream_tbENKUlT_T0_E_clISt17integral_constantIbLb1EEST_IbLb0EEEEDaSP_SQ_EUlSP_E_NS1_11comp_targetILNS1_3genE10ELNS1_11target_archE1200ELNS1_3gpuE4ELNS1_3repE0EEENS1_30default_config_static_selectorELNS0_4arch9wavefront6targetE1EEEvT1_
	.p2align	8
	.type	_ZN7rocprim17ROCPRIM_400000_NS6detail17trampoline_kernelINS0_14default_configENS1_20scan_config_selectorIiEEZZNS1_9scan_implILNS1_25lookback_scan_determinismE0ELb0ELb1ES3_N6thrust23THRUST_200600_302600_NS6detail15normal_iteratorINS9_10device_ptrIiEEEESE_iNS9_4plusIiEEiEEDaPvRmT3_T4_T5_mT6_P12ihipStream_tbENKUlT_T0_E_clISt17integral_constantIbLb1EEST_IbLb0EEEEDaSP_SQ_EUlSP_E_NS1_11comp_targetILNS1_3genE10ELNS1_11target_archE1200ELNS1_3gpuE4ELNS1_3repE0EEENS1_30default_config_static_selectorELNS0_4arch9wavefront6targetE1EEEvT1_,@function
_ZN7rocprim17ROCPRIM_400000_NS6detail17trampoline_kernelINS0_14default_configENS1_20scan_config_selectorIiEEZZNS1_9scan_implILNS1_25lookback_scan_determinismE0ELb0ELb1ES3_N6thrust23THRUST_200600_302600_NS6detail15normal_iteratorINS9_10device_ptrIiEEEESE_iNS9_4plusIiEEiEEDaPvRmT3_T4_T5_mT6_P12ihipStream_tbENKUlT_T0_E_clISt17integral_constantIbLb1EEST_IbLb0EEEEDaSP_SQ_EUlSP_E_NS1_11comp_targetILNS1_3genE10ELNS1_11target_archE1200ELNS1_3gpuE4ELNS1_3repE0EEENS1_30default_config_static_selectorELNS0_4arch9wavefront6targetE1EEEvT1_: ; @_ZN7rocprim17ROCPRIM_400000_NS6detail17trampoline_kernelINS0_14default_configENS1_20scan_config_selectorIiEEZZNS1_9scan_implILNS1_25lookback_scan_determinismE0ELb0ELb1ES3_N6thrust23THRUST_200600_302600_NS6detail15normal_iteratorINS9_10device_ptrIiEEEESE_iNS9_4plusIiEEiEEDaPvRmT3_T4_T5_mT6_P12ihipStream_tbENKUlT_T0_E_clISt17integral_constantIbLb1EEST_IbLb0EEEEDaSP_SQ_EUlSP_E_NS1_11comp_targetILNS1_3genE10ELNS1_11target_archE1200ELNS1_3gpuE4ELNS1_3repE0EEENS1_30default_config_static_selectorELNS0_4arch9wavefront6targetE1EEEvT1_
; %bb.0:
	.section	.rodata,"a",@progbits
	.p2align	6, 0x0
	.amdhsa_kernel _ZN7rocprim17ROCPRIM_400000_NS6detail17trampoline_kernelINS0_14default_configENS1_20scan_config_selectorIiEEZZNS1_9scan_implILNS1_25lookback_scan_determinismE0ELb0ELb1ES3_N6thrust23THRUST_200600_302600_NS6detail15normal_iteratorINS9_10device_ptrIiEEEESE_iNS9_4plusIiEEiEEDaPvRmT3_T4_T5_mT6_P12ihipStream_tbENKUlT_T0_E_clISt17integral_constantIbLb1EEST_IbLb0EEEEDaSP_SQ_EUlSP_E_NS1_11comp_targetILNS1_3genE10ELNS1_11target_archE1200ELNS1_3gpuE4ELNS1_3repE0EEENS1_30default_config_static_selectorELNS0_4arch9wavefront6targetE1EEEvT1_
		.amdhsa_group_segment_fixed_size 0
		.amdhsa_private_segment_fixed_size 0
		.amdhsa_kernarg_size 96
		.amdhsa_user_sgpr_count 6
		.amdhsa_user_sgpr_private_segment_buffer 1
		.amdhsa_user_sgpr_dispatch_ptr 0
		.amdhsa_user_sgpr_queue_ptr 0
		.amdhsa_user_sgpr_kernarg_segment_ptr 1
		.amdhsa_user_sgpr_dispatch_id 0
		.amdhsa_user_sgpr_flat_scratch_init 0
		.amdhsa_user_sgpr_kernarg_preload_length 0
		.amdhsa_user_sgpr_kernarg_preload_offset 0
		.amdhsa_user_sgpr_private_segment_size 0
		.amdhsa_uses_dynamic_stack 0
		.amdhsa_system_sgpr_private_segment_wavefront_offset 0
		.amdhsa_system_sgpr_workgroup_id_x 1
		.amdhsa_system_sgpr_workgroup_id_y 0
		.amdhsa_system_sgpr_workgroup_id_z 0
		.amdhsa_system_sgpr_workgroup_info 0
		.amdhsa_system_vgpr_workitem_id 0
		.amdhsa_next_free_vgpr 1
		.amdhsa_next_free_sgpr 0
		.amdhsa_accum_offset 4
		.amdhsa_reserve_vcc 0
		.amdhsa_reserve_flat_scratch 0
		.amdhsa_float_round_mode_32 0
		.amdhsa_float_round_mode_16_64 0
		.amdhsa_float_denorm_mode_32 3
		.amdhsa_float_denorm_mode_16_64 3
		.amdhsa_dx10_clamp 1
		.amdhsa_ieee_mode 1
		.amdhsa_fp16_overflow 0
		.amdhsa_tg_split 0
		.amdhsa_exception_fp_ieee_invalid_op 0
		.amdhsa_exception_fp_denorm_src 0
		.amdhsa_exception_fp_ieee_div_zero 0
		.amdhsa_exception_fp_ieee_overflow 0
		.amdhsa_exception_fp_ieee_underflow 0
		.amdhsa_exception_fp_ieee_inexact 0
		.amdhsa_exception_int_div_zero 0
	.end_amdhsa_kernel
	.section	.text._ZN7rocprim17ROCPRIM_400000_NS6detail17trampoline_kernelINS0_14default_configENS1_20scan_config_selectorIiEEZZNS1_9scan_implILNS1_25lookback_scan_determinismE0ELb0ELb1ES3_N6thrust23THRUST_200600_302600_NS6detail15normal_iteratorINS9_10device_ptrIiEEEESE_iNS9_4plusIiEEiEEDaPvRmT3_T4_T5_mT6_P12ihipStream_tbENKUlT_T0_E_clISt17integral_constantIbLb1EEST_IbLb0EEEEDaSP_SQ_EUlSP_E_NS1_11comp_targetILNS1_3genE10ELNS1_11target_archE1200ELNS1_3gpuE4ELNS1_3repE0EEENS1_30default_config_static_selectorELNS0_4arch9wavefront6targetE1EEEvT1_,"axG",@progbits,_ZN7rocprim17ROCPRIM_400000_NS6detail17trampoline_kernelINS0_14default_configENS1_20scan_config_selectorIiEEZZNS1_9scan_implILNS1_25lookback_scan_determinismE0ELb0ELb1ES3_N6thrust23THRUST_200600_302600_NS6detail15normal_iteratorINS9_10device_ptrIiEEEESE_iNS9_4plusIiEEiEEDaPvRmT3_T4_T5_mT6_P12ihipStream_tbENKUlT_T0_E_clISt17integral_constantIbLb1EEST_IbLb0EEEEDaSP_SQ_EUlSP_E_NS1_11comp_targetILNS1_3genE10ELNS1_11target_archE1200ELNS1_3gpuE4ELNS1_3repE0EEENS1_30default_config_static_selectorELNS0_4arch9wavefront6targetE1EEEvT1_,comdat
.Lfunc_end774:
	.size	_ZN7rocprim17ROCPRIM_400000_NS6detail17trampoline_kernelINS0_14default_configENS1_20scan_config_selectorIiEEZZNS1_9scan_implILNS1_25lookback_scan_determinismE0ELb0ELb1ES3_N6thrust23THRUST_200600_302600_NS6detail15normal_iteratorINS9_10device_ptrIiEEEESE_iNS9_4plusIiEEiEEDaPvRmT3_T4_T5_mT6_P12ihipStream_tbENKUlT_T0_E_clISt17integral_constantIbLb1EEST_IbLb0EEEEDaSP_SQ_EUlSP_E_NS1_11comp_targetILNS1_3genE10ELNS1_11target_archE1200ELNS1_3gpuE4ELNS1_3repE0EEENS1_30default_config_static_selectorELNS0_4arch9wavefront6targetE1EEEvT1_, .Lfunc_end774-_ZN7rocprim17ROCPRIM_400000_NS6detail17trampoline_kernelINS0_14default_configENS1_20scan_config_selectorIiEEZZNS1_9scan_implILNS1_25lookback_scan_determinismE0ELb0ELb1ES3_N6thrust23THRUST_200600_302600_NS6detail15normal_iteratorINS9_10device_ptrIiEEEESE_iNS9_4plusIiEEiEEDaPvRmT3_T4_T5_mT6_P12ihipStream_tbENKUlT_T0_E_clISt17integral_constantIbLb1EEST_IbLb0EEEEDaSP_SQ_EUlSP_E_NS1_11comp_targetILNS1_3genE10ELNS1_11target_archE1200ELNS1_3gpuE4ELNS1_3repE0EEENS1_30default_config_static_selectorELNS0_4arch9wavefront6targetE1EEEvT1_
                                        ; -- End function
	.section	.AMDGPU.csdata,"",@progbits
; Kernel info:
; codeLenInByte = 0
; NumSgprs: 4
; NumVgprs: 0
; NumAgprs: 0
; TotalNumVgprs: 0
; ScratchSize: 0
; MemoryBound: 0
; FloatMode: 240
; IeeeMode: 1
; LDSByteSize: 0 bytes/workgroup (compile time only)
; SGPRBlocks: 0
; VGPRBlocks: 0
; NumSGPRsForWavesPerEU: 4
; NumVGPRsForWavesPerEU: 1
; AccumOffset: 4
; Occupancy: 8
; WaveLimiterHint : 0
; COMPUTE_PGM_RSRC2:SCRATCH_EN: 0
; COMPUTE_PGM_RSRC2:USER_SGPR: 6
; COMPUTE_PGM_RSRC2:TRAP_HANDLER: 0
; COMPUTE_PGM_RSRC2:TGID_X_EN: 1
; COMPUTE_PGM_RSRC2:TGID_Y_EN: 0
; COMPUTE_PGM_RSRC2:TGID_Z_EN: 0
; COMPUTE_PGM_RSRC2:TIDIG_COMP_CNT: 0
; COMPUTE_PGM_RSRC3_GFX90A:ACCUM_OFFSET: 0
; COMPUTE_PGM_RSRC3_GFX90A:TG_SPLIT: 0
	.section	.text._ZN7rocprim17ROCPRIM_400000_NS6detail17trampoline_kernelINS0_14default_configENS1_20scan_config_selectorIiEEZZNS1_9scan_implILNS1_25lookback_scan_determinismE0ELb0ELb1ES3_N6thrust23THRUST_200600_302600_NS6detail15normal_iteratorINS9_10device_ptrIiEEEESE_iNS9_4plusIiEEiEEDaPvRmT3_T4_T5_mT6_P12ihipStream_tbENKUlT_T0_E_clISt17integral_constantIbLb1EEST_IbLb0EEEEDaSP_SQ_EUlSP_E_NS1_11comp_targetILNS1_3genE9ELNS1_11target_archE1100ELNS1_3gpuE3ELNS1_3repE0EEENS1_30default_config_static_selectorELNS0_4arch9wavefront6targetE1EEEvT1_,"axG",@progbits,_ZN7rocprim17ROCPRIM_400000_NS6detail17trampoline_kernelINS0_14default_configENS1_20scan_config_selectorIiEEZZNS1_9scan_implILNS1_25lookback_scan_determinismE0ELb0ELb1ES3_N6thrust23THRUST_200600_302600_NS6detail15normal_iteratorINS9_10device_ptrIiEEEESE_iNS9_4plusIiEEiEEDaPvRmT3_T4_T5_mT6_P12ihipStream_tbENKUlT_T0_E_clISt17integral_constantIbLb1EEST_IbLb0EEEEDaSP_SQ_EUlSP_E_NS1_11comp_targetILNS1_3genE9ELNS1_11target_archE1100ELNS1_3gpuE3ELNS1_3repE0EEENS1_30default_config_static_selectorELNS0_4arch9wavefront6targetE1EEEvT1_,comdat
	.protected	_ZN7rocprim17ROCPRIM_400000_NS6detail17trampoline_kernelINS0_14default_configENS1_20scan_config_selectorIiEEZZNS1_9scan_implILNS1_25lookback_scan_determinismE0ELb0ELb1ES3_N6thrust23THRUST_200600_302600_NS6detail15normal_iteratorINS9_10device_ptrIiEEEESE_iNS9_4plusIiEEiEEDaPvRmT3_T4_T5_mT6_P12ihipStream_tbENKUlT_T0_E_clISt17integral_constantIbLb1EEST_IbLb0EEEEDaSP_SQ_EUlSP_E_NS1_11comp_targetILNS1_3genE9ELNS1_11target_archE1100ELNS1_3gpuE3ELNS1_3repE0EEENS1_30default_config_static_selectorELNS0_4arch9wavefront6targetE1EEEvT1_ ; -- Begin function _ZN7rocprim17ROCPRIM_400000_NS6detail17trampoline_kernelINS0_14default_configENS1_20scan_config_selectorIiEEZZNS1_9scan_implILNS1_25lookback_scan_determinismE0ELb0ELb1ES3_N6thrust23THRUST_200600_302600_NS6detail15normal_iteratorINS9_10device_ptrIiEEEESE_iNS9_4plusIiEEiEEDaPvRmT3_T4_T5_mT6_P12ihipStream_tbENKUlT_T0_E_clISt17integral_constantIbLb1EEST_IbLb0EEEEDaSP_SQ_EUlSP_E_NS1_11comp_targetILNS1_3genE9ELNS1_11target_archE1100ELNS1_3gpuE3ELNS1_3repE0EEENS1_30default_config_static_selectorELNS0_4arch9wavefront6targetE1EEEvT1_
	.globl	_ZN7rocprim17ROCPRIM_400000_NS6detail17trampoline_kernelINS0_14default_configENS1_20scan_config_selectorIiEEZZNS1_9scan_implILNS1_25lookback_scan_determinismE0ELb0ELb1ES3_N6thrust23THRUST_200600_302600_NS6detail15normal_iteratorINS9_10device_ptrIiEEEESE_iNS9_4plusIiEEiEEDaPvRmT3_T4_T5_mT6_P12ihipStream_tbENKUlT_T0_E_clISt17integral_constantIbLb1EEST_IbLb0EEEEDaSP_SQ_EUlSP_E_NS1_11comp_targetILNS1_3genE9ELNS1_11target_archE1100ELNS1_3gpuE3ELNS1_3repE0EEENS1_30default_config_static_selectorELNS0_4arch9wavefront6targetE1EEEvT1_
	.p2align	8
	.type	_ZN7rocprim17ROCPRIM_400000_NS6detail17trampoline_kernelINS0_14default_configENS1_20scan_config_selectorIiEEZZNS1_9scan_implILNS1_25lookback_scan_determinismE0ELb0ELb1ES3_N6thrust23THRUST_200600_302600_NS6detail15normal_iteratorINS9_10device_ptrIiEEEESE_iNS9_4plusIiEEiEEDaPvRmT3_T4_T5_mT6_P12ihipStream_tbENKUlT_T0_E_clISt17integral_constantIbLb1EEST_IbLb0EEEEDaSP_SQ_EUlSP_E_NS1_11comp_targetILNS1_3genE9ELNS1_11target_archE1100ELNS1_3gpuE3ELNS1_3repE0EEENS1_30default_config_static_selectorELNS0_4arch9wavefront6targetE1EEEvT1_,@function
_ZN7rocprim17ROCPRIM_400000_NS6detail17trampoline_kernelINS0_14default_configENS1_20scan_config_selectorIiEEZZNS1_9scan_implILNS1_25lookback_scan_determinismE0ELb0ELb1ES3_N6thrust23THRUST_200600_302600_NS6detail15normal_iteratorINS9_10device_ptrIiEEEESE_iNS9_4plusIiEEiEEDaPvRmT3_T4_T5_mT6_P12ihipStream_tbENKUlT_T0_E_clISt17integral_constantIbLb1EEST_IbLb0EEEEDaSP_SQ_EUlSP_E_NS1_11comp_targetILNS1_3genE9ELNS1_11target_archE1100ELNS1_3gpuE3ELNS1_3repE0EEENS1_30default_config_static_selectorELNS0_4arch9wavefront6targetE1EEEvT1_: ; @_ZN7rocprim17ROCPRIM_400000_NS6detail17trampoline_kernelINS0_14default_configENS1_20scan_config_selectorIiEEZZNS1_9scan_implILNS1_25lookback_scan_determinismE0ELb0ELb1ES3_N6thrust23THRUST_200600_302600_NS6detail15normal_iteratorINS9_10device_ptrIiEEEESE_iNS9_4plusIiEEiEEDaPvRmT3_T4_T5_mT6_P12ihipStream_tbENKUlT_T0_E_clISt17integral_constantIbLb1EEST_IbLb0EEEEDaSP_SQ_EUlSP_E_NS1_11comp_targetILNS1_3genE9ELNS1_11target_archE1100ELNS1_3gpuE3ELNS1_3repE0EEENS1_30default_config_static_selectorELNS0_4arch9wavefront6targetE1EEEvT1_
; %bb.0:
	.section	.rodata,"a",@progbits
	.p2align	6, 0x0
	.amdhsa_kernel _ZN7rocprim17ROCPRIM_400000_NS6detail17trampoline_kernelINS0_14default_configENS1_20scan_config_selectorIiEEZZNS1_9scan_implILNS1_25lookback_scan_determinismE0ELb0ELb1ES3_N6thrust23THRUST_200600_302600_NS6detail15normal_iteratorINS9_10device_ptrIiEEEESE_iNS9_4plusIiEEiEEDaPvRmT3_T4_T5_mT6_P12ihipStream_tbENKUlT_T0_E_clISt17integral_constantIbLb1EEST_IbLb0EEEEDaSP_SQ_EUlSP_E_NS1_11comp_targetILNS1_3genE9ELNS1_11target_archE1100ELNS1_3gpuE3ELNS1_3repE0EEENS1_30default_config_static_selectorELNS0_4arch9wavefront6targetE1EEEvT1_
		.amdhsa_group_segment_fixed_size 0
		.amdhsa_private_segment_fixed_size 0
		.amdhsa_kernarg_size 96
		.amdhsa_user_sgpr_count 6
		.amdhsa_user_sgpr_private_segment_buffer 1
		.amdhsa_user_sgpr_dispatch_ptr 0
		.amdhsa_user_sgpr_queue_ptr 0
		.amdhsa_user_sgpr_kernarg_segment_ptr 1
		.amdhsa_user_sgpr_dispatch_id 0
		.amdhsa_user_sgpr_flat_scratch_init 0
		.amdhsa_user_sgpr_kernarg_preload_length 0
		.amdhsa_user_sgpr_kernarg_preload_offset 0
		.amdhsa_user_sgpr_private_segment_size 0
		.amdhsa_uses_dynamic_stack 0
		.amdhsa_system_sgpr_private_segment_wavefront_offset 0
		.amdhsa_system_sgpr_workgroup_id_x 1
		.amdhsa_system_sgpr_workgroup_id_y 0
		.amdhsa_system_sgpr_workgroup_id_z 0
		.amdhsa_system_sgpr_workgroup_info 0
		.amdhsa_system_vgpr_workitem_id 0
		.amdhsa_next_free_vgpr 1
		.amdhsa_next_free_sgpr 0
		.amdhsa_accum_offset 4
		.amdhsa_reserve_vcc 0
		.amdhsa_reserve_flat_scratch 0
		.amdhsa_float_round_mode_32 0
		.amdhsa_float_round_mode_16_64 0
		.amdhsa_float_denorm_mode_32 3
		.amdhsa_float_denorm_mode_16_64 3
		.amdhsa_dx10_clamp 1
		.amdhsa_ieee_mode 1
		.amdhsa_fp16_overflow 0
		.amdhsa_tg_split 0
		.amdhsa_exception_fp_ieee_invalid_op 0
		.amdhsa_exception_fp_denorm_src 0
		.amdhsa_exception_fp_ieee_div_zero 0
		.amdhsa_exception_fp_ieee_overflow 0
		.amdhsa_exception_fp_ieee_underflow 0
		.amdhsa_exception_fp_ieee_inexact 0
		.amdhsa_exception_int_div_zero 0
	.end_amdhsa_kernel
	.section	.text._ZN7rocprim17ROCPRIM_400000_NS6detail17trampoline_kernelINS0_14default_configENS1_20scan_config_selectorIiEEZZNS1_9scan_implILNS1_25lookback_scan_determinismE0ELb0ELb1ES3_N6thrust23THRUST_200600_302600_NS6detail15normal_iteratorINS9_10device_ptrIiEEEESE_iNS9_4plusIiEEiEEDaPvRmT3_T4_T5_mT6_P12ihipStream_tbENKUlT_T0_E_clISt17integral_constantIbLb1EEST_IbLb0EEEEDaSP_SQ_EUlSP_E_NS1_11comp_targetILNS1_3genE9ELNS1_11target_archE1100ELNS1_3gpuE3ELNS1_3repE0EEENS1_30default_config_static_selectorELNS0_4arch9wavefront6targetE1EEEvT1_,"axG",@progbits,_ZN7rocprim17ROCPRIM_400000_NS6detail17trampoline_kernelINS0_14default_configENS1_20scan_config_selectorIiEEZZNS1_9scan_implILNS1_25lookback_scan_determinismE0ELb0ELb1ES3_N6thrust23THRUST_200600_302600_NS6detail15normal_iteratorINS9_10device_ptrIiEEEESE_iNS9_4plusIiEEiEEDaPvRmT3_T4_T5_mT6_P12ihipStream_tbENKUlT_T0_E_clISt17integral_constantIbLb1EEST_IbLb0EEEEDaSP_SQ_EUlSP_E_NS1_11comp_targetILNS1_3genE9ELNS1_11target_archE1100ELNS1_3gpuE3ELNS1_3repE0EEENS1_30default_config_static_selectorELNS0_4arch9wavefront6targetE1EEEvT1_,comdat
.Lfunc_end775:
	.size	_ZN7rocprim17ROCPRIM_400000_NS6detail17trampoline_kernelINS0_14default_configENS1_20scan_config_selectorIiEEZZNS1_9scan_implILNS1_25lookback_scan_determinismE0ELb0ELb1ES3_N6thrust23THRUST_200600_302600_NS6detail15normal_iteratorINS9_10device_ptrIiEEEESE_iNS9_4plusIiEEiEEDaPvRmT3_T4_T5_mT6_P12ihipStream_tbENKUlT_T0_E_clISt17integral_constantIbLb1EEST_IbLb0EEEEDaSP_SQ_EUlSP_E_NS1_11comp_targetILNS1_3genE9ELNS1_11target_archE1100ELNS1_3gpuE3ELNS1_3repE0EEENS1_30default_config_static_selectorELNS0_4arch9wavefront6targetE1EEEvT1_, .Lfunc_end775-_ZN7rocprim17ROCPRIM_400000_NS6detail17trampoline_kernelINS0_14default_configENS1_20scan_config_selectorIiEEZZNS1_9scan_implILNS1_25lookback_scan_determinismE0ELb0ELb1ES3_N6thrust23THRUST_200600_302600_NS6detail15normal_iteratorINS9_10device_ptrIiEEEESE_iNS9_4plusIiEEiEEDaPvRmT3_T4_T5_mT6_P12ihipStream_tbENKUlT_T0_E_clISt17integral_constantIbLb1EEST_IbLb0EEEEDaSP_SQ_EUlSP_E_NS1_11comp_targetILNS1_3genE9ELNS1_11target_archE1100ELNS1_3gpuE3ELNS1_3repE0EEENS1_30default_config_static_selectorELNS0_4arch9wavefront6targetE1EEEvT1_
                                        ; -- End function
	.section	.AMDGPU.csdata,"",@progbits
; Kernel info:
; codeLenInByte = 0
; NumSgprs: 4
; NumVgprs: 0
; NumAgprs: 0
; TotalNumVgprs: 0
; ScratchSize: 0
; MemoryBound: 0
; FloatMode: 240
; IeeeMode: 1
; LDSByteSize: 0 bytes/workgroup (compile time only)
; SGPRBlocks: 0
; VGPRBlocks: 0
; NumSGPRsForWavesPerEU: 4
; NumVGPRsForWavesPerEU: 1
; AccumOffset: 4
; Occupancy: 8
; WaveLimiterHint : 0
; COMPUTE_PGM_RSRC2:SCRATCH_EN: 0
; COMPUTE_PGM_RSRC2:USER_SGPR: 6
; COMPUTE_PGM_RSRC2:TRAP_HANDLER: 0
; COMPUTE_PGM_RSRC2:TGID_X_EN: 1
; COMPUTE_PGM_RSRC2:TGID_Y_EN: 0
; COMPUTE_PGM_RSRC2:TGID_Z_EN: 0
; COMPUTE_PGM_RSRC2:TIDIG_COMP_CNT: 0
; COMPUTE_PGM_RSRC3_GFX90A:ACCUM_OFFSET: 0
; COMPUTE_PGM_RSRC3_GFX90A:TG_SPLIT: 0
	.section	.text._ZN7rocprim17ROCPRIM_400000_NS6detail17trampoline_kernelINS0_14default_configENS1_20scan_config_selectorIiEEZZNS1_9scan_implILNS1_25lookback_scan_determinismE0ELb0ELb1ES3_N6thrust23THRUST_200600_302600_NS6detail15normal_iteratorINS9_10device_ptrIiEEEESE_iNS9_4plusIiEEiEEDaPvRmT3_T4_T5_mT6_P12ihipStream_tbENKUlT_T0_E_clISt17integral_constantIbLb1EEST_IbLb0EEEEDaSP_SQ_EUlSP_E_NS1_11comp_targetILNS1_3genE8ELNS1_11target_archE1030ELNS1_3gpuE2ELNS1_3repE0EEENS1_30default_config_static_selectorELNS0_4arch9wavefront6targetE1EEEvT1_,"axG",@progbits,_ZN7rocprim17ROCPRIM_400000_NS6detail17trampoline_kernelINS0_14default_configENS1_20scan_config_selectorIiEEZZNS1_9scan_implILNS1_25lookback_scan_determinismE0ELb0ELb1ES3_N6thrust23THRUST_200600_302600_NS6detail15normal_iteratorINS9_10device_ptrIiEEEESE_iNS9_4plusIiEEiEEDaPvRmT3_T4_T5_mT6_P12ihipStream_tbENKUlT_T0_E_clISt17integral_constantIbLb1EEST_IbLb0EEEEDaSP_SQ_EUlSP_E_NS1_11comp_targetILNS1_3genE8ELNS1_11target_archE1030ELNS1_3gpuE2ELNS1_3repE0EEENS1_30default_config_static_selectorELNS0_4arch9wavefront6targetE1EEEvT1_,comdat
	.protected	_ZN7rocprim17ROCPRIM_400000_NS6detail17trampoline_kernelINS0_14default_configENS1_20scan_config_selectorIiEEZZNS1_9scan_implILNS1_25lookback_scan_determinismE0ELb0ELb1ES3_N6thrust23THRUST_200600_302600_NS6detail15normal_iteratorINS9_10device_ptrIiEEEESE_iNS9_4plusIiEEiEEDaPvRmT3_T4_T5_mT6_P12ihipStream_tbENKUlT_T0_E_clISt17integral_constantIbLb1EEST_IbLb0EEEEDaSP_SQ_EUlSP_E_NS1_11comp_targetILNS1_3genE8ELNS1_11target_archE1030ELNS1_3gpuE2ELNS1_3repE0EEENS1_30default_config_static_selectorELNS0_4arch9wavefront6targetE1EEEvT1_ ; -- Begin function _ZN7rocprim17ROCPRIM_400000_NS6detail17trampoline_kernelINS0_14default_configENS1_20scan_config_selectorIiEEZZNS1_9scan_implILNS1_25lookback_scan_determinismE0ELb0ELb1ES3_N6thrust23THRUST_200600_302600_NS6detail15normal_iteratorINS9_10device_ptrIiEEEESE_iNS9_4plusIiEEiEEDaPvRmT3_T4_T5_mT6_P12ihipStream_tbENKUlT_T0_E_clISt17integral_constantIbLb1EEST_IbLb0EEEEDaSP_SQ_EUlSP_E_NS1_11comp_targetILNS1_3genE8ELNS1_11target_archE1030ELNS1_3gpuE2ELNS1_3repE0EEENS1_30default_config_static_selectorELNS0_4arch9wavefront6targetE1EEEvT1_
	.globl	_ZN7rocprim17ROCPRIM_400000_NS6detail17trampoline_kernelINS0_14default_configENS1_20scan_config_selectorIiEEZZNS1_9scan_implILNS1_25lookback_scan_determinismE0ELb0ELb1ES3_N6thrust23THRUST_200600_302600_NS6detail15normal_iteratorINS9_10device_ptrIiEEEESE_iNS9_4plusIiEEiEEDaPvRmT3_T4_T5_mT6_P12ihipStream_tbENKUlT_T0_E_clISt17integral_constantIbLb1EEST_IbLb0EEEEDaSP_SQ_EUlSP_E_NS1_11comp_targetILNS1_3genE8ELNS1_11target_archE1030ELNS1_3gpuE2ELNS1_3repE0EEENS1_30default_config_static_selectorELNS0_4arch9wavefront6targetE1EEEvT1_
	.p2align	8
	.type	_ZN7rocprim17ROCPRIM_400000_NS6detail17trampoline_kernelINS0_14default_configENS1_20scan_config_selectorIiEEZZNS1_9scan_implILNS1_25lookback_scan_determinismE0ELb0ELb1ES3_N6thrust23THRUST_200600_302600_NS6detail15normal_iteratorINS9_10device_ptrIiEEEESE_iNS9_4plusIiEEiEEDaPvRmT3_T4_T5_mT6_P12ihipStream_tbENKUlT_T0_E_clISt17integral_constantIbLb1EEST_IbLb0EEEEDaSP_SQ_EUlSP_E_NS1_11comp_targetILNS1_3genE8ELNS1_11target_archE1030ELNS1_3gpuE2ELNS1_3repE0EEENS1_30default_config_static_selectorELNS0_4arch9wavefront6targetE1EEEvT1_,@function
_ZN7rocprim17ROCPRIM_400000_NS6detail17trampoline_kernelINS0_14default_configENS1_20scan_config_selectorIiEEZZNS1_9scan_implILNS1_25lookback_scan_determinismE0ELb0ELb1ES3_N6thrust23THRUST_200600_302600_NS6detail15normal_iteratorINS9_10device_ptrIiEEEESE_iNS9_4plusIiEEiEEDaPvRmT3_T4_T5_mT6_P12ihipStream_tbENKUlT_T0_E_clISt17integral_constantIbLb1EEST_IbLb0EEEEDaSP_SQ_EUlSP_E_NS1_11comp_targetILNS1_3genE8ELNS1_11target_archE1030ELNS1_3gpuE2ELNS1_3repE0EEENS1_30default_config_static_selectorELNS0_4arch9wavefront6targetE1EEEvT1_: ; @_ZN7rocprim17ROCPRIM_400000_NS6detail17trampoline_kernelINS0_14default_configENS1_20scan_config_selectorIiEEZZNS1_9scan_implILNS1_25lookback_scan_determinismE0ELb0ELb1ES3_N6thrust23THRUST_200600_302600_NS6detail15normal_iteratorINS9_10device_ptrIiEEEESE_iNS9_4plusIiEEiEEDaPvRmT3_T4_T5_mT6_P12ihipStream_tbENKUlT_T0_E_clISt17integral_constantIbLb1EEST_IbLb0EEEEDaSP_SQ_EUlSP_E_NS1_11comp_targetILNS1_3genE8ELNS1_11target_archE1030ELNS1_3gpuE2ELNS1_3repE0EEENS1_30default_config_static_selectorELNS0_4arch9wavefront6targetE1EEEvT1_
; %bb.0:
	.section	.rodata,"a",@progbits
	.p2align	6, 0x0
	.amdhsa_kernel _ZN7rocprim17ROCPRIM_400000_NS6detail17trampoline_kernelINS0_14default_configENS1_20scan_config_selectorIiEEZZNS1_9scan_implILNS1_25lookback_scan_determinismE0ELb0ELb1ES3_N6thrust23THRUST_200600_302600_NS6detail15normal_iteratorINS9_10device_ptrIiEEEESE_iNS9_4plusIiEEiEEDaPvRmT3_T4_T5_mT6_P12ihipStream_tbENKUlT_T0_E_clISt17integral_constantIbLb1EEST_IbLb0EEEEDaSP_SQ_EUlSP_E_NS1_11comp_targetILNS1_3genE8ELNS1_11target_archE1030ELNS1_3gpuE2ELNS1_3repE0EEENS1_30default_config_static_selectorELNS0_4arch9wavefront6targetE1EEEvT1_
		.amdhsa_group_segment_fixed_size 0
		.amdhsa_private_segment_fixed_size 0
		.amdhsa_kernarg_size 96
		.amdhsa_user_sgpr_count 6
		.amdhsa_user_sgpr_private_segment_buffer 1
		.amdhsa_user_sgpr_dispatch_ptr 0
		.amdhsa_user_sgpr_queue_ptr 0
		.amdhsa_user_sgpr_kernarg_segment_ptr 1
		.amdhsa_user_sgpr_dispatch_id 0
		.amdhsa_user_sgpr_flat_scratch_init 0
		.amdhsa_user_sgpr_kernarg_preload_length 0
		.amdhsa_user_sgpr_kernarg_preload_offset 0
		.amdhsa_user_sgpr_private_segment_size 0
		.amdhsa_uses_dynamic_stack 0
		.amdhsa_system_sgpr_private_segment_wavefront_offset 0
		.amdhsa_system_sgpr_workgroup_id_x 1
		.amdhsa_system_sgpr_workgroup_id_y 0
		.amdhsa_system_sgpr_workgroup_id_z 0
		.amdhsa_system_sgpr_workgroup_info 0
		.amdhsa_system_vgpr_workitem_id 0
		.amdhsa_next_free_vgpr 1
		.amdhsa_next_free_sgpr 0
		.amdhsa_accum_offset 4
		.amdhsa_reserve_vcc 0
		.amdhsa_reserve_flat_scratch 0
		.amdhsa_float_round_mode_32 0
		.amdhsa_float_round_mode_16_64 0
		.amdhsa_float_denorm_mode_32 3
		.amdhsa_float_denorm_mode_16_64 3
		.amdhsa_dx10_clamp 1
		.amdhsa_ieee_mode 1
		.amdhsa_fp16_overflow 0
		.amdhsa_tg_split 0
		.amdhsa_exception_fp_ieee_invalid_op 0
		.amdhsa_exception_fp_denorm_src 0
		.amdhsa_exception_fp_ieee_div_zero 0
		.amdhsa_exception_fp_ieee_overflow 0
		.amdhsa_exception_fp_ieee_underflow 0
		.amdhsa_exception_fp_ieee_inexact 0
		.amdhsa_exception_int_div_zero 0
	.end_amdhsa_kernel
	.section	.text._ZN7rocprim17ROCPRIM_400000_NS6detail17trampoline_kernelINS0_14default_configENS1_20scan_config_selectorIiEEZZNS1_9scan_implILNS1_25lookback_scan_determinismE0ELb0ELb1ES3_N6thrust23THRUST_200600_302600_NS6detail15normal_iteratorINS9_10device_ptrIiEEEESE_iNS9_4plusIiEEiEEDaPvRmT3_T4_T5_mT6_P12ihipStream_tbENKUlT_T0_E_clISt17integral_constantIbLb1EEST_IbLb0EEEEDaSP_SQ_EUlSP_E_NS1_11comp_targetILNS1_3genE8ELNS1_11target_archE1030ELNS1_3gpuE2ELNS1_3repE0EEENS1_30default_config_static_selectorELNS0_4arch9wavefront6targetE1EEEvT1_,"axG",@progbits,_ZN7rocprim17ROCPRIM_400000_NS6detail17trampoline_kernelINS0_14default_configENS1_20scan_config_selectorIiEEZZNS1_9scan_implILNS1_25lookback_scan_determinismE0ELb0ELb1ES3_N6thrust23THRUST_200600_302600_NS6detail15normal_iteratorINS9_10device_ptrIiEEEESE_iNS9_4plusIiEEiEEDaPvRmT3_T4_T5_mT6_P12ihipStream_tbENKUlT_T0_E_clISt17integral_constantIbLb1EEST_IbLb0EEEEDaSP_SQ_EUlSP_E_NS1_11comp_targetILNS1_3genE8ELNS1_11target_archE1030ELNS1_3gpuE2ELNS1_3repE0EEENS1_30default_config_static_selectorELNS0_4arch9wavefront6targetE1EEEvT1_,comdat
.Lfunc_end776:
	.size	_ZN7rocprim17ROCPRIM_400000_NS6detail17trampoline_kernelINS0_14default_configENS1_20scan_config_selectorIiEEZZNS1_9scan_implILNS1_25lookback_scan_determinismE0ELb0ELb1ES3_N6thrust23THRUST_200600_302600_NS6detail15normal_iteratorINS9_10device_ptrIiEEEESE_iNS9_4plusIiEEiEEDaPvRmT3_T4_T5_mT6_P12ihipStream_tbENKUlT_T0_E_clISt17integral_constantIbLb1EEST_IbLb0EEEEDaSP_SQ_EUlSP_E_NS1_11comp_targetILNS1_3genE8ELNS1_11target_archE1030ELNS1_3gpuE2ELNS1_3repE0EEENS1_30default_config_static_selectorELNS0_4arch9wavefront6targetE1EEEvT1_, .Lfunc_end776-_ZN7rocprim17ROCPRIM_400000_NS6detail17trampoline_kernelINS0_14default_configENS1_20scan_config_selectorIiEEZZNS1_9scan_implILNS1_25lookback_scan_determinismE0ELb0ELb1ES3_N6thrust23THRUST_200600_302600_NS6detail15normal_iteratorINS9_10device_ptrIiEEEESE_iNS9_4plusIiEEiEEDaPvRmT3_T4_T5_mT6_P12ihipStream_tbENKUlT_T0_E_clISt17integral_constantIbLb1EEST_IbLb0EEEEDaSP_SQ_EUlSP_E_NS1_11comp_targetILNS1_3genE8ELNS1_11target_archE1030ELNS1_3gpuE2ELNS1_3repE0EEENS1_30default_config_static_selectorELNS0_4arch9wavefront6targetE1EEEvT1_
                                        ; -- End function
	.section	.AMDGPU.csdata,"",@progbits
; Kernel info:
; codeLenInByte = 0
; NumSgprs: 4
; NumVgprs: 0
; NumAgprs: 0
; TotalNumVgprs: 0
; ScratchSize: 0
; MemoryBound: 0
; FloatMode: 240
; IeeeMode: 1
; LDSByteSize: 0 bytes/workgroup (compile time only)
; SGPRBlocks: 0
; VGPRBlocks: 0
; NumSGPRsForWavesPerEU: 4
; NumVGPRsForWavesPerEU: 1
; AccumOffset: 4
; Occupancy: 8
; WaveLimiterHint : 0
; COMPUTE_PGM_RSRC2:SCRATCH_EN: 0
; COMPUTE_PGM_RSRC2:USER_SGPR: 6
; COMPUTE_PGM_RSRC2:TRAP_HANDLER: 0
; COMPUTE_PGM_RSRC2:TGID_X_EN: 1
; COMPUTE_PGM_RSRC2:TGID_Y_EN: 0
; COMPUTE_PGM_RSRC2:TGID_Z_EN: 0
; COMPUTE_PGM_RSRC2:TIDIG_COMP_CNT: 0
; COMPUTE_PGM_RSRC3_GFX90A:ACCUM_OFFSET: 0
; COMPUTE_PGM_RSRC3_GFX90A:TG_SPLIT: 0
	.section	.text._ZN7rocprim17ROCPRIM_400000_NS6detail17trampoline_kernelINS0_14default_configENS1_20scan_config_selectorIiEEZZNS1_9scan_implILNS1_25lookback_scan_determinismE0ELb0ELb1ES3_N6thrust23THRUST_200600_302600_NS6detail15normal_iteratorINS9_10device_ptrIiEEEESE_iNS9_4plusIiEEiEEDaPvRmT3_T4_T5_mT6_P12ihipStream_tbENKUlT_T0_E_clISt17integral_constantIbLb1EEST_IbLb0EEEEDaSP_SQ_EUlSP_E0_NS1_11comp_targetILNS1_3genE0ELNS1_11target_archE4294967295ELNS1_3gpuE0ELNS1_3repE0EEENS1_30default_config_static_selectorELNS0_4arch9wavefront6targetE1EEEvT1_,"axG",@progbits,_ZN7rocprim17ROCPRIM_400000_NS6detail17trampoline_kernelINS0_14default_configENS1_20scan_config_selectorIiEEZZNS1_9scan_implILNS1_25lookback_scan_determinismE0ELb0ELb1ES3_N6thrust23THRUST_200600_302600_NS6detail15normal_iteratorINS9_10device_ptrIiEEEESE_iNS9_4plusIiEEiEEDaPvRmT3_T4_T5_mT6_P12ihipStream_tbENKUlT_T0_E_clISt17integral_constantIbLb1EEST_IbLb0EEEEDaSP_SQ_EUlSP_E0_NS1_11comp_targetILNS1_3genE0ELNS1_11target_archE4294967295ELNS1_3gpuE0ELNS1_3repE0EEENS1_30default_config_static_selectorELNS0_4arch9wavefront6targetE1EEEvT1_,comdat
	.protected	_ZN7rocprim17ROCPRIM_400000_NS6detail17trampoline_kernelINS0_14default_configENS1_20scan_config_selectorIiEEZZNS1_9scan_implILNS1_25lookback_scan_determinismE0ELb0ELb1ES3_N6thrust23THRUST_200600_302600_NS6detail15normal_iteratorINS9_10device_ptrIiEEEESE_iNS9_4plusIiEEiEEDaPvRmT3_T4_T5_mT6_P12ihipStream_tbENKUlT_T0_E_clISt17integral_constantIbLb1EEST_IbLb0EEEEDaSP_SQ_EUlSP_E0_NS1_11comp_targetILNS1_3genE0ELNS1_11target_archE4294967295ELNS1_3gpuE0ELNS1_3repE0EEENS1_30default_config_static_selectorELNS0_4arch9wavefront6targetE1EEEvT1_ ; -- Begin function _ZN7rocprim17ROCPRIM_400000_NS6detail17trampoline_kernelINS0_14default_configENS1_20scan_config_selectorIiEEZZNS1_9scan_implILNS1_25lookback_scan_determinismE0ELb0ELb1ES3_N6thrust23THRUST_200600_302600_NS6detail15normal_iteratorINS9_10device_ptrIiEEEESE_iNS9_4plusIiEEiEEDaPvRmT3_T4_T5_mT6_P12ihipStream_tbENKUlT_T0_E_clISt17integral_constantIbLb1EEST_IbLb0EEEEDaSP_SQ_EUlSP_E0_NS1_11comp_targetILNS1_3genE0ELNS1_11target_archE4294967295ELNS1_3gpuE0ELNS1_3repE0EEENS1_30default_config_static_selectorELNS0_4arch9wavefront6targetE1EEEvT1_
	.globl	_ZN7rocprim17ROCPRIM_400000_NS6detail17trampoline_kernelINS0_14default_configENS1_20scan_config_selectorIiEEZZNS1_9scan_implILNS1_25lookback_scan_determinismE0ELb0ELb1ES3_N6thrust23THRUST_200600_302600_NS6detail15normal_iteratorINS9_10device_ptrIiEEEESE_iNS9_4plusIiEEiEEDaPvRmT3_T4_T5_mT6_P12ihipStream_tbENKUlT_T0_E_clISt17integral_constantIbLb1EEST_IbLb0EEEEDaSP_SQ_EUlSP_E0_NS1_11comp_targetILNS1_3genE0ELNS1_11target_archE4294967295ELNS1_3gpuE0ELNS1_3repE0EEENS1_30default_config_static_selectorELNS0_4arch9wavefront6targetE1EEEvT1_
	.p2align	8
	.type	_ZN7rocprim17ROCPRIM_400000_NS6detail17trampoline_kernelINS0_14default_configENS1_20scan_config_selectorIiEEZZNS1_9scan_implILNS1_25lookback_scan_determinismE0ELb0ELb1ES3_N6thrust23THRUST_200600_302600_NS6detail15normal_iteratorINS9_10device_ptrIiEEEESE_iNS9_4plusIiEEiEEDaPvRmT3_T4_T5_mT6_P12ihipStream_tbENKUlT_T0_E_clISt17integral_constantIbLb1EEST_IbLb0EEEEDaSP_SQ_EUlSP_E0_NS1_11comp_targetILNS1_3genE0ELNS1_11target_archE4294967295ELNS1_3gpuE0ELNS1_3repE0EEENS1_30default_config_static_selectorELNS0_4arch9wavefront6targetE1EEEvT1_,@function
_ZN7rocprim17ROCPRIM_400000_NS6detail17trampoline_kernelINS0_14default_configENS1_20scan_config_selectorIiEEZZNS1_9scan_implILNS1_25lookback_scan_determinismE0ELb0ELb1ES3_N6thrust23THRUST_200600_302600_NS6detail15normal_iteratorINS9_10device_ptrIiEEEESE_iNS9_4plusIiEEiEEDaPvRmT3_T4_T5_mT6_P12ihipStream_tbENKUlT_T0_E_clISt17integral_constantIbLb1EEST_IbLb0EEEEDaSP_SQ_EUlSP_E0_NS1_11comp_targetILNS1_3genE0ELNS1_11target_archE4294967295ELNS1_3gpuE0ELNS1_3repE0EEENS1_30default_config_static_selectorELNS0_4arch9wavefront6targetE1EEEvT1_: ; @_ZN7rocprim17ROCPRIM_400000_NS6detail17trampoline_kernelINS0_14default_configENS1_20scan_config_selectorIiEEZZNS1_9scan_implILNS1_25lookback_scan_determinismE0ELb0ELb1ES3_N6thrust23THRUST_200600_302600_NS6detail15normal_iteratorINS9_10device_ptrIiEEEESE_iNS9_4plusIiEEiEEDaPvRmT3_T4_T5_mT6_P12ihipStream_tbENKUlT_T0_E_clISt17integral_constantIbLb1EEST_IbLb0EEEEDaSP_SQ_EUlSP_E0_NS1_11comp_targetILNS1_3genE0ELNS1_11target_archE4294967295ELNS1_3gpuE0ELNS1_3repE0EEENS1_30default_config_static_selectorELNS0_4arch9wavefront6targetE1EEEvT1_
; %bb.0:
	.section	.rodata,"a",@progbits
	.p2align	6, 0x0
	.amdhsa_kernel _ZN7rocprim17ROCPRIM_400000_NS6detail17trampoline_kernelINS0_14default_configENS1_20scan_config_selectorIiEEZZNS1_9scan_implILNS1_25lookback_scan_determinismE0ELb0ELb1ES3_N6thrust23THRUST_200600_302600_NS6detail15normal_iteratorINS9_10device_ptrIiEEEESE_iNS9_4plusIiEEiEEDaPvRmT3_T4_T5_mT6_P12ihipStream_tbENKUlT_T0_E_clISt17integral_constantIbLb1EEST_IbLb0EEEEDaSP_SQ_EUlSP_E0_NS1_11comp_targetILNS1_3genE0ELNS1_11target_archE4294967295ELNS1_3gpuE0ELNS1_3repE0EEENS1_30default_config_static_selectorELNS0_4arch9wavefront6targetE1EEEvT1_
		.amdhsa_group_segment_fixed_size 0
		.amdhsa_private_segment_fixed_size 0
		.amdhsa_kernarg_size 32
		.amdhsa_user_sgpr_count 6
		.amdhsa_user_sgpr_private_segment_buffer 1
		.amdhsa_user_sgpr_dispatch_ptr 0
		.amdhsa_user_sgpr_queue_ptr 0
		.amdhsa_user_sgpr_kernarg_segment_ptr 1
		.amdhsa_user_sgpr_dispatch_id 0
		.amdhsa_user_sgpr_flat_scratch_init 0
		.amdhsa_user_sgpr_kernarg_preload_length 0
		.amdhsa_user_sgpr_kernarg_preload_offset 0
		.amdhsa_user_sgpr_private_segment_size 0
		.amdhsa_uses_dynamic_stack 0
		.amdhsa_system_sgpr_private_segment_wavefront_offset 0
		.amdhsa_system_sgpr_workgroup_id_x 1
		.amdhsa_system_sgpr_workgroup_id_y 0
		.amdhsa_system_sgpr_workgroup_id_z 0
		.amdhsa_system_sgpr_workgroup_info 0
		.amdhsa_system_vgpr_workitem_id 0
		.amdhsa_next_free_vgpr 1
		.amdhsa_next_free_sgpr 0
		.amdhsa_accum_offset 4
		.amdhsa_reserve_vcc 0
		.amdhsa_reserve_flat_scratch 0
		.amdhsa_float_round_mode_32 0
		.amdhsa_float_round_mode_16_64 0
		.amdhsa_float_denorm_mode_32 3
		.amdhsa_float_denorm_mode_16_64 3
		.amdhsa_dx10_clamp 1
		.amdhsa_ieee_mode 1
		.amdhsa_fp16_overflow 0
		.amdhsa_tg_split 0
		.amdhsa_exception_fp_ieee_invalid_op 0
		.amdhsa_exception_fp_denorm_src 0
		.amdhsa_exception_fp_ieee_div_zero 0
		.amdhsa_exception_fp_ieee_overflow 0
		.amdhsa_exception_fp_ieee_underflow 0
		.amdhsa_exception_fp_ieee_inexact 0
		.amdhsa_exception_int_div_zero 0
	.end_amdhsa_kernel
	.section	.text._ZN7rocprim17ROCPRIM_400000_NS6detail17trampoline_kernelINS0_14default_configENS1_20scan_config_selectorIiEEZZNS1_9scan_implILNS1_25lookback_scan_determinismE0ELb0ELb1ES3_N6thrust23THRUST_200600_302600_NS6detail15normal_iteratorINS9_10device_ptrIiEEEESE_iNS9_4plusIiEEiEEDaPvRmT3_T4_T5_mT6_P12ihipStream_tbENKUlT_T0_E_clISt17integral_constantIbLb1EEST_IbLb0EEEEDaSP_SQ_EUlSP_E0_NS1_11comp_targetILNS1_3genE0ELNS1_11target_archE4294967295ELNS1_3gpuE0ELNS1_3repE0EEENS1_30default_config_static_selectorELNS0_4arch9wavefront6targetE1EEEvT1_,"axG",@progbits,_ZN7rocprim17ROCPRIM_400000_NS6detail17trampoline_kernelINS0_14default_configENS1_20scan_config_selectorIiEEZZNS1_9scan_implILNS1_25lookback_scan_determinismE0ELb0ELb1ES3_N6thrust23THRUST_200600_302600_NS6detail15normal_iteratorINS9_10device_ptrIiEEEESE_iNS9_4plusIiEEiEEDaPvRmT3_T4_T5_mT6_P12ihipStream_tbENKUlT_T0_E_clISt17integral_constantIbLb1EEST_IbLb0EEEEDaSP_SQ_EUlSP_E0_NS1_11comp_targetILNS1_3genE0ELNS1_11target_archE4294967295ELNS1_3gpuE0ELNS1_3repE0EEENS1_30default_config_static_selectorELNS0_4arch9wavefront6targetE1EEEvT1_,comdat
.Lfunc_end777:
	.size	_ZN7rocprim17ROCPRIM_400000_NS6detail17trampoline_kernelINS0_14default_configENS1_20scan_config_selectorIiEEZZNS1_9scan_implILNS1_25lookback_scan_determinismE0ELb0ELb1ES3_N6thrust23THRUST_200600_302600_NS6detail15normal_iteratorINS9_10device_ptrIiEEEESE_iNS9_4plusIiEEiEEDaPvRmT3_T4_T5_mT6_P12ihipStream_tbENKUlT_T0_E_clISt17integral_constantIbLb1EEST_IbLb0EEEEDaSP_SQ_EUlSP_E0_NS1_11comp_targetILNS1_3genE0ELNS1_11target_archE4294967295ELNS1_3gpuE0ELNS1_3repE0EEENS1_30default_config_static_selectorELNS0_4arch9wavefront6targetE1EEEvT1_, .Lfunc_end777-_ZN7rocprim17ROCPRIM_400000_NS6detail17trampoline_kernelINS0_14default_configENS1_20scan_config_selectorIiEEZZNS1_9scan_implILNS1_25lookback_scan_determinismE0ELb0ELb1ES3_N6thrust23THRUST_200600_302600_NS6detail15normal_iteratorINS9_10device_ptrIiEEEESE_iNS9_4plusIiEEiEEDaPvRmT3_T4_T5_mT6_P12ihipStream_tbENKUlT_T0_E_clISt17integral_constantIbLb1EEST_IbLb0EEEEDaSP_SQ_EUlSP_E0_NS1_11comp_targetILNS1_3genE0ELNS1_11target_archE4294967295ELNS1_3gpuE0ELNS1_3repE0EEENS1_30default_config_static_selectorELNS0_4arch9wavefront6targetE1EEEvT1_
                                        ; -- End function
	.section	.AMDGPU.csdata,"",@progbits
; Kernel info:
; codeLenInByte = 0
; NumSgprs: 4
; NumVgprs: 0
; NumAgprs: 0
; TotalNumVgprs: 0
; ScratchSize: 0
; MemoryBound: 0
; FloatMode: 240
; IeeeMode: 1
; LDSByteSize: 0 bytes/workgroup (compile time only)
; SGPRBlocks: 0
; VGPRBlocks: 0
; NumSGPRsForWavesPerEU: 4
; NumVGPRsForWavesPerEU: 1
; AccumOffset: 4
; Occupancy: 8
; WaveLimiterHint : 0
; COMPUTE_PGM_RSRC2:SCRATCH_EN: 0
; COMPUTE_PGM_RSRC2:USER_SGPR: 6
; COMPUTE_PGM_RSRC2:TRAP_HANDLER: 0
; COMPUTE_PGM_RSRC2:TGID_X_EN: 1
; COMPUTE_PGM_RSRC2:TGID_Y_EN: 0
; COMPUTE_PGM_RSRC2:TGID_Z_EN: 0
; COMPUTE_PGM_RSRC2:TIDIG_COMP_CNT: 0
; COMPUTE_PGM_RSRC3_GFX90A:ACCUM_OFFSET: 0
; COMPUTE_PGM_RSRC3_GFX90A:TG_SPLIT: 0
	.section	.text._ZN7rocprim17ROCPRIM_400000_NS6detail17trampoline_kernelINS0_14default_configENS1_20scan_config_selectorIiEEZZNS1_9scan_implILNS1_25lookback_scan_determinismE0ELb0ELb1ES3_N6thrust23THRUST_200600_302600_NS6detail15normal_iteratorINS9_10device_ptrIiEEEESE_iNS9_4plusIiEEiEEDaPvRmT3_T4_T5_mT6_P12ihipStream_tbENKUlT_T0_E_clISt17integral_constantIbLb1EEST_IbLb0EEEEDaSP_SQ_EUlSP_E0_NS1_11comp_targetILNS1_3genE5ELNS1_11target_archE942ELNS1_3gpuE9ELNS1_3repE0EEENS1_30default_config_static_selectorELNS0_4arch9wavefront6targetE1EEEvT1_,"axG",@progbits,_ZN7rocprim17ROCPRIM_400000_NS6detail17trampoline_kernelINS0_14default_configENS1_20scan_config_selectorIiEEZZNS1_9scan_implILNS1_25lookback_scan_determinismE0ELb0ELb1ES3_N6thrust23THRUST_200600_302600_NS6detail15normal_iteratorINS9_10device_ptrIiEEEESE_iNS9_4plusIiEEiEEDaPvRmT3_T4_T5_mT6_P12ihipStream_tbENKUlT_T0_E_clISt17integral_constantIbLb1EEST_IbLb0EEEEDaSP_SQ_EUlSP_E0_NS1_11comp_targetILNS1_3genE5ELNS1_11target_archE942ELNS1_3gpuE9ELNS1_3repE0EEENS1_30default_config_static_selectorELNS0_4arch9wavefront6targetE1EEEvT1_,comdat
	.protected	_ZN7rocprim17ROCPRIM_400000_NS6detail17trampoline_kernelINS0_14default_configENS1_20scan_config_selectorIiEEZZNS1_9scan_implILNS1_25lookback_scan_determinismE0ELb0ELb1ES3_N6thrust23THRUST_200600_302600_NS6detail15normal_iteratorINS9_10device_ptrIiEEEESE_iNS9_4plusIiEEiEEDaPvRmT3_T4_T5_mT6_P12ihipStream_tbENKUlT_T0_E_clISt17integral_constantIbLb1EEST_IbLb0EEEEDaSP_SQ_EUlSP_E0_NS1_11comp_targetILNS1_3genE5ELNS1_11target_archE942ELNS1_3gpuE9ELNS1_3repE0EEENS1_30default_config_static_selectorELNS0_4arch9wavefront6targetE1EEEvT1_ ; -- Begin function _ZN7rocprim17ROCPRIM_400000_NS6detail17trampoline_kernelINS0_14default_configENS1_20scan_config_selectorIiEEZZNS1_9scan_implILNS1_25lookback_scan_determinismE0ELb0ELb1ES3_N6thrust23THRUST_200600_302600_NS6detail15normal_iteratorINS9_10device_ptrIiEEEESE_iNS9_4plusIiEEiEEDaPvRmT3_T4_T5_mT6_P12ihipStream_tbENKUlT_T0_E_clISt17integral_constantIbLb1EEST_IbLb0EEEEDaSP_SQ_EUlSP_E0_NS1_11comp_targetILNS1_3genE5ELNS1_11target_archE942ELNS1_3gpuE9ELNS1_3repE0EEENS1_30default_config_static_selectorELNS0_4arch9wavefront6targetE1EEEvT1_
	.globl	_ZN7rocprim17ROCPRIM_400000_NS6detail17trampoline_kernelINS0_14default_configENS1_20scan_config_selectorIiEEZZNS1_9scan_implILNS1_25lookback_scan_determinismE0ELb0ELb1ES3_N6thrust23THRUST_200600_302600_NS6detail15normal_iteratorINS9_10device_ptrIiEEEESE_iNS9_4plusIiEEiEEDaPvRmT3_T4_T5_mT6_P12ihipStream_tbENKUlT_T0_E_clISt17integral_constantIbLb1EEST_IbLb0EEEEDaSP_SQ_EUlSP_E0_NS1_11comp_targetILNS1_3genE5ELNS1_11target_archE942ELNS1_3gpuE9ELNS1_3repE0EEENS1_30default_config_static_selectorELNS0_4arch9wavefront6targetE1EEEvT1_
	.p2align	8
	.type	_ZN7rocprim17ROCPRIM_400000_NS6detail17trampoline_kernelINS0_14default_configENS1_20scan_config_selectorIiEEZZNS1_9scan_implILNS1_25lookback_scan_determinismE0ELb0ELb1ES3_N6thrust23THRUST_200600_302600_NS6detail15normal_iteratorINS9_10device_ptrIiEEEESE_iNS9_4plusIiEEiEEDaPvRmT3_T4_T5_mT6_P12ihipStream_tbENKUlT_T0_E_clISt17integral_constantIbLb1EEST_IbLb0EEEEDaSP_SQ_EUlSP_E0_NS1_11comp_targetILNS1_3genE5ELNS1_11target_archE942ELNS1_3gpuE9ELNS1_3repE0EEENS1_30default_config_static_selectorELNS0_4arch9wavefront6targetE1EEEvT1_,@function
_ZN7rocprim17ROCPRIM_400000_NS6detail17trampoline_kernelINS0_14default_configENS1_20scan_config_selectorIiEEZZNS1_9scan_implILNS1_25lookback_scan_determinismE0ELb0ELb1ES3_N6thrust23THRUST_200600_302600_NS6detail15normal_iteratorINS9_10device_ptrIiEEEESE_iNS9_4plusIiEEiEEDaPvRmT3_T4_T5_mT6_P12ihipStream_tbENKUlT_T0_E_clISt17integral_constantIbLb1EEST_IbLb0EEEEDaSP_SQ_EUlSP_E0_NS1_11comp_targetILNS1_3genE5ELNS1_11target_archE942ELNS1_3gpuE9ELNS1_3repE0EEENS1_30default_config_static_selectorELNS0_4arch9wavefront6targetE1EEEvT1_: ; @_ZN7rocprim17ROCPRIM_400000_NS6detail17trampoline_kernelINS0_14default_configENS1_20scan_config_selectorIiEEZZNS1_9scan_implILNS1_25lookback_scan_determinismE0ELb0ELb1ES3_N6thrust23THRUST_200600_302600_NS6detail15normal_iteratorINS9_10device_ptrIiEEEESE_iNS9_4plusIiEEiEEDaPvRmT3_T4_T5_mT6_P12ihipStream_tbENKUlT_T0_E_clISt17integral_constantIbLb1EEST_IbLb0EEEEDaSP_SQ_EUlSP_E0_NS1_11comp_targetILNS1_3genE5ELNS1_11target_archE942ELNS1_3gpuE9ELNS1_3repE0EEENS1_30default_config_static_selectorELNS0_4arch9wavefront6targetE1EEEvT1_
; %bb.0:
	.section	.rodata,"a",@progbits
	.p2align	6, 0x0
	.amdhsa_kernel _ZN7rocprim17ROCPRIM_400000_NS6detail17trampoline_kernelINS0_14default_configENS1_20scan_config_selectorIiEEZZNS1_9scan_implILNS1_25lookback_scan_determinismE0ELb0ELb1ES3_N6thrust23THRUST_200600_302600_NS6detail15normal_iteratorINS9_10device_ptrIiEEEESE_iNS9_4plusIiEEiEEDaPvRmT3_T4_T5_mT6_P12ihipStream_tbENKUlT_T0_E_clISt17integral_constantIbLb1EEST_IbLb0EEEEDaSP_SQ_EUlSP_E0_NS1_11comp_targetILNS1_3genE5ELNS1_11target_archE942ELNS1_3gpuE9ELNS1_3repE0EEENS1_30default_config_static_selectorELNS0_4arch9wavefront6targetE1EEEvT1_
		.amdhsa_group_segment_fixed_size 0
		.amdhsa_private_segment_fixed_size 0
		.amdhsa_kernarg_size 32
		.amdhsa_user_sgpr_count 6
		.amdhsa_user_sgpr_private_segment_buffer 1
		.amdhsa_user_sgpr_dispatch_ptr 0
		.amdhsa_user_sgpr_queue_ptr 0
		.amdhsa_user_sgpr_kernarg_segment_ptr 1
		.amdhsa_user_sgpr_dispatch_id 0
		.amdhsa_user_sgpr_flat_scratch_init 0
		.amdhsa_user_sgpr_kernarg_preload_length 0
		.amdhsa_user_sgpr_kernarg_preload_offset 0
		.amdhsa_user_sgpr_private_segment_size 0
		.amdhsa_uses_dynamic_stack 0
		.amdhsa_system_sgpr_private_segment_wavefront_offset 0
		.amdhsa_system_sgpr_workgroup_id_x 1
		.amdhsa_system_sgpr_workgroup_id_y 0
		.amdhsa_system_sgpr_workgroup_id_z 0
		.amdhsa_system_sgpr_workgroup_info 0
		.amdhsa_system_vgpr_workitem_id 0
		.amdhsa_next_free_vgpr 1
		.amdhsa_next_free_sgpr 0
		.amdhsa_accum_offset 4
		.amdhsa_reserve_vcc 0
		.amdhsa_reserve_flat_scratch 0
		.amdhsa_float_round_mode_32 0
		.amdhsa_float_round_mode_16_64 0
		.amdhsa_float_denorm_mode_32 3
		.amdhsa_float_denorm_mode_16_64 3
		.amdhsa_dx10_clamp 1
		.amdhsa_ieee_mode 1
		.amdhsa_fp16_overflow 0
		.amdhsa_tg_split 0
		.amdhsa_exception_fp_ieee_invalid_op 0
		.amdhsa_exception_fp_denorm_src 0
		.amdhsa_exception_fp_ieee_div_zero 0
		.amdhsa_exception_fp_ieee_overflow 0
		.amdhsa_exception_fp_ieee_underflow 0
		.amdhsa_exception_fp_ieee_inexact 0
		.amdhsa_exception_int_div_zero 0
	.end_amdhsa_kernel
	.section	.text._ZN7rocprim17ROCPRIM_400000_NS6detail17trampoline_kernelINS0_14default_configENS1_20scan_config_selectorIiEEZZNS1_9scan_implILNS1_25lookback_scan_determinismE0ELb0ELb1ES3_N6thrust23THRUST_200600_302600_NS6detail15normal_iteratorINS9_10device_ptrIiEEEESE_iNS9_4plusIiEEiEEDaPvRmT3_T4_T5_mT6_P12ihipStream_tbENKUlT_T0_E_clISt17integral_constantIbLb1EEST_IbLb0EEEEDaSP_SQ_EUlSP_E0_NS1_11comp_targetILNS1_3genE5ELNS1_11target_archE942ELNS1_3gpuE9ELNS1_3repE0EEENS1_30default_config_static_selectorELNS0_4arch9wavefront6targetE1EEEvT1_,"axG",@progbits,_ZN7rocprim17ROCPRIM_400000_NS6detail17trampoline_kernelINS0_14default_configENS1_20scan_config_selectorIiEEZZNS1_9scan_implILNS1_25lookback_scan_determinismE0ELb0ELb1ES3_N6thrust23THRUST_200600_302600_NS6detail15normal_iteratorINS9_10device_ptrIiEEEESE_iNS9_4plusIiEEiEEDaPvRmT3_T4_T5_mT6_P12ihipStream_tbENKUlT_T0_E_clISt17integral_constantIbLb1EEST_IbLb0EEEEDaSP_SQ_EUlSP_E0_NS1_11comp_targetILNS1_3genE5ELNS1_11target_archE942ELNS1_3gpuE9ELNS1_3repE0EEENS1_30default_config_static_selectorELNS0_4arch9wavefront6targetE1EEEvT1_,comdat
.Lfunc_end778:
	.size	_ZN7rocprim17ROCPRIM_400000_NS6detail17trampoline_kernelINS0_14default_configENS1_20scan_config_selectorIiEEZZNS1_9scan_implILNS1_25lookback_scan_determinismE0ELb0ELb1ES3_N6thrust23THRUST_200600_302600_NS6detail15normal_iteratorINS9_10device_ptrIiEEEESE_iNS9_4plusIiEEiEEDaPvRmT3_T4_T5_mT6_P12ihipStream_tbENKUlT_T0_E_clISt17integral_constantIbLb1EEST_IbLb0EEEEDaSP_SQ_EUlSP_E0_NS1_11comp_targetILNS1_3genE5ELNS1_11target_archE942ELNS1_3gpuE9ELNS1_3repE0EEENS1_30default_config_static_selectorELNS0_4arch9wavefront6targetE1EEEvT1_, .Lfunc_end778-_ZN7rocprim17ROCPRIM_400000_NS6detail17trampoline_kernelINS0_14default_configENS1_20scan_config_selectorIiEEZZNS1_9scan_implILNS1_25lookback_scan_determinismE0ELb0ELb1ES3_N6thrust23THRUST_200600_302600_NS6detail15normal_iteratorINS9_10device_ptrIiEEEESE_iNS9_4plusIiEEiEEDaPvRmT3_T4_T5_mT6_P12ihipStream_tbENKUlT_T0_E_clISt17integral_constantIbLb1EEST_IbLb0EEEEDaSP_SQ_EUlSP_E0_NS1_11comp_targetILNS1_3genE5ELNS1_11target_archE942ELNS1_3gpuE9ELNS1_3repE0EEENS1_30default_config_static_selectorELNS0_4arch9wavefront6targetE1EEEvT1_
                                        ; -- End function
	.section	.AMDGPU.csdata,"",@progbits
; Kernel info:
; codeLenInByte = 0
; NumSgprs: 4
; NumVgprs: 0
; NumAgprs: 0
; TotalNumVgprs: 0
; ScratchSize: 0
; MemoryBound: 0
; FloatMode: 240
; IeeeMode: 1
; LDSByteSize: 0 bytes/workgroup (compile time only)
; SGPRBlocks: 0
; VGPRBlocks: 0
; NumSGPRsForWavesPerEU: 4
; NumVGPRsForWavesPerEU: 1
; AccumOffset: 4
; Occupancy: 8
; WaveLimiterHint : 0
; COMPUTE_PGM_RSRC2:SCRATCH_EN: 0
; COMPUTE_PGM_RSRC2:USER_SGPR: 6
; COMPUTE_PGM_RSRC2:TRAP_HANDLER: 0
; COMPUTE_PGM_RSRC2:TGID_X_EN: 1
; COMPUTE_PGM_RSRC2:TGID_Y_EN: 0
; COMPUTE_PGM_RSRC2:TGID_Z_EN: 0
; COMPUTE_PGM_RSRC2:TIDIG_COMP_CNT: 0
; COMPUTE_PGM_RSRC3_GFX90A:ACCUM_OFFSET: 0
; COMPUTE_PGM_RSRC3_GFX90A:TG_SPLIT: 0
	.section	.text._ZN7rocprim17ROCPRIM_400000_NS6detail17trampoline_kernelINS0_14default_configENS1_20scan_config_selectorIiEEZZNS1_9scan_implILNS1_25lookback_scan_determinismE0ELb0ELb1ES3_N6thrust23THRUST_200600_302600_NS6detail15normal_iteratorINS9_10device_ptrIiEEEESE_iNS9_4plusIiEEiEEDaPvRmT3_T4_T5_mT6_P12ihipStream_tbENKUlT_T0_E_clISt17integral_constantIbLb1EEST_IbLb0EEEEDaSP_SQ_EUlSP_E0_NS1_11comp_targetILNS1_3genE4ELNS1_11target_archE910ELNS1_3gpuE8ELNS1_3repE0EEENS1_30default_config_static_selectorELNS0_4arch9wavefront6targetE1EEEvT1_,"axG",@progbits,_ZN7rocprim17ROCPRIM_400000_NS6detail17trampoline_kernelINS0_14default_configENS1_20scan_config_selectorIiEEZZNS1_9scan_implILNS1_25lookback_scan_determinismE0ELb0ELb1ES3_N6thrust23THRUST_200600_302600_NS6detail15normal_iteratorINS9_10device_ptrIiEEEESE_iNS9_4plusIiEEiEEDaPvRmT3_T4_T5_mT6_P12ihipStream_tbENKUlT_T0_E_clISt17integral_constantIbLb1EEST_IbLb0EEEEDaSP_SQ_EUlSP_E0_NS1_11comp_targetILNS1_3genE4ELNS1_11target_archE910ELNS1_3gpuE8ELNS1_3repE0EEENS1_30default_config_static_selectorELNS0_4arch9wavefront6targetE1EEEvT1_,comdat
	.protected	_ZN7rocprim17ROCPRIM_400000_NS6detail17trampoline_kernelINS0_14default_configENS1_20scan_config_selectorIiEEZZNS1_9scan_implILNS1_25lookback_scan_determinismE0ELb0ELb1ES3_N6thrust23THRUST_200600_302600_NS6detail15normal_iteratorINS9_10device_ptrIiEEEESE_iNS9_4plusIiEEiEEDaPvRmT3_T4_T5_mT6_P12ihipStream_tbENKUlT_T0_E_clISt17integral_constantIbLb1EEST_IbLb0EEEEDaSP_SQ_EUlSP_E0_NS1_11comp_targetILNS1_3genE4ELNS1_11target_archE910ELNS1_3gpuE8ELNS1_3repE0EEENS1_30default_config_static_selectorELNS0_4arch9wavefront6targetE1EEEvT1_ ; -- Begin function _ZN7rocprim17ROCPRIM_400000_NS6detail17trampoline_kernelINS0_14default_configENS1_20scan_config_selectorIiEEZZNS1_9scan_implILNS1_25lookback_scan_determinismE0ELb0ELb1ES3_N6thrust23THRUST_200600_302600_NS6detail15normal_iteratorINS9_10device_ptrIiEEEESE_iNS9_4plusIiEEiEEDaPvRmT3_T4_T5_mT6_P12ihipStream_tbENKUlT_T0_E_clISt17integral_constantIbLb1EEST_IbLb0EEEEDaSP_SQ_EUlSP_E0_NS1_11comp_targetILNS1_3genE4ELNS1_11target_archE910ELNS1_3gpuE8ELNS1_3repE0EEENS1_30default_config_static_selectorELNS0_4arch9wavefront6targetE1EEEvT1_
	.globl	_ZN7rocprim17ROCPRIM_400000_NS6detail17trampoline_kernelINS0_14default_configENS1_20scan_config_selectorIiEEZZNS1_9scan_implILNS1_25lookback_scan_determinismE0ELb0ELb1ES3_N6thrust23THRUST_200600_302600_NS6detail15normal_iteratorINS9_10device_ptrIiEEEESE_iNS9_4plusIiEEiEEDaPvRmT3_T4_T5_mT6_P12ihipStream_tbENKUlT_T0_E_clISt17integral_constantIbLb1EEST_IbLb0EEEEDaSP_SQ_EUlSP_E0_NS1_11comp_targetILNS1_3genE4ELNS1_11target_archE910ELNS1_3gpuE8ELNS1_3repE0EEENS1_30default_config_static_selectorELNS0_4arch9wavefront6targetE1EEEvT1_
	.p2align	8
	.type	_ZN7rocprim17ROCPRIM_400000_NS6detail17trampoline_kernelINS0_14default_configENS1_20scan_config_selectorIiEEZZNS1_9scan_implILNS1_25lookback_scan_determinismE0ELb0ELb1ES3_N6thrust23THRUST_200600_302600_NS6detail15normal_iteratorINS9_10device_ptrIiEEEESE_iNS9_4plusIiEEiEEDaPvRmT3_T4_T5_mT6_P12ihipStream_tbENKUlT_T0_E_clISt17integral_constantIbLb1EEST_IbLb0EEEEDaSP_SQ_EUlSP_E0_NS1_11comp_targetILNS1_3genE4ELNS1_11target_archE910ELNS1_3gpuE8ELNS1_3repE0EEENS1_30default_config_static_selectorELNS0_4arch9wavefront6targetE1EEEvT1_,@function
_ZN7rocprim17ROCPRIM_400000_NS6detail17trampoline_kernelINS0_14default_configENS1_20scan_config_selectorIiEEZZNS1_9scan_implILNS1_25lookback_scan_determinismE0ELb0ELb1ES3_N6thrust23THRUST_200600_302600_NS6detail15normal_iteratorINS9_10device_ptrIiEEEESE_iNS9_4plusIiEEiEEDaPvRmT3_T4_T5_mT6_P12ihipStream_tbENKUlT_T0_E_clISt17integral_constantIbLb1EEST_IbLb0EEEEDaSP_SQ_EUlSP_E0_NS1_11comp_targetILNS1_3genE4ELNS1_11target_archE910ELNS1_3gpuE8ELNS1_3repE0EEENS1_30default_config_static_selectorELNS0_4arch9wavefront6targetE1EEEvT1_: ; @_ZN7rocprim17ROCPRIM_400000_NS6detail17trampoline_kernelINS0_14default_configENS1_20scan_config_selectorIiEEZZNS1_9scan_implILNS1_25lookback_scan_determinismE0ELb0ELb1ES3_N6thrust23THRUST_200600_302600_NS6detail15normal_iteratorINS9_10device_ptrIiEEEESE_iNS9_4plusIiEEiEEDaPvRmT3_T4_T5_mT6_P12ihipStream_tbENKUlT_T0_E_clISt17integral_constantIbLb1EEST_IbLb0EEEEDaSP_SQ_EUlSP_E0_NS1_11comp_targetILNS1_3genE4ELNS1_11target_archE910ELNS1_3gpuE8ELNS1_3repE0EEENS1_30default_config_static_selectorELNS0_4arch9wavefront6targetE1EEEvT1_
; %bb.0:
	s_load_dwordx4 s[20:23], s[4:5], 0x0
	v_lshlrev_b32_e32 v18, 2, v0
	s_waitcnt lgkmcnt(0)
	s_load_dword s23, s[20:21], 0x0
	v_cmp_gt_u32_e32 vcc, s22, v0
	s_waitcnt lgkmcnt(0)
	v_mov_b32_e32 v1, s23
	s_and_saveexec_b64 s[0:1], vcc
	s_cbranch_execz .LBB779_2
; %bb.1:
	global_load_dword v1, v18, s[20:21]
.LBB779_2:
	s_or_b64 exec, exec, s[0:1]
	v_or_b32_e32 v2, 0x80, v0
	v_cmp_gt_u32_e64 s[0:1], s22, v2
	v_mov_b32_e32 v2, s23
	s_and_saveexec_b64 s[2:3], s[0:1]
	s_cbranch_execz .LBB779_4
; %bb.3:
	global_load_dword v2, v18, s[20:21] offset:512
.LBB779_4:
	s_or_b64 exec, exec, s[2:3]
	v_or_b32_e32 v3, 0x100, v0
	v_cmp_gt_u32_e64 s[2:3], s22, v3
	v_mov_b32_e32 v3, s23
	s_and_saveexec_b64 s[6:7], s[2:3]
	s_cbranch_execz .LBB779_6
; %bb.5:
	global_load_dword v3, v18, s[20:21] offset:1024
.LBB779_6:
	;; [unrolled: 9-line block ×7, first 2 shown]
	s_or_b64 exec, exec, s[14:15]
	v_or_b32_e32 v10, 0x400, v0
	v_cmp_gt_u32_e64 s[14:15], s22, v10
	v_mov_b32_e32 v9, s23
	s_and_saveexec_b64 s[16:17], s[14:15]
	s_cbranch_execz .LBB779_18
; %bb.17:
	v_lshlrev_b32_e32 v9, 2, v10
	global_load_dword v9, v9, s[20:21]
.LBB779_18:
	s_or_b64 exec, exec, s[16:17]
	v_or_b32_e32 v11, 0x480, v0
	v_cmp_gt_u32_e64 s[16:17], s22, v11
	v_mov_b32_e32 v10, s23
	s_and_saveexec_b64 s[22:23], s[16:17]
	s_cbranch_execz .LBB779_20
; %bb.19:
	v_lshlrev_b32_e32 v10, 2, v11
	global_load_dword v10, v10, s[20:21]
.LBB779_20:
	s_or_b64 exec, exec, s[22:23]
	s_waitcnt vmcnt(0)
	ds_write2st64_b32 v18, v1, v2 offset1:2
	ds_write2st64_b32 v18, v3, v4 offset0:4 offset1:6
	ds_write2st64_b32 v18, v5, v6 offset0:8 offset1:10
	ds_write2st64_b32 v18, v7, v8 offset0:12 offset1:14
	ds_write2st64_b32 v18, v9, v10 offset0:16 offset1:18
	v_mad_u32_u24 v1, v0, 36, v18
	s_waitcnt lgkmcnt(0)
	s_barrier
	ds_read2_b64 v[6:9], v1 offset1:1
	ds_read2_b64 v[2:5], v1 offset0:2 offset1:3
	ds_read_b64 v[10:11], v1 offset:32
	v_lshrrev_b32_e32 v20, 3, v0
	v_and_b32_e32 v20, 12, v20
	s_waitcnt lgkmcnt(2)
	v_add_u32_e32 v1, v7, v6
	v_add_u32_e32 v12, v1, v8
	v_add_u32_e32 v13, v12, v9
	s_waitcnt lgkmcnt(1)
	v_add_u32_e32 v14, v13, v2
	v_add_u32_e32 v17, v14, v3
	;; [unrolled: 1-line block ×4, first 2 shown]
	s_waitcnt lgkmcnt(0)
	v_add3_u32 v19, v15, v10, v11
	v_add_u32_e32 v20, v18, v20
	v_cmp_gt_u32_e64 s[20:21], 64, v0
	s_barrier
	ds_write_b32 v20, v19
	s_waitcnt lgkmcnt(0)
	s_barrier
	s_and_saveexec_b64 s[22:23], s[20:21]
	s_cbranch_execz .LBB779_22
; %bb.21:
	v_lshlrev_b32_e32 v20, 1, v0
	v_lshrrev_b32_e32 v21, 4, v0
	v_add_lshl_u32 v22, v21, v20, 2
	ds_read2_b32 v[20:21], v22 offset1:1
	v_mbcnt_lo_u32_b32 v23, -1, 0
	v_mbcnt_hi_u32_b32 v23, -1, v23
	v_and_b32_e32 v24, 15, v23
	v_cmp_ne_u32_e64 s[20:21], 0, v24
	s_waitcnt lgkmcnt(0)
	v_add_u32_e32 v21, v21, v20
	; wave barrier
	s_nop 1
	v_mov_b32_dpp v25, v21 row_shr:1 row_mask:0xf bank_mask:0xf
	v_cndmask_b32_e64 v25, 0, v25, s[20:21]
	v_add_u32_e32 v21, v25, v21
	v_cmp_lt_u32_e64 s[20:21], 1, v24
	s_nop 0
	v_mov_b32_dpp v25, v21 row_shr:2 row_mask:0xf bank_mask:0xf
	v_cndmask_b32_e64 v25, 0, v25, s[20:21]
	v_add_u32_e32 v21, v21, v25
	v_cmp_lt_u32_e64 s[20:21], 3, v24
	;; [unrolled: 5-line block ×3, first 2 shown]
	s_nop 0
	v_mov_b32_dpp v25, v21 row_shr:8 row_mask:0xf bank_mask:0xf
	v_cndmask_b32_e64 v24, 0, v25, s[20:21]
	v_add_u32_e32 v21, v21, v24
	v_bfe_i32 v25, v23, 4, 1
	v_cmp_lt_u32_e64 s[20:21], 31, v23
	v_mov_b32_dpp v24, v21 row_bcast:15 row_mask:0xf bank_mask:0xf
	v_and_b32_e32 v24, v25, v24
	v_add_u32_e32 v21, v21, v24
	v_and_b32_e32 v25, 64, v23
	s_nop 0
	v_mov_b32_dpp v24, v21 row_bcast:31 row_mask:0xf bank_mask:0xf
	v_cndmask_b32_e64 v24, 0, v24, s[20:21]
	v_add_u32_e32 v21, v21, v24
	v_add_u32_e32 v24, -1, v23
	v_cmp_lt_i32_e64 s[20:21], v24, v25
	v_cndmask_b32_e64 v23, v24, v23, s[20:21]
	v_lshlrev_b32_e32 v23, 2, v23
	ds_bpermute_b32 v21, v23, v21
	v_cmp_eq_u32_e64 s[20:21], 0, v0
	s_waitcnt lgkmcnt(0)
	v_add_u32_e32 v20, v21, v20
	v_cndmask_b32_e64 v20, v20, v19, s[20:21]
	ds_write_b32 v22, v20
	; wave barrier
	ds_read_b32 v21, v22 offset:4
	s_waitcnt lgkmcnt(0)
	v_add_u32_e32 v20, v21, v20
	ds_write_b32 v22, v20 offset:4
.LBB779_22:
	s_or_b64 exec, exec, s[22:23]
	s_load_dwordx2 s[22:23], s[4:5], 0x18
	v_cmp_ne_u32_e64 s[20:21], 0, v0
	s_waitcnt lgkmcnt(0)
	s_barrier
	s_and_saveexec_b64 s[24:25], s[20:21]
	s_cbranch_execz .LBB779_24
; %bb.23:
	v_add_u32_e32 v19, -1, v0
	v_lshrrev_b32_e32 v20, 5, v19
	v_add_lshl_u32 v19, v20, v19, 2
	ds_read_b32 v19, v19
.LBB779_24:
	s_or_b64 exec, exec, s[24:25]
	s_load_dword s24, s[4:5], 0x10
	v_mul_u32_u24_e32 v20, 36, v0
	v_mov_b32_e32 v0, v6
	s_and_saveexec_b64 s[4:5], s[20:21]
	s_cbranch_execz .LBB779_26
; %bb.25:
	s_waitcnt lgkmcnt(0)
	v_add_u32_e32 v0, v19, v6
	v_add_u32_e32 v1, v0, v7
	;; [unrolled: 1-line block ×8, first 2 shown]
	;;#ASMSTART
	;;#ASMEND
.LBB779_26:
	s_or_b64 exec, exec, s[4:5]
	s_waitcnt lgkmcnt(0)
	v_add3_u32 v8, v10, s24, v15
	v_add_u32_e32 v1, s24, v1
	v_add_u32_e32 v0, s24, v0
	;; [unrolled: 1-line block ×10, first 2 shown]
	s_barrier
	ds_write2_b64 v10, v[0:1], v[2:3] offset1:1
	ds_write2_b64 v10, v[4:5], v[6:7] offset0:2 offset1:3
	ds_write_b64 v10, v[8:9] offset:32
	s_waitcnt lgkmcnt(0)
	s_barrier
	ds_read2st64_b32 v[8:9], v18 offset0:2 offset1:4
	ds_read2st64_b32 v[6:7], v18 offset0:6 offset1:8
	;; [unrolled: 1-line block ×4, first 2 shown]
	ds_read_b32 v10, v18 offset:4608
	v_mov_b32_e32 v1, s23
	v_add_co_u32_e64 v0, s[4:5], s22, v18
	v_addc_co_u32_e64 v1, s[4:5], 0, v1, s[4:5]
	s_and_saveexec_b64 s[4:5], vcc
	s_cbranch_execnz .LBB779_37
; %bb.27:
	s_or_b64 exec, exec, s[4:5]
	s_and_saveexec_b64 s[4:5], s[0:1]
	s_cbranch_execnz .LBB779_38
.LBB779_28:
	s_or_b64 exec, exec, s[4:5]
	s_and_saveexec_b64 s[0:1], s[2:3]
	s_cbranch_execnz .LBB779_39
.LBB779_29:
	s_or_b64 exec, exec, s[0:1]
	s_and_saveexec_b64 s[0:1], s[18:19]
	s_cbranch_execnz .LBB779_40
.LBB779_30:
	s_or_b64 exec, exec, s[0:1]
	s_and_saveexec_b64 s[0:1], s[6:7]
	s_cbranch_execnz .LBB779_41
.LBB779_31:
	s_or_b64 exec, exec, s[0:1]
	s_and_saveexec_b64 s[0:1], s[8:9]
	s_cbranch_execnz .LBB779_42
.LBB779_32:
	s_or_b64 exec, exec, s[0:1]
	s_and_saveexec_b64 s[0:1], s[10:11]
	s_cbranch_execnz .LBB779_43
.LBB779_33:
	s_or_b64 exec, exec, s[0:1]
	s_and_saveexec_b64 s[0:1], s[12:13]
	s_cbranch_execnz .LBB779_44
.LBB779_34:
	s_or_b64 exec, exec, s[0:1]
	s_and_saveexec_b64 s[0:1], s[14:15]
	s_cbranch_execnz .LBB779_45
.LBB779_35:
	s_or_b64 exec, exec, s[0:1]
	s_and_saveexec_b64 s[0:1], s[16:17]
	s_cbranch_execnz .LBB779_46
.LBB779_36:
	s_endpgm
.LBB779_37:
	ds_read_b32 v11, v18
	s_waitcnt lgkmcnt(0)
	global_store_dword v[0:1], v11, off
	s_or_b64 exec, exec, s[4:5]
	s_and_saveexec_b64 s[4:5], s[0:1]
	s_cbranch_execz .LBB779_28
.LBB779_38:
	s_waitcnt lgkmcnt(4)
	global_store_dword v[0:1], v8, off offset:512
	s_or_b64 exec, exec, s[4:5]
	s_and_saveexec_b64 s[0:1], s[2:3]
	s_cbranch_execz .LBB779_29
.LBB779_39:
	s_waitcnt lgkmcnt(4)
	global_store_dword v[0:1], v9, off offset:1024
	s_or_b64 exec, exec, s[0:1]
	s_and_saveexec_b64 s[0:1], s[18:19]
	s_cbranch_execz .LBB779_30
.LBB779_40:
	s_waitcnt lgkmcnt(3)
	global_store_dword v[0:1], v6, off offset:1536
	s_or_b64 exec, exec, s[0:1]
	s_and_saveexec_b64 s[0:1], s[6:7]
	s_cbranch_execz .LBB779_31
.LBB779_41:
	s_waitcnt lgkmcnt(3)
	global_store_dword v[0:1], v7, off offset:2048
	s_or_b64 exec, exec, s[0:1]
	s_and_saveexec_b64 s[0:1], s[8:9]
	s_cbranch_execz .LBB779_32
.LBB779_42:
	s_waitcnt lgkmcnt(2)
	global_store_dword v[0:1], v4, off offset:2560
	s_or_b64 exec, exec, s[0:1]
	s_and_saveexec_b64 s[0:1], s[10:11]
	s_cbranch_execz .LBB779_33
.LBB779_43:
	s_waitcnt lgkmcnt(2)
	global_store_dword v[0:1], v5, off offset:3072
	s_or_b64 exec, exec, s[0:1]
	s_and_saveexec_b64 s[0:1], s[12:13]
	s_cbranch_execz .LBB779_34
.LBB779_44:
	s_waitcnt lgkmcnt(1)
	global_store_dword v[0:1], v2, off offset:3584
	s_or_b64 exec, exec, s[0:1]
	s_and_saveexec_b64 s[0:1], s[14:15]
	s_cbranch_execz .LBB779_35
.LBB779_45:
	s_waitcnt lgkmcnt(2)
	v_add_co_u32_e32 v4, vcc, 0x1000, v0
	v_addc_co_u32_e32 v5, vcc, 0, v1, vcc
	s_waitcnt lgkmcnt(1)
	global_store_dword v[4:5], v3, off
	s_or_b64 exec, exec, s[0:1]
	s_and_saveexec_b64 s[0:1], s[16:17]
	s_cbranch_execz .LBB779_36
.LBB779_46:
	v_add_co_u32_e32 v0, vcc, 0x1000, v0
	v_addc_co_u32_e32 v1, vcc, 0, v1, vcc
	s_waitcnt lgkmcnt(0)
	global_store_dword v[0:1], v10, off offset:512
	s_endpgm
	.section	.rodata,"a",@progbits
	.p2align	6, 0x0
	.amdhsa_kernel _ZN7rocprim17ROCPRIM_400000_NS6detail17trampoline_kernelINS0_14default_configENS1_20scan_config_selectorIiEEZZNS1_9scan_implILNS1_25lookback_scan_determinismE0ELb0ELb1ES3_N6thrust23THRUST_200600_302600_NS6detail15normal_iteratorINS9_10device_ptrIiEEEESE_iNS9_4plusIiEEiEEDaPvRmT3_T4_T5_mT6_P12ihipStream_tbENKUlT_T0_E_clISt17integral_constantIbLb1EEST_IbLb0EEEEDaSP_SQ_EUlSP_E0_NS1_11comp_targetILNS1_3genE4ELNS1_11target_archE910ELNS1_3gpuE8ELNS1_3repE0EEENS1_30default_config_static_selectorELNS0_4arch9wavefront6targetE1EEEvT1_
		.amdhsa_group_segment_fixed_size 5120
		.amdhsa_private_segment_fixed_size 0
		.amdhsa_kernarg_size 32
		.amdhsa_user_sgpr_count 6
		.amdhsa_user_sgpr_private_segment_buffer 1
		.amdhsa_user_sgpr_dispatch_ptr 0
		.amdhsa_user_sgpr_queue_ptr 0
		.amdhsa_user_sgpr_kernarg_segment_ptr 1
		.amdhsa_user_sgpr_dispatch_id 0
		.amdhsa_user_sgpr_flat_scratch_init 0
		.amdhsa_user_sgpr_kernarg_preload_length 0
		.amdhsa_user_sgpr_kernarg_preload_offset 0
		.amdhsa_user_sgpr_private_segment_size 0
		.amdhsa_uses_dynamic_stack 0
		.amdhsa_system_sgpr_private_segment_wavefront_offset 0
		.amdhsa_system_sgpr_workgroup_id_x 1
		.amdhsa_system_sgpr_workgroup_id_y 0
		.amdhsa_system_sgpr_workgroup_id_z 0
		.amdhsa_system_sgpr_workgroup_info 0
		.amdhsa_system_vgpr_workitem_id 0
		.amdhsa_next_free_vgpr 26
		.amdhsa_next_free_sgpr 26
		.amdhsa_accum_offset 28
		.amdhsa_reserve_vcc 1
		.amdhsa_reserve_flat_scratch 0
		.amdhsa_float_round_mode_32 0
		.amdhsa_float_round_mode_16_64 0
		.amdhsa_float_denorm_mode_32 3
		.amdhsa_float_denorm_mode_16_64 3
		.amdhsa_dx10_clamp 1
		.amdhsa_ieee_mode 1
		.amdhsa_fp16_overflow 0
		.amdhsa_tg_split 0
		.amdhsa_exception_fp_ieee_invalid_op 0
		.amdhsa_exception_fp_denorm_src 0
		.amdhsa_exception_fp_ieee_div_zero 0
		.amdhsa_exception_fp_ieee_overflow 0
		.amdhsa_exception_fp_ieee_underflow 0
		.amdhsa_exception_fp_ieee_inexact 0
		.amdhsa_exception_int_div_zero 0
	.end_amdhsa_kernel
	.section	.text._ZN7rocprim17ROCPRIM_400000_NS6detail17trampoline_kernelINS0_14default_configENS1_20scan_config_selectorIiEEZZNS1_9scan_implILNS1_25lookback_scan_determinismE0ELb0ELb1ES3_N6thrust23THRUST_200600_302600_NS6detail15normal_iteratorINS9_10device_ptrIiEEEESE_iNS9_4plusIiEEiEEDaPvRmT3_T4_T5_mT6_P12ihipStream_tbENKUlT_T0_E_clISt17integral_constantIbLb1EEST_IbLb0EEEEDaSP_SQ_EUlSP_E0_NS1_11comp_targetILNS1_3genE4ELNS1_11target_archE910ELNS1_3gpuE8ELNS1_3repE0EEENS1_30default_config_static_selectorELNS0_4arch9wavefront6targetE1EEEvT1_,"axG",@progbits,_ZN7rocprim17ROCPRIM_400000_NS6detail17trampoline_kernelINS0_14default_configENS1_20scan_config_selectorIiEEZZNS1_9scan_implILNS1_25lookback_scan_determinismE0ELb0ELb1ES3_N6thrust23THRUST_200600_302600_NS6detail15normal_iteratorINS9_10device_ptrIiEEEESE_iNS9_4plusIiEEiEEDaPvRmT3_T4_T5_mT6_P12ihipStream_tbENKUlT_T0_E_clISt17integral_constantIbLb1EEST_IbLb0EEEEDaSP_SQ_EUlSP_E0_NS1_11comp_targetILNS1_3genE4ELNS1_11target_archE910ELNS1_3gpuE8ELNS1_3repE0EEENS1_30default_config_static_selectorELNS0_4arch9wavefront6targetE1EEEvT1_,comdat
.Lfunc_end779:
	.size	_ZN7rocprim17ROCPRIM_400000_NS6detail17trampoline_kernelINS0_14default_configENS1_20scan_config_selectorIiEEZZNS1_9scan_implILNS1_25lookback_scan_determinismE0ELb0ELb1ES3_N6thrust23THRUST_200600_302600_NS6detail15normal_iteratorINS9_10device_ptrIiEEEESE_iNS9_4plusIiEEiEEDaPvRmT3_T4_T5_mT6_P12ihipStream_tbENKUlT_T0_E_clISt17integral_constantIbLb1EEST_IbLb0EEEEDaSP_SQ_EUlSP_E0_NS1_11comp_targetILNS1_3genE4ELNS1_11target_archE910ELNS1_3gpuE8ELNS1_3repE0EEENS1_30default_config_static_selectorELNS0_4arch9wavefront6targetE1EEEvT1_, .Lfunc_end779-_ZN7rocprim17ROCPRIM_400000_NS6detail17trampoline_kernelINS0_14default_configENS1_20scan_config_selectorIiEEZZNS1_9scan_implILNS1_25lookback_scan_determinismE0ELb0ELb1ES3_N6thrust23THRUST_200600_302600_NS6detail15normal_iteratorINS9_10device_ptrIiEEEESE_iNS9_4plusIiEEiEEDaPvRmT3_T4_T5_mT6_P12ihipStream_tbENKUlT_T0_E_clISt17integral_constantIbLb1EEST_IbLb0EEEEDaSP_SQ_EUlSP_E0_NS1_11comp_targetILNS1_3genE4ELNS1_11target_archE910ELNS1_3gpuE8ELNS1_3repE0EEENS1_30default_config_static_selectorELNS0_4arch9wavefront6targetE1EEEvT1_
                                        ; -- End function
	.section	.AMDGPU.csdata,"",@progbits
; Kernel info:
; codeLenInByte = 1596
; NumSgprs: 30
; NumVgprs: 26
; NumAgprs: 0
; TotalNumVgprs: 26
; ScratchSize: 0
; MemoryBound: 0
; FloatMode: 240
; IeeeMode: 1
; LDSByteSize: 5120 bytes/workgroup (compile time only)
; SGPRBlocks: 3
; VGPRBlocks: 3
; NumSGPRsForWavesPerEU: 30
; NumVGPRsForWavesPerEU: 26
; AccumOffset: 28
; Occupancy: 6
; WaveLimiterHint : 0
; COMPUTE_PGM_RSRC2:SCRATCH_EN: 0
; COMPUTE_PGM_RSRC2:USER_SGPR: 6
; COMPUTE_PGM_RSRC2:TRAP_HANDLER: 0
; COMPUTE_PGM_RSRC2:TGID_X_EN: 1
; COMPUTE_PGM_RSRC2:TGID_Y_EN: 0
; COMPUTE_PGM_RSRC2:TGID_Z_EN: 0
; COMPUTE_PGM_RSRC2:TIDIG_COMP_CNT: 0
; COMPUTE_PGM_RSRC3_GFX90A:ACCUM_OFFSET: 6
; COMPUTE_PGM_RSRC3_GFX90A:TG_SPLIT: 0
	.section	.text._ZN7rocprim17ROCPRIM_400000_NS6detail17trampoline_kernelINS0_14default_configENS1_20scan_config_selectorIiEEZZNS1_9scan_implILNS1_25lookback_scan_determinismE0ELb0ELb1ES3_N6thrust23THRUST_200600_302600_NS6detail15normal_iteratorINS9_10device_ptrIiEEEESE_iNS9_4plusIiEEiEEDaPvRmT3_T4_T5_mT6_P12ihipStream_tbENKUlT_T0_E_clISt17integral_constantIbLb1EEST_IbLb0EEEEDaSP_SQ_EUlSP_E0_NS1_11comp_targetILNS1_3genE3ELNS1_11target_archE908ELNS1_3gpuE7ELNS1_3repE0EEENS1_30default_config_static_selectorELNS0_4arch9wavefront6targetE1EEEvT1_,"axG",@progbits,_ZN7rocprim17ROCPRIM_400000_NS6detail17trampoline_kernelINS0_14default_configENS1_20scan_config_selectorIiEEZZNS1_9scan_implILNS1_25lookback_scan_determinismE0ELb0ELb1ES3_N6thrust23THRUST_200600_302600_NS6detail15normal_iteratorINS9_10device_ptrIiEEEESE_iNS9_4plusIiEEiEEDaPvRmT3_T4_T5_mT6_P12ihipStream_tbENKUlT_T0_E_clISt17integral_constantIbLb1EEST_IbLb0EEEEDaSP_SQ_EUlSP_E0_NS1_11comp_targetILNS1_3genE3ELNS1_11target_archE908ELNS1_3gpuE7ELNS1_3repE0EEENS1_30default_config_static_selectorELNS0_4arch9wavefront6targetE1EEEvT1_,comdat
	.protected	_ZN7rocprim17ROCPRIM_400000_NS6detail17trampoline_kernelINS0_14default_configENS1_20scan_config_selectorIiEEZZNS1_9scan_implILNS1_25lookback_scan_determinismE0ELb0ELb1ES3_N6thrust23THRUST_200600_302600_NS6detail15normal_iteratorINS9_10device_ptrIiEEEESE_iNS9_4plusIiEEiEEDaPvRmT3_T4_T5_mT6_P12ihipStream_tbENKUlT_T0_E_clISt17integral_constantIbLb1EEST_IbLb0EEEEDaSP_SQ_EUlSP_E0_NS1_11comp_targetILNS1_3genE3ELNS1_11target_archE908ELNS1_3gpuE7ELNS1_3repE0EEENS1_30default_config_static_selectorELNS0_4arch9wavefront6targetE1EEEvT1_ ; -- Begin function _ZN7rocprim17ROCPRIM_400000_NS6detail17trampoline_kernelINS0_14default_configENS1_20scan_config_selectorIiEEZZNS1_9scan_implILNS1_25lookback_scan_determinismE0ELb0ELb1ES3_N6thrust23THRUST_200600_302600_NS6detail15normal_iteratorINS9_10device_ptrIiEEEESE_iNS9_4plusIiEEiEEDaPvRmT3_T4_T5_mT6_P12ihipStream_tbENKUlT_T0_E_clISt17integral_constantIbLb1EEST_IbLb0EEEEDaSP_SQ_EUlSP_E0_NS1_11comp_targetILNS1_3genE3ELNS1_11target_archE908ELNS1_3gpuE7ELNS1_3repE0EEENS1_30default_config_static_selectorELNS0_4arch9wavefront6targetE1EEEvT1_
	.globl	_ZN7rocprim17ROCPRIM_400000_NS6detail17trampoline_kernelINS0_14default_configENS1_20scan_config_selectorIiEEZZNS1_9scan_implILNS1_25lookback_scan_determinismE0ELb0ELb1ES3_N6thrust23THRUST_200600_302600_NS6detail15normal_iteratorINS9_10device_ptrIiEEEESE_iNS9_4plusIiEEiEEDaPvRmT3_T4_T5_mT6_P12ihipStream_tbENKUlT_T0_E_clISt17integral_constantIbLb1EEST_IbLb0EEEEDaSP_SQ_EUlSP_E0_NS1_11comp_targetILNS1_3genE3ELNS1_11target_archE908ELNS1_3gpuE7ELNS1_3repE0EEENS1_30default_config_static_selectorELNS0_4arch9wavefront6targetE1EEEvT1_
	.p2align	8
	.type	_ZN7rocprim17ROCPRIM_400000_NS6detail17trampoline_kernelINS0_14default_configENS1_20scan_config_selectorIiEEZZNS1_9scan_implILNS1_25lookback_scan_determinismE0ELb0ELb1ES3_N6thrust23THRUST_200600_302600_NS6detail15normal_iteratorINS9_10device_ptrIiEEEESE_iNS9_4plusIiEEiEEDaPvRmT3_T4_T5_mT6_P12ihipStream_tbENKUlT_T0_E_clISt17integral_constantIbLb1EEST_IbLb0EEEEDaSP_SQ_EUlSP_E0_NS1_11comp_targetILNS1_3genE3ELNS1_11target_archE908ELNS1_3gpuE7ELNS1_3repE0EEENS1_30default_config_static_selectorELNS0_4arch9wavefront6targetE1EEEvT1_,@function
_ZN7rocprim17ROCPRIM_400000_NS6detail17trampoline_kernelINS0_14default_configENS1_20scan_config_selectorIiEEZZNS1_9scan_implILNS1_25lookback_scan_determinismE0ELb0ELb1ES3_N6thrust23THRUST_200600_302600_NS6detail15normal_iteratorINS9_10device_ptrIiEEEESE_iNS9_4plusIiEEiEEDaPvRmT3_T4_T5_mT6_P12ihipStream_tbENKUlT_T0_E_clISt17integral_constantIbLb1EEST_IbLb0EEEEDaSP_SQ_EUlSP_E0_NS1_11comp_targetILNS1_3genE3ELNS1_11target_archE908ELNS1_3gpuE7ELNS1_3repE0EEENS1_30default_config_static_selectorELNS0_4arch9wavefront6targetE1EEEvT1_: ; @_ZN7rocprim17ROCPRIM_400000_NS6detail17trampoline_kernelINS0_14default_configENS1_20scan_config_selectorIiEEZZNS1_9scan_implILNS1_25lookback_scan_determinismE0ELb0ELb1ES3_N6thrust23THRUST_200600_302600_NS6detail15normal_iteratorINS9_10device_ptrIiEEEESE_iNS9_4plusIiEEiEEDaPvRmT3_T4_T5_mT6_P12ihipStream_tbENKUlT_T0_E_clISt17integral_constantIbLb1EEST_IbLb0EEEEDaSP_SQ_EUlSP_E0_NS1_11comp_targetILNS1_3genE3ELNS1_11target_archE908ELNS1_3gpuE7ELNS1_3repE0EEENS1_30default_config_static_selectorELNS0_4arch9wavefront6targetE1EEEvT1_
; %bb.0:
	.section	.rodata,"a",@progbits
	.p2align	6, 0x0
	.amdhsa_kernel _ZN7rocprim17ROCPRIM_400000_NS6detail17trampoline_kernelINS0_14default_configENS1_20scan_config_selectorIiEEZZNS1_9scan_implILNS1_25lookback_scan_determinismE0ELb0ELb1ES3_N6thrust23THRUST_200600_302600_NS6detail15normal_iteratorINS9_10device_ptrIiEEEESE_iNS9_4plusIiEEiEEDaPvRmT3_T4_T5_mT6_P12ihipStream_tbENKUlT_T0_E_clISt17integral_constantIbLb1EEST_IbLb0EEEEDaSP_SQ_EUlSP_E0_NS1_11comp_targetILNS1_3genE3ELNS1_11target_archE908ELNS1_3gpuE7ELNS1_3repE0EEENS1_30default_config_static_selectorELNS0_4arch9wavefront6targetE1EEEvT1_
		.amdhsa_group_segment_fixed_size 0
		.amdhsa_private_segment_fixed_size 0
		.amdhsa_kernarg_size 32
		.amdhsa_user_sgpr_count 6
		.amdhsa_user_sgpr_private_segment_buffer 1
		.amdhsa_user_sgpr_dispatch_ptr 0
		.amdhsa_user_sgpr_queue_ptr 0
		.amdhsa_user_sgpr_kernarg_segment_ptr 1
		.amdhsa_user_sgpr_dispatch_id 0
		.amdhsa_user_sgpr_flat_scratch_init 0
		.amdhsa_user_sgpr_kernarg_preload_length 0
		.amdhsa_user_sgpr_kernarg_preload_offset 0
		.amdhsa_user_sgpr_private_segment_size 0
		.amdhsa_uses_dynamic_stack 0
		.amdhsa_system_sgpr_private_segment_wavefront_offset 0
		.amdhsa_system_sgpr_workgroup_id_x 1
		.amdhsa_system_sgpr_workgroup_id_y 0
		.amdhsa_system_sgpr_workgroup_id_z 0
		.amdhsa_system_sgpr_workgroup_info 0
		.amdhsa_system_vgpr_workitem_id 0
		.amdhsa_next_free_vgpr 1
		.amdhsa_next_free_sgpr 0
		.amdhsa_accum_offset 4
		.amdhsa_reserve_vcc 0
		.amdhsa_reserve_flat_scratch 0
		.amdhsa_float_round_mode_32 0
		.amdhsa_float_round_mode_16_64 0
		.amdhsa_float_denorm_mode_32 3
		.amdhsa_float_denorm_mode_16_64 3
		.amdhsa_dx10_clamp 1
		.amdhsa_ieee_mode 1
		.amdhsa_fp16_overflow 0
		.amdhsa_tg_split 0
		.amdhsa_exception_fp_ieee_invalid_op 0
		.amdhsa_exception_fp_denorm_src 0
		.amdhsa_exception_fp_ieee_div_zero 0
		.amdhsa_exception_fp_ieee_overflow 0
		.amdhsa_exception_fp_ieee_underflow 0
		.amdhsa_exception_fp_ieee_inexact 0
		.amdhsa_exception_int_div_zero 0
	.end_amdhsa_kernel
	.section	.text._ZN7rocprim17ROCPRIM_400000_NS6detail17trampoline_kernelINS0_14default_configENS1_20scan_config_selectorIiEEZZNS1_9scan_implILNS1_25lookback_scan_determinismE0ELb0ELb1ES3_N6thrust23THRUST_200600_302600_NS6detail15normal_iteratorINS9_10device_ptrIiEEEESE_iNS9_4plusIiEEiEEDaPvRmT3_T4_T5_mT6_P12ihipStream_tbENKUlT_T0_E_clISt17integral_constantIbLb1EEST_IbLb0EEEEDaSP_SQ_EUlSP_E0_NS1_11comp_targetILNS1_3genE3ELNS1_11target_archE908ELNS1_3gpuE7ELNS1_3repE0EEENS1_30default_config_static_selectorELNS0_4arch9wavefront6targetE1EEEvT1_,"axG",@progbits,_ZN7rocprim17ROCPRIM_400000_NS6detail17trampoline_kernelINS0_14default_configENS1_20scan_config_selectorIiEEZZNS1_9scan_implILNS1_25lookback_scan_determinismE0ELb0ELb1ES3_N6thrust23THRUST_200600_302600_NS6detail15normal_iteratorINS9_10device_ptrIiEEEESE_iNS9_4plusIiEEiEEDaPvRmT3_T4_T5_mT6_P12ihipStream_tbENKUlT_T0_E_clISt17integral_constantIbLb1EEST_IbLb0EEEEDaSP_SQ_EUlSP_E0_NS1_11comp_targetILNS1_3genE3ELNS1_11target_archE908ELNS1_3gpuE7ELNS1_3repE0EEENS1_30default_config_static_selectorELNS0_4arch9wavefront6targetE1EEEvT1_,comdat
.Lfunc_end780:
	.size	_ZN7rocprim17ROCPRIM_400000_NS6detail17trampoline_kernelINS0_14default_configENS1_20scan_config_selectorIiEEZZNS1_9scan_implILNS1_25lookback_scan_determinismE0ELb0ELb1ES3_N6thrust23THRUST_200600_302600_NS6detail15normal_iteratorINS9_10device_ptrIiEEEESE_iNS9_4plusIiEEiEEDaPvRmT3_T4_T5_mT6_P12ihipStream_tbENKUlT_T0_E_clISt17integral_constantIbLb1EEST_IbLb0EEEEDaSP_SQ_EUlSP_E0_NS1_11comp_targetILNS1_3genE3ELNS1_11target_archE908ELNS1_3gpuE7ELNS1_3repE0EEENS1_30default_config_static_selectorELNS0_4arch9wavefront6targetE1EEEvT1_, .Lfunc_end780-_ZN7rocprim17ROCPRIM_400000_NS6detail17trampoline_kernelINS0_14default_configENS1_20scan_config_selectorIiEEZZNS1_9scan_implILNS1_25lookback_scan_determinismE0ELb0ELb1ES3_N6thrust23THRUST_200600_302600_NS6detail15normal_iteratorINS9_10device_ptrIiEEEESE_iNS9_4plusIiEEiEEDaPvRmT3_T4_T5_mT6_P12ihipStream_tbENKUlT_T0_E_clISt17integral_constantIbLb1EEST_IbLb0EEEEDaSP_SQ_EUlSP_E0_NS1_11comp_targetILNS1_3genE3ELNS1_11target_archE908ELNS1_3gpuE7ELNS1_3repE0EEENS1_30default_config_static_selectorELNS0_4arch9wavefront6targetE1EEEvT1_
                                        ; -- End function
	.section	.AMDGPU.csdata,"",@progbits
; Kernel info:
; codeLenInByte = 0
; NumSgprs: 4
; NumVgprs: 0
; NumAgprs: 0
; TotalNumVgprs: 0
; ScratchSize: 0
; MemoryBound: 0
; FloatMode: 240
; IeeeMode: 1
; LDSByteSize: 0 bytes/workgroup (compile time only)
; SGPRBlocks: 0
; VGPRBlocks: 0
; NumSGPRsForWavesPerEU: 4
; NumVGPRsForWavesPerEU: 1
; AccumOffset: 4
; Occupancy: 8
; WaveLimiterHint : 0
; COMPUTE_PGM_RSRC2:SCRATCH_EN: 0
; COMPUTE_PGM_RSRC2:USER_SGPR: 6
; COMPUTE_PGM_RSRC2:TRAP_HANDLER: 0
; COMPUTE_PGM_RSRC2:TGID_X_EN: 1
; COMPUTE_PGM_RSRC2:TGID_Y_EN: 0
; COMPUTE_PGM_RSRC2:TGID_Z_EN: 0
; COMPUTE_PGM_RSRC2:TIDIG_COMP_CNT: 0
; COMPUTE_PGM_RSRC3_GFX90A:ACCUM_OFFSET: 0
; COMPUTE_PGM_RSRC3_GFX90A:TG_SPLIT: 0
	.section	.text._ZN7rocprim17ROCPRIM_400000_NS6detail17trampoline_kernelINS0_14default_configENS1_20scan_config_selectorIiEEZZNS1_9scan_implILNS1_25lookback_scan_determinismE0ELb0ELb1ES3_N6thrust23THRUST_200600_302600_NS6detail15normal_iteratorINS9_10device_ptrIiEEEESE_iNS9_4plusIiEEiEEDaPvRmT3_T4_T5_mT6_P12ihipStream_tbENKUlT_T0_E_clISt17integral_constantIbLb1EEST_IbLb0EEEEDaSP_SQ_EUlSP_E0_NS1_11comp_targetILNS1_3genE2ELNS1_11target_archE906ELNS1_3gpuE6ELNS1_3repE0EEENS1_30default_config_static_selectorELNS0_4arch9wavefront6targetE1EEEvT1_,"axG",@progbits,_ZN7rocprim17ROCPRIM_400000_NS6detail17trampoline_kernelINS0_14default_configENS1_20scan_config_selectorIiEEZZNS1_9scan_implILNS1_25lookback_scan_determinismE0ELb0ELb1ES3_N6thrust23THRUST_200600_302600_NS6detail15normal_iteratorINS9_10device_ptrIiEEEESE_iNS9_4plusIiEEiEEDaPvRmT3_T4_T5_mT6_P12ihipStream_tbENKUlT_T0_E_clISt17integral_constantIbLb1EEST_IbLb0EEEEDaSP_SQ_EUlSP_E0_NS1_11comp_targetILNS1_3genE2ELNS1_11target_archE906ELNS1_3gpuE6ELNS1_3repE0EEENS1_30default_config_static_selectorELNS0_4arch9wavefront6targetE1EEEvT1_,comdat
	.protected	_ZN7rocprim17ROCPRIM_400000_NS6detail17trampoline_kernelINS0_14default_configENS1_20scan_config_selectorIiEEZZNS1_9scan_implILNS1_25lookback_scan_determinismE0ELb0ELb1ES3_N6thrust23THRUST_200600_302600_NS6detail15normal_iteratorINS9_10device_ptrIiEEEESE_iNS9_4plusIiEEiEEDaPvRmT3_T4_T5_mT6_P12ihipStream_tbENKUlT_T0_E_clISt17integral_constantIbLb1EEST_IbLb0EEEEDaSP_SQ_EUlSP_E0_NS1_11comp_targetILNS1_3genE2ELNS1_11target_archE906ELNS1_3gpuE6ELNS1_3repE0EEENS1_30default_config_static_selectorELNS0_4arch9wavefront6targetE1EEEvT1_ ; -- Begin function _ZN7rocprim17ROCPRIM_400000_NS6detail17trampoline_kernelINS0_14default_configENS1_20scan_config_selectorIiEEZZNS1_9scan_implILNS1_25lookback_scan_determinismE0ELb0ELb1ES3_N6thrust23THRUST_200600_302600_NS6detail15normal_iteratorINS9_10device_ptrIiEEEESE_iNS9_4plusIiEEiEEDaPvRmT3_T4_T5_mT6_P12ihipStream_tbENKUlT_T0_E_clISt17integral_constantIbLb1EEST_IbLb0EEEEDaSP_SQ_EUlSP_E0_NS1_11comp_targetILNS1_3genE2ELNS1_11target_archE906ELNS1_3gpuE6ELNS1_3repE0EEENS1_30default_config_static_selectorELNS0_4arch9wavefront6targetE1EEEvT1_
	.globl	_ZN7rocprim17ROCPRIM_400000_NS6detail17trampoline_kernelINS0_14default_configENS1_20scan_config_selectorIiEEZZNS1_9scan_implILNS1_25lookback_scan_determinismE0ELb0ELb1ES3_N6thrust23THRUST_200600_302600_NS6detail15normal_iteratorINS9_10device_ptrIiEEEESE_iNS9_4plusIiEEiEEDaPvRmT3_T4_T5_mT6_P12ihipStream_tbENKUlT_T0_E_clISt17integral_constantIbLb1EEST_IbLb0EEEEDaSP_SQ_EUlSP_E0_NS1_11comp_targetILNS1_3genE2ELNS1_11target_archE906ELNS1_3gpuE6ELNS1_3repE0EEENS1_30default_config_static_selectorELNS0_4arch9wavefront6targetE1EEEvT1_
	.p2align	8
	.type	_ZN7rocprim17ROCPRIM_400000_NS6detail17trampoline_kernelINS0_14default_configENS1_20scan_config_selectorIiEEZZNS1_9scan_implILNS1_25lookback_scan_determinismE0ELb0ELb1ES3_N6thrust23THRUST_200600_302600_NS6detail15normal_iteratorINS9_10device_ptrIiEEEESE_iNS9_4plusIiEEiEEDaPvRmT3_T4_T5_mT6_P12ihipStream_tbENKUlT_T0_E_clISt17integral_constantIbLb1EEST_IbLb0EEEEDaSP_SQ_EUlSP_E0_NS1_11comp_targetILNS1_3genE2ELNS1_11target_archE906ELNS1_3gpuE6ELNS1_3repE0EEENS1_30default_config_static_selectorELNS0_4arch9wavefront6targetE1EEEvT1_,@function
_ZN7rocprim17ROCPRIM_400000_NS6detail17trampoline_kernelINS0_14default_configENS1_20scan_config_selectorIiEEZZNS1_9scan_implILNS1_25lookback_scan_determinismE0ELb0ELb1ES3_N6thrust23THRUST_200600_302600_NS6detail15normal_iteratorINS9_10device_ptrIiEEEESE_iNS9_4plusIiEEiEEDaPvRmT3_T4_T5_mT6_P12ihipStream_tbENKUlT_T0_E_clISt17integral_constantIbLb1EEST_IbLb0EEEEDaSP_SQ_EUlSP_E0_NS1_11comp_targetILNS1_3genE2ELNS1_11target_archE906ELNS1_3gpuE6ELNS1_3repE0EEENS1_30default_config_static_selectorELNS0_4arch9wavefront6targetE1EEEvT1_: ; @_ZN7rocprim17ROCPRIM_400000_NS6detail17trampoline_kernelINS0_14default_configENS1_20scan_config_selectorIiEEZZNS1_9scan_implILNS1_25lookback_scan_determinismE0ELb0ELb1ES3_N6thrust23THRUST_200600_302600_NS6detail15normal_iteratorINS9_10device_ptrIiEEEESE_iNS9_4plusIiEEiEEDaPvRmT3_T4_T5_mT6_P12ihipStream_tbENKUlT_T0_E_clISt17integral_constantIbLb1EEST_IbLb0EEEEDaSP_SQ_EUlSP_E0_NS1_11comp_targetILNS1_3genE2ELNS1_11target_archE906ELNS1_3gpuE6ELNS1_3repE0EEENS1_30default_config_static_selectorELNS0_4arch9wavefront6targetE1EEEvT1_
; %bb.0:
	.section	.rodata,"a",@progbits
	.p2align	6, 0x0
	.amdhsa_kernel _ZN7rocprim17ROCPRIM_400000_NS6detail17trampoline_kernelINS0_14default_configENS1_20scan_config_selectorIiEEZZNS1_9scan_implILNS1_25lookback_scan_determinismE0ELb0ELb1ES3_N6thrust23THRUST_200600_302600_NS6detail15normal_iteratorINS9_10device_ptrIiEEEESE_iNS9_4plusIiEEiEEDaPvRmT3_T4_T5_mT6_P12ihipStream_tbENKUlT_T0_E_clISt17integral_constantIbLb1EEST_IbLb0EEEEDaSP_SQ_EUlSP_E0_NS1_11comp_targetILNS1_3genE2ELNS1_11target_archE906ELNS1_3gpuE6ELNS1_3repE0EEENS1_30default_config_static_selectorELNS0_4arch9wavefront6targetE1EEEvT1_
		.amdhsa_group_segment_fixed_size 0
		.amdhsa_private_segment_fixed_size 0
		.amdhsa_kernarg_size 32
		.amdhsa_user_sgpr_count 6
		.amdhsa_user_sgpr_private_segment_buffer 1
		.amdhsa_user_sgpr_dispatch_ptr 0
		.amdhsa_user_sgpr_queue_ptr 0
		.amdhsa_user_sgpr_kernarg_segment_ptr 1
		.amdhsa_user_sgpr_dispatch_id 0
		.amdhsa_user_sgpr_flat_scratch_init 0
		.amdhsa_user_sgpr_kernarg_preload_length 0
		.amdhsa_user_sgpr_kernarg_preload_offset 0
		.amdhsa_user_sgpr_private_segment_size 0
		.amdhsa_uses_dynamic_stack 0
		.amdhsa_system_sgpr_private_segment_wavefront_offset 0
		.amdhsa_system_sgpr_workgroup_id_x 1
		.amdhsa_system_sgpr_workgroup_id_y 0
		.amdhsa_system_sgpr_workgroup_id_z 0
		.amdhsa_system_sgpr_workgroup_info 0
		.amdhsa_system_vgpr_workitem_id 0
		.amdhsa_next_free_vgpr 1
		.amdhsa_next_free_sgpr 0
		.amdhsa_accum_offset 4
		.amdhsa_reserve_vcc 0
		.amdhsa_reserve_flat_scratch 0
		.amdhsa_float_round_mode_32 0
		.amdhsa_float_round_mode_16_64 0
		.amdhsa_float_denorm_mode_32 3
		.amdhsa_float_denorm_mode_16_64 3
		.amdhsa_dx10_clamp 1
		.amdhsa_ieee_mode 1
		.amdhsa_fp16_overflow 0
		.amdhsa_tg_split 0
		.amdhsa_exception_fp_ieee_invalid_op 0
		.amdhsa_exception_fp_denorm_src 0
		.amdhsa_exception_fp_ieee_div_zero 0
		.amdhsa_exception_fp_ieee_overflow 0
		.amdhsa_exception_fp_ieee_underflow 0
		.amdhsa_exception_fp_ieee_inexact 0
		.amdhsa_exception_int_div_zero 0
	.end_amdhsa_kernel
	.section	.text._ZN7rocprim17ROCPRIM_400000_NS6detail17trampoline_kernelINS0_14default_configENS1_20scan_config_selectorIiEEZZNS1_9scan_implILNS1_25lookback_scan_determinismE0ELb0ELb1ES3_N6thrust23THRUST_200600_302600_NS6detail15normal_iteratorINS9_10device_ptrIiEEEESE_iNS9_4plusIiEEiEEDaPvRmT3_T4_T5_mT6_P12ihipStream_tbENKUlT_T0_E_clISt17integral_constantIbLb1EEST_IbLb0EEEEDaSP_SQ_EUlSP_E0_NS1_11comp_targetILNS1_3genE2ELNS1_11target_archE906ELNS1_3gpuE6ELNS1_3repE0EEENS1_30default_config_static_selectorELNS0_4arch9wavefront6targetE1EEEvT1_,"axG",@progbits,_ZN7rocprim17ROCPRIM_400000_NS6detail17trampoline_kernelINS0_14default_configENS1_20scan_config_selectorIiEEZZNS1_9scan_implILNS1_25lookback_scan_determinismE0ELb0ELb1ES3_N6thrust23THRUST_200600_302600_NS6detail15normal_iteratorINS9_10device_ptrIiEEEESE_iNS9_4plusIiEEiEEDaPvRmT3_T4_T5_mT6_P12ihipStream_tbENKUlT_T0_E_clISt17integral_constantIbLb1EEST_IbLb0EEEEDaSP_SQ_EUlSP_E0_NS1_11comp_targetILNS1_3genE2ELNS1_11target_archE906ELNS1_3gpuE6ELNS1_3repE0EEENS1_30default_config_static_selectorELNS0_4arch9wavefront6targetE1EEEvT1_,comdat
.Lfunc_end781:
	.size	_ZN7rocprim17ROCPRIM_400000_NS6detail17trampoline_kernelINS0_14default_configENS1_20scan_config_selectorIiEEZZNS1_9scan_implILNS1_25lookback_scan_determinismE0ELb0ELb1ES3_N6thrust23THRUST_200600_302600_NS6detail15normal_iteratorINS9_10device_ptrIiEEEESE_iNS9_4plusIiEEiEEDaPvRmT3_T4_T5_mT6_P12ihipStream_tbENKUlT_T0_E_clISt17integral_constantIbLb1EEST_IbLb0EEEEDaSP_SQ_EUlSP_E0_NS1_11comp_targetILNS1_3genE2ELNS1_11target_archE906ELNS1_3gpuE6ELNS1_3repE0EEENS1_30default_config_static_selectorELNS0_4arch9wavefront6targetE1EEEvT1_, .Lfunc_end781-_ZN7rocprim17ROCPRIM_400000_NS6detail17trampoline_kernelINS0_14default_configENS1_20scan_config_selectorIiEEZZNS1_9scan_implILNS1_25lookback_scan_determinismE0ELb0ELb1ES3_N6thrust23THRUST_200600_302600_NS6detail15normal_iteratorINS9_10device_ptrIiEEEESE_iNS9_4plusIiEEiEEDaPvRmT3_T4_T5_mT6_P12ihipStream_tbENKUlT_T0_E_clISt17integral_constantIbLb1EEST_IbLb0EEEEDaSP_SQ_EUlSP_E0_NS1_11comp_targetILNS1_3genE2ELNS1_11target_archE906ELNS1_3gpuE6ELNS1_3repE0EEENS1_30default_config_static_selectorELNS0_4arch9wavefront6targetE1EEEvT1_
                                        ; -- End function
	.section	.AMDGPU.csdata,"",@progbits
; Kernel info:
; codeLenInByte = 0
; NumSgprs: 4
; NumVgprs: 0
; NumAgprs: 0
; TotalNumVgprs: 0
; ScratchSize: 0
; MemoryBound: 0
; FloatMode: 240
; IeeeMode: 1
; LDSByteSize: 0 bytes/workgroup (compile time only)
; SGPRBlocks: 0
; VGPRBlocks: 0
; NumSGPRsForWavesPerEU: 4
; NumVGPRsForWavesPerEU: 1
; AccumOffset: 4
; Occupancy: 8
; WaveLimiterHint : 0
; COMPUTE_PGM_RSRC2:SCRATCH_EN: 0
; COMPUTE_PGM_RSRC2:USER_SGPR: 6
; COMPUTE_PGM_RSRC2:TRAP_HANDLER: 0
; COMPUTE_PGM_RSRC2:TGID_X_EN: 1
; COMPUTE_PGM_RSRC2:TGID_Y_EN: 0
; COMPUTE_PGM_RSRC2:TGID_Z_EN: 0
; COMPUTE_PGM_RSRC2:TIDIG_COMP_CNT: 0
; COMPUTE_PGM_RSRC3_GFX90A:ACCUM_OFFSET: 0
; COMPUTE_PGM_RSRC3_GFX90A:TG_SPLIT: 0
	.section	.text._ZN7rocprim17ROCPRIM_400000_NS6detail17trampoline_kernelINS0_14default_configENS1_20scan_config_selectorIiEEZZNS1_9scan_implILNS1_25lookback_scan_determinismE0ELb0ELb1ES3_N6thrust23THRUST_200600_302600_NS6detail15normal_iteratorINS9_10device_ptrIiEEEESE_iNS9_4plusIiEEiEEDaPvRmT3_T4_T5_mT6_P12ihipStream_tbENKUlT_T0_E_clISt17integral_constantIbLb1EEST_IbLb0EEEEDaSP_SQ_EUlSP_E0_NS1_11comp_targetILNS1_3genE10ELNS1_11target_archE1201ELNS1_3gpuE5ELNS1_3repE0EEENS1_30default_config_static_selectorELNS0_4arch9wavefront6targetE1EEEvT1_,"axG",@progbits,_ZN7rocprim17ROCPRIM_400000_NS6detail17trampoline_kernelINS0_14default_configENS1_20scan_config_selectorIiEEZZNS1_9scan_implILNS1_25lookback_scan_determinismE0ELb0ELb1ES3_N6thrust23THRUST_200600_302600_NS6detail15normal_iteratorINS9_10device_ptrIiEEEESE_iNS9_4plusIiEEiEEDaPvRmT3_T4_T5_mT6_P12ihipStream_tbENKUlT_T0_E_clISt17integral_constantIbLb1EEST_IbLb0EEEEDaSP_SQ_EUlSP_E0_NS1_11comp_targetILNS1_3genE10ELNS1_11target_archE1201ELNS1_3gpuE5ELNS1_3repE0EEENS1_30default_config_static_selectorELNS0_4arch9wavefront6targetE1EEEvT1_,comdat
	.protected	_ZN7rocprim17ROCPRIM_400000_NS6detail17trampoline_kernelINS0_14default_configENS1_20scan_config_selectorIiEEZZNS1_9scan_implILNS1_25lookback_scan_determinismE0ELb0ELb1ES3_N6thrust23THRUST_200600_302600_NS6detail15normal_iteratorINS9_10device_ptrIiEEEESE_iNS9_4plusIiEEiEEDaPvRmT3_T4_T5_mT6_P12ihipStream_tbENKUlT_T0_E_clISt17integral_constantIbLb1EEST_IbLb0EEEEDaSP_SQ_EUlSP_E0_NS1_11comp_targetILNS1_3genE10ELNS1_11target_archE1201ELNS1_3gpuE5ELNS1_3repE0EEENS1_30default_config_static_selectorELNS0_4arch9wavefront6targetE1EEEvT1_ ; -- Begin function _ZN7rocprim17ROCPRIM_400000_NS6detail17trampoline_kernelINS0_14default_configENS1_20scan_config_selectorIiEEZZNS1_9scan_implILNS1_25lookback_scan_determinismE0ELb0ELb1ES3_N6thrust23THRUST_200600_302600_NS6detail15normal_iteratorINS9_10device_ptrIiEEEESE_iNS9_4plusIiEEiEEDaPvRmT3_T4_T5_mT6_P12ihipStream_tbENKUlT_T0_E_clISt17integral_constantIbLb1EEST_IbLb0EEEEDaSP_SQ_EUlSP_E0_NS1_11comp_targetILNS1_3genE10ELNS1_11target_archE1201ELNS1_3gpuE5ELNS1_3repE0EEENS1_30default_config_static_selectorELNS0_4arch9wavefront6targetE1EEEvT1_
	.globl	_ZN7rocprim17ROCPRIM_400000_NS6detail17trampoline_kernelINS0_14default_configENS1_20scan_config_selectorIiEEZZNS1_9scan_implILNS1_25lookback_scan_determinismE0ELb0ELb1ES3_N6thrust23THRUST_200600_302600_NS6detail15normal_iteratorINS9_10device_ptrIiEEEESE_iNS9_4plusIiEEiEEDaPvRmT3_T4_T5_mT6_P12ihipStream_tbENKUlT_T0_E_clISt17integral_constantIbLb1EEST_IbLb0EEEEDaSP_SQ_EUlSP_E0_NS1_11comp_targetILNS1_3genE10ELNS1_11target_archE1201ELNS1_3gpuE5ELNS1_3repE0EEENS1_30default_config_static_selectorELNS0_4arch9wavefront6targetE1EEEvT1_
	.p2align	8
	.type	_ZN7rocprim17ROCPRIM_400000_NS6detail17trampoline_kernelINS0_14default_configENS1_20scan_config_selectorIiEEZZNS1_9scan_implILNS1_25lookback_scan_determinismE0ELb0ELb1ES3_N6thrust23THRUST_200600_302600_NS6detail15normal_iteratorINS9_10device_ptrIiEEEESE_iNS9_4plusIiEEiEEDaPvRmT3_T4_T5_mT6_P12ihipStream_tbENKUlT_T0_E_clISt17integral_constantIbLb1EEST_IbLb0EEEEDaSP_SQ_EUlSP_E0_NS1_11comp_targetILNS1_3genE10ELNS1_11target_archE1201ELNS1_3gpuE5ELNS1_3repE0EEENS1_30default_config_static_selectorELNS0_4arch9wavefront6targetE1EEEvT1_,@function
_ZN7rocprim17ROCPRIM_400000_NS6detail17trampoline_kernelINS0_14default_configENS1_20scan_config_selectorIiEEZZNS1_9scan_implILNS1_25lookback_scan_determinismE0ELb0ELb1ES3_N6thrust23THRUST_200600_302600_NS6detail15normal_iteratorINS9_10device_ptrIiEEEESE_iNS9_4plusIiEEiEEDaPvRmT3_T4_T5_mT6_P12ihipStream_tbENKUlT_T0_E_clISt17integral_constantIbLb1EEST_IbLb0EEEEDaSP_SQ_EUlSP_E0_NS1_11comp_targetILNS1_3genE10ELNS1_11target_archE1201ELNS1_3gpuE5ELNS1_3repE0EEENS1_30default_config_static_selectorELNS0_4arch9wavefront6targetE1EEEvT1_: ; @_ZN7rocprim17ROCPRIM_400000_NS6detail17trampoline_kernelINS0_14default_configENS1_20scan_config_selectorIiEEZZNS1_9scan_implILNS1_25lookback_scan_determinismE0ELb0ELb1ES3_N6thrust23THRUST_200600_302600_NS6detail15normal_iteratorINS9_10device_ptrIiEEEESE_iNS9_4plusIiEEiEEDaPvRmT3_T4_T5_mT6_P12ihipStream_tbENKUlT_T0_E_clISt17integral_constantIbLb1EEST_IbLb0EEEEDaSP_SQ_EUlSP_E0_NS1_11comp_targetILNS1_3genE10ELNS1_11target_archE1201ELNS1_3gpuE5ELNS1_3repE0EEENS1_30default_config_static_selectorELNS0_4arch9wavefront6targetE1EEEvT1_
; %bb.0:
	.section	.rodata,"a",@progbits
	.p2align	6, 0x0
	.amdhsa_kernel _ZN7rocprim17ROCPRIM_400000_NS6detail17trampoline_kernelINS0_14default_configENS1_20scan_config_selectorIiEEZZNS1_9scan_implILNS1_25lookback_scan_determinismE0ELb0ELb1ES3_N6thrust23THRUST_200600_302600_NS6detail15normal_iteratorINS9_10device_ptrIiEEEESE_iNS9_4plusIiEEiEEDaPvRmT3_T4_T5_mT6_P12ihipStream_tbENKUlT_T0_E_clISt17integral_constantIbLb1EEST_IbLb0EEEEDaSP_SQ_EUlSP_E0_NS1_11comp_targetILNS1_3genE10ELNS1_11target_archE1201ELNS1_3gpuE5ELNS1_3repE0EEENS1_30default_config_static_selectorELNS0_4arch9wavefront6targetE1EEEvT1_
		.amdhsa_group_segment_fixed_size 0
		.amdhsa_private_segment_fixed_size 0
		.amdhsa_kernarg_size 32
		.amdhsa_user_sgpr_count 6
		.amdhsa_user_sgpr_private_segment_buffer 1
		.amdhsa_user_sgpr_dispatch_ptr 0
		.amdhsa_user_sgpr_queue_ptr 0
		.amdhsa_user_sgpr_kernarg_segment_ptr 1
		.amdhsa_user_sgpr_dispatch_id 0
		.amdhsa_user_sgpr_flat_scratch_init 0
		.amdhsa_user_sgpr_kernarg_preload_length 0
		.amdhsa_user_sgpr_kernarg_preload_offset 0
		.amdhsa_user_sgpr_private_segment_size 0
		.amdhsa_uses_dynamic_stack 0
		.amdhsa_system_sgpr_private_segment_wavefront_offset 0
		.amdhsa_system_sgpr_workgroup_id_x 1
		.amdhsa_system_sgpr_workgroup_id_y 0
		.amdhsa_system_sgpr_workgroup_id_z 0
		.amdhsa_system_sgpr_workgroup_info 0
		.amdhsa_system_vgpr_workitem_id 0
		.amdhsa_next_free_vgpr 1
		.amdhsa_next_free_sgpr 0
		.amdhsa_accum_offset 4
		.amdhsa_reserve_vcc 0
		.amdhsa_reserve_flat_scratch 0
		.amdhsa_float_round_mode_32 0
		.amdhsa_float_round_mode_16_64 0
		.amdhsa_float_denorm_mode_32 3
		.amdhsa_float_denorm_mode_16_64 3
		.amdhsa_dx10_clamp 1
		.amdhsa_ieee_mode 1
		.amdhsa_fp16_overflow 0
		.amdhsa_tg_split 0
		.amdhsa_exception_fp_ieee_invalid_op 0
		.amdhsa_exception_fp_denorm_src 0
		.amdhsa_exception_fp_ieee_div_zero 0
		.amdhsa_exception_fp_ieee_overflow 0
		.amdhsa_exception_fp_ieee_underflow 0
		.amdhsa_exception_fp_ieee_inexact 0
		.amdhsa_exception_int_div_zero 0
	.end_amdhsa_kernel
	.section	.text._ZN7rocprim17ROCPRIM_400000_NS6detail17trampoline_kernelINS0_14default_configENS1_20scan_config_selectorIiEEZZNS1_9scan_implILNS1_25lookback_scan_determinismE0ELb0ELb1ES3_N6thrust23THRUST_200600_302600_NS6detail15normal_iteratorINS9_10device_ptrIiEEEESE_iNS9_4plusIiEEiEEDaPvRmT3_T4_T5_mT6_P12ihipStream_tbENKUlT_T0_E_clISt17integral_constantIbLb1EEST_IbLb0EEEEDaSP_SQ_EUlSP_E0_NS1_11comp_targetILNS1_3genE10ELNS1_11target_archE1201ELNS1_3gpuE5ELNS1_3repE0EEENS1_30default_config_static_selectorELNS0_4arch9wavefront6targetE1EEEvT1_,"axG",@progbits,_ZN7rocprim17ROCPRIM_400000_NS6detail17trampoline_kernelINS0_14default_configENS1_20scan_config_selectorIiEEZZNS1_9scan_implILNS1_25lookback_scan_determinismE0ELb0ELb1ES3_N6thrust23THRUST_200600_302600_NS6detail15normal_iteratorINS9_10device_ptrIiEEEESE_iNS9_4plusIiEEiEEDaPvRmT3_T4_T5_mT6_P12ihipStream_tbENKUlT_T0_E_clISt17integral_constantIbLb1EEST_IbLb0EEEEDaSP_SQ_EUlSP_E0_NS1_11comp_targetILNS1_3genE10ELNS1_11target_archE1201ELNS1_3gpuE5ELNS1_3repE0EEENS1_30default_config_static_selectorELNS0_4arch9wavefront6targetE1EEEvT1_,comdat
.Lfunc_end782:
	.size	_ZN7rocprim17ROCPRIM_400000_NS6detail17trampoline_kernelINS0_14default_configENS1_20scan_config_selectorIiEEZZNS1_9scan_implILNS1_25lookback_scan_determinismE0ELb0ELb1ES3_N6thrust23THRUST_200600_302600_NS6detail15normal_iteratorINS9_10device_ptrIiEEEESE_iNS9_4plusIiEEiEEDaPvRmT3_T4_T5_mT6_P12ihipStream_tbENKUlT_T0_E_clISt17integral_constantIbLb1EEST_IbLb0EEEEDaSP_SQ_EUlSP_E0_NS1_11comp_targetILNS1_3genE10ELNS1_11target_archE1201ELNS1_3gpuE5ELNS1_3repE0EEENS1_30default_config_static_selectorELNS0_4arch9wavefront6targetE1EEEvT1_, .Lfunc_end782-_ZN7rocprim17ROCPRIM_400000_NS6detail17trampoline_kernelINS0_14default_configENS1_20scan_config_selectorIiEEZZNS1_9scan_implILNS1_25lookback_scan_determinismE0ELb0ELb1ES3_N6thrust23THRUST_200600_302600_NS6detail15normal_iteratorINS9_10device_ptrIiEEEESE_iNS9_4plusIiEEiEEDaPvRmT3_T4_T5_mT6_P12ihipStream_tbENKUlT_T0_E_clISt17integral_constantIbLb1EEST_IbLb0EEEEDaSP_SQ_EUlSP_E0_NS1_11comp_targetILNS1_3genE10ELNS1_11target_archE1201ELNS1_3gpuE5ELNS1_3repE0EEENS1_30default_config_static_selectorELNS0_4arch9wavefront6targetE1EEEvT1_
                                        ; -- End function
	.section	.AMDGPU.csdata,"",@progbits
; Kernel info:
; codeLenInByte = 0
; NumSgprs: 4
; NumVgprs: 0
; NumAgprs: 0
; TotalNumVgprs: 0
; ScratchSize: 0
; MemoryBound: 0
; FloatMode: 240
; IeeeMode: 1
; LDSByteSize: 0 bytes/workgroup (compile time only)
; SGPRBlocks: 0
; VGPRBlocks: 0
; NumSGPRsForWavesPerEU: 4
; NumVGPRsForWavesPerEU: 1
; AccumOffset: 4
; Occupancy: 8
; WaveLimiterHint : 0
; COMPUTE_PGM_RSRC2:SCRATCH_EN: 0
; COMPUTE_PGM_RSRC2:USER_SGPR: 6
; COMPUTE_PGM_RSRC2:TRAP_HANDLER: 0
; COMPUTE_PGM_RSRC2:TGID_X_EN: 1
; COMPUTE_PGM_RSRC2:TGID_Y_EN: 0
; COMPUTE_PGM_RSRC2:TGID_Z_EN: 0
; COMPUTE_PGM_RSRC2:TIDIG_COMP_CNT: 0
; COMPUTE_PGM_RSRC3_GFX90A:ACCUM_OFFSET: 0
; COMPUTE_PGM_RSRC3_GFX90A:TG_SPLIT: 0
	.section	.text._ZN7rocprim17ROCPRIM_400000_NS6detail17trampoline_kernelINS0_14default_configENS1_20scan_config_selectorIiEEZZNS1_9scan_implILNS1_25lookback_scan_determinismE0ELb0ELb1ES3_N6thrust23THRUST_200600_302600_NS6detail15normal_iteratorINS9_10device_ptrIiEEEESE_iNS9_4plusIiEEiEEDaPvRmT3_T4_T5_mT6_P12ihipStream_tbENKUlT_T0_E_clISt17integral_constantIbLb1EEST_IbLb0EEEEDaSP_SQ_EUlSP_E0_NS1_11comp_targetILNS1_3genE10ELNS1_11target_archE1200ELNS1_3gpuE4ELNS1_3repE0EEENS1_30default_config_static_selectorELNS0_4arch9wavefront6targetE1EEEvT1_,"axG",@progbits,_ZN7rocprim17ROCPRIM_400000_NS6detail17trampoline_kernelINS0_14default_configENS1_20scan_config_selectorIiEEZZNS1_9scan_implILNS1_25lookback_scan_determinismE0ELb0ELb1ES3_N6thrust23THRUST_200600_302600_NS6detail15normal_iteratorINS9_10device_ptrIiEEEESE_iNS9_4plusIiEEiEEDaPvRmT3_T4_T5_mT6_P12ihipStream_tbENKUlT_T0_E_clISt17integral_constantIbLb1EEST_IbLb0EEEEDaSP_SQ_EUlSP_E0_NS1_11comp_targetILNS1_3genE10ELNS1_11target_archE1200ELNS1_3gpuE4ELNS1_3repE0EEENS1_30default_config_static_selectorELNS0_4arch9wavefront6targetE1EEEvT1_,comdat
	.protected	_ZN7rocprim17ROCPRIM_400000_NS6detail17trampoline_kernelINS0_14default_configENS1_20scan_config_selectorIiEEZZNS1_9scan_implILNS1_25lookback_scan_determinismE0ELb0ELb1ES3_N6thrust23THRUST_200600_302600_NS6detail15normal_iteratorINS9_10device_ptrIiEEEESE_iNS9_4plusIiEEiEEDaPvRmT3_T4_T5_mT6_P12ihipStream_tbENKUlT_T0_E_clISt17integral_constantIbLb1EEST_IbLb0EEEEDaSP_SQ_EUlSP_E0_NS1_11comp_targetILNS1_3genE10ELNS1_11target_archE1200ELNS1_3gpuE4ELNS1_3repE0EEENS1_30default_config_static_selectorELNS0_4arch9wavefront6targetE1EEEvT1_ ; -- Begin function _ZN7rocprim17ROCPRIM_400000_NS6detail17trampoline_kernelINS0_14default_configENS1_20scan_config_selectorIiEEZZNS1_9scan_implILNS1_25lookback_scan_determinismE0ELb0ELb1ES3_N6thrust23THRUST_200600_302600_NS6detail15normal_iteratorINS9_10device_ptrIiEEEESE_iNS9_4plusIiEEiEEDaPvRmT3_T4_T5_mT6_P12ihipStream_tbENKUlT_T0_E_clISt17integral_constantIbLb1EEST_IbLb0EEEEDaSP_SQ_EUlSP_E0_NS1_11comp_targetILNS1_3genE10ELNS1_11target_archE1200ELNS1_3gpuE4ELNS1_3repE0EEENS1_30default_config_static_selectorELNS0_4arch9wavefront6targetE1EEEvT1_
	.globl	_ZN7rocprim17ROCPRIM_400000_NS6detail17trampoline_kernelINS0_14default_configENS1_20scan_config_selectorIiEEZZNS1_9scan_implILNS1_25lookback_scan_determinismE0ELb0ELb1ES3_N6thrust23THRUST_200600_302600_NS6detail15normal_iteratorINS9_10device_ptrIiEEEESE_iNS9_4plusIiEEiEEDaPvRmT3_T4_T5_mT6_P12ihipStream_tbENKUlT_T0_E_clISt17integral_constantIbLb1EEST_IbLb0EEEEDaSP_SQ_EUlSP_E0_NS1_11comp_targetILNS1_3genE10ELNS1_11target_archE1200ELNS1_3gpuE4ELNS1_3repE0EEENS1_30default_config_static_selectorELNS0_4arch9wavefront6targetE1EEEvT1_
	.p2align	8
	.type	_ZN7rocprim17ROCPRIM_400000_NS6detail17trampoline_kernelINS0_14default_configENS1_20scan_config_selectorIiEEZZNS1_9scan_implILNS1_25lookback_scan_determinismE0ELb0ELb1ES3_N6thrust23THRUST_200600_302600_NS6detail15normal_iteratorINS9_10device_ptrIiEEEESE_iNS9_4plusIiEEiEEDaPvRmT3_T4_T5_mT6_P12ihipStream_tbENKUlT_T0_E_clISt17integral_constantIbLb1EEST_IbLb0EEEEDaSP_SQ_EUlSP_E0_NS1_11comp_targetILNS1_3genE10ELNS1_11target_archE1200ELNS1_3gpuE4ELNS1_3repE0EEENS1_30default_config_static_selectorELNS0_4arch9wavefront6targetE1EEEvT1_,@function
_ZN7rocprim17ROCPRIM_400000_NS6detail17trampoline_kernelINS0_14default_configENS1_20scan_config_selectorIiEEZZNS1_9scan_implILNS1_25lookback_scan_determinismE0ELb0ELb1ES3_N6thrust23THRUST_200600_302600_NS6detail15normal_iteratorINS9_10device_ptrIiEEEESE_iNS9_4plusIiEEiEEDaPvRmT3_T4_T5_mT6_P12ihipStream_tbENKUlT_T0_E_clISt17integral_constantIbLb1EEST_IbLb0EEEEDaSP_SQ_EUlSP_E0_NS1_11comp_targetILNS1_3genE10ELNS1_11target_archE1200ELNS1_3gpuE4ELNS1_3repE0EEENS1_30default_config_static_selectorELNS0_4arch9wavefront6targetE1EEEvT1_: ; @_ZN7rocprim17ROCPRIM_400000_NS6detail17trampoline_kernelINS0_14default_configENS1_20scan_config_selectorIiEEZZNS1_9scan_implILNS1_25lookback_scan_determinismE0ELb0ELb1ES3_N6thrust23THRUST_200600_302600_NS6detail15normal_iteratorINS9_10device_ptrIiEEEESE_iNS9_4plusIiEEiEEDaPvRmT3_T4_T5_mT6_P12ihipStream_tbENKUlT_T0_E_clISt17integral_constantIbLb1EEST_IbLb0EEEEDaSP_SQ_EUlSP_E0_NS1_11comp_targetILNS1_3genE10ELNS1_11target_archE1200ELNS1_3gpuE4ELNS1_3repE0EEENS1_30default_config_static_selectorELNS0_4arch9wavefront6targetE1EEEvT1_
; %bb.0:
	.section	.rodata,"a",@progbits
	.p2align	6, 0x0
	.amdhsa_kernel _ZN7rocprim17ROCPRIM_400000_NS6detail17trampoline_kernelINS0_14default_configENS1_20scan_config_selectorIiEEZZNS1_9scan_implILNS1_25lookback_scan_determinismE0ELb0ELb1ES3_N6thrust23THRUST_200600_302600_NS6detail15normal_iteratorINS9_10device_ptrIiEEEESE_iNS9_4plusIiEEiEEDaPvRmT3_T4_T5_mT6_P12ihipStream_tbENKUlT_T0_E_clISt17integral_constantIbLb1EEST_IbLb0EEEEDaSP_SQ_EUlSP_E0_NS1_11comp_targetILNS1_3genE10ELNS1_11target_archE1200ELNS1_3gpuE4ELNS1_3repE0EEENS1_30default_config_static_selectorELNS0_4arch9wavefront6targetE1EEEvT1_
		.amdhsa_group_segment_fixed_size 0
		.amdhsa_private_segment_fixed_size 0
		.amdhsa_kernarg_size 32
		.amdhsa_user_sgpr_count 6
		.amdhsa_user_sgpr_private_segment_buffer 1
		.amdhsa_user_sgpr_dispatch_ptr 0
		.amdhsa_user_sgpr_queue_ptr 0
		.amdhsa_user_sgpr_kernarg_segment_ptr 1
		.amdhsa_user_sgpr_dispatch_id 0
		.amdhsa_user_sgpr_flat_scratch_init 0
		.amdhsa_user_sgpr_kernarg_preload_length 0
		.amdhsa_user_sgpr_kernarg_preload_offset 0
		.amdhsa_user_sgpr_private_segment_size 0
		.amdhsa_uses_dynamic_stack 0
		.amdhsa_system_sgpr_private_segment_wavefront_offset 0
		.amdhsa_system_sgpr_workgroup_id_x 1
		.amdhsa_system_sgpr_workgroup_id_y 0
		.amdhsa_system_sgpr_workgroup_id_z 0
		.amdhsa_system_sgpr_workgroup_info 0
		.amdhsa_system_vgpr_workitem_id 0
		.amdhsa_next_free_vgpr 1
		.amdhsa_next_free_sgpr 0
		.amdhsa_accum_offset 4
		.amdhsa_reserve_vcc 0
		.amdhsa_reserve_flat_scratch 0
		.amdhsa_float_round_mode_32 0
		.amdhsa_float_round_mode_16_64 0
		.amdhsa_float_denorm_mode_32 3
		.amdhsa_float_denorm_mode_16_64 3
		.amdhsa_dx10_clamp 1
		.amdhsa_ieee_mode 1
		.amdhsa_fp16_overflow 0
		.amdhsa_tg_split 0
		.amdhsa_exception_fp_ieee_invalid_op 0
		.amdhsa_exception_fp_denorm_src 0
		.amdhsa_exception_fp_ieee_div_zero 0
		.amdhsa_exception_fp_ieee_overflow 0
		.amdhsa_exception_fp_ieee_underflow 0
		.amdhsa_exception_fp_ieee_inexact 0
		.amdhsa_exception_int_div_zero 0
	.end_amdhsa_kernel
	.section	.text._ZN7rocprim17ROCPRIM_400000_NS6detail17trampoline_kernelINS0_14default_configENS1_20scan_config_selectorIiEEZZNS1_9scan_implILNS1_25lookback_scan_determinismE0ELb0ELb1ES3_N6thrust23THRUST_200600_302600_NS6detail15normal_iteratorINS9_10device_ptrIiEEEESE_iNS9_4plusIiEEiEEDaPvRmT3_T4_T5_mT6_P12ihipStream_tbENKUlT_T0_E_clISt17integral_constantIbLb1EEST_IbLb0EEEEDaSP_SQ_EUlSP_E0_NS1_11comp_targetILNS1_3genE10ELNS1_11target_archE1200ELNS1_3gpuE4ELNS1_3repE0EEENS1_30default_config_static_selectorELNS0_4arch9wavefront6targetE1EEEvT1_,"axG",@progbits,_ZN7rocprim17ROCPRIM_400000_NS6detail17trampoline_kernelINS0_14default_configENS1_20scan_config_selectorIiEEZZNS1_9scan_implILNS1_25lookback_scan_determinismE0ELb0ELb1ES3_N6thrust23THRUST_200600_302600_NS6detail15normal_iteratorINS9_10device_ptrIiEEEESE_iNS9_4plusIiEEiEEDaPvRmT3_T4_T5_mT6_P12ihipStream_tbENKUlT_T0_E_clISt17integral_constantIbLb1EEST_IbLb0EEEEDaSP_SQ_EUlSP_E0_NS1_11comp_targetILNS1_3genE10ELNS1_11target_archE1200ELNS1_3gpuE4ELNS1_3repE0EEENS1_30default_config_static_selectorELNS0_4arch9wavefront6targetE1EEEvT1_,comdat
.Lfunc_end783:
	.size	_ZN7rocprim17ROCPRIM_400000_NS6detail17trampoline_kernelINS0_14default_configENS1_20scan_config_selectorIiEEZZNS1_9scan_implILNS1_25lookback_scan_determinismE0ELb0ELb1ES3_N6thrust23THRUST_200600_302600_NS6detail15normal_iteratorINS9_10device_ptrIiEEEESE_iNS9_4plusIiEEiEEDaPvRmT3_T4_T5_mT6_P12ihipStream_tbENKUlT_T0_E_clISt17integral_constantIbLb1EEST_IbLb0EEEEDaSP_SQ_EUlSP_E0_NS1_11comp_targetILNS1_3genE10ELNS1_11target_archE1200ELNS1_3gpuE4ELNS1_3repE0EEENS1_30default_config_static_selectorELNS0_4arch9wavefront6targetE1EEEvT1_, .Lfunc_end783-_ZN7rocprim17ROCPRIM_400000_NS6detail17trampoline_kernelINS0_14default_configENS1_20scan_config_selectorIiEEZZNS1_9scan_implILNS1_25lookback_scan_determinismE0ELb0ELb1ES3_N6thrust23THRUST_200600_302600_NS6detail15normal_iteratorINS9_10device_ptrIiEEEESE_iNS9_4plusIiEEiEEDaPvRmT3_T4_T5_mT6_P12ihipStream_tbENKUlT_T0_E_clISt17integral_constantIbLb1EEST_IbLb0EEEEDaSP_SQ_EUlSP_E0_NS1_11comp_targetILNS1_3genE10ELNS1_11target_archE1200ELNS1_3gpuE4ELNS1_3repE0EEENS1_30default_config_static_selectorELNS0_4arch9wavefront6targetE1EEEvT1_
                                        ; -- End function
	.section	.AMDGPU.csdata,"",@progbits
; Kernel info:
; codeLenInByte = 0
; NumSgprs: 4
; NumVgprs: 0
; NumAgprs: 0
; TotalNumVgprs: 0
; ScratchSize: 0
; MemoryBound: 0
; FloatMode: 240
; IeeeMode: 1
; LDSByteSize: 0 bytes/workgroup (compile time only)
; SGPRBlocks: 0
; VGPRBlocks: 0
; NumSGPRsForWavesPerEU: 4
; NumVGPRsForWavesPerEU: 1
; AccumOffset: 4
; Occupancy: 8
; WaveLimiterHint : 0
; COMPUTE_PGM_RSRC2:SCRATCH_EN: 0
; COMPUTE_PGM_RSRC2:USER_SGPR: 6
; COMPUTE_PGM_RSRC2:TRAP_HANDLER: 0
; COMPUTE_PGM_RSRC2:TGID_X_EN: 1
; COMPUTE_PGM_RSRC2:TGID_Y_EN: 0
; COMPUTE_PGM_RSRC2:TGID_Z_EN: 0
; COMPUTE_PGM_RSRC2:TIDIG_COMP_CNT: 0
; COMPUTE_PGM_RSRC3_GFX90A:ACCUM_OFFSET: 0
; COMPUTE_PGM_RSRC3_GFX90A:TG_SPLIT: 0
	.section	.text._ZN7rocprim17ROCPRIM_400000_NS6detail17trampoline_kernelINS0_14default_configENS1_20scan_config_selectorIiEEZZNS1_9scan_implILNS1_25lookback_scan_determinismE0ELb0ELb1ES3_N6thrust23THRUST_200600_302600_NS6detail15normal_iteratorINS9_10device_ptrIiEEEESE_iNS9_4plusIiEEiEEDaPvRmT3_T4_T5_mT6_P12ihipStream_tbENKUlT_T0_E_clISt17integral_constantIbLb1EEST_IbLb0EEEEDaSP_SQ_EUlSP_E0_NS1_11comp_targetILNS1_3genE9ELNS1_11target_archE1100ELNS1_3gpuE3ELNS1_3repE0EEENS1_30default_config_static_selectorELNS0_4arch9wavefront6targetE1EEEvT1_,"axG",@progbits,_ZN7rocprim17ROCPRIM_400000_NS6detail17trampoline_kernelINS0_14default_configENS1_20scan_config_selectorIiEEZZNS1_9scan_implILNS1_25lookback_scan_determinismE0ELb0ELb1ES3_N6thrust23THRUST_200600_302600_NS6detail15normal_iteratorINS9_10device_ptrIiEEEESE_iNS9_4plusIiEEiEEDaPvRmT3_T4_T5_mT6_P12ihipStream_tbENKUlT_T0_E_clISt17integral_constantIbLb1EEST_IbLb0EEEEDaSP_SQ_EUlSP_E0_NS1_11comp_targetILNS1_3genE9ELNS1_11target_archE1100ELNS1_3gpuE3ELNS1_3repE0EEENS1_30default_config_static_selectorELNS0_4arch9wavefront6targetE1EEEvT1_,comdat
	.protected	_ZN7rocprim17ROCPRIM_400000_NS6detail17trampoline_kernelINS0_14default_configENS1_20scan_config_selectorIiEEZZNS1_9scan_implILNS1_25lookback_scan_determinismE0ELb0ELb1ES3_N6thrust23THRUST_200600_302600_NS6detail15normal_iteratorINS9_10device_ptrIiEEEESE_iNS9_4plusIiEEiEEDaPvRmT3_T4_T5_mT6_P12ihipStream_tbENKUlT_T0_E_clISt17integral_constantIbLb1EEST_IbLb0EEEEDaSP_SQ_EUlSP_E0_NS1_11comp_targetILNS1_3genE9ELNS1_11target_archE1100ELNS1_3gpuE3ELNS1_3repE0EEENS1_30default_config_static_selectorELNS0_4arch9wavefront6targetE1EEEvT1_ ; -- Begin function _ZN7rocprim17ROCPRIM_400000_NS6detail17trampoline_kernelINS0_14default_configENS1_20scan_config_selectorIiEEZZNS1_9scan_implILNS1_25lookback_scan_determinismE0ELb0ELb1ES3_N6thrust23THRUST_200600_302600_NS6detail15normal_iteratorINS9_10device_ptrIiEEEESE_iNS9_4plusIiEEiEEDaPvRmT3_T4_T5_mT6_P12ihipStream_tbENKUlT_T0_E_clISt17integral_constantIbLb1EEST_IbLb0EEEEDaSP_SQ_EUlSP_E0_NS1_11comp_targetILNS1_3genE9ELNS1_11target_archE1100ELNS1_3gpuE3ELNS1_3repE0EEENS1_30default_config_static_selectorELNS0_4arch9wavefront6targetE1EEEvT1_
	.globl	_ZN7rocprim17ROCPRIM_400000_NS6detail17trampoline_kernelINS0_14default_configENS1_20scan_config_selectorIiEEZZNS1_9scan_implILNS1_25lookback_scan_determinismE0ELb0ELb1ES3_N6thrust23THRUST_200600_302600_NS6detail15normal_iteratorINS9_10device_ptrIiEEEESE_iNS9_4plusIiEEiEEDaPvRmT3_T4_T5_mT6_P12ihipStream_tbENKUlT_T0_E_clISt17integral_constantIbLb1EEST_IbLb0EEEEDaSP_SQ_EUlSP_E0_NS1_11comp_targetILNS1_3genE9ELNS1_11target_archE1100ELNS1_3gpuE3ELNS1_3repE0EEENS1_30default_config_static_selectorELNS0_4arch9wavefront6targetE1EEEvT1_
	.p2align	8
	.type	_ZN7rocprim17ROCPRIM_400000_NS6detail17trampoline_kernelINS0_14default_configENS1_20scan_config_selectorIiEEZZNS1_9scan_implILNS1_25lookback_scan_determinismE0ELb0ELb1ES3_N6thrust23THRUST_200600_302600_NS6detail15normal_iteratorINS9_10device_ptrIiEEEESE_iNS9_4plusIiEEiEEDaPvRmT3_T4_T5_mT6_P12ihipStream_tbENKUlT_T0_E_clISt17integral_constantIbLb1EEST_IbLb0EEEEDaSP_SQ_EUlSP_E0_NS1_11comp_targetILNS1_3genE9ELNS1_11target_archE1100ELNS1_3gpuE3ELNS1_3repE0EEENS1_30default_config_static_selectorELNS0_4arch9wavefront6targetE1EEEvT1_,@function
_ZN7rocprim17ROCPRIM_400000_NS6detail17trampoline_kernelINS0_14default_configENS1_20scan_config_selectorIiEEZZNS1_9scan_implILNS1_25lookback_scan_determinismE0ELb0ELb1ES3_N6thrust23THRUST_200600_302600_NS6detail15normal_iteratorINS9_10device_ptrIiEEEESE_iNS9_4plusIiEEiEEDaPvRmT3_T4_T5_mT6_P12ihipStream_tbENKUlT_T0_E_clISt17integral_constantIbLb1EEST_IbLb0EEEEDaSP_SQ_EUlSP_E0_NS1_11comp_targetILNS1_3genE9ELNS1_11target_archE1100ELNS1_3gpuE3ELNS1_3repE0EEENS1_30default_config_static_selectorELNS0_4arch9wavefront6targetE1EEEvT1_: ; @_ZN7rocprim17ROCPRIM_400000_NS6detail17trampoline_kernelINS0_14default_configENS1_20scan_config_selectorIiEEZZNS1_9scan_implILNS1_25lookback_scan_determinismE0ELb0ELb1ES3_N6thrust23THRUST_200600_302600_NS6detail15normal_iteratorINS9_10device_ptrIiEEEESE_iNS9_4plusIiEEiEEDaPvRmT3_T4_T5_mT6_P12ihipStream_tbENKUlT_T0_E_clISt17integral_constantIbLb1EEST_IbLb0EEEEDaSP_SQ_EUlSP_E0_NS1_11comp_targetILNS1_3genE9ELNS1_11target_archE1100ELNS1_3gpuE3ELNS1_3repE0EEENS1_30default_config_static_selectorELNS0_4arch9wavefront6targetE1EEEvT1_
; %bb.0:
	.section	.rodata,"a",@progbits
	.p2align	6, 0x0
	.amdhsa_kernel _ZN7rocprim17ROCPRIM_400000_NS6detail17trampoline_kernelINS0_14default_configENS1_20scan_config_selectorIiEEZZNS1_9scan_implILNS1_25lookback_scan_determinismE0ELb0ELb1ES3_N6thrust23THRUST_200600_302600_NS6detail15normal_iteratorINS9_10device_ptrIiEEEESE_iNS9_4plusIiEEiEEDaPvRmT3_T4_T5_mT6_P12ihipStream_tbENKUlT_T0_E_clISt17integral_constantIbLb1EEST_IbLb0EEEEDaSP_SQ_EUlSP_E0_NS1_11comp_targetILNS1_3genE9ELNS1_11target_archE1100ELNS1_3gpuE3ELNS1_3repE0EEENS1_30default_config_static_selectorELNS0_4arch9wavefront6targetE1EEEvT1_
		.amdhsa_group_segment_fixed_size 0
		.amdhsa_private_segment_fixed_size 0
		.amdhsa_kernarg_size 32
		.amdhsa_user_sgpr_count 6
		.amdhsa_user_sgpr_private_segment_buffer 1
		.amdhsa_user_sgpr_dispatch_ptr 0
		.amdhsa_user_sgpr_queue_ptr 0
		.amdhsa_user_sgpr_kernarg_segment_ptr 1
		.amdhsa_user_sgpr_dispatch_id 0
		.amdhsa_user_sgpr_flat_scratch_init 0
		.amdhsa_user_sgpr_kernarg_preload_length 0
		.amdhsa_user_sgpr_kernarg_preload_offset 0
		.amdhsa_user_sgpr_private_segment_size 0
		.amdhsa_uses_dynamic_stack 0
		.amdhsa_system_sgpr_private_segment_wavefront_offset 0
		.amdhsa_system_sgpr_workgroup_id_x 1
		.amdhsa_system_sgpr_workgroup_id_y 0
		.amdhsa_system_sgpr_workgroup_id_z 0
		.amdhsa_system_sgpr_workgroup_info 0
		.amdhsa_system_vgpr_workitem_id 0
		.amdhsa_next_free_vgpr 1
		.amdhsa_next_free_sgpr 0
		.amdhsa_accum_offset 4
		.amdhsa_reserve_vcc 0
		.amdhsa_reserve_flat_scratch 0
		.amdhsa_float_round_mode_32 0
		.amdhsa_float_round_mode_16_64 0
		.amdhsa_float_denorm_mode_32 3
		.amdhsa_float_denorm_mode_16_64 3
		.amdhsa_dx10_clamp 1
		.amdhsa_ieee_mode 1
		.amdhsa_fp16_overflow 0
		.amdhsa_tg_split 0
		.amdhsa_exception_fp_ieee_invalid_op 0
		.amdhsa_exception_fp_denorm_src 0
		.amdhsa_exception_fp_ieee_div_zero 0
		.amdhsa_exception_fp_ieee_overflow 0
		.amdhsa_exception_fp_ieee_underflow 0
		.amdhsa_exception_fp_ieee_inexact 0
		.amdhsa_exception_int_div_zero 0
	.end_amdhsa_kernel
	.section	.text._ZN7rocprim17ROCPRIM_400000_NS6detail17trampoline_kernelINS0_14default_configENS1_20scan_config_selectorIiEEZZNS1_9scan_implILNS1_25lookback_scan_determinismE0ELb0ELb1ES3_N6thrust23THRUST_200600_302600_NS6detail15normal_iteratorINS9_10device_ptrIiEEEESE_iNS9_4plusIiEEiEEDaPvRmT3_T4_T5_mT6_P12ihipStream_tbENKUlT_T0_E_clISt17integral_constantIbLb1EEST_IbLb0EEEEDaSP_SQ_EUlSP_E0_NS1_11comp_targetILNS1_3genE9ELNS1_11target_archE1100ELNS1_3gpuE3ELNS1_3repE0EEENS1_30default_config_static_selectorELNS0_4arch9wavefront6targetE1EEEvT1_,"axG",@progbits,_ZN7rocprim17ROCPRIM_400000_NS6detail17trampoline_kernelINS0_14default_configENS1_20scan_config_selectorIiEEZZNS1_9scan_implILNS1_25lookback_scan_determinismE0ELb0ELb1ES3_N6thrust23THRUST_200600_302600_NS6detail15normal_iteratorINS9_10device_ptrIiEEEESE_iNS9_4plusIiEEiEEDaPvRmT3_T4_T5_mT6_P12ihipStream_tbENKUlT_T0_E_clISt17integral_constantIbLb1EEST_IbLb0EEEEDaSP_SQ_EUlSP_E0_NS1_11comp_targetILNS1_3genE9ELNS1_11target_archE1100ELNS1_3gpuE3ELNS1_3repE0EEENS1_30default_config_static_selectorELNS0_4arch9wavefront6targetE1EEEvT1_,comdat
.Lfunc_end784:
	.size	_ZN7rocprim17ROCPRIM_400000_NS6detail17trampoline_kernelINS0_14default_configENS1_20scan_config_selectorIiEEZZNS1_9scan_implILNS1_25lookback_scan_determinismE0ELb0ELb1ES3_N6thrust23THRUST_200600_302600_NS6detail15normal_iteratorINS9_10device_ptrIiEEEESE_iNS9_4plusIiEEiEEDaPvRmT3_T4_T5_mT6_P12ihipStream_tbENKUlT_T0_E_clISt17integral_constantIbLb1EEST_IbLb0EEEEDaSP_SQ_EUlSP_E0_NS1_11comp_targetILNS1_3genE9ELNS1_11target_archE1100ELNS1_3gpuE3ELNS1_3repE0EEENS1_30default_config_static_selectorELNS0_4arch9wavefront6targetE1EEEvT1_, .Lfunc_end784-_ZN7rocprim17ROCPRIM_400000_NS6detail17trampoline_kernelINS0_14default_configENS1_20scan_config_selectorIiEEZZNS1_9scan_implILNS1_25lookback_scan_determinismE0ELb0ELb1ES3_N6thrust23THRUST_200600_302600_NS6detail15normal_iteratorINS9_10device_ptrIiEEEESE_iNS9_4plusIiEEiEEDaPvRmT3_T4_T5_mT6_P12ihipStream_tbENKUlT_T0_E_clISt17integral_constantIbLb1EEST_IbLb0EEEEDaSP_SQ_EUlSP_E0_NS1_11comp_targetILNS1_3genE9ELNS1_11target_archE1100ELNS1_3gpuE3ELNS1_3repE0EEENS1_30default_config_static_selectorELNS0_4arch9wavefront6targetE1EEEvT1_
                                        ; -- End function
	.section	.AMDGPU.csdata,"",@progbits
; Kernel info:
; codeLenInByte = 0
; NumSgprs: 4
; NumVgprs: 0
; NumAgprs: 0
; TotalNumVgprs: 0
; ScratchSize: 0
; MemoryBound: 0
; FloatMode: 240
; IeeeMode: 1
; LDSByteSize: 0 bytes/workgroup (compile time only)
; SGPRBlocks: 0
; VGPRBlocks: 0
; NumSGPRsForWavesPerEU: 4
; NumVGPRsForWavesPerEU: 1
; AccumOffset: 4
; Occupancy: 8
; WaveLimiterHint : 0
; COMPUTE_PGM_RSRC2:SCRATCH_EN: 0
; COMPUTE_PGM_RSRC2:USER_SGPR: 6
; COMPUTE_PGM_RSRC2:TRAP_HANDLER: 0
; COMPUTE_PGM_RSRC2:TGID_X_EN: 1
; COMPUTE_PGM_RSRC2:TGID_Y_EN: 0
; COMPUTE_PGM_RSRC2:TGID_Z_EN: 0
; COMPUTE_PGM_RSRC2:TIDIG_COMP_CNT: 0
; COMPUTE_PGM_RSRC3_GFX90A:ACCUM_OFFSET: 0
; COMPUTE_PGM_RSRC3_GFX90A:TG_SPLIT: 0
	.section	.text._ZN7rocprim17ROCPRIM_400000_NS6detail17trampoline_kernelINS0_14default_configENS1_20scan_config_selectorIiEEZZNS1_9scan_implILNS1_25lookback_scan_determinismE0ELb0ELb1ES3_N6thrust23THRUST_200600_302600_NS6detail15normal_iteratorINS9_10device_ptrIiEEEESE_iNS9_4plusIiEEiEEDaPvRmT3_T4_T5_mT6_P12ihipStream_tbENKUlT_T0_E_clISt17integral_constantIbLb1EEST_IbLb0EEEEDaSP_SQ_EUlSP_E0_NS1_11comp_targetILNS1_3genE8ELNS1_11target_archE1030ELNS1_3gpuE2ELNS1_3repE0EEENS1_30default_config_static_selectorELNS0_4arch9wavefront6targetE1EEEvT1_,"axG",@progbits,_ZN7rocprim17ROCPRIM_400000_NS6detail17trampoline_kernelINS0_14default_configENS1_20scan_config_selectorIiEEZZNS1_9scan_implILNS1_25lookback_scan_determinismE0ELb0ELb1ES3_N6thrust23THRUST_200600_302600_NS6detail15normal_iteratorINS9_10device_ptrIiEEEESE_iNS9_4plusIiEEiEEDaPvRmT3_T4_T5_mT6_P12ihipStream_tbENKUlT_T0_E_clISt17integral_constantIbLb1EEST_IbLb0EEEEDaSP_SQ_EUlSP_E0_NS1_11comp_targetILNS1_3genE8ELNS1_11target_archE1030ELNS1_3gpuE2ELNS1_3repE0EEENS1_30default_config_static_selectorELNS0_4arch9wavefront6targetE1EEEvT1_,comdat
	.protected	_ZN7rocprim17ROCPRIM_400000_NS6detail17trampoline_kernelINS0_14default_configENS1_20scan_config_selectorIiEEZZNS1_9scan_implILNS1_25lookback_scan_determinismE0ELb0ELb1ES3_N6thrust23THRUST_200600_302600_NS6detail15normal_iteratorINS9_10device_ptrIiEEEESE_iNS9_4plusIiEEiEEDaPvRmT3_T4_T5_mT6_P12ihipStream_tbENKUlT_T0_E_clISt17integral_constantIbLb1EEST_IbLb0EEEEDaSP_SQ_EUlSP_E0_NS1_11comp_targetILNS1_3genE8ELNS1_11target_archE1030ELNS1_3gpuE2ELNS1_3repE0EEENS1_30default_config_static_selectorELNS0_4arch9wavefront6targetE1EEEvT1_ ; -- Begin function _ZN7rocprim17ROCPRIM_400000_NS6detail17trampoline_kernelINS0_14default_configENS1_20scan_config_selectorIiEEZZNS1_9scan_implILNS1_25lookback_scan_determinismE0ELb0ELb1ES3_N6thrust23THRUST_200600_302600_NS6detail15normal_iteratorINS9_10device_ptrIiEEEESE_iNS9_4plusIiEEiEEDaPvRmT3_T4_T5_mT6_P12ihipStream_tbENKUlT_T0_E_clISt17integral_constantIbLb1EEST_IbLb0EEEEDaSP_SQ_EUlSP_E0_NS1_11comp_targetILNS1_3genE8ELNS1_11target_archE1030ELNS1_3gpuE2ELNS1_3repE0EEENS1_30default_config_static_selectorELNS0_4arch9wavefront6targetE1EEEvT1_
	.globl	_ZN7rocprim17ROCPRIM_400000_NS6detail17trampoline_kernelINS0_14default_configENS1_20scan_config_selectorIiEEZZNS1_9scan_implILNS1_25lookback_scan_determinismE0ELb0ELb1ES3_N6thrust23THRUST_200600_302600_NS6detail15normal_iteratorINS9_10device_ptrIiEEEESE_iNS9_4plusIiEEiEEDaPvRmT3_T4_T5_mT6_P12ihipStream_tbENKUlT_T0_E_clISt17integral_constantIbLb1EEST_IbLb0EEEEDaSP_SQ_EUlSP_E0_NS1_11comp_targetILNS1_3genE8ELNS1_11target_archE1030ELNS1_3gpuE2ELNS1_3repE0EEENS1_30default_config_static_selectorELNS0_4arch9wavefront6targetE1EEEvT1_
	.p2align	8
	.type	_ZN7rocprim17ROCPRIM_400000_NS6detail17trampoline_kernelINS0_14default_configENS1_20scan_config_selectorIiEEZZNS1_9scan_implILNS1_25lookback_scan_determinismE0ELb0ELb1ES3_N6thrust23THRUST_200600_302600_NS6detail15normal_iteratorINS9_10device_ptrIiEEEESE_iNS9_4plusIiEEiEEDaPvRmT3_T4_T5_mT6_P12ihipStream_tbENKUlT_T0_E_clISt17integral_constantIbLb1EEST_IbLb0EEEEDaSP_SQ_EUlSP_E0_NS1_11comp_targetILNS1_3genE8ELNS1_11target_archE1030ELNS1_3gpuE2ELNS1_3repE0EEENS1_30default_config_static_selectorELNS0_4arch9wavefront6targetE1EEEvT1_,@function
_ZN7rocprim17ROCPRIM_400000_NS6detail17trampoline_kernelINS0_14default_configENS1_20scan_config_selectorIiEEZZNS1_9scan_implILNS1_25lookback_scan_determinismE0ELb0ELb1ES3_N6thrust23THRUST_200600_302600_NS6detail15normal_iteratorINS9_10device_ptrIiEEEESE_iNS9_4plusIiEEiEEDaPvRmT3_T4_T5_mT6_P12ihipStream_tbENKUlT_T0_E_clISt17integral_constantIbLb1EEST_IbLb0EEEEDaSP_SQ_EUlSP_E0_NS1_11comp_targetILNS1_3genE8ELNS1_11target_archE1030ELNS1_3gpuE2ELNS1_3repE0EEENS1_30default_config_static_selectorELNS0_4arch9wavefront6targetE1EEEvT1_: ; @_ZN7rocprim17ROCPRIM_400000_NS6detail17trampoline_kernelINS0_14default_configENS1_20scan_config_selectorIiEEZZNS1_9scan_implILNS1_25lookback_scan_determinismE0ELb0ELb1ES3_N6thrust23THRUST_200600_302600_NS6detail15normal_iteratorINS9_10device_ptrIiEEEESE_iNS9_4plusIiEEiEEDaPvRmT3_T4_T5_mT6_P12ihipStream_tbENKUlT_T0_E_clISt17integral_constantIbLb1EEST_IbLb0EEEEDaSP_SQ_EUlSP_E0_NS1_11comp_targetILNS1_3genE8ELNS1_11target_archE1030ELNS1_3gpuE2ELNS1_3repE0EEENS1_30default_config_static_selectorELNS0_4arch9wavefront6targetE1EEEvT1_
; %bb.0:
	.section	.rodata,"a",@progbits
	.p2align	6, 0x0
	.amdhsa_kernel _ZN7rocprim17ROCPRIM_400000_NS6detail17trampoline_kernelINS0_14default_configENS1_20scan_config_selectorIiEEZZNS1_9scan_implILNS1_25lookback_scan_determinismE0ELb0ELb1ES3_N6thrust23THRUST_200600_302600_NS6detail15normal_iteratorINS9_10device_ptrIiEEEESE_iNS9_4plusIiEEiEEDaPvRmT3_T4_T5_mT6_P12ihipStream_tbENKUlT_T0_E_clISt17integral_constantIbLb1EEST_IbLb0EEEEDaSP_SQ_EUlSP_E0_NS1_11comp_targetILNS1_3genE8ELNS1_11target_archE1030ELNS1_3gpuE2ELNS1_3repE0EEENS1_30default_config_static_selectorELNS0_4arch9wavefront6targetE1EEEvT1_
		.amdhsa_group_segment_fixed_size 0
		.amdhsa_private_segment_fixed_size 0
		.amdhsa_kernarg_size 32
		.amdhsa_user_sgpr_count 6
		.amdhsa_user_sgpr_private_segment_buffer 1
		.amdhsa_user_sgpr_dispatch_ptr 0
		.amdhsa_user_sgpr_queue_ptr 0
		.amdhsa_user_sgpr_kernarg_segment_ptr 1
		.amdhsa_user_sgpr_dispatch_id 0
		.amdhsa_user_sgpr_flat_scratch_init 0
		.amdhsa_user_sgpr_kernarg_preload_length 0
		.amdhsa_user_sgpr_kernarg_preload_offset 0
		.amdhsa_user_sgpr_private_segment_size 0
		.amdhsa_uses_dynamic_stack 0
		.amdhsa_system_sgpr_private_segment_wavefront_offset 0
		.amdhsa_system_sgpr_workgroup_id_x 1
		.amdhsa_system_sgpr_workgroup_id_y 0
		.amdhsa_system_sgpr_workgroup_id_z 0
		.amdhsa_system_sgpr_workgroup_info 0
		.amdhsa_system_vgpr_workitem_id 0
		.amdhsa_next_free_vgpr 1
		.amdhsa_next_free_sgpr 0
		.amdhsa_accum_offset 4
		.amdhsa_reserve_vcc 0
		.amdhsa_reserve_flat_scratch 0
		.amdhsa_float_round_mode_32 0
		.amdhsa_float_round_mode_16_64 0
		.amdhsa_float_denorm_mode_32 3
		.amdhsa_float_denorm_mode_16_64 3
		.amdhsa_dx10_clamp 1
		.amdhsa_ieee_mode 1
		.amdhsa_fp16_overflow 0
		.amdhsa_tg_split 0
		.amdhsa_exception_fp_ieee_invalid_op 0
		.amdhsa_exception_fp_denorm_src 0
		.amdhsa_exception_fp_ieee_div_zero 0
		.amdhsa_exception_fp_ieee_overflow 0
		.amdhsa_exception_fp_ieee_underflow 0
		.amdhsa_exception_fp_ieee_inexact 0
		.amdhsa_exception_int_div_zero 0
	.end_amdhsa_kernel
	.section	.text._ZN7rocprim17ROCPRIM_400000_NS6detail17trampoline_kernelINS0_14default_configENS1_20scan_config_selectorIiEEZZNS1_9scan_implILNS1_25lookback_scan_determinismE0ELb0ELb1ES3_N6thrust23THRUST_200600_302600_NS6detail15normal_iteratorINS9_10device_ptrIiEEEESE_iNS9_4plusIiEEiEEDaPvRmT3_T4_T5_mT6_P12ihipStream_tbENKUlT_T0_E_clISt17integral_constantIbLb1EEST_IbLb0EEEEDaSP_SQ_EUlSP_E0_NS1_11comp_targetILNS1_3genE8ELNS1_11target_archE1030ELNS1_3gpuE2ELNS1_3repE0EEENS1_30default_config_static_selectorELNS0_4arch9wavefront6targetE1EEEvT1_,"axG",@progbits,_ZN7rocprim17ROCPRIM_400000_NS6detail17trampoline_kernelINS0_14default_configENS1_20scan_config_selectorIiEEZZNS1_9scan_implILNS1_25lookback_scan_determinismE0ELb0ELb1ES3_N6thrust23THRUST_200600_302600_NS6detail15normal_iteratorINS9_10device_ptrIiEEEESE_iNS9_4plusIiEEiEEDaPvRmT3_T4_T5_mT6_P12ihipStream_tbENKUlT_T0_E_clISt17integral_constantIbLb1EEST_IbLb0EEEEDaSP_SQ_EUlSP_E0_NS1_11comp_targetILNS1_3genE8ELNS1_11target_archE1030ELNS1_3gpuE2ELNS1_3repE0EEENS1_30default_config_static_selectorELNS0_4arch9wavefront6targetE1EEEvT1_,comdat
.Lfunc_end785:
	.size	_ZN7rocprim17ROCPRIM_400000_NS6detail17trampoline_kernelINS0_14default_configENS1_20scan_config_selectorIiEEZZNS1_9scan_implILNS1_25lookback_scan_determinismE0ELb0ELb1ES3_N6thrust23THRUST_200600_302600_NS6detail15normal_iteratorINS9_10device_ptrIiEEEESE_iNS9_4plusIiEEiEEDaPvRmT3_T4_T5_mT6_P12ihipStream_tbENKUlT_T0_E_clISt17integral_constantIbLb1EEST_IbLb0EEEEDaSP_SQ_EUlSP_E0_NS1_11comp_targetILNS1_3genE8ELNS1_11target_archE1030ELNS1_3gpuE2ELNS1_3repE0EEENS1_30default_config_static_selectorELNS0_4arch9wavefront6targetE1EEEvT1_, .Lfunc_end785-_ZN7rocprim17ROCPRIM_400000_NS6detail17trampoline_kernelINS0_14default_configENS1_20scan_config_selectorIiEEZZNS1_9scan_implILNS1_25lookback_scan_determinismE0ELb0ELb1ES3_N6thrust23THRUST_200600_302600_NS6detail15normal_iteratorINS9_10device_ptrIiEEEESE_iNS9_4plusIiEEiEEDaPvRmT3_T4_T5_mT6_P12ihipStream_tbENKUlT_T0_E_clISt17integral_constantIbLb1EEST_IbLb0EEEEDaSP_SQ_EUlSP_E0_NS1_11comp_targetILNS1_3genE8ELNS1_11target_archE1030ELNS1_3gpuE2ELNS1_3repE0EEENS1_30default_config_static_selectorELNS0_4arch9wavefront6targetE1EEEvT1_
                                        ; -- End function
	.section	.AMDGPU.csdata,"",@progbits
; Kernel info:
; codeLenInByte = 0
; NumSgprs: 4
; NumVgprs: 0
; NumAgprs: 0
; TotalNumVgprs: 0
; ScratchSize: 0
; MemoryBound: 0
; FloatMode: 240
; IeeeMode: 1
; LDSByteSize: 0 bytes/workgroup (compile time only)
; SGPRBlocks: 0
; VGPRBlocks: 0
; NumSGPRsForWavesPerEU: 4
; NumVGPRsForWavesPerEU: 1
; AccumOffset: 4
; Occupancy: 8
; WaveLimiterHint : 0
; COMPUTE_PGM_RSRC2:SCRATCH_EN: 0
; COMPUTE_PGM_RSRC2:USER_SGPR: 6
; COMPUTE_PGM_RSRC2:TRAP_HANDLER: 0
; COMPUTE_PGM_RSRC2:TGID_X_EN: 1
; COMPUTE_PGM_RSRC2:TGID_Y_EN: 0
; COMPUTE_PGM_RSRC2:TGID_Z_EN: 0
; COMPUTE_PGM_RSRC2:TIDIG_COMP_CNT: 0
; COMPUTE_PGM_RSRC3_GFX90A:ACCUM_OFFSET: 0
; COMPUTE_PGM_RSRC3_GFX90A:TG_SPLIT: 0
	.section	.text._ZN7rocprim17ROCPRIM_400000_NS6detail17trampoline_kernelINS0_14default_configENS1_20scan_config_selectorIiEEZZNS1_9scan_implILNS1_25lookback_scan_determinismE0ELb0ELb1ES3_N6thrust23THRUST_200600_302600_NS6detail15normal_iteratorINS9_10device_ptrIiEEEESE_iNS9_4plusIiEEiEEDaPvRmT3_T4_T5_mT6_P12ihipStream_tbENKUlT_T0_E_clISt17integral_constantIbLb0EEST_IbLb1EEEEDaSP_SQ_EUlSP_E_NS1_11comp_targetILNS1_3genE0ELNS1_11target_archE4294967295ELNS1_3gpuE0ELNS1_3repE0EEENS1_30default_config_static_selectorELNS0_4arch9wavefront6targetE1EEEvT1_,"axG",@progbits,_ZN7rocprim17ROCPRIM_400000_NS6detail17trampoline_kernelINS0_14default_configENS1_20scan_config_selectorIiEEZZNS1_9scan_implILNS1_25lookback_scan_determinismE0ELb0ELb1ES3_N6thrust23THRUST_200600_302600_NS6detail15normal_iteratorINS9_10device_ptrIiEEEESE_iNS9_4plusIiEEiEEDaPvRmT3_T4_T5_mT6_P12ihipStream_tbENKUlT_T0_E_clISt17integral_constantIbLb0EEST_IbLb1EEEEDaSP_SQ_EUlSP_E_NS1_11comp_targetILNS1_3genE0ELNS1_11target_archE4294967295ELNS1_3gpuE0ELNS1_3repE0EEENS1_30default_config_static_selectorELNS0_4arch9wavefront6targetE1EEEvT1_,comdat
	.protected	_ZN7rocprim17ROCPRIM_400000_NS6detail17trampoline_kernelINS0_14default_configENS1_20scan_config_selectorIiEEZZNS1_9scan_implILNS1_25lookback_scan_determinismE0ELb0ELb1ES3_N6thrust23THRUST_200600_302600_NS6detail15normal_iteratorINS9_10device_ptrIiEEEESE_iNS9_4plusIiEEiEEDaPvRmT3_T4_T5_mT6_P12ihipStream_tbENKUlT_T0_E_clISt17integral_constantIbLb0EEST_IbLb1EEEEDaSP_SQ_EUlSP_E_NS1_11comp_targetILNS1_3genE0ELNS1_11target_archE4294967295ELNS1_3gpuE0ELNS1_3repE0EEENS1_30default_config_static_selectorELNS0_4arch9wavefront6targetE1EEEvT1_ ; -- Begin function _ZN7rocprim17ROCPRIM_400000_NS6detail17trampoline_kernelINS0_14default_configENS1_20scan_config_selectorIiEEZZNS1_9scan_implILNS1_25lookback_scan_determinismE0ELb0ELb1ES3_N6thrust23THRUST_200600_302600_NS6detail15normal_iteratorINS9_10device_ptrIiEEEESE_iNS9_4plusIiEEiEEDaPvRmT3_T4_T5_mT6_P12ihipStream_tbENKUlT_T0_E_clISt17integral_constantIbLb0EEST_IbLb1EEEEDaSP_SQ_EUlSP_E_NS1_11comp_targetILNS1_3genE0ELNS1_11target_archE4294967295ELNS1_3gpuE0ELNS1_3repE0EEENS1_30default_config_static_selectorELNS0_4arch9wavefront6targetE1EEEvT1_
	.globl	_ZN7rocprim17ROCPRIM_400000_NS6detail17trampoline_kernelINS0_14default_configENS1_20scan_config_selectorIiEEZZNS1_9scan_implILNS1_25lookback_scan_determinismE0ELb0ELb1ES3_N6thrust23THRUST_200600_302600_NS6detail15normal_iteratorINS9_10device_ptrIiEEEESE_iNS9_4plusIiEEiEEDaPvRmT3_T4_T5_mT6_P12ihipStream_tbENKUlT_T0_E_clISt17integral_constantIbLb0EEST_IbLb1EEEEDaSP_SQ_EUlSP_E_NS1_11comp_targetILNS1_3genE0ELNS1_11target_archE4294967295ELNS1_3gpuE0ELNS1_3repE0EEENS1_30default_config_static_selectorELNS0_4arch9wavefront6targetE1EEEvT1_
	.p2align	8
	.type	_ZN7rocprim17ROCPRIM_400000_NS6detail17trampoline_kernelINS0_14default_configENS1_20scan_config_selectorIiEEZZNS1_9scan_implILNS1_25lookback_scan_determinismE0ELb0ELb1ES3_N6thrust23THRUST_200600_302600_NS6detail15normal_iteratorINS9_10device_ptrIiEEEESE_iNS9_4plusIiEEiEEDaPvRmT3_T4_T5_mT6_P12ihipStream_tbENKUlT_T0_E_clISt17integral_constantIbLb0EEST_IbLb1EEEEDaSP_SQ_EUlSP_E_NS1_11comp_targetILNS1_3genE0ELNS1_11target_archE4294967295ELNS1_3gpuE0ELNS1_3repE0EEENS1_30default_config_static_selectorELNS0_4arch9wavefront6targetE1EEEvT1_,@function
_ZN7rocprim17ROCPRIM_400000_NS6detail17trampoline_kernelINS0_14default_configENS1_20scan_config_selectorIiEEZZNS1_9scan_implILNS1_25lookback_scan_determinismE0ELb0ELb1ES3_N6thrust23THRUST_200600_302600_NS6detail15normal_iteratorINS9_10device_ptrIiEEEESE_iNS9_4plusIiEEiEEDaPvRmT3_T4_T5_mT6_P12ihipStream_tbENKUlT_T0_E_clISt17integral_constantIbLb0EEST_IbLb1EEEEDaSP_SQ_EUlSP_E_NS1_11comp_targetILNS1_3genE0ELNS1_11target_archE4294967295ELNS1_3gpuE0ELNS1_3repE0EEENS1_30default_config_static_selectorELNS0_4arch9wavefront6targetE1EEEvT1_: ; @_ZN7rocprim17ROCPRIM_400000_NS6detail17trampoline_kernelINS0_14default_configENS1_20scan_config_selectorIiEEZZNS1_9scan_implILNS1_25lookback_scan_determinismE0ELb0ELb1ES3_N6thrust23THRUST_200600_302600_NS6detail15normal_iteratorINS9_10device_ptrIiEEEESE_iNS9_4plusIiEEiEEDaPvRmT3_T4_T5_mT6_P12ihipStream_tbENKUlT_T0_E_clISt17integral_constantIbLb0EEST_IbLb1EEEEDaSP_SQ_EUlSP_E_NS1_11comp_targetILNS1_3genE0ELNS1_11target_archE4294967295ELNS1_3gpuE0ELNS1_3repE0EEENS1_30default_config_static_selectorELNS0_4arch9wavefront6targetE1EEEvT1_
; %bb.0:
	.section	.rodata,"a",@progbits
	.p2align	6, 0x0
	.amdhsa_kernel _ZN7rocprim17ROCPRIM_400000_NS6detail17trampoline_kernelINS0_14default_configENS1_20scan_config_selectorIiEEZZNS1_9scan_implILNS1_25lookback_scan_determinismE0ELb0ELb1ES3_N6thrust23THRUST_200600_302600_NS6detail15normal_iteratorINS9_10device_ptrIiEEEESE_iNS9_4plusIiEEiEEDaPvRmT3_T4_T5_mT6_P12ihipStream_tbENKUlT_T0_E_clISt17integral_constantIbLb0EEST_IbLb1EEEEDaSP_SQ_EUlSP_E_NS1_11comp_targetILNS1_3genE0ELNS1_11target_archE4294967295ELNS1_3gpuE0ELNS1_3repE0EEENS1_30default_config_static_selectorELNS0_4arch9wavefront6targetE1EEEvT1_
		.amdhsa_group_segment_fixed_size 0
		.amdhsa_private_segment_fixed_size 0
		.amdhsa_kernarg_size 96
		.amdhsa_user_sgpr_count 6
		.amdhsa_user_sgpr_private_segment_buffer 1
		.amdhsa_user_sgpr_dispatch_ptr 0
		.amdhsa_user_sgpr_queue_ptr 0
		.amdhsa_user_sgpr_kernarg_segment_ptr 1
		.amdhsa_user_sgpr_dispatch_id 0
		.amdhsa_user_sgpr_flat_scratch_init 0
		.amdhsa_user_sgpr_kernarg_preload_length 0
		.amdhsa_user_sgpr_kernarg_preload_offset 0
		.amdhsa_user_sgpr_private_segment_size 0
		.amdhsa_uses_dynamic_stack 0
		.amdhsa_system_sgpr_private_segment_wavefront_offset 0
		.amdhsa_system_sgpr_workgroup_id_x 1
		.amdhsa_system_sgpr_workgroup_id_y 0
		.amdhsa_system_sgpr_workgroup_id_z 0
		.amdhsa_system_sgpr_workgroup_info 0
		.amdhsa_system_vgpr_workitem_id 0
		.amdhsa_next_free_vgpr 1
		.amdhsa_next_free_sgpr 0
		.amdhsa_accum_offset 4
		.amdhsa_reserve_vcc 0
		.amdhsa_reserve_flat_scratch 0
		.amdhsa_float_round_mode_32 0
		.amdhsa_float_round_mode_16_64 0
		.amdhsa_float_denorm_mode_32 3
		.amdhsa_float_denorm_mode_16_64 3
		.amdhsa_dx10_clamp 1
		.amdhsa_ieee_mode 1
		.amdhsa_fp16_overflow 0
		.amdhsa_tg_split 0
		.amdhsa_exception_fp_ieee_invalid_op 0
		.amdhsa_exception_fp_denorm_src 0
		.amdhsa_exception_fp_ieee_div_zero 0
		.amdhsa_exception_fp_ieee_overflow 0
		.amdhsa_exception_fp_ieee_underflow 0
		.amdhsa_exception_fp_ieee_inexact 0
		.amdhsa_exception_int_div_zero 0
	.end_amdhsa_kernel
	.section	.text._ZN7rocprim17ROCPRIM_400000_NS6detail17trampoline_kernelINS0_14default_configENS1_20scan_config_selectorIiEEZZNS1_9scan_implILNS1_25lookback_scan_determinismE0ELb0ELb1ES3_N6thrust23THRUST_200600_302600_NS6detail15normal_iteratorINS9_10device_ptrIiEEEESE_iNS9_4plusIiEEiEEDaPvRmT3_T4_T5_mT6_P12ihipStream_tbENKUlT_T0_E_clISt17integral_constantIbLb0EEST_IbLb1EEEEDaSP_SQ_EUlSP_E_NS1_11comp_targetILNS1_3genE0ELNS1_11target_archE4294967295ELNS1_3gpuE0ELNS1_3repE0EEENS1_30default_config_static_selectorELNS0_4arch9wavefront6targetE1EEEvT1_,"axG",@progbits,_ZN7rocprim17ROCPRIM_400000_NS6detail17trampoline_kernelINS0_14default_configENS1_20scan_config_selectorIiEEZZNS1_9scan_implILNS1_25lookback_scan_determinismE0ELb0ELb1ES3_N6thrust23THRUST_200600_302600_NS6detail15normal_iteratorINS9_10device_ptrIiEEEESE_iNS9_4plusIiEEiEEDaPvRmT3_T4_T5_mT6_P12ihipStream_tbENKUlT_T0_E_clISt17integral_constantIbLb0EEST_IbLb1EEEEDaSP_SQ_EUlSP_E_NS1_11comp_targetILNS1_3genE0ELNS1_11target_archE4294967295ELNS1_3gpuE0ELNS1_3repE0EEENS1_30default_config_static_selectorELNS0_4arch9wavefront6targetE1EEEvT1_,comdat
.Lfunc_end786:
	.size	_ZN7rocprim17ROCPRIM_400000_NS6detail17trampoline_kernelINS0_14default_configENS1_20scan_config_selectorIiEEZZNS1_9scan_implILNS1_25lookback_scan_determinismE0ELb0ELb1ES3_N6thrust23THRUST_200600_302600_NS6detail15normal_iteratorINS9_10device_ptrIiEEEESE_iNS9_4plusIiEEiEEDaPvRmT3_T4_T5_mT6_P12ihipStream_tbENKUlT_T0_E_clISt17integral_constantIbLb0EEST_IbLb1EEEEDaSP_SQ_EUlSP_E_NS1_11comp_targetILNS1_3genE0ELNS1_11target_archE4294967295ELNS1_3gpuE0ELNS1_3repE0EEENS1_30default_config_static_selectorELNS0_4arch9wavefront6targetE1EEEvT1_, .Lfunc_end786-_ZN7rocprim17ROCPRIM_400000_NS6detail17trampoline_kernelINS0_14default_configENS1_20scan_config_selectorIiEEZZNS1_9scan_implILNS1_25lookback_scan_determinismE0ELb0ELb1ES3_N6thrust23THRUST_200600_302600_NS6detail15normal_iteratorINS9_10device_ptrIiEEEESE_iNS9_4plusIiEEiEEDaPvRmT3_T4_T5_mT6_P12ihipStream_tbENKUlT_T0_E_clISt17integral_constantIbLb0EEST_IbLb1EEEEDaSP_SQ_EUlSP_E_NS1_11comp_targetILNS1_3genE0ELNS1_11target_archE4294967295ELNS1_3gpuE0ELNS1_3repE0EEENS1_30default_config_static_selectorELNS0_4arch9wavefront6targetE1EEEvT1_
                                        ; -- End function
	.section	.AMDGPU.csdata,"",@progbits
; Kernel info:
; codeLenInByte = 0
; NumSgprs: 4
; NumVgprs: 0
; NumAgprs: 0
; TotalNumVgprs: 0
; ScratchSize: 0
; MemoryBound: 0
; FloatMode: 240
; IeeeMode: 1
; LDSByteSize: 0 bytes/workgroup (compile time only)
; SGPRBlocks: 0
; VGPRBlocks: 0
; NumSGPRsForWavesPerEU: 4
; NumVGPRsForWavesPerEU: 1
; AccumOffset: 4
; Occupancy: 8
; WaveLimiterHint : 0
; COMPUTE_PGM_RSRC2:SCRATCH_EN: 0
; COMPUTE_PGM_RSRC2:USER_SGPR: 6
; COMPUTE_PGM_RSRC2:TRAP_HANDLER: 0
; COMPUTE_PGM_RSRC2:TGID_X_EN: 1
; COMPUTE_PGM_RSRC2:TGID_Y_EN: 0
; COMPUTE_PGM_RSRC2:TGID_Z_EN: 0
; COMPUTE_PGM_RSRC2:TIDIG_COMP_CNT: 0
; COMPUTE_PGM_RSRC3_GFX90A:ACCUM_OFFSET: 0
; COMPUTE_PGM_RSRC3_GFX90A:TG_SPLIT: 0
	.section	.text._ZN7rocprim17ROCPRIM_400000_NS6detail17trampoline_kernelINS0_14default_configENS1_20scan_config_selectorIiEEZZNS1_9scan_implILNS1_25lookback_scan_determinismE0ELb0ELb1ES3_N6thrust23THRUST_200600_302600_NS6detail15normal_iteratorINS9_10device_ptrIiEEEESE_iNS9_4plusIiEEiEEDaPvRmT3_T4_T5_mT6_P12ihipStream_tbENKUlT_T0_E_clISt17integral_constantIbLb0EEST_IbLb1EEEEDaSP_SQ_EUlSP_E_NS1_11comp_targetILNS1_3genE5ELNS1_11target_archE942ELNS1_3gpuE9ELNS1_3repE0EEENS1_30default_config_static_selectorELNS0_4arch9wavefront6targetE1EEEvT1_,"axG",@progbits,_ZN7rocprim17ROCPRIM_400000_NS6detail17trampoline_kernelINS0_14default_configENS1_20scan_config_selectorIiEEZZNS1_9scan_implILNS1_25lookback_scan_determinismE0ELb0ELb1ES3_N6thrust23THRUST_200600_302600_NS6detail15normal_iteratorINS9_10device_ptrIiEEEESE_iNS9_4plusIiEEiEEDaPvRmT3_T4_T5_mT6_P12ihipStream_tbENKUlT_T0_E_clISt17integral_constantIbLb0EEST_IbLb1EEEEDaSP_SQ_EUlSP_E_NS1_11comp_targetILNS1_3genE5ELNS1_11target_archE942ELNS1_3gpuE9ELNS1_3repE0EEENS1_30default_config_static_selectorELNS0_4arch9wavefront6targetE1EEEvT1_,comdat
	.protected	_ZN7rocprim17ROCPRIM_400000_NS6detail17trampoline_kernelINS0_14default_configENS1_20scan_config_selectorIiEEZZNS1_9scan_implILNS1_25lookback_scan_determinismE0ELb0ELb1ES3_N6thrust23THRUST_200600_302600_NS6detail15normal_iteratorINS9_10device_ptrIiEEEESE_iNS9_4plusIiEEiEEDaPvRmT3_T4_T5_mT6_P12ihipStream_tbENKUlT_T0_E_clISt17integral_constantIbLb0EEST_IbLb1EEEEDaSP_SQ_EUlSP_E_NS1_11comp_targetILNS1_3genE5ELNS1_11target_archE942ELNS1_3gpuE9ELNS1_3repE0EEENS1_30default_config_static_selectorELNS0_4arch9wavefront6targetE1EEEvT1_ ; -- Begin function _ZN7rocprim17ROCPRIM_400000_NS6detail17trampoline_kernelINS0_14default_configENS1_20scan_config_selectorIiEEZZNS1_9scan_implILNS1_25lookback_scan_determinismE0ELb0ELb1ES3_N6thrust23THRUST_200600_302600_NS6detail15normal_iteratorINS9_10device_ptrIiEEEESE_iNS9_4plusIiEEiEEDaPvRmT3_T4_T5_mT6_P12ihipStream_tbENKUlT_T0_E_clISt17integral_constantIbLb0EEST_IbLb1EEEEDaSP_SQ_EUlSP_E_NS1_11comp_targetILNS1_3genE5ELNS1_11target_archE942ELNS1_3gpuE9ELNS1_3repE0EEENS1_30default_config_static_selectorELNS0_4arch9wavefront6targetE1EEEvT1_
	.globl	_ZN7rocprim17ROCPRIM_400000_NS6detail17trampoline_kernelINS0_14default_configENS1_20scan_config_selectorIiEEZZNS1_9scan_implILNS1_25lookback_scan_determinismE0ELb0ELb1ES3_N6thrust23THRUST_200600_302600_NS6detail15normal_iteratorINS9_10device_ptrIiEEEESE_iNS9_4plusIiEEiEEDaPvRmT3_T4_T5_mT6_P12ihipStream_tbENKUlT_T0_E_clISt17integral_constantIbLb0EEST_IbLb1EEEEDaSP_SQ_EUlSP_E_NS1_11comp_targetILNS1_3genE5ELNS1_11target_archE942ELNS1_3gpuE9ELNS1_3repE0EEENS1_30default_config_static_selectorELNS0_4arch9wavefront6targetE1EEEvT1_
	.p2align	8
	.type	_ZN7rocprim17ROCPRIM_400000_NS6detail17trampoline_kernelINS0_14default_configENS1_20scan_config_selectorIiEEZZNS1_9scan_implILNS1_25lookback_scan_determinismE0ELb0ELb1ES3_N6thrust23THRUST_200600_302600_NS6detail15normal_iteratorINS9_10device_ptrIiEEEESE_iNS9_4plusIiEEiEEDaPvRmT3_T4_T5_mT6_P12ihipStream_tbENKUlT_T0_E_clISt17integral_constantIbLb0EEST_IbLb1EEEEDaSP_SQ_EUlSP_E_NS1_11comp_targetILNS1_3genE5ELNS1_11target_archE942ELNS1_3gpuE9ELNS1_3repE0EEENS1_30default_config_static_selectorELNS0_4arch9wavefront6targetE1EEEvT1_,@function
_ZN7rocprim17ROCPRIM_400000_NS6detail17trampoline_kernelINS0_14default_configENS1_20scan_config_selectorIiEEZZNS1_9scan_implILNS1_25lookback_scan_determinismE0ELb0ELb1ES3_N6thrust23THRUST_200600_302600_NS6detail15normal_iteratorINS9_10device_ptrIiEEEESE_iNS9_4plusIiEEiEEDaPvRmT3_T4_T5_mT6_P12ihipStream_tbENKUlT_T0_E_clISt17integral_constantIbLb0EEST_IbLb1EEEEDaSP_SQ_EUlSP_E_NS1_11comp_targetILNS1_3genE5ELNS1_11target_archE942ELNS1_3gpuE9ELNS1_3repE0EEENS1_30default_config_static_selectorELNS0_4arch9wavefront6targetE1EEEvT1_: ; @_ZN7rocprim17ROCPRIM_400000_NS6detail17trampoline_kernelINS0_14default_configENS1_20scan_config_selectorIiEEZZNS1_9scan_implILNS1_25lookback_scan_determinismE0ELb0ELb1ES3_N6thrust23THRUST_200600_302600_NS6detail15normal_iteratorINS9_10device_ptrIiEEEESE_iNS9_4plusIiEEiEEDaPvRmT3_T4_T5_mT6_P12ihipStream_tbENKUlT_T0_E_clISt17integral_constantIbLb0EEST_IbLb1EEEEDaSP_SQ_EUlSP_E_NS1_11comp_targetILNS1_3genE5ELNS1_11target_archE942ELNS1_3gpuE9ELNS1_3repE0EEENS1_30default_config_static_selectorELNS0_4arch9wavefront6targetE1EEEvT1_
; %bb.0:
	.section	.rodata,"a",@progbits
	.p2align	6, 0x0
	.amdhsa_kernel _ZN7rocprim17ROCPRIM_400000_NS6detail17trampoline_kernelINS0_14default_configENS1_20scan_config_selectorIiEEZZNS1_9scan_implILNS1_25lookback_scan_determinismE0ELb0ELb1ES3_N6thrust23THRUST_200600_302600_NS6detail15normal_iteratorINS9_10device_ptrIiEEEESE_iNS9_4plusIiEEiEEDaPvRmT3_T4_T5_mT6_P12ihipStream_tbENKUlT_T0_E_clISt17integral_constantIbLb0EEST_IbLb1EEEEDaSP_SQ_EUlSP_E_NS1_11comp_targetILNS1_3genE5ELNS1_11target_archE942ELNS1_3gpuE9ELNS1_3repE0EEENS1_30default_config_static_selectorELNS0_4arch9wavefront6targetE1EEEvT1_
		.amdhsa_group_segment_fixed_size 0
		.amdhsa_private_segment_fixed_size 0
		.amdhsa_kernarg_size 96
		.amdhsa_user_sgpr_count 6
		.amdhsa_user_sgpr_private_segment_buffer 1
		.amdhsa_user_sgpr_dispatch_ptr 0
		.amdhsa_user_sgpr_queue_ptr 0
		.amdhsa_user_sgpr_kernarg_segment_ptr 1
		.amdhsa_user_sgpr_dispatch_id 0
		.amdhsa_user_sgpr_flat_scratch_init 0
		.amdhsa_user_sgpr_kernarg_preload_length 0
		.amdhsa_user_sgpr_kernarg_preload_offset 0
		.amdhsa_user_sgpr_private_segment_size 0
		.amdhsa_uses_dynamic_stack 0
		.amdhsa_system_sgpr_private_segment_wavefront_offset 0
		.amdhsa_system_sgpr_workgroup_id_x 1
		.amdhsa_system_sgpr_workgroup_id_y 0
		.amdhsa_system_sgpr_workgroup_id_z 0
		.amdhsa_system_sgpr_workgroup_info 0
		.amdhsa_system_vgpr_workitem_id 0
		.amdhsa_next_free_vgpr 1
		.amdhsa_next_free_sgpr 0
		.amdhsa_accum_offset 4
		.amdhsa_reserve_vcc 0
		.amdhsa_reserve_flat_scratch 0
		.amdhsa_float_round_mode_32 0
		.amdhsa_float_round_mode_16_64 0
		.amdhsa_float_denorm_mode_32 3
		.amdhsa_float_denorm_mode_16_64 3
		.amdhsa_dx10_clamp 1
		.amdhsa_ieee_mode 1
		.amdhsa_fp16_overflow 0
		.amdhsa_tg_split 0
		.amdhsa_exception_fp_ieee_invalid_op 0
		.amdhsa_exception_fp_denorm_src 0
		.amdhsa_exception_fp_ieee_div_zero 0
		.amdhsa_exception_fp_ieee_overflow 0
		.amdhsa_exception_fp_ieee_underflow 0
		.amdhsa_exception_fp_ieee_inexact 0
		.amdhsa_exception_int_div_zero 0
	.end_amdhsa_kernel
	.section	.text._ZN7rocprim17ROCPRIM_400000_NS6detail17trampoline_kernelINS0_14default_configENS1_20scan_config_selectorIiEEZZNS1_9scan_implILNS1_25lookback_scan_determinismE0ELb0ELb1ES3_N6thrust23THRUST_200600_302600_NS6detail15normal_iteratorINS9_10device_ptrIiEEEESE_iNS9_4plusIiEEiEEDaPvRmT3_T4_T5_mT6_P12ihipStream_tbENKUlT_T0_E_clISt17integral_constantIbLb0EEST_IbLb1EEEEDaSP_SQ_EUlSP_E_NS1_11comp_targetILNS1_3genE5ELNS1_11target_archE942ELNS1_3gpuE9ELNS1_3repE0EEENS1_30default_config_static_selectorELNS0_4arch9wavefront6targetE1EEEvT1_,"axG",@progbits,_ZN7rocprim17ROCPRIM_400000_NS6detail17trampoline_kernelINS0_14default_configENS1_20scan_config_selectorIiEEZZNS1_9scan_implILNS1_25lookback_scan_determinismE0ELb0ELb1ES3_N6thrust23THRUST_200600_302600_NS6detail15normal_iteratorINS9_10device_ptrIiEEEESE_iNS9_4plusIiEEiEEDaPvRmT3_T4_T5_mT6_P12ihipStream_tbENKUlT_T0_E_clISt17integral_constantIbLb0EEST_IbLb1EEEEDaSP_SQ_EUlSP_E_NS1_11comp_targetILNS1_3genE5ELNS1_11target_archE942ELNS1_3gpuE9ELNS1_3repE0EEENS1_30default_config_static_selectorELNS0_4arch9wavefront6targetE1EEEvT1_,comdat
.Lfunc_end787:
	.size	_ZN7rocprim17ROCPRIM_400000_NS6detail17trampoline_kernelINS0_14default_configENS1_20scan_config_selectorIiEEZZNS1_9scan_implILNS1_25lookback_scan_determinismE0ELb0ELb1ES3_N6thrust23THRUST_200600_302600_NS6detail15normal_iteratorINS9_10device_ptrIiEEEESE_iNS9_4plusIiEEiEEDaPvRmT3_T4_T5_mT6_P12ihipStream_tbENKUlT_T0_E_clISt17integral_constantIbLb0EEST_IbLb1EEEEDaSP_SQ_EUlSP_E_NS1_11comp_targetILNS1_3genE5ELNS1_11target_archE942ELNS1_3gpuE9ELNS1_3repE0EEENS1_30default_config_static_selectorELNS0_4arch9wavefront6targetE1EEEvT1_, .Lfunc_end787-_ZN7rocprim17ROCPRIM_400000_NS6detail17trampoline_kernelINS0_14default_configENS1_20scan_config_selectorIiEEZZNS1_9scan_implILNS1_25lookback_scan_determinismE0ELb0ELb1ES3_N6thrust23THRUST_200600_302600_NS6detail15normal_iteratorINS9_10device_ptrIiEEEESE_iNS9_4plusIiEEiEEDaPvRmT3_T4_T5_mT6_P12ihipStream_tbENKUlT_T0_E_clISt17integral_constantIbLb0EEST_IbLb1EEEEDaSP_SQ_EUlSP_E_NS1_11comp_targetILNS1_3genE5ELNS1_11target_archE942ELNS1_3gpuE9ELNS1_3repE0EEENS1_30default_config_static_selectorELNS0_4arch9wavefront6targetE1EEEvT1_
                                        ; -- End function
	.section	.AMDGPU.csdata,"",@progbits
; Kernel info:
; codeLenInByte = 0
; NumSgprs: 4
; NumVgprs: 0
; NumAgprs: 0
; TotalNumVgprs: 0
; ScratchSize: 0
; MemoryBound: 0
; FloatMode: 240
; IeeeMode: 1
; LDSByteSize: 0 bytes/workgroup (compile time only)
; SGPRBlocks: 0
; VGPRBlocks: 0
; NumSGPRsForWavesPerEU: 4
; NumVGPRsForWavesPerEU: 1
; AccumOffset: 4
; Occupancy: 8
; WaveLimiterHint : 0
; COMPUTE_PGM_RSRC2:SCRATCH_EN: 0
; COMPUTE_PGM_RSRC2:USER_SGPR: 6
; COMPUTE_PGM_RSRC2:TRAP_HANDLER: 0
; COMPUTE_PGM_RSRC2:TGID_X_EN: 1
; COMPUTE_PGM_RSRC2:TGID_Y_EN: 0
; COMPUTE_PGM_RSRC2:TGID_Z_EN: 0
; COMPUTE_PGM_RSRC2:TIDIG_COMP_CNT: 0
; COMPUTE_PGM_RSRC3_GFX90A:ACCUM_OFFSET: 0
; COMPUTE_PGM_RSRC3_GFX90A:TG_SPLIT: 0
	.section	.text._ZN7rocprim17ROCPRIM_400000_NS6detail17trampoline_kernelINS0_14default_configENS1_20scan_config_selectorIiEEZZNS1_9scan_implILNS1_25lookback_scan_determinismE0ELb0ELb1ES3_N6thrust23THRUST_200600_302600_NS6detail15normal_iteratorINS9_10device_ptrIiEEEESE_iNS9_4plusIiEEiEEDaPvRmT3_T4_T5_mT6_P12ihipStream_tbENKUlT_T0_E_clISt17integral_constantIbLb0EEST_IbLb1EEEEDaSP_SQ_EUlSP_E_NS1_11comp_targetILNS1_3genE4ELNS1_11target_archE910ELNS1_3gpuE8ELNS1_3repE0EEENS1_30default_config_static_selectorELNS0_4arch9wavefront6targetE1EEEvT1_,"axG",@progbits,_ZN7rocprim17ROCPRIM_400000_NS6detail17trampoline_kernelINS0_14default_configENS1_20scan_config_selectorIiEEZZNS1_9scan_implILNS1_25lookback_scan_determinismE0ELb0ELb1ES3_N6thrust23THRUST_200600_302600_NS6detail15normal_iteratorINS9_10device_ptrIiEEEESE_iNS9_4plusIiEEiEEDaPvRmT3_T4_T5_mT6_P12ihipStream_tbENKUlT_T0_E_clISt17integral_constantIbLb0EEST_IbLb1EEEEDaSP_SQ_EUlSP_E_NS1_11comp_targetILNS1_3genE4ELNS1_11target_archE910ELNS1_3gpuE8ELNS1_3repE0EEENS1_30default_config_static_selectorELNS0_4arch9wavefront6targetE1EEEvT1_,comdat
	.protected	_ZN7rocprim17ROCPRIM_400000_NS6detail17trampoline_kernelINS0_14default_configENS1_20scan_config_selectorIiEEZZNS1_9scan_implILNS1_25lookback_scan_determinismE0ELb0ELb1ES3_N6thrust23THRUST_200600_302600_NS6detail15normal_iteratorINS9_10device_ptrIiEEEESE_iNS9_4plusIiEEiEEDaPvRmT3_T4_T5_mT6_P12ihipStream_tbENKUlT_T0_E_clISt17integral_constantIbLb0EEST_IbLb1EEEEDaSP_SQ_EUlSP_E_NS1_11comp_targetILNS1_3genE4ELNS1_11target_archE910ELNS1_3gpuE8ELNS1_3repE0EEENS1_30default_config_static_selectorELNS0_4arch9wavefront6targetE1EEEvT1_ ; -- Begin function _ZN7rocprim17ROCPRIM_400000_NS6detail17trampoline_kernelINS0_14default_configENS1_20scan_config_selectorIiEEZZNS1_9scan_implILNS1_25lookback_scan_determinismE0ELb0ELb1ES3_N6thrust23THRUST_200600_302600_NS6detail15normal_iteratorINS9_10device_ptrIiEEEESE_iNS9_4plusIiEEiEEDaPvRmT3_T4_T5_mT6_P12ihipStream_tbENKUlT_T0_E_clISt17integral_constantIbLb0EEST_IbLb1EEEEDaSP_SQ_EUlSP_E_NS1_11comp_targetILNS1_3genE4ELNS1_11target_archE910ELNS1_3gpuE8ELNS1_3repE0EEENS1_30default_config_static_selectorELNS0_4arch9wavefront6targetE1EEEvT1_
	.globl	_ZN7rocprim17ROCPRIM_400000_NS6detail17trampoline_kernelINS0_14default_configENS1_20scan_config_selectorIiEEZZNS1_9scan_implILNS1_25lookback_scan_determinismE0ELb0ELb1ES3_N6thrust23THRUST_200600_302600_NS6detail15normal_iteratorINS9_10device_ptrIiEEEESE_iNS9_4plusIiEEiEEDaPvRmT3_T4_T5_mT6_P12ihipStream_tbENKUlT_T0_E_clISt17integral_constantIbLb0EEST_IbLb1EEEEDaSP_SQ_EUlSP_E_NS1_11comp_targetILNS1_3genE4ELNS1_11target_archE910ELNS1_3gpuE8ELNS1_3repE0EEENS1_30default_config_static_selectorELNS0_4arch9wavefront6targetE1EEEvT1_
	.p2align	8
	.type	_ZN7rocprim17ROCPRIM_400000_NS6detail17trampoline_kernelINS0_14default_configENS1_20scan_config_selectorIiEEZZNS1_9scan_implILNS1_25lookback_scan_determinismE0ELb0ELb1ES3_N6thrust23THRUST_200600_302600_NS6detail15normal_iteratorINS9_10device_ptrIiEEEESE_iNS9_4plusIiEEiEEDaPvRmT3_T4_T5_mT6_P12ihipStream_tbENKUlT_T0_E_clISt17integral_constantIbLb0EEST_IbLb1EEEEDaSP_SQ_EUlSP_E_NS1_11comp_targetILNS1_3genE4ELNS1_11target_archE910ELNS1_3gpuE8ELNS1_3repE0EEENS1_30default_config_static_selectorELNS0_4arch9wavefront6targetE1EEEvT1_,@function
_ZN7rocprim17ROCPRIM_400000_NS6detail17trampoline_kernelINS0_14default_configENS1_20scan_config_selectorIiEEZZNS1_9scan_implILNS1_25lookback_scan_determinismE0ELb0ELb1ES3_N6thrust23THRUST_200600_302600_NS6detail15normal_iteratorINS9_10device_ptrIiEEEESE_iNS9_4plusIiEEiEEDaPvRmT3_T4_T5_mT6_P12ihipStream_tbENKUlT_T0_E_clISt17integral_constantIbLb0EEST_IbLb1EEEEDaSP_SQ_EUlSP_E_NS1_11comp_targetILNS1_3genE4ELNS1_11target_archE910ELNS1_3gpuE8ELNS1_3repE0EEENS1_30default_config_static_selectorELNS0_4arch9wavefront6targetE1EEEvT1_: ; @_ZN7rocprim17ROCPRIM_400000_NS6detail17trampoline_kernelINS0_14default_configENS1_20scan_config_selectorIiEEZZNS1_9scan_implILNS1_25lookback_scan_determinismE0ELb0ELb1ES3_N6thrust23THRUST_200600_302600_NS6detail15normal_iteratorINS9_10device_ptrIiEEEESE_iNS9_4plusIiEEiEEDaPvRmT3_T4_T5_mT6_P12ihipStream_tbENKUlT_T0_E_clISt17integral_constantIbLb0EEST_IbLb1EEEEDaSP_SQ_EUlSP_E_NS1_11comp_targetILNS1_3genE4ELNS1_11target_archE910ELNS1_3gpuE8ELNS1_3repE0EEENS1_30default_config_static_selectorELNS0_4arch9wavefront6targetE1EEEvT1_
; %bb.0:
	s_load_dwordx2 s[6:7], s[4:5], 0x28
	v_cmp_ne_u32_e64 s[0:1], 0, v0
	v_cmp_eq_u32_e64 s[2:3], 0, v0
	s_and_saveexec_b64 s[8:9], s[2:3]
	s_cbranch_execz .LBB788_4
; %bb.1:
	s_mov_b64 s[12:13], exec
	v_mbcnt_lo_u32_b32 v1, s12, 0
	v_mbcnt_hi_u32_b32 v1, s13, v1
	v_cmp_eq_u32_e32 vcc, 0, v1
                                        ; implicit-def: $vgpr2
	s_and_saveexec_b64 s[10:11], vcc
	s_cbranch_execz .LBB788_3
; %bb.2:
	s_load_dwordx2 s[14:15], s[4:5], 0x58
	s_bcnt1_i32_b64 s12, s[12:13]
	v_mov_b32_e32 v2, 0
	v_mov_b32_e32 v3, s12
	s_waitcnt lgkmcnt(0)
	global_atomic_add v2, v2, v3, s[14:15] glc
.LBB788_3:
	s_or_b64 exec, exec, s[10:11]
	s_waitcnt vmcnt(0)
	v_readfirstlane_b32 s10, v2
	v_add_u32_e32 v1, s10, v1
	v_mov_b32_e32 v2, 0
	ds_write_b32 v2, v1
.LBB788_4:
	s_or_b64 exec, exec, s[8:9]
	s_load_dwordx8 s[16:23], s[4:5], 0x0
	s_load_dword s33, s[4:5], 0x20
	s_load_dword s24, s[4:5], 0x30
	s_load_dwordx8 s[8:15], s[4:5], 0x38
	v_mov_b32_e32 v1, 0
	s_waitcnt lgkmcnt(0)
	s_barrier
	ds_read_b32 v1, v1
	s_lshl_b64 s[18:19], s[18:19], 2
	s_add_u32 s25, s16, s18
	s_addc_u32 s26, s17, s19
	s_add_i32 s16, s24, -1
	s_mul_i32 s17, s16, 0x500
	s_sub_u32 s30, s22, s17
	s_waitcnt lgkmcnt(0)
	v_readfirstlane_b32 s34, v1
	s_subb_u32 s31, s23, 0
	s_mul_i32 s4, s34, 0x500
	s_mov_b32 s5, 0
	s_cmp_lg_u32 s34, s16
	s_cselect_b64 s[16:17], -1, 0
	s_lshl_b64 s[22:23], s[4:5], 2
	s_add_u32 s24, s25, s22
	s_addc_u32 s25, s26, s23
	s_mov_b64 s[4:5], -1
	s_and_b64 vcc, exec, s[16:17]
	v_lshlrev_b32_e32 v30, 2, v0
	s_barrier
	s_cbranch_vccz .LBB788_6
; %bb.5:
	v_mov_b32_e32 v1, s25
	v_add_co_u32_e32 v2, vcc, s24, v30
	v_addc_co_u32_e32 v3, vcc, 0, v1, vcc
	flat_load_dword v1, v[2:3]
	flat_load_dword v4, v[2:3] offset:512
	flat_load_dword v5, v[2:3] offset:1024
	;; [unrolled: 1-line block ×7, first 2 shown]
	v_add_co_u32_e32 v2, vcc, 0x1000, v2
	v_addc_co_u32_e32 v3, vcc, 0, v3, vcc
	flat_load_dword v11, v[2:3]
	flat_load_dword v12, v[2:3] offset:512
	s_mov_b64 s[4:5], 0
	s_waitcnt vmcnt(0) lgkmcnt(0)
	ds_write2st64_b32 v30, v1, v4 offset1:2
	ds_write2st64_b32 v30, v5, v6 offset0:4 offset1:6
	ds_write2st64_b32 v30, v7, v8 offset0:8 offset1:10
	;; [unrolled: 1-line block ×4, first 2 shown]
	s_waitcnt lgkmcnt(0)
	s_barrier
.LBB788_6:
	s_andn2_b64 vcc, exec, s[4:5]
	v_cmp_gt_u32_e64 s[4:5], s30, v0
	s_cbranch_vccnz .LBB788_28
; %bb.7:
	v_pk_mov_b32 v[2:3], s[24:25], s[24:25] op_sel:[0,1]
	flat_load_dword v1, v[2:3]
	s_waitcnt vmcnt(0) lgkmcnt(0)
	v_mov_b32_e32 v2, v1
	v_mov_b32_e32 v3, v1
	;; [unrolled: 1-line block ×9, first 2 shown]
	s_and_saveexec_b64 s[26:27], s[4:5]
	s_cbranch_execz .LBB788_9
; %bb.8:
	v_mov_b32_e32 v11, s25
	v_add_co_u32_e32 v10, vcc, s24, v30
	v_addc_co_u32_e32 v11, vcc, 0, v11, vcc
	flat_load_dword v10, v[10:11]
.LBB788_9:
	s_or_b64 exec, exec, s[26:27]
	v_or_b32_e32 v11, 0x80, v0
	v_cmp_gt_u32_e32 vcc, s30, v11
	s_and_saveexec_b64 s[4:5], vcc
	s_cbranch_execz .LBB788_11
; %bb.10:
	v_mov_b32_e32 v1, s25
	v_add_co_u32_e32 v12, vcc, s24, v30
	v_addc_co_u32_e32 v13, vcc, 0, v1, vcc
	flat_load_dword v1, v[12:13] offset:512
.LBB788_11:
	s_or_b64 exec, exec, s[4:5]
	v_or_b32_e32 v11, 0x100, v0
	v_cmp_gt_u32_e32 vcc, s30, v11
	s_and_saveexec_b64 s[4:5], vcc
	s_cbranch_execz .LBB788_13
; %bb.12:
	v_mov_b32_e32 v2, s25
	v_add_co_u32_e32 v12, vcc, s24, v30
	v_addc_co_u32_e32 v13, vcc, 0, v2, vcc
	flat_load_dword v2, v[12:13] offset:1024
.LBB788_13:
	;; [unrolled: 11-line block ×7, first 2 shown]
	s_or_b64 exec, exec, s[4:5]
	v_or_b32_e32 v11, 0x400, v0
	v_cmp_gt_u32_e32 vcc, s30, v11
	s_and_saveexec_b64 s[4:5], vcc
	s_cbranch_execz .LBB788_25
; %bb.24:
	v_lshlrev_b32_e32 v8, 2, v11
	v_mov_b32_e32 v11, s25
	v_add_co_u32_e32 v12, vcc, s24, v8
	v_addc_co_u32_e32 v13, vcc, 0, v11, vcc
	flat_load_dword v8, v[12:13]
.LBB788_25:
	s_or_b64 exec, exec, s[4:5]
	v_or_b32_e32 v11, 0x480, v0
	v_cmp_gt_u32_e32 vcc, s30, v11
	s_and_saveexec_b64 s[4:5], vcc
	s_cbranch_execz .LBB788_27
; %bb.26:
	v_lshlrev_b32_e32 v9, 2, v11
	v_mov_b32_e32 v11, s25
	v_add_co_u32_e32 v12, vcc, s24, v9
	v_addc_co_u32_e32 v13, vcc, 0, v11, vcc
	flat_load_dword v9, v[12:13]
.LBB788_27:
	s_or_b64 exec, exec, s[4:5]
	s_waitcnt vmcnt(0) lgkmcnt(0)
	ds_write2st64_b32 v30, v10, v1 offset1:2
	ds_write2st64_b32 v30, v2, v3 offset0:4 offset1:6
	ds_write2st64_b32 v30, v4, v5 offset0:8 offset1:10
	;; [unrolled: 1-line block ×4, first 2 shown]
	s_waitcnt lgkmcnt(0)
	s_barrier
.LBB788_28:
	v_mul_u32_u24_e32 v31, 10, v0
	v_lshlrev_b32_e32 v1, 2, v31
	ds_read2_b64 v[2:5], v1 offset1:1
	ds_read2_b64 v[24:27], v1 offset0:2 offset1:3
	ds_read_b64 v[28:29], v1 offset:32
	s_cmp_lg_u32 s34, 0
	v_lshrrev_b32_e32 v22, 5, v0
	v_cmp_gt_u32_e32 vcc, 64, v0
	s_waitcnt lgkmcnt(0)
	s_barrier
	s_cbranch_scc0 .LBB788_53
; %bb.29:
	v_add_u32_e32 v6, v3, v2
	v_add3_u32 v6, v6, v4, v5
	v_add3_u32 v6, v6, v24, v25
	;; [unrolled: 1-line block ×4, first 2 shown]
	v_add_lshl_u32 v7, v22, v0, 2
	ds_write_b32 v7, v6
	s_waitcnt lgkmcnt(0)
	s_barrier
	s_and_saveexec_b64 s[24:25], vcc
	s_cbranch_execz .LBB788_31
; %bb.30:
	v_lshlrev_b32_e32 v7, 1, v0
	v_lshrrev_b32_e32 v8, 4, v0
	v_add_lshl_u32 v7, v8, v7, 2
	ds_read2_b32 v[8:9], v7 offset1:1
	v_mbcnt_lo_u32_b32 v10, -1, 0
	v_mbcnt_hi_u32_b32 v10, -1, v10
	v_and_b32_e32 v11, 15, v10
	v_cmp_ne_u32_e64 s[4:5], 0, v11
	s_waitcnt lgkmcnt(0)
	v_add_u32_e32 v9, v9, v8
	; wave barrier
	s_nop 1
	v_mov_b32_dpp v12, v9 row_shr:1 row_mask:0xf bank_mask:0xf
	v_cndmask_b32_e64 v12, 0, v12, s[4:5]
	v_add_u32_e32 v9, v12, v9
	v_cmp_lt_u32_e64 s[4:5], 1, v11
	s_nop 0
	v_mov_b32_dpp v12, v9 row_shr:2 row_mask:0xf bank_mask:0xf
	v_cndmask_b32_e64 v12, 0, v12, s[4:5]
	v_add_u32_e32 v9, v9, v12
	v_cmp_lt_u32_e64 s[4:5], 3, v11
	;; [unrolled: 5-line block ×3, first 2 shown]
	s_nop 0
	v_mov_b32_dpp v12, v9 row_shr:8 row_mask:0xf bank_mask:0xf
	v_cndmask_b32_e64 v11, 0, v12, s[4:5]
	v_add_u32_e32 v9, v9, v11
	v_bfe_i32 v12, v10, 4, 1
	v_cmp_lt_u32_e64 s[4:5], 31, v10
	v_mov_b32_dpp v11, v9 row_bcast:15 row_mask:0xf bank_mask:0xf
	v_and_b32_e32 v11, v12, v11
	v_add_u32_e32 v9, v9, v11
	v_and_b32_e32 v12, 64, v10
	s_nop 0
	v_mov_b32_dpp v11, v9 row_bcast:31 row_mask:0xf bank_mask:0xf
	v_cndmask_b32_e64 v11, 0, v11, s[4:5]
	v_add_u32_e32 v9, v9, v11
	v_add_u32_e32 v11, -1, v10
	v_cmp_lt_i32_e64 s[4:5], v11, v12
	v_cndmask_b32_e64 v10, v11, v10, s[4:5]
	v_lshlrev_b32_e32 v10, 2, v10
	ds_bpermute_b32 v9, v10, v9
	s_waitcnt lgkmcnt(0)
	v_add_u32_e32 v8, v9, v8
	v_cndmask_b32_e64 v6, v8, v6, s[2:3]
	ds_write_b32 v7, v6
	; wave barrier
	ds_read_b32 v8, v7 offset:4
	s_waitcnt lgkmcnt(0)
	v_add_u32_e32 v6, v8, v6
	ds_write_b32 v7, v6 offset:4
.LBB788_31:
	s_or_b64 exec, exec, s[24:25]
	v_mov_b32_e32 v16, 0
	s_waitcnt lgkmcnt(0)
	s_barrier
	s_and_saveexec_b64 s[4:5], s[0:1]
	s_cbranch_execz .LBB788_33
; %bb.32:
	v_add_u32_e32 v6, -1, v0
	v_lshrrev_b32_e32 v7, 5, v6
	v_add_lshl_u32 v6, v7, v6, 2
	ds_read_b32 v16, v6
.LBB788_33:
	s_or_b64 exec, exec, s[4:5]
	s_and_saveexec_b64 s[24:25], vcc
	s_cbranch_execz .LBB788_52
; %bb.34:
	v_mov_b32_e32 v13, 0
	ds_read_b32 v6, v13 offset:520
	v_mbcnt_lo_u32_b32 v7, -1, 0
	v_mbcnt_hi_u32_b32 v9, -1, v7
	s_mov_b32 s29, 0
	v_cmp_eq_u32_e64 s[4:5], 0, v9
	s_and_saveexec_b64 s[26:27], s[4:5]
	s_cbranch_execz .LBB788_36
; %bb.35:
	s_add_i32 s28, s34, 64
	s_lshl_b64 s[28:29], s[28:29], 3
	s_add_u32 s28, s6, s28
	v_mov_b32_e32 v7, 1
	s_addc_u32 s29, s7, s29
	s_waitcnt lgkmcnt(0)
	global_store_dwordx2 v13, v[6:7], s[28:29]
.LBB788_36:
	s_or_b64 exec, exec, s[26:27]
	v_xad_u32 v8, v9, -1, s34
	v_add_u32_e32 v12, 64, v8
	v_lshlrev_b64 v[10:11], 3, v[12:13]
	v_mov_b32_e32 v7, s7
	v_add_co_u32_e32 v14, vcc, s6, v10
	v_addc_co_u32_e32 v15, vcc, v7, v11, vcc
	global_load_dwordx2 v[10:11], v[14:15], off glc
	s_waitcnt vmcnt(0)
	v_cmp_eq_u16_sdwa s[28:29], v11, v13 src0_sel:BYTE_0 src1_sel:DWORD
	s_and_saveexec_b64 s[26:27], s[28:29]
	s_cbranch_execz .LBB788_40
; %bb.37:
	s_mov_b64 s[28:29], 0
	v_mov_b32_e32 v7, 0
.LBB788_38:                             ; =>This Inner Loop Header: Depth=1
	global_load_dwordx2 v[10:11], v[14:15], off glc
	s_waitcnt vmcnt(0)
	v_cmp_ne_u16_sdwa s[36:37], v11, v7 src0_sel:BYTE_0 src1_sel:DWORD
	s_or_b64 s[28:29], s[36:37], s[28:29]
	s_andn2_b64 exec, exec, s[28:29]
	s_cbranch_execnz .LBB788_38
; %bb.39:
	s_or_b64 exec, exec, s[28:29]
.LBB788_40:
	s_or_b64 exec, exec, s[26:27]
	v_and_b32_e32 v17, 63, v9
	v_mov_b32_e32 v7, 2
	v_cmp_ne_u32_e32 vcc, 63, v17
	v_cmp_eq_u16_sdwa s[26:27], v11, v7 src0_sel:BYTE_0 src1_sel:DWORD
	v_lshlrev_b64 v[12:13], v9, -1
	v_addc_co_u32_e32 v18, vcc, 0, v9, vcc
	v_and_b32_e32 v14, s27, v13
	v_lshlrev_b32_e32 v18, 2, v18
	v_or_b32_e32 v14, 0x80000000, v14
	ds_bpermute_b32 v19, v18, v10
	v_and_b32_e32 v15, s26, v12
	v_ffbl_b32_e32 v14, v14
	v_add_u32_e32 v14, 32, v14
	v_ffbl_b32_e32 v15, v15
	v_min_u32_e32 v14, v15, v14
	v_cmp_lt_u32_e32 vcc, v17, v14
	s_waitcnt lgkmcnt(0)
	v_cndmask_b32_e32 v15, 0, v19, vcc
	v_cmp_gt_u32_e32 vcc, 62, v17
	v_add_u32_e32 v10, v15, v10
	v_cndmask_b32_e64 v15, 0, 1, vcc
	v_lshlrev_b32_e32 v15, 1, v15
	v_add_lshl_u32 v19, v15, v9, 2
	ds_bpermute_b32 v15, v19, v10
	v_add_u32_e32 v20, 2, v17
	v_cmp_le_u32_e32 vcc, v20, v14
	v_add_u32_e32 v23, 4, v17
	v_add_u32_e32 v33, 8, v17
	s_waitcnt lgkmcnt(0)
	v_cndmask_b32_e32 v15, 0, v15, vcc
	v_cmp_gt_u32_e32 vcc, 60, v17
	v_add_u32_e32 v10, v10, v15
	v_cndmask_b32_e64 v15, 0, 1, vcc
	v_lshlrev_b32_e32 v15, 2, v15
	v_add_lshl_u32 v21, v15, v9, 2
	ds_bpermute_b32 v15, v21, v10
	v_cmp_le_u32_e32 vcc, v23, v14
	v_add_u32_e32 v36, 16, v17
	v_add_u32_e32 v38, 32, v17
	s_waitcnt lgkmcnt(0)
	v_cndmask_b32_e32 v15, 0, v15, vcc
	v_cmp_gt_u32_e32 vcc, 56, v17
	v_add_u32_e32 v10, v10, v15
	v_cndmask_b32_e64 v15, 0, 1, vcc
	v_lshlrev_b32_e32 v15, 3, v15
	v_add_lshl_u32 v32, v15, v9, 2
	ds_bpermute_b32 v15, v32, v10
	v_cmp_le_u32_e32 vcc, v33, v14
	s_waitcnt lgkmcnt(0)
	v_cndmask_b32_e32 v15, 0, v15, vcc
	v_cmp_gt_u32_e32 vcc, 48, v17
	v_add_u32_e32 v10, v10, v15
	v_cndmask_b32_e64 v15, 0, 1, vcc
	v_lshlrev_b32_e32 v15, 4, v15
	v_add_lshl_u32 v35, v15, v9, 2
	ds_bpermute_b32 v15, v35, v10
	v_cmp_le_u32_e32 vcc, v36, v14
	;; [unrolled: 9-line block ×3, first 2 shown]
	s_waitcnt lgkmcnt(0)
	v_cndmask_b32_e32 v9, 0, v9, vcc
	v_add_u32_e32 v10, v10, v9
	v_mov_b32_e32 v9, 0
	s_branch .LBB788_42
.LBB788_41:                             ;   in Loop: Header=BB788_42 Depth=1
	s_or_b64 exec, exec, s[26:27]
	v_cmp_eq_u16_sdwa s[26:27], v11, v7 src0_sel:BYTE_0 src1_sel:DWORD
	v_and_b32_e32 v14, s27, v13
	v_or_b32_e32 v14, 0x80000000, v14
	ds_bpermute_b32 v39, v18, v10
	v_and_b32_e32 v15, s26, v12
	v_ffbl_b32_e32 v14, v14
	v_add_u32_e32 v14, 32, v14
	v_ffbl_b32_e32 v15, v15
	v_min_u32_e32 v14, v15, v14
	v_cmp_lt_u32_e32 vcc, v17, v14
	s_waitcnt lgkmcnt(0)
	v_cndmask_b32_e32 v15, 0, v39, vcc
	v_add_u32_e32 v10, v15, v10
	ds_bpermute_b32 v15, v19, v10
	v_cmp_le_u32_e32 vcc, v20, v14
	v_subrev_u32_e32 v8, 64, v8
	s_waitcnt lgkmcnt(0)
	v_cndmask_b32_e32 v15, 0, v15, vcc
	v_add_u32_e32 v10, v10, v15
	ds_bpermute_b32 v15, v21, v10
	v_cmp_le_u32_e32 vcc, v23, v14
	s_waitcnt lgkmcnt(0)
	v_cndmask_b32_e32 v15, 0, v15, vcc
	v_add_u32_e32 v10, v10, v15
	ds_bpermute_b32 v15, v32, v10
	v_cmp_le_u32_e32 vcc, v33, v14
	;; [unrolled: 5-line block ×4, first 2 shown]
	s_waitcnt lgkmcnt(0)
	v_cndmask_b32_e32 v14, 0, v15, vcc
	v_add3_u32 v10, v14, v34, v10
.LBB788_42:                             ; =>This Loop Header: Depth=1
                                        ;     Child Loop BB788_45 Depth 2
	v_cmp_ne_u16_sdwa s[26:27], v11, v7 src0_sel:BYTE_0 src1_sel:DWORD
	v_cndmask_b32_e64 v11, 0, 1, s[26:27]
	;;#ASMSTART
	;;#ASMEND
	v_cmp_ne_u32_e32 vcc, 0, v11
	s_cmp_lg_u64 vcc, exec
	v_mov_b32_e32 v34, v10
	s_cbranch_scc1 .LBB788_47
; %bb.43:                               ;   in Loop: Header=BB788_42 Depth=1
	v_lshlrev_b64 v[10:11], 3, v[8:9]
	v_mov_b32_e32 v15, s7
	v_add_co_u32_e32 v14, vcc, s6, v10
	v_addc_co_u32_e32 v15, vcc, v15, v11, vcc
	global_load_dwordx2 v[10:11], v[14:15], off glc
	s_waitcnt vmcnt(0)
	v_cmp_eq_u16_sdwa s[28:29], v11, v9 src0_sel:BYTE_0 src1_sel:DWORD
	s_and_saveexec_b64 s[26:27], s[28:29]
	s_cbranch_execz .LBB788_41
; %bb.44:                               ;   in Loop: Header=BB788_42 Depth=1
	s_mov_b64 s[28:29], 0
.LBB788_45:                             ;   Parent Loop BB788_42 Depth=1
                                        ; =>  This Inner Loop Header: Depth=2
	global_load_dwordx2 v[10:11], v[14:15], off glc
	s_waitcnt vmcnt(0)
	v_cmp_ne_u16_sdwa s[36:37], v11, v9 src0_sel:BYTE_0 src1_sel:DWORD
	s_or_b64 s[28:29], s[36:37], s[28:29]
	s_andn2_b64 exec, exec, s[28:29]
	s_cbranch_execnz .LBB788_45
; %bb.46:                               ;   in Loop: Header=BB788_42 Depth=1
	s_or_b64 exec, exec, s[28:29]
	s_branch .LBB788_41
.LBB788_47:                             ;   in Loop: Header=BB788_42 Depth=1
                                        ; implicit-def: $vgpr10
                                        ; implicit-def: $vgpr11
	s_cbranch_execz .LBB788_42
; %bb.48:
	s_and_saveexec_b64 s[26:27], s[4:5]
	s_cbranch_execz .LBB788_50
; %bb.49:
	s_add_i32 s4, s34, 64
	s_mov_b32 s5, 0
	s_lshl_b64 s[4:5], s[4:5], 3
	s_add_u32 s4, s6, s4
	v_add_u32_e32 v6, v34, v6
	v_mov_b32_e32 v7, 2
	s_addc_u32 s5, s7, s5
	v_mov_b32_e32 v8, 0
	global_store_dwordx2 v8, v[6:7], s[4:5]
.LBB788_50:
	s_or_b64 exec, exec, s[26:27]
	s_and_b64 exec, exec, s[2:3]
	s_cbranch_execz .LBB788_52
; %bb.51:
	v_mov_b32_e32 v6, 0
	ds_write_b32 v6, v34
.LBB788_52:
	s_or_b64 exec, exec, s[24:25]
	v_mov_b32_e32 v6, 0
	s_waitcnt lgkmcnt(0)
	s_barrier
	ds_read_b32 v6, v6
	s_waitcnt lgkmcnt(0)
	v_add3_u32 v12, v16, v2, v6
	v_add_u32_e32 v13, v12, v3
	v_add_u32_e32 v14, v13, v4
	;; [unrolled: 1-line block ×9, first 2 shown]
	s_branch .LBB788_75
.LBB788_53:
                                        ; implicit-def: $vgpr12_vgpr13_vgpr14_vgpr15_vgpr16_vgpr17_vgpr18_vgpr19_vgpr20_vgpr21
	s_cbranch_execz .LBB788_75
; %bb.54:
	s_cmp_lg_u64 s[12:13], 0
	s_cselect_b64 s[24:25], -1, 0
	s_cmp_eq_u64 s[12:13], 0
	s_cselect_b64 s[4:5], -1, 0
	s_and_b64 s[24:25], s[2:3], s[24:25]
	s_and_saveexec_b64 s[12:13], s[24:25]
	s_cbranch_execz .LBB788_56
; %bb.55:
	v_mov_b32_e32 v6, 0
	global_load_dword v6, v6, s[8:9]
	s_waitcnt vmcnt(0)
	v_add_u32_e32 v2, v6, v2
.LBB788_56:
	s_or_b64 exec, exec, s[12:13]
	v_add_u32_e32 v34, v3, v2
	v_add_u32_e32 v33, v34, v4
	;; [unrolled: 1-line block ×9, first 2 shown]
	v_add_lshl_u32 v12, v22, v0, 2
	s_andn2_b64 vcc, exec, s[4:5]
	v_cmp_gt_u32_e64 s[4:5], 64, v0
	ds_write_b32 v12, v11
	s_waitcnt lgkmcnt(0)
	s_cbranch_vccnz .LBB788_64
; %bb.57:
	s_barrier
	s_and_saveexec_b64 s[8:9], s[4:5]
	s_cbranch_execz .LBB788_59
; %bb.58:
	v_lshlrev_b32_e32 v12, 1, v0
	v_lshrrev_b32_e32 v13, 4, v0
	v_add_lshl_u32 v14, v13, v12, 2
	ds_read2_b32 v[12:13], v14 offset1:1
	v_mbcnt_lo_u32_b32 v15, -1, 0
	v_mbcnt_hi_u32_b32 v15, -1, v15
	v_and_b32_e32 v16, 15, v15
	v_cmp_ne_u32_e32 vcc, 0, v16
	s_waitcnt lgkmcnt(0)
	v_add_u32_e32 v13, v13, v12
	; wave barrier
	s_nop 1
	v_mov_b32_dpp v17, v13 row_shr:1 row_mask:0xf bank_mask:0xf
	v_cndmask_b32_e32 v17, 0, v17, vcc
	v_add_u32_e32 v13, v17, v13
	v_cmp_lt_u32_e32 vcc, 1, v16
	s_nop 0
	v_mov_b32_dpp v17, v13 row_shr:2 row_mask:0xf bank_mask:0xf
	v_cndmask_b32_e32 v17, 0, v17, vcc
	v_add_u32_e32 v13, v13, v17
	v_cmp_lt_u32_e32 vcc, 3, v16
	;; [unrolled: 5-line block ×3, first 2 shown]
	s_nop 0
	v_mov_b32_dpp v17, v13 row_shr:8 row_mask:0xf bank_mask:0xf
	v_cndmask_b32_e32 v16, 0, v17, vcc
	v_add_u32_e32 v13, v13, v16
	v_bfe_i32 v17, v15, 4, 1
	v_cmp_lt_u32_e32 vcc, 31, v15
	v_mov_b32_dpp v16, v13 row_bcast:15 row_mask:0xf bank_mask:0xf
	v_and_b32_e32 v16, v17, v16
	v_add_u32_e32 v13, v13, v16
	v_and_b32_e32 v17, 64, v15
	s_nop 0
	v_mov_b32_dpp v16, v13 row_bcast:31 row_mask:0xf bank_mask:0xf
	v_cndmask_b32_e32 v16, 0, v16, vcc
	v_add_u32_e32 v13, v13, v16
	v_add_u32_e32 v16, -1, v15
	v_cmp_lt_i32_e32 vcc, v16, v17
	v_cndmask_b32_e32 v15, v16, v15, vcc
	v_lshlrev_b32_e32 v15, 2, v15
	ds_bpermute_b32 v13, v15, v13
	s_waitcnt lgkmcnt(0)
	v_add_u32_e32 v12, v13, v12
	v_cndmask_b32_e64 v12, v12, v11, s[2:3]
	ds_write_b32 v14, v12
	; wave barrier
	ds_read_b32 v13, v14 offset:4
	s_waitcnt lgkmcnt(0)
	v_add_u32_e32 v12, v13, v12
	ds_write_b32 v14, v12 offset:4
.LBB788_59:
	s_or_b64 exec, exec, s[8:9]
	v_mov_b32_e32 v21, v11
	s_waitcnt lgkmcnt(0)
	s_barrier
	s_and_saveexec_b64 s[8:9], s[0:1]
	s_cbranch_execz .LBB788_61
; %bb.60:
	v_add_u32_e32 v12, -1, v0
	v_lshrrev_b32_e32 v13, 5, v12
	v_add_lshl_u32 v12, v13, v12, 2
	ds_read_b32 v21, v12
.LBB788_61:
	s_or_b64 exec, exec, s[8:9]
	v_mov_b32_e32 v12, v10
	v_mov_b32_e32 v13, v9
	;; [unrolled: 1-line block ×9, first 2 shown]
	s_and_saveexec_b64 s[8:9], s[0:1]
	s_cbranch_execz .LBB788_63
; %bb.62:
	s_waitcnt lgkmcnt(0)
	v_add_u32_e32 v14, v21, v2
	v_add_u32_e32 v15, v14, v3
	;; [unrolled: 1-line block ×9, first 2 shown]
	;;#ASMSTART
	;;#ASMEND
.LBB788_63:
	s_or_b64 exec, exec, s[8:9]
	v_add_u32_e32 v14, s33, v14
	v_add_u32_e32 v15, s33, v15
	;; [unrolled: 1-line block ×7, first 2 shown]
	s_waitcnt lgkmcnt(0)
	v_add_u32_e32 v21, s33, v13
	v_add_u32_e32 v22, s33, v12
	;; [unrolled: 1-line block ×3, first 2 shown]
	v_pk_mov_b32 v[12:13], v[14:15], v[14:15] op_sel:[0,1]
	v_pk_mov_b32 v[14:15], v[16:17], v[16:17] op_sel:[0,1]
	;; [unrolled: 1-line block ×5, first 2 shown]
	s_branch .LBB788_72
.LBB788_64:
                                        ; implicit-def: $vgpr23
                                        ; implicit-def: $vgpr12_vgpr13_vgpr14_vgpr15_vgpr16_vgpr17_vgpr18_vgpr19_vgpr20_vgpr21
	s_cbranch_execz .LBB788_72
; %bb.65:
	s_barrier
	s_and_saveexec_b64 s[8:9], s[4:5]
	s_cbranch_execz .LBB788_67
; %bb.66:
	v_lshlrev_b32_e32 v12, 1, v0
	v_lshrrev_b32_e32 v13, 4, v0
	v_add_lshl_u32 v14, v13, v12, 2
	ds_read2_b32 v[12:13], v14 offset1:1
	v_mbcnt_lo_u32_b32 v15, -1, 0
	v_mbcnt_hi_u32_b32 v15, -1, v15
	v_and_b32_e32 v16, 15, v15
	v_cmp_ne_u32_e32 vcc, 0, v16
	s_waitcnt lgkmcnt(0)
	v_add_u32_e32 v13, v13, v12
	; wave barrier
	s_nop 1
	v_mov_b32_dpp v17, v13 row_shr:1 row_mask:0xf bank_mask:0xf
	v_cndmask_b32_e32 v17, 0, v17, vcc
	v_add_u32_e32 v13, v17, v13
	v_cmp_lt_u32_e32 vcc, 1, v16
	s_nop 0
	v_mov_b32_dpp v17, v13 row_shr:2 row_mask:0xf bank_mask:0xf
	v_cndmask_b32_e32 v17, 0, v17, vcc
	v_add_u32_e32 v13, v13, v17
	v_cmp_lt_u32_e32 vcc, 3, v16
	s_nop 0
	v_mov_b32_dpp v17, v13 row_shr:4 row_mask:0xf bank_mask:0xf
	v_cndmask_b32_e32 v17, 0, v17, vcc
	v_add_u32_e32 v13, v13, v17
	v_cmp_lt_u32_e32 vcc, 7, v16
	s_nop 0
	v_mov_b32_dpp v17, v13 row_shr:8 row_mask:0xf bank_mask:0xf
	v_cndmask_b32_e32 v16, 0, v17, vcc
	v_add_u32_e32 v13, v13, v16
	v_bfe_i32 v17, v15, 4, 1
	v_cmp_lt_u32_e32 vcc, 31, v15
	v_mov_b32_dpp v16, v13 row_bcast:15 row_mask:0xf bank_mask:0xf
	v_and_b32_e32 v16, v17, v16
	v_add_u32_e32 v13, v13, v16
	v_and_b32_e32 v17, 64, v15
	s_nop 0
	v_mov_b32_dpp v16, v13 row_bcast:31 row_mask:0xf bank_mask:0xf
	v_cndmask_b32_e32 v16, 0, v16, vcc
	v_add_u32_e32 v13, v13, v16
	v_add_u32_e32 v16, -1, v15
	v_cmp_lt_i32_e32 vcc, v16, v17
	v_cndmask_b32_e32 v15, v16, v15, vcc
	v_lshlrev_b32_e32 v15, 2, v15
	ds_bpermute_b32 v13, v15, v13
	s_waitcnt lgkmcnt(0)
	v_add_u32_e32 v12, v13, v12
	v_cndmask_b32_e64 v12, v12, v11, s[2:3]
	ds_write_b32 v14, v12
	; wave barrier
	ds_read_b32 v13, v14 offset:4
	s_waitcnt lgkmcnt(0)
	v_add_u32_e32 v12, v13, v12
	ds_write_b32 v14, v12 offset:4
.LBB788_67:
	s_or_b64 exec, exec, s[8:9]
	v_mov_b32_e32 v12, v11
	s_waitcnt lgkmcnt(0)
	s_barrier
	s_and_saveexec_b64 s[2:3], s[0:1]
	s_cbranch_execz .LBB788_69
; %bb.68:
	v_add_u32_e32 v12, -1, v0
	v_lshrrev_b32_e32 v13, 5, v12
	v_add_lshl_u32 v12, v13, v12, 2
	ds_read_b32 v12, v12
.LBB788_69:
	s_or_b64 exec, exec, s[2:3]
	s_and_saveexec_b64 s[2:3], s[0:1]
	s_cbranch_execz .LBB788_71
; %bb.70:
	s_waitcnt lgkmcnt(0)
	v_add_u32_e32 v2, v12, v2
	v_add_u32_e32 v34, v2, v3
	;; [unrolled: 1-line block ×10, first 2 shown]
	;;#ASMSTART
	;;#ASMEND
.LBB788_71:
	s_or_b64 exec, exec, s[2:3]
	v_mov_b32_e32 v3, v34
	v_mov_b32_e32 v4, v33
	;; [unrolled: 1-line block ×3, first 2 shown]
	s_waitcnt lgkmcnt(0)
	v_pk_mov_b32 v[20:21], v[10:11], v[10:11] op_sel:[0,1]
	v_mov_b32_e32 v23, v11
	v_pk_mov_b32 v[18:19], v[8:9], v[8:9] op_sel:[0,1]
	v_pk_mov_b32 v[16:17], v[6:7], v[6:7] op_sel:[0,1]
	;; [unrolled: 1-line block ×4, first 2 shown]
.LBB788_72:
	s_movk_i32 s0, 0x7f
	v_cmp_eq_u32_e32 vcc, s0, v0
	s_and_saveexec_b64 s[0:1], vcc
	s_cbranch_execz .LBB788_74
; %bb.73:
	v_mov_b32_e32 v4, 0
	v_mov_b32_e32 v3, 2
	;; [unrolled: 1-line block ×3, first 2 shown]
	global_store_dwordx2 v4, v[2:3], s[6:7] offset:512
.LBB788_74:
	s_or_b64 exec, exec, s[0:1]
.LBB788_75:
	s_add_u32 s0, s20, s18
	s_addc_u32 s1, s21, s19
	s_add_u32 s2, s0, s22
	s_addc_u32 s3, s1, s23
	s_mov_b64 s[0:1], -1
	s_and_b64 vcc, exec, s[16:17]
	s_barrier
	s_cbranch_vccz .LBB788_77
; %bb.76:
	ds_write2_b64 v1, v[12:13], v[14:15] offset1:1
	ds_write2_b64 v1, v[16:17], v[18:19] offset0:2 offset1:3
	ds_write_b64 v1, v[20:21] offset:32
	s_waitcnt lgkmcnt(0)
	s_barrier
	ds_read2st64_b32 v[2:3], v30 offset1:2
	ds_read2st64_b32 v[4:5], v30 offset0:4 offset1:6
	ds_read2st64_b32 v[6:7], v30 offset0:8 offset1:10
	;; [unrolled: 1-line block ×4, first 2 shown]
	v_mov_b32_e32 v23, s3
	v_add_co_u32_e32 v22, vcc, s2, v30
	v_addc_co_u32_e32 v23, vcc, 0, v23, vcc
	s_waitcnt lgkmcnt(4)
	flat_store_dword v[22:23], v2
	flat_store_dword v[22:23], v3 offset:512
	s_waitcnt lgkmcnt(0)
	flat_store_dword v[22:23], v4 offset:1024
	flat_store_dword v[22:23], v5 offset:1536
	flat_store_dword v[22:23], v6 offset:2048
	flat_store_dword v[22:23], v7 offset:2560
	flat_store_dword v[22:23], v8 offset:3072
	flat_store_dword v[22:23], v9 offset:3584
	v_add_co_u32_e32 v2, vcc, 0x1000, v22
	v_addc_co_u32_e32 v3, vcc, 0, v23, vcc
	flat_store_dword v[2:3], v10
	flat_store_dword v[2:3], v11 offset:512
	s_mov_b64 s[0:1], 0
.LBB788_77:
	s_andn2_b64 vcc, exec, s[0:1]
	s_cbranch_vccnz .LBB788_133
; %bb.78:
	ds_write2_b64 v1, v[12:13], v[14:15] offset1:1
	ds_write2_b64 v1, v[16:17], v[18:19] offset0:2 offset1:3
	ds_write_b64 v1, v[20:21] offset:32
	s_waitcnt lgkmcnt(0)
	s_barrier
	ds_read2st64_b32 v[2:3], v30 offset1:2
	ds_read2st64_b32 v[6:7], v30 offset0:4 offset1:6
	ds_read2st64_b32 v[4:5], v30 offset0:8 offset1:10
	ds_read2st64_b32 v[8:9], v30 offset0:12 offset1:14
	ds_read2st64_b32 v[10:11], v30 offset0:16 offset1:18
	v_mov_b32_e32 v13, s3
	v_add_co_u32_e32 v12, vcc, s2, v30
	v_addc_co_u32_e32 v13, vcc, 0, v13, vcc
	v_mov_b32_e32 v1, 0
	v_cmp_gt_u32_e32 vcc, s30, v0
	s_and_saveexec_b64 s[0:1], vcc
	s_cbranch_execz .LBB788_80
; %bb.79:
	s_waitcnt lgkmcnt(0)
	flat_store_dword v[12:13], v2
.LBB788_80:
	s_or_b64 exec, exec, s[0:1]
	v_or_b32_e32 v14, 0x80, v0
	v_cmp_gt_u32_e32 vcc, s30, v14
	s_and_saveexec_b64 s[0:1], vcc
	s_cbranch_execz .LBB788_82
; %bb.81:
	s_waitcnt lgkmcnt(0)
	flat_store_dword v[12:13], v3 offset:512
.LBB788_82:
	s_or_b64 exec, exec, s[0:1]
	v_or_b32_e32 v14, 0x100, v0
	v_cmp_gt_u32_e32 vcc, s30, v14
	s_and_saveexec_b64 s[0:1], vcc
	s_cbranch_execz .LBB788_84
; %bb.83:
	s_waitcnt lgkmcnt(0)
	flat_store_dword v[12:13], v6 offset:1024
.LBB788_84:
	;; [unrolled: 9-line block ×7, first 2 shown]
	s_or_b64 exec, exec, s[0:1]
	v_or_b32_e32 v14, 0x400, v0
	v_cmp_gt_u32_e32 vcc, s30, v14
	s_and_saveexec_b64 s[0:1], vcc
	s_cbranch_execz .LBB788_96
; %bb.95:
	v_add_co_u32_e32 v14, vcc, 0x1000, v12
	v_addc_co_u32_e32 v15, vcc, 0, v13, vcc
	s_waitcnt lgkmcnt(0)
	flat_store_dword v[14:15], v10
.LBB788_96:
	s_or_b64 exec, exec, s[0:1]
	v_or_b32_e32 v14, 0x480, v0
	v_cmp_gt_u32_e32 vcc, s30, v14
	s_and_saveexec_b64 s[0:1], vcc
	s_cbranch_execz .LBB788_98
; %bb.97:
	v_add_co_u32_e32 v12, vcc, 0x1000, v12
	v_addc_co_u32_e32 v13, vcc, 0, v13, vcc
	s_waitcnt lgkmcnt(0)
	flat_store_dword v[12:13], v11 offset:512
.LBB788_98:
	s_or_b64 exec, exec, s[0:1]
	v_cmp_lt_u64_e64 s[0:1], s[14:15], 2
	s_and_b64 vcc, exec, s[0:1]
	s_cbranch_vccnz .LBB788_133
; %bb.99:
	s_add_u32 s0, s30, -1
	s_addc_u32 s1, s31, -1
	s_add_u32 s2, 0, 0x99986000
	s_addc_u32 s3, 0, 0x59
	s_add_i32 s3, s3, 0x19999940
	s_mul_hi_u32 s7, s2, -10
	s_sub_i32 s7, s7, s2
	s_mul_i32 s8, s3, -10
	s_mul_i32 s4, s2, -10
	s_add_i32 s7, s7, s8
	s_mul_hi_u32 s5, s3, s4
	s_mul_i32 s6, s3, s4
	s_mul_i32 s9, s2, s7
	s_mul_hi_u32 s4, s2, s4
	s_mul_hi_u32 s8, s2, s7
	s_add_u32 s4, s4, s9
	s_addc_u32 s8, 0, s8
	s_add_u32 s4, s4, s6
	s_mul_hi_u32 s9, s3, s7
	s_addc_u32 s4, s8, s5
	s_addc_u32 s5, s9, 0
	s_mul_i32 s6, s3, s7
	s_add_u32 s4, s4, s6
	v_mov_b32_e32 v12, s4
	s_addc_u32 s5, 0, s5
	v_add_co_u32_e32 v12, vcc, s2, v12
	s_cmp_lg_u64 vcc, 0
	s_addc_u32 s2, s3, s5
	v_readfirstlane_b32 s5, v12
	s_mul_i32 s4, s0, s2
	s_mul_hi_u32 s6, s0, s5
	s_mul_hi_u32 s3, s0, s2
	s_add_u32 s4, s6, s4
	s_addc_u32 s3, 0, s3
	s_mul_hi_u32 s7, s1, s5
	s_mul_i32 s5, s1, s5
	s_add_u32 s4, s4, s5
	s_mul_hi_u32 s6, s1, s2
	s_addc_u32 s3, s3, s7
	s_addc_u32 s4, s6, 0
	s_mul_i32 s2, s1, s2
	s_add_u32 s2, s3, s2
	s_addc_u32 s3, 0, s4
	s_add_u32 s4, s2, 1
	s_addc_u32 s5, s3, 0
	s_add_u32 s6, s2, 2
	s_mul_i32 s8, s3, 10
	s_mul_hi_u32 s9, s2, 10
	s_addc_u32 s7, s3, 0
	s_add_i32 s9, s9, s8
	s_mul_i32 s8, s2, 10
	v_mov_b32_e32 v12, s8
	v_sub_co_u32_e32 v12, vcc, s0, v12
	s_cmp_lg_u64 vcc, 0
	s_subb_u32 s8, s1, s9
	v_subrev_co_u32_e32 v13, vcc, 10, v12
	s_cmp_lg_u64 vcc, 0
	s_subb_u32 s9, s8, 0
	v_readfirstlane_b32 s12, v13
	s_cmp_gt_u32 s12, 9
	s_cselect_b32 s12, -1, 0
	s_cmp_eq_u32 s9, 0
	s_cselect_b32 s9, s12, -1
	s_cmp_lg_u32 s9, 0
	s_cselect_b32 s4, s6, s4
	v_readfirstlane_b32 s6, v12
	s_cselect_b32 s5, s7, s5
	s_cmp_gt_u32 s6, 9
	s_cselect_b32 s6, -1, 0
	s_cmp_eq_u32 s8, 0
	s_cselect_b32 s6, s6, -1
	s_cmp_lg_u32 s6, 0
	s_cselect_b32 s3, s5, s3
	s_cselect_b32 s2, s4, s2
	v_cmp_eq_u64_e32 vcc, s[2:3], v[0:1]
	s_and_saveexec_b64 s[2:3], vcc
	s_cbranch_execz .LBB788_133
; %bb.100:
	v_mul_hi_u32_u24_e32 v1, 10, v0
	v_mov_b32_e32 v12, s1
	v_sub_co_u32_e32 v0, vcc, s0, v31
	v_subb_co_u32_e32 v1, vcc, v12, v1, vcc
	v_cmp_lt_i64_e32 vcc, 4, v[0:1]
	s_and_saveexec_b64 s[0:1], vcc
	s_xor_b64 s[0:1], exec, s[0:1]
	s_cbranch_execz .LBB788_118
; %bb.101:
	v_cmp_lt_i64_e32 vcc, 6, v[0:1]
	s_and_saveexec_b64 s[2:3], vcc
	s_xor_b64 s[2:3], exec, s[2:3]
	s_cbranch_execz .LBB788_111
; %bb.102:
	;; [unrolled: 5-line block ×4, first 2 shown]
	v_mov_b32_e32 v0, 0
	s_waitcnt lgkmcnt(0)
	global_store_dword v0, v11, s[10:11]
                                        ; implicit-def: $vgpr10_vgpr11
.LBB788_105:
	s_andn2_saveexec_b64 s[6:7], s[6:7]
	s_cbranch_execz .LBB788_107
; %bb.106:
	v_mov_b32_e32 v0, 0
	s_waitcnt lgkmcnt(0)
	global_store_dword v0, v10, s[10:11]
.LBB788_107:
	s_or_b64 exec, exec, s[6:7]
                                        ; implicit-def: $vgpr8_vgpr9
.LBB788_108:
	s_andn2_saveexec_b64 s[4:5], s[4:5]
	s_cbranch_execz .LBB788_110
; %bb.109:
	v_mov_b32_e32 v0, 0
	s_waitcnt lgkmcnt(0)
	global_store_dword v0, v9, s[10:11]
.LBB788_110:
	s_or_b64 exec, exec, s[4:5]
                                        ; implicit-def: $vgpr4_vgpr5
                                        ; implicit-def: $vgpr0_vgpr1
                                        ; implicit-def: $vgpr8_vgpr9
.LBB788_111:
	s_andn2_saveexec_b64 s[2:3], s[2:3]
	s_cbranch_execz .LBB788_117
; %bb.112:
	v_cmp_lt_i64_e32 vcc, 5, v[0:1]
	s_and_saveexec_b64 s[4:5], vcc
	s_xor_b64 s[4:5], exec, s[4:5]
	s_cbranch_execz .LBB788_114
; %bb.113:
	v_mov_b32_e32 v0, 0
	s_waitcnt lgkmcnt(0)
	global_store_dword v0, v8, s[10:11]
                                        ; implicit-def: $vgpr4_vgpr5
.LBB788_114:
	s_andn2_saveexec_b64 s[4:5], s[4:5]
	s_cbranch_execz .LBB788_116
; %bb.115:
	v_mov_b32_e32 v0, 0
	s_waitcnt lgkmcnt(0)
	global_store_dword v0, v5, s[10:11]
.LBB788_116:
	s_or_b64 exec, exec, s[4:5]
.LBB788_117:
	s_or_b64 exec, exec, s[2:3]
                                        ; implicit-def: $vgpr0_vgpr1
                                        ; implicit-def: $vgpr6_vgpr7
                                        ; implicit-def: $vgpr2_vgpr3
                                        ; implicit-def: $vgpr4_vgpr5
.LBB788_118:
	s_andn2_saveexec_b64 s[0:1], s[0:1]
	s_cbranch_execz .LBB788_133
; %bb.119:
	v_cmp_lt_i64_e32 vcc, 2, v[0:1]
	s_and_saveexec_b64 s[0:1], vcc
	s_xor_b64 s[0:1], exec, s[0:1]
	s_cbranch_execz .LBB788_125
; %bb.120:
	v_cmp_lt_i64_e32 vcc, 3, v[0:1]
	s_and_saveexec_b64 s[2:3], vcc
	s_xor_b64 s[2:3], exec, s[2:3]
	s_cbranch_execz .LBB788_122
; %bb.121:
	v_mov_b32_e32 v0, 0
	s_waitcnt lgkmcnt(0)
	global_store_dword v0, v4, s[10:11]
                                        ; implicit-def: $vgpr6_vgpr7
.LBB788_122:
	s_andn2_saveexec_b64 s[2:3], s[2:3]
	s_cbranch_execz .LBB788_124
; %bb.123:
	v_mov_b32_e32 v0, 0
	s_waitcnt lgkmcnt(0)
	global_store_dword v0, v7, s[10:11]
.LBB788_124:
	s_or_b64 exec, exec, s[2:3]
                                        ; implicit-def: $vgpr0_vgpr1
                                        ; implicit-def: $vgpr6_vgpr7
                                        ; implicit-def: $vgpr2_vgpr3
.LBB788_125:
	s_andn2_saveexec_b64 s[0:1], s[0:1]
	s_cbranch_execz .LBB788_133
; %bb.126:
	v_cmp_lt_i64_e32 vcc, 1, v[0:1]
	s_and_saveexec_b64 s[0:1], vcc
	s_xor_b64 s[0:1], exec, s[0:1]
	s_cbranch_execz .LBB788_128
; %bb.127:
	v_mov_b32_e32 v0, 0
	s_waitcnt lgkmcnt(0)
	global_store_dword v0, v6, s[10:11]
                                        ; implicit-def: $vgpr2_vgpr3
                                        ; implicit-def: $vgpr0_vgpr1
.LBB788_128:
	s_andn2_saveexec_b64 s[0:1], s[0:1]
	s_cbranch_execz .LBB788_133
; %bb.129:
	v_cmp_ne_u64_e32 vcc, 1, v[0:1]
	s_and_saveexec_b64 s[0:1], vcc
	s_xor_b64 s[0:1], exec, s[0:1]
	s_cbranch_execz .LBB788_131
; %bb.130:
	v_mov_b32_e32 v0, 0
	s_waitcnt lgkmcnt(0)
	global_store_dword v0, v2, s[10:11]
                                        ; implicit-def: $vgpr2_vgpr3
.LBB788_131:
	s_andn2_saveexec_b64 s[0:1], s[0:1]
	s_cbranch_execz .LBB788_133
; %bb.132:
	v_mov_b32_e32 v0, 0
	s_waitcnt lgkmcnt(0)
	global_store_dword v0, v3, s[10:11]
.LBB788_133:
	s_endpgm
	.section	.rodata,"a",@progbits
	.p2align	6, 0x0
	.amdhsa_kernel _ZN7rocprim17ROCPRIM_400000_NS6detail17trampoline_kernelINS0_14default_configENS1_20scan_config_selectorIiEEZZNS1_9scan_implILNS1_25lookback_scan_determinismE0ELb0ELb1ES3_N6thrust23THRUST_200600_302600_NS6detail15normal_iteratorINS9_10device_ptrIiEEEESE_iNS9_4plusIiEEiEEDaPvRmT3_T4_T5_mT6_P12ihipStream_tbENKUlT_T0_E_clISt17integral_constantIbLb0EEST_IbLb1EEEEDaSP_SQ_EUlSP_E_NS1_11comp_targetILNS1_3genE4ELNS1_11target_archE910ELNS1_3gpuE8ELNS1_3repE0EEENS1_30default_config_static_selectorELNS0_4arch9wavefront6targetE1EEEvT1_
		.amdhsa_group_segment_fixed_size 5120
		.amdhsa_private_segment_fixed_size 0
		.amdhsa_kernarg_size 96
		.amdhsa_user_sgpr_count 6
		.amdhsa_user_sgpr_private_segment_buffer 1
		.amdhsa_user_sgpr_dispatch_ptr 0
		.amdhsa_user_sgpr_queue_ptr 0
		.amdhsa_user_sgpr_kernarg_segment_ptr 1
		.amdhsa_user_sgpr_dispatch_id 0
		.amdhsa_user_sgpr_flat_scratch_init 0
		.amdhsa_user_sgpr_kernarg_preload_length 0
		.amdhsa_user_sgpr_kernarg_preload_offset 0
		.amdhsa_user_sgpr_private_segment_size 0
		.amdhsa_uses_dynamic_stack 0
		.amdhsa_system_sgpr_private_segment_wavefront_offset 0
		.amdhsa_system_sgpr_workgroup_id_x 1
		.amdhsa_system_sgpr_workgroup_id_y 0
		.amdhsa_system_sgpr_workgroup_id_z 0
		.amdhsa_system_sgpr_workgroup_info 0
		.amdhsa_system_vgpr_workitem_id 0
		.amdhsa_next_free_vgpr 40
		.amdhsa_next_free_sgpr 38
		.amdhsa_accum_offset 40
		.amdhsa_reserve_vcc 1
		.amdhsa_reserve_flat_scratch 0
		.amdhsa_float_round_mode_32 0
		.amdhsa_float_round_mode_16_64 0
		.amdhsa_float_denorm_mode_32 3
		.amdhsa_float_denorm_mode_16_64 3
		.amdhsa_dx10_clamp 1
		.amdhsa_ieee_mode 1
		.amdhsa_fp16_overflow 0
		.amdhsa_tg_split 0
		.amdhsa_exception_fp_ieee_invalid_op 0
		.amdhsa_exception_fp_denorm_src 0
		.amdhsa_exception_fp_ieee_div_zero 0
		.amdhsa_exception_fp_ieee_overflow 0
		.amdhsa_exception_fp_ieee_underflow 0
		.amdhsa_exception_fp_ieee_inexact 0
		.amdhsa_exception_int_div_zero 0
	.end_amdhsa_kernel
	.section	.text._ZN7rocprim17ROCPRIM_400000_NS6detail17trampoline_kernelINS0_14default_configENS1_20scan_config_selectorIiEEZZNS1_9scan_implILNS1_25lookback_scan_determinismE0ELb0ELb1ES3_N6thrust23THRUST_200600_302600_NS6detail15normal_iteratorINS9_10device_ptrIiEEEESE_iNS9_4plusIiEEiEEDaPvRmT3_T4_T5_mT6_P12ihipStream_tbENKUlT_T0_E_clISt17integral_constantIbLb0EEST_IbLb1EEEEDaSP_SQ_EUlSP_E_NS1_11comp_targetILNS1_3genE4ELNS1_11target_archE910ELNS1_3gpuE8ELNS1_3repE0EEENS1_30default_config_static_selectorELNS0_4arch9wavefront6targetE1EEEvT1_,"axG",@progbits,_ZN7rocprim17ROCPRIM_400000_NS6detail17trampoline_kernelINS0_14default_configENS1_20scan_config_selectorIiEEZZNS1_9scan_implILNS1_25lookback_scan_determinismE0ELb0ELb1ES3_N6thrust23THRUST_200600_302600_NS6detail15normal_iteratorINS9_10device_ptrIiEEEESE_iNS9_4plusIiEEiEEDaPvRmT3_T4_T5_mT6_P12ihipStream_tbENKUlT_T0_E_clISt17integral_constantIbLb0EEST_IbLb1EEEEDaSP_SQ_EUlSP_E_NS1_11comp_targetILNS1_3genE4ELNS1_11target_archE910ELNS1_3gpuE8ELNS1_3repE0EEENS1_30default_config_static_selectorELNS0_4arch9wavefront6targetE1EEEvT1_,comdat
.Lfunc_end788:
	.size	_ZN7rocprim17ROCPRIM_400000_NS6detail17trampoline_kernelINS0_14default_configENS1_20scan_config_selectorIiEEZZNS1_9scan_implILNS1_25lookback_scan_determinismE0ELb0ELb1ES3_N6thrust23THRUST_200600_302600_NS6detail15normal_iteratorINS9_10device_ptrIiEEEESE_iNS9_4plusIiEEiEEDaPvRmT3_T4_T5_mT6_P12ihipStream_tbENKUlT_T0_E_clISt17integral_constantIbLb0EEST_IbLb1EEEEDaSP_SQ_EUlSP_E_NS1_11comp_targetILNS1_3genE4ELNS1_11target_archE910ELNS1_3gpuE8ELNS1_3repE0EEENS1_30default_config_static_selectorELNS0_4arch9wavefront6targetE1EEEvT1_, .Lfunc_end788-_ZN7rocprim17ROCPRIM_400000_NS6detail17trampoline_kernelINS0_14default_configENS1_20scan_config_selectorIiEEZZNS1_9scan_implILNS1_25lookback_scan_determinismE0ELb0ELb1ES3_N6thrust23THRUST_200600_302600_NS6detail15normal_iteratorINS9_10device_ptrIiEEEESE_iNS9_4plusIiEEiEEDaPvRmT3_T4_T5_mT6_P12ihipStream_tbENKUlT_T0_E_clISt17integral_constantIbLb0EEST_IbLb1EEEEDaSP_SQ_EUlSP_E_NS1_11comp_targetILNS1_3genE4ELNS1_11target_archE910ELNS1_3gpuE8ELNS1_3repE0EEENS1_30default_config_static_selectorELNS0_4arch9wavefront6targetE1EEEvT1_
                                        ; -- End function
	.section	.AMDGPU.csdata,"",@progbits
; Kernel info:
; codeLenInByte = 5100
; NumSgprs: 42
; NumVgprs: 40
; NumAgprs: 0
; TotalNumVgprs: 40
; ScratchSize: 0
; MemoryBound: 0
; FloatMode: 240
; IeeeMode: 1
; LDSByteSize: 5120 bytes/workgroup (compile time only)
; SGPRBlocks: 5
; VGPRBlocks: 4
; NumSGPRsForWavesPerEU: 42
; NumVGPRsForWavesPerEU: 40
; AccumOffset: 40
; Occupancy: 6
; WaveLimiterHint : 1
; COMPUTE_PGM_RSRC2:SCRATCH_EN: 0
; COMPUTE_PGM_RSRC2:USER_SGPR: 6
; COMPUTE_PGM_RSRC2:TRAP_HANDLER: 0
; COMPUTE_PGM_RSRC2:TGID_X_EN: 1
; COMPUTE_PGM_RSRC2:TGID_Y_EN: 0
; COMPUTE_PGM_RSRC2:TGID_Z_EN: 0
; COMPUTE_PGM_RSRC2:TIDIG_COMP_CNT: 0
; COMPUTE_PGM_RSRC3_GFX90A:ACCUM_OFFSET: 9
; COMPUTE_PGM_RSRC3_GFX90A:TG_SPLIT: 0
	.section	.text._ZN7rocprim17ROCPRIM_400000_NS6detail17trampoline_kernelINS0_14default_configENS1_20scan_config_selectorIiEEZZNS1_9scan_implILNS1_25lookback_scan_determinismE0ELb0ELb1ES3_N6thrust23THRUST_200600_302600_NS6detail15normal_iteratorINS9_10device_ptrIiEEEESE_iNS9_4plusIiEEiEEDaPvRmT3_T4_T5_mT6_P12ihipStream_tbENKUlT_T0_E_clISt17integral_constantIbLb0EEST_IbLb1EEEEDaSP_SQ_EUlSP_E_NS1_11comp_targetILNS1_3genE3ELNS1_11target_archE908ELNS1_3gpuE7ELNS1_3repE0EEENS1_30default_config_static_selectorELNS0_4arch9wavefront6targetE1EEEvT1_,"axG",@progbits,_ZN7rocprim17ROCPRIM_400000_NS6detail17trampoline_kernelINS0_14default_configENS1_20scan_config_selectorIiEEZZNS1_9scan_implILNS1_25lookback_scan_determinismE0ELb0ELb1ES3_N6thrust23THRUST_200600_302600_NS6detail15normal_iteratorINS9_10device_ptrIiEEEESE_iNS9_4plusIiEEiEEDaPvRmT3_T4_T5_mT6_P12ihipStream_tbENKUlT_T0_E_clISt17integral_constantIbLb0EEST_IbLb1EEEEDaSP_SQ_EUlSP_E_NS1_11comp_targetILNS1_3genE3ELNS1_11target_archE908ELNS1_3gpuE7ELNS1_3repE0EEENS1_30default_config_static_selectorELNS0_4arch9wavefront6targetE1EEEvT1_,comdat
	.protected	_ZN7rocprim17ROCPRIM_400000_NS6detail17trampoline_kernelINS0_14default_configENS1_20scan_config_selectorIiEEZZNS1_9scan_implILNS1_25lookback_scan_determinismE0ELb0ELb1ES3_N6thrust23THRUST_200600_302600_NS6detail15normal_iteratorINS9_10device_ptrIiEEEESE_iNS9_4plusIiEEiEEDaPvRmT3_T4_T5_mT6_P12ihipStream_tbENKUlT_T0_E_clISt17integral_constantIbLb0EEST_IbLb1EEEEDaSP_SQ_EUlSP_E_NS1_11comp_targetILNS1_3genE3ELNS1_11target_archE908ELNS1_3gpuE7ELNS1_3repE0EEENS1_30default_config_static_selectorELNS0_4arch9wavefront6targetE1EEEvT1_ ; -- Begin function _ZN7rocprim17ROCPRIM_400000_NS6detail17trampoline_kernelINS0_14default_configENS1_20scan_config_selectorIiEEZZNS1_9scan_implILNS1_25lookback_scan_determinismE0ELb0ELb1ES3_N6thrust23THRUST_200600_302600_NS6detail15normal_iteratorINS9_10device_ptrIiEEEESE_iNS9_4plusIiEEiEEDaPvRmT3_T4_T5_mT6_P12ihipStream_tbENKUlT_T0_E_clISt17integral_constantIbLb0EEST_IbLb1EEEEDaSP_SQ_EUlSP_E_NS1_11comp_targetILNS1_3genE3ELNS1_11target_archE908ELNS1_3gpuE7ELNS1_3repE0EEENS1_30default_config_static_selectorELNS0_4arch9wavefront6targetE1EEEvT1_
	.globl	_ZN7rocprim17ROCPRIM_400000_NS6detail17trampoline_kernelINS0_14default_configENS1_20scan_config_selectorIiEEZZNS1_9scan_implILNS1_25lookback_scan_determinismE0ELb0ELb1ES3_N6thrust23THRUST_200600_302600_NS6detail15normal_iteratorINS9_10device_ptrIiEEEESE_iNS9_4plusIiEEiEEDaPvRmT3_T4_T5_mT6_P12ihipStream_tbENKUlT_T0_E_clISt17integral_constantIbLb0EEST_IbLb1EEEEDaSP_SQ_EUlSP_E_NS1_11comp_targetILNS1_3genE3ELNS1_11target_archE908ELNS1_3gpuE7ELNS1_3repE0EEENS1_30default_config_static_selectorELNS0_4arch9wavefront6targetE1EEEvT1_
	.p2align	8
	.type	_ZN7rocprim17ROCPRIM_400000_NS6detail17trampoline_kernelINS0_14default_configENS1_20scan_config_selectorIiEEZZNS1_9scan_implILNS1_25lookback_scan_determinismE0ELb0ELb1ES3_N6thrust23THRUST_200600_302600_NS6detail15normal_iteratorINS9_10device_ptrIiEEEESE_iNS9_4plusIiEEiEEDaPvRmT3_T4_T5_mT6_P12ihipStream_tbENKUlT_T0_E_clISt17integral_constantIbLb0EEST_IbLb1EEEEDaSP_SQ_EUlSP_E_NS1_11comp_targetILNS1_3genE3ELNS1_11target_archE908ELNS1_3gpuE7ELNS1_3repE0EEENS1_30default_config_static_selectorELNS0_4arch9wavefront6targetE1EEEvT1_,@function
_ZN7rocprim17ROCPRIM_400000_NS6detail17trampoline_kernelINS0_14default_configENS1_20scan_config_selectorIiEEZZNS1_9scan_implILNS1_25lookback_scan_determinismE0ELb0ELb1ES3_N6thrust23THRUST_200600_302600_NS6detail15normal_iteratorINS9_10device_ptrIiEEEESE_iNS9_4plusIiEEiEEDaPvRmT3_T4_T5_mT6_P12ihipStream_tbENKUlT_T0_E_clISt17integral_constantIbLb0EEST_IbLb1EEEEDaSP_SQ_EUlSP_E_NS1_11comp_targetILNS1_3genE3ELNS1_11target_archE908ELNS1_3gpuE7ELNS1_3repE0EEENS1_30default_config_static_selectorELNS0_4arch9wavefront6targetE1EEEvT1_: ; @_ZN7rocprim17ROCPRIM_400000_NS6detail17trampoline_kernelINS0_14default_configENS1_20scan_config_selectorIiEEZZNS1_9scan_implILNS1_25lookback_scan_determinismE0ELb0ELb1ES3_N6thrust23THRUST_200600_302600_NS6detail15normal_iteratorINS9_10device_ptrIiEEEESE_iNS9_4plusIiEEiEEDaPvRmT3_T4_T5_mT6_P12ihipStream_tbENKUlT_T0_E_clISt17integral_constantIbLb0EEST_IbLb1EEEEDaSP_SQ_EUlSP_E_NS1_11comp_targetILNS1_3genE3ELNS1_11target_archE908ELNS1_3gpuE7ELNS1_3repE0EEENS1_30default_config_static_selectorELNS0_4arch9wavefront6targetE1EEEvT1_
; %bb.0:
	.section	.rodata,"a",@progbits
	.p2align	6, 0x0
	.amdhsa_kernel _ZN7rocprim17ROCPRIM_400000_NS6detail17trampoline_kernelINS0_14default_configENS1_20scan_config_selectorIiEEZZNS1_9scan_implILNS1_25lookback_scan_determinismE0ELb0ELb1ES3_N6thrust23THRUST_200600_302600_NS6detail15normal_iteratorINS9_10device_ptrIiEEEESE_iNS9_4plusIiEEiEEDaPvRmT3_T4_T5_mT6_P12ihipStream_tbENKUlT_T0_E_clISt17integral_constantIbLb0EEST_IbLb1EEEEDaSP_SQ_EUlSP_E_NS1_11comp_targetILNS1_3genE3ELNS1_11target_archE908ELNS1_3gpuE7ELNS1_3repE0EEENS1_30default_config_static_selectorELNS0_4arch9wavefront6targetE1EEEvT1_
		.amdhsa_group_segment_fixed_size 0
		.amdhsa_private_segment_fixed_size 0
		.amdhsa_kernarg_size 96
		.amdhsa_user_sgpr_count 6
		.amdhsa_user_sgpr_private_segment_buffer 1
		.amdhsa_user_sgpr_dispatch_ptr 0
		.amdhsa_user_sgpr_queue_ptr 0
		.amdhsa_user_sgpr_kernarg_segment_ptr 1
		.amdhsa_user_sgpr_dispatch_id 0
		.amdhsa_user_sgpr_flat_scratch_init 0
		.amdhsa_user_sgpr_kernarg_preload_length 0
		.amdhsa_user_sgpr_kernarg_preload_offset 0
		.amdhsa_user_sgpr_private_segment_size 0
		.amdhsa_uses_dynamic_stack 0
		.amdhsa_system_sgpr_private_segment_wavefront_offset 0
		.amdhsa_system_sgpr_workgroup_id_x 1
		.amdhsa_system_sgpr_workgroup_id_y 0
		.amdhsa_system_sgpr_workgroup_id_z 0
		.amdhsa_system_sgpr_workgroup_info 0
		.amdhsa_system_vgpr_workitem_id 0
		.amdhsa_next_free_vgpr 1
		.amdhsa_next_free_sgpr 0
		.amdhsa_accum_offset 4
		.amdhsa_reserve_vcc 0
		.amdhsa_reserve_flat_scratch 0
		.amdhsa_float_round_mode_32 0
		.amdhsa_float_round_mode_16_64 0
		.amdhsa_float_denorm_mode_32 3
		.amdhsa_float_denorm_mode_16_64 3
		.amdhsa_dx10_clamp 1
		.amdhsa_ieee_mode 1
		.amdhsa_fp16_overflow 0
		.amdhsa_tg_split 0
		.amdhsa_exception_fp_ieee_invalid_op 0
		.amdhsa_exception_fp_denorm_src 0
		.amdhsa_exception_fp_ieee_div_zero 0
		.amdhsa_exception_fp_ieee_overflow 0
		.amdhsa_exception_fp_ieee_underflow 0
		.amdhsa_exception_fp_ieee_inexact 0
		.amdhsa_exception_int_div_zero 0
	.end_amdhsa_kernel
	.section	.text._ZN7rocprim17ROCPRIM_400000_NS6detail17trampoline_kernelINS0_14default_configENS1_20scan_config_selectorIiEEZZNS1_9scan_implILNS1_25lookback_scan_determinismE0ELb0ELb1ES3_N6thrust23THRUST_200600_302600_NS6detail15normal_iteratorINS9_10device_ptrIiEEEESE_iNS9_4plusIiEEiEEDaPvRmT3_T4_T5_mT6_P12ihipStream_tbENKUlT_T0_E_clISt17integral_constantIbLb0EEST_IbLb1EEEEDaSP_SQ_EUlSP_E_NS1_11comp_targetILNS1_3genE3ELNS1_11target_archE908ELNS1_3gpuE7ELNS1_3repE0EEENS1_30default_config_static_selectorELNS0_4arch9wavefront6targetE1EEEvT1_,"axG",@progbits,_ZN7rocprim17ROCPRIM_400000_NS6detail17trampoline_kernelINS0_14default_configENS1_20scan_config_selectorIiEEZZNS1_9scan_implILNS1_25lookback_scan_determinismE0ELb0ELb1ES3_N6thrust23THRUST_200600_302600_NS6detail15normal_iteratorINS9_10device_ptrIiEEEESE_iNS9_4plusIiEEiEEDaPvRmT3_T4_T5_mT6_P12ihipStream_tbENKUlT_T0_E_clISt17integral_constantIbLb0EEST_IbLb1EEEEDaSP_SQ_EUlSP_E_NS1_11comp_targetILNS1_3genE3ELNS1_11target_archE908ELNS1_3gpuE7ELNS1_3repE0EEENS1_30default_config_static_selectorELNS0_4arch9wavefront6targetE1EEEvT1_,comdat
.Lfunc_end789:
	.size	_ZN7rocprim17ROCPRIM_400000_NS6detail17trampoline_kernelINS0_14default_configENS1_20scan_config_selectorIiEEZZNS1_9scan_implILNS1_25lookback_scan_determinismE0ELb0ELb1ES3_N6thrust23THRUST_200600_302600_NS6detail15normal_iteratorINS9_10device_ptrIiEEEESE_iNS9_4plusIiEEiEEDaPvRmT3_T4_T5_mT6_P12ihipStream_tbENKUlT_T0_E_clISt17integral_constantIbLb0EEST_IbLb1EEEEDaSP_SQ_EUlSP_E_NS1_11comp_targetILNS1_3genE3ELNS1_11target_archE908ELNS1_3gpuE7ELNS1_3repE0EEENS1_30default_config_static_selectorELNS0_4arch9wavefront6targetE1EEEvT1_, .Lfunc_end789-_ZN7rocprim17ROCPRIM_400000_NS6detail17trampoline_kernelINS0_14default_configENS1_20scan_config_selectorIiEEZZNS1_9scan_implILNS1_25lookback_scan_determinismE0ELb0ELb1ES3_N6thrust23THRUST_200600_302600_NS6detail15normal_iteratorINS9_10device_ptrIiEEEESE_iNS9_4plusIiEEiEEDaPvRmT3_T4_T5_mT6_P12ihipStream_tbENKUlT_T0_E_clISt17integral_constantIbLb0EEST_IbLb1EEEEDaSP_SQ_EUlSP_E_NS1_11comp_targetILNS1_3genE3ELNS1_11target_archE908ELNS1_3gpuE7ELNS1_3repE0EEENS1_30default_config_static_selectorELNS0_4arch9wavefront6targetE1EEEvT1_
                                        ; -- End function
	.section	.AMDGPU.csdata,"",@progbits
; Kernel info:
; codeLenInByte = 0
; NumSgprs: 4
; NumVgprs: 0
; NumAgprs: 0
; TotalNumVgprs: 0
; ScratchSize: 0
; MemoryBound: 0
; FloatMode: 240
; IeeeMode: 1
; LDSByteSize: 0 bytes/workgroup (compile time only)
; SGPRBlocks: 0
; VGPRBlocks: 0
; NumSGPRsForWavesPerEU: 4
; NumVGPRsForWavesPerEU: 1
; AccumOffset: 4
; Occupancy: 8
; WaveLimiterHint : 0
; COMPUTE_PGM_RSRC2:SCRATCH_EN: 0
; COMPUTE_PGM_RSRC2:USER_SGPR: 6
; COMPUTE_PGM_RSRC2:TRAP_HANDLER: 0
; COMPUTE_PGM_RSRC2:TGID_X_EN: 1
; COMPUTE_PGM_RSRC2:TGID_Y_EN: 0
; COMPUTE_PGM_RSRC2:TGID_Z_EN: 0
; COMPUTE_PGM_RSRC2:TIDIG_COMP_CNT: 0
; COMPUTE_PGM_RSRC3_GFX90A:ACCUM_OFFSET: 0
; COMPUTE_PGM_RSRC3_GFX90A:TG_SPLIT: 0
	.section	.text._ZN7rocprim17ROCPRIM_400000_NS6detail17trampoline_kernelINS0_14default_configENS1_20scan_config_selectorIiEEZZNS1_9scan_implILNS1_25lookback_scan_determinismE0ELb0ELb1ES3_N6thrust23THRUST_200600_302600_NS6detail15normal_iteratorINS9_10device_ptrIiEEEESE_iNS9_4plusIiEEiEEDaPvRmT3_T4_T5_mT6_P12ihipStream_tbENKUlT_T0_E_clISt17integral_constantIbLb0EEST_IbLb1EEEEDaSP_SQ_EUlSP_E_NS1_11comp_targetILNS1_3genE2ELNS1_11target_archE906ELNS1_3gpuE6ELNS1_3repE0EEENS1_30default_config_static_selectorELNS0_4arch9wavefront6targetE1EEEvT1_,"axG",@progbits,_ZN7rocprim17ROCPRIM_400000_NS6detail17trampoline_kernelINS0_14default_configENS1_20scan_config_selectorIiEEZZNS1_9scan_implILNS1_25lookback_scan_determinismE0ELb0ELb1ES3_N6thrust23THRUST_200600_302600_NS6detail15normal_iteratorINS9_10device_ptrIiEEEESE_iNS9_4plusIiEEiEEDaPvRmT3_T4_T5_mT6_P12ihipStream_tbENKUlT_T0_E_clISt17integral_constantIbLb0EEST_IbLb1EEEEDaSP_SQ_EUlSP_E_NS1_11comp_targetILNS1_3genE2ELNS1_11target_archE906ELNS1_3gpuE6ELNS1_3repE0EEENS1_30default_config_static_selectorELNS0_4arch9wavefront6targetE1EEEvT1_,comdat
	.protected	_ZN7rocprim17ROCPRIM_400000_NS6detail17trampoline_kernelINS0_14default_configENS1_20scan_config_selectorIiEEZZNS1_9scan_implILNS1_25lookback_scan_determinismE0ELb0ELb1ES3_N6thrust23THRUST_200600_302600_NS6detail15normal_iteratorINS9_10device_ptrIiEEEESE_iNS9_4plusIiEEiEEDaPvRmT3_T4_T5_mT6_P12ihipStream_tbENKUlT_T0_E_clISt17integral_constantIbLb0EEST_IbLb1EEEEDaSP_SQ_EUlSP_E_NS1_11comp_targetILNS1_3genE2ELNS1_11target_archE906ELNS1_3gpuE6ELNS1_3repE0EEENS1_30default_config_static_selectorELNS0_4arch9wavefront6targetE1EEEvT1_ ; -- Begin function _ZN7rocprim17ROCPRIM_400000_NS6detail17trampoline_kernelINS0_14default_configENS1_20scan_config_selectorIiEEZZNS1_9scan_implILNS1_25lookback_scan_determinismE0ELb0ELb1ES3_N6thrust23THRUST_200600_302600_NS6detail15normal_iteratorINS9_10device_ptrIiEEEESE_iNS9_4plusIiEEiEEDaPvRmT3_T4_T5_mT6_P12ihipStream_tbENKUlT_T0_E_clISt17integral_constantIbLb0EEST_IbLb1EEEEDaSP_SQ_EUlSP_E_NS1_11comp_targetILNS1_3genE2ELNS1_11target_archE906ELNS1_3gpuE6ELNS1_3repE0EEENS1_30default_config_static_selectorELNS0_4arch9wavefront6targetE1EEEvT1_
	.globl	_ZN7rocprim17ROCPRIM_400000_NS6detail17trampoline_kernelINS0_14default_configENS1_20scan_config_selectorIiEEZZNS1_9scan_implILNS1_25lookback_scan_determinismE0ELb0ELb1ES3_N6thrust23THRUST_200600_302600_NS6detail15normal_iteratorINS9_10device_ptrIiEEEESE_iNS9_4plusIiEEiEEDaPvRmT3_T4_T5_mT6_P12ihipStream_tbENKUlT_T0_E_clISt17integral_constantIbLb0EEST_IbLb1EEEEDaSP_SQ_EUlSP_E_NS1_11comp_targetILNS1_3genE2ELNS1_11target_archE906ELNS1_3gpuE6ELNS1_3repE0EEENS1_30default_config_static_selectorELNS0_4arch9wavefront6targetE1EEEvT1_
	.p2align	8
	.type	_ZN7rocprim17ROCPRIM_400000_NS6detail17trampoline_kernelINS0_14default_configENS1_20scan_config_selectorIiEEZZNS1_9scan_implILNS1_25lookback_scan_determinismE0ELb0ELb1ES3_N6thrust23THRUST_200600_302600_NS6detail15normal_iteratorINS9_10device_ptrIiEEEESE_iNS9_4plusIiEEiEEDaPvRmT3_T4_T5_mT6_P12ihipStream_tbENKUlT_T0_E_clISt17integral_constantIbLb0EEST_IbLb1EEEEDaSP_SQ_EUlSP_E_NS1_11comp_targetILNS1_3genE2ELNS1_11target_archE906ELNS1_3gpuE6ELNS1_3repE0EEENS1_30default_config_static_selectorELNS0_4arch9wavefront6targetE1EEEvT1_,@function
_ZN7rocprim17ROCPRIM_400000_NS6detail17trampoline_kernelINS0_14default_configENS1_20scan_config_selectorIiEEZZNS1_9scan_implILNS1_25lookback_scan_determinismE0ELb0ELb1ES3_N6thrust23THRUST_200600_302600_NS6detail15normal_iteratorINS9_10device_ptrIiEEEESE_iNS9_4plusIiEEiEEDaPvRmT3_T4_T5_mT6_P12ihipStream_tbENKUlT_T0_E_clISt17integral_constantIbLb0EEST_IbLb1EEEEDaSP_SQ_EUlSP_E_NS1_11comp_targetILNS1_3genE2ELNS1_11target_archE906ELNS1_3gpuE6ELNS1_3repE0EEENS1_30default_config_static_selectorELNS0_4arch9wavefront6targetE1EEEvT1_: ; @_ZN7rocprim17ROCPRIM_400000_NS6detail17trampoline_kernelINS0_14default_configENS1_20scan_config_selectorIiEEZZNS1_9scan_implILNS1_25lookback_scan_determinismE0ELb0ELb1ES3_N6thrust23THRUST_200600_302600_NS6detail15normal_iteratorINS9_10device_ptrIiEEEESE_iNS9_4plusIiEEiEEDaPvRmT3_T4_T5_mT6_P12ihipStream_tbENKUlT_T0_E_clISt17integral_constantIbLb0EEST_IbLb1EEEEDaSP_SQ_EUlSP_E_NS1_11comp_targetILNS1_3genE2ELNS1_11target_archE906ELNS1_3gpuE6ELNS1_3repE0EEENS1_30default_config_static_selectorELNS0_4arch9wavefront6targetE1EEEvT1_
; %bb.0:
	.section	.rodata,"a",@progbits
	.p2align	6, 0x0
	.amdhsa_kernel _ZN7rocprim17ROCPRIM_400000_NS6detail17trampoline_kernelINS0_14default_configENS1_20scan_config_selectorIiEEZZNS1_9scan_implILNS1_25lookback_scan_determinismE0ELb0ELb1ES3_N6thrust23THRUST_200600_302600_NS6detail15normal_iteratorINS9_10device_ptrIiEEEESE_iNS9_4plusIiEEiEEDaPvRmT3_T4_T5_mT6_P12ihipStream_tbENKUlT_T0_E_clISt17integral_constantIbLb0EEST_IbLb1EEEEDaSP_SQ_EUlSP_E_NS1_11comp_targetILNS1_3genE2ELNS1_11target_archE906ELNS1_3gpuE6ELNS1_3repE0EEENS1_30default_config_static_selectorELNS0_4arch9wavefront6targetE1EEEvT1_
		.amdhsa_group_segment_fixed_size 0
		.amdhsa_private_segment_fixed_size 0
		.amdhsa_kernarg_size 96
		.amdhsa_user_sgpr_count 6
		.amdhsa_user_sgpr_private_segment_buffer 1
		.amdhsa_user_sgpr_dispatch_ptr 0
		.amdhsa_user_sgpr_queue_ptr 0
		.amdhsa_user_sgpr_kernarg_segment_ptr 1
		.amdhsa_user_sgpr_dispatch_id 0
		.amdhsa_user_sgpr_flat_scratch_init 0
		.amdhsa_user_sgpr_kernarg_preload_length 0
		.amdhsa_user_sgpr_kernarg_preload_offset 0
		.amdhsa_user_sgpr_private_segment_size 0
		.amdhsa_uses_dynamic_stack 0
		.amdhsa_system_sgpr_private_segment_wavefront_offset 0
		.amdhsa_system_sgpr_workgroup_id_x 1
		.amdhsa_system_sgpr_workgroup_id_y 0
		.amdhsa_system_sgpr_workgroup_id_z 0
		.amdhsa_system_sgpr_workgroup_info 0
		.amdhsa_system_vgpr_workitem_id 0
		.amdhsa_next_free_vgpr 1
		.amdhsa_next_free_sgpr 0
		.amdhsa_accum_offset 4
		.amdhsa_reserve_vcc 0
		.amdhsa_reserve_flat_scratch 0
		.amdhsa_float_round_mode_32 0
		.amdhsa_float_round_mode_16_64 0
		.amdhsa_float_denorm_mode_32 3
		.amdhsa_float_denorm_mode_16_64 3
		.amdhsa_dx10_clamp 1
		.amdhsa_ieee_mode 1
		.amdhsa_fp16_overflow 0
		.amdhsa_tg_split 0
		.amdhsa_exception_fp_ieee_invalid_op 0
		.amdhsa_exception_fp_denorm_src 0
		.amdhsa_exception_fp_ieee_div_zero 0
		.amdhsa_exception_fp_ieee_overflow 0
		.amdhsa_exception_fp_ieee_underflow 0
		.amdhsa_exception_fp_ieee_inexact 0
		.amdhsa_exception_int_div_zero 0
	.end_amdhsa_kernel
	.section	.text._ZN7rocprim17ROCPRIM_400000_NS6detail17trampoline_kernelINS0_14default_configENS1_20scan_config_selectorIiEEZZNS1_9scan_implILNS1_25lookback_scan_determinismE0ELb0ELb1ES3_N6thrust23THRUST_200600_302600_NS6detail15normal_iteratorINS9_10device_ptrIiEEEESE_iNS9_4plusIiEEiEEDaPvRmT3_T4_T5_mT6_P12ihipStream_tbENKUlT_T0_E_clISt17integral_constantIbLb0EEST_IbLb1EEEEDaSP_SQ_EUlSP_E_NS1_11comp_targetILNS1_3genE2ELNS1_11target_archE906ELNS1_3gpuE6ELNS1_3repE0EEENS1_30default_config_static_selectorELNS0_4arch9wavefront6targetE1EEEvT1_,"axG",@progbits,_ZN7rocprim17ROCPRIM_400000_NS6detail17trampoline_kernelINS0_14default_configENS1_20scan_config_selectorIiEEZZNS1_9scan_implILNS1_25lookback_scan_determinismE0ELb0ELb1ES3_N6thrust23THRUST_200600_302600_NS6detail15normal_iteratorINS9_10device_ptrIiEEEESE_iNS9_4plusIiEEiEEDaPvRmT3_T4_T5_mT6_P12ihipStream_tbENKUlT_T0_E_clISt17integral_constantIbLb0EEST_IbLb1EEEEDaSP_SQ_EUlSP_E_NS1_11comp_targetILNS1_3genE2ELNS1_11target_archE906ELNS1_3gpuE6ELNS1_3repE0EEENS1_30default_config_static_selectorELNS0_4arch9wavefront6targetE1EEEvT1_,comdat
.Lfunc_end790:
	.size	_ZN7rocprim17ROCPRIM_400000_NS6detail17trampoline_kernelINS0_14default_configENS1_20scan_config_selectorIiEEZZNS1_9scan_implILNS1_25lookback_scan_determinismE0ELb0ELb1ES3_N6thrust23THRUST_200600_302600_NS6detail15normal_iteratorINS9_10device_ptrIiEEEESE_iNS9_4plusIiEEiEEDaPvRmT3_T4_T5_mT6_P12ihipStream_tbENKUlT_T0_E_clISt17integral_constantIbLb0EEST_IbLb1EEEEDaSP_SQ_EUlSP_E_NS1_11comp_targetILNS1_3genE2ELNS1_11target_archE906ELNS1_3gpuE6ELNS1_3repE0EEENS1_30default_config_static_selectorELNS0_4arch9wavefront6targetE1EEEvT1_, .Lfunc_end790-_ZN7rocprim17ROCPRIM_400000_NS6detail17trampoline_kernelINS0_14default_configENS1_20scan_config_selectorIiEEZZNS1_9scan_implILNS1_25lookback_scan_determinismE0ELb0ELb1ES3_N6thrust23THRUST_200600_302600_NS6detail15normal_iteratorINS9_10device_ptrIiEEEESE_iNS9_4plusIiEEiEEDaPvRmT3_T4_T5_mT6_P12ihipStream_tbENKUlT_T0_E_clISt17integral_constantIbLb0EEST_IbLb1EEEEDaSP_SQ_EUlSP_E_NS1_11comp_targetILNS1_3genE2ELNS1_11target_archE906ELNS1_3gpuE6ELNS1_3repE0EEENS1_30default_config_static_selectorELNS0_4arch9wavefront6targetE1EEEvT1_
                                        ; -- End function
	.section	.AMDGPU.csdata,"",@progbits
; Kernel info:
; codeLenInByte = 0
; NumSgprs: 4
; NumVgprs: 0
; NumAgprs: 0
; TotalNumVgprs: 0
; ScratchSize: 0
; MemoryBound: 0
; FloatMode: 240
; IeeeMode: 1
; LDSByteSize: 0 bytes/workgroup (compile time only)
; SGPRBlocks: 0
; VGPRBlocks: 0
; NumSGPRsForWavesPerEU: 4
; NumVGPRsForWavesPerEU: 1
; AccumOffset: 4
; Occupancy: 8
; WaveLimiterHint : 0
; COMPUTE_PGM_RSRC2:SCRATCH_EN: 0
; COMPUTE_PGM_RSRC2:USER_SGPR: 6
; COMPUTE_PGM_RSRC2:TRAP_HANDLER: 0
; COMPUTE_PGM_RSRC2:TGID_X_EN: 1
; COMPUTE_PGM_RSRC2:TGID_Y_EN: 0
; COMPUTE_PGM_RSRC2:TGID_Z_EN: 0
; COMPUTE_PGM_RSRC2:TIDIG_COMP_CNT: 0
; COMPUTE_PGM_RSRC3_GFX90A:ACCUM_OFFSET: 0
; COMPUTE_PGM_RSRC3_GFX90A:TG_SPLIT: 0
	.section	.text._ZN7rocprim17ROCPRIM_400000_NS6detail17trampoline_kernelINS0_14default_configENS1_20scan_config_selectorIiEEZZNS1_9scan_implILNS1_25lookback_scan_determinismE0ELb0ELb1ES3_N6thrust23THRUST_200600_302600_NS6detail15normal_iteratorINS9_10device_ptrIiEEEESE_iNS9_4plusIiEEiEEDaPvRmT3_T4_T5_mT6_P12ihipStream_tbENKUlT_T0_E_clISt17integral_constantIbLb0EEST_IbLb1EEEEDaSP_SQ_EUlSP_E_NS1_11comp_targetILNS1_3genE10ELNS1_11target_archE1201ELNS1_3gpuE5ELNS1_3repE0EEENS1_30default_config_static_selectorELNS0_4arch9wavefront6targetE1EEEvT1_,"axG",@progbits,_ZN7rocprim17ROCPRIM_400000_NS6detail17trampoline_kernelINS0_14default_configENS1_20scan_config_selectorIiEEZZNS1_9scan_implILNS1_25lookback_scan_determinismE0ELb0ELb1ES3_N6thrust23THRUST_200600_302600_NS6detail15normal_iteratorINS9_10device_ptrIiEEEESE_iNS9_4plusIiEEiEEDaPvRmT3_T4_T5_mT6_P12ihipStream_tbENKUlT_T0_E_clISt17integral_constantIbLb0EEST_IbLb1EEEEDaSP_SQ_EUlSP_E_NS1_11comp_targetILNS1_3genE10ELNS1_11target_archE1201ELNS1_3gpuE5ELNS1_3repE0EEENS1_30default_config_static_selectorELNS0_4arch9wavefront6targetE1EEEvT1_,comdat
	.protected	_ZN7rocprim17ROCPRIM_400000_NS6detail17trampoline_kernelINS0_14default_configENS1_20scan_config_selectorIiEEZZNS1_9scan_implILNS1_25lookback_scan_determinismE0ELb0ELb1ES3_N6thrust23THRUST_200600_302600_NS6detail15normal_iteratorINS9_10device_ptrIiEEEESE_iNS9_4plusIiEEiEEDaPvRmT3_T4_T5_mT6_P12ihipStream_tbENKUlT_T0_E_clISt17integral_constantIbLb0EEST_IbLb1EEEEDaSP_SQ_EUlSP_E_NS1_11comp_targetILNS1_3genE10ELNS1_11target_archE1201ELNS1_3gpuE5ELNS1_3repE0EEENS1_30default_config_static_selectorELNS0_4arch9wavefront6targetE1EEEvT1_ ; -- Begin function _ZN7rocprim17ROCPRIM_400000_NS6detail17trampoline_kernelINS0_14default_configENS1_20scan_config_selectorIiEEZZNS1_9scan_implILNS1_25lookback_scan_determinismE0ELb0ELb1ES3_N6thrust23THRUST_200600_302600_NS6detail15normal_iteratorINS9_10device_ptrIiEEEESE_iNS9_4plusIiEEiEEDaPvRmT3_T4_T5_mT6_P12ihipStream_tbENKUlT_T0_E_clISt17integral_constantIbLb0EEST_IbLb1EEEEDaSP_SQ_EUlSP_E_NS1_11comp_targetILNS1_3genE10ELNS1_11target_archE1201ELNS1_3gpuE5ELNS1_3repE0EEENS1_30default_config_static_selectorELNS0_4arch9wavefront6targetE1EEEvT1_
	.globl	_ZN7rocprim17ROCPRIM_400000_NS6detail17trampoline_kernelINS0_14default_configENS1_20scan_config_selectorIiEEZZNS1_9scan_implILNS1_25lookback_scan_determinismE0ELb0ELb1ES3_N6thrust23THRUST_200600_302600_NS6detail15normal_iteratorINS9_10device_ptrIiEEEESE_iNS9_4plusIiEEiEEDaPvRmT3_T4_T5_mT6_P12ihipStream_tbENKUlT_T0_E_clISt17integral_constantIbLb0EEST_IbLb1EEEEDaSP_SQ_EUlSP_E_NS1_11comp_targetILNS1_3genE10ELNS1_11target_archE1201ELNS1_3gpuE5ELNS1_3repE0EEENS1_30default_config_static_selectorELNS0_4arch9wavefront6targetE1EEEvT1_
	.p2align	8
	.type	_ZN7rocprim17ROCPRIM_400000_NS6detail17trampoline_kernelINS0_14default_configENS1_20scan_config_selectorIiEEZZNS1_9scan_implILNS1_25lookback_scan_determinismE0ELb0ELb1ES3_N6thrust23THRUST_200600_302600_NS6detail15normal_iteratorINS9_10device_ptrIiEEEESE_iNS9_4plusIiEEiEEDaPvRmT3_T4_T5_mT6_P12ihipStream_tbENKUlT_T0_E_clISt17integral_constantIbLb0EEST_IbLb1EEEEDaSP_SQ_EUlSP_E_NS1_11comp_targetILNS1_3genE10ELNS1_11target_archE1201ELNS1_3gpuE5ELNS1_3repE0EEENS1_30default_config_static_selectorELNS0_4arch9wavefront6targetE1EEEvT1_,@function
_ZN7rocprim17ROCPRIM_400000_NS6detail17trampoline_kernelINS0_14default_configENS1_20scan_config_selectorIiEEZZNS1_9scan_implILNS1_25lookback_scan_determinismE0ELb0ELb1ES3_N6thrust23THRUST_200600_302600_NS6detail15normal_iteratorINS9_10device_ptrIiEEEESE_iNS9_4plusIiEEiEEDaPvRmT3_T4_T5_mT6_P12ihipStream_tbENKUlT_T0_E_clISt17integral_constantIbLb0EEST_IbLb1EEEEDaSP_SQ_EUlSP_E_NS1_11comp_targetILNS1_3genE10ELNS1_11target_archE1201ELNS1_3gpuE5ELNS1_3repE0EEENS1_30default_config_static_selectorELNS0_4arch9wavefront6targetE1EEEvT1_: ; @_ZN7rocprim17ROCPRIM_400000_NS6detail17trampoline_kernelINS0_14default_configENS1_20scan_config_selectorIiEEZZNS1_9scan_implILNS1_25lookback_scan_determinismE0ELb0ELb1ES3_N6thrust23THRUST_200600_302600_NS6detail15normal_iteratorINS9_10device_ptrIiEEEESE_iNS9_4plusIiEEiEEDaPvRmT3_T4_T5_mT6_P12ihipStream_tbENKUlT_T0_E_clISt17integral_constantIbLb0EEST_IbLb1EEEEDaSP_SQ_EUlSP_E_NS1_11comp_targetILNS1_3genE10ELNS1_11target_archE1201ELNS1_3gpuE5ELNS1_3repE0EEENS1_30default_config_static_selectorELNS0_4arch9wavefront6targetE1EEEvT1_
; %bb.0:
	.section	.rodata,"a",@progbits
	.p2align	6, 0x0
	.amdhsa_kernel _ZN7rocprim17ROCPRIM_400000_NS6detail17trampoline_kernelINS0_14default_configENS1_20scan_config_selectorIiEEZZNS1_9scan_implILNS1_25lookback_scan_determinismE0ELb0ELb1ES3_N6thrust23THRUST_200600_302600_NS6detail15normal_iteratorINS9_10device_ptrIiEEEESE_iNS9_4plusIiEEiEEDaPvRmT3_T4_T5_mT6_P12ihipStream_tbENKUlT_T0_E_clISt17integral_constantIbLb0EEST_IbLb1EEEEDaSP_SQ_EUlSP_E_NS1_11comp_targetILNS1_3genE10ELNS1_11target_archE1201ELNS1_3gpuE5ELNS1_3repE0EEENS1_30default_config_static_selectorELNS0_4arch9wavefront6targetE1EEEvT1_
		.amdhsa_group_segment_fixed_size 0
		.amdhsa_private_segment_fixed_size 0
		.amdhsa_kernarg_size 96
		.amdhsa_user_sgpr_count 6
		.amdhsa_user_sgpr_private_segment_buffer 1
		.amdhsa_user_sgpr_dispatch_ptr 0
		.amdhsa_user_sgpr_queue_ptr 0
		.amdhsa_user_sgpr_kernarg_segment_ptr 1
		.amdhsa_user_sgpr_dispatch_id 0
		.amdhsa_user_sgpr_flat_scratch_init 0
		.amdhsa_user_sgpr_kernarg_preload_length 0
		.amdhsa_user_sgpr_kernarg_preload_offset 0
		.amdhsa_user_sgpr_private_segment_size 0
		.amdhsa_uses_dynamic_stack 0
		.amdhsa_system_sgpr_private_segment_wavefront_offset 0
		.amdhsa_system_sgpr_workgroup_id_x 1
		.amdhsa_system_sgpr_workgroup_id_y 0
		.amdhsa_system_sgpr_workgroup_id_z 0
		.amdhsa_system_sgpr_workgroup_info 0
		.amdhsa_system_vgpr_workitem_id 0
		.amdhsa_next_free_vgpr 1
		.amdhsa_next_free_sgpr 0
		.amdhsa_accum_offset 4
		.amdhsa_reserve_vcc 0
		.amdhsa_reserve_flat_scratch 0
		.amdhsa_float_round_mode_32 0
		.amdhsa_float_round_mode_16_64 0
		.amdhsa_float_denorm_mode_32 3
		.amdhsa_float_denorm_mode_16_64 3
		.amdhsa_dx10_clamp 1
		.amdhsa_ieee_mode 1
		.amdhsa_fp16_overflow 0
		.amdhsa_tg_split 0
		.amdhsa_exception_fp_ieee_invalid_op 0
		.amdhsa_exception_fp_denorm_src 0
		.amdhsa_exception_fp_ieee_div_zero 0
		.amdhsa_exception_fp_ieee_overflow 0
		.amdhsa_exception_fp_ieee_underflow 0
		.amdhsa_exception_fp_ieee_inexact 0
		.amdhsa_exception_int_div_zero 0
	.end_amdhsa_kernel
	.section	.text._ZN7rocprim17ROCPRIM_400000_NS6detail17trampoline_kernelINS0_14default_configENS1_20scan_config_selectorIiEEZZNS1_9scan_implILNS1_25lookback_scan_determinismE0ELb0ELb1ES3_N6thrust23THRUST_200600_302600_NS6detail15normal_iteratorINS9_10device_ptrIiEEEESE_iNS9_4plusIiEEiEEDaPvRmT3_T4_T5_mT6_P12ihipStream_tbENKUlT_T0_E_clISt17integral_constantIbLb0EEST_IbLb1EEEEDaSP_SQ_EUlSP_E_NS1_11comp_targetILNS1_3genE10ELNS1_11target_archE1201ELNS1_3gpuE5ELNS1_3repE0EEENS1_30default_config_static_selectorELNS0_4arch9wavefront6targetE1EEEvT1_,"axG",@progbits,_ZN7rocprim17ROCPRIM_400000_NS6detail17trampoline_kernelINS0_14default_configENS1_20scan_config_selectorIiEEZZNS1_9scan_implILNS1_25lookback_scan_determinismE0ELb0ELb1ES3_N6thrust23THRUST_200600_302600_NS6detail15normal_iteratorINS9_10device_ptrIiEEEESE_iNS9_4plusIiEEiEEDaPvRmT3_T4_T5_mT6_P12ihipStream_tbENKUlT_T0_E_clISt17integral_constantIbLb0EEST_IbLb1EEEEDaSP_SQ_EUlSP_E_NS1_11comp_targetILNS1_3genE10ELNS1_11target_archE1201ELNS1_3gpuE5ELNS1_3repE0EEENS1_30default_config_static_selectorELNS0_4arch9wavefront6targetE1EEEvT1_,comdat
.Lfunc_end791:
	.size	_ZN7rocprim17ROCPRIM_400000_NS6detail17trampoline_kernelINS0_14default_configENS1_20scan_config_selectorIiEEZZNS1_9scan_implILNS1_25lookback_scan_determinismE0ELb0ELb1ES3_N6thrust23THRUST_200600_302600_NS6detail15normal_iteratorINS9_10device_ptrIiEEEESE_iNS9_4plusIiEEiEEDaPvRmT3_T4_T5_mT6_P12ihipStream_tbENKUlT_T0_E_clISt17integral_constantIbLb0EEST_IbLb1EEEEDaSP_SQ_EUlSP_E_NS1_11comp_targetILNS1_3genE10ELNS1_11target_archE1201ELNS1_3gpuE5ELNS1_3repE0EEENS1_30default_config_static_selectorELNS0_4arch9wavefront6targetE1EEEvT1_, .Lfunc_end791-_ZN7rocprim17ROCPRIM_400000_NS6detail17trampoline_kernelINS0_14default_configENS1_20scan_config_selectorIiEEZZNS1_9scan_implILNS1_25lookback_scan_determinismE0ELb0ELb1ES3_N6thrust23THRUST_200600_302600_NS6detail15normal_iteratorINS9_10device_ptrIiEEEESE_iNS9_4plusIiEEiEEDaPvRmT3_T4_T5_mT6_P12ihipStream_tbENKUlT_T0_E_clISt17integral_constantIbLb0EEST_IbLb1EEEEDaSP_SQ_EUlSP_E_NS1_11comp_targetILNS1_3genE10ELNS1_11target_archE1201ELNS1_3gpuE5ELNS1_3repE0EEENS1_30default_config_static_selectorELNS0_4arch9wavefront6targetE1EEEvT1_
                                        ; -- End function
	.section	.AMDGPU.csdata,"",@progbits
; Kernel info:
; codeLenInByte = 0
; NumSgprs: 4
; NumVgprs: 0
; NumAgprs: 0
; TotalNumVgprs: 0
; ScratchSize: 0
; MemoryBound: 0
; FloatMode: 240
; IeeeMode: 1
; LDSByteSize: 0 bytes/workgroup (compile time only)
; SGPRBlocks: 0
; VGPRBlocks: 0
; NumSGPRsForWavesPerEU: 4
; NumVGPRsForWavesPerEU: 1
; AccumOffset: 4
; Occupancy: 8
; WaveLimiterHint : 0
; COMPUTE_PGM_RSRC2:SCRATCH_EN: 0
; COMPUTE_PGM_RSRC2:USER_SGPR: 6
; COMPUTE_PGM_RSRC2:TRAP_HANDLER: 0
; COMPUTE_PGM_RSRC2:TGID_X_EN: 1
; COMPUTE_PGM_RSRC2:TGID_Y_EN: 0
; COMPUTE_PGM_RSRC2:TGID_Z_EN: 0
; COMPUTE_PGM_RSRC2:TIDIG_COMP_CNT: 0
; COMPUTE_PGM_RSRC3_GFX90A:ACCUM_OFFSET: 0
; COMPUTE_PGM_RSRC3_GFX90A:TG_SPLIT: 0
	.section	.text._ZN7rocprim17ROCPRIM_400000_NS6detail17trampoline_kernelINS0_14default_configENS1_20scan_config_selectorIiEEZZNS1_9scan_implILNS1_25lookback_scan_determinismE0ELb0ELb1ES3_N6thrust23THRUST_200600_302600_NS6detail15normal_iteratorINS9_10device_ptrIiEEEESE_iNS9_4plusIiEEiEEDaPvRmT3_T4_T5_mT6_P12ihipStream_tbENKUlT_T0_E_clISt17integral_constantIbLb0EEST_IbLb1EEEEDaSP_SQ_EUlSP_E_NS1_11comp_targetILNS1_3genE10ELNS1_11target_archE1200ELNS1_3gpuE4ELNS1_3repE0EEENS1_30default_config_static_selectorELNS0_4arch9wavefront6targetE1EEEvT1_,"axG",@progbits,_ZN7rocprim17ROCPRIM_400000_NS6detail17trampoline_kernelINS0_14default_configENS1_20scan_config_selectorIiEEZZNS1_9scan_implILNS1_25lookback_scan_determinismE0ELb0ELb1ES3_N6thrust23THRUST_200600_302600_NS6detail15normal_iteratorINS9_10device_ptrIiEEEESE_iNS9_4plusIiEEiEEDaPvRmT3_T4_T5_mT6_P12ihipStream_tbENKUlT_T0_E_clISt17integral_constantIbLb0EEST_IbLb1EEEEDaSP_SQ_EUlSP_E_NS1_11comp_targetILNS1_3genE10ELNS1_11target_archE1200ELNS1_3gpuE4ELNS1_3repE0EEENS1_30default_config_static_selectorELNS0_4arch9wavefront6targetE1EEEvT1_,comdat
	.protected	_ZN7rocprim17ROCPRIM_400000_NS6detail17trampoline_kernelINS0_14default_configENS1_20scan_config_selectorIiEEZZNS1_9scan_implILNS1_25lookback_scan_determinismE0ELb0ELb1ES3_N6thrust23THRUST_200600_302600_NS6detail15normal_iteratorINS9_10device_ptrIiEEEESE_iNS9_4plusIiEEiEEDaPvRmT3_T4_T5_mT6_P12ihipStream_tbENKUlT_T0_E_clISt17integral_constantIbLb0EEST_IbLb1EEEEDaSP_SQ_EUlSP_E_NS1_11comp_targetILNS1_3genE10ELNS1_11target_archE1200ELNS1_3gpuE4ELNS1_3repE0EEENS1_30default_config_static_selectorELNS0_4arch9wavefront6targetE1EEEvT1_ ; -- Begin function _ZN7rocprim17ROCPRIM_400000_NS6detail17trampoline_kernelINS0_14default_configENS1_20scan_config_selectorIiEEZZNS1_9scan_implILNS1_25lookback_scan_determinismE0ELb0ELb1ES3_N6thrust23THRUST_200600_302600_NS6detail15normal_iteratorINS9_10device_ptrIiEEEESE_iNS9_4plusIiEEiEEDaPvRmT3_T4_T5_mT6_P12ihipStream_tbENKUlT_T0_E_clISt17integral_constantIbLb0EEST_IbLb1EEEEDaSP_SQ_EUlSP_E_NS1_11comp_targetILNS1_3genE10ELNS1_11target_archE1200ELNS1_3gpuE4ELNS1_3repE0EEENS1_30default_config_static_selectorELNS0_4arch9wavefront6targetE1EEEvT1_
	.globl	_ZN7rocprim17ROCPRIM_400000_NS6detail17trampoline_kernelINS0_14default_configENS1_20scan_config_selectorIiEEZZNS1_9scan_implILNS1_25lookback_scan_determinismE0ELb0ELb1ES3_N6thrust23THRUST_200600_302600_NS6detail15normal_iteratorINS9_10device_ptrIiEEEESE_iNS9_4plusIiEEiEEDaPvRmT3_T4_T5_mT6_P12ihipStream_tbENKUlT_T0_E_clISt17integral_constantIbLb0EEST_IbLb1EEEEDaSP_SQ_EUlSP_E_NS1_11comp_targetILNS1_3genE10ELNS1_11target_archE1200ELNS1_3gpuE4ELNS1_3repE0EEENS1_30default_config_static_selectorELNS0_4arch9wavefront6targetE1EEEvT1_
	.p2align	8
	.type	_ZN7rocprim17ROCPRIM_400000_NS6detail17trampoline_kernelINS0_14default_configENS1_20scan_config_selectorIiEEZZNS1_9scan_implILNS1_25lookback_scan_determinismE0ELb0ELb1ES3_N6thrust23THRUST_200600_302600_NS6detail15normal_iteratorINS9_10device_ptrIiEEEESE_iNS9_4plusIiEEiEEDaPvRmT3_T4_T5_mT6_P12ihipStream_tbENKUlT_T0_E_clISt17integral_constantIbLb0EEST_IbLb1EEEEDaSP_SQ_EUlSP_E_NS1_11comp_targetILNS1_3genE10ELNS1_11target_archE1200ELNS1_3gpuE4ELNS1_3repE0EEENS1_30default_config_static_selectorELNS0_4arch9wavefront6targetE1EEEvT1_,@function
_ZN7rocprim17ROCPRIM_400000_NS6detail17trampoline_kernelINS0_14default_configENS1_20scan_config_selectorIiEEZZNS1_9scan_implILNS1_25lookback_scan_determinismE0ELb0ELb1ES3_N6thrust23THRUST_200600_302600_NS6detail15normal_iteratorINS9_10device_ptrIiEEEESE_iNS9_4plusIiEEiEEDaPvRmT3_T4_T5_mT6_P12ihipStream_tbENKUlT_T0_E_clISt17integral_constantIbLb0EEST_IbLb1EEEEDaSP_SQ_EUlSP_E_NS1_11comp_targetILNS1_3genE10ELNS1_11target_archE1200ELNS1_3gpuE4ELNS1_3repE0EEENS1_30default_config_static_selectorELNS0_4arch9wavefront6targetE1EEEvT1_: ; @_ZN7rocprim17ROCPRIM_400000_NS6detail17trampoline_kernelINS0_14default_configENS1_20scan_config_selectorIiEEZZNS1_9scan_implILNS1_25lookback_scan_determinismE0ELb0ELb1ES3_N6thrust23THRUST_200600_302600_NS6detail15normal_iteratorINS9_10device_ptrIiEEEESE_iNS9_4plusIiEEiEEDaPvRmT3_T4_T5_mT6_P12ihipStream_tbENKUlT_T0_E_clISt17integral_constantIbLb0EEST_IbLb1EEEEDaSP_SQ_EUlSP_E_NS1_11comp_targetILNS1_3genE10ELNS1_11target_archE1200ELNS1_3gpuE4ELNS1_3repE0EEENS1_30default_config_static_selectorELNS0_4arch9wavefront6targetE1EEEvT1_
; %bb.0:
	.section	.rodata,"a",@progbits
	.p2align	6, 0x0
	.amdhsa_kernel _ZN7rocprim17ROCPRIM_400000_NS6detail17trampoline_kernelINS0_14default_configENS1_20scan_config_selectorIiEEZZNS1_9scan_implILNS1_25lookback_scan_determinismE0ELb0ELb1ES3_N6thrust23THRUST_200600_302600_NS6detail15normal_iteratorINS9_10device_ptrIiEEEESE_iNS9_4plusIiEEiEEDaPvRmT3_T4_T5_mT6_P12ihipStream_tbENKUlT_T0_E_clISt17integral_constantIbLb0EEST_IbLb1EEEEDaSP_SQ_EUlSP_E_NS1_11comp_targetILNS1_3genE10ELNS1_11target_archE1200ELNS1_3gpuE4ELNS1_3repE0EEENS1_30default_config_static_selectorELNS0_4arch9wavefront6targetE1EEEvT1_
		.amdhsa_group_segment_fixed_size 0
		.amdhsa_private_segment_fixed_size 0
		.amdhsa_kernarg_size 96
		.amdhsa_user_sgpr_count 6
		.amdhsa_user_sgpr_private_segment_buffer 1
		.amdhsa_user_sgpr_dispatch_ptr 0
		.amdhsa_user_sgpr_queue_ptr 0
		.amdhsa_user_sgpr_kernarg_segment_ptr 1
		.amdhsa_user_sgpr_dispatch_id 0
		.amdhsa_user_sgpr_flat_scratch_init 0
		.amdhsa_user_sgpr_kernarg_preload_length 0
		.amdhsa_user_sgpr_kernarg_preload_offset 0
		.amdhsa_user_sgpr_private_segment_size 0
		.amdhsa_uses_dynamic_stack 0
		.amdhsa_system_sgpr_private_segment_wavefront_offset 0
		.amdhsa_system_sgpr_workgroup_id_x 1
		.amdhsa_system_sgpr_workgroup_id_y 0
		.amdhsa_system_sgpr_workgroup_id_z 0
		.amdhsa_system_sgpr_workgroup_info 0
		.amdhsa_system_vgpr_workitem_id 0
		.amdhsa_next_free_vgpr 1
		.amdhsa_next_free_sgpr 0
		.amdhsa_accum_offset 4
		.amdhsa_reserve_vcc 0
		.amdhsa_reserve_flat_scratch 0
		.amdhsa_float_round_mode_32 0
		.amdhsa_float_round_mode_16_64 0
		.amdhsa_float_denorm_mode_32 3
		.amdhsa_float_denorm_mode_16_64 3
		.amdhsa_dx10_clamp 1
		.amdhsa_ieee_mode 1
		.amdhsa_fp16_overflow 0
		.amdhsa_tg_split 0
		.amdhsa_exception_fp_ieee_invalid_op 0
		.amdhsa_exception_fp_denorm_src 0
		.amdhsa_exception_fp_ieee_div_zero 0
		.amdhsa_exception_fp_ieee_overflow 0
		.amdhsa_exception_fp_ieee_underflow 0
		.amdhsa_exception_fp_ieee_inexact 0
		.amdhsa_exception_int_div_zero 0
	.end_amdhsa_kernel
	.section	.text._ZN7rocprim17ROCPRIM_400000_NS6detail17trampoline_kernelINS0_14default_configENS1_20scan_config_selectorIiEEZZNS1_9scan_implILNS1_25lookback_scan_determinismE0ELb0ELb1ES3_N6thrust23THRUST_200600_302600_NS6detail15normal_iteratorINS9_10device_ptrIiEEEESE_iNS9_4plusIiEEiEEDaPvRmT3_T4_T5_mT6_P12ihipStream_tbENKUlT_T0_E_clISt17integral_constantIbLb0EEST_IbLb1EEEEDaSP_SQ_EUlSP_E_NS1_11comp_targetILNS1_3genE10ELNS1_11target_archE1200ELNS1_3gpuE4ELNS1_3repE0EEENS1_30default_config_static_selectorELNS0_4arch9wavefront6targetE1EEEvT1_,"axG",@progbits,_ZN7rocprim17ROCPRIM_400000_NS6detail17trampoline_kernelINS0_14default_configENS1_20scan_config_selectorIiEEZZNS1_9scan_implILNS1_25lookback_scan_determinismE0ELb0ELb1ES3_N6thrust23THRUST_200600_302600_NS6detail15normal_iteratorINS9_10device_ptrIiEEEESE_iNS9_4plusIiEEiEEDaPvRmT3_T4_T5_mT6_P12ihipStream_tbENKUlT_T0_E_clISt17integral_constantIbLb0EEST_IbLb1EEEEDaSP_SQ_EUlSP_E_NS1_11comp_targetILNS1_3genE10ELNS1_11target_archE1200ELNS1_3gpuE4ELNS1_3repE0EEENS1_30default_config_static_selectorELNS0_4arch9wavefront6targetE1EEEvT1_,comdat
.Lfunc_end792:
	.size	_ZN7rocprim17ROCPRIM_400000_NS6detail17trampoline_kernelINS0_14default_configENS1_20scan_config_selectorIiEEZZNS1_9scan_implILNS1_25lookback_scan_determinismE0ELb0ELb1ES3_N6thrust23THRUST_200600_302600_NS6detail15normal_iteratorINS9_10device_ptrIiEEEESE_iNS9_4plusIiEEiEEDaPvRmT3_T4_T5_mT6_P12ihipStream_tbENKUlT_T0_E_clISt17integral_constantIbLb0EEST_IbLb1EEEEDaSP_SQ_EUlSP_E_NS1_11comp_targetILNS1_3genE10ELNS1_11target_archE1200ELNS1_3gpuE4ELNS1_3repE0EEENS1_30default_config_static_selectorELNS0_4arch9wavefront6targetE1EEEvT1_, .Lfunc_end792-_ZN7rocprim17ROCPRIM_400000_NS6detail17trampoline_kernelINS0_14default_configENS1_20scan_config_selectorIiEEZZNS1_9scan_implILNS1_25lookback_scan_determinismE0ELb0ELb1ES3_N6thrust23THRUST_200600_302600_NS6detail15normal_iteratorINS9_10device_ptrIiEEEESE_iNS9_4plusIiEEiEEDaPvRmT3_T4_T5_mT6_P12ihipStream_tbENKUlT_T0_E_clISt17integral_constantIbLb0EEST_IbLb1EEEEDaSP_SQ_EUlSP_E_NS1_11comp_targetILNS1_3genE10ELNS1_11target_archE1200ELNS1_3gpuE4ELNS1_3repE0EEENS1_30default_config_static_selectorELNS0_4arch9wavefront6targetE1EEEvT1_
                                        ; -- End function
	.section	.AMDGPU.csdata,"",@progbits
; Kernel info:
; codeLenInByte = 0
; NumSgprs: 4
; NumVgprs: 0
; NumAgprs: 0
; TotalNumVgprs: 0
; ScratchSize: 0
; MemoryBound: 0
; FloatMode: 240
; IeeeMode: 1
; LDSByteSize: 0 bytes/workgroup (compile time only)
; SGPRBlocks: 0
; VGPRBlocks: 0
; NumSGPRsForWavesPerEU: 4
; NumVGPRsForWavesPerEU: 1
; AccumOffset: 4
; Occupancy: 8
; WaveLimiterHint : 0
; COMPUTE_PGM_RSRC2:SCRATCH_EN: 0
; COMPUTE_PGM_RSRC2:USER_SGPR: 6
; COMPUTE_PGM_RSRC2:TRAP_HANDLER: 0
; COMPUTE_PGM_RSRC2:TGID_X_EN: 1
; COMPUTE_PGM_RSRC2:TGID_Y_EN: 0
; COMPUTE_PGM_RSRC2:TGID_Z_EN: 0
; COMPUTE_PGM_RSRC2:TIDIG_COMP_CNT: 0
; COMPUTE_PGM_RSRC3_GFX90A:ACCUM_OFFSET: 0
; COMPUTE_PGM_RSRC3_GFX90A:TG_SPLIT: 0
	.section	.text._ZN7rocprim17ROCPRIM_400000_NS6detail17trampoline_kernelINS0_14default_configENS1_20scan_config_selectorIiEEZZNS1_9scan_implILNS1_25lookback_scan_determinismE0ELb0ELb1ES3_N6thrust23THRUST_200600_302600_NS6detail15normal_iteratorINS9_10device_ptrIiEEEESE_iNS9_4plusIiEEiEEDaPvRmT3_T4_T5_mT6_P12ihipStream_tbENKUlT_T0_E_clISt17integral_constantIbLb0EEST_IbLb1EEEEDaSP_SQ_EUlSP_E_NS1_11comp_targetILNS1_3genE9ELNS1_11target_archE1100ELNS1_3gpuE3ELNS1_3repE0EEENS1_30default_config_static_selectorELNS0_4arch9wavefront6targetE1EEEvT1_,"axG",@progbits,_ZN7rocprim17ROCPRIM_400000_NS6detail17trampoline_kernelINS0_14default_configENS1_20scan_config_selectorIiEEZZNS1_9scan_implILNS1_25lookback_scan_determinismE0ELb0ELb1ES3_N6thrust23THRUST_200600_302600_NS6detail15normal_iteratorINS9_10device_ptrIiEEEESE_iNS9_4plusIiEEiEEDaPvRmT3_T4_T5_mT6_P12ihipStream_tbENKUlT_T0_E_clISt17integral_constantIbLb0EEST_IbLb1EEEEDaSP_SQ_EUlSP_E_NS1_11comp_targetILNS1_3genE9ELNS1_11target_archE1100ELNS1_3gpuE3ELNS1_3repE0EEENS1_30default_config_static_selectorELNS0_4arch9wavefront6targetE1EEEvT1_,comdat
	.protected	_ZN7rocprim17ROCPRIM_400000_NS6detail17trampoline_kernelINS0_14default_configENS1_20scan_config_selectorIiEEZZNS1_9scan_implILNS1_25lookback_scan_determinismE0ELb0ELb1ES3_N6thrust23THRUST_200600_302600_NS6detail15normal_iteratorINS9_10device_ptrIiEEEESE_iNS9_4plusIiEEiEEDaPvRmT3_T4_T5_mT6_P12ihipStream_tbENKUlT_T0_E_clISt17integral_constantIbLb0EEST_IbLb1EEEEDaSP_SQ_EUlSP_E_NS1_11comp_targetILNS1_3genE9ELNS1_11target_archE1100ELNS1_3gpuE3ELNS1_3repE0EEENS1_30default_config_static_selectorELNS0_4arch9wavefront6targetE1EEEvT1_ ; -- Begin function _ZN7rocprim17ROCPRIM_400000_NS6detail17trampoline_kernelINS0_14default_configENS1_20scan_config_selectorIiEEZZNS1_9scan_implILNS1_25lookback_scan_determinismE0ELb0ELb1ES3_N6thrust23THRUST_200600_302600_NS6detail15normal_iteratorINS9_10device_ptrIiEEEESE_iNS9_4plusIiEEiEEDaPvRmT3_T4_T5_mT6_P12ihipStream_tbENKUlT_T0_E_clISt17integral_constantIbLb0EEST_IbLb1EEEEDaSP_SQ_EUlSP_E_NS1_11comp_targetILNS1_3genE9ELNS1_11target_archE1100ELNS1_3gpuE3ELNS1_3repE0EEENS1_30default_config_static_selectorELNS0_4arch9wavefront6targetE1EEEvT1_
	.globl	_ZN7rocprim17ROCPRIM_400000_NS6detail17trampoline_kernelINS0_14default_configENS1_20scan_config_selectorIiEEZZNS1_9scan_implILNS1_25lookback_scan_determinismE0ELb0ELb1ES3_N6thrust23THRUST_200600_302600_NS6detail15normal_iteratorINS9_10device_ptrIiEEEESE_iNS9_4plusIiEEiEEDaPvRmT3_T4_T5_mT6_P12ihipStream_tbENKUlT_T0_E_clISt17integral_constantIbLb0EEST_IbLb1EEEEDaSP_SQ_EUlSP_E_NS1_11comp_targetILNS1_3genE9ELNS1_11target_archE1100ELNS1_3gpuE3ELNS1_3repE0EEENS1_30default_config_static_selectorELNS0_4arch9wavefront6targetE1EEEvT1_
	.p2align	8
	.type	_ZN7rocprim17ROCPRIM_400000_NS6detail17trampoline_kernelINS0_14default_configENS1_20scan_config_selectorIiEEZZNS1_9scan_implILNS1_25lookback_scan_determinismE0ELb0ELb1ES3_N6thrust23THRUST_200600_302600_NS6detail15normal_iteratorINS9_10device_ptrIiEEEESE_iNS9_4plusIiEEiEEDaPvRmT3_T4_T5_mT6_P12ihipStream_tbENKUlT_T0_E_clISt17integral_constantIbLb0EEST_IbLb1EEEEDaSP_SQ_EUlSP_E_NS1_11comp_targetILNS1_3genE9ELNS1_11target_archE1100ELNS1_3gpuE3ELNS1_3repE0EEENS1_30default_config_static_selectorELNS0_4arch9wavefront6targetE1EEEvT1_,@function
_ZN7rocprim17ROCPRIM_400000_NS6detail17trampoline_kernelINS0_14default_configENS1_20scan_config_selectorIiEEZZNS1_9scan_implILNS1_25lookback_scan_determinismE0ELb0ELb1ES3_N6thrust23THRUST_200600_302600_NS6detail15normal_iteratorINS9_10device_ptrIiEEEESE_iNS9_4plusIiEEiEEDaPvRmT3_T4_T5_mT6_P12ihipStream_tbENKUlT_T0_E_clISt17integral_constantIbLb0EEST_IbLb1EEEEDaSP_SQ_EUlSP_E_NS1_11comp_targetILNS1_3genE9ELNS1_11target_archE1100ELNS1_3gpuE3ELNS1_3repE0EEENS1_30default_config_static_selectorELNS0_4arch9wavefront6targetE1EEEvT1_: ; @_ZN7rocprim17ROCPRIM_400000_NS6detail17trampoline_kernelINS0_14default_configENS1_20scan_config_selectorIiEEZZNS1_9scan_implILNS1_25lookback_scan_determinismE0ELb0ELb1ES3_N6thrust23THRUST_200600_302600_NS6detail15normal_iteratorINS9_10device_ptrIiEEEESE_iNS9_4plusIiEEiEEDaPvRmT3_T4_T5_mT6_P12ihipStream_tbENKUlT_T0_E_clISt17integral_constantIbLb0EEST_IbLb1EEEEDaSP_SQ_EUlSP_E_NS1_11comp_targetILNS1_3genE9ELNS1_11target_archE1100ELNS1_3gpuE3ELNS1_3repE0EEENS1_30default_config_static_selectorELNS0_4arch9wavefront6targetE1EEEvT1_
; %bb.0:
	.section	.rodata,"a",@progbits
	.p2align	6, 0x0
	.amdhsa_kernel _ZN7rocprim17ROCPRIM_400000_NS6detail17trampoline_kernelINS0_14default_configENS1_20scan_config_selectorIiEEZZNS1_9scan_implILNS1_25lookback_scan_determinismE0ELb0ELb1ES3_N6thrust23THRUST_200600_302600_NS6detail15normal_iteratorINS9_10device_ptrIiEEEESE_iNS9_4plusIiEEiEEDaPvRmT3_T4_T5_mT6_P12ihipStream_tbENKUlT_T0_E_clISt17integral_constantIbLb0EEST_IbLb1EEEEDaSP_SQ_EUlSP_E_NS1_11comp_targetILNS1_3genE9ELNS1_11target_archE1100ELNS1_3gpuE3ELNS1_3repE0EEENS1_30default_config_static_selectorELNS0_4arch9wavefront6targetE1EEEvT1_
		.amdhsa_group_segment_fixed_size 0
		.amdhsa_private_segment_fixed_size 0
		.amdhsa_kernarg_size 96
		.amdhsa_user_sgpr_count 6
		.amdhsa_user_sgpr_private_segment_buffer 1
		.amdhsa_user_sgpr_dispatch_ptr 0
		.amdhsa_user_sgpr_queue_ptr 0
		.amdhsa_user_sgpr_kernarg_segment_ptr 1
		.amdhsa_user_sgpr_dispatch_id 0
		.amdhsa_user_sgpr_flat_scratch_init 0
		.amdhsa_user_sgpr_kernarg_preload_length 0
		.amdhsa_user_sgpr_kernarg_preload_offset 0
		.amdhsa_user_sgpr_private_segment_size 0
		.amdhsa_uses_dynamic_stack 0
		.amdhsa_system_sgpr_private_segment_wavefront_offset 0
		.amdhsa_system_sgpr_workgroup_id_x 1
		.amdhsa_system_sgpr_workgroup_id_y 0
		.amdhsa_system_sgpr_workgroup_id_z 0
		.amdhsa_system_sgpr_workgroup_info 0
		.amdhsa_system_vgpr_workitem_id 0
		.amdhsa_next_free_vgpr 1
		.amdhsa_next_free_sgpr 0
		.amdhsa_accum_offset 4
		.amdhsa_reserve_vcc 0
		.amdhsa_reserve_flat_scratch 0
		.amdhsa_float_round_mode_32 0
		.amdhsa_float_round_mode_16_64 0
		.amdhsa_float_denorm_mode_32 3
		.amdhsa_float_denorm_mode_16_64 3
		.amdhsa_dx10_clamp 1
		.amdhsa_ieee_mode 1
		.amdhsa_fp16_overflow 0
		.amdhsa_tg_split 0
		.amdhsa_exception_fp_ieee_invalid_op 0
		.amdhsa_exception_fp_denorm_src 0
		.amdhsa_exception_fp_ieee_div_zero 0
		.amdhsa_exception_fp_ieee_overflow 0
		.amdhsa_exception_fp_ieee_underflow 0
		.amdhsa_exception_fp_ieee_inexact 0
		.amdhsa_exception_int_div_zero 0
	.end_amdhsa_kernel
	.section	.text._ZN7rocprim17ROCPRIM_400000_NS6detail17trampoline_kernelINS0_14default_configENS1_20scan_config_selectorIiEEZZNS1_9scan_implILNS1_25lookback_scan_determinismE0ELb0ELb1ES3_N6thrust23THRUST_200600_302600_NS6detail15normal_iteratorINS9_10device_ptrIiEEEESE_iNS9_4plusIiEEiEEDaPvRmT3_T4_T5_mT6_P12ihipStream_tbENKUlT_T0_E_clISt17integral_constantIbLb0EEST_IbLb1EEEEDaSP_SQ_EUlSP_E_NS1_11comp_targetILNS1_3genE9ELNS1_11target_archE1100ELNS1_3gpuE3ELNS1_3repE0EEENS1_30default_config_static_selectorELNS0_4arch9wavefront6targetE1EEEvT1_,"axG",@progbits,_ZN7rocprim17ROCPRIM_400000_NS6detail17trampoline_kernelINS0_14default_configENS1_20scan_config_selectorIiEEZZNS1_9scan_implILNS1_25lookback_scan_determinismE0ELb0ELb1ES3_N6thrust23THRUST_200600_302600_NS6detail15normal_iteratorINS9_10device_ptrIiEEEESE_iNS9_4plusIiEEiEEDaPvRmT3_T4_T5_mT6_P12ihipStream_tbENKUlT_T0_E_clISt17integral_constantIbLb0EEST_IbLb1EEEEDaSP_SQ_EUlSP_E_NS1_11comp_targetILNS1_3genE9ELNS1_11target_archE1100ELNS1_3gpuE3ELNS1_3repE0EEENS1_30default_config_static_selectorELNS0_4arch9wavefront6targetE1EEEvT1_,comdat
.Lfunc_end793:
	.size	_ZN7rocprim17ROCPRIM_400000_NS6detail17trampoline_kernelINS0_14default_configENS1_20scan_config_selectorIiEEZZNS1_9scan_implILNS1_25lookback_scan_determinismE0ELb0ELb1ES3_N6thrust23THRUST_200600_302600_NS6detail15normal_iteratorINS9_10device_ptrIiEEEESE_iNS9_4plusIiEEiEEDaPvRmT3_T4_T5_mT6_P12ihipStream_tbENKUlT_T0_E_clISt17integral_constantIbLb0EEST_IbLb1EEEEDaSP_SQ_EUlSP_E_NS1_11comp_targetILNS1_3genE9ELNS1_11target_archE1100ELNS1_3gpuE3ELNS1_3repE0EEENS1_30default_config_static_selectorELNS0_4arch9wavefront6targetE1EEEvT1_, .Lfunc_end793-_ZN7rocprim17ROCPRIM_400000_NS6detail17trampoline_kernelINS0_14default_configENS1_20scan_config_selectorIiEEZZNS1_9scan_implILNS1_25lookback_scan_determinismE0ELb0ELb1ES3_N6thrust23THRUST_200600_302600_NS6detail15normal_iteratorINS9_10device_ptrIiEEEESE_iNS9_4plusIiEEiEEDaPvRmT3_T4_T5_mT6_P12ihipStream_tbENKUlT_T0_E_clISt17integral_constantIbLb0EEST_IbLb1EEEEDaSP_SQ_EUlSP_E_NS1_11comp_targetILNS1_3genE9ELNS1_11target_archE1100ELNS1_3gpuE3ELNS1_3repE0EEENS1_30default_config_static_selectorELNS0_4arch9wavefront6targetE1EEEvT1_
                                        ; -- End function
	.section	.AMDGPU.csdata,"",@progbits
; Kernel info:
; codeLenInByte = 0
; NumSgprs: 4
; NumVgprs: 0
; NumAgprs: 0
; TotalNumVgprs: 0
; ScratchSize: 0
; MemoryBound: 0
; FloatMode: 240
; IeeeMode: 1
; LDSByteSize: 0 bytes/workgroup (compile time only)
; SGPRBlocks: 0
; VGPRBlocks: 0
; NumSGPRsForWavesPerEU: 4
; NumVGPRsForWavesPerEU: 1
; AccumOffset: 4
; Occupancy: 8
; WaveLimiterHint : 0
; COMPUTE_PGM_RSRC2:SCRATCH_EN: 0
; COMPUTE_PGM_RSRC2:USER_SGPR: 6
; COMPUTE_PGM_RSRC2:TRAP_HANDLER: 0
; COMPUTE_PGM_RSRC2:TGID_X_EN: 1
; COMPUTE_PGM_RSRC2:TGID_Y_EN: 0
; COMPUTE_PGM_RSRC2:TGID_Z_EN: 0
; COMPUTE_PGM_RSRC2:TIDIG_COMP_CNT: 0
; COMPUTE_PGM_RSRC3_GFX90A:ACCUM_OFFSET: 0
; COMPUTE_PGM_RSRC3_GFX90A:TG_SPLIT: 0
	.section	.text._ZN7rocprim17ROCPRIM_400000_NS6detail17trampoline_kernelINS0_14default_configENS1_20scan_config_selectorIiEEZZNS1_9scan_implILNS1_25lookback_scan_determinismE0ELb0ELb1ES3_N6thrust23THRUST_200600_302600_NS6detail15normal_iteratorINS9_10device_ptrIiEEEESE_iNS9_4plusIiEEiEEDaPvRmT3_T4_T5_mT6_P12ihipStream_tbENKUlT_T0_E_clISt17integral_constantIbLb0EEST_IbLb1EEEEDaSP_SQ_EUlSP_E_NS1_11comp_targetILNS1_3genE8ELNS1_11target_archE1030ELNS1_3gpuE2ELNS1_3repE0EEENS1_30default_config_static_selectorELNS0_4arch9wavefront6targetE1EEEvT1_,"axG",@progbits,_ZN7rocprim17ROCPRIM_400000_NS6detail17trampoline_kernelINS0_14default_configENS1_20scan_config_selectorIiEEZZNS1_9scan_implILNS1_25lookback_scan_determinismE0ELb0ELb1ES3_N6thrust23THRUST_200600_302600_NS6detail15normal_iteratorINS9_10device_ptrIiEEEESE_iNS9_4plusIiEEiEEDaPvRmT3_T4_T5_mT6_P12ihipStream_tbENKUlT_T0_E_clISt17integral_constantIbLb0EEST_IbLb1EEEEDaSP_SQ_EUlSP_E_NS1_11comp_targetILNS1_3genE8ELNS1_11target_archE1030ELNS1_3gpuE2ELNS1_3repE0EEENS1_30default_config_static_selectorELNS0_4arch9wavefront6targetE1EEEvT1_,comdat
	.protected	_ZN7rocprim17ROCPRIM_400000_NS6detail17trampoline_kernelINS0_14default_configENS1_20scan_config_selectorIiEEZZNS1_9scan_implILNS1_25lookback_scan_determinismE0ELb0ELb1ES3_N6thrust23THRUST_200600_302600_NS6detail15normal_iteratorINS9_10device_ptrIiEEEESE_iNS9_4plusIiEEiEEDaPvRmT3_T4_T5_mT6_P12ihipStream_tbENKUlT_T0_E_clISt17integral_constantIbLb0EEST_IbLb1EEEEDaSP_SQ_EUlSP_E_NS1_11comp_targetILNS1_3genE8ELNS1_11target_archE1030ELNS1_3gpuE2ELNS1_3repE0EEENS1_30default_config_static_selectorELNS0_4arch9wavefront6targetE1EEEvT1_ ; -- Begin function _ZN7rocprim17ROCPRIM_400000_NS6detail17trampoline_kernelINS0_14default_configENS1_20scan_config_selectorIiEEZZNS1_9scan_implILNS1_25lookback_scan_determinismE0ELb0ELb1ES3_N6thrust23THRUST_200600_302600_NS6detail15normal_iteratorINS9_10device_ptrIiEEEESE_iNS9_4plusIiEEiEEDaPvRmT3_T4_T5_mT6_P12ihipStream_tbENKUlT_T0_E_clISt17integral_constantIbLb0EEST_IbLb1EEEEDaSP_SQ_EUlSP_E_NS1_11comp_targetILNS1_3genE8ELNS1_11target_archE1030ELNS1_3gpuE2ELNS1_3repE0EEENS1_30default_config_static_selectorELNS0_4arch9wavefront6targetE1EEEvT1_
	.globl	_ZN7rocprim17ROCPRIM_400000_NS6detail17trampoline_kernelINS0_14default_configENS1_20scan_config_selectorIiEEZZNS1_9scan_implILNS1_25lookback_scan_determinismE0ELb0ELb1ES3_N6thrust23THRUST_200600_302600_NS6detail15normal_iteratorINS9_10device_ptrIiEEEESE_iNS9_4plusIiEEiEEDaPvRmT3_T4_T5_mT6_P12ihipStream_tbENKUlT_T0_E_clISt17integral_constantIbLb0EEST_IbLb1EEEEDaSP_SQ_EUlSP_E_NS1_11comp_targetILNS1_3genE8ELNS1_11target_archE1030ELNS1_3gpuE2ELNS1_3repE0EEENS1_30default_config_static_selectorELNS0_4arch9wavefront6targetE1EEEvT1_
	.p2align	8
	.type	_ZN7rocprim17ROCPRIM_400000_NS6detail17trampoline_kernelINS0_14default_configENS1_20scan_config_selectorIiEEZZNS1_9scan_implILNS1_25lookback_scan_determinismE0ELb0ELb1ES3_N6thrust23THRUST_200600_302600_NS6detail15normal_iteratorINS9_10device_ptrIiEEEESE_iNS9_4plusIiEEiEEDaPvRmT3_T4_T5_mT6_P12ihipStream_tbENKUlT_T0_E_clISt17integral_constantIbLb0EEST_IbLb1EEEEDaSP_SQ_EUlSP_E_NS1_11comp_targetILNS1_3genE8ELNS1_11target_archE1030ELNS1_3gpuE2ELNS1_3repE0EEENS1_30default_config_static_selectorELNS0_4arch9wavefront6targetE1EEEvT1_,@function
_ZN7rocprim17ROCPRIM_400000_NS6detail17trampoline_kernelINS0_14default_configENS1_20scan_config_selectorIiEEZZNS1_9scan_implILNS1_25lookback_scan_determinismE0ELb0ELb1ES3_N6thrust23THRUST_200600_302600_NS6detail15normal_iteratorINS9_10device_ptrIiEEEESE_iNS9_4plusIiEEiEEDaPvRmT3_T4_T5_mT6_P12ihipStream_tbENKUlT_T0_E_clISt17integral_constantIbLb0EEST_IbLb1EEEEDaSP_SQ_EUlSP_E_NS1_11comp_targetILNS1_3genE8ELNS1_11target_archE1030ELNS1_3gpuE2ELNS1_3repE0EEENS1_30default_config_static_selectorELNS0_4arch9wavefront6targetE1EEEvT1_: ; @_ZN7rocprim17ROCPRIM_400000_NS6detail17trampoline_kernelINS0_14default_configENS1_20scan_config_selectorIiEEZZNS1_9scan_implILNS1_25lookback_scan_determinismE0ELb0ELb1ES3_N6thrust23THRUST_200600_302600_NS6detail15normal_iteratorINS9_10device_ptrIiEEEESE_iNS9_4plusIiEEiEEDaPvRmT3_T4_T5_mT6_P12ihipStream_tbENKUlT_T0_E_clISt17integral_constantIbLb0EEST_IbLb1EEEEDaSP_SQ_EUlSP_E_NS1_11comp_targetILNS1_3genE8ELNS1_11target_archE1030ELNS1_3gpuE2ELNS1_3repE0EEENS1_30default_config_static_selectorELNS0_4arch9wavefront6targetE1EEEvT1_
; %bb.0:
	.section	.rodata,"a",@progbits
	.p2align	6, 0x0
	.amdhsa_kernel _ZN7rocprim17ROCPRIM_400000_NS6detail17trampoline_kernelINS0_14default_configENS1_20scan_config_selectorIiEEZZNS1_9scan_implILNS1_25lookback_scan_determinismE0ELb0ELb1ES3_N6thrust23THRUST_200600_302600_NS6detail15normal_iteratorINS9_10device_ptrIiEEEESE_iNS9_4plusIiEEiEEDaPvRmT3_T4_T5_mT6_P12ihipStream_tbENKUlT_T0_E_clISt17integral_constantIbLb0EEST_IbLb1EEEEDaSP_SQ_EUlSP_E_NS1_11comp_targetILNS1_3genE8ELNS1_11target_archE1030ELNS1_3gpuE2ELNS1_3repE0EEENS1_30default_config_static_selectorELNS0_4arch9wavefront6targetE1EEEvT1_
		.amdhsa_group_segment_fixed_size 0
		.amdhsa_private_segment_fixed_size 0
		.amdhsa_kernarg_size 96
		.amdhsa_user_sgpr_count 6
		.amdhsa_user_sgpr_private_segment_buffer 1
		.amdhsa_user_sgpr_dispatch_ptr 0
		.amdhsa_user_sgpr_queue_ptr 0
		.amdhsa_user_sgpr_kernarg_segment_ptr 1
		.amdhsa_user_sgpr_dispatch_id 0
		.amdhsa_user_sgpr_flat_scratch_init 0
		.amdhsa_user_sgpr_kernarg_preload_length 0
		.amdhsa_user_sgpr_kernarg_preload_offset 0
		.amdhsa_user_sgpr_private_segment_size 0
		.amdhsa_uses_dynamic_stack 0
		.amdhsa_system_sgpr_private_segment_wavefront_offset 0
		.amdhsa_system_sgpr_workgroup_id_x 1
		.amdhsa_system_sgpr_workgroup_id_y 0
		.amdhsa_system_sgpr_workgroup_id_z 0
		.amdhsa_system_sgpr_workgroup_info 0
		.amdhsa_system_vgpr_workitem_id 0
		.amdhsa_next_free_vgpr 1
		.amdhsa_next_free_sgpr 0
		.amdhsa_accum_offset 4
		.amdhsa_reserve_vcc 0
		.amdhsa_reserve_flat_scratch 0
		.amdhsa_float_round_mode_32 0
		.amdhsa_float_round_mode_16_64 0
		.amdhsa_float_denorm_mode_32 3
		.amdhsa_float_denorm_mode_16_64 3
		.amdhsa_dx10_clamp 1
		.amdhsa_ieee_mode 1
		.amdhsa_fp16_overflow 0
		.amdhsa_tg_split 0
		.amdhsa_exception_fp_ieee_invalid_op 0
		.amdhsa_exception_fp_denorm_src 0
		.amdhsa_exception_fp_ieee_div_zero 0
		.amdhsa_exception_fp_ieee_overflow 0
		.amdhsa_exception_fp_ieee_underflow 0
		.amdhsa_exception_fp_ieee_inexact 0
		.amdhsa_exception_int_div_zero 0
	.end_amdhsa_kernel
	.section	.text._ZN7rocprim17ROCPRIM_400000_NS6detail17trampoline_kernelINS0_14default_configENS1_20scan_config_selectorIiEEZZNS1_9scan_implILNS1_25lookback_scan_determinismE0ELb0ELb1ES3_N6thrust23THRUST_200600_302600_NS6detail15normal_iteratorINS9_10device_ptrIiEEEESE_iNS9_4plusIiEEiEEDaPvRmT3_T4_T5_mT6_P12ihipStream_tbENKUlT_T0_E_clISt17integral_constantIbLb0EEST_IbLb1EEEEDaSP_SQ_EUlSP_E_NS1_11comp_targetILNS1_3genE8ELNS1_11target_archE1030ELNS1_3gpuE2ELNS1_3repE0EEENS1_30default_config_static_selectorELNS0_4arch9wavefront6targetE1EEEvT1_,"axG",@progbits,_ZN7rocprim17ROCPRIM_400000_NS6detail17trampoline_kernelINS0_14default_configENS1_20scan_config_selectorIiEEZZNS1_9scan_implILNS1_25lookback_scan_determinismE0ELb0ELb1ES3_N6thrust23THRUST_200600_302600_NS6detail15normal_iteratorINS9_10device_ptrIiEEEESE_iNS9_4plusIiEEiEEDaPvRmT3_T4_T5_mT6_P12ihipStream_tbENKUlT_T0_E_clISt17integral_constantIbLb0EEST_IbLb1EEEEDaSP_SQ_EUlSP_E_NS1_11comp_targetILNS1_3genE8ELNS1_11target_archE1030ELNS1_3gpuE2ELNS1_3repE0EEENS1_30default_config_static_selectorELNS0_4arch9wavefront6targetE1EEEvT1_,comdat
.Lfunc_end794:
	.size	_ZN7rocprim17ROCPRIM_400000_NS6detail17trampoline_kernelINS0_14default_configENS1_20scan_config_selectorIiEEZZNS1_9scan_implILNS1_25lookback_scan_determinismE0ELb0ELb1ES3_N6thrust23THRUST_200600_302600_NS6detail15normal_iteratorINS9_10device_ptrIiEEEESE_iNS9_4plusIiEEiEEDaPvRmT3_T4_T5_mT6_P12ihipStream_tbENKUlT_T0_E_clISt17integral_constantIbLb0EEST_IbLb1EEEEDaSP_SQ_EUlSP_E_NS1_11comp_targetILNS1_3genE8ELNS1_11target_archE1030ELNS1_3gpuE2ELNS1_3repE0EEENS1_30default_config_static_selectorELNS0_4arch9wavefront6targetE1EEEvT1_, .Lfunc_end794-_ZN7rocprim17ROCPRIM_400000_NS6detail17trampoline_kernelINS0_14default_configENS1_20scan_config_selectorIiEEZZNS1_9scan_implILNS1_25lookback_scan_determinismE0ELb0ELb1ES3_N6thrust23THRUST_200600_302600_NS6detail15normal_iteratorINS9_10device_ptrIiEEEESE_iNS9_4plusIiEEiEEDaPvRmT3_T4_T5_mT6_P12ihipStream_tbENKUlT_T0_E_clISt17integral_constantIbLb0EEST_IbLb1EEEEDaSP_SQ_EUlSP_E_NS1_11comp_targetILNS1_3genE8ELNS1_11target_archE1030ELNS1_3gpuE2ELNS1_3repE0EEENS1_30default_config_static_selectorELNS0_4arch9wavefront6targetE1EEEvT1_
                                        ; -- End function
	.section	.AMDGPU.csdata,"",@progbits
; Kernel info:
; codeLenInByte = 0
; NumSgprs: 4
; NumVgprs: 0
; NumAgprs: 0
; TotalNumVgprs: 0
; ScratchSize: 0
; MemoryBound: 0
; FloatMode: 240
; IeeeMode: 1
; LDSByteSize: 0 bytes/workgroup (compile time only)
; SGPRBlocks: 0
; VGPRBlocks: 0
; NumSGPRsForWavesPerEU: 4
; NumVGPRsForWavesPerEU: 1
; AccumOffset: 4
; Occupancy: 8
; WaveLimiterHint : 0
; COMPUTE_PGM_RSRC2:SCRATCH_EN: 0
; COMPUTE_PGM_RSRC2:USER_SGPR: 6
; COMPUTE_PGM_RSRC2:TRAP_HANDLER: 0
; COMPUTE_PGM_RSRC2:TGID_X_EN: 1
; COMPUTE_PGM_RSRC2:TGID_Y_EN: 0
; COMPUTE_PGM_RSRC2:TGID_Z_EN: 0
; COMPUTE_PGM_RSRC2:TIDIG_COMP_CNT: 0
; COMPUTE_PGM_RSRC3_GFX90A:ACCUM_OFFSET: 0
; COMPUTE_PGM_RSRC3_GFX90A:TG_SPLIT: 0
	.section	.text._ZN7rocprim17ROCPRIM_400000_NS6detail17trampoline_kernelINS0_14default_configENS1_20scan_config_selectorIiEEZZNS1_9scan_implILNS1_25lookback_scan_determinismE0ELb0ELb1ES3_N6thrust23THRUST_200600_302600_NS6detail15normal_iteratorINS9_10device_ptrIiEEEESE_iNS9_4plusIiEEiEEDaPvRmT3_T4_T5_mT6_P12ihipStream_tbENKUlT_T0_E_clISt17integral_constantIbLb0EEST_IbLb1EEEEDaSP_SQ_EUlSP_E0_NS1_11comp_targetILNS1_3genE0ELNS1_11target_archE4294967295ELNS1_3gpuE0ELNS1_3repE0EEENS1_30default_config_static_selectorELNS0_4arch9wavefront6targetE1EEEvT1_,"axG",@progbits,_ZN7rocprim17ROCPRIM_400000_NS6detail17trampoline_kernelINS0_14default_configENS1_20scan_config_selectorIiEEZZNS1_9scan_implILNS1_25lookback_scan_determinismE0ELb0ELb1ES3_N6thrust23THRUST_200600_302600_NS6detail15normal_iteratorINS9_10device_ptrIiEEEESE_iNS9_4plusIiEEiEEDaPvRmT3_T4_T5_mT6_P12ihipStream_tbENKUlT_T0_E_clISt17integral_constantIbLb0EEST_IbLb1EEEEDaSP_SQ_EUlSP_E0_NS1_11comp_targetILNS1_3genE0ELNS1_11target_archE4294967295ELNS1_3gpuE0ELNS1_3repE0EEENS1_30default_config_static_selectorELNS0_4arch9wavefront6targetE1EEEvT1_,comdat
	.protected	_ZN7rocprim17ROCPRIM_400000_NS6detail17trampoline_kernelINS0_14default_configENS1_20scan_config_selectorIiEEZZNS1_9scan_implILNS1_25lookback_scan_determinismE0ELb0ELb1ES3_N6thrust23THRUST_200600_302600_NS6detail15normal_iteratorINS9_10device_ptrIiEEEESE_iNS9_4plusIiEEiEEDaPvRmT3_T4_T5_mT6_P12ihipStream_tbENKUlT_T0_E_clISt17integral_constantIbLb0EEST_IbLb1EEEEDaSP_SQ_EUlSP_E0_NS1_11comp_targetILNS1_3genE0ELNS1_11target_archE4294967295ELNS1_3gpuE0ELNS1_3repE0EEENS1_30default_config_static_selectorELNS0_4arch9wavefront6targetE1EEEvT1_ ; -- Begin function _ZN7rocprim17ROCPRIM_400000_NS6detail17trampoline_kernelINS0_14default_configENS1_20scan_config_selectorIiEEZZNS1_9scan_implILNS1_25lookback_scan_determinismE0ELb0ELb1ES3_N6thrust23THRUST_200600_302600_NS6detail15normal_iteratorINS9_10device_ptrIiEEEESE_iNS9_4plusIiEEiEEDaPvRmT3_T4_T5_mT6_P12ihipStream_tbENKUlT_T0_E_clISt17integral_constantIbLb0EEST_IbLb1EEEEDaSP_SQ_EUlSP_E0_NS1_11comp_targetILNS1_3genE0ELNS1_11target_archE4294967295ELNS1_3gpuE0ELNS1_3repE0EEENS1_30default_config_static_selectorELNS0_4arch9wavefront6targetE1EEEvT1_
	.globl	_ZN7rocprim17ROCPRIM_400000_NS6detail17trampoline_kernelINS0_14default_configENS1_20scan_config_selectorIiEEZZNS1_9scan_implILNS1_25lookback_scan_determinismE0ELb0ELb1ES3_N6thrust23THRUST_200600_302600_NS6detail15normal_iteratorINS9_10device_ptrIiEEEESE_iNS9_4plusIiEEiEEDaPvRmT3_T4_T5_mT6_P12ihipStream_tbENKUlT_T0_E_clISt17integral_constantIbLb0EEST_IbLb1EEEEDaSP_SQ_EUlSP_E0_NS1_11comp_targetILNS1_3genE0ELNS1_11target_archE4294967295ELNS1_3gpuE0ELNS1_3repE0EEENS1_30default_config_static_selectorELNS0_4arch9wavefront6targetE1EEEvT1_
	.p2align	8
	.type	_ZN7rocprim17ROCPRIM_400000_NS6detail17trampoline_kernelINS0_14default_configENS1_20scan_config_selectorIiEEZZNS1_9scan_implILNS1_25lookback_scan_determinismE0ELb0ELb1ES3_N6thrust23THRUST_200600_302600_NS6detail15normal_iteratorINS9_10device_ptrIiEEEESE_iNS9_4plusIiEEiEEDaPvRmT3_T4_T5_mT6_P12ihipStream_tbENKUlT_T0_E_clISt17integral_constantIbLb0EEST_IbLb1EEEEDaSP_SQ_EUlSP_E0_NS1_11comp_targetILNS1_3genE0ELNS1_11target_archE4294967295ELNS1_3gpuE0ELNS1_3repE0EEENS1_30default_config_static_selectorELNS0_4arch9wavefront6targetE1EEEvT1_,@function
_ZN7rocprim17ROCPRIM_400000_NS6detail17trampoline_kernelINS0_14default_configENS1_20scan_config_selectorIiEEZZNS1_9scan_implILNS1_25lookback_scan_determinismE0ELb0ELb1ES3_N6thrust23THRUST_200600_302600_NS6detail15normal_iteratorINS9_10device_ptrIiEEEESE_iNS9_4plusIiEEiEEDaPvRmT3_T4_T5_mT6_P12ihipStream_tbENKUlT_T0_E_clISt17integral_constantIbLb0EEST_IbLb1EEEEDaSP_SQ_EUlSP_E0_NS1_11comp_targetILNS1_3genE0ELNS1_11target_archE4294967295ELNS1_3gpuE0ELNS1_3repE0EEENS1_30default_config_static_selectorELNS0_4arch9wavefront6targetE1EEEvT1_: ; @_ZN7rocprim17ROCPRIM_400000_NS6detail17trampoline_kernelINS0_14default_configENS1_20scan_config_selectorIiEEZZNS1_9scan_implILNS1_25lookback_scan_determinismE0ELb0ELb1ES3_N6thrust23THRUST_200600_302600_NS6detail15normal_iteratorINS9_10device_ptrIiEEEESE_iNS9_4plusIiEEiEEDaPvRmT3_T4_T5_mT6_P12ihipStream_tbENKUlT_T0_E_clISt17integral_constantIbLb0EEST_IbLb1EEEEDaSP_SQ_EUlSP_E0_NS1_11comp_targetILNS1_3genE0ELNS1_11target_archE4294967295ELNS1_3gpuE0ELNS1_3repE0EEENS1_30default_config_static_selectorELNS0_4arch9wavefront6targetE1EEEvT1_
; %bb.0:
	.section	.rodata,"a",@progbits
	.p2align	6, 0x0
	.amdhsa_kernel _ZN7rocprim17ROCPRIM_400000_NS6detail17trampoline_kernelINS0_14default_configENS1_20scan_config_selectorIiEEZZNS1_9scan_implILNS1_25lookback_scan_determinismE0ELb0ELb1ES3_N6thrust23THRUST_200600_302600_NS6detail15normal_iteratorINS9_10device_ptrIiEEEESE_iNS9_4plusIiEEiEEDaPvRmT3_T4_T5_mT6_P12ihipStream_tbENKUlT_T0_E_clISt17integral_constantIbLb0EEST_IbLb1EEEEDaSP_SQ_EUlSP_E0_NS1_11comp_targetILNS1_3genE0ELNS1_11target_archE4294967295ELNS1_3gpuE0ELNS1_3repE0EEENS1_30default_config_static_selectorELNS0_4arch9wavefront6targetE1EEEvT1_
		.amdhsa_group_segment_fixed_size 0
		.amdhsa_private_segment_fixed_size 0
		.amdhsa_kernarg_size 32
		.amdhsa_user_sgpr_count 6
		.amdhsa_user_sgpr_private_segment_buffer 1
		.amdhsa_user_sgpr_dispatch_ptr 0
		.amdhsa_user_sgpr_queue_ptr 0
		.amdhsa_user_sgpr_kernarg_segment_ptr 1
		.amdhsa_user_sgpr_dispatch_id 0
		.amdhsa_user_sgpr_flat_scratch_init 0
		.amdhsa_user_sgpr_kernarg_preload_length 0
		.amdhsa_user_sgpr_kernarg_preload_offset 0
		.amdhsa_user_sgpr_private_segment_size 0
		.amdhsa_uses_dynamic_stack 0
		.amdhsa_system_sgpr_private_segment_wavefront_offset 0
		.amdhsa_system_sgpr_workgroup_id_x 1
		.amdhsa_system_sgpr_workgroup_id_y 0
		.amdhsa_system_sgpr_workgroup_id_z 0
		.amdhsa_system_sgpr_workgroup_info 0
		.amdhsa_system_vgpr_workitem_id 0
		.amdhsa_next_free_vgpr 1
		.amdhsa_next_free_sgpr 0
		.amdhsa_accum_offset 4
		.amdhsa_reserve_vcc 0
		.amdhsa_reserve_flat_scratch 0
		.amdhsa_float_round_mode_32 0
		.amdhsa_float_round_mode_16_64 0
		.amdhsa_float_denorm_mode_32 3
		.amdhsa_float_denorm_mode_16_64 3
		.amdhsa_dx10_clamp 1
		.amdhsa_ieee_mode 1
		.amdhsa_fp16_overflow 0
		.amdhsa_tg_split 0
		.amdhsa_exception_fp_ieee_invalid_op 0
		.amdhsa_exception_fp_denorm_src 0
		.amdhsa_exception_fp_ieee_div_zero 0
		.amdhsa_exception_fp_ieee_overflow 0
		.amdhsa_exception_fp_ieee_underflow 0
		.amdhsa_exception_fp_ieee_inexact 0
		.amdhsa_exception_int_div_zero 0
	.end_amdhsa_kernel
	.section	.text._ZN7rocprim17ROCPRIM_400000_NS6detail17trampoline_kernelINS0_14default_configENS1_20scan_config_selectorIiEEZZNS1_9scan_implILNS1_25lookback_scan_determinismE0ELb0ELb1ES3_N6thrust23THRUST_200600_302600_NS6detail15normal_iteratorINS9_10device_ptrIiEEEESE_iNS9_4plusIiEEiEEDaPvRmT3_T4_T5_mT6_P12ihipStream_tbENKUlT_T0_E_clISt17integral_constantIbLb0EEST_IbLb1EEEEDaSP_SQ_EUlSP_E0_NS1_11comp_targetILNS1_3genE0ELNS1_11target_archE4294967295ELNS1_3gpuE0ELNS1_3repE0EEENS1_30default_config_static_selectorELNS0_4arch9wavefront6targetE1EEEvT1_,"axG",@progbits,_ZN7rocprim17ROCPRIM_400000_NS6detail17trampoline_kernelINS0_14default_configENS1_20scan_config_selectorIiEEZZNS1_9scan_implILNS1_25lookback_scan_determinismE0ELb0ELb1ES3_N6thrust23THRUST_200600_302600_NS6detail15normal_iteratorINS9_10device_ptrIiEEEESE_iNS9_4plusIiEEiEEDaPvRmT3_T4_T5_mT6_P12ihipStream_tbENKUlT_T0_E_clISt17integral_constantIbLb0EEST_IbLb1EEEEDaSP_SQ_EUlSP_E0_NS1_11comp_targetILNS1_3genE0ELNS1_11target_archE4294967295ELNS1_3gpuE0ELNS1_3repE0EEENS1_30default_config_static_selectorELNS0_4arch9wavefront6targetE1EEEvT1_,comdat
.Lfunc_end795:
	.size	_ZN7rocprim17ROCPRIM_400000_NS6detail17trampoline_kernelINS0_14default_configENS1_20scan_config_selectorIiEEZZNS1_9scan_implILNS1_25lookback_scan_determinismE0ELb0ELb1ES3_N6thrust23THRUST_200600_302600_NS6detail15normal_iteratorINS9_10device_ptrIiEEEESE_iNS9_4plusIiEEiEEDaPvRmT3_T4_T5_mT6_P12ihipStream_tbENKUlT_T0_E_clISt17integral_constantIbLb0EEST_IbLb1EEEEDaSP_SQ_EUlSP_E0_NS1_11comp_targetILNS1_3genE0ELNS1_11target_archE4294967295ELNS1_3gpuE0ELNS1_3repE0EEENS1_30default_config_static_selectorELNS0_4arch9wavefront6targetE1EEEvT1_, .Lfunc_end795-_ZN7rocprim17ROCPRIM_400000_NS6detail17trampoline_kernelINS0_14default_configENS1_20scan_config_selectorIiEEZZNS1_9scan_implILNS1_25lookback_scan_determinismE0ELb0ELb1ES3_N6thrust23THRUST_200600_302600_NS6detail15normal_iteratorINS9_10device_ptrIiEEEESE_iNS9_4plusIiEEiEEDaPvRmT3_T4_T5_mT6_P12ihipStream_tbENKUlT_T0_E_clISt17integral_constantIbLb0EEST_IbLb1EEEEDaSP_SQ_EUlSP_E0_NS1_11comp_targetILNS1_3genE0ELNS1_11target_archE4294967295ELNS1_3gpuE0ELNS1_3repE0EEENS1_30default_config_static_selectorELNS0_4arch9wavefront6targetE1EEEvT1_
                                        ; -- End function
	.section	.AMDGPU.csdata,"",@progbits
; Kernel info:
; codeLenInByte = 0
; NumSgprs: 4
; NumVgprs: 0
; NumAgprs: 0
; TotalNumVgprs: 0
; ScratchSize: 0
; MemoryBound: 0
; FloatMode: 240
; IeeeMode: 1
; LDSByteSize: 0 bytes/workgroup (compile time only)
; SGPRBlocks: 0
; VGPRBlocks: 0
; NumSGPRsForWavesPerEU: 4
; NumVGPRsForWavesPerEU: 1
; AccumOffset: 4
; Occupancy: 8
; WaveLimiterHint : 0
; COMPUTE_PGM_RSRC2:SCRATCH_EN: 0
; COMPUTE_PGM_RSRC2:USER_SGPR: 6
; COMPUTE_PGM_RSRC2:TRAP_HANDLER: 0
; COMPUTE_PGM_RSRC2:TGID_X_EN: 1
; COMPUTE_PGM_RSRC2:TGID_Y_EN: 0
; COMPUTE_PGM_RSRC2:TGID_Z_EN: 0
; COMPUTE_PGM_RSRC2:TIDIG_COMP_CNT: 0
; COMPUTE_PGM_RSRC3_GFX90A:ACCUM_OFFSET: 0
; COMPUTE_PGM_RSRC3_GFX90A:TG_SPLIT: 0
	.section	.text._ZN7rocprim17ROCPRIM_400000_NS6detail17trampoline_kernelINS0_14default_configENS1_20scan_config_selectorIiEEZZNS1_9scan_implILNS1_25lookback_scan_determinismE0ELb0ELb1ES3_N6thrust23THRUST_200600_302600_NS6detail15normal_iteratorINS9_10device_ptrIiEEEESE_iNS9_4plusIiEEiEEDaPvRmT3_T4_T5_mT6_P12ihipStream_tbENKUlT_T0_E_clISt17integral_constantIbLb0EEST_IbLb1EEEEDaSP_SQ_EUlSP_E0_NS1_11comp_targetILNS1_3genE5ELNS1_11target_archE942ELNS1_3gpuE9ELNS1_3repE0EEENS1_30default_config_static_selectorELNS0_4arch9wavefront6targetE1EEEvT1_,"axG",@progbits,_ZN7rocprim17ROCPRIM_400000_NS6detail17trampoline_kernelINS0_14default_configENS1_20scan_config_selectorIiEEZZNS1_9scan_implILNS1_25lookback_scan_determinismE0ELb0ELb1ES3_N6thrust23THRUST_200600_302600_NS6detail15normal_iteratorINS9_10device_ptrIiEEEESE_iNS9_4plusIiEEiEEDaPvRmT3_T4_T5_mT6_P12ihipStream_tbENKUlT_T0_E_clISt17integral_constantIbLb0EEST_IbLb1EEEEDaSP_SQ_EUlSP_E0_NS1_11comp_targetILNS1_3genE5ELNS1_11target_archE942ELNS1_3gpuE9ELNS1_3repE0EEENS1_30default_config_static_selectorELNS0_4arch9wavefront6targetE1EEEvT1_,comdat
	.protected	_ZN7rocprim17ROCPRIM_400000_NS6detail17trampoline_kernelINS0_14default_configENS1_20scan_config_selectorIiEEZZNS1_9scan_implILNS1_25lookback_scan_determinismE0ELb0ELb1ES3_N6thrust23THRUST_200600_302600_NS6detail15normal_iteratorINS9_10device_ptrIiEEEESE_iNS9_4plusIiEEiEEDaPvRmT3_T4_T5_mT6_P12ihipStream_tbENKUlT_T0_E_clISt17integral_constantIbLb0EEST_IbLb1EEEEDaSP_SQ_EUlSP_E0_NS1_11comp_targetILNS1_3genE5ELNS1_11target_archE942ELNS1_3gpuE9ELNS1_3repE0EEENS1_30default_config_static_selectorELNS0_4arch9wavefront6targetE1EEEvT1_ ; -- Begin function _ZN7rocprim17ROCPRIM_400000_NS6detail17trampoline_kernelINS0_14default_configENS1_20scan_config_selectorIiEEZZNS1_9scan_implILNS1_25lookback_scan_determinismE0ELb0ELb1ES3_N6thrust23THRUST_200600_302600_NS6detail15normal_iteratorINS9_10device_ptrIiEEEESE_iNS9_4plusIiEEiEEDaPvRmT3_T4_T5_mT6_P12ihipStream_tbENKUlT_T0_E_clISt17integral_constantIbLb0EEST_IbLb1EEEEDaSP_SQ_EUlSP_E0_NS1_11comp_targetILNS1_3genE5ELNS1_11target_archE942ELNS1_3gpuE9ELNS1_3repE0EEENS1_30default_config_static_selectorELNS0_4arch9wavefront6targetE1EEEvT1_
	.globl	_ZN7rocprim17ROCPRIM_400000_NS6detail17trampoline_kernelINS0_14default_configENS1_20scan_config_selectorIiEEZZNS1_9scan_implILNS1_25lookback_scan_determinismE0ELb0ELb1ES3_N6thrust23THRUST_200600_302600_NS6detail15normal_iteratorINS9_10device_ptrIiEEEESE_iNS9_4plusIiEEiEEDaPvRmT3_T4_T5_mT6_P12ihipStream_tbENKUlT_T0_E_clISt17integral_constantIbLb0EEST_IbLb1EEEEDaSP_SQ_EUlSP_E0_NS1_11comp_targetILNS1_3genE5ELNS1_11target_archE942ELNS1_3gpuE9ELNS1_3repE0EEENS1_30default_config_static_selectorELNS0_4arch9wavefront6targetE1EEEvT1_
	.p2align	8
	.type	_ZN7rocprim17ROCPRIM_400000_NS6detail17trampoline_kernelINS0_14default_configENS1_20scan_config_selectorIiEEZZNS1_9scan_implILNS1_25lookback_scan_determinismE0ELb0ELb1ES3_N6thrust23THRUST_200600_302600_NS6detail15normal_iteratorINS9_10device_ptrIiEEEESE_iNS9_4plusIiEEiEEDaPvRmT3_T4_T5_mT6_P12ihipStream_tbENKUlT_T0_E_clISt17integral_constantIbLb0EEST_IbLb1EEEEDaSP_SQ_EUlSP_E0_NS1_11comp_targetILNS1_3genE5ELNS1_11target_archE942ELNS1_3gpuE9ELNS1_3repE0EEENS1_30default_config_static_selectorELNS0_4arch9wavefront6targetE1EEEvT1_,@function
_ZN7rocprim17ROCPRIM_400000_NS6detail17trampoline_kernelINS0_14default_configENS1_20scan_config_selectorIiEEZZNS1_9scan_implILNS1_25lookback_scan_determinismE0ELb0ELb1ES3_N6thrust23THRUST_200600_302600_NS6detail15normal_iteratorINS9_10device_ptrIiEEEESE_iNS9_4plusIiEEiEEDaPvRmT3_T4_T5_mT6_P12ihipStream_tbENKUlT_T0_E_clISt17integral_constantIbLb0EEST_IbLb1EEEEDaSP_SQ_EUlSP_E0_NS1_11comp_targetILNS1_3genE5ELNS1_11target_archE942ELNS1_3gpuE9ELNS1_3repE0EEENS1_30default_config_static_selectorELNS0_4arch9wavefront6targetE1EEEvT1_: ; @_ZN7rocprim17ROCPRIM_400000_NS6detail17trampoline_kernelINS0_14default_configENS1_20scan_config_selectorIiEEZZNS1_9scan_implILNS1_25lookback_scan_determinismE0ELb0ELb1ES3_N6thrust23THRUST_200600_302600_NS6detail15normal_iteratorINS9_10device_ptrIiEEEESE_iNS9_4plusIiEEiEEDaPvRmT3_T4_T5_mT6_P12ihipStream_tbENKUlT_T0_E_clISt17integral_constantIbLb0EEST_IbLb1EEEEDaSP_SQ_EUlSP_E0_NS1_11comp_targetILNS1_3genE5ELNS1_11target_archE942ELNS1_3gpuE9ELNS1_3repE0EEENS1_30default_config_static_selectorELNS0_4arch9wavefront6targetE1EEEvT1_
; %bb.0:
	.section	.rodata,"a",@progbits
	.p2align	6, 0x0
	.amdhsa_kernel _ZN7rocprim17ROCPRIM_400000_NS6detail17trampoline_kernelINS0_14default_configENS1_20scan_config_selectorIiEEZZNS1_9scan_implILNS1_25lookback_scan_determinismE0ELb0ELb1ES3_N6thrust23THRUST_200600_302600_NS6detail15normal_iteratorINS9_10device_ptrIiEEEESE_iNS9_4plusIiEEiEEDaPvRmT3_T4_T5_mT6_P12ihipStream_tbENKUlT_T0_E_clISt17integral_constantIbLb0EEST_IbLb1EEEEDaSP_SQ_EUlSP_E0_NS1_11comp_targetILNS1_3genE5ELNS1_11target_archE942ELNS1_3gpuE9ELNS1_3repE0EEENS1_30default_config_static_selectorELNS0_4arch9wavefront6targetE1EEEvT1_
		.amdhsa_group_segment_fixed_size 0
		.amdhsa_private_segment_fixed_size 0
		.amdhsa_kernarg_size 32
		.amdhsa_user_sgpr_count 6
		.amdhsa_user_sgpr_private_segment_buffer 1
		.amdhsa_user_sgpr_dispatch_ptr 0
		.amdhsa_user_sgpr_queue_ptr 0
		.amdhsa_user_sgpr_kernarg_segment_ptr 1
		.amdhsa_user_sgpr_dispatch_id 0
		.amdhsa_user_sgpr_flat_scratch_init 0
		.amdhsa_user_sgpr_kernarg_preload_length 0
		.amdhsa_user_sgpr_kernarg_preload_offset 0
		.amdhsa_user_sgpr_private_segment_size 0
		.amdhsa_uses_dynamic_stack 0
		.amdhsa_system_sgpr_private_segment_wavefront_offset 0
		.amdhsa_system_sgpr_workgroup_id_x 1
		.amdhsa_system_sgpr_workgroup_id_y 0
		.amdhsa_system_sgpr_workgroup_id_z 0
		.amdhsa_system_sgpr_workgroup_info 0
		.amdhsa_system_vgpr_workitem_id 0
		.amdhsa_next_free_vgpr 1
		.amdhsa_next_free_sgpr 0
		.amdhsa_accum_offset 4
		.amdhsa_reserve_vcc 0
		.amdhsa_reserve_flat_scratch 0
		.amdhsa_float_round_mode_32 0
		.amdhsa_float_round_mode_16_64 0
		.amdhsa_float_denorm_mode_32 3
		.amdhsa_float_denorm_mode_16_64 3
		.amdhsa_dx10_clamp 1
		.amdhsa_ieee_mode 1
		.amdhsa_fp16_overflow 0
		.amdhsa_tg_split 0
		.amdhsa_exception_fp_ieee_invalid_op 0
		.amdhsa_exception_fp_denorm_src 0
		.amdhsa_exception_fp_ieee_div_zero 0
		.amdhsa_exception_fp_ieee_overflow 0
		.amdhsa_exception_fp_ieee_underflow 0
		.amdhsa_exception_fp_ieee_inexact 0
		.amdhsa_exception_int_div_zero 0
	.end_amdhsa_kernel
	.section	.text._ZN7rocprim17ROCPRIM_400000_NS6detail17trampoline_kernelINS0_14default_configENS1_20scan_config_selectorIiEEZZNS1_9scan_implILNS1_25lookback_scan_determinismE0ELb0ELb1ES3_N6thrust23THRUST_200600_302600_NS6detail15normal_iteratorINS9_10device_ptrIiEEEESE_iNS9_4plusIiEEiEEDaPvRmT3_T4_T5_mT6_P12ihipStream_tbENKUlT_T0_E_clISt17integral_constantIbLb0EEST_IbLb1EEEEDaSP_SQ_EUlSP_E0_NS1_11comp_targetILNS1_3genE5ELNS1_11target_archE942ELNS1_3gpuE9ELNS1_3repE0EEENS1_30default_config_static_selectorELNS0_4arch9wavefront6targetE1EEEvT1_,"axG",@progbits,_ZN7rocprim17ROCPRIM_400000_NS6detail17trampoline_kernelINS0_14default_configENS1_20scan_config_selectorIiEEZZNS1_9scan_implILNS1_25lookback_scan_determinismE0ELb0ELb1ES3_N6thrust23THRUST_200600_302600_NS6detail15normal_iteratorINS9_10device_ptrIiEEEESE_iNS9_4plusIiEEiEEDaPvRmT3_T4_T5_mT6_P12ihipStream_tbENKUlT_T0_E_clISt17integral_constantIbLb0EEST_IbLb1EEEEDaSP_SQ_EUlSP_E0_NS1_11comp_targetILNS1_3genE5ELNS1_11target_archE942ELNS1_3gpuE9ELNS1_3repE0EEENS1_30default_config_static_selectorELNS0_4arch9wavefront6targetE1EEEvT1_,comdat
.Lfunc_end796:
	.size	_ZN7rocprim17ROCPRIM_400000_NS6detail17trampoline_kernelINS0_14default_configENS1_20scan_config_selectorIiEEZZNS1_9scan_implILNS1_25lookback_scan_determinismE0ELb0ELb1ES3_N6thrust23THRUST_200600_302600_NS6detail15normal_iteratorINS9_10device_ptrIiEEEESE_iNS9_4plusIiEEiEEDaPvRmT3_T4_T5_mT6_P12ihipStream_tbENKUlT_T0_E_clISt17integral_constantIbLb0EEST_IbLb1EEEEDaSP_SQ_EUlSP_E0_NS1_11comp_targetILNS1_3genE5ELNS1_11target_archE942ELNS1_3gpuE9ELNS1_3repE0EEENS1_30default_config_static_selectorELNS0_4arch9wavefront6targetE1EEEvT1_, .Lfunc_end796-_ZN7rocprim17ROCPRIM_400000_NS6detail17trampoline_kernelINS0_14default_configENS1_20scan_config_selectorIiEEZZNS1_9scan_implILNS1_25lookback_scan_determinismE0ELb0ELb1ES3_N6thrust23THRUST_200600_302600_NS6detail15normal_iteratorINS9_10device_ptrIiEEEESE_iNS9_4plusIiEEiEEDaPvRmT3_T4_T5_mT6_P12ihipStream_tbENKUlT_T0_E_clISt17integral_constantIbLb0EEST_IbLb1EEEEDaSP_SQ_EUlSP_E0_NS1_11comp_targetILNS1_3genE5ELNS1_11target_archE942ELNS1_3gpuE9ELNS1_3repE0EEENS1_30default_config_static_selectorELNS0_4arch9wavefront6targetE1EEEvT1_
                                        ; -- End function
	.section	.AMDGPU.csdata,"",@progbits
; Kernel info:
; codeLenInByte = 0
; NumSgprs: 4
; NumVgprs: 0
; NumAgprs: 0
; TotalNumVgprs: 0
; ScratchSize: 0
; MemoryBound: 0
; FloatMode: 240
; IeeeMode: 1
; LDSByteSize: 0 bytes/workgroup (compile time only)
; SGPRBlocks: 0
; VGPRBlocks: 0
; NumSGPRsForWavesPerEU: 4
; NumVGPRsForWavesPerEU: 1
; AccumOffset: 4
; Occupancy: 8
; WaveLimiterHint : 0
; COMPUTE_PGM_RSRC2:SCRATCH_EN: 0
; COMPUTE_PGM_RSRC2:USER_SGPR: 6
; COMPUTE_PGM_RSRC2:TRAP_HANDLER: 0
; COMPUTE_PGM_RSRC2:TGID_X_EN: 1
; COMPUTE_PGM_RSRC2:TGID_Y_EN: 0
; COMPUTE_PGM_RSRC2:TGID_Z_EN: 0
; COMPUTE_PGM_RSRC2:TIDIG_COMP_CNT: 0
; COMPUTE_PGM_RSRC3_GFX90A:ACCUM_OFFSET: 0
; COMPUTE_PGM_RSRC3_GFX90A:TG_SPLIT: 0
	.section	.text._ZN7rocprim17ROCPRIM_400000_NS6detail17trampoline_kernelINS0_14default_configENS1_20scan_config_selectorIiEEZZNS1_9scan_implILNS1_25lookback_scan_determinismE0ELb0ELb1ES3_N6thrust23THRUST_200600_302600_NS6detail15normal_iteratorINS9_10device_ptrIiEEEESE_iNS9_4plusIiEEiEEDaPvRmT3_T4_T5_mT6_P12ihipStream_tbENKUlT_T0_E_clISt17integral_constantIbLb0EEST_IbLb1EEEEDaSP_SQ_EUlSP_E0_NS1_11comp_targetILNS1_3genE4ELNS1_11target_archE910ELNS1_3gpuE8ELNS1_3repE0EEENS1_30default_config_static_selectorELNS0_4arch9wavefront6targetE1EEEvT1_,"axG",@progbits,_ZN7rocprim17ROCPRIM_400000_NS6detail17trampoline_kernelINS0_14default_configENS1_20scan_config_selectorIiEEZZNS1_9scan_implILNS1_25lookback_scan_determinismE0ELb0ELb1ES3_N6thrust23THRUST_200600_302600_NS6detail15normal_iteratorINS9_10device_ptrIiEEEESE_iNS9_4plusIiEEiEEDaPvRmT3_T4_T5_mT6_P12ihipStream_tbENKUlT_T0_E_clISt17integral_constantIbLb0EEST_IbLb1EEEEDaSP_SQ_EUlSP_E0_NS1_11comp_targetILNS1_3genE4ELNS1_11target_archE910ELNS1_3gpuE8ELNS1_3repE0EEENS1_30default_config_static_selectorELNS0_4arch9wavefront6targetE1EEEvT1_,comdat
	.protected	_ZN7rocprim17ROCPRIM_400000_NS6detail17trampoline_kernelINS0_14default_configENS1_20scan_config_selectorIiEEZZNS1_9scan_implILNS1_25lookback_scan_determinismE0ELb0ELb1ES3_N6thrust23THRUST_200600_302600_NS6detail15normal_iteratorINS9_10device_ptrIiEEEESE_iNS9_4plusIiEEiEEDaPvRmT3_T4_T5_mT6_P12ihipStream_tbENKUlT_T0_E_clISt17integral_constantIbLb0EEST_IbLb1EEEEDaSP_SQ_EUlSP_E0_NS1_11comp_targetILNS1_3genE4ELNS1_11target_archE910ELNS1_3gpuE8ELNS1_3repE0EEENS1_30default_config_static_selectorELNS0_4arch9wavefront6targetE1EEEvT1_ ; -- Begin function _ZN7rocprim17ROCPRIM_400000_NS6detail17trampoline_kernelINS0_14default_configENS1_20scan_config_selectorIiEEZZNS1_9scan_implILNS1_25lookback_scan_determinismE0ELb0ELb1ES3_N6thrust23THRUST_200600_302600_NS6detail15normal_iteratorINS9_10device_ptrIiEEEESE_iNS9_4plusIiEEiEEDaPvRmT3_T4_T5_mT6_P12ihipStream_tbENKUlT_T0_E_clISt17integral_constantIbLb0EEST_IbLb1EEEEDaSP_SQ_EUlSP_E0_NS1_11comp_targetILNS1_3genE4ELNS1_11target_archE910ELNS1_3gpuE8ELNS1_3repE0EEENS1_30default_config_static_selectorELNS0_4arch9wavefront6targetE1EEEvT1_
	.globl	_ZN7rocprim17ROCPRIM_400000_NS6detail17trampoline_kernelINS0_14default_configENS1_20scan_config_selectorIiEEZZNS1_9scan_implILNS1_25lookback_scan_determinismE0ELb0ELb1ES3_N6thrust23THRUST_200600_302600_NS6detail15normal_iteratorINS9_10device_ptrIiEEEESE_iNS9_4plusIiEEiEEDaPvRmT3_T4_T5_mT6_P12ihipStream_tbENKUlT_T0_E_clISt17integral_constantIbLb0EEST_IbLb1EEEEDaSP_SQ_EUlSP_E0_NS1_11comp_targetILNS1_3genE4ELNS1_11target_archE910ELNS1_3gpuE8ELNS1_3repE0EEENS1_30default_config_static_selectorELNS0_4arch9wavefront6targetE1EEEvT1_
	.p2align	8
	.type	_ZN7rocprim17ROCPRIM_400000_NS6detail17trampoline_kernelINS0_14default_configENS1_20scan_config_selectorIiEEZZNS1_9scan_implILNS1_25lookback_scan_determinismE0ELb0ELb1ES3_N6thrust23THRUST_200600_302600_NS6detail15normal_iteratorINS9_10device_ptrIiEEEESE_iNS9_4plusIiEEiEEDaPvRmT3_T4_T5_mT6_P12ihipStream_tbENKUlT_T0_E_clISt17integral_constantIbLb0EEST_IbLb1EEEEDaSP_SQ_EUlSP_E0_NS1_11comp_targetILNS1_3genE4ELNS1_11target_archE910ELNS1_3gpuE8ELNS1_3repE0EEENS1_30default_config_static_selectorELNS0_4arch9wavefront6targetE1EEEvT1_,@function
_ZN7rocprim17ROCPRIM_400000_NS6detail17trampoline_kernelINS0_14default_configENS1_20scan_config_selectorIiEEZZNS1_9scan_implILNS1_25lookback_scan_determinismE0ELb0ELb1ES3_N6thrust23THRUST_200600_302600_NS6detail15normal_iteratorINS9_10device_ptrIiEEEESE_iNS9_4plusIiEEiEEDaPvRmT3_T4_T5_mT6_P12ihipStream_tbENKUlT_T0_E_clISt17integral_constantIbLb0EEST_IbLb1EEEEDaSP_SQ_EUlSP_E0_NS1_11comp_targetILNS1_3genE4ELNS1_11target_archE910ELNS1_3gpuE8ELNS1_3repE0EEENS1_30default_config_static_selectorELNS0_4arch9wavefront6targetE1EEEvT1_: ; @_ZN7rocprim17ROCPRIM_400000_NS6detail17trampoline_kernelINS0_14default_configENS1_20scan_config_selectorIiEEZZNS1_9scan_implILNS1_25lookback_scan_determinismE0ELb0ELb1ES3_N6thrust23THRUST_200600_302600_NS6detail15normal_iteratorINS9_10device_ptrIiEEEESE_iNS9_4plusIiEEiEEDaPvRmT3_T4_T5_mT6_P12ihipStream_tbENKUlT_T0_E_clISt17integral_constantIbLb0EEST_IbLb1EEEEDaSP_SQ_EUlSP_E0_NS1_11comp_targetILNS1_3genE4ELNS1_11target_archE910ELNS1_3gpuE8ELNS1_3repE0EEENS1_30default_config_static_selectorELNS0_4arch9wavefront6targetE1EEEvT1_
; %bb.0:
	s_load_dwordx4 s[20:23], s[4:5], 0x0
	v_lshlrev_b32_e32 v18, 2, v0
	s_waitcnt lgkmcnt(0)
	s_load_dword s23, s[20:21], 0x0
	v_cmp_gt_u32_e32 vcc, s22, v0
	s_waitcnt lgkmcnt(0)
	v_mov_b32_e32 v1, s23
	s_and_saveexec_b64 s[0:1], vcc
	s_cbranch_execz .LBB797_2
; %bb.1:
	global_load_dword v1, v18, s[20:21]
.LBB797_2:
	s_or_b64 exec, exec, s[0:1]
	v_or_b32_e32 v2, 0x80, v0
	v_cmp_gt_u32_e64 s[0:1], s22, v2
	v_mov_b32_e32 v2, s23
	s_and_saveexec_b64 s[2:3], s[0:1]
	s_cbranch_execz .LBB797_4
; %bb.3:
	global_load_dword v2, v18, s[20:21] offset:512
.LBB797_4:
	s_or_b64 exec, exec, s[2:3]
	v_or_b32_e32 v3, 0x100, v0
	v_cmp_gt_u32_e64 s[2:3], s22, v3
	v_mov_b32_e32 v3, s23
	s_and_saveexec_b64 s[6:7], s[2:3]
	s_cbranch_execz .LBB797_6
; %bb.5:
	global_load_dword v3, v18, s[20:21] offset:1024
.LBB797_6:
	s_or_b64 exec, exec, s[6:7]
	v_or_b32_e32 v4, 0x180, v0
	v_cmp_gt_u32_e64 s[18:19], s22, v4
	v_mov_b32_e32 v4, s23
	s_and_saveexec_b64 s[6:7], s[18:19]
	s_cbranch_execz .LBB797_8
; %bb.7:
	global_load_dword v4, v18, s[20:21] offset:1536
.LBB797_8:
	s_or_b64 exec, exec, s[6:7]
	v_or_b32_e32 v5, 0x200, v0
	v_cmp_gt_u32_e64 s[6:7], s22, v5
	v_mov_b32_e32 v5, s23
	s_and_saveexec_b64 s[8:9], s[6:7]
	s_cbranch_execz .LBB797_10
; %bb.9:
	global_load_dword v5, v18, s[20:21] offset:2048
.LBB797_10:
	s_or_b64 exec, exec, s[8:9]
	v_or_b32_e32 v6, 0x280, v0
	v_cmp_gt_u32_e64 s[8:9], s22, v6
	v_mov_b32_e32 v6, s23
	s_and_saveexec_b64 s[10:11], s[8:9]
	s_cbranch_execz .LBB797_12
; %bb.11:
	global_load_dword v6, v18, s[20:21] offset:2560
.LBB797_12:
	s_or_b64 exec, exec, s[10:11]
	v_or_b32_e32 v7, 0x300, v0
	v_cmp_gt_u32_e64 s[10:11], s22, v7
	v_mov_b32_e32 v7, s23
	s_and_saveexec_b64 s[12:13], s[10:11]
	s_cbranch_execz .LBB797_14
; %bb.13:
	global_load_dword v7, v18, s[20:21] offset:3072
.LBB797_14:
	s_or_b64 exec, exec, s[12:13]
	v_or_b32_e32 v8, 0x380, v0
	v_cmp_gt_u32_e64 s[12:13], s22, v8
	v_mov_b32_e32 v8, s23
	s_and_saveexec_b64 s[14:15], s[12:13]
	s_cbranch_execz .LBB797_16
; %bb.15:
	global_load_dword v8, v18, s[20:21] offset:3584
.LBB797_16:
	s_or_b64 exec, exec, s[14:15]
	v_or_b32_e32 v10, 0x400, v0
	v_cmp_gt_u32_e64 s[14:15], s22, v10
	v_mov_b32_e32 v9, s23
	s_and_saveexec_b64 s[16:17], s[14:15]
	s_cbranch_execz .LBB797_18
; %bb.17:
	v_lshlrev_b32_e32 v9, 2, v10
	global_load_dword v9, v9, s[20:21]
.LBB797_18:
	s_or_b64 exec, exec, s[16:17]
	v_or_b32_e32 v11, 0x480, v0
	v_cmp_gt_u32_e64 s[16:17], s22, v11
	v_mov_b32_e32 v10, s23
	s_and_saveexec_b64 s[22:23], s[16:17]
	s_cbranch_execz .LBB797_20
; %bb.19:
	v_lshlrev_b32_e32 v10, 2, v11
	global_load_dword v10, v10, s[20:21]
.LBB797_20:
	s_or_b64 exec, exec, s[22:23]
	s_waitcnt vmcnt(0)
	ds_write2st64_b32 v18, v1, v2 offset1:2
	ds_write2st64_b32 v18, v3, v4 offset0:4 offset1:6
	ds_write2st64_b32 v18, v5, v6 offset0:8 offset1:10
	;; [unrolled: 1-line block ×4, first 2 shown]
	v_mad_u32_u24 v1, v0, 36, v18
	s_waitcnt lgkmcnt(0)
	s_barrier
	ds_read2_b64 v[6:9], v1 offset1:1
	ds_read2_b64 v[2:5], v1 offset0:2 offset1:3
	ds_read_b64 v[10:11], v1 offset:32
	v_lshrrev_b32_e32 v20, 3, v0
	v_and_b32_e32 v20, 12, v20
	s_waitcnt lgkmcnt(2)
	v_add_u32_e32 v1, v7, v6
	v_add_u32_e32 v12, v1, v8
	;; [unrolled: 1-line block ×3, first 2 shown]
	s_waitcnt lgkmcnt(1)
	v_add_u32_e32 v14, v13, v2
	v_add_u32_e32 v17, v14, v3
	;; [unrolled: 1-line block ×4, first 2 shown]
	s_waitcnt lgkmcnt(0)
	v_add3_u32 v19, v15, v10, v11
	v_add_u32_e32 v20, v18, v20
	v_cmp_gt_u32_e64 s[20:21], 64, v0
	s_barrier
	ds_write_b32 v20, v19
	s_waitcnt lgkmcnt(0)
	s_barrier
	s_and_saveexec_b64 s[22:23], s[20:21]
	s_cbranch_execz .LBB797_22
; %bb.21:
	v_lshlrev_b32_e32 v20, 1, v0
	v_lshrrev_b32_e32 v21, 4, v0
	v_add_lshl_u32 v22, v21, v20, 2
	ds_read2_b32 v[20:21], v22 offset1:1
	v_mbcnt_lo_u32_b32 v23, -1, 0
	v_mbcnt_hi_u32_b32 v23, -1, v23
	v_and_b32_e32 v24, 15, v23
	v_cmp_ne_u32_e64 s[20:21], 0, v24
	s_waitcnt lgkmcnt(0)
	v_add_u32_e32 v21, v21, v20
	; wave barrier
	s_nop 1
	v_mov_b32_dpp v25, v21 row_shr:1 row_mask:0xf bank_mask:0xf
	v_cndmask_b32_e64 v25, 0, v25, s[20:21]
	v_add_u32_e32 v21, v25, v21
	v_cmp_lt_u32_e64 s[20:21], 1, v24
	s_nop 0
	v_mov_b32_dpp v25, v21 row_shr:2 row_mask:0xf bank_mask:0xf
	v_cndmask_b32_e64 v25, 0, v25, s[20:21]
	v_add_u32_e32 v21, v21, v25
	v_cmp_lt_u32_e64 s[20:21], 3, v24
	;; [unrolled: 5-line block ×3, first 2 shown]
	s_nop 0
	v_mov_b32_dpp v25, v21 row_shr:8 row_mask:0xf bank_mask:0xf
	v_cndmask_b32_e64 v24, 0, v25, s[20:21]
	v_add_u32_e32 v21, v21, v24
	v_bfe_i32 v25, v23, 4, 1
	v_cmp_lt_u32_e64 s[20:21], 31, v23
	v_mov_b32_dpp v24, v21 row_bcast:15 row_mask:0xf bank_mask:0xf
	v_and_b32_e32 v24, v25, v24
	v_add_u32_e32 v21, v21, v24
	v_and_b32_e32 v25, 64, v23
	s_nop 0
	v_mov_b32_dpp v24, v21 row_bcast:31 row_mask:0xf bank_mask:0xf
	v_cndmask_b32_e64 v24, 0, v24, s[20:21]
	v_add_u32_e32 v21, v21, v24
	v_add_u32_e32 v24, -1, v23
	v_cmp_lt_i32_e64 s[20:21], v24, v25
	v_cndmask_b32_e64 v23, v24, v23, s[20:21]
	v_lshlrev_b32_e32 v23, 2, v23
	ds_bpermute_b32 v21, v23, v21
	v_cmp_eq_u32_e64 s[20:21], 0, v0
	s_waitcnt lgkmcnt(0)
	v_add_u32_e32 v20, v21, v20
	v_cndmask_b32_e64 v20, v20, v19, s[20:21]
	ds_write_b32 v22, v20
	; wave barrier
	ds_read_b32 v21, v22 offset:4
	s_waitcnt lgkmcnt(0)
	v_add_u32_e32 v20, v21, v20
	ds_write_b32 v22, v20 offset:4
.LBB797_22:
	s_or_b64 exec, exec, s[22:23]
	s_load_dwordx2 s[22:23], s[4:5], 0x18
	v_cmp_ne_u32_e64 s[20:21], 0, v0
	s_waitcnt lgkmcnt(0)
	s_barrier
	s_and_saveexec_b64 s[24:25], s[20:21]
	s_cbranch_execz .LBB797_24
; %bb.23:
	v_add_u32_e32 v19, -1, v0
	v_lshrrev_b32_e32 v20, 5, v19
	v_add_lshl_u32 v19, v20, v19, 2
	ds_read_b32 v19, v19
.LBB797_24:
	s_or_b64 exec, exec, s[24:25]
	s_load_dword s24, s[4:5], 0x10
	v_mul_u32_u24_e32 v20, 36, v0
	v_mov_b32_e32 v0, v6
	s_and_saveexec_b64 s[4:5], s[20:21]
	s_cbranch_execz .LBB797_26
; %bb.25:
	s_waitcnt lgkmcnt(0)
	v_add_u32_e32 v0, v19, v6
	v_add_u32_e32 v1, v0, v7
	;; [unrolled: 1-line block ×8, first 2 shown]
	;;#ASMSTART
	;;#ASMEND
.LBB797_26:
	s_or_b64 exec, exec, s[4:5]
	s_waitcnt lgkmcnt(0)
	v_add3_u32 v8, v10, s24, v15
	v_add_u32_e32 v1, s24, v1
	v_add_u32_e32 v0, s24, v0
	v_add_u32_e32 v3, s24, v13
	v_add_u32_e32 v2, s24, v12
	v_add_u32_e32 v5, s24, v17
	v_add_u32_e32 v4, s24, v14
	v_add_u32_e32 v7, s24, v15
	v_add_u32_e32 v6, s24, v16
	v_add_u32_e32 v9, v8, v11
	v_add_u32_e32 v10, v18, v20
	s_barrier
	ds_write2_b64 v10, v[0:1], v[2:3] offset1:1
	ds_write2_b64 v10, v[4:5], v[6:7] offset0:2 offset1:3
	ds_write_b64 v10, v[8:9] offset:32
	s_waitcnt lgkmcnt(0)
	s_barrier
	ds_read2st64_b32 v[8:9], v18 offset0:2 offset1:4
	ds_read2st64_b32 v[6:7], v18 offset0:6 offset1:8
	;; [unrolled: 1-line block ×4, first 2 shown]
	ds_read_b32 v10, v18 offset:4608
	v_mov_b32_e32 v1, s23
	v_add_co_u32_e64 v0, s[4:5], s22, v18
	v_addc_co_u32_e64 v1, s[4:5], 0, v1, s[4:5]
	s_and_saveexec_b64 s[4:5], vcc
	s_cbranch_execnz .LBB797_37
; %bb.27:
	s_or_b64 exec, exec, s[4:5]
	s_and_saveexec_b64 s[4:5], s[0:1]
	s_cbranch_execnz .LBB797_38
.LBB797_28:
	s_or_b64 exec, exec, s[4:5]
	s_and_saveexec_b64 s[0:1], s[2:3]
	s_cbranch_execnz .LBB797_39
.LBB797_29:
	s_or_b64 exec, exec, s[0:1]
	s_and_saveexec_b64 s[0:1], s[18:19]
	s_cbranch_execnz .LBB797_40
.LBB797_30:
	s_or_b64 exec, exec, s[0:1]
	s_and_saveexec_b64 s[0:1], s[6:7]
	s_cbranch_execnz .LBB797_41
.LBB797_31:
	s_or_b64 exec, exec, s[0:1]
	s_and_saveexec_b64 s[0:1], s[8:9]
	s_cbranch_execnz .LBB797_42
.LBB797_32:
	s_or_b64 exec, exec, s[0:1]
	s_and_saveexec_b64 s[0:1], s[10:11]
	s_cbranch_execnz .LBB797_43
.LBB797_33:
	s_or_b64 exec, exec, s[0:1]
	s_and_saveexec_b64 s[0:1], s[12:13]
	s_cbranch_execnz .LBB797_44
.LBB797_34:
	s_or_b64 exec, exec, s[0:1]
	s_and_saveexec_b64 s[0:1], s[14:15]
	s_cbranch_execnz .LBB797_45
.LBB797_35:
	s_or_b64 exec, exec, s[0:1]
	s_and_saveexec_b64 s[0:1], s[16:17]
	s_cbranch_execnz .LBB797_46
.LBB797_36:
	s_endpgm
.LBB797_37:
	ds_read_b32 v11, v18
	s_waitcnt lgkmcnt(0)
	global_store_dword v[0:1], v11, off
	s_or_b64 exec, exec, s[4:5]
	s_and_saveexec_b64 s[4:5], s[0:1]
	s_cbranch_execz .LBB797_28
.LBB797_38:
	s_waitcnt lgkmcnt(4)
	global_store_dword v[0:1], v8, off offset:512
	s_or_b64 exec, exec, s[4:5]
	s_and_saveexec_b64 s[0:1], s[2:3]
	s_cbranch_execz .LBB797_29
.LBB797_39:
	s_waitcnt lgkmcnt(4)
	global_store_dword v[0:1], v9, off offset:1024
	s_or_b64 exec, exec, s[0:1]
	s_and_saveexec_b64 s[0:1], s[18:19]
	s_cbranch_execz .LBB797_30
.LBB797_40:
	s_waitcnt lgkmcnt(3)
	global_store_dword v[0:1], v6, off offset:1536
	s_or_b64 exec, exec, s[0:1]
	s_and_saveexec_b64 s[0:1], s[6:7]
	s_cbranch_execz .LBB797_31
.LBB797_41:
	s_waitcnt lgkmcnt(3)
	global_store_dword v[0:1], v7, off offset:2048
	s_or_b64 exec, exec, s[0:1]
	s_and_saveexec_b64 s[0:1], s[8:9]
	s_cbranch_execz .LBB797_32
.LBB797_42:
	s_waitcnt lgkmcnt(2)
	global_store_dword v[0:1], v4, off offset:2560
	s_or_b64 exec, exec, s[0:1]
	s_and_saveexec_b64 s[0:1], s[10:11]
	s_cbranch_execz .LBB797_33
.LBB797_43:
	s_waitcnt lgkmcnt(2)
	global_store_dword v[0:1], v5, off offset:3072
	s_or_b64 exec, exec, s[0:1]
	s_and_saveexec_b64 s[0:1], s[12:13]
	s_cbranch_execz .LBB797_34
.LBB797_44:
	s_waitcnt lgkmcnt(1)
	global_store_dword v[0:1], v2, off offset:3584
	s_or_b64 exec, exec, s[0:1]
	s_and_saveexec_b64 s[0:1], s[14:15]
	s_cbranch_execz .LBB797_35
.LBB797_45:
	s_waitcnt lgkmcnt(2)
	v_add_co_u32_e32 v4, vcc, 0x1000, v0
	v_addc_co_u32_e32 v5, vcc, 0, v1, vcc
	s_waitcnt lgkmcnt(1)
	global_store_dword v[4:5], v3, off
	s_or_b64 exec, exec, s[0:1]
	s_and_saveexec_b64 s[0:1], s[16:17]
	s_cbranch_execz .LBB797_36
.LBB797_46:
	v_add_co_u32_e32 v0, vcc, 0x1000, v0
	v_addc_co_u32_e32 v1, vcc, 0, v1, vcc
	s_waitcnt lgkmcnt(0)
	global_store_dword v[0:1], v10, off offset:512
	s_endpgm
	.section	.rodata,"a",@progbits
	.p2align	6, 0x0
	.amdhsa_kernel _ZN7rocprim17ROCPRIM_400000_NS6detail17trampoline_kernelINS0_14default_configENS1_20scan_config_selectorIiEEZZNS1_9scan_implILNS1_25lookback_scan_determinismE0ELb0ELb1ES3_N6thrust23THRUST_200600_302600_NS6detail15normal_iteratorINS9_10device_ptrIiEEEESE_iNS9_4plusIiEEiEEDaPvRmT3_T4_T5_mT6_P12ihipStream_tbENKUlT_T0_E_clISt17integral_constantIbLb0EEST_IbLb1EEEEDaSP_SQ_EUlSP_E0_NS1_11comp_targetILNS1_3genE4ELNS1_11target_archE910ELNS1_3gpuE8ELNS1_3repE0EEENS1_30default_config_static_selectorELNS0_4arch9wavefront6targetE1EEEvT1_
		.amdhsa_group_segment_fixed_size 5120
		.amdhsa_private_segment_fixed_size 0
		.amdhsa_kernarg_size 32
		.amdhsa_user_sgpr_count 6
		.amdhsa_user_sgpr_private_segment_buffer 1
		.amdhsa_user_sgpr_dispatch_ptr 0
		.amdhsa_user_sgpr_queue_ptr 0
		.amdhsa_user_sgpr_kernarg_segment_ptr 1
		.amdhsa_user_sgpr_dispatch_id 0
		.amdhsa_user_sgpr_flat_scratch_init 0
		.amdhsa_user_sgpr_kernarg_preload_length 0
		.amdhsa_user_sgpr_kernarg_preload_offset 0
		.amdhsa_user_sgpr_private_segment_size 0
		.amdhsa_uses_dynamic_stack 0
		.amdhsa_system_sgpr_private_segment_wavefront_offset 0
		.amdhsa_system_sgpr_workgroup_id_x 1
		.amdhsa_system_sgpr_workgroup_id_y 0
		.amdhsa_system_sgpr_workgroup_id_z 0
		.amdhsa_system_sgpr_workgroup_info 0
		.amdhsa_system_vgpr_workitem_id 0
		.amdhsa_next_free_vgpr 26
		.amdhsa_next_free_sgpr 26
		.amdhsa_accum_offset 28
		.amdhsa_reserve_vcc 1
		.amdhsa_reserve_flat_scratch 0
		.amdhsa_float_round_mode_32 0
		.amdhsa_float_round_mode_16_64 0
		.amdhsa_float_denorm_mode_32 3
		.amdhsa_float_denorm_mode_16_64 3
		.amdhsa_dx10_clamp 1
		.amdhsa_ieee_mode 1
		.amdhsa_fp16_overflow 0
		.amdhsa_tg_split 0
		.amdhsa_exception_fp_ieee_invalid_op 0
		.amdhsa_exception_fp_denorm_src 0
		.amdhsa_exception_fp_ieee_div_zero 0
		.amdhsa_exception_fp_ieee_overflow 0
		.amdhsa_exception_fp_ieee_underflow 0
		.amdhsa_exception_fp_ieee_inexact 0
		.amdhsa_exception_int_div_zero 0
	.end_amdhsa_kernel
	.section	.text._ZN7rocprim17ROCPRIM_400000_NS6detail17trampoline_kernelINS0_14default_configENS1_20scan_config_selectorIiEEZZNS1_9scan_implILNS1_25lookback_scan_determinismE0ELb0ELb1ES3_N6thrust23THRUST_200600_302600_NS6detail15normal_iteratorINS9_10device_ptrIiEEEESE_iNS9_4plusIiEEiEEDaPvRmT3_T4_T5_mT6_P12ihipStream_tbENKUlT_T0_E_clISt17integral_constantIbLb0EEST_IbLb1EEEEDaSP_SQ_EUlSP_E0_NS1_11comp_targetILNS1_3genE4ELNS1_11target_archE910ELNS1_3gpuE8ELNS1_3repE0EEENS1_30default_config_static_selectorELNS0_4arch9wavefront6targetE1EEEvT1_,"axG",@progbits,_ZN7rocprim17ROCPRIM_400000_NS6detail17trampoline_kernelINS0_14default_configENS1_20scan_config_selectorIiEEZZNS1_9scan_implILNS1_25lookback_scan_determinismE0ELb0ELb1ES3_N6thrust23THRUST_200600_302600_NS6detail15normal_iteratorINS9_10device_ptrIiEEEESE_iNS9_4plusIiEEiEEDaPvRmT3_T4_T5_mT6_P12ihipStream_tbENKUlT_T0_E_clISt17integral_constantIbLb0EEST_IbLb1EEEEDaSP_SQ_EUlSP_E0_NS1_11comp_targetILNS1_3genE4ELNS1_11target_archE910ELNS1_3gpuE8ELNS1_3repE0EEENS1_30default_config_static_selectorELNS0_4arch9wavefront6targetE1EEEvT1_,comdat
.Lfunc_end797:
	.size	_ZN7rocprim17ROCPRIM_400000_NS6detail17trampoline_kernelINS0_14default_configENS1_20scan_config_selectorIiEEZZNS1_9scan_implILNS1_25lookback_scan_determinismE0ELb0ELb1ES3_N6thrust23THRUST_200600_302600_NS6detail15normal_iteratorINS9_10device_ptrIiEEEESE_iNS9_4plusIiEEiEEDaPvRmT3_T4_T5_mT6_P12ihipStream_tbENKUlT_T0_E_clISt17integral_constantIbLb0EEST_IbLb1EEEEDaSP_SQ_EUlSP_E0_NS1_11comp_targetILNS1_3genE4ELNS1_11target_archE910ELNS1_3gpuE8ELNS1_3repE0EEENS1_30default_config_static_selectorELNS0_4arch9wavefront6targetE1EEEvT1_, .Lfunc_end797-_ZN7rocprim17ROCPRIM_400000_NS6detail17trampoline_kernelINS0_14default_configENS1_20scan_config_selectorIiEEZZNS1_9scan_implILNS1_25lookback_scan_determinismE0ELb0ELb1ES3_N6thrust23THRUST_200600_302600_NS6detail15normal_iteratorINS9_10device_ptrIiEEEESE_iNS9_4plusIiEEiEEDaPvRmT3_T4_T5_mT6_P12ihipStream_tbENKUlT_T0_E_clISt17integral_constantIbLb0EEST_IbLb1EEEEDaSP_SQ_EUlSP_E0_NS1_11comp_targetILNS1_3genE4ELNS1_11target_archE910ELNS1_3gpuE8ELNS1_3repE0EEENS1_30default_config_static_selectorELNS0_4arch9wavefront6targetE1EEEvT1_
                                        ; -- End function
	.section	.AMDGPU.csdata,"",@progbits
; Kernel info:
; codeLenInByte = 1596
; NumSgprs: 30
; NumVgprs: 26
; NumAgprs: 0
; TotalNumVgprs: 26
; ScratchSize: 0
; MemoryBound: 0
; FloatMode: 240
; IeeeMode: 1
; LDSByteSize: 5120 bytes/workgroup (compile time only)
; SGPRBlocks: 3
; VGPRBlocks: 3
; NumSGPRsForWavesPerEU: 30
; NumVGPRsForWavesPerEU: 26
; AccumOffset: 28
; Occupancy: 6
; WaveLimiterHint : 0
; COMPUTE_PGM_RSRC2:SCRATCH_EN: 0
; COMPUTE_PGM_RSRC2:USER_SGPR: 6
; COMPUTE_PGM_RSRC2:TRAP_HANDLER: 0
; COMPUTE_PGM_RSRC2:TGID_X_EN: 1
; COMPUTE_PGM_RSRC2:TGID_Y_EN: 0
; COMPUTE_PGM_RSRC2:TGID_Z_EN: 0
; COMPUTE_PGM_RSRC2:TIDIG_COMP_CNT: 0
; COMPUTE_PGM_RSRC3_GFX90A:ACCUM_OFFSET: 6
; COMPUTE_PGM_RSRC3_GFX90A:TG_SPLIT: 0
	.section	.text._ZN7rocprim17ROCPRIM_400000_NS6detail17trampoline_kernelINS0_14default_configENS1_20scan_config_selectorIiEEZZNS1_9scan_implILNS1_25lookback_scan_determinismE0ELb0ELb1ES3_N6thrust23THRUST_200600_302600_NS6detail15normal_iteratorINS9_10device_ptrIiEEEESE_iNS9_4plusIiEEiEEDaPvRmT3_T4_T5_mT6_P12ihipStream_tbENKUlT_T0_E_clISt17integral_constantIbLb0EEST_IbLb1EEEEDaSP_SQ_EUlSP_E0_NS1_11comp_targetILNS1_3genE3ELNS1_11target_archE908ELNS1_3gpuE7ELNS1_3repE0EEENS1_30default_config_static_selectorELNS0_4arch9wavefront6targetE1EEEvT1_,"axG",@progbits,_ZN7rocprim17ROCPRIM_400000_NS6detail17trampoline_kernelINS0_14default_configENS1_20scan_config_selectorIiEEZZNS1_9scan_implILNS1_25lookback_scan_determinismE0ELb0ELb1ES3_N6thrust23THRUST_200600_302600_NS6detail15normal_iteratorINS9_10device_ptrIiEEEESE_iNS9_4plusIiEEiEEDaPvRmT3_T4_T5_mT6_P12ihipStream_tbENKUlT_T0_E_clISt17integral_constantIbLb0EEST_IbLb1EEEEDaSP_SQ_EUlSP_E0_NS1_11comp_targetILNS1_3genE3ELNS1_11target_archE908ELNS1_3gpuE7ELNS1_3repE0EEENS1_30default_config_static_selectorELNS0_4arch9wavefront6targetE1EEEvT1_,comdat
	.protected	_ZN7rocprim17ROCPRIM_400000_NS6detail17trampoline_kernelINS0_14default_configENS1_20scan_config_selectorIiEEZZNS1_9scan_implILNS1_25lookback_scan_determinismE0ELb0ELb1ES3_N6thrust23THRUST_200600_302600_NS6detail15normal_iteratorINS9_10device_ptrIiEEEESE_iNS9_4plusIiEEiEEDaPvRmT3_T4_T5_mT6_P12ihipStream_tbENKUlT_T0_E_clISt17integral_constantIbLb0EEST_IbLb1EEEEDaSP_SQ_EUlSP_E0_NS1_11comp_targetILNS1_3genE3ELNS1_11target_archE908ELNS1_3gpuE7ELNS1_3repE0EEENS1_30default_config_static_selectorELNS0_4arch9wavefront6targetE1EEEvT1_ ; -- Begin function _ZN7rocprim17ROCPRIM_400000_NS6detail17trampoline_kernelINS0_14default_configENS1_20scan_config_selectorIiEEZZNS1_9scan_implILNS1_25lookback_scan_determinismE0ELb0ELb1ES3_N6thrust23THRUST_200600_302600_NS6detail15normal_iteratorINS9_10device_ptrIiEEEESE_iNS9_4plusIiEEiEEDaPvRmT3_T4_T5_mT6_P12ihipStream_tbENKUlT_T0_E_clISt17integral_constantIbLb0EEST_IbLb1EEEEDaSP_SQ_EUlSP_E0_NS1_11comp_targetILNS1_3genE3ELNS1_11target_archE908ELNS1_3gpuE7ELNS1_3repE0EEENS1_30default_config_static_selectorELNS0_4arch9wavefront6targetE1EEEvT1_
	.globl	_ZN7rocprim17ROCPRIM_400000_NS6detail17trampoline_kernelINS0_14default_configENS1_20scan_config_selectorIiEEZZNS1_9scan_implILNS1_25lookback_scan_determinismE0ELb0ELb1ES3_N6thrust23THRUST_200600_302600_NS6detail15normal_iteratorINS9_10device_ptrIiEEEESE_iNS9_4plusIiEEiEEDaPvRmT3_T4_T5_mT6_P12ihipStream_tbENKUlT_T0_E_clISt17integral_constantIbLb0EEST_IbLb1EEEEDaSP_SQ_EUlSP_E0_NS1_11comp_targetILNS1_3genE3ELNS1_11target_archE908ELNS1_3gpuE7ELNS1_3repE0EEENS1_30default_config_static_selectorELNS0_4arch9wavefront6targetE1EEEvT1_
	.p2align	8
	.type	_ZN7rocprim17ROCPRIM_400000_NS6detail17trampoline_kernelINS0_14default_configENS1_20scan_config_selectorIiEEZZNS1_9scan_implILNS1_25lookback_scan_determinismE0ELb0ELb1ES3_N6thrust23THRUST_200600_302600_NS6detail15normal_iteratorINS9_10device_ptrIiEEEESE_iNS9_4plusIiEEiEEDaPvRmT3_T4_T5_mT6_P12ihipStream_tbENKUlT_T0_E_clISt17integral_constantIbLb0EEST_IbLb1EEEEDaSP_SQ_EUlSP_E0_NS1_11comp_targetILNS1_3genE3ELNS1_11target_archE908ELNS1_3gpuE7ELNS1_3repE0EEENS1_30default_config_static_selectorELNS0_4arch9wavefront6targetE1EEEvT1_,@function
_ZN7rocprim17ROCPRIM_400000_NS6detail17trampoline_kernelINS0_14default_configENS1_20scan_config_selectorIiEEZZNS1_9scan_implILNS1_25lookback_scan_determinismE0ELb0ELb1ES3_N6thrust23THRUST_200600_302600_NS6detail15normal_iteratorINS9_10device_ptrIiEEEESE_iNS9_4plusIiEEiEEDaPvRmT3_T4_T5_mT6_P12ihipStream_tbENKUlT_T0_E_clISt17integral_constantIbLb0EEST_IbLb1EEEEDaSP_SQ_EUlSP_E0_NS1_11comp_targetILNS1_3genE3ELNS1_11target_archE908ELNS1_3gpuE7ELNS1_3repE0EEENS1_30default_config_static_selectorELNS0_4arch9wavefront6targetE1EEEvT1_: ; @_ZN7rocprim17ROCPRIM_400000_NS6detail17trampoline_kernelINS0_14default_configENS1_20scan_config_selectorIiEEZZNS1_9scan_implILNS1_25lookback_scan_determinismE0ELb0ELb1ES3_N6thrust23THRUST_200600_302600_NS6detail15normal_iteratorINS9_10device_ptrIiEEEESE_iNS9_4plusIiEEiEEDaPvRmT3_T4_T5_mT6_P12ihipStream_tbENKUlT_T0_E_clISt17integral_constantIbLb0EEST_IbLb1EEEEDaSP_SQ_EUlSP_E0_NS1_11comp_targetILNS1_3genE3ELNS1_11target_archE908ELNS1_3gpuE7ELNS1_3repE0EEENS1_30default_config_static_selectorELNS0_4arch9wavefront6targetE1EEEvT1_
; %bb.0:
	.section	.rodata,"a",@progbits
	.p2align	6, 0x0
	.amdhsa_kernel _ZN7rocprim17ROCPRIM_400000_NS6detail17trampoline_kernelINS0_14default_configENS1_20scan_config_selectorIiEEZZNS1_9scan_implILNS1_25lookback_scan_determinismE0ELb0ELb1ES3_N6thrust23THRUST_200600_302600_NS6detail15normal_iteratorINS9_10device_ptrIiEEEESE_iNS9_4plusIiEEiEEDaPvRmT3_T4_T5_mT6_P12ihipStream_tbENKUlT_T0_E_clISt17integral_constantIbLb0EEST_IbLb1EEEEDaSP_SQ_EUlSP_E0_NS1_11comp_targetILNS1_3genE3ELNS1_11target_archE908ELNS1_3gpuE7ELNS1_3repE0EEENS1_30default_config_static_selectorELNS0_4arch9wavefront6targetE1EEEvT1_
		.amdhsa_group_segment_fixed_size 0
		.amdhsa_private_segment_fixed_size 0
		.amdhsa_kernarg_size 32
		.amdhsa_user_sgpr_count 6
		.amdhsa_user_sgpr_private_segment_buffer 1
		.amdhsa_user_sgpr_dispatch_ptr 0
		.amdhsa_user_sgpr_queue_ptr 0
		.amdhsa_user_sgpr_kernarg_segment_ptr 1
		.amdhsa_user_sgpr_dispatch_id 0
		.amdhsa_user_sgpr_flat_scratch_init 0
		.amdhsa_user_sgpr_kernarg_preload_length 0
		.amdhsa_user_sgpr_kernarg_preload_offset 0
		.amdhsa_user_sgpr_private_segment_size 0
		.amdhsa_uses_dynamic_stack 0
		.amdhsa_system_sgpr_private_segment_wavefront_offset 0
		.amdhsa_system_sgpr_workgroup_id_x 1
		.amdhsa_system_sgpr_workgroup_id_y 0
		.amdhsa_system_sgpr_workgroup_id_z 0
		.amdhsa_system_sgpr_workgroup_info 0
		.amdhsa_system_vgpr_workitem_id 0
		.amdhsa_next_free_vgpr 1
		.amdhsa_next_free_sgpr 0
		.amdhsa_accum_offset 4
		.amdhsa_reserve_vcc 0
		.amdhsa_reserve_flat_scratch 0
		.amdhsa_float_round_mode_32 0
		.amdhsa_float_round_mode_16_64 0
		.amdhsa_float_denorm_mode_32 3
		.amdhsa_float_denorm_mode_16_64 3
		.amdhsa_dx10_clamp 1
		.amdhsa_ieee_mode 1
		.amdhsa_fp16_overflow 0
		.amdhsa_tg_split 0
		.amdhsa_exception_fp_ieee_invalid_op 0
		.amdhsa_exception_fp_denorm_src 0
		.amdhsa_exception_fp_ieee_div_zero 0
		.amdhsa_exception_fp_ieee_overflow 0
		.amdhsa_exception_fp_ieee_underflow 0
		.amdhsa_exception_fp_ieee_inexact 0
		.amdhsa_exception_int_div_zero 0
	.end_amdhsa_kernel
	.section	.text._ZN7rocprim17ROCPRIM_400000_NS6detail17trampoline_kernelINS0_14default_configENS1_20scan_config_selectorIiEEZZNS1_9scan_implILNS1_25lookback_scan_determinismE0ELb0ELb1ES3_N6thrust23THRUST_200600_302600_NS6detail15normal_iteratorINS9_10device_ptrIiEEEESE_iNS9_4plusIiEEiEEDaPvRmT3_T4_T5_mT6_P12ihipStream_tbENKUlT_T0_E_clISt17integral_constantIbLb0EEST_IbLb1EEEEDaSP_SQ_EUlSP_E0_NS1_11comp_targetILNS1_3genE3ELNS1_11target_archE908ELNS1_3gpuE7ELNS1_3repE0EEENS1_30default_config_static_selectorELNS0_4arch9wavefront6targetE1EEEvT1_,"axG",@progbits,_ZN7rocprim17ROCPRIM_400000_NS6detail17trampoline_kernelINS0_14default_configENS1_20scan_config_selectorIiEEZZNS1_9scan_implILNS1_25lookback_scan_determinismE0ELb0ELb1ES3_N6thrust23THRUST_200600_302600_NS6detail15normal_iteratorINS9_10device_ptrIiEEEESE_iNS9_4plusIiEEiEEDaPvRmT3_T4_T5_mT6_P12ihipStream_tbENKUlT_T0_E_clISt17integral_constantIbLb0EEST_IbLb1EEEEDaSP_SQ_EUlSP_E0_NS1_11comp_targetILNS1_3genE3ELNS1_11target_archE908ELNS1_3gpuE7ELNS1_3repE0EEENS1_30default_config_static_selectorELNS0_4arch9wavefront6targetE1EEEvT1_,comdat
.Lfunc_end798:
	.size	_ZN7rocprim17ROCPRIM_400000_NS6detail17trampoline_kernelINS0_14default_configENS1_20scan_config_selectorIiEEZZNS1_9scan_implILNS1_25lookback_scan_determinismE0ELb0ELb1ES3_N6thrust23THRUST_200600_302600_NS6detail15normal_iteratorINS9_10device_ptrIiEEEESE_iNS9_4plusIiEEiEEDaPvRmT3_T4_T5_mT6_P12ihipStream_tbENKUlT_T0_E_clISt17integral_constantIbLb0EEST_IbLb1EEEEDaSP_SQ_EUlSP_E0_NS1_11comp_targetILNS1_3genE3ELNS1_11target_archE908ELNS1_3gpuE7ELNS1_3repE0EEENS1_30default_config_static_selectorELNS0_4arch9wavefront6targetE1EEEvT1_, .Lfunc_end798-_ZN7rocprim17ROCPRIM_400000_NS6detail17trampoline_kernelINS0_14default_configENS1_20scan_config_selectorIiEEZZNS1_9scan_implILNS1_25lookback_scan_determinismE0ELb0ELb1ES3_N6thrust23THRUST_200600_302600_NS6detail15normal_iteratorINS9_10device_ptrIiEEEESE_iNS9_4plusIiEEiEEDaPvRmT3_T4_T5_mT6_P12ihipStream_tbENKUlT_T0_E_clISt17integral_constantIbLb0EEST_IbLb1EEEEDaSP_SQ_EUlSP_E0_NS1_11comp_targetILNS1_3genE3ELNS1_11target_archE908ELNS1_3gpuE7ELNS1_3repE0EEENS1_30default_config_static_selectorELNS0_4arch9wavefront6targetE1EEEvT1_
                                        ; -- End function
	.section	.AMDGPU.csdata,"",@progbits
; Kernel info:
; codeLenInByte = 0
; NumSgprs: 4
; NumVgprs: 0
; NumAgprs: 0
; TotalNumVgprs: 0
; ScratchSize: 0
; MemoryBound: 0
; FloatMode: 240
; IeeeMode: 1
; LDSByteSize: 0 bytes/workgroup (compile time only)
; SGPRBlocks: 0
; VGPRBlocks: 0
; NumSGPRsForWavesPerEU: 4
; NumVGPRsForWavesPerEU: 1
; AccumOffset: 4
; Occupancy: 8
; WaveLimiterHint : 0
; COMPUTE_PGM_RSRC2:SCRATCH_EN: 0
; COMPUTE_PGM_RSRC2:USER_SGPR: 6
; COMPUTE_PGM_RSRC2:TRAP_HANDLER: 0
; COMPUTE_PGM_RSRC2:TGID_X_EN: 1
; COMPUTE_PGM_RSRC2:TGID_Y_EN: 0
; COMPUTE_PGM_RSRC2:TGID_Z_EN: 0
; COMPUTE_PGM_RSRC2:TIDIG_COMP_CNT: 0
; COMPUTE_PGM_RSRC3_GFX90A:ACCUM_OFFSET: 0
; COMPUTE_PGM_RSRC3_GFX90A:TG_SPLIT: 0
	.section	.text._ZN7rocprim17ROCPRIM_400000_NS6detail17trampoline_kernelINS0_14default_configENS1_20scan_config_selectorIiEEZZNS1_9scan_implILNS1_25lookback_scan_determinismE0ELb0ELb1ES3_N6thrust23THRUST_200600_302600_NS6detail15normal_iteratorINS9_10device_ptrIiEEEESE_iNS9_4plusIiEEiEEDaPvRmT3_T4_T5_mT6_P12ihipStream_tbENKUlT_T0_E_clISt17integral_constantIbLb0EEST_IbLb1EEEEDaSP_SQ_EUlSP_E0_NS1_11comp_targetILNS1_3genE2ELNS1_11target_archE906ELNS1_3gpuE6ELNS1_3repE0EEENS1_30default_config_static_selectorELNS0_4arch9wavefront6targetE1EEEvT1_,"axG",@progbits,_ZN7rocprim17ROCPRIM_400000_NS6detail17trampoline_kernelINS0_14default_configENS1_20scan_config_selectorIiEEZZNS1_9scan_implILNS1_25lookback_scan_determinismE0ELb0ELb1ES3_N6thrust23THRUST_200600_302600_NS6detail15normal_iteratorINS9_10device_ptrIiEEEESE_iNS9_4plusIiEEiEEDaPvRmT3_T4_T5_mT6_P12ihipStream_tbENKUlT_T0_E_clISt17integral_constantIbLb0EEST_IbLb1EEEEDaSP_SQ_EUlSP_E0_NS1_11comp_targetILNS1_3genE2ELNS1_11target_archE906ELNS1_3gpuE6ELNS1_3repE0EEENS1_30default_config_static_selectorELNS0_4arch9wavefront6targetE1EEEvT1_,comdat
	.protected	_ZN7rocprim17ROCPRIM_400000_NS6detail17trampoline_kernelINS0_14default_configENS1_20scan_config_selectorIiEEZZNS1_9scan_implILNS1_25lookback_scan_determinismE0ELb0ELb1ES3_N6thrust23THRUST_200600_302600_NS6detail15normal_iteratorINS9_10device_ptrIiEEEESE_iNS9_4plusIiEEiEEDaPvRmT3_T4_T5_mT6_P12ihipStream_tbENKUlT_T0_E_clISt17integral_constantIbLb0EEST_IbLb1EEEEDaSP_SQ_EUlSP_E0_NS1_11comp_targetILNS1_3genE2ELNS1_11target_archE906ELNS1_3gpuE6ELNS1_3repE0EEENS1_30default_config_static_selectorELNS0_4arch9wavefront6targetE1EEEvT1_ ; -- Begin function _ZN7rocprim17ROCPRIM_400000_NS6detail17trampoline_kernelINS0_14default_configENS1_20scan_config_selectorIiEEZZNS1_9scan_implILNS1_25lookback_scan_determinismE0ELb0ELb1ES3_N6thrust23THRUST_200600_302600_NS6detail15normal_iteratorINS9_10device_ptrIiEEEESE_iNS9_4plusIiEEiEEDaPvRmT3_T4_T5_mT6_P12ihipStream_tbENKUlT_T0_E_clISt17integral_constantIbLb0EEST_IbLb1EEEEDaSP_SQ_EUlSP_E0_NS1_11comp_targetILNS1_3genE2ELNS1_11target_archE906ELNS1_3gpuE6ELNS1_3repE0EEENS1_30default_config_static_selectorELNS0_4arch9wavefront6targetE1EEEvT1_
	.globl	_ZN7rocprim17ROCPRIM_400000_NS6detail17trampoline_kernelINS0_14default_configENS1_20scan_config_selectorIiEEZZNS1_9scan_implILNS1_25lookback_scan_determinismE0ELb0ELb1ES3_N6thrust23THRUST_200600_302600_NS6detail15normal_iteratorINS9_10device_ptrIiEEEESE_iNS9_4plusIiEEiEEDaPvRmT3_T4_T5_mT6_P12ihipStream_tbENKUlT_T0_E_clISt17integral_constantIbLb0EEST_IbLb1EEEEDaSP_SQ_EUlSP_E0_NS1_11comp_targetILNS1_3genE2ELNS1_11target_archE906ELNS1_3gpuE6ELNS1_3repE0EEENS1_30default_config_static_selectorELNS0_4arch9wavefront6targetE1EEEvT1_
	.p2align	8
	.type	_ZN7rocprim17ROCPRIM_400000_NS6detail17trampoline_kernelINS0_14default_configENS1_20scan_config_selectorIiEEZZNS1_9scan_implILNS1_25lookback_scan_determinismE0ELb0ELb1ES3_N6thrust23THRUST_200600_302600_NS6detail15normal_iteratorINS9_10device_ptrIiEEEESE_iNS9_4plusIiEEiEEDaPvRmT3_T4_T5_mT6_P12ihipStream_tbENKUlT_T0_E_clISt17integral_constantIbLb0EEST_IbLb1EEEEDaSP_SQ_EUlSP_E0_NS1_11comp_targetILNS1_3genE2ELNS1_11target_archE906ELNS1_3gpuE6ELNS1_3repE0EEENS1_30default_config_static_selectorELNS0_4arch9wavefront6targetE1EEEvT1_,@function
_ZN7rocprim17ROCPRIM_400000_NS6detail17trampoline_kernelINS0_14default_configENS1_20scan_config_selectorIiEEZZNS1_9scan_implILNS1_25lookback_scan_determinismE0ELb0ELb1ES3_N6thrust23THRUST_200600_302600_NS6detail15normal_iteratorINS9_10device_ptrIiEEEESE_iNS9_4plusIiEEiEEDaPvRmT3_T4_T5_mT6_P12ihipStream_tbENKUlT_T0_E_clISt17integral_constantIbLb0EEST_IbLb1EEEEDaSP_SQ_EUlSP_E0_NS1_11comp_targetILNS1_3genE2ELNS1_11target_archE906ELNS1_3gpuE6ELNS1_3repE0EEENS1_30default_config_static_selectorELNS0_4arch9wavefront6targetE1EEEvT1_: ; @_ZN7rocprim17ROCPRIM_400000_NS6detail17trampoline_kernelINS0_14default_configENS1_20scan_config_selectorIiEEZZNS1_9scan_implILNS1_25lookback_scan_determinismE0ELb0ELb1ES3_N6thrust23THRUST_200600_302600_NS6detail15normal_iteratorINS9_10device_ptrIiEEEESE_iNS9_4plusIiEEiEEDaPvRmT3_T4_T5_mT6_P12ihipStream_tbENKUlT_T0_E_clISt17integral_constantIbLb0EEST_IbLb1EEEEDaSP_SQ_EUlSP_E0_NS1_11comp_targetILNS1_3genE2ELNS1_11target_archE906ELNS1_3gpuE6ELNS1_3repE0EEENS1_30default_config_static_selectorELNS0_4arch9wavefront6targetE1EEEvT1_
; %bb.0:
	.section	.rodata,"a",@progbits
	.p2align	6, 0x0
	.amdhsa_kernel _ZN7rocprim17ROCPRIM_400000_NS6detail17trampoline_kernelINS0_14default_configENS1_20scan_config_selectorIiEEZZNS1_9scan_implILNS1_25lookback_scan_determinismE0ELb0ELb1ES3_N6thrust23THRUST_200600_302600_NS6detail15normal_iteratorINS9_10device_ptrIiEEEESE_iNS9_4plusIiEEiEEDaPvRmT3_T4_T5_mT6_P12ihipStream_tbENKUlT_T0_E_clISt17integral_constantIbLb0EEST_IbLb1EEEEDaSP_SQ_EUlSP_E0_NS1_11comp_targetILNS1_3genE2ELNS1_11target_archE906ELNS1_3gpuE6ELNS1_3repE0EEENS1_30default_config_static_selectorELNS0_4arch9wavefront6targetE1EEEvT1_
		.amdhsa_group_segment_fixed_size 0
		.amdhsa_private_segment_fixed_size 0
		.amdhsa_kernarg_size 32
		.amdhsa_user_sgpr_count 6
		.amdhsa_user_sgpr_private_segment_buffer 1
		.amdhsa_user_sgpr_dispatch_ptr 0
		.amdhsa_user_sgpr_queue_ptr 0
		.amdhsa_user_sgpr_kernarg_segment_ptr 1
		.amdhsa_user_sgpr_dispatch_id 0
		.amdhsa_user_sgpr_flat_scratch_init 0
		.amdhsa_user_sgpr_kernarg_preload_length 0
		.amdhsa_user_sgpr_kernarg_preload_offset 0
		.amdhsa_user_sgpr_private_segment_size 0
		.amdhsa_uses_dynamic_stack 0
		.amdhsa_system_sgpr_private_segment_wavefront_offset 0
		.amdhsa_system_sgpr_workgroup_id_x 1
		.amdhsa_system_sgpr_workgroup_id_y 0
		.amdhsa_system_sgpr_workgroup_id_z 0
		.amdhsa_system_sgpr_workgroup_info 0
		.amdhsa_system_vgpr_workitem_id 0
		.amdhsa_next_free_vgpr 1
		.amdhsa_next_free_sgpr 0
		.amdhsa_accum_offset 4
		.amdhsa_reserve_vcc 0
		.amdhsa_reserve_flat_scratch 0
		.amdhsa_float_round_mode_32 0
		.amdhsa_float_round_mode_16_64 0
		.amdhsa_float_denorm_mode_32 3
		.amdhsa_float_denorm_mode_16_64 3
		.amdhsa_dx10_clamp 1
		.amdhsa_ieee_mode 1
		.amdhsa_fp16_overflow 0
		.amdhsa_tg_split 0
		.amdhsa_exception_fp_ieee_invalid_op 0
		.amdhsa_exception_fp_denorm_src 0
		.amdhsa_exception_fp_ieee_div_zero 0
		.amdhsa_exception_fp_ieee_overflow 0
		.amdhsa_exception_fp_ieee_underflow 0
		.amdhsa_exception_fp_ieee_inexact 0
		.amdhsa_exception_int_div_zero 0
	.end_amdhsa_kernel
	.section	.text._ZN7rocprim17ROCPRIM_400000_NS6detail17trampoline_kernelINS0_14default_configENS1_20scan_config_selectorIiEEZZNS1_9scan_implILNS1_25lookback_scan_determinismE0ELb0ELb1ES3_N6thrust23THRUST_200600_302600_NS6detail15normal_iteratorINS9_10device_ptrIiEEEESE_iNS9_4plusIiEEiEEDaPvRmT3_T4_T5_mT6_P12ihipStream_tbENKUlT_T0_E_clISt17integral_constantIbLb0EEST_IbLb1EEEEDaSP_SQ_EUlSP_E0_NS1_11comp_targetILNS1_3genE2ELNS1_11target_archE906ELNS1_3gpuE6ELNS1_3repE0EEENS1_30default_config_static_selectorELNS0_4arch9wavefront6targetE1EEEvT1_,"axG",@progbits,_ZN7rocprim17ROCPRIM_400000_NS6detail17trampoline_kernelINS0_14default_configENS1_20scan_config_selectorIiEEZZNS1_9scan_implILNS1_25lookback_scan_determinismE0ELb0ELb1ES3_N6thrust23THRUST_200600_302600_NS6detail15normal_iteratorINS9_10device_ptrIiEEEESE_iNS9_4plusIiEEiEEDaPvRmT3_T4_T5_mT6_P12ihipStream_tbENKUlT_T0_E_clISt17integral_constantIbLb0EEST_IbLb1EEEEDaSP_SQ_EUlSP_E0_NS1_11comp_targetILNS1_3genE2ELNS1_11target_archE906ELNS1_3gpuE6ELNS1_3repE0EEENS1_30default_config_static_selectorELNS0_4arch9wavefront6targetE1EEEvT1_,comdat
.Lfunc_end799:
	.size	_ZN7rocprim17ROCPRIM_400000_NS6detail17trampoline_kernelINS0_14default_configENS1_20scan_config_selectorIiEEZZNS1_9scan_implILNS1_25lookback_scan_determinismE0ELb0ELb1ES3_N6thrust23THRUST_200600_302600_NS6detail15normal_iteratorINS9_10device_ptrIiEEEESE_iNS9_4plusIiEEiEEDaPvRmT3_T4_T5_mT6_P12ihipStream_tbENKUlT_T0_E_clISt17integral_constantIbLb0EEST_IbLb1EEEEDaSP_SQ_EUlSP_E0_NS1_11comp_targetILNS1_3genE2ELNS1_11target_archE906ELNS1_3gpuE6ELNS1_3repE0EEENS1_30default_config_static_selectorELNS0_4arch9wavefront6targetE1EEEvT1_, .Lfunc_end799-_ZN7rocprim17ROCPRIM_400000_NS6detail17trampoline_kernelINS0_14default_configENS1_20scan_config_selectorIiEEZZNS1_9scan_implILNS1_25lookback_scan_determinismE0ELb0ELb1ES3_N6thrust23THRUST_200600_302600_NS6detail15normal_iteratorINS9_10device_ptrIiEEEESE_iNS9_4plusIiEEiEEDaPvRmT3_T4_T5_mT6_P12ihipStream_tbENKUlT_T0_E_clISt17integral_constantIbLb0EEST_IbLb1EEEEDaSP_SQ_EUlSP_E0_NS1_11comp_targetILNS1_3genE2ELNS1_11target_archE906ELNS1_3gpuE6ELNS1_3repE0EEENS1_30default_config_static_selectorELNS0_4arch9wavefront6targetE1EEEvT1_
                                        ; -- End function
	.section	.AMDGPU.csdata,"",@progbits
; Kernel info:
; codeLenInByte = 0
; NumSgprs: 4
; NumVgprs: 0
; NumAgprs: 0
; TotalNumVgprs: 0
; ScratchSize: 0
; MemoryBound: 0
; FloatMode: 240
; IeeeMode: 1
; LDSByteSize: 0 bytes/workgroup (compile time only)
; SGPRBlocks: 0
; VGPRBlocks: 0
; NumSGPRsForWavesPerEU: 4
; NumVGPRsForWavesPerEU: 1
; AccumOffset: 4
; Occupancy: 8
; WaveLimiterHint : 0
; COMPUTE_PGM_RSRC2:SCRATCH_EN: 0
; COMPUTE_PGM_RSRC2:USER_SGPR: 6
; COMPUTE_PGM_RSRC2:TRAP_HANDLER: 0
; COMPUTE_PGM_RSRC2:TGID_X_EN: 1
; COMPUTE_PGM_RSRC2:TGID_Y_EN: 0
; COMPUTE_PGM_RSRC2:TGID_Z_EN: 0
; COMPUTE_PGM_RSRC2:TIDIG_COMP_CNT: 0
; COMPUTE_PGM_RSRC3_GFX90A:ACCUM_OFFSET: 0
; COMPUTE_PGM_RSRC3_GFX90A:TG_SPLIT: 0
	.section	.text._ZN7rocprim17ROCPRIM_400000_NS6detail17trampoline_kernelINS0_14default_configENS1_20scan_config_selectorIiEEZZNS1_9scan_implILNS1_25lookback_scan_determinismE0ELb0ELb1ES3_N6thrust23THRUST_200600_302600_NS6detail15normal_iteratorINS9_10device_ptrIiEEEESE_iNS9_4plusIiEEiEEDaPvRmT3_T4_T5_mT6_P12ihipStream_tbENKUlT_T0_E_clISt17integral_constantIbLb0EEST_IbLb1EEEEDaSP_SQ_EUlSP_E0_NS1_11comp_targetILNS1_3genE10ELNS1_11target_archE1201ELNS1_3gpuE5ELNS1_3repE0EEENS1_30default_config_static_selectorELNS0_4arch9wavefront6targetE1EEEvT1_,"axG",@progbits,_ZN7rocprim17ROCPRIM_400000_NS6detail17trampoline_kernelINS0_14default_configENS1_20scan_config_selectorIiEEZZNS1_9scan_implILNS1_25lookback_scan_determinismE0ELb0ELb1ES3_N6thrust23THRUST_200600_302600_NS6detail15normal_iteratorINS9_10device_ptrIiEEEESE_iNS9_4plusIiEEiEEDaPvRmT3_T4_T5_mT6_P12ihipStream_tbENKUlT_T0_E_clISt17integral_constantIbLb0EEST_IbLb1EEEEDaSP_SQ_EUlSP_E0_NS1_11comp_targetILNS1_3genE10ELNS1_11target_archE1201ELNS1_3gpuE5ELNS1_3repE0EEENS1_30default_config_static_selectorELNS0_4arch9wavefront6targetE1EEEvT1_,comdat
	.protected	_ZN7rocprim17ROCPRIM_400000_NS6detail17trampoline_kernelINS0_14default_configENS1_20scan_config_selectorIiEEZZNS1_9scan_implILNS1_25lookback_scan_determinismE0ELb0ELb1ES3_N6thrust23THRUST_200600_302600_NS6detail15normal_iteratorINS9_10device_ptrIiEEEESE_iNS9_4plusIiEEiEEDaPvRmT3_T4_T5_mT6_P12ihipStream_tbENKUlT_T0_E_clISt17integral_constantIbLb0EEST_IbLb1EEEEDaSP_SQ_EUlSP_E0_NS1_11comp_targetILNS1_3genE10ELNS1_11target_archE1201ELNS1_3gpuE5ELNS1_3repE0EEENS1_30default_config_static_selectorELNS0_4arch9wavefront6targetE1EEEvT1_ ; -- Begin function _ZN7rocprim17ROCPRIM_400000_NS6detail17trampoline_kernelINS0_14default_configENS1_20scan_config_selectorIiEEZZNS1_9scan_implILNS1_25lookback_scan_determinismE0ELb0ELb1ES3_N6thrust23THRUST_200600_302600_NS6detail15normal_iteratorINS9_10device_ptrIiEEEESE_iNS9_4plusIiEEiEEDaPvRmT3_T4_T5_mT6_P12ihipStream_tbENKUlT_T0_E_clISt17integral_constantIbLb0EEST_IbLb1EEEEDaSP_SQ_EUlSP_E0_NS1_11comp_targetILNS1_3genE10ELNS1_11target_archE1201ELNS1_3gpuE5ELNS1_3repE0EEENS1_30default_config_static_selectorELNS0_4arch9wavefront6targetE1EEEvT1_
	.globl	_ZN7rocprim17ROCPRIM_400000_NS6detail17trampoline_kernelINS0_14default_configENS1_20scan_config_selectorIiEEZZNS1_9scan_implILNS1_25lookback_scan_determinismE0ELb0ELb1ES3_N6thrust23THRUST_200600_302600_NS6detail15normal_iteratorINS9_10device_ptrIiEEEESE_iNS9_4plusIiEEiEEDaPvRmT3_T4_T5_mT6_P12ihipStream_tbENKUlT_T0_E_clISt17integral_constantIbLb0EEST_IbLb1EEEEDaSP_SQ_EUlSP_E0_NS1_11comp_targetILNS1_3genE10ELNS1_11target_archE1201ELNS1_3gpuE5ELNS1_3repE0EEENS1_30default_config_static_selectorELNS0_4arch9wavefront6targetE1EEEvT1_
	.p2align	8
	.type	_ZN7rocprim17ROCPRIM_400000_NS6detail17trampoline_kernelINS0_14default_configENS1_20scan_config_selectorIiEEZZNS1_9scan_implILNS1_25lookback_scan_determinismE0ELb0ELb1ES3_N6thrust23THRUST_200600_302600_NS6detail15normal_iteratorINS9_10device_ptrIiEEEESE_iNS9_4plusIiEEiEEDaPvRmT3_T4_T5_mT6_P12ihipStream_tbENKUlT_T0_E_clISt17integral_constantIbLb0EEST_IbLb1EEEEDaSP_SQ_EUlSP_E0_NS1_11comp_targetILNS1_3genE10ELNS1_11target_archE1201ELNS1_3gpuE5ELNS1_3repE0EEENS1_30default_config_static_selectorELNS0_4arch9wavefront6targetE1EEEvT1_,@function
_ZN7rocprim17ROCPRIM_400000_NS6detail17trampoline_kernelINS0_14default_configENS1_20scan_config_selectorIiEEZZNS1_9scan_implILNS1_25lookback_scan_determinismE0ELb0ELb1ES3_N6thrust23THRUST_200600_302600_NS6detail15normal_iteratorINS9_10device_ptrIiEEEESE_iNS9_4plusIiEEiEEDaPvRmT3_T4_T5_mT6_P12ihipStream_tbENKUlT_T0_E_clISt17integral_constantIbLb0EEST_IbLb1EEEEDaSP_SQ_EUlSP_E0_NS1_11comp_targetILNS1_3genE10ELNS1_11target_archE1201ELNS1_3gpuE5ELNS1_3repE0EEENS1_30default_config_static_selectorELNS0_4arch9wavefront6targetE1EEEvT1_: ; @_ZN7rocprim17ROCPRIM_400000_NS6detail17trampoline_kernelINS0_14default_configENS1_20scan_config_selectorIiEEZZNS1_9scan_implILNS1_25lookback_scan_determinismE0ELb0ELb1ES3_N6thrust23THRUST_200600_302600_NS6detail15normal_iteratorINS9_10device_ptrIiEEEESE_iNS9_4plusIiEEiEEDaPvRmT3_T4_T5_mT6_P12ihipStream_tbENKUlT_T0_E_clISt17integral_constantIbLb0EEST_IbLb1EEEEDaSP_SQ_EUlSP_E0_NS1_11comp_targetILNS1_3genE10ELNS1_11target_archE1201ELNS1_3gpuE5ELNS1_3repE0EEENS1_30default_config_static_selectorELNS0_4arch9wavefront6targetE1EEEvT1_
; %bb.0:
	.section	.rodata,"a",@progbits
	.p2align	6, 0x0
	.amdhsa_kernel _ZN7rocprim17ROCPRIM_400000_NS6detail17trampoline_kernelINS0_14default_configENS1_20scan_config_selectorIiEEZZNS1_9scan_implILNS1_25lookback_scan_determinismE0ELb0ELb1ES3_N6thrust23THRUST_200600_302600_NS6detail15normal_iteratorINS9_10device_ptrIiEEEESE_iNS9_4plusIiEEiEEDaPvRmT3_T4_T5_mT6_P12ihipStream_tbENKUlT_T0_E_clISt17integral_constantIbLb0EEST_IbLb1EEEEDaSP_SQ_EUlSP_E0_NS1_11comp_targetILNS1_3genE10ELNS1_11target_archE1201ELNS1_3gpuE5ELNS1_3repE0EEENS1_30default_config_static_selectorELNS0_4arch9wavefront6targetE1EEEvT1_
		.amdhsa_group_segment_fixed_size 0
		.amdhsa_private_segment_fixed_size 0
		.amdhsa_kernarg_size 32
		.amdhsa_user_sgpr_count 6
		.amdhsa_user_sgpr_private_segment_buffer 1
		.amdhsa_user_sgpr_dispatch_ptr 0
		.amdhsa_user_sgpr_queue_ptr 0
		.amdhsa_user_sgpr_kernarg_segment_ptr 1
		.amdhsa_user_sgpr_dispatch_id 0
		.amdhsa_user_sgpr_flat_scratch_init 0
		.amdhsa_user_sgpr_kernarg_preload_length 0
		.amdhsa_user_sgpr_kernarg_preload_offset 0
		.amdhsa_user_sgpr_private_segment_size 0
		.amdhsa_uses_dynamic_stack 0
		.amdhsa_system_sgpr_private_segment_wavefront_offset 0
		.amdhsa_system_sgpr_workgroup_id_x 1
		.amdhsa_system_sgpr_workgroup_id_y 0
		.amdhsa_system_sgpr_workgroup_id_z 0
		.amdhsa_system_sgpr_workgroup_info 0
		.amdhsa_system_vgpr_workitem_id 0
		.amdhsa_next_free_vgpr 1
		.amdhsa_next_free_sgpr 0
		.amdhsa_accum_offset 4
		.amdhsa_reserve_vcc 0
		.amdhsa_reserve_flat_scratch 0
		.amdhsa_float_round_mode_32 0
		.amdhsa_float_round_mode_16_64 0
		.amdhsa_float_denorm_mode_32 3
		.amdhsa_float_denorm_mode_16_64 3
		.amdhsa_dx10_clamp 1
		.amdhsa_ieee_mode 1
		.amdhsa_fp16_overflow 0
		.amdhsa_tg_split 0
		.amdhsa_exception_fp_ieee_invalid_op 0
		.amdhsa_exception_fp_denorm_src 0
		.amdhsa_exception_fp_ieee_div_zero 0
		.amdhsa_exception_fp_ieee_overflow 0
		.amdhsa_exception_fp_ieee_underflow 0
		.amdhsa_exception_fp_ieee_inexact 0
		.amdhsa_exception_int_div_zero 0
	.end_amdhsa_kernel
	.section	.text._ZN7rocprim17ROCPRIM_400000_NS6detail17trampoline_kernelINS0_14default_configENS1_20scan_config_selectorIiEEZZNS1_9scan_implILNS1_25lookback_scan_determinismE0ELb0ELb1ES3_N6thrust23THRUST_200600_302600_NS6detail15normal_iteratorINS9_10device_ptrIiEEEESE_iNS9_4plusIiEEiEEDaPvRmT3_T4_T5_mT6_P12ihipStream_tbENKUlT_T0_E_clISt17integral_constantIbLb0EEST_IbLb1EEEEDaSP_SQ_EUlSP_E0_NS1_11comp_targetILNS1_3genE10ELNS1_11target_archE1201ELNS1_3gpuE5ELNS1_3repE0EEENS1_30default_config_static_selectorELNS0_4arch9wavefront6targetE1EEEvT1_,"axG",@progbits,_ZN7rocprim17ROCPRIM_400000_NS6detail17trampoline_kernelINS0_14default_configENS1_20scan_config_selectorIiEEZZNS1_9scan_implILNS1_25lookback_scan_determinismE0ELb0ELb1ES3_N6thrust23THRUST_200600_302600_NS6detail15normal_iteratorINS9_10device_ptrIiEEEESE_iNS9_4plusIiEEiEEDaPvRmT3_T4_T5_mT6_P12ihipStream_tbENKUlT_T0_E_clISt17integral_constantIbLb0EEST_IbLb1EEEEDaSP_SQ_EUlSP_E0_NS1_11comp_targetILNS1_3genE10ELNS1_11target_archE1201ELNS1_3gpuE5ELNS1_3repE0EEENS1_30default_config_static_selectorELNS0_4arch9wavefront6targetE1EEEvT1_,comdat
.Lfunc_end800:
	.size	_ZN7rocprim17ROCPRIM_400000_NS6detail17trampoline_kernelINS0_14default_configENS1_20scan_config_selectorIiEEZZNS1_9scan_implILNS1_25lookback_scan_determinismE0ELb0ELb1ES3_N6thrust23THRUST_200600_302600_NS6detail15normal_iteratorINS9_10device_ptrIiEEEESE_iNS9_4plusIiEEiEEDaPvRmT3_T4_T5_mT6_P12ihipStream_tbENKUlT_T0_E_clISt17integral_constantIbLb0EEST_IbLb1EEEEDaSP_SQ_EUlSP_E0_NS1_11comp_targetILNS1_3genE10ELNS1_11target_archE1201ELNS1_3gpuE5ELNS1_3repE0EEENS1_30default_config_static_selectorELNS0_4arch9wavefront6targetE1EEEvT1_, .Lfunc_end800-_ZN7rocprim17ROCPRIM_400000_NS6detail17trampoline_kernelINS0_14default_configENS1_20scan_config_selectorIiEEZZNS1_9scan_implILNS1_25lookback_scan_determinismE0ELb0ELb1ES3_N6thrust23THRUST_200600_302600_NS6detail15normal_iteratorINS9_10device_ptrIiEEEESE_iNS9_4plusIiEEiEEDaPvRmT3_T4_T5_mT6_P12ihipStream_tbENKUlT_T0_E_clISt17integral_constantIbLb0EEST_IbLb1EEEEDaSP_SQ_EUlSP_E0_NS1_11comp_targetILNS1_3genE10ELNS1_11target_archE1201ELNS1_3gpuE5ELNS1_3repE0EEENS1_30default_config_static_selectorELNS0_4arch9wavefront6targetE1EEEvT1_
                                        ; -- End function
	.section	.AMDGPU.csdata,"",@progbits
; Kernel info:
; codeLenInByte = 0
; NumSgprs: 4
; NumVgprs: 0
; NumAgprs: 0
; TotalNumVgprs: 0
; ScratchSize: 0
; MemoryBound: 0
; FloatMode: 240
; IeeeMode: 1
; LDSByteSize: 0 bytes/workgroup (compile time only)
; SGPRBlocks: 0
; VGPRBlocks: 0
; NumSGPRsForWavesPerEU: 4
; NumVGPRsForWavesPerEU: 1
; AccumOffset: 4
; Occupancy: 8
; WaveLimiterHint : 0
; COMPUTE_PGM_RSRC2:SCRATCH_EN: 0
; COMPUTE_PGM_RSRC2:USER_SGPR: 6
; COMPUTE_PGM_RSRC2:TRAP_HANDLER: 0
; COMPUTE_PGM_RSRC2:TGID_X_EN: 1
; COMPUTE_PGM_RSRC2:TGID_Y_EN: 0
; COMPUTE_PGM_RSRC2:TGID_Z_EN: 0
; COMPUTE_PGM_RSRC2:TIDIG_COMP_CNT: 0
; COMPUTE_PGM_RSRC3_GFX90A:ACCUM_OFFSET: 0
; COMPUTE_PGM_RSRC3_GFX90A:TG_SPLIT: 0
	.section	.text._ZN7rocprim17ROCPRIM_400000_NS6detail17trampoline_kernelINS0_14default_configENS1_20scan_config_selectorIiEEZZNS1_9scan_implILNS1_25lookback_scan_determinismE0ELb0ELb1ES3_N6thrust23THRUST_200600_302600_NS6detail15normal_iteratorINS9_10device_ptrIiEEEESE_iNS9_4plusIiEEiEEDaPvRmT3_T4_T5_mT6_P12ihipStream_tbENKUlT_T0_E_clISt17integral_constantIbLb0EEST_IbLb1EEEEDaSP_SQ_EUlSP_E0_NS1_11comp_targetILNS1_3genE10ELNS1_11target_archE1200ELNS1_3gpuE4ELNS1_3repE0EEENS1_30default_config_static_selectorELNS0_4arch9wavefront6targetE1EEEvT1_,"axG",@progbits,_ZN7rocprim17ROCPRIM_400000_NS6detail17trampoline_kernelINS0_14default_configENS1_20scan_config_selectorIiEEZZNS1_9scan_implILNS1_25lookback_scan_determinismE0ELb0ELb1ES3_N6thrust23THRUST_200600_302600_NS6detail15normal_iteratorINS9_10device_ptrIiEEEESE_iNS9_4plusIiEEiEEDaPvRmT3_T4_T5_mT6_P12ihipStream_tbENKUlT_T0_E_clISt17integral_constantIbLb0EEST_IbLb1EEEEDaSP_SQ_EUlSP_E0_NS1_11comp_targetILNS1_3genE10ELNS1_11target_archE1200ELNS1_3gpuE4ELNS1_3repE0EEENS1_30default_config_static_selectorELNS0_4arch9wavefront6targetE1EEEvT1_,comdat
	.protected	_ZN7rocprim17ROCPRIM_400000_NS6detail17trampoline_kernelINS0_14default_configENS1_20scan_config_selectorIiEEZZNS1_9scan_implILNS1_25lookback_scan_determinismE0ELb0ELb1ES3_N6thrust23THRUST_200600_302600_NS6detail15normal_iteratorINS9_10device_ptrIiEEEESE_iNS9_4plusIiEEiEEDaPvRmT3_T4_T5_mT6_P12ihipStream_tbENKUlT_T0_E_clISt17integral_constantIbLb0EEST_IbLb1EEEEDaSP_SQ_EUlSP_E0_NS1_11comp_targetILNS1_3genE10ELNS1_11target_archE1200ELNS1_3gpuE4ELNS1_3repE0EEENS1_30default_config_static_selectorELNS0_4arch9wavefront6targetE1EEEvT1_ ; -- Begin function _ZN7rocprim17ROCPRIM_400000_NS6detail17trampoline_kernelINS0_14default_configENS1_20scan_config_selectorIiEEZZNS1_9scan_implILNS1_25lookback_scan_determinismE0ELb0ELb1ES3_N6thrust23THRUST_200600_302600_NS6detail15normal_iteratorINS9_10device_ptrIiEEEESE_iNS9_4plusIiEEiEEDaPvRmT3_T4_T5_mT6_P12ihipStream_tbENKUlT_T0_E_clISt17integral_constantIbLb0EEST_IbLb1EEEEDaSP_SQ_EUlSP_E0_NS1_11comp_targetILNS1_3genE10ELNS1_11target_archE1200ELNS1_3gpuE4ELNS1_3repE0EEENS1_30default_config_static_selectorELNS0_4arch9wavefront6targetE1EEEvT1_
	.globl	_ZN7rocprim17ROCPRIM_400000_NS6detail17trampoline_kernelINS0_14default_configENS1_20scan_config_selectorIiEEZZNS1_9scan_implILNS1_25lookback_scan_determinismE0ELb0ELb1ES3_N6thrust23THRUST_200600_302600_NS6detail15normal_iteratorINS9_10device_ptrIiEEEESE_iNS9_4plusIiEEiEEDaPvRmT3_T4_T5_mT6_P12ihipStream_tbENKUlT_T0_E_clISt17integral_constantIbLb0EEST_IbLb1EEEEDaSP_SQ_EUlSP_E0_NS1_11comp_targetILNS1_3genE10ELNS1_11target_archE1200ELNS1_3gpuE4ELNS1_3repE0EEENS1_30default_config_static_selectorELNS0_4arch9wavefront6targetE1EEEvT1_
	.p2align	8
	.type	_ZN7rocprim17ROCPRIM_400000_NS6detail17trampoline_kernelINS0_14default_configENS1_20scan_config_selectorIiEEZZNS1_9scan_implILNS1_25lookback_scan_determinismE0ELb0ELb1ES3_N6thrust23THRUST_200600_302600_NS6detail15normal_iteratorINS9_10device_ptrIiEEEESE_iNS9_4plusIiEEiEEDaPvRmT3_T4_T5_mT6_P12ihipStream_tbENKUlT_T0_E_clISt17integral_constantIbLb0EEST_IbLb1EEEEDaSP_SQ_EUlSP_E0_NS1_11comp_targetILNS1_3genE10ELNS1_11target_archE1200ELNS1_3gpuE4ELNS1_3repE0EEENS1_30default_config_static_selectorELNS0_4arch9wavefront6targetE1EEEvT1_,@function
_ZN7rocprim17ROCPRIM_400000_NS6detail17trampoline_kernelINS0_14default_configENS1_20scan_config_selectorIiEEZZNS1_9scan_implILNS1_25lookback_scan_determinismE0ELb0ELb1ES3_N6thrust23THRUST_200600_302600_NS6detail15normal_iteratorINS9_10device_ptrIiEEEESE_iNS9_4plusIiEEiEEDaPvRmT3_T4_T5_mT6_P12ihipStream_tbENKUlT_T0_E_clISt17integral_constantIbLb0EEST_IbLb1EEEEDaSP_SQ_EUlSP_E0_NS1_11comp_targetILNS1_3genE10ELNS1_11target_archE1200ELNS1_3gpuE4ELNS1_3repE0EEENS1_30default_config_static_selectorELNS0_4arch9wavefront6targetE1EEEvT1_: ; @_ZN7rocprim17ROCPRIM_400000_NS6detail17trampoline_kernelINS0_14default_configENS1_20scan_config_selectorIiEEZZNS1_9scan_implILNS1_25lookback_scan_determinismE0ELb0ELb1ES3_N6thrust23THRUST_200600_302600_NS6detail15normal_iteratorINS9_10device_ptrIiEEEESE_iNS9_4plusIiEEiEEDaPvRmT3_T4_T5_mT6_P12ihipStream_tbENKUlT_T0_E_clISt17integral_constantIbLb0EEST_IbLb1EEEEDaSP_SQ_EUlSP_E0_NS1_11comp_targetILNS1_3genE10ELNS1_11target_archE1200ELNS1_3gpuE4ELNS1_3repE0EEENS1_30default_config_static_selectorELNS0_4arch9wavefront6targetE1EEEvT1_
; %bb.0:
	.section	.rodata,"a",@progbits
	.p2align	6, 0x0
	.amdhsa_kernel _ZN7rocprim17ROCPRIM_400000_NS6detail17trampoline_kernelINS0_14default_configENS1_20scan_config_selectorIiEEZZNS1_9scan_implILNS1_25lookback_scan_determinismE0ELb0ELb1ES3_N6thrust23THRUST_200600_302600_NS6detail15normal_iteratorINS9_10device_ptrIiEEEESE_iNS9_4plusIiEEiEEDaPvRmT3_T4_T5_mT6_P12ihipStream_tbENKUlT_T0_E_clISt17integral_constantIbLb0EEST_IbLb1EEEEDaSP_SQ_EUlSP_E0_NS1_11comp_targetILNS1_3genE10ELNS1_11target_archE1200ELNS1_3gpuE4ELNS1_3repE0EEENS1_30default_config_static_selectorELNS0_4arch9wavefront6targetE1EEEvT1_
		.amdhsa_group_segment_fixed_size 0
		.amdhsa_private_segment_fixed_size 0
		.amdhsa_kernarg_size 32
		.amdhsa_user_sgpr_count 6
		.amdhsa_user_sgpr_private_segment_buffer 1
		.amdhsa_user_sgpr_dispatch_ptr 0
		.amdhsa_user_sgpr_queue_ptr 0
		.amdhsa_user_sgpr_kernarg_segment_ptr 1
		.amdhsa_user_sgpr_dispatch_id 0
		.amdhsa_user_sgpr_flat_scratch_init 0
		.amdhsa_user_sgpr_kernarg_preload_length 0
		.amdhsa_user_sgpr_kernarg_preload_offset 0
		.amdhsa_user_sgpr_private_segment_size 0
		.amdhsa_uses_dynamic_stack 0
		.amdhsa_system_sgpr_private_segment_wavefront_offset 0
		.amdhsa_system_sgpr_workgroup_id_x 1
		.amdhsa_system_sgpr_workgroup_id_y 0
		.amdhsa_system_sgpr_workgroup_id_z 0
		.amdhsa_system_sgpr_workgroup_info 0
		.amdhsa_system_vgpr_workitem_id 0
		.amdhsa_next_free_vgpr 1
		.amdhsa_next_free_sgpr 0
		.amdhsa_accum_offset 4
		.amdhsa_reserve_vcc 0
		.amdhsa_reserve_flat_scratch 0
		.amdhsa_float_round_mode_32 0
		.amdhsa_float_round_mode_16_64 0
		.amdhsa_float_denorm_mode_32 3
		.amdhsa_float_denorm_mode_16_64 3
		.amdhsa_dx10_clamp 1
		.amdhsa_ieee_mode 1
		.amdhsa_fp16_overflow 0
		.amdhsa_tg_split 0
		.amdhsa_exception_fp_ieee_invalid_op 0
		.amdhsa_exception_fp_denorm_src 0
		.amdhsa_exception_fp_ieee_div_zero 0
		.amdhsa_exception_fp_ieee_overflow 0
		.amdhsa_exception_fp_ieee_underflow 0
		.amdhsa_exception_fp_ieee_inexact 0
		.amdhsa_exception_int_div_zero 0
	.end_amdhsa_kernel
	.section	.text._ZN7rocprim17ROCPRIM_400000_NS6detail17trampoline_kernelINS0_14default_configENS1_20scan_config_selectorIiEEZZNS1_9scan_implILNS1_25lookback_scan_determinismE0ELb0ELb1ES3_N6thrust23THRUST_200600_302600_NS6detail15normal_iteratorINS9_10device_ptrIiEEEESE_iNS9_4plusIiEEiEEDaPvRmT3_T4_T5_mT6_P12ihipStream_tbENKUlT_T0_E_clISt17integral_constantIbLb0EEST_IbLb1EEEEDaSP_SQ_EUlSP_E0_NS1_11comp_targetILNS1_3genE10ELNS1_11target_archE1200ELNS1_3gpuE4ELNS1_3repE0EEENS1_30default_config_static_selectorELNS0_4arch9wavefront6targetE1EEEvT1_,"axG",@progbits,_ZN7rocprim17ROCPRIM_400000_NS6detail17trampoline_kernelINS0_14default_configENS1_20scan_config_selectorIiEEZZNS1_9scan_implILNS1_25lookback_scan_determinismE0ELb0ELb1ES3_N6thrust23THRUST_200600_302600_NS6detail15normal_iteratorINS9_10device_ptrIiEEEESE_iNS9_4plusIiEEiEEDaPvRmT3_T4_T5_mT6_P12ihipStream_tbENKUlT_T0_E_clISt17integral_constantIbLb0EEST_IbLb1EEEEDaSP_SQ_EUlSP_E0_NS1_11comp_targetILNS1_3genE10ELNS1_11target_archE1200ELNS1_3gpuE4ELNS1_3repE0EEENS1_30default_config_static_selectorELNS0_4arch9wavefront6targetE1EEEvT1_,comdat
.Lfunc_end801:
	.size	_ZN7rocprim17ROCPRIM_400000_NS6detail17trampoline_kernelINS0_14default_configENS1_20scan_config_selectorIiEEZZNS1_9scan_implILNS1_25lookback_scan_determinismE0ELb0ELb1ES3_N6thrust23THRUST_200600_302600_NS6detail15normal_iteratorINS9_10device_ptrIiEEEESE_iNS9_4plusIiEEiEEDaPvRmT3_T4_T5_mT6_P12ihipStream_tbENKUlT_T0_E_clISt17integral_constantIbLb0EEST_IbLb1EEEEDaSP_SQ_EUlSP_E0_NS1_11comp_targetILNS1_3genE10ELNS1_11target_archE1200ELNS1_3gpuE4ELNS1_3repE0EEENS1_30default_config_static_selectorELNS0_4arch9wavefront6targetE1EEEvT1_, .Lfunc_end801-_ZN7rocprim17ROCPRIM_400000_NS6detail17trampoline_kernelINS0_14default_configENS1_20scan_config_selectorIiEEZZNS1_9scan_implILNS1_25lookback_scan_determinismE0ELb0ELb1ES3_N6thrust23THRUST_200600_302600_NS6detail15normal_iteratorINS9_10device_ptrIiEEEESE_iNS9_4plusIiEEiEEDaPvRmT3_T4_T5_mT6_P12ihipStream_tbENKUlT_T0_E_clISt17integral_constantIbLb0EEST_IbLb1EEEEDaSP_SQ_EUlSP_E0_NS1_11comp_targetILNS1_3genE10ELNS1_11target_archE1200ELNS1_3gpuE4ELNS1_3repE0EEENS1_30default_config_static_selectorELNS0_4arch9wavefront6targetE1EEEvT1_
                                        ; -- End function
	.section	.AMDGPU.csdata,"",@progbits
; Kernel info:
; codeLenInByte = 0
; NumSgprs: 4
; NumVgprs: 0
; NumAgprs: 0
; TotalNumVgprs: 0
; ScratchSize: 0
; MemoryBound: 0
; FloatMode: 240
; IeeeMode: 1
; LDSByteSize: 0 bytes/workgroup (compile time only)
; SGPRBlocks: 0
; VGPRBlocks: 0
; NumSGPRsForWavesPerEU: 4
; NumVGPRsForWavesPerEU: 1
; AccumOffset: 4
; Occupancy: 8
; WaveLimiterHint : 0
; COMPUTE_PGM_RSRC2:SCRATCH_EN: 0
; COMPUTE_PGM_RSRC2:USER_SGPR: 6
; COMPUTE_PGM_RSRC2:TRAP_HANDLER: 0
; COMPUTE_PGM_RSRC2:TGID_X_EN: 1
; COMPUTE_PGM_RSRC2:TGID_Y_EN: 0
; COMPUTE_PGM_RSRC2:TGID_Z_EN: 0
; COMPUTE_PGM_RSRC2:TIDIG_COMP_CNT: 0
; COMPUTE_PGM_RSRC3_GFX90A:ACCUM_OFFSET: 0
; COMPUTE_PGM_RSRC3_GFX90A:TG_SPLIT: 0
	.section	.text._ZN7rocprim17ROCPRIM_400000_NS6detail17trampoline_kernelINS0_14default_configENS1_20scan_config_selectorIiEEZZNS1_9scan_implILNS1_25lookback_scan_determinismE0ELb0ELb1ES3_N6thrust23THRUST_200600_302600_NS6detail15normal_iteratorINS9_10device_ptrIiEEEESE_iNS9_4plusIiEEiEEDaPvRmT3_T4_T5_mT6_P12ihipStream_tbENKUlT_T0_E_clISt17integral_constantIbLb0EEST_IbLb1EEEEDaSP_SQ_EUlSP_E0_NS1_11comp_targetILNS1_3genE9ELNS1_11target_archE1100ELNS1_3gpuE3ELNS1_3repE0EEENS1_30default_config_static_selectorELNS0_4arch9wavefront6targetE1EEEvT1_,"axG",@progbits,_ZN7rocprim17ROCPRIM_400000_NS6detail17trampoline_kernelINS0_14default_configENS1_20scan_config_selectorIiEEZZNS1_9scan_implILNS1_25lookback_scan_determinismE0ELb0ELb1ES3_N6thrust23THRUST_200600_302600_NS6detail15normal_iteratorINS9_10device_ptrIiEEEESE_iNS9_4plusIiEEiEEDaPvRmT3_T4_T5_mT6_P12ihipStream_tbENKUlT_T0_E_clISt17integral_constantIbLb0EEST_IbLb1EEEEDaSP_SQ_EUlSP_E0_NS1_11comp_targetILNS1_3genE9ELNS1_11target_archE1100ELNS1_3gpuE3ELNS1_3repE0EEENS1_30default_config_static_selectorELNS0_4arch9wavefront6targetE1EEEvT1_,comdat
	.protected	_ZN7rocprim17ROCPRIM_400000_NS6detail17trampoline_kernelINS0_14default_configENS1_20scan_config_selectorIiEEZZNS1_9scan_implILNS1_25lookback_scan_determinismE0ELb0ELb1ES3_N6thrust23THRUST_200600_302600_NS6detail15normal_iteratorINS9_10device_ptrIiEEEESE_iNS9_4plusIiEEiEEDaPvRmT3_T4_T5_mT6_P12ihipStream_tbENKUlT_T0_E_clISt17integral_constantIbLb0EEST_IbLb1EEEEDaSP_SQ_EUlSP_E0_NS1_11comp_targetILNS1_3genE9ELNS1_11target_archE1100ELNS1_3gpuE3ELNS1_3repE0EEENS1_30default_config_static_selectorELNS0_4arch9wavefront6targetE1EEEvT1_ ; -- Begin function _ZN7rocprim17ROCPRIM_400000_NS6detail17trampoline_kernelINS0_14default_configENS1_20scan_config_selectorIiEEZZNS1_9scan_implILNS1_25lookback_scan_determinismE0ELb0ELb1ES3_N6thrust23THRUST_200600_302600_NS6detail15normal_iteratorINS9_10device_ptrIiEEEESE_iNS9_4plusIiEEiEEDaPvRmT3_T4_T5_mT6_P12ihipStream_tbENKUlT_T0_E_clISt17integral_constantIbLb0EEST_IbLb1EEEEDaSP_SQ_EUlSP_E0_NS1_11comp_targetILNS1_3genE9ELNS1_11target_archE1100ELNS1_3gpuE3ELNS1_3repE0EEENS1_30default_config_static_selectorELNS0_4arch9wavefront6targetE1EEEvT1_
	.globl	_ZN7rocprim17ROCPRIM_400000_NS6detail17trampoline_kernelINS0_14default_configENS1_20scan_config_selectorIiEEZZNS1_9scan_implILNS1_25lookback_scan_determinismE0ELb0ELb1ES3_N6thrust23THRUST_200600_302600_NS6detail15normal_iteratorINS9_10device_ptrIiEEEESE_iNS9_4plusIiEEiEEDaPvRmT3_T4_T5_mT6_P12ihipStream_tbENKUlT_T0_E_clISt17integral_constantIbLb0EEST_IbLb1EEEEDaSP_SQ_EUlSP_E0_NS1_11comp_targetILNS1_3genE9ELNS1_11target_archE1100ELNS1_3gpuE3ELNS1_3repE0EEENS1_30default_config_static_selectorELNS0_4arch9wavefront6targetE1EEEvT1_
	.p2align	8
	.type	_ZN7rocprim17ROCPRIM_400000_NS6detail17trampoline_kernelINS0_14default_configENS1_20scan_config_selectorIiEEZZNS1_9scan_implILNS1_25lookback_scan_determinismE0ELb0ELb1ES3_N6thrust23THRUST_200600_302600_NS6detail15normal_iteratorINS9_10device_ptrIiEEEESE_iNS9_4plusIiEEiEEDaPvRmT3_T4_T5_mT6_P12ihipStream_tbENKUlT_T0_E_clISt17integral_constantIbLb0EEST_IbLb1EEEEDaSP_SQ_EUlSP_E0_NS1_11comp_targetILNS1_3genE9ELNS1_11target_archE1100ELNS1_3gpuE3ELNS1_3repE0EEENS1_30default_config_static_selectorELNS0_4arch9wavefront6targetE1EEEvT1_,@function
_ZN7rocprim17ROCPRIM_400000_NS6detail17trampoline_kernelINS0_14default_configENS1_20scan_config_selectorIiEEZZNS1_9scan_implILNS1_25lookback_scan_determinismE0ELb0ELb1ES3_N6thrust23THRUST_200600_302600_NS6detail15normal_iteratorINS9_10device_ptrIiEEEESE_iNS9_4plusIiEEiEEDaPvRmT3_T4_T5_mT6_P12ihipStream_tbENKUlT_T0_E_clISt17integral_constantIbLb0EEST_IbLb1EEEEDaSP_SQ_EUlSP_E0_NS1_11comp_targetILNS1_3genE9ELNS1_11target_archE1100ELNS1_3gpuE3ELNS1_3repE0EEENS1_30default_config_static_selectorELNS0_4arch9wavefront6targetE1EEEvT1_: ; @_ZN7rocprim17ROCPRIM_400000_NS6detail17trampoline_kernelINS0_14default_configENS1_20scan_config_selectorIiEEZZNS1_9scan_implILNS1_25lookback_scan_determinismE0ELb0ELb1ES3_N6thrust23THRUST_200600_302600_NS6detail15normal_iteratorINS9_10device_ptrIiEEEESE_iNS9_4plusIiEEiEEDaPvRmT3_T4_T5_mT6_P12ihipStream_tbENKUlT_T0_E_clISt17integral_constantIbLb0EEST_IbLb1EEEEDaSP_SQ_EUlSP_E0_NS1_11comp_targetILNS1_3genE9ELNS1_11target_archE1100ELNS1_3gpuE3ELNS1_3repE0EEENS1_30default_config_static_selectorELNS0_4arch9wavefront6targetE1EEEvT1_
; %bb.0:
	.section	.rodata,"a",@progbits
	.p2align	6, 0x0
	.amdhsa_kernel _ZN7rocprim17ROCPRIM_400000_NS6detail17trampoline_kernelINS0_14default_configENS1_20scan_config_selectorIiEEZZNS1_9scan_implILNS1_25lookback_scan_determinismE0ELb0ELb1ES3_N6thrust23THRUST_200600_302600_NS6detail15normal_iteratorINS9_10device_ptrIiEEEESE_iNS9_4plusIiEEiEEDaPvRmT3_T4_T5_mT6_P12ihipStream_tbENKUlT_T0_E_clISt17integral_constantIbLb0EEST_IbLb1EEEEDaSP_SQ_EUlSP_E0_NS1_11comp_targetILNS1_3genE9ELNS1_11target_archE1100ELNS1_3gpuE3ELNS1_3repE0EEENS1_30default_config_static_selectorELNS0_4arch9wavefront6targetE1EEEvT1_
		.amdhsa_group_segment_fixed_size 0
		.amdhsa_private_segment_fixed_size 0
		.amdhsa_kernarg_size 32
		.amdhsa_user_sgpr_count 6
		.amdhsa_user_sgpr_private_segment_buffer 1
		.amdhsa_user_sgpr_dispatch_ptr 0
		.amdhsa_user_sgpr_queue_ptr 0
		.amdhsa_user_sgpr_kernarg_segment_ptr 1
		.amdhsa_user_sgpr_dispatch_id 0
		.amdhsa_user_sgpr_flat_scratch_init 0
		.amdhsa_user_sgpr_kernarg_preload_length 0
		.amdhsa_user_sgpr_kernarg_preload_offset 0
		.amdhsa_user_sgpr_private_segment_size 0
		.amdhsa_uses_dynamic_stack 0
		.amdhsa_system_sgpr_private_segment_wavefront_offset 0
		.amdhsa_system_sgpr_workgroup_id_x 1
		.amdhsa_system_sgpr_workgroup_id_y 0
		.amdhsa_system_sgpr_workgroup_id_z 0
		.amdhsa_system_sgpr_workgroup_info 0
		.amdhsa_system_vgpr_workitem_id 0
		.amdhsa_next_free_vgpr 1
		.amdhsa_next_free_sgpr 0
		.amdhsa_accum_offset 4
		.amdhsa_reserve_vcc 0
		.amdhsa_reserve_flat_scratch 0
		.amdhsa_float_round_mode_32 0
		.amdhsa_float_round_mode_16_64 0
		.amdhsa_float_denorm_mode_32 3
		.amdhsa_float_denorm_mode_16_64 3
		.amdhsa_dx10_clamp 1
		.amdhsa_ieee_mode 1
		.amdhsa_fp16_overflow 0
		.amdhsa_tg_split 0
		.amdhsa_exception_fp_ieee_invalid_op 0
		.amdhsa_exception_fp_denorm_src 0
		.amdhsa_exception_fp_ieee_div_zero 0
		.amdhsa_exception_fp_ieee_overflow 0
		.amdhsa_exception_fp_ieee_underflow 0
		.amdhsa_exception_fp_ieee_inexact 0
		.amdhsa_exception_int_div_zero 0
	.end_amdhsa_kernel
	.section	.text._ZN7rocprim17ROCPRIM_400000_NS6detail17trampoline_kernelINS0_14default_configENS1_20scan_config_selectorIiEEZZNS1_9scan_implILNS1_25lookback_scan_determinismE0ELb0ELb1ES3_N6thrust23THRUST_200600_302600_NS6detail15normal_iteratorINS9_10device_ptrIiEEEESE_iNS9_4plusIiEEiEEDaPvRmT3_T4_T5_mT6_P12ihipStream_tbENKUlT_T0_E_clISt17integral_constantIbLb0EEST_IbLb1EEEEDaSP_SQ_EUlSP_E0_NS1_11comp_targetILNS1_3genE9ELNS1_11target_archE1100ELNS1_3gpuE3ELNS1_3repE0EEENS1_30default_config_static_selectorELNS0_4arch9wavefront6targetE1EEEvT1_,"axG",@progbits,_ZN7rocprim17ROCPRIM_400000_NS6detail17trampoline_kernelINS0_14default_configENS1_20scan_config_selectorIiEEZZNS1_9scan_implILNS1_25lookback_scan_determinismE0ELb0ELb1ES3_N6thrust23THRUST_200600_302600_NS6detail15normal_iteratorINS9_10device_ptrIiEEEESE_iNS9_4plusIiEEiEEDaPvRmT3_T4_T5_mT6_P12ihipStream_tbENKUlT_T0_E_clISt17integral_constantIbLb0EEST_IbLb1EEEEDaSP_SQ_EUlSP_E0_NS1_11comp_targetILNS1_3genE9ELNS1_11target_archE1100ELNS1_3gpuE3ELNS1_3repE0EEENS1_30default_config_static_selectorELNS0_4arch9wavefront6targetE1EEEvT1_,comdat
.Lfunc_end802:
	.size	_ZN7rocprim17ROCPRIM_400000_NS6detail17trampoline_kernelINS0_14default_configENS1_20scan_config_selectorIiEEZZNS1_9scan_implILNS1_25lookback_scan_determinismE0ELb0ELb1ES3_N6thrust23THRUST_200600_302600_NS6detail15normal_iteratorINS9_10device_ptrIiEEEESE_iNS9_4plusIiEEiEEDaPvRmT3_T4_T5_mT6_P12ihipStream_tbENKUlT_T0_E_clISt17integral_constantIbLb0EEST_IbLb1EEEEDaSP_SQ_EUlSP_E0_NS1_11comp_targetILNS1_3genE9ELNS1_11target_archE1100ELNS1_3gpuE3ELNS1_3repE0EEENS1_30default_config_static_selectorELNS0_4arch9wavefront6targetE1EEEvT1_, .Lfunc_end802-_ZN7rocprim17ROCPRIM_400000_NS6detail17trampoline_kernelINS0_14default_configENS1_20scan_config_selectorIiEEZZNS1_9scan_implILNS1_25lookback_scan_determinismE0ELb0ELb1ES3_N6thrust23THRUST_200600_302600_NS6detail15normal_iteratorINS9_10device_ptrIiEEEESE_iNS9_4plusIiEEiEEDaPvRmT3_T4_T5_mT6_P12ihipStream_tbENKUlT_T0_E_clISt17integral_constantIbLb0EEST_IbLb1EEEEDaSP_SQ_EUlSP_E0_NS1_11comp_targetILNS1_3genE9ELNS1_11target_archE1100ELNS1_3gpuE3ELNS1_3repE0EEENS1_30default_config_static_selectorELNS0_4arch9wavefront6targetE1EEEvT1_
                                        ; -- End function
	.section	.AMDGPU.csdata,"",@progbits
; Kernel info:
; codeLenInByte = 0
; NumSgprs: 4
; NumVgprs: 0
; NumAgprs: 0
; TotalNumVgprs: 0
; ScratchSize: 0
; MemoryBound: 0
; FloatMode: 240
; IeeeMode: 1
; LDSByteSize: 0 bytes/workgroup (compile time only)
; SGPRBlocks: 0
; VGPRBlocks: 0
; NumSGPRsForWavesPerEU: 4
; NumVGPRsForWavesPerEU: 1
; AccumOffset: 4
; Occupancy: 8
; WaveLimiterHint : 0
; COMPUTE_PGM_RSRC2:SCRATCH_EN: 0
; COMPUTE_PGM_RSRC2:USER_SGPR: 6
; COMPUTE_PGM_RSRC2:TRAP_HANDLER: 0
; COMPUTE_PGM_RSRC2:TGID_X_EN: 1
; COMPUTE_PGM_RSRC2:TGID_Y_EN: 0
; COMPUTE_PGM_RSRC2:TGID_Z_EN: 0
; COMPUTE_PGM_RSRC2:TIDIG_COMP_CNT: 0
; COMPUTE_PGM_RSRC3_GFX90A:ACCUM_OFFSET: 0
; COMPUTE_PGM_RSRC3_GFX90A:TG_SPLIT: 0
	.section	.text._ZN7rocprim17ROCPRIM_400000_NS6detail17trampoline_kernelINS0_14default_configENS1_20scan_config_selectorIiEEZZNS1_9scan_implILNS1_25lookback_scan_determinismE0ELb0ELb1ES3_N6thrust23THRUST_200600_302600_NS6detail15normal_iteratorINS9_10device_ptrIiEEEESE_iNS9_4plusIiEEiEEDaPvRmT3_T4_T5_mT6_P12ihipStream_tbENKUlT_T0_E_clISt17integral_constantIbLb0EEST_IbLb1EEEEDaSP_SQ_EUlSP_E0_NS1_11comp_targetILNS1_3genE8ELNS1_11target_archE1030ELNS1_3gpuE2ELNS1_3repE0EEENS1_30default_config_static_selectorELNS0_4arch9wavefront6targetE1EEEvT1_,"axG",@progbits,_ZN7rocprim17ROCPRIM_400000_NS6detail17trampoline_kernelINS0_14default_configENS1_20scan_config_selectorIiEEZZNS1_9scan_implILNS1_25lookback_scan_determinismE0ELb0ELb1ES3_N6thrust23THRUST_200600_302600_NS6detail15normal_iteratorINS9_10device_ptrIiEEEESE_iNS9_4plusIiEEiEEDaPvRmT3_T4_T5_mT6_P12ihipStream_tbENKUlT_T0_E_clISt17integral_constantIbLb0EEST_IbLb1EEEEDaSP_SQ_EUlSP_E0_NS1_11comp_targetILNS1_3genE8ELNS1_11target_archE1030ELNS1_3gpuE2ELNS1_3repE0EEENS1_30default_config_static_selectorELNS0_4arch9wavefront6targetE1EEEvT1_,comdat
	.protected	_ZN7rocprim17ROCPRIM_400000_NS6detail17trampoline_kernelINS0_14default_configENS1_20scan_config_selectorIiEEZZNS1_9scan_implILNS1_25lookback_scan_determinismE0ELb0ELb1ES3_N6thrust23THRUST_200600_302600_NS6detail15normal_iteratorINS9_10device_ptrIiEEEESE_iNS9_4plusIiEEiEEDaPvRmT3_T4_T5_mT6_P12ihipStream_tbENKUlT_T0_E_clISt17integral_constantIbLb0EEST_IbLb1EEEEDaSP_SQ_EUlSP_E0_NS1_11comp_targetILNS1_3genE8ELNS1_11target_archE1030ELNS1_3gpuE2ELNS1_3repE0EEENS1_30default_config_static_selectorELNS0_4arch9wavefront6targetE1EEEvT1_ ; -- Begin function _ZN7rocprim17ROCPRIM_400000_NS6detail17trampoline_kernelINS0_14default_configENS1_20scan_config_selectorIiEEZZNS1_9scan_implILNS1_25lookback_scan_determinismE0ELb0ELb1ES3_N6thrust23THRUST_200600_302600_NS6detail15normal_iteratorINS9_10device_ptrIiEEEESE_iNS9_4plusIiEEiEEDaPvRmT3_T4_T5_mT6_P12ihipStream_tbENKUlT_T0_E_clISt17integral_constantIbLb0EEST_IbLb1EEEEDaSP_SQ_EUlSP_E0_NS1_11comp_targetILNS1_3genE8ELNS1_11target_archE1030ELNS1_3gpuE2ELNS1_3repE0EEENS1_30default_config_static_selectorELNS0_4arch9wavefront6targetE1EEEvT1_
	.globl	_ZN7rocprim17ROCPRIM_400000_NS6detail17trampoline_kernelINS0_14default_configENS1_20scan_config_selectorIiEEZZNS1_9scan_implILNS1_25lookback_scan_determinismE0ELb0ELb1ES3_N6thrust23THRUST_200600_302600_NS6detail15normal_iteratorINS9_10device_ptrIiEEEESE_iNS9_4plusIiEEiEEDaPvRmT3_T4_T5_mT6_P12ihipStream_tbENKUlT_T0_E_clISt17integral_constantIbLb0EEST_IbLb1EEEEDaSP_SQ_EUlSP_E0_NS1_11comp_targetILNS1_3genE8ELNS1_11target_archE1030ELNS1_3gpuE2ELNS1_3repE0EEENS1_30default_config_static_selectorELNS0_4arch9wavefront6targetE1EEEvT1_
	.p2align	8
	.type	_ZN7rocprim17ROCPRIM_400000_NS6detail17trampoline_kernelINS0_14default_configENS1_20scan_config_selectorIiEEZZNS1_9scan_implILNS1_25lookback_scan_determinismE0ELb0ELb1ES3_N6thrust23THRUST_200600_302600_NS6detail15normal_iteratorINS9_10device_ptrIiEEEESE_iNS9_4plusIiEEiEEDaPvRmT3_T4_T5_mT6_P12ihipStream_tbENKUlT_T0_E_clISt17integral_constantIbLb0EEST_IbLb1EEEEDaSP_SQ_EUlSP_E0_NS1_11comp_targetILNS1_3genE8ELNS1_11target_archE1030ELNS1_3gpuE2ELNS1_3repE0EEENS1_30default_config_static_selectorELNS0_4arch9wavefront6targetE1EEEvT1_,@function
_ZN7rocprim17ROCPRIM_400000_NS6detail17trampoline_kernelINS0_14default_configENS1_20scan_config_selectorIiEEZZNS1_9scan_implILNS1_25lookback_scan_determinismE0ELb0ELb1ES3_N6thrust23THRUST_200600_302600_NS6detail15normal_iteratorINS9_10device_ptrIiEEEESE_iNS9_4plusIiEEiEEDaPvRmT3_T4_T5_mT6_P12ihipStream_tbENKUlT_T0_E_clISt17integral_constantIbLb0EEST_IbLb1EEEEDaSP_SQ_EUlSP_E0_NS1_11comp_targetILNS1_3genE8ELNS1_11target_archE1030ELNS1_3gpuE2ELNS1_3repE0EEENS1_30default_config_static_selectorELNS0_4arch9wavefront6targetE1EEEvT1_: ; @_ZN7rocprim17ROCPRIM_400000_NS6detail17trampoline_kernelINS0_14default_configENS1_20scan_config_selectorIiEEZZNS1_9scan_implILNS1_25lookback_scan_determinismE0ELb0ELb1ES3_N6thrust23THRUST_200600_302600_NS6detail15normal_iteratorINS9_10device_ptrIiEEEESE_iNS9_4plusIiEEiEEDaPvRmT3_T4_T5_mT6_P12ihipStream_tbENKUlT_T0_E_clISt17integral_constantIbLb0EEST_IbLb1EEEEDaSP_SQ_EUlSP_E0_NS1_11comp_targetILNS1_3genE8ELNS1_11target_archE1030ELNS1_3gpuE2ELNS1_3repE0EEENS1_30default_config_static_selectorELNS0_4arch9wavefront6targetE1EEEvT1_
; %bb.0:
	.section	.rodata,"a",@progbits
	.p2align	6, 0x0
	.amdhsa_kernel _ZN7rocprim17ROCPRIM_400000_NS6detail17trampoline_kernelINS0_14default_configENS1_20scan_config_selectorIiEEZZNS1_9scan_implILNS1_25lookback_scan_determinismE0ELb0ELb1ES3_N6thrust23THRUST_200600_302600_NS6detail15normal_iteratorINS9_10device_ptrIiEEEESE_iNS9_4plusIiEEiEEDaPvRmT3_T4_T5_mT6_P12ihipStream_tbENKUlT_T0_E_clISt17integral_constantIbLb0EEST_IbLb1EEEEDaSP_SQ_EUlSP_E0_NS1_11comp_targetILNS1_3genE8ELNS1_11target_archE1030ELNS1_3gpuE2ELNS1_3repE0EEENS1_30default_config_static_selectorELNS0_4arch9wavefront6targetE1EEEvT1_
		.amdhsa_group_segment_fixed_size 0
		.amdhsa_private_segment_fixed_size 0
		.amdhsa_kernarg_size 32
		.amdhsa_user_sgpr_count 6
		.amdhsa_user_sgpr_private_segment_buffer 1
		.amdhsa_user_sgpr_dispatch_ptr 0
		.amdhsa_user_sgpr_queue_ptr 0
		.amdhsa_user_sgpr_kernarg_segment_ptr 1
		.amdhsa_user_sgpr_dispatch_id 0
		.amdhsa_user_sgpr_flat_scratch_init 0
		.amdhsa_user_sgpr_kernarg_preload_length 0
		.amdhsa_user_sgpr_kernarg_preload_offset 0
		.amdhsa_user_sgpr_private_segment_size 0
		.amdhsa_uses_dynamic_stack 0
		.amdhsa_system_sgpr_private_segment_wavefront_offset 0
		.amdhsa_system_sgpr_workgroup_id_x 1
		.amdhsa_system_sgpr_workgroup_id_y 0
		.amdhsa_system_sgpr_workgroup_id_z 0
		.amdhsa_system_sgpr_workgroup_info 0
		.amdhsa_system_vgpr_workitem_id 0
		.amdhsa_next_free_vgpr 1
		.amdhsa_next_free_sgpr 0
		.amdhsa_accum_offset 4
		.amdhsa_reserve_vcc 0
		.amdhsa_reserve_flat_scratch 0
		.amdhsa_float_round_mode_32 0
		.amdhsa_float_round_mode_16_64 0
		.amdhsa_float_denorm_mode_32 3
		.amdhsa_float_denorm_mode_16_64 3
		.amdhsa_dx10_clamp 1
		.amdhsa_ieee_mode 1
		.amdhsa_fp16_overflow 0
		.amdhsa_tg_split 0
		.amdhsa_exception_fp_ieee_invalid_op 0
		.amdhsa_exception_fp_denorm_src 0
		.amdhsa_exception_fp_ieee_div_zero 0
		.amdhsa_exception_fp_ieee_overflow 0
		.amdhsa_exception_fp_ieee_underflow 0
		.amdhsa_exception_fp_ieee_inexact 0
		.amdhsa_exception_int_div_zero 0
	.end_amdhsa_kernel
	.section	.text._ZN7rocprim17ROCPRIM_400000_NS6detail17trampoline_kernelINS0_14default_configENS1_20scan_config_selectorIiEEZZNS1_9scan_implILNS1_25lookback_scan_determinismE0ELb0ELb1ES3_N6thrust23THRUST_200600_302600_NS6detail15normal_iteratorINS9_10device_ptrIiEEEESE_iNS9_4plusIiEEiEEDaPvRmT3_T4_T5_mT6_P12ihipStream_tbENKUlT_T0_E_clISt17integral_constantIbLb0EEST_IbLb1EEEEDaSP_SQ_EUlSP_E0_NS1_11comp_targetILNS1_3genE8ELNS1_11target_archE1030ELNS1_3gpuE2ELNS1_3repE0EEENS1_30default_config_static_selectorELNS0_4arch9wavefront6targetE1EEEvT1_,"axG",@progbits,_ZN7rocprim17ROCPRIM_400000_NS6detail17trampoline_kernelINS0_14default_configENS1_20scan_config_selectorIiEEZZNS1_9scan_implILNS1_25lookback_scan_determinismE0ELb0ELb1ES3_N6thrust23THRUST_200600_302600_NS6detail15normal_iteratorINS9_10device_ptrIiEEEESE_iNS9_4plusIiEEiEEDaPvRmT3_T4_T5_mT6_P12ihipStream_tbENKUlT_T0_E_clISt17integral_constantIbLb0EEST_IbLb1EEEEDaSP_SQ_EUlSP_E0_NS1_11comp_targetILNS1_3genE8ELNS1_11target_archE1030ELNS1_3gpuE2ELNS1_3repE0EEENS1_30default_config_static_selectorELNS0_4arch9wavefront6targetE1EEEvT1_,comdat
.Lfunc_end803:
	.size	_ZN7rocprim17ROCPRIM_400000_NS6detail17trampoline_kernelINS0_14default_configENS1_20scan_config_selectorIiEEZZNS1_9scan_implILNS1_25lookback_scan_determinismE0ELb0ELb1ES3_N6thrust23THRUST_200600_302600_NS6detail15normal_iteratorINS9_10device_ptrIiEEEESE_iNS9_4plusIiEEiEEDaPvRmT3_T4_T5_mT6_P12ihipStream_tbENKUlT_T0_E_clISt17integral_constantIbLb0EEST_IbLb1EEEEDaSP_SQ_EUlSP_E0_NS1_11comp_targetILNS1_3genE8ELNS1_11target_archE1030ELNS1_3gpuE2ELNS1_3repE0EEENS1_30default_config_static_selectorELNS0_4arch9wavefront6targetE1EEEvT1_, .Lfunc_end803-_ZN7rocprim17ROCPRIM_400000_NS6detail17trampoline_kernelINS0_14default_configENS1_20scan_config_selectorIiEEZZNS1_9scan_implILNS1_25lookback_scan_determinismE0ELb0ELb1ES3_N6thrust23THRUST_200600_302600_NS6detail15normal_iteratorINS9_10device_ptrIiEEEESE_iNS9_4plusIiEEiEEDaPvRmT3_T4_T5_mT6_P12ihipStream_tbENKUlT_T0_E_clISt17integral_constantIbLb0EEST_IbLb1EEEEDaSP_SQ_EUlSP_E0_NS1_11comp_targetILNS1_3genE8ELNS1_11target_archE1030ELNS1_3gpuE2ELNS1_3repE0EEENS1_30default_config_static_selectorELNS0_4arch9wavefront6targetE1EEEvT1_
                                        ; -- End function
	.section	.AMDGPU.csdata,"",@progbits
; Kernel info:
; codeLenInByte = 0
; NumSgprs: 4
; NumVgprs: 0
; NumAgprs: 0
; TotalNumVgprs: 0
; ScratchSize: 0
; MemoryBound: 0
; FloatMode: 240
; IeeeMode: 1
; LDSByteSize: 0 bytes/workgroup (compile time only)
; SGPRBlocks: 0
; VGPRBlocks: 0
; NumSGPRsForWavesPerEU: 4
; NumVGPRsForWavesPerEU: 1
; AccumOffset: 4
; Occupancy: 8
; WaveLimiterHint : 0
; COMPUTE_PGM_RSRC2:SCRATCH_EN: 0
; COMPUTE_PGM_RSRC2:USER_SGPR: 6
; COMPUTE_PGM_RSRC2:TRAP_HANDLER: 0
; COMPUTE_PGM_RSRC2:TGID_X_EN: 1
; COMPUTE_PGM_RSRC2:TGID_Y_EN: 0
; COMPUTE_PGM_RSRC2:TGID_Z_EN: 0
; COMPUTE_PGM_RSRC2:TIDIG_COMP_CNT: 0
; COMPUTE_PGM_RSRC3_GFX90A:ACCUM_OFFSET: 0
; COMPUTE_PGM_RSRC3_GFX90A:TG_SPLIT: 0
	.section	.text._ZN7rocprim17ROCPRIM_400000_NS6detail17trampoline_kernelINS0_14default_configENS1_20scan_config_selectorIiEEZZNS1_9scan_implILNS1_25lookback_scan_determinismE0ELb1ELb1ES3_N6thrust23THRUST_200600_302600_NS6detail15normal_iteratorINS9_10device_ptrIiEEEESE_iNS9_4plusIvEEiEEDaPvRmT3_T4_T5_mT6_P12ihipStream_tbENKUlT_T0_E_clISt17integral_constantIbLb0EESU_EEDaSP_SQ_EUlSP_E_NS1_11comp_targetILNS1_3genE0ELNS1_11target_archE4294967295ELNS1_3gpuE0ELNS1_3repE0EEENS1_30default_config_static_selectorELNS0_4arch9wavefront6targetE1EEEvT1_,"axG",@progbits,_ZN7rocprim17ROCPRIM_400000_NS6detail17trampoline_kernelINS0_14default_configENS1_20scan_config_selectorIiEEZZNS1_9scan_implILNS1_25lookback_scan_determinismE0ELb1ELb1ES3_N6thrust23THRUST_200600_302600_NS6detail15normal_iteratorINS9_10device_ptrIiEEEESE_iNS9_4plusIvEEiEEDaPvRmT3_T4_T5_mT6_P12ihipStream_tbENKUlT_T0_E_clISt17integral_constantIbLb0EESU_EEDaSP_SQ_EUlSP_E_NS1_11comp_targetILNS1_3genE0ELNS1_11target_archE4294967295ELNS1_3gpuE0ELNS1_3repE0EEENS1_30default_config_static_selectorELNS0_4arch9wavefront6targetE1EEEvT1_,comdat
	.protected	_ZN7rocprim17ROCPRIM_400000_NS6detail17trampoline_kernelINS0_14default_configENS1_20scan_config_selectorIiEEZZNS1_9scan_implILNS1_25lookback_scan_determinismE0ELb1ELb1ES3_N6thrust23THRUST_200600_302600_NS6detail15normal_iteratorINS9_10device_ptrIiEEEESE_iNS9_4plusIvEEiEEDaPvRmT3_T4_T5_mT6_P12ihipStream_tbENKUlT_T0_E_clISt17integral_constantIbLb0EESU_EEDaSP_SQ_EUlSP_E_NS1_11comp_targetILNS1_3genE0ELNS1_11target_archE4294967295ELNS1_3gpuE0ELNS1_3repE0EEENS1_30default_config_static_selectorELNS0_4arch9wavefront6targetE1EEEvT1_ ; -- Begin function _ZN7rocprim17ROCPRIM_400000_NS6detail17trampoline_kernelINS0_14default_configENS1_20scan_config_selectorIiEEZZNS1_9scan_implILNS1_25lookback_scan_determinismE0ELb1ELb1ES3_N6thrust23THRUST_200600_302600_NS6detail15normal_iteratorINS9_10device_ptrIiEEEESE_iNS9_4plusIvEEiEEDaPvRmT3_T4_T5_mT6_P12ihipStream_tbENKUlT_T0_E_clISt17integral_constantIbLb0EESU_EEDaSP_SQ_EUlSP_E_NS1_11comp_targetILNS1_3genE0ELNS1_11target_archE4294967295ELNS1_3gpuE0ELNS1_3repE0EEENS1_30default_config_static_selectorELNS0_4arch9wavefront6targetE1EEEvT1_
	.globl	_ZN7rocprim17ROCPRIM_400000_NS6detail17trampoline_kernelINS0_14default_configENS1_20scan_config_selectorIiEEZZNS1_9scan_implILNS1_25lookback_scan_determinismE0ELb1ELb1ES3_N6thrust23THRUST_200600_302600_NS6detail15normal_iteratorINS9_10device_ptrIiEEEESE_iNS9_4plusIvEEiEEDaPvRmT3_T4_T5_mT6_P12ihipStream_tbENKUlT_T0_E_clISt17integral_constantIbLb0EESU_EEDaSP_SQ_EUlSP_E_NS1_11comp_targetILNS1_3genE0ELNS1_11target_archE4294967295ELNS1_3gpuE0ELNS1_3repE0EEENS1_30default_config_static_selectorELNS0_4arch9wavefront6targetE1EEEvT1_
	.p2align	8
	.type	_ZN7rocprim17ROCPRIM_400000_NS6detail17trampoline_kernelINS0_14default_configENS1_20scan_config_selectorIiEEZZNS1_9scan_implILNS1_25lookback_scan_determinismE0ELb1ELb1ES3_N6thrust23THRUST_200600_302600_NS6detail15normal_iteratorINS9_10device_ptrIiEEEESE_iNS9_4plusIvEEiEEDaPvRmT3_T4_T5_mT6_P12ihipStream_tbENKUlT_T0_E_clISt17integral_constantIbLb0EESU_EEDaSP_SQ_EUlSP_E_NS1_11comp_targetILNS1_3genE0ELNS1_11target_archE4294967295ELNS1_3gpuE0ELNS1_3repE0EEENS1_30default_config_static_selectorELNS0_4arch9wavefront6targetE1EEEvT1_,@function
_ZN7rocprim17ROCPRIM_400000_NS6detail17trampoline_kernelINS0_14default_configENS1_20scan_config_selectorIiEEZZNS1_9scan_implILNS1_25lookback_scan_determinismE0ELb1ELb1ES3_N6thrust23THRUST_200600_302600_NS6detail15normal_iteratorINS9_10device_ptrIiEEEESE_iNS9_4plusIvEEiEEDaPvRmT3_T4_T5_mT6_P12ihipStream_tbENKUlT_T0_E_clISt17integral_constantIbLb0EESU_EEDaSP_SQ_EUlSP_E_NS1_11comp_targetILNS1_3genE0ELNS1_11target_archE4294967295ELNS1_3gpuE0ELNS1_3repE0EEENS1_30default_config_static_selectorELNS0_4arch9wavefront6targetE1EEEvT1_: ; @_ZN7rocprim17ROCPRIM_400000_NS6detail17trampoline_kernelINS0_14default_configENS1_20scan_config_selectorIiEEZZNS1_9scan_implILNS1_25lookback_scan_determinismE0ELb1ELb1ES3_N6thrust23THRUST_200600_302600_NS6detail15normal_iteratorINS9_10device_ptrIiEEEESE_iNS9_4plusIvEEiEEDaPvRmT3_T4_T5_mT6_P12ihipStream_tbENKUlT_T0_E_clISt17integral_constantIbLb0EESU_EEDaSP_SQ_EUlSP_E_NS1_11comp_targetILNS1_3genE0ELNS1_11target_archE4294967295ELNS1_3gpuE0ELNS1_3repE0EEENS1_30default_config_static_selectorELNS0_4arch9wavefront6targetE1EEEvT1_
; %bb.0:
	.section	.rodata,"a",@progbits
	.p2align	6, 0x0
	.amdhsa_kernel _ZN7rocprim17ROCPRIM_400000_NS6detail17trampoline_kernelINS0_14default_configENS1_20scan_config_selectorIiEEZZNS1_9scan_implILNS1_25lookback_scan_determinismE0ELb1ELb1ES3_N6thrust23THRUST_200600_302600_NS6detail15normal_iteratorINS9_10device_ptrIiEEEESE_iNS9_4plusIvEEiEEDaPvRmT3_T4_T5_mT6_P12ihipStream_tbENKUlT_T0_E_clISt17integral_constantIbLb0EESU_EEDaSP_SQ_EUlSP_E_NS1_11comp_targetILNS1_3genE0ELNS1_11target_archE4294967295ELNS1_3gpuE0ELNS1_3repE0EEENS1_30default_config_static_selectorELNS0_4arch9wavefront6targetE1EEEvT1_
		.amdhsa_group_segment_fixed_size 0
		.amdhsa_private_segment_fixed_size 0
		.amdhsa_kernarg_size 96
		.amdhsa_user_sgpr_count 6
		.amdhsa_user_sgpr_private_segment_buffer 1
		.amdhsa_user_sgpr_dispatch_ptr 0
		.amdhsa_user_sgpr_queue_ptr 0
		.amdhsa_user_sgpr_kernarg_segment_ptr 1
		.amdhsa_user_sgpr_dispatch_id 0
		.amdhsa_user_sgpr_flat_scratch_init 0
		.amdhsa_user_sgpr_kernarg_preload_length 0
		.amdhsa_user_sgpr_kernarg_preload_offset 0
		.amdhsa_user_sgpr_private_segment_size 0
		.amdhsa_uses_dynamic_stack 0
		.amdhsa_system_sgpr_private_segment_wavefront_offset 0
		.amdhsa_system_sgpr_workgroup_id_x 1
		.amdhsa_system_sgpr_workgroup_id_y 0
		.amdhsa_system_sgpr_workgroup_id_z 0
		.amdhsa_system_sgpr_workgroup_info 0
		.amdhsa_system_vgpr_workitem_id 0
		.amdhsa_next_free_vgpr 1
		.amdhsa_next_free_sgpr 0
		.amdhsa_accum_offset 4
		.amdhsa_reserve_vcc 0
		.amdhsa_reserve_flat_scratch 0
		.amdhsa_float_round_mode_32 0
		.amdhsa_float_round_mode_16_64 0
		.amdhsa_float_denorm_mode_32 3
		.amdhsa_float_denorm_mode_16_64 3
		.amdhsa_dx10_clamp 1
		.amdhsa_ieee_mode 1
		.amdhsa_fp16_overflow 0
		.amdhsa_tg_split 0
		.amdhsa_exception_fp_ieee_invalid_op 0
		.amdhsa_exception_fp_denorm_src 0
		.amdhsa_exception_fp_ieee_div_zero 0
		.amdhsa_exception_fp_ieee_overflow 0
		.amdhsa_exception_fp_ieee_underflow 0
		.amdhsa_exception_fp_ieee_inexact 0
		.amdhsa_exception_int_div_zero 0
	.end_amdhsa_kernel
	.section	.text._ZN7rocprim17ROCPRIM_400000_NS6detail17trampoline_kernelINS0_14default_configENS1_20scan_config_selectorIiEEZZNS1_9scan_implILNS1_25lookback_scan_determinismE0ELb1ELb1ES3_N6thrust23THRUST_200600_302600_NS6detail15normal_iteratorINS9_10device_ptrIiEEEESE_iNS9_4plusIvEEiEEDaPvRmT3_T4_T5_mT6_P12ihipStream_tbENKUlT_T0_E_clISt17integral_constantIbLb0EESU_EEDaSP_SQ_EUlSP_E_NS1_11comp_targetILNS1_3genE0ELNS1_11target_archE4294967295ELNS1_3gpuE0ELNS1_3repE0EEENS1_30default_config_static_selectorELNS0_4arch9wavefront6targetE1EEEvT1_,"axG",@progbits,_ZN7rocprim17ROCPRIM_400000_NS6detail17trampoline_kernelINS0_14default_configENS1_20scan_config_selectorIiEEZZNS1_9scan_implILNS1_25lookback_scan_determinismE0ELb1ELb1ES3_N6thrust23THRUST_200600_302600_NS6detail15normal_iteratorINS9_10device_ptrIiEEEESE_iNS9_4plusIvEEiEEDaPvRmT3_T4_T5_mT6_P12ihipStream_tbENKUlT_T0_E_clISt17integral_constantIbLb0EESU_EEDaSP_SQ_EUlSP_E_NS1_11comp_targetILNS1_3genE0ELNS1_11target_archE4294967295ELNS1_3gpuE0ELNS1_3repE0EEENS1_30default_config_static_selectorELNS0_4arch9wavefront6targetE1EEEvT1_,comdat
.Lfunc_end804:
	.size	_ZN7rocprim17ROCPRIM_400000_NS6detail17trampoline_kernelINS0_14default_configENS1_20scan_config_selectorIiEEZZNS1_9scan_implILNS1_25lookback_scan_determinismE0ELb1ELb1ES3_N6thrust23THRUST_200600_302600_NS6detail15normal_iteratorINS9_10device_ptrIiEEEESE_iNS9_4plusIvEEiEEDaPvRmT3_T4_T5_mT6_P12ihipStream_tbENKUlT_T0_E_clISt17integral_constantIbLb0EESU_EEDaSP_SQ_EUlSP_E_NS1_11comp_targetILNS1_3genE0ELNS1_11target_archE4294967295ELNS1_3gpuE0ELNS1_3repE0EEENS1_30default_config_static_selectorELNS0_4arch9wavefront6targetE1EEEvT1_, .Lfunc_end804-_ZN7rocprim17ROCPRIM_400000_NS6detail17trampoline_kernelINS0_14default_configENS1_20scan_config_selectorIiEEZZNS1_9scan_implILNS1_25lookback_scan_determinismE0ELb1ELb1ES3_N6thrust23THRUST_200600_302600_NS6detail15normal_iteratorINS9_10device_ptrIiEEEESE_iNS9_4plusIvEEiEEDaPvRmT3_T4_T5_mT6_P12ihipStream_tbENKUlT_T0_E_clISt17integral_constantIbLb0EESU_EEDaSP_SQ_EUlSP_E_NS1_11comp_targetILNS1_3genE0ELNS1_11target_archE4294967295ELNS1_3gpuE0ELNS1_3repE0EEENS1_30default_config_static_selectorELNS0_4arch9wavefront6targetE1EEEvT1_
                                        ; -- End function
	.section	.AMDGPU.csdata,"",@progbits
; Kernel info:
; codeLenInByte = 0
; NumSgprs: 4
; NumVgprs: 0
; NumAgprs: 0
; TotalNumVgprs: 0
; ScratchSize: 0
; MemoryBound: 0
; FloatMode: 240
; IeeeMode: 1
; LDSByteSize: 0 bytes/workgroup (compile time only)
; SGPRBlocks: 0
; VGPRBlocks: 0
; NumSGPRsForWavesPerEU: 4
; NumVGPRsForWavesPerEU: 1
; AccumOffset: 4
; Occupancy: 8
; WaveLimiterHint : 0
; COMPUTE_PGM_RSRC2:SCRATCH_EN: 0
; COMPUTE_PGM_RSRC2:USER_SGPR: 6
; COMPUTE_PGM_RSRC2:TRAP_HANDLER: 0
; COMPUTE_PGM_RSRC2:TGID_X_EN: 1
; COMPUTE_PGM_RSRC2:TGID_Y_EN: 0
; COMPUTE_PGM_RSRC2:TGID_Z_EN: 0
; COMPUTE_PGM_RSRC2:TIDIG_COMP_CNT: 0
; COMPUTE_PGM_RSRC3_GFX90A:ACCUM_OFFSET: 0
; COMPUTE_PGM_RSRC3_GFX90A:TG_SPLIT: 0
	.section	.text._ZN7rocprim17ROCPRIM_400000_NS6detail17trampoline_kernelINS0_14default_configENS1_20scan_config_selectorIiEEZZNS1_9scan_implILNS1_25lookback_scan_determinismE0ELb1ELb1ES3_N6thrust23THRUST_200600_302600_NS6detail15normal_iteratorINS9_10device_ptrIiEEEESE_iNS9_4plusIvEEiEEDaPvRmT3_T4_T5_mT6_P12ihipStream_tbENKUlT_T0_E_clISt17integral_constantIbLb0EESU_EEDaSP_SQ_EUlSP_E_NS1_11comp_targetILNS1_3genE5ELNS1_11target_archE942ELNS1_3gpuE9ELNS1_3repE0EEENS1_30default_config_static_selectorELNS0_4arch9wavefront6targetE1EEEvT1_,"axG",@progbits,_ZN7rocprim17ROCPRIM_400000_NS6detail17trampoline_kernelINS0_14default_configENS1_20scan_config_selectorIiEEZZNS1_9scan_implILNS1_25lookback_scan_determinismE0ELb1ELb1ES3_N6thrust23THRUST_200600_302600_NS6detail15normal_iteratorINS9_10device_ptrIiEEEESE_iNS9_4plusIvEEiEEDaPvRmT3_T4_T5_mT6_P12ihipStream_tbENKUlT_T0_E_clISt17integral_constantIbLb0EESU_EEDaSP_SQ_EUlSP_E_NS1_11comp_targetILNS1_3genE5ELNS1_11target_archE942ELNS1_3gpuE9ELNS1_3repE0EEENS1_30default_config_static_selectorELNS0_4arch9wavefront6targetE1EEEvT1_,comdat
	.protected	_ZN7rocprim17ROCPRIM_400000_NS6detail17trampoline_kernelINS0_14default_configENS1_20scan_config_selectorIiEEZZNS1_9scan_implILNS1_25lookback_scan_determinismE0ELb1ELb1ES3_N6thrust23THRUST_200600_302600_NS6detail15normal_iteratorINS9_10device_ptrIiEEEESE_iNS9_4plusIvEEiEEDaPvRmT3_T4_T5_mT6_P12ihipStream_tbENKUlT_T0_E_clISt17integral_constantIbLb0EESU_EEDaSP_SQ_EUlSP_E_NS1_11comp_targetILNS1_3genE5ELNS1_11target_archE942ELNS1_3gpuE9ELNS1_3repE0EEENS1_30default_config_static_selectorELNS0_4arch9wavefront6targetE1EEEvT1_ ; -- Begin function _ZN7rocprim17ROCPRIM_400000_NS6detail17trampoline_kernelINS0_14default_configENS1_20scan_config_selectorIiEEZZNS1_9scan_implILNS1_25lookback_scan_determinismE0ELb1ELb1ES3_N6thrust23THRUST_200600_302600_NS6detail15normal_iteratorINS9_10device_ptrIiEEEESE_iNS9_4plusIvEEiEEDaPvRmT3_T4_T5_mT6_P12ihipStream_tbENKUlT_T0_E_clISt17integral_constantIbLb0EESU_EEDaSP_SQ_EUlSP_E_NS1_11comp_targetILNS1_3genE5ELNS1_11target_archE942ELNS1_3gpuE9ELNS1_3repE0EEENS1_30default_config_static_selectorELNS0_4arch9wavefront6targetE1EEEvT1_
	.globl	_ZN7rocprim17ROCPRIM_400000_NS6detail17trampoline_kernelINS0_14default_configENS1_20scan_config_selectorIiEEZZNS1_9scan_implILNS1_25lookback_scan_determinismE0ELb1ELb1ES3_N6thrust23THRUST_200600_302600_NS6detail15normal_iteratorINS9_10device_ptrIiEEEESE_iNS9_4plusIvEEiEEDaPvRmT3_T4_T5_mT6_P12ihipStream_tbENKUlT_T0_E_clISt17integral_constantIbLb0EESU_EEDaSP_SQ_EUlSP_E_NS1_11comp_targetILNS1_3genE5ELNS1_11target_archE942ELNS1_3gpuE9ELNS1_3repE0EEENS1_30default_config_static_selectorELNS0_4arch9wavefront6targetE1EEEvT1_
	.p2align	8
	.type	_ZN7rocprim17ROCPRIM_400000_NS6detail17trampoline_kernelINS0_14default_configENS1_20scan_config_selectorIiEEZZNS1_9scan_implILNS1_25lookback_scan_determinismE0ELb1ELb1ES3_N6thrust23THRUST_200600_302600_NS6detail15normal_iteratorINS9_10device_ptrIiEEEESE_iNS9_4plusIvEEiEEDaPvRmT3_T4_T5_mT6_P12ihipStream_tbENKUlT_T0_E_clISt17integral_constantIbLb0EESU_EEDaSP_SQ_EUlSP_E_NS1_11comp_targetILNS1_3genE5ELNS1_11target_archE942ELNS1_3gpuE9ELNS1_3repE0EEENS1_30default_config_static_selectorELNS0_4arch9wavefront6targetE1EEEvT1_,@function
_ZN7rocprim17ROCPRIM_400000_NS6detail17trampoline_kernelINS0_14default_configENS1_20scan_config_selectorIiEEZZNS1_9scan_implILNS1_25lookback_scan_determinismE0ELb1ELb1ES3_N6thrust23THRUST_200600_302600_NS6detail15normal_iteratorINS9_10device_ptrIiEEEESE_iNS9_4plusIvEEiEEDaPvRmT3_T4_T5_mT6_P12ihipStream_tbENKUlT_T0_E_clISt17integral_constantIbLb0EESU_EEDaSP_SQ_EUlSP_E_NS1_11comp_targetILNS1_3genE5ELNS1_11target_archE942ELNS1_3gpuE9ELNS1_3repE0EEENS1_30default_config_static_selectorELNS0_4arch9wavefront6targetE1EEEvT1_: ; @_ZN7rocprim17ROCPRIM_400000_NS6detail17trampoline_kernelINS0_14default_configENS1_20scan_config_selectorIiEEZZNS1_9scan_implILNS1_25lookback_scan_determinismE0ELb1ELb1ES3_N6thrust23THRUST_200600_302600_NS6detail15normal_iteratorINS9_10device_ptrIiEEEESE_iNS9_4plusIvEEiEEDaPvRmT3_T4_T5_mT6_P12ihipStream_tbENKUlT_T0_E_clISt17integral_constantIbLb0EESU_EEDaSP_SQ_EUlSP_E_NS1_11comp_targetILNS1_3genE5ELNS1_11target_archE942ELNS1_3gpuE9ELNS1_3repE0EEENS1_30default_config_static_selectorELNS0_4arch9wavefront6targetE1EEEvT1_
; %bb.0:
	.section	.rodata,"a",@progbits
	.p2align	6, 0x0
	.amdhsa_kernel _ZN7rocprim17ROCPRIM_400000_NS6detail17trampoline_kernelINS0_14default_configENS1_20scan_config_selectorIiEEZZNS1_9scan_implILNS1_25lookback_scan_determinismE0ELb1ELb1ES3_N6thrust23THRUST_200600_302600_NS6detail15normal_iteratorINS9_10device_ptrIiEEEESE_iNS9_4plusIvEEiEEDaPvRmT3_T4_T5_mT6_P12ihipStream_tbENKUlT_T0_E_clISt17integral_constantIbLb0EESU_EEDaSP_SQ_EUlSP_E_NS1_11comp_targetILNS1_3genE5ELNS1_11target_archE942ELNS1_3gpuE9ELNS1_3repE0EEENS1_30default_config_static_selectorELNS0_4arch9wavefront6targetE1EEEvT1_
		.amdhsa_group_segment_fixed_size 0
		.amdhsa_private_segment_fixed_size 0
		.amdhsa_kernarg_size 96
		.amdhsa_user_sgpr_count 6
		.amdhsa_user_sgpr_private_segment_buffer 1
		.amdhsa_user_sgpr_dispatch_ptr 0
		.amdhsa_user_sgpr_queue_ptr 0
		.amdhsa_user_sgpr_kernarg_segment_ptr 1
		.amdhsa_user_sgpr_dispatch_id 0
		.amdhsa_user_sgpr_flat_scratch_init 0
		.amdhsa_user_sgpr_kernarg_preload_length 0
		.amdhsa_user_sgpr_kernarg_preload_offset 0
		.amdhsa_user_sgpr_private_segment_size 0
		.amdhsa_uses_dynamic_stack 0
		.amdhsa_system_sgpr_private_segment_wavefront_offset 0
		.amdhsa_system_sgpr_workgroup_id_x 1
		.amdhsa_system_sgpr_workgroup_id_y 0
		.amdhsa_system_sgpr_workgroup_id_z 0
		.amdhsa_system_sgpr_workgroup_info 0
		.amdhsa_system_vgpr_workitem_id 0
		.amdhsa_next_free_vgpr 1
		.amdhsa_next_free_sgpr 0
		.amdhsa_accum_offset 4
		.amdhsa_reserve_vcc 0
		.amdhsa_reserve_flat_scratch 0
		.amdhsa_float_round_mode_32 0
		.amdhsa_float_round_mode_16_64 0
		.amdhsa_float_denorm_mode_32 3
		.amdhsa_float_denorm_mode_16_64 3
		.amdhsa_dx10_clamp 1
		.amdhsa_ieee_mode 1
		.amdhsa_fp16_overflow 0
		.amdhsa_tg_split 0
		.amdhsa_exception_fp_ieee_invalid_op 0
		.amdhsa_exception_fp_denorm_src 0
		.amdhsa_exception_fp_ieee_div_zero 0
		.amdhsa_exception_fp_ieee_overflow 0
		.amdhsa_exception_fp_ieee_underflow 0
		.amdhsa_exception_fp_ieee_inexact 0
		.amdhsa_exception_int_div_zero 0
	.end_amdhsa_kernel
	.section	.text._ZN7rocprim17ROCPRIM_400000_NS6detail17trampoline_kernelINS0_14default_configENS1_20scan_config_selectorIiEEZZNS1_9scan_implILNS1_25lookback_scan_determinismE0ELb1ELb1ES3_N6thrust23THRUST_200600_302600_NS6detail15normal_iteratorINS9_10device_ptrIiEEEESE_iNS9_4plusIvEEiEEDaPvRmT3_T4_T5_mT6_P12ihipStream_tbENKUlT_T0_E_clISt17integral_constantIbLb0EESU_EEDaSP_SQ_EUlSP_E_NS1_11comp_targetILNS1_3genE5ELNS1_11target_archE942ELNS1_3gpuE9ELNS1_3repE0EEENS1_30default_config_static_selectorELNS0_4arch9wavefront6targetE1EEEvT1_,"axG",@progbits,_ZN7rocprim17ROCPRIM_400000_NS6detail17trampoline_kernelINS0_14default_configENS1_20scan_config_selectorIiEEZZNS1_9scan_implILNS1_25lookback_scan_determinismE0ELb1ELb1ES3_N6thrust23THRUST_200600_302600_NS6detail15normal_iteratorINS9_10device_ptrIiEEEESE_iNS9_4plusIvEEiEEDaPvRmT3_T4_T5_mT6_P12ihipStream_tbENKUlT_T0_E_clISt17integral_constantIbLb0EESU_EEDaSP_SQ_EUlSP_E_NS1_11comp_targetILNS1_3genE5ELNS1_11target_archE942ELNS1_3gpuE9ELNS1_3repE0EEENS1_30default_config_static_selectorELNS0_4arch9wavefront6targetE1EEEvT1_,comdat
.Lfunc_end805:
	.size	_ZN7rocprim17ROCPRIM_400000_NS6detail17trampoline_kernelINS0_14default_configENS1_20scan_config_selectorIiEEZZNS1_9scan_implILNS1_25lookback_scan_determinismE0ELb1ELb1ES3_N6thrust23THRUST_200600_302600_NS6detail15normal_iteratorINS9_10device_ptrIiEEEESE_iNS9_4plusIvEEiEEDaPvRmT3_T4_T5_mT6_P12ihipStream_tbENKUlT_T0_E_clISt17integral_constantIbLb0EESU_EEDaSP_SQ_EUlSP_E_NS1_11comp_targetILNS1_3genE5ELNS1_11target_archE942ELNS1_3gpuE9ELNS1_3repE0EEENS1_30default_config_static_selectorELNS0_4arch9wavefront6targetE1EEEvT1_, .Lfunc_end805-_ZN7rocprim17ROCPRIM_400000_NS6detail17trampoline_kernelINS0_14default_configENS1_20scan_config_selectorIiEEZZNS1_9scan_implILNS1_25lookback_scan_determinismE0ELb1ELb1ES3_N6thrust23THRUST_200600_302600_NS6detail15normal_iteratorINS9_10device_ptrIiEEEESE_iNS9_4plusIvEEiEEDaPvRmT3_T4_T5_mT6_P12ihipStream_tbENKUlT_T0_E_clISt17integral_constantIbLb0EESU_EEDaSP_SQ_EUlSP_E_NS1_11comp_targetILNS1_3genE5ELNS1_11target_archE942ELNS1_3gpuE9ELNS1_3repE0EEENS1_30default_config_static_selectorELNS0_4arch9wavefront6targetE1EEEvT1_
                                        ; -- End function
	.section	.AMDGPU.csdata,"",@progbits
; Kernel info:
; codeLenInByte = 0
; NumSgprs: 4
; NumVgprs: 0
; NumAgprs: 0
; TotalNumVgprs: 0
; ScratchSize: 0
; MemoryBound: 0
; FloatMode: 240
; IeeeMode: 1
; LDSByteSize: 0 bytes/workgroup (compile time only)
; SGPRBlocks: 0
; VGPRBlocks: 0
; NumSGPRsForWavesPerEU: 4
; NumVGPRsForWavesPerEU: 1
; AccumOffset: 4
; Occupancy: 8
; WaveLimiterHint : 0
; COMPUTE_PGM_RSRC2:SCRATCH_EN: 0
; COMPUTE_PGM_RSRC2:USER_SGPR: 6
; COMPUTE_PGM_RSRC2:TRAP_HANDLER: 0
; COMPUTE_PGM_RSRC2:TGID_X_EN: 1
; COMPUTE_PGM_RSRC2:TGID_Y_EN: 0
; COMPUTE_PGM_RSRC2:TGID_Z_EN: 0
; COMPUTE_PGM_RSRC2:TIDIG_COMP_CNT: 0
; COMPUTE_PGM_RSRC3_GFX90A:ACCUM_OFFSET: 0
; COMPUTE_PGM_RSRC3_GFX90A:TG_SPLIT: 0
	.section	.text._ZN7rocprim17ROCPRIM_400000_NS6detail17trampoline_kernelINS0_14default_configENS1_20scan_config_selectorIiEEZZNS1_9scan_implILNS1_25lookback_scan_determinismE0ELb1ELb1ES3_N6thrust23THRUST_200600_302600_NS6detail15normal_iteratorINS9_10device_ptrIiEEEESE_iNS9_4plusIvEEiEEDaPvRmT3_T4_T5_mT6_P12ihipStream_tbENKUlT_T0_E_clISt17integral_constantIbLb0EESU_EEDaSP_SQ_EUlSP_E_NS1_11comp_targetILNS1_3genE4ELNS1_11target_archE910ELNS1_3gpuE8ELNS1_3repE0EEENS1_30default_config_static_selectorELNS0_4arch9wavefront6targetE1EEEvT1_,"axG",@progbits,_ZN7rocprim17ROCPRIM_400000_NS6detail17trampoline_kernelINS0_14default_configENS1_20scan_config_selectorIiEEZZNS1_9scan_implILNS1_25lookback_scan_determinismE0ELb1ELb1ES3_N6thrust23THRUST_200600_302600_NS6detail15normal_iteratorINS9_10device_ptrIiEEEESE_iNS9_4plusIvEEiEEDaPvRmT3_T4_T5_mT6_P12ihipStream_tbENKUlT_T0_E_clISt17integral_constantIbLb0EESU_EEDaSP_SQ_EUlSP_E_NS1_11comp_targetILNS1_3genE4ELNS1_11target_archE910ELNS1_3gpuE8ELNS1_3repE0EEENS1_30default_config_static_selectorELNS0_4arch9wavefront6targetE1EEEvT1_,comdat
	.protected	_ZN7rocprim17ROCPRIM_400000_NS6detail17trampoline_kernelINS0_14default_configENS1_20scan_config_selectorIiEEZZNS1_9scan_implILNS1_25lookback_scan_determinismE0ELb1ELb1ES3_N6thrust23THRUST_200600_302600_NS6detail15normal_iteratorINS9_10device_ptrIiEEEESE_iNS9_4plusIvEEiEEDaPvRmT3_T4_T5_mT6_P12ihipStream_tbENKUlT_T0_E_clISt17integral_constantIbLb0EESU_EEDaSP_SQ_EUlSP_E_NS1_11comp_targetILNS1_3genE4ELNS1_11target_archE910ELNS1_3gpuE8ELNS1_3repE0EEENS1_30default_config_static_selectorELNS0_4arch9wavefront6targetE1EEEvT1_ ; -- Begin function _ZN7rocprim17ROCPRIM_400000_NS6detail17trampoline_kernelINS0_14default_configENS1_20scan_config_selectorIiEEZZNS1_9scan_implILNS1_25lookback_scan_determinismE0ELb1ELb1ES3_N6thrust23THRUST_200600_302600_NS6detail15normal_iteratorINS9_10device_ptrIiEEEESE_iNS9_4plusIvEEiEEDaPvRmT3_T4_T5_mT6_P12ihipStream_tbENKUlT_T0_E_clISt17integral_constantIbLb0EESU_EEDaSP_SQ_EUlSP_E_NS1_11comp_targetILNS1_3genE4ELNS1_11target_archE910ELNS1_3gpuE8ELNS1_3repE0EEENS1_30default_config_static_selectorELNS0_4arch9wavefront6targetE1EEEvT1_
	.globl	_ZN7rocprim17ROCPRIM_400000_NS6detail17trampoline_kernelINS0_14default_configENS1_20scan_config_selectorIiEEZZNS1_9scan_implILNS1_25lookback_scan_determinismE0ELb1ELb1ES3_N6thrust23THRUST_200600_302600_NS6detail15normal_iteratorINS9_10device_ptrIiEEEESE_iNS9_4plusIvEEiEEDaPvRmT3_T4_T5_mT6_P12ihipStream_tbENKUlT_T0_E_clISt17integral_constantIbLb0EESU_EEDaSP_SQ_EUlSP_E_NS1_11comp_targetILNS1_3genE4ELNS1_11target_archE910ELNS1_3gpuE8ELNS1_3repE0EEENS1_30default_config_static_selectorELNS0_4arch9wavefront6targetE1EEEvT1_
	.p2align	8
	.type	_ZN7rocprim17ROCPRIM_400000_NS6detail17trampoline_kernelINS0_14default_configENS1_20scan_config_selectorIiEEZZNS1_9scan_implILNS1_25lookback_scan_determinismE0ELb1ELb1ES3_N6thrust23THRUST_200600_302600_NS6detail15normal_iteratorINS9_10device_ptrIiEEEESE_iNS9_4plusIvEEiEEDaPvRmT3_T4_T5_mT6_P12ihipStream_tbENKUlT_T0_E_clISt17integral_constantIbLb0EESU_EEDaSP_SQ_EUlSP_E_NS1_11comp_targetILNS1_3genE4ELNS1_11target_archE910ELNS1_3gpuE8ELNS1_3repE0EEENS1_30default_config_static_selectorELNS0_4arch9wavefront6targetE1EEEvT1_,@function
_ZN7rocprim17ROCPRIM_400000_NS6detail17trampoline_kernelINS0_14default_configENS1_20scan_config_selectorIiEEZZNS1_9scan_implILNS1_25lookback_scan_determinismE0ELb1ELb1ES3_N6thrust23THRUST_200600_302600_NS6detail15normal_iteratorINS9_10device_ptrIiEEEESE_iNS9_4plusIvEEiEEDaPvRmT3_T4_T5_mT6_P12ihipStream_tbENKUlT_T0_E_clISt17integral_constantIbLb0EESU_EEDaSP_SQ_EUlSP_E_NS1_11comp_targetILNS1_3genE4ELNS1_11target_archE910ELNS1_3gpuE8ELNS1_3repE0EEENS1_30default_config_static_selectorELNS0_4arch9wavefront6targetE1EEEvT1_: ; @_ZN7rocprim17ROCPRIM_400000_NS6detail17trampoline_kernelINS0_14default_configENS1_20scan_config_selectorIiEEZZNS1_9scan_implILNS1_25lookback_scan_determinismE0ELb1ELb1ES3_N6thrust23THRUST_200600_302600_NS6detail15normal_iteratorINS9_10device_ptrIiEEEESE_iNS9_4plusIvEEiEEDaPvRmT3_T4_T5_mT6_P12ihipStream_tbENKUlT_T0_E_clISt17integral_constantIbLb0EESU_EEDaSP_SQ_EUlSP_E_NS1_11comp_targetILNS1_3genE4ELNS1_11target_archE910ELNS1_3gpuE8ELNS1_3repE0EEENS1_30default_config_static_selectorELNS0_4arch9wavefront6targetE1EEEvT1_
; %bb.0:
	s_load_dwordx8 s[8:15], s[4:5], 0x0
	s_load_dword s1, s[4:5], 0x30
	s_mul_i32 s0, s6, 0x500
	v_lshlrev_b32_e32 v22, 2, v0
	s_waitcnt lgkmcnt(0)
	s_lshl_b64 s[10:11], s[10:11], 2
	s_add_u32 s27, s8, s10
	s_addc_u32 s28, s9, s11
	s_add_i32 s2, s1, -1
	s_mul_i32 s3, s2, 0x500
	s_sub_u32 s7, s14, s3
	s_subb_u32 s26, s15, 0
	s_mov_b32 s1, 0
	s_cmp_lg_u32 s6, s2
	s_cselect_b64 s[8:9], -1, 0
	s_lshl_b64 s[14:15], s[0:1], 2
	s_add_u32 s2, s27, s14
	s_addc_u32 s3, s28, s15
	s_mov_b64 s[0:1], -1
	s_and_b64 vcc, exec, s[8:9]
	s_cbranch_vccz .LBB806_2
; %bb.1:
	v_mov_b32_e32 v1, s3
	v_add_co_u32_e32 v2, vcc, s2, v22
	v_addc_co_u32_e32 v3, vcc, 0, v1, vcc
	flat_load_dword v1, v[2:3]
	flat_load_dword v4, v[2:3] offset:512
	flat_load_dword v5, v[2:3] offset:1024
	;; [unrolled: 1-line block ×7, first 2 shown]
	v_add_co_u32_e32 v2, vcc, 0x1000, v2
	v_addc_co_u32_e32 v3, vcc, 0, v3, vcc
	flat_load_dword v11, v[2:3]
	flat_load_dword v12, v[2:3] offset:512
	s_mov_b64 s[0:1], 0
	s_waitcnt vmcnt(0) lgkmcnt(0)
	ds_write2st64_b32 v22, v1, v4 offset1:2
	ds_write2st64_b32 v22, v5, v6 offset0:4 offset1:6
	ds_write2st64_b32 v22, v7, v8 offset0:8 offset1:10
	;; [unrolled: 1-line block ×4, first 2 shown]
	s_waitcnt lgkmcnt(0)
	s_barrier
.LBB806_2:
	s_load_dwordx2 s[24:25], s[4:5], 0x28
	s_andn2_b64 vcc, exec, s[0:1]
	v_cmp_gt_u32_e64 s[0:1], s7, v0
	s_cbranch_vccnz .LBB806_24
; %bb.3:
	v_pk_mov_b32 v[2:3], s[2:3], s[2:3] op_sel:[0,1]
	flat_load_dword v1, v[2:3]
	s_waitcnt vmcnt(0) lgkmcnt(0)
	v_mov_b32_e32 v2, v1
	v_mov_b32_e32 v3, v1
	;; [unrolled: 1-line block ×9, first 2 shown]
	s_and_saveexec_b64 s[16:17], s[0:1]
	s_cbranch_execz .LBB806_5
; %bb.4:
	v_mov_b32_e32 v11, s3
	v_add_co_u32_e32 v10, vcc, s2, v22
	v_addc_co_u32_e32 v11, vcc, 0, v11, vcc
	flat_load_dword v10, v[10:11]
.LBB806_5:
	s_or_b64 exec, exec, s[16:17]
	v_or_b32_e32 v11, 0x80, v0
	v_cmp_gt_u32_e32 vcc, s7, v11
	s_and_saveexec_b64 s[0:1], vcc
	s_cbranch_execz .LBB806_7
; %bb.6:
	v_mov_b32_e32 v1, s3
	v_add_co_u32_e32 v12, vcc, s2, v22
	v_addc_co_u32_e32 v13, vcc, 0, v1, vcc
	flat_load_dword v1, v[12:13] offset:512
.LBB806_7:
	s_or_b64 exec, exec, s[0:1]
	v_or_b32_e32 v11, 0x100, v0
	v_cmp_gt_u32_e32 vcc, s7, v11
	s_and_saveexec_b64 s[0:1], vcc
	s_cbranch_execz .LBB806_9
; %bb.8:
	v_mov_b32_e32 v2, s3
	v_add_co_u32_e32 v12, vcc, s2, v22
	v_addc_co_u32_e32 v13, vcc, 0, v2, vcc
	flat_load_dword v2, v[12:13] offset:1024
.LBB806_9:
	;; [unrolled: 11-line block ×7, first 2 shown]
	s_or_b64 exec, exec, s[0:1]
	v_or_b32_e32 v11, 0x400, v0
	v_cmp_gt_u32_e32 vcc, s7, v11
	s_and_saveexec_b64 s[0:1], vcc
	s_cbranch_execz .LBB806_21
; %bb.20:
	v_lshlrev_b32_e32 v8, 2, v11
	v_mov_b32_e32 v11, s3
	v_add_co_u32_e32 v12, vcc, s2, v8
	v_addc_co_u32_e32 v13, vcc, 0, v11, vcc
	flat_load_dword v8, v[12:13]
.LBB806_21:
	s_or_b64 exec, exec, s[0:1]
	v_or_b32_e32 v11, 0x480, v0
	v_cmp_gt_u32_e32 vcc, s7, v11
	s_and_saveexec_b64 s[0:1], vcc
	s_cbranch_execz .LBB806_23
; %bb.22:
	v_lshlrev_b32_e32 v9, 2, v11
	v_mov_b32_e32 v11, s3
	v_add_co_u32_e32 v12, vcc, s2, v9
	v_addc_co_u32_e32 v13, vcc, 0, v11, vcc
	flat_load_dword v9, v[12:13]
.LBB806_23:
	s_or_b64 exec, exec, s[0:1]
	s_waitcnt vmcnt(0) lgkmcnt(0)
	ds_write2st64_b32 v22, v10, v1 offset1:2
	ds_write2st64_b32 v22, v2, v3 offset0:4 offset1:6
	ds_write2st64_b32 v22, v4, v5 offset0:8 offset1:10
	;; [unrolled: 1-line block ×4, first 2 shown]
	s_waitcnt lgkmcnt(0)
	s_barrier
.LBB806_24:
	v_mul_u32_u24_e32 v23, 10, v0
	v_lshlrev_b32_e32 v1, 2, v23
	s_waitcnt lgkmcnt(0)
	ds_read2_b64 v[16:19], v1 offset1:1
	ds_read2_b64 v[12:15], v1 offset0:2 offset1:3
	ds_read_b64 v[20:21], v1 offset:32
	s_cmp_lg_u32 s6, 0
	v_lshrrev_b32_e32 v24, 5, v0
	s_waitcnt lgkmcnt(2)
	v_add_u32_e32 v2, v17, v16
	v_add3_u32 v25, v2, v18, v19
	v_cmp_gt_u32_e32 vcc, 64, v0
	s_waitcnt lgkmcnt(0)
	s_barrier
	s_cbranch_scc0 .LBB806_49
; %bb.25:
	v_add3_u32 v2, v25, v12, v13
	v_add3_u32 v2, v2, v14, v15
	;; [unrolled: 1-line block ×3, first 2 shown]
	v_add_lshl_u32 v3, v24, v0, 2
	ds_write_b32 v3, v2
	s_waitcnt lgkmcnt(0)
	s_barrier
	s_and_saveexec_b64 s[2:3], vcc
	s_cbranch_execz .LBB806_27
; %bb.26:
	v_lshlrev_b32_e32 v3, 1, v0
	v_lshrrev_b32_e32 v4, 4, v0
	v_add_lshl_u32 v3, v4, v3, 2
	ds_read2_b32 v[4:5], v3 offset1:1
	v_mbcnt_lo_u32_b32 v6, -1, 0
	v_mbcnt_hi_u32_b32 v6, -1, v6
	v_and_b32_e32 v7, 15, v6
	v_cmp_ne_u32_e64 s[0:1], 0, v7
	s_waitcnt lgkmcnt(0)
	v_add_u32_e32 v5, v5, v4
	; wave barrier
	s_nop 1
	v_mov_b32_dpp v8, v5 row_shr:1 row_mask:0xf bank_mask:0xf
	v_cndmask_b32_e64 v8, 0, v8, s[0:1]
	v_add_u32_e32 v5, v8, v5
	v_cmp_lt_u32_e64 s[0:1], 1, v7
	s_nop 0
	v_mov_b32_dpp v8, v5 row_shr:2 row_mask:0xf bank_mask:0xf
	v_cndmask_b32_e64 v8, 0, v8, s[0:1]
	v_add_u32_e32 v5, v5, v8
	v_cmp_lt_u32_e64 s[0:1], 3, v7
	s_nop 0
	v_mov_b32_dpp v8, v5 row_shr:4 row_mask:0xf bank_mask:0xf
	v_cndmask_b32_e64 v8, 0, v8, s[0:1]
	v_add_u32_e32 v5, v5, v8
	v_cmp_lt_u32_e64 s[0:1], 7, v7
	s_nop 0
	v_mov_b32_dpp v8, v5 row_shr:8 row_mask:0xf bank_mask:0xf
	v_cndmask_b32_e64 v7, 0, v8, s[0:1]
	v_add_u32_e32 v5, v5, v7
	v_bfe_i32 v8, v6, 4, 1
	v_cmp_lt_u32_e64 s[0:1], 31, v6
	v_mov_b32_dpp v7, v5 row_bcast:15 row_mask:0xf bank_mask:0xf
	v_and_b32_e32 v7, v8, v7
	v_add_u32_e32 v5, v5, v7
	v_and_b32_e32 v8, 64, v6
	s_nop 0
	v_mov_b32_dpp v7, v5 row_bcast:31 row_mask:0xf bank_mask:0xf
	v_cndmask_b32_e64 v7, 0, v7, s[0:1]
	v_add_u32_e32 v5, v5, v7
	v_add_u32_e32 v7, -1, v6
	v_cmp_lt_i32_e64 s[0:1], v7, v8
	v_cndmask_b32_e64 v6, v7, v6, s[0:1]
	v_lshlrev_b32_e32 v6, 2, v6
	ds_bpermute_b32 v5, v6, v5
	v_cmp_eq_u32_e64 s[0:1], 0, v0
	s_waitcnt lgkmcnt(0)
	v_add_u32_e32 v4, v5, v4
	v_cndmask_b32_e64 v2, v4, v2, s[0:1]
	ds_write_b32 v3, v2
	; wave barrier
	ds_read_b32 v4, v3 offset:4
	s_waitcnt lgkmcnt(0)
	v_add_u32_e32 v2, v4, v2
	ds_write_b32 v3, v2 offset:4
.LBB806_27:
	s_or_b64 exec, exec, s[2:3]
	v_cmp_eq_u32_e64 s[0:1], 0, v0
	v_cmp_ne_u32_e64 s[2:3], 0, v0
	v_mov_b32_e32 v26, 0
	s_waitcnt lgkmcnt(0)
	s_barrier
	s_and_saveexec_b64 s[16:17], s[2:3]
	s_cbranch_execz .LBB806_29
; %bb.28:
	v_add_u32_e32 v2, -1, v0
	v_lshrrev_b32_e32 v3, 5, v2
	v_add_lshl_u32 v2, v3, v2, 2
	ds_read_b32 v26, v2
.LBB806_29:
	s_or_b64 exec, exec, s[16:17]
	s_and_saveexec_b64 s[16:17], vcc
	s_cbranch_execz .LBB806_48
; %bb.30:
	v_mov_b32_e32 v9, 0
	ds_read_b32 v2, v9 offset:520
	v_mbcnt_lo_u32_b32 v3, -1, 0
	v_mbcnt_hi_u32_b32 v5, -1, v3
	s_mov_b32 s21, 0
	v_cmp_eq_u32_e64 s[2:3], 0, v5
	s_and_saveexec_b64 s[18:19], s[2:3]
	s_cbranch_execz .LBB806_32
; %bb.31:
	s_add_i32 s20, s6, 64
	s_lshl_b64 s[20:21], s[20:21], 3
	s_add_u32 s20, s24, s20
	v_mov_b32_e32 v3, 1
	s_addc_u32 s21, s25, s21
	s_waitcnt lgkmcnt(0)
	global_store_dwordx2 v9, v[2:3], s[20:21]
.LBB806_32:
	s_or_b64 exec, exec, s[18:19]
	v_xad_u32 v4, v5, -1, s6
	v_add_u32_e32 v8, 64, v4
	v_lshlrev_b64 v[6:7], 3, v[8:9]
	v_mov_b32_e32 v3, s25
	v_add_co_u32_e32 v10, vcc, s24, v6
	v_addc_co_u32_e32 v11, vcc, v3, v7, vcc
	global_load_dwordx2 v[6:7], v[10:11], off glc
	s_waitcnt vmcnt(0)
	v_cmp_eq_u16_sdwa s[20:21], v7, v9 src0_sel:BYTE_0 src1_sel:DWORD
	s_and_saveexec_b64 s[18:19], s[20:21]
	s_cbranch_execz .LBB806_36
; %bb.33:
	s_mov_b64 s[20:21], 0
	v_mov_b32_e32 v3, 0
.LBB806_34:                             ; =>This Inner Loop Header: Depth=1
	global_load_dwordx2 v[6:7], v[10:11], off glc
	s_waitcnt vmcnt(0)
	v_cmp_ne_u16_sdwa s[22:23], v7, v3 src0_sel:BYTE_0 src1_sel:DWORD
	s_or_b64 s[20:21], s[22:23], s[20:21]
	s_andn2_b64 exec, exec, s[20:21]
	s_cbranch_execnz .LBB806_34
; %bb.35:
	s_or_b64 exec, exec, s[20:21]
.LBB806_36:
	s_or_b64 exec, exec, s[18:19]
	v_and_b32_e32 v27, 63, v5
	v_mov_b32_e32 v3, 2
	v_cmp_ne_u32_e32 vcc, 63, v27
	v_cmp_eq_u16_sdwa s[18:19], v7, v3 src0_sel:BYTE_0 src1_sel:DWORD
	v_lshlrev_b64 v[8:9], v5, -1
	v_addc_co_u32_e32 v28, vcc, 0, v5, vcc
	v_and_b32_e32 v10, s19, v9
	v_lshlrev_b32_e32 v28, 2, v28
	v_or_b32_e32 v10, 0x80000000, v10
	ds_bpermute_b32 v29, v28, v6
	v_and_b32_e32 v11, s18, v8
	v_ffbl_b32_e32 v10, v10
	v_add_u32_e32 v10, 32, v10
	v_ffbl_b32_e32 v11, v11
	v_min_u32_e32 v10, v11, v10
	v_cmp_lt_u32_e32 vcc, v27, v10
	s_waitcnt lgkmcnt(0)
	v_cndmask_b32_e32 v11, 0, v29, vcc
	v_cmp_gt_u32_e32 vcc, 62, v27
	v_add_u32_e32 v6, v11, v6
	v_cndmask_b32_e64 v11, 0, 1, vcc
	v_lshlrev_b32_e32 v11, 1, v11
	v_add_lshl_u32 v29, v11, v5, 2
	ds_bpermute_b32 v11, v29, v6
	v_add_u32_e32 v30, 2, v27
	v_cmp_le_u32_e32 vcc, v30, v10
	v_add_u32_e32 v32, 4, v27
	v_add_u32_e32 v34, 8, v27
	s_waitcnt lgkmcnt(0)
	v_cndmask_b32_e32 v11, 0, v11, vcc
	v_cmp_gt_u32_e32 vcc, 60, v27
	v_add_u32_e32 v6, v6, v11
	v_cndmask_b32_e64 v11, 0, 1, vcc
	v_lshlrev_b32_e32 v11, 2, v11
	v_add_lshl_u32 v31, v11, v5, 2
	ds_bpermute_b32 v11, v31, v6
	v_cmp_le_u32_e32 vcc, v32, v10
	v_add_u32_e32 v37, 16, v27
	v_add_u32_e32 v39, 32, v27
	s_waitcnt lgkmcnt(0)
	v_cndmask_b32_e32 v11, 0, v11, vcc
	v_cmp_gt_u32_e32 vcc, 56, v27
	v_add_u32_e32 v6, v6, v11
	v_cndmask_b32_e64 v11, 0, 1, vcc
	v_lshlrev_b32_e32 v11, 3, v11
	v_add_lshl_u32 v33, v11, v5, 2
	ds_bpermute_b32 v11, v33, v6
	v_cmp_le_u32_e32 vcc, v34, v10
	s_waitcnt lgkmcnt(0)
	v_cndmask_b32_e32 v11, 0, v11, vcc
	v_cmp_gt_u32_e32 vcc, 48, v27
	v_add_u32_e32 v6, v6, v11
	v_cndmask_b32_e64 v11, 0, 1, vcc
	v_lshlrev_b32_e32 v11, 4, v11
	v_add_lshl_u32 v36, v11, v5, 2
	ds_bpermute_b32 v11, v36, v6
	v_cmp_le_u32_e32 vcc, v37, v10
	;; [unrolled: 9-line block ×3, first 2 shown]
	s_waitcnt lgkmcnt(0)
	v_cndmask_b32_e32 v5, 0, v5, vcc
	v_add_u32_e32 v6, v6, v5
	v_mov_b32_e32 v5, 0
	s_branch .LBB806_38
.LBB806_37:                             ;   in Loop: Header=BB806_38 Depth=1
	s_or_b64 exec, exec, s[18:19]
	v_cmp_eq_u16_sdwa s[18:19], v7, v3 src0_sel:BYTE_0 src1_sel:DWORD
	v_and_b32_e32 v10, s19, v9
	v_or_b32_e32 v10, 0x80000000, v10
	ds_bpermute_b32 v40, v28, v6
	v_and_b32_e32 v11, s18, v8
	v_ffbl_b32_e32 v10, v10
	v_add_u32_e32 v10, 32, v10
	v_ffbl_b32_e32 v11, v11
	v_min_u32_e32 v10, v11, v10
	v_cmp_lt_u32_e32 vcc, v27, v10
	s_waitcnt lgkmcnt(0)
	v_cndmask_b32_e32 v11, 0, v40, vcc
	v_add_u32_e32 v6, v11, v6
	ds_bpermute_b32 v11, v29, v6
	v_cmp_le_u32_e32 vcc, v30, v10
	v_subrev_u32_e32 v4, 64, v4
	s_waitcnt lgkmcnt(0)
	v_cndmask_b32_e32 v11, 0, v11, vcc
	v_add_u32_e32 v6, v6, v11
	ds_bpermute_b32 v11, v31, v6
	v_cmp_le_u32_e32 vcc, v32, v10
	s_waitcnt lgkmcnt(0)
	v_cndmask_b32_e32 v11, 0, v11, vcc
	v_add_u32_e32 v6, v6, v11
	ds_bpermute_b32 v11, v33, v6
	v_cmp_le_u32_e32 vcc, v34, v10
	;; [unrolled: 5-line block ×4, first 2 shown]
	s_waitcnt lgkmcnt(0)
	v_cndmask_b32_e32 v10, 0, v11, vcc
	v_add3_u32 v6, v10, v35, v6
.LBB806_38:                             ; =>This Loop Header: Depth=1
                                        ;     Child Loop BB806_41 Depth 2
	v_cmp_ne_u16_sdwa s[18:19], v7, v3 src0_sel:BYTE_0 src1_sel:DWORD
	v_cndmask_b32_e64 v7, 0, 1, s[18:19]
	;;#ASMSTART
	;;#ASMEND
	v_cmp_ne_u32_e32 vcc, 0, v7
	s_cmp_lg_u64 vcc, exec
	v_mov_b32_e32 v35, v6
	s_cbranch_scc1 .LBB806_43
; %bb.39:                               ;   in Loop: Header=BB806_38 Depth=1
	v_lshlrev_b64 v[6:7], 3, v[4:5]
	v_mov_b32_e32 v11, s25
	v_add_co_u32_e32 v10, vcc, s24, v6
	v_addc_co_u32_e32 v11, vcc, v11, v7, vcc
	global_load_dwordx2 v[6:7], v[10:11], off glc
	s_waitcnt vmcnt(0)
	v_cmp_eq_u16_sdwa s[20:21], v7, v5 src0_sel:BYTE_0 src1_sel:DWORD
	s_and_saveexec_b64 s[18:19], s[20:21]
	s_cbranch_execz .LBB806_37
; %bb.40:                               ;   in Loop: Header=BB806_38 Depth=1
	s_mov_b64 s[20:21], 0
.LBB806_41:                             ;   Parent Loop BB806_38 Depth=1
                                        ; =>  This Inner Loop Header: Depth=2
	global_load_dwordx2 v[6:7], v[10:11], off glc
	s_waitcnt vmcnt(0)
	v_cmp_ne_u16_sdwa s[22:23], v7, v5 src0_sel:BYTE_0 src1_sel:DWORD
	s_or_b64 s[20:21], s[22:23], s[20:21]
	s_andn2_b64 exec, exec, s[20:21]
	s_cbranch_execnz .LBB806_41
; %bb.42:                               ;   in Loop: Header=BB806_38 Depth=1
	s_or_b64 exec, exec, s[20:21]
	s_branch .LBB806_37
.LBB806_43:                             ;   in Loop: Header=BB806_38 Depth=1
                                        ; implicit-def: $vgpr6
                                        ; implicit-def: $vgpr7
	s_cbranch_execz .LBB806_38
; %bb.44:
	s_and_saveexec_b64 s[18:19], s[2:3]
	s_cbranch_execz .LBB806_46
; %bb.45:
	s_add_i32 s2, s6, 64
	s_mov_b32 s3, 0
	s_lshl_b64 s[2:3], s[2:3], 3
	s_add_u32 s2, s24, s2
	v_add_u32_e32 v2, v35, v2
	v_mov_b32_e32 v3, 2
	s_addc_u32 s3, s25, s3
	v_mov_b32_e32 v4, 0
	global_store_dwordx2 v4, v[2:3], s[2:3]
.LBB806_46:
	s_or_b64 exec, exec, s[18:19]
	s_and_b64 exec, exec, s[0:1]
	s_cbranch_execz .LBB806_48
; %bb.47:
	v_mov_b32_e32 v2, 0
	ds_write_b32 v2, v35
.LBB806_48:
	s_or_b64 exec, exec, s[16:17]
	v_mov_b32_e32 v2, 0
	s_waitcnt lgkmcnt(0)
	s_barrier
	ds_read_b32 v2, v2
	s_waitcnt lgkmcnt(0)
	v_add_u32_e32 v2, v2, v26
	v_add_u32_e32 v3, v2, v16
	;; [unrolled: 1-line block ×10, first 2 shown]
	s_load_dwordx8 s[16:23], s[4:5], 0x38
	s_branch .LBB806_59
.LBB806_49:
                                        ; implicit-def: $vgpr2_vgpr3_vgpr4_vgpr5_vgpr6_vgpr7_vgpr8_vgpr9_vgpr10_vgpr11
	s_load_dwordx8 s[16:23], s[4:5], 0x38
	s_cbranch_execz .LBB806_59
; %bb.50:
	s_load_dword s0, s[4:5], 0x20
	s_waitcnt lgkmcnt(0)
	s_cmp_eq_u64 s[20:21], 0
	v_mov_b32_e32 v26, s0
	s_cbranch_scc1 .LBB806_52
; %bb.51:
	v_mov_b32_e32 v3, s28
	v_add_co_u32_e64 v2, vcc, -4, s27
	v_addc_co_u32_e32 v3, vcc, -1, v3, vcc
	v_mov_b32_e32 v4, 0
	flat_load_dword v5, v[2:3]
	global_load_dword v6, v4, s[16:17]
	s_waitcnt vmcnt(0) lgkmcnt(0)
	v_add_u32_e32 v26, v6, v5
.LBB806_52:
	v_add3_u32 v2, v25, v12, v13
	v_add3_u32 v2, v2, v14, v15
	;; [unrolled: 1-line block ×3, first 2 shown]
	v_add_lshl_u32 v3, v24, v0, 2
	v_cmp_gt_u32_e32 vcc, 64, v0
	ds_write_b32 v3, v2
	s_waitcnt lgkmcnt(0)
	s_barrier
	s_and_saveexec_b64 s[0:1], vcc
	s_cbranch_execz .LBB806_54
; %bb.53:
	v_lshlrev_b32_e32 v3, 1, v0
	v_lshrrev_b32_e32 v4, 4, v0
	v_add_lshl_u32 v3, v4, v3, 2
	ds_read2_b32 v[4:5], v3 offset1:1
	v_mbcnt_lo_u32_b32 v6, -1, 0
	v_mbcnt_hi_u32_b32 v6, -1, v6
	v_and_b32_e32 v7, 15, v6
	v_cmp_ne_u32_e32 vcc, 0, v7
	s_waitcnt lgkmcnt(0)
	v_add_u32_e32 v5, v5, v4
	; wave barrier
	s_nop 1
	v_mov_b32_dpp v8, v5 row_shr:1 row_mask:0xf bank_mask:0xf
	v_cndmask_b32_e32 v8, 0, v8, vcc
	v_add_u32_e32 v5, v8, v5
	v_cmp_lt_u32_e32 vcc, 1, v7
	s_nop 0
	v_mov_b32_dpp v8, v5 row_shr:2 row_mask:0xf bank_mask:0xf
	v_cndmask_b32_e32 v8, 0, v8, vcc
	v_add_u32_e32 v5, v5, v8
	v_cmp_lt_u32_e32 vcc, 3, v7
	s_nop 0
	v_mov_b32_dpp v8, v5 row_shr:4 row_mask:0xf bank_mask:0xf
	v_cndmask_b32_e32 v8, 0, v8, vcc
	v_add_u32_e32 v5, v5, v8
	v_cmp_lt_u32_e32 vcc, 7, v7
	s_nop 0
	v_mov_b32_dpp v8, v5 row_shr:8 row_mask:0xf bank_mask:0xf
	v_cndmask_b32_e32 v7, 0, v8, vcc
	v_add_u32_e32 v5, v5, v7
	v_bfe_i32 v8, v6, 4, 1
	v_cmp_lt_u32_e32 vcc, 31, v6
	v_mov_b32_dpp v7, v5 row_bcast:15 row_mask:0xf bank_mask:0xf
	v_and_b32_e32 v7, v8, v7
	v_add_u32_e32 v5, v5, v7
	v_and_b32_e32 v8, 64, v6
	s_nop 0
	v_mov_b32_dpp v7, v5 row_bcast:31 row_mask:0xf bank_mask:0xf
	v_cndmask_b32_e32 v7, 0, v7, vcc
	v_add_u32_e32 v5, v5, v7
	v_add_u32_e32 v7, -1, v6
	v_cmp_lt_i32_e32 vcc, v7, v8
	v_cndmask_b32_e32 v6, v7, v6, vcc
	v_lshlrev_b32_e32 v6, 2, v6
	ds_bpermute_b32 v5, v6, v5
	v_cmp_eq_u32_e32 vcc, 0, v0
	s_waitcnt lgkmcnt(0)
	v_add_u32_e32 v4, v5, v4
	v_cndmask_b32_e32 v2, v4, v2, vcc
	ds_write_b32 v3, v2
	; wave barrier
	ds_read_b32 v4, v3 offset:4
	s_waitcnt lgkmcnt(0)
	v_add_u32_e32 v2, v4, v2
	ds_write_b32 v3, v2 offset:4
.LBB806_54:
	s_or_b64 exec, exec, s[0:1]
	v_cmp_eq_u32_e32 vcc, 0, v0
	v_cmp_ne_u32_e64 s[0:1], 0, v0
	v_mov_b32_e32 v2, v26
	s_waitcnt lgkmcnt(0)
	s_barrier
	s_and_saveexec_b64 s[2:3], s[0:1]
	s_cbranch_execz .LBB806_56
; %bb.55:
	v_add_u32_e32 v2, -1, v0
	v_lshrrev_b32_e32 v3, 5, v2
	v_add_lshl_u32 v2, v3, v2, 2
	ds_read_b32 v2, v2
	s_waitcnt lgkmcnt(0)
	v_add_u32_e32 v2, v2, v26
.LBB806_56:
	s_or_b64 exec, exec, s[2:3]
	v_add_u32_e32 v3, v2, v16
	v_add_u32_e32 v4, v3, v17
	;; [unrolled: 1-line block ×9, first 2 shown]
	s_and_saveexec_b64 s[0:1], vcc
	s_cbranch_execz .LBB806_58
; %bb.57:
	v_mov_b32_e32 v14, 0
	ds_read_b32 v12, v14 offset:520
	v_mov_b32_e32 v13, 2
	s_waitcnt lgkmcnt(0)
	v_add_u32_e32 v12, v12, v26
	global_store_dwordx2 v14, v[12:13], s[24:25] offset:512
.LBB806_58:
	s_or_b64 exec, exec, s[0:1]
.LBB806_59:
	s_add_u32 s0, s12, s10
	s_addc_u32 s1, s13, s11
	s_add_u32 s2, s0, s14
	s_addc_u32 s3, s1, s15
	s_mov_b64 s[0:1], -1
	s_and_b64 vcc, exec, s[8:9]
	s_waitcnt lgkmcnt(0)
	s_barrier
	s_cbranch_vccz .LBB806_61
; %bb.60:
	ds_write2_b64 v1, v[2:3], v[4:5] offset1:1
	ds_write2_b64 v1, v[6:7], v[8:9] offset0:2 offset1:3
	ds_write_b64 v1, v[10:11] offset:32
	s_waitcnt lgkmcnt(0)
	s_barrier
	ds_read2st64_b32 v[12:13], v22 offset1:2
	ds_read2st64_b32 v[14:15], v22 offset0:4 offset1:6
	ds_read2st64_b32 v[16:17], v22 offset0:8 offset1:10
	;; [unrolled: 1-line block ×4, first 2 shown]
	v_mov_b32_e32 v25, s3
	v_add_co_u32_e32 v24, vcc, s2, v22
	v_addc_co_u32_e32 v25, vcc, 0, v25, vcc
	s_waitcnt lgkmcnt(4)
	flat_store_dword v[24:25], v12
	flat_store_dword v[24:25], v13 offset:512
	s_waitcnt lgkmcnt(0)
	flat_store_dword v[24:25], v14 offset:1024
	flat_store_dword v[24:25], v15 offset:1536
	;; [unrolled: 1-line block ×6, first 2 shown]
	v_add_co_u32_e32 v12, vcc, 0x1000, v24
	v_addc_co_u32_e32 v13, vcc, 0, v25, vcc
	flat_store_dword v[12:13], v20
	flat_store_dword v[12:13], v21 offset:512
	s_mov_b64 s[0:1], 0
.LBB806_61:
	s_andn2_b64 vcc, exec, s[0:1]
	s_cbranch_vccnz .LBB806_117
; %bb.62:
	ds_write2_b64 v1, v[2:3], v[4:5] offset1:1
	ds_write2_b64 v1, v[6:7], v[8:9] offset0:2 offset1:3
	ds_write_b64 v1, v[10:11] offset:32
	s_waitcnt lgkmcnt(0)
	s_barrier
	ds_read2st64_b32 v[2:3], v22 offset1:2
	ds_read2st64_b32 v[6:7], v22 offset0:4 offset1:6
	ds_read2st64_b32 v[4:5], v22 offset0:8 offset1:10
	;; [unrolled: 1-line block ×4, first 2 shown]
	v_mov_b32_e32 v13, s3
	v_add_co_u32_e32 v12, vcc, s2, v22
	v_addc_co_u32_e32 v13, vcc, 0, v13, vcc
	v_mov_b32_e32 v1, 0
	v_cmp_gt_u32_e32 vcc, s7, v0
	s_and_saveexec_b64 s[0:1], vcc
	s_cbranch_execz .LBB806_64
; %bb.63:
	s_waitcnt lgkmcnt(0)
	flat_store_dword v[12:13], v2
.LBB806_64:
	s_or_b64 exec, exec, s[0:1]
	v_or_b32_e32 v14, 0x80, v0
	v_cmp_gt_u32_e32 vcc, s7, v14
	s_and_saveexec_b64 s[0:1], vcc
	s_cbranch_execz .LBB806_66
; %bb.65:
	s_waitcnt lgkmcnt(0)
	flat_store_dword v[12:13], v3 offset:512
.LBB806_66:
	s_or_b64 exec, exec, s[0:1]
	v_or_b32_e32 v14, 0x100, v0
	v_cmp_gt_u32_e32 vcc, s7, v14
	s_and_saveexec_b64 s[0:1], vcc
	s_cbranch_execz .LBB806_68
; %bb.67:
	s_waitcnt lgkmcnt(0)
	flat_store_dword v[12:13], v6 offset:1024
.LBB806_68:
	s_or_b64 exec, exec, s[0:1]
	v_or_b32_e32 v14, 0x180, v0
	v_cmp_gt_u32_e32 vcc, s7, v14
	s_and_saveexec_b64 s[0:1], vcc
	s_cbranch_execz .LBB806_70
; %bb.69:
	s_waitcnt lgkmcnt(0)
	flat_store_dword v[12:13], v7 offset:1536
.LBB806_70:
	s_or_b64 exec, exec, s[0:1]
	v_or_b32_e32 v14, 0x200, v0
	v_cmp_gt_u32_e32 vcc, s7, v14
	s_and_saveexec_b64 s[0:1], vcc
	s_cbranch_execz .LBB806_72
; %bb.71:
	s_waitcnt lgkmcnt(0)
	flat_store_dword v[12:13], v4 offset:2048
.LBB806_72:
	s_or_b64 exec, exec, s[0:1]
	v_or_b32_e32 v14, 0x280, v0
	v_cmp_gt_u32_e32 vcc, s7, v14
	s_and_saveexec_b64 s[0:1], vcc
	s_cbranch_execz .LBB806_74
; %bb.73:
	s_waitcnt lgkmcnt(0)
	flat_store_dword v[12:13], v5 offset:2560
.LBB806_74:
	s_or_b64 exec, exec, s[0:1]
	v_or_b32_e32 v14, 0x300, v0
	v_cmp_gt_u32_e32 vcc, s7, v14
	s_and_saveexec_b64 s[0:1], vcc
	s_cbranch_execz .LBB806_76
; %bb.75:
	s_waitcnt lgkmcnt(0)
	flat_store_dword v[12:13], v8 offset:3072
.LBB806_76:
	s_or_b64 exec, exec, s[0:1]
	v_or_b32_e32 v14, 0x380, v0
	v_cmp_gt_u32_e32 vcc, s7, v14
	s_and_saveexec_b64 s[0:1], vcc
	s_cbranch_execz .LBB806_78
; %bb.77:
	s_waitcnt lgkmcnt(0)
	flat_store_dword v[12:13], v9 offset:3584
.LBB806_78:
	s_or_b64 exec, exec, s[0:1]
	v_or_b32_e32 v14, 0x400, v0
	v_cmp_gt_u32_e32 vcc, s7, v14
	s_and_saveexec_b64 s[0:1], vcc
	s_cbranch_execz .LBB806_80
; %bb.79:
	v_add_co_u32_e32 v14, vcc, 0x1000, v12
	v_addc_co_u32_e32 v15, vcc, 0, v13, vcc
	s_waitcnt lgkmcnt(0)
	flat_store_dword v[14:15], v10
.LBB806_80:
	s_or_b64 exec, exec, s[0:1]
	v_or_b32_e32 v14, 0x480, v0
	v_cmp_gt_u32_e32 vcc, s7, v14
	s_and_saveexec_b64 s[0:1], vcc
	s_cbranch_execz .LBB806_82
; %bb.81:
	v_add_co_u32_e32 v12, vcc, 0x1000, v12
	v_addc_co_u32_e32 v13, vcc, 0, v13, vcc
	s_waitcnt lgkmcnt(0)
	flat_store_dword v[12:13], v11 offset:512
.LBB806_82:
	s_or_b64 exec, exec, s[0:1]
	v_cmp_lt_u64_e64 s[0:1], s[22:23], 2
	s_and_b64 vcc, exec, s[0:1]
	s_cbranch_vccnz .LBB806_117
; %bb.83:
	s_add_u32 s0, s7, -1
	s_addc_u32 s1, s26, -1
	s_add_u32 s2, 0, 0x99986000
	s_addc_u32 s3, 0, 0x59
	s_add_i32 s3, s3, 0x19999940
	s_mul_hi_u32 s7, s2, -10
	s_sub_i32 s7, s7, s2
	s_mul_i32 s8, s3, -10
	s_mul_i32 s4, s2, -10
	s_add_i32 s7, s7, s8
	s_mul_hi_u32 s5, s3, s4
	s_mul_i32 s6, s3, s4
	s_mul_i32 s9, s2, s7
	s_mul_hi_u32 s4, s2, s4
	s_mul_hi_u32 s8, s2, s7
	s_add_u32 s4, s4, s9
	s_addc_u32 s8, 0, s8
	s_add_u32 s4, s4, s6
	s_mul_hi_u32 s9, s3, s7
	s_addc_u32 s4, s8, s5
	s_addc_u32 s5, s9, 0
	s_mul_i32 s6, s3, s7
	s_add_u32 s4, s4, s6
	v_mov_b32_e32 v12, s4
	s_addc_u32 s5, 0, s5
	v_add_co_u32_e32 v12, vcc, s2, v12
	s_cmp_lg_u64 vcc, 0
	s_addc_u32 s2, s3, s5
	v_readfirstlane_b32 s5, v12
	s_mul_i32 s4, s0, s2
	s_mul_hi_u32 s6, s0, s5
	s_mul_hi_u32 s3, s0, s2
	s_add_u32 s4, s6, s4
	s_addc_u32 s3, 0, s3
	s_mul_hi_u32 s7, s1, s5
	s_mul_i32 s5, s1, s5
	s_add_u32 s4, s4, s5
	s_mul_hi_u32 s6, s1, s2
	s_addc_u32 s3, s3, s7
	s_addc_u32 s4, s6, 0
	s_mul_i32 s2, s1, s2
	s_add_u32 s2, s3, s2
	s_addc_u32 s3, 0, s4
	s_add_u32 s4, s2, 1
	s_addc_u32 s5, s3, 0
	s_add_u32 s6, s2, 2
	s_mul_i32 s8, s3, 10
	s_mul_hi_u32 s9, s2, 10
	s_addc_u32 s7, s3, 0
	s_add_i32 s9, s9, s8
	s_mul_i32 s8, s2, 10
	v_mov_b32_e32 v12, s8
	v_sub_co_u32_e32 v12, vcc, s0, v12
	s_cmp_lg_u64 vcc, 0
	s_subb_u32 s8, s1, s9
	v_subrev_co_u32_e32 v13, vcc, 10, v12
	s_cmp_lg_u64 vcc, 0
	s_subb_u32 s9, s8, 0
	v_readfirstlane_b32 s10, v13
	s_cmp_gt_u32 s10, 9
	s_cselect_b32 s10, -1, 0
	s_cmp_eq_u32 s9, 0
	s_cselect_b32 s9, s10, -1
	s_cmp_lg_u32 s9, 0
	s_cselect_b32 s4, s6, s4
	v_readfirstlane_b32 s6, v12
	s_cselect_b32 s5, s7, s5
	s_cmp_gt_u32 s6, 9
	s_cselect_b32 s6, -1, 0
	s_cmp_eq_u32 s8, 0
	s_cselect_b32 s6, s6, -1
	s_cmp_lg_u32 s6, 0
	s_cselect_b32 s3, s5, s3
	s_cselect_b32 s2, s4, s2
	v_cmp_eq_u64_e32 vcc, s[2:3], v[0:1]
	s_and_saveexec_b64 s[2:3], vcc
	s_cbranch_execz .LBB806_117
; %bb.84:
	v_mul_hi_u32_u24_e32 v1, 10, v0
	v_mov_b32_e32 v12, s1
	v_sub_co_u32_e32 v0, vcc, s0, v23
	v_subb_co_u32_e32 v1, vcc, v12, v1, vcc
	v_cmp_lt_i64_e32 vcc, 4, v[0:1]
	s_and_saveexec_b64 s[0:1], vcc
	s_xor_b64 s[0:1], exec, s[0:1]
	s_cbranch_execz .LBB806_102
; %bb.85:
	v_cmp_lt_i64_e32 vcc, 6, v[0:1]
	s_and_saveexec_b64 s[2:3], vcc
	s_xor_b64 s[2:3], exec, s[2:3]
	s_cbranch_execz .LBB806_95
; %bb.86:
	;; [unrolled: 5-line block ×4, first 2 shown]
	v_mov_b32_e32 v0, 0
	s_waitcnt lgkmcnt(0)
	global_store_dword v0, v11, s[18:19]
                                        ; implicit-def: $vgpr10_vgpr11
.LBB806_89:
	s_andn2_saveexec_b64 s[6:7], s[6:7]
	s_cbranch_execz .LBB806_91
; %bb.90:
	v_mov_b32_e32 v0, 0
	s_waitcnt lgkmcnt(0)
	global_store_dword v0, v10, s[18:19]
.LBB806_91:
	s_or_b64 exec, exec, s[6:7]
                                        ; implicit-def: $vgpr8_vgpr9
.LBB806_92:
	s_andn2_saveexec_b64 s[4:5], s[4:5]
	s_cbranch_execz .LBB806_94
; %bb.93:
	v_mov_b32_e32 v0, 0
	s_waitcnt lgkmcnt(0)
	global_store_dword v0, v9, s[18:19]
.LBB806_94:
	s_or_b64 exec, exec, s[4:5]
                                        ; implicit-def: $vgpr4_vgpr5
                                        ; implicit-def: $vgpr0_vgpr1
                                        ; implicit-def: $vgpr8_vgpr9
.LBB806_95:
	s_andn2_saveexec_b64 s[2:3], s[2:3]
	s_cbranch_execz .LBB806_101
; %bb.96:
	v_cmp_lt_i64_e32 vcc, 5, v[0:1]
	s_and_saveexec_b64 s[4:5], vcc
	s_xor_b64 s[4:5], exec, s[4:5]
	s_cbranch_execz .LBB806_98
; %bb.97:
	v_mov_b32_e32 v0, 0
	s_waitcnt lgkmcnt(0)
	global_store_dword v0, v8, s[18:19]
                                        ; implicit-def: $vgpr4_vgpr5
.LBB806_98:
	s_andn2_saveexec_b64 s[4:5], s[4:5]
	s_cbranch_execz .LBB806_100
; %bb.99:
	v_mov_b32_e32 v0, 0
	s_waitcnt lgkmcnt(0)
	global_store_dword v0, v5, s[18:19]
.LBB806_100:
	s_or_b64 exec, exec, s[4:5]
.LBB806_101:
	s_or_b64 exec, exec, s[2:3]
                                        ; implicit-def: $vgpr0_vgpr1
                                        ; implicit-def: $vgpr6_vgpr7
                                        ; implicit-def: $vgpr2_vgpr3
                                        ; implicit-def: $vgpr4_vgpr5
.LBB806_102:
	s_andn2_saveexec_b64 s[0:1], s[0:1]
	s_cbranch_execz .LBB806_117
; %bb.103:
	v_cmp_lt_i64_e32 vcc, 2, v[0:1]
	s_and_saveexec_b64 s[0:1], vcc
	s_xor_b64 s[0:1], exec, s[0:1]
	s_cbranch_execz .LBB806_109
; %bb.104:
	v_cmp_lt_i64_e32 vcc, 3, v[0:1]
	s_and_saveexec_b64 s[2:3], vcc
	s_xor_b64 s[2:3], exec, s[2:3]
	s_cbranch_execz .LBB806_106
; %bb.105:
	v_mov_b32_e32 v0, 0
	s_waitcnt lgkmcnt(0)
	global_store_dword v0, v4, s[18:19]
                                        ; implicit-def: $vgpr6_vgpr7
.LBB806_106:
	s_andn2_saveexec_b64 s[2:3], s[2:3]
	s_cbranch_execz .LBB806_108
; %bb.107:
	v_mov_b32_e32 v0, 0
	s_waitcnt lgkmcnt(0)
	global_store_dword v0, v7, s[18:19]
.LBB806_108:
	s_or_b64 exec, exec, s[2:3]
                                        ; implicit-def: $vgpr0_vgpr1
                                        ; implicit-def: $vgpr6_vgpr7
                                        ; implicit-def: $vgpr2_vgpr3
.LBB806_109:
	s_andn2_saveexec_b64 s[0:1], s[0:1]
	s_cbranch_execz .LBB806_117
; %bb.110:
	v_cmp_lt_i64_e32 vcc, 1, v[0:1]
	s_and_saveexec_b64 s[0:1], vcc
	s_xor_b64 s[0:1], exec, s[0:1]
	s_cbranch_execz .LBB806_112
; %bb.111:
	v_mov_b32_e32 v0, 0
	s_waitcnt lgkmcnt(0)
	global_store_dword v0, v6, s[18:19]
                                        ; implicit-def: $vgpr2_vgpr3
                                        ; implicit-def: $vgpr0_vgpr1
.LBB806_112:
	s_andn2_saveexec_b64 s[0:1], s[0:1]
	s_cbranch_execz .LBB806_117
; %bb.113:
	v_cmp_ne_u64_e32 vcc, 1, v[0:1]
	s_and_saveexec_b64 s[0:1], vcc
	s_xor_b64 s[0:1], exec, s[0:1]
	s_cbranch_execz .LBB806_115
; %bb.114:
	v_mov_b32_e32 v0, 0
	s_waitcnt lgkmcnt(0)
	global_store_dword v0, v2, s[18:19]
                                        ; implicit-def: $vgpr2_vgpr3
.LBB806_115:
	s_andn2_saveexec_b64 s[0:1], s[0:1]
	s_cbranch_execz .LBB806_117
; %bb.116:
	v_mov_b32_e32 v0, 0
	s_waitcnt lgkmcnt(0)
	global_store_dword v0, v3, s[18:19]
.LBB806_117:
	s_endpgm
	.section	.rodata,"a",@progbits
	.p2align	6, 0x0
	.amdhsa_kernel _ZN7rocprim17ROCPRIM_400000_NS6detail17trampoline_kernelINS0_14default_configENS1_20scan_config_selectorIiEEZZNS1_9scan_implILNS1_25lookback_scan_determinismE0ELb1ELb1ES3_N6thrust23THRUST_200600_302600_NS6detail15normal_iteratorINS9_10device_ptrIiEEEESE_iNS9_4plusIvEEiEEDaPvRmT3_T4_T5_mT6_P12ihipStream_tbENKUlT_T0_E_clISt17integral_constantIbLb0EESU_EEDaSP_SQ_EUlSP_E_NS1_11comp_targetILNS1_3genE4ELNS1_11target_archE910ELNS1_3gpuE8ELNS1_3repE0EEENS1_30default_config_static_selectorELNS0_4arch9wavefront6targetE1EEEvT1_
		.amdhsa_group_segment_fixed_size 5120
		.amdhsa_private_segment_fixed_size 0
		.amdhsa_kernarg_size 96
		.amdhsa_user_sgpr_count 6
		.amdhsa_user_sgpr_private_segment_buffer 1
		.amdhsa_user_sgpr_dispatch_ptr 0
		.amdhsa_user_sgpr_queue_ptr 0
		.amdhsa_user_sgpr_kernarg_segment_ptr 1
		.amdhsa_user_sgpr_dispatch_id 0
		.amdhsa_user_sgpr_flat_scratch_init 0
		.amdhsa_user_sgpr_kernarg_preload_length 0
		.amdhsa_user_sgpr_kernarg_preload_offset 0
		.amdhsa_user_sgpr_private_segment_size 0
		.amdhsa_uses_dynamic_stack 0
		.amdhsa_system_sgpr_private_segment_wavefront_offset 0
		.amdhsa_system_sgpr_workgroup_id_x 1
		.amdhsa_system_sgpr_workgroup_id_y 0
		.amdhsa_system_sgpr_workgroup_id_z 0
		.amdhsa_system_sgpr_workgroup_info 0
		.amdhsa_system_vgpr_workitem_id 0
		.amdhsa_next_free_vgpr 41
		.amdhsa_next_free_sgpr 29
		.amdhsa_accum_offset 44
		.amdhsa_reserve_vcc 1
		.amdhsa_reserve_flat_scratch 0
		.amdhsa_float_round_mode_32 0
		.amdhsa_float_round_mode_16_64 0
		.amdhsa_float_denorm_mode_32 3
		.amdhsa_float_denorm_mode_16_64 3
		.amdhsa_dx10_clamp 1
		.amdhsa_ieee_mode 1
		.amdhsa_fp16_overflow 0
		.amdhsa_tg_split 0
		.amdhsa_exception_fp_ieee_invalid_op 0
		.amdhsa_exception_fp_denorm_src 0
		.amdhsa_exception_fp_ieee_div_zero 0
		.amdhsa_exception_fp_ieee_overflow 0
		.amdhsa_exception_fp_ieee_underflow 0
		.amdhsa_exception_fp_ieee_inexact 0
		.amdhsa_exception_int_div_zero 0
	.end_amdhsa_kernel
	.section	.text._ZN7rocprim17ROCPRIM_400000_NS6detail17trampoline_kernelINS0_14default_configENS1_20scan_config_selectorIiEEZZNS1_9scan_implILNS1_25lookback_scan_determinismE0ELb1ELb1ES3_N6thrust23THRUST_200600_302600_NS6detail15normal_iteratorINS9_10device_ptrIiEEEESE_iNS9_4plusIvEEiEEDaPvRmT3_T4_T5_mT6_P12ihipStream_tbENKUlT_T0_E_clISt17integral_constantIbLb0EESU_EEDaSP_SQ_EUlSP_E_NS1_11comp_targetILNS1_3genE4ELNS1_11target_archE910ELNS1_3gpuE8ELNS1_3repE0EEENS1_30default_config_static_selectorELNS0_4arch9wavefront6targetE1EEEvT1_,"axG",@progbits,_ZN7rocprim17ROCPRIM_400000_NS6detail17trampoline_kernelINS0_14default_configENS1_20scan_config_selectorIiEEZZNS1_9scan_implILNS1_25lookback_scan_determinismE0ELb1ELb1ES3_N6thrust23THRUST_200600_302600_NS6detail15normal_iteratorINS9_10device_ptrIiEEEESE_iNS9_4plusIvEEiEEDaPvRmT3_T4_T5_mT6_P12ihipStream_tbENKUlT_T0_E_clISt17integral_constantIbLb0EESU_EEDaSP_SQ_EUlSP_E_NS1_11comp_targetILNS1_3genE4ELNS1_11target_archE910ELNS1_3gpuE8ELNS1_3repE0EEENS1_30default_config_static_selectorELNS0_4arch9wavefront6targetE1EEEvT1_,comdat
.Lfunc_end806:
	.size	_ZN7rocprim17ROCPRIM_400000_NS6detail17trampoline_kernelINS0_14default_configENS1_20scan_config_selectorIiEEZZNS1_9scan_implILNS1_25lookback_scan_determinismE0ELb1ELb1ES3_N6thrust23THRUST_200600_302600_NS6detail15normal_iteratorINS9_10device_ptrIiEEEESE_iNS9_4plusIvEEiEEDaPvRmT3_T4_T5_mT6_P12ihipStream_tbENKUlT_T0_E_clISt17integral_constantIbLb0EESU_EEDaSP_SQ_EUlSP_E_NS1_11comp_targetILNS1_3genE4ELNS1_11target_archE910ELNS1_3gpuE8ELNS1_3repE0EEENS1_30default_config_static_selectorELNS0_4arch9wavefront6targetE1EEEvT1_, .Lfunc_end806-_ZN7rocprim17ROCPRIM_400000_NS6detail17trampoline_kernelINS0_14default_configENS1_20scan_config_selectorIiEEZZNS1_9scan_implILNS1_25lookback_scan_determinismE0ELb1ELb1ES3_N6thrust23THRUST_200600_302600_NS6detail15normal_iteratorINS9_10device_ptrIiEEEESE_iNS9_4plusIvEEiEEDaPvRmT3_T4_T5_mT6_P12ihipStream_tbENKUlT_T0_E_clISt17integral_constantIbLb0EESU_EEDaSP_SQ_EUlSP_E_NS1_11comp_targetILNS1_3genE4ELNS1_11target_archE910ELNS1_3gpuE8ELNS1_3repE0EEENS1_30default_config_static_selectorELNS0_4arch9wavefront6targetE1EEEvT1_
                                        ; -- End function
	.section	.AMDGPU.csdata,"",@progbits
; Kernel info:
; codeLenInByte = 4404
; NumSgprs: 33
; NumVgprs: 41
; NumAgprs: 0
; TotalNumVgprs: 41
; ScratchSize: 0
; MemoryBound: 0
; FloatMode: 240
; IeeeMode: 1
; LDSByteSize: 5120 bytes/workgroup (compile time only)
; SGPRBlocks: 4
; VGPRBlocks: 5
; NumSGPRsForWavesPerEU: 33
; NumVGPRsForWavesPerEU: 41
; AccumOffset: 44
; Occupancy: 6
; WaveLimiterHint : 1
; COMPUTE_PGM_RSRC2:SCRATCH_EN: 0
; COMPUTE_PGM_RSRC2:USER_SGPR: 6
; COMPUTE_PGM_RSRC2:TRAP_HANDLER: 0
; COMPUTE_PGM_RSRC2:TGID_X_EN: 1
; COMPUTE_PGM_RSRC2:TGID_Y_EN: 0
; COMPUTE_PGM_RSRC2:TGID_Z_EN: 0
; COMPUTE_PGM_RSRC2:TIDIG_COMP_CNT: 0
; COMPUTE_PGM_RSRC3_GFX90A:ACCUM_OFFSET: 10
; COMPUTE_PGM_RSRC3_GFX90A:TG_SPLIT: 0
	.section	.text._ZN7rocprim17ROCPRIM_400000_NS6detail17trampoline_kernelINS0_14default_configENS1_20scan_config_selectorIiEEZZNS1_9scan_implILNS1_25lookback_scan_determinismE0ELb1ELb1ES3_N6thrust23THRUST_200600_302600_NS6detail15normal_iteratorINS9_10device_ptrIiEEEESE_iNS9_4plusIvEEiEEDaPvRmT3_T4_T5_mT6_P12ihipStream_tbENKUlT_T0_E_clISt17integral_constantIbLb0EESU_EEDaSP_SQ_EUlSP_E_NS1_11comp_targetILNS1_3genE3ELNS1_11target_archE908ELNS1_3gpuE7ELNS1_3repE0EEENS1_30default_config_static_selectorELNS0_4arch9wavefront6targetE1EEEvT1_,"axG",@progbits,_ZN7rocprim17ROCPRIM_400000_NS6detail17trampoline_kernelINS0_14default_configENS1_20scan_config_selectorIiEEZZNS1_9scan_implILNS1_25lookback_scan_determinismE0ELb1ELb1ES3_N6thrust23THRUST_200600_302600_NS6detail15normal_iteratorINS9_10device_ptrIiEEEESE_iNS9_4plusIvEEiEEDaPvRmT3_T4_T5_mT6_P12ihipStream_tbENKUlT_T0_E_clISt17integral_constantIbLb0EESU_EEDaSP_SQ_EUlSP_E_NS1_11comp_targetILNS1_3genE3ELNS1_11target_archE908ELNS1_3gpuE7ELNS1_3repE0EEENS1_30default_config_static_selectorELNS0_4arch9wavefront6targetE1EEEvT1_,comdat
	.protected	_ZN7rocprim17ROCPRIM_400000_NS6detail17trampoline_kernelINS0_14default_configENS1_20scan_config_selectorIiEEZZNS1_9scan_implILNS1_25lookback_scan_determinismE0ELb1ELb1ES3_N6thrust23THRUST_200600_302600_NS6detail15normal_iteratorINS9_10device_ptrIiEEEESE_iNS9_4plusIvEEiEEDaPvRmT3_T4_T5_mT6_P12ihipStream_tbENKUlT_T0_E_clISt17integral_constantIbLb0EESU_EEDaSP_SQ_EUlSP_E_NS1_11comp_targetILNS1_3genE3ELNS1_11target_archE908ELNS1_3gpuE7ELNS1_3repE0EEENS1_30default_config_static_selectorELNS0_4arch9wavefront6targetE1EEEvT1_ ; -- Begin function _ZN7rocprim17ROCPRIM_400000_NS6detail17trampoline_kernelINS0_14default_configENS1_20scan_config_selectorIiEEZZNS1_9scan_implILNS1_25lookback_scan_determinismE0ELb1ELb1ES3_N6thrust23THRUST_200600_302600_NS6detail15normal_iteratorINS9_10device_ptrIiEEEESE_iNS9_4plusIvEEiEEDaPvRmT3_T4_T5_mT6_P12ihipStream_tbENKUlT_T0_E_clISt17integral_constantIbLb0EESU_EEDaSP_SQ_EUlSP_E_NS1_11comp_targetILNS1_3genE3ELNS1_11target_archE908ELNS1_3gpuE7ELNS1_3repE0EEENS1_30default_config_static_selectorELNS0_4arch9wavefront6targetE1EEEvT1_
	.globl	_ZN7rocprim17ROCPRIM_400000_NS6detail17trampoline_kernelINS0_14default_configENS1_20scan_config_selectorIiEEZZNS1_9scan_implILNS1_25lookback_scan_determinismE0ELb1ELb1ES3_N6thrust23THRUST_200600_302600_NS6detail15normal_iteratorINS9_10device_ptrIiEEEESE_iNS9_4plusIvEEiEEDaPvRmT3_T4_T5_mT6_P12ihipStream_tbENKUlT_T0_E_clISt17integral_constantIbLb0EESU_EEDaSP_SQ_EUlSP_E_NS1_11comp_targetILNS1_3genE3ELNS1_11target_archE908ELNS1_3gpuE7ELNS1_3repE0EEENS1_30default_config_static_selectorELNS0_4arch9wavefront6targetE1EEEvT1_
	.p2align	8
	.type	_ZN7rocprim17ROCPRIM_400000_NS6detail17trampoline_kernelINS0_14default_configENS1_20scan_config_selectorIiEEZZNS1_9scan_implILNS1_25lookback_scan_determinismE0ELb1ELb1ES3_N6thrust23THRUST_200600_302600_NS6detail15normal_iteratorINS9_10device_ptrIiEEEESE_iNS9_4plusIvEEiEEDaPvRmT3_T4_T5_mT6_P12ihipStream_tbENKUlT_T0_E_clISt17integral_constantIbLb0EESU_EEDaSP_SQ_EUlSP_E_NS1_11comp_targetILNS1_3genE3ELNS1_11target_archE908ELNS1_3gpuE7ELNS1_3repE0EEENS1_30default_config_static_selectorELNS0_4arch9wavefront6targetE1EEEvT1_,@function
_ZN7rocprim17ROCPRIM_400000_NS6detail17trampoline_kernelINS0_14default_configENS1_20scan_config_selectorIiEEZZNS1_9scan_implILNS1_25lookback_scan_determinismE0ELb1ELb1ES3_N6thrust23THRUST_200600_302600_NS6detail15normal_iteratorINS9_10device_ptrIiEEEESE_iNS9_4plusIvEEiEEDaPvRmT3_T4_T5_mT6_P12ihipStream_tbENKUlT_T0_E_clISt17integral_constantIbLb0EESU_EEDaSP_SQ_EUlSP_E_NS1_11comp_targetILNS1_3genE3ELNS1_11target_archE908ELNS1_3gpuE7ELNS1_3repE0EEENS1_30default_config_static_selectorELNS0_4arch9wavefront6targetE1EEEvT1_: ; @_ZN7rocprim17ROCPRIM_400000_NS6detail17trampoline_kernelINS0_14default_configENS1_20scan_config_selectorIiEEZZNS1_9scan_implILNS1_25lookback_scan_determinismE0ELb1ELb1ES3_N6thrust23THRUST_200600_302600_NS6detail15normal_iteratorINS9_10device_ptrIiEEEESE_iNS9_4plusIvEEiEEDaPvRmT3_T4_T5_mT6_P12ihipStream_tbENKUlT_T0_E_clISt17integral_constantIbLb0EESU_EEDaSP_SQ_EUlSP_E_NS1_11comp_targetILNS1_3genE3ELNS1_11target_archE908ELNS1_3gpuE7ELNS1_3repE0EEENS1_30default_config_static_selectorELNS0_4arch9wavefront6targetE1EEEvT1_
; %bb.0:
	.section	.rodata,"a",@progbits
	.p2align	6, 0x0
	.amdhsa_kernel _ZN7rocprim17ROCPRIM_400000_NS6detail17trampoline_kernelINS0_14default_configENS1_20scan_config_selectorIiEEZZNS1_9scan_implILNS1_25lookback_scan_determinismE0ELb1ELb1ES3_N6thrust23THRUST_200600_302600_NS6detail15normal_iteratorINS9_10device_ptrIiEEEESE_iNS9_4plusIvEEiEEDaPvRmT3_T4_T5_mT6_P12ihipStream_tbENKUlT_T0_E_clISt17integral_constantIbLb0EESU_EEDaSP_SQ_EUlSP_E_NS1_11comp_targetILNS1_3genE3ELNS1_11target_archE908ELNS1_3gpuE7ELNS1_3repE0EEENS1_30default_config_static_selectorELNS0_4arch9wavefront6targetE1EEEvT1_
		.amdhsa_group_segment_fixed_size 0
		.amdhsa_private_segment_fixed_size 0
		.amdhsa_kernarg_size 96
		.amdhsa_user_sgpr_count 6
		.amdhsa_user_sgpr_private_segment_buffer 1
		.amdhsa_user_sgpr_dispatch_ptr 0
		.amdhsa_user_sgpr_queue_ptr 0
		.amdhsa_user_sgpr_kernarg_segment_ptr 1
		.amdhsa_user_sgpr_dispatch_id 0
		.amdhsa_user_sgpr_flat_scratch_init 0
		.amdhsa_user_sgpr_kernarg_preload_length 0
		.amdhsa_user_sgpr_kernarg_preload_offset 0
		.amdhsa_user_sgpr_private_segment_size 0
		.amdhsa_uses_dynamic_stack 0
		.amdhsa_system_sgpr_private_segment_wavefront_offset 0
		.amdhsa_system_sgpr_workgroup_id_x 1
		.amdhsa_system_sgpr_workgroup_id_y 0
		.amdhsa_system_sgpr_workgroup_id_z 0
		.amdhsa_system_sgpr_workgroup_info 0
		.amdhsa_system_vgpr_workitem_id 0
		.amdhsa_next_free_vgpr 1
		.amdhsa_next_free_sgpr 0
		.amdhsa_accum_offset 4
		.amdhsa_reserve_vcc 0
		.amdhsa_reserve_flat_scratch 0
		.amdhsa_float_round_mode_32 0
		.amdhsa_float_round_mode_16_64 0
		.amdhsa_float_denorm_mode_32 3
		.amdhsa_float_denorm_mode_16_64 3
		.amdhsa_dx10_clamp 1
		.amdhsa_ieee_mode 1
		.amdhsa_fp16_overflow 0
		.amdhsa_tg_split 0
		.amdhsa_exception_fp_ieee_invalid_op 0
		.amdhsa_exception_fp_denorm_src 0
		.amdhsa_exception_fp_ieee_div_zero 0
		.amdhsa_exception_fp_ieee_overflow 0
		.amdhsa_exception_fp_ieee_underflow 0
		.amdhsa_exception_fp_ieee_inexact 0
		.amdhsa_exception_int_div_zero 0
	.end_amdhsa_kernel
	.section	.text._ZN7rocprim17ROCPRIM_400000_NS6detail17trampoline_kernelINS0_14default_configENS1_20scan_config_selectorIiEEZZNS1_9scan_implILNS1_25lookback_scan_determinismE0ELb1ELb1ES3_N6thrust23THRUST_200600_302600_NS6detail15normal_iteratorINS9_10device_ptrIiEEEESE_iNS9_4plusIvEEiEEDaPvRmT3_T4_T5_mT6_P12ihipStream_tbENKUlT_T0_E_clISt17integral_constantIbLb0EESU_EEDaSP_SQ_EUlSP_E_NS1_11comp_targetILNS1_3genE3ELNS1_11target_archE908ELNS1_3gpuE7ELNS1_3repE0EEENS1_30default_config_static_selectorELNS0_4arch9wavefront6targetE1EEEvT1_,"axG",@progbits,_ZN7rocprim17ROCPRIM_400000_NS6detail17trampoline_kernelINS0_14default_configENS1_20scan_config_selectorIiEEZZNS1_9scan_implILNS1_25lookback_scan_determinismE0ELb1ELb1ES3_N6thrust23THRUST_200600_302600_NS6detail15normal_iteratorINS9_10device_ptrIiEEEESE_iNS9_4plusIvEEiEEDaPvRmT3_T4_T5_mT6_P12ihipStream_tbENKUlT_T0_E_clISt17integral_constantIbLb0EESU_EEDaSP_SQ_EUlSP_E_NS1_11comp_targetILNS1_3genE3ELNS1_11target_archE908ELNS1_3gpuE7ELNS1_3repE0EEENS1_30default_config_static_selectorELNS0_4arch9wavefront6targetE1EEEvT1_,comdat
.Lfunc_end807:
	.size	_ZN7rocprim17ROCPRIM_400000_NS6detail17trampoline_kernelINS0_14default_configENS1_20scan_config_selectorIiEEZZNS1_9scan_implILNS1_25lookback_scan_determinismE0ELb1ELb1ES3_N6thrust23THRUST_200600_302600_NS6detail15normal_iteratorINS9_10device_ptrIiEEEESE_iNS9_4plusIvEEiEEDaPvRmT3_T4_T5_mT6_P12ihipStream_tbENKUlT_T0_E_clISt17integral_constantIbLb0EESU_EEDaSP_SQ_EUlSP_E_NS1_11comp_targetILNS1_3genE3ELNS1_11target_archE908ELNS1_3gpuE7ELNS1_3repE0EEENS1_30default_config_static_selectorELNS0_4arch9wavefront6targetE1EEEvT1_, .Lfunc_end807-_ZN7rocprim17ROCPRIM_400000_NS6detail17trampoline_kernelINS0_14default_configENS1_20scan_config_selectorIiEEZZNS1_9scan_implILNS1_25lookback_scan_determinismE0ELb1ELb1ES3_N6thrust23THRUST_200600_302600_NS6detail15normal_iteratorINS9_10device_ptrIiEEEESE_iNS9_4plusIvEEiEEDaPvRmT3_T4_T5_mT6_P12ihipStream_tbENKUlT_T0_E_clISt17integral_constantIbLb0EESU_EEDaSP_SQ_EUlSP_E_NS1_11comp_targetILNS1_3genE3ELNS1_11target_archE908ELNS1_3gpuE7ELNS1_3repE0EEENS1_30default_config_static_selectorELNS0_4arch9wavefront6targetE1EEEvT1_
                                        ; -- End function
	.section	.AMDGPU.csdata,"",@progbits
; Kernel info:
; codeLenInByte = 0
; NumSgprs: 4
; NumVgprs: 0
; NumAgprs: 0
; TotalNumVgprs: 0
; ScratchSize: 0
; MemoryBound: 0
; FloatMode: 240
; IeeeMode: 1
; LDSByteSize: 0 bytes/workgroup (compile time only)
; SGPRBlocks: 0
; VGPRBlocks: 0
; NumSGPRsForWavesPerEU: 4
; NumVGPRsForWavesPerEU: 1
; AccumOffset: 4
; Occupancy: 8
; WaveLimiterHint : 0
; COMPUTE_PGM_RSRC2:SCRATCH_EN: 0
; COMPUTE_PGM_RSRC2:USER_SGPR: 6
; COMPUTE_PGM_RSRC2:TRAP_HANDLER: 0
; COMPUTE_PGM_RSRC2:TGID_X_EN: 1
; COMPUTE_PGM_RSRC2:TGID_Y_EN: 0
; COMPUTE_PGM_RSRC2:TGID_Z_EN: 0
; COMPUTE_PGM_RSRC2:TIDIG_COMP_CNT: 0
; COMPUTE_PGM_RSRC3_GFX90A:ACCUM_OFFSET: 0
; COMPUTE_PGM_RSRC3_GFX90A:TG_SPLIT: 0
	.section	.text._ZN7rocprim17ROCPRIM_400000_NS6detail17trampoline_kernelINS0_14default_configENS1_20scan_config_selectorIiEEZZNS1_9scan_implILNS1_25lookback_scan_determinismE0ELb1ELb1ES3_N6thrust23THRUST_200600_302600_NS6detail15normal_iteratorINS9_10device_ptrIiEEEESE_iNS9_4plusIvEEiEEDaPvRmT3_T4_T5_mT6_P12ihipStream_tbENKUlT_T0_E_clISt17integral_constantIbLb0EESU_EEDaSP_SQ_EUlSP_E_NS1_11comp_targetILNS1_3genE2ELNS1_11target_archE906ELNS1_3gpuE6ELNS1_3repE0EEENS1_30default_config_static_selectorELNS0_4arch9wavefront6targetE1EEEvT1_,"axG",@progbits,_ZN7rocprim17ROCPRIM_400000_NS6detail17trampoline_kernelINS0_14default_configENS1_20scan_config_selectorIiEEZZNS1_9scan_implILNS1_25lookback_scan_determinismE0ELb1ELb1ES3_N6thrust23THRUST_200600_302600_NS6detail15normal_iteratorINS9_10device_ptrIiEEEESE_iNS9_4plusIvEEiEEDaPvRmT3_T4_T5_mT6_P12ihipStream_tbENKUlT_T0_E_clISt17integral_constantIbLb0EESU_EEDaSP_SQ_EUlSP_E_NS1_11comp_targetILNS1_3genE2ELNS1_11target_archE906ELNS1_3gpuE6ELNS1_3repE0EEENS1_30default_config_static_selectorELNS0_4arch9wavefront6targetE1EEEvT1_,comdat
	.protected	_ZN7rocprim17ROCPRIM_400000_NS6detail17trampoline_kernelINS0_14default_configENS1_20scan_config_selectorIiEEZZNS1_9scan_implILNS1_25lookback_scan_determinismE0ELb1ELb1ES3_N6thrust23THRUST_200600_302600_NS6detail15normal_iteratorINS9_10device_ptrIiEEEESE_iNS9_4plusIvEEiEEDaPvRmT3_T4_T5_mT6_P12ihipStream_tbENKUlT_T0_E_clISt17integral_constantIbLb0EESU_EEDaSP_SQ_EUlSP_E_NS1_11comp_targetILNS1_3genE2ELNS1_11target_archE906ELNS1_3gpuE6ELNS1_3repE0EEENS1_30default_config_static_selectorELNS0_4arch9wavefront6targetE1EEEvT1_ ; -- Begin function _ZN7rocprim17ROCPRIM_400000_NS6detail17trampoline_kernelINS0_14default_configENS1_20scan_config_selectorIiEEZZNS1_9scan_implILNS1_25lookback_scan_determinismE0ELb1ELb1ES3_N6thrust23THRUST_200600_302600_NS6detail15normal_iteratorINS9_10device_ptrIiEEEESE_iNS9_4plusIvEEiEEDaPvRmT3_T4_T5_mT6_P12ihipStream_tbENKUlT_T0_E_clISt17integral_constantIbLb0EESU_EEDaSP_SQ_EUlSP_E_NS1_11comp_targetILNS1_3genE2ELNS1_11target_archE906ELNS1_3gpuE6ELNS1_3repE0EEENS1_30default_config_static_selectorELNS0_4arch9wavefront6targetE1EEEvT1_
	.globl	_ZN7rocprim17ROCPRIM_400000_NS6detail17trampoline_kernelINS0_14default_configENS1_20scan_config_selectorIiEEZZNS1_9scan_implILNS1_25lookback_scan_determinismE0ELb1ELb1ES3_N6thrust23THRUST_200600_302600_NS6detail15normal_iteratorINS9_10device_ptrIiEEEESE_iNS9_4plusIvEEiEEDaPvRmT3_T4_T5_mT6_P12ihipStream_tbENKUlT_T0_E_clISt17integral_constantIbLb0EESU_EEDaSP_SQ_EUlSP_E_NS1_11comp_targetILNS1_3genE2ELNS1_11target_archE906ELNS1_3gpuE6ELNS1_3repE0EEENS1_30default_config_static_selectorELNS0_4arch9wavefront6targetE1EEEvT1_
	.p2align	8
	.type	_ZN7rocprim17ROCPRIM_400000_NS6detail17trampoline_kernelINS0_14default_configENS1_20scan_config_selectorIiEEZZNS1_9scan_implILNS1_25lookback_scan_determinismE0ELb1ELb1ES3_N6thrust23THRUST_200600_302600_NS6detail15normal_iteratorINS9_10device_ptrIiEEEESE_iNS9_4plusIvEEiEEDaPvRmT3_T4_T5_mT6_P12ihipStream_tbENKUlT_T0_E_clISt17integral_constantIbLb0EESU_EEDaSP_SQ_EUlSP_E_NS1_11comp_targetILNS1_3genE2ELNS1_11target_archE906ELNS1_3gpuE6ELNS1_3repE0EEENS1_30default_config_static_selectorELNS0_4arch9wavefront6targetE1EEEvT1_,@function
_ZN7rocprim17ROCPRIM_400000_NS6detail17trampoline_kernelINS0_14default_configENS1_20scan_config_selectorIiEEZZNS1_9scan_implILNS1_25lookback_scan_determinismE0ELb1ELb1ES3_N6thrust23THRUST_200600_302600_NS6detail15normal_iteratorINS9_10device_ptrIiEEEESE_iNS9_4plusIvEEiEEDaPvRmT3_T4_T5_mT6_P12ihipStream_tbENKUlT_T0_E_clISt17integral_constantIbLb0EESU_EEDaSP_SQ_EUlSP_E_NS1_11comp_targetILNS1_3genE2ELNS1_11target_archE906ELNS1_3gpuE6ELNS1_3repE0EEENS1_30default_config_static_selectorELNS0_4arch9wavefront6targetE1EEEvT1_: ; @_ZN7rocprim17ROCPRIM_400000_NS6detail17trampoline_kernelINS0_14default_configENS1_20scan_config_selectorIiEEZZNS1_9scan_implILNS1_25lookback_scan_determinismE0ELb1ELb1ES3_N6thrust23THRUST_200600_302600_NS6detail15normal_iteratorINS9_10device_ptrIiEEEESE_iNS9_4plusIvEEiEEDaPvRmT3_T4_T5_mT6_P12ihipStream_tbENKUlT_T0_E_clISt17integral_constantIbLb0EESU_EEDaSP_SQ_EUlSP_E_NS1_11comp_targetILNS1_3genE2ELNS1_11target_archE906ELNS1_3gpuE6ELNS1_3repE0EEENS1_30default_config_static_selectorELNS0_4arch9wavefront6targetE1EEEvT1_
; %bb.0:
	.section	.rodata,"a",@progbits
	.p2align	6, 0x0
	.amdhsa_kernel _ZN7rocprim17ROCPRIM_400000_NS6detail17trampoline_kernelINS0_14default_configENS1_20scan_config_selectorIiEEZZNS1_9scan_implILNS1_25lookback_scan_determinismE0ELb1ELb1ES3_N6thrust23THRUST_200600_302600_NS6detail15normal_iteratorINS9_10device_ptrIiEEEESE_iNS9_4plusIvEEiEEDaPvRmT3_T4_T5_mT6_P12ihipStream_tbENKUlT_T0_E_clISt17integral_constantIbLb0EESU_EEDaSP_SQ_EUlSP_E_NS1_11comp_targetILNS1_3genE2ELNS1_11target_archE906ELNS1_3gpuE6ELNS1_3repE0EEENS1_30default_config_static_selectorELNS0_4arch9wavefront6targetE1EEEvT1_
		.amdhsa_group_segment_fixed_size 0
		.amdhsa_private_segment_fixed_size 0
		.amdhsa_kernarg_size 96
		.amdhsa_user_sgpr_count 6
		.amdhsa_user_sgpr_private_segment_buffer 1
		.amdhsa_user_sgpr_dispatch_ptr 0
		.amdhsa_user_sgpr_queue_ptr 0
		.amdhsa_user_sgpr_kernarg_segment_ptr 1
		.amdhsa_user_sgpr_dispatch_id 0
		.amdhsa_user_sgpr_flat_scratch_init 0
		.amdhsa_user_sgpr_kernarg_preload_length 0
		.amdhsa_user_sgpr_kernarg_preload_offset 0
		.amdhsa_user_sgpr_private_segment_size 0
		.amdhsa_uses_dynamic_stack 0
		.amdhsa_system_sgpr_private_segment_wavefront_offset 0
		.amdhsa_system_sgpr_workgroup_id_x 1
		.amdhsa_system_sgpr_workgroup_id_y 0
		.amdhsa_system_sgpr_workgroup_id_z 0
		.amdhsa_system_sgpr_workgroup_info 0
		.amdhsa_system_vgpr_workitem_id 0
		.amdhsa_next_free_vgpr 1
		.amdhsa_next_free_sgpr 0
		.amdhsa_accum_offset 4
		.amdhsa_reserve_vcc 0
		.amdhsa_reserve_flat_scratch 0
		.amdhsa_float_round_mode_32 0
		.amdhsa_float_round_mode_16_64 0
		.amdhsa_float_denorm_mode_32 3
		.amdhsa_float_denorm_mode_16_64 3
		.amdhsa_dx10_clamp 1
		.amdhsa_ieee_mode 1
		.amdhsa_fp16_overflow 0
		.amdhsa_tg_split 0
		.amdhsa_exception_fp_ieee_invalid_op 0
		.amdhsa_exception_fp_denorm_src 0
		.amdhsa_exception_fp_ieee_div_zero 0
		.amdhsa_exception_fp_ieee_overflow 0
		.amdhsa_exception_fp_ieee_underflow 0
		.amdhsa_exception_fp_ieee_inexact 0
		.amdhsa_exception_int_div_zero 0
	.end_amdhsa_kernel
	.section	.text._ZN7rocprim17ROCPRIM_400000_NS6detail17trampoline_kernelINS0_14default_configENS1_20scan_config_selectorIiEEZZNS1_9scan_implILNS1_25lookback_scan_determinismE0ELb1ELb1ES3_N6thrust23THRUST_200600_302600_NS6detail15normal_iteratorINS9_10device_ptrIiEEEESE_iNS9_4plusIvEEiEEDaPvRmT3_T4_T5_mT6_P12ihipStream_tbENKUlT_T0_E_clISt17integral_constantIbLb0EESU_EEDaSP_SQ_EUlSP_E_NS1_11comp_targetILNS1_3genE2ELNS1_11target_archE906ELNS1_3gpuE6ELNS1_3repE0EEENS1_30default_config_static_selectorELNS0_4arch9wavefront6targetE1EEEvT1_,"axG",@progbits,_ZN7rocprim17ROCPRIM_400000_NS6detail17trampoline_kernelINS0_14default_configENS1_20scan_config_selectorIiEEZZNS1_9scan_implILNS1_25lookback_scan_determinismE0ELb1ELb1ES3_N6thrust23THRUST_200600_302600_NS6detail15normal_iteratorINS9_10device_ptrIiEEEESE_iNS9_4plusIvEEiEEDaPvRmT3_T4_T5_mT6_P12ihipStream_tbENKUlT_T0_E_clISt17integral_constantIbLb0EESU_EEDaSP_SQ_EUlSP_E_NS1_11comp_targetILNS1_3genE2ELNS1_11target_archE906ELNS1_3gpuE6ELNS1_3repE0EEENS1_30default_config_static_selectorELNS0_4arch9wavefront6targetE1EEEvT1_,comdat
.Lfunc_end808:
	.size	_ZN7rocprim17ROCPRIM_400000_NS6detail17trampoline_kernelINS0_14default_configENS1_20scan_config_selectorIiEEZZNS1_9scan_implILNS1_25lookback_scan_determinismE0ELb1ELb1ES3_N6thrust23THRUST_200600_302600_NS6detail15normal_iteratorINS9_10device_ptrIiEEEESE_iNS9_4plusIvEEiEEDaPvRmT3_T4_T5_mT6_P12ihipStream_tbENKUlT_T0_E_clISt17integral_constantIbLb0EESU_EEDaSP_SQ_EUlSP_E_NS1_11comp_targetILNS1_3genE2ELNS1_11target_archE906ELNS1_3gpuE6ELNS1_3repE0EEENS1_30default_config_static_selectorELNS0_4arch9wavefront6targetE1EEEvT1_, .Lfunc_end808-_ZN7rocprim17ROCPRIM_400000_NS6detail17trampoline_kernelINS0_14default_configENS1_20scan_config_selectorIiEEZZNS1_9scan_implILNS1_25lookback_scan_determinismE0ELb1ELb1ES3_N6thrust23THRUST_200600_302600_NS6detail15normal_iteratorINS9_10device_ptrIiEEEESE_iNS9_4plusIvEEiEEDaPvRmT3_T4_T5_mT6_P12ihipStream_tbENKUlT_T0_E_clISt17integral_constantIbLb0EESU_EEDaSP_SQ_EUlSP_E_NS1_11comp_targetILNS1_3genE2ELNS1_11target_archE906ELNS1_3gpuE6ELNS1_3repE0EEENS1_30default_config_static_selectorELNS0_4arch9wavefront6targetE1EEEvT1_
                                        ; -- End function
	.section	.AMDGPU.csdata,"",@progbits
; Kernel info:
; codeLenInByte = 0
; NumSgprs: 4
; NumVgprs: 0
; NumAgprs: 0
; TotalNumVgprs: 0
; ScratchSize: 0
; MemoryBound: 0
; FloatMode: 240
; IeeeMode: 1
; LDSByteSize: 0 bytes/workgroup (compile time only)
; SGPRBlocks: 0
; VGPRBlocks: 0
; NumSGPRsForWavesPerEU: 4
; NumVGPRsForWavesPerEU: 1
; AccumOffset: 4
; Occupancy: 8
; WaveLimiterHint : 0
; COMPUTE_PGM_RSRC2:SCRATCH_EN: 0
; COMPUTE_PGM_RSRC2:USER_SGPR: 6
; COMPUTE_PGM_RSRC2:TRAP_HANDLER: 0
; COMPUTE_PGM_RSRC2:TGID_X_EN: 1
; COMPUTE_PGM_RSRC2:TGID_Y_EN: 0
; COMPUTE_PGM_RSRC2:TGID_Z_EN: 0
; COMPUTE_PGM_RSRC2:TIDIG_COMP_CNT: 0
; COMPUTE_PGM_RSRC3_GFX90A:ACCUM_OFFSET: 0
; COMPUTE_PGM_RSRC3_GFX90A:TG_SPLIT: 0
	.section	.text._ZN7rocprim17ROCPRIM_400000_NS6detail17trampoline_kernelINS0_14default_configENS1_20scan_config_selectorIiEEZZNS1_9scan_implILNS1_25lookback_scan_determinismE0ELb1ELb1ES3_N6thrust23THRUST_200600_302600_NS6detail15normal_iteratorINS9_10device_ptrIiEEEESE_iNS9_4plusIvEEiEEDaPvRmT3_T4_T5_mT6_P12ihipStream_tbENKUlT_T0_E_clISt17integral_constantIbLb0EESU_EEDaSP_SQ_EUlSP_E_NS1_11comp_targetILNS1_3genE10ELNS1_11target_archE1201ELNS1_3gpuE5ELNS1_3repE0EEENS1_30default_config_static_selectorELNS0_4arch9wavefront6targetE1EEEvT1_,"axG",@progbits,_ZN7rocprim17ROCPRIM_400000_NS6detail17trampoline_kernelINS0_14default_configENS1_20scan_config_selectorIiEEZZNS1_9scan_implILNS1_25lookback_scan_determinismE0ELb1ELb1ES3_N6thrust23THRUST_200600_302600_NS6detail15normal_iteratorINS9_10device_ptrIiEEEESE_iNS9_4plusIvEEiEEDaPvRmT3_T4_T5_mT6_P12ihipStream_tbENKUlT_T0_E_clISt17integral_constantIbLb0EESU_EEDaSP_SQ_EUlSP_E_NS1_11comp_targetILNS1_3genE10ELNS1_11target_archE1201ELNS1_3gpuE5ELNS1_3repE0EEENS1_30default_config_static_selectorELNS0_4arch9wavefront6targetE1EEEvT1_,comdat
	.protected	_ZN7rocprim17ROCPRIM_400000_NS6detail17trampoline_kernelINS0_14default_configENS1_20scan_config_selectorIiEEZZNS1_9scan_implILNS1_25lookback_scan_determinismE0ELb1ELb1ES3_N6thrust23THRUST_200600_302600_NS6detail15normal_iteratorINS9_10device_ptrIiEEEESE_iNS9_4plusIvEEiEEDaPvRmT3_T4_T5_mT6_P12ihipStream_tbENKUlT_T0_E_clISt17integral_constantIbLb0EESU_EEDaSP_SQ_EUlSP_E_NS1_11comp_targetILNS1_3genE10ELNS1_11target_archE1201ELNS1_3gpuE5ELNS1_3repE0EEENS1_30default_config_static_selectorELNS0_4arch9wavefront6targetE1EEEvT1_ ; -- Begin function _ZN7rocprim17ROCPRIM_400000_NS6detail17trampoline_kernelINS0_14default_configENS1_20scan_config_selectorIiEEZZNS1_9scan_implILNS1_25lookback_scan_determinismE0ELb1ELb1ES3_N6thrust23THRUST_200600_302600_NS6detail15normal_iteratorINS9_10device_ptrIiEEEESE_iNS9_4plusIvEEiEEDaPvRmT3_T4_T5_mT6_P12ihipStream_tbENKUlT_T0_E_clISt17integral_constantIbLb0EESU_EEDaSP_SQ_EUlSP_E_NS1_11comp_targetILNS1_3genE10ELNS1_11target_archE1201ELNS1_3gpuE5ELNS1_3repE0EEENS1_30default_config_static_selectorELNS0_4arch9wavefront6targetE1EEEvT1_
	.globl	_ZN7rocprim17ROCPRIM_400000_NS6detail17trampoline_kernelINS0_14default_configENS1_20scan_config_selectorIiEEZZNS1_9scan_implILNS1_25lookback_scan_determinismE0ELb1ELb1ES3_N6thrust23THRUST_200600_302600_NS6detail15normal_iteratorINS9_10device_ptrIiEEEESE_iNS9_4plusIvEEiEEDaPvRmT3_T4_T5_mT6_P12ihipStream_tbENKUlT_T0_E_clISt17integral_constantIbLb0EESU_EEDaSP_SQ_EUlSP_E_NS1_11comp_targetILNS1_3genE10ELNS1_11target_archE1201ELNS1_3gpuE5ELNS1_3repE0EEENS1_30default_config_static_selectorELNS0_4arch9wavefront6targetE1EEEvT1_
	.p2align	8
	.type	_ZN7rocprim17ROCPRIM_400000_NS6detail17trampoline_kernelINS0_14default_configENS1_20scan_config_selectorIiEEZZNS1_9scan_implILNS1_25lookback_scan_determinismE0ELb1ELb1ES3_N6thrust23THRUST_200600_302600_NS6detail15normal_iteratorINS9_10device_ptrIiEEEESE_iNS9_4plusIvEEiEEDaPvRmT3_T4_T5_mT6_P12ihipStream_tbENKUlT_T0_E_clISt17integral_constantIbLb0EESU_EEDaSP_SQ_EUlSP_E_NS1_11comp_targetILNS1_3genE10ELNS1_11target_archE1201ELNS1_3gpuE5ELNS1_3repE0EEENS1_30default_config_static_selectorELNS0_4arch9wavefront6targetE1EEEvT1_,@function
_ZN7rocprim17ROCPRIM_400000_NS6detail17trampoline_kernelINS0_14default_configENS1_20scan_config_selectorIiEEZZNS1_9scan_implILNS1_25lookback_scan_determinismE0ELb1ELb1ES3_N6thrust23THRUST_200600_302600_NS6detail15normal_iteratorINS9_10device_ptrIiEEEESE_iNS9_4plusIvEEiEEDaPvRmT3_T4_T5_mT6_P12ihipStream_tbENKUlT_T0_E_clISt17integral_constantIbLb0EESU_EEDaSP_SQ_EUlSP_E_NS1_11comp_targetILNS1_3genE10ELNS1_11target_archE1201ELNS1_3gpuE5ELNS1_3repE0EEENS1_30default_config_static_selectorELNS0_4arch9wavefront6targetE1EEEvT1_: ; @_ZN7rocprim17ROCPRIM_400000_NS6detail17trampoline_kernelINS0_14default_configENS1_20scan_config_selectorIiEEZZNS1_9scan_implILNS1_25lookback_scan_determinismE0ELb1ELb1ES3_N6thrust23THRUST_200600_302600_NS6detail15normal_iteratorINS9_10device_ptrIiEEEESE_iNS9_4plusIvEEiEEDaPvRmT3_T4_T5_mT6_P12ihipStream_tbENKUlT_T0_E_clISt17integral_constantIbLb0EESU_EEDaSP_SQ_EUlSP_E_NS1_11comp_targetILNS1_3genE10ELNS1_11target_archE1201ELNS1_3gpuE5ELNS1_3repE0EEENS1_30default_config_static_selectorELNS0_4arch9wavefront6targetE1EEEvT1_
; %bb.0:
	.section	.rodata,"a",@progbits
	.p2align	6, 0x0
	.amdhsa_kernel _ZN7rocprim17ROCPRIM_400000_NS6detail17trampoline_kernelINS0_14default_configENS1_20scan_config_selectorIiEEZZNS1_9scan_implILNS1_25lookback_scan_determinismE0ELb1ELb1ES3_N6thrust23THRUST_200600_302600_NS6detail15normal_iteratorINS9_10device_ptrIiEEEESE_iNS9_4plusIvEEiEEDaPvRmT3_T4_T5_mT6_P12ihipStream_tbENKUlT_T0_E_clISt17integral_constantIbLb0EESU_EEDaSP_SQ_EUlSP_E_NS1_11comp_targetILNS1_3genE10ELNS1_11target_archE1201ELNS1_3gpuE5ELNS1_3repE0EEENS1_30default_config_static_selectorELNS0_4arch9wavefront6targetE1EEEvT1_
		.amdhsa_group_segment_fixed_size 0
		.amdhsa_private_segment_fixed_size 0
		.amdhsa_kernarg_size 96
		.amdhsa_user_sgpr_count 6
		.amdhsa_user_sgpr_private_segment_buffer 1
		.amdhsa_user_sgpr_dispatch_ptr 0
		.amdhsa_user_sgpr_queue_ptr 0
		.amdhsa_user_sgpr_kernarg_segment_ptr 1
		.amdhsa_user_sgpr_dispatch_id 0
		.amdhsa_user_sgpr_flat_scratch_init 0
		.amdhsa_user_sgpr_kernarg_preload_length 0
		.amdhsa_user_sgpr_kernarg_preload_offset 0
		.amdhsa_user_sgpr_private_segment_size 0
		.amdhsa_uses_dynamic_stack 0
		.amdhsa_system_sgpr_private_segment_wavefront_offset 0
		.amdhsa_system_sgpr_workgroup_id_x 1
		.amdhsa_system_sgpr_workgroup_id_y 0
		.amdhsa_system_sgpr_workgroup_id_z 0
		.amdhsa_system_sgpr_workgroup_info 0
		.amdhsa_system_vgpr_workitem_id 0
		.amdhsa_next_free_vgpr 1
		.amdhsa_next_free_sgpr 0
		.amdhsa_accum_offset 4
		.amdhsa_reserve_vcc 0
		.amdhsa_reserve_flat_scratch 0
		.amdhsa_float_round_mode_32 0
		.amdhsa_float_round_mode_16_64 0
		.amdhsa_float_denorm_mode_32 3
		.amdhsa_float_denorm_mode_16_64 3
		.amdhsa_dx10_clamp 1
		.amdhsa_ieee_mode 1
		.amdhsa_fp16_overflow 0
		.amdhsa_tg_split 0
		.amdhsa_exception_fp_ieee_invalid_op 0
		.amdhsa_exception_fp_denorm_src 0
		.amdhsa_exception_fp_ieee_div_zero 0
		.amdhsa_exception_fp_ieee_overflow 0
		.amdhsa_exception_fp_ieee_underflow 0
		.amdhsa_exception_fp_ieee_inexact 0
		.amdhsa_exception_int_div_zero 0
	.end_amdhsa_kernel
	.section	.text._ZN7rocprim17ROCPRIM_400000_NS6detail17trampoline_kernelINS0_14default_configENS1_20scan_config_selectorIiEEZZNS1_9scan_implILNS1_25lookback_scan_determinismE0ELb1ELb1ES3_N6thrust23THRUST_200600_302600_NS6detail15normal_iteratorINS9_10device_ptrIiEEEESE_iNS9_4plusIvEEiEEDaPvRmT3_T4_T5_mT6_P12ihipStream_tbENKUlT_T0_E_clISt17integral_constantIbLb0EESU_EEDaSP_SQ_EUlSP_E_NS1_11comp_targetILNS1_3genE10ELNS1_11target_archE1201ELNS1_3gpuE5ELNS1_3repE0EEENS1_30default_config_static_selectorELNS0_4arch9wavefront6targetE1EEEvT1_,"axG",@progbits,_ZN7rocprim17ROCPRIM_400000_NS6detail17trampoline_kernelINS0_14default_configENS1_20scan_config_selectorIiEEZZNS1_9scan_implILNS1_25lookback_scan_determinismE0ELb1ELb1ES3_N6thrust23THRUST_200600_302600_NS6detail15normal_iteratorINS9_10device_ptrIiEEEESE_iNS9_4plusIvEEiEEDaPvRmT3_T4_T5_mT6_P12ihipStream_tbENKUlT_T0_E_clISt17integral_constantIbLb0EESU_EEDaSP_SQ_EUlSP_E_NS1_11comp_targetILNS1_3genE10ELNS1_11target_archE1201ELNS1_3gpuE5ELNS1_3repE0EEENS1_30default_config_static_selectorELNS0_4arch9wavefront6targetE1EEEvT1_,comdat
.Lfunc_end809:
	.size	_ZN7rocprim17ROCPRIM_400000_NS6detail17trampoline_kernelINS0_14default_configENS1_20scan_config_selectorIiEEZZNS1_9scan_implILNS1_25lookback_scan_determinismE0ELb1ELb1ES3_N6thrust23THRUST_200600_302600_NS6detail15normal_iteratorINS9_10device_ptrIiEEEESE_iNS9_4plusIvEEiEEDaPvRmT3_T4_T5_mT6_P12ihipStream_tbENKUlT_T0_E_clISt17integral_constantIbLb0EESU_EEDaSP_SQ_EUlSP_E_NS1_11comp_targetILNS1_3genE10ELNS1_11target_archE1201ELNS1_3gpuE5ELNS1_3repE0EEENS1_30default_config_static_selectorELNS0_4arch9wavefront6targetE1EEEvT1_, .Lfunc_end809-_ZN7rocprim17ROCPRIM_400000_NS6detail17trampoline_kernelINS0_14default_configENS1_20scan_config_selectorIiEEZZNS1_9scan_implILNS1_25lookback_scan_determinismE0ELb1ELb1ES3_N6thrust23THRUST_200600_302600_NS6detail15normal_iteratorINS9_10device_ptrIiEEEESE_iNS9_4plusIvEEiEEDaPvRmT3_T4_T5_mT6_P12ihipStream_tbENKUlT_T0_E_clISt17integral_constantIbLb0EESU_EEDaSP_SQ_EUlSP_E_NS1_11comp_targetILNS1_3genE10ELNS1_11target_archE1201ELNS1_3gpuE5ELNS1_3repE0EEENS1_30default_config_static_selectorELNS0_4arch9wavefront6targetE1EEEvT1_
                                        ; -- End function
	.section	.AMDGPU.csdata,"",@progbits
; Kernel info:
; codeLenInByte = 0
; NumSgprs: 4
; NumVgprs: 0
; NumAgprs: 0
; TotalNumVgprs: 0
; ScratchSize: 0
; MemoryBound: 0
; FloatMode: 240
; IeeeMode: 1
; LDSByteSize: 0 bytes/workgroup (compile time only)
; SGPRBlocks: 0
; VGPRBlocks: 0
; NumSGPRsForWavesPerEU: 4
; NumVGPRsForWavesPerEU: 1
; AccumOffset: 4
; Occupancy: 8
; WaveLimiterHint : 0
; COMPUTE_PGM_RSRC2:SCRATCH_EN: 0
; COMPUTE_PGM_RSRC2:USER_SGPR: 6
; COMPUTE_PGM_RSRC2:TRAP_HANDLER: 0
; COMPUTE_PGM_RSRC2:TGID_X_EN: 1
; COMPUTE_PGM_RSRC2:TGID_Y_EN: 0
; COMPUTE_PGM_RSRC2:TGID_Z_EN: 0
; COMPUTE_PGM_RSRC2:TIDIG_COMP_CNT: 0
; COMPUTE_PGM_RSRC3_GFX90A:ACCUM_OFFSET: 0
; COMPUTE_PGM_RSRC3_GFX90A:TG_SPLIT: 0
	.section	.text._ZN7rocprim17ROCPRIM_400000_NS6detail17trampoline_kernelINS0_14default_configENS1_20scan_config_selectorIiEEZZNS1_9scan_implILNS1_25lookback_scan_determinismE0ELb1ELb1ES3_N6thrust23THRUST_200600_302600_NS6detail15normal_iteratorINS9_10device_ptrIiEEEESE_iNS9_4plusIvEEiEEDaPvRmT3_T4_T5_mT6_P12ihipStream_tbENKUlT_T0_E_clISt17integral_constantIbLb0EESU_EEDaSP_SQ_EUlSP_E_NS1_11comp_targetILNS1_3genE10ELNS1_11target_archE1200ELNS1_3gpuE4ELNS1_3repE0EEENS1_30default_config_static_selectorELNS0_4arch9wavefront6targetE1EEEvT1_,"axG",@progbits,_ZN7rocprim17ROCPRIM_400000_NS6detail17trampoline_kernelINS0_14default_configENS1_20scan_config_selectorIiEEZZNS1_9scan_implILNS1_25lookback_scan_determinismE0ELb1ELb1ES3_N6thrust23THRUST_200600_302600_NS6detail15normal_iteratorINS9_10device_ptrIiEEEESE_iNS9_4plusIvEEiEEDaPvRmT3_T4_T5_mT6_P12ihipStream_tbENKUlT_T0_E_clISt17integral_constantIbLb0EESU_EEDaSP_SQ_EUlSP_E_NS1_11comp_targetILNS1_3genE10ELNS1_11target_archE1200ELNS1_3gpuE4ELNS1_3repE0EEENS1_30default_config_static_selectorELNS0_4arch9wavefront6targetE1EEEvT1_,comdat
	.protected	_ZN7rocprim17ROCPRIM_400000_NS6detail17trampoline_kernelINS0_14default_configENS1_20scan_config_selectorIiEEZZNS1_9scan_implILNS1_25lookback_scan_determinismE0ELb1ELb1ES3_N6thrust23THRUST_200600_302600_NS6detail15normal_iteratorINS9_10device_ptrIiEEEESE_iNS9_4plusIvEEiEEDaPvRmT3_T4_T5_mT6_P12ihipStream_tbENKUlT_T0_E_clISt17integral_constantIbLb0EESU_EEDaSP_SQ_EUlSP_E_NS1_11comp_targetILNS1_3genE10ELNS1_11target_archE1200ELNS1_3gpuE4ELNS1_3repE0EEENS1_30default_config_static_selectorELNS0_4arch9wavefront6targetE1EEEvT1_ ; -- Begin function _ZN7rocprim17ROCPRIM_400000_NS6detail17trampoline_kernelINS0_14default_configENS1_20scan_config_selectorIiEEZZNS1_9scan_implILNS1_25lookback_scan_determinismE0ELb1ELb1ES3_N6thrust23THRUST_200600_302600_NS6detail15normal_iteratorINS9_10device_ptrIiEEEESE_iNS9_4plusIvEEiEEDaPvRmT3_T4_T5_mT6_P12ihipStream_tbENKUlT_T0_E_clISt17integral_constantIbLb0EESU_EEDaSP_SQ_EUlSP_E_NS1_11comp_targetILNS1_3genE10ELNS1_11target_archE1200ELNS1_3gpuE4ELNS1_3repE0EEENS1_30default_config_static_selectorELNS0_4arch9wavefront6targetE1EEEvT1_
	.globl	_ZN7rocprim17ROCPRIM_400000_NS6detail17trampoline_kernelINS0_14default_configENS1_20scan_config_selectorIiEEZZNS1_9scan_implILNS1_25lookback_scan_determinismE0ELb1ELb1ES3_N6thrust23THRUST_200600_302600_NS6detail15normal_iteratorINS9_10device_ptrIiEEEESE_iNS9_4plusIvEEiEEDaPvRmT3_T4_T5_mT6_P12ihipStream_tbENKUlT_T0_E_clISt17integral_constantIbLb0EESU_EEDaSP_SQ_EUlSP_E_NS1_11comp_targetILNS1_3genE10ELNS1_11target_archE1200ELNS1_3gpuE4ELNS1_3repE0EEENS1_30default_config_static_selectorELNS0_4arch9wavefront6targetE1EEEvT1_
	.p2align	8
	.type	_ZN7rocprim17ROCPRIM_400000_NS6detail17trampoline_kernelINS0_14default_configENS1_20scan_config_selectorIiEEZZNS1_9scan_implILNS1_25lookback_scan_determinismE0ELb1ELb1ES3_N6thrust23THRUST_200600_302600_NS6detail15normal_iteratorINS9_10device_ptrIiEEEESE_iNS9_4plusIvEEiEEDaPvRmT3_T4_T5_mT6_P12ihipStream_tbENKUlT_T0_E_clISt17integral_constantIbLb0EESU_EEDaSP_SQ_EUlSP_E_NS1_11comp_targetILNS1_3genE10ELNS1_11target_archE1200ELNS1_3gpuE4ELNS1_3repE0EEENS1_30default_config_static_selectorELNS0_4arch9wavefront6targetE1EEEvT1_,@function
_ZN7rocprim17ROCPRIM_400000_NS6detail17trampoline_kernelINS0_14default_configENS1_20scan_config_selectorIiEEZZNS1_9scan_implILNS1_25lookback_scan_determinismE0ELb1ELb1ES3_N6thrust23THRUST_200600_302600_NS6detail15normal_iteratorINS9_10device_ptrIiEEEESE_iNS9_4plusIvEEiEEDaPvRmT3_T4_T5_mT6_P12ihipStream_tbENKUlT_T0_E_clISt17integral_constantIbLb0EESU_EEDaSP_SQ_EUlSP_E_NS1_11comp_targetILNS1_3genE10ELNS1_11target_archE1200ELNS1_3gpuE4ELNS1_3repE0EEENS1_30default_config_static_selectorELNS0_4arch9wavefront6targetE1EEEvT1_: ; @_ZN7rocprim17ROCPRIM_400000_NS6detail17trampoline_kernelINS0_14default_configENS1_20scan_config_selectorIiEEZZNS1_9scan_implILNS1_25lookback_scan_determinismE0ELb1ELb1ES3_N6thrust23THRUST_200600_302600_NS6detail15normal_iteratorINS9_10device_ptrIiEEEESE_iNS9_4plusIvEEiEEDaPvRmT3_T4_T5_mT6_P12ihipStream_tbENKUlT_T0_E_clISt17integral_constantIbLb0EESU_EEDaSP_SQ_EUlSP_E_NS1_11comp_targetILNS1_3genE10ELNS1_11target_archE1200ELNS1_3gpuE4ELNS1_3repE0EEENS1_30default_config_static_selectorELNS0_4arch9wavefront6targetE1EEEvT1_
; %bb.0:
	.section	.rodata,"a",@progbits
	.p2align	6, 0x0
	.amdhsa_kernel _ZN7rocprim17ROCPRIM_400000_NS6detail17trampoline_kernelINS0_14default_configENS1_20scan_config_selectorIiEEZZNS1_9scan_implILNS1_25lookback_scan_determinismE0ELb1ELb1ES3_N6thrust23THRUST_200600_302600_NS6detail15normal_iteratorINS9_10device_ptrIiEEEESE_iNS9_4plusIvEEiEEDaPvRmT3_T4_T5_mT6_P12ihipStream_tbENKUlT_T0_E_clISt17integral_constantIbLb0EESU_EEDaSP_SQ_EUlSP_E_NS1_11comp_targetILNS1_3genE10ELNS1_11target_archE1200ELNS1_3gpuE4ELNS1_3repE0EEENS1_30default_config_static_selectorELNS0_4arch9wavefront6targetE1EEEvT1_
		.amdhsa_group_segment_fixed_size 0
		.amdhsa_private_segment_fixed_size 0
		.amdhsa_kernarg_size 96
		.amdhsa_user_sgpr_count 6
		.amdhsa_user_sgpr_private_segment_buffer 1
		.amdhsa_user_sgpr_dispatch_ptr 0
		.amdhsa_user_sgpr_queue_ptr 0
		.amdhsa_user_sgpr_kernarg_segment_ptr 1
		.amdhsa_user_sgpr_dispatch_id 0
		.amdhsa_user_sgpr_flat_scratch_init 0
		.amdhsa_user_sgpr_kernarg_preload_length 0
		.amdhsa_user_sgpr_kernarg_preload_offset 0
		.amdhsa_user_sgpr_private_segment_size 0
		.amdhsa_uses_dynamic_stack 0
		.amdhsa_system_sgpr_private_segment_wavefront_offset 0
		.amdhsa_system_sgpr_workgroup_id_x 1
		.amdhsa_system_sgpr_workgroup_id_y 0
		.amdhsa_system_sgpr_workgroup_id_z 0
		.amdhsa_system_sgpr_workgroup_info 0
		.amdhsa_system_vgpr_workitem_id 0
		.amdhsa_next_free_vgpr 1
		.amdhsa_next_free_sgpr 0
		.amdhsa_accum_offset 4
		.amdhsa_reserve_vcc 0
		.amdhsa_reserve_flat_scratch 0
		.amdhsa_float_round_mode_32 0
		.amdhsa_float_round_mode_16_64 0
		.amdhsa_float_denorm_mode_32 3
		.amdhsa_float_denorm_mode_16_64 3
		.amdhsa_dx10_clamp 1
		.amdhsa_ieee_mode 1
		.amdhsa_fp16_overflow 0
		.amdhsa_tg_split 0
		.amdhsa_exception_fp_ieee_invalid_op 0
		.amdhsa_exception_fp_denorm_src 0
		.amdhsa_exception_fp_ieee_div_zero 0
		.amdhsa_exception_fp_ieee_overflow 0
		.amdhsa_exception_fp_ieee_underflow 0
		.amdhsa_exception_fp_ieee_inexact 0
		.amdhsa_exception_int_div_zero 0
	.end_amdhsa_kernel
	.section	.text._ZN7rocprim17ROCPRIM_400000_NS6detail17trampoline_kernelINS0_14default_configENS1_20scan_config_selectorIiEEZZNS1_9scan_implILNS1_25lookback_scan_determinismE0ELb1ELb1ES3_N6thrust23THRUST_200600_302600_NS6detail15normal_iteratorINS9_10device_ptrIiEEEESE_iNS9_4plusIvEEiEEDaPvRmT3_T4_T5_mT6_P12ihipStream_tbENKUlT_T0_E_clISt17integral_constantIbLb0EESU_EEDaSP_SQ_EUlSP_E_NS1_11comp_targetILNS1_3genE10ELNS1_11target_archE1200ELNS1_3gpuE4ELNS1_3repE0EEENS1_30default_config_static_selectorELNS0_4arch9wavefront6targetE1EEEvT1_,"axG",@progbits,_ZN7rocprim17ROCPRIM_400000_NS6detail17trampoline_kernelINS0_14default_configENS1_20scan_config_selectorIiEEZZNS1_9scan_implILNS1_25lookback_scan_determinismE0ELb1ELb1ES3_N6thrust23THRUST_200600_302600_NS6detail15normal_iteratorINS9_10device_ptrIiEEEESE_iNS9_4plusIvEEiEEDaPvRmT3_T4_T5_mT6_P12ihipStream_tbENKUlT_T0_E_clISt17integral_constantIbLb0EESU_EEDaSP_SQ_EUlSP_E_NS1_11comp_targetILNS1_3genE10ELNS1_11target_archE1200ELNS1_3gpuE4ELNS1_3repE0EEENS1_30default_config_static_selectorELNS0_4arch9wavefront6targetE1EEEvT1_,comdat
.Lfunc_end810:
	.size	_ZN7rocprim17ROCPRIM_400000_NS6detail17trampoline_kernelINS0_14default_configENS1_20scan_config_selectorIiEEZZNS1_9scan_implILNS1_25lookback_scan_determinismE0ELb1ELb1ES3_N6thrust23THRUST_200600_302600_NS6detail15normal_iteratorINS9_10device_ptrIiEEEESE_iNS9_4plusIvEEiEEDaPvRmT3_T4_T5_mT6_P12ihipStream_tbENKUlT_T0_E_clISt17integral_constantIbLb0EESU_EEDaSP_SQ_EUlSP_E_NS1_11comp_targetILNS1_3genE10ELNS1_11target_archE1200ELNS1_3gpuE4ELNS1_3repE0EEENS1_30default_config_static_selectorELNS0_4arch9wavefront6targetE1EEEvT1_, .Lfunc_end810-_ZN7rocprim17ROCPRIM_400000_NS6detail17trampoline_kernelINS0_14default_configENS1_20scan_config_selectorIiEEZZNS1_9scan_implILNS1_25lookback_scan_determinismE0ELb1ELb1ES3_N6thrust23THRUST_200600_302600_NS6detail15normal_iteratorINS9_10device_ptrIiEEEESE_iNS9_4plusIvEEiEEDaPvRmT3_T4_T5_mT6_P12ihipStream_tbENKUlT_T0_E_clISt17integral_constantIbLb0EESU_EEDaSP_SQ_EUlSP_E_NS1_11comp_targetILNS1_3genE10ELNS1_11target_archE1200ELNS1_3gpuE4ELNS1_3repE0EEENS1_30default_config_static_selectorELNS0_4arch9wavefront6targetE1EEEvT1_
                                        ; -- End function
	.section	.AMDGPU.csdata,"",@progbits
; Kernel info:
; codeLenInByte = 0
; NumSgprs: 4
; NumVgprs: 0
; NumAgprs: 0
; TotalNumVgprs: 0
; ScratchSize: 0
; MemoryBound: 0
; FloatMode: 240
; IeeeMode: 1
; LDSByteSize: 0 bytes/workgroup (compile time only)
; SGPRBlocks: 0
; VGPRBlocks: 0
; NumSGPRsForWavesPerEU: 4
; NumVGPRsForWavesPerEU: 1
; AccumOffset: 4
; Occupancy: 8
; WaveLimiterHint : 0
; COMPUTE_PGM_RSRC2:SCRATCH_EN: 0
; COMPUTE_PGM_RSRC2:USER_SGPR: 6
; COMPUTE_PGM_RSRC2:TRAP_HANDLER: 0
; COMPUTE_PGM_RSRC2:TGID_X_EN: 1
; COMPUTE_PGM_RSRC2:TGID_Y_EN: 0
; COMPUTE_PGM_RSRC2:TGID_Z_EN: 0
; COMPUTE_PGM_RSRC2:TIDIG_COMP_CNT: 0
; COMPUTE_PGM_RSRC3_GFX90A:ACCUM_OFFSET: 0
; COMPUTE_PGM_RSRC3_GFX90A:TG_SPLIT: 0
	.section	.text._ZN7rocprim17ROCPRIM_400000_NS6detail17trampoline_kernelINS0_14default_configENS1_20scan_config_selectorIiEEZZNS1_9scan_implILNS1_25lookback_scan_determinismE0ELb1ELb1ES3_N6thrust23THRUST_200600_302600_NS6detail15normal_iteratorINS9_10device_ptrIiEEEESE_iNS9_4plusIvEEiEEDaPvRmT3_T4_T5_mT6_P12ihipStream_tbENKUlT_T0_E_clISt17integral_constantIbLb0EESU_EEDaSP_SQ_EUlSP_E_NS1_11comp_targetILNS1_3genE9ELNS1_11target_archE1100ELNS1_3gpuE3ELNS1_3repE0EEENS1_30default_config_static_selectorELNS0_4arch9wavefront6targetE1EEEvT1_,"axG",@progbits,_ZN7rocprim17ROCPRIM_400000_NS6detail17trampoline_kernelINS0_14default_configENS1_20scan_config_selectorIiEEZZNS1_9scan_implILNS1_25lookback_scan_determinismE0ELb1ELb1ES3_N6thrust23THRUST_200600_302600_NS6detail15normal_iteratorINS9_10device_ptrIiEEEESE_iNS9_4plusIvEEiEEDaPvRmT3_T4_T5_mT6_P12ihipStream_tbENKUlT_T0_E_clISt17integral_constantIbLb0EESU_EEDaSP_SQ_EUlSP_E_NS1_11comp_targetILNS1_3genE9ELNS1_11target_archE1100ELNS1_3gpuE3ELNS1_3repE0EEENS1_30default_config_static_selectorELNS0_4arch9wavefront6targetE1EEEvT1_,comdat
	.protected	_ZN7rocprim17ROCPRIM_400000_NS6detail17trampoline_kernelINS0_14default_configENS1_20scan_config_selectorIiEEZZNS1_9scan_implILNS1_25lookback_scan_determinismE0ELb1ELb1ES3_N6thrust23THRUST_200600_302600_NS6detail15normal_iteratorINS9_10device_ptrIiEEEESE_iNS9_4plusIvEEiEEDaPvRmT3_T4_T5_mT6_P12ihipStream_tbENKUlT_T0_E_clISt17integral_constantIbLb0EESU_EEDaSP_SQ_EUlSP_E_NS1_11comp_targetILNS1_3genE9ELNS1_11target_archE1100ELNS1_3gpuE3ELNS1_3repE0EEENS1_30default_config_static_selectorELNS0_4arch9wavefront6targetE1EEEvT1_ ; -- Begin function _ZN7rocprim17ROCPRIM_400000_NS6detail17trampoline_kernelINS0_14default_configENS1_20scan_config_selectorIiEEZZNS1_9scan_implILNS1_25lookback_scan_determinismE0ELb1ELb1ES3_N6thrust23THRUST_200600_302600_NS6detail15normal_iteratorINS9_10device_ptrIiEEEESE_iNS9_4plusIvEEiEEDaPvRmT3_T4_T5_mT6_P12ihipStream_tbENKUlT_T0_E_clISt17integral_constantIbLb0EESU_EEDaSP_SQ_EUlSP_E_NS1_11comp_targetILNS1_3genE9ELNS1_11target_archE1100ELNS1_3gpuE3ELNS1_3repE0EEENS1_30default_config_static_selectorELNS0_4arch9wavefront6targetE1EEEvT1_
	.globl	_ZN7rocprim17ROCPRIM_400000_NS6detail17trampoline_kernelINS0_14default_configENS1_20scan_config_selectorIiEEZZNS1_9scan_implILNS1_25lookback_scan_determinismE0ELb1ELb1ES3_N6thrust23THRUST_200600_302600_NS6detail15normal_iteratorINS9_10device_ptrIiEEEESE_iNS9_4plusIvEEiEEDaPvRmT3_T4_T5_mT6_P12ihipStream_tbENKUlT_T0_E_clISt17integral_constantIbLb0EESU_EEDaSP_SQ_EUlSP_E_NS1_11comp_targetILNS1_3genE9ELNS1_11target_archE1100ELNS1_3gpuE3ELNS1_3repE0EEENS1_30default_config_static_selectorELNS0_4arch9wavefront6targetE1EEEvT1_
	.p2align	8
	.type	_ZN7rocprim17ROCPRIM_400000_NS6detail17trampoline_kernelINS0_14default_configENS1_20scan_config_selectorIiEEZZNS1_9scan_implILNS1_25lookback_scan_determinismE0ELb1ELb1ES3_N6thrust23THRUST_200600_302600_NS6detail15normal_iteratorINS9_10device_ptrIiEEEESE_iNS9_4plusIvEEiEEDaPvRmT3_T4_T5_mT6_P12ihipStream_tbENKUlT_T0_E_clISt17integral_constantIbLb0EESU_EEDaSP_SQ_EUlSP_E_NS1_11comp_targetILNS1_3genE9ELNS1_11target_archE1100ELNS1_3gpuE3ELNS1_3repE0EEENS1_30default_config_static_selectorELNS0_4arch9wavefront6targetE1EEEvT1_,@function
_ZN7rocprim17ROCPRIM_400000_NS6detail17trampoline_kernelINS0_14default_configENS1_20scan_config_selectorIiEEZZNS1_9scan_implILNS1_25lookback_scan_determinismE0ELb1ELb1ES3_N6thrust23THRUST_200600_302600_NS6detail15normal_iteratorINS9_10device_ptrIiEEEESE_iNS9_4plusIvEEiEEDaPvRmT3_T4_T5_mT6_P12ihipStream_tbENKUlT_T0_E_clISt17integral_constantIbLb0EESU_EEDaSP_SQ_EUlSP_E_NS1_11comp_targetILNS1_3genE9ELNS1_11target_archE1100ELNS1_3gpuE3ELNS1_3repE0EEENS1_30default_config_static_selectorELNS0_4arch9wavefront6targetE1EEEvT1_: ; @_ZN7rocprim17ROCPRIM_400000_NS6detail17trampoline_kernelINS0_14default_configENS1_20scan_config_selectorIiEEZZNS1_9scan_implILNS1_25lookback_scan_determinismE0ELb1ELb1ES3_N6thrust23THRUST_200600_302600_NS6detail15normal_iteratorINS9_10device_ptrIiEEEESE_iNS9_4plusIvEEiEEDaPvRmT3_T4_T5_mT6_P12ihipStream_tbENKUlT_T0_E_clISt17integral_constantIbLb0EESU_EEDaSP_SQ_EUlSP_E_NS1_11comp_targetILNS1_3genE9ELNS1_11target_archE1100ELNS1_3gpuE3ELNS1_3repE0EEENS1_30default_config_static_selectorELNS0_4arch9wavefront6targetE1EEEvT1_
; %bb.0:
	.section	.rodata,"a",@progbits
	.p2align	6, 0x0
	.amdhsa_kernel _ZN7rocprim17ROCPRIM_400000_NS6detail17trampoline_kernelINS0_14default_configENS1_20scan_config_selectorIiEEZZNS1_9scan_implILNS1_25lookback_scan_determinismE0ELb1ELb1ES3_N6thrust23THRUST_200600_302600_NS6detail15normal_iteratorINS9_10device_ptrIiEEEESE_iNS9_4plusIvEEiEEDaPvRmT3_T4_T5_mT6_P12ihipStream_tbENKUlT_T0_E_clISt17integral_constantIbLb0EESU_EEDaSP_SQ_EUlSP_E_NS1_11comp_targetILNS1_3genE9ELNS1_11target_archE1100ELNS1_3gpuE3ELNS1_3repE0EEENS1_30default_config_static_selectorELNS0_4arch9wavefront6targetE1EEEvT1_
		.amdhsa_group_segment_fixed_size 0
		.amdhsa_private_segment_fixed_size 0
		.amdhsa_kernarg_size 96
		.amdhsa_user_sgpr_count 6
		.amdhsa_user_sgpr_private_segment_buffer 1
		.amdhsa_user_sgpr_dispatch_ptr 0
		.amdhsa_user_sgpr_queue_ptr 0
		.amdhsa_user_sgpr_kernarg_segment_ptr 1
		.amdhsa_user_sgpr_dispatch_id 0
		.amdhsa_user_sgpr_flat_scratch_init 0
		.amdhsa_user_sgpr_kernarg_preload_length 0
		.amdhsa_user_sgpr_kernarg_preload_offset 0
		.amdhsa_user_sgpr_private_segment_size 0
		.amdhsa_uses_dynamic_stack 0
		.amdhsa_system_sgpr_private_segment_wavefront_offset 0
		.amdhsa_system_sgpr_workgroup_id_x 1
		.amdhsa_system_sgpr_workgroup_id_y 0
		.amdhsa_system_sgpr_workgroup_id_z 0
		.amdhsa_system_sgpr_workgroup_info 0
		.amdhsa_system_vgpr_workitem_id 0
		.amdhsa_next_free_vgpr 1
		.amdhsa_next_free_sgpr 0
		.amdhsa_accum_offset 4
		.amdhsa_reserve_vcc 0
		.amdhsa_reserve_flat_scratch 0
		.amdhsa_float_round_mode_32 0
		.amdhsa_float_round_mode_16_64 0
		.amdhsa_float_denorm_mode_32 3
		.amdhsa_float_denorm_mode_16_64 3
		.amdhsa_dx10_clamp 1
		.amdhsa_ieee_mode 1
		.amdhsa_fp16_overflow 0
		.amdhsa_tg_split 0
		.amdhsa_exception_fp_ieee_invalid_op 0
		.amdhsa_exception_fp_denorm_src 0
		.amdhsa_exception_fp_ieee_div_zero 0
		.amdhsa_exception_fp_ieee_overflow 0
		.amdhsa_exception_fp_ieee_underflow 0
		.amdhsa_exception_fp_ieee_inexact 0
		.amdhsa_exception_int_div_zero 0
	.end_amdhsa_kernel
	.section	.text._ZN7rocprim17ROCPRIM_400000_NS6detail17trampoline_kernelINS0_14default_configENS1_20scan_config_selectorIiEEZZNS1_9scan_implILNS1_25lookback_scan_determinismE0ELb1ELb1ES3_N6thrust23THRUST_200600_302600_NS6detail15normal_iteratorINS9_10device_ptrIiEEEESE_iNS9_4plusIvEEiEEDaPvRmT3_T4_T5_mT6_P12ihipStream_tbENKUlT_T0_E_clISt17integral_constantIbLb0EESU_EEDaSP_SQ_EUlSP_E_NS1_11comp_targetILNS1_3genE9ELNS1_11target_archE1100ELNS1_3gpuE3ELNS1_3repE0EEENS1_30default_config_static_selectorELNS0_4arch9wavefront6targetE1EEEvT1_,"axG",@progbits,_ZN7rocprim17ROCPRIM_400000_NS6detail17trampoline_kernelINS0_14default_configENS1_20scan_config_selectorIiEEZZNS1_9scan_implILNS1_25lookback_scan_determinismE0ELb1ELb1ES3_N6thrust23THRUST_200600_302600_NS6detail15normal_iteratorINS9_10device_ptrIiEEEESE_iNS9_4plusIvEEiEEDaPvRmT3_T4_T5_mT6_P12ihipStream_tbENKUlT_T0_E_clISt17integral_constantIbLb0EESU_EEDaSP_SQ_EUlSP_E_NS1_11comp_targetILNS1_3genE9ELNS1_11target_archE1100ELNS1_3gpuE3ELNS1_3repE0EEENS1_30default_config_static_selectorELNS0_4arch9wavefront6targetE1EEEvT1_,comdat
.Lfunc_end811:
	.size	_ZN7rocprim17ROCPRIM_400000_NS6detail17trampoline_kernelINS0_14default_configENS1_20scan_config_selectorIiEEZZNS1_9scan_implILNS1_25lookback_scan_determinismE0ELb1ELb1ES3_N6thrust23THRUST_200600_302600_NS6detail15normal_iteratorINS9_10device_ptrIiEEEESE_iNS9_4plusIvEEiEEDaPvRmT3_T4_T5_mT6_P12ihipStream_tbENKUlT_T0_E_clISt17integral_constantIbLb0EESU_EEDaSP_SQ_EUlSP_E_NS1_11comp_targetILNS1_3genE9ELNS1_11target_archE1100ELNS1_3gpuE3ELNS1_3repE0EEENS1_30default_config_static_selectorELNS0_4arch9wavefront6targetE1EEEvT1_, .Lfunc_end811-_ZN7rocprim17ROCPRIM_400000_NS6detail17trampoline_kernelINS0_14default_configENS1_20scan_config_selectorIiEEZZNS1_9scan_implILNS1_25lookback_scan_determinismE0ELb1ELb1ES3_N6thrust23THRUST_200600_302600_NS6detail15normal_iteratorINS9_10device_ptrIiEEEESE_iNS9_4plusIvEEiEEDaPvRmT3_T4_T5_mT6_P12ihipStream_tbENKUlT_T0_E_clISt17integral_constantIbLb0EESU_EEDaSP_SQ_EUlSP_E_NS1_11comp_targetILNS1_3genE9ELNS1_11target_archE1100ELNS1_3gpuE3ELNS1_3repE0EEENS1_30default_config_static_selectorELNS0_4arch9wavefront6targetE1EEEvT1_
                                        ; -- End function
	.section	.AMDGPU.csdata,"",@progbits
; Kernel info:
; codeLenInByte = 0
; NumSgprs: 4
; NumVgprs: 0
; NumAgprs: 0
; TotalNumVgprs: 0
; ScratchSize: 0
; MemoryBound: 0
; FloatMode: 240
; IeeeMode: 1
; LDSByteSize: 0 bytes/workgroup (compile time only)
; SGPRBlocks: 0
; VGPRBlocks: 0
; NumSGPRsForWavesPerEU: 4
; NumVGPRsForWavesPerEU: 1
; AccumOffset: 4
; Occupancy: 8
; WaveLimiterHint : 0
; COMPUTE_PGM_RSRC2:SCRATCH_EN: 0
; COMPUTE_PGM_RSRC2:USER_SGPR: 6
; COMPUTE_PGM_RSRC2:TRAP_HANDLER: 0
; COMPUTE_PGM_RSRC2:TGID_X_EN: 1
; COMPUTE_PGM_RSRC2:TGID_Y_EN: 0
; COMPUTE_PGM_RSRC2:TGID_Z_EN: 0
; COMPUTE_PGM_RSRC2:TIDIG_COMP_CNT: 0
; COMPUTE_PGM_RSRC3_GFX90A:ACCUM_OFFSET: 0
; COMPUTE_PGM_RSRC3_GFX90A:TG_SPLIT: 0
	.section	.text._ZN7rocprim17ROCPRIM_400000_NS6detail17trampoline_kernelINS0_14default_configENS1_20scan_config_selectorIiEEZZNS1_9scan_implILNS1_25lookback_scan_determinismE0ELb1ELb1ES3_N6thrust23THRUST_200600_302600_NS6detail15normal_iteratorINS9_10device_ptrIiEEEESE_iNS9_4plusIvEEiEEDaPvRmT3_T4_T5_mT6_P12ihipStream_tbENKUlT_T0_E_clISt17integral_constantIbLb0EESU_EEDaSP_SQ_EUlSP_E_NS1_11comp_targetILNS1_3genE8ELNS1_11target_archE1030ELNS1_3gpuE2ELNS1_3repE0EEENS1_30default_config_static_selectorELNS0_4arch9wavefront6targetE1EEEvT1_,"axG",@progbits,_ZN7rocprim17ROCPRIM_400000_NS6detail17trampoline_kernelINS0_14default_configENS1_20scan_config_selectorIiEEZZNS1_9scan_implILNS1_25lookback_scan_determinismE0ELb1ELb1ES3_N6thrust23THRUST_200600_302600_NS6detail15normal_iteratorINS9_10device_ptrIiEEEESE_iNS9_4plusIvEEiEEDaPvRmT3_T4_T5_mT6_P12ihipStream_tbENKUlT_T0_E_clISt17integral_constantIbLb0EESU_EEDaSP_SQ_EUlSP_E_NS1_11comp_targetILNS1_3genE8ELNS1_11target_archE1030ELNS1_3gpuE2ELNS1_3repE0EEENS1_30default_config_static_selectorELNS0_4arch9wavefront6targetE1EEEvT1_,comdat
	.protected	_ZN7rocprim17ROCPRIM_400000_NS6detail17trampoline_kernelINS0_14default_configENS1_20scan_config_selectorIiEEZZNS1_9scan_implILNS1_25lookback_scan_determinismE0ELb1ELb1ES3_N6thrust23THRUST_200600_302600_NS6detail15normal_iteratorINS9_10device_ptrIiEEEESE_iNS9_4plusIvEEiEEDaPvRmT3_T4_T5_mT6_P12ihipStream_tbENKUlT_T0_E_clISt17integral_constantIbLb0EESU_EEDaSP_SQ_EUlSP_E_NS1_11comp_targetILNS1_3genE8ELNS1_11target_archE1030ELNS1_3gpuE2ELNS1_3repE0EEENS1_30default_config_static_selectorELNS0_4arch9wavefront6targetE1EEEvT1_ ; -- Begin function _ZN7rocprim17ROCPRIM_400000_NS6detail17trampoline_kernelINS0_14default_configENS1_20scan_config_selectorIiEEZZNS1_9scan_implILNS1_25lookback_scan_determinismE0ELb1ELb1ES3_N6thrust23THRUST_200600_302600_NS6detail15normal_iteratorINS9_10device_ptrIiEEEESE_iNS9_4plusIvEEiEEDaPvRmT3_T4_T5_mT6_P12ihipStream_tbENKUlT_T0_E_clISt17integral_constantIbLb0EESU_EEDaSP_SQ_EUlSP_E_NS1_11comp_targetILNS1_3genE8ELNS1_11target_archE1030ELNS1_3gpuE2ELNS1_3repE0EEENS1_30default_config_static_selectorELNS0_4arch9wavefront6targetE1EEEvT1_
	.globl	_ZN7rocprim17ROCPRIM_400000_NS6detail17trampoline_kernelINS0_14default_configENS1_20scan_config_selectorIiEEZZNS1_9scan_implILNS1_25lookback_scan_determinismE0ELb1ELb1ES3_N6thrust23THRUST_200600_302600_NS6detail15normal_iteratorINS9_10device_ptrIiEEEESE_iNS9_4plusIvEEiEEDaPvRmT3_T4_T5_mT6_P12ihipStream_tbENKUlT_T0_E_clISt17integral_constantIbLb0EESU_EEDaSP_SQ_EUlSP_E_NS1_11comp_targetILNS1_3genE8ELNS1_11target_archE1030ELNS1_3gpuE2ELNS1_3repE0EEENS1_30default_config_static_selectorELNS0_4arch9wavefront6targetE1EEEvT1_
	.p2align	8
	.type	_ZN7rocprim17ROCPRIM_400000_NS6detail17trampoline_kernelINS0_14default_configENS1_20scan_config_selectorIiEEZZNS1_9scan_implILNS1_25lookback_scan_determinismE0ELb1ELb1ES3_N6thrust23THRUST_200600_302600_NS6detail15normal_iteratorINS9_10device_ptrIiEEEESE_iNS9_4plusIvEEiEEDaPvRmT3_T4_T5_mT6_P12ihipStream_tbENKUlT_T0_E_clISt17integral_constantIbLb0EESU_EEDaSP_SQ_EUlSP_E_NS1_11comp_targetILNS1_3genE8ELNS1_11target_archE1030ELNS1_3gpuE2ELNS1_3repE0EEENS1_30default_config_static_selectorELNS0_4arch9wavefront6targetE1EEEvT1_,@function
_ZN7rocprim17ROCPRIM_400000_NS6detail17trampoline_kernelINS0_14default_configENS1_20scan_config_selectorIiEEZZNS1_9scan_implILNS1_25lookback_scan_determinismE0ELb1ELb1ES3_N6thrust23THRUST_200600_302600_NS6detail15normal_iteratorINS9_10device_ptrIiEEEESE_iNS9_4plusIvEEiEEDaPvRmT3_T4_T5_mT6_P12ihipStream_tbENKUlT_T0_E_clISt17integral_constantIbLb0EESU_EEDaSP_SQ_EUlSP_E_NS1_11comp_targetILNS1_3genE8ELNS1_11target_archE1030ELNS1_3gpuE2ELNS1_3repE0EEENS1_30default_config_static_selectorELNS0_4arch9wavefront6targetE1EEEvT1_: ; @_ZN7rocprim17ROCPRIM_400000_NS6detail17trampoline_kernelINS0_14default_configENS1_20scan_config_selectorIiEEZZNS1_9scan_implILNS1_25lookback_scan_determinismE0ELb1ELb1ES3_N6thrust23THRUST_200600_302600_NS6detail15normal_iteratorINS9_10device_ptrIiEEEESE_iNS9_4plusIvEEiEEDaPvRmT3_T4_T5_mT6_P12ihipStream_tbENKUlT_T0_E_clISt17integral_constantIbLb0EESU_EEDaSP_SQ_EUlSP_E_NS1_11comp_targetILNS1_3genE8ELNS1_11target_archE1030ELNS1_3gpuE2ELNS1_3repE0EEENS1_30default_config_static_selectorELNS0_4arch9wavefront6targetE1EEEvT1_
; %bb.0:
	.section	.rodata,"a",@progbits
	.p2align	6, 0x0
	.amdhsa_kernel _ZN7rocprim17ROCPRIM_400000_NS6detail17trampoline_kernelINS0_14default_configENS1_20scan_config_selectorIiEEZZNS1_9scan_implILNS1_25lookback_scan_determinismE0ELb1ELb1ES3_N6thrust23THRUST_200600_302600_NS6detail15normal_iteratorINS9_10device_ptrIiEEEESE_iNS9_4plusIvEEiEEDaPvRmT3_T4_T5_mT6_P12ihipStream_tbENKUlT_T0_E_clISt17integral_constantIbLb0EESU_EEDaSP_SQ_EUlSP_E_NS1_11comp_targetILNS1_3genE8ELNS1_11target_archE1030ELNS1_3gpuE2ELNS1_3repE0EEENS1_30default_config_static_selectorELNS0_4arch9wavefront6targetE1EEEvT1_
		.amdhsa_group_segment_fixed_size 0
		.amdhsa_private_segment_fixed_size 0
		.amdhsa_kernarg_size 96
		.amdhsa_user_sgpr_count 6
		.amdhsa_user_sgpr_private_segment_buffer 1
		.amdhsa_user_sgpr_dispatch_ptr 0
		.amdhsa_user_sgpr_queue_ptr 0
		.amdhsa_user_sgpr_kernarg_segment_ptr 1
		.amdhsa_user_sgpr_dispatch_id 0
		.amdhsa_user_sgpr_flat_scratch_init 0
		.amdhsa_user_sgpr_kernarg_preload_length 0
		.amdhsa_user_sgpr_kernarg_preload_offset 0
		.amdhsa_user_sgpr_private_segment_size 0
		.amdhsa_uses_dynamic_stack 0
		.amdhsa_system_sgpr_private_segment_wavefront_offset 0
		.amdhsa_system_sgpr_workgroup_id_x 1
		.amdhsa_system_sgpr_workgroup_id_y 0
		.amdhsa_system_sgpr_workgroup_id_z 0
		.amdhsa_system_sgpr_workgroup_info 0
		.amdhsa_system_vgpr_workitem_id 0
		.amdhsa_next_free_vgpr 1
		.amdhsa_next_free_sgpr 0
		.amdhsa_accum_offset 4
		.amdhsa_reserve_vcc 0
		.amdhsa_reserve_flat_scratch 0
		.amdhsa_float_round_mode_32 0
		.amdhsa_float_round_mode_16_64 0
		.amdhsa_float_denorm_mode_32 3
		.amdhsa_float_denorm_mode_16_64 3
		.amdhsa_dx10_clamp 1
		.amdhsa_ieee_mode 1
		.amdhsa_fp16_overflow 0
		.amdhsa_tg_split 0
		.amdhsa_exception_fp_ieee_invalid_op 0
		.amdhsa_exception_fp_denorm_src 0
		.amdhsa_exception_fp_ieee_div_zero 0
		.amdhsa_exception_fp_ieee_overflow 0
		.amdhsa_exception_fp_ieee_underflow 0
		.amdhsa_exception_fp_ieee_inexact 0
		.amdhsa_exception_int_div_zero 0
	.end_amdhsa_kernel
	.section	.text._ZN7rocprim17ROCPRIM_400000_NS6detail17trampoline_kernelINS0_14default_configENS1_20scan_config_selectorIiEEZZNS1_9scan_implILNS1_25lookback_scan_determinismE0ELb1ELb1ES3_N6thrust23THRUST_200600_302600_NS6detail15normal_iteratorINS9_10device_ptrIiEEEESE_iNS9_4plusIvEEiEEDaPvRmT3_T4_T5_mT6_P12ihipStream_tbENKUlT_T0_E_clISt17integral_constantIbLb0EESU_EEDaSP_SQ_EUlSP_E_NS1_11comp_targetILNS1_3genE8ELNS1_11target_archE1030ELNS1_3gpuE2ELNS1_3repE0EEENS1_30default_config_static_selectorELNS0_4arch9wavefront6targetE1EEEvT1_,"axG",@progbits,_ZN7rocprim17ROCPRIM_400000_NS6detail17trampoline_kernelINS0_14default_configENS1_20scan_config_selectorIiEEZZNS1_9scan_implILNS1_25lookback_scan_determinismE0ELb1ELb1ES3_N6thrust23THRUST_200600_302600_NS6detail15normal_iteratorINS9_10device_ptrIiEEEESE_iNS9_4plusIvEEiEEDaPvRmT3_T4_T5_mT6_P12ihipStream_tbENKUlT_T0_E_clISt17integral_constantIbLb0EESU_EEDaSP_SQ_EUlSP_E_NS1_11comp_targetILNS1_3genE8ELNS1_11target_archE1030ELNS1_3gpuE2ELNS1_3repE0EEENS1_30default_config_static_selectorELNS0_4arch9wavefront6targetE1EEEvT1_,comdat
.Lfunc_end812:
	.size	_ZN7rocprim17ROCPRIM_400000_NS6detail17trampoline_kernelINS0_14default_configENS1_20scan_config_selectorIiEEZZNS1_9scan_implILNS1_25lookback_scan_determinismE0ELb1ELb1ES3_N6thrust23THRUST_200600_302600_NS6detail15normal_iteratorINS9_10device_ptrIiEEEESE_iNS9_4plusIvEEiEEDaPvRmT3_T4_T5_mT6_P12ihipStream_tbENKUlT_T0_E_clISt17integral_constantIbLb0EESU_EEDaSP_SQ_EUlSP_E_NS1_11comp_targetILNS1_3genE8ELNS1_11target_archE1030ELNS1_3gpuE2ELNS1_3repE0EEENS1_30default_config_static_selectorELNS0_4arch9wavefront6targetE1EEEvT1_, .Lfunc_end812-_ZN7rocprim17ROCPRIM_400000_NS6detail17trampoline_kernelINS0_14default_configENS1_20scan_config_selectorIiEEZZNS1_9scan_implILNS1_25lookback_scan_determinismE0ELb1ELb1ES3_N6thrust23THRUST_200600_302600_NS6detail15normal_iteratorINS9_10device_ptrIiEEEESE_iNS9_4plusIvEEiEEDaPvRmT3_T4_T5_mT6_P12ihipStream_tbENKUlT_T0_E_clISt17integral_constantIbLb0EESU_EEDaSP_SQ_EUlSP_E_NS1_11comp_targetILNS1_3genE8ELNS1_11target_archE1030ELNS1_3gpuE2ELNS1_3repE0EEENS1_30default_config_static_selectorELNS0_4arch9wavefront6targetE1EEEvT1_
                                        ; -- End function
	.section	.AMDGPU.csdata,"",@progbits
; Kernel info:
; codeLenInByte = 0
; NumSgprs: 4
; NumVgprs: 0
; NumAgprs: 0
; TotalNumVgprs: 0
; ScratchSize: 0
; MemoryBound: 0
; FloatMode: 240
; IeeeMode: 1
; LDSByteSize: 0 bytes/workgroup (compile time only)
; SGPRBlocks: 0
; VGPRBlocks: 0
; NumSGPRsForWavesPerEU: 4
; NumVGPRsForWavesPerEU: 1
; AccumOffset: 4
; Occupancy: 8
; WaveLimiterHint : 0
; COMPUTE_PGM_RSRC2:SCRATCH_EN: 0
; COMPUTE_PGM_RSRC2:USER_SGPR: 6
; COMPUTE_PGM_RSRC2:TRAP_HANDLER: 0
; COMPUTE_PGM_RSRC2:TGID_X_EN: 1
; COMPUTE_PGM_RSRC2:TGID_Y_EN: 0
; COMPUTE_PGM_RSRC2:TGID_Z_EN: 0
; COMPUTE_PGM_RSRC2:TIDIG_COMP_CNT: 0
; COMPUTE_PGM_RSRC3_GFX90A:ACCUM_OFFSET: 0
; COMPUTE_PGM_RSRC3_GFX90A:TG_SPLIT: 0
	.section	.text._ZN7rocprim17ROCPRIM_400000_NS6detail17trampoline_kernelINS0_14default_configENS1_20scan_config_selectorIiEEZZNS1_9scan_implILNS1_25lookback_scan_determinismE0ELb1ELb1ES3_N6thrust23THRUST_200600_302600_NS6detail15normal_iteratorINS9_10device_ptrIiEEEESE_iNS9_4plusIvEEiEEDaPvRmT3_T4_T5_mT6_P12ihipStream_tbENKUlT_T0_E_clISt17integral_constantIbLb0EESU_EEDaSP_SQ_EUlSP_E0_NS1_11comp_targetILNS1_3genE0ELNS1_11target_archE4294967295ELNS1_3gpuE0ELNS1_3repE0EEENS1_30default_config_static_selectorELNS0_4arch9wavefront6targetE1EEEvT1_,"axG",@progbits,_ZN7rocprim17ROCPRIM_400000_NS6detail17trampoline_kernelINS0_14default_configENS1_20scan_config_selectorIiEEZZNS1_9scan_implILNS1_25lookback_scan_determinismE0ELb1ELb1ES3_N6thrust23THRUST_200600_302600_NS6detail15normal_iteratorINS9_10device_ptrIiEEEESE_iNS9_4plusIvEEiEEDaPvRmT3_T4_T5_mT6_P12ihipStream_tbENKUlT_T0_E_clISt17integral_constantIbLb0EESU_EEDaSP_SQ_EUlSP_E0_NS1_11comp_targetILNS1_3genE0ELNS1_11target_archE4294967295ELNS1_3gpuE0ELNS1_3repE0EEENS1_30default_config_static_selectorELNS0_4arch9wavefront6targetE1EEEvT1_,comdat
	.protected	_ZN7rocprim17ROCPRIM_400000_NS6detail17trampoline_kernelINS0_14default_configENS1_20scan_config_selectorIiEEZZNS1_9scan_implILNS1_25lookback_scan_determinismE0ELb1ELb1ES3_N6thrust23THRUST_200600_302600_NS6detail15normal_iteratorINS9_10device_ptrIiEEEESE_iNS9_4plusIvEEiEEDaPvRmT3_T4_T5_mT6_P12ihipStream_tbENKUlT_T0_E_clISt17integral_constantIbLb0EESU_EEDaSP_SQ_EUlSP_E0_NS1_11comp_targetILNS1_3genE0ELNS1_11target_archE4294967295ELNS1_3gpuE0ELNS1_3repE0EEENS1_30default_config_static_selectorELNS0_4arch9wavefront6targetE1EEEvT1_ ; -- Begin function _ZN7rocprim17ROCPRIM_400000_NS6detail17trampoline_kernelINS0_14default_configENS1_20scan_config_selectorIiEEZZNS1_9scan_implILNS1_25lookback_scan_determinismE0ELb1ELb1ES3_N6thrust23THRUST_200600_302600_NS6detail15normal_iteratorINS9_10device_ptrIiEEEESE_iNS9_4plusIvEEiEEDaPvRmT3_T4_T5_mT6_P12ihipStream_tbENKUlT_T0_E_clISt17integral_constantIbLb0EESU_EEDaSP_SQ_EUlSP_E0_NS1_11comp_targetILNS1_3genE0ELNS1_11target_archE4294967295ELNS1_3gpuE0ELNS1_3repE0EEENS1_30default_config_static_selectorELNS0_4arch9wavefront6targetE1EEEvT1_
	.globl	_ZN7rocprim17ROCPRIM_400000_NS6detail17trampoline_kernelINS0_14default_configENS1_20scan_config_selectorIiEEZZNS1_9scan_implILNS1_25lookback_scan_determinismE0ELb1ELb1ES3_N6thrust23THRUST_200600_302600_NS6detail15normal_iteratorINS9_10device_ptrIiEEEESE_iNS9_4plusIvEEiEEDaPvRmT3_T4_T5_mT6_P12ihipStream_tbENKUlT_T0_E_clISt17integral_constantIbLb0EESU_EEDaSP_SQ_EUlSP_E0_NS1_11comp_targetILNS1_3genE0ELNS1_11target_archE4294967295ELNS1_3gpuE0ELNS1_3repE0EEENS1_30default_config_static_selectorELNS0_4arch9wavefront6targetE1EEEvT1_
	.p2align	8
	.type	_ZN7rocprim17ROCPRIM_400000_NS6detail17trampoline_kernelINS0_14default_configENS1_20scan_config_selectorIiEEZZNS1_9scan_implILNS1_25lookback_scan_determinismE0ELb1ELb1ES3_N6thrust23THRUST_200600_302600_NS6detail15normal_iteratorINS9_10device_ptrIiEEEESE_iNS9_4plusIvEEiEEDaPvRmT3_T4_T5_mT6_P12ihipStream_tbENKUlT_T0_E_clISt17integral_constantIbLb0EESU_EEDaSP_SQ_EUlSP_E0_NS1_11comp_targetILNS1_3genE0ELNS1_11target_archE4294967295ELNS1_3gpuE0ELNS1_3repE0EEENS1_30default_config_static_selectorELNS0_4arch9wavefront6targetE1EEEvT1_,@function
_ZN7rocprim17ROCPRIM_400000_NS6detail17trampoline_kernelINS0_14default_configENS1_20scan_config_selectorIiEEZZNS1_9scan_implILNS1_25lookback_scan_determinismE0ELb1ELb1ES3_N6thrust23THRUST_200600_302600_NS6detail15normal_iteratorINS9_10device_ptrIiEEEESE_iNS9_4plusIvEEiEEDaPvRmT3_T4_T5_mT6_P12ihipStream_tbENKUlT_T0_E_clISt17integral_constantIbLb0EESU_EEDaSP_SQ_EUlSP_E0_NS1_11comp_targetILNS1_3genE0ELNS1_11target_archE4294967295ELNS1_3gpuE0ELNS1_3repE0EEENS1_30default_config_static_selectorELNS0_4arch9wavefront6targetE1EEEvT1_: ; @_ZN7rocprim17ROCPRIM_400000_NS6detail17trampoline_kernelINS0_14default_configENS1_20scan_config_selectorIiEEZZNS1_9scan_implILNS1_25lookback_scan_determinismE0ELb1ELb1ES3_N6thrust23THRUST_200600_302600_NS6detail15normal_iteratorINS9_10device_ptrIiEEEESE_iNS9_4plusIvEEiEEDaPvRmT3_T4_T5_mT6_P12ihipStream_tbENKUlT_T0_E_clISt17integral_constantIbLb0EESU_EEDaSP_SQ_EUlSP_E0_NS1_11comp_targetILNS1_3genE0ELNS1_11target_archE4294967295ELNS1_3gpuE0ELNS1_3repE0EEENS1_30default_config_static_selectorELNS0_4arch9wavefront6targetE1EEEvT1_
; %bb.0:
	.section	.rodata,"a",@progbits
	.p2align	6, 0x0
	.amdhsa_kernel _ZN7rocprim17ROCPRIM_400000_NS6detail17trampoline_kernelINS0_14default_configENS1_20scan_config_selectorIiEEZZNS1_9scan_implILNS1_25lookback_scan_determinismE0ELb1ELb1ES3_N6thrust23THRUST_200600_302600_NS6detail15normal_iteratorINS9_10device_ptrIiEEEESE_iNS9_4plusIvEEiEEDaPvRmT3_T4_T5_mT6_P12ihipStream_tbENKUlT_T0_E_clISt17integral_constantIbLb0EESU_EEDaSP_SQ_EUlSP_E0_NS1_11comp_targetILNS1_3genE0ELNS1_11target_archE4294967295ELNS1_3gpuE0ELNS1_3repE0EEENS1_30default_config_static_selectorELNS0_4arch9wavefront6targetE1EEEvT1_
		.amdhsa_group_segment_fixed_size 0
		.amdhsa_private_segment_fixed_size 0
		.amdhsa_kernarg_size 32
		.amdhsa_user_sgpr_count 6
		.amdhsa_user_sgpr_private_segment_buffer 1
		.amdhsa_user_sgpr_dispatch_ptr 0
		.amdhsa_user_sgpr_queue_ptr 0
		.amdhsa_user_sgpr_kernarg_segment_ptr 1
		.amdhsa_user_sgpr_dispatch_id 0
		.amdhsa_user_sgpr_flat_scratch_init 0
		.amdhsa_user_sgpr_kernarg_preload_length 0
		.amdhsa_user_sgpr_kernarg_preload_offset 0
		.amdhsa_user_sgpr_private_segment_size 0
		.amdhsa_uses_dynamic_stack 0
		.amdhsa_system_sgpr_private_segment_wavefront_offset 0
		.amdhsa_system_sgpr_workgroup_id_x 1
		.amdhsa_system_sgpr_workgroup_id_y 0
		.amdhsa_system_sgpr_workgroup_id_z 0
		.amdhsa_system_sgpr_workgroup_info 0
		.amdhsa_system_vgpr_workitem_id 0
		.amdhsa_next_free_vgpr 1
		.amdhsa_next_free_sgpr 0
		.amdhsa_accum_offset 4
		.amdhsa_reserve_vcc 0
		.amdhsa_reserve_flat_scratch 0
		.amdhsa_float_round_mode_32 0
		.amdhsa_float_round_mode_16_64 0
		.amdhsa_float_denorm_mode_32 3
		.amdhsa_float_denorm_mode_16_64 3
		.amdhsa_dx10_clamp 1
		.amdhsa_ieee_mode 1
		.amdhsa_fp16_overflow 0
		.amdhsa_tg_split 0
		.amdhsa_exception_fp_ieee_invalid_op 0
		.amdhsa_exception_fp_denorm_src 0
		.amdhsa_exception_fp_ieee_div_zero 0
		.amdhsa_exception_fp_ieee_overflow 0
		.amdhsa_exception_fp_ieee_underflow 0
		.amdhsa_exception_fp_ieee_inexact 0
		.amdhsa_exception_int_div_zero 0
	.end_amdhsa_kernel
	.section	.text._ZN7rocprim17ROCPRIM_400000_NS6detail17trampoline_kernelINS0_14default_configENS1_20scan_config_selectorIiEEZZNS1_9scan_implILNS1_25lookback_scan_determinismE0ELb1ELb1ES3_N6thrust23THRUST_200600_302600_NS6detail15normal_iteratorINS9_10device_ptrIiEEEESE_iNS9_4plusIvEEiEEDaPvRmT3_T4_T5_mT6_P12ihipStream_tbENKUlT_T0_E_clISt17integral_constantIbLb0EESU_EEDaSP_SQ_EUlSP_E0_NS1_11comp_targetILNS1_3genE0ELNS1_11target_archE4294967295ELNS1_3gpuE0ELNS1_3repE0EEENS1_30default_config_static_selectorELNS0_4arch9wavefront6targetE1EEEvT1_,"axG",@progbits,_ZN7rocprim17ROCPRIM_400000_NS6detail17trampoline_kernelINS0_14default_configENS1_20scan_config_selectorIiEEZZNS1_9scan_implILNS1_25lookback_scan_determinismE0ELb1ELb1ES3_N6thrust23THRUST_200600_302600_NS6detail15normal_iteratorINS9_10device_ptrIiEEEESE_iNS9_4plusIvEEiEEDaPvRmT3_T4_T5_mT6_P12ihipStream_tbENKUlT_T0_E_clISt17integral_constantIbLb0EESU_EEDaSP_SQ_EUlSP_E0_NS1_11comp_targetILNS1_3genE0ELNS1_11target_archE4294967295ELNS1_3gpuE0ELNS1_3repE0EEENS1_30default_config_static_selectorELNS0_4arch9wavefront6targetE1EEEvT1_,comdat
.Lfunc_end813:
	.size	_ZN7rocprim17ROCPRIM_400000_NS6detail17trampoline_kernelINS0_14default_configENS1_20scan_config_selectorIiEEZZNS1_9scan_implILNS1_25lookback_scan_determinismE0ELb1ELb1ES3_N6thrust23THRUST_200600_302600_NS6detail15normal_iteratorINS9_10device_ptrIiEEEESE_iNS9_4plusIvEEiEEDaPvRmT3_T4_T5_mT6_P12ihipStream_tbENKUlT_T0_E_clISt17integral_constantIbLb0EESU_EEDaSP_SQ_EUlSP_E0_NS1_11comp_targetILNS1_3genE0ELNS1_11target_archE4294967295ELNS1_3gpuE0ELNS1_3repE0EEENS1_30default_config_static_selectorELNS0_4arch9wavefront6targetE1EEEvT1_, .Lfunc_end813-_ZN7rocprim17ROCPRIM_400000_NS6detail17trampoline_kernelINS0_14default_configENS1_20scan_config_selectorIiEEZZNS1_9scan_implILNS1_25lookback_scan_determinismE0ELb1ELb1ES3_N6thrust23THRUST_200600_302600_NS6detail15normal_iteratorINS9_10device_ptrIiEEEESE_iNS9_4plusIvEEiEEDaPvRmT3_T4_T5_mT6_P12ihipStream_tbENKUlT_T0_E_clISt17integral_constantIbLb0EESU_EEDaSP_SQ_EUlSP_E0_NS1_11comp_targetILNS1_3genE0ELNS1_11target_archE4294967295ELNS1_3gpuE0ELNS1_3repE0EEENS1_30default_config_static_selectorELNS0_4arch9wavefront6targetE1EEEvT1_
                                        ; -- End function
	.section	.AMDGPU.csdata,"",@progbits
; Kernel info:
; codeLenInByte = 0
; NumSgprs: 4
; NumVgprs: 0
; NumAgprs: 0
; TotalNumVgprs: 0
; ScratchSize: 0
; MemoryBound: 0
; FloatMode: 240
; IeeeMode: 1
; LDSByteSize: 0 bytes/workgroup (compile time only)
; SGPRBlocks: 0
; VGPRBlocks: 0
; NumSGPRsForWavesPerEU: 4
; NumVGPRsForWavesPerEU: 1
; AccumOffset: 4
; Occupancy: 8
; WaveLimiterHint : 0
; COMPUTE_PGM_RSRC2:SCRATCH_EN: 0
; COMPUTE_PGM_RSRC2:USER_SGPR: 6
; COMPUTE_PGM_RSRC2:TRAP_HANDLER: 0
; COMPUTE_PGM_RSRC2:TGID_X_EN: 1
; COMPUTE_PGM_RSRC2:TGID_Y_EN: 0
; COMPUTE_PGM_RSRC2:TGID_Z_EN: 0
; COMPUTE_PGM_RSRC2:TIDIG_COMP_CNT: 0
; COMPUTE_PGM_RSRC3_GFX90A:ACCUM_OFFSET: 0
; COMPUTE_PGM_RSRC3_GFX90A:TG_SPLIT: 0
	.section	.text._ZN7rocprim17ROCPRIM_400000_NS6detail17trampoline_kernelINS0_14default_configENS1_20scan_config_selectorIiEEZZNS1_9scan_implILNS1_25lookback_scan_determinismE0ELb1ELb1ES3_N6thrust23THRUST_200600_302600_NS6detail15normal_iteratorINS9_10device_ptrIiEEEESE_iNS9_4plusIvEEiEEDaPvRmT3_T4_T5_mT6_P12ihipStream_tbENKUlT_T0_E_clISt17integral_constantIbLb0EESU_EEDaSP_SQ_EUlSP_E0_NS1_11comp_targetILNS1_3genE5ELNS1_11target_archE942ELNS1_3gpuE9ELNS1_3repE0EEENS1_30default_config_static_selectorELNS0_4arch9wavefront6targetE1EEEvT1_,"axG",@progbits,_ZN7rocprim17ROCPRIM_400000_NS6detail17trampoline_kernelINS0_14default_configENS1_20scan_config_selectorIiEEZZNS1_9scan_implILNS1_25lookback_scan_determinismE0ELb1ELb1ES3_N6thrust23THRUST_200600_302600_NS6detail15normal_iteratorINS9_10device_ptrIiEEEESE_iNS9_4plusIvEEiEEDaPvRmT3_T4_T5_mT6_P12ihipStream_tbENKUlT_T0_E_clISt17integral_constantIbLb0EESU_EEDaSP_SQ_EUlSP_E0_NS1_11comp_targetILNS1_3genE5ELNS1_11target_archE942ELNS1_3gpuE9ELNS1_3repE0EEENS1_30default_config_static_selectorELNS0_4arch9wavefront6targetE1EEEvT1_,comdat
	.protected	_ZN7rocprim17ROCPRIM_400000_NS6detail17trampoline_kernelINS0_14default_configENS1_20scan_config_selectorIiEEZZNS1_9scan_implILNS1_25lookback_scan_determinismE0ELb1ELb1ES3_N6thrust23THRUST_200600_302600_NS6detail15normal_iteratorINS9_10device_ptrIiEEEESE_iNS9_4plusIvEEiEEDaPvRmT3_T4_T5_mT6_P12ihipStream_tbENKUlT_T0_E_clISt17integral_constantIbLb0EESU_EEDaSP_SQ_EUlSP_E0_NS1_11comp_targetILNS1_3genE5ELNS1_11target_archE942ELNS1_3gpuE9ELNS1_3repE0EEENS1_30default_config_static_selectorELNS0_4arch9wavefront6targetE1EEEvT1_ ; -- Begin function _ZN7rocprim17ROCPRIM_400000_NS6detail17trampoline_kernelINS0_14default_configENS1_20scan_config_selectorIiEEZZNS1_9scan_implILNS1_25lookback_scan_determinismE0ELb1ELb1ES3_N6thrust23THRUST_200600_302600_NS6detail15normal_iteratorINS9_10device_ptrIiEEEESE_iNS9_4plusIvEEiEEDaPvRmT3_T4_T5_mT6_P12ihipStream_tbENKUlT_T0_E_clISt17integral_constantIbLb0EESU_EEDaSP_SQ_EUlSP_E0_NS1_11comp_targetILNS1_3genE5ELNS1_11target_archE942ELNS1_3gpuE9ELNS1_3repE0EEENS1_30default_config_static_selectorELNS0_4arch9wavefront6targetE1EEEvT1_
	.globl	_ZN7rocprim17ROCPRIM_400000_NS6detail17trampoline_kernelINS0_14default_configENS1_20scan_config_selectorIiEEZZNS1_9scan_implILNS1_25lookback_scan_determinismE0ELb1ELb1ES3_N6thrust23THRUST_200600_302600_NS6detail15normal_iteratorINS9_10device_ptrIiEEEESE_iNS9_4plusIvEEiEEDaPvRmT3_T4_T5_mT6_P12ihipStream_tbENKUlT_T0_E_clISt17integral_constantIbLb0EESU_EEDaSP_SQ_EUlSP_E0_NS1_11comp_targetILNS1_3genE5ELNS1_11target_archE942ELNS1_3gpuE9ELNS1_3repE0EEENS1_30default_config_static_selectorELNS0_4arch9wavefront6targetE1EEEvT1_
	.p2align	8
	.type	_ZN7rocprim17ROCPRIM_400000_NS6detail17trampoline_kernelINS0_14default_configENS1_20scan_config_selectorIiEEZZNS1_9scan_implILNS1_25lookback_scan_determinismE0ELb1ELb1ES3_N6thrust23THRUST_200600_302600_NS6detail15normal_iteratorINS9_10device_ptrIiEEEESE_iNS9_4plusIvEEiEEDaPvRmT3_T4_T5_mT6_P12ihipStream_tbENKUlT_T0_E_clISt17integral_constantIbLb0EESU_EEDaSP_SQ_EUlSP_E0_NS1_11comp_targetILNS1_3genE5ELNS1_11target_archE942ELNS1_3gpuE9ELNS1_3repE0EEENS1_30default_config_static_selectorELNS0_4arch9wavefront6targetE1EEEvT1_,@function
_ZN7rocprim17ROCPRIM_400000_NS6detail17trampoline_kernelINS0_14default_configENS1_20scan_config_selectorIiEEZZNS1_9scan_implILNS1_25lookback_scan_determinismE0ELb1ELb1ES3_N6thrust23THRUST_200600_302600_NS6detail15normal_iteratorINS9_10device_ptrIiEEEESE_iNS9_4plusIvEEiEEDaPvRmT3_T4_T5_mT6_P12ihipStream_tbENKUlT_T0_E_clISt17integral_constantIbLb0EESU_EEDaSP_SQ_EUlSP_E0_NS1_11comp_targetILNS1_3genE5ELNS1_11target_archE942ELNS1_3gpuE9ELNS1_3repE0EEENS1_30default_config_static_selectorELNS0_4arch9wavefront6targetE1EEEvT1_: ; @_ZN7rocprim17ROCPRIM_400000_NS6detail17trampoline_kernelINS0_14default_configENS1_20scan_config_selectorIiEEZZNS1_9scan_implILNS1_25lookback_scan_determinismE0ELb1ELb1ES3_N6thrust23THRUST_200600_302600_NS6detail15normal_iteratorINS9_10device_ptrIiEEEESE_iNS9_4plusIvEEiEEDaPvRmT3_T4_T5_mT6_P12ihipStream_tbENKUlT_T0_E_clISt17integral_constantIbLb0EESU_EEDaSP_SQ_EUlSP_E0_NS1_11comp_targetILNS1_3genE5ELNS1_11target_archE942ELNS1_3gpuE9ELNS1_3repE0EEENS1_30default_config_static_selectorELNS0_4arch9wavefront6targetE1EEEvT1_
; %bb.0:
	.section	.rodata,"a",@progbits
	.p2align	6, 0x0
	.amdhsa_kernel _ZN7rocprim17ROCPRIM_400000_NS6detail17trampoline_kernelINS0_14default_configENS1_20scan_config_selectorIiEEZZNS1_9scan_implILNS1_25lookback_scan_determinismE0ELb1ELb1ES3_N6thrust23THRUST_200600_302600_NS6detail15normal_iteratorINS9_10device_ptrIiEEEESE_iNS9_4plusIvEEiEEDaPvRmT3_T4_T5_mT6_P12ihipStream_tbENKUlT_T0_E_clISt17integral_constantIbLb0EESU_EEDaSP_SQ_EUlSP_E0_NS1_11comp_targetILNS1_3genE5ELNS1_11target_archE942ELNS1_3gpuE9ELNS1_3repE0EEENS1_30default_config_static_selectorELNS0_4arch9wavefront6targetE1EEEvT1_
		.amdhsa_group_segment_fixed_size 0
		.amdhsa_private_segment_fixed_size 0
		.amdhsa_kernarg_size 32
		.amdhsa_user_sgpr_count 6
		.amdhsa_user_sgpr_private_segment_buffer 1
		.amdhsa_user_sgpr_dispatch_ptr 0
		.amdhsa_user_sgpr_queue_ptr 0
		.amdhsa_user_sgpr_kernarg_segment_ptr 1
		.amdhsa_user_sgpr_dispatch_id 0
		.amdhsa_user_sgpr_flat_scratch_init 0
		.amdhsa_user_sgpr_kernarg_preload_length 0
		.amdhsa_user_sgpr_kernarg_preload_offset 0
		.amdhsa_user_sgpr_private_segment_size 0
		.amdhsa_uses_dynamic_stack 0
		.amdhsa_system_sgpr_private_segment_wavefront_offset 0
		.amdhsa_system_sgpr_workgroup_id_x 1
		.amdhsa_system_sgpr_workgroup_id_y 0
		.amdhsa_system_sgpr_workgroup_id_z 0
		.amdhsa_system_sgpr_workgroup_info 0
		.amdhsa_system_vgpr_workitem_id 0
		.amdhsa_next_free_vgpr 1
		.amdhsa_next_free_sgpr 0
		.amdhsa_accum_offset 4
		.amdhsa_reserve_vcc 0
		.amdhsa_reserve_flat_scratch 0
		.amdhsa_float_round_mode_32 0
		.amdhsa_float_round_mode_16_64 0
		.amdhsa_float_denorm_mode_32 3
		.amdhsa_float_denorm_mode_16_64 3
		.amdhsa_dx10_clamp 1
		.amdhsa_ieee_mode 1
		.amdhsa_fp16_overflow 0
		.amdhsa_tg_split 0
		.amdhsa_exception_fp_ieee_invalid_op 0
		.amdhsa_exception_fp_denorm_src 0
		.amdhsa_exception_fp_ieee_div_zero 0
		.amdhsa_exception_fp_ieee_overflow 0
		.amdhsa_exception_fp_ieee_underflow 0
		.amdhsa_exception_fp_ieee_inexact 0
		.amdhsa_exception_int_div_zero 0
	.end_amdhsa_kernel
	.section	.text._ZN7rocprim17ROCPRIM_400000_NS6detail17trampoline_kernelINS0_14default_configENS1_20scan_config_selectorIiEEZZNS1_9scan_implILNS1_25lookback_scan_determinismE0ELb1ELb1ES3_N6thrust23THRUST_200600_302600_NS6detail15normal_iteratorINS9_10device_ptrIiEEEESE_iNS9_4plusIvEEiEEDaPvRmT3_T4_T5_mT6_P12ihipStream_tbENKUlT_T0_E_clISt17integral_constantIbLb0EESU_EEDaSP_SQ_EUlSP_E0_NS1_11comp_targetILNS1_3genE5ELNS1_11target_archE942ELNS1_3gpuE9ELNS1_3repE0EEENS1_30default_config_static_selectorELNS0_4arch9wavefront6targetE1EEEvT1_,"axG",@progbits,_ZN7rocprim17ROCPRIM_400000_NS6detail17trampoline_kernelINS0_14default_configENS1_20scan_config_selectorIiEEZZNS1_9scan_implILNS1_25lookback_scan_determinismE0ELb1ELb1ES3_N6thrust23THRUST_200600_302600_NS6detail15normal_iteratorINS9_10device_ptrIiEEEESE_iNS9_4plusIvEEiEEDaPvRmT3_T4_T5_mT6_P12ihipStream_tbENKUlT_T0_E_clISt17integral_constantIbLb0EESU_EEDaSP_SQ_EUlSP_E0_NS1_11comp_targetILNS1_3genE5ELNS1_11target_archE942ELNS1_3gpuE9ELNS1_3repE0EEENS1_30default_config_static_selectorELNS0_4arch9wavefront6targetE1EEEvT1_,comdat
.Lfunc_end814:
	.size	_ZN7rocprim17ROCPRIM_400000_NS6detail17trampoline_kernelINS0_14default_configENS1_20scan_config_selectorIiEEZZNS1_9scan_implILNS1_25lookback_scan_determinismE0ELb1ELb1ES3_N6thrust23THRUST_200600_302600_NS6detail15normal_iteratorINS9_10device_ptrIiEEEESE_iNS9_4plusIvEEiEEDaPvRmT3_T4_T5_mT6_P12ihipStream_tbENKUlT_T0_E_clISt17integral_constantIbLb0EESU_EEDaSP_SQ_EUlSP_E0_NS1_11comp_targetILNS1_3genE5ELNS1_11target_archE942ELNS1_3gpuE9ELNS1_3repE0EEENS1_30default_config_static_selectorELNS0_4arch9wavefront6targetE1EEEvT1_, .Lfunc_end814-_ZN7rocprim17ROCPRIM_400000_NS6detail17trampoline_kernelINS0_14default_configENS1_20scan_config_selectorIiEEZZNS1_9scan_implILNS1_25lookback_scan_determinismE0ELb1ELb1ES3_N6thrust23THRUST_200600_302600_NS6detail15normal_iteratorINS9_10device_ptrIiEEEESE_iNS9_4plusIvEEiEEDaPvRmT3_T4_T5_mT6_P12ihipStream_tbENKUlT_T0_E_clISt17integral_constantIbLb0EESU_EEDaSP_SQ_EUlSP_E0_NS1_11comp_targetILNS1_3genE5ELNS1_11target_archE942ELNS1_3gpuE9ELNS1_3repE0EEENS1_30default_config_static_selectorELNS0_4arch9wavefront6targetE1EEEvT1_
                                        ; -- End function
	.section	.AMDGPU.csdata,"",@progbits
; Kernel info:
; codeLenInByte = 0
; NumSgprs: 4
; NumVgprs: 0
; NumAgprs: 0
; TotalNumVgprs: 0
; ScratchSize: 0
; MemoryBound: 0
; FloatMode: 240
; IeeeMode: 1
; LDSByteSize: 0 bytes/workgroup (compile time only)
; SGPRBlocks: 0
; VGPRBlocks: 0
; NumSGPRsForWavesPerEU: 4
; NumVGPRsForWavesPerEU: 1
; AccumOffset: 4
; Occupancy: 8
; WaveLimiterHint : 0
; COMPUTE_PGM_RSRC2:SCRATCH_EN: 0
; COMPUTE_PGM_RSRC2:USER_SGPR: 6
; COMPUTE_PGM_RSRC2:TRAP_HANDLER: 0
; COMPUTE_PGM_RSRC2:TGID_X_EN: 1
; COMPUTE_PGM_RSRC2:TGID_Y_EN: 0
; COMPUTE_PGM_RSRC2:TGID_Z_EN: 0
; COMPUTE_PGM_RSRC2:TIDIG_COMP_CNT: 0
; COMPUTE_PGM_RSRC3_GFX90A:ACCUM_OFFSET: 0
; COMPUTE_PGM_RSRC3_GFX90A:TG_SPLIT: 0
	.section	.text._ZN7rocprim17ROCPRIM_400000_NS6detail17trampoline_kernelINS0_14default_configENS1_20scan_config_selectorIiEEZZNS1_9scan_implILNS1_25lookback_scan_determinismE0ELb1ELb1ES3_N6thrust23THRUST_200600_302600_NS6detail15normal_iteratorINS9_10device_ptrIiEEEESE_iNS9_4plusIvEEiEEDaPvRmT3_T4_T5_mT6_P12ihipStream_tbENKUlT_T0_E_clISt17integral_constantIbLb0EESU_EEDaSP_SQ_EUlSP_E0_NS1_11comp_targetILNS1_3genE4ELNS1_11target_archE910ELNS1_3gpuE8ELNS1_3repE0EEENS1_30default_config_static_selectorELNS0_4arch9wavefront6targetE1EEEvT1_,"axG",@progbits,_ZN7rocprim17ROCPRIM_400000_NS6detail17trampoline_kernelINS0_14default_configENS1_20scan_config_selectorIiEEZZNS1_9scan_implILNS1_25lookback_scan_determinismE0ELb1ELb1ES3_N6thrust23THRUST_200600_302600_NS6detail15normal_iteratorINS9_10device_ptrIiEEEESE_iNS9_4plusIvEEiEEDaPvRmT3_T4_T5_mT6_P12ihipStream_tbENKUlT_T0_E_clISt17integral_constantIbLb0EESU_EEDaSP_SQ_EUlSP_E0_NS1_11comp_targetILNS1_3genE4ELNS1_11target_archE910ELNS1_3gpuE8ELNS1_3repE0EEENS1_30default_config_static_selectorELNS0_4arch9wavefront6targetE1EEEvT1_,comdat
	.protected	_ZN7rocprim17ROCPRIM_400000_NS6detail17trampoline_kernelINS0_14default_configENS1_20scan_config_selectorIiEEZZNS1_9scan_implILNS1_25lookback_scan_determinismE0ELb1ELb1ES3_N6thrust23THRUST_200600_302600_NS6detail15normal_iteratorINS9_10device_ptrIiEEEESE_iNS9_4plusIvEEiEEDaPvRmT3_T4_T5_mT6_P12ihipStream_tbENKUlT_T0_E_clISt17integral_constantIbLb0EESU_EEDaSP_SQ_EUlSP_E0_NS1_11comp_targetILNS1_3genE4ELNS1_11target_archE910ELNS1_3gpuE8ELNS1_3repE0EEENS1_30default_config_static_selectorELNS0_4arch9wavefront6targetE1EEEvT1_ ; -- Begin function _ZN7rocprim17ROCPRIM_400000_NS6detail17trampoline_kernelINS0_14default_configENS1_20scan_config_selectorIiEEZZNS1_9scan_implILNS1_25lookback_scan_determinismE0ELb1ELb1ES3_N6thrust23THRUST_200600_302600_NS6detail15normal_iteratorINS9_10device_ptrIiEEEESE_iNS9_4plusIvEEiEEDaPvRmT3_T4_T5_mT6_P12ihipStream_tbENKUlT_T0_E_clISt17integral_constantIbLb0EESU_EEDaSP_SQ_EUlSP_E0_NS1_11comp_targetILNS1_3genE4ELNS1_11target_archE910ELNS1_3gpuE8ELNS1_3repE0EEENS1_30default_config_static_selectorELNS0_4arch9wavefront6targetE1EEEvT1_
	.globl	_ZN7rocprim17ROCPRIM_400000_NS6detail17trampoline_kernelINS0_14default_configENS1_20scan_config_selectorIiEEZZNS1_9scan_implILNS1_25lookback_scan_determinismE0ELb1ELb1ES3_N6thrust23THRUST_200600_302600_NS6detail15normal_iteratorINS9_10device_ptrIiEEEESE_iNS9_4plusIvEEiEEDaPvRmT3_T4_T5_mT6_P12ihipStream_tbENKUlT_T0_E_clISt17integral_constantIbLb0EESU_EEDaSP_SQ_EUlSP_E0_NS1_11comp_targetILNS1_3genE4ELNS1_11target_archE910ELNS1_3gpuE8ELNS1_3repE0EEENS1_30default_config_static_selectorELNS0_4arch9wavefront6targetE1EEEvT1_
	.p2align	8
	.type	_ZN7rocprim17ROCPRIM_400000_NS6detail17trampoline_kernelINS0_14default_configENS1_20scan_config_selectorIiEEZZNS1_9scan_implILNS1_25lookback_scan_determinismE0ELb1ELb1ES3_N6thrust23THRUST_200600_302600_NS6detail15normal_iteratorINS9_10device_ptrIiEEEESE_iNS9_4plusIvEEiEEDaPvRmT3_T4_T5_mT6_P12ihipStream_tbENKUlT_T0_E_clISt17integral_constantIbLb0EESU_EEDaSP_SQ_EUlSP_E0_NS1_11comp_targetILNS1_3genE4ELNS1_11target_archE910ELNS1_3gpuE8ELNS1_3repE0EEENS1_30default_config_static_selectorELNS0_4arch9wavefront6targetE1EEEvT1_,@function
_ZN7rocprim17ROCPRIM_400000_NS6detail17trampoline_kernelINS0_14default_configENS1_20scan_config_selectorIiEEZZNS1_9scan_implILNS1_25lookback_scan_determinismE0ELb1ELb1ES3_N6thrust23THRUST_200600_302600_NS6detail15normal_iteratorINS9_10device_ptrIiEEEESE_iNS9_4plusIvEEiEEDaPvRmT3_T4_T5_mT6_P12ihipStream_tbENKUlT_T0_E_clISt17integral_constantIbLb0EESU_EEDaSP_SQ_EUlSP_E0_NS1_11comp_targetILNS1_3genE4ELNS1_11target_archE910ELNS1_3gpuE8ELNS1_3repE0EEENS1_30default_config_static_selectorELNS0_4arch9wavefront6targetE1EEEvT1_: ; @_ZN7rocprim17ROCPRIM_400000_NS6detail17trampoline_kernelINS0_14default_configENS1_20scan_config_selectorIiEEZZNS1_9scan_implILNS1_25lookback_scan_determinismE0ELb1ELb1ES3_N6thrust23THRUST_200600_302600_NS6detail15normal_iteratorINS9_10device_ptrIiEEEESE_iNS9_4plusIvEEiEEDaPvRmT3_T4_T5_mT6_P12ihipStream_tbENKUlT_T0_E_clISt17integral_constantIbLb0EESU_EEDaSP_SQ_EUlSP_E0_NS1_11comp_targetILNS1_3genE4ELNS1_11target_archE910ELNS1_3gpuE8ELNS1_3repE0EEENS1_30default_config_static_selectorELNS0_4arch9wavefront6targetE1EEEvT1_
; %bb.0:
	s_load_dwordx4 s[20:23], s[4:5], 0x0
	v_lshlrev_b32_e32 v14, 2, v0
	s_waitcnt lgkmcnt(0)
	s_load_dword s23, s[20:21], 0x0
	v_cmp_gt_u32_e32 vcc, s22, v0
	s_waitcnt lgkmcnt(0)
	v_mov_b32_e32 v1, s23
	s_and_saveexec_b64 s[0:1], vcc
	s_cbranch_execz .LBB815_2
; %bb.1:
	global_load_dword v1, v14, s[20:21]
.LBB815_2:
	s_or_b64 exec, exec, s[0:1]
	v_or_b32_e32 v2, 0x80, v0
	v_cmp_gt_u32_e64 s[0:1], s22, v2
	v_mov_b32_e32 v2, s23
	s_and_saveexec_b64 s[2:3], s[0:1]
	s_cbranch_execz .LBB815_4
; %bb.3:
	global_load_dword v2, v14, s[20:21] offset:512
.LBB815_4:
	s_or_b64 exec, exec, s[2:3]
	v_or_b32_e32 v3, 0x100, v0
	v_cmp_gt_u32_e64 s[2:3], s22, v3
	v_mov_b32_e32 v3, s23
	s_and_saveexec_b64 s[6:7], s[2:3]
	s_cbranch_execz .LBB815_6
; %bb.5:
	global_load_dword v3, v14, s[20:21] offset:1024
.LBB815_6:
	s_or_b64 exec, exec, s[6:7]
	v_or_b32_e32 v4, 0x180, v0
	v_cmp_gt_u32_e64 s[18:19], s22, v4
	v_mov_b32_e32 v4, s23
	s_and_saveexec_b64 s[6:7], s[18:19]
	s_cbranch_execz .LBB815_8
; %bb.7:
	global_load_dword v4, v14, s[20:21] offset:1536
.LBB815_8:
	s_or_b64 exec, exec, s[6:7]
	v_or_b32_e32 v5, 0x200, v0
	v_cmp_gt_u32_e64 s[6:7], s22, v5
	v_mov_b32_e32 v5, s23
	s_and_saveexec_b64 s[8:9], s[6:7]
	s_cbranch_execz .LBB815_10
; %bb.9:
	global_load_dword v5, v14, s[20:21] offset:2048
.LBB815_10:
	s_or_b64 exec, exec, s[8:9]
	v_or_b32_e32 v6, 0x280, v0
	v_cmp_gt_u32_e64 s[8:9], s22, v6
	v_mov_b32_e32 v6, s23
	s_and_saveexec_b64 s[10:11], s[8:9]
	s_cbranch_execz .LBB815_12
; %bb.11:
	global_load_dword v6, v14, s[20:21] offset:2560
.LBB815_12:
	s_or_b64 exec, exec, s[10:11]
	v_or_b32_e32 v7, 0x300, v0
	v_cmp_gt_u32_e64 s[10:11], s22, v7
	v_mov_b32_e32 v7, s23
	s_and_saveexec_b64 s[12:13], s[10:11]
	s_cbranch_execz .LBB815_14
; %bb.13:
	global_load_dword v7, v14, s[20:21] offset:3072
.LBB815_14:
	s_or_b64 exec, exec, s[12:13]
	v_or_b32_e32 v8, 0x380, v0
	v_cmp_gt_u32_e64 s[12:13], s22, v8
	v_mov_b32_e32 v8, s23
	s_and_saveexec_b64 s[14:15], s[12:13]
	s_cbranch_execz .LBB815_16
; %bb.15:
	global_load_dword v8, v14, s[20:21] offset:3584
.LBB815_16:
	s_or_b64 exec, exec, s[14:15]
	v_or_b32_e32 v10, 0x400, v0
	v_cmp_gt_u32_e64 s[14:15], s22, v10
	v_mov_b32_e32 v9, s23
	s_and_saveexec_b64 s[16:17], s[14:15]
	s_cbranch_execz .LBB815_18
; %bb.17:
	v_lshlrev_b32_e32 v9, 2, v10
	global_load_dword v9, v9, s[20:21]
.LBB815_18:
	s_or_b64 exec, exec, s[16:17]
	s_load_dword s24, s[4:5], 0x10
	v_or_b32_e32 v11, 0x480, v0
	v_cmp_gt_u32_e64 s[16:17], s22, v11
	v_mov_b32_e32 v10, s23
	s_and_saveexec_b64 s[22:23], s[16:17]
	s_cbranch_execz .LBB815_20
; %bb.19:
	v_lshlrev_b32_e32 v10, 2, v11
	global_load_dword v10, v10, s[20:21]
.LBB815_20:
	s_or_b64 exec, exec, s[22:23]
	s_waitcnt vmcnt(0)
	ds_write2st64_b32 v14, v1, v2 offset1:2
	ds_write2st64_b32 v14, v3, v4 offset0:4 offset1:6
	ds_write2st64_b32 v14, v5, v6 offset0:8 offset1:10
	;; [unrolled: 1-line block ×4, first 2 shown]
	v_mad_u32_u24 v1, v0, 36, v14
	s_waitcnt lgkmcnt(0)
	s_barrier
	ds_read2_b64 v[6:9], v1 offset1:1
	ds_read2_b64 v[2:5], v1 offset0:2 offset1:3
	ds_read_b64 v[10:11], v1 offset:32
	s_load_dwordx2 s[20:21], s[4:5], 0x18
	v_cmp_gt_u32_e64 s[4:5], 64, v0
	s_waitcnt lgkmcnt(0)
	v_add_u32_e32 v1, v7, v6
	v_add3_u32 v1, v1, v8, v9
	v_add3_u32 v1, v1, v2, v3
	;; [unrolled: 1-line block ×4, first 2 shown]
	v_lshrrev_b32_e32 v11, 3, v0
	v_and_b32_e32 v11, 12, v11
	v_add_u32_e32 v11, v14, v11
	s_barrier
	ds_write_b32 v11, v1
	s_waitcnt lgkmcnt(0)
	s_barrier
	s_and_saveexec_b64 s[22:23], s[4:5]
	s_cbranch_execz .LBB815_22
; %bb.21:
	v_lshlrev_b32_e32 v11, 1, v0
	v_lshrrev_b32_e32 v12, 4, v0
	v_add_lshl_u32 v11, v12, v11, 2
	ds_read2_b32 v[12:13], v11 offset1:1
	v_mbcnt_lo_u32_b32 v15, -1, 0
	v_mbcnt_hi_u32_b32 v15, -1, v15
	v_and_b32_e32 v16, 15, v15
	v_cmp_ne_u32_e64 s[4:5], 0, v16
	s_waitcnt lgkmcnt(0)
	v_add_u32_e32 v13, v13, v12
	; wave barrier
	s_nop 1
	v_mov_b32_dpp v17, v13 row_shr:1 row_mask:0xf bank_mask:0xf
	v_cndmask_b32_e64 v17, 0, v17, s[4:5]
	v_add_u32_e32 v13, v17, v13
	v_cmp_lt_u32_e64 s[4:5], 1, v16
	s_nop 0
	v_mov_b32_dpp v17, v13 row_shr:2 row_mask:0xf bank_mask:0xf
	v_cndmask_b32_e64 v17, 0, v17, s[4:5]
	v_add_u32_e32 v13, v13, v17
	v_cmp_lt_u32_e64 s[4:5], 3, v16
	;; [unrolled: 5-line block ×3, first 2 shown]
	s_nop 0
	v_mov_b32_dpp v17, v13 row_shr:8 row_mask:0xf bank_mask:0xf
	v_cndmask_b32_e64 v16, 0, v17, s[4:5]
	v_add_u32_e32 v13, v13, v16
	v_bfe_i32 v17, v15, 4, 1
	v_cmp_lt_u32_e64 s[4:5], 31, v15
	v_mov_b32_dpp v16, v13 row_bcast:15 row_mask:0xf bank_mask:0xf
	v_and_b32_e32 v16, v17, v16
	v_add_u32_e32 v13, v13, v16
	v_and_b32_e32 v17, 64, v15
	s_nop 0
	v_mov_b32_dpp v16, v13 row_bcast:31 row_mask:0xf bank_mask:0xf
	v_cndmask_b32_e64 v16, 0, v16, s[4:5]
	v_add_u32_e32 v13, v13, v16
	v_add_u32_e32 v16, -1, v15
	v_cmp_lt_i32_e64 s[4:5], v16, v17
	v_cndmask_b32_e64 v15, v16, v15, s[4:5]
	v_lshlrev_b32_e32 v15, 2, v15
	ds_bpermute_b32 v13, v15, v13
	v_cmp_eq_u32_e64 s[4:5], 0, v0
	s_waitcnt lgkmcnt(0)
	v_add_u32_e32 v12, v13, v12
	v_cndmask_b32_e64 v1, v12, v1, s[4:5]
	ds_write_b32 v11, v1
	; wave barrier
	ds_read_b32 v12, v11 offset:4
	s_waitcnt lgkmcnt(0)
	v_add_u32_e32 v1, v12, v1
	ds_write_b32 v11, v1 offset:4
.LBB815_22:
	s_or_b64 exec, exec, s[22:23]
	v_mul_u32_u24_e32 v1, 36, v0
	v_cmp_ne_u32_e64 s[4:5], 0, v0
	v_mov_b32_e32 v12, s24
	s_waitcnt lgkmcnt(0)
	s_barrier
	s_and_saveexec_b64 s[22:23], s[4:5]
	s_cbranch_execz .LBB815_24
; %bb.23:
	v_add_u32_e32 v0, -1, v0
	v_lshrrev_b32_e32 v11, 5, v0
	v_add_lshl_u32 v0, v11, v0, 2
	ds_read_b32 v0, v0
	s_waitcnt lgkmcnt(0)
	v_add_u32_e32 v12, s24, v0
.LBB815_24:
	s_or_b64 exec, exec, s[22:23]
	v_add_u32_e32 v13, v12, v6
	v_add_u32_e32 v6, v13, v7
	;; [unrolled: 1-line block ×10, first 2 shown]
	s_barrier
	ds_write2_b64 v0, v[12:13], v[6:7] offset1:1
	ds_write2_b64 v0, v[8:9], v[2:3] offset0:2 offset1:3
	ds_write_b64 v0, v[4:5] offset:32
	s_waitcnt lgkmcnt(0)
	s_barrier
	ds_read2st64_b32 v[8:9], v14 offset0:2 offset1:4
	ds_read2st64_b32 v[6:7], v14 offset0:6 offset1:8
	ds_read2st64_b32 v[4:5], v14 offset0:10 offset1:12
	ds_read2st64_b32 v[2:3], v14 offset0:14 offset1:16
	ds_read_b32 v10, v14 offset:4608
	v_mov_b32_e32 v1, s21
	v_add_co_u32_e64 v0, s[4:5], s20, v14
	v_addc_co_u32_e64 v1, s[4:5], 0, v1, s[4:5]
	s_and_saveexec_b64 s[4:5], vcc
	s_cbranch_execnz .LBB815_35
; %bb.25:
	s_or_b64 exec, exec, s[4:5]
	s_and_saveexec_b64 s[4:5], s[0:1]
	s_cbranch_execnz .LBB815_36
.LBB815_26:
	s_or_b64 exec, exec, s[4:5]
	s_and_saveexec_b64 s[0:1], s[2:3]
	s_cbranch_execnz .LBB815_37
.LBB815_27:
	s_or_b64 exec, exec, s[0:1]
	s_and_saveexec_b64 s[0:1], s[18:19]
	s_cbranch_execnz .LBB815_38
.LBB815_28:
	s_or_b64 exec, exec, s[0:1]
	s_and_saveexec_b64 s[0:1], s[6:7]
	s_cbranch_execnz .LBB815_39
.LBB815_29:
	s_or_b64 exec, exec, s[0:1]
	s_and_saveexec_b64 s[0:1], s[8:9]
	s_cbranch_execnz .LBB815_40
.LBB815_30:
	s_or_b64 exec, exec, s[0:1]
	s_and_saveexec_b64 s[0:1], s[10:11]
	s_cbranch_execnz .LBB815_41
.LBB815_31:
	s_or_b64 exec, exec, s[0:1]
	s_and_saveexec_b64 s[0:1], s[12:13]
	s_cbranch_execnz .LBB815_42
.LBB815_32:
	s_or_b64 exec, exec, s[0:1]
	s_and_saveexec_b64 s[0:1], s[14:15]
	s_cbranch_execnz .LBB815_43
.LBB815_33:
	s_or_b64 exec, exec, s[0:1]
	s_and_saveexec_b64 s[0:1], s[16:17]
	s_cbranch_execnz .LBB815_44
.LBB815_34:
	s_endpgm
.LBB815_35:
	ds_read_b32 v11, v14
	s_waitcnt lgkmcnt(0)
	global_store_dword v[0:1], v11, off
	s_or_b64 exec, exec, s[4:5]
	s_and_saveexec_b64 s[4:5], s[0:1]
	s_cbranch_execz .LBB815_26
.LBB815_36:
	s_waitcnt lgkmcnt(4)
	global_store_dword v[0:1], v8, off offset:512
	s_or_b64 exec, exec, s[4:5]
	s_and_saveexec_b64 s[0:1], s[2:3]
	s_cbranch_execz .LBB815_27
.LBB815_37:
	s_waitcnt lgkmcnt(4)
	global_store_dword v[0:1], v9, off offset:1024
	s_or_b64 exec, exec, s[0:1]
	s_and_saveexec_b64 s[0:1], s[18:19]
	s_cbranch_execz .LBB815_28
.LBB815_38:
	s_waitcnt lgkmcnt(3)
	global_store_dword v[0:1], v6, off offset:1536
	s_or_b64 exec, exec, s[0:1]
	s_and_saveexec_b64 s[0:1], s[6:7]
	s_cbranch_execz .LBB815_29
.LBB815_39:
	s_waitcnt lgkmcnt(3)
	global_store_dword v[0:1], v7, off offset:2048
	s_or_b64 exec, exec, s[0:1]
	s_and_saveexec_b64 s[0:1], s[8:9]
	s_cbranch_execz .LBB815_30
.LBB815_40:
	s_waitcnt lgkmcnt(2)
	global_store_dword v[0:1], v4, off offset:2560
	s_or_b64 exec, exec, s[0:1]
	s_and_saveexec_b64 s[0:1], s[10:11]
	s_cbranch_execz .LBB815_31
.LBB815_41:
	s_waitcnt lgkmcnt(2)
	global_store_dword v[0:1], v5, off offset:3072
	s_or_b64 exec, exec, s[0:1]
	s_and_saveexec_b64 s[0:1], s[12:13]
	s_cbranch_execz .LBB815_32
.LBB815_42:
	s_waitcnt lgkmcnt(1)
	global_store_dword v[0:1], v2, off offset:3584
	s_or_b64 exec, exec, s[0:1]
	s_and_saveexec_b64 s[0:1], s[14:15]
	s_cbranch_execz .LBB815_33
.LBB815_43:
	s_waitcnt lgkmcnt(2)
	v_add_co_u32_e32 v4, vcc, 0x1000, v0
	v_addc_co_u32_e32 v5, vcc, 0, v1, vcc
	s_waitcnt lgkmcnt(1)
	global_store_dword v[4:5], v3, off
	s_or_b64 exec, exec, s[0:1]
	s_and_saveexec_b64 s[0:1], s[16:17]
	s_cbranch_execz .LBB815_34
.LBB815_44:
	v_add_co_u32_e32 v0, vcc, 0x1000, v0
	v_addc_co_u32_e32 v1, vcc, 0, v1, vcc
	s_waitcnt lgkmcnt(0)
	global_store_dword v[0:1], v10, off offset:512
	s_endpgm
	.section	.rodata,"a",@progbits
	.p2align	6, 0x0
	.amdhsa_kernel _ZN7rocprim17ROCPRIM_400000_NS6detail17trampoline_kernelINS0_14default_configENS1_20scan_config_selectorIiEEZZNS1_9scan_implILNS1_25lookback_scan_determinismE0ELb1ELb1ES3_N6thrust23THRUST_200600_302600_NS6detail15normal_iteratorINS9_10device_ptrIiEEEESE_iNS9_4plusIvEEiEEDaPvRmT3_T4_T5_mT6_P12ihipStream_tbENKUlT_T0_E_clISt17integral_constantIbLb0EESU_EEDaSP_SQ_EUlSP_E0_NS1_11comp_targetILNS1_3genE4ELNS1_11target_archE910ELNS1_3gpuE8ELNS1_3repE0EEENS1_30default_config_static_selectorELNS0_4arch9wavefront6targetE1EEEvT1_
		.amdhsa_group_segment_fixed_size 5120
		.amdhsa_private_segment_fixed_size 0
		.amdhsa_kernarg_size 32
		.amdhsa_user_sgpr_count 6
		.amdhsa_user_sgpr_private_segment_buffer 1
		.amdhsa_user_sgpr_dispatch_ptr 0
		.amdhsa_user_sgpr_queue_ptr 0
		.amdhsa_user_sgpr_kernarg_segment_ptr 1
		.amdhsa_user_sgpr_dispatch_id 0
		.amdhsa_user_sgpr_flat_scratch_init 0
		.amdhsa_user_sgpr_kernarg_preload_length 0
		.amdhsa_user_sgpr_kernarg_preload_offset 0
		.amdhsa_user_sgpr_private_segment_size 0
		.amdhsa_uses_dynamic_stack 0
		.amdhsa_system_sgpr_private_segment_wavefront_offset 0
		.amdhsa_system_sgpr_workgroup_id_x 1
		.amdhsa_system_sgpr_workgroup_id_y 0
		.amdhsa_system_sgpr_workgroup_id_z 0
		.amdhsa_system_sgpr_workgroup_info 0
		.amdhsa_system_vgpr_workitem_id 0
		.amdhsa_next_free_vgpr 18
		.amdhsa_next_free_sgpr 25
		.amdhsa_accum_offset 20
		.amdhsa_reserve_vcc 1
		.amdhsa_reserve_flat_scratch 0
		.amdhsa_float_round_mode_32 0
		.amdhsa_float_round_mode_16_64 0
		.amdhsa_float_denorm_mode_32 3
		.amdhsa_float_denorm_mode_16_64 3
		.amdhsa_dx10_clamp 1
		.amdhsa_ieee_mode 1
		.amdhsa_fp16_overflow 0
		.amdhsa_tg_split 0
		.amdhsa_exception_fp_ieee_invalid_op 0
		.amdhsa_exception_fp_denorm_src 0
		.amdhsa_exception_fp_ieee_div_zero 0
		.amdhsa_exception_fp_ieee_overflow 0
		.amdhsa_exception_fp_ieee_underflow 0
		.amdhsa_exception_fp_ieee_inexact 0
		.amdhsa_exception_int_div_zero 0
	.end_amdhsa_kernel
	.section	.text._ZN7rocprim17ROCPRIM_400000_NS6detail17trampoline_kernelINS0_14default_configENS1_20scan_config_selectorIiEEZZNS1_9scan_implILNS1_25lookback_scan_determinismE0ELb1ELb1ES3_N6thrust23THRUST_200600_302600_NS6detail15normal_iteratorINS9_10device_ptrIiEEEESE_iNS9_4plusIvEEiEEDaPvRmT3_T4_T5_mT6_P12ihipStream_tbENKUlT_T0_E_clISt17integral_constantIbLb0EESU_EEDaSP_SQ_EUlSP_E0_NS1_11comp_targetILNS1_3genE4ELNS1_11target_archE910ELNS1_3gpuE8ELNS1_3repE0EEENS1_30default_config_static_selectorELNS0_4arch9wavefront6targetE1EEEvT1_,"axG",@progbits,_ZN7rocprim17ROCPRIM_400000_NS6detail17trampoline_kernelINS0_14default_configENS1_20scan_config_selectorIiEEZZNS1_9scan_implILNS1_25lookback_scan_determinismE0ELb1ELb1ES3_N6thrust23THRUST_200600_302600_NS6detail15normal_iteratorINS9_10device_ptrIiEEEESE_iNS9_4plusIvEEiEEDaPvRmT3_T4_T5_mT6_P12ihipStream_tbENKUlT_T0_E_clISt17integral_constantIbLb0EESU_EEDaSP_SQ_EUlSP_E0_NS1_11comp_targetILNS1_3genE4ELNS1_11target_archE910ELNS1_3gpuE8ELNS1_3repE0EEENS1_30default_config_static_selectorELNS0_4arch9wavefront6targetE1EEEvT1_,comdat
.Lfunc_end815:
	.size	_ZN7rocprim17ROCPRIM_400000_NS6detail17trampoline_kernelINS0_14default_configENS1_20scan_config_selectorIiEEZZNS1_9scan_implILNS1_25lookback_scan_determinismE0ELb1ELb1ES3_N6thrust23THRUST_200600_302600_NS6detail15normal_iteratorINS9_10device_ptrIiEEEESE_iNS9_4plusIvEEiEEDaPvRmT3_T4_T5_mT6_P12ihipStream_tbENKUlT_T0_E_clISt17integral_constantIbLb0EESU_EEDaSP_SQ_EUlSP_E0_NS1_11comp_targetILNS1_3genE4ELNS1_11target_archE910ELNS1_3gpuE8ELNS1_3repE0EEENS1_30default_config_static_selectorELNS0_4arch9wavefront6targetE1EEEvT1_, .Lfunc_end815-_ZN7rocprim17ROCPRIM_400000_NS6detail17trampoline_kernelINS0_14default_configENS1_20scan_config_selectorIiEEZZNS1_9scan_implILNS1_25lookback_scan_determinismE0ELb1ELb1ES3_N6thrust23THRUST_200600_302600_NS6detail15normal_iteratorINS9_10device_ptrIiEEEESE_iNS9_4plusIvEEiEEDaPvRmT3_T4_T5_mT6_P12ihipStream_tbENKUlT_T0_E_clISt17integral_constantIbLb0EESU_EEDaSP_SQ_EUlSP_E0_NS1_11comp_targetILNS1_3genE4ELNS1_11target_archE910ELNS1_3gpuE8ELNS1_3repE0EEENS1_30default_config_static_selectorELNS0_4arch9wavefront6targetE1EEEvT1_
                                        ; -- End function
	.section	.AMDGPU.csdata,"",@progbits
; Kernel info:
; codeLenInByte = 1536
; NumSgprs: 29
; NumVgprs: 18
; NumAgprs: 0
; TotalNumVgprs: 18
; ScratchSize: 0
; MemoryBound: 0
; FloatMode: 240
; IeeeMode: 1
; LDSByteSize: 5120 bytes/workgroup (compile time only)
; SGPRBlocks: 3
; VGPRBlocks: 2
; NumSGPRsForWavesPerEU: 29
; NumVGPRsForWavesPerEU: 18
; AccumOffset: 20
; Occupancy: 6
; WaveLimiterHint : 0
; COMPUTE_PGM_RSRC2:SCRATCH_EN: 0
; COMPUTE_PGM_RSRC2:USER_SGPR: 6
; COMPUTE_PGM_RSRC2:TRAP_HANDLER: 0
; COMPUTE_PGM_RSRC2:TGID_X_EN: 1
; COMPUTE_PGM_RSRC2:TGID_Y_EN: 0
; COMPUTE_PGM_RSRC2:TGID_Z_EN: 0
; COMPUTE_PGM_RSRC2:TIDIG_COMP_CNT: 0
; COMPUTE_PGM_RSRC3_GFX90A:ACCUM_OFFSET: 4
; COMPUTE_PGM_RSRC3_GFX90A:TG_SPLIT: 0
	.section	.text._ZN7rocprim17ROCPRIM_400000_NS6detail17trampoline_kernelINS0_14default_configENS1_20scan_config_selectorIiEEZZNS1_9scan_implILNS1_25lookback_scan_determinismE0ELb1ELb1ES3_N6thrust23THRUST_200600_302600_NS6detail15normal_iteratorINS9_10device_ptrIiEEEESE_iNS9_4plusIvEEiEEDaPvRmT3_T4_T5_mT6_P12ihipStream_tbENKUlT_T0_E_clISt17integral_constantIbLb0EESU_EEDaSP_SQ_EUlSP_E0_NS1_11comp_targetILNS1_3genE3ELNS1_11target_archE908ELNS1_3gpuE7ELNS1_3repE0EEENS1_30default_config_static_selectorELNS0_4arch9wavefront6targetE1EEEvT1_,"axG",@progbits,_ZN7rocprim17ROCPRIM_400000_NS6detail17trampoline_kernelINS0_14default_configENS1_20scan_config_selectorIiEEZZNS1_9scan_implILNS1_25lookback_scan_determinismE0ELb1ELb1ES3_N6thrust23THRUST_200600_302600_NS6detail15normal_iteratorINS9_10device_ptrIiEEEESE_iNS9_4plusIvEEiEEDaPvRmT3_T4_T5_mT6_P12ihipStream_tbENKUlT_T0_E_clISt17integral_constantIbLb0EESU_EEDaSP_SQ_EUlSP_E0_NS1_11comp_targetILNS1_3genE3ELNS1_11target_archE908ELNS1_3gpuE7ELNS1_3repE0EEENS1_30default_config_static_selectorELNS0_4arch9wavefront6targetE1EEEvT1_,comdat
	.protected	_ZN7rocprim17ROCPRIM_400000_NS6detail17trampoline_kernelINS0_14default_configENS1_20scan_config_selectorIiEEZZNS1_9scan_implILNS1_25lookback_scan_determinismE0ELb1ELb1ES3_N6thrust23THRUST_200600_302600_NS6detail15normal_iteratorINS9_10device_ptrIiEEEESE_iNS9_4plusIvEEiEEDaPvRmT3_T4_T5_mT6_P12ihipStream_tbENKUlT_T0_E_clISt17integral_constantIbLb0EESU_EEDaSP_SQ_EUlSP_E0_NS1_11comp_targetILNS1_3genE3ELNS1_11target_archE908ELNS1_3gpuE7ELNS1_3repE0EEENS1_30default_config_static_selectorELNS0_4arch9wavefront6targetE1EEEvT1_ ; -- Begin function _ZN7rocprim17ROCPRIM_400000_NS6detail17trampoline_kernelINS0_14default_configENS1_20scan_config_selectorIiEEZZNS1_9scan_implILNS1_25lookback_scan_determinismE0ELb1ELb1ES3_N6thrust23THRUST_200600_302600_NS6detail15normal_iteratorINS9_10device_ptrIiEEEESE_iNS9_4plusIvEEiEEDaPvRmT3_T4_T5_mT6_P12ihipStream_tbENKUlT_T0_E_clISt17integral_constantIbLb0EESU_EEDaSP_SQ_EUlSP_E0_NS1_11comp_targetILNS1_3genE3ELNS1_11target_archE908ELNS1_3gpuE7ELNS1_3repE0EEENS1_30default_config_static_selectorELNS0_4arch9wavefront6targetE1EEEvT1_
	.globl	_ZN7rocprim17ROCPRIM_400000_NS6detail17trampoline_kernelINS0_14default_configENS1_20scan_config_selectorIiEEZZNS1_9scan_implILNS1_25lookback_scan_determinismE0ELb1ELb1ES3_N6thrust23THRUST_200600_302600_NS6detail15normal_iteratorINS9_10device_ptrIiEEEESE_iNS9_4plusIvEEiEEDaPvRmT3_T4_T5_mT6_P12ihipStream_tbENKUlT_T0_E_clISt17integral_constantIbLb0EESU_EEDaSP_SQ_EUlSP_E0_NS1_11comp_targetILNS1_3genE3ELNS1_11target_archE908ELNS1_3gpuE7ELNS1_3repE0EEENS1_30default_config_static_selectorELNS0_4arch9wavefront6targetE1EEEvT1_
	.p2align	8
	.type	_ZN7rocprim17ROCPRIM_400000_NS6detail17trampoline_kernelINS0_14default_configENS1_20scan_config_selectorIiEEZZNS1_9scan_implILNS1_25lookback_scan_determinismE0ELb1ELb1ES3_N6thrust23THRUST_200600_302600_NS6detail15normal_iteratorINS9_10device_ptrIiEEEESE_iNS9_4plusIvEEiEEDaPvRmT3_T4_T5_mT6_P12ihipStream_tbENKUlT_T0_E_clISt17integral_constantIbLb0EESU_EEDaSP_SQ_EUlSP_E0_NS1_11comp_targetILNS1_3genE3ELNS1_11target_archE908ELNS1_3gpuE7ELNS1_3repE0EEENS1_30default_config_static_selectorELNS0_4arch9wavefront6targetE1EEEvT1_,@function
_ZN7rocprim17ROCPRIM_400000_NS6detail17trampoline_kernelINS0_14default_configENS1_20scan_config_selectorIiEEZZNS1_9scan_implILNS1_25lookback_scan_determinismE0ELb1ELb1ES3_N6thrust23THRUST_200600_302600_NS6detail15normal_iteratorINS9_10device_ptrIiEEEESE_iNS9_4plusIvEEiEEDaPvRmT3_T4_T5_mT6_P12ihipStream_tbENKUlT_T0_E_clISt17integral_constantIbLb0EESU_EEDaSP_SQ_EUlSP_E0_NS1_11comp_targetILNS1_3genE3ELNS1_11target_archE908ELNS1_3gpuE7ELNS1_3repE0EEENS1_30default_config_static_selectorELNS0_4arch9wavefront6targetE1EEEvT1_: ; @_ZN7rocprim17ROCPRIM_400000_NS6detail17trampoline_kernelINS0_14default_configENS1_20scan_config_selectorIiEEZZNS1_9scan_implILNS1_25lookback_scan_determinismE0ELb1ELb1ES3_N6thrust23THRUST_200600_302600_NS6detail15normal_iteratorINS9_10device_ptrIiEEEESE_iNS9_4plusIvEEiEEDaPvRmT3_T4_T5_mT6_P12ihipStream_tbENKUlT_T0_E_clISt17integral_constantIbLb0EESU_EEDaSP_SQ_EUlSP_E0_NS1_11comp_targetILNS1_3genE3ELNS1_11target_archE908ELNS1_3gpuE7ELNS1_3repE0EEENS1_30default_config_static_selectorELNS0_4arch9wavefront6targetE1EEEvT1_
; %bb.0:
	.section	.rodata,"a",@progbits
	.p2align	6, 0x0
	.amdhsa_kernel _ZN7rocprim17ROCPRIM_400000_NS6detail17trampoline_kernelINS0_14default_configENS1_20scan_config_selectorIiEEZZNS1_9scan_implILNS1_25lookback_scan_determinismE0ELb1ELb1ES3_N6thrust23THRUST_200600_302600_NS6detail15normal_iteratorINS9_10device_ptrIiEEEESE_iNS9_4plusIvEEiEEDaPvRmT3_T4_T5_mT6_P12ihipStream_tbENKUlT_T0_E_clISt17integral_constantIbLb0EESU_EEDaSP_SQ_EUlSP_E0_NS1_11comp_targetILNS1_3genE3ELNS1_11target_archE908ELNS1_3gpuE7ELNS1_3repE0EEENS1_30default_config_static_selectorELNS0_4arch9wavefront6targetE1EEEvT1_
		.amdhsa_group_segment_fixed_size 0
		.amdhsa_private_segment_fixed_size 0
		.amdhsa_kernarg_size 32
		.amdhsa_user_sgpr_count 6
		.amdhsa_user_sgpr_private_segment_buffer 1
		.amdhsa_user_sgpr_dispatch_ptr 0
		.amdhsa_user_sgpr_queue_ptr 0
		.amdhsa_user_sgpr_kernarg_segment_ptr 1
		.amdhsa_user_sgpr_dispatch_id 0
		.amdhsa_user_sgpr_flat_scratch_init 0
		.amdhsa_user_sgpr_kernarg_preload_length 0
		.amdhsa_user_sgpr_kernarg_preload_offset 0
		.amdhsa_user_sgpr_private_segment_size 0
		.amdhsa_uses_dynamic_stack 0
		.amdhsa_system_sgpr_private_segment_wavefront_offset 0
		.amdhsa_system_sgpr_workgroup_id_x 1
		.amdhsa_system_sgpr_workgroup_id_y 0
		.amdhsa_system_sgpr_workgroup_id_z 0
		.amdhsa_system_sgpr_workgroup_info 0
		.amdhsa_system_vgpr_workitem_id 0
		.amdhsa_next_free_vgpr 1
		.amdhsa_next_free_sgpr 0
		.amdhsa_accum_offset 4
		.amdhsa_reserve_vcc 0
		.amdhsa_reserve_flat_scratch 0
		.amdhsa_float_round_mode_32 0
		.amdhsa_float_round_mode_16_64 0
		.amdhsa_float_denorm_mode_32 3
		.amdhsa_float_denorm_mode_16_64 3
		.amdhsa_dx10_clamp 1
		.amdhsa_ieee_mode 1
		.amdhsa_fp16_overflow 0
		.amdhsa_tg_split 0
		.amdhsa_exception_fp_ieee_invalid_op 0
		.amdhsa_exception_fp_denorm_src 0
		.amdhsa_exception_fp_ieee_div_zero 0
		.amdhsa_exception_fp_ieee_overflow 0
		.amdhsa_exception_fp_ieee_underflow 0
		.amdhsa_exception_fp_ieee_inexact 0
		.amdhsa_exception_int_div_zero 0
	.end_amdhsa_kernel
	.section	.text._ZN7rocprim17ROCPRIM_400000_NS6detail17trampoline_kernelINS0_14default_configENS1_20scan_config_selectorIiEEZZNS1_9scan_implILNS1_25lookback_scan_determinismE0ELb1ELb1ES3_N6thrust23THRUST_200600_302600_NS6detail15normal_iteratorINS9_10device_ptrIiEEEESE_iNS9_4plusIvEEiEEDaPvRmT3_T4_T5_mT6_P12ihipStream_tbENKUlT_T0_E_clISt17integral_constantIbLb0EESU_EEDaSP_SQ_EUlSP_E0_NS1_11comp_targetILNS1_3genE3ELNS1_11target_archE908ELNS1_3gpuE7ELNS1_3repE0EEENS1_30default_config_static_selectorELNS0_4arch9wavefront6targetE1EEEvT1_,"axG",@progbits,_ZN7rocprim17ROCPRIM_400000_NS6detail17trampoline_kernelINS0_14default_configENS1_20scan_config_selectorIiEEZZNS1_9scan_implILNS1_25lookback_scan_determinismE0ELb1ELb1ES3_N6thrust23THRUST_200600_302600_NS6detail15normal_iteratorINS9_10device_ptrIiEEEESE_iNS9_4plusIvEEiEEDaPvRmT3_T4_T5_mT6_P12ihipStream_tbENKUlT_T0_E_clISt17integral_constantIbLb0EESU_EEDaSP_SQ_EUlSP_E0_NS1_11comp_targetILNS1_3genE3ELNS1_11target_archE908ELNS1_3gpuE7ELNS1_3repE0EEENS1_30default_config_static_selectorELNS0_4arch9wavefront6targetE1EEEvT1_,comdat
.Lfunc_end816:
	.size	_ZN7rocprim17ROCPRIM_400000_NS6detail17trampoline_kernelINS0_14default_configENS1_20scan_config_selectorIiEEZZNS1_9scan_implILNS1_25lookback_scan_determinismE0ELb1ELb1ES3_N6thrust23THRUST_200600_302600_NS6detail15normal_iteratorINS9_10device_ptrIiEEEESE_iNS9_4plusIvEEiEEDaPvRmT3_T4_T5_mT6_P12ihipStream_tbENKUlT_T0_E_clISt17integral_constantIbLb0EESU_EEDaSP_SQ_EUlSP_E0_NS1_11comp_targetILNS1_3genE3ELNS1_11target_archE908ELNS1_3gpuE7ELNS1_3repE0EEENS1_30default_config_static_selectorELNS0_4arch9wavefront6targetE1EEEvT1_, .Lfunc_end816-_ZN7rocprim17ROCPRIM_400000_NS6detail17trampoline_kernelINS0_14default_configENS1_20scan_config_selectorIiEEZZNS1_9scan_implILNS1_25lookback_scan_determinismE0ELb1ELb1ES3_N6thrust23THRUST_200600_302600_NS6detail15normal_iteratorINS9_10device_ptrIiEEEESE_iNS9_4plusIvEEiEEDaPvRmT3_T4_T5_mT6_P12ihipStream_tbENKUlT_T0_E_clISt17integral_constantIbLb0EESU_EEDaSP_SQ_EUlSP_E0_NS1_11comp_targetILNS1_3genE3ELNS1_11target_archE908ELNS1_3gpuE7ELNS1_3repE0EEENS1_30default_config_static_selectorELNS0_4arch9wavefront6targetE1EEEvT1_
                                        ; -- End function
	.section	.AMDGPU.csdata,"",@progbits
; Kernel info:
; codeLenInByte = 0
; NumSgprs: 4
; NumVgprs: 0
; NumAgprs: 0
; TotalNumVgprs: 0
; ScratchSize: 0
; MemoryBound: 0
; FloatMode: 240
; IeeeMode: 1
; LDSByteSize: 0 bytes/workgroup (compile time only)
; SGPRBlocks: 0
; VGPRBlocks: 0
; NumSGPRsForWavesPerEU: 4
; NumVGPRsForWavesPerEU: 1
; AccumOffset: 4
; Occupancy: 8
; WaveLimiterHint : 0
; COMPUTE_PGM_RSRC2:SCRATCH_EN: 0
; COMPUTE_PGM_RSRC2:USER_SGPR: 6
; COMPUTE_PGM_RSRC2:TRAP_HANDLER: 0
; COMPUTE_PGM_RSRC2:TGID_X_EN: 1
; COMPUTE_PGM_RSRC2:TGID_Y_EN: 0
; COMPUTE_PGM_RSRC2:TGID_Z_EN: 0
; COMPUTE_PGM_RSRC2:TIDIG_COMP_CNT: 0
; COMPUTE_PGM_RSRC3_GFX90A:ACCUM_OFFSET: 0
; COMPUTE_PGM_RSRC3_GFX90A:TG_SPLIT: 0
	.section	.text._ZN7rocprim17ROCPRIM_400000_NS6detail17trampoline_kernelINS0_14default_configENS1_20scan_config_selectorIiEEZZNS1_9scan_implILNS1_25lookback_scan_determinismE0ELb1ELb1ES3_N6thrust23THRUST_200600_302600_NS6detail15normal_iteratorINS9_10device_ptrIiEEEESE_iNS9_4plusIvEEiEEDaPvRmT3_T4_T5_mT6_P12ihipStream_tbENKUlT_T0_E_clISt17integral_constantIbLb0EESU_EEDaSP_SQ_EUlSP_E0_NS1_11comp_targetILNS1_3genE2ELNS1_11target_archE906ELNS1_3gpuE6ELNS1_3repE0EEENS1_30default_config_static_selectorELNS0_4arch9wavefront6targetE1EEEvT1_,"axG",@progbits,_ZN7rocprim17ROCPRIM_400000_NS6detail17trampoline_kernelINS0_14default_configENS1_20scan_config_selectorIiEEZZNS1_9scan_implILNS1_25lookback_scan_determinismE0ELb1ELb1ES3_N6thrust23THRUST_200600_302600_NS6detail15normal_iteratorINS9_10device_ptrIiEEEESE_iNS9_4plusIvEEiEEDaPvRmT3_T4_T5_mT6_P12ihipStream_tbENKUlT_T0_E_clISt17integral_constantIbLb0EESU_EEDaSP_SQ_EUlSP_E0_NS1_11comp_targetILNS1_3genE2ELNS1_11target_archE906ELNS1_3gpuE6ELNS1_3repE0EEENS1_30default_config_static_selectorELNS0_4arch9wavefront6targetE1EEEvT1_,comdat
	.protected	_ZN7rocprim17ROCPRIM_400000_NS6detail17trampoline_kernelINS0_14default_configENS1_20scan_config_selectorIiEEZZNS1_9scan_implILNS1_25lookback_scan_determinismE0ELb1ELb1ES3_N6thrust23THRUST_200600_302600_NS6detail15normal_iteratorINS9_10device_ptrIiEEEESE_iNS9_4plusIvEEiEEDaPvRmT3_T4_T5_mT6_P12ihipStream_tbENKUlT_T0_E_clISt17integral_constantIbLb0EESU_EEDaSP_SQ_EUlSP_E0_NS1_11comp_targetILNS1_3genE2ELNS1_11target_archE906ELNS1_3gpuE6ELNS1_3repE0EEENS1_30default_config_static_selectorELNS0_4arch9wavefront6targetE1EEEvT1_ ; -- Begin function _ZN7rocprim17ROCPRIM_400000_NS6detail17trampoline_kernelINS0_14default_configENS1_20scan_config_selectorIiEEZZNS1_9scan_implILNS1_25lookback_scan_determinismE0ELb1ELb1ES3_N6thrust23THRUST_200600_302600_NS6detail15normal_iteratorINS9_10device_ptrIiEEEESE_iNS9_4plusIvEEiEEDaPvRmT3_T4_T5_mT6_P12ihipStream_tbENKUlT_T0_E_clISt17integral_constantIbLb0EESU_EEDaSP_SQ_EUlSP_E0_NS1_11comp_targetILNS1_3genE2ELNS1_11target_archE906ELNS1_3gpuE6ELNS1_3repE0EEENS1_30default_config_static_selectorELNS0_4arch9wavefront6targetE1EEEvT1_
	.globl	_ZN7rocprim17ROCPRIM_400000_NS6detail17trampoline_kernelINS0_14default_configENS1_20scan_config_selectorIiEEZZNS1_9scan_implILNS1_25lookback_scan_determinismE0ELb1ELb1ES3_N6thrust23THRUST_200600_302600_NS6detail15normal_iteratorINS9_10device_ptrIiEEEESE_iNS9_4plusIvEEiEEDaPvRmT3_T4_T5_mT6_P12ihipStream_tbENKUlT_T0_E_clISt17integral_constantIbLb0EESU_EEDaSP_SQ_EUlSP_E0_NS1_11comp_targetILNS1_3genE2ELNS1_11target_archE906ELNS1_3gpuE6ELNS1_3repE0EEENS1_30default_config_static_selectorELNS0_4arch9wavefront6targetE1EEEvT1_
	.p2align	8
	.type	_ZN7rocprim17ROCPRIM_400000_NS6detail17trampoline_kernelINS0_14default_configENS1_20scan_config_selectorIiEEZZNS1_9scan_implILNS1_25lookback_scan_determinismE0ELb1ELb1ES3_N6thrust23THRUST_200600_302600_NS6detail15normal_iteratorINS9_10device_ptrIiEEEESE_iNS9_4plusIvEEiEEDaPvRmT3_T4_T5_mT6_P12ihipStream_tbENKUlT_T0_E_clISt17integral_constantIbLb0EESU_EEDaSP_SQ_EUlSP_E0_NS1_11comp_targetILNS1_3genE2ELNS1_11target_archE906ELNS1_3gpuE6ELNS1_3repE0EEENS1_30default_config_static_selectorELNS0_4arch9wavefront6targetE1EEEvT1_,@function
_ZN7rocprim17ROCPRIM_400000_NS6detail17trampoline_kernelINS0_14default_configENS1_20scan_config_selectorIiEEZZNS1_9scan_implILNS1_25lookback_scan_determinismE0ELb1ELb1ES3_N6thrust23THRUST_200600_302600_NS6detail15normal_iteratorINS9_10device_ptrIiEEEESE_iNS9_4plusIvEEiEEDaPvRmT3_T4_T5_mT6_P12ihipStream_tbENKUlT_T0_E_clISt17integral_constantIbLb0EESU_EEDaSP_SQ_EUlSP_E0_NS1_11comp_targetILNS1_3genE2ELNS1_11target_archE906ELNS1_3gpuE6ELNS1_3repE0EEENS1_30default_config_static_selectorELNS0_4arch9wavefront6targetE1EEEvT1_: ; @_ZN7rocprim17ROCPRIM_400000_NS6detail17trampoline_kernelINS0_14default_configENS1_20scan_config_selectorIiEEZZNS1_9scan_implILNS1_25lookback_scan_determinismE0ELb1ELb1ES3_N6thrust23THRUST_200600_302600_NS6detail15normal_iteratorINS9_10device_ptrIiEEEESE_iNS9_4plusIvEEiEEDaPvRmT3_T4_T5_mT6_P12ihipStream_tbENKUlT_T0_E_clISt17integral_constantIbLb0EESU_EEDaSP_SQ_EUlSP_E0_NS1_11comp_targetILNS1_3genE2ELNS1_11target_archE906ELNS1_3gpuE6ELNS1_3repE0EEENS1_30default_config_static_selectorELNS0_4arch9wavefront6targetE1EEEvT1_
; %bb.0:
	.section	.rodata,"a",@progbits
	.p2align	6, 0x0
	.amdhsa_kernel _ZN7rocprim17ROCPRIM_400000_NS6detail17trampoline_kernelINS0_14default_configENS1_20scan_config_selectorIiEEZZNS1_9scan_implILNS1_25lookback_scan_determinismE0ELb1ELb1ES3_N6thrust23THRUST_200600_302600_NS6detail15normal_iteratorINS9_10device_ptrIiEEEESE_iNS9_4plusIvEEiEEDaPvRmT3_T4_T5_mT6_P12ihipStream_tbENKUlT_T0_E_clISt17integral_constantIbLb0EESU_EEDaSP_SQ_EUlSP_E0_NS1_11comp_targetILNS1_3genE2ELNS1_11target_archE906ELNS1_3gpuE6ELNS1_3repE0EEENS1_30default_config_static_selectorELNS0_4arch9wavefront6targetE1EEEvT1_
		.amdhsa_group_segment_fixed_size 0
		.amdhsa_private_segment_fixed_size 0
		.amdhsa_kernarg_size 32
		.amdhsa_user_sgpr_count 6
		.amdhsa_user_sgpr_private_segment_buffer 1
		.amdhsa_user_sgpr_dispatch_ptr 0
		.amdhsa_user_sgpr_queue_ptr 0
		.amdhsa_user_sgpr_kernarg_segment_ptr 1
		.amdhsa_user_sgpr_dispatch_id 0
		.amdhsa_user_sgpr_flat_scratch_init 0
		.amdhsa_user_sgpr_kernarg_preload_length 0
		.amdhsa_user_sgpr_kernarg_preload_offset 0
		.amdhsa_user_sgpr_private_segment_size 0
		.amdhsa_uses_dynamic_stack 0
		.amdhsa_system_sgpr_private_segment_wavefront_offset 0
		.amdhsa_system_sgpr_workgroup_id_x 1
		.amdhsa_system_sgpr_workgroup_id_y 0
		.amdhsa_system_sgpr_workgroup_id_z 0
		.amdhsa_system_sgpr_workgroup_info 0
		.amdhsa_system_vgpr_workitem_id 0
		.amdhsa_next_free_vgpr 1
		.amdhsa_next_free_sgpr 0
		.amdhsa_accum_offset 4
		.amdhsa_reserve_vcc 0
		.amdhsa_reserve_flat_scratch 0
		.amdhsa_float_round_mode_32 0
		.amdhsa_float_round_mode_16_64 0
		.amdhsa_float_denorm_mode_32 3
		.amdhsa_float_denorm_mode_16_64 3
		.amdhsa_dx10_clamp 1
		.amdhsa_ieee_mode 1
		.amdhsa_fp16_overflow 0
		.amdhsa_tg_split 0
		.amdhsa_exception_fp_ieee_invalid_op 0
		.amdhsa_exception_fp_denorm_src 0
		.amdhsa_exception_fp_ieee_div_zero 0
		.amdhsa_exception_fp_ieee_overflow 0
		.amdhsa_exception_fp_ieee_underflow 0
		.amdhsa_exception_fp_ieee_inexact 0
		.amdhsa_exception_int_div_zero 0
	.end_amdhsa_kernel
	.section	.text._ZN7rocprim17ROCPRIM_400000_NS6detail17trampoline_kernelINS0_14default_configENS1_20scan_config_selectorIiEEZZNS1_9scan_implILNS1_25lookback_scan_determinismE0ELb1ELb1ES3_N6thrust23THRUST_200600_302600_NS6detail15normal_iteratorINS9_10device_ptrIiEEEESE_iNS9_4plusIvEEiEEDaPvRmT3_T4_T5_mT6_P12ihipStream_tbENKUlT_T0_E_clISt17integral_constantIbLb0EESU_EEDaSP_SQ_EUlSP_E0_NS1_11comp_targetILNS1_3genE2ELNS1_11target_archE906ELNS1_3gpuE6ELNS1_3repE0EEENS1_30default_config_static_selectorELNS0_4arch9wavefront6targetE1EEEvT1_,"axG",@progbits,_ZN7rocprim17ROCPRIM_400000_NS6detail17trampoline_kernelINS0_14default_configENS1_20scan_config_selectorIiEEZZNS1_9scan_implILNS1_25lookback_scan_determinismE0ELb1ELb1ES3_N6thrust23THRUST_200600_302600_NS6detail15normal_iteratorINS9_10device_ptrIiEEEESE_iNS9_4plusIvEEiEEDaPvRmT3_T4_T5_mT6_P12ihipStream_tbENKUlT_T0_E_clISt17integral_constantIbLb0EESU_EEDaSP_SQ_EUlSP_E0_NS1_11comp_targetILNS1_3genE2ELNS1_11target_archE906ELNS1_3gpuE6ELNS1_3repE0EEENS1_30default_config_static_selectorELNS0_4arch9wavefront6targetE1EEEvT1_,comdat
.Lfunc_end817:
	.size	_ZN7rocprim17ROCPRIM_400000_NS6detail17trampoline_kernelINS0_14default_configENS1_20scan_config_selectorIiEEZZNS1_9scan_implILNS1_25lookback_scan_determinismE0ELb1ELb1ES3_N6thrust23THRUST_200600_302600_NS6detail15normal_iteratorINS9_10device_ptrIiEEEESE_iNS9_4plusIvEEiEEDaPvRmT3_T4_T5_mT6_P12ihipStream_tbENKUlT_T0_E_clISt17integral_constantIbLb0EESU_EEDaSP_SQ_EUlSP_E0_NS1_11comp_targetILNS1_3genE2ELNS1_11target_archE906ELNS1_3gpuE6ELNS1_3repE0EEENS1_30default_config_static_selectorELNS0_4arch9wavefront6targetE1EEEvT1_, .Lfunc_end817-_ZN7rocprim17ROCPRIM_400000_NS6detail17trampoline_kernelINS0_14default_configENS1_20scan_config_selectorIiEEZZNS1_9scan_implILNS1_25lookback_scan_determinismE0ELb1ELb1ES3_N6thrust23THRUST_200600_302600_NS6detail15normal_iteratorINS9_10device_ptrIiEEEESE_iNS9_4plusIvEEiEEDaPvRmT3_T4_T5_mT6_P12ihipStream_tbENKUlT_T0_E_clISt17integral_constantIbLb0EESU_EEDaSP_SQ_EUlSP_E0_NS1_11comp_targetILNS1_3genE2ELNS1_11target_archE906ELNS1_3gpuE6ELNS1_3repE0EEENS1_30default_config_static_selectorELNS0_4arch9wavefront6targetE1EEEvT1_
                                        ; -- End function
	.section	.AMDGPU.csdata,"",@progbits
; Kernel info:
; codeLenInByte = 0
; NumSgprs: 4
; NumVgprs: 0
; NumAgprs: 0
; TotalNumVgprs: 0
; ScratchSize: 0
; MemoryBound: 0
; FloatMode: 240
; IeeeMode: 1
; LDSByteSize: 0 bytes/workgroup (compile time only)
; SGPRBlocks: 0
; VGPRBlocks: 0
; NumSGPRsForWavesPerEU: 4
; NumVGPRsForWavesPerEU: 1
; AccumOffset: 4
; Occupancy: 8
; WaveLimiterHint : 0
; COMPUTE_PGM_RSRC2:SCRATCH_EN: 0
; COMPUTE_PGM_RSRC2:USER_SGPR: 6
; COMPUTE_PGM_RSRC2:TRAP_HANDLER: 0
; COMPUTE_PGM_RSRC2:TGID_X_EN: 1
; COMPUTE_PGM_RSRC2:TGID_Y_EN: 0
; COMPUTE_PGM_RSRC2:TGID_Z_EN: 0
; COMPUTE_PGM_RSRC2:TIDIG_COMP_CNT: 0
; COMPUTE_PGM_RSRC3_GFX90A:ACCUM_OFFSET: 0
; COMPUTE_PGM_RSRC3_GFX90A:TG_SPLIT: 0
	.section	.text._ZN7rocprim17ROCPRIM_400000_NS6detail17trampoline_kernelINS0_14default_configENS1_20scan_config_selectorIiEEZZNS1_9scan_implILNS1_25lookback_scan_determinismE0ELb1ELb1ES3_N6thrust23THRUST_200600_302600_NS6detail15normal_iteratorINS9_10device_ptrIiEEEESE_iNS9_4plusIvEEiEEDaPvRmT3_T4_T5_mT6_P12ihipStream_tbENKUlT_T0_E_clISt17integral_constantIbLb0EESU_EEDaSP_SQ_EUlSP_E0_NS1_11comp_targetILNS1_3genE10ELNS1_11target_archE1201ELNS1_3gpuE5ELNS1_3repE0EEENS1_30default_config_static_selectorELNS0_4arch9wavefront6targetE1EEEvT1_,"axG",@progbits,_ZN7rocprim17ROCPRIM_400000_NS6detail17trampoline_kernelINS0_14default_configENS1_20scan_config_selectorIiEEZZNS1_9scan_implILNS1_25lookback_scan_determinismE0ELb1ELb1ES3_N6thrust23THRUST_200600_302600_NS6detail15normal_iteratorINS9_10device_ptrIiEEEESE_iNS9_4plusIvEEiEEDaPvRmT3_T4_T5_mT6_P12ihipStream_tbENKUlT_T0_E_clISt17integral_constantIbLb0EESU_EEDaSP_SQ_EUlSP_E0_NS1_11comp_targetILNS1_3genE10ELNS1_11target_archE1201ELNS1_3gpuE5ELNS1_3repE0EEENS1_30default_config_static_selectorELNS0_4arch9wavefront6targetE1EEEvT1_,comdat
	.protected	_ZN7rocprim17ROCPRIM_400000_NS6detail17trampoline_kernelINS0_14default_configENS1_20scan_config_selectorIiEEZZNS1_9scan_implILNS1_25lookback_scan_determinismE0ELb1ELb1ES3_N6thrust23THRUST_200600_302600_NS6detail15normal_iteratorINS9_10device_ptrIiEEEESE_iNS9_4plusIvEEiEEDaPvRmT3_T4_T5_mT6_P12ihipStream_tbENKUlT_T0_E_clISt17integral_constantIbLb0EESU_EEDaSP_SQ_EUlSP_E0_NS1_11comp_targetILNS1_3genE10ELNS1_11target_archE1201ELNS1_3gpuE5ELNS1_3repE0EEENS1_30default_config_static_selectorELNS0_4arch9wavefront6targetE1EEEvT1_ ; -- Begin function _ZN7rocprim17ROCPRIM_400000_NS6detail17trampoline_kernelINS0_14default_configENS1_20scan_config_selectorIiEEZZNS1_9scan_implILNS1_25lookback_scan_determinismE0ELb1ELb1ES3_N6thrust23THRUST_200600_302600_NS6detail15normal_iteratorINS9_10device_ptrIiEEEESE_iNS9_4plusIvEEiEEDaPvRmT3_T4_T5_mT6_P12ihipStream_tbENKUlT_T0_E_clISt17integral_constantIbLb0EESU_EEDaSP_SQ_EUlSP_E0_NS1_11comp_targetILNS1_3genE10ELNS1_11target_archE1201ELNS1_3gpuE5ELNS1_3repE0EEENS1_30default_config_static_selectorELNS0_4arch9wavefront6targetE1EEEvT1_
	.globl	_ZN7rocprim17ROCPRIM_400000_NS6detail17trampoline_kernelINS0_14default_configENS1_20scan_config_selectorIiEEZZNS1_9scan_implILNS1_25lookback_scan_determinismE0ELb1ELb1ES3_N6thrust23THRUST_200600_302600_NS6detail15normal_iteratorINS9_10device_ptrIiEEEESE_iNS9_4plusIvEEiEEDaPvRmT3_T4_T5_mT6_P12ihipStream_tbENKUlT_T0_E_clISt17integral_constantIbLb0EESU_EEDaSP_SQ_EUlSP_E0_NS1_11comp_targetILNS1_3genE10ELNS1_11target_archE1201ELNS1_3gpuE5ELNS1_3repE0EEENS1_30default_config_static_selectorELNS0_4arch9wavefront6targetE1EEEvT1_
	.p2align	8
	.type	_ZN7rocprim17ROCPRIM_400000_NS6detail17trampoline_kernelINS0_14default_configENS1_20scan_config_selectorIiEEZZNS1_9scan_implILNS1_25lookback_scan_determinismE0ELb1ELb1ES3_N6thrust23THRUST_200600_302600_NS6detail15normal_iteratorINS9_10device_ptrIiEEEESE_iNS9_4plusIvEEiEEDaPvRmT3_T4_T5_mT6_P12ihipStream_tbENKUlT_T0_E_clISt17integral_constantIbLb0EESU_EEDaSP_SQ_EUlSP_E0_NS1_11comp_targetILNS1_3genE10ELNS1_11target_archE1201ELNS1_3gpuE5ELNS1_3repE0EEENS1_30default_config_static_selectorELNS0_4arch9wavefront6targetE1EEEvT1_,@function
_ZN7rocprim17ROCPRIM_400000_NS6detail17trampoline_kernelINS0_14default_configENS1_20scan_config_selectorIiEEZZNS1_9scan_implILNS1_25lookback_scan_determinismE0ELb1ELb1ES3_N6thrust23THRUST_200600_302600_NS6detail15normal_iteratorINS9_10device_ptrIiEEEESE_iNS9_4plusIvEEiEEDaPvRmT3_T4_T5_mT6_P12ihipStream_tbENKUlT_T0_E_clISt17integral_constantIbLb0EESU_EEDaSP_SQ_EUlSP_E0_NS1_11comp_targetILNS1_3genE10ELNS1_11target_archE1201ELNS1_3gpuE5ELNS1_3repE0EEENS1_30default_config_static_selectorELNS0_4arch9wavefront6targetE1EEEvT1_: ; @_ZN7rocprim17ROCPRIM_400000_NS6detail17trampoline_kernelINS0_14default_configENS1_20scan_config_selectorIiEEZZNS1_9scan_implILNS1_25lookback_scan_determinismE0ELb1ELb1ES3_N6thrust23THRUST_200600_302600_NS6detail15normal_iteratorINS9_10device_ptrIiEEEESE_iNS9_4plusIvEEiEEDaPvRmT3_T4_T5_mT6_P12ihipStream_tbENKUlT_T0_E_clISt17integral_constantIbLb0EESU_EEDaSP_SQ_EUlSP_E0_NS1_11comp_targetILNS1_3genE10ELNS1_11target_archE1201ELNS1_3gpuE5ELNS1_3repE0EEENS1_30default_config_static_selectorELNS0_4arch9wavefront6targetE1EEEvT1_
; %bb.0:
	.section	.rodata,"a",@progbits
	.p2align	6, 0x0
	.amdhsa_kernel _ZN7rocprim17ROCPRIM_400000_NS6detail17trampoline_kernelINS0_14default_configENS1_20scan_config_selectorIiEEZZNS1_9scan_implILNS1_25lookback_scan_determinismE0ELb1ELb1ES3_N6thrust23THRUST_200600_302600_NS6detail15normal_iteratorINS9_10device_ptrIiEEEESE_iNS9_4plusIvEEiEEDaPvRmT3_T4_T5_mT6_P12ihipStream_tbENKUlT_T0_E_clISt17integral_constantIbLb0EESU_EEDaSP_SQ_EUlSP_E0_NS1_11comp_targetILNS1_3genE10ELNS1_11target_archE1201ELNS1_3gpuE5ELNS1_3repE0EEENS1_30default_config_static_selectorELNS0_4arch9wavefront6targetE1EEEvT1_
		.amdhsa_group_segment_fixed_size 0
		.amdhsa_private_segment_fixed_size 0
		.amdhsa_kernarg_size 32
		.amdhsa_user_sgpr_count 6
		.amdhsa_user_sgpr_private_segment_buffer 1
		.amdhsa_user_sgpr_dispatch_ptr 0
		.amdhsa_user_sgpr_queue_ptr 0
		.amdhsa_user_sgpr_kernarg_segment_ptr 1
		.amdhsa_user_sgpr_dispatch_id 0
		.amdhsa_user_sgpr_flat_scratch_init 0
		.amdhsa_user_sgpr_kernarg_preload_length 0
		.amdhsa_user_sgpr_kernarg_preload_offset 0
		.amdhsa_user_sgpr_private_segment_size 0
		.amdhsa_uses_dynamic_stack 0
		.amdhsa_system_sgpr_private_segment_wavefront_offset 0
		.amdhsa_system_sgpr_workgroup_id_x 1
		.amdhsa_system_sgpr_workgroup_id_y 0
		.amdhsa_system_sgpr_workgroup_id_z 0
		.amdhsa_system_sgpr_workgroup_info 0
		.amdhsa_system_vgpr_workitem_id 0
		.amdhsa_next_free_vgpr 1
		.amdhsa_next_free_sgpr 0
		.amdhsa_accum_offset 4
		.amdhsa_reserve_vcc 0
		.amdhsa_reserve_flat_scratch 0
		.amdhsa_float_round_mode_32 0
		.amdhsa_float_round_mode_16_64 0
		.amdhsa_float_denorm_mode_32 3
		.amdhsa_float_denorm_mode_16_64 3
		.amdhsa_dx10_clamp 1
		.amdhsa_ieee_mode 1
		.amdhsa_fp16_overflow 0
		.amdhsa_tg_split 0
		.amdhsa_exception_fp_ieee_invalid_op 0
		.amdhsa_exception_fp_denorm_src 0
		.amdhsa_exception_fp_ieee_div_zero 0
		.amdhsa_exception_fp_ieee_overflow 0
		.amdhsa_exception_fp_ieee_underflow 0
		.amdhsa_exception_fp_ieee_inexact 0
		.amdhsa_exception_int_div_zero 0
	.end_amdhsa_kernel
	.section	.text._ZN7rocprim17ROCPRIM_400000_NS6detail17trampoline_kernelINS0_14default_configENS1_20scan_config_selectorIiEEZZNS1_9scan_implILNS1_25lookback_scan_determinismE0ELb1ELb1ES3_N6thrust23THRUST_200600_302600_NS6detail15normal_iteratorINS9_10device_ptrIiEEEESE_iNS9_4plusIvEEiEEDaPvRmT3_T4_T5_mT6_P12ihipStream_tbENKUlT_T0_E_clISt17integral_constantIbLb0EESU_EEDaSP_SQ_EUlSP_E0_NS1_11comp_targetILNS1_3genE10ELNS1_11target_archE1201ELNS1_3gpuE5ELNS1_3repE0EEENS1_30default_config_static_selectorELNS0_4arch9wavefront6targetE1EEEvT1_,"axG",@progbits,_ZN7rocprim17ROCPRIM_400000_NS6detail17trampoline_kernelINS0_14default_configENS1_20scan_config_selectorIiEEZZNS1_9scan_implILNS1_25lookback_scan_determinismE0ELb1ELb1ES3_N6thrust23THRUST_200600_302600_NS6detail15normal_iteratorINS9_10device_ptrIiEEEESE_iNS9_4plusIvEEiEEDaPvRmT3_T4_T5_mT6_P12ihipStream_tbENKUlT_T0_E_clISt17integral_constantIbLb0EESU_EEDaSP_SQ_EUlSP_E0_NS1_11comp_targetILNS1_3genE10ELNS1_11target_archE1201ELNS1_3gpuE5ELNS1_3repE0EEENS1_30default_config_static_selectorELNS0_4arch9wavefront6targetE1EEEvT1_,comdat
.Lfunc_end818:
	.size	_ZN7rocprim17ROCPRIM_400000_NS6detail17trampoline_kernelINS0_14default_configENS1_20scan_config_selectorIiEEZZNS1_9scan_implILNS1_25lookback_scan_determinismE0ELb1ELb1ES3_N6thrust23THRUST_200600_302600_NS6detail15normal_iteratorINS9_10device_ptrIiEEEESE_iNS9_4plusIvEEiEEDaPvRmT3_T4_T5_mT6_P12ihipStream_tbENKUlT_T0_E_clISt17integral_constantIbLb0EESU_EEDaSP_SQ_EUlSP_E0_NS1_11comp_targetILNS1_3genE10ELNS1_11target_archE1201ELNS1_3gpuE5ELNS1_3repE0EEENS1_30default_config_static_selectorELNS0_4arch9wavefront6targetE1EEEvT1_, .Lfunc_end818-_ZN7rocprim17ROCPRIM_400000_NS6detail17trampoline_kernelINS0_14default_configENS1_20scan_config_selectorIiEEZZNS1_9scan_implILNS1_25lookback_scan_determinismE0ELb1ELb1ES3_N6thrust23THRUST_200600_302600_NS6detail15normal_iteratorINS9_10device_ptrIiEEEESE_iNS9_4plusIvEEiEEDaPvRmT3_T4_T5_mT6_P12ihipStream_tbENKUlT_T0_E_clISt17integral_constantIbLb0EESU_EEDaSP_SQ_EUlSP_E0_NS1_11comp_targetILNS1_3genE10ELNS1_11target_archE1201ELNS1_3gpuE5ELNS1_3repE0EEENS1_30default_config_static_selectorELNS0_4arch9wavefront6targetE1EEEvT1_
                                        ; -- End function
	.section	.AMDGPU.csdata,"",@progbits
; Kernel info:
; codeLenInByte = 0
; NumSgprs: 4
; NumVgprs: 0
; NumAgprs: 0
; TotalNumVgprs: 0
; ScratchSize: 0
; MemoryBound: 0
; FloatMode: 240
; IeeeMode: 1
; LDSByteSize: 0 bytes/workgroup (compile time only)
; SGPRBlocks: 0
; VGPRBlocks: 0
; NumSGPRsForWavesPerEU: 4
; NumVGPRsForWavesPerEU: 1
; AccumOffset: 4
; Occupancy: 8
; WaveLimiterHint : 0
; COMPUTE_PGM_RSRC2:SCRATCH_EN: 0
; COMPUTE_PGM_RSRC2:USER_SGPR: 6
; COMPUTE_PGM_RSRC2:TRAP_HANDLER: 0
; COMPUTE_PGM_RSRC2:TGID_X_EN: 1
; COMPUTE_PGM_RSRC2:TGID_Y_EN: 0
; COMPUTE_PGM_RSRC2:TGID_Z_EN: 0
; COMPUTE_PGM_RSRC2:TIDIG_COMP_CNT: 0
; COMPUTE_PGM_RSRC3_GFX90A:ACCUM_OFFSET: 0
; COMPUTE_PGM_RSRC3_GFX90A:TG_SPLIT: 0
	.section	.text._ZN7rocprim17ROCPRIM_400000_NS6detail17trampoline_kernelINS0_14default_configENS1_20scan_config_selectorIiEEZZNS1_9scan_implILNS1_25lookback_scan_determinismE0ELb1ELb1ES3_N6thrust23THRUST_200600_302600_NS6detail15normal_iteratorINS9_10device_ptrIiEEEESE_iNS9_4plusIvEEiEEDaPvRmT3_T4_T5_mT6_P12ihipStream_tbENKUlT_T0_E_clISt17integral_constantIbLb0EESU_EEDaSP_SQ_EUlSP_E0_NS1_11comp_targetILNS1_3genE10ELNS1_11target_archE1200ELNS1_3gpuE4ELNS1_3repE0EEENS1_30default_config_static_selectorELNS0_4arch9wavefront6targetE1EEEvT1_,"axG",@progbits,_ZN7rocprim17ROCPRIM_400000_NS6detail17trampoline_kernelINS0_14default_configENS1_20scan_config_selectorIiEEZZNS1_9scan_implILNS1_25lookback_scan_determinismE0ELb1ELb1ES3_N6thrust23THRUST_200600_302600_NS6detail15normal_iteratorINS9_10device_ptrIiEEEESE_iNS9_4plusIvEEiEEDaPvRmT3_T4_T5_mT6_P12ihipStream_tbENKUlT_T0_E_clISt17integral_constantIbLb0EESU_EEDaSP_SQ_EUlSP_E0_NS1_11comp_targetILNS1_3genE10ELNS1_11target_archE1200ELNS1_3gpuE4ELNS1_3repE0EEENS1_30default_config_static_selectorELNS0_4arch9wavefront6targetE1EEEvT1_,comdat
	.protected	_ZN7rocprim17ROCPRIM_400000_NS6detail17trampoline_kernelINS0_14default_configENS1_20scan_config_selectorIiEEZZNS1_9scan_implILNS1_25lookback_scan_determinismE0ELb1ELb1ES3_N6thrust23THRUST_200600_302600_NS6detail15normal_iteratorINS9_10device_ptrIiEEEESE_iNS9_4plusIvEEiEEDaPvRmT3_T4_T5_mT6_P12ihipStream_tbENKUlT_T0_E_clISt17integral_constantIbLb0EESU_EEDaSP_SQ_EUlSP_E0_NS1_11comp_targetILNS1_3genE10ELNS1_11target_archE1200ELNS1_3gpuE4ELNS1_3repE0EEENS1_30default_config_static_selectorELNS0_4arch9wavefront6targetE1EEEvT1_ ; -- Begin function _ZN7rocprim17ROCPRIM_400000_NS6detail17trampoline_kernelINS0_14default_configENS1_20scan_config_selectorIiEEZZNS1_9scan_implILNS1_25lookback_scan_determinismE0ELb1ELb1ES3_N6thrust23THRUST_200600_302600_NS6detail15normal_iteratorINS9_10device_ptrIiEEEESE_iNS9_4plusIvEEiEEDaPvRmT3_T4_T5_mT6_P12ihipStream_tbENKUlT_T0_E_clISt17integral_constantIbLb0EESU_EEDaSP_SQ_EUlSP_E0_NS1_11comp_targetILNS1_3genE10ELNS1_11target_archE1200ELNS1_3gpuE4ELNS1_3repE0EEENS1_30default_config_static_selectorELNS0_4arch9wavefront6targetE1EEEvT1_
	.globl	_ZN7rocprim17ROCPRIM_400000_NS6detail17trampoline_kernelINS0_14default_configENS1_20scan_config_selectorIiEEZZNS1_9scan_implILNS1_25lookback_scan_determinismE0ELb1ELb1ES3_N6thrust23THRUST_200600_302600_NS6detail15normal_iteratorINS9_10device_ptrIiEEEESE_iNS9_4plusIvEEiEEDaPvRmT3_T4_T5_mT6_P12ihipStream_tbENKUlT_T0_E_clISt17integral_constantIbLb0EESU_EEDaSP_SQ_EUlSP_E0_NS1_11comp_targetILNS1_3genE10ELNS1_11target_archE1200ELNS1_3gpuE4ELNS1_3repE0EEENS1_30default_config_static_selectorELNS0_4arch9wavefront6targetE1EEEvT1_
	.p2align	8
	.type	_ZN7rocprim17ROCPRIM_400000_NS6detail17trampoline_kernelINS0_14default_configENS1_20scan_config_selectorIiEEZZNS1_9scan_implILNS1_25lookback_scan_determinismE0ELb1ELb1ES3_N6thrust23THRUST_200600_302600_NS6detail15normal_iteratorINS9_10device_ptrIiEEEESE_iNS9_4plusIvEEiEEDaPvRmT3_T4_T5_mT6_P12ihipStream_tbENKUlT_T0_E_clISt17integral_constantIbLb0EESU_EEDaSP_SQ_EUlSP_E0_NS1_11comp_targetILNS1_3genE10ELNS1_11target_archE1200ELNS1_3gpuE4ELNS1_3repE0EEENS1_30default_config_static_selectorELNS0_4arch9wavefront6targetE1EEEvT1_,@function
_ZN7rocprim17ROCPRIM_400000_NS6detail17trampoline_kernelINS0_14default_configENS1_20scan_config_selectorIiEEZZNS1_9scan_implILNS1_25lookback_scan_determinismE0ELb1ELb1ES3_N6thrust23THRUST_200600_302600_NS6detail15normal_iteratorINS9_10device_ptrIiEEEESE_iNS9_4plusIvEEiEEDaPvRmT3_T4_T5_mT6_P12ihipStream_tbENKUlT_T0_E_clISt17integral_constantIbLb0EESU_EEDaSP_SQ_EUlSP_E0_NS1_11comp_targetILNS1_3genE10ELNS1_11target_archE1200ELNS1_3gpuE4ELNS1_3repE0EEENS1_30default_config_static_selectorELNS0_4arch9wavefront6targetE1EEEvT1_: ; @_ZN7rocprim17ROCPRIM_400000_NS6detail17trampoline_kernelINS0_14default_configENS1_20scan_config_selectorIiEEZZNS1_9scan_implILNS1_25lookback_scan_determinismE0ELb1ELb1ES3_N6thrust23THRUST_200600_302600_NS6detail15normal_iteratorINS9_10device_ptrIiEEEESE_iNS9_4plusIvEEiEEDaPvRmT3_T4_T5_mT6_P12ihipStream_tbENKUlT_T0_E_clISt17integral_constantIbLb0EESU_EEDaSP_SQ_EUlSP_E0_NS1_11comp_targetILNS1_3genE10ELNS1_11target_archE1200ELNS1_3gpuE4ELNS1_3repE0EEENS1_30default_config_static_selectorELNS0_4arch9wavefront6targetE1EEEvT1_
; %bb.0:
	.section	.rodata,"a",@progbits
	.p2align	6, 0x0
	.amdhsa_kernel _ZN7rocprim17ROCPRIM_400000_NS6detail17trampoline_kernelINS0_14default_configENS1_20scan_config_selectorIiEEZZNS1_9scan_implILNS1_25lookback_scan_determinismE0ELb1ELb1ES3_N6thrust23THRUST_200600_302600_NS6detail15normal_iteratorINS9_10device_ptrIiEEEESE_iNS9_4plusIvEEiEEDaPvRmT3_T4_T5_mT6_P12ihipStream_tbENKUlT_T0_E_clISt17integral_constantIbLb0EESU_EEDaSP_SQ_EUlSP_E0_NS1_11comp_targetILNS1_3genE10ELNS1_11target_archE1200ELNS1_3gpuE4ELNS1_3repE0EEENS1_30default_config_static_selectorELNS0_4arch9wavefront6targetE1EEEvT1_
		.amdhsa_group_segment_fixed_size 0
		.amdhsa_private_segment_fixed_size 0
		.amdhsa_kernarg_size 32
		.amdhsa_user_sgpr_count 6
		.amdhsa_user_sgpr_private_segment_buffer 1
		.amdhsa_user_sgpr_dispatch_ptr 0
		.amdhsa_user_sgpr_queue_ptr 0
		.amdhsa_user_sgpr_kernarg_segment_ptr 1
		.amdhsa_user_sgpr_dispatch_id 0
		.amdhsa_user_sgpr_flat_scratch_init 0
		.amdhsa_user_sgpr_kernarg_preload_length 0
		.amdhsa_user_sgpr_kernarg_preload_offset 0
		.amdhsa_user_sgpr_private_segment_size 0
		.amdhsa_uses_dynamic_stack 0
		.amdhsa_system_sgpr_private_segment_wavefront_offset 0
		.amdhsa_system_sgpr_workgroup_id_x 1
		.amdhsa_system_sgpr_workgroup_id_y 0
		.amdhsa_system_sgpr_workgroup_id_z 0
		.amdhsa_system_sgpr_workgroup_info 0
		.amdhsa_system_vgpr_workitem_id 0
		.amdhsa_next_free_vgpr 1
		.amdhsa_next_free_sgpr 0
		.amdhsa_accum_offset 4
		.amdhsa_reserve_vcc 0
		.amdhsa_reserve_flat_scratch 0
		.amdhsa_float_round_mode_32 0
		.amdhsa_float_round_mode_16_64 0
		.amdhsa_float_denorm_mode_32 3
		.amdhsa_float_denorm_mode_16_64 3
		.amdhsa_dx10_clamp 1
		.amdhsa_ieee_mode 1
		.amdhsa_fp16_overflow 0
		.amdhsa_tg_split 0
		.amdhsa_exception_fp_ieee_invalid_op 0
		.amdhsa_exception_fp_denorm_src 0
		.amdhsa_exception_fp_ieee_div_zero 0
		.amdhsa_exception_fp_ieee_overflow 0
		.amdhsa_exception_fp_ieee_underflow 0
		.amdhsa_exception_fp_ieee_inexact 0
		.amdhsa_exception_int_div_zero 0
	.end_amdhsa_kernel
	.section	.text._ZN7rocprim17ROCPRIM_400000_NS6detail17trampoline_kernelINS0_14default_configENS1_20scan_config_selectorIiEEZZNS1_9scan_implILNS1_25lookback_scan_determinismE0ELb1ELb1ES3_N6thrust23THRUST_200600_302600_NS6detail15normal_iteratorINS9_10device_ptrIiEEEESE_iNS9_4plusIvEEiEEDaPvRmT3_T4_T5_mT6_P12ihipStream_tbENKUlT_T0_E_clISt17integral_constantIbLb0EESU_EEDaSP_SQ_EUlSP_E0_NS1_11comp_targetILNS1_3genE10ELNS1_11target_archE1200ELNS1_3gpuE4ELNS1_3repE0EEENS1_30default_config_static_selectorELNS0_4arch9wavefront6targetE1EEEvT1_,"axG",@progbits,_ZN7rocprim17ROCPRIM_400000_NS6detail17trampoline_kernelINS0_14default_configENS1_20scan_config_selectorIiEEZZNS1_9scan_implILNS1_25lookback_scan_determinismE0ELb1ELb1ES3_N6thrust23THRUST_200600_302600_NS6detail15normal_iteratorINS9_10device_ptrIiEEEESE_iNS9_4plusIvEEiEEDaPvRmT3_T4_T5_mT6_P12ihipStream_tbENKUlT_T0_E_clISt17integral_constantIbLb0EESU_EEDaSP_SQ_EUlSP_E0_NS1_11comp_targetILNS1_3genE10ELNS1_11target_archE1200ELNS1_3gpuE4ELNS1_3repE0EEENS1_30default_config_static_selectorELNS0_4arch9wavefront6targetE1EEEvT1_,comdat
.Lfunc_end819:
	.size	_ZN7rocprim17ROCPRIM_400000_NS6detail17trampoline_kernelINS0_14default_configENS1_20scan_config_selectorIiEEZZNS1_9scan_implILNS1_25lookback_scan_determinismE0ELb1ELb1ES3_N6thrust23THRUST_200600_302600_NS6detail15normal_iteratorINS9_10device_ptrIiEEEESE_iNS9_4plusIvEEiEEDaPvRmT3_T4_T5_mT6_P12ihipStream_tbENKUlT_T0_E_clISt17integral_constantIbLb0EESU_EEDaSP_SQ_EUlSP_E0_NS1_11comp_targetILNS1_3genE10ELNS1_11target_archE1200ELNS1_3gpuE4ELNS1_3repE0EEENS1_30default_config_static_selectorELNS0_4arch9wavefront6targetE1EEEvT1_, .Lfunc_end819-_ZN7rocprim17ROCPRIM_400000_NS6detail17trampoline_kernelINS0_14default_configENS1_20scan_config_selectorIiEEZZNS1_9scan_implILNS1_25lookback_scan_determinismE0ELb1ELb1ES3_N6thrust23THRUST_200600_302600_NS6detail15normal_iteratorINS9_10device_ptrIiEEEESE_iNS9_4plusIvEEiEEDaPvRmT3_T4_T5_mT6_P12ihipStream_tbENKUlT_T0_E_clISt17integral_constantIbLb0EESU_EEDaSP_SQ_EUlSP_E0_NS1_11comp_targetILNS1_3genE10ELNS1_11target_archE1200ELNS1_3gpuE4ELNS1_3repE0EEENS1_30default_config_static_selectorELNS0_4arch9wavefront6targetE1EEEvT1_
                                        ; -- End function
	.section	.AMDGPU.csdata,"",@progbits
; Kernel info:
; codeLenInByte = 0
; NumSgprs: 4
; NumVgprs: 0
; NumAgprs: 0
; TotalNumVgprs: 0
; ScratchSize: 0
; MemoryBound: 0
; FloatMode: 240
; IeeeMode: 1
; LDSByteSize: 0 bytes/workgroup (compile time only)
; SGPRBlocks: 0
; VGPRBlocks: 0
; NumSGPRsForWavesPerEU: 4
; NumVGPRsForWavesPerEU: 1
; AccumOffset: 4
; Occupancy: 8
; WaveLimiterHint : 0
; COMPUTE_PGM_RSRC2:SCRATCH_EN: 0
; COMPUTE_PGM_RSRC2:USER_SGPR: 6
; COMPUTE_PGM_RSRC2:TRAP_HANDLER: 0
; COMPUTE_PGM_RSRC2:TGID_X_EN: 1
; COMPUTE_PGM_RSRC2:TGID_Y_EN: 0
; COMPUTE_PGM_RSRC2:TGID_Z_EN: 0
; COMPUTE_PGM_RSRC2:TIDIG_COMP_CNT: 0
; COMPUTE_PGM_RSRC3_GFX90A:ACCUM_OFFSET: 0
; COMPUTE_PGM_RSRC3_GFX90A:TG_SPLIT: 0
	.section	.text._ZN7rocprim17ROCPRIM_400000_NS6detail17trampoline_kernelINS0_14default_configENS1_20scan_config_selectorIiEEZZNS1_9scan_implILNS1_25lookback_scan_determinismE0ELb1ELb1ES3_N6thrust23THRUST_200600_302600_NS6detail15normal_iteratorINS9_10device_ptrIiEEEESE_iNS9_4plusIvEEiEEDaPvRmT3_T4_T5_mT6_P12ihipStream_tbENKUlT_T0_E_clISt17integral_constantIbLb0EESU_EEDaSP_SQ_EUlSP_E0_NS1_11comp_targetILNS1_3genE9ELNS1_11target_archE1100ELNS1_3gpuE3ELNS1_3repE0EEENS1_30default_config_static_selectorELNS0_4arch9wavefront6targetE1EEEvT1_,"axG",@progbits,_ZN7rocprim17ROCPRIM_400000_NS6detail17trampoline_kernelINS0_14default_configENS1_20scan_config_selectorIiEEZZNS1_9scan_implILNS1_25lookback_scan_determinismE0ELb1ELb1ES3_N6thrust23THRUST_200600_302600_NS6detail15normal_iteratorINS9_10device_ptrIiEEEESE_iNS9_4plusIvEEiEEDaPvRmT3_T4_T5_mT6_P12ihipStream_tbENKUlT_T0_E_clISt17integral_constantIbLb0EESU_EEDaSP_SQ_EUlSP_E0_NS1_11comp_targetILNS1_3genE9ELNS1_11target_archE1100ELNS1_3gpuE3ELNS1_3repE0EEENS1_30default_config_static_selectorELNS0_4arch9wavefront6targetE1EEEvT1_,comdat
	.protected	_ZN7rocprim17ROCPRIM_400000_NS6detail17trampoline_kernelINS0_14default_configENS1_20scan_config_selectorIiEEZZNS1_9scan_implILNS1_25lookback_scan_determinismE0ELb1ELb1ES3_N6thrust23THRUST_200600_302600_NS6detail15normal_iteratorINS9_10device_ptrIiEEEESE_iNS9_4plusIvEEiEEDaPvRmT3_T4_T5_mT6_P12ihipStream_tbENKUlT_T0_E_clISt17integral_constantIbLb0EESU_EEDaSP_SQ_EUlSP_E0_NS1_11comp_targetILNS1_3genE9ELNS1_11target_archE1100ELNS1_3gpuE3ELNS1_3repE0EEENS1_30default_config_static_selectorELNS0_4arch9wavefront6targetE1EEEvT1_ ; -- Begin function _ZN7rocprim17ROCPRIM_400000_NS6detail17trampoline_kernelINS0_14default_configENS1_20scan_config_selectorIiEEZZNS1_9scan_implILNS1_25lookback_scan_determinismE0ELb1ELb1ES3_N6thrust23THRUST_200600_302600_NS6detail15normal_iteratorINS9_10device_ptrIiEEEESE_iNS9_4plusIvEEiEEDaPvRmT3_T4_T5_mT6_P12ihipStream_tbENKUlT_T0_E_clISt17integral_constantIbLb0EESU_EEDaSP_SQ_EUlSP_E0_NS1_11comp_targetILNS1_3genE9ELNS1_11target_archE1100ELNS1_3gpuE3ELNS1_3repE0EEENS1_30default_config_static_selectorELNS0_4arch9wavefront6targetE1EEEvT1_
	.globl	_ZN7rocprim17ROCPRIM_400000_NS6detail17trampoline_kernelINS0_14default_configENS1_20scan_config_selectorIiEEZZNS1_9scan_implILNS1_25lookback_scan_determinismE0ELb1ELb1ES3_N6thrust23THRUST_200600_302600_NS6detail15normal_iteratorINS9_10device_ptrIiEEEESE_iNS9_4plusIvEEiEEDaPvRmT3_T4_T5_mT6_P12ihipStream_tbENKUlT_T0_E_clISt17integral_constantIbLb0EESU_EEDaSP_SQ_EUlSP_E0_NS1_11comp_targetILNS1_3genE9ELNS1_11target_archE1100ELNS1_3gpuE3ELNS1_3repE0EEENS1_30default_config_static_selectorELNS0_4arch9wavefront6targetE1EEEvT1_
	.p2align	8
	.type	_ZN7rocprim17ROCPRIM_400000_NS6detail17trampoline_kernelINS0_14default_configENS1_20scan_config_selectorIiEEZZNS1_9scan_implILNS1_25lookback_scan_determinismE0ELb1ELb1ES3_N6thrust23THRUST_200600_302600_NS6detail15normal_iteratorINS9_10device_ptrIiEEEESE_iNS9_4plusIvEEiEEDaPvRmT3_T4_T5_mT6_P12ihipStream_tbENKUlT_T0_E_clISt17integral_constantIbLb0EESU_EEDaSP_SQ_EUlSP_E0_NS1_11comp_targetILNS1_3genE9ELNS1_11target_archE1100ELNS1_3gpuE3ELNS1_3repE0EEENS1_30default_config_static_selectorELNS0_4arch9wavefront6targetE1EEEvT1_,@function
_ZN7rocprim17ROCPRIM_400000_NS6detail17trampoline_kernelINS0_14default_configENS1_20scan_config_selectorIiEEZZNS1_9scan_implILNS1_25lookback_scan_determinismE0ELb1ELb1ES3_N6thrust23THRUST_200600_302600_NS6detail15normal_iteratorINS9_10device_ptrIiEEEESE_iNS9_4plusIvEEiEEDaPvRmT3_T4_T5_mT6_P12ihipStream_tbENKUlT_T0_E_clISt17integral_constantIbLb0EESU_EEDaSP_SQ_EUlSP_E0_NS1_11comp_targetILNS1_3genE9ELNS1_11target_archE1100ELNS1_3gpuE3ELNS1_3repE0EEENS1_30default_config_static_selectorELNS0_4arch9wavefront6targetE1EEEvT1_: ; @_ZN7rocprim17ROCPRIM_400000_NS6detail17trampoline_kernelINS0_14default_configENS1_20scan_config_selectorIiEEZZNS1_9scan_implILNS1_25lookback_scan_determinismE0ELb1ELb1ES3_N6thrust23THRUST_200600_302600_NS6detail15normal_iteratorINS9_10device_ptrIiEEEESE_iNS9_4plusIvEEiEEDaPvRmT3_T4_T5_mT6_P12ihipStream_tbENKUlT_T0_E_clISt17integral_constantIbLb0EESU_EEDaSP_SQ_EUlSP_E0_NS1_11comp_targetILNS1_3genE9ELNS1_11target_archE1100ELNS1_3gpuE3ELNS1_3repE0EEENS1_30default_config_static_selectorELNS0_4arch9wavefront6targetE1EEEvT1_
; %bb.0:
	.section	.rodata,"a",@progbits
	.p2align	6, 0x0
	.amdhsa_kernel _ZN7rocprim17ROCPRIM_400000_NS6detail17trampoline_kernelINS0_14default_configENS1_20scan_config_selectorIiEEZZNS1_9scan_implILNS1_25lookback_scan_determinismE0ELb1ELb1ES3_N6thrust23THRUST_200600_302600_NS6detail15normal_iteratorINS9_10device_ptrIiEEEESE_iNS9_4plusIvEEiEEDaPvRmT3_T4_T5_mT6_P12ihipStream_tbENKUlT_T0_E_clISt17integral_constantIbLb0EESU_EEDaSP_SQ_EUlSP_E0_NS1_11comp_targetILNS1_3genE9ELNS1_11target_archE1100ELNS1_3gpuE3ELNS1_3repE0EEENS1_30default_config_static_selectorELNS0_4arch9wavefront6targetE1EEEvT1_
		.amdhsa_group_segment_fixed_size 0
		.amdhsa_private_segment_fixed_size 0
		.amdhsa_kernarg_size 32
		.amdhsa_user_sgpr_count 6
		.amdhsa_user_sgpr_private_segment_buffer 1
		.amdhsa_user_sgpr_dispatch_ptr 0
		.amdhsa_user_sgpr_queue_ptr 0
		.amdhsa_user_sgpr_kernarg_segment_ptr 1
		.amdhsa_user_sgpr_dispatch_id 0
		.amdhsa_user_sgpr_flat_scratch_init 0
		.amdhsa_user_sgpr_kernarg_preload_length 0
		.amdhsa_user_sgpr_kernarg_preload_offset 0
		.amdhsa_user_sgpr_private_segment_size 0
		.amdhsa_uses_dynamic_stack 0
		.amdhsa_system_sgpr_private_segment_wavefront_offset 0
		.amdhsa_system_sgpr_workgroup_id_x 1
		.amdhsa_system_sgpr_workgroup_id_y 0
		.amdhsa_system_sgpr_workgroup_id_z 0
		.amdhsa_system_sgpr_workgroup_info 0
		.amdhsa_system_vgpr_workitem_id 0
		.amdhsa_next_free_vgpr 1
		.amdhsa_next_free_sgpr 0
		.amdhsa_accum_offset 4
		.amdhsa_reserve_vcc 0
		.amdhsa_reserve_flat_scratch 0
		.amdhsa_float_round_mode_32 0
		.amdhsa_float_round_mode_16_64 0
		.amdhsa_float_denorm_mode_32 3
		.amdhsa_float_denorm_mode_16_64 3
		.amdhsa_dx10_clamp 1
		.amdhsa_ieee_mode 1
		.amdhsa_fp16_overflow 0
		.amdhsa_tg_split 0
		.amdhsa_exception_fp_ieee_invalid_op 0
		.amdhsa_exception_fp_denorm_src 0
		.amdhsa_exception_fp_ieee_div_zero 0
		.amdhsa_exception_fp_ieee_overflow 0
		.amdhsa_exception_fp_ieee_underflow 0
		.amdhsa_exception_fp_ieee_inexact 0
		.amdhsa_exception_int_div_zero 0
	.end_amdhsa_kernel
	.section	.text._ZN7rocprim17ROCPRIM_400000_NS6detail17trampoline_kernelINS0_14default_configENS1_20scan_config_selectorIiEEZZNS1_9scan_implILNS1_25lookback_scan_determinismE0ELb1ELb1ES3_N6thrust23THRUST_200600_302600_NS6detail15normal_iteratorINS9_10device_ptrIiEEEESE_iNS9_4plusIvEEiEEDaPvRmT3_T4_T5_mT6_P12ihipStream_tbENKUlT_T0_E_clISt17integral_constantIbLb0EESU_EEDaSP_SQ_EUlSP_E0_NS1_11comp_targetILNS1_3genE9ELNS1_11target_archE1100ELNS1_3gpuE3ELNS1_3repE0EEENS1_30default_config_static_selectorELNS0_4arch9wavefront6targetE1EEEvT1_,"axG",@progbits,_ZN7rocprim17ROCPRIM_400000_NS6detail17trampoline_kernelINS0_14default_configENS1_20scan_config_selectorIiEEZZNS1_9scan_implILNS1_25lookback_scan_determinismE0ELb1ELb1ES3_N6thrust23THRUST_200600_302600_NS6detail15normal_iteratorINS9_10device_ptrIiEEEESE_iNS9_4plusIvEEiEEDaPvRmT3_T4_T5_mT6_P12ihipStream_tbENKUlT_T0_E_clISt17integral_constantIbLb0EESU_EEDaSP_SQ_EUlSP_E0_NS1_11comp_targetILNS1_3genE9ELNS1_11target_archE1100ELNS1_3gpuE3ELNS1_3repE0EEENS1_30default_config_static_selectorELNS0_4arch9wavefront6targetE1EEEvT1_,comdat
.Lfunc_end820:
	.size	_ZN7rocprim17ROCPRIM_400000_NS6detail17trampoline_kernelINS0_14default_configENS1_20scan_config_selectorIiEEZZNS1_9scan_implILNS1_25lookback_scan_determinismE0ELb1ELb1ES3_N6thrust23THRUST_200600_302600_NS6detail15normal_iteratorINS9_10device_ptrIiEEEESE_iNS9_4plusIvEEiEEDaPvRmT3_T4_T5_mT6_P12ihipStream_tbENKUlT_T0_E_clISt17integral_constantIbLb0EESU_EEDaSP_SQ_EUlSP_E0_NS1_11comp_targetILNS1_3genE9ELNS1_11target_archE1100ELNS1_3gpuE3ELNS1_3repE0EEENS1_30default_config_static_selectorELNS0_4arch9wavefront6targetE1EEEvT1_, .Lfunc_end820-_ZN7rocprim17ROCPRIM_400000_NS6detail17trampoline_kernelINS0_14default_configENS1_20scan_config_selectorIiEEZZNS1_9scan_implILNS1_25lookback_scan_determinismE0ELb1ELb1ES3_N6thrust23THRUST_200600_302600_NS6detail15normal_iteratorINS9_10device_ptrIiEEEESE_iNS9_4plusIvEEiEEDaPvRmT3_T4_T5_mT6_P12ihipStream_tbENKUlT_T0_E_clISt17integral_constantIbLb0EESU_EEDaSP_SQ_EUlSP_E0_NS1_11comp_targetILNS1_3genE9ELNS1_11target_archE1100ELNS1_3gpuE3ELNS1_3repE0EEENS1_30default_config_static_selectorELNS0_4arch9wavefront6targetE1EEEvT1_
                                        ; -- End function
	.section	.AMDGPU.csdata,"",@progbits
; Kernel info:
; codeLenInByte = 0
; NumSgprs: 4
; NumVgprs: 0
; NumAgprs: 0
; TotalNumVgprs: 0
; ScratchSize: 0
; MemoryBound: 0
; FloatMode: 240
; IeeeMode: 1
; LDSByteSize: 0 bytes/workgroup (compile time only)
; SGPRBlocks: 0
; VGPRBlocks: 0
; NumSGPRsForWavesPerEU: 4
; NumVGPRsForWavesPerEU: 1
; AccumOffset: 4
; Occupancy: 8
; WaveLimiterHint : 0
; COMPUTE_PGM_RSRC2:SCRATCH_EN: 0
; COMPUTE_PGM_RSRC2:USER_SGPR: 6
; COMPUTE_PGM_RSRC2:TRAP_HANDLER: 0
; COMPUTE_PGM_RSRC2:TGID_X_EN: 1
; COMPUTE_PGM_RSRC2:TGID_Y_EN: 0
; COMPUTE_PGM_RSRC2:TGID_Z_EN: 0
; COMPUTE_PGM_RSRC2:TIDIG_COMP_CNT: 0
; COMPUTE_PGM_RSRC3_GFX90A:ACCUM_OFFSET: 0
; COMPUTE_PGM_RSRC3_GFX90A:TG_SPLIT: 0
	.section	.text._ZN7rocprim17ROCPRIM_400000_NS6detail17trampoline_kernelINS0_14default_configENS1_20scan_config_selectorIiEEZZNS1_9scan_implILNS1_25lookback_scan_determinismE0ELb1ELb1ES3_N6thrust23THRUST_200600_302600_NS6detail15normal_iteratorINS9_10device_ptrIiEEEESE_iNS9_4plusIvEEiEEDaPvRmT3_T4_T5_mT6_P12ihipStream_tbENKUlT_T0_E_clISt17integral_constantIbLb0EESU_EEDaSP_SQ_EUlSP_E0_NS1_11comp_targetILNS1_3genE8ELNS1_11target_archE1030ELNS1_3gpuE2ELNS1_3repE0EEENS1_30default_config_static_selectorELNS0_4arch9wavefront6targetE1EEEvT1_,"axG",@progbits,_ZN7rocprim17ROCPRIM_400000_NS6detail17trampoline_kernelINS0_14default_configENS1_20scan_config_selectorIiEEZZNS1_9scan_implILNS1_25lookback_scan_determinismE0ELb1ELb1ES3_N6thrust23THRUST_200600_302600_NS6detail15normal_iteratorINS9_10device_ptrIiEEEESE_iNS9_4plusIvEEiEEDaPvRmT3_T4_T5_mT6_P12ihipStream_tbENKUlT_T0_E_clISt17integral_constantIbLb0EESU_EEDaSP_SQ_EUlSP_E0_NS1_11comp_targetILNS1_3genE8ELNS1_11target_archE1030ELNS1_3gpuE2ELNS1_3repE0EEENS1_30default_config_static_selectorELNS0_4arch9wavefront6targetE1EEEvT1_,comdat
	.protected	_ZN7rocprim17ROCPRIM_400000_NS6detail17trampoline_kernelINS0_14default_configENS1_20scan_config_selectorIiEEZZNS1_9scan_implILNS1_25lookback_scan_determinismE0ELb1ELb1ES3_N6thrust23THRUST_200600_302600_NS6detail15normal_iteratorINS9_10device_ptrIiEEEESE_iNS9_4plusIvEEiEEDaPvRmT3_T4_T5_mT6_P12ihipStream_tbENKUlT_T0_E_clISt17integral_constantIbLb0EESU_EEDaSP_SQ_EUlSP_E0_NS1_11comp_targetILNS1_3genE8ELNS1_11target_archE1030ELNS1_3gpuE2ELNS1_3repE0EEENS1_30default_config_static_selectorELNS0_4arch9wavefront6targetE1EEEvT1_ ; -- Begin function _ZN7rocprim17ROCPRIM_400000_NS6detail17trampoline_kernelINS0_14default_configENS1_20scan_config_selectorIiEEZZNS1_9scan_implILNS1_25lookback_scan_determinismE0ELb1ELb1ES3_N6thrust23THRUST_200600_302600_NS6detail15normal_iteratorINS9_10device_ptrIiEEEESE_iNS9_4plusIvEEiEEDaPvRmT3_T4_T5_mT6_P12ihipStream_tbENKUlT_T0_E_clISt17integral_constantIbLb0EESU_EEDaSP_SQ_EUlSP_E0_NS1_11comp_targetILNS1_3genE8ELNS1_11target_archE1030ELNS1_3gpuE2ELNS1_3repE0EEENS1_30default_config_static_selectorELNS0_4arch9wavefront6targetE1EEEvT1_
	.globl	_ZN7rocprim17ROCPRIM_400000_NS6detail17trampoline_kernelINS0_14default_configENS1_20scan_config_selectorIiEEZZNS1_9scan_implILNS1_25lookback_scan_determinismE0ELb1ELb1ES3_N6thrust23THRUST_200600_302600_NS6detail15normal_iteratorINS9_10device_ptrIiEEEESE_iNS9_4plusIvEEiEEDaPvRmT3_T4_T5_mT6_P12ihipStream_tbENKUlT_T0_E_clISt17integral_constantIbLb0EESU_EEDaSP_SQ_EUlSP_E0_NS1_11comp_targetILNS1_3genE8ELNS1_11target_archE1030ELNS1_3gpuE2ELNS1_3repE0EEENS1_30default_config_static_selectorELNS0_4arch9wavefront6targetE1EEEvT1_
	.p2align	8
	.type	_ZN7rocprim17ROCPRIM_400000_NS6detail17trampoline_kernelINS0_14default_configENS1_20scan_config_selectorIiEEZZNS1_9scan_implILNS1_25lookback_scan_determinismE0ELb1ELb1ES3_N6thrust23THRUST_200600_302600_NS6detail15normal_iteratorINS9_10device_ptrIiEEEESE_iNS9_4plusIvEEiEEDaPvRmT3_T4_T5_mT6_P12ihipStream_tbENKUlT_T0_E_clISt17integral_constantIbLb0EESU_EEDaSP_SQ_EUlSP_E0_NS1_11comp_targetILNS1_3genE8ELNS1_11target_archE1030ELNS1_3gpuE2ELNS1_3repE0EEENS1_30default_config_static_selectorELNS0_4arch9wavefront6targetE1EEEvT1_,@function
_ZN7rocprim17ROCPRIM_400000_NS6detail17trampoline_kernelINS0_14default_configENS1_20scan_config_selectorIiEEZZNS1_9scan_implILNS1_25lookback_scan_determinismE0ELb1ELb1ES3_N6thrust23THRUST_200600_302600_NS6detail15normal_iteratorINS9_10device_ptrIiEEEESE_iNS9_4plusIvEEiEEDaPvRmT3_T4_T5_mT6_P12ihipStream_tbENKUlT_T0_E_clISt17integral_constantIbLb0EESU_EEDaSP_SQ_EUlSP_E0_NS1_11comp_targetILNS1_3genE8ELNS1_11target_archE1030ELNS1_3gpuE2ELNS1_3repE0EEENS1_30default_config_static_selectorELNS0_4arch9wavefront6targetE1EEEvT1_: ; @_ZN7rocprim17ROCPRIM_400000_NS6detail17trampoline_kernelINS0_14default_configENS1_20scan_config_selectorIiEEZZNS1_9scan_implILNS1_25lookback_scan_determinismE0ELb1ELb1ES3_N6thrust23THRUST_200600_302600_NS6detail15normal_iteratorINS9_10device_ptrIiEEEESE_iNS9_4plusIvEEiEEDaPvRmT3_T4_T5_mT6_P12ihipStream_tbENKUlT_T0_E_clISt17integral_constantIbLb0EESU_EEDaSP_SQ_EUlSP_E0_NS1_11comp_targetILNS1_3genE8ELNS1_11target_archE1030ELNS1_3gpuE2ELNS1_3repE0EEENS1_30default_config_static_selectorELNS0_4arch9wavefront6targetE1EEEvT1_
; %bb.0:
	.section	.rodata,"a",@progbits
	.p2align	6, 0x0
	.amdhsa_kernel _ZN7rocprim17ROCPRIM_400000_NS6detail17trampoline_kernelINS0_14default_configENS1_20scan_config_selectorIiEEZZNS1_9scan_implILNS1_25lookback_scan_determinismE0ELb1ELb1ES3_N6thrust23THRUST_200600_302600_NS6detail15normal_iteratorINS9_10device_ptrIiEEEESE_iNS9_4plusIvEEiEEDaPvRmT3_T4_T5_mT6_P12ihipStream_tbENKUlT_T0_E_clISt17integral_constantIbLb0EESU_EEDaSP_SQ_EUlSP_E0_NS1_11comp_targetILNS1_3genE8ELNS1_11target_archE1030ELNS1_3gpuE2ELNS1_3repE0EEENS1_30default_config_static_selectorELNS0_4arch9wavefront6targetE1EEEvT1_
		.amdhsa_group_segment_fixed_size 0
		.amdhsa_private_segment_fixed_size 0
		.amdhsa_kernarg_size 32
		.amdhsa_user_sgpr_count 6
		.amdhsa_user_sgpr_private_segment_buffer 1
		.amdhsa_user_sgpr_dispatch_ptr 0
		.amdhsa_user_sgpr_queue_ptr 0
		.amdhsa_user_sgpr_kernarg_segment_ptr 1
		.amdhsa_user_sgpr_dispatch_id 0
		.amdhsa_user_sgpr_flat_scratch_init 0
		.amdhsa_user_sgpr_kernarg_preload_length 0
		.amdhsa_user_sgpr_kernarg_preload_offset 0
		.amdhsa_user_sgpr_private_segment_size 0
		.amdhsa_uses_dynamic_stack 0
		.amdhsa_system_sgpr_private_segment_wavefront_offset 0
		.amdhsa_system_sgpr_workgroup_id_x 1
		.amdhsa_system_sgpr_workgroup_id_y 0
		.amdhsa_system_sgpr_workgroup_id_z 0
		.amdhsa_system_sgpr_workgroup_info 0
		.amdhsa_system_vgpr_workitem_id 0
		.amdhsa_next_free_vgpr 1
		.amdhsa_next_free_sgpr 0
		.amdhsa_accum_offset 4
		.amdhsa_reserve_vcc 0
		.amdhsa_reserve_flat_scratch 0
		.amdhsa_float_round_mode_32 0
		.amdhsa_float_round_mode_16_64 0
		.amdhsa_float_denorm_mode_32 3
		.amdhsa_float_denorm_mode_16_64 3
		.amdhsa_dx10_clamp 1
		.amdhsa_ieee_mode 1
		.amdhsa_fp16_overflow 0
		.amdhsa_tg_split 0
		.amdhsa_exception_fp_ieee_invalid_op 0
		.amdhsa_exception_fp_denorm_src 0
		.amdhsa_exception_fp_ieee_div_zero 0
		.amdhsa_exception_fp_ieee_overflow 0
		.amdhsa_exception_fp_ieee_underflow 0
		.amdhsa_exception_fp_ieee_inexact 0
		.amdhsa_exception_int_div_zero 0
	.end_amdhsa_kernel
	.section	.text._ZN7rocprim17ROCPRIM_400000_NS6detail17trampoline_kernelINS0_14default_configENS1_20scan_config_selectorIiEEZZNS1_9scan_implILNS1_25lookback_scan_determinismE0ELb1ELb1ES3_N6thrust23THRUST_200600_302600_NS6detail15normal_iteratorINS9_10device_ptrIiEEEESE_iNS9_4plusIvEEiEEDaPvRmT3_T4_T5_mT6_P12ihipStream_tbENKUlT_T0_E_clISt17integral_constantIbLb0EESU_EEDaSP_SQ_EUlSP_E0_NS1_11comp_targetILNS1_3genE8ELNS1_11target_archE1030ELNS1_3gpuE2ELNS1_3repE0EEENS1_30default_config_static_selectorELNS0_4arch9wavefront6targetE1EEEvT1_,"axG",@progbits,_ZN7rocprim17ROCPRIM_400000_NS6detail17trampoline_kernelINS0_14default_configENS1_20scan_config_selectorIiEEZZNS1_9scan_implILNS1_25lookback_scan_determinismE0ELb1ELb1ES3_N6thrust23THRUST_200600_302600_NS6detail15normal_iteratorINS9_10device_ptrIiEEEESE_iNS9_4plusIvEEiEEDaPvRmT3_T4_T5_mT6_P12ihipStream_tbENKUlT_T0_E_clISt17integral_constantIbLb0EESU_EEDaSP_SQ_EUlSP_E0_NS1_11comp_targetILNS1_3genE8ELNS1_11target_archE1030ELNS1_3gpuE2ELNS1_3repE0EEENS1_30default_config_static_selectorELNS0_4arch9wavefront6targetE1EEEvT1_,comdat
.Lfunc_end821:
	.size	_ZN7rocprim17ROCPRIM_400000_NS6detail17trampoline_kernelINS0_14default_configENS1_20scan_config_selectorIiEEZZNS1_9scan_implILNS1_25lookback_scan_determinismE0ELb1ELb1ES3_N6thrust23THRUST_200600_302600_NS6detail15normal_iteratorINS9_10device_ptrIiEEEESE_iNS9_4plusIvEEiEEDaPvRmT3_T4_T5_mT6_P12ihipStream_tbENKUlT_T0_E_clISt17integral_constantIbLb0EESU_EEDaSP_SQ_EUlSP_E0_NS1_11comp_targetILNS1_3genE8ELNS1_11target_archE1030ELNS1_3gpuE2ELNS1_3repE0EEENS1_30default_config_static_selectorELNS0_4arch9wavefront6targetE1EEEvT1_, .Lfunc_end821-_ZN7rocprim17ROCPRIM_400000_NS6detail17trampoline_kernelINS0_14default_configENS1_20scan_config_selectorIiEEZZNS1_9scan_implILNS1_25lookback_scan_determinismE0ELb1ELb1ES3_N6thrust23THRUST_200600_302600_NS6detail15normal_iteratorINS9_10device_ptrIiEEEESE_iNS9_4plusIvEEiEEDaPvRmT3_T4_T5_mT6_P12ihipStream_tbENKUlT_T0_E_clISt17integral_constantIbLb0EESU_EEDaSP_SQ_EUlSP_E0_NS1_11comp_targetILNS1_3genE8ELNS1_11target_archE1030ELNS1_3gpuE2ELNS1_3repE0EEENS1_30default_config_static_selectorELNS0_4arch9wavefront6targetE1EEEvT1_
                                        ; -- End function
	.section	.AMDGPU.csdata,"",@progbits
; Kernel info:
; codeLenInByte = 0
; NumSgprs: 4
; NumVgprs: 0
; NumAgprs: 0
; TotalNumVgprs: 0
; ScratchSize: 0
; MemoryBound: 0
; FloatMode: 240
; IeeeMode: 1
; LDSByteSize: 0 bytes/workgroup (compile time only)
; SGPRBlocks: 0
; VGPRBlocks: 0
; NumSGPRsForWavesPerEU: 4
; NumVGPRsForWavesPerEU: 1
; AccumOffset: 4
; Occupancy: 8
; WaveLimiterHint : 0
; COMPUTE_PGM_RSRC2:SCRATCH_EN: 0
; COMPUTE_PGM_RSRC2:USER_SGPR: 6
; COMPUTE_PGM_RSRC2:TRAP_HANDLER: 0
; COMPUTE_PGM_RSRC2:TGID_X_EN: 1
; COMPUTE_PGM_RSRC2:TGID_Y_EN: 0
; COMPUTE_PGM_RSRC2:TGID_Z_EN: 0
; COMPUTE_PGM_RSRC2:TIDIG_COMP_CNT: 0
; COMPUTE_PGM_RSRC3_GFX90A:ACCUM_OFFSET: 0
; COMPUTE_PGM_RSRC3_GFX90A:TG_SPLIT: 0
	.section	.text._ZN7rocprim17ROCPRIM_400000_NS6detail17trampoline_kernelINS0_14default_configENS1_20scan_config_selectorIiEEZZNS1_9scan_implILNS1_25lookback_scan_determinismE0ELb1ELb1ES3_N6thrust23THRUST_200600_302600_NS6detail15normal_iteratorINS9_10device_ptrIiEEEESE_iNS9_4plusIvEEiEEDaPvRmT3_T4_T5_mT6_P12ihipStream_tbENKUlT_T0_E_clISt17integral_constantIbLb1EESU_EEDaSP_SQ_EUlSP_E_NS1_11comp_targetILNS1_3genE0ELNS1_11target_archE4294967295ELNS1_3gpuE0ELNS1_3repE0EEENS1_30default_config_static_selectorELNS0_4arch9wavefront6targetE1EEEvT1_,"axG",@progbits,_ZN7rocprim17ROCPRIM_400000_NS6detail17trampoline_kernelINS0_14default_configENS1_20scan_config_selectorIiEEZZNS1_9scan_implILNS1_25lookback_scan_determinismE0ELb1ELb1ES3_N6thrust23THRUST_200600_302600_NS6detail15normal_iteratorINS9_10device_ptrIiEEEESE_iNS9_4plusIvEEiEEDaPvRmT3_T4_T5_mT6_P12ihipStream_tbENKUlT_T0_E_clISt17integral_constantIbLb1EESU_EEDaSP_SQ_EUlSP_E_NS1_11comp_targetILNS1_3genE0ELNS1_11target_archE4294967295ELNS1_3gpuE0ELNS1_3repE0EEENS1_30default_config_static_selectorELNS0_4arch9wavefront6targetE1EEEvT1_,comdat
	.protected	_ZN7rocprim17ROCPRIM_400000_NS6detail17trampoline_kernelINS0_14default_configENS1_20scan_config_selectorIiEEZZNS1_9scan_implILNS1_25lookback_scan_determinismE0ELb1ELb1ES3_N6thrust23THRUST_200600_302600_NS6detail15normal_iteratorINS9_10device_ptrIiEEEESE_iNS9_4plusIvEEiEEDaPvRmT3_T4_T5_mT6_P12ihipStream_tbENKUlT_T0_E_clISt17integral_constantIbLb1EESU_EEDaSP_SQ_EUlSP_E_NS1_11comp_targetILNS1_3genE0ELNS1_11target_archE4294967295ELNS1_3gpuE0ELNS1_3repE0EEENS1_30default_config_static_selectorELNS0_4arch9wavefront6targetE1EEEvT1_ ; -- Begin function _ZN7rocprim17ROCPRIM_400000_NS6detail17trampoline_kernelINS0_14default_configENS1_20scan_config_selectorIiEEZZNS1_9scan_implILNS1_25lookback_scan_determinismE0ELb1ELb1ES3_N6thrust23THRUST_200600_302600_NS6detail15normal_iteratorINS9_10device_ptrIiEEEESE_iNS9_4plusIvEEiEEDaPvRmT3_T4_T5_mT6_P12ihipStream_tbENKUlT_T0_E_clISt17integral_constantIbLb1EESU_EEDaSP_SQ_EUlSP_E_NS1_11comp_targetILNS1_3genE0ELNS1_11target_archE4294967295ELNS1_3gpuE0ELNS1_3repE0EEENS1_30default_config_static_selectorELNS0_4arch9wavefront6targetE1EEEvT1_
	.globl	_ZN7rocprim17ROCPRIM_400000_NS6detail17trampoline_kernelINS0_14default_configENS1_20scan_config_selectorIiEEZZNS1_9scan_implILNS1_25lookback_scan_determinismE0ELb1ELb1ES3_N6thrust23THRUST_200600_302600_NS6detail15normal_iteratorINS9_10device_ptrIiEEEESE_iNS9_4plusIvEEiEEDaPvRmT3_T4_T5_mT6_P12ihipStream_tbENKUlT_T0_E_clISt17integral_constantIbLb1EESU_EEDaSP_SQ_EUlSP_E_NS1_11comp_targetILNS1_3genE0ELNS1_11target_archE4294967295ELNS1_3gpuE0ELNS1_3repE0EEENS1_30default_config_static_selectorELNS0_4arch9wavefront6targetE1EEEvT1_
	.p2align	8
	.type	_ZN7rocprim17ROCPRIM_400000_NS6detail17trampoline_kernelINS0_14default_configENS1_20scan_config_selectorIiEEZZNS1_9scan_implILNS1_25lookback_scan_determinismE0ELb1ELb1ES3_N6thrust23THRUST_200600_302600_NS6detail15normal_iteratorINS9_10device_ptrIiEEEESE_iNS9_4plusIvEEiEEDaPvRmT3_T4_T5_mT6_P12ihipStream_tbENKUlT_T0_E_clISt17integral_constantIbLb1EESU_EEDaSP_SQ_EUlSP_E_NS1_11comp_targetILNS1_3genE0ELNS1_11target_archE4294967295ELNS1_3gpuE0ELNS1_3repE0EEENS1_30default_config_static_selectorELNS0_4arch9wavefront6targetE1EEEvT1_,@function
_ZN7rocprim17ROCPRIM_400000_NS6detail17trampoline_kernelINS0_14default_configENS1_20scan_config_selectorIiEEZZNS1_9scan_implILNS1_25lookback_scan_determinismE0ELb1ELb1ES3_N6thrust23THRUST_200600_302600_NS6detail15normal_iteratorINS9_10device_ptrIiEEEESE_iNS9_4plusIvEEiEEDaPvRmT3_T4_T5_mT6_P12ihipStream_tbENKUlT_T0_E_clISt17integral_constantIbLb1EESU_EEDaSP_SQ_EUlSP_E_NS1_11comp_targetILNS1_3genE0ELNS1_11target_archE4294967295ELNS1_3gpuE0ELNS1_3repE0EEENS1_30default_config_static_selectorELNS0_4arch9wavefront6targetE1EEEvT1_: ; @_ZN7rocprim17ROCPRIM_400000_NS6detail17trampoline_kernelINS0_14default_configENS1_20scan_config_selectorIiEEZZNS1_9scan_implILNS1_25lookback_scan_determinismE0ELb1ELb1ES3_N6thrust23THRUST_200600_302600_NS6detail15normal_iteratorINS9_10device_ptrIiEEEESE_iNS9_4plusIvEEiEEDaPvRmT3_T4_T5_mT6_P12ihipStream_tbENKUlT_T0_E_clISt17integral_constantIbLb1EESU_EEDaSP_SQ_EUlSP_E_NS1_11comp_targetILNS1_3genE0ELNS1_11target_archE4294967295ELNS1_3gpuE0ELNS1_3repE0EEENS1_30default_config_static_selectorELNS0_4arch9wavefront6targetE1EEEvT1_
; %bb.0:
	.section	.rodata,"a",@progbits
	.p2align	6, 0x0
	.amdhsa_kernel _ZN7rocprim17ROCPRIM_400000_NS6detail17trampoline_kernelINS0_14default_configENS1_20scan_config_selectorIiEEZZNS1_9scan_implILNS1_25lookback_scan_determinismE0ELb1ELb1ES3_N6thrust23THRUST_200600_302600_NS6detail15normal_iteratorINS9_10device_ptrIiEEEESE_iNS9_4plusIvEEiEEDaPvRmT3_T4_T5_mT6_P12ihipStream_tbENKUlT_T0_E_clISt17integral_constantIbLb1EESU_EEDaSP_SQ_EUlSP_E_NS1_11comp_targetILNS1_3genE0ELNS1_11target_archE4294967295ELNS1_3gpuE0ELNS1_3repE0EEENS1_30default_config_static_selectorELNS0_4arch9wavefront6targetE1EEEvT1_
		.amdhsa_group_segment_fixed_size 0
		.amdhsa_private_segment_fixed_size 0
		.amdhsa_kernarg_size 96
		.amdhsa_user_sgpr_count 6
		.amdhsa_user_sgpr_private_segment_buffer 1
		.amdhsa_user_sgpr_dispatch_ptr 0
		.amdhsa_user_sgpr_queue_ptr 0
		.amdhsa_user_sgpr_kernarg_segment_ptr 1
		.amdhsa_user_sgpr_dispatch_id 0
		.amdhsa_user_sgpr_flat_scratch_init 0
		.amdhsa_user_sgpr_kernarg_preload_length 0
		.amdhsa_user_sgpr_kernarg_preload_offset 0
		.amdhsa_user_sgpr_private_segment_size 0
		.amdhsa_uses_dynamic_stack 0
		.amdhsa_system_sgpr_private_segment_wavefront_offset 0
		.amdhsa_system_sgpr_workgroup_id_x 1
		.amdhsa_system_sgpr_workgroup_id_y 0
		.amdhsa_system_sgpr_workgroup_id_z 0
		.amdhsa_system_sgpr_workgroup_info 0
		.amdhsa_system_vgpr_workitem_id 0
		.amdhsa_next_free_vgpr 1
		.amdhsa_next_free_sgpr 0
		.amdhsa_accum_offset 4
		.amdhsa_reserve_vcc 0
		.amdhsa_reserve_flat_scratch 0
		.amdhsa_float_round_mode_32 0
		.amdhsa_float_round_mode_16_64 0
		.amdhsa_float_denorm_mode_32 3
		.amdhsa_float_denorm_mode_16_64 3
		.amdhsa_dx10_clamp 1
		.amdhsa_ieee_mode 1
		.amdhsa_fp16_overflow 0
		.amdhsa_tg_split 0
		.amdhsa_exception_fp_ieee_invalid_op 0
		.amdhsa_exception_fp_denorm_src 0
		.amdhsa_exception_fp_ieee_div_zero 0
		.amdhsa_exception_fp_ieee_overflow 0
		.amdhsa_exception_fp_ieee_underflow 0
		.amdhsa_exception_fp_ieee_inexact 0
		.amdhsa_exception_int_div_zero 0
	.end_amdhsa_kernel
	.section	.text._ZN7rocprim17ROCPRIM_400000_NS6detail17trampoline_kernelINS0_14default_configENS1_20scan_config_selectorIiEEZZNS1_9scan_implILNS1_25lookback_scan_determinismE0ELb1ELb1ES3_N6thrust23THRUST_200600_302600_NS6detail15normal_iteratorINS9_10device_ptrIiEEEESE_iNS9_4plusIvEEiEEDaPvRmT3_T4_T5_mT6_P12ihipStream_tbENKUlT_T0_E_clISt17integral_constantIbLb1EESU_EEDaSP_SQ_EUlSP_E_NS1_11comp_targetILNS1_3genE0ELNS1_11target_archE4294967295ELNS1_3gpuE0ELNS1_3repE0EEENS1_30default_config_static_selectorELNS0_4arch9wavefront6targetE1EEEvT1_,"axG",@progbits,_ZN7rocprim17ROCPRIM_400000_NS6detail17trampoline_kernelINS0_14default_configENS1_20scan_config_selectorIiEEZZNS1_9scan_implILNS1_25lookback_scan_determinismE0ELb1ELb1ES3_N6thrust23THRUST_200600_302600_NS6detail15normal_iteratorINS9_10device_ptrIiEEEESE_iNS9_4plusIvEEiEEDaPvRmT3_T4_T5_mT6_P12ihipStream_tbENKUlT_T0_E_clISt17integral_constantIbLb1EESU_EEDaSP_SQ_EUlSP_E_NS1_11comp_targetILNS1_3genE0ELNS1_11target_archE4294967295ELNS1_3gpuE0ELNS1_3repE0EEENS1_30default_config_static_selectorELNS0_4arch9wavefront6targetE1EEEvT1_,comdat
.Lfunc_end822:
	.size	_ZN7rocprim17ROCPRIM_400000_NS6detail17trampoline_kernelINS0_14default_configENS1_20scan_config_selectorIiEEZZNS1_9scan_implILNS1_25lookback_scan_determinismE0ELb1ELb1ES3_N6thrust23THRUST_200600_302600_NS6detail15normal_iteratorINS9_10device_ptrIiEEEESE_iNS9_4plusIvEEiEEDaPvRmT3_T4_T5_mT6_P12ihipStream_tbENKUlT_T0_E_clISt17integral_constantIbLb1EESU_EEDaSP_SQ_EUlSP_E_NS1_11comp_targetILNS1_3genE0ELNS1_11target_archE4294967295ELNS1_3gpuE0ELNS1_3repE0EEENS1_30default_config_static_selectorELNS0_4arch9wavefront6targetE1EEEvT1_, .Lfunc_end822-_ZN7rocprim17ROCPRIM_400000_NS6detail17trampoline_kernelINS0_14default_configENS1_20scan_config_selectorIiEEZZNS1_9scan_implILNS1_25lookback_scan_determinismE0ELb1ELb1ES3_N6thrust23THRUST_200600_302600_NS6detail15normal_iteratorINS9_10device_ptrIiEEEESE_iNS9_4plusIvEEiEEDaPvRmT3_T4_T5_mT6_P12ihipStream_tbENKUlT_T0_E_clISt17integral_constantIbLb1EESU_EEDaSP_SQ_EUlSP_E_NS1_11comp_targetILNS1_3genE0ELNS1_11target_archE4294967295ELNS1_3gpuE0ELNS1_3repE0EEENS1_30default_config_static_selectorELNS0_4arch9wavefront6targetE1EEEvT1_
                                        ; -- End function
	.section	.AMDGPU.csdata,"",@progbits
; Kernel info:
; codeLenInByte = 0
; NumSgprs: 4
; NumVgprs: 0
; NumAgprs: 0
; TotalNumVgprs: 0
; ScratchSize: 0
; MemoryBound: 0
; FloatMode: 240
; IeeeMode: 1
; LDSByteSize: 0 bytes/workgroup (compile time only)
; SGPRBlocks: 0
; VGPRBlocks: 0
; NumSGPRsForWavesPerEU: 4
; NumVGPRsForWavesPerEU: 1
; AccumOffset: 4
; Occupancy: 8
; WaveLimiterHint : 0
; COMPUTE_PGM_RSRC2:SCRATCH_EN: 0
; COMPUTE_PGM_RSRC2:USER_SGPR: 6
; COMPUTE_PGM_RSRC2:TRAP_HANDLER: 0
; COMPUTE_PGM_RSRC2:TGID_X_EN: 1
; COMPUTE_PGM_RSRC2:TGID_Y_EN: 0
; COMPUTE_PGM_RSRC2:TGID_Z_EN: 0
; COMPUTE_PGM_RSRC2:TIDIG_COMP_CNT: 0
; COMPUTE_PGM_RSRC3_GFX90A:ACCUM_OFFSET: 0
; COMPUTE_PGM_RSRC3_GFX90A:TG_SPLIT: 0
	.section	.text._ZN7rocprim17ROCPRIM_400000_NS6detail17trampoline_kernelINS0_14default_configENS1_20scan_config_selectorIiEEZZNS1_9scan_implILNS1_25lookback_scan_determinismE0ELb1ELb1ES3_N6thrust23THRUST_200600_302600_NS6detail15normal_iteratorINS9_10device_ptrIiEEEESE_iNS9_4plusIvEEiEEDaPvRmT3_T4_T5_mT6_P12ihipStream_tbENKUlT_T0_E_clISt17integral_constantIbLb1EESU_EEDaSP_SQ_EUlSP_E_NS1_11comp_targetILNS1_3genE5ELNS1_11target_archE942ELNS1_3gpuE9ELNS1_3repE0EEENS1_30default_config_static_selectorELNS0_4arch9wavefront6targetE1EEEvT1_,"axG",@progbits,_ZN7rocprim17ROCPRIM_400000_NS6detail17trampoline_kernelINS0_14default_configENS1_20scan_config_selectorIiEEZZNS1_9scan_implILNS1_25lookback_scan_determinismE0ELb1ELb1ES3_N6thrust23THRUST_200600_302600_NS6detail15normal_iteratorINS9_10device_ptrIiEEEESE_iNS9_4plusIvEEiEEDaPvRmT3_T4_T5_mT6_P12ihipStream_tbENKUlT_T0_E_clISt17integral_constantIbLb1EESU_EEDaSP_SQ_EUlSP_E_NS1_11comp_targetILNS1_3genE5ELNS1_11target_archE942ELNS1_3gpuE9ELNS1_3repE0EEENS1_30default_config_static_selectorELNS0_4arch9wavefront6targetE1EEEvT1_,comdat
	.protected	_ZN7rocprim17ROCPRIM_400000_NS6detail17trampoline_kernelINS0_14default_configENS1_20scan_config_selectorIiEEZZNS1_9scan_implILNS1_25lookback_scan_determinismE0ELb1ELb1ES3_N6thrust23THRUST_200600_302600_NS6detail15normal_iteratorINS9_10device_ptrIiEEEESE_iNS9_4plusIvEEiEEDaPvRmT3_T4_T5_mT6_P12ihipStream_tbENKUlT_T0_E_clISt17integral_constantIbLb1EESU_EEDaSP_SQ_EUlSP_E_NS1_11comp_targetILNS1_3genE5ELNS1_11target_archE942ELNS1_3gpuE9ELNS1_3repE0EEENS1_30default_config_static_selectorELNS0_4arch9wavefront6targetE1EEEvT1_ ; -- Begin function _ZN7rocprim17ROCPRIM_400000_NS6detail17trampoline_kernelINS0_14default_configENS1_20scan_config_selectorIiEEZZNS1_9scan_implILNS1_25lookback_scan_determinismE0ELb1ELb1ES3_N6thrust23THRUST_200600_302600_NS6detail15normal_iteratorINS9_10device_ptrIiEEEESE_iNS9_4plusIvEEiEEDaPvRmT3_T4_T5_mT6_P12ihipStream_tbENKUlT_T0_E_clISt17integral_constantIbLb1EESU_EEDaSP_SQ_EUlSP_E_NS1_11comp_targetILNS1_3genE5ELNS1_11target_archE942ELNS1_3gpuE9ELNS1_3repE0EEENS1_30default_config_static_selectorELNS0_4arch9wavefront6targetE1EEEvT1_
	.globl	_ZN7rocprim17ROCPRIM_400000_NS6detail17trampoline_kernelINS0_14default_configENS1_20scan_config_selectorIiEEZZNS1_9scan_implILNS1_25lookback_scan_determinismE0ELb1ELb1ES3_N6thrust23THRUST_200600_302600_NS6detail15normal_iteratorINS9_10device_ptrIiEEEESE_iNS9_4plusIvEEiEEDaPvRmT3_T4_T5_mT6_P12ihipStream_tbENKUlT_T0_E_clISt17integral_constantIbLb1EESU_EEDaSP_SQ_EUlSP_E_NS1_11comp_targetILNS1_3genE5ELNS1_11target_archE942ELNS1_3gpuE9ELNS1_3repE0EEENS1_30default_config_static_selectorELNS0_4arch9wavefront6targetE1EEEvT1_
	.p2align	8
	.type	_ZN7rocprim17ROCPRIM_400000_NS6detail17trampoline_kernelINS0_14default_configENS1_20scan_config_selectorIiEEZZNS1_9scan_implILNS1_25lookback_scan_determinismE0ELb1ELb1ES3_N6thrust23THRUST_200600_302600_NS6detail15normal_iteratorINS9_10device_ptrIiEEEESE_iNS9_4plusIvEEiEEDaPvRmT3_T4_T5_mT6_P12ihipStream_tbENKUlT_T0_E_clISt17integral_constantIbLb1EESU_EEDaSP_SQ_EUlSP_E_NS1_11comp_targetILNS1_3genE5ELNS1_11target_archE942ELNS1_3gpuE9ELNS1_3repE0EEENS1_30default_config_static_selectorELNS0_4arch9wavefront6targetE1EEEvT1_,@function
_ZN7rocprim17ROCPRIM_400000_NS6detail17trampoline_kernelINS0_14default_configENS1_20scan_config_selectorIiEEZZNS1_9scan_implILNS1_25lookback_scan_determinismE0ELb1ELb1ES3_N6thrust23THRUST_200600_302600_NS6detail15normal_iteratorINS9_10device_ptrIiEEEESE_iNS9_4plusIvEEiEEDaPvRmT3_T4_T5_mT6_P12ihipStream_tbENKUlT_T0_E_clISt17integral_constantIbLb1EESU_EEDaSP_SQ_EUlSP_E_NS1_11comp_targetILNS1_3genE5ELNS1_11target_archE942ELNS1_3gpuE9ELNS1_3repE0EEENS1_30default_config_static_selectorELNS0_4arch9wavefront6targetE1EEEvT1_: ; @_ZN7rocprim17ROCPRIM_400000_NS6detail17trampoline_kernelINS0_14default_configENS1_20scan_config_selectorIiEEZZNS1_9scan_implILNS1_25lookback_scan_determinismE0ELb1ELb1ES3_N6thrust23THRUST_200600_302600_NS6detail15normal_iteratorINS9_10device_ptrIiEEEESE_iNS9_4plusIvEEiEEDaPvRmT3_T4_T5_mT6_P12ihipStream_tbENKUlT_T0_E_clISt17integral_constantIbLb1EESU_EEDaSP_SQ_EUlSP_E_NS1_11comp_targetILNS1_3genE5ELNS1_11target_archE942ELNS1_3gpuE9ELNS1_3repE0EEENS1_30default_config_static_selectorELNS0_4arch9wavefront6targetE1EEEvT1_
; %bb.0:
	.section	.rodata,"a",@progbits
	.p2align	6, 0x0
	.amdhsa_kernel _ZN7rocprim17ROCPRIM_400000_NS6detail17trampoline_kernelINS0_14default_configENS1_20scan_config_selectorIiEEZZNS1_9scan_implILNS1_25lookback_scan_determinismE0ELb1ELb1ES3_N6thrust23THRUST_200600_302600_NS6detail15normal_iteratorINS9_10device_ptrIiEEEESE_iNS9_4plusIvEEiEEDaPvRmT3_T4_T5_mT6_P12ihipStream_tbENKUlT_T0_E_clISt17integral_constantIbLb1EESU_EEDaSP_SQ_EUlSP_E_NS1_11comp_targetILNS1_3genE5ELNS1_11target_archE942ELNS1_3gpuE9ELNS1_3repE0EEENS1_30default_config_static_selectorELNS0_4arch9wavefront6targetE1EEEvT1_
		.amdhsa_group_segment_fixed_size 0
		.amdhsa_private_segment_fixed_size 0
		.amdhsa_kernarg_size 96
		.amdhsa_user_sgpr_count 6
		.amdhsa_user_sgpr_private_segment_buffer 1
		.amdhsa_user_sgpr_dispatch_ptr 0
		.amdhsa_user_sgpr_queue_ptr 0
		.amdhsa_user_sgpr_kernarg_segment_ptr 1
		.amdhsa_user_sgpr_dispatch_id 0
		.amdhsa_user_sgpr_flat_scratch_init 0
		.amdhsa_user_sgpr_kernarg_preload_length 0
		.amdhsa_user_sgpr_kernarg_preload_offset 0
		.amdhsa_user_sgpr_private_segment_size 0
		.amdhsa_uses_dynamic_stack 0
		.amdhsa_system_sgpr_private_segment_wavefront_offset 0
		.amdhsa_system_sgpr_workgroup_id_x 1
		.amdhsa_system_sgpr_workgroup_id_y 0
		.amdhsa_system_sgpr_workgroup_id_z 0
		.amdhsa_system_sgpr_workgroup_info 0
		.amdhsa_system_vgpr_workitem_id 0
		.amdhsa_next_free_vgpr 1
		.amdhsa_next_free_sgpr 0
		.amdhsa_accum_offset 4
		.amdhsa_reserve_vcc 0
		.amdhsa_reserve_flat_scratch 0
		.amdhsa_float_round_mode_32 0
		.amdhsa_float_round_mode_16_64 0
		.amdhsa_float_denorm_mode_32 3
		.amdhsa_float_denorm_mode_16_64 3
		.amdhsa_dx10_clamp 1
		.amdhsa_ieee_mode 1
		.amdhsa_fp16_overflow 0
		.amdhsa_tg_split 0
		.amdhsa_exception_fp_ieee_invalid_op 0
		.amdhsa_exception_fp_denorm_src 0
		.amdhsa_exception_fp_ieee_div_zero 0
		.amdhsa_exception_fp_ieee_overflow 0
		.amdhsa_exception_fp_ieee_underflow 0
		.amdhsa_exception_fp_ieee_inexact 0
		.amdhsa_exception_int_div_zero 0
	.end_amdhsa_kernel
	.section	.text._ZN7rocprim17ROCPRIM_400000_NS6detail17trampoline_kernelINS0_14default_configENS1_20scan_config_selectorIiEEZZNS1_9scan_implILNS1_25lookback_scan_determinismE0ELb1ELb1ES3_N6thrust23THRUST_200600_302600_NS6detail15normal_iteratorINS9_10device_ptrIiEEEESE_iNS9_4plusIvEEiEEDaPvRmT3_T4_T5_mT6_P12ihipStream_tbENKUlT_T0_E_clISt17integral_constantIbLb1EESU_EEDaSP_SQ_EUlSP_E_NS1_11comp_targetILNS1_3genE5ELNS1_11target_archE942ELNS1_3gpuE9ELNS1_3repE0EEENS1_30default_config_static_selectorELNS0_4arch9wavefront6targetE1EEEvT1_,"axG",@progbits,_ZN7rocprim17ROCPRIM_400000_NS6detail17trampoline_kernelINS0_14default_configENS1_20scan_config_selectorIiEEZZNS1_9scan_implILNS1_25lookback_scan_determinismE0ELb1ELb1ES3_N6thrust23THRUST_200600_302600_NS6detail15normal_iteratorINS9_10device_ptrIiEEEESE_iNS9_4plusIvEEiEEDaPvRmT3_T4_T5_mT6_P12ihipStream_tbENKUlT_T0_E_clISt17integral_constantIbLb1EESU_EEDaSP_SQ_EUlSP_E_NS1_11comp_targetILNS1_3genE5ELNS1_11target_archE942ELNS1_3gpuE9ELNS1_3repE0EEENS1_30default_config_static_selectorELNS0_4arch9wavefront6targetE1EEEvT1_,comdat
.Lfunc_end823:
	.size	_ZN7rocprim17ROCPRIM_400000_NS6detail17trampoline_kernelINS0_14default_configENS1_20scan_config_selectorIiEEZZNS1_9scan_implILNS1_25lookback_scan_determinismE0ELb1ELb1ES3_N6thrust23THRUST_200600_302600_NS6detail15normal_iteratorINS9_10device_ptrIiEEEESE_iNS9_4plusIvEEiEEDaPvRmT3_T4_T5_mT6_P12ihipStream_tbENKUlT_T0_E_clISt17integral_constantIbLb1EESU_EEDaSP_SQ_EUlSP_E_NS1_11comp_targetILNS1_3genE5ELNS1_11target_archE942ELNS1_3gpuE9ELNS1_3repE0EEENS1_30default_config_static_selectorELNS0_4arch9wavefront6targetE1EEEvT1_, .Lfunc_end823-_ZN7rocprim17ROCPRIM_400000_NS6detail17trampoline_kernelINS0_14default_configENS1_20scan_config_selectorIiEEZZNS1_9scan_implILNS1_25lookback_scan_determinismE0ELb1ELb1ES3_N6thrust23THRUST_200600_302600_NS6detail15normal_iteratorINS9_10device_ptrIiEEEESE_iNS9_4plusIvEEiEEDaPvRmT3_T4_T5_mT6_P12ihipStream_tbENKUlT_T0_E_clISt17integral_constantIbLb1EESU_EEDaSP_SQ_EUlSP_E_NS1_11comp_targetILNS1_3genE5ELNS1_11target_archE942ELNS1_3gpuE9ELNS1_3repE0EEENS1_30default_config_static_selectorELNS0_4arch9wavefront6targetE1EEEvT1_
                                        ; -- End function
	.section	.AMDGPU.csdata,"",@progbits
; Kernel info:
; codeLenInByte = 0
; NumSgprs: 4
; NumVgprs: 0
; NumAgprs: 0
; TotalNumVgprs: 0
; ScratchSize: 0
; MemoryBound: 0
; FloatMode: 240
; IeeeMode: 1
; LDSByteSize: 0 bytes/workgroup (compile time only)
; SGPRBlocks: 0
; VGPRBlocks: 0
; NumSGPRsForWavesPerEU: 4
; NumVGPRsForWavesPerEU: 1
; AccumOffset: 4
; Occupancy: 8
; WaveLimiterHint : 0
; COMPUTE_PGM_RSRC2:SCRATCH_EN: 0
; COMPUTE_PGM_RSRC2:USER_SGPR: 6
; COMPUTE_PGM_RSRC2:TRAP_HANDLER: 0
; COMPUTE_PGM_RSRC2:TGID_X_EN: 1
; COMPUTE_PGM_RSRC2:TGID_Y_EN: 0
; COMPUTE_PGM_RSRC2:TGID_Z_EN: 0
; COMPUTE_PGM_RSRC2:TIDIG_COMP_CNT: 0
; COMPUTE_PGM_RSRC3_GFX90A:ACCUM_OFFSET: 0
; COMPUTE_PGM_RSRC3_GFX90A:TG_SPLIT: 0
	.section	.text._ZN7rocprim17ROCPRIM_400000_NS6detail17trampoline_kernelINS0_14default_configENS1_20scan_config_selectorIiEEZZNS1_9scan_implILNS1_25lookback_scan_determinismE0ELb1ELb1ES3_N6thrust23THRUST_200600_302600_NS6detail15normal_iteratorINS9_10device_ptrIiEEEESE_iNS9_4plusIvEEiEEDaPvRmT3_T4_T5_mT6_P12ihipStream_tbENKUlT_T0_E_clISt17integral_constantIbLb1EESU_EEDaSP_SQ_EUlSP_E_NS1_11comp_targetILNS1_3genE4ELNS1_11target_archE910ELNS1_3gpuE8ELNS1_3repE0EEENS1_30default_config_static_selectorELNS0_4arch9wavefront6targetE1EEEvT1_,"axG",@progbits,_ZN7rocprim17ROCPRIM_400000_NS6detail17trampoline_kernelINS0_14default_configENS1_20scan_config_selectorIiEEZZNS1_9scan_implILNS1_25lookback_scan_determinismE0ELb1ELb1ES3_N6thrust23THRUST_200600_302600_NS6detail15normal_iteratorINS9_10device_ptrIiEEEESE_iNS9_4plusIvEEiEEDaPvRmT3_T4_T5_mT6_P12ihipStream_tbENKUlT_T0_E_clISt17integral_constantIbLb1EESU_EEDaSP_SQ_EUlSP_E_NS1_11comp_targetILNS1_3genE4ELNS1_11target_archE910ELNS1_3gpuE8ELNS1_3repE0EEENS1_30default_config_static_selectorELNS0_4arch9wavefront6targetE1EEEvT1_,comdat
	.protected	_ZN7rocprim17ROCPRIM_400000_NS6detail17trampoline_kernelINS0_14default_configENS1_20scan_config_selectorIiEEZZNS1_9scan_implILNS1_25lookback_scan_determinismE0ELb1ELb1ES3_N6thrust23THRUST_200600_302600_NS6detail15normal_iteratorINS9_10device_ptrIiEEEESE_iNS9_4plusIvEEiEEDaPvRmT3_T4_T5_mT6_P12ihipStream_tbENKUlT_T0_E_clISt17integral_constantIbLb1EESU_EEDaSP_SQ_EUlSP_E_NS1_11comp_targetILNS1_3genE4ELNS1_11target_archE910ELNS1_3gpuE8ELNS1_3repE0EEENS1_30default_config_static_selectorELNS0_4arch9wavefront6targetE1EEEvT1_ ; -- Begin function _ZN7rocprim17ROCPRIM_400000_NS6detail17trampoline_kernelINS0_14default_configENS1_20scan_config_selectorIiEEZZNS1_9scan_implILNS1_25lookback_scan_determinismE0ELb1ELb1ES3_N6thrust23THRUST_200600_302600_NS6detail15normal_iteratorINS9_10device_ptrIiEEEESE_iNS9_4plusIvEEiEEDaPvRmT3_T4_T5_mT6_P12ihipStream_tbENKUlT_T0_E_clISt17integral_constantIbLb1EESU_EEDaSP_SQ_EUlSP_E_NS1_11comp_targetILNS1_3genE4ELNS1_11target_archE910ELNS1_3gpuE8ELNS1_3repE0EEENS1_30default_config_static_selectorELNS0_4arch9wavefront6targetE1EEEvT1_
	.globl	_ZN7rocprim17ROCPRIM_400000_NS6detail17trampoline_kernelINS0_14default_configENS1_20scan_config_selectorIiEEZZNS1_9scan_implILNS1_25lookback_scan_determinismE0ELb1ELb1ES3_N6thrust23THRUST_200600_302600_NS6detail15normal_iteratorINS9_10device_ptrIiEEEESE_iNS9_4plusIvEEiEEDaPvRmT3_T4_T5_mT6_P12ihipStream_tbENKUlT_T0_E_clISt17integral_constantIbLb1EESU_EEDaSP_SQ_EUlSP_E_NS1_11comp_targetILNS1_3genE4ELNS1_11target_archE910ELNS1_3gpuE8ELNS1_3repE0EEENS1_30default_config_static_selectorELNS0_4arch9wavefront6targetE1EEEvT1_
	.p2align	8
	.type	_ZN7rocprim17ROCPRIM_400000_NS6detail17trampoline_kernelINS0_14default_configENS1_20scan_config_selectorIiEEZZNS1_9scan_implILNS1_25lookback_scan_determinismE0ELb1ELb1ES3_N6thrust23THRUST_200600_302600_NS6detail15normal_iteratorINS9_10device_ptrIiEEEESE_iNS9_4plusIvEEiEEDaPvRmT3_T4_T5_mT6_P12ihipStream_tbENKUlT_T0_E_clISt17integral_constantIbLb1EESU_EEDaSP_SQ_EUlSP_E_NS1_11comp_targetILNS1_3genE4ELNS1_11target_archE910ELNS1_3gpuE8ELNS1_3repE0EEENS1_30default_config_static_selectorELNS0_4arch9wavefront6targetE1EEEvT1_,@function
_ZN7rocprim17ROCPRIM_400000_NS6detail17trampoline_kernelINS0_14default_configENS1_20scan_config_selectorIiEEZZNS1_9scan_implILNS1_25lookback_scan_determinismE0ELb1ELb1ES3_N6thrust23THRUST_200600_302600_NS6detail15normal_iteratorINS9_10device_ptrIiEEEESE_iNS9_4plusIvEEiEEDaPvRmT3_T4_T5_mT6_P12ihipStream_tbENKUlT_T0_E_clISt17integral_constantIbLb1EESU_EEDaSP_SQ_EUlSP_E_NS1_11comp_targetILNS1_3genE4ELNS1_11target_archE910ELNS1_3gpuE8ELNS1_3repE0EEENS1_30default_config_static_selectorELNS0_4arch9wavefront6targetE1EEEvT1_: ; @_ZN7rocprim17ROCPRIM_400000_NS6detail17trampoline_kernelINS0_14default_configENS1_20scan_config_selectorIiEEZZNS1_9scan_implILNS1_25lookback_scan_determinismE0ELb1ELb1ES3_N6thrust23THRUST_200600_302600_NS6detail15normal_iteratorINS9_10device_ptrIiEEEESE_iNS9_4plusIvEEiEEDaPvRmT3_T4_T5_mT6_P12ihipStream_tbENKUlT_T0_E_clISt17integral_constantIbLb1EESU_EEDaSP_SQ_EUlSP_E_NS1_11comp_targetILNS1_3genE4ELNS1_11target_archE910ELNS1_3gpuE8ELNS1_3repE0EEENS1_30default_config_static_selectorELNS0_4arch9wavefront6targetE1EEEvT1_
; %bb.0:
	s_load_dword s33, s[4:5], 0x20
	s_load_dwordx2 s[6:7], s[4:5], 0x28
	v_cmp_ne_u32_e64 s[2:3], 0, v0
	v_cmp_eq_u32_e64 s[0:1], 0, v0
	s_and_saveexec_b64 s[8:9], s[0:1]
	s_cbranch_execz .LBB824_4
; %bb.1:
	s_mov_b64 s[12:13], exec
	v_mbcnt_lo_u32_b32 v1, s12, 0
	v_mbcnt_hi_u32_b32 v1, s13, v1
	v_cmp_eq_u32_e32 vcc, 0, v1
                                        ; implicit-def: $vgpr2
	s_and_saveexec_b64 s[10:11], vcc
	s_cbranch_execz .LBB824_3
; %bb.2:
	s_load_dwordx2 s[14:15], s[4:5], 0x58
	s_bcnt1_i32_b64 s12, s[12:13]
	v_mov_b32_e32 v2, 0
	v_mov_b32_e32 v3, s12
	s_waitcnt lgkmcnt(0)
	global_atomic_add v2, v2, v3, s[14:15] glc
.LBB824_3:
	s_or_b64 exec, exec, s[10:11]
	s_waitcnt vmcnt(0)
	v_readfirstlane_b32 s10, v2
	v_add_u32_e32 v1, s10, v1
	v_mov_b32_e32 v2, 0
	ds_write_b32 v2, v1
.LBB824_4:
	s_or_b64 exec, exec, s[8:9]
	s_load_dwordx8 s[16:23], s[4:5], 0x0
	s_load_dword s24, s[4:5], 0x30
	s_load_dwordx8 s[8:15], s[4:5], 0x38
	v_mov_b32_e32 v1, 0
	s_waitcnt lgkmcnt(0)
	s_barrier
	ds_read_b32 v1, v1
	s_lshl_b64 s[18:19], s[18:19], 2
	s_add_u32 s34, s16, s18
	s_addc_u32 s35, s17, s19
	s_add_i32 s16, s24, -1
	s_mul_i32 s17, s16, 0x500
	s_sub_u32 s30, s22, s17
	s_waitcnt lgkmcnt(0)
	v_readfirstlane_b32 s36, v1
	s_subb_u32 s31, s23, 0
	s_mul_i32 s4, s36, 0x500
	s_mov_b32 s5, 0
	s_cmp_lg_u32 s36, s16
	s_cselect_b64 s[16:17], -1, 0
	s_lshl_b64 s[22:23], s[4:5], 2
	s_add_u32 s24, s34, s22
	s_addc_u32 s25, s35, s23
	s_mov_b64 s[4:5], -1
	s_and_b64 vcc, exec, s[16:17]
	v_lshlrev_b32_e32 v22, 2, v0
	s_barrier
	s_cbranch_vccz .LBB824_6
; %bb.5:
	v_mov_b32_e32 v1, s25
	v_add_co_u32_e32 v2, vcc, s24, v22
	v_addc_co_u32_e32 v3, vcc, 0, v1, vcc
	flat_load_dword v1, v[2:3]
	flat_load_dword v4, v[2:3] offset:512
	flat_load_dword v5, v[2:3] offset:1024
	;; [unrolled: 1-line block ×7, first 2 shown]
	v_add_co_u32_e32 v2, vcc, 0x1000, v2
	v_addc_co_u32_e32 v3, vcc, 0, v3, vcc
	flat_load_dword v11, v[2:3]
	flat_load_dword v12, v[2:3] offset:512
	s_mov_b64 s[4:5], 0
	s_waitcnt vmcnt(0) lgkmcnt(0)
	ds_write2st64_b32 v22, v1, v4 offset1:2
	ds_write2st64_b32 v22, v5, v6 offset0:4 offset1:6
	ds_write2st64_b32 v22, v7, v8 offset0:8 offset1:10
	;; [unrolled: 1-line block ×4, first 2 shown]
	s_waitcnt lgkmcnt(0)
	s_barrier
.LBB824_6:
	s_andn2_b64 vcc, exec, s[4:5]
	v_cmp_gt_u32_e64 s[4:5], s30, v0
	s_cbranch_vccnz .LBB824_28
; %bb.7:
	v_pk_mov_b32 v[2:3], s[24:25], s[24:25] op_sel:[0,1]
	flat_load_dword v1, v[2:3]
	s_waitcnt vmcnt(0) lgkmcnt(0)
	v_mov_b32_e32 v2, v1
	v_mov_b32_e32 v3, v1
	;; [unrolled: 1-line block ×9, first 2 shown]
	s_and_saveexec_b64 s[26:27], s[4:5]
	s_cbranch_execz .LBB824_9
; %bb.8:
	v_mov_b32_e32 v11, s25
	v_add_co_u32_e32 v10, vcc, s24, v22
	v_addc_co_u32_e32 v11, vcc, 0, v11, vcc
	flat_load_dword v10, v[10:11]
.LBB824_9:
	s_or_b64 exec, exec, s[26:27]
	v_or_b32_e32 v11, 0x80, v0
	v_cmp_gt_u32_e32 vcc, s30, v11
	s_and_saveexec_b64 s[4:5], vcc
	s_cbranch_execz .LBB824_11
; %bb.10:
	v_mov_b32_e32 v1, s25
	v_add_co_u32_e32 v12, vcc, s24, v22
	v_addc_co_u32_e32 v13, vcc, 0, v1, vcc
	flat_load_dword v1, v[12:13] offset:512
.LBB824_11:
	s_or_b64 exec, exec, s[4:5]
	v_or_b32_e32 v11, 0x100, v0
	v_cmp_gt_u32_e32 vcc, s30, v11
	s_and_saveexec_b64 s[4:5], vcc
	s_cbranch_execz .LBB824_13
; %bb.12:
	v_mov_b32_e32 v2, s25
	v_add_co_u32_e32 v12, vcc, s24, v22
	v_addc_co_u32_e32 v13, vcc, 0, v2, vcc
	flat_load_dword v2, v[12:13] offset:1024
.LBB824_13:
	;; [unrolled: 11-line block ×7, first 2 shown]
	s_or_b64 exec, exec, s[4:5]
	v_or_b32_e32 v11, 0x400, v0
	v_cmp_gt_u32_e32 vcc, s30, v11
	s_and_saveexec_b64 s[4:5], vcc
	s_cbranch_execz .LBB824_25
; %bb.24:
	v_lshlrev_b32_e32 v8, 2, v11
	v_mov_b32_e32 v11, s25
	v_add_co_u32_e32 v12, vcc, s24, v8
	v_addc_co_u32_e32 v13, vcc, 0, v11, vcc
	flat_load_dword v8, v[12:13]
.LBB824_25:
	s_or_b64 exec, exec, s[4:5]
	v_or_b32_e32 v11, 0x480, v0
	v_cmp_gt_u32_e32 vcc, s30, v11
	s_and_saveexec_b64 s[4:5], vcc
	s_cbranch_execz .LBB824_27
; %bb.26:
	v_lshlrev_b32_e32 v9, 2, v11
	v_mov_b32_e32 v11, s25
	v_add_co_u32_e32 v12, vcc, s24, v9
	v_addc_co_u32_e32 v13, vcc, 0, v11, vcc
	flat_load_dword v9, v[12:13]
.LBB824_27:
	s_or_b64 exec, exec, s[4:5]
	s_waitcnt vmcnt(0) lgkmcnt(0)
	ds_write2st64_b32 v22, v10, v1 offset1:2
	ds_write2st64_b32 v22, v2, v3 offset0:4 offset1:6
	ds_write2st64_b32 v22, v4, v5 offset0:8 offset1:10
	;; [unrolled: 1-line block ×4, first 2 shown]
	s_waitcnt lgkmcnt(0)
	s_barrier
.LBB824_28:
	v_mul_u32_u24_e32 v23, 10, v0
	v_lshlrev_b32_e32 v1, 2, v23
	ds_read2_b64 v[16:19], v1 offset1:1
	ds_read2_b64 v[12:15], v1 offset0:2 offset1:3
	ds_read_b64 v[20:21], v1 offset:32
	s_cmp_lg_u32 s36, 0
	v_lshrrev_b32_e32 v24, 5, v0
	s_waitcnt lgkmcnt(2)
	v_add_u32_e32 v2, v17, v16
	v_add3_u32 v25, v2, v18, v19
	v_cmp_gt_u32_e32 vcc, 64, v0
	s_waitcnt lgkmcnt(0)
	s_barrier
	s_cbranch_scc0 .LBB824_57
; %bb.29:
	v_add3_u32 v2, v25, v12, v13
	v_add3_u32 v2, v2, v14, v15
	;; [unrolled: 1-line block ×3, first 2 shown]
	v_add_lshl_u32 v3, v24, v0, 2
	ds_write_b32 v3, v2
	s_waitcnt lgkmcnt(0)
	s_barrier
	s_and_saveexec_b64 s[24:25], vcc
	s_cbranch_execz .LBB824_31
; %bb.30:
	v_lshlrev_b32_e32 v3, 1, v0
	v_lshrrev_b32_e32 v4, 4, v0
	v_add_lshl_u32 v3, v4, v3, 2
	ds_read2_b32 v[4:5], v3 offset1:1
	v_mbcnt_lo_u32_b32 v6, -1, 0
	v_mbcnt_hi_u32_b32 v6, -1, v6
	v_and_b32_e32 v7, 15, v6
	v_cmp_ne_u32_e64 s[4:5], 0, v7
	s_waitcnt lgkmcnt(0)
	v_add_u32_e32 v5, v5, v4
	; wave barrier
	s_nop 1
	v_mov_b32_dpp v8, v5 row_shr:1 row_mask:0xf bank_mask:0xf
	v_cndmask_b32_e64 v8, 0, v8, s[4:5]
	v_add_u32_e32 v5, v8, v5
	v_cmp_lt_u32_e64 s[4:5], 1, v7
	s_nop 0
	v_mov_b32_dpp v8, v5 row_shr:2 row_mask:0xf bank_mask:0xf
	v_cndmask_b32_e64 v8, 0, v8, s[4:5]
	v_add_u32_e32 v5, v5, v8
	v_cmp_lt_u32_e64 s[4:5], 3, v7
	;; [unrolled: 5-line block ×3, first 2 shown]
	s_nop 0
	v_mov_b32_dpp v8, v5 row_shr:8 row_mask:0xf bank_mask:0xf
	v_cndmask_b32_e64 v7, 0, v8, s[4:5]
	v_add_u32_e32 v5, v5, v7
	v_bfe_i32 v8, v6, 4, 1
	v_cmp_lt_u32_e64 s[4:5], 31, v6
	v_mov_b32_dpp v7, v5 row_bcast:15 row_mask:0xf bank_mask:0xf
	v_and_b32_e32 v7, v8, v7
	v_add_u32_e32 v5, v5, v7
	v_and_b32_e32 v8, 64, v6
	s_nop 0
	v_mov_b32_dpp v7, v5 row_bcast:31 row_mask:0xf bank_mask:0xf
	v_cndmask_b32_e64 v7, 0, v7, s[4:5]
	v_add_u32_e32 v5, v5, v7
	v_add_u32_e32 v7, -1, v6
	v_cmp_lt_i32_e64 s[4:5], v7, v8
	v_cndmask_b32_e64 v6, v7, v6, s[4:5]
	v_lshlrev_b32_e32 v6, 2, v6
	ds_bpermute_b32 v5, v6, v5
	s_waitcnt lgkmcnt(0)
	v_add_u32_e32 v4, v5, v4
	v_cndmask_b32_e64 v2, v4, v2, s[0:1]
	ds_write_b32 v3, v2
	; wave barrier
	ds_read_b32 v4, v3 offset:4
	s_waitcnt lgkmcnt(0)
	v_add_u32_e32 v2, v4, v2
	ds_write_b32 v3, v2 offset:4
.LBB824_31:
	s_or_b64 exec, exec, s[24:25]
	v_mov_b32_e32 v26, 0
	s_waitcnt lgkmcnt(0)
	s_barrier
	s_and_saveexec_b64 s[4:5], s[2:3]
	s_cbranch_execz .LBB824_33
; %bb.32:
	v_add_u32_e32 v2, -1, v0
	v_lshrrev_b32_e32 v3, 5, v2
	v_add_lshl_u32 v2, v3, v2, 2
	ds_read_b32 v26, v2
.LBB824_33:
	s_or_b64 exec, exec, s[4:5]
	s_and_saveexec_b64 s[24:25], vcc
	s_cbranch_execz .LBB824_56
; %bb.34:
	v_mov_b32_e32 v11, 0
	ds_read_b32 v2, v11 offset:520
	v_mbcnt_lo_u32_b32 v3, -1, 0
	v_mbcnt_hi_u32_b32 v5, -1, v3
	s_mov_b32 s29, 0
	v_cmp_eq_u32_e64 s[4:5], 0, v5
	s_and_saveexec_b64 s[26:27], s[4:5]
	s_cbranch_execz .LBB824_36
; %bb.35:
	s_add_i32 s28, s36, 64
	s_lshl_b64 s[28:29], s[28:29], 3
	s_add_u32 s28, s6, s28
	v_mov_b32_e32 v3, 1
	s_addc_u32 s29, s7, s29
	s_waitcnt lgkmcnt(0)
	global_store_dwordx2 v11, v[2:3], s[28:29]
.LBB824_36:
	s_or_b64 exec, exec, s[26:27]
	v_xad_u32 v4, v5, -1, s36
	v_add_u32_e32 v10, 64, v4
	v_lshlrev_b64 v[6:7], 3, v[10:11]
	v_mov_b32_e32 v3, s7
	v_add_co_u32_e32 v6, vcc, s6, v6
	v_addc_co_u32_e32 v7, vcc, v3, v7, vcc
	global_load_dwordx2 v[8:9], v[6:7], off glc
	s_waitcnt vmcnt(0)
	v_cmp_eq_u16_sdwa s[28:29], v9, v11 src0_sel:BYTE_0 src1_sel:DWORD
	s_and_saveexec_b64 s[26:27], s[28:29]
	s_cbranch_execz .LBB824_42
; %bb.37:
	s_mov_b32 s37, 1
	s_mov_b64 s[28:29], 0
	v_mov_b32_e32 v3, 0
.LBB824_38:                             ; =>This Loop Header: Depth=1
                                        ;     Child Loop BB824_39 Depth 2
	s_max_u32 s38, s37, 1
.LBB824_39:                             ;   Parent Loop BB824_38 Depth=1
                                        ; =>  This Inner Loop Header: Depth=2
	s_add_i32 s38, s38, -1
	s_cmp_eq_u32 s38, 0
	s_sleep 1
	s_cbranch_scc0 .LBB824_39
; %bb.40:                               ;   in Loop: Header=BB824_38 Depth=1
	global_load_dwordx2 v[8:9], v[6:7], off glc
	s_cmp_lt_u32 s37, 32
	s_cselect_b64 s[38:39], -1, 0
	s_cmp_lg_u64 s[38:39], 0
	s_addc_u32 s37, s37, 0
	s_waitcnt vmcnt(0)
	v_cmp_ne_u16_sdwa s[38:39], v9, v3 src0_sel:BYTE_0 src1_sel:DWORD
	s_or_b64 s[28:29], s[38:39], s[28:29]
	s_andn2_b64 exec, exec, s[28:29]
	s_cbranch_execnz .LBB824_38
; %bb.41:
	s_or_b64 exec, exec, s[28:29]
.LBB824_42:
	s_or_b64 exec, exec, s[26:27]
	v_and_b32_e32 v27, 63, v5
	v_mov_b32_e32 v3, 2
	v_cmp_ne_u32_e32 vcc, 63, v27
	v_cmp_eq_u16_sdwa s[26:27], v9, v3 src0_sel:BYTE_0 src1_sel:DWORD
	v_lshlrev_b64 v[6:7], v5, -1
	v_addc_co_u32_e32 v28, vcc, 0, v5, vcc
	v_and_b32_e32 v10, s27, v7
	v_lshlrev_b32_e32 v28, 2, v28
	v_or_b32_e32 v10, 0x80000000, v10
	ds_bpermute_b32 v29, v28, v8
	v_and_b32_e32 v11, s26, v6
	v_ffbl_b32_e32 v10, v10
	v_add_u32_e32 v10, 32, v10
	v_ffbl_b32_e32 v11, v11
	v_min_u32_e32 v10, v11, v10
	v_cmp_lt_u32_e32 vcc, v27, v10
	s_waitcnt lgkmcnt(0)
	v_cndmask_b32_e32 v11, 0, v29, vcc
	v_cmp_gt_u32_e32 vcc, 62, v27
	v_add_u32_e32 v8, v11, v8
	v_cndmask_b32_e64 v11, 0, 1, vcc
	v_lshlrev_b32_e32 v11, 1, v11
	v_add_lshl_u32 v29, v11, v5, 2
	ds_bpermute_b32 v11, v29, v8
	v_add_u32_e32 v30, 2, v27
	v_cmp_le_u32_e32 vcc, v30, v10
	v_add_u32_e32 v32, 4, v27
	v_add_u32_e32 v34, 8, v27
	s_waitcnt lgkmcnt(0)
	v_cndmask_b32_e32 v11, 0, v11, vcc
	v_cmp_gt_u32_e32 vcc, 60, v27
	v_add_u32_e32 v8, v8, v11
	v_cndmask_b32_e64 v11, 0, 1, vcc
	v_lshlrev_b32_e32 v11, 2, v11
	v_add_lshl_u32 v31, v11, v5, 2
	ds_bpermute_b32 v11, v31, v8
	v_cmp_le_u32_e32 vcc, v32, v10
	v_add_u32_e32 v37, 16, v27
	v_add_u32_e32 v39, 32, v27
	s_waitcnt lgkmcnt(0)
	v_cndmask_b32_e32 v11, 0, v11, vcc
	v_cmp_gt_u32_e32 vcc, 56, v27
	v_add_u32_e32 v8, v8, v11
	v_cndmask_b32_e64 v11, 0, 1, vcc
	v_lshlrev_b32_e32 v11, 3, v11
	v_add_lshl_u32 v33, v11, v5, 2
	ds_bpermute_b32 v11, v33, v8
	v_cmp_le_u32_e32 vcc, v34, v10
	s_waitcnt lgkmcnt(0)
	v_cndmask_b32_e32 v11, 0, v11, vcc
	v_cmp_gt_u32_e32 vcc, 48, v27
	v_add_u32_e32 v8, v8, v11
	v_cndmask_b32_e64 v11, 0, 1, vcc
	v_lshlrev_b32_e32 v11, 4, v11
	v_add_lshl_u32 v36, v11, v5, 2
	ds_bpermute_b32 v11, v36, v8
	v_cmp_le_u32_e32 vcc, v37, v10
	;; [unrolled: 9-line block ×3, first 2 shown]
	s_waitcnt lgkmcnt(0)
	v_cndmask_b32_e32 v5, 0, v5, vcc
	v_add_u32_e32 v8, v8, v5
	v_mov_b32_e32 v5, 0
	s_branch .LBB824_44
.LBB824_43:                             ;   in Loop: Header=BB824_44 Depth=1
	s_or_b64 exec, exec, s[26:27]
	v_cmp_eq_u16_sdwa s[26:27], v9, v3 src0_sel:BYTE_0 src1_sel:DWORD
	v_and_b32_e32 v10, s27, v7
	v_or_b32_e32 v10, 0x80000000, v10
	ds_bpermute_b32 v40, v28, v8
	v_and_b32_e32 v11, s26, v6
	v_ffbl_b32_e32 v10, v10
	v_add_u32_e32 v10, 32, v10
	v_ffbl_b32_e32 v11, v11
	v_min_u32_e32 v10, v11, v10
	v_cmp_lt_u32_e32 vcc, v27, v10
	s_waitcnt lgkmcnt(0)
	v_cndmask_b32_e32 v11, 0, v40, vcc
	v_add_u32_e32 v8, v11, v8
	ds_bpermute_b32 v11, v29, v8
	v_cmp_le_u32_e32 vcc, v30, v10
	v_subrev_u32_e32 v4, 64, v4
	s_waitcnt lgkmcnt(0)
	v_cndmask_b32_e32 v11, 0, v11, vcc
	v_add_u32_e32 v8, v8, v11
	ds_bpermute_b32 v11, v31, v8
	v_cmp_le_u32_e32 vcc, v32, v10
	s_waitcnt lgkmcnt(0)
	v_cndmask_b32_e32 v11, 0, v11, vcc
	v_add_u32_e32 v8, v8, v11
	ds_bpermute_b32 v11, v33, v8
	v_cmp_le_u32_e32 vcc, v34, v10
	;; [unrolled: 5-line block ×4, first 2 shown]
	s_waitcnt lgkmcnt(0)
	v_cndmask_b32_e32 v10, 0, v11, vcc
	v_add3_u32 v8, v10, v35, v8
.LBB824_44:                             ; =>This Loop Header: Depth=1
                                        ;     Child Loop BB824_47 Depth 2
                                        ;       Child Loop BB824_48 Depth 3
	v_cmp_ne_u16_sdwa s[26:27], v9, v3 src0_sel:BYTE_0 src1_sel:DWORD
	v_cndmask_b32_e64 v9, 0, 1, s[26:27]
	;;#ASMSTART
	;;#ASMEND
	v_cmp_ne_u32_e32 vcc, 0, v9
	s_cmp_lg_u64 vcc, exec
	v_mov_b32_e32 v35, v8
	s_cbranch_scc1 .LBB824_51
; %bb.45:                               ;   in Loop: Header=BB824_44 Depth=1
	v_lshlrev_b64 v[8:9], 3, v[4:5]
	v_mov_b32_e32 v11, s7
	v_add_co_u32_e32 v10, vcc, s6, v8
	v_addc_co_u32_e32 v11, vcc, v11, v9, vcc
	global_load_dwordx2 v[8:9], v[10:11], off glc
	s_waitcnt vmcnt(0)
	v_cmp_eq_u16_sdwa s[28:29], v9, v5 src0_sel:BYTE_0 src1_sel:DWORD
	s_and_saveexec_b64 s[26:27], s[28:29]
	s_cbranch_execz .LBB824_43
; %bb.46:                               ;   in Loop: Header=BB824_44 Depth=1
	s_mov_b32 s37, 1
	s_mov_b64 s[28:29], 0
.LBB824_47:                             ;   Parent Loop BB824_44 Depth=1
                                        ; =>  This Loop Header: Depth=2
                                        ;       Child Loop BB824_48 Depth 3
	s_max_u32 s38, s37, 1
.LBB824_48:                             ;   Parent Loop BB824_44 Depth=1
                                        ;     Parent Loop BB824_47 Depth=2
                                        ; =>    This Inner Loop Header: Depth=3
	s_add_i32 s38, s38, -1
	s_cmp_eq_u32 s38, 0
	s_sleep 1
	s_cbranch_scc0 .LBB824_48
; %bb.49:                               ;   in Loop: Header=BB824_47 Depth=2
	global_load_dwordx2 v[8:9], v[10:11], off glc
	s_cmp_lt_u32 s37, 32
	s_cselect_b64 s[38:39], -1, 0
	s_cmp_lg_u64 s[38:39], 0
	s_addc_u32 s37, s37, 0
	s_waitcnt vmcnt(0)
	v_cmp_ne_u16_sdwa s[38:39], v9, v5 src0_sel:BYTE_0 src1_sel:DWORD
	s_or_b64 s[28:29], s[38:39], s[28:29]
	s_andn2_b64 exec, exec, s[28:29]
	s_cbranch_execnz .LBB824_47
; %bb.50:                               ;   in Loop: Header=BB824_44 Depth=1
	s_or_b64 exec, exec, s[28:29]
	s_branch .LBB824_43
.LBB824_51:                             ;   in Loop: Header=BB824_44 Depth=1
                                        ; implicit-def: $vgpr8
                                        ; implicit-def: $vgpr9
	s_cbranch_execz .LBB824_44
; %bb.52:
	s_and_saveexec_b64 s[26:27], s[4:5]
	s_cbranch_execz .LBB824_54
; %bb.53:
	s_add_i32 s4, s36, 64
	s_mov_b32 s5, 0
	s_lshl_b64 s[4:5], s[4:5], 3
	s_add_u32 s4, s6, s4
	v_add_u32_e32 v2, v35, v2
	v_mov_b32_e32 v3, 2
	s_addc_u32 s5, s7, s5
	v_mov_b32_e32 v4, 0
	global_store_dwordx2 v4, v[2:3], s[4:5]
.LBB824_54:
	s_or_b64 exec, exec, s[26:27]
	s_and_b64 exec, exec, s[0:1]
	s_cbranch_execz .LBB824_56
; %bb.55:
	v_mov_b32_e32 v2, 0
	ds_write_b32 v2, v35
.LBB824_56:
	s_or_b64 exec, exec, s[24:25]
	v_mov_b32_e32 v2, 0
	s_waitcnt lgkmcnt(0)
	s_barrier
	ds_read_b32 v2, v2
	s_waitcnt lgkmcnt(0)
	v_add_u32_e32 v2, v2, v26
	v_add_u32_e32 v3, v2, v16
	;; [unrolled: 1-line block ×10, first 2 shown]
	s_branch .LBB824_67
.LBB824_57:
                                        ; implicit-def: $vgpr2_vgpr3_vgpr4_vgpr5_vgpr6_vgpr7_vgpr8_vgpr9_vgpr10_vgpr11
	s_cbranch_execz .LBB824_67
; %bb.58:
	s_cmp_eq_u64 s[12:13], 0
	v_mov_b32_e32 v26, s33
	s_cbranch_scc1 .LBB824_60
; %bb.59:
	v_mov_b32_e32 v3, s35
	v_add_co_u32_e64 v2, vcc, -4, s34
	v_addc_co_u32_e32 v3, vcc, -1, v3, vcc
	v_mov_b32_e32 v4, 0
	flat_load_dword v5, v[2:3]
	global_load_dword v6, v4, s[8:9]
	s_waitcnt vmcnt(0) lgkmcnt(0)
	v_add_u32_e32 v26, v6, v5
.LBB824_60:
	v_add3_u32 v2, v25, v12, v13
	v_add3_u32 v2, v2, v14, v15
	;; [unrolled: 1-line block ×3, first 2 shown]
	v_add_lshl_u32 v3, v24, v0, 2
	v_cmp_gt_u32_e32 vcc, 64, v0
	ds_write_b32 v3, v2
	s_waitcnt lgkmcnt(0)
	s_barrier
	s_and_saveexec_b64 s[4:5], vcc
	s_cbranch_execz .LBB824_62
; %bb.61:
	v_lshlrev_b32_e32 v3, 1, v0
	v_lshrrev_b32_e32 v4, 4, v0
	v_add_lshl_u32 v3, v4, v3, 2
	ds_read2_b32 v[4:5], v3 offset1:1
	v_mbcnt_lo_u32_b32 v6, -1, 0
	v_mbcnt_hi_u32_b32 v6, -1, v6
	v_and_b32_e32 v7, 15, v6
	v_cmp_ne_u32_e32 vcc, 0, v7
	s_waitcnt lgkmcnt(0)
	v_add_u32_e32 v5, v5, v4
	; wave barrier
	s_nop 1
	v_mov_b32_dpp v8, v5 row_shr:1 row_mask:0xf bank_mask:0xf
	v_cndmask_b32_e32 v8, 0, v8, vcc
	v_add_u32_e32 v5, v8, v5
	v_cmp_lt_u32_e32 vcc, 1, v7
	s_nop 0
	v_mov_b32_dpp v8, v5 row_shr:2 row_mask:0xf bank_mask:0xf
	v_cndmask_b32_e32 v8, 0, v8, vcc
	v_add_u32_e32 v5, v5, v8
	v_cmp_lt_u32_e32 vcc, 3, v7
	;; [unrolled: 5-line block ×3, first 2 shown]
	s_nop 0
	v_mov_b32_dpp v8, v5 row_shr:8 row_mask:0xf bank_mask:0xf
	v_cndmask_b32_e32 v7, 0, v8, vcc
	v_add_u32_e32 v5, v5, v7
	v_bfe_i32 v8, v6, 4, 1
	v_cmp_lt_u32_e32 vcc, 31, v6
	v_mov_b32_dpp v7, v5 row_bcast:15 row_mask:0xf bank_mask:0xf
	v_and_b32_e32 v7, v8, v7
	v_add_u32_e32 v5, v5, v7
	v_and_b32_e32 v8, 64, v6
	s_nop 0
	v_mov_b32_dpp v7, v5 row_bcast:31 row_mask:0xf bank_mask:0xf
	v_cndmask_b32_e32 v7, 0, v7, vcc
	v_add_u32_e32 v5, v5, v7
	v_add_u32_e32 v7, -1, v6
	v_cmp_lt_i32_e32 vcc, v7, v8
	v_cndmask_b32_e32 v6, v7, v6, vcc
	v_lshlrev_b32_e32 v6, 2, v6
	ds_bpermute_b32 v5, v6, v5
	s_waitcnt lgkmcnt(0)
	v_add_u32_e32 v4, v5, v4
	v_cndmask_b32_e64 v2, v4, v2, s[0:1]
	ds_write_b32 v3, v2
	; wave barrier
	ds_read_b32 v4, v3 offset:4
	s_waitcnt lgkmcnt(0)
	v_add_u32_e32 v2, v4, v2
	ds_write_b32 v3, v2 offset:4
.LBB824_62:
	s_or_b64 exec, exec, s[4:5]
	v_mov_b32_e32 v2, v26
	s_waitcnt lgkmcnt(0)
	s_barrier
	s_and_saveexec_b64 s[4:5], s[2:3]
	s_cbranch_execz .LBB824_64
; %bb.63:
	v_add_u32_e32 v2, -1, v0
	v_lshrrev_b32_e32 v3, 5, v2
	v_add_lshl_u32 v2, v3, v2, 2
	ds_read_b32 v2, v2
	s_waitcnt lgkmcnt(0)
	v_add_u32_e32 v2, v2, v26
.LBB824_64:
	s_or_b64 exec, exec, s[4:5]
	v_add_u32_e32 v3, v2, v16
	v_add_u32_e32 v4, v3, v17
	;; [unrolled: 1-line block ×9, first 2 shown]
	s_and_saveexec_b64 s[2:3], s[0:1]
	s_cbranch_execz .LBB824_66
; %bb.65:
	v_mov_b32_e32 v14, 0
	ds_read_b32 v12, v14 offset:520
	v_mov_b32_e32 v13, 2
	s_waitcnt lgkmcnt(0)
	v_add_u32_e32 v12, v12, v26
	global_store_dwordx2 v14, v[12:13], s[6:7] offset:512
.LBB824_66:
	s_or_b64 exec, exec, s[2:3]
.LBB824_67:
	s_add_u32 s0, s20, s18
	s_addc_u32 s1, s21, s19
	s_add_u32 s2, s0, s22
	s_addc_u32 s3, s1, s23
	s_mov_b64 s[0:1], -1
	s_and_b64 vcc, exec, s[16:17]
	s_barrier
	s_cbranch_vccz .LBB824_69
; %bb.68:
	ds_write2_b64 v1, v[2:3], v[4:5] offset1:1
	ds_write2_b64 v1, v[6:7], v[8:9] offset0:2 offset1:3
	ds_write_b64 v1, v[10:11] offset:32
	s_waitcnt lgkmcnt(0)
	s_barrier
	ds_read2st64_b32 v[12:13], v22 offset1:2
	ds_read2st64_b32 v[14:15], v22 offset0:4 offset1:6
	ds_read2st64_b32 v[16:17], v22 offset0:8 offset1:10
	;; [unrolled: 1-line block ×4, first 2 shown]
	v_mov_b32_e32 v25, s3
	v_add_co_u32_e32 v24, vcc, s2, v22
	v_addc_co_u32_e32 v25, vcc, 0, v25, vcc
	s_waitcnt lgkmcnt(4)
	flat_store_dword v[24:25], v12
	flat_store_dword v[24:25], v13 offset:512
	s_waitcnt lgkmcnt(0)
	flat_store_dword v[24:25], v14 offset:1024
	flat_store_dword v[24:25], v15 offset:1536
	;; [unrolled: 1-line block ×6, first 2 shown]
	v_add_co_u32_e32 v12, vcc, 0x1000, v24
	v_addc_co_u32_e32 v13, vcc, 0, v25, vcc
	flat_store_dword v[12:13], v20
	flat_store_dword v[12:13], v21 offset:512
	s_mov_b64 s[0:1], 0
.LBB824_69:
	s_andn2_b64 vcc, exec, s[0:1]
	s_cbranch_vccnz .LBB824_125
; %bb.70:
	ds_write2_b64 v1, v[2:3], v[4:5] offset1:1
	ds_write2_b64 v1, v[6:7], v[8:9] offset0:2 offset1:3
	ds_write_b64 v1, v[10:11] offset:32
	s_waitcnt lgkmcnt(0)
	s_barrier
	ds_read2st64_b32 v[2:3], v22 offset1:2
	ds_read2st64_b32 v[6:7], v22 offset0:4 offset1:6
	ds_read2st64_b32 v[4:5], v22 offset0:8 offset1:10
	ds_read2st64_b32 v[8:9], v22 offset0:12 offset1:14
	ds_read2st64_b32 v[10:11], v22 offset0:16 offset1:18
	v_mov_b32_e32 v13, s3
	v_add_co_u32_e32 v12, vcc, s2, v22
	v_addc_co_u32_e32 v13, vcc, 0, v13, vcc
	v_mov_b32_e32 v1, 0
	v_cmp_gt_u32_e32 vcc, s30, v0
	s_and_saveexec_b64 s[0:1], vcc
	s_cbranch_execz .LBB824_72
; %bb.71:
	s_waitcnt lgkmcnt(0)
	flat_store_dword v[12:13], v2
.LBB824_72:
	s_or_b64 exec, exec, s[0:1]
	v_or_b32_e32 v14, 0x80, v0
	v_cmp_gt_u32_e32 vcc, s30, v14
	s_and_saveexec_b64 s[0:1], vcc
	s_cbranch_execz .LBB824_74
; %bb.73:
	s_waitcnt lgkmcnt(0)
	flat_store_dword v[12:13], v3 offset:512
.LBB824_74:
	s_or_b64 exec, exec, s[0:1]
	v_or_b32_e32 v14, 0x100, v0
	v_cmp_gt_u32_e32 vcc, s30, v14
	s_and_saveexec_b64 s[0:1], vcc
	s_cbranch_execz .LBB824_76
; %bb.75:
	s_waitcnt lgkmcnt(0)
	flat_store_dword v[12:13], v6 offset:1024
.LBB824_76:
	;; [unrolled: 9-line block ×7, first 2 shown]
	s_or_b64 exec, exec, s[0:1]
	v_or_b32_e32 v14, 0x400, v0
	v_cmp_gt_u32_e32 vcc, s30, v14
	s_and_saveexec_b64 s[0:1], vcc
	s_cbranch_execz .LBB824_88
; %bb.87:
	v_add_co_u32_e32 v14, vcc, 0x1000, v12
	v_addc_co_u32_e32 v15, vcc, 0, v13, vcc
	s_waitcnt lgkmcnt(0)
	flat_store_dword v[14:15], v10
.LBB824_88:
	s_or_b64 exec, exec, s[0:1]
	v_or_b32_e32 v14, 0x480, v0
	v_cmp_gt_u32_e32 vcc, s30, v14
	s_and_saveexec_b64 s[0:1], vcc
	s_cbranch_execz .LBB824_90
; %bb.89:
	v_add_co_u32_e32 v12, vcc, 0x1000, v12
	v_addc_co_u32_e32 v13, vcc, 0, v13, vcc
	s_waitcnt lgkmcnt(0)
	flat_store_dword v[12:13], v11 offset:512
.LBB824_90:
	s_or_b64 exec, exec, s[0:1]
	v_cmp_lt_u64_e64 s[0:1], s[14:15], 2
	s_and_b64 vcc, exec, s[0:1]
	s_cbranch_vccnz .LBB824_125
; %bb.91:
	s_add_u32 s0, s30, -1
	s_addc_u32 s1, s31, -1
	s_add_u32 s2, 0, 0x99986000
	s_addc_u32 s3, 0, 0x59
	s_add_i32 s3, s3, 0x19999940
	s_mul_hi_u32 s7, s2, -10
	s_sub_i32 s7, s7, s2
	s_mul_i32 s8, s3, -10
	s_mul_i32 s4, s2, -10
	s_add_i32 s7, s7, s8
	s_mul_hi_u32 s5, s3, s4
	s_mul_i32 s6, s3, s4
	s_mul_i32 s9, s2, s7
	s_mul_hi_u32 s4, s2, s4
	s_mul_hi_u32 s8, s2, s7
	s_add_u32 s4, s4, s9
	s_addc_u32 s8, 0, s8
	s_add_u32 s4, s4, s6
	s_mul_hi_u32 s9, s3, s7
	s_addc_u32 s4, s8, s5
	s_addc_u32 s5, s9, 0
	s_mul_i32 s6, s3, s7
	s_add_u32 s4, s4, s6
	v_mov_b32_e32 v12, s4
	s_addc_u32 s5, 0, s5
	v_add_co_u32_e32 v12, vcc, s2, v12
	s_cmp_lg_u64 vcc, 0
	s_addc_u32 s2, s3, s5
	v_readfirstlane_b32 s5, v12
	s_mul_i32 s4, s0, s2
	s_mul_hi_u32 s6, s0, s5
	s_mul_hi_u32 s3, s0, s2
	s_add_u32 s4, s6, s4
	s_addc_u32 s3, 0, s3
	s_mul_hi_u32 s7, s1, s5
	s_mul_i32 s5, s1, s5
	s_add_u32 s4, s4, s5
	s_mul_hi_u32 s6, s1, s2
	s_addc_u32 s3, s3, s7
	s_addc_u32 s4, s6, 0
	s_mul_i32 s2, s1, s2
	s_add_u32 s2, s3, s2
	s_addc_u32 s3, 0, s4
	s_add_u32 s4, s2, 1
	s_addc_u32 s5, s3, 0
	s_add_u32 s6, s2, 2
	s_mul_i32 s8, s3, 10
	s_mul_hi_u32 s9, s2, 10
	s_addc_u32 s7, s3, 0
	s_add_i32 s9, s9, s8
	s_mul_i32 s8, s2, 10
	v_mov_b32_e32 v12, s8
	v_sub_co_u32_e32 v12, vcc, s0, v12
	s_cmp_lg_u64 vcc, 0
	s_subb_u32 s8, s1, s9
	v_subrev_co_u32_e32 v13, vcc, 10, v12
	s_cmp_lg_u64 vcc, 0
	s_subb_u32 s9, s8, 0
	v_readfirstlane_b32 s12, v13
	s_cmp_gt_u32 s12, 9
	s_cselect_b32 s12, -1, 0
	s_cmp_eq_u32 s9, 0
	s_cselect_b32 s9, s12, -1
	s_cmp_lg_u32 s9, 0
	s_cselect_b32 s4, s6, s4
	v_readfirstlane_b32 s6, v12
	s_cselect_b32 s5, s7, s5
	s_cmp_gt_u32 s6, 9
	s_cselect_b32 s6, -1, 0
	s_cmp_eq_u32 s8, 0
	s_cselect_b32 s6, s6, -1
	s_cmp_lg_u32 s6, 0
	s_cselect_b32 s3, s5, s3
	s_cselect_b32 s2, s4, s2
	v_cmp_eq_u64_e32 vcc, s[2:3], v[0:1]
	s_and_saveexec_b64 s[2:3], vcc
	s_cbranch_execz .LBB824_125
; %bb.92:
	v_mul_hi_u32_u24_e32 v1, 10, v0
	v_mov_b32_e32 v12, s1
	v_sub_co_u32_e32 v0, vcc, s0, v23
	v_subb_co_u32_e32 v1, vcc, v12, v1, vcc
	v_cmp_lt_i64_e32 vcc, 4, v[0:1]
	s_and_saveexec_b64 s[0:1], vcc
	s_xor_b64 s[0:1], exec, s[0:1]
	s_cbranch_execz .LBB824_110
; %bb.93:
	v_cmp_lt_i64_e32 vcc, 6, v[0:1]
	s_and_saveexec_b64 s[2:3], vcc
	s_xor_b64 s[2:3], exec, s[2:3]
	s_cbranch_execz .LBB824_103
; %bb.94:
	;; [unrolled: 5-line block ×4, first 2 shown]
	v_mov_b32_e32 v0, 0
	s_waitcnt lgkmcnt(0)
	global_store_dword v0, v11, s[10:11]
                                        ; implicit-def: $vgpr10_vgpr11
.LBB824_97:
	s_andn2_saveexec_b64 s[6:7], s[6:7]
	s_cbranch_execz .LBB824_99
; %bb.98:
	v_mov_b32_e32 v0, 0
	s_waitcnt lgkmcnt(0)
	global_store_dword v0, v10, s[10:11]
.LBB824_99:
	s_or_b64 exec, exec, s[6:7]
                                        ; implicit-def: $vgpr8_vgpr9
.LBB824_100:
	s_andn2_saveexec_b64 s[4:5], s[4:5]
	s_cbranch_execz .LBB824_102
; %bb.101:
	v_mov_b32_e32 v0, 0
	s_waitcnt lgkmcnt(0)
	global_store_dword v0, v9, s[10:11]
.LBB824_102:
	s_or_b64 exec, exec, s[4:5]
                                        ; implicit-def: $vgpr4_vgpr5
                                        ; implicit-def: $vgpr0_vgpr1
                                        ; implicit-def: $vgpr8_vgpr9
.LBB824_103:
	s_andn2_saveexec_b64 s[2:3], s[2:3]
	s_cbranch_execz .LBB824_109
; %bb.104:
	v_cmp_lt_i64_e32 vcc, 5, v[0:1]
	s_and_saveexec_b64 s[4:5], vcc
	s_xor_b64 s[4:5], exec, s[4:5]
	s_cbranch_execz .LBB824_106
; %bb.105:
	v_mov_b32_e32 v0, 0
	s_waitcnt lgkmcnt(0)
	global_store_dword v0, v8, s[10:11]
                                        ; implicit-def: $vgpr4_vgpr5
.LBB824_106:
	s_andn2_saveexec_b64 s[4:5], s[4:5]
	s_cbranch_execz .LBB824_108
; %bb.107:
	v_mov_b32_e32 v0, 0
	s_waitcnt lgkmcnt(0)
	global_store_dword v0, v5, s[10:11]
.LBB824_108:
	s_or_b64 exec, exec, s[4:5]
.LBB824_109:
	s_or_b64 exec, exec, s[2:3]
                                        ; implicit-def: $vgpr0_vgpr1
                                        ; implicit-def: $vgpr6_vgpr7
                                        ; implicit-def: $vgpr2_vgpr3
                                        ; implicit-def: $vgpr4_vgpr5
.LBB824_110:
	s_andn2_saveexec_b64 s[0:1], s[0:1]
	s_cbranch_execz .LBB824_125
; %bb.111:
	v_cmp_lt_i64_e32 vcc, 2, v[0:1]
	s_and_saveexec_b64 s[0:1], vcc
	s_xor_b64 s[0:1], exec, s[0:1]
	s_cbranch_execz .LBB824_117
; %bb.112:
	v_cmp_lt_i64_e32 vcc, 3, v[0:1]
	s_and_saveexec_b64 s[2:3], vcc
	s_xor_b64 s[2:3], exec, s[2:3]
	s_cbranch_execz .LBB824_114
; %bb.113:
	v_mov_b32_e32 v0, 0
	s_waitcnt lgkmcnt(0)
	global_store_dword v0, v4, s[10:11]
                                        ; implicit-def: $vgpr6_vgpr7
.LBB824_114:
	s_andn2_saveexec_b64 s[2:3], s[2:3]
	s_cbranch_execz .LBB824_116
; %bb.115:
	v_mov_b32_e32 v0, 0
	s_waitcnt lgkmcnt(0)
	global_store_dword v0, v7, s[10:11]
.LBB824_116:
	s_or_b64 exec, exec, s[2:3]
                                        ; implicit-def: $vgpr0_vgpr1
                                        ; implicit-def: $vgpr6_vgpr7
                                        ; implicit-def: $vgpr2_vgpr3
.LBB824_117:
	s_andn2_saveexec_b64 s[0:1], s[0:1]
	s_cbranch_execz .LBB824_125
; %bb.118:
	v_cmp_lt_i64_e32 vcc, 1, v[0:1]
	s_and_saveexec_b64 s[0:1], vcc
	s_xor_b64 s[0:1], exec, s[0:1]
	s_cbranch_execz .LBB824_120
; %bb.119:
	v_mov_b32_e32 v0, 0
	s_waitcnt lgkmcnt(0)
	global_store_dword v0, v6, s[10:11]
                                        ; implicit-def: $vgpr2_vgpr3
                                        ; implicit-def: $vgpr0_vgpr1
.LBB824_120:
	s_andn2_saveexec_b64 s[0:1], s[0:1]
	s_cbranch_execz .LBB824_125
; %bb.121:
	v_cmp_ne_u64_e32 vcc, 1, v[0:1]
	s_and_saveexec_b64 s[0:1], vcc
	s_xor_b64 s[0:1], exec, s[0:1]
	s_cbranch_execz .LBB824_123
; %bb.122:
	v_mov_b32_e32 v0, 0
	s_waitcnt lgkmcnt(0)
	global_store_dword v0, v2, s[10:11]
                                        ; implicit-def: $vgpr2_vgpr3
.LBB824_123:
	s_andn2_saveexec_b64 s[0:1], s[0:1]
	s_cbranch_execz .LBB824_125
; %bb.124:
	v_mov_b32_e32 v0, 0
	s_waitcnt lgkmcnt(0)
	global_store_dword v0, v3, s[10:11]
.LBB824_125:
	s_endpgm
	.section	.rodata,"a",@progbits
	.p2align	6, 0x0
	.amdhsa_kernel _ZN7rocprim17ROCPRIM_400000_NS6detail17trampoline_kernelINS0_14default_configENS1_20scan_config_selectorIiEEZZNS1_9scan_implILNS1_25lookback_scan_determinismE0ELb1ELb1ES3_N6thrust23THRUST_200600_302600_NS6detail15normal_iteratorINS9_10device_ptrIiEEEESE_iNS9_4plusIvEEiEEDaPvRmT3_T4_T5_mT6_P12ihipStream_tbENKUlT_T0_E_clISt17integral_constantIbLb1EESU_EEDaSP_SQ_EUlSP_E_NS1_11comp_targetILNS1_3genE4ELNS1_11target_archE910ELNS1_3gpuE8ELNS1_3repE0EEENS1_30default_config_static_selectorELNS0_4arch9wavefront6targetE1EEEvT1_
		.amdhsa_group_segment_fixed_size 5120
		.amdhsa_private_segment_fixed_size 0
		.amdhsa_kernarg_size 96
		.amdhsa_user_sgpr_count 6
		.amdhsa_user_sgpr_private_segment_buffer 1
		.amdhsa_user_sgpr_dispatch_ptr 0
		.amdhsa_user_sgpr_queue_ptr 0
		.amdhsa_user_sgpr_kernarg_segment_ptr 1
		.amdhsa_user_sgpr_dispatch_id 0
		.amdhsa_user_sgpr_flat_scratch_init 0
		.amdhsa_user_sgpr_kernarg_preload_length 0
		.amdhsa_user_sgpr_kernarg_preload_offset 0
		.amdhsa_user_sgpr_private_segment_size 0
		.amdhsa_uses_dynamic_stack 0
		.amdhsa_system_sgpr_private_segment_wavefront_offset 0
		.amdhsa_system_sgpr_workgroup_id_x 1
		.amdhsa_system_sgpr_workgroup_id_y 0
		.amdhsa_system_sgpr_workgroup_id_z 0
		.amdhsa_system_sgpr_workgroup_info 0
		.amdhsa_system_vgpr_workitem_id 0
		.amdhsa_next_free_vgpr 41
		.amdhsa_next_free_sgpr 40
		.amdhsa_accum_offset 44
		.amdhsa_reserve_vcc 1
		.amdhsa_reserve_flat_scratch 0
		.amdhsa_float_round_mode_32 0
		.amdhsa_float_round_mode_16_64 0
		.amdhsa_float_denorm_mode_32 3
		.amdhsa_float_denorm_mode_16_64 3
		.amdhsa_dx10_clamp 1
		.amdhsa_ieee_mode 1
		.amdhsa_fp16_overflow 0
		.amdhsa_tg_split 0
		.amdhsa_exception_fp_ieee_invalid_op 0
		.amdhsa_exception_fp_denorm_src 0
		.amdhsa_exception_fp_ieee_div_zero 0
		.amdhsa_exception_fp_ieee_overflow 0
		.amdhsa_exception_fp_ieee_underflow 0
		.amdhsa_exception_fp_ieee_inexact 0
		.amdhsa_exception_int_div_zero 0
	.end_amdhsa_kernel
	.section	.text._ZN7rocprim17ROCPRIM_400000_NS6detail17trampoline_kernelINS0_14default_configENS1_20scan_config_selectorIiEEZZNS1_9scan_implILNS1_25lookback_scan_determinismE0ELb1ELb1ES3_N6thrust23THRUST_200600_302600_NS6detail15normal_iteratorINS9_10device_ptrIiEEEESE_iNS9_4plusIvEEiEEDaPvRmT3_T4_T5_mT6_P12ihipStream_tbENKUlT_T0_E_clISt17integral_constantIbLb1EESU_EEDaSP_SQ_EUlSP_E_NS1_11comp_targetILNS1_3genE4ELNS1_11target_archE910ELNS1_3gpuE8ELNS1_3repE0EEENS1_30default_config_static_selectorELNS0_4arch9wavefront6targetE1EEEvT1_,"axG",@progbits,_ZN7rocprim17ROCPRIM_400000_NS6detail17trampoline_kernelINS0_14default_configENS1_20scan_config_selectorIiEEZZNS1_9scan_implILNS1_25lookback_scan_determinismE0ELb1ELb1ES3_N6thrust23THRUST_200600_302600_NS6detail15normal_iteratorINS9_10device_ptrIiEEEESE_iNS9_4plusIvEEiEEDaPvRmT3_T4_T5_mT6_P12ihipStream_tbENKUlT_T0_E_clISt17integral_constantIbLb1EESU_EEDaSP_SQ_EUlSP_E_NS1_11comp_targetILNS1_3genE4ELNS1_11target_archE910ELNS1_3gpuE8ELNS1_3repE0EEENS1_30default_config_static_selectorELNS0_4arch9wavefront6targetE1EEEvT1_,comdat
.Lfunc_end824:
	.size	_ZN7rocprim17ROCPRIM_400000_NS6detail17trampoline_kernelINS0_14default_configENS1_20scan_config_selectorIiEEZZNS1_9scan_implILNS1_25lookback_scan_determinismE0ELb1ELb1ES3_N6thrust23THRUST_200600_302600_NS6detail15normal_iteratorINS9_10device_ptrIiEEEESE_iNS9_4plusIvEEiEEDaPvRmT3_T4_T5_mT6_P12ihipStream_tbENKUlT_T0_E_clISt17integral_constantIbLb1EESU_EEDaSP_SQ_EUlSP_E_NS1_11comp_targetILNS1_3genE4ELNS1_11target_archE910ELNS1_3gpuE8ELNS1_3repE0EEENS1_30default_config_static_selectorELNS0_4arch9wavefront6targetE1EEEvT1_, .Lfunc_end824-_ZN7rocprim17ROCPRIM_400000_NS6detail17trampoline_kernelINS0_14default_configENS1_20scan_config_selectorIiEEZZNS1_9scan_implILNS1_25lookback_scan_determinismE0ELb1ELb1ES3_N6thrust23THRUST_200600_302600_NS6detail15normal_iteratorINS9_10device_ptrIiEEEESE_iNS9_4plusIvEEiEEDaPvRmT3_T4_T5_mT6_P12ihipStream_tbENKUlT_T0_E_clISt17integral_constantIbLb1EESU_EEDaSP_SQ_EUlSP_E_NS1_11comp_targetILNS1_3genE4ELNS1_11target_archE910ELNS1_3gpuE8ELNS1_3repE0EEENS1_30default_config_static_selectorELNS0_4arch9wavefront6targetE1EEEvT1_
                                        ; -- End function
	.section	.AMDGPU.csdata,"",@progbits
; Kernel info:
; codeLenInByte = 4576
; NumSgprs: 44
; NumVgprs: 41
; NumAgprs: 0
; TotalNumVgprs: 41
; ScratchSize: 0
; MemoryBound: 0
; FloatMode: 240
; IeeeMode: 1
; LDSByteSize: 5120 bytes/workgroup (compile time only)
; SGPRBlocks: 5
; VGPRBlocks: 5
; NumSGPRsForWavesPerEU: 44
; NumVGPRsForWavesPerEU: 41
; AccumOffset: 44
; Occupancy: 6
; WaveLimiterHint : 1
; COMPUTE_PGM_RSRC2:SCRATCH_EN: 0
; COMPUTE_PGM_RSRC2:USER_SGPR: 6
; COMPUTE_PGM_RSRC2:TRAP_HANDLER: 0
; COMPUTE_PGM_RSRC2:TGID_X_EN: 1
; COMPUTE_PGM_RSRC2:TGID_Y_EN: 0
; COMPUTE_PGM_RSRC2:TGID_Z_EN: 0
; COMPUTE_PGM_RSRC2:TIDIG_COMP_CNT: 0
; COMPUTE_PGM_RSRC3_GFX90A:ACCUM_OFFSET: 10
; COMPUTE_PGM_RSRC3_GFX90A:TG_SPLIT: 0
	.section	.text._ZN7rocprim17ROCPRIM_400000_NS6detail17trampoline_kernelINS0_14default_configENS1_20scan_config_selectorIiEEZZNS1_9scan_implILNS1_25lookback_scan_determinismE0ELb1ELb1ES3_N6thrust23THRUST_200600_302600_NS6detail15normal_iteratorINS9_10device_ptrIiEEEESE_iNS9_4plusIvEEiEEDaPvRmT3_T4_T5_mT6_P12ihipStream_tbENKUlT_T0_E_clISt17integral_constantIbLb1EESU_EEDaSP_SQ_EUlSP_E_NS1_11comp_targetILNS1_3genE3ELNS1_11target_archE908ELNS1_3gpuE7ELNS1_3repE0EEENS1_30default_config_static_selectorELNS0_4arch9wavefront6targetE1EEEvT1_,"axG",@progbits,_ZN7rocprim17ROCPRIM_400000_NS6detail17trampoline_kernelINS0_14default_configENS1_20scan_config_selectorIiEEZZNS1_9scan_implILNS1_25lookback_scan_determinismE0ELb1ELb1ES3_N6thrust23THRUST_200600_302600_NS6detail15normal_iteratorINS9_10device_ptrIiEEEESE_iNS9_4plusIvEEiEEDaPvRmT3_T4_T5_mT6_P12ihipStream_tbENKUlT_T0_E_clISt17integral_constantIbLb1EESU_EEDaSP_SQ_EUlSP_E_NS1_11comp_targetILNS1_3genE3ELNS1_11target_archE908ELNS1_3gpuE7ELNS1_3repE0EEENS1_30default_config_static_selectorELNS0_4arch9wavefront6targetE1EEEvT1_,comdat
	.protected	_ZN7rocprim17ROCPRIM_400000_NS6detail17trampoline_kernelINS0_14default_configENS1_20scan_config_selectorIiEEZZNS1_9scan_implILNS1_25lookback_scan_determinismE0ELb1ELb1ES3_N6thrust23THRUST_200600_302600_NS6detail15normal_iteratorINS9_10device_ptrIiEEEESE_iNS9_4plusIvEEiEEDaPvRmT3_T4_T5_mT6_P12ihipStream_tbENKUlT_T0_E_clISt17integral_constantIbLb1EESU_EEDaSP_SQ_EUlSP_E_NS1_11comp_targetILNS1_3genE3ELNS1_11target_archE908ELNS1_3gpuE7ELNS1_3repE0EEENS1_30default_config_static_selectorELNS0_4arch9wavefront6targetE1EEEvT1_ ; -- Begin function _ZN7rocprim17ROCPRIM_400000_NS6detail17trampoline_kernelINS0_14default_configENS1_20scan_config_selectorIiEEZZNS1_9scan_implILNS1_25lookback_scan_determinismE0ELb1ELb1ES3_N6thrust23THRUST_200600_302600_NS6detail15normal_iteratorINS9_10device_ptrIiEEEESE_iNS9_4plusIvEEiEEDaPvRmT3_T4_T5_mT6_P12ihipStream_tbENKUlT_T0_E_clISt17integral_constantIbLb1EESU_EEDaSP_SQ_EUlSP_E_NS1_11comp_targetILNS1_3genE3ELNS1_11target_archE908ELNS1_3gpuE7ELNS1_3repE0EEENS1_30default_config_static_selectorELNS0_4arch9wavefront6targetE1EEEvT1_
	.globl	_ZN7rocprim17ROCPRIM_400000_NS6detail17trampoline_kernelINS0_14default_configENS1_20scan_config_selectorIiEEZZNS1_9scan_implILNS1_25lookback_scan_determinismE0ELb1ELb1ES3_N6thrust23THRUST_200600_302600_NS6detail15normal_iteratorINS9_10device_ptrIiEEEESE_iNS9_4plusIvEEiEEDaPvRmT3_T4_T5_mT6_P12ihipStream_tbENKUlT_T0_E_clISt17integral_constantIbLb1EESU_EEDaSP_SQ_EUlSP_E_NS1_11comp_targetILNS1_3genE3ELNS1_11target_archE908ELNS1_3gpuE7ELNS1_3repE0EEENS1_30default_config_static_selectorELNS0_4arch9wavefront6targetE1EEEvT1_
	.p2align	8
	.type	_ZN7rocprim17ROCPRIM_400000_NS6detail17trampoline_kernelINS0_14default_configENS1_20scan_config_selectorIiEEZZNS1_9scan_implILNS1_25lookback_scan_determinismE0ELb1ELb1ES3_N6thrust23THRUST_200600_302600_NS6detail15normal_iteratorINS9_10device_ptrIiEEEESE_iNS9_4plusIvEEiEEDaPvRmT3_T4_T5_mT6_P12ihipStream_tbENKUlT_T0_E_clISt17integral_constantIbLb1EESU_EEDaSP_SQ_EUlSP_E_NS1_11comp_targetILNS1_3genE3ELNS1_11target_archE908ELNS1_3gpuE7ELNS1_3repE0EEENS1_30default_config_static_selectorELNS0_4arch9wavefront6targetE1EEEvT1_,@function
_ZN7rocprim17ROCPRIM_400000_NS6detail17trampoline_kernelINS0_14default_configENS1_20scan_config_selectorIiEEZZNS1_9scan_implILNS1_25lookback_scan_determinismE0ELb1ELb1ES3_N6thrust23THRUST_200600_302600_NS6detail15normal_iteratorINS9_10device_ptrIiEEEESE_iNS9_4plusIvEEiEEDaPvRmT3_T4_T5_mT6_P12ihipStream_tbENKUlT_T0_E_clISt17integral_constantIbLb1EESU_EEDaSP_SQ_EUlSP_E_NS1_11comp_targetILNS1_3genE3ELNS1_11target_archE908ELNS1_3gpuE7ELNS1_3repE0EEENS1_30default_config_static_selectorELNS0_4arch9wavefront6targetE1EEEvT1_: ; @_ZN7rocprim17ROCPRIM_400000_NS6detail17trampoline_kernelINS0_14default_configENS1_20scan_config_selectorIiEEZZNS1_9scan_implILNS1_25lookback_scan_determinismE0ELb1ELb1ES3_N6thrust23THRUST_200600_302600_NS6detail15normal_iteratorINS9_10device_ptrIiEEEESE_iNS9_4plusIvEEiEEDaPvRmT3_T4_T5_mT6_P12ihipStream_tbENKUlT_T0_E_clISt17integral_constantIbLb1EESU_EEDaSP_SQ_EUlSP_E_NS1_11comp_targetILNS1_3genE3ELNS1_11target_archE908ELNS1_3gpuE7ELNS1_3repE0EEENS1_30default_config_static_selectorELNS0_4arch9wavefront6targetE1EEEvT1_
; %bb.0:
	.section	.rodata,"a",@progbits
	.p2align	6, 0x0
	.amdhsa_kernel _ZN7rocprim17ROCPRIM_400000_NS6detail17trampoline_kernelINS0_14default_configENS1_20scan_config_selectorIiEEZZNS1_9scan_implILNS1_25lookback_scan_determinismE0ELb1ELb1ES3_N6thrust23THRUST_200600_302600_NS6detail15normal_iteratorINS9_10device_ptrIiEEEESE_iNS9_4plusIvEEiEEDaPvRmT3_T4_T5_mT6_P12ihipStream_tbENKUlT_T0_E_clISt17integral_constantIbLb1EESU_EEDaSP_SQ_EUlSP_E_NS1_11comp_targetILNS1_3genE3ELNS1_11target_archE908ELNS1_3gpuE7ELNS1_3repE0EEENS1_30default_config_static_selectorELNS0_4arch9wavefront6targetE1EEEvT1_
		.amdhsa_group_segment_fixed_size 0
		.amdhsa_private_segment_fixed_size 0
		.amdhsa_kernarg_size 96
		.amdhsa_user_sgpr_count 6
		.amdhsa_user_sgpr_private_segment_buffer 1
		.amdhsa_user_sgpr_dispatch_ptr 0
		.amdhsa_user_sgpr_queue_ptr 0
		.amdhsa_user_sgpr_kernarg_segment_ptr 1
		.amdhsa_user_sgpr_dispatch_id 0
		.amdhsa_user_sgpr_flat_scratch_init 0
		.amdhsa_user_sgpr_kernarg_preload_length 0
		.amdhsa_user_sgpr_kernarg_preload_offset 0
		.amdhsa_user_sgpr_private_segment_size 0
		.amdhsa_uses_dynamic_stack 0
		.amdhsa_system_sgpr_private_segment_wavefront_offset 0
		.amdhsa_system_sgpr_workgroup_id_x 1
		.amdhsa_system_sgpr_workgroup_id_y 0
		.amdhsa_system_sgpr_workgroup_id_z 0
		.amdhsa_system_sgpr_workgroup_info 0
		.amdhsa_system_vgpr_workitem_id 0
		.amdhsa_next_free_vgpr 1
		.amdhsa_next_free_sgpr 0
		.amdhsa_accum_offset 4
		.amdhsa_reserve_vcc 0
		.amdhsa_reserve_flat_scratch 0
		.amdhsa_float_round_mode_32 0
		.amdhsa_float_round_mode_16_64 0
		.amdhsa_float_denorm_mode_32 3
		.amdhsa_float_denorm_mode_16_64 3
		.amdhsa_dx10_clamp 1
		.amdhsa_ieee_mode 1
		.amdhsa_fp16_overflow 0
		.amdhsa_tg_split 0
		.amdhsa_exception_fp_ieee_invalid_op 0
		.amdhsa_exception_fp_denorm_src 0
		.amdhsa_exception_fp_ieee_div_zero 0
		.amdhsa_exception_fp_ieee_overflow 0
		.amdhsa_exception_fp_ieee_underflow 0
		.amdhsa_exception_fp_ieee_inexact 0
		.amdhsa_exception_int_div_zero 0
	.end_amdhsa_kernel
	.section	.text._ZN7rocprim17ROCPRIM_400000_NS6detail17trampoline_kernelINS0_14default_configENS1_20scan_config_selectorIiEEZZNS1_9scan_implILNS1_25lookback_scan_determinismE0ELb1ELb1ES3_N6thrust23THRUST_200600_302600_NS6detail15normal_iteratorINS9_10device_ptrIiEEEESE_iNS9_4plusIvEEiEEDaPvRmT3_T4_T5_mT6_P12ihipStream_tbENKUlT_T0_E_clISt17integral_constantIbLb1EESU_EEDaSP_SQ_EUlSP_E_NS1_11comp_targetILNS1_3genE3ELNS1_11target_archE908ELNS1_3gpuE7ELNS1_3repE0EEENS1_30default_config_static_selectorELNS0_4arch9wavefront6targetE1EEEvT1_,"axG",@progbits,_ZN7rocprim17ROCPRIM_400000_NS6detail17trampoline_kernelINS0_14default_configENS1_20scan_config_selectorIiEEZZNS1_9scan_implILNS1_25lookback_scan_determinismE0ELb1ELb1ES3_N6thrust23THRUST_200600_302600_NS6detail15normal_iteratorINS9_10device_ptrIiEEEESE_iNS9_4plusIvEEiEEDaPvRmT3_T4_T5_mT6_P12ihipStream_tbENKUlT_T0_E_clISt17integral_constantIbLb1EESU_EEDaSP_SQ_EUlSP_E_NS1_11comp_targetILNS1_3genE3ELNS1_11target_archE908ELNS1_3gpuE7ELNS1_3repE0EEENS1_30default_config_static_selectorELNS0_4arch9wavefront6targetE1EEEvT1_,comdat
.Lfunc_end825:
	.size	_ZN7rocprim17ROCPRIM_400000_NS6detail17trampoline_kernelINS0_14default_configENS1_20scan_config_selectorIiEEZZNS1_9scan_implILNS1_25lookback_scan_determinismE0ELb1ELb1ES3_N6thrust23THRUST_200600_302600_NS6detail15normal_iteratorINS9_10device_ptrIiEEEESE_iNS9_4plusIvEEiEEDaPvRmT3_T4_T5_mT6_P12ihipStream_tbENKUlT_T0_E_clISt17integral_constantIbLb1EESU_EEDaSP_SQ_EUlSP_E_NS1_11comp_targetILNS1_3genE3ELNS1_11target_archE908ELNS1_3gpuE7ELNS1_3repE0EEENS1_30default_config_static_selectorELNS0_4arch9wavefront6targetE1EEEvT1_, .Lfunc_end825-_ZN7rocprim17ROCPRIM_400000_NS6detail17trampoline_kernelINS0_14default_configENS1_20scan_config_selectorIiEEZZNS1_9scan_implILNS1_25lookback_scan_determinismE0ELb1ELb1ES3_N6thrust23THRUST_200600_302600_NS6detail15normal_iteratorINS9_10device_ptrIiEEEESE_iNS9_4plusIvEEiEEDaPvRmT3_T4_T5_mT6_P12ihipStream_tbENKUlT_T0_E_clISt17integral_constantIbLb1EESU_EEDaSP_SQ_EUlSP_E_NS1_11comp_targetILNS1_3genE3ELNS1_11target_archE908ELNS1_3gpuE7ELNS1_3repE0EEENS1_30default_config_static_selectorELNS0_4arch9wavefront6targetE1EEEvT1_
                                        ; -- End function
	.section	.AMDGPU.csdata,"",@progbits
; Kernel info:
; codeLenInByte = 0
; NumSgprs: 4
; NumVgprs: 0
; NumAgprs: 0
; TotalNumVgprs: 0
; ScratchSize: 0
; MemoryBound: 0
; FloatMode: 240
; IeeeMode: 1
; LDSByteSize: 0 bytes/workgroup (compile time only)
; SGPRBlocks: 0
; VGPRBlocks: 0
; NumSGPRsForWavesPerEU: 4
; NumVGPRsForWavesPerEU: 1
; AccumOffset: 4
; Occupancy: 8
; WaveLimiterHint : 0
; COMPUTE_PGM_RSRC2:SCRATCH_EN: 0
; COMPUTE_PGM_RSRC2:USER_SGPR: 6
; COMPUTE_PGM_RSRC2:TRAP_HANDLER: 0
; COMPUTE_PGM_RSRC2:TGID_X_EN: 1
; COMPUTE_PGM_RSRC2:TGID_Y_EN: 0
; COMPUTE_PGM_RSRC2:TGID_Z_EN: 0
; COMPUTE_PGM_RSRC2:TIDIG_COMP_CNT: 0
; COMPUTE_PGM_RSRC3_GFX90A:ACCUM_OFFSET: 0
; COMPUTE_PGM_RSRC3_GFX90A:TG_SPLIT: 0
	.section	.text._ZN7rocprim17ROCPRIM_400000_NS6detail17trampoline_kernelINS0_14default_configENS1_20scan_config_selectorIiEEZZNS1_9scan_implILNS1_25lookback_scan_determinismE0ELb1ELb1ES3_N6thrust23THRUST_200600_302600_NS6detail15normal_iteratorINS9_10device_ptrIiEEEESE_iNS9_4plusIvEEiEEDaPvRmT3_T4_T5_mT6_P12ihipStream_tbENKUlT_T0_E_clISt17integral_constantIbLb1EESU_EEDaSP_SQ_EUlSP_E_NS1_11comp_targetILNS1_3genE2ELNS1_11target_archE906ELNS1_3gpuE6ELNS1_3repE0EEENS1_30default_config_static_selectorELNS0_4arch9wavefront6targetE1EEEvT1_,"axG",@progbits,_ZN7rocprim17ROCPRIM_400000_NS6detail17trampoline_kernelINS0_14default_configENS1_20scan_config_selectorIiEEZZNS1_9scan_implILNS1_25lookback_scan_determinismE0ELb1ELb1ES3_N6thrust23THRUST_200600_302600_NS6detail15normal_iteratorINS9_10device_ptrIiEEEESE_iNS9_4plusIvEEiEEDaPvRmT3_T4_T5_mT6_P12ihipStream_tbENKUlT_T0_E_clISt17integral_constantIbLb1EESU_EEDaSP_SQ_EUlSP_E_NS1_11comp_targetILNS1_3genE2ELNS1_11target_archE906ELNS1_3gpuE6ELNS1_3repE0EEENS1_30default_config_static_selectorELNS0_4arch9wavefront6targetE1EEEvT1_,comdat
	.protected	_ZN7rocprim17ROCPRIM_400000_NS6detail17trampoline_kernelINS0_14default_configENS1_20scan_config_selectorIiEEZZNS1_9scan_implILNS1_25lookback_scan_determinismE0ELb1ELb1ES3_N6thrust23THRUST_200600_302600_NS6detail15normal_iteratorINS9_10device_ptrIiEEEESE_iNS9_4plusIvEEiEEDaPvRmT3_T4_T5_mT6_P12ihipStream_tbENKUlT_T0_E_clISt17integral_constantIbLb1EESU_EEDaSP_SQ_EUlSP_E_NS1_11comp_targetILNS1_3genE2ELNS1_11target_archE906ELNS1_3gpuE6ELNS1_3repE0EEENS1_30default_config_static_selectorELNS0_4arch9wavefront6targetE1EEEvT1_ ; -- Begin function _ZN7rocprim17ROCPRIM_400000_NS6detail17trampoline_kernelINS0_14default_configENS1_20scan_config_selectorIiEEZZNS1_9scan_implILNS1_25lookback_scan_determinismE0ELb1ELb1ES3_N6thrust23THRUST_200600_302600_NS6detail15normal_iteratorINS9_10device_ptrIiEEEESE_iNS9_4plusIvEEiEEDaPvRmT3_T4_T5_mT6_P12ihipStream_tbENKUlT_T0_E_clISt17integral_constantIbLb1EESU_EEDaSP_SQ_EUlSP_E_NS1_11comp_targetILNS1_3genE2ELNS1_11target_archE906ELNS1_3gpuE6ELNS1_3repE0EEENS1_30default_config_static_selectorELNS0_4arch9wavefront6targetE1EEEvT1_
	.globl	_ZN7rocprim17ROCPRIM_400000_NS6detail17trampoline_kernelINS0_14default_configENS1_20scan_config_selectorIiEEZZNS1_9scan_implILNS1_25lookback_scan_determinismE0ELb1ELb1ES3_N6thrust23THRUST_200600_302600_NS6detail15normal_iteratorINS9_10device_ptrIiEEEESE_iNS9_4plusIvEEiEEDaPvRmT3_T4_T5_mT6_P12ihipStream_tbENKUlT_T0_E_clISt17integral_constantIbLb1EESU_EEDaSP_SQ_EUlSP_E_NS1_11comp_targetILNS1_3genE2ELNS1_11target_archE906ELNS1_3gpuE6ELNS1_3repE0EEENS1_30default_config_static_selectorELNS0_4arch9wavefront6targetE1EEEvT1_
	.p2align	8
	.type	_ZN7rocprim17ROCPRIM_400000_NS6detail17trampoline_kernelINS0_14default_configENS1_20scan_config_selectorIiEEZZNS1_9scan_implILNS1_25lookback_scan_determinismE0ELb1ELb1ES3_N6thrust23THRUST_200600_302600_NS6detail15normal_iteratorINS9_10device_ptrIiEEEESE_iNS9_4plusIvEEiEEDaPvRmT3_T4_T5_mT6_P12ihipStream_tbENKUlT_T0_E_clISt17integral_constantIbLb1EESU_EEDaSP_SQ_EUlSP_E_NS1_11comp_targetILNS1_3genE2ELNS1_11target_archE906ELNS1_3gpuE6ELNS1_3repE0EEENS1_30default_config_static_selectorELNS0_4arch9wavefront6targetE1EEEvT1_,@function
_ZN7rocprim17ROCPRIM_400000_NS6detail17trampoline_kernelINS0_14default_configENS1_20scan_config_selectorIiEEZZNS1_9scan_implILNS1_25lookback_scan_determinismE0ELb1ELb1ES3_N6thrust23THRUST_200600_302600_NS6detail15normal_iteratorINS9_10device_ptrIiEEEESE_iNS9_4plusIvEEiEEDaPvRmT3_T4_T5_mT6_P12ihipStream_tbENKUlT_T0_E_clISt17integral_constantIbLb1EESU_EEDaSP_SQ_EUlSP_E_NS1_11comp_targetILNS1_3genE2ELNS1_11target_archE906ELNS1_3gpuE6ELNS1_3repE0EEENS1_30default_config_static_selectorELNS0_4arch9wavefront6targetE1EEEvT1_: ; @_ZN7rocprim17ROCPRIM_400000_NS6detail17trampoline_kernelINS0_14default_configENS1_20scan_config_selectorIiEEZZNS1_9scan_implILNS1_25lookback_scan_determinismE0ELb1ELb1ES3_N6thrust23THRUST_200600_302600_NS6detail15normal_iteratorINS9_10device_ptrIiEEEESE_iNS9_4plusIvEEiEEDaPvRmT3_T4_T5_mT6_P12ihipStream_tbENKUlT_T0_E_clISt17integral_constantIbLb1EESU_EEDaSP_SQ_EUlSP_E_NS1_11comp_targetILNS1_3genE2ELNS1_11target_archE906ELNS1_3gpuE6ELNS1_3repE0EEENS1_30default_config_static_selectorELNS0_4arch9wavefront6targetE1EEEvT1_
; %bb.0:
	.section	.rodata,"a",@progbits
	.p2align	6, 0x0
	.amdhsa_kernel _ZN7rocprim17ROCPRIM_400000_NS6detail17trampoline_kernelINS0_14default_configENS1_20scan_config_selectorIiEEZZNS1_9scan_implILNS1_25lookback_scan_determinismE0ELb1ELb1ES3_N6thrust23THRUST_200600_302600_NS6detail15normal_iteratorINS9_10device_ptrIiEEEESE_iNS9_4plusIvEEiEEDaPvRmT3_T4_T5_mT6_P12ihipStream_tbENKUlT_T0_E_clISt17integral_constantIbLb1EESU_EEDaSP_SQ_EUlSP_E_NS1_11comp_targetILNS1_3genE2ELNS1_11target_archE906ELNS1_3gpuE6ELNS1_3repE0EEENS1_30default_config_static_selectorELNS0_4arch9wavefront6targetE1EEEvT1_
		.amdhsa_group_segment_fixed_size 0
		.amdhsa_private_segment_fixed_size 0
		.amdhsa_kernarg_size 96
		.amdhsa_user_sgpr_count 6
		.amdhsa_user_sgpr_private_segment_buffer 1
		.amdhsa_user_sgpr_dispatch_ptr 0
		.amdhsa_user_sgpr_queue_ptr 0
		.amdhsa_user_sgpr_kernarg_segment_ptr 1
		.amdhsa_user_sgpr_dispatch_id 0
		.amdhsa_user_sgpr_flat_scratch_init 0
		.amdhsa_user_sgpr_kernarg_preload_length 0
		.amdhsa_user_sgpr_kernarg_preload_offset 0
		.amdhsa_user_sgpr_private_segment_size 0
		.amdhsa_uses_dynamic_stack 0
		.amdhsa_system_sgpr_private_segment_wavefront_offset 0
		.amdhsa_system_sgpr_workgroup_id_x 1
		.amdhsa_system_sgpr_workgroup_id_y 0
		.amdhsa_system_sgpr_workgroup_id_z 0
		.amdhsa_system_sgpr_workgroup_info 0
		.amdhsa_system_vgpr_workitem_id 0
		.amdhsa_next_free_vgpr 1
		.amdhsa_next_free_sgpr 0
		.amdhsa_accum_offset 4
		.amdhsa_reserve_vcc 0
		.amdhsa_reserve_flat_scratch 0
		.amdhsa_float_round_mode_32 0
		.amdhsa_float_round_mode_16_64 0
		.amdhsa_float_denorm_mode_32 3
		.amdhsa_float_denorm_mode_16_64 3
		.amdhsa_dx10_clamp 1
		.amdhsa_ieee_mode 1
		.amdhsa_fp16_overflow 0
		.amdhsa_tg_split 0
		.amdhsa_exception_fp_ieee_invalid_op 0
		.amdhsa_exception_fp_denorm_src 0
		.amdhsa_exception_fp_ieee_div_zero 0
		.amdhsa_exception_fp_ieee_overflow 0
		.amdhsa_exception_fp_ieee_underflow 0
		.amdhsa_exception_fp_ieee_inexact 0
		.amdhsa_exception_int_div_zero 0
	.end_amdhsa_kernel
	.section	.text._ZN7rocprim17ROCPRIM_400000_NS6detail17trampoline_kernelINS0_14default_configENS1_20scan_config_selectorIiEEZZNS1_9scan_implILNS1_25lookback_scan_determinismE0ELb1ELb1ES3_N6thrust23THRUST_200600_302600_NS6detail15normal_iteratorINS9_10device_ptrIiEEEESE_iNS9_4plusIvEEiEEDaPvRmT3_T4_T5_mT6_P12ihipStream_tbENKUlT_T0_E_clISt17integral_constantIbLb1EESU_EEDaSP_SQ_EUlSP_E_NS1_11comp_targetILNS1_3genE2ELNS1_11target_archE906ELNS1_3gpuE6ELNS1_3repE0EEENS1_30default_config_static_selectorELNS0_4arch9wavefront6targetE1EEEvT1_,"axG",@progbits,_ZN7rocprim17ROCPRIM_400000_NS6detail17trampoline_kernelINS0_14default_configENS1_20scan_config_selectorIiEEZZNS1_9scan_implILNS1_25lookback_scan_determinismE0ELb1ELb1ES3_N6thrust23THRUST_200600_302600_NS6detail15normal_iteratorINS9_10device_ptrIiEEEESE_iNS9_4plusIvEEiEEDaPvRmT3_T4_T5_mT6_P12ihipStream_tbENKUlT_T0_E_clISt17integral_constantIbLb1EESU_EEDaSP_SQ_EUlSP_E_NS1_11comp_targetILNS1_3genE2ELNS1_11target_archE906ELNS1_3gpuE6ELNS1_3repE0EEENS1_30default_config_static_selectorELNS0_4arch9wavefront6targetE1EEEvT1_,comdat
.Lfunc_end826:
	.size	_ZN7rocprim17ROCPRIM_400000_NS6detail17trampoline_kernelINS0_14default_configENS1_20scan_config_selectorIiEEZZNS1_9scan_implILNS1_25lookback_scan_determinismE0ELb1ELb1ES3_N6thrust23THRUST_200600_302600_NS6detail15normal_iteratorINS9_10device_ptrIiEEEESE_iNS9_4plusIvEEiEEDaPvRmT3_T4_T5_mT6_P12ihipStream_tbENKUlT_T0_E_clISt17integral_constantIbLb1EESU_EEDaSP_SQ_EUlSP_E_NS1_11comp_targetILNS1_3genE2ELNS1_11target_archE906ELNS1_3gpuE6ELNS1_3repE0EEENS1_30default_config_static_selectorELNS0_4arch9wavefront6targetE1EEEvT1_, .Lfunc_end826-_ZN7rocprim17ROCPRIM_400000_NS6detail17trampoline_kernelINS0_14default_configENS1_20scan_config_selectorIiEEZZNS1_9scan_implILNS1_25lookback_scan_determinismE0ELb1ELb1ES3_N6thrust23THRUST_200600_302600_NS6detail15normal_iteratorINS9_10device_ptrIiEEEESE_iNS9_4plusIvEEiEEDaPvRmT3_T4_T5_mT6_P12ihipStream_tbENKUlT_T0_E_clISt17integral_constantIbLb1EESU_EEDaSP_SQ_EUlSP_E_NS1_11comp_targetILNS1_3genE2ELNS1_11target_archE906ELNS1_3gpuE6ELNS1_3repE0EEENS1_30default_config_static_selectorELNS0_4arch9wavefront6targetE1EEEvT1_
                                        ; -- End function
	.section	.AMDGPU.csdata,"",@progbits
; Kernel info:
; codeLenInByte = 0
; NumSgprs: 4
; NumVgprs: 0
; NumAgprs: 0
; TotalNumVgprs: 0
; ScratchSize: 0
; MemoryBound: 0
; FloatMode: 240
; IeeeMode: 1
; LDSByteSize: 0 bytes/workgroup (compile time only)
; SGPRBlocks: 0
; VGPRBlocks: 0
; NumSGPRsForWavesPerEU: 4
; NumVGPRsForWavesPerEU: 1
; AccumOffset: 4
; Occupancy: 8
; WaveLimiterHint : 0
; COMPUTE_PGM_RSRC2:SCRATCH_EN: 0
; COMPUTE_PGM_RSRC2:USER_SGPR: 6
; COMPUTE_PGM_RSRC2:TRAP_HANDLER: 0
; COMPUTE_PGM_RSRC2:TGID_X_EN: 1
; COMPUTE_PGM_RSRC2:TGID_Y_EN: 0
; COMPUTE_PGM_RSRC2:TGID_Z_EN: 0
; COMPUTE_PGM_RSRC2:TIDIG_COMP_CNT: 0
; COMPUTE_PGM_RSRC3_GFX90A:ACCUM_OFFSET: 0
; COMPUTE_PGM_RSRC3_GFX90A:TG_SPLIT: 0
	.section	.text._ZN7rocprim17ROCPRIM_400000_NS6detail17trampoline_kernelINS0_14default_configENS1_20scan_config_selectorIiEEZZNS1_9scan_implILNS1_25lookback_scan_determinismE0ELb1ELb1ES3_N6thrust23THRUST_200600_302600_NS6detail15normal_iteratorINS9_10device_ptrIiEEEESE_iNS9_4plusIvEEiEEDaPvRmT3_T4_T5_mT6_P12ihipStream_tbENKUlT_T0_E_clISt17integral_constantIbLb1EESU_EEDaSP_SQ_EUlSP_E_NS1_11comp_targetILNS1_3genE10ELNS1_11target_archE1201ELNS1_3gpuE5ELNS1_3repE0EEENS1_30default_config_static_selectorELNS0_4arch9wavefront6targetE1EEEvT1_,"axG",@progbits,_ZN7rocprim17ROCPRIM_400000_NS6detail17trampoline_kernelINS0_14default_configENS1_20scan_config_selectorIiEEZZNS1_9scan_implILNS1_25lookback_scan_determinismE0ELb1ELb1ES3_N6thrust23THRUST_200600_302600_NS6detail15normal_iteratorINS9_10device_ptrIiEEEESE_iNS9_4plusIvEEiEEDaPvRmT3_T4_T5_mT6_P12ihipStream_tbENKUlT_T0_E_clISt17integral_constantIbLb1EESU_EEDaSP_SQ_EUlSP_E_NS1_11comp_targetILNS1_3genE10ELNS1_11target_archE1201ELNS1_3gpuE5ELNS1_3repE0EEENS1_30default_config_static_selectorELNS0_4arch9wavefront6targetE1EEEvT1_,comdat
	.protected	_ZN7rocprim17ROCPRIM_400000_NS6detail17trampoline_kernelINS0_14default_configENS1_20scan_config_selectorIiEEZZNS1_9scan_implILNS1_25lookback_scan_determinismE0ELb1ELb1ES3_N6thrust23THRUST_200600_302600_NS6detail15normal_iteratorINS9_10device_ptrIiEEEESE_iNS9_4plusIvEEiEEDaPvRmT3_T4_T5_mT6_P12ihipStream_tbENKUlT_T0_E_clISt17integral_constantIbLb1EESU_EEDaSP_SQ_EUlSP_E_NS1_11comp_targetILNS1_3genE10ELNS1_11target_archE1201ELNS1_3gpuE5ELNS1_3repE0EEENS1_30default_config_static_selectorELNS0_4arch9wavefront6targetE1EEEvT1_ ; -- Begin function _ZN7rocprim17ROCPRIM_400000_NS6detail17trampoline_kernelINS0_14default_configENS1_20scan_config_selectorIiEEZZNS1_9scan_implILNS1_25lookback_scan_determinismE0ELb1ELb1ES3_N6thrust23THRUST_200600_302600_NS6detail15normal_iteratorINS9_10device_ptrIiEEEESE_iNS9_4plusIvEEiEEDaPvRmT3_T4_T5_mT6_P12ihipStream_tbENKUlT_T0_E_clISt17integral_constantIbLb1EESU_EEDaSP_SQ_EUlSP_E_NS1_11comp_targetILNS1_3genE10ELNS1_11target_archE1201ELNS1_3gpuE5ELNS1_3repE0EEENS1_30default_config_static_selectorELNS0_4arch9wavefront6targetE1EEEvT1_
	.globl	_ZN7rocprim17ROCPRIM_400000_NS6detail17trampoline_kernelINS0_14default_configENS1_20scan_config_selectorIiEEZZNS1_9scan_implILNS1_25lookback_scan_determinismE0ELb1ELb1ES3_N6thrust23THRUST_200600_302600_NS6detail15normal_iteratorINS9_10device_ptrIiEEEESE_iNS9_4plusIvEEiEEDaPvRmT3_T4_T5_mT6_P12ihipStream_tbENKUlT_T0_E_clISt17integral_constantIbLb1EESU_EEDaSP_SQ_EUlSP_E_NS1_11comp_targetILNS1_3genE10ELNS1_11target_archE1201ELNS1_3gpuE5ELNS1_3repE0EEENS1_30default_config_static_selectorELNS0_4arch9wavefront6targetE1EEEvT1_
	.p2align	8
	.type	_ZN7rocprim17ROCPRIM_400000_NS6detail17trampoline_kernelINS0_14default_configENS1_20scan_config_selectorIiEEZZNS1_9scan_implILNS1_25lookback_scan_determinismE0ELb1ELb1ES3_N6thrust23THRUST_200600_302600_NS6detail15normal_iteratorINS9_10device_ptrIiEEEESE_iNS9_4plusIvEEiEEDaPvRmT3_T4_T5_mT6_P12ihipStream_tbENKUlT_T0_E_clISt17integral_constantIbLb1EESU_EEDaSP_SQ_EUlSP_E_NS1_11comp_targetILNS1_3genE10ELNS1_11target_archE1201ELNS1_3gpuE5ELNS1_3repE0EEENS1_30default_config_static_selectorELNS0_4arch9wavefront6targetE1EEEvT1_,@function
_ZN7rocprim17ROCPRIM_400000_NS6detail17trampoline_kernelINS0_14default_configENS1_20scan_config_selectorIiEEZZNS1_9scan_implILNS1_25lookback_scan_determinismE0ELb1ELb1ES3_N6thrust23THRUST_200600_302600_NS6detail15normal_iteratorINS9_10device_ptrIiEEEESE_iNS9_4plusIvEEiEEDaPvRmT3_T4_T5_mT6_P12ihipStream_tbENKUlT_T0_E_clISt17integral_constantIbLb1EESU_EEDaSP_SQ_EUlSP_E_NS1_11comp_targetILNS1_3genE10ELNS1_11target_archE1201ELNS1_3gpuE5ELNS1_3repE0EEENS1_30default_config_static_selectorELNS0_4arch9wavefront6targetE1EEEvT1_: ; @_ZN7rocprim17ROCPRIM_400000_NS6detail17trampoline_kernelINS0_14default_configENS1_20scan_config_selectorIiEEZZNS1_9scan_implILNS1_25lookback_scan_determinismE0ELb1ELb1ES3_N6thrust23THRUST_200600_302600_NS6detail15normal_iteratorINS9_10device_ptrIiEEEESE_iNS9_4plusIvEEiEEDaPvRmT3_T4_T5_mT6_P12ihipStream_tbENKUlT_T0_E_clISt17integral_constantIbLb1EESU_EEDaSP_SQ_EUlSP_E_NS1_11comp_targetILNS1_3genE10ELNS1_11target_archE1201ELNS1_3gpuE5ELNS1_3repE0EEENS1_30default_config_static_selectorELNS0_4arch9wavefront6targetE1EEEvT1_
; %bb.0:
	.section	.rodata,"a",@progbits
	.p2align	6, 0x0
	.amdhsa_kernel _ZN7rocprim17ROCPRIM_400000_NS6detail17trampoline_kernelINS0_14default_configENS1_20scan_config_selectorIiEEZZNS1_9scan_implILNS1_25lookback_scan_determinismE0ELb1ELb1ES3_N6thrust23THRUST_200600_302600_NS6detail15normal_iteratorINS9_10device_ptrIiEEEESE_iNS9_4plusIvEEiEEDaPvRmT3_T4_T5_mT6_P12ihipStream_tbENKUlT_T0_E_clISt17integral_constantIbLb1EESU_EEDaSP_SQ_EUlSP_E_NS1_11comp_targetILNS1_3genE10ELNS1_11target_archE1201ELNS1_3gpuE5ELNS1_3repE0EEENS1_30default_config_static_selectorELNS0_4arch9wavefront6targetE1EEEvT1_
		.amdhsa_group_segment_fixed_size 0
		.amdhsa_private_segment_fixed_size 0
		.amdhsa_kernarg_size 96
		.amdhsa_user_sgpr_count 6
		.amdhsa_user_sgpr_private_segment_buffer 1
		.amdhsa_user_sgpr_dispatch_ptr 0
		.amdhsa_user_sgpr_queue_ptr 0
		.amdhsa_user_sgpr_kernarg_segment_ptr 1
		.amdhsa_user_sgpr_dispatch_id 0
		.amdhsa_user_sgpr_flat_scratch_init 0
		.amdhsa_user_sgpr_kernarg_preload_length 0
		.amdhsa_user_sgpr_kernarg_preload_offset 0
		.amdhsa_user_sgpr_private_segment_size 0
		.amdhsa_uses_dynamic_stack 0
		.amdhsa_system_sgpr_private_segment_wavefront_offset 0
		.amdhsa_system_sgpr_workgroup_id_x 1
		.amdhsa_system_sgpr_workgroup_id_y 0
		.amdhsa_system_sgpr_workgroup_id_z 0
		.amdhsa_system_sgpr_workgroup_info 0
		.amdhsa_system_vgpr_workitem_id 0
		.amdhsa_next_free_vgpr 1
		.amdhsa_next_free_sgpr 0
		.amdhsa_accum_offset 4
		.amdhsa_reserve_vcc 0
		.amdhsa_reserve_flat_scratch 0
		.amdhsa_float_round_mode_32 0
		.amdhsa_float_round_mode_16_64 0
		.amdhsa_float_denorm_mode_32 3
		.amdhsa_float_denorm_mode_16_64 3
		.amdhsa_dx10_clamp 1
		.amdhsa_ieee_mode 1
		.amdhsa_fp16_overflow 0
		.amdhsa_tg_split 0
		.amdhsa_exception_fp_ieee_invalid_op 0
		.amdhsa_exception_fp_denorm_src 0
		.amdhsa_exception_fp_ieee_div_zero 0
		.amdhsa_exception_fp_ieee_overflow 0
		.amdhsa_exception_fp_ieee_underflow 0
		.amdhsa_exception_fp_ieee_inexact 0
		.amdhsa_exception_int_div_zero 0
	.end_amdhsa_kernel
	.section	.text._ZN7rocprim17ROCPRIM_400000_NS6detail17trampoline_kernelINS0_14default_configENS1_20scan_config_selectorIiEEZZNS1_9scan_implILNS1_25lookback_scan_determinismE0ELb1ELb1ES3_N6thrust23THRUST_200600_302600_NS6detail15normal_iteratorINS9_10device_ptrIiEEEESE_iNS9_4plusIvEEiEEDaPvRmT3_T4_T5_mT6_P12ihipStream_tbENKUlT_T0_E_clISt17integral_constantIbLb1EESU_EEDaSP_SQ_EUlSP_E_NS1_11comp_targetILNS1_3genE10ELNS1_11target_archE1201ELNS1_3gpuE5ELNS1_3repE0EEENS1_30default_config_static_selectorELNS0_4arch9wavefront6targetE1EEEvT1_,"axG",@progbits,_ZN7rocprim17ROCPRIM_400000_NS6detail17trampoline_kernelINS0_14default_configENS1_20scan_config_selectorIiEEZZNS1_9scan_implILNS1_25lookback_scan_determinismE0ELb1ELb1ES3_N6thrust23THRUST_200600_302600_NS6detail15normal_iteratorINS9_10device_ptrIiEEEESE_iNS9_4plusIvEEiEEDaPvRmT3_T4_T5_mT6_P12ihipStream_tbENKUlT_T0_E_clISt17integral_constantIbLb1EESU_EEDaSP_SQ_EUlSP_E_NS1_11comp_targetILNS1_3genE10ELNS1_11target_archE1201ELNS1_3gpuE5ELNS1_3repE0EEENS1_30default_config_static_selectorELNS0_4arch9wavefront6targetE1EEEvT1_,comdat
.Lfunc_end827:
	.size	_ZN7rocprim17ROCPRIM_400000_NS6detail17trampoline_kernelINS0_14default_configENS1_20scan_config_selectorIiEEZZNS1_9scan_implILNS1_25lookback_scan_determinismE0ELb1ELb1ES3_N6thrust23THRUST_200600_302600_NS6detail15normal_iteratorINS9_10device_ptrIiEEEESE_iNS9_4plusIvEEiEEDaPvRmT3_T4_T5_mT6_P12ihipStream_tbENKUlT_T0_E_clISt17integral_constantIbLb1EESU_EEDaSP_SQ_EUlSP_E_NS1_11comp_targetILNS1_3genE10ELNS1_11target_archE1201ELNS1_3gpuE5ELNS1_3repE0EEENS1_30default_config_static_selectorELNS0_4arch9wavefront6targetE1EEEvT1_, .Lfunc_end827-_ZN7rocprim17ROCPRIM_400000_NS6detail17trampoline_kernelINS0_14default_configENS1_20scan_config_selectorIiEEZZNS1_9scan_implILNS1_25lookback_scan_determinismE0ELb1ELb1ES3_N6thrust23THRUST_200600_302600_NS6detail15normal_iteratorINS9_10device_ptrIiEEEESE_iNS9_4plusIvEEiEEDaPvRmT3_T4_T5_mT6_P12ihipStream_tbENKUlT_T0_E_clISt17integral_constantIbLb1EESU_EEDaSP_SQ_EUlSP_E_NS1_11comp_targetILNS1_3genE10ELNS1_11target_archE1201ELNS1_3gpuE5ELNS1_3repE0EEENS1_30default_config_static_selectorELNS0_4arch9wavefront6targetE1EEEvT1_
                                        ; -- End function
	.section	.AMDGPU.csdata,"",@progbits
; Kernel info:
; codeLenInByte = 0
; NumSgprs: 4
; NumVgprs: 0
; NumAgprs: 0
; TotalNumVgprs: 0
; ScratchSize: 0
; MemoryBound: 0
; FloatMode: 240
; IeeeMode: 1
; LDSByteSize: 0 bytes/workgroup (compile time only)
; SGPRBlocks: 0
; VGPRBlocks: 0
; NumSGPRsForWavesPerEU: 4
; NumVGPRsForWavesPerEU: 1
; AccumOffset: 4
; Occupancy: 8
; WaveLimiterHint : 0
; COMPUTE_PGM_RSRC2:SCRATCH_EN: 0
; COMPUTE_PGM_RSRC2:USER_SGPR: 6
; COMPUTE_PGM_RSRC2:TRAP_HANDLER: 0
; COMPUTE_PGM_RSRC2:TGID_X_EN: 1
; COMPUTE_PGM_RSRC2:TGID_Y_EN: 0
; COMPUTE_PGM_RSRC2:TGID_Z_EN: 0
; COMPUTE_PGM_RSRC2:TIDIG_COMP_CNT: 0
; COMPUTE_PGM_RSRC3_GFX90A:ACCUM_OFFSET: 0
; COMPUTE_PGM_RSRC3_GFX90A:TG_SPLIT: 0
	.section	.text._ZN7rocprim17ROCPRIM_400000_NS6detail17trampoline_kernelINS0_14default_configENS1_20scan_config_selectorIiEEZZNS1_9scan_implILNS1_25lookback_scan_determinismE0ELb1ELb1ES3_N6thrust23THRUST_200600_302600_NS6detail15normal_iteratorINS9_10device_ptrIiEEEESE_iNS9_4plusIvEEiEEDaPvRmT3_T4_T5_mT6_P12ihipStream_tbENKUlT_T0_E_clISt17integral_constantIbLb1EESU_EEDaSP_SQ_EUlSP_E_NS1_11comp_targetILNS1_3genE10ELNS1_11target_archE1200ELNS1_3gpuE4ELNS1_3repE0EEENS1_30default_config_static_selectorELNS0_4arch9wavefront6targetE1EEEvT1_,"axG",@progbits,_ZN7rocprim17ROCPRIM_400000_NS6detail17trampoline_kernelINS0_14default_configENS1_20scan_config_selectorIiEEZZNS1_9scan_implILNS1_25lookback_scan_determinismE0ELb1ELb1ES3_N6thrust23THRUST_200600_302600_NS6detail15normal_iteratorINS9_10device_ptrIiEEEESE_iNS9_4plusIvEEiEEDaPvRmT3_T4_T5_mT6_P12ihipStream_tbENKUlT_T0_E_clISt17integral_constantIbLb1EESU_EEDaSP_SQ_EUlSP_E_NS1_11comp_targetILNS1_3genE10ELNS1_11target_archE1200ELNS1_3gpuE4ELNS1_3repE0EEENS1_30default_config_static_selectorELNS0_4arch9wavefront6targetE1EEEvT1_,comdat
	.protected	_ZN7rocprim17ROCPRIM_400000_NS6detail17trampoline_kernelINS0_14default_configENS1_20scan_config_selectorIiEEZZNS1_9scan_implILNS1_25lookback_scan_determinismE0ELb1ELb1ES3_N6thrust23THRUST_200600_302600_NS6detail15normal_iteratorINS9_10device_ptrIiEEEESE_iNS9_4plusIvEEiEEDaPvRmT3_T4_T5_mT6_P12ihipStream_tbENKUlT_T0_E_clISt17integral_constantIbLb1EESU_EEDaSP_SQ_EUlSP_E_NS1_11comp_targetILNS1_3genE10ELNS1_11target_archE1200ELNS1_3gpuE4ELNS1_3repE0EEENS1_30default_config_static_selectorELNS0_4arch9wavefront6targetE1EEEvT1_ ; -- Begin function _ZN7rocprim17ROCPRIM_400000_NS6detail17trampoline_kernelINS0_14default_configENS1_20scan_config_selectorIiEEZZNS1_9scan_implILNS1_25lookback_scan_determinismE0ELb1ELb1ES3_N6thrust23THRUST_200600_302600_NS6detail15normal_iteratorINS9_10device_ptrIiEEEESE_iNS9_4plusIvEEiEEDaPvRmT3_T4_T5_mT6_P12ihipStream_tbENKUlT_T0_E_clISt17integral_constantIbLb1EESU_EEDaSP_SQ_EUlSP_E_NS1_11comp_targetILNS1_3genE10ELNS1_11target_archE1200ELNS1_3gpuE4ELNS1_3repE0EEENS1_30default_config_static_selectorELNS0_4arch9wavefront6targetE1EEEvT1_
	.globl	_ZN7rocprim17ROCPRIM_400000_NS6detail17trampoline_kernelINS0_14default_configENS1_20scan_config_selectorIiEEZZNS1_9scan_implILNS1_25lookback_scan_determinismE0ELb1ELb1ES3_N6thrust23THRUST_200600_302600_NS6detail15normal_iteratorINS9_10device_ptrIiEEEESE_iNS9_4plusIvEEiEEDaPvRmT3_T4_T5_mT6_P12ihipStream_tbENKUlT_T0_E_clISt17integral_constantIbLb1EESU_EEDaSP_SQ_EUlSP_E_NS1_11comp_targetILNS1_3genE10ELNS1_11target_archE1200ELNS1_3gpuE4ELNS1_3repE0EEENS1_30default_config_static_selectorELNS0_4arch9wavefront6targetE1EEEvT1_
	.p2align	8
	.type	_ZN7rocprim17ROCPRIM_400000_NS6detail17trampoline_kernelINS0_14default_configENS1_20scan_config_selectorIiEEZZNS1_9scan_implILNS1_25lookback_scan_determinismE0ELb1ELb1ES3_N6thrust23THRUST_200600_302600_NS6detail15normal_iteratorINS9_10device_ptrIiEEEESE_iNS9_4plusIvEEiEEDaPvRmT3_T4_T5_mT6_P12ihipStream_tbENKUlT_T0_E_clISt17integral_constantIbLb1EESU_EEDaSP_SQ_EUlSP_E_NS1_11comp_targetILNS1_3genE10ELNS1_11target_archE1200ELNS1_3gpuE4ELNS1_3repE0EEENS1_30default_config_static_selectorELNS0_4arch9wavefront6targetE1EEEvT1_,@function
_ZN7rocprim17ROCPRIM_400000_NS6detail17trampoline_kernelINS0_14default_configENS1_20scan_config_selectorIiEEZZNS1_9scan_implILNS1_25lookback_scan_determinismE0ELb1ELb1ES3_N6thrust23THRUST_200600_302600_NS6detail15normal_iteratorINS9_10device_ptrIiEEEESE_iNS9_4plusIvEEiEEDaPvRmT3_T4_T5_mT6_P12ihipStream_tbENKUlT_T0_E_clISt17integral_constantIbLb1EESU_EEDaSP_SQ_EUlSP_E_NS1_11comp_targetILNS1_3genE10ELNS1_11target_archE1200ELNS1_3gpuE4ELNS1_3repE0EEENS1_30default_config_static_selectorELNS0_4arch9wavefront6targetE1EEEvT1_: ; @_ZN7rocprim17ROCPRIM_400000_NS6detail17trampoline_kernelINS0_14default_configENS1_20scan_config_selectorIiEEZZNS1_9scan_implILNS1_25lookback_scan_determinismE0ELb1ELb1ES3_N6thrust23THRUST_200600_302600_NS6detail15normal_iteratorINS9_10device_ptrIiEEEESE_iNS9_4plusIvEEiEEDaPvRmT3_T4_T5_mT6_P12ihipStream_tbENKUlT_T0_E_clISt17integral_constantIbLb1EESU_EEDaSP_SQ_EUlSP_E_NS1_11comp_targetILNS1_3genE10ELNS1_11target_archE1200ELNS1_3gpuE4ELNS1_3repE0EEENS1_30default_config_static_selectorELNS0_4arch9wavefront6targetE1EEEvT1_
; %bb.0:
	.section	.rodata,"a",@progbits
	.p2align	6, 0x0
	.amdhsa_kernel _ZN7rocprim17ROCPRIM_400000_NS6detail17trampoline_kernelINS0_14default_configENS1_20scan_config_selectorIiEEZZNS1_9scan_implILNS1_25lookback_scan_determinismE0ELb1ELb1ES3_N6thrust23THRUST_200600_302600_NS6detail15normal_iteratorINS9_10device_ptrIiEEEESE_iNS9_4plusIvEEiEEDaPvRmT3_T4_T5_mT6_P12ihipStream_tbENKUlT_T0_E_clISt17integral_constantIbLb1EESU_EEDaSP_SQ_EUlSP_E_NS1_11comp_targetILNS1_3genE10ELNS1_11target_archE1200ELNS1_3gpuE4ELNS1_3repE0EEENS1_30default_config_static_selectorELNS0_4arch9wavefront6targetE1EEEvT1_
		.amdhsa_group_segment_fixed_size 0
		.amdhsa_private_segment_fixed_size 0
		.amdhsa_kernarg_size 96
		.amdhsa_user_sgpr_count 6
		.amdhsa_user_sgpr_private_segment_buffer 1
		.amdhsa_user_sgpr_dispatch_ptr 0
		.amdhsa_user_sgpr_queue_ptr 0
		.amdhsa_user_sgpr_kernarg_segment_ptr 1
		.amdhsa_user_sgpr_dispatch_id 0
		.amdhsa_user_sgpr_flat_scratch_init 0
		.amdhsa_user_sgpr_kernarg_preload_length 0
		.amdhsa_user_sgpr_kernarg_preload_offset 0
		.amdhsa_user_sgpr_private_segment_size 0
		.amdhsa_uses_dynamic_stack 0
		.amdhsa_system_sgpr_private_segment_wavefront_offset 0
		.amdhsa_system_sgpr_workgroup_id_x 1
		.amdhsa_system_sgpr_workgroup_id_y 0
		.amdhsa_system_sgpr_workgroup_id_z 0
		.amdhsa_system_sgpr_workgroup_info 0
		.amdhsa_system_vgpr_workitem_id 0
		.amdhsa_next_free_vgpr 1
		.amdhsa_next_free_sgpr 0
		.amdhsa_accum_offset 4
		.amdhsa_reserve_vcc 0
		.amdhsa_reserve_flat_scratch 0
		.amdhsa_float_round_mode_32 0
		.amdhsa_float_round_mode_16_64 0
		.amdhsa_float_denorm_mode_32 3
		.amdhsa_float_denorm_mode_16_64 3
		.amdhsa_dx10_clamp 1
		.amdhsa_ieee_mode 1
		.amdhsa_fp16_overflow 0
		.amdhsa_tg_split 0
		.amdhsa_exception_fp_ieee_invalid_op 0
		.amdhsa_exception_fp_denorm_src 0
		.amdhsa_exception_fp_ieee_div_zero 0
		.amdhsa_exception_fp_ieee_overflow 0
		.amdhsa_exception_fp_ieee_underflow 0
		.amdhsa_exception_fp_ieee_inexact 0
		.amdhsa_exception_int_div_zero 0
	.end_amdhsa_kernel
	.section	.text._ZN7rocprim17ROCPRIM_400000_NS6detail17trampoline_kernelINS0_14default_configENS1_20scan_config_selectorIiEEZZNS1_9scan_implILNS1_25lookback_scan_determinismE0ELb1ELb1ES3_N6thrust23THRUST_200600_302600_NS6detail15normal_iteratorINS9_10device_ptrIiEEEESE_iNS9_4plusIvEEiEEDaPvRmT3_T4_T5_mT6_P12ihipStream_tbENKUlT_T0_E_clISt17integral_constantIbLb1EESU_EEDaSP_SQ_EUlSP_E_NS1_11comp_targetILNS1_3genE10ELNS1_11target_archE1200ELNS1_3gpuE4ELNS1_3repE0EEENS1_30default_config_static_selectorELNS0_4arch9wavefront6targetE1EEEvT1_,"axG",@progbits,_ZN7rocprim17ROCPRIM_400000_NS6detail17trampoline_kernelINS0_14default_configENS1_20scan_config_selectorIiEEZZNS1_9scan_implILNS1_25lookback_scan_determinismE0ELb1ELb1ES3_N6thrust23THRUST_200600_302600_NS6detail15normal_iteratorINS9_10device_ptrIiEEEESE_iNS9_4plusIvEEiEEDaPvRmT3_T4_T5_mT6_P12ihipStream_tbENKUlT_T0_E_clISt17integral_constantIbLb1EESU_EEDaSP_SQ_EUlSP_E_NS1_11comp_targetILNS1_3genE10ELNS1_11target_archE1200ELNS1_3gpuE4ELNS1_3repE0EEENS1_30default_config_static_selectorELNS0_4arch9wavefront6targetE1EEEvT1_,comdat
.Lfunc_end828:
	.size	_ZN7rocprim17ROCPRIM_400000_NS6detail17trampoline_kernelINS0_14default_configENS1_20scan_config_selectorIiEEZZNS1_9scan_implILNS1_25lookback_scan_determinismE0ELb1ELb1ES3_N6thrust23THRUST_200600_302600_NS6detail15normal_iteratorINS9_10device_ptrIiEEEESE_iNS9_4plusIvEEiEEDaPvRmT3_T4_T5_mT6_P12ihipStream_tbENKUlT_T0_E_clISt17integral_constantIbLb1EESU_EEDaSP_SQ_EUlSP_E_NS1_11comp_targetILNS1_3genE10ELNS1_11target_archE1200ELNS1_3gpuE4ELNS1_3repE0EEENS1_30default_config_static_selectorELNS0_4arch9wavefront6targetE1EEEvT1_, .Lfunc_end828-_ZN7rocprim17ROCPRIM_400000_NS6detail17trampoline_kernelINS0_14default_configENS1_20scan_config_selectorIiEEZZNS1_9scan_implILNS1_25lookback_scan_determinismE0ELb1ELb1ES3_N6thrust23THRUST_200600_302600_NS6detail15normal_iteratorINS9_10device_ptrIiEEEESE_iNS9_4plusIvEEiEEDaPvRmT3_T4_T5_mT6_P12ihipStream_tbENKUlT_T0_E_clISt17integral_constantIbLb1EESU_EEDaSP_SQ_EUlSP_E_NS1_11comp_targetILNS1_3genE10ELNS1_11target_archE1200ELNS1_3gpuE4ELNS1_3repE0EEENS1_30default_config_static_selectorELNS0_4arch9wavefront6targetE1EEEvT1_
                                        ; -- End function
	.section	.AMDGPU.csdata,"",@progbits
; Kernel info:
; codeLenInByte = 0
; NumSgprs: 4
; NumVgprs: 0
; NumAgprs: 0
; TotalNumVgprs: 0
; ScratchSize: 0
; MemoryBound: 0
; FloatMode: 240
; IeeeMode: 1
; LDSByteSize: 0 bytes/workgroup (compile time only)
; SGPRBlocks: 0
; VGPRBlocks: 0
; NumSGPRsForWavesPerEU: 4
; NumVGPRsForWavesPerEU: 1
; AccumOffset: 4
; Occupancy: 8
; WaveLimiterHint : 0
; COMPUTE_PGM_RSRC2:SCRATCH_EN: 0
; COMPUTE_PGM_RSRC2:USER_SGPR: 6
; COMPUTE_PGM_RSRC2:TRAP_HANDLER: 0
; COMPUTE_PGM_RSRC2:TGID_X_EN: 1
; COMPUTE_PGM_RSRC2:TGID_Y_EN: 0
; COMPUTE_PGM_RSRC2:TGID_Z_EN: 0
; COMPUTE_PGM_RSRC2:TIDIG_COMP_CNT: 0
; COMPUTE_PGM_RSRC3_GFX90A:ACCUM_OFFSET: 0
; COMPUTE_PGM_RSRC3_GFX90A:TG_SPLIT: 0
	.section	.text._ZN7rocprim17ROCPRIM_400000_NS6detail17trampoline_kernelINS0_14default_configENS1_20scan_config_selectorIiEEZZNS1_9scan_implILNS1_25lookback_scan_determinismE0ELb1ELb1ES3_N6thrust23THRUST_200600_302600_NS6detail15normal_iteratorINS9_10device_ptrIiEEEESE_iNS9_4plusIvEEiEEDaPvRmT3_T4_T5_mT6_P12ihipStream_tbENKUlT_T0_E_clISt17integral_constantIbLb1EESU_EEDaSP_SQ_EUlSP_E_NS1_11comp_targetILNS1_3genE9ELNS1_11target_archE1100ELNS1_3gpuE3ELNS1_3repE0EEENS1_30default_config_static_selectorELNS0_4arch9wavefront6targetE1EEEvT1_,"axG",@progbits,_ZN7rocprim17ROCPRIM_400000_NS6detail17trampoline_kernelINS0_14default_configENS1_20scan_config_selectorIiEEZZNS1_9scan_implILNS1_25lookback_scan_determinismE0ELb1ELb1ES3_N6thrust23THRUST_200600_302600_NS6detail15normal_iteratorINS9_10device_ptrIiEEEESE_iNS9_4plusIvEEiEEDaPvRmT3_T4_T5_mT6_P12ihipStream_tbENKUlT_T0_E_clISt17integral_constantIbLb1EESU_EEDaSP_SQ_EUlSP_E_NS1_11comp_targetILNS1_3genE9ELNS1_11target_archE1100ELNS1_3gpuE3ELNS1_3repE0EEENS1_30default_config_static_selectorELNS0_4arch9wavefront6targetE1EEEvT1_,comdat
	.protected	_ZN7rocprim17ROCPRIM_400000_NS6detail17trampoline_kernelINS0_14default_configENS1_20scan_config_selectorIiEEZZNS1_9scan_implILNS1_25lookback_scan_determinismE0ELb1ELb1ES3_N6thrust23THRUST_200600_302600_NS6detail15normal_iteratorINS9_10device_ptrIiEEEESE_iNS9_4plusIvEEiEEDaPvRmT3_T4_T5_mT6_P12ihipStream_tbENKUlT_T0_E_clISt17integral_constantIbLb1EESU_EEDaSP_SQ_EUlSP_E_NS1_11comp_targetILNS1_3genE9ELNS1_11target_archE1100ELNS1_3gpuE3ELNS1_3repE0EEENS1_30default_config_static_selectorELNS0_4arch9wavefront6targetE1EEEvT1_ ; -- Begin function _ZN7rocprim17ROCPRIM_400000_NS6detail17trampoline_kernelINS0_14default_configENS1_20scan_config_selectorIiEEZZNS1_9scan_implILNS1_25lookback_scan_determinismE0ELb1ELb1ES3_N6thrust23THRUST_200600_302600_NS6detail15normal_iteratorINS9_10device_ptrIiEEEESE_iNS9_4plusIvEEiEEDaPvRmT3_T4_T5_mT6_P12ihipStream_tbENKUlT_T0_E_clISt17integral_constantIbLb1EESU_EEDaSP_SQ_EUlSP_E_NS1_11comp_targetILNS1_3genE9ELNS1_11target_archE1100ELNS1_3gpuE3ELNS1_3repE0EEENS1_30default_config_static_selectorELNS0_4arch9wavefront6targetE1EEEvT1_
	.globl	_ZN7rocprim17ROCPRIM_400000_NS6detail17trampoline_kernelINS0_14default_configENS1_20scan_config_selectorIiEEZZNS1_9scan_implILNS1_25lookback_scan_determinismE0ELb1ELb1ES3_N6thrust23THRUST_200600_302600_NS6detail15normal_iteratorINS9_10device_ptrIiEEEESE_iNS9_4plusIvEEiEEDaPvRmT3_T4_T5_mT6_P12ihipStream_tbENKUlT_T0_E_clISt17integral_constantIbLb1EESU_EEDaSP_SQ_EUlSP_E_NS1_11comp_targetILNS1_3genE9ELNS1_11target_archE1100ELNS1_3gpuE3ELNS1_3repE0EEENS1_30default_config_static_selectorELNS0_4arch9wavefront6targetE1EEEvT1_
	.p2align	8
	.type	_ZN7rocprim17ROCPRIM_400000_NS6detail17trampoline_kernelINS0_14default_configENS1_20scan_config_selectorIiEEZZNS1_9scan_implILNS1_25lookback_scan_determinismE0ELb1ELb1ES3_N6thrust23THRUST_200600_302600_NS6detail15normal_iteratorINS9_10device_ptrIiEEEESE_iNS9_4plusIvEEiEEDaPvRmT3_T4_T5_mT6_P12ihipStream_tbENKUlT_T0_E_clISt17integral_constantIbLb1EESU_EEDaSP_SQ_EUlSP_E_NS1_11comp_targetILNS1_3genE9ELNS1_11target_archE1100ELNS1_3gpuE3ELNS1_3repE0EEENS1_30default_config_static_selectorELNS0_4arch9wavefront6targetE1EEEvT1_,@function
_ZN7rocprim17ROCPRIM_400000_NS6detail17trampoline_kernelINS0_14default_configENS1_20scan_config_selectorIiEEZZNS1_9scan_implILNS1_25lookback_scan_determinismE0ELb1ELb1ES3_N6thrust23THRUST_200600_302600_NS6detail15normal_iteratorINS9_10device_ptrIiEEEESE_iNS9_4plusIvEEiEEDaPvRmT3_T4_T5_mT6_P12ihipStream_tbENKUlT_T0_E_clISt17integral_constantIbLb1EESU_EEDaSP_SQ_EUlSP_E_NS1_11comp_targetILNS1_3genE9ELNS1_11target_archE1100ELNS1_3gpuE3ELNS1_3repE0EEENS1_30default_config_static_selectorELNS0_4arch9wavefront6targetE1EEEvT1_: ; @_ZN7rocprim17ROCPRIM_400000_NS6detail17trampoline_kernelINS0_14default_configENS1_20scan_config_selectorIiEEZZNS1_9scan_implILNS1_25lookback_scan_determinismE0ELb1ELb1ES3_N6thrust23THRUST_200600_302600_NS6detail15normal_iteratorINS9_10device_ptrIiEEEESE_iNS9_4plusIvEEiEEDaPvRmT3_T4_T5_mT6_P12ihipStream_tbENKUlT_T0_E_clISt17integral_constantIbLb1EESU_EEDaSP_SQ_EUlSP_E_NS1_11comp_targetILNS1_3genE9ELNS1_11target_archE1100ELNS1_3gpuE3ELNS1_3repE0EEENS1_30default_config_static_selectorELNS0_4arch9wavefront6targetE1EEEvT1_
; %bb.0:
	.section	.rodata,"a",@progbits
	.p2align	6, 0x0
	.amdhsa_kernel _ZN7rocprim17ROCPRIM_400000_NS6detail17trampoline_kernelINS0_14default_configENS1_20scan_config_selectorIiEEZZNS1_9scan_implILNS1_25lookback_scan_determinismE0ELb1ELb1ES3_N6thrust23THRUST_200600_302600_NS6detail15normal_iteratorINS9_10device_ptrIiEEEESE_iNS9_4plusIvEEiEEDaPvRmT3_T4_T5_mT6_P12ihipStream_tbENKUlT_T0_E_clISt17integral_constantIbLb1EESU_EEDaSP_SQ_EUlSP_E_NS1_11comp_targetILNS1_3genE9ELNS1_11target_archE1100ELNS1_3gpuE3ELNS1_3repE0EEENS1_30default_config_static_selectorELNS0_4arch9wavefront6targetE1EEEvT1_
		.amdhsa_group_segment_fixed_size 0
		.amdhsa_private_segment_fixed_size 0
		.amdhsa_kernarg_size 96
		.amdhsa_user_sgpr_count 6
		.amdhsa_user_sgpr_private_segment_buffer 1
		.amdhsa_user_sgpr_dispatch_ptr 0
		.amdhsa_user_sgpr_queue_ptr 0
		.amdhsa_user_sgpr_kernarg_segment_ptr 1
		.amdhsa_user_sgpr_dispatch_id 0
		.amdhsa_user_sgpr_flat_scratch_init 0
		.amdhsa_user_sgpr_kernarg_preload_length 0
		.amdhsa_user_sgpr_kernarg_preload_offset 0
		.amdhsa_user_sgpr_private_segment_size 0
		.amdhsa_uses_dynamic_stack 0
		.amdhsa_system_sgpr_private_segment_wavefront_offset 0
		.amdhsa_system_sgpr_workgroup_id_x 1
		.amdhsa_system_sgpr_workgroup_id_y 0
		.amdhsa_system_sgpr_workgroup_id_z 0
		.amdhsa_system_sgpr_workgroup_info 0
		.amdhsa_system_vgpr_workitem_id 0
		.amdhsa_next_free_vgpr 1
		.amdhsa_next_free_sgpr 0
		.amdhsa_accum_offset 4
		.amdhsa_reserve_vcc 0
		.amdhsa_reserve_flat_scratch 0
		.amdhsa_float_round_mode_32 0
		.amdhsa_float_round_mode_16_64 0
		.amdhsa_float_denorm_mode_32 3
		.amdhsa_float_denorm_mode_16_64 3
		.amdhsa_dx10_clamp 1
		.amdhsa_ieee_mode 1
		.amdhsa_fp16_overflow 0
		.amdhsa_tg_split 0
		.amdhsa_exception_fp_ieee_invalid_op 0
		.amdhsa_exception_fp_denorm_src 0
		.amdhsa_exception_fp_ieee_div_zero 0
		.amdhsa_exception_fp_ieee_overflow 0
		.amdhsa_exception_fp_ieee_underflow 0
		.amdhsa_exception_fp_ieee_inexact 0
		.amdhsa_exception_int_div_zero 0
	.end_amdhsa_kernel
	.section	.text._ZN7rocprim17ROCPRIM_400000_NS6detail17trampoline_kernelINS0_14default_configENS1_20scan_config_selectorIiEEZZNS1_9scan_implILNS1_25lookback_scan_determinismE0ELb1ELb1ES3_N6thrust23THRUST_200600_302600_NS6detail15normal_iteratorINS9_10device_ptrIiEEEESE_iNS9_4plusIvEEiEEDaPvRmT3_T4_T5_mT6_P12ihipStream_tbENKUlT_T0_E_clISt17integral_constantIbLb1EESU_EEDaSP_SQ_EUlSP_E_NS1_11comp_targetILNS1_3genE9ELNS1_11target_archE1100ELNS1_3gpuE3ELNS1_3repE0EEENS1_30default_config_static_selectorELNS0_4arch9wavefront6targetE1EEEvT1_,"axG",@progbits,_ZN7rocprim17ROCPRIM_400000_NS6detail17trampoline_kernelINS0_14default_configENS1_20scan_config_selectorIiEEZZNS1_9scan_implILNS1_25lookback_scan_determinismE0ELb1ELb1ES3_N6thrust23THRUST_200600_302600_NS6detail15normal_iteratorINS9_10device_ptrIiEEEESE_iNS9_4plusIvEEiEEDaPvRmT3_T4_T5_mT6_P12ihipStream_tbENKUlT_T0_E_clISt17integral_constantIbLb1EESU_EEDaSP_SQ_EUlSP_E_NS1_11comp_targetILNS1_3genE9ELNS1_11target_archE1100ELNS1_3gpuE3ELNS1_3repE0EEENS1_30default_config_static_selectorELNS0_4arch9wavefront6targetE1EEEvT1_,comdat
.Lfunc_end829:
	.size	_ZN7rocprim17ROCPRIM_400000_NS6detail17trampoline_kernelINS0_14default_configENS1_20scan_config_selectorIiEEZZNS1_9scan_implILNS1_25lookback_scan_determinismE0ELb1ELb1ES3_N6thrust23THRUST_200600_302600_NS6detail15normal_iteratorINS9_10device_ptrIiEEEESE_iNS9_4plusIvEEiEEDaPvRmT3_T4_T5_mT6_P12ihipStream_tbENKUlT_T0_E_clISt17integral_constantIbLb1EESU_EEDaSP_SQ_EUlSP_E_NS1_11comp_targetILNS1_3genE9ELNS1_11target_archE1100ELNS1_3gpuE3ELNS1_3repE0EEENS1_30default_config_static_selectorELNS0_4arch9wavefront6targetE1EEEvT1_, .Lfunc_end829-_ZN7rocprim17ROCPRIM_400000_NS6detail17trampoline_kernelINS0_14default_configENS1_20scan_config_selectorIiEEZZNS1_9scan_implILNS1_25lookback_scan_determinismE0ELb1ELb1ES3_N6thrust23THRUST_200600_302600_NS6detail15normal_iteratorINS9_10device_ptrIiEEEESE_iNS9_4plusIvEEiEEDaPvRmT3_T4_T5_mT6_P12ihipStream_tbENKUlT_T0_E_clISt17integral_constantIbLb1EESU_EEDaSP_SQ_EUlSP_E_NS1_11comp_targetILNS1_3genE9ELNS1_11target_archE1100ELNS1_3gpuE3ELNS1_3repE0EEENS1_30default_config_static_selectorELNS0_4arch9wavefront6targetE1EEEvT1_
                                        ; -- End function
	.section	.AMDGPU.csdata,"",@progbits
; Kernel info:
; codeLenInByte = 0
; NumSgprs: 4
; NumVgprs: 0
; NumAgprs: 0
; TotalNumVgprs: 0
; ScratchSize: 0
; MemoryBound: 0
; FloatMode: 240
; IeeeMode: 1
; LDSByteSize: 0 bytes/workgroup (compile time only)
; SGPRBlocks: 0
; VGPRBlocks: 0
; NumSGPRsForWavesPerEU: 4
; NumVGPRsForWavesPerEU: 1
; AccumOffset: 4
; Occupancy: 8
; WaveLimiterHint : 0
; COMPUTE_PGM_RSRC2:SCRATCH_EN: 0
; COMPUTE_PGM_RSRC2:USER_SGPR: 6
; COMPUTE_PGM_RSRC2:TRAP_HANDLER: 0
; COMPUTE_PGM_RSRC2:TGID_X_EN: 1
; COMPUTE_PGM_RSRC2:TGID_Y_EN: 0
; COMPUTE_PGM_RSRC2:TGID_Z_EN: 0
; COMPUTE_PGM_RSRC2:TIDIG_COMP_CNT: 0
; COMPUTE_PGM_RSRC3_GFX90A:ACCUM_OFFSET: 0
; COMPUTE_PGM_RSRC3_GFX90A:TG_SPLIT: 0
	.section	.text._ZN7rocprim17ROCPRIM_400000_NS6detail17trampoline_kernelINS0_14default_configENS1_20scan_config_selectorIiEEZZNS1_9scan_implILNS1_25lookback_scan_determinismE0ELb1ELb1ES3_N6thrust23THRUST_200600_302600_NS6detail15normal_iteratorINS9_10device_ptrIiEEEESE_iNS9_4plusIvEEiEEDaPvRmT3_T4_T5_mT6_P12ihipStream_tbENKUlT_T0_E_clISt17integral_constantIbLb1EESU_EEDaSP_SQ_EUlSP_E_NS1_11comp_targetILNS1_3genE8ELNS1_11target_archE1030ELNS1_3gpuE2ELNS1_3repE0EEENS1_30default_config_static_selectorELNS0_4arch9wavefront6targetE1EEEvT1_,"axG",@progbits,_ZN7rocprim17ROCPRIM_400000_NS6detail17trampoline_kernelINS0_14default_configENS1_20scan_config_selectorIiEEZZNS1_9scan_implILNS1_25lookback_scan_determinismE0ELb1ELb1ES3_N6thrust23THRUST_200600_302600_NS6detail15normal_iteratorINS9_10device_ptrIiEEEESE_iNS9_4plusIvEEiEEDaPvRmT3_T4_T5_mT6_P12ihipStream_tbENKUlT_T0_E_clISt17integral_constantIbLb1EESU_EEDaSP_SQ_EUlSP_E_NS1_11comp_targetILNS1_3genE8ELNS1_11target_archE1030ELNS1_3gpuE2ELNS1_3repE0EEENS1_30default_config_static_selectorELNS0_4arch9wavefront6targetE1EEEvT1_,comdat
	.protected	_ZN7rocprim17ROCPRIM_400000_NS6detail17trampoline_kernelINS0_14default_configENS1_20scan_config_selectorIiEEZZNS1_9scan_implILNS1_25lookback_scan_determinismE0ELb1ELb1ES3_N6thrust23THRUST_200600_302600_NS6detail15normal_iteratorINS9_10device_ptrIiEEEESE_iNS9_4plusIvEEiEEDaPvRmT3_T4_T5_mT6_P12ihipStream_tbENKUlT_T0_E_clISt17integral_constantIbLb1EESU_EEDaSP_SQ_EUlSP_E_NS1_11comp_targetILNS1_3genE8ELNS1_11target_archE1030ELNS1_3gpuE2ELNS1_3repE0EEENS1_30default_config_static_selectorELNS0_4arch9wavefront6targetE1EEEvT1_ ; -- Begin function _ZN7rocprim17ROCPRIM_400000_NS6detail17trampoline_kernelINS0_14default_configENS1_20scan_config_selectorIiEEZZNS1_9scan_implILNS1_25lookback_scan_determinismE0ELb1ELb1ES3_N6thrust23THRUST_200600_302600_NS6detail15normal_iteratorINS9_10device_ptrIiEEEESE_iNS9_4plusIvEEiEEDaPvRmT3_T4_T5_mT6_P12ihipStream_tbENKUlT_T0_E_clISt17integral_constantIbLb1EESU_EEDaSP_SQ_EUlSP_E_NS1_11comp_targetILNS1_3genE8ELNS1_11target_archE1030ELNS1_3gpuE2ELNS1_3repE0EEENS1_30default_config_static_selectorELNS0_4arch9wavefront6targetE1EEEvT1_
	.globl	_ZN7rocprim17ROCPRIM_400000_NS6detail17trampoline_kernelINS0_14default_configENS1_20scan_config_selectorIiEEZZNS1_9scan_implILNS1_25lookback_scan_determinismE0ELb1ELb1ES3_N6thrust23THRUST_200600_302600_NS6detail15normal_iteratorINS9_10device_ptrIiEEEESE_iNS9_4plusIvEEiEEDaPvRmT3_T4_T5_mT6_P12ihipStream_tbENKUlT_T0_E_clISt17integral_constantIbLb1EESU_EEDaSP_SQ_EUlSP_E_NS1_11comp_targetILNS1_3genE8ELNS1_11target_archE1030ELNS1_3gpuE2ELNS1_3repE0EEENS1_30default_config_static_selectorELNS0_4arch9wavefront6targetE1EEEvT1_
	.p2align	8
	.type	_ZN7rocprim17ROCPRIM_400000_NS6detail17trampoline_kernelINS0_14default_configENS1_20scan_config_selectorIiEEZZNS1_9scan_implILNS1_25lookback_scan_determinismE0ELb1ELb1ES3_N6thrust23THRUST_200600_302600_NS6detail15normal_iteratorINS9_10device_ptrIiEEEESE_iNS9_4plusIvEEiEEDaPvRmT3_T4_T5_mT6_P12ihipStream_tbENKUlT_T0_E_clISt17integral_constantIbLb1EESU_EEDaSP_SQ_EUlSP_E_NS1_11comp_targetILNS1_3genE8ELNS1_11target_archE1030ELNS1_3gpuE2ELNS1_3repE0EEENS1_30default_config_static_selectorELNS0_4arch9wavefront6targetE1EEEvT1_,@function
_ZN7rocprim17ROCPRIM_400000_NS6detail17trampoline_kernelINS0_14default_configENS1_20scan_config_selectorIiEEZZNS1_9scan_implILNS1_25lookback_scan_determinismE0ELb1ELb1ES3_N6thrust23THRUST_200600_302600_NS6detail15normal_iteratorINS9_10device_ptrIiEEEESE_iNS9_4plusIvEEiEEDaPvRmT3_T4_T5_mT6_P12ihipStream_tbENKUlT_T0_E_clISt17integral_constantIbLb1EESU_EEDaSP_SQ_EUlSP_E_NS1_11comp_targetILNS1_3genE8ELNS1_11target_archE1030ELNS1_3gpuE2ELNS1_3repE0EEENS1_30default_config_static_selectorELNS0_4arch9wavefront6targetE1EEEvT1_: ; @_ZN7rocprim17ROCPRIM_400000_NS6detail17trampoline_kernelINS0_14default_configENS1_20scan_config_selectorIiEEZZNS1_9scan_implILNS1_25lookback_scan_determinismE0ELb1ELb1ES3_N6thrust23THRUST_200600_302600_NS6detail15normal_iteratorINS9_10device_ptrIiEEEESE_iNS9_4plusIvEEiEEDaPvRmT3_T4_T5_mT6_P12ihipStream_tbENKUlT_T0_E_clISt17integral_constantIbLb1EESU_EEDaSP_SQ_EUlSP_E_NS1_11comp_targetILNS1_3genE8ELNS1_11target_archE1030ELNS1_3gpuE2ELNS1_3repE0EEENS1_30default_config_static_selectorELNS0_4arch9wavefront6targetE1EEEvT1_
; %bb.0:
	.section	.rodata,"a",@progbits
	.p2align	6, 0x0
	.amdhsa_kernel _ZN7rocprim17ROCPRIM_400000_NS6detail17trampoline_kernelINS0_14default_configENS1_20scan_config_selectorIiEEZZNS1_9scan_implILNS1_25lookback_scan_determinismE0ELb1ELb1ES3_N6thrust23THRUST_200600_302600_NS6detail15normal_iteratorINS9_10device_ptrIiEEEESE_iNS9_4plusIvEEiEEDaPvRmT3_T4_T5_mT6_P12ihipStream_tbENKUlT_T0_E_clISt17integral_constantIbLb1EESU_EEDaSP_SQ_EUlSP_E_NS1_11comp_targetILNS1_3genE8ELNS1_11target_archE1030ELNS1_3gpuE2ELNS1_3repE0EEENS1_30default_config_static_selectorELNS0_4arch9wavefront6targetE1EEEvT1_
		.amdhsa_group_segment_fixed_size 0
		.amdhsa_private_segment_fixed_size 0
		.amdhsa_kernarg_size 96
		.amdhsa_user_sgpr_count 6
		.amdhsa_user_sgpr_private_segment_buffer 1
		.amdhsa_user_sgpr_dispatch_ptr 0
		.amdhsa_user_sgpr_queue_ptr 0
		.amdhsa_user_sgpr_kernarg_segment_ptr 1
		.amdhsa_user_sgpr_dispatch_id 0
		.amdhsa_user_sgpr_flat_scratch_init 0
		.amdhsa_user_sgpr_kernarg_preload_length 0
		.amdhsa_user_sgpr_kernarg_preload_offset 0
		.amdhsa_user_sgpr_private_segment_size 0
		.amdhsa_uses_dynamic_stack 0
		.amdhsa_system_sgpr_private_segment_wavefront_offset 0
		.amdhsa_system_sgpr_workgroup_id_x 1
		.amdhsa_system_sgpr_workgroup_id_y 0
		.amdhsa_system_sgpr_workgroup_id_z 0
		.amdhsa_system_sgpr_workgroup_info 0
		.amdhsa_system_vgpr_workitem_id 0
		.amdhsa_next_free_vgpr 1
		.amdhsa_next_free_sgpr 0
		.amdhsa_accum_offset 4
		.amdhsa_reserve_vcc 0
		.amdhsa_reserve_flat_scratch 0
		.amdhsa_float_round_mode_32 0
		.amdhsa_float_round_mode_16_64 0
		.amdhsa_float_denorm_mode_32 3
		.amdhsa_float_denorm_mode_16_64 3
		.amdhsa_dx10_clamp 1
		.amdhsa_ieee_mode 1
		.amdhsa_fp16_overflow 0
		.amdhsa_tg_split 0
		.amdhsa_exception_fp_ieee_invalid_op 0
		.amdhsa_exception_fp_denorm_src 0
		.amdhsa_exception_fp_ieee_div_zero 0
		.amdhsa_exception_fp_ieee_overflow 0
		.amdhsa_exception_fp_ieee_underflow 0
		.amdhsa_exception_fp_ieee_inexact 0
		.amdhsa_exception_int_div_zero 0
	.end_amdhsa_kernel
	.section	.text._ZN7rocprim17ROCPRIM_400000_NS6detail17trampoline_kernelINS0_14default_configENS1_20scan_config_selectorIiEEZZNS1_9scan_implILNS1_25lookback_scan_determinismE0ELb1ELb1ES3_N6thrust23THRUST_200600_302600_NS6detail15normal_iteratorINS9_10device_ptrIiEEEESE_iNS9_4plusIvEEiEEDaPvRmT3_T4_T5_mT6_P12ihipStream_tbENKUlT_T0_E_clISt17integral_constantIbLb1EESU_EEDaSP_SQ_EUlSP_E_NS1_11comp_targetILNS1_3genE8ELNS1_11target_archE1030ELNS1_3gpuE2ELNS1_3repE0EEENS1_30default_config_static_selectorELNS0_4arch9wavefront6targetE1EEEvT1_,"axG",@progbits,_ZN7rocprim17ROCPRIM_400000_NS6detail17trampoline_kernelINS0_14default_configENS1_20scan_config_selectorIiEEZZNS1_9scan_implILNS1_25lookback_scan_determinismE0ELb1ELb1ES3_N6thrust23THRUST_200600_302600_NS6detail15normal_iteratorINS9_10device_ptrIiEEEESE_iNS9_4plusIvEEiEEDaPvRmT3_T4_T5_mT6_P12ihipStream_tbENKUlT_T0_E_clISt17integral_constantIbLb1EESU_EEDaSP_SQ_EUlSP_E_NS1_11comp_targetILNS1_3genE8ELNS1_11target_archE1030ELNS1_3gpuE2ELNS1_3repE0EEENS1_30default_config_static_selectorELNS0_4arch9wavefront6targetE1EEEvT1_,comdat
.Lfunc_end830:
	.size	_ZN7rocprim17ROCPRIM_400000_NS6detail17trampoline_kernelINS0_14default_configENS1_20scan_config_selectorIiEEZZNS1_9scan_implILNS1_25lookback_scan_determinismE0ELb1ELb1ES3_N6thrust23THRUST_200600_302600_NS6detail15normal_iteratorINS9_10device_ptrIiEEEESE_iNS9_4plusIvEEiEEDaPvRmT3_T4_T5_mT6_P12ihipStream_tbENKUlT_T0_E_clISt17integral_constantIbLb1EESU_EEDaSP_SQ_EUlSP_E_NS1_11comp_targetILNS1_3genE8ELNS1_11target_archE1030ELNS1_3gpuE2ELNS1_3repE0EEENS1_30default_config_static_selectorELNS0_4arch9wavefront6targetE1EEEvT1_, .Lfunc_end830-_ZN7rocprim17ROCPRIM_400000_NS6detail17trampoline_kernelINS0_14default_configENS1_20scan_config_selectorIiEEZZNS1_9scan_implILNS1_25lookback_scan_determinismE0ELb1ELb1ES3_N6thrust23THRUST_200600_302600_NS6detail15normal_iteratorINS9_10device_ptrIiEEEESE_iNS9_4plusIvEEiEEDaPvRmT3_T4_T5_mT6_P12ihipStream_tbENKUlT_T0_E_clISt17integral_constantIbLb1EESU_EEDaSP_SQ_EUlSP_E_NS1_11comp_targetILNS1_3genE8ELNS1_11target_archE1030ELNS1_3gpuE2ELNS1_3repE0EEENS1_30default_config_static_selectorELNS0_4arch9wavefront6targetE1EEEvT1_
                                        ; -- End function
	.section	.AMDGPU.csdata,"",@progbits
; Kernel info:
; codeLenInByte = 0
; NumSgprs: 4
; NumVgprs: 0
; NumAgprs: 0
; TotalNumVgprs: 0
; ScratchSize: 0
; MemoryBound: 0
; FloatMode: 240
; IeeeMode: 1
; LDSByteSize: 0 bytes/workgroup (compile time only)
; SGPRBlocks: 0
; VGPRBlocks: 0
; NumSGPRsForWavesPerEU: 4
; NumVGPRsForWavesPerEU: 1
; AccumOffset: 4
; Occupancy: 8
; WaveLimiterHint : 0
; COMPUTE_PGM_RSRC2:SCRATCH_EN: 0
; COMPUTE_PGM_RSRC2:USER_SGPR: 6
; COMPUTE_PGM_RSRC2:TRAP_HANDLER: 0
; COMPUTE_PGM_RSRC2:TGID_X_EN: 1
; COMPUTE_PGM_RSRC2:TGID_Y_EN: 0
; COMPUTE_PGM_RSRC2:TGID_Z_EN: 0
; COMPUTE_PGM_RSRC2:TIDIG_COMP_CNT: 0
; COMPUTE_PGM_RSRC3_GFX90A:ACCUM_OFFSET: 0
; COMPUTE_PGM_RSRC3_GFX90A:TG_SPLIT: 0
	.section	.text._ZN7rocprim17ROCPRIM_400000_NS6detail17trampoline_kernelINS0_14default_configENS1_20scan_config_selectorIiEEZZNS1_9scan_implILNS1_25lookback_scan_determinismE0ELb1ELb1ES3_N6thrust23THRUST_200600_302600_NS6detail15normal_iteratorINS9_10device_ptrIiEEEESE_iNS9_4plusIvEEiEEDaPvRmT3_T4_T5_mT6_P12ihipStream_tbENKUlT_T0_E_clISt17integral_constantIbLb1EESU_EEDaSP_SQ_EUlSP_E0_NS1_11comp_targetILNS1_3genE0ELNS1_11target_archE4294967295ELNS1_3gpuE0ELNS1_3repE0EEENS1_30default_config_static_selectorELNS0_4arch9wavefront6targetE1EEEvT1_,"axG",@progbits,_ZN7rocprim17ROCPRIM_400000_NS6detail17trampoline_kernelINS0_14default_configENS1_20scan_config_selectorIiEEZZNS1_9scan_implILNS1_25lookback_scan_determinismE0ELb1ELb1ES3_N6thrust23THRUST_200600_302600_NS6detail15normal_iteratorINS9_10device_ptrIiEEEESE_iNS9_4plusIvEEiEEDaPvRmT3_T4_T5_mT6_P12ihipStream_tbENKUlT_T0_E_clISt17integral_constantIbLb1EESU_EEDaSP_SQ_EUlSP_E0_NS1_11comp_targetILNS1_3genE0ELNS1_11target_archE4294967295ELNS1_3gpuE0ELNS1_3repE0EEENS1_30default_config_static_selectorELNS0_4arch9wavefront6targetE1EEEvT1_,comdat
	.protected	_ZN7rocprim17ROCPRIM_400000_NS6detail17trampoline_kernelINS0_14default_configENS1_20scan_config_selectorIiEEZZNS1_9scan_implILNS1_25lookback_scan_determinismE0ELb1ELb1ES3_N6thrust23THRUST_200600_302600_NS6detail15normal_iteratorINS9_10device_ptrIiEEEESE_iNS9_4plusIvEEiEEDaPvRmT3_T4_T5_mT6_P12ihipStream_tbENKUlT_T0_E_clISt17integral_constantIbLb1EESU_EEDaSP_SQ_EUlSP_E0_NS1_11comp_targetILNS1_3genE0ELNS1_11target_archE4294967295ELNS1_3gpuE0ELNS1_3repE0EEENS1_30default_config_static_selectorELNS0_4arch9wavefront6targetE1EEEvT1_ ; -- Begin function _ZN7rocprim17ROCPRIM_400000_NS6detail17trampoline_kernelINS0_14default_configENS1_20scan_config_selectorIiEEZZNS1_9scan_implILNS1_25lookback_scan_determinismE0ELb1ELb1ES3_N6thrust23THRUST_200600_302600_NS6detail15normal_iteratorINS9_10device_ptrIiEEEESE_iNS9_4plusIvEEiEEDaPvRmT3_T4_T5_mT6_P12ihipStream_tbENKUlT_T0_E_clISt17integral_constantIbLb1EESU_EEDaSP_SQ_EUlSP_E0_NS1_11comp_targetILNS1_3genE0ELNS1_11target_archE4294967295ELNS1_3gpuE0ELNS1_3repE0EEENS1_30default_config_static_selectorELNS0_4arch9wavefront6targetE1EEEvT1_
	.globl	_ZN7rocprim17ROCPRIM_400000_NS6detail17trampoline_kernelINS0_14default_configENS1_20scan_config_selectorIiEEZZNS1_9scan_implILNS1_25lookback_scan_determinismE0ELb1ELb1ES3_N6thrust23THRUST_200600_302600_NS6detail15normal_iteratorINS9_10device_ptrIiEEEESE_iNS9_4plusIvEEiEEDaPvRmT3_T4_T5_mT6_P12ihipStream_tbENKUlT_T0_E_clISt17integral_constantIbLb1EESU_EEDaSP_SQ_EUlSP_E0_NS1_11comp_targetILNS1_3genE0ELNS1_11target_archE4294967295ELNS1_3gpuE0ELNS1_3repE0EEENS1_30default_config_static_selectorELNS0_4arch9wavefront6targetE1EEEvT1_
	.p2align	8
	.type	_ZN7rocprim17ROCPRIM_400000_NS6detail17trampoline_kernelINS0_14default_configENS1_20scan_config_selectorIiEEZZNS1_9scan_implILNS1_25lookback_scan_determinismE0ELb1ELb1ES3_N6thrust23THRUST_200600_302600_NS6detail15normal_iteratorINS9_10device_ptrIiEEEESE_iNS9_4plusIvEEiEEDaPvRmT3_T4_T5_mT6_P12ihipStream_tbENKUlT_T0_E_clISt17integral_constantIbLb1EESU_EEDaSP_SQ_EUlSP_E0_NS1_11comp_targetILNS1_3genE0ELNS1_11target_archE4294967295ELNS1_3gpuE0ELNS1_3repE0EEENS1_30default_config_static_selectorELNS0_4arch9wavefront6targetE1EEEvT1_,@function
_ZN7rocprim17ROCPRIM_400000_NS6detail17trampoline_kernelINS0_14default_configENS1_20scan_config_selectorIiEEZZNS1_9scan_implILNS1_25lookback_scan_determinismE0ELb1ELb1ES3_N6thrust23THRUST_200600_302600_NS6detail15normal_iteratorINS9_10device_ptrIiEEEESE_iNS9_4plusIvEEiEEDaPvRmT3_T4_T5_mT6_P12ihipStream_tbENKUlT_T0_E_clISt17integral_constantIbLb1EESU_EEDaSP_SQ_EUlSP_E0_NS1_11comp_targetILNS1_3genE0ELNS1_11target_archE4294967295ELNS1_3gpuE0ELNS1_3repE0EEENS1_30default_config_static_selectorELNS0_4arch9wavefront6targetE1EEEvT1_: ; @_ZN7rocprim17ROCPRIM_400000_NS6detail17trampoline_kernelINS0_14default_configENS1_20scan_config_selectorIiEEZZNS1_9scan_implILNS1_25lookback_scan_determinismE0ELb1ELb1ES3_N6thrust23THRUST_200600_302600_NS6detail15normal_iteratorINS9_10device_ptrIiEEEESE_iNS9_4plusIvEEiEEDaPvRmT3_T4_T5_mT6_P12ihipStream_tbENKUlT_T0_E_clISt17integral_constantIbLb1EESU_EEDaSP_SQ_EUlSP_E0_NS1_11comp_targetILNS1_3genE0ELNS1_11target_archE4294967295ELNS1_3gpuE0ELNS1_3repE0EEENS1_30default_config_static_selectorELNS0_4arch9wavefront6targetE1EEEvT1_
; %bb.0:
	.section	.rodata,"a",@progbits
	.p2align	6, 0x0
	.amdhsa_kernel _ZN7rocprim17ROCPRIM_400000_NS6detail17trampoline_kernelINS0_14default_configENS1_20scan_config_selectorIiEEZZNS1_9scan_implILNS1_25lookback_scan_determinismE0ELb1ELb1ES3_N6thrust23THRUST_200600_302600_NS6detail15normal_iteratorINS9_10device_ptrIiEEEESE_iNS9_4plusIvEEiEEDaPvRmT3_T4_T5_mT6_P12ihipStream_tbENKUlT_T0_E_clISt17integral_constantIbLb1EESU_EEDaSP_SQ_EUlSP_E0_NS1_11comp_targetILNS1_3genE0ELNS1_11target_archE4294967295ELNS1_3gpuE0ELNS1_3repE0EEENS1_30default_config_static_selectorELNS0_4arch9wavefront6targetE1EEEvT1_
		.amdhsa_group_segment_fixed_size 0
		.amdhsa_private_segment_fixed_size 0
		.amdhsa_kernarg_size 32
		.amdhsa_user_sgpr_count 6
		.amdhsa_user_sgpr_private_segment_buffer 1
		.amdhsa_user_sgpr_dispatch_ptr 0
		.amdhsa_user_sgpr_queue_ptr 0
		.amdhsa_user_sgpr_kernarg_segment_ptr 1
		.amdhsa_user_sgpr_dispatch_id 0
		.amdhsa_user_sgpr_flat_scratch_init 0
		.amdhsa_user_sgpr_kernarg_preload_length 0
		.amdhsa_user_sgpr_kernarg_preload_offset 0
		.amdhsa_user_sgpr_private_segment_size 0
		.amdhsa_uses_dynamic_stack 0
		.amdhsa_system_sgpr_private_segment_wavefront_offset 0
		.amdhsa_system_sgpr_workgroup_id_x 1
		.amdhsa_system_sgpr_workgroup_id_y 0
		.amdhsa_system_sgpr_workgroup_id_z 0
		.amdhsa_system_sgpr_workgroup_info 0
		.amdhsa_system_vgpr_workitem_id 0
		.amdhsa_next_free_vgpr 1
		.amdhsa_next_free_sgpr 0
		.amdhsa_accum_offset 4
		.amdhsa_reserve_vcc 0
		.amdhsa_reserve_flat_scratch 0
		.amdhsa_float_round_mode_32 0
		.amdhsa_float_round_mode_16_64 0
		.amdhsa_float_denorm_mode_32 3
		.amdhsa_float_denorm_mode_16_64 3
		.amdhsa_dx10_clamp 1
		.amdhsa_ieee_mode 1
		.amdhsa_fp16_overflow 0
		.amdhsa_tg_split 0
		.amdhsa_exception_fp_ieee_invalid_op 0
		.amdhsa_exception_fp_denorm_src 0
		.amdhsa_exception_fp_ieee_div_zero 0
		.amdhsa_exception_fp_ieee_overflow 0
		.amdhsa_exception_fp_ieee_underflow 0
		.amdhsa_exception_fp_ieee_inexact 0
		.amdhsa_exception_int_div_zero 0
	.end_amdhsa_kernel
	.section	.text._ZN7rocprim17ROCPRIM_400000_NS6detail17trampoline_kernelINS0_14default_configENS1_20scan_config_selectorIiEEZZNS1_9scan_implILNS1_25lookback_scan_determinismE0ELb1ELb1ES3_N6thrust23THRUST_200600_302600_NS6detail15normal_iteratorINS9_10device_ptrIiEEEESE_iNS9_4plusIvEEiEEDaPvRmT3_T4_T5_mT6_P12ihipStream_tbENKUlT_T0_E_clISt17integral_constantIbLb1EESU_EEDaSP_SQ_EUlSP_E0_NS1_11comp_targetILNS1_3genE0ELNS1_11target_archE4294967295ELNS1_3gpuE0ELNS1_3repE0EEENS1_30default_config_static_selectorELNS0_4arch9wavefront6targetE1EEEvT1_,"axG",@progbits,_ZN7rocprim17ROCPRIM_400000_NS6detail17trampoline_kernelINS0_14default_configENS1_20scan_config_selectorIiEEZZNS1_9scan_implILNS1_25lookback_scan_determinismE0ELb1ELb1ES3_N6thrust23THRUST_200600_302600_NS6detail15normal_iteratorINS9_10device_ptrIiEEEESE_iNS9_4plusIvEEiEEDaPvRmT3_T4_T5_mT6_P12ihipStream_tbENKUlT_T0_E_clISt17integral_constantIbLb1EESU_EEDaSP_SQ_EUlSP_E0_NS1_11comp_targetILNS1_3genE0ELNS1_11target_archE4294967295ELNS1_3gpuE0ELNS1_3repE0EEENS1_30default_config_static_selectorELNS0_4arch9wavefront6targetE1EEEvT1_,comdat
.Lfunc_end831:
	.size	_ZN7rocprim17ROCPRIM_400000_NS6detail17trampoline_kernelINS0_14default_configENS1_20scan_config_selectorIiEEZZNS1_9scan_implILNS1_25lookback_scan_determinismE0ELb1ELb1ES3_N6thrust23THRUST_200600_302600_NS6detail15normal_iteratorINS9_10device_ptrIiEEEESE_iNS9_4plusIvEEiEEDaPvRmT3_T4_T5_mT6_P12ihipStream_tbENKUlT_T0_E_clISt17integral_constantIbLb1EESU_EEDaSP_SQ_EUlSP_E0_NS1_11comp_targetILNS1_3genE0ELNS1_11target_archE4294967295ELNS1_3gpuE0ELNS1_3repE0EEENS1_30default_config_static_selectorELNS0_4arch9wavefront6targetE1EEEvT1_, .Lfunc_end831-_ZN7rocprim17ROCPRIM_400000_NS6detail17trampoline_kernelINS0_14default_configENS1_20scan_config_selectorIiEEZZNS1_9scan_implILNS1_25lookback_scan_determinismE0ELb1ELb1ES3_N6thrust23THRUST_200600_302600_NS6detail15normal_iteratorINS9_10device_ptrIiEEEESE_iNS9_4plusIvEEiEEDaPvRmT3_T4_T5_mT6_P12ihipStream_tbENKUlT_T0_E_clISt17integral_constantIbLb1EESU_EEDaSP_SQ_EUlSP_E0_NS1_11comp_targetILNS1_3genE0ELNS1_11target_archE4294967295ELNS1_3gpuE0ELNS1_3repE0EEENS1_30default_config_static_selectorELNS0_4arch9wavefront6targetE1EEEvT1_
                                        ; -- End function
	.section	.AMDGPU.csdata,"",@progbits
; Kernel info:
; codeLenInByte = 0
; NumSgprs: 4
; NumVgprs: 0
; NumAgprs: 0
; TotalNumVgprs: 0
; ScratchSize: 0
; MemoryBound: 0
; FloatMode: 240
; IeeeMode: 1
; LDSByteSize: 0 bytes/workgroup (compile time only)
; SGPRBlocks: 0
; VGPRBlocks: 0
; NumSGPRsForWavesPerEU: 4
; NumVGPRsForWavesPerEU: 1
; AccumOffset: 4
; Occupancy: 8
; WaveLimiterHint : 0
; COMPUTE_PGM_RSRC2:SCRATCH_EN: 0
; COMPUTE_PGM_RSRC2:USER_SGPR: 6
; COMPUTE_PGM_RSRC2:TRAP_HANDLER: 0
; COMPUTE_PGM_RSRC2:TGID_X_EN: 1
; COMPUTE_PGM_RSRC2:TGID_Y_EN: 0
; COMPUTE_PGM_RSRC2:TGID_Z_EN: 0
; COMPUTE_PGM_RSRC2:TIDIG_COMP_CNT: 0
; COMPUTE_PGM_RSRC3_GFX90A:ACCUM_OFFSET: 0
; COMPUTE_PGM_RSRC3_GFX90A:TG_SPLIT: 0
	.section	.text._ZN7rocprim17ROCPRIM_400000_NS6detail17trampoline_kernelINS0_14default_configENS1_20scan_config_selectorIiEEZZNS1_9scan_implILNS1_25lookback_scan_determinismE0ELb1ELb1ES3_N6thrust23THRUST_200600_302600_NS6detail15normal_iteratorINS9_10device_ptrIiEEEESE_iNS9_4plusIvEEiEEDaPvRmT3_T4_T5_mT6_P12ihipStream_tbENKUlT_T0_E_clISt17integral_constantIbLb1EESU_EEDaSP_SQ_EUlSP_E0_NS1_11comp_targetILNS1_3genE5ELNS1_11target_archE942ELNS1_3gpuE9ELNS1_3repE0EEENS1_30default_config_static_selectorELNS0_4arch9wavefront6targetE1EEEvT1_,"axG",@progbits,_ZN7rocprim17ROCPRIM_400000_NS6detail17trampoline_kernelINS0_14default_configENS1_20scan_config_selectorIiEEZZNS1_9scan_implILNS1_25lookback_scan_determinismE0ELb1ELb1ES3_N6thrust23THRUST_200600_302600_NS6detail15normal_iteratorINS9_10device_ptrIiEEEESE_iNS9_4plusIvEEiEEDaPvRmT3_T4_T5_mT6_P12ihipStream_tbENKUlT_T0_E_clISt17integral_constantIbLb1EESU_EEDaSP_SQ_EUlSP_E0_NS1_11comp_targetILNS1_3genE5ELNS1_11target_archE942ELNS1_3gpuE9ELNS1_3repE0EEENS1_30default_config_static_selectorELNS0_4arch9wavefront6targetE1EEEvT1_,comdat
	.protected	_ZN7rocprim17ROCPRIM_400000_NS6detail17trampoline_kernelINS0_14default_configENS1_20scan_config_selectorIiEEZZNS1_9scan_implILNS1_25lookback_scan_determinismE0ELb1ELb1ES3_N6thrust23THRUST_200600_302600_NS6detail15normal_iteratorINS9_10device_ptrIiEEEESE_iNS9_4plusIvEEiEEDaPvRmT3_T4_T5_mT6_P12ihipStream_tbENKUlT_T0_E_clISt17integral_constantIbLb1EESU_EEDaSP_SQ_EUlSP_E0_NS1_11comp_targetILNS1_3genE5ELNS1_11target_archE942ELNS1_3gpuE9ELNS1_3repE0EEENS1_30default_config_static_selectorELNS0_4arch9wavefront6targetE1EEEvT1_ ; -- Begin function _ZN7rocprim17ROCPRIM_400000_NS6detail17trampoline_kernelINS0_14default_configENS1_20scan_config_selectorIiEEZZNS1_9scan_implILNS1_25lookback_scan_determinismE0ELb1ELb1ES3_N6thrust23THRUST_200600_302600_NS6detail15normal_iteratorINS9_10device_ptrIiEEEESE_iNS9_4plusIvEEiEEDaPvRmT3_T4_T5_mT6_P12ihipStream_tbENKUlT_T0_E_clISt17integral_constantIbLb1EESU_EEDaSP_SQ_EUlSP_E0_NS1_11comp_targetILNS1_3genE5ELNS1_11target_archE942ELNS1_3gpuE9ELNS1_3repE0EEENS1_30default_config_static_selectorELNS0_4arch9wavefront6targetE1EEEvT1_
	.globl	_ZN7rocprim17ROCPRIM_400000_NS6detail17trampoline_kernelINS0_14default_configENS1_20scan_config_selectorIiEEZZNS1_9scan_implILNS1_25lookback_scan_determinismE0ELb1ELb1ES3_N6thrust23THRUST_200600_302600_NS6detail15normal_iteratorINS9_10device_ptrIiEEEESE_iNS9_4plusIvEEiEEDaPvRmT3_T4_T5_mT6_P12ihipStream_tbENKUlT_T0_E_clISt17integral_constantIbLb1EESU_EEDaSP_SQ_EUlSP_E0_NS1_11comp_targetILNS1_3genE5ELNS1_11target_archE942ELNS1_3gpuE9ELNS1_3repE0EEENS1_30default_config_static_selectorELNS0_4arch9wavefront6targetE1EEEvT1_
	.p2align	8
	.type	_ZN7rocprim17ROCPRIM_400000_NS6detail17trampoline_kernelINS0_14default_configENS1_20scan_config_selectorIiEEZZNS1_9scan_implILNS1_25lookback_scan_determinismE0ELb1ELb1ES3_N6thrust23THRUST_200600_302600_NS6detail15normal_iteratorINS9_10device_ptrIiEEEESE_iNS9_4plusIvEEiEEDaPvRmT3_T4_T5_mT6_P12ihipStream_tbENKUlT_T0_E_clISt17integral_constantIbLb1EESU_EEDaSP_SQ_EUlSP_E0_NS1_11comp_targetILNS1_3genE5ELNS1_11target_archE942ELNS1_3gpuE9ELNS1_3repE0EEENS1_30default_config_static_selectorELNS0_4arch9wavefront6targetE1EEEvT1_,@function
_ZN7rocprim17ROCPRIM_400000_NS6detail17trampoline_kernelINS0_14default_configENS1_20scan_config_selectorIiEEZZNS1_9scan_implILNS1_25lookback_scan_determinismE0ELb1ELb1ES3_N6thrust23THRUST_200600_302600_NS6detail15normal_iteratorINS9_10device_ptrIiEEEESE_iNS9_4plusIvEEiEEDaPvRmT3_T4_T5_mT6_P12ihipStream_tbENKUlT_T0_E_clISt17integral_constantIbLb1EESU_EEDaSP_SQ_EUlSP_E0_NS1_11comp_targetILNS1_3genE5ELNS1_11target_archE942ELNS1_3gpuE9ELNS1_3repE0EEENS1_30default_config_static_selectorELNS0_4arch9wavefront6targetE1EEEvT1_: ; @_ZN7rocprim17ROCPRIM_400000_NS6detail17trampoline_kernelINS0_14default_configENS1_20scan_config_selectorIiEEZZNS1_9scan_implILNS1_25lookback_scan_determinismE0ELb1ELb1ES3_N6thrust23THRUST_200600_302600_NS6detail15normal_iteratorINS9_10device_ptrIiEEEESE_iNS9_4plusIvEEiEEDaPvRmT3_T4_T5_mT6_P12ihipStream_tbENKUlT_T0_E_clISt17integral_constantIbLb1EESU_EEDaSP_SQ_EUlSP_E0_NS1_11comp_targetILNS1_3genE5ELNS1_11target_archE942ELNS1_3gpuE9ELNS1_3repE0EEENS1_30default_config_static_selectorELNS0_4arch9wavefront6targetE1EEEvT1_
; %bb.0:
	.section	.rodata,"a",@progbits
	.p2align	6, 0x0
	.amdhsa_kernel _ZN7rocprim17ROCPRIM_400000_NS6detail17trampoline_kernelINS0_14default_configENS1_20scan_config_selectorIiEEZZNS1_9scan_implILNS1_25lookback_scan_determinismE0ELb1ELb1ES3_N6thrust23THRUST_200600_302600_NS6detail15normal_iteratorINS9_10device_ptrIiEEEESE_iNS9_4plusIvEEiEEDaPvRmT3_T4_T5_mT6_P12ihipStream_tbENKUlT_T0_E_clISt17integral_constantIbLb1EESU_EEDaSP_SQ_EUlSP_E0_NS1_11comp_targetILNS1_3genE5ELNS1_11target_archE942ELNS1_3gpuE9ELNS1_3repE0EEENS1_30default_config_static_selectorELNS0_4arch9wavefront6targetE1EEEvT1_
		.amdhsa_group_segment_fixed_size 0
		.amdhsa_private_segment_fixed_size 0
		.amdhsa_kernarg_size 32
		.amdhsa_user_sgpr_count 6
		.amdhsa_user_sgpr_private_segment_buffer 1
		.amdhsa_user_sgpr_dispatch_ptr 0
		.amdhsa_user_sgpr_queue_ptr 0
		.amdhsa_user_sgpr_kernarg_segment_ptr 1
		.amdhsa_user_sgpr_dispatch_id 0
		.amdhsa_user_sgpr_flat_scratch_init 0
		.amdhsa_user_sgpr_kernarg_preload_length 0
		.amdhsa_user_sgpr_kernarg_preload_offset 0
		.amdhsa_user_sgpr_private_segment_size 0
		.amdhsa_uses_dynamic_stack 0
		.amdhsa_system_sgpr_private_segment_wavefront_offset 0
		.amdhsa_system_sgpr_workgroup_id_x 1
		.amdhsa_system_sgpr_workgroup_id_y 0
		.amdhsa_system_sgpr_workgroup_id_z 0
		.amdhsa_system_sgpr_workgroup_info 0
		.amdhsa_system_vgpr_workitem_id 0
		.amdhsa_next_free_vgpr 1
		.amdhsa_next_free_sgpr 0
		.amdhsa_accum_offset 4
		.amdhsa_reserve_vcc 0
		.amdhsa_reserve_flat_scratch 0
		.amdhsa_float_round_mode_32 0
		.amdhsa_float_round_mode_16_64 0
		.amdhsa_float_denorm_mode_32 3
		.amdhsa_float_denorm_mode_16_64 3
		.amdhsa_dx10_clamp 1
		.amdhsa_ieee_mode 1
		.amdhsa_fp16_overflow 0
		.amdhsa_tg_split 0
		.amdhsa_exception_fp_ieee_invalid_op 0
		.amdhsa_exception_fp_denorm_src 0
		.amdhsa_exception_fp_ieee_div_zero 0
		.amdhsa_exception_fp_ieee_overflow 0
		.amdhsa_exception_fp_ieee_underflow 0
		.amdhsa_exception_fp_ieee_inexact 0
		.amdhsa_exception_int_div_zero 0
	.end_amdhsa_kernel
	.section	.text._ZN7rocprim17ROCPRIM_400000_NS6detail17trampoline_kernelINS0_14default_configENS1_20scan_config_selectorIiEEZZNS1_9scan_implILNS1_25lookback_scan_determinismE0ELb1ELb1ES3_N6thrust23THRUST_200600_302600_NS6detail15normal_iteratorINS9_10device_ptrIiEEEESE_iNS9_4plusIvEEiEEDaPvRmT3_T4_T5_mT6_P12ihipStream_tbENKUlT_T0_E_clISt17integral_constantIbLb1EESU_EEDaSP_SQ_EUlSP_E0_NS1_11comp_targetILNS1_3genE5ELNS1_11target_archE942ELNS1_3gpuE9ELNS1_3repE0EEENS1_30default_config_static_selectorELNS0_4arch9wavefront6targetE1EEEvT1_,"axG",@progbits,_ZN7rocprim17ROCPRIM_400000_NS6detail17trampoline_kernelINS0_14default_configENS1_20scan_config_selectorIiEEZZNS1_9scan_implILNS1_25lookback_scan_determinismE0ELb1ELb1ES3_N6thrust23THRUST_200600_302600_NS6detail15normal_iteratorINS9_10device_ptrIiEEEESE_iNS9_4plusIvEEiEEDaPvRmT3_T4_T5_mT6_P12ihipStream_tbENKUlT_T0_E_clISt17integral_constantIbLb1EESU_EEDaSP_SQ_EUlSP_E0_NS1_11comp_targetILNS1_3genE5ELNS1_11target_archE942ELNS1_3gpuE9ELNS1_3repE0EEENS1_30default_config_static_selectorELNS0_4arch9wavefront6targetE1EEEvT1_,comdat
.Lfunc_end832:
	.size	_ZN7rocprim17ROCPRIM_400000_NS6detail17trampoline_kernelINS0_14default_configENS1_20scan_config_selectorIiEEZZNS1_9scan_implILNS1_25lookback_scan_determinismE0ELb1ELb1ES3_N6thrust23THRUST_200600_302600_NS6detail15normal_iteratorINS9_10device_ptrIiEEEESE_iNS9_4plusIvEEiEEDaPvRmT3_T4_T5_mT6_P12ihipStream_tbENKUlT_T0_E_clISt17integral_constantIbLb1EESU_EEDaSP_SQ_EUlSP_E0_NS1_11comp_targetILNS1_3genE5ELNS1_11target_archE942ELNS1_3gpuE9ELNS1_3repE0EEENS1_30default_config_static_selectorELNS0_4arch9wavefront6targetE1EEEvT1_, .Lfunc_end832-_ZN7rocprim17ROCPRIM_400000_NS6detail17trampoline_kernelINS0_14default_configENS1_20scan_config_selectorIiEEZZNS1_9scan_implILNS1_25lookback_scan_determinismE0ELb1ELb1ES3_N6thrust23THRUST_200600_302600_NS6detail15normal_iteratorINS9_10device_ptrIiEEEESE_iNS9_4plusIvEEiEEDaPvRmT3_T4_T5_mT6_P12ihipStream_tbENKUlT_T0_E_clISt17integral_constantIbLb1EESU_EEDaSP_SQ_EUlSP_E0_NS1_11comp_targetILNS1_3genE5ELNS1_11target_archE942ELNS1_3gpuE9ELNS1_3repE0EEENS1_30default_config_static_selectorELNS0_4arch9wavefront6targetE1EEEvT1_
                                        ; -- End function
	.section	.AMDGPU.csdata,"",@progbits
; Kernel info:
; codeLenInByte = 0
; NumSgprs: 4
; NumVgprs: 0
; NumAgprs: 0
; TotalNumVgprs: 0
; ScratchSize: 0
; MemoryBound: 0
; FloatMode: 240
; IeeeMode: 1
; LDSByteSize: 0 bytes/workgroup (compile time only)
; SGPRBlocks: 0
; VGPRBlocks: 0
; NumSGPRsForWavesPerEU: 4
; NumVGPRsForWavesPerEU: 1
; AccumOffset: 4
; Occupancy: 8
; WaveLimiterHint : 0
; COMPUTE_PGM_RSRC2:SCRATCH_EN: 0
; COMPUTE_PGM_RSRC2:USER_SGPR: 6
; COMPUTE_PGM_RSRC2:TRAP_HANDLER: 0
; COMPUTE_PGM_RSRC2:TGID_X_EN: 1
; COMPUTE_PGM_RSRC2:TGID_Y_EN: 0
; COMPUTE_PGM_RSRC2:TGID_Z_EN: 0
; COMPUTE_PGM_RSRC2:TIDIG_COMP_CNT: 0
; COMPUTE_PGM_RSRC3_GFX90A:ACCUM_OFFSET: 0
; COMPUTE_PGM_RSRC3_GFX90A:TG_SPLIT: 0
	.section	.text._ZN7rocprim17ROCPRIM_400000_NS6detail17trampoline_kernelINS0_14default_configENS1_20scan_config_selectorIiEEZZNS1_9scan_implILNS1_25lookback_scan_determinismE0ELb1ELb1ES3_N6thrust23THRUST_200600_302600_NS6detail15normal_iteratorINS9_10device_ptrIiEEEESE_iNS9_4plusIvEEiEEDaPvRmT3_T4_T5_mT6_P12ihipStream_tbENKUlT_T0_E_clISt17integral_constantIbLb1EESU_EEDaSP_SQ_EUlSP_E0_NS1_11comp_targetILNS1_3genE4ELNS1_11target_archE910ELNS1_3gpuE8ELNS1_3repE0EEENS1_30default_config_static_selectorELNS0_4arch9wavefront6targetE1EEEvT1_,"axG",@progbits,_ZN7rocprim17ROCPRIM_400000_NS6detail17trampoline_kernelINS0_14default_configENS1_20scan_config_selectorIiEEZZNS1_9scan_implILNS1_25lookback_scan_determinismE0ELb1ELb1ES3_N6thrust23THRUST_200600_302600_NS6detail15normal_iteratorINS9_10device_ptrIiEEEESE_iNS9_4plusIvEEiEEDaPvRmT3_T4_T5_mT6_P12ihipStream_tbENKUlT_T0_E_clISt17integral_constantIbLb1EESU_EEDaSP_SQ_EUlSP_E0_NS1_11comp_targetILNS1_3genE4ELNS1_11target_archE910ELNS1_3gpuE8ELNS1_3repE0EEENS1_30default_config_static_selectorELNS0_4arch9wavefront6targetE1EEEvT1_,comdat
	.protected	_ZN7rocprim17ROCPRIM_400000_NS6detail17trampoline_kernelINS0_14default_configENS1_20scan_config_selectorIiEEZZNS1_9scan_implILNS1_25lookback_scan_determinismE0ELb1ELb1ES3_N6thrust23THRUST_200600_302600_NS6detail15normal_iteratorINS9_10device_ptrIiEEEESE_iNS9_4plusIvEEiEEDaPvRmT3_T4_T5_mT6_P12ihipStream_tbENKUlT_T0_E_clISt17integral_constantIbLb1EESU_EEDaSP_SQ_EUlSP_E0_NS1_11comp_targetILNS1_3genE4ELNS1_11target_archE910ELNS1_3gpuE8ELNS1_3repE0EEENS1_30default_config_static_selectorELNS0_4arch9wavefront6targetE1EEEvT1_ ; -- Begin function _ZN7rocprim17ROCPRIM_400000_NS6detail17trampoline_kernelINS0_14default_configENS1_20scan_config_selectorIiEEZZNS1_9scan_implILNS1_25lookback_scan_determinismE0ELb1ELb1ES3_N6thrust23THRUST_200600_302600_NS6detail15normal_iteratorINS9_10device_ptrIiEEEESE_iNS9_4plusIvEEiEEDaPvRmT3_T4_T5_mT6_P12ihipStream_tbENKUlT_T0_E_clISt17integral_constantIbLb1EESU_EEDaSP_SQ_EUlSP_E0_NS1_11comp_targetILNS1_3genE4ELNS1_11target_archE910ELNS1_3gpuE8ELNS1_3repE0EEENS1_30default_config_static_selectorELNS0_4arch9wavefront6targetE1EEEvT1_
	.globl	_ZN7rocprim17ROCPRIM_400000_NS6detail17trampoline_kernelINS0_14default_configENS1_20scan_config_selectorIiEEZZNS1_9scan_implILNS1_25lookback_scan_determinismE0ELb1ELb1ES3_N6thrust23THRUST_200600_302600_NS6detail15normal_iteratorINS9_10device_ptrIiEEEESE_iNS9_4plusIvEEiEEDaPvRmT3_T4_T5_mT6_P12ihipStream_tbENKUlT_T0_E_clISt17integral_constantIbLb1EESU_EEDaSP_SQ_EUlSP_E0_NS1_11comp_targetILNS1_3genE4ELNS1_11target_archE910ELNS1_3gpuE8ELNS1_3repE0EEENS1_30default_config_static_selectorELNS0_4arch9wavefront6targetE1EEEvT1_
	.p2align	8
	.type	_ZN7rocprim17ROCPRIM_400000_NS6detail17trampoline_kernelINS0_14default_configENS1_20scan_config_selectorIiEEZZNS1_9scan_implILNS1_25lookback_scan_determinismE0ELb1ELb1ES3_N6thrust23THRUST_200600_302600_NS6detail15normal_iteratorINS9_10device_ptrIiEEEESE_iNS9_4plusIvEEiEEDaPvRmT3_T4_T5_mT6_P12ihipStream_tbENKUlT_T0_E_clISt17integral_constantIbLb1EESU_EEDaSP_SQ_EUlSP_E0_NS1_11comp_targetILNS1_3genE4ELNS1_11target_archE910ELNS1_3gpuE8ELNS1_3repE0EEENS1_30default_config_static_selectorELNS0_4arch9wavefront6targetE1EEEvT1_,@function
_ZN7rocprim17ROCPRIM_400000_NS6detail17trampoline_kernelINS0_14default_configENS1_20scan_config_selectorIiEEZZNS1_9scan_implILNS1_25lookback_scan_determinismE0ELb1ELb1ES3_N6thrust23THRUST_200600_302600_NS6detail15normal_iteratorINS9_10device_ptrIiEEEESE_iNS9_4plusIvEEiEEDaPvRmT3_T4_T5_mT6_P12ihipStream_tbENKUlT_T0_E_clISt17integral_constantIbLb1EESU_EEDaSP_SQ_EUlSP_E0_NS1_11comp_targetILNS1_3genE4ELNS1_11target_archE910ELNS1_3gpuE8ELNS1_3repE0EEENS1_30default_config_static_selectorELNS0_4arch9wavefront6targetE1EEEvT1_: ; @_ZN7rocprim17ROCPRIM_400000_NS6detail17trampoline_kernelINS0_14default_configENS1_20scan_config_selectorIiEEZZNS1_9scan_implILNS1_25lookback_scan_determinismE0ELb1ELb1ES3_N6thrust23THRUST_200600_302600_NS6detail15normal_iteratorINS9_10device_ptrIiEEEESE_iNS9_4plusIvEEiEEDaPvRmT3_T4_T5_mT6_P12ihipStream_tbENKUlT_T0_E_clISt17integral_constantIbLb1EESU_EEDaSP_SQ_EUlSP_E0_NS1_11comp_targetILNS1_3genE4ELNS1_11target_archE910ELNS1_3gpuE8ELNS1_3repE0EEENS1_30default_config_static_selectorELNS0_4arch9wavefront6targetE1EEEvT1_
; %bb.0:
	s_load_dwordx4 s[20:23], s[4:5], 0x0
	v_lshlrev_b32_e32 v14, 2, v0
	s_waitcnt lgkmcnt(0)
	s_load_dword s23, s[20:21], 0x0
	v_cmp_gt_u32_e32 vcc, s22, v0
	s_waitcnt lgkmcnt(0)
	v_mov_b32_e32 v1, s23
	s_and_saveexec_b64 s[0:1], vcc
	s_cbranch_execz .LBB833_2
; %bb.1:
	global_load_dword v1, v14, s[20:21]
.LBB833_2:
	s_or_b64 exec, exec, s[0:1]
	v_or_b32_e32 v2, 0x80, v0
	v_cmp_gt_u32_e64 s[0:1], s22, v2
	v_mov_b32_e32 v2, s23
	s_and_saveexec_b64 s[2:3], s[0:1]
	s_cbranch_execz .LBB833_4
; %bb.3:
	global_load_dword v2, v14, s[20:21] offset:512
.LBB833_4:
	s_or_b64 exec, exec, s[2:3]
	v_or_b32_e32 v3, 0x100, v0
	v_cmp_gt_u32_e64 s[2:3], s22, v3
	v_mov_b32_e32 v3, s23
	s_and_saveexec_b64 s[6:7], s[2:3]
	s_cbranch_execz .LBB833_6
; %bb.5:
	global_load_dword v3, v14, s[20:21] offset:1024
.LBB833_6:
	;; [unrolled: 9-line block ×7, first 2 shown]
	s_or_b64 exec, exec, s[14:15]
	v_or_b32_e32 v10, 0x400, v0
	v_cmp_gt_u32_e64 s[14:15], s22, v10
	v_mov_b32_e32 v9, s23
	s_and_saveexec_b64 s[16:17], s[14:15]
	s_cbranch_execz .LBB833_18
; %bb.17:
	v_lshlrev_b32_e32 v9, 2, v10
	global_load_dword v9, v9, s[20:21]
.LBB833_18:
	s_or_b64 exec, exec, s[16:17]
	s_load_dword s24, s[4:5], 0x10
	v_or_b32_e32 v11, 0x480, v0
	v_cmp_gt_u32_e64 s[16:17], s22, v11
	v_mov_b32_e32 v10, s23
	s_and_saveexec_b64 s[22:23], s[16:17]
	s_cbranch_execz .LBB833_20
; %bb.19:
	v_lshlrev_b32_e32 v10, 2, v11
	global_load_dword v10, v10, s[20:21]
.LBB833_20:
	s_or_b64 exec, exec, s[22:23]
	s_waitcnt vmcnt(0)
	ds_write2st64_b32 v14, v1, v2 offset1:2
	ds_write2st64_b32 v14, v3, v4 offset0:4 offset1:6
	ds_write2st64_b32 v14, v5, v6 offset0:8 offset1:10
	;; [unrolled: 1-line block ×4, first 2 shown]
	v_mad_u32_u24 v1, v0, 36, v14
	s_waitcnt lgkmcnt(0)
	s_barrier
	ds_read2_b64 v[6:9], v1 offset1:1
	ds_read2_b64 v[2:5], v1 offset0:2 offset1:3
	ds_read_b64 v[10:11], v1 offset:32
	s_load_dwordx2 s[20:21], s[4:5], 0x18
	v_cmp_gt_u32_e64 s[4:5], 64, v0
	s_waitcnt lgkmcnt(0)
	v_add_u32_e32 v1, v7, v6
	v_add3_u32 v1, v1, v8, v9
	v_add3_u32 v1, v1, v2, v3
	;; [unrolled: 1-line block ×4, first 2 shown]
	v_lshrrev_b32_e32 v11, 3, v0
	v_and_b32_e32 v11, 12, v11
	v_add_u32_e32 v11, v14, v11
	s_barrier
	ds_write_b32 v11, v1
	s_waitcnt lgkmcnt(0)
	s_barrier
	s_and_saveexec_b64 s[22:23], s[4:5]
	s_cbranch_execz .LBB833_22
; %bb.21:
	v_lshlrev_b32_e32 v11, 1, v0
	v_lshrrev_b32_e32 v12, 4, v0
	v_add_lshl_u32 v11, v12, v11, 2
	ds_read2_b32 v[12:13], v11 offset1:1
	v_mbcnt_lo_u32_b32 v15, -1, 0
	v_mbcnt_hi_u32_b32 v15, -1, v15
	v_and_b32_e32 v16, 15, v15
	v_cmp_ne_u32_e64 s[4:5], 0, v16
	s_waitcnt lgkmcnt(0)
	v_add_u32_e32 v13, v13, v12
	; wave barrier
	s_nop 1
	v_mov_b32_dpp v17, v13 row_shr:1 row_mask:0xf bank_mask:0xf
	v_cndmask_b32_e64 v17, 0, v17, s[4:5]
	v_add_u32_e32 v13, v17, v13
	v_cmp_lt_u32_e64 s[4:5], 1, v16
	s_nop 0
	v_mov_b32_dpp v17, v13 row_shr:2 row_mask:0xf bank_mask:0xf
	v_cndmask_b32_e64 v17, 0, v17, s[4:5]
	v_add_u32_e32 v13, v13, v17
	v_cmp_lt_u32_e64 s[4:5], 3, v16
	;; [unrolled: 5-line block ×3, first 2 shown]
	s_nop 0
	v_mov_b32_dpp v17, v13 row_shr:8 row_mask:0xf bank_mask:0xf
	v_cndmask_b32_e64 v16, 0, v17, s[4:5]
	v_add_u32_e32 v13, v13, v16
	v_bfe_i32 v17, v15, 4, 1
	v_cmp_lt_u32_e64 s[4:5], 31, v15
	v_mov_b32_dpp v16, v13 row_bcast:15 row_mask:0xf bank_mask:0xf
	v_and_b32_e32 v16, v17, v16
	v_add_u32_e32 v13, v13, v16
	v_and_b32_e32 v17, 64, v15
	s_nop 0
	v_mov_b32_dpp v16, v13 row_bcast:31 row_mask:0xf bank_mask:0xf
	v_cndmask_b32_e64 v16, 0, v16, s[4:5]
	v_add_u32_e32 v13, v13, v16
	v_add_u32_e32 v16, -1, v15
	v_cmp_lt_i32_e64 s[4:5], v16, v17
	v_cndmask_b32_e64 v15, v16, v15, s[4:5]
	v_lshlrev_b32_e32 v15, 2, v15
	ds_bpermute_b32 v13, v15, v13
	v_cmp_eq_u32_e64 s[4:5], 0, v0
	s_waitcnt lgkmcnt(0)
	v_add_u32_e32 v12, v13, v12
	v_cndmask_b32_e64 v1, v12, v1, s[4:5]
	ds_write_b32 v11, v1
	; wave barrier
	ds_read_b32 v12, v11 offset:4
	s_waitcnt lgkmcnt(0)
	v_add_u32_e32 v1, v12, v1
	ds_write_b32 v11, v1 offset:4
.LBB833_22:
	s_or_b64 exec, exec, s[22:23]
	v_mul_u32_u24_e32 v1, 36, v0
	v_cmp_ne_u32_e64 s[4:5], 0, v0
	v_mov_b32_e32 v12, s24
	s_waitcnt lgkmcnt(0)
	s_barrier
	s_and_saveexec_b64 s[22:23], s[4:5]
	s_cbranch_execz .LBB833_24
; %bb.23:
	v_add_u32_e32 v0, -1, v0
	v_lshrrev_b32_e32 v11, 5, v0
	v_add_lshl_u32 v0, v11, v0, 2
	ds_read_b32 v0, v0
	s_waitcnt lgkmcnt(0)
	v_add_u32_e32 v12, s24, v0
.LBB833_24:
	s_or_b64 exec, exec, s[22:23]
	v_add_u32_e32 v13, v12, v6
	v_add_u32_e32 v6, v13, v7
	;; [unrolled: 1-line block ×10, first 2 shown]
	s_barrier
	ds_write2_b64 v0, v[12:13], v[6:7] offset1:1
	ds_write2_b64 v0, v[8:9], v[2:3] offset0:2 offset1:3
	ds_write_b64 v0, v[4:5] offset:32
	s_waitcnt lgkmcnt(0)
	s_barrier
	ds_read2st64_b32 v[8:9], v14 offset0:2 offset1:4
	ds_read2st64_b32 v[6:7], v14 offset0:6 offset1:8
	ds_read2st64_b32 v[4:5], v14 offset0:10 offset1:12
	ds_read2st64_b32 v[2:3], v14 offset0:14 offset1:16
	ds_read_b32 v10, v14 offset:4608
	v_mov_b32_e32 v1, s21
	v_add_co_u32_e64 v0, s[4:5], s20, v14
	v_addc_co_u32_e64 v1, s[4:5], 0, v1, s[4:5]
	s_and_saveexec_b64 s[4:5], vcc
	s_cbranch_execnz .LBB833_35
; %bb.25:
	s_or_b64 exec, exec, s[4:5]
	s_and_saveexec_b64 s[4:5], s[0:1]
	s_cbranch_execnz .LBB833_36
.LBB833_26:
	s_or_b64 exec, exec, s[4:5]
	s_and_saveexec_b64 s[0:1], s[2:3]
	s_cbranch_execnz .LBB833_37
.LBB833_27:
	s_or_b64 exec, exec, s[0:1]
	s_and_saveexec_b64 s[0:1], s[18:19]
	s_cbranch_execnz .LBB833_38
.LBB833_28:
	s_or_b64 exec, exec, s[0:1]
	s_and_saveexec_b64 s[0:1], s[6:7]
	s_cbranch_execnz .LBB833_39
.LBB833_29:
	s_or_b64 exec, exec, s[0:1]
	s_and_saveexec_b64 s[0:1], s[8:9]
	s_cbranch_execnz .LBB833_40
.LBB833_30:
	s_or_b64 exec, exec, s[0:1]
	s_and_saveexec_b64 s[0:1], s[10:11]
	s_cbranch_execnz .LBB833_41
.LBB833_31:
	s_or_b64 exec, exec, s[0:1]
	s_and_saveexec_b64 s[0:1], s[12:13]
	s_cbranch_execnz .LBB833_42
.LBB833_32:
	s_or_b64 exec, exec, s[0:1]
	s_and_saveexec_b64 s[0:1], s[14:15]
	s_cbranch_execnz .LBB833_43
.LBB833_33:
	s_or_b64 exec, exec, s[0:1]
	s_and_saveexec_b64 s[0:1], s[16:17]
	s_cbranch_execnz .LBB833_44
.LBB833_34:
	s_endpgm
.LBB833_35:
	ds_read_b32 v11, v14
	s_waitcnt lgkmcnt(0)
	global_store_dword v[0:1], v11, off
	s_or_b64 exec, exec, s[4:5]
	s_and_saveexec_b64 s[4:5], s[0:1]
	s_cbranch_execz .LBB833_26
.LBB833_36:
	s_waitcnt lgkmcnt(4)
	global_store_dword v[0:1], v8, off offset:512
	s_or_b64 exec, exec, s[4:5]
	s_and_saveexec_b64 s[0:1], s[2:3]
	s_cbranch_execz .LBB833_27
.LBB833_37:
	s_waitcnt lgkmcnt(4)
	global_store_dword v[0:1], v9, off offset:1024
	s_or_b64 exec, exec, s[0:1]
	s_and_saveexec_b64 s[0:1], s[18:19]
	s_cbranch_execz .LBB833_28
.LBB833_38:
	s_waitcnt lgkmcnt(3)
	global_store_dword v[0:1], v6, off offset:1536
	s_or_b64 exec, exec, s[0:1]
	s_and_saveexec_b64 s[0:1], s[6:7]
	s_cbranch_execz .LBB833_29
.LBB833_39:
	s_waitcnt lgkmcnt(3)
	global_store_dword v[0:1], v7, off offset:2048
	s_or_b64 exec, exec, s[0:1]
	s_and_saveexec_b64 s[0:1], s[8:9]
	s_cbranch_execz .LBB833_30
.LBB833_40:
	s_waitcnt lgkmcnt(2)
	global_store_dword v[0:1], v4, off offset:2560
	s_or_b64 exec, exec, s[0:1]
	s_and_saveexec_b64 s[0:1], s[10:11]
	s_cbranch_execz .LBB833_31
.LBB833_41:
	s_waitcnt lgkmcnt(2)
	global_store_dword v[0:1], v5, off offset:3072
	s_or_b64 exec, exec, s[0:1]
	s_and_saveexec_b64 s[0:1], s[12:13]
	s_cbranch_execz .LBB833_32
.LBB833_42:
	s_waitcnt lgkmcnt(1)
	global_store_dword v[0:1], v2, off offset:3584
	s_or_b64 exec, exec, s[0:1]
	s_and_saveexec_b64 s[0:1], s[14:15]
	s_cbranch_execz .LBB833_33
.LBB833_43:
	s_waitcnt lgkmcnt(2)
	v_add_co_u32_e32 v4, vcc, 0x1000, v0
	v_addc_co_u32_e32 v5, vcc, 0, v1, vcc
	s_waitcnt lgkmcnt(1)
	global_store_dword v[4:5], v3, off
	s_or_b64 exec, exec, s[0:1]
	s_and_saveexec_b64 s[0:1], s[16:17]
	s_cbranch_execz .LBB833_34
.LBB833_44:
	v_add_co_u32_e32 v0, vcc, 0x1000, v0
	v_addc_co_u32_e32 v1, vcc, 0, v1, vcc
	s_waitcnt lgkmcnt(0)
	global_store_dword v[0:1], v10, off offset:512
	s_endpgm
	.section	.rodata,"a",@progbits
	.p2align	6, 0x0
	.amdhsa_kernel _ZN7rocprim17ROCPRIM_400000_NS6detail17trampoline_kernelINS0_14default_configENS1_20scan_config_selectorIiEEZZNS1_9scan_implILNS1_25lookback_scan_determinismE0ELb1ELb1ES3_N6thrust23THRUST_200600_302600_NS6detail15normal_iteratorINS9_10device_ptrIiEEEESE_iNS9_4plusIvEEiEEDaPvRmT3_T4_T5_mT6_P12ihipStream_tbENKUlT_T0_E_clISt17integral_constantIbLb1EESU_EEDaSP_SQ_EUlSP_E0_NS1_11comp_targetILNS1_3genE4ELNS1_11target_archE910ELNS1_3gpuE8ELNS1_3repE0EEENS1_30default_config_static_selectorELNS0_4arch9wavefront6targetE1EEEvT1_
		.amdhsa_group_segment_fixed_size 5120
		.amdhsa_private_segment_fixed_size 0
		.amdhsa_kernarg_size 32
		.amdhsa_user_sgpr_count 6
		.amdhsa_user_sgpr_private_segment_buffer 1
		.amdhsa_user_sgpr_dispatch_ptr 0
		.amdhsa_user_sgpr_queue_ptr 0
		.amdhsa_user_sgpr_kernarg_segment_ptr 1
		.amdhsa_user_sgpr_dispatch_id 0
		.amdhsa_user_sgpr_flat_scratch_init 0
		.amdhsa_user_sgpr_kernarg_preload_length 0
		.amdhsa_user_sgpr_kernarg_preload_offset 0
		.amdhsa_user_sgpr_private_segment_size 0
		.amdhsa_uses_dynamic_stack 0
		.amdhsa_system_sgpr_private_segment_wavefront_offset 0
		.amdhsa_system_sgpr_workgroup_id_x 1
		.amdhsa_system_sgpr_workgroup_id_y 0
		.amdhsa_system_sgpr_workgroup_id_z 0
		.amdhsa_system_sgpr_workgroup_info 0
		.amdhsa_system_vgpr_workitem_id 0
		.amdhsa_next_free_vgpr 18
		.amdhsa_next_free_sgpr 25
		.amdhsa_accum_offset 20
		.amdhsa_reserve_vcc 1
		.amdhsa_reserve_flat_scratch 0
		.amdhsa_float_round_mode_32 0
		.amdhsa_float_round_mode_16_64 0
		.amdhsa_float_denorm_mode_32 3
		.amdhsa_float_denorm_mode_16_64 3
		.amdhsa_dx10_clamp 1
		.amdhsa_ieee_mode 1
		.amdhsa_fp16_overflow 0
		.amdhsa_tg_split 0
		.amdhsa_exception_fp_ieee_invalid_op 0
		.amdhsa_exception_fp_denorm_src 0
		.amdhsa_exception_fp_ieee_div_zero 0
		.amdhsa_exception_fp_ieee_overflow 0
		.amdhsa_exception_fp_ieee_underflow 0
		.amdhsa_exception_fp_ieee_inexact 0
		.amdhsa_exception_int_div_zero 0
	.end_amdhsa_kernel
	.section	.text._ZN7rocprim17ROCPRIM_400000_NS6detail17trampoline_kernelINS0_14default_configENS1_20scan_config_selectorIiEEZZNS1_9scan_implILNS1_25lookback_scan_determinismE0ELb1ELb1ES3_N6thrust23THRUST_200600_302600_NS6detail15normal_iteratorINS9_10device_ptrIiEEEESE_iNS9_4plusIvEEiEEDaPvRmT3_T4_T5_mT6_P12ihipStream_tbENKUlT_T0_E_clISt17integral_constantIbLb1EESU_EEDaSP_SQ_EUlSP_E0_NS1_11comp_targetILNS1_3genE4ELNS1_11target_archE910ELNS1_3gpuE8ELNS1_3repE0EEENS1_30default_config_static_selectorELNS0_4arch9wavefront6targetE1EEEvT1_,"axG",@progbits,_ZN7rocprim17ROCPRIM_400000_NS6detail17trampoline_kernelINS0_14default_configENS1_20scan_config_selectorIiEEZZNS1_9scan_implILNS1_25lookback_scan_determinismE0ELb1ELb1ES3_N6thrust23THRUST_200600_302600_NS6detail15normal_iteratorINS9_10device_ptrIiEEEESE_iNS9_4plusIvEEiEEDaPvRmT3_T4_T5_mT6_P12ihipStream_tbENKUlT_T0_E_clISt17integral_constantIbLb1EESU_EEDaSP_SQ_EUlSP_E0_NS1_11comp_targetILNS1_3genE4ELNS1_11target_archE910ELNS1_3gpuE8ELNS1_3repE0EEENS1_30default_config_static_selectorELNS0_4arch9wavefront6targetE1EEEvT1_,comdat
.Lfunc_end833:
	.size	_ZN7rocprim17ROCPRIM_400000_NS6detail17trampoline_kernelINS0_14default_configENS1_20scan_config_selectorIiEEZZNS1_9scan_implILNS1_25lookback_scan_determinismE0ELb1ELb1ES3_N6thrust23THRUST_200600_302600_NS6detail15normal_iteratorINS9_10device_ptrIiEEEESE_iNS9_4plusIvEEiEEDaPvRmT3_T4_T5_mT6_P12ihipStream_tbENKUlT_T0_E_clISt17integral_constantIbLb1EESU_EEDaSP_SQ_EUlSP_E0_NS1_11comp_targetILNS1_3genE4ELNS1_11target_archE910ELNS1_3gpuE8ELNS1_3repE0EEENS1_30default_config_static_selectorELNS0_4arch9wavefront6targetE1EEEvT1_, .Lfunc_end833-_ZN7rocprim17ROCPRIM_400000_NS6detail17trampoline_kernelINS0_14default_configENS1_20scan_config_selectorIiEEZZNS1_9scan_implILNS1_25lookback_scan_determinismE0ELb1ELb1ES3_N6thrust23THRUST_200600_302600_NS6detail15normal_iteratorINS9_10device_ptrIiEEEESE_iNS9_4plusIvEEiEEDaPvRmT3_T4_T5_mT6_P12ihipStream_tbENKUlT_T0_E_clISt17integral_constantIbLb1EESU_EEDaSP_SQ_EUlSP_E0_NS1_11comp_targetILNS1_3genE4ELNS1_11target_archE910ELNS1_3gpuE8ELNS1_3repE0EEENS1_30default_config_static_selectorELNS0_4arch9wavefront6targetE1EEEvT1_
                                        ; -- End function
	.section	.AMDGPU.csdata,"",@progbits
; Kernel info:
; codeLenInByte = 1536
; NumSgprs: 29
; NumVgprs: 18
; NumAgprs: 0
; TotalNumVgprs: 18
; ScratchSize: 0
; MemoryBound: 0
; FloatMode: 240
; IeeeMode: 1
; LDSByteSize: 5120 bytes/workgroup (compile time only)
; SGPRBlocks: 3
; VGPRBlocks: 2
; NumSGPRsForWavesPerEU: 29
; NumVGPRsForWavesPerEU: 18
; AccumOffset: 20
; Occupancy: 6
; WaveLimiterHint : 0
; COMPUTE_PGM_RSRC2:SCRATCH_EN: 0
; COMPUTE_PGM_RSRC2:USER_SGPR: 6
; COMPUTE_PGM_RSRC2:TRAP_HANDLER: 0
; COMPUTE_PGM_RSRC2:TGID_X_EN: 1
; COMPUTE_PGM_RSRC2:TGID_Y_EN: 0
; COMPUTE_PGM_RSRC2:TGID_Z_EN: 0
; COMPUTE_PGM_RSRC2:TIDIG_COMP_CNT: 0
; COMPUTE_PGM_RSRC3_GFX90A:ACCUM_OFFSET: 4
; COMPUTE_PGM_RSRC3_GFX90A:TG_SPLIT: 0
	.section	.text._ZN7rocprim17ROCPRIM_400000_NS6detail17trampoline_kernelINS0_14default_configENS1_20scan_config_selectorIiEEZZNS1_9scan_implILNS1_25lookback_scan_determinismE0ELb1ELb1ES3_N6thrust23THRUST_200600_302600_NS6detail15normal_iteratorINS9_10device_ptrIiEEEESE_iNS9_4plusIvEEiEEDaPvRmT3_T4_T5_mT6_P12ihipStream_tbENKUlT_T0_E_clISt17integral_constantIbLb1EESU_EEDaSP_SQ_EUlSP_E0_NS1_11comp_targetILNS1_3genE3ELNS1_11target_archE908ELNS1_3gpuE7ELNS1_3repE0EEENS1_30default_config_static_selectorELNS0_4arch9wavefront6targetE1EEEvT1_,"axG",@progbits,_ZN7rocprim17ROCPRIM_400000_NS6detail17trampoline_kernelINS0_14default_configENS1_20scan_config_selectorIiEEZZNS1_9scan_implILNS1_25lookback_scan_determinismE0ELb1ELb1ES3_N6thrust23THRUST_200600_302600_NS6detail15normal_iteratorINS9_10device_ptrIiEEEESE_iNS9_4plusIvEEiEEDaPvRmT3_T4_T5_mT6_P12ihipStream_tbENKUlT_T0_E_clISt17integral_constantIbLb1EESU_EEDaSP_SQ_EUlSP_E0_NS1_11comp_targetILNS1_3genE3ELNS1_11target_archE908ELNS1_3gpuE7ELNS1_3repE0EEENS1_30default_config_static_selectorELNS0_4arch9wavefront6targetE1EEEvT1_,comdat
	.protected	_ZN7rocprim17ROCPRIM_400000_NS6detail17trampoline_kernelINS0_14default_configENS1_20scan_config_selectorIiEEZZNS1_9scan_implILNS1_25lookback_scan_determinismE0ELb1ELb1ES3_N6thrust23THRUST_200600_302600_NS6detail15normal_iteratorINS9_10device_ptrIiEEEESE_iNS9_4plusIvEEiEEDaPvRmT3_T4_T5_mT6_P12ihipStream_tbENKUlT_T0_E_clISt17integral_constantIbLb1EESU_EEDaSP_SQ_EUlSP_E0_NS1_11comp_targetILNS1_3genE3ELNS1_11target_archE908ELNS1_3gpuE7ELNS1_3repE0EEENS1_30default_config_static_selectorELNS0_4arch9wavefront6targetE1EEEvT1_ ; -- Begin function _ZN7rocprim17ROCPRIM_400000_NS6detail17trampoline_kernelINS0_14default_configENS1_20scan_config_selectorIiEEZZNS1_9scan_implILNS1_25lookback_scan_determinismE0ELb1ELb1ES3_N6thrust23THRUST_200600_302600_NS6detail15normal_iteratorINS9_10device_ptrIiEEEESE_iNS9_4plusIvEEiEEDaPvRmT3_T4_T5_mT6_P12ihipStream_tbENKUlT_T0_E_clISt17integral_constantIbLb1EESU_EEDaSP_SQ_EUlSP_E0_NS1_11comp_targetILNS1_3genE3ELNS1_11target_archE908ELNS1_3gpuE7ELNS1_3repE0EEENS1_30default_config_static_selectorELNS0_4arch9wavefront6targetE1EEEvT1_
	.globl	_ZN7rocprim17ROCPRIM_400000_NS6detail17trampoline_kernelINS0_14default_configENS1_20scan_config_selectorIiEEZZNS1_9scan_implILNS1_25lookback_scan_determinismE0ELb1ELb1ES3_N6thrust23THRUST_200600_302600_NS6detail15normal_iteratorINS9_10device_ptrIiEEEESE_iNS9_4plusIvEEiEEDaPvRmT3_T4_T5_mT6_P12ihipStream_tbENKUlT_T0_E_clISt17integral_constantIbLb1EESU_EEDaSP_SQ_EUlSP_E0_NS1_11comp_targetILNS1_3genE3ELNS1_11target_archE908ELNS1_3gpuE7ELNS1_3repE0EEENS1_30default_config_static_selectorELNS0_4arch9wavefront6targetE1EEEvT1_
	.p2align	8
	.type	_ZN7rocprim17ROCPRIM_400000_NS6detail17trampoline_kernelINS0_14default_configENS1_20scan_config_selectorIiEEZZNS1_9scan_implILNS1_25lookback_scan_determinismE0ELb1ELb1ES3_N6thrust23THRUST_200600_302600_NS6detail15normal_iteratorINS9_10device_ptrIiEEEESE_iNS9_4plusIvEEiEEDaPvRmT3_T4_T5_mT6_P12ihipStream_tbENKUlT_T0_E_clISt17integral_constantIbLb1EESU_EEDaSP_SQ_EUlSP_E0_NS1_11comp_targetILNS1_3genE3ELNS1_11target_archE908ELNS1_3gpuE7ELNS1_3repE0EEENS1_30default_config_static_selectorELNS0_4arch9wavefront6targetE1EEEvT1_,@function
_ZN7rocprim17ROCPRIM_400000_NS6detail17trampoline_kernelINS0_14default_configENS1_20scan_config_selectorIiEEZZNS1_9scan_implILNS1_25lookback_scan_determinismE0ELb1ELb1ES3_N6thrust23THRUST_200600_302600_NS6detail15normal_iteratorINS9_10device_ptrIiEEEESE_iNS9_4plusIvEEiEEDaPvRmT3_T4_T5_mT6_P12ihipStream_tbENKUlT_T0_E_clISt17integral_constantIbLb1EESU_EEDaSP_SQ_EUlSP_E0_NS1_11comp_targetILNS1_3genE3ELNS1_11target_archE908ELNS1_3gpuE7ELNS1_3repE0EEENS1_30default_config_static_selectorELNS0_4arch9wavefront6targetE1EEEvT1_: ; @_ZN7rocprim17ROCPRIM_400000_NS6detail17trampoline_kernelINS0_14default_configENS1_20scan_config_selectorIiEEZZNS1_9scan_implILNS1_25lookback_scan_determinismE0ELb1ELb1ES3_N6thrust23THRUST_200600_302600_NS6detail15normal_iteratorINS9_10device_ptrIiEEEESE_iNS9_4plusIvEEiEEDaPvRmT3_T4_T5_mT6_P12ihipStream_tbENKUlT_T0_E_clISt17integral_constantIbLb1EESU_EEDaSP_SQ_EUlSP_E0_NS1_11comp_targetILNS1_3genE3ELNS1_11target_archE908ELNS1_3gpuE7ELNS1_3repE0EEENS1_30default_config_static_selectorELNS0_4arch9wavefront6targetE1EEEvT1_
; %bb.0:
	.section	.rodata,"a",@progbits
	.p2align	6, 0x0
	.amdhsa_kernel _ZN7rocprim17ROCPRIM_400000_NS6detail17trampoline_kernelINS0_14default_configENS1_20scan_config_selectorIiEEZZNS1_9scan_implILNS1_25lookback_scan_determinismE0ELb1ELb1ES3_N6thrust23THRUST_200600_302600_NS6detail15normal_iteratorINS9_10device_ptrIiEEEESE_iNS9_4plusIvEEiEEDaPvRmT3_T4_T5_mT6_P12ihipStream_tbENKUlT_T0_E_clISt17integral_constantIbLb1EESU_EEDaSP_SQ_EUlSP_E0_NS1_11comp_targetILNS1_3genE3ELNS1_11target_archE908ELNS1_3gpuE7ELNS1_3repE0EEENS1_30default_config_static_selectorELNS0_4arch9wavefront6targetE1EEEvT1_
		.amdhsa_group_segment_fixed_size 0
		.amdhsa_private_segment_fixed_size 0
		.amdhsa_kernarg_size 32
		.amdhsa_user_sgpr_count 6
		.amdhsa_user_sgpr_private_segment_buffer 1
		.amdhsa_user_sgpr_dispatch_ptr 0
		.amdhsa_user_sgpr_queue_ptr 0
		.amdhsa_user_sgpr_kernarg_segment_ptr 1
		.amdhsa_user_sgpr_dispatch_id 0
		.amdhsa_user_sgpr_flat_scratch_init 0
		.amdhsa_user_sgpr_kernarg_preload_length 0
		.amdhsa_user_sgpr_kernarg_preload_offset 0
		.amdhsa_user_sgpr_private_segment_size 0
		.amdhsa_uses_dynamic_stack 0
		.amdhsa_system_sgpr_private_segment_wavefront_offset 0
		.amdhsa_system_sgpr_workgroup_id_x 1
		.amdhsa_system_sgpr_workgroup_id_y 0
		.amdhsa_system_sgpr_workgroup_id_z 0
		.amdhsa_system_sgpr_workgroup_info 0
		.amdhsa_system_vgpr_workitem_id 0
		.amdhsa_next_free_vgpr 1
		.amdhsa_next_free_sgpr 0
		.amdhsa_accum_offset 4
		.amdhsa_reserve_vcc 0
		.amdhsa_reserve_flat_scratch 0
		.amdhsa_float_round_mode_32 0
		.amdhsa_float_round_mode_16_64 0
		.amdhsa_float_denorm_mode_32 3
		.amdhsa_float_denorm_mode_16_64 3
		.amdhsa_dx10_clamp 1
		.amdhsa_ieee_mode 1
		.amdhsa_fp16_overflow 0
		.amdhsa_tg_split 0
		.amdhsa_exception_fp_ieee_invalid_op 0
		.amdhsa_exception_fp_denorm_src 0
		.amdhsa_exception_fp_ieee_div_zero 0
		.amdhsa_exception_fp_ieee_overflow 0
		.amdhsa_exception_fp_ieee_underflow 0
		.amdhsa_exception_fp_ieee_inexact 0
		.amdhsa_exception_int_div_zero 0
	.end_amdhsa_kernel
	.section	.text._ZN7rocprim17ROCPRIM_400000_NS6detail17trampoline_kernelINS0_14default_configENS1_20scan_config_selectorIiEEZZNS1_9scan_implILNS1_25lookback_scan_determinismE0ELb1ELb1ES3_N6thrust23THRUST_200600_302600_NS6detail15normal_iteratorINS9_10device_ptrIiEEEESE_iNS9_4plusIvEEiEEDaPvRmT3_T4_T5_mT6_P12ihipStream_tbENKUlT_T0_E_clISt17integral_constantIbLb1EESU_EEDaSP_SQ_EUlSP_E0_NS1_11comp_targetILNS1_3genE3ELNS1_11target_archE908ELNS1_3gpuE7ELNS1_3repE0EEENS1_30default_config_static_selectorELNS0_4arch9wavefront6targetE1EEEvT1_,"axG",@progbits,_ZN7rocprim17ROCPRIM_400000_NS6detail17trampoline_kernelINS0_14default_configENS1_20scan_config_selectorIiEEZZNS1_9scan_implILNS1_25lookback_scan_determinismE0ELb1ELb1ES3_N6thrust23THRUST_200600_302600_NS6detail15normal_iteratorINS9_10device_ptrIiEEEESE_iNS9_4plusIvEEiEEDaPvRmT3_T4_T5_mT6_P12ihipStream_tbENKUlT_T0_E_clISt17integral_constantIbLb1EESU_EEDaSP_SQ_EUlSP_E0_NS1_11comp_targetILNS1_3genE3ELNS1_11target_archE908ELNS1_3gpuE7ELNS1_3repE0EEENS1_30default_config_static_selectorELNS0_4arch9wavefront6targetE1EEEvT1_,comdat
.Lfunc_end834:
	.size	_ZN7rocprim17ROCPRIM_400000_NS6detail17trampoline_kernelINS0_14default_configENS1_20scan_config_selectorIiEEZZNS1_9scan_implILNS1_25lookback_scan_determinismE0ELb1ELb1ES3_N6thrust23THRUST_200600_302600_NS6detail15normal_iteratorINS9_10device_ptrIiEEEESE_iNS9_4plusIvEEiEEDaPvRmT3_T4_T5_mT6_P12ihipStream_tbENKUlT_T0_E_clISt17integral_constantIbLb1EESU_EEDaSP_SQ_EUlSP_E0_NS1_11comp_targetILNS1_3genE3ELNS1_11target_archE908ELNS1_3gpuE7ELNS1_3repE0EEENS1_30default_config_static_selectorELNS0_4arch9wavefront6targetE1EEEvT1_, .Lfunc_end834-_ZN7rocprim17ROCPRIM_400000_NS6detail17trampoline_kernelINS0_14default_configENS1_20scan_config_selectorIiEEZZNS1_9scan_implILNS1_25lookback_scan_determinismE0ELb1ELb1ES3_N6thrust23THRUST_200600_302600_NS6detail15normal_iteratorINS9_10device_ptrIiEEEESE_iNS9_4plusIvEEiEEDaPvRmT3_T4_T5_mT6_P12ihipStream_tbENKUlT_T0_E_clISt17integral_constantIbLb1EESU_EEDaSP_SQ_EUlSP_E0_NS1_11comp_targetILNS1_3genE3ELNS1_11target_archE908ELNS1_3gpuE7ELNS1_3repE0EEENS1_30default_config_static_selectorELNS0_4arch9wavefront6targetE1EEEvT1_
                                        ; -- End function
	.section	.AMDGPU.csdata,"",@progbits
; Kernel info:
; codeLenInByte = 0
; NumSgprs: 4
; NumVgprs: 0
; NumAgprs: 0
; TotalNumVgprs: 0
; ScratchSize: 0
; MemoryBound: 0
; FloatMode: 240
; IeeeMode: 1
; LDSByteSize: 0 bytes/workgroup (compile time only)
; SGPRBlocks: 0
; VGPRBlocks: 0
; NumSGPRsForWavesPerEU: 4
; NumVGPRsForWavesPerEU: 1
; AccumOffset: 4
; Occupancy: 8
; WaveLimiterHint : 0
; COMPUTE_PGM_RSRC2:SCRATCH_EN: 0
; COMPUTE_PGM_RSRC2:USER_SGPR: 6
; COMPUTE_PGM_RSRC2:TRAP_HANDLER: 0
; COMPUTE_PGM_RSRC2:TGID_X_EN: 1
; COMPUTE_PGM_RSRC2:TGID_Y_EN: 0
; COMPUTE_PGM_RSRC2:TGID_Z_EN: 0
; COMPUTE_PGM_RSRC2:TIDIG_COMP_CNT: 0
; COMPUTE_PGM_RSRC3_GFX90A:ACCUM_OFFSET: 0
; COMPUTE_PGM_RSRC3_GFX90A:TG_SPLIT: 0
	.section	.text._ZN7rocprim17ROCPRIM_400000_NS6detail17trampoline_kernelINS0_14default_configENS1_20scan_config_selectorIiEEZZNS1_9scan_implILNS1_25lookback_scan_determinismE0ELb1ELb1ES3_N6thrust23THRUST_200600_302600_NS6detail15normal_iteratorINS9_10device_ptrIiEEEESE_iNS9_4plusIvEEiEEDaPvRmT3_T4_T5_mT6_P12ihipStream_tbENKUlT_T0_E_clISt17integral_constantIbLb1EESU_EEDaSP_SQ_EUlSP_E0_NS1_11comp_targetILNS1_3genE2ELNS1_11target_archE906ELNS1_3gpuE6ELNS1_3repE0EEENS1_30default_config_static_selectorELNS0_4arch9wavefront6targetE1EEEvT1_,"axG",@progbits,_ZN7rocprim17ROCPRIM_400000_NS6detail17trampoline_kernelINS0_14default_configENS1_20scan_config_selectorIiEEZZNS1_9scan_implILNS1_25lookback_scan_determinismE0ELb1ELb1ES3_N6thrust23THRUST_200600_302600_NS6detail15normal_iteratorINS9_10device_ptrIiEEEESE_iNS9_4plusIvEEiEEDaPvRmT3_T4_T5_mT6_P12ihipStream_tbENKUlT_T0_E_clISt17integral_constantIbLb1EESU_EEDaSP_SQ_EUlSP_E0_NS1_11comp_targetILNS1_3genE2ELNS1_11target_archE906ELNS1_3gpuE6ELNS1_3repE0EEENS1_30default_config_static_selectorELNS0_4arch9wavefront6targetE1EEEvT1_,comdat
	.protected	_ZN7rocprim17ROCPRIM_400000_NS6detail17trampoline_kernelINS0_14default_configENS1_20scan_config_selectorIiEEZZNS1_9scan_implILNS1_25lookback_scan_determinismE0ELb1ELb1ES3_N6thrust23THRUST_200600_302600_NS6detail15normal_iteratorINS9_10device_ptrIiEEEESE_iNS9_4plusIvEEiEEDaPvRmT3_T4_T5_mT6_P12ihipStream_tbENKUlT_T0_E_clISt17integral_constantIbLb1EESU_EEDaSP_SQ_EUlSP_E0_NS1_11comp_targetILNS1_3genE2ELNS1_11target_archE906ELNS1_3gpuE6ELNS1_3repE0EEENS1_30default_config_static_selectorELNS0_4arch9wavefront6targetE1EEEvT1_ ; -- Begin function _ZN7rocprim17ROCPRIM_400000_NS6detail17trampoline_kernelINS0_14default_configENS1_20scan_config_selectorIiEEZZNS1_9scan_implILNS1_25lookback_scan_determinismE0ELb1ELb1ES3_N6thrust23THRUST_200600_302600_NS6detail15normal_iteratorINS9_10device_ptrIiEEEESE_iNS9_4plusIvEEiEEDaPvRmT3_T4_T5_mT6_P12ihipStream_tbENKUlT_T0_E_clISt17integral_constantIbLb1EESU_EEDaSP_SQ_EUlSP_E0_NS1_11comp_targetILNS1_3genE2ELNS1_11target_archE906ELNS1_3gpuE6ELNS1_3repE0EEENS1_30default_config_static_selectorELNS0_4arch9wavefront6targetE1EEEvT1_
	.globl	_ZN7rocprim17ROCPRIM_400000_NS6detail17trampoline_kernelINS0_14default_configENS1_20scan_config_selectorIiEEZZNS1_9scan_implILNS1_25lookback_scan_determinismE0ELb1ELb1ES3_N6thrust23THRUST_200600_302600_NS6detail15normal_iteratorINS9_10device_ptrIiEEEESE_iNS9_4plusIvEEiEEDaPvRmT3_T4_T5_mT6_P12ihipStream_tbENKUlT_T0_E_clISt17integral_constantIbLb1EESU_EEDaSP_SQ_EUlSP_E0_NS1_11comp_targetILNS1_3genE2ELNS1_11target_archE906ELNS1_3gpuE6ELNS1_3repE0EEENS1_30default_config_static_selectorELNS0_4arch9wavefront6targetE1EEEvT1_
	.p2align	8
	.type	_ZN7rocprim17ROCPRIM_400000_NS6detail17trampoline_kernelINS0_14default_configENS1_20scan_config_selectorIiEEZZNS1_9scan_implILNS1_25lookback_scan_determinismE0ELb1ELb1ES3_N6thrust23THRUST_200600_302600_NS6detail15normal_iteratorINS9_10device_ptrIiEEEESE_iNS9_4plusIvEEiEEDaPvRmT3_T4_T5_mT6_P12ihipStream_tbENKUlT_T0_E_clISt17integral_constantIbLb1EESU_EEDaSP_SQ_EUlSP_E0_NS1_11comp_targetILNS1_3genE2ELNS1_11target_archE906ELNS1_3gpuE6ELNS1_3repE0EEENS1_30default_config_static_selectorELNS0_4arch9wavefront6targetE1EEEvT1_,@function
_ZN7rocprim17ROCPRIM_400000_NS6detail17trampoline_kernelINS0_14default_configENS1_20scan_config_selectorIiEEZZNS1_9scan_implILNS1_25lookback_scan_determinismE0ELb1ELb1ES3_N6thrust23THRUST_200600_302600_NS6detail15normal_iteratorINS9_10device_ptrIiEEEESE_iNS9_4plusIvEEiEEDaPvRmT3_T4_T5_mT6_P12ihipStream_tbENKUlT_T0_E_clISt17integral_constantIbLb1EESU_EEDaSP_SQ_EUlSP_E0_NS1_11comp_targetILNS1_3genE2ELNS1_11target_archE906ELNS1_3gpuE6ELNS1_3repE0EEENS1_30default_config_static_selectorELNS0_4arch9wavefront6targetE1EEEvT1_: ; @_ZN7rocprim17ROCPRIM_400000_NS6detail17trampoline_kernelINS0_14default_configENS1_20scan_config_selectorIiEEZZNS1_9scan_implILNS1_25lookback_scan_determinismE0ELb1ELb1ES3_N6thrust23THRUST_200600_302600_NS6detail15normal_iteratorINS9_10device_ptrIiEEEESE_iNS9_4plusIvEEiEEDaPvRmT3_T4_T5_mT6_P12ihipStream_tbENKUlT_T0_E_clISt17integral_constantIbLb1EESU_EEDaSP_SQ_EUlSP_E0_NS1_11comp_targetILNS1_3genE2ELNS1_11target_archE906ELNS1_3gpuE6ELNS1_3repE0EEENS1_30default_config_static_selectorELNS0_4arch9wavefront6targetE1EEEvT1_
; %bb.0:
	.section	.rodata,"a",@progbits
	.p2align	6, 0x0
	.amdhsa_kernel _ZN7rocprim17ROCPRIM_400000_NS6detail17trampoline_kernelINS0_14default_configENS1_20scan_config_selectorIiEEZZNS1_9scan_implILNS1_25lookback_scan_determinismE0ELb1ELb1ES3_N6thrust23THRUST_200600_302600_NS6detail15normal_iteratorINS9_10device_ptrIiEEEESE_iNS9_4plusIvEEiEEDaPvRmT3_T4_T5_mT6_P12ihipStream_tbENKUlT_T0_E_clISt17integral_constantIbLb1EESU_EEDaSP_SQ_EUlSP_E0_NS1_11comp_targetILNS1_3genE2ELNS1_11target_archE906ELNS1_3gpuE6ELNS1_3repE0EEENS1_30default_config_static_selectorELNS0_4arch9wavefront6targetE1EEEvT1_
		.amdhsa_group_segment_fixed_size 0
		.amdhsa_private_segment_fixed_size 0
		.amdhsa_kernarg_size 32
		.amdhsa_user_sgpr_count 6
		.amdhsa_user_sgpr_private_segment_buffer 1
		.amdhsa_user_sgpr_dispatch_ptr 0
		.amdhsa_user_sgpr_queue_ptr 0
		.amdhsa_user_sgpr_kernarg_segment_ptr 1
		.amdhsa_user_sgpr_dispatch_id 0
		.amdhsa_user_sgpr_flat_scratch_init 0
		.amdhsa_user_sgpr_kernarg_preload_length 0
		.amdhsa_user_sgpr_kernarg_preload_offset 0
		.amdhsa_user_sgpr_private_segment_size 0
		.amdhsa_uses_dynamic_stack 0
		.amdhsa_system_sgpr_private_segment_wavefront_offset 0
		.amdhsa_system_sgpr_workgroup_id_x 1
		.amdhsa_system_sgpr_workgroup_id_y 0
		.amdhsa_system_sgpr_workgroup_id_z 0
		.amdhsa_system_sgpr_workgroup_info 0
		.amdhsa_system_vgpr_workitem_id 0
		.amdhsa_next_free_vgpr 1
		.amdhsa_next_free_sgpr 0
		.amdhsa_accum_offset 4
		.amdhsa_reserve_vcc 0
		.amdhsa_reserve_flat_scratch 0
		.amdhsa_float_round_mode_32 0
		.amdhsa_float_round_mode_16_64 0
		.amdhsa_float_denorm_mode_32 3
		.amdhsa_float_denorm_mode_16_64 3
		.amdhsa_dx10_clamp 1
		.amdhsa_ieee_mode 1
		.amdhsa_fp16_overflow 0
		.amdhsa_tg_split 0
		.amdhsa_exception_fp_ieee_invalid_op 0
		.amdhsa_exception_fp_denorm_src 0
		.amdhsa_exception_fp_ieee_div_zero 0
		.amdhsa_exception_fp_ieee_overflow 0
		.amdhsa_exception_fp_ieee_underflow 0
		.amdhsa_exception_fp_ieee_inexact 0
		.amdhsa_exception_int_div_zero 0
	.end_amdhsa_kernel
	.section	.text._ZN7rocprim17ROCPRIM_400000_NS6detail17trampoline_kernelINS0_14default_configENS1_20scan_config_selectorIiEEZZNS1_9scan_implILNS1_25lookback_scan_determinismE0ELb1ELb1ES3_N6thrust23THRUST_200600_302600_NS6detail15normal_iteratorINS9_10device_ptrIiEEEESE_iNS9_4plusIvEEiEEDaPvRmT3_T4_T5_mT6_P12ihipStream_tbENKUlT_T0_E_clISt17integral_constantIbLb1EESU_EEDaSP_SQ_EUlSP_E0_NS1_11comp_targetILNS1_3genE2ELNS1_11target_archE906ELNS1_3gpuE6ELNS1_3repE0EEENS1_30default_config_static_selectorELNS0_4arch9wavefront6targetE1EEEvT1_,"axG",@progbits,_ZN7rocprim17ROCPRIM_400000_NS6detail17trampoline_kernelINS0_14default_configENS1_20scan_config_selectorIiEEZZNS1_9scan_implILNS1_25lookback_scan_determinismE0ELb1ELb1ES3_N6thrust23THRUST_200600_302600_NS6detail15normal_iteratorINS9_10device_ptrIiEEEESE_iNS9_4plusIvEEiEEDaPvRmT3_T4_T5_mT6_P12ihipStream_tbENKUlT_T0_E_clISt17integral_constantIbLb1EESU_EEDaSP_SQ_EUlSP_E0_NS1_11comp_targetILNS1_3genE2ELNS1_11target_archE906ELNS1_3gpuE6ELNS1_3repE0EEENS1_30default_config_static_selectorELNS0_4arch9wavefront6targetE1EEEvT1_,comdat
.Lfunc_end835:
	.size	_ZN7rocprim17ROCPRIM_400000_NS6detail17trampoline_kernelINS0_14default_configENS1_20scan_config_selectorIiEEZZNS1_9scan_implILNS1_25lookback_scan_determinismE0ELb1ELb1ES3_N6thrust23THRUST_200600_302600_NS6detail15normal_iteratorINS9_10device_ptrIiEEEESE_iNS9_4plusIvEEiEEDaPvRmT3_T4_T5_mT6_P12ihipStream_tbENKUlT_T0_E_clISt17integral_constantIbLb1EESU_EEDaSP_SQ_EUlSP_E0_NS1_11comp_targetILNS1_3genE2ELNS1_11target_archE906ELNS1_3gpuE6ELNS1_3repE0EEENS1_30default_config_static_selectorELNS0_4arch9wavefront6targetE1EEEvT1_, .Lfunc_end835-_ZN7rocprim17ROCPRIM_400000_NS6detail17trampoline_kernelINS0_14default_configENS1_20scan_config_selectorIiEEZZNS1_9scan_implILNS1_25lookback_scan_determinismE0ELb1ELb1ES3_N6thrust23THRUST_200600_302600_NS6detail15normal_iteratorINS9_10device_ptrIiEEEESE_iNS9_4plusIvEEiEEDaPvRmT3_T4_T5_mT6_P12ihipStream_tbENKUlT_T0_E_clISt17integral_constantIbLb1EESU_EEDaSP_SQ_EUlSP_E0_NS1_11comp_targetILNS1_3genE2ELNS1_11target_archE906ELNS1_3gpuE6ELNS1_3repE0EEENS1_30default_config_static_selectorELNS0_4arch9wavefront6targetE1EEEvT1_
                                        ; -- End function
	.section	.AMDGPU.csdata,"",@progbits
; Kernel info:
; codeLenInByte = 0
; NumSgprs: 4
; NumVgprs: 0
; NumAgprs: 0
; TotalNumVgprs: 0
; ScratchSize: 0
; MemoryBound: 0
; FloatMode: 240
; IeeeMode: 1
; LDSByteSize: 0 bytes/workgroup (compile time only)
; SGPRBlocks: 0
; VGPRBlocks: 0
; NumSGPRsForWavesPerEU: 4
; NumVGPRsForWavesPerEU: 1
; AccumOffset: 4
; Occupancy: 8
; WaveLimiterHint : 0
; COMPUTE_PGM_RSRC2:SCRATCH_EN: 0
; COMPUTE_PGM_RSRC2:USER_SGPR: 6
; COMPUTE_PGM_RSRC2:TRAP_HANDLER: 0
; COMPUTE_PGM_RSRC2:TGID_X_EN: 1
; COMPUTE_PGM_RSRC2:TGID_Y_EN: 0
; COMPUTE_PGM_RSRC2:TGID_Z_EN: 0
; COMPUTE_PGM_RSRC2:TIDIG_COMP_CNT: 0
; COMPUTE_PGM_RSRC3_GFX90A:ACCUM_OFFSET: 0
; COMPUTE_PGM_RSRC3_GFX90A:TG_SPLIT: 0
	.section	.text._ZN7rocprim17ROCPRIM_400000_NS6detail17trampoline_kernelINS0_14default_configENS1_20scan_config_selectorIiEEZZNS1_9scan_implILNS1_25lookback_scan_determinismE0ELb1ELb1ES3_N6thrust23THRUST_200600_302600_NS6detail15normal_iteratorINS9_10device_ptrIiEEEESE_iNS9_4plusIvEEiEEDaPvRmT3_T4_T5_mT6_P12ihipStream_tbENKUlT_T0_E_clISt17integral_constantIbLb1EESU_EEDaSP_SQ_EUlSP_E0_NS1_11comp_targetILNS1_3genE10ELNS1_11target_archE1201ELNS1_3gpuE5ELNS1_3repE0EEENS1_30default_config_static_selectorELNS0_4arch9wavefront6targetE1EEEvT1_,"axG",@progbits,_ZN7rocprim17ROCPRIM_400000_NS6detail17trampoline_kernelINS0_14default_configENS1_20scan_config_selectorIiEEZZNS1_9scan_implILNS1_25lookback_scan_determinismE0ELb1ELb1ES3_N6thrust23THRUST_200600_302600_NS6detail15normal_iteratorINS9_10device_ptrIiEEEESE_iNS9_4plusIvEEiEEDaPvRmT3_T4_T5_mT6_P12ihipStream_tbENKUlT_T0_E_clISt17integral_constantIbLb1EESU_EEDaSP_SQ_EUlSP_E0_NS1_11comp_targetILNS1_3genE10ELNS1_11target_archE1201ELNS1_3gpuE5ELNS1_3repE0EEENS1_30default_config_static_selectorELNS0_4arch9wavefront6targetE1EEEvT1_,comdat
	.protected	_ZN7rocprim17ROCPRIM_400000_NS6detail17trampoline_kernelINS0_14default_configENS1_20scan_config_selectorIiEEZZNS1_9scan_implILNS1_25lookback_scan_determinismE0ELb1ELb1ES3_N6thrust23THRUST_200600_302600_NS6detail15normal_iteratorINS9_10device_ptrIiEEEESE_iNS9_4plusIvEEiEEDaPvRmT3_T4_T5_mT6_P12ihipStream_tbENKUlT_T0_E_clISt17integral_constantIbLb1EESU_EEDaSP_SQ_EUlSP_E0_NS1_11comp_targetILNS1_3genE10ELNS1_11target_archE1201ELNS1_3gpuE5ELNS1_3repE0EEENS1_30default_config_static_selectorELNS0_4arch9wavefront6targetE1EEEvT1_ ; -- Begin function _ZN7rocprim17ROCPRIM_400000_NS6detail17trampoline_kernelINS0_14default_configENS1_20scan_config_selectorIiEEZZNS1_9scan_implILNS1_25lookback_scan_determinismE0ELb1ELb1ES3_N6thrust23THRUST_200600_302600_NS6detail15normal_iteratorINS9_10device_ptrIiEEEESE_iNS9_4plusIvEEiEEDaPvRmT3_T4_T5_mT6_P12ihipStream_tbENKUlT_T0_E_clISt17integral_constantIbLb1EESU_EEDaSP_SQ_EUlSP_E0_NS1_11comp_targetILNS1_3genE10ELNS1_11target_archE1201ELNS1_3gpuE5ELNS1_3repE0EEENS1_30default_config_static_selectorELNS0_4arch9wavefront6targetE1EEEvT1_
	.globl	_ZN7rocprim17ROCPRIM_400000_NS6detail17trampoline_kernelINS0_14default_configENS1_20scan_config_selectorIiEEZZNS1_9scan_implILNS1_25lookback_scan_determinismE0ELb1ELb1ES3_N6thrust23THRUST_200600_302600_NS6detail15normal_iteratorINS9_10device_ptrIiEEEESE_iNS9_4plusIvEEiEEDaPvRmT3_T4_T5_mT6_P12ihipStream_tbENKUlT_T0_E_clISt17integral_constantIbLb1EESU_EEDaSP_SQ_EUlSP_E0_NS1_11comp_targetILNS1_3genE10ELNS1_11target_archE1201ELNS1_3gpuE5ELNS1_3repE0EEENS1_30default_config_static_selectorELNS0_4arch9wavefront6targetE1EEEvT1_
	.p2align	8
	.type	_ZN7rocprim17ROCPRIM_400000_NS6detail17trampoline_kernelINS0_14default_configENS1_20scan_config_selectorIiEEZZNS1_9scan_implILNS1_25lookback_scan_determinismE0ELb1ELb1ES3_N6thrust23THRUST_200600_302600_NS6detail15normal_iteratorINS9_10device_ptrIiEEEESE_iNS9_4plusIvEEiEEDaPvRmT3_T4_T5_mT6_P12ihipStream_tbENKUlT_T0_E_clISt17integral_constantIbLb1EESU_EEDaSP_SQ_EUlSP_E0_NS1_11comp_targetILNS1_3genE10ELNS1_11target_archE1201ELNS1_3gpuE5ELNS1_3repE0EEENS1_30default_config_static_selectorELNS0_4arch9wavefront6targetE1EEEvT1_,@function
_ZN7rocprim17ROCPRIM_400000_NS6detail17trampoline_kernelINS0_14default_configENS1_20scan_config_selectorIiEEZZNS1_9scan_implILNS1_25lookback_scan_determinismE0ELb1ELb1ES3_N6thrust23THRUST_200600_302600_NS6detail15normal_iteratorINS9_10device_ptrIiEEEESE_iNS9_4plusIvEEiEEDaPvRmT3_T4_T5_mT6_P12ihipStream_tbENKUlT_T0_E_clISt17integral_constantIbLb1EESU_EEDaSP_SQ_EUlSP_E0_NS1_11comp_targetILNS1_3genE10ELNS1_11target_archE1201ELNS1_3gpuE5ELNS1_3repE0EEENS1_30default_config_static_selectorELNS0_4arch9wavefront6targetE1EEEvT1_: ; @_ZN7rocprim17ROCPRIM_400000_NS6detail17trampoline_kernelINS0_14default_configENS1_20scan_config_selectorIiEEZZNS1_9scan_implILNS1_25lookback_scan_determinismE0ELb1ELb1ES3_N6thrust23THRUST_200600_302600_NS6detail15normal_iteratorINS9_10device_ptrIiEEEESE_iNS9_4plusIvEEiEEDaPvRmT3_T4_T5_mT6_P12ihipStream_tbENKUlT_T0_E_clISt17integral_constantIbLb1EESU_EEDaSP_SQ_EUlSP_E0_NS1_11comp_targetILNS1_3genE10ELNS1_11target_archE1201ELNS1_3gpuE5ELNS1_3repE0EEENS1_30default_config_static_selectorELNS0_4arch9wavefront6targetE1EEEvT1_
; %bb.0:
	.section	.rodata,"a",@progbits
	.p2align	6, 0x0
	.amdhsa_kernel _ZN7rocprim17ROCPRIM_400000_NS6detail17trampoline_kernelINS0_14default_configENS1_20scan_config_selectorIiEEZZNS1_9scan_implILNS1_25lookback_scan_determinismE0ELb1ELb1ES3_N6thrust23THRUST_200600_302600_NS6detail15normal_iteratorINS9_10device_ptrIiEEEESE_iNS9_4plusIvEEiEEDaPvRmT3_T4_T5_mT6_P12ihipStream_tbENKUlT_T0_E_clISt17integral_constantIbLb1EESU_EEDaSP_SQ_EUlSP_E0_NS1_11comp_targetILNS1_3genE10ELNS1_11target_archE1201ELNS1_3gpuE5ELNS1_3repE0EEENS1_30default_config_static_selectorELNS0_4arch9wavefront6targetE1EEEvT1_
		.amdhsa_group_segment_fixed_size 0
		.amdhsa_private_segment_fixed_size 0
		.amdhsa_kernarg_size 32
		.amdhsa_user_sgpr_count 6
		.amdhsa_user_sgpr_private_segment_buffer 1
		.amdhsa_user_sgpr_dispatch_ptr 0
		.amdhsa_user_sgpr_queue_ptr 0
		.amdhsa_user_sgpr_kernarg_segment_ptr 1
		.amdhsa_user_sgpr_dispatch_id 0
		.amdhsa_user_sgpr_flat_scratch_init 0
		.amdhsa_user_sgpr_kernarg_preload_length 0
		.amdhsa_user_sgpr_kernarg_preload_offset 0
		.amdhsa_user_sgpr_private_segment_size 0
		.amdhsa_uses_dynamic_stack 0
		.amdhsa_system_sgpr_private_segment_wavefront_offset 0
		.amdhsa_system_sgpr_workgroup_id_x 1
		.amdhsa_system_sgpr_workgroup_id_y 0
		.amdhsa_system_sgpr_workgroup_id_z 0
		.amdhsa_system_sgpr_workgroup_info 0
		.amdhsa_system_vgpr_workitem_id 0
		.amdhsa_next_free_vgpr 1
		.amdhsa_next_free_sgpr 0
		.amdhsa_accum_offset 4
		.amdhsa_reserve_vcc 0
		.amdhsa_reserve_flat_scratch 0
		.amdhsa_float_round_mode_32 0
		.amdhsa_float_round_mode_16_64 0
		.amdhsa_float_denorm_mode_32 3
		.amdhsa_float_denorm_mode_16_64 3
		.amdhsa_dx10_clamp 1
		.amdhsa_ieee_mode 1
		.amdhsa_fp16_overflow 0
		.amdhsa_tg_split 0
		.amdhsa_exception_fp_ieee_invalid_op 0
		.amdhsa_exception_fp_denorm_src 0
		.amdhsa_exception_fp_ieee_div_zero 0
		.amdhsa_exception_fp_ieee_overflow 0
		.amdhsa_exception_fp_ieee_underflow 0
		.amdhsa_exception_fp_ieee_inexact 0
		.amdhsa_exception_int_div_zero 0
	.end_amdhsa_kernel
	.section	.text._ZN7rocprim17ROCPRIM_400000_NS6detail17trampoline_kernelINS0_14default_configENS1_20scan_config_selectorIiEEZZNS1_9scan_implILNS1_25lookback_scan_determinismE0ELb1ELb1ES3_N6thrust23THRUST_200600_302600_NS6detail15normal_iteratorINS9_10device_ptrIiEEEESE_iNS9_4plusIvEEiEEDaPvRmT3_T4_T5_mT6_P12ihipStream_tbENKUlT_T0_E_clISt17integral_constantIbLb1EESU_EEDaSP_SQ_EUlSP_E0_NS1_11comp_targetILNS1_3genE10ELNS1_11target_archE1201ELNS1_3gpuE5ELNS1_3repE0EEENS1_30default_config_static_selectorELNS0_4arch9wavefront6targetE1EEEvT1_,"axG",@progbits,_ZN7rocprim17ROCPRIM_400000_NS6detail17trampoline_kernelINS0_14default_configENS1_20scan_config_selectorIiEEZZNS1_9scan_implILNS1_25lookback_scan_determinismE0ELb1ELb1ES3_N6thrust23THRUST_200600_302600_NS6detail15normal_iteratorINS9_10device_ptrIiEEEESE_iNS9_4plusIvEEiEEDaPvRmT3_T4_T5_mT6_P12ihipStream_tbENKUlT_T0_E_clISt17integral_constantIbLb1EESU_EEDaSP_SQ_EUlSP_E0_NS1_11comp_targetILNS1_3genE10ELNS1_11target_archE1201ELNS1_3gpuE5ELNS1_3repE0EEENS1_30default_config_static_selectorELNS0_4arch9wavefront6targetE1EEEvT1_,comdat
.Lfunc_end836:
	.size	_ZN7rocprim17ROCPRIM_400000_NS6detail17trampoline_kernelINS0_14default_configENS1_20scan_config_selectorIiEEZZNS1_9scan_implILNS1_25lookback_scan_determinismE0ELb1ELb1ES3_N6thrust23THRUST_200600_302600_NS6detail15normal_iteratorINS9_10device_ptrIiEEEESE_iNS9_4plusIvEEiEEDaPvRmT3_T4_T5_mT6_P12ihipStream_tbENKUlT_T0_E_clISt17integral_constantIbLb1EESU_EEDaSP_SQ_EUlSP_E0_NS1_11comp_targetILNS1_3genE10ELNS1_11target_archE1201ELNS1_3gpuE5ELNS1_3repE0EEENS1_30default_config_static_selectorELNS0_4arch9wavefront6targetE1EEEvT1_, .Lfunc_end836-_ZN7rocprim17ROCPRIM_400000_NS6detail17trampoline_kernelINS0_14default_configENS1_20scan_config_selectorIiEEZZNS1_9scan_implILNS1_25lookback_scan_determinismE0ELb1ELb1ES3_N6thrust23THRUST_200600_302600_NS6detail15normal_iteratorINS9_10device_ptrIiEEEESE_iNS9_4plusIvEEiEEDaPvRmT3_T4_T5_mT6_P12ihipStream_tbENKUlT_T0_E_clISt17integral_constantIbLb1EESU_EEDaSP_SQ_EUlSP_E0_NS1_11comp_targetILNS1_3genE10ELNS1_11target_archE1201ELNS1_3gpuE5ELNS1_3repE0EEENS1_30default_config_static_selectorELNS0_4arch9wavefront6targetE1EEEvT1_
                                        ; -- End function
	.section	.AMDGPU.csdata,"",@progbits
; Kernel info:
; codeLenInByte = 0
; NumSgprs: 4
; NumVgprs: 0
; NumAgprs: 0
; TotalNumVgprs: 0
; ScratchSize: 0
; MemoryBound: 0
; FloatMode: 240
; IeeeMode: 1
; LDSByteSize: 0 bytes/workgroup (compile time only)
; SGPRBlocks: 0
; VGPRBlocks: 0
; NumSGPRsForWavesPerEU: 4
; NumVGPRsForWavesPerEU: 1
; AccumOffset: 4
; Occupancy: 8
; WaveLimiterHint : 0
; COMPUTE_PGM_RSRC2:SCRATCH_EN: 0
; COMPUTE_PGM_RSRC2:USER_SGPR: 6
; COMPUTE_PGM_RSRC2:TRAP_HANDLER: 0
; COMPUTE_PGM_RSRC2:TGID_X_EN: 1
; COMPUTE_PGM_RSRC2:TGID_Y_EN: 0
; COMPUTE_PGM_RSRC2:TGID_Z_EN: 0
; COMPUTE_PGM_RSRC2:TIDIG_COMP_CNT: 0
; COMPUTE_PGM_RSRC3_GFX90A:ACCUM_OFFSET: 0
; COMPUTE_PGM_RSRC3_GFX90A:TG_SPLIT: 0
	.section	.text._ZN7rocprim17ROCPRIM_400000_NS6detail17trampoline_kernelINS0_14default_configENS1_20scan_config_selectorIiEEZZNS1_9scan_implILNS1_25lookback_scan_determinismE0ELb1ELb1ES3_N6thrust23THRUST_200600_302600_NS6detail15normal_iteratorINS9_10device_ptrIiEEEESE_iNS9_4plusIvEEiEEDaPvRmT3_T4_T5_mT6_P12ihipStream_tbENKUlT_T0_E_clISt17integral_constantIbLb1EESU_EEDaSP_SQ_EUlSP_E0_NS1_11comp_targetILNS1_3genE10ELNS1_11target_archE1200ELNS1_3gpuE4ELNS1_3repE0EEENS1_30default_config_static_selectorELNS0_4arch9wavefront6targetE1EEEvT1_,"axG",@progbits,_ZN7rocprim17ROCPRIM_400000_NS6detail17trampoline_kernelINS0_14default_configENS1_20scan_config_selectorIiEEZZNS1_9scan_implILNS1_25lookback_scan_determinismE0ELb1ELb1ES3_N6thrust23THRUST_200600_302600_NS6detail15normal_iteratorINS9_10device_ptrIiEEEESE_iNS9_4plusIvEEiEEDaPvRmT3_T4_T5_mT6_P12ihipStream_tbENKUlT_T0_E_clISt17integral_constantIbLb1EESU_EEDaSP_SQ_EUlSP_E0_NS1_11comp_targetILNS1_3genE10ELNS1_11target_archE1200ELNS1_3gpuE4ELNS1_3repE0EEENS1_30default_config_static_selectorELNS0_4arch9wavefront6targetE1EEEvT1_,comdat
	.protected	_ZN7rocprim17ROCPRIM_400000_NS6detail17trampoline_kernelINS0_14default_configENS1_20scan_config_selectorIiEEZZNS1_9scan_implILNS1_25lookback_scan_determinismE0ELb1ELb1ES3_N6thrust23THRUST_200600_302600_NS6detail15normal_iteratorINS9_10device_ptrIiEEEESE_iNS9_4plusIvEEiEEDaPvRmT3_T4_T5_mT6_P12ihipStream_tbENKUlT_T0_E_clISt17integral_constantIbLb1EESU_EEDaSP_SQ_EUlSP_E0_NS1_11comp_targetILNS1_3genE10ELNS1_11target_archE1200ELNS1_3gpuE4ELNS1_3repE0EEENS1_30default_config_static_selectorELNS0_4arch9wavefront6targetE1EEEvT1_ ; -- Begin function _ZN7rocprim17ROCPRIM_400000_NS6detail17trampoline_kernelINS0_14default_configENS1_20scan_config_selectorIiEEZZNS1_9scan_implILNS1_25lookback_scan_determinismE0ELb1ELb1ES3_N6thrust23THRUST_200600_302600_NS6detail15normal_iteratorINS9_10device_ptrIiEEEESE_iNS9_4plusIvEEiEEDaPvRmT3_T4_T5_mT6_P12ihipStream_tbENKUlT_T0_E_clISt17integral_constantIbLb1EESU_EEDaSP_SQ_EUlSP_E0_NS1_11comp_targetILNS1_3genE10ELNS1_11target_archE1200ELNS1_3gpuE4ELNS1_3repE0EEENS1_30default_config_static_selectorELNS0_4arch9wavefront6targetE1EEEvT1_
	.globl	_ZN7rocprim17ROCPRIM_400000_NS6detail17trampoline_kernelINS0_14default_configENS1_20scan_config_selectorIiEEZZNS1_9scan_implILNS1_25lookback_scan_determinismE0ELb1ELb1ES3_N6thrust23THRUST_200600_302600_NS6detail15normal_iteratorINS9_10device_ptrIiEEEESE_iNS9_4plusIvEEiEEDaPvRmT3_T4_T5_mT6_P12ihipStream_tbENKUlT_T0_E_clISt17integral_constantIbLb1EESU_EEDaSP_SQ_EUlSP_E0_NS1_11comp_targetILNS1_3genE10ELNS1_11target_archE1200ELNS1_3gpuE4ELNS1_3repE0EEENS1_30default_config_static_selectorELNS0_4arch9wavefront6targetE1EEEvT1_
	.p2align	8
	.type	_ZN7rocprim17ROCPRIM_400000_NS6detail17trampoline_kernelINS0_14default_configENS1_20scan_config_selectorIiEEZZNS1_9scan_implILNS1_25lookback_scan_determinismE0ELb1ELb1ES3_N6thrust23THRUST_200600_302600_NS6detail15normal_iteratorINS9_10device_ptrIiEEEESE_iNS9_4plusIvEEiEEDaPvRmT3_T4_T5_mT6_P12ihipStream_tbENKUlT_T0_E_clISt17integral_constantIbLb1EESU_EEDaSP_SQ_EUlSP_E0_NS1_11comp_targetILNS1_3genE10ELNS1_11target_archE1200ELNS1_3gpuE4ELNS1_3repE0EEENS1_30default_config_static_selectorELNS0_4arch9wavefront6targetE1EEEvT1_,@function
_ZN7rocprim17ROCPRIM_400000_NS6detail17trampoline_kernelINS0_14default_configENS1_20scan_config_selectorIiEEZZNS1_9scan_implILNS1_25lookback_scan_determinismE0ELb1ELb1ES3_N6thrust23THRUST_200600_302600_NS6detail15normal_iteratorINS9_10device_ptrIiEEEESE_iNS9_4plusIvEEiEEDaPvRmT3_T4_T5_mT6_P12ihipStream_tbENKUlT_T0_E_clISt17integral_constantIbLb1EESU_EEDaSP_SQ_EUlSP_E0_NS1_11comp_targetILNS1_3genE10ELNS1_11target_archE1200ELNS1_3gpuE4ELNS1_3repE0EEENS1_30default_config_static_selectorELNS0_4arch9wavefront6targetE1EEEvT1_: ; @_ZN7rocprim17ROCPRIM_400000_NS6detail17trampoline_kernelINS0_14default_configENS1_20scan_config_selectorIiEEZZNS1_9scan_implILNS1_25lookback_scan_determinismE0ELb1ELb1ES3_N6thrust23THRUST_200600_302600_NS6detail15normal_iteratorINS9_10device_ptrIiEEEESE_iNS9_4plusIvEEiEEDaPvRmT3_T4_T5_mT6_P12ihipStream_tbENKUlT_T0_E_clISt17integral_constantIbLb1EESU_EEDaSP_SQ_EUlSP_E0_NS1_11comp_targetILNS1_3genE10ELNS1_11target_archE1200ELNS1_3gpuE4ELNS1_3repE0EEENS1_30default_config_static_selectorELNS0_4arch9wavefront6targetE1EEEvT1_
; %bb.0:
	.section	.rodata,"a",@progbits
	.p2align	6, 0x0
	.amdhsa_kernel _ZN7rocprim17ROCPRIM_400000_NS6detail17trampoline_kernelINS0_14default_configENS1_20scan_config_selectorIiEEZZNS1_9scan_implILNS1_25lookback_scan_determinismE0ELb1ELb1ES3_N6thrust23THRUST_200600_302600_NS6detail15normal_iteratorINS9_10device_ptrIiEEEESE_iNS9_4plusIvEEiEEDaPvRmT3_T4_T5_mT6_P12ihipStream_tbENKUlT_T0_E_clISt17integral_constantIbLb1EESU_EEDaSP_SQ_EUlSP_E0_NS1_11comp_targetILNS1_3genE10ELNS1_11target_archE1200ELNS1_3gpuE4ELNS1_3repE0EEENS1_30default_config_static_selectorELNS0_4arch9wavefront6targetE1EEEvT1_
		.amdhsa_group_segment_fixed_size 0
		.amdhsa_private_segment_fixed_size 0
		.amdhsa_kernarg_size 32
		.amdhsa_user_sgpr_count 6
		.amdhsa_user_sgpr_private_segment_buffer 1
		.amdhsa_user_sgpr_dispatch_ptr 0
		.amdhsa_user_sgpr_queue_ptr 0
		.amdhsa_user_sgpr_kernarg_segment_ptr 1
		.amdhsa_user_sgpr_dispatch_id 0
		.amdhsa_user_sgpr_flat_scratch_init 0
		.amdhsa_user_sgpr_kernarg_preload_length 0
		.amdhsa_user_sgpr_kernarg_preload_offset 0
		.amdhsa_user_sgpr_private_segment_size 0
		.amdhsa_uses_dynamic_stack 0
		.amdhsa_system_sgpr_private_segment_wavefront_offset 0
		.amdhsa_system_sgpr_workgroup_id_x 1
		.amdhsa_system_sgpr_workgroup_id_y 0
		.amdhsa_system_sgpr_workgroup_id_z 0
		.amdhsa_system_sgpr_workgroup_info 0
		.amdhsa_system_vgpr_workitem_id 0
		.amdhsa_next_free_vgpr 1
		.amdhsa_next_free_sgpr 0
		.amdhsa_accum_offset 4
		.amdhsa_reserve_vcc 0
		.amdhsa_reserve_flat_scratch 0
		.amdhsa_float_round_mode_32 0
		.amdhsa_float_round_mode_16_64 0
		.amdhsa_float_denorm_mode_32 3
		.amdhsa_float_denorm_mode_16_64 3
		.amdhsa_dx10_clamp 1
		.amdhsa_ieee_mode 1
		.amdhsa_fp16_overflow 0
		.amdhsa_tg_split 0
		.amdhsa_exception_fp_ieee_invalid_op 0
		.amdhsa_exception_fp_denorm_src 0
		.amdhsa_exception_fp_ieee_div_zero 0
		.amdhsa_exception_fp_ieee_overflow 0
		.amdhsa_exception_fp_ieee_underflow 0
		.amdhsa_exception_fp_ieee_inexact 0
		.amdhsa_exception_int_div_zero 0
	.end_amdhsa_kernel
	.section	.text._ZN7rocprim17ROCPRIM_400000_NS6detail17trampoline_kernelINS0_14default_configENS1_20scan_config_selectorIiEEZZNS1_9scan_implILNS1_25lookback_scan_determinismE0ELb1ELb1ES3_N6thrust23THRUST_200600_302600_NS6detail15normal_iteratorINS9_10device_ptrIiEEEESE_iNS9_4plusIvEEiEEDaPvRmT3_T4_T5_mT6_P12ihipStream_tbENKUlT_T0_E_clISt17integral_constantIbLb1EESU_EEDaSP_SQ_EUlSP_E0_NS1_11comp_targetILNS1_3genE10ELNS1_11target_archE1200ELNS1_3gpuE4ELNS1_3repE0EEENS1_30default_config_static_selectorELNS0_4arch9wavefront6targetE1EEEvT1_,"axG",@progbits,_ZN7rocprim17ROCPRIM_400000_NS6detail17trampoline_kernelINS0_14default_configENS1_20scan_config_selectorIiEEZZNS1_9scan_implILNS1_25lookback_scan_determinismE0ELb1ELb1ES3_N6thrust23THRUST_200600_302600_NS6detail15normal_iteratorINS9_10device_ptrIiEEEESE_iNS9_4plusIvEEiEEDaPvRmT3_T4_T5_mT6_P12ihipStream_tbENKUlT_T0_E_clISt17integral_constantIbLb1EESU_EEDaSP_SQ_EUlSP_E0_NS1_11comp_targetILNS1_3genE10ELNS1_11target_archE1200ELNS1_3gpuE4ELNS1_3repE0EEENS1_30default_config_static_selectorELNS0_4arch9wavefront6targetE1EEEvT1_,comdat
.Lfunc_end837:
	.size	_ZN7rocprim17ROCPRIM_400000_NS6detail17trampoline_kernelINS0_14default_configENS1_20scan_config_selectorIiEEZZNS1_9scan_implILNS1_25lookback_scan_determinismE0ELb1ELb1ES3_N6thrust23THRUST_200600_302600_NS6detail15normal_iteratorINS9_10device_ptrIiEEEESE_iNS9_4plusIvEEiEEDaPvRmT3_T4_T5_mT6_P12ihipStream_tbENKUlT_T0_E_clISt17integral_constantIbLb1EESU_EEDaSP_SQ_EUlSP_E0_NS1_11comp_targetILNS1_3genE10ELNS1_11target_archE1200ELNS1_3gpuE4ELNS1_3repE0EEENS1_30default_config_static_selectorELNS0_4arch9wavefront6targetE1EEEvT1_, .Lfunc_end837-_ZN7rocprim17ROCPRIM_400000_NS6detail17trampoline_kernelINS0_14default_configENS1_20scan_config_selectorIiEEZZNS1_9scan_implILNS1_25lookback_scan_determinismE0ELb1ELb1ES3_N6thrust23THRUST_200600_302600_NS6detail15normal_iteratorINS9_10device_ptrIiEEEESE_iNS9_4plusIvEEiEEDaPvRmT3_T4_T5_mT6_P12ihipStream_tbENKUlT_T0_E_clISt17integral_constantIbLb1EESU_EEDaSP_SQ_EUlSP_E0_NS1_11comp_targetILNS1_3genE10ELNS1_11target_archE1200ELNS1_3gpuE4ELNS1_3repE0EEENS1_30default_config_static_selectorELNS0_4arch9wavefront6targetE1EEEvT1_
                                        ; -- End function
	.section	.AMDGPU.csdata,"",@progbits
; Kernel info:
; codeLenInByte = 0
; NumSgprs: 4
; NumVgprs: 0
; NumAgprs: 0
; TotalNumVgprs: 0
; ScratchSize: 0
; MemoryBound: 0
; FloatMode: 240
; IeeeMode: 1
; LDSByteSize: 0 bytes/workgroup (compile time only)
; SGPRBlocks: 0
; VGPRBlocks: 0
; NumSGPRsForWavesPerEU: 4
; NumVGPRsForWavesPerEU: 1
; AccumOffset: 4
; Occupancy: 8
; WaveLimiterHint : 0
; COMPUTE_PGM_RSRC2:SCRATCH_EN: 0
; COMPUTE_PGM_RSRC2:USER_SGPR: 6
; COMPUTE_PGM_RSRC2:TRAP_HANDLER: 0
; COMPUTE_PGM_RSRC2:TGID_X_EN: 1
; COMPUTE_PGM_RSRC2:TGID_Y_EN: 0
; COMPUTE_PGM_RSRC2:TGID_Z_EN: 0
; COMPUTE_PGM_RSRC2:TIDIG_COMP_CNT: 0
; COMPUTE_PGM_RSRC3_GFX90A:ACCUM_OFFSET: 0
; COMPUTE_PGM_RSRC3_GFX90A:TG_SPLIT: 0
	.section	.text._ZN7rocprim17ROCPRIM_400000_NS6detail17trampoline_kernelINS0_14default_configENS1_20scan_config_selectorIiEEZZNS1_9scan_implILNS1_25lookback_scan_determinismE0ELb1ELb1ES3_N6thrust23THRUST_200600_302600_NS6detail15normal_iteratorINS9_10device_ptrIiEEEESE_iNS9_4plusIvEEiEEDaPvRmT3_T4_T5_mT6_P12ihipStream_tbENKUlT_T0_E_clISt17integral_constantIbLb1EESU_EEDaSP_SQ_EUlSP_E0_NS1_11comp_targetILNS1_3genE9ELNS1_11target_archE1100ELNS1_3gpuE3ELNS1_3repE0EEENS1_30default_config_static_selectorELNS0_4arch9wavefront6targetE1EEEvT1_,"axG",@progbits,_ZN7rocprim17ROCPRIM_400000_NS6detail17trampoline_kernelINS0_14default_configENS1_20scan_config_selectorIiEEZZNS1_9scan_implILNS1_25lookback_scan_determinismE0ELb1ELb1ES3_N6thrust23THRUST_200600_302600_NS6detail15normal_iteratorINS9_10device_ptrIiEEEESE_iNS9_4plusIvEEiEEDaPvRmT3_T4_T5_mT6_P12ihipStream_tbENKUlT_T0_E_clISt17integral_constantIbLb1EESU_EEDaSP_SQ_EUlSP_E0_NS1_11comp_targetILNS1_3genE9ELNS1_11target_archE1100ELNS1_3gpuE3ELNS1_3repE0EEENS1_30default_config_static_selectorELNS0_4arch9wavefront6targetE1EEEvT1_,comdat
	.protected	_ZN7rocprim17ROCPRIM_400000_NS6detail17trampoline_kernelINS0_14default_configENS1_20scan_config_selectorIiEEZZNS1_9scan_implILNS1_25lookback_scan_determinismE0ELb1ELb1ES3_N6thrust23THRUST_200600_302600_NS6detail15normal_iteratorINS9_10device_ptrIiEEEESE_iNS9_4plusIvEEiEEDaPvRmT3_T4_T5_mT6_P12ihipStream_tbENKUlT_T0_E_clISt17integral_constantIbLb1EESU_EEDaSP_SQ_EUlSP_E0_NS1_11comp_targetILNS1_3genE9ELNS1_11target_archE1100ELNS1_3gpuE3ELNS1_3repE0EEENS1_30default_config_static_selectorELNS0_4arch9wavefront6targetE1EEEvT1_ ; -- Begin function _ZN7rocprim17ROCPRIM_400000_NS6detail17trampoline_kernelINS0_14default_configENS1_20scan_config_selectorIiEEZZNS1_9scan_implILNS1_25lookback_scan_determinismE0ELb1ELb1ES3_N6thrust23THRUST_200600_302600_NS6detail15normal_iteratorINS9_10device_ptrIiEEEESE_iNS9_4plusIvEEiEEDaPvRmT3_T4_T5_mT6_P12ihipStream_tbENKUlT_T0_E_clISt17integral_constantIbLb1EESU_EEDaSP_SQ_EUlSP_E0_NS1_11comp_targetILNS1_3genE9ELNS1_11target_archE1100ELNS1_3gpuE3ELNS1_3repE0EEENS1_30default_config_static_selectorELNS0_4arch9wavefront6targetE1EEEvT1_
	.globl	_ZN7rocprim17ROCPRIM_400000_NS6detail17trampoline_kernelINS0_14default_configENS1_20scan_config_selectorIiEEZZNS1_9scan_implILNS1_25lookback_scan_determinismE0ELb1ELb1ES3_N6thrust23THRUST_200600_302600_NS6detail15normal_iteratorINS9_10device_ptrIiEEEESE_iNS9_4plusIvEEiEEDaPvRmT3_T4_T5_mT6_P12ihipStream_tbENKUlT_T0_E_clISt17integral_constantIbLb1EESU_EEDaSP_SQ_EUlSP_E0_NS1_11comp_targetILNS1_3genE9ELNS1_11target_archE1100ELNS1_3gpuE3ELNS1_3repE0EEENS1_30default_config_static_selectorELNS0_4arch9wavefront6targetE1EEEvT1_
	.p2align	8
	.type	_ZN7rocprim17ROCPRIM_400000_NS6detail17trampoline_kernelINS0_14default_configENS1_20scan_config_selectorIiEEZZNS1_9scan_implILNS1_25lookback_scan_determinismE0ELb1ELb1ES3_N6thrust23THRUST_200600_302600_NS6detail15normal_iteratorINS9_10device_ptrIiEEEESE_iNS9_4plusIvEEiEEDaPvRmT3_T4_T5_mT6_P12ihipStream_tbENKUlT_T0_E_clISt17integral_constantIbLb1EESU_EEDaSP_SQ_EUlSP_E0_NS1_11comp_targetILNS1_3genE9ELNS1_11target_archE1100ELNS1_3gpuE3ELNS1_3repE0EEENS1_30default_config_static_selectorELNS0_4arch9wavefront6targetE1EEEvT1_,@function
_ZN7rocprim17ROCPRIM_400000_NS6detail17trampoline_kernelINS0_14default_configENS1_20scan_config_selectorIiEEZZNS1_9scan_implILNS1_25lookback_scan_determinismE0ELb1ELb1ES3_N6thrust23THRUST_200600_302600_NS6detail15normal_iteratorINS9_10device_ptrIiEEEESE_iNS9_4plusIvEEiEEDaPvRmT3_T4_T5_mT6_P12ihipStream_tbENKUlT_T0_E_clISt17integral_constantIbLb1EESU_EEDaSP_SQ_EUlSP_E0_NS1_11comp_targetILNS1_3genE9ELNS1_11target_archE1100ELNS1_3gpuE3ELNS1_3repE0EEENS1_30default_config_static_selectorELNS0_4arch9wavefront6targetE1EEEvT1_: ; @_ZN7rocprim17ROCPRIM_400000_NS6detail17trampoline_kernelINS0_14default_configENS1_20scan_config_selectorIiEEZZNS1_9scan_implILNS1_25lookback_scan_determinismE0ELb1ELb1ES3_N6thrust23THRUST_200600_302600_NS6detail15normal_iteratorINS9_10device_ptrIiEEEESE_iNS9_4plusIvEEiEEDaPvRmT3_T4_T5_mT6_P12ihipStream_tbENKUlT_T0_E_clISt17integral_constantIbLb1EESU_EEDaSP_SQ_EUlSP_E0_NS1_11comp_targetILNS1_3genE9ELNS1_11target_archE1100ELNS1_3gpuE3ELNS1_3repE0EEENS1_30default_config_static_selectorELNS0_4arch9wavefront6targetE1EEEvT1_
; %bb.0:
	.section	.rodata,"a",@progbits
	.p2align	6, 0x0
	.amdhsa_kernel _ZN7rocprim17ROCPRIM_400000_NS6detail17trampoline_kernelINS0_14default_configENS1_20scan_config_selectorIiEEZZNS1_9scan_implILNS1_25lookback_scan_determinismE0ELb1ELb1ES3_N6thrust23THRUST_200600_302600_NS6detail15normal_iteratorINS9_10device_ptrIiEEEESE_iNS9_4plusIvEEiEEDaPvRmT3_T4_T5_mT6_P12ihipStream_tbENKUlT_T0_E_clISt17integral_constantIbLb1EESU_EEDaSP_SQ_EUlSP_E0_NS1_11comp_targetILNS1_3genE9ELNS1_11target_archE1100ELNS1_3gpuE3ELNS1_3repE0EEENS1_30default_config_static_selectorELNS0_4arch9wavefront6targetE1EEEvT1_
		.amdhsa_group_segment_fixed_size 0
		.amdhsa_private_segment_fixed_size 0
		.amdhsa_kernarg_size 32
		.amdhsa_user_sgpr_count 6
		.amdhsa_user_sgpr_private_segment_buffer 1
		.amdhsa_user_sgpr_dispatch_ptr 0
		.amdhsa_user_sgpr_queue_ptr 0
		.amdhsa_user_sgpr_kernarg_segment_ptr 1
		.amdhsa_user_sgpr_dispatch_id 0
		.amdhsa_user_sgpr_flat_scratch_init 0
		.amdhsa_user_sgpr_kernarg_preload_length 0
		.amdhsa_user_sgpr_kernarg_preload_offset 0
		.amdhsa_user_sgpr_private_segment_size 0
		.amdhsa_uses_dynamic_stack 0
		.amdhsa_system_sgpr_private_segment_wavefront_offset 0
		.amdhsa_system_sgpr_workgroup_id_x 1
		.amdhsa_system_sgpr_workgroup_id_y 0
		.amdhsa_system_sgpr_workgroup_id_z 0
		.amdhsa_system_sgpr_workgroup_info 0
		.amdhsa_system_vgpr_workitem_id 0
		.amdhsa_next_free_vgpr 1
		.amdhsa_next_free_sgpr 0
		.amdhsa_accum_offset 4
		.amdhsa_reserve_vcc 0
		.amdhsa_reserve_flat_scratch 0
		.amdhsa_float_round_mode_32 0
		.amdhsa_float_round_mode_16_64 0
		.amdhsa_float_denorm_mode_32 3
		.amdhsa_float_denorm_mode_16_64 3
		.amdhsa_dx10_clamp 1
		.amdhsa_ieee_mode 1
		.amdhsa_fp16_overflow 0
		.amdhsa_tg_split 0
		.amdhsa_exception_fp_ieee_invalid_op 0
		.amdhsa_exception_fp_denorm_src 0
		.amdhsa_exception_fp_ieee_div_zero 0
		.amdhsa_exception_fp_ieee_overflow 0
		.amdhsa_exception_fp_ieee_underflow 0
		.amdhsa_exception_fp_ieee_inexact 0
		.amdhsa_exception_int_div_zero 0
	.end_amdhsa_kernel
	.section	.text._ZN7rocprim17ROCPRIM_400000_NS6detail17trampoline_kernelINS0_14default_configENS1_20scan_config_selectorIiEEZZNS1_9scan_implILNS1_25lookback_scan_determinismE0ELb1ELb1ES3_N6thrust23THRUST_200600_302600_NS6detail15normal_iteratorINS9_10device_ptrIiEEEESE_iNS9_4plusIvEEiEEDaPvRmT3_T4_T5_mT6_P12ihipStream_tbENKUlT_T0_E_clISt17integral_constantIbLb1EESU_EEDaSP_SQ_EUlSP_E0_NS1_11comp_targetILNS1_3genE9ELNS1_11target_archE1100ELNS1_3gpuE3ELNS1_3repE0EEENS1_30default_config_static_selectorELNS0_4arch9wavefront6targetE1EEEvT1_,"axG",@progbits,_ZN7rocprim17ROCPRIM_400000_NS6detail17trampoline_kernelINS0_14default_configENS1_20scan_config_selectorIiEEZZNS1_9scan_implILNS1_25lookback_scan_determinismE0ELb1ELb1ES3_N6thrust23THRUST_200600_302600_NS6detail15normal_iteratorINS9_10device_ptrIiEEEESE_iNS9_4plusIvEEiEEDaPvRmT3_T4_T5_mT6_P12ihipStream_tbENKUlT_T0_E_clISt17integral_constantIbLb1EESU_EEDaSP_SQ_EUlSP_E0_NS1_11comp_targetILNS1_3genE9ELNS1_11target_archE1100ELNS1_3gpuE3ELNS1_3repE0EEENS1_30default_config_static_selectorELNS0_4arch9wavefront6targetE1EEEvT1_,comdat
.Lfunc_end838:
	.size	_ZN7rocprim17ROCPRIM_400000_NS6detail17trampoline_kernelINS0_14default_configENS1_20scan_config_selectorIiEEZZNS1_9scan_implILNS1_25lookback_scan_determinismE0ELb1ELb1ES3_N6thrust23THRUST_200600_302600_NS6detail15normal_iteratorINS9_10device_ptrIiEEEESE_iNS9_4plusIvEEiEEDaPvRmT3_T4_T5_mT6_P12ihipStream_tbENKUlT_T0_E_clISt17integral_constantIbLb1EESU_EEDaSP_SQ_EUlSP_E0_NS1_11comp_targetILNS1_3genE9ELNS1_11target_archE1100ELNS1_3gpuE3ELNS1_3repE0EEENS1_30default_config_static_selectorELNS0_4arch9wavefront6targetE1EEEvT1_, .Lfunc_end838-_ZN7rocprim17ROCPRIM_400000_NS6detail17trampoline_kernelINS0_14default_configENS1_20scan_config_selectorIiEEZZNS1_9scan_implILNS1_25lookback_scan_determinismE0ELb1ELb1ES3_N6thrust23THRUST_200600_302600_NS6detail15normal_iteratorINS9_10device_ptrIiEEEESE_iNS9_4plusIvEEiEEDaPvRmT3_T4_T5_mT6_P12ihipStream_tbENKUlT_T0_E_clISt17integral_constantIbLb1EESU_EEDaSP_SQ_EUlSP_E0_NS1_11comp_targetILNS1_3genE9ELNS1_11target_archE1100ELNS1_3gpuE3ELNS1_3repE0EEENS1_30default_config_static_selectorELNS0_4arch9wavefront6targetE1EEEvT1_
                                        ; -- End function
	.section	.AMDGPU.csdata,"",@progbits
; Kernel info:
; codeLenInByte = 0
; NumSgprs: 4
; NumVgprs: 0
; NumAgprs: 0
; TotalNumVgprs: 0
; ScratchSize: 0
; MemoryBound: 0
; FloatMode: 240
; IeeeMode: 1
; LDSByteSize: 0 bytes/workgroup (compile time only)
; SGPRBlocks: 0
; VGPRBlocks: 0
; NumSGPRsForWavesPerEU: 4
; NumVGPRsForWavesPerEU: 1
; AccumOffset: 4
; Occupancy: 8
; WaveLimiterHint : 0
; COMPUTE_PGM_RSRC2:SCRATCH_EN: 0
; COMPUTE_PGM_RSRC2:USER_SGPR: 6
; COMPUTE_PGM_RSRC2:TRAP_HANDLER: 0
; COMPUTE_PGM_RSRC2:TGID_X_EN: 1
; COMPUTE_PGM_RSRC2:TGID_Y_EN: 0
; COMPUTE_PGM_RSRC2:TGID_Z_EN: 0
; COMPUTE_PGM_RSRC2:TIDIG_COMP_CNT: 0
; COMPUTE_PGM_RSRC3_GFX90A:ACCUM_OFFSET: 0
; COMPUTE_PGM_RSRC3_GFX90A:TG_SPLIT: 0
	.section	.text._ZN7rocprim17ROCPRIM_400000_NS6detail17trampoline_kernelINS0_14default_configENS1_20scan_config_selectorIiEEZZNS1_9scan_implILNS1_25lookback_scan_determinismE0ELb1ELb1ES3_N6thrust23THRUST_200600_302600_NS6detail15normal_iteratorINS9_10device_ptrIiEEEESE_iNS9_4plusIvEEiEEDaPvRmT3_T4_T5_mT6_P12ihipStream_tbENKUlT_T0_E_clISt17integral_constantIbLb1EESU_EEDaSP_SQ_EUlSP_E0_NS1_11comp_targetILNS1_3genE8ELNS1_11target_archE1030ELNS1_3gpuE2ELNS1_3repE0EEENS1_30default_config_static_selectorELNS0_4arch9wavefront6targetE1EEEvT1_,"axG",@progbits,_ZN7rocprim17ROCPRIM_400000_NS6detail17trampoline_kernelINS0_14default_configENS1_20scan_config_selectorIiEEZZNS1_9scan_implILNS1_25lookback_scan_determinismE0ELb1ELb1ES3_N6thrust23THRUST_200600_302600_NS6detail15normal_iteratorINS9_10device_ptrIiEEEESE_iNS9_4plusIvEEiEEDaPvRmT3_T4_T5_mT6_P12ihipStream_tbENKUlT_T0_E_clISt17integral_constantIbLb1EESU_EEDaSP_SQ_EUlSP_E0_NS1_11comp_targetILNS1_3genE8ELNS1_11target_archE1030ELNS1_3gpuE2ELNS1_3repE0EEENS1_30default_config_static_selectorELNS0_4arch9wavefront6targetE1EEEvT1_,comdat
	.protected	_ZN7rocprim17ROCPRIM_400000_NS6detail17trampoline_kernelINS0_14default_configENS1_20scan_config_selectorIiEEZZNS1_9scan_implILNS1_25lookback_scan_determinismE0ELb1ELb1ES3_N6thrust23THRUST_200600_302600_NS6detail15normal_iteratorINS9_10device_ptrIiEEEESE_iNS9_4plusIvEEiEEDaPvRmT3_T4_T5_mT6_P12ihipStream_tbENKUlT_T0_E_clISt17integral_constantIbLb1EESU_EEDaSP_SQ_EUlSP_E0_NS1_11comp_targetILNS1_3genE8ELNS1_11target_archE1030ELNS1_3gpuE2ELNS1_3repE0EEENS1_30default_config_static_selectorELNS0_4arch9wavefront6targetE1EEEvT1_ ; -- Begin function _ZN7rocprim17ROCPRIM_400000_NS6detail17trampoline_kernelINS0_14default_configENS1_20scan_config_selectorIiEEZZNS1_9scan_implILNS1_25lookback_scan_determinismE0ELb1ELb1ES3_N6thrust23THRUST_200600_302600_NS6detail15normal_iteratorINS9_10device_ptrIiEEEESE_iNS9_4plusIvEEiEEDaPvRmT3_T4_T5_mT6_P12ihipStream_tbENKUlT_T0_E_clISt17integral_constantIbLb1EESU_EEDaSP_SQ_EUlSP_E0_NS1_11comp_targetILNS1_3genE8ELNS1_11target_archE1030ELNS1_3gpuE2ELNS1_3repE0EEENS1_30default_config_static_selectorELNS0_4arch9wavefront6targetE1EEEvT1_
	.globl	_ZN7rocprim17ROCPRIM_400000_NS6detail17trampoline_kernelINS0_14default_configENS1_20scan_config_selectorIiEEZZNS1_9scan_implILNS1_25lookback_scan_determinismE0ELb1ELb1ES3_N6thrust23THRUST_200600_302600_NS6detail15normal_iteratorINS9_10device_ptrIiEEEESE_iNS9_4plusIvEEiEEDaPvRmT3_T4_T5_mT6_P12ihipStream_tbENKUlT_T0_E_clISt17integral_constantIbLb1EESU_EEDaSP_SQ_EUlSP_E0_NS1_11comp_targetILNS1_3genE8ELNS1_11target_archE1030ELNS1_3gpuE2ELNS1_3repE0EEENS1_30default_config_static_selectorELNS0_4arch9wavefront6targetE1EEEvT1_
	.p2align	8
	.type	_ZN7rocprim17ROCPRIM_400000_NS6detail17trampoline_kernelINS0_14default_configENS1_20scan_config_selectorIiEEZZNS1_9scan_implILNS1_25lookback_scan_determinismE0ELb1ELb1ES3_N6thrust23THRUST_200600_302600_NS6detail15normal_iteratorINS9_10device_ptrIiEEEESE_iNS9_4plusIvEEiEEDaPvRmT3_T4_T5_mT6_P12ihipStream_tbENKUlT_T0_E_clISt17integral_constantIbLb1EESU_EEDaSP_SQ_EUlSP_E0_NS1_11comp_targetILNS1_3genE8ELNS1_11target_archE1030ELNS1_3gpuE2ELNS1_3repE0EEENS1_30default_config_static_selectorELNS0_4arch9wavefront6targetE1EEEvT1_,@function
_ZN7rocprim17ROCPRIM_400000_NS6detail17trampoline_kernelINS0_14default_configENS1_20scan_config_selectorIiEEZZNS1_9scan_implILNS1_25lookback_scan_determinismE0ELb1ELb1ES3_N6thrust23THRUST_200600_302600_NS6detail15normal_iteratorINS9_10device_ptrIiEEEESE_iNS9_4plusIvEEiEEDaPvRmT3_T4_T5_mT6_P12ihipStream_tbENKUlT_T0_E_clISt17integral_constantIbLb1EESU_EEDaSP_SQ_EUlSP_E0_NS1_11comp_targetILNS1_3genE8ELNS1_11target_archE1030ELNS1_3gpuE2ELNS1_3repE0EEENS1_30default_config_static_selectorELNS0_4arch9wavefront6targetE1EEEvT1_: ; @_ZN7rocprim17ROCPRIM_400000_NS6detail17trampoline_kernelINS0_14default_configENS1_20scan_config_selectorIiEEZZNS1_9scan_implILNS1_25lookback_scan_determinismE0ELb1ELb1ES3_N6thrust23THRUST_200600_302600_NS6detail15normal_iteratorINS9_10device_ptrIiEEEESE_iNS9_4plusIvEEiEEDaPvRmT3_T4_T5_mT6_P12ihipStream_tbENKUlT_T0_E_clISt17integral_constantIbLb1EESU_EEDaSP_SQ_EUlSP_E0_NS1_11comp_targetILNS1_3genE8ELNS1_11target_archE1030ELNS1_3gpuE2ELNS1_3repE0EEENS1_30default_config_static_selectorELNS0_4arch9wavefront6targetE1EEEvT1_
; %bb.0:
	.section	.rodata,"a",@progbits
	.p2align	6, 0x0
	.amdhsa_kernel _ZN7rocprim17ROCPRIM_400000_NS6detail17trampoline_kernelINS0_14default_configENS1_20scan_config_selectorIiEEZZNS1_9scan_implILNS1_25lookback_scan_determinismE0ELb1ELb1ES3_N6thrust23THRUST_200600_302600_NS6detail15normal_iteratorINS9_10device_ptrIiEEEESE_iNS9_4plusIvEEiEEDaPvRmT3_T4_T5_mT6_P12ihipStream_tbENKUlT_T0_E_clISt17integral_constantIbLb1EESU_EEDaSP_SQ_EUlSP_E0_NS1_11comp_targetILNS1_3genE8ELNS1_11target_archE1030ELNS1_3gpuE2ELNS1_3repE0EEENS1_30default_config_static_selectorELNS0_4arch9wavefront6targetE1EEEvT1_
		.amdhsa_group_segment_fixed_size 0
		.amdhsa_private_segment_fixed_size 0
		.amdhsa_kernarg_size 32
		.amdhsa_user_sgpr_count 6
		.amdhsa_user_sgpr_private_segment_buffer 1
		.amdhsa_user_sgpr_dispatch_ptr 0
		.amdhsa_user_sgpr_queue_ptr 0
		.amdhsa_user_sgpr_kernarg_segment_ptr 1
		.amdhsa_user_sgpr_dispatch_id 0
		.amdhsa_user_sgpr_flat_scratch_init 0
		.amdhsa_user_sgpr_kernarg_preload_length 0
		.amdhsa_user_sgpr_kernarg_preload_offset 0
		.amdhsa_user_sgpr_private_segment_size 0
		.amdhsa_uses_dynamic_stack 0
		.amdhsa_system_sgpr_private_segment_wavefront_offset 0
		.amdhsa_system_sgpr_workgroup_id_x 1
		.amdhsa_system_sgpr_workgroup_id_y 0
		.amdhsa_system_sgpr_workgroup_id_z 0
		.amdhsa_system_sgpr_workgroup_info 0
		.amdhsa_system_vgpr_workitem_id 0
		.amdhsa_next_free_vgpr 1
		.amdhsa_next_free_sgpr 0
		.amdhsa_accum_offset 4
		.amdhsa_reserve_vcc 0
		.amdhsa_reserve_flat_scratch 0
		.amdhsa_float_round_mode_32 0
		.amdhsa_float_round_mode_16_64 0
		.amdhsa_float_denorm_mode_32 3
		.amdhsa_float_denorm_mode_16_64 3
		.amdhsa_dx10_clamp 1
		.amdhsa_ieee_mode 1
		.amdhsa_fp16_overflow 0
		.amdhsa_tg_split 0
		.amdhsa_exception_fp_ieee_invalid_op 0
		.amdhsa_exception_fp_denorm_src 0
		.amdhsa_exception_fp_ieee_div_zero 0
		.amdhsa_exception_fp_ieee_overflow 0
		.amdhsa_exception_fp_ieee_underflow 0
		.amdhsa_exception_fp_ieee_inexact 0
		.amdhsa_exception_int_div_zero 0
	.end_amdhsa_kernel
	.section	.text._ZN7rocprim17ROCPRIM_400000_NS6detail17trampoline_kernelINS0_14default_configENS1_20scan_config_selectorIiEEZZNS1_9scan_implILNS1_25lookback_scan_determinismE0ELb1ELb1ES3_N6thrust23THRUST_200600_302600_NS6detail15normal_iteratorINS9_10device_ptrIiEEEESE_iNS9_4plusIvEEiEEDaPvRmT3_T4_T5_mT6_P12ihipStream_tbENKUlT_T0_E_clISt17integral_constantIbLb1EESU_EEDaSP_SQ_EUlSP_E0_NS1_11comp_targetILNS1_3genE8ELNS1_11target_archE1030ELNS1_3gpuE2ELNS1_3repE0EEENS1_30default_config_static_selectorELNS0_4arch9wavefront6targetE1EEEvT1_,"axG",@progbits,_ZN7rocprim17ROCPRIM_400000_NS6detail17trampoline_kernelINS0_14default_configENS1_20scan_config_selectorIiEEZZNS1_9scan_implILNS1_25lookback_scan_determinismE0ELb1ELb1ES3_N6thrust23THRUST_200600_302600_NS6detail15normal_iteratorINS9_10device_ptrIiEEEESE_iNS9_4plusIvEEiEEDaPvRmT3_T4_T5_mT6_P12ihipStream_tbENKUlT_T0_E_clISt17integral_constantIbLb1EESU_EEDaSP_SQ_EUlSP_E0_NS1_11comp_targetILNS1_3genE8ELNS1_11target_archE1030ELNS1_3gpuE2ELNS1_3repE0EEENS1_30default_config_static_selectorELNS0_4arch9wavefront6targetE1EEEvT1_,comdat
.Lfunc_end839:
	.size	_ZN7rocprim17ROCPRIM_400000_NS6detail17trampoline_kernelINS0_14default_configENS1_20scan_config_selectorIiEEZZNS1_9scan_implILNS1_25lookback_scan_determinismE0ELb1ELb1ES3_N6thrust23THRUST_200600_302600_NS6detail15normal_iteratorINS9_10device_ptrIiEEEESE_iNS9_4plusIvEEiEEDaPvRmT3_T4_T5_mT6_P12ihipStream_tbENKUlT_T0_E_clISt17integral_constantIbLb1EESU_EEDaSP_SQ_EUlSP_E0_NS1_11comp_targetILNS1_3genE8ELNS1_11target_archE1030ELNS1_3gpuE2ELNS1_3repE0EEENS1_30default_config_static_selectorELNS0_4arch9wavefront6targetE1EEEvT1_, .Lfunc_end839-_ZN7rocprim17ROCPRIM_400000_NS6detail17trampoline_kernelINS0_14default_configENS1_20scan_config_selectorIiEEZZNS1_9scan_implILNS1_25lookback_scan_determinismE0ELb1ELb1ES3_N6thrust23THRUST_200600_302600_NS6detail15normal_iteratorINS9_10device_ptrIiEEEESE_iNS9_4plusIvEEiEEDaPvRmT3_T4_T5_mT6_P12ihipStream_tbENKUlT_T0_E_clISt17integral_constantIbLb1EESU_EEDaSP_SQ_EUlSP_E0_NS1_11comp_targetILNS1_3genE8ELNS1_11target_archE1030ELNS1_3gpuE2ELNS1_3repE0EEENS1_30default_config_static_selectorELNS0_4arch9wavefront6targetE1EEEvT1_
                                        ; -- End function
	.section	.AMDGPU.csdata,"",@progbits
; Kernel info:
; codeLenInByte = 0
; NumSgprs: 4
; NumVgprs: 0
; NumAgprs: 0
; TotalNumVgprs: 0
; ScratchSize: 0
; MemoryBound: 0
; FloatMode: 240
; IeeeMode: 1
; LDSByteSize: 0 bytes/workgroup (compile time only)
; SGPRBlocks: 0
; VGPRBlocks: 0
; NumSGPRsForWavesPerEU: 4
; NumVGPRsForWavesPerEU: 1
; AccumOffset: 4
; Occupancy: 8
; WaveLimiterHint : 0
; COMPUTE_PGM_RSRC2:SCRATCH_EN: 0
; COMPUTE_PGM_RSRC2:USER_SGPR: 6
; COMPUTE_PGM_RSRC2:TRAP_HANDLER: 0
; COMPUTE_PGM_RSRC2:TGID_X_EN: 1
; COMPUTE_PGM_RSRC2:TGID_Y_EN: 0
; COMPUTE_PGM_RSRC2:TGID_Z_EN: 0
; COMPUTE_PGM_RSRC2:TIDIG_COMP_CNT: 0
; COMPUTE_PGM_RSRC3_GFX90A:ACCUM_OFFSET: 0
; COMPUTE_PGM_RSRC3_GFX90A:TG_SPLIT: 0
	.section	.text._ZN7rocprim17ROCPRIM_400000_NS6detail17trampoline_kernelINS0_14default_configENS1_20scan_config_selectorIiEEZZNS1_9scan_implILNS1_25lookback_scan_determinismE0ELb1ELb1ES3_N6thrust23THRUST_200600_302600_NS6detail15normal_iteratorINS9_10device_ptrIiEEEESE_iNS9_4plusIvEEiEEDaPvRmT3_T4_T5_mT6_P12ihipStream_tbENKUlT_T0_E_clISt17integral_constantIbLb1EEST_IbLb0EEEEDaSP_SQ_EUlSP_E_NS1_11comp_targetILNS1_3genE0ELNS1_11target_archE4294967295ELNS1_3gpuE0ELNS1_3repE0EEENS1_30default_config_static_selectorELNS0_4arch9wavefront6targetE1EEEvT1_,"axG",@progbits,_ZN7rocprim17ROCPRIM_400000_NS6detail17trampoline_kernelINS0_14default_configENS1_20scan_config_selectorIiEEZZNS1_9scan_implILNS1_25lookback_scan_determinismE0ELb1ELb1ES3_N6thrust23THRUST_200600_302600_NS6detail15normal_iteratorINS9_10device_ptrIiEEEESE_iNS9_4plusIvEEiEEDaPvRmT3_T4_T5_mT6_P12ihipStream_tbENKUlT_T0_E_clISt17integral_constantIbLb1EEST_IbLb0EEEEDaSP_SQ_EUlSP_E_NS1_11comp_targetILNS1_3genE0ELNS1_11target_archE4294967295ELNS1_3gpuE0ELNS1_3repE0EEENS1_30default_config_static_selectorELNS0_4arch9wavefront6targetE1EEEvT1_,comdat
	.protected	_ZN7rocprim17ROCPRIM_400000_NS6detail17trampoline_kernelINS0_14default_configENS1_20scan_config_selectorIiEEZZNS1_9scan_implILNS1_25lookback_scan_determinismE0ELb1ELb1ES3_N6thrust23THRUST_200600_302600_NS6detail15normal_iteratorINS9_10device_ptrIiEEEESE_iNS9_4plusIvEEiEEDaPvRmT3_T4_T5_mT6_P12ihipStream_tbENKUlT_T0_E_clISt17integral_constantIbLb1EEST_IbLb0EEEEDaSP_SQ_EUlSP_E_NS1_11comp_targetILNS1_3genE0ELNS1_11target_archE4294967295ELNS1_3gpuE0ELNS1_3repE0EEENS1_30default_config_static_selectorELNS0_4arch9wavefront6targetE1EEEvT1_ ; -- Begin function _ZN7rocprim17ROCPRIM_400000_NS6detail17trampoline_kernelINS0_14default_configENS1_20scan_config_selectorIiEEZZNS1_9scan_implILNS1_25lookback_scan_determinismE0ELb1ELb1ES3_N6thrust23THRUST_200600_302600_NS6detail15normal_iteratorINS9_10device_ptrIiEEEESE_iNS9_4plusIvEEiEEDaPvRmT3_T4_T5_mT6_P12ihipStream_tbENKUlT_T0_E_clISt17integral_constantIbLb1EEST_IbLb0EEEEDaSP_SQ_EUlSP_E_NS1_11comp_targetILNS1_3genE0ELNS1_11target_archE4294967295ELNS1_3gpuE0ELNS1_3repE0EEENS1_30default_config_static_selectorELNS0_4arch9wavefront6targetE1EEEvT1_
	.globl	_ZN7rocprim17ROCPRIM_400000_NS6detail17trampoline_kernelINS0_14default_configENS1_20scan_config_selectorIiEEZZNS1_9scan_implILNS1_25lookback_scan_determinismE0ELb1ELb1ES3_N6thrust23THRUST_200600_302600_NS6detail15normal_iteratorINS9_10device_ptrIiEEEESE_iNS9_4plusIvEEiEEDaPvRmT3_T4_T5_mT6_P12ihipStream_tbENKUlT_T0_E_clISt17integral_constantIbLb1EEST_IbLb0EEEEDaSP_SQ_EUlSP_E_NS1_11comp_targetILNS1_3genE0ELNS1_11target_archE4294967295ELNS1_3gpuE0ELNS1_3repE0EEENS1_30default_config_static_selectorELNS0_4arch9wavefront6targetE1EEEvT1_
	.p2align	8
	.type	_ZN7rocprim17ROCPRIM_400000_NS6detail17trampoline_kernelINS0_14default_configENS1_20scan_config_selectorIiEEZZNS1_9scan_implILNS1_25lookback_scan_determinismE0ELb1ELb1ES3_N6thrust23THRUST_200600_302600_NS6detail15normal_iteratorINS9_10device_ptrIiEEEESE_iNS9_4plusIvEEiEEDaPvRmT3_T4_T5_mT6_P12ihipStream_tbENKUlT_T0_E_clISt17integral_constantIbLb1EEST_IbLb0EEEEDaSP_SQ_EUlSP_E_NS1_11comp_targetILNS1_3genE0ELNS1_11target_archE4294967295ELNS1_3gpuE0ELNS1_3repE0EEENS1_30default_config_static_selectorELNS0_4arch9wavefront6targetE1EEEvT1_,@function
_ZN7rocprim17ROCPRIM_400000_NS6detail17trampoline_kernelINS0_14default_configENS1_20scan_config_selectorIiEEZZNS1_9scan_implILNS1_25lookback_scan_determinismE0ELb1ELb1ES3_N6thrust23THRUST_200600_302600_NS6detail15normal_iteratorINS9_10device_ptrIiEEEESE_iNS9_4plusIvEEiEEDaPvRmT3_T4_T5_mT6_P12ihipStream_tbENKUlT_T0_E_clISt17integral_constantIbLb1EEST_IbLb0EEEEDaSP_SQ_EUlSP_E_NS1_11comp_targetILNS1_3genE0ELNS1_11target_archE4294967295ELNS1_3gpuE0ELNS1_3repE0EEENS1_30default_config_static_selectorELNS0_4arch9wavefront6targetE1EEEvT1_: ; @_ZN7rocprim17ROCPRIM_400000_NS6detail17trampoline_kernelINS0_14default_configENS1_20scan_config_selectorIiEEZZNS1_9scan_implILNS1_25lookback_scan_determinismE0ELb1ELb1ES3_N6thrust23THRUST_200600_302600_NS6detail15normal_iteratorINS9_10device_ptrIiEEEESE_iNS9_4plusIvEEiEEDaPvRmT3_T4_T5_mT6_P12ihipStream_tbENKUlT_T0_E_clISt17integral_constantIbLb1EEST_IbLb0EEEEDaSP_SQ_EUlSP_E_NS1_11comp_targetILNS1_3genE0ELNS1_11target_archE4294967295ELNS1_3gpuE0ELNS1_3repE0EEENS1_30default_config_static_selectorELNS0_4arch9wavefront6targetE1EEEvT1_
; %bb.0:
	.section	.rodata,"a",@progbits
	.p2align	6, 0x0
	.amdhsa_kernel _ZN7rocprim17ROCPRIM_400000_NS6detail17trampoline_kernelINS0_14default_configENS1_20scan_config_selectorIiEEZZNS1_9scan_implILNS1_25lookback_scan_determinismE0ELb1ELb1ES3_N6thrust23THRUST_200600_302600_NS6detail15normal_iteratorINS9_10device_ptrIiEEEESE_iNS9_4plusIvEEiEEDaPvRmT3_T4_T5_mT6_P12ihipStream_tbENKUlT_T0_E_clISt17integral_constantIbLb1EEST_IbLb0EEEEDaSP_SQ_EUlSP_E_NS1_11comp_targetILNS1_3genE0ELNS1_11target_archE4294967295ELNS1_3gpuE0ELNS1_3repE0EEENS1_30default_config_static_selectorELNS0_4arch9wavefront6targetE1EEEvT1_
		.amdhsa_group_segment_fixed_size 0
		.amdhsa_private_segment_fixed_size 0
		.amdhsa_kernarg_size 96
		.amdhsa_user_sgpr_count 6
		.amdhsa_user_sgpr_private_segment_buffer 1
		.amdhsa_user_sgpr_dispatch_ptr 0
		.amdhsa_user_sgpr_queue_ptr 0
		.amdhsa_user_sgpr_kernarg_segment_ptr 1
		.amdhsa_user_sgpr_dispatch_id 0
		.amdhsa_user_sgpr_flat_scratch_init 0
		.amdhsa_user_sgpr_kernarg_preload_length 0
		.amdhsa_user_sgpr_kernarg_preload_offset 0
		.amdhsa_user_sgpr_private_segment_size 0
		.amdhsa_uses_dynamic_stack 0
		.amdhsa_system_sgpr_private_segment_wavefront_offset 0
		.amdhsa_system_sgpr_workgroup_id_x 1
		.amdhsa_system_sgpr_workgroup_id_y 0
		.amdhsa_system_sgpr_workgroup_id_z 0
		.amdhsa_system_sgpr_workgroup_info 0
		.amdhsa_system_vgpr_workitem_id 0
		.amdhsa_next_free_vgpr 1
		.amdhsa_next_free_sgpr 0
		.amdhsa_accum_offset 4
		.amdhsa_reserve_vcc 0
		.amdhsa_reserve_flat_scratch 0
		.amdhsa_float_round_mode_32 0
		.amdhsa_float_round_mode_16_64 0
		.amdhsa_float_denorm_mode_32 3
		.amdhsa_float_denorm_mode_16_64 3
		.amdhsa_dx10_clamp 1
		.amdhsa_ieee_mode 1
		.amdhsa_fp16_overflow 0
		.amdhsa_tg_split 0
		.amdhsa_exception_fp_ieee_invalid_op 0
		.amdhsa_exception_fp_denorm_src 0
		.amdhsa_exception_fp_ieee_div_zero 0
		.amdhsa_exception_fp_ieee_overflow 0
		.amdhsa_exception_fp_ieee_underflow 0
		.amdhsa_exception_fp_ieee_inexact 0
		.amdhsa_exception_int_div_zero 0
	.end_amdhsa_kernel
	.section	.text._ZN7rocprim17ROCPRIM_400000_NS6detail17trampoline_kernelINS0_14default_configENS1_20scan_config_selectorIiEEZZNS1_9scan_implILNS1_25lookback_scan_determinismE0ELb1ELb1ES3_N6thrust23THRUST_200600_302600_NS6detail15normal_iteratorINS9_10device_ptrIiEEEESE_iNS9_4plusIvEEiEEDaPvRmT3_T4_T5_mT6_P12ihipStream_tbENKUlT_T0_E_clISt17integral_constantIbLb1EEST_IbLb0EEEEDaSP_SQ_EUlSP_E_NS1_11comp_targetILNS1_3genE0ELNS1_11target_archE4294967295ELNS1_3gpuE0ELNS1_3repE0EEENS1_30default_config_static_selectorELNS0_4arch9wavefront6targetE1EEEvT1_,"axG",@progbits,_ZN7rocprim17ROCPRIM_400000_NS6detail17trampoline_kernelINS0_14default_configENS1_20scan_config_selectorIiEEZZNS1_9scan_implILNS1_25lookback_scan_determinismE0ELb1ELb1ES3_N6thrust23THRUST_200600_302600_NS6detail15normal_iteratorINS9_10device_ptrIiEEEESE_iNS9_4plusIvEEiEEDaPvRmT3_T4_T5_mT6_P12ihipStream_tbENKUlT_T0_E_clISt17integral_constantIbLb1EEST_IbLb0EEEEDaSP_SQ_EUlSP_E_NS1_11comp_targetILNS1_3genE0ELNS1_11target_archE4294967295ELNS1_3gpuE0ELNS1_3repE0EEENS1_30default_config_static_selectorELNS0_4arch9wavefront6targetE1EEEvT1_,comdat
.Lfunc_end840:
	.size	_ZN7rocprim17ROCPRIM_400000_NS6detail17trampoline_kernelINS0_14default_configENS1_20scan_config_selectorIiEEZZNS1_9scan_implILNS1_25lookback_scan_determinismE0ELb1ELb1ES3_N6thrust23THRUST_200600_302600_NS6detail15normal_iteratorINS9_10device_ptrIiEEEESE_iNS9_4plusIvEEiEEDaPvRmT3_T4_T5_mT6_P12ihipStream_tbENKUlT_T0_E_clISt17integral_constantIbLb1EEST_IbLb0EEEEDaSP_SQ_EUlSP_E_NS1_11comp_targetILNS1_3genE0ELNS1_11target_archE4294967295ELNS1_3gpuE0ELNS1_3repE0EEENS1_30default_config_static_selectorELNS0_4arch9wavefront6targetE1EEEvT1_, .Lfunc_end840-_ZN7rocprim17ROCPRIM_400000_NS6detail17trampoline_kernelINS0_14default_configENS1_20scan_config_selectorIiEEZZNS1_9scan_implILNS1_25lookback_scan_determinismE0ELb1ELb1ES3_N6thrust23THRUST_200600_302600_NS6detail15normal_iteratorINS9_10device_ptrIiEEEESE_iNS9_4plusIvEEiEEDaPvRmT3_T4_T5_mT6_P12ihipStream_tbENKUlT_T0_E_clISt17integral_constantIbLb1EEST_IbLb0EEEEDaSP_SQ_EUlSP_E_NS1_11comp_targetILNS1_3genE0ELNS1_11target_archE4294967295ELNS1_3gpuE0ELNS1_3repE0EEENS1_30default_config_static_selectorELNS0_4arch9wavefront6targetE1EEEvT1_
                                        ; -- End function
	.section	.AMDGPU.csdata,"",@progbits
; Kernel info:
; codeLenInByte = 0
; NumSgprs: 4
; NumVgprs: 0
; NumAgprs: 0
; TotalNumVgprs: 0
; ScratchSize: 0
; MemoryBound: 0
; FloatMode: 240
; IeeeMode: 1
; LDSByteSize: 0 bytes/workgroup (compile time only)
; SGPRBlocks: 0
; VGPRBlocks: 0
; NumSGPRsForWavesPerEU: 4
; NumVGPRsForWavesPerEU: 1
; AccumOffset: 4
; Occupancy: 8
; WaveLimiterHint : 0
; COMPUTE_PGM_RSRC2:SCRATCH_EN: 0
; COMPUTE_PGM_RSRC2:USER_SGPR: 6
; COMPUTE_PGM_RSRC2:TRAP_HANDLER: 0
; COMPUTE_PGM_RSRC2:TGID_X_EN: 1
; COMPUTE_PGM_RSRC2:TGID_Y_EN: 0
; COMPUTE_PGM_RSRC2:TGID_Z_EN: 0
; COMPUTE_PGM_RSRC2:TIDIG_COMP_CNT: 0
; COMPUTE_PGM_RSRC3_GFX90A:ACCUM_OFFSET: 0
; COMPUTE_PGM_RSRC3_GFX90A:TG_SPLIT: 0
	.section	.text._ZN7rocprim17ROCPRIM_400000_NS6detail17trampoline_kernelINS0_14default_configENS1_20scan_config_selectorIiEEZZNS1_9scan_implILNS1_25lookback_scan_determinismE0ELb1ELb1ES3_N6thrust23THRUST_200600_302600_NS6detail15normal_iteratorINS9_10device_ptrIiEEEESE_iNS9_4plusIvEEiEEDaPvRmT3_T4_T5_mT6_P12ihipStream_tbENKUlT_T0_E_clISt17integral_constantIbLb1EEST_IbLb0EEEEDaSP_SQ_EUlSP_E_NS1_11comp_targetILNS1_3genE5ELNS1_11target_archE942ELNS1_3gpuE9ELNS1_3repE0EEENS1_30default_config_static_selectorELNS0_4arch9wavefront6targetE1EEEvT1_,"axG",@progbits,_ZN7rocprim17ROCPRIM_400000_NS6detail17trampoline_kernelINS0_14default_configENS1_20scan_config_selectorIiEEZZNS1_9scan_implILNS1_25lookback_scan_determinismE0ELb1ELb1ES3_N6thrust23THRUST_200600_302600_NS6detail15normal_iteratorINS9_10device_ptrIiEEEESE_iNS9_4plusIvEEiEEDaPvRmT3_T4_T5_mT6_P12ihipStream_tbENKUlT_T0_E_clISt17integral_constantIbLb1EEST_IbLb0EEEEDaSP_SQ_EUlSP_E_NS1_11comp_targetILNS1_3genE5ELNS1_11target_archE942ELNS1_3gpuE9ELNS1_3repE0EEENS1_30default_config_static_selectorELNS0_4arch9wavefront6targetE1EEEvT1_,comdat
	.protected	_ZN7rocprim17ROCPRIM_400000_NS6detail17trampoline_kernelINS0_14default_configENS1_20scan_config_selectorIiEEZZNS1_9scan_implILNS1_25lookback_scan_determinismE0ELb1ELb1ES3_N6thrust23THRUST_200600_302600_NS6detail15normal_iteratorINS9_10device_ptrIiEEEESE_iNS9_4plusIvEEiEEDaPvRmT3_T4_T5_mT6_P12ihipStream_tbENKUlT_T0_E_clISt17integral_constantIbLb1EEST_IbLb0EEEEDaSP_SQ_EUlSP_E_NS1_11comp_targetILNS1_3genE5ELNS1_11target_archE942ELNS1_3gpuE9ELNS1_3repE0EEENS1_30default_config_static_selectorELNS0_4arch9wavefront6targetE1EEEvT1_ ; -- Begin function _ZN7rocprim17ROCPRIM_400000_NS6detail17trampoline_kernelINS0_14default_configENS1_20scan_config_selectorIiEEZZNS1_9scan_implILNS1_25lookback_scan_determinismE0ELb1ELb1ES3_N6thrust23THRUST_200600_302600_NS6detail15normal_iteratorINS9_10device_ptrIiEEEESE_iNS9_4plusIvEEiEEDaPvRmT3_T4_T5_mT6_P12ihipStream_tbENKUlT_T0_E_clISt17integral_constantIbLb1EEST_IbLb0EEEEDaSP_SQ_EUlSP_E_NS1_11comp_targetILNS1_3genE5ELNS1_11target_archE942ELNS1_3gpuE9ELNS1_3repE0EEENS1_30default_config_static_selectorELNS0_4arch9wavefront6targetE1EEEvT1_
	.globl	_ZN7rocprim17ROCPRIM_400000_NS6detail17trampoline_kernelINS0_14default_configENS1_20scan_config_selectorIiEEZZNS1_9scan_implILNS1_25lookback_scan_determinismE0ELb1ELb1ES3_N6thrust23THRUST_200600_302600_NS6detail15normal_iteratorINS9_10device_ptrIiEEEESE_iNS9_4plusIvEEiEEDaPvRmT3_T4_T5_mT6_P12ihipStream_tbENKUlT_T0_E_clISt17integral_constantIbLb1EEST_IbLb0EEEEDaSP_SQ_EUlSP_E_NS1_11comp_targetILNS1_3genE5ELNS1_11target_archE942ELNS1_3gpuE9ELNS1_3repE0EEENS1_30default_config_static_selectorELNS0_4arch9wavefront6targetE1EEEvT1_
	.p2align	8
	.type	_ZN7rocprim17ROCPRIM_400000_NS6detail17trampoline_kernelINS0_14default_configENS1_20scan_config_selectorIiEEZZNS1_9scan_implILNS1_25lookback_scan_determinismE0ELb1ELb1ES3_N6thrust23THRUST_200600_302600_NS6detail15normal_iteratorINS9_10device_ptrIiEEEESE_iNS9_4plusIvEEiEEDaPvRmT3_T4_T5_mT6_P12ihipStream_tbENKUlT_T0_E_clISt17integral_constantIbLb1EEST_IbLb0EEEEDaSP_SQ_EUlSP_E_NS1_11comp_targetILNS1_3genE5ELNS1_11target_archE942ELNS1_3gpuE9ELNS1_3repE0EEENS1_30default_config_static_selectorELNS0_4arch9wavefront6targetE1EEEvT1_,@function
_ZN7rocprim17ROCPRIM_400000_NS6detail17trampoline_kernelINS0_14default_configENS1_20scan_config_selectorIiEEZZNS1_9scan_implILNS1_25lookback_scan_determinismE0ELb1ELb1ES3_N6thrust23THRUST_200600_302600_NS6detail15normal_iteratorINS9_10device_ptrIiEEEESE_iNS9_4plusIvEEiEEDaPvRmT3_T4_T5_mT6_P12ihipStream_tbENKUlT_T0_E_clISt17integral_constantIbLb1EEST_IbLb0EEEEDaSP_SQ_EUlSP_E_NS1_11comp_targetILNS1_3genE5ELNS1_11target_archE942ELNS1_3gpuE9ELNS1_3repE0EEENS1_30default_config_static_selectorELNS0_4arch9wavefront6targetE1EEEvT1_: ; @_ZN7rocprim17ROCPRIM_400000_NS6detail17trampoline_kernelINS0_14default_configENS1_20scan_config_selectorIiEEZZNS1_9scan_implILNS1_25lookback_scan_determinismE0ELb1ELb1ES3_N6thrust23THRUST_200600_302600_NS6detail15normal_iteratorINS9_10device_ptrIiEEEESE_iNS9_4plusIvEEiEEDaPvRmT3_T4_T5_mT6_P12ihipStream_tbENKUlT_T0_E_clISt17integral_constantIbLb1EEST_IbLb0EEEEDaSP_SQ_EUlSP_E_NS1_11comp_targetILNS1_3genE5ELNS1_11target_archE942ELNS1_3gpuE9ELNS1_3repE0EEENS1_30default_config_static_selectorELNS0_4arch9wavefront6targetE1EEEvT1_
; %bb.0:
	.section	.rodata,"a",@progbits
	.p2align	6, 0x0
	.amdhsa_kernel _ZN7rocprim17ROCPRIM_400000_NS6detail17trampoline_kernelINS0_14default_configENS1_20scan_config_selectorIiEEZZNS1_9scan_implILNS1_25lookback_scan_determinismE0ELb1ELb1ES3_N6thrust23THRUST_200600_302600_NS6detail15normal_iteratorINS9_10device_ptrIiEEEESE_iNS9_4plusIvEEiEEDaPvRmT3_T4_T5_mT6_P12ihipStream_tbENKUlT_T0_E_clISt17integral_constantIbLb1EEST_IbLb0EEEEDaSP_SQ_EUlSP_E_NS1_11comp_targetILNS1_3genE5ELNS1_11target_archE942ELNS1_3gpuE9ELNS1_3repE0EEENS1_30default_config_static_selectorELNS0_4arch9wavefront6targetE1EEEvT1_
		.amdhsa_group_segment_fixed_size 0
		.amdhsa_private_segment_fixed_size 0
		.amdhsa_kernarg_size 96
		.amdhsa_user_sgpr_count 6
		.amdhsa_user_sgpr_private_segment_buffer 1
		.amdhsa_user_sgpr_dispatch_ptr 0
		.amdhsa_user_sgpr_queue_ptr 0
		.amdhsa_user_sgpr_kernarg_segment_ptr 1
		.amdhsa_user_sgpr_dispatch_id 0
		.amdhsa_user_sgpr_flat_scratch_init 0
		.amdhsa_user_sgpr_kernarg_preload_length 0
		.amdhsa_user_sgpr_kernarg_preload_offset 0
		.amdhsa_user_sgpr_private_segment_size 0
		.amdhsa_uses_dynamic_stack 0
		.amdhsa_system_sgpr_private_segment_wavefront_offset 0
		.amdhsa_system_sgpr_workgroup_id_x 1
		.amdhsa_system_sgpr_workgroup_id_y 0
		.amdhsa_system_sgpr_workgroup_id_z 0
		.amdhsa_system_sgpr_workgroup_info 0
		.amdhsa_system_vgpr_workitem_id 0
		.amdhsa_next_free_vgpr 1
		.amdhsa_next_free_sgpr 0
		.amdhsa_accum_offset 4
		.amdhsa_reserve_vcc 0
		.amdhsa_reserve_flat_scratch 0
		.amdhsa_float_round_mode_32 0
		.amdhsa_float_round_mode_16_64 0
		.amdhsa_float_denorm_mode_32 3
		.amdhsa_float_denorm_mode_16_64 3
		.amdhsa_dx10_clamp 1
		.amdhsa_ieee_mode 1
		.amdhsa_fp16_overflow 0
		.amdhsa_tg_split 0
		.amdhsa_exception_fp_ieee_invalid_op 0
		.amdhsa_exception_fp_denorm_src 0
		.amdhsa_exception_fp_ieee_div_zero 0
		.amdhsa_exception_fp_ieee_overflow 0
		.amdhsa_exception_fp_ieee_underflow 0
		.amdhsa_exception_fp_ieee_inexact 0
		.amdhsa_exception_int_div_zero 0
	.end_amdhsa_kernel
	.section	.text._ZN7rocprim17ROCPRIM_400000_NS6detail17trampoline_kernelINS0_14default_configENS1_20scan_config_selectorIiEEZZNS1_9scan_implILNS1_25lookback_scan_determinismE0ELb1ELb1ES3_N6thrust23THRUST_200600_302600_NS6detail15normal_iteratorINS9_10device_ptrIiEEEESE_iNS9_4plusIvEEiEEDaPvRmT3_T4_T5_mT6_P12ihipStream_tbENKUlT_T0_E_clISt17integral_constantIbLb1EEST_IbLb0EEEEDaSP_SQ_EUlSP_E_NS1_11comp_targetILNS1_3genE5ELNS1_11target_archE942ELNS1_3gpuE9ELNS1_3repE0EEENS1_30default_config_static_selectorELNS0_4arch9wavefront6targetE1EEEvT1_,"axG",@progbits,_ZN7rocprim17ROCPRIM_400000_NS6detail17trampoline_kernelINS0_14default_configENS1_20scan_config_selectorIiEEZZNS1_9scan_implILNS1_25lookback_scan_determinismE0ELb1ELb1ES3_N6thrust23THRUST_200600_302600_NS6detail15normal_iteratorINS9_10device_ptrIiEEEESE_iNS9_4plusIvEEiEEDaPvRmT3_T4_T5_mT6_P12ihipStream_tbENKUlT_T0_E_clISt17integral_constantIbLb1EEST_IbLb0EEEEDaSP_SQ_EUlSP_E_NS1_11comp_targetILNS1_3genE5ELNS1_11target_archE942ELNS1_3gpuE9ELNS1_3repE0EEENS1_30default_config_static_selectorELNS0_4arch9wavefront6targetE1EEEvT1_,comdat
.Lfunc_end841:
	.size	_ZN7rocprim17ROCPRIM_400000_NS6detail17trampoline_kernelINS0_14default_configENS1_20scan_config_selectorIiEEZZNS1_9scan_implILNS1_25lookback_scan_determinismE0ELb1ELb1ES3_N6thrust23THRUST_200600_302600_NS6detail15normal_iteratorINS9_10device_ptrIiEEEESE_iNS9_4plusIvEEiEEDaPvRmT3_T4_T5_mT6_P12ihipStream_tbENKUlT_T0_E_clISt17integral_constantIbLb1EEST_IbLb0EEEEDaSP_SQ_EUlSP_E_NS1_11comp_targetILNS1_3genE5ELNS1_11target_archE942ELNS1_3gpuE9ELNS1_3repE0EEENS1_30default_config_static_selectorELNS0_4arch9wavefront6targetE1EEEvT1_, .Lfunc_end841-_ZN7rocprim17ROCPRIM_400000_NS6detail17trampoline_kernelINS0_14default_configENS1_20scan_config_selectorIiEEZZNS1_9scan_implILNS1_25lookback_scan_determinismE0ELb1ELb1ES3_N6thrust23THRUST_200600_302600_NS6detail15normal_iteratorINS9_10device_ptrIiEEEESE_iNS9_4plusIvEEiEEDaPvRmT3_T4_T5_mT6_P12ihipStream_tbENKUlT_T0_E_clISt17integral_constantIbLb1EEST_IbLb0EEEEDaSP_SQ_EUlSP_E_NS1_11comp_targetILNS1_3genE5ELNS1_11target_archE942ELNS1_3gpuE9ELNS1_3repE0EEENS1_30default_config_static_selectorELNS0_4arch9wavefront6targetE1EEEvT1_
                                        ; -- End function
	.section	.AMDGPU.csdata,"",@progbits
; Kernel info:
; codeLenInByte = 0
; NumSgprs: 4
; NumVgprs: 0
; NumAgprs: 0
; TotalNumVgprs: 0
; ScratchSize: 0
; MemoryBound: 0
; FloatMode: 240
; IeeeMode: 1
; LDSByteSize: 0 bytes/workgroup (compile time only)
; SGPRBlocks: 0
; VGPRBlocks: 0
; NumSGPRsForWavesPerEU: 4
; NumVGPRsForWavesPerEU: 1
; AccumOffset: 4
; Occupancy: 8
; WaveLimiterHint : 0
; COMPUTE_PGM_RSRC2:SCRATCH_EN: 0
; COMPUTE_PGM_RSRC2:USER_SGPR: 6
; COMPUTE_PGM_RSRC2:TRAP_HANDLER: 0
; COMPUTE_PGM_RSRC2:TGID_X_EN: 1
; COMPUTE_PGM_RSRC2:TGID_Y_EN: 0
; COMPUTE_PGM_RSRC2:TGID_Z_EN: 0
; COMPUTE_PGM_RSRC2:TIDIG_COMP_CNT: 0
; COMPUTE_PGM_RSRC3_GFX90A:ACCUM_OFFSET: 0
; COMPUTE_PGM_RSRC3_GFX90A:TG_SPLIT: 0
	.section	.text._ZN7rocprim17ROCPRIM_400000_NS6detail17trampoline_kernelINS0_14default_configENS1_20scan_config_selectorIiEEZZNS1_9scan_implILNS1_25lookback_scan_determinismE0ELb1ELb1ES3_N6thrust23THRUST_200600_302600_NS6detail15normal_iteratorINS9_10device_ptrIiEEEESE_iNS9_4plusIvEEiEEDaPvRmT3_T4_T5_mT6_P12ihipStream_tbENKUlT_T0_E_clISt17integral_constantIbLb1EEST_IbLb0EEEEDaSP_SQ_EUlSP_E_NS1_11comp_targetILNS1_3genE4ELNS1_11target_archE910ELNS1_3gpuE8ELNS1_3repE0EEENS1_30default_config_static_selectorELNS0_4arch9wavefront6targetE1EEEvT1_,"axG",@progbits,_ZN7rocprim17ROCPRIM_400000_NS6detail17trampoline_kernelINS0_14default_configENS1_20scan_config_selectorIiEEZZNS1_9scan_implILNS1_25lookback_scan_determinismE0ELb1ELb1ES3_N6thrust23THRUST_200600_302600_NS6detail15normal_iteratorINS9_10device_ptrIiEEEESE_iNS9_4plusIvEEiEEDaPvRmT3_T4_T5_mT6_P12ihipStream_tbENKUlT_T0_E_clISt17integral_constantIbLb1EEST_IbLb0EEEEDaSP_SQ_EUlSP_E_NS1_11comp_targetILNS1_3genE4ELNS1_11target_archE910ELNS1_3gpuE8ELNS1_3repE0EEENS1_30default_config_static_selectorELNS0_4arch9wavefront6targetE1EEEvT1_,comdat
	.protected	_ZN7rocprim17ROCPRIM_400000_NS6detail17trampoline_kernelINS0_14default_configENS1_20scan_config_selectorIiEEZZNS1_9scan_implILNS1_25lookback_scan_determinismE0ELb1ELb1ES3_N6thrust23THRUST_200600_302600_NS6detail15normal_iteratorINS9_10device_ptrIiEEEESE_iNS9_4plusIvEEiEEDaPvRmT3_T4_T5_mT6_P12ihipStream_tbENKUlT_T0_E_clISt17integral_constantIbLb1EEST_IbLb0EEEEDaSP_SQ_EUlSP_E_NS1_11comp_targetILNS1_3genE4ELNS1_11target_archE910ELNS1_3gpuE8ELNS1_3repE0EEENS1_30default_config_static_selectorELNS0_4arch9wavefront6targetE1EEEvT1_ ; -- Begin function _ZN7rocprim17ROCPRIM_400000_NS6detail17trampoline_kernelINS0_14default_configENS1_20scan_config_selectorIiEEZZNS1_9scan_implILNS1_25lookback_scan_determinismE0ELb1ELb1ES3_N6thrust23THRUST_200600_302600_NS6detail15normal_iteratorINS9_10device_ptrIiEEEESE_iNS9_4plusIvEEiEEDaPvRmT3_T4_T5_mT6_P12ihipStream_tbENKUlT_T0_E_clISt17integral_constantIbLb1EEST_IbLb0EEEEDaSP_SQ_EUlSP_E_NS1_11comp_targetILNS1_3genE4ELNS1_11target_archE910ELNS1_3gpuE8ELNS1_3repE0EEENS1_30default_config_static_selectorELNS0_4arch9wavefront6targetE1EEEvT1_
	.globl	_ZN7rocprim17ROCPRIM_400000_NS6detail17trampoline_kernelINS0_14default_configENS1_20scan_config_selectorIiEEZZNS1_9scan_implILNS1_25lookback_scan_determinismE0ELb1ELb1ES3_N6thrust23THRUST_200600_302600_NS6detail15normal_iteratorINS9_10device_ptrIiEEEESE_iNS9_4plusIvEEiEEDaPvRmT3_T4_T5_mT6_P12ihipStream_tbENKUlT_T0_E_clISt17integral_constantIbLb1EEST_IbLb0EEEEDaSP_SQ_EUlSP_E_NS1_11comp_targetILNS1_3genE4ELNS1_11target_archE910ELNS1_3gpuE8ELNS1_3repE0EEENS1_30default_config_static_selectorELNS0_4arch9wavefront6targetE1EEEvT1_
	.p2align	8
	.type	_ZN7rocprim17ROCPRIM_400000_NS6detail17trampoline_kernelINS0_14default_configENS1_20scan_config_selectorIiEEZZNS1_9scan_implILNS1_25lookback_scan_determinismE0ELb1ELb1ES3_N6thrust23THRUST_200600_302600_NS6detail15normal_iteratorINS9_10device_ptrIiEEEESE_iNS9_4plusIvEEiEEDaPvRmT3_T4_T5_mT6_P12ihipStream_tbENKUlT_T0_E_clISt17integral_constantIbLb1EEST_IbLb0EEEEDaSP_SQ_EUlSP_E_NS1_11comp_targetILNS1_3genE4ELNS1_11target_archE910ELNS1_3gpuE8ELNS1_3repE0EEENS1_30default_config_static_selectorELNS0_4arch9wavefront6targetE1EEEvT1_,@function
_ZN7rocprim17ROCPRIM_400000_NS6detail17trampoline_kernelINS0_14default_configENS1_20scan_config_selectorIiEEZZNS1_9scan_implILNS1_25lookback_scan_determinismE0ELb1ELb1ES3_N6thrust23THRUST_200600_302600_NS6detail15normal_iteratorINS9_10device_ptrIiEEEESE_iNS9_4plusIvEEiEEDaPvRmT3_T4_T5_mT6_P12ihipStream_tbENKUlT_T0_E_clISt17integral_constantIbLb1EEST_IbLb0EEEEDaSP_SQ_EUlSP_E_NS1_11comp_targetILNS1_3genE4ELNS1_11target_archE910ELNS1_3gpuE8ELNS1_3repE0EEENS1_30default_config_static_selectorELNS0_4arch9wavefront6targetE1EEEvT1_: ; @_ZN7rocprim17ROCPRIM_400000_NS6detail17trampoline_kernelINS0_14default_configENS1_20scan_config_selectorIiEEZZNS1_9scan_implILNS1_25lookback_scan_determinismE0ELb1ELb1ES3_N6thrust23THRUST_200600_302600_NS6detail15normal_iteratorINS9_10device_ptrIiEEEESE_iNS9_4plusIvEEiEEDaPvRmT3_T4_T5_mT6_P12ihipStream_tbENKUlT_T0_E_clISt17integral_constantIbLb1EEST_IbLb0EEEEDaSP_SQ_EUlSP_E_NS1_11comp_targetILNS1_3genE4ELNS1_11target_archE910ELNS1_3gpuE8ELNS1_3repE0EEENS1_30default_config_static_selectorELNS0_4arch9wavefront6targetE1EEEvT1_
; %bb.0:
	s_load_dwordx8 s[8:15], s[4:5], 0x0
	s_load_dword s1, s[4:5], 0x30
	s_mul_i32 s0, s6, 0x500
	v_lshlrev_b32_e32 v22, 2, v0
	s_waitcnt lgkmcnt(0)
	s_lshl_b64 s[10:11], s[10:11], 2
	s_add_u32 s27, s8, s10
	s_addc_u32 s28, s9, s11
	s_add_i32 s2, s1, -1
	s_mul_i32 s3, s2, 0x500
	s_sub_u32 s7, s14, s3
	s_subb_u32 s26, s15, 0
	s_mov_b32 s1, 0
	s_cmp_lg_u32 s6, s2
	s_cselect_b64 s[8:9], -1, 0
	s_lshl_b64 s[14:15], s[0:1], 2
	s_add_u32 s2, s27, s14
	s_addc_u32 s3, s28, s15
	s_mov_b64 s[0:1], -1
	s_and_b64 vcc, exec, s[8:9]
	s_cbranch_vccz .LBB842_2
; %bb.1:
	v_mov_b32_e32 v1, s3
	v_add_co_u32_e32 v2, vcc, s2, v22
	v_addc_co_u32_e32 v3, vcc, 0, v1, vcc
	flat_load_dword v1, v[2:3]
	flat_load_dword v4, v[2:3] offset:512
	flat_load_dword v5, v[2:3] offset:1024
	;; [unrolled: 1-line block ×7, first 2 shown]
	v_add_co_u32_e32 v2, vcc, 0x1000, v2
	v_addc_co_u32_e32 v3, vcc, 0, v3, vcc
	flat_load_dword v11, v[2:3]
	flat_load_dword v12, v[2:3] offset:512
	s_mov_b64 s[0:1], 0
	s_waitcnt vmcnt(0) lgkmcnt(0)
	ds_write2st64_b32 v22, v1, v4 offset1:2
	ds_write2st64_b32 v22, v5, v6 offset0:4 offset1:6
	ds_write2st64_b32 v22, v7, v8 offset0:8 offset1:10
	;; [unrolled: 1-line block ×4, first 2 shown]
	s_waitcnt lgkmcnt(0)
	s_barrier
.LBB842_2:
	s_load_dwordx2 s[24:25], s[4:5], 0x28
	s_andn2_b64 vcc, exec, s[0:1]
	v_cmp_gt_u32_e64 s[0:1], s7, v0
	s_cbranch_vccnz .LBB842_24
; %bb.3:
	v_pk_mov_b32 v[2:3], s[2:3], s[2:3] op_sel:[0,1]
	flat_load_dword v1, v[2:3]
	s_waitcnt vmcnt(0) lgkmcnt(0)
	v_mov_b32_e32 v2, v1
	v_mov_b32_e32 v3, v1
	;; [unrolled: 1-line block ×9, first 2 shown]
	s_and_saveexec_b64 s[16:17], s[0:1]
	s_cbranch_execz .LBB842_5
; %bb.4:
	v_mov_b32_e32 v11, s3
	v_add_co_u32_e32 v10, vcc, s2, v22
	v_addc_co_u32_e32 v11, vcc, 0, v11, vcc
	flat_load_dword v10, v[10:11]
.LBB842_5:
	s_or_b64 exec, exec, s[16:17]
	v_or_b32_e32 v11, 0x80, v0
	v_cmp_gt_u32_e32 vcc, s7, v11
	s_and_saveexec_b64 s[0:1], vcc
	s_cbranch_execz .LBB842_7
; %bb.6:
	v_mov_b32_e32 v1, s3
	v_add_co_u32_e32 v12, vcc, s2, v22
	v_addc_co_u32_e32 v13, vcc, 0, v1, vcc
	flat_load_dword v1, v[12:13] offset:512
.LBB842_7:
	s_or_b64 exec, exec, s[0:1]
	v_or_b32_e32 v11, 0x100, v0
	v_cmp_gt_u32_e32 vcc, s7, v11
	s_and_saveexec_b64 s[0:1], vcc
	s_cbranch_execz .LBB842_9
; %bb.8:
	v_mov_b32_e32 v2, s3
	v_add_co_u32_e32 v12, vcc, s2, v22
	v_addc_co_u32_e32 v13, vcc, 0, v2, vcc
	flat_load_dword v2, v[12:13] offset:1024
.LBB842_9:
	;; [unrolled: 11-line block ×7, first 2 shown]
	s_or_b64 exec, exec, s[0:1]
	v_or_b32_e32 v11, 0x400, v0
	v_cmp_gt_u32_e32 vcc, s7, v11
	s_and_saveexec_b64 s[0:1], vcc
	s_cbranch_execz .LBB842_21
; %bb.20:
	v_lshlrev_b32_e32 v8, 2, v11
	v_mov_b32_e32 v11, s3
	v_add_co_u32_e32 v12, vcc, s2, v8
	v_addc_co_u32_e32 v13, vcc, 0, v11, vcc
	flat_load_dword v8, v[12:13]
.LBB842_21:
	s_or_b64 exec, exec, s[0:1]
	v_or_b32_e32 v11, 0x480, v0
	v_cmp_gt_u32_e32 vcc, s7, v11
	s_and_saveexec_b64 s[0:1], vcc
	s_cbranch_execz .LBB842_23
; %bb.22:
	v_lshlrev_b32_e32 v9, 2, v11
	v_mov_b32_e32 v11, s3
	v_add_co_u32_e32 v12, vcc, s2, v9
	v_addc_co_u32_e32 v13, vcc, 0, v11, vcc
	flat_load_dword v9, v[12:13]
.LBB842_23:
	s_or_b64 exec, exec, s[0:1]
	s_waitcnt vmcnt(0) lgkmcnt(0)
	ds_write2st64_b32 v22, v10, v1 offset1:2
	ds_write2st64_b32 v22, v2, v3 offset0:4 offset1:6
	ds_write2st64_b32 v22, v4, v5 offset0:8 offset1:10
	;; [unrolled: 1-line block ×4, first 2 shown]
	s_waitcnt lgkmcnt(0)
	s_barrier
.LBB842_24:
	v_mul_u32_u24_e32 v23, 10, v0
	v_lshlrev_b32_e32 v1, 2, v23
	s_waitcnt lgkmcnt(0)
	ds_read2_b64 v[16:19], v1 offset1:1
	ds_read2_b64 v[12:15], v1 offset0:2 offset1:3
	ds_read_b64 v[20:21], v1 offset:32
	s_cmp_lg_u32 s6, 0
	v_lshrrev_b32_e32 v24, 5, v0
	s_waitcnt lgkmcnt(2)
	v_add_u32_e32 v2, v17, v16
	v_add3_u32 v25, v2, v18, v19
	v_cmp_gt_u32_e32 vcc, 64, v0
	s_waitcnt lgkmcnt(0)
	s_barrier
	s_cbranch_scc0 .LBB842_53
; %bb.25:
	v_add3_u32 v2, v25, v12, v13
	v_add3_u32 v2, v2, v14, v15
	;; [unrolled: 1-line block ×3, first 2 shown]
	v_add_lshl_u32 v3, v24, v0, 2
	ds_write_b32 v3, v2
	s_waitcnt lgkmcnt(0)
	s_barrier
	s_and_saveexec_b64 s[2:3], vcc
	s_cbranch_execz .LBB842_27
; %bb.26:
	v_lshlrev_b32_e32 v3, 1, v0
	v_lshrrev_b32_e32 v4, 4, v0
	v_add_lshl_u32 v3, v4, v3, 2
	ds_read2_b32 v[4:5], v3 offset1:1
	v_mbcnt_lo_u32_b32 v6, -1, 0
	v_mbcnt_hi_u32_b32 v6, -1, v6
	v_and_b32_e32 v7, 15, v6
	v_cmp_ne_u32_e64 s[0:1], 0, v7
	s_waitcnt lgkmcnt(0)
	v_add_u32_e32 v5, v5, v4
	; wave barrier
	s_nop 1
	v_mov_b32_dpp v8, v5 row_shr:1 row_mask:0xf bank_mask:0xf
	v_cndmask_b32_e64 v8, 0, v8, s[0:1]
	v_add_u32_e32 v5, v8, v5
	v_cmp_lt_u32_e64 s[0:1], 1, v7
	s_nop 0
	v_mov_b32_dpp v8, v5 row_shr:2 row_mask:0xf bank_mask:0xf
	v_cndmask_b32_e64 v8, 0, v8, s[0:1]
	v_add_u32_e32 v5, v5, v8
	v_cmp_lt_u32_e64 s[0:1], 3, v7
	;; [unrolled: 5-line block ×3, first 2 shown]
	s_nop 0
	v_mov_b32_dpp v8, v5 row_shr:8 row_mask:0xf bank_mask:0xf
	v_cndmask_b32_e64 v7, 0, v8, s[0:1]
	v_add_u32_e32 v5, v5, v7
	v_bfe_i32 v8, v6, 4, 1
	v_cmp_lt_u32_e64 s[0:1], 31, v6
	v_mov_b32_dpp v7, v5 row_bcast:15 row_mask:0xf bank_mask:0xf
	v_and_b32_e32 v7, v8, v7
	v_add_u32_e32 v5, v5, v7
	v_and_b32_e32 v8, 64, v6
	s_nop 0
	v_mov_b32_dpp v7, v5 row_bcast:31 row_mask:0xf bank_mask:0xf
	v_cndmask_b32_e64 v7, 0, v7, s[0:1]
	v_add_u32_e32 v5, v5, v7
	v_add_u32_e32 v7, -1, v6
	v_cmp_lt_i32_e64 s[0:1], v7, v8
	v_cndmask_b32_e64 v6, v7, v6, s[0:1]
	v_lshlrev_b32_e32 v6, 2, v6
	ds_bpermute_b32 v5, v6, v5
	v_cmp_eq_u32_e64 s[0:1], 0, v0
	s_waitcnt lgkmcnt(0)
	v_add_u32_e32 v4, v5, v4
	v_cndmask_b32_e64 v2, v4, v2, s[0:1]
	ds_write_b32 v3, v2
	; wave barrier
	ds_read_b32 v4, v3 offset:4
	s_waitcnt lgkmcnt(0)
	v_add_u32_e32 v2, v4, v2
	ds_write_b32 v3, v2 offset:4
.LBB842_27:
	s_or_b64 exec, exec, s[2:3]
	v_cmp_eq_u32_e64 s[0:1], 0, v0
	v_cmp_ne_u32_e64 s[2:3], 0, v0
	v_mov_b32_e32 v26, 0
	s_waitcnt lgkmcnt(0)
	s_barrier
	s_and_saveexec_b64 s[16:17], s[2:3]
	s_cbranch_execz .LBB842_29
; %bb.28:
	v_add_u32_e32 v2, -1, v0
	v_lshrrev_b32_e32 v3, 5, v2
	v_add_lshl_u32 v2, v3, v2, 2
	ds_read_b32 v26, v2
.LBB842_29:
	s_or_b64 exec, exec, s[16:17]
	s_and_saveexec_b64 s[16:17], vcc
	s_cbranch_execz .LBB842_52
; %bb.30:
	v_mov_b32_e32 v11, 0
	ds_read_b32 v2, v11 offset:520
	v_mbcnt_lo_u32_b32 v3, -1, 0
	v_mbcnt_hi_u32_b32 v5, -1, v3
	s_mov_b32 s21, 0
	v_cmp_eq_u32_e64 s[2:3], 0, v5
	s_and_saveexec_b64 s[18:19], s[2:3]
	s_cbranch_execz .LBB842_32
; %bb.31:
	s_add_i32 s20, s6, 64
	s_lshl_b64 s[20:21], s[20:21], 3
	s_add_u32 s20, s24, s20
	v_mov_b32_e32 v3, 1
	s_addc_u32 s21, s25, s21
	s_waitcnt lgkmcnt(0)
	global_store_dwordx2 v11, v[2:3], s[20:21]
.LBB842_32:
	s_or_b64 exec, exec, s[18:19]
	v_xad_u32 v4, v5, -1, s6
	v_add_u32_e32 v10, 64, v4
	v_lshlrev_b64 v[6:7], 3, v[10:11]
	v_mov_b32_e32 v3, s25
	v_add_co_u32_e32 v6, vcc, s24, v6
	v_addc_co_u32_e32 v7, vcc, v3, v7, vcc
	global_load_dwordx2 v[8:9], v[6:7], off glc
	s_waitcnt vmcnt(0)
	v_cmp_eq_u16_sdwa s[20:21], v9, v11 src0_sel:BYTE_0 src1_sel:DWORD
	s_and_saveexec_b64 s[18:19], s[20:21]
	s_cbranch_execz .LBB842_38
; %bb.33:
	s_mov_b32 s22, 1
	s_mov_b64 s[20:21], 0
	v_mov_b32_e32 v3, 0
.LBB842_34:                             ; =>This Loop Header: Depth=1
                                        ;     Child Loop BB842_35 Depth 2
	s_max_u32 s23, s22, 1
.LBB842_35:                             ;   Parent Loop BB842_34 Depth=1
                                        ; =>  This Inner Loop Header: Depth=2
	s_add_i32 s23, s23, -1
	s_cmp_eq_u32 s23, 0
	s_sleep 1
	s_cbranch_scc0 .LBB842_35
; %bb.36:                               ;   in Loop: Header=BB842_34 Depth=1
	global_load_dwordx2 v[8:9], v[6:7], off glc
	s_cmp_lt_u32 s22, 32
	s_cselect_b64 s[30:31], -1, 0
	s_cmp_lg_u64 s[30:31], 0
	s_addc_u32 s22, s22, 0
	s_waitcnt vmcnt(0)
	v_cmp_ne_u16_sdwa s[30:31], v9, v3 src0_sel:BYTE_0 src1_sel:DWORD
	s_or_b64 s[20:21], s[30:31], s[20:21]
	s_andn2_b64 exec, exec, s[20:21]
	s_cbranch_execnz .LBB842_34
; %bb.37:
	s_or_b64 exec, exec, s[20:21]
.LBB842_38:
	s_or_b64 exec, exec, s[18:19]
	v_and_b32_e32 v27, 63, v5
	v_mov_b32_e32 v3, 2
	v_cmp_ne_u32_e32 vcc, 63, v27
	v_cmp_eq_u16_sdwa s[18:19], v9, v3 src0_sel:BYTE_0 src1_sel:DWORD
	v_lshlrev_b64 v[6:7], v5, -1
	v_addc_co_u32_e32 v28, vcc, 0, v5, vcc
	v_and_b32_e32 v10, s19, v7
	v_lshlrev_b32_e32 v28, 2, v28
	v_or_b32_e32 v10, 0x80000000, v10
	ds_bpermute_b32 v29, v28, v8
	v_and_b32_e32 v11, s18, v6
	v_ffbl_b32_e32 v10, v10
	v_add_u32_e32 v10, 32, v10
	v_ffbl_b32_e32 v11, v11
	v_min_u32_e32 v10, v11, v10
	v_cmp_lt_u32_e32 vcc, v27, v10
	s_waitcnt lgkmcnt(0)
	v_cndmask_b32_e32 v11, 0, v29, vcc
	v_cmp_gt_u32_e32 vcc, 62, v27
	v_add_u32_e32 v8, v11, v8
	v_cndmask_b32_e64 v11, 0, 1, vcc
	v_lshlrev_b32_e32 v11, 1, v11
	v_add_lshl_u32 v29, v11, v5, 2
	ds_bpermute_b32 v11, v29, v8
	v_add_u32_e32 v30, 2, v27
	v_cmp_le_u32_e32 vcc, v30, v10
	v_add_u32_e32 v32, 4, v27
	v_add_u32_e32 v34, 8, v27
	s_waitcnt lgkmcnt(0)
	v_cndmask_b32_e32 v11, 0, v11, vcc
	v_cmp_gt_u32_e32 vcc, 60, v27
	v_add_u32_e32 v8, v8, v11
	v_cndmask_b32_e64 v11, 0, 1, vcc
	v_lshlrev_b32_e32 v11, 2, v11
	v_add_lshl_u32 v31, v11, v5, 2
	ds_bpermute_b32 v11, v31, v8
	v_cmp_le_u32_e32 vcc, v32, v10
	v_add_u32_e32 v37, 16, v27
	v_add_u32_e32 v39, 32, v27
	s_waitcnt lgkmcnt(0)
	v_cndmask_b32_e32 v11, 0, v11, vcc
	v_cmp_gt_u32_e32 vcc, 56, v27
	v_add_u32_e32 v8, v8, v11
	v_cndmask_b32_e64 v11, 0, 1, vcc
	v_lshlrev_b32_e32 v11, 3, v11
	v_add_lshl_u32 v33, v11, v5, 2
	ds_bpermute_b32 v11, v33, v8
	v_cmp_le_u32_e32 vcc, v34, v10
	s_waitcnt lgkmcnt(0)
	v_cndmask_b32_e32 v11, 0, v11, vcc
	v_cmp_gt_u32_e32 vcc, 48, v27
	v_add_u32_e32 v8, v8, v11
	v_cndmask_b32_e64 v11, 0, 1, vcc
	v_lshlrev_b32_e32 v11, 4, v11
	v_add_lshl_u32 v36, v11, v5, 2
	ds_bpermute_b32 v11, v36, v8
	v_cmp_le_u32_e32 vcc, v37, v10
	;; [unrolled: 9-line block ×3, first 2 shown]
	s_waitcnt lgkmcnt(0)
	v_cndmask_b32_e32 v5, 0, v5, vcc
	v_add_u32_e32 v8, v8, v5
	v_mov_b32_e32 v5, 0
	s_branch .LBB842_40
.LBB842_39:                             ;   in Loop: Header=BB842_40 Depth=1
	s_or_b64 exec, exec, s[18:19]
	v_cmp_eq_u16_sdwa s[18:19], v9, v3 src0_sel:BYTE_0 src1_sel:DWORD
	v_and_b32_e32 v10, s19, v7
	v_or_b32_e32 v10, 0x80000000, v10
	ds_bpermute_b32 v40, v28, v8
	v_and_b32_e32 v11, s18, v6
	v_ffbl_b32_e32 v10, v10
	v_add_u32_e32 v10, 32, v10
	v_ffbl_b32_e32 v11, v11
	v_min_u32_e32 v10, v11, v10
	v_cmp_lt_u32_e32 vcc, v27, v10
	s_waitcnt lgkmcnt(0)
	v_cndmask_b32_e32 v11, 0, v40, vcc
	v_add_u32_e32 v8, v11, v8
	ds_bpermute_b32 v11, v29, v8
	v_cmp_le_u32_e32 vcc, v30, v10
	v_subrev_u32_e32 v4, 64, v4
	s_waitcnt lgkmcnt(0)
	v_cndmask_b32_e32 v11, 0, v11, vcc
	v_add_u32_e32 v8, v8, v11
	ds_bpermute_b32 v11, v31, v8
	v_cmp_le_u32_e32 vcc, v32, v10
	s_waitcnt lgkmcnt(0)
	v_cndmask_b32_e32 v11, 0, v11, vcc
	v_add_u32_e32 v8, v8, v11
	ds_bpermute_b32 v11, v33, v8
	v_cmp_le_u32_e32 vcc, v34, v10
	;; [unrolled: 5-line block ×4, first 2 shown]
	s_waitcnt lgkmcnt(0)
	v_cndmask_b32_e32 v10, 0, v11, vcc
	v_add3_u32 v8, v10, v35, v8
.LBB842_40:                             ; =>This Loop Header: Depth=1
                                        ;     Child Loop BB842_43 Depth 2
                                        ;       Child Loop BB842_44 Depth 3
	v_cmp_ne_u16_sdwa s[18:19], v9, v3 src0_sel:BYTE_0 src1_sel:DWORD
	v_cndmask_b32_e64 v9, 0, 1, s[18:19]
	;;#ASMSTART
	;;#ASMEND
	v_cmp_ne_u32_e32 vcc, 0, v9
	s_cmp_lg_u64 vcc, exec
	v_mov_b32_e32 v35, v8
	s_cbranch_scc1 .LBB842_47
; %bb.41:                               ;   in Loop: Header=BB842_40 Depth=1
	v_lshlrev_b64 v[8:9], 3, v[4:5]
	v_mov_b32_e32 v11, s25
	v_add_co_u32_e32 v10, vcc, s24, v8
	v_addc_co_u32_e32 v11, vcc, v11, v9, vcc
	global_load_dwordx2 v[8:9], v[10:11], off glc
	s_waitcnt vmcnt(0)
	v_cmp_eq_u16_sdwa s[20:21], v9, v5 src0_sel:BYTE_0 src1_sel:DWORD
	s_and_saveexec_b64 s[18:19], s[20:21]
	s_cbranch_execz .LBB842_39
; %bb.42:                               ;   in Loop: Header=BB842_40 Depth=1
	s_mov_b32 s22, 1
	s_mov_b64 s[20:21], 0
.LBB842_43:                             ;   Parent Loop BB842_40 Depth=1
                                        ; =>  This Loop Header: Depth=2
                                        ;       Child Loop BB842_44 Depth 3
	s_max_u32 s23, s22, 1
.LBB842_44:                             ;   Parent Loop BB842_40 Depth=1
                                        ;     Parent Loop BB842_43 Depth=2
                                        ; =>    This Inner Loop Header: Depth=3
	s_add_i32 s23, s23, -1
	s_cmp_eq_u32 s23, 0
	s_sleep 1
	s_cbranch_scc0 .LBB842_44
; %bb.45:                               ;   in Loop: Header=BB842_43 Depth=2
	global_load_dwordx2 v[8:9], v[10:11], off glc
	s_cmp_lt_u32 s22, 32
	s_cselect_b64 s[30:31], -1, 0
	s_cmp_lg_u64 s[30:31], 0
	s_addc_u32 s22, s22, 0
	s_waitcnt vmcnt(0)
	v_cmp_ne_u16_sdwa s[30:31], v9, v5 src0_sel:BYTE_0 src1_sel:DWORD
	s_or_b64 s[20:21], s[30:31], s[20:21]
	s_andn2_b64 exec, exec, s[20:21]
	s_cbranch_execnz .LBB842_43
; %bb.46:                               ;   in Loop: Header=BB842_40 Depth=1
	s_or_b64 exec, exec, s[20:21]
	s_branch .LBB842_39
.LBB842_47:                             ;   in Loop: Header=BB842_40 Depth=1
                                        ; implicit-def: $vgpr8
                                        ; implicit-def: $vgpr9
	s_cbranch_execz .LBB842_40
; %bb.48:
	s_and_saveexec_b64 s[18:19], s[2:3]
	s_cbranch_execz .LBB842_50
; %bb.49:
	s_add_i32 s2, s6, 64
	s_mov_b32 s3, 0
	s_lshl_b64 s[2:3], s[2:3], 3
	s_add_u32 s2, s24, s2
	v_add_u32_e32 v2, v35, v2
	v_mov_b32_e32 v3, 2
	s_addc_u32 s3, s25, s3
	v_mov_b32_e32 v4, 0
	global_store_dwordx2 v4, v[2:3], s[2:3]
.LBB842_50:
	s_or_b64 exec, exec, s[18:19]
	s_and_b64 exec, exec, s[0:1]
	s_cbranch_execz .LBB842_52
; %bb.51:
	v_mov_b32_e32 v2, 0
	ds_write_b32 v2, v35
.LBB842_52:
	s_or_b64 exec, exec, s[16:17]
	v_mov_b32_e32 v2, 0
	s_waitcnt lgkmcnt(0)
	s_barrier
	ds_read_b32 v2, v2
	s_waitcnt lgkmcnt(0)
	v_add_u32_e32 v2, v2, v26
	v_add_u32_e32 v3, v2, v16
	;; [unrolled: 1-line block ×10, first 2 shown]
	s_load_dwordx8 s[16:23], s[4:5], 0x38
	s_branch .LBB842_63
.LBB842_53:
                                        ; implicit-def: $vgpr2_vgpr3_vgpr4_vgpr5_vgpr6_vgpr7_vgpr8_vgpr9_vgpr10_vgpr11
	s_load_dwordx8 s[16:23], s[4:5], 0x38
	s_cbranch_execz .LBB842_63
; %bb.54:
	s_load_dword s0, s[4:5], 0x20
	s_waitcnt lgkmcnt(0)
	s_cmp_eq_u64 s[20:21], 0
	v_mov_b32_e32 v26, s0
	s_cbranch_scc1 .LBB842_56
; %bb.55:
	v_mov_b32_e32 v3, s28
	v_add_co_u32_e64 v2, vcc, -4, s27
	v_addc_co_u32_e32 v3, vcc, -1, v3, vcc
	v_mov_b32_e32 v4, 0
	flat_load_dword v5, v[2:3]
	global_load_dword v6, v4, s[16:17]
	s_waitcnt vmcnt(0) lgkmcnt(0)
	v_add_u32_e32 v26, v6, v5
.LBB842_56:
	v_add3_u32 v2, v25, v12, v13
	v_add3_u32 v2, v2, v14, v15
	;; [unrolled: 1-line block ×3, first 2 shown]
	v_add_lshl_u32 v3, v24, v0, 2
	v_cmp_gt_u32_e32 vcc, 64, v0
	ds_write_b32 v3, v2
	s_waitcnt lgkmcnt(0)
	s_barrier
	s_and_saveexec_b64 s[0:1], vcc
	s_cbranch_execz .LBB842_58
; %bb.57:
	v_lshlrev_b32_e32 v3, 1, v0
	v_lshrrev_b32_e32 v4, 4, v0
	v_add_lshl_u32 v3, v4, v3, 2
	ds_read2_b32 v[4:5], v3 offset1:1
	v_mbcnt_lo_u32_b32 v6, -1, 0
	v_mbcnt_hi_u32_b32 v6, -1, v6
	v_and_b32_e32 v7, 15, v6
	v_cmp_ne_u32_e32 vcc, 0, v7
	s_waitcnt lgkmcnt(0)
	v_add_u32_e32 v5, v5, v4
	; wave barrier
	s_nop 1
	v_mov_b32_dpp v8, v5 row_shr:1 row_mask:0xf bank_mask:0xf
	v_cndmask_b32_e32 v8, 0, v8, vcc
	v_add_u32_e32 v5, v8, v5
	v_cmp_lt_u32_e32 vcc, 1, v7
	s_nop 0
	v_mov_b32_dpp v8, v5 row_shr:2 row_mask:0xf bank_mask:0xf
	v_cndmask_b32_e32 v8, 0, v8, vcc
	v_add_u32_e32 v5, v5, v8
	v_cmp_lt_u32_e32 vcc, 3, v7
	;; [unrolled: 5-line block ×3, first 2 shown]
	s_nop 0
	v_mov_b32_dpp v8, v5 row_shr:8 row_mask:0xf bank_mask:0xf
	v_cndmask_b32_e32 v7, 0, v8, vcc
	v_add_u32_e32 v5, v5, v7
	v_bfe_i32 v8, v6, 4, 1
	v_cmp_lt_u32_e32 vcc, 31, v6
	v_mov_b32_dpp v7, v5 row_bcast:15 row_mask:0xf bank_mask:0xf
	v_and_b32_e32 v7, v8, v7
	v_add_u32_e32 v5, v5, v7
	v_and_b32_e32 v8, 64, v6
	s_nop 0
	v_mov_b32_dpp v7, v5 row_bcast:31 row_mask:0xf bank_mask:0xf
	v_cndmask_b32_e32 v7, 0, v7, vcc
	v_add_u32_e32 v5, v5, v7
	v_add_u32_e32 v7, -1, v6
	v_cmp_lt_i32_e32 vcc, v7, v8
	v_cndmask_b32_e32 v6, v7, v6, vcc
	v_lshlrev_b32_e32 v6, 2, v6
	ds_bpermute_b32 v5, v6, v5
	v_cmp_eq_u32_e32 vcc, 0, v0
	s_waitcnt lgkmcnt(0)
	v_add_u32_e32 v4, v5, v4
	v_cndmask_b32_e32 v2, v4, v2, vcc
	ds_write_b32 v3, v2
	; wave barrier
	ds_read_b32 v4, v3 offset:4
	s_waitcnt lgkmcnt(0)
	v_add_u32_e32 v2, v4, v2
	ds_write_b32 v3, v2 offset:4
.LBB842_58:
	s_or_b64 exec, exec, s[0:1]
	v_cmp_eq_u32_e32 vcc, 0, v0
	v_cmp_ne_u32_e64 s[0:1], 0, v0
	v_mov_b32_e32 v2, v26
	s_waitcnt lgkmcnt(0)
	s_barrier
	s_and_saveexec_b64 s[2:3], s[0:1]
	s_cbranch_execz .LBB842_60
; %bb.59:
	v_add_u32_e32 v2, -1, v0
	v_lshrrev_b32_e32 v3, 5, v2
	v_add_lshl_u32 v2, v3, v2, 2
	ds_read_b32 v2, v2
	s_waitcnt lgkmcnt(0)
	v_add_u32_e32 v2, v2, v26
.LBB842_60:
	s_or_b64 exec, exec, s[2:3]
	v_add_u32_e32 v3, v2, v16
	v_add_u32_e32 v4, v3, v17
	;; [unrolled: 1-line block ×9, first 2 shown]
	s_and_saveexec_b64 s[0:1], vcc
	s_cbranch_execz .LBB842_62
; %bb.61:
	v_mov_b32_e32 v14, 0
	ds_read_b32 v12, v14 offset:520
	v_mov_b32_e32 v13, 2
	s_waitcnt lgkmcnt(0)
	v_add_u32_e32 v12, v12, v26
	global_store_dwordx2 v14, v[12:13], s[24:25] offset:512
.LBB842_62:
	s_or_b64 exec, exec, s[0:1]
.LBB842_63:
	s_add_u32 s0, s12, s10
	s_addc_u32 s1, s13, s11
	s_add_u32 s2, s0, s14
	s_addc_u32 s3, s1, s15
	s_mov_b64 s[0:1], -1
	s_and_b64 vcc, exec, s[8:9]
	s_waitcnt lgkmcnt(0)
	s_barrier
	s_cbranch_vccz .LBB842_65
; %bb.64:
	ds_write2_b64 v1, v[2:3], v[4:5] offset1:1
	ds_write2_b64 v1, v[6:7], v[8:9] offset0:2 offset1:3
	ds_write_b64 v1, v[10:11] offset:32
	s_waitcnt lgkmcnt(0)
	s_barrier
	ds_read2st64_b32 v[12:13], v22 offset1:2
	ds_read2st64_b32 v[14:15], v22 offset0:4 offset1:6
	ds_read2st64_b32 v[16:17], v22 offset0:8 offset1:10
	;; [unrolled: 1-line block ×4, first 2 shown]
	v_mov_b32_e32 v25, s3
	v_add_co_u32_e32 v24, vcc, s2, v22
	v_addc_co_u32_e32 v25, vcc, 0, v25, vcc
	s_waitcnt lgkmcnt(4)
	flat_store_dword v[24:25], v12
	flat_store_dword v[24:25], v13 offset:512
	s_waitcnt lgkmcnt(0)
	flat_store_dword v[24:25], v14 offset:1024
	flat_store_dword v[24:25], v15 offset:1536
	;; [unrolled: 1-line block ×6, first 2 shown]
	v_add_co_u32_e32 v12, vcc, 0x1000, v24
	v_addc_co_u32_e32 v13, vcc, 0, v25, vcc
	flat_store_dword v[12:13], v20
	flat_store_dword v[12:13], v21 offset:512
	s_mov_b64 s[0:1], 0
.LBB842_65:
	s_andn2_b64 vcc, exec, s[0:1]
	s_cbranch_vccnz .LBB842_121
; %bb.66:
	ds_write2_b64 v1, v[2:3], v[4:5] offset1:1
	ds_write2_b64 v1, v[6:7], v[8:9] offset0:2 offset1:3
	ds_write_b64 v1, v[10:11] offset:32
	s_waitcnt lgkmcnt(0)
	s_barrier
	ds_read2st64_b32 v[2:3], v22 offset1:2
	ds_read2st64_b32 v[6:7], v22 offset0:4 offset1:6
	ds_read2st64_b32 v[4:5], v22 offset0:8 offset1:10
	;; [unrolled: 1-line block ×4, first 2 shown]
	v_mov_b32_e32 v13, s3
	v_add_co_u32_e32 v12, vcc, s2, v22
	v_addc_co_u32_e32 v13, vcc, 0, v13, vcc
	v_mov_b32_e32 v1, 0
	v_cmp_gt_u32_e32 vcc, s7, v0
	s_and_saveexec_b64 s[0:1], vcc
	s_cbranch_execz .LBB842_68
; %bb.67:
	s_waitcnt lgkmcnt(0)
	flat_store_dword v[12:13], v2
.LBB842_68:
	s_or_b64 exec, exec, s[0:1]
	v_or_b32_e32 v14, 0x80, v0
	v_cmp_gt_u32_e32 vcc, s7, v14
	s_and_saveexec_b64 s[0:1], vcc
	s_cbranch_execz .LBB842_70
; %bb.69:
	s_waitcnt lgkmcnt(0)
	flat_store_dword v[12:13], v3 offset:512
.LBB842_70:
	s_or_b64 exec, exec, s[0:1]
	v_or_b32_e32 v14, 0x100, v0
	v_cmp_gt_u32_e32 vcc, s7, v14
	s_and_saveexec_b64 s[0:1], vcc
	s_cbranch_execz .LBB842_72
; %bb.71:
	s_waitcnt lgkmcnt(0)
	flat_store_dword v[12:13], v6 offset:1024
.LBB842_72:
	;; [unrolled: 9-line block ×7, first 2 shown]
	s_or_b64 exec, exec, s[0:1]
	v_or_b32_e32 v14, 0x400, v0
	v_cmp_gt_u32_e32 vcc, s7, v14
	s_and_saveexec_b64 s[0:1], vcc
	s_cbranch_execz .LBB842_84
; %bb.83:
	v_add_co_u32_e32 v14, vcc, 0x1000, v12
	v_addc_co_u32_e32 v15, vcc, 0, v13, vcc
	s_waitcnt lgkmcnt(0)
	flat_store_dword v[14:15], v10
.LBB842_84:
	s_or_b64 exec, exec, s[0:1]
	v_or_b32_e32 v14, 0x480, v0
	v_cmp_gt_u32_e32 vcc, s7, v14
	s_and_saveexec_b64 s[0:1], vcc
	s_cbranch_execz .LBB842_86
; %bb.85:
	v_add_co_u32_e32 v12, vcc, 0x1000, v12
	v_addc_co_u32_e32 v13, vcc, 0, v13, vcc
	s_waitcnt lgkmcnt(0)
	flat_store_dword v[12:13], v11 offset:512
.LBB842_86:
	s_or_b64 exec, exec, s[0:1]
	v_cmp_lt_u64_e64 s[0:1], s[22:23], 2
	s_and_b64 vcc, exec, s[0:1]
	s_cbranch_vccnz .LBB842_121
; %bb.87:
	s_add_u32 s0, s7, -1
	s_addc_u32 s1, s26, -1
	s_add_u32 s2, 0, 0x99986000
	s_addc_u32 s3, 0, 0x59
	s_add_i32 s3, s3, 0x19999940
	s_mul_hi_u32 s7, s2, -10
	s_sub_i32 s7, s7, s2
	s_mul_i32 s8, s3, -10
	s_mul_i32 s4, s2, -10
	s_add_i32 s7, s7, s8
	s_mul_hi_u32 s5, s3, s4
	s_mul_i32 s6, s3, s4
	s_mul_i32 s9, s2, s7
	s_mul_hi_u32 s4, s2, s4
	s_mul_hi_u32 s8, s2, s7
	s_add_u32 s4, s4, s9
	s_addc_u32 s8, 0, s8
	s_add_u32 s4, s4, s6
	s_mul_hi_u32 s9, s3, s7
	s_addc_u32 s4, s8, s5
	s_addc_u32 s5, s9, 0
	s_mul_i32 s6, s3, s7
	s_add_u32 s4, s4, s6
	v_mov_b32_e32 v12, s4
	s_addc_u32 s5, 0, s5
	v_add_co_u32_e32 v12, vcc, s2, v12
	s_cmp_lg_u64 vcc, 0
	s_addc_u32 s2, s3, s5
	v_readfirstlane_b32 s5, v12
	s_mul_i32 s4, s0, s2
	s_mul_hi_u32 s6, s0, s5
	s_mul_hi_u32 s3, s0, s2
	s_add_u32 s4, s6, s4
	s_addc_u32 s3, 0, s3
	s_mul_hi_u32 s7, s1, s5
	s_mul_i32 s5, s1, s5
	s_add_u32 s4, s4, s5
	s_mul_hi_u32 s6, s1, s2
	s_addc_u32 s3, s3, s7
	s_addc_u32 s4, s6, 0
	s_mul_i32 s2, s1, s2
	s_add_u32 s2, s3, s2
	s_addc_u32 s3, 0, s4
	s_add_u32 s4, s2, 1
	s_addc_u32 s5, s3, 0
	s_add_u32 s6, s2, 2
	s_mul_i32 s8, s3, 10
	s_mul_hi_u32 s9, s2, 10
	s_addc_u32 s7, s3, 0
	s_add_i32 s9, s9, s8
	s_mul_i32 s8, s2, 10
	v_mov_b32_e32 v12, s8
	v_sub_co_u32_e32 v12, vcc, s0, v12
	s_cmp_lg_u64 vcc, 0
	s_subb_u32 s8, s1, s9
	v_subrev_co_u32_e32 v13, vcc, 10, v12
	s_cmp_lg_u64 vcc, 0
	s_subb_u32 s9, s8, 0
	v_readfirstlane_b32 s10, v13
	s_cmp_gt_u32 s10, 9
	s_cselect_b32 s10, -1, 0
	s_cmp_eq_u32 s9, 0
	s_cselect_b32 s9, s10, -1
	s_cmp_lg_u32 s9, 0
	s_cselect_b32 s4, s6, s4
	v_readfirstlane_b32 s6, v12
	s_cselect_b32 s5, s7, s5
	s_cmp_gt_u32 s6, 9
	s_cselect_b32 s6, -1, 0
	s_cmp_eq_u32 s8, 0
	s_cselect_b32 s6, s6, -1
	s_cmp_lg_u32 s6, 0
	s_cselect_b32 s3, s5, s3
	s_cselect_b32 s2, s4, s2
	v_cmp_eq_u64_e32 vcc, s[2:3], v[0:1]
	s_and_saveexec_b64 s[2:3], vcc
	s_cbranch_execz .LBB842_121
; %bb.88:
	v_mul_hi_u32_u24_e32 v1, 10, v0
	v_mov_b32_e32 v12, s1
	v_sub_co_u32_e32 v0, vcc, s0, v23
	v_subb_co_u32_e32 v1, vcc, v12, v1, vcc
	v_cmp_lt_i64_e32 vcc, 4, v[0:1]
	s_and_saveexec_b64 s[0:1], vcc
	s_xor_b64 s[0:1], exec, s[0:1]
	s_cbranch_execz .LBB842_106
; %bb.89:
	v_cmp_lt_i64_e32 vcc, 6, v[0:1]
	s_and_saveexec_b64 s[2:3], vcc
	s_xor_b64 s[2:3], exec, s[2:3]
	s_cbranch_execz .LBB842_99
; %bb.90:
	;; [unrolled: 5-line block ×4, first 2 shown]
	v_mov_b32_e32 v0, 0
	s_waitcnt lgkmcnt(0)
	global_store_dword v0, v11, s[18:19]
                                        ; implicit-def: $vgpr10_vgpr11
.LBB842_93:
	s_andn2_saveexec_b64 s[6:7], s[6:7]
	s_cbranch_execz .LBB842_95
; %bb.94:
	v_mov_b32_e32 v0, 0
	s_waitcnt lgkmcnt(0)
	global_store_dword v0, v10, s[18:19]
.LBB842_95:
	s_or_b64 exec, exec, s[6:7]
                                        ; implicit-def: $vgpr8_vgpr9
.LBB842_96:
	s_andn2_saveexec_b64 s[4:5], s[4:5]
	s_cbranch_execz .LBB842_98
; %bb.97:
	v_mov_b32_e32 v0, 0
	s_waitcnt lgkmcnt(0)
	global_store_dword v0, v9, s[18:19]
.LBB842_98:
	s_or_b64 exec, exec, s[4:5]
                                        ; implicit-def: $vgpr4_vgpr5
                                        ; implicit-def: $vgpr0_vgpr1
                                        ; implicit-def: $vgpr8_vgpr9
.LBB842_99:
	s_andn2_saveexec_b64 s[2:3], s[2:3]
	s_cbranch_execz .LBB842_105
; %bb.100:
	v_cmp_lt_i64_e32 vcc, 5, v[0:1]
	s_and_saveexec_b64 s[4:5], vcc
	s_xor_b64 s[4:5], exec, s[4:5]
	s_cbranch_execz .LBB842_102
; %bb.101:
	v_mov_b32_e32 v0, 0
	s_waitcnt lgkmcnt(0)
	global_store_dword v0, v8, s[18:19]
                                        ; implicit-def: $vgpr4_vgpr5
.LBB842_102:
	s_andn2_saveexec_b64 s[4:5], s[4:5]
	s_cbranch_execz .LBB842_104
; %bb.103:
	v_mov_b32_e32 v0, 0
	s_waitcnt lgkmcnt(0)
	global_store_dword v0, v5, s[18:19]
.LBB842_104:
	s_or_b64 exec, exec, s[4:5]
.LBB842_105:
	s_or_b64 exec, exec, s[2:3]
                                        ; implicit-def: $vgpr0_vgpr1
                                        ; implicit-def: $vgpr6_vgpr7
                                        ; implicit-def: $vgpr2_vgpr3
                                        ; implicit-def: $vgpr4_vgpr5
.LBB842_106:
	s_andn2_saveexec_b64 s[0:1], s[0:1]
	s_cbranch_execz .LBB842_121
; %bb.107:
	v_cmp_lt_i64_e32 vcc, 2, v[0:1]
	s_and_saveexec_b64 s[0:1], vcc
	s_xor_b64 s[0:1], exec, s[0:1]
	s_cbranch_execz .LBB842_113
; %bb.108:
	v_cmp_lt_i64_e32 vcc, 3, v[0:1]
	s_and_saveexec_b64 s[2:3], vcc
	s_xor_b64 s[2:3], exec, s[2:3]
	s_cbranch_execz .LBB842_110
; %bb.109:
	v_mov_b32_e32 v0, 0
	s_waitcnt lgkmcnt(0)
	global_store_dword v0, v4, s[18:19]
                                        ; implicit-def: $vgpr6_vgpr7
.LBB842_110:
	s_andn2_saveexec_b64 s[2:3], s[2:3]
	s_cbranch_execz .LBB842_112
; %bb.111:
	v_mov_b32_e32 v0, 0
	s_waitcnt lgkmcnt(0)
	global_store_dword v0, v7, s[18:19]
.LBB842_112:
	s_or_b64 exec, exec, s[2:3]
                                        ; implicit-def: $vgpr0_vgpr1
                                        ; implicit-def: $vgpr6_vgpr7
                                        ; implicit-def: $vgpr2_vgpr3
.LBB842_113:
	s_andn2_saveexec_b64 s[0:1], s[0:1]
	s_cbranch_execz .LBB842_121
; %bb.114:
	v_cmp_lt_i64_e32 vcc, 1, v[0:1]
	s_and_saveexec_b64 s[0:1], vcc
	s_xor_b64 s[0:1], exec, s[0:1]
	s_cbranch_execz .LBB842_116
; %bb.115:
	v_mov_b32_e32 v0, 0
	s_waitcnt lgkmcnt(0)
	global_store_dword v0, v6, s[18:19]
                                        ; implicit-def: $vgpr2_vgpr3
                                        ; implicit-def: $vgpr0_vgpr1
.LBB842_116:
	s_andn2_saveexec_b64 s[0:1], s[0:1]
	s_cbranch_execz .LBB842_121
; %bb.117:
	v_cmp_ne_u64_e32 vcc, 1, v[0:1]
	s_and_saveexec_b64 s[0:1], vcc
	s_xor_b64 s[0:1], exec, s[0:1]
	s_cbranch_execz .LBB842_119
; %bb.118:
	v_mov_b32_e32 v0, 0
	s_waitcnt lgkmcnt(0)
	global_store_dword v0, v2, s[18:19]
                                        ; implicit-def: $vgpr2_vgpr3
.LBB842_119:
	s_andn2_saveexec_b64 s[0:1], s[0:1]
	s_cbranch_execz .LBB842_121
; %bb.120:
	v_mov_b32_e32 v0, 0
	s_waitcnt lgkmcnt(0)
	global_store_dword v0, v3, s[18:19]
.LBB842_121:
	s_endpgm
	.section	.rodata,"a",@progbits
	.p2align	6, 0x0
	.amdhsa_kernel _ZN7rocprim17ROCPRIM_400000_NS6detail17trampoline_kernelINS0_14default_configENS1_20scan_config_selectorIiEEZZNS1_9scan_implILNS1_25lookback_scan_determinismE0ELb1ELb1ES3_N6thrust23THRUST_200600_302600_NS6detail15normal_iteratorINS9_10device_ptrIiEEEESE_iNS9_4plusIvEEiEEDaPvRmT3_T4_T5_mT6_P12ihipStream_tbENKUlT_T0_E_clISt17integral_constantIbLb1EEST_IbLb0EEEEDaSP_SQ_EUlSP_E_NS1_11comp_targetILNS1_3genE4ELNS1_11target_archE910ELNS1_3gpuE8ELNS1_3repE0EEENS1_30default_config_static_selectorELNS0_4arch9wavefront6targetE1EEEvT1_
		.amdhsa_group_segment_fixed_size 5120
		.amdhsa_private_segment_fixed_size 0
		.amdhsa_kernarg_size 96
		.amdhsa_user_sgpr_count 6
		.amdhsa_user_sgpr_private_segment_buffer 1
		.amdhsa_user_sgpr_dispatch_ptr 0
		.amdhsa_user_sgpr_queue_ptr 0
		.amdhsa_user_sgpr_kernarg_segment_ptr 1
		.amdhsa_user_sgpr_dispatch_id 0
		.amdhsa_user_sgpr_flat_scratch_init 0
		.amdhsa_user_sgpr_kernarg_preload_length 0
		.amdhsa_user_sgpr_kernarg_preload_offset 0
		.amdhsa_user_sgpr_private_segment_size 0
		.amdhsa_uses_dynamic_stack 0
		.amdhsa_system_sgpr_private_segment_wavefront_offset 0
		.amdhsa_system_sgpr_workgroup_id_x 1
		.amdhsa_system_sgpr_workgroup_id_y 0
		.amdhsa_system_sgpr_workgroup_id_z 0
		.amdhsa_system_sgpr_workgroup_info 0
		.amdhsa_system_vgpr_workitem_id 0
		.amdhsa_next_free_vgpr 41
		.amdhsa_next_free_sgpr 32
		.amdhsa_accum_offset 44
		.amdhsa_reserve_vcc 1
		.amdhsa_reserve_flat_scratch 0
		.amdhsa_float_round_mode_32 0
		.amdhsa_float_round_mode_16_64 0
		.amdhsa_float_denorm_mode_32 3
		.amdhsa_float_denorm_mode_16_64 3
		.amdhsa_dx10_clamp 1
		.amdhsa_ieee_mode 1
		.amdhsa_fp16_overflow 0
		.amdhsa_tg_split 0
		.amdhsa_exception_fp_ieee_invalid_op 0
		.amdhsa_exception_fp_denorm_src 0
		.amdhsa_exception_fp_ieee_div_zero 0
		.amdhsa_exception_fp_ieee_overflow 0
		.amdhsa_exception_fp_ieee_underflow 0
		.amdhsa_exception_fp_ieee_inexact 0
		.amdhsa_exception_int_div_zero 0
	.end_amdhsa_kernel
	.section	.text._ZN7rocprim17ROCPRIM_400000_NS6detail17trampoline_kernelINS0_14default_configENS1_20scan_config_selectorIiEEZZNS1_9scan_implILNS1_25lookback_scan_determinismE0ELb1ELb1ES3_N6thrust23THRUST_200600_302600_NS6detail15normal_iteratorINS9_10device_ptrIiEEEESE_iNS9_4plusIvEEiEEDaPvRmT3_T4_T5_mT6_P12ihipStream_tbENKUlT_T0_E_clISt17integral_constantIbLb1EEST_IbLb0EEEEDaSP_SQ_EUlSP_E_NS1_11comp_targetILNS1_3genE4ELNS1_11target_archE910ELNS1_3gpuE8ELNS1_3repE0EEENS1_30default_config_static_selectorELNS0_4arch9wavefront6targetE1EEEvT1_,"axG",@progbits,_ZN7rocprim17ROCPRIM_400000_NS6detail17trampoline_kernelINS0_14default_configENS1_20scan_config_selectorIiEEZZNS1_9scan_implILNS1_25lookback_scan_determinismE0ELb1ELb1ES3_N6thrust23THRUST_200600_302600_NS6detail15normal_iteratorINS9_10device_ptrIiEEEESE_iNS9_4plusIvEEiEEDaPvRmT3_T4_T5_mT6_P12ihipStream_tbENKUlT_T0_E_clISt17integral_constantIbLb1EEST_IbLb0EEEEDaSP_SQ_EUlSP_E_NS1_11comp_targetILNS1_3genE4ELNS1_11target_archE910ELNS1_3gpuE8ELNS1_3repE0EEENS1_30default_config_static_selectorELNS0_4arch9wavefront6targetE1EEEvT1_,comdat
.Lfunc_end842:
	.size	_ZN7rocprim17ROCPRIM_400000_NS6detail17trampoline_kernelINS0_14default_configENS1_20scan_config_selectorIiEEZZNS1_9scan_implILNS1_25lookback_scan_determinismE0ELb1ELb1ES3_N6thrust23THRUST_200600_302600_NS6detail15normal_iteratorINS9_10device_ptrIiEEEESE_iNS9_4plusIvEEiEEDaPvRmT3_T4_T5_mT6_P12ihipStream_tbENKUlT_T0_E_clISt17integral_constantIbLb1EEST_IbLb0EEEEDaSP_SQ_EUlSP_E_NS1_11comp_targetILNS1_3genE4ELNS1_11target_archE910ELNS1_3gpuE8ELNS1_3repE0EEENS1_30default_config_static_selectorELNS0_4arch9wavefront6targetE1EEEvT1_, .Lfunc_end842-_ZN7rocprim17ROCPRIM_400000_NS6detail17trampoline_kernelINS0_14default_configENS1_20scan_config_selectorIiEEZZNS1_9scan_implILNS1_25lookback_scan_determinismE0ELb1ELb1ES3_N6thrust23THRUST_200600_302600_NS6detail15normal_iteratorINS9_10device_ptrIiEEEESE_iNS9_4plusIvEEiEEDaPvRmT3_T4_T5_mT6_P12ihipStream_tbENKUlT_T0_E_clISt17integral_constantIbLb1EEST_IbLb0EEEEDaSP_SQ_EUlSP_E_NS1_11comp_targetILNS1_3genE4ELNS1_11target_archE910ELNS1_3gpuE8ELNS1_3repE0EEENS1_30default_config_static_selectorELNS0_4arch9wavefront6targetE1EEEvT1_
                                        ; -- End function
	.section	.AMDGPU.csdata,"",@progbits
; Kernel info:
; codeLenInByte = 4484
; NumSgprs: 36
; NumVgprs: 41
; NumAgprs: 0
; TotalNumVgprs: 41
; ScratchSize: 0
; MemoryBound: 0
; FloatMode: 240
; IeeeMode: 1
; LDSByteSize: 5120 bytes/workgroup (compile time only)
; SGPRBlocks: 4
; VGPRBlocks: 5
; NumSGPRsForWavesPerEU: 36
; NumVGPRsForWavesPerEU: 41
; AccumOffset: 44
; Occupancy: 6
; WaveLimiterHint : 1
; COMPUTE_PGM_RSRC2:SCRATCH_EN: 0
; COMPUTE_PGM_RSRC2:USER_SGPR: 6
; COMPUTE_PGM_RSRC2:TRAP_HANDLER: 0
; COMPUTE_PGM_RSRC2:TGID_X_EN: 1
; COMPUTE_PGM_RSRC2:TGID_Y_EN: 0
; COMPUTE_PGM_RSRC2:TGID_Z_EN: 0
; COMPUTE_PGM_RSRC2:TIDIG_COMP_CNT: 0
; COMPUTE_PGM_RSRC3_GFX90A:ACCUM_OFFSET: 10
; COMPUTE_PGM_RSRC3_GFX90A:TG_SPLIT: 0
	.section	.text._ZN7rocprim17ROCPRIM_400000_NS6detail17trampoline_kernelINS0_14default_configENS1_20scan_config_selectorIiEEZZNS1_9scan_implILNS1_25lookback_scan_determinismE0ELb1ELb1ES3_N6thrust23THRUST_200600_302600_NS6detail15normal_iteratorINS9_10device_ptrIiEEEESE_iNS9_4plusIvEEiEEDaPvRmT3_T4_T5_mT6_P12ihipStream_tbENKUlT_T0_E_clISt17integral_constantIbLb1EEST_IbLb0EEEEDaSP_SQ_EUlSP_E_NS1_11comp_targetILNS1_3genE3ELNS1_11target_archE908ELNS1_3gpuE7ELNS1_3repE0EEENS1_30default_config_static_selectorELNS0_4arch9wavefront6targetE1EEEvT1_,"axG",@progbits,_ZN7rocprim17ROCPRIM_400000_NS6detail17trampoline_kernelINS0_14default_configENS1_20scan_config_selectorIiEEZZNS1_9scan_implILNS1_25lookback_scan_determinismE0ELb1ELb1ES3_N6thrust23THRUST_200600_302600_NS6detail15normal_iteratorINS9_10device_ptrIiEEEESE_iNS9_4plusIvEEiEEDaPvRmT3_T4_T5_mT6_P12ihipStream_tbENKUlT_T0_E_clISt17integral_constantIbLb1EEST_IbLb0EEEEDaSP_SQ_EUlSP_E_NS1_11comp_targetILNS1_3genE3ELNS1_11target_archE908ELNS1_3gpuE7ELNS1_3repE0EEENS1_30default_config_static_selectorELNS0_4arch9wavefront6targetE1EEEvT1_,comdat
	.protected	_ZN7rocprim17ROCPRIM_400000_NS6detail17trampoline_kernelINS0_14default_configENS1_20scan_config_selectorIiEEZZNS1_9scan_implILNS1_25lookback_scan_determinismE0ELb1ELb1ES3_N6thrust23THRUST_200600_302600_NS6detail15normal_iteratorINS9_10device_ptrIiEEEESE_iNS9_4plusIvEEiEEDaPvRmT3_T4_T5_mT6_P12ihipStream_tbENKUlT_T0_E_clISt17integral_constantIbLb1EEST_IbLb0EEEEDaSP_SQ_EUlSP_E_NS1_11comp_targetILNS1_3genE3ELNS1_11target_archE908ELNS1_3gpuE7ELNS1_3repE0EEENS1_30default_config_static_selectorELNS0_4arch9wavefront6targetE1EEEvT1_ ; -- Begin function _ZN7rocprim17ROCPRIM_400000_NS6detail17trampoline_kernelINS0_14default_configENS1_20scan_config_selectorIiEEZZNS1_9scan_implILNS1_25lookback_scan_determinismE0ELb1ELb1ES3_N6thrust23THRUST_200600_302600_NS6detail15normal_iteratorINS9_10device_ptrIiEEEESE_iNS9_4plusIvEEiEEDaPvRmT3_T4_T5_mT6_P12ihipStream_tbENKUlT_T0_E_clISt17integral_constantIbLb1EEST_IbLb0EEEEDaSP_SQ_EUlSP_E_NS1_11comp_targetILNS1_3genE3ELNS1_11target_archE908ELNS1_3gpuE7ELNS1_3repE0EEENS1_30default_config_static_selectorELNS0_4arch9wavefront6targetE1EEEvT1_
	.globl	_ZN7rocprim17ROCPRIM_400000_NS6detail17trampoline_kernelINS0_14default_configENS1_20scan_config_selectorIiEEZZNS1_9scan_implILNS1_25lookback_scan_determinismE0ELb1ELb1ES3_N6thrust23THRUST_200600_302600_NS6detail15normal_iteratorINS9_10device_ptrIiEEEESE_iNS9_4plusIvEEiEEDaPvRmT3_T4_T5_mT6_P12ihipStream_tbENKUlT_T0_E_clISt17integral_constantIbLb1EEST_IbLb0EEEEDaSP_SQ_EUlSP_E_NS1_11comp_targetILNS1_3genE3ELNS1_11target_archE908ELNS1_3gpuE7ELNS1_3repE0EEENS1_30default_config_static_selectorELNS0_4arch9wavefront6targetE1EEEvT1_
	.p2align	8
	.type	_ZN7rocprim17ROCPRIM_400000_NS6detail17trampoline_kernelINS0_14default_configENS1_20scan_config_selectorIiEEZZNS1_9scan_implILNS1_25lookback_scan_determinismE0ELb1ELb1ES3_N6thrust23THRUST_200600_302600_NS6detail15normal_iteratorINS9_10device_ptrIiEEEESE_iNS9_4plusIvEEiEEDaPvRmT3_T4_T5_mT6_P12ihipStream_tbENKUlT_T0_E_clISt17integral_constantIbLb1EEST_IbLb0EEEEDaSP_SQ_EUlSP_E_NS1_11comp_targetILNS1_3genE3ELNS1_11target_archE908ELNS1_3gpuE7ELNS1_3repE0EEENS1_30default_config_static_selectorELNS0_4arch9wavefront6targetE1EEEvT1_,@function
_ZN7rocprim17ROCPRIM_400000_NS6detail17trampoline_kernelINS0_14default_configENS1_20scan_config_selectorIiEEZZNS1_9scan_implILNS1_25lookback_scan_determinismE0ELb1ELb1ES3_N6thrust23THRUST_200600_302600_NS6detail15normal_iteratorINS9_10device_ptrIiEEEESE_iNS9_4plusIvEEiEEDaPvRmT3_T4_T5_mT6_P12ihipStream_tbENKUlT_T0_E_clISt17integral_constantIbLb1EEST_IbLb0EEEEDaSP_SQ_EUlSP_E_NS1_11comp_targetILNS1_3genE3ELNS1_11target_archE908ELNS1_3gpuE7ELNS1_3repE0EEENS1_30default_config_static_selectorELNS0_4arch9wavefront6targetE1EEEvT1_: ; @_ZN7rocprim17ROCPRIM_400000_NS6detail17trampoline_kernelINS0_14default_configENS1_20scan_config_selectorIiEEZZNS1_9scan_implILNS1_25lookback_scan_determinismE0ELb1ELb1ES3_N6thrust23THRUST_200600_302600_NS6detail15normal_iteratorINS9_10device_ptrIiEEEESE_iNS9_4plusIvEEiEEDaPvRmT3_T4_T5_mT6_P12ihipStream_tbENKUlT_T0_E_clISt17integral_constantIbLb1EEST_IbLb0EEEEDaSP_SQ_EUlSP_E_NS1_11comp_targetILNS1_3genE3ELNS1_11target_archE908ELNS1_3gpuE7ELNS1_3repE0EEENS1_30default_config_static_selectorELNS0_4arch9wavefront6targetE1EEEvT1_
; %bb.0:
	.section	.rodata,"a",@progbits
	.p2align	6, 0x0
	.amdhsa_kernel _ZN7rocprim17ROCPRIM_400000_NS6detail17trampoline_kernelINS0_14default_configENS1_20scan_config_selectorIiEEZZNS1_9scan_implILNS1_25lookback_scan_determinismE0ELb1ELb1ES3_N6thrust23THRUST_200600_302600_NS6detail15normal_iteratorINS9_10device_ptrIiEEEESE_iNS9_4plusIvEEiEEDaPvRmT3_T4_T5_mT6_P12ihipStream_tbENKUlT_T0_E_clISt17integral_constantIbLb1EEST_IbLb0EEEEDaSP_SQ_EUlSP_E_NS1_11comp_targetILNS1_3genE3ELNS1_11target_archE908ELNS1_3gpuE7ELNS1_3repE0EEENS1_30default_config_static_selectorELNS0_4arch9wavefront6targetE1EEEvT1_
		.amdhsa_group_segment_fixed_size 0
		.amdhsa_private_segment_fixed_size 0
		.amdhsa_kernarg_size 96
		.amdhsa_user_sgpr_count 6
		.amdhsa_user_sgpr_private_segment_buffer 1
		.amdhsa_user_sgpr_dispatch_ptr 0
		.amdhsa_user_sgpr_queue_ptr 0
		.amdhsa_user_sgpr_kernarg_segment_ptr 1
		.amdhsa_user_sgpr_dispatch_id 0
		.amdhsa_user_sgpr_flat_scratch_init 0
		.amdhsa_user_sgpr_kernarg_preload_length 0
		.amdhsa_user_sgpr_kernarg_preload_offset 0
		.amdhsa_user_sgpr_private_segment_size 0
		.amdhsa_uses_dynamic_stack 0
		.amdhsa_system_sgpr_private_segment_wavefront_offset 0
		.amdhsa_system_sgpr_workgroup_id_x 1
		.amdhsa_system_sgpr_workgroup_id_y 0
		.amdhsa_system_sgpr_workgroup_id_z 0
		.amdhsa_system_sgpr_workgroup_info 0
		.amdhsa_system_vgpr_workitem_id 0
		.amdhsa_next_free_vgpr 1
		.amdhsa_next_free_sgpr 0
		.amdhsa_accum_offset 4
		.amdhsa_reserve_vcc 0
		.amdhsa_reserve_flat_scratch 0
		.amdhsa_float_round_mode_32 0
		.amdhsa_float_round_mode_16_64 0
		.amdhsa_float_denorm_mode_32 3
		.amdhsa_float_denorm_mode_16_64 3
		.amdhsa_dx10_clamp 1
		.amdhsa_ieee_mode 1
		.amdhsa_fp16_overflow 0
		.amdhsa_tg_split 0
		.amdhsa_exception_fp_ieee_invalid_op 0
		.amdhsa_exception_fp_denorm_src 0
		.amdhsa_exception_fp_ieee_div_zero 0
		.amdhsa_exception_fp_ieee_overflow 0
		.amdhsa_exception_fp_ieee_underflow 0
		.amdhsa_exception_fp_ieee_inexact 0
		.amdhsa_exception_int_div_zero 0
	.end_amdhsa_kernel
	.section	.text._ZN7rocprim17ROCPRIM_400000_NS6detail17trampoline_kernelINS0_14default_configENS1_20scan_config_selectorIiEEZZNS1_9scan_implILNS1_25lookback_scan_determinismE0ELb1ELb1ES3_N6thrust23THRUST_200600_302600_NS6detail15normal_iteratorINS9_10device_ptrIiEEEESE_iNS9_4plusIvEEiEEDaPvRmT3_T4_T5_mT6_P12ihipStream_tbENKUlT_T0_E_clISt17integral_constantIbLb1EEST_IbLb0EEEEDaSP_SQ_EUlSP_E_NS1_11comp_targetILNS1_3genE3ELNS1_11target_archE908ELNS1_3gpuE7ELNS1_3repE0EEENS1_30default_config_static_selectorELNS0_4arch9wavefront6targetE1EEEvT1_,"axG",@progbits,_ZN7rocprim17ROCPRIM_400000_NS6detail17trampoline_kernelINS0_14default_configENS1_20scan_config_selectorIiEEZZNS1_9scan_implILNS1_25lookback_scan_determinismE0ELb1ELb1ES3_N6thrust23THRUST_200600_302600_NS6detail15normal_iteratorINS9_10device_ptrIiEEEESE_iNS9_4plusIvEEiEEDaPvRmT3_T4_T5_mT6_P12ihipStream_tbENKUlT_T0_E_clISt17integral_constantIbLb1EEST_IbLb0EEEEDaSP_SQ_EUlSP_E_NS1_11comp_targetILNS1_3genE3ELNS1_11target_archE908ELNS1_3gpuE7ELNS1_3repE0EEENS1_30default_config_static_selectorELNS0_4arch9wavefront6targetE1EEEvT1_,comdat
.Lfunc_end843:
	.size	_ZN7rocprim17ROCPRIM_400000_NS6detail17trampoline_kernelINS0_14default_configENS1_20scan_config_selectorIiEEZZNS1_9scan_implILNS1_25lookback_scan_determinismE0ELb1ELb1ES3_N6thrust23THRUST_200600_302600_NS6detail15normal_iteratorINS9_10device_ptrIiEEEESE_iNS9_4plusIvEEiEEDaPvRmT3_T4_T5_mT6_P12ihipStream_tbENKUlT_T0_E_clISt17integral_constantIbLb1EEST_IbLb0EEEEDaSP_SQ_EUlSP_E_NS1_11comp_targetILNS1_3genE3ELNS1_11target_archE908ELNS1_3gpuE7ELNS1_3repE0EEENS1_30default_config_static_selectorELNS0_4arch9wavefront6targetE1EEEvT1_, .Lfunc_end843-_ZN7rocprim17ROCPRIM_400000_NS6detail17trampoline_kernelINS0_14default_configENS1_20scan_config_selectorIiEEZZNS1_9scan_implILNS1_25lookback_scan_determinismE0ELb1ELb1ES3_N6thrust23THRUST_200600_302600_NS6detail15normal_iteratorINS9_10device_ptrIiEEEESE_iNS9_4plusIvEEiEEDaPvRmT3_T4_T5_mT6_P12ihipStream_tbENKUlT_T0_E_clISt17integral_constantIbLb1EEST_IbLb0EEEEDaSP_SQ_EUlSP_E_NS1_11comp_targetILNS1_3genE3ELNS1_11target_archE908ELNS1_3gpuE7ELNS1_3repE0EEENS1_30default_config_static_selectorELNS0_4arch9wavefront6targetE1EEEvT1_
                                        ; -- End function
	.section	.AMDGPU.csdata,"",@progbits
; Kernel info:
; codeLenInByte = 0
; NumSgprs: 4
; NumVgprs: 0
; NumAgprs: 0
; TotalNumVgprs: 0
; ScratchSize: 0
; MemoryBound: 0
; FloatMode: 240
; IeeeMode: 1
; LDSByteSize: 0 bytes/workgroup (compile time only)
; SGPRBlocks: 0
; VGPRBlocks: 0
; NumSGPRsForWavesPerEU: 4
; NumVGPRsForWavesPerEU: 1
; AccumOffset: 4
; Occupancy: 8
; WaveLimiterHint : 0
; COMPUTE_PGM_RSRC2:SCRATCH_EN: 0
; COMPUTE_PGM_RSRC2:USER_SGPR: 6
; COMPUTE_PGM_RSRC2:TRAP_HANDLER: 0
; COMPUTE_PGM_RSRC2:TGID_X_EN: 1
; COMPUTE_PGM_RSRC2:TGID_Y_EN: 0
; COMPUTE_PGM_RSRC2:TGID_Z_EN: 0
; COMPUTE_PGM_RSRC2:TIDIG_COMP_CNT: 0
; COMPUTE_PGM_RSRC3_GFX90A:ACCUM_OFFSET: 0
; COMPUTE_PGM_RSRC3_GFX90A:TG_SPLIT: 0
	.section	.text._ZN7rocprim17ROCPRIM_400000_NS6detail17trampoline_kernelINS0_14default_configENS1_20scan_config_selectorIiEEZZNS1_9scan_implILNS1_25lookback_scan_determinismE0ELb1ELb1ES3_N6thrust23THRUST_200600_302600_NS6detail15normal_iteratorINS9_10device_ptrIiEEEESE_iNS9_4plusIvEEiEEDaPvRmT3_T4_T5_mT6_P12ihipStream_tbENKUlT_T0_E_clISt17integral_constantIbLb1EEST_IbLb0EEEEDaSP_SQ_EUlSP_E_NS1_11comp_targetILNS1_3genE2ELNS1_11target_archE906ELNS1_3gpuE6ELNS1_3repE0EEENS1_30default_config_static_selectorELNS0_4arch9wavefront6targetE1EEEvT1_,"axG",@progbits,_ZN7rocprim17ROCPRIM_400000_NS6detail17trampoline_kernelINS0_14default_configENS1_20scan_config_selectorIiEEZZNS1_9scan_implILNS1_25lookback_scan_determinismE0ELb1ELb1ES3_N6thrust23THRUST_200600_302600_NS6detail15normal_iteratorINS9_10device_ptrIiEEEESE_iNS9_4plusIvEEiEEDaPvRmT3_T4_T5_mT6_P12ihipStream_tbENKUlT_T0_E_clISt17integral_constantIbLb1EEST_IbLb0EEEEDaSP_SQ_EUlSP_E_NS1_11comp_targetILNS1_3genE2ELNS1_11target_archE906ELNS1_3gpuE6ELNS1_3repE0EEENS1_30default_config_static_selectorELNS0_4arch9wavefront6targetE1EEEvT1_,comdat
	.protected	_ZN7rocprim17ROCPRIM_400000_NS6detail17trampoline_kernelINS0_14default_configENS1_20scan_config_selectorIiEEZZNS1_9scan_implILNS1_25lookback_scan_determinismE0ELb1ELb1ES3_N6thrust23THRUST_200600_302600_NS6detail15normal_iteratorINS9_10device_ptrIiEEEESE_iNS9_4plusIvEEiEEDaPvRmT3_T4_T5_mT6_P12ihipStream_tbENKUlT_T0_E_clISt17integral_constantIbLb1EEST_IbLb0EEEEDaSP_SQ_EUlSP_E_NS1_11comp_targetILNS1_3genE2ELNS1_11target_archE906ELNS1_3gpuE6ELNS1_3repE0EEENS1_30default_config_static_selectorELNS0_4arch9wavefront6targetE1EEEvT1_ ; -- Begin function _ZN7rocprim17ROCPRIM_400000_NS6detail17trampoline_kernelINS0_14default_configENS1_20scan_config_selectorIiEEZZNS1_9scan_implILNS1_25lookback_scan_determinismE0ELb1ELb1ES3_N6thrust23THRUST_200600_302600_NS6detail15normal_iteratorINS9_10device_ptrIiEEEESE_iNS9_4plusIvEEiEEDaPvRmT3_T4_T5_mT6_P12ihipStream_tbENKUlT_T0_E_clISt17integral_constantIbLb1EEST_IbLb0EEEEDaSP_SQ_EUlSP_E_NS1_11comp_targetILNS1_3genE2ELNS1_11target_archE906ELNS1_3gpuE6ELNS1_3repE0EEENS1_30default_config_static_selectorELNS0_4arch9wavefront6targetE1EEEvT1_
	.globl	_ZN7rocprim17ROCPRIM_400000_NS6detail17trampoline_kernelINS0_14default_configENS1_20scan_config_selectorIiEEZZNS1_9scan_implILNS1_25lookback_scan_determinismE0ELb1ELb1ES3_N6thrust23THRUST_200600_302600_NS6detail15normal_iteratorINS9_10device_ptrIiEEEESE_iNS9_4plusIvEEiEEDaPvRmT3_T4_T5_mT6_P12ihipStream_tbENKUlT_T0_E_clISt17integral_constantIbLb1EEST_IbLb0EEEEDaSP_SQ_EUlSP_E_NS1_11comp_targetILNS1_3genE2ELNS1_11target_archE906ELNS1_3gpuE6ELNS1_3repE0EEENS1_30default_config_static_selectorELNS0_4arch9wavefront6targetE1EEEvT1_
	.p2align	8
	.type	_ZN7rocprim17ROCPRIM_400000_NS6detail17trampoline_kernelINS0_14default_configENS1_20scan_config_selectorIiEEZZNS1_9scan_implILNS1_25lookback_scan_determinismE0ELb1ELb1ES3_N6thrust23THRUST_200600_302600_NS6detail15normal_iteratorINS9_10device_ptrIiEEEESE_iNS9_4plusIvEEiEEDaPvRmT3_T4_T5_mT6_P12ihipStream_tbENKUlT_T0_E_clISt17integral_constantIbLb1EEST_IbLb0EEEEDaSP_SQ_EUlSP_E_NS1_11comp_targetILNS1_3genE2ELNS1_11target_archE906ELNS1_3gpuE6ELNS1_3repE0EEENS1_30default_config_static_selectorELNS0_4arch9wavefront6targetE1EEEvT1_,@function
_ZN7rocprim17ROCPRIM_400000_NS6detail17trampoline_kernelINS0_14default_configENS1_20scan_config_selectorIiEEZZNS1_9scan_implILNS1_25lookback_scan_determinismE0ELb1ELb1ES3_N6thrust23THRUST_200600_302600_NS6detail15normal_iteratorINS9_10device_ptrIiEEEESE_iNS9_4plusIvEEiEEDaPvRmT3_T4_T5_mT6_P12ihipStream_tbENKUlT_T0_E_clISt17integral_constantIbLb1EEST_IbLb0EEEEDaSP_SQ_EUlSP_E_NS1_11comp_targetILNS1_3genE2ELNS1_11target_archE906ELNS1_3gpuE6ELNS1_3repE0EEENS1_30default_config_static_selectorELNS0_4arch9wavefront6targetE1EEEvT1_: ; @_ZN7rocprim17ROCPRIM_400000_NS6detail17trampoline_kernelINS0_14default_configENS1_20scan_config_selectorIiEEZZNS1_9scan_implILNS1_25lookback_scan_determinismE0ELb1ELb1ES3_N6thrust23THRUST_200600_302600_NS6detail15normal_iteratorINS9_10device_ptrIiEEEESE_iNS9_4plusIvEEiEEDaPvRmT3_T4_T5_mT6_P12ihipStream_tbENKUlT_T0_E_clISt17integral_constantIbLb1EEST_IbLb0EEEEDaSP_SQ_EUlSP_E_NS1_11comp_targetILNS1_3genE2ELNS1_11target_archE906ELNS1_3gpuE6ELNS1_3repE0EEENS1_30default_config_static_selectorELNS0_4arch9wavefront6targetE1EEEvT1_
; %bb.0:
	.section	.rodata,"a",@progbits
	.p2align	6, 0x0
	.amdhsa_kernel _ZN7rocprim17ROCPRIM_400000_NS6detail17trampoline_kernelINS0_14default_configENS1_20scan_config_selectorIiEEZZNS1_9scan_implILNS1_25lookback_scan_determinismE0ELb1ELb1ES3_N6thrust23THRUST_200600_302600_NS6detail15normal_iteratorINS9_10device_ptrIiEEEESE_iNS9_4plusIvEEiEEDaPvRmT3_T4_T5_mT6_P12ihipStream_tbENKUlT_T0_E_clISt17integral_constantIbLb1EEST_IbLb0EEEEDaSP_SQ_EUlSP_E_NS1_11comp_targetILNS1_3genE2ELNS1_11target_archE906ELNS1_3gpuE6ELNS1_3repE0EEENS1_30default_config_static_selectorELNS0_4arch9wavefront6targetE1EEEvT1_
		.amdhsa_group_segment_fixed_size 0
		.amdhsa_private_segment_fixed_size 0
		.amdhsa_kernarg_size 96
		.amdhsa_user_sgpr_count 6
		.amdhsa_user_sgpr_private_segment_buffer 1
		.amdhsa_user_sgpr_dispatch_ptr 0
		.amdhsa_user_sgpr_queue_ptr 0
		.amdhsa_user_sgpr_kernarg_segment_ptr 1
		.amdhsa_user_sgpr_dispatch_id 0
		.amdhsa_user_sgpr_flat_scratch_init 0
		.amdhsa_user_sgpr_kernarg_preload_length 0
		.amdhsa_user_sgpr_kernarg_preload_offset 0
		.amdhsa_user_sgpr_private_segment_size 0
		.amdhsa_uses_dynamic_stack 0
		.amdhsa_system_sgpr_private_segment_wavefront_offset 0
		.amdhsa_system_sgpr_workgroup_id_x 1
		.amdhsa_system_sgpr_workgroup_id_y 0
		.amdhsa_system_sgpr_workgroup_id_z 0
		.amdhsa_system_sgpr_workgroup_info 0
		.amdhsa_system_vgpr_workitem_id 0
		.amdhsa_next_free_vgpr 1
		.amdhsa_next_free_sgpr 0
		.amdhsa_accum_offset 4
		.amdhsa_reserve_vcc 0
		.amdhsa_reserve_flat_scratch 0
		.amdhsa_float_round_mode_32 0
		.amdhsa_float_round_mode_16_64 0
		.amdhsa_float_denorm_mode_32 3
		.amdhsa_float_denorm_mode_16_64 3
		.amdhsa_dx10_clamp 1
		.amdhsa_ieee_mode 1
		.amdhsa_fp16_overflow 0
		.amdhsa_tg_split 0
		.amdhsa_exception_fp_ieee_invalid_op 0
		.amdhsa_exception_fp_denorm_src 0
		.amdhsa_exception_fp_ieee_div_zero 0
		.amdhsa_exception_fp_ieee_overflow 0
		.amdhsa_exception_fp_ieee_underflow 0
		.amdhsa_exception_fp_ieee_inexact 0
		.amdhsa_exception_int_div_zero 0
	.end_amdhsa_kernel
	.section	.text._ZN7rocprim17ROCPRIM_400000_NS6detail17trampoline_kernelINS0_14default_configENS1_20scan_config_selectorIiEEZZNS1_9scan_implILNS1_25lookback_scan_determinismE0ELb1ELb1ES3_N6thrust23THRUST_200600_302600_NS6detail15normal_iteratorINS9_10device_ptrIiEEEESE_iNS9_4plusIvEEiEEDaPvRmT3_T4_T5_mT6_P12ihipStream_tbENKUlT_T0_E_clISt17integral_constantIbLb1EEST_IbLb0EEEEDaSP_SQ_EUlSP_E_NS1_11comp_targetILNS1_3genE2ELNS1_11target_archE906ELNS1_3gpuE6ELNS1_3repE0EEENS1_30default_config_static_selectorELNS0_4arch9wavefront6targetE1EEEvT1_,"axG",@progbits,_ZN7rocprim17ROCPRIM_400000_NS6detail17trampoline_kernelINS0_14default_configENS1_20scan_config_selectorIiEEZZNS1_9scan_implILNS1_25lookback_scan_determinismE0ELb1ELb1ES3_N6thrust23THRUST_200600_302600_NS6detail15normal_iteratorINS9_10device_ptrIiEEEESE_iNS9_4plusIvEEiEEDaPvRmT3_T4_T5_mT6_P12ihipStream_tbENKUlT_T0_E_clISt17integral_constantIbLb1EEST_IbLb0EEEEDaSP_SQ_EUlSP_E_NS1_11comp_targetILNS1_3genE2ELNS1_11target_archE906ELNS1_3gpuE6ELNS1_3repE0EEENS1_30default_config_static_selectorELNS0_4arch9wavefront6targetE1EEEvT1_,comdat
.Lfunc_end844:
	.size	_ZN7rocprim17ROCPRIM_400000_NS6detail17trampoline_kernelINS0_14default_configENS1_20scan_config_selectorIiEEZZNS1_9scan_implILNS1_25lookback_scan_determinismE0ELb1ELb1ES3_N6thrust23THRUST_200600_302600_NS6detail15normal_iteratorINS9_10device_ptrIiEEEESE_iNS9_4plusIvEEiEEDaPvRmT3_T4_T5_mT6_P12ihipStream_tbENKUlT_T0_E_clISt17integral_constantIbLb1EEST_IbLb0EEEEDaSP_SQ_EUlSP_E_NS1_11comp_targetILNS1_3genE2ELNS1_11target_archE906ELNS1_3gpuE6ELNS1_3repE0EEENS1_30default_config_static_selectorELNS0_4arch9wavefront6targetE1EEEvT1_, .Lfunc_end844-_ZN7rocprim17ROCPRIM_400000_NS6detail17trampoline_kernelINS0_14default_configENS1_20scan_config_selectorIiEEZZNS1_9scan_implILNS1_25lookback_scan_determinismE0ELb1ELb1ES3_N6thrust23THRUST_200600_302600_NS6detail15normal_iteratorINS9_10device_ptrIiEEEESE_iNS9_4plusIvEEiEEDaPvRmT3_T4_T5_mT6_P12ihipStream_tbENKUlT_T0_E_clISt17integral_constantIbLb1EEST_IbLb0EEEEDaSP_SQ_EUlSP_E_NS1_11comp_targetILNS1_3genE2ELNS1_11target_archE906ELNS1_3gpuE6ELNS1_3repE0EEENS1_30default_config_static_selectorELNS0_4arch9wavefront6targetE1EEEvT1_
                                        ; -- End function
	.section	.AMDGPU.csdata,"",@progbits
; Kernel info:
; codeLenInByte = 0
; NumSgprs: 4
; NumVgprs: 0
; NumAgprs: 0
; TotalNumVgprs: 0
; ScratchSize: 0
; MemoryBound: 0
; FloatMode: 240
; IeeeMode: 1
; LDSByteSize: 0 bytes/workgroup (compile time only)
; SGPRBlocks: 0
; VGPRBlocks: 0
; NumSGPRsForWavesPerEU: 4
; NumVGPRsForWavesPerEU: 1
; AccumOffset: 4
; Occupancy: 8
; WaveLimiterHint : 0
; COMPUTE_PGM_RSRC2:SCRATCH_EN: 0
; COMPUTE_PGM_RSRC2:USER_SGPR: 6
; COMPUTE_PGM_RSRC2:TRAP_HANDLER: 0
; COMPUTE_PGM_RSRC2:TGID_X_EN: 1
; COMPUTE_PGM_RSRC2:TGID_Y_EN: 0
; COMPUTE_PGM_RSRC2:TGID_Z_EN: 0
; COMPUTE_PGM_RSRC2:TIDIG_COMP_CNT: 0
; COMPUTE_PGM_RSRC3_GFX90A:ACCUM_OFFSET: 0
; COMPUTE_PGM_RSRC3_GFX90A:TG_SPLIT: 0
	.section	.text._ZN7rocprim17ROCPRIM_400000_NS6detail17trampoline_kernelINS0_14default_configENS1_20scan_config_selectorIiEEZZNS1_9scan_implILNS1_25lookback_scan_determinismE0ELb1ELb1ES3_N6thrust23THRUST_200600_302600_NS6detail15normal_iteratorINS9_10device_ptrIiEEEESE_iNS9_4plusIvEEiEEDaPvRmT3_T4_T5_mT6_P12ihipStream_tbENKUlT_T0_E_clISt17integral_constantIbLb1EEST_IbLb0EEEEDaSP_SQ_EUlSP_E_NS1_11comp_targetILNS1_3genE10ELNS1_11target_archE1201ELNS1_3gpuE5ELNS1_3repE0EEENS1_30default_config_static_selectorELNS0_4arch9wavefront6targetE1EEEvT1_,"axG",@progbits,_ZN7rocprim17ROCPRIM_400000_NS6detail17trampoline_kernelINS0_14default_configENS1_20scan_config_selectorIiEEZZNS1_9scan_implILNS1_25lookback_scan_determinismE0ELb1ELb1ES3_N6thrust23THRUST_200600_302600_NS6detail15normal_iteratorINS9_10device_ptrIiEEEESE_iNS9_4plusIvEEiEEDaPvRmT3_T4_T5_mT6_P12ihipStream_tbENKUlT_T0_E_clISt17integral_constantIbLb1EEST_IbLb0EEEEDaSP_SQ_EUlSP_E_NS1_11comp_targetILNS1_3genE10ELNS1_11target_archE1201ELNS1_3gpuE5ELNS1_3repE0EEENS1_30default_config_static_selectorELNS0_4arch9wavefront6targetE1EEEvT1_,comdat
	.protected	_ZN7rocprim17ROCPRIM_400000_NS6detail17trampoline_kernelINS0_14default_configENS1_20scan_config_selectorIiEEZZNS1_9scan_implILNS1_25lookback_scan_determinismE0ELb1ELb1ES3_N6thrust23THRUST_200600_302600_NS6detail15normal_iteratorINS9_10device_ptrIiEEEESE_iNS9_4plusIvEEiEEDaPvRmT3_T4_T5_mT6_P12ihipStream_tbENKUlT_T0_E_clISt17integral_constantIbLb1EEST_IbLb0EEEEDaSP_SQ_EUlSP_E_NS1_11comp_targetILNS1_3genE10ELNS1_11target_archE1201ELNS1_3gpuE5ELNS1_3repE0EEENS1_30default_config_static_selectorELNS0_4arch9wavefront6targetE1EEEvT1_ ; -- Begin function _ZN7rocprim17ROCPRIM_400000_NS6detail17trampoline_kernelINS0_14default_configENS1_20scan_config_selectorIiEEZZNS1_9scan_implILNS1_25lookback_scan_determinismE0ELb1ELb1ES3_N6thrust23THRUST_200600_302600_NS6detail15normal_iteratorINS9_10device_ptrIiEEEESE_iNS9_4plusIvEEiEEDaPvRmT3_T4_T5_mT6_P12ihipStream_tbENKUlT_T0_E_clISt17integral_constantIbLb1EEST_IbLb0EEEEDaSP_SQ_EUlSP_E_NS1_11comp_targetILNS1_3genE10ELNS1_11target_archE1201ELNS1_3gpuE5ELNS1_3repE0EEENS1_30default_config_static_selectorELNS0_4arch9wavefront6targetE1EEEvT1_
	.globl	_ZN7rocprim17ROCPRIM_400000_NS6detail17trampoline_kernelINS0_14default_configENS1_20scan_config_selectorIiEEZZNS1_9scan_implILNS1_25lookback_scan_determinismE0ELb1ELb1ES3_N6thrust23THRUST_200600_302600_NS6detail15normal_iteratorINS9_10device_ptrIiEEEESE_iNS9_4plusIvEEiEEDaPvRmT3_T4_T5_mT6_P12ihipStream_tbENKUlT_T0_E_clISt17integral_constantIbLb1EEST_IbLb0EEEEDaSP_SQ_EUlSP_E_NS1_11comp_targetILNS1_3genE10ELNS1_11target_archE1201ELNS1_3gpuE5ELNS1_3repE0EEENS1_30default_config_static_selectorELNS0_4arch9wavefront6targetE1EEEvT1_
	.p2align	8
	.type	_ZN7rocprim17ROCPRIM_400000_NS6detail17trampoline_kernelINS0_14default_configENS1_20scan_config_selectorIiEEZZNS1_9scan_implILNS1_25lookback_scan_determinismE0ELb1ELb1ES3_N6thrust23THRUST_200600_302600_NS6detail15normal_iteratorINS9_10device_ptrIiEEEESE_iNS9_4plusIvEEiEEDaPvRmT3_T4_T5_mT6_P12ihipStream_tbENKUlT_T0_E_clISt17integral_constantIbLb1EEST_IbLb0EEEEDaSP_SQ_EUlSP_E_NS1_11comp_targetILNS1_3genE10ELNS1_11target_archE1201ELNS1_3gpuE5ELNS1_3repE0EEENS1_30default_config_static_selectorELNS0_4arch9wavefront6targetE1EEEvT1_,@function
_ZN7rocprim17ROCPRIM_400000_NS6detail17trampoline_kernelINS0_14default_configENS1_20scan_config_selectorIiEEZZNS1_9scan_implILNS1_25lookback_scan_determinismE0ELb1ELb1ES3_N6thrust23THRUST_200600_302600_NS6detail15normal_iteratorINS9_10device_ptrIiEEEESE_iNS9_4plusIvEEiEEDaPvRmT3_T4_T5_mT6_P12ihipStream_tbENKUlT_T0_E_clISt17integral_constantIbLb1EEST_IbLb0EEEEDaSP_SQ_EUlSP_E_NS1_11comp_targetILNS1_3genE10ELNS1_11target_archE1201ELNS1_3gpuE5ELNS1_3repE0EEENS1_30default_config_static_selectorELNS0_4arch9wavefront6targetE1EEEvT1_: ; @_ZN7rocprim17ROCPRIM_400000_NS6detail17trampoline_kernelINS0_14default_configENS1_20scan_config_selectorIiEEZZNS1_9scan_implILNS1_25lookback_scan_determinismE0ELb1ELb1ES3_N6thrust23THRUST_200600_302600_NS6detail15normal_iteratorINS9_10device_ptrIiEEEESE_iNS9_4plusIvEEiEEDaPvRmT3_T4_T5_mT6_P12ihipStream_tbENKUlT_T0_E_clISt17integral_constantIbLb1EEST_IbLb0EEEEDaSP_SQ_EUlSP_E_NS1_11comp_targetILNS1_3genE10ELNS1_11target_archE1201ELNS1_3gpuE5ELNS1_3repE0EEENS1_30default_config_static_selectorELNS0_4arch9wavefront6targetE1EEEvT1_
; %bb.0:
	.section	.rodata,"a",@progbits
	.p2align	6, 0x0
	.amdhsa_kernel _ZN7rocprim17ROCPRIM_400000_NS6detail17trampoline_kernelINS0_14default_configENS1_20scan_config_selectorIiEEZZNS1_9scan_implILNS1_25lookback_scan_determinismE0ELb1ELb1ES3_N6thrust23THRUST_200600_302600_NS6detail15normal_iteratorINS9_10device_ptrIiEEEESE_iNS9_4plusIvEEiEEDaPvRmT3_T4_T5_mT6_P12ihipStream_tbENKUlT_T0_E_clISt17integral_constantIbLb1EEST_IbLb0EEEEDaSP_SQ_EUlSP_E_NS1_11comp_targetILNS1_3genE10ELNS1_11target_archE1201ELNS1_3gpuE5ELNS1_3repE0EEENS1_30default_config_static_selectorELNS0_4arch9wavefront6targetE1EEEvT1_
		.amdhsa_group_segment_fixed_size 0
		.amdhsa_private_segment_fixed_size 0
		.amdhsa_kernarg_size 96
		.amdhsa_user_sgpr_count 6
		.amdhsa_user_sgpr_private_segment_buffer 1
		.amdhsa_user_sgpr_dispatch_ptr 0
		.amdhsa_user_sgpr_queue_ptr 0
		.amdhsa_user_sgpr_kernarg_segment_ptr 1
		.amdhsa_user_sgpr_dispatch_id 0
		.amdhsa_user_sgpr_flat_scratch_init 0
		.amdhsa_user_sgpr_kernarg_preload_length 0
		.amdhsa_user_sgpr_kernarg_preload_offset 0
		.amdhsa_user_sgpr_private_segment_size 0
		.amdhsa_uses_dynamic_stack 0
		.amdhsa_system_sgpr_private_segment_wavefront_offset 0
		.amdhsa_system_sgpr_workgroup_id_x 1
		.amdhsa_system_sgpr_workgroup_id_y 0
		.amdhsa_system_sgpr_workgroup_id_z 0
		.amdhsa_system_sgpr_workgroup_info 0
		.amdhsa_system_vgpr_workitem_id 0
		.amdhsa_next_free_vgpr 1
		.amdhsa_next_free_sgpr 0
		.amdhsa_accum_offset 4
		.amdhsa_reserve_vcc 0
		.amdhsa_reserve_flat_scratch 0
		.amdhsa_float_round_mode_32 0
		.amdhsa_float_round_mode_16_64 0
		.amdhsa_float_denorm_mode_32 3
		.amdhsa_float_denorm_mode_16_64 3
		.amdhsa_dx10_clamp 1
		.amdhsa_ieee_mode 1
		.amdhsa_fp16_overflow 0
		.amdhsa_tg_split 0
		.amdhsa_exception_fp_ieee_invalid_op 0
		.amdhsa_exception_fp_denorm_src 0
		.amdhsa_exception_fp_ieee_div_zero 0
		.amdhsa_exception_fp_ieee_overflow 0
		.amdhsa_exception_fp_ieee_underflow 0
		.amdhsa_exception_fp_ieee_inexact 0
		.amdhsa_exception_int_div_zero 0
	.end_amdhsa_kernel
	.section	.text._ZN7rocprim17ROCPRIM_400000_NS6detail17trampoline_kernelINS0_14default_configENS1_20scan_config_selectorIiEEZZNS1_9scan_implILNS1_25lookback_scan_determinismE0ELb1ELb1ES3_N6thrust23THRUST_200600_302600_NS6detail15normal_iteratorINS9_10device_ptrIiEEEESE_iNS9_4plusIvEEiEEDaPvRmT3_T4_T5_mT6_P12ihipStream_tbENKUlT_T0_E_clISt17integral_constantIbLb1EEST_IbLb0EEEEDaSP_SQ_EUlSP_E_NS1_11comp_targetILNS1_3genE10ELNS1_11target_archE1201ELNS1_3gpuE5ELNS1_3repE0EEENS1_30default_config_static_selectorELNS0_4arch9wavefront6targetE1EEEvT1_,"axG",@progbits,_ZN7rocprim17ROCPRIM_400000_NS6detail17trampoline_kernelINS0_14default_configENS1_20scan_config_selectorIiEEZZNS1_9scan_implILNS1_25lookback_scan_determinismE0ELb1ELb1ES3_N6thrust23THRUST_200600_302600_NS6detail15normal_iteratorINS9_10device_ptrIiEEEESE_iNS9_4plusIvEEiEEDaPvRmT3_T4_T5_mT6_P12ihipStream_tbENKUlT_T0_E_clISt17integral_constantIbLb1EEST_IbLb0EEEEDaSP_SQ_EUlSP_E_NS1_11comp_targetILNS1_3genE10ELNS1_11target_archE1201ELNS1_3gpuE5ELNS1_3repE0EEENS1_30default_config_static_selectorELNS0_4arch9wavefront6targetE1EEEvT1_,comdat
.Lfunc_end845:
	.size	_ZN7rocprim17ROCPRIM_400000_NS6detail17trampoline_kernelINS0_14default_configENS1_20scan_config_selectorIiEEZZNS1_9scan_implILNS1_25lookback_scan_determinismE0ELb1ELb1ES3_N6thrust23THRUST_200600_302600_NS6detail15normal_iteratorINS9_10device_ptrIiEEEESE_iNS9_4plusIvEEiEEDaPvRmT3_T4_T5_mT6_P12ihipStream_tbENKUlT_T0_E_clISt17integral_constantIbLb1EEST_IbLb0EEEEDaSP_SQ_EUlSP_E_NS1_11comp_targetILNS1_3genE10ELNS1_11target_archE1201ELNS1_3gpuE5ELNS1_3repE0EEENS1_30default_config_static_selectorELNS0_4arch9wavefront6targetE1EEEvT1_, .Lfunc_end845-_ZN7rocprim17ROCPRIM_400000_NS6detail17trampoline_kernelINS0_14default_configENS1_20scan_config_selectorIiEEZZNS1_9scan_implILNS1_25lookback_scan_determinismE0ELb1ELb1ES3_N6thrust23THRUST_200600_302600_NS6detail15normal_iteratorINS9_10device_ptrIiEEEESE_iNS9_4plusIvEEiEEDaPvRmT3_T4_T5_mT6_P12ihipStream_tbENKUlT_T0_E_clISt17integral_constantIbLb1EEST_IbLb0EEEEDaSP_SQ_EUlSP_E_NS1_11comp_targetILNS1_3genE10ELNS1_11target_archE1201ELNS1_3gpuE5ELNS1_3repE0EEENS1_30default_config_static_selectorELNS0_4arch9wavefront6targetE1EEEvT1_
                                        ; -- End function
	.section	.AMDGPU.csdata,"",@progbits
; Kernel info:
; codeLenInByte = 0
; NumSgprs: 4
; NumVgprs: 0
; NumAgprs: 0
; TotalNumVgprs: 0
; ScratchSize: 0
; MemoryBound: 0
; FloatMode: 240
; IeeeMode: 1
; LDSByteSize: 0 bytes/workgroup (compile time only)
; SGPRBlocks: 0
; VGPRBlocks: 0
; NumSGPRsForWavesPerEU: 4
; NumVGPRsForWavesPerEU: 1
; AccumOffset: 4
; Occupancy: 8
; WaveLimiterHint : 0
; COMPUTE_PGM_RSRC2:SCRATCH_EN: 0
; COMPUTE_PGM_RSRC2:USER_SGPR: 6
; COMPUTE_PGM_RSRC2:TRAP_HANDLER: 0
; COMPUTE_PGM_RSRC2:TGID_X_EN: 1
; COMPUTE_PGM_RSRC2:TGID_Y_EN: 0
; COMPUTE_PGM_RSRC2:TGID_Z_EN: 0
; COMPUTE_PGM_RSRC2:TIDIG_COMP_CNT: 0
; COMPUTE_PGM_RSRC3_GFX90A:ACCUM_OFFSET: 0
; COMPUTE_PGM_RSRC3_GFX90A:TG_SPLIT: 0
	.section	.text._ZN7rocprim17ROCPRIM_400000_NS6detail17trampoline_kernelINS0_14default_configENS1_20scan_config_selectorIiEEZZNS1_9scan_implILNS1_25lookback_scan_determinismE0ELb1ELb1ES3_N6thrust23THRUST_200600_302600_NS6detail15normal_iteratorINS9_10device_ptrIiEEEESE_iNS9_4plusIvEEiEEDaPvRmT3_T4_T5_mT6_P12ihipStream_tbENKUlT_T0_E_clISt17integral_constantIbLb1EEST_IbLb0EEEEDaSP_SQ_EUlSP_E_NS1_11comp_targetILNS1_3genE10ELNS1_11target_archE1200ELNS1_3gpuE4ELNS1_3repE0EEENS1_30default_config_static_selectorELNS0_4arch9wavefront6targetE1EEEvT1_,"axG",@progbits,_ZN7rocprim17ROCPRIM_400000_NS6detail17trampoline_kernelINS0_14default_configENS1_20scan_config_selectorIiEEZZNS1_9scan_implILNS1_25lookback_scan_determinismE0ELb1ELb1ES3_N6thrust23THRUST_200600_302600_NS6detail15normal_iteratorINS9_10device_ptrIiEEEESE_iNS9_4plusIvEEiEEDaPvRmT3_T4_T5_mT6_P12ihipStream_tbENKUlT_T0_E_clISt17integral_constantIbLb1EEST_IbLb0EEEEDaSP_SQ_EUlSP_E_NS1_11comp_targetILNS1_3genE10ELNS1_11target_archE1200ELNS1_3gpuE4ELNS1_3repE0EEENS1_30default_config_static_selectorELNS0_4arch9wavefront6targetE1EEEvT1_,comdat
	.protected	_ZN7rocprim17ROCPRIM_400000_NS6detail17trampoline_kernelINS0_14default_configENS1_20scan_config_selectorIiEEZZNS1_9scan_implILNS1_25lookback_scan_determinismE0ELb1ELb1ES3_N6thrust23THRUST_200600_302600_NS6detail15normal_iteratorINS9_10device_ptrIiEEEESE_iNS9_4plusIvEEiEEDaPvRmT3_T4_T5_mT6_P12ihipStream_tbENKUlT_T0_E_clISt17integral_constantIbLb1EEST_IbLb0EEEEDaSP_SQ_EUlSP_E_NS1_11comp_targetILNS1_3genE10ELNS1_11target_archE1200ELNS1_3gpuE4ELNS1_3repE0EEENS1_30default_config_static_selectorELNS0_4arch9wavefront6targetE1EEEvT1_ ; -- Begin function _ZN7rocprim17ROCPRIM_400000_NS6detail17trampoline_kernelINS0_14default_configENS1_20scan_config_selectorIiEEZZNS1_9scan_implILNS1_25lookback_scan_determinismE0ELb1ELb1ES3_N6thrust23THRUST_200600_302600_NS6detail15normal_iteratorINS9_10device_ptrIiEEEESE_iNS9_4plusIvEEiEEDaPvRmT3_T4_T5_mT6_P12ihipStream_tbENKUlT_T0_E_clISt17integral_constantIbLb1EEST_IbLb0EEEEDaSP_SQ_EUlSP_E_NS1_11comp_targetILNS1_3genE10ELNS1_11target_archE1200ELNS1_3gpuE4ELNS1_3repE0EEENS1_30default_config_static_selectorELNS0_4arch9wavefront6targetE1EEEvT1_
	.globl	_ZN7rocprim17ROCPRIM_400000_NS6detail17trampoline_kernelINS0_14default_configENS1_20scan_config_selectorIiEEZZNS1_9scan_implILNS1_25lookback_scan_determinismE0ELb1ELb1ES3_N6thrust23THRUST_200600_302600_NS6detail15normal_iteratorINS9_10device_ptrIiEEEESE_iNS9_4plusIvEEiEEDaPvRmT3_T4_T5_mT6_P12ihipStream_tbENKUlT_T0_E_clISt17integral_constantIbLb1EEST_IbLb0EEEEDaSP_SQ_EUlSP_E_NS1_11comp_targetILNS1_3genE10ELNS1_11target_archE1200ELNS1_3gpuE4ELNS1_3repE0EEENS1_30default_config_static_selectorELNS0_4arch9wavefront6targetE1EEEvT1_
	.p2align	8
	.type	_ZN7rocprim17ROCPRIM_400000_NS6detail17trampoline_kernelINS0_14default_configENS1_20scan_config_selectorIiEEZZNS1_9scan_implILNS1_25lookback_scan_determinismE0ELb1ELb1ES3_N6thrust23THRUST_200600_302600_NS6detail15normal_iteratorINS9_10device_ptrIiEEEESE_iNS9_4plusIvEEiEEDaPvRmT3_T4_T5_mT6_P12ihipStream_tbENKUlT_T0_E_clISt17integral_constantIbLb1EEST_IbLb0EEEEDaSP_SQ_EUlSP_E_NS1_11comp_targetILNS1_3genE10ELNS1_11target_archE1200ELNS1_3gpuE4ELNS1_3repE0EEENS1_30default_config_static_selectorELNS0_4arch9wavefront6targetE1EEEvT1_,@function
_ZN7rocprim17ROCPRIM_400000_NS6detail17trampoline_kernelINS0_14default_configENS1_20scan_config_selectorIiEEZZNS1_9scan_implILNS1_25lookback_scan_determinismE0ELb1ELb1ES3_N6thrust23THRUST_200600_302600_NS6detail15normal_iteratorINS9_10device_ptrIiEEEESE_iNS9_4plusIvEEiEEDaPvRmT3_T4_T5_mT6_P12ihipStream_tbENKUlT_T0_E_clISt17integral_constantIbLb1EEST_IbLb0EEEEDaSP_SQ_EUlSP_E_NS1_11comp_targetILNS1_3genE10ELNS1_11target_archE1200ELNS1_3gpuE4ELNS1_3repE0EEENS1_30default_config_static_selectorELNS0_4arch9wavefront6targetE1EEEvT1_: ; @_ZN7rocprim17ROCPRIM_400000_NS6detail17trampoline_kernelINS0_14default_configENS1_20scan_config_selectorIiEEZZNS1_9scan_implILNS1_25lookback_scan_determinismE0ELb1ELb1ES3_N6thrust23THRUST_200600_302600_NS6detail15normal_iteratorINS9_10device_ptrIiEEEESE_iNS9_4plusIvEEiEEDaPvRmT3_T4_T5_mT6_P12ihipStream_tbENKUlT_T0_E_clISt17integral_constantIbLb1EEST_IbLb0EEEEDaSP_SQ_EUlSP_E_NS1_11comp_targetILNS1_3genE10ELNS1_11target_archE1200ELNS1_3gpuE4ELNS1_3repE0EEENS1_30default_config_static_selectorELNS0_4arch9wavefront6targetE1EEEvT1_
; %bb.0:
	.section	.rodata,"a",@progbits
	.p2align	6, 0x0
	.amdhsa_kernel _ZN7rocprim17ROCPRIM_400000_NS6detail17trampoline_kernelINS0_14default_configENS1_20scan_config_selectorIiEEZZNS1_9scan_implILNS1_25lookback_scan_determinismE0ELb1ELb1ES3_N6thrust23THRUST_200600_302600_NS6detail15normal_iteratorINS9_10device_ptrIiEEEESE_iNS9_4plusIvEEiEEDaPvRmT3_T4_T5_mT6_P12ihipStream_tbENKUlT_T0_E_clISt17integral_constantIbLb1EEST_IbLb0EEEEDaSP_SQ_EUlSP_E_NS1_11comp_targetILNS1_3genE10ELNS1_11target_archE1200ELNS1_3gpuE4ELNS1_3repE0EEENS1_30default_config_static_selectorELNS0_4arch9wavefront6targetE1EEEvT1_
		.amdhsa_group_segment_fixed_size 0
		.amdhsa_private_segment_fixed_size 0
		.amdhsa_kernarg_size 96
		.amdhsa_user_sgpr_count 6
		.amdhsa_user_sgpr_private_segment_buffer 1
		.amdhsa_user_sgpr_dispatch_ptr 0
		.amdhsa_user_sgpr_queue_ptr 0
		.amdhsa_user_sgpr_kernarg_segment_ptr 1
		.amdhsa_user_sgpr_dispatch_id 0
		.amdhsa_user_sgpr_flat_scratch_init 0
		.amdhsa_user_sgpr_kernarg_preload_length 0
		.amdhsa_user_sgpr_kernarg_preload_offset 0
		.amdhsa_user_sgpr_private_segment_size 0
		.amdhsa_uses_dynamic_stack 0
		.amdhsa_system_sgpr_private_segment_wavefront_offset 0
		.amdhsa_system_sgpr_workgroup_id_x 1
		.amdhsa_system_sgpr_workgroup_id_y 0
		.amdhsa_system_sgpr_workgroup_id_z 0
		.amdhsa_system_sgpr_workgroup_info 0
		.amdhsa_system_vgpr_workitem_id 0
		.amdhsa_next_free_vgpr 1
		.amdhsa_next_free_sgpr 0
		.amdhsa_accum_offset 4
		.amdhsa_reserve_vcc 0
		.amdhsa_reserve_flat_scratch 0
		.amdhsa_float_round_mode_32 0
		.amdhsa_float_round_mode_16_64 0
		.amdhsa_float_denorm_mode_32 3
		.amdhsa_float_denorm_mode_16_64 3
		.amdhsa_dx10_clamp 1
		.amdhsa_ieee_mode 1
		.amdhsa_fp16_overflow 0
		.amdhsa_tg_split 0
		.amdhsa_exception_fp_ieee_invalid_op 0
		.amdhsa_exception_fp_denorm_src 0
		.amdhsa_exception_fp_ieee_div_zero 0
		.amdhsa_exception_fp_ieee_overflow 0
		.amdhsa_exception_fp_ieee_underflow 0
		.amdhsa_exception_fp_ieee_inexact 0
		.amdhsa_exception_int_div_zero 0
	.end_amdhsa_kernel
	.section	.text._ZN7rocprim17ROCPRIM_400000_NS6detail17trampoline_kernelINS0_14default_configENS1_20scan_config_selectorIiEEZZNS1_9scan_implILNS1_25lookback_scan_determinismE0ELb1ELb1ES3_N6thrust23THRUST_200600_302600_NS6detail15normal_iteratorINS9_10device_ptrIiEEEESE_iNS9_4plusIvEEiEEDaPvRmT3_T4_T5_mT6_P12ihipStream_tbENKUlT_T0_E_clISt17integral_constantIbLb1EEST_IbLb0EEEEDaSP_SQ_EUlSP_E_NS1_11comp_targetILNS1_3genE10ELNS1_11target_archE1200ELNS1_3gpuE4ELNS1_3repE0EEENS1_30default_config_static_selectorELNS0_4arch9wavefront6targetE1EEEvT1_,"axG",@progbits,_ZN7rocprim17ROCPRIM_400000_NS6detail17trampoline_kernelINS0_14default_configENS1_20scan_config_selectorIiEEZZNS1_9scan_implILNS1_25lookback_scan_determinismE0ELb1ELb1ES3_N6thrust23THRUST_200600_302600_NS6detail15normal_iteratorINS9_10device_ptrIiEEEESE_iNS9_4plusIvEEiEEDaPvRmT3_T4_T5_mT6_P12ihipStream_tbENKUlT_T0_E_clISt17integral_constantIbLb1EEST_IbLb0EEEEDaSP_SQ_EUlSP_E_NS1_11comp_targetILNS1_3genE10ELNS1_11target_archE1200ELNS1_3gpuE4ELNS1_3repE0EEENS1_30default_config_static_selectorELNS0_4arch9wavefront6targetE1EEEvT1_,comdat
.Lfunc_end846:
	.size	_ZN7rocprim17ROCPRIM_400000_NS6detail17trampoline_kernelINS0_14default_configENS1_20scan_config_selectorIiEEZZNS1_9scan_implILNS1_25lookback_scan_determinismE0ELb1ELb1ES3_N6thrust23THRUST_200600_302600_NS6detail15normal_iteratorINS9_10device_ptrIiEEEESE_iNS9_4plusIvEEiEEDaPvRmT3_T4_T5_mT6_P12ihipStream_tbENKUlT_T0_E_clISt17integral_constantIbLb1EEST_IbLb0EEEEDaSP_SQ_EUlSP_E_NS1_11comp_targetILNS1_3genE10ELNS1_11target_archE1200ELNS1_3gpuE4ELNS1_3repE0EEENS1_30default_config_static_selectorELNS0_4arch9wavefront6targetE1EEEvT1_, .Lfunc_end846-_ZN7rocprim17ROCPRIM_400000_NS6detail17trampoline_kernelINS0_14default_configENS1_20scan_config_selectorIiEEZZNS1_9scan_implILNS1_25lookback_scan_determinismE0ELb1ELb1ES3_N6thrust23THRUST_200600_302600_NS6detail15normal_iteratorINS9_10device_ptrIiEEEESE_iNS9_4plusIvEEiEEDaPvRmT3_T4_T5_mT6_P12ihipStream_tbENKUlT_T0_E_clISt17integral_constantIbLb1EEST_IbLb0EEEEDaSP_SQ_EUlSP_E_NS1_11comp_targetILNS1_3genE10ELNS1_11target_archE1200ELNS1_3gpuE4ELNS1_3repE0EEENS1_30default_config_static_selectorELNS0_4arch9wavefront6targetE1EEEvT1_
                                        ; -- End function
	.section	.AMDGPU.csdata,"",@progbits
; Kernel info:
; codeLenInByte = 0
; NumSgprs: 4
; NumVgprs: 0
; NumAgprs: 0
; TotalNumVgprs: 0
; ScratchSize: 0
; MemoryBound: 0
; FloatMode: 240
; IeeeMode: 1
; LDSByteSize: 0 bytes/workgroup (compile time only)
; SGPRBlocks: 0
; VGPRBlocks: 0
; NumSGPRsForWavesPerEU: 4
; NumVGPRsForWavesPerEU: 1
; AccumOffset: 4
; Occupancy: 8
; WaveLimiterHint : 0
; COMPUTE_PGM_RSRC2:SCRATCH_EN: 0
; COMPUTE_PGM_RSRC2:USER_SGPR: 6
; COMPUTE_PGM_RSRC2:TRAP_HANDLER: 0
; COMPUTE_PGM_RSRC2:TGID_X_EN: 1
; COMPUTE_PGM_RSRC2:TGID_Y_EN: 0
; COMPUTE_PGM_RSRC2:TGID_Z_EN: 0
; COMPUTE_PGM_RSRC2:TIDIG_COMP_CNT: 0
; COMPUTE_PGM_RSRC3_GFX90A:ACCUM_OFFSET: 0
; COMPUTE_PGM_RSRC3_GFX90A:TG_SPLIT: 0
	.section	.text._ZN7rocprim17ROCPRIM_400000_NS6detail17trampoline_kernelINS0_14default_configENS1_20scan_config_selectorIiEEZZNS1_9scan_implILNS1_25lookback_scan_determinismE0ELb1ELb1ES3_N6thrust23THRUST_200600_302600_NS6detail15normal_iteratorINS9_10device_ptrIiEEEESE_iNS9_4plusIvEEiEEDaPvRmT3_T4_T5_mT6_P12ihipStream_tbENKUlT_T0_E_clISt17integral_constantIbLb1EEST_IbLb0EEEEDaSP_SQ_EUlSP_E_NS1_11comp_targetILNS1_3genE9ELNS1_11target_archE1100ELNS1_3gpuE3ELNS1_3repE0EEENS1_30default_config_static_selectorELNS0_4arch9wavefront6targetE1EEEvT1_,"axG",@progbits,_ZN7rocprim17ROCPRIM_400000_NS6detail17trampoline_kernelINS0_14default_configENS1_20scan_config_selectorIiEEZZNS1_9scan_implILNS1_25lookback_scan_determinismE0ELb1ELb1ES3_N6thrust23THRUST_200600_302600_NS6detail15normal_iteratorINS9_10device_ptrIiEEEESE_iNS9_4plusIvEEiEEDaPvRmT3_T4_T5_mT6_P12ihipStream_tbENKUlT_T0_E_clISt17integral_constantIbLb1EEST_IbLb0EEEEDaSP_SQ_EUlSP_E_NS1_11comp_targetILNS1_3genE9ELNS1_11target_archE1100ELNS1_3gpuE3ELNS1_3repE0EEENS1_30default_config_static_selectorELNS0_4arch9wavefront6targetE1EEEvT1_,comdat
	.protected	_ZN7rocprim17ROCPRIM_400000_NS6detail17trampoline_kernelINS0_14default_configENS1_20scan_config_selectorIiEEZZNS1_9scan_implILNS1_25lookback_scan_determinismE0ELb1ELb1ES3_N6thrust23THRUST_200600_302600_NS6detail15normal_iteratorINS9_10device_ptrIiEEEESE_iNS9_4plusIvEEiEEDaPvRmT3_T4_T5_mT6_P12ihipStream_tbENKUlT_T0_E_clISt17integral_constantIbLb1EEST_IbLb0EEEEDaSP_SQ_EUlSP_E_NS1_11comp_targetILNS1_3genE9ELNS1_11target_archE1100ELNS1_3gpuE3ELNS1_3repE0EEENS1_30default_config_static_selectorELNS0_4arch9wavefront6targetE1EEEvT1_ ; -- Begin function _ZN7rocprim17ROCPRIM_400000_NS6detail17trampoline_kernelINS0_14default_configENS1_20scan_config_selectorIiEEZZNS1_9scan_implILNS1_25lookback_scan_determinismE0ELb1ELb1ES3_N6thrust23THRUST_200600_302600_NS6detail15normal_iteratorINS9_10device_ptrIiEEEESE_iNS9_4plusIvEEiEEDaPvRmT3_T4_T5_mT6_P12ihipStream_tbENKUlT_T0_E_clISt17integral_constantIbLb1EEST_IbLb0EEEEDaSP_SQ_EUlSP_E_NS1_11comp_targetILNS1_3genE9ELNS1_11target_archE1100ELNS1_3gpuE3ELNS1_3repE0EEENS1_30default_config_static_selectorELNS0_4arch9wavefront6targetE1EEEvT1_
	.globl	_ZN7rocprim17ROCPRIM_400000_NS6detail17trampoline_kernelINS0_14default_configENS1_20scan_config_selectorIiEEZZNS1_9scan_implILNS1_25lookback_scan_determinismE0ELb1ELb1ES3_N6thrust23THRUST_200600_302600_NS6detail15normal_iteratorINS9_10device_ptrIiEEEESE_iNS9_4plusIvEEiEEDaPvRmT3_T4_T5_mT6_P12ihipStream_tbENKUlT_T0_E_clISt17integral_constantIbLb1EEST_IbLb0EEEEDaSP_SQ_EUlSP_E_NS1_11comp_targetILNS1_3genE9ELNS1_11target_archE1100ELNS1_3gpuE3ELNS1_3repE0EEENS1_30default_config_static_selectorELNS0_4arch9wavefront6targetE1EEEvT1_
	.p2align	8
	.type	_ZN7rocprim17ROCPRIM_400000_NS6detail17trampoline_kernelINS0_14default_configENS1_20scan_config_selectorIiEEZZNS1_9scan_implILNS1_25lookback_scan_determinismE0ELb1ELb1ES3_N6thrust23THRUST_200600_302600_NS6detail15normal_iteratorINS9_10device_ptrIiEEEESE_iNS9_4plusIvEEiEEDaPvRmT3_T4_T5_mT6_P12ihipStream_tbENKUlT_T0_E_clISt17integral_constantIbLb1EEST_IbLb0EEEEDaSP_SQ_EUlSP_E_NS1_11comp_targetILNS1_3genE9ELNS1_11target_archE1100ELNS1_3gpuE3ELNS1_3repE0EEENS1_30default_config_static_selectorELNS0_4arch9wavefront6targetE1EEEvT1_,@function
_ZN7rocprim17ROCPRIM_400000_NS6detail17trampoline_kernelINS0_14default_configENS1_20scan_config_selectorIiEEZZNS1_9scan_implILNS1_25lookback_scan_determinismE0ELb1ELb1ES3_N6thrust23THRUST_200600_302600_NS6detail15normal_iteratorINS9_10device_ptrIiEEEESE_iNS9_4plusIvEEiEEDaPvRmT3_T4_T5_mT6_P12ihipStream_tbENKUlT_T0_E_clISt17integral_constantIbLb1EEST_IbLb0EEEEDaSP_SQ_EUlSP_E_NS1_11comp_targetILNS1_3genE9ELNS1_11target_archE1100ELNS1_3gpuE3ELNS1_3repE0EEENS1_30default_config_static_selectorELNS0_4arch9wavefront6targetE1EEEvT1_: ; @_ZN7rocprim17ROCPRIM_400000_NS6detail17trampoline_kernelINS0_14default_configENS1_20scan_config_selectorIiEEZZNS1_9scan_implILNS1_25lookback_scan_determinismE0ELb1ELb1ES3_N6thrust23THRUST_200600_302600_NS6detail15normal_iteratorINS9_10device_ptrIiEEEESE_iNS9_4plusIvEEiEEDaPvRmT3_T4_T5_mT6_P12ihipStream_tbENKUlT_T0_E_clISt17integral_constantIbLb1EEST_IbLb0EEEEDaSP_SQ_EUlSP_E_NS1_11comp_targetILNS1_3genE9ELNS1_11target_archE1100ELNS1_3gpuE3ELNS1_3repE0EEENS1_30default_config_static_selectorELNS0_4arch9wavefront6targetE1EEEvT1_
; %bb.0:
	.section	.rodata,"a",@progbits
	.p2align	6, 0x0
	.amdhsa_kernel _ZN7rocprim17ROCPRIM_400000_NS6detail17trampoline_kernelINS0_14default_configENS1_20scan_config_selectorIiEEZZNS1_9scan_implILNS1_25lookback_scan_determinismE0ELb1ELb1ES3_N6thrust23THRUST_200600_302600_NS6detail15normal_iteratorINS9_10device_ptrIiEEEESE_iNS9_4plusIvEEiEEDaPvRmT3_T4_T5_mT6_P12ihipStream_tbENKUlT_T0_E_clISt17integral_constantIbLb1EEST_IbLb0EEEEDaSP_SQ_EUlSP_E_NS1_11comp_targetILNS1_3genE9ELNS1_11target_archE1100ELNS1_3gpuE3ELNS1_3repE0EEENS1_30default_config_static_selectorELNS0_4arch9wavefront6targetE1EEEvT1_
		.amdhsa_group_segment_fixed_size 0
		.amdhsa_private_segment_fixed_size 0
		.amdhsa_kernarg_size 96
		.amdhsa_user_sgpr_count 6
		.amdhsa_user_sgpr_private_segment_buffer 1
		.amdhsa_user_sgpr_dispatch_ptr 0
		.amdhsa_user_sgpr_queue_ptr 0
		.amdhsa_user_sgpr_kernarg_segment_ptr 1
		.amdhsa_user_sgpr_dispatch_id 0
		.amdhsa_user_sgpr_flat_scratch_init 0
		.amdhsa_user_sgpr_kernarg_preload_length 0
		.amdhsa_user_sgpr_kernarg_preload_offset 0
		.amdhsa_user_sgpr_private_segment_size 0
		.amdhsa_uses_dynamic_stack 0
		.amdhsa_system_sgpr_private_segment_wavefront_offset 0
		.amdhsa_system_sgpr_workgroup_id_x 1
		.amdhsa_system_sgpr_workgroup_id_y 0
		.amdhsa_system_sgpr_workgroup_id_z 0
		.amdhsa_system_sgpr_workgroup_info 0
		.amdhsa_system_vgpr_workitem_id 0
		.amdhsa_next_free_vgpr 1
		.amdhsa_next_free_sgpr 0
		.amdhsa_accum_offset 4
		.amdhsa_reserve_vcc 0
		.amdhsa_reserve_flat_scratch 0
		.amdhsa_float_round_mode_32 0
		.amdhsa_float_round_mode_16_64 0
		.amdhsa_float_denorm_mode_32 3
		.amdhsa_float_denorm_mode_16_64 3
		.amdhsa_dx10_clamp 1
		.amdhsa_ieee_mode 1
		.amdhsa_fp16_overflow 0
		.amdhsa_tg_split 0
		.amdhsa_exception_fp_ieee_invalid_op 0
		.amdhsa_exception_fp_denorm_src 0
		.amdhsa_exception_fp_ieee_div_zero 0
		.amdhsa_exception_fp_ieee_overflow 0
		.amdhsa_exception_fp_ieee_underflow 0
		.amdhsa_exception_fp_ieee_inexact 0
		.amdhsa_exception_int_div_zero 0
	.end_amdhsa_kernel
	.section	.text._ZN7rocprim17ROCPRIM_400000_NS6detail17trampoline_kernelINS0_14default_configENS1_20scan_config_selectorIiEEZZNS1_9scan_implILNS1_25lookback_scan_determinismE0ELb1ELb1ES3_N6thrust23THRUST_200600_302600_NS6detail15normal_iteratorINS9_10device_ptrIiEEEESE_iNS9_4plusIvEEiEEDaPvRmT3_T4_T5_mT6_P12ihipStream_tbENKUlT_T0_E_clISt17integral_constantIbLb1EEST_IbLb0EEEEDaSP_SQ_EUlSP_E_NS1_11comp_targetILNS1_3genE9ELNS1_11target_archE1100ELNS1_3gpuE3ELNS1_3repE0EEENS1_30default_config_static_selectorELNS0_4arch9wavefront6targetE1EEEvT1_,"axG",@progbits,_ZN7rocprim17ROCPRIM_400000_NS6detail17trampoline_kernelINS0_14default_configENS1_20scan_config_selectorIiEEZZNS1_9scan_implILNS1_25lookback_scan_determinismE0ELb1ELb1ES3_N6thrust23THRUST_200600_302600_NS6detail15normal_iteratorINS9_10device_ptrIiEEEESE_iNS9_4plusIvEEiEEDaPvRmT3_T4_T5_mT6_P12ihipStream_tbENKUlT_T0_E_clISt17integral_constantIbLb1EEST_IbLb0EEEEDaSP_SQ_EUlSP_E_NS1_11comp_targetILNS1_3genE9ELNS1_11target_archE1100ELNS1_3gpuE3ELNS1_3repE0EEENS1_30default_config_static_selectorELNS0_4arch9wavefront6targetE1EEEvT1_,comdat
.Lfunc_end847:
	.size	_ZN7rocprim17ROCPRIM_400000_NS6detail17trampoline_kernelINS0_14default_configENS1_20scan_config_selectorIiEEZZNS1_9scan_implILNS1_25lookback_scan_determinismE0ELb1ELb1ES3_N6thrust23THRUST_200600_302600_NS6detail15normal_iteratorINS9_10device_ptrIiEEEESE_iNS9_4plusIvEEiEEDaPvRmT3_T4_T5_mT6_P12ihipStream_tbENKUlT_T0_E_clISt17integral_constantIbLb1EEST_IbLb0EEEEDaSP_SQ_EUlSP_E_NS1_11comp_targetILNS1_3genE9ELNS1_11target_archE1100ELNS1_3gpuE3ELNS1_3repE0EEENS1_30default_config_static_selectorELNS0_4arch9wavefront6targetE1EEEvT1_, .Lfunc_end847-_ZN7rocprim17ROCPRIM_400000_NS6detail17trampoline_kernelINS0_14default_configENS1_20scan_config_selectorIiEEZZNS1_9scan_implILNS1_25lookback_scan_determinismE0ELb1ELb1ES3_N6thrust23THRUST_200600_302600_NS6detail15normal_iteratorINS9_10device_ptrIiEEEESE_iNS9_4plusIvEEiEEDaPvRmT3_T4_T5_mT6_P12ihipStream_tbENKUlT_T0_E_clISt17integral_constantIbLb1EEST_IbLb0EEEEDaSP_SQ_EUlSP_E_NS1_11comp_targetILNS1_3genE9ELNS1_11target_archE1100ELNS1_3gpuE3ELNS1_3repE0EEENS1_30default_config_static_selectorELNS0_4arch9wavefront6targetE1EEEvT1_
                                        ; -- End function
	.section	.AMDGPU.csdata,"",@progbits
; Kernel info:
; codeLenInByte = 0
; NumSgprs: 4
; NumVgprs: 0
; NumAgprs: 0
; TotalNumVgprs: 0
; ScratchSize: 0
; MemoryBound: 0
; FloatMode: 240
; IeeeMode: 1
; LDSByteSize: 0 bytes/workgroup (compile time only)
; SGPRBlocks: 0
; VGPRBlocks: 0
; NumSGPRsForWavesPerEU: 4
; NumVGPRsForWavesPerEU: 1
; AccumOffset: 4
; Occupancy: 8
; WaveLimiterHint : 0
; COMPUTE_PGM_RSRC2:SCRATCH_EN: 0
; COMPUTE_PGM_RSRC2:USER_SGPR: 6
; COMPUTE_PGM_RSRC2:TRAP_HANDLER: 0
; COMPUTE_PGM_RSRC2:TGID_X_EN: 1
; COMPUTE_PGM_RSRC2:TGID_Y_EN: 0
; COMPUTE_PGM_RSRC2:TGID_Z_EN: 0
; COMPUTE_PGM_RSRC2:TIDIG_COMP_CNT: 0
; COMPUTE_PGM_RSRC3_GFX90A:ACCUM_OFFSET: 0
; COMPUTE_PGM_RSRC3_GFX90A:TG_SPLIT: 0
	.section	.text._ZN7rocprim17ROCPRIM_400000_NS6detail17trampoline_kernelINS0_14default_configENS1_20scan_config_selectorIiEEZZNS1_9scan_implILNS1_25lookback_scan_determinismE0ELb1ELb1ES3_N6thrust23THRUST_200600_302600_NS6detail15normal_iteratorINS9_10device_ptrIiEEEESE_iNS9_4plusIvEEiEEDaPvRmT3_T4_T5_mT6_P12ihipStream_tbENKUlT_T0_E_clISt17integral_constantIbLb1EEST_IbLb0EEEEDaSP_SQ_EUlSP_E_NS1_11comp_targetILNS1_3genE8ELNS1_11target_archE1030ELNS1_3gpuE2ELNS1_3repE0EEENS1_30default_config_static_selectorELNS0_4arch9wavefront6targetE1EEEvT1_,"axG",@progbits,_ZN7rocprim17ROCPRIM_400000_NS6detail17trampoline_kernelINS0_14default_configENS1_20scan_config_selectorIiEEZZNS1_9scan_implILNS1_25lookback_scan_determinismE0ELb1ELb1ES3_N6thrust23THRUST_200600_302600_NS6detail15normal_iteratorINS9_10device_ptrIiEEEESE_iNS9_4plusIvEEiEEDaPvRmT3_T4_T5_mT6_P12ihipStream_tbENKUlT_T0_E_clISt17integral_constantIbLb1EEST_IbLb0EEEEDaSP_SQ_EUlSP_E_NS1_11comp_targetILNS1_3genE8ELNS1_11target_archE1030ELNS1_3gpuE2ELNS1_3repE0EEENS1_30default_config_static_selectorELNS0_4arch9wavefront6targetE1EEEvT1_,comdat
	.protected	_ZN7rocprim17ROCPRIM_400000_NS6detail17trampoline_kernelINS0_14default_configENS1_20scan_config_selectorIiEEZZNS1_9scan_implILNS1_25lookback_scan_determinismE0ELb1ELb1ES3_N6thrust23THRUST_200600_302600_NS6detail15normal_iteratorINS9_10device_ptrIiEEEESE_iNS9_4plusIvEEiEEDaPvRmT3_T4_T5_mT6_P12ihipStream_tbENKUlT_T0_E_clISt17integral_constantIbLb1EEST_IbLb0EEEEDaSP_SQ_EUlSP_E_NS1_11comp_targetILNS1_3genE8ELNS1_11target_archE1030ELNS1_3gpuE2ELNS1_3repE0EEENS1_30default_config_static_selectorELNS0_4arch9wavefront6targetE1EEEvT1_ ; -- Begin function _ZN7rocprim17ROCPRIM_400000_NS6detail17trampoline_kernelINS0_14default_configENS1_20scan_config_selectorIiEEZZNS1_9scan_implILNS1_25lookback_scan_determinismE0ELb1ELb1ES3_N6thrust23THRUST_200600_302600_NS6detail15normal_iteratorINS9_10device_ptrIiEEEESE_iNS9_4plusIvEEiEEDaPvRmT3_T4_T5_mT6_P12ihipStream_tbENKUlT_T0_E_clISt17integral_constantIbLb1EEST_IbLb0EEEEDaSP_SQ_EUlSP_E_NS1_11comp_targetILNS1_3genE8ELNS1_11target_archE1030ELNS1_3gpuE2ELNS1_3repE0EEENS1_30default_config_static_selectorELNS0_4arch9wavefront6targetE1EEEvT1_
	.globl	_ZN7rocprim17ROCPRIM_400000_NS6detail17trampoline_kernelINS0_14default_configENS1_20scan_config_selectorIiEEZZNS1_9scan_implILNS1_25lookback_scan_determinismE0ELb1ELb1ES3_N6thrust23THRUST_200600_302600_NS6detail15normal_iteratorINS9_10device_ptrIiEEEESE_iNS9_4plusIvEEiEEDaPvRmT3_T4_T5_mT6_P12ihipStream_tbENKUlT_T0_E_clISt17integral_constantIbLb1EEST_IbLb0EEEEDaSP_SQ_EUlSP_E_NS1_11comp_targetILNS1_3genE8ELNS1_11target_archE1030ELNS1_3gpuE2ELNS1_3repE0EEENS1_30default_config_static_selectorELNS0_4arch9wavefront6targetE1EEEvT1_
	.p2align	8
	.type	_ZN7rocprim17ROCPRIM_400000_NS6detail17trampoline_kernelINS0_14default_configENS1_20scan_config_selectorIiEEZZNS1_9scan_implILNS1_25lookback_scan_determinismE0ELb1ELb1ES3_N6thrust23THRUST_200600_302600_NS6detail15normal_iteratorINS9_10device_ptrIiEEEESE_iNS9_4plusIvEEiEEDaPvRmT3_T4_T5_mT6_P12ihipStream_tbENKUlT_T0_E_clISt17integral_constantIbLb1EEST_IbLb0EEEEDaSP_SQ_EUlSP_E_NS1_11comp_targetILNS1_3genE8ELNS1_11target_archE1030ELNS1_3gpuE2ELNS1_3repE0EEENS1_30default_config_static_selectorELNS0_4arch9wavefront6targetE1EEEvT1_,@function
_ZN7rocprim17ROCPRIM_400000_NS6detail17trampoline_kernelINS0_14default_configENS1_20scan_config_selectorIiEEZZNS1_9scan_implILNS1_25lookback_scan_determinismE0ELb1ELb1ES3_N6thrust23THRUST_200600_302600_NS6detail15normal_iteratorINS9_10device_ptrIiEEEESE_iNS9_4plusIvEEiEEDaPvRmT3_T4_T5_mT6_P12ihipStream_tbENKUlT_T0_E_clISt17integral_constantIbLb1EEST_IbLb0EEEEDaSP_SQ_EUlSP_E_NS1_11comp_targetILNS1_3genE8ELNS1_11target_archE1030ELNS1_3gpuE2ELNS1_3repE0EEENS1_30default_config_static_selectorELNS0_4arch9wavefront6targetE1EEEvT1_: ; @_ZN7rocprim17ROCPRIM_400000_NS6detail17trampoline_kernelINS0_14default_configENS1_20scan_config_selectorIiEEZZNS1_9scan_implILNS1_25lookback_scan_determinismE0ELb1ELb1ES3_N6thrust23THRUST_200600_302600_NS6detail15normal_iteratorINS9_10device_ptrIiEEEESE_iNS9_4plusIvEEiEEDaPvRmT3_T4_T5_mT6_P12ihipStream_tbENKUlT_T0_E_clISt17integral_constantIbLb1EEST_IbLb0EEEEDaSP_SQ_EUlSP_E_NS1_11comp_targetILNS1_3genE8ELNS1_11target_archE1030ELNS1_3gpuE2ELNS1_3repE0EEENS1_30default_config_static_selectorELNS0_4arch9wavefront6targetE1EEEvT1_
; %bb.0:
	.section	.rodata,"a",@progbits
	.p2align	6, 0x0
	.amdhsa_kernel _ZN7rocprim17ROCPRIM_400000_NS6detail17trampoline_kernelINS0_14default_configENS1_20scan_config_selectorIiEEZZNS1_9scan_implILNS1_25lookback_scan_determinismE0ELb1ELb1ES3_N6thrust23THRUST_200600_302600_NS6detail15normal_iteratorINS9_10device_ptrIiEEEESE_iNS9_4plusIvEEiEEDaPvRmT3_T4_T5_mT6_P12ihipStream_tbENKUlT_T0_E_clISt17integral_constantIbLb1EEST_IbLb0EEEEDaSP_SQ_EUlSP_E_NS1_11comp_targetILNS1_3genE8ELNS1_11target_archE1030ELNS1_3gpuE2ELNS1_3repE0EEENS1_30default_config_static_selectorELNS0_4arch9wavefront6targetE1EEEvT1_
		.amdhsa_group_segment_fixed_size 0
		.amdhsa_private_segment_fixed_size 0
		.amdhsa_kernarg_size 96
		.amdhsa_user_sgpr_count 6
		.amdhsa_user_sgpr_private_segment_buffer 1
		.amdhsa_user_sgpr_dispatch_ptr 0
		.amdhsa_user_sgpr_queue_ptr 0
		.amdhsa_user_sgpr_kernarg_segment_ptr 1
		.amdhsa_user_sgpr_dispatch_id 0
		.amdhsa_user_sgpr_flat_scratch_init 0
		.amdhsa_user_sgpr_kernarg_preload_length 0
		.amdhsa_user_sgpr_kernarg_preload_offset 0
		.amdhsa_user_sgpr_private_segment_size 0
		.amdhsa_uses_dynamic_stack 0
		.amdhsa_system_sgpr_private_segment_wavefront_offset 0
		.amdhsa_system_sgpr_workgroup_id_x 1
		.amdhsa_system_sgpr_workgroup_id_y 0
		.amdhsa_system_sgpr_workgroup_id_z 0
		.amdhsa_system_sgpr_workgroup_info 0
		.amdhsa_system_vgpr_workitem_id 0
		.amdhsa_next_free_vgpr 1
		.amdhsa_next_free_sgpr 0
		.amdhsa_accum_offset 4
		.amdhsa_reserve_vcc 0
		.amdhsa_reserve_flat_scratch 0
		.amdhsa_float_round_mode_32 0
		.amdhsa_float_round_mode_16_64 0
		.amdhsa_float_denorm_mode_32 3
		.amdhsa_float_denorm_mode_16_64 3
		.amdhsa_dx10_clamp 1
		.amdhsa_ieee_mode 1
		.amdhsa_fp16_overflow 0
		.amdhsa_tg_split 0
		.amdhsa_exception_fp_ieee_invalid_op 0
		.amdhsa_exception_fp_denorm_src 0
		.amdhsa_exception_fp_ieee_div_zero 0
		.amdhsa_exception_fp_ieee_overflow 0
		.amdhsa_exception_fp_ieee_underflow 0
		.amdhsa_exception_fp_ieee_inexact 0
		.amdhsa_exception_int_div_zero 0
	.end_amdhsa_kernel
	.section	.text._ZN7rocprim17ROCPRIM_400000_NS6detail17trampoline_kernelINS0_14default_configENS1_20scan_config_selectorIiEEZZNS1_9scan_implILNS1_25lookback_scan_determinismE0ELb1ELb1ES3_N6thrust23THRUST_200600_302600_NS6detail15normal_iteratorINS9_10device_ptrIiEEEESE_iNS9_4plusIvEEiEEDaPvRmT3_T4_T5_mT6_P12ihipStream_tbENKUlT_T0_E_clISt17integral_constantIbLb1EEST_IbLb0EEEEDaSP_SQ_EUlSP_E_NS1_11comp_targetILNS1_3genE8ELNS1_11target_archE1030ELNS1_3gpuE2ELNS1_3repE0EEENS1_30default_config_static_selectorELNS0_4arch9wavefront6targetE1EEEvT1_,"axG",@progbits,_ZN7rocprim17ROCPRIM_400000_NS6detail17trampoline_kernelINS0_14default_configENS1_20scan_config_selectorIiEEZZNS1_9scan_implILNS1_25lookback_scan_determinismE0ELb1ELb1ES3_N6thrust23THRUST_200600_302600_NS6detail15normal_iteratorINS9_10device_ptrIiEEEESE_iNS9_4plusIvEEiEEDaPvRmT3_T4_T5_mT6_P12ihipStream_tbENKUlT_T0_E_clISt17integral_constantIbLb1EEST_IbLb0EEEEDaSP_SQ_EUlSP_E_NS1_11comp_targetILNS1_3genE8ELNS1_11target_archE1030ELNS1_3gpuE2ELNS1_3repE0EEENS1_30default_config_static_selectorELNS0_4arch9wavefront6targetE1EEEvT1_,comdat
.Lfunc_end848:
	.size	_ZN7rocprim17ROCPRIM_400000_NS6detail17trampoline_kernelINS0_14default_configENS1_20scan_config_selectorIiEEZZNS1_9scan_implILNS1_25lookback_scan_determinismE0ELb1ELb1ES3_N6thrust23THRUST_200600_302600_NS6detail15normal_iteratorINS9_10device_ptrIiEEEESE_iNS9_4plusIvEEiEEDaPvRmT3_T4_T5_mT6_P12ihipStream_tbENKUlT_T0_E_clISt17integral_constantIbLb1EEST_IbLb0EEEEDaSP_SQ_EUlSP_E_NS1_11comp_targetILNS1_3genE8ELNS1_11target_archE1030ELNS1_3gpuE2ELNS1_3repE0EEENS1_30default_config_static_selectorELNS0_4arch9wavefront6targetE1EEEvT1_, .Lfunc_end848-_ZN7rocprim17ROCPRIM_400000_NS6detail17trampoline_kernelINS0_14default_configENS1_20scan_config_selectorIiEEZZNS1_9scan_implILNS1_25lookback_scan_determinismE0ELb1ELb1ES3_N6thrust23THRUST_200600_302600_NS6detail15normal_iteratorINS9_10device_ptrIiEEEESE_iNS9_4plusIvEEiEEDaPvRmT3_T4_T5_mT6_P12ihipStream_tbENKUlT_T0_E_clISt17integral_constantIbLb1EEST_IbLb0EEEEDaSP_SQ_EUlSP_E_NS1_11comp_targetILNS1_3genE8ELNS1_11target_archE1030ELNS1_3gpuE2ELNS1_3repE0EEENS1_30default_config_static_selectorELNS0_4arch9wavefront6targetE1EEEvT1_
                                        ; -- End function
	.section	.AMDGPU.csdata,"",@progbits
; Kernel info:
; codeLenInByte = 0
; NumSgprs: 4
; NumVgprs: 0
; NumAgprs: 0
; TotalNumVgprs: 0
; ScratchSize: 0
; MemoryBound: 0
; FloatMode: 240
; IeeeMode: 1
; LDSByteSize: 0 bytes/workgroup (compile time only)
; SGPRBlocks: 0
; VGPRBlocks: 0
; NumSGPRsForWavesPerEU: 4
; NumVGPRsForWavesPerEU: 1
; AccumOffset: 4
; Occupancy: 8
; WaveLimiterHint : 0
; COMPUTE_PGM_RSRC2:SCRATCH_EN: 0
; COMPUTE_PGM_RSRC2:USER_SGPR: 6
; COMPUTE_PGM_RSRC2:TRAP_HANDLER: 0
; COMPUTE_PGM_RSRC2:TGID_X_EN: 1
; COMPUTE_PGM_RSRC2:TGID_Y_EN: 0
; COMPUTE_PGM_RSRC2:TGID_Z_EN: 0
; COMPUTE_PGM_RSRC2:TIDIG_COMP_CNT: 0
; COMPUTE_PGM_RSRC3_GFX90A:ACCUM_OFFSET: 0
; COMPUTE_PGM_RSRC3_GFX90A:TG_SPLIT: 0
	.section	.text._ZN7rocprim17ROCPRIM_400000_NS6detail17trampoline_kernelINS0_14default_configENS1_20scan_config_selectorIiEEZZNS1_9scan_implILNS1_25lookback_scan_determinismE0ELb1ELb1ES3_N6thrust23THRUST_200600_302600_NS6detail15normal_iteratorINS9_10device_ptrIiEEEESE_iNS9_4plusIvEEiEEDaPvRmT3_T4_T5_mT6_P12ihipStream_tbENKUlT_T0_E_clISt17integral_constantIbLb1EEST_IbLb0EEEEDaSP_SQ_EUlSP_E0_NS1_11comp_targetILNS1_3genE0ELNS1_11target_archE4294967295ELNS1_3gpuE0ELNS1_3repE0EEENS1_30default_config_static_selectorELNS0_4arch9wavefront6targetE1EEEvT1_,"axG",@progbits,_ZN7rocprim17ROCPRIM_400000_NS6detail17trampoline_kernelINS0_14default_configENS1_20scan_config_selectorIiEEZZNS1_9scan_implILNS1_25lookback_scan_determinismE0ELb1ELb1ES3_N6thrust23THRUST_200600_302600_NS6detail15normal_iteratorINS9_10device_ptrIiEEEESE_iNS9_4plusIvEEiEEDaPvRmT3_T4_T5_mT6_P12ihipStream_tbENKUlT_T0_E_clISt17integral_constantIbLb1EEST_IbLb0EEEEDaSP_SQ_EUlSP_E0_NS1_11comp_targetILNS1_3genE0ELNS1_11target_archE4294967295ELNS1_3gpuE0ELNS1_3repE0EEENS1_30default_config_static_selectorELNS0_4arch9wavefront6targetE1EEEvT1_,comdat
	.protected	_ZN7rocprim17ROCPRIM_400000_NS6detail17trampoline_kernelINS0_14default_configENS1_20scan_config_selectorIiEEZZNS1_9scan_implILNS1_25lookback_scan_determinismE0ELb1ELb1ES3_N6thrust23THRUST_200600_302600_NS6detail15normal_iteratorINS9_10device_ptrIiEEEESE_iNS9_4plusIvEEiEEDaPvRmT3_T4_T5_mT6_P12ihipStream_tbENKUlT_T0_E_clISt17integral_constantIbLb1EEST_IbLb0EEEEDaSP_SQ_EUlSP_E0_NS1_11comp_targetILNS1_3genE0ELNS1_11target_archE4294967295ELNS1_3gpuE0ELNS1_3repE0EEENS1_30default_config_static_selectorELNS0_4arch9wavefront6targetE1EEEvT1_ ; -- Begin function _ZN7rocprim17ROCPRIM_400000_NS6detail17trampoline_kernelINS0_14default_configENS1_20scan_config_selectorIiEEZZNS1_9scan_implILNS1_25lookback_scan_determinismE0ELb1ELb1ES3_N6thrust23THRUST_200600_302600_NS6detail15normal_iteratorINS9_10device_ptrIiEEEESE_iNS9_4plusIvEEiEEDaPvRmT3_T4_T5_mT6_P12ihipStream_tbENKUlT_T0_E_clISt17integral_constantIbLb1EEST_IbLb0EEEEDaSP_SQ_EUlSP_E0_NS1_11comp_targetILNS1_3genE0ELNS1_11target_archE4294967295ELNS1_3gpuE0ELNS1_3repE0EEENS1_30default_config_static_selectorELNS0_4arch9wavefront6targetE1EEEvT1_
	.globl	_ZN7rocprim17ROCPRIM_400000_NS6detail17trampoline_kernelINS0_14default_configENS1_20scan_config_selectorIiEEZZNS1_9scan_implILNS1_25lookback_scan_determinismE0ELb1ELb1ES3_N6thrust23THRUST_200600_302600_NS6detail15normal_iteratorINS9_10device_ptrIiEEEESE_iNS9_4plusIvEEiEEDaPvRmT3_T4_T5_mT6_P12ihipStream_tbENKUlT_T0_E_clISt17integral_constantIbLb1EEST_IbLb0EEEEDaSP_SQ_EUlSP_E0_NS1_11comp_targetILNS1_3genE0ELNS1_11target_archE4294967295ELNS1_3gpuE0ELNS1_3repE0EEENS1_30default_config_static_selectorELNS0_4arch9wavefront6targetE1EEEvT1_
	.p2align	8
	.type	_ZN7rocprim17ROCPRIM_400000_NS6detail17trampoline_kernelINS0_14default_configENS1_20scan_config_selectorIiEEZZNS1_9scan_implILNS1_25lookback_scan_determinismE0ELb1ELb1ES3_N6thrust23THRUST_200600_302600_NS6detail15normal_iteratorINS9_10device_ptrIiEEEESE_iNS9_4plusIvEEiEEDaPvRmT3_T4_T5_mT6_P12ihipStream_tbENKUlT_T0_E_clISt17integral_constantIbLb1EEST_IbLb0EEEEDaSP_SQ_EUlSP_E0_NS1_11comp_targetILNS1_3genE0ELNS1_11target_archE4294967295ELNS1_3gpuE0ELNS1_3repE0EEENS1_30default_config_static_selectorELNS0_4arch9wavefront6targetE1EEEvT1_,@function
_ZN7rocprim17ROCPRIM_400000_NS6detail17trampoline_kernelINS0_14default_configENS1_20scan_config_selectorIiEEZZNS1_9scan_implILNS1_25lookback_scan_determinismE0ELb1ELb1ES3_N6thrust23THRUST_200600_302600_NS6detail15normal_iteratorINS9_10device_ptrIiEEEESE_iNS9_4plusIvEEiEEDaPvRmT3_T4_T5_mT6_P12ihipStream_tbENKUlT_T0_E_clISt17integral_constantIbLb1EEST_IbLb0EEEEDaSP_SQ_EUlSP_E0_NS1_11comp_targetILNS1_3genE0ELNS1_11target_archE4294967295ELNS1_3gpuE0ELNS1_3repE0EEENS1_30default_config_static_selectorELNS0_4arch9wavefront6targetE1EEEvT1_: ; @_ZN7rocprim17ROCPRIM_400000_NS6detail17trampoline_kernelINS0_14default_configENS1_20scan_config_selectorIiEEZZNS1_9scan_implILNS1_25lookback_scan_determinismE0ELb1ELb1ES3_N6thrust23THRUST_200600_302600_NS6detail15normal_iteratorINS9_10device_ptrIiEEEESE_iNS9_4plusIvEEiEEDaPvRmT3_T4_T5_mT6_P12ihipStream_tbENKUlT_T0_E_clISt17integral_constantIbLb1EEST_IbLb0EEEEDaSP_SQ_EUlSP_E0_NS1_11comp_targetILNS1_3genE0ELNS1_11target_archE4294967295ELNS1_3gpuE0ELNS1_3repE0EEENS1_30default_config_static_selectorELNS0_4arch9wavefront6targetE1EEEvT1_
; %bb.0:
	.section	.rodata,"a",@progbits
	.p2align	6, 0x0
	.amdhsa_kernel _ZN7rocprim17ROCPRIM_400000_NS6detail17trampoline_kernelINS0_14default_configENS1_20scan_config_selectorIiEEZZNS1_9scan_implILNS1_25lookback_scan_determinismE0ELb1ELb1ES3_N6thrust23THRUST_200600_302600_NS6detail15normal_iteratorINS9_10device_ptrIiEEEESE_iNS9_4plusIvEEiEEDaPvRmT3_T4_T5_mT6_P12ihipStream_tbENKUlT_T0_E_clISt17integral_constantIbLb1EEST_IbLb0EEEEDaSP_SQ_EUlSP_E0_NS1_11comp_targetILNS1_3genE0ELNS1_11target_archE4294967295ELNS1_3gpuE0ELNS1_3repE0EEENS1_30default_config_static_selectorELNS0_4arch9wavefront6targetE1EEEvT1_
		.amdhsa_group_segment_fixed_size 0
		.amdhsa_private_segment_fixed_size 0
		.amdhsa_kernarg_size 32
		.amdhsa_user_sgpr_count 6
		.amdhsa_user_sgpr_private_segment_buffer 1
		.amdhsa_user_sgpr_dispatch_ptr 0
		.amdhsa_user_sgpr_queue_ptr 0
		.amdhsa_user_sgpr_kernarg_segment_ptr 1
		.amdhsa_user_sgpr_dispatch_id 0
		.amdhsa_user_sgpr_flat_scratch_init 0
		.amdhsa_user_sgpr_kernarg_preload_length 0
		.amdhsa_user_sgpr_kernarg_preload_offset 0
		.amdhsa_user_sgpr_private_segment_size 0
		.amdhsa_uses_dynamic_stack 0
		.amdhsa_system_sgpr_private_segment_wavefront_offset 0
		.amdhsa_system_sgpr_workgroup_id_x 1
		.amdhsa_system_sgpr_workgroup_id_y 0
		.amdhsa_system_sgpr_workgroup_id_z 0
		.amdhsa_system_sgpr_workgroup_info 0
		.amdhsa_system_vgpr_workitem_id 0
		.amdhsa_next_free_vgpr 1
		.amdhsa_next_free_sgpr 0
		.amdhsa_accum_offset 4
		.amdhsa_reserve_vcc 0
		.amdhsa_reserve_flat_scratch 0
		.amdhsa_float_round_mode_32 0
		.amdhsa_float_round_mode_16_64 0
		.amdhsa_float_denorm_mode_32 3
		.amdhsa_float_denorm_mode_16_64 3
		.amdhsa_dx10_clamp 1
		.amdhsa_ieee_mode 1
		.amdhsa_fp16_overflow 0
		.amdhsa_tg_split 0
		.amdhsa_exception_fp_ieee_invalid_op 0
		.amdhsa_exception_fp_denorm_src 0
		.amdhsa_exception_fp_ieee_div_zero 0
		.amdhsa_exception_fp_ieee_overflow 0
		.amdhsa_exception_fp_ieee_underflow 0
		.amdhsa_exception_fp_ieee_inexact 0
		.amdhsa_exception_int_div_zero 0
	.end_amdhsa_kernel
	.section	.text._ZN7rocprim17ROCPRIM_400000_NS6detail17trampoline_kernelINS0_14default_configENS1_20scan_config_selectorIiEEZZNS1_9scan_implILNS1_25lookback_scan_determinismE0ELb1ELb1ES3_N6thrust23THRUST_200600_302600_NS6detail15normal_iteratorINS9_10device_ptrIiEEEESE_iNS9_4plusIvEEiEEDaPvRmT3_T4_T5_mT6_P12ihipStream_tbENKUlT_T0_E_clISt17integral_constantIbLb1EEST_IbLb0EEEEDaSP_SQ_EUlSP_E0_NS1_11comp_targetILNS1_3genE0ELNS1_11target_archE4294967295ELNS1_3gpuE0ELNS1_3repE0EEENS1_30default_config_static_selectorELNS0_4arch9wavefront6targetE1EEEvT1_,"axG",@progbits,_ZN7rocprim17ROCPRIM_400000_NS6detail17trampoline_kernelINS0_14default_configENS1_20scan_config_selectorIiEEZZNS1_9scan_implILNS1_25lookback_scan_determinismE0ELb1ELb1ES3_N6thrust23THRUST_200600_302600_NS6detail15normal_iteratorINS9_10device_ptrIiEEEESE_iNS9_4plusIvEEiEEDaPvRmT3_T4_T5_mT6_P12ihipStream_tbENKUlT_T0_E_clISt17integral_constantIbLb1EEST_IbLb0EEEEDaSP_SQ_EUlSP_E0_NS1_11comp_targetILNS1_3genE0ELNS1_11target_archE4294967295ELNS1_3gpuE0ELNS1_3repE0EEENS1_30default_config_static_selectorELNS0_4arch9wavefront6targetE1EEEvT1_,comdat
.Lfunc_end849:
	.size	_ZN7rocprim17ROCPRIM_400000_NS6detail17trampoline_kernelINS0_14default_configENS1_20scan_config_selectorIiEEZZNS1_9scan_implILNS1_25lookback_scan_determinismE0ELb1ELb1ES3_N6thrust23THRUST_200600_302600_NS6detail15normal_iteratorINS9_10device_ptrIiEEEESE_iNS9_4plusIvEEiEEDaPvRmT3_T4_T5_mT6_P12ihipStream_tbENKUlT_T0_E_clISt17integral_constantIbLb1EEST_IbLb0EEEEDaSP_SQ_EUlSP_E0_NS1_11comp_targetILNS1_3genE0ELNS1_11target_archE4294967295ELNS1_3gpuE0ELNS1_3repE0EEENS1_30default_config_static_selectorELNS0_4arch9wavefront6targetE1EEEvT1_, .Lfunc_end849-_ZN7rocprim17ROCPRIM_400000_NS6detail17trampoline_kernelINS0_14default_configENS1_20scan_config_selectorIiEEZZNS1_9scan_implILNS1_25lookback_scan_determinismE0ELb1ELb1ES3_N6thrust23THRUST_200600_302600_NS6detail15normal_iteratorINS9_10device_ptrIiEEEESE_iNS9_4plusIvEEiEEDaPvRmT3_T4_T5_mT6_P12ihipStream_tbENKUlT_T0_E_clISt17integral_constantIbLb1EEST_IbLb0EEEEDaSP_SQ_EUlSP_E0_NS1_11comp_targetILNS1_3genE0ELNS1_11target_archE4294967295ELNS1_3gpuE0ELNS1_3repE0EEENS1_30default_config_static_selectorELNS0_4arch9wavefront6targetE1EEEvT1_
                                        ; -- End function
	.section	.AMDGPU.csdata,"",@progbits
; Kernel info:
; codeLenInByte = 0
; NumSgprs: 4
; NumVgprs: 0
; NumAgprs: 0
; TotalNumVgprs: 0
; ScratchSize: 0
; MemoryBound: 0
; FloatMode: 240
; IeeeMode: 1
; LDSByteSize: 0 bytes/workgroup (compile time only)
; SGPRBlocks: 0
; VGPRBlocks: 0
; NumSGPRsForWavesPerEU: 4
; NumVGPRsForWavesPerEU: 1
; AccumOffset: 4
; Occupancy: 8
; WaveLimiterHint : 0
; COMPUTE_PGM_RSRC2:SCRATCH_EN: 0
; COMPUTE_PGM_RSRC2:USER_SGPR: 6
; COMPUTE_PGM_RSRC2:TRAP_HANDLER: 0
; COMPUTE_PGM_RSRC2:TGID_X_EN: 1
; COMPUTE_PGM_RSRC2:TGID_Y_EN: 0
; COMPUTE_PGM_RSRC2:TGID_Z_EN: 0
; COMPUTE_PGM_RSRC2:TIDIG_COMP_CNT: 0
; COMPUTE_PGM_RSRC3_GFX90A:ACCUM_OFFSET: 0
; COMPUTE_PGM_RSRC3_GFX90A:TG_SPLIT: 0
	.section	.text._ZN7rocprim17ROCPRIM_400000_NS6detail17trampoline_kernelINS0_14default_configENS1_20scan_config_selectorIiEEZZNS1_9scan_implILNS1_25lookback_scan_determinismE0ELb1ELb1ES3_N6thrust23THRUST_200600_302600_NS6detail15normal_iteratorINS9_10device_ptrIiEEEESE_iNS9_4plusIvEEiEEDaPvRmT3_T4_T5_mT6_P12ihipStream_tbENKUlT_T0_E_clISt17integral_constantIbLb1EEST_IbLb0EEEEDaSP_SQ_EUlSP_E0_NS1_11comp_targetILNS1_3genE5ELNS1_11target_archE942ELNS1_3gpuE9ELNS1_3repE0EEENS1_30default_config_static_selectorELNS0_4arch9wavefront6targetE1EEEvT1_,"axG",@progbits,_ZN7rocprim17ROCPRIM_400000_NS6detail17trampoline_kernelINS0_14default_configENS1_20scan_config_selectorIiEEZZNS1_9scan_implILNS1_25lookback_scan_determinismE0ELb1ELb1ES3_N6thrust23THRUST_200600_302600_NS6detail15normal_iteratorINS9_10device_ptrIiEEEESE_iNS9_4plusIvEEiEEDaPvRmT3_T4_T5_mT6_P12ihipStream_tbENKUlT_T0_E_clISt17integral_constantIbLb1EEST_IbLb0EEEEDaSP_SQ_EUlSP_E0_NS1_11comp_targetILNS1_3genE5ELNS1_11target_archE942ELNS1_3gpuE9ELNS1_3repE0EEENS1_30default_config_static_selectorELNS0_4arch9wavefront6targetE1EEEvT1_,comdat
	.protected	_ZN7rocprim17ROCPRIM_400000_NS6detail17trampoline_kernelINS0_14default_configENS1_20scan_config_selectorIiEEZZNS1_9scan_implILNS1_25lookback_scan_determinismE0ELb1ELb1ES3_N6thrust23THRUST_200600_302600_NS6detail15normal_iteratorINS9_10device_ptrIiEEEESE_iNS9_4plusIvEEiEEDaPvRmT3_T4_T5_mT6_P12ihipStream_tbENKUlT_T0_E_clISt17integral_constantIbLb1EEST_IbLb0EEEEDaSP_SQ_EUlSP_E0_NS1_11comp_targetILNS1_3genE5ELNS1_11target_archE942ELNS1_3gpuE9ELNS1_3repE0EEENS1_30default_config_static_selectorELNS0_4arch9wavefront6targetE1EEEvT1_ ; -- Begin function _ZN7rocprim17ROCPRIM_400000_NS6detail17trampoline_kernelINS0_14default_configENS1_20scan_config_selectorIiEEZZNS1_9scan_implILNS1_25lookback_scan_determinismE0ELb1ELb1ES3_N6thrust23THRUST_200600_302600_NS6detail15normal_iteratorINS9_10device_ptrIiEEEESE_iNS9_4plusIvEEiEEDaPvRmT3_T4_T5_mT6_P12ihipStream_tbENKUlT_T0_E_clISt17integral_constantIbLb1EEST_IbLb0EEEEDaSP_SQ_EUlSP_E0_NS1_11comp_targetILNS1_3genE5ELNS1_11target_archE942ELNS1_3gpuE9ELNS1_3repE0EEENS1_30default_config_static_selectorELNS0_4arch9wavefront6targetE1EEEvT1_
	.globl	_ZN7rocprim17ROCPRIM_400000_NS6detail17trampoline_kernelINS0_14default_configENS1_20scan_config_selectorIiEEZZNS1_9scan_implILNS1_25lookback_scan_determinismE0ELb1ELb1ES3_N6thrust23THRUST_200600_302600_NS6detail15normal_iteratorINS9_10device_ptrIiEEEESE_iNS9_4plusIvEEiEEDaPvRmT3_T4_T5_mT6_P12ihipStream_tbENKUlT_T0_E_clISt17integral_constantIbLb1EEST_IbLb0EEEEDaSP_SQ_EUlSP_E0_NS1_11comp_targetILNS1_3genE5ELNS1_11target_archE942ELNS1_3gpuE9ELNS1_3repE0EEENS1_30default_config_static_selectorELNS0_4arch9wavefront6targetE1EEEvT1_
	.p2align	8
	.type	_ZN7rocprim17ROCPRIM_400000_NS6detail17trampoline_kernelINS0_14default_configENS1_20scan_config_selectorIiEEZZNS1_9scan_implILNS1_25lookback_scan_determinismE0ELb1ELb1ES3_N6thrust23THRUST_200600_302600_NS6detail15normal_iteratorINS9_10device_ptrIiEEEESE_iNS9_4plusIvEEiEEDaPvRmT3_T4_T5_mT6_P12ihipStream_tbENKUlT_T0_E_clISt17integral_constantIbLb1EEST_IbLb0EEEEDaSP_SQ_EUlSP_E0_NS1_11comp_targetILNS1_3genE5ELNS1_11target_archE942ELNS1_3gpuE9ELNS1_3repE0EEENS1_30default_config_static_selectorELNS0_4arch9wavefront6targetE1EEEvT1_,@function
_ZN7rocprim17ROCPRIM_400000_NS6detail17trampoline_kernelINS0_14default_configENS1_20scan_config_selectorIiEEZZNS1_9scan_implILNS1_25lookback_scan_determinismE0ELb1ELb1ES3_N6thrust23THRUST_200600_302600_NS6detail15normal_iteratorINS9_10device_ptrIiEEEESE_iNS9_4plusIvEEiEEDaPvRmT3_T4_T5_mT6_P12ihipStream_tbENKUlT_T0_E_clISt17integral_constantIbLb1EEST_IbLb0EEEEDaSP_SQ_EUlSP_E0_NS1_11comp_targetILNS1_3genE5ELNS1_11target_archE942ELNS1_3gpuE9ELNS1_3repE0EEENS1_30default_config_static_selectorELNS0_4arch9wavefront6targetE1EEEvT1_: ; @_ZN7rocprim17ROCPRIM_400000_NS6detail17trampoline_kernelINS0_14default_configENS1_20scan_config_selectorIiEEZZNS1_9scan_implILNS1_25lookback_scan_determinismE0ELb1ELb1ES3_N6thrust23THRUST_200600_302600_NS6detail15normal_iteratorINS9_10device_ptrIiEEEESE_iNS9_4plusIvEEiEEDaPvRmT3_T4_T5_mT6_P12ihipStream_tbENKUlT_T0_E_clISt17integral_constantIbLb1EEST_IbLb0EEEEDaSP_SQ_EUlSP_E0_NS1_11comp_targetILNS1_3genE5ELNS1_11target_archE942ELNS1_3gpuE9ELNS1_3repE0EEENS1_30default_config_static_selectorELNS0_4arch9wavefront6targetE1EEEvT1_
; %bb.0:
	.section	.rodata,"a",@progbits
	.p2align	6, 0x0
	.amdhsa_kernel _ZN7rocprim17ROCPRIM_400000_NS6detail17trampoline_kernelINS0_14default_configENS1_20scan_config_selectorIiEEZZNS1_9scan_implILNS1_25lookback_scan_determinismE0ELb1ELb1ES3_N6thrust23THRUST_200600_302600_NS6detail15normal_iteratorINS9_10device_ptrIiEEEESE_iNS9_4plusIvEEiEEDaPvRmT3_T4_T5_mT6_P12ihipStream_tbENKUlT_T0_E_clISt17integral_constantIbLb1EEST_IbLb0EEEEDaSP_SQ_EUlSP_E0_NS1_11comp_targetILNS1_3genE5ELNS1_11target_archE942ELNS1_3gpuE9ELNS1_3repE0EEENS1_30default_config_static_selectorELNS0_4arch9wavefront6targetE1EEEvT1_
		.amdhsa_group_segment_fixed_size 0
		.amdhsa_private_segment_fixed_size 0
		.amdhsa_kernarg_size 32
		.amdhsa_user_sgpr_count 6
		.amdhsa_user_sgpr_private_segment_buffer 1
		.amdhsa_user_sgpr_dispatch_ptr 0
		.amdhsa_user_sgpr_queue_ptr 0
		.amdhsa_user_sgpr_kernarg_segment_ptr 1
		.amdhsa_user_sgpr_dispatch_id 0
		.amdhsa_user_sgpr_flat_scratch_init 0
		.amdhsa_user_sgpr_kernarg_preload_length 0
		.amdhsa_user_sgpr_kernarg_preload_offset 0
		.amdhsa_user_sgpr_private_segment_size 0
		.amdhsa_uses_dynamic_stack 0
		.amdhsa_system_sgpr_private_segment_wavefront_offset 0
		.amdhsa_system_sgpr_workgroup_id_x 1
		.amdhsa_system_sgpr_workgroup_id_y 0
		.amdhsa_system_sgpr_workgroup_id_z 0
		.amdhsa_system_sgpr_workgroup_info 0
		.amdhsa_system_vgpr_workitem_id 0
		.amdhsa_next_free_vgpr 1
		.amdhsa_next_free_sgpr 0
		.amdhsa_accum_offset 4
		.amdhsa_reserve_vcc 0
		.amdhsa_reserve_flat_scratch 0
		.amdhsa_float_round_mode_32 0
		.amdhsa_float_round_mode_16_64 0
		.amdhsa_float_denorm_mode_32 3
		.amdhsa_float_denorm_mode_16_64 3
		.amdhsa_dx10_clamp 1
		.amdhsa_ieee_mode 1
		.amdhsa_fp16_overflow 0
		.amdhsa_tg_split 0
		.amdhsa_exception_fp_ieee_invalid_op 0
		.amdhsa_exception_fp_denorm_src 0
		.amdhsa_exception_fp_ieee_div_zero 0
		.amdhsa_exception_fp_ieee_overflow 0
		.amdhsa_exception_fp_ieee_underflow 0
		.amdhsa_exception_fp_ieee_inexact 0
		.amdhsa_exception_int_div_zero 0
	.end_amdhsa_kernel
	.section	.text._ZN7rocprim17ROCPRIM_400000_NS6detail17trampoline_kernelINS0_14default_configENS1_20scan_config_selectorIiEEZZNS1_9scan_implILNS1_25lookback_scan_determinismE0ELb1ELb1ES3_N6thrust23THRUST_200600_302600_NS6detail15normal_iteratorINS9_10device_ptrIiEEEESE_iNS9_4plusIvEEiEEDaPvRmT3_T4_T5_mT6_P12ihipStream_tbENKUlT_T0_E_clISt17integral_constantIbLb1EEST_IbLb0EEEEDaSP_SQ_EUlSP_E0_NS1_11comp_targetILNS1_3genE5ELNS1_11target_archE942ELNS1_3gpuE9ELNS1_3repE0EEENS1_30default_config_static_selectorELNS0_4arch9wavefront6targetE1EEEvT1_,"axG",@progbits,_ZN7rocprim17ROCPRIM_400000_NS6detail17trampoline_kernelINS0_14default_configENS1_20scan_config_selectorIiEEZZNS1_9scan_implILNS1_25lookback_scan_determinismE0ELb1ELb1ES3_N6thrust23THRUST_200600_302600_NS6detail15normal_iteratorINS9_10device_ptrIiEEEESE_iNS9_4plusIvEEiEEDaPvRmT3_T4_T5_mT6_P12ihipStream_tbENKUlT_T0_E_clISt17integral_constantIbLb1EEST_IbLb0EEEEDaSP_SQ_EUlSP_E0_NS1_11comp_targetILNS1_3genE5ELNS1_11target_archE942ELNS1_3gpuE9ELNS1_3repE0EEENS1_30default_config_static_selectorELNS0_4arch9wavefront6targetE1EEEvT1_,comdat
.Lfunc_end850:
	.size	_ZN7rocprim17ROCPRIM_400000_NS6detail17trampoline_kernelINS0_14default_configENS1_20scan_config_selectorIiEEZZNS1_9scan_implILNS1_25lookback_scan_determinismE0ELb1ELb1ES3_N6thrust23THRUST_200600_302600_NS6detail15normal_iteratorINS9_10device_ptrIiEEEESE_iNS9_4plusIvEEiEEDaPvRmT3_T4_T5_mT6_P12ihipStream_tbENKUlT_T0_E_clISt17integral_constantIbLb1EEST_IbLb0EEEEDaSP_SQ_EUlSP_E0_NS1_11comp_targetILNS1_3genE5ELNS1_11target_archE942ELNS1_3gpuE9ELNS1_3repE0EEENS1_30default_config_static_selectorELNS0_4arch9wavefront6targetE1EEEvT1_, .Lfunc_end850-_ZN7rocprim17ROCPRIM_400000_NS6detail17trampoline_kernelINS0_14default_configENS1_20scan_config_selectorIiEEZZNS1_9scan_implILNS1_25lookback_scan_determinismE0ELb1ELb1ES3_N6thrust23THRUST_200600_302600_NS6detail15normal_iteratorINS9_10device_ptrIiEEEESE_iNS9_4plusIvEEiEEDaPvRmT3_T4_T5_mT6_P12ihipStream_tbENKUlT_T0_E_clISt17integral_constantIbLb1EEST_IbLb0EEEEDaSP_SQ_EUlSP_E0_NS1_11comp_targetILNS1_3genE5ELNS1_11target_archE942ELNS1_3gpuE9ELNS1_3repE0EEENS1_30default_config_static_selectorELNS0_4arch9wavefront6targetE1EEEvT1_
                                        ; -- End function
	.section	.AMDGPU.csdata,"",@progbits
; Kernel info:
; codeLenInByte = 0
; NumSgprs: 4
; NumVgprs: 0
; NumAgprs: 0
; TotalNumVgprs: 0
; ScratchSize: 0
; MemoryBound: 0
; FloatMode: 240
; IeeeMode: 1
; LDSByteSize: 0 bytes/workgroup (compile time only)
; SGPRBlocks: 0
; VGPRBlocks: 0
; NumSGPRsForWavesPerEU: 4
; NumVGPRsForWavesPerEU: 1
; AccumOffset: 4
; Occupancy: 8
; WaveLimiterHint : 0
; COMPUTE_PGM_RSRC2:SCRATCH_EN: 0
; COMPUTE_PGM_RSRC2:USER_SGPR: 6
; COMPUTE_PGM_RSRC2:TRAP_HANDLER: 0
; COMPUTE_PGM_RSRC2:TGID_X_EN: 1
; COMPUTE_PGM_RSRC2:TGID_Y_EN: 0
; COMPUTE_PGM_RSRC2:TGID_Z_EN: 0
; COMPUTE_PGM_RSRC2:TIDIG_COMP_CNT: 0
; COMPUTE_PGM_RSRC3_GFX90A:ACCUM_OFFSET: 0
; COMPUTE_PGM_RSRC3_GFX90A:TG_SPLIT: 0
	.section	.text._ZN7rocprim17ROCPRIM_400000_NS6detail17trampoline_kernelINS0_14default_configENS1_20scan_config_selectorIiEEZZNS1_9scan_implILNS1_25lookback_scan_determinismE0ELb1ELb1ES3_N6thrust23THRUST_200600_302600_NS6detail15normal_iteratorINS9_10device_ptrIiEEEESE_iNS9_4plusIvEEiEEDaPvRmT3_T4_T5_mT6_P12ihipStream_tbENKUlT_T0_E_clISt17integral_constantIbLb1EEST_IbLb0EEEEDaSP_SQ_EUlSP_E0_NS1_11comp_targetILNS1_3genE4ELNS1_11target_archE910ELNS1_3gpuE8ELNS1_3repE0EEENS1_30default_config_static_selectorELNS0_4arch9wavefront6targetE1EEEvT1_,"axG",@progbits,_ZN7rocprim17ROCPRIM_400000_NS6detail17trampoline_kernelINS0_14default_configENS1_20scan_config_selectorIiEEZZNS1_9scan_implILNS1_25lookback_scan_determinismE0ELb1ELb1ES3_N6thrust23THRUST_200600_302600_NS6detail15normal_iteratorINS9_10device_ptrIiEEEESE_iNS9_4plusIvEEiEEDaPvRmT3_T4_T5_mT6_P12ihipStream_tbENKUlT_T0_E_clISt17integral_constantIbLb1EEST_IbLb0EEEEDaSP_SQ_EUlSP_E0_NS1_11comp_targetILNS1_3genE4ELNS1_11target_archE910ELNS1_3gpuE8ELNS1_3repE0EEENS1_30default_config_static_selectorELNS0_4arch9wavefront6targetE1EEEvT1_,comdat
	.protected	_ZN7rocprim17ROCPRIM_400000_NS6detail17trampoline_kernelINS0_14default_configENS1_20scan_config_selectorIiEEZZNS1_9scan_implILNS1_25lookback_scan_determinismE0ELb1ELb1ES3_N6thrust23THRUST_200600_302600_NS6detail15normal_iteratorINS9_10device_ptrIiEEEESE_iNS9_4plusIvEEiEEDaPvRmT3_T4_T5_mT6_P12ihipStream_tbENKUlT_T0_E_clISt17integral_constantIbLb1EEST_IbLb0EEEEDaSP_SQ_EUlSP_E0_NS1_11comp_targetILNS1_3genE4ELNS1_11target_archE910ELNS1_3gpuE8ELNS1_3repE0EEENS1_30default_config_static_selectorELNS0_4arch9wavefront6targetE1EEEvT1_ ; -- Begin function _ZN7rocprim17ROCPRIM_400000_NS6detail17trampoline_kernelINS0_14default_configENS1_20scan_config_selectorIiEEZZNS1_9scan_implILNS1_25lookback_scan_determinismE0ELb1ELb1ES3_N6thrust23THRUST_200600_302600_NS6detail15normal_iteratorINS9_10device_ptrIiEEEESE_iNS9_4plusIvEEiEEDaPvRmT3_T4_T5_mT6_P12ihipStream_tbENKUlT_T0_E_clISt17integral_constantIbLb1EEST_IbLb0EEEEDaSP_SQ_EUlSP_E0_NS1_11comp_targetILNS1_3genE4ELNS1_11target_archE910ELNS1_3gpuE8ELNS1_3repE0EEENS1_30default_config_static_selectorELNS0_4arch9wavefront6targetE1EEEvT1_
	.globl	_ZN7rocprim17ROCPRIM_400000_NS6detail17trampoline_kernelINS0_14default_configENS1_20scan_config_selectorIiEEZZNS1_9scan_implILNS1_25lookback_scan_determinismE0ELb1ELb1ES3_N6thrust23THRUST_200600_302600_NS6detail15normal_iteratorINS9_10device_ptrIiEEEESE_iNS9_4plusIvEEiEEDaPvRmT3_T4_T5_mT6_P12ihipStream_tbENKUlT_T0_E_clISt17integral_constantIbLb1EEST_IbLb0EEEEDaSP_SQ_EUlSP_E0_NS1_11comp_targetILNS1_3genE4ELNS1_11target_archE910ELNS1_3gpuE8ELNS1_3repE0EEENS1_30default_config_static_selectorELNS0_4arch9wavefront6targetE1EEEvT1_
	.p2align	8
	.type	_ZN7rocprim17ROCPRIM_400000_NS6detail17trampoline_kernelINS0_14default_configENS1_20scan_config_selectorIiEEZZNS1_9scan_implILNS1_25lookback_scan_determinismE0ELb1ELb1ES3_N6thrust23THRUST_200600_302600_NS6detail15normal_iteratorINS9_10device_ptrIiEEEESE_iNS9_4plusIvEEiEEDaPvRmT3_T4_T5_mT6_P12ihipStream_tbENKUlT_T0_E_clISt17integral_constantIbLb1EEST_IbLb0EEEEDaSP_SQ_EUlSP_E0_NS1_11comp_targetILNS1_3genE4ELNS1_11target_archE910ELNS1_3gpuE8ELNS1_3repE0EEENS1_30default_config_static_selectorELNS0_4arch9wavefront6targetE1EEEvT1_,@function
_ZN7rocprim17ROCPRIM_400000_NS6detail17trampoline_kernelINS0_14default_configENS1_20scan_config_selectorIiEEZZNS1_9scan_implILNS1_25lookback_scan_determinismE0ELb1ELb1ES3_N6thrust23THRUST_200600_302600_NS6detail15normal_iteratorINS9_10device_ptrIiEEEESE_iNS9_4plusIvEEiEEDaPvRmT3_T4_T5_mT6_P12ihipStream_tbENKUlT_T0_E_clISt17integral_constantIbLb1EEST_IbLb0EEEEDaSP_SQ_EUlSP_E0_NS1_11comp_targetILNS1_3genE4ELNS1_11target_archE910ELNS1_3gpuE8ELNS1_3repE0EEENS1_30default_config_static_selectorELNS0_4arch9wavefront6targetE1EEEvT1_: ; @_ZN7rocprim17ROCPRIM_400000_NS6detail17trampoline_kernelINS0_14default_configENS1_20scan_config_selectorIiEEZZNS1_9scan_implILNS1_25lookback_scan_determinismE0ELb1ELb1ES3_N6thrust23THRUST_200600_302600_NS6detail15normal_iteratorINS9_10device_ptrIiEEEESE_iNS9_4plusIvEEiEEDaPvRmT3_T4_T5_mT6_P12ihipStream_tbENKUlT_T0_E_clISt17integral_constantIbLb1EEST_IbLb0EEEEDaSP_SQ_EUlSP_E0_NS1_11comp_targetILNS1_3genE4ELNS1_11target_archE910ELNS1_3gpuE8ELNS1_3repE0EEENS1_30default_config_static_selectorELNS0_4arch9wavefront6targetE1EEEvT1_
; %bb.0:
	s_load_dwordx4 s[20:23], s[4:5], 0x0
	v_lshlrev_b32_e32 v14, 2, v0
	s_waitcnt lgkmcnt(0)
	s_load_dword s23, s[20:21], 0x0
	v_cmp_gt_u32_e32 vcc, s22, v0
	s_waitcnt lgkmcnt(0)
	v_mov_b32_e32 v1, s23
	s_and_saveexec_b64 s[0:1], vcc
	s_cbranch_execz .LBB851_2
; %bb.1:
	global_load_dword v1, v14, s[20:21]
.LBB851_2:
	s_or_b64 exec, exec, s[0:1]
	v_or_b32_e32 v2, 0x80, v0
	v_cmp_gt_u32_e64 s[0:1], s22, v2
	v_mov_b32_e32 v2, s23
	s_and_saveexec_b64 s[2:3], s[0:1]
	s_cbranch_execz .LBB851_4
; %bb.3:
	global_load_dword v2, v14, s[20:21] offset:512
.LBB851_4:
	s_or_b64 exec, exec, s[2:3]
	v_or_b32_e32 v3, 0x100, v0
	v_cmp_gt_u32_e64 s[2:3], s22, v3
	v_mov_b32_e32 v3, s23
	s_and_saveexec_b64 s[6:7], s[2:3]
	s_cbranch_execz .LBB851_6
; %bb.5:
	global_load_dword v3, v14, s[20:21] offset:1024
.LBB851_6:
	;; [unrolled: 9-line block ×7, first 2 shown]
	s_or_b64 exec, exec, s[14:15]
	v_or_b32_e32 v10, 0x400, v0
	v_cmp_gt_u32_e64 s[14:15], s22, v10
	v_mov_b32_e32 v9, s23
	s_and_saveexec_b64 s[16:17], s[14:15]
	s_cbranch_execz .LBB851_18
; %bb.17:
	v_lshlrev_b32_e32 v9, 2, v10
	global_load_dword v9, v9, s[20:21]
.LBB851_18:
	s_or_b64 exec, exec, s[16:17]
	s_load_dword s24, s[4:5], 0x10
	v_or_b32_e32 v11, 0x480, v0
	v_cmp_gt_u32_e64 s[16:17], s22, v11
	v_mov_b32_e32 v10, s23
	s_and_saveexec_b64 s[22:23], s[16:17]
	s_cbranch_execz .LBB851_20
; %bb.19:
	v_lshlrev_b32_e32 v10, 2, v11
	global_load_dword v10, v10, s[20:21]
.LBB851_20:
	s_or_b64 exec, exec, s[22:23]
	s_waitcnt vmcnt(0)
	ds_write2st64_b32 v14, v1, v2 offset1:2
	ds_write2st64_b32 v14, v3, v4 offset0:4 offset1:6
	ds_write2st64_b32 v14, v5, v6 offset0:8 offset1:10
	ds_write2st64_b32 v14, v7, v8 offset0:12 offset1:14
	ds_write2st64_b32 v14, v9, v10 offset0:16 offset1:18
	v_mad_u32_u24 v1, v0, 36, v14
	s_waitcnt lgkmcnt(0)
	s_barrier
	ds_read2_b64 v[6:9], v1 offset1:1
	ds_read2_b64 v[2:5], v1 offset0:2 offset1:3
	ds_read_b64 v[10:11], v1 offset:32
	s_load_dwordx2 s[20:21], s[4:5], 0x18
	v_cmp_gt_u32_e64 s[4:5], 64, v0
	s_waitcnt lgkmcnt(0)
	v_add_u32_e32 v1, v7, v6
	v_add3_u32 v1, v1, v8, v9
	v_add3_u32 v1, v1, v2, v3
	;; [unrolled: 1-line block ×4, first 2 shown]
	v_lshrrev_b32_e32 v11, 3, v0
	v_and_b32_e32 v11, 12, v11
	v_add_u32_e32 v11, v14, v11
	s_barrier
	ds_write_b32 v11, v1
	s_waitcnt lgkmcnt(0)
	s_barrier
	s_and_saveexec_b64 s[22:23], s[4:5]
	s_cbranch_execz .LBB851_22
; %bb.21:
	v_lshlrev_b32_e32 v11, 1, v0
	v_lshrrev_b32_e32 v12, 4, v0
	v_add_lshl_u32 v11, v12, v11, 2
	ds_read2_b32 v[12:13], v11 offset1:1
	v_mbcnt_lo_u32_b32 v15, -1, 0
	v_mbcnt_hi_u32_b32 v15, -1, v15
	v_and_b32_e32 v16, 15, v15
	v_cmp_ne_u32_e64 s[4:5], 0, v16
	s_waitcnt lgkmcnt(0)
	v_add_u32_e32 v13, v13, v12
	; wave barrier
	s_nop 1
	v_mov_b32_dpp v17, v13 row_shr:1 row_mask:0xf bank_mask:0xf
	v_cndmask_b32_e64 v17, 0, v17, s[4:5]
	v_add_u32_e32 v13, v17, v13
	v_cmp_lt_u32_e64 s[4:5], 1, v16
	s_nop 0
	v_mov_b32_dpp v17, v13 row_shr:2 row_mask:0xf bank_mask:0xf
	v_cndmask_b32_e64 v17, 0, v17, s[4:5]
	v_add_u32_e32 v13, v13, v17
	v_cmp_lt_u32_e64 s[4:5], 3, v16
	;; [unrolled: 5-line block ×3, first 2 shown]
	s_nop 0
	v_mov_b32_dpp v17, v13 row_shr:8 row_mask:0xf bank_mask:0xf
	v_cndmask_b32_e64 v16, 0, v17, s[4:5]
	v_add_u32_e32 v13, v13, v16
	v_bfe_i32 v17, v15, 4, 1
	v_cmp_lt_u32_e64 s[4:5], 31, v15
	v_mov_b32_dpp v16, v13 row_bcast:15 row_mask:0xf bank_mask:0xf
	v_and_b32_e32 v16, v17, v16
	v_add_u32_e32 v13, v13, v16
	v_and_b32_e32 v17, 64, v15
	s_nop 0
	v_mov_b32_dpp v16, v13 row_bcast:31 row_mask:0xf bank_mask:0xf
	v_cndmask_b32_e64 v16, 0, v16, s[4:5]
	v_add_u32_e32 v13, v13, v16
	v_add_u32_e32 v16, -1, v15
	v_cmp_lt_i32_e64 s[4:5], v16, v17
	v_cndmask_b32_e64 v15, v16, v15, s[4:5]
	v_lshlrev_b32_e32 v15, 2, v15
	ds_bpermute_b32 v13, v15, v13
	v_cmp_eq_u32_e64 s[4:5], 0, v0
	s_waitcnt lgkmcnt(0)
	v_add_u32_e32 v12, v13, v12
	v_cndmask_b32_e64 v1, v12, v1, s[4:5]
	ds_write_b32 v11, v1
	; wave barrier
	ds_read_b32 v12, v11 offset:4
	s_waitcnt lgkmcnt(0)
	v_add_u32_e32 v1, v12, v1
	ds_write_b32 v11, v1 offset:4
.LBB851_22:
	s_or_b64 exec, exec, s[22:23]
	v_mul_u32_u24_e32 v1, 36, v0
	v_cmp_ne_u32_e64 s[4:5], 0, v0
	v_mov_b32_e32 v12, s24
	s_waitcnt lgkmcnt(0)
	s_barrier
	s_and_saveexec_b64 s[22:23], s[4:5]
	s_cbranch_execz .LBB851_24
; %bb.23:
	v_add_u32_e32 v0, -1, v0
	v_lshrrev_b32_e32 v11, 5, v0
	v_add_lshl_u32 v0, v11, v0, 2
	ds_read_b32 v0, v0
	s_waitcnt lgkmcnt(0)
	v_add_u32_e32 v12, s24, v0
.LBB851_24:
	s_or_b64 exec, exec, s[22:23]
	v_add_u32_e32 v13, v12, v6
	v_add_u32_e32 v6, v13, v7
	;; [unrolled: 1-line block ×10, first 2 shown]
	s_barrier
	ds_write2_b64 v0, v[12:13], v[6:7] offset1:1
	ds_write2_b64 v0, v[8:9], v[2:3] offset0:2 offset1:3
	ds_write_b64 v0, v[4:5] offset:32
	s_waitcnt lgkmcnt(0)
	s_barrier
	ds_read2st64_b32 v[8:9], v14 offset0:2 offset1:4
	ds_read2st64_b32 v[6:7], v14 offset0:6 offset1:8
	;; [unrolled: 1-line block ×4, first 2 shown]
	ds_read_b32 v10, v14 offset:4608
	v_mov_b32_e32 v1, s21
	v_add_co_u32_e64 v0, s[4:5], s20, v14
	v_addc_co_u32_e64 v1, s[4:5], 0, v1, s[4:5]
	s_and_saveexec_b64 s[4:5], vcc
	s_cbranch_execnz .LBB851_35
; %bb.25:
	s_or_b64 exec, exec, s[4:5]
	s_and_saveexec_b64 s[4:5], s[0:1]
	s_cbranch_execnz .LBB851_36
.LBB851_26:
	s_or_b64 exec, exec, s[4:5]
	s_and_saveexec_b64 s[0:1], s[2:3]
	s_cbranch_execnz .LBB851_37
.LBB851_27:
	s_or_b64 exec, exec, s[0:1]
	s_and_saveexec_b64 s[0:1], s[18:19]
	s_cbranch_execnz .LBB851_38
.LBB851_28:
	s_or_b64 exec, exec, s[0:1]
	s_and_saveexec_b64 s[0:1], s[6:7]
	s_cbranch_execnz .LBB851_39
.LBB851_29:
	s_or_b64 exec, exec, s[0:1]
	s_and_saveexec_b64 s[0:1], s[8:9]
	s_cbranch_execnz .LBB851_40
.LBB851_30:
	s_or_b64 exec, exec, s[0:1]
	s_and_saveexec_b64 s[0:1], s[10:11]
	s_cbranch_execnz .LBB851_41
.LBB851_31:
	s_or_b64 exec, exec, s[0:1]
	s_and_saveexec_b64 s[0:1], s[12:13]
	s_cbranch_execnz .LBB851_42
.LBB851_32:
	s_or_b64 exec, exec, s[0:1]
	s_and_saveexec_b64 s[0:1], s[14:15]
	s_cbranch_execnz .LBB851_43
.LBB851_33:
	s_or_b64 exec, exec, s[0:1]
	s_and_saveexec_b64 s[0:1], s[16:17]
	s_cbranch_execnz .LBB851_44
.LBB851_34:
	s_endpgm
.LBB851_35:
	ds_read_b32 v11, v14
	s_waitcnt lgkmcnt(0)
	global_store_dword v[0:1], v11, off
	s_or_b64 exec, exec, s[4:5]
	s_and_saveexec_b64 s[4:5], s[0:1]
	s_cbranch_execz .LBB851_26
.LBB851_36:
	s_waitcnt lgkmcnt(4)
	global_store_dword v[0:1], v8, off offset:512
	s_or_b64 exec, exec, s[4:5]
	s_and_saveexec_b64 s[0:1], s[2:3]
	s_cbranch_execz .LBB851_27
.LBB851_37:
	s_waitcnt lgkmcnt(4)
	global_store_dword v[0:1], v9, off offset:1024
	s_or_b64 exec, exec, s[0:1]
	s_and_saveexec_b64 s[0:1], s[18:19]
	s_cbranch_execz .LBB851_28
.LBB851_38:
	s_waitcnt lgkmcnt(3)
	global_store_dword v[0:1], v6, off offset:1536
	s_or_b64 exec, exec, s[0:1]
	s_and_saveexec_b64 s[0:1], s[6:7]
	s_cbranch_execz .LBB851_29
.LBB851_39:
	s_waitcnt lgkmcnt(3)
	global_store_dword v[0:1], v7, off offset:2048
	s_or_b64 exec, exec, s[0:1]
	s_and_saveexec_b64 s[0:1], s[8:9]
	s_cbranch_execz .LBB851_30
.LBB851_40:
	s_waitcnt lgkmcnt(2)
	global_store_dword v[0:1], v4, off offset:2560
	s_or_b64 exec, exec, s[0:1]
	s_and_saveexec_b64 s[0:1], s[10:11]
	s_cbranch_execz .LBB851_31
.LBB851_41:
	s_waitcnt lgkmcnt(2)
	global_store_dword v[0:1], v5, off offset:3072
	s_or_b64 exec, exec, s[0:1]
	s_and_saveexec_b64 s[0:1], s[12:13]
	s_cbranch_execz .LBB851_32
.LBB851_42:
	s_waitcnt lgkmcnt(1)
	global_store_dword v[0:1], v2, off offset:3584
	s_or_b64 exec, exec, s[0:1]
	s_and_saveexec_b64 s[0:1], s[14:15]
	s_cbranch_execz .LBB851_33
.LBB851_43:
	s_waitcnt lgkmcnt(2)
	v_add_co_u32_e32 v4, vcc, 0x1000, v0
	v_addc_co_u32_e32 v5, vcc, 0, v1, vcc
	s_waitcnt lgkmcnt(1)
	global_store_dword v[4:5], v3, off
	s_or_b64 exec, exec, s[0:1]
	s_and_saveexec_b64 s[0:1], s[16:17]
	s_cbranch_execz .LBB851_34
.LBB851_44:
	v_add_co_u32_e32 v0, vcc, 0x1000, v0
	v_addc_co_u32_e32 v1, vcc, 0, v1, vcc
	s_waitcnt lgkmcnt(0)
	global_store_dword v[0:1], v10, off offset:512
	s_endpgm
	.section	.rodata,"a",@progbits
	.p2align	6, 0x0
	.amdhsa_kernel _ZN7rocprim17ROCPRIM_400000_NS6detail17trampoline_kernelINS0_14default_configENS1_20scan_config_selectorIiEEZZNS1_9scan_implILNS1_25lookback_scan_determinismE0ELb1ELb1ES3_N6thrust23THRUST_200600_302600_NS6detail15normal_iteratorINS9_10device_ptrIiEEEESE_iNS9_4plusIvEEiEEDaPvRmT3_T4_T5_mT6_P12ihipStream_tbENKUlT_T0_E_clISt17integral_constantIbLb1EEST_IbLb0EEEEDaSP_SQ_EUlSP_E0_NS1_11comp_targetILNS1_3genE4ELNS1_11target_archE910ELNS1_3gpuE8ELNS1_3repE0EEENS1_30default_config_static_selectorELNS0_4arch9wavefront6targetE1EEEvT1_
		.amdhsa_group_segment_fixed_size 5120
		.amdhsa_private_segment_fixed_size 0
		.amdhsa_kernarg_size 32
		.amdhsa_user_sgpr_count 6
		.amdhsa_user_sgpr_private_segment_buffer 1
		.amdhsa_user_sgpr_dispatch_ptr 0
		.amdhsa_user_sgpr_queue_ptr 0
		.amdhsa_user_sgpr_kernarg_segment_ptr 1
		.amdhsa_user_sgpr_dispatch_id 0
		.amdhsa_user_sgpr_flat_scratch_init 0
		.amdhsa_user_sgpr_kernarg_preload_length 0
		.amdhsa_user_sgpr_kernarg_preload_offset 0
		.amdhsa_user_sgpr_private_segment_size 0
		.amdhsa_uses_dynamic_stack 0
		.amdhsa_system_sgpr_private_segment_wavefront_offset 0
		.amdhsa_system_sgpr_workgroup_id_x 1
		.amdhsa_system_sgpr_workgroup_id_y 0
		.amdhsa_system_sgpr_workgroup_id_z 0
		.amdhsa_system_sgpr_workgroup_info 0
		.amdhsa_system_vgpr_workitem_id 0
		.amdhsa_next_free_vgpr 18
		.amdhsa_next_free_sgpr 25
		.amdhsa_accum_offset 20
		.amdhsa_reserve_vcc 1
		.amdhsa_reserve_flat_scratch 0
		.amdhsa_float_round_mode_32 0
		.amdhsa_float_round_mode_16_64 0
		.amdhsa_float_denorm_mode_32 3
		.amdhsa_float_denorm_mode_16_64 3
		.amdhsa_dx10_clamp 1
		.amdhsa_ieee_mode 1
		.amdhsa_fp16_overflow 0
		.amdhsa_tg_split 0
		.amdhsa_exception_fp_ieee_invalid_op 0
		.amdhsa_exception_fp_denorm_src 0
		.amdhsa_exception_fp_ieee_div_zero 0
		.amdhsa_exception_fp_ieee_overflow 0
		.amdhsa_exception_fp_ieee_underflow 0
		.amdhsa_exception_fp_ieee_inexact 0
		.amdhsa_exception_int_div_zero 0
	.end_amdhsa_kernel
	.section	.text._ZN7rocprim17ROCPRIM_400000_NS6detail17trampoline_kernelINS0_14default_configENS1_20scan_config_selectorIiEEZZNS1_9scan_implILNS1_25lookback_scan_determinismE0ELb1ELb1ES3_N6thrust23THRUST_200600_302600_NS6detail15normal_iteratorINS9_10device_ptrIiEEEESE_iNS9_4plusIvEEiEEDaPvRmT3_T4_T5_mT6_P12ihipStream_tbENKUlT_T0_E_clISt17integral_constantIbLb1EEST_IbLb0EEEEDaSP_SQ_EUlSP_E0_NS1_11comp_targetILNS1_3genE4ELNS1_11target_archE910ELNS1_3gpuE8ELNS1_3repE0EEENS1_30default_config_static_selectorELNS0_4arch9wavefront6targetE1EEEvT1_,"axG",@progbits,_ZN7rocprim17ROCPRIM_400000_NS6detail17trampoline_kernelINS0_14default_configENS1_20scan_config_selectorIiEEZZNS1_9scan_implILNS1_25lookback_scan_determinismE0ELb1ELb1ES3_N6thrust23THRUST_200600_302600_NS6detail15normal_iteratorINS9_10device_ptrIiEEEESE_iNS9_4plusIvEEiEEDaPvRmT3_T4_T5_mT6_P12ihipStream_tbENKUlT_T0_E_clISt17integral_constantIbLb1EEST_IbLb0EEEEDaSP_SQ_EUlSP_E0_NS1_11comp_targetILNS1_3genE4ELNS1_11target_archE910ELNS1_3gpuE8ELNS1_3repE0EEENS1_30default_config_static_selectorELNS0_4arch9wavefront6targetE1EEEvT1_,comdat
.Lfunc_end851:
	.size	_ZN7rocprim17ROCPRIM_400000_NS6detail17trampoline_kernelINS0_14default_configENS1_20scan_config_selectorIiEEZZNS1_9scan_implILNS1_25lookback_scan_determinismE0ELb1ELb1ES3_N6thrust23THRUST_200600_302600_NS6detail15normal_iteratorINS9_10device_ptrIiEEEESE_iNS9_4plusIvEEiEEDaPvRmT3_T4_T5_mT6_P12ihipStream_tbENKUlT_T0_E_clISt17integral_constantIbLb1EEST_IbLb0EEEEDaSP_SQ_EUlSP_E0_NS1_11comp_targetILNS1_3genE4ELNS1_11target_archE910ELNS1_3gpuE8ELNS1_3repE0EEENS1_30default_config_static_selectorELNS0_4arch9wavefront6targetE1EEEvT1_, .Lfunc_end851-_ZN7rocprim17ROCPRIM_400000_NS6detail17trampoline_kernelINS0_14default_configENS1_20scan_config_selectorIiEEZZNS1_9scan_implILNS1_25lookback_scan_determinismE0ELb1ELb1ES3_N6thrust23THRUST_200600_302600_NS6detail15normal_iteratorINS9_10device_ptrIiEEEESE_iNS9_4plusIvEEiEEDaPvRmT3_T4_T5_mT6_P12ihipStream_tbENKUlT_T0_E_clISt17integral_constantIbLb1EEST_IbLb0EEEEDaSP_SQ_EUlSP_E0_NS1_11comp_targetILNS1_3genE4ELNS1_11target_archE910ELNS1_3gpuE8ELNS1_3repE0EEENS1_30default_config_static_selectorELNS0_4arch9wavefront6targetE1EEEvT1_
                                        ; -- End function
	.section	.AMDGPU.csdata,"",@progbits
; Kernel info:
; codeLenInByte = 1536
; NumSgprs: 29
; NumVgprs: 18
; NumAgprs: 0
; TotalNumVgprs: 18
; ScratchSize: 0
; MemoryBound: 0
; FloatMode: 240
; IeeeMode: 1
; LDSByteSize: 5120 bytes/workgroup (compile time only)
; SGPRBlocks: 3
; VGPRBlocks: 2
; NumSGPRsForWavesPerEU: 29
; NumVGPRsForWavesPerEU: 18
; AccumOffset: 20
; Occupancy: 6
; WaveLimiterHint : 0
; COMPUTE_PGM_RSRC2:SCRATCH_EN: 0
; COMPUTE_PGM_RSRC2:USER_SGPR: 6
; COMPUTE_PGM_RSRC2:TRAP_HANDLER: 0
; COMPUTE_PGM_RSRC2:TGID_X_EN: 1
; COMPUTE_PGM_RSRC2:TGID_Y_EN: 0
; COMPUTE_PGM_RSRC2:TGID_Z_EN: 0
; COMPUTE_PGM_RSRC2:TIDIG_COMP_CNT: 0
; COMPUTE_PGM_RSRC3_GFX90A:ACCUM_OFFSET: 4
; COMPUTE_PGM_RSRC3_GFX90A:TG_SPLIT: 0
	.section	.text._ZN7rocprim17ROCPRIM_400000_NS6detail17trampoline_kernelINS0_14default_configENS1_20scan_config_selectorIiEEZZNS1_9scan_implILNS1_25lookback_scan_determinismE0ELb1ELb1ES3_N6thrust23THRUST_200600_302600_NS6detail15normal_iteratorINS9_10device_ptrIiEEEESE_iNS9_4plusIvEEiEEDaPvRmT3_T4_T5_mT6_P12ihipStream_tbENKUlT_T0_E_clISt17integral_constantIbLb1EEST_IbLb0EEEEDaSP_SQ_EUlSP_E0_NS1_11comp_targetILNS1_3genE3ELNS1_11target_archE908ELNS1_3gpuE7ELNS1_3repE0EEENS1_30default_config_static_selectorELNS0_4arch9wavefront6targetE1EEEvT1_,"axG",@progbits,_ZN7rocprim17ROCPRIM_400000_NS6detail17trampoline_kernelINS0_14default_configENS1_20scan_config_selectorIiEEZZNS1_9scan_implILNS1_25lookback_scan_determinismE0ELb1ELb1ES3_N6thrust23THRUST_200600_302600_NS6detail15normal_iteratorINS9_10device_ptrIiEEEESE_iNS9_4plusIvEEiEEDaPvRmT3_T4_T5_mT6_P12ihipStream_tbENKUlT_T0_E_clISt17integral_constantIbLb1EEST_IbLb0EEEEDaSP_SQ_EUlSP_E0_NS1_11comp_targetILNS1_3genE3ELNS1_11target_archE908ELNS1_3gpuE7ELNS1_3repE0EEENS1_30default_config_static_selectorELNS0_4arch9wavefront6targetE1EEEvT1_,comdat
	.protected	_ZN7rocprim17ROCPRIM_400000_NS6detail17trampoline_kernelINS0_14default_configENS1_20scan_config_selectorIiEEZZNS1_9scan_implILNS1_25lookback_scan_determinismE0ELb1ELb1ES3_N6thrust23THRUST_200600_302600_NS6detail15normal_iteratorINS9_10device_ptrIiEEEESE_iNS9_4plusIvEEiEEDaPvRmT3_T4_T5_mT6_P12ihipStream_tbENKUlT_T0_E_clISt17integral_constantIbLb1EEST_IbLb0EEEEDaSP_SQ_EUlSP_E0_NS1_11comp_targetILNS1_3genE3ELNS1_11target_archE908ELNS1_3gpuE7ELNS1_3repE0EEENS1_30default_config_static_selectorELNS0_4arch9wavefront6targetE1EEEvT1_ ; -- Begin function _ZN7rocprim17ROCPRIM_400000_NS6detail17trampoline_kernelINS0_14default_configENS1_20scan_config_selectorIiEEZZNS1_9scan_implILNS1_25lookback_scan_determinismE0ELb1ELb1ES3_N6thrust23THRUST_200600_302600_NS6detail15normal_iteratorINS9_10device_ptrIiEEEESE_iNS9_4plusIvEEiEEDaPvRmT3_T4_T5_mT6_P12ihipStream_tbENKUlT_T0_E_clISt17integral_constantIbLb1EEST_IbLb0EEEEDaSP_SQ_EUlSP_E0_NS1_11comp_targetILNS1_3genE3ELNS1_11target_archE908ELNS1_3gpuE7ELNS1_3repE0EEENS1_30default_config_static_selectorELNS0_4arch9wavefront6targetE1EEEvT1_
	.globl	_ZN7rocprim17ROCPRIM_400000_NS6detail17trampoline_kernelINS0_14default_configENS1_20scan_config_selectorIiEEZZNS1_9scan_implILNS1_25lookback_scan_determinismE0ELb1ELb1ES3_N6thrust23THRUST_200600_302600_NS6detail15normal_iteratorINS9_10device_ptrIiEEEESE_iNS9_4plusIvEEiEEDaPvRmT3_T4_T5_mT6_P12ihipStream_tbENKUlT_T0_E_clISt17integral_constantIbLb1EEST_IbLb0EEEEDaSP_SQ_EUlSP_E0_NS1_11comp_targetILNS1_3genE3ELNS1_11target_archE908ELNS1_3gpuE7ELNS1_3repE0EEENS1_30default_config_static_selectorELNS0_4arch9wavefront6targetE1EEEvT1_
	.p2align	8
	.type	_ZN7rocprim17ROCPRIM_400000_NS6detail17trampoline_kernelINS0_14default_configENS1_20scan_config_selectorIiEEZZNS1_9scan_implILNS1_25lookback_scan_determinismE0ELb1ELb1ES3_N6thrust23THRUST_200600_302600_NS6detail15normal_iteratorINS9_10device_ptrIiEEEESE_iNS9_4plusIvEEiEEDaPvRmT3_T4_T5_mT6_P12ihipStream_tbENKUlT_T0_E_clISt17integral_constantIbLb1EEST_IbLb0EEEEDaSP_SQ_EUlSP_E0_NS1_11comp_targetILNS1_3genE3ELNS1_11target_archE908ELNS1_3gpuE7ELNS1_3repE0EEENS1_30default_config_static_selectorELNS0_4arch9wavefront6targetE1EEEvT1_,@function
_ZN7rocprim17ROCPRIM_400000_NS6detail17trampoline_kernelINS0_14default_configENS1_20scan_config_selectorIiEEZZNS1_9scan_implILNS1_25lookback_scan_determinismE0ELb1ELb1ES3_N6thrust23THRUST_200600_302600_NS6detail15normal_iteratorINS9_10device_ptrIiEEEESE_iNS9_4plusIvEEiEEDaPvRmT3_T4_T5_mT6_P12ihipStream_tbENKUlT_T0_E_clISt17integral_constantIbLb1EEST_IbLb0EEEEDaSP_SQ_EUlSP_E0_NS1_11comp_targetILNS1_3genE3ELNS1_11target_archE908ELNS1_3gpuE7ELNS1_3repE0EEENS1_30default_config_static_selectorELNS0_4arch9wavefront6targetE1EEEvT1_: ; @_ZN7rocprim17ROCPRIM_400000_NS6detail17trampoline_kernelINS0_14default_configENS1_20scan_config_selectorIiEEZZNS1_9scan_implILNS1_25lookback_scan_determinismE0ELb1ELb1ES3_N6thrust23THRUST_200600_302600_NS6detail15normal_iteratorINS9_10device_ptrIiEEEESE_iNS9_4plusIvEEiEEDaPvRmT3_T4_T5_mT6_P12ihipStream_tbENKUlT_T0_E_clISt17integral_constantIbLb1EEST_IbLb0EEEEDaSP_SQ_EUlSP_E0_NS1_11comp_targetILNS1_3genE3ELNS1_11target_archE908ELNS1_3gpuE7ELNS1_3repE0EEENS1_30default_config_static_selectorELNS0_4arch9wavefront6targetE1EEEvT1_
; %bb.0:
	.section	.rodata,"a",@progbits
	.p2align	6, 0x0
	.amdhsa_kernel _ZN7rocprim17ROCPRIM_400000_NS6detail17trampoline_kernelINS0_14default_configENS1_20scan_config_selectorIiEEZZNS1_9scan_implILNS1_25lookback_scan_determinismE0ELb1ELb1ES3_N6thrust23THRUST_200600_302600_NS6detail15normal_iteratorINS9_10device_ptrIiEEEESE_iNS9_4plusIvEEiEEDaPvRmT3_T4_T5_mT6_P12ihipStream_tbENKUlT_T0_E_clISt17integral_constantIbLb1EEST_IbLb0EEEEDaSP_SQ_EUlSP_E0_NS1_11comp_targetILNS1_3genE3ELNS1_11target_archE908ELNS1_3gpuE7ELNS1_3repE0EEENS1_30default_config_static_selectorELNS0_4arch9wavefront6targetE1EEEvT1_
		.amdhsa_group_segment_fixed_size 0
		.amdhsa_private_segment_fixed_size 0
		.amdhsa_kernarg_size 32
		.amdhsa_user_sgpr_count 6
		.amdhsa_user_sgpr_private_segment_buffer 1
		.amdhsa_user_sgpr_dispatch_ptr 0
		.amdhsa_user_sgpr_queue_ptr 0
		.amdhsa_user_sgpr_kernarg_segment_ptr 1
		.amdhsa_user_sgpr_dispatch_id 0
		.amdhsa_user_sgpr_flat_scratch_init 0
		.amdhsa_user_sgpr_kernarg_preload_length 0
		.amdhsa_user_sgpr_kernarg_preload_offset 0
		.amdhsa_user_sgpr_private_segment_size 0
		.amdhsa_uses_dynamic_stack 0
		.amdhsa_system_sgpr_private_segment_wavefront_offset 0
		.amdhsa_system_sgpr_workgroup_id_x 1
		.amdhsa_system_sgpr_workgroup_id_y 0
		.amdhsa_system_sgpr_workgroup_id_z 0
		.amdhsa_system_sgpr_workgroup_info 0
		.amdhsa_system_vgpr_workitem_id 0
		.amdhsa_next_free_vgpr 1
		.amdhsa_next_free_sgpr 0
		.amdhsa_accum_offset 4
		.amdhsa_reserve_vcc 0
		.amdhsa_reserve_flat_scratch 0
		.amdhsa_float_round_mode_32 0
		.amdhsa_float_round_mode_16_64 0
		.amdhsa_float_denorm_mode_32 3
		.amdhsa_float_denorm_mode_16_64 3
		.amdhsa_dx10_clamp 1
		.amdhsa_ieee_mode 1
		.amdhsa_fp16_overflow 0
		.amdhsa_tg_split 0
		.amdhsa_exception_fp_ieee_invalid_op 0
		.amdhsa_exception_fp_denorm_src 0
		.amdhsa_exception_fp_ieee_div_zero 0
		.amdhsa_exception_fp_ieee_overflow 0
		.amdhsa_exception_fp_ieee_underflow 0
		.amdhsa_exception_fp_ieee_inexact 0
		.amdhsa_exception_int_div_zero 0
	.end_amdhsa_kernel
	.section	.text._ZN7rocprim17ROCPRIM_400000_NS6detail17trampoline_kernelINS0_14default_configENS1_20scan_config_selectorIiEEZZNS1_9scan_implILNS1_25lookback_scan_determinismE0ELb1ELb1ES3_N6thrust23THRUST_200600_302600_NS6detail15normal_iteratorINS9_10device_ptrIiEEEESE_iNS9_4plusIvEEiEEDaPvRmT3_T4_T5_mT6_P12ihipStream_tbENKUlT_T0_E_clISt17integral_constantIbLb1EEST_IbLb0EEEEDaSP_SQ_EUlSP_E0_NS1_11comp_targetILNS1_3genE3ELNS1_11target_archE908ELNS1_3gpuE7ELNS1_3repE0EEENS1_30default_config_static_selectorELNS0_4arch9wavefront6targetE1EEEvT1_,"axG",@progbits,_ZN7rocprim17ROCPRIM_400000_NS6detail17trampoline_kernelINS0_14default_configENS1_20scan_config_selectorIiEEZZNS1_9scan_implILNS1_25lookback_scan_determinismE0ELb1ELb1ES3_N6thrust23THRUST_200600_302600_NS6detail15normal_iteratorINS9_10device_ptrIiEEEESE_iNS9_4plusIvEEiEEDaPvRmT3_T4_T5_mT6_P12ihipStream_tbENKUlT_T0_E_clISt17integral_constantIbLb1EEST_IbLb0EEEEDaSP_SQ_EUlSP_E0_NS1_11comp_targetILNS1_3genE3ELNS1_11target_archE908ELNS1_3gpuE7ELNS1_3repE0EEENS1_30default_config_static_selectorELNS0_4arch9wavefront6targetE1EEEvT1_,comdat
.Lfunc_end852:
	.size	_ZN7rocprim17ROCPRIM_400000_NS6detail17trampoline_kernelINS0_14default_configENS1_20scan_config_selectorIiEEZZNS1_9scan_implILNS1_25lookback_scan_determinismE0ELb1ELb1ES3_N6thrust23THRUST_200600_302600_NS6detail15normal_iteratorINS9_10device_ptrIiEEEESE_iNS9_4plusIvEEiEEDaPvRmT3_T4_T5_mT6_P12ihipStream_tbENKUlT_T0_E_clISt17integral_constantIbLb1EEST_IbLb0EEEEDaSP_SQ_EUlSP_E0_NS1_11comp_targetILNS1_3genE3ELNS1_11target_archE908ELNS1_3gpuE7ELNS1_3repE0EEENS1_30default_config_static_selectorELNS0_4arch9wavefront6targetE1EEEvT1_, .Lfunc_end852-_ZN7rocprim17ROCPRIM_400000_NS6detail17trampoline_kernelINS0_14default_configENS1_20scan_config_selectorIiEEZZNS1_9scan_implILNS1_25lookback_scan_determinismE0ELb1ELb1ES3_N6thrust23THRUST_200600_302600_NS6detail15normal_iteratorINS9_10device_ptrIiEEEESE_iNS9_4plusIvEEiEEDaPvRmT3_T4_T5_mT6_P12ihipStream_tbENKUlT_T0_E_clISt17integral_constantIbLb1EEST_IbLb0EEEEDaSP_SQ_EUlSP_E0_NS1_11comp_targetILNS1_3genE3ELNS1_11target_archE908ELNS1_3gpuE7ELNS1_3repE0EEENS1_30default_config_static_selectorELNS0_4arch9wavefront6targetE1EEEvT1_
                                        ; -- End function
	.section	.AMDGPU.csdata,"",@progbits
; Kernel info:
; codeLenInByte = 0
; NumSgprs: 4
; NumVgprs: 0
; NumAgprs: 0
; TotalNumVgprs: 0
; ScratchSize: 0
; MemoryBound: 0
; FloatMode: 240
; IeeeMode: 1
; LDSByteSize: 0 bytes/workgroup (compile time only)
; SGPRBlocks: 0
; VGPRBlocks: 0
; NumSGPRsForWavesPerEU: 4
; NumVGPRsForWavesPerEU: 1
; AccumOffset: 4
; Occupancy: 8
; WaveLimiterHint : 0
; COMPUTE_PGM_RSRC2:SCRATCH_EN: 0
; COMPUTE_PGM_RSRC2:USER_SGPR: 6
; COMPUTE_PGM_RSRC2:TRAP_HANDLER: 0
; COMPUTE_PGM_RSRC2:TGID_X_EN: 1
; COMPUTE_PGM_RSRC2:TGID_Y_EN: 0
; COMPUTE_PGM_RSRC2:TGID_Z_EN: 0
; COMPUTE_PGM_RSRC2:TIDIG_COMP_CNT: 0
; COMPUTE_PGM_RSRC3_GFX90A:ACCUM_OFFSET: 0
; COMPUTE_PGM_RSRC3_GFX90A:TG_SPLIT: 0
	.section	.text._ZN7rocprim17ROCPRIM_400000_NS6detail17trampoline_kernelINS0_14default_configENS1_20scan_config_selectorIiEEZZNS1_9scan_implILNS1_25lookback_scan_determinismE0ELb1ELb1ES3_N6thrust23THRUST_200600_302600_NS6detail15normal_iteratorINS9_10device_ptrIiEEEESE_iNS9_4plusIvEEiEEDaPvRmT3_T4_T5_mT6_P12ihipStream_tbENKUlT_T0_E_clISt17integral_constantIbLb1EEST_IbLb0EEEEDaSP_SQ_EUlSP_E0_NS1_11comp_targetILNS1_3genE2ELNS1_11target_archE906ELNS1_3gpuE6ELNS1_3repE0EEENS1_30default_config_static_selectorELNS0_4arch9wavefront6targetE1EEEvT1_,"axG",@progbits,_ZN7rocprim17ROCPRIM_400000_NS6detail17trampoline_kernelINS0_14default_configENS1_20scan_config_selectorIiEEZZNS1_9scan_implILNS1_25lookback_scan_determinismE0ELb1ELb1ES3_N6thrust23THRUST_200600_302600_NS6detail15normal_iteratorINS9_10device_ptrIiEEEESE_iNS9_4plusIvEEiEEDaPvRmT3_T4_T5_mT6_P12ihipStream_tbENKUlT_T0_E_clISt17integral_constantIbLb1EEST_IbLb0EEEEDaSP_SQ_EUlSP_E0_NS1_11comp_targetILNS1_3genE2ELNS1_11target_archE906ELNS1_3gpuE6ELNS1_3repE0EEENS1_30default_config_static_selectorELNS0_4arch9wavefront6targetE1EEEvT1_,comdat
	.protected	_ZN7rocprim17ROCPRIM_400000_NS6detail17trampoline_kernelINS0_14default_configENS1_20scan_config_selectorIiEEZZNS1_9scan_implILNS1_25lookback_scan_determinismE0ELb1ELb1ES3_N6thrust23THRUST_200600_302600_NS6detail15normal_iteratorINS9_10device_ptrIiEEEESE_iNS9_4plusIvEEiEEDaPvRmT3_T4_T5_mT6_P12ihipStream_tbENKUlT_T0_E_clISt17integral_constantIbLb1EEST_IbLb0EEEEDaSP_SQ_EUlSP_E0_NS1_11comp_targetILNS1_3genE2ELNS1_11target_archE906ELNS1_3gpuE6ELNS1_3repE0EEENS1_30default_config_static_selectorELNS0_4arch9wavefront6targetE1EEEvT1_ ; -- Begin function _ZN7rocprim17ROCPRIM_400000_NS6detail17trampoline_kernelINS0_14default_configENS1_20scan_config_selectorIiEEZZNS1_9scan_implILNS1_25lookback_scan_determinismE0ELb1ELb1ES3_N6thrust23THRUST_200600_302600_NS6detail15normal_iteratorINS9_10device_ptrIiEEEESE_iNS9_4plusIvEEiEEDaPvRmT3_T4_T5_mT6_P12ihipStream_tbENKUlT_T0_E_clISt17integral_constantIbLb1EEST_IbLb0EEEEDaSP_SQ_EUlSP_E0_NS1_11comp_targetILNS1_3genE2ELNS1_11target_archE906ELNS1_3gpuE6ELNS1_3repE0EEENS1_30default_config_static_selectorELNS0_4arch9wavefront6targetE1EEEvT1_
	.globl	_ZN7rocprim17ROCPRIM_400000_NS6detail17trampoline_kernelINS0_14default_configENS1_20scan_config_selectorIiEEZZNS1_9scan_implILNS1_25lookback_scan_determinismE0ELb1ELb1ES3_N6thrust23THRUST_200600_302600_NS6detail15normal_iteratorINS9_10device_ptrIiEEEESE_iNS9_4plusIvEEiEEDaPvRmT3_T4_T5_mT6_P12ihipStream_tbENKUlT_T0_E_clISt17integral_constantIbLb1EEST_IbLb0EEEEDaSP_SQ_EUlSP_E0_NS1_11comp_targetILNS1_3genE2ELNS1_11target_archE906ELNS1_3gpuE6ELNS1_3repE0EEENS1_30default_config_static_selectorELNS0_4arch9wavefront6targetE1EEEvT1_
	.p2align	8
	.type	_ZN7rocprim17ROCPRIM_400000_NS6detail17trampoline_kernelINS0_14default_configENS1_20scan_config_selectorIiEEZZNS1_9scan_implILNS1_25lookback_scan_determinismE0ELb1ELb1ES3_N6thrust23THRUST_200600_302600_NS6detail15normal_iteratorINS9_10device_ptrIiEEEESE_iNS9_4plusIvEEiEEDaPvRmT3_T4_T5_mT6_P12ihipStream_tbENKUlT_T0_E_clISt17integral_constantIbLb1EEST_IbLb0EEEEDaSP_SQ_EUlSP_E0_NS1_11comp_targetILNS1_3genE2ELNS1_11target_archE906ELNS1_3gpuE6ELNS1_3repE0EEENS1_30default_config_static_selectorELNS0_4arch9wavefront6targetE1EEEvT1_,@function
_ZN7rocprim17ROCPRIM_400000_NS6detail17trampoline_kernelINS0_14default_configENS1_20scan_config_selectorIiEEZZNS1_9scan_implILNS1_25lookback_scan_determinismE0ELb1ELb1ES3_N6thrust23THRUST_200600_302600_NS6detail15normal_iteratorINS9_10device_ptrIiEEEESE_iNS9_4plusIvEEiEEDaPvRmT3_T4_T5_mT6_P12ihipStream_tbENKUlT_T0_E_clISt17integral_constantIbLb1EEST_IbLb0EEEEDaSP_SQ_EUlSP_E0_NS1_11comp_targetILNS1_3genE2ELNS1_11target_archE906ELNS1_3gpuE6ELNS1_3repE0EEENS1_30default_config_static_selectorELNS0_4arch9wavefront6targetE1EEEvT1_: ; @_ZN7rocprim17ROCPRIM_400000_NS6detail17trampoline_kernelINS0_14default_configENS1_20scan_config_selectorIiEEZZNS1_9scan_implILNS1_25lookback_scan_determinismE0ELb1ELb1ES3_N6thrust23THRUST_200600_302600_NS6detail15normal_iteratorINS9_10device_ptrIiEEEESE_iNS9_4plusIvEEiEEDaPvRmT3_T4_T5_mT6_P12ihipStream_tbENKUlT_T0_E_clISt17integral_constantIbLb1EEST_IbLb0EEEEDaSP_SQ_EUlSP_E0_NS1_11comp_targetILNS1_3genE2ELNS1_11target_archE906ELNS1_3gpuE6ELNS1_3repE0EEENS1_30default_config_static_selectorELNS0_4arch9wavefront6targetE1EEEvT1_
; %bb.0:
	.section	.rodata,"a",@progbits
	.p2align	6, 0x0
	.amdhsa_kernel _ZN7rocprim17ROCPRIM_400000_NS6detail17trampoline_kernelINS0_14default_configENS1_20scan_config_selectorIiEEZZNS1_9scan_implILNS1_25lookback_scan_determinismE0ELb1ELb1ES3_N6thrust23THRUST_200600_302600_NS6detail15normal_iteratorINS9_10device_ptrIiEEEESE_iNS9_4plusIvEEiEEDaPvRmT3_T4_T5_mT6_P12ihipStream_tbENKUlT_T0_E_clISt17integral_constantIbLb1EEST_IbLb0EEEEDaSP_SQ_EUlSP_E0_NS1_11comp_targetILNS1_3genE2ELNS1_11target_archE906ELNS1_3gpuE6ELNS1_3repE0EEENS1_30default_config_static_selectorELNS0_4arch9wavefront6targetE1EEEvT1_
		.amdhsa_group_segment_fixed_size 0
		.amdhsa_private_segment_fixed_size 0
		.amdhsa_kernarg_size 32
		.amdhsa_user_sgpr_count 6
		.amdhsa_user_sgpr_private_segment_buffer 1
		.amdhsa_user_sgpr_dispatch_ptr 0
		.amdhsa_user_sgpr_queue_ptr 0
		.amdhsa_user_sgpr_kernarg_segment_ptr 1
		.amdhsa_user_sgpr_dispatch_id 0
		.amdhsa_user_sgpr_flat_scratch_init 0
		.amdhsa_user_sgpr_kernarg_preload_length 0
		.amdhsa_user_sgpr_kernarg_preload_offset 0
		.amdhsa_user_sgpr_private_segment_size 0
		.amdhsa_uses_dynamic_stack 0
		.amdhsa_system_sgpr_private_segment_wavefront_offset 0
		.amdhsa_system_sgpr_workgroup_id_x 1
		.amdhsa_system_sgpr_workgroup_id_y 0
		.amdhsa_system_sgpr_workgroup_id_z 0
		.amdhsa_system_sgpr_workgroup_info 0
		.amdhsa_system_vgpr_workitem_id 0
		.amdhsa_next_free_vgpr 1
		.amdhsa_next_free_sgpr 0
		.amdhsa_accum_offset 4
		.amdhsa_reserve_vcc 0
		.amdhsa_reserve_flat_scratch 0
		.amdhsa_float_round_mode_32 0
		.amdhsa_float_round_mode_16_64 0
		.amdhsa_float_denorm_mode_32 3
		.amdhsa_float_denorm_mode_16_64 3
		.amdhsa_dx10_clamp 1
		.amdhsa_ieee_mode 1
		.amdhsa_fp16_overflow 0
		.amdhsa_tg_split 0
		.amdhsa_exception_fp_ieee_invalid_op 0
		.amdhsa_exception_fp_denorm_src 0
		.amdhsa_exception_fp_ieee_div_zero 0
		.amdhsa_exception_fp_ieee_overflow 0
		.amdhsa_exception_fp_ieee_underflow 0
		.amdhsa_exception_fp_ieee_inexact 0
		.amdhsa_exception_int_div_zero 0
	.end_amdhsa_kernel
	.section	.text._ZN7rocprim17ROCPRIM_400000_NS6detail17trampoline_kernelINS0_14default_configENS1_20scan_config_selectorIiEEZZNS1_9scan_implILNS1_25lookback_scan_determinismE0ELb1ELb1ES3_N6thrust23THRUST_200600_302600_NS6detail15normal_iteratorINS9_10device_ptrIiEEEESE_iNS9_4plusIvEEiEEDaPvRmT3_T4_T5_mT6_P12ihipStream_tbENKUlT_T0_E_clISt17integral_constantIbLb1EEST_IbLb0EEEEDaSP_SQ_EUlSP_E0_NS1_11comp_targetILNS1_3genE2ELNS1_11target_archE906ELNS1_3gpuE6ELNS1_3repE0EEENS1_30default_config_static_selectorELNS0_4arch9wavefront6targetE1EEEvT1_,"axG",@progbits,_ZN7rocprim17ROCPRIM_400000_NS6detail17trampoline_kernelINS0_14default_configENS1_20scan_config_selectorIiEEZZNS1_9scan_implILNS1_25lookback_scan_determinismE0ELb1ELb1ES3_N6thrust23THRUST_200600_302600_NS6detail15normal_iteratorINS9_10device_ptrIiEEEESE_iNS9_4plusIvEEiEEDaPvRmT3_T4_T5_mT6_P12ihipStream_tbENKUlT_T0_E_clISt17integral_constantIbLb1EEST_IbLb0EEEEDaSP_SQ_EUlSP_E0_NS1_11comp_targetILNS1_3genE2ELNS1_11target_archE906ELNS1_3gpuE6ELNS1_3repE0EEENS1_30default_config_static_selectorELNS0_4arch9wavefront6targetE1EEEvT1_,comdat
.Lfunc_end853:
	.size	_ZN7rocprim17ROCPRIM_400000_NS6detail17trampoline_kernelINS0_14default_configENS1_20scan_config_selectorIiEEZZNS1_9scan_implILNS1_25lookback_scan_determinismE0ELb1ELb1ES3_N6thrust23THRUST_200600_302600_NS6detail15normal_iteratorINS9_10device_ptrIiEEEESE_iNS9_4plusIvEEiEEDaPvRmT3_T4_T5_mT6_P12ihipStream_tbENKUlT_T0_E_clISt17integral_constantIbLb1EEST_IbLb0EEEEDaSP_SQ_EUlSP_E0_NS1_11comp_targetILNS1_3genE2ELNS1_11target_archE906ELNS1_3gpuE6ELNS1_3repE0EEENS1_30default_config_static_selectorELNS0_4arch9wavefront6targetE1EEEvT1_, .Lfunc_end853-_ZN7rocprim17ROCPRIM_400000_NS6detail17trampoline_kernelINS0_14default_configENS1_20scan_config_selectorIiEEZZNS1_9scan_implILNS1_25lookback_scan_determinismE0ELb1ELb1ES3_N6thrust23THRUST_200600_302600_NS6detail15normal_iteratorINS9_10device_ptrIiEEEESE_iNS9_4plusIvEEiEEDaPvRmT3_T4_T5_mT6_P12ihipStream_tbENKUlT_T0_E_clISt17integral_constantIbLb1EEST_IbLb0EEEEDaSP_SQ_EUlSP_E0_NS1_11comp_targetILNS1_3genE2ELNS1_11target_archE906ELNS1_3gpuE6ELNS1_3repE0EEENS1_30default_config_static_selectorELNS0_4arch9wavefront6targetE1EEEvT1_
                                        ; -- End function
	.section	.AMDGPU.csdata,"",@progbits
; Kernel info:
; codeLenInByte = 0
; NumSgprs: 4
; NumVgprs: 0
; NumAgprs: 0
; TotalNumVgprs: 0
; ScratchSize: 0
; MemoryBound: 0
; FloatMode: 240
; IeeeMode: 1
; LDSByteSize: 0 bytes/workgroup (compile time only)
; SGPRBlocks: 0
; VGPRBlocks: 0
; NumSGPRsForWavesPerEU: 4
; NumVGPRsForWavesPerEU: 1
; AccumOffset: 4
; Occupancy: 8
; WaveLimiterHint : 0
; COMPUTE_PGM_RSRC2:SCRATCH_EN: 0
; COMPUTE_PGM_RSRC2:USER_SGPR: 6
; COMPUTE_PGM_RSRC2:TRAP_HANDLER: 0
; COMPUTE_PGM_RSRC2:TGID_X_EN: 1
; COMPUTE_PGM_RSRC2:TGID_Y_EN: 0
; COMPUTE_PGM_RSRC2:TGID_Z_EN: 0
; COMPUTE_PGM_RSRC2:TIDIG_COMP_CNT: 0
; COMPUTE_PGM_RSRC3_GFX90A:ACCUM_OFFSET: 0
; COMPUTE_PGM_RSRC3_GFX90A:TG_SPLIT: 0
	.section	.text._ZN7rocprim17ROCPRIM_400000_NS6detail17trampoline_kernelINS0_14default_configENS1_20scan_config_selectorIiEEZZNS1_9scan_implILNS1_25lookback_scan_determinismE0ELb1ELb1ES3_N6thrust23THRUST_200600_302600_NS6detail15normal_iteratorINS9_10device_ptrIiEEEESE_iNS9_4plusIvEEiEEDaPvRmT3_T4_T5_mT6_P12ihipStream_tbENKUlT_T0_E_clISt17integral_constantIbLb1EEST_IbLb0EEEEDaSP_SQ_EUlSP_E0_NS1_11comp_targetILNS1_3genE10ELNS1_11target_archE1201ELNS1_3gpuE5ELNS1_3repE0EEENS1_30default_config_static_selectorELNS0_4arch9wavefront6targetE1EEEvT1_,"axG",@progbits,_ZN7rocprim17ROCPRIM_400000_NS6detail17trampoline_kernelINS0_14default_configENS1_20scan_config_selectorIiEEZZNS1_9scan_implILNS1_25lookback_scan_determinismE0ELb1ELb1ES3_N6thrust23THRUST_200600_302600_NS6detail15normal_iteratorINS9_10device_ptrIiEEEESE_iNS9_4plusIvEEiEEDaPvRmT3_T4_T5_mT6_P12ihipStream_tbENKUlT_T0_E_clISt17integral_constantIbLb1EEST_IbLb0EEEEDaSP_SQ_EUlSP_E0_NS1_11comp_targetILNS1_3genE10ELNS1_11target_archE1201ELNS1_3gpuE5ELNS1_3repE0EEENS1_30default_config_static_selectorELNS0_4arch9wavefront6targetE1EEEvT1_,comdat
	.protected	_ZN7rocprim17ROCPRIM_400000_NS6detail17trampoline_kernelINS0_14default_configENS1_20scan_config_selectorIiEEZZNS1_9scan_implILNS1_25lookback_scan_determinismE0ELb1ELb1ES3_N6thrust23THRUST_200600_302600_NS6detail15normal_iteratorINS9_10device_ptrIiEEEESE_iNS9_4plusIvEEiEEDaPvRmT3_T4_T5_mT6_P12ihipStream_tbENKUlT_T0_E_clISt17integral_constantIbLb1EEST_IbLb0EEEEDaSP_SQ_EUlSP_E0_NS1_11comp_targetILNS1_3genE10ELNS1_11target_archE1201ELNS1_3gpuE5ELNS1_3repE0EEENS1_30default_config_static_selectorELNS0_4arch9wavefront6targetE1EEEvT1_ ; -- Begin function _ZN7rocprim17ROCPRIM_400000_NS6detail17trampoline_kernelINS0_14default_configENS1_20scan_config_selectorIiEEZZNS1_9scan_implILNS1_25lookback_scan_determinismE0ELb1ELb1ES3_N6thrust23THRUST_200600_302600_NS6detail15normal_iteratorINS9_10device_ptrIiEEEESE_iNS9_4plusIvEEiEEDaPvRmT3_T4_T5_mT6_P12ihipStream_tbENKUlT_T0_E_clISt17integral_constantIbLb1EEST_IbLb0EEEEDaSP_SQ_EUlSP_E0_NS1_11comp_targetILNS1_3genE10ELNS1_11target_archE1201ELNS1_3gpuE5ELNS1_3repE0EEENS1_30default_config_static_selectorELNS0_4arch9wavefront6targetE1EEEvT1_
	.globl	_ZN7rocprim17ROCPRIM_400000_NS6detail17trampoline_kernelINS0_14default_configENS1_20scan_config_selectorIiEEZZNS1_9scan_implILNS1_25lookback_scan_determinismE0ELb1ELb1ES3_N6thrust23THRUST_200600_302600_NS6detail15normal_iteratorINS9_10device_ptrIiEEEESE_iNS9_4plusIvEEiEEDaPvRmT3_T4_T5_mT6_P12ihipStream_tbENKUlT_T0_E_clISt17integral_constantIbLb1EEST_IbLb0EEEEDaSP_SQ_EUlSP_E0_NS1_11comp_targetILNS1_3genE10ELNS1_11target_archE1201ELNS1_3gpuE5ELNS1_3repE0EEENS1_30default_config_static_selectorELNS0_4arch9wavefront6targetE1EEEvT1_
	.p2align	8
	.type	_ZN7rocprim17ROCPRIM_400000_NS6detail17trampoline_kernelINS0_14default_configENS1_20scan_config_selectorIiEEZZNS1_9scan_implILNS1_25lookback_scan_determinismE0ELb1ELb1ES3_N6thrust23THRUST_200600_302600_NS6detail15normal_iteratorINS9_10device_ptrIiEEEESE_iNS9_4plusIvEEiEEDaPvRmT3_T4_T5_mT6_P12ihipStream_tbENKUlT_T0_E_clISt17integral_constantIbLb1EEST_IbLb0EEEEDaSP_SQ_EUlSP_E0_NS1_11comp_targetILNS1_3genE10ELNS1_11target_archE1201ELNS1_3gpuE5ELNS1_3repE0EEENS1_30default_config_static_selectorELNS0_4arch9wavefront6targetE1EEEvT1_,@function
_ZN7rocprim17ROCPRIM_400000_NS6detail17trampoline_kernelINS0_14default_configENS1_20scan_config_selectorIiEEZZNS1_9scan_implILNS1_25lookback_scan_determinismE0ELb1ELb1ES3_N6thrust23THRUST_200600_302600_NS6detail15normal_iteratorINS9_10device_ptrIiEEEESE_iNS9_4plusIvEEiEEDaPvRmT3_T4_T5_mT6_P12ihipStream_tbENKUlT_T0_E_clISt17integral_constantIbLb1EEST_IbLb0EEEEDaSP_SQ_EUlSP_E0_NS1_11comp_targetILNS1_3genE10ELNS1_11target_archE1201ELNS1_3gpuE5ELNS1_3repE0EEENS1_30default_config_static_selectorELNS0_4arch9wavefront6targetE1EEEvT1_: ; @_ZN7rocprim17ROCPRIM_400000_NS6detail17trampoline_kernelINS0_14default_configENS1_20scan_config_selectorIiEEZZNS1_9scan_implILNS1_25lookback_scan_determinismE0ELb1ELb1ES3_N6thrust23THRUST_200600_302600_NS6detail15normal_iteratorINS9_10device_ptrIiEEEESE_iNS9_4plusIvEEiEEDaPvRmT3_T4_T5_mT6_P12ihipStream_tbENKUlT_T0_E_clISt17integral_constantIbLb1EEST_IbLb0EEEEDaSP_SQ_EUlSP_E0_NS1_11comp_targetILNS1_3genE10ELNS1_11target_archE1201ELNS1_3gpuE5ELNS1_3repE0EEENS1_30default_config_static_selectorELNS0_4arch9wavefront6targetE1EEEvT1_
; %bb.0:
	.section	.rodata,"a",@progbits
	.p2align	6, 0x0
	.amdhsa_kernel _ZN7rocprim17ROCPRIM_400000_NS6detail17trampoline_kernelINS0_14default_configENS1_20scan_config_selectorIiEEZZNS1_9scan_implILNS1_25lookback_scan_determinismE0ELb1ELb1ES3_N6thrust23THRUST_200600_302600_NS6detail15normal_iteratorINS9_10device_ptrIiEEEESE_iNS9_4plusIvEEiEEDaPvRmT3_T4_T5_mT6_P12ihipStream_tbENKUlT_T0_E_clISt17integral_constantIbLb1EEST_IbLb0EEEEDaSP_SQ_EUlSP_E0_NS1_11comp_targetILNS1_3genE10ELNS1_11target_archE1201ELNS1_3gpuE5ELNS1_3repE0EEENS1_30default_config_static_selectorELNS0_4arch9wavefront6targetE1EEEvT1_
		.amdhsa_group_segment_fixed_size 0
		.amdhsa_private_segment_fixed_size 0
		.amdhsa_kernarg_size 32
		.amdhsa_user_sgpr_count 6
		.amdhsa_user_sgpr_private_segment_buffer 1
		.amdhsa_user_sgpr_dispatch_ptr 0
		.amdhsa_user_sgpr_queue_ptr 0
		.amdhsa_user_sgpr_kernarg_segment_ptr 1
		.amdhsa_user_sgpr_dispatch_id 0
		.amdhsa_user_sgpr_flat_scratch_init 0
		.amdhsa_user_sgpr_kernarg_preload_length 0
		.amdhsa_user_sgpr_kernarg_preload_offset 0
		.amdhsa_user_sgpr_private_segment_size 0
		.amdhsa_uses_dynamic_stack 0
		.amdhsa_system_sgpr_private_segment_wavefront_offset 0
		.amdhsa_system_sgpr_workgroup_id_x 1
		.amdhsa_system_sgpr_workgroup_id_y 0
		.amdhsa_system_sgpr_workgroup_id_z 0
		.amdhsa_system_sgpr_workgroup_info 0
		.amdhsa_system_vgpr_workitem_id 0
		.amdhsa_next_free_vgpr 1
		.amdhsa_next_free_sgpr 0
		.amdhsa_accum_offset 4
		.amdhsa_reserve_vcc 0
		.amdhsa_reserve_flat_scratch 0
		.amdhsa_float_round_mode_32 0
		.amdhsa_float_round_mode_16_64 0
		.amdhsa_float_denorm_mode_32 3
		.amdhsa_float_denorm_mode_16_64 3
		.amdhsa_dx10_clamp 1
		.amdhsa_ieee_mode 1
		.amdhsa_fp16_overflow 0
		.amdhsa_tg_split 0
		.amdhsa_exception_fp_ieee_invalid_op 0
		.amdhsa_exception_fp_denorm_src 0
		.amdhsa_exception_fp_ieee_div_zero 0
		.amdhsa_exception_fp_ieee_overflow 0
		.amdhsa_exception_fp_ieee_underflow 0
		.amdhsa_exception_fp_ieee_inexact 0
		.amdhsa_exception_int_div_zero 0
	.end_amdhsa_kernel
	.section	.text._ZN7rocprim17ROCPRIM_400000_NS6detail17trampoline_kernelINS0_14default_configENS1_20scan_config_selectorIiEEZZNS1_9scan_implILNS1_25lookback_scan_determinismE0ELb1ELb1ES3_N6thrust23THRUST_200600_302600_NS6detail15normal_iteratorINS9_10device_ptrIiEEEESE_iNS9_4plusIvEEiEEDaPvRmT3_T4_T5_mT6_P12ihipStream_tbENKUlT_T0_E_clISt17integral_constantIbLb1EEST_IbLb0EEEEDaSP_SQ_EUlSP_E0_NS1_11comp_targetILNS1_3genE10ELNS1_11target_archE1201ELNS1_3gpuE5ELNS1_3repE0EEENS1_30default_config_static_selectorELNS0_4arch9wavefront6targetE1EEEvT1_,"axG",@progbits,_ZN7rocprim17ROCPRIM_400000_NS6detail17trampoline_kernelINS0_14default_configENS1_20scan_config_selectorIiEEZZNS1_9scan_implILNS1_25lookback_scan_determinismE0ELb1ELb1ES3_N6thrust23THRUST_200600_302600_NS6detail15normal_iteratorINS9_10device_ptrIiEEEESE_iNS9_4plusIvEEiEEDaPvRmT3_T4_T5_mT6_P12ihipStream_tbENKUlT_T0_E_clISt17integral_constantIbLb1EEST_IbLb0EEEEDaSP_SQ_EUlSP_E0_NS1_11comp_targetILNS1_3genE10ELNS1_11target_archE1201ELNS1_3gpuE5ELNS1_3repE0EEENS1_30default_config_static_selectorELNS0_4arch9wavefront6targetE1EEEvT1_,comdat
.Lfunc_end854:
	.size	_ZN7rocprim17ROCPRIM_400000_NS6detail17trampoline_kernelINS0_14default_configENS1_20scan_config_selectorIiEEZZNS1_9scan_implILNS1_25lookback_scan_determinismE0ELb1ELb1ES3_N6thrust23THRUST_200600_302600_NS6detail15normal_iteratorINS9_10device_ptrIiEEEESE_iNS9_4plusIvEEiEEDaPvRmT3_T4_T5_mT6_P12ihipStream_tbENKUlT_T0_E_clISt17integral_constantIbLb1EEST_IbLb0EEEEDaSP_SQ_EUlSP_E0_NS1_11comp_targetILNS1_3genE10ELNS1_11target_archE1201ELNS1_3gpuE5ELNS1_3repE0EEENS1_30default_config_static_selectorELNS0_4arch9wavefront6targetE1EEEvT1_, .Lfunc_end854-_ZN7rocprim17ROCPRIM_400000_NS6detail17trampoline_kernelINS0_14default_configENS1_20scan_config_selectorIiEEZZNS1_9scan_implILNS1_25lookback_scan_determinismE0ELb1ELb1ES3_N6thrust23THRUST_200600_302600_NS6detail15normal_iteratorINS9_10device_ptrIiEEEESE_iNS9_4plusIvEEiEEDaPvRmT3_T4_T5_mT6_P12ihipStream_tbENKUlT_T0_E_clISt17integral_constantIbLb1EEST_IbLb0EEEEDaSP_SQ_EUlSP_E0_NS1_11comp_targetILNS1_3genE10ELNS1_11target_archE1201ELNS1_3gpuE5ELNS1_3repE0EEENS1_30default_config_static_selectorELNS0_4arch9wavefront6targetE1EEEvT1_
                                        ; -- End function
	.section	.AMDGPU.csdata,"",@progbits
; Kernel info:
; codeLenInByte = 0
; NumSgprs: 4
; NumVgprs: 0
; NumAgprs: 0
; TotalNumVgprs: 0
; ScratchSize: 0
; MemoryBound: 0
; FloatMode: 240
; IeeeMode: 1
; LDSByteSize: 0 bytes/workgroup (compile time only)
; SGPRBlocks: 0
; VGPRBlocks: 0
; NumSGPRsForWavesPerEU: 4
; NumVGPRsForWavesPerEU: 1
; AccumOffset: 4
; Occupancy: 8
; WaveLimiterHint : 0
; COMPUTE_PGM_RSRC2:SCRATCH_EN: 0
; COMPUTE_PGM_RSRC2:USER_SGPR: 6
; COMPUTE_PGM_RSRC2:TRAP_HANDLER: 0
; COMPUTE_PGM_RSRC2:TGID_X_EN: 1
; COMPUTE_PGM_RSRC2:TGID_Y_EN: 0
; COMPUTE_PGM_RSRC2:TGID_Z_EN: 0
; COMPUTE_PGM_RSRC2:TIDIG_COMP_CNT: 0
; COMPUTE_PGM_RSRC3_GFX90A:ACCUM_OFFSET: 0
; COMPUTE_PGM_RSRC3_GFX90A:TG_SPLIT: 0
	.section	.text._ZN7rocprim17ROCPRIM_400000_NS6detail17trampoline_kernelINS0_14default_configENS1_20scan_config_selectorIiEEZZNS1_9scan_implILNS1_25lookback_scan_determinismE0ELb1ELb1ES3_N6thrust23THRUST_200600_302600_NS6detail15normal_iteratorINS9_10device_ptrIiEEEESE_iNS9_4plusIvEEiEEDaPvRmT3_T4_T5_mT6_P12ihipStream_tbENKUlT_T0_E_clISt17integral_constantIbLb1EEST_IbLb0EEEEDaSP_SQ_EUlSP_E0_NS1_11comp_targetILNS1_3genE10ELNS1_11target_archE1200ELNS1_3gpuE4ELNS1_3repE0EEENS1_30default_config_static_selectorELNS0_4arch9wavefront6targetE1EEEvT1_,"axG",@progbits,_ZN7rocprim17ROCPRIM_400000_NS6detail17trampoline_kernelINS0_14default_configENS1_20scan_config_selectorIiEEZZNS1_9scan_implILNS1_25lookback_scan_determinismE0ELb1ELb1ES3_N6thrust23THRUST_200600_302600_NS6detail15normal_iteratorINS9_10device_ptrIiEEEESE_iNS9_4plusIvEEiEEDaPvRmT3_T4_T5_mT6_P12ihipStream_tbENKUlT_T0_E_clISt17integral_constantIbLb1EEST_IbLb0EEEEDaSP_SQ_EUlSP_E0_NS1_11comp_targetILNS1_3genE10ELNS1_11target_archE1200ELNS1_3gpuE4ELNS1_3repE0EEENS1_30default_config_static_selectorELNS0_4arch9wavefront6targetE1EEEvT1_,comdat
	.protected	_ZN7rocprim17ROCPRIM_400000_NS6detail17trampoline_kernelINS0_14default_configENS1_20scan_config_selectorIiEEZZNS1_9scan_implILNS1_25lookback_scan_determinismE0ELb1ELb1ES3_N6thrust23THRUST_200600_302600_NS6detail15normal_iteratorINS9_10device_ptrIiEEEESE_iNS9_4plusIvEEiEEDaPvRmT3_T4_T5_mT6_P12ihipStream_tbENKUlT_T0_E_clISt17integral_constantIbLb1EEST_IbLb0EEEEDaSP_SQ_EUlSP_E0_NS1_11comp_targetILNS1_3genE10ELNS1_11target_archE1200ELNS1_3gpuE4ELNS1_3repE0EEENS1_30default_config_static_selectorELNS0_4arch9wavefront6targetE1EEEvT1_ ; -- Begin function _ZN7rocprim17ROCPRIM_400000_NS6detail17trampoline_kernelINS0_14default_configENS1_20scan_config_selectorIiEEZZNS1_9scan_implILNS1_25lookback_scan_determinismE0ELb1ELb1ES3_N6thrust23THRUST_200600_302600_NS6detail15normal_iteratorINS9_10device_ptrIiEEEESE_iNS9_4plusIvEEiEEDaPvRmT3_T4_T5_mT6_P12ihipStream_tbENKUlT_T0_E_clISt17integral_constantIbLb1EEST_IbLb0EEEEDaSP_SQ_EUlSP_E0_NS1_11comp_targetILNS1_3genE10ELNS1_11target_archE1200ELNS1_3gpuE4ELNS1_3repE0EEENS1_30default_config_static_selectorELNS0_4arch9wavefront6targetE1EEEvT1_
	.globl	_ZN7rocprim17ROCPRIM_400000_NS6detail17trampoline_kernelINS0_14default_configENS1_20scan_config_selectorIiEEZZNS1_9scan_implILNS1_25lookback_scan_determinismE0ELb1ELb1ES3_N6thrust23THRUST_200600_302600_NS6detail15normal_iteratorINS9_10device_ptrIiEEEESE_iNS9_4plusIvEEiEEDaPvRmT3_T4_T5_mT6_P12ihipStream_tbENKUlT_T0_E_clISt17integral_constantIbLb1EEST_IbLb0EEEEDaSP_SQ_EUlSP_E0_NS1_11comp_targetILNS1_3genE10ELNS1_11target_archE1200ELNS1_3gpuE4ELNS1_3repE0EEENS1_30default_config_static_selectorELNS0_4arch9wavefront6targetE1EEEvT1_
	.p2align	8
	.type	_ZN7rocprim17ROCPRIM_400000_NS6detail17trampoline_kernelINS0_14default_configENS1_20scan_config_selectorIiEEZZNS1_9scan_implILNS1_25lookback_scan_determinismE0ELb1ELb1ES3_N6thrust23THRUST_200600_302600_NS6detail15normal_iteratorINS9_10device_ptrIiEEEESE_iNS9_4plusIvEEiEEDaPvRmT3_T4_T5_mT6_P12ihipStream_tbENKUlT_T0_E_clISt17integral_constantIbLb1EEST_IbLb0EEEEDaSP_SQ_EUlSP_E0_NS1_11comp_targetILNS1_3genE10ELNS1_11target_archE1200ELNS1_3gpuE4ELNS1_3repE0EEENS1_30default_config_static_selectorELNS0_4arch9wavefront6targetE1EEEvT1_,@function
_ZN7rocprim17ROCPRIM_400000_NS6detail17trampoline_kernelINS0_14default_configENS1_20scan_config_selectorIiEEZZNS1_9scan_implILNS1_25lookback_scan_determinismE0ELb1ELb1ES3_N6thrust23THRUST_200600_302600_NS6detail15normal_iteratorINS9_10device_ptrIiEEEESE_iNS9_4plusIvEEiEEDaPvRmT3_T4_T5_mT6_P12ihipStream_tbENKUlT_T0_E_clISt17integral_constantIbLb1EEST_IbLb0EEEEDaSP_SQ_EUlSP_E0_NS1_11comp_targetILNS1_3genE10ELNS1_11target_archE1200ELNS1_3gpuE4ELNS1_3repE0EEENS1_30default_config_static_selectorELNS0_4arch9wavefront6targetE1EEEvT1_: ; @_ZN7rocprim17ROCPRIM_400000_NS6detail17trampoline_kernelINS0_14default_configENS1_20scan_config_selectorIiEEZZNS1_9scan_implILNS1_25lookback_scan_determinismE0ELb1ELb1ES3_N6thrust23THRUST_200600_302600_NS6detail15normal_iteratorINS9_10device_ptrIiEEEESE_iNS9_4plusIvEEiEEDaPvRmT3_T4_T5_mT6_P12ihipStream_tbENKUlT_T0_E_clISt17integral_constantIbLb1EEST_IbLb0EEEEDaSP_SQ_EUlSP_E0_NS1_11comp_targetILNS1_3genE10ELNS1_11target_archE1200ELNS1_3gpuE4ELNS1_3repE0EEENS1_30default_config_static_selectorELNS0_4arch9wavefront6targetE1EEEvT1_
; %bb.0:
	.section	.rodata,"a",@progbits
	.p2align	6, 0x0
	.amdhsa_kernel _ZN7rocprim17ROCPRIM_400000_NS6detail17trampoline_kernelINS0_14default_configENS1_20scan_config_selectorIiEEZZNS1_9scan_implILNS1_25lookback_scan_determinismE0ELb1ELb1ES3_N6thrust23THRUST_200600_302600_NS6detail15normal_iteratorINS9_10device_ptrIiEEEESE_iNS9_4plusIvEEiEEDaPvRmT3_T4_T5_mT6_P12ihipStream_tbENKUlT_T0_E_clISt17integral_constantIbLb1EEST_IbLb0EEEEDaSP_SQ_EUlSP_E0_NS1_11comp_targetILNS1_3genE10ELNS1_11target_archE1200ELNS1_3gpuE4ELNS1_3repE0EEENS1_30default_config_static_selectorELNS0_4arch9wavefront6targetE1EEEvT1_
		.amdhsa_group_segment_fixed_size 0
		.amdhsa_private_segment_fixed_size 0
		.amdhsa_kernarg_size 32
		.amdhsa_user_sgpr_count 6
		.amdhsa_user_sgpr_private_segment_buffer 1
		.amdhsa_user_sgpr_dispatch_ptr 0
		.amdhsa_user_sgpr_queue_ptr 0
		.amdhsa_user_sgpr_kernarg_segment_ptr 1
		.amdhsa_user_sgpr_dispatch_id 0
		.amdhsa_user_sgpr_flat_scratch_init 0
		.amdhsa_user_sgpr_kernarg_preload_length 0
		.amdhsa_user_sgpr_kernarg_preload_offset 0
		.amdhsa_user_sgpr_private_segment_size 0
		.amdhsa_uses_dynamic_stack 0
		.amdhsa_system_sgpr_private_segment_wavefront_offset 0
		.amdhsa_system_sgpr_workgroup_id_x 1
		.amdhsa_system_sgpr_workgroup_id_y 0
		.amdhsa_system_sgpr_workgroup_id_z 0
		.amdhsa_system_sgpr_workgroup_info 0
		.amdhsa_system_vgpr_workitem_id 0
		.amdhsa_next_free_vgpr 1
		.amdhsa_next_free_sgpr 0
		.amdhsa_accum_offset 4
		.amdhsa_reserve_vcc 0
		.amdhsa_reserve_flat_scratch 0
		.amdhsa_float_round_mode_32 0
		.amdhsa_float_round_mode_16_64 0
		.amdhsa_float_denorm_mode_32 3
		.amdhsa_float_denorm_mode_16_64 3
		.amdhsa_dx10_clamp 1
		.amdhsa_ieee_mode 1
		.amdhsa_fp16_overflow 0
		.amdhsa_tg_split 0
		.amdhsa_exception_fp_ieee_invalid_op 0
		.amdhsa_exception_fp_denorm_src 0
		.amdhsa_exception_fp_ieee_div_zero 0
		.amdhsa_exception_fp_ieee_overflow 0
		.amdhsa_exception_fp_ieee_underflow 0
		.amdhsa_exception_fp_ieee_inexact 0
		.amdhsa_exception_int_div_zero 0
	.end_amdhsa_kernel
	.section	.text._ZN7rocprim17ROCPRIM_400000_NS6detail17trampoline_kernelINS0_14default_configENS1_20scan_config_selectorIiEEZZNS1_9scan_implILNS1_25lookback_scan_determinismE0ELb1ELb1ES3_N6thrust23THRUST_200600_302600_NS6detail15normal_iteratorINS9_10device_ptrIiEEEESE_iNS9_4plusIvEEiEEDaPvRmT3_T4_T5_mT6_P12ihipStream_tbENKUlT_T0_E_clISt17integral_constantIbLb1EEST_IbLb0EEEEDaSP_SQ_EUlSP_E0_NS1_11comp_targetILNS1_3genE10ELNS1_11target_archE1200ELNS1_3gpuE4ELNS1_3repE0EEENS1_30default_config_static_selectorELNS0_4arch9wavefront6targetE1EEEvT1_,"axG",@progbits,_ZN7rocprim17ROCPRIM_400000_NS6detail17trampoline_kernelINS0_14default_configENS1_20scan_config_selectorIiEEZZNS1_9scan_implILNS1_25lookback_scan_determinismE0ELb1ELb1ES3_N6thrust23THRUST_200600_302600_NS6detail15normal_iteratorINS9_10device_ptrIiEEEESE_iNS9_4plusIvEEiEEDaPvRmT3_T4_T5_mT6_P12ihipStream_tbENKUlT_T0_E_clISt17integral_constantIbLb1EEST_IbLb0EEEEDaSP_SQ_EUlSP_E0_NS1_11comp_targetILNS1_3genE10ELNS1_11target_archE1200ELNS1_3gpuE4ELNS1_3repE0EEENS1_30default_config_static_selectorELNS0_4arch9wavefront6targetE1EEEvT1_,comdat
.Lfunc_end855:
	.size	_ZN7rocprim17ROCPRIM_400000_NS6detail17trampoline_kernelINS0_14default_configENS1_20scan_config_selectorIiEEZZNS1_9scan_implILNS1_25lookback_scan_determinismE0ELb1ELb1ES3_N6thrust23THRUST_200600_302600_NS6detail15normal_iteratorINS9_10device_ptrIiEEEESE_iNS9_4plusIvEEiEEDaPvRmT3_T4_T5_mT6_P12ihipStream_tbENKUlT_T0_E_clISt17integral_constantIbLb1EEST_IbLb0EEEEDaSP_SQ_EUlSP_E0_NS1_11comp_targetILNS1_3genE10ELNS1_11target_archE1200ELNS1_3gpuE4ELNS1_3repE0EEENS1_30default_config_static_selectorELNS0_4arch9wavefront6targetE1EEEvT1_, .Lfunc_end855-_ZN7rocprim17ROCPRIM_400000_NS6detail17trampoline_kernelINS0_14default_configENS1_20scan_config_selectorIiEEZZNS1_9scan_implILNS1_25lookback_scan_determinismE0ELb1ELb1ES3_N6thrust23THRUST_200600_302600_NS6detail15normal_iteratorINS9_10device_ptrIiEEEESE_iNS9_4plusIvEEiEEDaPvRmT3_T4_T5_mT6_P12ihipStream_tbENKUlT_T0_E_clISt17integral_constantIbLb1EEST_IbLb0EEEEDaSP_SQ_EUlSP_E0_NS1_11comp_targetILNS1_3genE10ELNS1_11target_archE1200ELNS1_3gpuE4ELNS1_3repE0EEENS1_30default_config_static_selectorELNS0_4arch9wavefront6targetE1EEEvT1_
                                        ; -- End function
	.section	.AMDGPU.csdata,"",@progbits
; Kernel info:
; codeLenInByte = 0
; NumSgprs: 4
; NumVgprs: 0
; NumAgprs: 0
; TotalNumVgprs: 0
; ScratchSize: 0
; MemoryBound: 0
; FloatMode: 240
; IeeeMode: 1
; LDSByteSize: 0 bytes/workgroup (compile time only)
; SGPRBlocks: 0
; VGPRBlocks: 0
; NumSGPRsForWavesPerEU: 4
; NumVGPRsForWavesPerEU: 1
; AccumOffset: 4
; Occupancy: 8
; WaveLimiterHint : 0
; COMPUTE_PGM_RSRC2:SCRATCH_EN: 0
; COMPUTE_PGM_RSRC2:USER_SGPR: 6
; COMPUTE_PGM_RSRC2:TRAP_HANDLER: 0
; COMPUTE_PGM_RSRC2:TGID_X_EN: 1
; COMPUTE_PGM_RSRC2:TGID_Y_EN: 0
; COMPUTE_PGM_RSRC2:TGID_Z_EN: 0
; COMPUTE_PGM_RSRC2:TIDIG_COMP_CNT: 0
; COMPUTE_PGM_RSRC3_GFX90A:ACCUM_OFFSET: 0
; COMPUTE_PGM_RSRC3_GFX90A:TG_SPLIT: 0
	.section	.text._ZN7rocprim17ROCPRIM_400000_NS6detail17trampoline_kernelINS0_14default_configENS1_20scan_config_selectorIiEEZZNS1_9scan_implILNS1_25lookback_scan_determinismE0ELb1ELb1ES3_N6thrust23THRUST_200600_302600_NS6detail15normal_iteratorINS9_10device_ptrIiEEEESE_iNS9_4plusIvEEiEEDaPvRmT3_T4_T5_mT6_P12ihipStream_tbENKUlT_T0_E_clISt17integral_constantIbLb1EEST_IbLb0EEEEDaSP_SQ_EUlSP_E0_NS1_11comp_targetILNS1_3genE9ELNS1_11target_archE1100ELNS1_3gpuE3ELNS1_3repE0EEENS1_30default_config_static_selectorELNS0_4arch9wavefront6targetE1EEEvT1_,"axG",@progbits,_ZN7rocprim17ROCPRIM_400000_NS6detail17trampoline_kernelINS0_14default_configENS1_20scan_config_selectorIiEEZZNS1_9scan_implILNS1_25lookback_scan_determinismE0ELb1ELb1ES3_N6thrust23THRUST_200600_302600_NS6detail15normal_iteratorINS9_10device_ptrIiEEEESE_iNS9_4plusIvEEiEEDaPvRmT3_T4_T5_mT6_P12ihipStream_tbENKUlT_T0_E_clISt17integral_constantIbLb1EEST_IbLb0EEEEDaSP_SQ_EUlSP_E0_NS1_11comp_targetILNS1_3genE9ELNS1_11target_archE1100ELNS1_3gpuE3ELNS1_3repE0EEENS1_30default_config_static_selectorELNS0_4arch9wavefront6targetE1EEEvT1_,comdat
	.protected	_ZN7rocprim17ROCPRIM_400000_NS6detail17trampoline_kernelINS0_14default_configENS1_20scan_config_selectorIiEEZZNS1_9scan_implILNS1_25lookback_scan_determinismE0ELb1ELb1ES3_N6thrust23THRUST_200600_302600_NS6detail15normal_iteratorINS9_10device_ptrIiEEEESE_iNS9_4plusIvEEiEEDaPvRmT3_T4_T5_mT6_P12ihipStream_tbENKUlT_T0_E_clISt17integral_constantIbLb1EEST_IbLb0EEEEDaSP_SQ_EUlSP_E0_NS1_11comp_targetILNS1_3genE9ELNS1_11target_archE1100ELNS1_3gpuE3ELNS1_3repE0EEENS1_30default_config_static_selectorELNS0_4arch9wavefront6targetE1EEEvT1_ ; -- Begin function _ZN7rocprim17ROCPRIM_400000_NS6detail17trampoline_kernelINS0_14default_configENS1_20scan_config_selectorIiEEZZNS1_9scan_implILNS1_25lookback_scan_determinismE0ELb1ELb1ES3_N6thrust23THRUST_200600_302600_NS6detail15normal_iteratorINS9_10device_ptrIiEEEESE_iNS9_4plusIvEEiEEDaPvRmT3_T4_T5_mT6_P12ihipStream_tbENKUlT_T0_E_clISt17integral_constantIbLb1EEST_IbLb0EEEEDaSP_SQ_EUlSP_E0_NS1_11comp_targetILNS1_3genE9ELNS1_11target_archE1100ELNS1_3gpuE3ELNS1_3repE0EEENS1_30default_config_static_selectorELNS0_4arch9wavefront6targetE1EEEvT1_
	.globl	_ZN7rocprim17ROCPRIM_400000_NS6detail17trampoline_kernelINS0_14default_configENS1_20scan_config_selectorIiEEZZNS1_9scan_implILNS1_25lookback_scan_determinismE0ELb1ELb1ES3_N6thrust23THRUST_200600_302600_NS6detail15normal_iteratorINS9_10device_ptrIiEEEESE_iNS9_4plusIvEEiEEDaPvRmT3_T4_T5_mT6_P12ihipStream_tbENKUlT_T0_E_clISt17integral_constantIbLb1EEST_IbLb0EEEEDaSP_SQ_EUlSP_E0_NS1_11comp_targetILNS1_3genE9ELNS1_11target_archE1100ELNS1_3gpuE3ELNS1_3repE0EEENS1_30default_config_static_selectorELNS0_4arch9wavefront6targetE1EEEvT1_
	.p2align	8
	.type	_ZN7rocprim17ROCPRIM_400000_NS6detail17trampoline_kernelINS0_14default_configENS1_20scan_config_selectorIiEEZZNS1_9scan_implILNS1_25lookback_scan_determinismE0ELb1ELb1ES3_N6thrust23THRUST_200600_302600_NS6detail15normal_iteratorINS9_10device_ptrIiEEEESE_iNS9_4plusIvEEiEEDaPvRmT3_T4_T5_mT6_P12ihipStream_tbENKUlT_T0_E_clISt17integral_constantIbLb1EEST_IbLb0EEEEDaSP_SQ_EUlSP_E0_NS1_11comp_targetILNS1_3genE9ELNS1_11target_archE1100ELNS1_3gpuE3ELNS1_3repE0EEENS1_30default_config_static_selectorELNS0_4arch9wavefront6targetE1EEEvT1_,@function
_ZN7rocprim17ROCPRIM_400000_NS6detail17trampoline_kernelINS0_14default_configENS1_20scan_config_selectorIiEEZZNS1_9scan_implILNS1_25lookback_scan_determinismE0ELb1ELb1ES3_N6thrust23THRUST_200600_302600_NS6detail15normal_iteratorINS9_10device_ptrIiEEEESE_iNS9_4plusIvEEiEEDaPvRmT3_T4_T5_mT6_P12ihipStream_tbENKUlT_T0_E_clISt17integral_constantIbLb1EEST_IbLb0EEEEDaSP_SQ_EUlSP_E0_NS1_11comp_targetILNS1_3genE9ELNS1_11target_archE1100ELNS1_3gpuE3ELNS1_3repE0EEENS1_30default_config_static_selectorELNS0_4arch9wavefront6targetE1EEEvT1_: ; @_ZN7rocprim17ROCPRIM_400000_NS6detail17trampoline_kernelINS0_14default_configENS1_20scan_config_selectorIiEEZZNS1_9scan_implILNS1_25lookback_scan_determinismE0ELb1ELb1ES3_N6thrust23THRUST_200600_302600_NS6detail15normal_iteratorINS9_10device_ptrIiEEEESE_iNS9_4plusIvEEiEEDaPvRmT3_T4_T5_mT6_P12ihipStream_tbENKUlT_T0_E_clISt17integral_constantIbLb1EEST_IbLb0EEEEDaSP_SQ_EUlSP_E0_NS1_11comp_targetILNS1_3genE9ELNS1_11target_archE1100ELNS1_3gpuE3ELNS1_3repE0EEENS1_30default_config_static_selectorELNS0_4arch9wavefront6targetE1EEEvT1_
; %bb.0:
	.section	.rodata,"a",@progbits
	.p2align	6, 0x0
	.amdhsa_kernel _ZN7rocprim17ROCPRIM_400000_NS6detail17trampoline_kernelINS0_14default_configENS1_20scan_config_selectorIiEEZZNS1_9scan_implILNS1_25lookback_scan_determinismE0ELb1ELb1ES3_N6thrust23THRUST_200600_302600_NS6detail15normal_iteratorINS9_10device_ptrIiEEEESE_iNS9_4plusIvEEiEEDaPvRmT3_T4_T5_mT6_P12ihipStream_tbENKUlT_T0_E_clISt17integral_constantIbLb1EEST_IbLb0EEEEDaSP_SQ_EUlSP_E0_NS1_11comp_targetILNS1_3genE9ELNS1_11target_archE1100ELNS1_3gpuE3ELNS1_3repE0EEENS1_30default_config_static_selectorELNS0_4arch9wavefront6targetE1EEEvT1_
		.amdhsa_group_segment_fixed_size 0
		.amdhsa_private_segment_fixed_size 0
		.amdhsa_kernarg_size 32
		.amdhsa_user_sgpr_count 6
		.amdhsa_user_sgpr_private_segment_buffer 1
		.amdhsa_user_sgpr_dispatch_ptr 0
		.amdhsa_user_sgpr_queue_ptr 0
		.amdhsa_user_sgpr_kernarg_segment_ptr 1
		.amdhsa_user_sgpr_dispatch_id 0
		.amdhsa_user_sgpr_flat_scratch_init 0
		.amdhsa_user_sgpr_kernarg_preload_length 0
		.amdhsa_user_sgpr_kernarg_preload_offset 0
		.amdhsa_user_sgpr_private_segment_size 0
		.amdhsa_uses_dynamic_stack 0
		.amdhsa_system_sgpr_private_segment_wavefront_offset 0
		.amdhsa_system_sgpr_workgroup_id_x 1
		.amdhsa_system_sgpr_workgroup_id_y 0
		.amdhsa_system_sgpr_workgroup_id_z 0
		.amdhsa_system_sgpr_workgroup_info 0
		.amdhsa_system_vgpr_workitem_id 0
		.amdhsa_next_free_vgpr 1
		.amdhsa_next_free_sgpr 0
		.amdhsa_accum_offset 4
		.amdhsa_reserve_vcc 0
		.amdhsa_reserve_flat_scratch 0
		.amdhsa_float_round_mode_32 0
		.amdhsa_float_round_mode_16_64 0
		.amdhsa_float_denorm_mode_32 3
		.amdhsa_float_denorm_mode_16_64 3
		.amdhsa_dx10_clamp 1
		.amdhsa_ieee_mode 1
		.amdhsa_fp16_overflow 0
		.amdhsa_tg_split 0
		.amdhsa_exception_fp_ieee_invalid_op 0
		.amdhsa_exception_fp_denorm_src 0
		.amdhsa_exception_fp_ieee_div_zero 0
		.amdhsa_exception_fp_ieee_overflow 0
		.amdhsa_exception_fp_ieee_underflow 0
		.amdhsa_exception_fp_ieee_inexact 0
		.amdhsa_exception_int_div_zero 0
	.end_amdhsa_kernel
	.section	.text._ZN7rocprim17ROCPRIM_400000_NS6detail17trampoline_kernelINS0_14default_configENS1_20scan_config_selectorIiEEZZNS1_9scan_implILNS1_25lookback_scan_determinismE0ELb1ELb1ES3_N6thrust23THRUST_200600_302600_NS6detail15normal_iteratorINS9_10device_ptrIiEEEESE_iNS9_4plusIvEEiEEDaPvRmT3_T4_T5_mT6_P12ihipStream_tbENKUlT_T0_E_clISt17integral_constantIbLb1EEST_IbLb0EEEEDaSP_SQ_EUlSP_E0_NS1_11comp_targetILNS1_3genE9ELNS1_11target_archE1100ELNS1_3gpuE3ELNS1_3repE0EEENS1_30default_config_static_selectorELNS0_4arch9wavefront6targetE1EEEvT1_,"axG",@progbits,_ZN7rocprim17ROCPRIM_400000_NS6detail17trampoline_kernelINS0_14default_configENS1_20scan_config_selectorIiEEZZNS1_9scan_implILNS1_25lookback_scan_determinismE0ELb1ELb1ES3_N6thrust23THRUST_200600_302600_NS6detail15normal_iteratorINS9_10device_ptrIiEEEESE_iNS9_4plusIvEEiEEDaPvRmT3_T4_T5_mT6_P12ihipStream_tbENKUlT_T0_E_clISt17integral_constantIbLb1EEST_IbLb0EEEEDaSP_SQ_EUlSP_E0_NS1_11comp_targetILNS1_3genE9ELNS1_11target_archE1100ELNS1_3gpuE3ELNS1_3repE0EEENS1_30default_config_static_selectorELNS0_4arch9wavefront6targetE1EEEvT1_,comdat
.Lfunc_end856:
	.size	_ZN7rocprim17ROCPRIM_400000_NS6detail17trampoline_kernelINS0_14default_configENS1_20scan_config_selectorIiEEZZNS1_9scan_implILNS1_25lookback_scan_determinismE0ELb1ELb1ES3_N6thrust23THRUST_200600_302600_NS6detail15normal_iteratorINS9_10device_ptrIiEEEESE_iNS9_4plusIvEEiEEDaPvRmT3_T4_T5_mT6_P12ihipStream_tbENKUlT_T0_E_clISt17integral_constantIbLb1EEST_IbLb0EEEEDaSP_SQ_EUlSP_E0_NS1_11comp_targetILNS1_3genE9ELNS1_11target_archE1100ELNS1_3gpuE3ELNS1_3repE0EEENS1_30default_config_static_selectorELNS0_4arch9wavefront6targetE1EEEvT1_, .Lfunc_end856-_ZN7rocprim17ROCPRIM_400000_NS6detail17trampoline_kernelINS0_14default_configENS1_20scan_config_selectorIiEEZZNS1_9scan_implILNS1_25lookback_scan_determinismE0ELb1ELb1ES3_N6thrust23THRUST_200600_302600_NS6detail15normal_iteratorINS9_10device_ptrIiEEEESE_iNS9_4plusIvEEiEEDaPvRmT3_T4_T5_mT6_P12ihipStream_tbENKUlT_T0_E_clISt17integral_constantIbLb1EEST_IbLb0EEEEDaSP_SQ_EUlSP_E0_NS1_11comp_targetILNS1_3genE9ELNS1_11target_archE1100ELNS1_3gpuE3ELNS1_3repE0EEENS1_30default_config_static_selectorELNS0_4arch9wavefront6targetE1EEEvT1_
                                        ; -- End function
	.section	.AMDGPU.csdata,"",@progbits
; Kernel info:
; codeLenInByte = 0
; NumSgprs: 4
; NumVgprs: 0
; NumAgprs: 0
; TotalNumVgprs: 0
; ScratchSize: 0
; MemoryBound: 0
; FloatMode: 240
; IeeeMode: 1
; LDSByteSize: 0 bytes/workgroup (compile time only)
; SGPRBlocks: 0
; VGPRBlocks: 0
; NumSGPRsForWavesPerEU: 4
; NumVGPRsForWavesPerEU: 1
; AccumOffset: 4
; Occupancy: 8
; WaveLimiterHint : 0
; COMPUTE_PGM_RSRC2:SCRATCH_EN: 0
; COMPUTE_PGM_RSRC2:USER_SGPR: 6
; COMPUTE_PGM_RSRC2:TRAP_HANDLER: 0
; COMPUTE_PGM_RSRC2:TGID_X_EN: 1
; COMPUTE_PGM_RSRC2:TGID_Y_EN: 0
; COMPUTE_PGM_RSRC2:TGID_Z_EN: 0
; COMPUTE_PGM_RSRC2:TIDIG_COMP_CNT: 0
; COMPUTE_PGM_RSRC3_GFX90A:ACCUM_OFFSET: 0
; COMPUTE_PGM_RSRC3_GFX90A:TG_SPLIT: 0
	.section	.text._ZN7rocprim17ROCPRIM_400000_NS6detail17trampoline_kernelINS0_14default_configENS1_20scan_config_selectorIiEEZZNS1_9scan_implILNS1_25lookback_scan_determinismE0ELb1ELb1ES3_N6thrust23THRUST_200600_302600_NS6detail15normal_iteratorINS9_10device_ptrIiEEEESE_iNS9_4plusIvEEiEEDaPvRmT3_T4_T5_mT6_P12ihipStream_tbENKUlT_T0_E_clISt17integral_constantIbLb1EEST_IbLb0EEEEDaSP_SQ_EUlSP_E0_NS1_11comp_targetILNS1_3genE8ELNS1_11target_archE1030ELNS1_3gpuE2ELNS1_3repE0EEENS1_30default_config_static_selectorELNS0_4arch9wavefront6targetE1EEEvT1_,"axG",@progbits,_ZN7rocprim17ROCPRIM_400000_NS6detail17trampoline_kernelINS0_14default_configENS1_20scan_config_selectorIiEEZZNS1_9scan_implILNS1_25lookback_scan_determinismE0ELb1ELb1ES3_N6thrust23THRUST_200600_302600_NS6detail15normal_iteratorINS9_10device_ptrIiEEEESE_iNS9_4plusIvEEiEEDaPvRmT3_T4_T5_mT6_P12ihipStream_tbENKUlT_T0_E_clISt17integral_constantIbLb1EEST_IbLb0EEEEDaSP_SQ_EUlSP_E0_NS1_11comp_targetILNS1_3genE8ELNS1_11target_archE1030ELNS1_3gpuE2ELNS1_3repE0EEENS1_30default_config_static_selectorELNS0_4arch9wavefront6targetE1EEEvT1_,comdat
	.protected	_ZN7rocprim17ROCPRIM_400000_NS6detail17trampoline_kernelINS0_14default_configENS1_20scan_config_selectorIiEEZZNS1_9scan_implILNS1_25lookback_scan_determinismE0ELb1ELb1ES3_N6thrust23THRUST_200600_302600_NS6detail15normal_iteratorINS9_10device_ptrIiEEEESE_iNS9_4plusIvEEiEEDaPvRmT3_T4_T5_mT6_P12ihipStream_tbENKUlT_T0_E_clISt17integral_constantIbLb1EEST_IbLb0EEEEDaSP_SQ_EUlSP_E0_NS1_11comp_targetILNS1_3genE8ELNS1_11target_archE1030ELNS1_3gpuE2ELNS1_3repE0EEENS1_30default_config_static_selectorELNS0_4arch9wavefront6targetE1EEEvT1_ ; -- Begin function _ZN7rocprim17ROCPRIM_400000_NS6detail17trampoline_kernelINS0_14default_configENS1_20scan_config_selectorIiEEZZNS1_9scan_implILNS1_25lookback_scan_determinismE0ELb1ELb1ES3_N6thrust23THRUST_200600_302600_NS6detail15normal_iteratorINS9_10device_ptrIiEEEESE_iNS9_4plusIvEEiEEDaPvRmT3_T4_T5_mT6_P12ihipStream_tbENKUlT_T0_E_clISt17integral_constantIbLb1EEST_IbLb0EEEEDaSP_SQ_EUlSP_E0_NS1_11comp_targetILNS1_3genE8ELNS1_11target_archE1030ELNS1_3gpuE2ELNS1_3repE0EEENS1_30default_config_static_selectorELNS0_4arch9wavefront6targetE1EEEvT1_
	.globl	_ZN7rocprim17ROCPRIM_400000_NS6detail17trampoline_kernelINS0_14default_configENS1_20scan_config_selectorIiEEZZNS1_9scan_implILNS1_25lookback_scan_determinismE0ELb1ELb1ES3_N6thrust23THRUST_200600_302600_NS6detail15normal_iteratorINS9_10device_ptrIiEEEESE_iNS9_4plusIvEEiEEDaPvRmT3_T4_T5_mT6_P12ihipStream_tbENKUlT_T0_E_clISt17integral_constantIbLb1EEST_IbLb0EEEEDaSP_SQ_EUlSP_E0_NS1_11comp_targetILNS1_3genE8ELNS1_11target_archE1030ELNS1_3gpuE2ELNS1_3repE0EEENS1_30default_config_static_selectorELNS0_4arch9wavefront6targetE1EEEvT1_
	.p2align	8
	.type	_ZN7rocprim17ROCPRIM_400000_NS6detail17trampoline_kernelINS0_14default_configENS1_20scan_config_selectorIiEEZZNS1_9scan_implILNS1_25lookback_scan_determinismE0ELb1ELb1ES3_N6thrust23THRUST_200600_302600_NS6detail15normal_iteratorINS9_10device_ptrIiEEEESE_iNS9_4plusIvEEiEEDaPvRmT3_T4_T5_mT6_P12ihipStream_tbENKUlT_T0_E_clISt17integral_constantIbLb1EEST_IbLb0EEEEDaSP_SQ_EUlSP_E0_NS1_11comp_targetILNS1_3genE8ELNS1_11target_archE1030ELNS1_3gpuE2ELNS1_3repE0EEENS1_30default_config_static_selectorELNS0_4arch9wavefront6targetE1EEEvT1_,@function
_ZN7rocprim17ROCPRIM_400000_NS6detail17trampoline_kernelINS0_14default_configENS1_20scan_config_selectorIiEEZZNS1_9scan_implILNS1_25lookback_scan_determinismE0ELb1ELb1ES3_N6thrust23THRUST_200600_302600_NS6detail15normal_iteratorINS9_10device_ptrIiEEEESE_iNS9_4plusIvEEiEEDaPvRmT3_T4_T5_mT6_P12ihipStream_tbENKUlT_T0_E_clISt17integral_constantIbLb1EEST_IbLb0EEEEDaSP_SQ_EUlSP_E0_NS1_11comp_targetILNS1_3genE8ELNS1_11target_archE1030ELNS1_3gpuE2ELNS1_3repE0EEENS1_30default_config_static_selectorELNS0_4arch9wavefront6targetE1EEEvT1_: ; @_ZN7rocprim17ROCPRIM_400000_NS6detail17trampoline_kernelINS0_14default_configENS1_20scan_config_selectorIiEEZZNS1_9scan_implILNS1_25lookback_scan_determinismE0ELb1ELb1ES3_N6thrust23THRUST_200600_302600_NS6detail15normal_iteratorINS9_10device_ptrIiEEEESE_iNS9_4plusIvEEiEEDaPvRmT3_T4_T5_mT6_P12ihipStream_tbENKUlT_T0_E_clISt17integral_constantIbLb1EEST_IbLb0EEEEDaSP_SQ_EUlSP_E0_NS1_11comp_targetILNS1_3genE8ELNS1_11target_archE1030ELNS1_3gpuE2ELNS1_3repE0EEENS1_30default_config_static_selectorELNS0_4arch9wavefront6targetE1EEEvT1_
; %bb.0:
	.section	.rodata,"a",@progbits
	.p2align	6, 0x0
	.amdhsa_kernel _ZN7rocprim17ROCPRIM_400000_NS6detail17trampoline_kernelINS0_14default_configENS1_20scan_config_selectorIiEEZZNS1_9scan_implILNS1_25lookback_scan_determinismE0ELb1ELb1ES3_N6thrust23THRUST_200600_302600_NS6detail15normal_iteratorINS9_10device_ptrIiEEEESE_iNS9_4plusIvEEiEEDaPvRmT3_T4_T5_mT6_P12ihipStream_tbENKUlT_T0_E_clISt17integral_constantIbLb1EEST_IbLb0EEEEDaSP_SQ_EUlSP_E0_NS1_11comp_targetILNS1_3genE8ELNS1_11target_archE1030ELNS1_3gpuE2ELNS1_3repE0EEENS1_30default_config_static_selectorELNS0_4arch9wavefront6targetE1EEEvT1_
		.amdhsa_group_segment_fixed_size 0
		.amdhsa_private_segment_fixed_size 0
		.amdhsa_kernarg_size 32
		.amdhsa_user_sgpr_count 6
		.amdhsa_user_sgpr_private_segment_buffer 1
		.amdhsa_user_sgpr_dispatch_ptr 0
		.amdhsa_user_sgpr_queue_ptr 0
		.amdhsa_user_sgpr_kernarg_segment_ptr 1
		.amdhsa_user_sgpr_dispatch_id 0
		.amdhsa_user_sgpr_flat_scratch_init 0
		.amdhsa_user_sgpr_kernarg_preload_length 0
		.amdhsa_user_sgpr_kernarg_preload_offset 0
		.amdhsa_user_sgpr_private_segment_size 0
		.amdhsa_uses_dynamic_stack 0
		.amdhsa_system_sgpr_private_segment_wavefront_offset 0
		.amdhsa_system_sgpr_workgroup_id_x 1
		.amdhsa_system_sgpr_workgroup_id_y 0
		.amdhsa_system_sgpr_workgroup_id_z 0
		.amdhsa_system_sgpr_workgroup_info 0
		.amdhsa_system_vgpr_workitem_id 0
		.amdhsa_next_free_vgpr 1
		.amdhsa_next_free_sgpr 0
		.amdhsa_accum_offset 4
		.amdhsa_reserve_vcc 0
		.amdhsa_reserve_flat_scratch 0
		.amdhsa_float_round_mode_32 0
		.amdhsa_float_round_mode_16_64 0
		.amdhsa_float_denorm_mode_32 3
		.amdhsa_float_denorm_mode_16_64 3
		.amdhsa_dx10_clamp 1
		.amdhsa_ieee_mode 1
		.amdhsa_fp16_overflow 0
		.amdhsa_tg_split 0
		.amdhsa_exception_fp_ieee_invalid_op 0
		.amdhsa_exception_fp_denorm_src 0
		.amdhsa_exception_fp_ieee_div_zero 0
		.amdhsa_exception_fp_ieee_overflow 0
		.amdhsa_exception_fp_ieee_underflow 0
		.amdhsa_exception_fp_ieee_inexact 0
		.amdhsa_exception_int_div_zero 0
	.end_amdhsa_kernel
	.section	.text._ZN7rocprim17ROCPRIM_400000_NS6detail17trampoline_kernelINS0_14default_configENS1_20scan_config_selectorIiEEZZNS1_9scan_implILNS1_25lookback_scan_determinismE0ELb1ELb1ES3_N6thrust23THRUST_200600_302600_NS6detail15normal_iteratorINS9_10device_ptrIiEEEESE_iNS9_4plusIvEEiEEDaPvRmT3_T4_T5_mT6_P12ihipStream_tbENKUlT_T0_E_clISt17integral_constantIbLb1EEST_IbLb0EEEEDaSP_SQ_EUlSP_E0_NS1_11comp_targetILNS1_3genE8ELNS1_11target_archE1030ELNS1_3gpuE2ELNS1_3repE0EEENS1_30default_config_static_selectorELNS0_4arch9wavefront6targetE1EEEvT1_,"axG",@progbits,_ZN7rocprim17ROCPRIM_400000_NS6detail17trampoline_kernelINS0_14default_configENS1_20scan_config_selectorIiEEZZNS1_9scan_implILNS1_25lookback_scan_determinismE0ELb1ELb1ES3_N6thrust23THRUST_200600_302600_NS6detail15normal_iteratorINS9_10device_ptrIiEEEESE_iNS9_4plusIvEEiEEDaPvRmT3_T4_T5_mT6_P12ihipStream_tbENKUlT_T0_E_clISt17integral_constantIbLb1EEST_IbLb0EEEEDaSP_SQ_EUlSP_E0_NS1_11comp_targetILNS1_3genE8ELNS1_11target_archE1030ELNS1_3gpuE2ELNS1_3repE0EEENS1_30default_config_static_selectorELNS0_4arch9wavefront6targetE1EEEvT1_,comdat
.Lfunc_end857:
	.size	_ZN7rocprim17ROCPRIM_400000_NS6detail17trampoline_kernelINS0_14default_configENS1_20scan_config_selectorIiEEZZNS1_9scan_implILNS1_25lookback_scan_determinismE0ELb1ELb1ES3_N6thrust23THRUST_200600_302600_NS6detail15normal_iteratorINS9_10device_ptrIiEEEESE_iNS9_4plusIvEEiEEDaPvRmT3_T4_T5_mT6_P12ihipStream_tbENKUlT_T0_E_clISt17integral_constantIbLb1EEST_IbLb0EEEEDaSP_SQ_EUlSP_E0_NS1_11comp_targetILNS1_3genE8ELNS1_11target_archE1030ELNS1_3gpuE2ELNS1_3repE0EEENS1_30default_config_static_selectorELNS0_4arch9wavefront6targetE1EEEvT1_, .Lfunc_end857-_ZN7rocprim17ROCPRIM_400000_NS6detail17trampoline_kernelINS0_14default_configENS1_20scan_config_selectorIiEEZZNS1_9scan_implILNS1_25lookback_scan_determinismE0ELb1ELb1ES3_N6thrust23THRUST_200600_302600_NS6detail15normal_iteratorINS9_10device_ptrIiEEEESE_iNS9_4plusIvEEiEEDaPvRmT3_T4_T5_mT6_P12ihipStream_tbENKUlT_T0_E_clISt17integral_constantIbLb1EEST_IbLb0EEEEDaSP_SQ_EUlSP_E0_NS1_11comp_targetILNS1_3genE8ELNS1_11target_archE1030ELNS1_3gpuE2ELNS1_3repE0EEENS1_30default_config_static_selectorELNS0_4arch9wavefront6targetE1EEEvT1_
                                        ; -- End function
	.section	.AMDGPU.csdata,"",@progbits
; Kernel info:
; codeLenInByte = 0
; NumSgprs: 4
; NumVgprs: 0
; NumAgprs: 0
; TotalNumVgprs: 0
; ScratchSize: 0
; MemoryBound: 0
; FloatMode: 240
; IeeeMode: 1
; LDSByteSize: 0 bytes/workgroup (compile time only)
; SGPRBlocks: 0
; VGPRBlocks: 0
; NumSGPRsForWavesPerEU: 4
; NumVGPRsForWavesPerEU: 1
; AccumOffset: 4
; Occupancy: 8
; WaveLimiterHint : 0
; COMPUTE_PGM_RSRC2:SCRATCH_EN: 0
; COMPUTE_PGM_RSRC2:USER_SGPR: 6
; COMPUTE_PGM_RSRC2:TRAP_HANDLER: 0
; COMPUTE_PGM_RSRC2:TGID_X_EN: 1
; COMPUTE_PGM_RSRC2:TGID_Y_EN: 0
; COMPUTE_PGM_RSRC2:TGID_Z_EN: 0
; COMPUTE_PGM_RSRC2:TIDIG_COMP_CNT: 0
; COMPUTE_PGM_RSRC3_GFX90A:ACCUM_OFFSET: 0
; COMPUTE_PGM_RSRC3_GFX90A:TG_SPLIT: 0
	.section	.text._ZN7rocprim17ROCPRIM_400000_NS6detail17trampoline_kernelINS0_14default_configENS1_20scan_config_selectorIiEEZZNS1_9scan_implILNS1_25lookback_scan_determinismE0ELb1ELb1ES3_N6thrust23THRUST_200600_302600_NS6detail15normal_iteratorINS9_10device_ptrIiEEEESE_iNS9_4plusIvEEiEEDaPvRmT3_T4_T5_mT6_P12ihipStream_tbENKUlT_T0_E_clISt17integral_constantIbLb0EEST_IbLb1EEEEDaSP_SQ_EUlSP_E_NS1_11comp_targetILNS1_3genE0ELNS1_11target_archE4294967295ELNS1_3gpuE0ELNS1_3repE0EEENS1_30default_config_static_selectorELNS0_4arch9wavefront6targetE1EEEvT1_,"axG",@progbits,_ZN7rocprim17ROCPRIM_400000_NS6detail17trampoline_kernelINS0_14default_configENS1_20scan_config_selectorIiEEZZNS1_9scan_implILNS1_25lookback_scan_determinismE0ELb1ELb1ES3_N6thrust23THRUST_200600_302600_NS6detail15normal_iteratorINS9_10device_ptrIiEEEESE_iNS9_4plusIvEEiEEDaPvRmT3_T4_T5_mT6_P12ihipStream_tbENKUlT_T0_E_clISt17integral_constantIbLb0EEST_IbLb1EEEEDaSP_SQ_EUlSP_E_NS1_11comp_targetILNS1_3genE0ELNS1_11target_archE4294967295ELNS1_3gpuE0ELNS1_3repE0EEENS1_30default_config_static_selectorELNS0_4arch9wavefront6targetE1EEEvT1_,comdat
	.protected	_ZN7rocprim17ROCPRIM_400000_NS6detail17trampoline_kernelINS0_14default_configENS1_20scan_config_selectorIiEEZZNS1_9scan_implILNS1_25lookback_scan_determinismE0ELb1ELb1ES3_N6thrust23THRUST_200600_302600_NS6detail15normal_iteratorINS9_10device_ptrIiEEEESE_iNS9_4plusIvEEiEEDaPvRmT3_T4_T5_mT6_P12ihipStream_tbENKUlT_T0_E_clISt17integral_constantIbLb0EEST_IbLb1EEEEDaSP_SQ_EUlSP_E_NS1_11comp_targetILNS1_3genE0ELNS1_11target_archE4294967295ELNS1_3gpuE0ELNS1_3repE0EEENS1_30default_config_static_selectorELNS0_4arch9wavefront6targetE1EEEvT1_ ; -- Begin function _ZN7rocprim17ROCPRIM_400000_NS6detail17trampoline_kernelINS0_14default_configENS1_20scan_config_selectorIiEEZZNS1_9scan_implILNS1_25lookback_scan_determinismE0ELb1ELb1ES3_N6thrust23THRUST_200600_302600_NS6detail15normal_iteratorINS9_10device_ptrIiEEEESE_iNS9_4plusIvEEiEEDaPvRmT3_T4_T5_mT6_P12ihipStream_tbENKUlT_T0_E_clISt17integral_constantIbLb0EEST_IbLb1EEEEDaSP_SQ_EUlSP_E_NS1_11comp_targetILNS1_3genE0ELNS1_11target_archE4294967295ELNS1_3gpuE0ELNS1_3repE0EEENS1_30default_config_static_selectorELNS0_4arch9wavefront6targetE1EEEvT1_
	.globl	_ZN7rocprim17ROCPRIM_400000_NS6detail17trampoline_kernelINS0_14default_configENS1_20scan_config_selectorIiEEZZNS1_9scan_implILNS1_25lookback_scan_determinismE0ELb1ELb1ES3_N6thrust23THRUST_200600_302600_NS6detail15normal_iteratorINS9_10device_ptrIiEEEESE_iNS9_4plusIvEEiEEDaPvRmT3_T4_T5_mT6_P12ihipStream_tbENKUlT_T0_E_clISt17integral_constantIbLb0EEST_IbLb1EEEEDaSP_SQ_EUlSP_E_NS1_11comp_targetILNS1_3genE0ELNS1_11target_archE4294967295ELNS1_3gpuE0ELNS1_3repE0EEENS1_30default_config_static_selectorELNS0_4arch9wavefront6targetE1EEEvT1_
	.p2align	8
	.type	_ZN7rocprim17ROCPRIM_400000_NS6detail17trampoline_kernelINS0_14default_configENS1_20scan_config_selectorIiEEZZNS1_9scan_implILNS1_25lookback_scan_determinismE0ELb1ELb1ES3_N6thrust23THRUST_200600_302600_NS6detail15normal_iteratorINS9_10device_ptrIiEEEESE_iNS9_4plusIvEEiEEDaPvRmT3_T4_T5_mT6_P12ihipStream_tbENKUlT_T0_E_clISt17integral_constantIbLb0EEST_IbLb1EEEEDaSP_SQ_EUlSP_E_NS1_11comp_targetILNS1_3genE0ELNS1_11target_archE4294967295ELNS1_3gpuE0ELNS1_3repE0EEENS1_30default_config_static_selectorELNS0_4arch9wavefront6targetE1EEEvT1_,@function
_ZN7rocprim17ROCPRIM_400000_NS6detail17trampoline_kernelINS0_14default_configENS1_20scan_config_selectorIiEEZZNS1_9scan_implILNS1_25lookback_scan_determinismE0ELb1ELb1ES3_N6thrust23THRUST_200600_302600_NS6detail15normal_iteratorINS9_10device_ptrIiEEEESE_iNS9_4plusIvEEiEEDaPvRmT3_T4_T5_mT6_P12ihipStream_tbENKUlT_T0_E_clISt17integral_constantIbLb0EEST_IbLb1EEEEDaSP_SQ_EUlSP_E_NS1_11comp_targetILNS1_3genE0ELNS1_11target_archE4294967295ELNS1_3gpuE0ELNS1_3repE0EEENS1_30default_config_static_selectorELNS0_4arch9wavefront6targetE1EEEvT1_: ; @_ZN7rocprim17ROCPRIM_400000_NS6detail17trampoline_kernelINS0_14default_configENS1_20scan_config_selectorIiEEZZNS1_9scan_implILNS1_25lookback_scan_determinismE0ELb1ELb1ES3_N6thrust23THRUST_200600_302600_NS6detail15normal_iteratorINS9_10device_ptrIiEEEESE_iNS9_4plusIvEEiEEDaPvRmT3_T4_T5_mT6_P12ihipStream_tbENKUlT_T0_E_clISt17integral_constantIbLb0EEST_IbLb1EEEEDaSP_SQ_EUlSP_E_NS1_11comp_targetILNS1_3genE0ELNS1_11target_archE4294967295ELNS1_3gpuE0ELNS1_3repE0EEENS1_30default_config_static_selectorELNS0_4arch9wavefront6targetE1EEEvT1_
; %bb.0:
	.section	.rodata,"a",@progbits
	.p2align	6, 0x0
	.amdhsa_kernel _ZN7rocprim17ROCPRIM_400000_NS6detail17trampoline_kernelINS0_14default_configENS1_20scan_config_selectorIiEEZZNS1_9scan_implILNS1_25lookback_scan_determinismE0ELb1ELb1ES3_N6thrust23THRUST_200600_302600_NS6detail15normal_iteratorINS9_10device_ptrIiEEEESE_iNS9_4plusIvEEiEEDaPvRmT3_T4_T5_mT6_P12ihipStream_tbENKUlT_T0_E_clISt17integral_constantIbLb0EEST_IbLb1EEEEDaSP_SQ_EUlSP_E_NS1_11comp_targetILNS1_3genE0ELNS1_11target_archE4294967295ELNS1_3gpuE0ELNS1_3repE0EEENS1_30default_config_static_selectorELNS0_4arch9wavefront6targetE1EEEvT1_
		.amdhsa_group_segment_fixed_size 0
		.amdhsa_private_segment_fixed_size 0
		.amdhsa_kernarg_size 96
		.amdhsa_user_sgpr_count 6
		.amdhsa_user_sgpr_private_segment_buffer 1
		.amdhsa_user_sgpr_dispatch_ptr 0
		.amdhsa_user_sgpr_queue_ptr 0
		.amdhsa_user_sgpr_kernarg_segment_ptr 1
		.amdhsa_user_sgpr_dispatch_id 0
		.amdhsa_user_sgpr_flat_scratch_init 0
		.amdhsa_user_sgpr_kernarg_preload_length 0
		.amdhsa_user_sgpr_kernarg_preload_offset 0
		.amdhsa_user_sgpr_private_segment_size 0
		.amdhsa_uses_dynamic_stack 0
		.amdhsa_system_sgpr_private_segment_wavefront_offset 0
		.amdhsa_system_sgpr_workgroup_id_x 1
		.amdhsa_system_sgpr_workgroup_id_y 0
		.amdhsa_system_sgpr_workgroup_id_z 0
		.amdhsa_system_sgpr_workgroup_info 0
		.amdhsa_system_vgpr_workitem_id 0
		.amdhsa_next_free_vgpr 1
		.amdhsa_next_free_sgpr 0
		.amdhsa_accum_offset 4
		.amdhsa_reserve_vcc 0
		.amdhsa_reserve_flat_scratch 0
		.amdhsa_float_round_mode_32 0
		.amdhsa_float_round_mode_16_64 0
		.amdhsa_float_denorm_mode_32 3
		.amdhsa_float_denorm_mode_16_64 3
		.amdhsa_dx10_clamp 1
		.amdhsa_ieee_mode 1
		.amdhsa_fp16_overflow 0
		.amdhsa_tg_split 0
		.amdhsa_exception_fp_ieee_invalid_op 0
		.amdhsa_exception_fp_denorm_src 0
		.amdhsa_exception_fp_ieee_div_zero 0
		.amdhsa_exception_fp_ieee_overflow 0
		.amdhsa_exception_fp_ieee_underflow 0
		.amdhsa_exception_fp_ieee_inexact 0
		.amdhsa_exception_int_div_zero 0
	.end_amdhsa_kernel
	.section	.text._ZN7rocprim17ROCPRIM_400000_NS6detail17trampoline_kernelINS0_14default_configENS1_20scan_config_selectorIiEEZZNS1_9scan_implILNS1_25lookback_scan_determinismE0ELb1ELb1ES3_N6thrust23THRUST_200600_302600_NS6detail15normal_iteratorINS9_10device_ptrIiEEEESE_iNS9_4plusIvEEiEEDaPvRmT3_T4_T5_mT6_P12ihipStream_tbENKUlT_T0_E_clISt17integral_constantIbLb0EEST_IbLb1EEEEDaSP_SQ_EUlSP_E_NS1_11comp_targetILNS1_3genE0ELNS1_11target_archE4294967295ELNS1_3gpuE0ELNS1_3repE0EEENS1_30default_config_static_selectorELNS0_4arch9wavefront6targetE1EEEvT1_,"axG",@progbits,_ZN7rocprim17ROCPRIM_400000_NS6detail17trampoline_kernelINS0_14default_configENS1_20scan_config_selectorIiEEZZNS1_9scan_implILNS1_25lookback_scan_determinismE0ELb1ELb1ES3_N6thrust23THRUST_200600_302600_NS6detail15normal_iteratorINS9_10device_ptrIiEEEESE_iNS9_4plusIvEEiEEDaPvRmT3_T4_T5_mT6_P12ihipStream_tbENKUlT_T0_E_clISt17integral_constantIbLb0EEST_IbLb1EEEEDaSP_SQ_EUlSP_E_NS1_11comp_targetILNS1_3genE0ELNS1_11target_archE4294967295ELNS1_3gpuE0ELNS1_3repE0EEENS1_30default_config_static_selectorELNS0_4arch9wavefront6targetE1EEEvT1_,comdat
.Lfunc_end858:
	.size	_ZN7rocprim17ROCPRIM_400000_NS6detail17trampoline_kernelINS0_14default_configENS1_20scan_config_selectorIiEEZZNS1_9scan_implILNS1_25lookback_scan_determinismE0ELb1ELb1ES3_N6thrust23THRUST_200600_302600_NS6detail15normal_iteratorINS9_10device_ptrIiEEEESE_iNS9_4plusIvEEiEEDaPvRmT3_T4_T5_mT6_P12ihipStream_tbENKUlT_T0_E_clISt17integral_constantIbLb0EEST_IbLb1EEEEDaSP_SQ_EUlSP_E_NS1_11comp_targetILNS1_3genE0ELNS1_11target_archE4294967295ELNS1_3gpuE0ELNS1_3repE0EEENS1_30default_config_static_selectorELNS0_4arch9wavefront6targetE1EEEvT1_, .Lfunc_end858-_ZN7rocprim17ROCPRIM_400000_NS6detail17trampoline_kernelINS0_14default_configENS1_20scan_config_selectorIiEEZZNS1_9scan_implILNS1_25lookback_scan_determinismE0ELb1ELb1ES3_N6thrust23THRUST_200600_302600_NS6detail15normal_iteratorINS9_10device_ptrIiEEEESE_iNS9_4plusIvEEiEEDaPvRmT3_T4_T5_mT6_P12ihipStream_tbENKUlT_T0_E_clISt17integral_constantIbLb0EEST_IbLb1EEEEDaSP_SQ_EUlSP_E_NS1_11comp_targetILNS1_3genE0ELNS1_11target_archE4294967295ELNS1_3gpuE0ELNS1_3repE0EEENS1_30default_config_static_selectorELNS0_4arch9wavefront6targetE1EEEvT1_
                                        ; -- End function
	.section	.AMDGPU.csdata,"",@progbits
; Kernel info:
; codeLenInByte = 0
; NumSgprs: 4
; NumVgprs: 0
; NumAgprs: 0
; TotalNumVgprs: 0
; ScratchSize: 0
; MemoryBound: 0
; FloatMode: 240
; IeeeMode: 1
; LDSByteSize: 0 bytes/workgroup (compile time only)
; SGPRBlocks: 0
; VGPRBlocks: 0
; NumSGPRsForWavesPerEU: 4
; NumVGPRsForWavesPerEU: 1
; AccumOffset: 4
; Occupancy: 8
; WaveLimiterHint : 0
; COMPUTE_PGM_RSRC2:SCRATCH_EN: 0
; COMPUTE_PGM_RSRC2:USER_SGPR: 6
; COMPUTE_PGM_RSRC2:TRAP_HANDLER: 0
; COMPUTE_PGM_RSRC2:TGID_X_EN: 1
; COMPUTE_PGM_RSRC2:TGID_Y_EN: 0
; COMPUTE_PGM_RSRC2:TGID_Z_EN: 0
; COMPUTE_PGM_RSRC2:TIDIG_COMP_CNT: 0
; COMPUTE_PGM_RSRC3_GFX90A:ACCUM_OFFSET: 0
; COMPUTE_PGM_RSRC3_GFX90A:TG_SPLIT: 0
	.section	.text._ZN7rocprim17ROCPRIM_400000_NS6detail17trampoline_kernelINS0_14default_configENS1_20scan_config_selectorIiEEZZNS1_9scan_implILNS1_25lookback_scan_determinismE0ELb1ELb1ES3_N6thrust23THRUST_200600_302600_NS6detail15normal_iteratorINS9_10device_ptrIiEEEESE_iNS9_4plusIvEEiEEDaPvRmT3_T4_T5_mT6_P12ihipStream_tbENKUlT_T0_E_clISt17integral_constantIbLb0EEST_IbLb1EEEEDaSP_SQ_EUlSP_E_NS1_11comp_targetILNS1_3genE5ELNS1_11target_archE942ELNS1_3gpuE9ELNS1_3repE0EEENS1_30default_config_static_selectorELNS0_4arch9wavefront6targetE1EEEvT1_,"axG",@progbits,_ZN7rocprim17ROCPRIM_400000_NS6detail17trampoline_kernelINS0_14default_configENS1_20scan_config_selectorIiEEZZNS1_9scan_implILNS1_25lookback_scan_determinismE0ELb1ELb1ES3_N6thrust23THRUST_200600_302600_NS6detail15normal_iteratorINS9_10device_ptrIiEEEESE_iNS9_4plusIvEEiEEDaPvRmT3_T4_T5_mT6_P12ihipStream_tbENKUlT_T0_E_clISt17integral_constantIbLb0EEST_IbLb1EEEEDaSP_SQ_EUlSP_E_NS1_11comp_targetILNS1_3genE5ELNS1_11target_archE942ELNS1_3gpuE9ELNS1_3repE0EEENS1_30default_config_static_selectorELNS0_4arch9wavefront6targetE1EEEvT1_,comdat
	.protected	_ZN7rocprim17ROCPRIM_400000_NS6detail17trampoline_kernelINS0_14default_configENS1_20scan_config_selectorIiEEZZNS1_9scan_implILNS1_25lookback_scan_determinismE0ELb1ELb1ES3_N6thrust23THRUST_200600_302600_NS6detail15normal_iteratorINS9_10device_ptrIiEEEESE_iNS9_4plusIvEEiEEDaPvRmT3_T4_T5_mT6_P12ihipStream_tbENKUlT_T0_E_clISt17integral_constantIbLb0EEST_IbLb1EEEEDaSP_SQ_EUlSP_E_NS1_11comp_targetILNS1_3genE5ELNS1_11target_archE942ELNS1_3gpuE9ELNS1_3repE0EEENS1_30default_config_static_selectorELNS0_4arch9wavefront6targetE1EEEvT1_ ; -- Begin function _ZN7rocprim17ROCPRIM_400000_NS6detail17trampoline_kernelINS0_14default_configENS1_20scan_config_selectorIiEEZZNS1_9scan_implILNS1_25lookback_scan_determinismE0ELb1ELb1ES3_N6thrust23THRUST_200600_302600_NS6detail15normal_iteratorINS9_10device_ptrIiEEEESE_iNS9_4plusIvEEiEEDaPvRmT3_T4_T5_mT6_P12ihipStream_tbENKUlT_T0_E_clISt17integral_constantIbLb0EEST_IbLb1EEEEDaSP_SQ_EUlSP_E_NS1_11comp_targetILNS1_3genE5ELNS1_11target_archE942ELNS1_3gpuE9ELNS1_3repE0EEENS1_30default_config_static_selectorELNS0_4arch9wavefront6targetE1EEEvT1_
	.globl	_ZN7rocprim17ROCPRIM_400000_NS6detail17trampoline_kernelINS0_14default_configENS1_20scan_config_selectorIiEEZZNS1_9scan_implILNS1_25lookback_scan_determinismE0ELb1ELb1ES3_N6thrust23THRUST_200600_302600_NS6detail15normal_iteratorINS9_10device_ptrIiEEEESE_iNS9_4plusIvEEiEEDaPvRmT3_T4_T5_mT6_P12ihipStream_tbENKUlT_T0_E_clISt17integral_constantIbLb0EEST_IbLb1EEEEDaSP_SQ_EUlSP_E_NS1_11comp_targetILNS1_3genE5ELNS1_11target_archE942ELNS1_3gpuE9ELNS1_3repE0EEENS1_30default_config_static_selectorELNS0_4arch9wavefront6targetE1EEEvT1_
	.p2align	8
	.type	_ZN7rocprim17ROCPRIM_400000_NS6detail17trampoline_kernelINS0_14default_configENS1_20scan_config_selectorIiEEZZNS1_9scan_implILNS1_25lookback_scan_determinismE0ELb1ELb1ES3_N6thrust23THRUST_200600_302600_NS6detail15normal_iteratorINS9_10device_ptrIiEEEESE_iNS9_4plusIvEEiEEDaPvRmT3_T4_T5_mT6_P12ihipStream_tbENKUlT_T0_E_clISt17integral_constantIbLb0EEST_IbLb1EEEEDaSP_SQ_EUlSP_E_NS1_11comp_targetILNS1_3genE5ELNS1_11target_archE942ELNS1_3gpuE9ELNS1_3repE0EEENS1_30default_config_static_selectorELNS0_4arch9wavefront6targetE1EEEvT1_,@function
_ZN7rocprim17ROCPRIM_400000_NS6detail17trampoline_kernelINS0_14default_configENS1_20scan_config_selectorIiEEZZNS1_9scan_implILNS1_25lookback_scan_determinismE0ELb1ELb1ES3_N6thrust23THRUST_200600_302600_NS6detail15normal_iteratorINS9_10device_ptrIiEEEESE_iNS9_4plusIvEEiEEDaPvRmT3_T4_T5_mT6_P12ihipStream_tbENKUlT_T0_E_clISt17integral_constantIbLb0EEST_IbLb1EEEEDaSP_SQ_EUlSP_E_NS1_11comp_targetILNS1_3genE5ELNS1_11target_archE942ELNS1_3gpuE9ELNS1_3repE0EEENS1_30default_config_static_selectorELNS0_4arch9wavefront6targetE1EEEvT1_: ; @_ZN7rocprim17ROCPRIM_400000_NS6detail17trampoline_kernelINS0_14default_configENS1_20scan_config_selectorIiEEZZNS1_9scan_implILNS1_25lookback_scan_determinismE0ELb1ELb1ES3_N6thrust23THRUST_200600_302600_NS6detail15normal_iteratorINS9_10device_ptrIiEEEESE_iNS9_4plusIvEEiEEDaPvRmT3_T4_T5_mT6_P12ihipStream_tbENKUlT_T0_E_clISt17integral_constantIbLb0EEST_IbLb1EEEEDaSP_SQ_EUlSP_E_NS1_11comp_targetILNS1_3genE5ELNS1_11target_archE942ELNS1_3gpuE9ELNS1_3repE0EEENS1_30default_config_static_selectorELNS0_4arch9wavefront6targetE1EEEvT1_
; %bb.0:
	.section	.rodata,"a",@progbits
	.p2align	6, 0x0
	.amdhsa_kernel _ZN7rocprim17ROCPRIM_400000_NS6detail17trampoline_kernelINS0_14default_configENS1_20scan_config_selectorIiEEZZNS1_9scan_implILNS1_25lookback_scan_determinismE0ELb1ELb1ES3_N6thrust23THRUST_200600_302600_NS6detail15normal_iteratorINS9_10device_ptrIiEEEESE_iNS9_4plusIvEEiEEDaPvRmT3_T4_T5_mT6_P12ihipStream_tbENKUlT_T0_E_clISt17integral_constantIbLb0EEST_IbLb1EEEEDaSP_SQ_EUlSP_E_NS1_11comp_targetILNS1_3genE5ELNS1_11target_archE942ELNS1_3gpuE9ELNS1_3repE0EEENS1_30default_config_static_selectorELNS0_4arch9wavefront6targetE1EEEvT1_
		.amdhsa_group_segment_fixed_size 0
		.amdhsa_private_segment_fixed_size 0
		.amdhsa_kernarg_size 96
		.amdhsa_user_sgpr_count 6
		.amdhsa_user_sgpr_private_segment_buffer 1
		.amdhsa_user_sgpr_dispatch_ptr 0
		.amdhsa_user_sgpr_queue_ptr 0
		.amdhsa_user_sgpr_kernarg_segment_ptr 1
		.amdhsa_user_sgpr_dispatch_id 0
		.amdhsa_user_sgpr_flat_scratch_init 0
		.amdhsa_user_sgpr_kernarg_preload_length 0
		.amdhsa_user_sgpr_kernarg_preload_offset 0
		.amdhsa_user_sgpr_private_segment_size 0
		.amdhsa_uses_dynamic_stack 0
		.amdhsa_system_sgpr_private_segment_wavefront_offset 0
		.amdhsa_system_sgpr_workgroup_id_x 1
		.amdhsa_system_sgpr_workgroup_id_y 0
		.amdhsa_system_sgpr_workgroup_id_z 0
		.amdhsa_system_sgpr_workgroup_info 0
		.amdhsa_system_vgpr_workitem_id 0
		.amdhsa_next_free_vgpr 1
		.amdhsa_next_free_sgpr 0
		.amdhsa_accum_offset 4
		.amdhsa_reserve_vcc 0
		.amdhsa_reserve_flat_scratch 0
		.amdhsa_float_round_mode_32 0
		.amdhsa_float_round_mode_16_64 0
		.amdhsa_float_denorm_mode_32 3
		.amdhsa_float_denorm_mode_16_64 3
		.amdhsa_dx10_clamp 1
		.amdhsa_ieee_mode 1
		.amdhsa_fp16_overflow 0
		.amdhsa_tg_split 0
		.amdhsa_exception_fp_ieee_invalid_op 0
		.amdhsa_exception_fp_denorm_src 0
		.amdhsa_exception_fp_ieee_div_zero 0
		.amdhsa_exception_fp_ieee_overflow 0
		.amdhsa_exception_fp_ieee_underflow 0
		.amdhsa_exception_fp_ieee_inexact 0
		.amdhsa_exception_int_div_zero 0
	.end_amdhsa_kernel
	.section	.text._ZN7rocprim17ROCPRIM_400000_NS6detail17trampoline_kernelINS0_14default_configENS1_20scan_config_selectorIiEEZZNS1_9scan_implILNS1_25lookback_scan_determinismE0ELb1ELb1ES3_N6thrust23THRUST_200600_302600_NS6detail15normal_iteratorINS9_10device_ptrIiEEEESE_iNS9_4plusIvEEiEEDaPvRmT3_T4_T5_mT6_P12ihipStream_tbENKUlT_T0_E_clISt17integral_constantIbLb0EEST_IbLb1EEEEDaSP_SQ_EUlSP_E_NS1_11comp_targetILNS1_3genE5ELNS1_11target_archE942ELNS1_3gpuE9ELNS1_3repE0EEENS1_30default_config_static_selectorELNS0_4arch9wavefront6targetE1EEEvT1_,"axG",@progbits,_ZN7rocprim17ROCPRIM_400000_NS6detail17trampoline_kernelINS0_14default_configENS1_20scan_config_selectorIiEEZZNS1_9scan_implILNS1_25lookback_scan_determinismE0ELb1ELb1ES3_N6thrust23THRUST_200600_302600_NS6detail15normal_iteratorINS9_10device_ptrIiEEEESE_iNS9_4plusIvEEiEEDaPvRmT3_T4_T5_mT6_P12ihipStream_tbENKUlT_T0_E_clISt17integral_constantIbLb0EEST_IbLb1EEEEDaSP_SQ_EUlSP_E_NS1_11comp_targetILNS1_3genE5ELNS1_11target_archE942ELNS1_3gpuE9ELNS1_3repE0EEENS1_30default_config_static_selectorELNS0_4arch9wavefront6targetE1EEEvT1_,comdat
.Lfunc_end859:
	.size	_ZN7rocprim17ROCPRIM_400000_NS6detail17trampoline_kernelINS0_14default_configENS1_20scan_config_selectorIiEEZZNS1_9scan_implILNS1_25lookback_scan_determinismE0ELb1ELb1ES3_N6thrust23THRUST_200600_302600_NS6detail15normal_iteratorINS9_10device_ptrIiEEEESE_iNS9_4plusIvEEiEEDaPvRmT3_T4_T5_mT6_P12ihipStream_tbENKUlT_T0_E_clISt17integral_constantIbLb0EEST_IbLb1EEEEDaSP_SQ_EUlSP_E_NS1_11comp_targetILNS1_3genE5ELNS1_11target_archE942ELNS1_3gpuE9ELNS1_3repE0EEENS1_30default_config_static_selectorELNS0_4arch9wavefront6targetE1EEEvT1_, .Lfunc_end859-_ZN7rocprim17ROCPRIM_400000_NS6detail17trampoline_kernelINS0_14default_configENS1_20scan_config_selectorIiEEZZNS1_9scan_implILNS1_25lookback_scan_determinismE0ELb1ELb1ES3_N6thrust23THRUST_200600_302600_NS6detail15normal_iteratorINS9_10device_ptrIiEEEESE_iNS9_4plusIvEEiEEDaPvRmT3_T4_T5_mT6_P12ihipStream_tbENKUlT_T0_E_clISt17integral_constantIbLb0EEST_IbLb1EEEEDaSP_SQ_EUlSP_E_NS1_11comp_targetILNS1_3genE5ELNS1_11target_archE942ELNS1_3gpuE9ELNS1_3repE0EEENS1_30default_config_static_selectorELNS0_4arch9wavefront6targetE1EEEvT1_
                                        ; -- End function
	.section	.AMDGPU.csdata,"",@progbits
; Kernel info:
; codeLenInByte = 0
; NumSgprs: 4
; NumVgprs: 0
; NumAgprs: 0
; TotalNumVgprs: 0
; ScratchSize: 0
; MemoryBound: 0
; FloatMode: 240
; IeeeMode: 1
; LDSByteSize: 0 bytes/workgroup (compile time only)
; SGPRBlocks: 0
; VGPRBlocks: 0
; NumSGPRsForWavesPerEU: 4
; NumVGPRsForWavesPerEU: 1
; AccumOffset: 4
; Occupancy: 8
; WaveLimiterHint : 0
; COMPUTE_PGM_RSRC2:SCRATCH_EN: 0
; COMPUTE_PGM_RSRC2:USER_SGPR: 6
; COMPUTE_PGM_RSRC2:TRAP_HANDLER: 0
; COMPUTE_PGM_RSRC2:TGID_X_EN: 1
; COMPUTE_PGM_RSRC2:TGID_Y_EN: 0
; COMPUTE_PGM_RSRC2:TGID_Z_EN: 0
; COMPUTE_PGM_RSRC2:TIDIG_COMP_CNT: 0
; COMPUTE_PGM_RSRC3_GFX90A:ACCUM_OFFSET: 0
; COMPUTE_PGM_RSRC3_GFX90A:TG_SPLIT: 0
	.section	.text._ZN7rocprim17ROCPRIM_400000_NS6detail17trampoline_kernelINS0_14default_configENS1_20scan_config_selectorIiEEZZNS1_9scan_implILNS1_25lookback_scan_determinismE0ELb1ELb1ES3_N6thrust23THRUST_200600_302600_NS6detail15normal_iteratorINS9_10device_ptrIiEEEESE_iNS9_4plusIvEEiEEDaPvRmT3_T4_T5_mT6_P12ihipStream_tbENKUlT_T0_E_clISt17integral_constantIbLb0EEST_IbLb1EEEEDaSP_SQ_EUlSP_E_NS1_11comp_targetILNS1_3genE4ELNS1_11target_archE910ELNS1_3gpuE8ELNS1_3repE0EEENS1_30default_config_static_selectorELNS0_4arch9wavefront6targetE1EEEvT1_,"axG",@progbits,_ZN7rocprim17ROCPRIM_400000_NS6detail17trampoline_kernelINS0_14default_configENS1_20scan_config_selectorIiEEZZNS1_9scan_implILNS1_25lookback_scan_determinismE0ELb1ELb1ES3_N6thrust23THRUST_200600_302600_NS6detail15normal_iteratorINS9_10device_ptrIiEEEESE_iNS9_4plusIvEEiEEDaPvRmT3_T4_T5_mT6_P12ihipStream_tbENKUlT_T0_E_clISt17integral_constantIbLb0EEST_IbLb1EEEEDaSP_SQ_EUlSP_E_NS1_11comp_targetILNS1_3genE4ELNS1_11target_archE910ELNS1_3gpuE8ELNS1_3repE0EEENS1_30default_config_static_selectorELNS0_4arch9wavefront6targetE1EEEvT1_,comdat
	.protected	_ZN7rocprim17ROCPRIM_400000_NS6detail17trampoline_kernelINS0_14default_configENS1_20scan_config_selectorIiEEZZNS1_9scan_implILNS1_25lookback_scan_determinismE0ELb1ELb1ES3_N6thrust23THRUST_200600_302600_NS6detail15normal_iteratorINS9_10device_ptrIiEEEESE_iNS9_4plusIvEEiEEDaPvRmT3_T4_T5_mT6_P12ihipStream_tbENKUlT_T0_E_clISt17integral_constantIbLb0EEST_IbLb1EEEEDaSP_SQ_EUlSP_E_NS1_11comp_targetILNS1_3genE4ELNS1_11target_archE910ELNS1_3gpuE8ELNS1_3repE0EEENS1_30default_config_static_selectorELNS0_4arch9wavefront6targetE1EEEvT1_ ; -- Begin function _ZN7rocprim17ROCPRIM_400000_NS6detail17trampoline_kernelINS0_14default_configENS1_20scan_config_selectorIiEEZZNS1_9scan_implILNS1_25lookback_scan_determinismE0ELb1ELb1ES3_N6thrust23THRUST_200600_302600_NS6detail15normal_iteratorINS9_10device_ptrIiEEEESE_iNS9_4plusIvEEiEEDaPvRmT3_T4_T5_mT6_P12ihipStream_tbENKUlT_T0_E_clISt17integral_constantIbLb0EEST_IbLb1EEEEDaSP_SQ_EUlSP_E_NS1_11comp_targetILNS1_3genE4ELNS1_11target_archE910ELNS1_3gpuE8ELNS1_3repE0EEENS1_30default_config_static_selectorELNS0_4arch9wavefront6targetE1EEEvT1_
	.globl	_ZN7rocprim17ROCPRIM_400000_NS6detail17trampoline_kernelINS0_14default_configENS1_20scan_config_selectorIiEEZZNS1_9scan_implILNS1_25lookback_scan_determinismE0ELb1ELb1ES3_N6thrust23THRUST_200600_302600_NS6detail15normal_iteratorINS9_10device_ptrIiEEEESE_iNS9_4plusIvEEiEEDaPvRmT3_T4_T5_mT6_P12ihipStream_tbENKUlT_T0_E_clISt17integral_constantIbLb0EEST_IbLb1EEEEDaSP_SQ_EUlSP_E_NS1_11comp_targetILNS1_3genE4ELNS1_11target_archE910ELNS1_3gpuE8ELNS1_3repE0EEENS1_30default_config_static_selectorELNS0_4arch9wavefront6targetE1EEEvT1_
	.p2align	8
	.type	_ZN7rocprim17ROCPRIM_400000_NS6detail17trampoline_kernelINS0_14default_configENS1_20scan_config_selectorIiEEZZNS1_9scan_implILNS1_25lookback_scan_determinismE0ELb1ELb1ES3_N6thrust23THRUST_200600_302600_NS6detail15normal_iteratorINS9_10device_ptrIiEEEESE_iNS9_4plusIvEEiEEDaPvRmT3_T4_T5_mT6_P12ihipStream_tbENKUlT_T0_E_clISt17integral_constantIbLb0EEST_IbLb1EEEEDaSP_SQ_EUlSP_E_NS1_11comp_targetILNS1_3genE4ELNS1_11target_archE910ELNS1_3gpuE8ELNS1_3repE0EEENS1_30default_config_static_selectorELNS0_4arch9wavefront6targetE1EEEvT1_,@function
_ZN7rocprim17ROCPRIM_400000_NS6detail17trampoline_kernelINS0_14default_configENS1_20scan_config_selectorIiEEZZNS1_9scan_implILNS1_25lookback_scan_determinismE0ELb1ELb1ES3_N6thrust23THRUST_200600_302600_NS6detail15normal_iteratorINS9_10device_ptrIiEEEESE_iNS9_4plusIvEEiEEDaPvRmT3_T4_T5_mT6_P12ihipStream_tbENKUlT_T0_E_clISt17integral_constantIbLb0EEST_IbLb1EEEEDaSP_SQ_EUlSP_E_NS1_11comp_targetILNS1_3genE4ELNS1_11target_archE910ELNS1_3gpuE8ELNS1_3repE0EEENS1_30default_config_static_selectorELNS0_4arch9wavefront6targetE1EEEvT1_: ; @_ZN7rocprim17ROCPRIM_400000_NS6detail17trampoline_kernelINS0_14default_configENS1_20scan_config_selectorIiEEZZNS1_9scan_implILNS1_25lookback_scan_determinismE0ELb1ELb1ES3_N6thrust23THRUST_200600_302600_NS6detail15normal_iteratorINS9_10device_ptrIiEEEESE_iNS9_4plusIvEEiEEDaPvRmT3_T4_T5_mT6_P12ihipStream_tbENKUlT_T0_E_clISt17integral_constantIbLb0EEST_IbLb1EEEEDaSP_SQ_EUlSP_E_NS1_11comp_targetILNS1_3genE4ELNS1_11target_archE910ELNS1_3gpuE8ELNS1_3repE0EEENS1_30default_config_static_selectorELNS0_4arch9wavefront6targetE1EEEvT1_
; %bb.0:
	s_load_dword s33, s[4:5], 0x20
	s_load_dwordx2 s[6:7], s[4:5], 0x28
	v_cmp_ne_u32_e64 s[2:3], 0, v0
	v_cmp_eq_u32_e64 s[0:1], 0, v0
	s_and_saveexec_b64 s[8:9], s[0:1]
	s_cbranch_execz .LBB860_4
; %bb.1:
	s_mov_b64 s[12:13], exec
	v_mbcnt_lo_u32_b32 v1, s12, 0
	v_mbcnt_hi_u32_b32 v1, s13, v1
	v_cmp_eq_u32_e32 vcc, 0, v1
                                        ; implicit-def: $vgpr2
	s_and_saveexec_b64 s[10:11], vcc
	s_cbranch_execz .LBB860_3
; %bb.2:
	s_load_dwordx2 s[14:15], s[4:5], 0x58
	s_bcnt1_i32_b64 s12, s[12:13]
	v_mov_b32_e32 v2, 0
	v_mov_b32_e32 v3, s12
	s_waitcnt lgkmcnt(0)
	global_atomic_add v2, v2, v3, s[14:15] glc
.LBB860_3:
	s_or_b64 exec, exec, s[10:11]
	s_waitcnt vmcnt(0)
	v_readfirstlane_b32 s10, v2
	v_add_u32_e32 v1, s10, v1
	v_mov_b32_e32 v2, 0
	ds_write_b32 v2, v1
.LBB860_4:
	s_or_b64 exec, exec, s[8:9]
	s_load_dwordx8 s[16:23], s[4:5], 0x0
	s_load_dword s24, s[4:5], 0x30
	s_load_dwordx8 s[8:15], s[4:5], 0x38
	v_mov_b32_e32 v1, 0
	s_waitcnt lgkmcnt(0)
	s_barrier
	ds_read_b32 v1, v1
	s_lshl_b64 s[18:19], s[18:19], 2
	s_add_u32 s34, s16, s18
	s_addc_u32 s35, s17, s19
	s_add_i32 s16, s24, -1
	s_mul_i32 s17, s16, 0x500
	s_sub_u32 s30, s22, s17
	s_waitcnt lgkmcnt(0)
	v_readfirstlane_b32 s36, v1
	s_subb_u32 s31, s23, 0
	s_mul_i32 s4, s36, 0x500
	s_mov_b32 s5, 0
	s_cmp_lg_u32 s36, s16
	s_cselect_b64 s[16:17], -1, 0
	s_lshl_b64 s[22:23], s[4:5], 2
	s_add_u32 s24, s34, s22
	s_addc_u32 s25, s35, s23
	s_mov_b64 s[4:5], -1
	s_and_b64 vcc, exec, s[16:17]
	v_lshlrev_b32_e32 v22, 2, v0
	s_barrier
	s_cbranch_vccz .LBB860_6
; %bb.5:
	v_mov_b32_e32 v1, s25
	v_add_co_u32_e32 v2, vcc, s24, v22
	v_addc_co_u32_e32 v3, vcc, 0, v1, vcc
	flat_load_dword v1, v[2:3]
	flat_load_dword v4, v[2:3] offset:512
	flat_load_dword v5, v[2:3] offset:1024
	;; [unrolled: 1-line block ×7, first 2 shown]
	v_add_co_u32_e32 v2, vcc, 0x1000, v2
	v_addc_co_u32_e32 v3, vcc, 0, v3, vcc
	flat_load_dword v11, v[2:3]
	flat_load_dword v12, v[2:3] offset:512
	s_mov_b64 s[4:5], 0
	s_waitcnt vmcnt(0) lgkmcnt(0)
	ds_write2st64_b32 v22, v1, v4 offset1:2
	ds_write2st64_b32 v22, v5, v6 offset0:4 offset1:6
	ds_write2st64_b32 v22, v7, v8 offset0:8 offset1:10
	;; [unrolled: 1-line block ×4, first 2 shown]
	s_waitcnt lgkmcnt(0)
	s_barrier
.LBB860_6:
	s_andn2_b64 vcc, exec, s[4:5]
	v_cmp_gt_u32_e64 s[4:5], s30, v0
	s_cbranch_vccnz .LBB860_28
; %bb.7:
	v_pk_mov_b32 v[2:3], s[24:25], s[24:25] op_sel:[0,1]
	flat_load_dword v1, v[2:3]
	s_waitcnt vmcnt(0) lgkmcnt(0)
	v_mov_b32_e32 v2, v1
	v_mov_b32_e32 v3, v1
	;; [unrolled: 1-line block ×9, first 2 shown]
	s_and_saveexec_b64 s[26:27], s[4:5]
	s_cbranch_execz .LBB860_9
; %bb.8:
	v_mov_b32_e32 v11, s25
	v_add_co_u32_e32 v10, vcc, s24, v22
	v_addc_co_u32_e32 v11, vcc, 0, v11, vcc
	flat_load_dword v10, v[10:11]
.LBB860_9:
	s_or_b64 exec, exec, s[26:27]
	v_or_b32_e32 v11, 0x80, v0
	v_cmp_gt_u32_e32 vcc, s30, v11
	s_and_saveexec_b64 s[4:5], vcc
	s_cbranch_execz .LBB860_11
; %bb.10:
	v_mov_b32_e32 v1, s25
	v_add_co_u32_e32 v12, vcc, s24, v22
	v_addc_co_u32_e32 v13, vcc, 0, v1, vcc
	flat_load_dword v1, v[12:13] offset:512
.LBB860_11:
	s_or_b64 exec, exec, s[4:5]
	v_or_b32_e32 v11, 0x100, v0
	v_cmp_gt_u32_e32 vcc, s30, v11
	s_and_saveexec_b64 s[4:5], vcc
	s_cbranch_execz .LBB860_13
; %bb.12:
	v_mov_b32_e32 v2, s25
	v_add_co_u32_e32 v12, vcc, s24, v22
	v_addc_co_u32_e32 v13, vcc, 0, v2, vcc
	flat_load_dword v2, v[12:13] offset:1024
.LBB860_13:
	;; [unrolled: 11-line block ×7, first 2 shown]
	s_or_b64 exec, exec, s[4:5]
	v_or_b32_e32 v11, 0x400, v0
	v_cmp_gt_u32_e32 vcc, s30, v11
	s_and_saveexec_b64 s[4:5], vcc
	s_cbranch_execz .LBB860_25
; %bb.24:
	v_lshlrev_b32_e32 v8, 2, v11
	v_mov_b32_e32 v11, s25
	v_add_co_u32_e32 v12, vcc, s24, v8
	v_addc_co_u32_e32 v13, vcc, 0, v11, vcc
	flat_load_dword v8, v[12:13]
.LBB860_25:
	s_or_b64 exec, exec, s[4:5]
	v_or_b32_e32 v11, 0x480, v0
	v_cmp_gt_u32_e32 vcc, s30, v11
	s_and_saveexec_b64 s[4:5], vcc
	s_cbranch_execz .LBB860_27
; %bb.26:
	v_lshlrev_b32_e32 v9, 2, v11
	v_mov_b32_e32 v11, s25
	v_add_co_u32_e32 v12, vcc, s24, v9
	v_addc_co_u32_e32 v13, vcc, 0, v11, vcc
	flat_load_dword v9, v[12:13]
.LBB860_27:
	s_or_b64 exec, exec, s[4:5]
	s_waitcnt vmcnt(0) lgkmcnt(0)
	ds_write2st64_b32 v22, v10, v1 offset1:2
	ds_write2st64_b32 v22, v2, v3 offset0:4 offset1:6
	ds_write2st64_b32 v22, v4, v5 offset0:8 offset1:10
	;; [unrolled: 1-line block ×4, first 2 shown]
	s_waitcnt lgkmcnt(0)
	s_barrier
.LBB860_28:
	v_mul_u32_u24_e32 v23, 10, v0
	v_lshlrev_b32_e32 v1, 2, v23
	ds_read2_b64 v[16:19], v1 offset1:1
	ds_read2_b64 v[12:15], v1 offset0:2 offset1:3
	ds_read_b64 v[20:21], v1 offset:32
	s_cmp_lg_u32 s36, 0
	v_lshrrev_b32_e32 v24, 5, v0
	s_waitcnt lgkmcnt(2)
	v_add_u32_e32 v2, v17, v16
	v_add3_u32 v25, v2, v18, v19
	v_cmp_gt_u32_e32 vcc, 64, v0
	s_waitcnt lgkmcnt(0)
	s_barrier
	s_cbranch_scc0 .LBB860_53
; %bb.29:
	v_add3_u32 v2, v25, v12, v13
	v_add3_u32 v2, v2, v14, v15
	;; [unrolled: 1-line block ×3, first 2 shown]
	v_add_lshl_u32 v3, v24, v0, 2
	ds_write_b32 v3, v2
	s_waitcnt lgkmcnt(0)
	s_barrier
	s_and_saveexec_b64 s[24:25], vcc
	s_cbranch_execz .LBB860_31
; %bb.30:
	v_lshlrev_b32_e32 v3, 1, v0
	v_lshrrev_b32_e32 v4, 4, v0
	v_add_lshl_u32 v3, v4, v3, 2
	ds_read2_b32 v[4:5], v3 offset1:1
	v_mbcnt_lo_u32_b32 v6, -1, 0
	v_mbcnt_hi_u32_b32 v6, -1, v6
	v_and_b32_e32 v7, 15, v6
	v_cmp_ne_u32_e64 s[4:5], 0, v7
	s_waitcnt lgkmcnt(0)
	v_add_u32_e32 v5, v5, v4
	; wave barrier
	s_nop 1
	v_mov_b32_dpp v8, v5 row_shr:1 row_mask:0xf bank_mask:0xf
	v_cndmask_b32_e64 v8, 0, v8, s[4:5]
	v_add_u32_e32 v5, v8, v5
	v_cmp_lt_u32_e64 s[4:5], 1, v7
	s_nop 0
	v_mov_b32_dpp v8, v5 row_shr:2 row_mask:0xf bank_mask:0xf
	v_cndmask_b32_e64 v8, 0, v8, s[4:5]
	v_add_u32_e32 v5, v5, v8
	v_cmp_lt_u32_e64 s[4:5], 3, v7
	;; [unrolled: 5-line block ×3, first 2 shown]
	s_nop 0
	v_mov_b32_dpp v8, v5 row_shr:8 row_mask:0xf bank_mask:0xf
	v_cndmask_b32_e64 v7, 0, v8, s[4:5]
	v_add_u32_e32 v5, v5, v7
	v_bfe_i32 v8, v6, 4, 1
	v_cmp_lt_u32_e64 s[4:5], 31, v6
	v_mov_b32_dpp v7, v5 row_bcast:15 row_mask:0xf bank_mask:0xf
	v_and_b32_e32 v7, v8, v7
	v_add_u32_e32 v5, v5, v7
	v_and_b32_e32 v8, 64, v6
	s_nop 0
	v_mov_b32_dpp v7, v5 row_bcast:31 row_mask:0xf bank_mask:0xf
	v_cndmask_b32_e64 v7, 0, v7, s[4:5]
	v_add_u32_e32 v5, v5, v7
	v_add_u32_e32 v7, -1, v6
	v_cmp_lt_i32_e64 s[4:5], v7, v8
	v_cndmask_b32_e64 v6, v7, v6, s[4:5]
	v_lshlrev_b32_e32 v6, 2, v6
	ds_bpermute_b32 v5, v6, v5
	s_waitcnt lgkmcnt(0)
	v_add_u32_e32 v4, v5, v4
	v_cndmask_b32_e64 v2, v4, v2, s[0:1]
	ds_write_b32 v3, v2
	; wave barrier
	ds_read_b32 v4, v3 offset:4
	s_waitcnt lgkmcnt(0)
	v_add_u32_e32 v2, v4, v2
	ds_write_b32 v3, v2 offset:4
.LBB860_31:
	s_or_b64 exec, exec, s[24:25]
	v_mov_b32_e32 v26, 0
	s_waitcnt lgkmcnt(0)
	s_barrier
	s_and_saveexec_b64 s[4:5], s[2:3]
	s_cbranch_execz .LBB860_33
; %bb.32:
	v_add_u32_e32 v2, -1, v0
	v_lshrrev_b32_e32 v3, 5, v2
	v_add_lshl_u32 v2, v3, v2, 2
	ds_read_b32 v26, v2
.LBB860_33:
	s_or_b64 exec, exec, s[4:5]
	s_and_saveexec_b64 s[24:25], vcc
	s_cbranch_execz .LBB860_52
; %bb.34:
	v_mov_b32_e32 v9, 0
	ds_read_b32 v2, v9 offset:520
	v_mbcnt_lo_u32_b32 v3, -1, 0
	v_mbcnt_hi_u32_b32 v5, -1, v3
	s_mov_b32 s29, 0
	v_cmp_eq_u32_e64 s[4:5], 0, v5
	s_and_saveexec_b64 s[26:27], s[4:5]
	s_cbranch_execz .LBB860_36
; %bb.35:
	s_add_i32 s28, s36, 64
	s_lshl_b64 s[28:29], s[28:29], 3
	s_add_u32 s28, s6, s28
	v_mov_b32_e32 v3, 1
	s_addc_u32 s29, s7, s29
	s_waitcnt lgkmcnt(0)
	global_store_dwordx2 v9, v[2:3], s[28:29]
.LBB860_36:
	s_or_b64 exec, exec, s[26:27]
	v_xad_u32 v4, v5, -1, s36
	v_add_u32_e32 v8, 64, v4
	v_lshlrev_b64 v[6:7], 3, v[8:9]
	v_mov_b32_e32 v3, s7
	v_add_co_u32_e32 v10, vcc, s6, v6
	v_addc_co_u32_e32 v11, vcc, v3, v7, vcc
	global_load_dwordx2 v[6:7], v[10:11], off glc
	s_waitcnt vmcnt(0)
	v_cmp_eq_u16_sdwa s[28:29], v7, v9 src0_sel:BYTE_0 src1_sel:DWORD
	s_and_saveexec_b64 s[26:27], s[28:29]
	s_cbranch_execz .LBB860_40
; %bb.37:
	s_mov_b64 s[28:29], 0
	v_mov_b32_e32 v3, 0
.LBB860_38:                             ; =>This Inner Loop Header: Depth=1
	global_load_dwordx2 v[6:7], v[10:11], off glc
	s_waitcnt vmcnt(0)
	v_cmp_ne_u16_sdwa s[38:39], v7, v3 src0_sel:BYTE_0 src1_sel:DWORD
	s_or_b64 s[28:29], s[38:39], s[28:29]
	s_andn2_b64 exec, exec, s[28:29]
	s_cbranch_execnz .LBB860_38
; %bb.39:
	s_or_b64 exec, exec, s[28:29]
.LBB860_40:
	s_or_b64 exec, exec, s[26:27]
	v_and_b32_e32 v27, 63, v5
	v_mov_b32_e32 v3, 2
	v_cmp_ne_u32_e32 vcc, 63, v27
	v_cmp_eq_u16_sdwa s[26:27], v7, v3 src0_sel:BYTE_0 src1_sel:DWORD
	v_lshlrev_b64 v[8:9], v5, -1
	v_addc_co_u32_e32 v28, vcc, 0, v5, vcc
	v_and_b32_e32 v10, s27, v9
	v_lshlrev_b32_e32 v28, 2, v28
	v_or_b32_e32 v10, 0x80000000, v10
	ds_bpermute_b32 v29, v28, v6
	v_and_b32_e32 v11, s26, v8
	v_ffbl_b32_e32 v10, v10
	v_add_u32_e32 v10, 32, v10
	v_ffbl_b32_e32 v11, v11
	v_min_u32_e32 v10, v11, v10
	v_cmp_lt_u32_e32 vcc, v27, v10
	s_waitcnt lgkmcnt(0)
	v_cndmask_b32_e32 v11, 0, v29, vcc
	v_cmp_gt_u32_e32 vcc, 62, v27
	v_add_u32_e32 v6, v11, v6
	v_cndmask_b32_e64 v11, 0, 1, vcc
	v_lshlrev_b32_e32 v11, 1, v11
	v_add_lshl_u32 v29, v11, v5, 2
	ds_bpermute_b32 v11, v29, v6
	v_add_u32_e32 v30, 2, v27
	v_cmp_le_u32_e32 vcc, v30, v10
	v_add_u32_e32 v32, 4, v27
	v_add_u32_e32 v34, 8, v27
	s_waitcnt lgkmcnt(0)
	v_cndmask_b32_e32 v11, 0, v11, vcc
	v_cmp_gt_u32_e32 vcc, 60, v27
	v_add_u32_e32 v6, v6, v11
	v_cndmask_b32_e64 v11, 0, 1, vcc
	v_lshlrev_b32_e32 v11, 2, v11
	v_add_lshl_u32 v31, v11, v5, 2
	ds_bpermute_b32 v11, v31, v6
	v_cmp_le_u32_e32 vcc, v32, v10
	v_add_u32_e32 v37, 16, v27
	v_add_u32_e32 v39, 32, v27
	s_waitcnt lgkmcnt(0)
	v_cndmask_b32_e32 v11, 0, v11, vcc
	v_cmp_gt_u32_e32 vcc, 56, v27
	v_add_u32_e32 v6, v6, v11
	v_cndmask_b32_e64 v11, 0, 1, vcc
	v_lshlrev_b32_e32 v11, 3, v11
	v_add_lshl_u32 v33, v11, v5, 2
	ds_bpermute_b32 v11, v33, v6
	v_cmp_le_u32_e32 vcc, v34, v10
	s_waitcnt lgkmcnt(0)
	v_cndmask_b32_e32 v11, 0, v11, vcc
	v_cmp_gt_u32_e32 vcc, 48, v27
	v_add_u32_e32 v6, v6, v11
	v_cndmask_b32_e64 v11, 0, 1, vcc
	v_lshlrev_b32_e32 v11, 4, v11
	v_add_lshl_u32 v36, v11, v5, 2
	ds_bpermute_b32 v11, v36, v6
	v_cmp_le_u32_e32 vcc, v37, v10
	;; [unrolled: 9-line block ×3, first 2 shown]
	s_waitcnt lgkmcnt(0)
	v_cndmask_b32_e32 v5, 0, v5, vcc
	v_add_u32_e32 v6, v6, v5
	v_mov_b32_e32 v5, 0
	s_branch .LBB860_42
.LBB860_41:                             ;   in Loop: Header=BB860_42 Depth=1
	s_or_b64 exec, exec, s[26:27]
	v_cmp_eq_u16_sdwa s[26:27], v7, v3 src0_sel:BYTE_0 src1_sel:DWORD
	v_and_b32_e32 v10, s27, v9
	v_or_b32_e32 v10, 0x80000000, v10
	ds_bpermute_b32 v40, v28, v6
	v_and_b32_e32 v11, s26, v8
	v_ffbl_b32_e32 v10, v10
	v_add_u32_e32 v10, 32, v10
	v_ffbl_b32_e32 v11, v11
	v_min_u32_e32 v10, v11, v10
	v_cmp_lt_u32_e32 vcc, v27, v10
	s_waitcnt lgkmcnt(0)
	v_cndmask_b32_e32 v11, 0, v40, vcc
	v_add_u32_e32 v6, v11, v6
	ds_bpermute_b32 v11, v29, v6
	v_cmp_le_u32_e32 vcc, v30, v10
	v_subrev_u32_e32 v4, 64, v4
	s_waitcnt lgkmcnt(0)
	v_cndmask_b32_e32 v11, 0, v11, vcc
	v_add_u32_e32 v6, v6, v11
	ds_bpermute_b32 v11, v31, v6
	v_cmp_le_u32_e32 vcc, v32, v10
	s_waitcnt lgkmcnt(0)
	v_cndmask_b32_e32 v11, 0, v11, vcc
	v_add_u32_e32 v6, v6, v11
	ds_bpermute_b32 v11, v33, v6
	v_cmp_le_u32_e32 vcc, v34, v10
	;; [unrolled: 5-line block ×4, first 2 shown]
	s_waitcnt lgkmcnt(0)
	v_cndmask_b32_e32 v10, 0, v11, vcc
	v_add3_u32 v6, v10, v35, v6
.LBB860_42:                             ; =>This Loop Header: Depth=1
                                        ;     Child Loop BB860_45 Depth 2
	v_cmp_ne_u16_sdwa s[26:27], v7, v3 src0_sel:BYTE_0 src1_sel:DWORD
	v_cndmask_b32_e64 v7, 0, 1, s[26:27]
	;;#ASMSTART
	;;#ASMEND
	v_cmp_ne_u32_e32 vcc, 0, v7
	s_cmp_lg_u64 vcc, exec
	v_mov_b32_e32 v35, v6
	s_cbranch_scc1 .LBB860_47
; %bb.43:                               ;   in Loop: Header=BB860_42 Depth=1
	v_lshlrev_b64 v[6:7], 3, v[4:5]
	v_mov_b32_e32 v11, s7
	v_add_co_u32_e32 v10, vcc, s6, v6
	v_addc_co_u32_e32 v11, vcc, v11, v7, vcc
	global_load_dwordx2 v[6:7], v[10:11], off glc
	s_waitcnt vmcnt(0)
	v_cmp_eq_u16_sdwa s[28:29], v7, v5 src0_sel:BYTE_0 src1_sel:DWORD
	s_and_saveexec_b64 s[26:27], s[28:29]
	s_cbranch_execz .LBB860_41
; %bb.44:                               ;   in Loop: Header=BB860_42 Depth=1
	s_mov_b64 s[28:29], 0
.LBB860_45:                             ;   Parent Loop BB860_42 Depth=1
                                        ; =>  This Inner Loop Header: Depth=2
	global_load_dwordx2 v[6:7], v[10:11], off glc
	s_waitcnt vmcnt(0)
	v_cmp_ne_u16_sdwa s[38:39], v7, v5 src0_sel:BYTE_0 src1_sel:DWORD
	s_or_b64 s[28:29], s[38:39], s[28:29]
	s_andn2_b64 exec, exec, s[28:29]
	s_cbranch_execnz .LBB860_45
; %bb.46:                               ;   in Loop: Header=BB860_42 Depth=1
	s_or_b64 exec, exec, s[28:29]
	s_branch .LBB860_41
.LBB860_47:                             ;   in Loop: Header=BB860_42 Depth=1
                                        ; implicit-def: $vgpr6
                                        ; implicit-def: $vgpr7
	s_cbranch_execz .LBB860_42
; %bb.48:
	s_and_saveexec_b64 s[26:27], s[4:5]
	s_cbranch_execz .LBB860_50
; %bb.49:
	s_add_i32 s4, s36, 64
	s_mov_b32 s5, 0
	s_lshl_b64 s[4:5], s[4:5], 3
	s_add_u32 s4, s6, s4
	v_add_u32_e32 v2, v35, v2
	v_mov_b32_e32 v3, 2
	s_addc_u32 s5, s7, s5
	v_mov_b32_e32 v4, 0
	global_store_dwordx2 v4, v[2:3], s[4:5]
.LBB860_50:
	s_or_b64 exec, exec, s[26:27]
	s_and_b64 exec, exec, s[0:1]
	s_cbranch_execz .LBB860_52
; %bb.51:
	v_mov_b32_e32 v2, 0
	ds_write_b32 v2, v35
.LBB860_52:
	s_or_b64 exec, exec, s[24:25]
	v_mov_b32_e32 v2, 0
	s_waitcnt lgkmcnt(0)
	s_barrier
	ds_read_b32 v2, v2
	s_waitcnt lgkmcnt(0)
	v_add_u32_e32 v2, v2, v26
	v_add_u32_e32 v3, v2, v16
	;; [unrolled: 1-line block ×10, first 2 shown]
	s_branch .LBB860_63
.LBB860_53:
                                        ; implicit-def: $vgpr2_vgpr3_vgpr4_vgpr5_vgpr6_vgpr7_vgpr8_vgpr9_vgpr10_vgpr11
	s_cbranch_execz .LBB860_63
; %bb.54:
	s_cmp_eq_u64 s[12:13], 0
	v_mov_b32_e32 v26, s33
	s_cbranch_scc1 .LBB860_56
; %bb.55:
	v_mov_b32_e32 v3, s35
	v_add_co_u32_e64 v2, vcc, -4, s34
	v_addc_co_u32_e32 v3, vcc, -1, v3, vcc
	v_mov_b32_e32 v4, 0
	flat_load_dword v5, v[2:3]
	global_load_dword v6, v4, s[8:9]
	s_waitcnt vmcnt(0) lgkmcnt(0)
	v_add_u32_e32 v26, v6, v5
.LBB860_56:
	v_add3_u32 v2, v25, v12, v13
	v_add3_u32 v2, v2, v14, v15
	;; [unrolled: 1-line block ×3, first 2 shown]
	v_add_lshl_u32 v3, v24, v0, 2
	v_cmp_gt_u32_e32 vcc, 64, v0
	ds_write_b32 v3, v2
	s_waitcnt lgkmcnt(0)
	s_barrier
	s_and_saveexec_b64 s[4:5], vcc
	s_cbranch_execz .LBB860_58
; %bb.57:
	v_lshlrev_b32_e32 v3, 1, v0
	v_lshrrev_b32_e32 v4, 4, v0
	v_add_lshl_u32 v3, v4, v3, 2
	ds_read2_b32 v[4:5], v3 offset1:1
	v_mbcnt_lo_u32_b32 v6, -1, 0
	v_mbcnt_hi_u32_b32 v6, -1, v6
	v_and_b32_e32 v7, 15, v6
	v_cmp_ne_u32_e32 vcc, 0, v7
	s_waitcnt lgkmcnt(0)
	v_add_u32_e32 v5, v5, v4
	; wave barrier
	s_nop 1
	v_mov_b32_dpp v8, v5 row_shr:1 row_mask:0xf bank_mask:0xf
	v_cndmask_b32_e32 v8, 0, v8, vcc
	v_add_u32_e32 v5, v8, v5
	v_cmp_lt_u32_e32 vcc, 1, v7
	s_nop 0
	v_mov_b32_dpp v8, v5 row_shr:2 row_mask:0xf bank_mask:0xf
	v_cndmask_b32_e32 v8, 0, v8, vcc
	v_add_u32_e32 v5, v5, v8
	v_cmp_lt_u32_e32 vcc, 3, v7
	;; [unrolled: 5-line block ×3, first 2 shown]
	s_nop 0
	v_mov_b32_dpp v8, v5 row_shr:8 row_mask:0xf bank_mask:0xf
	v_cndmask_b32_e32 v7, 0, v8, vcc
	v_add_u32_e32 v5, v5, v7
	v_bfe_i32 v8, v6, 4, 1
	v_cmp_lt_u32_e32 vcc, 31, v6
	v_mov_b32_dpp v7, v5 row_bcast:15 row_mask:0xf bank_mask:0xf
	v_and_b32_e32 v7, v8, v7
	v_add_u32_e32 v5, v5, v7
	v_and_b32_e32 v8, 64, v6
	s_nop 0
	v_mov_b32_dpp v7, v5 row_bcast:31 row_mask:0xf bank_mask:0xf
	v_cndmask_b32_e32 v7, 0, v7, vcc
	v_add_u32_e32 v5, v5, v7
	v_add_u32_e32 v7, -1, v6
	v_cmp_lt_i32_e32 vcc, v7, v8
	v_cndmask_b32_e32 v6, v7, v6, vcc
	v_lshlrev_b32_e32 v6, 2, v6
	ds_bpermute_b32 v5, v6, v5
	s_waitcnt lgkmcnt(0)
	v_add_u32_e32 v4, v5, v4
	v_cndmask_b32_e64 v2, v4, v2, s[0:1]
	ds_write_b32 v3, v2
	; wave barrier
	ds_read_b32 v4, v3 offset:4
	s_waitcnt lgkmcnt(0)
	v_add_u32_e32 v2, v4, v2
	ds_write_b32 v3, v2 offset:4
.LBB860_58:
	s_or_b64 exec, exec, s[4:5]
	v_mov_b32_e32 v2, v26
	s_waitcnt lgkmcnt(0)
	s_barrier
	s_and_saveexec_b64 s[4:5], s[2:3]
	s_cbranch_execz .LBB860_60
; %bb.59:
	v_add_u32_e32 v2, -1, v0
	v_lshrrev_b32_e32 v3, 5, v2
	v_add_lshl_u32 v2, v3, v2, 2
	ds_read_b32 v2, v2
	s_waitcnt lgkmcnt(0)
	v_add_u32_e32 v2, v2, v26
.LBB860_60:
	s_or_b64 exec, exec, s[4:5]
	v_add_u32_e32 v3, v2, v16
	v_add_u32_e32 v4, v3, v17
	v_add_u32_e32 v5, v4, v18
	v_add_u32_e32 v6, v5, v19
	v_add_u32_e32 v7, v6, v12
	v_add_u32_e32 v8, v7, v13
	v_add_u32_e32 v9, v8, v14
	v_add_u32_e32 v10, v9, v15
	v_add_u32_e32 v11, v10, v20
	s_and_saveexec_b64 s[2:3], s[0:1]
	s_cbranch_execz .LBB860_62
; %bb.61:
	v_mov_b32_e32 v14, 0
	ds_read_b32 v12, v14 offset:520
	v_mov_b32_e32 v13, 2
	s_waitcnt lgkmcnt(0)
	v_add_u32_e32 v12, v12, v26
	global_store_dwordx2 v14, v[12:13], s[6:7] offset:512
.LBB860_62:
	s_or_b64 exec, exec, s[2:3]
.LBB860_63:
	s_add_u32 s0, s20, s18
	s_addc_u32 s1, s21, s19
	s_add_u32 s2, s0, s22
	s_addc_u32 s3, s1, s23
	s_mov_b64 s[0:1], -1
	s_and_b64 vcc, exec, s[16:17]
	s_barrier
	s_cbranch_vccz .LBB860_65
; %bb.64:
	ds_write2_b64 v1, v[2:3], v[4:5] offset1:1
	ds_write2_b64 v1, v[6:7], v[8:9] offset0:2 offset1:3
	ds_write_b64 v1, v[10:11] offset:32
	s_waitcnt lgkmcnt(0)
	s_barrier
	ds_read2st64_b32 v[12:13], v22 offset1:2
	ds_read2st64_b32 v[14:15], v22 offset0:4 offset1:6
	ds_read2st64_b32 v[16:17], v22 offset0:8 offset1:10
	;; [unrolled: 1-line block ×4, first 2 shown]
	v_mov_b32_e32 v25, s3
	v_add_co_u32_e32 v24, vcc, s2, v22
	v_addc_co_u32_e32 v25, vcc, 0, v25, vcc
	s_waitcnt lgkmcnt(4)
	flat_store_dword v[24:25], v12
	flat_store_dword v[24:25], v13 offset:512
	s_waitcnt lgkmcnt(0)
	flat_store_dword v[24:25], v14 offset:1024
	flat_store_dword v[24:25], v15 offset:1536
	;; [unrolled: 1-line block ×6, first 2 shown]
	v_add_co_u32_e32 v12, vcc, 0x1000, v24
	v_addc_co_u32_e32 v13, vcc, 0, v25, vcc
	flat_store_dword v[12:13], v20
	flat_store_dword v[12:13], v21 offset:512
	s_mov_b64 s[0:1], 0
.LBB860_65:
	s_andn2_b64 vcc, exec, s[0:1]
	s_cbranch_vccnz .LBB860_121
; %bb.66:
	ds_write2_b64 v1, v[2:3], v[4:5] offset1:1
	ds_write2_b64 v1, v[6:7], v[8:9] offset0:2 offset1:3
	ds_write_b64 v1, v[10:11] offset:32
	s_waitcnt lgkmcnt(0)
	s_barrier
	ds_read2st64_b32 v[2:3], v22 offset1:2
	ds_read2st64_b32 v[6:7], v22 offset0:4 offset1:6
	ds_read2st64_b32 v[4:5], v22 offset0:8 offset1:10
	ds_read2st64_b32 v[8:9], v22 offset0:12 offset1:14
	ds_read2st64_b32 v[10:11], v22 offset0:16 offset1:18
	v_mov_b32_e32 v13, s3
	v_add_co_u32_e32 v12, vcc, s2, v22
	v_addc_co_u32_e32 v13, vcc, 0, v13, vcc
	v_mov_b32_e32 v1, 0
	v_cmp_gt_u32_e32 vcc, s30, v0
	s_and_saveexec_b64 s[0:1], vcc
	s_cbranch_execz .LBB860_68
; %bb.67:
	s_waitcnt lgkmcnt(0)
	flat_store_dword v[12:13], v2
.LBB860_68:
	s_or_b64 exec, exec, s[0:1]
	v_or_b32_e32 v14, 0x80, v0
	v_cmp_gt_u32_e32 vcc, s30, v14
	s_and_saveexec_b64 s[0:1], vcc
	s_cbranch_execz .LBB860_70
; %bb.69:
	s_waitcnt lgkmcnt(0)
	flat_store_dword v[12:13], v3 offset:512
.LBB860_70:
	s_or_b64 exec, exec, s[0:1]
	v_or_b32_e32 v14, 0x100, v0
	v_cmp_gt_u32_e32 vcc, s30, v14
	s_and_saveexec_b64 s[0:1], vcc
	s_cbranch_execz .LBB860_72
; %bb.71:
	s_waitcnt lgkmcnt(0)
	flat_store_dword v[12:13], v6 offset:1024
.LBB860_72:
	s_or_b64 exec, exec, s[0:1]
	v_or_b32_e32 v14, 0x180, v0
	v_cmp_gt_u32_e32 vcc, s30, v14
	s_and_saveexec_b64 s[0:1], vcc
	s_cbranch_execz .LBB860_74
; %bb.73:
	s_waitcnt lgkmcnt(0)
	flat_store_dword v[12:13], v7 offset:1536
.LBB860_74:
	s_or_b64 exec, exec, s[0:1]
	v_or_b32_e32 v14, 0x200, v0
	v_cmp_gt_u32_e32 vcc, s30, v14
	s_and_saveexec_b64 s[0:1], vcc
	s_cbranch_execz .LBB860_76
; %bb.75:
	s_waitcnt lgkmcnt(0)
	flat_store_dword v[12:13], v4 offset:2048
.LBB860_76:
	s_or_b64 exec, exec, s[0:1]
	v_or_b32_e32 v14, 0x280, v0
	v_cmp_gt_u32_e32 vcc, s30, v14
	s_and_saveexec_b64 s[0:1], vcc
	s_cbranch_execz .LBB860_78
; %bb.77:
	s_waitcnt lgkmcnt(0)
	flat_store_dword v[12:13], v5 offset:2560
.LBB860_78:
	s_or_b64 exec, exec, s[0:1]
	v_or_b32_e32 v14, 0x300, v0
	v_cmp_gt_u32_e32 vcc, s30, v14
	s_and_saveexec_b64 s[0:1], vcc
	s_cbranch_execz .LBB860_80
; %bb.79:
	s_waitcnt lgkmcnt(0)
	flat_store_dword v[12:13], v8 offset:3072
.LBB860_80:
	s_or_b64 exec, exec, s[0:1]
	v_or_b32_e32 v14, 0x380, v0
	v_cmp_gt_u32_e32 vcc, s30, v14
	s_and_saveexec_b64 s[0:1], vcc
	s_cbranch_execz .LBB860_82
; %bb.81:
	s_waitcnt lgkmcnt(0)
	flat_store_dword v[12:13], v9 offset:3584
.LBB860_82:
	s_or_b64 exec, exec, s[0:1]
	v_or_b32_e32 v14, 0x400, v0
	v_cmp_gt_u32_e32 vcc, s30, v14
	s_and_saveexec_b64 s[0:1], vcc
	s_cbranch_execz .LBB860_84
; %bb.83:
	v_add_co_u32_e32 v14, vcc, 0x1000, v12
	v_addc_co_u32_e32 v15, vcc, 0, v13, vcc
	s_waitcnt lgkmcnt(0)
	flat_store_dword v[14:15], v10
.LBB860_84:
	s_or_b64 exec, exec, s[0:1]
	v_or_b32_e32 v14, 0x480, v0
	v_cmp_gt_u32_e32 vcc, s30, v14
	s_and_saveexec_b64 s[0:1], vcc
	s_cbranch_execz .LBB860_86
; %bb.85:
	v_add_co_u32_e32 v12, vcc, 0x1000, v12
	v_addc_co_u32_e32 v13, vcc, 0, v13, vcc
	s_waitcnt lgkmcnt(0)
	flat_store_dword v[12:13], v11 offset:512
.LBB860_86:
	s_or_b64 exec, exec, s[0:1]
	v_cmp_lt_u64_e64 s[0:1], s[14:15], 2
	s_and_b64 vcc, exec, s[0:1]
	s_cbranch_vccnz .LBB860_121
; %bb.87:
	s_add_u32 s0, s30, -1
	s_addc_u32 s1, s31, -1
	s_add_u32 s2, 0, 0x99986000
	s_addc_u32 s3, 0, 0x59
	s_add_i32 s3, s3, 0x19999940
	s_mul_hi_u32 s7, s2, -10
	s_sub_i32 s7, s7, s2
	s_mul_i32 s8, s3, -10
	s_mul_i32 s4, s2, -10
	s_add_i32 s7, s7, s8
	s_mul_hi_u32 s5, s3, s4
	s_mul_i32 s6, s3, s4
	s_mul_i32 s9, s2, s7
	s_mul_hi_u32 s4, s2, s4
	s_mul_hi_u32 s8, s2, s7
	s_add_u32 s4, s4, s9
	s_addc_u32 s8, 0, s8
	s_add_u32 s4, s4, s6
	s_mul_hi_u32 s9, s3, s7
	s_addc_u32 s4, s8, s5
	s_addc_u32 s5, s9, 0
	s_mul_i32 s6, s3, s7
	s_add_u32 s4, s4, s6
	v_mov_b32_e32 v12, s4
	s_addc_u32 s5, 0, s5
	v_add_co_u32_e32 v12, vcc, s2, v12
	s_cmp_lg_u64 vcc, 0
	s_addc_u32 s2, s3, s5
	v_readfirstlane_b32 s5, v12
	s_mul_i32 s4, s0, s2
	s_mul_hi_u32 s6, s0, s5
	s_mul_hi_u32 s3, s0, s2
	s_add_u32 s4, s6, s4
	s_addc_u32 s3, 0, s3
	s_mul_hi_u32 s7, s1, s5
	s_mul_i32 s5, s1, s5
	s_add_u32 s4, s4, s5
	s_mul_hi_u32 s6, s1, s2
	s_addc_u32 s3, s3, s7
	s_addc_u32 s4, s6, 0
	s_mul_i32 s2, s1, s2
	s_add_u32 s2, s3, s2
	s_addc_u32 s3, 0, s4
	s_add_u32 s4, s2, 1
	s_addc_u32 s5, s3, 0
	s_add_u32 s6, s2, 2
	s_mul_i32 s8, s3, 10
	s_mul_hi_u32 s9, s2, 10
	s_addc_u32 s7, s3, 0
	s_add_i32 s9, s9, s8
	s_mul_i32 s8, s2, 10
	v_mov_b32_e32 v12, s8
	v_sub_co_u32_e32 v12, vcc, s0, v12
	s_cmp_lg_u64 vcc, 0
	s_subb_u32 s8, s1, s9
	v_subrev_co_u32_e32 v13, vcc, 10, v12
	s_cmp_lg_u64 vcc, 0
	s_subb_u32 s9, s8, 0
	v_readfirstlane_b32 s12, v13
	s_cmp_gt_u32 s12, 9
	s_cselect_b32 s12, -1, 0
	s_cmp_eq_u32 s9, 0
	s_cselect_b32 s9, s12, -1
	s_cmp_lg_u32 s9, 0
	s_cselect_b32 s4, s6, s4
	v_readfirstlane_b32 s6, v12
	s_cselect_b32 s5, s7, s5
	s_cmp_gt_u32 s6, 9
	s_cselect_b32 s6, -1, 0
	s_cmp_eq_u32 s8, 0
	s_cselect_b32 s6, s6, -1
	s_cmp_lg_u32 s6, 0
	s_cselect_b32 s3, s5, s3
	s_cselect_b32 s2, s4, s2
	v_cmp_eq_u64_e32 vcc, s[2:3], v[0:1]
	s_and_saveexec_b64 s[2:3], vcc
	s_cbranch_execz .LBB860_121
; %bb.88:
	v_mul_hi_u32_u24_e32 v1, 10, v0
	v_mov_b32_e32 v12, s1
	v_sub_co_u32_e32 v0, vcc, s0, v23
	v_subb_co_u32_e32 v1, vcc, v12, v1, vcc
	v_cmp_lt_i64_e32 vcc, 4, v[0:1]
	s_and_saveexec_b64 s[0:1], vcc
	s_xor_b64 s[0:1], exec, s[0:1]
	s_cbranch_execz .LBB860_106
; %bb.89:
	v_cmp_lt_i64_e32 vcc, 6, v[0:1]
	s_and_saveexec_b64 s[2:3], vcc
	s_xor_b64 s[2:3], exec, s[2:3]
	s_cbranch_execz .LBB860_99
; %bb.90:
	;; [unrolled: 5-line block ×4, first 2 shown]
	v_mov_b32_e32 v0, 0
	s_waitcnt lgkmcnt(0)
	global_store_dword v0, v11, s[10:11]
                                        ; implicit-def: $vgpr10_vgpr11
.LBB860_93:
	s_andn2_saveexec_b64 s[6:7], s[6:7]
	s_cbranch_execz .LBB860_95
; %bb.94:
	v_mov_b32_e32 v0, 0
	s_waitcnt lgkmcnt(0)
	global_store_dword v0, v10, s[10:11]
.LBB860_95:
	s_or_b64 exec, exec, s[6:7]
                                        ; implicit-def: $vgpr8_vgpr9
.LBB860_96:
	s_andn2_saveexec_b64 s[4:5], s[4:5]
	s_cbranch_execz .LBB860_98
; %bb.97:
	v_mov_b32_e32 v0, 0
	s_waitcnt lgkmcnt(0)
	global_store_dword v0, v9, s[10:11]
.LBB860_98:
	s_or_b64 exec, exec, s[4:5]
                                        ; implicit-def: $vgpr4_vgpr5
                                        ; implicit-def: $vgpr0_vgpr1
                                        ; implicit-def: $vgpr8_vgpr9
.LBB860_99:
	s_andn2_saveexec_b64 s[2:3], s[2:3]
	s_cbranch_execz .LBB860_105
; %bb.100:
	v_cmp_lt_i64_e32 vcc, 5, v[0:1]
	s_and_saveexec_b64 s[4:5], vcc
	s_xor_b64 s[4:5], exec, s[4:5]
	s_cbranch_execz .LBB860_102
; %bb.101:
	v_mov_b32_e32 v0, 0
	s_waitcnt lgkmcnt(0)
	global_store_dword v0, v8, s[10:11]
                                        ; implicit-def: $vgpr4_vgpr5
.LBB860_102:
	s_andn2_saveexec_b64 s[4:5], s[4:5]
	s_cbranch_execz .LBB860_104
; %bb.103:
	v_mov_b32_e32 v0, 0
	s_waitcnt lgkmcnt(0)
	global_store_dword v0, v5, s[10:11]
.LBB860_104:
	s_or_b64 exec, exec, s[4:5]
.LBB860_105:
	s_or_b64 exec, exec, s[2:3]
                                        ; implicit-def: $vgpr0_vgpr1
                                        ; implicit-def: $vgpr6_vgpr7
                                        ; implicit-def: $vgpr2_vgpr3
                                        ; implicit-def: $vgpr4_vgpr5
.LBB860_106:
	s_andn2_saveexec_b64 s[0:1], s[0:1]
	s_cbranch_execz .LBB860_121
; %bb.107:
	v_cmp_lt_i64_e32 vcc, 2, v[0:1]
	s_and_saveexec_b64 s[0:1], vcc
	s_xor_b64 s[0:1], exec, s[0:1]
	s_cbranch_execz .LBB860_113
; %bb.108:
	v_cmp_lt_i64_e32 vcc, 3, v[0:1]
	s_and_saveexec_b64 s[2:3], vcc
	s_xor_b64 s[2:3], exec, s[2:3]
	s_cbranch_execz .LBB860_110
; %bb.109:
	v_mov_b32_e32 v0, 0
	s_waitcnt lgkmcnt(0)
	global_store_dword v0, v4, s[10:11]
                                        ; implicit-def: $vgpr6_vgpr7
.LBB860_110:
	s_andn2_saveexec_b64 s[2:3], s[2:3]
	s_cbranch_execz .LBB860_112
; %bb.111:
	v_mov_b32_e32 v0, 0
	s_waitcnt lgkmcnt(0)
	global_store_dword v0, v7, s[10:11]
.LBB860_112:
	s_or_b64 exec, exec, s[2:3]
                                        ; implicit-def: $vgpr0_vgpr1
                                        ; implicit-def: $vgpr6_vgpr7
                                        ; implicit-def: $vgpr2_vgpr3
.LBB860_113:
	s_andn2_saveexec_b64 s[0:1], s[0:1]
	s_cbranch_execz .LBB860_121
; %bb.114:
	v_cmp_lt_i64_e32 vcc, 1, v[0:1]
	s_and_saveexec_b64 s[0:1], vcc
	s_xor_b64 s[0:1], exec, s[0:1]
	s_cbranch_execz .LBB860_116
; %bb.115:
	v_mov_b32_e32 v0, 0
	s_waitcnt lgkmcnt(0)
	global_store_dword v0, v6, s[10:11]
                                        ; implicit-def: $vgpr2_vgpr3
                                        ; implicit-def: $vgpr0_vgpr1
.LBB860_116:
	s_andn2_saveexec_b64 s[0:1], s[0:1]
	s_cbranch_execz .LBB860_121
; %bb.117:
	v_cmp_ne_u64_e32 vcc, 1, v[0:1]
	s_and_saveexec_b64 s[0:1], vcc
	s_xor_b64 s[0:1], exec, s[0:1]
	s_cbranch_execz .LBB860_119
; %bb.118:
	v_mov_b32_e32 v0, 0
	s_waitcnt lgkmcnt(0)
	global_store_dword v0, v2, s[10:11]
                                        ; implicit-def: $vgpr2_vgpr3
.LBB860_119:
	s_andn2_saveexec_b64 s[0:1], s[0:1]
	s_cbranch_execz .LBB860_121
; %bb.120:
	v_mov_b32_e32 v0, 0
	s_waitcnt lgkmcnt(0)
	global_store_dword v0, v3, s[10:11]
.LBB860_121:
	s_endpgm
	.section	.rodata,"a",@progbits
	.p2align	6, 0x0
	.amdhsa_kernel _ZN7rocprim17ROCPRIM_400000_NS6detail17trampoline_kernelINS0_14default_configENS1_20scan_config_selectorIiEEZZNS1_9scan_implILNS1_25lookback_scan_determinismE0ELb1ELb1ES3_N6thrust23THRUST_200600_302600_NS6detail15normal_iteratorINS9_10device_ptrIiEEEESE_iNS9_4plusIvEEiEEDaPvRmT3_T4_T5_mT6_P12ihipStream_tbENKUlT_T0_E_clISt17integral_constantIbLb0EEST_IbLb1EEEEDaSP_SQ_EUlSP_E_NS1_11comp_targetILNS1_3genE4ELNS1_11target_archE910ELNS1_3gpuE8ELNS1_3repE0EEENS1_30default_config_static_selectorELNS0_4arch9wavefront6targetE1EEEvT1_
		.amdhsa_group_segment_fixed_size 5120
		.amdhsa_private_segment_fixed_size 0
		.amdhsa_kernarg_size 96
		.amdhsa_user_sgpr_count 6
		.amdhsa_user_sgpr_private_segment_buffer 1
		.amdhsa_user_sgpr_dispatch_ptr 0
		.amdhsa_user_sgpr_queue_ptr 0
		.amdhsa_user_sgpr_kernarg_segment_ptr 1
		.amdhsa_user_sgpr_dispatch_id 0
		.amdhsa_user_sgpr_flat_scratch_init 0
		.amdhsa_user_sgpr_kernarg_preload_length 0
		.amdhsa_user_sgpr_kernarg_preload_offset 0
		.amdhsa_user_sgpr_private_segment_size 0
		.amdhsa_uses_dynamic_stack 0
		.amdhsa_system_sgpr_private_segment_wavefront_offset 0
		.amdhsa_system_sgpr_workgroup_id_x 1
		.amdhsa_system_sgpr_workgroup_id_y 0
		.amdhsa_system_sgpr_workgroup_id_z 0
		.amdhsa_system_sgpr_workgroup_info 0
		.amdhsa_system_vgpr_workitem_id 0
		.amdhsa_next_free_vgpr 41
		.amdhsa_next_free_sgpr 40
		.amdhsa_accum_offset 44
		.amdhsa_reserve_vcc 1
		.amdhsa_reserve_flat_scratch 0
		.amdhsa_float_round_mode_32 0
		.amdhsa_float_round_mode_16_64 0
		.amdhsa_float_denorm_mode_32 3
		.amdhsa_float_denorm_mode_16_64 3
		.amdhsa_dx10_clamp 1
		.amdhsa_ieee_mode 1
		.amdhsa_fp16_overflow 0
		.amdhsa_tg_split 0
		.amdhsa_exception_fp_ieee_invalid_op 0
		.amdhsa_exception_fp_denorm_src 0
		.amdhsa_exception_fp_ieee_div_zero 0
		.amdhsa_exception_fp_ieee_overflow 0
		.amdhsa_exception_fp_ieee_underflow 0
		.amdhsa_exception_fp_ieee_inexact 0
		.amdhsa_exception_int_div_zero 0
	.end_amdhsa_kernel
	.section	.text._ZN7rocprim17ROCPRIM_400000_NS6detail17trampoline_kernelINS0_14default_configENS1_20scan_config_selectorIiEEZZNS1_9scan_implILNS1_25lookback_scan_determinismE0ELb1ELb1ES3_N6thrust23THRUST_200600_302600_NS6detail15normal_iteratorINS9_10device_ptrIiEEEESE_iNS9_4plusIvEEiEEDaPvRmT3_T4_T5_mT6_P12ihipStream_tbENKUlT_T0_E_clISt17integral_constantIbLb0EEST_IbLb1EEEEDaSP_SQ_EUlSP_E_NS1_11comp_targetILNS1_3genE4ELNS1_11target_archE910ELNS1_3gpuE8ELNS1_3repE0EEENS1_30default_config_static_selectorELNS0_4arch9wavefront6targetE1EEEvT1_,"axG",@progbits,_ZN7rocprim17ROCPRIM_400000_NS6detail17trampoline_kernelINS0_14default_configENS1_20scan_config_selectorIiEEZZNS1_9scan_implILNS1_25lookback_scan_determinismE0ELb1ELb1ES3_N6thrust23THRUST_200600_302600_NS6detail15normal_iteratorINS9_10device_ptrIiEEEESE_iNS9_4plusIvEEiEEDaPvRmT3_T4_T5_mT6_P12ihipStream_tbENKUlT_T0_E_clISt17integral_constantIbLb0EEST_IbLb1EEEEDaSP_SQ_EUlSP_E_NS1_11comp_targetILNS1_3genE4ELNS1_11target_archE910ELNS1_3gpuE8ELNS1_3repE0EEENS1_30default_config_static_selectorELNS0_4arch9wavefront6targetE1EEEvT1_,comdat
.Lfunc_end860:
	.size	_ZN7rocprim17ROCPRIM_400000_NS6detail17trampoline_kernelINS0_14default_configENS1_20scan_config_selectorIiEEZZNS1_9scan_implILNS1_25lookback_scan_determinismE0ELb1ELb1ES3_N6thrust23THRUST_200600_302600_NS6detail15normal_iteratorINS9_10device_ptrIiEEEESE_iNS9_4plusIvEEiEEDaPvRmT3_T4_T5_mT6_P12ihipStream_tbENKUlT_T0_E_clISt17integral_constantIbLb0EEST_IbLb1EEEEDaSP_SQ_EUlSP_E_NS1_11comp_targetILNS1_3genE4ELNS1_11target_archE910ELNS1_3gpuE8ELNS1_3repE0EEENS1_30default_config_static_selectorELNS0_4arch9wavefront6targetE1EEEvT1_, .Lfunc_end860-_ZN7rocprim17ROCPRIM_400000_NS6detail17trampoline_kernelINS0_14default_configENS1_20scan_config_selectorIiEEZZNS1_9scan_implILNS1_25lookback_scan_determinismE0ELb1ELb1ES3_N6thrust23THRUST_200600_302600_NS6detail15normal_iteratorINS9_10device_ptrIiEEEESE_iNS9_4plusIvEEiEEDaPvRmT3_T4_T5_mT6_P12ihipStream_tbENKUlT_T0_E_clISt17integral_constantIbLb0EEST_IbLb1EEEEDaSP_SQ_EUlSP_E_NS1_11comp_targetILNS1_3genE4ELNS1_11target_archE910ELNS1_3gpuE8ELNS1_3repE0EEENS1_30default_config_static_selectorELNS0_4arch9wavefront6targetE1EEEvT1_
                                        ; -- End function
	.section	.AMDGPU.csdata,"",@progbits
; Kernel info:
; codeLenInByte = 4496
; NumSgprs: 44
; NumVgprs: 41
; NumAgprs: 0
; TotalNumVgprs: 41
; ScratchSize: 0
; MemoryBound: 0
; FloatMode: 240
; IeeeMode: 1
; LDSByteSize: 5120 bytes/workgroup (compile time only)
; SGPRBlocks: 5
; VGPRBlocks: 5
; NumSGPRsForWavesPerEU: 44
; NumVGPRsForWavesPerEU: 41
; AccumOffset: 44
; Occupancy: 6
; WaveLimiterHint : 1
; COMPUTE_PGM_RSRC2:SCRATCH_EN: 0
; COMPUTE_PGM_RSRC2:USER_SGPR: 6
; COMPUTE_PGM_RSRC2:TRAP_HANDLER: 0
; COMPUTE_PGM_RSRC2:TGID_X_EN: 1
; COMPUTE_PGM_RSRC2:TGID_Y_EN: 0
; COMPUTE_PGM_RSRC2:TGID_Z_EN: 0
; COMPUTE_PGM_RSRC2:TIDIG_COMP_CNT: 0
; COMPUTE_PGM_RSRC3_GFX90A:ACCUM_OFFSET: 10
; COMPUTE_PGM_RSRC3_GFX90A:TG_SPLIT: 0
	.section	.text._ZN7rocprim17ROCPRIM_400000_NS6detail17trampoline_kernelINS0_14default_configENS1_20scan_config_selectorIiEEZZNS1_9scan_implILNS1_25lookback_scan_determinismE0ELb1ELb1ES3_N6thrust23THRUST_200600_302600_NS6detail15normal_iteratorINS9_10device_ptrIiEEEESE_iNS9_4plusIvEEiEEDaPvRmT3_T4_T5_mT6_P12ihipStream_tbENKUlT_T0_E_clISt17integral_constantIbLb0EEST_IbLb1EEEEDaSP_SQ_EUlSP_E_NS1_11comp_targetILNS1_3genE3ELNS1_11target_archE908ELNS1_3gpuE7ELNS1_3repE0EEENS1_30default_config_static_selectorELNS0_4arch9wavefront6targetE1EEEvT1_,"axG",@progbits,_ZN7rocprim17ROCPRIM_400000_NS6detail17trampoline_kernelINS0_14default_configENS1_20scan_config_selectorIiEEZZNS1_9scan_implILNS1_25lookback_scan_determinismE0ELb1ELb1ES3_N6thrust23THRUST_200600_302600_NS6detail15normal_iteratorINS9_10device_ptrIiEEEESE_iNS9_4plusIvEEiEEDaPvRmT3_T4_T5_mT6_P12ihipStream_tbENKUlT_T0_E_clISt17integral_constantIbLb0EEST_IbLb1EEEEDaSP_SQ_EUlSP_E_NS1_11comp_targetILNS1_3genE3ELNS1_11target_archE908ELNS1_3gpuE7ELNS1_3repE0EEENS1_30default_config_static_selectorELNS0_4arch9wavefront6targetE1EEEvT1_,comdat
	.protected	_ZN7rocprim17ROCPRIM_400000_NS6detail17trampoline_kernelINS0_14default_configENS1_20scan_config_selectorIiEEZZNS1_9scan_implILNS1_25lookback_scan_determinismE0ELb1ELb1ES3_N6thrust23THRUST_200600_302600_NS6detail15normal_iteratorINS9_10device_ptrIiEEEESE_iNS9_4plusIvEEiEEDaPvRmT3_T4_T5_mT6_P12ihipStream_tbENKUlT_T0_E_clISt17integral_constantIbLb0EEST_IbLb1EEEEDaSP_SQ_EUlSP_E_NS1_11comp_targetILNS1_3genE3ELNS1_11target_archE908ELNS1_3gpuE7ELNS1_3repE0EEENS1_30default_config_static_selectorELNS0_4arch9wavefront6targetE1EEEvT1_ ; -- Begin function _ZN7rocprim17ROCPRIM_400000_NS6detail17trampoline_kernelINS0_14default_configENS1_20scan_config_selectorIiEEZZNS1_9scan_implILNS1_25lookback_scan_determinismE0ELb1ELb1ES3_N6thrust23THRUST_200600_302600_NS6detail15normal_iteratorINS9_10device_ptrIiEEEESE_iNS9_4plusIvEEiEEDaPvRmT3_T4_T5_mT6_P12ihipStream_tbENKUlT_T0_E_clISt17integral_constantIbLb0EEST_IbLb1EEEEDaSP_SQ_EUlSP_E_NS1_11comp_targetILNS1_3genE3ELNS1_11target_archE908ELNS1_3gpuE7ELNS1_3repE0EEENS1_30default_config_static_selectorELNS0_4arch9wavefront6targetE1EEEvT1_
	.globl	_ZN7rocprim17ROCPRIM_400000_NS6detail17trampoline_kernelINS0_14default_configENS1_20scan_config_selectorIiEEZZNS1_9scan_implILNS1_25lookback_scan_determinismE0ELb1ELb1ES3_N6thrust23THRUST_200600_302600_NS6detail15normal_iteratorINS9_10device_ptrIiEEEESE_iNS9_4plusIvEEiEEDaPvRmT3_T4_T5_mT6_P12ihipStream_tbENKUlT_T0_E_clISt17integral_constantIbLb0EEST_IbLb1EEEEDaSP_SQ_EUlSP_E_NS1_11comp_targetILNS1_3genE3ELNS1_11target_archE908ELNS1_3gpuE7ELNS1_3repE0EEENS1_30default_config_static_selectorELNS0_4arch9wavefront6targetE1EEEvT1_
	.p2align	8
	.type	_ZN7rocprim17ROCPRIM_400000_NS6detail17trampoline_kernelINS0_14default_configENS1_20scan_config_selectorIiEEZZNS1_9scan_implILNS1_25lookback_scan_determinismE0ELb1ELb1ES3_N6thrust23THRUST_200600_302600_NS6detail15normal_iteratorINS9_10device_ptrIiEEEESE_iNS9_4plusIvEEiEEDaPvRmT3_T4_T5_mT6_P12ihipStream_tbENKUlT_T0_E_clISt17integral_constantIbLb0EEST_IbLb1EEEEDaSP_SQ_EUlSP_E_NS1_11comp_targetILNS1_3genE3ELNS1_11target_archE908ELNS1_3gpuE7ELNS1_3repE0EEENS1_30default_config_static_selectorELNS0_4arch9wavefront6targetE1EEEvT1_,@function
_ZN7rocprim17ROCPRIM_400000_NS6detail17trampoline_kernelINS0_14default_configENS1_20scan_config_selectorIiEEZZNS1_9scan_implILNS1_25lookback_scan_determinismE0ELb1ELb1ES3_N6thrust23THRUST_200600_302600_NS6detail15normal_iteratorINS9_10device_ptrIiEEEESE_iNS9_4plusIvEEiEEDaPvRmT3_T4_T5_mT6_P12ihipStream_tbENKUlT_T0_E_clISt17integral_constantIbLb0EEST_IbLb1EEEEDaSP_SQ_EUlSP_E_NS1_11comp_targetILNS1_3genE3ELNS1_11target_archE908ELNS1_3gpuE7ELNS1_3repE0EEENS1_30default_config_static_selectorELNS0_4arch9wavefront6targetE1EEEvT1_: ; @_ZN7rocprim17ROCPRIM_400000_NS6detail17trampoline_kernelINS0_14default_configENS1_20scan_config_selectorIiEEZZNS1_9scan_implILNS1_25lookback_scan_determinismE0ELb1ELb1ES3_N6thrust23THRUST_200600_302600_NS6detail15normal_iteratorINS9_10device_ptrIiEEEESE_iNS9_4plusIvEEiEEDaPvRmT3_T4_T5_mT6_P12ihipStream_tbENKUlT_T0_E_clISt17integral_constantIbLb0EEST_IbLb1EEEEDaSP_SQ_EUlSP_E_NS1_11comp_targetILNS1_3genE3ELNS1_11target_archE908ELNS1_3gpuE7ELNS1_3repE0EEENS1_30default_config_static_selectorELNS0_4arch9wavefront6targetE1EEEvT1_
; %bb.0:
	.section	.rodata,"a",@progbits
	.p2align	6, 0x0
	.amdhsa_kernel _ZN7rocprim17ROCPRIM_400000_NS6detail17trampoline_kernelINS0_14default_configENS1_20scan_config_selectorIiEEZZNS1_9scan_implILNS1_25lookback_scan_determinismE0ELb1ELb1ES3_N6thrust23THRUST_200600_302600_NS6detail15normal_iteratorINS9_10device_ptrIiEEEESE_iNS9_4plusIvEEiEEDaPvRmT3_T4_T5_mT6_P12ihipStream_tbENKUlT_T0_E_clISt17integral_constantIbLb0EEST_IbLb1EEEEDaSP_SQ_EUlSP_E_NS1_11comp_targetILNS1_3genE3ELNS1_11target_archE908ELNS1_3gpuE7ELNS1_3repE0EEENS1_30default_config_static_selectorELNS0_4arch9wavefront6targetE1EEEvT1_
		.amdhsa_group_segment_fixed_size 0
		.amdhsa_private_segment_fixed_size 0
		.amdhsa_kernarg_size 96
		.amdhsa_user_sgpr_count 6
		.amdhsa_user_sgpr_private_segment_buffer 1
		.amdhsa_user_sgpr_dispatch_ptr 0
		.amdhsa_user_sgpr_queue_ptr 0
		.amdhsa_user_sgpr_kernarg_segment_ptr 1
		.amdhsa_user_sgpr_dispatch_id 0
		.amdhsa_user_sgpr_flat_scratch_init 0
		.amdhsa_user_sgpr_kernarg_preload_length 0
		.amdhsa_user_sgpr_kernarg_preload_offset 0
		.amdhsa_user_sgpr_private_segment_size 0
		.amdhsa_uses_dynamic_stack 0
		.amdhsa_system_sgpr_private_segment_wavefront_offset 0
		.amdhsa_system_sgpr_workgroup_id_x 1
		.amdhsa_system_sgpr_workgroup_id_y 0
		.amdhsa_system_sgpr_workgroup_id_z 0
		.amdhsa_system_sgpr_workgroup_info 0
		.amdhsa_system_vgpr_workitem_id 0
		.amdhsa_next_free_vgpr 1
		.amdhsa_next_free_sgpr 0
		.amdhsa_accum_offset 4
		.amdhsa_reserve_vcc 0
		.amdhsa_reserve_flat_scratch 0
		.amdhsa_float_round_mode_32 0
		.amdhsa_float_round_mode_16_64 0
		.amdhsa_float_denorm_mode_32 3
		.amdhsa_float_denorm_mode_16_64 3
		.amdhsa_dx10_clamp 1
		.amdhsa_ieee_mode 1
		.amdhsa_fp16_overflow 0
		.amdhsa_tg_split 0
		.amdhsa_exception_fp_ieee_invalid_op 0
		.amdhsa_exception_fp_denorm_src 0
		.amdhsa_exception_fp_ieee_div_zero 0
		.amdhsa_exception_fp_ieee_overflow 0
		.amdhsa_exception_fp_ieee_underflow 0
		.amdhsa_exception_fp_ieee_inexact 0
		.amdhsa_exception_int_div_zero 0
	.end_amdhsa_kernel
	.section	.text._ZN7rocprim17ROCPRIM_400000_NS6detail17trampoline_kernelINS0_14default_configENS1_20scan_config_selectorIiEEZZNS1_9scan_implILNS1_25lookback_scan_determinismE0ELb1ELb1ES3_N6thrust23THRUST_200600_302600_NS6detail15normal_iteratorINS9_10device_ptrIiEEEESE_iNS9_4plusIvEEiEEDaPvRmT3_T4_T5_mT6_P12ihipStream_tbENKUlT_T0_E_clISt17integral_constantIbLb0EEST_IbLb1EEEEDaSP_SQ_EUlSP_E_NS1_11comp_targetILNS1_3genE3ELNS1_11target_archE908ELNS1_3gpuE7ELNS1_3repE0EEENS1_30default_config_static_selectorELNS0_4arch9wavefront6targetE1EEEvT1_,"axG",@progbits,_ZN7rocprim17ROCPRIM_400000_NS6detail17trampoline_kernelINS0_14default_configENS1_20scan_config_selectorIiEEZZNS1_9scan_implILNS1_25lookback_scan_determinismE0ELb1ELb1ES3_N6thrust23THRUST_200600_302600_NS6detail15normal_iteratorINS9_10device_ptrIiEEEESE_iNS9_4plusIvEEiEEDaPvRmT3_T4_T5_mT6_P12ihipStream_tbENKUlT_T0_E_clISt17integral_constantIbLb0EEST_IbLb1EEEEDaSP_SQ_EUlSP_E_NS1_11comp_targetILNS1_3genE3ELNS1_11target_archE908ELNS1_3gpuE7ELNS1_3repE0EEENS1_30default_config_static_selectorELNS0_4arch9wavefront6targetE1EEEvT1_,comdat
.Lfunc_end861:
	.size	_ZN7rocprim17ROCPRIM_400000_NS6detail17trampoline_kernelINS0_14default_configENS1_20scan_config_selectorIiEEZZNS1_9scan_implILNS1_25lookback_scan_determinismE0ELb1ELb1ES3_N6thrust23THRUST_200600_302600_NS6detail15normal_iteratorINS9_10device_ptrIiEEEESE_iNS9_4plusIvEEiEEDaPvRmT3_T4_T5_mT6_P12ihipStream_tbENKUlT_T0_E_clISt17integral_constantIbLb0EEST_IbLb1EEEEDaSP_SQ_EUlSP_E_NS1_11comp_targetILNS1_3genE3ELNS1_11target_archE908ELNS1_3gpuE7ELNS1_3repE0EEENS1_30default_config_static_selectorELNS0_4arch9wavefront6targetE1EEEvT1_, .Lfunc_end861-_ZN7rocprim17ROCPRIM_400000_NS6detail17trampoline_kernelINS0_14default_configENS1_20scan_config_selectorIiEEZZNS1_9scan_implILNS1_25lookback_scan_determinismE0ELb1ELb1ES3_N6thrust23THRUST_200600_302600_NS6detail15normal_iteratorINS9_10device_ptrIiEEEESE_iNS9_4plusIvEEiEEDaPvRmT3_T4_T5_mT6_P12ihipStream_tbENKUlT_T0_E_clISt17integral_constantIbLb0EEST_IbLb1EEEEDaSP_SQ_EUlSP_E_NS1_11comp_targetILNS1_3genE3ELNS1_11target_archE908ELNS1_3gpuE7ELNS1_3repE0EEENS1_30default_config_static_selectorELNS0_4arch9wavefront6targetE1EEEvT1_
                                        ; -- End function
	.section	.AMDGPU.csdata,"",@progbits
; Kernel info:
; codeLenInByte = 0
; NumSgprs: 4
; NumVgprs: 0
; NumAgprs: 0
; TotalNumVgprs: 0
; ScratchSize: 0
; MemoryBound: 0
; FloatMode: 240
; IeeeMode: 1
; LDSByteSize: 0 bytes/workgroup (compile time only)
; SGPRBlocks: 0
; VGPRBlocks: 0
; NumSGPRsForWavesPerEU: 4
; NumVGPRsForWavesPerEU: 1
; AccumOffset: 4
; Occupancy: 8
; WaveLimiterHint : 0
; COMPUTE_PGM_RSRC2:SCRATCH_EN: 0
; COMPUTE_PGM_RSRC2:USER_SGPR: 6
; COMPUTE_PGM_RSRC2:TRAP_HANDLER: 0
; COMPUTE_PGM_RSRC2:TGID_X_EN: 1
; COMPUTE_PGM_RSRC2:TGID_Y_EN: 0
; COMPUTE_PGM_RSRC2:TGID_Z_EN: 0
; COMPUTE_PGM_RSRC2:TIDIG_COMP_CNT: 0
; COMPUTE_PGM_RSRC3_GFX90A:ACCUM_OFFSET: 0
; COMPUTE_PGM_RSRC3_GFX90A:TG_SPLIT: 0
	.section	.text._ZN7rocprim17ROCPRIM_400000_NS6detail17trampoline_kernelINS0_14default_configENS1_20scan_config_selectorIiEEZZNS1_9scan_implILNS1_25lookback_scan_determinismE0ELb1ELb1ES3_N6thrust23THRUST_200600_302600_NS6detail15normal_iteratorINS9_10device_ptrIiEEEESE_iNS9_4plusIvEEiEEDaPvRmT3_T4_T5_mT6_P12ihipStream_tbENKUlT_T0_E_clISt17integral_constantIbLb0EEST_IbLb1EEEEDaSP_SQ_EUlSP_E_NS1_11comp_targetILNS1_3genE2ELNS1_11target_archE906ELNS1_3gpuE6ELNS1_3repE0EEENS1_30default_config_static_selectorELNS0_4arch9wavefront6targetE1EEEvT1_,"axG",@progbits,_ZN7rocprim17ROCPRIM_400000_NS6detail17trampoline_kernelINS0_14default_configENS1_20scan_config_selectorIiEEZZNS1_9scan_implILNS1_25lookback_scan_determinismE0ELb1ELb1ES3_N6thrust23THRUST_200600_302600_NS6detail15normal_iteratorINS9_10device_ptrIiEEEESE_iNS9_4plusIvEEiEEDaPvRmT3_T4_T5_mT6_P12ihipStream_tbENKUlT_T0_E_clISt17integral_constantIbLb0EEST_IbLb1EEEEDaSP_SQ_EUlSP_E_NS1_11comp_targetILNS1_3genE2ELNS1_11target_archE906ELNS1_3gpuE6ELNS1_3repE0EEENS1_30default_config_static_selectorELNS0_4arch9wavefront6targetE1EEEvT1_,comdat
	.protected	_ZN7rocprim17ROCPRIM_400000_NS6detail17trampoline_kernelINS0_14default_configENS1_20scan_config_selectorIiEEZZNS1_9scan_implILNS1_25lookback_scan_determinismE0ELb1ELb1ES3_N6thrust23THRUST_200600_302600_NS6detail15normal_iteratorINS9_10device_ptrIiEEEESE_iNS9_4plusIvEEiEEDaPvRmT3_T4_T5_mT6_P12ihipStream_tbENKUlT_T0_E_clISt17integral_constantIbLb0EEST_IbLb1EEEEDaSP_SQ_EUlSP_E_NS1_11comp_targetILNS1_3genE2ELNS1_11target_archE906ELNS1_3gpuE6ELNS1_3repE0EEENS1_30default_config_static_selectorELNS0_4arch9wavefront6targetE1EEEvT1_ ; -- Begin function _ZN7rocprim17ROCPRIM_400000_NS6detail17trampoline_kernelINS0_14default_configENS1_20scan_config_selectorIiEEZZNS1_9scan_implILNS1_25lookback_scan_determinismE0ELb1ELb1ES3_N6thrust23THRUST_200600_302600_NS6detail15normal_iteratorINS9_10device_ptrIiEEEESE_iNS9_4plusIvEEiEEDaPvRmT3_T4_T5_mT6_P12ihipStream_tbENKUlT_T0_E_clISt17integral_constantIbLb0EEST_IbLb1EEEEDaSP_SQ_EUlSP_E_NS1_11comp_targetILNS1_3genE2ELNS1_11target_archE906ELNS1_3gpuE6ELNS1_3repE0EEENS1_30default_config_static_selectorELNS0_4arch9wavefront6targetE1EEEvT1_
	.globl	_ZN7rocprim17ROCPRIM_400000_NS6detail17trampoline_kernelINS0_14default_configENS1_20scan_config_selectorIiEEZZNS1_9scan_implILNS1_25lookback_scan_determinismE0ELb1ELb1ES3_N6thrust23THRUST_200600_302600_NS6detail15normal_iteratorINS9_10device_ptrIiEEEESE_iNS9_4plusIvEEiEEDaPvRmT3_T4_T5_mT6_P12ihipStream_tbENKUlT_T0_E_clISt17integral_constantIbLb0EEST_IbLb1EEEEDaSP_SQ_EUlSP_E_NS1_11comp_targetILNS1_3genE2ELNS1_11target_archE906ELNS1_3gpuE6ELNS1_3repE0EEENS1_30default_config_static_selectorELNS0_4arch9wavefront6targetE1EEEvT1_
	.p2align	8
	.type	_ZN7rocprim17ROCPRIM_400000_NS6detail17trampoline_kernelINS0_14default_configENS1_20scan_config_selectorIiEEZZNS1_9scan_implILNS1_25lookback_scan_determinismE0ELb1ELb1ES3_N6thrust23THRUST_200600_302600_NS6detail15normal_iteratorINS9_10device_ptrIiEEEESE_iNS9_4plusIvEEiEEDaPvRmT3_T4_T5_mT6_P12ihipStream_tbENKUlT_T0_E_clISt17integral_constantIbLb0EEST_IbLb1EEEEDaSP_SQ_EUlSP_E_NS1_11comp_targetILNS1_3genE2ELNS1_11target_archE906ELNS1_3gpuE6ELNS1_3repE0EEENS1_30default_config_static_selectorELNS0_4arch9wavefront6targetE1EEEvT1_,@function
_ZN7rocprim17ROCPRIM_400000_NS6detail17trampoline_kernelINS0_14default_configENS1_20scan_config_selectorIiEEZZNS1_9scan_implILNS1_25lookback_scan_determinismE0ELb1ELb1ES3_N6thrust23THRUST_200600_302600_NS6detail15normal_iteratorINS9_10device_ptrIiEEEESE_iNS9_4plusIvEEiEEDaPvRmT3_T4_T5_mT6_P12ihipStream_tbENKUlT_T0_E_clISt17integral_constantIbLb0EEST_IbLb1EEEEDaSP_SQ_EUlSP_E_NS1_11comp_targetILNS1_3genE2ELNS1_11target_archE906ELNS1_3gpuE6ELNS1_3repE0EEENS1_30default_config_static_selectorELNS0_4arch9wavefront6targetE1EEEvT1_: ; @_ZN7rocprim17ROCPRIM_400000_NS6detail17trampoline_kernelINS0_14default_configENS1_20scan_config_selectorIiEEZZNS1_9scan_implILNS1_25lookback_scan_determinismE0ELb1ELb1ES3_N6thrust23THRUST_200600_302600_NS6detail15normal_iteratorINS9_10device_ptrIiEEEESE_iNS9_4plusIvEEiEEDaPvRmT3_T4_T5_mT6_P12ihipStream_tbENKUlT_T0_E_clISt17integral_constantIbLb0EEST_IbLb1EEEEDaSP_SQ_EUlSP_E_NS1_11comp_targetILNS1_3genE2ELNS1_11target_archE906ELNS1_3gpuE6ELNS1_3repE0EEENS1_30default_config_static_selectorELNS0_4arch9wavefront6targetE1EEEvT1_
; %bb.0:
	.section	.rodata,"a",@progbits
	.p2align	6, 0x0
	.amdhsa_kernel _ZN7rocprim17ROCPRIM_400000_NS6detail17trampoline_kernelINS0_14default_configENS1_20scan_config_selectorIiEEZZNS1_9scan_implILNS1_25lookback_scan_determinismE0ELb1ELb1ES3_N6thrust23THRUST_200600_302600_NS6detail15normal_iteratorINS9_10device_ptrIiEEEESE_iNS9_4plusIvEEiEEDaPvRmT3_T4_T5_mT6_P12ihipStream_tbENKUlT_T0_E_clISt17integral_constantIbLb0EEST_IbLb1EEEEDaSP_SQ_EUlSP_E_NS1_11comp_targetILNS1_3genE2ELNS1_11target_archE906ELNS1_3gpuE6ELNS1_3repE0EEENS1_30default_config_static_selectorELNS0_4arch9wavefront6targetE1EEEvT1_
		.amdhsa_group_segment_fixed_size 0
		.amdhsa_private_segment_fixed_size 0
		.amdhsa_kernarg_size 96
		.amdhsa_user_sgpr_count 6
		.amdhsa_user_sgpr_private_segment_buffer 1
		.amdhsa_user_sgpr_dispatch_ptr 0
		.amdhsa_user_sgpr_queue_ptr 0
		.amdhsa_user_sgpr_kernarg_segment_ptr 1
		.amdhsa_user_sgpr_dispatch_id 0
		.amdhsa_user_sgpr_flat_scratch_init 0
		.amdhsa_user_sgpr_kernarg_preload_length 0
		.amdhsa_user_sgpr_kernarg_preload_offset 0
		.amdhsa_user_sgpr_private_segment_size 0
		.amdhsa_uses_dynamic_stack 0
		.amdhsa_system_sgpr_private_segment_wavefront_offset 0
		.amdhsa_system_sgpr_workgroup_id_x 1
		.amdhsa_system_sgpr_workgroup_id_y 0
		.amdhsa_system_sgpr_workgroup_id_z 0
		.amdhsa_system_sgpr_workgroup_info 0
		.amdhsa_system_vgpr_workitem_id 0
		.amdhsa_next_free_vgpr 1
		.amdhsa_next_free_sgpr 0
		.amdhsa_accum_offset 4
		.amdhsa_reserve_vcc 0
		.amdhsa_reserve_flat_scratch 0
		.amdhsa_float_round_mode_32 0
		.amdhsa_float_round_mode_16_64 0
		.amdhsa_float_denorm_mode_32 3
		.amdhsa_float_denorm_mode_16_64 3
		.amdhsa_dx10_clamp 1
		.amdhsa_ieee_mode 1
		.amdhsa_fp16_overflow 0
		.amdhsa_tg_split 0
		.amdhsa_exception_fp_ieee_invalid_op 0
		.amdhsa_exception_fp_denorm_src 0
		.amdhsa_exception_fp_ieee_div_zero 0
		.amdhsa_exception_fp_ieee_overflow 0
		.amdhsa_exception_fp_ieee_underflow 0
		.amdhsa_exception_fp_ieee_inexact 0
		.amdhsa_exception_int_div_zero 0
	.end_amdhsa_kernel
	.section	.text._ZN7rocprim17ROCPRIM_400000_NS6detail17trampoline_kernelINS0_14default_configENS1_20scan_config_selectorIiEEZZNS1_9scan_implILNS1_25lookback_scan_determinismE0ELb1ELb1ES3_N6thrust23THRUST_200600_302600_NS6detail15normal_iteratorINS9_10device_ptrIiEEEESE_iNS9_4plusIvEEiEEDaPvRmT3_T4_T5_mT6_P12ihipStream_tbENKUlT_T0_E_clISt17integral_constantIbLb0EEST_IbLb1EEEEDaSP_SQ_EUlSP_E_NS1_11comp_targetILNS1_3genE2ELNS1_11target_archE906ELNS1_3gpuE6ELNS1_3repE0EEENS1_30default_config_static_selectorELNS0_4arch9wavefront6targetE1EEEvT1_,"axG",@progbits,_ZN7rocprim17ROCPRIM_400000_NS6detail17trampoline_kernelINS0_14default_configENS1_20scan_config_selectorIiEEZZNS1_9scan_implILNS1_25lookback_scan_determinismE0ELb1ELb1ES3_N6thrust23THRUST_200600_302600_NS6detail15normal_iteratorINS9_10device_ptrIiEEEESE_iNS9_4plusIvEEiEEDaPvRmT3_T4_T5_mT6_P12ihipStream_tbENKUlT_T0_E_clISt17integral_constantIbLb0EEST_IbLb1EEEEDaSP_SQ_EUlSP_E_NS1_11comp_targetILNS1_3genE2ELNS1_11target_archE906ELNS1_3gpuE6ELNS1_3repE0EEENS1_30default_config_static_selectorELNS0_4arch9wavefront6targetE1EEEvT1_,comdat
.Lfunc_end862:
	.size	_ZN7rocprim17ROCPRIM_400000_NS6detail17trampoline_kernelINS0_14default_configENS1_20scan_config_selectorIiEEZZNS1_9scan_implILNS1_25lookback_scan_determinismE0ELb1ELb1ES3_N6thrust23THRUST_200600_302600_NS6detail15normal_iteratorINS9_10device_ptrIiEEEESE_iNS9_4plusIvEEiEEDaPvRmT3_T4_T5_mT6_P12ihipStream_tbENKUlT_T0_E_clISt17integral_constantIbLb0EEST_IbLb1EEEEDaSP_SQ_EUlSP_E_NS1_11comp_targetILNS1_3genE2ELNS1_11target_archE906ELNS1_3gpuE6ELNS1_3repE0EEENS1_30default_config_static_selectorELNS0_4arch9wavefront6targetE1EEEvT1_, .Lfunc_end862-_ZN7rocprim17ROCPRIM_400000_NS6detail17trampoline_kernelINS0_14default_configENS1_20scan_config_selectorIiEEZZNS1_9scan_implILNS1_25lookback_scan_determinismE0ELb1ELb1ES3_N6thrust23THRUST_200600_302600_NS6detail15normal_iteratorINS9_10device_ptrIiEEEESE_iNS9_4plusIvEEiEEDaPvRmT3_T4_T5_mT6_P12ihipStream_tbENKUlT_T0_E_clISt17integral_constantIbLb0EEST_IbLb1EEEEDaSP_SQ_EUlSP_E_NS1_11comp_targetILNS1_3genE2ELNS1_11target_archE906ELNS1_3gpuE6ELNS1_3repE0EEENS1_30default_config_static_selectorELNS0_4arch9wavefront6targetE1EEEvT1_
                                        ; -- End function
	.section	.AMDGPU.csdata,"",@progbits
; Kernel info:
; codeLenInByte = 0
; NumSgprs: 4
; NumVgprs: 0
; NumAgprs: 0
; TotalNumVgprs: 0
; ScratchSize: 0
; MemoryBound: 0
; FloatMode: 240
; IeeeMode: 1
; LDSByteSize: 0 bytes/workgroup (compile time only)
; SGPRBlocks: 0
; VGPRBlocks: 0
; NumSGPRsForWavesPerEU: 4
; NumVGPRsForWavesPerEU: 1
; AccumOffset: 4
; Occupancy: 8
; WaveLimiterHint : 0
; COMPUTE_PGM_RSRC2:SCRATCH_EN: 0
; COMPUTE_PGM_RSRC2:USER_SGPR: 6
; COMPUTE_PGM_RSRC2:TRAP_HANDLER: 0
; COMPUTE_PGM_RSRC2:TGID_X_EN: 1
; COMPUTE_PGM_RSRC2:TGID_Y_EN: 0
; COMPUTE_PGM_RSRC2:TGID_Z_EN: 0
; COMPUTE_PGM_RSRC2:TIDIG_COMP_CNT: 0
; COMPUTE_PGM_RSRC3_GFX90A:ACCUM_OFFSET: 0
; COMPUTE_PGM_RSRC3_GFX90A:TG_SPLIT: 0
	.section	.text._ZN7rocprim17ROCPRIM_400000_NS6detail17trampoline_kernelINS0_14default_configENS1_20scan_config_selectorIiEEZZNS1_9scan_implILNS1_25lookback_scan_determinismE0ELb1ELb1ES3_N6thrust23THRUST_200600_302600_NS6detail15normal_iteratorINS9_10device_ptrIiEEEESE_iNS9_4plusIvEEiEEDaPvRmT3_T4_T5_mT6_P12ihipStream_tbENKUlT_T0_E_clISt17integral_constantIbLb0EEST_IbLb1EEEEDaSP_SQ_EUlSP_E_NS1_11comp_targetILNS1_3genE10ELNS1_11target_archE1201ELNS1_3gpuE5ELNS1_3repE0EEENS1_30default_config_static_selectorELNS0_4arch9wavefront6targetE1EEEvT1_,"axG",@progbits,_ZN7rocprim17ROCPRIM_400000_NS6detail17trampoline_kernelINS0_14default_configENS1_20scan_config_selectorIiEEZZNS1_9scan_implILNS1_25lookback_scan_determinismE0ELb1ELb1ES3_N6thrust23THRUST_200600_302600_NS6detail15normal_iteratorINS9_10device_ptrIiEEEESE_iNS9_4plusIvEEiEEDaPvRmT3_T4_T5_mT6_P12ihipStream_tbENKUlT_T0_E_clISt17integral_constantIbLb0EEST_IbLb1EEEEDaSP_SQ_EUlSP_E_NS1_11comp_targetILNS1_3genE10ELNS1_11target_archE1201ELNS1_3gpuE5ELNS1_3repE0EEENS1_30default_config_static_selectorELNS0_4arch9wavefront6targetE1EEEvT1_,comdat
	.protected	_ZN7rocprim17ROCPRIM_400000_NS6detail17trampoline_kernelINS0_14default_configENS1_20scan_config_selectorIiEEZZNS1_9scan_implILNS1_25lookback_scan_determinismE0ELb1ELb1ES3_N6thrust23THRUST_200600_302600_NS6detail15normal_iteratorINS9_10device_ptrIiEEEESE_iNS9_4plusIvEEiEEDaPvRmT3_T4_T5_mT6_P12ihipStream_tbENKUlT_T0_E_clISt17integral_constantIbLb0EEST_IbLb1EEEEDaSP_SQ_EUlSP_E_NS1_11comp_targetILNS1_3genE10ELNS1_11target_archE1201ELNS1_3gpuE5ELNS1_3repE0EEENS1_30default_config_static_selectorELNS0_4arch9wavefront6targetE1EEEvT1_ ; -- Begin function _ZN7rocprim17ROCPRIM_400000_NS6detail17trampoline_kernelINS0_14default_configENS1_20scan_config_selectorIiEEZZNS1_9scan_implILNS1_25lookback_scan_determinismE0ELb1ELb1ES3_N6thrust23THRUST_200600_302600_NS6detail15normal_iteratorINS9_10device_ptrIiEEEESE_iNS9_4plusIvEEiEEDaPvRmT3_T4_T5_mT6_P12ihipStream_tbENKUlT_T0_E_clISt17integral_constantIbLb0EEST_IbLb1EEEEDaSP_SQ_EUlSP_E_NS1_11comp_targetILNS1_3genE10ELNS1_11target_archE1201ELNS1_3gpuE5ELNS1_3repE0EEENS1_30default_config_static_selectorELNS0_4arch9wavefront6targetE1EEEvT1_
	.globl	_ZN7rocprim17ROCPRIM_400000_NS6detail17trampoline_kernelINS0_14default_configENS1_20scan_config_selectorIiEEZZNS1_9scan_implILNS1_25lookback_scan_determinismE0ELb1ELb1ES3_N6thrust23THRUST_200600_302600_NS6detail15normal_iteratorINS9_10device_ptrIiEEEESE_iNS9_4plusIvEEiEEDaPvRmT3_T4_T5_mT6_P12ihipStream_tbENKUlT_T0_E_clISt17integral_constantIbLb0EEST_IbLb1EEEEDaSP_SQ_EUlSP_E_NS1_11comp_targetILNS1_3genE10ELNS1_11target_archE1201ELNS1_3gpuE5ELNS1_3repE0EEENS1_30default_config_static_selectorELNS0_4arch9wavefront6targetE1EEEvT1_
	.p2align	8
	.type	_ZN7rocprim17ROCPRIM_400000_NS6detail17trampoline_kernelINS0_14default_configENS1_20scan_config_selectorIiEEZZNS1_9scan_implILNS1_25lookback_scan_determinismE0ELb1ELb1ES3_N6thrust23THRUST_200600_302600_NS6detail15normal_iteratorINS9_10device_ptrIiEEEESE_iNS9_4plusIvEEiEEDaPvRmT3_T4_T5_mT6_P12ihipStream_tbENKUlT_T0_E_clISt17integral_constantIbLb0EEST_IbLb1EEEEDaSP_SQ_EUlSP_E_NS1_11comp_targetILNS1_3genE10ELNS1_11target_archE1201ELNS1_3gpuE5ELNS1_3repE0EEENS1_30default_config_static_selectorELNS0_4arch9wavefront6targetE1EEEvT1_,@function
_ZN7rocprim17ROCPRIM_400000_NS6detail17trampoline_kernelINS0_14default_configENS1_20scan_config_selectorIiEEZZNS1_9scan_implILNS1_25lookback_scan_determinismE0ELb1ELb1ES3_N6thrust23THRUST_200600_302600_NS6detail15normal_iteratorINS9_10device_ptrIiEEEESE_iNS9_4plusIvEEiEEDaPvRmT3_T4_T5_mT6_P12ihipStream_tbENKUlT_T0_E_clISt17integral_constantIbLb0EEST_IbLb1EEEEDaSP_SQ_EUlSP_E_NS1_11comp_targetILNS1_3genE10ELNS1_11target_archE1201ELNS1_3gpuE5ELNS1_3repE0EEENS1_30default_config_static_selectorELNS0_4arch9wavefront6targetE1EEEvT1_: ; @_ZN7rocprim17ROCPRIM_400000_NS6detail17trampoline_kernelINS0_14default_configENS1_20scan_config_selectorIiEEZZNS1_9scan_implILNS1_25lookback_scan_determinismE0ELb1ELb1ES3_N6thrust23THRUST_200600_302600_NS6detail15normal_iteratorINS9_10device_ptrIiEEEESE_iNS9_4plusIvEEiEEDaPvRmT3_T4_T5_mT6_P12ihipStream_tbENKUlT_T0_E_clISt17integral_constantIbLb0EEST_IbLb1EEEEDaSP_SQ_EUlSP_E_NS1_11comp_targetILNS1_3genE10ELNS1_11target_archE1201ELNS1_3gpuE5ELNS1_3repE0EEENS1_30default_config_static_selectorELNS0_4arch9wavefront6targetE1EEEvT1_
; %bb.0:
	.section	.rodata,"a",@progbits
	.p2align	6, 0x0
	.amdhsa_kernel _ZN7rocprim17ROCPRIM_400000_NS6detail17trampoline_kernelINS0_14default_configENS1_20scan_config_selectorIiEEZZNS1_9scan_implILNS1_25lookback_scan_determinismE0ELb1ELb1ES3_N6thrust23THRUST_200600_302600_NS6detail15normal_iteratorINS9_10device_ptrIiEEEESE_iNS9_4plusIvEEiEEDaPvRmT3_T4_T5_mT6_P12ihipStream_tbENKUlT_T0_E_clISt17integral_constantIbLb0EEST_IbLb1EEEEDaSP_SQ_EUlSP_E_NS1_11comp_targetILNS1_3genE10ELNS1_11target_archE1201ELNS1_3gpuE5ELNS1_3repE0EEENS1_30default_config_static_selectorELNS0_4arch9wavefront6targetE1EEEvT1_
		.amdhsa_group_segment_fixed_size 0
		.amdhsa_private_segment_fixed_size 0
		.amdhsa_kernarg_size 96
		.amdhsa_user_sgpr_count 6
		.amdhsa_user_sgpr_private_segment_buffer 1
		.amdhsa_user_sgpr_dispatch_ptr 0
		.amdhsa_user_sgpr_queue_ptr 0
		.amdhsa_user_sgpr_kernarg_segment_ptr 1
		.amdhsa_user_sgpr_dispatch_id 0
		.amdhsa_user_sgpr_flat_scratch_init 0
		.amdhsa_user_sgpr_kernarg_preload_length 0
		.amdhsa_user_sgpr_kernarg_preload_offset 0
		.amdhsa_user_sgpr_private_segment_size 0
		.amdhsa_uses_dynamic_stack 0
		.amdhsa_system_sgpr_private_segment_wavefront_offset 0
		.amdhsa_system_sgpr_workgroup_id_x 1
		.amdhsa_system_sgpr_workgroup_id_y 0
		.amdhsa_system_sgpr_workgroup_id_z 0
		.amdhsa_system_sgpr_workgroup_info 0
		.amdhsa_system_vgpr_workitem_id 0
		.amdhsa_next_free_vgpr 1
		.amdhsa_next_free_sgpr 0
		.amdhsa_accum_offset 4
		.amdhsa_reserve_vcc 0
		.amdhsa_reserve_flat_scratch 0
		.amdhsa_float_round_mode_32 0
		.amdhsa_float_round_mode_16_64 0
		.amdhsa_float_denorm_mode_32 3
		.amdhsa_float_denorm_mode_16_64 3
		.amdhsa_dx10_clamp 1
		.amdhsa_ieee_mode 1
		.amdhsa_fp16_overflow 0
		.amdhsa_tg_split 0
		.amdhsa_exception_fp_ieee_invalid_op 0
		.amdhsa_exception_fp_denorm_src 0
		.amdhsa_exception_fp_ieee_div_zero 0
		.amdhsa_exception_fp_ieee_overflow 0
		.amdhsa_exception_fp_ieee_underflow 0
		.amdhsa_exception_fp_ieee_inexact 0
		.amdhsa_exception_int_div_zero 0
	.end_amdhsa_kernel
	.section	.text._ZN7rocprim17ROCPRIM_400000_NS6detail17trampoline_kernelINS0_14default_configENS1_20scan_config_selectorIiEEZZNS1_9scan_implILNS1_25lookback_scan_determinismE0ELb1ELb1ES3_N6thrust23THRUST_200600_302600_NS6detail15normal_iteratorINS9_10device_ptrIiEEEESE_iNS9_4plusIvEEiEEDaPvRmT3_T4_T5_mT6_P12ihipStream_tbENKUlT_T0_E_clISt17integral_constantIbLb0EEST_IbLb1EEEEDaSP_SQ_EUlSP_E_NS1_11comp_targetILNS1_3genE10ELNS1_11target_archE1201ELNS1_3gpuE5ELNS1_3repE0EEENS1_30default_config_static_selectorELNS0_4arch9wavefront6targetE1EEEvT1_,"axG",@progbits,_ZN7rocprim17ROCPRIM_400000_NS6detail17trampoline_kernelINS0_14default_configENS1_20scan_config_selectorIiEEZZNS1_9scan_implILNS1_25lookback_scan_determinismE0ELb1ELb1ES3_N6thrust23THRUST_200600_302600_NS6detail15normal_iteratorINS9_10device_ptrIiEEEESE_iNS9_4plusIvEEiEEDaPvRmT3_T4_T5_mT6_P12ihipStream_tbENKUlT_T0_E_clISt17integral_constantIbLb0EEST_IbLb1EEEEDaSP_SQ_EUlSP_E_NS1_11comp_targetILNS1_3genE10ELNS1_11target_archE1201ELNS1_3gpuE5ELNS1_3repE0EEENS1_30default_config_static_selectorELNS0_4arch9wavefront6targetE1EEEvT1_,comdat
.Lfunc_end863:
	.size	_ZN7rocprim17ROCPRIM_400000_NS6detail17trampoline_kernelINS0_14default_configENS1_20scan_config_selectorIiEEZZNS1_9scan_implILNS1_25lookback_scan_determinismE0ELb1ELb1ES3_N6thrust23THRUST_200600_302600_NS6detail15normal_iteratorINS9_10device_ptrIiEEEESE_iNS9_4plusIvEEiEEDaPvRmT3_T4_T5_mT6_P12ihipStream_tbENKUlT_T0_E_clISt17integral_constantIbLb0EEST_IbLb1EEEEDaSP_SQ_EUlSP_E_NS1_11comp_targetILNS1_3genE10ELNS1_11target_archE1201ELNS1_3gpuE5ELNS1_3repE0EEENS1_30default_config_static_selectorELNS0_4arch9wavefront6targetE1EEEvT1_, .Lfunc_end863-_ZN7rocprim17ROCPRIM_400000_NS6detail17trampoline_kernelINS0_14default_configENS1_20scan_config_selectorIiEEZZNS1_9scan_implILNS1_25lookback_scan_determinismE0ELb1ELb1ES3_N6thrust23THRUST_200600_302600_NS6detail15normal_iteratorINS9_10device_ptrIiEEEESE_iNS9_4plusIvEEiEEDaPvRmT3_T4_T5_mT6_P12ihipStream_tbENKUlT_T0_E_clISt17integral_constantIbLb0EEST_IbLb1EEEEDaSP_SQ_EUlSP_E_NS1_11comp_targetILNS1_3genE10ELNS1_11target_archE1201ELNS1_3gpuE5ELNS1_3repE0EEENS1_30default_config_static_selectorELNS0_4arch9wavefront6targetE1EEEvT1_
                                        ; -- End function
	.section	.AMDGPU.csdata,"",@progbits
; Kernel info:
; codeLenInByte = 0
; NumSgprs: 4
; NumVgprs: 0
; NumAgprs: 0
; TotalNumVgprs: 0
; ScratchSize: 0
; MemoryBound: 0
; FloatMode: 240
; IeeeMode: 1
; LDSByteSize: 0 bytes/workgroup (compile time only)
; SGPRBlocks: 0
; VGPRBlocks: 0
; NumSGPRsForWavesPerEU: 4
; NumVGPRsForWavesPerEU: 1
; AccumOffset: 4
; Occupancy: 8
; WaveLimiterHint : 0
; COMPUTE_PGM_RSRC2:SCRATCH_EN: 0
; COMPUTE_PGM_RSRC2:USER_SGPR: 6
; COMPUTE_PGM_RSRC2:TRAP_HANDLER: 0
; COMPUTE_PGM_RSRC2:TGID_X_EN: 1
; COMPUTE_PGM_RSRC2:TGID_Y_EN: 0
; COMPUTE_PGM_RSRC2:TGID_Z_EN: 0
; COMPUTE_PGM_RSRC2:TIDIG_COMP_CNT: 0
; COMPUTE_PGM_RSRC3_GFX90A:ACCUM_OFFSET: 0
; COMPUTE_PGM_RSRC3_GFX90A:TG_SPLIT: 0
	.section	.text._ZN7rocprim17ROCPRIM_400000_NS6detail17trampoline_kernelINS0_14default_configENS1_20scan_config_selectorIiEEZZNS1_9scan_implILNS1_25lookback_scan_determinismE0ELb1ELb1ES3_N6thrust23THRUST_200600_302600_NS6detail15normal_iteratorINS9_10device_ptrIiEEEESE_iNS9_4plusIvEEiEEDaPvRmT3_T4_T5_mT6_P12ihipStream_tbENKUlT_T0_E_clISt17integral_constantIbLb0EEST_IbLb1EEEEDaSP_SQ_EUlSP_E_NS1_11comp_targetILNS1_3genE10ELNS1_11target_archE1200ELNS1_3gpuE4ELNS1_3repE0EEENS1_30default_config_static_selectorELNS0_4arch9wavefront6targetE1EEEvT1_,"axG",@progbits,_ZN7rocprim17ROCPRIM_400000_NS6detail17trampoline_kernelINS0_14default_configENS1_20scan_config_selectorIiEEZZNS1_9scan_implILNS1_25lookback_scan_determinismE0ELb1ELb1ES3_N6thrust23THRUST_200600_302600_NS6detail15normal_iteratorINS9_10device_ptrIiEEEESE_iNS9_4plusIvEEiEEDaPvRmT3_T4_T5_mT6_P12ihipStream_tbENKUlT_T0_E_clISt17integral_constantIbLb0EEST_IbLb1EEEEDaSP_SQ_EUlSP_E_NS1_11comp_targetILNS1_3genE10ELNS1_11target_archE1200ELNS1_3gpuE4ELNS1_3repE0EEENS1_30default_config_static_selectorELNS0_4arch9wavefront6targetE1EEEvT1_,comdat
	.protected	_ZN7rocprim17ROCPRIM_400000_NS6detail17trampoline_kernelINS0_14default_configENS1_20scan_config_selectorIiEEZZNS1_9scan_implILNS1_25lookback_scan_determinismE0ELb1ELb1ES3_N6thrust23THRUST_200600_302600_NS6detail15normal_iteratorINS9_10device_ptrIiEEEESE_iNS9_4plusIvEEiEEDaPvRmT3_T4_T5_mT6_P12ihipStream_tbENKUlT_T0_E_clISt17integral_constantIbLb0EEST_IbLb1EEEEDaSP_SQ_EUlSP_E_NS1_11comp_targetILNS1_3genE10ELNS1_11target_archE1200ELNS1_3gpuE4ELNS1_3repE0EEENS1_30default_config_static_selectorELNS0_4arch9wavefront6targetE1EEEvT1_ ; -- Begin function _ZN7rocprim17ROCPRIM_400000_NS6detail17trampoline_kernelINS0_14default_configENS1_20scan_config_selectorIiEEZZNS1_9scan_implILNS1_25lookback_scan_determinismE0ELb1ELb1ES3_N6thrust23THRUST_200600_302600_NS6detail15normal_iteratorINS9_10device_ptrIiEEEESE_iNS9_4plusIvEEiEEDaPvRmT3_T4_T5_mT6_P12ihipStream_tbENKUlT_T0_E_clISt17integral_constantIbLb0EEST_IbLb1EEEEDaSP_SQ_EUlSP_E_NS1_11comp_targetILNS1_3genE10ELNS1_11target_archE1200ELNS1_3gpuE4ELNS1_3repE0EEENS1_30default_config_static_selectorELNS0_4arch9wavefront6targetE1EEEvT1_
	.globl	_ZN7rocprim17ROCPRIM_400000_NS6detail17trampoline_kernelINS0_14default_configENS1_20scan_config_selectorIiEEZZNS1_9scan_implILNS1_25lookback_scan_determinismE0ELb1ELb1ES3_N6thrust23THRUST_200600_302600_NS6detail15normal_iteratorINS9_10device_ptrIiEEEESE_iNS9_4plusIvEEiEEDaPvRmT3_T4_T5_mT6_P12ihipStream_tbENKUlT_T0_E_clISt17integral_constantIbLb0EEST_IbLb1EEEEDaSP_SQ_EUlSP_E_NS1_11comp_targetILNS1_3genE10ELNS1_11target_archE1200ELNS1_3gpuE4ELNS1_3repE0EEENS1_30default_config_static_selectorELNS0_4arch9wavefront6targetE1EEEvT1_
	.p2align	8
	.type	_ZN7rocprim17ROCPRIM_400000_NS6detail17trampoline_kernelINS0_14default_configENS1_20scan_config_selectorIiEEZZNS1_9scan_implILNS1_25lookback_scan_determinismE0ELb1ELb1ES3_N6thrust23THRUST_200600_302600_NS6detail15normal_iteratorINS9_10device_ptrIiEEEESE_iNS9_4plusIvEEiEEDaPvRmT3_T4_T5_mT6_P12ihipStream_tbENKUlT_T0_E_clISt17integral_constantIbLb0EEST_IbLb1EEEEDaSP_SQ_EUlSP_E_NS1_11comp_targetILNS1_3genE10ELNS1_11target_archE1200ELNS1_3gpuE4ELNS1_3repE0EEENS1_30default_config_static_selectorELNS0_4arch9wavefront6targetE1EEEvT1_,@function
_ZN7rocprim17ROCPRIM_400000_NS6detail17trampoline_kernelINS0_14default_configENS1_20scan_config_selectorIiEEZZNS1_9scan_implILNS1_25lookback_scan_determinismE0ELb1ELb1ES3_N6thrust23THRUST_200600_302600_NS6detail15normal_iteratorINS9_10device_ptrIiEEEESE_iNS9_4plusIvEEiEEDaPvRmT3_T4_T5_mT6_P12ihipStream_tbENKUlT_T0_E_clISt17integral_constantIbLb0EEST_IbLb1EEEEDaSP_SQ_EUlSP_E_NS1_11comp_targetILNS1_3genE10ELNS1_11target_archE1200ELNS1_3gpuE4ELNS1_3repE0EEENS1_30default_config_static_selectorELNS0_4arch9wavefront6targetE1EEEvT1_: ; @_ZN7rocprim17ROCPRIM_400000_NS6detail17trampoline_kernelINS0_14default_configENS1_20scan_config_selectorIiEEZZNS1_9scan_implILNS1_25lookback_scan_determinismE0ELb1ELb1ES3_N6thrust23THRUST_200600_302600_NS6detail15normal_iteratorINS9_10device_ptrIiEEEESE_iNS9_4plusIvEEiEEDaPvRmT3_T4_T5_mT6_P12ihipStream_tbENKUlT_T0_E_clISt17integral_constantIbLb0EEST_IbLb1EEEEDaSP_SQ_EUlSP_E_NS1_11comp_targetILNS1_3genE10ELNS1_11target_archE1200ELNS1_3gpuE4ELNS1_3repE0EEENS1_30default_config_static_selectorELNS0_4arch9wavefront6targetE1EEEvT1_
; %bb.0:
	.section	.rodata,"a",@progbits
	.p2align	6, 0x0
	.amdhsa_kernel _ZN7rocprim17ROCPRIM_400000_NS6detail17trampoline_kernelINS0_14default_configENS1_20scan_config_selectorIiEEZZNS1_9scan_implILNS1_25lookback_scan_determinismE0ELb1ELb1ES3_N6thrust23THRUST_200600_302600_NS6detail15normal_iteratorINS9_10device_ptrIiEEEESE_iNS9_4plusIvEEiEEDaPvRmT3_T4_T5_mT6_P12ihipStream_tbENKUlT_T0_E_clISt17integral_constantIbLb0EEST_IbLb1EEEEDaSP_SQ_EUlSP_E_NS1_11comp_targetILNS1_3genE10ELNS1_11target_archE1200ELNS1_3gpuE4ELNS1_3repE0EEENS1_30default_config_static_selectorELNS0_4arch9wavefront6targetE1EEEvT1_
		.amdhsa_group_segment_fixed_size 0
		.amdhsa_private_segment_fixed_size 0
		.amdhsa_kernarg_size 96
		.amdhsa_user_sgpr_count 6
		.amdhsa_user_sgpr_private_segment_buffer 1
		.amdhsa_user_sgpr_dispatch_ptr 0
		.amdhsa_user_sgpr_queue_ptr 0
		.amdhsa_user_sgpr_kernarg_segment_ptr 1
		.amdhsa_user_sgpr_dispatch_id 0
		.amdhsa_user_sgpr_flat_scratch_init 0
		.amdhsa_user_sgpr_kernarg_preload_length 0
		.amdhsa_user_sgpr_kernarg_preload_offset 0
		.amdhsa_user_sgpr_private_segment_size 0
		.amdhsa_uses_dynamic_stack 0
		.amdhsa_system_sgpr_private_segment_wavefront_offset 0
		.amdhsa_system_sgpr_workgroup_id_x 1
		.amdhsa_system_sgpr_workgroup_id_y 0
		.amdhsa_system_sgpr_workgroup_id_z 0
		.amdhsa_system_sgpr_workgroup_info 0
		.amdhsa_system_vgpr_workitem_id 0
		.amdhsa_next_free_vgpr 1
		.amdhsa_next_free_sgpr 0
		.amdhsa_accum_offset 4
		.amdhsa_reserve_vcc 0
		.amdhsa_reserve_flat_scratch 0
		.amdhsa_float_round_mode_32 0
		.amdhsa_float_round_mode_16_64 0
		.amdhsa_float_denorm_mode_32 3
		.amdhsa_float_denorm_mode_16_64 3
		.amdhsa_dx10_clamp 1
		.amdhsa_ieee_mode 1
		.amdhsa_fp16_overflow 0
		.amdhsa_tg_split 0
		.amdhsa_exception_fp_ieee_invalid_op 0
		.amdhsa_exception_fp_denorm_src 0
		.amdhsa_exception_fp_ieee_div_zero 0
		.amdhsa_exception_fp_ieee_overflow 0
		.amdhsa_exception_fp_ieee_underflow 0
		.amdhsa_exception_fp_ieee_inexact 0
		.amdhsa_exception_int_div_zero 0
	.end_amdhsa_kernel
	.section	.text._ZN7rocprim17ROCPRIM_400000_NS6detail17trampoline_kernelINS0_14default_configENS1_20scan_config_selectorIiEEZZNS1_9scan_implILNS1_25lookback_scan_determinismE0ELb1ELb1ES3_N6thrust23THRUST_200600_302600_NS6detail15normal_iteratorINS9_10device_ptrIiEEEESE_iNS9_4plusIvEEiEEDaPvRmT3_T4_T5_mT6_P12ihipStream_tbENKUlT_T0_E_clISt17integral_constantIbLb0EEST_IbLb1EEEEDaSP_SQ_EUlSP_E_NS1_11comp_targetILNS1_3genE10ELNS1_11target_archE1200ELNS1_3gpuE4ELNS1_3repE0EEENS1_30default_config_static_selectorELNS0_4arch9wavefront6targetE1EEEvT1_,"axG",@progbits,_ZN7rocprim17ROCPRIM_400000_NS6detail17trampoline_kernelINS0_14default_configENS1_20scan_config_selectorIiEEZZNS1_9scan_implILNS1_25lookback_scan_determinismE0ELb1ELb1ES3_N6thrust23THRUST_200600_302600_NS6detail15normal_iteratorINS9_10device_ptrIiEEEESE_iNS9_4plusIvEEiEEDaPvRmT3_T4_T5_mT6_P12ihipStream_tbENKUlT_T0_E_clISt17integral_constantIbLb0EEST_IbLb1EEEEDaSP_SQ_EUlSP_E_NS1_11comp_targetILNS1_3genE10ELNS1_11target_archE1200ELNS1_3gpuE4ELNS1_3repE0EEENS1_30default_config_static_selectorELNS0_4arch9wavefront6targetE1EEEvT1_,comdat
.Lfunc_end864:
	.size	_ZN7rocprim17ROCPRIM_400000_NS6detail17trampoline_kernelINS0_14default_configENS1_20scan_config_selectorIiEEZZNS1_9scan_implILNS1_25lookback_scan_determinismE0ELb1ELb1ES3_N6thrust23THRUST_200600_302600_NS6detail15normal_iteratorINS9_10device_ptrIiEEEESE_iNS9_4plusIvEEiEEDaPvRmT3_T4_T5_mT6_P12ihipStream_tbENKUlT_T0_E_clISt17integral_constantIbLb0EEST_IbLb1EEEEDaSP_SQ_EUlSP_E_NS1_11comp_targetILNS1_3genE10ELNS1_11target_archE1200ELNS1_3gpuE4ELNS1_3repE0EEENS1_30default_config_static_selectorELNS0_4arch9wavefront6targetE1EEEvT1_, .Lfunc_end864-_ZN7rocprim17ROCPRIM_400000_NS6detail17trampoline_kernelINS0_14default_configENS1_20scan_config_selectorIiEEZZNS1_9scan_implILNS1_25lookback_scan_determinismE0ELb1ELb1ES3_N6thrust23THRUST_200600_302600_NS6detail15normal_iteratorINS9_10device_ptrIiEEEESE_iNS9_4plusIvEEiEEDaPvRmT3_T4_T5_mT6_P12ihipStream_tbENKUlT_T0_E_clISt17integral_constantIbLb0EEST_IbLb1EEEEDaSP_SQ_EUlSP_E_NS1_11comp_targetILNS1_3genE10ELNS1_11target_archE1200ELNS1_3gpuE4ELNS1_3repE0EEENS1_30default_config_static_selectorELNS0_4arch9wavefront6targetE1EEEvT1_
                                        ; -- End function
	.section	.AMDGPU.csdata,"",@progbits
; Kernel info:
; codeLenInByte = 0
; NumSgprs: 4
; NumVgprs: 0
; NumAgprs: 0
; TotalNumVgprs: 0
; ScratchSize: 0
; MemoryBound: 0
; FloatMode: 240
; IeeeMode: 1
; LDSByteSize: 0 bytes/workgroup (compile time only)
; SGPRBlocks: 0
; VGPRBlocks: 0
; NumSGPRsForWavesPerEU: 4
; NumVGPRsForWavesPerEU: 1
; AccumOffset: 4
; Occupancy: 8
; WaveLimiterHint : 0
; COMPUTE_PGM_RSRC2:SCRATCH_EN: 0
; COMPUTE_PGM_RSRC2:USER_SGPR: 6
; COMPUTE_PGM_RSRC2:TRAP_HANDLER: 0
; COMPUTE_PGM_RSRC2:TGID_X_EN: 1
; COMPUTE_PGM_RSRC2:TGID_Y_EN: 0
; COMPUTE_PGM_RSRC2:TGID_Z_EN: 0
; COMPUTE_PGM_RSRC2:TIDIG_COMP_CNT: 0
; COMPUTE_PGM_RSRC3_GFX90A:ACCUM_OFFSET: 0
; COMPUTE_PGM_RSRC3_GFX90A:TG_SPLIT: 0
	.section	.text._ZN7rocprim17ROCPRIM_400000_NS6detail17trampoline_kernelINS0_14default_configENS1_20scan_config_selectorIiEEZZNS1_9scan_implILNS1_25lookback_scan_determinismE0ELb1ELb1ES3_N6thrust23THRUST_200600_302600_NS6detail15normal_iteratorINS9_10device_ptrIiEEEESE_iNS9_4plusIvEEiEEDaPvRmT3_T4_T5_mT6_P12ihipStream_tbENKUlT_T0_E_clISt17integral_constantIbLb0EEST_IbLb1EEEEDaSP_SQ_EUlSP_E_NS1_11comp_targetILNS1_3genE9ELNS1_11target_archE1100ELNS1_3gpuE3ELNS1_3repE0EEENS1_30default_config_static_selectorELNS0_4arch9wavefront6targetE1EEEvT1_,"axG",@progbits,_ZN7rocprim17ROCPRIM_400000_NS6detail17trampoline_kernelINS0_14default_configENS1_20scan_config_selectorIiEEZZNS1_9scan_implILNS1_25lookback_scan_determinismE0ELb1ELb1ES3_N6thrust23THRUST_200600_302600_NS6detail15normal_iteratorINS9_10device_ptrIiEEEESE_iNS9_4plusIvEEiEEDaPvRmT3_T4_T5_mT6_P12ihipStream_tbENKUlT_T0_E_clISt17integral_constantIbLb0EEST_IbLb1EEEEDaSP_SQ_EUlSP_E_NS1_11comp_targetILNS1_3genE9ELNS1_11target_archE1100ELNS1_3gpuE3ELNS1_3repE0EEENS1_30default_config_static_selectorELNS0_4arch9wavefront6targetE1EEEvT1_,comdat
	.protected	_ZN7rocprim17ROCPRIM_400000_NS6detail17trampoline_kernelINS0_14default_configENS1_20scan_config_selectorIiEEZZNS1_9scan_implILNS1_25lookback_scan_determinismE0ELb1ELb1ES3_N6thrust23THRUST_200600_302600_NS6detail15normal_iteratorINS9_10device_ptrIiEEEESE_iNS9_4plusIvEEiEEDaPvRmT3_T4_T5_mT6_P12ihipStream_tbENKUlT_T0_E_clISt17integral_constantIbLb0EEST_IbLb1EEEEDaSP_SQ_EUlSP_E_NS1_11comp_targetILNS1_3genE9ELNS1_11target_archE1100ELNS1_3gpuE3ELNS1_3repE0EEENS1_30default_config_static_selectorELNS0_4arch9wavefront6targetE1EEEvT1_ ; -- Begin function _ZN7rocprim17ROCPRIM_400000_NS6detail17trampoline_kernelINS0_14default_configENS1_20scan_config_selectorIiEEZZNS1_9scan_implILNS1_25lookback_scan_determinismE0ELb1ELb1ES3_N6thrust23THRUST_200600_302600_NS6detail15normal_iteratorINS9_10device_ptrIiEEEESE_iNS9_4plusIvEEiEEDaPvRmT3_T4_T5_mT6_P12ihipStream_tbENKUlT_T0_E_clISt17integral_constantIbLb0EEST_IbLb1EEEEDaSP_SQ_EUlSP_E_NS1_11comp_targetILNS1_3genE9ELNS1_11target_archE1100ELNS1_3gpuE3ELNS1_3repE0EEENS1_30default_config_static_selectorELNS0_4arch9wavefront6targetE1EEEvT1_
	.globl	_ZN7rocprim17ROCPRIM_400000_NS6detail17trampoline_kernelINS0_14default_configENS1_20scan_config_selectorIiEEZZNS1_9scan_implILNS1_25lookback_scan_determinismE0ELb1ELb1ES3_N6thrust23THRUST_200600_302600_NS6detail15normal_iteratorINS9_10device_ptrIiEEEESE_iNS9_4plusIvEEiEEDaPvRmT3_T4_T5_mT6_P12ihipStream_tbENKUlT_T0_E_clISt17integral_constantIbLb0EEST_IbLb1EEEEDaSP_SQ_EUlSP_E_NS1_11comp_targetILNS1_3genE9ELNS1_11target_archE1100ELNS1_3gpuE3ELNS1_3repE0EEENS1_30default_config_static_selectorELNS0_4arch9wavefront6targetE1EEEvT1_
	.p2align	8
	.type	_ZN7rocprim17ROCPRIM_400000_NS6detail17trampoline_kernelINS0_14default_configENS1_20scan_config_selectorIiEEZZNS1_9scan_implILNS1_25lookback_scan_determinismE0ELb1ELb1ES3_N6thrust23THRUST_200600_302600_NS6detail15normal_iteratorINS9_10device_ptrIiEEEESE_iNS9_4plusIvEEiEEDaPvRmT3_T4_T5_mT6_P12ihipStream_tbENKUlT_T0_E_clISt17integral_constantIbLb0EEST_IbLb1EEEEDaSP_SQ_EUlSP_E_NS1_11comp_targetILNS1_3genE9ELNS1_11target_archE1100ELNS1_3gpuE3ELNS1_3repE0EEENS1_30default_config_static_selectorELNS0_4arch9wavefront6targetE1EEEvT1_,@function
_ZN7rocprim17ROCPRIM_400000_NS6detail17trampoline_kernelINS0_14default_configENS1_20scan_config_selectorIiEEZZNS1_9scan_implILNS1_25lookback_scan_determinismE0ELb1ELb1ES3_N6thrust23THRUST_200600_302600_NS6detail15normal_iteratorINS9_10device_ptrIiEEEESE_iNS9_4plusIvEEiEEDaPvRmT3_T4_T5_mT6_P12ihipStream_tbENKUlT_T0_E_clISt17integral_constantIbLb0EEST_IbLb1EEEEDaSP_SQ_EUlSP_E_NS1_11comp_targetILNS1_3genE9ELNS1_11target_archE1100ELNS1_3gpuE3ELNS1_3repE0EEENS1_30default_config_static_selectorELNS0_4arch9wavefront6targetE1EEEvT1_: ; @_ZN7rocprim17ROCPRIM_400000_NS6detail17trampoline_kernelINS0_14default_configENS1_20scan_config_selectorIiEEZZNS1_9scan_implILNS1_25lookback_scan_determinismE0ELb1ELb1ES3_N6thrust23THRUST_200600_302600_NS6detail15normal_iteratorINS9_10device_ptrIiEEEESE_iNS9_4plusIvEEiEEDaPvRmT3_T4_T5_mT6_P12ihipStream_tbENKUlT_T0_E_clISt17integral_constantIbLb0EEST_IbLb1EEEEDaSP_SQ_EUlSP_E_NS1_11comp_targetILNS1_3genE9ELNS1_11target_archE1100ELNS1_3gpuE3ELNS1_3repE0EEENS1_30default_config_static_selectorELNS0_4arch9wavefront6targetE1EEEvT1_
; %bb.0:
	.section	.rodata,"a",@progbits
	.p2align	6, 0x0
	.amdhsa_kernel _ZN7rocprim17ROCPRIM_400000_NS6detail17trampoline_kernelINS0_14default_configENS1_20scan_config_selectorIiEEZZNS1_9scan_implILNS1_25lookback_scan_determinismE0ELb1ELb1ES3_N6thrust23THRUST_200600_302600_NS6detail15normal_iteratorINS9_10device_ptrIiEEEESE_iNS9_4plusIvEEiEEDaPvRmT3_T4_T5_mT6_P12ihipStream_tbENKUlT_T0_E_clISt17integral_constantIbLb0EEST_IbLb1EEEEDaSP_SQ_EUlSP_E_NS1_11comp_targetILNS1_3genE9ELNS1_11target_archE1100ELNS1_3gpuE3ELNS1_3repE0EEENS1_30default_config_static_selectorELNS0_4arch9wavefront6targetE1EEEvT1_
		.amdhsa_group_segment_fixed_size 0
		.amdhsa_private_segment_fixed_size 0
		.amdhsa_kernarg_size 96
		.amdhsa_user_sgpr_count 6
		.amdhsa_user_sgpr_private_segment_buffer 1
		.amdhsa_user_sgpr_dispatch_ptr 0
		.amdhsa_user_sgpr_queue_ptr 0
		.amdhsa_user_sgpr_kernarg_segment_ptr 1
		.amdhsa_user_sgpr_dispatch_id 0
		.amdhsa_user_sgpr_flat_scratch_init 0
		.amdhsa_user_sgpr_kernarg_preload_length 0
		.amdhsa_user_sgpr_kernarg_preload_offset 0
		.amdhsa_user_sgpr_private_segment_size 0
		.amdhsa_uses_dynamic_stack 0
		.amdhsa_system_sgpr_private_segment_wavefront_offset 0
		.amdhsa_system_sgpr_workgroup_id_x 1
		.amdhsa_system_sgpr_workgroup_id_y 0
		.amdhsa_system_sgpr_workgroup_id_z 0
		.amdhsa_system_sgpr_workgroup_info 0
		.amdhsa_system_vgpr_workitem_id 0
		.amdhsa_next_free_vgpr 1
		.amdhsa_next_free_sgpr 0
		.amdhsa_accum_offset 4
		.amdhsa_reserve_vcc 0
		.amdhsa_reserve_flat_scratch 0
		.amdhsa_float_round_mode_32 0
		.amdhsa_float_round_mode_16_64 0
		.amdhsa_float_denorm_mode_32 3
		.amdhsa_float_denorm_mode_16_64 3
		.amdhsa_dx10_clamp 1
		.amdhsa_ieee_mode 1
		.amdhsa_fp16_overflow 0
		.amdhsa_tg_split 0
		.amdhsa_exception_fp_ieee_invalid_op 0
		.amdhsa_exception_fp_denorm_src 0
		.amdhsa_exception_fp_ieee_div_zero 0
		.amdhsa_exception_fp_ieee_overflow 0
		.amdhsa_exception_fp_ieee_underflow 0
		.amdhsa_exception_fp_ieee_inexact 0
		.amdhsa_exception_int_div_zero 0
	.end_amdhsa_kernel
	.section	.text._ZN7rocprim17ROCPRIM_400000_NS6detail17trampoline_kernelINS0_14default_configENS1_20scan_config_selectorIiEEZZNS1_9scan_implILNS1_25lookback_scan_determinismE0ELb1ELb1ES3_N6thrust23THRUST_200600_302600_NS6detail15normal_iteratorINS9_10device_ptrIiEEEESE_iNS9_4plusIvEEiEEDaPvRmT3_T4_T5_mT6_P12ihipStream_tbENKUlT_T0_E_clISt17integral_constantIbLb0EEST_IbLb1EEEEDaSP_SQ_EUlSP_E_NS1_11comp_targetILNS1_3genE9ELNS1_11target_archE1100ELNS1_3gpuE3ELNS1_3repE0EEENS1_30default_config_static_selectorELNS0_4arch9wavefront6targetE1EEEvT1_,"axG",@progbits,_ZN7rocprim17ROCPRIM_400000_NS6detail17trampoline_kernelINS0_14default_configENS1_20scan_config_selectorIiEEZZNS1_9scan_implILNS1_25lookback_scan_determinismE0ELb1ELb1ES3_N6thrust23THRUST_200600_302600_NS6detail15normal_iteratorINS9_10device_ptrIiEEEESE_iNS9_4plusIvEEiEEDaPvRmT3_T4_T5_mT6_P12ihipStream_tbENKUlT_T0_E_clISt17integral_constantIbLb0EEST_IbLb1EEEEDaSP_SQ_EUlSP_E_NS1_11comp_targetILNS1_3genE9ELNS1_11target_archE1100ELNS1_3gpuE3ELNS1_3repE0EEENS1_30default_config_static_selectorELNS0_4arch9wavefront6targetE1EEEvT1_,comdat
.Lfunc_end865:
	.size	_ZN7rocprim17ROCPRIM_400000_NS6detail17trampoline_kernelINS0_14default_configENS1_20scan_config_selectorIiEEZZNS1_9scan_implILNS1_25lookback_scan_determinismE0ELb1ELb1ES3_N6thrust23THRUST_200600_302600_NS6detail15normal_iteratorINS9_10device_ptrIiEEEESE_iNS9_4plusIvEEiEEDaPvRmT3_T4_T5_mT6_P12ihipStream_tbENKUlT_T0_E_clISt17integral_constantIbLb0EEST_IbLb1EEEEDaSP_SQ_EUlSP_E_NS1_11comp_targetILNS1_3genE9ELNS1_11target_archE1100ELNS1_3gpuE3ELNS1_3repE0EEENS1_30default_config_static_selectorELNS0_4arch9wavefront6targetE1EEEvT1_, .Lfunc_end865-_ZN7rocprim17ROCPRIM_400000_NS6detail17trampoline_kernelINS0_14default_configENS1_20scan_config_selectorIiEEZZNS1_9scan_implILNS1_25lookback_scan_determinismE0ELb1ELb1ES3_N6thrust23THRUST_200600_302600_NS6detail15normal_iteratorINS9_10device_ptrIiEEEESE_iNS9_4plusIvEEiEEDaPvRmT3_T4_T5_mT6_P12ihipStream_tbENKUlT_T0_E_clISt17integral_constantIbLb0EEST_IbLb1EEEEDaSP_SQ_EUlSP_E_NS1_11comp_targetILNS1_3genE9ELNS1_11target_archE1100ELNS1_3gpuE3ELNS1_3repE0EEENS1_30default_config_static_selectorELNS0_4arch9wavefront6targetE1EEEvT1_
                                        ; -- End function
	.section	.AMDGPU.csdata,"",@progbits
; Kernel info:
; codeLenInByte = 0
; NumSgprs: 4
; NumVgprs: 0
; NumAgprs: 0
; TotalNumVgprs: 0
; ScratchSize: 0
; MemoryBound: 0
; FloatMode: 240
; IeeeMode: 1
; LDSByteSize: 0 bytes/workgroup (compile time only)
; SGPRBlocks: 0
; VGPRBlocks: 0
; NumSGPRsForWavesPerEU: 4
; NumVGPRsForWavesPerEU: 1
; AccumOffset: 4
; Occupancy: 8
; WaveLimiterHint : 0
; COMPUTE_PGM_RSRC2:SCRATCH_EN: 0
; COMPUTE_PGM_RSRC2:USER_SGPR: 6
; COMPUTE_PGM_RSRC2:TRAP_HANDLER: 0
; COMPUTE_PGM_RSRC2:TGID_X_EN: 1
; COMPUTE_PGM_RSRC2:TGID_Y_EN: 0
; COMPUTE_PGM_RSRC2:TGID_Z_EN: 0
; COMPUTE_PGM_RSRC2:TIDIG_COMP_CNT: 0
; COMPUTE_PGM_RSRC3_GFX90A:ACCUM_OFFSET: 0
; COMPUTE_PGM_RSRC3_GFX90A:TG_SPLIT: 0
	.section	.text._ZN7rocprim17ROCPRIM_400000_NS6detail17trampoline_kernelINS0_14default_configENS1_20scan_config_selectorIiEEZZNS1_9scan_implILNS1_25lookback_scan_determinismE0ELb1ELb1ES3_N6thrust23THRUST_200600_302600_NS6detail15normal_iteratorINS9_10device_ptrIiEEEESE_iNS9_4plusIvEEiEEDaPvRmT3_T4_T5_mT6_P12ihipStream_tbENKUlT_T0_E_clISt17integral_constantIbLb0EEST_IbLb1EEEEDaSP_SQ_EUlSP_E_NS1_11comp_targetILNS1_3genE8ELNS1_11target_archE1030ELNS1_3gpuE2ELNS1_3repE0EEENS1_30default_config_static_selectorELNS0_4arch9wavefront6targetE1EEEvT1_,"axG",@progbits,_ZN7rocprim17ROCPRIM_400000_NS6detail17trampoline_kernelINS0_14default_configENS1_20scan_config_selectorIiEEZZNS1_9scan_implILNS1_25lookback_scan_determinismE0ELb1ELb1ES3_N6thrust23THRUST_200600_302600_NS6detail15normal_iteratorINS9_10device_ptrIiEEEESE_iNS9_4plusIvEEiEEDaPvRmT3_T4_T5_mT6_P12ihipStream_tbENKUlT_T0_E_clISt17integral_constantIbLb0EEST_IbLb1EEEEDaSP_SQ_EUlSP_E_NS1_11comp_targetILNS1_3genE8ELNS1_11target_archE1030ELNS1_3gpuE2ELNS1_3repE0EEENS1_30default_config_static_selectorELNS0_4arch9wavefront6targetE1EEEvT1_,comdat
	.protected	_ZN7rocprim17ROCPRIM_400000_NS6detail17trampoline_kernelINS0_14default_configENS1_20scan_config_selectorIiEEZZNS1_9scan_implILNS1_25lookback_scan_determinismE0ELb1ELb1ES3_N6thrust23THRUST_200600_302600_NS6detail15normal_iteratorINS9_10device_ptrIiEEEESE_iNS9_4plusIvEEiEEDaPvRmT3_T4_T5_mT6_P12ihipStream_tbENKUlT_T0_E_clISt17integral_constantIbLb0EEST_IbLb1EEEEDaSP_SQ_EUlSP_E_NS1_11comp_targetILNS1_3genE8ELNS1_11target_archE1030ELNS1_3gpuE2ELNS1_3repE0EEENS1_30default_config_static_selectorELNS0_4arch9wavefront6targetE1EEEvT1_ ; -- Begin function _ZN7rocprim17ROCPRIM_400000_NS6detail17trampoline_kernelINS0_14default_configENS1_20scan_config_selectorIiEEZZNS1_9scan_implILNS1_25lookback_scan_determinismE0ELb1ELb1ES3_N6thrust23THRUST_200600_302600_NS6detail15normal_iteratorINS9_10device_ptrIiEEEESE_iNS9_4plusIvEEiEEDaPvRmT3_T4_T5_mT6_P12ihipStream_tbENKUlT_T0_E_clISt17integral_constantIbLb0EEST_IbLb1EEEEDaSP_SQ_EUlSP_E_NS1_11comp_targetILNS1_3genE8ELNS1_11target_archE1030ELNS1_3gpuE2ELNS1_3repE0EEENS1_30default_config_static_selectorELNS0_4arch9wavefront6targetE1EEEvT1_
	.globl	_ZN7rocprim17ROCPRIM_400000_NS6detail17trampoline_kernelINS0_14default_configENS1_20scan_config_selectorIiEEZZNS1_9scan_implILNS1_25lookback_scan_determinismE0ELb1ELb1ES3_N6thrust23THRUST_200600_302600_NS6detail15normal_iteratorINS9_10device_ptrIiEEEESE_iNS9_4plusIvEEiEEDaPvRmT3_T4_T5_mT6_P12ihipStream_tbENKUlT_T0_E_clISt17integral_constantIbLb0EEST_IbLb1EEEEDaSP_SQ_EUlSP_E_NS1_11comp_targetILNS1_3genE8ELNS1_11target_archE1030ELNS1_3gpuE2ELNS1_3repE0EEENS1_30default_config_static_selectorELNS0_4arch9wavefront6targetE1EEEvT1_
	.p2align	8
	.type	_ZN7rocprim17ROCPRIM_400000_NS6detail17trampoline_kernelINS0_14default_configENS1_20scan_config_selectorIiEEZZNS1_9scan_implILNS1_25lookback_scan_determinismE0ELb1ELb1ES3_N6thrust23THRUST_200600_302600_NS6detail15normal_iteratorINS9_10device_ptrIiEEEESE_iNS9_4plusIvEEiEEDaPvRmT3_T4_T5_mT6_P12ihipStream_tbENKUlT_T0_E_clISt17integral_constantIbLb0EEST_IbLb1EEEEDaSP_SQ_EUlSP_E_NS1_11comp_targetILNS1_3genE8ELNS1_11target_archE1030ELNS1_3gpuE2ELNS1_3repE0EEENS1_30default_config_static_selectorELNS0_4arch9wavefront6targetE1EEEvT1_,@function
_ZN7rocprim17ROCPRIM_400000_NS6detail17trampoline_kernelINS0_14default_configENS1_20scan_config_selectorIiEEZZNS1_9scan_implILNS1_25lookback_scan_determinismE0ELb1ELb1ES3_N6thrust23THRUST_200600_302600_NS6detail15normal_iteratorINS9_10device_ptrIiEEEESE_iNS9_4plusIvEEiEEDaPvRmT3_T4_T5_mT6_P12ihipStream_tbENKUlT_T0_E_clISt17integral_constantIbLb0EEST_IbLb1EEEEDaSP_SQ_EUlSP_E_NS1_11comp_targetILNS1_3genE8ELNS1_11target_archE1030ELNS1_3gpuE2ELNS1_3repE0EEENS1_30default_config_static_selectorELNS0_4arch9wavefront6targetE1EEEvT1_: ; @_ZN7rocprim17ROCPRIM_400000_NS6detail17trampoline_kernelINS0_14default_configENS1_20scan_config_selectorIiEEZZNS1_9scan_implILNS1_25lookback_scan_determinismE0ELb1ELb1ES3_N6thrust23THRUST_200600_302600_NS6detail15normal_iteratorINS9_10device_ptrIiEEEESE_iNS9_4plusIvEEiEEDaPvRmT3_T4_T5_mT6_P12ihipStream_tbENKUlT_T0_E_clISt17integral_constantIbLb0EEST_IbLb1EEEEDaSP_SQ_EUlSP_E_NS1_11comp_targetILNS1_3genE8ELNS1_11target_archE1030ELNS1_3gpuE2ELNS1_3repE0EEENS1_30default_config_static_selectorELNS0_4arch9wavefront6targetE1EEEvT1_
; %bb.0:
	.section	.rodata,"a",@progbits
	.p2align	6, 0x0
	.amdhsa_kernel _ZN7rocprim17ROCPRIM_400000_NS6detail17trampoline_kernelINS0_14default_configENS1_20scan_config_selectorIiEEZZNS1_9scan_implILNS1_25lookback_scan_determinismE0ELb1ELb1ES3_N6thrust23THRUST_200600_302600_NS6detail15normal_iteratorINS9_10device_ptrIiEEEESE_iNS9_4plusIvEEiEEDaPvRmT3_T4_T5_mT6_P12ihipStream_tbENKUlT_T0_E_clISt17integral_constantIbLb0EEST_IbLb1EEEEDaSP_SQ_EUlSP_E_NS1_11comp_targetILNS1_3genE8ELNS1_11target_archE1030ELNS1_3gpuE2ELNS1_3repE0EEENS1_30default_config_static_selectorELNS0_4arch9wavefront6targetE1EEEvT1_
		.amdhsa_group_segment_fixed_size 0
		.amdhsa_private_segment_fixed_size 0
		.amdhsa_kernarg_size 96
		.amdhsa_user_sgpr_count 6
		.amdhsa_user_sgpr_private_segment_buffer 1
		.amdhsa_user_sgpr_dispatch_ptr 0
		.amdhsa_user_sgpr_queue_ptr 0
		.amdhsa_user_sgpr_kernarg_segment_ptr 1
		.amdhsa_user_sgpr_dispatch_id 0
		.amdhsa_user_sgpr_flat_scratch_init 0
		.amdhsa_user_sgpr_kernarg_preload_length 0
		.amdhsa_user_sgpr_kernarg_preload_offset 0
		.amdhsa_user_sgpr_private_segment_size 0
		.amdhsa_uses_dynamic_stack 0
		.amdhsa_system_sgpr_private_segment_wavefront_offset 0
		.amdhsa_system_sgpr_workgroup_id_x 1
		.amdhsa_system_sgpr_workgroup_id_y 0
		.amdhsa_system_sgpr_workgroup_id_z 0
		.amdhsa_system_sgpr_workgroup_info 0
		.amdhsa_system_vgpr_workitem_id 0
		.amdhsa_next_free_vgpr 1
		.amdhsa_next_free_sgpr 0
		.amdhsa_accum_offset 4
		.amdhsa_reserve_vcc 0
		.amdhsa_reserve_flat_scratch 0
		.amdhsa_float_round_mode_32 0
		.amdhsa_float_round_mode_16_64 0
		.amdhsa_float_denorm_mode_32 3
		.amdhsa_float_denorm_mode_16_64 3
		.amdhsa_dx10_clamp 1
		.amdhsa_ieee_mode 1
		.amdhsa_fp16_overflow 0
		.amdhsa_tg_split 0
		.amdhsa_exception_fp_ieee_invalid_op 0
		.amdhsa_exception_fp_denorm_src 0
		.amdhsa_exception_fp_ieee_div_zero 0
		.amdhsa_exception_fp_ieee_overflow 0
		.amdhsa_exception_fp_ieee_underflow 0
		.amdhsa_exception_fp_ieee_inexact 0
		.amdhsa_exception_int_div_zero 0
	.end_amdhsa_kernel
	.section	.text._ZN7rocprim17ROCPRIM_400000_NS6detail17trampoline_kernelINS0_14default_configENS1_20scan_config_selectorIiEEZZNS1_9scan_implILNS1_25lookback_scan_determinismE0ELb1ELb1ES3_N6thrust23THRUST_200600_302600_NS6detail15normal_iteratorINS9_10device_ptrIiEEEESE_iNS9_4plusIvEEiEEDaPvRmT3_T4_T5_mT6_P12ihipStream_tbENKUlT_T0_E_clISt17integral_constantIbLb0EEST_IbLb1EEEEDaSP_SQ_EUlSP_E_NS1_11comp_targetILNS1_3genE8ELNS1_11target_archE1030ELNS1_3gpuE2ELNS1_3repE0EEENS1_30default_config_static_selectorELNS0_4arch9wavefront6targetE1EEEvT1_,"axG",@progbits,_ZN7rocprim17ROCPRIM_400000_NS6detail17trampoline_kernelINS0_14default_configENS1_20scan_config_selectorIiEEZZNS1_9scan_implILNS1_25lookback_scan_determinismE0ELb1ELb1ES3_N6thrust23THRUST_200600_302600_NS6detail15normal_iteratorINS9_10device_ptrIiEEEESE_iNS9_4plusIvEEiEEDaPvRmT3_T4_T5_mT6_P12ihipStream_tbENKUlT_T0_E_clISt17integral_constantIbLb0EEST_IbLb1EEEEDaSP_SQ_EUlSP_E_NS1_11comp_targetILNS1_3genE8ELNS1_11target_archE1030ELNS1_3gpuE2ELNS1_3repE0EEENS1_30default_config_static_selectorELNS0_4arch9wavefront6targetE1EEEvT1_,comdat
.Lfunc_end866:
	.size	_ZN7rocprim17ROCPRIM_400000_NS6detail17trampoline_kernelINS0_14default_configENS1_20scan_config_selectorIiEEZZNS1_9scan_implILNS1_25lookback_scan_determinismE0ELb1ELb1ES3_N6thrust23THRUST_200600_302600_NS6detail15normal_iteratorINS9_10device_ptrIiEEEESE_iNS9_4plusIvEEiEEDaPvRmT3_T4_T5_mT6_P12ihipStream_tbENKUlT_T0_E_clISt17integral_constantIbLb0EEST_IbLb1EEEEDaSP_SQ_EUlSP_E_NS1_11comp_targetILNS1_3genE8ELNS1_11target_archE1030ELNS1_3gpuE2ELNS1_3repE0EEENS1_30default_config_static_selectorELNS0_4arch9wavefront6targetE1EEEvT1_, .Lfunc_end866-_ZN7rocprim17ROCPRIM_400000_NS6detail17trampoline_kernelINS0_14default_configENS1_20scan_config_selectorIiEEZZNS1_9scan_implILNS1_25lookback_scan_determinismE0ELb1ELb1ES3_N6thrust23THRUST_200600_302600_NS6detail15normal_iteratorINS9_10device_ptrIiEEEESE_iNS9_4plusIvEEiEEDaPvRmT3_T4_T5_mT6_P12ihipStream_tbENKUlT_T0_E_clISt17integral_constantIbLb0EEST_IbLb1EEEEDaSP_SQ_EUlSP_E_NS1_11comp_targetILNS1_3genE8ELNS1_11target_archE1030ELNS1_3gpuE2ELNS1_3repE0EEENS1_30default_config_static_selectorELNS0_4arch9wavefront6targetE1EEEvT1_
                                        ; -- End function
	.section	.AMDGPU.csdata,"",@progbits
; Kernel info:
; codeLenInByte = 0
; NumSgprs: 4
; NumVgprs: 0
; NumAgprs: 0
; TotalNumVgprs: 0
; ScratchSize: 0
; MemoryBound: 0
; FloatMode: 240
; IeeeMode: 1
; LDSByteSize: 0 bytes/workgroup (compile time only)
; SGPRBlocks: 0
; VGPRBlocks: 0
; NumSGPRsForWavesPerEU: 4
; NumVGPRsForWavesPerEU: 1
; AccumOffset: 4
; Occupancy: 8
; WaveLimiterHint : 0
; COMPUTE_PGM_RSRC2:SCRATCH_EN: 0
; COMPUTE_PGM_RSRC2:USER_SGPR: 6
; COMPUTE_PGM_RSRC2:TRAP_HANDLER: 0
; COMPUTE_PGM_RSRC2:TGID_X_EN: 1
; COMPUTE_PGM_RSRC2:TGID_Y_EN: 0
; COMPUTE_PGM_RSRC2:TGID_Z_EN: 0
; COMPUTE_PGM_RSRC2:TIDIG_COMP_CNT: 0
; COMPUTE_PGM_RSRC3_GFX90A:ACCUM_OFFSET: 0
; COMPUTE_PGM_RSRC3_GFX90A:TG_SPLIT: 0
	.section	.text._ZN7rocprim17ROCPRIM_400000_NS6detail17trampoline_kernelINS0_14default_configENS1_20scan_config_selectorIiEEZZNS1_9scan_implILNS1_25lookback_scan_determinismE0ELb1ELb1ES3_N6thrust23THRUST_200600_302600_NS6detail15normal_iteratorINS9_10device_ptrIiEEEESE_iNS9_4plusIvEEiEEDaPvRmT3_T4_T5_mT6_P12ihipStream_tbENKUlT_T0_E_clISt17integral_constantIbLb0EEST_IbLb1EEEEDaSP_SQ_EUlSP_E0_NS1_11comp_targetILNS1_3genE0ELNS1_11target_archE4294967295ELNS1_3gpuE0ELNS1_3repE0EEENS1_30default_config_static_selectorELNS0_4arch9wavefront6targetE1EEEvT1_,"axG",@progbits,_ZN7rocprim17ROCPRIM_400000_NS6detail17trampoline_kernelINS0_14default_configENS1_20scan_config_selectorIiEEZZNS1_9scan_implILNS1_25lookback_scan_determinismE0ELb1ELb1ES3_N6thrust23THRUST_200600_302600_NS6detail15normal_iteratorINS9_10device_ptrIiEEEESE_iNS9_4plusIvEEiEEDaPvRmT3_T4_T5_mT6_P12ihipStream_tbENKUlT_T0_E_clISt17integral_constantIbLb0EEST_IbLb1EEEEDaSP_SQ_EUlSP_E0_NS1_11comp_targetILNS1_3genE0ELNS1_11target_archE4294967295ELNS1_3gpuE0ELNS1_3repE0EEENS1_30default_config_static_selectorELNS0_4arch9wavefront6targetE1EEEvT1_,comdat
	.protected	_ZN7rocprim17ROCPRIM_400000_NS6detail17trampoline_kernelINS0_14default_configENS1_20scan_config_selectorIiEEZZNS1_9scan_implILNS1_25lookback_scan_determinismE0ELb1ELb1ES3_N6thrust23THRUST_200600_302600_NS6detail15normal_iteratorINS9_10device_ptrIiEEEESE_iNS9_4plusIvEEiEEDaPvRmT3_T4_T5_mT6_P12ihipStream_tbENKUlT_T0_E_clISt17integral_constantIbLb0EEST_IbLb1EEEEDaSP_SQ_EUlSP_E0_NS1_11comp_targetILNS1_3genE0ELNS1_11target_archE4294967295ELNS1_3gpuE0ELNS1_3repE0EEENS1_30default_config_static_selectorELNS0_4arch9wavefront6targetE1EEEvT1_ ; -- Begin function _ZN7rocprim17ROCPRIM_400000_NS6detail17trampoline_kernelINS0_14default_configENS1_20scan_config_selectorIiEEZZNS1_9scan_implILNS1_25lookback_scan_determinismE0ELb1ELb1ES3_N6thrust23THRUST_200600_302600_NS6detail15normal_iteratorINS9_10device_ptrIiEEEESE_iNS9_4plusIvEEiEEDaPvRmT3_T4_T5_mT6_P12ihipStream_tbENKUlT_T0_E_clISt17integral_constantIbLb0EEST_IbLb1EEEEDaSP_SQ_EUlSP_E0_NS1_11comp_targetILNS1_3genE0ELNS1_11target_archE4294967295ELNS1_3gpuE0ELNS1_3repE0EEENS1_30default_config_static_selectorELNS0_4arch9wavefront6targetE1EEEvT1_
	.globl	_ZN7rocprim17ROCPRIM_400000_NS6detail17trampoline_kernelINS0_14default_configENS1_20scan_config_selectorIiEEZZNS1_9scan_implILNS1_25lookback_scan_determinismE0ELb1ELb1ES3_N6thrust23THRUST_200600_302600_NS6detail15normal_iteratorINS9_10device_ptrIiEEEESE_iNS9_4plusIvEEiEEDaPvRmT3_T4_T5_mT6_P12ihipStream_tbENKUlT_T0_E_clISt17integral_constantIbLb0EEST_IbLb1EEEEDaSP_SQ_EUlSP_E0_NS1_11comp_targetILNS1_3genE0ELNS1_11target_archE4294967295ELNS1_3gpuE0ELNS1_3repE0EEENS1_30default_config_static_selectorELNS0_4arch9wavefront6targetE1EEEvT1_
	.p2align	8
	.type	_ZN7rocprim17ROCPRIM_400000_NS6detail17trampoline_kernelINS0_14default_configENS1_20scan_config_selectorIiEEZZNS1_9scan_implILNS1_25lookback_scan_determinismE0ELb1ELb1ES3_N6thrust23THRUST_200600_302600_NS6detail15normal_iteratorINS9_10device_ptrIiEEEESE_iNS9_4plusIvEEiEEDaPvRmT3_T4_T5_mT6_P12ihipStream_tbENKUlT_T0_E_clISt17integral_constantIbLb0EEST_IbLb1EEEEDaSP_SQ_EUlSP_E0_NS1_11comp_targetILNS1_3genE0ELNS1_11target_archE4294967295ELNS1_3gpuE0ELNS1_3repE0EEENS1_30default_config_static_selectorELNS0_4arch9wavefront6targetE1EEEvT1_,@function
_ZN7rocprim17ROCPRIM_400000_NS6detail17trampoline_kernelINS0_14default_configENS1_20scan_config_selectorIiEEZZNS1_9scan_implILNS1_25lookback_scan_determinismE0ELb1ELb1ES3_N6thrust23THRUST_200600_302600_NS6detail15normal_iteratorINS9_10device_ptrIiEEEESE_iNS9_4plusIvEEiEEDaPvRmT3_T4_T5_mT6_P12ihipStream_tbENKUlT_T0_E_clISt17integral_constantIbLb0EEST_IbLb1EEEEDaSP_SQ_EUlSP_E0_NS1_11comp_targetILNS1_3genE0ELNS1_11target_archE4294967295ELNS1_3gpuE0ELNS1_3repE0EEENS1_30default_config_static_selectorELNS0_4arch9wavefront6targetE1EEEvT1_: ; @_ZN7rocprim17ROCPRIM_400000_NS6detail17trampoline_kernelINS0_14default_configENS1_20scan_config_selectorIiEEZZNS1_9scan_implILNS1_25lookback_scan_determinismE0ELb1ELb1ES3_N6thrust23THRUST_200600_302600_NS6detail15normal_iteratorINS9_10device_ptrIiEEEESE_iNS9_4plusIvEEiEEDaPvRmT3_T4_T5_mT6_P12ihipStream_tbENKUlT_T0_E_clISt17integral_constantIbLb0EEST_IbLb1EEEEDaSP_SQ_EUlSP_E0_NS1_11comp_targetILNS1_3genE0ELNS1_11target_archE4294967295ELNS1_3gpuE0ELNS1_3repE0EEENS1_30default_config_static_selectorELNS0_4arch9wavefront6targetE1EEEvT1_
; %bb.0:
	.section	.rodata,"a",@progbits
	.p2align	6, 0x0
	.amdhsa_kernel _ZN7rocprim17ROCPRIM_400000_NS6detail17trampoline_kernelINS0_14default_configENS1_20scan_config_selectorIiEEZZNS1_9scan_implILNS1_25lookback_scan_determinismE0ELb1ELb1ES3_N6thrust23THRUST_200600_302600_NS6detail15normal_iteratorINS9_10device_ptrIiEEEESE_iNS9_4plusIvEEiEEDaPvRmT3_T4_T5_mT6_P12ihipStream_tbENKUlT_T0_E_clISt17integral_constantIbLb0EEST_IbLb1EEEEDaSP_SQ_EUlSP_E0_NS1_11comp_targetILNS1_3genE0ELNS1_11target_archE4294967295ELNS1_3gpuE0ELNS1_3repE0EEENS1_30default_config_static_selectorELNS0_4arch9wavefront6targetE1EEEvT1_
		.amdhsa_group_segment_fixed_size 0
		.amdhsa_private_segment_fixed_size 0
		.amdhsa_kernarg_size 32
		.amdhsa_user_sgpr_count 6
		.amdhsa_user_sgpr_private_segment_buffer 1
		.amdhsa_user_sgpr_dispatch_ptr 0
		.amdhsa_user_sgpr_queue_ptr 0
		.amdhsa_user_sgpr_kernarg_segment_ptr 1
		.amdhsa_user_sgpr_dispatch_id 0
		.amdhsa_user_sgpr_flat_scratch_init 0
		.amdhsa_user_sgpr_kernarg_preload_length 0
		.amdhsa_user_sgpr_kernarg_preload_offset 0
		.amdhsa_user_sgpr_private_segment_size 0
		.amdhsa_uses_dynamic_stack 0
		.amdhsa_system_sgpr_private_segment_wavefront_offset 0
		.amdhsa_system_sgpr_workgroup_id_x 1
		.amdhsa_system_sgpr_workgroup_id_y 0
		.amdhsa_system_sgpr_workgroup_id_z 0
		.amdhsa_system_sgpr_workgroup_info 0
		.amdhsa_system_vgpr_workitem_id 0
		.amdhsa_next_free_vgpr 1
		.amdhsa_next_free_sgpr 0
		.amdhsa_accum_offset 4
		.amdhsa_reserve_vcc 0
		.amdhsa_reserve_flat_scratch 0
		.amdhsa_float_round_mode_32 0
		.amdhsa_float_round_mode_16_64 0
		.amdhsa_float_denorm_mode_32 3
		.amdhsa_float_denorm_mode_16_64 3
		.amdhsa_dx10_clamp 1
		.amdhsa_ieee_mode 1
		.amdhsa_fp16_overflow 0
		.amdhsa_tg_split 0
		.amdhsa_exception_fp_ieee_invalid_op 0
		.amdhsa_exception_fp_denorm_src 0
		.amdhsa_exception_fp_ieee_div_zero 0
		.amdhsa_exception_fp_ieee_overflow 0
		.amdhsa_exception_fp_ieee_underflow 0
		.amdhsa_exception_fp_ieee_inexact 0
		.amdhsa_exception_int_div_zero 0
	.end_amdhsa_kernel
	.section	.text._ZN7rocprim17ROCPRIM_400000_NS6detail17trampoline_kernelINS0_14default_configENS1_20scan_config_selectorIiEEZZNS1_9scan_implILNS1_25lookback_scan_determinismE0ELb1ELb1ES3_N6thrust23THRUST_200600_302600_NS6detail15normal_iteratorINS9_10device_ptrIiEEEESE_iNS9_4plusIvEEiEEDaPvRmT3_T4_T5_mT6_P12ihipStream_tbENKUlT_T0_E_clISt17integral_constantIbLb0EEST_IbLb1EEEEDaSP_SQ_EUlSP_E0_NS1_11comp_targetILNS1_3genE0ELNS1_11target_archE4294967295ELNS1_3gpuE0ELNS1_3repE0EEENS1_30default_config_static_selectorELNS0_4arch9wavefront6targetE1EEEvT1_,"axG",@progbits,_ZN7rocprim17ROCPRIM_400000_NS6detail17trampoline_kernelINS0_14default_configENS1_20scan_config_selectorIiEEZZNS1_9scan_implILNS1_25lookback_scan_determinismE0ELb1ELb1ES3_N6thrust23THRUST_200600_302600_NS6detail15normal_iteratorINS9_10device_ptrIiEEEESE_iNS9_4plusIvEEiEEDaPvRmT3_T4_T5_mT6_P12ihipStream_tbENKUlT_T0_E_clISt17integral_constantIbLb0EEST_IbLb1EEEEDaSP_SQ_EUlSP_E0_NS1_11comp_targetILNS1_3genE0ELNS1_11target_archE4294967295ELNS1_3gpuE0ELNS1_3repE0EEENS1_30default_config_static_selectorELNS0_4arch9wavefront6targetE1EEEvT1_,comdat
.Lfunc_end867:
	.size	_ZN7rocprim17ROCPRIM_400000_NS6detail17trampoline_kernelINS0_14default_configENS1_20scan_config_selectorIiEEZZNS1_9scan_implILNS1_25lookback_scan_determinismE0ELb1ELb1ES3_N6thrust23THRUST_200600_302600_NS6detail15normal_iteratorINS9_10device_ptrIiEEEESE_iNS9_4plusIvEEiEEDaPvRmT3_T4_T5_mT6_P12ihipStream_tbENKUlT_T0_E_clISt17integral_constantIbLb0EEST_IbLb1EEEEDaSP_SQ_EUlSP_E0_NS1_11comp_targetILNS1_3genE0ELNS1_11target_archE4294967295ELNS1_3gpuE0ELNS1_3repE0EEENS1_30default_config_static_selectorELNS0_4arch9wavefront6targetE1EEEvT1_, .Lfunc_end867-_ZN7rocprim17ROCPRIM_400000_NS6detail17trampoline_kernelINS0_14default_configENS1_20scan_config_selectorIiEEZZNS1_9scan_implILNS1_25lookback_scan_determinismE0ELb1ELb1ES3_N6thrust23THRUST_200600_302600_NS6detail15normal_iteratorINS9_10device_ptrIiEEEESE_iNS9_4plusIvEEiEEDaPvRmT3_T4_T5_mT6_P12ihipStream_tbENKUlT_T0_E_clISt17integral_constantIbLb0EEST_IbLb1EEEEDaSP_SQ_EUlSP_E0_NS1_11comp_targetILNS1_3genE0ELNS1_11target_archE4294967295ELNS1_3gpuE0ELNS1_3repE0EEENS1_30default_config_static_selectorELNS0_4arch9wavefront6targetE1EEEvT1_
                                        ; -- End function
	.section	.AMDGPU.csdata,"",@progbits
; Kernel info:
; codeLenInByte = 0
; NumSgprs: 4
; NumVgprs: 0
; NumAgprs: 0
; TotalNumVgprs: 0
; ScratchSize: 0
; MemoryBound: 0
; FloatMode: 240
; IeeeMode: 1
; LDSByteSize: 0 bytes/workgroup (compile time only)
; SGPRBlocks: 0
; VGPRBlocks: 0
; NumSGPRsForWavesPerEU: 4
; NumVGPRsForWavesPerEU: 1
; AccumOffset: 4
; Occupancy: 8
; WaveLimiterHint : 0
; COMPUTE_PGM_RSRC2:SCRATCH_EN: 0
; COMPUTE_PGM_RSRC2:USER_SGPR: 6
; COMPUTE_PGM_RSRC2:TRAP_HANDLER: 0
; COMPUTE_PGM_RSRC2:TGID_X_EN: 1
; COMPUTE_PGM_RSRC2:TGID_Y_EN: 0
; COMPUTE_PGM_RSRC2:TGID_Z_EN: 0
; COMPUTE_PGM_RSRC2:TIDIG_COMP_CNT: 0
; COMPUTE_PGM_RSRC3_GFX90A:ACCUM_OFFSET: 0
; COMPUTE_PGM_RSRC3_GFX90A:TG_SPLIT: 0
	.section	.text._ZN7rocprim17ROCPRIM_400000_NS6detail17trampoline_kernelINS0_14default_configENS1_20scan_config_selectorIiEEZZNS1_9scan_implILNS1_25lookback_scan_determinismE0ELb1ELb1ES3_N6thrust23THRUST_200600_302600_NS6detail15normal_iteratorINS9_10device_ptrIiEEEESE_iNS9_4plusIvEEiEEDaPvRmT3_T4_T5_mT6_P12ihipStream_tbENKUlT_T0_E_clISt17integral_constantIbLb0EEST_IbLb1EEEEDaSP_SQ_EUlSP_E0_NS1_11comp_targetILNS1_3genE5ELNS1_11target_archE942ELNS1_3gpuE9ELNS1_3repE0EEENS1_30default_config_static_selectorELNS0_4arch9wavefront6targetE1EEEvT1_,"axG",@progbits,_ZN7rocprim17ROCPRIM_400000_NS6detail17trampoline_kernelINS0_14default_configENS1_20scan_config_selectorIiEEZZNS1_9scan_implILNS1_25lookback_scan_determinismE0ELb1ELb1ES3_N6thrust23THRUST_200600_302600_NS6detail15normal_iteratorINS9_10device_ptrIiEEEESE_iNS9_4plusIvEEiEEDaPvRmT3_T4_T5_mT6_P12ihipStream_tbENKUlT_T0_E_clISt17integral_constantIbLb0EEST_IbLb1EEEEDaSP_SQ_EUlSP_E0_NS1_11comp_targetILNS1_3genE5ELNS1_11target_archE942ELNS1_3gpuE9ELNS1_3repE0EEENS1_30default_config_static_selectorELNS0_4arch9wavefront6targetE1EEEvT1_,comdat
	.protected	_ZN7rocprim17ROCPRIM_400000_NS6detail17trampoline_kernelINS0_14default_configENS1_20scan_config_selectorIiEEZZNS1_9scan_implILNS1_25lookback_scan_determinismE0ELb1ELb1ES3_N6thrust23THRUST_200600_302600_NS6detail15normal_iteratorINS9_10device_ptrIiEEEESE_iNS9_4plusIvEEiEEDaPvRmT3_T4_T5_mT6_P12ihipStream_tbENKUlT_T0_E_clISt17integral_constantIbLb0EEST_IbLb1EEEEDaSP_SQ_EUlSP_E0_NS1_11comp_targetILNS1_3genE5ELNS1_11target_archE942ELNS1_3gpuE9ELNS1_3repE0EEENS1_30default_config_static_selectorELNS0_4arch9wavefront6targetE1EEEvT1_ ; -- Begin function _ZN7rocprim17ROCPRIM_400000_NS6detail17trampoline_kernelINS0_14default_configENS1_20scan_config_selectorIiEEZZNS1_9scan_implILNS1_25lookback_scan_determinismE0ELb1ELb1ES3_N6thrust23THRUST_200600_302600_NS6detail15normal_iteratorINS9_10device_ptrIiEEEESE_iNS9_4plusIvEEiEEDaPvRmT3_T4_T5_mT6_P12ihipStream_tbENKUlT_T0_E_clISt17integral_constantIbLb0EEST_IbLb1EEEEDaSP_SQ_EUlSP_E0_NS1_11comp_targetILNS1_3genE5ELNS1_11target_archE942ELNS1_3gpuE9ELNS1_3repE0EEENS1_30default_config_static_selectorELNS0_4arch9wavefront6targetE1EEEvT1_
	.globl	_ZN7rocprim17ROCPRIM_400000_NS6detail17trampoline_kernelINS0_14default_configENS1_20scan_config_selectorIiEEZZNS1_9scan_implILNS1_25lookback_scan_determinismE0ELb1ELb1ES3_N6thrust23THRUST_200600_302600_NS6detail15normal_iteratorINS9_10device_ptrIiEEEESE_iNS9_4plusIvEEiEEDaPvRmT3_T4_T5_mT6_P12ihipStream_tbENKUlT_T0_E_clISt17integral_constantIbLb0EEST_IbLb1EEEEDaSP_SQ_EUlSP_E0_NS1_11comp_targetILNS1_3genE5ELNS1_11target_archE942ELNS1_3gpuE9ELNS1_3repE0EEENS1_30default_config_static_selectorELNS0_4arch9wavefront6targetE1EEEvT1_
	.p2align	8
	.type	_ZN7rocprim17ROCPRIM_400000_NS6detail17trampoline_kernelINS0_14default_configENS1_20scan_config_selectorIiEEZZNS1_9scan_implILNS1_25lookback_scan_determinismE0ELb1ELb1ES3_N6thrust23THRUST_200600_302600_NS6detail15normal_iteratorINS9_10device_ptrIiEEEESE_iNS9_4plusIvEEiEEDaPvRmT3_T4_T5_mT6_P12ihipStream_tbENKUlT_T0_E_clISt17integral_constantIbLb0EEST_IbLb1EEEEDaSP_SQ_EUlSP_E0_NS1_11comp_targetILNS1_3genE5ELNS1_11target_archE942ELNS1_3gpuE9ELNS1_3repE0EEENS1_30default_config_static_selectorELNS0_4arch9wavefront6targetE1EEEvT1_,@function
_ZN7rocprim17ROCPRIM_400000_NS6detail17trampoline_kernelINS0_14default_configENS1_20scan_config_selectorIiEEZZNS1_9scan_implILNS1_25lookback_scan_determinismE0ELb1ELb1ES3_N6thrust23THRUST_200600_302600_NS6detail15normal_iteratorINS9_10device_ptrIiEEEESE_iNS9_4plusIvEEiEEDaPvRmT3_T4_T5_mT6_P12ihipStream_tbENKUlT_T0_E_clISt17integral_constantIbLb0EEST_IbLb1EEEEDaSP_SQ_EUlSP_E0_NS1_11comp_targetILNS1_3genE5ELNS1_11target_archE942ELNS1_3gpuE9ELNS1_3repE0EEENS1_30default_config_static_selectorELNS0_4arch9wavefront6targetE1EEEvT1_: ; @_ZN7rocprim17ROCPRIM_400000_NS6detail17trampoline_kernelINS0_14default_configENS1_20scan_config_selectorIiEEZZNS1_9scan_implILNS1_25lookback_scan_determinismE0ELb1ELb1ES3_N6thrust23THRUST_200600_302600_NS6detail15normal_iteratorINS9_10device_ptrIiEEEESE_iNS9_4plusIvEEiEEDaPvRmT3_T4_T5_mT6_P12ihipStream_tbENKUlT_T0_E_clISt17integral_constantIbLb0EEST_IbLb1EEEEDaSP_SQ_EUlSP_E0_NS1_11comp_targetILNS1_3genE5ELNS1_11target_archE942ELNS1_3gpuE9ELNS1_3repE0EEENS1_30default_config_static_selectorELNS0_4arch9wavefront6targetE1EEEvT1_
; %bb.0:
	.section	.rodata,"a",@progbits
	.p2align	6, 0x0
	.amdhsa_kernel _ZN7rocprim17ROCPRIM_400000_NS6detail17trampoline_kernelINS0_14default_configENS1_20scan_config_selectorIiEEZZNS1_9scan_implILNS1_25lookback_scan_determinismE0ELb1ELb1ES3_N6thrust23THRUST_200600_302600_NS6detail15normal_iteratorINS9_10device_ptrIiEEEESE_iNS9_4plusIvEEiEEDaPvRmT3_T4_T5_mT6_P12ihipStream_tbENKUlT_T0_E_clISt17integral_constantIbLb0EEST_IbLb1EEEEDaSP_SQ_EUlSP_E0_NS1_11comp_targetILNS1_3genE5ELNS1_11target_archE942ELNS1_3gpuE9ELNS1_3repE0EEENS1_30default_config_static_selectorELNS0_4arch9wavefront6targetE1EEEvT1_
		.amdhsa_group_segment_fixed_size 0
		.amdhsa_private_segment_fixed_size 0
		.amdhsa_kernarg_size 32
		.amdhsa_user_sgpr_count 6
		.amdhsa_user_sgpr_private_segment_buffer 1
		.amdhsa_user_sgpr_dispatch_ptr 0
		.amdhsa_user_sgpr_queue_ptr 0
		.amdhsa_user_sgpr_kernarg_segment_ptr 1
		.amdhsa_user_sgpr_dispatch_id 0
		.amdhsa_user_sgpr_flat_scratch_init 0
		.amdhsa_user_sgpr_kernarg_preload_length 0
		.amdhsa_user_sgpr_kernarg_preload_offset 0
		.amdhsa_user_sgpr_private_segment_size 0
		.amdhsa_uses_dynamic_stack 0
		.amdhsa_system_sgpr_private_segment_wavefront_offset 0
		.amdhsa_system_sgpr_workgroup_id_x 1
		.amdhsa_system_sgpr_workgroup_id_y 0
		.amdhsa_system_sgpr_workgroup_id_z 0
		.amdhsa_system_sgpr_workgroup_info 0
		.amdhsa_system_vgpr_workitem_id 0
		.amdhsa_next_free_vgpr 1
		.amdhsa_next_free_sgpr 0
		.amdhsa_accum_offset 4
		.amdhsa_reserve_vcc 0
		.amdhsa_reserve_flat_scratch 0
		.amdhsa_float_round_mode_32 0
		.amdhsa_float_round_mode_16_64 0
		.amdhsa_float_denorm_mode_32 3
		.amdhsa_float_denorm_mode_16_64 3
		.amdhsa_dx10_clamp 1
		.amdhsa_ieee_mode 1
		.amdhsa_fp16_overflow 0
		.amdhsa_tg_split 0
		.amdhsa_exception_fp_ieee_invalid_op 0
		.amdhsa_exception_fp_denorm_src 0
		.amdhsa_exception_fp_ieee_div_zero 0
		.amdhsa_exception_fp_ieee_overflow 0
		.amdhsa_exception_fp_ieee_underflow 0
		.amdhsa_exception_fp_ieee_inexact 0
		.amdhsa_exception_int_div_zero 0
	.end_amdhsa_kernel
	.section	.text._ZN7rocprim17ROCPRIM_400000_NS6detail17trampoline_kernelINS0_14default_configENS1_20scan_config_selectorIiEEZZNS1_9scan_implILNS1_25lookback_scan_determinismE0ELb1ELb1ES3_N6thrust23THRUST_200600_302600_NS6detail15normal_iteratorINS9_10device_ptrIiEEEESE_iNS9_4plusIvEEiEEDaPvRmT3_T4_T5_mT6_P12ihipStream_tbENKUlT_T0_E_clISt17integral_constantIbLb0EEST_IbLb1EEEEDaSP_SQ_EUlSP_E0_NS1_11comp_targetILNS1_3genE5ELNS1_11target_archE942ELNS1_3gpuE9ELNS1_3repE0EEENS1_30default_config_static_selectorELNS0_4arch9wavefront6targetE1EEEvT1_,"axG",@progbits,_ZN7rocprim17ROCPRIM_400000_NS6detail17trampoline_kernelINS0_14default_configENS1_20scan_config_selectorIiEEZZNS1_9scan_implILNS1_25lookback_scan_determinismE0ELb1ELb1ES3_N6thrust23THRUST_200600_302600_NS6detail15normal_iteratorINS9_10device_ptrIiEEEESE_iNS9_4plusIvEEiEEDaPvRmT3_T4_T5_mT6_P12ihipStream_tbENKUlT_T0_E_clISt17integral_constantIbLb0EEST_IbLb1EEEEDaSP_SQ_EUlSP_E0_NS1_11comp_targetILNS1_3genE5ELNS1_11target_archE942ELNS1_3gpuE9ELNS1_3repE0EEENS1_30default_config_static_selectorELNS0_4arch9wavefront6targetE1EEEvT1_,comdat
.Lfunc_end868:
	.size	_ZN7rocprim17ROCPRIM_400000_NS6detail17trampoline_kernelINS0_14default_configENS1_20scan_config_selectorIiEEZZNS1_9scan_implILNS1_25lookback_scan_determinismE0ELb1ELb1ES3_N6thrust23THRUST_200600_302600_NS6detail15normal_iteratorINS9_10device_ptrIiEEEESE_iNS9_4plusIvEEiEEDaPvRmT3_T4_T5_mT6_P12ihipStream_tbENKUlT_T0_E_clISt17integral_constantIbLb0EEST_IbLb1EEEEDaSP_SQ_EUlSP_E0_NS1_11comp_targetILNS1_3genE5ELNS1_11target_archE942ELNS1_3gpuE9ELNS1_3repE0EEENS1_30default_config_static_selectorELNS0_4arch9wavefront6targetE1EEEvT1_, .Lfunc_end868-_ZN7rocprim17ROCPRIM_400000_NS6detail17trampoline_kernelINS0_14default_configENS1_20scan_config_selectorIiEEZZNS1_9scan_implILNS1_25lookback_scan_determinismE0ELb1ELb1ES3_N6thrust23THRUST_200600_302600_NS6detail15normal_iteratorINS9_10device_ptrIiEEEESE_iNS9_4plusIvEEiEEDaPvRmT3_T4_T5_mT6_P12ihipStream_tbENKUlT_T0_E_clISt17integral_constantIbLb0EEST_IbLb1EEEEDaSP_SQ_EUlSP_E0_NS1_11comp_targetILNS1_3genE5ELNS1_11target_archE942ELNS1_3gpuE9ELNS1_3repE0EEENS1_30default_config_static_selectorELNS0_4arch9wavefront6targetE1EEEvT1_
                                        ; -- End function
	.section	.AMDGPU.csdata,"",@progbits
; Kernel info:
; codeLenInByte = 0
; NumSgprs: 4
; NumVgprs: 0
; NumAgprs: 0
; TotalNumVgprs: 0
; ScratchSize: 0
; MemoryBound: 0
; FloatMode: 240
; IeeeMode: 1
; LDSByteSize: 0 bytes/workgroup (compile time only)
; SGPRBlocks: 0
; VGPRBlocks: 0
; NumSGPRsForWavesPerEU: 4
; NumVGPRsForWavesPerEU: 1
; AccumOffset: 4
; Occupancy: 8
; WaveLimiterHint : 0
; COMPUTE_PGM_RSRC2:SCRATCH_EN: 0
; COMPUTE_PGM_RSRC2:USER_SGPR: 6
; COMPUTE_PGM_RSRC2:TRAP_HANDLER: 0
; COMPUTE_PGM_RSRC2:TGID_X_EN: 1
; COMPUTE_PGM_RSRC2:TGID_Y_EN: 0
; COMPUTE_PGM_RSRC2:TGID_Z_EN: 0
; COMPUTE_PGM_RSRC2:TIDIG_COMP_CNT: 0
; COMPUTE_PGM_RSRC3_GFX90A:ACCUM_OFFSET: 0
; COMPUTE_PGM_RSRC3_GFX90A:TG_SPLIT: 0
	.section	.text._ZN7rocprim17ROCPRIM_400000_NS6detail17trampoline_kernelINS0_14default_configENS1_20scan_config_selectorIiEEZZNS1_9scan_implILNS1_25lookback_scan_determinismE0ELb1ELb1ES3_N6thrust23THRUST_200600_302600_NS6detail15normal_iteratorINS9_10device_ptrIiEEEESE_iNS9_4plusIvEEiEEDaPvRmT3_T4_T5_mT6_P12ihipStream_tbENKUlT_T0_E_clISt17integral_constantIbLb0EEST_IbLb1EEEEDaSP_SQ_EUlSP_E0_NS1_11comp_targetILNS1_3genE4ELNS1_11target_archE910ELNS1_3gpuE8ELNS1_3repE0EEENS1_30default_config_static_selectorELNS0_4arch9wavefront6targetE1EEEvT1_,"axG",@progbits,_ZN7rocprim17ROCPRIM_400000_NS6detail17trampoline_kernelINS0_14default_configENS1_20scan_config_selectorIiEEZZNS1_9scan_implILNS1_25lookback_scan_determinismE0ELb1ELb1ES3_N6thrust23THRUST_200600_302600_NS6detail15normal_iteratorINS9_10device_ptrIiEEEESE_iNS9_4plusIvEEiEEDaPvRmT3_T4_T5_mT6_P12ihipStream_tbENKUlT_T0_E_clISt17integral_constantIbLb0EEST_IbLb1EEEEDaSP_SQ_EUlSP_E0_NS1_11comp_targetILNS1_3genE4ELNS1_11target_archE910ELNS1_3gpuE8ELNS1_3repE0EEENS1_30default_config_static_selectorELNS0_4arch9wavefront6targetE1EEEvT1_,comdat
	.protected	_ZN7rocprim17ROCPRIM_400000_NS6detail17trampoline_kernelINS0_14default_configENS1_20scan_config_selectorIiEEZZNS1_9scan_implILNS1_25lookback_scan_determinismE0ELb1ELb1ES3_N6thrust23THRUST_200600_302600_NS6detail15normal_iteratorINS9_10device_ptrIiEEEESE_iNS9_4plusIvEEiEEDaPvRmT3_T4_T5_mT6_P12ihipStream_tbENKUlT_T0_E_clISt17integral_constantIbLb0EEST_IbLb1EEEEDaSP_SQ_EUlSP_E0_NS1_11comp_targetILNS1_3genE4ELNS1_11target_archE910ELNS1_3gpuE8ELNS1_3repE0EEENS1_30default_config_static_selectorELNS0_4arch9wavefront6targetE1EEEvT1_ ; -- Begin function _ZN7rocprim17ROCPRIM_400000_NS6detail17trampoline_kernelINS0_14default_configENS1_20scan_config_selectorIiEEZZNS1_9scan_implILNS1_25lookback_scan_determinismE0ELb1ELb1ES3_N6thrust23THRUST_200600_302600_NS6detail15normal_iteratorINS9_10device_ptrIiEEEESE_iNS9_4plusIvEEiEEDaPvRmT3_T4_T5_mT6_P12ihipStream_tbENKUlT_T0_E_clISt17integral_constantIbLb0EEST_IbLb1EEEEDaSP_SQ_EUlSP_E0_NS1_11comp_targetILNS1_3genE4ELNS1_11target_archE910ELNS1_3gpuE8ELNS1_3repE0EEENS1_30default_config_static_selectorELNS0_4arch9wavefront6targetE1EEEvT1_
	.globl	_ZN7rocprim17ROCPRIM_400000_NS6detail17trampoline_kernelINS0_14default_configENS1_20scan_config_selectorIiEEZZNS1_9scan_implILNS1_25lookback_scan_determinismE0ELb1ELb1ES3_N6thrust23THRUST_200600_302600_NS6detail15normal_iteratorINS9_10device_ptrIiEEEESE_iNS9_4plusIvEEiEEDaPvRmT3_T4_T5_mT6_P12ihipStream_tbENKUlT_T0_E_clISt17integral_constantIbLb0EEST_IbLb1EEEEDaSP_SQ_EUlSP_E0_NS1_11comp_targetILNS1_3genE4ELNS1_11target_archE910ELNS1_3gpuE8ELNS1_3repE0EEENS1_30default_config_static_selectorELNS0_4arch9wavefront6targetE1EEEvT1_
	.p2align	8
	.type	_ZN7rocprim17ROCPRIM_400000_NS6detail17trampoline_kernelINS0_14default_configENS1_20scan_config_selectorIiEEZZNS1_9scan_implILNS1_25lookback_scan_determinismE0ELb1ELb1ES3_N6thrust23THRUST_200600_302600_NS6detail15normal_iteratorINS9_10device_ptrIiEEEESE_iNS9_4plusIvEEiEEDaPvRmT3_T4_T5_mT6_P12ihipStream_tbENKUlT_T0_E_clISt17integral_constantIbLb0EEST_IbLb1EEEEDaSP_SQ_EUlSP_E0_NS1_11comp_targetILNS1_3genE4ELNS1_11target_archE910ELNS1_3gpuE8ELNS1_3repE0EEENS1_30default_config_static_selectorELNS0_4arch9wavefront6targetE1EEEvT1_,@function
_ZN7rocprim17ROCPRIM_400000_NS6detail17trampoline_kernelINS0_14default_configENS1_20scan_config_selectorIiEEZZNS1_9scan_implILNS1_25lookback_scan_determinismE0ELb1ELb1ES3_N6thrust23THRUST_200600_302600_NS6detail15normal_iteratorINS9_10device_ptrIiEEEESE_iNS9_4plusIvEEiEEDaPvRmT3_T4_T5_mT6_P12ihipStream_tbENKUlT_T0_E_clISt17integral_constantIbLb0EEST_IbLb1EEEEDaSP_SQ_EUlSP_E0_NS1_11comp_targetILNS1_3genE4ELNS1_11target_archE910ELNS1_3gpuE8ELNS1_3repE0EEENS1_30default_config_static_selectorELNS0_4arch9wavefront6targetE1EEEvT1_: ; @_ZN7rocprim17ROCPRIM_400000_NS6detail17trampoline_kernelINS0_14default_configENS1_20scan_config_selectorIiEEZZNS1_9scan_implILNS1_25lookback_scan_determinismE0ELb1ELb1ES3_N6thrust23THRUST_200600_302600_NS6detail15normal_iteratorINS9_10device_ptrIiEEEESE_iNS9_4plusIvEEiEEDaPvRmT3_T4_T5_mT6_P12ihipStream_tbENKUlT_T0_E_clISt17integral_constantIbLb0EEST_IbLb1EEEEDaSP_SQ_EUlSP_E0_NS1_11comp_targetILNS1_3genE4ELNS1_11target_archE910ELNS1_3gpuE8ELNS1_3repE0EEENS1_30default_config_static_selectorELNS0_4arch9wavefront6targetE1EEEvT1_
; %bb.0:
	s_load_dwordx4 s[20:23], s[4:5], 0x0
	v_lshlrev_b32_e32 v14, 2, v0
	s_waitcnt lgkmcnt(0)
	s_load_dword s23, s[20:21], 0x0
	v_cmp_gt_u32_e32 vcc, s22, v0
	s_waitcnt lgkmcnt(0)
	v_mov_b32_e32 v1, s23
	s_and_saveexec_b64 s[0:1], vcc
	s_cbranch_execz .LBB869_2
; %bb.1:
	global_load_dword v1, v14, s[20:21]
.LBB869_2:
	s_or_b64 exec, exec, s[0:1]
	v_or_b32_e32 v2, 0x80, v0
	v_cmp_gt_u32_e64 s[0:1], s22, v2
	v_mov_b32_e32 v2, s23
	s_and_saveexec_b64 s[2:3], s[0:1]
	s_cbranch_execz .LBB869_4
; %bb.3:
	global_load_dword v2, v14, s[20:21] offset:512
.LBB869_4:
	s_or_b64 exec, exec, s[2:3]
	v_or_b32_e32 v3, 0x100, v0
	v_cmp_gt_u32_e64 s[2:3], s22, v3
	v_mov_b32_e32 v3, s23
	s_and_saveexec_b64 s[6:7], s[2:3]
	s_cbranch_execz .LBB869_6
; %bb.5:
	global_load_dword v3, v14, s[20:21] offset:1024
.LBB869_6:
	;; [unrolled: 9-line block ×7, first 2 shown]
	s_or_b64 exec, exec, s[14:15]
	v_or_b32_e32 v10, 0x400, v0
	v_cmp_gt_u32_e64 s[14:15], s22, v10
	v_mov_b32_e32 v9, s23
	s_and_saveexec_b64 s[16:17], s[14:15]
	s_cbranch_execz .LBB869_18
; %bb.17:
	v_lshlrev_b32_e32 v9, 2, v10
	global_load_dword v9, v9, s[20:21]
.LBB869_18:
	s_or_b64 exec, exec, s[16:17]
	s_load_dword s24, s[4:5], 0x10
	v_or_b32_e32 v11, 0x480, v0
	v_cmp_gt_u32_e64 s[16:17], s22, v11
	v_mov_b32_e32 v10, s23
	s_and_saveexec_b64 s[22:23], s[16:17]
	s_cbranch_execz .LBB869_20
; %bb.19:
	v_lshlrev_b32_e32 v10, 2, v11
	global_load_dword v10, v10, s[20:21]
.LBB869_20:
	s_or_b64 exec, exec, s[22:23]
	s_waitcnt vmcnt(0)
	ds_write2st64_b32 v14, v1, v2 offset1:2
	ds_write2st64_b32 v14, v3, v4 offset0:4 offset1:6
	ds_write2st64_b32 v14, v5, v6 offset0:8 offset1:10
	;; [unrolled: 1-line block ×4, first 2 shown]
	v_mad_u32_u24 v1, v0, 36, v14
	s_waitcnt lgkmcnt(0)
	s_barrier
	ds_read2_b64 v[6:9], v1 offset1:1
	ds_read2_b64 v[2:5], v1 offset0:2 offset1:3
	ds_read_b64 v[10:11], v1 offset:32
	s_load_dwordx2 s[20:21], s[4:5], 0x18
	v_cmp_gt_u32_e64 s[4:5], 64, v0
	s_waitcnt lgkmcnt(0)
	v_add_u32_e32 v1, v7, v6
	v_add3_u32 v1, v1, v8, v9
	v_add3_u32 v1, v1, v2, v3
	;; [unrolled: 1-line block ×4, first 2 shown]
	v_lshrrev_b32_e32 v11, 3, v0
	v_and_b32_e32 v11, 12, v11
	v_add_u32_e32 v11, v14, v11
	s_barrier
	ds_write_b32 v11, v1
	s_waitcnt lgkmcnt(0)
	s_barrier
	s_and_saveexec_b64 s[22:23], s[4:5]
	s_cbranch_execz .LBB869_22
; %bb.21:
	v_lshlrev_b32_e32 v11, 1, v0
	v_lshrrev_b32_e32 v12, 4, v0
	v_add_lshl_u32 v11, v12, v11, 2
	ds_read2_b32 v[12:13], v11 offset1:1
	v_mbcnt_lo_u32_b32 v15, -1, 0
	v_mbcnt_hi_u32_b32 v15, -1, v15
	v_and_b32_e32 v16, 15, v15
	v_cmp_ne_u32_e64 s[4:5], 0, v16
	s_waitcnt lgkmcnt(0)
	v_add_u32_e32 v13, v13, v12
	; wave barrier
	s_nop 1
	v_mov_b32_dpp v17, v13 row_shr:1 row_mask:0xf bank_mask:0xf
	v_cndmask_b32_e64 v17, 0, v17, s[4:5]
	v_add_u32_e32 v13, v17, v13
	v_cmp_lt_u32_e64 s[4:5], 1, v16
	s_nop 0
	v_mov_b32_dpp v17, v13 row_shr:2 row_mask:0xf bank_mask:0xf
	v_cndmask_b32_e64 v17, 0, v17, s[4:5]
	v_add_u32_e32 v13, v13, v17
	v_cmp_lt_u32_e64 s[4:5], 3, v16
	;; [unrolled: 5-line block ×3, first 2 shown]
	s_nop 0
	v_mov_b32_dpp v17, v13 row_shr:8 row_mask:0xf bank_mask:0xf
	v_cndmask_b32_e64 v16, 0, v17, s[4:5]
	v_add_u32_e32 v13, v13, v16
	v_bfe_i32 v17, v15, 4, 1
	v_cmp_lt_u32_e64 s[4:5], 31, v15
	v_mov_b32_dpp v16, v13 row_bcast:15 row_mask:0xf bank_mask:0xf
	v_and_b32_e32 v16, v17, v16
	v_add_u32_e32 v13, v13, v16
	v_and_b32_e32 v17, 64, v15
	s_nop 0
	v_mov_b32_dpp v16, v13 row_bcast:31 row_mask:0xf bank_mask:0xf
	v_cndmask_b32_e64 v16, 0, v16, s[4:5]
	v_add_u32_e32 v13, v13, v16
	v_add_u32_e32 v16, -1, v15
	v_cmp_lt_i32_e64 s[4:5], v16, v17
	v_cndmask_b32_e64 v15, v16, v15, s[4:5]
	v_lshlrev_b32_e32 v15, 2, v15
	ds_bpermute_b32 v13, v15, v13
	v_cmp_eq_u32_e64 s[4:5], 0, v0
	s_waitcnt lgkmcnt(0)
	v_add_u32_e32 v12, v13, v12
	v_cndmask_b32_e64 v1, v12, v1, s[4:5]
	ds_write_b32 v11, v1
	; wave barrier
	ds_read_b32 v12, v11 offset:4
	s_waitcnt lgkmcnt(0)
	v_add_u32_e32 v1, v12, v1
	ds_write_b32 v11, v1 offset:4
.LBB869_22:
	s_or_b64 exec, exec, s[22:23]
	v_mul_u32_u24_e32 v1, 36, v0
	v_cmp_ne_u32_e64 s[4:5], 0, v0
	v_mov_b32_e32 v12, s24
	s_waitcnt lgkmcnt(0)
	s_barrier
	s_and_saveexec_b64 s[22:23], s[4:5]
	s_cbranch_execz .LBB869_24
; %bb.23:
	v_add_u32_e32 v0, -1, v0
	v_lshrrev_b32_e32 v11, 5, v0
	v_add_lshl_u32 v0, v11, v0, 2
	ds_read_b32 v0, v0
	s_waitcnt lgkmcnt(0)
	v_add_u32_e32 v12, s24, v0
.LBB869_24:
	s_or_b64 exec, exec, s[22:23]
	v_add_u32_e32 v13, v12, v6
	v_add_u32_e32 v6, v13, v7
	;; [unrolled: 1-line block ×10, first 2 shown]
	s_barrier
	ds_write2_b64 v0, v[12:13], v[6:7] offset1:1
	ds_write2_b64 v0, v[8:9], v[2:3] offset0:2 offset1:3
	ds_write_b64 v0, v[4:5] offset:32
	s_waitcnt lgkmcnt(0)
	s_barrier
	ds_read2st64_b32 v[8:9], v14 offset0:2 offset1:4
	ds_read2st64_b32 v[6:7], v14 offset0:6 offset1:8
	;; [unrolled: 1-line block ×4, first 2 shown]
	ds_read_b32 v10, v14 offset:4608
	v_mov_b32_e32 v1, s21
	v_add_co_u32_e64 v0, s[4:5], s20, v14
	v_addc_co_u32_e64 v1, s[4:5], 0, v1, s[4:5]
	s_and_saveexec_b64 s[4:5], vcc
	s_cbranch_execnz .LBB869_35
; %bb.25:
	s_or_b64 exec, exec, s[4:5]
	s_and_saveexec_b64 s[4:5], s[0:1]
	s_cbranch_execnz .LBB869_36
.LBB869_26:
	s_or_b64 exec, exec, s[4:5]
	s_and_saveexec_b64 s[0:1], s[2:3]
	s_cbranch_execnz .LBB869_37
.LBB869_27:
	s_or_b64 exec, exec, s[0:1]
	s_and_saveexec_b64 s[0:1], s[18:19]
	s_cbranch_execnz .LBB869_38
.LBB869_28:
	s_or_b64 exec, exec, s[0:1]
	s_and_saveexec_b64 s[0:1], s[6:7]
	s_cbranch_execnz .LBB869_39
.LBB869_29:
	s_or_b64 exec, exec, s[0:1]
	s_and_saveexec_b64 s[0:1], s[8:9]
	s_cbranch_execnz .LBB869_40
.LBB869_30:
	s_or_b64 exec, exec, s[0:1]
	s_and_saveexec_b64 s[0:1], s[10:11]
	s_cbranch_execnz .LBB869_41
.LBB869_31:
	s_or_b64 exec, exec, s[0:1]
	s_and_saveexec_b64 s[0:1], s[12:13]
	s_cbranch_execnz .LBB869_42
.LBB869_32:
	s_or_b64 exec, exec, s[0:1]
	s_and_saveexec_b64 s[0:1], s[14:15]
	s_cbranch_execnz .LBB869_43
.LBB869_33:
	s_or_b64 exec, exec, s[0:1]
	s_and_saveexec_b64 s[0:1], s[16:17]
	s_cbranch_execnz .LBB869_44
.LBB869_34:
	s_endpgm
.LBB869_35:
	ds_read_b32 v11, v14
	s_waitcnt lgkmcnt(0)
	global_store_dword v[0:1], v11, off
	s_or_b64 exec, exec, s[4:5]
	s_and_saveexec_b64 s[4:5], s[0:1]
	s_cbranch_execz .LBB869_26
.LBB869_36:
	s_waitcnt lgkmcnt(4)
	global_store_dword v[0:1], v8, off offset:512
	s_or_b64 exec, exec, s[4:5]
	s_and_saveexec_b64 s[0:1], s[2:3]
	s_cbranch_execz .LBB869_27
.LBB869_37:
	s_waitcnt lgkmcnt(4)
	global_store_dword v[0:1], v9, off offset:1024
	s_or_b64 exec, exec, s[0:1]
	s_and_saveexec_b64 s[0:1], s[18:19]
	s_cbranch_execz .LBB869_28
.LBB869_38:
	s_waitcnt lgkmcnt(3)
	global_store_dword v[0:1], v6, off offset:1536
	s_or_b64 exec, exec, s[0:1]
	s_and_saveexec_b64 s[0:1], s[6:7]
	s_cbranch_execz .LBB869_29
.LBB869_39:
	s_waitcnt lgkmcnt(3)
	global_store_dword v[0:1], v7, off offset:2048
	s_or_b64 exec, exec, s[0:1]
	s_and_saveexec_b64 s[0:1], s[8:9]
	s_cbranch_execz .LBB869_30
.LBB869_40:
	s_waitcnt lgkmcnt(2)
	global_store_dword v[0:1], v4, off offset:2560
	s_or_b64 exec, exec, s[0:1]
	s_and_saveexec_b64 s[0:1], s[10:11]
	s_cbranch_execz .LBB869_31
.LBB869_41:
	s_waitcnt lgkmcnt(2)
	global_store_dword v[0:1], v5, off offset:3072
	s_or_b64 exec, exec, s[0:1]
	s_and_saveexec_b64 s[0:1], s[12:13]
	s_cbranch_execz .LBB869_32
.LBB869_42:
	s_waitcnt lgkmcnt(1)
	global_store_dword v[0:1], v2, off offset:3584
	s_or_b64 exec, exec, s[0:1]
	s_and_saveexec_b64 s[0:1], s[14:15]
	s_cbranch_execz .LBB869_33
.LBB869_43:
	s_waitcnt lgkmcnt(2)
	v_add_co_u32_e32 v4, vcc, 0x1000, v0
	v_addc_co_u32_e32 v5, vcc, 0, v1, vcc
	s_waitcnt lgkmcnt(1)
	global_store_dword v[4:5], v3, off
	s_or_b64 exec, exec, s[0:1]
	s_and_saveexec_b64 s[0:1], s[16:17]
	s_cbranch_execz .LBB869_34
.LBB869_44:
	v_add_co_u32_e32 v0, vcc, 0x1000, v0
	v_addc_co_u32_e32 v1, vcc, 0, v1, vcc
	s_waitcnt lgkmcnt(0)
	global_store_dword v[0:1], v10, off offset:512
	s_endpgm
	.section	.rodata,"a",@progbits
	.p2align	6, 0x0
	.amdhsa_kernel _ZN7rocprim17ROCPRIM_400000_NS6detail17trampoline_kernelINS0_14default_configENS1_20scan_config_selectorIiEEZZNS1_9scan_implILNS1_25lookback_scan_determinismE0ELb1ELb1ES3_N6thrust23THRUST_200600_302600_NS6detail15normal_iteratorINS9_10device_ptrIiEEEESE_iNS9_4plusIvEEiEEDaPvRmT3_T4_T5_mT6_P12ihipStream_tbENKUlT_T0_E_clISt17integral_constantIbLb0EEST_IbLb1EEEEDaSP_SQ_EUlSP_E0_NS1_11comp_targetILNS1_3genE4ELNS1_11target_archE910ELNS1_3gpuE8ELNS1_3repE0EEENS1_30default_config_static_selectorELNS0_4arch9wavefront6targetE1EEEvT1_
		.amdhsa_group_segment_fixed_size 5120
		.amdhsa_private_segment_fixed_size 0
		.amdhsa_kernarg_size 32
		.amdhsa_user_sgpr_count 6
		.amdhsa_user_sgpr_private_segment_buffer 1
		.amdhsa_user_sgpr_dispatch_ptr 0
		.amdhsa_user_sgpr_queue_ptr 0
		.amdhsa_user_sgpr_kernarg_segment_ptr 1
		.amdhsa_user_sgpr_dispatch_id 0
		.amdhsa_user_sgpr_flat_scratch_init 0
		.amdhsa_user_sgpr_kernarg_preload_length 0
		.amdhsa_user_sgpr_kernarg_preload_offset 0
		.amdhsa_user_sgpr_private_segment_size 0
		.amdhsa_uses_dynamic_stack 0
		.amdhsa_system_sgpr_private_segment_wavefront_offset 0
		.amdhsa_system_sgpr_workgroup_id_x 1
		.amdhsa_system_sgpr_workgroup_id_y 0
		.amdhsa_system_sgpr_workgroup_id_z 0
		.amdhsa_system_sgpr_workgroup_info 0
		.amdhsa_system_vgpr_workitem_id 0
		.amdhsa_next_free_vgpr 18
		.amdhsa_next_free_sgpr 25
		.amdhsa_accum_offset 20
		.amdhsa_reserve_vcc 1
		.amdhsa_reserve_flat_scratch 0
		.amdhsa_float_round_mode_32 0
		.amdhsa_float_round_mode_16_64 0
		.amdhsa_float_denorm_mode_32 3
		.amdhsa_float_denorm_mode_16_64 3
		.amdhsa_dx10_clamp 1
		.amdhsa_ieee_mode 1
		.amdhsa_fp16_overflow 0
		.amdhsa_tg_split 0
		.amdhsa_exception_fp_ieee_invalid_op 0
		.amdhsa_exception_fp_denorm_src 0
		.amdhsa_exception_fp_ieee_div_zero 0
		.amdhsa_exception_fp_ieee_overflow 0
		.amdhsa_exception_fp_ieee_underflow 0
		.amdhsa_exception_fp_ieee_inexact 0
		.amdhsa_exception_int_div_zero 0
	.end_amdhsa_kernel
	.section	.text._ZN7rocprim17ROCPRIM_400000_NS6detail17trampoline_kernelINS0_14default_configENS1_20scan_config_selectorIiEEZZNS1_9scan_implILNS1_25lookback_scan_determinismE0ELb1ELb1ES3_N6thrust23THRUST_200600_302600_NS6detail15normal_iteratorINS9_10device_ptrIiEEEESE_iNS9_4plusIvEEiEEDaPvRmT3_T4_T5_mT6_P12ihipStream_tbENKUlT_T0_E_clISt17integral_constantIbLb0EEST_IbLb1EEEEDaSP_SQ_EUlSP_E0_NS1_11comp_targetILNS1_3genE4ELNS1_11target_archE910ELNS1_3gpuE8ELNS1_3repE0EEENS1_30default_config_static_selectorELNS0_4arch9wavefront6targetE1EEEvT1_,"axG",@progbits,_ZN7rocprim17ROCPRIM_400000_NS6detail17trampoline_kernelINS0_14default_configENS1_20scan_config_selectorIiEEZZNS1_9scan_implILNS1_25lookback_scan_determinismE0ELb1ELb1ES3_N6thrust23THRUST_200600_302600_NS6detail15normal_iteratorINS9_10device_ptrIiEEEESE_iNS9_4plusIvEEiEEDaPvRmT3_T4_T5_mT6_P12ihipStream_tbENKUlT_T0_E_clISt17integral_constantIbLb0EEST_IbLb1EEEEDaSP_SQ_EUlSP_E0_NS1_11comp_targetILNS1_3genE4ELNS1_11target_archE910ELNS1_3gpuE8ELNS1_3repE0EEENS1_30default_config_static_selectorELNS0_4arch9wavefront6targetE1EEEvT1_,comdat
.Lfunc_end869:
	.size	_ZN7rocprim17ROCPRIM_400000_NS6detail17trampoline_kernelINS0_14default_configENS1_20scan_config_selectorIiEEZZNS1_9scan_implILNS1_25lookback_scan_determinismE0ELb1ELb1ES3_N6thrust23THRUST_200600_302600_NS6detail15normal_iteratorINS9_10device_ptrIiEEEESE_iNS9_4plusIvEEiEEDaPvRmT3_T4_T5_mT6_P12ihipStream_tbENKUlT_T0_E_clISt17integral_constantIbLb0EEST_IbLb1EEEEDaSP_SQ_EUlSP_E0_NS1_11comp_targetILNS1_3genE4ELNS1_11target_archE910ELNS1_3gpuE8ELNS1_3repE0EEENS1_30default_config_static_selectorELNS0_4arch9wavefront6targetE1EEEvT1_, .Lfunc_end869-_ZN7rocprim17ROCPRIM_400000_NS6detail17trampoline_kernelINS0_14default_configENS1_20scan_config_selectorIiEEZZNS1_9scan_implILNS1_25lookback_scan_determinismE0ELb1ELb1ES3_N6thrust23THRUST_200600_302600_NS6detail15normal_iteratorINS9_10device_ptrIiEEEESE_iNS9_4plusIvEEiEEDaPvRmT3_T4_T5_mT6_P12ihipStream_tbENKUlT_T0_E_clISt17integral_constantIbLb0EEST_IbLb1EEEEDaSP_SQ_EUlSP_E0_NS1_11comp_targetILNS1_3genE4ELNS1_11target_archE910ELNS1_3gpuE8ELNS1_3repE0EEENS1_30default_config_static_selectorELNS0_4arch9wavefront6targetE1EEEvT1_
                                        ; -- End function
	.section	.AMDGPU.csdata,"",@progbits
; Kernel info:
; codeLenInByte = 1536
; NumSgprs: 29
; NumVgprs: 18
; NumAgprs: 0
; TotalNumVgprs: 18
; ScratchSize: 0
; MemoryBound: 0
; FloatMode: 240
; IeeeMode: 1
; LDSByteSize: 5120 bytes/workgroup (compile time only)
; SGPRBlocks: 3
; VGPRBlocks: 2
; NumSGPRsForWavesPerEU: 29
; NumVGPRsForWavesPerEU: 18
; AccumOffset: 20
; Occupancy: 6
; WaveLimiterHint : 0
; COMPUTE_PGM_RSRC2:SCRATCH_EN: 0
; COMPUTE_PGM_RSRC2:USER_SGPR: 6
; COMPUTE_PGM_RSRC2:TRAP_HANDLER: 0
; COMPUTE_PGM_RSRC2:TGID_X_EN: 1
; COMPUTE_PGM_RSRC2:TGID_Y_EN: 0
; COMPUTE_PGM_RSRC2:TGID_Z_EN: 0
; COMPUTE_PGM_RSRC2:TIDIG_COMP_CNT: 0
; COMPUTE_PGM_RSRC3_GFX90A:ACCUM_OFFSET: 4
; COMPUTE_PGM_RSRC3_GFX90A:TG_SPLIT: 0
	.section	.text._ZN7rocprim17ROCPRIM_400000_NS6detail17trampoline_kernelINS0_14default_configENS1_20scan_config_selectorIiEEZZNS1_9scan_implILNS1_25lookback_scan_determinismE0ELb1ELb1ES3_N6thrust23THRUST_200600_302600_NS6detail15normal_iteratorINS9_10device_ptrIiEEEESE_iNS9_4plusIvEEiEEDaPvRmT3_T4_T5_mT6_P12ihipStream_tbENKUlT_T0_E_clISt17integral_constantIbLb0EEST_IbLb1EEEEDaSP_SQ_EUlSP_E0_NS1_11comp_targetILNS1_3genE3ELNS1_11target_archE908ELNS1_3gpuE7ELNS1_3repE0EEENS1_30default_config_static_selectorELNS0_4arch9wavefront6targetE1EEEvT1_,"axG",@progbits,_ZN7rocprim17ROCPRIM_400000_NS6detail17trampoline_kernelINS0_14default_configENS1_20scan_config_selectorIiEEZZNS1_9scan_implILNS1_25lookback_scan_determinismE0ELb1ELb1ES3_N6thrust23THRUST_200600_302600_NS6detail15normal_iteratorINS9_10device_ptrIiEEEESE_iNS9_4plusIvEEiEEDaPvRmT3_T4_T5_mT6_P12ihipStream_tbENKUlT_T0_E_clISt17integral_constantIbLb0EEST_IbLb1EEEEDaSP_SQ_EUlSP_E0_NS1_11comp_targetILNS1_3genE3ELNS1_11target_archE908ELNS1_3gpuE7ELNS1_3repE0EEENS1_30default_config_static_selectorELNS0_4arch9wavefront6targetE1EEEvT1_,comdat
	.protected	_ZN7rocprim17ROCPRIM_400000_NS6detail17trampoline_kernelINS0_14default_configENS1_20scan_config_selectorIiEEZZNS1_9scan_implILNS1_25lookback_scan_determinismE0ELb1ELb1ES3_N6thrust23THRUST_200600_302600_NS6detail15normal_iteratorINS9_10device_ptrIiEEEESE_iNS9_4plusIvEEiEEDaPvRmT3_T4_T5_mT6_P12ihipStream_tbENKUlT_T0_E_clISt17integral_constantIbLb0EEST_IbLb1EEEEDaSP_SQ_EUlSP_E0_NS1_11comp_targetILNS1_3genE3ELNS1_11target_archE908ELNS1_3gpuE7ELNS1_3repE0EEENS1_30default_config_static_selectorELNS0_4arch9wavefront6targetE1EEEvT1_ ; -- Begin function _ZN7rocprim17ROCPRIM_400000_NS6detail17trampoline_kernelINS0_14default_configENS1_20scan_config_selectorIiEEZZNS1_9scan_implILNS1_25lookback_scan_determinismE0ELb1ELb1ES3_N6thrust23THRUST_200600_302600_NS6detail15normal_iteratorINS9_10device_ptrIiEEEESE_iNS9_4plusIvEEiEEDaPvRmT3_T4_T5_mT6_P12ihipStream_tbENKUlT_T0_E_clISt17integral_constantIbLb0EEST_IbLb1EEEEDaSP_SQ_EUlSP_E0_NS1_11comp_targetILNS1_3genE3ELNS1_11target_archE908ELNS1_3gpuE7ELNS1_3repE0EEENS1_30default_config_static_selectorELNS0_4arch9wavefront6targetE1EEEvT1_
	.globl	_ZN7rocprim17ROCPRIM_400000_NS6detail17trampoline_kernelINS0_14default_configENS1_20scan_config_selectorIiEEZZNS1_9scan_implILNS1_25lookback_scan_determinismE0ELb1ELb1ES3_N6thrust23THRUST_200600_302600_NS6detail15normal_iteratorINS9_10device_ptrIiEEEESE_iNS9_4plusIvEEiEEDaPvRmT3_T4_T5_mT6_P12ihipStream_tbENKUlT_T0_E_clISt17integral_constantIbLb0EEST_IbLb1EEEEDaSP_SQ_EUlSP_E0_NS1_11comp_targetILNS1_3genE3ELNS1_11target_archE908ELNS1_3gpuE7ELNS1_3repE0EEENS1_30default_config_static_selectorELNS0_4arch9wavefront6targetE1EEEvT1_
	.p2align	8
	.type	_ZN7rocprim17ROCPRIM_400000_NS6detail17trampoline_kernelINS0_14default_configENS1_20scan_config_selectorIiEEZZNS1_9scan_implILNS1_25lookback_scan_determinismE0ELb1ELb1ES3_N6thrust23THRUST_200600_302600_NS6detail15normal_iteratorINS9_10device_ptrIiEEEESE_iNS9_4plusIvEEiEEDaPvRmT3_T4_T5_mT6_P12ihipStream_tbENKUlT_T0_E_clISt17integral_constantIbLb0EEST_IbLb1EEEEDaSP_SQ_EUlSP_E0_NS1_11comp_targetILNS1_3genE3ELNS1_11target_archE908ELNS1_3gpuE7ELNS1_3repE0EEENS1_30default_config_static_selectorELNS0_4arch9wavefront6targetE1EEEvT1_,@function
_ZN7rocprim17ROCPRIM_400000_NS6detail17trampoline_kernelINS0_14default_configENS1_20scan_config_selectorIiEEZZNS1_9scan_implILNS1_25lookback_scan_determinismE0ELb1ELb1ES3_N6thrust23THRUST_200600_302600_NS6detail15normal_iteratorINS9_10device_ptrIiEEEESE_iNS9_4plusIvEEiEEDaPvRmT3_T4_T5_mT6_P12ihipStream_tbENKUlT_T0_E_clISt17integral_constantIbLb0EEST_IbLb1EEEEDaSP_SQ_EUlSP_E0_NS1_11comp_targetILNS1_3genE3ELNS1_11target_archE908ELNS1_3gpuE7ELNS1_3repE0EEENS1_30default_config_static_selectorELNS0_4arch9wavefront6targetE1EEEvT1_: ; @_ZN7rocprim17ROCPRIM_400000_NS6detail17trampoline_kernelINS0_14default_configENS1_20scan_config_selectorIiEEZZNS1_9scan_implILNS1_25lookback_scan_determinismE0ELb1ELb1ES3_N6thrust23THRUST_200600_302600_NS6detail15normal_iteratorINS9_10device_ptrIiEEEESE_iNS9_4plusIvEEiEEDaPvRmT3_T4_T5_mT6_P12ihipStream_tbENKUlT_T0_E_clISt17integral_constantIbLb0EEST_IbLb1EEEEDaSP_SQ_EUlSP_E0_NS1_11comp_targetILNS1_3genE3ELNS1_11target_archE908ELNS1_3gpuE7ELNS1_3repE0EEENS1_30default_config_static_selectorELNS0_4arch9wavefront6targetE1EEEvT1_
; %bb.0:
	.section	.rodata,"a",@progbits
	.p2align	6, 0x0
	.amdhsa_kernel _ZN7rocprim17ROCPRIM_400000_NS6detail17trampoline_kernelINS0_14default_configENS1_20scan_config_selectorIiEEZZNS1_9scan_implILNS1_25lookback_scan_determinismE0ELb1ELb1ES3_N6thrust23THRUST_200600_302600_NS6detail15normal_iteratorINS9_10device_ptrIiEEEESE_iNS9_4plusIvEEiEEDaPvRmT3_T4_T5_mT6_P12ihipStream_tbENKUlT_T0_E_clISt17integral_constantIbLb0EEST_IbLb1EEEEDaSP_SQ_EUlSP_E0_NS1_11comp_targetILNS1_3genE3ELNS1_11target_archE908ELNS1_3gpuE7ELNS1_3repE0EEENS1_30default_config_static_selectorELNS0_4arch9wavefront6targetE1EEEvT1_
		.amdhsa_group_segment_fixed_size 0
		.amdhsa_private_segment_fixed_size 0
		.amdhsa_kernarg_size 32
		.amdhsa_user_sgpr_count 6
		.amdhsa_user_sgpr_private_segment_buffer 1
		.amdhsa_user_sgpr_dispatch_ptr 0
		.amdhsa_user_sgpr_queue_ptr 0
		.amdhsa_user_sgpr_kernarg_segment_ptr 1
		.amdhsa_user_sgpr_dispatch_id 0
		.amdhsa_user_sgpr_flat_scratch_init 0
		.amdhsa_user_sgpr_kernarg_preload_length 0
		.amdhsa_user_sgpr_kernarg_preload_offset 0
		.amdhsa_user_sgpr_private_segment_size 0
		.amdhsa_uses_dynamic_stack 0
		.amdhsa_system_sgpr_private_segment_wavefront_offset 0
		.amdhsa_system_sgpr_workgroup_id_x 1
		.amdhsa_system_sgpr_workgroup_id_y 0
		.amdhsa_system_sgpr_workgroup_id_z 0
		.amdhsa_system_sgpr_workgroup_info 0
		.amdhsa_system_vgpr_workitem_id 0
		.amdhsa_next_free_vgpr 1
		.amdhsa_next_free_sgpr 0
		.amdhsa_accum_offset 4
		.amdhsa_reserve_vcc 0
		.amdhsa_reserve_flat_scratch 0
		.amdhsa_float_round_mode_32 0
		.amdhsa_float_round_mode_16_64 0
		.amdhsa_float_denorm_mode_32 3
		.amdhsa_float_denorm_mode_16_64 3
		.amdhsa_dx10_clamp 1
		.amdhsa_ieee_mode 1
		.amdhsa_fp16_overflow 0
		.amdhsa_tg_split 0
		.amdhsa_exception_fp_ieee_invalid_op 0
		.amdhsa_exception_fp_denorm_src 0
		.amdhsa_exception_fp_ieee_div_zero 0
		.amdhsa_exception_fp_ieee_overflow 0
		.amdhsa_exception_fp_ieee_underflow 0
		.amdhsa_exception_fp_ieee_inexact 0
		.amdhsa_exception_int_div_zero 0
	.end_amdhsa_kernel
	.section	.text._ZN7rocprim17ROCPRIM_400000_NS6detail17trampoline_kernelINS0_14default_configENS1_20scan_config_selectorIiEEZZNS1_9scan_implILNS1_25lookback_scan_determinismE0ELb1ELb1ES3_N6thrust23THRUST_200600_302600_NS6detail15normal_iteratorINS9_10device_ptrIiEEEESE_iNS9_4plusIvEEiEEDaPvRmT3_T4_T5_mT6_P12ihipStream_tbENKUlT_T0_E_clISt17integral_constantIbLb0EEST_IbLb1EEEEDaSP_SQ_EUlSP_E0_NS1_11comp_targetILNS1_3genE3ELNS1_11target_archE908ELNS1_3gpuE7ELNS1_3repE0EEENS1_30default_config_static_selectorELNS0_4arch9wavefront6targetE1EEEvT1_,"axG",@progbits,_ZN7rocprim17ROCPRIM_400000_NS6detail17trampoline_kernelINS0_14default_configENS1_20scan_config_selectorIiEEZZNS1_9scan_implILNS1_25lookback_scan_determinismE0ELb1ELb1ES3_N6thrust23THRUST_200600_302600_NS6detail15normal_iteratorINS9_10device_ptrIiEEEESE_iNS9_4plusIvEEiEEDaPvRmT3_T4_T5_mT6_P12ihipStream_tbENKUlT_T0_E_clISt17integral_constantIbLb0EEST_IbLb1EEEEDaSP_SQ_EUlSP_E0_NS1_11comp_targetILNS1_3genE3ELNS1_11target_archE908ELNS1_3gpuE7ELNS1_3repE0EEENS1_30default_config_static_selectorELNS0_4arch9wavefront6targetE1EEEvT1_,comdat
.Lfunc_end870:
	.size	_ZN7rocprim17ROCPRIM_400000_NS6detail17trampoline_kernelINS0_14default_configENS1_20scan_config_selectorIiEEZZNS1_9scan_implILNS1_25lookback_scan_determinismE0ELb1ELb1ES3_N6thrust23THRUST_200600_302600_NS6detail15normal_iteratorINS9_10device_ptrIiEEEESE_iNS9_4plusIvEEiEEDaPvRmT3_T4_T5_mT6_P12ihipStream_tbENKUlT_T0_E_clISt17integral_constantIbLb0EEST_IbLb1EEEEDaSP_SQ_EUlSP_E0_NS1_11comp_targetILNS1_3genE3ELNS1_11target_archE908ELNS1_3gpuE7ELNS1_3repE0EEENS1_30default_config_static_selectorELNS0_4arch9wavefront6targetE1EEEvT1_, .Lfunc_end870-_ZN7rocprim17ROCPRIM_400000_NS6detail17trampoline_kernelINS0_14default_configENS1_20scan_config_selectorIiEEZZNS1_9scan_implILNS1_25lookback_scan_determinismE0ELb1ELb1ES3_N6thrust23THRUST_200600_302600_NS6detail15normal_iteratorINS9_10device_ptrIiEEEESE_iNS9_4plusIvEEiEEDaPvRmT3_T4_T5_mT6_P12ihipStream_tbENKUlT_T0_E_clISt17integral_constantIbLb0EEST_IbLb1EEEEDaSP_SQ_EUlSP_E0_NS1_11comp_targetILNS1_3genE3ELNS1_11target_archE908ELNS1_3gpuE7ELNS1_3repE0EEENS1_30default_config_static_selectorELNS0_4arch9wavefront6targetE1EEEvT1_
                                        ; -- End function
	.section	.AMDGPU.csdata,"",@progbits
; Kernel info:
; codeLenInByte = 0
; NumSgprs: 4
; NumVgprs: 0
; NumAgprs: 0
; TotalNumVgprs: 0
; ScratchSize: 0
; MemoryBound: 0
; FloatMode: 240
; IeeeMode: 1
; LDSByteSize: 0 bytes/workgroup (compile time only)
; SGPRBlocks: 0
; VGPRBlocks: 0
; NumSGPRsForWavesPerEU: 4
; NumVGPRsForWavesPerEU: 1
; AccumOffset: 4
; Occupancy: 8
; WaveLimiterHint : 0
; COMPUTE_PGM_RSRC2:SCRATCH_EN: 0
; COMPUTE_PGM_RSRC2:USER_SGPR: 6
; COMPUTE_PGM_RSRC2:TRAP_HANDLER: 0
; COMPUTE_PGM_RSRC2:TGID_X_EN: 1
; COMPUTE_PGM_RSRC2:TGID_Y_EN: 0
; COMPUTE_PGM_RSRC2:TGID_Z_EN: 0
; COMPUTE_PGM_RSRC2:TIDIG_COMP_CNT: 0
; COMPUTE_PGM_RSRC3_GFX90A:ACCUM_OFFSET: 0
; COMPUTE_PGM_RSRC3_GFX90A:TG_SPLIT: 0
	.section	.text._ZN7rocprim17ROCPRIM_400000_NS6detail17trampoline_kernelINS0_14default_configENS1_20scan_config_selectorIiEEZZNS1_9scan_implILNS1_25lookback_scan_determinismE0ELb1ELb1ES3_N6thrust23THRUST_200600_302600_NS6detail15normal_iteratorINS9_10device_ptrIiEEEESE_iNS9_4plusIvEEiEEDaPvRmT3_T4_T5_mT6_P12ihipStream_tbENKUlT_T0_E_clISt17integral_constantIbLb0EEST_IbLb1EEEEDaSP_SQ_EUlSP_E0_NS1_11comp_targetILNS1_3genE2ELNS1_11target_archE906ELNS1_3gpuE6ELNS1_3repE0EEENS1_30default_config_static_selectorELNS0_4arch9wavefront6targetE1EEEvT1_,"axG",@progbits,_ZN7rocprim17ROCPRIM_400000_NS6detail17trampoline_kernelINS0_14default_configENS1_20scan_config_selectorIiEEZZNS1_9scan_implILNS1_25lookback_scan_determinismE0ELb1ELb1ES3_N6thrust23THRUST_200600_302600_NS6detail15normal_iteratorINS9_10device_ptrIiEEEESE_iNS9_4plusIvEEiEEDaPvRmT3_T4_T5_mT6_P12ihipStream_tbENKUlT_T0_E_clISt17integral_constantIbLb0EEST_IbLb1EEEEDaSP_SQ_EUlSP_E0_NS1_11comp_targetILNS1_3genE2ELNS1_11target_archE906ELNS1_3gpuE6ELNS1_3repE0EEENS1_30default_config_static_selectorELNS0_4arch9wavefront6targetE1EEEvT1_,comdat
	.protected	_ZN7rocprim17ROCPRIM_400000_NS6detail17trampoline_kernelINS0_14default_configENS1_20scan_config_selectorIiEEZZNS1_9scan_implILNS1_25lookback_scan_determinismE0ELb1ELb1ES3_N6thrust23THRUST_200600_302600_NS6detail15normal_iteratorINS9_10device_ptrIiEEEESE_iNS9_4plusIvEEiEEDaPvRmT3_T4_T5_mT6_P12ihipStream_tbENKUlT_T0_E_clISt17integral_constantIbLb0EEST_IbLb1EEEEDaSP_SQ_EUlSP_E0_NS1_11comp_targetILNS1_3genE2ELNS1_11target_archE906ELNS1_3gpuE6ELNS1_3repE0EEENS1_30default_config_static_selectorELNS0_4arch9wavefront6targetE1EEEvT1_ ; -- Begin function _ZN7rocprim17ROCPRIM_400000_NS6detail17trampoline_kernelINS0_14default_configENS1_20scan_config_selectorIiEEZZNS1_9scan_implILNS1_25lookback_scan_determinismE0ELb1ELb1ES3_N6thrust23THRUST_200600_302600_NS6detail15normal_iteratorINS9_10device_ptrIiEEEESE_iNS9_4plusIvEEiEEDaPvRmT3_T4_T5_mT6_P12ihipStream_tbENKUlT_T0_E_clISt17integral_constantIbLb0EEST_IbLb1EEEEDaSP_SQ_EUlSP_E0_NS1_11comp_targetILNS1_3genE2ELNS1_11target_archE906ELNS1_3gpuE6ELNS1_3repE0EEENS1_30default_config_static_selectorELNS0_4arch9wavefront6targetE1EEEvT1_
	.globl	_ZN7rocprim17ROCPRIM_400000_NS6detail17trampoline_kernelINS0_14default_configENS1_20scan_config_selectorIiEEZZNS1_9scan_implILNS1_25lookback_scan_determinismE0ELb1ELb1ES3_N6thrust23THRUST_200600_302600_NS6detail15normal_iteratorINS9_10device_ptrIiEEEESE_iNS9_4plusIvEEiEEDaPvRmT3_T4_T5_mT6_P12ihipStream_tbENKUlT_T0_E_clISt17integral_constantIbLb0EEST_IbLb1EEEEDaSP_SQ_EUlSP_E0_NS1_11comp_targetILNS1_3genE2ELNS1_11target_archE906ELNS1_3gpuE6ELNS1_3repE0EEENS1_30default_config_static_selectorELNS0_4arch9wavefront6targetE1EEEvT1_
	.p2align	8
	.type	_ZN7rocprim17ROCPRIM_400000_NS6detail17trampoline_kernelINS0_14default_configENS1_20scan_config_selectorIiEEZZNS1_9scan_implILNS1_25lookback_scan_determinismE0ELb1ELb1ES3_N6thrust23THRUST_200600_302600_NS6detail15normal_iteratorINS9_10device_ptrIiEEEESE_iNS9_4plusIvEEiEEDaPvRmT3_T4_T5_mT6_P12ihipStream_tbENKUlT_T0_E_clISt17integral_constantIbLb0EEST_IbLb1EEEEDaSP_SQ_EUlSP_E0_NS1_11comp_targetILNS1_3genE2ELNS1_11target_archE906ELNS1_3gpuE6ELNS1_3repE0EEENS1_30default_config_static_selectorELNS0_4arch9wavefront6targetE1EEEvT1_,@function
_ZN7rocprim17ROCPRIM_400000_NS6detail17trampoline_kernelINS0_14default_configENS1_20scan_config_selectorIiEEZZNS1_9scan_implILNS1_25lookback_scan_determinismE0ELb1ELb1ES3_N6thrust23THRUST_200600_302600_NS6detail15normal_iteratorINS9_10device_ptrIiEEEESE_iNS9_4plusIvEEiEEDaPvRmT3_T4_T5_mT6_P12ihipStream_tbENKUlT_T0_E_clISt17integral_constantIbLb0EEST_IbLb1EEEEDaSP_SQ_EUlSP_E0_NS1_11comp_targetILNS1_3genE2ELNS1_11target_archE906ELNS1_3gpuE6ELNS1_3repE0EEENS1_30default_config_static_selectorELNS0_4arch9wavefront6targetE1EEEvT1_: ; @_ZN7rocprim17ROCPRIM_400000_NS6detail17trampoline_kernelINS0_14default_configENS1_20scan_config_selectorIiEEZZNS1_9scan_implILNS1_25lookback_scan_determinismE0ELb1ELb1ES3_N6thrust23THRUST_200600_302600_NS6detail15normal_iteratorINS9_10device_ptrIiEEEESE_iNS9_4plusIvEEiEEDaPvRmT3_T4_T5_mT6_P12ihipStream_tbENKUlT_T0_E_clISt17integral_constantIbLb0EEST_IbLb1EEEEDaSP_SQ_EUlSP_E0_NS1_11comp_targetILNS1_3genE2ELNS1_11target_archE906ELNS1_3gpuE6ELNS1_3repE0EEENS1_30default_config_static_selectorELNS0_4arch9wavefront6targetE1EEEvT1_
; %bb.0:
	.section	.rodata,"a",@progbits
	.p2align	6, 0x0
	.amdhsa_kernel _ZN7rocprim17ROCPRIM_400000_NS6detail17trampoline_kernelINS0_14default_configENS1_20scan_config_selectorIiEEZZNS1_9scan_implILNS1_25lookback_scan_determinismE0ELb1ELb1ES3_N6thrust23THRUST_200600_302600_NS6detail15normal_iteratorINS9_10device_ptrIiEEEESE_iNS9_4plusIvEEiEEDaPvRmT3_T4_T5_mT6_P12ihipStream_tbENKUlT_T0_E_clISt17integral_constantIbLb0EEST_IbLb1EEEEDaSP_SQ_EUlSP_E0_NS1_11comp_targetILNS1_3genE2ELNS1_11target_archE906ELNS1_3gpuE6ELNS1_3repE0EEENS1_30default_config_static_selectorELNS0_4arch9wavefront6targetE1EEEvT1_
		.amdhsa_group_segment_fixed_size 0
		.amdhsa_private_segment_fixed_size 0
		.amdhsa_kernarg_size 32
		.amdhsa_user_sgpr_count 6
		.amdhsa_user_sgpr_private_segment_buffer 1
		.amdhsa_user_sgpr_dispatch_ptr 0
		.amdhsa_user_sgpr_queue_ptr 0
		.amdhsa_user_sgpr_kernarg_segment_ptr 1
		.amdhsa_user_sgpr_dispatch_id 0
		.amdhsa_user_sgpr_flat_scratch_init 0
		.amdhsa_user_sgpr_kernarg_preload_length 0
		.amdhsa_user_sgpr_kernarg_preload_offset 0
		.amdhsa_user_sgpr_private_segment_size 0
		.amdhsa_uses_dynamic_stack 0
		.amdhsa_system_sgpr_private_segment_wavefront_offset 0
		.amdhsa_system_sgpr_workgroup_id_x 1
		.amdhsa_system_sgpr_workgroup_id_y 0
		.amdhsa_system_sgpr_workgroup_id_z 0
		.amdhsa_system_sgpr_workgroup_info 0
		.amdhsa_system_vgpr_workitem_id 0
		.amdhsa_next_free_vgpr 1
		.amdhsa_next_free_sgpr 0
		.amdhsa_accum_offset 4
		.amdhsa_reserve_vcc 0
		.amdhsa_reserve_flat_scratch 0
		.amdhsa_float_round_mode_32 0
		.amdhsa_float_round_mode_16_64 0
		.amdhsa_float_denorm_mode_32 3
		.amdhsa_float_denorm_mode_16_64 3
		.amdhsa_dx10_clamp 1
		.amdhsa_ieee_mode 1
		.amdhsa_fp16_overflow 0
		.amdhsa_tg_split 0
		.amdhsa_exception_fp_ieee_invalid_op 0
		.amdhsa_exception_fp_denorm_src 0
		.amdhsa_exception_fp_ieee_div_zero 0
		.amdhsa_exception_fp_ieee_overflow 0
		.amdhsa_exception_fp_ieee_underflow 0
		.amdhsa_exception_fp_ieee_inexact 0
		.amdhsa_exception_int_div_zero 0
	.end_amdhsa_kernel
	.section	.text._ZN7rocprim17ROCPRIM_400000_NS6detail17trampoline_kernelINS0_14default_configENS1_20scan_config_selectorIiEEZZNS1_9scan_implILNS1_25lookback_scan_determinismE0ELb1ELb1ES3_N6thrust23THRUST_200600_302600_NS6detail15normal_iteratorINS9_10device_ptrIiEEEESE_iNS9_4plusIvEEiEEDaPvRmT3_T4_T5_mT6_P12ihipStream_tbENKUlT_T0_E_clISt17integral_constantIbLb0EEST_IbLb1EEEEDaSP_SQ_EUlSP_E0_NS1_11comp_targetILNS1_3genE2ELNS1_11target_archE906ELNS1_3gpuE6ELNS1_3repE0EEENS1_30default_config_static_selectorELNS0_4arch9wavefront6targetE1EEEvT1_,"axG",@progbits,_ZN7rocprim17ROCPRIM_400000_NS6detail17trampoline_kernelINS0_14default_configENS1_20scan_config_selectorIiEEZZNS1_9scan_implILNS1_25lookback_scan_determinismE0ELb1ELb1ES3_N6thrust23THRUST_200600_302600_NS6detail15normal_iteratorINS9_10device_ptrIiEEEESE_iNS9_4plusIvEEiEEDaPvRmT3_T4_T5_mT6_P12ihipStream_tbENKUlT_T0_E_clISt17integral_constantIbLb0EEST_IbLb1EEEEDaSP_SQ_EUlSP_E0_NS1_11comp_targetILNS1_3genE2ELNS1_11target_archE906ELNS1_3gpuE6ELNS1_3repE0EEENS1_30default_config_static_selectorELNS0_4arch9wavefront6targetE1EEEvT1_,comdat
.Lfunc_end871:
	.size	_ZN7rocprim17ROCPRIM_400000_NS6detail17trampoline_kernelINS0_14default_configENS1_20scan_config_selectorIiEEZZNS1_9scan_implILNS1_25lookback_scan_determinismE0ELb1ELb1ES3_N6thrust23THRUST_200600_302600_NS6detail15normal_iteratorINS9_10device_ptrIiEEEESE_iNS9_4plusIvEEiEEDaPvRmT3_T4_T5_mT6_P12ihipStream_tbENKUlT_T0_E_clISt17integral_constantIbLb0EEST_IbLb1EEEEDaSP_SQ_EUlSP_E0_NS1_11comp_targetILNS1_3genE2ELNS1_11target_archE906ELNS1_3gpuE6ELNS1_3repE0EEENS1_30default_config_static_selectorELNS0_4arch9wavefront6targetE1EEEvT1_, .Lfunc_end871-_ZN7rocprim17ROCPRIM_400000_NS6detail17trampoline_kernelINS0_14default_configENS1_20scan_config_selectorIiEEZZNS1_9scan_implILNS1_25lookback_scan_determinismE0ELb1ELb1ES3_N6thrust23THRUST_200600_302600_NS6detail15normal_iteratorINS9_10device_ptrIiEEEESE_iNS9_4plusIvEEiEEDaPvRmT3_T4_T5_mT6_P12ihipStream_tbENKUlT_T0_E_clISt17integral_constantIbLb0EEST_IbLb1EEEEDaSP_SQ_EUlSP_E0_NS1_11comp_targetILNS1_3genE2ELNS1_11target_archE906ELNS1_3gpuE6ELNS1_3repE0EEENS1_30default_config_static_selectorELNS0_4arch9wavefront6targetE1EEEvT1_
                                        ; -- End function
	.section	.AMDGPU.csdata,"",@progbits
; Kernel info:
; codeLenInByte = 0
; NumSgprs: 4
; NumVgprs: 0
; NumAgprs: 0
; TotalNumVgprs: 0
; ScratchSize: 0
; MemoryBound: 0
; FloatMode: 240
; IeeeMode: 1
; LDSByteSize: 0 bytes/workgroup (compile time only)
; SGPRBlocks: 0
; VGPRBlocks: 0
; NumSGPRsForWavesPerEU: 4
; NumVGPRsForWavesPerEU: 1
; AccumOffset: 4
; Occupancy: 8
; WaveLimiterHint : 0
; COMPUTE_PGM_RSRC2:SCRATCH_EN: 0
; COMPUTE_PGM_RSRC2:USER_SGPR: 6
; COMPUTE_PGM_RSRC2:TRAP_HANDLER: 0
; COMPUTE_PGM_RSRC2:TGID_X_EN: 1
; COMPUTE_PGM_RSRC2:TGID_Y_EN: 0
; COMPUTE_PGM_RSRC2:TGID_Z_EN: 0
; COMPUTE_PGM_RSRC2:TIDIG_COMP_CNT: 0
; COMPUTE_PGM_RSRC3_GFX90A:ACCUM_OFFSET: 0
; COMPUTE_PGM_RSRC3_GFX90A:TG_SPLIT: 0
	.section	.text._ZN7rocprim17ROCPRIM_400000_NS6detail17trampoline_kernelINS0_14default_configENS1_20scan_config_selectorIiEEZZNS1_9scan_implILNS1_25lookback_scan_determinismE0ELb1ELb1ES3_N6thrust23THRUST_200600_302600_NS6detail15normal_iteratorINS9_10device_ptrIiEEEESE_iNS9_4plusIvEEiEEDaPvRmT3_T4_T5_mT6_P12ihipStream_tbENKUlT_T0_E_clISt17integral_constantIbLb0EEST_IbLb1EEEEDaSP_SQ_EUlSP_E0_NS1_11comp_targetILNS1_3genE10ELNS1_11target_archE1201ELNS1_3gpuE5ELNS1_3repE0EEENS1_30default_config_static_selectorELNS0_4arch9wavefront6targetE1EEEvT1_,"axG",@progbits,_ZN7rocprim17ROCPRIM_400000_NS6detail17trampoline_kernelINS0_14default_configENS1_20scan_config_selectorIiEEZZNS1_9scan_implILNS1_25lookback_scan_determinismE0ELb1ELb1ES3_N6thrust23THRUST_200600_302600_NS6detail15normal_iteratorINS9_10device_ptrIiEEEESE_iNS9_4plusIvEEiEEDaPvRmT3_T4_T5_mT6_P12ihipStream_tbENKUlT_T0_E_clISt17integral_constantIbLb0EEST_IbLb1EEEEDaSP_SQ_EUlSP_E0_NS1_11comp_targetILNS1_3genE10ELNS1_11target_archE1201ELNS1_3gpuE5ELNS1_3repE0EEENS1_30default_config_static_selectorELNS0_4arch9wavefront6targetE1EEEvT1_,comdat
	.protected	_ZN7rocprim17ROCPRIM_400000_NS6detail17trampoline_kernelINS0_14default_configENS1_20scan_config_selectorIiEEZZNS1_9scan_implILNS1_25lookback_scan_determinismE0ELb1ELb1ES3_N6thrust23THRUST_200600_302600_NS6detail15normal_iteratorINS9_10device_ptrIiEEEESE_iNS9_4plusIvEEiEEDaPvRmT3_T4_T5_mT6_P12ihipStream_tbENKUlT_T0_E_clISt17integral_constantIbLb0EEST_IbLb1EEEEDaSP_SQ_EUlSP_E0_NS1_11comp_targetILNS1_3genE10ELNS1_11target_archE1201ELNS1_3gpuE5ELNS1_3repE0EEENS1_30default_config_static_selectorELNS0_4arch9wavefront6targetE1EEEvT1_ ; -- Begin function _ZN7rocprim17ROCPRIM_400000_NS6detail17trampoline_kernelINS0_14default_configENS1_20scan_config_selectorIiEEZZNS1_9scan_implILNS1_25lookback_scan_determinismE0ELb1ELb1ES3_N6thrust23THRUST_200600_302600_NS6detail15normal_iteratorINS9_10device_ptrIiEEEESE_iNS9_4plusIvEEiEEDaPvRmT3_T4_T5_mT6_P12ihipStream_tbENKUlT_T0_E_clISt17integral_constantIbLb0EEST_IbLb1EEEEDaSP_SQ_EUlSP_E0_NS1_11comp_targetILNS1_3genE10ELNS1_11target_archE1201ELNS1_3gpuE5ELNS1_3repE0EEENS1_30default_config_static_selectorELNS0_4arch9wavefront6targetE1EEEvT1_
	.globl	_ZN7rocprim17ROCPRIM_400000_NS6detail17trampoline_kernelINS0_14default_configENS1_20scan_config_selectorIiEEZZNS1_9scan_implILNS1_25lookback_scan_determinismE0ELb1ELb1ES3_N6thrust23THRUST_200600_302600_NS6detail15normal_iteratorINS9_10device_ptrIiEEEESE_iNS9_4plusIvEEiEEDaPvRmT3_T4_T5_mT6_P12ihipStream_tbENKUlT_T0_E_clISt17integral_constantIbLb0EEST_IbLb1EEEEDaSP_SQ_EUlSP_E0_NS1_11comp_targetILNS1_3genE10ELNS1_11target_archE1201ELNS1_3gpuE5ELNS1_3repE0EEENS1_30default_config_static_selectorELNS0_4arch9wavefront6targetE1EEEvT1_
	.p2align	8
	.type	_ZN7rocprim17ROCPRIM_400000_NS6detail17trampoline_kernelINS0_14default_configENS1_20scan_config_selectorIiEEZZNS1_9scan_implILNS1_25lookback_scan_determinismE0ELb1ELb1ES3_N6thrust23THRUST_200600_302600_NS6detail15normal_iteratorINS9_10device_ptrIiEEEESE_iNS9_4plusIvEEiEEDaPvRmT3_T4_T5_mT6_P12ihipStream_tbENKUlT_T0_E_clISt17integral_constantIbLb0EEST_IbLb1EEEEDaSP_SQ_EUlSP_E0_NS1_11comp_targetILNS1_3genE10ELNS1_11target_archE1201ELNS1_3gpuE5ELNS1_3repE0EEENS1_30default_config_static_selectorELNS0_4arch9wavefront6targetE1EEEvT1_,@function
_ZN7rocprim17ROCPRIM_400000_NS6detail17trampoline_kernelINS0_14default_configENS1_20scan_config_selectorIiEEZZNS1_9scan_implILNS1_25lookback_scan_determinismE0ELb1ELb1ES3_N6thrust23THRUST_200600_302600_NS6detail15normal_iteratorINS9_10device_ptrIiEEEESE_iNS9_4plusIvEEiEEDaPvRmT3_T4_T5_mT6_P12ihipStream_tbENKUlT_T0_E_clISt17integral_constantIbLb0EEST_IbLb1EEEEDaSP_SQ_EUlSP_E0_NS1_11comp_targetILNS1_3genE10ELNS1_11target_archE1201ELNS1_3gpuE5ELNS1_3repE0EEENS1_30default_config_static_selectorELNS0_4arch9wavefront6targetE1EEEvT1_: ; @_ZN7rocprim17ROCPRIM_400000_NS6detail17trampoline_kernelINS0_14default_configENS1_20scan_config_selectorIiEEZZNS1_9scan_implILNS1_25lookback_scan_determinismE0ELb1ELb1ES3_N6thrust23THRUST_200600_302600_NS6detail15normal_iteratorINS9_10device_ptrIiEEEESE_iNS9_4plusIvEEiEEDaPvRmT3_T4_T5_mT6_P12ihipStream_tbENKUlT_T0_E_clISt17integral_constantIbLb0EEST_IbLb1EEEEDaSP_SQ_EUlSP_E0_NS1_11comp_targetILNS1_3genE10ELNS1_11target_archE1201ELNS1_3gpuE5ELNS1_3repE0EEENS1_30default_config_static_selectorELNS0_4arch9wavefront6targetE1EEEvT1_
; %bb.0:
	.section	.rodata,"a",@progbits
	.p2align	6, 0x0
	.amdhsa_kernel _ZN7rocprim17ROCPRIM_400000_NS6detail17trampoline_kernelINS0_14default_configENS1_20scan_config_selectorIiEEZZNS1_9scan_implILNS1_25lookback_scan_determinismE0ELb1ELb1ES3_N6thrust23THRUST_200600_302600_NS6detail15normal_iteratorINS9_10device_ptrIiEEEESE_iNS9_4plusIvEEiEEDaPvRmT3_T4_T5_mT6_P12ihipStream_tbENKUlT_T0_E_clISt17integral_constantIbLb0EEST_IbLb1EEEEDaSP_SQ_EUlSP_E0_NS1_11comp_targetILNS1_3genE10ELNS1_11target_archE1201ELNS1_3gpuE5ELNS1_3repE0EEENS1_30default_config_static_selectorELNS0_4arch9wavefront6targetE1EEEvT1_
		.amdhsa_group_segment_fixed_size 0
		.amdhsa_private_segment_fixed_size 0
		.amdhsa_kernarg_size 32
		.amdhsa_user_sgpr_count 6
		.amdhsa_user_sgpr_private_segment_buffer 1
		.amdhsa_user_sgpr_dispatch_ptr 0
		.amdhsa_user_sgpr_queue_ptr 0
		.amdhsa_user_sgpr_kernarg_segment_ptr 1
		.amdhsa_user_sgpr_dispatch_id 0
		.amdhsa_user_sgpr_flat_scratch_init 0
		.amdhsa_user_sgpr_kernarg_preload_length 0
		.amdhsa_user_sgpr_kernarg_preload_offset 0
		.amdhsa_user_sgpr_private_segment_size 0
		.amdhsa_uses_dynamic_stack 0
		.amdhsa_system_sgpr_private_segment_wavefront_offset 0
		.amdhsa_system_sgpr_workgroup_id_x 1
		.amdhsa_system_sgpr_workgroup_id_y 0
		.amdhsa_system_sgpr_workgroup_id_z 0
		.amdhsa_system_sgpr_workgroup_info 0
		.amdhsa_system_vgpr_workitem_id 0
		.amdhsa_next_free_vgpr 1
		.amdhsa_next_free_sgpr 0
		.amdhsa_accum_offset 4
		.amdhsa_reserve_vcc 0
		.amdhsa_reserve_flat_scratch 0
		.amdhsa_float_round_mode_32 0
		.amdhsa_float_round_mode_16_64 0
		.amdhsa_float_denorm_mode_32 3
		.amdhsa_float_denorm_mode_16_64 3
		.amdhsa_dx10_clamp 1
		.amdhsa_ieee_mode 1
		.amdhsa_fp16_overflow 0
		.amdhsa_tg_split 0
		.amdhsa_exception_fp_ieee_invalid_op 0
		.amdhsa_exception_fp_denorm_src 0
		.amdhsa_exception_fp_ieee_div_zero 0
		.amdhsa_exception_fp_ieee_overflow 0
		.amdhsa_exception_fp_ieee_underflow 0
		.amdhsa_exception_fp_ieee_inexact 0
		.amdhsa_exception_int_div_zero 0
	.end_amdhsa_kernel
	.section	.text._ZN7rocprim17ROCPRIM_400000_NS6detail17trampoline_kernelINS0_14default_configENS1_20scan_config_selectorIiEEZZNS1_9scan_implILNS1_25lookback_scan_determinismE0ELb1ELb1ES3_N6thrust23THRUST_200600_302600_NS6detail15normal_iteratorINS9_10device_ptrIiEEEESE_iNS9_4plusIvEEiEEDaPvRmT3_T4_T5_mT6_P12ihipStream_tbENKUlT_T0_E_clISt17integral_constantIbLb0EEST_IbLb1EEEEDaSP_SQ_EUlSP_E0_NS1_11comp_targetILNS1_3genE10ELNS1_11target_archE1201ELNS1_3gpuE5ELNS1_3repE0EEENS1_30default_config_static_selectorELNS0_4arch9wavefront6targetE1EEEvT1_,"axG",@progbits,_ZN7rocprim17ROCPRIM_400000_NS6detail17trampoline_kernelINS0_14default_configENS1_20scan_config_selectorIiEEZZNS1_9scan_implILNS1_25lookback_scan_determinismE0ELb1ELb1ES3_N6thrust23THRUST_200600_302600_NS6detail15normal_iteratorINS9_10device_ptrIiEEEESE_iNS9_4plusIvEEiEEDaPvRmT3_T4_T5_mT6_P12ihipStream_tbENKUlT_T0_E_clISt17integral_constantIbLb0EEST_IbLb1EEEEDaSP_SQ_EUlSP_E0_NS1_11comp_targetILNS1_3genE10ELNS1_11target_archE1201ELNS1_3gpuE5ELNS1_3repE0EEENS1_30default_config_static_selectorELNS0_4arch9wavefront6targetE1EEEvT1_,comdat
.Lfunc_end872:
	.size	_ZN7rocprim17ROCPRIM_400000_NS6detail17trampoline_kernelINS0_14default_configENS1_20scan_config_selectorIiEEZZNS1_9scan_implILNS1_25lookback_scan_determinismE0ELb1ELb1ES3_N6thrust23THRUST_200600_302600_NS6detail15normal_iteratorINS9_10device_ptrIiEEEESE_iNS9_4plusIvEEiEEDaPvRmT3_T4_T5_mT6_P12ihipStream_tbENKUlT_T0_E_clISt17integral_constantIbLb0EEST_IbLb1EEEEDaSP_SQ_EUlSP_E0_NS1_11comp_targetILNS1_3genE10ELNS1_11target_archE1201ELNS1_3gpuE5ELNS1_3repE0EEENS1_30default_config_static_selectorELNS0_4arch9wavefront6targetE1EEEvT1_, .Lfunc_end872-_ZN7rocprim17ROCPRIM_400000_NS6detail17trampoline_kernelINS0_14default_configENS1_20scan_config_selectorIiEEZZNS1_9scan_implILNS1_25lookback_scan_determinismE0ELb1ELb1ES3_N6thrust23THRUST_200600_302600_NS6detail15normal_iteratorINS9_10device_ptrIiEEEESE_iNS9_4plusIvEEiEEDaPvRmT3_T4_T5_mT6_P12ihipStream_tbENKUlT_T0_E_clISt17integral_constantIbLb0EEST_IbLb1EEEEDaSP_SQ_EUlSP_E0_NS1_11comp_targetILNS1_3genE10ELNS1_11target_archE1201ELNS1_3gpuE5ELNS1_3repE0EEENS1_30default_config_static_selectorELNS0_4arch9wavefront6targetE1EEEvT1_
                                        ; -- End function
	.section	.AMDGPU.csdata,"",@progbits
; Kernel info:
; codeLenInByte = 0
; NumSgprs: 4
; NumVgprs: 0
; NumAgprs: 0
; TotalNumVgprs: 0
; ScratchSize: 0
; MemoryBound: 0
; FloatMode: 240
; IeeeMode: 1
; LDSByteSize: 0 bytes/workgroup (compile time only)
; SGPRBlocks: 0
; VGPRBlocks: 0
; NumSGPRsForWavesPerEU: 4
; NumVGPRsForWavesPerEU: 1
; AccumOffset: 4
; Occupancy: 8
; WaveLimiterHint : 0
; COMPUTE_PGM_RSRC2:SCRATCH_EN: 0
; COMPUTE_PGM_RSRC2:USER_SGPR: 6
; COMPUTE_PGM_RSRC2:TRAP_HANDLER: 0
; COMPUTE_PGM_RSRC2:TGID_X_EN: 1
; COMPUTE_PGM_RSRC2:TGID_Y_EN: 0
; COMPUTE_PGM_RSRC2:TGID_Z_EN: 0
; COMPUTE_PGM_RSRC2:TIDIG_COMP_CNT: 0
; COMPUTE_PGM_RSRC3_GFX90A:ACCUM_OFFSET: 0
; COMPUTE_PGM_RSRC3_GFX90A:TG_SPLIT: 0
	.section	.text._ZN7rocprim17ROCPRIM_400000_NS6detail17trampoline_kernelINS0_14default_configENS1_20scan_config_selectorIiEEZZNS1_9scan_implILNS1_25lookback_scan_determinismE0ELb1ELb1ES3_N6thrust23THRUST_200600_302600_NS6detail15normal_iteratorINS9_10device_ptrIiEEEESE_iNS9_4plusIvEEiEEDaPvRmT3_T4_T5_mT6_P12ihipStream_tbENKUlT_T0_E_clISt17integral_constantIbLb0EEST_IbLb1EEEEDaSP_SQ_EUlSP_E0_NS1_11comp_targetILNS1_3genE10ELNS1_11target_archE1200ELNS1_3gpuE4ELNS1_3repE0EEENS1_30default_config_static_selectorELNS0_4arch9wavefront6targetE1EEEvT1_,"axG",@progbits,_ZN7rocprim17ROCPRIM_400000_NS6detail17trampoline_kernelINS0_14default_configENS1_20scan_config_selectorIiEEZZNS1_9scan_implILNS1_25lookback_scan_determinismE0ELb1ELb1ES3_N6thrust23THRUST_200600_302600_NS6detail15normal_iteratorINS9_10device_ptrIiEEEESE_iNS9_4plusIvEEiEEDaPvRmT3_T4_T5_mT6_P12ihipStream_tbENKUlT_T0_E_clISt17integral_constantIbLb0EEST_IbLb1EEEEDaSP_SQ_EUlSP_E0_NS1_11comp_targetILNS1_3genE10ELNS1_11target_archE1200ELNS1_3gpuE4ELNS1_3repE0EEENS1_30default_config_static_selectorELNS0_4arch9wavefront6targetE1EEEvT1_,comdat
	.protected	_ZN7rocprim17ROCPRIM_400000_NS6detail17trampoline_kernelINS0_14default_configENS1_20scan_config_selectorIiEEZZNS1_9scan_implILNS1_25lookback_scan_determinismE0ELb1ELb1ES3_N6thrust23THRUST_200600_302600_NS6detail15normal_iteratorINS9_10device_ptrIiEEEESE_iNS9_4plusIvEEiEEDaPvRmT3_T4_T5_mT6_P12ihipStream_tbENKUlT_T0_E_clISt17integral_constantIbLb0EEST_IbLb1EEEEDaSP_SQ_EUlSP_E0_NS1_11comp_targetILNS1_3genE10ELNS1_11target_archE1200ELNS1_3gpuE4ELNS1_3repE0EEENS1_30default_config_static_selectorELNS0_4arch9wavefront6targetE1EEEvT1_ ; -- Begin function _ZN7rocprim17ROCPRIM_400000_NS6detail17trampoline_kernelINS0_14default_configENS1_20scan_config_selectorIiEEZZNS1_9scan_implILNS1_25lookback_scan_determinismE0ELb1ELb1ES3_N6thrust23THRUST_200600_302600_NS6detail15normal_iteratorINS9_10device_ptrIiEEEESE_iNS9_4plusIvEEiEEDaPvRmT3_T4_T5_mT6_P12ihipStream_tbENKUlT_T0_E_clISt17integral_constantIbLb0EEST_IbLb1EEEEDaSP_SQ_EUlSP_E0_NS1_11comp_targetILNS1_3genE10ELNS1_11target_archE1200ELNS1_3gpuE4ELNS1_3repE0EEENS1_30default_config_static_selectorELNS0_4arch9wavefront6targetE1EEEvT1_
	.globl	_ZN7rocprim17ROCPRIM_400000_NS6detail17trampoline_kernelINS0_14default_configENS1_20scan_config_selectorIiEEZZNS1_9scan_implILNS1_25lookback_scan_determinismE0ELb1ELb1ES3_N6thrust23THRUST_200600_302600_NS6detail15normal_iteratorINS9_10device_ptrIiEEEESE_iNS9_4plusIvEEiEEDaPvRmT3_T4_T5_mT6_P12ihipStream_tbENKUlT_T0_E_clISt17integral_constantIbLb0EEST_IbLb1EEEEDaSP_SQ_EUlSP_E0_NS1_11comp_targetILNS1_3genE10ELNS1_11target_archE1200ELNS1_3gpuE4ELNS1_3repE0EEENS1_30default_config_static_selectorELNS0_4arch9wavefront6targetE1EEEvT1_
	.p2align	8
	.type	_ZN7rocprim17ROCPRIM_400000_NS6detail17trampoline_kernelINS0_14default_configENS1_20scan_config_selectorIiEEZZNS1_9scan_implILNS1_25lookback_scan_determinismE0ELb1ELb1ES3_N6thrust23THRUST_200600_302600_NS6detail15normal_iteratorINS9_10device_ptrIiEEEESE_iNS9_4plusIvEEiEEDaPvRmT3_T4_T5_mT6_P12ihipStream_tbENKUlT_T0_E_clISt17integral_constantIbLb0EEST_IbLb1EEEEDaSP_SQ_EUlSP_E0_NS1_11comp_targetILNS1_3genE10ELNS1_11target_archE1200ELNS1_3gpuE4ELNS1_3repE0EEENS1_30default_config_static_selectorELNS0_4arch9wavefront6targetE1EEEvT1_,@function
_ZN7rocprim17ROCPRIM_400000_NS6detail17trampoline_kernelINS0_14default_configENS1_20scan_config_selectorIiEEZZNS1_9scan_implILNS1_25lookback_scan_determinismE0ELb1ELb1ES3_N6thrust23THRUST_200600_302600_NS6detail15normal_iteratorINS9_10device_ptrIiEEEESE_iNS9_4plusIvEEiEEDaPvRmT3_T4_T5_mT6_P12ihipStream_tbENKUlT_T0_E_clISt17integral_constantIbLb0EEST_IbLb1EEEEDaSP_SQ_EUlSP_E0_NS1_11comp_targetILNS1_3genE10ELNS1_11target_archE1200ELNS1_3gpuE4ELNS1_3repE0EEENS1_30default_config_static_selectorELNS0_4arch9wavefront6targetE1EEEvT1_: ; @_ZN7rocprim17ROCPRIM_400000_NS6detail17trampoline_kernelINS0_14default_configENS1_20scan_config_selectorIiEEZZNS1_9scan_implILNS1_25lookback_scan_determinismE0ELb1ELb1ES3_N6thrust23THRUST_200600_302600_NS6detail15normal_iteratorINS9_10device_ptrIiEEEESE_iNS9_4plusIvEEiEEDaPvRmT3_T4_T5_mT6_P12ihipStream_tbENKUlT_T0_E_clISt17integral_constantIbLb0EEST_IbLb1EEEEDaSP_SQ_EUlSP_E0_NS1_11comp_targetILNS1_3genE10ELNS1_11target_archE1200ELNS1_3gpuE4ELNS1_3repE0EEENS1_30default_config_static_selectorELNS0_4arch9wavefront6targetE1EEEvT1_
; %bb.0:
	.section	.rodata,"a",@progbits
	.p2align	6, 0x0
	.amdhsa_kernel _ZN7rocprim17ROCPRIM_400000_NS6detail17trampoline_kernelINS0_14default_configENS1_20scan_config_selectorIiEEZZNS1_9scan_implILNS1_25lookback_scan_determinismE0ELb1ELb1ES3_N6thrust23THRUST_200600_302600_NS6detail15normal_iteratorINS9_10device_ptrIiEEEESE_iNS9_4plusIvEEiEEDaPvRmT3_T4_T5_mT6_P12ihipStream_tbENKUlT_T0_E_clISt17integral_constantIbLb0EEST_IbLb1EEEEDaSP_SQ_EUlSP_E0_NS1_11comp_targetILNS1_3genE10ELNS1_11target_archE1200ELNS1_3gpuE4ELNS1_3repE0EEENS1_30default_config_static_selectorELNS0_4arch9wavefront6targetE1EEEvT1_
		.amdhsa_group_segment_fixed_size 0
		.amdhsa_private_segment_fixed_size 0
		.amdhsa_kernarg_size 32
		.amdhsa_user_sgpr_count 6
		.amdhsa_user_sgpr_private_segment_buffer 1
		.amdhsa_user_sgpr_dispatch_ptr 0
		.amdhsa_user_sgpr_queue_ptr 0
		.amdhsa_user_sgpr_kernarg_segment_ptr 1
		.amdhsa_user_sgpr_dispatch_id 0
		.amdhsa_user_sgpr_flat_scratch_init 0
		.amdhsa_user_sgpr_kernarg_preload_length 0
		.amdhsa_user_sgpr_kernarg_preload_offset 0
		.amdhsa_user_sgpr_private_segment_size 0
		.amdhsa_uses_dynamic_stack 0
		.amdhsa_system_sgpr_private_segment_wavefront_offset 0
		.amdhsa_system_sgpr_workgroup_id_x 1
		.amdhsa_system_sgpr_workgroup_id_y 0
		.amdhsa_system_sgpr_workgroup_id_z 0
		.amdhsa_system_sgpr_workgroup_info 0
		.amdhsa_system_vgpr_workitem_id 0
		.amdhsa_next_free_vgpr 1
		.amdhsa_next_free_sgpr 0
		.amdhsa_accum_offset 4
		.amdhsa_reserve_vcc 0
		.amdhsa_reserve_flat_scratch 0
		.amdhsa_float_round_mode_32 0
		.amdhsa_float_round_mode_16_64 0
		.amdhsa_float_denorm_mode_32 3
		.amdhsa_float_denorm_mode_16_64 3
		.amdhsa_dx10_clamp 1
		.amdhsa_ieee_mode 1
		.amdhsa_fp16_overflow 0
		.amdhsa_tg_split 0
		.amdhsa_exception_fp_ieee_invalid_op 0
		.amdhsa_exception_fp_denorm_src 0
		.amdhsa_exception_fp_ieee_div_zero 0
		.amdhsa_exception_fp_ieee_overflow 0
		.amdhsa_exception_fp_ieee_underflow 0
		.amdhsa_exception_fp_ieee_inexact 0
		.amdhsa_exception_int_div_zero 0
	.end_amdhsa_kernel
	.section	.text._ZN7rocprim17ROCPRIM_400000_NS6detail17trampoline_kernelINS0_14default_configENS1_20scan_config_selectorIiEEZZNS1_9scan_implILNS1_25lookback_scan_determinismE0ELb1ELb1ES3_N6thrust23THRUST_200600_302600_NS6detail15normal_iteratorINS9_10device_ptrIiEEEESE_iNS9_4plusIvEEiEEDaPvRmT3_T4_T5_mT6_P12ihipStream_tbENKUlT_T0_E_clISt17integral_constantIbLb0EEST_IbLb1EEEEDaSP_SQ_EUlSP_E0_NS1_11comp_targetILNS1_3genE10ELNS1_11target_archE1200ELNS1_3gpuE4ELNS1_3repE0EEENS1_30default_config_static_selectorELNS0_4arch9wavefront6targetE1EEEvT1_,"axG",@progbits,_ZN7rocprim17ROCPRIM_400000_NS6detail17trampoline_kernelINS0_14default_configENS1_20scan_config_selectorIiEEZZNS1_9scan_implILNS1_25lookback_scan_determinismE0ELb1ELb1ES3_N6thrust23THRUST_200600_302600_NS6detail15normal_iteratorINS9_10device_ptrIiEEEESE_iNS9_4plusIvEEiEEDaPvRmT3_T4_T5_mT6_P12ihipStream_tbENKUlT_T0_E_clISt17integral_constantIbLb0EEST_IbLb1EEEEDaSP_SQ_EUlSP_E0_NS1_11comp_targetILNS1_3genE10ELNS1_11target_archE1200ELNS1_3gpuE4ELNS1_3repE0EEENS1_30default_config_static_selectorELNS0_4arch9wavefront6targetE1EEEvT1_,comdat
.Lfunc_end873:
	.size	_ZN7rocprim17ROCPRIM_400000_NS6detail17trampoline_kernelINS0_14default_configENS1_20scan_config_selectorIiEEZZNS1_9scan_implILNS1_25lookback_scan_determinismE0ELb1ELb1ES3_N6thrust23THRUST_200600_302600_NS6detail15normal_iteratorINS9_10device_ptrIiEEEESE_iNS9_4plusIvEEiEEDaPvRmT3_T4_T5_mT6_P12ihipStream_tbENKUlT_T0_E_clISt17integral_constantIbLb0EEST_IbLb1EEEEDaSP_SQ_EUlSP_E0_NS1_11comp_targetILNS1_3genE10ELNS1_11target_archE1200ELNS1_3gpuE4ELNS1_3repE0EEENS1_30default_config_static_selectorELNS0_4arch9wavefront6targetE1EEEvT1_, .Lfunc_end873-_ZN7rocprim17ROCPRIM_400000_NS6detail17trampoline_kernelINS0_14default_configENS1_20scan_config_selectorIiEEZZNS1_9scan_implILNS1_25lookback_scan_determinismE0ELb1ELb1ES3_N6thrust23THRUST_200600_302600_NS6detail15normal_iteratorINS9_10device_ptrIiEEEESE_iNS9_4plusIvEEiEEDaPvRmT3_T4_T5_mT6_P12ihipStream_tbENKUlT_T0_E_clISt17integral_constantIbLb0EEST_IbLb1EEEEDaSP_SQ_EUlSP_E0_NS1_11comp_targetILNS1_3genE10ELNS1_11target_archE1200ELNS1_3gpuE4ELNS1_3repE0EEENS1_30default_config_static_selectorELNS0_4arch9wavefront6targetE1EEEvT1_
                                        ; -- End function
	.section	.AMDGPU.csdata,"",@progbits
; Kernel info:
; codeLenInByte = 0
; NumSgprs: 4
; NumVgprs: 0
; NumAgprs: 0
; TotalNumVgprs: 0
; ScratchSize: 0
; MemoryBound: 0
; FloatMode: 240
; IeeeMode: 1
; LDSByteSize: 0 bytes/workgroup (compile time only)
; SGPRBlocks: 0
; VGPRBlocks: 0
; NumSGPRsForWavesPerEU: 4
; NumVGPRsForWavesPerEU: 1
; AccumOffset: 4
; Occupancy: 8
; WaveLimiterHint : 0
; COMPUTE_PGM_RSRC2:SCRATCH_EN: 0
; COMPUTE_PGM_RSRC2:USER_SGPR: 6
; COMPUTE_PGM_RSRC2:TRAP_HANDLER: 0
; COMPUTE_PGM_RSRC2:TGID_X_EN: 1
; COMPUTE_PGM_RSRC2:TGID_Y_EN: 0
; COMPUTE_PGM_RSRC2:TGID_Z_EN: 0
; COMPUTE_PGM_RSRC2:TIDIG_COMP_CNT: 0
; COMPUTE_PGM_RSRC3_GFX90A:ACCUM_OFFSET: 0
; COMPUTE_PGM_RSRC3_GFX90A:TG_SPLIT: 0
	.section	.text._ZN7rocprim17ROCPRIM_400000_NS6detail17trampoline_kernelINS0_14default_configENS1_20scan_config_selectorIiEEZZNS1_9scan_implILNS1_25lookback_scan_determinismE0ELb1ELb1ES3_N6thrust23THRUST_200600_302600_NS6detail15normal_iteratorINS9_10device_ptrIiEEEESE_iNS9_4plusIvEEiEEDaPvRmT3_T4_T5_mT6_P12ihipStream_tbENKUlT_T0_E_clISt17integral_constantIbLb0EEST_IbLb1EEEEDaSP_SQ_EUlSP_E0_NS1_11comp_targetILNS1_3genE9ELNS1_11target_archE1100ELNS1_3gpuE3ELNS1_3repE0EEENS1_30default_config_static_selectorELNS0_4arch9wavefront6targetE1EEEvT1_,"axG",@progbits,_ZN7rocprim17ROCPRIM_400000_NS6detail17trampoline_kernelINS0_14default_configENS1_20scan_config_selectorIiEEZZNS1_9scan_implILNS1_25lookback_scan_determinismE0ELb1ELb1ES3_N6thrust23THRUST_200600_302600_NS6detail15normal_iteratorINS9_10device_ptrIiEEEESE_iNS9_4plusIvEEiEEDaPvRmT3_T4_T5_mT6_P12ihipStream_tbENKUlT_T0_E_clISt17integral_constantIbLb0EEST_IbLb1EEEEDaSP_SQ_EUlSP_E0_NS1_11comp_targetILNS1_3genE9ELNS1_11target_archE1100ELNS1_3gpuE3ELNS1_3repE0EEENS1_30default_config_static_selectorELNS0_4arch9wavefront6targetE1EEEvT1_,comdat
	.protected	_ZN7rocprim17ROCPRIM_400000_NS6detail17trampoline_kernelINS0_14default_configENS1_20scan_config_selectorIiEEZZNS1_9scan_implILNS1_25lookback_scan_determinismE0ELb1ELb1ES3_N6thrust23THRUST_200600_302600_NS6detail15normal_iteratorINS9_10device_ptrIiEEEESE_iNS9_4plusIvEEiEEDaPvRmT3_T4_T5_mT6_P12ihipStream_tbENKUlT_T0_E_clISt17integral_constantIbLb0EEST_IbLb1EEEEDaSP_SQ_EUlSP_E0_NS1_11comp_targetILNS1_3genE9ELNS1_11target_archE1100ELNS1_3gpuE3ELNS1_3repE0EEENS1_30default_config_static_selectorELNS0_4arch9wavefront6targetE1EEEvT1_ ; -- Begin function _ZN7rocprim17ROCPRIM_400000_NS6detail17trampoline_kernelINS0_14default_configENS1_20scan_config_selectorIiEEZZNS1_9scan_implILNS1_25lookback_scan_determinismE0ELb1ELb1ES3_N6thrust23THRUST_200600_302600_NS6detail15normal_iteratorINS9_10device_ptrIiEEEESE_iNS9_4plusIvEEiEEDaPvRmT3_T4_T5_mT6_P12ihipStream_tbENKUlT_T0_E_clISt17integral_constantIbLb0EEST_IbLb1EEEEDaSP_SQ_EUlSP_E0_NS1_11comp_targetILNS1_3genE9ELNS1_11target_archE1100ELNS1_3gpuE3ELNS1_3repE0EEENS1_30default_config_static_selectorELNS0_4arch9wavefront6targetE1EEEvT1_
	.globl	_ZN7rocprim17ROCPRIM_400000_NS6detail17trampoline_kernelINS0_14default_configENS1_20scan_config_selectorIiEEZZNS1_9scan_implILNS1_25lookback_scan_determinismE0ELb1ELb1ES3_N6thrust23THRUST_200600_302600_NS6detail15normal_iteratorINS9_10device_ptrIiEEEESE_iNS9_4plusIvEEiEEDaPvRmT3_T4_T5_mT6_P12ihipStream_tbENKUlT_T0_E_clISt17integral_constantIbLb0EEST_IbLb1EEEEDaSP_SQ_EUlSP_E0_NS1_11comp_targetILNS1_3genE9ELNS1_11target_archE1100ELNS1_3gpuE3ELNS1_3repE0EEENS1_30default_config_static_selectorELNS0_4arch9wavefront6targetE1EEEvT1_
	.p2align	8
	.type	_ZN7rocprim17ROCPRIM_400000_NS6detail17trampoline_kernelINS0_14default_configENS1_20scan_config_selectorIiEEZZNS1_9scan_implILNS1_25lookback_scan_determinismE0ELb1ELb1ES3_N6thrust23THRUST_200600_302600_NS6detail15normal_iteratorINS9_10device_ptrIiEEEESE_iNS9_4plusIvEEiEEDaPvRmT3_T4_T5_mT6_P12ihipStream_tbENKUlT_T0_E_clISt17integral_constantIbLb0EEST_IbLb1EEEEDaSP_SQ_EUlSP_E0_NS1_11comp_targetILNS1_3genE9ELNS1_11target_archE1100ELNS1_3gpuE3ELNS1_3repE0EEENS1_30default_config_static_selectorELNS0_4arch9wavefront6targetE1EEEvT1_,@function
_ZN7rocprim17ROCPRIM_400000_NS6detail17trampoline_kernelINS0_14default_configENS1_20scan_config_selectorIiEEZZNS1_9scan_implILNS1_25lookback_scan_determinismE0ELb1ELb1ES3_N6thrust23THRUST_200600_302600_NS6detail15normal_iteratorINS9_10device_ptrIiEEEESE_iNS9_4plusIvEEiEEDaPvRmT3_T4_T5_mT6_P12ihipStream_tbENKUlT_T0_E_clISt17integral_constantIbLb0EEST_IbLb1EEEEDaSP_SQ_EUlSP_E0_NS1_11comp_targetILNS1_3genE9ELNS1_11target_archE1100ELNS1_3gpuE3ELNS1_3repE0EEENS1_30default_config_static_selectorELNS0_4arch9wavefront6targetE1EEEvT1_: ; @_ZN7rocprim17ROCPRIM_400000_NS6detail17trampoline_kernelINS0_14default_configENS1_20scan_config_selectorIiEEZZNS1_9scan_implILNS1_25lookback_scan_determinismE0ELb1ELb1ES3_N6thrust23THRUST_200600_302600_NS6detail15normal_iteratorINS9_10device_ptrIiEEEESE_iNS9_4plusIvEEiEEDaPvRmT3_T4_T5_mT6_P12ihipStream_tbENKUlT_T0_E_clISt17integral_constantIbLb0EEST_IbLb1EEEEDaSP_SQ_EUlSP_E0_NS1_11comp_targetILNS1_3genE9ELNS1_11target_archE1100ELNS1_3gpuE3ELNS1_3repE0EEENS1_30default_config_static_selectorELNS0_4arch9wavefront6targetE1EEEvT1_
; %bb.0:
	.section	.rodata,"a",@progbits
	.p2align	6, 0x0
	.amdhsa_kernel _ZN7rocprim17ROCPRIM_400000_NS6detail17trampoline_kernelINS0_14default_configENS1_20scan_config_selectorIiEEZZNS1_9scan_implILNS1_25lookback_scan_determinismE0ELb1ELb1ES3_N6thrust23THRUST_200600_302600_NS6detail15normal_iteratorINS9_10device_ptrIiEEEESE_iNS9_4plusIvEEiEEDaPvRmT3_T4_T5_mT6_P12ihipStream_tbENKUlT_T0_E_clISt17integral_constantIbLb0EEST_IbLb1EEEEDaSP_SQ_EUlSP_E0_NS1_11comp_targetILNS1_3genE9ELNS1_11target_archE1100ELNS1_3gpuE3ELNS1_3repE0EEENS1_30default_config_static_selectorELNS0_4arch9wavefront6targetE1EEEvT1_
		.amdhsa_group_segment_fixed_size 0
		.amdhsa_private_segment_fixed_size 0
		.amdhsa_kernarg_size 32
		.amdhsa_user_sgpr_count 6
		.amdhsa_user_sgpr_private_segment_buffer 1
		.amdhsa_user_sgpr_dispatch_ptr 0
		.amdhsa_user_sgpr_queue_ptr 0
		.amdhsa_user_sgpr_kernarg_segment_ptr 1
		.amdhsa_user_sgpr_dispatch_id 0
		.amdhsa_user_sgpr_flat_scratch_init 0
		.amdhsa_user_sgpr_kernarg_preload_length 0
		.amdhsa_user_sgpr_kernarg_preload_offset 0
		.amdhsa_user_sgpr_private_segment_size 0
		.amdhsa_uses_dynamic_stack 0
		.amdhsa_system_sgpr_private_segment_wavefront_offset 0
		.amdhsa_system_sgpr_workgroup_id_x 1
		.amdhsa_system_sgpr_workgroup_id_y 0
		.amdhsa_system_sgpr_workgroup_id_z 0
		.amdhsa_system_sgpr_workgroup_info 0
		.amdhsa_system_vgpr_workitem_id 0
		.amdhsa_next_free_vgpr 1
		.amdhsa_next_free_sgpr 0
		.amdhsa_accum_offset 4
		.amdhsa_reserve_vcc 0
		.amdhsa_reserve_flat_scratch 0
		.amdhsa_float_round_mode_32 0
		.amdhsa_float_round_mode_16_64 0
		.amdhsa_float_denorm_mode_32 3
		.amdhsa_float_denorm_mode_16_64 3
		.amdhsa_dx10_clamp 1
		.amdhsa_ieee_mode 1
		.amdhsa_fp16_overflow 0
		.amdhsa_tg_split 0
		.amdhsa_exception_fp_ieee_invalid_op 0
		.amdhsa_exception_fp_denorm_src 0
		.amdhsa_exception_fp_ieee_div_zero 0
		.amdhsa_exception_fp_ieee_overflow 0
		.amdhsa_exception_fp_ieee_underflow 0
		.amdhsa_exception_fp_ieee_inexact 0
		.amdhsa_exception_int_div_zero 0
	.end_amdhsa_kernel
	.section	.text._ZN7rocprim17ROCPRIM_400000_NS6detail17trampoline_kernelINS0_14default_configENS1_20scan_config_selectorIiEEZZNS1_9scan_implILNS1_25lookback_scan_determinismE0ELb1ELb1ES3_N6thrust23THRUST_200600_302600_NS6detail15normal_iteratorINS9_10device_ptrIiEEEESE_iNS9_4plusIvEEiEEDaPvRmT3_T4_T5_mT6_P12ihipStream_tbENKUlT_T0_E_clISt17integral_constantIbLb0EEST_IbLb1EEEEDaSP_SQ_EUlSP_E0_NS1_11comp_targetILNS1_3genE9ELNS1_11target_archE1100ELNS1_3gpuE3ELNS1_3repE0EEENS1_30default_config_static_selectorELNS0_4arch9wavefront6targetE1EEEvT1_,"axG",@progbits,_ZN7rocprim17ROCPRIM_400000_NS6detail17trampoline_kernelINS0_14default_configENS1_20scan_config_selectorIiEEZZNS1_9scan_implILNS1_25lookback_scan_determinismE0ELb1ELb1ES3_N6thrust23THRUST_200600_302600_NS6detail15normal_iteratorINS9_10device_ptrIiEEEESE_iNS9_4plusIvEEiEEDaPvRmT3_T4_T5_mT6_P12ihipStream_tbENKUlT_T0_E_clISt17integral_constantIbLb0EEST_IbLb1EEEEDaSP_SQ_EUlSP_E0_NS1_11comp_targetILNS1_3genE9ELNS1_11target_archE1100ELNS1_3gpuE3ELNS1_3repE0EEENS1_30default_config_static_selectorELNS0_4arch9wavefront6targetE1EEEvT1_,comdat
.Lfunc_end874:
	.size	_ZN7rocprim17ROCPRIM_400000_NS6detail17trampoline_kernelINS0_14default_configENS1_20scan_config_selectorIiEEZZNS1_9scan_implILNS1_25lookback_scan_determinismE0ELb1ELb1ES3_N6thrust23THRUST_200600_302600_NS6detail15normal_iteratorINS9_10device_ptrIiEEEESE_iNS9_4plusIvEEiEEDaPvRmT3_T4_T5_mT6_P12ihipStream_tbENKUlT_T0_E_clISt17integral_constantIbLb0EEST_IbLb1EEEEDaSP_SQ_EUlSP_E0_NS1_11comp_targetILNS1_3genE9ELNS1_11target_archE1100ELNS1_3gpuE3ELNS1_3repE0EEENS1_30default_config_static_selectorELNS0_4arch9wavefront6targetE1EEEvT1_, .Lfunc_end874-_ZN7rocprim17ROCPRIM_400000_NS6detail17trampoline_kernelINS0_14default_configENS1_20scan_config_selectorIiEEZZNS1_9scan_implILNS1_25lookback_scan_determinismE0ELb1ELb1ES3_N6thrust23THRUST_200600_302600_NS6detail15normal_iteratorINS9_10device_ptrIiEEEESE_iNS9_4plusIvEEiEEDaPvRmT3_T4_T5_mT6_P12ihipStream_tbENKUlT_T0_E_clISt17integral_constantIbLb0EEST_IbLb1EEEEDaSP_SQ_EUlSP_E0_NS1_11comp_targetILNS1_3genE9ELNS1_11target_archE1100ELNS1_3gpuE3ELNS1_3repE0EEENS1_30default_config_static_selectorELNS0_4arch9wavefront6targetE1EEEvT1_
                                        ; -- End function
	.section	.AMDGPU.csdata,"",@progbits
; Kernel info:
; codeLenInByte = 0
; NumSgprs: 4
; NumVgprs: 0
; NumAgprs: 0
; TotalNumVgprs: 0
; ScratchSize: 0
; MemoryBound: 0
; FloatMode: 240
; IeeeMode: 1
; LDSByteSize: 0 bytes/workgroup (compile time only)
; SGPRBlocks: 0
; VGPRBlocks: 0
; NumSGPRsForWavesPerEU: 4
; NumVGPRsForWavesPerEU: 1
; AccumOffset: 4
; Occupancy: 8
; WaveLimiterHint : 0
; COMPUTE_PGM_RSRC2:SCRATCH_EN: 0
; COMPUTE_PGM_RSRC2:USER_SGPR: 6
; COMPUTE_PGM_RSRC2:TRAP_HANDLER: 0
; COMPUTE_PGM_RSRC2:TGID_X_EN: 1
; COMPUTE_PGM_RSRC2:TGID_Y_EN: 0
; COMPUTE_PGM_RSRC2:TGID_Z_EN: 0
; COMPUTE_PGM_RSRC2:TIDIG_COMP_CNT: 0
; COMPUTE_PGM_RSRC3_GFX90A:ACCUM_OFFSET: 0
; COMPUTE_PGM_RSRC3_GFX90A:TG_SPLIT: 0
	.section	.text._ZN7rocprim17ROCPRIM_400000_NS6detail17trampoline_kernelINS0_14default_configENS1_20scan_config_selectorIiEEZZNS1_9scan_implILNS1_25lookback_scan_determinismE0ELb1ELb1ES3_N6thrust23THRUST_200600_302600_NS6detail15normal_iteratorINS9_10device_ptrIiEEEESE_iNS9_4plusIvEEiEEDaPvRmT3_T4_T5_mT6_P12ihipStream_tbENKUlT_T0_E_clISt17integral_constantIbLb0EEST_IbLb1EEEEDaSP_SQ_EUlSP_E0_NS1_11comp_targetILNS1_3genE8ELNS1_11target_archE1030ELNS1_3gpuE2ELNS1_3repE0EEENS1_30default_config_static_selectorELNS0_4arch9wavefront6targetE1EEEvT1_,"axG",@progbits,_ZN7rocprim17ROCPRIM_400000_NS6detail17trampoline_kernelINS0_14default_configENS1_20scan_config_selectorIiEEZZNS1_9scan_implILNS1_25lookback_scan_determinismE0ELb1ELb1ES3_N6thrust23THRUST_200600_302600_NS6detail15normal_iteratorINS9_10device_ptrIiEEEESE_iNS9_4plusIvEEiEEDaPvRmT3_T4_T5_mT6_P12ihipStream_tbENKUlT_T0_E_clISt17integral_constantIbLb0EEST_IbLb1EEEEDaSP_SQ_EUlSP_E0_NS1_11comp_targetILNS1_3genE8ELNS1_11target_archE1030ELNS1_3gpuE2ELNS1_3repE0EEENS1_30default_config_static_selectorELNS0_4arch9wavefront6targetE1EEEvT1_,comdat
	.protected	_ZN7rocprim17ROCPRIM_400000_NS6detail17trampoline_kernelINS0_14default_configENS1_20scan_config_selectorIiEEZZNS1_9scan_implILNS1_25lookback_scan_determinismE0ELb1ELb1ES3_N6thrust23THRUST_200600_302600_NS6detail15normal_iteratorINS9_10device_ptrIiEEEESE_iNS9_4plusIvEEiEEDaPvRmT3_T4_T5_mT6_P12ihipStream_tbENKUlT_T0_E_clISt17integral_constantIbLb0EEST_IbLb1EEEEDaSP_SQ_EUlSP_E0_NS1_11comp_targetILNS1_3genE8ELNS1_11target_archE1030ELNS1_3gpuE2ELNS1_3repE0EEENS1_30default_config_static_selectorELNS0_4arch9wavefront6targetE1EEEvT1_ ; -- Begin function _ZN7rocprim17ROCPRIM_400000_NS6detail17trampoline_kernelINS0_14default_configENS1_20scan_config_selectorIiEEZZNS1_9scan_implILNS1_25lookback_scan_determinismE0ELb1ELb1ES3_N6thrust23THRUST_200600_302600_NS6detail15normal_iteratorINS9_10device_ptrIiEEEESE_iNS9_4plusIvEEiEEDaPvRmT3_T4_T5_mT6_P12ihipStream_tbENKUlT_T0_E_clISt17integral_constantIbLb0EEST_IbLb1EEEEDaSP_SQ_EUlSP_E0_NS1_11comp_targetILNS1_3genE8ELNS1_11target_archE1030ELNS1_3gpuE2ELNS1_3repE0EEENS1_30default_config_static_selectorELNS0_4arch9wavefront6targetE1EEEvT1_
	.globl	_ZN7rocprim17ROCPRIM_400000_NS6detail17trampoline_kernelINS0_14default_configENS1_20scan_config_selectorIiEEZZNS1_9scan_implILNS1_25lookback_scan_determinismE0ELb1ELb1ES3_N6thrust23THRUST_200600_302600_NS6detail15normal_iteratorINS9_10device_ptrIiEEEESE_iNS9_4plusIvEEiEEDaPvRmT3_T4_T5_mT6_P12ihipStream_tbENKUlT_T0_E_clISt17integral_constantIbLb0EEST_IbLb1EEEEDaSP_SQ_EUlSP_E0_NS1_11comp_targetILNS1_3genE8ELNS1_11target_archE1030ELNS1_3gpuE2ELNS1_3repE0EEENS1_30default_config_static_selectorELNS0_4arch9wavefront6targetE1EEEvT1_
	.p2align	8
	.type	_ZN7rocprim17ROCPRIM_400000_NS6detail17trampoline_kernelINS0_14default_configENS1_20scan_config_selectorIiEEZZNS1_9scan_implILNS1_25lookback_scan_determinismE0ELb1ELb1ES3_N6thrust23THRUST_200600_302600_NS6detail15normal_iteratorINS9_10device_ptrIiEEEESE_iNS9_4plusIvEEiEEDaPvRmT3_T4_T5_mT6_P12ihipStream_tbENKUlT_T0_E_clISt17integral_constantIbLb0EEST_IbLb1EEEEDaSP_SQ_EUlSP_E0_NS1_11comp_targetILNS1_3genE8ELNS1_11target_archE1030ELNS1_3gpuE2ELNS1_3repE0EEENS1_30default_config_static_selectorELNS0_4arch9wavefront6targetE1EEEvT1_,@function
_ZN7rocprim17ROCPRIM_400000_NS6detail17trampoline_kernelINS0_14default_configENS1_20scan_config_selectorIiEEZZNS1_9scan_implILNS1_25lookback_scan_determinismE0ELb1ELb1ES3_N6thrust23THRUST_200600_302600_NS6detail15normal_iteratorINS9_10device_ptrIiEEEESE_iNS9_4plusIvEEiEEDaPvRmT3_T4_T5_mT6_P12ihipStream_tbENKUlT_T0_E_clISt17integral_constantIbLb0EEST_IbLb1EEEEDaSP_SQ_EUlSP_E0_NS1_11comp_targetILNS1_3genE8ELNS1_11target_archE1030ELNS1_3gpuE2ELNS1_3repE0EEENS1_30default_config_static_selectorELNS0_4arch9wavefront6targetE1EEEvT1_: ; @_ZN7rocprim17ROCPRIM_400000_NS6detail17trampoline_kernelINS0_14default_configENS1_20scan_config_selectorIiEEZZNS1_9scan_implILNS1_25lookback_scan_determinismE0ELb1ELb1ES3_N6thrust23THRUST_200600_302600_NS6detail15normal_iteratorINS9_10device_ptrIiEEEESE_iNS9_4plusIvEEiEEDaPvRmT3_T4_T5_mT6_P12ihipStream_tbENKUlT_T0_E_clISt17integral_constantIbLb0EEST_IbLb1EEEEDaSP_SQ_EUlSP_E0_NS1_11comp_targetILNS1_3genE8ELNS1_11target_archE1030ELNS1_3gpuE2ELNS1_3repE0EEENS1_30default_config_static_selectorELNS0_4arch9wavefront6targetE1EEEvT1_
; %bb.0:
	.section	.rodata,"a",@progbits
	.p2align	6, 0x0
	.amdhsa_kernel _ZN7rocprim17ROCPRIM_400000_NS6detail17trampoline_kernelINS0_14default_configENS1_20scan_config_selectorIiEEZZNS1_9scan_implILNS1_25lookback_scan_determinismE0ELb1ELb1ES3_N6thrust23THRUST_200600_302600_NS6detail15normal_iteratorINS9_10device_ptrIiEEEESE_iNS9_4plusIvEEiEEDaPvRmT3_T4_T5_mT6_P12ihipStream_tbENKUlT_T0_E_clISt17integral_constantIbLb0EEST_IbLb1EEEEDaSP_SQ_EUlSP_E0_NS1_11comp_targetILNS1_3genE8ELNS1_11target_archE1030ELNS1_3gpuE2ELNS1_3repE0EEENS1_30default_config_static_selectorELNS0_4arch9wavefront6targetE1EEEvT1_
		.amdhsa_group_segment_fixed_size 0
		.amdhsa_private_segment_fixed_size 0
		.amdhsa_kernarg_size 32
		.amdhsa_user_sgpr_count 6
		.amdhsa_user_sgpr_private_segment_buffer 1
		.amdhsa_user_sgpr_dispatch_ptr 0
		.amdhsa_user_sgpr_queue_ptr 0
		.amdhsa_user_sgpr_kernarg_segment_ptr 1
		.amdhsa_user_sgpr_dispatch_id 0
		.amdhsa_user_sgpr_flat_scratch_init 0
		.amdhsa_user_sgpr_kernarg_preload_length 0
		.amdhsa_user_sgpr_kernarg_preload_offset 0
		.amdhsa_user_sgpr_private_segment_size 0
		.amdhsa_uses_dynamic_stack 0
		.amdhsa_system_sgpr_private_segment_wavefront_offset 0
		.amdhsa_system_sgpr_workgroup_id_x 1
		.amdhsa_system_sgpr_workgroup_id_y 0
		.amdhsa_system_sgpr_workgroup_id_z 0
		.amdhsa_system_sgpr_workgroup_info 0
		.amdhsa_system_vgpr_workitem_id 0
		.amdhsa_next_free_vgpr 1
		.amdhsa_next_free_sgpr 0
		.amdhsa_accum_offset 4
		.amdhsa_reserve_vcc 0
		.amdhsa_reserve_flat_scratch 0
		.amdhsa_float_round_mode_32 0
		.amdhsa_float_round_mode_16_64 0
		.amdhsa_float_denorm_mode_32 3
		.amdhsa_float_denorm_mode_16_64 3
		.amdhsa_dx10_clamp 1
		.amdhsa_ieee_mode 1
		.amdhsa_fp16_overflow 0
		.amdhsa_tg_split 0
		.amdhsa_exception_fp_ieee_invalid_op 0
		.amdhsa_exception_fp_denorm_src 0
		.amdhsa_exception_fp_ieee_div_zero 0
		.amdhsa_exception_fp_ieee_overflow 0
		.amdhsa_exception_fp_ieee_underflow 0
		.amdhsa_exception_fp_ieee_inexact 0
		.amdhsa_exception_int_div_zero 0
	.end_amdhsa_kernel
	.section	.text._ZN7rocprim17ROCPRIM_400000_NS6detail17trampoline_kernelINS0_14default_configENS1_20scan_config_selectorIiEEZZNS1_9scan_implILNS1_25lookback_scan_determinismE0ELb1ELb1ES3_N6thrust23THRUST_200600_302600_NS6detail15normal_iteratorINS9_10device_ptrIiEEEESE_iNS9_4plusIvEEiEEDaPvRmT3_T4_T5_mT6_P12ihipStream_tbENKUlT_T0_E_clISt17integral_constantIbLb0EEST_IbLb1EEEEDaSP_SQ_EUlSP_E0_NS1_11comp_targetILNS1_3genE8ELNS1_11target_archE1030ELNS1_3gpuE2ELNS1_3repE0EEENS1_30default_config_static_selectorELNS0_4arch9wavefront6targetE1EEEvT1_,"axG",@progbits,_ZN7rocprim17ROCPRIM_400000_NS6detail17trampoline_kernelINS0_14default_configENS1_20scan_config_selectorIiEEZZNS1_9scan_implILNS1_25lookback_scan_determinismE0ELb1ELb1ES3_N6thrust23THRUST_200600_302600_NS6detail15normal_iteratorINS9_10device_ptrIiEEEESE_iNS9_4plusIvEEiEEDaPvRmT3_T4_T5_mT6_P12ihipStream_tbENKUlT_T0_E_clISt17integral_constantIbLb0EEST_IbLb1EEEEDaSP_SQ_EUlSP_E0_NS1_11comp_targetILNS1_3genE8ELNS1_11target_archE1030ELNS1_3gpuE2ELNS1_3repE0EEENS1_30default_config_static_selectorELNS0_4arch9wavefront6targetE1EEEvT1_,comdat
.Lfunc_end875:
	.size	_ZN7rocprim17ROCPRIM_400000_NS6detail17trampoline_kernelINS0_14default_configENS1_20scan_config_selectorIiEEZZNS1_9scan_implILNS1_25lookback_scan_determinismE0ELb1ELb1ES3_N6thrust23THRUST_200600_302600_NS6detail15normal_iteratorINS9_10device_ptrIiEEEESE_iNS9_4plusIvEEiEEDaPvRmT3_T4_T5_mT6_P12ihipStream_tbENKUlT_T0_E_clISt17integral_constantIbLb0EEST_IbLb1EEEEDaSP_SQ_EUlSP_E0_NS1_11comp_targetILNS1_3genE8ELNS1_11target_archE1030ELNS1_3gpuE2ELNS1_3repE0EEENS1_30default_config_static_selectorELNS0_4arch9wavefront6targetE1EEEvT1_, .Lfunc_end875-_ZN7rocprim17ROCPRIM_400000_NS6detail17trampoline_kernelINS0_14default_configENS1_20scan_config_selectorIiEEZZNS1_9scan_implILNS1_25lookback_scan_determinismE0ELb1ELb1ES3_N6thrust23THRUST_200600_302600_NS6detail15normal_iteratorINS9_10device_ptrIiEEEESE_iNS9_4plusIvEEiEEDaPvRmT3_T4_T5_mT6_P12ihipStream_tbENKUlT_T0_E_clISt17integral_constantIbLb0EEST_IbLb1EEEEDaSP_SQ_EUlSP_E0_NS1_11comp_targetILNS1_3genE8ELNS1_11target_archE1030ELNS1_3gpuE2ELNS1_3repE0EEENS1_30default_config_static_selectorELNS0_4arch9wavefront6targetE1EEEvT1_
                                        ; -- End function
	.section	.AMDGPU.csdata,"",@progbits
; Kernel info:
; codeLenInByte = 0
; NumSgprs: 4
; NumVgprs: 0
; NumAgprs: 0
; TotalNumVgprs: 0
; ScratchSize: 0
; MemoryBound: 0
; FloatMode: 240
; IeeeMode: 1
; LDSByteSize: 0 bytes/workgroup (compile time only)
; SGPRBlocks: 0
; VGPRBlocks: 0
; NumSGPRsForWavesPerEU: 4
; NumVGPRsForWavesPerEU: 1
; AccumOffset: 4
; Occupancy: 8
; WaveLimiterHint : 0
; COMPUTE_PGM_RSRC2:SCRATCH_EN: 0
; COMPUTE_PGM_RSRC2:USER_SGPR: 6
; COMPUTE_PGM_RSRC2:TRAP_HANDLER: 0
; COMPUTE_PGM_RSRC2:TGID_X_EN: 1
; COMPUTE_PGM_RSRC2:TGID_Y_EN: 0
; COMPUTE_PGM_RSRC2:TGID_Z_EN: 0
; COMPUTE_PGM_RSRC2:TIDIG_COMP_CNT: 0
; COMPUTE_PGM_RSRC3_GFX90A:ACCUM_OFFSET: 0
; COMPUTE_PGM_RSRC3_GFX90A:TG_SPLIT: 0
	.section	.text._ZN6thrust23THRUST_200600_302600_NS11hip_rocprim14__parallel_for6kernelILj256ENS1_20__uninitialized_fill7functorINS0_10device_ptrIsEEsEEmLj1EEEvT0_T1_SA_,"axG",@progbits,_ZN6thrust23THRUST_200600_302600_NS11hip_rocprim14__parallel_for6kernelILj256ENS1_20__uninitialized_fill7functorINS0_10device_ptrIsEEsEEmLj1EEEvT0_T1_SA_,comdat
	.protected	_ZN6thrust23THRUST_200600_302600_NS11hip_rocprim14__parallel_for6kernelILj256ENS1_20__uninitialized_fill7functorINS0_10device_ptrIsEEsEEmLj1EEEvT0_T1_SA_ ; -- Begin function _ZN6thrust23THRUST_200600_302600_NS11hip_rocprim14__parallel_for6kernelILj256ENS1_20__uninitialized_fill7functorINS0_10device_ptrIsEEsEEmLj1EEEvT0_T1_SA_
	.globl	_ZN6thrust23THRUST_200600_302600_NS11hip_rocprim14__parallel_for6kernelILj256ENS1_20__uninitialized_fill7functorINS0_10device_ptrIsEEsEEmLj1EEEvT0_T1_SA_
	.p2align	8
	.type	_ZN6thrust23THRUST_200600_302600_NS11hip_rocprim14__parallel_for6kernelILj256ENS1_20__uninitialized_fill7functorINS0_10device_ptrIsEEsEEmLj1EEEvT0_T1_SA_,@function
_ZN6thrust23THRUST_200600_302600_NS11hip_rocprim14__parallel_for6kernelILj256ENS1_20__uninitialized_fill7functorINS0_10device_ptrIsEEsEEmLj1EEEvT0_T1_SA_: ; @_ZN6thrust23THRUST_200600_302600_NS11hip_rocprim14__parallel_for6kernelILj256ENS1_20__uninitialized_fill7functorINS0_10device_ptrIsEEsEEmLj1EEEvT0_T1_SA_
; %bb.0:
	s_load_dwordx4 s[8:11], s[4:5], 0x10
	s_lshl_b32 s0, s6, 8
	v_mov_b32_e32 v2, 0x100
	v_mov_b32_e32 v3, 0
	s_waitcnt lgkmcnt(0)
	s_add_u32 s0, s0, s10
	s_addc_u32 s1, 0, s11
	s_sub_u32 s2, s8, s0
	s_subb_u32 s3, s9, s1
	v_cmp_lt_u64_e32 vcc, s[2:3], v[2:3]
	s_cbranch_vccz .LBB876_2
; %bb.1:
	v_cmp_gt_u32_e32 vcc, s2, v0
	s_and_b64 s[2:3], vcc, exec
	s_cbranch_execz .LBB876_3
	s_branch .LBB876_4
.LBB876_2:
	s_mov_b64 s[2:3], 0
.LBB876_3:
	s_or_b64 s[2:3], s[2:3], exec
.LBB876_4:
	s_and_saveexec_b64 s[6:7], s[2:3]
	s_cbranch_execnz .LBB876_6
; %bb.5:
	s_endpgm
.LBB876_6:
	s_load_dwordx2 s[2:3], s[4:5], 0x0
	s_load_dword s6, s[4:5], 0x8
	s_lshl_b64 s[0:1], s[0:1], 1
	v_mov_b32_e32 v1, 0
	v_lshlrev_b64 v[0:1], 1, v[0:1]
	s_waitcnt lgkmcnt(0)
	s_add_u32 s0, s2, s0
	s_addc_u32 s1, s3, s1
	v_mov_b32_e32 v2, s1
	v_add_co_u32_e32 v0, vcc, s0, v0
	v_addc_co_u32_e32 v1, vcc, v2, v1, vcc
	v_mov_b32_e32 v2, s6
	flat_store_short v[0:1], v2
	s_endpgm
	.section	.rodata,"a",@progbits
	.p2align	6, 0x0
	.amdhsa_kernel _ZN6thrust23THRUST_200600_302600_NS11hip_rocprim14__parallel_for6kernelILj256ENS1_20__uninitialized_fill7functorINS0_10device_ptrIsEEsEEmLj1EEEvT0_T1_SA_
		.amdhsa_group_segment_fixed_size 0
		.amdhsa_private_segment_fixed_size 0
		.amdhsa_kernarg_size 32
		.amdhsa_user_sgpr_count 6
		.amdhsa_user_sgpr_private_segment_buffer 1
		.amdhsa_user_sgpr_dispatch_ptr 0
		.amdhsa_user_sgpr_queue_ptr 0
		.amdhsa_user_sgpr_kernarg_segment_ptr 1
		.amdhsa_user_sgpr_dispatch_id 0
		.amdhsa_user_sgpr_flat_scratch_init 0
		.amdhsa_user_sgpr_kernarg_preload_length 0
		.amdhsa_user_sgpr_kernarg_preload_offset 0
		.amdhsa_user_sgpr_private_segment_size 0
		.amdhsa_uses_dynamic_stack 0
		.amdhsa_system_sgpr_private_segment_wavefront_offset 0
		.amdhsa_system_sgpr_workgroup_id_x 1
		.amdhsa_system_sgpr_workgroup_id_y 0
		.amdhsa_system_sgpr_workgroup_id_z 0
		.amdhsa_system_sgpr_workgroup_info 0
		.amdhsa_system_vgpr_workitem_id 0
		.amdhsa_next_free_vgpr 4
		.amdhsa_next_free_sgpr 12
		.amdhsa_accum_offset 4
		.amdhsa_reserve_vcc 1
		.amdhsa_reserve_flat_scratch 0
		.amdhsa_float_round_mode_32 0
		.amdhsa_float_round_mode_16_64 0
		.amdhsa_float_denorm_mode_32 3
		.amdhsa_float_denorm_mode_16_64 3
		.amdhsa_dx10_clamp 1
		.amdhsa_ieee_mode 1
		.amdhsa_fp16_overflow 0
		.amdhsa_tg_split 0
		.amdhsa_exception_fp_ieee_invalid_op 0
		.amdhsa_exception_fp_denorm_src 0
		.amdhsa_exception_fp_ieee_div_zero 0
		.amdhsa_exception_fp_ieee_overflow 0
		.amdhsa_exception_fp_ieee_underflow 0
		.amdhsa_exception_fp_ieee_inexact 0
		.amdhsa_exception_int_div_zero 0
	.end_amdhsa_kernel
	.section	.text._ZN6thrust23THRUST_200600_302600_NS11hip_rocprim14__parallel_for6kernelILj256ENS1_20__uninitialized_fill7functorINS0_10device_ptrIsEEsEEmLj1EEEvT0_T1_SA_,"axG",@progbits,_ZN6thrust23THRUST_200600_302600_NS11hip_rocprim14__parallel_for6kernelILj256ENS1_20__uninitialized_fill7functorINS0_10device_ptrIsEEsEEmLj1EEEvT0_T1_SA_,comdat
.Lfunc_end876:
	.size	_ZN6thrust23THRUST_200600_302600_NS11hip_rocprim14__parallel_for6kernelILj256ENS1_20__uninitialized_fill7functorINS0_10device_ptrIsEEsEEmLj1EEEvT0_T1_SA_, .Lfunc_end876-_ZN6thrust23THRUST_200600_302600_NS11hip_rocprim14__parallel_for6kernelILj256ENS1_20__uninitialized_fill7functorINS0_10device_ptrIsEEsEEmLj1EEEvT0_T1_SA_
                                        ; -- End function
	.section	.AMDGPU.csdata,"",@progbits
; Kernel info:
; codeLenInByte = 160
; NumSgprs: 16
; NumVgprs: 4
; NumAgprs: 0
; TotalNumVgprs: 4
; ScratchSize: 0
; MemoryBound: 0
; FloatMode: 240
; IeeeMode: 1
; LDSByteSize: 0 bytes/workgroup (compile time only)
; SGPRBlocks: 1
; VGPRBlocks: 0
; NumSGPRsForWavesPerEU: 16
; NumVGPRsForWavesPerEU: 4
; AccumOffset: 4
; Occupancy: 8
; WaveLimiterHint : 0
; COMPUTE_PGM_RSRC2:SCRATCH_EN: 0
; COMPUTE_PGM_RSRC2:USER_SGPR: 6
; COMPUTE_PGM_RSRC2:TRAP_HANDLER: 0
; COMPUTE_PGM_RSRC2:TGID_X_EN: 1
; COMPUTE_PGM_RSRC2:TGID_Y_EN: 0
; COMPUTE_PGM_RSRC2:TGID_Z_EN: 0
; COMPUTE_PGM_RSRC2:TIDIG_COMP_CNT: 0
; COMPUTE_PGM_RSRC3_GFX90A:ACCUM_OFFSET: 0
; COMPUTE_PGM_RSRC3_GFX90A:TG_SPLIT: 0
	.section	.text._ZN7rocprim17ROCPRIM_400000_NS6detail31init_lookback_scan_state_kernelINS1_19lookback_scan_stateIsLb0ELb1EEENS1_16block_id_wrapperIjLb0EEEEEvT_jT0_jPNS7_10value_typeE,"axG",@progbits,_ZN7rocprim17ROCPRIM_400000_NS6detail31init_lookback_scan_state_kernelINS1_19lookback_scan_stateIsLb0ELb1EEENS1_16block_id_wrapperIjLb0EEEEEvT_jT0_jPNS7_10value_typeE,comdat
	.protected	_ZN7rocprim17ROCPRIM_400000_NS6detail31init_lookback_scan_state_kernelINS1_19lookback_scan_stateIsLb0ELb1EEENS1_16block_id_wrapperIjLb0EEEEEvT_jT0_jPNS7_10value_typeE ; -- Begin function _ZN7rocprim17ROCPRIM_400000_NS6detail31init_lookback_scan_state_kernelINS1_19lookback_scan_stateIsLb0ELb1EEENS1_16block_id_wrapperIjLb0EEEEEvT_jT0_jPNS7_10value_typeE
	.globl	_ZN7rocprim17ROCPRIM_400000_NS6detail31init_lookback_scan_state_kernelINS1_19lookback_scan_stateIsLb0ELb1EEENS1_16block_id_wrapperIjLb0EEEEEvT_jT0_jPNS7_10value_typeE
	.p2align	8
	.type	_ZN7rocprim17ROCPRIM_400000_NS6detail31init_lookback_scan_state_kernelINS1_19lookback_scan_stateIsLb0ELb1EEENS1_16block_id_wrapperIjLb0EEEEEvT_jT0_jPNS7_10value_typeE,@function
_ZN7rocprim17ROCPRIM_400000_NS6detail31init_lookback_scan_state_kernelINS1_19lookback_scan_stateIsLb0ELb1EEENS1_16block_id_wrapperIjLb0EEEEEvT_jT0_jPNS7_10value_typeE: ; @_ZN7rocprim17ROCPRIM_400000_NS6detail31init_lookback_scan_state_kernelINS1_19lookback_scan_stateIsLb0ELb1EEENS1_16block_id_wrapperIjLb0EEEEEvT_jT0_jPNS7_10value_typeE
; %bb.0:
	s_load_dword s7, s[4:5], 0x2c
	s_load_dwordx2 s[2:3], s[4:5], 0x18
	s_load_dwordx2 s[0:1], s[4:5], 0x0
	s_load_dword s8, s[4:5], 0x8
	s_waitcnt lgkmcnt(0)
	s_and_b32 s7, s7, 0xffff
	s_mul_i32 s6, s6, s7
	s_cmp_eq_u64 s[2:3], 0
	v_add_u32_e32 v0, s6, v0
	s_cbranch_scc1 .LBB877_6
; %bb.1:
	s_load_dword s6, s[4:5], 0x10
	s_mov_b32 s7, 0
	s_waitcnt lgkmcnt(0)
	s_cmp_lt_u32 s6, s8
	s_cselect_b32 s4, s6, 0
	v_cmp_eq_u32_e32 vcc, s4, v0
	s_and_saveexec_b64 s[4:5], vcc
	s_cbranch_execz .LBB877_5
; %bb.2:
	s_add_i32 s6, s6, 64
	s_lshl_b64 s[6:7], s[6:7], 2
	s_add_u32 s6, s0, s6
	s_addc_u32 s7, s1, s7
	v_mov_b32_e32 v2, 0
	global_load_dword v1, v2, s[6:7] glc
	s_waitcnt vmcnt(0)
	v_and_b32_e32 v3, 0xff0000, v1
	v_cmp_ne_u32_e32 vcc, 0, v3
	s_cbranch_vccnz .LBB877_4
.LBB877_3:                              ; =>This Inner Loop Header: Depth=1
	global_load_dword v1, v2, s[6:7] glc
	s_waitcnt vmcnt(0)
	v_and_b32_e32 v3, 0xff0000, v1
	v_cmp_eq_u32_e32 vcc, 0, v3
	s_cbranch_vccnz .LBB877_3
.LBB877_4:
	v_mov_b32_e32 v2, 0
	global_store_short v2, v1, s[2:3]
.LBB877_5:
	s_or_b64 exec, exec, s[4:5]
.LBB877_6:
	v_cmp_gt_u32_e32 vcc, s8, v0
	s_and_saveexec_b64 s[2:3], vcc
	s_cbranch_execnz .LBB877_9
; %bb.7:
	s_or_b64 exec, exec, s[2:3]
	v_cmp_gt_u32_e32 vcc, 64, v0
	s_and_saveexec_b64 s[2:3], vcc
	s_cbranch_execnz .LBB877_10
.LBB877_8:
	s_endpgm
.LBB877_9:
	v_add_u32_e32 v2, 64, v0
	v_mov_b32_e32 v3, 0
	v_lshlrev_b64 v[4:5], 2, v[2:3]
	v_mov_b32_e32 v1, s1
	v_add_co_u32_e32 v4, vcc, s0, v4
	v_addc_co_u32_e32 v5, vcc, v1, v5, vcc
	global_store_dword v[4:5], v3, off
	s_or_b64 exec, exec, s[2:3]
	v_cmp_gt_u32_e32 vcc, 64, v0
	s_and_saveexec_b64 s[2:3], vcc
	s_cbranch_execz .LBB877_8
.LBB877_10:
	v_mov_b32_e32 v1, 0
	v_lshlrev_b64 v[0:1], 2, v[0:1]
	v_mov_b32_e32 v2, s1
	v_add_co_u32_e32 v0, vcc, s0, v0
	v_addc_co_u32_e32 v1, vcc, v2, v1, vcc
	v_mov_b32_e32 v2, 0xff0000
	global_store_dword v[0:1], v2, off
	s_endpgm
	.section	.rodata,"a",@progbits
	.p2align	6, 0x0
	.amdhsa_kernel _ZN7rocprim17ROCPRIM_400000_NS6detail31init_lookback_scan_state_kernelINS1_19lookback_scan_stateIsLb0ELb1EEENS1_16block_id_wrapperIjLb0EEEEEvT_jT0_jPNS7_10value_typeE
		.amdhsa_group_segment_fixed_size 0
		.amdhsa_private_segment_fixed_size 0
		.amdhsa_kernarg_size 288
		.amdhsa_user_sgpr_count 6
		.amdhsa_user_sgpr_private_segment_buffer 1
		.amdhsa_user_sgpr_dispatch_ptr 0
		.amdhsa_user_sgpr_queue_ptr 0
		.amdhsa_user_sgpr_kernarg_segment_ptr 1
		.amdhsa_user_sgpr_dispatch_id 0
		.amdhsa_user_sgpr_flat_scratch_init 0
		.amdhsa_user_sgpr_kernarg_preload_length 0
		.amdhsa_user_sgpr_kernarg_preload_offset 0
		.amdhsa_user_sgpr_private_segment_size 0
		.amdhsa_uses_dynamic_stack 0
		.amdhsa_system_sgpr_private_segment_wavefront_offset 0
		.amdhsa_system_sgpr_workgroup_id_x 1
		.amdhsa_system_sgpr_workgroup_id_y 0
		.amdhsa_system_sgpr_workgroup_id_z 0
		.amdhsa_system_sgpr_workgroup_info 0
		.amdhsa_system_vgpr_workitem_id 0
		.amdhsa_next_free_vgpr 6
		.amdhsa_next_free_sgpr 9
		.amdhsa_accum_offset 8
		.amdhsa_reserve_vcc 1
		.amdhsa_reserve_flat_scratch 0
		.amdhsa_float_round_mode_32 0
		.amdhsa_float_round_mode_16_64 0
		.amdhsa_float_denorm_mode_32 3
		.amdhsa_float_denorm_mode_16_64 3
		.amdhsa_dx10_clamp 1
		.amdhsa_ieee_mode 1
		.amdhsa_fp16_overflow 0
		.amdhsa_tg_split 0
		.amdhsa_exception_fp_ieee_invalid_op 0
		.amdhsa_exception_fp_denorm_src 0
		.amdhsa_exception_fp_ieee_div_zero 0
		.amdhsa_exception_fp_ieee_overflow 0
		.amdhsa_exception_fp_ieee_underflow 0
		.amdhsa_exception_fp_ieee_inexact 0
		.amdhsa_exception_int_div_zero 0
	.end_amdhsa_kernel
	.section	.text._ZN7rocprim17ROCPRIM_400000_NS6detail31init_lookback_scan_state_kernelINS1_19lookback_scan_stateIsLb0ELb1EEENS1_16block_id_wrapperIjLb0EEEEEvT_jT0_jPNS7_10value_typeE,"axG",@progbits,_ZN7rocprim17ROCPRIM_400000_NS6detail31init_lookback_scan_state_kernelINS1_19lookback_scan_stateIsLb0ELb1EEENS1_16block_id_wrapperIjLb0EEEEEvT_jT0_jPNS7_10value_typeE,comdat
.Lfunc_end877:
	.size	_ZN7rocprim17ROCPRIM_400000_NS6detail31init_lookback_scan_state_kernelINS1_19lookback_scan_stateIsLb0ELb1EEENS1_16block_id_wrapperIjLb0EEEEEvT_jT0_jPNS7_10value_typeE, .Lfunc_end877-_ZN7rocprim17ROCPRIM_400000_NS6detail31init_lookback_scan_state_kernelINS1_19lookback_scan_stateIsLb0ELb1EEENS1_16block_id_wrapperIjLb0EEEEEvT_jT0_jPNS7_10value_typeE
                                        ; -- End function
	.section	.AMDGPU.csdata,"",@progbits
; Kernel info:
; codeLenInByte = 316
; NumSgprs: 13
; NumVgprs: 6
; NumAgprs: 0
; TotalNumVgprs: 6
; ScratchSize: 0
; MemoryBound: 0
; FloatMode: 240
; IeeeMode: 1
; LDSByteSize: 0 bytes/workgroup (compile time only)
; SGPRBlocks: 1
; VGPRBlocks: 0
; NumSGPRsForWavesPerEU: 13
; NumVGPRsForWavesPerEU: 6
; AccumOffset: 8
; Occupancy: 8
; WaveLimiterHint : 0
; COMPUTE_PGM_RSRC2:SCRATCH_EN: 0
; COMPUTE_PGM_RSRC2:USER_SGPR: 6
; COMPUTE_PGM_RSRC2:TRAP_HANDLER: 0
; COMPUTE_PGM_RSRC2:TGID_X_EN: 1
; COMPUTE_PGM_RSRC2:TGID_Y_EN: 0
; COMPUTE_PGM_RSRC2:TGID_Z_EN: 0
; COMPUTE_PGM_RSRC2:TIDIG_COMP_CNT: 0
; COMPUTE_PGM_RSRC3_GFX90A:ACCUM_OFFSET: 1
; COMPUTE_PGM_RSRC3_GFX90A:TG_SPLIT: 0
	.section	.text._ZN7rocprim17ROCPRIM_400000_NS6detail17trampoline_kernelINS0_14default_configENS1_20scan_config_selectorIsEEZZNS1_9scan_implILNS1_25lookback_scan_determinismE0ELb0ELb0ES3_N6thrust23THRUST_200600_302600_NS6detail15normal_iteratorINS9_10device_ptrIsEEEESE_sNS9_4plusIvEEsEEDaPvRmT3_T4_T5_mT6_P12ihipStream_tbENKUlT_T0_E_clISt17integral_constantIbLb0EESU_EEDaSP_SQ_EUlSP_E_NS1_11comp_targetILNS1_3genE0ELNS1_11target_archE4294967295ELNS1_3gpuE0ELNS1_3repE0EEENS1_30default_config_static_selectorELNS0_4arch9wavefront6targetE1EEEvT1_,"axG",@progbits,_ZN7rocprim17ROCPRIM_400000_NS6detail17trampoline_kernelINS0_14default_configENS1_20scan_config_selectorIsEEZZNS1_9scan_implILNS1_25lookback_scan_determinismE0ELb0ELb0ES3_N6thrust23THRUST_200600_302600_NS6detail15normal_iteratorINS9_10device_ptrIsEEEESE_sNS9_4plusIvEEsEEDaPvRmT3_T4_T5_mT6_P12ihipStream_tbENKUlT_T0_E_clISt17integral_constantIbLb0EESU_EEDaSP_SQ_EUlSP_E_NS1_11comp_targetILNS1_3genE0ELNS1_11target_archE4294967295ELNS1_3gpuE0ELNS1_3repE0EEENS1_30default_config_static_selectorELNS0_4arch9wavefront6targetE1EEEvT1_,comdat
	.protected	_ZN7rocprim17ROCPRIM_400000_NS6detail17trampoline_kernelINS0_14default_configENS1_20scan_config_selectorIsEEZZNS1_9scan_implILNS1_25lookback_scan_determinismE0ELb0ELb0ES3_N6thrust23THRUST_200600_302600_NS6detail15normal_iteratorINS9_10device_ptrIsEEEESE_sNS9_4plusIvEEsEEDaPvRmT3_T4_T5_mT6_P12ihipStream_tbENKUlT_T0_E_clISt17integral_constantIbLb0EESU_EEDaSP_SQ_EUlSP_E_NS1_11comp_targetILNS1_3genE0ELNS1_11target_archE4294967295ELNS1_3gpuE0ELNS1_3repE0EEENS1_30default_config_static_selectorELNS0_4arch9wavefront6targetE1EEEvT1_ ; -- Begin function _ZN7rocprim17ROCPRIM_400000_NS6detail17trampoline_kernelINS0_14default_configENS1_20scan_config_selectorIsEEZZNS1_9scan_implILNS1_25lookback_scan_determinismE0ELb0ELb0ES3_N6thrust23THRUST_200600_302600_NS6detail15normal_iteratorINS9_10device_ptrIsEEEESE_sNS9_4plusIvEEsEEDaPvRmT3_T4_T5_mT6_P12ihipStream_tbENKUlT_T0_E_clISt17integral_constantIbLb0EESU_EEDaSP_SQ_EUlSP_E_NS1_11comp_targetILNS1_3genE0ELNS1_11target_archE4294967295ELNS1_3gpuE0ELNS1_3repE0EEENS1_30default_config_static_selectorELNS0_4arch9wavefront6targetE1EEEvT1_
	.globl	_ZN7rocprim17ROCPRIM_400000_NS6detail17trampoline_kernelINS0_14default_configENS1_20scan_config_selectorIsEEZZNS1_9scan_implILNS1_25lookback_scan_determinismE0ELb0ELb0ES3_N6thrust23THRUST_200600_302600_NS6detail15normal_iteratorINS9_10device_ptrIsEEEESE_sNS9_4plusIvEEsEEDaPvRmT3_T4_T5_mT6_P12ihipStream_tbENKUlT_T0_E_clISt17integral_constantIbLb0EESU_EEDaSP_SQ_EUlSP_E_NS1_11comp_targetILNS1_3genE0ELNS1_11target_archE4294967295ELNS1_3gpuE0ELNS1_3repE0EEENS1_30default_config_static_selectorELNS0_4arch9wavefront6targetE1EEEvT1_
	.p2align	8
	.type	_ZN7rocprim17ROCPRIM_400000_NS6detail17trampoline_kernelINS0_14default_configENS1_20scan_config_selectorIsEEZZNS1_9scan_implILNS1_25lookback_scan_determinismE0ELb0ELb0ES3_N6thrust23THRUST_200600_302600_NS6detail15normal_iteratorINS9_10device_ptrIsEEEESE_sNS9_4plusIvEEsEEDaPvRmT3_T4_T5_mT6_P12ihipStream_tbENKUlT_T0_E_clISt17integral_constantIbLb0EESU_EEDaSP_SQ_EUlSP_E_NS1_11comp_targetILNS1_3genE0ELNS1_11target_archE4294967295ELNS1_3gpuE0ELNS1_3repE0EEENS1_30default_config_static_selectorELNS0_4arch9wavefront6targetE1EEEvT1_,@function
_ZN7rocprim17ROCPRIM_400000_NS6detail17trampoline_kernelINS0_14default_configENS1_20scan_config_selectorIsEEZZNS1_9scan_implILNS1_25lookback_scan_determinismE0ELb0ELb0ES3_N6thrust23THRUST_200600_302600_NS6detail15normal_iteratorINS9_10device_ptrIsEEEESE_sNS9_4plusIvEEsEEDaPvRmT3_T4_T5_mT6_P12ihipStream_tbENKUlT_T0_E_clISt17integral_constantIbLb0EESU_EEDaSP_SQ_EUlSP_E_NS1_11comp_targetILNS1_3genE0ELNS1_11target_archE4294967295ELNS1_3gpuE0ELNS1_3repE0EEENS1_30default_config_static_selectorELNS0_4arch9wavefront6targetE1EEEvT1_: ; @_ZN7rocprim17ROCPRIM_400000_NS6detail17trampoline_kernelINS0_14default_configENS1_20scan_config_selectorIsEEZZNS1_9scan_implILNS1_25lookback_scan_determinismE0ELb0ELb0ES3_N6thrust23THRUST_200600_302600_NS6detail15normal_iteratorINS9_10device_ptrIsEEEESE_sNS9_4plusIvEEsEEDaPvRmT3_T4_T5_mT6_P12ihipStream_tbENKUlT_T0_E_clISt17integral_constantIbLb0EESU_EEDaSP_SQ_EUlSP_E_NS1_11comp_targetILNS1_3genE0ELNS1_11target_archE4294967295ELNS1_3gpuE0ELNS1_3repE0EEENS1_30default_config_static_selectorELNS0_4arch9wavefront6targetE1EEEvT1_
; %bb.0:
	.section	.rodata,"a",@progbits
	.p2align	6, 0x0
	.amdhsa_kernel _ZN7rocprim17ROCPRIM_400000_NS6detail17trampoline_kernelINS0_14default_configENS1_20scan_config_selectorIsEEZZNS1_9scan_implILNS1_25lookback_scan_determinismE0ELb0ELb0ES3_N6thrust23THRUST_200600_302600_NS6detail15normal_iteratorINS9_10device_ptrIsEEEESE_sNS9_4plusIvEEsEEDaPvRmT3_T4_T5_mT6_P12ihipStream_tbENKUlT_T0_E_clISt17integral_constantIbLb0EESU_EEDaSP_SQ_EUlSP_E_NS1_11comp_targetILNS1_3genE0ELNS1_11target_archE4294967295ELNS1_3gpuE0ELNS1_3repE0EEENS1_30default_config_static_selectorELNS0_4arch9wavefront6targetE1EEEvT1_
		.amdhsa_group_segment_fixed_size 0
		.amdhsa_private_segment_fixed_size 0
		.amdhsa_kernarg_size 96
		.amdhsa_user_sgpr_count 6
		.amdhsa_user_sgpr_private_segment_buffer 1
		.amdhsa_user_sgpr_dispatch_ptr 0
		.amdhsa_user_sgpr_queue_ptr 0
		.amdhsa_user_sgpr_kernarg_segment_ptr 1
		.amdhsa_user_sgpr_dispatch_id 0
		.amdhsa_user_sgpr_flat_scratch_init 0
		.amdhsa_user_sgpr_kernarg_preload_length 0
		.amdhsa_user_sgpr_kernarg_preload_offset 0
		.amdhsa_user_sgpr_private_segment_size 0
		.amdhsa_uses_dynamic_stack 0
		.amdhsa_system_sgpr_private_segment_wavefront_offset 0
		.amdhsa_system_sgpr_workgroup_id_x 1
		.amdhsa_system_sgpr_workgroup_id_y 0
		.amdhsa_system_sgpr_workgroup_id_z 0
		.amdhsa_system_sgpr_workgroup_info 0
		.amdhsa_system_vgpr_workitem_id 0
		.amdhsa_next_free_vgpr 1
		.amdhsa_next_free_sgpr 0
		.amdhsa_accum_offset 4
		.amdhsa_reserve_vcc 0
		.amdhsa_reserve_flat_scratch 0
		.amdhsa_float_round_mode_32 0
		.amdhsa_float_round_mode_16_64 0
		.amdhsa_float_denorm_mode_32 3
		.amdhsa_float_denorm_mode_16_64 3
		.amdhsa_dx10_clamp 1
		.amdhsa_ieee_mode 1
		.amdhsa_fp16_overflow 0
		.amdhsa_tg_split 0
		.amdhsa_exception_fp_ieee_invalid_op 0
		.amdhsa_exception_fp_denorm_src 0
		.amdhsa_exception_fp_ieee_div_zero 0
		.amdhsa_exception_fp_ieee_overflow 0
		.amdhsa_exception_fp_ieee_underflow 0
		.amdhsa_exception_fp_ieee_inexact 0
		.amdhsa_exception_int_div_zero 0
	.end_amdhsa_kernel
	.section	.text._ZN7rocprim17ROCPRIM_400000_NS6detail17trampoline_kernelINS0_14default_configENS1_20scan_config_selectorIsEEZZNS1_9scan_implILNS1_25lookback_scan_determinismE0ELb0ELb0ES3_N6thrust23THRUST_200600_302600_NS6detail15normal_iteratorINS9_10device_ptrIsEEEESE_sNS9_4plusIvEEsEEDaPvRmT3_T4_T5_mT6_P12ihipStream_tbENKUlT_T0_E_clISt17integral_constantIbLb0EESU_EEDaSP_SQ_EUlSP_E_NS1_11comp_targetILNS1_3genE0ELNS1_11target_archE4294967295ELNS1_3gpuE0ELNS1_3repE0EEENS1_30default_config_static_selectorELNS0_4arch9wavefront6targetE1EEEvT1_,"axG",@progbits,_ZN7rocprim17ROCPRIM_400000_NS6detail17trampoline_kernelINS0_14default_configENS1_20scan_config_selectorIsEEZZNS1_9scan_implILNS1_25lookback_scan_determinismE0ELb0ELb0ES3_N6thrust23THRUST_200600_302600_NS6detail15normal_iteratorINS9_10device_ptrIsEEEESE_sNS9_4plusIvEEsEEDaPvRmT3_T4_T5_mT6_P12ihipStream_tbENKUlT_T0_E_clISt17integral_constantIbLb0EESU_EEDaSP_SQ_EUlSP_E_NS1_11comp_targetILNS1_3genE0ELNS1_11target_archE4294967295ELNS1_3gpuE0ELNS1_3repE0EEENS1_30default_config_static_selectorELNS0_4arch9wavefront6targetE1EEEvT1_,comdat
.Lfunc_end878:
	.size	_ZN7rocprim17ROCPRIM_400000_NS6detail17trampoline_kernelINS0_14default_configENS1_20scan_config_selectorIsEEZZNS1_9scan_implILNS1_25lookback_scan_determinismE0ELb0ELb0ES3_N6thrust23THRUST_200600_302600_NS6detail15normal_iteratorINS9_10device_ptrIsEEEESE_sNS9_4plusIvEEsEEDaPvRmT3_T4_T5_mT6_P12ihipStream_tbENKUlT_T0_E_clISt17integral_constantIbLb0EESU_EEDaSP_SQ_EUlSP_E_NS1_11comp_targetILNS1_3genE0ELNS1_11target_archE4294967295ELNS1_3gpuE0ELNS1_3repE0EEENS1_30default_config_static_selectorELNS0_4arch9wavefront6targetE1EEEvT1_, .Lfunc_end878-_ZN7rocprim17ROCPRIM_400000_NS6detail17trampoline_kernelINS0_14default_configENS1_20scan_config_selectorIsEEZZNS1_9scan_implILNS1_25lookback_scan_determinismE0ELb0ELb0ES3_N6thrust23THRUST_200600_302600_NS6detail15normal_iteratorINS9_10device_ptrIsEEEESE_sNS9_4plusIvEEsEEDaPvRmT3_T4_T5_mT6_P12ihipStream_tbENKUlT_T0_E_clISt17integral_constantIbLb0EESU_EEDaSP_SQ_EUlSP_E_NS1_11comp_targetILNS1_3genE0ELNS1_11target_archE4294967295ELNS1_3gpuE0ELNS1_3repE0EEENS1_30default_config_static_selectorELNS0_4arch9wavefront6targetE1EEEvT1_
                                        ; -- End function
	.section	.AMDGPU.csdata,"",@progbits
; Kernel info:
; codeLenInByte = 0
; NumSgprs: 4
; NumVgprs: 0
; NumAgprs: 0
; TotalNumVgprs: 0
; ScratchSize: 0
; MemoryBound: 0
; FloatMode: 240
; IeeeMode: 1
; LDSByteSize: 0 bytes/workgroup (compile time only)
; SGPRBlocks: 0
; VGPRBlocks: 0
; NumSGPRsForWavesPerEU: 4
; NumVGPRsForWavesPerEU: 1
; AccumOffset: 4
; Occupancy: 8
; WaveLimiterHint : 0
; COMPUTE_PGM_RSRC2:SCRATCH_EN: 0
; COMPUTE_PGM_RSRC2:USER_SGPR: 6
; COMPUTE_PGM_RSRC2:TRAP_HANDLER: 0
; COMPUTE_PGM_RSRC2:TGID_X_EN: 1
; COMPUTE_PGM_RSRC2:TGID_Y_EN: 0
; COMPUTE_PGM_RSRC2:TGID_Z_EN: 0
; COMPUTE_PGM_RSRC2:TIDIG_COMP_CNT: 0
; COMPUTE_PGM_RSRC3_GFX90A:ACCUM_OFFSET: 0
; COMPUTE_PGM_RSRC3_GFX90A:TG_SPLIT: 0
	.section	.text._ZN7rocprim17ROCPRIM_400000_NS6detail17trampoline_kernelINS0_14default_configENS1_20scan_config_selectorIsEEZZNS1_9scan_implILNS1_25lookback_scan_determinismE0ELb0ELb0ES3_N6thrust23THRUST_200600_302600_NS6detail15normal_iteratorINS9_10device_ptrIsEEEESE_sNS9_4plusIvEEsEEDaPvRmT3_T4_T5_mT6_P12ihipStream_tbENKUlT_T0_E_clISt17integral_constantIbLb0EESU_EEDaSP_SQ_EUlSP_E_NS1_11comp_targetILNS1_3genE5ELNS1_11target_archE942ELNS1_3gpuE9ELNS1_3repE0EEENS1_30default_config_static_selectorELNS0_4arch9wavefront6targetE1EEEvT1_,"axG",@progbits,_ZN7rocprim17ROCPRIM_400000_NS6detail17trampoline_kernelINS0_14default_configENS1_20scan_config_selectorIsEEZZNS1_9scan_implILNS1_25lookback_scan_determinismE0ELb0ELb0ES3_N6thrust23THRUST_200600_302600_NS6detail15normal_iteratorINS9_10device_ptrIsEEEESE_sNS9_4plusIvEEsEEDaPvRmT3_T4_T5_mT6_P12ihipStream_tbENKUlT_T0_E_clISt17integral_constantIbLb0EESU_EEDaSP_SQ_EUlSP_E_NS1_11comp_targetILNS1_3genE5ELNS1_11target_archE942ELNS1_3gpuE9ELNS1_3repE0EEENS1_30default_config_static_selectorELNS0_4arch9wavefront6targetE1EEEvT1_,comdat
	.protected	_ZN7rocprim17ROCPRIM_400000_NS6detail17trampoline_kernelINS0_14default_configENS1_20scan_config_selectorIsEEZZNS1_9scan_implILNS1_25lookback_scan_determinismE0ELb0ELb0ES3_N6thrust23THRUST_200600_302600_NS6detail15normal_iteratorINS9_10device_ptrIsEEEESE_sNS9_4plusIvEEsEEDaPvRmT3_T4_T5_mT6_P12ihipStream_tbENKUlT_T0_E_clISt17integral_constantIbLb0EESU_EEDaSP_SQ_EUlSP_E_NS1_11comp_targetILNS1_3genE5ELNS1_11target_archE942ELNS1_3gpuE9ELNS1_3repE0EEENS1_30default_config_static_selectorELNS0_4arch9wavefront6targetE1EEEvT1_ ; -- Begin function _ZN7rocprim17ROCPRIM_400000_NS6detail17trampoline_kernelINS0_14default_configENS1_20scan_config_selectorIsEEZZNS1_9scan_implILNS1_25lookback_scan_determinismE0ELb0ELb0ES3_N6thrust23THRUST_200600_302600_NS6detail15normal_iteratorINS9_10device_ptrIsEEEESE_sNS9_4plusIvEEsEEDaPvRmT3_T4_T5_mT6_P12ihipStream_tbENKUlT_T0_E_clISt17integral_constantIbLb0EESU_EEDaSP_SQ_EUlSP_E_NS1_11comp_targetILNS1_3genE5ELNS1_11target_archE942ELNS1_3gpuE9ELNS1_3repE0EEENS1_30default_config_static_selectorELNS0_4arch9wavefront6targetE1EEEvT1_
	.globl	_ZN7rocprim17ROCPRIM_400000_NS6detail17trampoline_kernelINS0_14default_configENS1_20scan_config_selectorIsEEZZNS1_9scan_implILNS1_25lookback_scan_determinismE0ELb0ELb0ES3_N6thrust23THRUST_200600_302600_NS6detail15normal_iteratorINS9_10device_ptrIsEEEESE_sNS9_4plusIvEEsEEDaPvRmT3_T4_T5_mT6_P12ihipStream_tbENKUlT_T0_E_clISt17integral_constantIbLb0EESU_EEDaSP_SQ_EUlSP_E_NS1_11comp_targetILNS1_3genE5ELNS1_11target_archE942ELNS1_3gpuE9ELNS1_3repE0EEENS1_30default_config_static_selectorELNS0_4arch9wavefront6targetE1EEEvT1_
	.p2align	8
	.type	_ZN7rocprim17ROCPRIM_400000_NS6detail17trampoline_kernelINS0_14default_configENS1_20scan_config_selectorIsEEZZNS1_9scan_implILNS1_25lookback_scan_determinismE0ELb0ELb0ES3_N6thrust23THRUST_200600_302600_NS6detail15normal_iteratorINS9_10device_ptrIsEEEESE_sNS9_4plusIvEEsEEDaPvRmT3_T4_T5_mT6_P12ihipStream_tbENKUlT_T0_E_clISt17integral_constantIbLb0EESU_EEDaSP_SQ_EUlSP_E_NS1_11comp_targetILNS1_3genE5ELNS1_11target_archE942ELNS1_3gpuE9ELNS1_3repE0EEENS1_30default_config_static_selectorELNS0_4arch9wavefront6targetE1EEEvT1_,@function
_ZN7rocprim17ROCPRIM_400000_NS6detail17trampoline_kernelINS0_14default_configENS1_20scan_config_selectorIsEEZZNS1_9scan_implILNS1_25lookback_scan_determinismE0ELb0ELb0ES3_N6thrust23THRUST_200600_302600_NS6detail15normal_iteratorINS9_10device_ptrIsEEEESE_sNS9_4plusIvEEsEEDaPvRmT3_T4_T5_mT6_P12ihipStream_tbENKUlT_T0_E_clISt17integral_constantIbLb0EESU_EEDaSP_SQ_EUlSP_E_NS1_11comp_targetILNS1_3genE5ELNS1_11target_archE942ELNS1_3gpuE9ELNS1_3repE0EEENS1_30default_config_static_selectorELNS0_4arch9wavefront6targetE1EEEvT1_: ; @_ZN7rocprim17ROCPRIM_400000_NS6detail17trampoline_kernelINS0_14default_configENS1_20scan_config_selectorIsEEZZNS1_9scan_implILNS1_25lookback_scan_determinismE0ELb0ELb0ES3_N6thrust23THRUST_200600_302600_NS6detail15normal_iteratorINS9_10device_ptrIsEEEESE_sNS9_4plusIvEEsEEDaPvRmT3_T4_T5_mT6_P12ihipStream_tbENKUlT_T0_E_clISt17integral_constantIbLb0EESU_EEDaSP_SQ_EUlSP_E_NS1_11comp_targetILNS1_3genE5ELNS1_11target_archE942ELNS1_3gpuE9ELNS1_3repE0EEENS1_30default_config_static_selectorELNS0_4arch9wavefront6targetE1EEEvT1_
; %bb.0:
	.section	.rodata,"a",@progbits
	.p2align	6, 0x0
	.amdhsa_kernel _ZN7rocprim17ROCPRIM_400000_NS6detail17trampoline_kernelINS0_14default_configENS1_20scan_config_selectorIsEEZZNS1_9scan_implILNS1_25lookback_scan_determinismE0ELb0ELb0ES3_N6thrust23THRUST_200600_302600_NS6detail15normal_iteratorINS9_10device_ptrIsEEEESE_sNS9_4plusIvEEsEEDaPvRmT3_T4_T5_mT6_P12ihipStream_tbENKUlT_T0_E_clISt17integral_constantIbLb0EESU_EEDaSP_SQ_EUlSP_E_NS1_11comp_targetILNS1_3genE5ELNS1_11target_archE942ELNS1_3gpuE9ELNS1_3repE0EEENS1_30default_config_static_selectorELNS0_4arch9wavefront6targetE1EEEvT1_
		.amdhsa_group_segment_fixed_size 0
		.amdhsa_private_segment_fixed_size 0
		.amdhsa_kernarg_size 96
		.amdhsa_user_sgpr_count 6
		.amdhsa_user_sgpr_private_segment_buffer 1
		.amdhsa_user_sgpr_dispatch_ptr 0
		.amdhsa_user_sgpr_queue_ptr 0
		.amdhsa_user_sgpr_kernarg_segment_ptr 1
		.amdhsa_user_sgpr_dispatch_id 0
		.amdhsa_user_sgpr_flat_scratch_init 0
		.amdhsa_user_sgpr_kernarg_preload_length 0
		.amdhsa_user_sgpr_kernarg_preload_offset 0
		.amdhsa_user_sgpr_private_segment_size 0
		.amdhsa_uses_dynamic_stack 0
		.amdhsa_system_sgpr_private_segment_wavefront_offset 0
		.amdhsa_system_sgpr_workgroup_id_x 1
		.amdhsa_system_sgpr_workgroup_id_y 0
		.amdhsa_system_sgpr_workgroup_id_z 0
		.amdhsa_system_sgpr_workgroup_info 0
		.amdhsa_system_vgpr_workitem_id 0
		.amdhsa_next_free_vgpr 1
		.amdhsa_next_free_sgpr 0
		.amdhsa_accum_offset 4
		.amdhsa_reserve_vcc 0
		.amdhsa_reserve_flat_scratch 0
		.amdhsa_float_round_mode_32 0
		.amdhsa_float_round_mode_16_64 0
		.amdhsa_float_denorm_mode_32 3
		.amdhsa_float_denorm_mode_16_64 3
		.amdhsa_dx10_clamp 1
		.amdhsa_ieee_mode 1
		.amdhsa_fp16_overflow 0
		.amdhsa_tg_split 0
		.amdhsa_exception_fp_ieee_invalid_op 0
		.amdhsa_exception_fp_denorm_src 0
		.amdhsa_exception_fp_ieee_div_zero 0
		.amdhsa_exception_fp_ieee_overflow 0
		.amdhsa_exception_fp_ieee_underflow 0
		.amdhsa_exception_fp_ieee_inexact 0
		.amdhsa_exception_int_div_zero 0
	.end_amdhsa_kernel
	.section	.text._ZN7rocprim17ROCPRIM_400000_NS6detail17trampoline_kernelINS0_14default_configENS1_20scan_config_selectorIsEEZZNS1_9scan_implILNS1_25lookback_scan_determinismE0ELb0ELb0ES3_N6thrust23THRUST_200600_302600_NS6detail15normal_iteratorINS9_10device_ptrIsEEEESE_sNS9_4plusIvEEsEEDaPvRmT3_T4_T5_mT6_P12ihipStream_tbENKUlT_T0_E_clISt17integral_constantIbLb0EESU_EEDaSP_SQ_EUlSP_E_NS1_11comp_targetILNS1_3genE5ELNS1_11target_archE942ELNS1_3gpuE9ELNS1_3repE0EEENS1_30default_config_static_selectorELNS0_4arch9wavefront6targetE1EEEvT1_,"axG",@progbits,_ZN7rocprim17ROCPRIM_400000_NS6detail17trampoline_kernelINS0_14default_configENS1_20scan_config_selectorIsEEZZNS1_9scan_implILNS1_25lookback_scan_determinismE0ELb0ELb0ES3_N6thrust23THRUST_200600_302600_NS6detail15normal_iteratorINS9_10device_ptrIsEEEESE_sNS9_4plusIvEEsEEDaPvRmT3_T4_T5_mT6_P12ihipStream_tbENKUlT_T0_E_clISt17integral_constantIbLb0EESU_EEDaSP_SQ_EUlSP_E_NS1_11comp_targetILNS1_3genE5ELNS1_11target_archE942ELNS1_3gpuE9ELNS1_3repE0EEENS1_30default_config_static_selectorELNS0_4arch9wavefront6targetE1EEEvT1_,comdat
.Lfunc_end879:
	.size	_ZN7rocprim17ROCPRIM_400000_NS6detail17trampoline_kernelINS0_14default_configENS1_20scan_config_selectorIsEEZZNS1_9scan_implILNS1_25lookback_scan_determinismE0ELb0ELb0ES3_N6thrust23THRUST_200600_302600_NS6detail15normal_iteratorINS9_10device_ptrIsEEEESE_sNS9_4plusIvEEsEEDaPvRmT3_T4_T5_mT6_P12ihipStream_tbENKUlT_T0_E_clISt17integral_constantIbLb0EESU_EEDaSP_SQ_EUlSP_E_NS1_11comp_targetILNS1_3genE5ELNS1_11target_archE942ELNS1_3gpuE9ELNS1_3repE0EEENS1_30default_config_static_selectorELNS0_4arch9wavefront6targetE1EEEvT1_, .Lfunc_end879-_ZN7rocprim17ROCPRIM_400000_NS6detail17trampoline_kernelINS0_14default_configENS1_20scan_config_selectorIsEEZZNS1_9scan_implILNS1_25lookback_scan_determinismE0ELb0ELb0ES3_N6thrust23THRUST_200600_302600_NS6detail15normal_iteratorINS9_10device_ptrIsEEEESE_sNS9_4plusIvEEsEEDaPvRmT3_T4_T5_mT6_P12ihipStream_tbENKUlT_T0_E_clISt17integral_constantIbLb0EESU_EEDaSP_SQ_EUlSP_E_NS1_11comp_targetILNS1_3genE5ELNS1_11target_archE942ELNS1_3gpuE9ELNS1_3repE0EEENS1_30default_config_static_selectorELNS0_4arch9wavefront6targetE1EEEvT1_
                                        ; -- End function
	.section	.AMDGPU.csdata,"",@progbits
; Kernel info:
; codeLenInByte = 0
; NumSgprs: 4
; NumVgprs: 0
; NumAgprs: 0
; TotalNumVgprs: 0
; ScratchSize: 0
; MemoryBound: 0
; FloatMode: 240
; IeeeMode: 1
; LDSByteSize: 0 bytes/workgroup (compile time only)
; SGPRBlocks: 0
; VGPRBlocks: 0
; NumSGPRsForWavesPerEU: 4
; NumVGPRsForWavesPerEU: 1
; AccumOffset: 4
; Occupancy: 8
; WaveLimiterHint : 0
; COMPUTE_PGM_RSRC2:SCRATCH_EN: 0
; COMPUTE_PGM_RSRC2:USER_SGPR: 6
; COMPUTE_PGM_RSRC2:TRAP_HANDLER: 0
; COMPUTE_PGM_RSRC2:TGID_X_EN: 1
; COMPUTE_PGM_RSRC2:TGID_Y_EN: 0
; COMPUTE_PGM_RSRC2:TGID_Z_EN: 0
; COMPUTE_PGM_RSRC2:TIDIG_COMP_CNT: 0
; COMPUTE_PGM_RSRC3_GFX90A:ACCUM_OFFSET: 0
; COMPUTE_PGM_RSRC3_GFX90A:TG_SPLIT: 0
	.section	.text._ZN7rocprim17ROCPRIM_400000_NS6detail17trampoline_kernelINS0_14default_configENS1_20scan_config_selectorIsEEZZNS1_9scan_implILNS1_25lookback_scan_determinismE0ELb0ELb0ES3_N6thrust23THRUST_200600_302600_NS6detail15normal_iteratorINS9_10device_ptrIsEEEESE_sNS9_4plusIvEEsEEDaPvRmT3_T4_T5_mT6_P12ihipStream_tbENKUlT_T0_E_clISt17integral_constantIbLb0EESU_EEDaSP_SQ_EUlSP_E_NS1_11comp_targetILNS1_3genE4ELNS1_11target_archE910ELNS1_3gpuE8ELNS1_3repE0EEENS1_30default_config_static_selectorELNS0_4arch9wavefront6targetE1EEEvT1_,"axG",@progbits,_ZN7rocprim17ROCPRIM_400000_NS6detail17trampoline_kernelINS0_14default_configENS1_20scan_config_selectorIsEEZZNS1_9scan_implILNS1_25lookback_scan_determinismE0ELb0ELb0ES3_N6thrust23THRUST_200600_302600_NS6detail15normal_iteratorINS9_10device_ptrIsEEEESE_sNS9_4plusIvEEsEEDaPvRmT3_T4_T5_mT6_P12ihipStream_tbENKUlT_T0_E_clISt17integral_constantIbLb0EESU_EEDaSP_SQ_EUlSP_E_NS1_11comp_targetILNS1_3genE4ELNS1_11target_archE910ELNS1_3gpuE8ELNS1_3repE0EEENS1_30default_config_static_selectorELNS0_4arch9wavefront6targetE1EEEvT1_,comdat
	.protected	_ZN7rocprim17ROCPRIM_400000_NS6detail17trampoline_kernelINS0_14default_configENS1_20scan_config_selectorIsEEZZNS1_9scan_implILNS1_25lookback_scan_determinismE0ELb0ELb0ES3_N6thrust23THRUST_200600_302600_NS6detail15normal_iteratorINS9_10device_ptrIsEEEESE_sNS9_4plusIvEEsEEDaPvRmT3_T4_T5_mT6_P12ihipStream_tbENKUlT_T0_E_clISt17integral_constantIbLb0EESU_EEDaSP_SQ_EUlSP_E_NS1_11comp_targetILNS1_3genE4ELNS1_11target_archE910ELNS1_3gpuE8ELNS1_3repE0EEENS1_30default_config_static_selectorELNS0_4arch9wavefront6targetE1EEEvT1_ ; -- Begin function _ZN7rocprim17ROCPRIM_400000_NS6detail17trampoline_kernelINS0_14default_configENS1_20scan_config_selectorIsEEZZNS1_9scan_implILNS1_25lookback_scan_determinismE0ELb0ELb0ES3_N6thrust23THRUST_200600_302600_NS6detail15normal_iteratorINS9_10device_ptrIsEEEESE_sNS9_4plusIvEEsEEDaPvRmT3_T4_T5_mT6_P12ihipStream_tbENKUlT_T0_E_clISt17integral_constantIbLb0EESU_EEDaSP_SQ_EUlSP_E_NS1_11comp_targetILNS1_3genE4ELNS1_11target_archE910ELNS1_3gpuE8ELNS1_3repE0EEENS1_30default_config_static_selectorELNS0_4arch9wavefront6targetE1EEEvT1_
	.globl	_ZN7rocprim17ROCPRIM_400000_NS6detail17trampoline_kernelINS0_14default_configENS1_20scan_config_selectorIsEEZZNS1_9scan_implILNS1_25lookback_scan_determinismE0ELb0ELb0ES3_N6thrust23THRUST_200600_302600_NS6detail15normal_iteratorINS9_10device_ptrIsEEEESE_sNS9_4plusIvEEsEEDaPvRmT3_T4_T5_mT6_P12ihipStream_tbENKUlT_T0_E_clISt17integral_constantIbLb0EESU_EEDaSP_SQ_EUlSP_E_NS1_11comp_targetILNS1_3genE4ELNS1_11target_archE910ELNS1_3gpuE8ELNS1_3repE0EEENS1_30default_config_static_selectorELNS0_4arch9wavefront6targetE1EEEvT1_
	.p2align	8
	.type	_ZN7rocprim17ROCPRIM_400000_NS6detail17trampoline_kernelINS0_14default_configENS1_20scan_config_selectorIsEEZZNS1_9scan_implILNS1_25lookback_scan_determinismE0ELb0ELb0ES3_N6thrust23THRUST_200600_302600_NS6detail15normal_iteratorINS9_10device_ptrIsEEEESE_sNS9_4plusIvEEsEEDaPvRmT3_T4_T5_mT6_P12ihipStream_tbENKUlT_T0_E_clISt17integral_constantIbLb0EESU_EEDaSP_SQ_EUlSP_E_NS1_11comp_targetILNS1_3genE4ELNS1_11target_archE910ELNS1_3gpuE8ELNS1_3repE0EEENS1_30default_config_static_selectorELNS0_4arch9wavefront6targetE1EEEvT1_,@function
_ZN7rocprim17ROCPRIM_400000_NS6detail17trampoline_kernelINS0_14default_configENS1_20scan_config_selectorIsEEZZNS1_9scan_implILNS1_25lookback_scan_determinismE0ELb0ELb0ES3_N6thrust23THRUST_200600_302600_NS6detail15normal_iteratorINS9_10device_ptrIsEEEESE_sNS9_4plusIvEEsEEDaPvRmT3_T4_T5_mT6_P12ihipStream_tbENKUlT_T0_E_clISt17integral_constantIbLb0EESU_EEDaSP_SQ_EUlSP_E_NS1_11comp_targetILNS1_3genE4ELNS1_11target_archE910ELNS1_3gpuE8ELNS1_3repE0EEENS1_30default_config_static_selectorELNS0_4arch9wavefront6targetE1EEEvT1_: ; @_ZN7rocprim17ROCPRIM_400000_NS6detail17trampoline_kernelINS0_14default_configENS1_20scan_config_selectorIsEEZZNS1_9scan_implILNS1_25lookback_scan_determinismE0ELb0ELb0ES3_N6thrust23THRUST_200600_302600_NS6detail15normal_iteratorINS9_10device_ptrIsEEEESE_sNS9_4plusIvEEsEEDaPvRmT3_T4_T5_mT6_P12ihipStream_tbENKUlT_T0_E_clISt17integral_constantIbLb0EESU_EEDaSP_SQ_EUlSP_E_NS1_11comp_targetILNS1_3genE4ELNS1_11target_archE910ELNS1_3gpuE8ELNS1_3repE0EEENS1_30default_config_static_selectorELNS0_4arch9wavefront6targetE1EEEvT1_
; %bb.0:
	s_load_dwordx8 s[8:15], s[4:5], 0x0
	s_load_dword s1, s[4:5], 0x30
	s_mul_i32 s0, s6, 0x600
	v_lshlrev_b32_e32 v20, 1, v0
	s_waitcnt lgkmcnt(0)
	s_lshl_b64 s[16:17], s[10:11], 1
	s_add_u32 s2, s8, s16
	s_addc_u32 s3, s9, s17
	s_add_i32 s7, s1, -1
	s_mul_i32 s8, s7, 0x600
	s_sub_u32 s22, s14, s8
	s_subb_u32 s23, s15, 0
	s_mov_b32 s1, 0
	s_cmp_lg_u32 s6, s7
	s_cselect_b64 s[14:15], -1, 0
	s_lshl_b64 s[18:19], s[0:1], 1
	s_add_u32 s2, s2, s18
	s_addc_u32 s3, s3, s19
	s_mov_b64 s[0:1], -1
	s_and_b64 vcc, exec, s[14:15]
	s_cbranch_vccz .LBB880_2
; %bb.1:
	v_mov_b32_e32 v1, s3
	v_add_co_u32_e32 v2, vcc, s2, v20
	v_addc_co_u32_e32 v3, vcc, 0, v1, vcc
	flat_load_ushort v1, v[2:3]
	flat_load_ushort v4, v[2:3] offset:128
	flat_load_ushort v5, v[2:3] offset:256
	;; [unrolled: 1-line block ×23, first 2 shown]
	s_mov_b64 s[0:1], 0
	s_waitcnt vmcnt(0) lgkmcnt(0)
	ds_write_b16 v20, v1
	ds_write_b16 v20, v4 offset:128
	ds_write_b16 v20, v5 offset:256
	;; [unrolled: 1-line block ×23, first 2 shown]
	s_waitcnt lgkmcnt(0)
	; wave barrier
.LBB880_2:
	s_load_dwordx2 s[20:21], s[4:5], 0x28
	s_andn2_b64 vcc, exec, s[0:1]
	v_cmp_gt_u32_e64 s[0:1], s22, v0
	s_cbranch_vccnz .LBB880_52
; %bb.3:
	v_pk_mov_b32 v[2:3], s[2:3], s[2:3] op_sel:[0,1]
	flat_load_ushort v1, v[2:3]
	s_waitcnt vmcnt(0) lgkmcnt(0)
	v_mov_b32_e32 v2, v1
	s_and_saveexec_b64 s[8:9], s[0:1]
	s_cbranch_execz .LBB880_5
; %bb.4:
	v_mov_b32_e32 v3, s3
	v_add_co_u32_e32 v2, vcc, s2, v20
	v_addc_co_u32_e32 v3, vcc, 0, v3, vcc
	flat_load_ushort v2, v[2:3]
.LBB880_5:
	s_or_b64 exec, exec, s[8:9]
	v_or_b32_e32 v3, 64, v0
	v_cmp_gt_u32_e32 vcc, s22, v3
	v_mov_b32_e32 v3, v1
	s_and_saveexec_b64 s[0:1], vcc
	s_cbranch_execz .LBB880_7
; %bb.6:
	v_mov_b32_e32 v3, s3
	v_add_co_u32_e32 v4, vcc, s2, v20
	v_addc_co_u32_e32 v5, vcc, 0, v3, vcc
	flat_load_ushort v3, v[4:5] offset:128
.LBB880_7:
	s_or_b64 exec, exec, s[0:1]
	v_or_b32_e32 v4, 0x80, v0
	v_cmp_gt_u32_e32 vcc, s22, v4
	v_mov_b32_e32 v4, v1
	s_and_saveexec_b64 s[0:1], vcc
	s_cbranch_execz .LBB880_9
; %bb.8:
	v_mov_b32_e32 v5, s3
	v_add_co_u32_e32 v4, vcc, s2, v20
	v_addc_co_u32_e32 v5, vcc, 0, v5, vcc
	flat_load_ushort v4, v[4:5] offset:256
.LBB880_9:
	;; [unrolled: 12-line block ×22, first 2 shown]
	s_or_b64 exec, exec, s[0:1]
	v_or_b32_e32 v26, 0x5c0, v0
	v_cmp_gt_u32_e32 vcc, s22, v26
	s_and_saveexec_b64 s[0:1], vcc
	s_cbranch_execz .LBB880_51
; %bb.50:
	v_mov_b32_e32 v1, s3
	v_add_co_u32_e32 v26, vcc, s2, v20
	v_addc_co_u32_e32 v27, vcc, 0, v1, vcc
	flat_load_ushort v1, v[26:27] offset:2944
.LBB880_51:
	s_or_b64 exec, exec, s[0:1]
	s_waitcnt vmcnt(0) lgkmcnt(0)
	ds_write_b16 v20, v2
	ds_write_b16 v20, v3 offset:128
	ds_write_b16 v20, v4 offset:256
	;; [unrolled: 1-line block ×23, first 2 shown]
	s_waitcnt lgkmcnt(0)
	; wave barrier
.LBB880_52:
	v_mul_u32_u24_e32 v21, 24, v0
	v_lshlrev_b32_e32 v1, 1, v21
	s_waitcnt lgkmcnt(0)
	ds_read_b128 v[10:13], v1
	ds_read_b128 v[6:9], v1 offset:16
	ds_read_b128 v[2:5], v1 offset:32
	s_cmp_lg_u32 s6, 0
	v_mbcnt_lo_u32_b32 v22, -1, 0
	v_cmp_eq_u32_e32 vcc, 63, v0
	s_waitcnt lgkmcnt(0)
	; wave barrier
	s_waitcnt lgkmcnt(0)
	s_cbranch_scc0 .LBB880_75
; %bb.53:
	v_add_u16_sdwa v14, v10, v10 dst_sel:DWORD dst_unused:UNUSED_PAD src0_sel:WORD_1 src1_sel:DWORD
	v_add_u16_e32 v14, v14, v11
	v_add_u16_sdwa v14, v14, v11 dst_sel:DWORD dst_unused:UNUSED_PAD src0_sel:DWORD src1_sel:WORD_1
	v_add_u16_e32 v14, v14, v12
	v_add_u16_sdwa v14, v14, v12 dst_sel:DWORD dst_unused:UNUSED_PAD src0_sel:DWORD src1_sel:WORD_1
	v_add_u16_e32 v14, v14, v13
	v_add_u16_sdwa v14, v14, v13 dst_sel:DWORD dst_unused:UNUSED_PAD src0_sel:DWORD src1_sel:WORD_1
	v_add_u16_e32 v14, v14, v6
	v_add_u16_sdwa v14, v14, v6 dst_sel:DWORD dst_unused:UNUSED_PAD src0_sel:DWORD src1_sel:WORD_1
	v_add_u16_e32 v14, v14, v7
	v_add_u16_sdwa v14, v14, v7 dst_sel:DWORD dst_unused:UNUSED_PAD src0_sel:DWORD src1_sel:WORD_1
	v_add_u16_e32 v14, v14, v8
	v_add_u16_sdwa v14, v14, v8 dst_sel:DWORD dst_unused:UNUSED_PAD src0_sel:DWORD src1_sel:WORD_1
	v_add_u16_e32 v14, v14, v9
	v_add_u16_sdwa v14, v14, v9 dst_sel:DWORD dst_unused:UNUSED_PAD src0_sel:DWORD src1_sel:WORD_1
	v_add_u16_e32 v14, v14, v2
	v_add_u16_sdwa v14, v14, v2 dst_sel:DWORD dst_unused:UNUSED_PAD src0_sel:DWORD src1_sel:WORD_1
	v_add_u16_e32 v14, v14, v3
	v_add_u16_sdwa v14, v14, v3 dst_sel:DWORD dst_unused:UNUSED_PAD src0_sel:DWORD src1_sel:WORD_1
	v_add_u16_e32 v14, v14, v4
	v_add_u16_sdwa v14, v14, v4 dst_sel:DWORD dst_unused:UNUSED_PAD src0_sel:DWORD src1_sel:WORD_1
	v_add_u16_e32 v14, v14, v5
	v_mbcnt_hi_u32_b32 v15, -1, v22
	v_add_u16_sdwa v14, v14, v5 dst_sel:DWORD dst_unused:UNUSED_PAD src0_sel:DWORD src1_sel:WORD_1
	v_and_b32_e32 v16, 15, v15
	v_cmp_ne_u32_e64 s[0:1], 0, v16
	v_mov_b32_dpp v17, v14 row_shr:1 row_mask:0xf bank_mask:0xf
	v_cndmask_b32_e64 v17, 0, v17, s[0:1]
	v_add_u16_e32 v14, v17, v14
	v_cmp_lt_u32_e64 s[0:1], 1, v16
	s_nop 0
	v_mov_b32_dpp v17, v14 row_shr:2 row_mask:0xf bank_mask:0xf
	v_cndmask_b32_e64 v17, 0, v17, s[0:1]
	v_add_u16_e32 v14, v14, v17
	v_cmp_lt_u32_e64 s[0:1], 3, v16
	s_nop 0
	;; [unrolled: 5-line block ×3, first 2 shown]
	v_mov_b32_dpp v17, v14 row_shr:8 row_mask:0xf bank_mask:0xf
	v_cndmask_b32_e64 v16, 0, v17, s[0:1]
	v_add_u16_e32 v14, v14, v16
	v_and_b32_e32 v17, 16, v15
	v_cmp_ne_u32_e64 s[0:1], 0, v17
	v_mov_b32_dpp v16, v14 row_bcast:15 row_mask:0xf bank_mask:0xf
	v_cndmask_b32_e64 v16, 0, v16, s[0:1]
	v_add_u16_e32 v14, v14, v16
	v_cmp_lt_u32_e64 s[0:1], 31, v15
	s_nop 0
	v_mov_b32_dpp v16, v14 row_bcast:31 row_mask:0xf bank_mask:0xf
	v_cndmask_b32_e64 v16, 0, v16, s[0:1]
	v_add_u16_e32 v14, v14, v16
	s_and_saveexec_b64 s[0:1], vcc
	s_cbranch_execz .LBB880_55
; %bb.54:
	v_mov_b32_e32 v16, 0
	ds_write_b16 v16, v14
.LBB880_55:
	s_or_b64 exec, exec, s[0:1]
	v_add_u32_e32 v16, -1, v15
	v_and_b32_e32 v17, 64, v15
	v_cmp_lt_i32_e32 vcc, v16, v17
	v_cndmask_b32_e32 v16, v16, v15, vcc
	v_lshlrev_b32_e32 v16, 2, v16
	ds_bpermute_b32 v23, v16, v14
	v_cmp_gt_u32_e32 vcc, 64, v0
	s_waitcnt lgkmcnt(0)
	; wave barrier
	s_waitcnt lgkmcnt(0)
	s_and_saveexec_b64 s[10:11], vcc
	s_cbranch_execz .LBB880_74
; %bb.56:
	v_mov_b32_e32 v17, 0
	ds_read_u16 v24, v17
	s_mov_b32 s9, 0
	v_cmp_eq_u32_e64 s[0:1], 0, v15
	s_and_saveexec_b64 s[2:3], s[0:1]
	s_cbranch_execz .LBB880_58
; %bb.57:
	s_add_i32 s8, s6, 64
	s_lshl_b64 s[8:9], s[8:9], 2
	s_add_u32 s8, s20, s8
	s_waitcnt lgkmcnt(0)
	v_or_b32_e32 v14, 0x10000, v24
	s_addc_u32 s9, s21, s9
	global_store_dword v17, v14, s[8:9]
.LBB880_58:
	s_or_b64 exec, exec, s[2:3]
	v_xad_u32 v14, v15, -1, s6
	v_add_u32_e32 v16, 64, v14
	v_lshlrev_b64 v[18:19], 2, v[16:17]
	v_mov_b32_e32 v16, s21
	v_add_co_u32_e32 v18, vcc, s20, v18
	v_addc_co_u32_e32 v19, vcc, v16, v19, vcc
	global_load_dword v37, v[18:19], off glc
	s_waitcnt vmcnt(0)
	v_lshrrev_b32_e32 v26, 16, v37
	v_cmp_eq_u16_sdwa s[8:9], v26, v17 src0_sel:BYTE_0 src1_sel:DWORD
	s_and_saveexec_b64 s[2:3], s[8:9]
	s_cbranch_execz .LBB880_62
; %bb.59:
	s_mov_b64 s[8:9], 0
	v_mov_b32_e32 v16, 0
.LBB880_60:                             ; =>This Inner Loop Header: Depth=1
	global_load_dword v37, v[18:19], off glc
	s_waitcnt vmcnt(0)
	v_lshrrev_b32_e32 v26, 16, v37
	v_cmp_ne_u16_sdwa s[24:25], v26, v16 src0_sel:BYTE_0 src1_sel:DWORD
	s_or_b64 s[8:9], s[24:25], s[8:9]
	s_andn2_b64 exec, exec, s[8:9]
	s_cbranch_execnz .LBB880_60
; %bb.61:
	s_or_b64 exec, exec, s[8:9]
.LBB880_62:
	s_or_b64 exec, exec, s[2:3]
	v_and_b32_e32 v27, 63, v15
	v_cmp_ne_u32_e32 vcc, 63, v27
	v_mov_b32_e32 v25, 2
	v_addc_co_u32_e32 v28, vcc, 0, v15, vcc
	v_cmp_eq_u16_sdwa s[2:3], v26, v25 src0_sel:BYTE_0 src1_sel:DWORD
	v_lshlrev_b64 v[16:17], v15, -1
	v_and_b32_e32 v29, 0xffff, v37
	v_lshlrev_b32_e32 v28, 2, v28
	v_and_b32_e32 v18, s3, v17
	ds_bpermute_b32 v30, v28, v29
	v_or_b32_e32 v18, 0x80000000, v18
	v_and_b32_e32 v19, s2, v16
	v_ffbl_b32_e32 v18, v18
	v_add_u32_e32 v18, 32, v18
	v_ffbl_b32_e32 v19, v19
	v_min_u32_e32 v18, v19, v18
	s_waitcnt lgkmcnt(0)
	v_add_u16_e32 v19, v30, v37
	v_cmp_lt_u32_e32 vcc, v27, v18
	v_cmp_gt_u32_e64 s[2:3], 62, v27
	v_cndmask_b32_e32 v31, v29, v19, vcc
	v_cndmask_b32_e64 v29, 0, 1, s[2:3]
	v_lshlrev_b32_e32 v29, 1, v29
	v_add_lshl_u32 v29, v29, v15, 2
	ds_bpermute_b32 v32, v29, v31
	v_cndmask_b32_e32 v19, v37, v19, vcc
	v_add_u32_e32 v30, 2, v27
	v_cmp_gt_u32_e64 s[2:3], v30, v18
	v_cmp_gt_u32_e64 s[8:9], 60, v27
	s_waitcnt lgkmcnt(0)
	v_add_u16_e32 v32, v19, v32
	v_cndmask_b32_e64 v33, v32, v31, s[2:3]
	v_cndmask_b32_e64 v31, 0, 1, s[8:9]
	v_lshlrev_b32_e32 v31, 2, v31
	v_add_lshl_u32 v31, v31, v15, 2
	ds_bpermute_b32 v34, v31, v33
	v_cndmask_b32_e64 v19, v32, v19, s[2:3]
	v_add_u32_e32 v32, 4, v27
	v_cmp_gt_u32_e64 s[2:3], v32, v18
	v_cmp_gt_u32_e64 s[8:9], 56, v27
	s_waitcnt lgkmcnt(0)
	v_add_u16_e32 v34, v19, v34
	v_cndmask_b32_e64 v35, v34, v33, s[2:3]
	v_cndmask_b32_e64 v33, 0, 1, s[8:9]
	v_lshlrev_b32_e32 v33, 3, v33
	v_add_lshl_u32 v33, v33, v15, 2
	ds_bpermute_b32 v36, v33, v35
	v_cndmask_b32_e64 v19, v34, v19, s[2:3]
	v_add_u32_e32 v34, 8, v27
	v_cmp_gt_u32_e64 s[2:3], v34, v18
	v_cmp_gt_u32_e64 s[8:9], 48, v27
	s_waitcnt lgkmcnt(0)
	v_add_u16_e32 v36, v19, v36
	v_cndmask_b32_e64 v38, v36, v35, s[2:3]
	v_cndmask_b32_e64 v35, 0, 1, s[8:9]
	v_lshlrev_b32_e32 v35, 4, v35
	v_add_lshl_u32 v35, v35, v15, 2
	ds_bpermute_b32 v39, v35, v38
	v_cndmask_b32_e64 v19, v36, v19, s[2:3]
	v_add_u32_e32 v36, 16, v27
	v_cmp_gt_u32_e64 s[2:3], v36, v18
	v_cmp_gt_u32_e64 s[8:9], 32, v27
	s_waitcnt lgkmcnt(0)
	v_add_u16_e32 v40, v19, v39
	v_cndmask_b32_e64 v39, v40, v38, s[2:3]
	v_cndmask_b32_e64 v38, 0, 1, s[8:9]
	v_lshlrev_b32_e32 v38, 5, v38
	v_add_lshl_u32 v38, v38, v15, 2
	ds_bpermute_b32 v15, v38, v39
	v_add_u32_e32 v39, 32, v27
	v_cndmask_b32_e64 v19, v40, v19, s[2:3]
	v_cmp_le_u32_e64 s[2:3], v39, v18
	s_waitcnt lgkmcnt(0)
	v_cndmask_b32_e64 v15, 0, v15, s[2:3]
	v_add_u16_e32 v15, v19, v15
	v_cndmask_b32_e32 v18, v37, v15, vcc
	v_mov_b32_e32 v15, 0
	s_branch .LBB880_64
.LBB880_63:                             ;   in Loop: Header=BB880_64 Depth=1
	s_or_b64 exec, exec, s[2:3]
	v_cmp_eq_u16_sdwa s[2:3], v26, v25 src0_sel:BYTE_0 src1_sel:DWORD
	v_and_b32_e32 v41, 0xffff, v40
	v_and_b32_e32 v18, s3, v17
	ds_bpermute_b32 v42, v28, v41
	v_or_b32_e32 v18, 0x80000000, v18
	v_and_b32_e32 v19, s2, v16
	v_ffbl_b32_e32 v18, v18
	v_add_u32_e32 v18, 32, v18
	v_ffbl_b32_e32 v19, v19
	v_min_u32_e32 v18, v19, v18
	s_waitcnt lgkmcnt(0)
	v_add_u16_e32 v19, v42, v40
	v_cmp_lt_u32_e32 vcc, v27, v18
	v_cndmask_b32_e32 v41, v41, v19, vcc
	ds_bpermute_b32 v42, v29, v41
	v_cndmask_b32_e32 v19, v40, v19, vcc
	v_cmp_gt_u32_e64 s[2:3], v30, v18
	v_subrev_u32_e32 v14, 64, v14
	s_waitcnt lgkmcnt(0)
	v_add_u16_e32 v42, v19, v42
	v_cndmask_b32_e64 v41, v42, v41, s[2:3]
	ds_bpermute_b32 v43, v31, v41
	v_cndmask_b32_e64 v19, v42, v19, s[2:3]
	v_cmp_gt_u32_e64 s[2:3], v32, v18
	s_waitcnt lgkmcnt(0)
	v_add_u16_e32 v42, v19, v43
	v_cndmask_b32_e64 v41, v42, v41, s[2:3]
	ds_bpermute_b32 v43, v33, v41
	v_cndmask_b32_e64 v19, v42, v19, s[2:3]
	v_cmp_gt_u32_e64 s[2:3], v34, v18
	;; [unrolled: 6-line block ×3, first 2 shown]
	s_waitcnt lgkmcnt(0)
	v_add_u16_e32 v42, v19, v43
	v_cndmask_b32_e64 v41, v42, v41, s[2:3]
	ds_bpermute_b32 v41, v38, v41
	v_cndmask_b32_e64 v19, v42, v19, s[2:3]
	v_cmp_le_u32_e64 s[2:3], v39, v18
	s_waitcnt lgkmcnt(0)
	v_cndmask_b32_e64 v18, 0, v41, s[2:3]
	v_add_u16_e32 v18, v19, v18
	v_cndmask_b32_e32 v18, v40, v18, vcc
	v_add_u16_e32 v18, v18, v37
.LBB880_64:                             ; =>This Loop Header: Depth=1
                                        ;     Child Loop BB880_67 Depth 2
	v_cmp_ne_u16_sdwa s[2:3], v26, v25 src0_sel:BYTE_0 src1_sel:DWORD
	v_cndmask_b32_e64 v19, 0, 1, s[2:3]
	;;#ASMSTART
	;;#ASMEND
	v_cmp_ne_u32_e32 vcc, 0, v19
	s_cmp_lg_u64 vcc, exec
	v_mov_b32_e32 v37, v18
	s_cbranch_scc1 .LBB880_69
; %bb.65:                               ;   in Loop: Header=BB880_64 Depth=1
	v_lshlrev_b64 v[18:19], 2, v[14:15]
	v_mov_b32_e32 v26, s21
	v_add_co_u32_e32 v18, vcc, s20, v18
	v_addc_co_u32_e32 v19, vcc, v26, v19, vcc
	global_load_dword v40, v[18:19], off glc
	s_waitcnt vmcnt(0)
	v_lshrrev_b32_e32 v26, 16, v40
	v_cmp_eq_u16_sdwa s[8:9], v26, v15 src0_sel:BYTE_0 src1_sel:DWORD
	s_and_saveexec_b64 s[2:3], s[8:9]
	s_cbranch_execz .LBB880_63
; %bb.66:                               ;   in Loop: Header=BB880_64 Depth=1
	s_mov_b64 s[8:9], 0
.LBB880_67:                             ;   Parent Loop BB880_64 Depth=1
                                        ; =>  This Inner Loop Header: Depth=2
	global_load_dword v40, v[18:19], off glc
	s_waitcnt vmcnt(0)
	v_lshrrev_b32_e32 v26, 16, v40
	v_cmp_ne_u16_sdwa s[24:25], v26, v15 src0_sel:BYTE_0 src1_sel:DWORD
	s_or_b64 s[8:9], s[24:25], s[8:9]
	s_andn2_b64 exec, exec, s[8:9]
	s_cbranch_execnz .LBB880_67
; %bb.68:                               ;   in Loop: Header=BB880_64 Depth=1
	s_or_b64 exec, exec, s[8:9]
	s_branch .LBB880_63
.LBB880_69:                             ;   in Loop: Header=BB880_64 Depth=1
                                        ; implicit-def: $vgpr18
                                        ; implicit-def: $vgpr26
	s_cbranch_execz .LBB880_64
; %bb.70:
	s_and_saveexec_b64 s[2:3], s[0:1]
	s_cbranch_execz .LBB880_72
; %bb.71:
	s_add_i32 s0, s6, 64
	s_mov_b32 s1, 0
	s_lshl_b64 s[0:1], s[0:1], 2
	v_add_u16_e32 v14, v37, v24
	s_add_u32 s0, s20, s0
	v_or_b32_e32 v14, 0x20000, v14
	s_addc_u32 s1, s21, s1
	v_mov_b32_e32 v15, 0
	global_store_dword v15, v14, s[0:1]
.LBB880_72:
	s_or_b64 exec, exec, s[2:3]
	v_cmp_eq_u32_e32 vcc, 0, v0
	s_and_b64 exec, exec, vcc
	s_cbranch_execz .LBB880_74
; %bb.73:
	v_mov_b32_e32 v14, 0
	ds_write_b16 v14, v37
.LBB880_74:
	s_or_b64 exec, exec, s[10:11]
	v_mov_b32_e32 v14, 0
	s_waitcnt lgkmcnt(0)
	; wave barrier
	s_waitcnt lgkmcnt(0)
	ds_read_u16 v14, v14
	v_cmp_ne_u32_e32 vcc, 0, v0
	v_cndmask_b32_e32 v15, 0, v23, vcc
	v_add_u16_e32 v15, v15, v10
	s_waitcnt lgkmcnt(0)
	v_add_u16_e32 v14, v15, v14
	v_add_u16_sdwa v15, v14, v10 dst_sel:DWORD dst_unused:UNUSED_PAD src0_sel:DWORD src1_sel:WORD_1
	v_add_u16_e32 v16, v15, v11
	v_add_u16_sdwa v17, v16, v11 dst_sel:DWORD dst_unused:UNUSED_PAD src0_sel:DWORD src1_sel:WORD_1
	;; [unrolled: 2-line block ×12, first 2 shown]
	s_load_dwordx8 s[4:11], s[4:5], 0x38
	s_branch .LBB880_85
.LBB880_75:
                                        ; implicit-def: $vgpr14
                                        ; implicit-def: $vgpr15
                                        ; implicit-def: $vgpr16
                                        ; implicit-def: $vgpr17
                                        ; implicit-def: $vgpr18
                                        ; implicit-def: $vgpr19
                                        ; implicit-def: $vgpr24
                                        ; implicit-def: $vgpr26
                                        ; implicit-def: $vgpr23
                                        ; implicit-def: $vgpr25
                                        ; implicit-def: $vgpr27
                                        ; implicit-def: $vgpr28
                                        ; implicit-def: $vgpr29
                                        ; implicit-def: $vgpr30
                                        ; implicit-def: $vgpr32
                                        ; implicit-def: $vgpr34
                                        ; implicit-def: $vgpr31
                                        ; implicit-def: $vgpr33
                                        ; implicit-def: $vgpr35
                                        ; implicit-def: $vgpr36
                                        ; implicit-def: $vgpr37
                                        ; implicit-def: $vgpr38
                                        ; implicit-def: $vgpr39
                                        ; implicit-def: $vgpr40
	s_load_dwordx8 s[4:11], s[4:5], 0x38
	s_cbranch_execz .LBB880_85
; %bb.76:
	s_waitcnt lgkmcnt(0)
	s_cmp_lg_u64 s[8:9], 0
	s_cselect_b64 s[2:3], -1, 0
	v_cmp_eq_u32_e32 vcc, 0, v0
	v_cmp_ne_u32_e64 s[0:1], 0, v0
	s_and_b64 s[8:9], vcc, s[2:3]
	v_mov_b32_e32 v14, v10
	s_and_saveexec_b64 s[2:3], s[8:9]
	s_cbranch_execz .LBB880_78
; %bb.77:
	v_mov_b32_e32 v14, 0
	global_load_ushort v14, v14, s[4:5]
	s_waitcnt vmcnt(0)
	v_add_u16_e32 v14, v14, v10
.LBB880_78:
	s_or_b64 exec, exec, s[2:3]
	v_add_u16_sdwa v15, v14, v10 dst_sel:DWORD dst_unused:UNUSED_PAD src0_sel:DWORD src1_sel:WORD_1
	v_add_u16_e32 v16, v15, v11
	v_add_u16_sdwa v17, v16, v11 dst_sel:DWORD dst_unused:UNUSED_PAD src0_sel:DWORD src1_sel:WORD_1
	v_add_u16_e32 v18, v17, v12
	;; [unrolled: 2-line block ×11, first 2 shown]
	v_mbcnt_hi_u32_b32 v22, -1, v22
	v_add_u16_sdwa v40, v39, v5 dst_sel:DWORD dst_unused:UNUSED_PAD src0_sel:DWORD src1_sel:WORD_1
	v_and_b32_e32 v41, 15, v22
	v_cmp_ne_u32_e32 vcc, 0, v41
	v_mov_b32_dpp v42, v40 row_shr:1 row_mask:0xf bank_mask:0xf
	v_cndmask_b32_e32 v42, 0, v42, vcc
	v_add_u16_e32 v42, v40, v42
	v_cmp_lt_u32_e32 vcc, 1, v41
	s_nop 0
	v_mov_b32_dpp v43, v42 row_shr:2 row_mask:0xf bank_mask:0xf
	v_cndmask_b32_e32 v43, 0, v43, vcc
	v_add_u16_e32 v42, v42, v43
	v_cmp_lt_u32_e32 vcc, 3, v41
	s_nop 0
	v_mov_b32_dpp v43, v42 row_shr:4 row_mask:0xf bank_mask:0xf
	v_cndmask_b32_e32 v43, 0, v43, vcc
	v_add_u16_e32 v42, v42, v43
	v_cmp_lt_u32_e32 vcc, 7, v41
	s_nop 0
	v_mov_b32_dpp v43, v42 row_shr:8 row_mask:0xf bank_mask:0xf
	v_cndmask_b32_e32 v41, 0, v43, vcc
	v_add_u16_e32 v41, v42, v41
	v_and_b32_e32 v43, 16, v22
	v_cmp_ne_u32_e32 vcc, 0, v43
	v_mov_b32_dpp v42, v41 row_bcast:15 row_mask:0xf bank_mask:0xf
	v_cndmask_b32_e32 v42, 0, v42, vcc
	v_add_u16_e32 v41, v41, v42
	v_cmp_lt_u32_e32 vcc, 31, v22
	s_nop 0
	v_mov_b32_dpp v42, v41 row_bcast:31 row_mask:0xf bank_mask:0xf
	v_cndmask_b32_e32 v42, 0, v42, vcc
	v_add_u16_e32 v41, v41, v42
	v_cmp_eq_u32_e32 vcc, 63, v0
	s_and_saveexec_b64 s[2:3], vcc
	s_cbranch_execz .LBB880_80
; %bb.79:
	v_mov_b32_e32 v42, 0
	ds_write_b16 v42, v41
.LBB880_80:
	s_or_b64 exec, exec, s[2:3]
	v_add_u32_e32 v42, -1, v22
	v_and_b32_e32 v43, 64, v22
	v_cmp_lt_i32_e64 s[2:3], v42, v43
	v_cndmask_b32_e64 v22, v42, v22, s[2:3]
	v_lshlrev_b32_e32 v22, 2, v22
	ds_bpermute_b32 v22, v22, v41
	s_waitcnt lgkmcnt(0)
	; wave barrier
	s_waitcnt lgkmcnt(0)
	s_and_saveexec_b64 s[2:3], s[0:1]
	s_cbranch_execz .LBB880_82
; %bb.81:
	v_add_u16_e32 v14, v14, v22
	v_add_u16_sdwa v15, v14, v10 dst_sel:DWORD dst_unused:UNUSED_PAD src0_sel:DWORD src1_sel:WORD_1
	v_add_u16_e32 v16, v15, v11
	v_add_u16_sdwa v17, v16, v11 dst_sel:DWORD dst_unused:UNUSED_PAD src0_sel:DWORD src1_sel:WORD_1
	;; [unrolled: 2-line block ×12, first 2 shown]
	;;#ASMSTART
	;;#ASMEND
.LBB880_82:
	s_or_b64 exec, exec, s[2:3]
	s_and_saveexec_b64 s[0:1], vcc
	s_cbranch_execz .LBB880_84
; %bb.83:
	s_mov_b32 s2, 0x20000
	v_mov_b32_e32 v2, 0
	v_or_b32_sdwa v3, v40, s2 dst_sel:DWORD dst_unused:UNUSED_PAD src0_sel:WORD_0 src1_sel:DWORD
	global_store_dword v2, v3, s[20:21] offset:256
.LBB880_84:
	s_or_b64 exec, exec, s[0:1]
.LBB880_85:
	s_add_u32 s0, s12, s16
	s_addc_u32 s1, s13, s17
	s_add_u32 s2, s0, s18
	s_addc_u32 s3, s1, s19
	s_mov_b64 s[0:1], -1
	s_and_b64 vcc, exec, s[14:15]
	s_waitcnt lgkmcnt(0)
	; wave barrier
	s_waitcnt lgkmcnt(0)
	s_cbranch_vccz .LBB880_87
; %bb.86:
	s_mov_b32 s0, 0x5040100
	v_perm_b32 v5, v26, v24, s0
	v_perm_b32 v4, v19, v18, s0
	;; [unrolled: 1-line block ×4, first 2 shown]
	ds_write_b128 v1, v[2:5]
	v_perm_b32 v5, v34, v32, s0
	v_perm_b32 v4, v30, v29, s0
	;; [unrolled: 1-line block ×4, first 2 shown]
	ds_write_b128 v1, v[2:5] offset:16
	v_perm_b32 v5, v40, v39, s0
	v_perm_b32 v4, v38, v37, s0
	;; [unrolled: 1-line block ×4, first 2 shown]
	ds_write_b128 v1, v[2:5] offset:32
	s_waitcnt lgkmcnt(0)
	; wave barrier
	s_waitcnt lgkmcnt(0)
	ds_read_u16 v4, v20
	ds_read_u16 v5, v20 offset:128
	ds_read_u16 v6, v20 offset:256
	;; [unrolled: 1-line block ×23, first 2 shown]
	v_mov_b32_e32 v3, s3
	v_add_co_u32_e32 v2, vcc, s2, v20
	v_addc_co_u32_e32 v3, vcc, 0, v3, vcc
	s_waitcnt lgkmcnt(14)
	flat_store_short v[2:3], v4
	flat_store_short v[2:3], v5 offset:128
	flat_store_short v[2:3], v6 offset:256
	flat_store_short v[2:3], v7 offset:384
	flat_store_short v[2:3], v8 offset:512
	flat_store_short v[2:3], v9 offset:640
	flat_store_short v[2:3], v10 offset:768
	flat_store_short v[2:3], v11 offset:896
	flat_store_short v[2:3], v12 offset:1024
	flat_store_short v[2:3], v13 offset:1152
	s_waitcnt lgkmcnt(0)
	flat_store_short v[2:3], v22 offset:1280
	flat_store_short v[2:3], v41 offset:1408
	;; [unrolled: 1-line block ×14, first 2 shown]
	s_mov_b64 s[0:1], 0
.LBB880_87:
	s_andn2_b64 vcc, exec, s[0:1]
	s_cbranch_vccnz .LBB880_144
; %bb.88:
	s_mov_b32 s0, 0x5040100
	v_perm_b32 v5, v26, v24, s0
	v_perm_b32 v4, v19, v18, s0
	;; [unrolled: 1-line block ×4, first 2 shown]
	ds_write_b128 v1, v[2:5]
	v_perm_b32 v5, v34, v32, s0
	v_perm_b32 v4, v30, v29, s0
	v_perm_b32 v3, v28, v27, s0
	v_perm_b32 v2, v25, v23, s0
	ds_write_b128 v1, v[2:5] offset:16
	v_perm_b32 v5, v40, v39, s0
	v_perm_b32 v4, v38, v37, s0
	v_perm_b32 v3, v36, v35, s0
	v_perm_b32 v2, v33, v31, s0
	ds_write_b128 v1, v[2:5] offset:32
	s_waitcnt lgkmcnt(0)
	; wave barrier
	s_waitcnt lgkmcnt(0)
	ds_read_u16 v5, v20
	ds_read_u16 v4, v20 offset:128
	ds_read_u16 v7, v20 offset:256
	ds_read_u16 v8, v20 offset:384
	ds_read_u16 v6, v20 offset:512
	ds_read_u16 v9, v20 offset:640
	ds_read_u16 v17, v20 offset:768
	ds_read_u16 v15, v20 offset:896
	ds_read_u16 v16, v20 offset:1024
	ds_read_u16 v25, v20 offset:1152
	ds_read_u16 v22, v20 offset:1280
	ds_read_u16 v19, v20 offset:1408
	ds_read_u16 v18, v20 offset:1536
	ds_read_u16 v13, v20 offset:1664
	ds_read_u16 v14, v20 offset:1792
	ds_read_u16 v10, v20 offset:1920
	ds_read_u16 v24, v20 offset:2048
	ds_read_u16 v27, v20 offset:2176
	ds_read_u16 v26, v20 offset:2304
	ds_read_u16 v23, v20 offset:2432
	ds_read_u16 v12, v20 offset:2560
	ds_read_u16 v11, v20 offset:2688
	ds_read_u16 v28, v20 offset:2816
	ds_read_u16 v29, v20 offset:2944
	v_mov_b32_e32 v3, s3
	v_add_co_u32_e32 v2, vcc, s2, v20
	v_addc_co_u32_e32 v3, vcc, 0, v3, vcc
	v_mov_b32_e32 v1, 0
	v_cmp_gt_u32_e32 vcc, s22, v0
	s_and_saveexec_b64 s[0:1], vcc
	s_cbranch_execz .LBB880_90
; %bb.89:
	s_waitcnt lgkmcnt(0)
	flat_store_short v[2:3], v5
.LBB880_90:
	s_or_b64 exec, exec, s[0:1]
	v_or_b32_e32 v20, 64, v0
	v_cmp_gt_u32_e32 vcc, s22, v20
	s_and_saveexec_b64 s[0:1], vcc
	s_cbranch_execz .LBB880_92
; %bb.91:
	s_waitcnt lgkmcnt(0)
	flat_store_short v[2:3], v4 offset:128
.LBB880_92:
	s_or_b64 exec, exec, s[0:1]
	v_or_b32_e32 v20, 0x80, v0
	v_cmp_gt_u32_e32 vcc, s22, v20
	s_and_saveexec_b64 s[0:1], vcc
	s_cbranch_execz .LBB880_94
; %bb.93:
	s_waitcnt lgkmcnt(0)
	flat_store_short v[2:3], v7 offset:256
.LBB880_94:
	;; [unrolled: 9-line block ×23, first 2 shown]
	s_or_b64 exec, exec, s[0:1]
	v_cmp_lt_u64_e64 s[0:1], s[10:11], 2
	s_and_b64 vcc, exec, s[0:1]
	s_cbranch_vccnz .LBB880_144
; %bb.137:
	s_add_u32 s0, s22, -1
	s_addc_u32 s1, s23, -1
	s_add_u32 s2, 0, 0xaaaa0000
	s_addc_u32 s3, 0, 42
	s_add_i32 s3, s3, 0xaaaaa80
	s_mul_hi_u32 s9, s2, 0xffffffe8
	s_sub_i32 s9, s9, s2
	s_mul_i32 s10, s3, 0xffffffe8
	s_mul_i32 s4, s2, 0xffffffe8
	s_add_i32 s9, s9, s10
	s_mul_hi_u32 s5, s3, s4
	s_mul_i32 s8, s3, s4
	s_mul_i32 s11, s2, s9
	s_mul_hi_u32 s4, s2, s4
	s_mul_hi_u32 s10, s2, s9
	s_add_u32 s4, s4, s11
	s_addc_u32 s10, 0, s10
	s_add_u32 s4, s4, s8
	s_mul_hi_u32 s11, s3, s9
	s_addc_u32 s4, s10, s5
	s_addc_u32 s5, s11, 0
	s_mul_i32 s8, s3, s9
	s_add_u32 s4, s4, s8
	v_mov_b32_e32 v2, s4
	s_addc_u32 s5, 0, s5
	v_add_co_u32_e32 v2, vcc, s2, v2
	s_cmp_lg_u64 vcc, 0
	s_addc_u32 s2, s3, s5
	v_readfirstlane_b32 s5, v2
	s_mul_i32 s4, s0, s2
	s_mul_hi_u32 s8, s0, s5
	s_mul_hi_u32 s3, s0, s2
	s_add_u32 s4, s8, s4
	s_addc_u32 s3, 0, s3
	s_mul_hi_u32 s9, s1, s5
	s_mul_i32 s5, s1, s5
	s_add_u32 s4, s4, s5
	s_mul_hi_u32 s8, s1, s2
	s_addc_u32 s3, s3, s9
	s_addc_u32 s4, s8, 0
	s_mul_i32 s2, s1, s2
	s_add_u32 s2, s3, s2
	s_addc_u32 s3, 0, s4
	s_add_u32 s4, s2, 1
	s_addc_u32 s5, s3, 0
	s_add_u32 s8, s2, 2
	s_mul_i32 s10, s3, 24
	s_mul_hi_u32 s11, s2, 24
	s_addc_u32 s9, s3, 0
	s_add_i32 s11, s11, s10
	s_mul_i32 s10, s2, 24
	v_mov_b32_e32 v2, s10
	v_sub_co_u32_e32 v2, vcc, s0, v2
	s_cmp_lg_u64 vcc, 0
	s_subb_u32 s10, s1, s11
	v_subrev_co_u32_e32 v3, vcc, 24, v2
	s_cmp_lg_u64 vcc, 0
	s_subb_u32 s11, s10, 0
	v_readfirstlane_b32 s12, v3
	s_cmp_gt_u32 s12, 23
	s_cselect_b32 s12, -1, 0
	s_cmp_eq_u32 s11, 0
	s_cselect_b32 s11, s12, -1
	s_cmp_lg_u32 s11, 0
	s_cselect_b32 s4, s8, s4
	v_readfirstlane_b32 s8, v2
	s_cselect_b32 s5, s9, s5
	s_cmp_gt_u32 s8, 23
	s_cselect_b32 s8, -1, 0
	s_cmp_eq_u32 s10, 0
	s_cselect_b32 s8, s8, -1
	s_cmp_lg_u32 s8, 0
	s_cselect_b32 s3, s5, s3
	s_cselect_b32 s2, s4, s2
	v_cmp_eq_u64_e32 vcc, s[2:3], v[0:1]
	s_and_saveexec_b64 s[2:3], vcc
	s_cbranch_execz .LBB880_144
; %bb.138:
	v_mul_hi_u32_u24_e32 v1, 24, v0
	v_mov_b32_e32 v2, s1
	v_sub_co_u32_e32 v0, vcc, s0, v21
	v_subb_co_u32_e32 v1, vcc, v2, v1, vcc
	v_cmp_lt_i64_e32 vcc, 11, v[0:1]
	s_mov_b64 s[0:1], 0
	s_mov_b64 s[10:11], 0
	;; [unrolled: 1-line block ×4, first 2 shown]
	s_and_saveexec_b64 s[2:3], vcc
	s_xor_b64 s[2:3], exec, s[2:3]
	s_cbranch_execnz .LBB880_145
; %bb.139:
	s_andn2_saveexec_b64 s[2:3], s[2:3]
	s_cbranch_execnz .LBB880_190
.LBB880_140:
	s_or_b64 exec, exec, s[2:3]
	s_and_saveexec_b64 s[2:3], s[10:11]
	s_cbranch_execnz .LBB880_207
.LBB880_141:
	s_or_b64 exec, exec, s[2:3]
	s_and_saveexec_b64 s[2:3], s[8:9]
	s_cbranch_execnz .LBB880_208
.LBB880_142:
	s_or_b64 exec, exec, s[2:3]
	s_and_saveexec_b64 s[2:3], s[4:5]
	s_xor_b64 s[2:3], exec, s[2:3]
	s_cbranch_execnz .LBB880_209
.LBB880_143:
	s_or_b64 exec, exec, s[2:3]
	s_and_b64 exec, exec, s[0:1]
	s_cbranch_execnz .LBB880_210
.LBB880_144:
	s_endpgm
.LBB880_145:
	v_cmp_lt_i64_e32 vcc, 17, v[0:1]
	s_and_saveexec_b64 s[12:13], vcc
	s_xor_b64 s[12:13], exec, s[12:13]
	s_cbranch_execz .LBB880_167
; %bb.146:
	v_cmp_lt_i64_e32 vcc, 20, v[0:1]
                                        ; implicit-def: $vgpr10
	s_and_saveexec_b64 s[14:15], vcc
	s_xor_b64 s[14:15], exec, s[14:15]
	s_cbranch_execz .LBB880_156
; %bb.147:
	v_cmp_lt_i64_e32 vcc, 21, v[0:1]
	s_mov_b64 s[16:17], 0
                                        ; implicit-def: $vgpr10
	s_and_saveexec_b64 s[4:5], vcc
	s_xor_b64 s[4:5], exec, s[4:5]
	s_cbranch_execz .LBB880_153
; %bb.148:
	v_cmp_lt_i64_e32 vcc, 22, v[0:1]
	s_and_saveexec_b64 s[16:17], vcc
	s_xor_b64 s[16:17], exec, s[16:17]
	s_cbranch_execz .LBB880_150
; %bb.149:
	v_mov_b32_e32 v2, 0
	s_waitcnt lgkmcnt(0)
	global_store_short v2, v29, s[6:7]
                                        ; implicit-def: $vgpr28
.LBB880_150:
	s_or_saveexec_b64 s[16:17], s[16:17]
	s_mov_b64 s[18:19], 0
	s_xor_b64 exec, exec, s[16:17]
; %bb.151:
	s_mov_b64 s[18:19], exec
; %bb.152:
	s_or_b64 exec, exec, s[16:17]
	s_and_b64 s[16:17], s[18:19], exec
	s_waitcnt lgkmcnt(0)
	v_mov_b32_e32 v10, v28
                                        ; implicit-def: $vgpr11
.LBB880_153:
	s_andn2_saveexec_b64 s[4:5], s[4:5]
; %bb.154:
	s_mov_b64 s[8:9], exec
                                        ; implicit-def: $vgpr10
; %bb.155:
	s_or_b64 exec, exec, s[4:5]
	s_and_b64 s[4:5], s[16:17], exec
	s_and_b64 s[8:9], s[8:9], exec
                                        ; implicit-def: $vgpr26
                                        ; implicit-def: $vgpr12
                                        ; implicit-def: $vgpr23
.LBB880_156:
	s_andn2_saveexec_b64 s[14:15], s[14:15]
	s_cbranch_execz .LBB880_166
; %bb.157:
	v_cmp_lt_i64_e32 vcc, 18, v[0:1]
	s_mov_b64 s[16:17], 0
	s_and_saveexec_b64 s[10:11], vcc
	s_xor_b64 s[10:11], exec, s[10:11]
	s_cbranch_execz .LBB880_163
; %bb.158:
	v_cmp_lt_i64_e32 vcc, 19, v[0:1]
	s_and_saveexec_b64 s[18:19], vcc
	s_xor_b64 s[18:19], exec, s[18:19]
; %bb.159:
	s_mov_b64 s[16:17], exec
                                        ; implicit-def: $vgpr23
; %bb.160:
	s_andn2_saveexec_b64 s[18:19], s[18:19]
	s_cbranch_execz .LBB880_162
; %bb.161:
	v_mov_b32_e32 v2, 0
	s_waitcnt lgkmcnt(0)
	global_store_short v2, v23, s[6:7]
                                        ; implicit-def: $vgpr12
.LBB880_162:
	s_or_b64 exec, exec, s[18:19]
	s_and_b64 s[16:17], s[16:17], exec
                                        ; implicit-def: $vgpr26
.LBB880_163:
	s_andn2_saveexec_b64 s[10:11], s[10:11]
	s_cbranch_execz .LBB880_165
; %bb.164:
	v_mov_b32_e32 v2, 0
	s_waitcnt lgkmcnt(0)
	global_store_short v2, v26, s[6:7]
                                        ; implicit-def: $vgpr12
.LBB880_165:
	s_or_b64 exec, exec, s[10:11]
	s_and_b64 s[10:11], s[16:17], exec
                                        ; implicit-def: $vgpr10
                                        ; implicit-def: $vgpr11
.LBB880_166:
	s_or_b64 exec, exec, s[14:15]
	s_and_b64 s[4:5], s[4:5], exec
	s_and_b64 s[8:9], s[8:9], exec
	;; [unrolled: 1-line block ×3, first 2 shown]
                                        ; implicit-def: $vgpr18
                                        ; implicit-def: $vgpr13
                                        ; implicit-def: $vgpr14
                                        ; implicit-def: $vgpr24
                                        ; implicit-def: $vgpr27
.LBB880_167:
	s_andn2_saveexec_b64 s[12:13], s[12:13]
	s_cbranch_execz .LBB880_189
; %bb.168:
	v_cmp_lt_i64_e32 vcc, 14, v[0:1]
	s_mov_b64 s[14:15], s[4:5]
	s_and_saveexec_b64 s[16:17], vcc
	s_xor_b64 s[16:17], exec, s[16:17]
	s_cbranch_execz .LBB880_178
; %bb.169:
	v_cmp_lt_i64_e32 vcc, 15, v[0:1]
	s_and_saveexec_b64 s[14:15], vcc
	s_xor_b64 s[14:15], exec, s[14:15]
	s_cbranch_execz .LBB880_175
; %bb.170:
	v_cmp_lt_i64_e32 vcc, 16, v[0:1]
	s_and_saveexec_b64 s[18:19], vcc
	s_xor_b64 s[18:19], exec, s[18:19]
	s_cbranch_execz .LBB880_172
; %bb.171:
	v_mov_b32_e32 v2, 0
	s_waitcnt lgkmcnt(0)
	global_store_short v2, v27, s[6:7]
                                        ; implicit-def: $vgpr24
.LBB880_172:
	s_andn2_saveexec_b64 s[18:19], s[18:19]
	s_cbranch_execz .LBB880_174
; %bb.173:
	v_mov_b32_e32 v2, 0
	s_waitcnt lgkmcnt(0)
	global_store_short v2, v24, s[6:7]
.LBB880_174:
	s_or_b64 exec, exec, s[18:19]
                                        ; implicit-def: $vgpr10
.LBB880_175:
	s_or_saveexec_b64 s[14:15], s[14:15]
	s_mov_b64 s[18:19], s[4:5]
	s_xor_b64 exec, exec, s[14:15]
; %bb.176:
	s_or_b64 s[18:19], s[4:5], exec
; %bb.177:
	s_or_b64 exec, exec, s[14:15]
	s_andn2_b64 s[14:15], s[4:5], exec
	s_and_b64 s[18:19], s[18:19], exec
	s_or_b64 s[14:15], s[14:15], s[18:19]
                                        ; implicit-def: $vgpr18
                                        ; implicit-def: $vgpr13
                                        ; implicit-def: $vgpr14
.LBB880_178:
	s_or_saveexec_b64 s[16:17], s[16:17]
	s_mov_b64 s[18:19], s[8:9]
                                        ; implicit-def: $vgpr11
	s_xor_b64 exec, exec, s[16:17]
	s_cbranch_execz .LBB880_188
; %bb.179:
	v_cmp_lt_i64_e32 vcc, 12, v[0:1]
	s_mov_b64 s[20:21], s[8:9]
	s_mov_b64 s[22:23], s[14:15]
                                        ; implicit-def: $vgpr10
                                        ; implicit-def: $vgpr11
	s_and_saveexec_b64 s[18:19], vcc
	s_xor_b64 s[18:19], exec, s[18:19]
	s_cbranch_execz .LBB880_185
; %bb.180:
	v_cmp_lt_i64_e32 vcc, 13, v[0:1]
	s_mov_b64 s[20:21], s[14:15]
	s_and_saveexec_b64 s[22:23], vcc
	s_xor_b64 s[22:23], exec, s[22:23]
; %bb.181:
	s_or_b64 s[20:21], s[14:15], exec
                                        ; implicit-def: $vgpr13
; %bb.182:
	s_or_saveexec_b64 s[22:23], s[22:23]
	s_mov_b64 s[24:25], s[8:9]
	s_xor_b64 exec, exec, s[22:23]
; %bb.183:
	s_or_b64 s[24:25], s[8:9], exec
                                        ; implicit-def: $vgpr14
; %bb.184:
	s_or_b64 exec, exec, s[22:23]
	s_andn2_b64 s[22:23], s[14:15], exec
	s_and_b64 s[20:21], s[20:21], exec
	s_or_b64 s[22:23], s[22:23], s[20:21]
	s_andn2_b64 s[20:21], s[8:9], exec
	s_and_b64 s[24:25], s[24:25], exec
	s_or_b64 s[20:21], s[20:21], s[24:25]
	s_waitcnt lgkmcnt(0)
	v_mov_b32_e32 v10, v14
	v_mov_b32_e32 v11, v13
                                        ; implicit-def: $vgpr18
.LBB880_185:
	s_andn2_saveexec_b64 s[18:19], s[18:19]
	s_cbranch_execz .LBB880_187
; %bb.186:
	s_or_b64 s[20:21], s[20:21], exec
                                        ; implicit-def: $vgpr10
	s_waitcnt lgkmcnt(0)
	v_mov_b32_e32 v11, v18
.LBB880_187:
	s_or_b64 exec, exec, s[18:19]
	s_andn2_b64 s[14:15], s[14:15], exec
	s_and_b64 s[18:19], s[22:23], exec
	s_or_b64 s[14:15], s[14:15], s[18:19]
	s_andn2_b64 s[18:19], s[8:9], exec
	s_and_b64 s[20:21], s[20:21], exec
	s_or_b64 s[18:19], s[18:19], s[20:21]
.LBB880_188:
	s_or_b64 exec, exec, s[16:17]
	s_andn2_b64 s[4:5], s[4:5], exec
	s_and_b64 s[14:15], s[14:15], exec
	s_or_b64 s[4:5], s[4:5], s[14:15]
	s_andn2_b64 s[8:9], s[8:9], exec
	s_and_b64 s[14:15], s[18:19], exec
	s_or_b64 s[8:9], s[8:9], s[14:15]
                                        ; implicit-def: $vgpr12
.LBB880_189:
	s_or_b64 exec, exec, s[12:13]
	s_and_b64 s[4:5], s[4:5], exec
	s_and_b64 s[8:9], s[8:9], exec
	;; [unrolled: 1-line block ×3, first 2 shown]
                                        ; implicit-def: $vgpr17
                                        ; implicit-def: $vgpr15
                                        ; implicit-def: $vgpr16
                                        ; implicit-def: $vgpr25
                                        ; implicit-def: $vgpr22
                                        ; implicit-def: $vgpr19
	s_andn2_saveexec_b64 s[2:3], s[2:3]
	s_cbranch_execz .LBB880_140
.LBB880_190:
	v_cmp_lt_i64_e32 vcc, 5, v[0:1]
	s_mov_b64 s[14:15], -1
	s_mov_b64 s[12:13], s[10:11]
	s_mov_b64 s[16:17], s[8:9]
	;; [unrolled: 1-line block ×3, first 2 shown]
                                        ; implicit-def: $vgpr10
                                        ; implicit-def: $vgpr11
                                        ; implicit-def: $vgpr12
	s_and_saveexec_b64 s[0:1], vcc
	s_cbranch_execz .LBB880_206
; %bb.191:
	v_cmp_lt_i64_e32 vcc, 8, v[0:1]
	s_mov_b64 s[12:13], s[10:11]
                                        ; implicit-def: $vgpr12
	s_and_saveexec_b64 s[14:15], vcc
	s_xor_b64 s[14:15], exec, s[14:15]
	s_cbranch_execz .LBB880_201
; %bb.192:
	v_cmp_lt_i64_e32 vcc, 9, v[0:1]
	s_and_saveexec_b64 s[12:13], vcc
	s_xor_b64 s[12:13], exec, s[12:13]
	s_cbranch_execz .LBB880_198
; %bb.193:
	v_cmp_lt_i64_e32 vcc, 10, v[0:1]
	s_and_saveexec_b64 s[16:17], vcc
	s_xor_b64 s[16:17], exec, s[16:17]
; %bb.194:
                                        ; implicit-def: $vgpr22
; %bb.195:
	s_andn2_saveexec_b64 s[16:17], s[16:17]
	s_cbranch_execz .LBB880_197
; %bb.196:
	s_waitcnt lgkmcnt(0)
	v_mov_b32_e32 v19, v22
.LBB880_197:
	s_or_b64 exec, exec, s[16:17]
                                        ; implicit-def: $vgpr25
.LBB880_198:
	s_andn2_saveexec_b64 s[12:13], s[12:13]
	s_cbranch_execz .LBB880_200
; %bb.199:
	s_waitcnt lgkmcnt(0)
	v_mov_b32_e32 v19, v25
.LBB880_200:
	s_or_b64 exec, exec, s[12:13]
	s_or_b64 s[12:13], s[10:11], exec
	s_waitcnt lgkmcnt(0)
	v_mov_b32_e32 v12, v19
                                        ; implicit-def: $vgpr17
                                        ; implicit-def: $vgpr15
                                        ; implicit-def: $vgpr16
.LBB880_201:
	s_or_saveexec_b64 s[14:15], s[14:15]
	s_mov_b64 s[16:17], s[8:9]
	s_mov_b64 s[20:21], s[4:5]
                                        ; implicit-def: $vgpr10
                                        ; implicit-def: $vgpr11
	s_xor_b64 exec, exec, s[14:15]
	s_cbranch_execz .LBB880_205
; %bb.202:
	v_cmp_lt_i64_e32 vcc, 6, v[0:1]
	s_mov_b64 s[20:21], -1
	s_mov_b64 s[18:19], s[12:13]
	s_mov_b64 s[16:17], s[8:9]
	s_and_saveexec_b64 s[22:23], vcc
; %bb.203:
	v_cmp_lt_i64_e32 vcc, 7, v[0:1]
	s_andn2_b64 s[18:19], s[12:13], exec
	s_and_b64 s[24:25], vcc, exec
	s_xor_b64 s[20:21], exec, -1
	s_or_b64 s[16:17], s[8:9], exec
	s_or_b64 s[18:19], s[18:19], s[24:25]
                                        ; implicit-def: $vgpr17
; %bb.204:
	s_or_b64 exec, exec, s[22:23]
	s_andn2_b64 s[22:23], s[4:5], exec
	s_and_b64 s[20:21], s[20:21], exec
	s_or_b64 s[20:21], s[22:23], s[20:21]
	s_andn2_b64 s[22:23], s[8:9], exec
	s_and_b64 s[16:17], s[16:17], exec
	s_andn2_b64 s[12:13], s[12:13], exec
	s_and_b64 s[18:19], s[18:19], exec
	s_or_b64 s[16:17], s[22:23], s[16:17]
	s_or_b64 s[12:13], s[12:13], s[18:19]
	s_waitcnt lgkmcnt(0)
	v_mov_b32_e32 v10, v17
	v_mov_b32_e32 v11, v15
	v_mov_b32_e32 v12, v16
.LBB880_205:
	s_or_b64 exec, exec, s[14:15]
	s_andn2_b64 s[18:19], s[4:5], exec
	s_and_b64 s[20:21], s[20:21], exec
	s_or_b64 s[18:19], s[18:19], s[20:21]
	s_andn2_b64 s[20:21], s[8:9], exec
	s_and_b64 s[16:17], s[16:17], exec
	s_or_b64 s[16:17], s[20:21], s[16:17]
	s_andn2_b64 s[20:21], s[10:11], exec
	s_and_b64 s[12:13], s[12:13], exec
	s_xor_b64 s[14:15], exec, -1
	s_or_b64 s[12:13], s[20:21], s[12:13]
.LBB880_206:
	s_or_b64 exec, exec, s[0:1]
	s_and_b64 s[0:1], s[14:15], exec
	s_andn2_b64 s[4:5], s[4:5], exec
	s_and_b64 s[14:15], s[18:19], exec
	s_or_b64 s[4:5], s[4:5], s[14:15]
	s_andn2_b64 s[8:9], s[8:9], exec
	s_and_b64 s[14:15], s[16:17], exec
	s_andn2_b64 s[10:11], s[10:11], exec
	s_and_b64 s[12:13], s[12:13], exec
	s_or_b64 s[8:9], s[8:9], s[14:15]
	s_or_b64 s[10:11], s[10:11], s[12:13]
	s_or_b64 exec, exec, s[2:3]
	s_and_saveexec_b64 s[2:3], s[10:11]
	s_cbranch_execz .LBB880_141
.LBB880_207:
	v_mov_b32_e32 v2, 0
	s_andn2_b64 s[8:9], s[8:9], exec
	s_waitcnt lgkmcnt(0)
	global_store_short v2, v12, s[6:7]
                                        ; implicit-def: $vgpr10
                                        ; implicit-def: $vgpr11
	s_or_b64 exec, exec, s[2:3]
	s_and_saveexec_b64 s[2:3], s[8:9]
	s_cbranch_execz .LBB880_142
.LBB880_208:
	v_mov_b32_e32 v2, 0
	s_waitcnt lgkmcnt(0)
	global_store_short v2, v11, s[6:7]
                                        ; implicit-def: $vgpr10
	s_or_b64 exec, exec, s[2:3]
	s_and_saveexec_b64 s[2:3], s[4:5]
	s_xor_b64 s[2:3], exec, s[2:3]
	s_cbranch_execz .LBB880_143
.LBB880_209:
	v_mov_b32_e32 v2, 0
	s_waitcnt lgkmcnt(0)
	global_store_short v2, v10, s[6:7]
	s_or_b64 exec, exec, s[2:3]
	s_and_b64 exec, exec, s[0:1]
	s_cbranch_execz .LBB880_144
.LBB880_210:
	v_cmp_lt_i64_e32 vcc, 2, v[0:1]
	s_and_saveexec_b64 s[0:1], vcc
	s_xor_b64 s[0:1], exec, s[0:1]
	s_cbranch_execz .LBB880_220
; %bb.211:
	v_cmp_lt_i64_e32 vcc, 3, v[0:1]
	s_and_saveexec_b64 s[2:3], vcc
	s_xor_b64 s[2:3], exec, s[2:3]
	s_cbranch_execz .LBB880_217
; %bb.212:
	;; [unrolled: 5-line block ×3, first 2 shown]
	v_mov_b32_e32 v0, 0
	s_waitcnt lgkmcnt(0)
	global_store_short v0, v9, s[6:7]
                                        ; implicit-def: $vgpr6
.LBB880_214:
	s_andn2_saveexec_b64 s[4:5], s[4:5]
	s_cbranch_execz .LBB880_216
; %bb.215:
	v_mov_b32_e32 v0, 0
	s_waitcnt lgkmcnt(0)
	global_store_short v0, v6, s[6:7]
.LBB880_216:
	s_or_b64 exec, exec, s[4:5]
                                        ; implicit-def: $vgpr8
.LBB880_217:
	s_andn2_saveexec_b64 s[2:3], s[2:3]
	s_cbranch_execz .LBB880_219
; %bb.218:
	v_mov_b32_e32 v0, 0
	s_waitcnt lgkmcnt(0)
	global_store_short v0, v8, s[6:7]
.LBB880_219:
	s_or_b64 exec, exec, s[2:3]
                                        ; implicit-def: $vgpr0_vgpr1
                                        ; implicit-def: $vgpr7
                                        ; implicit-def: $vgpr4
                                        ; implicit-def: $vgpr5
.LBB880_220:
	s_andn2_saveexec_b64 s[0:1], s[0:1]
	s_cbranch_execz .LBB880_144
; %bb.221:
	v_cmp_lt_i64_e32 vcc, 1, v[0:1]
	s_and_saveexec_b64 s[0:1], vcc
	s_xor_b64 s[0:1], exec, s[0:1]
	s_cbranch_execz .LBB880_223
; %bb.222:
	v_mov_b32_e32 v0, 0
	s_waitcnt lgkmcnt(0)
	global_store_short v0, v7, s[6:7]
                                        ; implicit-def: $vgpr4
                                        ; implicit-def: $vgpr0_vgpr1
                                        ; implicit-def: $vgpr5
.LBB880_223:
	s_andn2_saveexec_b64 s[0:1], s[0:1]
	s_cbranch_execz .LBB880_144
; %bb.224:
	v_cmp_ne_u64_e32 vcc, 1, v[0:1]
	s_and_saveexec_b64 s[0:1], vcc
	s_xor_b64 s[0:1], exec, s[0:1]
	s_cbranch_execz .LBB880_226
; %bb.225:
	v_mov_b32_e32 v0, 0
	s_waitcnt lgkmcnt(0)
	global_store_short v0, v5, s[6:7]
                                        ; implicit-def: $vgpr4
.LBB880_226:
	s_andn2_saveexec_b64 s[0:1], s[0:1]
	s_cbranch_execz .LBB880_144
; %bb.227:
	v_mov_b32_e32 v0, 0
	s_waitcnt lgkmcnt(0)
	global_store_short v0, v4, s[6:7]
	s_endpgm
	.section	.rodata,"a",@progbits
	.p2align	6, 0x0
	.amdhsa_kernel _ZN7rocprim17ROCPRIM_400000_NS6detail17trampoline_kernelINS0_14default_configENS1_20scan_config_selectorIsEEZZNS1_9scan_implILNS1_25lookback_scan_determinismE0ELb0ELb0ES3_N6thrust23THRUST_200600_302600_NS6detail15normal_iteratorINS9_10device_ptrIsEEEESE_sNS9_4plusIvEEsEEDaPvRmT3_T4_T5_mT6_P12ihipStream_tbENKUlT_T0_E_clISt17integral_constantIbLb0EESU_EEDaSP_SQ_EUlSP_E_NS1_11comp_targetILNS1_3genE4ELNS1_11target_archE910ELNS1_3gpuE8ELNS1_3repE0EEENS1_30default_config_static_selectorELNS0_4arch9wavefront6targetE1EEEvT1_
		.amdhsa_group_segment_fixed_size 3072
		.amdhsa_private_segment_fixed_size 0
		.amdhsa_kernarg_size 96
		.amdhsa_user_sgpr_count 6
		.amdhsa_user_sgpr_private_segment_buffer 1
		.amdhsa_user_sgpr_dispatch_ptr 0
		.amdhsa_user_sgpr_queue_ptr 0
		.amdhsa_user_sgpr_kernarg_segment_ptr 1
		.amdhsa_user_sgpr_dispatch_id 0
		.amdhsa_user_sgpr_flat_scratch_init 0
		.amdhsa_user_sgpr_kernarg_preload_length 0
		.amdhsa_user_sgpr_kernarg_preload_offset 0
		.amdhsa_user_sgpr_private_segment_size 0
		.amdhsa_uses_dynamic_stack 0
		.amdhsa_system_sgpr_private_segment_wavefront_offset 0
		.amdhsa_system_sgpr_workgroup_id_x 1
		.amdhsa_system_sgpr_workgroup_id_y 0
		.amdhsa_system_sgpr_workgroup_id_z 0
		.amdhsa_system_sgpr_workgroup_info 0
		.amdhsa_system_vgpr_workitem_id 0
		.amdhsa_next_free_vgpr 54
		.amdhsa_next_free_sgpr 26
		.amdhsa_accum_offset 56
		.amdhsa_reserve_vcc 1
		.amdhsa_reserve_flat_scratch 0
		.amdhsa_float_round_mode_32 0
		.amdhsa_float_round_mode_16_64 0
		.amdhsa_float_denorm_mode_32 3
		.amdhsa_float_denorm_mode_16_64 3
		.amdhsa_dx10_clamp 1
		.amdhsa_ieee_mode 1
		.amdhsa_fp16_overflow 0
		.amdhsa_tg_split 0
		.amdhsa_exception_fp_ieee_invalid_op 0
		.amdhsa_exception_fp_denorm_src 0
		.amdhsa_exception_fp_ieee_div_zero 0
		.amdhsa_exception_fp_ieee_overflow 0
		.amdhsa_exception_fp_ieee_underflow 0
		.amdhsa_exception_fp_ieee_inexact 0
		.amdhsa_exception_int_div_zero 0
	.end_amdhsa_kernel
	.section	.text._ZN7rocprim17ROCPRIM_400000_NS6detail17trampoline_kernelINS0_14default_configENS1_20scan_config_selectorIsEEZZNS1_9scan_implILNS1_25lookback_scan_determinismE0ELb0ELb0ES3_N6thrust23THRUST_200600_302600_NS6detail15normal_iteratorINS9_10device_ptrIsEEEESE_sNS9_4plusIvEEsEEDaPvRmT3_T4_T5_mT6_P12ihipStream_tbENKUlT_T0_E_clISt17integral_constantIbLb0EESU_EEDaSP_SQ_EUlSP_E_NS1_11comp_targetILNS1_3genE4ELNS1_11target_archE910ELNS1_3gpuE8ELNS1_3repE0EEENS1_30default_config_static_selectorELNS0_4arch9wavefront6targetE1EEEvT1_,"axG",@progbits,_ZN7rocprim17ROCPRIM_400000_NS6detail17trampoline_kernelINS0_14default_configENS1_20scan_config_selectorIsEEZZNS1_9scan_implILNS1_25lookback_scan_determinismE0ELb0ELb0ES3_N6thrust23THRUST_200600_302600_NS6detail15normal_iteratorINS9_10device_ptrIsEEEESE_sNS9_4plusIvEEsEEDaPvRmT3_T4_T5_mT6_P12ihipStream_tbENKUlT_T0_E_clISt17integral_constantIbLb0EESU_EEDaSP_SQ_EUlSP_E_NS1_11comp_targetILNS1_3genE4ELNS1_11target_archE910ELNS1_3gpuE8ELNS1_3repE0EEENS1_30default_config_static_selectorELNS0_4arch9wavefront6targetE1EEEvT1_,comdat
.Lfunc_end880:
	.size	_ZN7rocprim17ROCPRIM_400000_NS6detail17trampoline_kernelINS0_14default_configENS1_20scan_config_selectorIsEEZZNS1_9scan_implILNS1_25lookback_scan_determinismE0ELb0ELb0ES3_N6thrust23THRUST_200600_302600_NS6detail15normal_iteratorINS9_10device_ptrIsEEEESE_sNS9_4plusIvEEsEEDaPvRmT3_T4_T5_mT6_P12ihipStream_tbENKUlT_T0_E_clISt17integral_constantIbLb0EESU_EEDaSP_SQ_EUlSP_E_NS1_11comp_targetILNS1_3genE4ELNS1_11target_archE910ELNS1_3gpuE8ELNS1_3repE0EEENS1_30default_config_static_selectorELNS0_4arch9wavefront6targetE1EEEvT1_, .Lfunc_end880-_ZN7rocprim17ROCPRIM_400000_NS6detail17trampoline_kernelINS0_14default_configENS1_20scan_config_selectorIsEEZZNS1_9scan_implILNS1_25lookback_scan_determinismE0ELb0ELb0ES3_N6thrust23THRUST_200600_302600_NS6detail15normal_iteratorINS9_10device_ptrIsEEEESE_sNS9_4plusIvEEsEEDaPvRmT3_T4_T5_mT6_P12ihipStream_tbENKUlT_T0_E_clISt17integral_constantIbLb0EESU_EEDaSP_SQ_EUlSP_E_NS1_11comp_targetILNS1_3genE4ELNS1_11target_archE910ELNS1_3gpuE8ELNS1_3repE0EEENS1_30default_config_static_selectorELNS0_4arch9wavefront6targetE1EEEvT1_
                                        ; -- End function
	.section	.AMDGPU.csdata,"",@progbits
; Kernel info:
; codeLenInByte = 7868
; NumSgprs: 30
; NumVgprs: 54
; NumAgprs: 0
; TotalNumVgprs: 54
; ScratchSize: 0
; MemoryBound: 0
; FloatMode: 240
; IeeeMode: 1
; LDSByteSize: 3072 bytes/workgroup (compile time only)
; SGPRBlocks: 3
; VGPRBlocks: 6
; NumSGPRsForWavesPerEU: 30
; NumVGPRsForWavesPerEU: 54
; AccumOffset: 56
; Occupancy: 6
; WaveLimiterHint : 1
; COMPUTE_PGM_RSRC2:SCRATCH_EN: 0
; COMPUTE_PGM_RSRC2:USER_SGPR: 6
; COMPUTE_PGM_RSRC2:TRAP_HANDLER: 0
; COMPUTE_PGM_RSRC2:TGID_X_EN: 1
; COMPUTE_PGM_RSRC2:TGID_Y_EN: 0
; COMPUTE_PGM_RSRC2:TGID_Z_EN: 0
; COMPUTE_PGM_RSRC2:TIDIG_COMP_CNT: 0
; COMPUTE_PGM_RSRC3_GFX90A:ACCUM_OFFSET: 13
; COMPUTE_PGM_RSRC3_GFX90A:TG_SPLIT: 0
	.section	.text._ZN7rocprim17ROCPRIM_400000_NS6detail17trampoline_kernelINS0_14default_configENS1_20scan_config_selectorIsEEZZNS1_9scan_implILNS1_25lookback_scan_determinismE0ELb0ELb0ES3_N6thrust23THRUST_200600_302600_NS6detail15normal_iteratorINS9_10device_ptrIsEEEESE_sNS9_4plusIvEEsEEDaPvRmT3_T4_T5_mT6_P12ihipStream_tbENKUlT_T0_E_clISt17integral_constantIbLb0EESU_EEDaSP_SQ_EUlSP_E_NS1_11comp_targetILNS1_3genE3ELNS1_11target_archE908ELNS1_3gpuE7ELNS1_3repE0EEENS1_30default_config_static_selectorELNS0_4arch9wavefront6targetE1EEEvT1_,"axG",@progbits,_ZN7rocprim17ROCPRIM_400000_NS6detail17trampoline_kernelINS0_14default_configENS1_20scan_config_selectorIsEEZZNS1_9scan_implILNS1_25lookback_scan_determinismE0ELb0ELb0ES3_N6thrust23THRUST_200600_302600_NS6detail15normal_iteratorINS9_10device_ptrIsEEEESE_sNS9_4plusIvEEsEEDaPvRmT3_T4_T5_mT6_P12ihipStream_tbENKUlT_T0_E_clISt17integral_constantIbLb0EESU_EEDaSP_SQ_EUlSP_E_NS1_11comp_targetILNS1_3genE3ELNS1_11target_archE908ELNS1_3gpuE7ELNS1_3repE0EEENS1_30default_config_static_selectorELNS0_4arch9wavefront6targetE1EEEvT1_,comdat
	.protected	_ZN7rocprim17ROCPRIM_400000_NS6detail17trampoline_kernelINS0_14default_configENS1_20scan_config_selectorIsEEZZNS1_9scan_implILNS1_25lookback_scan_determinismE0ELb0ELb0ES3_N6thrust23THRUST_200600_302600_NS6detail15normal_iteratorINS9_10device_ptrIsEEEESE_sNS9_4plusIvEEsEEDaPvRmT3_T4_T5_mT6_P12ihipStream_tbENKUlT_T0_E_clISt17integral_constantIbLb0EESU_EEDaSP_SQ_EUlSP_E_NS1_11comp_targetILNS1_3genE3ELNS1_11target_archE908ELNS1_3gpuE7ELNS1_3repE0EEENS1_30default_config_static_selectorELNS0_4arch9wavefront6targetE1EEEvT1_ ; -- Begin function _ZN7rocprim17ROCPRIM_400000_NS6detail17trampoline_kernelINS0_14default_configENS1_20scan_config_selectorIsEEZZNS1_9scan_implILNS1_25lookback_scan_determinismE0ELb0ELb0ES3_N6thrust23THRUST_200600_302600_NS6detail15normal_iteratorINS9_10device_ptrIsEEEESE_sNS9_4plusIvEEsEEDaPvRmT3_T4_T5_mT6_P12ihipStream_tbENKUlT_T0_E_clISt17integral_constantIbLb0EESU_EEDaSP_SQ_EUlSP_E_NS1_11comp_targetILNS1_3genE3ELNS1_11target_archE908ELNS1_3gpuE7ELNS1_3repE0EEENS1_30default_config_static_selectorELNS0_4arch9wavefront6targetE1EEEvT1_
	.globl	_ZN7rocprim17ROCPRIM_400000_NS6detail17trampoline_kernelINS0_14default_configENS1_20scan_config_selectorIsEEZZNS1_9scan_implILNS1_25lookback_scan_determinismE0ELb0ELb0ES3_N6thrust23THRUST_200600_302600_NS6detail15normal_iteratorINS9_10device_ptrIsEEEESE_sNS9_4plusIvEEsEEDaPvRmT3_T4_T5_mT6_P12ihipStream_tbENKUlT_T0_E_clISt17integral_constantIbLb0EESU_EEDaSP_SQ_EUlSP_E_NS1_11comp_targetILNS1_3genE3ELNS1_11target_archE908ELNS1_3gpuE7ELNS1_3repE0EEENS1_30default_config_static_selectorELNS0_4arch9wavefront6targetE1EEEvT1_
	.p2align	8
	.type	_ZN7rocprim17ROCPRIM_400000_NS6detail17trampoline_kernelINS0_14default_configENS1_20scan_config_selectorIsEEZZNS1_9scan_implILNS1_25lookback_scan_determinismE0ELb0ELb0ES3_N6thrust23THRUST_200600_302600_NS6detail15normal_iteratorINS9_10device_ptrIsEEEESE_sNS9_4plusIvEEsEEDaPvRmT3_T4_T5_mT6_P12ihipStream_tbENKUlT_T0_E_clISt17integral_constantIbLb0EESU_EEDaSP_SQ_EUlSP_E_NS1_11comp_targetILNS1_3genE3ELNS1_11target_archE908ELNS1_3gpuE7ELNS1_3repE0EEENS1_30default_config_static_selectorELNS0_4arch9wavefront6targetE1EEEvT1_,@function
_ZN7rocprim17ROCPRIM_400000_NS6detail17trampoline_kernelINS0_14default_configENS1_20scan_config_selectorIsEEZZNS1_9scan_implILNS1_25lookback_scan_determinismE0ELb0ELb0ES3_N6thrust23THRUST_200600_302600_NS6detail15normal_iteratorINS9_10device_ptrIsEEEESE_sNS9_4plusIvEEsEEDaPvRmT3_T4_T5_mT6_P12ihipStream_tbENKUlT_T0_E_clISt17integral_constantIbLb0EESU_EEDaSP_SQ_EUlSP_E_NS1_11comp_targetILNS1_3genE3ELNS1_11target_archE908ELNS1_3gpuE7ELNS1_3repE0EEENS1_30default_config_static_selectorELNS0_4arch9wavefront6targetE1EEEvT1_: ; @_ZN7rocprim17ROCPRIM_400000_NS6detail17trampoline_kernelINS0_14default_configENS1_20scan_config_selectorIsEEZZNS1_9scan_implILNS1_25lookback_scan_determinismE0ELb0ELb0ES3_N6thrust23THRUST_200600_302600_NS6detail15normal_iteratorINS9_10device_ptrIsEEEESE_sNS9_4plusIvEEsEEDaPvRmT3_T4_T5_mT6_P12ihipStream_tbENKUlT_T0_E_clISt17integral_constantIbLb0EESU_EEDaSP_SQ_EUlSP_E_NS1_11comp_targetILNS1_3genE3ELNS1_11target_archE908ELNS1_3gpuE7ELNS1_3repE0EEENS1_30default_config_static_selectorELNS0_4arch9wavefront6targetE1EEEvT1_
; %bb.0:
	.section	.rodata,"a",@progbits
	.p2align	6, 0x0
	.amdhsa_kernel _ZN7rocprim17ROCPRIM_400000_NS6detail17trampoline_kernelINS0_14default_configENS1_20scan_config_selectorIsEEZZNS1_9scan_implILNS1_25lookback_scan_determinismE0ELb0ELb0ES3_N6thrust23THRUST_200600_302600_NS6detail15normal_iteratorINS9_10device_ptrIsEEEESE_sNS9_4plusIvEEsEEDaPvRmT3_T4_T5_mT6_P12ihipStream_tbENKUlT_T0_E_clISt17integral_constantIbLb0EESU_EEDaSP_SQ_EUlSP_E_NS1_11comp_targetILNS1_3genE3ELNS1_11target_archE908ELNS1_3gpuE7ELNS1_3repE0EEENS1_30default_config_static_selectorELNS0_4arch9wavefront6targetE1EEEvT1_
		.amdhsa_group_segment_fixed_size 0
		.amdhsa_private_segment_fixed_size 0
		.amdhsa_kernarg_size 96
		.amdhsa_user_sgpr_count 6
		.amdhsa_user_sgpr_private_segment_buffer 1
		.amdhsa_user_sgpr_dispatch_ptr 0
		.amdhsa_user_sgpr_queue_ptr 0
		.amdhsa_user_sgpr_kernarg_segment_ptr 1
		.amdhsa_user_sgpr_dispatch_id 0
		.amdhsa_user_sgpr_flat_scratch_init 0
		.amdhsa_user_sgpr_kernarg_preload_length 0
		.amdhsa_user_sgpr_kernarg_preload_offset 0
		.amdhsa_user_sgpr_private_segment_size 0
		.amdhsa_uses_dynamic_stack 0
		.amdhsa_system_sgpr_private_segment_wavefront_offset 0
		.amdhsa_system_sgpr_workgroup_id_x 1
		.amdhsa_system_sgpr_workgroup_id_y 0
		.amdhsa_system_sgpr_workgroup_id_z 0
		.amdhsa_system_sgpr_workgroup_info 0
		.amdhsa_system_vgpr_workitem_id 0
		.amdhsa_next_free_vgpr 1
		.amdhsa_next_free_sgpr 0
		.amdhsa_accum_offset 4
		.amdhsa_reserve_vcc 0
		.amdhsa_reserve_flat_scratch 0
		.amdhsa_float_round_mode_32 0
		.amdhsa_float_round_mode_16_64 0
		.amdhsa_float_denorm_mode_32 3
		.amdhsa_float_denorm_mode_16_64 3
		.amdhsa_dx10_clamp 1
		.amdhsa_ieee_mode 1
		.amdhsa_fp16_overflow 0
		.amdhsa_tg_split 0
		.amdhsa_exception_fp_ieee_invalid_op 0
		.amdhsa_exception_fp_denorm_src 0
		.amdhsa_exception_fp_ieee_div_zero 0
		.amdhsa_exception_fp_ieee_overflow 0
		.amdhsa_exception_fp_ieee_underflow 0
		.amdhsa_exception_fp_ieee_inexact 0
		.amdhsa_exception_int_div_zero 0
	.end_amdhsa_kernel
	.section	.text._ZN7rocprim17ROCPRIM_400000_NS6detail17trampoline_kernelINS0_14default_configENS1_20scan_config_selectorIsEEZZNS1_9scan_implILNS1_25lookback_scan_determinismE0ELb0ELb0ES3_N6thrust23THRUST_200600_302600_NS6detail15normal_iteratorINS9_10device_ptrIsEEEESE_sNS9_4plusIvEEsEEDaPvRmT3_T4_T5_mT6_P12ihipStream_tbENKUlT_T0_E_clISt17integral_constantIbLb0EESU_EEDaSP_SQ_EUlSP_E_NS1_11comp_targetILNS1_3genE3ELNS1_11target_archE908ELNS1_3gpuE7ELNS1_3repE0EEENS1_30default_config_static_selectorELNS0_4arch9wavefront6targetE1EEEvT1_,"axG",@progbits,_ZN7rocprim17ROCPRIM_400000_NS6detail17trampoline_kernelINS0_14default_configENS1_20scan_config_selectorIsEEZZNS1_9scan_implILNS1_25lookback_scan_determinismE0ELb0ELb0ES3_N6thrust23THRUST_200600_302600_NS6detail15normal_iteratorINS9_10device_ptrIsEEEESE_sNS9_4plusIvEEsEEDaPvRmT3_T4_T5_mT6_P12ihipStream_tbENKUlT_T0_E_clISt17integral_constantIbLb0EESU_EEDaSP_SQ_EUlSP_E_NS1_11comp_targetILNS1_3genE3ELNS1_11target_archE908ELNS1_3gpuE7ELNS1_3repE0EEENS1_30default_config_static_selectorELNS0_4arch9wavefront6targetE1EEEvT1_,comdat
.Lfunc_end881:
	.size	_ZN7rocprim17ROCPRIM_400000_NS6detail17trampoline_kernelINS0_14default_configENS1_20scan_config_selectorIsEEZZNS1_9scan_implILNS1_25lookback_scan_determinismE0ELb0ELb0ES3_N6thrust23THRUST_200600_302600_NS6detail15normal_iteratorINS9_10device_ptrIsEEEESE_sNS9_4plusIvEEsEEDaPvRmT3_T4_T5_mT6_P12ihipStream_tbENKUlT_T0_E_clISt17integral_constantIbLb0EESU_EEDaSP_SQ_EUlSP_E_NS1_11comp_targetILNS1_3genE3ELNS1_11target_archE908ELNS1_3gpuE7ELNS1_3repE0EEENS1_30default_config_static_selectorELNS0_4arch9wavefront6targetE1EEEvT1_, .Lfunc_end881-_ZN7rocprim17ROCPRIM_400000_NS6detail17trampoline_kernelINS0_14default_configENS1_20scan_config_selectorIsEEZZNS1_9scan_implILNS1_25lookback_scan_determinismE0ELb0ELb0ES3_N6thrust23THRUST_200600_302600_NS6detail15normal_iteratorINS9_10device_ptrIsEEEESE_sNS9_4plusIvEEsEEDaPvRmT3_T4_T5_mT6_P12ihipStream_tbENKUlT_T0_E_clISt17integral_constantIbLb0EESU_EEDaSP_SQ_EUlSP_E_NS1_11comp_targetILNS1_3genE3ELNS1_11target_archE908ELNS1_3gpuE7ELNS1_3repE0EEENS1_30default_config_static_selectorELNS0_4arch9wavefront6targetE1EEEvT1_
                                        ; -- End function
	.section	.AMDGPU.csdata,"",@progbits
; Kernel info:
; codeLenInByte = 0
; NumSgprs: 4
; NumVgprs: 0
; NumAgprs: 0
; TotalNumVgprs: 0
; ScratchSize: 0
; MemoryBound: 0
; FloatMode: 240
; IeeeMode: 1
; LDSByteSize: 0 bytes/workgroup (compile time only)
; SGPRBlocks: 0
; VGPRBlocks: 0
; NumSGPRsForWavesPerEU: 4
; NumVGPRsForWavesPerEU: 1
; AccumOffset: 4
; Occupancy: 8
; WaveLimiterHint : 0
; COMPUTE_PGM_RSRC2:SCRATCH_EN: 0
; COMPUTE_PGM_RSRC2:USER_SGPR: 6
; COMPUTE_PGM_RSRC2:TRAP_HANDLER: 0
; COMPUTE_PGM_RSRC2:TGID_X_EN: 1
; COMPUTE_PGM_RSRC2:TGID_Y_EN: 0
; COMPUTE_PGM_RSRC2:TGID_Z_EN: 0
; COMPUTE_PGM_RSRC2:TIDIG_COMP_CNT: 0
; COMPUTE_PGM_RSRC3_GFX90A:ACCUM_OFFSET: 0
; COMPUTE_PGM_RSRC3_GFX90A:TG_SPLIT: 0
	.section	.text._ZN7rocprim17ROCPRIM_400000_NS6detail17trampoline_kernelINS0_14default_configENS1_20scan_config_selectorIsEEZZNS1_9scan_implILNS1_25lookback_scan_determinismE0ELb0ELb0ES3_N6thrust23THRUST_200600_302600_NS6detail15normal_iteratorINS9_10device_ptrIsEEEESE_sNS9_4plusIvEEsEEDaPvRmT3_T4_T5_mT6_P12ihipStream_tbENKUlT_T0_E_clISt17integral_constantIbLb0EESU_EEDaSP_SQ_EUlSP_E_NS1_11comp_targetILNS1_3genE2ELNS1_11target_archE906ELNS1_3gpuE6ELNS1_3repE0EEENS1_30default_config_static_selectorELNS0_4arch9wavefront6targetE1EEEvT1_,"axG",@progbits,_ZN7rocprim17ROCPRIM_400000_NS6detail17trampoline_kernelINS0_14default_configENS1_20scan_config_selectorIsEEZZNS1_9scan_implILNS1_25lookback_scan_determinismE0ELb0ELb0ES3_N6thrust23THRUST_200600_302600_NS6detail15normal_iteratorINS9_10device_ptrIsEEEESE_sNS9_4plusIvEEsEEDaPvRmT3_T4_T5_mT6_P12ihipStream_tbENKUlT_T0_E_clISt17integral_constantIbLb0EESU_EEDaSP_SQ_EUlSP_E_NS1_11comp_targetILNS1_3genE2ELNS1_11target_archE906ELNS1_3gpuE6ELNS1_3repE0EEENS1_30default_config_static_selectorELNS0_4arch9wavefront6targetE1EEEvT1_,comdat
	.protected	_ZN7rocprim17ROCPRIM_400000_NS6detail17trampoline_kernelINS0_14default_configENS1_20scan_config_selectorIsEEZZNS1_9scan_implILNS1_25lookback_scan_determinismE0ELb0ELb0ES3_N6thrust23THRUST_200600_302600_NS6detail15normal_iteratorINS9_10device_ptrIsEEEESE_sNS9_4plusIvEEsEEDaPvRmT3_T4_T5_mT6_P12ihipStream_tbENKUlT_T0_E_clISt17integral_constantIbLb0EESU_EEDaSP_SQ_EUlSP_E_NS1_11comp_targetILNS1_3genE2ELNS1_11target_archE906ELNS1_3gpuE6ELNS1_3repE0EEENS1_30default_config_static_selectorELNS0_4arch9wavefront6targetE1EEEvT1_ ; -- Begin function _ZN7rocprim17ROCPRIM_400000_NS6detail17trampoline_kernelINS0_14default_configENS1_20scan_config_selectorIsEEZZNS1_9scan_implILNS1_25lookback_scan_determinismE0ELb0ELb0ES3_N6thrust23THRUST_200600_302600_NS6detail15normal_iteratorINS9_10device_ptrIsEEEESE_sNS9_4plusIvEEsEEDaPvRmT3_T4_T5_mT6_P12ihipStream_tbENKUlT_T0_E_clISt17integral_constantIbLb0EESU_EEDaSP_SQ_EUlSP_E_NS1_11comp_targetILNS1_3genE2ELNS1_11target_archE906ELNS1_3gpuE6ELNS1_3repE0EEENS1_30default_config_static_selectorELNS0_4arch9wavefront6targetE1EEEvT1_
	.globl	_ZN7rocprim17ROCPRIM_400000_NS6detail17trampoline_kernelINS0_14default_configENS1_20scan_config_selectorIsEEZZNS1_9scan_implILNS1_25lookback_scan_determinismE0ELb0ELb0ES3_N6thrust23THRUST_200600_302600_NS6detail15normal_iteratorINS9_10device_ptrIsEEEESE_sNS9_4plusIvEEsEEDaPvRmT3_T4_T5_mT6_P12ihipStream_tbENKUlT_T0_E_clISt17integral_constantIbLb0EESU_EEDaSP_SQ_EUlSP_E_NS1_11comp_targetILNS1_3genE2ELNS1_11target_archE906ELNS1_3gpuE6ELNS1_3repE0EEENS1_30default_config_static_selectorELNS0_4arch9wavefront6targetE1EEEvT1_
	.p2align	8
	.type	_ZN7rocprim17ROCPRIM_400000_NS6detail17trampoline_kernelINS0_14default_configENS1_20scan_config_selectorIsEEZZNS1_9scan_implILNS1_25lookback_scan_determinismE0ELb0ELb0ES3_N6thrust23THRUST_200600_302600_NS6detail15normal_iteratorINS9_10device_ptrIsEEEESE_sNS9_4plusIvEEsEEDaPvRmT3_T4_T5_mT6_P12ihipStream_tbENKUlT_T0_E_clISt17integral_constantIbLb0EESU_EEDaSP_SQ_EUlSP_E_NS1_11comp_targetILNS1_3genE2ELNS1_11target_archE906ELNS1_3gpuE6ELNS1_3repE0EEENS1_30default_config_static_selectorELNS0_4arch9wavefront6targetE1EEEvT1_,@function
_ZN7rocprim17ROCPRIM_400000_NS6detail17trampoline_kernelINS0_14default_configENS1_20scan_config_selectorIsEEZZNS1_9scan_implILNS1_25lookback_scan_determinismE0ELb0ELb0ES3_N6thrust23THRUST_200600_302600_NS6detail15normal_iteratorINS9_10device_ptrIsEEEESE_sNS9_4plusIvEEsEEDaPvRmT3_T4_T5_mT6_P12ihipStream_tbENKUlT_T0_E_clISt17integral_constantIbLb0EESU_EEDaSP_SQ_EUlSP_E_NS1_11comp_targetILNS1_3genE2ELNS1_11target_archE906ELNS1_3gpuE6ELNS1_3repE0EEENS1_30default_config_static_selectorELNS0_4arch9wavefront6targetE1EEEvT1_: ; @_ZN7rocprim17ROCPRIM_400000_NS6detail17trampoline_kernelINS0_14default_configENS1_20scan_config_selectorIsEEZZNS1_9scan_implILNS1_25lookback_scan_determinismE0ELb0ELb0ES3_N6thrust23THRUST_200600_302600_NS6detail15normal_iteratorINS9_10device_ptrIsEEEESE_sNS9_4plusIvEEsEEDaPvRmT3_T4_T5_mT6_P12ihipStream_tbENKUlT_T0_E_clISt17integral_constantIbLb0EESU_EEDaSP_SQ_EUlSP_E_NS1_11comp_targetILNS1_3genE2ELNS1_11target_archE906ELNS1_3gpuE6ELNS1_3repE0EEENS1_30default_config_static_selectorELNS0_4arch9wavefront6targetE1EEEvT1_
; %bb.0:
	.section	.rodata,"a",@progbits
	.p2align	6, 0x0
	.amdhsa_kernel _ZN7rocprim17ROCPRIM_400000_NS6detail17trampoline_kernelINS0_14default_configENS1_20scan_config_selectorIsEEZZNS1_9scan_implILNS1_25lookback_scan_determinismE0ELb0ELb0ES3_N6thrust23THRUST_200600_302600_NS6detail15normal_iteratorINS9_10device_ptrIsEEEESE_sNS9_4plusIvEEsEEDaPvRmT3_T4_T5_mT6_P12ihipStream_tbENKUlT_T0_E_clISt17integral_constantIbLb0EESU_EEDaSP_SQ_EUlSP_E_NS1_11comp_targetILNS1_3genE2ELNS1_11target_archE906ELNS1_3gpuE6ELNS1_3repE0EEENS1_30default_config_static_selectorELNS0_4arch9wavefront6targetE1EEEvT1_
		.amdhsa_group_segment_fixed_size 0
		.amdhsa_private_segment_fixed_size 0
		.amdhsa_kernarg_size 96
		.amdhsa_user_sgpr_count 6
		.amdhsa_user_sgpr_private_segment_buffer 1
		.amdhsa_user_sgpr_dispatch_ptr 0
		.amdhsa_user_sgpr_queue_ptr 0
		.amdhsa_user_sgpr_kernarg_segment_ptr 1
		.amdhsa_user_sgpr_dispatch_id 0
		.amdhsa_user_sgpr_flat_scratch_init 0
		.amdhsa_user_sgpr_kernarg_preload_length 0
		.amdhsa_user_sgpr_kernarg_preload_offset 0
		.amdhsa_user_sgpr_private_segment_size 0
		.amdhsa_uses_dynamic_stack 0
		.amdhsa_system_sgpr_private_segment_wavefront_offset 0
		.amdhsa_system_sgpr_workgroup_id_x 1
		.amdhsa_system_sgpr_workgroup_id_y 0
		.amdhsa_system_sgpr_workgroup_id_z 0
		.amdhsa_system_sgpr_workgroup_info 0
		.amdhsa_system_vgpr_workitem_id 0
		.amdhsa_next_free_vgpr 1
		.amdhsa_next_free_sgpr 0
		.amdhsa_accum_offset 4
		.amdhsa_reserve_vcc 0
		.amdhsa_reserve_flat_scratch 0
		.amdhsa_float_round_mode_32 0
		.amdhsa_float_round_mode_16_64 0
		.amdhsa_float_denorm_mode_32 3
		.amdhsa_float_denorm_mode_16_64 3
		.amdhsa_dx10_clamp 1
		.amdhsa_ieee_mode 1
		.amdhsa_fp16_overflow 0
		.amdhsa_tg_split 0
		.amdhsa_exception_fp_ieee_invalid_op 0
		.amdhsa_exception_fp_denorm_src 0
		.amdhsa_exception_fp_ieee_div_zero 0
		.amdhsa_exception_fp_ieee_overflow 0
		.amdhsa_exception_fp_ieee_underflow 0
		.amdhsa_exception_fp_ieee_inexact 0
		.amdhsa_exception_int_div_zero 0
	.end_amdhsa_kernel
	.section	.text._ZN7rocprim17ROCPRIM_400000_NS6detail17trampoline_kernelINS0_14default_configENS1_20scan_config_selectorIsEEZZNS1_9scan_implILNS1_25lookback_scan_determinismE0ELb0ELb0ES3_N6thrust23THRUST_200600_302600_NS6detail15normal_iteratorINS9_10device_ptrIsEEEESE_sNS9_4plusIvEEsEEDaPvRmT3_T4_T5_mT6_P12ihipStream_tbENKUlT_T0_E_clISt17integral_constantIbLb0EESU_EEDaSP_SQ_EUlSP_E_NS1_11comp_targetILNS1_3genE2ELNS1_11target_archE906ELNS1_3gpuE6ELNS1_3repE0EEENS1_30default_config_static_selectorELNS0_4arch9wavefront6targetE1EEEvT1_,"axG",@progbits,_ZN7rocprim17ROCPRIM_400000_NS6detail17trampoline_kernelINS0_14default_configENS1_20scan_config_selectorIsEEZZNS1_9scan_implILNS1_25lookback_scan_determinismE0ELb0ELb0ES3_N6thrust23THRUST_200600_302600_NS6detail15normal_iteratorINS9_10device_ptrIsEEEESE_sNS9_4plusIvEEsEEDaPvRmT3_T4_T5_mT6_P12ihipStream_tbENKUlT_T0_E_clISt17integral_constantIbLb0EESU_EEDaSP_SQ_EUlSP_E_NS1_11comp_targetILNS1_3genE2ELNS1_11target_archE906ELNS1_3gpuE6ELNS1_3repE0EEENS1_30default_config_static_selectorELNS0_4arch9wavefront6targetE1EEEvT1_,comdat
.Lfunc_end882:
	.size	_ZN7rocprim17ROCPRIM_400000_NS6detail17trampoline_kernelINS0_14default_configENS1_20scan_config_selectorIsEEZZNS1_9scan_implILNS1_25lookback_scan_determinismE0ELb0ELb0ES3_N6thrust23THRUST_200600_302600_NS6detail15normal_iteratorINS9_10device_ptrIsEEEESE_sNS9_4plusIvEEsEEDaPvRmT3_T4_T5_mT6_P12ihipStream_tbENKUlT_T0_E_clISt17integral_constantIbLb0EESU_EEDaSP_SQ_EUlSP_E_NS1_11comp_targetILNS1_3genE2ELNS1_11target_archE906ELNS1_3gpuE6ELNS1_3repE0EEENS1_30default_config_static_selectorELNS0_4arch9wavefront6targetE1EEEvT1_, .Lfunc_end882-_ZN7rocprim17ROCPRIM_400000_NS6detail17trampoline_kernelINS0_14default_configENS1_20scan_config_selectorIsEEZZNS1_9scan_implILNS1_25lookback_scan_determinismE0ELb0ELb0ES3_N6thrust23THRUST_200600_302600_NS6detail15normal_iteratorINS9_10device_ptrIsEEEESE_sNS9_4plusIvEEsEEDaPvRmT3_T4_T5_mT6_P12ihipStream_tbENKUlT_T0_E_clISt17integral_constantIbLb0EESU_EEDaSP_SQ_EUlSP_E_NS1_11comp_targetILNS1_3genE2ELNS1_11target_archE906ELNS1_3gpuE6ELNS1_3repE0EEENS1_30default_config_static_selectorELNS0_4arch9wavefront6targetE1EEEvT1_
                                        ; -- End function
	.section	.AMDGPU.csdata,"",@progbits
; Kernel info:
; codeLenInByte = 0
; NumSgprs: 4
; NumVgprs: 0
; NumAgprs: 0
; TotalNumVgprs: 0
; ScratchSize: 0
; MemoryBound: 0
; FloatMode: 240
; IeeeMode: 1
; LDSByteSize: 0 bytes/workgroup (compile time only)
; SGPRBlocks: 0
; VGPRBlocks: 0
; NumSGPRsForWavesPerEU: 4
; NumVGPRsForWavesPerEU: 1
; AccumOffset: 4
; Occupancy: 8
; WaveLimiterHint : 0
; COMPUTE_PGM_RSRC2:SCRATCH_EN: 0
; COMPUTE_PGM_RSRC2:USER_SGPR: 6
; COMPUTE_PGM_RSRC2:TRAP_HANDLER: 0
; COMPUTE_PGM_RSRC2:TGID_X_EN: 1
; COMPUTE_PGM_RSRC2:TGID_Y_EN: 0
; COMPUTE_PGM_RSRC2:TGID_Z_EN: 0
; COMPUTE_PGM_RSRC2:TIDIG_COMP_CNT: 0
; COMPUTE_PGM_RSRC3_GFX90A:ACCUM_OFFSET: 0
; COMPUTE_PGM_RSRC3_GFX90A:TG_SPLIT: 0
	.section	.text._ZN7rocprim17ROCPRIM_400000_NS6detail17trampoline_kernelINS0_14default_configENS1_20scan_config_selectorIsEEZZNS1_9scan_implILNS1_25lookback_scan_determinismE0ELb0ELb0ES3_N6thrust23THRUST_200600_302600_NS6detail15normal_iteratorINS9_10device_ptrIsEEEESE_sNS9_4plusIvEEsEEDaPvRmT3_T4_T5_mT6_P12ihipStream_tbENKUlT_T0_E_clISt17integral_constantIbLb0EESU_EEDaSP_SQ_EUlSP_E_NS1_11comp_targetILNS1_3genE10ELNS1_11target_archE1201ELNS1_3gpuE5ELNS1_3repE0EEENS1_30default_config_static_selectorELNS0_4arch9wavefront6targetE1EEEvT1_,"axG",@progbits,_ZN7rocprim17ROCPRIM_400000_NS6detail17trampoline_kernelINS0_14default_configENS1_20scan_config_selectorIsEEZZNS1_9scan_implILNS1_25lookback_scan_determinismE0ELb0ELb0ES3_N6thrust23THRUST_200600_302600_NS6detail15normal_iteratorINS9_10device_ptrIsEEEESE_sNS9_4plusIvEEsEEDaPvRmT3_T4_T5_mT6_P12ihipStream_tbENKUlT_T0_E_clISt17integral_constantIbLb0EESU_EEDaSP_SQ_EUlSP_E_NS1_11comp_targetILNS1_3genE10ELNS1_11target_archE1201ELNS1_3gpuE5ELNS1_3repE0EEENS1_30default_config_static_selectorELNS0_4arch9wavefront6targetE1EEEvT1_,comdat
	.protected	_ZN7rocprim17ROCPRIM_400000_NS6detail17trampoline_kernelINS0_14default_configENS1_20scan_config_selectorIsEEZZNS1_9scan_implILNS1_25lookback_scan_determinismE0ELb0ELb0ES3_N6thrust23THRUST_200600_302600_NS6detail15normal_iteratorINS9_10device_ptrIsEEEESE_sNS9_4plusIvEEsEEDaPvRmT3_T4_T5_mT6_P12ihipStream_tbENKUlT_T0_E_clISt17integral_constantIbLb0EESU_EEDaSP_SQ_EUlSP_E_NS1_11comp_targetILNS1_3genE10ELNS1_11target_archE1201ELNS1_3gpuE5ELNS1_3repE0EEENS1_30default_config_static_selectorELNS0_4arch9wavefront6targetE1EEEvT1_ ; -- Begin function _ZN7rocprim17ROCPRIM_400000_NS6detail17trampoline_kernelINS0_14default_configENS1_20scan_config_selectorIsEEZZNS1_9scan_implILNS1_25lookback_scan_determinismE0ELb0ELb0ES3_N6thrust23THRUST_200600_302600_NS6detail15normal_iteratorINS9_10device_ptrIsEEEESE_sNS9_4plusIvEEsEEDaPvRmT3_T4_T5_mT6_P12ihipStream_tbENKUlT_T0_E_clISt17integral_constantIbLb0EESU_EEDaSP_SQ_EUlSP_E_NS1_11comp_targetILNS1_3genE10ELNS1_11target_archE1201ELNS1_3gpuE5ELNS1_3repE0EEENS1_30default_config_static_selectorELNS0_4arch9wavefront6targetE1EEEvT1_
	.globl	_ZN7rocprim17ROCPRIM_400000_NS6detail17trampoline_kernelINS0_14default_configENS1_20scan_config_selectorIsEEZZNS1_9scan_implILNS1_25lookback_scan_determinismE0ELb0ELb0ES3_N6thrust23THRUST_200600_302600_NS6detail15normal_iteratorINS9_10device_ptrIsEEEESE_sNS9_4plusIvEEsEEDaPvRmT3_T4_T5_mT6_P12ihipStream_tbENKUlT_T0_E_clISt17integral_constantIbLb0EESU_EEDaSP_SQ_EUlSP_E_NS1_11comp_targetILNS1_3genE10ELNS1_11target_archE1201ELNS1_3gpuE5ELNS1_3repE0EEENS1_30default_config_static_selectorELNS0_4arch9wavefront6targetE1EEEvT1_
	.p2align	8
	.type	_ZN7rocprim17ROCPRIM_400000_NS6detail17trampoline_kernelINS0_14default_configENS1_20scan_config_selectorIsEEZZNS1_9scan_implILNS1_25lookback_scan_determinismE0ELb0ELb0ES3_N6thrust23THRUST_200600_302600_NS6detail15normal_iteratorINS9_10device_ptrIsEEEESE_sNS9_4plusIvEEsEEDaPvRmT3_T4_T5_mT6_P12ihipStream_tbENKUlT_T0_E_clISt17integral_constantIbLb0EESU_EEDaSP_SQ_EUlSP_E_NS1_11comp_targetILNS1_3genE10ELNS1_11target_archE1201ELNS1_3gpuE5ELNS1_3repE0EEENS1_30default_config_static_selectorELNS0_4arch9wavefront6targetE1EEEvT1_,@function
_ZN7rocprim17ROCPRIM_400000_NS6detail17trampoline_kernelINS0_14default_configENS1_20scan_config_selectorIsEEZZNS1_9scan_implILNS1_25lookback_scan_determinismE0ELb0ELb0ES3_N6thrust23THRUST_200600_302600_NS6detail15normal_iteratorINS9_10device_ptrIsEEEESE_sNS9_4plusIvEEsEEDaPvRmT3_T4_T5_mT6_P12ihipStream_tbENKUlT_T0_E_clISt17integral_constantIbLb0EESU_EEDaSP_SQ_EUlSP_E_NS1_11comp_targetILNS1_3genE10ELNS1_11target_archE1201ELNS1_3gpuE5ELNS1_3repE0EEENS1_30default_config_static_selectorELNS0_4arch9wavefront6targetE1EEEvT1_: ; @_ZN7rocprim17ROCPRIM_400000_NS6detail17trampoline_kernelINS0_14default_configENS1_20scan_config_selectorIsEEZZNS1_9scan_implILNS1_25lookback_scan_determinismE0ELb0ELb0ES3_N6thrust23THRUST_200600_302600_NS6detail15normal_iteratorINS9_10device_ptrIsEEEESE_sNS9_4plusIvEEsEEDaPvRmT3_T4_T5_mT6_P12ihipStream_tbENKUlT_T0_E_clISt17integral_constantIbLb0EESU_EEDaSP_SQ_EUlSP_E_NS1_11comp_targetILNS1_3genE10ELNS1_11target_archE1201ELNS1_3gpuE5ELNS1_3repE0EEENS1_30default_config_static_selectorELNS0_4arch9wavefront6targetE1EEEvT1_
; %bb.0:
	.section	.rodata,"a",@progbits
	.p2align	6, 0x0
	.amdhsa_kernel _ZN7rocprim17ROCPRIM_400000_NS6detail17trampoline_kernelINS0_14default_configENS1_20scan_config_selectorIsEEZZNS1_9scan_implILNS1_25lookback_scan_determinismE0ELb0ELb0ES3_N6thrust23THRUST_200600_302600_NS6detail15normal_iteratorINS9_10device_ptrIsEEEESE_sNS9_4plusIvEEsEEDaPvRmT3_T4_T5_mT6_P12ihipStream_tbENKUlT_T0_E_clISt17integral_constantIbLb0EESU_EEDaSP_SQ_EUlSP_E_NS1_11comp_targetILNS1_3genE10ELNS1_11target_archE1201ELNS1_3gpuE5ELNS1_3repE0EEENS1_30default_config_static_selectorELNS0_4arch9wavefront6targetE1EEEvT1_
		.amdhsa_group_segment_fixed_size 0
		.amdhsa_private_segment_fixed_size 0
		.amdhsa_kernarg_size 96
		.amdhsa_user_sgpr_count 6
		.amdhsa_user_sgpr_private_segment_buffer 1
		.amdhsa_user_sgpr_dispatch_ptr 0
		.amdhsa_user_sgpr_queue_ptr 0
		.amdhsa_user_sgpr_kernarg_segment_ptr 1
		.amdhsa_user_sgpr_dispatch_id 0
		.amdhsa_user_sgpr_flat_scratch_init 0
		.amdhsa_user_sgpr_kernarg_preload_length 0
		.amdhsa_user_sgpr_kernarg_preload_offset 0
		.amdhsa_user_sgpr_private_segment_size 0
		.amdhsa_uses_dynamic_stack 0
		.amdhsa_system_sgpr_private_segment_wavefront_offset 0
		.amdhsa_system_sgpr_workgroup_id_x 1
		.amdhsa_system_sgpr_workgroup_id_y 0
		.amdhsa_system_sgpr_workgroup_id_z 0
		.amdhsa_system_sgpr_workgroup_info 0
		.amdhsa_system_vgpr_workitem_id 0
		.amdhsa_next_free_vgpr 1
		.amdhsa_next_free_sgpr 0
		.amdhsa_accum_offset 4
		.amdhsa_reserve_vcc 0
		.amdhsa_reserve_flat_scratch 0
		.amdhsa_float_round_mode_32 0
		.amdhsa_float_round_mode_16_64 0
		.amdhsa_float_denorm_mode_32 3
		.amdhsa_float_denorm_mode_16_64 3
		.amdhsa_dx10_clamp 1
		.amdhsa_ieee_mode 1
		.amdhsa_fp16_overflow 0
		.amdhsa_tg_split 0
		.amdhsa_exception_fp_ieee_invalid_op 0
		.amdhsa_exception_fp_denorm_src 0
		.amdhsa_exception_fp_ieee_div_zero 0
		.amdhsa_exception_fp_ieee_overflow 0
		.amdhsa_exception_fp_ieee_underflow 0
		.amdhsa_exception_fp_ieee_inexact 0
		.amdhsa_exception_int_div_zero 0
	.end_amdhsa_kernel
	.section	.text._ZN7rocprim17ROCPRIM_400000_NS6detail17trampoline_kernelINS0_14default_configENS1_20scan_config_selectorIsEEZZNS1_9scan_implILNS1_25lookback_scan_determinismE0ELb0ELb0ES3_N6thrust23THRUST_200600_302600_NS6detail15normal_iteratorINS9_10device_ptrIsEEEESE_sNS9_4plusIvEEsEEDaPvRmT3_T4_T5_mT6_P12ihipStream_tbENKUlT_T0_E_clISt17integral_constantIbLb0EESU_EEDaSP_SQ_EUlSP_E_NS1_11comp_targetILNS1_3genE10ELNS1_11target_archE1201ELNS1_3gpuE5ELNS1_3repE0EEENS1_30default_config_static_selectorELNS0_4arch9wavefront6targetE1EEEvT1_,"axG",@progbits,_ZN7rocprim17ROCPRIM_400000_NS6detail17trampoline_kernelINS0_14default_configENS1_20scan_config_selectorIsEEZZNS1_9scan_implILNS1_25lookback_scan_determinismE0ELb0ELb0ES3_N6thrust23THRUST_200600_302600_NS6detail15normal_iteratorINS9_10device_ptrIsEEEESE_sNS9_4plusIvEEsEEDaPvRmT3_T4_T5_mT6_P12ihipStream_tbENKUlT_T0_E_clISt17integral_constantIbLb0EESU_EEDaSP_SQ_EUlSP_E_NS1_11comp_targetILNS1_3genE10ELNS1_11target_archE1201ELNS1_3gpuE5ELNS1_3repE0EEENS1_30default_config_static_selectorELNS0_4arch9wavefront6targetE1EEEvT1_,comdat
.Lfunc_end883:
	.size	_ZN7rocprim17ROCPRIM_400000_NS6detail17trampoline_kernelINS0_14default_configENS1_20scan_config_selectorIsEEZZNS1_9scan_implILNS1_25lookback_scan_determinismE0ELb0ELb0ES3_N6thrust23THRUST_200600_302600_NS6detail15normal_iteratorINS9_10device_ptrIsEEEESE_sNS9_4plusIvEEsEEDaPvRmT3_T4_T5_mT6_P12ihipStream_tbENKUlT_T0_E_clISt17integral_constantIbLb0EESU_EEDaSP_SQ_EUlSP_E_NS1_11comp_targetILNS1_3genE10ELNS1_11target_archE1201ELNS1_3gpuE5ELNS1_3repE0EEENS1_30default_config_static_selectorELNS0_4arch9wavefront6targetE1EEEvT1_, .Lfunc_end883-_ZN7rocprim17ROCPRIM_400000_NS6detail17trampoline_kernelINS0_14default_configENS1_20scan_config_selectorIsEEZZNS1_9scan_implILNS1_25lookback_scan_determinismE0ELb0ELb0ES3_N6thrust23THRUST_200600_302600_NS6detail15normal_iteratorINS9_10device_ptrIsEEEESE_sNS9_4plusIvEEsEEDaPvRmT3_T4_T5_mT6_P12ihipStream_tbENKUlT_T0_E_clISt17integral_constantIbLb0EESU_EEDaSP_SQ_EUlSP_E_NS1_11comp_targetILNS1_3genE10ELNS1_11target_archE1201ELNS1_3gpuE5ELNS1_3repE0EEENS1_30default_config_static_selectorELNS0_4arch9wavefront6targetE1EEEvT1_
                                        ; -- End function
	.section	.AMDGPU.csdata,"",@progbits
; Kernel info:
; codeLenInByte = 0
; NumSgprs: 4
; NumVgprs: 0
; NumAgprs: 0
; TotalNumVgprs: 0
; ScratchSize: 0
; MemoryBound: 0
; FloatMode: 240
; IeeeMode: 1
; LDSByteSize: 0 bytes/workgroup (compile time only)
; SGPRBlocks: 0
; VGPRBlocks: 0
; NumSGPRsForWavesPerEU: 4
; NumVGPRsForWavesPerEU: 1
; AccumOffset: 4
; Occupancy: 8
; WaveLimiterHint : 0
; COMPUTE_PGM_RSRC2:SCRATCH_EN: 0
; COMPUTE_PGM_RSRC2:USER_SGPR: 6
; COMPUTE_PGM_RSRC2:TRAP_HANDLER: 0
; COMPUTE_PGM_RSRC2:TGID_X_EN: 1
; COMPUTE_PGM_RSRC2:TGID_Y_EN: 0
; COMPUTE_PGM_RSRC2:TGID_Z_EN: 0
; COMPUTE_PGM_RSRC2:TIDIG_COMP_CNT: 0
; COMPUTE_PGM_RSRC3_GFX90A:ACCUM_OFFSET: 0
; COMPUTE_PGM_RSRC3_GFX90A:TG_SPLIT: 0
	.section	.text._ZN7rocprim17ROCPRIM_400000_NS6detail17trampoline_kernelINS0_14default_configENS1_20scan_config_selectorIsEEZZNS1_9scan_implILNS1_25lookback_scan_determinismE0ELb0ELb0ES3_N6thrust23THRUST_200600_302600_NS6detail15normal_iteratorINS9_10device_ptrIsEEEESE_sNS9_4plusIvEEsEEDaPvRmT3_T4_T5_mT6_P12ihipStream_tbENKUlT_T0_E_clISt17integral_constantIbLb0EESU_EEDaSP_SQ_EUlSP_E_NS1_11comp_targetILNS1_3genE10ELNS1_11target_archE1200ELNS1_3gpuE4ELNS1_3repE0EEENS1_30default_config_static_selectorELNS0_4arch9wavefront6targetE1EEEvT1_,"axG",@progbits,_ZN7rocprim17ROCPRIM_400000_NS6detail17trampoline_kernelINS0_14default_configENS1_20scan_config_selectorIsEEZZNS1_9scan_implILNS1_25lookback_scan_determinismE0ELb0ELb0ES3_N6thrust23THRUST_200600_302600_NS6detail15normal_iteratorINS9_10device_ptrIsEEEESE_sNS9_4plusIvEEsEEDaPvRmT3_T4_T5_mT6_P12ihipStream_tbENKUlT_T0_E_clISt17integral_constantIbLb0EESU_EEDaSP_SQ_EUlSP_E_NS1_11comp_targetILNS1_3genE10ELNS1_11target_archE1200ELNS1_3gpuE4ELNS1_3repE0EEENS1_30default_config_static_selectorELNS0_4arch9wavefront6targetE1EEEvT1_,comdat
	.protected	_ZN7rocprim17ROCPRIM_400000_NS6detail17trampoline_kernelINS0_14default_configENS1_20scan_config_selectorIsEEZZNS1_9scan_implILNS1_25lookback_scan_determinismE0ELb0ELb0ES3_N6thrust23THRUST_200600_302600_NS6detail15normal_iteratorINS9_10device_ptrIsEEEESE_sNS9_4plusIvEEsEEDaPvRmT3_T4_T5_mT6_P12ihipStream_tbENKUlT_T0_E_clISt17integral_constantIbLb0EESU_EEDaSP_SQ_EUlSP_E_NS1_11comp_targetILNS1_3genE10ELNS1_11target_archE1200ELNS1_3gpuE4ELNS1_3repE0EEENS1_30default_config_static_selectorELNS0_4arch9wavefront6targetE1EEEvT1_ ; -- Begin function _ZN7rocprim17ROCPRIM_400000_NS6detail17trampoline_kernelINS0_14default_configENS1_20scan_config_selectorIsEEZZNS1_9scan_implILNS1_25lookback_scan_determinismE0ELb0ELb0ES3_N6thrust23THRUST_200600_302600_NS6detail15normal_iteratorINS9_10device_ptrIsEEEESE_sNS9_4plusIvEEsEEDaPvRmT3_T4_T5_mT6_P12ihipStream_tbENKUlT_T0_E_clISt17integral_constantIbLb0EESU_EEDaSP_SQ_EUlSP_E_NS1_11comp_targetILNS1_3genE10ELNS1_11target_archE1200ELNS1_3gpuE4ELNS1_3repE0EEENS1_30default_config_static_selectorELNS0_4arch9wavefront6targetE1EEEvT1_
	.globl	_ZN7rocprim17ROCPRIM_400000_NS6detail17trampoline_kernelINS0_14default_configENS1_20scan_config_selectorIsEEZZNS1_9scan_implILNS1_25lookback_scan_determinismE0ELb0ELb0ES3_N6thrust23THRUST_200600_302600_NS6detail15normal_iteratorINS9_10device_ptrIsEEEESE_sNS9_4plusIvEEsEEDaPvRmT3_T4_T5_mT6_P12ihipStream_tbENKUlT_T0_E_clISt17integral_constantIbLb0EESU_EEDaSP_SQ_EUlSP_E_NS1_11comp_targetILNS1_3genE10ELNS1_11target_archE1200ELNS1_3gpuE4ELNS1_3repE0EEENS1_30default_config_static_selectorELNS0_4arch9wavefront6targetE1EEEvT1_
	.p2align	8
	.type	_ZN7rocprim17ROCPRIM_400000_NS6detail17trampoline_kernelINS0_14default_configENS1_20scan_config_selectorIsEEZZNS1_9scan_implILNS1_25lookback_scan_determinismE0ELb0ELb0ES3_N6thrust23THRUST_200600_302600_NS6detail15normal_iteratorINS9_10device_ptrIsEEEESE_sNS9_4plusIvEEsEEDaPvRmT3_T4_T5_mT6_P12ihipStream_tbENKUlT_T0_E_clISt17integral_constantIbLb0EESU_EEDaSP_SQ_EUlSP_E_NS1_11comp_targetILNS1_3genE10ELNS1_11target_archE1200ELNS1_3gpuE4ELNS1_3repE0EEENS1_30default_config_static_selectorELNS0_4arch9wavefront6targetE1EEEvT1_,@function
_ZN7rocprim17ROCPRIM_400000_NS6detail17trampoline_kernelINS0_14default_configENS1_20scan_config_selectorIsEEZZNS1_9scan_implILNS1_25lookback_scan_determinismE0ELb0ELb0ES3_N6thrust23THRUST_200600_302600_NS6detail15normal_iteratorINS9_10device_ptrIsEEEESE_sNS9_4plusIvEEsEEDaPvRmT3_T4_T5_mT6_P12ihipStream_tbENKUlT_T0_E_clISt17integral_constantIbLb0EESU_EEDaSP_SQ_EUlSP_E_NS1_11comp_targetILNS1_3genE10ELNS1_11target_archE1200ELNS1_3gpuE4ELNS1_3repE0EEENS1_30default_config_static_selectorELNS0_4arch9wavefront6targetE1EEEvT1_: ; @_ZN7rocprim17ROCPRIM_400000_NS6detail17trampoline_kernelINS0_14default_configENS1_20scan_config_selectorIsEEZZNS1_9scan_implILNS1_25lookback_scan_determinismE0ELb0ELb0ES3_N6thrust23THRUST_200600_302600_NS6detail15normal_iteratorINS9_10device_ptrIsEEEESE_sNS9_4plusIvEEsEEDaPvRmT3_T4_T5_mT6_P12ihipStream_tbENKUlT_T0_E_clISt17integral_constantIbLb0EESU_EEDaSP_SQ_EUlSP_E_NS1_11comp_targetILNS1_3genE10ELNS1_11target_archE1200ELNS1_3gpuE4ELNS1_3repE0EEENS1_30default_config_static_selectorELNS0_4arch9wavefront6targetE1EEEvT1_
; %bb.0:
	.section	.rodata,"a",@progbits
	.p2align	6, 0x0
	.amdhsa_kernel _ZN7rocprim17ROCPRIM_400000_NS6detail17trampoline_kernelINS0_14default_configENS1_20scan_config_selectorIsEEZZNS1_9scan_implILNS1_25lookback_scan_determinismE0ELb0ELb0ES3_N6thrust23THRUST_200600_302600_NS6detail15normal_iteratorINS9_10device_ptrIsEEEESE_sNS9_4plusIvEEsEEDaPvRmT3_T4_T5_mT6_P12ihipStream_tbENKUlT_T0_E_clISt17integral_constantIbLb0EESU_EEDaSP_SQ_EUlSP_E_NS1_11comp_targetILNS1_3genE10ELNS1_11target_archE1200ELNS1_3gpuE4ELNS1_3repE0EEENS1_30default_config_static_selectorELNS0_4arch9wavefront6targetE1EEEvT1_
		.amdhsa_group_segment_fixed_size 0
		.amdhsa_private_segment_fixed_size 0
		.amdhsa_kernarg_size 96
		.amdhsa_user_sgpr_count 6
		.amdhsa_user_sgpr_private_segment_buffer 1
		.amdhsa_user_sgpr_dispatch_ptr 0
		.amdhsa_user_sgpr_queue_ptr 0
		.amdhsa_user_sgpr_kernarg_segment_ptr 1
		.amdhsa_user_sgpr_dispatch_id 0
		.amdhsa_user_sgpr_flat_scratch_init 0
		.amdhsa_user_sgpr_kernarg_preload_length 0
		.amdhsa_user_sgpr_kernarg_preload_offset 0
		.amdhsa_user_sgpr_private_segment_size 0
		.amdhsa_uses_dynamic_stack 0
		.amdhsa_system_sgpr_private_segment_wavefront_offset 0
		.amdhsa_system_sgpr_workgroup_id_x 1
		.amdhsa_system_sgpr_workgroup_id_y 0
		.amdhsa_system_sgpr_workgroup_id_z 0
		.amdhsa_system_sgpr_workgroup_info 0
		.amdhsa_system_vgpr_workitem_id 0
		.amdhsa_next_free_vgpr 1
		.amdhsa_next_free_sgpr 0
		.amdhsa_accum_offset 4
		.amdhsa_reserve_vcc 0
		.amdhsa_reserve_flat_scratch 0
		.amdhsa_float_round_mode_32 0
		.amdhsa_float_round_mode_16_64 0
		.amdhsa_float_denorm_mode_32 3
		.amdhsa_float_denorm_mode_16_64 3
		.amdhsa_dx10_clamp 1
		.amdhsa_ieee_mode 1
		.amdhsa_fp16_overflow 0
		.amdhsa_tg_split 0
		.amdhsa_exception_fp_ieee_invalid_op 0
		.amdhsa_exception_fp_denorm_src 0
		.amdhsa_exception_fp_ieee_div_zero 0
		.amdhsa_exception_fp_ieee_overflow 0
		.amdhsa_exception_fp_ieee_underflow 0
		.amdhsa_exception_fp_ieee_inexact 0
		.amdhsa_exception_int_div_zero 0
	.end_amdhsa_kernel
	.section	.text._ZN7rocprim17ROCPRIM_400000_NS6detail17trampoline_kernelINS0_14default_configENS1_20scan_config_selectorIsEEZZNS1_9scan_implILNS1_25lookback_scan_determinismE0ELb0ELb0ES3_N6thrust23THRUST_200600_302600_NS6detail15normal_iteratorINS9_10device_ptrIsEEEESE_sNS9_4plusIvEEsEEDaPvRmT3_T4_T5_mT6_P12ihipStream_tbENKUlT_T0_E_clISt17integral_constantIbLb0EESU_EEDaSP_SQ_EUlSP_E_NS1_11comp_targetILNS1_3genE10ELNS1_11target_archE1200ELNS1_3gpuE4ELNS1_3repE0EEENS1_30default_config_static_selectorELNS0_4arch9wavefront6targetE1EEEvT1_,"axG",@progbits,_ZN7rocprim17ROCPRIM_400000_NS6detail17trampoline_kernelINS0_14default_configENS1_20scan_config_selectorIsEEZZNS1_9scan_implILNS1_25lookback_scan_determinismE0ELb0ELb0ES3_N6thrust23THRUST_200600_302600_NS6detail15normal_iteratorINS9_10device_ptrIsEEEESE_sNS9_4plusIvEEsEEDaPvRmT3_T4_T5_mT6_P12ihipStream_tbENKUlT_T0_E_clISt17integral_constantIbLb0EESU_EEDaSP_SQ_EUlSP_E_NS1_11comp_targetILNS1_3genE10ELNS1_11target_archE1200ELNS1_3gpuE4ELNS1_3repE0EEENS1_30default_config_static_selectorELNS0_4arch9wavefront6targetE1EEEvT1_,comdat
.Lfunc_end884:
	.size	_ZN7rocprim17ROCPRIM_400000_NS6detail17trampoline_kernelINS0_14default_configENS1_20scan_config_selectorIsEEZZNS1_9scan_implILNS1_25lookback_scan_determinismE0ELb0ELb0ES3_N6thrust23THRUST_200600_302600_NS6detail15normal_iteratorINS9_10device_ptrIsEEEESE_sNS9_4plusIvEEsEEDaPvRmT3_T4_T5_mT6_P12ihipStream_tbENKUlT_T0_E_clISt17integral_constantIbLb0EESU_EEDaSP_SQ_EUlSP_E_NS1_11comp_targetILNS1_3genE10ELNS1_11target_archE1200ELNS1_3gpuE4ELNS1_3repE0EEENS1_30default_config_static_selectorELNS0_4arch9wavefront6targetE1EEEvT1_, .Lfunc_end884-_ZN7rocprim17ROCPRIM_400000_NS6detail17trampoline_kernelINS0_14default_configENS1_20scan_config_selectorIsEEZZNS1_9scan_implILNS1_25lookback_scan_determinismE0ELb0ELb0ES3_N6thrust23THRUST_200600_302600_NS6detail15normal_iteratorINS9_10device_ptrIsEEEESE_sNS9_4plusIvEEsEEDaPvRmT3_T4_T5_mT6_P12ihipStream_tbENKUlT_T0_E_clISt17integral_constantIbLb0EESU_EEDaSP_SQ_EUlSP_E_NS1_11comp_targetILNS1_3genE10ELNS1_11target_archE1200ELNS1_3gpuE4ELNS1_3repE0EEENS1_30default_config_static_selectorELNS0_4arch9wavefront6targetE1EEEvT1_
                                        ; -- End function
	.section	.AMDGPU.csdata,"",@progbits
; Kernel info:
; codeLenInByte = 0
; NumSgprs: 4
; NumVgprs: 0
; NumAgprs: 0
; TotalNumVgprs: 0
; ScratchSize: 0
; MemoryBound: 0
; FloatMode: 240
; IeeeMode: 1
; LDSByteSize: 0 bytes/workgroup (compile time only)
; SGPRBlocks: 0
; VGPRBlocks: 0
; NumSGPRsForWavesPerEU: 4
; NumVGPRsForWavesPerEU: 1
; AccumOffset: 4
; Occupancy: 8
; WaveLimiterHint : 0
; COMPUTE_PGM_RSRC2:SCRATCH_EN: 0
; COMPUTE_PGM_RSRC2:USER_SGPR: 6
; COMPUTE_PGM_RSRC2:TRAP_HANDLER: 0
; COMPUTE_PGM_RSRC2:TGID_X_EN: 1
; COMPUTE_PGM_RSRC2:TGID_Y_EN: 0
; COMPUTE_PGM_RSRC2:TGID_Z_EN: 0
; COMPUTE_PGM_RSRC2:TIDIG_COMP_CNT: 0
; COMPUTE_PGM_RSRC3_GFX90A:ACCUM_OFFSET: 0
; COMPUTE_PGM_RSRC3_GFX90A:TG_SPLIT: 0
	.section	.text._ZN7rocprim17ROCPRIM_400000_NS6detail17trampoline_kernelINS0_14default_configENS1_20scan_config_selectorIsEEZZNS1_9scan_implILNS1_25lookback_scan_determinismE0ELb0ELb0ES3_N6thrust23THRUST_200600_302600_NS6detail15normal_iteratorINS9_10device_ptrIsEEEESE_sNS9_4plusIvEEsEEDaPvRmT3_T4_T5_mT6_P12ihipStream_tbENKUlT_T0_E_clISt17integral_constantIbLb0EESU_EEDaSP_SQ_EUlSP_E_NS1_11comp_targetILNS1_3genE9ELNS1_11target_archE1100ELNS1_3gpuE3ELNS1_3repE0EEENS1_30default_config_static_selectorELNS0_4arch9wavefront6targetE1EEEvT1_,"axG",@progbits,_ZN7rocprim17ROCPRIM_400000_NS6detail17trampoline_kernelINS0_14default_configENS1_20scan_config_selectorIsEEZZNS1_9scan_implILNS1_25lookback_scan_determinismE0ELb0ELb0ES3_N6thrust23THRUST_200600_302600_NS6detail15normal_iteratorINS9_10device_ptrIsEEEESE_sNS9_4plusIvEEsEEDaPvRmT3_T4_T5_mT6_P12ihipStream_tbENKUlT_T0_E_clISt17integral_constantIbLb0EESU_EEDaSP_SQ_EUlSP_E_NS1_11comp_targetILNS1_3genE9ELNS1_11target_archE1100ELNS1_3gpuE3ELNS1_3repE0EEENS1_30default_config_static_selectorELNS0_4arch9wavefront6targetE1EEEvT1_,comdat
	.protected	_ZN7rocprim17ROCPRIM_400000_NS6detail17trampoline_kernelINS0_14default_configENS1_20scan_config_selectorIsEEZZNS1_9scan_implILNS1_25lookback_scan_determinismE0ELb0ELb0ES3_N6thrust23THRUST_200600_302600_NS6detail15normal_iteratorINS9_10device_ptrIsEEEESE_sNS9_4plusIvEEsEEDaPvRmT3_T4_T5_mT6_P12ihipStream_tbENKUlT_T0_E_clISt17integral_constantIbLb0EESU_EEDaSP_SQ_EUlSP_E_NS1_11comp_targetILNS1_3genE9ELNS1_11target_archE1100ELNS1_3gpuE3ELNS1_3repE0EEENS1_30default_config_static_selectorELNS0_4arch9wavefront6targetE1EEEvT1_ ; -- Begin function _ZN7rocprim17ROCPRIM_400000_NS6detail17trampoline_kernelINS0_14default_configENS1_20scan_config_selectorIsEEZZNS1_9scan_implILNS1_25lookback_scan_determinismE0ELb0ELb0ES3_N6thrust23THRUST_200600_302600_NS6detail15normal_iteratorINS9_10device_ptrIsEEEESE_sNS9_4plusIvEEsEEDaPvRmT3_T4_T5_mT6_P12ihipStream_tbENKUlT_T0_E_clISt17integral_constantIbLb0EESU_EEDaSP_SQ_EUlSP_E_NS1_11comp_targetILNS1_3genE9ELNS1_11target_archE1100ELNS1_3gpuE3ELNS1_3repE0EEENS1_30default_config_static_selectorELNS0_4arch9wavefront6targetE1EEEvT1_
	.globl	_ZN7rocprim17ROCPRIM_400000_NS6detail17trampoline_kernelINS0_14default_configENS1_20scan_config_selectorIsEEZZNS1_9scan_implILNS1_25lookback_scan_determinismE0ELb0ELb0ES3_N6thrust23THRUST_200600_302600_NS6detail15normal_iteratorINS9_10device_ptrIsEEEESE_sNS9_4plusIvEEsEEDaPvRmT3_T4_T5_mT6_P12ihipStream_tbENKUlT_T0_E_clISt17integral_constantIbLb0EESU_EEDaSP_SQ_EUlSP_E_NS1_11comp_targetILNS1_3genE9ELNS1_11target_archE1100ELNS1_3gpuE3ELNS1_3repE0EEENS1_30default_config_static_selectorELNS0_4arch9wavefront6targetE1EEEvT1_
	.p2align	8
	.type	_ZN7rocprim17ROCPRIM_400000_NS6detail17trampoline_kernelINS0_14default_configENS1_20scan_config_selectorIsEEZZNS1_9scan_implILNS1_25lookback_scan_determinismE0ELb0ELb0ES3_N6thrust23THRUST_200600_302600_NS6detail15normal_iteratorINS9_10device_ptrIsEEEESE_sNS9_4plusIvEEsEEDaPvRmT3_T4_T5_mT6_P12ihipStream_tbENKUlT_T0_E_clISt17integral_constantIbLb0EESU_EEDaSP_SQ_EUlSP_E_NS1_11comp_targetILNS1_3genE9ELNS1_11target_archE1100ELNS1_3gpuE3ELNS1_3repE0EEENS1_30default_config_static_selectorELNS0_4arch9wavefront6targetE1EEEvT1_,@function
_ZN7rocprim17ROCPRIM_400000_NS6detail17trampoline_kernelINS0_14default_configENS1_20scan_config_selectorIsEEZZNS1_9scan_implILNS1_25lookback_scan_determinismE0ELb0ELb0ES3_N6thrust23THRUST_200600_302600_NS6detail15normal_iteratorINS9_10device_ptrIsEEEESE_sNS9_4plusIvEEsEEDaPvRmT3_T4_T5_mT6_P12ihipStream_tbENKUlT_T0_E_clISt17integral_constantIbLb0EESU_EEDaSP_SQ_EUlSP_E_NS1_11comp_targetILNS1_3genE9ELNS1_11target_archE1100ELNS1_3gpuE3ELNS1_3repE0EEENS1_30default_config_static_selectorELNS0_4arch9wavefront6targetE1EEEvT1_: ; @_ZN7rocprim17ROCPRIM_400000_NS6detail17trampoline_kernelINS0_14default_configENS1_20scan_config_selectorIsEEZZNS1_9scan_implILNS1_25lookback_scan_determinismE0ELb0ELb0ES3_N6thrust23THRUST_200600_302600_NS6detail15normal_iteratorINS9_10device_ptrIsEEEESE_sNS9_4plusIvEEsEEDaPvRmT3_T4_T5_mT6_P12ihipStream_tbENKUlT_T0_E_clISt17integral_constantIbLb0EESU_EEDaSP_SQ_EUlSP_E_NS1_11comp_targetILNS1_3genE9ELNS1_11target_archE1100ELNS1_3gpuE3ELNS1_3repE0EEENS1_30default_config_static_selectorELNS0_4arch9wavefront6targetE1EEEvT1_
; %bb.0:
	.section	.rodata,"a",@progbits
	.p2align	6, 0x0
	.amdhsa_kernel _ZN7rocprim17ROCPRIM_400000_NS6detail17trampoline_kernelINS0_14default_configENS1_20scan_config_selectorIsEEZZNS1_9scan_implILNS1_25lookback_scan_determinismE0ELb0ELb0ES3_N6thrust23THRUST_200600_302600_NS6detail15normal_iteratorINS9_10device_ptrIsEEEESE_sNS9_4plusIvEEsEEDaPvRmT3_T4_T5_mT6_P12ihipStream_tbENKUlT_T0_E_clISt17integral_constantIbLb0EESU_EEDaSP_SQ_EUlSP_E_NS1_11comp_targetILNS1_3genE9ELNS1_11target_archE1100ELNS1_3gpuE3ELNS1_3repE0EEENS1_30default_config_static_selectorELNS0_4arch9wavefront6targetE1EEEvT1_
		.amdhsa_group_segment_fixed_size 0
		.amdhsa_private_segment_fixed_size 0
		.amdhsa_kernarg_size 96
		.amdhsa_user_sgpr_count 6
		.amdhsa_user_sgpr_private_segment_buffer 1
		.amdhsa_user_sgpr_dispatch_ptr 0
		.amdhsa_user_sgpr_queue_ptr 0
		.amdhsa_user_sgpr_kernarg_segment_ptr 1
		.amdhsa_user_sgpr_dispatch_id 0
		.amdhsa_user_sgpr_flat_scratch_init 0
		.amdhsa_user_sgpr_kernarg_preload_length 0
		.amdhsa_user_sgpr_kernarg_preload_offset 0
		.amdhsa_user_sgpr_private_segment_size 0
		.amdhsa_uses_dynamic_stack 0
		.amdhsa_system_sgpr_private_segment_wavefront_offset 0
		.amdhsa_system_sgpr_workgroup_id_x 1
		.amdhsa_system_sgpr_workgroup_id_y 0
		.amdhsa_system_sgpr_workgroup_id_z 0
		.amdhsa_system_sgpr_workgroup_info 0
		.amdhsa_system_vgpr_workitem_id 0
		.amdhsa_next_free_vgpr 1
		.amdhsa_next_free_sgpr 0
		.amdhsa_accum_offset 4
		.amdhsa_reserve_vcc 0
		.amdhsa_reserve_flat_scratch 0
		.amdhsa_float_round_mode_32 0
		.amdhsa_float_round_mode_16_64 0
		.amdhsa_float_denorm_mode_32 3
		.amdhsa_float_denorm_mode_16_64 3
		.amdhsa_dx10_clamp 1
		.amdhsa_ieee_mode 1
		.amdhsa_fp16_overflow 0
		.amdhsa_tg_split 0
		.amdhsa_exception_fp_ieee_invalid_op 0
		.amdhsa_exception_fp_denorm_src 0
		.amdhsa_exception_fp_ieee_div_zero 0
		.amdhsa_exception_fp_ieee_overflow 0
		.amdhsa_exception_fp_ieee_underflow 0
		.amdhsa_exception_fp_ieee_inexact 0
		.amdhsa_exception_int_div_zero 0
	.end_amdhsa_kernel
	.section	.text._ZN7rocprim17ROCPRIM_400000_NS6detail17trampoline_kernelINS0_14default_configENS1_20scan_config_selectorIsEEZZNS1_9scan_implILNS1_25lookback_scan_determinismE0ELb0ELb0ES3_N6thrust23THRUST_200600_302600_NS6detail15normal_iteratorINS9_10device_ptrIsEEEESE_sNS9_4plusIvEEsEEDaPvRmT3_T4_T5_mT6_P12ihipStream_tbENKUlT_T0_E_clISt17integral_constantIbLb0EESU_EEDaSP_SQ_EUlSP_E_NS1_11comp_targetILNS1_3genE9ELNS1_11target_archE1100ELNS1_3gpuE3ELNS1_3repE0EEENS1_30default_config_static_selectorELNS0_4arch9wavefront6targetE1EEEvT1_,"axG",@progbits,_ZN7rocprim17ROCPRIM_400000_NS6detail17trampoline_kernelINS0_14default_configENS1_20scan_config_selectorIsEEZZNS1_9scan_implILNS1_25lookback_scan_determinismE0ELb0ELb0ES3_N6thrust23THRUST_200600_302600_NS6detail15normal_iteratorINS9_10device_ptrIsEEEESE_sNS9_4plusIvEEsEEDaPvRmT3_T4_T5_mT6_P12ihipStream_tbENKUlT_T0_E_clISt17integral_constantIbLb0EESU_EEDaSP_SQ_EUlSP_E_NS1_11comp_targetILNS1_3genE9ELNS1_11target_archE1100ELNS1_3gpuE3ELNS1_3repE0EEENS1_30default_config_static_selectorELNS0_4arch9wavefront6targetE1EEEvT1_,comdat
.Lfunc_end885:
	.size	_ZN7rocprim17ROCPRIM_400000_NS6detail17trampoline_kernelINS0_14default_configENS1_20scan_config_selectorIsEEZZNS1_9scan_implILNS1_25lookback_scan_determinismE0ELb0ELb0ES3_N6thrust23THRUST_200600_302600_NS6detail15normal_iteratorINS9_10device_ptrIsEEEESE_sNS9_4plusIvEEsEEDaPvRmT3_T4_T5_mT6_P12ihipStream_tbENKUlT_T0_E_clISt17integral_constantIbLb0EESU_EEDaSP_SQ_EUlSP_E_NS1_11comp_targetILNS1_3genE9ELNS1_11target_archE1100ELNS1_3gpuE3ELNS1_3repE0EEENS1_30default_config_static_selectorELNS0_4arch9wavefront6targetE1EEEvT1_, .Lfunc_end885-_ZN7rocprim17ROCPRIM_400000_NS6detail17trampoline_kernelINS0_14default_configENS1_20scan_config_selectorIsEEZZNS1_9scan_implILNS1_25lookback_scan_determinismE0ELb0ELb0ES3_N6thrust23THRUST_200600_302600_NS6detail15normal_iteratorINS9_10device_ptrIsEEEESE_sNS9_4plusIvEEsEEDaPvRmT3_T4_T5_mT6_P12ihipStream_tbENKUlT_T0_E_clISt17integral_constantIbLb0EESU_EEDaSP_SQ_EUlSP_E_NS1_11comp_targetILNS1_3genE9ELNS1_11target_archE1100ELNS1_3gpuE3ELNS1_3repE0EEENS1_30default_config_static_selectorELNS0_4arch9wavefront6targetE1EEEvT1_
                                        ; -- End function
	.section	.AMDGPU.csdata,"",@progbits
; Kernel info:
; codeLenInByte = 0
; NumSgprs: 4
; NumVgprs: 0
; NumAgprs: 0
; TotalNumVgprs: 0
; ScratchSize: 0
; MemoryBound: 0
; FloatMode: 240
; IeeeMode: 1
; LDSByteSize: 0 bytes/workgroup (compile time only)
; SGPRBlocks: 0
; VGPRBlocks: 0
; NumSGPRsForWavesPerEU: 4
; NumVGPRsForWavesPerEU: 1
; AccumOffset: 4
; Occupancy: 8
; WaveLimiterHint : 0
; COMPUTE_PGM_RSRC2:SCRATCH_EN: 0
; COMPUTE_PGM_RSRC2:USER_SGPR: 6
; COMPUTE_PGM_RSRC2:TRAP_HANDLER: 0
; COMPUTE_PGM_RSRC2:TGID_X_EN: 1
; COMPUTE_PGM_RSRC2:TGID_Y_EN: 0
; COMPUTE_PGM_RSRC2:TGID_Z_EN: 0
; COMPUTE_PGM_RSRC2:TIDIG_COMP_CNT: 0
; COMPUTE_PGM_RSRC3_GFX90A:ACCUM_OFFSET: 0
; COMPUTE_PGM_RSRC3_GFX90A:TG_SPLIT: 0
	.section	.text._ZN7rocprim17ROCPRIM_400000_NS6detail17trampoline_kernelINS0_14default_configENS1_20scan_config_selectorIsEEZZNS1_9scan_implILNS1_25lookback_scan_determinismE0ELb0ELb0ES3_N6thrust23THRUST_200600_302600_NS6detail15normal_iteratorINS9_10device_ptrIsEEEESE_sNS9_4plusIvEEsEEDaPvRmT3_T4_T5_mT6_P12ihipStream_tbENKUlT_T0_E_clISt17integral_constantIbLb0EESU_EEDaSP_SQ_EUlSP_E_NS1_11comp_targetILNS1_3genE8ELNS1_11target_archE1030ELNS1_3gpuE2ELNS1_3repE0EEENS1_30default_config_static_selectorELNS0_4arch9wavefront6targetE1EEEvT1_,"axG",@progbits,_ZN7rocprim17ROCPRIM_400000_NS6detail17trampoline_kernelINS0_14default_configENS1_20scan_config_selectorIsEEZZNS1_9scan_implILNS1_25lookback_scan_determinismE0ELb0ELb0ES3_N6thrust23THRUST_200600_302600_NS6detail15normal_iteratorINS9_10device_ptrIsEEEESE_sNS9_4plusIvEEsEEDaPvRmT3_T4_T5_mT6_P12ihipStream_tbENKUlT_T0_E_clISt17integral_constantIbLb0EESU_EEDaSP_SQ_EUlSP_E_NS1_11comp_targetILNS1_3genE8ELNS1_11target_archE1030ELNS1_3gpuE2ELNS1_3repE0EEENS1_30default_config_static_selectorELNS0_4arch9wavefront6targetE1EEEvT1_,comdat
	.protected	_ZN7rocprim17ROCPRIM_400000_NS6detail17trampoline_kernelINS0_14default_configENS1_20scan_config_selectorIsEEZZNS1_9scan_implILNS1_25lookback_scan_determinismE0ELb0ELb0ES3_N6thrust23THRUST_200600_302600_NS6detail15normal_iteratorINS9_10device_ptrIsEEEESE_sNS9_4plusIvEEsEEDaPvRmT3_T4_T5_mT6_P12ihipStream_tbENKUlT_T0_E_clISt17integral_constantIbLb0EESU_EEDaSP_SQ_EUlSP_E_NS1_11comp_targetILNS1_3genE8ELNS1_11target_archE1030ELNS1_3gpuE2ELNS1_3repE0EEENS1_30default_config_static_selectorELNS0_4arch9wavefront6targetE1EEEvT1_ ; -- Begin function _ZN7rocprim17ROCPRIM_400000_NS6detail17trampoline_kernelINS0_14default_configENS1_20scan_config_selectorIsEEZZNS1_9scan_implILNS1_25lookback_scan_determinismE0ELb0ELb0ES3_N6thrust23THRUST_200600_302600_NS6detail15normal_iteratorINS9_10device_ptrIsEEEESE_sNS9_4plusIvEEsEEDaPvRmT3_T4_T5_mT6_P12ihipStream_tbENKUlT_T0_E_clISt17integral_constantIbLb0EESU_EEDaSP_SQ_EUlSP_E_NS1_11comp_targetILNS1_3genE8ELNS1_11target_archE1030ELNS1_3gpuE2ELNS1_3repE0EEENS1_30default_config_static_selectorELNS0_4arch9wavefront6targetE1EEEvT1_
	.globl	_ZN7rocprim17ROCPRIM_400000_NS6detail17trampoline_kernelINS0_14default_configENS1_20scan_config_selectorIsEEZZNS1_9scan_implILNS1_25lookback_scan_determinismE0ELb0ELb0ES3_N6thrust23THRUST_200600_302600_NS6detail15normal_iteratorINS9_10device_ptrIsEEEESE_sNS9_4plusIvEEsEEDaPvRmT3_T4_T5_mT6_P12ihipStream_tbENKUlT_T0_E_clISt17integral_constantIbLb0EESU_EEDaSP_SQ_EUlSP_E_NS1_11comp_targetILNS1_3genE8ELNS1_11target_archE1030ELNS1_3gpuE2ELNS1_3repE0EEENS1_30default_config_static_selectorELNS0_4arch9wavefront6targetE1EEEvT1_
	.p2align	8
	.type	_ZN7rocprim17ROCPRIM_400000_NS6detail17trampoline_kernelINS0_14default_configENS1_20scan_config_selectorIsEEZZNS1_9scan_implILNS1_25lookback_scan_determinismE0ELb0ELb0ES3_N6thrust23THRUST_200600_302600_NS6detail15normal_iteratorINS9_10device_ptrIsEEEESE_sNS9_4plusIvEEsEEDaPvRmT3_T4_T5_mT6_P12ihipStream_tbENKUlT_T0_E_clISt17integral_constantIbLb0EESU_EEDaSP_SQ_EUlSP_E_NS1_11comp_targetILNS1_3genE8ELNS1_11target_archE1030ELNS1_3gpuE2ELNS1_3repE0EEENS1_30default_config_static_selectorELNS0_4arch9wavefront6targetE1EEEvT1_,@function
_ZN7rocprim17ROCPRIM_400000_NS6detail17trampoline_kernelINS0_14default_configENS1_20scan_config_selectorIsEEZZNS1_9scan_implILNS1_25lookback_scan_determinismE0ELb0ELb0ES3_N6thrust23THRUST_200600_302600_NS6detail15normal_iteratorINS9_10device_ptrIsEEEESE_sNS9_4plusIvEEsEEDaPvRmT3_T4_T5_mT6_P12ihipStream_tbENKUlT_T0_E_clISt17integral_constantIbLb0EESU_EEDaSP_SQ_EUlSP_E_NS1_11comp_targetILNS1_3genE8ELNS1_11target_archE1030ELNS1_3gpuE2ELNS1_3repE0EEENS1_30default_config_static_selectorELNS0_4arch9wavefront6targetE1EEEvT1_: ; @_ZN7rocprim17ROCPRIM_400000_NS6detail17trampoline_kernelINS0_14default_configENS1_20scan_config_selectorIsEEZZNS1_9scan_implILNS1_25lookback_scan_determinismE0ELb0ELb0ES3_N6thrust23THRUST_200600_302600_NS6detail15normal_iteratorINS9_10device_ptrIsEEEESE_sNS9_4plusIvEEsEEDaPvRmT3_T4_T5_mT6_P12ihipStream_tbENKUlT_T0_E_clISt17integral_constantIbLb0EESU_EEDaSP_SQ_EUlSP_E_NS1_11comp_targetILNS1_3genE8ELNS1_11target_archE1030ELNS1_3gpuE2ELNS1_3repE0EEENS1_30default_config_static_selectorELNS0_4arch9wavefront6targetE1EEEvT1_
; %bb.0:
	.section	.rodata,"a",@progbits
	.p2align	6, 0x0
	.amdhsa_kernel _ZN7rocprim17ROCPRIM_400000_NS6detail17trampoline_kernelINS0_14default_configENS1_20scan_config_selectorIsEEZZNS1_9scan_implILNS1_25lookback_scan_determinismE0ELb0ELb0ES3_N6thrust23THRUST_200600_302600_NS6detail15normal_iteratorINS9_10device_ptrIsEEEESE_sNS9_4plusIvEEsEEDaPvRmT3_T4_T5_mT6_P12ihipStream_tbENKUlT_T0_E_clISt17integral_constantIbLb0EESU_EEDaSP_SQ_EUlSP_E_NS1_11comp_targetILNS1_3genE8ELNS1_11target_archE1030ELNS1_3gpuE2ELNS1_3repE0EEENS1_30default_config_static_selectorELNS0_4arch9wavefront6targetE1EEEvT1_
		.amdhsa_group_segment_fixed_size 0
		.amdhsa_private_segment_fixed_size 0
		.amdhsa_kernarg_size 96
		.amdhsa_user_sgpr_count 6
		.amdhsa_user_sgpr_private_segment_buffer 1
		.amdhsa_user_sgpr_dispatch_ptr 0
		.amdhsa_user_sgpr_queue_ptr 0
		.amdhsa_user_sgpr_kernarg_segment_ptr 1
		.amdhsa_user_sgpr_dispatch_id 0
		.amdhsa_user_sgpr_flat_scratch_init 0
		.amdhsa_user_sgpr_kernarg_preload_length 0
		.amdhsa_user_sgpr_kernarg_preload_offset 0
		.amdhsa_user_sgpr_private_segment_size 0
		.amdhsa_uses_dynamic_stack 0
		.amdhsa_system_sgpr_private_segment_wavefront_offset 0
		.amdhsa_system_sgpr_workgroup_id_x 1
		.amdhsa_system_sgpr_workgroup_id_y 0
		.amdhsa_system_sgpr_workgroup_id_z 0
		.amdhsa_system_sgpr_workgroup_info 0
		.amdhsa_system_vgpr_workitem_id 0
		.amdhsa_next_free_vgpr 1
		.amdhsa_next_free_sgpr 0
		.amdhsa_accum_offset 4
		.amdhsa_reserve_vcc 0
		.amdhsa_reserve_flat_scratch 0
		.amdhsa_float_round_mode_32 0
		.amdhsa_float_round_mode_16_64 0
		.amdhsa_float_denorm_mode_32 3
		.amdhsa_float_denorm_mode_16_64 3
		.amdhsa_dx10_clamp 1
		.amdhsa_ieee_mode 1
		.amdhsa_fp16_overflow 0
		.amdhsa_tg_split 0
		.amdhsa_exception_fp_ieee_invalid_op 0
		.amdhsa_exception_fp_denorm_src 0
		.amdhsa_exception_fp_ieee_div_zero 0
		.amdhsa_exception_fp_ieee_overflow 0
		.amdhsa_exception_fp_ieee_underflow 0
		.amdhsa_exception_fp_ieee_inexact 0
		.amdhsa_exception_int_div_zero 0
	.end_amdhsa_kernel
	.section	.text._ZN7rocprim17ROCPRIM_400000_NS6detail17trampoline_kernelINS0_14default_configENS1_20scan_config_selectorIsEEZZNS1_9scan_implILNS1_25lookback_scan_determinismE0ELb0ELb0ES3_N6thrust23THRUST_200600_302600_NS6detail15normal_iteratorINS9_10device_ptrIsEEEESE_sNS9_4plusIvEEsEEDaPvRmT3_T4_T5_mT6_P12ihipStream_tbENKUlT_T0_E_clISt17integral_constantIbLb0EESU_EEDaSP_SQ_EUlSP_E_NS1_11comp_targetILNS1_3genE8ELNS1_11target_archE1030ELNS1_3gpuE2ELNS1_3repE0EEENS1_30default_config_static_selectorELNS0_4arch9wavefront6targetE1EEEvT1_,"axG",@progbits,_ZN7rocprim17ROCPRIM_400000_NS6detail17trampoline_kernelINS0_14default_configENS1_20scan_config_selectorIsEEZZNS1_9scan_implILNS1_25lookback_scan_determinismE0ELb0ELb0ES3_N6thrust23THRUST_200600_302600_NS6detail15normal_iteratorINS9_10device_ptrIsEEEESE_sNS9_4plusIvEEsEEDaPvRmT3_T4_T5_mT6_P12ihipStream_tbENKUlT_T0_E_clISt17integral_constantIbLb0EESU_EEDaSP_SQ_EUlSP_E_NS1_11comp_targetILNS1_3genE8ELNS1_11target_archE1030ELNS1_3gpuE2ELNS1_3repE0EEENS1_30default_config_static_selectorELNS0_4arch9wavefront6targetE1EEEvT1_,comdat
.Lfunc_end886:
	.size	_ZN7rocprim17ROCPRIM_400000_NS6detail17trampoline_kernelINS0_14default_configENS1_20scan_config_selectorIsEEZZNS1_9scan_implILNS1_25lookback_scan_determinismE0ELb0ELb0ES3_N6thrust23THRUST_200600_302600_NS6detail15normal_iteratorINS9_10device_ptrIsEEEESE_sNS9_4plusIvEEsEEDaPvRmT3_T4_T5_mT6_P12ihipStream_tbENKUlT_T0_E_clISt17integral_constantIbLb0EESU_EEDaSP_SQ_EUlSP_E_NS1_11comp_targetILNS1_3genE8ELNS1_11target_archE1030ELNS1_3gpuE2ELNS1_3repE0EEENS1_30default_config_static_selectorELNS0_4arch9wavefront6targetE1EEEvT1_, .Lfunc_end886-_ZN7rocprim17ROCPRIM_400000_NS6detail17trampoline_kernelINS0_14default_configENS1_20scan_config_selectorIsEEZZNS1_9scan_implILNS1_25lookback_scan_determinismE0ELb0ELb0ES3_N6thrust23THRUST_200600_302600_NS6detail15normal_iteratorINS9_10device_ptrIsEEEESE_sNS9_4plusIvEEsEEDaPvRmT3_T4_T5_mT6_P12ihipStream_tbENKUlT_T0_E_clISt17integral_constantIbLb0EESU_EEDaSP_SQ_EUlSP_E_NS1_11comp_targetILNS1_3genE8ELNS1_11target_archE1030ELNS1_3gpuE2ELNS1_3repE0EEENS1_30default_config_static_selectorELNS0_4arch9wavefront6targetE1EEEvT1_
                                        ; -- End function
	.section	.AMDGPU.csdata,"",@progbits
; Kernel info:
; codeLenInByte = 0
; NumSgprs: 4
; NumVgprs: 0
; NumAgprs: 0
; TotalNumVgprs: 0
; ScratchSize: 0
; MemoryBound: 0
; FloatMode: 240
; IeeeMode: 1
; LDSByteSize: 0 bytes/workgroup (compile time only)
; SGPRBlocks: 0
; VGPRBlocks: 0
; NumSGPRsForWavesPerEU: 4
; NumVGPRsForWavesPerEU: 1
; AccumOffset: 4
; Occupancy: 8
; WaveLimiterHint : 0
; COMPUTE_PGM_RSRC2:SCRATCH_EN: 0
; COMPUTE_PGM_RSRC2:USER_SGPR: 6
; COMPUTE_PGM_RSRC2:TRAP_HANDLER: 0
; COMPUTE_PGM_RSRC2:TGID_X_EN: 1
; COMPUTE_PGM_RSRC2:TGID_Y_EN: 0
; COMPUTE_PGM_RSRC2:TGID_Z_EN: 0
; COMPUTE_PGM_RSRC2:TIDIG_COMP_CNT: 0
; COMPUTE_PGM_RSRC3_GFX90A:ACCUM_OFFSET: 0
; COMPUTE_PGM_RSRC3_GFX90A:TG_SPLIT: 0
	.section	.text._ZN7rocprim17ROCPRIM_400000_NS6detail17trampoline_kernelINS0_14default_configENS1_25transform_config_selectorIsLb1EEEZNS1_14transform_implILb1ES3_S5_PsS7_NS0_8identityIsEEEE10hipError_tT2_T3_mT4_P12ihipStream_tbEUlT_E_NS1_11comp_targetILNS1_3genE0ELNS1_11target_archE4294967295ELNS1_3gpuE0ELNS1_3repE0EEENS1_30default_config_static_selectorELNS0_4arch9wavefront6targetE1EEEvT1_,"axG",@progbits,_ZN7rocprim17ROCPRIM_400000_NS6detail17trampoline_kernelINS0_14default_configENS1_25transform_config_selectorIsLb1EEEZNS1_14transform_implILb1ES3_S5_PsS7_NS0_8identityIsEEEE10hipError_tT2_T3_mT4_P12ihipStream_tbEUlT_E_NS1_11comp_targetILNS1_3genE0ELNS1_11target_archE4294967295ELNS1_3gpuE0ELNS1_3repE0EEENS1_30default_config_static_selectorELNS0_4arch9wavefront6targetE1EEEvT1_,comdat
	.protected	_ZN7rocprim17ROCPRIM_400000_NS6detail17trampoline_kernelINS0_14default_configENS1_25transform_config_selectorIsLb1EEEZNS1_14transform_implILb1ES3_S5_PsS7_NS0_8identityIsEEEE10hipError_tT2_T3_mT4_P12ihipStream_tbEUlT_E_NS1_11comp_targetILNS1_3genE0ELNS1_11target_archE4294967295ELNS1_3gpuE0ELNS1_3repE0EEENS1_30default_config_static_selectorELNS0_4arch9wavefront6targetE1EEEvT1_ ; -- Begin function _ZN7rocprim17ROCPRIM_400000_NS6detail17trampoline_kernelINS0_14default_configENS1_25transform_config_selectorIsLb1EEEZNS1_14transform_implILb1ES3_S5_PsS7_NS0_8identityIsEEEE10hipError_tT2_T3_mT4_P12ihipStream_tbEUlT_E_NS1_11comp_targetILNS1_3genE0ELNS1_11target_archE4294967295ELNS1_3gpuE0ELNS1_3repE0EEENS1_30default_config_static_selectorELNS0_4arch9wavefront6targetE1EEEvT1_
	.globl	_ZN7rocprim17ROCPRIM_400000_NS6detail17trampoline_kernelINS0_14default_configENS1_25transform_config_selectorIsLb1EEEZNS1_14transform_implILb1ES3_S5_PsS7_NS0_8identityIsEEEE10hipError_tT2_T3_mT4_P12ihipStream_tbEUlT_E_NS1_11comp_targetILNS1_3genE0ELNS1_11target_archE4294967295ELNS1_3gpuE0ELNS1_3repE0EEENS1_30default_config_static_selectorELNS0_4arch9wavefront6targetE1EEEvT1_
	.p2align	8
	.type	_ZN7rocprim17ROCPRIM_400000_NS6detail17trampoline_kernelINS0_14default_configENS1_25transform_config_selectorIsLb1EEEZNS1_14transform_implILb1ES3_S5_PsS7_NS0_8identityIsEEEE10hipError_tT2_T3_mT4_P12ihipStream_tbEUlT_E_NS1_11comp_targetILNS1_3genE0ELNS1_11target_archE4294967295ELNS1_3gpuE0ELNS1_3repE0EEENS1_30default_config_static_selectorELNS0_4arch9wavefront6targetE1EEEvT1_,@function
_ZN7rocprim17ROCPRIM_400000_NS6detail17trampoline_kernelINS0_14default_configENS1_25transform_config_selectorIsLb1EEEZNS1_14transform_implILb1ES3_S5_PsS7_NS0_8identityIsEEEE10hipError_tT2_T3_mT4_P12ihipStream_tbEUlT_E_NS1_11comp_targetILNS1_3genE0ELNS1_11target_archE4294967295ELNS1_3gpuE0ELNS1_3repE0EEENS1_30default_config_static_selectorELNS0_4arch9wavefront6targetE1EEEvT1_: ; @_ZN7rocprim17ROCPRIM_400000_NS6detail17trampoline_kernelINS0_14default_configENS1_25transform_config_selectorIsLb1EEEZNS1_14transform_implILb1ES3_S5_PsS7_NS0_8identityIsEEEE10hipError_tT2_T3_mT4_P12ihipStream_tbEUlT_E_NS1_11comp_targetILNS1_3genE0ELNS1_11target_archE4294967295ELNS1_3gpuE0ELNS1_3repE0EEENS1_30default_config_static_selectorELNS0_4arch9wavefront6targetE1EEEvT1_
; %bb.0:
	.section	.rodata,"a",@progbits
	.p2align	6, 0x0
	.amdhsa_kernel _ZN7rocprim17ROCPRIM_400000_NS6detail17trampoline_kernelINS0_14default_configENS1_25transform_config_selectorIsLb1EEEZNS1_14transform_implILb1ES3_S5_PsS7_NS0_8identityIsEEEE10hipError_tT2_T3_mT4_P12ihipStream_tbEUlT_E_NS1_11comp_targetILNS1_3genE0ELNS1_11target_archE4294967295ELNS1_3gpuE0ELNS1_3repE0EEENS1_30default_config_static_selectorELNS0_4arch9wavefront6targetE1EEEvT1_
		.amdhsa_group_segment_fixed_size 0
		.amdhsa_private_segment_fixed_size 0
		.amdhsa_kernarg_size 40
		.amdhsa_user_sgpr_count 6
		.amdhsa_user_sgpr_private_segment_buffer 1
		.amdhsa_user_sgpr_dispatch_ptr 0
		.amdhsa_user_sgpr_queue_ptr 0
		.amdhsa_user_sgpr_kernarg_segment_ptr 1
		.amdhsa_user_sgpr_dispatch_id 0
		.amdhsa_user_sgpr_flat_scratch_init 0
		.amdhsa_user_sgpr_kernarg_preload_length 0
		.amdhsa_user_sgpr_kernarg_preload_offset 0
		.amdhsa_user_sgpr_private_segment_size 0
		.amdhsa_uses_dynamic_stack 0
		.amdhsa_system_sgpr_private_segment_wavefront_offset 0
		.amdhsa_system_sgpr_workgroup_id_x 1
		.amdhsa_system_sgpr_workgroup_id_y 0
		.amdhsa_system_sgpr_workgroup_id_z 0
		.amdhsa_system_sgpr_workgroup_info 0
		.amdhsa_system_vgpr_workitem_id 0
		.amdhsa_next_free_vgpr 1
		.amdhsa_next_free_sgpr 0
		.amdhsa_accum_offset 4
		.amdhsa_reserve_vcc 0
		.amdhsa_reserve_flat_scratch 0
		.amdhsa_float_round_mode_32 0
		.amdhsa_float_round_mode_16_64 0
		.amdhsa_float_denorm_mode_32 3
		.amdhsa_float_denorm_mode_16_64 3
		.amdhsa_dx10_clamp 1
		.amdhsa_ieee_mode 1
		.amdhsa_fp16_overflow 0
		.amdhsa_tg_split 0
		.amdhsa_exception_fp_ieee_invalid_op 0
		.amdhsa_exception_fp_denorm_src 0
		.amdhsa_exception_fp_ieee_div_zero 0
		.amdhsa_exception_fp_ieee_overflow 0
		.amdhsa_exception_fp_ieee_underflow 0
		.amdhsa_exception_fp_ieee_inexact 0
		.amdhsa_exception_int_div_zero 0
	.end_amdhsa_kernel
	.section	.text._ZN7rocprim17ROCPRIM_400000_NS6detail17trampoline_kernelINS0_14default_configENS1_25transform_config_selectorIsLb1EEEZNS1_14transform_implILb1ES3_S5_PsS7_NS0_8identityIsEEEE10hipError_tT2_T3_mT4_P12ihipStream_tbEUlT_E_NS1_11comp_targetILNS1_3genE0ELNS1_11target_archE4294967295ELNS1_3gpuE0ELNS1_3repE0EEENS1_30default_config_static_selectorELNS0_4arch9wavefront6targetE1EEEvT1_,"axG",@progbits,_ZN7rocprim17ROCPRIM_400000_NS6detail17trampoline_kernelINS0_14default_configENS1_25transform_config_selectorIsLb1EEEZNS1_14transform_implILb1ES3_S5_PsS7_NS0_8identityIsEEEE10hipError_tT2_T3_mT4_P12ihipStream_tbEUlT_E_NS1_11comp_targetILNS1_3genE0ELNS1_11target_archE4294967295ELNS1_3gpuE0ELNS1_3repE0EEENS1_30default_config_static_selectorELNS0_4arch9wavefront6targetE1EEEvT1_,comdat
.Lfunc_end887:
	.size	_ZN7rocprim17ROCPRIM_400000_NS6detail17trampoline_kernelINS0_14default_configENS1_25transform_config_selectorIsLb1EEEZNS1_14transform_implILb1ES3_S5_PsS7_NS0_8identityIsEEEE10hipError_tT2_T3_mT4_P12ihipStream_tbEUlT_E_NS1_11comp_targetILNS1_3genE0ELNS1_11target_archE4294967295ELNS1_3gpuE0ELNS1_3repE0EEENS1_30default_config_static_selectorELNS0_4arch9wavefront6targetE1EEEvT1_, .Lfunc_end887-_ZN7rocprim17ROCPRIM_400000_NS6detail17trampoline_kernelINS0_14default_configENS1_25transform_config_selectorIsLb1EEEZNS1_14transform_implILb1ES3_S5_PsS7_NS0_8identityIsEEEE10hipError_tT2_T3_mT4_P12ihipStream_tbEUlT_E_NS1_11comp_targetILNS1_3genE0ELNS1_11target_archE4294967295ELNS1_3gpuE0ELNS1_3repE0EEENS1_30default_config_static_selectorELNS0_4arch9wavefront6targetE1EEEvT1_
                                        ; -- End function
	.section	.AMDGPU.csdata,"",@progbits
; Kernel info:
; codeLenInByte = 0
; NumSgprs: 4
; NumVgprs: 0
; NumAgprs: 0
; TotalNumVgprs: 0
; ScratchSize: 0
; MemoryBound: 0
; FloatMode: 240
; IeeeMode: 1
; LDSByteSize: 0 bytes/workgroup (compile time only)
; SGPRBlocks: 0
; VGPRBlocks: 0
; NumSGPRsForWavesPerEU: 4
; NumVGPRsForWavesPerEU: 1
; AccumOffset: 4
; Occupancy: 8
; WaveLimiterHint : 0
; COMPUTE_PGM_RSRC2:SCRATCH_EN: 0
; COMPUTE_PGM_RSRC2:USER_SGPR: 6
; COMPUTE_PGM_RSRC2:TRAP_HANDLER: 0
; COMPUTE_PGM_RSRC2:TGID_X_EN: 1
; COMPUTE_PGM_RSRC2:TGID_Y_EN: 0
; COMPUTE_PGM_RSRC2:TGID_Z_EN: 0
; COMPUTE_PGM_RSRC2:TIDIG_COMP_CNT: 0
; COMPUTE_PGM_RSRC3_GFX90A:ACCUM_OFFSET: 0
; COMPUTE_PGM_RSRC3_GFX90A:TG_SPLIT: 0
	.section	.text._ZN7rocprim17ROCPRIM_400000_NS6detail17trampoline_kernelINS0_14default_configENS1_25transform_config_selectorIsLb1EEEZNS1_14transform_implILb1ES3_S5_PsS7_NS0_8identityIsEEEE10hipError_tT2_T3_mT4_P12ihipStream_tbEUlT_E_NS1_11comp_targetILNS1_3genE10ELNS1_11target_archE1201ELNS1_3gpuE5ELNS1_3repE0EEENS1_30default_config_static_selectorELNS0_4arch9wavefront6targetE1EEEvT1_,"axG",@progbits,_ZN7rocprim17ROCPRIM_400000_NS6detail17trampoline_kernelINS0_14default_configENS1_25transform_config_selectorIsLb1EEEZNS1_14transform_implILb1ES3_S5_PsS7_NS0_8identityIsEEEE10hipError_tT2_T3_mT4_P12ihipStream_tbEUlT_E_NS1_11comp_targetILNS1_3genE10ELNS1_11target_archE1201ELNS1_3gpuE5ELNS1_3repE0EEENS1_30default_config_static_selectorELNS0_4arch9wavefront6targetE1EEEvT1_,comdat
	.protected	_ZN7rocprim17ROCPRIM_400000_NS6detail17trampoline_kernelINS0_14default_configENS1_25transform_config_selectorIsLb1EEEZNS1_14transform_implILb1ES3_S5_PsS7_NS0_8identityIsEEEE10hipError_tT2_T3_mT4_P12ihipStream_tbEUlT_E_NS1_11comp_targetILNS1_3genE10ELNS1_11target_archE1201ELNS1_3gpuE5ELNS1_3repE0EEENS1_30default_config_static_selectorELNS0_4arch9wavefront6targetE1EEEvT1_ ; -- Begin function _ZN7rocprim17ROCPRIM_400000_NS6detail17trampoline_kernelINS0_14default_configENS1_25transform_config_selectorIsLb1EEEZNS1_14transform_implILb1ES3_S5_PsS7_NS0_8identityIsEEEE10hipError_tT2_T3_mT4_P12ihipStream_tbEUlT_E_NS1_11comp_targetILNS1_3genE10ELNS1_11target_archE1201ELNS1_3gpuE5ELNS1_3repE0EEENS1_30default_config_static_selectorELNS0_4arch9wavefront6targetE1EEEvT1_
	.globl	_ZN7rocprim17ROCPRIM_400000_NS6detail17trampoline_kernelINS0_14default_configENS1_25transform_config_selectorIsLb1EEEZNS1_14transform_implILb1ES3_S5_PsS7_NS0_8identityIsEEEE10hipError_tT2_T3_mT4_P12ihipStream_tbEUlT_E_NS1_11comp_targetILNS1_3genE10ELNS1_11target_archE1201ELNS1_3gpuE5ELNS1_3repE0EEENS1_30default_config_static_selectorELNS0_4arch9wavefront6targetE1EEEvT1_
	.p2align	8
	.type	_ZN7rocprim17ROCPRIM_400000_NS6detail17trampoline_kernelINS0_14default_configENS1_25transform_config_selectorIsLb1EEEZNS1_14transform_implILb1ES3_S5_PsS7_NS0_8identityIsEEEE10hipError_tT2_T3_mT4_P12ihipStream_tbEUlT_E_NS1_11comp_targetILNS1_3genE10ELNS1_11target_archE1201ELNS1_3gpuE5ELNS1_3repE0EEENS1_30default_config_static_selectorELNS0_4arch9wavefront6targetE1EEEvT1_,@function
_ZN7rocprim17ROCPRIM_400000_NS6detail17trampoline_kernelINS0_14default_configENS1_25transform_config_selectorIsLb1EEEZNS1_14transform_implILb1ES3_S5_PsS7_NS0_8identityIsEEEE10hipError_tT2_T3_mT4_P12ihipStream_tbEUlT_E_NS1_11comp_targetILNS1_3genE10ELNS1_11target_archE1201ELNS1_3gpuE5ELNS1_3repE0EEENS1_30default_config_static_selectorELNS0_4arch9wavefront6targetE1EEEvT1_: ; @_ZN7rocprim17ROCPRIM_400000_NS6detail17trampoline_kernelINS0_14default_configENS1_25transform_config_selectorIsLb1EEEZNS1_14transform_implILb1ES3_S5_PsS7_NS0_8identityIsEEEE10hipError_tT2_T3_mT4_P12ihipStream_tbEUlT_E_NS1_11comp_targetILNS1_3genE10ELNS1_11target_archE1201ELNS1_3gpuE5ELNS1_3repE0EEENS1_30default_config_static_selectorELNS0_4arch9wavefront6targetE1EEEvT1_
; %bb.0:
	.section	.rodata,"a",@progbits
	.p2align	6, 0x0
	.amdhsa_kernel _ZN7rocprim17ROCPRIM_400000_NS6detail17trampoline_kernelINS0_14default_configENS1_25transform_config_selectorIsLb1EEEZNS1_14transform_implILb1ES3_S5_PsS7_NS0_8identityIsEEEE10hipError_tT2_T3_mT4_P12ihipStream_tbEUlT_E_NS1_11comp_targetILNS1_3genE10ELNS1_11target_archE1201ELNS1_3gpuE5ELNS1_3repE0EEENS1_30default_config_static_selectorELNS0_4arch9wavefront6targetE1EEEvT1_
		.amdhsa_group_segment_fixed_size 0
		.amdhsa_private_segment_fixed_size 0
		.amdhsa_kernarg_size 40
		.amdhsa_user_sgpr_count 6
		.amdhsa_user_sgpr_private_segment_buffer 1
		.amdhsa_user_sgpr_dispatch_ptr 0
		.amdhsa_user_sgpr_queue_ptr 0
		.amdhsa_user_sgpr_kernarg_segment_ptr 1
		.amdhsa_user_sgpr_dispatch_id 0
		.amdhsa_user_sgpr_flat_scratch_init 0
		.amdhsa_user_sgpr_kernarg_preload_length 0
		.amdhsa_user_sgpr_kernarg_preload_offset 0
		.amdhsa_user_sgpr_private_segment_size 0
		.amdhsa_uses_dynamic_stack 0
		.amdhsa_system_sgpr_private_segment_wavefront_offset 0
		.amdhsa_system_sgpr_workgroup_id_x 1
		.amdhsa_system_sgpr_workgroup_id_y 0
		.amdhsa_system_sgpr_workgroup_id_z 0
		.amdhsa_system_sgpr_workgroup_info 0
		.amdhsa_system_vgpr_workitem_id 0
		.amdhsa_next_free_vgpr 1
		.amdhsa_next_free_sgpr 0
		.amdhsa_accum_offset 4
		.amdhsa_reserve_vcc 0
		.amdhsa_reserve_flat_scratch 0
		.amdhsa_float_round_mode_32 0
		.amdhsa_float_round_mode_16_64 0
		.amdhsa_float_denorm_mode_32 3
		.amdhsa_float_denorm_mode_16_64 3
		.amdhsa_dx10_clamp 1
		.amdhsa_ieee_mode 1
		.amdhsa_fp16_overflow 0
		.amdhsa_tg_split 0
		.amdhsa_exception_fp_ieee_invalid_op 0
		.amdhsa_exception_fp_denorm_src 0
		.amdhsa_exception_fp_ieee_div_zero 0
		.amdhsa_exception_fp_ieee_overflow 0
		.amdhsa_exception_fp_ieee_underflow 0
		.amdhsa_exception_fp_ieee_inexact 0
		.amdhsa_exception_int_div_zero 0
	.end_amdhsa_kernel
	.section	.text._ZN7rocprim17ROCPRIM_400000_NS6detail17trampoline_kernelINS0_14default_configENS1_25transform_config_selectorIsLb1EEEZNS1_14transform_implILb1ES3_S5_PsS7_NS0_8identityIsEEEE10hipError_tT2_T3_mT4_P12ihipStream_tbEUlT_E_NS1_11comp_targetILNS1_3genE10ELNS1_11target_archE1201ELNS1_3gpuE5ELNS1_3repE0EEENS1_30default_config_static_selectorELNS0_4arch9wavefront6targetE1EEEvT1_,"axG",@progbits,_ZN7rocprim17ROCPRIM_400000_NS6detail17trampoline_kernelINS0_14default_configENS1_25transform_config_selectorIsLb1EEEZNS1_14transform_implILb1ES3_S5_PsS7_NS0_8identityIsEEEE10hipError_tT2_T3_mT4_P12ihipStream_tbEUlT_E_NS1_11comp_targetILNS1_3genE10ELNS1_11target_archE1201ELNS1_3gpuE5ELNS1_3repE0EEENS1_30default_config_static_selectorELNS0_4arch9wavefront6targetE1EEEvT1_,comdat
.Lfunc_end888:
	.size	_ZN7rocprim17ROCPRIM_400000_NS6detail17trampoline_kernelINS0_14default_configENS1_25transform_config_selectorIsLb1EEEZNS1_14transform_implILb1ES3_S5_PsS7_NS0_8identityIsEEEE10hipError_tT2_T3_mT4_P12ihipStream_tbEUlT_E_NS1_11comp_targetILNS1_3genE10ELNS1_11target_archE1201ELNS1_3gpuE5ELNS1_3repE0EEENS1_30default_config_static_selectorELNS0_4arch9wavefront6targetE1EEEvT1_, .Lfunc_end888-_ZN7rocprim17ROCPRIM_400000_NS6detail17trampoline_kernelINS0_14default_configENS1_25transform_config_selectorIsLb1EEEZNS1_14transform_implILb1ES3_S5_PsS7_NS0_8identityIsEEEE10hipError_tT2_T3_mT4_P12ihipStream_tbEUlT_E_NS1_11comp_targetILNS1_3genE10ELNS1_11target_archE1201ELNS1_3gpuE5ELNS1_3repE0EEENS1_30default_config_static_selectorELNS0_4arch9wavefront6targetE1EEEvT1_
                                        ; -- End function
	.section	.AMDGPU.csdata,"",@progbits
; Kernel info:
; codeLenInByte = 0
; NumSgprs: 4
; NumVgprs: 0
; NumAgprs: 0
; TotalNumVgprs: 0
; ScratchSize: 0
; MemoryBound: 0
; FloatMode: 240
; IeeeMode: 1
; LDSByteSize: 0 bytes/workgroup (compile time only)
; SGPRBlocks: 0
; VGPRBlocks: 0
; NumSGPRsForWavesPerEU: 4
; NumVGPRsForWavesPerEU: 1
; AccumOffset: 4
; Occupancy: 8
; WaveLimiterHint : 0
; COMPUTE_PGM_RSRC2:SCRATCH_EN: 0
; COMPUTE_PGM_RSRC2:USER_SGPR: 6
; COMPUTE_PGM_RSRC2:TRAP_HANDLER: 0
; COMPUTE_PGM_RSRC2:TGID_X_EN: 1
; COMPUTE_PGM_RSRC2:TGID_Y_EN: 0
; COMPUTE_PGM_RSRC2:TGID_Z_EN: 0
; COMPUTE_PGM_RSRC2:TIDIG_COMP_CNT: 0
; COMPUTE_PGM_RSRC3_GFX90A:ACCUM_OFFSET: 0
; COMPUTE_PGM_RSRC3_GFX90A:TG_SPLIT: 0
	.section	.text._ZN7rocprim17ROCPRIM_400000_NS6detail17trampoline_kernelINS0_14default_configENS1_25transform_config_selectorIsLb1EEEZNS1_14transform_implILb1ES3_S5_PsS7_NS0_8identityIsEEEE10hipError_tT2_T3_mT4_P12ihipStream_tbEUlT_E_NS1_11comp_targetILNS1_3genE5ELNS1_11target_archE942ELNS1_3gpuE9ELNS1_3repE0EEENS1_30default_config_static_selectorELNS0_4arch9wavefront6targetE1EEEvT1_,"axG",@progbits,_ZN7rocprim17ROCPRIM_400000_NS6detail17trampoline_kernelINS0_14default_configENS1_25transform_config_selectorIsLb1EEEZNS1_14transform_implILb1ES3_S5_PsS7_NS0_8identityIsEEEE10hipError_tT2_T3_mT4_P12ihipStream_tbEUlT_E_NS1_11comp_targetILNS1_3genE5ELNS1_11target_archE942ELNS1_3gpuE9ELNS1_3repE0EEENS1_30default_config_static_selectorELNS0_4arch9wavefront6targetE1EEEvT1_,comdat
	.protected	_ZN7rocprim17ROCPRIM_400000_NS6detail17trampoline_kernelINS0_14default_configENS1_25transform_config_selectorIsLb1EEEZNS1_14transform_implILb1ES3_S5_PsS7_NS0_8identityIsEEEE10hipError_tT2_T3_mT4_P12ihipStream_tbEUlT_E_NS1_11comp_targetILNS1_3genE5ELNS1_11target_archE942ELNS1_3gpuE9ELNS1_3repE0EEENS1_30default_config_static_selectorELNS0_4arch9wavefront6targetE1EEEvT1_ ; -- Begin function _ZN7rocprim17ROCPRIM_400000_NS6detail17trampoline_kernelINS0_14default_configENS1_25transform_config_selectorIsLb1EEEZNS1_14transform_implILb1ES3_S5_PsS7_NS0_8identityIsEEEE10hipError_tT2_T3_mT4_P12ihipStream_tbEUlT_E_NS1_11comp_targetILNS1_3genE5ELNS1_11target_archE942ELNS1_3gpuE9ELNS1_3repE0EEENS1_30default_config_static_selectorELNS0_4arch9wavefront6targetE1EEEvT1_
	.globl	_ZN7rocprim17ROCPRIM_400000_NS6detail17trampoline_kernelINS0_14default_configENS1_25transform_config_selectorIsLb1EEEZNS1_14transform_implILb1ES3_S5_PsS7_NS0_8identityIsEEEE10hipError_tT2_T3_mT4_P12ihipStream_tbEUlT_E_NS1_11comp_targetILNS1_3genE5ELNS1_11target_archE942ELNS1_3gpuE9ELNS1_3repE0EEENS1_30default_config_static_selectorELNS0_4arch9wavefront6targetE1EEEvT1_
	.p2align	8
	.type	_ZN7rocprim17ROCPRIM_400000_NS6detail17trampoline_kernelINS0_14default_configENS1_25transform_config_selectorIsLb1EEEZNS1_14transform_implILb1ES3_S5_PsS7_NS0_8identityIsEEEE10hipError_tT2_T3_mT4_P12ihipStream_tbEUlT_E_NS1_11comp_targetILNS1_3genE5ELNS1_11target_archE942ELNS1_3gpuE9ELNS1_3repE0EEENS1_30default_config_static_selectorELNS0_4arch9wavefront6targetE1EEEvT1_,@function
_ZN7rocprim17ROCPRIM_400000_NS6detail17trampoline_kernelINS0_14default_configENS1_25transform_config_selectorIsLb1EEEZNS1_14transform_implILb1ES3_S5_PsS7_NS0_8identityIsEEEE10hipError_tT2_T3_mT4_P12ihipStream_tbEUlT_E_NS1_11comp_targetILNS1_3genE5ELNS1_11target_archE942ELNS1_3gpuE9ELNS1_3repE0EEENS1_30default_config_static_selectorELNS0_4arch9wavefront6targetE1EEEvT1_: ; @_ZN7rocprim17ROCPRIM_400000_NS6detail17trampoline_kernelINS0_14default_configENS1_25transform_config_selectorIsLb1EEEZNS1_14transform_implILb1ES3_S5_PsS7_NS0_8identityIsEEEE10hipError_tT2_T3_mT4_P12ihipStream_tbEUlT_E_NS1_11comp_targetILNS1_3genE5ELNS1_11target_archE942ELNS1_3gpuE9ELNS1_3repE0EEENS1_30default_config_static_selectorELNS0_4arch9wavefront6targetE1EEEvT1_
; %bb.0:
	.section	.rodata,"a",@progbits
	.p2align	6, 0x0
	.amdhsa_kernel _ZN7rocprim17ROCPRIM_400000_NS6detail17trampoline_kernelINS0_14default_configENS1_25transform_config_selectorIsLb1EEEZNS1_14transform_implILb1ES3_S5_PsS7_NS0_8identityIsEEEE10hipError_tT2_T3_mT4_P12ihipStream_tbEUlT_E_NS1_11comp_targetILNS1_3genE5ELNS1_11target_archE942ELNS1_3gpuE9ELNS1_3repE0EEENS1_30default_config_static_selectorELNS0_4arch9wavefront6targetE1EEEvT1_
		.amdhsa_group_segment_fixed_size 0
		.amdhsa_private_segment_fixed_size 0
		.amdhsa_kernarg_size 40
		.amdhsa_user_sgpr_count 6
		.amdhsa_user_sgpr_private_segment_buffer 1
		.amdhsa_user_sgpr_dispatch_ptr 0
		.amdhsa_user_sgpr_queue_ptr 0
		.amdhsa_user_sgpr_kernarg_segment_ptr 1
		.amdhsa_user_sgpr_dispatch_id 0
		.amdhsa_user_sgpr_flat_scratch_init 0
		.amdhsa_user_sgpr_kernarg_preload_length 0
		.amdhsa_user_sgpr_kernarg_preload_offset 0
		.amdhsa_user_sgpr_private_segment_size 0
		.amdhsa_uses_dynamic_stack 0
		.amdhsa_system_sgpr_private_segment_wavefront_offset 0
		.amdhsa_system_sgpr_workgroup_id_x 1
		.amdhsa_system_sgpr_workgroup_id_y 0
		.amdhsa_system_sgpr_workgroup_id_z 0
		.amdhsa_system_sgpr_workgroup_info 0
		.amdhsa_system_vgpr_workitem_id 0
		.amdhsa_next_free_vgpr 1
		.amdhsa_next_free_sgpr 0
		.amdhsa_accum_offset 4
		.amdhsa_reserve_vcc 0
		.amdhsa_reserve_flat_scratch 0
		.amdhsa_float_round_mode_32 0
		.amdhsa_float_round_mode_16_64 0
		.amdhsa_float_denorm_mode_32 3
		.amdhsa_float_denorm_mode_16_64 3
		.amdhsa_dx10_clamp 1
		.amdhsa_ieee_mode 1
		.amdhsa_fp16_overflow 0
		.amdhsa_tg_split 0
		.amdhsa_exception_fp_ieee_invalid_op 0
		.amdhsa_exception_fp_denorm_src 0
		.amdhsa_exception_fp_ieee_div_zero 0
		.amdhsa_exception_fp_ieee_overflow 0
		.amdhsa_exception_fp_ieee_underflow 0
		.amdhsa_exception_fp_ieee_inexact 0
		.amdhsa_exception_int_div_zero 0
	.end_amdhsa_kernel
	.section	.text._ZN7rocprim17ROCPRIM_400000_NS6detail17trampoline_kernelINS0_14default_configENS1_25transform_config_selectorIsLb1EEEZNS1_14transform_implILb1ES3_S5_PsS7_NS0_8identityIsEEEE10hipError_tT2_T3_mT4_P12ihipStream_tbEUlT_E_NS1_11comp_targetILNS1_3genE5ELNS1_11target_archE942ELNS1_3gpuE9ELNS1_3repE0EEENS1_30default_config_static_selectorELNS0_4arch9wavefront6targetE1EEEvT1_,"axG",@progbits,_ZN7rocprim17ROCPRIM_400000_NS6detail17trampoline_kernelINS0_14default_configENS1_25transform_config_selectorIsLb1EEEZNS1_14transform_implILb1ES3_S5_PsS7_NS0_8identityIsEEEE10hipError_tT2_T3_mT4_P12ihipStream_tbEUlT_E_NS1_11comp_targetILNS1_3genE5ELNS1_11target_archE942ELNS1_3gpuE9ELNS1_3repE0EEENS1_30default_config_static_selectorELNS0_4arch9wavefront6targetE1EEEvT1_,comdat
.Lfunc_end889:
	.size	_ZN7rocprim17ROCPRIM_400000_NS6detail17trampoline_kernelINS0_14default_configENS1_25transform_config_selectorIsLb1EEEZNS1_14transform_implILb1ES3_S5_PsS7_NS0_8identityIsEEEE10hipError_tT2_T3_mT4_P12ihipStream_tbEUlT_E_NS1_11comp_targetILNS1_3genE5ELNS1_11target_archE942ELNS1_3gpuE9ELNS1_3repE0EEENS1_30default_config_static_selectorELNS0_4arch9wavefront6targetE1EEEvT1_, .Lfunc_end889-_ZN7rocprim17ROCPRIM_400000_NS6detail17trampoline_kernelINS0_14default_configENS1_25transform_config_selectorIsLb1EEEZNS1_14transform_implILb1ES3_S5_PsS7_NS0_8identityIsEEEE10hipError_tT2_T3_mT4_P12ihipStream_tbEUlT_E_NS1_11comp_targetILNS1_3genE5ELNS1_11target_archE942ELNS1_3gpuE9ELNS1_3repE0EEENS1_30default_config_static_selectorELNS0_4arch9wavefront6targetE1EEEvT1_
                                        ; -- End function
	.section	.AMDGPU.csdata,"",@progbits
; Kernel info:
; codeLenInByte = 0
; NumSgprs: 4
; NumVgprs: 0
; NumAgprs: 0
; TotalNumVgprs: 0
; ScratchSize: 0
; MemoryBound: 0
; FloatMode: 240
; IeeeMode: 1
; LDSByteSize: 0 bytes/workgroup (compile time only)
; SGPRBlocks: 0
; VGPRBlocks: 0
; NumSGPRsForWavesPerEU: 4
; NumVGPRsForWavesPerEU: 1
; AccumOffset: 4
; Occupancy: 8
; WaveLimiterHint : 0
; COMPUTE_PGM_RSRC2:SCRATCH_EN: 0
; COMPUTE_PGM_RSRC2:USER_SGPR: 6
; COMPUTE_PGM_RSRC2:TRAP_HANDLER: 0
; COMPUTE_PGM_RSRC2:TGID_X_EN: 1
; COMPUTE_PGM_RSRC2:TGID_Y_EN: 0
; COMPUTE_PGM_RSRC2:TGID_Z_EN: 0
; COMPUTE_PGM_RSRC2:TIDIG_COMP_CNT: 0
; COMPUTE_PGM_RSRC3_GFX90A:ACCUM_OFFSET: 0
; COMPUTE_PGM_RSRC3_GFX90A:TG_SPLIT: 0
	.section	.text._ZN7rocprim17ROCPRIM_400000_NS6detail17trampoline_kernelINS0_14default_configENS1_25transform_config_selectorIsLb1EEEZNS1_14transform_implILb1ES3_S5_PsS7_NS0_8identityIsEEEE10hipError_tT2_T3_mT4_P12ihipStream_tbEUlT_E_NS1_11comp_targetILNS1_3genE4ELNS1_11target_archE910ELNS1_3gpuE8ELNS1_3repE0EEENS1_30default_config_static_selectorELNS0_4arch9wavefront6targetE1EEEvT1_,"axG",@progbits,_ZN7rocprim17ROCPRIM_400000_NS6detail17trampoline_kernelINS0_14default_configENS1_25transform_config_selectorIsLb1EEEZNS1_14transform_implILb1ES3_S5_PsS7_NS0_8identityIsEEEE10hipError_tT2_T3_mT4_P12ihipStream_tbEUlT_E_NS1_11comp_targetILNS1_3genE4ELNS1_11target_archE910ELNS1_3gpuE8ELNS1_3repE0EEENS1_30default_config_static_selectorELNS0_4arch9wavefront6targetE1EEEvT1_,comdat
	.protected	_ZN7rocprim17ROCPRIM_400000_NS6detail17trampoline_kernelINS0_14default_configENS1_25transform_config_selectorIsLb1EEEZNS1_14transform_implILb1ES3_S5_PsS7_NS0_8identityIsEEEE10hipError_tT2_T3_mT4_P12ihipStream_tbEUlT_E_NS1_11comp_targetILNS1_3genE4ELNS1_11target_archE910ELNS1_3gpuE8ELNS1_3repE0EEENS1_30default_config_static_selectorELNS0_4arch9wavefront6targetE1EEEvT1_ ; -- Begin function _ZN7rocprim17ROCPRIM_400000_NS6detail17trampoline_kernelINS0_14default_configENS1_25transform_config_selectorIsLb1EEEZNS1_14transform_implILb1ES3_S5_PsS7_NS0_8identityIsEEEE10hipError_tT2_T3_mT4_P12ihipStream_tbEUlT_E_NS1_11comp_targetILNS1_3genE4ELNS1_11target_archE910ELNS1_3gpuE8ELNS1_3repE0EEENS1_30default_config_static_selectorELNS0_4arch9wavefront6targetE1EEEvT1_
	.globl	_ZN7rocprim17ROCPRIM_400000_NS6detail17trampoline_kernelINS0_14default_configENS1_25transform_config_selectorIsLb1EEEZNS1_14transform_implILb1ES3_S5_PsS7_NS0_8identityIsEEEE10hipError_tT2_T3_mT4_P12ihipStream_tbEUlT_E_NS1_11comp_targetILNS1_3genE4ELNS1_11target_archE910ELNS1_3gpuE8ELNS1_3repE0EEENS1_30default_config_static_selectorELNS0_4arch9wavefront6targetE1EEEvT1_
	.p2align	8
	.type	_ZN7rocprim17ROCPRIM_400000_NS6detail17trampoline_kernelINS0_14default_configENS1_25transform_config_selectorIsLb1EEEZNS1_14transform_implILb1ES3_S5_PsS7_NS0_8identityIsEEEE10hipError_tT2_T3_mT4_P12ihipStream_tbEUlT_E_NS1_11comp_targetILNS1_3genE4ELNS1_11target_archE910ELNS1_3gpuE8ELNS1_3repE0EEENS1_30default_config_static_selectorELNS0_4arch9wavefront6targetE1EEEvT1_,@function
_ZN7rocprim17ROCPRIM_400000_NS6detail17trampoline_kernelINS0_14default_configENS1_25transform_config_selectorIsLb1EEEZNS1_14transform_implILb1ES3_S5_PsS7_NS0_8identityIsEEEE10hipError_tT2_T3_mT4_P12ihipStream_tbEUlT_E_NS1_11comp_targetILNS1_3genE4ELNS1_11target_archE910ELNS1_3gpuE8ELNS1_3repE0EEENS1_30default_config_static_selectorELNS0_4arch9wavefront6targetE1EEEvT1_: ; @_ZN7rocprim17ROCPRIM_400000_NS6detail17trampoline_kernelINS0_14default_configENS1_25transform_config_selectorIsLb1EEEZNS1_14transform_implILb1ES3_S5_PsS7_NS0_8identityIsEEEE10hipError_tT2_T3_mT4_P12ihipStream_tbEUlT_E_NS1_11comp_targetILNS1_3genE4ELNS1_11target_archE910ELNS1_3gpuE8ELNS1_3repE0EEENS1_30default_config_static_selectorELNS0_4arch9wavefront6targetE1EEEvT1_
; %bb.0:
	s_load_dwordx8 s[8:15], s[4:5], 0x0
	s_load_dword s2, s[4:5], 0x28
	s_waitcnt lgkmcnt(0)
	s_lshl_b64 s[0:1], s[10:11], 1
	s_add_u32 s3, s8, s0
	s_addc_u32 s4, s9, s1
	s_add_u32 s20, s14, s0
	s_addc_u32 s21, s15, s1
	s_lshl_b32 s0, s6, 13
	s_mov_b32 s1, 0
	s_add_i32 s2, s2, -1
	s_lshl_b64 s[14:15], s[0:1], 1
	s_add_u32 s16, s3, s14
	s_addc_u32 s17, s4, s15
	s_cmp_lg_u32 s6, s2
	s_mov_b64 s[2:3], -1
	s_cbranch_scc0 .LBB890_2
; %bb.1:
	v_lshlrev_b32_e32 v1, 4, v0
	global_load_dwordx4 v[2:5], v1, s[16:17]
	s_add_u32 s2, s20, s14
	s_addc_u32 s3, s21, s15
	s_waitcnt vmcnt(0)
	global_store_dwordx4 v1, v[2:5], s[2:3]
	s_mov_b64 s[2:3], 0
.LBB890_2:
	s_andn2_b64 vcc, exec, s[2:3]
	s_cbranch_vccnz .LBB890_31
; %bb.3:
	s_sub_i32 s18, s12, s0
	v_cmp_gt_u32_e32 vcc, s18, v0
	v_lshlrev_b32_e32 v1, 1, v0
                                        ; implicit-def: $vgpr2_vgpr3_vgpr4_vgpr5
	s_and_saveexec_b64 s[0:1], vcc
	s_cbranch_execz .LBB890_5
; %bb.4:
	global_load_ushort v2, v1, s[16:17]
.LBB890_5:
	s_or_b64 exec, exec, s[0:1]
	v_or_b32_e32 v6, 0x400, v0
	v_cmp_gt_u32_e64 s[0:1], s18, v6
	s_and_saveexec_b64 s[2:3], s[0:1]
	s_cbranch_execz .LBB890_7
; %bb.6:
	global_load_ushort v6, v1, s[16:17] offset:2048
	s_mov_b32 s4, 0x5040100
	s_waitcnt vmcnt(0)
	v_perm_b32 v2, v6, v2, s4
.LBB890_7:
	s_or_b64 exec, exec, s[2:3]
	v_or_b32_e32 v6, 0x800, v0
	v_cmp_gt_u32_e64 s[2:3], s18, v6
	s_and_saveexec_b64 s[4:5], s[2:3]
	s_cbranch_execz .LBB890_9
; %bb.8:
	v_lshlrev_b32_e32 v6, 1, v6
	global_load_ushort v6, v6, s[16:17]
	s_mov_b32 s6, 0xffff
	s_waitcnt vmcnt(0)
	v_bfi_b32 v3, s6, v6, v3
.LBB890_9:
	s_or_b64 exec, exec, s[4:5]
	v_or_b32_e32 v6, 0xc00, v0
	v_cmp_gt_u32_e64 s[4:5], s18, v6
	s_and_saveexec_b64 s[6:7], s[4:5]
	s_cbranch_execz .LBB890_11
; %bb.10:
	v_lshlrev_b32_e32 v6, 1, v6
	global_load_ushort v6, v6, s[16:17]
	s_mov_b32 s8, 0x5040100
	s_waitcnt vmcnt(0)
	v_perm_b32 v3, v6, v3, s8
.LBB890_11:
	s_or_b64 exec, exec, s[6:7]
	v_or_b32_e32 v6, 0x1000, v0
	v_cmp_gt_u32_e64 s[6:7], s18, v6
	s_and_saveexec_b64 s[8:9], s[6:7]
	s_cbranch_execz .LBB890_13
; %bb.12:
	v_lshlrev_b32_e32 v6, 1, v6
	global_load_ushort v6, v6, s[16:17]
	s_mov_b32 s10, 0xffff
	s_waitcnt vmcnt(0)
	v_bfi_b32 v4, s10, v6, v4
.LBB890_13:
	s_or_b64 exec, exec, s[8:9]
	v_or_b32_e32 v6, 0x1400, v0
	v_cmp_gt_u32_e64 s[8:9], s18, v6
	s_and_saveexec_b64 s[10:11], s[8:9]
	s_cbranch_execz .LBB890_15
; %bb.14:
	v_lshlrev_b32_e32 v6, 1, v6
	global_load_ushort v6, v6, s[16:17]
	s_mov_b32 s12, 0x5040100
	s_waitcnt vmcnt(0)
	v_perm_b32 v4, v6, v4, s12
.LBB890_15:
	;; [unrolled: 24-line block ×3, first 2 shown]
	s_or_b64 exec, exec, s[18:19]
	s_add_u32 s14, s20, s14
	s_addc_u32 s15, s21, s15
	v_mov_b32_e32 v6, s15
	v_add_co_u32_e64 v0, s[14:15], s14, v1
	v_addc_co_u32_e64 v1, s[14:15], 0, v6, s[14:15]
	s_and_saveexec_b64 s[14:15], vcc
	s_cbranch_execnz .LBB890_32
; %bb.20:
	s_or_b64 exec, exec, s[14:15]
	s_and_saveexec_b64 s[14:15], s[0:1]
	s_cbranch_execnz .LBB890_33
.LBB890_21:
	s_or_b64 exec, exec, s[14:15]
	s_mov_b32 s14, 0xffff
	s_and_saveexec_b64 s[0:1], s[2:3]
	s_cbranch_execz .LBB890_23
.LBB890_22:
	v_add_co_u32_e32 v6, vcc, 0x1000, v0
	v_addc_co_u32_e32 v7, vcc, 0, v1, vcc
	global_store_short v[6:7], v3, off
.LBB890_23:
	s_or_b64 exec, exec, s[0:1]
	s_waitcnt vmcnt(0)
	v_bfi_b32 v2, s14, v3, v3
	v_cndmask_b32_e64 v2, v2, v3, s[4:5]
	s_and_saveexec_b64 s[0:1], s[4:5]
	s_cbranch_execz .LBB890_25
; %bb.24:
	v_add_co_u32_e32 v6, vcc, 0x1000, v0
	v_addc_co_u32_e32 v7, vcc, 0, v1, vcc
	global_store_short_d16_hi v[6:7], v2, off offset:2048
.LBB890_25:
	s_or_b64 exec, exec, s[0:1]
	s_mov_b32 s2, 0xffff
	v_cndmask_b32_e64 v2, v4, v4, s[6:7]
	s_and_saveexec_b64 s[0:1], s[6:7]
	s_cbranch_execz .LBB890_27
; %bb.26:
	v_add_co_u32_e32 v6, vcc, 0x2000, v0
	v_addc_co_u32_e32 v7, vcc, 0, v1, vcc
	global_store_short v[6:7], v2, off
.LBB890_27:
	s_or_b64 exec, exec, s[0:1]
	v_bfi_b32 v2, s2, v2, v4
	v_cndmask_b32_e64 v2, v2, v4, s[8:9]
	s_and_saveexec_b64 s[0:1], s[8:9]
	s_cbranch_execnz .LBB890_34
; %bb.28:
	s_or_b64 exec, exec, s[0:1]
	s_and_saveexec_b64 s[0:1], s[10:11]
	s_cbranch_execnz .LBB890_35
.LBB890_29:
	s_or_b64 exec, exec, s[0:1]
	s_and_saveexec_b64 s[0:1], s[12:13]
	s_cbranch_execz .LBB890_31
.LBB890_30:
	v_add_co_u32_e32 v0, vcc, 0x3000, v0
	v_cndmask_b32_e64 v2, v5, v5, s[12:13]
	v_addc_co_u32_e32 v1, vcc, 0, v1, vcc
	global_store_short_d16_hi v[0:1], v2, off offset:2048
.LBB890_31:
	s_endpgm
.LBB890_32:
	s_waitcnt vmcnt(0)
	global_store_short v[0:1], v2, off
	s_or_b64 exec, exec, s[14:15]
	s_and_saveexec_b64 s[14:15], s[0:1]
	s_cbranch_execz .LBB890_21
.LBB890_33:
	s_waitcnt vmcnt(0)
	global_store_short_d16_hi v[0:1], v2, off offset:2048
	s_or_b64 exec, exec, s[14:15]
	s_mov_b32 s14, 0xffff
	s_and_saveexec_b64 s[0:1], s[2:3]
	s_cbranch_execnz .LBB890_22
	s_branch .LBB890_23
.LBB890_34:
	v_add_co_u32_e32 v6, vcc, 0x2000, v0
	v_addc_co_u32_e32 v7, vcc, 0, v1, vcc
	global_store_short_d16_hi v[6:7], v2, off offset:2048
	s_or_b64 exec, exec, s[0:1]
	s_and_saveexec_b64 s[0:1], s[10:11]
	s_cbranch_execz .LBB890_29
.LBB890_35:
	v_add_co_u32_e32 v2, vcc, 0x3000, v0
	v_cndmask_b32_e64 v4, v5, v5, s[10:11]
	v_addc_co_u32_e32 v3, vcc, 0, v1, vcc
	global_store_short v[2:3], v4, off
	s_or_b64 exec, exec, s[0:1]
	s_and_saveexec_b64 s[0:1], s[12:13]
	s_cbranch_execnz .LBB890_30
	s_branch .LBB890_31
	.section	.rodata,"a",@progbits
	.p2align	6, 0x0
	.amdhsa_kernel _ZN7rocprim17ROCPRIM_400000_NS6detail17trampoline_kernelINS0_14default_configENS1_25transform_config_selectorIsLb1EEEZNS1_14transform_implILb1ES3_S5_PsS7_NS0_8identityIsEEEE10hipError_tT2_T3_mT4_P12ihipStream_tbEUlT_E_NS1_11comp_targetILNS1_3genE4ELNS1_11target_archE910ELNS1_3gpuE8ELNS1_3repE0EEENS1_30default_config_static_selectorELNS0_4arch9wavefront6targetE1EEEvT1_
		.amdhsa_group_segment_fixed_size 0
		.amdhsa_private_segment_fixed_size 0
		.amdhsa_kernarg_size 296
		.amdhsa_user_sgpr_count 6
		.amdhsa_user_sgpr_private_segment_buffer 1
		.amdhsa_user_sgpr_dispatch_ptr 0
		.amdhsa_user_sgpr_queue_ptr 0
		.amdhsa_user_sgpr_kernarg_segment_ptr 1
		.amdhsa_user_sgpr_dispatch_id 0
		.amdhsa_user_sgpr_flat_scratch_init 0
		.amdhsa_user_sgpr_kernarg_preload_length 0
		.amdhsa_user_sgpr_kernarg_preload_offset 0
		.amdhsa_user_sgpr_private_segment_size 0
		.amdhsa_uses_dynamic_stack 0
		.amdhsa_system_sgpr_private_segment_wavefront_offset 0
		.amdhsa_system_sgpr_workgroup_id_x 1
		.amdhsa_system_sgpr_workgroup_id_y 0
		.amdhsa_system_sgpr_workgroup_id_z 0
		.amdhsa_system_sgpr_workgroup_info 0
		.amdhsa_system_vgpr_workitem_id 0
		.amdhsa_next_free_vgpr 8
		.amdhsa_next_free_sgpr 22
		.amdhsa_accum_offset 8
		.amdhsa_reserve_vcc 1
		.amdhsa_reserve_flat_scratch 0
		.amdhsa_float_round_mode_32 0
		.amdhsa_float_round_mode_16_64 0
		.amdhsa_float_denorm_mode_32 3
		.amdhsa_float_denorm_mode_16_64 3
		.amdhsa_dx10_clamp 1
		.amdhsa_ieee_mode 1
		.amdhsa_fp16_overflow 0
		.amdhsa_tg_split 0
		.amdhsa_exception_fp_ieee_invalid_op 0
		.amdhsa_exception_fp_denorm_src 0
		.amdhsa_exception_fp_ieee_div_zero 0
		.amdhsa_exception_fp_ieee_overflow 0
		.amdhsa_exception_fp_ieee_underflow 0
		.amdhsa_exception_fp_ieee_inexact 0
		.amdhsa_exception_int_div_zero 0
	.end_amdhsa_kernel
	.section	.text._ZN7rocprim17ROCPRIM_400000_NS6detail17trampoline_kernelINS0_14default_configENS1_25transform_config_selectorIsLb1EEEZNS1_14transform_implILb1ES3_S5_PsS7_NS0_8identityIsEEEE10hipError_tT2_T3_mT4_P12ihipStream_tbEUlT_E_NS1_11comp_targetILNS1_3genE4ELNS1_11target_archE910ELNS1_3gpuE8ELNS1_3repE0EEENS1_30default_config_static_selectorELNS0_4arch9wavefront6targetE1EEEvT1_,"axG",@progbits,_ZN7rocprim17ROCPRIM_400000_NS6detail17trampoline_kernelINS0_14default_configENS1_25transform_config_selectorIsLb1EEEZNS1_14transform_implILb1ES3_S5_PsS7_NS0_8identityIsEEEE10hipError_tT2_T3_mT4_P12ihipStream_tbEUlT_E_NS1_11comp_targetILNS1_3genE4ELNS1_11target_archE910ELNS1_3gpuE8ELNS1_3repE0EEENS1_30default_config_static_selectorELNS0_4arch9wavefront6targetE1EEEvT1_,comdat
.Lfunc_end890:
	.size	_ZN7rocprim17ROCPRIM_400000_NS6detail17trampoline_kernelINS0_14default_configENS1_25transform_config_selectorIsLb1EEEZNS1_14transform_implILb1ES3_S5_PsS7_NS0_8identityIsEEEE10hipError_tT2_T3_mT4_P12ihipStream_tbEUlT_E_NS1_11comp_targetILNS1_3genE4ELNS1_11target_archE910ELNS1_3gpuE8ELNS1_3repE0EEENS1_30default_config_static_selectorELNS0_4arch9wavefront6targetE1EEEvT1_, .Lfunc_end890-_ZN7rocprim17ROCPRIM_400000_NS6detail17trampoline_kernelINS0_14default_configENS1_25transform_config_selectorIsLb1EEEZNS1_14transform_implILb1ES3_S5_PsS7_NS0_8identityIsEEEE10hipError_tT2_T3_mT4_P12ihipStream_tbEUlT_E_NS1_11comp_targetILNS1_3genE4ELNS1_11target_archE910ELNS1_3gpuE8ELNS1_3repE0EEENS1_30default_config_static_selectorELNS0_4arch9wavefront6targetE1EEEvT1_
                                        ; -- End function
	.section	.AMDGPU.csdata,"",@progbits
; Kernel info:
; codeLenInByte = 976
; NumSgprs: 26
; NumVgprs: 8
; NumAgprs: 0
; TotalNumVgprs: 8
; ScratchSize: 0
; MemoryBound: 1
; FloatMode: 240
; IeeeMode: 1
; LDSByteSize: 0 bytes/workgroup (compile time only)
; SGPRBlocks: 3
; VGPRBlocks: 0
; NumSGPRsForWavesPerEU: 26
; NumVGPRsForWavesPerEU: 8
; AccumOffset: 8
; Occupancy: 8
; WaveLimiterHint : 0
; COMPUTE_PGM_RSRC2:SCRATCH_EN: 0
; COMPUTE_PGM_RSRC2:USER_SGPR: 6
; COMPUTE_PGM_RSRC2:TRAP_HANDLER: 0
; COMPUTE_PGM_RSRC2:TGID_X_EN: 1
; COMPUTE_PGM_RSRC2:TGID_Y_EN: 0
; COMPUTE_PGM_RSRC2:TGID_Z_EN: 0
; COMPUTE_PGM_RSRC2:TIDIG_COMP_CNT: 0
; COMPUTE_PGM_RSRC3_GFX90A:ACCUM_OFFSET: 1
; COMPUTE_PGM_RSRC3_GFX90A:TG_SPLIT: 0
	.section	.text._ZN7rocprim17ROCPRIM_400000_NS6detail17trampoline_kernelINS0_14default_configENS1_25transform_config_selectorIsLb1EEEZNS1_14transform_implILb1ES3_S5_PsS7_NS0_8identityIsEEEE10hipError_tT2_T3_mT4_P12ihipStream_tbEUlT_E_NS1_11comp_targetILNS1_3genE3ELNS1_11target_archE908ELNS1_3gpuE7ELNS1_3repE0EEENS1_30default_config_static_selectorELNS0_4arch9wavefront6targetE1EEEvT1_,"axG",@progbits,_ZN7rocprim17ROCPRIM_400000_NS6detail17trampoline_kernelINS0_14default_configENS1_25transform_config_selectorIsLb1EEEZNS1_14transform_implILb1ES3_S5_PsS7_NS0_8identityIsEEEE10hipError_tT2_T3_mT4_P12ihipStream_tbEUlT_E_NS1_11comp_targetILNS1_3genE3ELNS1_11target_archE908ELNS1_3gpuE7ELNS1_3repE0EEENS1_30default_config_static_selectorELNS0_4arch9wavefront6targetE1EEEvT1_,comdat
	.protected	_ZN7rocprim17ROCPRIM_400000_NS6detail17trampoline_kernelINS0_14default_configENS1_25transform_config_selectorIsLb1EEEZNS1_14transform_implILb1ES3_S5_PsS7_NS0_8identityIsEEEE10hipError_tT2_T3_mT4_P12ihipStream_tbEUlT_E_NS1_11comp_targetILNS1_3genE3ELNS1_11target_archE908ELNS1_3gpuE7ELNS1_3repE0EEENS1_30default_config_static_selectorELNS0_4arch9wavefront6targetE1EEEvT1_ ; -- Begin function _ZN7rocprim17ROCPRIM_400000_NS6detail17trampoline_kernelINS0_14default_configENS1_25transform_config_selectorIsLb1EEEZNS1_14transform_implILb1ES3_S5_PsS7_NS0_8identityIsEEEE10hipError_tT2_T3_mT4_P12ihipStream_tbEUlT_E_NS1_11comp_targetILNS1_3genE3ELNS1_11target_archE908ELNS1_3gpuE7ELNS1_3repE0EEENS1_30default_config_static_selectorELNS0_4arch9wavefront6targetE1EEEvT1_
	.globl	_ZN7rocprim17ROCPRIM_400000_NS6detail17trampoline_kernelINS0_14default_configENS1_25transform_config_selectorIsLb1EEEZNS1_14transform_implILb1ES3_S5_PsS7_NS0_8identityIsEEEE10hipError_tT2_T3_mT4_P12ihipStream_tbEUlT_E_NS1_11comp_targetILNS1_3genE3ELNS1_11target_archE908ELNS1_3gpuE7ELNS1_3repE0EEENS1_30default_config_static_selectorELNS0_4arch9wavefront6targetE1EEEvT1_
	.p2align	8
	.type	_ZN7rocprim17ROCPRIM_400000_NS6detail17trampoline_kernelINS0_14default_configENS1_25transform_config_selectorIsLb1EEEZNS1_14transform_implILb1ES3_S5_PsS7_NS0_8identityIsEEEE10hipError_tT2_T3_mT4_P12ihipStream_tbEUlT_E_NS1_11comp_targetILNS1_3genE3ELNS1_11target_archE908ELNS1_3gpuE7ELNS1_3repE0EEENS1_30default_config_static_selectorELNS0_4arch9wavefront6targetE1EEEvT1_,@function
_ZN7rocprim17ROCPRIM_400000_NS6detail17trampoline_kernelINS0_14default_configENS1_25transform_config_selectorIsLb1EEEZNS1_14transform_implILb1ES3_S5_PsS7_NS0_8identityIsEEEE10hipError_tT2_T3_mT4_P12ihipStream_tbEUlT_E_NS1_11comp_targetILNS1_3genE3ELNS1_11target_archE908ELNS1_3gpuE7ELNS1_3repE0EEENS1_30default_config_static_selectorELNS0_4arch9wavefront6targetE1EEEvT1_: ; @_ZN7rocprim17ROCPRIM_400000_NS6detail17trampoline_kernelINS0_14default_configENS1_25transform_config_selectorIsLb1EEEZNS1_14transform_implILb1ES3_S5_PsS7_NS0_8identityIsEEEE10hipError_tT2_T3_mT4_P12ihipStream_tbEUlT_E_NS1_11comp_targetILNS1_3genE3ELNS1_11target_archE908ELNS1_3gpuE7ELNS1_3repE0EEENS1_30default_config_static_selectorELNS0_4arch9wavefront6targetE1EEEvT1_
; %bb.0:
	.section	.rodata,"a",@progbits
	.p2align	6, 0x0
	.amdhsa_kernel _ZN7rocprim17ROCPRIM_400000_NS6detail17trampoline_kernelINS0_14default_configENS1_25transform_config_selectorIsLb1EEEZNS1_14transform_implILb1ES3_S5_PsS7_NS0_8identityIsEEEE10hipError_tT2_T3_mT4_P12ihipStream_tbEUlT_E_NS1_11comp_targetILNS1_3genE3ELNS1_11target_archE908ELNS1_3gpuE7ELNS1_3repE0EEENS1_30default_config_static_selectorELNS0_4arch9wavefront6targetE1EEEvT1_
		.amdhsa_group_segment_fixed_size 0
		.amdhsa_private_segment_fixed_size 0
		.amdhsa_kernarg_size 40
		.amdhsa_user_sgpr_count 6
		.amdhsa_user_sgpr_private_segment_buffer 1
		.amdhsa_user_sgpr_dispatch_ptr 0
		.amdhsa_user_sgpr_queue_ptr 0
		.amdhsa_user_sgpr_kernarg_segment_ptr 1
		.amdhsa_user_sgpr_dispatch_id 0
		.amdhsa_user_sgpr_flat_scratch_init 0
		.amdhsa_user_sgpr_kernarg_preload_length 0
		.amdhsa_user_sgpr_kernarg_preload_offset 0
		.amdhsa_user_sgpr_private_segment_size 0
		.amdhsa_uses_dynamic_stack 0
		.amdhsa_system_sgpr_private_segment_wavefront_offset 0
		.amdhsa_system_sgpr_workgroup_id_x 1
		.amdhsa_system_sgpr_workgroup_id_y 0
		.amdhsa_system_sgpr_workgroup_id_z 0
		.amdhsa_system_sgpr_workgroup_info 0
		.amdhsa_system_vgpr_workitem_id 0
		.amdhsa_next_free_vgpr 1
		.amdhsa_next_free_sgpr 0
		.amdhsa_accum_offset 4
		.amdhsa_reserve_vcc 0
		.amdhsa_reserve_flat_scratch 0
		.amdhsa_float_round_mode_32 0
		.amdhsa_float_round_mode_16_64 0
		.amdhsa_float_denorm_mode_32 3
		.amdhsa_float_denorm_mode_16_64 3
		.amdhsa_dx10_clamp 1
		.amdhsa_ieee_mode 1
		.amdhsa_fp16_overflow 0
		.amdhsa_tg_split 0
		.amdhsa_exception_fp_ieee_invalid_op 0
		.amdhsa_exception_fp_denorm_src 0
		.amdhsa_exception_fp_ieee_div_zero 0
		.amdhsa_exception_fp_ieee_overflow 0
		.amdhsa_exception_fp_ieee_underflow 0
		.amdhsa_exception_fp_ieee_inexact 0
		.amdhsa_exception_int_div_zero 0
	.end_amdhsa_kernel
	.section	.text._ZN7rocprim17ROCPRIM_400000_NS6detail17trampoline_kernelINS0_14default_configENS1_25transform_config_selectorIsLb1EEEZNS1_14transform_implILb1ES3_S5_PsS7_NS0_8identityIsEEEE10hipError_tT2_T3_mT4_P12ihipStream_tbEUlT_E_NS1_11comp_targetILNS1_3genE3ELNS1_11target_archE908ELNS1_3gpuE7ELNS1_3repE0EEENS1_30default_config_static_selectorELNS0_4arch9wavefront6targetE1EEEvT1_,"axG",@progbits,_ZN7rocprim17ROCPRIM_400000_NS6detail17trampoline_kernelINS0_14default_configENS1_25transform_config_selectorIsLb1EEEZNS1_14transform_implILb1ES3_S5_PsS7_NS0_8identityIsEEEE10hipError_tT2_T3_mT4_P12ihipStream_tbEUlT_E_NS1_11comp_targetILNS1_3genE3ELNS1_11target_archE908ELNS1_3gpuE7ELNS1_3repE0EEENS1_30default_config_static_selectorELNS0_4arch9wavefront6targetE1EEEvT1_,comdat
.Lfunc_end891:
	.size	_ZN7rocprim17ROCPRIM_400000_NS6detail17trampoline_kernelINS0_14default_configENS1_25transform_config_selectorIsLb1EEEZNS1_14transform_implILb1ES3_S5_PsS7_NS0_8identityIsEEEE10hipError_tT2_T3_mT4_P12ihipStream_tbEUlT_E_NS1_11comp_targetILNS1_3genE3ELNS1_11target_archE908ELNS1_3gpuE7ELNS1_3repE0EEENS1_30default_config_static_selectorELNS0_4arch9wavefront6targetE1EEEvT1_, .Lfunc_end891-_ZN7rocprim17ROCPRIM_400000_NS6detail17trampoline_kernelINS0_14default_configENS1_25transform_config_selectorIsLb1EEEZNS1_14transform_implILb1ES3_S5_PsS7_NS0_8identityIsEEEE10hipError_tT2_T3_mT4_P12ihipStream_tbEUlT_E_NS1_11comp_targetILNS1_3genE3ELNS1_11target_archE908ELNS1_3gpuE7ELNS1_3repE0EEENS1_30default_config_static_selectorELNS0_4arch9wavefront6targetE1EEEvT1_
                                        ; -- End function
	.section	.AMDGPU.csdata,"",@progbits
; Kernel info:
; codeLenInByte = 0
; NumSgprs: 4
; NumVgprs: 0
; NumAgprs: 0
; TotalNumVgprs: 0
; ScratchSize: 0
; MemoryBound: 0
; FloatMode: 240
; IeeeMode: 1
; LDSByteSize: 0 bytes/workgroup (compile time only)
; SGPRBlocks: 0
; VGPRBlocks: 0
; NumSGPRsForWavesPerEU: 4
; NumVGPRsForWavesPerEU: 1
; AccumOffset: 4
; Occupancy: 8
; WaveLimiterHint : 0
; COMPUTE_PGM_RSRC2:SCRATCH_EN: 0
; COMPUTE_PGM_RSRC2:USER_SGPR: 6
; COMPUTE_PGM_RSRC2:TRAP_HANDLER: 0
; COMPUTE_PGM_RSRC2:TGID_X_EN: 1
; COMPUTE_PGM_RSRC2:TGID_Y_EN: 0
; COMPUTE_PGM_RSRC2:TGID_Z_EN: 0
; COMPUTE_PGM_RSRC2:TIDIG_COMP_CNT: 0
; COMPUTE_PGM_RSRC3_GFX90A:ACCUM_OFFSET: 0
; COMPUTE_PGM_RSRC3_GFX90A:TG_SPLIT: 0
	.section	.text._ZN7rocprim17ROCPRIM_400000_NS6detail17trampoline_kernelINS0_14default_configENS1_25transform_config_selectorIsLb1EEEZNS1_14transform_implILb1ES3_S5_PsS7_NS0_8identityIsEEEE10hipError_tT2_T3_mT4_P12ihipStream_tbEUlT_E_NS1_11comp_targetILNS1_3genE2ELNS1_11target_archE906ELNS1_3gpuE6ELNS1_3repE0EEENS1_30default_config_static_selectorELNS0_4arch9wavefront6targetE1EEEvT1_,"axG",@progbits,_ZN7rocprim17ROCPRIM_400000_NS6detail17trampoline_kernelINS0_14default_configENS1_25transform_config_selectorIsLb1EEEZNS1_14transform_implILb1ES3_S5_PsS7_NS0_8identityIsEEEE10hipError_tT2_T3_mT4_P12ihipStream_tbEUlT_E_NS1_11comp_targetILNS1_3genE2ELNS1_11target_archE906ELNS1_3gpuE6ELNS1_3repE0EEENS1_30default_config_static_selectorELNS0_4arch9wavefront6targetE1EEEvT1_,comdat
	.protected	_ZN7rocprim17ROCPRIM_400000_NS6detail17trampoline_kernelINS0_14default_configENS1_25transform_config_selectorIsLb1EEEZNS1_14transform_implILb1ES3_S5_PsS7_NS0_8identityIsEEEE10hipError_tT2_T3_mT4_P12ihipStream_tbEUlT_E_NS1_11comp_targetILNS1_3genE2ELNS1_11target_archE906ELNS1_3gpuE6ELNS1_3repE0EEENS1_30default_config_static_selectorELNS0_4arch9wavefront6targetE1EEEvT1_ ; -- Begin function _ZN7rocprim17ROCPRIM_400000_NS6detail17trampoline_kernelINS0_14default_configENS1_25transform_config_selectorIsLb1EEEZNS1_14transform_implILb1ES3_S5_PsS7_NS0_8identityIsEEEE10hipError_tT2_T3_mT4_P12ihipStream_tbEUlT_E_NS1_11comp_targetILNS1_3genE2ELNS1_11target_archE906ELNS1_3gpuE6ELNS1_3repE0EEENS1_30default_config_static_selectorELNS0_4arch9wavefront6targetE1EEEvT1_
	.globl	_ZN7rocprim17ROCPRIM_400000_NS6detail17trampoline_kernelINS0_14default_configENS1_25transform_config_selectorIsLb1EEEZNS1_14transform_implILb1ES3_S5_PsS7_NS0_8identityIsEEEE10hipError_tT2_T3_mT4_P12ihipStream_tbEUlT_E_NS1_11comp_targetILNS1_3genE2ELNS1_11target_archE906ELNS1_3gpuE6ELNS1_3repE0EEENS1_30default_config_static_selectorELNS0_4arch9wavefront6targetE1EEEvT1_
	.p2align	8
	.type	_ZN7rocprim17ROCPRIM_400000_NS6detail17trampoline_kernelINS0_14default_configENS1_25transform_config_selectorIsLb1EEEZNS1_14transform_implILb1ES3_S5_PsS7_NS0_8identityIsEEEE10hipError_tT2_T3_mT4_P12ihipStream_tbEUlT_E_NS1_11comp_targetILNS1_3genE2ELNS1_11target_archE906ELNS1_3gpuE6ELNS1_3repE0EEENS1_30default_config_static_selectorELNS0_4arch9wavefront6targetE1EEEvT1_,@function
_ZN7rocprim17ROCPRIM_400000_NS6detail17trampoline_kernelINS0_14default_configENS1_25transform_config_selectorIsLb1EEEZNS1_14transform_implILb1ES3_S5_PsS7_NS0_8identityIsEEEE10hipError_tT2_T3_mT4_P12ihipStream_tbEUlT_E_NS1_11comp_targetILNS1_3genE2ELNS1_11target_archE906ELNS1_3gpuE6ELNS1_3repE0EEENS1_30default_config_static_selectorELNS0_4arch9wavefront6targetE1EEEvT1_: ; @_ZN7rocprim17ROCPRIM_400000_NS6detail17trampoline_kernelINS0_14default_configENS1_25transform_config_selectorIsLb1EEEZNS1_14transform_implILb1ES3_S5_PsS7_NS0_8identityIsEEEE10hipError_tT2_T3_mT4_P12ihipStream_tbEUlT_E_NS1_11comp_targetILNS1_3genE2ELNS1_11target_archE906ELNS1_3gpuE6ELNS1_3repE0EEENS1_30default_config_static_selectorELNS0_4arch9wavefront6targetE1EEEvT1_
; %bb.0:
	.section	.rodata,"a",@progbits
	.p2align	6, 0x0
	.amdhsa_kernel _ZN7rocprim17ROCPRIM_400000_NS6detail17trampoline_kernelINS0_14default_configENS1_25transform_config_selectorIsLb1EEEZNS1_14transform_implILb1ES3_S5_PsS7_NS0_8identityIsEEEE10hipError_tT2_T3_mT4_P12ihipStream_tbEUlT_E_NS1_11comp_targetILNS1_3genE2ELNS1_11target_archE906ELNS1_3gpuE6ELNS1_3repE0EEENS1_30default_config_static_selectorELNS0_4arch9wavefront6targetE1EEEvT1_
		.amdhsa_group_segment_fixed_size 0
		.amdhsa_private_segment_fixed_size 0
		.amdhsa_kernarg_size 40
		.amdhsa_user_sgpr_count 6
		.amdhsa_user_sgpr_private_segment_buffer 1
		.amdhsa_user_sgpr_dispatch_ptr 0
		.amdhsa_user_sgpr_queue_ptr 0
		.amdhsa_user_sgpr_kernarg_segment_ptr 1
		.amdhsa_user_sgpr_dispatch_id 0
		.amdhsa_user_sgpr_flat_scratch_init 0
		.amdhsa_user_sgpr_kernarg_preload_length 0
		.amdhsa_user_sgpr_kernarg_preload_offset 0
		.amdhsa_user_sgpr_private_segment_size 0
		.amdhsa_uses_dynamic_stack 0
		.amdhsa_system_sgpr_private_segment_wavefront_offset 0
		.amdhsa_system_sgpr_workgroup_id_x 1
		.amdhsa_system_sgpr_workgroup_id_y 0
		.amdhsa_system_sgpr_workgroup_id_z 0
		.amdhsa_system_sgpr_workgroup_info 0
		.amdhsa_system_vgpr_workitem_id 0
		.amdhsa_next_free_vgpr 1
		.amdhsa_next_free_sgpr 0
		.amdhsa_accum_offset 4
		.amdhsa_reserve_vcc 0
		.amdhsa_reserve_flat_scratch 0
		.amdhsa_float_round_mode_32 0
		.amdhsa_float_round_mode_16_64 0
		.amdhsa_float_denorm_mode_32 3
		.amdhsa_float_denorm_mode_16_64 3
		.amdhsa_dx10_clamp 1
		.amdhsa_ieee_mode 1
		.amdhsa_fp16_overflow 0
		.amdhsa_tg_split 0
		.amdhsa_exception_fp_ieee_invalid_op 0
		.amdhsa_exception_fp_denorm_src 0
		.amdhsa_exception_fp_ieee_div_zero 0
		.amdhsa_exception_fp_ieee_overflow 0
		.amdhsa_exception_fp_ieee_underflow 0
		.amdhsa_exception_fp_ieee_inexact 0
		.amdhsa_exception_int_div_zero 0
	.end_amdhsa_kernel
	.section	.text._ZN7rocprim17ROCPRIM_400000_NS6detail17trampoline_kernelINS0_14default_configENS1_25transform_config_selectorIsLb1EEEZNS1_14transform_implILb1ES3_S5_PsS7_NS0_8identityIsEEEE10hipError_tT2_T3_mT4_P12ihipStream_tbEUlT_E_NS1_11comp_targetILNS1_3genE2ELNS1_11target_archE906ELNS1_3gpuE6ELNS1_3repE0EEENS1_30default_config_static_selectorELNS0_4arch9wavefront6targetE1EEEvT1_,"axG",@progbits,_ZN7rocprim17ROCPRIM_400000_NS6detail17trampoline_kernelINS0_14default_configENS1_25transform_config_selectorIsLb1EEEZNS1_14transform_implILb1ES3_S5_PsS7_NS0_8identityIsEEEE10hipError_tT2_T3_mT4_P12ihipStream_tbEUlT_E_NS1_11comp_targetILNS1_3genE2ELNS1_11target_archE906ELNS1_3gpuE6ELNS1_3repE0EEENS1_30default_config_static_selectorELNS0_4arch9wavefront6targetE1EEEvT1_,comdat
.Lfunc_end892:
	.size	_ZN7rocprim17ROCPRIM_400000_NS6detail17trampoline_kernelINS0_14default_configENS1_25transform_config_selectorIsLb1EEEZNS1_14transform_implILb1ES3_S5_PsS7_NS0_8identityIsEEEE10hipError_tT2_T3_mT4_P12ihipStream_tbEUlT_E_NS1_11comp_targetILNS1_3genE2ELNS1_11target_archE906ELNS1_3gpuE6ELNS1_3repE0EEENS1_30default_config_static_selectorELNS0_4arch9wavefront6targetE1EEEvT1_, .Lfunc_end892-_ZN7rocprim17ROCPRIM_400000_NS6detail17trampoline_kernelINS0_14default_configENS1_25transform_config_selectorIsLb1EEEZNS1_14transform_implILb1ES3_S5_PsS7_NS0_8identityIsEEEE10hipError_tT2_T3_mT4_P12ihipStream_tbEUlT_E_NS1_11comp_targetILNS1_3genE2ELNS1_11target_archE906ELNS1_3gpuE6ELNS1_3repE0EEENS1_30default_config_static_selectorELNS0_4arch9wavefront6targetE1EEEvT1_
                                        ; -- End function
	.section	.AMDGPU.csdata,"",@progbits
; Kernel info:
; codeLenInByte = 0
; NumSgprs: 4
; NumVgprs: 0
; NumAgprs: 0
; TotalNumVgprs: 0
; ScratchSize: 0
; MemoryBound: 0
; FloatMode: 240
; IeeeMode: 1
; LDSByteSize: 0 bytes/workgroup (compile time only)
; SGPRBlocks: 0
; VGPRBlocks: 0
; NumSGPRsForWavesPerEU: 4
; NumVGPRsForWavesPerEU: 1
; AccumOffset: 4
; Occupancy: 8
; WaveLimiterHint : 0
; COMPUTE_PGM_RSRC2:SCRATCH_EN: 0
; COMPUTE_PGM_RSRC2:USER_SGPR: 6
; COMPUTE_PGM_RSRC2:TRAP_HANDLER: 0
; COMPUTE_PGM_RSRC2:TGID_X_EN: 1
; COMPUTE_PGM_RSRC2:TGID_Y_EN: 0
; COMPUTE_PGM_RSRC2:TGID_Z_EN: 0
; COMPUTE_PGM_RSRC2:TIDIG_COMP_CNT: 0
; COMPUTE_PGM_RSRC3_GFX90A:ACCUM_OFFSET: 0
; COMPUTE_PGM_RSRC3_GFX90A:TG_SPLIT: 0
	.section	.text._ZN7rocprim17ROCPRIM_400000_NS6detail17trampoline_kernelINS0_14default_configENS1_25transform_config_selectorIsLb1EEEZNS1_14transform_implILb1ES3_S5_PsS7_NS0_8identityIsEEEE10hipError_tT2_T3_mT4_P12ihipStream_tbEUlT_E_NS1_11comp_targetILNS1_3genE9ELNS1_11target_archE1100ELNS1_3gpuE3ELNS1_3repE0EEENS1_30default_config_static_selectorELNS0_4arch9wavefront6targetE1EEEvT1_,"axG",@progbits,_ZN7rocprim17ROCPRIM_400000_NS6detail17trampoline_kernelINS0_14default_configENS1_25transform_config_selectorIsLb1EEEZNS1_14transform_implILb1ES3_S5_PsS7_NS0_8identityIsEEEE10hipError_tT2_T3_mT4_P12ihipStream_tbEUlT_E_NS1_11comp_targetILNS1_3genE9ELNS1_11target_archE1100ELNS1_3gpuE3ELNS1_3repE0EEENS1_30default_config_static_selectorELNS0_4arch9wavefront6targetE1EEEvT1_,comdat
	.protected	_ZN7rocprim17ROCPRIM_400000_NS6detail17trampoline_kernelINS0_14default_configENS1_25transform_config_selectorIsLb1EEEZNS1_14transform_implILb1ES3_S5_PsS7_NS0_8identityIsEEEE10hipError_tT2_T3_mT4_P12ihipStream_tbEUlT_E_NS1_11comp_targetILNS1_3genE9ELNS1_11target_archE1100ELNS1_3gpuE3ELNS1_3repE0EEENS1_30default_config_static_selectorELNS0_4arch9wavefront6targetE1EEEvT1_ ; -- Begin function _ZN7rocprim17ROCPRIM_400000_NS6detail17trampoline_kernelINS0_14default_configENS1_25transform_config_selectorIsLb1EEEZNS1_14transform_implILb1ES3_S5_PsS7_NS0_8identityIsEEEE10hipError_tT2_T3_mT4_P12ihipStream_tbEUlT_E_NS1_11comp_targetILNS1_3genE9ELNS1_11target_archE1100ELNS1_3gpuE3ELNS1_3repE0EEENS1_30default_config_static_selectorELNS0_4arch9wavefront6targetE1EEEvT1_
	.globl	_ZN7rocprim17ROCPRIM_400000_NS6detail17trampoline_kernelINS0_14default_configENS1_25transform_config_selectorIsLb1EEEZNS1_14transform_implILb1ES3_S5_PsS7_NS0_8identityIsEEEE10hipError_tT2_T3_mT4_P12ihipStream_tbEUlT_E_NS1_11comp_targetILNS1_3genE9ELNS1_11target_archE1100ELNS1_3gpuE3ELNS1_3repE0EEENS1_30default_config_static_selectorELNS0_4arch9wavefront6targetE1EEEvT1_
	.p2align	8
	.type	_ZN7rocprim17ROCPRIM_400000_NS6detail17trampoline_kernelINS0_14default_configENS1_25transform_config_selectorIsLb1EEEZNS1_14transform_implILb1ES3_S5_PsS7_NS0_8identityIsEEEE10hipError_tT2_T3_mT4_P12ihipStream_tbEUlT_E_NS1_11comp_targetILNS1_3genE9ELNS1_11target_archE1100ELNS1_3gpuE3ELNS1_3repE0EEENS1_30default_config_static_selectorELNS0_4arch9wavefront6targetE1EEEvT1_,@function
_ZN7rocprim17ROCPRIM_400000_NS6detail17trampoline_kernelINS0_14default_configENS1_25transform_config_selectorIsLb1EEEZNS1_14transform_implILb1ES3_S5_PsS7_NS0_8identityIsEEEE10hipError_tT2_T3_mT4_P12ihipStream_tbEUlT_E_NS1_11comp_targetILNS1_3genE9ELNS1_11target_archE1100ELNS1_3gpuE3ELNS1_3repE0EEENS1_30default_config_static_selectorELNS0_4arch9wavefront6targetE1EEEvT1_: ; @_ZN7rocprim17ROCPRIM_400000_NS6detail17trampoline_kernelINS0_14default_configENS1_25transform_config_selectorIsLb1EEEZNS1_14transform_implILb1ES3_S5_PsS7_NS0_8identityIsEEEE10hipError_tT2_T3_mT4_P12ihipStream_tbEUlT_E_NS1_11comp_targetILNS1_3genE9ELNS1_11target_archE1100ELNS1_3gpuE3ELNS1_3repE0EEENS1_30default_config_static_selectorELNS0_4arch9wavefront6targetE1EEEvT1_
; %bb.0:
	.section	.rodata,"a",@progbits
	.p2align	6, 0x0
	.amdhsa_kernel _ZN7rocprim17ROCPRIM_400000_NS6detail17trampoline_kernelINS0_14default_configENS1_25transform_config_selectorIsLb1EEEZNS1_14transform_implILb1ES3_S5_PsS7_NS0_8identityIsEEEE10hipError_tT2_T3_mT4_P12ihipStream_tbEUlT_E_NS1_11comp_targetILNS1_3genE9ELNS1_11target_archE1100ELNS1_3gpuE3ELNS1_3repE0EEENS1_30default_config_static_selectorELNS0_4arch9wavefront6targetE1EEEvT1_
		.amdhsa_group_segment_fixed_size 0
		.amdhsa_private_segment_fixed_size 0
		.amdhsa_kernarg_size 40
		.amdhsa_user_sgpr_count 6
		.amdhsa_user_sgpr_private_segment_buffer 1
		.amdhsa_user_sgpr_dispatch_ptr 0
		.amdhsa_user_sgpr_queue_ptr 0
		.amdhsa_user_sgpr_kernarg_segment_ptr 1
		.amdhsa_user_sgpr_dispatch_id 0
		.amdhsa_user_sgpr_flat_scratch_init 0
		.amdhsa_user_sgpr_kernarg_preload_length 0
		.amdhsa_user_sgpr_kernarg_preload_offset 0
		.amdhsa_user_sgpr_private_segment_size 0
		.amdhsa_uses_dynamic_stack 0
		.amdhsa_system_sgpr_private_segment_wavefront_offset 0
		.amdhsa_system_sgpr_workgroup_id_x 1
		.amdhsa_system_sgpr_workgroup_id_y 0
		.amdhsa_system_sgpr_workgroup_id_z 0
		.amdhsa_system_sgpr_workgroup_info 0
		.amdhsa_system_vgpr_workitem_id 0
		.amdhsa_next_free_vgpr 1
		.amdhsa_next_free_sgpr 0
		.amdhsa_accum_offset 4
		.amdhsa_reserve_vcc 0
		.amdhsa_reserve_flat_scratch 0
		.amdhsa_float_round_mode_32 0
		.amdhsa_float_round_mode_16_64 0
		.amdhsa_float_denorm_mode_32 3
		.amdhsa_float_denorm_mode_16_64 3
		.amdhsa_dx10_clamp 1
		.amdhsa_ieee_mode 1
		.amdhsa_fp16_overflow 0
		.amdhsa_tg_split 0
		.amdhsa_exception_fp_ieee_invalid_op 0
		.amdhsa_exception_fp_denorm_src 0
		.amdhsa_exception_fp_ieee_div_zero 0
		.amdhsa_exception_fp_ieee_overflow 0
		.amdhsa_exception_fp_ieee_underflow 0
		.amdhsa_exception_fp_ieee_inexact 0
		.amdhsa_exception_int_div_zero 0
	.end_amdhsa_kernel
	.section	.text._ZN7rocprim17ROCPRIM_400000_NS6detail17trampoline_kernelINS0_14default_configENS1_25transform_config_selectorIsLb1EEEZNS1_14transform_implILb1ES3_S5_PsS7_NS0_8identityIsEEEE10hipError_tT2_T3_mT4_P12ihipStream_tbEUlT_E_NS1_11comp_targetILNS1_3genE9ELNS1_11target_archE1100ELNS1_3gpuE3ELNS1_3repE0EEENS1_30default_config_static_selectorELNS0_4arch9wavefront6targetE1EEEvT1_,"axG",@progbits,_ZN7rocprim17ROCPRIM_400000_NS6detail17trampoline_kernelINS0_14default_configENS1_25transform_config_selectorIsLb1EEEZNS1_14transform_implILb1ES3_S5_PsS7_NS0_8identityIsEEEE10hipError_tT2_T3_mT4_P12ihipStream_tbEUlT_E_NS1_11comp_targetILNS1_3genE9ELNS1_11target_archE1100ELNS1_3gpuE3ELNS1_3repE0EEENS1_30default_config_static_selectorELNS0_4arch9wavefront6targetE1EEEvT1_,comdat
.Lfunc_end893:
	.size	_ZN7rocprim17ROCPRIM_400000_NS6detail17trampoline_kernelINS0_14default_configENS1_25transform_config_selectorIsLb1EEEZNS1_14transform_implILb1ES3_S5_PsS7_NS0_8identityIsEEEE10hipError_tT2_T3_mT4_P12ihipStream_tbEUlT_E_NS1_11comp_targetILNS1_3genE9ELNS1_11target_archE1100ELNS1_3gpuE3ELNS1_3repE0EEENS1_30default_config_static_selectorELNS0_4arch9wavefront6targetE1EEEvT1_, .Lfunc_end893-_ZN7rocprim17ROCPRIM_400000_NS6detail17trampoline_kernelINS0_14default_configENS1_25transform_config_selectorIsLb1EEEZNS1_14transform_implILb1ES3_S5_PsS7_NS0_8identityIsEEEE10hipError_tT2_T3_mT4_P12ihipStream_tbEUlT_E_NS1_11comp_targetILNS1_3genE9ELNS1_11target_archE1100ELNS1_3gpuE3ELNS1_3repE0EEENS1_30default_config_static_selectorELNS0_4arch9wavefront6targetE1EEEvT1_
                                        ; -- End function
	.section	.AMDGPU.csdata,"",@progbits
; Kernel info:
; codeLenInByte = 0
; NumSgprs: 4
; NumVgprs: 0
; NumAgprs: 0
; TotalNumVgprs: 0
; ScratchSize: 0
; MemoryBound: 0
; FloatMode: 240
; IeeeMode: 1
; LDSByteSize: 0 bytes/workgroup (compile time only)
; SGPRBlocks: 0
; VGPRBlocks: 0
; NumSGPRsForWavesPerEU: 4
; NumVGPRsForWavesPerEU: 1
; AccumOffset: 4
; Occupancy: 8
; WaveLimiterHint : 0
; COMPUTE_PGM_RSRC2:SCRATCH_EN: 0
; COMPUTE_PGM_RSRC2:USER_SGPR: 6
; COMPUTE_PGM_RSRC2:TRAP_HANDLER: 0
; COMPUTE_PGM_RSRC2:TGID_X_EN: 1
; COMPUTE_PGM_RSRC2:TGID_Y_EN: 0
; COMPUTE_PGM_RSRC2:TGID_Z_EN: 0
; COMPUTE_PGM_RSRC2:TIDIG_COMP_CNT: 0
; COMPUTE_PGM_RSRC3_GFX90A:ACCUM_OFFSET: 0
; COMPUTE_PGM_RSRC3_GFX90A:TG_SPLIT: 0
	.section	.text._ZN7rocprim17ROCPRIM_400000_NS6detail17trampoline_kernelINS0_14default_configENS1_25transform_config_selectorIsLb1EEEZNS1_14transform_implILb1ES3_S5_PsS7_NS0_8identityIsEEEE10hipError_tT2_T3_mT4_P12ihipStream_tbEUlT_E_NS1_11comp_targetILNS1_3genE8ELNS1_11target_archE1030ELNS1_3gpuE2ELNS1_3repE0EEENS1_30default_config_static_selectorELNS0_4arch9wavefront6targetE1EEEvT1_,"axG",@progbits,_ZN7rocprim17ROCPRIM_400000_NS6detail17trampoline_kernelINS0_14default_configENS1_25transform_config_selectorIsLb1EEEZNS1_14transform_implILb1ES3_S5_PsS7_NS0_8identityIsEEEE10hipError_tT2_T3_mT4_P12ihipStream_tbEUlT_E_NS1_11comp_targetILNS1_3genE8ELNS1_11target_archE1030ELNS1_3gpuE2ELNS1_3repE0EEENS1_30default_config_static_selectorELNS0_4arch9wavefront6targetE1EEEvT1_,comdat
	.protected	_ZN7rocprim17ROCPRIM_400000_NS6detail17trampoline_kernelINS0_14default_configENS1_25transform_config_selectorIsLb1EEEZNS1_14transform_implILb1ES3_S5_PsS7_NS0_8identityIsEEEE10hipError_tT2_T3_mT4_P12ihipStream_tbEUlT_E_NS1_11comp_targetILNS1_3genE8ELNS1_11target_archE1030ELNS1_3gpuE2ELNS1_3repE0EEENS1_30default_config_static_selectorELNS0_4arch9wavefront6targetE1EEEvT1_ ; -- Begin function _ZN7rocprim17ROCPRIM_400000_NS6detail17trampoline_kernelINS0_14default_configENS1_25transform_config_selectorIsLb1EEEZNS1_14transform_implILb1ES3_S5_PsS7_NS0_8identityIsEEEE10hipError_tT2_T3_mT4_P12ihipStream_tbEUlT_E_NS1_11comp_targetILNS1_3genE8ELNS1_11target_archE1030ELNS1_3gpuE2ELNS1_3repE0EEENS1_30default_config_static_selectorELNS0_4arch9wavefront6targetE1EEEvT1_
	.globl	_ZN7rocprim17ROCPRIM_400000_NS6detail17trampoline_kernelINS0_14default_configENS1_25transform_config_selectorIsLb1EEEZNS1_14transform_implILb1ES3_S5_PsS7_NS0_8identityIsEEEE10hipError_tT2_T3_mT4_P12ihipStream_tbEUlT_E_NS1_11comp_targetILNS1_3genE8ELNS1_11target_archE1030ELNS1_3gpuE2ELNS1_3repE0EEENS1_30default_config_static_selectorELNS0_4arch9wavefront6targetE1EEEvT1_
	.p2align	8
	.type	_ZN7rocprim17ROCPRIM_400000_NS6detail17trampoline_kernelINS0_14default_configENS1_25transform_config_selectorIsLb1EEEZNS1_14transform_implILb1ES3_S5_PsS7_NS0_8identityIsEEEE10hipError_tT2_T3_mT4_P12ihipStream_tbEUlT_E_NS1_11comp_targetILNS1_3genE8ELNS1_11target_archE1030ELNS1_3gpuE2ELNS1_3repE0EEENS1_30default_config_static_selectorELNS0_4arch9wavefront6targetE1EEEvT1_,@function
_ZN7rocprim17ROCPRIM_400000_NS6detail17trampoline_kernelINS0_14default_configENS1_25transform_config_selectorIsLb1EEEZNS1_14transform_implILb1ES3_S5_PsS7_NS0_8identityIsEEEE10hipError_tT2_T3_mT4_P12ihipStream_tbEUlT_E_NS1_11comp_targetILNS1_3genE8ELNS1_11target_archE1030ELNS1_3gpuE2ELNS1_3repE0EEENS1_30default_config_static_selectorELNS0_4arch9wavefront6targetE1EEEvT1_: ; @_ZN7rocprim17ROCPRIM_400000_NS6detail17trampoline_kernelINS0_14default_configENS1_25transform_config_selectorIsLb1EEEZNS1_14transform_implILb1ES3_S5_PsS7_NS0_8identityIsEEEE10hipError_tT2_T3_mT4_P12ihipStream_tbEUlT_E_NS1_11comp_targetILNS1_3genE8ELNS1_11target_archE1030ELNS1_3gpuE2ELNS1_3repE0EEENS1_30default_config_static_selectorELNS0_4arch9wavefront6targetE1EEEvT1_
; %bb.0:
	.section	.rodata,"a",@progbits
	.p2align	6, 0x0
	.amdhsa_kernel _ZN7rocprim17ROCPRIM_400000_NS6detail17trampoline_kernelINS0_14default_configENS1_25transform_config_selectorIsLb1EEEZNS1_14transform_implILb1ES3_S5_PsS7_NS0_8identityIsEEEE10hipError_tT2_T3_mT4_P12ihipStream_tbEUlT_E_NS1_11comp_targetILNS1_3genE8ELNS1_11target_archE1030ELNS1_3gpuE2ELNS1_3repE0EEENS1_30default_config_static_selectorELNS0_4arch9wavefront6targetE1EEEvT1_
		.amdhsa_group_segment_fixed_size 0
		.amdhsa_private_segment_fixed_size 0
		.amdhsa_kernarg_size 40
		.amdhsa_user_sgpr_count 6
		.amdhsa_user_sgpr_private_segment_buffer 1
		.amdhsa_user_sgpr_dispatch_ptr 0
		.amdhsa_user_sgpr_queue_ptr 0
		.amdhsa_user_sgpr_kernarg_segment_ptr 1
		.amdhsa_user_sgpr_dispatch_id 0
		.amdhsa_user_sgpr_flat_scratch_init 0
		.amdhsa_user_sgpr_kernarg_preload_length 0
		.amdhsa_user_sgpr_kernarg_preload_offset 0
		.amdhsa_user_sgpr_private_segment_size 0
		.amdhsa_uses_dynamic_stack 0
		.amdhsa_system_sgpr_private_segment_wavefront_offset 0
		.amdhsa_system_sgpr_workgroup_id_x 1
		.amdhsa_system_sgpr_workgroup_id_y 0
		.amdhsa_system_sgpr_workgroup_id_z 0
		.amdhsa_system_sgpr_workgroup_info 0
		.amdhsa_system_vgpr_workitem_id 0
		.amdhsa_next_free_vgpr 1
		.amdhsa_next_free_sgpr 0
		.amdhsa_accum_offset 4
		.amdhsa_reserve_vcc 0
		.amdhsa_reserve_flat_scratch 0
		.amdhsa_float_round_mode_32 0
		.amdhsa_float_round_mode_16_64 0
		.amdhsa_float_denorm_mode_32 3
		.amdhsa_float_denorm_mode_16_64 3
		.amdhsa_dx10_clamp 1
		.amdhsa_ieee_mode 1
		.amdhsa_fp16_overflow 0
		.amdhsa_tg_split 0
		.amdhsa_exception_fp_ieee_invalid_op 0
		.amdhsa_exception_fp_denorm_src 0
		.amdhsa_exception_fp_ieee_div_zero 0
		.amdhsa_exception_fp_ieee_overflow 0
		.amdhsa_exception_fp_ieee_underflow 0
		.amdhsa_exception_fp_ieee_inexact 0
		.amdhsa_exception_int_div_zero 0
	.end_amdhsa_kernel
	.section	.text._ZN7rocprim17ROCPRIM_400000_NS6detail17trampoline_kernelINS0_14default_configENS1_25transform_config_selectorIsLb1EEEZNS1_14transform_implILb1ES3_S5_PsS7_NS0_8identityIsEEEE10hipError_tT2_T3_mT4_P12ihipStream_tbEUlT_E_NS1_11comp_targetILNS1_3genE8ELNS1_11target_archE1030ELNS1_3gpuE2ELNS1_3repE0EEENS1_30default_config_static_selectorELNS0_4arch9wavefront6targetE1EEEvT1_,"axG",@progbits,_ZN7rocprim17ROCPRIM_400000_NS6detail17trampoline_kernelINS0_14default_configENS1_25transform_config_selectorIsLb1EEEZNS1_14transform_implILb1ES3_S5_PsS7_NS0_8identityIsEEEE10hipError_tT2_T3_mT4_P12ihipStream_tbEUlT_E_NS1_11comp_targetILNS1_3genE8ELNS1_11target_archE1030ELNS1_3gpuE2ELNS1_3repE0EEENS1_30default_config_static_selectorELNS0_4arch9wavefront6targetE1EEEvT1_,comdat
.Lfunc_end894:
	.size	_ZN7rocprim17ROCPRIM_400000_NS6detail17trampoline_kernelINS0_14default_configENS1_25transform_config_selectorIsLb1EEEZNS1_14transform_implILb1ES3_S5_PsS7_NS0_8identityIsEEEE10hipError_tT2_T3_mT4_P12ihipStream_tbEUlT_E_NS1_11comp_targetILNS1_3genE8ELNS1_11target_archE1030ELNS1_3gpuE2ELNS1_3repE0EEENS1_30default_config_static_selectorELNS0_4arch9wavefront6targetE1EEEvT1_, .Lfunc_end894-_ZN7rocprim17ROCPRIM_400000_NS6detail17trampoline_kernelINS0_14default_configENS1_25transform_config_selectorIsLb1EEEZNS1_14transform_implILb1ES3_S5_PsS7_NS0_8identityIsEEEE10hipError_tT2_T3_mT4_P12ihipStream_tbEUlT_E_NS1_11comp_targetILNS1_3genE8ELNS1_11target_archE1030ELNS1_3gpuE2ELNS1_3repE0EEENS1_30default_config_static_selectorELNS0_4arch9wavefront6targetE1EEEvT1_
                                        ; -- End function
	.section	.AMDGPU.csdata,"",@progbits
; Kernel info:
; codeLenInByte = 0
; NumSgprs: 4
; NumVgprs: 0
; NumAgprs: 0
; TotalNumVgprs: 0
; ScratchSize: 0
; MemoryBound: 0
; FloatMode: 240
; IeeeMode: 1
; LDSByteSize: 0 bytes/workgroup (compile time only)
; SGPRBlocks: 0
; VGPRBlocks: 0
; NumSGPRsForWavesPerEU: 4
; NumVGPRsForWavesPerEU: 1
; AccumOffset: 4
; Occupancy: 8
; WaveLimiterHint : 0
; COMPUTE_PGM_RSRC2:SCRATCH_EN: 0
; COMPUTE_PGM_RSRC2:USER_SGPR: 6
; COMPUTE_PGM_RSRC2:TRAP_HANDLER: 0
; COMPUTE_PGM_RSRC2:TGID_X_EN: 1
; COMPUTE_PGM_RSRC2:TGID_Y_EN: 0
; COMPUTE_PGM_RSRC2:TGID_Z_EN: 0
; COMPUTE_PGM_RSRC2:TIDIG_COMP_CNT: 0
; COMPUTE_PGM_RSRC3_GFX90A:ACCUM_OFFSET: 0
; COMPUTE_PGM_RSRC3_GFX90A:TG_SPLIT: 0
	.section	.text._ZN7rocprim17ROCPRIM_400000_NS6detail17trampoline_kernelINS0_14default_configENS1_20scan_config_selectorIsEEZZNS1_9scan_implILNS1_25lookback_scan_determinismE0ELb0ELb0ES3_N6thrust23THRUST_200600_302600_NS6detail15normal_iteratorINS9_10device_ptrIsEEEESE_sNS9_4plusIvEEsEEDaPvRmT3_T4_T5_mT6_P12ihipStream_tbENKUlT_T0_E_clISt17integral_constantIbLb0EESU_EEDaSP_SQ_EUlSP_E0_NS1_11comp_targetILNS1_3genE0ELNS1_11target_archE4294967295ELNS1_3gpuE0ELNS1_3repE0EEENS1_30default_config_static_selectorELNS0_4arch9wavefront6targetE1EEEvT1_,"axG",@progbits,_ZN7rocprim17ROCPRIM_400000_NS6detail17trampoline_kernelINS0_14default_configENS1_20scan_config_selectorIsEEZZNS1_9scan_implILNS1_25lookback_scan_determinismE0ELb0ELb0ES3_N6thrust23THRUST_200600_302600_NS6detail15normal_iteratorINS9_10device_ptrIsEEEESE_sNS9_4plusIvEEsEEDaPvRmT3_T4_T5_mT6_P12ihipStream_tbENKUlT_T0_E_clISt17integral_constantIbLb0EESU_EEDaSP_SQ_EUlSP_E0_NS1_11comp_targetILNS1_3genE0ELNS1_11target_archE4294967295ELNS1_3gpuE0ELNS1_3repE0EEENS1_30default_config_static_selectorELNS0_4arch9wavefront6targetE1EEEvT1_,comdat
	.protected	_ZN7rocprim17ROCPRIM_400000_NS6detail17trampoline_kernelINS0_14default_configENS1_20scan_config_selectorIsEEZZNS1_9scan_implILNS1_25lookback_scan_determinismE0ELb0ELb0ES3_N6thrust23THRUST_200600_302600_NS6detail15normal_iteratorINS9_10device_ptrIsEEEESE_sNS9_4plusIvEEsEEDaPvRmT3_T4_T5_mT6_P12ihipStream_tbENKUlT_T0_E_clISt17integral_constantIbLb0EESU_EEDaSP_SQ_EUlSP_E0_NS1_11comp_targetILNS1_3genE0ELNS1_11target_archE4294967295ELNS1_3gpuE0ELNS1_3repE0EEENS1_30default_config_static_selectorELNS0_4arch9wavefront6targetE1EEEvT1_ ; -- Begin function _ZN7rocprim17ROCPRIM_400000_NS6detail17trampoline_kernelINS0_14default_configENS1_20scan_config_selectorIsEEZZNS1_9scan_implILNS1_25lookback_scan_determinismE0ELb0ELb0ES3_N6thrust23THRUST_200600_302600_NS6detail15normal_iteratorINS9_10device_ptrIsEEEESE_sNS9_4plusIvEEsEEDaPvRmT3_T4_T5_mT6_P12ihipStream_tbENKUlT_T0_E_clISt17integral_constantIbLb0EESU_EEDaSP_SQ_EUlSP_E0_NS1_11comp_targetILNS1_3genE0ELNS1_11target_archE4294967295ELNS1_3gpuE0ELNS1_3repE0EEENS1_30default_config_static_selectorELNS0_4arch9wavefront6targetE1EEEvT1_
	.globl	_ZN7rocprim17ROCPRIM_400000_NS6detail17trampoline_kernelINS0_14default_configENS1_20scan_config_selectorIsEEZZNS1_9scan_implILNS1_25lookback_scan_determinismE0ELb0ELb0ES3_N6thrust23THRUST_200600_302600_NS6detail15normal_iteratorINS9_10device_ptrIsEEEESE_sNS9_4plusIvEEsEEDaPvRmT3_T4_T5_mT6_P12ihipStream_tbENKUlT_T0_E_clISt17integral_constantIbLb0EESU_EEDaSP_SQ_EUlSP_E0_NS1_11comp_targetILNS1_3genE0ELNS1_11target_archE4294967295ELNS1_3gpuE0ELNS1_3repE0EEENS1_30default_config_static_selectorELNS0_4arch9wavefront6targetE1EEEvT1_
	.p2align	8
	.type	_ZN7rocprim17ROCPRIM_400000_NS6detail17trampoline_kernelINS0_14default_configENS1_20scan_config_selectorIsEEZZNS1_9scan_implILNS1_25lookback_scan_determinismE0ELb0ELb0ES3_N6thrust23THRUST_200600_302600_NS6detail15normal_iteratorINS9_10device_ptrIsEEEESE_sNS9_4plusIvEEsEEDaPvRmT3_T4_T5_mT6_P12ihipStream_tbENKUlT_T0_E_clISt17integral_constantIbLb0EESU_EEDaSP_SQ_EUlSP_E0_NS1_11comp_targetILNS1_3genE0ELNS1_11target_archE4294967295ELNS1_3gpuE0ELNS1_3repE0EEENS1_30default_config_static_selectorELNS0_4arch9wavefront6targetE1EEEvT1_,@function
_ZN7rocprim17ROCPRIM_400000_NS6detail17trampoline_kernelINS0_14default_configENS1_20scan_config_selectorIsEEZZNS1_9scan_implILNS1_25lookback_scan_determinismE0ELb0ELb0ES3_N6thrust23THRUST_200600_302600_NS6detail15normal_iteratorINS9_10device_ptrIsEEEESE_sNS9_4plusIvEEsEEDaPvRmT3_T4_T5_mT6_P12ihipStream_tbENKUlT_T0_E_clISt17integral_constantIbLb0EESU_EEDaSP_SQ_EUlSP_E0_NS1_11comp_targetILNS1_3genE0ELNS1_11target_archE4294967295ELNS1_3gpuE0ELNS1_3repE0EEENS1_30default_config_static_selectorELNS0_4arch9wavefront6targetE1EEEvT1_: ; @_ZN7rocprim17ROCPRIM_400000_NS6detail17trampoline_kernelINS0_14default_configENS1_20scan_config_selectorIsEEZZNS1_9scan_implILNS1_25lookback_scan_determinismE0ELb0ELb0ES3_N6thrust23THRUST_200600_302600_NS6detail15normal_iteratorINS9_10device_ptrIsEEEESE_sNS9_4plusIvEEsEEDaPvRmT3_T4_T5_mT6_P12ihipStream_tbENKUlT_T0_E_clISt17integral_constantIbLb0EESU_EEDaSP_SQ_EUlSP_E0_NS1_11comp_targetILNS1_3genE0ELNS1_11target_archE4294967295ELNS1_3gpuE0ELNS1_3repE0EEENS1_30default_config_static_selectorELNS0_4arch9wavefront6targetE1EEEvT1_
; %bb.0:
	.section	.rodata,"a",@progbits
	.p2align	6, 0x0
	.amdhsa_kernel _ZN7rocprim17ROCPRIM_400000_NS6detail17trampoline_kernelINS0_14default_configENS1_20scan_config_selectorIsEEZZNS1_9scan_implILNS1_25lookback_scan_determinismE0ELb0ELb0ES3_N6thrust23THRUST_200600_302600_NS6detail15normal_iteratorINS9_10device_ptrIsEEEESE_sNS9_4plusIvEEsEEDaPvRmT3_T4_T5_mT6_P12ihipStream_tbENKUlT_T0_E_clISt17integral_constantIbLb0EESU_EEDaSP_SQ_EUlSP_E0_NS1_11comp_targetILNS1_3genE0ELNS1_11target_archE4294967295ELNS1_3gpuE0ELNS1_3repE0EEENS1_30default_config_static_selectorELNS0_4arch9wavefront6targetE1EEEvT1_
		.amdhsa_group_segment_fixed_size 0
		.amdhsa_private_segment_fixed_size 0
		.amdhsa_kernarg_size 32
		.amdhsa_user_sgpr_count 6
		.amdhsa_user_sgpr_private_segment_buffer 1
		.amdhsa_user_sgpr_dispatch_ptr 0
		.amdhsa_user_sgpr_queue_ptr 0
		.amdhsa_user_sgpr_kernarg_segment_ptr 1
		.amdhsa_user_sgpr_dispatch_id 0
		.amdhsa_user_sgpr_flat_scratch_init 0
		.amdhsa_user_sgpr_kernarg_preload_length 0
		.amdhsa_user_sgpr_kernarg_preload_offset 0
		.amdhsa_user_sgpr_private_segment_size 0
		.amdhsa_uses_dynamic_stack 0
		.amdhsa_system_sgpr_private_segment_wavefront_offset 0
		.amdhsa_system_sgpr_workgroup_id_x 1
		.amdhsa_system_sgpr_workgroup_id_y 0
		.amdhsa_system_sgpr_workgroup_id_z 0
		.amdhsa_system_sgpr_workgroup_info 0
		.amdhsa_system_vgpr_workitem_id 0
		.amdhsa_next_free_vgpr 1
		.amdhsa_next_free_sgpr 0
		.amdhsa_accum_offset 4
		.amdhsa_reserve_vcc 0
		.amdhsa_reserve_flat_scratch 0
		.amdhsa_float_round_mode_32 0
		.amdhsa_float_round_mode_16_64 0
		.amdhsa_float_denorm_mode_32 3
		.amdhsa_float_denorm_mode_16_64 3
		.amdhsa_dx10_clamp 1
		.amdhsa_ieee_mode 1
		.amdhsa_fp16_overflow 0
		.amdhsa_tg_split 0
		.amdhsa_exception_fp_ieee_invalid_op 0
		.amdhsa_exception_fp_denorm_src 0
		.amdhsa_exception_fp_ieee_div_zero 0
		.amdhsa_exception_fp_ieee_overflow 0
		.amdhsa_exception_fp_ieee_underflow 0
		.amdhsa_exception_fp_ieee_inexact 0
		.amdhsa_exception_int_div_zero 0
	.end_amdhsa_kernel
	.section	.text._ZN7rocprim17ROCPRIM_400000_NS6detail17trampoline_kernelINS0_14default_configENS1_20scan_config_selectorIsEEZZNS1_9scan_implILNS1_25lookback_scan_determinismE0ELb0ELb0ES3_N6thrust23THRUST_200600_302600_NS6detail15normal_iteratorINS9_10device_ptrIsEEEESE_sNS9_4plusIvEEsEEDaPvRmT3_T4_T5_mT6_P12ihipStream_tbENKUlT_T0_E_clISt17integral_constantIbLb0EESU_EEDaSP_SQ_EUlSP_E0_NS1_11comp_targetILNS1_3genE0ELNS1_11target_archE4294967295ELNS1_3gpuE0ELNS1_3repE0EEENS1_30default_config_static_selectorELNS0_4arch9wavefront6targetE1EEEvT1_,"axG",@progbits,_ZN7rocprim17ROCPRIM_400000_NS6detail17trampoline_kernelINS0_14default_configENS1_20scan_config_selectorIsEEZZNS1_9scan_implILNS1_25lookback_scan_determinismE0ELb0ELb0ES3_N6thrust23THRUST_200600_302600_NS6detail15normal_iteratorINS9_10device_ptrIsEEEESE_sNS9_4plusIvEEsEEDaPvRmT3_T4_T5_mT6_P12ihipStream_tbENKUlT_T0_E_clISt17integral_constantIbLb0EESU_EEDaSP_SQ_EUlSP_E0_NS1_11comp_targetILNS1_3genE0ELNS1_11target_archE4294967295ELNS1_3gpuE0ELNS1_3repE0EEENS1_30default_config_static_selectorELNS0_4arch9wavefront6targetE1EEEvT1_,comdat
.Lfunc_end895:
	.size	_ZN7rocprim17ROCPRIM_400000_NS6detail17trampoline_kernelINS0_14default_configENS1_20scan_config_selectorIsEEZZNS1_9scan_implILNS1_25lookback_scan_determinismE0ELb0ELb0ES3_N6thrust23THRUST_200600_302600_NS6detail15normal_iteratorINS9_10device_ptrIsEEEESE_sNS9_4plusIvEEsEEDaPvRmT3_T4_T5_mT6_P12ihipStream_tbENKUlT_T0_E_clISt17integral_constantIbLb0EESU_EEDaSP_SQ_EUlSP_E0_NS1_11comp_targetILNS1_3genE0ELNS1_11target_archE4294967295ELNS1_3gpuE0ELNS1_3repE0EEENS1_30default_config_static_selectorELNS0_4arch9wavefront6targetE1EEEvT1_, .Lfunc_end895-_ZN7rocprim17ROCPRIM_400000_NS6detail17trampoline_kernelINS0_14default_configENS1_20scan_config_selectorIsEEZZNS1_9scan_implILNS1_25lookback_scan_determinismE0ELb0ELb0ES3_N6thrust23THRUST_200600_302600_NS6detail15normal_iteratorINS9_10device_ptrIsEEEESE_sNS9_4plusIvEEsEEDaPvRmT3_T4_T5_mT6_P12ihipStream_tbENKUlT_T0_E_clISt17integral_constantIbLb0EESU_EEDaSP_SQ_EUlSP_E0_NS1_11comp_targetILNS1_3genE0ELNS1_11target_archE4294967295ELNS1_3gpuE0ELNS1_3repE0EEENS1_30default_config_static_selectorELNS0_4arch9wavefront6targetE1EEEvT1_
                                        ; -- End function
	.section	.AMDGPU.csdata,"",@progbits
; Kernel info:
; codeLenInByte = 0
; NumSgprs: 4
; NumVgprs: 0
; NumAgprs: 0
; TotalNumVgprs: 0
; ScratchSize: 0
; MemoryBound: 0
; FloatMode: 240
; IeeeMode: 1
; LDSByteSize: 0 bytes/workgroup (compile time only)
; SGPRBlocks: 0
; VGPRBlocks: 0
; NumSGPRsForWavesPerEU: 4
; NumVGPRsForWavesPerEU: 1
; AccumOffset: 4
; Occupancy: 8
; WaveLimiterHint : 0
; COMPUTE_PGM_RSRC2:SCRATCH_EN: 0
; COMPUTE_PGM_RSRC2:USER_SGPR: 6
; COMPUTE_PGM_RSRC2:TRAP_HANDLER: 0
; COMPUTE_PGM_RSRC2:TGID_X_EN: 1
; COMPUTE_PGM_RSRC2:TGID_Y_EN: 0
; COMPUTE_PGM_RSRC2:TGID_Z_EN: 0
; COMPUTE_PGM_RSRC2:TIDIG_COMP_CNT: 0
; COMPUTE_PGM_RSRC3_GFX90A:ACCUM_OFFSET: 0
; COMPUTE_PGM_RSRC3_GFX90A:TG_SPLIT: 0
	.section	.text._ZN7rocprim17ROCPRIM_400000_NS6detail17trampoline_kernelINS0_14default_configENS1_20scan_config_selectorIsEEZZNS1_9scan_implILNS1_25lookback_scan_determinismE0ELb0ELb0ES3_N6thrust23THRUST_200600_302600_NS6detail15normal_iteratorINS9_10device_ptrIsEEEESE_sNS9_4plusIvEEsEEDaPvRmT3_T4_T5_mT6_P12ihipStream_tbENKUlT_T0_E_clISt17integral_constantIbLb0EESU_EEDaSP_SQ_EUlSP_E0_NS1_11comp_targetILNS1_3genE5ELNS1_11target_archE942ELNS1_3gpuE9ELNS1_3repE0EEENS1_30default_config_static_selectorELNS0_4arch9wavefront6targetE1EEEvT1_,"axG",@progbits,_ZN7rocprim17ROCPRIM_400000_NS6detail17trampoline_kernelINS0_14default_configENS1_20scan_config_selectorIsEEZZNS1_9scan_implILNS1_25lookback_scan_determinismE0ELb0ELb0ES3_N6thrust23THRUST_200600_302600_NS6detail15normal_iteratorINS9_10device_ptrIsEEEESE_sNS9_4plusIvEEsEEDaPvRmT3_T4_T5_mT6_P12ihipStream_tbENKUlT_T0_E_clISt17integral_constantIbLb0EESU_EEDaSP_SQ_EUlSP_E0_NS1_11comp_targetILNS1_3genE5ELNS1_11target_archE942ELNS1_3gpuE9ELNS1_3repE0EEENS1_30default_config_static_selectorELNS0_4arch9wavefront6targetE1EEEvT1_,comdat
	.protected	_ZN7rocprim17ROCPRIM_400000_NS6detail17trampoline_kernelINS0_14default_configENS1_20scan_config_selectorIsEEZZNS1_9scan_implILNS1_25lookback_scan_determinismE0ELb0ELb0ES3_N6thrust23THRUST_200600_302600_NS6detail15normal_iteratorINS9_10device_ptrIsEEEESE_sNS9_4plusIvEEsEEDaPvRmT3_T4_T5_mT6_P12ihipStream_tbENKUlT_T0_E_clISt17integral_constantIbLb0EESU_EEDaSP_SQ_EUlSP_E0_NS1_11comp_targetILNS1_3genE5ELNS1_11target_archE942ELNS1_3gpuE9ELNS1_3repE0EEENS1_30default_config_static_selectorELNS0_4arch9wavefront6targetE1EEEvT1_ ; -- Begin function _ZN7rocprim17ROCPRIM_400000_NS6detail17trampoline_kernelINS0_14default_configENS1_20scan_config_selectorIsEEZZNS1_9scan_implILNS1_25lookback_scan_determinismE0ELb0ELb0ES3_N6thrust23THRUST_200600_302600_NS6detail15normal_iteratorINS9_10device_ptrIsEEEESE_sNS9_4plusIvEEsEEDaPvRmT3_T4_T5_mT6_P12ihipStream_tbENKUlT_T0_E_clISt17integral_constantIbLb0EESU_EEDaSP_SQ_EUlSP_E0_NS1_11comp_targetILNS1_3genE5ELNS1_11target_archE942ELNS1_3gpuE9ELNS1_3repE0EEENS1_30default_config_static_selectorELNS0_4arch9wavefront6targetE1EEEvT1_
	.globl	_ZN7rocprim17ROCPRIM_400000_NS6detail17trampoline_kernelINS0_14default_configENS1_20scan_config_selectorIsEEZZNS1_9scan_implILNS1_25lookback_scan_determinismE0ELb0ELb0ES3_N6thrust23THRUST_200600_302600_NS6detail15normal_iteratorINS9_10device_ptrIsEEEESE_sNS9_4plusIvEEsEEDaPvRmT3_T4_T5_mT6_P12ihipStream_tbENKUlT_T0_E_clISt17integral_constantIbLb0EESU_EEDaSP_SQ_EUlSP_E0_NS1_11comp_targetILNS1_3genE5ELNS1_11target_archE942ELNS1_3gpuE9ELNS1_3repE0EEENS1_30default_config_static_selectorELNS0_4arch9wavefront6targetE1EEEvT1_
	.p2align	8
	.type	_ZN7rocprim17ROCPRIM_400000_NS6detail17trampoline_kernelINS0_14default_configENS1_20scan_config_selectorIsEEZZNS1_9scan_implILNS1_25lookback_scan_determinismE0ELb0ELb0ES3_N6thrust23THRUST_200600_302600_NS6detail15normal_iteratorINS9_10device_ptrIsEEEESE_sNS9_4plusIvEEsEEDaPvRmT3_T4_T5_mT6_P12ihipStream_tbENKUlT_T0_E_clISt17integral_constantIbLb0EESU_EEDaSP_SQ_EUlSP_E0_NS1_11comp_targetILNS1_3genE5ELNS1_11target_archE942ELNS1_3gpuE9ELNS1_3repE0EEENS1_30default_config_static_selectorELNS0_4arch9wavefront6targetE1EEEvT1_,@function
_ZN7rocprim17ROCPRIM_400000_NS6detail17trampoline_kernelINS0_14default_configENS1_20scan_config_selectorIsEEZZNS1_9scan_implILNS1_25lookback_scan_determinismE0ELb0ELb0ES3_N6thrust23THRUST_200600_302600_NS6detail15normal_iteratorINS9_10device_ptrIsEEEESE_sNS9_4plusIvEEsEEDaPvRmT3_T4_T5_mT6_P12ihipStream_tbENKUlT_T0_E_clISt17integral_constantIbLb0EESU_EEDaSP_SQ_EUlSP_E0_NS1_11comp_targetILNS1_3genE5ELNS1_11target_archE942ELNS1_3gpuE9ELNS1_3repE0EEENS1_30default_config_static_selectorELNS0_4arch9wavefront6targetE1EEEvT1_: ; @_ZN7rocprim17ROCPRIM_400000_NS6detail17trampoline_kernelINS0_14default_configENS1_20scan_config_selectorIsEEZZNS1_9scan_implILNS1_25lookback_scan_determinismE0ELb0ELb0ES3_N6thrust23THRUST_200600_302600_NS6detail15normal_iteratorINS9_10device_ptrIsEEEESE_sNS9_4plusIvEEsEEDaPvRmT3_T4_T5_mT6_P12ihipStream_tbENKUlT_T0_E_clISt17integral_constantIbLb0EESU_EEDaSP_SQ_EUlSP_E0_NS1_11comp_targetILNS1_3genE5ELNS1_11target_archE942ELNS1_3gpuE9ELNS1_3repE0EEENS1_30default_config_static_selectorELNS0_4arch9wavefront6targetE1EEEvT1_
; %bb.0:
	.section	.rodata,"a",@progbits
	.p2align	6, 0x0
	.amdhsa_kernel _ZN7rocprim17ROCPRIM_400000_NS6detail17trampoline_kernelINS0_14default_configENS1_20scan_config_selectorIsEEZZNS1_9scan_implILNS1_25lookback_scan_determinismE0ELb0ELb0ES3_N6thrust23THRUST_200600_302600_NS6detail15normal_iteratorINS9_10device_ptrIsEEEESE_sNS9_4plusIvEEsEEDaPvRmT3_T4_T5_mT6_P12ihipStream_tbENKUlT_T0_E_clISt17integral_constantIbLb0EESU_EEDaSP_SQ_EUlSP_E0_NS1_11comp_targetILNS1_3genE5ELNS1_11target_archE942ELNS1_3gpuE9ELNS1_3repE0EEENS1_30default_config_static_selectorELNS0_4arch9wavefront6targetE1EEEvT1_
		.amdhsa_group_segment_fixed_size 0
		.amdhsa_private_segment_fixed_size 0
		.amdhsa_kernarg_size 32
		.amdhsa_user_sgpr_count 6
		.amdhsa_user_sgpr_private_segment_buffer 1
		.amdhsa_user_sgpr_dispatch_ptr 0
		.amdhsa_user_sgpr_queue_ptr 0
		.amdhsa_user_sgpr_kernarg_segment_ptr 1
		.amdhsa_user_sgpr_dispatch_id 0
		.amdhsa_user_sgpr_flat_scratch_init 0
		.amdhsa_user_sgpr_kernarg_preload_length 0
		.amdhsa_user_sgpr_kernarg_preload_offset 0
		.amdhsa_user_sgpr_private_segment_size 0
		.amdhsa_uses_dynamic_stack 0
		.amdhsa_system_sgpr_private_segment_wavefront_offset 0
		.amdhsa_system_sgpr_workgroup_id_x 1
		.amdhsa_system_sgpr_workgroup_id_y 0
		.amdhsa_system_sgpr_workgroup_id_z 0
		.amdhsa_system_sgpr_workgroup_info 0
		.amdhsa_system_vgpr_workitem_id 0
		.amdhsa_next_free_vgpr 1
		.amdhsa_next_free_sgpr 0
		.amdhsa_accum_offset 4
		.amdhsa_reserve_vcc 0
		.amdhsa_reserve_flat_scratch 0
		.amdhsa_float_round_mode_32 0
		.amdhsa_float_round_mode_16_64 0
		.amdhsa_float_denorm_mode_32 3
		.amdhsa_float_denorm_mode_16_64 3
		.amdhsa_dx10_clamp 1
		.amdhsa_ieee_mode 1
		.amdhsa_fp16_overflow 0
		.amdhsa_tg_split 0
		.amdhsa_exception_fp_ieee_invalid_op 0
		.amdhsa_exception_fp_denorm_src 0
		.amdhsa_exception_fp_ieee_div_zero 0
		.amdhsa_exception_fp_ieee_overflow 0
		.amdhsa_exception_fp_ieee_underflow 0
		.amdhsa_exception_fp_ieee_inexact 0
		.amdhsa_exception_int_div_zero 0
	.end_amdhsa_kernel
	.section	.text._ZN7rocprim17ROCPRIM_400000_NS6detail17trampoline_kernelINS0_14default_configENS1_20scan_config_selectorIsEEZZNS1_9scan_implILNS1_25lookback_scan_determinismE0ELb0ELb0ES3_N6thrust23THRUST_200600_302600_NS6detail15normal_iteratorINS9_10device_ptrIsEEEESE_sNS9_4plusIvEEsEEDaPvRmT3_T4_T5_mT6_P12ihipStream_tbENKUlT_T0_E_clISt17integral_constantIbLb0EESU_EEDaSP_SQ_EUlSP_E0_NS1_11comp_targetILNS1_3genE5ELNS1_11target_archE942ELNS1_3gpuE9ELNS1_3repE0EEENS1_30default_config_static_selectorELNS0_4arch9wavefront6targetE1EEEvT1_,"axG",@progbits,_ZN7rocprim17ROCPRIM_400000_NS6detail17trampoline_kernelINS0_14default_configENS1_20scan_config_selectorIsEEZZNS1_9scan_implILNS1_25lookback_scan_determinismE0ELb0ELb0ES3_N6thrust23THRUST_200600_302600_NS6detail15normal_iteratorINS9_10device_ptrIsEEEESE_sNS9_4plusIvEEsEEDaPvRmT3_T4_T5_mT6_P12ihipStream_tbENKUlT_T0_E_clISt17integral_constantIbLb0EESU_EEDaSP_SQ_EUlSP_E0_NS1_11comp_targetILNS1_3genE5ELNS1_11target_archE942ELNS1_3gpuE9ELNS1_3repE0EEENS1_30default_config_static_selectorELNS0_4arch9wavefront6targetE1EEEvT1_,comdat
.Lfunc_end896:
	.size	_ZN7rocprim17ROCPRIM_400000_NS6detail17trampoline_kernelINS0_14default_configENS1_20scan_config_selectorIsEEZZNS1_9scan_implILNS1_25lookback_scan_determinismE0ELb0ELb0ES3_N6thrust23THRUST_200600_302600_NS6detail15normal_iteratorINS9_10device_ptrIsEEEESE_sNS9_4plusIvEEsEEDaPvRmT3_T4_T5_mT6_P12ihipStream_tbENKUlT_T0_E_clISt17integral_constantIbLb0EESU_EEDaSP_SQ_EUlSP_E0_NS1_11comp_targetILNS1_3genE5ELNS1_11target_archE942ELNS1_3gpuE9ELNS1_3repE0EEENS1_30default_config_static_selectorELNS0_4arch9wavefront6targetE1EEEvT1_, .Lfunc_end896-_ZN7rocprim17ROCPRIM_400000_NS6detail17trampoline_kernelINS0_14default_configENS1_20scan_config_selectorIsEEZZNS1_9scan_implILNS1_25lookback_scan_determinismE0ELb0ELb0ES3_N6thrust23THRUST_200600_302600_NS6detail15normal_iteratorINS9_10device_ptrIsEEEESE_sNS9_4plusIvEEsEEDaPvRmT3_T4_T5_mT6_P12ihipStream_tbENKUlT_T0_E_clISt17integral_constantIbLb0EESU_EEDaSP_SQ_EUlSP_E0_NS1_11comp_targetILNS1_3genE5ELNS1_11target_archE942ELNS1_3gpuE9ELNS1_3repE0EEENS1_30default_config_static_selectorELNS0_4arch9wavefront6targetE1EEEvT1_
                                        ; -- End function
	.section	.AMDGPU.csdata,"",@progbits
; Kernel info:
; codeLenInByte = 0
; NumSgprs: 4
; NumVgprs: 0
; NumAgprs: 0
; TotalNumVgprs: 0
; ScratchSize: 0
; MemoryBound: 0
; FloatMode: 240
; IeeeMode: 1
; LDSByteSize: 0 bytes/workgroup (compile time only)
; SGPRBlocks: 0
; VGPRBlocks: 0
; NumSGPRsForWavesPerEU: 4
; NumVGPRsForWavesPerEU: 1
; AccumOffset: 4
; Occupancy: 8
; WaveLimiterHint : 0
; COMPUTE_PGM_RSRC2:SCRATCH_EN: 0
; COMPUTE_PGM_RSRC2:USER_SGPR: 6
; COMPUTE_PGM_RSRC2:TRAP_HANDLER: 0
; COMPUTE_PGM_RSRC2:TGID_X_EN: 1
; COMPUTE_PGM_RSRC2:TGID_Y_EN: 0
; COMPUTE_PGM_RSRC2:TGID_Z_EN: 0
; COMPUTE_PGM_RSRC2:TIDIG_COMP_CNT: 0
; COMPUTE_PGM_RSRC3_GFX90A:ACCUM_OFFSET: 0
; COMPUTE_PGM_RSRC3_GFX90A:TG_SPLIT: 0
	.section	.text._ZN7rocprim17ROCPRIM_400000_NS6detail17trampoline_kernelINS0_14default_configENS1_20scan_config_selectorIsEEZZNS1_9scan_implILNS1_25lookback_scan_determinismE0ELb0ELb0ES3_N6thrust23THRUST_200600_302600_NS6detail15normal_iteratorINS9_10device_ptrIsEEEESE_sNS9_4plusIvEEsEEDaPvRmT3_T4_T5_mT6_P12ihipStream_tbENKUlT_T0_E_clISt17integral_constantIbLb0EESU_EEDaSP_SQ_EUlSP_E0_NS1_11comp_targetILNS1_3genE4ELNS1_11target_archE910ELNS1_3gpuE8ELNS1_3repE0EEENS1_30default_config_static_selectorELNS0_4arch9wavefront6targetE1EEEvT1_,"axG",@progbits,_ZN7rocprim17ROCPRIM_400000_NS6detail17trampoline_kernelINS0_14default_configENS1_20scan_config_selectorIsEEZZNS1_9scan_implILNS1_25lookback_scan_determinismE0ELb0ELb0ES3_N6thrust23THRUST_200600_302600_NS6detail15normal_iteratorINS9_10device_ptrIsEEEESE_sNS9_4plusIvEEsEEDaPvRmT3_T4_T5_mT6_P12ihipStream_tbENKUlT_T0_E_clISt17integral_constantIbLb0EESU_EEDaSP_SQ_EUlSP_E0_NS1_11comp_targetILNS1_3genE4ELNS1_11target_archE910ELNS1_3gpuE8ELNS1_3repE0EEENS1_30default_config_static_selectorELNS0_4arch9wavefront6targetE1EEEvT1_,comdat
	.protected	_ZN7rocprim17ROCPRIM_400000_NS6detail17trampoline_kernelINS0_14default_configENS1_20scan_config_selectorIsEEZZNS1_9scan_implILNS1_25lookback_scan_determinismE0ELb0ELb0ES3_N6thrust23THRUST_200600_302600_NS6detail15normal_iteratorINS9_10device_ptrIsEEEESE_sNS9_4plusIvEEsEEDaPvRmT3_T4_T5_mT6_P12ihipStream_tbENKUlT_T0_E_clISt17integral_constantIbLb0EESU_EEDaSP_SQ_EUlSP_E0_NS1_11comp_targetILNS1_3genE4ELNS1_11target_archE910ELNS1_3gpuE8ELNS1_3repE0EEENS1_30default_config_static_selectorELNS0_4arch9wavefront6targetE1EEEvT1_ ; -- Begin function _ZN7rocprim17ROCPRIM_400000_NS6detail17trampoline_kernelINS0_14default_configENS1_20scan_config_selectorIsEEZZNS1_9scan_implILNS1_25lookback_scan_determinismE0ELb0ELb0ES3_N6thrust23THRUST_200600_302600_NS6detail15normal_iteratorINS9_10device_ptrIsEEEESE_sNS9_4plusIvEEsEEDaPvRmT3_T4_T5_mT6_P12ihipStream_tbENKUlT_T0_E_clISt17integral_constantIbLb0EESU_EEDaSP_SQ_EUlSP_E0_NS1_11comp_targetILNS1_3genE4ELNS1_11target_archE910ELNS1_3gpuE8ELNS1_3repE0EEENS1_30default_config_static_selectorELNS0_4arch9wavefront6targetE1EEEvT1_
	.globl	_ZN7rocprim17ROCPRIM_400000_NS6detail17trampoline_kernelINS0_14default_configENS1_20scan_config_selectorIsEEZZNS1_9scan_implILNS1_25lookback_scan_determinismE0ELb0ELb0ES3_N6thrust23THRUST_200600_302600_NS6detail15normal_iteratorINS9_10device_ptrIsEEEESE_sNS9_4plusIvEEsEEDaPvRmT3_T4_T5_mT6_P12ihipStream_tbENKUlT_T0_E_clISt17integral_constantIbLb0EESU_EEDaSP_SQ_EUlSP_E0_NS1_11comp_targetILNS1_3genE4ELNS1_11target_archE910ELNS1_3gpuE8ELNS1_3repE0EEENS1_30default_config_static_selectorELNS0_4arch9wavefront6targetE1EEEvT1_
	.p2align	8
	.type	_ZN7rocprim17ROCPRIM_400000_NS6detail17trampoline_kernelINS0_14default_configENS1_20scan_config_selectorIsEEZZNS1_9scan_implILNS1_25lookback_scan_determinismE0ELb0ELb0ES3_N6thrust23THRUST_200600_302600_NS6detail15normal_iteratorINS9_10device_ptrIsEEEESE_sNS9_4plusIvEEsEEDaPvRmT3_T4_T5_mT6_P12ihipStream_tbENKUlT_T0_E_clISt17integral_constantIbLb0EESU_EEDaSP_SQ_EUlSP_E0_NS1_11comp_targetILNS1_3genE4ELNS1_11target_archE910ELNS1_3gpuE8ELNS1_3repE0EEENS1_30default_config_static_selectorELNS0_4arch9wavefront6targetE1EEEvT1_,@function
_ZN7rocprim17ROCPRIM_400000_NS6detail17trampoline_kernelINS0_14default_configENS1_20scan_config_selectorIsEEZZNS1_9scan_implILNS1_25lookback_scan_determinismE0ELb0ELb0ES3_N6thrust23THRUST_200600_302600_NS6detail15normal_iteratorINS9_10device_ptrIsEEEESE_sNS9_4plusIvEEsEEDaPvRmT3_T4_T5_mT6_P12ihipStream_tbENKUlT_T0_E_clISt17integral_constantIbLb0EESU_EEDaSP_SQ_EUlSP_E0_NS1_11comp_targetILNS1_3genE4ELNS1_11target_archE910ELNS1_3gpuE8ELNS1_3repE0EEENS1_30default_config_static_selectorELNS0_4arch9wavefront6targetE1EEEvT1_: ; @_ZN7rocprim17ROCPRIM_400000_NS6detail17trampoline_kernelINS0_14default_configENS1_20scan_config_selectorIsEEZZNS1_9scan_implILNS1_25lookback_scan_determinismE0ELb0ELb0ES3_N6thrust23THRUST_200600_302600_NS6detail15normal_iteratorINS9_10device_ptrIsEEEESE_sNS9_4plusIvEEsEEDaPvRmT3_T4_T5_mT6_P12ihipStream_tbENKUlT_T0_E_clISt17integral_constantIbLb0EESU_EEDaSP_SQ_EUlSP_E0_NS1_11comp_targetILNS1_3genE4ELNS1_11target_archE910ELNS1_3gpuE8ELNS1_3repE0EEENS1_30default_config_static_selectorELNS0_4arch9wavefront6targetE1EEEvT1_
; %bb.0:
	s_load_dwordx4 s[52:55], s[4:5], 0x0
	v_mov_b32_e32 v1, 0
	v_lshlrev_b32_e32 v14, 1, v0
	s_waitcnt lgkmcnt(0)
	global_load_ushort v2, v1, s[52:53]
	v_cmp_gt_u32_e32 vcc, s54, v0
	s_waitcnt vmcnt(0)
	v_mov_b32_e32 v3, v2
	s_and_saveexec_b64 s[0:1], vcc
	s_cbranch_execz .LBB897_2
; %bb.1:
	global_load_ushort v3, v14, s[52:53]
.LBB897_2:
	s_or_b64 exec, exec, s[0:1]
	v_or_b32_e32 v1, 64, v0
	v_cmp_gt_u32_e64 s[0:1], s54, v1
	v_mov_b32_e32 v4, v2
	s_and_saveexec_b64 s[2:3], s[0:1]
	s_cbranch_execz .LBB897_4
; %bb.3:
	global_load_ushort v4, v14, s[52:53] offset:128
.LBB897_4:
	s_or_b64 exec, exec, s[2:3]
	v_or_b32_e32 v1, 0x80, v0
	v_cmp_gt_u32_e64 s[2:3], s54, v1
	v_mov_b32_e32 v5, v2
	s_and_saveexec_b64 s[6:7], s[2:3]
	s_cbranch_execz .LBB897_6
; %bb.5:
	global_load_ushort v5, v14, s[52:53] offset:256
.LBB897_6:
	;; [unrolled: 9-line block ×22, first 2 shown]
	s_or_b64 exec, exec, s[46:47]
	v_or_b32_e32 v1, 0x5c0, v0
	v_cmp_gt_u32_e64 s[46:47], s54, v1
	v_cmp_le_u32_e64 s[50:51], s54, v1
	s_and_saveexec_b64 s[54:55], s[50:51]
	s_xor_b64 s[50:51], exec, s[54:55]
; %bb.47:
	v_mov_b32_e32 v1, 0
; %bb.48:
	s_andn2_saveexec_b64 s[50:51], s[50:51]
	s_cbranch_execz .LBB897_50
; %bb.49:
	global_load_ushort v2, v14, s[52:53] offset:2944
	v_mov_b32_e32 v1, 0
.LBB897_50:
	s_or_b64 exec, exec, s[50:51]
	s_waitcnt vmcnt(0)
	ds_write_b16 v14, v3
	ds_write_b16 v14, v4 offset:128
	ds_write_b16 v14, v5 offset:256
	;; [unrolled: 1-line block ×23, first 2 shown]
	v_mad_u32_u24 v6, v0, 46, v14
	s_waitcnt lgkmcnt(0)
	; wave barrier
	s_waitcnt lgkmcnt(0)
	ds_read_b128 v[2:5], v6
	ds_read_b128 v[10:13], v6 offset:16
	ds_read_b128 v[6:9], v6 offset:32
	v_mbcnt_lo_u32_b32 v38, -1, 0
	v_mbcnt_hi_u32_b32 v38, -1, v38
	s_waitcnt lgkmcnt(2)
	v_add_u16_sdwa v15, v2, v2 dst_sel:DWORD dst_unused:UNUSED_PAD src0_sel:WORD_1 src1_sel:DWORD
	v_add_u16_e32 v16, v15, v3
	v_add_u16_sdwa v18, v16, v3 dst_sel:DWORD dst_unused:UNUSED_PAD src0_sel:DWORD src1_sel:WORD_1
	v_add_u16_e32 v20, v18, v4
	v_add_u16_sdwa v22, v20, v4 dst_sel:DWORD dst_unused:UNUSED_PAD src0_sel:DWORD src1_sel:WORD_1
	;; [unrolled: 2-line block ×3, first 2 shown]
	s_waitcnt lgkmcnt(1)
	v_add_u16_e32 v17, v28, v10
	v_add_u16_sdwa v19, v17, v10 dst_sel:DWORD dst_unused:UNUSED_PAD src0_sel:DWORD src1_sel:WORD_1
	v_add_u16_e32 v21, v19, v11
	v_add_u16_sdwa v24, v21, v11 dst_sel:DWORD dst_unused:UNUSED_PAD src0_sel:DWORD src1_sel:WORD_1
	;; [unrolled: 2-line block ×4, first 2 shown]
	s_waitcnt lgkmcnt(0)
	v_add_u16_e32 v23, v34, v6
	v_add_u16_sdwa v26, v23, v6 dst_sel:DWORD dst_unused:UNUSED_PAD src0_sel:DWORD src1_sel:WORD_1
	v_add_u16_e32 v29, v26, v7
	v_add_u16_sdwa v31, v29, v7 dst_sel:DWORD dst_unused:UNUSED_PAD src0_sel:DWORD src1_sel:WORD_1
	;; [unrolled: 2-line block ×4, first 2 shown]
	v_and_b32_e32 v39, 15, v38
	s_load_dwordx2 s[50:51], s[4:5], 0x18
	v_mov_b32_dpp v40, v37 row_shr:1 row_mask:0xf bank_mask:0xf
	v_cmp_ne_u32_e64 s[4:5], 0, v39
	v_cndmask_b32_e64 v40, 0, v40, s[4:5]
	v_add_u16_e32 v40, v40, v37
	v_cmp_lt_u32_e64 s[4:5], 1, v39
	s_waitcnt lgkmcnt(0)
	v_mov_b32_dpp v41, v40 row_shr:2 row_mask:0xf bank_mask:0xf
	v_cndmask_b32_e64 v41, 0, v41, s[4:5]
	v_add_u16_e32 v40, v40, v41
	v_cmp_lt_u32_e64 s[4:5], 3, v39
	; wave barrier
	s_nop 0
	v_mov_b32_dpp v41, v40 row_shr:4 row_mask:0xf bank_mask:0xf
	v_cndmask_b32_e64 v41, 0, v41, s[4:5]
	v_add_u16_e32 v40, v40, v41
	v_cmp_lt_u32_e64 s[4:5], 7, v39
	s_nop 0
	v_mov_b32_dpp v41, v40 row_shr:8 row_mask:0xf bank_mask:0xf
	v_cndmask_b32_e64 v39, 0, v41, s[4:5]
	v_add_u16_e32 v39, v40, v39
	v_and_b32_e32 v41, 16, v38
	v_cmp_ne_u32_e64 s[4:5], 0, v41
	v_mov_b32_dpp v40, v39 row_bcast:15 row_mask:0xf bank_mask:0xf
	v_cndmask_b32_e64 v40, 0, v40, s[4:5]
	v_add_u16_e32 v39, v39, v40
	v_cmp_lt_u32_e64 s[4:5], 31, v38
	s_nop 0
	v_mov_b32_dpp v40, v39 row_bcast:31 row_mask:0xf bank_mask:0xf
	v_cndmask_b32_e64 v40, 0, v40, s[4:5]
	v_add_u16_e32 v39, v39, v40
	v_cmp_eq_u32_e64 s[4:5], 63, v0
	s_and_saveexec_b64 s[52:53], s[4:5]
	s_cbranch_execz .LBB897_52
; %bb.51:
	v_mov_b32_e32 v40, 0
	ds_write_b16 v40, v39
.LBB897_52:
	s_or_b64 exec, exec, s[52:53]
	v_add_u32_e32 v40, -1, v38
	v_and_b32_e32 v41, 64, v38
	v_cmp_lt_i32_e64 s[4:5], v40, v41
	v_cndmask_b32_e64 v38, v40, v38, s[4:5]
	v_lshlrev_b32_e32 v38, 2, v38
	ds_bpermute_b32 v39, v38, v39
	v_mul_u32_u24_e32 v38, 46, v0
	v_cmp_ne_u32_e64 s[4:5], 0, v0
	s_waitcnt lgkmcnt(0)
	; wave barrier
	s_waitcnt lgkmcnt(0)
	s_and_saveexec_b64 s[52:53], s[4:5]
	s_cbranch_execz .LBB897_54
; %bb.53:
	v_add_u16_e32 v39, v2, v39
	v_add_u16_sdwa v15, v39, v2 dst_sel:DWORD dst_unused:UNUSED_PAD src0_sel:DWORD src1_sel:WORD_1
	v_add_u16_e32 v16, v15, v3
	v_add_u16_sdwa v18, v16, v3 dst_sel:DWORD dst_unused:UNUSED_PAD src0_sel:DWORD src1_sel:WORD_1
	;; [unrolled: 2-line block ×12, first 2 shown]
	v_mov_b32_e32 v2, v39
	;;#ASMSTART
	;;#ASMEND
.LBB897_54:
	s_or_b64 exec, exec, s[52:53]
	s_mov_b32 s4, 0x5040100
	v_add_u32_e32 v6, v14, v38
	v_perm_b32 v5, v28, v25, s4
	v_perm_b32 v4, v22, v20, s4
	;; [unrolled: 1-line block ×4, first 2 shown]
	s_waitcnt lgkmcnt(0)
	; wave barrier
	ds_write_b128 v6, v[2:5]
	v_perm_b32 v5, v34, v32, s4
	v_perm_b32 v4, v30, v27, s4
	;; [unrolled: 1-line block ×4, first 2 shown]
	ds_write_b128 v6, v[2:5] offset:16
	v_perm_b32 v5, v37, v36, s4
	v_perm_b32 v4, v35, v33, s4
	v_perm_b32 v3, v31, v29, s4
	v_perm_b32 v2, v26, v23, s4
	ds_write_b128 v6, v[2:5] offset:32
	s_waitcnt lgkmcnt(0)
	; wave barrier
	s_waitcnt lgkmcnt(0)
	ds_read_u16 v25, v14 offset:128
	ds_read_u16 v24, v14 offset:256
	ds_read_u16 v23, v14 offset:384
	ds_read_u16 v22, v14 offset:512
	ds_read_u16 v21, v14 offset:640
	ds_read_u16 v20, v14 offset:768
	ds_read_u16 v19, v14 offset:896
	ds_read_u16 v18, v14 offset:1024
	ds_read_u16 v17, v14 offset:1152
	ds_read_u16 v16, v14 offset:1280
	ds_read_u16 v15, v14 offset:1408
	ds_read_u16 v13, v14 offset:1536
	ds_read_u16 v12, v14 offset:1664
	ds_read_u16 v11, v14 offset:1792
	ds_read_u16 v10, v14 offset:1920
	ds_read_u16 v9, v14 offset:2048
	ds_read_u16 v8, v14 offset:2176
	ds_read_u16 v7, v14 offset:2304
	ds_read_u16 v6, v14 offset:2432
	ds_read_u16 v5, v14 offset:2560
	ds_read_u16 v4, v14 offset:2688
	ds_read_u16 v3, v14 offset:2816
	ds_read_u16 v2, v14 offset:2944
	v_lshlrev_b64 v[0:1], 1, v[0:1]
	v_mov_b32_e32 v26, s51
	v_add_co_u32_e64 v0, s[4:5], s50, v0
	v_addc_co_u32_e64 v1, s[4:5], v26, v1, s[4:5]
	s_and_saveexec_b64 s[4:5], vcc
	s_cbranch_execnz .LBB897_79
; %bb.55:
	s_or_b64 exec, exec, s[4:5]
	s_and_saveexec_b64 s[4:5], s[0:1]
	s_cbranch_execnz .LBB897_80
.LBB897_56:
	s_or_b64 exec, exec, s[4:5]
	s_and_saveexec_b64 s[0:1], s[2:3]
	s_cbranch_execnz .LBB897_81
.LBB897_57:
	s_or_b64 exec, exec, s[0:1]
	s_and_saveexec_b64 s[0:1], s[48:49]
	s_cbranch_execnz .LBB897_82
.LBB897_58:
	s_or_b64 exec, exec, s[0:1]
	s_and_saveexec_b64 s[0:1], s[6:7]
	s_cbranch_execnz .LBB897_83
.LBB897_59:
	s_or_b64 exec, exec, s[0:1]
	s_and_saveexec_b64 s[0:1], s[8:9]
	s_cbranch_execnz .LBB897_84
.LBB897_60:
	s_or_b64 exec, exec, s[0:1]
	s_and_saveexec_b64 s[0:1], s[10:11]
	s_cbranch_execnz .LBB897_85
.LBB897_61:
	s_or_b64 exec, exec, s[0:1]
	s_and_saveexec_b64 s[0:1], s[12:13]
	s_cbranch_execnz .LBB897_86
.LBB897_62:
	s_or_b64 exec, exec, s[0:1]
	s_and_saveexec_b64 s[0:1], s[14:15]
	s_cbranch_execnz .LBB897_87
.LBB897_63:
	s_or_b64 exec, exec, s[0:1]
	s_and_saveexec_b64 s[0:1], s[16:17]
	s_cbranch_execnz .LBB897_88
.LBB897_64:
	s_or_b64 exec, exec, s[0:1]
	s_and_saveexec_b64 s[0:1], s[18:19]
	s_cbranch_execnz .LBB897_89
.LBB897_65:
	s_or_b64 exec, exec, s[0:1]
	s_and_saveexec_b64 s[0:1], s[20:21]
	s_cbranch_execnz .LBB897_90
.LBB897_66:
	s_or_b64 exec, exec, s[0:1]
	s_and_saveexec_b64 s[0:1], s[22:23]
	s_cbranch_execnz .LBB897_91
.LBB897_67:
	s_or_b64 exec, exec, s[0:1]
	s_and_saveexec_b64 s[0:1], s[24:25]
	s_cbranch_execnz .LBB897_92
.LBB897_68:
	s_or_b64 exec, exec, s[0:1]
	s_and_saveexec_b64 s[0:1], s[26:27]
	s_cbranch_execnz .LBB897_93
.LBB897_69:
	s_or_b64 exec, exec, s[0:1]
	s_and_saveexec_b64 s[0:1], s[28:29]
	s_cbranch_execnz .LBB897_94
.LBB897_70:
	s_or_b64 exec, exec, s[0:1]
	s_and_saveexec_b64 s[0:1], s[30:31]
	s_cbranch_execnz .LBB897_95
.LBB897_71:
	s_or_b64 exec, exec, s[0:1]
	s_and_saveexec_b64 s[0:1], s[34:35]
	s_cbranch_execnz .LBB897_96
.LBB897_72:
	s_or_b64 exec, exec, s[0:1]
	s_and_saveexec_b64 s[0:1], s[36:37]
	s_cbranch_execnz .LBB897_97
.LBB897_73:
	s_or_b64 exec, exec, s[0:1]
	s_and_saveexec_b64 s[0:1], s[38:39]
	s_cbranch_execnz .LBB897_98
.LBB897_74:
	s_or_b64 exec, exec, s[0:1]
	s_and_saveexec_b64 s[0:1], s[40:41]
	s_cbranch_execnz .LBB897_99
.LBB897_75:
	s_or_b64 exec, exec, s[0:1]
	s_and_saveexec_b64 s[0:1], s[42:43]
	s_cbranch_execnz .LBB897_100
.LBB897_76:
	s_or_b64 exec, exec, s[0:1]
	s_and_saveexec_b64 s[0:1], s[44:45]
	s_cbranch_execnz .LBB897_101
.LBB897_77:
	s_or_b64 exec, exec, s[0:1]
	s_and_saveexec_b64 s[0:1], s[46:47]
	s_cbranch_execnz .LBB897_102
.LBB897_78:
	s_endpgm
.LBB897_79:
	ds_read_u16 v14, v14
	s_waitcnt lgkmcnt(0)
	global_store_short v[0:1], v14, off
	s_or_b64 exec, exec, s[4:5]
	s_and_saveexec_b64 s[4:5], s[0:1]
	s_cbranch_execz .LBB897_56
.LBB897_80:
	s_waitcnt lgkmcnt(14)
	global_store_short v[0:1], v25, off offset:128
	s_or_b64 exec, exec, s[4:5]
	s_and_saveexec_b64 s[0:1], s[2:3]
	s_cbranch_execz .LBB897_57
.LBB897_81:
	s_waitcnt lgkmcnt(14)
	global_store_short v[0:1], v24, off offset:256
	s_or_b64 exec, exec, s[0:1]
	s_and_saveexec_b64 s[0:1], s[48:49]
	s_cbranch_execz .LBB897_58
.LBB897_82:
	s_waitcnt lgkmcnt(14)
	global_store_short v[0:1], v23, off offset:384
	s_or_b64 exec, exec, s[0:1]
	s_and_saveexec_b64 s[0:1], s[6:7]
	s_cbranch_execz .LBB897_59
.LBB897_83:
	s_waitcnt lgkmcnt(14)
	global_store_short v[0:1], v22, off offset:512
	s_or_b64 exec, exec, s[0:1]
	s_and_saveexec_b64 s[0:1], s[8:9]
	s_cbranch_execz .LBB897_60
.LBB897_84:
	s_waitcnt lgkmcnt(14)
	global_store_short v[0:1], v21, off offset:640
	s_or_b64 exec, exec, s[0:1]
	s_and_saveexec_b64 s[0:1], s[10:11]
	s_cbranch_execz .LBB897_61
.LBB897_85:
	s_waitcnt lgkmcnt(14)
	global_store_short v[0:1], v20, off offset:768
	s_or_b64 exec, exec, s[0:1]
	s_and_saveexec_b64 s[0:1], s[12:13]
	s_cbranch_execz .LBB897_62
.LBB897_86:
	s_waitcnt lgkmcnt(14)
	global_store_short v[0:1], v19, off offset:896
	s_or_b64 exec, exec, s[0:1]
	s_and_saveexec_b64 s[0:1], s[14:15]
	s_cbranch_execz .LBB897_63
.LBB897_87:
	s_waitcnt lgkmcnt(14)
	global_store_short v[0:1], v18, off offset:1024
	s_or_b64 exec, exec, s[0:1]
	s_and_saveexec_b64 s[0:1], s[16:17]
	s_cbranch_execz .LBB897_64
.LBB897_88:
	s_waitcnt lgkmcnt(14)
	global_store_short v[0:1], v17, off offset:1152
	s_or_b64 exec, exec, s[0:1]
	s_and_saveexec_b64 s[0:1], s[18:19]
	s_cbranch_execz .LBB897_65
.LBB897_89:
	s_waitcnt lgkmcnt(13)
	global_store_short v[0:1], v16, off offset:1280
	s_or_b64 exec, exec, s[0:1]
	s_and_saveexec_b64 s[0:1], s[20:21]
	s_cbranch_execz .LBB897_66
.LBB897_90:
	s_waitcnt lgkmcnt(12)
	global_store_short v[0:1], v15, off offset:1408
	s_or_b64 exec, exec, s[0:1]
	s_and_saveexec_b64 s[0:1], s[22:23]
	s_cbranch_execz .LBB897_67
.LBB897_91:
	s_waitcnt lgkmcnt(11)
	global_store_short v[0:1], v13, off offset:1536
	s_or_b64 exec, exec, s[0:1]
	s_and_saveexec_b64 s[0:1], s[24:25]
	s_cbranch_execz .LBB897_68
.LBB897_92:
	s_waitcnt lgkmcnt(10)
	global_store_short v[0:1], v12, off offset:1664
	s_or_b64 exec, exec, s[0:1]
	s_and_saveexec_b64 s[0:1], s[26:27]
	s_cbranch_execz .LBB897_69
.LBB897_93:
	s_waitcnt lgkmcnt(9)
	global_store_short v[0:1], v11, off offset:1792
	s_or_b64 exec, exec, s[0:1]
	s_and_saveexec_b64 s[0:1], s[28:29]
	s_cbranch_execz .LBB897_70
.LBB897_94:
	s_waitcnt lgkmcnt(8)
	global_store_short v[0:1], v10, off offset:1920
	s_or_b64 exec, exec, s[0:1]
	s_and_saveexec_b64 s[0:1], s[30:31]
	s_cbranch_execz .LBB897_71
.LBB897_95:
	s_waitcnt lgkmcnt(7)
	global_store_short v[0:1], v9, off offset:2048
	s_or_b64 exec, exec, s[0:1]
	s_and_saveexec_b64 s[0:1], s[34:35]
	s_cbranch_execz .LBB897_72
.LBB897_96:
	s_waitcnt lgkmcnt(6)
	global_store_short v[0:1], v8, off offset:2176
	s_or_b64 exec, exec, s[0:1]
	s_and_saveexec_b64 s[0:1], s[36:37]
	s_cbranch_execz .LBB897_73
.LBB897_97:
	s_waitcnt lgkmcnt(5)
	global_store_short v[0:1], v7, off offset:2304
	s_or_b64 exec, exec, s[0:1]
	s_and_saveexec_b64 s[0:1], s[38:39]
	s_cbranch_execz .LBB897_74
.LBB897_98:
	s_waitcnt lgkmcnt(4)
	global_store_short v[0:1], v6, off offset:2432
	s_or_b64 exec, exec, s[0:1]
	s_and_saveexec_b64 s[0:1], s[40:41]
	s_cbranch_execz .LBB897_75
.LBB897_99:
	s_waitcnt lgkmcnt(3)
	global_store_short v[0:1], v5, off offset:2560
	s_or_b64 exec, exec, s[0:1]
	s_and_saveexec_b64 s[0:1], s[42:43]
	s_cbranch_execz .LBB897_76
.LBB897_100:
	s_waitcnt lgkmcnt(2)
	global_store_short v[0:1], v4, off offset:2688
	s_or_b64 exec, exec, s[0:1]
	s_and_saveexec_b64 s[0:1], s[44:45]
	s_cbranch_execz .LBB897_77
.LBB897_101:
	s_waitcnt lgkmcnt(1)
	global_store_short v[0:1], v3, off offset:2816
	s_or_b64 exec, exec, s[0:1]
	s_and_saveexec_b64 s[0:1], s[46:47]
	s_cbranch_execz .LBB897_78
.LBB897_102:
	s_waitcnt lgkmcnt(0)
	global_store_short v[0:1], v2, off offset:2944
	s_endpgm
	.section	.rodata,"a",@progbits
	.p2align	6, 0x0
	.amdhsa_kernel _ZN7rocprim17ROCPRIM_400000_NS6detail17trampoline_kernelINS0_14default_configENS1_20scan_config_selectorIsEEZZNS1_9scan_implILNS1_25lookback_scan_determinismE0ELb0ELb0ES3_N6thrust23THRUST_200600_302600_NS6detail15normal_iteratorINS9_10device_ptrIsEEEESE_sNS9_4plusIvEEsEEDaPvRmT3_T4_T5_mT6_P12ihipStream_tbENKUlT_T0_E_clISt17integral_constantIbLb0EESU_EEDaSP_SQ_EUlSP_E0_NS1_11comp_targetILNS1_3genE4ELNS1_11target_archE910ELNS1_3gpuE8ELNS1_3repE0EEENS1_30default_config_static_selectorELNS0_4arch9wavefront6targetE1EEEvT1_
		.amdhsa_group_segment_fixed_size 3072
		.amdhsa_private_segment_fixed_size 0
		.amdhsa_kernarg_size 32
		.amdhsa_user_sgpr_count 6
		.amdhsa_user_sgpr_private_segment_buffer 1
		.amdhsa_user_sgpr_dispatch_ptr 0
		.amdhsa_user_sgpr_queue_ptr 0
		.amdhsa_user_sgpr_kernarg_segment_ptr 1
		.amdhsa_user_sgpr_dispatch_id 0
		.amdhsa_user_sgpr_flat_scratch_init 0
		.amdhsa_user_sgpr_kernarg_preload_length 0
		.amdhsa_user_sgpr_kernarg_preload_offset 0
		.amdhsa_user_sgpr_private_segment_size 0
		.amdhsa_uses_dynamic_stack 0
		.amdhsa_system_sgpr_private_segment_wavefront_offset 0
		.amdhsa_system_sgpr_workgroup_id_x 1
		.amdhsa_system_sgpr_workgroup_id_y 0
		.amdhsa_system_sgpr_workgroup_id_z 0
		.amdhsa_system_sgpr_workgroup_info 0
		.amdhsa_system_vgpr_workitem_id 0
		.amdhsa_next_free_vgpr 42
		.amdhsa_next_free_sgpr 56
		.amdhsa_accum_offset 44
		.amdhsa_reserve_vcc 1
		.amdhsa_reserve_flat_scratch 0
		.amdhsa_float_round_mode_32 0
		.amdhsa_float_round_mode_16_64 0
		.amdhsa_float_denorm_mode_32 3
		.amdhsa_float_denorm_mode_16_64 3
		.amdhsa_dx10_clamp 1
		.amdhsa_ieee_mode 1
		.amdhsa_fp16_overflow 0
		.amdhsa_tg_split 0
		.amdhsa_exception_fp_ieee_invalid_op 0
		.amdhsa_exception_fp_denorm_src 0
		.amdhsa_exception_fp_ieee_div_zero 0
		.amdhsa_exception_fp_ieee_overflow 0
		.amdhsa_exception_fp_ieee_underflow 0
		.amdhsa_exception_fp_ieee_inexact 0
		.amdhsa_exception_int_div_zero 0
	.end_amdhsa_kernel
	.section	.text._ZN7rocprim17ROCPRIM_400000_NS6detail17trampoline_kernelINS0_14default_configENS1_20scan_config_selectorIsEEZZNS1_9scan_implILNS1_25lookback_scan_determinismE0ELb0ELb0ES3_N6thrust23THRUST_200600_302600_NS6detail15normal_iteratorINS9_10device_ptrIsEEEESE_sNS9_4plusIvEEsEEDaPvRmT3_T4_T5_mT6_P12ihipStream_tbENKUlT_T0_E_clISt17integral_constantIbLb0EESU_EEDaSP_SQ_EUlSP_E0_NS1_11comp_targetILNS1_3genE4ELNS1_11target_archE910ELNS1_3gpuE8ELNS1_3repE0EEENS1_30default_config_static_selectorELNS0_4arch9wavefront6targetE1EEEvT1_,"axG",@progbits,_ZN7rocprim17ROCPRIM_400000_NS6detail17trampoline_kernelINS0_14default_configENS1_20scan_config_selectorIsEEZZNS1_9scan_implILNS1_25lookback_scan_determinismE0ELb0ELb0ES3_N6thrust23THRUST_200600_302600_NS6detail15normal_iteratorINS9_10device_ptrIsEEEESE_sNS9_4plusIvEEsEEDaPvRmT3_T4_T5_mT6_P12ihipStream_tbENKUlT_T0_E_clISt17integral_constantIbLb0EESU_EEDaSP_SQ_EUlSP_E0_NS1_11comp_targetILNS1_3genE4ELNS1_11target_archE910ELNS1_3gpuE8ELNS1_3repE0EEENS1_30default_config_static_selectorELNS0_4arch9wavefront6targetE1EEEvT1_,comdat
.Lfunc_end897:
	.size	_ZN7rocprim17ROCPRIM_400000_NS6detail17trampoline_kernelINS0_14default_configENS1_20scan_config_selectorIsEEZZNS1_9scan_implILNS1_25lookback_scan_determinismE0ELb0ELb0ES3_N6thrust23THRUST_200600_302600_NS6detail15normal_iteratorINS9_10device_ptrIsEEEESE_sNS9_4plusIvEEsEEDaPvRmT3_T4_T5_mT6_P12ihipStream_tbENKUlT_T0_E_clISt17integral_constantIbLb0EESU_EEDaSP_SQ_EUlSP_E0_NS1_11comp_targetILNS1_3genE4ELNS1_11target_archE910ELNS1_3gpuE8ELNS1_3repE0EEENS1_30default_config_static_selectorELNS0_4arch9wavefront6targetE1EEEvT1_, .Lfunc_end897-_ZN7rocprim17ROCPRIM_400000_NS6detail17trampoline_kernelINS0_14default_configENS1_20scan_config_selectorIsEEZZNS1_9scan_implILNS1_25lookback_scan_determinismE0ELb0ELb0ES3_N6thrust23THRUST_200600_302600_NS6detail15normal_iteratorINS9_10device_ptrIsEEEESE_sNS9_4plusIvEEsEEDaPvRmT3_T4_T5_mT6_P12ihipStream_tbENKUlT_T0_E_clISt17integral_constantIbLb0EESU_EEDaSP_SQ_EUlSP_E0_NS1_11comp_targetILNS1_3genE4ELNS1_11target_archE910ELNS1_3gpuE8ELNS1_3repE0EEENS1_30default_config_static_selectorELNS0_4arch9wavefront6targetE1EEEvT1_
                                        ; -- End function
	.section	.AMDGPU.csdata,"",@progbits
; Kernel info:
; codeLenInByte = 3068
; NumSgprs: 60
; NumVgprs: 42
; NumAgprs: 0
; TotalNumVgprs: 42
; ScratchSize: 0
; MemoryBound: 0
; FloatMode: 240
; IeeeMode: 1
; LDSByteSize: 3072 bytes/workgroup (compile time only)
; SGPRBlocks: 7
; VGPRBlocks: 5
; NumSGPRsForWavesPerEU: 60
; NumVGPRsForWavesPerEU: 42
; AccumOffset: 44
; Occupancy: 6
; WaveLimiterHint : 0
; COMPUTE_PGM_RSRC2:SCRATCH_EN: 0
; COMPUTE_PGM_RSRC2:USER_SGPR: 6
; COMPUTE_PGM_RSRC2:TRAP_HANDLER: 0
; COMPUTE_PGM_RSRC2:TGID_X_EN: 1
; COMPUTE_PGM_RSRC2:TGID_Y_EN: 0
; COMPUTE_PGM_RSRC2:TGID_Z_EN: 0
; COMPUTE_PGM_RSRC2:TIDIG_COMP_CNT: 0
; COMPUTE_PGM_RSRC3_GFX90A:ACCUM_OFFSET: 10
; COMPUTE_PGM_RSRC3_GFX90A:TG_SPLIT: 0
	.section	.text._ZN7rocprim17ROCPRIM_400000_NS6detail17trampoline_kernelINS0_14default_configENS1_20scan_config_selectorIsEEZZNS1_9scan_implILNS1_25lookback_scan_determinismE0ELb0ELb0ES3_N6thrust23THRUST_200600_302600_NS6detail15normal_iteratorINS9_10device_ptrIsEEEESE_sNS9_4plusIvEEsEEDaPvRmT3_T4_T5_mT6_P12ihipStream_tbENKUlT_T0_E_clISt17integral_constantIbLb0EESU_EEDaSP_SQ_EUlSP_E0_NS1_11comp_targetILNS1_3genE3ELNS1_11target_archE908ELNS1_3gpuE7ELNS1_3repE0EEENS1_30default_config_static_selectorELNS0_4arch9wavefront6targetE1EEEvT1_,"axG",@progbits,_ZN7rocprim17ROCPRIM_400000_NS6detail17trampoline_kernelINS0_14default_configENS1_20scan_config_selectorIsEEZZNS1_9scan_implILNS1_25lookback_scan_determinismE0ELb0ELb0ES3_N6thrust23THRUST_200600_302600_NS6detail15normal_iteratorINS9_10device_ptrIsEEEESE_sNS9_4plusIvEEsEEDaPvRmT3_T4_T5_mT6_P12ihipStream_tbENKUlT_T0_E_clISt17integral_constantIbLb0EESU_EEDaSP_SQ_EUlSP_E0_NS1_11comp_targetILNS1_3genE3ELNS1_11target_archE908ELNS1_3gpuE7ELNS1_3repE0EEENS1_30default_config_static_selectorELNS0_4arch9wavefront6targetE1EEEvT1_,comdat
	.protected	_ZN7rocprim17ROCPRIM_400000_NS6detail17trampoline_kernelINS0_14default_configENS1_20scan_config_selectorIsEEZZNS1_9scan_implILNS1_25lookback_scan_determinismE0ELb0ELb0ES3_N6thrust23THRUST_200600_302600_NS6detail15normal_iteratorINS9_10device_ptrIsEEEESE_sNS9_4plusIvEEsEEDaPvRmT3_T4_T5_mT6_P12ihipStream_tbENKUlT_T0_E_clISt17integral_constantIbLb0EESU_EEDaSP_SQ_EUlSP_E0_NS1_11comp_targetILNS1_3genE3ELNS1_11target_archE908ELNS1_3gpuE7ELNS1_3repE0EEENS1_30default_config_static_selectorELNS0_4arch9wavefront6targetE1EEEvT1_ ; -- Begin function _ZN7rocprim17ROCPRIM_400000_NS6detail17trampoline_kernelINS0_14default_configENS1_20scan_config_selectorIsEEZZNS1_9scan_implILNS1_25lookback_scan_determinismE0ELb0ELb0ES3_N6thrust23THRUST_200600_302600_NS6detail15normal_iteratorINS9_10device_ptrIsEEEESE_sNS9_4plusIvEEsEEDaPvRmT3_T4_T5_mT6_P12ihipStream_tbENKUlT_T0_E_clISt17integral_constantIbLb0EESU_EEDaSP_SQ_EUlSP_E0_NS1_11comp_targetILNS1_3genE3ELNS1_11target_archE908ELNS1_3gpuE7ELNS1_3repE0EEENS1_30default_config_static_selectorELNS0_4arch9wavefront6targetE1EEEvT1_
	.globl	_ZN7rocprim17ROCPRIM_400000_NS6detail17trampoline_kernelINS0_14default_configENS1_20scan_config_selectorIsEEZZNS1_9scan_implILNS1_25lookback_scan_determinismE0ELb0ELb0ES3_N6thrust23THRUST_200600_302600_NS6detail15normal_iteratorINS9_10device_ptrIsEEEESE_sNS9_4plusIvEEsEEDaPvRmT3_T4_T5_mT6_P12ihipStream_tbENKUlT_T0_E_clISt17integral_constantIbLb0EESU_EEDaSP_SQ_EUlSP_E0_NS1_11comp_targetILNS1_3genE3ELNS1_11target_archE908ELNS1_3gpuE7ELNS1_3repE0EEENS1_30default_config_static_selectorELNS0_4arch9wavefront6targetE1EEEvT1_
	.p2align	8
	.type	_ZN7rocprim17ROCPRIM_400000_NS6detail17trampoline_kernelINS0_14default_configENS1_20scan_config_selectorIsEEZZNS1_9scan_implILNS1_25lookback_scan_determinismE0ELb0ELb0ES3_N6thrust23THRUST_200600_302600_NS6detail15normal_iteratorINS9_10device_ptrIsEEEESE_sNS9_4plusIvEEsEEDaPvRmT3_T4_T5_mT6_P12ihipStream_tbENKUlT_T0_E_clISt17integral_constantIbLb0EESU_EEDaSP_SQ_EUlSP_E0_NS1_11comp_targetILNS1_3genE3ELNS1_11target_archE908ELNS1_3gpuE7ELNS1_3repE0EEENS1_30default_config_static_selectorELNS0_4arch9wavefront6targetE1EEEvT1_,@function
_ZN7rocprim17ROCPRIM_400000_NS6detail17trampoline_kernelINS0_14default_configENS1_20scan_config_selectorIsEEZZNS1_9scan_implILNS1_25lookback_scan_determinismE0ELb0ELb0ES3_N6thrust23THRUST_200600_302600_NS6detail15normal_iteratorINS9_10device_ptrIsEEEESE_sNS9_4plusIvEEsEEDaPvRmT3_T4_T5_mT6_P12ihipStream_tbENKUlT_T0_E_clISt17integral_constantIbLb0EESU_EEDaSP_SQ_EUlSP_E0_NS1_11comp_targetILNS1_3genE3ELNS1_11target_archE908ELNS1_3gpuE7ELNS1_3repE0EEENS1_30default_config_static_selectorELNS0_4arch9wavefront6targetE1EEEvT1_: ; @_ZN7rocprim17ROCPRIM_400000_NS6detail17trampoline_kernelINS0_14default_configENS1_20scan_config_selectorIsEEZZNS1_9scan_implILNS1_25lookback_scan_determinismE0ELb0ELb0ES3_N6thrust23THRUST_200600_302600_NS6detail15normal_iteratorINS9_10device_ptrIsEEEESE_sNS9_4plusIvEEsEEDaPvRmT3_T4_T5_mT6_P12ihipStream_tbENKUlT_T0_E_clISt17integral_constantIbLb0EESU_EEDaSP_SQ_EUlSP_E0_NS1_11comp_targetILNS1_3genE3ELNS1_11target_archE908ELNS1_3gpuE7ELNS1_3repE0EEENS1_30default_config_static_selectorELNS0_4arch9wavefront6targetE1EEEvT1_
; %bb.0:
	.section	.rodata,"a",@progbits
	.p2align	6, 0x0
	.amdhsa_kernel _ZN7rocprim17ROCPRIM_400000_NS6detail17trampoline_kernelINS0_14default_configENS1_20scan_config_selectorIsEEZZNS1_9scan_implILNS1_25lookback_scan_determinismE0ELb0ELb0ES3_N6thrust23THRUST_200600_302600_NS6detail15normal_iteratorINS9_10device_ptrIsEEEESE_sNS9_4plusIvEEsEEDaPvRmT3_T4_T5_mT6_P12ihipStream_tbENKUlT_T0_E_clISt17integral_constantIbLb0EESU_EEDaSP_SQ_EUlSP_E0_NS1_11comp_targetILNS1_3genE3ELNS1_11target_archE908ELNS1_3gpuE7ELNS1_3repE0EEENS1_30default_config_static_selectorELNS0_4arch9wavefront6targetE1EEEvT1_
		.amdhsa_group_segment_fixed_size 0
		.amdhsa_private_segment_fixed_size 0
		.amdhsa_kernarg_size 32
		.amdhsa_user_sgpr_count 6
		.amdhsa_user_sgpr_private_segment_buffer 1
		.amdhsa_user_sgpr_dispatch_ptr 0
		.amdhsa_user_sgpr_queue_ptr 0
		.amdhsa_user_sgpr_kernarg_segment_ptr 1
		.amdhsa_user_sgpr_dispatch_id 0
		.amdhsa_user_sgpr_flat_scratch_init 0
		.amdhsa_user_sgpr_kernarg_preload_length 0
		.amdhsa_user_sgpr_kernarg_preload_offset 0
		.amdhsa_user_sgpr_private_segment_size 0
		.amdhsa_uses_dynamic_stack 0
		.amdhsa_system_sgpr_private_segment_wavefront_offset 0
		.amdhsa_system_sgpr_workgroup_id_x 1
		.amdhsa_system_sgpr_workgroup_id_y 0
		.amdhsa_system_sgpr_workgroup_id_z 0
		.amdhsa_system_sgpr_workgroup_info 0
		.amdhsa_system_vgpr_workitem_id 0
		.amdhsa_next_free_vgpr 1
		.amdhsa_next_free_sgpr 0
		.amdhsa_accum_offset 4
		.amdhsa_reserve_vcc 0
		.amdhsa_reserve_flat_scratch 0
		.amdhsa_float_round_mode_32 0
		.amdhsa_float_round_mode_16_64 0
		.amdhsa_float_denorm_mode_32 3
		.amdhsa_float_denorm_mode_16_64 3
		.amdhsa_dx10_clamp 1
		.amdhsa_ieee_mode 1
		.amdhsa_fp16_overflow 0
		.amdhsa_tg_split 0
		.amdhsa_exception_fp_ieee_invalid_op 0
		.amdhsa_exception_fp_denorm_src 0
		.amdhsa_exception_fp_ieee_div_zero 0
		.amdhsa_exception_fp_ieee_overflow 0
		.amdhsa_exception_fp_ieee_underflow 0
		.amdhsa_exception_fp_ieee_inexact 0
		.amdhsa_exception_int_div_zero 0
	.end_amdhsa_kernel
	.section	.text._ZN7rocprim17ROCPRIM_400000_NS6detail17trampoline_kernelINS0_14default_configENS1_20scan_config_selectorIsEEZZNS1_9scan_implILNS1_25lookback_scan_determinismE0ELb0ELb0ES3_N6thrust23THRUST_200600_302600_NS6detail15normal_iteratorINS9_10device_ptrIsEEEESE_sNS9_4plusIvEEsEEDaPvRmT3_T4_T5_mT6_P12ihipStream_tbENKUlT_T0_E_clISt17integral_constantIbLb0EESU_EEDaSP_SQ_EUlSP_E0_NS1_11comp_targetILNS1_3genE3ELNS1_11target_archE908ELNS1_3gpuE7ELNS1_3repE0EEENS1_30default_config_static_selectorELNS0_4arch9wavefront6targetE1EEEvT1_,"axG",@progbits,_ZN7rocprim17ROCPRIM_400000_NS6detail17trampoline_kernelINS0_14default_configENS1_20scan_config_selectorIsEEZZNS1_9scan_implILNS1_25lookback_scan_determinismE0ELb0ELb0ES3_N6thrust23THRUST_200600_302600_NS6detail15normal_iteratorINS9_10device_ptrIsEEEESE_sNS9_4plusIvEEsEEDaPvRmT3_T4_T5_mT6_P12ihipStream_tbENKUlT_T0_E_clISt17integral_constantIbLb0EESU_EEDaSP_SQ_EUlSP_E0_NS1_11comp_targetILNS1_3genE3ELNS1_11target_archE908ELNS1_3gpuE7ELNS1_3repE0EEENS1_30default_config_static_selectorELNS0_4arch9wavefront6targetE1EEEvT1_,comdat
.Lfunc_end898:
	.size	_ZN7rocprim17ROCPRIM_400000_NS6detail17trampoline_kernelINS0_14default_configENS1_20scan_config_selectorIsEEZZNS1_9scan_implILNS1_25lookback_scan_determinismE0ELb0ELb0ES3_N6thrust23THRUST_200600_302600_NS6detail15normal_iteratorINS9_10device_ptrIsEEEESE_sNS9_4plusIvEEsEEDaPvRmT3_T4_T5_mT6_P12ihipStream_tbENKUlT_T0_E_clISt17integral_constantIbLb0EESU_EEDaSP_SQ_EUlSP_E0_NS1_11comp_targetILNS1_3genE3ELNS1_11target_archE908ELNS1_3gpuE7ELNS1_3repE0EEENS1_30default_config_static_selectorELNS0_4arch9wavefront6targetE1EEEvT1_, .Lfunc_end898-_ZN7rocprim17ROCPRIM_400000_NS6detail17trampoline_kernelINS0_14default_configENS1_20scan_config_selectorIsEEZZNS1_9scan_implILNS1_25lookback_scan_determinismE0ELb0ELb0ES3_N6thrust23THRUST_200600_302600_NS6detail15normal_iteratorINS9_10device_ptrIsEEEESE_sNS9_4plusIvEEsEEDaPvRmT3_T4_T5_mT6_P12ihipStream_tbENKUlT_T0_E_clISt17integral_constantIbLb0EESU_EEDaSP_SQ_EUlSP_E0_NS1_11comp_targetILNS1_3genE3ELNS1_11target_archE908ELNS1_3gpuE7ELNS1_3repE0EEENS1_30default_config_static_selectorELNS0_4arch9wavefront6targetE1EEEvT1_
                                        ; -- End function
	.section	.AMDGPU.csdata,"",@progbits
; Kernel info:
; codeLenInByte = 0
; NumSgprs: 4
; NumVgprs: 0
; NumAgprs: 0
; TotalNumVgprs: 0
; ScratchSize: 0
; MemoryBound: 0
; FloatMode: 240
; IeeeMode: 1
; LDSByteSize: 0 bytes/workgroup (compile time only)
; SGPRBlocks: 0
; VGPRBlocks: 0
; NumSGPRsForWavesPerEU: 4
; NumVGPRsForWavesPerEU: 1
; AccumOffset: 4
; Occupancy: 8
; WaveLimiterHint : 0
; COMPUTE_PGM_RSRC2:SCRATCH_EN: 0
; COMPUTE_PGM_RSRC2:USER_SGPR: 6
; COMPUTE_PGM_RSRC2:TRAP_HANDLER: 0
; COMPUTE_PGM_RSRC2:TGID_X_EN: 1
; COMPUTE_PGM_RSRC2:TGID_Y_EN: 0
; COMPUTE_PGM_RSRC2:TGID_Z_EN: 0
; COMPUTE_PGM_RSRC2:TIDIG_COMP_CNT: 0
; COMPUTE_PGM_RSRC3_GFX90A:ACCUM_OFFSET: 0
; COMPUTE_PGM_RSRC3_GFX90A:TG_SPLIT: 0
	.section	.text._ZN7rocprim17ROCPRIM_400000_NS6detail17trampoline_kernelINS0_14default_configENS1_20scan_config_selectorIsEEZZNS1_9scan_implILNS1_25lookback_scan_determinismE0ELb0ELb0ES3_N6thrust23THRUST_200600_302600_NS6detail15normal_iteratorINS9_10device_ptrIsEEEESE_sNS9_4plusIvEEsEEDaPvRmT3_T4_T5_mT6_P12ihipStream_tbENKUlT_T0_E_clISt17integral_constantIbLb0EESU_EEDaSP_SQ_EUlSP_E0_NS1_11comp_targetILNS1_3genE2ELNS1_11target_archE906ELNS1_3gpuE6ELNS1_3repE0EEENS1_30default_config_static_selectorELNS0_4arch9wavefront6targetE1EEEvT1_,"axG",@progbits,_ZN7rocprim17ROCPRIM_400000_NS6detail17trampoline_kernelINS0_14default_configENS1_20scan_config_selectorIsEEZZNS1_9scan_implILNS1_25lookback_scan_determinismE0ELb0ELb0ES3_N6thrust23THRUST_200600_302600_NS6detail15normal_iteratorINS9_10device_ptrIsEEEESE_sNS9_4plusIvEEsEEDaPvRmT3_T4_T5_mT6_P12ihipStream_tbENKUlT_T0_E_clISt17integral_constantIbLb0EESU_EEDaSP_SQ_EUlSP_E0_NS1_11comp_targetILNS1_3genE2ELNS1_11target_archE906ELNS1_3gpuE6ELNS1_3repE0EEENS1_30default_config_static_selectorELNS0_4arch9wavefront6targetE1EEEvT1_,comdat
	.protected	_ZN7rocprim17ROCPRIM_400000_NS6detail17trampoline_kernelINS0_14default_configENS1_20scan_config_selectorIsEEZZNS1_9scan_implILNS1_25lookback_scan_determinismE0ELb0ELb0ES3_N6thrust23THRUST_200600_302600_NS6detail15normal_iteratorINS9_10device_ptrIsEEEESE_sNS9_4plusIvEEsEEDaPvRmT3_T4_T5_mT6_P12ihipStream_tbENKUlT_T0_E_clISt17integral_constantIbLb0EESU_EEDaSP_SQ_EUlSP_E0_NS1_11comp_targetILNS1_3genE2ELNS1_11target_archE906ELNS1_3gpuE6ELNS1_3repE0EEENS1_30default_config_static_selectorELNS0_4arch9wavefront6targetE1EEEvT1_ ; -- Begin function _ZN7rocprim17ROCPRIM_400000_NS6detail17trampoline_kernelINS0_14default_configENS1_20scan_config_selectorIsEEZZNS1_9scan_implILNS1_25lookback_scan_determinismE0ELb0ELb0ES3_N6thrust23THRUST_200600_302600_NS6detail15normal_iteratorINS9_10device_ptrIsEEEESE_sNS9_4plusIvEEsEEDaPvRmT3_T4_T5_mT6_P12ihipStream_tbENKUlT_T0_E_clISt17integral_constantIbLb0EESU_EEDaSP_SQ_EUlSP_E0_NS1_11comp_targetILNS1_3genE2ELNS1_11target_archE906ELNS1_3gpuE6ELNS1_3repE0EEENS1_30default_config_static_selectorELNS0_4arch9wavefront6targetE1EEEvT1_
	.globl	_ZN7rocprim17ROCPRIM_400000_NS6detail17trampoline_kernelINS0_14default_configENS1_20scan_config_selectorIsEEZZNS1_9scan_implILNS1_25lookback_scan_determinismE0ELb0ELb0ES3_N6thrust23THRUST_200600_302600_NS6detail15normal_iteratorINS9_10device_ptrIsEEEESE_sNS9_4plusIvEEsEEDaPvRmT3_T4_T5_mT6_P12ihipStream_tbENKUlT_T0_E_clISt17integral_constantIbLb0EESU_EEDaSP_SQ_EUlSP_E0_NS1_11comp_targetILNS1_3genE2ELNS1_11target_archE906ELNS1_3gpuE6ELNS1_3repE0EEENS1_30default_config_static_selectorELNS0_4arch9wavefront6targetE1EEEvT1_
	.p2align	8
	.type	_ZN7rocprim17ROCPRIM_400000_NS6detail17trampoline_kernelINS0_14default_configENS1_20scan_config_selectorIsEEZZNS1_9scan_implILNS1_25lookback_scan_determinismE0ELb0ELb0ES3_N6thrust23THRUST_200600_302600_NS6detail15normal_iteratorINS9_10device_ptrIsEEEESE_sNS9_4plusIvEEsEEDaPvRmT3_T4_T5_mT6_P12ihipStream_tbENKUlT_T0_E_clISt17integral_constantIbLb0EESU_EEDaSP_SQ_EUlSP_E0_NS1_11comp_targetILNS1_3genE2ELNS1_11target_archE906ELNS1_3gpuE6ELNS1_3repE0EEENS1_30default_config_static_selectorELNS0_4arch9wavefront6targetE1EEEvT1_,@function
_ZN7rocprim17ROCPRIM_400000_NS6detail17trampoline_kernelINS0_14default_configENS1_20scan_config_selectorIsEEZZNS1_9scan_implILNS1_25lookback_scan_determinismE0ELb0ELb0ES3_N6thrust23THRUST_200600_302600_NS6detail15normal_iteratorINS9_10device_ptrIsEEEESE_sNS9_4plusIvEEsEEDaPvRmT3_T4_T5_mT6_P12ihipStream_tbENKUlT_T0_E_clISt17integral_constantIbLb0EESU_EEDaSP_SQ_EUlSP_E0_NS1_11comp_targetILNS1_3genE2ELNS1_11target_archE906ELNS1_3gpuE6ELNS1_3repE0EEENS1_30default_config_static_selectorELNS0_4arch9wavefront6targetE1EEEvT1_: ; @_ZN7rocprim17ROCPRIM_400000_NS6detail17trampoline_kernelINS0_14default_configENS1_20scan_config_selectorIsEEZZNS1_9scan_implILNS1_25lookback_scan_determinismE0ELb0ELb0ES3_N6thrust23THRUST_200600_302600_NS6detail15normal_iteratorINS9_10device_ptrIsEEEESE_sNS9_4plusIvEEsEEDaPvRmT3_T4_T5_mT6_P12ihipStream_tbENKUlT_T0_E_clISt17integral_constantIbLb0EESU_EEDaSP_SQ_EUlSP_E0_NS1_11comp_targetILNS1_3genE2ELNS1_11target_archE906ELNS1_3gpuE6ELNS1_3repE0EEENS1_30default_config_static_selectorELNS0_4arch9wavefront6targetE1EEEvT1_
; %bb.0:
	.section	.rodata,"a",@progbits
	.p2align	6, 0x0
	.amdhsa_kernel _ZN7rocprim17ROCPRIM_400000_NS6detail17trampoline_kernelINS0_14default_configENS1_20scan_config_selectorIsEEZZNS1_9scan_implILNS1_25lookback_scan_determinismE0ELb0ELb0ES3_N6thrust23THRUST_200600_302600_NS6detail15normal_iteratorINS9_10device_ptrIsEEEESE_sNS9_4plusIvEEsEEDaPvRmT3_T4_T5_mT6_P12ihipStream_tbENKUlT_T0_E_clISt17integral_constantIbLb0EESU_EEDaSP_SQ_EUlSP_E0_NS1_11comp_targetILNS1_3genE2ELNS1_11target_archE906ELNS1_3gpuE6ELNS1_3repE0EEENS1_30default_config_static_selectorELNS0_4arch9wavefront6targetE1EEEvT1_
		.amdhsa_group_segment_fixed_size 0
		.amdhsa_private_segment_fixed_size 0
		.amdhsa_kernarg_size 32
		.amdhsa_user_sgpr_count 6
		.amdhsa_user_sgpr_private_segment_buffer 1
		.amdhsa_user_sgpr_dispatch_ptr 0
		.amdhsa_user_sgpr_queue_ptr 0
		.amdhsa_user_sgpr_kernarg_segment_ptr 1
		.amdhsa_user_sgpr_dispatch_id 0
		.amdhsa_user_sgpr_flat_scratch_init 0
		.amdhsa_user_sgpr_kernarg_preload_length 0
		.amdhsa_user_sgpr_kernarg_preload_offset 0
		.amdhsa_user_sgpr_private_segment_size 0
		.amdhsa_uses_dynamic_stack 0
		.amdhsa_system_sgpr_private_segment_wavefront_offset 0
		.amdhsa_system_sgpr_workgroup_id_x 1
		.amdhsa_system_sgpr_workgroup_id_y 0
		.amdhsa_system_sgpr_workgroup_id_z 0
		.amdhsa_system_sgpr_workgroup_info 0
		.amdhsa_system_vgpr_workitem_id 0
		.amdhsa_next_free_vgpr 1
		.amdhsa_next_free_sgpr 0
		.amdhsa_accum_offset 4
		.amdhsa_reserve_vcc 0
		.amdhsa_reserve_flat_scratch 0
		.amdhsa_float_round_mode_32 0
		.amdhsa_float_round_mode_16_64 0
		.amdhsa_float_denorm_mode_32 3
		.amdhsa_float_denorm_mode_16_64 3
		.amdhsa_dx10_clamp 1
		.amdhsa_ieee_mode 1
		.amdhsa_fp16_overflow 0
		.amdhsa_tg_split 0
		.amdhsa_exception_fp_ieee_invalid_op 0
		.amdhsa_exception_fp_denorm_src 0
		.amdhsa_exception_fp_ieee_div_zero 0
		.amdhsa_exception_fp_ieee_overflow 0
		.amdhsa_exception_fp_ieee_underflow 0
		.amdhsa_exception_fp_ieee_inexact 0
		.amdhsa_exception_int_div_zero 0
	.end_amdhsa_kernel
	.section	.text._ZN7rocprim17ROCPRIM_400000_NS6detail17trampoline_kernelINS0_14default_configENS1_20scan_config_selectorIsEEZZNS1_9scan_implILNS1_25lookback_scan_determinismE0ELb0ELb0ES3_N6thrust23THRUST_200600_302600_NS6detail15normal_iteratorINS9_10device_ptrIsEEEESE_sNS9_4plusIvEEsEEDaPvRmT3_T4_T5_mT6_P12ihipStream_tbENKUlT_T0_E_clISt17integral_constantIbLb0EESU_EEDaSP_SQ_EUlSP_E0_NS1_11comp_targetILNS1_3genE2ELNS1_11target_archE906ELNS1_3gpuE6ELNS1_3repE0EEENS1_30default_config_static_selectorELNS0_4arch9wavefront6targetE1EEEvT1_,"axG",@progbits,_ZN7rocprim17ROCPRIM_400000_NS6detail17trampoline_kernelINS0_14default_configENS1_20scan_config_selectorIsEEZZNS1_9scan_implILNS1_25lookback_scan_determinismE0ELb0ELb0ES3_N6thrust23THRUST_200600_302600_NS6detail15normal_iteratorINS9_10device_ptrIsEEEESE_sNS9_4plusIvEEsEEDaPvRmT3_T4_T5_mT6_P12ihipStream_tbENKUlT_T0_E_clISt17integral_constantIbLb0EESU_EEDaSP_SQ_EUlSP_E0_NS1_11comp_targetILNS1_3genE2ELNS1_11target_archE906ELNS1_3gpuE6ELNS1_3repE0EEENS1_30default_config_static_selectorELNS0_4arch9wavefront6targetE1EEEvT1_,comdat
.Lfunc_end899:
	.size	_ZN7rocprim17ROCPRIM_400000_NS6detail17trampoline_kernelINS0_14default_configENS1_20scan_config_selectorIsEEZZNS1_9scan_implILNS1_25lookback_scan_determinismE0ELb0ELb0ES3_N6thrust23THRUST_200600_302600_NS6detail15normal_iteratorINS9_10device_ptrIsEEEESE_sNS9_4plusIvEEsEEDaPvRmT3_T4_T5_mT6_P12ihipStream_tbENKUlT_T0_E_clISt17integral_constantIbLb0EESU_EEDaSP_SQ_EUlSP_E0_NS1_11comp_targetILNS1_3genE2ELNS1_11target_archE906ELNS1_3gpuE6ELNS1_3repE0EEENS1_30default_config_static_selectorELNS0_4arch9wavefront6targetE1EEEvT1_, .Lfunc_end899-_ZN7rocprim17ROCPRIM_400000_NS6detail17trampoline_kernelINS0_14default_configENS1_20scan_config_selectorIsEEZZNS1_9scan_implILNS1_25lookback_scan_determinismE0ELb0ELb0ES3_N6thrust23THRUST_200600_302600_NS6detail15normal_iteratorINS9_10device_ptrIsEEEESE_sNS9_4plusIvEEsEEDaPvRmT3_T4_T5_mT6_P12ihipStream_tbENKUlT_T0_E_clISt17integral_constantIbLb0EESU_EEDaSP_SQ_EUlSP_E0_NS1_11comp_targetILNS1_3genE2ELNS1_11target_archE906ELNS1_3gpuE6ELNS1_3repE0EEENS1_30default_config_static_selectorELNS0_4arch9wavefront6targetE1EEEvT1_
                                        ; -- End function
	.section	.AMDGPU.csdata,"",@progbits
; Kernel info:
; codeLenInByte = 0
; NumSgprs: 4
; NumVgprs: 0
; NumAgprs: 0
; TotalNumVgprs: 0
; ScratchSize: 0
; MemoryBound: 0
; FloatMode: 240
; IeeeMode: 1
; LDSByteSize: 0 bytes/workgroup (compile time only)
; SGPRBlocks: 0
; VGPRBlocks: 0
; NumSGPRsForWavesPerEU: 4
; NumVGPRsForWavesPerEU: 1
; AccumOffset: 4
; Occupancy: 8
; WaveLimiterHint : 0
; COMPUTE_PGM_RSRC2:SCRATCH_EN: 0
; COMPUTE_PGM_RSRC2:USER_SGPR: 6
; COMPUTE_PGM_RSRC2:TRAP_HANDLER: 0
; COMPUTE_PGM_RSRC2:TGID_X_EN: 1
; COMPUTE_PGM_RSRC2:TGID_Y_EN: 0
; COMPUTE_PGM_RSRC2:TGID_Z_EN: 0
; COMPUTE_PGM_RSRC2:TIDIG_COMP_CNT: 0
; COMPUTE_PGM_RSRC3_GFX90A:ACCUM_OFFSET: 0
; COMPUTE_PGM_RSRC3_GFX90A:TG_SPLIT: 0
	.section	.text._ZN7rocprim17ROCPRIM_400000_NS6detail17trampoline_kernelINS0_14default_configENS1_20scan_config_selectorIsEEZZNS1_9scan_implILNS1_25lookback_scan_determinismE0ELb0ELb0ES3_N6thrust23THRUST_200600_302600_NS6detail15normal_iteratorINS9_10device_ptrIsEEEESE_sNS9_4plusIvEEsEEDaPvRmT3_T4_T5_mT6_P12ihipStream_tbENKUlT_T0_E_clISt17integral_constantIbLb0EESU_EEDaSP_SQ_EUlSP_E0_NS1_11comp_targetILNS1_3genE10ELNS1_11target_archE1201ELNS1_3gpuE5ELNS1_3repE0EEENS1_30default_config_static_selectorELNS0_4arch9wavefront6targetE1EEEvT1_,"axG",@progbits,_ZN7rocprim17ROCPRIM_400000_NS6detail17trampoline_kernelINS0_14default_configENS1_20scan_config_selectorIsEEZZNS1_9scan_implILNS1_25lookback_scan_determinismE0ELb0ELb0ES3_N6thrust23THRUST_200600_302600_NS6detail15normal_iteratorINS9_10device_ptrIsEEEESE_sNS9_4plusIvEEsEEDaPvRmT3_T4_T5_mT6_P12ihipStream_tbENKUlT_T0_E_clISt17integral_constantIbLb0EESU_EEDaSP_SQ_EUlSP_E0_NS1_11comp_targetILNS1_3genE10ELNS1_11target_archE1201ELNS1_3gpuE5ELNS1_3repE0EEENS1_30default_config_static_selectorELNS0_4arch9wavefront6targetE1EEEvT1_,comdat
	.protected	_ZN7rocprim17ROCPRIM_400000_NS6detail17trampoline_kernelINS0_14default_configENS1_20scan_config_selectorIsEEZZNS1_9scan_implILNS1_25lookback_scan_determinismE0ELb0ELb0ES3_N6thrust23THRUST_200600_302600_NS6detail15normal_iteratorINS9_10device_ptrIsEEEESE_sNS9_4plusIvEEsEEDaPvRmT3_T4_T5_mT6_P12ihipStream_tbENKUlT_T0_E_clISt17integral_constantIbLb0EESU_EEDaSP_SQ_EUlSP_E0_NS1_11comp_targetILNS1_3genE10ELNS1_11target_archE1201ELNS1_3gpuE5ELNS1_3repE0EEENS1_30default_config_static_selectorELNS0_4arch9wavefront6targetE1EEEvT1_ ; -- Begin function _ZN7rocprim17ROCPRIM_400000_NS6detail17trampoline_kernelINS0_14default_configENS1_20scan_config_selectorIsEEZZNS1_9scan_implILNS1_25lookback_scan_determinismE0ELb0ELb0ES3_N6thrust23THRUST_200600_302600_NS6detail15normal_iteratorINS9_10device_ptrIsEEEESE_sNS9_4plusIvEEsEEDaPvRmT3_T4_T5_mT6_P12ihipStream_tbENKUlT_T0_E_clISt17integral_constantIbLb0EESU_EEDaSP_SQ_EUlSP_E0_NS1_11comp_targetILNS1_3genE10ELNS1_11target_archE1201ELNS1_3gpuE5ELNS1_3repE0EEENS1_30default_config_static_selectorELNS0_4arch9wavefront6targetE1EEEvT1_
	.globl	_ZN7rocprim17ROCPRIM_400000_NS6detail17trampoline_kernelINS0_14default_configENS1_20scan_config_selectorIsEEZZNS1_9scan_implILNS1_25lookback_scan_determinismE0ELb0ELb0ES3_N6thrust23THRUST_200600_302600_NS6detail15normal_iteratorINS9_10device_ptrIsEEEESE_sNS9_4plusIvEEsEEDaPvRmT3_T4_T5_mT6_P12ihipStream_tbENKUlT_T0_E_clISt17integral_constantIbLb0EESU_EEDaSP_SQ_EUlSP_E0_NS1_11comp_targetILNS1_3genE10ELNS1_11target_archE1201ELNS1_3gpuE5ELNS1_3repE0EEENS1_30default_config_static_selectorELNS0_4arch9wavefront6targetE1EEEvT1_
	.p2align	8
	.type	_ZN7rocprim17ROCPRIM_400000_NS6detail17trampoline_kernelINS0_14default_configENS1_20scan_config_selectorIsEEZZNS1_9scan_implILNS1_25lookback_scan_determinismE0ELb0ELb0ES3_N6thrust23THRUST_200600_302600_NS6detail15normal_iteratorINS9_10device_ptrIsEEEESE_sNS9_4plusIvEEsEEDaPvRmT3_T4_T5_mT6_P12ihipStream_tbENKUlT_T0_E_clISt17integral_constantIbLb0EESU_EEDaSP_SQ_EUlSP_E0_NS1_11comp_targetILNS1_3genE10ELNS1_11target_archE1201ELNS1_3gpuE5ELNS1_3repE0EEENS1_30default_config_static_selectorELNS0_4arch9wavefront6targetE1EEEvT1_,@function
_ZN7rocprim17ROCPRIM_400000_NS6detail17trampoline_kernelINS0_14default_configENS1_20scan_config_selectorIsEEZZNS1_9scan_implILNS1_25lookback_scan_determinismE0ELb0ELb0ES3_N6thrust23THRUST_200600_302600_NS6detail15normal_iteratorINS9_10device_ptrIsEEEESE_sNS9_4plusIvEEsEEDaPvRmT3_T4_T5_mT6_P12ihipStream_tbENKUlT_T0_E_clISt17integral_constantIbLb0EESU_EEDaSP_SQ_EUlSP_E0_NS1_11comp_targetILNS1_3genE10ELNS1_11target_archE1201ELNS1_3gpuE5ELNS1_3repE0EEENS1_30default_config_static_selectorELNS0_4arch9wavefront6targetE1EEEvT1_: ; @_ZN7rocprim17ROCPRIM_400000_NS6detail17trampoline_kernelINS0_14default_configENS1_20scan_config_selectorIsEEZZNS1_9scan_implILNS1_25lookback_scan_determinismE0ELb0ELb0ES3_N6thrust23THRUST_200600_302600_NS6detail15normal_iteratorINS9_10device_ptrIsEEEESE_sNS9_4plusIvEEsEEDaPvRmT3_T4_T5_mT6_P12ihipStream_tbENKUlT_T0_E_clISt17integral_constantIbLb0EESU_EEDaSP_SQ_EUlSP_E0_NS1_11comp_targetILNS1_3genE10ELNS1_11target_archE1201ELNS1_3gpuE5ELNS1_3repE0EEENS1_30default_config_static_selectorELNS0_4arch9wavefront6targetE1EEEvT1_
; %bb.0:
	.section	.rodata,"a",@progbits
	.p2align	6, 0x0
	.amdhsa_kernel _ZN7rocprim17ROCPRIM_400000_NS6detail17trampoline_kernelINS0_14default_configENS1_20scan_config_selectorIsEEZZNS1_9scan_implILNS1_25lookback_scan_determinismE0ELb0ELb0ES3_N6thrust23THRUST_200600_302600_NS6detail15normal_iteratorINS9_10device_ptrIsEEEESE_sNS9_4plusIvEEsEEDaPvRmT3_T4_T5_mT6_P12ihipStream_tbENKUlT_T0_E_clISt17integral_constantIbLb0EESU_EEDaSP_SQ_EUlSP_E0_NS1_11comp_targetILNS1_3genE10ELNS1_11target_archE1201ELNS1_3gpuE5ELNS1_3repE0EEENS1_30default_config_static_selectorELNS0_4arch9wavefront6targetE1EEEvT1_
		.amdhsa_group_segment_fixed_size 0
		.amdhsa_private_segment_fixed_size 0
		.amdhsa_kernarg_size 32
		.amdhsa_user_sgpr_count 6
		.amdhsa_user_sgpr_private_segment_buffer 1
		.amdhsa_user_sgpr_dispatch_ptr 0
		.amdhsa_user_sgpr_queue_ptr 0
		.amdhsa_user_sgpr_kernarg_segment_ptr 1
		.amdhsa_user_sgpr_dispatch_id 0
		.amdhsa_user_sgpr_flat_scratch_init 0
		.amdhsa_user_sgpr_kernarg_preload_length 0
		.amdhsa_user_sgpr_kernarg_preload_offset 0
		.amdhsa_user_sgpr_private_segment_size 0
		.amdhsa_uses_dynamic_stack 0
		.amdhsa_system_sgpr_private_segment_wavefront_offset 0
		.amdhsa_system_sgpr_workgroup_id_x 1
		.amdhsa_system_sgpr_workgroup_id_y 0
		.amdhsa_system_sgpr_workgroup_id_z 0
		.amdhsa_system_sgpr_workgroup_info 0
		.amdhsa_system_vgpr_workitem_id 0
		.amdhsa_next_free_vgpr 1
		.amdhsa_next_free_sgpr 0
		.amdhsa_accum_offset 4
		.amdhsa_reserve_vcc 0
		.amdhsa_reserve_flat_scratch 0
		.amdhsa_float_round_mode_32 0
		.amdhsa_float_round_mode_16_64 0
		.amdhsa_float_denorm_mode_32 3
		.amdhsa_float_denorm_mode_16_64 3
		.amdhsa_dx10_clamp 1
		.amdhsa_ieee_mode 1
		.amdhsa_fp16_overflow 0
		.amdhsa_tg_split 0
		.amdhsa_exception_fp_ieee_invalid_op 0
		.amdhsa_exception_fp_denorm_src 0
		.amdhsa_exception_fp_ieee_div_zero 0
		.amdhsa_exception_fp_ieee_overflow 0
		.amdhsa_exception_fp_ieee_underflow 0
		.amdhsa_exception_fp_ieee_inexact 0
		.amdhsa_exception_int_div_zero 0
	.end_amdhsa_kernel
	.section	.text._ZN7rocprim17ROCPRIM_400000_NS6detail17trampoline_kernelINS0_14default_configENS1_20scan_config_selectorIsEEZZNS1_9scan_implILNS1_25lookback_scan_determinismE0ELb0ELb0ES3_N6thrust23THRUST_200600_302600_NS6detail15normal_iteratorINS9_10device_ptrIsEEEESE_sNS9_4plusIvEEsEEDaPvRmT3_T4_T5_mT6_P12ihipStream_tbENKUlT_T0_E_clISt17integral_constantIbLb0EESU_EEDaSP_SQ_EUlSP_E0_NS1_11comp_targetILNS1_3genE10ELNS1_11target_archE1201ELNS1_3gpuE5ELNS1_3repE0EEENS1_30default_config_static_selectorELNS0_4arch9wavefront6targetE1EEEvT1_,"axG",@progbits,_ZN7rocprim17ROCPRIM_400000_NS6detail17trampoline_kernelINS0_14default_configENS1_20scan_config_selectorIsEEZZNS1_9scan_implILNS1_25lookback_scan_determinismE0ELb0ELb0ES3_N6thrust23THRUST_200600_302600_NS6detail15normal_iteratorINS9_10device_ptrIsEEEESE_sNS9_4plusIvEEsEEDaPvRmT3_T4_T5_mT6_P12ihipStream_tbENKUlT_T0_E_clISt17integral_constantIbLb0EESU_EEDaSP_SQ_EUlSP_E0_NS1_11comp_targetILNS1_3genE10ELNS1_11target_archE1201ELNS1_3gpuE5ELNS1_3repE0EEENS1_30default_config_static_selectorELNS0_4arch9wavefront6targetE1EEEvT1_,comdat
.Lfunc_end900:
	.size	_ZN7rocprim17ROCPRIM_400000_NS6detail17trampoline_kernelINS0_14default_configENS1_20scan_config_selectorIsEEZZNS1_9scan_implILNS1_25lookback_scan_determinismE0ELb0ELb0ES3_N6thrust23THRUST_200600_302600_NS6detail15normal_iteratorINS9_10device_ptrIsEEEESE_sNS9_4plusIvEEsEEDaPvRmT3_T4_T5_mT6_P12ihipStream_tbENKUlT_T0_E_clISt17integral_constantIbLb0EESU_EEDaSP_SQ_EUlSP_E0_NS1_11comp_targetILNS1_3genE10ELNS1_11target_archE1201ELNS1_3gpuE5ELNS1_3repE0EEENS1_30default_config_static_selectorELNS0_4arch9wavefront6targetE1EEEvT1_, .Lfunc_end900-_ZN7rocprim17ROCPRIM_400000_NS6detail17trampoline_kernelINS0_14default_configENS1_20scan_config_selectorIsEEZZNS1_9scan_implILNS1_25lookback_scan_determinismE0ELb0ELb0ES3_N6thrust23THRUST_200600_302600_NS6detail15normal_iteratorINS9_10device_ptrIsEEEESE_sNS9_4plusIvEEsEEDaPvRmT3_T4_T5_mT6_P12ihipStream_tbENKUlT_T0_E_clISt17integral_constantIbLb0EESU_EEDaSP_SQ_EUlSP_E0_NS1_11comp_targetILNS1_3genE10ELNS1_11target_archE1201ELNS1_3gpuE5ELNS1_3repE0EEENS1_30default_config_static_selectorELNS0_4arch9wavefront6targetE1EEEvT1_
                                        ; -- End function
	.section	.AMDGPU.csdata,"",@progbits
; Kernel info:
; codeLenInByte = 0
; NumSgprs: 4
; NumVgprs: 0
; NumAgprs: 0
; TotalNumVgprs: 0
; ScratchSize: 0
; MemoryBound: 0
; FloatMode: 240
; IeeeMode: 1
; LDSByteSize: 0 bytes/workgroup (compile time only)
; SGPRBlocks: 0
; VGPRBlocks: 0
; NumSGPRsForWavesPerEU: 4
; NumVGPRsForWavesPerEU: 1
; AccumOffset: 4
; Occupancy: 8
; WaveLimiterHint : 0
; COMPUTE_PGM_RSRC2:SCRATCH_EN: 0
; COMPUTE_PGM_RSRC2:USER_SGPR: 6
; COMPUTE_PGM_RSRC2:TRAP_HANDLER: 0
; COMPUTE_PGM_RSRC2:TGID_X_EN: 1
; COMPUTE_PGM_RSRC2:TGID_Y_EN: 0
; COMPUTE_PGM_RSRC2:TGID_Z_EN: 0
; COMPUTE_PGM_RSRC2:TIDIG_COMP_CNT: 0
; COMPUTE_PGM_RSRC3_GFX90A:ACCUM_OFFSET: 0
; COMPUTE_PGM_RSRC3_GFX90A:TG_SPLIT: 0
	.section	.text._ZN7rocprim17ROCPRIM_400000_NS6detail17trampoline_kernelINS0_14default_configENS1_20scan_config_selectorIsEEZZNS1_9scan_implILNS1_25lookback_scan_determinismE0ELb0ELb0ES3_N6thrust23THRUST_200600_302600_NS6detail15normal_iteratorINS9_10device_ptrIsEEEESE_sNS9_4plusIvEEsEEDaPvRmT3_T4_T5_mT6_P12ihipStream_tbENKUlT_T0_E_clISt17integral_constantIbLb0EESU_EEDaSP_SQ_EUlSP_E0_NS1_11comp_targetILNS1_3genE10ELNS1_11target_archE1200ELNS1_3gpuE4ELNS1_3repE0EEENS1_30default_config_static_selectorELNS0_4arch9wavefront6targetE1EEEvT1_,"axG",@progbits,_ZN7rocprim17ROCPRIM_400000_NS6detail17trampoline_kernelINS0_14default_configENS1_20scan_config_selectorIsEEZZNS1_9scan_implILNS1_25lookback_scan_determinismE0ELb0ELb0ES3_N6thrust23THRUST_200600_302600_NS6detail15normal_iteratorINS9_10device_ptrIsEEEESE_sNS9_4plusIvEEsEEDaPvRmT3_T4_T5_mT6_P12ihipStream_tbENKUlT_T0_E_clISt17integral_constantIbLb0EESU_EEDaSP_SQ_EUlSP_E0_NS1_11comp_targetILNS1_3genE10ELNS1_11target_archE1200ELNS1_3gpuE4ELNS1_3repE0EEENS1_30default_config_static_selectorELNS0_4arch9wavefront6targetE1EEEvT1_,comdat
	.protected	_ZN7rocprim17ROCPRIM_400000_NS6detail17trampoline_kernelINS0_14default_configENS1_20scan_config_selectorIsEEZZNS1_9scan_implILNS1_25lookback_scan_determinismE0ELb0ELb0ES3_N6thrust23THRUST_200600_302600_NS6detail15normal_iteratorINS9_10device_ptrIsEEEESE_sNS9_4plusIvEEsEEDaPvRmT3_T4_T5_mT6_P12ihipStream_tbENKUlT_T0_E_clISt17integral_constantIbLb0EESU_EEDaSP_SQ_EUlSP_E0_NS1_11comp_targetILNS1_3genE10ELNS1_11target_archE1200ELNS1_3gpuE4ELNS1_3repE0EEENS1_30default_config_static_selectorELNS0_4arch9wavefront6targetE1EEEvT1_ ; -- Begin function _ZN7rocprim17ROCPRIM_400000_NS6detail17trampoline_kernelINS0_14default_configENS1_20scan_config_selectorIsEEZZNS1_9scan_implILNS1_25lookback_scan_determinismE0ELb0ELb0ES3_N6thrust23THRUST_200600_302600_NS6detail15normal_iteratorINS9_10device_ptrIsEEEESE_sNS9_4plusIvEEsEEDaPvRmT3_T4_T5_mT6_P12ihipStream_tbENKUlT_T0_E_clISt17integral_constantIbLb0EESU_EEDaSP_SQ_EUlSP_E0_NS1_11comp_targetILNS1_3genE10ELNS1_11target_archE1200ELNS1_3gpuE4ELNS1_3repE0EEENS1_30default_config_static_selectorELNS0_4arch9wavefront6targetE1EEEvT1_
	.globl	_ZN7rocprim17ROCPRIM_400000_NS6detail17trampoline_kernelINS0_14default_configENS1_20scan_config_selectorIsEEZZNS1_9scan_implILNS1_25lookback_scan_determinismE0ELb0ELb0ES3_N6thrust23THRUST_200600_302600_NS6detail15normal_iteratorINS9_10device_ptrIsEEEESE_sNS9_4plusIvEEsEEDaPvRmT3_T4_T5_mT6_P12ihipStream_tbENKUlT_T0_E_clISt17integral_constantIbLb0EESU_EEDaSP_SQ_EUlSP_E0_NS1_11comp_targetILNS1_3genE10ELNS1_11target_archE1200ELNS1_3gpuE4ELNS1_3repE0EEENS1_30default_config_static_selectorELNS0_4arch9wavefront6targetE1EEEvT1_
	.p2align	8
	.type	_ZN7rocprim17ROCPRIM_400000_NS6detail17trampoline_kernelINS0_14default_configENS1_20scan_config_selectorIsEEZZNS1_9scan_implILNS1_25lookback_scan_determinismE0ELb0ELb0ES3_N6thrust23THRUST_200600_302600_NS6detail15normal_iteratorINS9_10device_ptrIsEEEESE_sNS9_4plusIvEEsEEDaPvRmT3_T4_T5_mT6_P12ihipStream_tbENKUlT_T0_E_clISt17integral_constantIbLb0EESU_EEDaSP_SQ_EUlSP_E0_NS1_11comp_targetILNS1_3genE10ELNS1_11target_archE1200ELNS1_3gpuE4ELNS1_3repE0EEENS1_30default_config_static_selectorELNS0_4arch9wavefront6targetE1EEEvT1_,@function
_ZN7rocprim17ROCPRIM_400000_NS6detail17trampoline_kernelINS0_14default_configENS1_20scan_config_selectorIsEEZZNS1_9scan_implILNS1_25lookback_scan_determinismE0ELb0ELb0ES3_N6thrust23THRUST_200600_302600_NS6detail15normal_iteratorINS9_10device_ptrIsEEEESE_sNS9_4plusIvEEsEEDaPvRmT3_T4_T5_mT6_P12ihipStream_tbENKUlT_T0_E_clISt17integral_constantIbLb0EESU_EEDaSP_SQ_EUlSP_E0_NS1_11comp_targetILNS1_3genE10ELNS1_11target_archE1200ELNS1_3gpuE4ELNS1_3repE0EEENS1_30default_config_static_selectorELNS0_4arch9wavefront6targetE1EEEvT1_: ; @_ZN7rocprim17ROCPRIM_400000_NS6detail17trampoline_kernelINS0_14default_configENS1_20scan_config_selectorIsEEZZNS1_9scan_implILNS1_25lookback_scan_determinismE0ELb0ELb0ES3_N6thrust23THRUST_200600_302600_NS6detail15normal_iteratorINS9_10device_ptrIsEEEESE_sNS9_4plusIvEEsEEDaPvRmT3_T4_T5_mT6_P12ihipStream_tbENKUlT_T0_E_clISt17integral_constantIbLb0EESU_EEDaSP_SQ_EUlSP_E0_NS1_11comp_targetILNS1_3genE10ELNS1_11target_archE1200ELNS1_3gpuE4ELNS1_3repE0EEENS1_30default_config_static_selectorELNS0_4arch9wavefront6targetE1EEEvT1_
; %bb.0:
	.section	.rodata,"a",@progbits
	.p2align	6, 0x0
	.amdhsa_kernel _ZN7rocprim17ROCPRIM_400000_NS6detail17trampoline_kernelINS0_14default_configENS1_20scan_config_selectorIsEEZZNS1_9scan_implILNS1_25lookback_scan_determinismE0ELb0ELb0ES3_N6thrust23THRUST_200600_302600_NS6detail15normal_iteratorINS9_10device_ptrIsEEEESE_sNS9_4plusIvEEsEEDaPvRmT3_T4_T5_mT6_P12ihipStream_tbENKUlT_T0_E_clISt17integral_constantIbLb0EESU_EEDaSP_SQ_EUlSP_E0_NS1_11comp_targetILNS1_3genE10ELNS1_11target_archE1200ELNS1_3gpuE4ELNS1_3repE0EEENS1_30default_config_static_selectorELNS0_4arch9wavefront6targetE1EEEvT1_
		.amdhsa_group_segment_fixed_size 0
		.amdhsa_private_segment_fixed_size 0
		.amdhsa_kernarg_size 32
		.amdhsa_user_sgpr_count 6
		.amdhsa_user_sgpr_private_segment_buffer 1
		.amdhsa_user_sgpr_dispatch_ptr 0
		.amdhsa_user_sgpr_queue_ptr 0
		.amdhsa_user_sgpr_kernarg_segment_ptr 1
		.amdhsa_user_sgpr_dispatch_id 0
		.amdhsa_user_sgpr_flat_scratch_init 0
		.amdhsa_user_sgpr_kernarg_preload_length 0
		.amdhsa_user_sgpr_kernarg_preload_offset 0
		.amdhsa_user_sgpr_private_segment_size 0
		.amdhsa_uses_dynamic_stack 0
		.amdhsa_system_sgpr_private_segment_wavefront_offset 0
		.amdhsa_system_sgpr_workgroup_id_x 1
		.amdhsa_system_sgpr_workgroup_id_y 0
		.amdhsa_system_sgpr_workgroup_id_z 0
		.amdhsa_system_sgpr_workgroup_info 0
		.amdhsa_system_vgpr_workitem_id 0
		.amdhsa_next_free_vgpr 1
		.amdhsa_next_free_sgpr 0
		.amdhsa_accum_offset 4
		.amdhsa_reserve_vcc 0
		.amdhsa_reserve_flat_scratch 0
		.amdhsa_float_round_mode_32 0
		.amdhsa_float_round_mode_16_64 0
		.amdhsa_float_denorm_mode_32 3
		.amdhsa_float_denorm_mode_16_64 3
		.amdhsa_dx10_clamp 1
		.amdhsa_ieee_mode 1
		.amdhsa_fp16_overflow 0
		.amdhsa_tg_split 0
		.amdhsa_exception_fp_ieee_invalid_op 0
		.amdhsa_exception_fp_denorm_src 0
		.amdhsa_exception_fp_ieee_div_zero 0
		.amdhsa_exception_fp_ieee_overflow 0
		.amdhsa_exception_fp_ieee_underflow 0
		.amdhsa_exception_fp_ieee_inexact 0
		.amdhsa_exception_int_div_zero 0
	.end_amdhsa_kernel
	.section	.text._ZN7rocprim17ROCPRIM_400000_NS6detail17trampoline_kernelINS0_14default_configENS1_20scan_config_selectorIsEEZZNS1_9scan_implILNS1_25lookback_scan_determinismE0ELb0ELb0ES3_N6thrust23THRUST_200600_302600_NS6detail15normal_iteratorINS9_10device_ptrIsEEEESE_sNS9_4plusIvEEsEEDaPvRmT3_T4_T5_mT6_P12ihipStream_tbENKUlT_T0_E_clISt17integral_constantIbLb0EESU_EEDaSP_SQ_EUlSP_E0_NS1_11comp_targetILNS1_3genE10ELNS1_11target_archE1200ELNS1_3gpuE4ELNS1_3repE0EEENS1_30default_config_static_selectorELNS0_4arch9wavefront6targetE1EEEvT1_,"axG",@progbits,_ZN7rocprim17ROCPRIM_400000_NS6detail17trampoline_kernelINS0_14default_configENS1_20scan_config_selectorIsEEZZNS1_9scan_implILNS1_25lookback_scan_determinismE0ELb0ELb0ES3_N6thrust23THRUST_200600_302600_NS6detail15normal_iteratorINS9_10device_ptrIsEEEESE_sNS9_4plusIvEEsEEDaPvRmT3_T4_T5_mT6_P12ihipStream_tbENKUlT_T0_E_clISt17integral_constantIbLb0EESU_EEDaSP_SQ_EUlSP_E0_NS1_11comp_targetILNS1_3genE10ELNS1_11target_archE1200ELNS1_3gpuE4ELNS1_3repE0EEENS1_30default_config_static_selectorELNS0_4arch9wavefront6targetE1EEEvT1_,comdat
.Lfunc_end901:
	.size	_ZN7rocprim17ROCPRIM_400000_NS6detail17trampoline_kernelINS0_14default_configENS1_20scan_config_selectorIsEEZZNS1_9scan_implILNS1_25lookback_scan_determinismE0ELb0ELb0ES3_N6thrust23THRUST_200600_302600_NS6detail15normal_iteratorINS9_10device_ptrIsEEEESE_sNS9_4plusIvEEsEEDaPvRmT3_T4_T5_mT6_P12ihipStream_tbENKUlT_T0_E_clISt17integral_constantIbLb0EESU_EEDaSP_SQ_EUlSP_E0_NS1_11comp_targetILNS1_3genE10ELNS1_11target_archE1200ELNS1_3gpuE4ELNS1_3repE0EEENS1_30default_config_static_selectorELNS0_4arch9wavefront6targetE1EEEvT1_, .Lfunc_end901-_ZN7rocprim17ROCPRIM_400000_NS6detail17trampoline_kernelINS0_14default_configENS1_20scan_config_selectorIsEEZZNS1_9scan_implILNS1_25lookback_scan_determinismE0ELb0ELb0ES3_N6thrust23THRUST_200600_302600_NS6detail15normal_iteratorINS9_10device_ptrIsEEEESE_sNS9_4plusIvEEsEEDaPvRmT3_T4_T5_mT6_P12ihipStream_tbENKUlT_T0_E_clISt17integral_constantIbLb0EESU_EEDaSP_SQ_EUlSP_E0_NS1_11comp_targetILNS1_3genE10ELNS1_11target_archE1200ELNS1_3gpuE4ELNS1_3repE0EEENS1_30default_config_static_selectorELNS0_4arch9wavefront6targetE1EEEvT1_
                                        ; -- End function
	.section	.AMDGPU.csdata,"",@progbits
; Kernel info:
; codeLenInByte = 0
; NumSgprs: 4
; NumVgprs: 0
; NumAgprs: 0
; TotalNumVgprs: 0
; ScratchSize: 0
; MemoryBound: 0
; FloatMode: 240
; IeeeMode: 1
; LDSByteSize: 0 bytes/workgroup (compile time only)
; SGPRBlocks: 0
; VGPRBlocks: 0
; NumSGPRsForWavesPerEU: 4
; NumVGPRsForWavesPerEU: 1
; AccumOffset: 4
; Occupancy: 8
; WaveLimiterHint : 0
; COMPUTE_PGM_RSRC2:SCRATCH_EN: 0
; COMPUTE_PGM_RSRC2:USER_SGPR: 6
; COMPUTE_PGM_RSRC2:TRAP_HANDLER: 0
; COMPUTE_PGM_RSRC2:TGID_X_EN: 1
; COMPUTE_PGM_RSRC2:TGID_Y_EN: 0
; COMPUTE_PGM_RSRC2:TGID_Z_EN: 0
; COMPUTE_PGM_RSRC2:TIDIG_COMP_CNT: 0
; COMPUTE_PGM_RSRC3_GFX90A:ACCUM_OFFSET: 0
; COMPUTE_PGM_RSRC3_GFX90A:TG_SPLIT: 0
	.section	.text._ZN7rocprim17ROCPRIM_400000_NS6detail17trampoline_kernelINS0_14default_configENS1_20scan_config_selectorIsEEZZNS1_9scan_implILNS1_25lookback_scan_determinismE0ELb0ELb0ES3_N6thrust23THRUST_200600_302600_NS6detail15normal_iteratorINS9_10device_ptrIsEEEESE_sNS9_4plusIvEEsEEDaPvRmT3_T4_T5_mT6_P12ihipStream_tbENKUlT_T0_E_clISt17integral_constantIbLb0EESU_EEDaSP_SQ_EUlSP_E0_NS1_11comp_targetILNS1_3genE9ELNS1_11target_archE1100ELNS1_3gpuE3ELNS1_3repE0EEENS1_30default_config_static_selectorELNS0_4arch9wavefront6targetE1EEEvT1_,"axG",@progbits,_ZN7rocprim17ROCPRIM_400000_NS6detail17trampoline_kernelINS0_14default_configENS1_20scan_config_selectorIsEEZZNS1_9scan_implILNS1_25lookback_scan_determinismE0ELb0ELb0ES3_N6thrust23THRUST_200600_302600_NS6detail15normal_iteratorINS9_10device_ptrIsEEEESE_sNS9_4plusIvEEsEEDaPvRmT3_T4_T5_mT6_P12ihipStream_tbENKUlT_T0_E_clISt17integral_constantIbLb0EESU_EEDaSP_SQ_EUlSP_E0_NS1_11comp_targetILNS1_3genE9ELNS1_11target_archE1100ELNS1_3gpuE3ELNS1_3repE0EEENS1_30default_config_static_selectorELNS0_4arch9wavefront6targetE1EEEvT1_,comdat
	.protected	_ZN7rocprim17ROCPRIM_400000_NS6detail17trampoline_kernelINS0_14default_configENS1_20scan_config_selectorIsEEZZNS1_9scan_implILNS1_25lookback_scan_determinismE0ELb0ELb0ES3_N6thrust23THRUST_200600_302600_NS6detail15normal_iteratorINS9_10device_ptrIsEEEESE_sNS9_4plusIvEEsEEDaPvRmT3_T4_T5_mT6_P12ihipStream_tbENKUlT_T0_E_clISt17integral_constantIbLb0EESU_EEDaSP_SQ_EUlSP_E0_NS1_11comp_targetILNS1_3genE9ELNS1_11target_archE1100ELNS1_3gpuE3ELNS1_3repE0EEENS1_30default_config_static_selectorELNS0_4arch9wavefront6targetE1EEEvT1_ ; -- Begin function _ZN7rocprim17ROCPRIM_400000_NS6detail17trampoline_kernelINS0_14default_configENS1_20scan_config_selectorIsEEZZNS1_9scan_implILNS1_25lookback_scan_determinismE0ELb0ELb0ES3_N6thrust23THRUST_200600_302600_NS6detail15normal_iteratorINS9_10device_ptrIsEEEESE_sNS9_4plusIvEEsEEDaPvRmT3_T4_T5_mT6_P12ihipStream_tbENKUlT_T0_E_clISt17integral_constantIbLb0EESU_EEDaSP_SQ_EUlSP_E0_NS1_11comp_targetILNS1_3genE9ELNS1_11target_archE1100ELNS1_3gpuE3ELNS1_3repE0EEENS1_30default_config_static_selectorELNS0_4arch9wavefront6targetE1EEEvT1_
	.globl	_ZN7rocprim17ROCPRIM_400000_NS6detail17trampoline_kernelINS0_14default_configENS1_20scan_config_selectorIsEEZZNS1_9scan_implILNS1_25lookback_scan_determinismE0ELb0ELb0ES3_N6thrust23THRUST_200600_302600_NS6detail15normal_iteratorINS9_10device_ptrIsEEEESE_sNS9_4plusIvEEsEEDaPvRmT3_T4_T5_mT6_P12ihipStream_tbENKUlT_T0_E_clISt17integral_constantIbLb0EESU_EEDaSP_SQ_EUlSP_E0_NS1_11comp_targetILNS1_3genE9ELNS1_11target_archE1100ELNS1_3gpuE3ELNS1_3repE0EEENS1_30default_config_static_selectorELNS0_4arch9wavefront6targetE1EEEvT1_
	.p2align	8
	.type	_ZN7rocprim17ROCPRIM_400000_NS6detail17trampoline_kernelINS0_14default_configENS1_20scan_config_selectorIsEEZZNS1_9scan_implILNS1_25lookback_scan_determinismE0ELb0ELb0ES3_N6thrust23THRUST_200600_302600_NS6detail15normal_iteratorINS9_10device_ptrIsEEEESE_sNS9_4plusIvEEsEEDaPvRmT3_T4_T5_mT6_P12ihipStream_tbENKUlT_T0_E_clISt17integral_constantIbLb0EESU_EEDaSP_SQ_EUlSP_E0_NS1_11comp_targetILNS1_3genE9ELNS1_11target_archE1100ELNS1_3gpuE3ELNS1_3repE0EEENS1_30default_config_static_selectorELNS0_4arch9wavefront6targetE1EEEvT1_,@function
_ZN7rocprim17ROCPRIM_400000_NS6detail17trampoline_kernelINS0_14default_configENS1_20scan_config_selectorIsEEZZNS1_9scan_implILNS1_25lookback_scan_determinismE0ELb0ELb0ES3_N6thrust23THRUST_200600_302600_NS6detail15normal_iteratorINS9_10device_ptrIsEEEESE_sNS9_4plusIvEEsEEDaPvRmT3_T4_T5_mT6_P12ihipStream_tbENKUlT_T0_E_clISt17integral_constantIbLb0EESU_EEDaSP_SQ_EUlSP_E0_NS1_11comp_targetILNS1_3genE9ELNS1_11target_archE1100ELNS1_3gpuE3ELNS1_3repE0EEENS1_30default_config_static_selectorELNS0_4arch9wavefront6targetE1EEEvT1_: ; @_ZN7rocprim17ROCPRIM_400000_NS6detail17trampoline_kernelINS0_14default_configENS1_20scan_config_selectorIsEEZZNS1_9scan_implILNS1_25lookback_scan_determinismE0ELb0ELb0ES3_N6thrust23THRUST_200600_302600_NS6detail15normal_iteratorINS9_10device_ptrIsEEEESE_sNS9_4plusIvEEsEEDaPvRmT3_T4_T5_mT6_P12ihipStream_tbENKUlT_T0_E_clISt17integral_constantIbLb0EESU_EEDaSP_SQ_EUlSP_E0_NS1_11comp_targetILNS1_3genE9ELNS1_11target_archE1100ELNS1_3gpuE3ELNS1_3repE0EEENS1_30default_config_static_selectorELNS0_4arch9wavefront6targetE1EEEvT1_
; %bb.0:
	.section	.rodata,"a",@progbits
	.p2align	6, 0x0
	.amdhsa_kernel _ZN7rocprim17ROCPRIM_400000_NS6detail17trampoline_kernelINS0_14default_configENS1_20scan_config_selectorIsEEZZNS1_9scan_implILNS1_25lookback_scan_determinismE0ELb0ELb0ES3_N6thrust23THRUST_200600_302600_NS6detail15normal_iteratorINS9_10device_ptrIsEEEESE_sNS9_4plusIvEEsEEDaPvRmT3_T4_T5_mT6_P12ihipStream_tbENKUlT_T0_E_clISt17integral_constantIbLb0EESU_EEDaSP_SQ_EUlSP_E0_NS1_11comp_targetILNS1_3genE9ELNS1_11target_archE1100ELNS1_3gpuE3ELNS1_3repE0EEENS1_30default_config_static_selectorELNS0_4arch9wavefront6targetE1EEEvT1_
		.amdhsa_group_segment_fixed_size 0
		.amdhsa_private_segment_fixed_size 0
		.amdhsa_kernarg_size 32
		.amdhsa_user_sgpr_count 6
		.amdhsa_user_sgpr_private_segment_buffer 1
		.amdhsa_user_sgpr_dispatch_ptr 0
		.amdhsa_user_sgpr_queue_ptr 0
		.amdhsa_user_sgpr_kernarg_segment_ptr 1
		.amdhsa_user_sgpr_dispatch_id 0
		.amdhsa_user_sgpr_flat_scratch_init 0
		.amdhsa_user_sgpr_kernarg_preload_length 0
		.amdhsa_user_sgpr_kernarg_preload_offset 0
		.amdhsa_user_sgpr_private_segment_size 0
		.amdhsa_uses_dynamic_stack 0
		.amdhsa_system_sgpr_private_segment_wavefront_offset 0
		.amdhsa_system_sgpr_workgroup_id_x 1
		.amdhsa_system_sgpr_workgroup_id_y 0
		.amdhsa_system_sgpr_workgroup_id_z 0
		.amdhsa_system_sgpr_workgroup_info 0
		.amdhsa_system_vgpr_workitem_id 0
		.amdhsa_next_free_vgpr 1
		.amdhsa_next_free_sgpr 0
		.amdhsa_accum_offset 4
		.amdhsa_reserve_vcc 0
		.amdhsa_reserve_flat_scratch 0
		.amdhsa_float_round_mode_32 0
		.amdhsa_float_round_mode_16_64 0
		.amdhsa_float_denorm_mode_32 3
		.amdhsa_float_denorm_mode_16_64 3
		.amdhsa_dx10_clamp 1
		.amdhsa_ieee_mode 1
		.amdhsa_fp16_overflow 0
		.amdhsa_tg_split 0
		.amdhsa_exception_fp_ieee_invalid_op 0
		.amdhsa_exception_fp_denorm_src 0
		.amdhsa_exception_fp_ieee_div_zero 0
		.amdhsa_exception_fp_ieee_overflow 0
		.amdhsa_exception_fp_ieee_underflow 0
		.amdhsa_exception_fp_ieee_inexact 0
		.amdhsa_exception_int_div_zero 0
	.end_amdhsa_kernel
	.section	.text._ZN7rocprim17ROCPRIM_400000_NS6detail17trampoline_kernelINS0_14default_configENS1_20scan_config_selectorIsEEZZNS1_9scan_implILNS1_25lookback_scan_determinismE0ELb0ELb0ES3_N6thrust23THRUST_200600_302600_NS6detail15normal_iteratorINS9_10device_ptrIsEEEESE_sNS9_4plusIvEEsEEDaPvRmT3_T4_T5_mT6_P12ihipStream_tbENKUlT_T0_E_clISt17integral_constantIbLb0EESU_EEDaSP_SQ_EUlSP_E0_NS1_11comp_targetILNS1_3genE9ELNS1_11target_archE1100ELNS1_3gpuE3ELNS1_3repE0EEENS1_30default_config_static_selectorELNS0_4arch9wavefront6targetE1EEEvT1_,"axG",@progbits,_ZN7rocprim17ROCPRIM_400000_NS6detail17trampoline_kernelINS0_14default_configENS1_20scan_config_selectorIsEEZZNS1_9scan_implILNS1_25lookback_scan_determinismE0ELb0ELb0ES3_N6thrust23THRUST_200600_302600_NS6detail15normal_iteratorINS9_10device_ptrIsEEEESE_sNS9_4plusIvEEsEEDaPvRmT3_T4_T5_mT6_P12ihipStream_tbENKUlT_T0_E_clISt17integral_constantIbLb0EESU_EEDaSP_SQ_EUlSP_E0_NS1_11comp_targetILNS1_3genE9ELNS1_11target_archE1100ELNS1_3gpuE3ELNS1_3repE0EEENS1_30default_config_static_selectorELNS0_4arch9wavefront6targetE1EEEvT1_,comdat
.Lfunc_end902:
	.size	_ZN7rocprim17ROCPRIM_400000_NS6detail17trampoline_kernelINS0_14default_configENS1_20scan_config_selectorIsEEZZNS1_9scan_implILNS1_25lookback_scan_determinismE0ELb0ELb0ES3_N6thrust23THRUST_200600_302600_NS6detail15normal_iteratorINS9_10device_ptrIsEEEESE_sNS9_4plusIvEEsEEDaPvRmT3_T4_T5_mT6_P12ihipStream_tbENKUlT_T0_E_clISt17integral_constantIbLb0EESU_EEDaSP_SQ_EUlSP_E0_NS1_11comp_targetILNS1_3genE9ELNS1_11target_archE1100ELNS1_3gpuE3ELNS1_3repE0EEENS1_30default_config_static_selectorELNS0_4arch9wavefront6targetE1EEEvT1_, .Lfunc_end902-_ZN7rocprim17ROCPRIM_400000_NS6detail17trampoline_kernelINS0_14default_configENS1_20scan_config_selectorIsEEZZNS1_9scan_implILNS1_25lookback_scan_determinismE0ELb0ELb0ES3_N6thrust23THRUST_200600_302600_NS6detail15normal_iteratorINS9_10device_ptrIsEEEESE_sNS9_4plusIvEEsEEDaPvRmT3_T4_T5_mT6_P12ihipStream_tbENKUlT_T0_E_clISt17integral_constantIbLb0EESU_EEDaSP_SQ_EUlSP_E0_NS1_11comp_targetILNS1_3genE9ELNS1_11target_archE1100ELNS1_3gpuE3ELNS1_3repE0EEENS1_30default_config_static_selectorELNS0_4arch9wavefront6targetE1EEEvT1_
                                        ; -- End function
	.section	.AMDGPU.csdata,"",@progbits
; Kernel info:
; codeLenInByte = 0
; NumSgprs: 4
; NumVgprs: 0
; NumAgprs: 0
; TotalNumVgprs: 0
; ScratchSize: 0
; MemoryBound: 0
; FloatMode: 240
; IeeeMode: 1
; LDSByteSize: 0 bytes/workgroup (compile time only)
; SGPRBlocks: 0
; VGPRBlocks: 0
; NumSGPRsForWavesPerEU: 4
; NumVGPRsForWavesPerEU: 1
; AccumOffset: 4
; Occupancy: 8
; WaveLimiterHint : 0
; COMPUTE_PGM_RSRC2:SCRATCH_EN: 0
; COMPUTE_PGM_RSRC2:USER_SGPR: 6
; COMPUTE_PGM_RSRC2:TRAP_HANDLER: 0
; COMPUTE_PGM_RSRC2:TGID_X_EN: 1
; COMPUTE_PGM_RSRC2:TGID_Y_EN: 0
; COMPUTE_PGM_RSRC2:TGID_Z_EN: 0
; COMPUTE_PGM_RSRC2:TIDIG_COMP_CNT: 0
; COMPUTE_PGM_RSRC3_GFX90A:ACCUM_OFFSET: 0
; COMPUTE_PGM_RSRC3_GFX90A:TG_SPLIT: 0
	.section	.text._ZN7rocprim17ROCPRIM_400000_NS6detail17trampoline_kernelINS0_14default_configENS1_20scan_config_selectorIsEEZZNS1_9scan_implILNS1_25lookback_scan_determinismE0ELb0ELb0ES3_N6thrust23THRUST_200600_302600_NS6detail15normal_iteratorINS9_10device_ptrIsEEEESE_sNS9_4plusIvEEsEEDaPvRmT3_T4_T5_mT6_P12ihipStream_tbENKUlT_T0_E_clISt17integral_constantIbLb0EESU_EEDaSP_SQ_EUlSP_E0_NS1_11comp_targetILNS1_3genE8ELNS1_11target_archE1030ELNS1_3gpuE2ELNS1_3repE0EEENS1_30default_config_static_selectorELNS0_4arch9wavefront6targetE1EEEvT1_,"axG",@progbits,_ZN7rocprim17ROCPRIM_400000_NS6detail17trampoline_kernelINS0_14default_configENS1_20scan_config_selectorIsEEZZNS1_9scan_implILNS1_25lookback_scan_determinismE0ELb0ELb0ES3_N6thrust23THRUST_200600_302600_NS6detail15normal_iteratorINS9_10device_ptrIsEEEESE_sNS9_4plusIvEEsEEDaPvRmT3_T4_T5_mT6_P12ihipStream_tbENKUlT_T0_E_clISt17integral_constantIbLb0EESU_EEDaSP_SQ_EUlSP_E0_NS1_11comp_targetILNS1_3genE8ELNS1_11target_archE1030ELNS1_3gpuE2ELNS1_3repE0EEENS1_30default_config_static_selectorELNS0_4arch9wavefront6targetE1EEEvT1_,comdat
	.protected	_ZN7rocprim17ROCPRIM_400000_NS6detail17trampoline_kernelINS0_14default_configENS1_20scan_config_selectorIsEEZZNS1_9scan_implILNS1_25lookback_scan_determinismE0ELb0ELb0ES3_N6thrust23THRUST_200600_302600_NS6detail15normal_iteratorINS9_10device_ptrIsEEEESE_sNS9_4plusIvEEsEEDaPvRmT3_T4_T5_mT6_P12ihipStream_tbENKUlT_T0_E_clISt17integral_constantIbLb0EESU_EEDaSP_SQ_EUlSP_E0_NS1_11comp_targetILNS1_3genE8ELNS1_11target_archE1030ELNS1_3gpuE2ELNS1_3repE0EEENS1_30default_config_static_selectorELNS0_4arch9wavefront6targetE1EEEvT1_ ; -- Begin function _ZN7rocprim17ROCPRIM_400000_NS6detail17trampoline_kernelINS0_14default_configENS1_20scan_config_selectorIsEEZZNS1_9scan_implILNS1_25lookback_scan_determinismE0ELb0ELb0ES3_N6thrust23THRUST_200600_302600_NS6detail15normal_iteratorINS9_10device_ptrIsEEEESE_sNS9_4plusIvEEsEEDaPvRmT3_T4_T5_mT6_P12ihipStream_tbENKUlT_T0_E_clISt17integral_constantIbLb0EESU_EEDaSP_SQ_EUlSP_E0_NS1_11comp_targetILNS1_3genE8ELNS1_11target_archE1030ELNS1_3gpuE2ELNS1_3repE0EEENS1_30default_config_static_selectorELNS0_4arch9wavefront6targetE1EEEvT1_
	.globl	_ZN7rocprim17ROCPRIM_400000_NS6detail17trampoline_kernelINS0_14default_configENS1_20scan_config_selectorIsEEZZNS1_9scan_implILNS1_25lookback_scan_determinismE0ELb0ELb0ES3_N6thrust23THRUST_200600_302600_NS6detail15normal_iteratorINS9_10device_ptrIsEEEESE_sNS9_4plusIvEEsEEDaPvRmT3_T4_T5_mT6_P12ihipStream_tbENKUlT_T0_E_clISt17integral_constantIbLb0EESU_EEDaSP_SQ_EUlSP_E0_NS1_11comp_targetILNS1_3genE8ELNS1_11target_archE1030ELNS1_3gpuE2ELNS1_3repE0EEENS1_30default_config_static_selectorELNS0_4arch9wavefront6targetE1EEEvT1_
	.p2align	8
	.type	_ZN7rocprim17ROCPRIM_400000_NS6detail17trampoline_kernelINS0_14default_configENS1_20scan_config_selectorIsEEZZNS1_9scan_implILNS1_25lookback_scan_determinismE0ELb0ELb0ES3_N6thrust23THRUST_200600_302600_NS6detail15normal_iteratorINS9_10device_ptrIsEEEESE_sNS9_4plusIvEEsEEDaPvRmT3_T4_T5_mT6_P12ihipStream_tbENKUlT_T0_E_clISt17integral_constantIbLb0EESU_EEDaSP_SQ_EUlSP_E0_NS1_11comp_targetILNS1_3genE8ELNS1_11target_archE1030ELNS1_3gpuE2ELNS1_3repE0EEENS1_30default_config_static_selectorELNS0_4arch9wavefront6targetE1EEEvT1_,@function
_ZN7rocprim17ROCPRIM_400000_NS6detail17trampoline_kernelINS0_14default_configENS1_20scan_config_selectorIsEEZZNS1_9scan_implILNS1_25lookback_scan_determinismE0ELb0ELb0ES3_N6thrust23THRUST_200600_302600_NS6detail15normal_iteratorINS9_10device_ptrIsEEEESE_sNS9_4plusIvEEsEEDaPvRmT3_T4_T5_mT6_P12ihipStream_tbENKUlT_T0_E_clISt17integral_constantIbLb0EESU_EEDaSP_SQ_EUlSP_E0_NS1_11comp_targetILNS1_3genE8ELNS1_11target_archE1030ELNS1_3gpuE2ELNS1_3repE0EEENS1_30default_config_static_selectorELNS0_4arch9wavefront6targetE1EEEvT1_: ; @_ZN7rocprim17ROCPRIM_400000_NS6detail17trampoline_kernelINS0_14default_configENS1_20scan_config_selectorIsEEZZNS1_9scan_implILNS1_25lookback_scan_determinismE0ELb0ELb0ES3_N6thrust23THRUST_200600_302600_NS6detail15normal_iteratorINS9_10device_ptrIsEEEESE_sNS9_4plusIvEEsEEDaPvRmT3_T4_T5_mT6_P12ihipStream_tbENKUlT_T0_E_clISt17integral_constantIbLb0EESU_EEDaSP_SQ_EUlSP_E0_NS1_11comp_targetILNS1_3genE8ELNS1_11target_archE1030ELNS1_3gpuE2ELNS1_3repE0EEENS1_30default_config_static_selectorELNS0_4arch9wavefront6targetE1EEEvT1_
; %bb.0:
	.section	.rodata,"a",@progbits
	.p2align	6, 0x0
	.amdhsa_kernel _ZN7rocprim17ROCPRIM_400000_NS6detail17trampoline_kernelINS0_14default_configENS1_20scan_config_selectorIsEEZZNS1_9scan_implILNS1_25lookback_scan_determinismE0ELb0ELb0ES3_N6thrust23THRUST_200600_302600_NS6detail15normal_iteratorINS9_10device_ptrIsEEEESE_sNS9_4plusIvEEsEEDaPvRmT3_T4_T5_mT6_P12ihipStream_tbENKUlT_T0_E_clISt17integral_constantIbLb0EESU_EEDaSP_SQ_EUlSP_E0_NS1_11comp_targetILNS1_3genE8ELNS1_11target_archE1030ELNS1_3gpuE2ELNS1_3repE0EEENS1_30default_config_static_selectorELNS0_4arch9wavefront6targetE1EEEvT1_
		.amdhsa_group_segment_fixed_size 0
		.amdhsa_private_segment_fixed_size 0
		.amdhsa_kernarg_size 32
		.amdhsa_user_sgpr_count 6
		.amdhsa_user_sgpr_private_segment_buffer 1
		.amdhsa_user_sgpr_dispatch_ptr 0
		.amdhsa_user_sgpr_queue_ptr 0
		.amdhsa_user_sgpr_kernarg_segment_ptr 1
		.amdhsa_user_sgpr_dispatch_id 0
		.amdhsa_user_sgpr_flat_scratch_init 0
		.amdhsa_user_sgpr_kernarg_preload_length 0
		.amdhsa_user_sgpr_kernarg_preload_offset 0
		.amdhsa_user_sgpr_private_segment_size 0
		.amdhsa_uses_dynamic_stack 0
		.amdhsa_system_sgpr_private_segment_wavefront_offset 0
		.amdhsa_system_sgpr_workgroup_id_x 1
		.amdhsa_system_sgpr_workgroup_id_y 0
		.amdhsa_system_sgpr_workgroup_id_z 0
		.amdhsa_system_sgpr_workgroup_info 0
		.amdhsa_system_vgpr_workitem_id 0
		.amdhsa_next_free_vgpr 1
		.amdhsa_next_free_sgpr 0
		.amdhsa_accum_offset 4
		.amdhsa_reserve_vcc 0
		.amdhsa_reserve_flat_scratch 0
		.amdhsa_float_round_mode_32 0
		.amdhsa_float_round_mode_16_64 0
		.amdhsa_float_denorm_mode_32 3
		.amdhsa_float_denorm_mode_16_64 3
		.amdhsa_dx10_clamp 1
		.amdhsa_ieee_mode 1
		.amdhsa_fp16_overflow 0
		.amdhsa_tg_split 0
		.amdhsa_exception_fp_ieee_invalid_op 0
		.amdhsa_exception_fp_denorm_src 0
		.amdhsa_exception_fp_ieee_div_zero 0
		.amdhsa_exception_fp_ieee_overflow 0
		.amdhsa_exception_fp_ieee_underflow 0
		.amdhsa_exception_fp_ieee_inexact 0
		.amdhsa_exception_int_div_zero 0
	.end_amdhsa_kernel
	.section	.text._ZN7rocprim17ROCPRIM_400000_NS6detail17trampoline_kernelINS0_14default_configENS1_20scan_config_selectorIsEEZZNS1_9scan_implILNS1_25lookback_scan_determinismE0ELb0ELb0ES3_N6thrust23THRUST_200600_302600_NS6detail15normal_iteratorINS9_10device_ptrIsEEEESE_sNS9_4plusIvEEsEEDaPvRmT3_T4_T5_mT6_P12ihipStream_tbENKUlT_T0_E_clISt17integral_constantIbLb0EESU_EEDaSP_SQ_EUlSP_E0_NS1_11comp_targetILNS1_3genE8ELNS1_11target_archE1030ELNS1_3gpuE2ELNS1_3repE0EEENS1_30default_config_static_selectorELNS0_4arch9wavefront6targetE1EEEvT1_,"axG",@progbits,_ZN7rocprim17ROCPRIM_400000_NS6detail17trampoline_kernelINS0_14default_configENS1_20scan_config_selectorIsEEZZNS1_9scan_implILNS1_25lookback_scan_determinismE0ELb0ELb0ES3_N6thrust23THRUST_200600_302600_NS6detail15normal_iteratorINS9_10device_ptrIsEEEESE_sNS9_4plusIvEEsEEDaPvRmT3_T4_T5_mT6_P12ihipStream_tbENKUlT_T0_E_clISt17integral_constantIbLb0EESU_EEDaSP_SQ_EUlSP_E0_NS1_11comp_targetILNS1_3genE8ELNS1_11target_archE1030ELNS1_3gpuE2ELNS1_3repE0EEENS1_30default_config_static_selectorELNS0_4arch9wavefront6targetE1EEEvT1_,comdat
.Lfunc_end903:
	.size	_ZN7rocprim17ROCPRIM_400000_NS6detail17trampoline_kernelINS0_14default_configENS1_20scan_config_selectorIsEEZZNS1_9scan_implILNS1_25lookback_scan_determinismE0ELb0ELb0ES3_N6thrust23THRUST_200600_302600_NS6detail15normal_iteratorINS9_10device_ptrIsEEEESE_sNS9_4plusIvEEsEEDaPvRmT3_T4_T5_mT6_P12ihipStream_tbENKUlT_T0_E_clISt17integral_constantIbLb0EESU_EEDaSP_SQ_EUlSP_E0_NS1_11comp_targetILNS1_3genE8ELNS1_11target_archE1030ELNS1_3gpuE2ELNS1_3repE0EEENS1_30default_config_static_selectorELNS0_4arch9wavefront6targetE1EEEvT1_, .Lfunc_end903-_ZN7rocprim17ROCPRIM_400000_NS6detail17trampoline_kernelINS0_14default_configENS1_20scan_config_selectorIsEEZZNS1_9scan_implILNS1_25lookback_scan_determinismE0ELb0ELb0ES3_N6thrust23THRUST_200600_302600_NS6detail15normal_iteratorINS9_10device_ptrIsEEEESE_sNS9_4plusIvEEsEEDaPvRmT3_T4_T5_mT6_P12ihipStream_tbENKUlT_T0_E_clISt17integral_constantIbLb0EESU_EEDaSP_SQ_EUlSP_E0_NS1_11comp_targetILNS1_3genE8ELNS1_11target_archE1030ELNS1_3gpuE2ELNS1_3repE0EEENS1_30default_config_static_selectorELNS0_4arch9wavefront6targetE1EEEvT1_
                                        ; -- End function
	.section	.AMDGPU.csdata,"",@progbits
; Kernel info:
; codeLenInByte = 0
; NumSgprs: 4
; NumVgprs: 0
; NumAgprs: 0
; TotalNumVgprs: 0
; ScratchSize: 0
; MemoryBound: 0
; FloatMode: 240
; IeeeMode: 1
; LDSByteSize: 0 bytes/workgroup (compile time only)
; SGPRBlocks: 0
; VGPRBlocks: 0
; NumSGPRsForWavesPerEU: 4
; NumVGPRsForWavesPerEU: 1
; AccumOffset: 4
; Occupancy: 8
; WaveLimiterHint : 0
; COMPUTE_PGM_RSRC2:SCRATCH_EN: 0
; COMPUTE_PGM_RSRC2:USER_SGPR: 6
; COMPUTE_PGM_RSRC2:TRAP_HANDLER: 0
; COMPUTE_PGM_RSRC2:TGID_X_EN: 1
; COMPUTE_PGM_RSRC2:TGID_Y_EN: 0
; COMPUTE_PGM_RSRC2:TGID_Z_EN: 0
; COMPUTE_PGM_RSRC2:TIDIG_COMP_CNT: 0
; COMPUTE_PGM_RSRC3_GFX90A:ACCUM_OFFSET: 0
; COMPUTE_PGM_RSRC3_GFX90A:TG_SPLIT: 0
	.section	.text._ZN7rocprim17ROCPRIM_400000_NS6detail31init_lookback_scan_state_kernelINS1_19lookback_scan_stateIsLb1ELb1EEENS1_16block_id_wrapperIjLb1EEEEEvT_jT0_jPNS7_10value_typeE,"axG",@progbits,_ZN7rocprim17ROCPRIM_400000_NS6detail31init_lookback_scan_state_kernelINS1_19lookback_scan_stateIsLb1ELb1EEENS1_16block_id_wrapperIjLb1EEEEEvT_jT0_jPNS7_10value_typeE,comdat
	.protected	_ZN7rocprim17ROCPRIM_400000_NS6detail31init_lookback_scan_state_kernelINS1_19lookback_scan_stateIsLb1ELb1EEENS1_16block_id_wrapperIjLb1EEEEEvT_jT0_jPNS7_10value_typeE ; -- Begin function _ZN7rocprim17ROCPRIM_400000_NS6detail31init_lookback_scan_state_kernelINS1_19lookback_scan_stateIsLb1ELb1EEENS1_16block_id_wrapperIjLb1EEEEEvT_jT0_jPNS7_10value_typeE
	.globl	_ZN7rocprim17ROCPRIM_400000_NS6detail31init_lookback_scan_state_kernelINS1_19lookback_scan_stateIsLb1ELb1EEENS1_16block_id_wrapperIjLb1EEEEEvT_jT0_jPNS7_10value_typeE
	.p2align	8
	.type	_ZN7rocprim17ROCPRIM_400000_NS6detail31init_lookback_scan_state_kernelINS1_19lookback_scan_stateIsLb1ELb1EEENS1_16block_id_wrapperIjLb1EEEEEvT_jT0_jPNS7_10value_typeE,@function
_ZN7rocprim17ROCPRIM_400000_NS6detail31init_lookback_scan_state_kernelINS1_19lookback_scan_stateIsLb1ELb1EEENS1_16block_id_wrapperIjLb1EEEEEvT_jT0_jPNS7_10value_typeE: ; @_ZN7rocprim17ROCPRIM_400000_NS6detail31init_lookback_scan_state_kernelINS1_19lookback_scan_stateIsLb1ELb1EEENS1_16block_id_wrapperIjLb1EEEEEvT_jT0_jPNS7_10value_typeE
; %bb.0:
	s_load_dword s7, s[4:5], 0x34
	s_load_dwordx2 s[2:3], s[4:5], 0x20
	s_load_dwordx2 s[0:1], s[4:5], 0x0
	s_load_dword s10, s[4:5], 0x8
	s_waitcnt lgkmcnt(0)
	s_and_b32 s7, s7, 0xffff
	s_mul_i32 s6, s6, s7
	s_cmp_eq_u64 s[2:3], 0
	v_add_u32_e32 v0, s6, v0
	s_cbranch_scc1 .LBB904_9
; %bb.1:
	s_load_dword s8, s[4:5], 0x18
	s_mov_b32 s9, 0
	s_waitcnt lgkmcnt(0)
	s_cmp_lt_u32 s8, s10
	s_cselect_b32 s6, s8, 0
	v_cmp_eq_u32_e32 vcc, s6, v0
	s_and_saveexec_b64 s[6:7], vcc
	s_cbranch_execz .LBB904_8
; %bb.2:
	s_add_i32 s8, s8, 64
	s_lshl_b64 s[8:9], s[8:9], 2
	s_add_u32 s8, s0, s8
	s_addc_u32 s9, s1, s9
	v_mov_b32_e32 v1, 0
	global_load_dword v2, v1, s[8:9] glc
	s_waitcnt vmcnt(0)
	v_and_b32_e32 v3, 0xff0000, v2
	v_cmp_ne_u32_e32 vcc, 0, v3
	s_cbranch_vccnz .LBB904_7
; %bb.3:
	s_mov_b32 s11, 1
.LBB904_4:                              ; =>This Loop Header: Depth=1
                                        ;     Child Loop BB904_5 Depth 2
	s_max_u32 s12, s11, 1
.LBB904_5:                              ;   Parent Loop BB904_4 Depth=1
                                        ; =>  This Inner Loop Header: Depth=2
	s_add_i32 s12, s12, -1
	s_cmp_eq_u32 s12, 0
	s_sleep 1
	s_cbranch_scc0 .LBB904_5
; %bb.6:                                ;   in Loop: Header=BB904_4 Depth=1
	global_load_dword v2, v1, s[8:9] glc
	s_cmp_lt_u32 s11, 32
	s_cselect_b64 s[12:13], -1, 0
	s_cmp_lg_u64 s[12:13], 0
	s_addc_u32 s11, s11, 0
	s_waitcnt vmcnt(0)
	v_and_b32_e32 v3, 0xff0000, v2
	v_cmp_ne_u32_e32 vcc, 0, v3
	s_cbranch_vccz .LBB904_4
.LBB904_7:
	v_mov_b32_e32 v1, 0
	global_store_short v1, v2, s[2:3]
.LBB904_8:
	s_or_b64 exec, exec, s[6:7]
.LBB904_9:
	v_cmp_eq_u32_e32 vcc, 0, v0
	s_and_saveexec_b64 s[2:3], vcc
	s_cbranch_execnz .LBB904_13
; %bb.10:
	s_or_b64 exec, exec, s[2:3]
	v_cmp_gt_u32_e32 vcc, s10, v0
	s_and_saveexec_b64 s[2:3], vcc
	s_cbranch_execnz .LBB904_14
.LBB904_11:
	s_or_b64 exec, exec, s[2:3]
	v_cmp_gt_u32_e32 vcc, 64, v0
	s_and_saveexec_b64 s[2:3], vcc
	s_cbranch_execnz .LBB904_15
.LBB904_12:
	s_endpgm
.LBB904_13:
	s_load_dwordx2 s[4:5], s[4:5], 0x10
	v_mov_b32_e32 v1, 0
	s_waitcnt lgkmcnt(0)
	global_store_dword v1, v1, s[4:5]
	s_or_b64 exec, exec, s[2:3]
	v_cmp_gt_u32_e32 vcc, s10, v0
	s_and_saveexec_b64 s[2:3], vcc
	s_cbranch_execz .LBB904_11
.LBB904_14:
	v_add_u32_e32 v2, 64, v0
	v_mov_b32_e32 v3, 0
	v_lshlrev_b64 v[4:5], 2, v[2:3]
	v_mov_b32_e32 v1, s1
	v_add_co_u32_e32 v4, vcc, s0, v4
	v_addc_co_u32_e32 v5, vcc, v1, v5, vcc
	global_store_dword v[4:5], v3, off
	s_or_b64 exec, exec, s[2:3]
	v_cmp_gt_u32_e32 vcc, 64, v0
	s_and_saveexec_b64 s[2:3], vcc
	s_cbranch_execz .LBB904_12
.LBB904_15:
	v_mov_b32_e32 v1, 0
	v_lshlrev_b64 v[0:1], 2, v[0:1]
	v_mov_b32_e32 v2, s1
	v_add_co_u32_e32 v0, vcc, s0, v0
	v_addc_co_u32_e32 v1, vcc, v2, v1, vcc
	v_mov_b32_e32 v2, 0xff0000
	global_store_dword v[0:1], v2, off
	s_endpgm
	.section	.rodata,"a",@progbits
	.p2align	6, 0x0
	.amdhsa_kernel _ZN7rocprim17ROCPRIM_400000_NS6detail31init_lookback_scan_state_kernelINS1_19lookback_scan_stateIsLb1ELb1EEENS1_16block_id_wrapperIjLb1EEEEEvT_jT0_jPNS7_10value_typeE
		.amdhsa_group_segment_fixed_size 0
		.amdhsa_private_segment_fixed_size 0
		.amdhsa_kernarg_size 296
		.amdhsa_user_sgpr_count 6
		.amdhsa_user_sgpr_private_segment_buffer 1
		.amdhsa_user_sgpr_dispatch_ptr 0
		.amdhsa_user_sgpr_queue_ptr 0
		.amdhsa_user_sgpr_kernarg_segment_ptr 1
		.amdhsa_user_sgpr_dispatch_id 0
		.amdhsa_user_sgpr_flat_scratch_init 0
		.amdhsa_user_sgpr_kernarg_preload_length 0
		.amdhsa_user_sgpr_kernarg_preload_offset 0
		.amdhsa_user_sgpr_private_segment_size 0
		.amdhsa_uses_dynamic_stack 0
		.amdhsa_system_sgpr_private_segment_wavefront_offset 0
		.amdhsa_system_sgpr_workgroup_id_x 1
		.amdhsa_system_sgpr_workgroup_id_y 0
		.amdhsa_system_sgpr_workgroup_id_z 0
		.amdhsa_system_sgpr_workgroup_info 0
		.amdhsa_system_vgpr_workitem_id 0
		.amdhsa_next_free_vgpr 6
		.amdhsa_next_free_sgpr 14
		.amdhsa_accum_offset 8
		.amdhsa_reserve_vcc 1
		.amdhsa_reserve_flat_scratch 0
		.amdhsa_float_round_mode_32 0
		.amdhsa_float_round_mode_16_64 0
		.amdhsa_float_denorm_mode_32 3
		.amdhsa_float_denorm_mode_16_64 3
		.amdhsa_dx10_clamp 1
		.amdhsa_ieee_mode 1
		.amdhsa_fp16_overflow 0
		.amdhsa_tg_split 0
		.amdhsa_exception_fp_ieee_invalid_op 0
		.amdhsa_exception_fp_denorm_src 0
		.amdhsa_exception_fp_ieee_div_zero 0
		.amdhsa_exception_fp_ieee_overflow 0
		.amdhsa_exception_fp_ieee_underflow 0
		.amdhsa_exception_fp_ieee_inexact 0
		.amdhsa_exception_int_div_zero 0
	.end_amdhsa_kernel
	.section	.text._ZN7rocprim17ROCPRIM_400000_NS6detail31init_lookback_scan_state_kernelINS1_19lookback_scan_stateIsLb1ELb1EEENS1_16block_id_wrapperIjLb1EEEEEvT_jT0_jPNS7_10value_typeE,"axG",@progbits,_ZN7rocprim17ROCPRIM_400000_NS6detail31init_lookback_scan_state_kernelINS1_19lookback_scan_stateIsLb1ELb1EEENS1_16block_id_wrapperIjLb1EEEEEvT_jT0_jPNS7_10value_typeE,comdat
.Lfunc_end904:
	.size	_ZN7rocprim17ROCPRIM_400000_NS6detail31init_lookback_scan_state_kernelINS1_19lookback_scan_stateIsLb1ELb1EEENS1_16block_id_wrapperIjLb1EEEEEvT_jT0_jPNS7_10value_typeE, .Lfunc_end904-_ZN7rocprim17ROCPRIM_400000_NS6detail31init_lookback_scan_state_kernelINS1_19lookback_scan_stateIsLb1ELb1EEENS1_16block_id_wrapperIjLb1EEEEEvT_jT0_jPNS7_10value_typeE
                                        ; -- End function
	.section	.AMDGPU.csdata,"",@progbits
; Kernel info:
; codeLenInByte = 412
; NumSgprs: 18
; NumVgprs: 6
; NumAgprs: 0
; TotalNumVgprs: 6
; ScratchSize: 0
; MemoryBound: 0
; FloatMode: 240
; IeeeMode: 1
; LDSByteSize: 0 bytes/workgroup (compile time only)
; SGPRBlocks: 2
; VGPRBlocks: 0
; NumSGPRsForWavesPerEU: 18
; NumVGPRsForWavesPerEU: 6
; AccumOffset: 8
; Occupancy: 8
; WaveLimiterHint : 0
; COMPUTE_PGM_RSRC2:SCRATCH_EN: 0
; COMPUTE_PGM_RSRC2:USER_SGPR: 6
; COMPUTE_PGM_RSRC2:TRAP_HANDLER: 0
; COMPUTE_PGM_RSRC2:TGID_X_EN: 1
; COMPUTE_PGM_RSRC2:TGID_Y_EN: 0
; COMPUTE_PGM_RSRC2:TGID_Z_EN: 0
; COMPUTE_PGM_RSRC2:TIDIG_COMP_CNT: 0
; COMPUTE_PGM_RSRC3_GFX90A:ACCUM_OFFSET: 1
; COMPUTE_PGM_RSRC3_GFX90A:TG_SPLIT: 0
	.section	.text._ZN7rocprim17ROCPRIM_400000_NS6detail17trampoline_kernelINS0_14default_configENS1_20scan_config_selectorIsEEZZNS1_9scan_implILNS1_25lookback_scan_determinismE0ELb0ELb0ES3_N6thrust23THRUST_200600_302600_NS6detail15normal_iteratorINS9_10device_ptrIsEEEESE_sNS9_4plusIvEEsEEDaPvRmT3_T4_T5_mT6_P12ihipStream_tbENKUlT_T0_E_clISt17integral_constantIbLb1EESU_EEDaSP_SQ_EUlSP_E_NS1_11comp_targetILNS1_3genE0ELNS1_11target_archE4294967295ELNS1_3gpuE0ELNS1_3repE0EEENS1_30default_config_static_selectorELNS0_4arch9wavefront6targetE1EEEvT1_,"axG",@progbits,_ZN7rocprim17ROCPRIM_400000_NS6detail17trampoline_kernelINS0_14default_configENS1_20scan_config_selectorIsEEZZNS1_9scan_implILNS1_25lookback_scan_determinismE0ELb0ELb0ES3_N6thrust23THRUST_200600_302600_NS6detail15normal_iteratorINS9_10device_ptrIsEEEESE_sNS9_4plusIvEEsEEDaPvRmT3_T4_T5_mT6_P12ihipStream_tbENKUlT_T0_E_clISt17integral_constantIbLb1EESU_EEDaSP_SQ_EUlSP_E_NS1_11comp_targetILNS1_3genE0ELNS1_11target_archE4294967295ELNS1_3gpuE0ELNS1_3repE0EEENS1_30default_config_static_selectorELNS0_4arch9wavefront6targetE1EEEvT1_,comdat
	.protected	_ZN7rocprim17ROCPRIM_400000_NS6detail17trampoline_kernelINS0_14default_configENS1_20scan_config_selectorIsEEZZNS1_9scan_implILNS1_25lookback_scan_determinismE0ELb0ELb0ES3_N6thrust23THRUST_200600_302600_NS6detail15normal_iteratorINS9_10device_ptrIsEEEESE_sNS9_4plusIvEEsEEDaPvRmT3_T4_T5_mT6_P12ihipStream_tbENKUlT_T0_E_clISt17integral_constantIbLb1EESU_EEDaSP_SQ_EUlSP_E_NS1_11comp_targetILNS1_3genE0ELNS1_11target_archE4294967295ELNS1_3gpuE0ELNS1_3repE0EEENS1_30default_config_static_selectorELNS0_4arch9wavefront6targetE1EEEvT1_ ; -- Begin function _ZN7rocprim17ROCPRIM_400000_NS6detail17trampoline_kernelINS0_14default_configENS1_20scan_config_selectorIsEEZZNS1_9scan_implILNS1_25lookback_scan_determinismE0ELb0ELb0ES3_N6thrust23THRUST_200600_302600_NS6detail15normal_iteratorINS9_10device_ptrIsEEEESE_sNS9_4plusIvEEsEEDaPvRmT3_T4_T5_mT6_P12ihipStream_tbENKUlT_T0_E_clISt17integral_constantIbLb1EESU_EEDaSP_SQ_EUlSP_E_NS1_11comp_targetILNS1_3genE0ELNS1_11target_archE4294967295ELNS1_3gpuE0ELNS1_3repE0EEENS1_30default_config_static_selectorELNS0_4arch9wavefront6targetE1EEEvT1_
	.globl	_ZN7rocprim17ROCPRIM_400000_NS6detail17trampoline_kernelINS0_14default_configENS1_20scan_config_selectorIsEEZZNS1_9scan_implILNS1_25lookback_scan_determinismE0ELb0ELb0ES3_N6thrust23THRUST_200600_302600_NS6detail15normal_iteratorINS9_10device_ptrIsEEEESE_sNS9_4plusIvEEsEEDaPvRmT3_T4_T5_mT6_P12ihipStream_tbENKUlT_T0_E_clISt17integral_constantIbLb1EESU_EEDaSP_SQ_EUlSP_E_NS1_11comp_targetILNS1_3genE0ELNS1_11target_archE4294967295ELNS1_3gpuE0ELNS1_3repE0EEENS1_30default_config_static_selectorELNS0_4arch9wavefront6targetE1EEEvT1_
	.p2align	8
	.type	_ZN7rocprim17ROCPRIM_400000_NS6detail17trampoline_kernelINS0_14default_configENS1_20scan_config_selectorIsEEZZNS1_9scan_implILNS1_25lookback_scan_determinismE0ELb0ELb0ES3_N6thrust23THRUST_200600_302600_NS6detail15normal_iteratorINS9_10device_ptrIsEEEESE_sNS9_4plusIvEEsEEDaPvRmT3_T4_T5_mT6_P12ihipStream_tbENKUlT_T0_E_clISt17integral_constantIbLb1EESU_EEDaSP_SQ_EUlSP_E_NS1_11comp_targetILNS1_3genE0ELNS1_11target_archE4294967295ELNS1_3gpuE0ELNS1_3repE0EEENS1_30default_config_static_selectorELNS0_4arch9wavefront6targetE1EEEvT1_,@function
_ZN7rocprim17ROCPRIM_400000_NS6detail17trampoline_kernelINS0_14default_configENS1_20scan_config_selectorIsEEZZNS1_9scan_implILNS1_25lookback_scan_determinismE0ELb0ELb0ES3_N6thrust23THRUST_200600_302600_NS6detail15normal_iteratorINS9_10device_ptrIsEEEESE_sNS9_4plusIvEEsEEDaPvRmT3_T4_T5_mT6_P12ihipStream_tbENKUlT_T0_E_clISt17integral_constantIbLb1EESU_EEDaSP_SQ_EUlSP_E_NS1_11comp_targetILNS1_3genE0ELNS1_11target_archE4294967295ELNS1_3gpuE0ELNS1_3repE0EEENS1_30default_config_static_selectorELNS0_4arch9wavefront6targetE1EEEvT1_: ; @_ZN7rocprim17ROCPRIM_400000_NS6detail17trampoline_kernelINS0_14default_configENS1_20scan_config_selectorIsEEZZNS1_9scan_implILNS1_25lookback_scan_determinismE0ELb0ELb0ES3_N6thrust23THRUST_200600_302600_NS6detail15normal_iteratorINS9_10device_ptrIsEEEESE_sNS9_4plusIvEEsEEDaPvRmT3_T4_T5_mT6_P12ihipStream_tbENKUlT_T0_E_clISt17integral_constantIbLb1EESU_EEDaSP_SQ_EUlSP_E_NS1_11comp_targetILNS1_3genE0ELNS1_11target_archE4294967295ELNS1_3gpuE0ELNS1_3repE0EEENS1_30default_config_static_selectorELNS0_4arch9wavefront6targetE1EEEvT1_
; %bb.0:
	.section	.rodata,"a",@progbits
	.p2align	6, 0x0
	.amdhsa_kernel _ZN7rocprim17ROCPRIM_400000_NS6detail17trampoline_kernelINS0_14default_configENS1_20scan_config_selectorIsEEZZNS1_9scan_implILNS1_25lookback_scan_determinismE0ELb0ELb0ES3_N6thrust23THRUST_200600_302600_NS6detail15normal_iteratorINS9_10device_ptrIsEEEESE_sNS9_4plusIvEEsEEDaPvRmT3_T4_T5_mT6_P12ihipStream_tbENKUlT_T0_E_clISt17integral_constantIbLb1EESU_EEDaSP_SQ_EUlSP_E_NS1_11comp_targetILNS1_3genE0ELNS1_11target_archE4294967295ELNS1_3gpuE0ELNS1_3repE0EEENS1_30default_config_static_selectorELNS0_4arch9wavefront6targetE1EEEvT1_
		.amdhsa_group_segment_fixed_size 0
		.amdhsa_private_segment_fixed_size 0
		.amdhsa_kernarg_size 96
		.amdhsa_user_sgpr_count 6
		.amdhsa_user_sgpr_private_segment_buffer 1
		.amdhsa_user_sgpr_dispatch_ptr 0
		.amdhsa_user_sgpr_queue_ptr 0
		.amdhsa_user_sgpr_kernarg_segment_ptr 1
		.amdhsa_user_sgpr_dispatch_id 0
		.amdhsa_user_sgpr_flat_scratch_init 0
		.amdhsa_user_sgpr_kernarg_preload_length 0
		.amdhsa_user_sgpr_kernarg_preload_offset 0
		.amdhsa_user_sgpr_private_segment_size 0
		.amdhsa_uses_dynamic_stack 0
		.amdhsa_system_sgpr_private_segment_wavefront_offset 0
		.amdhsa_system_sgpr_workgroup_id_x 1
		.amdhsa_system_sgpr_workgroup_id_y 0
		.amdhsa_system_sgpr_workgroup_id_z 0
		.amdhsa_system_sgpr_workgroup_info 0
		.amdhsa_system_vgpr_workitem_id 0
		.amdhsa_next_free_vgpr 1
		.amdhsa_next_free_sgpr 0
		.amdhsa_accum_offset 4
		.amdhsa_reserve_vcc 0
		.amdhsa_reserve_flat_scratch 0
		.amdhsa_float_round_mode_32 0
		.amdhsa_float_round_mode_16_64 0
		.amdhsa_float_denorm_mode_32 3
		.amdhsa_float_denorm_mode_16_64 3
		.amdhsa_dx10_clamp 1
		.amdhsa_ieee_mode 1
		.amdhsa_fp16_overflow 0
		.amdhsa_tg_split 0
		.amdhsa_exception_fp_ieee_invalid_op 0
		.amdhsa_exception_fp_denorm_src 0
		.amdhsa_exception_fp_ieee_div_zero 0
		.amdhsa_exception_fp_ieee_overflow 0
		.amdhsa_exception_fp_ieee_underflow 0
		.amdhsa_exception_fp_ieee_inexact 0
		.amdhsa_exception_int_div_zero 0
	.end_amdhsa_kernel
	.section	.text._ZN7rocprim17ROCPRIM_400000_NS6detail17trampoline_kernelINS0_14default_configENS1_20scan_config_selectorIsEEZZNS1_9scan_implILNS1_25lookback_scan_determinismE0ELb0ELb0ES3_N6thrust23THRUST_200600_302600_NS6detail15normal_iteratorINS9_10device_ptrIsEEEESE_sNS9_4plusIvEEsEEDaPvRmT3_T4_T5_mT6_P12ihipStream_tbENKUlT_T0_E_clISt17integral_constantIbLb1EESU_EEDaSP_SQ_EUlSP_E_NS1_11comp_targetILNS1_3genE0ELNS1_11target_archE4294967295ELNS1_3gpuE0ELNS1_3repE0EEENS1_30default_config_static_selectorELNS0_4arch9wavefront6targetE1EEEvT1_,"axG",@progbits,_ZN7rocprim17ROCPRIM_400000_NS6detail17trampoline_kernelINS0_14default_configENS1_20scan_config_selectorIsEEZZNS1_9scan_implILNS1_25lookback_scan_determinismE0ELb0ELb0ES3_N6thrust23THRUST_200600_302600_NS6detail15normal_iteratorINS9_10device_ptrIsEEEESE_sNS9_4plusIvEEsEEDaPvRmT3_T4_T5_mT6_P12ihipStream_tbENKUlT_T0_E_clISt17integral_constantIbLb1EESU_EEDaSP_SQ_EUlSP_E_NS1_11comp_targetILNS1_3genE0ELNS1_11target_archE4294967295ELNS1_3gpuE0ELNS1_3repE0EEENS1_30default_config_static_selectorELNS0_4arch9wavefront6targetE1EEEvT1_,comdat
.Lfunc_end905:
	.size	_ZN7rocprim17ROCPRIM_400000_NS6detail17trampoline_kernelINS0_14default_configENS1_20scan_config_selectorIsEEZZNS1_9scan_implILNS1_25lookback_scan_determinismE0ELb0ELb0ES3_N6thrust23THRUST_200600_302600_NS6detail15normal_iteratorINS9_10device_ptrIsEEEESE_sNS9_4plusIvEEsEEDaPvRmT3_T4_T5_mT6_P12ihipStream_tbENKUlT_T0_E_clISt17integral_constantIbLb1EESU_EEDaSP_SQ_EUlSP_E_NS1_11comp_targetILNS1_3genE0ELNS1_11target_archE4294967295ELNS1_3gpuE0ELNS1_3repE0EEENS1_30default_config_static_selectorELNS0_4arch9wavefront6targetE1EEEvT1_, .Lfunc_end905-_ZN7rocprim17ROCPRIM_400000_NS6detail17trampoline_kernelINS0_14default_configENS1_20scan_config_selectorIsEEZZNS1_9scan_implILNS1_25lookback_scan_determinismE0ELb0ELb0ES3_N6thrust23THRUST_200600_302600_NS6detail15normal_iteratorINS9_10device_ptrIsEEEESE_sNS9_4plusIvEEsEEDaPvRmT3_T4_T5_mT6_P12ihipStream_tbENKUlT_T0_E_clISt17integral_constantIbLb1EESU_EEDaSP_SQ_EUlSP_E_NS1_11comp_targetILNS1_3genE0ELNS1_11target_archE4294967295ELNS1_3gpuE0ELNS1_3repE0EEENS1_30default_config_static_selectorELNS0_4arch9wavefront6targetE1EEEvT1_
                                        ; -- End function
	.section	.AMDGPU.csdata,"",@progbits
; Kernel info:
; codeLenInByte = 0
; NumSgprs: 4
; NumVgprs: 0
; NumAgprs: 0
; TotalNumVgprs: 0
; ScratchSize: 0
; MemoryBound: 0
; FloatMode: 240
; IeeeMode: 1
; LDSByteSize: 0 bytes/workgroup (compile time only)
; SGPRBlocks: 0
; VGPRBlocks: 0
; NumSGPRsForWavesPerEU: 4
; NumVGPRsForWavesPerEU: 1
; AccumOffset: 4
; Occupancy: 8
; WaveLimiterHint : 0
; COMPUTE_PGM_RSRC2:SCRATCH_EN: 0
; COMPUTE_PGM_RSRC2:USER_SGPR: 6
; COMPUTE_PGM_RSRC2:TRAP_HANDLER: 0
; COMPUTE_PGM_RSRC2:TGID_X_EN: 1
; COMPUTE_PGM_RSRC2:TGID_Y_EN: 0
; COMPUTE_PGM_RSRC2:TGID_Z_EN: 0
; COMPUTE_PGM_RSRC2:TIDIG_COMP_CNT: 0
; COMPUTE_PGM_RSRC3_GFX90A:ACCUM_OFFSET: 0
; COMPUTE_PGM_RSRC3_GFX90A:TG_SPLIT: 0
	.section	.text._ZN7rocprim17ROCPRIM_400000_NS6detail17trampoline_kernelINS0_14default_configENS1_20scan_config_selectorIsEEZZNS1_9scan_implILNS1_25lookback_scan_determinismE0ELb0ELb0ES3_N6thrust23THRUST_200600_302600_NS6detail15normal_iteratorINS9_10device_ptrIsEEEESE_sNS9_4plusIvEEsEEDaPvRmT3_T4_T5_mT6_P12ihipStream_tbENKUlT_T0_E_clISt17integral_constantIbLb1EESU_EEDaSP_SQ_EUlSP_E_NS1_11comp_targetILNS1_3genE5ELNS1_11target_archE942ELNS1_3gpuE9ELNS1_3repE0EEENS1_30default_config_static_selectorELNS0_4arch9wavefront6targetE1EEEvT1_,"axG",@progbits,_ZN7rocprim17ROCPRIM_400000_NS6detail17trampoline_kernelINS0_14default_configENS1_20scan_config_selectorIsEEZZNS1_9scan_implILNS1_25lookback_scan_determinismE0ELb0ELb0ES3_N6thrust23THRUST_200600_302600_NS6detail15normal_iteratorINS9_10device_ptrIsEEEESE_sNS9_4plusIvEEsEEDaPvRmT3_T4_T5_mT6_P12ihipStream_tbENKUlT_T0_E_clISt17integral_constantIbLb1EESU_EEDaSP_SQ_EUlSP_E_NS1_11comp_targetILNS1_3genE5ELNS1_11target_archE942ELNS1_3gpuE9ELNS1_3repE0EEENS1_30default_config_static_selectorELNS0_4arch9wavefront6targetE1EEEvT1_,comdat
	.protected	_ZN7rocprim17ROCPRIM_400000_NS6detail17trampoline_kernelINS0_14default_configENS1_20scan_config_selectorIsEEZZNS1_9scan_implILNS1_25lookback_scan_determinismE0ELb0ELb0ES3_N6thrust23THRUST_200600_302600_NS6detail15normal_iteratorINS9_10device_ptrIsEEEESE_sNS9_4plusIvEEsEEDaPvRmT3_T4_T5_mT6_P12ihipStream_tbENKUlT_T0_E_clISt17integral_constantIbLb1EESU_EEDaSP_SQ_EUlSP_E_NS1_11comp_targetILNS1_3genE5ELNS1_11target_archE942ELNS1_3gpuE9ELNS1_3repE0EEENS1_30default_config_static_selectorELNS0_4arch9wavefront6targetE1EEEvT1_ ; -- Begin function _ZN7rocprim17ROCPRIM_400000_NS6detail17trampoline_kernelINS0_14default_configENS1_20scan_config_selectorIsEEZZNS1_9scan_implILNS1_25lookback_scan_determinismE0ELb0ELb0ES3_N6thrust23THRUST_200600_302600_NS6detail15normal_iteratorINS9_10device_ptrIsEEEESE_sNS9_4plusIvEEsEEDaPvRmT3_T4_T5_mT6_P12ihipStream_tbENKUlT_T0_E_clISt17integral_constantIbLb1EESU_EEDaSP_SQ_EUlSP_E_NS1_11comp_targetILNS1_3genE5ELNS1_11target_archE942ELNS1_3gpuE9ELNS1_3repE0EEENS1_30default_config_static_selectorELNS0_4arch9wavefront6targetE1EEEvT1_
	.globl	_ZN7rocprim17ROCPRIM_400000_NS6detail17trampoline_kernelINS0_14default_configENS1_20scan_config_selectorIsEEZZNS1_9scan_implILNS1_25lookback_scan_determinismE0ELb0ELb0ES3_N6thrust23THRUST_200600_302600_NS6detail15normal_iteratorINS9_10device_ptrIsEEEESE_sNS9_4plusIvEEsEEDaPvRmT3_T4_T5_mT6_P12ihipStream_tbENKUlT_T0_E_clISt17integral_constantIbLb1EESU_EEDaSP_SQ_EUlSP_E_NS1_11comp_targetILNS1_3genE5ELNS1_11target_archE942ELNS1_3gpuE9ELNS1_3repE0EEENS1_30default_config_static_selectorELNS0_4arch9wavefront6targetE1EEEvT1_
	.p2align	8
	.type	_ZN7rocprim17ROCPRIM_400000_NS6detail17trampoline_kernelINS0_14default_configENS1_20scan_config_selectorIsEEZZNS1_9scan_implILNS1_25lookback_scan_determinismE0ELb0ELb0ES3_N6thrust23THRUST_200600_302600_NS6detail15normal_iteratorINS9_10device_ptrIsEEEESE_sNS9_4plusIvEEsEEDaPvRmT3_T4_T5_mT6_P12ihipStream_tbENKUlT_T0_E_clISt17integral_constantIbLb1EESU_EEDaSP_SQ_EUlSP_E_NS1_11comp_targetILNS1_3genE5ELNS1_11target_archE942ELNS1_3gpuE9ELNS1_3repE0EEENS1_30default_config_static_selectorELNS0_4arch9wavefront6targetE1EEEvT1_,@function
_ZN7rocprim17ROCPRIM_400000_NS6detail17trampoline_kernelINS0_14default_configENS1_20scan_config_selectorIsEEZZNS1_9scan_implILNS1_25lookback_scan_determinismE0ELb0ELb0ES3_N6thrust23THRUST_200600_302600_NS6detail15normal_iteratorINS9_10device_ptrIsEEEESE_sNS9_4plusIvEEsEEDaPvRmT3_T4_T5_mT6_P12ihipStream_tbENKUlT_T0_E_clISt17integral_constantIbLb1EESU_EEDaSP_SQ_EUlSP_E_NS1_11comp_targetILNS1_3genE5ELNS1_11target_archE942ELNS1_3gpuE9ELNS1_3repE0EEENS1_30default_config_static_selectorELNS0_4arch9wavefront6targetE1EEEvT1_: ; @_ZN7rocprim17ROCPRIM_400000_NS6detail17trampoline_kernelINS0_14default_configENS1_20scan_config_selectorIsEEZZNS1_9scan_implILNS1_25lookback_scan_determinismE0ELb0ELb0ES3_N6thrust23THRUST_200600_302600_NS6detail15normal_iteratorINS9_10device_ptrIsEEEESE_sNS9_4plusIvEEsEEDaPvRmT3_T4_T5_mT6_P12ihipStream_tbENKUlT_T0_E_clISt17integral_constantIbLb1EESU_EEDaSP_SQ_EUlSP_E_NS1_11comp_targetILNS1_3genE5ELNS1_11target_archE942ELNS1_3gpuE9ELNS1_3repE0EEENS1_30default_config_static_selectorELNS0_4arch9wavefront6targetE1EEEvT1_
; %bb.0:
	.section	.rodata,"a",@progbits
	.p2align	6, 0x0
	.amdhsa_kernel _ZN7rocprim17ROCPRIM_400000_NS6detail17trampoline_kernelINS0_14default_configENS1_20scan_config_selectorIsEEZZNS1_9scan_implILNS1_25lookback_scan_determinismE0ELb0ELb0ES3_N6thrust23THRUST_200600_302600_NS6detail15normal_iteratorINS9_10device_ptrIsEEEESE_sNS9_4plusIvEEsEEDaPvRmT3_T4_T5_mT6_P12ihipStream_tbENKUlT_T0_E_clISt17integral_constantIbLb1EESU_EEDaSP_SQ_EUlSP_E_NS1_11comp_targetILNS1_3genE5ELNS1_11target_archE942ELNS1_3gpuE9ELNS1_3repE0EEENS1_30default_config_static_selectorELNS0_4arch9wavefront6targetE1EEEvT1_
		.amdhsa_group_segment_fixed_size 0
		.amdhsa_private_segment_fixed_size 0
		.amdhsa_kernarg_size 96
		.amdhsa_user_sgpr_count 6
		.amdhsa_user_sgpr_private_segment_buffer 1
		.amdhsa_user_sgpr_dispatch_ptr 0
		.amdhsa_user_sgpr_queue_ptr 0
		.amdhsa_user_sgpr_kernarg_segment_ptr 1
		.amdhsa_user_sgpr_dispatch_id 0
		.amdhsa_user_sgpr_flat_scratch_init 0
		.amdhsa_user_sgpr_kernarg_preload_length 0
		.amdhsa_user_sgpr_kernarg_preload_offset 0
		.amdhsa_user_sgpr_private_segment_size 0
		.amdhsa_uses_dynamic_stack 0
		.amdhsa_system_sgpr_private_segment_wavefront_offset 0
		.amdhsa_system_sgpr_workgroup_id_x 1
		.amdhsa_system_sgpr_workgroup_id_y 0
		.amdhsa_system_sgpr_workgroup_id_z 0
		.amdhsa_system_sgpr_workgroup_info 0
		.amdhsa_system_vgpr_workitem_id 0
		.amdhsa_next_free_vgpr 1
		.amdhsa_next_free_sgpr 0
		.amdhsa_accum_offset 4
		.amdhsa_reserve_vcc 0
		.amdhsa_reserve_flat_scratch 0
		.amdhsa_float_round_mode_32 0
		.amdhsa_float_round_mode_16_64 0
		.amdhsa_float_denorm_mode_32 3
		.amdhsa_float_denorm_mode_16_64 3
		.amdhsa_dx10_clamp 1
		.amdhsa_ieee_mode 1
		.amdhsa_fp16_overflow 0
		.amdhsa_tg_split 0
		.amdhsa_exception_fp_ieee_invalid_op 0
		.amdhsa_exception_fp_denorm_src 0
		.amdhsa_exception_fp_ieee_div_zero 0
		.amdhsa_exception_fp_ieee_overflow 0
		.amdhsa_exception_fp_ieee_underflow 0
		.amdhsa_exception_fp_ieee_inexact 0
		.amdhsa_exception_int_div_zero 0
	.end_amdhsa_kernel
	.section	.text._ZN7rocprim17ROCPRIM_400000_NS6detail17trampoline_kernelINS0_14default_configENS1_20scan_config_selectorIsEEZZNS1_9scan_implILNS1_25lookback_scan_determinismE0ELb0ELb0ES3_N6thrust23THRUST_200600_302600_NS6detail15normal_iteratorINS9_10device_ptrIsEEEESE_sNS9_4plusIvEEsEEDaPvRmT3_T4_T5_mT6_P12ihipStream_tbENKUlT_T0_E_clISt17integral_constantIbLb1EESU_EEDaSP_SQ_EUlSP_E_NS1_11comp_targetILNS1_3genE5ELNS1_11target_archE942ELNS1_3gpuE9ELNS1_3repE0EEENS1_30default_config_static_selectorELNS0_4arch9wavefront6targetE1EEEvT1_,"axG",@progbits,_ZN7rocprim17ROCPRIM_400000_NS6detail17trampoline_kernelINS0_14default_configENS1_20scan_config_selectorIsEEZZNS1_9scan_implILNS1_25lookback_scan_determinismE0ELb0ELb0ES3_N6thrust23THRUST_200600_302600_NS6detail15normal_iteratorINS9_10device_ptrIsEEEESE_sNS9_4plusIvEEsEEDaPvRmT3_T4_T5_mT6_P12ihipStream_tbENKUlT_T0_E_clISt17integral_constantIbLb1EESU_EEDaSP_SQ_EUlSP_E_NS1_11comp_targetILNS1_3genE5ELNS1_11target_archE942ELNS1_3gpuE9ELNS1_3repE0EEENS1_30default_config_static_selectorELNS0_4arch9wavefront6targetE1EEEvT1_,comdat
.Lfunc_end906:
	.size	_ZN7rocprim17ROCPRIM_400000_NS6detail17trampoline_kernelINS0_14default_configENS1_20scan_config_selectorIsEEZZNS1_9scan_implILNS1_25lookback_scan_determinismE0ELb0ELb0ES3_N6thrust23THRUST_200600_302600_NS6detail15normal_iteratorINS9_10device_ptrIsEEEESE_sNS9_4plusIvEEsEEDaPvRmT3_T4_T5_mT6_P12ihipStream_tbENKUlT_T0_E_clISt17integral_constantIbLb1EESU_EEDaSP_SQ_EUlSP_E_NS1_11comp_targetILNS1_3genE5ELNS1_11target_archE942ELNS1_3gpuE9ELNS1_3repE0EEENS1_30default_config_static_selectorELNS0_4arch9wavefront6targetE1EEEvT1_, .Lfunc_end906-_ZN7rocprim17ROCPRIM_400000_NS6detail17trampoline_kernelINS0_14default_configENS1_20scan_config_selectorIsEEZZNS1_9scan_implILNS1_25lookback_scan_determinismE0ELb0ELb0ES3_N6thrust23THRUST_200600_302600_NS6detail15normal_iteratorINS9_10device_ptrIsEEEESE_sNS9_4plusIvEEsEEDaPvRmT3_T4_T5_mT6_P12ihipStream_tbENKUlT_T0_E_clISt17integral_constantIbLb1EESU_EEDaSP_SQ_EUlSP_E_NS1_11comp_targetILNS1_3genE5ELNS1_11target_archE942ELNS1_3gpuE9ELNS1_3repE0EEENS1_30default_config_static_selectorELNS0_4arch9wavefront6targetE1EEEvT1_
                                        ; -- End function
	.section	.AMDGPU.csdata,"",@progbits
; Kernel info:
; codeLenInByte = 0
; NumSgprs: 4
; NumVgprs: 0
; NumAgprs: 0
; TotalNumVgprs: 0
; ScratchSize: 0
; MemoryBound: 0
; FloatMode: 240
; IeeeMode: 1
; LDSByteSize: 0 bytes/workgroup (compile time only)
; SGPRBlocks: 0
; VGPRBlocks: 0
; NumSGPRsForWavesPerEU: 4
; NumVGPRsForWavesPerEU: 1
; AccumOffset: 4
; Occupancy: 8
; WaveLimiterHint : 0
; COMPUTE_PGM_RSRC2:SCRATCH_EN: 0
; COMPUTE_PGM_RSRC2:USER_SGPR: 6
; COMPUTE_PGM_RSRC2:TRAP_HANDLER: 0
; COMPUTE_PGM_RSRC2:TGID_X_EN: 1
; COMPUTE_PGM_RSRC2:TGID_Y_EN: 0
; COMPUTE_PGM_RSRC2:TGID_Z_EN: 0
; COMPUTE_PGM_RSRC2:TIDIG_COMP_CNT: 0
; COMPUTE_PGM_RSRC3_GFX90A:ACCUM_OFFSET: 0
; COMPUTE_PGM_RSRC3_GFX90A:TG_SPLIT: 0
	.section	.text._ZN7rocprim17ROCPRIM_400000_NS6detail17trampoline_kernelINS0_14default_configENS1_20scan_config_selectorIsEEZZNS1_9scan_implILNS1_25lookback_scan_determinismE0ELb0ELb0ES3_N6thrust23THRUST_200600_302600_NS6detail15normal_iteratorINS9_10device_ptrIsEEEESE_sNS9_4plusIvEEsEEDaPvRmT3_T4_T5_mT6_P12ihipStream_tbENKUlT_T0_E_clISt17integral_constantIbLb1EESU_EEDaSP_SQ_EUlSP_E_NS1_11comp_targetILNS1_3genE4ELNS1_11target_archE910ELNS1_3gpuE8ELNS1_3repE0EEENS1_30default_config_static_selectorELNS0_4arch9wavefront6targetE1EEEvT1_,"axG",@progbits,_ZN7rocprim17ROCPRIM_400000_NS6detail17trampoline_kernelINS0_14default_configENS1_20scan_config_selectorIsEEZZNS1_9scan_implILNS1_25lookback_scan_determinismE0ELb0ELb0ES3_N6thrust23THRUST_200600_302600_NS6detail15normal_iteratorINS9_10device_ptrIsEEEESE_sNS9_4plusIvEEsEEDaPvRmT3_T4_T5_mT6_P12ihipStream_tbENKUlT_T0_E_clISt17integral_constantIbLb1EESU_EEDaSP_SQ_EUlSP_E_NS1_11comp_targetILNS1_3genE4ELNS1_11target_archE910ELNS1_3gpuE8ELNS1_3repE0EEENS1_30default_config_static_selectorELNS0_4arch9wavefront6targetE1EEEvT1_,comdat
	.protected	_ZN7rocprim17ROCPRIM_400000_NS6detail17trampoline_kernelINS0_14default_configENS1_20scan_config_selectorIsEEZZNS1_9scan_implILNS1_25lookback_scan_determinismE0ELb0ELb0ES3_N6thrust23THRUST_200600_302600_NS6detail15normal_iteratorINS9_10device_ptrIsEEEESE_sNS9_4plusIvEEsEEDaPvRmT3_T4_T5_mT6_P12ihipStream_tbENKUlT_T0_E_clISt17integral_constantIbLb1EESU_EEDaSP_SQ_EUlSP_E_NS1_11comp_targetILNS1_3genE4ELNS1_11target_archE910ELNS1_3gpuE8ELNS1_3repE0EEENS1_30default_config_static_selectorELNS0_4arch9wavefront6targetE1EEEvT1_ ; -- Begin function _ZN7rocprim17ROCPRIM_400000_NS6detail17trampoline_kernelINS0_14default_configENS1_20scan_config_selectorIsEEZZNS1_9scan_implILNS1_25lookback_scan_determinismE0ELb0ELb0ES3_N6thrust23THRUST_200600_302600_NS6detail15normal_iteratorINS9_10device_ptrIsEEEESE_sNS9_4plusIvEEsEEDaPvRmT3_T4_T5_mT6_P12ihipStream_tbENKUlT_T0_E_clISt17integral_constantIbLb1EESU_EEDaSP_SQ_EUlSP_E_NS1_11comp_targetILNS1_3genE4ELNS1_11target_archE910ELNS1_3gpuE8ELNS1_3repE0EEENS1_30default_config_static_selectorELNS0_4arch9wavefront6targetE1EEEvT1_
	.globl	_ZN7rocprim17ROCPRIM_400000_NS6detail17trampoline_kernelINS0_14default_configENS1_20scan_config_selectorIsEEZZNS1_9scan_implILNS1_25lookback_scan_determinismE0ELb0ELb0ES3_N6thrust23THRUST_200600_302600_NS6detail15normal_iteratorINS9_10device_ptrIsEEEESE_sNS9_4plusIvEEsEEDaPvRmT3_T4_T5_mT6_P12ihipStream_tbENKUlT_T0_E_clISt17integral_constantIbLb1EESU_EEDaSP_SQ_EUlSP_E_NS1_11comp_targetILNS1_3genE4ELNS1_11target_archE910ELNS1_3gpuE8ELNS1_3repE0EEENS1_30default_config_static_selectorELNS0_4arch9wavefront6targetE1EEEvT1_
	.p2align	8
	.type	_ZN7rocprim17ROCPRIM_400000_NS6detail17trampoline_kernelINS0_14default_configENS1_20scan_config_selectorIsEEZZNS1_9scan_implILNS1_25lookback_scan_determinismE0ELb0ELb0ES3_N6thrust23THRUST_200600_302600_NS6detail15normal_iteratorINS9_10device_ptrIsEEEESE_sNS9_4plusIvEEsEEDaPvRmT3_T4_T5_mT6_P12ihipStream_tbENKUlT_T0_E_clISt17integral_constantIbLb1EESU_EEDaSP_SQ_EUlSP_E_NS1_11comp_targetILNS1_3genE4ELNS1_11target_archE910ELNS1_3gpuE8ELNS1_3repE0EEENS1_30default_config_static_selectorELNS0_4arch9wavefront6targetE1EEEvT1_,@function
_ZN7rocprim17ROCPRIM_400000_NS6detail17trampoline_kernelINS0_14default_configENS1_20scan_config_selectorIsEEZZNS1_9scan_implILNS1_25lookback_scan_determinismE0ELb0ELb0ES3_N6thrust23THRUST_200600_302600_NS6detail15normal_iteratorINS9_10device_ptrIsEEEESE_sNS9_4plusIvEEsEEDaPvRmT3_T4_T5_mT6_P12ihipStream_tbENKUlT_T0_E_clISt17integral_constantIbLb1EESU_EEDaSP_SQ_EUlSP_E_NS1_11comp_targetILNS1_3genE4ELNS1_11target_archE910ELNS1_3gpuE8ELNS1_3repE0EEENS1_30default_config_static_selectorELNS0_4arch9wavefront6targetE1EEEvT1_: ; @_ZN7rocprim17ROCPRIM_400000_NS6detail17trampoline_kernelINS0_14default_configENS1_20scan_config_selectorIsEEZZNS1_9scan_implILNS1_25lookback_scan_determinismE0ELb0ELb0ES3_N6thrust23THRUST_200600_302600_NS6detail15normal_iteratorINS9_10device_ptrIsEEEESE_sNS9_4plusIvEEsEEDaPvRmT3_T4_T5_mT6_P12ihipStream_tbENKUlT_T0_E_clISt17integral_constantIbLb1EESU_EEDaSP_SQ_EUlSP_E_NS1_11comp_targetILNS1_3genE4ELNS1_11target_archE910ELNS1_3gpuE8ELNS1_3repE0EEENS1_30default_config_static_selectorELNS0_4arch9wavefront6targetE1EEEvT1_
; %bb.0:
	s_load_dwordx2 s[28:29], s[4:5], 0x28
	v_cmp_ne_u32_e64 s[0:1], 0, v0
	v_cmp_eq_u32_e64 s[2:3], 0, v0
	s_and_saveexec_b64 s[6:7], s[2:3]
	s_cbranch_execz .LBB907_4
; %bb.1:
	s_mov_b64 s[10:11], exec
	v_mbcnt_lo_u32_b32 v1, s10, 0
	v_mbcnt_hi_u32_b32 v1, s11, v1
	v_cmp_eq_u32_e32 vcc, 0, v1
                                        ; implicit-def: $vgpr2
	s_and_saveexec_b64 s[8:9], vcc
	s_cbranch_execz .LBB907_3
; %bb.2:
	s_load_dwordx2 s[12:13], s[4:5], 0x58
	s_bcnt1_i32_b64 s10, s[10:11]
	v_mov_b32_e32 v2, 0
	v_mov_b32_e32 v3, s10
	s_waitcnt lgkmcnt(0)
	global_atomic_add v2, v2, v3, s[12:13] glc
.LBB907_3:
	s_or_b64 exec, exec, s[8:9]
	s_waitcnt vmcnt(0)
	v_readfirstlane_b32 s8, v2
	v_add_u32_e32 v1, s8, v1
	v_mov_b32_e32 v2, 0
	ds_write_b32 v2, v1
.LBB907_4:
	s_or_b64 exec, exec, s[6:7]
	s_load_dwordx8 s[20:27], s[4:5], 0x0
	s_load_dword s6, s[4:5], 0x30
	s_load_dwordx8 s[12:19], s[4:5], 0x38
	v_mov_b32_e32 v1, 0
	s_waitcnt lgkmcnt(0)
	; wave barrier
	s_waitcnt lgkmcnt(0)
	ds_read_b32 v1, v1
	s_lshl_b64 s[10:11], s[22:23], 1
	s_add_u32 s7, s20, s10
	s_addc_u32 s8, s21, s11
	s_add_i32 s6, s6, -1
	s_mul_i32 s9, s6, 0x600
	s_sub_u32 s30, s26, s9
	s_waitcnt lgkmcnt(0)
	v_readfirstlane_b32 s33, v1
	s_subb_u32 s31, s27, 0
	s_mul_i32 s4, s33, 0x600
	s_mov_b32 s5, 0
	s_cmp_lg_u32 s33, s6
	s_cselect_b64 s[20:21], -1, 0
	s_lshl_b64 s[22:23], s[4:5], 1
	s_add_u32 s6, s7, s22
	s_addc_u32 s7, s8, s23
	s_mov_b64 s[4:5], -1
	s_and_b64 vcc, exec, s[20:21]
	v_lshlrev_b32_e32 v20, 1, v0
	s_waitcnt lgkmcnt(0)
	; wave barrier
	s_cbranch_vccz .LBB907_6
; %bb.5:
	v_mov_b32_e32 v1, s7
	v_add_co_u32_e32 v2, vcc, s6, v20
	v_addc_co_u32_e32 v3, vcc, 0, v1, vcc
	flat_load_ushort v1, v[2:3]
	flat_load_ushort v4, v[2:3] offset:128
	flat_load_ushort v5, v[2:3] offset:256
	;; [unrolled: 1-line block ×23, first 2 shown]
	s_mov_b64 s[4:5], 0
	s_waitcnt vmcnt(0) lgkmcnt(0)
	ds_write_b16 v20, v1
	ds_write_b16 v20, v4 offset:128
	ds_write_b16 v20, v5 offset:256
	;; [unrolled: 1-line block ×23, first 2 shown]
	s_waitcnt lgkmcnt(0)
	; wave barrier
.LBB907_6:
	s_andn2_b64 vcc, exec, s[4:5]
	v_cmp_gt_u32_e64 s[4:5], s30, v0
	s_cbranch_vccnz .LBB907_56
; %bb.7:
	v_pk_mov_b32 v[2:3], s[6:7], s[6:7] op_sel:[0,1]
	flat_load_ushort v1, v[2:3]
	s_waitcnt vmcnt(0) lgkmcnt(0)
	v_mov_b32_e32 v2, v1
	s_and_saveexec_b64 s[8:9], s[4:5]
	s_cbranch_execz .LBB907_9
; %bb.8:
	v_mov_b32_e32 v3, s7
	v_add_co_u32_e32 v2, vcc, s6, v20
	v_addc_co_u32_e32 v3, vcc, 0, v3, vcc
	flat_load_ushort v2, v[2:3]
.LBB907_9:
	s_or_b64 exec, exec, s[8:9]
	v_or_b32_e32 v3, 64, v0
	v_cmp_gt_u32_e32 vcc, s30, v3
	v_mov_b32_e32 v3, v1
	s_and_saveexec_b64 s[4:5], vcc
	s_cbranch_execz .LBB907_11
; %bb.10:
	v_mov_b32_e32 v3, s7
	v_add_co_u32_e32 v4, vcc, s6, v20
	v_addc_co_u32_e32 v5, vcc, 0, v3, vcc
	flat_load_ushort v3, v[4:5] offset:128
.LBB907_11:
	s_or_b64 exec, exec, s[4:5]
	v_or_b32_e32 v4, 0x80, v0
	v_cmp_gt_u32_e32 vcc, s30, v4
	v_mov_b32_e32 v4, v1
	s_and_saveexec_b64 s[4:5], vcc
	s_cbranch_execz .LBB907_13
; %bb.12:
	v_mov_b32_e32 v5, s7
	v_add_co_u32_e32 v4, vcc, s6, v20
	v_addc_co_u32_e32 v5, vcc, 0, v5, vcc
	flat_load_ushort v4, v[4:5] offset:256
.LBB907_13:
	;; [unrolled: 12-line block ×22, first 2 shown]
	s_or_b64 exec, exec, s[4:5]
	v_or_b32_e32 v26, 0x5c0, v0
	v_cmp_gt_u32_e32 vcc, s30, v26
	s_and_saveexec_b64 s[4:5], vcc
	s_cbranch_execz .LBB907_55
; %bb.54:
	v_mov_b32_e32 v1, s7
	v_add_co_u32_e32 v26, vcc, s6, v20
	v_addc_co_u32_e32 v27, vcc, 0, v1, vcc
	flat_load_ushort v1, v[26:27] offset:2944
.LBB907_55:
	s_or_b64 exec, exec, s[4:5]
	s_waitcnt vmcnt(0) lgkmcnt(0)
	ds_write_b16 v20, v2
	ds_write_b16 v20, v3 offset:128
	ds_write_b16 v20, v4 offset:256
	;; [unrolled: 1-line block ×23, first 2 shown]
	s_waitcnt lgkmcnt(0)
	; wave barrier
.LBB907_56:
	v_mul_u32_u24_e32 v21, 24, v0
	v_lshlrev_b32_e32 v1, 1, v21
	s_waitcnt lgkmcnt(0)
	ds_read_b128 v[10:13], v1
	ds_read_b128 v[6:9], v1 offset:16
	ds_read_b128 v[2:5], v1 offset:32
	s_cmp_lg_u32 s33, 0
	v_mbcnt_lo_u32_b32 v22, -1, 0
	v_cmp_eq_u32_e32 vcc, 63, v0
	s_waitcnt lgkmcnt(0)
	; wave barrier
	s_waitcnt lgkmcnt(0)
	s_cbranch_scc0 .LBB907_83
; %bb.57:
	v_add_u16_sdwa v14, v10, v10 dst_sel:DWORD dst_unused:UNUSED_PAD src0_sel:WORD_1 src1_sel:DWORD
	v_add_u16_e32 v14, v14, v11
	v_add_u16_sdwa v14, v14, v11 dst_sel:DWORD dst_unused:UNUSED_PAD src0_sel:DWORD src1_sel:WORD_1
	v_add_u16_e32 v14, v14, v12
	v_add_u16_sdwa v14, v14, v12 dst_sel:DWORD dst_unused:UNUSED_PAD src0_sel:DWORD src1_sel:WORD_1
	;; [unrolled: 2-line block ×10, first 2 shown]
	v_add_u16_e32 v14, v14, v5
	v_mbcnt_hi_u32_b32 v15, -1, v22
	v_add_u16_sdwa v14, v14, v5 dst_sel:DWORD dst_unused:UNUSED_PAD src0_sel:DWORD src1_sel:WORD_1
	v_and_b32_e32 v16, 15, v15
	v_cmp_ne_u32_e64 s[4:5], 0, v16
	v_mov_b32_dpp v17, v14 row_shr:1 row_mask:0xf bank_mask:0xf
	v_cndmask_b32_e64 v17, 0, v17, s[4:5]
	v_add_u16_e32 v14, v17, v14
	v_cmp_lt_u32_e64 s[4:5], 1, v16
	s_nop 0
	v_mov_b32_dpp v17, v14 row_shr:2 row_mask:0xf bank_mask:0xf
	v_cndmask_b32_e64 v17, 0, v17, s[4:5]
	v_add_u16_e32 v14, v14, v17
	v_cmp_lt_u32_e64 s[4:5], 3, v16
	s_nop 0
	;; [unrolled: 5-line block ×3, first 2 shown]
	v_mov_b32_dpp v17, v14 row_shr:8 row_mask:0xf bank_mask:0xf
	v_cndmask_b32_e64 v16, 0, v17, s[4:5]
	v_add_u16_e32 v14, v14, v16
	v_and_b32_e32 v17, 16, v15
	v_cmp_ne_u32_e64 s[4:5], 0, v17
	v_mov_b32_dpp v16, v14 row_bcast:15 row_mask:0xf bank_mask:0xf
	v_cndmask_b32_e64 v16, 0, v16, s[4:5]
	v_add_u16_e32 v14, v14, v16
	v_cmp_lt_u32_e64 s[4:5], 31, v15
	s_nop 0
	v_mov_b32_dpp v16, v14 row_bcast:31 row_mask:0xf bank_mask:0xf
	v_cndmask_b32_e64 v16, 0, v16, s[4:5]
	v_add_u16_e32 v14, v14, v16
	s_and_saveexec_b64 s[4:5], vcc
	s_cbranch_execz .LBB907_59
; %bb.58:
	v_mov_b32_e32 v16, 0
	ds_write_b16 v16, v14
.LBB907_59:
	s_or_b64 exec, exec, s[4:5]
	v_add_u32_e32 v16, -1, v15
	v_and_b32_e32 v17, 64, v15
	v_cmp_lt_i32_e32 vcc, v16, v17
	v_cndmask_b32_e32 v16, v16, v15, vcc
	v_lshlrev_b32_e32 v16, 2, v16
	ds_bpermute_b32 v23, v16, v14
	v_cmp_gt_u32_e32 vcc, 64, v0
	s_waitcnt lgkmcnt(0)
	; wave barrier
	s_waitcnt lgkmcnt(0)
	s_and_saveexec_b64 s[26:27], vcc
	s_cbranch_execz .LBB907_82
; %bb.60:
	v_mov_b32_e32 v19, 0
	ds_read_u16 v24, v19
	s_mov_b32 s9, 0
	v_cmp_eq_u32_e64 s[4:5], 0, v15
	s_and_saveexec_b64 s[6:7], s[4:5]
	s_cbranch_execz .LBB907_62
; %bb.61:
	s_add_i32 s8, s33, 64
	s_lshl_b64 s[8:9], s[8:9], 2
	s_add_u32 s8, s28, s8
	s_waitcnt lgkmcnt(0)
	v_or_b32_e32 v14, 0x10000, v24
	s_addc_u32 s9, s29, s9
	global_store_dword v19, v14, s[8:9]
.LBB907_62:
	s_or_b64 exec, exec, s[6:7]
	v_xad_u32 v14, v15, -1, s33
	v_add_u32_e32 v18, 64, v14
	v_lshlrev_b64 v[16:17], 2, v[18:19]
	v_mov_b32_e32 v18, s29
	v_add_co_u32_e32 v16, vcc, s28, v16
	v_addc_co_u32_e32 v17, vcc, v18, v17, vcc
	global_load_dword v18, v[16:17], off glc
	s_waitcnt vmcnt(0)
	v_lshrrev_b32_e32 v28, 16, v18
	v_cmp_eq_u16_sdwa s[8:9], v28, v19 src0_sel:BYTE_0 src1_sel:DWORD
	s_and_saveexec_b64 s[6:7], s[8:9]
	s_cbranch_execz .LBB907_68
; %bb.63:
	s_mov_b32 s34, 1
	s_mov_b64 s[8:9], 0
	v_mov_b32_e32 v19, 0
.LBB907_64:                             ; =>This Loop Header: Depth=1
                                        ;     Child Loop BB907_65 Depth 2
	s_max_u32 s35, s34, 1
.LBB907_65:                             ;   Parent Loop BB907_64 Depth=1
                                        ; =>  This Inner Loop Header: Depth=2
	s_add_i32 s35, s35, -1
	s_cmp_eq_u32 s35, 0
	s_sleep 1
	s_cbranch_scc0 .LBB907_65
; %bb.66:                               ;   in Loop: Header=BB907_64 Depth=1
	global_load_dword v18, v[16:17], off glc
	s_cmp_lt_u32 s34, 32
	s_cselect_b64 s[36:37], -1, 0
	s_cmp_lg_u64 s[36:37], 0
	s_addc_u32 s34, s34, 0
	s_waitcnt vmcnt(0)
	v_lshrrev_b32_e32 v28, 16, v18
	v_cmp_ne_u16_sdwa s[36:37], v28, v19 src0_sel:BYTE_0 src1_sel:DWORD
	s_or_b64 s[8:9], s[36:37], s[8:9]
	s_andn2_b64 exec, exec, s[8:9]
	s_cbranch_execnz .LBB907_64
; %bb.67:
	s_or_b64 exec, exec, s[8:9]
.LBB907_68:
	s_or_b64 exec, exec, s[6:7]
	v_and_b32_e32 v26, 63, v15
	v_cmp_ne_u32_e32 vcc, 63, v26
	v_mov_b32_e32 v25, 2
	v_addc_co_u32_e32 v27, vcc, 0, v15, vcc
	v_cmp_eq_u16_sdwa s[6:7], v28, v25 src0_sel:BYTE_0 src1_sel:DWORD
	v_lshlrev_b64 v[16:17], v15, -1
	v_and_b32_e32 v30, 0xffff, v18
	v_lshlrev_b32_e32 v27, 2, v27
	v_and_b32_e32 v19, s7, v17
	ds_bpermute_b32 v31, v27, v30
	v_or_b32_e32 v19, 0x80000000, v19
	v_and_b32_e32 v29, s6, v16
	v_ffbl_b32_e32 v19, v19
	v_add_u32_e32 v19, 32, v19
	v_ffbl_b32_e32 v29, v29
	v_cmp_gt_u32_e64 s[6:7], 62, v26
	v_min_u32_e32 v19, v29, v19
	v_cndmask_b32_e64 v29, 0, 1, s[6:7]
	s_waitcnt lgkmcnt(0)
	v_add_u16_e32 v31, v31, v18
	v_cmp_lt_u32_e32 vcc, v26, v19
	v_lshlrev_b32_e32 v29, 1, v29
	v_cndmask_b32_e32 v32, v30, v31, vcc
	v_add_lshl_u32 v29, v29, v15, 2
	ds_bpermute_b32 v33, v29, v32
	v_cmp_gt_u32_e64 s[8:9], 60, v26
	v_cndmask_b32_e32 v34, v18, v31, vcc
	v_add_u32_e32 v30, 2, v26
	v_cndmask_b32_e64 v31, 0, 1, s[8:9]
	s_waitcnt lgkmcnt(0)
	v_add_u16_e32 v33, v34, v33
	v_cmp_gt_u32_e64 s[6:7], v30, v19
	v_lshlrev_b32_e32 v31, 2, v31
	v_cndmask_b32_e64 v35, v33, v32, s[6:7]
	v_add_lshl_u32 v31, v31, v15, 2
	ds_bpermute_b32 v36, v31, v35
	v_cmp_gt_u32_e64 s[8:9], 56, v26
	v_cndmask_b32_e64 v34, v33, v34, s[6:7]
	v_add_u32_e32 v32, 4, v26
	v_cndmask_b32_e64 v33, 0, 1, s[8:9]
	s_waitcnt lgkmcnt(0)
	v_add_u16_e32 v36, v34, v36
	v_cmp_gt_u32_e64 s[6:7], v32, v19
	v_lshlrev_b32_e32 v33, 3, v33
	v_cndmask_b32_e64 v35, v36, v35, s[6:7]
	v_add_lshl_u32 v33, v33, v15, 2
	ds_bpermute_b32 v37, v33, v35
	v_cndmask_b32_e64 v36, v36, v34, s[6:7]
	v_add_u32_e32 v34, 8, v26
	v_cmp_gt_u32_e64 s[6:7], v34, v19
	v_cmp_gt_u32_e64 s[8:9], 48, v26
	s_waitcnt lgkmcnt(0)
	v_add_u16_e32 v37, v36, v37
	v_cndmask_b32_e64 v38, v37, v35, s[6:7]
	v_cndmask_b32_e64 v35, 0, 1, s[8:9]
	v_lshlrev_b32_e32 v35, 4, v35
	v_add_lshl_u32 v35, v35, v15, 2
	ds_bpermute_b32 v39, v35, v38
	v_cndmask_b32_e64 v37, v37, v36, s[6:7]
	v_add_u32_e32 v36, 16, v26
	v_cmp_gt_u32_e64 s[6:7], v36, v19
	v_cmp_gt_u32_e64 s[8:9], 32, v26
	s_waitcnt lgkmcnt(0)
	v_add_u16_e32 v40, v37, v39
	v_cndmask_b32_e64 v39, v40, v38, s[6:7]
	v_cndmask_b32_e64 v38, 0, 1, s[8:9]
	v_lshlrev_b32_e32 v38, 5, v38
	v_add_lshl_u32 v38, v38, v15, 2
	ds_bpermute_b32 v15, v38, v39
	v_add_u32_e32 v39, 32, v26
	v_cndmask_b32_e64 v37, v40, v37, s[6:7]
	v_cmp_le_u32_e64 s[6:7], v39, v19
	s_waitcnt lgkmcnt(0)
	v_cndmask_b32_e64 v15, 0, v15, s[6:7]
	v_add_u16_e32 v15, v37, v15
	v_cndmask_b32_e32 v18, v18, v15, vcc
	v_mov_b32_e32 v15, 0
	s_branch .LBB907_70
.LBB907_69:                             ;   in Loop: Header=BB907_70 Depth=1
	s_or_b64 exec, exec, s[6:7]
	v_cmp_eq_u16_sdwa s[6:7], v28, v25 src0_sel:BYTE_0 src1_sel:DWORD
	v_and_b32_e32 v41, 0xffff, v40
	v_and_b32_e32 v18, s7, v17
	ds_bpermute_b32 v42, v27, v41
	v_or_b32_e32 v18, 0x80000000, v18
	v_and_b32_e32 v19, s6, v16
	v_ffbl_b32_e32 v18, v18
	v_add_u32_e32 v18, 32, v18
	v_ffbl_b32_e32 v19, v19
	v_min_u32_e32 v18, v19, v18
	s_waitcnt lgkmcnt(0)
	v_add_u16_e32 v19, v42, v40
	v_cmp_lt_u32_e32 vcc, v26, v18
	v_cndmask_b32_e32 v41, v41, v19, vcc
	ds_bpermute_b32 v42, v29, v41
	v_cndmask_b32_e32 v19, v40, v19, vcc
	v_cmp_gt_u32_e64 s[6:7], v30, v18
	v_subrev_u32_e32 v14, 64, v14
	s_waitcnt lgkmcnt(0)
	v_add_u16_e32 v42, v19, v42
	v_cndmask_b32_e64 v41, v42, v41, s[6:7]
	ds_bpermute_b32 v43, v31, v41
	v_cndmask_b32_e64 v19, v42, v19, s[6:7]
	v_cmp_gt_u32_e64 s[6:7], v32, v18
	s_waitcnt lgkmcnt(0)
	v_add_u16_e32 v42, v19, v43
	v_cndmask_b32_e64 v41, v42, v41, s[6:7]
	ds_bpermute_b32 v43, v33, v41
	v_cndmask_b32_e64 v19, v42, v19, s[6:7]
	v_cmp_gt_u32_e64 s[6:7], v34, v18
	;; [unrolled: 6-line block ×3, first 2 shown]
	s_waitcnt lgkmcnt(0)
	v_add_u16_e32 v42, v19, v43
	v_cndmask_b32_e64 v41, v42, v41, s[6:7]
	ds_bpermute_b32 v41, v38, v41
	v_cndmask_b32_e64 v19, v42, v19, s[6:7]
	v_cmp_le_u32_e64 s[6:7], v39, v18
	s_waitcnt lgkmcnt(0)
	v_cndmask_b32_e64 v18, 0, v41, s[6:7]
	v_add_u16_e32 v18, v19, v18
	v_cndmask_b32_e32 v18, v40, v18, vcc
	v_add_u16_e32 v18, v18, v37
.LBB907_70:                             ; =>This Loop Header: Depth=1
                                        ;     Child Loop BB907_73 Depth 2
                                        ;       Child Loop BB907_74 Depth 3
	v_cmp_ne_u16_sdwa s[6:7], v28, v25 src0_sel:BYTE_0 src1_sel:DWORD
	v_cndmask_b32_e64 v19, 0, 1, s[6:7]
	;;#ASMSTART
	;;#ASMEND
	v_cmp_ne_u32_e32 vcc, 0, v19
	s_cmp_lg_u64 vcc, exec
	v_mov_b32_e32 v37, v18
	s_cbranch_scc1 .LBB907_77
; %bb.71:                               ;   in Loop: Header=BB907_70 Depth=1
	v_lshlrev_b64 v[18:19], 2, v[14:15]
	v_mov_b32_e32 v28, s29
	v_add_co_u32_e32 v18, vcc, s28, v18
	v_addc_co_u32_e32 v19, vcc, v28, v19, vcc
	global_load_dword v40, v[18:19], off glc
	s_waitcnt vmcnt(0)
	v_lshrrev_b32_e32 v28, 16, v40
	v_cmp_eq_u16_sdwa s[8:9], v28, v15 src0_sel:BYTE_0 src1_sel:DWORD
	s_and_saveexec_b64 s[6:7], s[8:9]
	s_cbranch_execz .LBB907_69
; %bb.72:                               ;   in Loop: Header=BB907_70 Depth=1
	s_mov_b32 s34, 1
	s_mov_b64 s[8:9], 0
.LBB907_73:                             ;   Parent Loop BB907_70 Depth=1
                                        ; =>  This Loop Header: Depth=2
                                        ;       Child Loop BB907_74 Depth 3
	s_max_u32 s35, s34, 1
.LBB907_74:                             ;   Parent Loop BB907_70 Depth=1
                                        ;     Parent Loop BB907_73 Depth=2
                                        ; =>    This Inner Loop Header: Depth=3
	s_add_i32 s35, s35, -1
	s_cmp_eq_u32 s35, 0
	s_sleep 1
	s_cbranch_scc0 .LBB907_74
; %bb.75:                               ;   in Loop: Header=BB907_73 Depth=2
	global_load_dword v40, v[18:19], off glc
	s_cmp_lt_u32 s34, 32
	s_cselect_b64 s[36:37], -1, 0
	s_cmp_lg_u64 s[36:37], 0
	s_addc_u32 s34, s34, 0
	s_waitcnt vmcnt(0)
	v_lshrrev_b32_e32 v28, 16, v40
	v_cmp_ne_u16_sdwa s[36:37], v28, v15 src0_sel:BYTE_0 src1_sel:DWORD
	s_or_b64 s[8:9], s[36:37], s[8:9]
	s_andn2_b64 exec, exec, s[8:9]
	s_cbranch_execnz .LBB907_73
; %bb.76:                               ;   in Loop: Header=BB907_70 Depth=1
	s_or_b64 exec, exec, s[8:9]
	s_branch .LBB907_69
.LBB907_77:                             ;   in Loop: Header=BB907_70 Depth=1
                                        ; implicit-def: $vgpr18
                                        ; implicit-def: $vgpr28
	s_cbranch_execz .LBB907_70
; %bb.78:
	s_and_saveexec_b64 s[6:7], s[4:5]
	s_cbranch_execz .LBB907_80
; %bb.79:
	s_add_i32 s4, s33, 64
	s_mov_b32 s5, 0
	s_lshl_b64 s[4:5], s[4:5], 2
	v_add_u16_e32 v14, v37, v24
	s_add_u32 s4, s28, s4
	v_or_b32_e32 v14, 0x20000, v14
	s_addc_u32 s5, s29, s5
	v_mov_b32_e32 v15, 0
	global_store_dword v15, v14, s[4:5]
.LBB907_80:
	s_or_b64 exec, exec, s[6:7]
	s_and_b64 exec, exec, s[2:3]
	s_cbranch_execz .LBB907_82
; %bb.81:
	v_mov_b32_e32 v14, 0
	ds_write_b16 v14, v37
.LBB907_82:
	s_or_b64 exec, exec, s[26:27]
	v_mov_b32_e32 v14, 0
	s_waitcnt lgkmcnt(0)
	; wave barrier
	s_waitcnt lgkmcnt(0)
	ds_read_u16 v14, v14
	v_cndmask_b32_e64 v15, v23, 0, s[2:3]
	v_add_u16_e32 v15, v15, v10
	s_waitcnt lgkmcnt(0)
	v_add_u16_e32 v14, v15, v14
	v_add_u16_sdwa v15, v14, v10 dst_sel:DWORD dst_unused:UNUSED_PAD src0_sel:DWORD src1_sel:WORD_1
	v_add_u16_e32 v16, v15, v11
	v_add_u16_sdwa v17, v16, v11 dst_sel:DWORD dst_unused:UNUSED_PAD src0_sel:DWORD src1_sel:WORD_1
	;; [unrolled: 2-line block ×12, first 2 shown]
	s_branch .LBB907_93
.LBB907_83:
                                        ; implicit-def: $vgpr14
                                        ; implicit-def: $vgpr15
                                        ; implicit-def: $vgpr16
                                        ; implicit-def: $vgpr17
                                        ; implicit-def: $vgpr18
                                        ; implicit-def: $vgpr19
                                        ; implicit-def: $vgpr24
                                        ; implicit-def: $vgpr26
                                        ; implicit-def: $vgpr23
                                        ; implicit-def: $vgpr25
                                        ; implicit-def: $vgpr27
                                        ; implicit-def: $vgpr28
                                        ; implicit-def: $vgpr29
                                        ; implicit-def: $vgpr30
                                        ; implicit-def: $vgpr32
                                        ; implicit-def: $vgpr34
                                        ; implicit-def: $vgpr31
                                        ; implicit-def: $vgpr33
                                        ; implicit-def: $vgpr35
                                        ; implicit-def: $vgpr36
                                        ; implicit-def: $vgpr37
                                        ; implicit-def: $vgpr38
                                        ; implicit-def: $vgpr39
                                        ; implicit-def: $vgpr40
	s_cbranch_execz .LBB907_93
; %bb.84:
	s_cmp_lg_u64 s[16:17], 0
	s_cselect_b64 s[4:5], -1, 0
	s_and_b64 s[4:5], s[2:3], s[4:5]
	v_mov_b32_e32 v14, v10
	s_and_saveexec_b64 s[2:3], s[4:5]
	s_cbranch_execz .LBB907_86
; %bb.85:
	v_mov_b32_e32 v14, 0
	global_load_ushort v14, v14, s[12:13]
	s_waitcnt vmcnt(0)
	v_add_u16_e32 v14, v14, v10
.LBB907_86:
	s_or_b64 exec, exec, s[2:3]
	v_add_u16_sdwa v15, v14, v10 dst_sel:DWORD dst_unused:UNUSED_PAD src0_sel:DWORD src1_sel:WORD_1
	v_add_u16_e32 v16, v15, v11
	v_add_u16_sdwa v17, v16, v11 dst_sel:DWORD dst_unused:UNUSED_PAD src0_sel:DWORD src1_sel:WORD_1
	v_add_u16_e32 v18, v17, v12
	;; [unrolled: 2-line block ×11, first 2 shown]
	v_mbcnt_hi_u32_b32 v22, -1, v22
	v_add_u16_sdwa v40, v39, v5 dst_sel:DWORD dst_unused:UNUSED_PAD src0_sel:DWORD src1_sel:WORD_1
	v_and_b32_e32 v41, 15, v22
	v_cmp_ne_u32_e32 vcc, 0, v41
	v_mov_b32_dpp v42, v40 row_shr:1 row_mask:0xf bank_mask:0xf
	v_cndmask_b32_e32 v42, 0, v42, vcc
	v_add_u16_e32 v42, v40, v42
	v_cmp_lt_u32_e32 vcc, 1, v41
	s_nop 0
	v_mov_b32_dpp v43, v42 row_shr:2 row_mask:0xf bank_mask:0xf
	v_cndmask_b32_e32 v43, 0, v43, vcc
	v_add_u16_e32 v42, v42, v43
	v_cmp_lt_u32_e32 vcc, 3, v41
	s_nop 0
	;; [unrolled: 5-line block ×3, first 2 shown]
	v_mov_b32_dpp v43, v42 row_shr:8 row_mask:0xf bank_mask:0xf
	v_cndmask_b32_e32 v41, 0, v43, vcc
	v_add_u16_e32 v41, v42, v41
	v_and_b32_e32 v43, 16, v22
	v_cmp_ne_u32_e32 vcc, 0, v43
	v_mov_b32_dpp v42, v41 row_bcast:15 row_mask:0xf bank_mask:0xf
	v_cndmask_b32_e32 v42, 0, v42, vcc
	v_add_u16_e32 v41, v41, v42
	v_cmp_lt_u32_e32 vcc, 31, v22
	s_nop 0
	v_mov_b32_dpp v42, v41 row_bcast:31 row_mask:0xf bank_mask:0xf
	v_cndmask_b32_e32 v42, 0, v42, vcc
	v_add_u16_e32 v41, v41, v42
	v_cmp_eq_u32_e32 vcc, 63, v0
	s_and_saveexec_b64 s[2:3], vcc
	s_cbranch_execz .LBB907_88
; %bb.87:
	v_mov_b32_e32 v42, 0
	ds_write_b16 v42, v41
.LBB907_88:
	s_or_b64 exec, exec, s[2:3]
	v_add_u32_e32 v42, -1, v22
	v_and_b32_e32 v43, 64, v22
	v_cmp_lt_i32_e64 s[2:3], v42, v43
	v_cndmask_b32_e64 v22, v42, v22, s[2:3]
	v_lshlrev_b32_e32 v22, 2, v22
	ds_bpermute_b32 v22, v22, v41
	s_waitcnt lgkmcnt(0)
	; wave barrier
	s_waitcnt lgkmcnt(0)
	s_and_saveexec_b64 s[2:3], s[0:1]
	s_cbranch_execz .LBB907_90
; %bb.89:
	v_add_u16_e32 v14, v14, v22
	v_add_u16_sdwa v15, v14, v10 dst_sel:DWORD dst_unused:UNUSED_PAD src0_sel:DWORD src1_sel:WORD_1
	v_add_u16_e32 v16, v15, v11
	v_add_u16_sdwa v17, v16, v11 dst_sel:DWORD dst_unused:UNUSED_PAD src0_sel:DWORD src1_sel:WORD_1
	;; [unrolled: 2-line block ×12, first 2 shown]
	;;#ASMSTART
	;;#ASMEND
.LBB907_90:
	s_or_b64 exec, exec, s[2:3]
	s_and_saveexec_b64 s[0:1], vcc
	s_cbranch_execz .LBB907_92
; %bb.91:
	s_mov_b32 s2, 0x20000
	v_mov_b32_e32 v2, 0
	v_or_b32_sdwa v3, v40, s2 dst_sel:DWORD dst_unused:UNUSED_PAD src0_sel:WORD_0 src1_sel:DWORD
	global_store_dword v2, v3, s[28:29] offset:256
.LBB907_92:
	s_or_b64 exec, exec, s[0:1]
.LBB907_93:
	s_add_u32 s0, s24, s10
	s_addc_u32 s1, s25, s11
	s_add_u32 s2, s0, s22
	s_addc_u32 s3, s1, s23
	s_mov_b64 s[0:1], -1
	s_and_b64 vcc, exec, s[20:21]
	s_waitcnt lgkmcnt(0)
	; wave barrier
	s_cbranch_vccz .LBB907_95
; %bb.94:
	s_mov_b32 s0, 0x5040100
	v_perm_b32 v5, v26, v24, s0
	v_perm_b32 v4, v19, v18, s0
	;; [unrolled: 1-line block ×4, first 2 shown]
	ds_write_b128 v1, v[2:5]
	v_perm_b32 v5, v34, v32, s0
	v_perm_b32 v4, v30, v29, s0
	v_perm_b32 v3, v28, v27, s0
	v_perm_b32 v2, v25, v23, s0
	ds_write_b128 v1, v[2:5] offset:16
	v_perm_b32 v5, v40, v39, s0
	v_perm_b32 v4, v38, v37, s0
	;; [unrolled: 1-line block ×4, first 2 shown]
	ds_write_b128 v1, v[2:5] offset:32
	s_waitcnt lgkmcnt(0)
	; wave barrier
	s_waitcnt lgkmcnt(0)
	ds_read_u16 v4, v20
	ds_read_u16 v5, v20 offset:128
	ds_read_u16 v6, v20 offset:256
	;; [unrolled: 1-line block ×23, first 2 shown]
	v_mov_b32_e32 v3, s3
	v_add_co_u32_e32 v2, vcc, s2, v20
	v_addc_co_u32_e32 v3, vcc, 0, v3, vcc
	s_waitcnt lgkmcnt(14)
	flat_store_short v[2:3], v4
	flat_store_short v[2:3], v5 offset:128
	flat_store_short v[2:3], v6 offset:256
	;; [unrolled: 1-line block ×9, first 2 shown]
	s_waitcnt lgkmcnt(0)
	flat_store_short v[2:3], v22 offset:1280
	flat_store_short v[2:3], v41 offset:1408
	;; [unrolled: 1-line block ×14, first 2 shown]
	s_mov_b64 s[0:1], 0
.LBB907_95:
	s_andn2_b64 vcc, exec, s[0:1]
	s_cbranch_vccnz .LBB907_152
; %bb.96:
	s_mov_b32 s0, 0x5040100
	v_perm_b32 v5, v26, v24, s0
	v_perm_b32 v4, v19, v18, s0
	;; [unrolled: 1-line block ×4, first 2 shown]
	ds_write_b128 v1, v[2:5]
	v_perm_b32 v5, v34, v32, s0
	v_perm_b32 v4, v30, v29, s0
	;; [unrolled: 1-line block ×4, first 2 shown]
	ds_write_b128 v1, v[2:5] offset:16
	v_perm_b32 v5, v40, v39, s0
	v_perm_b32 v4, v38, v37, s0
	;; [unrolled: 1-line block ×4, first 2 shown]
	ds_write_b128 v1, v[2:5] offset:32
	s_waitcnt lgkmcnt(0)
	; wave barrier
	s_waitcnt lgkmcnt(0)
	ds_read_u16 v5, v20
	ds_read_u16 v4, v20 offset:128
	ds_read_u16 v7, v20 offset:256
	;; [unrolled: 1-line block ×23, first 2 shown]
	v_mov_b32_e32 v3, s3
	v_add_co_u32_e32 v2, vcc, s2, v20
	v_addc_co_u32_e32 v3, vcc, 0, v3, vcc
	v_mov_b32_e32 v1, 0
	v_cmp_gt_u32_e32 vcc, s30, v0
	s_and_saveexec_b64 s[0:1], vcc
	s_cbranch_execz .LBB907_98
; %bb.97:
	s_waitcnt lgkmcnt(0)
	flat_store_short v[2:3], v5
.LBB907_98:
	s_or_b64 exec, exec, s[0:1]
	v_or_b32_e32 v20, 64, v0
	v_cmp_gt_u32_e32 vcc, s30, v20
	s_and_saveexec_b64 s[0:1], vcc
	s_cbranch_execz .LBB907_100
; %bb.99:
	s_waitcnt lgkmcnt(0)
	flat_store_short v[2:3], v4 offset:128
.LBB907_100:
	s_or_b64 exec, exec, s[0:1]
	v_or_b32_e32 v20, 0x80, v0
	v_cmp_gt_u32_e32 vcc, s30, v20
	s_and_saveexec_b64 s[0:1], vcc
	s_cbranch_execz .LBB907_102
; %bb.101:
	s_waitcnt lgkmcnt(0)
	flat_store_short v[2:3], v7 offset:256
.LBB907_102:
	s_or_b64 exec, exec, s[0:1]
	v_or_b32_e32 v20, 0xc0, v0
	v_cmp_gt_u32_e32 vcc, s30, v20
	s_and_saveexec_b64 s[0:1], vcc
	s_cbranch_execz .LBB907_104
; %bb.103:
	s_waitcnt lgkmcnt(0)
	flat_store_short v[2:3], v8 offset:384
.LBB907_104:
	s_or_b64 exec, exec, s[0:1]
	v_or_b32_e32 v20, 0x100, v0
	v_cmp_gt_u32_e32 vcc, s30, v20
	s_and_saveexec_b64 s[0:1], vcc
	s_cbranch_execz .LBB907_106
; %bb.105:
	s_waitcnt lgkmcnt(0)
	flat_store_short v[2:3], v6 offset:512
.LBB907_106:
	s_or_b64 exec, exec, s[0:1]
	v_or_b32_e32 v20, 0x140, v0
	v_cmp_gt_u32_e32 vcc, s30, v20
	s_and_saveexec_b64 s[0:1], vcc
	s_cbranch_execz .LBB907_108
; %bb.107:
	s_waitcnt lgkmcnt(0)
	flat_store_short v[2:3], v9 offset:640
.LBB907_108:
	s_or_b64 exec, exec, s[0:1]
	v_or_b32_e32 v20, 0x180, v0
	v_cmp_gt_u32_e32 vcc, s30, v20
	s_and_saveexec_b64 s[0:1], vcc
	s_cbranch_execz .LBB907_110
; %bb.109:
	s_waitcnt lgkmcnt(0)
	flat_store_short v[2:3], v17 offset:768
.LBB907_110:
	s_or_b64 exec, exec, s[0:1]
	v_or_b32_e32 v20, 0x1c0, v0
	v_cmp_gt_u32_e32 vcc, s30, v20
	s_and_saveexec_b64 s[0:1], vcc
	s_cbranch_execz .LBB907_112
; %bb.111:
	s_waitcnt lgkmcnt(0)
	flat_store_short v[2:3], v15 offset:896
.LBB907_112:
	s_or_b64 exec, exec, s[0:1]
	v_or_b32_e32 v20, 0x200, v0
	v_cmp_gt_u32_e32 vcc, s30, v20
	s_and_saveexec_b64 s[0:1], vcc
	s_cbranch_execz .LBB907_114
; %bb.113:
	s_waitcnt lgkmcnt(0)
	flat_store_short v[2:3], v16 offset:1024
.LBB907_114:
	s_or_b64 exec, exec, s[0:1]
	v_or_b32_e32 v20, 0x240, v0
	v_cmp_gt_u32_e32 vcc, s30, v20
	s_and_saveexec_b64 s[0:1], vcc
	s_cbranch_execz .LBB907_116
; %bb.115:
	s_waitcnt lgkmcnt(0)
	flat_store_short v[2:3], v25 offset:1152
.LBB907_116:
	s_or_b64 exec, exec, s[0:1]
	v_or_b32_e32 v20, 0x280, v0
	v_cmp_gt_u32_e32 vcc, s30, v20
	s_and_saveexec_b64 s[0:1], vcc
	s_cbranch_execz .LBB907_118
; %bb.117:
	s_waitcnt lgkmcnt(0)
	flat_store_short v[2:3], v22 offset:1280
.LBB907_118:
	s_or_b64 exec, exec, s[0:1]
	v_or_b32_e32 v20, 0x2c0, v0
	v_cmp_gt_u32_e32 vcc, s30, v20
	s_and_saveexec_b64 s[0:1], vcc
	s_cbranch_execz .LBB907_120
; %bb.119:
	s_waitcnt lgkmcnt(0)
	flat_store_short v[2:3], v19 offset:1408
.LBB907_120:
	s_or_b64 exec, exec, s[0:1]
	v_or_b32_e32 v20, 0x300, v0
	v_cmp_gt_u32_e32 vcc, s30, v20
	s_and_saveexec_b64 s[0:1], vcc
	s_cbranch_execz .LBB907_122
; %bb.121:
	s_waitcnt lgkmcnt(0)
	flat_store_short v[2:3], v18 offset:1536
.LBB907_122:
	s_or_b64 exec, exec, s[0:1]
	v_or_b32_e32 v20, 0x340, v0
	v_cmp_gt_u32_e32 vcc, s30, v20
	s_and_saveexec_b64 s[0:1], vcc
	s_cbranch_execz .LBB907_124
; %bb.123:
	s_waitcnt lgkmcnt(0)
	flat_store_short v[2:3], v13 offset:1664
.LBB907_124:
	s_or_b64 exec, exec, s[0:1]
	v_or_b32_e32 v20, 0x380, v0
	v_cmp_gt_u32_e32 vcc, s30, v20
	s_and_saveexec_b64 s[0:1], vcc
	s_cbranch_execz .LBB907_126
; %bb.125:
	s_waitcnt lgkmcnt(0)
	flat_store_short v[2:3], v14 offset:1792
.LBB907_126:
	s_or_b64 exec, exec, s[0:1]
	v_or_b32_e32 v20, 0x3c0, v0
	v_cmp_gt_u32_e32 vcc, s30, v20
	s_and_saveexec_b64 s[0:1], vcc
	s_cbranch_execz .LBB907_128
; %bb.127:
	s_waitcnt lgkmcnt(0)
	flat_store_short v[2:3], v10 offset:1920
.LBB907_128:
	s_or_b64 exec, exec, s[0:1]
	v_or_b32_e32 v20, 0x400, v0
	v_cmp_gt_u32_e32 vcc, s30, v20
	s_and_saveexec_b64 s[0:1], vcc
	s_cbranch_execz .LBB907_130
; %bb.129:
	s_waitcnt lgkmcnt(0)
	flat_store_short v[2:3], v24 offset:2048
.LBB907_130:
	s_or_b64 exec, exec, s[0:1]
	v_or_b32_e32 v20, 0x440, v0
	v_cmp_gt_u32_e32 vcc, s30, v20
	s_and_saveexec_b64 s[0:1], vcc
	s_cbranch_execz .LBB907_132
; %bb.131:
	s_waitcnt lgkmcnt(0)
	flat_store_short v[2:3], v27 offset:2176
.LBB907_132:
	s_or_b64 exec, exec, s[0:1]
	v_or_b32_e32 v20, 0x480, v0
	v_cmp_gt_u32_e32 vcc, s30, v20
	s_and_saveexec_b64 s[0:1], vcc
	s_cbranch_execz .LBB907_134
; %bb.133:
	s_waitcnt lgkmcnt(0)
	flat_store_short v[2:3], v26 offset:2304
.LBB907_134:
	s_or_b64 exec, exec, s[0:1]
	v_or_b32_e32 v20, 0x4c0, v0
	v_cmp_gt_u32_e32 vcc, s30, v20
	s_and_saveexec_b64 s[0:1], vcc
	s_cbranch_execz .LBB907_136
; %bb.135:
	s_waitcnt lgkmcnt(0)
	flat_store_short v[2:3], v23 offset:2432
.LBB907_136:
	s_or_b64 exec, exec, s[0:1]
	v_or_b32_e32 v20, 0x500, v0
	v_cmp_gt_u32_e32 vcc, s30, v20
	s_and_saveexec_b64 s[0:1], vcc
	s_cbranch_execz .LBB907_138
; %bb.137:
	s_waitcnt lgkmcnt(0)
	flat_store_short v[2:3], v12 offset:2560
.LBB907_138:
	s_or_b64 exec, exec, s[0:1]
	v_or_b32_e32 v20, 0x540, v0
	v_cmp_gt_u32_e32 vcc, s30, v20
	s_and_saveexec_b64 s[0:1], vcc
	s_cbranch_execz .LBB907_140
; %bb.139:
	s_waitcnt lgkmcnt(0)
	flat_store_short v[2:3], v11 offset:2688
.LBB907_140:
	s_or_b64 exec, exec, s[0:1]
	v_or_b32_e32 v20, 0x580, v0
	v_cmp_gt_u32_e32 vcc, s30, v20
	s_and_saveexec_b64 s[0:1], vcc
	s_cbranch_execz .LBB907_142
; %bb.141:
	s_waitcnt lgkmcnt(0)
	flat_store_short v[2:3], v28 offset:2816
.LBB907_142:
	s_or_b64 exec, exec, s[0:1]
	v_or_b32_e32 v20, 0x5c0, v0
	v_cmp_gt_u32_e32 vcc, s30, v20
	s_and_saveexec_b64 s[0:1], vcc
	s_cbranch_execz .LBB907_144
; %bb.143:
	s_waitcnt lgkmcnt(0)
	flat_store_short v[2:3], v29 offset:2944
.LBB907_144:
	s_or_b64 exec, exec, s[0:1]
	v_cmp_lt_u64_e64 s[0:1], s[18:19], 2
	s_and_b64 vcc, exec, s[0:1]
	s_cbranch_vccnz .LBB907_152
; %bb.145:
	s_add_u32 s0, s30, -1
	s_addc_u32 s1, s31, -1
	s_add_u32 s2, 0, 0xaaaa0000
	s_addc_u32 s3, 0, 42
	s_add_i32 s3, s3, 0xaaaaa80
	s_mul_hi_u32 s7, s2, 0xffffffe8
	s_sub_i32 s7, s7, s2
	s_mul_i32 s8, s3, 0xffffffe8
	s_mul_i32 s4, s2, 0xffffffe8
	s_add_i32 s7, s7, s8
	s_mul_hi_u32 s5, s3, s4
	s_mul_i32 s6, s3, s4
	s_mul_i32 s9, s2, s7
	s_mul_hi_u32 s4, s2, s4
	s_mul_hi_u32 s8, s2, s7
	s_add_u32 s4, s4, s9
	s_addc_u32 s8, 0, s8
	s_add_u32 s4, s4, s6
	s_mul_hi_u32 s9, s3, s7
	s_addc_u32 s4, s8, s5
	s_addc_u32 s5, s9, 0
	s_mul_i32 s6, s3, s7
	s_add_u32 s4, s4, s6
	v_mov_b32_e32 v2, s4
	s_addc_u32 s5, 0, s5
	v_add_co_u32_e32 v2, vcc, s2, v2
	s_cmp_lg_u64 vcc, 0
	s_addc_u32 s2, s3, s5
	v_readfirstlane_b32 s5, v2
	s_mul_i32 s4, s0, s2
	s_mul_hi_u32 s6, s0, s5
	s_mul_hi_u32 s3, s0, s2
	s_add_u32 s4, s6, s4
	s_addc_u32 s3, 0, s3
	s_mul_hi_u32 s7, s1, s5
	s_mul_i32 s5, s1, s5
	s_add_u32 s4, s4, s5
	s_mul_hi_u32 s6, s1, s2
	s_addc_u32 s3, s3, s7
	s_addc_u32 s4, s6, 0
	s_mul_i32 s2, s1, s2
	s_add_u32 s2, s3, s2
	s_addc_u32 s3, 0, s4
	s_add_u32 s4, s2, 1
	s_addc_u32 s5, s3, 0
	s_add_u32 s6, s2, 2
	s_mul_i32 s8, s3, 24
	s_mul_hi_u32 s9, s2, 24
	s_addc_u32 s7, s3, 0
	s_add_i32 s9, s9, s8
	s_mul_i32 s8, s2, 24
	v_mov_b32_e32 v2, s8
	v_sub_co_u32_e32 v2, vcc, s0, v2
	s_cmp_lg_u64 vcc, 0
	s_subb_u32 s8, s1, s9
	v_subrev_co_u32_e32 v3, vcc, 24, v2
	s_cmp_lg_u64 vcc, 0
	s_subb_u32 s9, s8, 0
	v_readfirstlane_b32 s10, v3
	s_cmp_gt_u32 s10, 23
	s_cselect_b32 s10, -1, 0
	s_cmp_eq_u32 s9, 0
	s_cselect_b32 s9, s10, -1
	s_cmp_lg_u32 s9, 0
	s_cselect_b32 s4, s6, s4
	v_readfirstlane_b32 s6, v2
	s_cselect_b32 s5, s7, s5
	s_cmp_gt_u32 s6, 23
	s_cselect_b32 s6, -1, 0
	s_cmp_eq_u32 s8, 0
	s_cselect_b32 s6, s6, -1
	s_cmp_lg_u32 s6, 0
	s_cselect_b32 s3, s5, s3
	s_cselect_b32 s2, s4, s2
	v_cmp_eq_u64_e32 vcc, s[2:3], v[0:1]
	s_and_saveexec_b64 s[2:3], vcc
	s_cbranch_execz .LBB907_152
; %bb.146:
	v_mul_hi_u32_u24_e32 v1, 24, v0
	v_mov_b32_e32 v2, s1
	v_sub_co_u32_e32 v0, vcc, s0, v21
	v_subb_co_u32_e32 v1, vcc, v2, v1, vcc
	v_cmp_lt_i64_e32 vcc, 11, v[0:1]
	s_mov_b64 s[0:1], 0
	s_mov_b64 s[8:9], 0
	;; [unrolled: 1-line block ×4, first 2 shown]
	s_and_saveexec_b64 s[2:3], vcc
	s_xor_b64 s[2:3], exec, s[2:3]
	s_cbranch_execnz .LBB907_153
; %bb.147:
	s_andn2_saveexec_b64 s[2:3], s[2:3]
	s_cbranch_execnz .LBB907_198
.LBB907_148:
	s_or_b64 exec, exec, s[2:3]
	s_and_saveexec_b64 s[2:3], s[8:9]
	s_cbranch_execnz .LBB907_215
.LBB907_149:
	s_or_b64 exec, exec, s[2:3]
	s_and_saveexec_b64 s[2:3], s[6:7]
	s_cbranch_execnz .LBB907_216
.LBB907_150:
	s_or_b64 exec, exec, s[2:3]
	s_and_saveexec_b64 s[2:3], s[4:5]
	s_xor_b64 s[2:3], exec, s[2:3]
	s_cbranch_execnz .LBB907_217
.LBB907_151:
	s_or_b64 exec, exec, s[2:3]
	s_and_b64 exec, exec, s[0:1]
	s_cbranch_execnz .LBB907_218
.LBB907_152:
	s_endpgm
.LBB907_153:
	v_cmp_lt_i64_e32 vcc, 17, v[0:1]
	s_and_saveexec_b64 s[10:11], vcc
	s_xor_b64 s[10:11], exec, s[10:11]
	s_cbranch_execz .LBB907_175
; %bb.154:
	v_cmp_lt_i64_e32 vcc, 20, v[0:1]
                                        ; implicit-def: $vgpr10
	s_and_saveexec_b64 s[12:13], vcc
	s_xor_b64 s[12:13], exec, s[12:13]
	s_cbranch_execz .LBB907_164
; %bb.155:
	v_cmp_lt_i64_e32 vcc, 21, v[0:1]
	s_mov_b64 s[16:17], 0
                                        ; implicit-def: $vgpr10
	s_and_saveexec_b64 s[4:5], vcc
	s_xor_b64 s[4:5], exec, s[4:5]
	s_cbranch_execz .LBB907_161
; %bb.156:
	v_cmp_lt_i64_e32 vcc, 22, v[0:1]
	s_and_saveexec_b64 s[16:17], vcc
	s_xor_b64 s[16:17], exec, s[16:17]
	s_cbranch_execz .LBB907_158
; %bb.157:
	v_mov_b32_e32 v2, 0
	s_waitcnt lgkmcnt(0)
	global_store_short v2, v29, s[14:15]
                                        ; implicit-def: $vgpr28
.LBB907_158:
	s_or_saveexec_b64 s[16:17], s[16:17]
	s_mov_b64 s[18:19], 0
	s_xor_b64 exec, exec, s[16:17]
; %bb.159:
	s_mov_b64 s[18:19], exec
; %bb.160:
	s_or_b64 exec, exec, s[16:17]
	s_and_b64 s[16:17], s[18:19], exec
	s_waitcnt lgkmcnt(0)
	v_mov_b32_e32 v10, v28
                                        ; implicit-def: $vgpr11
.LBB907_161:
	s_andn2_saveexec_b64 s[4:5], s[4:5]
; %bb.162:
	s_mov_b64 s[6:7], exec
                                        ; implicit-def: $vgpr10
; %bb.163:
	s_or_b64 exec, exec, s[4:5]
	s_and_b64 s[4:5], s[16:17], exec
	s_and_b64 s[6:7], s[6:7], exec
                                        ; implicit-def: $vgpr26
                                        ; implicit-def: $vgpr12
                                        ; implicit-def: $vgpr23
.LBB907_164:
	s_andn2_saveexec_b64 s[12:13], s[12:13]
	s_cbranch_execz .LBB907_174
; %bb.165:
	v_cmp_lt_i64_e32 vcc, 18, v[0:1]
	s_mov_b64 s[16:17], 0
	s_and_saveexec_b64 s[8:9], vcc
	s_xor_b64 s[8:9], exec, s[8:9]
	s_cbranch_execz .LBB907_171
; %bb.166:
	v_cmp_lt_i64_e32 vcc, 19, v[0:1]
	s_and_saveexec_b64 s[18:19], vcc
	s_xor_b64 s[18:19], exec, s[18:19]
; %bb.167:
	s_mov_b64 s[16:17], exec
                                        ; implicit-def: $vgpr23
; %bb.168:
	s_andn2_saveexec_b64 s[18:19], s[18:19]
	s_cbranch_execz .LBB907_170
; %bb.169:
	v_mov_b32_e32 v2, 0
	s_waitcnt lgkmcnt(0)
	global_store_short v2, v23, s[14:15]
                                        ; implicit-def: $vgpr12
.LBB907_170:
	s_or_b64 exec, exec, s[18:19]
	s_and_b64 s[16:17], s[16:17], exec
                                        ; implicit-def: $vgpr26
.LBB907_171:
	s_andn2_saveexec_b64 s[8:9], s[8:9]
	s_cbranch_execz .LBB907_173
; %bb.172:
	v_mov_b32_e32 v2, 0
	s_waitcnt lgkmcnt(0)
	global_store_short v2, v26, s[14:15]
                                        ; implicit-def: $vgpr12
.LBB907_173:
	s_or_b64 exec, exec, s[8:9]
	s_and_b64 s[8:9], s[16:17], exec
                                        ; implicit-def: $vgpr10
                                        ; implicit-def: $vgpr11
.LBB907_174:
	s_or_b64 exec, exec, s[12:13]
	s_and_b64 s[4:5], s[4:5], exec
	s_and_b64 s[6:7], s[6:7], exec
	;; [unrolled: 1-line block ×3, first 2 shown]
                                        ; implicit-def: $vgpr18
                                        ; implicit-def: $vgpr13
                                        ; implicit-def: $vgpr14
                                        ; implicit-def: $vgpr24
                                        ; implicit-def: $vgpr27
.LBB907_175:
	s_andn2_saveexec_b64 s[10:11], s[10:11]
	s_cbranch_execz .LBB907_197
; %bb.176:
	v_cmp_lt_i64_e32 vcc, 14, v[0:1]
	s_mov_b64 s[12:13], s[4:5]
	s_and_saveexec_b64 s[16:17], vcc
	s_xor_b64 s[16:17], exec, s[16:17]
	s_cbranch_execz .LBB907_186
; %bb.177:
	v_cmp_lt_i64_e32 vcc, 15, v[0:1]
	s_and_saveexec_b64 s[12:13], vcc
	s_xor_b64 s[12:13], exec, s[12:13]
	s_cbranch_execz .LBB907_183
; %bb.178:
	v_cmp_lt_i64_e32 vcc, 16, v[0:1]
	s_and_saveexec_b64 s[18:19], vcc
	s_xor_b64 s[18:19], exec, s[18:19]
	s_cbranch_execz .LBB907_180
; %bb.179:
	v_mov_b32_e32 v2, 0
	s_waitcnt lgkmcnt(0)
	global_store_short v2, v27, s[14:15]
                                        ; implicit-def: $vgpr24
.LBB907_180:
	s_andn2_saveexec_b64 s[18:19], s[18:19]
	s_cbranch_execz .LBB907_182
; %bb.181:
	v_mov_b32_e32 v2, 0
	s_waitcnt lgkmcnt(0)
	global_store_short v2, v24, s[14:15]
.LBB907_182:
	s_or_b64 exec, exec, s[18:19]
                                        ; implicit-def: $vgpr10
.LBB907_183:
	s_or_saveexec_b64 s[12:13], s[12:13]
	s_mov_b64 s[18:19], s[4:5]
	s_xor_b64 exec, exec, s[12:13]
; %bb.184:
	s_or_b64 s[18:19], s[4:5], exec
; %bb.185:
	s_or_b64 exec, exec, s[12:13]
	s_andn2_b64 s[12:13], s[4:5], exec
	s_and_b64 s[18:19], s[18:19], exec
	s_or_b64 s[12:13], s[12:13], s[18:19]
                                        ; implicit-def: $vgpr18
                                        ; implicit-def: $vgpr13
                                        ; implicit-def: $vgpr14
.LBB907_186:
	s_or_saveexec_b64 s[16:17], s[16:17]
	s_mov_b64 s[18:19], s[6:7]
                                        ; implicit-def: $vgpr11
	s_xor_b64 exec, exec, s[16:17]
	s_cbranch_execz .LBB907_196
; %bb.187:
	v_cmp_lt_i64_e32 vcc, 12, v[0:1]
	s_mov_b64 s[20:21], s[6:7]
	s_mov_b64 s[22:23], s[12:13]
                                        ; implicit-def: $vgpr10
                                        ; implicit-def: $vgpr11
	s_and_saveexec_b64 s[18:19], vcc
	s_xor_b64 s[18:19], exec, s[18:19]
	s_cbranch_execz .LBB907_193
; %bb.188:
	v_cmp_lt_i64_e32 vcc, 13, v[0:1]
	s_mov_b64 s[20:21], s[12:13]
	s_and_saveexec_b64 s[22:23], vcc
	s_xor_b64 s[22:23], exec, s[22:23]
; %bb.189:
	s_or_b64 s[20:21], s[12:13], exec
                                        ; implicit-def: $vgpr13
; %bb.190:
	s_or_saveexec_b64 s[22:23], s[22:23]
	s_mov_b64 s[24:25], s[6:7]
	s_xor_b64 exec, exec, s[22:23]
; %bb.191:
	s_or_b64 s[24:25], s[6:7], exec
                                        ; implicit-def: $vgpr14
; %bb.192:
	s_or_b64 exec, exec, s[22:23]
	s_andn2_b64 s[22:23], s[12:13], exec
	s_and_b64 s[20:21], s[20:21], exec
	s_or_b64 s[22:23], s[22:23], s[20:21]
	s_andn2_b64 s[20:21], s[6:7], exec
	s_and_b64 s[24:25], s[24:25], exec
	s_or_b64 s[20:21], s[20:21], s[24:25]
	s_waitcnt lgkmcnt(0)
	v_mov_b32_e32 v10, v14
	v_mov_b32_e32 v11, v13
                                        ; implicit-def: $vgpr18
.LBB907_193:
	s_andn2_saveexec_b64 s[18:19], s[18:19]
	s_cbranch_execz .LBB907_195
; %bb.194:
	s_or_b64 s[20:21], s[20:21], exec
                                        ; implicit-def: $vgpr10
	s_waitcnt lgkmcnt(0)
	v_mov_b32_e32 v11, v18
.LBB907_195:
	s_or_b64 exec, exec, s[18:19]
	s_andn2_b64 s[12:13], s[12:13], exec
	s_and_b64 s[18:19], s[22:23], exec
	s_or_b64 s[12:13], s[12:13], s[18:19]
	s_andn2_b64 s[18:19], s[6:7], exec
	s_and_b64 s[20:21], s[20:21], exec
	s_or_b64 s[18:19], s[18:19], s[20:21]
.LBB907_196:
	s_or_b64 exec, exec, s[16:17]
	s_andn2_b64 s[4:5], s[4:5], exec
	s_and_b64 s[12:13], s[12:13], exec
	s_or_b64 s[4:5], s[4:5], s[12:13]
	s_andn2_b64 s[6:7], s[6:7], exec
	s_and_b64 s[12:13], s[18:19], exec
	s_or_b64 s[6:7], s[6:7], s[12:13]
                                        ; implicit-def: $vgpr12
.LBB907_197:
	s_or_b64 exec, exec, s[10:11]
	s_and_b64 s[4:5], s[4:5], exec
	s_and_b64 s[6:7], s[6:7], exec
	;; [unrolled: 1-line block ×3, first 2 shown]
                                        ; implicit-def: $vgpr17
                                        ; implicit-def: $vgpr15
                                        ; implicit-def: $vgpr16
                                        ; implicit-def: $vgpr25
                                        ; implicit-def: $vgpr22
                                        ; implicit-def: $vgpr19
	s_andn2_saveexec_b64 s[2:3], s[2:3]
	s_cbranch_execz .LBB907_148
.LBB907_198:
	v_cmp_lt_i64_e32 vcc, 5, v[0:1]
	s_mov_b64 s[12:13], -1
	s_mov_b64 s[10:11], s[8:9]
	s_mov_b64 s[16:17], s[6:7]
	;; [unrolled: 1-line block ×3, first 2 shown]
                                        ; implicit-def: $vgpr10
                                        ; implicit-def: $vgpr11
                                        ; implicit-def: $vgpr12
	s_and_saveexec_b64 s[0:1], vcc
	s_cbranch_execz .LBB907_214
; %bb.199:
	v_cmp_lt_i64_e32 vcc, 8, v[0:1]
	s_mov_b64 s[10:11], s[8:9]
                                        ; implicit-def: $vgpr12
	s_and_saveexec_b64 s[12:13], vcc
	s_xor_b64 s[12:13], exec, s[12:13]
	s_cbranch_execz .LBB907_209
; %bb.200:
	v_cmp_lt_i64_e32 vcc, 9, v[0:1]
	s_and_saveexec_b64 s[10:11], vcc
	s_xor_b64 s[10:11], exec, s[10:11]
	s_cbranch_execz .LBB907_206
; %bb.201:
	v_cmp_lt_i64_e32 vcc, 10, v[0:1]
	s_and_saveexec_b64 s[16:17], vcc
	s_xor_b64 s[16:17], exec, s[16:17]
; %bb.202:
                                        ; implicit-def: $vgpr22
; %bb.203:
	s_andn2_saveexec_b64 s[16:17], s[16:17]
	s_cbranch_execz .LBB907_205
; %bb.204:
	s_waitcnt lgkmcnt(0)
	v_mov_b32_e32 v19, v22
.LBB907_205:
	s_or_b64 exec, exec, s[16:17]
                                        ; implicit-def: $vgpr25
.LBB907_206:
	s_andn2_saveexec_b64 s[10:11], s[10:11]
	s_cbranch_execz .LBB907_208
; %bb.207:
	s_waitcnt lgkmcnt(0)
	v_mov_b32_e32 v19, v25
.LBB907_208:
	s_or_b64 exec, exec, s[10:11]
	s_or_b64 s[10:11], s[8:9], exec
	s_waitcnt lgkmcnt(0)
	v_mov_b32_e32 v12, v19
                                        ; implicit-def: $vgpr17
                                        ; implicit-def: $vgpr15
                                        ; implicit-def: $vgpr16
.LBB907_209:
	s_or_saveexec_b64 s[12:13], s[12:13]
	s_mov_b64 s[16:17], s[6:7]
	s_mov_b64 s[20:21], s[4:5]
                                        ; implicit-def: $vgpr10
                                        ; implicit-def: $vgpr11
	s_xor_b64 exec, exec, s[12:13]
	s_cbranch_execz .LBB907_213
; %bb.210:
	v_cmp_lt_i64_e32 vcc, 6, v[0:1]
	s_mov_b64 s[20:21], -1
	s_mov_b64 s[18:19], s[10:11]
	s_mov_b64 s[16:17], s[6:7]
	s_and_saveexec_b64 s[22:23], vcc
; %bb.211:
	v_cmp_lt_i64_e32 vcc, 7, v[0:1]
	s_andn2_b64 s[18:19], s[10:11], exec
	s_and_b64 s[24:25], vcc, exec
	s_xor_b64 s[20:21], exec, -1
	s_or_b64 s[16:17], s[6:7], exec
	s_or_b64 s[18:19], s[18:19], s[24:25]
                                        ; implicit-def: $vgpr17
; %bb.212:
	s_or_b64 exec, exec, s[22:23]
	s_andn2_b64 s[22:23], s[4:5], exec
	s_and_b64 s[20:21], s[20:21], exec
	s_or_b64 s[20:21], s[22:23], s[20:21]
	s_andn2_b64 s[22:23], s[6:7], exec
	s_and_b64 s[16:17], s[16:17], exec
	s_andn2_b64 s[10:11], s[10:11], exec
	s_and_b64 s[18:19], s[18:19], exec
	s_or_b64 s[16:17], s[22:23], s[16:17]
	s_or_b64 s[10:11], s[10:11], s[18:19]
	s_waitcnt lgkmcnt(0)
	v_mov_b32_e32 v10, v17
	v_mov_b32_e32 v11, v15
	;; [unrolled: 1-line block ×3, first 2 shown]
.LBB907_213:
	s_or_b64 exec, exec, s[12:13]
	s_andn2_b64 s[18:19], s[4:5], exec
	s_and_b64 s[20:21], s[20:21], exec
	s_or_b64 s[18:19], s[18:19], s[20:21]
	s_andn2_b64 s[20:21], s[6:7], exec
	s_and_b64 s[16:17], s[16:17], exec
	s_or_b64 s[16:17], s[20:21], s[16:17]
	s_andn2_b64 s[20:21], s[8:9], exec
	s_and_b64 s[10:11], s[10:11], exec
	s_xor_b64 s[12:13], exec, -1
	s_or_b64 s[10:11], s[20:21], s[10:11]
.LBB907_214:
	s_or_b64 exec, exec, s[0:1]
	s_and_b64 s[0:1], s[12:13], exec
	s_andn2_b64 s[4:5], s[4:5], exec
	s_and_b64 s[12:13], s[18:19], exec
	s_or_b64 s[4:5], s[4:5], s[12:13]
	s_andn2_b64 s[6:7], s[6:7], exec
	s_and_b64 s[12:13], s[16:17], exec
	s_andn2_b64 s[8:9], s[8:9], exec
	s_and_b64 s[10:11], s[10:11], exec
	s_or_b64 s[6:7], s[6:7], s[12:13]
	s_or_b64 s[8:9], s[8:9], s[10:11]
	s_or_b64 exec, exec, s[2:3]
	s_and_saveexec_b64 s[2:3], s[8:9]
	s_cbranch_execz .LBB907_149
.LBB907_215:
	v_mov_b32_e32 v2, 0
	s_andn2_b64 s[6:7], s[6:7], exec
	s_waitcnt lgkmcnt(0)
	global_store_short v2, v12, s[14:15]
                                        ; implicit-def: $vgpr10
                                        ; implicit-def: $vgpr11
	s_or_b64 exec, exec, s[2:3]
	s_and_saveexec_b64 s[2:3], s[6:7]
	s_cbranch_execz .LBB907_150
.LBB907_216:
	v_mov_b32_e32 v2, 0
	s_waitcnt lgkmcnt(0)
	global_store_short v2, v11, s[14:15]
                                        ; implicit-def: $vgpr10
	s_or_b64 exec, exec, s[2:3]
	s_and_saveexec_b64 s[2:3], s[4:5]
	s_xor_b64 s[2:3], exec, s[2:3]
	s_cbranch_execz .LBB907_151
.LBB907_217:
	v_mov_b32_e32 v2, 0
	s_waitcnt lgkmcnt(0)
	global_store_short v2, v10, s[14:15]
	s_or_b64 exec, exec, s[2:3]
	s_and_b64 exec, exec, s[0:1]
	s_cbranch_execz .LBB907_152
.LBB907_218:
	v_cmp_lt_i64_e32 vcc, 2, v[0:1]
	s_and_saveexec_b64 s[0:1], vcc
	s_xor_b64 s[0:1], exec, s[0:1]
	s_cbranch_execz .LBB907_228
; %bb.219:
	v_cmp_lt_i64_e32 vcc, 3, v[0:1]
	s_and_saveexec_b64 s[2:3], vcc
	s_xor_b64 s[2:3], exec, s[2:3]
	s_cbranch_execz .LBB907_225
; %bb.220:
	;; [unrolled: 5-line block ×3, first 2 shown]
	v_mov_b32_e32 v0, 0
	s_waitcnt lgkmcnt(0)
	global_store_short v0, v9, s[14:15]
                                        ; implicit-def: $vgpr6
.LBB907_222:
	s_andn2_saveexec_b64 s[4:5], s[4:5]
	s_cbranch_execz .LBB907_224
; %bb.223:
	v_mov_b32_e32 v0, 0
	s_waitcnt lgkmcnt(0)
	global_store_short v0, v6, s[14:15]
.LBB907_224:
	s_or_b64 exec, exec, s[4:5]
                                        ; implicit-def: $vgpr8
.LBB907_225:
	s_andn2_saveexec_b64 s[2:3], s[2:3]
	s_cbranch_execz .LBB907_227
; %bb.226:
	v_mov_b32_e32 v0, 0
	s_waitcnt lgkmcnt(0)
	global_store_short v0, v8, s[14:15]
.LBB907_227:
	s_or_b64 exec, exec, s[2:3]
                                        ; implicit-def: $vgpr0_vgpr1
                                        ; implicit-def: $vgpr7
                                        ; implicit-def: $vgpr4
                                        ; implicit-def: $vgpr5
.LBB907_228:
	s_andn2_saveexec_b64 s[0:1], s[0:1]
	s_cbranch_execz .LBB907_152
; %bb.229:
	v_cmp_lt_i64_e32 vcc, 1, v[0:1]
	s_and_saveexec_b64 s[0:1], vcc
	s_xor_b64 s[0:1], exec, s[0:1]
	s_cbranch_execz .LBB907_231
; %bb.230:
	v_mov_b32_e32 v0, 0
	s_waitcnt lgkmcnt(0)
	global_store_short v0, v7, s[14:15]
                                        ; implicit-def: $vgpr4
                                        ; implicit-def: $vgpr0_vgpr1
                                        ; implicit-def: $vgpr5
.LBB907_231:
	s_andn2_saveexec_b64 s[0:1], s[0:1]
	s_cbranch_execz .LBB907_152
; %bb.232:
	v_cmp_ne_u64_e32 vcc, 1, v[0:1]
	s_and_saveexec_b64 s[0:1], vcc
	s_xor_b64 s[0:1], exec, s[0:1]
	s_cbranch_execz .LBB907_234
; %bb.233:
	v_mov_b32_e32 v0, 0
	s_waitcnt lgkmcnt(0)
	global_store_short v0, v5, s[14:15]
                                        ; implicit-def: $vgpr4
.LBB907_234:
	s_andn2_saveexec_b64 s[0:1], s[0:1]
	s_cbranch_execz .LBB907_152
; %bb.235:
	v_mov_b32_e32 v0, 0
	s_waitcnt lgkmcnt(0)
	global_store_short v0, v4, s[14:15]
	s_endpgm
	.section	.rodata,"a",@progbits
	.p2align	6, 0x0
	.amdhsa_kernel _ZN7rocprim17ROCPRIM_400000_NS6detail17trampoline_kernelINS0_14default_configENS1_20scan_config_selectorIsEEZZNS1_9scan_implILNS1_25lookback_scan_determinismE0ELb0ELb0ES3_N6thrust23THRUST_200600_302600_NS6detail15normal_iteratorINS9_10device_ptrIsEEEESE_sNS9_4plusIvEEsEEDaPvRmT3_T4_T5_mT6_P12ihipStream_tbENKUlT_T0_E_clISt17integral_constantIbLb1EESU_EEDaSP_SQ_EUlSP_E_NS1_11comp_targetILNS1_3genE4ELNS1_11target_archE910ELNS1_3gpuE8ELNS1_3repE0EEENS1_30default_config_static_selectorELNS0_4arch9wavefront6targetE1EEEvT1_
		.amdhsa_group_segment_fixed_size 3072
		.amdhsa_private_segment_fixed_size 0
		.amdhsa_kernarg_size 96
		.amdhsa_user_sgpr_count 6
		.amdhsa_user_sgpr_private_segment_buffer 1
		.amdhsa_user_sgpr_dispatch_ptr 0
		.amdhsa_user_sgpr_queue_ptr 0
		.amdhsa_user_sgpr_kernarg_segment_ptr 1
		.amdhsa_user_sgpr_dispatch_id 0
		.amdhsa_user_sgpr_flat_scratch_init 0
		.amdhsa_user_sgpr_kernarg_preload_length 0
		.amdhsa_user_sgpr_kernarg_preload_offset 0
		.amdhsa_user_sgpr_private_segment_size 0
		.amdhsa_uses_dynamic_stack 0
		.amdhsa_system_sgpr_private_segment_wavefront_offset 0
		.amdhsa_system_sgpr_workgroup_id_x 1
		.amdhsa_system_sgpr_workgroup_id_y 0
		.amdhsa_system_sgpr_workgroup_id_z 0
		.amdhsa_system_sgpr_workgroup_info 0
		.amdhsa_system_vgpr_workitem_id 0
		.amdhsa_next_free_vgpr 54
		.amdhsa_next_free_sgpr 38
		.amdhsa_accum_offset 56
		.amdhsa_reserve_vcc 1
		.amdhsa_reserve_flat_scratch 0
		.amdhsa_float_round_mode_32 0
		.amdhsa_float_round_mode_16_64 0
		.amdhsa_float_denorm_mode_32 3
		.amdhsa_float_denorm_mode_16_64 3
		.amdhsa_dx10_clamp 1
		.amdhsa_ieee_mode 1
		.amdhsa_fp16_overflow 0
		.amdhsa_tg_split 0
		.amdhsa_exception_fp_ieee_invalid_op 0
		.amdhsa_exception_fp_denorm_src 0
		.amdhsa_exception_fp_ieee_div_zero 0
		.amdhsa_exception_fp_ieee_overflow 0
		.amdhsa_exception_fp_ieee_underflow 0
		.amdhsa_exception_fp_ieee_inexact 0
		.amdhsa_exception_int_div_zero 0
	.end_amdhsa_kernel
	.section	.text._ZN7rocprim17ROCPRIM_400000_NS6detail17trampoline_kernelINS0_14default_configENS1_20scan_config_selectorIsEEZZNS1_9scan_implILNS1_25lookback_scan_determinismE0ELb0ELb0ES3_N6thrust23THRUST_200600_302600_NS6detail15normal_iteratorINS9_10device_ptrIsEEEESE_sNS9_4plusIvEEsEEDaPvRmT3_T4_T5_mT6_P12ihipStream_tbENKUlT_T0_E_clISt17integral_constantIbLb1EESU_EEDaSP_SQ_EUlSP_E_NS1_11comp_targetILNS1_3genE4ELNS1_11target_archE910ELNS1_3gpuE8ELNS1_3repE0EEENS1_30default_config_static_selectorELNS0_4arch9wavefront6targetE1EEEvT1_,"axG",@progbits,_ZN7rocprim17ROCPRIM_400000_NS6detail17trampoline_kernelINS0_14default_configENS1_20scan_config_selectorIsEEZZNS1_9scan_implILNS1_25lookback_scan_determinismE0ELb0ELb0ES3_N6thrust23THRUST_200600_302600_NS6detail15normal_iteratorINS9_10device_ptrIsEEEESE_sNS9_4plusIvEEsEEDaPvRmT3_T4_T5_mT6_P12ihipStream_tbENKUlT_T0_E_clISt17integral_constantIbLb1EESU_EEDaSP_SQ_EUlSP_E_NS1_11comp_targetILNS1_3genE4ELNS1_11target_archE910ELNS1_3gpuE8ELNS1_3repE0EEENS1_30default_config_static_selectorELNS0_4arch9wavefront6targetE1EEEvT1_,comdat
.Lfunc_end907:
	.size	_ZN7rocprim17ROCPRIM_400000_NS6detail17trampoline_kernelINS0_14default_configENS1_20scan_config_selectorIsEEZZNS1_9scan_implILNS1_25lookback_scan_determinismE0ELb0ELb0ES3_N6thrust23THRUST_200600_302600_NS6detail15normal_iteratorINS9_10device_ptrIsEEEESE_sNS9_4plusIvEEsEEDaPvRmT3_T4_T5_mT6_P12ihipStream_tbENKUlT_T0_E_clISt17integral_constantIbLb1EESU_EEDaSP_SQ_EUlSP_E_NS1_11comp_targetILNS1_3genE4ELNS1_11target_archE910ELNS1_3gpuE8ELNS1_3repE0EEENS1_30default_config_static_selectorELNS0_4arch9wavefront6targetE1EEEvT1_, .Lfunc_end907-_ZN7rocprim17ROCPRIM_400000_NS6detail17trampoline_kernelINS0_14default_configENS1_20scan_config_selectorIsEEZZNS1_9scan_implILNS1_25lookback_scan_determinismE0ELb0ELb0ES3_N6thrust23THRUST_200600_302600_NS6detail15normal_iteratorINS9_10device_ptrIsEEEESE_sNS9_4plusIvEEsEEDaPvRmT3_T4_T5_mT6_P12ihipStream_tbENKUlT_T0_E_clISt17integral_constantIbLb1EESU_EEDaSP_SQ_EUlSP_E_NS1_11comp_targetILNS1_3genE4ELNS1_11target_archE910ELNS1_3gpuE8ELNS1_3repE0EEENS1_30default_config_static_selectorELNS0_4arch9wavefront6targetE1EEEvT1_
                                        ; -- End function
	.section	.AMDGPU.csdata,"",@progbits
; Kernel info:
; codeLenInByte = 8064
; NumSgprs: 42
; NumVgprs: 54
; NumAgprs: 0
; TotalNumVgprs: 54
; ScratchSize: 0
; MemoryBound: 0
; FloatMode: 240
; IeeeMode: 1
; LDSByteSize: 3072 bytes/workgroup (compile time only)
; SGPRBlocks: 5
; VGPRBlocks: 6
; NumSGPRsForWavesPerEU: 42
; NumVGPRsForWavesPerEU: 54
; AccumOffset: 56
; Occupancy: 6
; WaveLimiterHint : 1
; COMPUTE_PGM_RSRC2:SCRATCH_EN: 0
; COMPUTE_PGM_RSRC2:USER_SGPR: 6
; COMPUTE_PGM_RSRC2:TRAP_HANDLER: 0
; COMPUTE_PGM_RSRC2:TGID_X_EN: 1
; COMPUTE_PGM_RSRC2:TGID_Y_EN: 0
; COMPUTE_PGM_RSRC2:TGID_Z_EN: 0
; COMPUTE_PGM_RSRC2:TIDIG_COMP_CNT: 0
; COMPUTE_PGM_RSRC3_GFX90A:ACCUM_OFFSET: 13
; COMPUTE_PGM_RSRC3_GFX90A:TG_SPLIT: 0
	.section	.text._ZN7rocprim17ROCPRIM_400000_NS6detail17trampoline_kernelINS0_14default_configENS1_20scan_config_selectorIsEEZZNS1_9scan_implILNS1_25lookback_scan_determinismE0ELb0ELb0ES3_N6thrust23THRUST_200600_302600_NS6detail15normal_iteratorINS9_10device_ptrIsEEEESE_sNS9_4plusIvEEsEEDaPvRmT3_T4_T5_mT6_P12ihipStream_tbENKUlT_T0_E_clISt17integral_constantIbLb1EESU_EEDaSP_SQ_EUlSP_E_NS1_11comp_targetILNS1_3genE3ELNS1_11target_archE908ELNS1_3gpuE7ELNS1_3repE0EEENS1_30default_config_static_selectorELNS0_4arch9wavefront6targetE1EEEvT1_,"axG",@progbits,_ZN7rocprim17ROCPRIM_400000_NS6detail17trampoline_kernelINS0_14default_configENS1_20scan_config_selectorIsEEZZNS1_9scan_implILNS1_25lookback_scan_determinismE0ELb0ELb0ES3_N6thrust23THRUST_200600_302600_NS6detail15normal_iteratorINS9_10device_ptrIsEEEESE_sNS9_4plusIvEEsEEDaPvRmT3_T4_T5_mT6_P12ihipStream_tbENKUlT_T0_E_clISt17integral_constantIbLb1EESU_EEDaSP_SQ_EUlSP_E_NS1_11comp_targetILNS1_3genE3ELNS1_11target_archE908ELNS1_3gpuE7ELNS1_3repE0EEENS1_30default_config_static_selectorELNS0_4arch9wavefront6targetE1EEEvT1_,comdat
	.protected	_ZN7rocprim17ROCPRIM_400000_NS6detail17trampoline_kernelINS0_14default_configENS1_20scan_config_selectorIsEEZZNS1_9scan_implILNS1_25lookback_scan_determinismE0ELb0ELb0ES3_N6thrust23THRUST_200600_302600_NS6detail15normal_iteratorINS9_10device_ptrIsEEEESE_sNS9_4plusIvEEsEEDaPvRmT3_T4_T5_mT6_P12ihipStream_tbENKUlT_T0_E_clISt17integral_constantIbLb1EESU_EEDaSP_SQ_EUlSP_E_NS1_11comp_targetILNS1_3genE3ELNS1_11target_archE908ELNS1_3gpuE7ELNS1_3repE0EEENS1_30default_config_static_selectorELNS0_4arch9wavefront6targetE1EEEvT1_ ; -- Begin function _ZN7rocprim17ROCPRIM_400000_NS6detail17trampoline_kernelINS0_14default_configENS1_20scan_config_selectorIsEEZZNS1_9scan_implILNS1_25lookback_scan_determinismE0ELb0ELb0ES3_N6thrust23THRUST_200600_302600_NS6detail15normal_iteratorINS9_10device_ptrIsEEEESE_sNS9_4plusIvEEsEEDaPvRmT3_T4_T5_mT6_P12ihipStream_tbENKUlT_T0_E_clISt17integral_constantIbLb1EESU_EEDaSP_SQ_EUlSP_E_NS1_11comp_targetILNS1_3genE3ELNS1_11target_archE908ELNS1_3gpuE7ELNS1_3repE0EEENS1_30default_config_static_selectorELNS0_4arch9wavefront6targetE1EEEvT1_
	.globl	_ZN7rocprim17ROCPRIM_400000_NS6detail17trampoline_kernelINS0_14default_configENS1_20scan_config_selectorIsEEZZNS1_9scan_implILNS1_25lookback_scan_determinismE0ELb0ELb0ES3_N6thrust23THRUST_200600_302600_NS6detail15normal_iteratorINS9_10device_ptrIsEEEESE_sNS9_4plusIvEEsEEDaPvRmT3_T4_T5_mT6_P12ihipStream_tbENKUlT_T0_E_clISt17integral_constantIbLb1EESU_EEDaSP_SQ_EUlSP_E_NS1_11comp_targetILNS1_3genE3ELNS1_11target_archE908ELNS1_3gpuE7ELNS1_3repE0EEENS1_30default_config_static_selectorELNS0_4arch9wavefront6targetE1EEEvT1_
	.p2align	8
	.type	_ZN7rocprim17ROCPRIM_400000_NS6detail17trampoline_kernelINS0_14default_configENS1_20scan_config_selectorIsEEZZNS1_9scan_implILNS1_25lookback_scan_determinismE0ELb0ELb0ES3_N6thrust23THRUST_200600_302600_NS6detail15normal_iteratorINS9_10device_ptrIsEEEESE_sNS9_4plusIvEEsEEDaPvRmT3_T4_T5_mT6_P12ihipStream_tbENKUlT_T0_E_clISt17integral_constantIbLb1EESU_EEDaSP_SQ_EUlSP_E_NS1_11comp_targetILNS1_3genE3ELNS1_11target_archE908ELNS1_3gpuE7ELNS1_3repE0EEENS1_30default_config_static_selectorELNS0_4arch9wavefront6targetE1EEEvT1_,@function
_ZN7rocprim17ROCPRIM_400000_NS6detail17trampoline_kernelINS0_14default_configENS1_20scan_config_selectorIsEEZZNS1_9scan_implILNS1_25lookback_scan_determinismE0ELb0ELb0ES3_N6thrust23THRUST_200600_302600_NS6detail15normal_iteratorINS9_10device_ptrIsEEEESE_sNS9_4plusIvEEsEEDaPvRmT3_T4_T5_mT6_P12ihipStream_tbENKUlT_T0_E_clISt17integral_constantIbLb1EESU_EEDaSP_SQ_EUlSP_E_NS1_11comp_targetILNS1_3genE3ELNS1_11target_archE908ELNS1_3gpuE7ELNS1_3repE0EEENS1_30default_config_static_selectorELNS0_4arch9wavefront6targetE1EEEvT1_: ; @_ZN7rocprim17ROCPRIM_400000_NS6detail17trampoline_kernelINS0_14default_configENS1_20scan_config_selectorIsEEZZNS1_9scan_implILNS1_25lookback_scan_determinismE0ELb0ELb0ES3_N6thrust23THRUST_200600_302600_NS6detail15normal_iteratorINS9_10device_ptrIsEEEESE_sNS9_4plusIvEEsEEDaPvRmT3_T4_T5_mT6_P12ihipStream_tbENKUlT_T0_E_clISt17integral_constantIbLb1EESU_EEDaSP_SQ_EUlSP_E_NS1_11comp_targetILNS1_3genE3ELNS1_11target_archE908ELNS1_3gpuE7ELNS1_3repE0EEENS1_30default_config_static_selectorELNS0_4arch9wavefront6targetE1EEEvT1_
; %bb.0:
	.section	.rodata,"a",@progbits
	.p2align	6, 0x0
	.amdhsa_kernel _ZN7rocprim17ROCPRIM_400000_NS6detail17trampoline_kernelINS0_14default_configENS1_20scan_config_selectorIsEEZZNS1_9scan_implILNS1_25lookback_scan_determinismE0ELb0ELb0ES3_N6thrust23THRUST_200600_302600_NS6detail15normal_iteratorINS9_10device_ptrIsEEEESE_sNS9_4plusIvEEsEEDaPvRmT3_T4_T5_mT6_P12ihipStream_tbENKUlT_T0_E_clISt17integral_constantIbLb1EESU_EEDaSP_SQ_EUlSP_E_NS1_11comp_targetILNS1_3genE3ELNS1_11target_archE908ELNS1_3gpuE7ELNS1_3repE0EEENS1_30default_config_static_selectorELNS0_4arch9wavefront6targetE1EEEvT1_
		.amdhsa_group_segment_fixed_size 0
		.amdhsa_private_segment_fixed_size 0
		.amdhsa_kernarg_size 96
		.amdhsa_user_sgpr_count 6
		.amdhsa_user_sgpr_private_segment_buffer 1
		.amdhsa_user_sgpr_dispatch_ptr 0
		.amdhsa_user_sgpr_queue_ptr 0
		.amdhsa_user_sgpr_kernarg_segment_ptr 1
		.amdhsa_user_sgpr_dispatch_id 0
		.amdhsa_user_sgpr_flat_scratch_init 0
		.amdhsa_user_sgpr_kernarg_preload_length 0
		.amdhsa_user_sgpr_kernarg_preload_offset 0
		.amdhsa_user_sgpr_private_segment_size 0
		.amdhsa_uses_dynamic_stack 0
		.amdhsa_system_sgpr_private_segment_wavefront_offset 0
		.amdhsa_system_sgpr_workgroup_id_x 1
		.amdhsa_system_sgpr_workgroup_id_y 0
		.amdhsa_system_sgpr_workgroup_id_z 0
		.amdhsa_system_sgpr_workgroup_info 0
		.amdhsa_system_vgpr_workitem_id 0
		.amdhsa_next_free_vgpr 1
		.amdhsa_next_free_sgpr 0
		.amdhsa_accum_offset 4
		.amdhsa_reserve_vcc 0
		.amdhsa_reserve_flat_scratch 0
		.amdhsa_float_round_mode_32 0
		.amdhsa_float_round_mode_16_64 0
		.amdhsa_float_denorm_mode_32 3
		.amdhsa_float_denorm_mode_16_64 3
		.amdhsa_dx10_clamp 1
		.amdhsa_ieee_mode 1
		.amdhsa_fp16_overflow 0
		.amdhsa_tg_split 0
		.amdhsa_exception_fp_ieee_invalid_op 0
		.amdhsa_exception_fp_denorm_src 0
		.amdhsa_exception_fp_ieee_div_zero 0
		.amdhsa_exception_fp_ieee_overflow 0
		.amdhsa_exception_fp_ieee_underflow 0
		.amdhsa_exception_fp_ieee_inexact 0
		.amdhsa_exception_int_div_zero 0
	.end_amdhsa_kernel
	.section	.text._ZN7rocprim17ROCPRIM_400000_NS6detail17trampoline_kernelINS0_14default_configENS1_20scan_config_selectorIsEEZZNS1_9scan_implILNS1_25lookback_scan_determinismE0ELb0ELb0ES3_N6thrust23THRUST_200600_302600_NS6detail15normal_iteratorINS9_10device_ptrIsEEEESE_sNS9_4plusIvEEsEEDaPvRmT3_T4_T5_mT6_P12ihipStream_tbENKUlT_T0_E_clISt17integral_constantIbLb1EESU_EEDaSP_SQ_EUlSP_E_NS1_11comp_targetILNS1_3genE3ELNS1_11target_archE908ELNS1_3gpuE7ELNS1_3repE0EEENS1_30default_config_static_selectorELNS0_4arch9wavefront6targetE1EEEvT1_,"axG",@progbits,_ZN7rocprim17ROCPRIM_400000_NS6detail17trampoline_kernelINS0_14default_configENS1_20scan_config_selectorIsEEZZNS1_9scan_implILNS1_25lookback_scan_determinismE0ELb0ELb0ES3_N6thrust23THRUST_200600_302600_NS6detail15normal_iteratorINS9_10device_ptrIsEEEESE_sNS9_4plusIvEEsEEDaPvRmT3_T4_T5_mT6_P12ihipStream_tbENKUlT_T0_E_clISt17integral_constantIbLb1EESU_EEDaSP_SQ_EUlSP_E_NS1_11comp_targetILNS1_3genE3ELNS1_11target_archE908ELNS1_3gpuE7ELNS1_3repE0EEENS1_30default_config_static_selectorELNS0_4arch9wavefront6targetE1EEEvT1_,comdat
.Lfunc_end908:
	.size	_ZN7rocprim17ROCPRIM_400000_NS6detail17trampoline_kernelINS0_14default_configENS1_20scan_config_selectorIsEEZZNS1_9scan_implILNS1_25lookback_scan_determinismE0ELb0ELb0ES3_N6thrust23THRUST_200600_302600_NS6detail15normal_iteratorINS9_10device_ptrIsEEEESE_sNS9_4plusIvEEsEEDaPvRmT3_T4_T5_mT6_P12ihipStream_tbENKUlT_T0_E_clISt17integral_constantIbLb1EESU_EEDaSP_SQ_EUlSP_E_NS1_11comp_targetILNS1_3genE3ELNS1_11target_archE908ELNS1_3gpuE7ELNS1_3repE0EEENS1_30default_config_static_selectorELNS0_4arch9wavefront6targetE1EEEvT1_, .Lfunc_end908-_ZN7rocprim17ROCPRIM_400000_NS6detail17trampoline_kernelINS0_14default_configENS1_20scan_config_selectorIsEEZZNS1_9scan_implILNS1_25lookback_scan_determinismE0ELb0ELb0ES3_N6thrust23THRUST_200600_302600_NS6detail15normal_iteratorINS9_10device_ptrIsEEEESE_sNS9_4plusIvEEsEEDaPvRmT3_T4_T5_mT6_P12ihipStream_tbENKUlT_T0_E_clISt17integral_constantIbLb1EESU_EEDaSP_SQ_EUlSP_E_NS1_11comp_targetILNS1_3genE3ELNS1_11target_archE908ELNS1_3gpuE7ELNS1_3repE0EEENS1_30default_config_static_selectorELNS0_4arch9wavefront6targetE1EEEvT1_
                                        ; -- End function
	.section	.AMDGPU.csdata,"",@progbits
; Kernel info:
; codeLenInByte = 0
; NumSgprs: 4
; NumVgprs: 0
; NumAgprs: 0
; TotalNumVgprs: 0
; ScratchSize: 0
; MemoryBound: 0
; FloatMode: 240
; IeeeMode: 1
; LDSByteSize: 0 bytes/workgroup (compile time only)
; SGPRBlocks: 0
; VGPRBlocks: 0
; NumSGPRsForWavesPerEU: 4
; NumVGPRsForWavesPerEU: 1
; AccumOffset: 4
; Occupancy: 8
; WaveLimiterHint : 0
; COMPUTE_PGM_RSRC2:SCRATCH_EN: 0
; COMPUTE_PGM_RSRC2:USER_SGPR: 6
; COMPUTE_PGM_RSRC2:TRAP_HANDLER: 0
; COMPUTE_PGM_RSRC2:TGID_X_EN: 1
; COMPUTE_PGM_RSRC2:TGID_Y_EN: 0
; COMPUTE_PGM_RSRC2:TGID_Z_EN: 0
; COMPUTE_PGM_RSRC2:TIDIG_COMP_CNT: 0
; COMPUTE_PGM_RSRC3_GFX90A:ACCUM_OFFSET: 0
; COMPUTE_PGM_RSRC3_GFX90A:TG_SPLIT: 0
	.section	.text._ZN7rocprim17ROCPRIM_400000_NS6detail17trampoline_kernelINS0_14default_configENS1_20scan_config_selectorIsEEZZNS1_9scan_implILNS1_25lookback_scan_determinismE0ELb0ELb0ES3_N6thrust23THRUST_200600_302600_NS6detail15normal_iteratorINS9_10device_ptrIsEEEESE_sNS9_4plusIvEEsEEDaPvRmT3_T4_T5_mT6_P12ihipStream_tbENKUlT_T0_E_clISt17integral_constantIbLb1EESU_EEDaSP_SQ_EUlSP_E_NS1_11comp_targetILNS1_3genE2ELNS1_11target_archE906ELNS1_3gpuE6ELNS1_3repE0EEENS1_30default_config_static_selectorELNS0_4arch9wavefront6targetE1EEEvT1_,"axG",@progbits,_ZN7rocprim17ROCPRIM_400000_NS6detail17trampoline_kernelINS0_14default_configENS1_20scan_config_selectorIsEEZZNS1_9scan_implILNS1_25lookback_scan_determinismE0ELb0ELb0ES3_N6thrust23THRUST_200600_302600_NS6detail15normal_iteratorINS9_10device_ptrIsEEEESE_sNS9_4plusIvEEsEEDaPvRmT3_T4_T5_mT6_P12ihipStream_tbENKUlT_T0_E_clISt17integral_constantIbLb1EESU_EEDaSP_SQ_EUlSP_E_NS1_11comp_targetILNS1_3genE2ELNS1_11target_archE906ELNS1_3gpuE6ELNS1_3repE0EEENS1_30default_config_static_selectorELNS0_4arch9wavefront6targetE1EEEvT1_,comdat
	.protected	_ZN7rocprim17ROCPRIM_400000_NS6detail17trampoline_kernelINS0_14default_configENS1_20scan_config_selectorIsEEZZNS1_9scan_implILNS1_25lookback_scan_determinismE0ELb0ELb0ES3_N6thrust23THRUST_200600_302600_NS6detail15normal_iteratorINS9_10device_ptrIsEEEESE_sNS9_4plusIvEEsEEDaPvRmT3_T4_T5_mT6_P12ihipStream_tbENKUlT_T0_E_clISt17integral_constantIbLb1EESU_EEDaSP_SQ_EUlSP_E_NS1_11comp_targetILNS1_3genE2ELNS1_11target_archE906ELNS1_3gpuE6ELNS1_3repE0EEENS1_30default_config_static_selectorELNS0_4arch9wavefront6targetE1EEEvT1_ ; -- Begin function _ZN7rocprim17ROCPRIM_400000_NS6detail17trampoline_kernelINS0_14default_configENS1_20scan_config_selectorIsEEZZNS1_9scan_implILNS1_25lookback_scan_determinismE0ELb0ELb0ES3_N6thrust23THRUST_200600_302600_NS6detail15normal_iteratorINS9_10device_ptrIsEEEESE_sNS9_4plusIvEEsEEDaPvRmT3_T4_T5_mT6_P12ihipStream_tbENKUlT_T0_E_clISt17integral_constantIbLb1EESU_EEDaSP_SQ_EUlSP_E_NS1_11comp_targetILNS1_3genE2ELNS1_11target_archE906ELNS1_3gpuE6ELNS1_3repE0EEENS1_30default_config_static_selectorELNS0_4arch9wavefront6targetE1EEEvT1_
	.globl	_ZN7rocprim17ROCPRIM_400000_NS6detail17trampoline_kernelINS0_14default_configENS1_20scan_config_selectorIsEEZZNS1_9scan_implILNS1_25lookback_scan_determinismE0ELb0ELb0ES3_N6thrust23THRUST_200600_302600_NS6detail15normal_iteratorINS9_10device_ptrIsEEEESE_sNS9_4plusIvEEsEEDaPvRmT3_T4_T5_mT6_P12ihipStream_tbENKUlT_T0_E_clISt17integral_constantIbLb1EESU_EEDaSP_SQ_EUlSP_E_NS1_11comp_targetILNS1_3genE2ELNS1_11target_archE906ELNS1_3gpuE6ELNS1_3repE0EEENS1_30default_config_static_selectorELNS0_4arch9wavefront6targetE1EEEvT1_
	.p2align	8
	.type	_ZN7rocprim17ROCPRIM_400000_NS6detail17trampoline_kernelINS0_14default_configENS1_20scan_config_selectorIsEEZZNS1_9scan_implILNS1_25lookback_scan_determinismE0ELb0ELb0ES3_N6thrust23THRUST_200600_302600_NS6detail15normal_iteratorINS9_10device_ptrIsEEEESE_sNS9_4plusIvEEsEEDaPvRmT3_T4_T5_mT6_P12ihipStream_tbENKUlT_T0_E_clISt17integral_constantIbLb1EESU_EEDaSP_SQ_EUlSP_E_NS1_11comp_targetILNS1_3genE2ELNS1_11target_archE906ELNS1_3gpuE6ELNS1_3repE0EEENS1_30default_config_static_selectorELNS0_4arch9wavefront6targetE1EEEvT1_,@function
_ZN7rocprim17ROCPRIM_400000_NS6detail17trampoline_kernelINS0_14default_configENS1_20scan_config_selectorIsEEZZNS1_9scan_implILNS1_25lookback_scan_determinismE0ELb0ELb0ES3_N6thrust23THRUST_200600_302600_NS6detail15normal_iteratorINS9_10device_ptrIsEEEESE_sNS9_4plusIvEEsEEDaPvRmT3_T4_T5_mT6_P12ihipStream_tbENKUlT_T0_E_clISt17integral_constantIbLb1EESU_EEDaSP_SQ_EUlSP_E_NS1_11comp_targetILNS1_3genE2ELNS1_11target_archE906ELNS1_3gpuE6ELNS1_3repE0EEENS1_30default_config_static_selectorELNS0_4arch9wavefront6targetE1EEEvT1_: ; @_ZN7rocprim17ROCPRIM_400000_NS6detail17trampoline_kernelINS0_14default_configENS1_20scan_config_selectorIsEEZZNS1_9scan_implILNS1_25lookback_scan_determinismE0ELb0ELb0ES3_N6thrust23THRUST_200600_302600_NS6detail15normal_iteratorINS9_10device_ptrIsEEEESE_sNS9_4plusIvEEsEEDaPvRmT3_T4_T5_mT6_P12ihipStream_tbENKUlT_T0_E_clISt17integral_constantIbLb1EESU_EEDaSP_SQ_EUlSP_E_NS1_11comp_targetILNS1_3genE2ELNS1_11target_archE906ELNS1_3gpuE6ELNS1_3repE0EEENS1_30default_config_static_selectorELNS0_4arch9wavefront6targetE1EEEvT1_
; %bb.0:
	.section	.rodata,"a",@progbits
	.p2align	6, 0x0
	.amdhsa_kernel _ZN7rocprim17ROCPRIM_400000_NS6detail17trampoline_kernelINS0_14default_configENS1_20scan_config_selectorIsEEZZNS1_9scan_implILNS1_25lookback_scan_determinismE0ELb0ELb0ES3_N6thrust23THRUST_200600_302600_NS6detail15normal_iteratorINS9_10device_ptrIsEEEESE_sNS9_4plusIvEEsEEDaPvRmT3_T4_T5_mT6_P12ihipStream_tbENKUlT_T0_E_clISt17integral_constantIbLb1EESU_EEDaSP_SQ_EUlSP_E_NS1_11comp_targetILNS1_3genE2ELNS1_11target_archE906ELNS1_3gpuE6ELNS1_3repE0EEENS1_30default_config_static_selectorELNS0_4arch9wavefront6targetE1EEEvT1_
		.amdhsa_group_segment_fixed_size 0
		.amdhsa_private_segment_fixed_size 0
		.amdhsa_kernarg_size 96
		.amdhsa_user_sgpr_count 6
		.amdhsa_user_sgpr_private_segment_buffer 1
		.amdhsa_user_sgpr_dispatch_ptr 0
		.amdhsa_user_sgpr_queue_ptr 0
		.amdhsa_user_sgpr_kernarg_segment_ptr 1
		.amdhsa_user_sgpr_dispatch_id 0
		.amdhsa_user_sgpr_flat_scratch_init 0
		.amdhsa_user_sgpr_kernarg_preload_length 0
		.amdhsa_user_sgpr_kernarg_preload_offset 0
		.amdhsa_user_sgpr_private_segment_size 0
		.amdhsa_uses_dynamic_stack 0
		.amdhsa_system_sgpr_private_segment_wavefront_offset 0
		.amdhsa_system_sgpr_workgroup_id_x 1
		.amdhsa_system_sgpr_workgroup_id_y 0
		.amdhsa_system_sgpr_workgroup_id_z 0
		.amdhsa_system_sgpr_workgroup_info 0
		.amdhsa_system_vgpr_workitem_id 0
		.amdhsa_next_free_vgpr 1
		.amdhsa_next_free_sgpr 0
		.amdhsa_accum_offset 4
		.amdhsa_reserve_vcc 0
		.amdhsa_reserve_flat_scratch 0
		.amdhsa_float_round_mode_32 0
		.amdhsa_float_round_mode_16_64 0
		.amdhsa_float_denorm_mode_32 3
		.amdhsa_float_denorm_mode_16_64 3
		.amdhsa_dx10_clamp 1
		.amdhsa_ieee_mode 1
		.amdhsa_fp16_overflow 0
		.amdhsa_tg_split 0
		.amdhsa_exception_fp_ieee_invalid_op 0
		.amdhsa_exception_fp_denorm_src 0
		.amdhsa_exception_fp_ieee_div_zero 0
		.amdhsa_exception_fp_ieee_overflow 0
		.amdhsa_exception_fp_ieee_underflow 0
		.amdhsa_exception_fp_ieee_inexact 0
		.amdhsa_exception_int_div_zero 0
	.end_amdhsa_kernel
	.section	.text._ZN7rocprim17ROCPRIM_400000_NS6detail17trampoline_kernelINS0_14default_configENS1_20scan_config_selectorIsEEZZNS1_9scan_implILNS1_25lookback_scan_determinismE0ELb0ELb0ES3_N6thrust23THRUST_200600_302600_NS6detail15normal_iteratorINS9_10device_ptrIsEEEESE_sNS9_4plusIvEEsEEDaPvRmT3_T4_T5_mT6_P12ihipStream_tbENKUlT_T0_E_clISt17integral_constantIbLb1EESU_EEDaSP_SQ_EUlSP_E_NS1_11comp_targetILNS1_3genE2ELNS1_11target_archE906ELNS1_3gpuE6ELNS1_3repE0EEENS1_30default_config_static_selectorELNS0_4arch9wavefront6targetE1EEEvT1_,"axG",@progbits,_ZN7rocprim17ROCPRIM_400000_NS6detail17trampoline_kernelINS0_14default_configENS1_20scan_config_selectorIsEEZZNS1_9scan_implILNS1_25lookback_scan_determinismE0ELb0ELb0ES3_N6thrust23THRUST_200600_302600_NS6detail15normal_iteratorINS9_10device_ptrIsEEEESE_sNS9_4plusIvEEsEEDaPvRmT3_T4_T5_mT6_P12ihipStream_tbENKUlT_T0_E_clISt17integral_constantIbLb1EESU_EEDaSP_SQ_EUlSP_E_NS1_11comp_targetILNS1_3genE2ELNS1_11target_archE906ELNS1_3gpuE6ELNS1_3repE0EEENS1_30default_config_static_selectorELNS0_4arch9wavefront6targetE1EEEvT1_,comdat
.Lfunc_end909:
	.size	_ZN7rocprim17ROCPRIM_400000_NS6detail17trampoline_kernelINS0_14default_configENS1_20scan_config_selectorIsEEZZNS1_9scan_implILNS1_25lookback_scan_determinismE0ELb0ELb0ES3_N6thrust23THRUST_200600_302600_NS6detail15normal_iteratorINS9_10device_ptrIsEEEESE_sNS9_4plusIvEEsEEDaPvRmT3_T4_T5_mT6_P12ihipStream_tbENKUlT_T0_E_clISt17integral_constantIbLb1EESU_EEDaSP_SQ_EUlSP_E_NS1_11comp_targetILNS1_3genE2ELNS1_11target_archE906ELNS1_3gpuE6ELNS1_3repE0EEENS1_30default_config_static_selectorELNS0_4arch9wavefront6targetE1EEEvT1_, .Lfunc_end909-_ZN7rocprim17ROCPRIM_400000_NS6detail17trampoline_kernelINS0_14default_configENS1_20scan_config_selectorIsEEZZNS1_9scan_implILNS1_25lookback_scan_determinismE0ELb0ELb0ES3_N6thrust23THRUST_200600_302600_NS6detail15normal_iteratorINS9_10device_ptrIsEEEESE_sNS9_4plusIvEEsEEDaPvRmT3_T4_T5_mT6_P12ihipStream_tbENKUlT_T0_E_clISt17integral_constantIbLb1EESU_EEDaSP_SQ_EUlSP_E_NS1_11comp_targetILNS1_3genE2ELNS1_11target_archE906ELNS1_3gpuE6ELNS1_3repE0EEENS1_30default_config_static_selectorELNS0_4arch9wavefront6targetE1EEEvT1_
                                        ; -- End function
	.section	.AMDGPU.csdata,"",@progbits
; Kernel info:
; codeLenInByte = 0
; NumSgprs: 4
; NumVgprs: 0
; NumAgprs: 0
; TotalNumVgprs: 0
; ScratchSize: 0
; MemoryBound: 0
; FloatMode: 240
; IeeeMode: 1
; LDSByteSize: 0 bytes/workgroup (compile time only)
; SGPRBlocks: 0
; VGPRBlocks: 0
; NumSGPRsForWavesPerEU: 4
; NumVGPRsForWavesPerEU: 1
; AccumOffset: 4
; Occupancy: 8
; WaveLimiterHint : 0
; COMPUTE_PGM_RSRC2:SCRATCH_EN: 0
; COMPUTE_PGM_RSRC2:USER_SGPR: 6
; COMPUTE_PGM_RSRC2:TRAP_HANDLER: 0
; COMPUTE_PGM_RSRC2:TGID_X_EN: 1
; COMPUTE_PGM_RSRC2:TGID_Y_EN: 0
; COMPUTE_PGM_RSRC2:TGID_Z_EN: 0
; COMPUTE_PGM_RSRC2:TIDIG_COMP_CNT: 0
; COMPUTE_PGM_RSRC3_GFX90A:ACCUM_OFFSET: 0
; COMPUTE_PGM_RSRC3_GFX90A:TG_SPLIT: 0
	.section	.text._ZN7rocprim17ROCPRIM_400000_NS6detail17trampoline_kernelINS0_14default_configENS1_20scan_config_selectorIsEEZZNS1_9scan_implILNS1_25lookback_scan_determinismE0ELb0ELb0ES3_N6thrust23THRUST_200600_302600_NS6detail15normal_iteratorINS9_10device_ptrIsEEEESE_sNS9_4plusIvEEsEEDaPvRmT3_T4_T5_mT6_P12ihipStream_tbENKUlT_T0_E_clISt17integral_constantIbLb1EESU_EEDaSP_SQ_EUlSP_E_NS1_11comp_targetILNS1_3genE10ELNS1_11target_archE1201ELNS1_3gpuE5ELNS1_3repE0EEENS1_30default_config_static_selectorELNS0_4arch9wavefront6targetE1EEEvT1_,"axG",@progbits,_ZN7rocprim17ROCPRIM_400000_NS6detail17trampoline_kernelINS0_14default_configENS1_20scan_config_selectorIsEEZZNS1_9scan_implILNS1_25lookback_scan_determinismE0ELb0ELb0ES3_N6thrust23THRUST_200600_302600_NS6detail15normal_iteratorINS9_10device_ptrIsEEEESE_sNS9_4plusIvEEsEEDaPvRmT3_T4_T5_mT6_P12ihipStream_tbENKUlT_T0_E_clISt17integral_constantIbLb1EESU_EEDaSP_SQ_EUlSP_E_NS1_11comp_targetILNS1_3genE10ELNS1_11target_archE1201ELNS1_3gpuE5ELNS1_3repE0EEENS1_30default_config_static_selectorELNS0_4arch9wavefront6targetE1EEEvT1_,comdat
	.protected	_ZN7rocprim17ROCPRIM_400000_NS6detail17trampoline_kernelINS0_14default_configENS1_20scan_config_selectorIsEEZZNS1_9scan_implILNS1_25lookback_scan_determinismE0ELb0ELb0ES3_N6thrust23THRUST_200600_302600_NS6detail15normal_iteratorINS9_10device_ptrIsEEEESE_sNS9_4plusIvEEsEEDaPvRmT3_T4_T5_mT6_P12ihipStream_tbENKUlT_T0_E_clISt17integral_constantIbLb1EESU_EEDaSP_SQ_EUlSP_E_NS1_11comp_targetILNS1_3genE10ELNS1_11target_archE1201ELNS1_3gpuE5ELNS1_3repE0EEENS1_30default_config_static_selectorELNS0_4arch9wavefront6targetE1EEEvT1_ ; -- Begin function _ZN7rocprim17ROCPRIM_400000_NS6detail17trampoline_kernelINS0_14default_configENS1_20scan_config_selectorIsEEZZNS1_9scan_implILNS1_25lookback_scan_determinismE0ELb0ELb0ES3_N6thrust23THRUST_200600_302600_NS6detail15normal_iteratorINS9_10device_ptrIsEEEESE_sNS9_4plusIvEEsEEDaPvRmT3_T4_T5_mT6_P12ihipStream_tbENKUlT_T0_E_clISt17integral_constantIbLb1EESU_EEDaSP_SQ_EUlSP_E_NS1_11comp_targetILNS1_3genE10ELNS1_11target_archE1201ELNS1_3gpuE5ELNS1_3repE0EEENS1_30default_config_static_selectorELNS0_4arch9wavefront6targetE1EEEvT1_
	.globl	_ZN7rocprim17ROCPRIM_400000_NS6detail17trampoline_kernelINS0_14default_configENS1_20scan_config_selectorIsEEZZNS1_9scan_implILNS1_25lookback_scan_determinismE0ELb0ELb0ES3_N6thrust23THRUST_200600_302600_NS6detail15normal_iteratorINS9_10device_ptrIsEEEESE_sNS9_4plusIvEEsEEDaPvRmT3_T4_T5_mT6_P12ihipStream_tbENKUlT_T0_E_clISt17integral_constantIbLb1EESU_EEDaSP_SQ_EUlSP_E_NS1_11comp_targetILNS1_3genE10ELNS1_11target_archE1201ELNS1_3gpuE5ELNS1_3repE0EEENS1_30default_config_static_selectorELNS0_4arch9wavefront6targetE1EEEvT1_
	.p2align	8
	.type	_ZN7rocprim17ROCPRIM_400000_NS6detail17trampoline_kernelINS0_14default_configENS1_20scan_config_selectorIsEEZZNS1_9scan_implILNS1_25lookback_scan_determinismE0ELb0ELb0ES3_N6thrust23THRUST_200600_302600_NS6detail15normal_iteratorINS9_10device_ptrIsEEEESE_sNS9_4plusIvEEsEEDaPvRmT3_T4_T5_mT6_P12ihipStream_tbENKUlT_T0_E_clISt17integral_constantIbLb1EESU_EEDaSP_SQ_EUlSP_E_NS1_11comp_targetILNS1_3genE10ELNS1_11target_archE1201ELNS1_3gpuE5ELNS1_3repE0EEENS1_30default_config_static_selectorELNS0_4arch9wavefront6targetE1EEEvT1_,@function
_ZN7rocprim17ROCPRIM_400000_NS6detail17trampoline_kernelINS0_14default_configENS1_20scan_config_selectorIsEEZZNS1_9scan_implILNS1_25lookback_scan_determinismE0ELb0ELb0ES3_N6thrust23THRUST_200600_302600_NS6detail15normal_iteratorINS9_10device_ptrIsEEEESE_sNS9_4plusIvEEsEEDaPvRmT3_T4_T5_mT6_P12ihipStream_tbENKUlT_T0_E_clISt17integral_constantIbLb1EESU_EEDaSP_SQ_EUlSP_E_NS1_11comp_targetILNS1_3genE10ELNS1_11target_archE1201ELNS1_3gpuE5ELNS1_3repE0EEENS1_30default_config_static_selectorELNS0_4arch9wavefront6targetE1EEEvT1_: ; @_ZN7rocprim17ROCPRIM_400000_NS6detail17trampoline_kernelINS0_14default_configENS1_20scan_config_selectorIsEEZZNS1_9scan_implILNS1_25lookback_scan_determinismE0ELb0ELb0ES3_N6thrust23THRUST_200600_302600_NS6detail15normal_iteratorINS9_10device_ptrIsEEEESE_sNS9_4plusIvEEsEEDaPvRmT3_T4_T5_mT6_P12ihipStream_tbENKUlT_T0_E_clISt17integral_constantIbLb1EESU_EEDaSP_SQ_EUlSP_E_NS1_11comp_targetILNS1_3genE10ELNS1_11target_archE1201ELNS1_3gpuE5ELNS1_3repE0EEENS1_30default_config_static_selectorELNS0_4arch9wavefront6targetE1EEEvT1_
; %bb.0:
	.section	.rodata,"a",@progbits
	.p2align	6, 0x0
	.amdhsa_kernel _ZN7rocprim17ROCPRIM_400000_NS6detail17trampoline_kernelINS0_14default_configENS1_20scan_config_selectorIsEEZZNS1_9scan_implILNS1_25lookback_scan_determinismE0ELb0ELb0ES3_N6thrust23THRUST_200600_302600_NS6detail15normal_iteratorINS9_10device_ptrIsEEEESE_sNS9_4plusIvEEsEEDaPvRmT3_T4_T5_mT6_P12ihipStream_tbENKUlT_T0_E_clISt17integral_constantIbLb1EESU_EEDaSP_SQ_EUlSP_E_NS1_11comp_targetILNS1_3genE10ELNS1_11target_archE1201ELNS1_3gpuE5ELNS1_3repE0EEENS1_30default_config_static_selectorELNS0_4arch9wavefront6targetE1EEEvT1_
		.amdhsa_group_segment_fixed_size 0
		.amdhsa_private_segment_fixed_size 0
		.amdhsa_kernarg_size 96
		.amdhsa_user_sgpr_count 6
		.amdhsa_user_sgpr_private_segment_buffer 1
		.amdhsa_user_sgpr_dispatch_ptr 0
		.amdhsa_user_sgpr_queue_ptr 0
		.amdhsa_user_sgpr_kernarg_segment_ptr 1
		.amdhsa_user_sgpr_dispatch_id 0
		.amdhsa_user_sgpr_flat_scratch_init 0
		.amdhsa_user_sgpr_kernarg_preload_length 0
		.amdhsa_user_sgpr_kernarg_preload_offset 0
		.amdhsa_user_sgpr_private_segment_size 0
		.amdhsa_uses_dynamic_stack 0
		.amdhsa_system_sgpr_private_segment_wavefront_offset 0
		.amdhsa_system_sgpr_workgroup_id_x 1
		.amdhsa_system_sgpr_workgroup_id_y 0
		.amdhsa_system_sgpr_workgroup_id_z 0
		.amdhsa_system_sgpr_workgroup_info 0
		.amdhsa_system_vgpr_workitem_id 0
		.amdhsa_next_free_vgpr 1
		.amdhsa_next_free_sgpr 0
		.amdhsa_accum_offset 4
		.amdhsa_reserve_vcc 0
		.amdhsa_reserve_flat_scratch 0
		.amdhsa_float_round_mode_32 0
		.amdhsa_float_round_mode_16_64 0
		.amdhsa_float_denorm_mode_32 3
		.amdhsa_float_denorm_mode_16_64 3
		.amdhsa_dx10_clamp 1
		.amdhsa_ieee_mode 1
		.amdhsa_fp16_overflow 0
		.amdhsa_tg_split 0
		.amdhsa_exception_fp_ieee_invalid_op 0
		.amdhsa_exception_fp_denorm_src 0
		.amdhsa_exception_fp_ieee_div_zero 0
		.amdhsa_exception_fp_ieee_overflow 0
		.amdhsa_exception_fp_ieee_underflow 0
		.amdhsa_exception_fp_ieee_inexact 0
		.amdhsa_exception_int_div_zero 0
	.end_amdhsa_kernel
	.section	.text._ZN7rocprim17ROCPRIM_400000_NS6detail17trampoline_kernelINS0_14default_configENS1_20scan_config_selectorIsEEZZNS1_9scan_implILNS1_25lookback_scan_determinismE0ELb0ELb0ES3_N6thrust23THRUST_200600_302600_NS6detail15normal_iteratorINS9_10device_ptrIsEEEESE_sNS9_4plusIvEEsEEDaPvRmT3_T4_T5_mT6_P12ihipStream_tbENKUlT_T0_E_clISt17integral_constantIbLb1EESU_EEDaSP_SQ_EUlSP_E_NS1_11comp_targetILNS1_3genE10ELNS1_11target_archE1201ELNS1_3gpuE5ELNS1_3repE0EEENS1_30default_config_static_selectorELNS0_4arch9wavefront6targetE1EEEvT1_,"axG",@progbits,_ZN7rocprim17ROCPRIM_400000_NS6detail17trampoline_kernelINS0_14default_configENS1_20scan_config_selectorIsEEZZNS1_9scan_implILNS1_25lookback_scan_determinismE0ELb0ELb0ES3_N6thrust23THRUST_200600_302600_NS6detail15normal_iteratorINS9_10device_ptrIsEEEESE_sNS9_4plusIvEEsEEDaPvRmT3_T4_T5_mT6_P12ihipStream_tbENKUlT_T0_E_clISt17integral_constantIbLb1EESU_EEDaSP_SQ_EUlSP_E_NS1_11comp_targetILNS1_3genE10ELNS1_11target_archE1201ELNS1_3gpuE5ELNS1_3repE0EEENS1_30default_config_static_selectorELNS0_4arch9wavefront6targetE1EEEvT1_,comdat
.Lfunc_end910:
	.size	_ZN7rocprim17ROCPRIM_400000_NS6detail17trampoline_kernelINS0_14default_configENS1_20scan_config_selectorIsEEZZNS1_9scan_implILNS1_25lookback_scan_determinismE0ELb0ELb0ES3_N6thrust23THRUST_200600_302600_NS6detail15normal_iteratorINS9_10device_ptrIsEEEESE_sNS9_4plusIvEEsEEDaPvRmT3_T4_T5_mT6_P12ihipStream_tbENKUlT_T0_E_clISt17integral_constantIbLb1EESU_EEDaSP_SQ_EUlSP_E_NS1_11comp_targetILNS1_3genE10ELNS1_11target_archE1201ELNS1_3gpuE5ELNS1_3repE0EEENS1_30default_config_static_selectorELNS0_4arch9wavefront6targetE1EEEvT1_, .Lfunc_end910-_ZN7rocprim17ROCPRIM_400000_NS6detail17trampoline_kernelINS0_14default_configENS1_20scan_config_selectorIsEEZZNS1_9scan_implILNS1_25lookback_scan_determinismE0ELb0ELb0ES3_N6thrust23THRUST_200600_302600_NS6detail15normal_iteratorINS9_10device_ptrIsEEEESE_sNS9_4plusIvEEsEEDaPvRmT3_T4_T5_mT6_P12ihipStream_tbENKUlT_T0_E_clISt17integral_constantIbLb1EESU_EEDaSP_SQ_EUlSP_E_NS1_11comp_targetILNS1_3genE10ELNS1_11target_archE1201ELNS1_3gpuE5ELNS1_3repE0EEENS1_30default_config_static_selectorELNS0_4arch9wavefront6targetE1EEEvT1_
                                        ; -- End function
	.section	.AMDGPU.csdata,"",@progbits
; Kernel info:
; codeLenInByte = 0
; NumSgprs: 4
; NumVgprs: 0
; NumAgprs: 0
; TotalNumVgprs: 0
; ScratchSize: 0
; MemoryBound: 0
; FloatMode: 240
; IeeeMode: 1
; LDSByteSize: 0 bytes/workgroup (compile time only)
; SGPRBlocks: 0
; VGPRBlocks: 0
; NumSGPRsForWavesPerEU: 4
; NumVGPRsForWavesPerEU: 1
; AccumOffset: 4
; Occupancy: 8
; WaveLimiterHint : 0
; COMPUTE_PGM_RSRC2:SCRATCH_EN: 0
; COMPUTE_PGM_RSRC2:USER_SGPR: 6
; COMPUTE_PGM_RSRC2:TRAP_HANDLER: 0
; COMPUTE_PGM_RSRC2:TGID_X_EN: 1
; COMPUTE_PGM_RSRC2:TGID_Y_EN: 0
; COMPUTE_PGM_RSRC2:TGID_Z_EN: 0
; COMPUTE_PGM_RSRC2:TIDIG_COMP_CNT: 0
; COMPUTE_PGM_RSRC3_GFX90A:ACCUM_OFFSET: 0
; COMPUTE_PGM_RSRC3_GFX90A:TG_SPLIT: 0
	.section	.text._ZN7rocprim17ROCPRIM_400000_NS6detail17trampoline_kernelINS0_14default_configENS1_20scan_config_selectorIsEEZZNS1_9scan_implILNS1_25lookback_scan_determinismE0ELb0ELb0ES3_N6thrust23THRUST_200600_302600_NS6detail15normal_iteratorINS9_10device_ptrIsEEEESE_sNS9_4plusIvEEsEEDaPvRmT3_T4_T5_mT6_P12ihipStream_tbENKUlT_T0_E_clISt17integral_constantIbLb1EESU_EEDaSP_SQ_EUlSP_E_NS1_11comp_targetILNS1_3genE10ELNS1_11target_archE1200ELNS1_3gpuE4ELNS1_3repE0EEENS1_30default_config_static_selectorELNS0_4arch9wavefront6targetE1EEEvT1_,"axG",@progbits,_ZN7rocprim17ROCPRIM_400000_NS6detail17trampoline_kernelINS0_14default_configENS1_20scan_config_selectorIsEEZZNS1_9scan_implILNS1_25lookback_scan_determinismE0ELb0ELb0ES3_N6thrust23THRUST_200600_302600_NS6detail15normal_iteratorINS9_10device_ptrIsEEEESE_sNS9_4plusIvEEsEEDaPvRmT3_T4_T5_mT6_P12ihipStream_tbENKUlT_T0_E_clISt17integral_constantIbLb1EESU_EEDaSP_SQ_EUlSP_E_NS1_11comp_targetILNS1_3genE10ELNS1_11target_archE1200ELNS1_3gpuE4ELNS1_3repE0EEENS1_30default_config_static_selectorELNS0_4arch9wavefront6targetE1EEEvT1_,comdat
	.protected	_ZN7rocprim17ROCPRIM_400000_NS6detail17trampoline_kernelINS0_14default_configENS1_20scan_config_selectorIsEEZZNS1_9scan_implILNS1_25lookback_scan_determinismE0ELb0ELb0ES3_N6thrust23THRUST_200600_302600_NS6detail15normal_iteratorINS9_10device_ptrIsEEEESE_sNS9_4plusIvEEsEEDaPvRmT3_T4_T5_mT6_P12ihipStream_tbENKUlT_T0_E_clISt17integral_constantIbLb1EESU_EEDaSP_SQ_EUlSP_E_NS1_11comp_targetILNS1_3genE10ELNS1_11target_archE1200ELNS1_3gpuE4ELNS1_3repE0EEENS1_30default_config_static_selectorELNS0_4arch9wavefront6targetE1EEEvT1_ ; -- Begin function _ZN7rocprim17ROCPRIM_400000_NS6detail17trampoline_kernelINS0_14default_configENS1_20scan_config_selectorIsEEZZNS1_9scan_implILNS1_25lookback_scan_determinismE0ELb0ELb0ES3_N6thrust23THRUST_200600_302600_NS6detail15normal_iteratorINS9_10device_ptrIsEEEESE_sNS9_4plusIvEEsEEDaPvRmT3_T4_T5_mT6_P12ihipStream_tbENKUlT_T0_E_clISt17integral_constantIbLb1EESU_EEDaSP_SQ_EUlSP_E_NS1_11comp_targetILNS1_3genE10ELNS1_11target_archE1200ELNS1_3gpuE4ELNS1_3repE0EEENS1_30default_config_static_selectorELNS0_4arch9wavefront6targetE1EEEvT1_
	.globl	_ZN7rocprim17ROCPRIM_400000_NS6detail17trampoline_kernelINS0_14default_configENS1_20scan_config_selectorIsEEZZNS1_9scan_implILNS1_25lookback_scan_determinismE0ELb0ELb0ES3_N6thrust23THRUST_200600_302600_NS6detail15normal_iteratorINS9_10device_ptrIsEEEESE_sNS9_4plusIvEEsEEDaPvRmT3_T4_T5_mT6_P12ihipStream_tbENKUlT_T0_E_clISt17integral_constantIbLb1EESU_EEDaSP_SQ_EUlSP_E_NS1_11comp_targetILNS1_3genE10ELNS1_11target_archE1200ELNS1_3gpuE4ELNS1_3repE0EEENS1_30default_config_static_selectorELNS0_4arch9wavefront6targetE1EEEvT1_
	.p2align	8
	.type	_ZN7rocprim17ROCPRIM_400000_NS6detail17trampoline_kernelINS0_14default_configENS1_20scan_config_selectorIsEEZZNS1_9scan_implILNS1_25lookback_scan_determinismE0ELb0ELb0ES3_N6thrust23THRUST_200600_302600_NS6detail15normal_iteratorINS9_10device_ptrIsEEEESE_sNS9_4plusIvEEsEEDaPvRmT3_T4_T5_mT6_P12ihipStream_tbENKUlT_T0_E_clISt17integral_constantIbLb1EESU_EEDaSP_SQ_EUlSP_E_NS1_11comp_targetILNS1_3genE10ELNS1_11target_archE1200ELNS1_3gpuE4ELNS1_3repE0EEENS1_30default_config_static_selectorELNS0_4arch9wavefront6targetE1EEEvT1_,@function
_ZN7rocprim17ROCPRIM_400000_NS6detail17trampoline_kernelINS0_14default_configENS1_20scan_config_selectorIsEEZZNS1_9scan_implILNS1_25lookback_scan_determinismE0ELb0ELb0ES3_N6thrust23THRUST_200600_302600_NS6detail15normal_iteratorINS9_10device_ptrIsEEEESE_sNS9_4plusIvEEsEEDaPvRmT3_T4_T5_mT6_P12ihipStream_tbENKUlT_T0_E_clISt17integral_constantIbLb1EESU_EEDaSP_SQ_EUlSP_E_NS1_11comp_targetILNS1_3genE10ELNS1_11target_archE1200ELNS1_3gpuE4ELNS1_3repE0EEENS1_30default_config_static_selectorELNS0_4arch9wavefront6targetE1EEEvT1_: ; @_ZN7rocprim17ROCPRIM_400000_NS6detail17trampoline_kernelINS0_14default_configENS1_20scan_config_selectorIsEEZZNS1_9scan_implILNS1_25lookback_scan_determinismE0ELb0ELb0ES3_N6thrust23THRUST_200600_302600_NS6detail15normal_iteratorINS9_10device_ptrIsEEEESE_sNS9_4plusIvEEsEEDaPvRmT3_T4_T5_mT6_P12ihipStream_tbENKUlT_T0_E_clISt17integral_constantIbLb1EESU_EEDaSP_SQ_EUlSP_E_NS1_11comp_targetILNS1_3genE10ELNS1_11target_archE1200ELNS1_3gpuE4ELNS1_3repE0EEENS1_30default_config_static_selectorELNS0_4arch9wavefront6targetE1EEEvT1_
; %bb.0:
	.section	.rodata,"a",@progbits
	.p2align	6, 0x0
	.amdhsa_kernel _ZN7rocprim17ROCPRIM_400000_NS6detail17trampoline_kernelINS0_14default_configENS1_20scan_config_selectorIsEEZZNS1_9scan_implILNS1_25lookback_scan_determinismE0ELb0ELb0ES3_N6thrust23THRUST_200600_302600_NS6detail15normal_iteratorINS9_10device_ptrIsEEEESE_sNS9_4plusIvEEsEEDaPvRmT3_T4_T5_mT6_P12ihipStream_tbENKUlT_T0_E_clISt17integral_constantIbLb1EESU_EEDaSP_SQ_EUlSP_E_NS1_11comp_targetILNS1_3genE10ELNS1_11target_archE1200ELNS1_3gpuE4ELNS1_3repE0EEENS1_30default_config_static_selectorELNS0_4arch9wavefront6targetE1EEEvT1_
		.amdhsa_group_segment_fixed_size 0
		.amdhsa_private_segment_fixed_size 0
		.amdhsa_kernarg_size 96
		.amdhsa_user_sgpr_count 6
		.amdhsa_user_sgpr_private_segment_buffer 1
		.amdhsa_user_sgpr_dispatch_ptr 0
		.amdhsa_user_sgpr_queue_ptr 0
		.amdhsa_user_sgpr_kernarg_segment_ptr 1
		.amdhsa_user_sgpr_dispatch_id 0
		.amdhsa_user_sgpr_flat_scratch_init 0
		.amdhsa_user_sgpr_kernarg_preload_length 0
		.amdhsa_user_sgpr_kernarg_preload_offset 0
		.amdhsa_user_sgpr_private_segment_size 0
		.amdhsa_uses_dynamic_stack 0
		.amdhsa_system_sgpr_private_segment_wavefront_offset 0
		.amdhsa_system_sgpr_workgroup_id_x 1
		.amdhsa_system_sgpr_workgroup_id_y 0
		.amdhsa_system_sgpr_workgroup_id_z 0
		.amdhsa_system_sgpr_workgroup_info 0
		.amdhsa_system_vgpr_workitem_id 0
		.amdhsa_next_free_vgpr 1
		.amdhsa_next_free_sgpr 0
		.amdhsa_accum_offset 4
		.amdhsa_reserve_vcc 0
		.amdhsa_reserve_flat_scratch 0
		.amdhsa_float_round_mode_32 0
		.amdhsa_float_round_mode_16_64 0
		.amdhsa_float_denorm_mode_32 3
		.amdhsa_float_denorm_mode_16_64 3
		.amdhsa_dx10_clamp 1
		.amdhsa_ieee_mode 1
		.amdhsa_fp16_overflow 0
		.amdhsa_tg_split 0
		.amdhsa_exception_fp_ieee_invalid_op 0
		.amdhsa_exception_fp_denorm_src 0
		.amdhsa_exception_fp_ieee_div_zero 0
		.amdhsa_exception_fp_ieee_overflow 0
		.amdhsa_exception_fp_ieee_underflow 0
		.amdhsa_exception_fp_ieee_inexact 0
		.amdhsa_exception_int_div_zero 0
	.end_amdhsa_kernel
	.section	.text._ZN7rocprim17ROCPRIM_400000_NS6detail17trampoline_kernelINS0_14default_configENS1_20scan_config_selectorIsEEZZNS1_9scan_implILNS1_25lookback_scan_determinismE0ELb0ELb0ES3_N6thrust23THRUST_200600_302600_NS6detail15normal_iteratorINS9_10device_ptrIsEEEESE_sNS9_4plusIvEEsEEDaPvRmT3_T4_T5_mT6_P12ihipStream_tbENKUlT_T0_E_clISt17integral_constantIbLb1EESU_EEDaSP_SQ_EUlSP_E_NS1_11comp_targetILNS1_3genE10ELNS1_11target_archE1200ELNS1_3gpuE4ELNS1_3repE0EEENS1_30default_config_static_selectorELNS0_4arch9wavefront6targetE1EEEvT1_,"axG",@progbits,_ZN7rocprim17ROCPRIM_400000_NS6detail17trampoline_kernelINS0_14default_configENS1_20scan_config_selectorIsEEZZNS1_9scan_implILNS1_25lookback_scan_determinismE0ELb0ELb0ES3_N6thrust23THRUST_200600_302600_NS6detail15normal_iteratorINS9_10device_ptrIsEEEESE_sNS9_4plusIvEEsEEDaPvRmT3_T4_T5_mT6_P12ihipStream_tbENKUlT_T0_E_clISt17integral_constantIbLb1EESU_EEDaSP_SQ_EUlSP_E_NS1_11comp_targetILNS1_3genE10ELNS1_11target_archE1200ELNS1_3gpuE4ELNS1_3repE0EEENS1_30default_config_static_selectorELNS0_4arch9wavefront6targetE1EEEvT1_,comdat
.Lfunc_end911:
	.size	_ZN7rocprim17ROCPRIM_400000_NS6detail17trampoline_kernelINS0_14default_configENS1_20scan_config_selectorIsEEZZNS1_9scan_implILNS1_25lookback_scan_determinismE0ELb0ELb0ES3_N6thrust23THRUST_200600_302600_NS6detail15normal_iteratorINS9_10device_ptrIsEEEESE_sNS9_4plusIvEEsEEDaPvRmT3_T4_T5_mT6_P12ihipStream_tbENKUlT_T0_E_clISt17integral_constantIbLb1EESU_EEDaSP_SQ_EUlSP_E_NS1_11comp_targetILNS1_3genE10ELNS1_11target_archE1200ELNS1_3gpuE4ELNS1_3repE0EEENS1_30default_config_static_selectorELNS0_4arch9wavefront6targetE1EEEvT1_, .Lfunc_end911-_ZN7rocprim17ROCPRIM_400000_NS6detail17trampoline_kernelINS0_14default_configENS1_20scan_config_selectorIsEEZZNS1_9scan_implILNS1_25lookback_scan_determinismE0ELb0ELb0ES3_N6thrust23THRUST_200600_302600_NS6detail15normal_iteratorINS9_10device_ptrIsEEEESE_sNS9_4plusIvEEsEEDaPvRmT3_T4_T5_mT6_P12ihipStream_tbENKUlT_T0_E_clISt17integral_constantIbLb1EESU_EEDaSP_SQ_EUlSP_E_NS1_11comp_targetILNS1_3genE10ELNS1_11target_archE1200ELNS1_3gpuE4ELNS1_3repE0EEENS1_30default_config_static_selectorELNS0_4arch9wavefront6targetE1EEEvT1_
                                        ; -- End function
	.section	.AMDGPU.csdata,"",@progbits
; Kernel info:
; codeLenInByte = 0
; NumSgprs: 4
; NumVgprs: 0
; NumAgprs: 0
; TotalNumVgprs: 0
; ScratchSize: 0
; MemoryBound: 0
; FloatMode: 240
; IeeeMode: 1
; LDSByteSize: 0 bytes/workgroup (compile time only)
; SGPRBlocks: 0
; VGPRBlocks: 0
; NumSGPRsForWavesPerEU: 4
; NumVGPRsForWavesPerEU: 1
; AccumOffset: 4
; Occupancy: 8
; WaveLimiterHint : 0
; COMPUTE_PGM_RSRC2:SCRATCH_EN: 0
; COMPUTE_PGM_RSRC2:USER_SGPR: 6
; COMPUTE_PGM_RSRC2:TRAP_HANDLER: 0
; COMPUTE_PGM_RSRC2:TGID_X_EN: 1
; COMPUTE_PGM_RSRC2:TGID_Y_EN: 0
; COMPUTE_PGM_RSRC2:TGID_Z_EN: 0
; COMPUTE_PGM_RSRC2:TIDIG_COMP_CNT: 0
; COMPUTE_PGM_RSRC3_GFX90A:ACCUM_OFFSET: 0
; COMPUTE_PGM_RSRC3_GFX90A:TG_SPLIT: 0
	.section	.text._ZN7rocprim17ROCPRIM_400000_NS6detail17trampoline_kernelINS0_14default_configENS1_20scan_config_selectorIsEEZZNS1_9scan_implILNS1_25lookback_scan_determinismE0ELb0ELb0ES3_N6thrust23THRUST_200600_302600_NS6detail15normal_iteratorINS9_10device_ptrIsEEEESE_sNS9_4plusIvEEsEEDaPvRmT3_T4_T5_mT6_P12ihipStream_tbENKUlT_T0_E_clISt17integral_constantIbLb1EESU_EEDaSP_SQ_EUlSP_E_NS1_11comp_targetILNS1_3genE9ELNS1_11target_archE1100ELNS1_3gpuE3ELNS1_3repE0EEENS1_30default_config_static_selectorELNS0_4arch9wavefront6targetE1EEEvT1_,"axG",@progbits,_ZN7rocprim17ROCPRIM_400000_NS6detail17trampoline_kernelINS0_14default_configENS1_20scan_config_selectorIsEEZZNS1_9scan_implILNS1_25lookback_scan_determinismE0ELb0ELb0ES3_N6thrust23THRUST_200600_302600_NS6detail15normal_iteratorINS9_10device_ptrIsEEEESE_sNS9_4plusIvEEsEEDaPvRmT3_T4_T5_mT6_P12ihipStream_tbENKUlT_T0_E_clISt17integral_constantIbLb1EESU_EEDaSP_SQ_EUlSP_E_NS1_11comp_targetILNS1_3genE9ELNS1_11target_archE1100ELNS1_3gpuE3ELNS1_3repE0EEENS1_30default_config_static_selectorELNS0_4arch9wavefront6targetE1EEEvT1_,comdat
	.protected	_ZN7rocprim17ROCPRIM_400000_NS6detail17trampoline_kernelINS0_14default_configENS1_20scan_config_selectorIsEEZZNS1_9scan_implILNS1_25lookback_scan_determinismE0ELb0ELb0ES3_N6thrust23THRUST_200600_302600_NS6detail15normal_iteratorINS9_10device_ptrIsEEEESE_sNS9_4plusIvEEsEEDaPvRmT3_T4_T5_mT6_P12ihipStream_tbENKUlT_T0_E_clISt17integral_constantIbLb1EESU_EEDaSP_SQ_EUlSP_E_NS1_11comp_targetILNS1_3genE9ELNS1_11target_archE1100ELNS1_3gpuE3ELNS1_3repE0EEENS1_30default_config_static_selectorELNS0_4arch9wavefront6targetE1EEEvT1_ ; -- Begin function _ZN7rocprim17ROCPRIM_400000_NS6detail17trampoline_kernelINS0_14default_configENS1_20scan_config_selectorIsEEZZNS1_9scan_implILNS1_25lookback_scan_determinismE0ELb0ELb0ES3_N6thrust23THRUST_200600_302600_NS6detail15normal_iteratorINS9_10device_ptrIsEEEESE_sNS9_4plusIvEEsEEDaPvRmT3_T4_T5_mT6_P12ihipStream_tbENKUlT_T0_E_clISt17integral_constantIbLb1EESU_EEDaSP_SQ_EUlSP_E_NS1_11comp_targetILNS1_3genE9ELNS1_11target_archE1100ELNS1_3gpuE3ELNS1_3repE0EEENS1_30default_config_static_selectorELNS0_4arch9wavefront6targetE1EEEvT1_
	.globl	_ZN7rocprim17ROCPRIM_400000_NS6detail17trampoline_kernelINS0_14default_configENS1_20scan_config_selectorIsEEZZNS1_9scan_implILNS1_25lookback_scan_determinismE0ELb0ELb0ES3_N6thrust23THRUST_200600_302600_NS6detail15normal_iteratorINS9_10device_ptrIsEEEESE_sNS9_4plusIvEEsEEDaPvRmT3_T4_T5_mT6_P12ihipStream_tbENKUlT_T0_E_clISt17integral_constantIbLb1EESU_EEDaSP_SQ_EUlSP_E_NS1_11comp_targetILNS1_3genE9ELNS1_11target_archE1100ELNS1_3gpuE3ELNS1_3repE0EEENS1_30default_config_static_selectorELNS0_4arch9wavefront6targetE1EEEvT1_
	.p2align	8
	.type	_ZN7rocprim17ROCPRIM_400000_NS6detail17trampoline_kernelINS0_14default_configENS1_20scan_config_selectorIsEEZZNS1_9scan_implILNS1_25lookback_scan_determinismE0ELb0ELb0ES3_N6thrust23THRUST_200600_302600_NS6detail15normal_iteratorINS9_10device_ptrIsEEEESE_sNS9_4plusIvEEsEEDaPvRmT3_T4_T5_mT6_P12ihipStream_tbENKUlT_T0_E_clISt17integral_constantIbLb1EESU_EEDaSP_SQ_EUlSP_E_NS1_11comp_targetILNS1_3genE9ELNS1_11target_archE1100ELNS1_3gpuE3ELNS1_3repE0EEENS1_30default_config_static_selectorELNS0_4arch9wavefront6targetE1EEEvT1_,@function
_ZN7rocprim17ROCPRIM_400000_NS6detail17trampoline_kernelINS0_14default_configENS1_20scan_config_selectorIsEEZZNS1_9scan_implILNS1_25lookback_scan_determinismE0ELb0ELb0ES3_N6thrust23THRUST_200600_302600_NS6detail15normal_iteratorINS9_10device_ptrIsEEEESE_sNS9_4plusIvEEsEEDaPvRmT3_T4_T5_mT6_P12ihipStream_tbENKUlT_T0_E_clISt17integral_constantIbLb1EESU_EEDaSP_SQ_EUlSP_E_NS1_11comp_targetILNS1_3genE9ELNS1_11target_archE1100ELNS1_3gpuE3ELNS1_3repE0EEENS1_30default_config_static_selectorELNS0_4arch9wavefront6targetE1EEEvT1_: ; @_ZN7rocprim17ROCPRIM_400000_NS6detail17trampoline_kernelINS0_14default_configENS1_20scan_config_selectorIsEEZZNS1_9scan_implILNS1_25lookback_scan_determinismE0ELb0ELb0ES3_N6thrust23THRUST_200600_302600_NS6detail15normal_iteratorINS9_10device_ptrIsEEEESE_sNS9_4plusIvEEsEEDaPvRmT3_T4_T5_mT6_P12ihipStream_tbENKUlT_T0_E_clISt17integral_constantIbLb1EESU_EEDaSP_SQ_EUlSP_E_NS1_11comp_targetILNS1_3genE9ELNS1_11target_archE1100ELNS1_3gpuE3ELNS1_3repE0EEENS1_30default_config_static_selectorELNS0_4arch9wavefront6targetE1EEEvT1_
; %bb.0:
	.section	.rodata,"a",@progbits
	.p2align	6, 0x0
	.amdhsa_kernel _ZN7rocprim17ROCPRIM_400000_NS6detail17trampoline_kernelINS0_14default_configENS1_20scan_config_selectorIsEEZZNS1_9scan_implILNS1_25lookback_scan_determinismE0ELb0ELb0ES3_N6thrust23THRUST_200600_302600_NS6detail15normal_iteratorINS9_10device_ptrIsEEEESE_sNS9_4plusIvEEsEEDaPvRmT3_T4_T5_mT6_P12ihipStream_tbENKUlT_T0_E_clISt17integral_constantIbLb1EESU_EEDaSP_SQ_EUlSP_E_NS1_11comp_targetILNS1_3genE9ELNS1_11target_archE1100ELNS1_3gpuE3ELNS1_3repE0EEENS1_30default_config_static_selectorELNS0_4arch9wavefront6targetE1EEEvT1_
		.amdhsa_group_segment_fixed_size 0
		.amdhsa_private_segment_fixed_size 0
		.amdhsa_kernarg_size 96
		.amdhsa_user_sgpr_count 6
		.amdhsa_user_sgpr_private_segment_buffer 1
		.amdhsa_user_sgpr_dispatch_ptr 0
		.amdhsa_user_sgpr_queue_ptr 0
		.amdhsa_user_sgpr_kernarg_segment_ptr 1
		.amdhsa_user_sgpr_dispatch_id 0
		.amdhsa_user_sgpr_flat_scratch_init 0
		.amdhsa_user_sgpr_kernarg_preload_length 0
		.amdhsa_user_sgpr_kernarg_preload_offset 0
		.amdhsa_user_sgpr_private_segment_size 0
		.amdhsa_uses_dynamic_stack 0
		.amdhsa_system_sgpr_private_segment_wavefront_offset 0
		.amdhsa_system_sgpr_workgroup_id_x 1
		.amdhsa_system_sgpr_workgroup_id_y 0
		.amdhsa_system_sgpr_workgroup_id_z 0
		.amdhsa_system_sgpr_workgroup_info 0
		.amdhsa_system_vgpr_workitem_id 0
		.amdhsa_next_free_vgpr 1
		.amdhsa_next_free_sgpr 0
		.amdhsa_accum_offset 4
		.amdhsa_reserve_vcc 0
		.amdhsa_reserve_flat_scratch 0
		.amdhsa_float_round_mode_32 0
		.amdhsa_float_round_mode_16_64 0
		.amdhsa_float_denorm_mode_32 3
		.amdhsa_float_denorm_mode_16_64 3
		.amdhsa_dx10_clamp 1
		.amdhsa_ieee_mode 1
		.amdhsa_fp16_overflow 0
		.amdhsa_tg_split 0
		.amdhsa_exception_fp_ieee_invalid_op 0
		.amdhsa_exception_fp_denorm_src 0
		.amdhsa_exception_fp_ieee_div_zero 0
		.amdhsa_exception_fp_ieee_overflow 0
		.amdhsa_exception_fp_ieee_underflow 0
		.amdhsa_exception_fp_ieee_inexact 0
		.amdhsa_exception_int_div_zero 0
	.end_amdhsa_kernel
	.section	.text._ZN7rocprim17ROCPRIM_400000_NS6detail17trampoline_kernelINS0_14default_configENS1_20scan_config_selectorIsEEZZNS1_9scan_implILNS1_25lookback_scan_determinismE0ELb0ELb0ES3_N6thrust23THRUST_200600_302600_NS6detail15normal_iteratorINS9_10device_ptrIsEEEESE_sNS9_4plusIvEEsEEDaPvRmT3_T4_T5_mT6_P12ihipStream_tbENKUlT_T0_E_clISt17integral_constantIbLb1EESU_EEDaSP_SQ_EUlSP_E_NS1_11comp_targetILNS1_3genE9ELNS1_11target_archE1100ELNS1_3gpuE3ELNS1_3repE0EEENS1_30default_config_static_selectorELNS0_4arch9wavefront6targetE1EEEvT1_,"axG",@progbits,_ZN7rocprim17ROCPRIM_400000_NS6detail17trampoline_kernelINS0_14default_configENS1_20scan_config_selectorIsEEZZNS1_9scan_implILNS1_25lookback_scan_determinismE0ELb0ELb0ES3_N6thrust23THRUST_200600_302600_NS6detail15normal_iteratorINS9_10device_ptrIsEEEESE_sNS9_4plusIvEEsEEDaPvRmT3_T4_T5_mT6_P12ihipStream_tbENKUlT_T0_E_clISt17integral_constantIbLb1EESU_EEDaSP_SQ_EUlSP_E_NS1_11comp_targetILNS1_3genE9ELNS1_11target_archE1100ELNS1_3gpuE3ELNS1_3repE0EEENS1_30default_config_static_selectorELNS0_4arch9wavefront6targetE1EEEvT1_,comdat
.Lfunc_end912:
	.size	_ZN7rocprim17ROCPRIM_400000_NS6detail17trampoline_kernelINS0_14default_configENS1_20scan_config_selectorIsEEZZNS1_9scan_implILNS1_25lookback_scan_determinismE0ELb0ELb0ES3_N6thrust23THRUST_200600_302600_NS6detail15normal_iteratorINS9_10device_ptrIsEEEESE_sNS9_4plusIvEEsEEDaPvRmT3_T4_T5_mT6_P12ihipStream_tbENKUlT_T0_E_clISt17integral_constantIbLb1EESU_EEDaSP_SQ_EUlSP_E_NS1_11comp_targetILNS1_3genE9ELNS1_11target_archE1100ELNS1_3gpuE3ELNS1_3repE0EEENS1_30default_config_static_selectorELNS0_4arch9wavefront6targetE1EEEvT1_, .Lfunc_end912-_ZN7rocprim17ROCPRIM_400000_NS6detail17trampoline_kernelINS0_14default_configENS1_20scan_config_selectorIsEEZZNS1_9scan_implILNS1_25lookback_scan_determinismE0ELb0ELb0ES3_N6thrust23THRUST_200600_302600_NS6detail15normal_iteratorINS9_10device_ptrIsEEEESE_sNS9_4plusIvEEsEEDaPvRmT3_T4_T5_mT6_P12ihipStream_tbENKUlT_T0_E_clISt17integral_constantIbLb1EESU_EEDaSP_SQ_EUlSP_E_NS1_11comp_targetILNS1_3genE9ELNS1_11target_archE1100ELNS1_3gpuE3ELNS1_3repE0EEENS1_30default_config_static_selectorELNS0_4arch9wavefront6targetE1EEEvT1_
                                        ; -- End function
	.section	.AMDGPU.csdata,"",@progbits
; Kernel info:
; codeLenInByte = 0
; NumSgprs: 4
; NumVgprs: 0
; NumAgprs: 0
; TotalNumVgprs: 0
; ScratchSize: 0
; MemoryBound: 0
; FloatMode: 240
; IeeeMode: 1
; LDSByteSize: 0 bytes/workgroup (compile time only)
; SGPRBlocks: 0
; VGPRBlocks: 0
; NumSGPRsForWavesPerEU: 4
; NumVGPRsForWavesPerEU: 1
; AccumOffset: 4
; Occupancy: 8
; WaveLimiterHint : 0
; COMPUTE_PGM_RSRC2:SCRATCH_EN: 0
; COMPUTE_PGM_RSRC2:USER_SGPR: 6
; COMPUTE_PGM_RSRC2:TRAP_HANDLER: 0
; COMPUTE_PGM_RSRC2:TGID_X_EN: 1
; COMPUTE_PGM_RSRC2:TGID_Y_EN: 0
; COMPUTE_PGM_RSRC2:TGID_Z_EN: 0
; COMPUTE_PGM_RSRC2:TIDIG_COMP_CNT: 0
; COMPUTE_PGM_RSRC3_GFX90A:ACCUM_OFFSET: 0
; COMPUTE_PGM_RSRC3_GFX90A:TG_SPLIT: 0
	.section	.text._ZN7rocprim17ROCPRIM_400000_NS6detail17trampoline_kernelINS0_14default_configENS1_20scan_config_selectorIsEEZZNS1_9scan_implILNS1_25lookback_scan_determinismE0ELb0ELb0ES3_N6thrust23THRUST_200600_302600_NS6detail15normal_iteratorINS9_10device_ptrIsEEEESE_sNS9_4plusIvEEsEEDaPvRmT3_T4_T5_mT6_P12ihipStream_tbENKUlT_T0_E_clISt17integral_constantIbLb1EESU_EEDaSP_SQ_EUlSP_E_NS1_11comp_targetILNS1_3genE8ELNS1_11target_archE1030ELNS1_3gpuE2ELNS1_3repE0EEENS1_30default_config_static_selectorELNS0_4arch9wavefront6targetE1EEEvT1_,"axG",@progbits,_ZN7rocprim17ROCPRIM_400000_NS6detail17trampoline_kernelINS0_14default_configENS1_20scan_config_selectorIsEEZZNS1_9scan_implILNS1_25lookback_scan_determinismE0ELb0ELb0ES3_N6thrust23THRUST_200600_302600_NS6detail15normal_iteratorINS9_10device_ptrIsEEEESE_sNS9_4plusIvEEsEEDaPvRmT3_T4_T5_mT6_P12ihipStream_tbENKUlT_T0_E_clISt17integral_constantIbLb1EESU_EEDaSP_SQ_EUlSP_E_NS1_11comp_targetILNS1_3genE8ELNS1_11target_archE1030ELNS1_3gpuE2ELNS1_3repE0EEENS1_30default_config_static_selectorELNS0_4arch9wavefront6targetE1EEEvT1_,comdat
	.protected	_ZN7rocprim17ROCPRIM_400000_NS6detail17trampoline_kernelINS0_14default_configENS1_20scan_config_selectorIsEEZZNS1_9scan_implILNS1_25lookback_scan_determinismE0ELb0ELb0ES3_N6thrust23THRUST_200600_302600_NS6detail15normal_iteratorINS9_10device_ptrIsEEEESE_sNS9_4plusIvEEsEEDaPvRmT3_T4_T5_mT6_P12ihipStream_tbENKUlT_T0_E_clISt17integral_constantIbLb1EESU_EEDaSP_SQ_EUlSP_E_NS1_11comp_targetILNS1_3genE8ELNS1_11target_archE1030ELNS1_3gpuE2ELNS1_3repE0EEENS1_30default_config_static_selectorELNS0_4arch9wavefront6targetE1EEEvT1_ ; -- Begin function _ZN7rocprim17ROCPRIM_400000_NS6detail17trampoline_kernelINS0_14default_configENS1_20scan_config_selectorIsEEZZNS1_9scan_implILNS1_25lookback_scan_determinismE0ELb0ELb0ES3_N6thrust23THRUST_200600_302600_NS6detail15normal_iteratorINS9_10device_ptrIsEEEESE_sNS9_4plusIvEEsEEDaPvRmT3_T4_T5_mT6_P12ihipStream_tbENKUlT_T0_E_clISt17integral_constantIbLb1EESU_EEDaSP_SQ_EUlSP_E_NS1_11comp_targetILNS1_3genE8ELNS1_11target_archE1030ELNS1_3gpuE2ELNS1_3repE0EEENS1_30default_config_static_selectorELNS0_4arch9wavefront6targetE1EEEvT1_
	.globl	_ZN7rocprim17ROCPRIM_400000_NS6detail17trampoline_kernelINS0_14default_configENS1_20scan_config_selectorIsEEZZNS1_9scan_implILNS1_25lookback_scan_determinismE0ELb0ELb0ES3_N6thrust23THRUST_200600_302600_NS6detail15normal_iteratorINS9_10device_ptrIsEEEESE_sNS9_4plusIvEEsEEDaPvRmT3_T4_T5_mT6_P12ihipStream_tbENKUlT_T0_E_clISt17integral_constantIbLb1EESU_EEDaSP_SQ_EUlSP_E_NS1_11comp_targetILNS1_3genE8ELNS1_11target_archE1030ELNS1_3gpuE2ELNS1_3repE0EEENS1_30default_config_static_selectorELNS0_4arch9wavefront6targetE1EEEvT1_
	.p2align	8
	.type	_ZN7rocprim17ROCPRIM_400000_NS6detail17trampoline_kernelINS0_14default_configENS1_20scan_config_selectorIsEEZZNS1_9scan_implILNS1_25lookback_scan_determinismE0ELb0ELb0ES3_N6thrust23THRUST_200600_302600_NS6detail15normal_iteratorINS9_10device_ptrIsEEEESE_sNS9_4plusIvEEsEEDaPvRmT3_T4_T5_mT6_P12ihipStream_tbENKUlT_T0_E_clISt17integral_constantIbLb1EESU_EEDaSP_SQ_EUlSP_E_NS1_11comp_targetILNS1_3genE8ELNS1_11target_archE1030ELNS1_3gpuE2ELNS1_3repE0EEENS1_30default_config_static_selectorELNS0_4arch9wavefront6targetE1EEEvT1_,@function
_ZN7rocprim17ROCPRIM_400000_NS6detail17trampoline_kernelINS0_14default_configENS1_20scan_config_selectorIsEEZZNS1_9scan_implILNS1_25lookback_scan_determinismE0ELb0ELb0ES3_N6thrust23THRUST_200600_302600_NS6detail15normal_iteratorINS9_10device_ptrIsEEEESE_sNS9_4plusIvEEsEEDaPvRmT3_T4_T5_mT6_P12ihipStream_tbENKUlT_T0_E_clISt17integral_constantIbLb1EESU_EEDaSP_SQ_EUlSP_E_NS1_11comp_targetILNS1_3genE8ELNS1_11target_archE1030ELNS1_3gpuE2ELNS1_3repE0EEENS1_30default_config_static_selectorELNS0_4arch9wavefront6targetE1EEEvT1_: ; @_ZN7rocprim17ROCPRIM_400000_NS6detail17trampoline_kernelINS0_14default_configENS1_20scan_config_selectorIsEEZZNS1_9scan_implILNS1_25lookback_scan_determinismE0ELb0ELb0ES3_N6thrust23THRUST_200600_302600_NS6detail15normal_iteratorINS9_10device_ptrIsEEEESE_sNS9_4plusIvEEsEEDaPvRmT3_T4_T5_mT6_P12ihipStream_tbENKUlT_T0_E_clISt17integral_constantIbLb1EESU_EEDaSP_SQ_EUlSP_E_NS1_11comp_targetILNS1_3genE8ELNS1_11target_archE1030ELNS1_3gpuE2ELNS1_3repE0EEENS1_30default_config_static_selectorELNS0_4arch9wavefront6targetE1EEEvT1_
; %bb.0:
	.section	.rodata,"a",@progbits
	.p2align	6, 0x0
	.amdhsa_kernel _ZN7rocprim17ROCPRIM_400000_NS6detail17trampoline_kernelINS0_14default_configENS1_20scan_config_selectorIsEEZZNS1_9scan_implILNS1_25lookback_scan_determinismE0ELb0ELb0ES3_N6thrust23THRUST_200600_302600_NS6detail15normal_iteratorINS9_10device_ptrIsEEEESE_sNS9_4plusIvEEsEEDaPvRmT3_T4_T5_mT6_P12ihipStream_tbENKUlT_T0_E_clISt17integral_constantIbLb1EESU_EEDaSP_SQ_EUlSP_E_NS1_11comp_targetILNS1_3genE8ELNS1_11target_archE1030ELNS1_3gpuE2ELNS1_3repE0EEENS1_30default_config_static_selectorELNS0_4arch9wavefront6targetE1EEEvT1_
		.amdhsa_group_segment_fixed_size 0
		.amdhsa_private_segment_fixed_size 0
		.amdhsa_kernarg_size 96
		.amdhsa_user_sgpr_count 6
		.amdhsa_user_sgpr_private_segment_buffer 1
		.amdhsa_user_sgpr_dispatch_ptr 0
		.amdhsa_user_sgpr_queue_ptr 0
		.amdhsa_user_sgpr_kernarg_segment_ptr 1
		.amdhsa_user_sgpr_dispatch_id 0
		.amdhsa_user_sgpr_flat_scratch_init 0
		.amdhsa_user_sgpr_kernarg_preload_length 0
		.amdhsa_user_sgpr_kernarg_preload_offset 0
		.amdhsa_user_sgpr_private_segment_size 0
		.amdhsa_uses_dynamic_stack 0
		.amdhsa_system_sgpr_private_segment_wavefront_offset 0
		.amdhsa_system_sgpr_workgroup_id_x 1
		.amdhsa_system_sgpr_workgroup_id_y 0
		.amdhsa_system_sgpr_workgroup_id_z 0
		.amdhsa_system_sgpr_workgroup_info 0
		.amdhsa_system_vgpr_workitem_id 0
		.amdhsa_next_free_vgpr 1
		.amdhsa_next_free_sgpr 0
		.amdhsa_accum_offset 4
		.amdhsa_reserve_vcc 0
		.amdhsa_reserve_flat_scratch 0
		.amdhsa_float_round_mode_32 0
		.amdhsa_float_round_mode_16_64 0
		.amdhsa_float_denorm_mode_32 3
		.amdhsa_float_denorm_mode_16_64 3
		.amdhsa_dx10_clamp 1
		.amdhsa_ieee_mode 1
		.amdhsa_fp16_overflow 0
		.amdhsa_tg_split 0
		.amdhsa_exception_fp_ieee_invalid_op 0
		.amdhsa_exception_fp_denorm_src 0
		.amdhsa_exception_fp_ieee_div_zero 0
		.amdhsa_exception_fp_ieee_overflow 0
		.amdhsa_exception_fp_ieee_underflow 0
		.amdhsa_exception_fp_ieee_inexact 0
		.amdhsa_exception_int_div_zero 0
	.end_amdhsa_kernel
	.section	.text._ZN7rocprim17ROCPRIM_400000_NS6detail17trampoline_kernelINS0_14default_configENS1_20scan_config_selectorIsEEZZNS1_9scan_implILNS1_25lookback_scan_determinismE0ELb0ELb0ES3_N6thrust23THRUST_200600_302600_NS6detail15normal_iteratorINS9_10device_ptrIsEEEESE_sNS9_4plusIvEEsEEDaPvRmT3_T4_T5_mT6_P12ihipStream_tbENKUlT_T0_E_clISt17integral_constantIbLb1EESU_EEDaSP_SQ_EUlSP_E_NS1_11comp_targetILNS1_3genE8ELNS1_11target_archE1030ELNS1_3gpuE2ELNS1_3repE0EEENS1_30default_config_static_selectorELNS0_4arch9wavefront6targetE1EEEvT1_,"axG",@progbits,_ZN7rocprim17ROCPRIM_400000_NS6detail17trampoline_kernelINS0_14default_configENS1_20scan_config_selectorIsEEZZNS1_9scan_implILNS1_25lookback_scan_determinismE0ELb0ELb0ES3_N6thrust23THRUST_200600_302600_NS6detail15normal_iteratorINS9_10device_ptrIsEEEESE_sNS9_4plusIvEEsEEDaPvRmT3_T4_T5_mT6_P12ihipStream_tbENKUlT_T0_E_clISt17integral_constantIbLb1EESU_EEDaSP_SQ_EUlSP_E_NS1_11comp_targetILNS1_3genE8ELNS1_11target_archE1030ELNS1_3gpuE2ELNS1_3repE0EEENS1_30default_config_static_selectorELNS0_4arch9wavefront6targetE1EEEvT1_,comdat
.Lfunc_end913:
	.size	_ZN7rocprim17ROCPRIM_400000_NS6detail17trampoline_kernelINS0_14default_configENS1_20scan_config_selectorIsEEZZNS1_9scan_implILNS1_25lookback_scan_determinismE0ELb0ELb0ES3_N6thrust23THRUST_200600_302600_NS6detail15normal_iteratorINS9_10device_ptrIsEEEESE_sNS9_4plusIvEEsEEDaPvRmT3_T4_T5_mT6_P12ihipStream_tbENKUlT_T0_E_clISt17integral_constantIbLb1EESU_EEDaSP_SQ_EUlSP_E_NS1_11comp_targetILNS1_3genE8ELNS1_11target_archE1030ELNS1_3gpuE2ELNS1_3repE0EEENS1_30default_config_static_selectorELNS0_4arch9wavefront6targetE1EEEvT1_, .Lfunc_end913-_ZN7rocprim17ROCPRIM_400000_NS6detail17trampoline_kernelINS0_14default_configENS1_20scan_config_selectorIsEEZZNS1_9scan_implILNS1_25lookback_scan_determinismE0ELb0ELb0ES3_N6thrust23THRUST_200600_302600_NS6detail15normal_iteratorINS9_10device_ptrIsEEEESE_sNS9_4plusIvEEsEEDaPvRmT3_T4_T5_mT6_P12ihipStream_tbENKUlT_T0_E_clISt17integral_constantIbLb1EESU_EEDaSP_SQ_EUlSP_E_NS1_11comp_targetILNS1_3genE8ELNS1_11target_archE1030ELNS1_3gpuE2ELNS1_3repE0EEENS1_30default_config_static_selectorELNS0_4arch9wavefront6targetE1EEEvT1_
                                        ; -- End function
	.section	.AMDGPU.csdata,"",@progbits
; Kernel info:
; codeLenInByte = 0
; NumSgprs: 4
; NumVgprs: 0
; NumAgprs: 0
; TotalNumVgprs: 0
; ScratchSize: 0
; MemoryBound: 0
; FloatMode: 240
; IeeeMode: 1
; LDSByteSize: 0 bytes/workgroup (compile time only)
; SGPRBlocks: 0
; VGPRBlocks: 0
; NumSGPRsForWavesPerEU: 4
; NumVGPRsForWavesPerEU: 1
; AccumOffset: 4
; Occupancy: 8
; WaveLimiterHint : 0
; COMPUTE_PGM_RSRC2:SCRATCH_EN: 0
; COMPUTE_PGM_RSRC2:USER_SGPR: 6
; COMPUTE_PGM_RSRC2:TRAP_HANDLER: 0
; COMPUTE_PGM_RSRC2:TGID_X_EN: 1
; COMPUTE_PGM_RSRC2:TGID_Y_EN: 0
; COMPUTE_PGM_RSRC2:TGID_Z_EN: 0
; COMPUTE_PGM_RSRC2:TIDIG_COMP_CNT: 0
; COMPUTE_PGM_RSRC3_GFX90A:ACCUM_OFFSET: 0
; COMPUTE_PGM_RSRC3_GFX90A:TG_SPLIT: 0
	.section	.text._ZN7rocprim17ROCPRIM_400000_NS6detail17trampoline_kernelINS0_14default_configENS1_20scan_config_selectorIsEEZZNS1_9scan_implILNS1_25lookback_scan_determinismE0ELb0ELb0ES3_N6thrust23THRUST_200600_302600_NS6detail15normal_iteratorINS9_10device_ptrIsEEEESE_sNS9_4plusIvEEsEEDaPvRmT3_T4_T5_mT6_P12ihipStream_tbENKUlT_T0_E_clISt17integral_constantIbLb1EESU_EEDaSP_SQ_EUlSP_E0_NS1_11comp_targetILNS1_3genE0ELNS1_11target_archE4294967295ELNS1_3gpuE0ELNS1_3repE0EEENS1_30default_config_static_selectorELNS0_4arch9wavefront6targetE1EEEvT1_,"axG",@progbits,_ZN7rocprim17ROCPRIM_400000_NS6detail17trampoline_kernelINS0_14default_configENS1_20scan_config_selectorIsEEZZNS1_9scan_implILNS1_25lookback_scan_determinismE0ELb0ELb0ES3_N6thrust23THRUST_200600_302600_NS6detail15normal_iteratorINS9_10device_ptrIsEEEESE_sNS9_4plusIvEEsEEDaPvRmT3_T4_T5_mT6_P12ihipStream_tbENKUlT_T0_E_clISt17integral_constantIbLb1EESU_EEDaSP_SQ_EUlSP_E0_NS1_11comp_targetILNS1_3genE0ELNS1_11target_archE4294967295ELNS1_3gpuE0ELNS1_3repE0EEENS1_30default_config_static_selectorELNS0_4arch9wavefront6targetE1EEEvT1_,comdat
	.protected	_ZN7rocprim17ROCPRIM_400000_NS6detail17trampoline_kernelINS0_14default_configENS1_20scan_config_selectorIsEEZZNS1_9scan_implILNS1_25lookback_scan_determinismE0ELb0ELb0ES3_N6thrust23THRUST_200600_302600_NS6detail15normal_iteratorINS9_10device_ptrIsEEEESE_sNS9_4plusIvEEsEEDaPvRmT3_T4_T5_mT6_P12ihipStream_tbENKUlT_T0_E_clISt17integral_constantIbLb1EESU_EEDaSP_SQ_EUlSP_E0_NS1_11comp_targetILNS1_3genE0ELNS1_11target_archE4294967295ELNS1_3gpuE0ELNS1_3repE0EEENS1_30default_config_static_selectorELNS0_4arch9wavefront6targetE1EEEvT1_ ; -- Begin function _ZN7rocprim17ROCPRIM_400000_NS6detail17trampoline_kernelINS0_14default_configENS1_20scan_config_selectorIsEEZZNS1_9scan_implILNS1_25lookback_scan_determinismE0ELb0ELb0ES3_N6thrust23THRUST_200600_302600_NS6detail15normal_iteratorINS9_10device_ptrIsEEEESE_sNS9_4plusIvEEsEEDaPvRmT3_T4_T5_mT6_P12ihipStream_tbENKUlT_T0_E_clISt17integral_constantIbLb1EESU_EEDaSP_SQ_EUlSP_E0_NS1_11comp_targetILNS1_3genE0ELNS1_11target_archE4294967295ELNS1_3gpuE0ELNS1_3repE0EEENS1_30default_config_static_selectorELNS0_4arch9wavefront6targetE1EEEvT1_
	.globl	_ZN7rocprim17ROCPRIM_400000_NS6detail17trampoline_kernelINS0_14default_configENS1_20scan_config_selectorIsEEZZNS1_9scan_implILNS1_25lookback_scan_determinismE0ELb0ELb0ES3_N6thrust23THRUST_200600_302600_NS6detail15normal_iteratorINS9_10device_ptrIsEEEESE_sNS9_4plusIvEEsEEDaPvRmT3_T4_T5_mT6_P12ihipStream_tbENKUlT_T0_E_clISt17integral_constantIbLb1EESU_EEDaSP_SQ_EUlSP_E0_NS1_11comp_targetILNS1_3genE0ELNS1_11target_archE4294967295ELNS1_3gpuE0ELNS1_3repE0EEENS1_30default_config_static_selectorELNS0_4arch9wavefront6targetE1EEEvT1_
	.p2align	8
	.type	_ZN7rocprim17ROCPRIM_400000_NS6detail17trampoline_kernelINS0_14default_configENS1_20scan_config_selectorIsEEZZNS1_9scan_implILNS1_25lookback_scan_determinismE0ELb0ELb0ES3_N6thrust23THRUST_200600_302600_NS6detail15normal_iteratorINS9_10device_ptrIsEEEESE_sNS9_4plusIvEEsEEDaPvRmT3_T4_T5_mT6_P12ihipStream_tbENKUlT_T0_E_clISt17integral_constantIbLb1EESU_EEDaSP_SQ_EUlSP_E0_NS1_11comp_targetILNS1_3genE0ELNS1_11target_archE4294967295ELNS1_3gpuE0ELNS1_3repE0EEENS1_30default_config_static_selectorELNS0_4arch9wavefront6targetE1EEEvT1_,@function
_ZN7rocprim17ROCPRIM_400000_NS6detail17trampoline_kernelINS0_14default_configENS1_20scan_config_selectorIsEEZZNS1_9scan_implILNS1_25lookback_scan_determinismE0ELb0ELb0ES3_N6thrust23THRUST_200600_302600_NS6detail15normal_iteratorINS9_10device_ptrIsEEEESE_sNS9_4plusIvEEsEEDaPvRmT3_T4_T5_mT6_P12ihipStream_tbENKUlT_T0_E_clISt17integral_constantIbLb1EESU_EEDaSP_SQ_EUlSP_E0_NS1_11comp_targetILNS1_3genE0ELNS1_11target_archE4294967295ELNS1_3gpuE0ELNS1_3repE0EEENS1_30default_config_static_selectorELNS0_4arch9wavefront6targetE1EEEvT1_: ; @_ZN7rocprim17ROCPRIM_400000_NS6detail17trampoline_kernelINS0_14default_configENS1_20scan_config_selectorIsEEZZNS1_9scan_implILNS1_25lookback_scan_determinismE0ELb0ELb0ES3_N6thrust23THRUST_200600_302600_NS6detail15normal_iteratorINS9_10device_ptrIsEEEESE_sNS9_4plusIvEEsEEDaPvRmT3_T4_T5_mT6_P12ihipStream_tbENKUlT_T0_E_clISt17integral_constantIbLb1EESU_EEDaSP_SQ_EUlSP_E0_NS1_11comp_targetILNS1_3genE0ELNS1_11target_archE4294967295ELNS1_3gpuE0ELNS1_3repE0EEENS1_30default_config_static_selectorELNS0_4arch9wavefront6targetE1EEEvT1_
; %bb.0:
	.section	.rodata,"a",@progbits
	.p2align	6, 0x0
	.amdhsa_kernel _ZN7rocprim17ROCPRIM_400000_NS6detail17trampoline_kernelINS0_14default_configENS1_20scan_config_selectorIsEEZZNS1_9scan_implILNS1_25lookback_scan_determinismE0ELb0ELb0ES3_N6thrust23THRUST_200600_302600_NS6detail15normal_iteratorINS9_10device_ptrIsEEEESE_sNS9_4plusIvEEsEEDaPvRmT3_T4_T5_mT6_P12ihipStream_tbENKUlT_T0_E_clISt17integral_constantIbLb1EESU_EEDaSP_SQ_EUlSP_E0_NS1_11comp_targetILNS1_3genE0ELNS1_11target_archE4294967295ELNS1_3gpuE0ELNS1_3repE0EEENS1_30default_config_static_selectorELNS0_4arch9wavefront6targetE1EEEvT1_
		.amdhsa_group_segment_fixed_size 0
		.amdhsa_private_segment_fixed_size 0
		.amdhsa_kernarg_size 32
		.amdhsa_user_sgpr_count 6
		.amdhsa_user_sgpr_private_segment_buffer 1
		.amdhsa_user_sgpr_dispatch_ptr 0
		.amdhsa_user_sgpr_queue_ptr 0
		.amdhsa_user_sgpr_kernarg_segment_ptr 1
		.amdhsa_user_sgpr_dispatch_id 0
		.amdhsa_user_sgpr_flat_scratch_init 0
		.amdhsa_user_sgpr_kernarg_preload_length 0
		.amdhsa_user_sgpr_kernarg_preload_offset 0
		.amdhsa_user_sgpr_private_segment_size 0
		.amdhsa_uses_dynamic_stack 0
		.amdhsa_system_sgpr_private_segment_wavefront_offset 0
		.amdhsa_system_sgpr_workgroup_id_x 1
		.amdhsa_system_sgpr_workgroup_id_y 0
		.amdhsa_system_sgpr_workgroup_id_z 0
		.amdhsa_system_sgpr_workgroup_info 0
		.amdhsa_system_vgpr_workitem_id 0
		.amdhsa_next_free_vgpr 1
		.amdhsa_next_free_sgpr 0
		.amdhsa_accum_offset 4
		.amdhsa_reserve_vcc 0
		.amdhsa_reserve_flat_scratch 0
		.amdhsa_float_round_mode_32 0
		.amdhsa_float_round_mode_16_64 0
		.amdhsa_float_denorm_mode_32 3
		.amdhsa_float_denorm_mode_16_64 3
		.amdhsa_dx10_clamp 1
		.amdhsa_ieee_mode 1
		.amdhsa_fp16_overflow 0
		.amdhsa_tg_split 0
		.amdhsa_exception_fp_ieee_invalid_op 0
		.amdhsa_exception_fp_denorm_src 0
		.amdhsa_exception_fp_ieee_div_zero 0
		.amdhsa_exception_fp_ieee_overflow 0
		.amdhsa_exception_fp_ieee_underflow 0
		.amdhsa_exception_fp_ieee_inexact 0
		.amdhsa_exception_int_div_zero 0
	.end_amdhsa_kernel
	.section	.text._ZN7rocprim17ROCPRIM_400000_NS6detail17trampoline_kernelINS0_14default_configENS1_20scan_config_selectorIsEEZZNS1_9scan_implILNS1_25lookback_scan_determinismE0ELb0ELb0ES3_N6thrust23THRUST_200600_302600_NS6detail15normal_iteratorINS9_10device_ptrIsEEEESE_sNS9_4plusIvEEsEEDaPvRmT3_T4_T5_mT6_P12ihipStream_tbENKUlT_T0_E_clISt17integral_constantIbLb1EESU_EEDaSP_SQ_EUlSP_E0_NS1_11comp_targetILNS1_3genE0ELNS1_11target_archE4294967295ELNS1_3gpuE0ELNS1_3repE0EEENS1_30default_config_static_selectorELNS0_4arch9wavefront6targetE1EEEvT1_,"axG",@progbits,_ZN7rocprim17ROCPRIM_400000_NS6detail17trampoline_kernelINS0_14default_configENS1_20scan_config_selectorIsEEZZNS1_9scan_implILNS1_25lookback_scan_determinismE0ELb0ELb0ES3_N6thrust23THRUST_200600_302600_NS6detail15normal_iteratorINS9_10device_ptrIsEEEESE_sNS9_4plusIvEEsEEDaPvRmT3_T4_T5_mT6_P12ihipStream_tbENKUlT_T0_E_clISt17integral_constantIbLb1EESU_EEDaSP_SQ_EUlSP_E0_NS1_11comp_targetILNS1_3genE0ELNS1_11target_archE4294967295ELNS1_3gpuE0ELNS1_3repE0EEENS1_30default_config_static_selectorELNS0_4arch9wavefront6targetE1EEEvT1_,comdat
.Lfunc_end914:
	.size	_ZN7rocprim17ROCPRIM_400000_NS6detail17trampoline_kernelINS0_14default_configENS1_20scan_config_selectorIsEEZZNS1_9scan_implILNS1_25lookback_scan_determinismE0ELb0ELb0ES3_N6thrust23THRUST_200600_302600_NS6detail15normal_iteratorINS9_10device_ptrIsEEEESE_sNS9_4plusIvEEsEEDaPvRmT3_T4_T5_mT6_P12ihipStream_tbENKUlT_T0_E_clISt17integral_constantIbLb1EESU_EEDaSP_SQ_EUlSP_E0_NS1_11comp_targetILNS1_3genE0ELNS1_11target_archE4294967295ELNS1_3gpuE0ELNS1_3repE0EEENS1_30default_config_static_selectorELNS0_4arch9wavefront6targetE1EEEvT1_, .Lfunc_end914-_ZN7rocprim17ROCPRIM_400000_NS6detail17trampoline_kernelINS0_14default_configENS1_20scan_config_selectorIsEEZZNS1_9scan_implILNS1_25lookback_scan_determinismE0ELb0ELb0ES3_N6thrust23THRUST_200600_302600_NS6detail15normal_iteratorINS9_10device_ptrIsEEEESE_sNS9_4plusIvEEsEEDaPvRmT3_T4_T5_mT6_P12ihipStream_tbENKUlT_T0_E_clISt17integral_constantIbLb1EESU_EEDaSP_SQ_EUlSP_E0_NS1_11comp_targetILNS1_3genE0ELNS1_11target_archE4294967295ELNS1_3gpuE0ELNS1_3repE0EEENS1_30default_config_static_selectorELNS0_4arch9wavefront6targetE1EEEvT1_
                                        ; -- End function
	.section	.AMDGPU.csdata,"",@progbits
; Kernel info:
; codeLenInByte = 0
; NumSgprs: 4
; NumVgprs: 0
; NumAgprs: 0
; TotalNumVgprs: 0
; ScratchSize: 0
; MemoryBound: 0
; FloatMode: 240
; IeeeMode: 1
; LDSByteSize: 0 bytes/workgroup (compile time only)
; SGPRBlocks: 0
; VGPRBlocks: 0
; NumSGPRsForWavesPerEU: 4
; NumVGPRsForWavesPerEU: 1
; AccumOffset: 4
; Occupancy: 8
; WaveLimiterHint : 0
; COMPUTE_PGM_RSRC2:SCRATCH_EN: 0
; COMPUTE_PGM_RSRC2:USER_SGPR: 6
; COMPUTE_PGM_RSRC2:TRAP_HANDLER: 0
; COMPUTE_PGM_RSRC2:TGID_X_EN: 1
; COMPUTE_PGM_RSRC2:TGID_Y_EN: 0
; COMPUTE_PGM_RSRC2:TGID_Z_EN: 0
; COMPUTE_PGM_RSRC2:TIDIG_COMP_CNT: 0
; COMPUTE_PGM_RSRC3_GFX90A:ACCUM_OFFSET: 0
; COMPUTE_PGM_RSRC3_GFX90A:TG_SPLIT: 0
	.section	.text._ZN7rocprim17ROCPRIM_400000_NS6detail17trampoline_kernelINS0_14default_configENS1_20scan_config_selectorIsEEZZNS1_9scan_implILNS1_25lookback_scan_determinismE0ELb0ELb0ES3_N6thrust23THRUST_200600_302600_NS6detail15normal_iteratorINS9_10device_ptrIsEEEESE_sNS9_4plusIvEEsEEDaPvRmT3_T4_T5_mT6_P12ihipStream_tbENKUlT_T0_E_clISt17integral_constantIbLb1EESU_EEDaSP_SQ_EUlSP_E0_NS1_11comp_targetILNS1_3genE5ELNS1_11target_archE942ELNS1_3gpuE9ELNS1_3repE0EEENS1_30default_config_static_selectorELNS0_4arch9wavefront6targetE1EEEvT1_,"axG",@progbits,_ZN7rocprim17ROCPRIM_400000_NS6detail17trampoline_kernelINS0_14default_configENS1_20scan_config_selectorIsEEZZNS1_9scan_implILNS1_25lookback_scan_determinismE0ELb0ELb0ES3_N6thrust23THRUST_200600_302600_NS6detail15normal_iteratorINS9_10device_ptrIsEEEESE_sNS9_4plusIvEEsEEDaPvRmT3_T4_T5_mT6_P12ihipStream_tbENKUlT_T0_E_clISt17integral_constantIbLb1EESU_EEDaSP_SQ_EUlSP_E0_NS1_11comp_targetILNS1_3genE5ELNS1_11target_archE942ELNS1_3gpuE9ELNS1_3repE0EEENS1_30default_config_static_selectorELNS0_4arch9wavefront6targetE1EEEvT1_,comdat
	.protected	_ZN7rocprim17ROCPRIM_400000_NS6detail17trampoline_kernelINS0_14default_configENS1_20scan_config_selectorIsEEZZNS1_9scan_implILNS1_25lookback_scan_determinismE0ELb0ELb0ES3_N6thrust23THRUST_200600_302600_NS6detail15normal_iteratorINS9_10device_ptrIsEEEESE_sNS9_4plusIvEEsEEDaPvRmT3_T4_T5_mT6_P12ihipStream_tbENKUlT_T0_E_clISt17integral_constantIbLb1EESU_EEDaSP_SQ_EUlSP_E0_NS1_11comp_targetILNS1_3genE5ELNS1_11target_archE942ELNS1_3gpuE9ELNS1_3repE0EEENS1_30default_config_static_selectorELNS0_4arch9wavefront6targetE1EEEvT1_ ; -- Begin function _ZN7rocprim17ROCPRIM_400000_NS6detail17trampoline_kernelINS0_14default_configENS1_20scan_config_selectorIsEEZZNS1_9scan_implILNS1_25lookback_scan_determinismE0ELb0ELb0ES3_N6thrust23THRUST_200600_302600_NS6detail15normal_iteratorINS9_10device_ptrIsEEEESE_sNS9_4plusIvEEsEEDaPvRmT3_T4_T5_mT6_P12ihipStream_tbENKUlT_T0_E_clISt17integral_constantIbLb1EESU_EEDaSP_SQ_EUlSP_E0_NS1_11comp_targetILNS1_3genE5ELNS1_11target_archE942ELNS1_3gpuE9ELNS1_3repE0EEENS1_30default_config_static_selectorELNS0_4arch9wavefront6targetE1EEEvT1_
	.globl	_ZN7rocprim17ROCPRIM_400000_NS6detail17trampoline_kernelINS0_14default_configENS1_20scan_config_selectorIsEEZZNS1_9scan_implILNS1_25lookback_scan_determinismE0ELb0ELb0ES3_N6thrust23THRUST_200600_302600_NS6detail15normal_iteratorINS9_10device_ptrIsEEEESE_sNS9_4plusIvEEsEEDaPvRmT3_T4_T5_mT6_P12ihipStream_tbENKUlT_T0_E_clISt17integral_constantIbLb1EESU_EEDaSP_SQ_EUlSP_E0_NS1_11comp_targetILNS1_3genE5ELNS1_11target_archE942ELNS1_3gpuE9ELNS1_3repE0EEENS1_30default_config_static_selectorELNS0_4arch9wavefront6targetE1EEEvT1_
	.p2align	8
	.type	_ZN7rocprim17ROCPRIM_400000_NS6detail17trampoline_kernelINS0_14default_configENS1_20scan_config_selectorIsEEZZNS1_9scan_implILNS1_25lookback_scan_determinismE0ELb0ELb0ES3_N6thrust23THRUST_200600_302600_NS6detail15normal_iteratorINS9_10device_ptrIsEEEESE_sNS9_4plusIvEEsEEDaPvRmT3_T4_T5_mT6_P12ihipStream_tbENKUlT_T0_E_clISt17integral_constantIbLb1EESU_EEDaSP_SQ_EUlSP_E0_NS1_11comp_targetILNS1_3genE5ELNS1_11target_archE942ELNS1_3gpuE9ELNS1_3repE0EEENS1_30default_config_static_selectorELNS0_4arch9wavefront6targetE1EEEvT1_,@function
_ZN7rocprim17ROCPRIM_400000_NS6detail17trampoline_kernelINS0_14default_configENS1_20scan_config_selectorIsEEZZNS1_9scan_implILNS1_25lookback_scan_determinismE0ELb0ELb0ES3_N6thrust23THRUST_200600_302600_NS6detail15normal_iteratorINS9_10device_ptrIsEEEESE_sNS9_4plusIvEEsEEDaPvRmT3_T4_T5_mT6_P12ihipStream_tbENKUlT_T0_E_clISt17integral_constantIbLb1EESU_EEDaSP_SQ_EUlSP_E0_NS1_11comp_targetILNS1_3genE5ELNS1_11target_archE942ELNS1_3gpuE9ELNS1_3repE0EEENS1_30default_config_static_selectorELNS0_4arch9wavefront6targetE1EEEvT1_: ; @_ZN7rocprim17ROCPRIM_400000_NS6detail17trampoline_kernelINS0_14default_configENS1_20scan_config_selectorIsEEZZNS1_9scan_implILNS1_25lookback_scan_determinismE0ELb0ELb0ES3_N6thrust23THRUST_200600_302600_NS6detail15normal_iteratorINS9_10device_ptrIsEEEESE_sNS9_4plusIvEEsEEDaPvRmT3_T4_T5_mT6_P12ihipStream_tbENKUlT_T0_E_clISt17integral_constantIbLb1EESU_EEDaSP_SQ_EUlSP_E0_NS1_11comp_targetILNS1_3genE5ELNS1_11target_archE942ELNS1_3gpuE9ELNS1_3repE0EEENS1_30default_config_static_selectorELNS0_4arch9wavefront6targetE1EEEvT1_
; %bb.0:
	.section	.rodata,"a",@progbits
	.p2align	6, 0x0
	.amdhsa_kernel _ZN7rocprim17ROCPRIM_400000_NS6detail17trampoline_kernelINS0_14default_configENS1_20scan_config_selectorIsEEZZNS1_9scan_implILNS1_25lookback_scan_determinismE0ELb0ELb0ES3_N6thrust23THRUST_200600_302600_NS6detail15normal_iteratorINS9_10device_ptrIsEEEESE_sNS9_4plusIvEEsEEDaPvRmT3_T4_T5_mT6_P12ihipStream_tbENKUlT_T0_E_clISt17integral_constantIbLb1EESU_EEDaSP_SQ_EUlSP_E0_NS1_11comp_targetILNS1_3genE5ELNS1_11target_archE942ELNS1_3gpuE9ELNS1_3repE0EEENS1_30default_config_static_selectorELNS0_4arch9wavefront6targetE1EEEvT1_
		.amdhsa_group_segment_fixed_size 0
		.amdhsa_private_segment_fixed_size 0
		.amdhsa_kernarg_size 32
		.amdhsa_user_sgpr_count 6
		.amdhsa_user_sgpr_private_segment_buffer 1
		.amdhsa_user_sgpr_dispatch_ptr 0
		.amdhsa_user_sgpr_queue_ptr 0
		.amdhsa_user_sgpr_kernarg_segment_ptr 1
		.amdhsa_user_sgpr_dispatch_id 0
		.amdhsa_user_sgpr_flat_scratch_init 0
		.amdhsa_user_sgpr_kernarg_preload_length 0
		.amdhsa_user_sgpr_kernarg_preload_offset 0
		.amdhsa_user_sgpr_private_segment_size 0
		.amdhsa_uses_dynamic_stack 0
		.amdhsa_system_sgpr_private_segment_wavefront_offset 0
		.amdhsa_system_sgpr_workgroup_id_x 1
		.amdhsa_system_sgpr_workgroup_id_y 0
		.amdhsa_system_sgpr_workgroup_id_z 0
		.amdhsa_system_sgpr_workgroup_info 0
		.amdhsa_system_vgpr_workitem_id 0
		.amdhsa_next_free_vgpr 1
		.amdhsa_next_free_sgpr 0
		.amdhsa_accum_offset 4
		.amdhsa_reserve_vcc 0
		.amdhsa_reserve_flat_scratch 0
		.amdhsa_float_round_mode_32 0
		.amdhsa_float_round_mode_16_64 0
		.amdhsa_float_denorm_mode_32 3
		.amdhsa_float_denorm_mode_16_64 3
		.amdhsa_dx10_clamp 1
		.amdhsa_ieee_mode 1
		.amdhsa_fp16_overflow 0
		.amdhsa_tg_split 0
		.amdhsa_exception_fp_ieee_invalid_op 0
		.amdhsa_exception_fp_denorm_src 0
		.amdhsa_exception_fp_ieee_div_zero 0
		.amdhsa_exception_fp_ieee_overflow 0
		.amdhsa_exception_fp_ieee_underflow 0
		.amdhsa_exception_fp_ieee_inexact 0
		.amdhsa_exception_int_div_zero 0
	.end_amdhsa_kernel
	.section	.text._ZN7rocprim17ROCPRIM_400000_NS6detail17trampoline_kernelINS0_14default_configENS1_20scan_config_selectorIsEEZZNS1_9scan_implILNS1_25lookback_scan_determinismE0ELb0ELb0ES3_N6thrust23THRUST_200600_302600_NS6detail15normal_iteratorINS9_10device_ptrIsEEEESE_sNS9_4plusIvEEsEEDaPvRmT3_T4_T5_mT6_P12ihipStream_tbENKUlT_T0_E_clISt17integral_constantIbLb1EESU_EEDaSP_SQ_EUlSP_E0_NS1_11comp_targetILNS1_3genE5ELNS1_11target_archE942ELNS1_3gpuE9ELNS1_3repE0EEENS1_30default_config_static_selectorELNS0_4arch9wavefront6targetE1EEEvT1_,"axG",@progbits,_ZN7rocprim17ROCPRIM_400000_NS6detail17trampoline_kernelINS0_14default_configENS1_20scan_config_selectorIsEEZZNS1_9scan_implILNS1_25lookback_scan_determinismE0ELb0ELb0ES3_N6thrust23THRUST_200600_302600_NS6detail15normal_iteratorINS9_10device_ptrIsEEEESE_sNS9_4plusIvEEsEEDaPvRmT3_T4_T5_mT6_P12ihipStream_tbENKUlT_T0_E_clISt17integral_constantIbLb1EESU_EEDaSP_SQ_EUlSP_E0_NS1_11comp_targetILNS1_3genE5ELNS1_11target_archE942ELNS1_3gpuE9ELNS1_3repE0EEENS1_30default_config_static_selectorELNS0_4arch9wavefront6targetE1EEEvT1_,comdat
.Lfunc_end915:
	.size	_ZN7rocprim17ROCPRIM_400000_NS6detail17trampoline_kernelINS0_14default_configENS1_20scan_config_selectorIsEEZZNS1_9scan_implILNS1_25lookback_scan_determinismE0ELb0ELb0ES3_N6thrust23THRUST_200600_302600_NS6detail15normal_iteratorINS9_10device_ptrIsEEEESE_sNS9_4plusIvEEsEEDaPvRmT3_T4_T5_mT6_P12ihipStream_tbENKUlT_T0_E_clISt17integral_constantIbLb1EESU_EEDaSP_SQ_EUlSP_E0_NS1_11comp_targetILNS1_3genE5ELNS1_11target_archE942ELNS1_3gpuE9ELNS1_3repE0EEENS1_30default_config_static_selectorELNS0_4arch9wavefront6targetE1EEEvT1_, .Lfunc_end915-_ZN7rocprim17ROCPRIM_400000_NS6detail17trampoline_kernelINS0_14default_configENS1_20scan_config_selectorIsEEZZNS1_9scan_implILNS1_25lookback_scan_determinismE0ELb0ELb0ES3_N6thrust23THRUST_200600_302600_NS6detail15normal_iteratorINS9_10device_ptrIsEEEESE_sNS9_4plusIvEEsEEDaPvRmT3_T4_T5_mT6_P12ihipStream_tbENKUlT_T0_E_clISt17integral_constantIbLb1EESU_EEDaSP_SQ_EUlSP_E0_NS1_11comp_targetILNS1_3genE5ELNS1_11target_archE942ELNS1_3gpuE9ELNS1_3repE0EEENS1_30default_config_static_selectorELNS0_4arch9wavefront6targetE1EEEvT1_
                                        ; -- End function
	.section	.AMDGPU.csdata,"",@progbits
; Kernel info:
; codeLenInByte = 0
; NumSgprs: 4
; NumVgprs: 0
; NumAgprs: 0
; TotalNumVgprs: 0
; ScratchSize: 0
; MemoryBound: 0
; FloatMode: 240
; IeeeMode: 1
; LDSByteSize: 0 bytes/workgroup (compile time only)
; SGPRBlocks: 0
; VGPRBlocks: 0
; NumSGPRsForWavesPerEU: 4
; NumVGPRsForWavesPerEU: 1
; AccumOffset: 4
; Occupancy: 8
; WaveLimiterHint : 0
; COMPUTE_PGM_RSRC2:SCRATCH_EN: 0
; COMPUTE_PGM_RSRC2:USER_SGPR: 6
; COMPUTE_PGM_RSRC2:TRAP_HANDLER: 0
; COMPUTE_PGM_RSRC2:TGID_X_EN: 1
; COMPUTE_PGM_RSRC2:TGID_Y_EN: 0
; COMPUTE_PGM_RSRC2:TGID_Z_EN: 0
; COMPUTE_PGM_RSRC2:TIDIG_COMP_CNT: 0
; COMPUTE_PGM_RSRC3_GFX90A:ACCUM_OFFSET: 0
; COMPUTE_PGM_RSRC3_GFX90A:TG_SPLIT: 0
	.section	.text._ZN7rocprim17ROCPRIM_400000_NS6detail17trampoline_kernelINS0_14default_configENS1_20scan_config_selectorIsEEZZNS1_9scan_implILNS1_25lookback_scan_determinismE0ELb0ELb0ES3_N6thrust23THRUST_200600_302600_NS6detail15normal_iteratorINS9_10device_ptrIsEEEESE_sNS9_4plusIvEEsEEDaPvRmT3_T4_T5_mT6_P12ihipStream_tbENKUlT_T0_E_clISt17integral_constantIbLb1EESU_EEDaSP_SQ_EUlSP_E0_NS1_11comp_targetILNS1_3genE4ELNS1_11target_archE910ELNS1_3gpuE8ELNS1_3repE0EEENS1_30default_config_static_selectorELNS0_4arch9wavefront6targetE1EEEvT1_,"axG",@progbits,_ZN7rocprim17ROCPRIM_400000_NS6detail17trampoline_kernelINS0_14default_configENS1_20scan_config_selectorIsEEZZNS1_9scan_implILNS1_25lookback_scan_determinismE0ELb0ELb0ES3_N6thrust23THRUST_200600_302600_NS6detail15normal_iteratorINS9_10device_ptrIsEEEESE_sNS9_4plusIvEEsEEDaPvRmT3_T4_T5_mT6_P12ihipStream_tbENKUlT_T0_E_clISt17integral_constantIbLb1EESU_EEDaSP_SQ_EUlSP_E0_NS1_11comp_targetILNS1_3genE4ELNS1_11target_archE910ELNS1_3gpuE8ELNS1_3repE0EEENS1_30default_config_static_selectorELNS0_4arch9wavefront6targetE1EEEvT1_,comdat
	.protected	_ZN7rocprim17ROCPRIM_400000_NS6detail17trampoline_kernelINS0_14default_configENS1_20scan_config_selectorIsEEZZNS1_9scan_implILNS1_25lookback_scan_determinismE0ELb0ELb0ES3_N6thrust23THRUST_200600_302600_NS6detail15normal_iteratorINS9_10device_ptrIsEEEESE_sNS9_4plusIvEEsEEDaPvRmT3_T4_T5_mT6_P12ihipStream_tbENKUlT_T0_E_clISt17integral_constantIbLb1EESU_EEDaSP_SQ_EUlSP_E0_NS1_11comp_targetILNS1_3genE4ELNS1_11target_archE910ELNS1_3gpuE8ELNS1_3repE0EEENS1_30default_config_static_selectorELNS0_4arch9wavefront6targetE1EEEvT1_ ; -- Begin function _ZN7rocprim17ROCPRIM_400000_NS6detail17trampoline_kernelINS0_14default_configENS1_20scan_config_selectorIsEEZZNS1_9scan_implILNS1_25lookback_scan_determinismE0ELb0ELb0ES3_N6thrust23THRUST_200600_302600_NS6detail15normal_iteratorINS9_10device_ptrIsEEEESE_sNS9_4plusIvEEsEEDaPvRmT3_T4_T5_mT6_P12ihipStream_tbENKUlT_T0_E_clISt17integral_constantIbLb1EESU_EEDaSP_SQ_EUlSP_E0_NS1_11comp_targetILNS1_3genE4ELNS1_11target_archE910ELNS1_3gpuE8ELNS1_3repE0EEENS1_30default_config_static_selectorELNS0_4arch9wavefront6targetE1EEEvT1_
	.globl	_ZN7rocprim17ROCPRIM_400000_NS6detail17trampoline_kernelINS0_14default_configENS1_20scan_config_selectorIsEEZZNS1_9scan_implILNS1_25lookback_scan_determinismE0ELb0ELb0ES3_N6thrust23THRUST_200600_302600_NS6detail15normal_iteratorINS9_10device_ptrIsEEEESE_sNS9_4plusIvEEsEEDaPvRmT3_T4_T5_mT6_P12ihipStream_tbENKUlT_T0_E_clISt17integral_constantIbLb1EESU_EEDaSP_SQ_EUlSP_E0_NS1_11comp_targetILNS1_3genE4ELNS1_11target_archE910ELNS1_3gpuE8ELNS1_3repE0EEENS1_30default_config_static_selectorELNS0_4arch9wavefront6targetE1EEEvT1_
	.p2align	8
	.type	_ZN7rocprim17ROCPRIM_400000_NS6detail17trampoline_kernelINS0_14default_configENS1_20scan_config_selectorIsEEZZNS1_9scan_implILNS1_25lookback_scan_determinismE0ELb0ELb0ES3_N6thrust23THRUST_200600_302600_NS6detail15normal_iteratorINS9_10device_ptrIsEEEESE_sNS9_4plusIvEEsEEDaPvRmT3_T4_T5_mT6_P12ihipStream_tbENKUlT_T0_E_clISt17integral_constantIbLb1EESU_EEDaSP_SQ_EUlSP_E0_NS1_11comp_targetILNS1_3genE4ELNS1_11target_archE910ELNS1_3gpuE8ELNS1_3repE0EEENS1_30default_config_static_selectorELNS0_4arch9wavefront6targetE1EEEvT1_,@function
_ZN7rocprim17ROCPRIM_400000_NS6detail17trampoline_kernelINS0_14default_configENS1_20scan_config_selectorIsEEZZNS1_9scan_implILNS1_25lookback_scan_determinismE0ELb0ELb0ES3_N6thrust23THRUST_200600_302600_NS6detail15normal_iteratorINS9_10device_ptrIsEEEESE_sNS9_4plusIvEEsEEDaPvRmT3_T4_T5_mT6_P12ihipStream_tbENKUlT_T0_E_clISt17integral_constantIbLb1EESU_EEDaSP_SQ_EUlSP_E0_NS1_11comp_targetILNS1_3genE4ELNS1_11target_archE910ELNS1_3gpuE8ELNS1_3repE0EEENS1_30default_config_static_selectorELNS0_4arch9wavefront6targetE1EEEvT1_: ; @_ZN7rocprim17ROCPRIM_400000_NS6detail17trampoline_kernelINS0_14default_configENS1_20scan_config_selectorIsEEZZNS1_9scan_implILNS1_25lookback_scan_determinismE0ELb0ELb0ES3_N6thrust23THRUST_200600_302600_NS6detail15normal_iteratorINS9_10device_ptrIsEEEESE_sNS9_4plusIvEEsEEDaPvRmT3_T4_T5_mT6_P12ihipStream_tbENKUlT_T0_E_clISt17integral_constantIbLb1EESU_EEDaSP_SQ_EUlSP_E0_NS1_11comp_targetILNS1_3genE4ELNS1_11target_archE910ELNS1_3gpuE8ELNS1_3repE0EEENS1_30default_config_static_selectorELNS0_4arch9wavefront6targetE1EEEvT1_
; %bb.0:
	s_load_dwordx4 s[52:55], s[4:5], 0x0
	v_mov_b32_e32 v1, 0
	v_lshlrev_b32_e32 v14, 1, v0
	s_waitcnt lgkmcnt(0)
	global_load_ushort v2, v1, s[52:53]
	v_cmp_gt_u32_e32 vcc, s54, v0
	s_waitcnt vmcnt(0)
	v_mov_b32_e32 v3, v2
	s_and_saveexec_b64 s[0:1], vcc
	s_cbranch_execz .LBB916_2
; %bb.1:
	global_load_ushort v3, v14, s[52:53]
.LBB916_2:
	s_or_b64 exec, exec, s[0:1]
	v_or_b32_e32 v1, 64, v0
	v_cmp_gt_u32_e64 s[0:1], s54, v1
	v_mov_b32_e32 v4, v2
	s_and_saveexec_b64 s[2:3], s[0:1]
	s_cbranch_execz .LBB916_4
; %bb.3:
	global_load_ushort v4, v14, s[52:53] offset:128
.LBB916_4:
	s_or_b64 exec, exec, s[2:3]
	v_or_b32_e32 v1, 0x80, v0
	v_cmp_gt_u32_e64 s[2:3], s54, v1
	v_mov_b32_e32 v5, v2
	s_and_saveexec_b64 s[6:7], s[2:3]
	s_cbranch_execz .LBB916_6
; %bb.5:
	global_load_ushort v5, v14, s[52:53] offset:256
.LBB916_6:
	;; [unrolled: 9-line block ×22, first 2 shown]
	s_or_b64 exec, exec, s[46:47]
	v_or_b32_e32 v1, 0x5c0, v0
	v_cmp_gt_u32_e64 s[46:47], s54, v1
	v_cmp_le_u32_e64 s[50:51], s54, v1
	s_and_saveexec_b64 s[54:55], s[50:51]
	s_xor_b64 s[50:51], exec, s[54:55]
; %bb.47:
	v_mov_b32_e32 v1, 0
; %bb.48:
	s_andn2_saveexec_b64 s[50:51], s[50:51]
	s_cbranch_execz .LBB916_50
; %bb.49:
	global_load_ushort v2, v14, s[52:53] offset:2944
	v_mov_b32_e32 v1, 0
.LBB916_50:
	s_or_b64 exec, exec, s[50:51]
	s_waitcnt vmcnt(0)
	ds_write_b16 v14, v3
	ds_write_b16 v14, v4 offset:128
	ds_write_b16 v14, v5 offset:256
	;; [unrolled: 1-line block ×23, first 2 shown]
	v_mad_u32_u24 v6, v0, 46, v14
	s_waitcnt lgkmcnt(0)
	; wave barrier
	s_waitcnt lgkmcnt(0)
	ds_read_b128 v[2:5], v6
	ds_read_b128 v[10:13], v6 offset:16
	ds_read_b128 v[6:9], v6 offset:32
	v_mbcnt_lo_u32_b32 v38, -1, 0
	v_mbcnt_hi_u32_b32 v38, -1, v38
	s_waitcnt lgkmcnt(2)
	v_add_u16_sdwa v15, v2, v2 dst_sel:DWORD dst_unused:UNUSED_PAD src0_sel:WORD_1 src1_sel:DWORD
	v_add_u16_e32 v16, v15, v3
	v_add_u16_sdwa v18, v16, v3 dst_sel:DWORD dst_unused:UNUSED_PAD src0_sel:DWORD src1_sel:WORD_1
	v_add_u16_e32 v20, v18, v4
	v_add_u16_sdwa v22, v20, v4 dst_sel:DWORD dst_unused:UNUSED_PAD src0_sel:DWORD src1_sel:WORD_1
	;; [unrolled: 2-line block ×3, first 2 shown]
	s_waitcnt lgkmcnt(1)
	v_add_u16_e32 v17, v28, v10
	v_add_u16_sdwa v19, v17, v10 dst_sel:DWORD dst_unused:UNUSED_PAD src0_sel:DWORD src1_sel:WORD_1
	v_add_u16_e32 v21, v19, v11
	v_add_u16_sdwa v24, v21, v11 dst_sel:DWORD dst_unused:UNUSED_PAD src0_sel:DWORD src1_sel:WORD_1
	;; [unrolled: 2-line block ×4, first 2 shown]
	s_waitcnt lgkmcnt(0)
	v_add_u16_e32 v23, v34, v6
	v_add_u16_sdwa v26, v23, v6 dst_sel:DWORD dst_unused:UNUSED_PAD src0_sel:DWORD src1_sel:WORD_1
	v_add_u16_e32 v29, v26, v7
	v_add_u16_sdwa v31, v29, v7 dst_sel:DWORD dst_unused:UNUSED_PAD src0_sel:DWORD src1_sel:WORD_1
	;; [unrolled: 2-line block ×4, first 2 shown]
	v_and_b32_e32 v39, 15, v38
	s_load_dwordx2 s[50:51], s[4:5], 0x18
	v_mov_b32_dpp v40, v37 row_shr:1 row_mask:0xf bank_mask:0xf
	v_cmp_ne_u32_e64 s[4:5], 0, v39
	v_cndmask_b32_e64 v40, 0, v40, s[4:5]
	v_add_u16_e32 v40, v40, v37
	v_cmp_lt_u32_e64 s[4:5], 1, v39
	s_waitcnt lgkmcnt(0)
	v_mov_b32_dpp v41, v40 row_shr:2 row_mask:0xf bank_mask:0xf
	v_cndmask_b32_e64 v41, 0, v41, s[4:5]
	v_add_u16_e32 v40, v40, v41
	v_cmp_lt_u32_e64 s[4:5], 3, v39
	; wave barrier
	s_nop 0
	v_mov_b32_dpp v41, v40 row_shr:4 row_mask:0xf bank_mask:0xf
	v_cndmask_b32_e64 v41, 0, v41, s[4:5]
	v_add_u16_e32 v40, v40, v41
	v_cmp_lt_u32_e64 s[4:5], 7, v39
	s_nop 0
	v_mov_b32_dpp v41, v40 row_shr:8 row_mask:0xf bank_mask:0xf
	v_cndmask_b32_e64 v39, 0, v41, s[4:5]
	v_add_u16_e32 v39, v40, v39
	v_and_b32_e32 v41, 16, v38
	v_cmp_ne_u32_e64 s[4:5], 0, v41
	v_mov_b32_dpp v40, v39 row_bcast:15 row_mask:0xf bank_mask:0xf
	v_cndmask_b32_e64 v40, 0, v40, s[4:5]
	v_add_u16_e32 v39, v39, v40
	v_cmp_lt_u32_e64 s[4:5], 31, v38
	s_nop 0
	v_mov_b32_dpp v40, v39 row_bcast:31 row_mask:0xf bank_mask:0xf
	v_cndmask_b32_e64 v40, 0, v40, s[4:5]
	v_add_u16_e32 v39, v39, v40
	v_cmp_eq_u32_e64 s[4:5], 63, v0
	s_and_saveexec_b64 s[52:53], s[4:5]
	s_cbranch_execz .LBB916_52
; %bb.51:
	v_mov_b32_e32 v40, 0
	ds_write_b16 v40, v39
.LBB916_52:
	s_or_b64 exec, exec, s[52:53]
	v_add_u32_e32 v40, -1, v38
	v_and_b32_e32 v41, 64, v38
	v_cmp_lt_i32_e64 s[4:5], v40, v41
	v_cndmask_b32_e64 v38, v40, v38, s[4:5]
	v_lshlrev_b32_e32 v38, 2, v38
	ds_bpermute_b32 v39, v38, v39
	v_mul_u32_u24_e32 v38, 46, v0
	v_cmp_ne_u32_e64 s[4:5], 0, v0
	s_waitcnt lgkmcnt(0)
	; wave barrier
	s_waitcnt lgkmcnt(0)
	s_and_saveexec_b64 s[52:53], s[4:5]
	s_cbranch_execz .LBB916_54
; %bb.53:
	v_add_u16_e32 v39, v2, v39
	v_add_u16_sdwa v15, v39, v2 dst_sel:DWORD dst_unused:UNUSED_PAD src0_sel:DWORD src1_sel:WORD_1
	v_add_u16_e32 v16, v15, v3
	v_add_u16_sdwa v18, v16, v3 dst_sel:DWORD dst_unused:UNUSED_PAD src0_sel:DWORD src1_sel:WORD_1
	;; [unrolled: 2-line block ×12, first 2 shown]
	v_mov_b32_e32 v2, v39
	;;#ASMSTART
	;;#ASMEND
.LBB916_54:
	s_or_b64 exec, exec, s[52:53]
	s_mov_b32 s4, 0x5040100
	v_add_u32_e32 v6, v14, v38
	v_perm_b32 v5, v28, v25, s4
	v_perm_b32 v4, v22, v20, s4
	;; [unrolled: 1-line block ×4, first 2 shown]
	s_waitcnt lgkmcnt(0)
	; wave barrier
	ds_write_b128 v6, v[2:5]
	v_perm_b32 v5, v34, v32, s4
	v_perm_b32 v4, v30, v27, s4
	;; [unrolled: 1-line block ×4, first 2 shown]
	ds_write_b128 v6, v[2:5] offset:16
	v_perm_b32 v5, v37, v36, s4
	v_perm_b32 v4, v35, v33, s4
	;; [unrolled: 1-line block ×4, first 2 shown]
	ds_write_b128 v6, v[2:5] offset:32
	s_waitcnt lgkmcnt(0)
	; wave barrier
	s_waitcnt lgkmcnt(0)
	ds_read_u16 v25, v14 offset:128
	ds_read_u16 v24, v14 offset:256
	;; [unrolled: 1-line block ×23, first 2 shown]
	v_lshlrev_b64 v[0:1], 1, v[0:1]
	v_mov_b32_e32 v26, s51
	v_add_co_u32_e64 v0, s[4:5], s50, v0
	v_addc_co_u32_e64 v1, s[4:5], v26, v1, s[4:5]
	s_and_saveexec_b64 s[4:5], vcc
	s_cbranch_execnz .LBB916_79
; %bb.55:
	s_or_b64 exec, exec, s[4:5]
	s_and_saveexec_b64 s[4:5], s[0:1]
	s_cbranch_execnz .LBB916_80
.LBB916_56:
	s_or_b64 exec, exec, s[4:5]
	s_and_saveexec_b64 s[0:1], s[2:3]
	s_cbranch_execnz .LBB916_81
.LBB916_57:
	s_or_b64 exec, exec, s[0:1]
	s_and_saveexec_b64 s[0:1], s[48:49]
	s_cbranch_execnz .LBB916_82
.LBB916_58:
	s_or_b64 exec, exec, s[0:1]
	s_and_saveexec_b64 s[0:1], s[6:7]
	s_cbranch_execnz .LBB916_83
.LBB916_59:
	s_or_b64 exec, exec, s[0:1]
	s_and_saveexec_b64 s[0:1], s[8:9]
	s_cbranch_execnz .LBB916_84
.LBB916_60:
	s_or_b64 exec, exec, s[0:1]
	s_and_saveexec_b64 s[0:1], s[10:11]
	s_cbranch_execnz .LBB916_85
.LBB916_61:
	s_or_b64 exec, exec, s[0:1]
	s_and_saveexec_b64 s[0:1], s[12:13]
	s_cbranch_execnz .LBB916_86
.LBB916_62:
	s_or_b64 exec, exec, s[0:1]
	s_and_saveexec_b64 s[0:1], s[14:15]
	s_cbranch_execnz .LBB916_87
.LBB916_63:
	s_or_b64 exec, exec, s[0:1]
	s_and_saveexec_b64 s[0:1], s[16:17]
	s_cbranch_execnz .LBB916_88
.LBB916_64:
	s_or_b64 exec, exec, s[0:1]
	s_and_saveexec_b64 s[0:1], s[18:19]
	s_cbranch_execnz .LBB916_89
.LBB916_65:
	s_or_b64 exec, exec, s[0:1]
	s_and_saveexec_b64 s[0:1], s[20:21]
	s_cbranch_execnz .LBB916_90
.LBB916_66:
	s_or_b64 exec, exec, s[0:1]
	s_and_saveexec_b64 s[0:1], s[22:23]
	s_cbranch_execnz .LBB916_91
.LBB916_67:
	s_or_b64 exec, exec, s[0:1]
	s_and_saveexec_b64 s[0:1], s[24:25]
	s_cbranch_execnz .LBB916_92
.LBB916_68:
	s_or_b64 exec, exec, s[0:1]
	s_and_saveexec_b64 s[0:1], s[26:27]
	s_cbranch_execnz .LBB916_93
.LBB916_69:
	s_or_b64 exec, exec, s[0:1]
	s_and_saveexec_b64 s[0:1], s[28:29]
	s_cbranch_execnz .LBB916_94
.LBB916_70:
	s_or_b64 exec, exec, s[0:1]
	s_and_saveexec_b64 s[0:1], s[30:31]
	s_cbranch_execnz .LBB916_95
.LBB916_71:
	s_or_b64 exec, exec, s[0:1]
	s_and_saveexec_b64 s[0:1], s[34:35]
	s_cbranch_execnz .LBB916_96
.LBB916_72:
	s_or_b64 exec, exec, s[0:1]
	s_and_saveexec_b64 s[0:1], s[36:37]
	s_cbranch_execnz .LBB916_97
.LBB916_73:
	s_or_b64 exec, exec, s[0:1]
	s_and_saveexec_b64 s[0:1], s[38:39]
	s_cbranch_execnz .LBB916_98
.LBB916_74:
	s_or_b64 exec, exec, s[0:1]
	s_and_saveexec_b64 s[0:1], s[40:41]
	s_cbranch_execnz .LBB916_99
.LBB916_75:
	s_or_b64 exec, exec, s[0:1]
	s_and_saveexec_b64 s[0:1], s[42:43]
	s_cbranch_execnz .LBB916_100
.LBB916_76:
	s_or_b64 exec, exec, s[0:1]
	s_and_saveexec_b64 s[0:1], s[44:45]
	s_cbranch_execnz .LBB916_101
.LBB916_77:
	s_or_b64 exec, exec, s[0:1]
	s_and_saveexec_b64 s[0:1], s[46:47]
	s_cbranch_execnz .LBB916_102
.LBB916_78:
	s_endpgm
.LBB916_79:
	ds_read_u16 v14, v14
	s_waitcnt lgkmcnt(0)
	global_store_short v[0:1], v14, off
	s_or_b64 exec, exec, s[4:5]
	s_and_saveexec_b64 s[4:5], s[0:1]
	s_cbranch_execz .LBB916_56
.LBB916_80:
	s_waitcnt lgkmcnt(14)
	global_store_short v[0:1], v25, off offset:128
	s_or_b64 exec, exec, s[4:5]
	s_and_saveexec_b64 s[0:1], s[2:3]
	s_cbranch_execz .LBB916_57
.LBB916_81:
	s_waitcnt lgkmcnt(14)
	global_store_short v[0:1], v24, off offset:256
	s_or_b64 exec, exec, s[0:1]
	s_and_saveexec_b64 s[0:1], s[48:49]
	s_cbranch_execz .LBB916_58
.LBB916_82:
	s_waitcnt lgkmcnt(14)
	global_store_short v[0:1], v23, off offset:384
	s_or_b64 exec, exec, s[0:1]
	s_and_saveexec_b64 s[0:1], s[6:7]
	s_cbranch_execz .LBB916_59
.LBB916_83:
	s_waitcnt lgkmcnt(14)
	global_store_short v[0:1], v22, off offset:512
	s_or_b64 exec, exec, s[0:1]
	s_and_saveexec_b64 s[0:1], s[8:9]
	s_cbranch_execz .LBB916_60
.LBB916_84:
	s_waitcnt lgkmcnt(14)
	global_store_short v[0:1], v21, off offset:640
	s_or_b64 exec, exec, s[0:1]
	s_and_saveexec_b64 s[0:1], s[10:11]
	s_cbranch_execz .LBB916_61
.LBB916_85:
	s_waitcnt lgkmcnt(14)
	global_store_short v[0:1], v20, off offset:768
	s_or_b64 exec, exec, s[0:1]
	s_and_saveexec_b64 s[0:1], s[12:13]
	s_cbranch_execz .LBB916_62
.LBB916_86:
	s_waitcnt lgkmcnt(14)
	global_store_short v[0:1], v19, off offset:896
	s_or_b64 exec, exec, s[0:1]
	s_and_saveexec_b64 s[0:1], s[14:15]
	s_cbranch_execz .LBB916_63
.LBB916_87:
	s_waitcnt lgkmcnt(14)
	global_store_short v[0:1], v18, off offset:1024
	s_or_b64 exec, exec, s[0:1]
	s_and_saveexec_b64 s[0:1], s[16:17]
	s_cbranch_execz .LBB916_64
.LBB916_88:
	s_waitcnt lgkmcnt(14)
	global_store_short v[0:1], v17, off offset:1152
	s_or_b64 exec, exec, s[0:1]
	s_and_saveexec_b64 s[0:1], s[18:19]
	s_cbranch_execz .LBB916_65
.LBB916_89:
	s_waitcnt lgkmcnt(13)
	global_store_short v[0:1], v16, off offset:1280
	s_or_b64 exec, exec, s[0:1]
	s_and_saveexec_b64 s[0:1], s[20:21]
	s_cbranch_execz .LBB916_66
.LBB916_90:
	s_waitcnt lgkmcnt(12)
	global_store_short v[0:1], v15, off offset:1408
	s_or_b64 exec, exec, s[0:1]
	s_and_saveexec_b64 s[0:1], s[22:23]
	s_cbranch_execz .LBB916_67
.LBB916_91:
	s_waitcnt lgkmcnt(11)
	global_store_short v[0:1], v13, off offset:1536
	s_or_b64 exec, exec, s[0:1]
	s_and_saveexec_b64 s[0:1], s[24:25]
	s_cbranch_execz .LBB916_68
.LBB916_92:
	s_waitcnt lgkmcnt(10)
	global_store_short v[0:1], v12, off offset:1664
	s_or_b64 exec, exec, s[0:1]
	s_and_saveexec_b64 s[0:1], s[26:27]
	s_cbranch_execz .LBB916_69
.LBB916_93:
	s_waitcnt lgkmcnt(9)
	global_store_short v[0:1], v11, off offset:1792
	s_or_b64 exec, exec, s[0:1]
	s_and_saveexec_b64 s[0:1], s[28:29]
	s_cbranch_execz .LBB916_70
.LBB916_94:
	s_waitcnt lgkmcnt(8)
	global_store_short v[0:1], v10, off offset:1920
	s_or_b64 exec, exec, s[0:1]
	s_and_saveexec_b64 s[0:1], s[30:31]
	s_cbranch_execz .LBB916_71
.LBB916_95:
	s_waitcnt lgkmcnt(7)
	global_store_short v[0:1], v9, off offset:2048
	s_or_b64 exec, exec, s[0:1]
	s_and_saveexec_b64 s[0:1], s[34:35]
	s_cbranch_execz .LBB916_72
.LBB916_96:
	s_waitcnt lgkmcnt(6)
	global_store_short v[0:1], v8, off offset:2176
	s_or_b64 exec, exec, s[0:1]
	s_and_saveexec_b64 s[0:1], s[36:37]
	s_cbranch_execz .LBB916_73
.LBB916_97:
	s_waitcnt lgkmcnt(5)
	global_store_short v[0:1], v7, off offset:2304
	s_or_b64 exec, exec, s[0:1]
	s_and_saveexec_b64 s[0:1], s[38:39]
	s_cbranch_execz .LBB916_74
.LBB916_98:
	s_waitcnt lgkmcnt(4)
	global_store_short v[0:1], v6, off offset:2432
	s_or_b64 exec, exec, s[0:1]
	s_and_saveexec_b64 s[0:1], s[40:41]
	s_cbranch_execz .LBB916_75
.LBB916_99:
	s_waitcnt lgkmcnt(3)
	global_store_short v[0:1], v5, off offset:2560
	s_or_b64 exec, exec, s[0:1]
	s_and_saveexec_b64 s[0:1], s[42:43]
	s_cbranch_execz .LBB916_76
.LBB916_100:
	s_waitcnt lgkmcnt(2)
	global_store_short v[0:1], v4, off offset:2688
	s_or_b64 exec, exec, s[0:1]
	s_and_saveexec_b64 s[0:1], s[44:45]
	s_cbranch_execz .LBB916_77
.LBB916_101:
	s_waitcnt lgkmcnt(1)
	global_store_short v[0:1], v3, off offset:2816
	s_or_b64 exec, exec, s[0:1]
	s_and_saveexec_b64 s[0:1], s[46:47]
	s_cbranch_execz .LBB916_78
.LBB916_102:
	s_waitcnt lgkmcnt(0)
	global_store_short v[0:1], v2, off offset:2944
	s_endpgm
	.section	.rodata,"a",@progbits
	.p2align	6, 0x0
	.amdhsa_kernel _ZN7rocprim17ROCPRIM_400000_NS6detail17trampoline_kernelINS0_14default_configENS1_20scan_config_selectorIsEEZZNS1_9scan_implILNS1_25lookback_scan_determinismE0ELb0ELb0ES3_N6thrust23THRUST_200600_302600_NS6detail15normal_iteratorINS9_10device_ptrIsEEEESE_sNS9_4plusIvEEsEEDaPvRmT3_T4_T5_mT6_P12ihipStream_tbENKUlT_T0_E_clISt17integral_constantIbLb1EESU_EEDaSP_SQ_EUlSP_E0_NS1_11comp_targetILNS1_3genE4ELNS1_11target_archE910ELNS1_3gpuE8ELNS1_3repE0EEENS1_30default_config_static_selectorELNS0_4arch9wavefront6targetE1EEEvT1_
		.amdhsa_group_segment_fixed_size 3072
		.amdhsa_private_segment_fixed_size 0
		.amdhsa_kernarg_size 32
		.amdhsa_user_sgpr_count 6
		.amdhsa_user_sgpr_private_segment_buffer 1
		.amdhsa_user_sgpr_dispatch_ptr 0
		.amdhsa_user_sgpr_queue_ptr 0
		.amdhsa_user_sgpr_kernarg_segment_ptr 1
		.amdhsa_user_sgpr_dispatch_id 0
		.amdhsa_user_sgpr_flat_scratch_init 0
		.amdhsa_user_sgpr_kernarg_preload_length 0
		.amdhsa_user_sgpr_kernarg_preload_offset 0
		.amdhsa_user_sgpr_private_segment_size 0
		.amdhsa_uses_dynamic_stack 0
		.amdhsa_system_sgpr_private_segment_wavefront_offset 0
		.amdhsa_system_sgpr_workgroup_id_x 1
		.amdhsa_system_sgpr_workgroup_id_y 0
		.amdhsa_system_sgpr_workgroup_id_z 0
		.amdhsa_system_sgpr_workgroup_info 0
		.amdhsa_system_vgpr_workitem_id 0
		.amdhsa_next_free_vgpr 42
		.amdhsa_next_free_sgpr 56
		.amdhsa_accum_offset 44
		.amdhsa_reserve_vcc 1
		.amdhsa_reserve_flat_scratch 0
		.amdhsa_float_round_mode_32 0
		.amdhsa_float_round_mode_16_64 0
		.amdhsa_float_denorm_mode_32 3
		.amdhsa_float_denorm_mode_16_64 3
		.amdhsa_dx10_clamp 1
		.amdhsa_ieee_mode 1
		.amdhsa_fp16_overflow 0
		.amdhsa_tg_split 0
		.amdhsa_exception_fp_ieee_invalid_op 0
		.amdhsa_exception_fp_denorm_src 0
		.amdhsa_exception_fp_ieee_div_zero 0
		.amdhsa_exception_fp_ieee_overflow 0
		.amdhsa_exception_fp_ieee_underflow 0
		.amdhsa_exception_fp_ieee_inexact 0
		.amdhsa_exception_int_div_zero 0
	.end_amdhsa_kernel
	.section	.text._ZN7rocprim17ROCPRIM_400000_NS6detail17trampoline_kernelINS0_14default_configENS1_20scan_config_selectorIsEEZZNS1_9scan_implILNS1_25lookback_scan_determinismE0ELb0ELb0ES3_N6thrust23THRUST_200600_302600_NS6detail15normal_iteratorINS9_10device_ptrIsEEEESE_sNS9_4plusIvEEsEEDaPvRmT3_T4_T5_mT6_P12ihipStream_tbENKUlT_T0_E_clISt17integral_constantIbLb1EESU_EEDaSP_SQ_EUlSP_E0_NS1_11comp_targetILNS1_3genE4ELNS1_11target_archE910ELNS1_3gpuE8ELNS1_3repE0EEENS1_30default_config_static_selectorELNS0_4arch9wavefront6targetE1EEEvT1_,"axG",@progbits,_ZN7rocprim17ROCPRIM_400000_NS6detail17trampoline_kernelINS0_14default_configENS1_20scan_config_selectorIsEEZZNS1_9scan_implILNS1_25lookback_scan_determinismE0ELb0ELb0ES3_N6thrust23THRUST_200600_302600_NS6detail15normal_iteratorINS9_10device_ptrIsEEEESE_sNS9_4plusIvEEsEEDaPvRmT3_T4_T5_mT6_P12ihipStream_tbENKUlT_T0_E_clISt17integral_constantIbLb1EESU_EEDaSP_SQ_EUlSP_E0_NS1_11comp_targetILNS1_3genE4ELNS1_11target_archE910ELNS1_3gpuE8ELNS1_3repE0EEENS1_30default_config_static_selectorELNS0_4arch9wavefront6targetE1EEEvT1_,comdat
.Lfunc_end916:
	.size	_ZN7rocprim17ROCPRIM_400000_NS6detail17trampoline_kernelINS0_14default_configENS1_20scan_config_selectorIsEEZZNS1_9scan_implILNS1_25lookback_scan_determinismE0ELb0ELb0ES3_N6thrust23THRUST_200600_302600_NS6detail15normal_iteratorINS9_10device_ptrIsEEEESE_sNS9_4plusIvEEsEEDaPvRmT3_T4_T5_mT6_P12ihipStream_tbENKUlT_T0_E_clISt17integral_constantIbLb1EESU_EEDaSP_SQ_EUlSP_E0_NS1_11comp_targetILNS1_3genE4ELNS1_11target_archE910ELNS1_3gpuE8ELNS1_3repE0EEENS1_30default_config_static_selectorELNS0_4arch9wavefront6targetE1EEEvT1_, .Lfunc_end916-_ZN7rocprim17ROCPRIM_400000_NS6detail17trampoline_kernelINS0_14default_configENS1_20scan_config_selectorIsEEZZNS1_9scan_implILNS1_25lookback_scan_determinismE0ELb0ELb0ES3_N6thrust23THRUST_200600_302600_NS6detail15normal_iteratorINS9_10device_ptrIsEEEESE_sNS9_4plusIvEEsEEDaPvRmT3_T4_T5_mT6_P12ihipStream_tbENKUlT_T0_E_clISt17integral_constantIbLb1EESU_EEDaSP_SQ_EUlSP_E0_NS1_11comp_targetILNS1_3genE4ELNS1_11target_archE910ELNS1_3gpuE8ELNS1_3repE0EEENS1_30default_config_static_selectorELNS0_4arch9wavefront6targetE1EEEvT1_
                                        ; -- End function
	.section	.AMDGPU.csdata,"",@progbits
; Kernel info:
; codeLenInByte = 3068
; NumSgprs: 60
; NumVgprs: 42
; NumAgprs: 0
; TotalNumVgprs: 42
; ScratchSize: 0
; MemoryBound: 0
; FloatMode: 240
; IeeeMode: 1
; LDSByteSize: 3072 bytes/workgroup (compile time only)
; SGPRBlocks: 7
; VGPRBlocks: 5
; NumSGPRsForWavesPerEU: 60
; NumVGPRsForWavesPerEU: 42
; AccumOffset: 44
; Occupancy: 6
; WaveLimiterHint : 0
; COMPUTE_PGM_RSRC2:SCRATCH_EN: 0
; COMPUTE_PGM_RSRC2:USER_SGPR: 6
; COMPUTE_PGM_RSRC2:TRAP_HANDLER: 0
; COMPUTE_PGM_RSRC2:TGID_X_EN: 1
; COMPUTE_PGM_RSRC2:TGID_Y_EN: 0
; COMPUTE_PGM_RSRC2:TGID_Z_EN: 0
; COMPUTE_PGM_RSRC2:TIDIG_COMP_CNT: 0
; COMPUTE_PGM_RSRC3_GFX90A:ACCUM_OFFSET: 10
; COMPUTE_PGM_RSRC3_GFX90A:TG_SPLIT: 0
	.section	.text._ZN7rocprim17ROCPRIM_400000_NS6detail17trampoline_kernelINS0_14default_configENS1_20scan_config_selectorIsEEZZNS1_9scan_implILNS1_25lookback_scan_determinismE0ELb0ELb0ES3_N6thrust23THRUST_200600_302600_NS6detail15normal_iteratorINS9_10device_ptrIsEEEESE_sNS9_4plusIvEEsEEDaPvRmT3_T4_T5_mT6_P12ihipStream_tbENKUlT_T0_E_clISt17integral_constantIbLb1EESU_EEDaSP_SQ_EUlSP_E0_NS1_11comp_targetILNS1_3genE3ELNS1_11target_archE908ELNS1_3gpuE7ELNS1_3repE0EEENS1_30default_config_static_selectorELNS0_4arch9wavefront6targetE1EEEvT1_,"axG",@progbits,_ZN7rocprim17ROCPRIM_400000_NS6detail17trampoline_kernelINS0_14default_configENS1_20scan_config_selectorIsEEZZNS1_9scan_implILNS1_25lookback_scan_determinismE0ELb0ELb0ES3_N6thrust23THRUST_200600_302600_NS6detail15normal_iteratorINS9_10device_ptrIsEEEESE_sNS9_4plusIvEEsEEDaPvRmT3_T4_T5_mT6_P12ihipStream_tbENKUlT_T0_E_clISt17integral_constantIbLb1EESU_EEDaSP_SQ_EUlSP_E0_NS1_11comp_targetILNS1_3genE3ELNS1_11target_archE908ELNS1_3gpuE7ELNS1_3repE0EEENS1_30default_config_static_selectorELNS0_4arch9wavefront6targetE1EEEvT1_,comdat
	.protected	_ZN7rocprim17ROCPRIM_400000_NS6detail17trampoline_kernelINS0_14default_configENS1_20scan_config_selectorIsEEZZNS1_9scan_implILNS1_25lookback_scan_determinismE0ELb0ELb0ES3_N6thrust23THRUST_200600_302600_NS6detail15normal_iteratorINS9_10device_ptrIsEEEESE_sNS9_4plusIvEEsEEDaPvRmT3_T4_T5_mT6_P12ihipStream_tbENKUlT_T0_E_clISt17integral_constantIbLb1EESU_EEDaSP_SQ_EUlSP_E0_NS1_11comp_targetILNS1_3genE3ELNS1_11target_archE908ELNS1_3gpuE7ELNS1_3repE0EEENS1_30default_config_static_selectorELNS0_4arch9wavefront6targetE1EEEvT1_ ; -- Begin function _ZN7rocprim17ROCPRIM_400000_NS6detail17trampoline_kernelINS0_14default_configENS1_20scan_config_selectorIsEEZZNS1_9scan_implILNS1_25lookback_scan_determinismE0ELb0ELb0ES3_N6thrust23THRUST_200600_302600_NS6detail15normal_iteratorINS9_10device_ptrIsEEEESE_sNS9_4plusIvEEsEEDaPvRmT3_T4_T5_mT6_P12ihipStream_tbENKUlT_T0_E_clISt17integral_constantIbLb1EESU_EEDaSP_SQ_EUlSP_E0_NS1_11comp_targetILNS1_3genE3ELNS1_11target_archE908ELNS1_3gpuE7ELNS1_3repE0EEENS1_30default_config_static_selectorELNS0_4arch9wavefront6targetE1EEEvT1_
	.globl	_ZN7rocprim17ROCPRIM_400000_NS6detail17trampoline_kernelINS0_14default_configENS1_20scan_config_selectorIsEEZZNS1_9scan_implILNS1_25lookback_scan_determinismE0ELb0ELb0ES3_N6thrust23THRUST_200600_302600_NS6detail15normal_iteratorINS9_10device_ptrIsEEEESE_sNS9_4plusIvEEsEEDaPvRmT3_T4_T5_mT6_P12ihipStream_tbENKUlT_T0_E_clISt17integral_constantIbLb1EESU_EEDaSP_SQ_EUlSP_E0_NS1_11comp_targetILNS1_3genE3ELNS1_11target_archE908ELNS1_3gpuE7ELNS1_3repE0EEENS1_30default_config_static_selectorELNS0_4arch9wavefront6targetE1EEEvT1_
	.p2align	8
	.type	_ZN7rocprim17ROCPRIM_400000_NS6detail17trampoline_kernelINS0_14default_configENS1_20scan_config_selectorIsEEZZNS1_9scan_implILNS1_25lookback_scan_determinismE0ELb0ELb0ES3_N6thrust23THRUST_200600_302600_NS6detail15normal_iteratorINS9_10device_ptrIsEEEESE_sNS9_4plusIvEEsEEDaPvRmT3_T4_T5_mT6_P12ihipStream_tbENKUlT_T0_E_clISt17integral_constantIbLb1EESU_EEDaSP_SQ_EUlSP_E0_NS1_11comp_targetILNS1_3genE3ELNS1_11target_archE908ELNS1_3gpuE7ELNS1_3repE0EEENS1_30default_config_static_selectorELNS0_4arch9wavefront6targetE1EEEvT1_,@function
_ZN7rocprim17ROCPRIM_400000_NS6detail17trampoline_kernelINS0_14default_configENS1_20scan_config_selectorIsEEZZNS1_9scan_implILNS1_25lookback_scan_determinismE0ELb0ELb0ES3_N6thrust23THRUST_200600_302600_NS6detail15normal_iteratorINS9_10device_ptrIsEEEESE_sNS9_4plusIvEEsEEDaPvRmT3_T4_T5_mT6_P12ihipStream_tbENKUlT_T0_E_clISt17integral_constantIbLb1EESU_EEDaSP_SQ_EUlSP_E0_NS1_11comp_targetILNS1_3genE3ELNS1_11target_archE908ELNS1_3gpuE7ELNS1_3repE0EEENS1_30default_config_static_selectorELNS0_4arch9wavefront6targetE1EEEvT1_: ; @_ZN7rocprim17ROCPRIM_400000_NS6detail17trampoline_kernelINS0_14default_configENS1_20scan_config_selectorIsEEZZNS1_9scan_implILNS1_25lookback_scan_determinismE0ELb0ELb0ES3_N6thrust23THRUST_200600_302600_NS6detail15normal_iteratorINS9_10device_ptrIsEEEESE_sNS9_4plusIvEEsEEDaPvRmT3_T4_T5_mT6_P12ihipStream_tbENKUlT_T0_E_clISt17integral_constantIbLb1EESU_EEDaSP_SQ_EUlSP_E0_NS1_11comp_targetILNS1_3genE3ELNS1_11target_archE908ELNS1_3gpuE7ELNS1_3repE0EEENS1_30default_config_static_selectorELNS0_4arch9wavefront6targetE1EEEvT1_
; %bb.0:
	.section	.rodata,"a",@progbits
	.p2align	6, 0x0
	.amdhsa_kernel _ZN7rocprim17ROCPRIM_400000_NS6detail17trampoline_kernelINS0_14default_configENS1_20scan_config_selectorIsEEZZNS1_9scan_implILNS1_25lookback_scan_determinismE0ELb0ELb0ES3_N6thrust23THRUST_200600_302600_NS6detail15normal_iteratorINS9_10device_ptrIsEEEESE_sNS9_4plusIvEEsEEDaPvRmT3_T4_T5_mT6_P12ihipStream_tbENKUlT_T0_E_clISt17integral_constantIbLb1EESU_EEDaSP_SQ_EUlSP_E0_NS1_11comp_targetILNS1_3genE3ELNS1_11target_archE908ELNS1_3gpuE7ELNS1_3repE0EEENS1_30default_config_static_selectorELNS0_4arch9wavefront6targetE1EEEvT1_
		.amdhsa_group_segment_fixed_size 0
		.amdhsa_private_segment_fixed_size 0
		.amdhsa_kernarg_size 32
		.amdhsa_user_sgpr_count 6
		.amdhsa_user_sgpr_private_segment_buffer 1
		.amdhsa_user_sgpr_dispatch_ptr 0
		.amdhsa_user_sgpr_queue_ptr 0
		.amdhsa_user_sgpr_kernarg_segment_ptr 1
		.amdhsa_user_sgpr_dispatch_id 0
		.amdhsa_user_sgpr_flat_scratch_init 0
		.amdhsa_user_sgpr_kernarg_preload_length 0
		.amdhsa_user_sgpr_kernarg_preload_offset 0
		.amdhsa_user_sgpr_private_segment_size 0
		.amdhsa_uses_dynamic_stack 0
		.amdhsa_system_sgpr_private_segment_wavefront_offset 0
		.amdhsa_system_sgpr_workgroup_id_x 1
		.amdhsa_system_sgpr_workgroup_id_y 0
		.amdhsa_system_sgpr_workgroup_id_z 0
		.amdhsa_system_sgpr_workgroup_info 0
		.amdhsa_system_vgpr_workitem_id 0
		.amdhsa_next_free_vgpr 1
		.amdhsa_next_free_sgpr 0
		.amdhsa_accum_offset 4
		.amdhsa_reserve_vcc 0
		.amdhsa_reserve_flat_scratch 0
		.amdhsa_float_round_mode_32 0
		.amdhsa_float_round_mode_16_64 0
		.amdhsa_float_denorm_mode_32 3
		.amdhsa_float_denorm_mode_16_64 3
		.amdhsa_dx10_clamp 1
		.amdhsa_ieee_mode 1
		.amdhsa_fp16_overflow 0
		.amdhsa_tg_split 0
		.amdhsa_exception_fp_ieee_invalid_op 0
		.amdhsa_exception_fp_denorm_src 0
		.amdhsa_exception_fp_ieee_div_zero 0
		.amdhsa_exception_fp_ieee_overflow 0
		.amdhsa_exception_fp_ieee_underflow 0
		.amdhsa_exception_fp_ieee_inexact 0
		.amdhsa_exception_int_div_zero 0
	.end_amdhsa_kernel
	.section	.text._ZN7rocprim17ROCPRIM_400000_NS6detail17trampoline_kernelINS0_14default_configENS1_20scan_config_selectorIsEEZZNS1_9scan_implILNS1_25lookback_scan_determinismE0ELb0ELb0ES3_N6thrust23THRUST_200600_302600_NS6detail15normal_iteratorINS9_10device_ptrIsEEEESE_sNS9_4plusIvEEsEEDaPvRmT3_T4_T5_mT6_P12ihipStream_tbENKUlT_T0_E_clISt17integral_constantIbLb1EESU_EEDaSP_SQ_EUlSP_E0_NS1_11comp_targetILNS1_3genE3ELNS1_11target_archE908ELNS1_3gpuE7ELNS1_3repE0EEENS1_30default_config_static_selectorELNS0_4arch9wavefront6targetE1EEEvT1_,"axG",@progbits,_ZN7rocprim17ROCPRIM_400000_NS6detail17trampoline_kernelINS0_14default_configENS1_20scan_config_selectorIsEEZZNS1_9scan_implILNS1_25lookback_scan_determinismE0ELb0ELb0ES3_N6thrust23THRUST_200600_302600_NS6detail15normal_iteratorINS9_10device_ptrIsEEEESE_sNS9_4plusIvEEsEEDaPvRmT3_T4_T5_mT6_P12ihipStream_tbENKUlT_T0_E_clISt17integral_constantIbLb1EESU_EEDaSP_SQ_EUlSP_E0_NS1_11comp_targetILNS1_3genE3ELNS1_11target_archE908ELNS1_3gpuE7ELNS1_3repE0EEENS1_30default_config_static_selectorELNS0_4arch9wavefront6targetE1EEEvT1_,comdat
.Lfunc_end917:
	.size	_ZN7rocprim17ROCPRIM_400000_NS6detail17trampoline_kernelINS0_14default_configENS1_20scan_config_selectorIsEEZZNS1_9scan_implILNS1_25lookback_scan_determinismE0ELb0ELb0ES3_N6thrust23THRUST_200600_302600_NS6detail15normal_iteratorINS9_10device_ptrIsEEEESE_sNS9_4plusIvEEsEEDaPvRmT3_T4_T5_mT6_P12ihipStream_tbENKUlT_T0_E_clISt17integral_constantIbLb1EESU_EEDaSP_SQ_EUlSP_E0_NS1_11comp_targetILNS1_3genE3ELNS1_11target_archE908ELNS1_3gpuE7ELNS1_3repE0EEENS1_30default_config_static_selectorELNS0_4arch9wavefront6targetE1EEEvT1_, .Lfunc_end917-_ZN7rocprim17ROCPRIM_400000_NS6detail17trampoline_kernelINS0_14default_configENS1_20scan_config_selectorIsEEZZNS1_9scan_implILNS1_25lookback_scan_determinismE0ELb0ELb0ES3_N6thrust23THRUST_200600_302600_NS6detail15normal_iteratorINS9_10device_ptrIsEEEESE_sNS9_4plusIvEEsEEDaPvRmT3_T4_T5_mT6_P12ihipStream_tbENKUlT_T0_E_clISt17integral_constantIbLb1EESU_EEDaSP_SQ_EUlSP_E0_NS1_11comp_targetILNS1_3genE3ELNS1_11target_archE908ELNS1_3gpuE7ELNS1_3repE0EEENS1_30default_config_static_selectorELNS0_4arch9wavefront6targetE1EEEvT1_
                                        ; -- End function
	.section	.AMDGPU.csdata,"",@progbits
; Kernel info:
; codeLenInByte = 0
; NumSgprs: 4
; NumVgprs: 0
; NumAgprs: 0
; TotalNumVgprs: 0
; ScratchSize: 0
; MemoryBound: 0
; FloatMode: 240
; IeeeMode: 1
; LDSByteSize: 0 bytes/workgroup (compile time only)
; SGPRBlocks: 0
; VGPRBlocks: 0
; NumSGPRsForWavesPerEU: 4
; NumVGPRsForWavesPerEU: 1
; AccumOffset: 4
; Occupancy: 8
; WaveLimiterHint : 0
; COMPUTE_PGM_RSRC2:SCRATCH_EN: 0
; COMPUTE_PGM_RSRC2:USER_SGPR: 6
; COMPUTE_PGM_RSRC2:TRAP_HANDLER: 0
; COMPUTE_PGM_RSRC2:TGID_X_EN: 1
; COMPUTE_PGM_RSRC2:TGID_Y_EN: 0
; COMPUTE_PGM_RSRC2:TGID_Z_EN: 0
; COMPUTE_PGM_RSRC2:TIDIG_COMP_CNT: 0
; COMPUTE_PGM_RSRC3_GFX90A:ACCUM_OFFSET: 0
; COMPUTE_PGM_RSRC3_GFX90A:TG_SPLIT: 0
	.section	.text._ZN7rocprim17ROCPRIM_400000_NS6detail17trampoline_kernelINS0_14default_configENS1_20scan_config_selectorIsEEZZNS1_9scan_implILNS1_25lookback_scan_determinismE0ELb0ELb0ES3_N6thrust23THRUST_200600_302600_NS6detail15normal_iteratorINS9_10device_ptrIsEEEESE_sNS9_4plusIvEEsEEDaPvRmT3_T4_T5_mT6_P12ihipStream_tbENKUlT_T0_E_clISt17integral_constantIbLb1EESU_EEDaSP_SQ_EUlSP_E0_NS1_11comp_targetILNS1_3genE2ELNS1_11target_archE906ELNS1_3gpuE6ELNS1_3repE0EEENS1_30default_config_static_selectorELNS0_4arch9wavefront6targetE1EEEvT1_,"axG",@progbits,_ZN7rocprim17ROCPRIM_400000_NS6detail17trampoline_kernelINS0_14default_configENS1_20scan_config_selectorIsEEZZNS1_9scan_implILNS1_25lookback_scan_determinismE0ELb0ELb0ES3_N6thrust23THRUST_200600_302600_NS6detail15normal_iteratorINS9_10device_ptrIsEEEESE_sNS9_4plusIvEEsEEDaPvRmT3_T4_T5_mT6_P12ihipStream_tbENKUlT_T0_E_clISt17integral_constantIbLb1EESU_EEDaSP_SQ_EUlSP_E0_NS1_11comp_targetILNS1_3genE2ELNS1_11target_archE906ELNS1_3gpuE6ELNS1_3repE0EEENS1_30default_config_static_selectorELNS0_4arch9wavefront6targetE1EEEvT1_,comdat
	.protected	_ZN7rocprim17ROCPRIM_400000_NS6detail17trampoline_kernelINS0_14default_configENS1_20scan_config_selectorIsEEZZNS1_9scan_implILNS1_25lookback_scan_determinismE0ELb0ELb0ES3_N6thrust23THRUST_200600_302600_NS6detail15normal_iteratorINS9_10device_ptrIsEEEESE_sNS9_4plusIvEEsEEDaPvRmT3_T4_T5_mT6_P12ihipStream_tbENKUlT_T0_E_clISt17integral_constantIbLb1EESU_EEDaSP_SQ_EUlSP_E0_NS1_11comp_targetILNS1_3genE2ELNS1_11target_archE906ELNS1_3gpuE6ELNS1_3repE0EEENS1_30default_config_static_selectorELNS0_4arch9wavefront6targetE1EEEvT1_ ; -- Begin function _ZN7rocprim17ROCPRIM_400000_NS6detail17trampoline_kernelINS0_14default_configENS1_20scan_config_selectorIsEEZZNS1_9scan_implILNS1_25lookback_scan_determinismE0ELb0ELb0ES3_N6thrust23THRUST_200600_302600_NS6detail15normal_iteratorINS9_10device_ptrIsEEEESE_sNS9_4plusIvEEsEEDaPvRmT3_T4_T5_mT6_P12ihipStream_tbENKUlT_T0_E_clISt17integral_constantIbLb1EESU_EEDaSP_SQ_EUlSP_E0_NS1_11comp_targetILNS1_3genE2ELNS1_11target_archE906ELNS1_3gpuE6ELNS1_3repE0EEENS1_30default_config_static_selectorELNS0_4arch9wavefront6targetE1EEEvT1_
	.globl	_ZN7rocprim17ROCPRIM_400000_NS6detail17trampoline_kernelINS0_14default_configENS1_20scan_config_selectorIsEEZZNS1_9scan_implILNS1_25lookback_scan_determinismE0ELb0ELb0ES3_N6thrust23THRUST_200600_302600_NS6detail15normal_iteratorINS9_10device_ptrIsEEEESE_sNS9_4plusIvEEsEEDaPvRmT3_T4_T5_mT6_P12ihipStream_tbENKUlT_T0_E_clISt17integral_constantIbLb1EESU_EEDaSP_SQ_EUlSP_E0_NS1_11comp_targetILNS1_3genE2ELNS1_11target_archE906ELNS1_3gpuE6ELNS1_3repE0EEENS1_30default_config_static_selectorELNS0_4arch9wavefront6targetE1EEEvT1_
	.p2align	8
	.type	_ZN7rocprim17ROCPRIM_400000_NS6detail17trampoline_kernelINS0_14default_configENS1_20scan_config_selectorIsEEZZNS1_9scan_implILNS1_25lookback_scan_determinismE0ELb0ELb0ES3_N6thrust23THRUST_200600_302600_NS6detail15normal_iteratorINS9_10device_ptrIsEEEESE_sNS9_4plusIvEEsEEDaPvRmT3_T4_T5_mT6_P12ihipStream_tbENKUlT_T0_E_clISt17integral_constantIbLb1EESU_EEDaSP_SQ_EUlSP_E0_NS1_11comp_targetILNS1_3genE2ELNS1_11target_archE906ELNS1_3gpuE6ELNS1_3repE0EEENS1_30default_config_static_selectorELNS0_4arch9wavefront6targetE1EEEvT1_,@function
_ZN7rocprim17ROCPRIM_400000_NS6detail17trampoline_kernelINS0_14default_configENS1_20scan_config_selectorIsEEZZNS1_9scan_implILNS1_25lookback_scan_determinismE0ELb0ELb0ES3_N6thrust23THRUST_200600_302600_NS6detail15normal_iteratorINS9_10device_ptrIsEEEESE_sNS9_4plusIvEEsEEDaPvRmT3_T4_T5_mT6_P12ihipStream_tbENKUlT_T0_E_clISt17integral_constantIbLb1EESU_EEDaSP_SQ_EUlSP_E0_NS1_11comp_targetILNS1_3genE2ELNS1_11target_archE906ELNS1_3gpuE6ELNS1_3repE0EEENS1_30default_config_static_selectorELNS0_4arch9wavefront6targetE1EEEvT1_: ; @_ZN7rocprim17ROCPRIM_400000_NS6detail17trampoline_kernelINS0_14default_configENS1_20scan_config_selectorIsEEZZNS1_9scan_implILNS1_25lookback_scan_determinismE0ELb0ELb0ES3_N6thrust23THRUST_200600_302600_NS6detail15normal_iteratorINS9_10device_ptrIsEEEESE_sNS9_4plusIvEEsEEDaPvRmT3_T4_T5_mT6_P12ihipStream_tbENKUlT_T0_E_clISt17integral_constantIbLb1EESU_EEDaSP_SQ_EUlSP_E0_NS1_11comp_targetILNS1_3genE2ELNS1_11target_archE906ELNS1_3gpuE6ELNS1_3repE0EEENS1_30default_config_static_selectorELNS0_4arch9wavefront6targetE1EEEvT1_
; %bb.0:
	.section	.rodata,"a",@progbits
	.p2align	6, 0x0
	.amdhsa_kernel _ZN7rocprim17ROCPRIM_400000_NS6detail17trampoline_kernelINS0_14default_configENS1_20scan_config_selectorIsEEZZNS1_9scan_implILNS1_25lookback_scan_determinismE0ELb0ELb0ES3_N6thrust23THRUST_200600_302600_NS6detail15normal_iteratorINS9_10device_ptrIsEEEESE_sNS9_4plusIvEEsEEDaPvRmT3_T4_T5_mT6_P12ihipStream_tbENKUlT_T0_E_clISt17integral_constantIbLb1EESU_EEDaSP_SQ_EUlSP_E0_NS1_11comp_targetILNS1_3genE2ELNS1_11target_archE906ELNS1_3gpuE6ELNS1_3repE0EEENS1_30default_config_static_selectorELNS0_4arch9wavefront6targetE1EEEvT1_
		.amdhsa_group_segment_fixed_size 0
		.amdhsa_private_segment_fixed_size 0
		.amdhsa_kernarg_size 32
		.amdhsa_user_sgpr_count 6
		.amdhsa_user_sgpr_private_segment_buffer 1
		.amdhsa_user_sgpr_dispatch_ptr 0
		.amdhsa_user_sgpr_queue_ptr 0
		.amdhsa_user_sgpr_kernarg_segment_ptr 1
		.amdhsa_user_sgpr_dispatch_id 0
		.amdhsa_user_sgpr_flat_scratch_init 0
		.amdhsa_user_sgpr_kernarg_preload_length 0
		.amdhsa_user_sgpr_kernarg_preload_offset 0
		.amdhsa_user_sgpr_private_segment_size 0
		.amdhsa_uses_dynamic_stack 0
		.amdhsa_system_sgpr_private_segment_wavefront_offset 0
		.amdhsa_system_sgpr_workgroup_id_x 1
		.amdhsa_system_sgpr_workgroup_id_y 0
		.amdhsa_system_sgpr_workgroup_id_z 0
		.amdhsa_system_sgpr_workgroup_info 0
		.amdhsa_system_vgpr_workitem_id 0
		.amdhsa_next_free_vgpr 1
		.amdhsa_next_free_sgpr 0
		.amdhsa_accum_offset 4
		.amdhsa_reserve_vcc 0
		.amdhsa_reserve_flat_scratch 0
		.amdhsa_float_round_mode_32 0
		.amdhsa_float_round_mode_16_64 0
		.amdhsa_float_denorm_mode_32 3
		.amdhsa_float_denorm_mode_16_64 3
		.amdhsa_dx10_clamp 1
		.amdhsa_ieee_mode 1
		.amdhsa_fp16_overflow 0
		.amdhsa_tg_split 0
		.amdhsa_exception_fp_ieee_invalid_op 0
		.amdhsa_exception_fp_denorm_src 0
		.amdhsa_exception_fp_ieee_div_zero 0
		.amdhsa_exception_fp_ieee_overflow 0
		.amdhsa_exception_fp_ieee_underflow 0
		.amdhsa_exception_fp_ieee_inexact 0
		.amdhsa_exception_int_div_zero 0
	.end_amdhsa_kernel
	.section	.text._ZN7rocprim17ROCPRIM_400000_NS6detail17trampoline_kernelINS0_14default_configENS1_20scan_config_selectorIsEEZZNS1_9scan_implILNS1_25lookback_scan_determinismE0ELb0ELb0ES3_N6thrust23THRUST_200600_302600_NS6detail15normal_iteratorINS9_10device_ptrIsEEEESE_sNS9_4plusIvEEsEEDaPvRmT3_T4_T5_mT6_P12ihipStream_tbENKUlT_T0_E_clISt17integral_constantIbLb1EESU_EEDaSP_SQ_EUlSP_E0_NS1_11comp_targetILNS1_3genE2ELNS1_11target_archE906ELNS1_3gpuE6ELNS1_3repE0EEENS1_30default_config_static_selectorELNS0_4arch9wavefront6targetE1EEEvT1_,"axG",@progbits,_ZN7rocprim17ROCPRIM_400000_NS6detail17trampoline_kernelINS0_14default_configENS1_20scan_config_selectorIsEEZZNS1_9scan_implILNS1_25lookback_scan_determinismE0ELb0ELb0ES3_N6thrust23THRUST_200600_302600_NS6detail15normal_iteratorINS9_10device_ptrIsEEEESE_sNS9_4plusIvEEsEEDaPvRmT3_T4_T5_mT6_P12ihipStream_tbENKUlT_T0_E_clISt17integral_constantIbLb1EESU_EEDaSP_SQ_EUlSP_E0_NS1_11comp_targetILNS1_3genE2ELNS1_11target_archE906ELNS1_3gpuE6ELNS1_3repE0EEENS1_30default_config_static_selectorELNS0_4arch9wavefront6targetE1EEEvT1_,comdat
.Lfunc_end918:
	.size	_ZN7rocprim17ROCPRIM_400000_NS6detail17trampoline_kernelINS0_14default_configENS1_20scan_config_selectorIsEEZZNS1_9scan_implILNS1_25lookback_scan_determinismE0ELb0ELb0ES3_N6thrust23THRUST_200600_302600_NS6detail15normal_iteratorINS9_10device_ptrIsEEEESE_sNS9_4plusIvEEsEEDaPvRmT3_T4_T5_mT6_P12ihipStream_tbENKUlT_T0_E_clISt17integral_constantIbLb1EESU_EEDaSP_SQ_EUlSP_E0_NS1_11comp_targetILNS1_3genE2ELNS1_11target_archE906ELNS1_3gpuE6ELNS1_3repE0EEENS1_30default_config_static_selectorELNS0_4arch9wavefront6targetE1EEEvT1_, .Lfunc_end918-_ZN7rocprim17ROCPRIM_400000_NS6detail17trampoline_kernelINS0_14default_configENS1_20scan_config_selectorIsEEZZNS1_9scan_implILNS1_25lookback_scan_determinismE0ELb0ELb0ES3_N6thrust23THRUST_200600_302600_NS6detail15normal_iteratorINS9_10device_ptrIsEEEESE_sNS9_4plusIvEEsEEDaPvRmT3_T4_T5_mT6_P12ihipStream_tbENKUlT_T0_E_clISt17integral_constantIbLb1EESU_EEDaSP_SQ_EUlSP_E0_NS1_11comp_targetILNS1_3genE2ELNS1_11target_archE906ELNS1_3gpuE6ELNS1_3repE0EEENS1_30default_config_static_selectorELNS0_4arch9wavefront6targetE1EEEvT1_
                                        ; -- End function
	.section	.AMDGPU.csdata,"",@progbits
; Kernel info:
; codeLenInByte = 0
; NumSgprs: 4
; NumVgprs: 0
; NumAgprs: 0
; TotalNumVgprs: 0
; ScratchSize: 0
; MemoryBound: 0
; FloatMode: 240
; IeeeMode: 1
; LDSByteSize: 0 bytes/workgroup (compile time only)
; SGPRBlocks: 0
; VGPRBlocks: 0
; NumSGPRsForWavesPerEU: 4
; NumVGPRsForWavesPerEU: 1
; AccumOffset: 4
; Occupancy: 8
; WaveLimiterHint : 0
; COMPUTE_PGM_RSRC2:SCRATCH_EN: 0
; COMPUTE_PGM_RSRC2:USER_SGPR: 6
; COMPUTE_PGM_RSRC2:TRAP_HANDLER: 0
; COMPUTE_PGM_RSRC2:TGID_X_EN: 1
; COMPUTE_PGM_RSRC2:TGID_Y_EN: 0
; COMPUTE_PGM_RSRC2:TGID_Z_EN: 0
; COMPUTE_PGM_RSRC2:TIDIG_COMP_CNT: 0
; COMPUTE_PGM_RSRC3_GFX90A:ACCUM_OFFSET: 0
; COMPUTE_PGM_RSRC3_GFX90A:TG_SPLIT: 0
	.section	.text._ZN7rocprim17ROCPRIM_400000_NS6detail17trampoline_kernelINS0_14default_configENS1_20scan_config_selectorIsEEZZNS1_9scan_implILNS1_25lookback_scan_determinismE0ELb0ELb0ES3_N6thrust23THRUST_200600_302600_NS6detail15normal_iteratorINS9_10device_ptrIsEEEESE_sNS9_4plusIvEEsEEDaPvRmT3_T4_T5_mT6_P12ihipStream_tbENKUlT_T0_E_clISt17integral_constantIbLb1EESU_EEDaSP_SQ_EUlSP_E0_NS1_11comp_targetILNS1_3genE10ELNS1_11target_archE1201ELNS1_3gpuE5ELNS1_3repE0EEENS1_30default_config_static_selectorELNS0_4arch9wavefront6targetE1EEEvT1_,"axG",@progbits,_ZN7rocprim17ROCPRIM_400000_NS6detail17trampoline_kernelINS0_14default_configENS1_20scan_config_selectorIsEEZZNS1_9scan_implILNS1_25lookback_scan_determinismE0ELb0ELb0ES3_N6thrust23THRUST_200600_302600_NS6detail15normal_iteratorINS9_10device_ptrIsEEEESE_sNS9_4plusIvEEsEEDaPvRmT3_T4_T5_mT6_P12ihipStream_tbENKUlT_T0_E_clISt17integral_constantIbLb1EESU_EEDaSP_SQ_EUlSP_E0_NS1_11comp_targetILNS1_3genE10ELNS1_11target_archE1201ELNS1_3gpuE5ELNS1_3repE0EEENS1_30default_config_static_selectorELNS0_4arch9wavefront6targetE1EEEvT1_,comdat
	.protected	_ZN7rocprim17ROCPRIM_400000_NS6detail17trampoline_kernelINS0_14default_configENS1_20scan_config_selectorIsEEZZNS1_9scan_implILNS1_25lookback_scan_determinismE0ELb0ELb0ES3_N6thrust23THRUST_200600_302600_NS6detail15normal_iteratorINS9_10device_ptrIsEEEESE_sNS9_4plusIvEEsEEDaPvRmT3_T4_T5_mT6_P12ihipStream_tbENKUlT_T0_E_clISt17integral_constantIbLb1EESU_EEDaSP_SQ_EUlSP_E0_NS1_11comp_targetILNS1_3genE10ELNS1_11target_archE1201ELNS1_3gpuE5ELNS1_3repE0EEENS1_30default_config_static_selectorELNS0_4arch9wavefront6targetE1EEEvT1_ ; -- Begin function _ZN7rocprim17ROCPRIM_400000_NS6detail17trampoline_kernelINS0_14default_configENS1_20scan_config_selectorIsEEZZNS1_9scan_implILNS1_25lookback_scan_determinismE0ELb0ELb0ES3_N6thrust23THRUST_200600_302600_NS6detail15normal_iteratorINS9_10device_ptrIsEEEESE_sNS9_4plusIvEEsEEDaPvRmT3_T4_T5_mT6_P12ihipStream_tbENKUlT_T0_E_clISt17integral_constantIbLb1EESU_EEDaSP_SQ_EUlSP_E0_NS1_11comp_targetILNS1_3genE10ELNS1_11target_archE1201ELNS1_3gpuE5ELNS1_3repE0EEENS1_30default_config_static_selectorELNS0_4arch9wavefront6targetE1EEEvT1_
	.globl	_ZN7rocprim17ROCPRIM_400000_NS6detail17trampoline_kernelINS0_14default_configENS1_20scan_config_selectorIsEEZZNS1_9scan_implILNS1_25lookback_scan_determinismE0ELb0ELb0ES3_N6thrust23THRUST_200600_302600_NS6detail15normal_iteratorINS9_10device_ptrIsEEEESE_sNS9_4plusIvEEsEEDaPvRmT3_T4_T5_mT6_P12ihipStream_tbENKUlT_T0_E_clISt17integral_constantIbLb1EESU_EEDaSP_SQ_EUlSP_E0_NS1_11comp_targetILNS1_3genE10ELNS1_11target_archE1201ELNS1_3gpuE5ELNS1_3repE0EEENS1_30default_config_static_selectorELNS0_4arch9wavefront6targetE1EEEvT1_
	.p2align	8
	.type	_ZN7rocprim17ROCPRIM_400000_NS6detail17trampoline_kernelINS0_14default_configENS1_20scan_config_selectorIsEEZZNS1_9scan_implILNS1_25lookback_scan_determinismE0ELb0ELb0ES3_N6thrust23THRUST_200600_302600_NS6detail15normal_iteratorINS9_10device_ptrIsEEEESE_sNS9_4plusIvEEsEEDaPvRmT3_T4_T5_mT6_P12ihipStream_tbENKUlT_T0_E_clISt17integral_constantIbLb1EESU_EEDaSP_SQ_EUlSP_E0_NS1_11comp_targetILNS1_3genE10ELNS1_11target_archE1201ELNS1_3gpuE5ELNS1_3repE0EEENS1_30default_config_static_selectorELNS0_4arch9wavefront6targetE1EEEvT1_,@function
_ZN7rocprim17ROCPRIM_400000_NS6detail17trampoline_kernelINS0_14default_configENS1_20scan_config_selectorIsEEZZNS1_9scan_implILNS1_25lookback_scan_determinismE0ELb0ELb0ES3_N6thrust23THRUST_200600_302600_NS6detail15normal_iteratorINS9_10device_ptrIsEEEESE_sNS9_4plusIvEEsEEDaPvRmT3_T4_T5_mT6_P12ihipStream_tbENKUlT_T0_E_clISt17integral_constantIbLb1EESU_EEDaSP_SQ_EUlSP_E0_NS1_11comp_targetILNS1_3genE10ELNS1_11target_archE1201ELNS1_3gpuE5ELNS1_3repE0EEENS1_30default_config_static_selectorELNS0_4arch9wavefront6targetE1EEEvT1_: ; @_ZN7rocprim17ROCPRIM_400000_NS6detail17trampoline_kernelINS0_14default_configENS1_20scan_config_selectorIsEEZZNS1_9scan_implILNS1_25lookback_scan_determinismE0ELb0ELb0ES3_N6thrust23THRUST_200600_302600_NS6detail15normal_iteratorINS9_10device_ptrIsEEEESE_sNS9_4plusIvEEsEEDaPvRmT3_T4_T5_mT6_P12ihipStream_tbENKUlT_T0_E_clISt17integral_constantIbLb1EESU_EEDaSP_SQ_EUlSP_E0_NS1_11comp_targetILNS1_3genE10ELNS1_11target_archE1201ELNS1_3gpuE5ELNS1_3repE0EEENS1_30default_config_static_selectorELNS0_4arch9wavefront6targetE1EEEvT1_
; %bb.0:
	.section	.rodata,"a",@progbits
	.p2align	6, 0x0
	.amdhsa_kernel _ZN7rocprim17ROCPRIM_400000_NS6detail17trampoline_kernelINS0_14default_configENS1_20scan_config_selectorIsEEZZNS1_9scan_implILNS1_25lookback_scan_determinismE0ELb0ELb0ES3_N6thrust23THRUST_200600_302600_NS6detail15normal_iteratorINS9_10device_ptrIsEEEESE_sNS9_4plusIvEEsEEDaPvRmT3_T4_T5_mT6_P12ihipStream_tbENKUlT_T0_E_clISt17integral_constantIbLb1EESU_EEDaSP_SQ_EUlSP_E0_NS1_11comp_targetILNS1_3genE10ELNS1_11target_archE1201ELNS1_3gpuE5ELNS1_3repE0EEENS1_30default_config_static_selectorELNS0_4arch9wavefront6targetE1EEEvT1_
		.amdhsa_group_segment_fixed_size 0
		.amdhsa_private_segment_fixed_size 0
		.amdhsa_kernarg_size 32
		.amdhsa_user_sgpr_count 6
		.amdhsa_user_sgpr_private_segment_buffer 1
		.amdhsa_user_sgpr_dispatch_ptr 0
		.amdhsa_user_sgpr_queue_ptr 0
		.amdhsa_user_sgpr_kernarg_segment_ptr 1
		.amdhsa_user_sgpr_dispatch_id 0
		.amdhsa_user_sgpr_flat_scratch_init 0
		.amdhsa_user_sgpr_kernarg_preload_length 0
		.amdhsa_user_sgpr_kernarg_preload_offset 0
		.amdhsa_user_sgpr_private_segment_size 0
		.amdhsa_uses_dynamic_stack 0
		.amdhsa_system_sgpr_private_segment_wavefront_offset 0
		.amdhsa_system_sgpr_workgroup_id_x 1
		.amdhsa_system_sgpr_workgroup_id_y 0
		.amdhsa_system_sgpr_workgroup_id_z 0
		.amdhsa_system_sgpr_workgroup_info 0
		.amdhsa_system_vgpr_workitem_id 0
		.amdhsa_next_free_vgpr 1
		.amdhsa_next_free_sgpr 0
		.amdhsa_accum_offset 4
		.amdhsa_reserve_vcc 0
		.amdhsa_reserve_flat_scratch 0
		.amdhsa_float_round_mode_32 0
		.amdhsa_float_round_mode_16_64 0
		.amdhsa_float_denorm_mode_32 3
		.amdhsa_float_denorm_mode_16_64 3
		.amdhsa_dx10_clamp 1
		.amdhsa_ieee_mode 1
		.amdhsa_fp16_overflow 0
		.amdhsa_tg_split 0
		.amdhsa_exception_fp_ieee_invalid_op 0
		.amdhsa_exception_fp_denorm_src 0
		.amdhsa_exception_fp_ieee_div_zero 0
		.amdhsa_exception_fp_ieee_overflow 0
		.amdhsa_exception_fp_ieee_underflow 0
		.amdhsa_exception_fp_ieee_inexact 0
		.amdhsa_exception_int_div_zero 0
	.end_amdhsa_kernel
	.section	.text._ZN7rocprim17ROCPRIM_400000_NS6detail17trampoline_kernelINS0_14default_configENS1_20scan_config_selectorIsEEZZNS1_9scan_implILNS1_25lookback_scan_determinismE0ELb0ELb0ES3_N6thrust23THRUST_200600_302600_NS6detail15normal_iteratorINS9_10device_ptrIsEEEESE_sNS9_4plusIvEEsEEDaPvRmT3_T4_T5_mT6_P12ihipStream_tbENKUlT_T0_E_clISt17integral_constantIbLb1EESU_EEDaSP_SQ_EUlSP_E0_NS1_11comp_targetILNS1_3genE10ELNS1_11target_archE1201ELNS1_3gpuE5ELNS1_3repE0EEENS1_30default_config_static_selectorELNS0_4arch9wavefront6targetE1EEEvT1_,"axG",@progbits,_ZN7rocprim17ROCPRIM_400000_NS6detail17trampoline_kernelINS0_14default_configENS1_20scan_config_selectorIsEEZZNS1_9scan_implILNS1_25lookback_scan_determinismE0ELb0ELb0ES3_N6thrust23THRUST_200600_302600_NS6detail15normal_iteratorINS9_10device_ptrIsEEEESE_sNS9_4plusIvEEsEEDaPvRmT3_T4_T5_mT6_P12ihipStream_tbENKUlT_T0_E_clISt17integral_constantIbLb1EESU_EEDaSP_SQ_EUlSP_E0_NS1_11comp_targetILNS1_3genE10ELNS1_11target_archE1201ELNS1_3gpuE5ELNS1_3repE0EEENS1_30default_config_static_selectorELNS0_4arch9wavefront6targetE1EEEvT1_,comdat
.Lfunc_end919:
	.size	_ZN7rocprim17ROCPRIM_400000_NS6detail17trampoline_kernelINS0_14default_configENS1_20scan_config_selectorIsEEZZNS1_9scan_implILNS1_25lookback_scan_determinismE0ELb0ELb0ES3_N6thrust23THRUST_200600_302600_NS6detail15normal_iteratorINS9_10device_ptrIsEEEESE_sNS9_4plusIvEEsEEDaPvRmT3_T4_T5_mT6_P12ihipStream_tbENKUlT_T0_E_clISt17integral_constantIbLb1EESU_EEDaSP_SQ_EUlSP_E0_NS1_11comp_targetILNS1_3genE10ELNS1_11target_archE1201ELNS1_3gpuE5ELNS1_3repE0EEENS1_30default_config_static_selectorELNS0_4arch9wavefront6targetE1EEEvT1_, .Lfunc_end919-_ZN7rocprim17ROCPRIM_400000_NS6detail17trampoline_kernelINS0_14default_configENS1_20scan_config_selectorIsEEZZNS1_9scan_implILNS1_25lookback_scan_determinismE0ELb0ELb0ES3_N6thrust23THRUST_200600_302600_NS6detail15normal_iteratorINS9_10device_ptrIsEEEESE_sNS9_4plusIvEEsEEDaPvRmT3_T4_T5_mT6_P12ihipStream_tbENKUlT_T0_E_clISt17integral_constantIbLb1EESU_EEDaSP_SQ_EUlSP_E0_NS1_11comp_targetILNS1_3genE10ELNS1_11target_archE1201ELNS1_3gpuE5ELNS1_3repE0EEENS1_30default_config_static_selectorELNS0_4arch9wavefront6targetE1EEEvT1_
                                        ; -- End function
	.section	.AMDGPU.csdata,"",@progbits
; Kernel info:
; codeLenInByte = 0
; NumSgprs: 4
; NumVgprs: 0
; NumAgprs: 0
; TotalNumVgprs: 0
; ScratchSize: 0
; MemoryBound: 0
; FloatMode: 240
; IeeeMode: 1
; LDSByteSize: 0 bytes/workgroup (compile time only)
; SGPRBlocks: 0
; VGPRBlocks: 0
; NumSGPRsForWavesPerEU: 4
; NumVGPRsForWavesPerEU: 1
; AccumOffset: 4
; Occupancy: 8
; WaveLimiterHint : 0
; COMPUTE_PGM_RSRC2:SCRATCH_EN: 0
; COMPUTE_PGM_RSRC2:USER_SGPR: 6
; COMPUTE_PGM_RSRC2:TRAP_HANDLER: 0
; COMPUTE_PGM_RSRC2:TGID_X_EN: 1
; COMPUTE_PGM_RSRC2:TGID_Y_EN: 0
; COMPUTE_PGM_RSRC2:TGID_Z_EN: 0
; COMPUTE_PGM_RSRC2:TIDIG_COMP_CNT: 0
; COMPUTE_PGM_RSRC3_GFX90A:ACCUM_OFFSET: 0
; COMPUTE_PGM_RSRC3_GFX90A:TG_SPLIT: 0
	.section	.text._ZN7rocprim17ROCPRIM_400000_NS6detail17trampoline_kernelINS0_14default_configENS1_20scan_config_selectorIsEEZZNS1_9scan_implILNS1_25lookback_scan_determinismE0ELb0ELb0ES3_N6thrust23THRUST_200600_302600_NS6detail15normal_iteratorINS9_10device_ptrIsEEEESE_sNS9_4plusIvEEsEEDaPvRmT3_T4_T5_mT6_P12ihipStream_tbENKUlT_T0_E_clISt17integral_constantIbLb1EESU_EEDaSP_SQ_EUlSP_E0_NS1_11comp_targetILNS1_3genE10ELNS1_11target_archE1200ELNS1_3gpuE4ELNS1_3repE0EEENS1_30default_config_static_selectorELNS0_4arch9wavefront6targetE1EEEvT1_,"axG",@progbits,_ZN7rocprim17ROCPRIM_400000_NS6detail17trampoline_kernelINS0_14default_configENS1_20scan_config_selectorIsEEZZNS1_9scan_implILNS1_25lookback_scan_determinismE0ELb0ELb0ES3_N6thrust23THRUST_200600_302600_NS6detail15normal_iteratorINS9_10device_ptrIsEEEESE_sNS9_4plusIvEEsEEDaPvRmT3_T4_T5_mT6_P12ihipStream_tbENKUlT_T0_E_clISt17integral_constantIbLb1EESU_EEDaSP_SQ_EUlSP_E0_NS1_11comp_targetILNS1_3genE10ELNS1_11target_archE1200ELNS1_3gpuE4ELNS1_3repE0EEENS1_30default_config_static_selectorELNS0_4arch9wavefront6targetE1EEEvT1_,comdat
	.protected	_ZN7rocprim17ROCPRIM_400000_NS6detail17trampoline_kernelINS0_14default_configENS1_20scan_config_selectorIsEEZZNS1_9scan_implILNS1_25lookback_scan_determinismE0ELb0ELb0ES3_N6thrust23THRUST_200600_302600_NS6detail15normal_iteratorINS9_10device_ptrIsEEEESE_sNS9_4plusIvEEsEEDaPvRmT3_T4_T5_mT6_P12ihipStream_tbENKUlT_T0_E_clISt17integral_constantIbLb1EESU_EEDaSP_SQ_EUlSP_E0_NS1_11comp_targetILNS1_3genE10ELNS1_11target_archE1200ELNS1_3gpuE4ELNS1_3repE0EEENS1_30default_config_static_selectorELNS0_4arch9wavefront6targetE1EEEvT1_ ; -- Begin function _ZN7rocprim17ROCPRIM_400000_NS6detail17trampoline_kernelINS0_14default_configENS1_20scan_config_selectorIsEEZZNS1_9scan_implILNS1_25lookback_scan_determinismE0ELb0ELb0ES3_N6thrust23THRUST_200600_302600_NS6detail15normal_iteratorINS9_10device_ptrIsEEEESE_sNS9_4plusIvEEsEEDaPvRmT3_T4_T5_mT6_P12ihipStream_tbENKUlT_T0_E_clISt17integral_constantIbLb1EESU_EEDaSP_SQ_EUlSP_E0_NS1_11comp_targetILNS1_3genE10ELNS1_11target_archE1200ELNS1_3gpuE4ELNS1_3repE0EEENS1_30default_config_static_selectorELNS0_4arch9wavefront6targetE1EEEvT1_
	.globl	_ZN7rocprim17ROCPRIM_400000_NS6detail17trampoline_kernelINS0_14default_configENS1_20scan_config_selectorIsEEZZNS1_9scan_implILNS1_25lookback_scan_determinismE0ELb0ELb0ES3_N6thrust23THRUST_200600_302600_NS6detail15normal_iteratorINS9_10device_ptrIsEEEESE_sNS9_4plusIvEEsEEDaPvRmT3_T4_T5_mT6_P12ihipStream_tbENKUlT_T0_E_clISt17integral_constantIbLb1EESU_EEDaSP_SQ_EUlSP_E0_NS1_11comp_targetILNS1_3genE10ELNS1_11target_archE1200ELNS1_3gpuE4ELNS1_3repE0EEENS1_30default_config_static_selectorELNS0_4arch9wavefront6targetE1EEEvT1_
	.p2align	8
	.type	_ZN7rocprim17ROCPRIM_400000_NS6detail17trampoline_kernelINS0_14default_configENS1_20scan_config_selectorIsEEZZNS1_9scan_implILNS1_25lookback_scan_determinismE0ELb0ELb0ES3_N6thrust23THRUST_200600_302600_NS6detail15normal_iteratorINS9_10device_ptrIsEEEESE_sNS9_4plusIvEEsEEDaPvRmT3_T4_T5_mT6_P12ihipStream_tbENKUlT_T0_E_clISt17integral_constantIbLb1EESU_EEDaSP_SQ_EUlSP_E0_NS1_11comp_targetILNS1_3genE10ELNS1_11target_archE1200ELNS1_3gpuE4ELNS1_3repE0EEENS1_30default_config_static_selectorELNS0_4arch9wavefront6targetE1EEEvT1_,@function
_ZN7rocprim17ROCPRIM_400000_NS6detail17trampoline_kernelINS0_14default_configENS1_20scan_config_selectorIsEEZZNS1_9scan_implILNS1_25lookback_scan_determinismE0ELb0ELb0ES3_N6thrust23THRUST_200600_302600_NS6detail15normal_iteratorINS9_10device_ptrIsEEEESE_sNS9_4plusIvEEsEEDaPvRmT3_T4_T5_mT6_P12ihipStream_tbENKUlT_T0_E_clISt17integral_constantIbLb1EESU_EEDaSP_SQ_EUlSP_E0_NS1_11comp_targetILNS1_3genE10ELNS1_11target_archE1200ELNS1_3gpuE4ELNS1_3repE0EEENS1_30default_config_static_selectorELNS0_4arch9wavefront6targetE1EEEvT1_: ; @_ZN7rocprim17ROCPRIM_400000_NS6detail17trampoline_kernelINS0_14default_configENS1_20scan_config_selectorIsEEZZNS1_9scan_implILNS1_25lookback_scan_determinismE0ELb0ELb0ES3_N6thrust23THRUST_200600_302600_NS6detail15normal_iteratorINS9_10device_ptrIsEEEESE_sNS9_4plusIvEEsEEDaPvRmT3_T4_T5_mT6_P12ihipStream_tbENKUlT_T0_E_clISt17integral_constantIbLb1EESU_EEDaSP_SQ_EUlSP_E0_NS1_11comp_targetILNS1_3genE10ELNS1_11target_archE1200ELNS1_3gpuE4ELNS1_3repE0EEENS1_30default_config_static_selectorELNS0_4arch9wavefront6targetE1EEEvT1_
; %bb.0:
	.section	.rodata,"a",@progbits
	.p2align	6, 0x0
	.amdhsa_kernel _ZN7rocprim17ROCPRIM_400000_NS6detail17trampoline_kernelINS0_14default_configENS1_20scan_config_selectorIsEEZZNS1_9scan_implILNS1_25lookback_scan_determinismE0ELb0ELb0ES3_N6thrust23THRUST_200600_302600_NS6detail15normal_iteratorINS9_10device_ptrIsEEEESE_sNS9_4plusIvEEsEEDaPvRmT3_T4_T5_mT6_P12ihipStream_tbENKUlT_T0_E_clISt17integral_constantIbLb1EESU_EEDaSP_SQ_EUlSP_E0_NS1_11comp_targetILNS1_3genE10ELNS1_11target_archE1200ELNS1_3gpuE4ELNS1_3repE0EEENS1_30default_config_static_selectorELNS0_4arch9wavefront6targetE1EEEvT1_
		.amdhsa_group_segment_fixed_size 0
		.amdhsa_private_segment_fixed_size 0
		.amdhsa_kernarg_size 32
		.amdhsa_user_sgpr_count 6
		.amdhsa_user_sgpr_private_segment_buffer 1
		.amdhsa_user_sgpr_dispatch_ptr 0
		.amdhsa_user_sgpr_queue_ptr 0
		.amdhsa_user_sgpr_kernarg_segment_ptr 1
		.amdhsa_user_sgpr_dispatch_id 0
		.amdhsa_user_sgpr_flat_scratch_init 0
		.amdhsa_user_sgpr_kernarg_preload_length 0
		.amdhsa_user_sgpr_kernarg_preload_offset 0
		.amdhsa_user_sgpr_private_segment_size 0
		.amdhsa_uses_dynamic_stack 0
		.amdhsa_system_sgpr_private_segment_wavefront_offset 0
		.amdhsa_system_sgpr_workgroup_id_x 1
		.amdhsa_system_sgpr_workgroup_id_y 0
		.amdhsa_system_sgpr_workgroup_id_z 0
		.amdhsa_system_sgpr_workgroup_info 0
		.amdhsa_system_vgpr_workitem_id 0
		.amdhsa_next_free_vgpr 1
		.amdhsa_next_free_sgpr 0
		.amdhsa_accum_offset 4
		.amdhsa_reserve_vcc 0
		.amdhsa_reserve_flat_scratch 0
		.amdhsa_float_round_mode_32 0
		.amdhsa_float_round_mode_16_64 0
		.amdhsa_float_denorm_mode_32 3
		.amdhsa_float_denorm_mode_16_64 3
		.amdhsa_dx10_clamp 1
		.amdhsa_ieee_mode 1
		.amdhsa_fp16_overflow 0
		.amdhsa_tg_split 0
		.amdhsa_exception_fp_ieee_invalid_op 0
		.amdhsa_exception_fp_denorm_src 0
		.amdhsa_exception_fp_ieee_div_zero 0
		.amdhsa_exception_fp_ieee_overflow 0
		.amdhsa_exception_fp_ieee_underflow 0
		.amdhsa_exception_fp_ieee_inexact 0
		.amdhsa_exception_int_div_zero 0
	.end_amdhsa_kernel
	.section	.text._ZN7rocprim17ROCPRIM_400000_NS6detail17trampoline_kernelINS0_14default_configENS1_20scan_config_selectorIsEEZZNS1_9scan_implILNS1_25lookback_scan_determinismE0ELb0ELb0ES3_N6thrust23THRUST_200600_302600_NS6detail15normal_iteratorINS9_10device_ptrIsEEEESE_sNS9_4plusIvEEsEEDaPvRmT3_T4_T5_mT6_P12ihipStream_tbENKUlT_T0_E_clISt17integral_constantIbLb1EESU_EEDaSP_SQ_EUlSP_E0_NS1_11comp_targetILNS1_3genE10ELNS1_11target_archE1200ELNS1_3gpuE4ELNS1_3repE0EEENS1_30default_config_static_selectorELNS0_4arch9wavefront6targetE1EEEvT1_,"axG",@progbits,_ZN7rocprim17ROCPRIM_400000_NS6detail17trampoline_kernelINS0_14default_configENS1_20scan_config_selectorIsEEZZNS1_9scan_implILNS1_25lookback_scan_determinismE0ELb0ELb0ES3_N6thrust23THRUST_200600_302600_NS6detail15normal_iteratorINS9_10device_ptrIsEEEESE_sNS9_4plusIvEEsEEDaPvRmT3_T4_T5_mT6_P12ihipStream_tbENKUlT_T0_E_clISt17integral_constantIbLb1EESU_EEDaSP_SQ_EUlSP_E0_NS1_11comp_targetILNS1_3genE10ELNS1_11target_archE1200ELNS1_3gpuE4ELNS1_3repE0EEENS1_30default_config_static_selectorELNS0_4arch9wavefront6targetE1EEEvT1_,comdat
.Lfunc_end920:
	.size	_ZN7rocprim17ROCPRIM_400000_NS6detail17trampoline_kernelINS0_14default_configENS1_20scan_config_selectorIsEEZZNS1_9scan_implILNS1_25lookback_scan_determinismE0ELb0ELb0ES3_N6thrust23THRUST_200600_302600_NS6detail15normal_iteratorINS9_10device_ptrIsEEEESE_sNS9_4plusIvEEsEEDaPvRmT3_T4_T5_mT6_P12ihipStream_tbENKUlT_T0_E_clISt17integral_constantIbLb1EESU_EEDaSP_SQ_EUlSP_E0_NS1_11comp_targetILNS1_3genE10ELNS1_11target_archE1200ELNS1_3gpuE4ELNS1_3repE0EEENS1_30default_config_static_selectorELNS0_4arch9wavefront6targetE1EEEvT1_, .Lfunc_end920-_ZN7rocprim17ROCPRIM_400000_NS6detail17trampoline_kernelINS0_14default_configENS1_20scan_config_selectorIsEEZZNS1_9scan_implILNS1_25lookback_scan_determinismE0ELb0ELb0ES3_N6thrust23THRUST_200600_302600_NS6detail15normal_iteratorINS9_10device_ptrIsEEEESE_sNS9_4plusIvEEsEEDaPvRmT3_T4_T5_mT6_P12ihipStream_tbENKUlT_T0_E_clISt17integral_constantIbLb1EESU_EEDaSP_SQ_EUlSP_E0_NS1_11comp_targetILNS1_3genE10ELNS1_11target_archE1200ELNS1_3gpuE4ELNS1_3repE0EEENS1_30default_config_static_selectorELNS0_4arch9wavefront6targetE1EEEvT1_
                                        ; -- End function
	.section	.AMDGPU.csdata,"",@progbits
; Kernel info:
; codeLenInByte = 0
; NumSgprs: 4
; NumVgprs: 0
; NumAgprs: 0
; TotalNumVgprs: 0
; ScratchSize: 0
; MemoryBound: 0
; FloatMode: 240
; IeeeMode: 1
; LDSByteSize: 0 bytes/workgroup (compile time only)
; SGPRBlocks: 0
; VGPRBlocks: 0
; NumSGPRsForWavesPerEU: 4
; NumVGPRsForWavesPerEU: 1
; AccumOffset: 4
; Occupancy: 8
; WaveLimiterHint : 0
; COMPUTE_PGM_RSRC2:SCRATCH_EN: 0
; COMPUTE_PGM_RSRC2:USER_SGPR: 6
; COMPUTE_PGM_RSRC2:TRAP_HANDLER: 0
; COMPUTE_PGM_RSRC2:TGID_X_EN: 1
; COMPUTE_PGM_RSRC2:TGID_Y_EN: 0
; COMPUTE_PGM_RSRC2:TGID_Z_EN: 0
; COMPUTE_PGM_RSRC2:TIDIG_COMP_CNT: 0
; COMPUTE_PGM_RSRC3_GFX90A:ACCUM_OFFSET: 0
; COMPUTE_PGM_RSRC3_GFX90A:TG_SPLIT: 0
	.section	.text._ZN7rocprim17ROCPRIM_400000_NS6detail17trampoline_kernelINS0_14default_configENS1_20scan_config_selectorIsEEZZNS1_9scan_implILNS1_25lookback_scan_determinismE0ELb0ELb0ES3_N6thrust23THRUST_200600_302600_NS6detail15normal_iteratorINS9_10device_ptrIsEEEESE_sNS9_4plusIvEEsEEDaPvRmT3_T4_T5_mT6_P12ihipStream_tbENKUlT_T0_E_clISt17integral_constantIbLb1EESU_EEDaSP_SQ_EUlSP_E0_NS1_11comp_targetILNS1_3genE9ELNS1_11target_archE1100ELNS1_3gpuE3ELNS1_3repE0EEENS1_30default_config_static_selectorELNS0_4arch9wavefront6targetE1EEEvT1_,"axG",@progbits,_ZN7rocprim17ROCPRIM_400000_NS6detail17trampoline_kernelINS0_14default_configENS1_20scan_config_selectorIsEEZZNS1_9scan_implILNS1_25lookback_scan_determinismE0ELb0ELb0ES3_N6thrust23THRUST_200600_302600_NS6detail15normal_iteratorINS9_10device_ptrIsEEEESE_sNS9_4plusIvEEsEEDaPvRmT3_T4_T5_mT6_P12ihipStream_tbENKUlT_T0_E_clISt17integral_constantIbLb1EESU_EEDaSP_SQ_EUlSP_E0_NS1_11comp_targetILNS1_3genE9ELNS1_11target_archE1100ELNS1_3gpuE3ELNS1_3repE0EEENS1_30default_config_static_selectorELNS0_4arch9wavefront6targetE1EEEvT1_,comdat
	.protected	_ZN7rocprim17ROCPRIM_400000_NS6detail17trampoline_kernelINS0_14default_configENS1_20scan_config_selectorIsEEZZNS1_9scan_implILNS1_25lookback_scan_determinismE0ELb0ELb0ES3_N6thrust23THRUST_200600_302600_NS6detail15normal_iteratorINS9_10device_ptrIsEEEESE_sNS9_4plusIvEEsEEDaPvRmT3_T4_T5_mT6_P12ihipStream_tbENKUlT_T0_E_clISt17integral_constantIbLb1EESU_EEDaSP_SQ_EUlSP_E0_NS1_11comp_targetILNS1_3genE9ELNS1_11target_archE1100ELNS1_3gpuE3ELNS1_3repE0EEENS1_30default_config_static_selectorELNS0_4arch9wavefront6targetE1EEEvT1_ ; -- Begin function _ZN7rocprim17ROCPRIM_400000_NS6detail17trampoline_kernelINS0_14default_configENS1_20scan_config_selectorIsEEZZNS1_9scan_implILNS1_25lookback_scan_determinismE0ELb0ELb0ES3_N6thrust23THRUST_200600_302600_NS6detail15normal_iteratorINS9_10device_ptrIsEEEESE_sNS9_4plusIvEEsEEDaPvRmT3_T4_T5_mT6_P12ihipStream_tbENKUlT_T0_E_clISt17integral_constantIbLb1EESU_EEDaSP_SQ_EUlSP_E0_NS1_11comp_targetILNS1_3genE9ELNS1_11target_archE1100ELNS1_3gpuE3ELNS1_3repE0EEENS1_30default_config_static_selectorELNS0_4arch9wavefront6targetE1EEEvT1_
	.globl	_ZN7rocprim17ROCPRIM_400000_NS6detail17trampoline_kernelINS0_14default_configENS1_20scan_config_selectorIsEEZZNS1_9scan_implILNS1_25lookback_scan_determinismE0ELb0ELb0ES3_N6thrust23THRUST_200600_302600_NS6detail15normal_iteratorINS9_10device_ptrIsEEEESE_sNS9_4plusIvEEsEEDaPvRmT3_T4_T5_mT6_P12ihipStream_tbENKUlT_T0_E_clISt17integral_constantIbLb1EESU_EEDaSP_SQ_EUlSP_E0_NS1_11comp_targetILNS1_3genE9ELNS1_11target_archE1100ELNS1_3gpuE3ELNS1_3repE0EEENS1_30default_config_static_selectorELNS0_4arch9wavefront6targetE1EEEvT1_
	.p2align	8
	.type	_ZN7rocprim17ROCPRIM_400000_NS6detail17trampoline_kernelINS0_14default_configENS1_20scan_config_selectorIsEEZZNS1_9scan_implILNS1_25lookback_scan_determinismE0ELb0ELb0ES3_N6thrust23THRUST_200600_302600_NS6detail15normal_iteratorINS9_10device_ptrIsEEEESE_sNS9_4plusIvEEsEEDaPvRmT3_T4_T5_mT6_P12ihipStream_tbENKUlT_T0_E_clISt17integral_constantIbLb1EESU_EEDaSP_SQ_EUlSP_E0_NS1_11comp_targetILNS1_3genE9ELNS1_11target_archE1100ELNS1_3gpuE3ELNS1_3repE0EEENS1_30default_config_static_selectorELNS0_4arch9wavefront6targetE1EEEvT1_,@function
_ZN7rocprim17ROCPRIM_400000_NS6detail17trampoline_kernelINS0_14default_configENS1_20scan_config_selectorIsEEZZNS1_9scan_implILNS1_25lookback_scan_determinismE0ELb0ELb0ES3_N6thrust23THRUST_200600_302600_NS6detail15normal_iteratorINS9_10device_ptrIsEEEESE_sNS9_4plusIvEEsEEDaPvRmT3_T4_T5_mT6_P12ihipStream_tbENKUlT_T0_E_clISt17integral_constantIbLb1EESU_EEDaSP_SQ_EUlSP_E0_NS1_11comp_targetILNS1_3genE9ELNS1_11target_archE1100ELNS1_3gpuE3ELNS1_3repE0EEENS1_30default_config_static_selectorELNS0_4arch9wavefront6targetE1EEEvT1_: ; @_ZN7rocprim17ROCPRIM_400000_NS6detail17trampoline_kernelINS0_14default_configENS1_20scan_config_selectorIsEEZZNS1_9scan_implILNS1_25lookback_scan_determinismE0ELb0ELb0ES3_N6thrust23THRUST_200600_302600_NS6detail15normal_iteratorINS9_10device_ptrIsEEEESE_sNS9_4plusIvEEsEEDaPvRmT3_T4_T5_mT6_P12ihipStream_tbENKUlT_T0_E_clISt17integral_constantIbLb1EESU_EEDaSP_SQ_EUlSP_E0_NS1_11comp_targetILNS1_3genE9ELNS1_11target_archE1100ELNS1_3gpuE3ELNS1_3repE0EEENS1_30default_config_static_selectorELNS0_4arch9wavefront6targetE1EEEvT1_
; %bb.0:
	.section	.rodata,"a",@progbits
	.p2align	6, 0x0
	.amdhsa_kernel _ZN7rocprim17ROCPRIM_400000_NS6detail17trampoline_kernelINS0_14default_configENS1_20scan_config_selectorIsEEZZNS1_9scan_implILNS1_25lookback_scan_determinismE0ELb0ELb0ES3_N6thrust23THRUST_200600_302600_NS6detail15normal_iteratorINS9_10device_ptrIsEEEESE_sNS9_4plusIvEEsEEDaPvRmT3_T4_T5_mT6_P12ihipStream_tbENKUlT_T0_E_clISt17integral_constantIbLb1EESU_EEDaSP_SQ_EUlSP_E0_NS1_11comp_targetILNS1_3genE9ELNS1_11target_archE1100ELNS1_3gpuE3ELNS1_3repE0EEENS1_30default_config_static_selectorELNS0_4arch9wavefront6targetE1EEEvT1_
		.amdhsa_group_segment_fixed_size 0
		.amdhsa_private_segment_fixed_size 0
		.amdhsa_kernarg_size 32
		.amdhsa_user_sgpr_count 6
		.amdhsa_user_sgpr_private_segment_buffer 1
		.amdhsa_user_sgpr_dispatch_ptr 0
		.amdhsa_user_sgpr_queue_ptr 0
		.amdhsa_user_sgpr_kernarg_segment_ptr 1
		.amdhsa_user_sgpr_dispatch_id 0
		.amdhsa_user_sgpr_flat_scratch_init 0
		.amdhsa_user_sgpr_kernarg_preload_length 0
		.amdhsa_user_sgpr_kernarg_preload_offset 0
		.amdhsa_user_sgpr_private_segment_size 0
		.amdhsa_uses_dynamic_stack 0
		.amdhsa_system_sgpr_private_segment_wavefront_offset 0
		.amdhsa_system_sgpr_workgroup_id_x 1
		.amdhsa_system_sgpr_workgroup_id_y 0
		.amdhsa_system_sgpr_workgroup_id_z 0
		.amdhsa_system_sgpr_workgroup_info 0
		.amdhsa_system_vgpr_workitem_id 0
		.amdhsa_next_free_vgpr 1
		.amdhsa_next_free_sgpr 0
		.amdhsa_accum_offset 4
		.amdhsa_reserve_vcc 0
		.amdhsa_reserve_flat_scratch 0
		.amdhsa_float_round_mode_32 0
		.amdhsa_float_round_mode_16_64 0
		.amdhsa_float_denorm_mode_32 3
		.amdhsa_float_denorm_mode_16_64 3
		.amdhsa_dx10_clamp 1
		.amdhsa_ieee_mode 1
		.amdhsa_fp16_overflow 0
		.amdhsa_tg_split 0
		.amdhsa_exception_fp_ieee_invalid_op 0
		.amdhsa_exception_fp_denorm_src 0
		.amdhsa_exception_fp_ieee_div_zero 0
		.amdhsa_exception_fp_ieee_overflow 0
		.amdhsa_exception_fp_ieee_underflow 0
		.amdhsa_exception_fp_ieee_inexact 0
		.amdhsa_exception_int_div_zero 0
	.end_amdhsa_kernel
	.section	.text._ZN7rocprim17ROCPRIM_400000_NS6detail17trampoline_kernelINS0_14default_configENS1_20scan_config_selectorIsEEZZNS1_9scan_implILNS1_25lookback_scan_determinismE0ELb0ELb0ES3_N6thrust23THRUST_200600_302600_NS6detail15normal_iteratorINS9_10device_ptrIsEEEESE_sNS9_4plusIvEEsEEDaPvRmT3_T4_T5_mT6_P12ihipStream_tbENKUlT_T0_E_clISt17integral_constantIbLb1EESU_EEDaSP_SQ_EUlSP_E0_NS1_11comp_targetILNS1_3genE9ELNS1_11target_archE1100ELNS1_3gpuE3ELNS1_3repE0EEENS1_30default_config_static_selectorELNS0_4arch9wavefront6targetE1EEEvT1_,"axG",@progbits,_ZN7rocprim17ROCPRIM_400000_NS6detail17trampoline_kernelINS0_14default_configENS1_20scan_config_selectorIsEEZZNS1_9scan_implILNS1_25lookback_scan_determinismE0ELb0ELb0ES3_N6thrust23THRUST_200600_302600_NS6detail15normal_iteratorINS9_10device_ptrIsEEEESE_sNS9_4plusIvEEsEEDaPvRmT3_T4_T5_mT6_P12ihipStream_tbENKUlT_T0_E_clISt17integral_constantIbLb1EESU_EEDaSP_SQ_EUlSP_E0_NS1_11comp_targetILNS1_3genE9ELNS1_11target_archE1100ELNS1_3gpuE3ELNS1_3repE0EEENS1_30default_config_static_selectorELNS0_4arch9wavefront6targetE1EEEvT1_,comdat
.Lfunc_end921:
	.size	_ZN7rocprim17ROCPRIM_400000_NS6detail17trampoline_kernelINS0_14default_configENS1_20scan_config_selectorIsEEZZNS1_9scan_implILNS1_25lookback_scan_determinismE0ELb0ELb0ES3_N6thrust23THRUST_200600_302600_NS6detail15normal_iteratorINS9_10device_ptrIsEEEESE_sNS9_4plusIvEEsEEDaPvRmT3_T4_T5_mT6_P12ihipStream_tbENKUlT_T0_E_clISt17integral_constantIbLb1EESU_EEDaSP_SQ_EUlSP_E0_NS1_11comp_targetILNS1_3genE9ELNS1_11target_archE1100ELNS1_3gpuE3ELNS1_3repE0EEENS1_30default_config_static_selectorELNS0_4arch9wavefront6targetE1EEEvT1_, .Lfunc_end921-_ZN7rocprim17ROCPRIM_400000_NS6detail17trampoline_kernelINS0_14default_configENS1_20scan_config_selectorIsEEZZNS1_9scan_implILNS1_25lookback_scan_determinismE0ELb0ELb0ES3_N6thrust23THRUST_200600_302600_NS6detail15normal_iteratorINS9_10device_ptrIsEEEESE_sNS9_4plusIvEEsEEDaPvRmT3_T4_T5_mT6_P12ihipStream_tbENKUlT_T0_E_clISt17integral_constantIbLb1EESU_EEDaSP_SQ_EUlSP_E0_NS1_11comp_targetILNS1_3genE9ELNS1_11target_archE1100ELNS1_3gpuE3ELNS1_3repE0EEENS1_30default_config_static_selectorELNS0_4arch9wavefront6targetE1EEEvT1_
                                        ; -- End function
	.section	.AMDGPU.csdata,"",@progbits
; Kernel info:
; codeLenInByte = 0
; NumSgprs: 4
; NumVgprs: 0
; NumAgprs: 0
; TotalNumVgprs: 0
; ScratchSize: 0
; MemoryBound: 0
; FloatMode: 240
; IeeeMode: 1
; LDSByteSize: 0 bytes/workgroup (compile time only)
; SGPRBlocks: 0
; VGPRBlocks: 0
; NumSGPRsForWavesPerEU: 4
; NumVGPRsForWavesPerEU: 1
; AccumOffset: 4
; Occupancy: 8
; WaveLimiterHint : 0
; COMPUTE_PGM_RSRC2:SCRATCH_EN: 0
; COMPUTE_PGM_RSRC2:USER_SGPR: 6
; COMPUTE_PGM_RSRC2:TRAP_HANDLER: 0
; COMPUTE_PGM_RSRC2:TGID_X_EN: 1
; COMPUTE_PGM_RSRC2:TGID_Y_EN: 0
; COMPUTE_PGM_RSRC2:TGID_Z_EN: 0
; COMPUTE_PGM_RSRC2:TIDIG_COMP_CNT: 0
; COMPUTE_PGM_RSRC3_GFX90A:ACCUM_OFFSET: 0
; COMPUTE_PGM_RSRC3_GFX90A:TG_SPLIT: 0
	.section	.text._ZN7rocprim17ROCPRIM_400000_NS6detail17trampoline_kernelINS0_14default_configENS1_20scan_config_selectorIsEEZZNS1_9scan_implILNS1_25lookback_scan_determinismE0ELb0ELb0ES3_N6thrust23THRUST_200600_302600_NS6detail15normal_iteratorINS9_10device_ptrIsEEEESE_sNS9_4plusIvEEsEEDaPvRmT3_T4_T5_mT6_P12ihipStream_tbENKUlT_T0_E_clISt17integral_constantIbLb1EESU_EEDaSP_SQ_EUlSP_E0_NS1_11comp_targetILNS1_3genE8ELNS1_11target_archE1030ELNS1_3gpuE2ELNS1_3repE0EEENS1_30default_config_static_selectorELNS0_4arch9wavefront6targetE1EEEvT1_,"axG",@progbits,_ZN7rocprim17ROCPRIM_400000_NS6detail17trampoline_kernelINS0_14default_configENS1_20scan_config_selectorIsEEZZNS1_9scan_implILNS1_25lookback_scan_determinismE0ELb0ELb0ES3_N6thrust23THRUST_200600_302600_NS6detail15normal_iteratorINS9_10device_ptrIsEEEESE_sNS9_4plusIvEEsEEDaPvRmT3_T4_T5_mT6_P12ihipStream_tbENKUlT_T0_E_clISt17integral_constantIbLb1EESU_EEDaSP_SQ_EUlSP_E0_NS1_11comp_targetILNS1_3genE8ELNS1_11target_archE1030ELNS1_3gpuE2ELNS1_3repE0EEENS1_30default_config_static_selectorELNS0_4arch9wavefront6targetE1EEEvT1_,comdat
	.protected	_ZN7rocprim17ROCPRIM_400000_NS6detail17trampoline_kernelINS0_14default_configENS1_20scan_config_selectorIsEEZZNS1_9scan_implILNS1_25lookback_scan_determinismE0ELb0ELb0ES3_N6thrust23THRUST_200600_302600_NS6detail15normal_iteratorINS9_10device_ptrIsEEEESE_sNS9_4plusIvEEsEEDaPvRmT3_T4_T5_mT6_P12ihipStream_tbENKUlT_T0_E_clISt17integral_constantIbLb1EESU_EEDaSP_SQ_EUlSP_E0_NS1_11comp_targetILNS1_3genE8ELNS1_11target_archE1030ELNS1_3gpuE2ELNS1_3repE0EEENS1_30default_config_static_selectorELNS0_4arch9wavefront6targetE1EEEvT1_ ; -- Begin function _ZN7rocprim17ROCPRIM_400000_NS6detail17trampoline_kernelINS0_14default_configENS1_20scan_config_selectorIsEEZZNS1_9scan_implILNS1_25lookback_scan_determinismE0ELb0ELb0ES3_N6thrust23THRUST_200600_302600_NS6detail15normal_iteratorINS9_10device_ptrIsEEEESE_sNS9_4plusIvEEsEEDaPvRmT3_T4_T5_mT6_P12ihipStream_tbENKUlT_T0_E_clISt17integral_constantIbLb1EESU_EEDaSP_SQ_EUlSP_E0_NS1_11comp_targetILNS1_3genE8ELNS1_11target_archE1030ELNS1_3gpuE2ELNS1_3repE0EEENS1_30default_config_static_selectorELNS0_4arch9wavefront6targetE1EEEvT1_
	.globl	_ZN7rocprim17ROCPRIM_400000_NS6detail17trampoline_kernelINS0_14default_configENS1_20scan_config_selectorIsEEZZNS1_9scan_implILNS1_25lookback_scan_determinismE0ELb0ELb0ES3_N6thrust23THRUST_200600_302600_NS6detail15normal_iteratorINS9_10device_ptrIsEEEESE_sNS9_4plusIvEEsEEDaPvRmT3_T4_T5_mT6_P12ihipStream_tbENKUlT_T0_E_clISt17integral_constantIbLb1EESU_EEDaSP_SQ_EUlSP_E0_NS1_11comp_targetILNS1_3genE8ELNS1_11target_archE1030ELNS1_3gpuE2ELNS1_3repE0EEENS1_30default_config_static_selectorELNS0_4arch9wavefront6targetE1EEEvT1_
	.p2align	8
	.type	_ZN7rocprim17ROCPRIM_400000_NS6detail17trampoline_kernelINS0_14default_configENS1_20scan_config_selectorIsEEZZNS1_9scan_implILNS1_25lookback_scan_determinismE0ELb0ELb0ES3_N6thrust23THRUST_200600_302600_NS6detail15normal_iteratorINS9_10device_ptrIsEEEESE_sNS9_4plusIvEEsEEDaPvRmT3_T4_T5_mT6_P12ihipStream_tbENKUlT_T0_E_clISt17integral_constantIbLb1EESU_EEDaSP_SQ_EUlSP_E0_NS1_11comp_targetILNS1_3genE8ELNS1_11target_archE1030ELNS1_3gpuE2ELNS1_3repE0EEENS1_30default_config_static_selectorELNS0_4arch9wavefront6targetE1EEEvT1_,@function
_ZN7rocprim17ROCPRIM_400000_NS6detail17trampoline_kernelINS0_14default_configENS1_20scan_config_selectorIsEEZZNS1_9scan_implILNS1_25lookback_scan_determinismE0ELb0ELb0ES3_N6thrust23THRUST_200600_302600_NS6detail15normal_iteratorINS9_10device_ptrIsEEEESE_sNS9_4plusIvEEsEEDaPvRmT3_T4_T5_mT6_P12ihipStream_tbENKUlT_T0_E_clISt17integral_constantIbLb1EESU_EEDaSP_SQ_EUlSP_E0_NS1_11comp_targetILNS1_3genE8ELNS1_11target_archE1030ELNS1_3gpuE2ELNS1_3repE0EEENS1_30default_config_static_selectorELNS0_4arch9wavefront6targetE1EEEvT1_: ; @_ZN7rocprim17ROCPRIM_400000_NS6detail17trampoline_kernelINS0_14default_configENS1_20scan_config_selectorIsEEZZNS1_9scan_implILNS1_25lookback_scan_determinismE0ELb0ELb0ES3_N6thrust23THRUST_200600_302600_NS6detail15normal_iteratorINS9_10device_ptrIsEEEESE_sNS9_4plusIvEEsEEDaPvRmT3_T4_T5_mT6_P12ihipStream_tbENKUlT_T0_E_clISt17integral_constantIbLb1EESU_EEDaSP_SQ_EUlSP_E0_NS1_11comp_targetILNS1_3genE8ELNS1_11target_archE1030ELNS1_3gpuE2ELNS1_3repE0EEENS1_30default_config_static_selectorELNS0_4arch9wavefront6targetE1EEEvT1_
; %bb.0:
	.section	.rodata,"a",@progbits
	.p2align	6, 0x0
	.amdhsa_kernel _ZN7rocprim17ROCPRIM_400000_NS6detail17trampoline_kernelINS0_14default_configENS1_20scan_config_selectorIsEEZZNS1_9scan_implILNS1_25lookback_scan_determinismE0ELb0ELb0ES3_N6thrust23THRUST_200600_302600_NS6detail15normal_iteratorINS9_10device_ptrIsEEEESE_sNS9_4plusIvEEsEEDaPvRmT3_T4_T5_mT6_P12ihipStream_tbENKUlT_T0_E_clISt17integral_constantIbLb1EESU_EEDaSP_SQ_EUlSP_E0_NS1_11comp_targetILNS1_3genE8ELNS1_11target_archE1030ELNS1_3gpuE2ELNS1_3repE0EEENS1_30default_config_static_selectorELNS0_4arch9wavefront6targetE1EEEvT1_
		.amdhsa_group_segment_fixed_size 0
		.amdhsa_private_segment_fixed_size 0
		.amdhsa_kernarg_size 32
		.amdhsa_user_sgpr_count 6
		.amdhsa_user_sgpr_private_segment_buffer 1
		.amdhsa_user_sgpr_dispatch_ptr 0
		.amdhsa_user_sgpr_queue_ptr 0
		.amdhsa_user_sgpr_kernarg_segment_ptr 1
		.amdhsa_user_sgpr_dispatch_id 0
		.amdhsa_user_sgpr_flat_scratch_init 0
		.amdhsa_user_sgpr_kernarg_preload_length 0
		.amdhsa_user_sgpr_kernarg_preload_offset 0
		.amdhsa_user_sgpr_private_segment_size 0
		.amdhsa_uses_dynamic_stack 0
		.amdhsa_system_sgpr_private_segment_wavefront_offset 0
		.amdhsa_system_sgpr_workgroup_id_x 1
		.amdhsa_system_sgpr_workgroup_id_y 0
		.amdhsa_system_sgpr_workgroup_id_z 0
		.amdhsa_system_sgpr_workgroup_info 0
		.amdhsa_system_vgpr_workitem_id 0
		.amdhsa_next_free_vgpr 1
		.amdhsa_next_free_sgpr 0
		.amdhsa_accum_offset 4
		.amdhsa_reserve_vcc 0
		.amdhsa_reserve_flat_scratch 0
		.amdhsa_float_round_mode_32 0
		.amdhsa_float_round_mode_16_64 0
		.amdhsa_float_denorm_mode_32 3
		.amdhsa_float_denorm_mode_16_64 3
		.amdhsa_dx10_clamp 1
		.amdhsa_ieee_mode 1
		.amdhsa_fp16_overflow 0
		.amdhsa_tg_split 0
		.amdhsa_exception_fp_ieee_invalid_op 0
		.amdhsa_exception_fp_denorm_src 0
		.amdhsa_exception_fp_ieee_div_zero 0
		.amdhsa_exception_fp_ieee_overflow 0
		.amdhsa_exception_fp_ieee_underflow 0
		.amdhsa_exception_fp_ieee_inexact 0
		.amdhsa_exception_int_div_zero 0
	.end_amdhsa_kernel
	.section	.text._ZN7rocprim17ROCPRIM_400000_NS6detail17trampoline_kernelINS0_14default_configENS1_20scan_config_selectorIsEEZZNS1_9scan_implILNS1_25lookback_scan_determinismE0ELb0ELb0ES3_N6thrust23THRUST_200600_302600_NS6detail15normal_iteratorINS9_10device_ptrIsEEEESE_sNS9_4plusIvEEsEEDaPvRmT3_T4_T5_mT6_P12ihipStream_tbENKUlT_T0_E_clISt17integral_constantIbLb1EESU_EEDaSP_SQ_EUlSP_E0_NS1_11comp_targetILNS1_3genE8ELNS1_11target_archE1030ELNS1_3gpuE2ELNS1_3repE0EEENS1_30default_config_static_selectorELNS0_4arch9wavefront6targetE1EEEvT1_,"axG",@progbits,_ZN7rocprim17ROCPRIM_400000_NS6detail17trampoline_kernelINS0_14default_configENS1_20scan_config_selectorIsEEZZNS1_9scan_implILNS1_25lookback_scan_determinismE0ELb0ELb0ES3_N6thrust23THRUST_200600_302600_NS6detail15normal_iteratorINS9_10device_ptrIsEEEESE_sNS9_4plusIvEEsEEDaPvRmT3_T4_T5_mT6_P12ihipStream_tbENKUlT_T0_E_clISt17integral_constantIbLb1EESU_EEDaSP_SQ_EUlSP_E0_NS1_11comp_targetILNS1_3genE8ELNS1_11target_archE1030ELNS1_3gpuE2ELNS1_3repE0EEENS1_30default_config_static_selectorELNS0_4arch9wavefront6targetE1EEEvT1_,comdat
.Lfunc_end922:
	.size	_ZN7rocprim17ROCPRIM_400000_NS6detail17trampoline_kernelINS0_14default_configENS1_20scan_config_selectorIsEEZZNS1_9scan_implILNS1_25lookback_scan_determinismE0ELb0ELb0ES3_N6thrust23THRUST_200600_302600_NS6detail15normal_iteratorINS9_10device_ptrIsEEEESE_sNS9_4plusIvEEsEEDaPvRmT3_T4_T5_mT6_P12ihipStream_tbENKUlT_T0_E_clISt17integral_constantIbLb1EESU_EEDaSP_SQ_EUlSP_E0_NS1_11comp_targetILNS1_3genE8ELNS1_11target_archE1030ELNS1_3gpuE2ELNS1_3repE0EEENS1_30default_config_static_selectorELNS0_4arch9wavefront6targetE1EEEvT1_, .Lfunc_end922-_ZN7rocprim17ROCPRIM_400000_NS6detail17trampoline_kernelINS0_14default_configENS1_20scan_config_selectorIsEEZZNS1_9scan_implILNS1_25lookback_scan_determinismE0ELb0ELb0ES3_N6thrust23THRUST_200600_302600_NS6detail15normal_iteratorINS9_10device_ptrIsEEEESE_sNS9_4plusIvEEsEEDaPvRmT3_T4_T5_mT6_P12ihipStream_tbENKUlT_T0_E_clISt17integral_constantIbLb1EESU_EEDaSP_SQ_EUlSP_E0_NS1_11comp_targetILNS1_3genE8ELNS1_11target_archE1030ELNS1_3gpuE2ELNS1_3repE0EEENS1_30default_config_static_selectorELNS0_4arch9wavefront6targetE1EEEvT1_
                                        ; -- End function
	.section	.AMDGPU.csdata,"",@progbits
; Kernel info:
; codeLenInByte = 0
; NumSgprs: 4
; NumVgprs: 0
; NumAgprs: 0
; TotalNumVgprs: 0
; ScratchSize: 0
; MemoryBound: 0
; FloatMode: 240
; IeeeMode: 1
; LDSByteSize: 0 bytes/workgroup (compile time only)
; SGPRBlocks: 0
; VGPRBlocks: 0
; NumSGPRsForWavesPerEU: 4
; NumVGPRsForWavesPerEU: 1
; AccumOffset: 4
; Occupancy: 8
; WaveLimiterHint : 0
; COMPUTE_PGM_RSRC2:SCRATCH_EN: 0
; COMPUTE_PGM_RSRC2:USER_SGPR: 6
; COMPUTE_PGM_RSRC2:TRAP_HANDLER: 0
; COMPUTE_PGM_RSRC2:TGID_X_EN: 1
; COMPUTE_PGM_RSRC2:TGID_Y_EN: 0
; COMPUTE_PGM_RSRC2:TGID_Z_EN: 0
; COMPUTE_PGM_RSRC2:TIDIG_COMP_CNT: 0
; COMPUTE_PGM_RSRC3_GFX90A:ACCUM_OFFSET: 0
; COMPUTE_PGM_RSRC3_GFX90A:TG_SPLIT: 0
	.section	.text._ZN7rocprim17ROCPRIM_400000_NS6detail31init_lookback_scan_state_kernelINS1_19lookback_scan_stateIsLb1ELb1EEENS1_16block_id_wrapperIjLb0EEEEEvT_jT0_jPNS7_10value_typeE,"axG",@progbits,_ZN7rocprim17ROCPRIM_400000_NS6detail31init_lookback_scan_state_kernelINS1_19lookback_scan_stateIsLb1ELb1EEENS1_16block_id_wrapperIjLb0EEEEEvT_jT0_jPNS7_10value_typeE,comdat
	.protected	_ZN7rocprim17ROCPRIM_400000_NS6detail31init_lookback_scan_state_kernelINS1_19lookback_scan_stateIsLb1ELb1EEENS1_16block_id_wrapperIjLb0EEEEEvT_jT0_jPNS7_10value_typeE ; -- Begin function _ZN7rocprim17ROCPRIM_400000_NS6detail31init_lookback_scan_state_kernelINS1_19lookback_scan_stateIsLb1ELb1EEENS1_16block_id_wrapperIjLb0EEEEEvT_jT0_jPNS7_10value_typeE
	.globl	_ZN7rocprim17ROCPRIM_400000_NS6detail31init_lookback_scan_state_kernelINS1_19lookback_scan_stateIsLb1ELb1EEENS1_16block_id_wrapperIjLb0EEEEEvT_jT0_jPNS7_10value_typeE
	.p2align	8
	.type	_ZN7rocprim17ROCPRIM_400000_NS6detail31init_lookback_scan_state_kernelINS1_19lookback_scan_stateIsLb1ELb1EEENS1_16block_id_wrapperIjLb0EEEEEvT_jT0_jPNS7_10value_typeE,@function
_ZN7rocprim17ROCPRIM_400000_NS6detail31init_lookback_scan_state_kernelINS1_19lookback_scan_stateIsLb1ELb1EEENS1_16block_id_wrapperIjLb0EEEEEvT_jT0_jPNS7_10value_typeE: ; @_ZN7rocprim17ROCPRIM_400000_NS6detail31init_lookback_scan_state_kernelINS1_19lookback_scan_stateIsLb1ELb1EEENS1_16block_id_wrapperIjLb0EEEEEvT_jT0_jPNS7_10value_typeE
; %bb.0:
	s_load_dword s7, s[4:5], 0x2c
	s_load_dwordx2 s[2:3], s[4:5], 0x18
	s_load_dwordx2 s[0:1], s[4:5], 0x0
	s_load_dword s8, s[4:5], 0x8
	s_waitcnt lgkmcnt(0)
	s_and_b32 s7, s7, 0xffff
	s_mul_i32 s6, s6, s7
	s_cmp_eq_u64 s[2:3], 0
	v_add_u32_e32 v0, s6, v0
	s_cbranch_scc1 .LBB923_9
; %bb.1:
	s_load_dword s6, s[4:5], 0x10
	s_mov_b32 s7, 0
	s_waitcnt lgkmcnt(0)
	s_cmp_lt_u32 s6, s8
	s_cselect_b32 s4, s6, 0
	v_cmp_eq_u32_e32 vcc, s4, v0
	s_and_saveexec_b64 s[4:5], vcc
	s_cbranch_execz .LBB923_8
; %bb.2:
	s_add_i32 s6, s6, 64
	s_lshl_b64 s[6:7], s[6:7], 2
	s_add_u32 s6, s0, s6
	s_addc_u32 s7, s1, s7
	v_mov_b32_e32 v1, 0
	global_load_dword v2, v1, s[6:7] glc
	s_waitcnt vmcnt(0)
	v_and_b32_e32 v3, 0xff0000, v2
	v_cmp_ne_u32_e32 vcc, 0, v3
	s_cbranch_vccnz .LBB923_7
; %bb.3:
	s_mov_b32 s9, 1
.LBB923_4:                              ; =>This Loop Header: Depth=1
                                        ;     Child Loop BB923_5 Depth 2
	s_max_u32 s10, s9, 1
.LBB923_5:                              ;   Parent Loop BB923_4 Depth=1
                                        ; =>  This Inner Loop Header: Depth=2
	s_add_i32 s10, s10, -1
	s_cmp_eq_u32 s10, 0
	s_sleep 1
	s_cbranch_scc0 .LBB923_5
; %bb.6:                                ;   in Loop: Header=BB923_4 Depth=1
	global_load_dword v2, v1, s[6:7] glc
	s_cmp_lt_u32 s9, 32
	s_cselect_b64 s[10:11], -1, 0
	s_cmp_lg_u64 s[10:11], 0
	s_addc_u32 s9, s9, 0
	s_waitcnt vmcnt(0)
	v_and_b32_e32 v3, 0xff0000, v2
	v_cmp_ne_u32_e32 vcc, 0, v3
	s_cbranch_vccz .LBB923_4
.LBB923_7:
	v_mov_b32_e32 v1, 0
	global_store_short v1, v2, s[2:3]
.LBB923_8:
	s_or_b64 exec, exec, s[4:5]
.LBB923_9:
	v_cmp_gt_u32_e32 vcc, s8, v0
	s_and_saveexec_b64 s[2:3], vcc
	s_cbranch_execnz .LBB923_12
; %bb.10:
	s_or_b64 exec, exec, s[2:3]
	v_cmp_gt_u32_e32 vcc, 64, v0
	s_and_saveexec_b64 s[2:3], vcc
	s_cbranch_execnz .LBB923_13
.LBB923_11:
	s_endpgm
.LBB923_12:
	v_add_u32_e32 v2, 64, v0
	v_mov_b32_e32 v3, 0
	v_lshlrev_b64 v[4:5], 2, v[2:3]
	v_mov_b32_e32 v1, s1
	v_add_co_u32_e32 v4, vcc, s0, v4
	v_addc_co_u32_e32 v5, vcc, v1, v5, vcc
	global_store_dword v[4:5], v3, off
	s_or_b64 exec, exec, s[2:3]
	v_cmp_gt_u32_e32 vcc, 64, v0
	s_and_saveexec_b64 s[2:3], vcc
	s_cbranch_execz .LBB923_11
.LBB923_13:
	v_mov_b32_e32 v1, 0
	v_lshlrev_b64 v[0:1], 2, v[0:1]
	v_mov_b32_e32 v2, s1
	v_add_co_u32_e32 v0, vcc, s0, v0
	v_addc_co_u32_e32 v1, vcc, v2, v1, vcc
	v_mov_b32_e32 v2, 0xff0000
	global_store_dword v[0:1], v2, off
	s_endpgm
	.section	.rodata,"a",@progbits
	.p2align	6, 0x0
	.amdhsa_kernel _ZN7rocprim17ROCPRIM_400000_NS6detail31init_lookback_scan_state_kernelINS1_19lookback_scan_stateIsLb1ELb1EEENS1_16block_id_wrapperIjLb0EEEEEvT_jT0_jPNS7_10value_typeE
		.amdhsa_group_segment_fixed_size 0
		.amdhsa_private_segment_fixed_size 0
		.amdhsa_kernarg_size 288
		.amdhsa_user_sgpr_count 6
		.amdhsa_user_sgpr_private_segment_buffer 1
		.amdhsa_user_sgpr_dispatch_ptr 0
		.amdhsa_user_sgpr_queue_ptr 0
		.amdhsa_user_sgpr_kernarg_segment_ptr 1
		.amdhsa_user_sgpr_dispatch_id 0
		.amdhsa_user_sgpr_flat_scratch_init 0
		.amdhsa_user_sgpr_kernarg_preload_length 0
		.amdhsa_user_sgpr_kernarg_preload_offset 0
		.amdhsa_user_sgpr_private_segment_size 0
		.amdhsa_uses_dynamic_stack 0
		.amdhsa_system_sgpr_private_segment_wavefront_offset 0
		.amdhsa_system_sgpr_workgroup_id_x 1
		.amdhsa_system_sgpr_workgroup_id_y 0
		.amdhsa_system_sgpr_workgroup_id_z 0
		.amdhsa_system_sgpr_workgroup_info 0
		.amdhsa_system_vgpr_workitem_id 0
		.amdhsa_next_free_vgpr 6
		.amdhsa_next_free_sgpr 12
		.amdhsa_accum_offset 8
		.amdhsa_reserve_vcc 1
		.amdhsa_reserve_flat_scratch 0
		.amdhsa_float_round_mode_32 0
		.amdhsa_float_round_mode_16_64 0
		.amdhsa_float_denorm_mode_32 3
		.amdhsa_float_denorm_mode_16_64 3
		.amdhsa_dx10_clamp 1
		.amdhsa_ieee_mode 1
		.amdhsa_fp16_overflow 0
		.amdhsa_tg_split 0
		.amdhsa_exception_fp_ieee_invalid_op 0
		.amdhsa_exception_fp_denorm_src 0
		.amdhsa_exception_fp_ieee_div_zero 0
		.amdhsa_exception_fp_ieee_overflow 0
		.amdhsa_exception_fp_ieee_underflow 0
		.amdhsa_exception_fp_ieee_inexact 0
		.amdhsa_exception_int_div_zero 0
	.end_amdhsa_kernel
	.section	.text._ZN7rocprim17ROCPRIM_400000_NS6detail31init_lookback_scan_state_kernelINS1_19lookback_scan_stateIsLb1ELb1EEENS1_16block_id_wrapperIjLb0EEEEEvT_jT0_jPNS7_10value_typeE,"axG",@progbits,_ZN7rocprim17ROCPRIM_400000_NS6detail31init_lookback_scan_state_kernelINS1_19lookback_scan_stateIsLb1ELb1EEENS1_16block_id_wrapperIjLb0EEEEEvT_jT0_jPNS7_10value_typeE,comdat
.Lfunc_end923:
	.size	_ZN7rocprim17ROCPRIM_400000_NS6detail31init_lookback_scan_state_kernelINS1_19lookback_scan_stateIsLb1ELb1EEENS1_16block_id_wrapperIjLb0EEEEEvT_jT0_jPNS7_10value_typeE, .Lfunc_end923-_ZN7rocprim17ROCPRIM_400000_NS6detail31init_lookback_scan_state_kernelINS1_19lookback_scan_stateIsLb1ELb1EEENS1_16block_id_wrapperIjLb0EEEEEvT_jT0_jPNS7_10value_typeE
                                        ; -- End function
	.section	.AMDGPU.csdata,"",@progbits
; Kernel info:
; codeLenInByte = 356
; NumSgprs: 16
; NumVgprs: 6
; NumAgprs: 0
; TotalNumVgprs: 6
; ScratchSize: 0
; MemoryBound: 0
; FloatMode: 240
; IeeeMode: 1
; LDSByteSize: 0 bytes/workgroup (compile time only)
; SGPRBlocks: 1
; VGPRBlocks: 0
; NumSGPRsForWavesPerEU: 16
; NumVGPRsForWavesPerEU: 6
; AccumOffset: 8
; Occupancy: 8
; WaveLimiterHint : 0
; COMPUTE_PGM_RSRC2:SCRATCH_EN: 0
; COMPUTE_PGM_RSRC2:USER_SGPR: 6
; COMPUTE_PGM_RSRC2:TRAP_HANDLER: 0
; COMPUTE_PGM_RSRC2:TGID_X_EN: 1
; COMPUTE_PGM_RSRC2:TGID_Y_EN: 0
; COMPUTE_PGM_RSRC2:TGID_Z_EN: 0
; COMPUTE_PGM_RSRC2:TIDIG_COMP_CNT: 0
; COMPUTE_PGM_RSRC3_GFX90A:ACCUM_OFFSET: 1
; COMPUTE_PGM_RSRC3_GFX90A:TG_SPLIT: 0
	.section	.text._ZN7rocprim17ROCPRIM_400000_NS6detail17trampoline_kernelINS0_14default_configENS1_20scan_config_selectorIsEEZZNS1_9scan_implILNS1_25lookback_scan_determinismE0ELb0ELb0ES3_N6thrust23THRUST_200600_302600_NS6detail15normal_iteratorINS9_10device_ptrIsEEEESE_sNS9_4plusIvEEsEEDaPvRmT3_T4_T5_mT6_P12ihipStream_tbENKUlT_T0_E_clISt17integral_constantIbLb1EEST_IbLb0EEEEDaSP_SQ_EUlSP_E_NS1_11comp_targetILNS1_3genE0ELNS1_11target_archE4294967295ELNS1_3gpuE0ELNS1_3repE0EEENS1_30default_config_static_selectorELNS0_4arch9wavefront6targetE1EEEvT1_,"axG",@progbits,_ZN7rocprim17ROCPRIM_400000_NS6detail17trampoline_kernelINS0_14default_configENS1_20scan_config_selectorIsEEZZNS1_9scan_implILNS1_25lookback_scan_determinismE0ELb0ELb0ES3_N6thrust23THRUST_200600_302600_NS6detail15normal_iteratorINS9_10device_ptrIsEEEESE_sNS9_4plusIvEEsEEDaPvRmT3_T4_T5_mT6_P12ihipStream_tbENKUlT_T0_E_clISt17integral_constantIbLb1EEST_IbLb0EEEEDaSP_SQ_EUlSP_E_NS1_11comp_targetILNS1_3genE0ELNS1_11target_archE4294967295ELNS1_3gpuE0ELNS1_3repE0EEENS1_30default_config_static_selectorELNS0_4arch9wavefront6targetE1EEEvT1_,comdat
	.protected	_ZN7rocprim17ROCPRIM_400000_NS6detail17trampoline_kernelINS0_14default_configENS1_20scan_config_selectorIsEEZZNS1_9scan_implILNS1_25lookback_scan_determinismE0ELb0ELb0ES3_N6thrust23THRUST_200600_302600_NS6detail15normal_iteratorINS9_10device_ptrIsEEEESE_sNS9_4plusIvEEsEEDaPvRmT3_T4_T5_mT6_P12ihipStream_tbENKUlT_T0_E_clISt17integral_constantIbLb1EEST_IbLb0EEEEDaSP_SQ_EUlSP_E_NS1_11comp_targetILNS1_3genE0ELNS1_11target_archE4294967295ELNS1_3gpuE0ELNS1_3repE0EEENS1_30default_config_static_selectorELNS0_4arch9wavefront6targetE1EEEvT1_ ; -- Begin function _ZN7rocprim17ROCPRIM_400000_NS6detail17trampoline_kernelINS0_14default_configENS1_20scan_config_selectorIsEEZZNS1_9scan_implILNS1_25lookback_scan_determinismE0ELb0ELb0ES3_N6thrust23THRUST_200600_302600_NS6detail15normal_iteratorINS9_10device_ptrIsEEEESE_sNS9_4plusIvEEsEEDaPvRmT3_T4_T5_mT6_P12ihipStream_tbENKUlT_T0_E_clISt17integral_constantIbLb1EEST_IbLb0EEEEDaSP_SQ_EUlSP_E_NS1_11comp_targetILNS1_3genE0ELNS1_11target_archE4294967295ELNS1_3gpuE0ELNS1_3repE0EEENS1_30default_config_static_selectorELNS0_4arch9wavefront6targetE1EEEvT1_
	.globl	_ZN7rocprim17ROCPRIM_400000_NS6detail17trampoline_kernelINS0_14default_configENS1_20scan_config_selectorIsEEZZNS1_9scan_implILNS1_25lookback_scan_determinismE0ELb0ELb0ES3_N6thrust23THRUST_200600_302600_NS6detail15normal_iteratorINS9_10device_ptrIsEEEESE_sNS9_4plusIvEEsEEDaPvRmT3_T4_T5_mT6_P12ihipStream_tbENKUlT_T0_E_clISt17integral_constantIbLb1EEST_IbLb0EEEEDaSP_SQ_EUlSP_E_NS1_11comp_targetILNS1_3genE0ELNS1_11target_archE4294967295ELNS1_3gpuE0ELNS1_3repE0EEENS1_30default_config_static_selectorELNS0_4arch9wavefront6targetE1EEEvT1_
	.p2align	8
	.type	_ZN7rocprim17ROCPRIM_400000_NS6detail17trampoline_kernelINS0_14default_configENS1_20scan_config_selectorIsEEZZNS1_9scan_implILNS1_25lookback_scan_determinismE0ELb0ELb0ES3_N6thrust23THRUST_200600_302600_NS6detail15normal_iteratorINS9_10device_ptrIsEEEESE_sNS9_4plusIvEEsEEDaPvRmT3_T4_T5_mT6_P12ihipStream_tbENKUlT_T0_E_clISt17integral_constantIbLb1EEST_IbLb0EEEEDaSP_SQ_EUlSP_E_NS1_11comp_targetILNS1_3genE0ELNS1_11target_archE4294967295ELNS1_3gpuE0ELNS1_3repE0EEENS1_30default_config_static_selectorELNS0_4arch9wavefront6targetE1EEEvT1_,@function
_ZN7rocprim17ROCPRIM_400000_NS6detail17trampoline_kernelINS0_14default_configENS1_20scan_config_selectorIsEEZZNS1_9scan_implILNS1_25lookback_scan_determinismE0ELb0ELb0ES3_N6thrust23THRUST_200600_302600_NS6detail15normal_iteratorINS9_10device_ptrIsEEEESE_sNS9_4plusIvEEsEEDaPvRmT3_T4_T5_mT6_P12ihipStream_tbENKUlT_T0_E_clISt17integral_constantIbLb1EEST_IbLb0EEEEDaSP_SQ_EUlSP_E_NS1_11comp_targetILNS1_3genE0ELNS1_11target_archE4294967295ELNS1_3gpuE0ELNS1_3repE0EEENS1_30default_config_static_selectorELNS0_4arch9wavefront6targetE1EEEvT1_: ; @_ZN7rocprim17ROCPRIM_400000_NS6detail17trampoline_kernelINS0_14default_configENS1_20scan_config_selectorIsEEZZNS1_9scan_implILNS1_25lookback_scan_determinismE0ELb0ELb0ES3_N6thrust23THRUST_200600_302600_NS6detail15normal_iteratorINS9_10device_ptrIsEEEESE_sNS9_4plusIvEEsEEDaPvRmT3_T4_T5_mT6_P12ihipStream_tbENKUlT_T0_E_clISt17integral_constantIbLb1EEST_IbLb0EEEEDaSP_SQ_EUlSP_E_NS1_11comp_targetILNS1_3genE0ELNS1_11target_archE4294967295ELNS1_3gpuE0ELNS1_3repE0EEENS1_30default_config_static_selectorELNS0_4arch9wavefront6targetE1EEEvT1_
; %bb.0:
	.section	.rodata,"a",@progbits
	.p2align	6, 0x0
	.amdhsa_kernel _ZN7rocprim17ROCPRIM_400000_NS6detail17trampoline_kernelINS0_14default_configENS1_20scan_config_selectorIsEEZZNS1_9scan_implILNS1_25lookback_scan_determinismE0ELb0ELb0ES3_N6thrust23THRUST_200600_302600_NS6detail15normal_iteratorINS9_10device_ptrIsEEEESE_sNS9_4plusIvEEsEEDaPvRmT3_T4_T5_mT6_P12ihipStream_tbENKUlT_T0_E_clISt17integral_constantIbLb1EEST_IbLb0EEEEDaSP_SQ_EUlSP_E_NS1_11comp_targetILNS1_3genE0ELNS1_11target_archE4294967295ELNS1_3gpuE0ELNS1_3repE0EEENS1_30default_config_static_selectorELNS0_4arch9wavefront6targetE1EEEvT1_
		.amdhsa_group_segment_fixed_size 0
		.amdhsa_private_segment_fixed_size 0
		.amdhsa_kernarg_size 96
		.amdhsa_user_sgpr_count 6
		.amdhsa_user_sgpr_private_segment_buffer 1
		.amdhsa_user_sgpr_dispatch_ptr 0
		.amdhsa_user_sgpr_queue_ptr 0
		.amdhsa_user_sgpr_kernarg_segment_ptr 1
		.amdhsa_user_sgpr_dispatch_id 0
		.amdhsa_user_sgpr_flat_scratch_init 0
		.amdhsa_user_sgpr_kernarg_preload_length 0
		.amdhsa_user_sgpr_kernarg_preload_offset 0
		.amdhsa_user_sgpr_private_segment_size 0
		.amdhsa_uses_dynamic_stack 0
		.amdhsa_system_sgpr_private_segment_wavefront_offset 0
		.amdhsa_system_sgpr_workgroup_id_x 1
		.amdhsa_system_sgpr_workgroup_id_y 0
		.amdhsa_system_sgpr_workgroup_id_z 0
		.amdhsa_system_sgpr_workgroup_info 0
		.amdhsa_system_vgpr_workitem_id 0
		.amdhsa_next_free_vgpr 1
		.amdhsa_next_free_sgpr 0
		.amdhsa_accum_offset 4
		.amdhsa_reserve_vcc 0
		.amdhsa_reserve_flat_scratch 0
		.amdhsa_float_round_mode_32 0
		.amdhsa_float_round_mode_16_64 0
		.amdhsa_float_denorm_mode_32 3
		.amdhsa_float_denorm_mode_16_64 3
		.amdhsa_dx10_clamp 1
		.amdhsa_ieee_mode 1
		.amdhsa_fp16_overflow 0
		.amdhsa_tg_split 0
		.amdhsa_exception_fp_ieee_invalid_op 0
		.amdhsa_exception_fp_denorm_src 0
		.amdhsa_exception_fp_ieee_div_zero 0
		.amdhsa_exception_fp_ieee_overflow 0
		.amdhsa_exception_fp_ieee_underflow 0
		.amdhsa_exception_fp_ieee_inexact 0
		.amdhsa_exception_int_div_zero 0
	.end_amdhsa_kernel
	.section	.text._ZN7rocprim17ROCPRIM_400000_NS6detail17trampoline_kernelINS0_14default_configENS1_20scan_config_selectorIsEEZZNS1_9scan_implILNS1_25lookback_scan_determinismE0ELb0ELb0ES3_N6thrust23THRUST_200600_302600_NS6detail15normal_iteratorINS9_10device_ptrIsEEEESE_sNS9_4plusIvEEsEEDaPvRmT3_T4_T5_mT6_P12ihipStream_tbENKUlT_T0_E_clISt17integral_constantIbLb1EEST_IbLb0EEEEDaSP_SQ_EUlSP_E_NS1_11comp_targetILNS1_3genE0ELNS1_11target_archE4294967295ELNS1_3gpuE0ELNS1_3repE0EEENS1_30default_config_static_selectorELNS0_4arch9wavefront6targetE1EEEvT1_,"axG",@progbits,_ZN7rocprim17ROCPRIM_400000_NS6detail17trampoline_kernelINS0_14default_configENS1_20scan_config_selectorIsEEZZNS1_9scan_implILNS1_25lookback_scan_determinismE0ELb0ELb0ES3_N6thrust23THRUST_200600_302600_NS6detail15normal_iteratorINS9_10device_ptrIsEEEESE_sNS9_4plusIvEEsEEDaPvRmT3_T4_T5_mT6_P12ihipStream_tbENKUlT_T0_E_clISt17integral_constantIbLb1EEST_IbLb0EEEEDaSP_SQ_EUlSP_E_NS1_11comp_targetILNS1_3genE0ELNS1_11target_archE4294967295ELNS1_3gpuE0ELNS1_3repE0EEENS1_30default_config_static_selectorELNS0_4arch9wavefront6targetE1EEEvT1_,comdat
.Lfunc_end924:
	.size	_ZN7rocprim17ROCPRIM_400000_NS6detail17trampoline_kernelINS0_14default_configENS1_20scan_config_selectorIsEEZZNS1_9scan_implILNS1_25lookback_scan_determinismE0ELb0ELb0ES3_N6thrust23THRUST_200600_302600_NS6detail15normal_iteratorINS9_10device_ptrIsEEEESE_sNS9_4plusIvEEsEEDaPvRmT3_T4_T5_mT6_P12ihipStream_tbENKUlT_T0_E_clISt17integral_constantIbLb1EEST_IbLb0EEEEDaSP_SQ_EUlSP_E_NS1_11comp_targetILNS1_3genE0ELNS1_11target_archE4294967295ELNS1_3gpuE0ELNS1_3repE0EEENS1_30default_config_static_selectorELNS0_4arch9wavefront6targetE1EEEvT1_, .Lfunc_end924-_ZN7rocprim17ROCPRIM_400000_NS6detail17trampoline_kernelINS0_14default_configENS1_20scan_config_selectorIsEEZZNS1_9scan_implILNS1_25lookback_scan_determinismE0ELb0ELb0ES3_N6thrust23THRUST_200600_302600_NS6detail15normal_iteratorINS9_10device_ptrIsEEEESE_sNS9_4plusIvEEsEEDaPvRmT3_T4_T5_mT6_P12ihipStream_tbENKUlT_T0_E_clISt17integral_constantIbLb1EEST_IbLb0EEEEDaSP_SQ_EUlSP_E_NS1_11comp_targetILNS1_3genE0ELNS1_11target_archE4294967295ELNS1_3gpuE0ELNS1_3repE0EEENS1_30default_config_static_selectorELNS0_4arch9wavefront6targetE1EEEvT1_
                                        ; -- End function
	.section	.AMDGPU.csdata,"",@progbits
; Kernel info:
; codeLenInByte = 0
; NumSgprs: 4
; NumVgprs: 0
; NumAgprs: 0
; TotalNumVgprs: 0
; ScratchSize: 0
; MemoryBound: 0
; FloatMode: 240
; IeeeMode: 1
; LDSByteSize: 0 bytes/workgroup (compile time only)
; SGPRBlocks: 0
; VGPRBlocks: 0
; NumSGPRsForWavesPerEU: 4
; NumVGPRsForWavesPerEU: 1
; AccumOffset: 4
; Occupancy: 8
; WaveLimiterHint : 0
; COMPUTE_PGM_RSRC2:SCRATCH_EN: 0
; COMPUTE_PGM_RSRC2:USER_SGPR: 6
; COMPUTE_PGM_RSRC2:TRAP_HANDLER: 0
; COMPUTE_PGM_RSRC2:TGID_X_EN: 1
; COMPUTE_PGM_RSRC2:TGID_Y_EN: 0
; COMPUTE_PGM_RSRC2:TGID_Z_EN: 0
; COMPUTE_PGM_RSRC2:TIDIG_COMP_CNT: 0
; COMPUTE_PGM_RSRC3_GFX90A:ACCUM_OFFSET: 0
; COMPUTE_PGM_RSRC3_GFX90A:TG_SPLIT: 0
	.section	.text._ZN7rocprim17ROCPRIM_400000_NS6detail17trampoline_kernelINS0_14default_configENS1_20scan_config_selectorIsEEZZNS1_9scan_implILNS1_25lookback_scan_determinismE0ELb0ELb0ES3_N6thrust23THRUST_200600_302600_NS6detail15normal_iteratorINS9_10device_ptrIsEEEESE_sNS9_4plusIvEEsEEDaPvRmT3_T4_T5_mT6_P12ihipStream_tbENKUlT_T0_E_clISt17integral_constantIbLb1EEST_IbLb0EEEEDaSP_SQ_EUlSP_E_NS1_11comp_targetILNS1_3genE5ELNS1_11target_archE942ELNS1_3gpuE9ELNS1_3repE0EEENS1_30default_config_static_selectorELNS0_4arch9wavefront6targetE1EEEvT1_,"axG",@progbits,_ZN7rocprim17ROCPRIM_400000_NS6detail17trampoline_kernelINS0_14default_configENS1_20scan_config_selectorIsEEZZNS1_9scan_implILNS1_25lookback_scan_determinismE0ELb0ELb0ES3_N6thrust23THRUST_200600_302600_NS6detail15normal_iteratorINS9_10device_ptrIsEEEESE_sNS9_4plusIvEEsEEDaPvRmT3_T4_T5_mT6_P12ihipStream_tbENKUlT_T0_E_clISt17integral_constantIbLb1EEST_IbLb0EEEEDaSP_SQ_EUlSP_E_NS1_11comp_targetILNS1_3genE5ELNS1_11target_archE942ELNS1_3gpuE9ELNS1_3repE0EEENS1_30default_config_static_selectorELNS0_4arch9wavefront6targetE1EEEvT1_,comdat
	.protected	_ZN7rocprim17ROCPRIM_400000_NS6detail17trampoline_kernelINS0_14default_configENS1_20scan_config_selectorIsEEZZNS1_9scan_implILNS1_25lookback_scan_determinismE0ELb0ELb0ES3_N6thrust23THRUST_200600_302600_NS6detail15normal_iteratorINS9_10device_ptrIsEEEESE_sNS9_4plusIvEEsEEDaPvRmT3_T4_T5_mT6_P12ihipStream_tbENKUlT_T0_E_clISt17integral_constantIbLb1EEST_IbLb0EEEEDaSP_SQ_EUlSP_E_NS1_11comp_targetILNS1_3genE5ELNS1_11target_archE942ELNS1_3gpuE9ELNS1_3repE0EEENS1_30default_config_static_selectorELNS0_4arch9wavefront6targetE1EEEvT1_ ; -- Begin function _ZN7rocprim17ROCPRIM_400000_NS6detail17trampoline_kernelINS0_14default_configENS1_20scan_config_selectorIsEEZZNS1_9scan_implILNS1_25lookback_scan_determinismE0ELb0ELb0ES3_N6thrust23THRUST_200600_302600_NS6detail15normal_iteratorINS9_10device_ptrIsEEEESE_sNS9_4plusIvEEsEEDaPvRmT3_T4_T5_mT6_P12ihipStream_tbENKUlT_T0_E_clISt17integral_constantIbLb1EEST_IbLb0EEEEDaSP_SQ_EUlSP_E_NS1_11comp_targetILNS1_3genE5ELNS1_11target_archE942ELNS1_3gpuE9ELNS1_3repE0EEENS1_30default_config_static_selectorELNS0_4arch9wavefront6targetE1EEEvT1_
	.globl	_ZN7rocprim17ROCPRIM_400000_NS6detail17trampoline_kernelINS0_14default_configENS1_20scan_config_selectorIsEEZZNS1_9scan_implILNS1_25lookback_scan_determinismE0ELb0ELb0ES3_N6thrust23THRUST_200600_302600_NS6detail15normal_iteratorINS9_10device_ptrIsEEEESE_sNS9_4plusIvEEsEEDaPvRmT3_T4_T5_mT6_P12ihipStream_tbENKUlT_T0_E_clISt17integral_constantIbLb1EEST_IbLb0EEEEDaSP_SQ_EUlSP_E_NS1_11comp_targetILNS1_3genE5ELNS1_11target_archE942ELNS1_3gpuE9ELNS1_3repE0EEENS1_30default_config_static_selectorELNS0_4arch9wavefront6targetE1EEEvT1_
	.p2align	8
	.type	_ZN7rocprim17ROCPRIM_400000_NS6detail17trampoline_kernelINS0_14default_configENS1_20scan_config_selectorIsEEZZNS1_9scan_implILNS1_25lookback_scan_determinismE0ELb0ELb0ES3_N6thrust23THRUST_200600_302600_NS6detail15normal_iteratorINS9_10device_ptrIsEEEESE_sNS9_4plusIvEEsEEDaPvRmT3_T4_T5_mT6_P12ihipStream_tbENKUlT_T0_E_clISt17integral_constantIbLb1EEST_IbLb0EEEEDaSP_SQ_EUlSP_E_NS1_11comp_targetILNS1_3genE5ELNS1_11target_archE942ELNS1_3gpuE9ELNS1_3repE0EEENS1_30default_config_static_selectorELNS0_4arch9wavefront6targetE1EEEvT1_,@function
_ZN7rocprim17ROCPRIM_400000_NS6detail17trampoline_kernelINS0_14default_configENS1_20scan_config_selectorIsEEZZNS1_9scan_implILNS1_25lookback_scan_determinismE0ELb0ELb0ES3_N6thrust23THRUST_200600_302600_NS6detail15normal_iteratorINS9_10device_ptrIsEEEESE_sNS9_4plusIvEEsEEDaPvRmT3_T4_T5_mT6_P12ihipStream_tbENKUlT_T0_E_clISt17integral_constantIbLb1EEST_IbLb0EEEEDaSP_SQ_EUlSP_E_NS1_11comp_targetILNS1_3genE5ELNS1_11target_archE942ELNS1_3gpuE9ELNS1_3repE0EEENS1_30default_config_static_selectorELNS0_4arch9wavefront6targetE1EEEvT1_: ; @_ZN7rocprim17ROCPRIM_400000_NS6detail17trampoline_kernelINS0_14default_configENS1_20scan_config_selectorIsEEZZNS1_9scan_implILNS1_25lookback_scan_determinismE0ELb0ELb0ES3_N6thrust23THRUST_200600_302600_NS6detail15normal_iteratorINS9_10device_ptrIsEEEESE_sNS9_4plusIvEEsEEDaPvRmT3_T4_T5_mT6_P12ihipStream_tbENKUlT_T0_E_clISt17integral_constantIbLb1EEST_IbLb0EEEEDaSP_SQ_EUlSP_E_NS1_11comp_targetILNS1_3genE5ELNS1_11target_archE942ELNS1_3gpuE9ELNS1_3repE0EEENS1_30default_config_static_selectorELNS0_4arch9wavefront6targetE1EEEvT1_
; %bb.0:
	.section	.rodata,"a",@progbits
	.p2align	6, 0x0
	.amdhsa_kernel _ZN7rocprim17ROCPRIM_400000_NS6detail17trampoline_kernelINS0_14default_configENS1_20scan_config_selectorIsEEZZNS1_9scan_implILNS1_25lookback_scan_determinismE0ELb0ELb0ES3_N6thrust23THRUST_200600_302600_NS6detail15normal_iteratorINS9_10device_ptrIsEEEESE_sNS9_4plusIvEEsEEDaPvRmT3_T4_T5_mT6_P12ihipStream_tbENKUlT_T0_E_clISt17integral_constantIbLb1EEST_IbLb0EEEEDaSP_SQ_EUlSP_E_NS1_11comp_targetILNS1_3genE5ELNS1_11target_archE942ELNS1_3gpuE9ELNS1_3repE0EEENS1_30default_config_static_selectorELNS0_4arch9wavefront6targetE1EEEvT1_
		.amdhsa_group_segment_fixed_size 0
		.amdhsa_private_segment_fixed_size 0
		.amdhsa_kernarg_size 96
		.amdhsa_user_sgpr_count 6
		.amdhsa_user_sgpr_private_segment_buffer 1
		.amdhsa_user_sgpr_dispatch_ptr 0
		.amdhsa_user_sgpr_queue_ptr 0
		.amdhsa_user_sgpr_kernarg_segment_ptr 1
		.amdhsa_user_sgpr_dispatch_id 0
		.amdhsa_user_sgpr_flat_scratch_init 0
		.amdhsa_user_sgpr_kernarg_preload_length 0
		.amdhsa_user_sgpr_kernarg_preload_offset 0
		.amdhsa_user_sgpr_private_segment_size 0
		.amdhsa_uses_dynamic_stack 0
		.amdhsa_system_sgpr_private_segment_wavefront_offset 0
		.amdhsa_system_sgpr_workgroup_id_x 1
		.amdhsa_system_sgpr_workgroup_id_y 0
		.amdhsa_system_sgpr_workgroup_id_z 0
		.amdhsa_system_sgpr_workgroup_info 0
		.amdhsa_system_vgpr_workitem_id 0
		.amdhsa_next_free_vgpr 1
		.amdhsa_next_free_sgpr 0
		.amdhsa_accum_offset 4
		.amdhsa_reserve_vcc 0
		.amdhsa_reserve_flat_scratch 0
		.amdhsa_float_round_mode_32 0
		.amdhsa_float_round_mode_16_64 0
		.amdhsa_float_denorm_mode_32 3
		.amdhsa_float_denorm_mode_16_64 3
		.amdhsa_dx10_clamp 1
		.amdhsa_ieee_mode 1
		.amdhsa_fp16_overflow 0
		.amdhsa_tg_split 0
		.amdhsa_exception_fp_ieee_invalid_op 0
		.amdhsa_exception_fp_denorm_src 0
		.amdhsa_exception_fp_ieee_div_zero 0
		.amdhsa_exception_fp_ieee_overflow 0
		.amdhsa_exception_fp_ieee_underflow 0
		.amdhsa_exception_fp_ieee_inexact 0
		.amdhsa_exception_int_div_zero 0
	.end_amdhsa_kernel
	.section	.text._ZN7rocprim17ROCPRIM_400000_NS6detail17trampoline_kernelINS0_14default_configENS1_20scan_config_selectorIsEEZZNS1_9scan_implILNS1_25lookback_scan_determinismE0ELb0ELb0ES3_N6thrust23THRUST_200600_302600_NS6detail15normal_iteratorINS9_10device_ptrIsEEEESE_sNS9_4plusIvEEsEEDaPvRmT3_T4_T5_mT6_P12ihipStream_tbENKUlT_T0_E_clISt17integral_constantIbLb1EEST_IbLb0EEEEDaSP_SQ_EUlSP_E_NS1_11comp_targetILNS1_3genE5ELNS1_11target_archE942ELNS1_3gpuE9ELNS1_3repE0EEENS1_30default_config_static_selectorELNS0_4arch9wavefront6targetE1EEEvT1_,"axG",@progbits,_ZN7rocprim17ROCPRIM_400000_NS6detail17trampoline_kernelINS0_14default_configENS1_20scan_config_selectorIsEEZZNS1_9scan_implILNS1_25lookback_scan_determinismE0ELb0ELb0ES3_N6thrust23THRUST_200600_302600_NS6detail15normal_iteratorINS9_10device_ptrIsEEEESE_sNS9_4plusIvEEsEEDaPvRmT3_T4_T5_mT6_P12ihipStream_tbENKUlT_T0_E_clISt17integral_constantIbLb1EEST_IbLb0EEEEDaSP_SQ_EUlSP_E_NS1_11comp_targetILNS1_3genE5ELNS1_11target_archE942ELNS1_3gpuE9ELNS1_3repE0EEENS1_30default_config_static_selectorELNS0_4arch9wavefront6targetE1EEEvT1_,comdat
.Lfunc_end925:
	.size	_ZN7rocprim17ROCPRIM_400000_NS6detail17trampoline_kernelINS0_14default_configENS1_20scan_config_selectorIsEEZZNS1_9scan_implILNS1_25lookback_scan_determinismE0ELb0ELb0ES3_N6thrust23THRUST_200600_302600_NS6detail15normal_iteratorINS9_10device_ptrIsEEEESE_sNS9_4plusIvEEsEEDaPvRmT3_T4_T5_mT6_P12ihipStream_tbENKUlT_T0_E_clISt17integral_constantIbLb1EEST_IbLb0EEEEDaSP_SQ_EUlSP_E_NS1_11comp_targetILNS1_3genE5ELNS1_11target_archE942ELNS1_3gpuE9ELNS1_3repE0EEENS1_30default_config_static_selectorELNS0_4arch9wavefront6targetE1EEEvT1_, .Lfunc_end925-_ZN7rocprim17ROCPRIM_400000_NS6detail17trampoline_kernelINS0_14default_configENS1_20scan_config_selectorIsEEZZNS1_9scan_implILNS1_25lookback_scan_determinismE0ELb0ELb0ES3_N6thrust23THRUST_200600_302600_NS6detail15normal_iteratorINS9_10device_ptrIsEEEESE_sNS9_4plusIvEEsEEDaPvRmT3_T4_T5_mT6_P12ihipStream_tbENKUlT_T0_E_clISt17integral_constantIbLb1EEST_IbLb0EEEEDaSP_SQ_EUlSP_E_NS1_11comp_targetILNS1_3genE5ELNS1_11target_archE942ELNS1_3gpuE9ELNS1_3repE0EEENS1_30default_config_static_selectorELNS0_4arch9wavefront6targetE1EEEvT1_
                                        ; -- End function
	.section	.AMDGPU.csdata,"",@progbits
; Kernel info:
; codeLenInByte = 0
; NumSgprs: 4
; NumVgprs: 0
; NumAgprs: 0
; TotalNumVgprs: 0
; ScratchSize: 0
; MemoryBound: 0
; FloatMode: 240
; IeeeMode: 1
; LDSByteSize: 0 bytes/workgroup (compile time only)
; SGPRBlocks: 0
; VGPRBlocks: 0
; NumSGPRsForWavesPerEU: 4
; NumVGPRsForWavesPerEU: 1
; AccumOffset: 4
; Occupancy: 8
; WaveLimiterHint : 0
; COMPUTE_PGM_RSRC2:SCRATCH_EN: 0
; COMPUTE_PGM_RSRC2:USER_SGPR: 6
; COMPUTE_PGM_RSRC2:TRAP_HANDLER: 0
; COMPUTE_PGM_RSRC2:TGID_X_EN: 1
; COMPUTE_PGM_RSRC2:TGID_Y_EN: 0
; COMPUTE_PGM_RSRC2:TGID_Z_EN: 0
; COMPUTE_PGM_RSRC2:TIDIG_COMP_CNT: 0
; COMPUTE_PGM_RSRC3_GFX90A:ACCUM_OFFSET: 0
; COMPUTE_PGM_RSRC3_GFX90A:TG_SPLIT: 0
	.section	.text._ZN7rocprim17ROCPRIM_400000_NS6detail17trampoline_kernelINS0_14default_configENS1_20scan_config_selectorIsEEZZNS1_9scan_implILNS1_25lookback_scan_determinismE0ELb0ELb0ES3_N6thrust23THRUST_200600_302600_NS6detail15normal_iteratorINS9_10device_ptrIsEEEESE_sNS9_4plusIvEEsEEDaPvRmT3_T4_T5_mT6_P12ihipStream_tbENKUlT_T0_E_clISt17integral_constantIbLb1EEST_IbLb0EEEEDaSP_SQ_EUlSP_E_NS1_11comp_targetILNS1_3genE4ELNS1_11target_archE910ELNS1_3gpuE8ELNS1_3repE0EEENS1_30default_config_static_selectorELNS0_4arch9wavefront6targetE1EEEvT1_,"axG",@progbits,_ZN7rocprim17ROCPRIM_400000_NS6detail17trampoline_kernelINS0_14default_configENS1_20scan_config_selectorIsEEZZNS1_9scan_implILNS1_25lookback_scan_determinismE0ELb0ELb0ES3_N6thrust23THRUST_200600_302600_NS6detail15normal_iteratorINS9_10device_ptrIsEEEESE_sNS9_4plusIvEEsEEDaPvRmT3_T4_T5_mT6_P12ihipStream_tbENKUlT_T0_E_clISt17integral_constantIbLb1EEST_IbLb0EEEEDaSP_SQ_EUlSP_E_NS1_11comp_targetILNS1_3genE4ELNS1_11target_archE910ELNS1_3gpuE8ELNS1_3repE0EEENS1_30default_config_static_selectorELNS0_4arch9wavefront6targetE1EEEvT1_,comdat
	.protected	_ZN7rocprim17ROCPRIM_400000_NS6detail17trampoline_kernelINS0_14default_configENS1_20scan_config_selectorIsEEZZNS1_9scan_implILNS1_25lookback_scan_determinismE0ELb0ELb0ES3_N6thrust23THRUST_200600_302600_NS6detail15normal_iteratorINS9_10device_ptrIsEEEESE_sNS9_4plusIvEEsEEDaPvRmT3_T4_T5_mT6_P12ihipStream_tbENKUlT_T0_E_clISt17integral_constantIbLb1EEST_IbLb0EEEEDaSP_SQ_EUlSP_E_NS1_11comp_targetILNS1_3genE4ELNS1_11target_archE910ELNS1_3gpuE8ELNS1_3repE0EEENS1_30default_config_static_selectorELNS0_4arch9wavefront6targetE1EEEvT1_ ; -- Begin function _ZN7rocprim17ROCPRIM_400000_NS6detail17trampoline_kernelINS0_14default_configENS1_20scan_config_selectorIsEEZZNS1_9scan_implILNS1_25lookback_scan_determinismE0ELb0ELb0ES3_N6thrust23THRUST_200600_302600_NS6detail15normal_iteratorINS9_10device_ptrIsEEEESE_sNS9_4plusIvEEsEEDaPvRmT3_T4_T5_mT6_P12ihipStream_tbENKUlT_T0_E_clISt17integral_constantIbLb1EEST_IbLb0EEEEDaSP_SQ_EUlSP_E_NS1_11comp_targetILNS1_3genE4ELNS1_11target_archE910ELNS1_3gpuE8ELNS1_3repE0EEENS1_30default_config_static_selectorELNS0_4arch9wavefront6targetE1EEEvT1_
	.globl	_ZN7rocprim17ROCPRIM_400000_NS6detail17trampoline_kernelINS0_14default_configENS1_20scan_config_selectorIsEEZZNS1_9scan_implILNS1_25lookback_scan_determinismE0ELb0ELb0ES3_N6thrust23THRUST_200600_302600_NS6detail15normal_iteratorINS9_10device_ptrIsEEEESE_sNS9_4plusIvEEsEEDaPvRmT3_T4_T5_mT6_P12ihipStream_tbENKUlT_T0_E_clISt17integral_constantIbLb1EEST_IbLb0EEEEDaSP_SQ_EUlSP_E_NS1_11comp_targetILNS1_3genE4ELNS1_11target_archE910ELNS1_3gpuE8ELNS1_3repE0EEENS1_30default_config_static_selectorELNS0_4arch9wavefront6targetE1EEEvT1_
	.p2align	8
	.type	_ZN7rocprim17ROCPRIM_400000_NS6detail17trampoline_kernelINS0_14default_configENS1_20scan_config_selectorIsEEZZNS1_9scan_implILNS1_25lookback_scan_determinismE0ELb0ELb0ES3_N6thrust23THRUST_200600_302600_NS6detail15normal_iteratorINS9_10device_ptrIsEEEESE_sNS9_4plusIvEEsEEDaPvRmT3_T4_T5_mT6_P12ihipStream_tbENKUlT_T0_E_clISt17integral_constantIbLb1EEST_IbLb0EEEEDaSP_SQ_EUlSP_E_NS1_11comp_targetILNS1_3genE4ELNS1_11target_archE910ELNS1_3gpuE8ELNS1_3repE0EEENS1_30default_config_static_selectorELNS0_4arch9wavefront6targetE1EEEvT1_,@function
_ZN7rocprim17ROCPRIM_400000_NS6detail17trampoline_kernelINS0_14default_configENS1_20scan_config_selectorIsEEZZNS1_9scan_implILNS1_25lookback_scan_determinismE0ELb0ELb0ES3_N6thrust23THRUST_200600_302600_NS6detail15normal_iteratorINS9_10device_ptrIsEEEESE_sNS9_4plusIvEEsEEDaPvRmT3_T4_T5_mT6_P12ihipStream_tbENKUlT_T0_E_clISt17integral_constantIbLb1EEST_IbLb0EEEEDaSP_SQ_EUlSP_E_NS1_11comp_targetILNS1_3genE4ELNS1_11target_archE910ELNS1_3gpuE8ELNS1_3repE0EEENS1_30default_config_static_selectorELNS0_4arch9wavefront6targetE1EEEvT1_: ; @_ZN7rocprim17ROCPRIM_400000_NS6detail17trampoline_kernelINS0_14default_configENS1_20scan_config_selectorIsEEZZNS1_9scan_implILNS1_25lookback_scan_determinismE0ELb0ELb0ES3_N6thrust23THRUST_200600_302600_NS6detail15normal_iteratorINS9_10device_ptrIsEEEESE_sNS9_4plusIvEEsEEDaPvRmT3_T4_T5_mT6_P12ihipStream_tbENKUlT_T0_E_clISt17integral_constantIbLb1EEST_IbLb0EEEEDaSP_SQ_EUlSP_E_NS1_11comp_targetILNS1_3genE4ELNS1_11target_archE910ELNS1_3gpuE8ELNS1_3repE0EEENS1_30default_config_static_selectorELNS0_4arch9wavefront6targetE1EEEvT1_
; %bb.0:
	s_load_dwordx8 s[8:15], s[4:5], 0x0
	s_load_dword s1, s[4:5], 0x30
	s_mul_i32 s0, s6, 0x600
	v_lshlrev_b32_e32 v20, 1, v0
	s_waitcnt lgkmcnt(0)
	s_lshl_b64 s[16:17], s[10:11], 1
	s_add_u32 s2, s8, s16
	s_addc_u32 s3, s9, s17
	s_add_i32 s7, s1, -1
	s_mul_i32 s8, s7, 0x600
	s_sub_u32 s22, s14, s8
	s_subb_u32 s23, s15, 0
	s_mov_b32 s1, 0
	s_cmp_lg_u32 s6, s7
	s_cselect_b64 s[14:15], -1, 0
	s_lshl_b64 s[18:19], s[0:1], 1
	s_add_u32 s2, s2, s18
	s_addc_u32 s3, s3, s19
	s_mov_b64 s[0:1], -1
	s_and_b64 vcc, exec, s[14:15]
	s_cbranch_vccz .LBB926_2
; %bb.1:
	v_mov_b32_e32 v1, s3
	v_add_co_u32_e32 v2, vcc, s2, v20
	v_addc_co_u32_e32 v3, vcc, 0, v1, vcc
	flat_load_ushort v1, v[2:3]
	flat_load_ushort v4, v[2:3] offset:128
	flat_load_ushort v5, v[2:3] offset:256
	;; [unrolled: 1-line block ×23, first 2 shown]
	s_mov_b64 s[0:1], 0
	s_waitcnt vmcnt(0) lgkmcnt(0)
	ds_write_b16 v20, v1
	ds_write_b16 v20, v4 offset:128
	ds_write_b16 v20, v5 offset:256
	;; [unrolled: 1-line block ×23, first 2 shown]
	s_waitcnt lgkmcnt(0)
	; wave barrier
.LBB926_2:
	s_load_dwordx2 s[20:21], s[4:5], 0x28
	s_andn2_b64 vcc, exec, s[0:1]
	v_cmp_gt_u32_e64 s[0:1], s22, v0
	s_cbranch_vccnz .LBB926_52
; %bb.3:
	v_pk_mov_b32 v[2:3], s[2:3], s[2:3] op_sel:[0,1]
	flat_load_ushort v1, v[2:3]
	s_waitcnt vmcnt(0) lgkmcnt(0)
	v_mov_b32_e32 v2, v1
	s_and_saveexec_b64 s[8:9], s[0:1]
	s_cbranch_execz .LBB926_5
; %bb.4:
	v_mov_b32_e32 v3, s3
	v_add_co_u32_e32 v2, vcc, s2, v20
	v_addc_co_u32_e32 v3, vcc, 0, v3, vcc
	flat_load_ushort v2, v[2:3]
.LBB926_5:
	s_or_b64 exec, exec, s[8:9]
	v_or_b32_e32 v3, 64, v0
	v_cmp_gt_u32_e32 vcc, s22, v3
	v_mov_b32_e32 v3, v1
	s_and_saveexec_b64 s[0:1], vcc
	s_cbranch_execz .LBB926_7
; %bb.6:
	v_mov_b32_e32 v3, s3
	v_add_co_u32_e32 v4, vcc, s2, v20
	v_addc_co_u32_e32 v5, vcc, 0, v3, vcc
	flat_load_ushort v3, v[4:5] offset:128
.LBB926_7:
	s_or_b64 exec, exec, s[0:1]
	v_or_b32_e32 v4, 0x80, v0
	v_cmp_gt_u32_e32 vcc, s22, v4
	v_mov_b32_e32 v4, v1
	s_and_saveexec_b64 s[0:1], vcc
	s_cbranch_execz .LBB926_9
; %bb.8:
	v_mov_b32_e32 v5, s3
	v_add_co_u32_e32 v4, vcc, s2, v20
	v_addc_co_u32_e32 v5, vcc, 0, v5, vcc
	flat_load_ushort v4, v[4:5] offset:256
.LBB926_9:
	;; [unrolled: 12-line block ×22, first 2 shown]
	s_or_b64 exec, exec, s[0:1]
	v_or_b32_e32 v26, 0x5c0, v0
	v_cmp_gt_u32_e32 vcc, s22, v26
	s_and_saveexec_b64 s[0:1], vcc
	s_cbranch_execz .LBB926_51
; %bb.50:
	v_mov_b32_e32 v1, s3
	v_add_co_u32_e32 v26, vcc, s2, v20
	v_addc_co_u32_e32 v27, vcc, 0, v1, vcc
	flat_load_ushort v1, v[26:27] offset:2944
.LBB926_51:
	s_or_b64 exec, exec, s[0:1]
	s_waitcnt vmcnt(0) lgkmcnt(0)
	ds_write_b16 v20, v2
	ds_write_b16 v20, v3 offset:128
	ds_write_b16 v20, v4 offset:256
	;; [unrolled: 1-line block ×23, first 2 shown]
	s_waitcnt lgkmcnt(0)
	; wave barrier
.LBB926_52:
	v_mul_u32_u24_e32 v21, 24, v0
	v_lshlrev_b32_e32 v1, 1, v21
	s_waitcnt lgkmcnt(0)
	ds_read_b128 v[10:13], v1
	ds_read_b128 v[6:9], v1 offset:16
	ds_read_b128 v[2:5], v1 offset:32
	s_cmp_lg_u32 s6, 0
	v_mbcnt_lo_u32_b32 v22, -1, 0
	v_cmp_eq_u32_e32 vcc, 63, v0
	s_waitcnt lgkmcnt(0)
	; wave barrier
	s_waitcnt lgkmcnt(0)
	s_cbranch_scc0 .LBB926_79
; %bb.53:
	v_add_u16_sdwa v14, v10, v10 dst_sel:DWORD dst_unused:UNUSED_PAD src0_sel:WORD_1 src1_sel:DWORD
	v_add_u16_e32 v14, v14, v11
	v_add_u16_sdwa v14, v14, v11 dst_sel:DWORD dst_unused:UNUSED_PAD src0_sel:DWORD src1_sel:WORD_1
	v_add_u16_e32 v14, v14, v12
	v_add_u16_sdwa v14, v14, v12 dst_sel:DWORD dst_unused:UNUSED_PAD src0_sel:DWORD src1_sel:WORD_1
	v_add_u16_e32 v14, v14, v13
	v_add_u16_sdwa v14, v14, v13 dst_sel:DWORD dst_unused:UNUSED_PAD src0_sel:DWORD src1_sel:WORD_1
	v_add_u16_e32 v14, v14, v6
	v_add_u16_sdwa v14, v14, v6 dst_sel:DWORD dst_unused:UNUSED_PAD src0_sel:DWORD src1_sel:WORD_1
	v_add_u16_e32 v14, v14, v7
	v_add_u16_sdwa v14, v14, v7 dst_sel:DWORD dst_unused:UNUSED_PAD src0_sel:DWORD src1_sel:WORD_1
	v_add_u16_e32 v14, v14, v8
	v_add_u16_sdwa v14, v14, v8 dst_sel:DWORD dst_unused:UNUSED_PAD src0_sel:DWORD src1_sel:WORD_1
	v_add_u16_e32 v14, v14, v9
	v_add_u16_sdwa v14, v14, v9 dst_sel:DWORD dst_unused:UNUSED_PAD src0_sel:DWORD src1_sel:WORD_1
	v_add_u16_e32 v14, v14, v2
	v_add_u16_sdwa v14, v14, v2 dst_sel:DWORD dst_unused:UNUSED_PAD src0_sel:DWORD src1_sel:WORD_1
	v_add_u16_e32 v14, v14, v3
	v_add_u16_sdwa v14, v14, v3 dst_sel:DWORD dst_unused:UNUSED_PAD src0_sel:DWORD src1_sel:WORD_1
	v_add_u16_e32 v14, v14, v4
	v_add_u16_sdwa v14, v14, v4 dst_sel:DWORD dst_unused:UNUSED_PAD src0_sel:DWORD src1_sel:WORD_1
	v_add_u16_e32 v14, v14, v5
	v_mbcnt_hi_u32_b32 v15, -1, v22
	v_add_u16_sdwa v14, v14, v5 dst_sel:DWORD dst_unused:UNUSED_PAD src0_sel:DWORD src1_sel:WORD_1
	v_and_b32_e32 v16, 15, v15
	v_cmp_ne_u32_e64 s[0:1], 0, v16
	v_mov_b32_dpp v17, v14 row_shr:1 row_mask:0xf bank_mask:0xf
	v_cndmask_b32_e64 v17, 0, v17, s[0:1]
	v_add_u16_e32 v14, v17, v14
	v_cmp_lt_u32_e64 s[0:1], 1, v16
	s_nop 0
	v_mov_b32_dpp v17, v14 row_shr:2 row_mask:0xf bank_mask:0xf
	v_cndmask_b32_e64 v17, 0, v17, s[0:1]
	v_add_u16_e32 v14, v14, v17
	v_cmp_lt_u32_e64 s[0:1], 3, v16
	s_nop 0
	v_mov_b32_dpp v17, v14 row_shr:4 row_mask:0xf bank_mask:0xf
	v_cndmask_b32_e64 v17, 0, v17, s[0:1]
	v_add_u16_e32 v14, v14, v17
	v_cmp_lt_u32_e64 s[0:1], 7, v16
	s_nop 0
	v_mov_b32_dpp v17, v14 row_shr:8 row_mask:0xf bank_mask:0xf
	v_cndmask_b32_e64 v16, 0, v17, s[0:1]
	v_add_u16_e32 v14, v14, v16
	v_and_b32_e32 v17, 16, v15
	v_cmp_ne_u32_e64 s[0:1], 0, v17
	v_mov_b32_dpp v16, v14 row_bcast:15 row_mask:0xf bank_mask:0xf
	v_cndmask_b32_e64 v16, 0, v16, s[0:1]
	v_add_u16_e32 v14, v14, v16
	v_cmp_lt_u32_e64 s[0:1], 31, v15
	s_nop 0
	v_mov_b32_dpp v16, v14 row_bcast:31 row_mask:0xf bank_mask:0xf
	v_cndmask_b32_e64 v16, 0, v16, s[0:1]
	v_add_u16_e32 v14, v14, v16
	s_and_saveexec_b64 s[0:1], vcc
	s_cbranch_execz .LBB926_55
; %bb.54:
	v_mov_b32_e32 v16, 0
	ds_write_b16 v16, v14
.LBB926_55:
	s_or_b64 exec, exec, s[0:1]
	v_add_u32_e32 v16, -1, v15
	v_and_b32_e32 v17, 64, v15
	v_cmp_lt_i32_e32 vcc, v16, v17
	v_cndmask_b32_e32 v16, v16, v15, vcc
	v_lshlrev_b32_e32 v16, 2, v16
	ds_bpermute_b32 v23, v16, v14
	v_cmp_gt_u32_e32 vcc, 64, v0
	s_waitcnt lgkmcnt(0)
	; wave barrier
	s_waitcnt lgkmcnt(0)
	s_and_saveexec_b64 s[10:11], vcc
	s_cbranch_execz .LBB926_78
; %bb.56:
	v_mov_b32_e32 v19, 0
	ds_read_u16 v24, v19
	s_mov_b32 s9, 0
	v_cmp_eq_u32_e64 s[0:1], 0, v15
	s_and_saveexec_b64 s[2:3], s[0:1]
	s_cbranch_execz .LBB926_58
; %bb.57:
	s_add_i32 s8, s6, 64
	s_lshl_b64 s[8:9], s[8:9], 2
	s_add_u32 s8, s20, s8
	s_waitcnt lgkmcnt(0)
	v_or_b32_e32 v14, 0x10000, v24
	s_addc_u32 s9, s21, s9
	global_store_dword v19, v14, s[8:9]
.LBB926_58:
	s_or_b64 exec, exec, s[2:3]
	v_xad_u32 v14, v15, -1, s6
	v_add_u32_e32 v18, 64, v14
	v_lshlrev_b64 v[16:17], 2, v[18:19]
	v_mov_b32_e32 v18, s21
	v_add_co_u32_e32 v16, vcc, s20, v16
	v_addc_co_u32_e32 v17, vcc, v18, v17, vcc
	global_load_dword v18, v[16:17], off glc
	s_waitcnt vmcnt(0)
	v_lshrrev_b32_e32 v28, 16, v18
	v_cmp_eq_u16_sdwa s[8:9], v28, v19 src0_sel:BYTE_0 src1_sel:DWORD
	s_and_saveexec_b64 s[2:3], s[8:9]
	s_cbranch_execz .LBB926_64
; %bb.59:
	s_mov_b32 s7, 1
	s_mov_b64 s[8:9], 0
	v_mov_b32_e32 v19, 0
.LBB926_60:                             ; =>This Loop Header: Depth=1
                                        ;     Child Loop BB926_61 Depth 2
	s_max_u32 s24, s7, 1
.LBB926_61:                             ;   Parent Loop BB926_60 Depth=1
                                        ; =>  This Inner Loop Header: Depth=2
	s_add_i32 s24, s24, -1
	s_cmp_eq_u32 s24, 0
	s_sleep 1
	s_cbranch_scc0 .LBB926_61
; %bb.62:                               ;   in Loop: Header=BB926_60 Depth=1
	global_load_dword v18, v[16:17], off glc
	s_cmp_lt_u32 s7, 32
	s_cselect_b64 s[24:25], -1, 0
	s_cmp_lg_u64 s[24:25], 0
	s_addc_u32 s7, s7, 0
	s_waitcnt vmcnt(0)
	v_lshrrev_b32_e32 v28, 16, v18
	v_cmp_ne_u16_sdwa s[24:25], v28, v19 src0_sel:BYTE_0 src1_sel:DWORD
	s_or_b64 s[8:9], s[24:25], s[8:9]
	s_andn2_b64 exec, exec, s[8:9]
	s_cbranch_execnz .LBB926_60
; %bb.63:
	s_or_b64 exec, exec, s[8:9]
.LBB926_64:
	s_or_b64 exec, exec, s[2:3]
	v_and_b32_e32 v26, 63, v15
	v_cmp_ne_u32_e32 vcc, 63, v26
	v_mov_b32_e32 v25, 2
	v_addc_co_u32_e32 v27, vcc, 0, v15, vcc
	v_cmp_eq_u16_sdwa s[2:3], v28, v25 src0_sel:BYTE_0 src1_sel:DWORD
	v_lshlrev_b64 v[16:17], v15, -1
	v_and_b32_e32 v30, 0xffff, v18
	v_lshlrev_b32_e32 v27, 2, v27
	v_and_b32_e32 v19, s3, v17
	ds_bpermute_b32 v31, v27, v30
	v_or_b32_e32 v19, 0x80000000, v19
	v_and_b32_e32 v29, s2, v16
	v_ffbl_b32_e32 v19, v19
	v_add_u32_e32 v19, 32, v19
	v_ffbl_b32_e32 v29, v29
	v_cmp_gt_u32_e64 s[2:3], 62, v26
	v_min_u32_e32 v19, v29, v19
	v_cndmask_b32_e64 v29, 0, 1, s[2:3]
	s_waitcnt lgkmcnt(0)
	v_add_u16_e32 v31, v31, v18
	v_cmp_lt_u32_e32 vcc, v26, v19
	v_lshlrev_b32_e32 v29, 1, v29
	v_cndmask_b32_e32 v32, v30, v31, vcc
	v_add_lshl_u32 v29, v29, v15, 2
	ds_bpermute_b32 v33, v29, v32
	v_cmp_gt_u32_e64 s[8:9], 60, v26
	v_cndmask_b32_e32 v34, v18, v31, vcc
	v_add_u32_e32 v30, 2, v26
	v_cndmask_b32_e64 v31, 0, 1, s[8:9]
	s_waitcnt lgkmcnt(0)
	v_add_u16_e32 v33, v34, v33
	v_cmp_gt_u32_e64 s[2:3], v30, v19
	v_lshlrev_b32_e32 v31, 2, v31
	v_cndmask_b32_e64 v35, v33, v32, s[2:3]
	v_add_lshl_u32 v31, v31, v15, 2
	ds_bpermute_b32 v36, v31, v35
	v_cmp_gt_u32_e64 s[8:9], 56, v26
	v_cndmask_b32_e64 v34, v33, v34, s[2:3]
	v_add_u32_e32 v32, 4, v26
	v_cndmask_b32_e64 v33, 0, 1, s[8:9]
	s_waitcnt lgkmcnt(0)
	v_add_u16_e32 v36, v34, v36
	v_cmp_gt_u32_e64 s[2:3], v32, v19
	v_lshlrev_b32_e32 v33, 3, v33
	v_cndmask_b32_e64 v35, v36, v35, s[2:3]
	v_add_lshl_u32 v33, v33, v15, 2
	ds_bpermute_b32 v37, v33, v35
	v_cndmask_b32_e64 v36, v36, v34, s[2:3]
	v_add_u32_e32 v34, 8, v26
	v_cmp_gt_u32_e64 s[2:3], v34, v19
	v_cmp_gt_u32_e64 s[8:9], 48, v26
	s_waitcnt lgkmcnt(0)
	v_add_u16_e32 v37, v36, v37
	v_cndmask_b32_e64 v38, v37, v35, s[2:3]
	v_cndmask_b32_e64 v35, 0, 1, s[8:9]
	v_lshlrev_b32_e32 v35, 4, v35
	v_add_lshl_u32 v35, v35, v15, 2
	ds_bpermute_b32 v39, v35, v38
	v_cndmask_b32_e64 v37, v37, v36, s[2:3]
	v_add_u32_e32 v36, 16, v26
	v_cmp_gt_u32_e64 s[2:3], v36, v19
	v_cmp_gt_u32_e64 s[8:9], 32, v26
	s_waitcnt lgkmcnt(0)
	v_add_u16_e32 v40, v37, v39
	v_cndmask_b32_e64 v39, v40, v38, s[2:3]
	v_cndmask_b32_e64 v38, 0, 1, s[8:9]
	v_lshlrev_b32_e32 v38, 5, v38
	v_add_lshl_u32 v38, v38, v15, 2
	ds_bpermute_b32 v15, v38, v39
	v_add_u32_e32 v39, 32, v26
	v_cndmask_b32_e64 v37, v40, v37, s[2:3]
	v_cmp_le_u32_e64 s[2:3], v39, v19
	s_waitcnt lgkmcnt(0)
	v_cndmask_b32_e64 v15, 0, v15, s[2:3]
	v_add_u16_e32 v15, v37, v15
	v_cndmask_b32_e32 v18, v18, v15, vcc
	v_mov_b32_e32 v15, 0
	s_branch .LBB926_66
.LBB926_65:                             ;   in Loop: Header=BB926_66 Depth=1
	s_or_b64 exec, exec, s[2:3]
	v_cmp_eq_u16_sdwa s[2:3], v28, v25 src0_sel:BYTE_0 src1_sel:DWORD
	v_and_b32_e32 v41, 0xffff, v40
	v_and_b32_e32 v18, s3, v17
	ds_bpermute_b32 v42, v27, v41
	v_or_b32_e32 v18, 0x80000000, v18
	v_and_b32_e32 v19, s2, v16
	v_ffbl_b32_e32 v18, v18
	v_add_u32_e32 v18, 32, v18
	v_ffbl_b32_e32 v19, v19
	v_min_u32_e32 v18, v19, v18
	s_waitcnt lgkmcnt(0)
	v_add_u16_e32 v19, v42, v40
	v_cmp_lt_u32_e32 vcc, v26, v18
	v_cndmask_b32_e32 v41, v41, v19, vcc
	ds_bpermute_b32 v42, v29, v41
	v_cndmask_b32_e32 v19, v40, v19, vcc
	v_cmp_gt_u32_e64 s[2:3], v30, v18
	v_subrev_u32_e32 v14, 64, v14
	s_waitcnt lgkmcnt(0)
	v_add_u16_e32 v42, v19, v42
	v_cndmask_b32_e64 v41, v42, v41, s[2:3]
	ds_bpermute_b32 v43, v31, v41
	v_cndmask_b32_e64 v19, v42, v19, s[2:3]
	v_cmp_gt_u32_e64 s[2:3], v32, v18
	s_waitcnt lgkmcnt(0)
	v_add_u16_e32 v42, v19, v43
	v_cndmask_b32_e64 v41, v42, v41, s[2:3]
	ds_bpermute_b32 v43, v33, v41
	v_cndmask_b32_e64 v19, v42, v19, s[2:3]
	v_cmp_gt_u32_e64 s[2:3], v34, v18
	;; [unrolled: 6-line block ×3, first 2 shown]
	s_waitcnt lgkmcnt(0)
	v_add_u16_e32 v42, v19, v43
	v_cndmask_b32_e64 v41, v42, v41, s[2:3]
	ds_bpermute_b32 v41, v38, v41
	v_cndmask_b32_e64 v19, v42, v19, s[2:3]
	v_cmp_le_u32_e64 s[2:3], v39, v18
	s_waitcnt lgkmcnt(0)
	v_cndmask_b32_e64 v18, 0, v41, s[2:3]
	v_add_u16_e32 v18, v19, v18
	v_cndmask_b32_e32 v18, v40, v18, vcc
	v_add_u16_e32 v18, v18, v37
.LBB926_66:                             ; =>This Loop Header: Depth=1
                                        ;     Child Loop BB926_69 Depth 2
                                        ;       Child Loop BB926_70 Depth 3
	v_cmp_ne_u16_sdwa s[2:3], v28, v25 src0_sel:BYTE_0 src1_sel:DWORD
	v_cndmask_b32_e64 v19, 0, 1, s[2:3]
	;;#ASMSTART
	;;#ASMEND
	v_cmp_ne_u32_e32 vcc, 0, v19
	s_cmp_lg_u64 vcc, exec
	v_mov_b32_e32 v37, v18
	s_cbranch_scc1 .LBB926_73
; %bb.67:                               ;   in Loop: Header=BB926_66 Depth=1
	v_lshlrev_b64 v[18:19], 2, v[14:15]
	v_mov_b32_e32 v28, s21
	v_add_co_u32_e32 v18, vcc, s20, v18
	v_addc_co_u32_e32 v19, vcc, v28, v19, vcc
	global_load_dword v40, v[18:19], off glc
	s_waitcnt vmcnt(0)
	v_lshrrev_b32_e32 v28, 16, v40
	v_cmp_eq_u16_sdwa s[8:9], v28, v15 src0_sel:BYTE_0 src1_sel:DWORD
	s_and_saveexec_b64 s[2:3], s[8:9]
	s_cbranch_execz .LBB926_65
; %bb.68:                               ;   in Loop: Header=BB926_66 Depth=1
	s_mov_b32 s7, 1
	s_mov_b64 s[8:9], 0
.LBB926_69:                             ;   Parent Loop BB926_66 Depth=1
                                        ; =>  This Loop Header: Depth=2
                                        ;       Child Loop BB926_70 Depth 3
	s_max_u32 s24, s7, 1
.LBB926_70:                             ;   Parent Loop BB926_66 Depth=1
                                        ;     Parent Loop BB926_69 Depth=2
                                        ; =>    This Inner Loop Header: Depth=3
	s_add_i32 s24, s24, -1
	s_cmp_eq_u32 s24, 0
	s_sleep 1
	s_cbranch_scc0 .LBB926_70
; %bb.71:                               ;   in Loop: Header=BB926_69 Depth=2
	global_load_dword v40, v[18:19], off glc
	s_cmp_lt_u32 s7, 32
	s_cselect_b64 s[24:25], -1, 0
	s_cmp_lg_u64 s[24:25], 0
	s_addc_u32 s7, s7, 0
	s_waitcnt vmcnt(0)
	v_lshrrev_b32_e32 v28, 16, v40
	v_cmp_ne_u16_sdwa s[24:25], v28, v15 src0_sel:BYTE_0 src1_sel:DWORD
	s_or_b64 s[8:9], s[24:25], s[8:9]
	s_andn2_b64 exec, exec, s[8:9]
	s_cbranch_execnz .LBB926_69
; %bb.72:                               ;   in Loop: Header=BB926_66 Depth=1
	s_or_b64 exec, exec, s[8:9]
	s_branch .LBB926_65
.LBB926_73:                             ;   in Loop: Header=BB926_66 Depth=1
                                        ; implicit-def: $vgpr18
                                        ; implicit-def: $vgpr28
	s_cbranch_execz .LBB926_66
; %bb.74:
	s_and_saveexec_b64 s[2:3], s[0:1]
	s_cbranch_execz .LBB926_76
; %bb.75:
	s_add_i32 s0, s6, 64
	s_mov_b32 s1, 0
	s_lshl_b64 s[0:1], s[0:1], 2
	v_add_u16_e32 v14, v37, v24
	s_add_u32 s0, s20, s0
	v_or_b32_e32 v14, 0x20000, v14
	s_addc_u32 s1, s21, s1
	v_mov_b32_e32 v15, 0
	global_store_dword v15, v14, s[0:1]
.LBB926_76:
	s_or_b64 exec, exec, s[2:3]
	v_cmp_eq_u32_e32 vcc, 0, v0
	s_and_b64 exec, exec, vcc
	s_cbranch_execz .LBB926_78
; %bb.77:
	v_mov_b32_e32 v14, 0
	ds_write_b16 v14, v37
.LBB926_78:
	s_or_b64 exec, exec, s[10:11]
	v_mov_b32_e32 v14, 0
	s_waitcnt lgkmcnt(0)
	; wave barrier
	s_waitcnt lgkmcnt(0)
	ds_read_u16 v14, v14
	v_cmp_ne_u32_e32 vcc, 0, v0
	v_cndmask_b32_e32 v15, 0, v23, vcc
	v_add_u16_e32 v15, v15, v10
	s_waitcnt lgkmcnt(0)
	v_add_u16_e32 v14, v15, v14
	v_add_u16_sdwa v15, v14, v10 dst_sel:DWORD dst_unused:UNUSED_PAD src0_sel:DWORD src1_sel:WORD_1
	v_add_u16_e32 v16, v15, v11
	v_add_u16_sdwa v17, v16, v11 dst_sel:DWORD dst_unused:UNUSED_PAD src0_sel:DWORD src1_sel:WORD_1
	;; [unrolled: 2-line block ×12, first 2 shown]
	s_load_dwordx8 s[4:11], s[4:5], 0x38
	s_branch .LBB926_89
.LBB926_79:
                                        ; implicit-def: $vgpr14
                                        ; implicit-def: $vgpr15
                                        ; implicit-def: $vgpr16
                                        ; implicit-def: $vgpr17
                                        ; implicit-def: $vgpr18
                                        ; implicit-def: $vgpr19
                                        ; implicit-def: $vgpr24
                                        ; implicit-def: $vgpr26
                                        ; implicit-def: $vgpr23
                                        ; implicit-def: $vgpr25
                                        ; implicit-def: $vgpr27
                                        ; implicit-def: $vgpr28
                                        ; implicit-def: $vgpr29
                                        ; implicit-def: $vgpr30
                                        ; implicit-def: $vgpr32
                                        ; implicit-def: $vgpr34
                                        ; implicit-def: $vgpr31
                                        ; implicit-def: $vgpr33
                                        ; implicit-def: $vgpr35
                                        ; implicit-def: $vgpr36
                                        ; implicit-def: $vgpr37
                                        ; implicit-def: $vgpr38
                                        ; implicit-def: $vgpr39
                                        ; implicit-def: $vgpr40
	s_load_dwordx8 s[4:11], s[4:5], 0x38
	s_cbranch_execz .LBB926_89
; %bb.80:
	s_waitcnt lgkmcnt(0)
	s_cmp_lg_u64 s[8:9], 0
	s_cselect_b64 s[2:3], -1, 0
	v_cmp_eq_u32_e32 vcc, 0, v0
	v_cmp_ne_u32_e64 s[0:1], 0, v0
	s_and_b64 s[8:9], vcc, s[2:3]
	v_mov_b32_e32 v14, v10
	s_and_saveexec_b64 s[2:3], s[8:9]
	s_cbranch_execz .LBB926_82
; %bb.81:
	v_mov_b32_e32 v14, 0
	global_load_ushort v14, v14, s[4:5]
	s_waitcnt vmcnt(0)
	v_add_u16_e32 v14, v14, v10
.LBB926_82:
	s_or_b64 exec, exec, s[2:3]
	v_add_u16_sdwa v15, v14, v10 dst_sel:DWORD dst_unused:UNUSED_PAD src0_sel:DWORD src1_sel:WORD_1
	v_add_u16_e32 v16, v15, v11
	v_add_u16_sdwa v17, v16, v11 dst_sel:DWORD dst_unused:UNUSED_PAD src0_sel:DWORD src1_sel:WORD_1
	v_add_u16_e32 v18, v17, v12
	;; [unrolled: 2-line block ×11, first 2 shown]
	v_mbcnt_hi_u32_b32 v22, -1, v22
	v_add_u16_sdwa v40, v39, v5 dst_sel:DWORD dst_unused:UNUSED_PAD src0_sel:DWORD src1_sel:WORD_1
	v_and_b32_e32 v41, 15, v22
	v_cmp_ne_u32_e32 vcc, 0, v41
	v_mov_b32_dpp v42, v40 row_shr:1 row_mask:0xf bank_mask:0xf
	v_cndmask_b32_e32 v42, 0, v42, vcc
	v_add_u16_e32 v42, v40, v42
	v_cmp_lt_u32_e32 vcc, 1, v41
	s_nop 0
	v_mov_b32_dpp v43, v42 row_shr:2 row_mask:0xf bank_mask:0xf
	v_cndmask_b32_e32 v43, 0, v43, vcc
	v_add_u16_e32 v42, v42, v43
	v_cmp_lt_u32_e32 vcc, 3, v41
	s_nop 0
	;; [unrolled: 5-line block ×3, first 2 shown]
	v_mov_b32_dpp v43, v42 row_shr:8 row_mask:0xf bank_mask:0xf
	v_cndmask_b32_e32 v41, 0, v43, vcc
	v_add_u16_e32 v41, v42, v41
	v_and_b32_e32 v43, 16, v22
	v_cmp_ne_u32_e32 vcc, 0, v43
	v_mov_b32_dpp v42, v41 row_bcast:15 row_mask:0xf bank_mask:0xf
	v_cndmask_b32_e32 v42, 0, v42, vcc
	v_add_u16_e32 v41, v41, v42
	v_cmp_lt_u32_e32 vcc, 31, v22
	s_nop 0
	v_mov_b32_dpp v42, v41 row_bcast:31 row_mask:0xf bank_mask:0xf
	v_cndmask_b32_e32 v42, 0, v42, vcc
	v_add_u16_e32 v41, v41, v42
	v_cmp_eq_u32_e32 vcc, 63, v0
	s_and_saveexec_b64 s[2:3], vcc
	s_cbranch_execz .LBB926_84
; %bb.83:
	v_mov_b32_e32 v42, 0
	ds_write_b16 v42, v41
.LBB926_84:
	s_or_b64 exec, exec, s[2:3]
	v_add_u32_e32 v42, -1, v22
	v_and_b32_e32 v43, 64, v22
	v_cmp_lt_i32_e64 s[2:3], v42, v43
	v_cndmask_b32_e64 v22, v42, v22, s[2:3]
	v_lshlrev_b32_e32 v22, 2, v22
	ds_bpermute_b32 v22, v22, v41
	s_waitcnt lgkmcnt(0)
	; wave barrier
	s_waitcnt lgkmcnt(0)
	s_and_saveexec_b64 s[2:3], s[0:1]
	s_cbranch_execz .LBB926_86
; %bb.85:
	v_add_u16_e32 v14, v14, v22
	v_add_u16_sdwa v15, v14, v10 dst_sel:DWORD dst_unused:UNUSED_PAD src0_sel:DWORD src1_sel:WORD_1
	v_add_u16_e32 v16, v15, v11
	v_add_u16_sdwa v17, v16, v11 dst_sel:DWORD dst_unused:UNUSED_PAD src0_sel:DWORD src1_sel:WORD_1
	;; [unrolled: 2-line block ×12, first 2 shown]
	;;#ASMSTART
	;;#ASMEND
.LBB926_86:
	s_or_b64 exec, exec, s[2:3]
	s_and_saveexec_b64 s[0:1], vcc
	s_cbranch_execz .LBB926_88
; %bb.87:
	s_mov_b32 s2, 0x20000
	v_mov_b32_e32 v2, 0
	v_or_b32_sdwa v3, v40, s2 dst_sel:DWORD dst_unused:UNUSED_PAD src0_sel:WORD_0 src1_sel:DWORD
	global_store_dword v2, v3, s[20:21] offset:256
.LBB926_88:
	s_or_b64 exec, exec, s[0:1]
.LBB926_89:
	s_add_u32 s0, s12, s16
	s_addc_u32 s1, s13, s17
	s_add_u32 s2, s0, s18
	s_addc_u32 s3, s1, s19
	s_mov_b64 s[0:1], -1
	s_and_b64 vcc, exec, s[14:15]
	s_waitcnt lgkmcnt(0)
	; wave barrier
	s_waitcnt lgkmcnt(0)
	s_cbranch_vccz .LBB926_91
; %bb.90:
	s_mov_b32 s0, 0x5040100
	v_perm_b32 v5, v26, v24, s0
	v_perm_b32 v4, v19, v18, s0
	;; [unrolled: 1-line block ×4, first 2 shown]
	ds_write_b128 v1, v[2:5]
	v_perm_b32 v5, v34, v32, s0
	v_perm_b32 v4, v30, v29, s0
	;; [unrolled: 1-line block ×4, first 2 shown]
	ds_write_b128 v1, v[2:5] offset:16
	v_perm_b32 v5, v40, v39, s0
	v_perm_b32 v4, v38, v37, s0
	;; [unrolled: 1-line block ×4, first 2 shown]
	ds_write_b128 v1, v[2:5] offset:32
	s_waitcnt lgkmcnt(0)
	; wave barrier
	s_waitcnt lgkmcnt(0)
	ds_read_u16 v4, v20
	ds_read_u16 v5, v20 offset:128
	ds_read_u16 v6, v20 offset:256
	;; [unrolled: 1-line block ×23, first 2 shown]
	v_mov_b32_e32 v3, s3
	v_add_co_u32_e32 v2, vcc, s2, v20
	v_addc_co_u32_e32 v3, vcc, 0, v3, vcc
	s_waitcnt lgkmcnt(14)
	flat_store_short v[2:3], v4
	flat_store_short v[2:3], v5 offset:128
	flat_store_short v[2:3], v6 offset:256
	;; [unrolled: 1-line block ×9, first 2 shown]
	s_waitcnt lgkmcnt(0)
	flat_store_short v[2:3], v22 offset:1280
	flat_store_short v[2:3], v41 offset:1408
	;; [unrolled: 1-line block ×14, first 2 shown]
	s_mov_b64 s[0:1], 0
.LBB926_91:
	s_andn2_b64 vcc, exec, s[0:1]
	s_cbranch_vccnz .LBB926_148
; %bb.92:
	s_mov_b32 s0, 0x5040100
	v_perm_b32 v5, v26, v24, s0
	v_perm_b32 v4, v19, v18, s0
	;; [unrolled: 1-line block ×4, first 2 shown]
	ds_write_b128 v1, v[2:5]
	v_perm_b32 v5, v34, v32, s0
	v_perm_b32 v4, v30, v29, s0
	;; [unrolled: 1-line block ×4, first 2 shown]
	ds_write_b128 v1, v[2:5] offset:16
	v_perm_b32 v5, v40, v39, s0
	v_perm_b32 v4, v38, v37, s0
	;; [unrolled: 1-line block ×4, first 2 shown]
	ds_write_b128 v1, v[2:5] offset:32
	s_waitcnt lgkmcnt(0)
	; wave barrier
	s_waitcnt lgkmcnt(0)
	ds_read_u16 v5, v20
	ds_read_u16 v4, v20 offset:128
	ds_read_u16 v7, v20 offset:256
	ds_read_u16 v8, v20 offset:384
	ds_read_u16 v6, v20 offset:512
	ds_read_u16 v9, v20 offset:640
	ds_read_u16 v17, v20 offset:768
	ds_read_u16 v15, v20 offset:896
	ds_read_u16 v16, v20 offset:1024
	ds_read_u16 v25, v20 offset:1152
	ds_read_u16 v22, v20 offset:1280
	ds_read_u16 v19, v20 offset:1408
	ds_read_u16 v18, v20 offset:1536
	ds_read_u16 v13, v20 offset:1664
	ds_read_u16 v14, v20 offset:1792
	ds_read_u16 v10, v20 offset:1920
	ds_read_u16 v24, v20 offset:2048
	ds_read_u16 v27, v20 offset:2176
	ds_read_u16 v26, v20 offset:2304
	ds_read_u16 v23, v20 offset:2432
	ds_read_u16 v12, v20 offset:2560
	ds_read_u16 v11, v20 offset:2688
	ds_read_u16 v28, v20 offset:2816
	ds_read_u16 v29, v20 offset:2944
	v_mov_b32_e32 v3, s3
	v_add_co_u32_e32 v2, vcc, s2, v20
	v_addc_co_u32_e32 v3, vcc, 0, v3, vcc
	v_mov_b32_e32 v1, 0
	v_cmp_gt_u32_e32 vcc, s22, v0
	s_and_saveexec_b64 s[0:1], vcc
	s_cbranch_execz .LBB926_94
; %bb.93:
	s_waitcnt lgkmcnt(0)
	flat_store_short v[2:3], v5
.LBB926_94:
	s_or_b64 exec, exec, s[0:1]
	v_or_b32_e32 v20, 64, v0
	v_cmp_gt_u32_e32 vcc, s22, v20
	s_and_saveexec_b64 s[0:1], vcc
	s_cbranch_execz .LBB926_96
; %bb.95:
	s_waitcnt lgkmcnt(0)
	flat_store_short v[2:3], v4 offset:128
.LBB926_96:
	s_or_b64 exec, exec, s[0:1]
	v_or_b32_e32 v20, 0x80, v0
	v_cmp_gt_u32_e32 vcc, s22, v20
	s_and_saveexec_b64 s[0:1], vcc
	s_cbranch_execz .LBB926_98
; %bb.97:
	s_waitcnt lgkmcnt(0)
	flat_store_short v[2:3], v7 offset:256
.LBB926_98:
	;; [unrolled: 9-line block ×23, first 2 shown]
	s_or_b64 exec, exec, s[0:1]
	v_cmp_lt_u64_e64 s[0:1], s[10:11], 2
	s_and_b64 vcc, exec, s[0:1]
	s_cbranch_vccnz .LBB926_148
; %bb.141:
	s_add_u32 s0, s22, -1
	s_addc_u32 s1, s23, -1
	s_add_u32 s2, 0, 0xaaaa0000
	s_addc_u32 s3, 0, 42
	s_add_i32 s3, s3, 0xaaaaa80
	s_mul_hi_u32 s9, s2, 0xffffffe8
	s_sub_i32 s9, s9, s2
	s_mul_i32 s10, s3, 0xffffffe8
	s_mul_i32 s4, s2, 0xffffffe8
	s_add_i32 s9, s9, s10
	s_mul_hi_u32 s5, s3, s4
	s_mul_i32 s8, s3, s4
	s_mul_i32 s11, s2, s9
	s_mul_hi_u32 s4, s2, s4
	s_mul_hi_u32 s10, s2, s9
	s_add_u32 s4, s4, s11
	s_addc_u32 s10, 0, s10
	s_add_u32 s4, s4, s8
	s_mul_hi_u32 s11, s3, s9
	s_addc_u32 s4, s10, s5
	s_addc_u32 s5, s11, 0
	s_mul_i32 s8, s3, s9
	s_add_u32 s4, s4, s8
	v_mov_b32_e32 v2, s4
	s_addc_u32 s5, 0, s5
	v_add_co_u32_e32 v2, vcc, s2, v2
	s_cmp_lg_u64 vcc, 0
	s_addc_u32 s2, s3, s5
	v_readfirstlane_b32 s5, v2
	s_mul_i32 s4, s0, s2
	s_mul_hi_u32 s8, s0, s5
	s_mul_hi_u32 s3, s0, s2
	s_add_u32 s4, s8, s4
	s_addc_u32 s3, 0, s3
	s_mul_hi_u32 s9, s1, s5
	s_mul_i32 s5, s1, s5
	s_add_u32 s4, s4, s5
	s_mul_hi_u32 s8, s1, s2
	s_addc_u32 s3, s3, s9
	s_addc_u32 s4, s8, 0
	s_mul_i32 s2, s1, s2
	s_add_u32 s2, s3, s2
	s_addc_u32 s3, 0, s4
	s_add_u32 s4, s2, 1
	s_addc_u32 s5, s3, 0
	s_add_u32 s8, s2, 2
	s_mul_i32 s10, s3, 24
	s_mul_hi_u32 s11, s2, 24
	s_addc_u32 s9, s3, 0
	s_add_i32 s11, s11, s10
	s_mul_i32 s10, s2, 24
	v_mov_b32_e32 v2, s10
	v_sub_co_u32_e32 v2, vcc, s0, v2
	s_cmp_lg_u64 vcc, 0
	s_subb_u32 s10, s1, s11
	v_subrev_co_u32_e32 v3, vcc, 24, v2
	s_cmp_lg_u64 vcc, 0
	s_subb_u32 s11, s10, 0
	v_readfirstlane_b32 s12, v3
	s_cmp_gt_u32 s12, 23
	s_cselect_b32 s12, -1, 0
	s_cmp_eq_u32 s11, 0
	s_cselect_b32 s11, s12, -1
	s_cmp_lg_u32 s11, 0
	s_cselect_b32 s4, s8, s4
	v_readfirstlane_b32 s8, v2
	s_cselect_b32 s5, s9, s5
	s_cmp_gt_u32 s8, 23
	s_cselect_b32 s8, -1, 0
	s_cmp_eq_u32 s10, 0
	s_cselect_b32 s8, s8, -1
	s_cmp_lg_u32 s8, 0
	s_cselect_b32 s3, s5, s3
	s_cselect_b32 s2, s4, s2
	v_cmp_eq_u64_e32 vcc, s[2:3], v[0:1]
	s_and_saveexec_b64 s[2:3], vcc
	s_cbranch_execz .LBB926_148
; %bb.142:
	v_mul_hi_u32_u24_e32 v1, 24, v0
	v_mov_b32_e32 v2, s1
	v_sub_co_u32_e32 v0, vcc, s0, v21
	v_subb_co_u32_e32 v1, vcc, v2, v1, vcc
	v_cmp_lt_i64_e32 vcc, 11, v[0:1]
	s_mov_b64 s[0:1], 0
	s_mov_b64 s[10:11], 0
	;; [unrolled: 1-line block ×4, first 2 shown]
	s_and_saveexec_b64 s[2:3], vcc
	s_xor_b64 s[2:3], exec, s[2:3]
	s_cbranch_execnz .LBB926_149
; %bb.143:
	s_andn2_saveexec_b64 s[2:3], s[2:3]
	s_cbranch_execnz .LBB926_194
.LBB926_144:
	s_or_b64 exec, exec, s[2:3]
	s_and_saveexec_b64 s[2:3], s[10:11]
	s_cbranch_execnz .LBB926_211
.LBB926_145:
	s_or_b64 exec, exec, s[2:3]
	s_and_saveexec_b64 s[2:3], s[8:9]
	s_cbranch_execnz .LBB926_212
.LBB926_146:
	s_or_b64 exec, exec, s[2:3]
	s_and_saveexec_b64 s[2:3], s[4:5]
	s_xor_b64 s[2:3], exec, s[2:3]
	s_cbranch_execnz .LBB926_213
.LBB926_147:
	s_or_b64 exec, exec, s[2:3]
	s_and_b64 exec, exec, s[0:1]
	s_cbranch_execnz .LBB926_214
.LBB926_148:
	s_endpgm
.LBB926_149:
	v_cmp_lt_i64_e32 vcc, 17, v[0:1]
	s_and_saveexec_b64 s[12:13], vcc
	s_xor_b64 s[12:13], exec, s[12:13]
	s_cbranch_execz .LBB926_171
; %bb.150:
	v_cmp_lt_i64_e32 vcc, 20, v[0:1]
                                        ; implicit-def: $vgpr10
	s_and_saveexec_b64 s[14:15], vcc
	s_xor_b64 s[14:15], exec, s[14:15]
	s_cbranch_execz .LBB926_160
; %bb.151:
	v_cmp_lt_i64_e32 vcc, 21, v[0:1]
	s_mov_b64 s[16:17], 0
                                        ; implicit-def: $vgpr10
	s_and_saveexec_b64 s[4:5], vcc
	s_xor_b64 s[4:5], exec, s[4:5]
	s_cbranch_execz .LBB926_157
; %bb.152:
	v_cmp_lt_i64_e32 vcc, 22, v[0:1]
	s_and_saveexec_b64 s[16:17], vcc
	s_xor_b64 s[16:17], exec, s[16:17]
	s_cbranch_execz .LBB926_154
; %bb.153:
	v_mov_b32_e32 v2, 0
	s_waitcnt lgkmcnt(0)
	global_store_short v2, v29, s[6:7]
                                        ; implicit-def: $vgpr28
.LBB926_154:
	s_or_saveexec_b64 s[16:17], s[16:17]
	s_mov_b64 s[18:19], 0
	s_xor_b64 exec, exec, s[16:17]
; %bb.155:
	s_mov_b64 s[18:19], exec
; %bb.156:
	s_or_b64 exec, exec, s[16:17]
	s_and_b64 s[16:17], s[18:19], exec
	s_waitcnt lgkmcnt(0)
	v_mov_b32_e32 v10, v28
                                        ; implicit-def: $vgpr11
.LBB926_157:
	s_andn2_saveexec_b64 s[4:5], s[4:5]
; %bb.158:
	s_mov_b64 s[8:9], exec
                                        ; implicit-def: $vgpr10
; %bb.159:
	s_or_b64 exec, exec, s[4:5]
	s_and_b64 s[4:5], s[16:17], exec
	s_and_b64 s[8:9], s[8:9], exec
                                        ; implicit-def: $vgpr26
                                        ; implicit-def: $vgpr12
                                        ; implicit-def: $vgpr23
.LBB926_160:
	s_andn2_saveexec_b64 s[14:15], s[14:15]
	s_cbranch_execz .LBB926_170
; %bb.161:
	v_cmp_lt_i64_e32 vcc, 18, v[0:1]
	s_mov_b64 s[16:17], 0
	s_and_saveexec_b64 s[10:11], vcc
	s_xor_b64 s[10:11], exec, s[10:11]
	s_cbranch_execz .LBB926_167
; %bb.162:
	v_cmp_lt_i64_e32 vcc, 19, v[0:1]
	s_and_saveexec_b64 s[18:19], vcc
	s_xor_b64 s[18:19], exec, s[18:19]
; %bb.163:
	s_mov_b64 s[16:17], exec
                                        ; implicit-def: $vgpr23
; %bb.164:
	s_andn2_saveexec_b64 s[18:19], s[18:19]
	s_cbranch_execz .LBB926_166
; %bb.165:
	v_mov_b32_e32 v2, 0
	s_waitcnt lgkmcnt(0)
	global_store_short v2, v23, s[6:7]
                                        ; implicit-def: $vgpr12
.LBB926_166:
	s_or_b64 exec, exec, s[18:19]
	s_and_b64 s[16:17], s[16:17], exec
                                        ; implicit-def: $vgpr26
.LBB926_167:
	s_andn2_saveexec_b64 s[10:11], s[10:11]
	s_cbranch_execz .LBB926_169
; %bb.168:
	v_mov_b32_e32 v2, 0
	s_waitcnt lgkmcnt(0)
	global_store_short v2, v26, s[6:7]
                                        ; implicit-def: $vgpr12
.LBB926_169:
	s_or_b64 exec, exec, s[10:11]
	s_and_b64 s[10:11], s[16:17], exec
                                        ; implicit-def: $vgpr10
                                        ; implicit-def: $vgpr11
.LBB926_170:
	s_or_b64 exec, exec, s[14:15]
	s_and_b64 s[4:5], s[4:5], exec
	s_and_b64 s[8:9], s[8:9], exec
	s_and_b64 s[10:11], s[10:11], exec
                                        ; implicit-def: $vgpr18
                                        ; implicit-def: $vgpr13
                                        ; implicit-def: $vgpr14
                                        ; implicit-def: $vgpr24
                                        ; implicit-def: $vgpr27
.LBB926_171:
	s_andn2_saveexec_b64 s[12:13], s[12:13]
	s_cbranch_execz .LBB926_193
; %bb.172:
	v_cmp_lt_i64_e32 vcc, 14, v[0:1]
	s_mov_b64 s[14:15], s[4:5]
	s_and_saveexec_b64 s[16:17], vcc
	s_xor_b64 s[16:17], exec, s[16:17]
	s_cbranch_execz .LBB926_182
; %bb.173:
	v_cmp_lt_i64_e32 vcc, 15, v[0:1]
	s_and_saveexec_b64 s[14:15], vcc
	s_xor_b64 s[14:15], exec, s[14:15]
	s_cbranch_execz .LBB926_179
; %bb.174:
	v_cmp_lt_i64_e32 vcc, 16, v[0:1]
	s_and_saveexec_b64 s[18:19], vcc
	s_xor_b64 s[18:19], exec, s[18:19]
	s_cbranch_execz .LBB926_176
; %bb.175:
	v_mov_b32_e32 v2, 0
	s_waitcnt lgkmcnt(0)
	global_store_short v2, v27, s[6:7]
                                        ; implicit-def: $vgpr24
.LBB926_176:
	s_andn2_saveexec_b64 s[18:19], s[18:19]
	s_cbranch_execz .LBB926_178
; %bb.177:
	v_mov_b32_e32 v2, 0
	s_waitcnt lgkmcnt(0)
	global_store_short v2, v24, s[6:7]
.LBB926_178:
	s_or_b64 exec, exec, s[18:19]
                                        ; implicit-def: $vgpr10
.LBB926_179:
	s_or_saveexec_b64 s[14:15], s[14:15]
	s_mov_b64 s[18:19], s[4:5]
	s_xor_b64 exec, exec, s[14:15]
; %bb.180:
	s_or_b64 s[18:19], s[4:5], exec
; %bb.181:
	s_or_b64 exec, exec, s[14:15]
	s_andn2_b64 s[14:15], s[4:5], exec
	s_and_b64 s[18:19], s[18:19], exec
	s_or_b64 s[14:15], s[14:15], s[18:19]
                                        ; implicit-def: $vgpr18
                                        ; implicit-def: $vgpr13
                                        ; implicit-def: $vgpr14
.LBB926_182:
	s_or_saveexec_b64 s[16:17], s[16:17]
	s_mov_b64 s[18:19], s[8:9]
                                        ; implicit-def: $vgpr11
	s_xor_b64 exec, exec, s[16:17]
	s_cbranch_execz .LBB926_192
; %bb.183:
	v_cmp_lt_i64_e32 vcc, 12, v[0:1]
	s_mov_b64 s[20:21], s[8:9]
	s_mov_b64 s[22:23], s[14:15]
                                        ; implicit-def: $vgpr10
                                        ; implicit-def: $vgpr11
	s_and_saveexec_b64 s[18:19], vcc
	s_xor_b64 s[18:19], exec, s[18:19]
	s_cbranch_execz .LBB926_189
; %bb.184:
	v_cmp_lt_i64_e32 vcc, 13, v[0:1]
	s_mov_b64 s[20:21], s[14:15]
	s_and_saveexec_b64 s[22:23], vcc
	s_xor_b64 s[22:23], exec, s[22:23]
; %bb.185:
	s_or_b64 s[20:21], s[14:15], exec
                                        ; implicit-def: $vgpr13
; %bb.186:
	s_or_saveexec_b64 s[22:23], s[22:23]
	s_mov_b64 s[24:25], s[8:9]
	s_xor_b64 exec, exec, s[22:23]
; %bb.187:
	s_or_b64 s[24:25], s[8:9], exec
                                        ; implicit-def: $vgpr14
; %bb.188:
	s_or_b64 exec, exec, s[22:23]
	s_andn2_b64 s[22:23], s[14:15], exec
	s_and_b64 s[20:21], s[20:21], exec
	s_or_b64 s[22:23], s[22:23], s[20:21]
	s_andn2_b64 s[20:21], s[8:9], exec
	s_and_b64 s[24:25], s[24:25], exec
	s_or_b64 s[20:21], s[20:21], s[24:25]
	s_waitcnt lgkmcnt(0)
	v_mov_b32_e32 v10, v14
	v_mov_b32_e32 v11, v13
                                        ; implicit-def: $vgpr18
.LBB926_189:
	s_andn2_saveexec_b64 s[18:19], s[18:19]
	s_cbranch_execz .LBB926_191
; %bb.190:
	s_or_b64 s[20:21], s[20:21], exec
                                        ; implicit-def: $vgpr10
	s_waitcnt lgkmcnt(0)
	v_mov_b32_e32 v11, v18
.LBB926_191:
	s_or_b64 exec, exec, s[18:19]
	s_andn2_b64 s[14:15], s[14:15], exec
	s_and_b64 s[18:19], s[22:23], exec
	s_or_b64 s[14:15], s[14:15], s[18:19]
	s_andn2_b64 s[18:19], s[8:9], exec
	s_and_b64 s[20:21], s[20:21], exec
	s_or_b64 s[18:19], s[18:19], s[20:21]
.LBB926_192:
	s_or_b64 exec, exec, s[16:17]
	s_andn2_b64 s[4:5], s[4:5], exec
	s_and_b64 s[14:15], s[14:15], exec
	s_or_b64 s[4:5], s[4:5], s[14:15]
	s_andn2_b64 s[8:9], s[8:9], exec
	s_and_b64 s[14:15], s[18:19], exec
	s_or_b64 s[8:9], s[8:9], s[14:15]
                                        ; implicit-def: $vgpr12
.LBB926_193:
	s_or_b64 exec, exec, s[12:13]
	s_and_b64 s[4:5], s[4:5], exec
	s_and_b64 s[8:9], s[8:9], exec
	;; [unrolled: 1-line block ×3, first 2 shown]
                                        ; implicit-def: $vgpr17
                                        ; implicit-def: $vgpr15
                                        ; implicit-def: $vgpr16
                                        ; implicit-def: $vgpr25
                                        ; implicit-def: $vgpr22
                                        ; implicit-def: $vgpr19
	s_andn2_saveexec_b64 s[2:3], s[2:3]
	s_cbranch_execz .LBB926_144
.LBB926_194:
	v_cmp_lt_i64_e32 vcc, 5, v[0:1]
	s_mov_b64 s[14:15], -1
	s_mov_b64 s[12:13], s[10:11]
	s_mov_b64 s[16:17], s[8:9]
	;; [unrolled: 1-line block ×3, first 2 shown]
                                        ; implicit-def: $vgpr10
                                        ; implicit-def: $vgpr11
                                        ; implicit-def: $vgpr12
	s_and_saveexec_b64 s[0:1], vcc
	s_cbranch_execz .LBB926_210
; %bb.195:
	v_cmp_lt_i64_e32 vcc, 8, v[0:1]
	s_mov_b64 s[12:13], s[10:11]
                                        ; implicit-def: $vgpr12
	s_and_saveexec_b64 s[14:15], vcc
	s_xor_b64 s[14:15], exec, s[14:15]
	s_cbranch_execz .LBB926_205
; %bb.196:
	v_cmp_lt_i64_e32 vcc, 9, v[0:1]
	s_and_saveexec_b64 s[12:13], vcc
	s_xor_b64 s[12:13], exec, s[12:13]
	s_cbranch_execz .LBB926_202
; %bb.197:
	v_cmp_lt_i64_e32 vcc, 10, v[0:1]
	s_and_saveexec_b64 s[16:17], vcc
	s_xor_b64 s[16:17], exec, s[16:17]
; %bb.198:
                                        ; implicit-def: $vgpr22
; %bb.199:
	s_andn2_saveexec_b64 s[16:17], s[16:17]
	s_cbranch_execz .LBB926_201
; %bb.200:
	s_waitcnt lgkmcnt(0)
	v_mov_b32_e32 v19, v22
.LBB926_201:
	s_or_b64 exec, exec, s[16:17]
                                        ; implicit-def: $vgpr25
.LBB926_202:
	s_andn2_saveexec_b64 s[12:13], s[12:13]
	s_cbranch_execz .LBB926_204
; %bb.203:
	s_waitcnt lgkmcnt(0)
	v_mov_b32_e32 v19, v25
.LBB926_204:
	s_or_b64 exec, exec, s[12:13]
	s_or_b64 s[12:13], s[10:11], exec
	s_waitcnt lgkmcnt(0)
	v_mov_b32_e32 v12, v19
                                        ; implicit-def: $vgpr17
                                        ; implicit-def: $vgpr15
                                        ; implicit-def: $vgpr16
.LBB926_205:
	s_or_saveexec_b64 s[14:15], s[14:15]
	s_mov_b64 s[16:17], s[8:9]
	s_mov_b64 s[20:21], s[4:5]
                                        ; implicit-def: $vgpr10
                                        ; implicit-def: $vgpr11
	s_xor_b64 exec, exec, s[14:15]
	s_cbranch_execz .LBB926_209
; %bb.206:
	v_cmp_lt_i64_e32 vcc, 6, v[0:1]
	s_mov_b64 s[20:21], -1
	s_mov_b64 s[18:19], s[12:13]
	s_mov_b64 s[16:17], s[8:9]
	s_and_saveexec_b64 s[22:23], vcc
; %bb.207:
	v_cmp_lt_i64_e32 vcc, 7, v[0:1]
	s_andn2_b64 s[18:19], s[12:13], exec
	s_and_b64 s[24:25], vcc, exec
	s_xor_b64 s[20:21], exec, -1
	s_or_b64 s[16:17], s[8:9], exec
	s_or_b64 s[18:19], s[18:19], s[24:25]
                                        ; implicit-def: $vgpr17
; %bb.208:
	s_or_b64 exec, exec, s[22:23]
	s_andn2_b64 s[22:23], s[4:5], exec
	s_and_b64 s[20:21], s[20:21], exec
	s_or_b64 s[20:21], s[22:23], s[20:21]
	s_andn2_b64 s[22:23], s[8:9], exec
	s_and_b64 s[16:17], s[16:17], exec
	s_andn2_b64 s[12:13], s[12:13], exec
	s_and_b64 s[18:19], s[18:19], exec
	s_or_b64 s[16:17], s[22:23], s[16:17]
	s_or_b64 s[12:13], s[12:13], s[18:19]
	s_waitcnt lgkmcnt(0)
	v_mov_b32_e32 v10, v17
	v_mov_b32_e32 v11, v15
	;; [unrolled: 1-line block ×3, first 2 shown]
.LBB926_209:
	s_or_b64 exec, exec, s[14:15]
	s_andn2_b64 s[18:19], s[4:5], exec
	s_and_b64 s[20:21], s[20:21], exec
	s_or_b64 s[18:19], s[18:19], s[20:21]
	s_andn2_b64 s[20:21], s[8:9], exec
	s_and_b64 s[16:17], s[16:17], exec
	s_or_b64 s[16:17], s[20:21], s[16:17]
	s_andn2_b64 s[20:21], s[10:11], exec
	s_and_b64 s[12:13], s[12:13], exec
	s_xor_b64 s[14:15], exec, -1
	s_or_b64 s[12:13], s[20:21], s[12:13]
.LBB926_210:
	s_or_b64 exec, exec, s[0:1]
	s_and_b64 s[0:1], s[14:15], exec
	s_andn2_b64 s[4:5], s[4:5], exec
	s_and_b64 s[14:15], s[18:19], exec
	s_or_b64 s[4:5], s[4:5], s[14:15]
	s_andn2_b64 s[8:9], s[8:9], exec
	s_and_b64 s[14:15], s[16:17], exec
	s_andn2_b64 s[10:11], s[10:11], exec
	s_and_b64 s[12:13], s[12:13], exec
	s_or_b64 s[8:9], s[8:9], s[14:15]
	s_or_b64 s[10:11], s[10:11], s[12:13]
	s_or_b64 exec, exec, s[2:3]
	s_and_saveexec_b64 s[2:3], s[10:11]
	s_cbranch_execz .LBB926_145
.LBB926_211:
	v_mov_b32_e32 v2, 0
	s_andn2_b64 s[8:9], s[8:9], exec
	s_waitcnt lgkmcnt(0)
	global_store_short v2, v12, s[6:7]
                                        ; implicit-def: $vgpr10
                                        ; implicit-def: $vgpr11
	s_or_b64 exec, exec, s[2:3]
	s_and_saveexec_b64 s[2:3], s[8:9]
	s_cbranch_execz .LBB926_146
.LBB926_212:
	v_mov_b32_e32 v2, 0
	s_waitcnt lgkmcnt(0)
	global_store_short v2, v11, s[6:7]
                                        ; implicit-def: $vgpr10
	s_or_b64 exec, exec, s[2:3]
	s_and_saveexec_b64 s[2:3], s[4:5]
	s_xor_b64 s[2:3], exec, s[2:3]
	s_cbranch_execz .LBB926_147
.LBB926_213:
	v_mov_b32_e32 v2, 0
	s_waitcnt lgkmcnt(0)
	global_store_short v2, v10, s[6:7]
	s_or_b64 exec, exec, s[2:3]
	s_and_b64 exec, exec, s[0:1]
	s_cbranch_execz .LBB926_148
.LBB926_214:
	v_cmp_lt_i64_e32 vcc, 2, v[0:1]
	s_and_saveexec_b64 s[0:1], vcc
	s_xor_b64 s[0:1], exec, s[0:1]
	s_cbranch_execz .LBB926_224
; %bb.215:
	v_cmp_lt_i64_e32 vcc, 3, v[0:1]
	s_and_saveexec_b64 s[2:3], vcc
	s_xor_b64 s[2:3], exec, s[2:3]
	s_cbranch_execz .LBB926_221
; %bb.216:
	;; [unrolled: 5-line block ×3, first 2 shown]
	v_mov_b32_e32 v0, 0
	s_waitcnt lgkmcnt(0)
	global_store_short v0, v9, s[6:7]
                                        ; implicit-def: $vgpr6
.LBB926_218:
	s_andn2_saveexec_b64 s[4:5], s[4:5]
	s_cbranch_execz .LBB926_220
; %bb.219:
	v_mov_b32_e32 v0, 0
	s_waitcnt lgkmcnt(0)
	global_store_short v0, v6, s[6:7]
.LBB926_220:
	s_or_b64 exec, exec, s[4:5]
                                        ; implicit-def: $vgpr8
.LBB926_221:
	s_andn2_saveexec_b64 s[2:3], s[2:3]
	s_cbranch_execz .LBB926_223
; %bb.222:
	v_mov_b32_e32 v0, 0
	s_waitcnt lgkmcnt(0)
	global_store_short v0, v8, s[6:7]
.LBB926_223:
	s_or_b64 exec, exec, s[2:3]
                                        ; implicit-def: $vgpr0_vgpr1
                                        ; implicit-def: $vgpr7
                                        ; implicit-def: $vgpr4
                                        ; implicit-def: $vgpr5
.LBB926_224:
	s_andn2_saveexec_b64 s[0:1], s[0:1]
	s_cbranch_execz .LBB926_148
; %bb.225:
	v_cmp_lt_i64_e32 vcc, 1, v[0:1]
	s_and_saveexec_b64 s[0:1], vcc
	s_xor_b64 s[0:1], exec, s[0:1]
	s_cbranch_execz .LBB926_227
; %bb.226:
	v_mov_b32_e32 v0, 0
	s_waitcnt lgkmcnt(0)
	global_store_short v0, v7, s[6:7]
                                        ; implicit-def: $vgpr4
                                        ; implicit-def: $vgpr0_vgpr1
                                        ; implicit-def: $vgpr5
.LBB926_227:
	s_andn2_saveexec_b64 s[0:1], s[0:1]
	s_cbranch_execz .LBB926_148
; %bb.228:
	v_cmp_ne_u64_e32 vcc, 1, v[0:1]
	s_and_saveexec_b64 s[0:1], vcc
	s_xor_b64 s[0:1], exec, s[0:1]
	s_cbranch_execz .LBB926_230
; %bb.229:
	v_mov_b32_e32 v0, 0
	s_waitcnt lgkmcnt(0)
	global_store_short v0, v5, s[6:7]
                                        ; implicit-def: $vgpr4
.LBB926_230:
	s_andn2_saveexec_b64 s[0:1], s[0:1]
	s_cbranch_execz .LBB926_148
; %bb.231:
	v_mov_b32_e32 v0, 0
	s_waitcnt lgkmcnt(0)
	global_store_short v0, v4, s[6:7]
	s_endpgm
	.section	.rodata,"a",@progbits
	.p2align	6, 0x0
	.amdhsa_kernel _ZN7rocprim17ROCPRIM_400000_NS6detail17trampoline_kernelINS0_14default_configENS1_20scan_config_selectorIsEEZZNS1_9scan_implILNS1_25lookback_scan_determinismE0ELb0ELb0ES3_N6thrust23THRUST_200600_302600_NS6detail15normal_iteratorINS9_10device_ptrIsEEEESE_sNS9_4plusIvEEsEEDaPvRmT3_T4_T5_mT6_P12ihipStream_tbENKUlT_T0_E_clISt17integral_constantIbLb1EEST_IbLb0EEEEDaSP_SQ_EUlSP_E_NS1_11comp_targetILNS1_3genE4ELNS1_11target_archE910ELNS1_3gpuE8ELNS1_3repE0EEENS1_30default_config_static_selectorELNS0_4arch9wavefront6targetE1EEEvT1_
		.amdhsa_group_segment_fixed_size 3072
		.amdhsa_private_segment_fixed_size 0
		.amdhsa_kernarg_size 96
		.amdhsa_user_sgpr_count 6
		.amdhsa_user_sgpr_private_segment_buffer 1
		.amdhsa_user_sgpr_dispatch_ptr 0
		.amdhsa_user_sgpr_queue_ptr 0
		.amdhsa_user_sgpr_kernarg_segment_ptr 1
		.amdhsa_user_sgpr_dispatch_id 0
		.amdhsa_user_sgpr_flat_scratch_init 0
		.amdhsa_user_sgpr_kernarg_preload_length 0
		.amdhsa_user_sgpr_kernarg_preload_offset 0
		.amdhsa_user_sgpr_private_segment_size 0
		.amdhsa_uses_dynamic_stack 0
		.amdhsa_system_sgpr_private_segment_wavefront_offset 0
		.amdhsa_system_sgpr_workgroup_id_x 1
		.amdhsa_system_sgpr_workgroup_id_y 0
		.amdhsa_system_sgpr_workgroup_id_z 0
		.amdhsa_system_sgpr_workgroup_info 0
		.amdhsa_system_vgpr_workitem_id 0
		.amdhsa_next_free_vgpr 54
		.amdhsa_next_free_sgpr 26
		.amdhsa_accum_offset 56
		.amdhsa_reserve_vcc 1
		.amdhsa_reserve_flat_scratch 0
		.amdhsa_float_round_mode_32 0
		.amdhsa_float_round_mode_16_64 0
		.amdhsa_float_denorm_mode_32 3
		.amdhsa_float_denorm_mode_16_64 3
		.amdhsa_dx10_clamp 1
		.amdhsa_ieee_mode 1
		.amdhsa_fp16_overflow 0
		.amdhsa_tg_split 0
		.amdhsa_exception_fp_ieee_invalid_op 0
		.amdhsa_exception_fp_denorm_src 0
		.amdhsa_exception_fp_ieee_div_zero 0
		.amdhsa_exception_fp_ieee_overflow 0
		.amdhsa_exception_fp_ieee_underflow 0
		.amdhsa_exception_fp_ieee_inexact 0
		.amdhsa_exception_int_div_zero 0
	.end_amdhsa_kernel
	.section	.text._ZN7rocprim17ROCPRIM_400000_NS6detail17trampoline_kernelINS0_14default_configENS1_20scan_config_selectorIsEEZZNS1_9scan_implILNS1_25lookback_scan_determinismE0ELb0ELb0ES3_N6thrust23THRUST_200600_302600_NS6detail15normal_iteratorINS9_10device_ptrIsEEEESE_sNS9_4plusIvEEsEEDaPvRmT3_T4_T5_mT6_P12ihipStream_tbENKUlT_T0_E_clISt17integral_constantIbLb1EEST_IbLb0EEEEDaSP_SQ_EUlSP_E_NS1_11comp_targetILNS1_3genE4ELNS1_11target_archE910ELNS1_3gpuE8ELNS1_3repE0EEENS1_30default_config_static_selectorELNS0_4arch9wavefront6targetE1EEEvT1_,"axG",@progbits,_ZN7rocprim17ROCPRIM_400000_NS6detail17trampoline_kernelINS0_14default_configENS1_20scan_config_selectorIsEEZZNS1_9scan_implILNS1_25lookback_scan_determinismE0ELb0ELb0ES3_N6thrust23THRUST_200600_302600_NS6detail15normal_iteratorINS9_10device_ptrIsEEEESE_sNS9_4plusIvEEsEEDaPvRmT3_T4_T5_mT6_P12ihipStream_tbENKUlT_T0_E_clISt17integral_constantIbLb1EEST_IbLb0EEEEDaSP_SQ_EUlSP_E_NS1_11comp_targetILNS1_3genE4ELNS1_11target_archE910ELNS1_3gpuE8ELNS1_3repE0EEENS1_30default_config_static_selectorELNS0_4arch9wavefront6targetE1EEEvT1_,comdat
.Lfunc_end926:
	.size	_ZN7rocprim17ROCPRIM_400000_NS6detail17trampoline_kernelINS0_14default_configENS1_20scan_config_selectorIsEEZZNS1_9scan_implILNS1_25lookback_scan_determinismE0ELb0ELb0ES3_N6thrust23THRUST_200600_302600_NS6detail15normal_iteratorINS9_10device_ptrIsEEEESE_sNS9_4plusIvEEsEEDaPvRmT3_T4_T5_mT6_P12ihipStream_tbENKUlT_T0_E_clISt17integral_constantIbLb1EEST_IbLb0EEEEDaSP_SQ_EUlSP_E_NS1_11comp_targetILNS1_3genE4ELNS1_11target_archE910ELNS1_3gpuE8ELNS1_3repE0EEENS1_30default_config_static_selectorELNS0_4arch9wavefront6targetE1EEEvT1_, .Lfunc_end926-_ZN7rocprim17ROCPRIM_400000_NS6detail17trampoline_kernelINS0_14default_configENS1_20scan_config_selectorIsEEZZNS1_9scan_implILNS1_25lookback_scan_determinismE0ELb0ELb0ES3_N6thrust23THRUST_200600_302600_NS6detail15normal_iteratorINS9_10device_ptrIsEEEESE_sNS9_4plusIvEEsEEDaPvRmT3_T4_T5_mT6_P12ihipStream_tbENKUlT_T0_E_clISt17integral_constantIbLb1EEST_IbLb0EEEEDaSP_SQ_EUlSP_E_NS1_11comp_targetILNS1_3genE4ELNS1_11target_archE910ELNS1_3gpuE8ELNS1_3repE0EEENS1_30default_config_static_selectorELNS0_4arch9wavefront6targetE1EEEvT1_
                                        ; -- End function
	.section	.AMDGPU.csdata,"",@progbits
; Kernel info:
; codeLenInByte = 7948
; NumSgprs: 30
; NumVgprs: 54
; NumAgprs: 0
; TotalNumVgprs: 54
; ScratchSize: 0
; MemoryBound: 0
; FloatMode: 240
; IeeeMode: 1
; LDSByteSize: 3072 bytes/workgroup (compile time only)
; SGPRBlocks: 3
; VGPRBlocks: 6
; NumSGPRsForWavesPerEU: 30
; NumVGPRsForWavesPerEU: 54
; AccumOffset: 56
; Occupancy: 6
; WaveLimiterHint : 1
; COMPUTE_PGM_RSRC2:SCRATCH_EN: 0
; COMPUTE_PGM_RSRC2:USER_SGPR: 6
; COMPUTE_PGM_RSRC2:TRAP_HANDLER: 0
; COMPUTE_PGM_RSRC2:TGID_X_EN: 1
; COMPUTE_PGM_RSRC2:TGID_Y_EN: 0
; COMPUTE_PGM_RSRC2:TGID_Z_EN: 0
; COMPUTE_PGM_RSRC2:TIDIG_COMP_CNT: 0
; COMPUTE_PGM_RSRC3_GFX90A:ACCUM_OFFSET: 13
; COMPUTE_PGM_RSRC3_GFX90A:TG_SPLIT: 0
	.section	.text._ZN7rocprim17ROCPRIM_400000_NS6detail17trampoline_kernelINS0_14default_configENS1_20scan_config_selectorIsEEZZNS1_9scan_implILNS1_25lookback_scan_determinismE0ELb0ELb0ES3_N6thrust23THRUST_200600_302600_NS6detail15normal_iteratorINS9_10device_ptrIsEEEESE_sNS9_4plusIvEEsEEDaPvRmT3_T4_T5_mT6_P12ihipStream_tbENKUlT_T0_E_clISt17integral_constantIbLb1EEST_IbLb0EEEEDaSP_SQ_EUlSP_E_NS1_11comp_targetILNS1_3genE3ELNS1_11target_archE908ELNS1_3gpuE7ELNS1_3repE0EEENS1_30default_config_static_selectorELNS0_4arch9wavefront6targetE1EEEvT1_,"axG",@progbits,_ZN7rocprim17ROCPRIM_400000_NS6detail17trampoline_kernelINS0_14default_configENS1_20scan_config_selectorIsEEZZNS1_9scan_implILNS1_25lookback_scan_determinismE0ELb0ELb0ES3_N6thrust23THRUST_200600_302600_NS6detail15normal_iteratorINS9_10device_ptrIsEEEESE_sNS9_4plusIvEEsEEDaPvRmT3_T4_T5_mT6_P12ihipStream_tbENKUlT_T0_E_clISt17integral_constantIbLb1EEST_IbLb0EEEEDaSP_SQ_EUlSP_E_NS1_11comp_targetILNS1_3genE3ELNS1_11target_archE908ELNS1_3gpuE7ELNS1_3repE0EEENS1_30default_config_static_selectorELNS0_4arch9wavefront6targetE1EEEvT1_,comdat
	.protected	_ZN7rocprim17ROCPRIM_400000_NS6detail17trampoline_kernelINS0_14default_configENS1_20scan_config_selectorIsEEZZNS1_9scan_implILNS1_25lookback_scan_determinismE0ELb0ELb0ES3_N6thrust23THRUST_200600_302600_NS6detail15normal_iteratorINS9_10device_ptrIsEEEESE_sNS9_4plusIvEEsEEDaPvRmT3_T4_T5_mT6_P12ihipStream_tbENKUlT_T0_E_clISt17integral_constantIbLb1EEST_IbLb0EEEEDaSP_SQ_EUlSP_E_NS1_11comp_targetILNS1_3genE3ELNS1_11target_archE908ELNS1_3gpuE7ELNS1_3repE0EEENS1_30default_config_static_selectorELNS0_4arch9wavefront6targetE1EEEvT1_ ; -- Begin function _ZN7rocprim17ROCPRIM_400000_NS6detail17trampoline_kernelINS0_14default_configENS1_20scan_config_selectorIsEEZZNS1_9scan_implILNS1_25lookback_scan_determinismE0ELb0ELb0ES3_N6thrust23THRUST_200600_302600_NS6detail15normal_iteratorINS9_10device_ptrIsEEEESE_sNS9_4plusIvEEsEEDaPvRmT3_T4_T5_mT6_P12ihipStream_tbENKUlT_T0_E_clISt17integral_constantIbLb1EEST_IbLb0EEEEDaSP_SQ_EUlSP_E_NS1_11comp_targetILNS1_3genE3ELNS1_11target_archE908ELNS1_3gpuE7ELNS1_3repE0EEENS1_30default_config_static_selectorELNS0_4arch9wavefront6targetE1EEEvT1_
	.globl	_ZN7rocprim17ROCPRIM_400000_NS6detail17trampoline_kernelINS0_14default_configENS1_20scan_config_selectorIsEEZZNS1_9scan_implILNS1_25lookback_scan_determinismE0ELb0ELb0ES3_N6thrust23THRUST_200600_302600_NS6detail15normal_iteratorINS9_10device_ptrIsEEEESE_sNS9_4plusIvEEsEEDaPvRmT3_T4_T5_mT6_P12ihipStream_tbENKUlT_T0_E_clISt17integral_constantIbLb1EEST_IbLb0EEEEDaSP_SQ_EUlSP_E_NS1_11comp_targetILNS1_3genE3ELNS1_11target_archE908ELNS1_3gpuE7ELNS1_3repE0EEENS1_30default_config_static_selectorELNS0_4arch9wavefront6targetE1EEEvT1_
	.p2align	8
	.type	_ZN7rocprim17ROCPRIM_400000_NS6detail17trampoline_kernelINS0_14default_configENS1_20scan_config_selectorIsEEZZNS1_9scan_implILNS1_25lookback_scan_determinismE0ELb0ELb0ES3_N6thrust23THRUST_200600_302600_NS6detail15normal_iteratorINS9_10device_ptrIsEEEESE_sNS9_4plusIvEEsEEDaPvRmT3_T4_T5_mT6_P12ihipStream_tbENKUlT_T0_E_clISt17integral_constantIbLb1EEST_IbLb0EEEEDaSP_SQ_EUlSP_E_NS1_11comp_targetILNS1_3genE3ELNS1_11target_archE908ELNS1_3gpuE7ELNS1_3repE0EEENS1_30default_config_static_selectorELNS0_4arch9wavefront6targetE1EEEvT1_,@function
_ZN7rocprim17ROCPRIM_400000_NS6detail17trampoline_kernelINS0_14default_configENS1_20scan_config_selectorIsEEZZNS1_9scan_implILNS1_25lookback_scan_determinismE0ELb0ELb0ES3_N6thrust23THRUST_200600_302600_NS6detail15normal_iteratorINS9_10device_ptrIsEEEESE_sNS9_4plusIvEEsEEDaPvRmT3_T4_T5_mT6_P12ihipStream_tbENKUlT_T0_E_clISt17integral_constantIbLb1EEST_IbLb0EEEEDaSP_SQ_EUlSP_E_NS1_11comp_targetILNS1_3genE3ELNS1_11target_archE908ELNS1_3gpuE7ELNS1_3repE0EEENS1_30default_config_static_selectorELNS0_4arch9wavefront6targetE1EEEvT1_: ; @_ZN7rocprim17ROCPRIM_400000_NS6detail17trampoline_kernelINS0_14default_configENS1_20scan_config_selectorIsEEZZNS1_9scan_implILNS1_25lookback_scan_determinismE0ELb0ELb0ES3_N6thrust23THRUST_200600_302600_NS6detail15normal_iteratorINS9_10device_ptrIsEEEESE_sNS9_4plusIvEEsEEDaPvRmT3_T4_T5_mT6_P12ihipStream_tbENKUlT_T0_E_clISt17integral_constantIbLb1EEST_IbLb0EEEEDaSP_SQ_EUlSP_E_NS1_11comp_targetILNS1_3genE3ELNS1_11target_archE908ELNS1_3gpuE7ELNS1_3repE0EEENS1_30default_config_static_selectorELNS0_4arch9wavefront6targetE1EEEvT1_
; %bb.0:
	.section	.rodata,"a",@progbits
	.p2align	6, 0x0
	.amdhsa_kernel _ZN7rocprim17ROCPRIM_400000_NS6detail17trampoline_kernelINS0_14default_configENS1_20scan_config_selectorIsEEZZNS1_9scan_implILNS1_25lookback_scan_determinismE0ELb0ELb0ES3_N6thrust23THRUST_200600_302600_NS6detail15normal_iteratorINS9_10device_ptrIsEEEESE_sNS9_4plusIvEEsEEDaPvRmT3_T4_T5_mT6_P12ihipStream_tbENKUlT_T0_E_clISt17integral_constantIbLb1EEST_IbLb0EEEEDaSP_SQ_EUlSP_E_NS1_11comp_targetILNS1_3genE3ELNS1_11target_archE908ELNS1_3gpuE7ELNS1_3repE0EEENS1_30default_config_static_selectorELNS0_4arch9wavefront6targetE1EEEvT1_
		.amdhsa_group_segment_fixed_size 0
		.amdhsa_private_segment_fixed_size 0
		.amdhsa_kernarg_size 96
		.amdhsa_user_sgpr_count 6
		.amdhsa_user_sgpr_private_segment_buffer 1
		.amdhsa_user_sgpr_dispatch_ptr 0
		.amdhsa_user_sgpr_queue_ptr 0
		.amdhsa_user_sgpr_kernarg_segment_ptr 1
		.amdhsa_user_sgpr_dispatch_id 0
		.amdhsa_user_sgpr_flat_scratch_init 0
		.amdhsa_user_sgpr_kernarg_preload_length 0
		.amdhsa_user_sgpr_kernarg_preload_offset 0
		.amdhsa_user_sgpr_private_segment_size 0
		.amdhsa_uses_dynamic_stack 0
		.amdhsa_system_sgpr_private_segment_wavefront_offset 0
		.amdhsa_system_sgpr_workgroup_id_x 1
		.amdhsa_system_sgpr_workgroup_id_y 0
		.amdhsa_system_sgpr_workgroup_id_z 0
		.amdhsa_system_sgpr_workgroup_info 0
		.amdhsa_system_vgpr_workitem_id 0
		.amdhsa_next_free_vgpr 1
		.amdhsa_next_free_sgpr 0
		.amdhsa_accum_offset 4
		.amdhsa_reserve_vcc 0
		.amdhsa_reserve_flat_scratch 0
		.amdhsa_float_round_mode_32 0
		.amdhsa_float_round_mode_16_64 0
		.amdhsa_float_denorm_mode_32 3
		.amdhsa_float_denorm_mode_16_64 3
		.amdhsa_dx10_clamp 1
		.amdhsa_ieee_mode 1
		.amdhsa_fp16_overflow 0
		.amdhsa_tg_split 0
		.amdhsa_exception_fp_ieee_invalid_op 0
		.amdhsa_exception_fp_denorm_src 0
		.amdhsa_exception_fp_ieee_div_zero 0
		.amdhsa_exception_fp_ieee_overflow 0
		.amdhsa_exception_fp_ieee_underflow 0
		.amdhsa_exception_fp_ieee_inexact 0
		.amdhsa_exception_int_div_zero 0
	.end_amdhsa_kernel
	.section	.text._ZN7rocprim17ROCPRIM_400000_NS6detail17trampoline_kernelINS0_14default_configENS1_20scan_config_selectorIsEEZZNS1_9scan_implILNS1_25lookback_scan_determinismE0ELb0ELb0ES3_N6thrust23THRUST_200600_302600_NS6detail15normal_iteratorINS9_10device_ptrIsEEEESE_sNS9_4plusIvEEsEEDaPvRmT3_T4_T5_mT6_P12ihipStream_tbENKUlT_T0_E_clISt17integral_constantIbLb1EEST_IbLb0EEEEDaSP_SQ_EUlSP_E_NS1_11comp_targetILNS1_3genE3ELNS1_11target_archE908ELNS1_3gpuE7ELNS1_3repE0EEENS1_30default_config_static_selectorELNS0_4arch9wavefront6targetE1EEEvT1_,"axG",@progbits,_ZN7rocprim17ROCPRIM_400000_NS6detail17trampoline_kernelINS0_14default_configENS1_20scan_config_selectorIsEEZZNS1_9scan_implILNS1_25lookback_scan_determinismE0ELb0ELb0ES3_N6thrust23THRUST_200600_302600_NS6detail15normal_iteratorINS9_10device_ptrIsEEEESE_sNS9_4plusIvEEsEEDaPvRmT3_T4_T5_mT6_P12ihipStream_tbENKUlT_T0_E_clISt17integral_constantIbLb1EEST_IbLb0EEEEDaSP_SQ_EUlSP_E_NS1_11comp_targetILNS1_3genE3ELNS1_11target_archE908ELNS1_3gpuE7ELNS1_3repE0EEENS1_30default_config_static_selectorELNS0_4arch9wavefront6targetE1EEEvT1_,comdat
.Lfunc_end927:
	.size	_ZN7rocprim17ROCPRIM_400000_NS6detail17trampoline_kernelINS0_14default_configENS1_20scan_config_selectorIsEEZZNS1_9scan_implILNS1_25lookback_scan_determinismE0ELb0ELb0ES3_N6thrust23THRUST_200600_302600_NS6detail15normal_iteratorINS9_10device_ptrIsEEEESE_sNS9_4plusIvEEsEEDaPvRmT3_T4_T5_mT6_P12ihipStream_tbENKUlT_T0_E_clISt17integral_constantIbLb1EEST_IbLb0EEEEDaSP_SQ_EUlSP_E_NS1_11comp_targetILNS1_3genE3ELNS1_11target_archE908ELNS1_3gpuE7ELNS1_3repE0EEENS1_30default_config_static_selectorELNS0_4arch9wavefront6targetE1EEEvT1_, .Lfunc_end927-_ZN7rocprim17ROCPRIM_400000_NS6detail17trampoline_kernelINS0_14default_configENS1_20scan_config_selectorIsEEZZNS1_9scan_implILNS1_25lookback_scan_determinismE0ELb0ELb0ES3_N6thrust23THRUST_200600_302600_NS6detail15normal_iteratorINS9_10device_ptrIsEEEESE_sNS9_4plusIvEEsEEDaPvRmT3_T4_T5_mT6_P12ihipStream_tbENKUlT_T0_E_clISt17integral_constantIbLb1EEST_IbLb0EEEEDaSP_SQ_EUlSP_E_NS1_11comp_targetILNS1_3genE3ELNS1_11target_archE908ELNS1_3gpuE7ELNS1_3repE0EEENS1_30default_config_static_selectorELNS0_4arch9wavefront6targetE1EEEvT1_
                                        ; -- End function
	.section	.AMDGPU.csdata,"",@progbits
; Kernel info:
; codeLenInByte = 0
; NumSgprs: 4
; NumVgprs: 0
; NumAgprs: 0
; TotalNumVgprs: 0
; ScratchSize: 0
; MemoryBound: 0
; FloatMode: 240
; IeeeMode: 1
; LDSByteSize: 0 bytes/workgroup (compile time only)
; SGPRBlocks: 0
; VGPRBlocks: 0
; NumSGPRsForWavesPerEU: 4
; NumVGPRsForWavesPerEU: 1
; AccumOffset: 4
; Occupancy: 8
; WaveLimiterHint : 0
; COMPUTE_PGM_RSRC2:SCRATCH_EN: 0
; COMPUTE_PGM_RSRC2:USER_SGPR: 6
; COMPUTE_PGM_RSRC2:TRAP_HANDLER: 0
; COMPUTE_PGM_RSRC2:TGID_X_EN: 1
; COMPUTE_PGM_RSRC2:TGID_Y_EN: 0
; COMPUTE_PGM_RSRC2:TGID_Z_EN: 0
; COMPUTE_PGM_RSRC2:TIDIG_COMP_CNT: 0
; COMPUTE_PGM_RSRC3_GFX90A:ACCUM_OFFSET: 0
; COMPUTE_PGM_RSRC3_GFX90A:TG_SPLIT: 0
	.section	.text._ZN7rocprim17ROCPRIM_400000_NS6detail17trampoline_kernelINS0_14default_configENS1_20scan_config_selectorIsEEZZNS1_9scan_implILNS1_25lookback_scan_determinismE0ELb0ELb0ES3_N6thrust23THRUST_200600_302600_NS6detail15normal_iteratorINS9_10device_ptrIsEEEESE_sNS9_4plusIvEEsEEDaPvRmT3_T4_T5_mT6_P12ihipStream_tbENKUlT_T0_E_clISt17integral_constantIbLb1EEST_IbLb0EEEEDaSP_SQ_EUlSP_E_NS1_11comp_targetILNS1_3genE2ELNS1_11target_archE906ELNS1_3gpuE6ELNS1_3repE0EEENS1_30default_config_static_selectorELNS0_4arch9wavefront6targetE1EEEvT1_,"axG",@progbits,_ZN7rocprim17ROCPRIM_400000_NS6detail17trampoline_kernelINS0_14default_configENS1_20scan_config_selectorIsEEZZNS1_9scan_implILNS1_25lookback_scan_determinismE0ELb0ELb0ES3_N6thrust23THRUST_200600_302600_NS6detail15normal_iteratorINS9_10device_ptrIsEEEESE_sNS9_4plusIvEEsEEDaPvRmT3_T4_T5_mT6_P12ihipStream_tbENKUlT_T0_E_clISt17integral_constantIbLb1EEST_IbLb0EEEEDaSP_SQ_EUlSP_E_NS1_11comp_targetILNS1_3genE2ELNS1_11target_archE906ELNS1_3gpuE6ELNS1_3repE0EEENS1_30default_config_static_selectorELNS0_4arch9wavefront6targetE1EEEvT1_,comdat
	.protected	_ZN7rocprim17ROCPRIM_400000_NS6detail17trampoline_kernelINS0_14default_configENS1_20scan_config_selectorIsEEZZNS1_9scan_implILNS1_25lookback_scan_determinismE0ELb0ELb0ES3_N6thrust23THRUST_200600_302600_NS6detail15normal_iteratorINS9_10device_ptrIsEEEESE_sNS9_4plusIvEEsEEDaPvRmT3_T4_T5_mT6_P12ihipStream_tbENKUlT_T0_E_clISt17integral_constantIbLb1EEST_IbLb0EEEEDaSP_SQ_EUlSP_E_NS1_11comp_targetILNS1_3genE2ELNS1_11target_archE906ELNS1_3gpuE6ELNS1_3repE0EEENS1_30default_config_static_selectorELNS0_4arch9wavefront6targetE1EEEvT1_ ; -- Begin function _ZN7rocprim17ROCPRIM_400000_NS6detail17trampoline_kernelINS0_14default_configENS1_20scan_config_selectorIsEEZZNS1_9scan_implILNS1_25lookback_scan_determinismE0ELb0ELb0ES3_N6thrust23THRUST_200600_302600_NS6detail15normal_iteratorINS9_10device_ptrIsEEEESE_sNS9_4plusIvEEsEEDaPvRmT3_T4_T5_mT6_P12ihipStream_tbENKUlT_T0_E_clISt17integral_constantIbLb1EEST_IbLb0EEEEDaSP_SQ_EUlSP_E_NS1_11comp_targetILNS1_3genE2ELNS1_11target_archE906ELNS1_3gpuE6ELNS1_3repE0EEENS1_30default_config_static_selectorELNS0_4arch9wavefront6targetE1EEEvT1_
	.globl	_ZN7rocprim17ROCPRIM_400000_NS6detail17trampoline_kernelINS0_14default_configENS1_20scan_config_selectorIsEEZZNS1_9scan_implILNS1_25lookback_scan_determinismE0ELb0ELb0ES3_N6thrust23THRUST_200600_302600_NS6detail15normal_iteratorINS9_10device_ptrIsEEEESE_sNS9_4plusIvEEsEEDaPvRmT3_T4_T5_mT6_P12ihipStream_tbENKUlT_T0_E_clISt17integral_constantIbLb1EEST_IbLb0EEEEDaSP_SQ_EUlSP_E_NS1_11comp_targetILNS1_3genE2ELNS1_11target_archE906ELNS1_3gpuE6ELNS1_3repE0EEENS1_30default_config_static_selectorELNS0_4arch9wavefront6targetE1EEEvT1_
	.p2align	8
	.type	_ZN7rocprim17ROCPRIM_400000_NS6detail17trampoline_kernelINS0_14default_configENS1_20scan_config_selectorIsEEZZNS1_9scan_implILNS1_25lookback_scan_determinismE0ELb0ELb0ES3_N6thrust23THRUST_200600_302600_NS6detail15normal_iteratorINS9_10device_ptrIsEEEESE_sNS9_4plusIvEEsEEDaPvRmT3_T4_T5_mT6_P12ihipStream_tbENKUlT_T0_E_clISt17integral_constantIbLb1EEST_IbLb0EEEEDaSP_SQ_EUlSP_E_NS1_11comp_targetILNS1_3genE2ELNS1_11target_archE906ELNS1_3gpuE6ELNS1_3repE0EEENS1_30default_config_static_selectorELNS0_4arch9wavefront6targetE1EEEvT1_,@function
_ZN7rocprim17ROCPRIM_400000_NS6detail17trampoline_kernelINS0_14default_configENS1_20scan_config_selectorIsEEZZNS1_9scan_implILNS1_25lookback_scan_determinismE0ELb0ELb0ES3_N6thrust23THRUST_200600_302600_NS6detail15normal_iteratorINS9_10device_ptrIsEEEESE_sNS9_4plusIvEEsEEDaPvRmT3_T4_T5_mT6_P12ihipStream_tbENKUlT_T0_E_clISt17integral_constantIbLb1EEST_IbLb0EEEEDaSP_SQ_EUlSP_E_NS1_11comp_targetILNS1_3genE2ELNS1_11target_archE906ELNS1_3gpuE6ELNS1_3repE0EEENS1_30default_config_static_selectorELNS0_4arch9wavefront6targetE1EEEvT1_: ; @_ZN7rocprim17ROCPRIM_400000_NS6detail17trampoline_kernelINS0_14default_configENS1_20scan_config_selectorIsEEZZNS1_9scan_implILNS1_25lookback_scan_determinismE0ELb0ELb0ES3_N6thrust23THRUST_200600_302600_NS6detail15normal_iteratorINS9_10device_ptrIsEEEESE_sNS9_4plusIvEEsEEDaPvRmT3_T4_T5_mT6_P12ihipStream_tbENKUlT_T0_E_clISt17integral_constantIbLb1EEST_IbLb0EEEEDaSP_SQ_EUlSP_E_NS1_11comp_targetILNS1_3genE2ELNS1_11target_archE906ELNS1_3gpuE6ELNS1_3repE0EEENS1_30default_config_static_selectorELNS0_4arch9wavefront6targetE1EEEvT1_
; %bb.0:
	.section	.rodata,"a",@progbits
	.p2align	6, 0x0
	.amdhsa_kernel _ZN7rocprim17ROCPRIM_400000_NS6detail17trampoline_kernelINS0_14default_configENS1_20scan_config_selectorIsEEZZNS1_9scan_implILNS1_25lookback_scan_determinismE0ELb0ELb0ES3_N6thrust23THRUST_200600_302600_NS6detail15normal_iteratorINS9_10device_ptrIsEEEESE_sNS9_4plusIvEEsEEDaPvRmT3_T4_T5_mT6_P12ihipStream_tbENKUlT_T0_E_clISt17integral_constantIbLb1EEST_IbLb0EEEEDaSP_SQ_EUlSP_E_NS1_11comp_targetILNS1_3genE2ELNS1_11target_archE906ELNS1_3gpuE6ELNS1_3repE0EEENS1_30default_config_static_selectorELNS0_4arch9wavefront6targetE1EEEvT1_
		.amdhsa_group_segment_fixed_size 0
		.amdhsa_private_segment_fixed_size 0
		.amdhsa_kernarg_size 96
		.amdhsa_user_sgpr_count 6
		.amdhsa_user_sgpr_private_segment_buffer 1
		.amdhsa_user_sgpr_dispatch_ptr 0
		.amdhsa_user_sgpr_queue_ptr 0
		.amdhsa_user_sgpr_kernarg_segment_ptr 1
		.amdhsa_user_sgpr_dispatch_id 0
		.amdhsa_user_sgpr_flat_scratch_init 0
		.amdhsa_user_sgpr_kernarg_preload_length 0
		.amdhsa_user_sgpr_kernarg_preload_offset 0
		.amdhsa_user_sgpr_private_segment_size 0
		.amdhsa_uses_dynamic_stack 0
		.amdhsa_system_sgpr_private_segment_wavefront_offset 0
		.amdhsa_system_sgpr_workgroup_id_x 1
		.amdhsa_system_sgpr_workgroup_id_y 0
		.amdhsa_system_sgpr_workgroup_id_z 0
		.amdhsa_system_sgpr_workgroup_info 0
		.amdhsa_system_vgpr_workitem_id 0
		.amdhsa_next_free_vgpr 1
		.amdhsa_next_free_sgpr 0
		.amdhsa_accum_offset 4
		.amdhsa_reserve_vcc 0
		.amdhsa_reserve_flat_scratch 0
		.amdhsa_float_round_mode_32 0
		.amdhsa_float_round_mode_16_64 0
		.amdhsa_float_denorm_mode_32 3
		.amdhsa_float_denorm_mode_16_64 3
		.amdhsa_dx10_clamp 1
		.amdhsa_ieee_mode 1
		.amdhsa_fp16_overflow 0
		.amdhsa_tg_split 0
		.amdhsa_exception_fp_ieee_invalid_op 0
		.amdhsa_exception_fp_denorm_src 0
		.amdhsa_exception_fp_ieee_div_zero 0
		.amdhsa_exception_fp_ieee_overflow 0
		.amdhsa_exception_fp_ieee_underflow 0
		.amdhsa_exception_fp_ieee_inexact 0
		.amdhsa_exception_int_div_zero 0
	.end_amdhsa_kernel
	.section	.text._ZN7rocprim17ROCPRIM_400000_NS6detail17trampoline_kernelINS0_14default_configENS1_20scan_config_selectorIsEEZZNS1_9scan_implILNS1_25lookback_scan_determinismE0ELb0ELb0ES3_N6thrust23THRUST_200600_302600_NS6detail15normal_iteratorINS9_10device_ptrIsEEEESE_sNS9_4plusIvEEsEEDaPvRmT3_T4_T5_mT6_P12ihipStream_tbENKUlT_T0_E_clISt17integral_constantIbLb1EEST_IbLb0EEEEDaSP_SQ_EUlSP_E_NS1_11comp_targetILNS1_3genE2ELNS1_11target_archE906ELNS1_3gpuE6ELNS1_3repE0EEENS1_30default_config_static_selectorELNS0_4arch9wavefront6targetE1EEEvT1_,"axG",@progbits,_ZN7rocprim17ROCPRIM_400000_NS6detail17trampoline_kernelINS0_14default_configENS1_20scan_config_selectorIsEEZZNS1_9scan_implILNS1_25lookback_scan_determinismE0ELb0ELb0ES3_N6thrust23THRUST_200600_302600_NS6detail15normal_iteratorINS9_10device_ptrIsEEEESE_sNS9_4plusIvEEsEEDaPvRmT3_T4_T5_mT6_P12ihipStream_tbENKUlT_T0_E_clISt17integral_constantIbLb1EEST_IbLb0EEEEDaSP_SQ_EUlSP_E_NS1_11comp_targetILNS1_3genE2ELNS1_11target_archE906ELNS1_3gpuE6ELNS1_3repE0EEENS1_30default_config_static_selectorELNS0_4arch9wavefront6targetE1EEEvT1_,comdat
.Lfunc_end928:
	.size	_ZN7rocprim17ROCPRIM_400000_NS6detail17trampoline_kernelINS0_14default_configENS1_20scan_config_selectorIsEEZZNS1_9scan_implILNS1_25lookback_scan_determinismE0ELb0ELb0ES3_N6thrust23THRUST_200600_302600_NS6detail15normal_iteratorINS9_10device_ptrIsEEEESE_sNS9_4plusIvEEsEEDaPvRmT3_T4_T5_mT6_P12ihipStream_tbENKUlT_T0_E_clISt17integral_constantIbLb1EEST_IbLb0EEEEDaSP_SQ_EUlSP_E_NS1_11comp_targetILNS1_3genE2ELNS1_11target_archE906ELNS1_3gpuE6ELNS1_3repE0EEENS1_30default_config_static_selectorELNS0_4arch9wavefront6targetE1EEEvT1_, .Lfunc_end928-_ZN7rocprim17ROCPRIM_400000_NS6detail17trampoline_kernelINS0_14default_configENS1_20scan_config_selectorIsEEZZNS1_9scan_implILNS1_25lookback_scan_determinismE0ELb0ELb0ES3_N6thrust23THRUST_200600_302600_NS6detail15normal_iteratorINS9_10device_ptrIsEEEESE_sNS9_4plusIvEEsEEDaPvRmT3_T4_T5_mT6_P12ihipStream_tbENKUlT_T0_E_clISt17integral_constantIbLb1EEST_IbLb0EEEEDaSP_SQ_EUlSP_E_NS1_11comp_targetILNS1_3genE2ELNS1_11target_archE906ELNS1_3gpuE6ELNS1_3repE0EEENS1_30default_config_static_selectorELNS0_4arch9wavefront6targetE1EEEvT1_
                                        ; -- End function
	.section	.AMDGPU.csdata,"",@progbits
; Kernel info:
; codeLenInByte = 0
; NumSgprs: 4
; NumVgprs: 0
; NumAgprs: 0
; TotalNumVgprs: 0
; ScratchSize: 0
; MemoryBound: 0
; FloatMode: 240
; IeeeMode: 1
; LDSByteSize: 0 bytes/workgroup (compile time only)
; SGPRBlocks: 0
; VGPRBlocks: 0
; NumSGPRsForWavesPerEU: 4
; NumVGPRsForWavesPerEU: 1
; AccumOffset: 4
; Occupancy: 8
; WaveLimiterHint : 0
; COMPUTE_PGM_RSRC2:SCRATCH_EN: 0
; COMPUTE_PGM_RSRC2:USER_SGPR: 6
; COMPUTE_PGM_RSRC2:TRAP_HANDLER: 0
; COMPUTE_PGM_RSRC2:TGID_X_EN: 1
; COMPUTE_PGM_RSRC2:TGID_Y_EN: 0
; COMPUTE_PGM_RSRC2:TGID_Z_EN: 0
; COMPUTE_PGM_RSRC2:TIDIG_COMP_CNT: 0
; COMPUTE_PGM_RSRC3_GFX90A:ACCUM_OFFSET: 0
; COMPUTE_PGM_RSRC3_GFX90A:TG_SPLIT: 0
	.section	.text._ZN7rocprim17ROCPRIM_400000_NS6detail17trampoline_kernelINS0_14default_configENS1_20scan_config_selectorIsEEZZNS1_9scan_implILNS1_25lookback_scan_determinismE0ELb0ELb0ES3_N6thrust23THRUST_200600_302600_NS6detail15normal_iteratorINS9_10device_ptrIsEEEESE_sNS9_4plusIvEEsEEDaPvRmT3_T4_T5_mT6_P12ihipStream_tbENKUlT_T0_E_clISt17integral_constantIbLb1EEST_IbLb0EEEEDaSP_SQ_EUlSP_E_NS1_11comp_targetILNS1_3genE10ELNS1_11target_archE1201ELNS1_3gpuE5ELNS1_3repE0EEENS1_30default_config_static_selectorELNS0_4arch9wavefront6targetE1EEEvT1_,"axG",@progbits,_ZN7rocprim17ROCPRIM_400000_NS6detail17trampoline_kernelINS0_14default_configENS1_20scan_config_selectorIsEEZZNS1_9scan_implILNS1_25lookback_scan_determinismE0ELb0ELb0ES3_N6thrust23THRUST_200600_302600_NS6detail15normal_iteratorINS9_10device_ptrIsEEEESE_sNS9_4plusIvEEsEEDaPvRmT3_T4_T5_mT6_P12ihipStream_tbENKUlT_T0_E_clISt17integral_constantIbLb1EEST_IbLb0EEEEDaSP_SQ_EUlSP_E_NS1_11comp_targetILNS1_3genE10ELNS1_11target_archE1201ELNS1_3gpuE5ELNS1_3repE0EEENS1_30default_config_static_selectorELNS0_4arch9wavefront6targetE1EEEvT1_,comdat
	.protected	_ZN7rocprim17ROCPRIM_400000_NS6detail17trampoline_kernelINS0_14default_configENS1_20scan_config_selectorIsEEZZNS1_9scan_implILNS1_25lookback_scan_determinismE0ELb0ELb0ES3_N6thrust23THRUST_200600_302600_NS6detail15normal_iteratorINS9_10device_ptrIsEEEESE_sNS9_4plusIvEEsEEDaPvRmT3_T4_T5_mT6_P12ihipStream_tbENKUlT_T0_E_clISt17integral_constantIbLb1EEST_IbLb0EEEEDaSP_SQ_EUlSP_E_NS1_11comp_targetILNS1_3genE10ELNS1_11target_archE1201ELNS1_3gpuE5ELNS1_3repE0EEENS1_30default_config_static_selectorELNS0_4arch9wavefront6targetE1EEEvT1_ ; -- Begin function _ZN7rocprim17ROCPRIM_400000_NS6detail17trampoline_kernelINS0_14default_configENS1_20scan_config_selectorIsEEZZNS1_9scan_implILNS1_25lookback_scan_determinismE0ELb0ELb0ES3_N6thrust23THRUST_200600_302600_NS6detail15normal_iteratorINS9_10device_ptrIsEEEESE_sNS9_4plusIvEEsEEDaPvRmT3_T4_T5_mT6_P12ihipStream_tbENKUlT_T0_E_clISt17integral_constantIbLb1EEST_IbLb0EEEEDaSP_SQ_EUlSP_E_NS1_11comp_targetILNS1_3genE10ELNS1_11target_archE1201ELNS1_3gpuE5ELNS1_3repE0EEENS1_30default_config_static_selectorELNS0_4arch9wavefront6targetE1EEEvT1_
	.globl	_ZN7rocprim17ROCPRIM_400000_NS6detail17trampoline_kernelINS0_14default_configENS1_20scan_config_selectorIsEEZZNS1_9scan_implILNS1_25lookback_scan_determinismE0ELb0ELb0ES3_N6thrust23THRUST_200600_302600_NS6detail15normal_iteratorINS9_10device_ptrIsEEEESE_sNS9_4plusIvEEsEEDaPvRmT3_T4_T5_mT6_P12ihipStream_tbENKUlT_T0_E_clISt17integral_constantIbLb1EEST_IbLb0EEEEDaSP_SQ_EUlSP_E_NS1_11comp_targetILNS1_3genE10ELNS1_11target_archE1201ELNS1_3gpuE5ELNS1_3repE0EEENS1_30default_config_static_selectorELNS0_4arch9wavefront6targetE1EEEvT1_
	.p2align	8
	.type	_ZN7rocprim17ROCPRIM_400000_NS6detail17trampoline_kernelINS0_14default_configENS1_20scan_config_selectorIsEEZZNS1_9scan_implILNS1_25lookback_scan_determinismE0ELb0ELb0ES3_N6thrust23THRUST_200600_302600_NS6detail15normal_iteratorINS9_10device_ptrIsEEEESE_sNS9_4plusIvEEsEEDaPvRmT3_T4_T5_mT6_P12ihipStream_tbENKUlT_T0_E_clISt17integral_constantIbLb1EEST_IbLb0EEEEDaSP_SQ_EUlSP_E_NS1_11comp_targetILNS1_3genE10ELNS1_11target_archE1201ELNS1_3gpuE5ELNS1_3repE0EEENS1_30default_config_static_selectorELNS0_4arch9wavefront6targetE1EEEvT1_,@function
_ZN7rocprim17ROCPRIM_400000_NS6detail17trampoline_kernelINS0_14default_configENS1_20scan_config_selectorIsEEZZNS1_9scan_implILNS1_25lookback_scan_determinismE0ELb0ELb0ES3_N6thrust23THRUST_200600_302600_NS6detail15normal_iteratorINS9_10device_ptrIsEEEESE_sNS9_4plusIvEEsEEDaPvRmT3_T4_T5_mT6_P12ihipStream_tbENKUlT_T0_E_clISt17integral_constantIbLb1EEST_IbLb0EEEEDaSP_SQ_EUlSP_E_NS1_11comp_targetILNS1_3genE10ELNS1_11target_archE1201ELNS1_3gpuE5ELNS1_3repE0EEENS1_30default_config_static_selectorELNS0_4arch9wavefront6targetE1EEEvT1_: ; @_ZN7rocprim17ROCPRIM_400000_NS6detail17trampoline_kernelINS0_14default_configENS1_20scan_config_selectorIsEEZZNS1_9scan_implILNS1_25lookback_scan_determinismE0ELb0ELb0ES3_N6thrust23THRUST_200600_302600_NS6detail15normal_iteratorINS9_10device_ptrIsEEEESE_sNS9_4plusIvEEsEEDaPvRmT3_T4_T5_mT6_P12ihipStream_tbENKUlT_T0_E_clISt17integral_constantIbLb1EEST_IbLb0EEEEDaSP_SQ_EUlSP_E_NS1_11comp_targetILNS1_3genE10ELNS1_11target_archE1201ELNS1_3gpuE5ELNS1_3repE0EEENS1_30default_config_static_selectorELNS0_4arch9wavefront6targetE1EEEvT1_
; %bb.0:
	.section	.rodata,"a",@progbits
	.p2align	6, 0x0
	.amdhsa_kernel _ZN7rocprim17ROCPRIM_400000_NS6detail17trampoline_kernelINS0_14default_configENS1_20scan_config_selectorIsEEZZNS1_9scan_implILNS1_25lookback_scan_determinismE0ELb0ELb0ES3_N6thrust23THRUST_200600_302600_NS6detail15normal_iteratorINS9_10device_ptrIsEEEESE_sNS9_4plusIvEEsEEDaPvRmT3_T4_T5_mT6_P12ihipStream_tbENKUlT_T0_E_clISt17integral_constantIbLb1EEST_IbLb0EEEEDaSP_SQ_EUlSP_E_NS1_11comp_targetILNS1_3genE10ELNS1_11target_archE1201ELNS1_3gpuE5ELNS1_3repE0EEENS1_30default_config_static_selectorELNS0_4arch9wavefront6targetE1EEEvT1_
		.amdhsa_group_segment_fixed_size 0
		.amdhsa_private_segment_fixed_size 0
		.amdhsa_kernarg_size 96
		.amdhsa_user_sgpr_count 6
		.amdhsa_user_sgpr_private_segment_buffer 1
		.amdhsa_user_sgpr_dispatch_ptr 0
		.amdhsa_user_sgpr_queue_ptr 0
		.amdhsa_user_sgpr_kernarg_segment_ptr 1
		.amdhsa_user_sgpr_dispatch_id 0
		.amdhsa_user_sgpr_flat_scratch_init 0
		.amdhsa_user_sgpr_kernarg_preload_length 0
		.amdhsa_user_sgpr_kernarg_preload_offset 0
		.amdhsa_user_sgpr_private_segment_size 0
		.amdhsa_uses_dynamic_stack 0
		.amdhsa_system_sgpr_private_segment_wavefront_offset 0
		.amdhsa_system_sgpr_workgroup_id_x 1
		.amdhsa_system_sgpr_workgroup_id_y 0
		.amdhsa_system_sgpr_workgroup_id_z 0
		.amdhsa_system_sgpr_workgroup_info 0
		.amdhsa_system_vgpr_workitem_id 0
		.amdhsa_next_free_vgpr 1
		.amdhsa_next_free_sgpr 0
		.amdhsa_accum_offset 4
		.amdhsa_reserve_vcc 0
		.amdhsa_reserve_flat_scratch 0
		.amdhsa_float_round_mode_32 0
		.amdhsa_float_round_mode_16_64 0
		.amdhsa_float_denorm_mode_32 3
		.amdhsa_float_denorm_mode_16_64 3
		.amdhsa_dx10_clamp 1
		.amdhsa_ieee_mode 1
		.amdhsa_fp16_overflow 0
		.amdhsa_tg_split 0
		.amdhsa_exception_fp_ieee_invalid_op 0
		.amdhsa_exception_fp_denorm_src 0
		.amdhsa_exception_fp_ieee_div_zero 0
		.amdhsa_exception_fp_ieee_overflow 0
		.amdhsa_exception_fp_ieee_underflow 0
		.amdhsa_exception_fp_ieee_inexact 0
		.amdhsa_exception_int_div_zero 0
	.end_amdhsa_kernel
	.section	.text._ZN7rocprim17ROCPRIM_400000_NS6detail17trampoline_kernelINS0_14default_configENS1_20scan_config_selectorIsEEZZNS1_9scan_implILNS1_25lookback_scan_determinismE0ELb0ELb0ES3_N6thrust23THRUST_200600_302600_NS6detail15normal_iteratorINS9_10device_ptrIsEEEESE_sNS9_4plusIvEEsEEDaPvRmT3_T4_T5_mT6_P12ihipStream_tbENKUlT_T0_E_clISt17integral_constantIbLb1EEST_IbLb0EEEEDaSP_SQ_EUlSP_E_NS1_11comp_targetILNS1_3genE10ELNS1_11target_archE1201ELNS1_3gpuE5ELNS1_3repE0EEENS1_30default_config_static_selectorELNS0_4arch9wavefront6targetE1EEEvT1_,"axG",@progbits,_ZN7rocprim17ROCPRIM_400000_NS6detail17trampoline_kernelINS0_14default_configENS1_20scan_config_selectorIsEEZZNS1_9scan_implILNS1_25lookback_scan_determinismE0ELb0ELb0ES3_N6thrust23THRUST_200600_302600_NS6detail15normal_iteratorINS9_10device_ptrIsEEEESE_sNS9_4plusIvEEsEEDaPvRmT3_T4_T5_mT6_P12ihipStream_tbENKUlT_T0_E_clISt17integral_constantIbLb1EEST_IbLb0EEEEDaSP_SQ_EUlSP_E_NS1_11comp_targetILNS1_3genE10ELNS1_11target_archE1201ELNS1_3gpuE5ELNS1_3repE0EEENS1_30default_config_static_selectorELNS0_4arch9wavefront6targetE1EEEvT1_,comdat
.Lfunc_end929:
	.size	_ZN7rocprim17ROCPRIM_400000_NS6detail17trampoline_kernelINS0_14default_configENS1_20scan_config_selectorIsEEZZNS1_9scan_implILNS1_25lookback_scan_determinismE0ELb0ELb0ES3_N6thrust23THRUST_200600_302600_NS6detail15normal_iteratorINS9_10device_ptrIsEEEESE_sNS9_4plusIvEEsEEDaPvRmT3_T4_T5_mT6_P12ihipStream_tbENKUlT_T0_E_clISt17integral_constantIbLb1EEST_IbLb0EEEEDaSP_SQ_EUlSP_E_NS1_11comp_targetILNS1_3genE10ELNS1_11target_archE1201ELNS1_3gpuE5ELNS1_3repE0EEENS1_30default_config_static_selectorELNS0_4arch9wavefront6targetE1EEEvT1_, .Lfunc_end929-_ZN7rocprim17ROCPRIM_400000_NS6detail17trampoline_kernelINS0_14default_configENS1_20scan_config_selectorIsEEZZNS1_9scan_implILNS1_25lookback_scan_determinismE0ELb0ELb0ES3_N6thrust23THRUST_200600_302600_NS6detail15normal_iteratorINS9_10device_ptrIsEEEESE_sNS9_4plusIvEEsEEDaPvRmT3_T4_T5_mT6_P12ihipStream_tbENKUlT_T0_E_clISt17integral_constantIbLb1EEST_IbLb0EEEEDaSP_SQ_EUlSP_E_NS1_11comp_targetILNS1_3genE10ELNS1_11target_archE1201ELNS1_3gpuE5ELNS1_3repE0EEENS1_30default_config_static_selectorELNS0_4arch9wavefront6targetE1EEEvT1_
                                        ; -- End function
	.section	.AMDGPU.csdata,"",@progbits
; Kernel info:
; codeLenInByte = 0
; NumSgprs: 4
; NumVgprs: 0
; NumAgprs: 0
; TotalNumVgprs: 0
; ScratchSize: 0
; MemoryBound: 0
; FloatMode: 240
; IeeeMode: 1
; LDSByteSize: 0 bytes/workgroup (compile time only)
; SGPRBlocks: 0
; VGPRBlocks: 0
; NumSGPRsForWavesPerEU: 4
; NumVGPRsForWavesPerEU: 1
; AccumOffset: 4
; Occupancy: 8
; WaveLimiterHint : 0
; COMPUTE_PGM_RSRC2:SCRATCH_EN: 0
; COMPUTE_PGM_RSRC2:USER_SGPR: 6
; COMPUTE_PGM_RSRC2:TRAP_HANDLER: 0
; COMPUTE_PGM_RSRC2:TGID_X_EN: 1
; COMPUTE_PGM_RSRC2:TGID_Y_EN: 0
; COMPUTE_PGM_RSRC2:TGID_Z_EN: 0
; COMPUTE_PGM_RSRC2:TIDIG_COMP_CNT: 0
; COMPUTE_PGM_RSRC3_GFX90A:ACCUM_OFFSET: 0
; COMPUTE_PGM_RSRC3_GFX90A:TG_SPLIT: 0
	.section	.text._ZN7rocprim17ROCPRIM_400000_NS6detail17trampoline_kernelINS0_14default_configENS1_20scan_config_selectorIsEEZZNS1_9scan_implILNS1_25lookback_scan_determinismE0ELb0ELb0ES3_N6thrust23THRUST_200600_302600_NS6detail15normal_iteratorINS9_10device_ptrIsEEEESE_sNS9_4plusIvEEsEEDaPvRmT3_T4_T5_mT6_P12ihipStream_tbENKUlT_T0_E_clISt17integral_constantIbLb1EEST_IbLb0EEEEDaSP_SQ_EUlSP_E_NS1_11comp_targetILNS1_3genE10ELNS1_11target_archE1200ELNS1_3gpuE4ELNS1_3repE0EEENS1_30default_config_static_selectorELNS0_4arch9wavefront6targetE1EEEvT1_,"axG",@progbits,_ZN7rocprim17ROCPRIM_400000_NS6detail17trampoline_kernelINS0_14default_configENS1_20scan_config_selectorIsEEZZNS1_9scan_implILNS1_25lookback_scan_determinismE0ELb0ELb0ES3_N6thrust23THRUST_200600_302600_NS6detail15normal_iteratorINS9_10device_ptrIsEEEESE_sNS9_4plusIvEEsEEDaPvRmT3_T4_T5_mT6_P12ihipStream_tbENKUlT_T0_E_clISt17integral_constantIbLb1EEST_IbLb0EEEEDaSP_SQ_EUlSP_E_NS1_11comp_targetILNS1_3genE10ELNS1_11target_archE1200ELNS1_3gpuE4ELNS1_3repE0EEENS1_30default_config_static_selectorELNS0_4arch9wavefront6targetE1EEEvT1_,comdat
	.protected	_ZN7rocprim17ROCPRIM_400000_NS6detail17trampoline_kernelINS0_14default_configENS1_20scan_config_selectorIsEEZZNS1_9scan_implILNS1_25lookback_scan_determinismE0ELb0ELb0ES3_N6thrust23THRUST_200600_302600_NS6detail15normal_iteratorINS9_10device_ptrIsEEEESE_sNS9_4plusIvEEsEEDaPvRmT3_T4_T5_mT6_P12ihipStream_tbENKUlT_T0_E_clISt17integral_constantIbLb1EEST_IbLb0EEEEDaSP_SQ_EUlSP_E_NS1_11comp_targetILNS1_3genE10ELNS1_11target_archE1200ELNS1_3gpuE4ELNS1_3repE0EEENS1_30default_config_static_selectorELNS0_4arch9wavefront6targetE1EEEvT1_ ; -- Begin function _ZN7rocprim17ROCPRIM_400000_NS6detail17trampoline_kernelINS0_14default_configENS1_20scan_config_selectorIsEEZZNS1_9scan_implILNS1_25lookback_scan_determinismE0ELb0ELb0ES3_N6thrust23THRUST_200600_302600_NS6detail15normal_iteratorINS9_10device_ptrIsEEEESE_sNS9_4plusIvEEsEEDaPvRmT3_T4_T5_mT6_P12ihipStream_tbENKUlT_T0_E_clISt17integral_constantIbLb1EEST_IbLb0EEEEDaSP_SQ_EUlSP_E_NS1_11comp_targetILNS1_3genE10ELNS1_11target_archE1200ELNS1_3gpuE4ELNS1_3repE0EEENS1_30default_config_static_selectorELNS0_4arch9wavefront6targetE1EEEvT1_
	.globl	_ZN7rocprim17ROCPRIM_400000_NS6detail17trampoline_kernelINS0_14default_configENS1_20scan_config_selectorIsEEZZNS1_9scan_implILNS1_25lookback_scan_determinismE0ELb0ELb0ES3_N6thrust23THRUST_200600_302600_NS6detail15normal_iteratorINS9_10device_ptrIsEEEESE_sNS9_4plusIvEEsEEDaPvRmT3_T4_T5_mT6_P12ihipStream_tbENKUlT_T0_E_clISt17integral_constantIbLb1EEST_IbLb0EEEEDaSP_SQ_EUlSP_E_NS1_11comp_targetILNS1_3genE10ELNS1_11target_archE1200ELNS1_3gpuE4ELNS1_3repE0EEENS1_30default_config_static_selectorELNS0_4arch9wavefront6targetE1EEEvT1_
	.p2align	8
	.type	_ZN7rocprim17ROCPRIM_400000_NS6detail17trampoline_kernelINS0_14default_configENS1_20scan_config_selectorIsEEZZNS1_9scan_implILNS1_25lookback_scan_determinismE0ELb0ELb0ES3_N6thrust23THRUST_200600_302600_NS6detail15normal_iteratorINS9_10device_ptrIsEEEESE_sNS9_4plusIvEEsEEDaPvRmT3_T4_T5_mT6_P12ihipStream_tbENKUlT_T0_E_clISt17integral_constantIbLb1EEST_IbLb0EEEEDaSP_SQ_EUlSP_E_NS1_11comp_targetILNS1_3genE10ELNS1_11target_archE1200ELNS1_3gpuE4ELNS1_3repE0EEENS1_30default_config_static_selectorELNS0_4arch9wavefront6targetE1EEEvT1_,@function
_ZN7rocprim17ROCPRIM_400000_NS6detail17trampoline_kernelINS0_14default_configENS1_20scan_config_selectorIsEEZZNS1_9scan_implILNS1_25lookback_scan_determinismE0ELb0ELb0ES3_N6thrust23THRUST_200600_302600_NS6detail15normal_iteratorINS9_10device_ptrIsEEEESE_sNS9_4plusIvEEsEEDaPvRmT3_T4_T5_mT6_P12ihipStream_tbENKUlT_T0_E_clISt17integral_constantIbLb1EEST_IbLb0EEEEDaSP_SQ_EUlSP_E_NS1_11comp_targetILNS1_3genE10ELNS1_11target_archE1200ELNS1_3gpuE4ELNS1_3repE0EEENS1_30default_config_static_selectorELNS0_4arch9wavefront6targetE1EEEvT1_: ; @_ZN7rocprim17ROCPRIM_400000_NS6detail17trampoline_kernelINS0_14default_configENS1_20scan_config_selectorIsEEZZNS1_9scan_implILNS1_25lookback_scan_determinismE0ELb0ELb0ES3_N6thrust23THRUST_200600_302600_NS6detail15normal_iteratorINS9_10device_ptrIsEEEESE_sNS9_4plusIvEEsEEDaPvRmT3_T4_T5_mT6_P12ihipStream_tbENKUlT_T0_E_clISt17integral_constantIbLb1EEST_IbLb0EEEEDaSP_SQ_EUlSP_E_NS1_11comp_targetILNS1_3genE10ELNS1_11target_archE1200ELNS1_3gpuE4ELNS1_3repE0EEENS1_30default_config_static_selectorELNS0_4arch9wavefront6targetE1EEEvT1_
; %bb.0:
	.section	.rodata,"a",@progbits
	.p2align	6, 0x0
	.amdhsa_kernel _ZN7rocprim17ROCPRIM_400000_NS6detail17trampoline_kernelINS0_14default_configENS1_20scan_config_selectorIsEEZZNS1_9scan_implILNS1_25lookback_scan_determinismE0ELb0ELb0ES3_N6thrust23THRUST_200600_302600_NS6detail15normal_iteratorINS9_10device_ptrIsEEEESE_sNS9_4plusIvEEsEEDaPvRmT3_T4_T5_mT6_P12ihipStream_tbENKUlT_T0_E_clISt17integral_constantIbLb1EEST_IbLb0EEEEDaSP_SQ_EUlSP_E_NS1_11comp_targetILNS1_3genE10ELNS1_11target_archE1200ELNS1_3gpuE4ELNS1_3repE0EEENS1_30default_config_static_selectorELNS0_4arch9wavefront6targetE1EEEvT1_
		.amdhsa_group_segment_fixed_size 0
		.amdhsa_private_segment_fixed_size 0
		.amdhsa_kernarg_size 96
		.amdhsa_user_sgpr_count 6
		.amdhsa_user_sgpr_private_segment_buffer 1
		.amdhsa_user_sgpr_dispatch_ptr 0
		.amdhsa_user_sgpr_queue_ptr 0
		.amdhsa_user_sgpr_kernarg_segment_ptr 1
		.amdhsa_user_sgpr_dispatch_id 0
		.amdhsa_user_sgpr_flat_scratch_init 0
		.amdhsa_user_sgpr_kernarg_preload_length 0
		.amdhsa_user_sgpr_kernarg_preload_offset 0
		.amdhsa_user_sgpr_private_segment_size 0
		.amdhsa_uses_dynamic_stack 0
		.amdhsa_system_sgpr_private_segment_wavefront_offset 0
		.amdhsa_system_sgpr_workgroup_id_x 1
		.amdhsa_system_sgpr_workgroup_id_y 0
		.amdhsa_system_sgpr_workgroup_id_z 0
		.amdhsa_system_sgpr_workgroup_info 0
		.amdhsa_system_vgpr_workitem_id 0
		.amdhsa_next_free_vgpr 1
		.amdhsa_next_free_sgpr 0
		.amdhsa_accum_offset 4
		.amdhsa_reserve_vcc 0
		.amdhsa_reserve_flat_scratch 0
		.amdhsa_float_round_mode_32 0
		.amdhsa_float_round_mode_16_64 0
		.amdhsa_float_denorm_mode_32 3
		.amdhsa_float_denorm_mode_16_64 3
		.amdhsa_dx10_clamp 1
		.amdhsa_ieee_mode 1
		.amdhsa_fp16_overflow 0
		.amdhsa_tg_split 0
		.amdhsa_exception_fp_ieee_invalid_op 0
		.amdhsa_exception_fp_denorm_src 0
		.amdhsa_exception_fp_ieee_div_zero 0
		.amdhsa_exception_fp_ieee_overflow 0
		.amdhsa_exception_fp_ieee_underflow 0
		.amdhsa_exception_fp_ieee_inexact 0
		.amdhsa_exception_int_div_zero 0
	.end_amdhsa_kernel
	.section	.text._ZN7rocprim17ROCPRIM_400000_NS6detail17trampoline_kernelINS0_14default_configENS1_20scan_config_selectorIsEEZZNS1_9scan_implILNS1_25lookback_scan_determinismE0ELb0ELb0ES3_N6thrust23THRUST_200600_302600_NS6detail15normal_iteratorINS9_10device_ptrIsEEEESE_sNS9_4plusIvEEsEEDaPvRmT3_T4_T5_mT6_P12ihipStream_tbENKUlT_T0_E_clISt17integral_constantIbLb1EEST_IbLb0EEEEDaSP_SQ_EUlSP_E_NS1_11comp_targetILNS1_3genE10ELNS1_11target_archE1200ELNS1_3gpuE4ELNS1_3repE0EEENS1_30default_config_static_selectorELNS0_4arch9wavefront6targetE1EEEvT1_,"axG",@progbits,_ZN7rocprim17ROCPRIM_400000_NS6detail17trampoline_kernelINS0_14default_configENS1_20scan_config_selectorIsEEZZNS1_9scan_implILNS1_25lookback_scan_determinismE0ELb0ELb0ES3_N6thrust23THRUST_200600_302600_NS6detail15normal_iteratorINS9_10device_ptrIsEEEESE_sNS9_4plusIvEEsEEDaPvRmT3_T4_T5_mT6_P12ihipStream_tbENKUlT_T0_E_clISt17integral_constantIbLb1EEST_IbLb0EEEEDaSP_SQ_EUlSP_E_NS1_11comp_targetILNS1_3genE10ELNS1_11target_archE1200ELNS1_3gpuE4ELNS1_3repE0EEENS1_30default_config_static_selectorELNS0_4arch9wavefront6targetE1EEEvT1_,comdat
.Lfunc_end930:
	.size	_ZN7rocprim17ROCPRIM_400000_NS6detail17trampoline_kernelINS0_14default_configENS1_20scan_config_selectorIsEEZZNS1_9scan_implILNS1_25lookback_scan_determinismE0ELb0ELb0ES3_N6thrust23THRUST_200600_302600_NS6detail15normal_iteratorINS9_10device_ptrIsEEEESE_sNS9_4plusIvEEsEEDaPvRmT3_T4_T5_mT6_P12ihipStream_tbENKUlT_T0_E_clISt17integral_constantIbLb1EEST_IbLb0EEEEDaSP_SQ_EUlSP_E_NS1_11comp_targetILNS1_3genE10ELNS1_11target_archE1200ELNS1_3gpuE4ELNS1_3repE0EEENS1_30default_config_static_selectorELNS0_4arch9wavefront6targetE1EEEvT1_, .Lfunc_end930-_ZN7rocprim17ROCPRIM_400000_NS6detail17trampoline_kernelINS0_14default_configENS1_20scan_config_selectorIsEEZZNS1_9scan_implILNS1_25lookback_scan_determinismE0ELb0ELb0ES3_N6thrust23THRUST_200600_302600_NS6detail15normal_iteratorINS9_10device_ptrIsEEEESE_sNS9_4plusIvEEsEEDaPvRmT3_T4_T5_mT6_P12ihipStream_tbENKUlT_T0_E_clISt17integral_constantIbLb1EEST_IbLb0EEEEDaSP_SQ_EUlSP_E_NS1_11comp_targetILNS1_3genE10ELNS1_11target_archE1200ELNS1_3gpuE4ELNS1_3repE0EEENS1_30default_config_static_selectorELNS0_4arch9wavefront6targetE1EEEvT1_
                                        ; -- End function
	.section	.AMDGPU.csdata,"",@progbits
; Kernel info:
; codeLenInByte = 0
; NumSgprs: 4
; NumVgprs: 0
; NumAgprs: 0
; TotalNumVgprs: 0
; ScratchSize: 0
; MemoryBound: 0
; FloatMode: 240
; IeeeMode: 1
; LDSByteSize: 0 bytes/workgroup (compile time only)
; SGPRBlocks: 0
; VGPRBlocks: 0
; NumSGPRsForWavesPerEU: 4
; NumVGPRsForWavesPerEU: 1
; AccumOffset: 4
; Occupancy: 8
; WaveLimiterHint : 0
; COMPUTE_PGM_RSRC2:SCRATCH_EN: 0
; COMPUTE_PGM_RSRC2:USER_SGPR: 6
; COMPUTE_PGM_RSRC2:TRAP_HANDLER: 0
; COMPUTE_PGM_RSRC2:TGID_X_EN: 1
; COMPUTE_PGM_RSRC2:TGID_Y_EN: 0
; COMPUTE_PGM_RSRC2:TGID_Z_EN: 0
; COMPUTE_PGM_RSRC2:TIDIG_COMP_CNT: 0
; COMPUTE_PGM_RSRC3_GFX90A:ACCUM_OFFSET: 0
; COMPUTE_PGM_RSRC3_GFX90A:TG_SPLIT: 0
	.section	.text._ZN7rocprim17ROCPRIM_400000_NS6detail17trampoline_kernelINS0_14default_configENS1_20scan_config_selectorIsEEZZNS1_9scan_implILNS1_25lookback_scan_determinismE0ELb0ELb0ES3_N6thrust23THRUST_200600_302600_NS6detail15normal_iteratorINS9_10device_ptrIsEEEESE_sNS9_4plusIvEEsEEDaPvRmT3_T4_T5_mT6_P12ihipStream_tbENKUlT_T0_E_clISt17integral_constantIbLb1EEST_IbLb0EEEEDaSP_SQ_EUlSP_E_NS1_11comp_targetILNS1_3genE9ELNS1_11target_archE1100ELNS1_3gpuE3ELNS1_3repE0EEENS1_30default_config_static_selectorELNS0_4arch9wavefront6targetE1EEEvT1_,"axG",@progbits,_ZN7rocprim17ROCPRIM_400000_NS6detail17trampoline_kernelINS0_14default_configENS1_20scan_config_selectorIsEEZZNS1_9scan_implILNS1_25lookback_scan_determinismE0ELb0ELb0ES3_N6thrust23THRUST_200600_302600_NS6detail15normal_iteratorINS9_10device_ptrIsEEEESE_sNS9_4plusIvEEsEEDaPvRmT3_T4_T5_mT6_P12ihipStream_tbENKUlT_T0_E_clISt17integral_constantIbLb1EEST_IbLb0EEEEDaSP_SQ_EUlSP_E_NS1_11comp_targetILNS1_3genE9ELNS1_11target_archE1100ELNS1_3gpuE3ELNS1_3repE0EEENS1_30default_config_static_selectorELNS0_4arch9wavefront6targetE1EEEvT1_,comdat
	.protected	_ZN7rocprim17ROCPRIM_400000_NS6detail17trampoline_kernelINS0_14default_configENS1_20scan_config_selectorIsEEZZNS1_9scan_implILNS1_25lookback_scan_determinismE0ELb0ELb0ES3_N6thrust23THRUST_200600_302600_NS6detail15normal_iteratorINS9_10device_ptrIsEEEESE_sNS9_4plusIvEEsEEDaPvRmT3_T4_T5_mT6_P12ihipStream_tbENKUlT_T0_E_clISt17integral_constantIbLb1EEST_IbLb0EEEEDaSP_SQ_EUlSP_E_NS1_11comp_targetILNS1_3genE9ELNS1_11target_archE1100ELNS1_3gpuE3ELNS1_3repE0EEENS1_30default_config_static_selectorELNS0_4arch9wavefront6targetE1EEEvT1_ ; -- Begin function _ZN7rocprim17ROCPRIM_400000_NS6detail17trampoline_kernelINS0_14default_configENS1_20scan_config_selectorIsEEZZNS1_9scan_implILNS1_25lookback_scan_determinismE0ELb0ELb0ES3_N6thrust23THRUST_200600_302600_NS6detail15normal_iteratorINS9_10device_ptrIsEEEESE_sNS9_4plusIvEEsEEDaPvRmT3_T4_T5_mT6_P12ihipStream_tbENKUlT_T0_E_clISt17integral_constantIbLb1EEST_IbLb0EEEEDaSP_SQ_EUlSP_E_NS1_11comp_targetILNS1_3genE9ELNS1_11target_archE1100ELNS1_3gpuE3ELNS1_3repE0EEENS1_30default_config_static_selectorELNS0_4arch9wavefront6targetE1EEEvT1_
	.globl	_ZN7rocprim17ROCPRIM_400000_NS6detail17trampoline_kernelINS0_14default_configENS1_20scan_config_selectorIsEEZZNS1_9scan_implILNS1_25lookback_scan_determinismE0ELb0ELb0ES3_N6thrust23THRUST_200600_302600_NS6detail15normal_iteratorINS9_10device_ptrIsEEEESE_sNS9_4plusIvEEsEEDaPvRmT3_T4_T5_mT6_P12ihipStream_tbENKUlT_T0_E_clISt17integral_constantIbLb1EEST_IbLb0EEEEDaSP_SQ_EUlSP_E_NS1_11comp_targetILNS1_3genE9ELNS1_11target_archE1100ELNS1_3gpuE3ELNS1_3repE0EEENS1_30default_config_static_selectorELNS0_4arch9wavefront6targetE1EEEvT1_
	.p2align	8
	.type	_ZN7rocprim17ROCPRIM_400000_NS6detail17trampoline_kernelINS0_14default_configENS1_20scan_config_selectorIsEEZZNS1_9scan_implILNS1_25lookback_scan_determinismE0ELb0ELb0ES3_N6thrust23THRUST_200600_302600_NS6detail15normal_iteratorINS9_10device_ptrIsEEEESE_sNS9_4plusIvEEsEEDaPvRmT3_T4_T5_mT6_P12ihipStream_tbENKUlT_T0_E_clISt17integral_constantIbLb1EEST_IbLb0EEEEDaSP_SQ_EUlSP_E_NS1_11comp_targetILNS1_3genE9ELNS1_11target_archE1100ELNS1_3gpuE3ELNS1_3repE0EEENS1_30default_config_static_selectorELNS0_4arch9wavefront6targetE1EEEvT1_,@function
_ZN7rocprim17ROCPRIM_400000_NS6detail17trampoline_kernelINS0_14default_configENS1_20scan_config_selectorIsEEZZNS1_9scan_implILNS1_25lookback_scan_determinismE0ELb0ELb0ES3_N6thrust23THRUST_200600_302600_NS6detail15normal_iteratorINS9_10device_ptrIsEEEESE_sNS9_4plusIvEEsEEDaPvRmT3_T4_T5_mT6_P12ihipStream_tbENKUlT_T0_E_clISt17integral_constantIbLb1EEST_IbLb0EEEEDaSP_SQ_EUlSP_E_NS1_11comp_targetILNS1_3genE9ELNS1_11target_archE1100ELNS1_3gpuE3ELNS1_3repE0EEENS1_30default_config_static_selectorELNS0_4arch9wavefront6targetE1EEEvT1_: ; @_ZN7rocprim17ROCPRIM_400000_NS6detail17trampoline_kernelINS0_14default_configENS1_20scan_config_selectorIsEEZZNS1_9scan_implILNS1_25lookback_scan_determinismE0ELb0ELb0ES3_N6thrust23THRUST_200600_302600_NS6detail15normal_iteratorINS9_10device_ptrIsEEEESE_sNS9_4plusIvEEsEEDaPvRmT3_T4_T5_mT6_P12ihipStream_tbENKUlT_T0_E_clISt17integral_constantIbLb1EEST_IbLb0EEEEDaSP_SQ_EUlSP_E_NS1_11comp_targetILNS1_3genE9ELNS1_11target_archE1100ELNS1_3gpuE3ELNS1_3repE0EEENS1_30default_config_static_selectorELNS0_4arch9wavefront6targetE1EEEvT1_
; %bb.0:
	.section	.rodata,"a",@progbits
	.p2align	6, 0x0
	.amdhsa_kernel _ZN7rocprim17ROCPRIM_400000_NS6detail17trampoline_kernelINS0_14default_configENS1_20scan_config_selectorIsEEZZNS1_9scan_implILNS1_25lookback_scan_determinismE0ELb0ELb0ES3_N6thrust23THRUST_200600_302600_NS6detail15normal_iteratorINS9_10device_ptrIsEEEESE_sNS9_4plusIvEEsEEDaPvRmT3_T4_T5_mT6_P12ihipStream_tbENKUlT_T0_E_clISt17integral_constantIbLb1EEST_IbLb0EEEEDaSP_SQ_EUlSP_E_NS1_11comp_targetILNS1_3genE9ELNS1_11target_archE1100ELNS1_3gpuE3ELNS1_3repE0EEENS1_30default_config_static_selectorELNS0_4arch9wavefront6targetE1EEEvT1_
		.amdhsa_group_segment_fixed_size 0
		.amdhsa_private_segment_fixed_size 0
		.amdhsa_kernarg_size 96
		.amdhsa_user_sgpr_count 6
		.amdhsa_user_sgpr_private_segment_buffer 1
		.amdhsa_user_sgpr_dispatch_ptr 0
		.amdhsa_user_sgpr_queue_ptr 0
		.amdhsa_user_sgpr_kernarg_segment_ptr 1
		.amdhsa_user_sgpr_dispatch_id 0
		.amdhsa_user_sgpr_flat_scratch_init 0
		.amdhsa_user_sgpr_kernarg_preload_length 0
		.amdhsa_user_sgpr_kernarg_preload_offset 0
		.amdhsa_user_sgpr_private_segment_size 0
		.amdhsa_uses_dynamic_stack 0
		.amdhsa_system_sgpr_private_segment_wavefront_offset 0
		.amdhsa_system_sgpr_workgroup_id_x 1
		.amdhsa_system_sgpr_workgroup_id_y 0
		.amdhsa_system_sgpr_workgroup_id_z 0
		.amdhsa_system_sgpr_workgroup_info 0
		.amdhsa_system_vgpr_workitem_id 0
		.amdhsa_next_free_vgpr 1
		.amdhsa_next_free_sgpr 0
		.amdhsa_accum_offset 4
		.amdhsa_reserve_vcc 0
		.amdhsa_reserve_flat_scratch 0
		.amdhsa_float_round_mode_32 0
		.amdhsa_float_round_mode_16_64 0
		.amdhsa_float_denorm_mode_32 3
		.amdhsa_float_denorm_mode_16_64 3
		.amdhsa_dx10_clamp 1
		.amdhsa_ieee_mode 1
		.amdhsa_fp16_overflow 0
		.amdhsa_tg_split 0
		.amdhsa_exception_fp_ieee_invalid_op 0
		.amdhsa_exception_fp_denorm_src 0
		.amdhsa_exception_fp_ieee_div_zero 0
		.amdhsa_exception_fp_ieee_overflow 0
		.amdhsa_exception_fp_ieee_underflow 0
		.amdhsa_exception_fp_ieee_inexact 0
		.amdhsa_exception_int_div_zero 0
	.end_amdhsa_kernel
	.section	.text._ZN7rocprim17ROCPRIM_400000_NS6detail17trampoline_kernelINS0_14default_configENS1_20scan_config_selectorIsEEZZNS1_9scan_implILNS1_25lookback_scan_determinismE0ELb0ELb0ES3_N6thrust23THRUST_200600_302600_NS6detail15normal_iteratorINS9_10device_ptrIsEEEESE_sNS9_4plusIvEEsEEDaPvRmT3_T4_T5_mT6_P12ihipStream_tbENKUlT_T0_E_clISt17integral_constantIbLb1EEST_IbLb0EEEEDaSP_SQ_EUlSP_E_NS1_11comp_targetILNS1_3genE9ELNS1_11target_archE1100ELNS1_3gpuE3ELNS1_3repE0EEENS1_30default_config_static_selectorELNS0_4arch9wavefront6targetE1EEEvT1_,"axG",@progbits,_ZN7rocprim17ROCPRIM_400000_NS6detail17trampoline_kernelINS0_14default_configENS1_20scan_config_selectorIsEEZZNS1_9scan_implILNS1_25lookback_scan_determinismE0ELb0ELb0ES3_N6thrust23THRUST_200600_302600_NS6detail15normal_iteratorINS9_10device_ptrIsEEEESE_sNS9_4plusIvEEsEEDaPvRmT3_T4_T5_mT6_P12ihipStream_tbENKUlT_T0_E_clISt17integral_constantIbLb1EEST_IbLb0EEEEDaSP_SQ_EUlSP_E_NS1_11comp_targetILNS1_3genE9ELNS1_11target_archE1100ELNS1_3gpuE3ELNS1_3repE0EEENS1_30default_config_static_selectorELNS0_4arch9wavefront6targetE1EEEvT1_,comdat
.Lfunc_end931:
	.size	_ZN7rocprim17ROCPRIM_400000_NS6detail17trampoline_kernelINS0_14default_configENS1_20scan_config_selectorIsEEZZNS1_9scan_implILNS1_25lookback_scan_determinismE0ELb0ELb0ES3_N6thrust23THRUST_200600_302600_NS6detail15normal_iteratorINS9_10device_ptrIsEEEESE_sNS9_4plusIvEEsEEDaPvRmT3_T4_T5_mT6_P12ihipStream_tbENKUlT_T0_E_clISt17integral_constantIbLb1EEST_IbLb0EEEEDaSP_SQ_EUlSP_E_NS1_11comp_targetILNS1_3genE9ELNS1_11target_archE1100ELNS1_3gpuE3ELNS1_3repE0EEENS1_30default_config_static_selectorELNS0_4arch9wavefront6targetE1EEEvT1_, .Lfunc_end931-_ZN7rocprim17ROCPRIM_400000_NS6detail17trampoline_kernelINS0_14default_configENS1_20scan_config_selectorIsEEZZNS1_9scan_implILNS1_25lookback_scan_determinismE0ELb0ELb0ES3_N6thrust23THRUST_200600_302600_NS6detail15normal_iteratorINS9_10device_ptrIsEEEESE_sNS9_4plusIvEEsEEDaPvRmT3_T4_T5_mT6_P12ihipStream_tbENKUlT_T0_E_clISt17integral_constantIbLb1EEST_IbLb0EEEEDaSP_SQ_EUlSP_E_NS1_11comp_targetILNS1_3genE9ELNS1_11target_archE1100ELNS1_3gpuE3ELNS1_3repE0EEENS1_30default_config_static_selectorELNS0_4arch9wavefront6targetE1EEEvT1_
                                        ; -- End function
	.section	.AMDGPU.csdata,"",@progbits
; Kernel info:
; codeLenInByte = 0
; NumSgprs: 4
; NumVgprs: 0
; NumAgprs: 0
; TotalNumVgprs: 0
; ScratchSize: 0
; MemoryBound: 0
; FloatMode: 240
; IeeeMode: 1
; LDSByteSize: 0 bytes/workgroup (compile time only)
; SGPRBlocks: 0
; VGPRBlocks: 0
; NumSGPRsForWavesPerEU: 4
; NumVGPRsForWavesPerEU: 1
; AccumOffset: 4
; Occupancy: 8
; WaveLimiterHint : 0
; COMPUTE_PGM_RSRC2:SCRATCH_EN: 0
; COMPUTE_PGM_RSRC2:USER_SGPR: 6
; COMPUTE_PGM_RSRC2:TRAP_HANDLER: 0
; COMPUTE_PGM_RSRC2:TGID_X_EN: 1
; COMPUTE_PGM_RSRC2:TGID_Y_EN: 0
; COMPUTE_PGM_RSRC2:TGID_Z_EN: 0
; COMPUTE_PGM_RSRC2:TIDIG_COMP_CNT: 0
; COMPUTE_PGM_RSRC3_GFX90A:ACCUM_OFFSET: 0
; COMPUTE_PGM_RSRC3_GFX90A:TG_SPLIT: 0
	.section	.text._ZN7rocprim17ROCPRIM_400000_NS6detail17trampoline_kernelINS0_14default_configENS1_20scan_config_selectorIsEEZZNS1_9scan_implILNS1_25lookback_scan_determinismE0ELb0ELb0ES3_N6thrust23THRUST_200600_302600_NS6detail15normal_iteratorINS9_10device_ptrIsEEEESE_sNS9_4plusIvEEsEEDaPvRmT3_T4_T5_mT6_P12ihipStream_tbENKUlT_T0_E_clISt17integral_constantIbLb1EEST_IbLb0EEEEDaSP_SQ_EUlSP_E_NS1_11comp_targetILNS1_3genE8ELNS1_11target_archE1030ELNS1_3gpuE2ELNS1_3repE0EEENS1_30default_config_static_selectorELNS0_4arch9wavefront6targetE1EEEvT1_,"axG",@progbits,_ZN7rocprim17ROCPRIM_400000_NS6detail17trampoline_kernelINS0_14default_configENS1_20scan_config_selectorIsEEZZNS1_9scan_implILNS1_25lookback_scan_determinismE0ELb0ELb0ES3_N6thrust23THRUST_200600_302600_NS6detail15normal_iteratorINS9_10device_ptrIsEEEESE_sNS9_4plusIvEEsEEDaPvRmT3_T4_T5_mT6_P12ihipStream_tbENKUlT_T0_E_clISt17integral_constantIbLb1EEST_IbLb0EEEEDaSP_SQ_EUlSP_E_NS1_11comp_targetILNS1_3genE8ELNS1_11target_archE1030ELNS1_3gpuE2ELNS1_3repE0EEENS1_30default_config_static_selectorELNS0_4arch9wavefront6targetE1EEEvT1_,comdat
	.protected	_ZN7rocprim17ROCPRIM_400000_NS6detail17trampoline_kernelINS0_14default_configENS1_20scan_config_selectorIsEEZZNS1_9scan_implILNS1_25lookback_scan_determinismE0ELb0ELb0ES3_N6thrust23THRUST_200600_302600_NS6detail15normal_iteratorINS9_10device_ptrIsEEEESE_sNS9_4plusIvEEsEEDaPvRmT3_T4_T5_mT6_P12ihipStream_tbENKUlT_T0_E_clISt17integral_constantIbLb1EEST_IbLb0EEEEDaSP_SQ_EUlSP_E_NS1_11comp_targetILNS1_3genE8ELNS1_11target_archE1030ELNS1_3gpuE2ELNS1_3repE0EEENS1_30default_config_static_selectorELNS0_4arch9wavefront6targetE1EEEvT1_ ; -- Begin function _ZN7rocprim17ROCPRIM_400000_NS6detail17trampoline_kernelINS0_14default_configENS1_20scan_config_selectorIsEEZZNS1_9scan_implILNS1_25lookback_scan_determinismE0ELb0ELb0ES3_N6thrust23THRUST_200600_302600_NS6detail15normal_iteratorINS9_10device_ptrIsEEEESE_sNS9_4plusIvEEsEEDaPvRmT3_T4_T5_mT6_P12ihipStream_tbENKUlT_T0_E_clISt17integral_constantIbLb1EEST_IbLb0EEEEDaSP_SQ_EUlSP_E_NS1_11comp_targetILNS1_3genE8ELNS1_11target_archE1030ELNS1_3gpuE2ELNS1_3repE0EEENS1_30default_config_static_selectorELNS0_4arch9wavefront6targetE1EEEvT1_
	.globl	_ZN7rocprim17ROCPRIM_400000_NS6detail17trampoline_kernelINS0_14default_configENS1_20scan_config_selectorIsEEZZNS1_9scan_implILNS1_25lookback_scan_determinismE0ELb0ELb0ES3_N6thrust23THRUST_200600_302600_NS6detail15normal_iteratorINS9_10device_ptrIsEEEESE_sNS9_4plusIvEEsEEDaPvRmT3_T4_T5_mT6_P12ihipStream_tbENKUlT_T0_E_clISt17integral_constantIbLb1EEST_IbLb0EEEEDaSP_SQ_EUlSP_E_NS1_11comp_targetILNS1_3genE8ELNS1_11target_archE1030ELNS1_3gpuE2ELNS1_3repE0EEENS1_30default_config_static_selectorELNS0_4arch9wavefront6targetE1EEEvT1_
	.p2align	8
	.type	_ZN7rocprim17ROCPRIM_400000_NS6detail17trampoline_kernelINS0_14default_configENS1_20scan_config_selectorIsEEZZNS1_9scan_implILNS1_25lookback_scan_determinismE0ELb0ELb0ES3_N6thrust23THRUST_200600_302600_NS6detail15normal_iteratorINS9_10device_ptrIsEEEESE_sNS9_4plusIvEEsEEDaPvRmT3_T4_T5_mT6_P12ihipStream_tbENKUlT_T0_E_clISt17integral_constantIbLb1EEST_IbLb0EEEEDaSP_SQ_EUlSP_E_NS1_11comp_targetILNS1_3genE8ELNS1_11target_archE1030ELNS1_3gpuE2ELNS1_3repE0EEENS1_30default_config_static_selectorELNS0_4arch9wavefront6targetE1EEEvT1_,@function
_ZN7rocprim17ROCPRIM_400000_NS6detail17trampoline_kernelINS0_14default_configENS1_20scan_config_selectorIsEEZZNS1_9scan_implILNS1_25lookback_scan_determinismE0ELb0ELb0ES3_N6thrust23THRUST_200600_302600_NS6detail15normal_iteratorINS9_10device_ptrIsEEEESE_sNS9_4plusIvEEsEEDaPvRmT3_T4_T5_mT6_P12ihipStream_tbENKUlT_T0_E_clISt17integral_constantIbLb1EEST_IbLb0EEEEDaSP_SQ_EUlSP_E_NS1_11comp_targetILNS1_3genE8ELNS1_11target_archE1030ELNS1_3gpuE2ELNS1_3repE0EEENS1_30default_config_static_selectorELNS0_4arch9wavefront6targetE1EEEvT1_: ; @_ZN7rocprim17ROCPRIM_400000_NS6detail17trampoline_kernelINS0_14default_configENS1_20scan_config_selectorIsEEZZNS1_9scan_implILNS1_25lookback_scan_determinismE0ELb0ELb0ES3_N6thrust23THRUST_200600_302600_NS6detail15normal_iteratorINS9_10device_ptrIsEEEESE_sNS9_4plusIvEEsEEDaPvRmT3_T4_T5_mT6_P12ihipStream_tbENKUlT_T0_E_clISt17integral_constantIbLb1EEST_IbLb0EEEEDaSP_SQ_EUlSP_E_NS1_11comp_targetILNS1_3genE8ELNS1_11target_archE1030ELNS1_3gpuE2ELNS1_3repE0EEENS1_30default_config_static_selectorELNS0_4arch9wavefront6targetE1EEEvT1_
; %bb.0:
	.section	.rodata,"a",@progbits
	.p2align	6, 0x0
	.amdhsa_kernel _ZN7rocprim17ROCPRIM_400000_NS6detail17trampoline_kernelINS0_14default_configENS1_20scan_config_selectorIsEEZZNS1_9scan_implILNS1_25lookback_scan_determinismE0ELb0ELb0ES3_N6thrust23THRUST_200600_302600_NS6detail15normal_iteratorINS9_10device_ptrIsEEEESE_sNS9_4plusIvEEsEEDaPvRmT3_T4_T5_mT6_P12ihipStream_tbENKUlT_T0_E_clISt17integral_constantIbLb1EEST_IbLb0EEEEDaSP_SQ_EUlSP_E_NS1_11comp_targetILNS1_3genE8ELNS1_11target_archE1030ELNS1_3gpuE2ELNS1_3repE0EEENS1_30default_config_static_selectorELNS0_4arch9wavefront6targetE1EEEvT1_
		.amdhsa_group_segment_fixed_size 0
		.amdhsa_private_segment_fixed_size 0
		.amdhsa_kernarg_size 96
		.amdhsa_user_sgpr_count 6
		.amdhsa_user_sgpr_private_segment_buffer 1
		.amdhsa_user_sgpr_dispatch_ptr 0
		.amdhsa_user_sgpr_queue_ptr 0
		.amdhsa_user_sgpr_kernarg_segment_ptr 1
		.amdhsa_user_sgpr_dispatch_id 0
		.amdhsa_user_sgpr_flat_scratch_init 0
		.amdhsa_user_sgpr_kernarg_preload_length 0
		.amdhsa_user_sgpr_kernarg_preload_offset 0
		.amdhsa_user_sgpr_private_segment_size 0
		.amdhsa_uses_dynamic_stack 0
		.amdhsa_system_sgpr_private_segment_wavefront_offset 0
		.amdhsa_system_sgpr_workgroup_id_x 1
		.amdhsa_system_sgpr_workgroup_id_y 0
		.amdhsa_system_sgpr_workgroup_id_z 0
		.amdhsa_system_sgpr_workgroup_info 0
		.amdhsa_system_vgpr_workitem_id 0
		.amdhsa_next_free_vgpr 1
		.amdhsa_next_free_sgpr 0
		.amdhsa_accum_offset 4
		.amdhsa_reserve_vcc 0
		.amdhsa_reserve_flat_scratch 0
		.amdhsa_float_round_mode_32 0
		.amdhsa_float_round_mode_16_64 0
		.amdhsa_float_denorm_mode_32 3
		.amdhsa_float_denorm_mode_16_64 3
		.amdhsa_dx10_clamp 1
		.amdhsa_ieee_mode 1
		.amdhsa_fp16_overflow 0
		.amdhsa_tg_split 0
		.amdhsa_exception_fp_ieee_invalid_op 0
		.amdhsa_exception_fp_denorm_src 0
		.amdhsa_exception_fp_ieee_div_zero 0
		.amdhsa_exception_fp_ieee_overflow 0
		.amdhsa_exception_fp_ieee_underflow 0
		.amdhsa_exception_fp_ieee_inexact 0
		.amdhsa_exception_int_div_zero 0
	.end_amdhsa_kernel
	.section	.text._ZN7rocprim17ROCPRIM_400000_NS6detail17trampoline_kernelINS0_14default_configENS1_20scan_config_selectorIsEEZZNS1_9scan_implILNS1_25lookback_scan_determinismE0ELb0ELb0ES3_N6thrust23THRUST_200600_302600_NS6detail15normal_iteratorINS9_10device_ptrIsEEEESE_sNS9_4plusIvEEsEEDaPvRmT3_T4_T5_mT6_P12ihipStream_tbENKUlT_T0_E_clISt17integral_constantIbLb1EEST_IbLb0EEEEDaSP_SQ_EUlSP_E_NS1_11comp_targetILNS1_3genE8ELNS1_11target_archE1030ELNS1_3gpuE2ELNS1_3repE0EEENS1_30default_config_static_selectorELNS0_4arch9wavefront6targetE1EEEvT1_,"axG",@progbits,_ZN7rocprim17ROCPRIM_400000_NS6detail17trampoline_kernelINS0_14default_configENS1_20scan_config_selectorIsEEZZNS1_9scan_implILNS1_25lookback_scan_determinismE0ELb0ELb0ES3_N6thrust23THRUST_200600_302600_NS6detail15normal_iteratorINS9_10device_ptrIsEEEESE_sNS9_4plusIvEEsEEDaPvRmT3_T4_T5_mT6_P12ihipStream_tbENKUlT_T0_E_clISt17integral_constantIbLb1EEST_IbLb0EEEEDaSP_SQ_EUlSP_E_NS1_11comp_targetILNS1_3genE8ELNS1_11target_archE1030ELNS1_3gpuE2ELNS1_3repE0EEENS1_30default_config_static_selectorELNS0_4arch9wavefront6targetE1EEEvT1_,comdat
.Lfunc_end932:
	.size	_ZN7rocprim17ROCPRIM_400000_NS6detail17trampoline_kernelINS0_14default_configENS1_20scan_config_selectorIsEEZZNS1_9scan_implILNS1_25lookback_scan_determinismE0ELb0ELb0ES3_N6thrust23THRUST_200600_302600_NS6detail15normal_iteratorINS9_10device_ptrIsEEEESE_sNS9_4plusIvEEsEEDaPvRmT3_T4_T5_mT6_P12ihipStream_tbENKUlT_T0_E_clISt17integral_constantIbLb1EEST_IbLb0EEEEDaSP_SQ_EUlSP_E_NS1_11comp_targetILNS1_3genE8ELNS1_11target_archE1030ELNS1_3gpuE2ELNS1_3repE0EEENS1_30default_config_static_selectorELNS0_4arch9wavefront6targetE1EEEvT1_, .Lfunc_end932-_ZN7rocprim17ROCPRIM_400000_NS6detail17trampoline_kernelINS0_14default_configENS1_20scan_config_selectorIsEEZZNS1_9scan_implILNS1_25lookback_scan_determinismE0ELb0ELb0ES3_N6thrust23THRUST_200600_302600_NS6detail15normal_iteratorINS9_10device_ptrIsEEEESE_sNS9_4plusIvEEsEEDaPvRmT3_T4_T5_mT6_P12ihipStream_tbENKUlT_T0_E_clISt17integral_constantIbLb1EEST_IbLb0EEEEDaSP_SQ_EUlSP_E_NS1_11comp_targetILNS1_3genE8ELNS1_11target_archE1030ELNS1_3gpuE2ELNS1_3repE0EEENS1_30default_config_static_selectorELNS0_4arch9wavefront6targetE1EEEvT1_
                                        ; -- End function
	.section	.AMDGPU.csdata,"",@progbits
; Kernel info:
; codeLenInByte = 0
; NumSgprs: 4
; NumVgprs: 0
; NumAgprs: 0
; TotalNumVgprs: 0
; ScratchSize: 0
; MemoryBound: 0
; FloatMode: 240
; IeeeMode: 1
; LDSByteSize: 0 bytes/workgroup (compile time only)
; SGPRBlocks: 0
; VGPRBlocks: 0
; NumSGPRsForWavesPerEU: 4
; NumVGPRsForWavesPerEU: 1
; AccumOffset: 4
; Occupancy: 8
; WaveLimiterHint : 0
; COMPUTE_PGM_RSRC2:SCRATCH_EN: 0
; COMPUTE_PGM_RSRC2:USER_SGPR: 6
; COMPUTE_PGM_RSRC2:TRAP_HANDLER: 0
; COMPUTE_PGM_RSRC2:TGID_X_EN: 1
; COMPUTE_PGM_RSRC2:TGID_Y_EN: 0
; COMPUTE_PGM_RSRC2:TGID_Z_EN: 0
; COMPUTE_PGM_RSRC2:TIDIG_COMP_CNT: 0
; COMPUTE_PGM_RSRC3_GFX90A:ACCUM_OFFSET: 0
; COMPUTE_PGM_RSRC3_GFX90A:TG_SPLIT: 0
	.section	.text._ZN7rocprim17ROCPRIM_400000_NS6detail17trampoline_kernelINS0_14default_configENS1_20scan_config_selectorIsEEZZNS1_9scan_implILNS1_25lookback_scan_determinismE0ELb0ELb0ES3_N6thrust23THRUST_200600_302600_NS6detail15normal_iteratorINS9_10device_ptrIsEEEESE_sNS9_4plusIvEEsEEDaPvRmT3_T4_T5_mT6_P12ihipStream_tbENKUlT_T0_E_clISt17integral_constantIbLb1EEST_IbLb0EEEEDaSP_SQ_EUlSP_E0_NS1_11comp_targetILNS1_3genE0ELNS1_11target_archE4294967295ELNS1_3gpuE0ELNS1_3repE0EEENS1_30default_config_static_selectorELNS0_4arch9wavefront6targetE1EEEvT1_,"axG",@progbits,_ZN7rocprim17ROCPRIM_400000_NS6detail17trampoline_kernelINS0_14default_configENS1_20scan_config_selectorIsEEZZNS1_9scan_implILNS1_25lookback_scan_determinismE0ELb0ELb0ES3_N6thrust23THRUST_200600_302600_NS6detail15normal_iteratorINS9_10device_ptrIsEEEESE_sNS9_4plusIvEEsEEDaPvRmT3_T4_T5_mT6_P12ihipStream_tbENKUlT_T0_E_clISt17integral_constantIbLb1EEST_IbLb0EEEEDaSP_SQ_EUlSP_E0_NS1_11comp_targetILNS1_3genE0ELNS1_11target_archE4294967295ELNS1_3gpuE0ELNS1_3repE0EEENS1_30default_config_static_selectorELNS0_4arch9wavefront6targetE1EEEvT1_,comdat
	.protected	_ZN7rocprim17ROCPRIM_400000_NS6detail17trampoline_kernelINS0_14default_configENS1_20scan_config_selectorIsEEZZNS1_9scan_implILNS1_25lookback_scan_determinismE0ELb0ELb0ES3_N6thrust23THRUST_200600_302600_NS6detail15normal_iteratorINS9_10device_ptrIsEEEESE_sNS9_4plusIvEEsEEDaPvRmT3_T4_T5_mT6_P12ihipStream_tbENKUlT_T0_E_clISt17integral_constantIbLb1EEST_IbLb0EEEEDaSP_SQ_EUlSP_E0_NS1_11comp_targetILNS1_3genE0ELNS1_11target_archE4294967295ELNS1_3gpuE0ELNS1_3repE0EEENS1_30default_config_static_selectorELNS0_4arch9wavefront6targetE1EEEvT1_ ; -- Begin function _ZN7rocprim17ROCPRIM_400000_NS6detail17trampoline_kernelINS0_14default_configENS1_20scan_config_selectorIsEEZZNS1_9scan_implILNS1_25lookback_scan_determinismE0ELb0ELb0ES3_N6thrust23THRUST_200600_302600_NS6detail15normal_iteratorINS9_10device_ptrIsEEEESE_sNS9_4plusIvEEsEEDaPvRmT3_T4_T5_mT6_P12ihipStream_tbENKUlT_T0_E_clISt17integral_constantIbLb1EEST_IbLb0EEEEDaSP_SQ_EUlSP_E0_NS1_11comp_targetILNS1_3genE0ELNS1_11target_archE4294967295ELNS1_3gpuE0ELNS1_3repE0EEENS1_30default_config_static_selectorELNS0_4arch9wavefront6targetE1EEEvT1_
	.globl	_ZN7rocprim17ROCPRIM_400000_NS6detail17trampoline_kernelINS0_14default_configENS1_20scan_config_selectorIsEEZZNS1_9scan_implILNS1_25lookback_scan_determinismE0ELb0ELb0ES3_N6thrust23THRUST_200600_302600_NS6detail15normal_iteratorINS9_10device_ptrIsEEEESE_sNS9_4plusIvEEsEEDaPvRmT3_T4_T5_mT6_P12ihipStream_tbENKUlT_T0_E_clISt17integral_constantIbLb1EEST_IbLb0EEEEDaSP_SQ_EUlSP_E0_NS1_11comp_targetILNS1_3genE0ELNS1_11target_archE4294967295ELNS1_3gpuE0ELNS1_3repE0EEENS1_30default_config_static_selectorELNS0_4arch9wavefront6targetE1EEEvT1_
	.p2align	8
	.type	_ZN7rocprim17ROCPRIM_400000_NS6detail17trampoline_kernelINS0_14default_configENS1_20scan_config_selectorIsEEZZNS1_9scan_implILNS1_25lookback_scan_determinismE0ELb0ELb0ES3_N6thrust23THRUST_200600_302600_NS6detail15normal_iteratorINS9_10device_ptrIsEEEESE_sNS9_4plusIvEEsEEDaPvRmT3_T4_T5_mT6_P12ihipStream_tbENKUlT_T0_E_clISt17integral_constantIbLb1EEST_IbLb0EEEEDaSP_SQ_EUlSP_E0_NS1_11comp_targetILNS1_3genE0ELNS1_11target_archE4294967295ELNS1_3gpuE0ELNS1_3repE0EEENS1_30default_config_static_selectorELNS0_4arch9wavefront6targetE1EEEvT1_,@function
_ZN7rocprim17ROCPRIM_400000_NS6detail17trampoline_kernelINS0_14default_configENS1_20scan_config_selectorIsEEZZNS1_9scan_implILNS1_25lookback_scan_determinismE0ELb0ELb0ES3_N6thrust23THRUST_200600_302600_NS6detail15normal_iteratorINS9_10device_ptrIsEEEESE_sNS9_4plusIvEEsEEDaPvRmT3_T4_T5_mT6_P12ihipStream_tbENKUlT_T0_E_clISt17integral_constantIbLb1EEST_IbLb0EEEEDaSP_SQ_EUlSP_E0_NS1_11comp_targetILNS1_3genE0ELNS1_11target_archE4294967295ELNS1_3gpuE0ELNS1_3repE0EEENS1_30default_config_static_selectorELNS0_4arch9wavefront6targetE1EEEvT1_: ; @_ZN7rocprim17ROCPRIM_400000_NS6detail17trampoline_kernelINS0_14default_configENS1_20scan_config_selectorIsEEZZNS1_9scan_implILNS1_25lookback_scan_determinismE0ELb0ELb0ES3_N6thrust23THRUST_200600_302600_NS6detail15normal_iteratorINS9_10device_ptrIsEEEESE_sNS9_4plusIvEEsEEDaPvRmT3_T4_T5_mT6_P12ihipStream_tbENKUlT_T0_E_clISt17integral_constantIbLb1EEST_IbLb0EEEEDaSP_SQ_EUlSP_E0_NS1_11comp_targetILNS1_3genE0ELNS1_11target_archE4294967295ELNS1_3gpuE0ELNS1_3repE0EEENS1_30default_config_static_selectorELNS0_4arch9wavefront6targetE1EEEvT1_
; %bb.0:
	.section	.rodata,"a",@progbits
	.p2align	6, 0x0
	.amdhsa_kernel _ZN7rocprim17ROCPRIM_400000_NS6detail17trampoline_kernelINS0_14default_configENS1_20scan_config_selectorIsEEZZNS1_9scan_implILNS1_25lookback_scan_determinismE0ELb0ELb0ES3_N6thrust23THRUST_200600_302600_NS6detail15normal_iteratorINS9_10device_ptrIsEEEESE_sNS9_4plusIvEEsEEDaPvRmT3_T4_T5_mT6_P12ihipStream_tbENKUlT_T0_E_clISt17integral_constantIbLb1EEST_IbLb0EEEEDaSP_SQ_EUlSP_E0_NS1_11comp_targetILNS1_3genE0ELNS1_11target_archE4294967295ELNS1_3gpuE0ELNS1_3repE0EEENS1_30default_config_static_selectorELNS0_4arch9wavefront6targetE1EEEvT1_
		.amdhsa_group_segment_fixed_size 0
		.amdhsa_private_segment_fixed_size 0
		.amdhsa_kernarg_size 32
		.amdhsa_user_sgpr_count 6
		.amdhsa_user_sgpr_private_segment_buffer 1
		.amdhsa_user_sgpr_dispatch_ptr 0
		.amdhsa_user_sgpr_queue_ptr 0
		.amdhsa_user_sgpr_kernarg_segment_ptr 1
		.amdhsa_user_sgpr_dispatch_id 0
		.amdhsa_user_sgpr_flat_scratch_init 0
		.amdhsa_user_sgpr_kernarg_preload_length 0
		.amdhsa_user_sgpr_kernarg_preload_offset 0
		.amdhsa_user_sgpr_private_segment_size 0
		.amdhsa_uses_dynamic_stack 0
		.amdhsa_system_sgpr_private_segment_wavefront_offset 0
		.amdhsa_system_sgpr_workgroup_id_x 1
		.amdhsa_system_sgpr_workgroup_id_y 0
		.amdhsa_system_sgpr_workgroup_id_z 0
		.amdhsa_system_sgpr_workgroup_info 0
		.amdhsa_system_vgpr_workitem_id 0
		.amdhsa_next_free_vgpr 1
		.amdhsa_next_free_sgpr 0
		.amdhsa_accum_offset 4
		.amdhsa_reserve_vcc 0
		.amdhsa_reserve_flat_scratch 0
		.amdhsa_float_round_mode_32 0
		.amdhsa_float_round_mode_16_64 0
		.amdhsa_float_denorm_mode_32 3
		.amdhsa_float_denorm_mode_16_64 3
		.amdhsa_dx10_clamp 1
		.amdhsa_ieee_mode 1
		.amdhsa_fp16_overflow 0
		.amdhsa_tg_split 0
		.amdhsa_exception_fp_ieee_invalid_op 0
		.amdhsa_exception_fp_denorm_src 0
		.amdhsa_exception_fp_ieee_div_zero 0
		.amdhsa_exception_fp_ieee_overflow 0
		.amdhsa_exception_fp_ieee_underflow 0
		.amdhsa_exception_fp_ieee_inexact 0
		.amdhsa_exception_int_div_zero 0
	.end_amdhsa_kernel
	.section	.text._ZN7rocprim17ROCPRIM_400000_NS6detail17trampoline_kernelINS0_14default_configENS1_20scan_config_selectorIsEEZZNS1_9scan_implILNS1_25lookback_scan_determinismE0ELb0ELb0ES3_N6thrust23THRUST_200600_302600_NS6detail15normal_iteratorINS9_10device_ptrIsEEEESE_sNS9_4plusIvEEsEEDaPvRmT3_T4_T5_mT6_P12ihipStream_tbENKUlT_T0_E_clISt17integral_constantIbLb1EEST_IbLb0EEEEDaSP_SQ_EUlSP_E0_NS1_11comp_targetILNS1_3genE0ELNS1_11target_archE4294967295ELNS1_3gpuE0ELNS1_3repE0EEENS1_30default_config_static_selectorELNS0_4arch9wavefront6targetE1EEEvT1_,"axG",@progbits,_ZN7rocprim17ROCPRIM_400000_NS6detail17trampoline_kernelINS0_14default_configENS1_20scan_config_selectorIsEEZZNS1_9scan_implILNS1_25lookback_scan_determinismE0ELb0ELb0ES3_N6thrust23THRUST_200600_302600_NS6detail15normal_iteratorINS9_10device_ptrIsEEEESE_sNS9_4plusIvEEsEEDaPvRmT3_T4_T5_mT6_P12ihipStream_tbENKUlT_T0_E_clISt17integral_constantIbLb1EEST_IbLb0EEEEDaSP_SQ_EUlSP_E0_NS1_11comp_targetILNS1_3genE0ELNS1_11target_archE4294967295ELNS1_3gpuE0ELNS1_3repE0EEENS1_30default_config_static_selectorELNS0_4arch9wavefront6targetE1EEEvT1_,comdat
.Lfunc_end933:
	.size	_ZN7rocprim17ROCPRIM_400000_NS6detail17trampoline_kernelINS0_14default_configENS1_20scan_config_selectorIsEEZZNS1_9scan_implILNS1_25lookback_scan_determinismE0ELb0ELb0ES3_N6thrust23THRUST_200600_302600_NS6detail15normal_iteratorINS9_10device_ptrIsEEEESE_sNS9_4plusIvEEsEEDaPvRmT3_T4_T5_mT6_P12ihipStream_tbENKUlT_T0_E_clISt17integral_constantIbLb1EEST_IbLb0EEEEDaSP_SQ_EUlSP_E0_NS1_11comp_targetILNS1_3genE0ELNS1_11target_archE4294967295ELNS1_3gpuE0ELNS1_3repE0EEENS1_30default_config_static_selectorELNS0_4arch9wavefront6targetE1EEEvT1_, .Lfunc_end933-_ZN7rocprim17ROCPRIM_400000_NS6detail17trampoline_kernelINS0_14default_configENS1_20scan_config_selectorIsEEZZNS1_9scan_implILNS1_25lookback_scan_determinismE0ELb0ELb0ES3_N6thrust23THRUST_200600_302600_NS6detail15normal_iteratorINS9_10device_ptrIsEEEESE_sNS9_4plusIvEEsEEDaPvRmT3_T4_T5_mT6_P12ihipStream_tbENKUlT_T0_E_clISt17integral_constantIbLb1EEST_IbLb0EEEEDaSP_SQ_EUlSP_E0_NS1_11comp_targetILNS1_3genE0ELNS1_11target_archE4294967295ELNS1_3gpuE0ELNS1_3repE0EEENS1_30default_config_static_selectorELNS0_4arch9wavefront6targetE1EEEvT1_
                                        ; -- End function
	.section	.AMDGPU.csdata,"",@progbits
; Kernel info:
; codeLenInByte = 0
; NumSgprs: 4
; NumVgprs: 0
; NumAgprs: 0
; TotalNumVgprs: 0
; ScratchSize: 0
; MemoryBound: 0
; FloatMode: 240
; IeeeMode: 1
; LDSByteSize: 0 bytes/workgroup (compile time only)
; SGPRBlocks: 0
; VGPRBlocks: 0
; NumSGPRsForWavesPerEU: 4
; NumVGPRsForWavesPerEU: 1
; AccumOffset: 4
; Occupancy: 8
; WaveLimiterHint : 0
; COMPUTE_PGM_RSRC2:SCRATCH_EN: 0
; COMPUTE_PGM_RSRC2:USER_SGPR: 6
; COMPUTE_PGM_RSRC2:TRAP_HANDLER: 0
; COMPUTE_PGM_RSRC2:TGID_X_EN: 1
; COMPUTE_PGM_RSRC2:TGID_Y_EN: 0
; COMPUTE_PGM_RSRC2:TGID_Z_EN: 0
; COMPUTE_PGM_RSRC2:TIDIG_COMP_CNT: 0
; COMPUTE_PGM_RSRC3_GFX90A:ACCUM_OFFSET: 0
; COMPUTE_PGM_RSRC3_GFX90A:TG_SPLIT: 0
	.section	.text._ZN7rocprim17ROCPRIM_400000_NS6detail17trampoline_kernelINS0_14default_configENS1_20scan_config_selectorIsEEZZNS1_9scan_implILNS1_25lookback_scan_determinismE0ELb0ELb0ES3_N6thrust23THRUST_200600_302600_NS6detail15normal_iteratorINS9_10device_ptrIsEEEESE_sNS9_4plusIvEEsEEDaPvRmT3_T4_T5_mT6_P12ihipStream_tbENKUlT_T0_E_clISt17integral_constantIbLb1EEST_IbLb0EEEEDaSP_SQ_EUlSP_E0_NS1_11comp_targetILNS1_3genE5ELNS1_11target_archE942ELNS1_3gpuE9ELNS1_3repE0EEENS1_30default_config_static_selectorELNS0_4arch9wavefront6targetE1EEEvT1_,"axG",@progbits,_ZN7rocprim17ROCPRIM_400000_NS6detail17trampoline_kernelINS0_14default_configENS1_20scan_config_selectorIsEEZZNS1_9scan_implILNS1_25lookback_scan_determinismE0ELb0ELb0ES3_N6thrust23THRUST_200600_302600_NS6detail15normal_iteratorINS9_10device_ptrIsEEEESE_sNS9_4plusIvEEsEEDaPvRmT3_T4_T5_mT6_P12ihipStream_tbENKUlT_T0_E_clISt17integral_constantIbLb1EEST_IbLb0EEEEDaSP_SQ_EUlSP_E0_NS1_11comp_targetILNS1_3genE5ELNS1_11target_archE942ELNS1_3gpuE9ELNS1_3repE0EEENS1_30default_config_static_selectorELNS0_4arch9wavefront6targetE1EEEvT1_,comdat
	.protected	_ZN7rocprim17ROCPRIM_400000_NS6detail17trampoline_kernelINS0_14default_configENS1_20scan_config_selectorIsEEZZNS1_9scan_implILNS1_25lookback_scan_determinismE0ELb0ELb0ES3_N6thrust23THRUST_200600_302600_NS6detail15normal_iteratorINS9_10device_ptrIsEEEESE_sNS9_4plusIvEEsEEDaPvRmT3_T4_T5_mT6_P12ihipStream_tbENKUlT_T0_E_clISt17integral_constantIbLb1EEST_IbLb0EEEEDaSP_SQ_EUlSP_E0_NS1_11comp_targetILNS1_3genE5ELNS1_11target_archE942ELNS1_3gpuE9ELNS1_3repE0EEENS1_30default_config_static_selectorELNS0_4arch9wavefront6targetE1EEEvT1_ ; -- Begin function _ZN7rocprim17ROCPRIM_400000_NS6detail17trampoline_kernelINS0_14default_configENS1_20scan_config_selectorIsEEZZNS1_9scan_implILNS1_25lookback_scan_determinismE0ELb0ELb0ES3_N6thrust23THRUST_200600_302600_NS6detail15normal_iteratorINS9_10device_ptrIsEEEESE_sNS9_4plusIvEEsEEDaPvRmT3_T4_T5_mT6_P12ihipStream_tbENKUlT_T0_E_clISt17integral_constantIbLb1EEST_IbLb0EEEEDaSP_SQ_EUlSP_E0_NS1_11comp_targetILNS1_3genE5ELNS1_11target_archE942ELNS1_3gpuE9ELNS1_3repE0EEENS1_30default_config_static_selectorELNS0_4arch9wavefront6targetE1EEEvT1_
	.globl	_ZN7rocprim17ROCPRIM_400000_NS6detail17trampoline_kernelINS0_14default_configENS1_20scan_config_selectorIsEEZZNS1_9scan_implILNS1_25lookback_scan_determinismE0ELb0ELb0ES3_N6thrust23THRUST_200600_302600_NS6detail15normal_iteratorINS9_10device_ptrIsEEEESE_sNS9_4plusIvEEsEEDaPvRmT3_T4_T5_mT6_P12ihipStream_tbENKUlT_T0_E_clISt17integral_constantIbLb1EEST_IbLb0EEEEDaSP_SQ_EUlSP_E0_NS1_11comp_targetILNS1_3genE5ELNS1_11target_archE942ELNS1_3gpuE9ELNS1_3repE0EEENS1_30default_config_static_selectorELNS0_4arch9wavefront6targetE1EEEvT1_
	.p2align	8
	.type	_ZN7rocprim17ROCPRIM_400000_NS6detail17trampoline_kernelINS0_14default_configENS1_20scan_config_selectorIsEEZZNS1_9scan_implILNS1_25lookback_scan_determinismE0ELb0ELb0ES3_N6thrust23THRUST_200600_302600_NS6detail15normal_iteratorINS9_10device_ptrIsEEEESE_sNS9_4plusIvEEsEEDaPvRmT3_T4_T5_mT6_P12ihipStream_tbENKUlT_T0_E_clISt17integral_constantIbLb1EEST_IbLb0EEEEDaSP_SQ_EUlSP_E0_NS1_11comp_targetILNS1_3genE5ELNS1_11target_archE942ELNS1_3gpuE9ELNS1_3repE0EEENS1_30default_config_static_selectorELNS0_4arch9wavefront6targetE1EEEvT1_,@function
_ZN7rocprim17ROCPRIM_400000_NS6detail17trampoline_kernelINS0_14default_configENS1_20scan_config_selectorIsEEZZNS1_9scan_implILNS1_25lookback_scan_determinismE0ELb0ELb0ES3_N6thrust23THRUST_200600_302600_NS6detail15normal_iteratorINS9_10device_ptrIsEEEESE_sNS9_4plusIvEEsEEDaPvRmT3_T4_T5_mT6_P12ihipStream_tbENKUlT_T0_E_clISt17integral_constantIbLb1EEST_IbLb0EEEEDaSP_SQ_EUlSP_E0_NS1_11comp_targetILNS1_3genE5ELNS1_11target_archE942ELNS1_3gpuE9ELNS1_3repE0EEENS1_30default_config_static_selectorELNS0_4arch9wavefront6targetE1EEEvT1_: ; @_ZN7rocprim17ROCPRIM_400000_NS6detail17trampoline_kernelINS0_14default_configENS1_20scan_config_selectorIsEEZZNS1_9scan_implILNS1_25lookback_scan_determinismE0ELb0ELb0ES3_N6thrust23THRUST_200600_302600_NS6detail15normal_iteratorINS9_10device_ptrIsEEEESE_sNS9_4plusIvEEsEEDaPvRmT3_T4_T5_mT6_P12ihipStream_tbENKUlT_T0_E_clISt17integral_constantIbLb1EEST_IbLb0EEEEDaSP_SQ_EUlSP_E0_NS1_11comp_targetILNS1_3genE5ELNS1_11target_archE942ELNS1_3gpuE9ELNS1_3repE0EEENS1_30default_config_static_selectorELNS0_4arch9wavefront6targetE1EEEvT1_
; %bb.0:
	.section	.rodata,"a",@progbits
	.p2align	6, 0x0
	.amdhsa_kernel _ZN7rocprim17ROCPRIM_400000_NS6detail17trampoline_kernelINS0_14default_configENS1_20scan_config_selectorIsEEZZNS1_9scan_implILNS1_25lookback_scan_determinismE0ELb0ELb0ES3_N6thrust23THRUST_200600_302600_NS6detail15normal_iteratorINS9_10device_ptrIsEEEESE_sNS9_4plusIvEEsEEDaPvRmT3_T4_T5_mT6_P12ihipStream_tbENKUlT_T0_E_clISt17integral_constantIbLb1EEST_IbLb0EEEEDaSP_SQ_EUlSP_E0_NS1_11comp_targetILNS1_3genE5ELNS1_11target_archE942ELNS1_3gpuE9ELNS1_3repE0EEENS1_30default_config_static_selectorELNS0_4arch9wavefront6targetE1EEEvT1_
		.amdhsa_group_segment_fixed_size 0
		.amdhsa_private_segment_fixed_size 0
		.amdhsa_kernarg_size 32
		.amdhsa_user_sgpr_count 6
		.amdhsa_user_sgpr_private_segment_buffer 1
		.amdhsa_user_sgpr_dispatch_ptr 0
		.amdhsa_user_sgpr_queue_ptr 0
		.amdhsa_user_sgpr_kernarg_segment_ptr 1
		.amdhsa_user_sgpr_dispatch_id 0
		.amdhsa_user_sgpr_flat_scratch_init 0
		.amdhsa_user_sgpr_kernarg_preload_length 0
		.amdhsa_user_sgpr_kernarg_preload_offset 0
		.amdhsa_user_sgpr_private_segment_size 0
		.amdhsa_uses_dynamic_stack 0
		.amdhsa_system_sgpr_private_segment_wavefront_offset 0
		.amdhsa_system_sgpr_workgroup_id_x 1
		.amdhsa_system_sgpr_workgroup_id_y 0
		.amdhsa_system_sgpr_workgroup_id_z 0
		.amdhsa_system_sgpr_workgroup_info 0
		.amdhsa_system_vgpr_workitem_id 0
		.amdhsa_next_free_vgpr 1
		.amdhsa_next_free_sgpr 0
		.amdhsa_accum_offset 4
		.amdhsa_reserve_vcc 0
		.amdhsa_reserve_flat_scratch 0
		.amdhsa_float_round_mode_32 0
		.amdhsa_float_round_mode_16_64 0
		.amdhsa_float_denorm_mode_32 3
		.amdhsa_float_denorm_mode_16_64 3
		.amdhsa_dx10_clamp 1
		.amdhsa_ieee_mode 1
		.amdhsa_fp16_overflow 0
		.amdhsa_tg_split 0
		.amdhsa_exception_fp_ieee_invalid_op 0
		.amdhsa_exception_fp_denorm_src 0
		.amdhsa_exception_fp_ieee_div_zero 0
		.amdhsa_exception_fp_ieee_overflow 0
		.amdhsa_exception_fp_ieee_underflow 0
		.amdhsa_exception_fp_ieee_inexact 0
		.amdhsa_exception_int_div_zero 0
	.end_amdhsa_kernel
	.section	.text._ZN7rocprim17ROCPRIM_400000_NS6detail17trampoline_kernelINS0_14default_configENS1_20scan_config_selectorIsEEZZNS1_9scan_implILNS1_25lookback_scan_determinismE0ELb0ELb0ES3_N6thrust23THRUST_200600_302600_NS6detail15normal_iteratorINS9_10device_ptrIsEEEESE_sNS9_4plusIvEEsEEDaPvRmT3_T4_T5_mT6_P12ihipStream_tbENKUlT_T0_E_clISt17integral_constantIbLb1EEST_IbLb0EEEEDaSP_SQ_EUlSP_E0_NS1_11comp_targetILNS1_3genE5ELNS1_11target_archE942ELNS1_3gpuE9ELNS1_3repE0EEENS1_30default_config_static_selectorELNS0_4arch9wavefront6targetE1EEEvT1_,"axG",@progbits,_ZN7rocprim17ROCPRIM_400000_NS6detail17trampoline_kernelINS0_14default_configENS1_20scan_config_selectorIsEEZZNS1_9scan_implILNS1_25lookback_scan_determinismE0ELb0ELb0ES3_N6thrust23THRUST_200600_302600_NS6detail15normal_iteratorINS9_10device_ptrIsEEEESE_sNS9_4plusIvEEsEEDaPvRmT3_T4_T5_mT6_P12ihipStream_tbENKUlT_T0_E_clISt17integral_constantIbLb1EEST_IbLb0EEEEDaSP_SQ_EUlSP_E0_NS1_11comp_targetILNS1_3genE5ELNS1_11target_archE942ELNS1_3gpuE9ELNS1_3repE0EEENS1_30default_config_static_selectorELNS0_4arch9wavefront6targetE1EEEvT1_,comdat
.Lfunc_end934:
	.size	_ZN7rocprim17ROCPRIM_400000_NS6detail17trampoline_kernelINS0_14default_configENS1_20scan_config_selectorIsEEZZNS1_9scan_implILNS1_25lookback_scan_determinismE0ELb0ELb0ES3_N6thrust23THRUST_200600_302600_NS6detail15normal_iteratorINS9_10device_ptrIsEEEESE_sNS9_4plusIvEEsEEDaPvRmT3_T4_T5_mT6_P12ihipStream_tbENKUlT_T0_E_clISt17integral_constantIbLb1EEST_IbLb0EEEEDaSP_SQ_EUlSP_E0_NS1_11comp_targetILNS1_3genE5ELNS1_11target_archE942ELNS1_3gpuE9ELNS1_3repE0EEENS1_30default_config_static_selectorELNS0_4arch9wavefront6targetE1EEEvT1_, .Lfunc_end934-_ZN7rocprim17ROCPRIM_400000_NS6detail17trampoline_kernelINS0_14default_configENS1_20scan_config_selectorIsEEZZNS1_9scan_implILNS1_25lookback_scan_determinismE0ELb0ELb0ES3_N6thrust23THRUST_200600_302600_NS6detail15normal_iteratorINS9_10device_ptrIsEEEESE_sNS9_4plusIvEEsEEDaPvRmT3_T4_T5_mT6_P12ihipStream_tbENKUlT_T0_E_clISt17integral_constantIbLb1EEST_IbLb0EEEEDaSP_SQ_EUlSP_E0_NS1_11comp_targetILNS1_3genE5ELNS1_11target_archE942ELNS1_3gpuE9ELNS1_3repE0EEENS1_30default_config_static_selectorELNS0_4arch9wavefront6targetE1EEEvT1_
                                        ; -- End function
	.section	.AMDGPU.csdata,"",@progbits
; Kernel info:
; codeLenInByte = 0
; NumSgprs: 4
; NumVgprs: 0
; NumAgprs: 0
; TotalNumVgprs: 0
; ScratchSize: 0
; MemoryBound: 0
; FloatMode: 240
; IeeeMode: 1
; LDSByteSize: 0 bytes/workgroup (compile time only)
; SGPRBlocks: 0
; VGPRBlocks: 0
; NumSGPRsForWavesPerEU: 4
; NumVGPRsForWavesPerEU: 1
; AccumOffset: 4
; Occupancy: 8
; WaveLimiterHint : 0
; COMPUTE_PGM_RSRC2:SCRATCH_EN: 0
; COMPUTE_PGM_RSRC2:USER_SGPR: 6
; COMPUTE_PGM_RSRC2:TRAP_HANDLER: 0
; COMPUTE_PGM_RSRC2:TGID_X_EN: 1
; COMPUTE_PGM_RSRC2:TGID_Y_EN: 0
; COMPUTE_PGM_RSRC2:TGID_Z_EN: 0
; COMPUTE_PGM_RSRC2:TIDIG_COMP_CNT: 0
; COMPUTE_PGM_RSRC3_GFX90A:ACCUM_OFFSET: 0
; COMPUTE_PGM_RSRC3_GFX90A:TG_SPLIT: 0
	.section	.text._ZN7rocprim17ROCPRIM_400000_NS6detail17trampoline_kernelINS0_14default_configENS1_20scan_config_selectorIsEEZZNS1_9scan_implILNS1_25lookback_scan_determinismE0ELb0ELb0ES3_N6thrust23THRUST_200600_302600_NS6detail15normal_iteratorINS9_10device_ptrIsEEEESE_sNS9_4plusIvEEsEEDaPvRmT3_T4_T5_mT6_P12ihipStream_tbENKUlT_T0_E_clISt17integral_constantIbLb1EEST_IbLb0EEEEDaSP_SQ_EUlSP_E0_NS1_11comp_targetILNS1_3genE4ELNS1_11target_archE910ELNS1_3gpuE8ELNS1_3repE0EEENS1_30default_config_static_selectorELNS0_4arch9wavefront6targetE1EEEvT1_,"axG",@progbits,_ZN7rocprim17ROCPRIM_400000_NS6detail17trampoline_kernelINS0_14default_configENS1_20scan_config_selectorIsEEZZNS1_9scan_implILNS1_25lookback_scan_determinismE0ELb0ELb0ES3_N6thrust23THRUST_200600_302600_NS6detail15normal_iteratorINS9_10device_ptrIsEEEESE_sNS9_4plusIvEEsEEDaPvRmT3_T4_T5_mT6_P12ihipStream_tbENKUlT_T0_E_clISt17integral_constantIbLb1EEST_IbLb0EEEEDaSP_SQ_EUlSP_E0_NS1_11comp_targetILNS1_3genE4ELNS1_11target_archE910ELNS1_3gpuE8ELNS1_3repE0EEENS1_30default_config_static_selectorELNS0_4arch9wavefront6targetE1EEEvT1_,comdat
	.protected	_ZN7rocprim17ROCPRIM_400000_NS6detail17trampoline_kernelINS0_14default_configENS1_20scan_config_selectorIsEEZZNS1_9scan_implILNS1_25lookback_scan_determinismE0ELb0ELb0ES3_N6thrust23THRUST_200600_302600_NS6detail15normal_iteratorINS9_10device_ptrIsEEEESE_sNS9_4plusIvEEsEEDaPvRmT3_T4_T5_mT6_P12ihipStream_tbENKUlT_T0_E_clISt17integral_constantIbLb1EEST_IbLb0EEEEDaSP_SQ_EUlSP_E0_NS1_11comp_targetILNS1_3genE4ELNS1_11target_archE910ELNS1_3gpuE8ELNS1_3repE0EEENS1_30default_config_static_selectorELNS0_4arch9wavefront6targetE1EEEvT1_ ; -- Begin function _ZN7rocprim17ROCPRIM_400000_NS6detail17trampoline_kernelINS0_14default_configENS1_20scan_config_selectorIsEEZZNS1_9scan_implILNS1_25lookback_scan_determinismE0ELb0ELb0ES3_N6thrust23THRUST_200600_302600_NS6detail15normal_iteratorINS9_10device_ptrIsEEEESE_sNS9_4plusIvEEsEEDaPvRmT3_T4_T5_mT6_P12ihipStream_tbENKUlT_T0_E_clISt17integral_constantIbLb1EEST_IbLb0EEEEDaSP_SQ_EUlSP_E0_NS1_11comp_targetILNS1_3genE4ELNS1_11target_archE910ELNS1_3gpuE8ELNS1_3repE0EEENS1_30default_config_static_selectorELNS0_4arch9wavefront6targetE1EEEvT1_
	.globl	_ZN7rocprim17ROCPRIM_400000_NS6detail17trampoline_kernelINS0_14default_configENS1_20scan_config_selectorIsEEZZNS1_9scan_implILNS1_25lookback_scan_determinismE0ELb0ELb0ES3_N6thrust23THRUST_200600_302600_NS6detail15normal_iteratorINS9_10device_ptrIsEEEESE_sNS9_4plusIvEEsEEDaPvRmT3_T4_T5_mT6_P12ihipStream_tbENKUlT_T0_E_clISt17integral_constantIbLb1EEST_IbLb0EEEEDaSP_SQ_EUlSP_E0_NS1_11comp_targetILNS1_3genE4ELNS1_11target_archE910ELNS1_3gpuE8ELNS1_3repE0EEENS1_30default_config_static_selectorELNS0_4arch9wavefront6targetE1EEEvT1_
	.p2align	8
	.type	_ZN7rocprim17ROCPRIM_400000_NS6detail17trampoline_kernelINS0_14default_configENS1_20scan_config_selectorIsEEZZNS1_9scan_implILNS1_25lookback_scan_determinismE0ELb0ELb0ES3_N6thrust23THRUST_200600_302600_NS6detail15normal_iteratorINS9_10device_ptrIsEEEESE_sNS9_4plusIvEEsEEDaPvRmT3_T4_T5_mT6_P12ihipStream_tbENKUlT_T0_E_clISt17integral_constantIbLb1EEST_IbLb0EEEEDaSP_SQ_EUlSP_E0_NS1_11comp_targetILNS1_3genE4ELNS1_11target_archE910ELNS1_3gpuE8ELNS1_3repE0EEENS1_30default_config_static_selectorELNS0_4arch9wavefront6targetE1EEEvT1_,@function
_ZN7rocprim17ROCPRIM_400000_NS6detail17trampoline_kernelINS0_14default_configENS1_20scan_config_selectorIsEEZZNS1_9scan_implILNS1_25lookback_scan_determinismE0ELb0ELb0ES3_N6thrust23THRUST_200600_302600_NS6detail15normal_iteratorINS9_10device_ptrIsEEEESE_sNS9_4plusIvEEsEEDaPvRmT3_T4_T5_mT6_P12ihipStream_tbENKUlT_T0_E_clISt17integral_constantIbLb1EEST_IbLb0EEEEDaSP_SQ_EUlSP_E0_NS1_11comp_targetILNS1_3genE4ELNS1_11target_archE910ELNS1_3gpuE8ELNS1_3repE0EEENS1_30default_config_static_selectorELNS0_4arch9wavefront6targetE1EEEvT1_: ; @_ZN7rocprim17ROCPRIM_400000_NS6detail17trampoline_kernelINS0_14default_configENS1_20scan_config_selectorIsEEZZNS1_9scan_implILNS1_25lookback_scan_determinismE0ELb0ELb0ES3_N6thrust23THRUST_200600_302600_NS6detail15normal_iteratorINS9_10device_ptrIsEEEESE_sNS9_4plusIvEEsEEDaPvRmT3_T4_T5_mT6_P12ihipStream_tbENKUlT_T0_E_clISt17integral_constantIbLb1EEST_IbLb0EEEEDaSP_SQ_EUlSP_E0_NS1_11comp_targetILNS1_3genE4ELNS1_11target_archE910ELNS1_3gpuE8ELNS1_3repE0EEENS1_30default_config_static_selectorELNS0_4arch9wavefront6targetE1EEEvT1_
; %bb.0:
	s_load_dwordx4 s[52:55], s[4:5], 0x0
	v_mov_b32_e32 v1, 0
	v_lshlrev_b32_e32 v14, 1, v0
	s_waitcnt lgkmcnt(0)
	global_load_ushort v2, v1, s[52:53]
	v_cmp_gt_u32_e32 vcc, s54, v0
	s_waitcnt vmcnt(0)
	v_mov_b32_e32 v3, v2
	s_and_saveexec_b64 s[0:1], vcc
	s_cbranch_execz .LBB935_2
; %bb.1:
	global_load_ushort v3, v14, s[52:53]
.LBB935_2:
	s_or_b64 exec, exec, s[0:1]
	v_or_b32_e32 v1, 64, v0
	v_cmp_gt_u32_e64 s[0:1], s54, v1
	v_mov_b32_e32 v4, v2
	s_and_saveexec_b64 s[2:3], s[0:1]
	s_cbranch_execz .LBB935_4
; %bb.3:
	global_load_ushort v4, v14, s[52:53] offset:128
.LBB935_4:
	s_or_b64 exec, exec, s[2:3]
	v_or_b32_e32 v1, 0x80, v0
	v_cmp_gt_u32_e64 s[2:3], s54, v1
	v_mov_b32_e32 v5, v2
	s_and_saveexec_b64 s[6:7], s[2:3]
	s_cbranch_execz .LBB935_6
; %bb.5:
	global_load_ushort v5, v14, s[52:53] offset:256
.LBB935_6:
	;; [unrolled: 9-line block ×22, first 2 shown]
	s_or_b64 exec, exec, s[46:47]
	v_or_b32_e32 v1, 0x5c0, v0
	v_cmp_gt_u32_e64 s[46:47], s54, v1
	v_cmp_le_u32_e64 s[50:51], s54, v1
	s_and_saveexec_b64 s[54:55], s[50:51]
	s_xor_b64 s[50:51], exec, s[54:55]
; %bb.47:
	v_mov_b32_e32 v1, 0
; %bb.48:
	s_andn2_saveexec_b64 s[50:51], s[50:51]
	s_cbranch_execz .LBB935_50
; %bb.49:
	global_load_ushort v2, v14, s[52:53] offset:2944
	v_mov_b32_e32 v1, 0
.LBB935_50:
	s_or_b64 exec, exec, s[50:51]
	s_waitcnt vmcnt(0)
	ds_write_b16 v14, v3
	ds_write_b16 v14, v4 offset:128
	ds_write_b16 v14, v5 offset:256
	;; [unrolled: 1-line block ×23, first 2 shown]
	v_mad_u32_u24 v6, v0, 46, v14
	s_waitcnt lgkmcnt(0)
	; wave barrier
	s_waitcnt lgkmcnt(0)
	ds_read_b128 v[2:5], v6
	ds_read_b128 v[10:13], v6 offset:16
	ds_read_b128 v[6:9], v6 offset:32
	v_mbcnt_lo_u32_b32 v38, -1, 0
	v_mbcnt_hi_u32_b32 v38, -1, v38
	s_waitcnt lgkmcnt(2)
	v_add_u16_sdwa v15, v2, v2 dst_sel:DWORD dst_unused:UNUSED_PAD src0_sel:WORD_1 src1_sel:DWORD
	v_add_u16_e32 v16, v15, v3
	v_add_u16_sdwa v18, v16, v3 dst_sel:DWORD dst_unused:UNUSED_PAD src0_sel:DWORD src1_sel:WORD_1
	v_add_u16_e32 v20, v18, v4
	v_add_u16_sdwa v22, v20, v4 dst_sel:DWORD dst_unused:UNUSED_PAD src0_sel:DWORD src1_sel:WORD_1
	v_add_u16_e32 v25, v22, v5
	v_add_u16_sdwa v28, v25, v5 dst_sel:DWORD dst_unused:UNUSED_PAD src0_sel:DWORD src1_sel:WORD_1
	s_waitcnt lgkmcnt(1)
	v_add_u16_e32 v17, v28, v10
	v_add_u16_sdwa v19, v17, v10 dst_sel:DWORD dst_unused:UNUSED_PAD src0_sel:DWORD src1_sel:WORD_1
	v_add_u16_e32 v21, v19, v11
	v_add_u16_sdwa v24, v21, v11 dst_sel:DWORD dst_unused:UNUSED_PAD src0_sel:DWORD src1_sel:WORD_1
	;; [unrolled: 2-line block ×4, first 2 shown]
	s_waitcnt lgkmcnt(0)
	v_add_u16_e32 v23, v34, v6
	v_add_u16_sdwa v26, v23, v6 dst_sel:DWORD dst_unused:UNUSED_PAD src0_sel:DWORD src1_sel:WORD_1
	v_add_u16_e32 v29, v26, v7
	v_add_u16_sdwa v31, v29, v7 dst_sel:DWORD dst_unused:UNUSED_PAD src0_sel:DWORD src1_sel:WORD_1
	;; [unrolled: 2-line block ×4, first 2 shown]
	v_and_b32_e32 v39, 15, v38
	s_load_dwordx2 s[50:51], s[4:5], 0x18
	v_mov_b32_dpp v40, v37 row_shr:1 row_mask:0xf bank_mask:0xf
	v_cmp_ne_u32_e64 s[4:5], 0, v39
	v_cndmask_b32_e64 v40, 0, v40, s[4:5]
	v_add_u16_e32 v40, v40, v37
	v_cmp_lt_u32_e64 s[4:5], 1, v39
	s_waitcnt lgkmcnt(0)
	v_mov_b32_dpp v41, v40 row_shr:2 row_mask:0xf bank_mask:0xf
	v_cndmask_b32_e64 v41, 0, v41, s[4:5]
	v_add_u16_e32 v40, v40, v41
	v_cmp_lt_u32_e64 s[4:5], 3, v39
	; wave barrier
	s_nop 0
	v_mov_b32_dpp v41, v40 row_shr:4 row_mask:0xf bank_mask:0xf
	v_cndmask_b32_e64 v41, 0, v41, s[4:5]
	v_add_u16_e32 v40, v40, v41
	v_cmp_lt_u32_e64 s[4:5], 7, v39
	s_nop 0
	v_mov_b32_dpp v41, v40 row_shr:8 row_mask:0xf bank_mask:0xf
	v_cndmask_b32_e64 v39, 0, v41, s[4:5]
	v_add_u16_e32 v39, v40, v39
	v_and_b32_e32 v41, 16, v38
	v_cmp_ne_u32_e64 s[4:5], 0, v41
	v_mov_b32_dpp v40, v39 row_bcast:15 row_mask:0xf bank_mask:0xf
	v_cndmask_b32_e64 v40, 0, v40, s[4:5]
	v_add_u16_e32 v39, v39, v40
	v_cmp_lt_u32_e64 s[4:5], 31, v38
	s_nop 0
	v_mov_b32_dpp v40, v39 row_bcast:31 row_mask:0xf bank_mask:0xf
	v_cndmask_b32_e64 v40, 0, v40, s[4:5]
	v_add_u16_e32 v39, v39, v40
	v_cmp_eq_u32_e64 s[4:5], 63, v0
	s_and_saveexec_b64 s[52:53], s[4:5]
	s_cbranch_execz .LBB935_52
; %bb.51:
	v_mov_b32_e32 v40, 0
	ds_write_b16 v40, v39
.LBB935_52:
	s_or_b64 exec, exec, s[52:53]
	v_add_u32_e32 v40, -1, v38
	v_and_b32_e32 v41, 64, v38
	v_cmp_lt_i32_e64 s[4:5], v40, v41
	v_cndmask_b32_e64 v38, v40, v38, s[4:5]
	v_lshlrev_b32_e32 v38, 2, v38
	ds_bpermute_b32 v39, v38, v39
	v_mul_u32_u24_e32 v38, 46, v0
	v_cmp_ne_u32_e64 s[4:5], 0, v0
	s_waitcnt lgkmcnt(0)
	; wave barrier
	s_waitcnt lgkmcnt(0)
	s_and_saveexec_b64 s[52:53], s[4:5]
	s_cbranch_execz .LBB935_54
; %bb.53:
	v_add_u16_e32 v39, v2, v39
	v_add_u16_sdwa v15, v39, v2 dst_sel:DWORD dst_unused:UNUSED_PAD src0_sel:DWORD src1_sel:WORD_1
	v_add_u16_e32 v16, v15, v3
	v_add_u16_sdwa v18, v16, v3 dst_sel:DWORD dst_unused:UNUSED_PAD src0_sel:DWORD src1_sel:WORD_1
	;; [unrolled: 2-line block ×12, first 2 shown]
	v_mov_b32_e32 v2, v39
	;;#ASMSTART
	;;#ASMEND
.LBB935_54:
	s_or_b64 exec, exec, s[52:53]
	s_mov_b32 s4, 0x5040100
	v_add_u32_e32 v6, v14, v38
	v_perm_b32 v5, v28, v25, s4
	v_perm_b32 v4, v22, v20, s4
	;; [unrolled: 1-line block ×4, first 2 shown]
	s_waitcnt lgkmcnt(0)
	; wave barrier
	ds_write_b128 v6, v[2:5]
	v_perm_b32 v5, v34, v32, s4
	v_perm_b32 v4, v30, v27, s4
	;; [unrolled: 1-line block ×4, first 2 shown]
	ds_write_b128 v6, v[2:5] offset:16
	v_perm_b32 v5, v37, v36, s4
	v_perm_b32 v4, v35, v33, s4
	;; [unrolled: 1-line block ×4, first 2 shown]
	ds_write_b128 v6, v[2:5] offset:32
	s_waitcnt lgkmcnt(0)
	; wave barrier
	s_waitcnt lgkmcnt(0)
	ds_read_u16 v25, v14 offset:128
	ds_read_u16 v24, v14 offset:256
	;; [unrolled: 1-line block ×23, first 2 shown]
	v_lshlrev_b64 v[0:1], 1, v[0:1]
	v_mov_b32_e32 v26, s51
	v_add_co_u32_e64 v0, s[4:5], s50, v0
	v_addc_co_u32_e64 v1, s[4:5], v26, v1, s[4:5]
	s_and_saveexec_b64 s[4:5], vcc
	s_cbranch_execnz .LBB935_79
; %bb.55:
	s_or_b64 exec, exec, s[4:5]
	s_and_saveexec_b64 s[4:5], s[0:1]
	s_cbranch_execnz .LBB935_80
.LBB935_56:
	s_or_b64 exec, exec, s[4:5]
	s_and_saveexec_b64 s[0:1], s[2:3]
	s_cbranch_execnz .LBB935_81
.LBB935_57:
	s_or_b64 exec, exec, s[0:1]
	s_and_saveexec_b64 s[0:1], s[48:49]
	s_cbranch_execnz .LBB935_82
.LBB935_58:
	s_or_b64 exec, exec, s[0:1]
	s_and_saveexec_b64 s[0:1], s[6:7]
	s_cbranch_execnz .LBB935_83
.LBB935_59:
	s_or_b64 exec, exec, s[0:1]
	s_and_saveexec_b64 s[0:1], s[8:9]
	s_cbranch_execnz .LBB935_84
.LBB935_60:
	s_or_b64 exec, exec, s[0:1]
	s_and_saveexec_b64 s[0:1], s[10:11]
	s_cbranch_execnz .LBB935_85
.LBB935_61:
	s_or_b64 exec, exec, s[0:1]
	s_and_saveexec_b64 s[0:1], s[12:13]
	s_cbranch_execnz .LBB935_86
.LBB935_62:
	s_or_b64 exec, exec, s[0:1]
	s_and_saveexec_b64 s[0:1], s[14:15]
	s_cbranch_execnz .LBB935_87
.LBB935_63:
	s_or_b64 exec, exec, s[0:1]
	s_and_saveexec_b64 s[0:1], s[16:17]
	s_cbranch_execnz .LBB935_88
.LBB935_64:
	s_or_b64 exec, exec, s[0:1]
	s_and_saveexec_b64 s[0:1], s[18:19]
	s_cbranch_execnz .LBB935_89
.LBB935_65:
	s_or_b64 exec, exec, s[0:1]
	s_and_saveexec_b64 s[0:1], s[20:21]
	s_cbranch_execnz .LBB935_90
.LBB935_66:
	s_or_b64 exec, exec, s[0:1]
	s_and_saveexec_b64 s[0:1], s[22:23]
	s_cbranch_execnz .LBB935_91
.LBB935_67:
	s_or_b64 exec, exec, s[0:1]
	s_and_saveexec_b64 s[0:1], s[24:25]
	s_cbranch_execnz .LBB935_92
.LBB935_68:
	s_or_b64 exec, exec, s[0:1]
	s_and_saveexec_b64 s[0:1], s[26:27]
	s_cbranch_execnz .LBB935_93
.LBB935_69:
	s_or_b64 exec, exec, s[0:1]
	s_and_saveexec_b64 s[0:1], s[28:29]
	s_cbranch_execnz .LBB935_94
.LBB935_70:
	s_or_b64 exec, exec, s[0:1]
	s_and_saveexec_b64 s[0:1], s[30:31]
	s_cbranch_execnz .LBB935_95
.LBB935_71:
	s_or_b64 exec, exec, s[0:1]
	s_and_saveexec_b64 s[0:1], s[34:35]
	s_cbranch_execnz .LBB935_96
.LBB935_72:
	s_or_b64 exec, exec, s[0:1]
	s_and_saveexec_b64 s[0:1], s[36:37]
	s_cbranch_execnz .LBB935_97
.LBB935_73:
	s_or_b64 exec, exec, s[0:1]
	s_and_saveexec_b64 s[0:1], s[38:39]
	s_cbranch_execnz .LBB935_98
.LBB935_74:
	s_or_b64 exec, exec, s[0:1]
	s_and_saveexec_b64 s[0:1], s[40:41]
	s_cbranch_execnz .LBB935_99
.LBB935_75:
	s_or_b64 exec, exec, s[0:1]
	s_and_saveexec_b64 s[0:1], s[42:43]
	s_cbranch_execnz .LBB935_100
.LBB935_76:
	s_or_b64 exec, exec, s[0:1]
	s_and_saveexec_b64 s[0:1], s[44:45]
	s_cbranch_execnz .LBB935_101
.LBB935_77:
	s_or_b64 exec, exec, s[0:1]
	s_and_saveexec_b64 s[0:1], s[46:47]
	s_cbranch_execnz .LBB935_102
.LBB935_78:
	s_endpgm
.LBB935_79:
	ds_read_u16 v14, v14
	s_waitcnt lgkmcnt(0)
	global_store_short v[0:1], v14, off
	s_or_b64 exec, exec, s[4:5]
	s_and_saveexec_b64 s[4:5], s[0:1]
	s_cbranch_execz .LBB935_56
.LBB935_80:
	s_waitcnt lgkmcnt(14)
	global_store_short v[0:1], v25, off offset:128
	s_or_b64 exec, exec, s[4:5]
	s_and_saveexec_b64 s[0:1], s[2:3]
	s_cbranch_execz .LBB935_57
.LBB935_81:
	s_waitcnt lgkmcnt(14)
	global_store_short v[0:1], v24, off offset:256
	s_or_b64 exec, exec, s[0:1]
	s_and_saveexec_b64 s[0:1], s[48:49]
	s_cbranch_execz .LBB935_58
.LBB935_82:
	s_waitcnt lgkmcnt(14)
	global_store_short v[0:1], v23, off offset:384
	s_or_b64 exec, exec, s[0:1]
	s_and_saveexec_b64 s[0:1], s[6:7]
	s_cbranch_execz .LBB935_59
.LBB935_83:
	s_waitcnt lgkmcnt(14)
	global_store_short v[0:1], v22, off offset:512
	s_or_b64 exec, exec, s[0:1]
	s_and_saveexec_b64 s[0:1], s[8:9]
	s_cbranch_execz .LBB935_60
.LBB935_84:
	s_waitcnt lgkmcnt(14)
	global_store_short v[0:1], v21, off offset:640
	s_or_b64 exec, exec, s[0:1]
	s_and_saveexec_b64 s[0:1], s[10:11]
	s_cbranch_execz .LBB935_61
.LBB935_85:
	s_waitcnt lgkmcnt(14)
	global_store_short v[0:1], v20, off offset:768
	s_or_b64 exec, exec, s[0:1]
	s_and_saveexec_b64 s[0:1], s[12:13]
	s_cbranch_execz .LBB935_62
.LBB935_86:
	s_waitcnt lgkmcnt(14)
	global_store_short v[0:1], v19, off offset:896
	s_or_b64 exec, exec, s[0:1]
	s_and_saveexec_b64 s[0:1], s[14:15]
	s_cbranch_execz .LBB935_63
.LBB935_87:
	s_waitcnt lgkmcnt(14)
	global_store_short v[0:1], v18, off offset:1024
	s_or_b64 exec, exec, s[0:1]
	s_and_saveexec_b64 s[0:1], s[16:17]
	s_cbranch_execz .LBB935_64
.LBB935_88:
	s_waitcnt lgkmcnt(14)
	global_store_short v[0:1], v17, off offset:1152
	s_or_b64 exec, exec, s[0:1]
	s_and_saveexec_b64 s[0:1], s[18:19]
	s_cbranch_execz .LBB935_65
.LBB935_89:
	s_waitcnt lgkmcnt(13)
	global_store_short v[0:1], v16, off offset:1280
	s_or_b64 exec, exec, s[0:1]
	s_and_saveexec_b64 s[0:1], s[20:21]
	s_cbranch_execz .LBB935_66
.LBB935_90:
	s_waitcnt lgkmcnt(12)
	global_store_short v[0:1], v15, off offset:1408
	s_or_b64 exec, exec, s[0:1]
	s_and_saveexec_b64 s[0:1], s[22:23]
	s_cbranch_execz .LBB935_67
.LBB935_91:
	s_waitcnt lgkmcnt(11)
	global_store_short v[0:1], v13, off offset:1536
	s_or_b64 exec, exec, s[0:1]
	s_and_saveexec_b64 s[0:1], s[24:25]
	s_cbranch_execz .LBB935_68
.LBB935_92:
	s_waitcnt lgkmcnt(10)
	global_store_short v[0:1], v12, off offset:1664
	s_or_b64 exec, exec, s[0:1]
	s_and_saveexec_b64 s[0:1], s[26:27]
	s_cbranch_execz .LBB935_69
.LBB935_93:
	s_waitcnt lgkmcnt(9)
	global_store_short v[0:1], v11, off offset:1792
	s_or_b64 exec, exec, s[0:1]
	s_and_saveexec_b64 s[0:1], s[28:29]
	s_cbranch_execz .LBB935_70
.LBB935_94:
	s_waitcnt lgkmcnt(8)
	global_store_short v[0:1], v10, off offset:1920
	s_or_b64 exec, exec, s[0:1]
	s_and_saveexec_b64 s[0:1], s[30:31]
	s_cbranch_execz .LBB935_71
.LBB935_95:
	s_waitcnt lgkmcnt(7)
	global_store_short v[0:1], v9, off offset:2048
	s_or_b64 exec, exec, s[0:1]
	s_and_saveexec_b64 s[0:1], s[34:35]
	s_cbranch_execz .LBB935_72
.LBB935_96:
	s_waitcnt lgkmcnt(6)
	global_store_short v[0:1], v8, off offset:2176
	s_or_b64 exec, exec, s[0:1]
	s_and_saveexec_b64 s[0:1], s[36:37]
	s_cbranch_execz .LBB935_73
.LBB935_97:
	s_waitcnt lgkmcnt(5)
	global_store_short v[0:1], v7, off offset:2304
	s_or_b64 exec, exec, s[0:1]
	s_and_saveexec_b64 s[0:1], s[38:39]
	s_cbranch_execz .LBB935_74
.LBB935_98:
	s_waitcnt lgkmcnt(4)
	global_store_short v[0:1], v6, off offset:2432
	s_or_b64 exec, exec, s[0:1]
	s_and_saveexec_b64 s[0:1], s[40:41]
	s_cbranch_execz .LBB935_75
.LBB935_99:
	s_waitcnt lgkmcnt(3)
	global_store_short v[0:1], v5, off offset:2560
	s_or_b64 exec, exec, s[0:1]
	s_and_saveexec_b64 s[0:1], s[42:43]
	s_cbranch_execz .LBB935_76
.LBB935_100:
	s_waitcnt lgkmcnt(2)
	global_store_short v[0:1], v4, off offset:2688
	s_or_b64 exec, exec, s[0:1]
	s_and_saveexec_b64 s[0:1], s[44:45]
	s_cbranch_execz .LBB935_77
.LBB935_101:
	s_waitcnt lgkmcnt(1)
	global_store_short v[0:1], v3, off offset:2816
	s_or_b64 exec, exec, s[0:1]
	s_and_saveexec_b64 s[0:1], s[46:47]
	s_cbranch_execz .LBB935_78
.LBB935_102:
	s_waitcnt lgkmcnt(0)
	global_store_short v[0:1], v2, off offset:2944
	s_endpgm
	.section	.rodata,"a",@progbits
	.p2align	6, 0x0
	.amdhsa_kernel _ZN7rocprim17ROCPRIM_400000_NS6detail17trampoline_kernelINS0_14default_configENS1_20scan_config_selectorIsEEZZNS1_9scan_implILNS1_25lookback_scan_determinismE0ELb0ELb0ES3_N6thrust23THRUST_200600_302600_NS6detail15normal_iteratorINS9_10device_ptrIsEEEESE_sNS9_4plusIvEEsEEDaPvRmT3_T4_T5_mT6_P12ihipStream_tbENKUlT_T0_E_clISt17integral_constantIbLb1EEST_IbLb0EEEEDaSP_SQ_EUlSP_E0_NS1_11comp_targetILNS1_3genE4ELNS1_11target_archE910ELNS1_3gpuE8ELNS1_3repE0EEENS1_30default_config_static_selectorELNS0_4arch9wavefront6targetE1EEEvT1_
		.amdhsa_group_segment_fixed_size 3072
		.amdhsa_private_segment_fixed_size 0
		.amdhsa_kernarg_size 32
		.amdhsa_user_sgpr_count 6
		.amdhsa_user_sgpr_private_segment_buffer 1
		.amdhsa_user_sgpr_dispatch_ptr 0
		.amdhsa_user_sgpr_queue_ptr 0
		.amdhsa_user_sgpr_kernarg_segment_ptr 1
		.amdhsa_user_sgpr_dispatch_id 0
		.amdhsa_user_sgpr_flat_scratch_init 0
		.amdhsa_user_sgpr_kernarg_preload_length 0
		.amdhsa_user_sgpr_kernarg_preload_offset 0
		.amdhsa_user_sgpr_private_segment_size 0
		.amdhsa_uses_dynamic_stack 0
		.amdhsa_system_sgpr_private_segment_wavefront_offset 0
		.amdhsa_system_sgpr_workgroup_id_x 1
		.amdhsa_system_sgpr_workgroup_id_y 0
		.amdhsa_system_sgpr_workgroup_id_z 0
		.amdhsa_system_sgpr_workgroup_info 0
		.amdhsa_system_vgpr_workitem_id 0
		.amdhsa_next_free_vgpr 42
		.amdhsa_next_free_sgpr 56
		.amdhsa_accum_offset 44
		.amdhsa_reserve_vcc 1
		.amdhsa_reserve_flat_scratch 0
		.amdhsa_float_round_mode_32 0
		.amdhsa_float_round_mode_16_64 0
		.amdhsa_float_denorm_mode_32 3
		.amdhsa_float_denorm_mode_16_64 3
		.amdhsa_dx10_clamp 1
		.amdhsa_ieee_mode 1
		.amdhsa_fp16_overflow 0
		.amdhsa_tg_split 0
		.amdhsa_exception_fp_ieee_invalid_op 0
		.amdhsa_exception_fp_denorm_src 0
		.amdhsa_exception_fp_ieee_div_zero 0
		.amdhsa_exception_fp_ieee_overflow 0
		.amdhsa_exception_fp_ieee_underflow 0
		.amdhsa_exception_fp_ieee_inexact 0
		.amdhsa_exception_int_div_zero 0
	.end_amdhsa_kernel
	.section	.text._ZN7rocprim17ROCPRIM_400000_NS6detail17trampoline_kernelINS0_14default_configENS1_20scan_config_selectorIsEEZZNS1_9scan_implILNS1_25lookback_scan_determinismE0ELb0ELb0ES3_N6thrust23THRUST_200600_302600_NS6detail15normal_iteratorINS9_10device_ptrIsEEEESE_sNS9_4plusIvEEsEEDaPvRmT3_T4_T5_mT6_P12ihipStream_tbENKUlT_T0_E_clISt17integral_constantIbLb1EEST_IbLb0EEEEDaSP_SQ_EUlSP_E0_NS1_11comp_targetILNS1_3genE4ELNS1_11target_archE910ELNS1_3gpuE8ELNS1_3repE0EEENS1_30default_config_static_selectorELNS0_4arch9wavefront6targetE1EEEvT1_,"axG",@progbits,_ZN7rocprim17ROCPRIM_400000_NS6detail17trampoline_kernelINS0_14default_configENS1_20scan_config_selectorIsEEZZNS1_9scan_implILNS1_25lookback_scan_determinismE0ELb0ELb0ES3_N6thrust23THRUST_200600_302600_NS6detail15normal_iteratorINS9_10device_ptrIsEEEESE_sNS9_4plusIvEEsEEDaPvRmT3_T4_T5_mT6_P12ihipStream_tbENKUlT_T0_E_clISt17integral_constantIbLb1EEST_IbLb0EEEEDaSP_SQ_EUlSP_E0_NS1_11comp_targetILNS1_3genE4ELNS1_11target_archE910ELNS1_3gpuE8ELNS1_3repE0EEENS1_30default_config_static_selectorELNS0_4arch9wavefront6targetE1EEEvT1_,comdat
.Lfunc_end935:
	.size	_ZN7rocprim17ROCPRIM_400000_NS6detail17trampoline_kernelINS0_14default_configENS1_20scan_config_selectorIsEEZZNS1_9scan_implILNS1_25lookback_scan_determinismE0ELb0ELb0ES3_N6thrust23THRUST_200600_302600_NS6detail15normal_iteratorINS9_10device_ptrIsEEEESE_sNS9_4plusIvEEsEEDaPvRmT3_T4_T5_mT6_P12ihipStream_tbENKUlT_T0_E_clISt17integral_constantIbLb1EEST_IbLb0EEEEDaSP_SQ_EUlSP_E0_NS1_11comp_targetILNS1_3genE4ELNS1_11target_archE910ELNS1_3gpuE8ELNS1_3repE0EEENS1_30default_config_static_selectorELNS0_4arch9wavefront6targetE1EEEvT1_, .Lfunc_end935-_ZN7rocprim17ROCPRIM_400000_NS6detail17trampoline_kernelINS0_14default_configENS1_20scan_config_selectorIsEEZZNS1_9scan_implILNS1_25lookback_scan_determinismE0ELb0ELb0ES3_N6thrust23THRUST_200600_302600_NS6detail15normal_iteratorINS9_10device_ptrIsEEEESE_sNS9_4plusIvEEsEEDaPvRmT3_T4_T5_mT6_P12ihipStream_tbENKUlT_T0_E_clISt17integral_constantIbLb1EEST_IbLb0EEEEDaSP_SQ_EUlSP_E0_NS1_11comp_targetILNS1_3genE4ELNS1_11target_archE910ELNS1_3gpuE8ELNS1_3repE0EEENS1_30default_config_static_selectorELNS0_4arch9wavefront6targetE1EEEvT1_
                                        ; -- End function
	.section	.AMDGPU.csdata,"",@progbits
; Kernel info:
; codeLenInByte = 3068
; NumSgprs: 60
; NumVgprs: 42
; NumAgprs: 0
; TotalNumVgprs: 42
; ScratchSize: 0
; MemoryBound: 0
; FloatMode: 240
; IeeeMode: 1
; LDSByteSize: 3072 bytes/workgroup (compile time only)
; SGPRBlocks: 7
; VGPRBlocks: 5
; NumSGPRsForWavesPerEU: 60
; NumVGPRsForWavesPerEU: 42
; AccumOffset: 44
; Occupancy: 6
; WaveLimiterHint : 0
; COMPUTE_PGM_RSRC2:SCRATCH_EN: 0
; COMPUTE_PGM_RSRC2:USER_SGPR: 6
; COMPUTE_PGM_RSRC2:TRAP_HANDLER: 0
; COMPUTE_PGM_RSRC2:TGID_X_EN: 1
; COMPUTE_PGM_RSRC2:TGID_Y_EN: 0
; COMPUTE_PGM_RSRC2:TGID_Z_EN: 0
; COMPUTE_PGM_RSRC2:TIDIG_COMP_CNT: 0
; COMPUTE_PGM_RSRC3_GFX90A:ACCUM_OFFSET: 10
; COMPUTE_PGM_RSRC3_GFX90A:TG_SPLIT: 0
	.section	.text._ZN7rocprim17ROCPRIM_400000_NS6detail17trampoline_kernelINS0_14default_configENS1_20scan_config_selectorIsEEZZNS1_9scan_implILNS1_25lookback_scan_determinismE0ELb0ELb0ES3_N6thrust23THRUST_200600_302600_NS6detail15normal_iteratorINS9_10device_ptrIsEEEESE_sNS9_4plusIvEEsEEDaPvRmT3_T4_T5_mT6_P12ihipStream_tbENKUlT_T0_E_clISt17integral_constantIbLb1EEST_IbLb0EEEEDaSP_SQ_EUlSP_E0_NS1_11comp_targetILNS1_3genE3ELNS1_11target_archE908ELNS1_3gpuE7ELNS1_3repE0EEENS1_30default_config_static_selectorELNS0_4arch9wavefront6targetE1EEEvT1_,"axG",@progbits,_ZN7rocprim17ROCPRIM_400000_NS6detail17trampoline_kernelINS0_14default_configENS1_20scan_config_selectorIsEEZZNS1_9scan_implILNS1_25lookback_scan_determinismE0ELb0ELb0ES3_N6thrust23THRUST_200600_302600_NS6detail15normal_iteratorINS9_10device_ptrIsEEEESE_sNS9_4plusIvEEsEEDaPvRmT3_T4_T5_mT6_P12ihipStream_tbENKUlT_T0_E_clISt17integral_constantIbLb1EEST_IbLb0EEEEDaSP_SQ_EUlSP_E0_NS1_11comp_targetILNS1_3genE3ELNS1_11target_archE908ELNS1_3gpuE7ELNS1_3repE0EEENS1_30default_config_static_selectorELNS0_4arch9wavefront6targetE1EEEvT1_,comdat
	.protected	_ZN7rocprim17ROCPRIM_400000_NS6detail17trampoline_kernelINS0_14default_configENS1_20scan_config_selectorIsEEZZNS1_9scan_implILNS1_25lookback_scan_determinismE0ELb0ELb0ES3_N6thrust23THRUST_200600_302600_NS6detail15normal_iteratorINS9_10device_ptrIsEEEESE_sNS9_4plusIvEEsEEDaPvRmT3_T4_T5_mT6_P12ihipStream_tbENKUlT_T0_E_clISt17integral_constantIbLb1EEST_IbLb0EEEEDaSP_SQ_EUlSP_E0_NS1_11comp_targetILNS1_3genE3ELNS1_11target_archE908ELNS1_3gpuE7ELNS1_3repE0EEENS1_30default_config_static_selectorELNS0_4arch9wavefront6targetE1EEEvT1_ ; -- Begin function _ZN7rocprim17ROCPRIM_400000_NS6detail17trampoline_kernelINS0_14default_configENS1_20scan_config_selectorIsEEZZNS1_9scan_implILNS1_25lookback_scan_determinismE0ELb0ELb0ES3_N6thrust23THRUST_200600_302600_NS6detail15normal_iteratorINS9_10device_ptrIsEEEESE_sNS9_4plusIvEEsEEDaPvRmT3_T4_T5_mT6_P12ihipStream_tbENKUlT_T0_E_clISt17integral_constantIbLb1EEST_IbLb0EEEEDaSP_SQ_EUlSP_E0_NS1_11comp_targetILNS1_3genE3ELNS1_11target_archE908ELNS1_3gpuE7ELNS1_3repE0EEENS1_30default_config_static_selectorELNS0_4arch9wavefront6targetE1EEEvT1_
	.globl	_ZN7rocprim17ROCPRIM_400000_NS6detail17trampoline_kernelINS0_14default_configENS1_20scan_config_selectorIsEEZZNS1_9scan_implILNS1_25lookback_scan_determinismE0ELb0ELb0ES3_N6thrust23THRUST_200600_302600_NS6detail15normal_iteratorINS9_10device_ptrIsEEEESE_sNS9_4plusIvEEsEEDaPvRmT3_T4_T5_mT6_P12ihipStream_tbENKUlT_T0_E_clISt17integral_constantIbLb1EEST_IbLb0EEEEDaSP_SQ_EUlSP_E0_NS1_11comp_targetILNS1_3genE3ELNS1_11target_archE908ELNS1_3gpuE7ELNS1_3repE0EEENS1_30default_config_static_selectorELNS0_4arch9wavefront6targetE1EEEvT1_
	.p2align	8
	.type	_ZN7rocprim17ROCPRIM_400000_NS6detail17trampoline_kernelINS0_14default_configENS1_20scan_config_selectorIsEEZZNS1_9scan_implILNS1_25lookback_scan_determinismE0ELb0ELb0ES3_N6thrust23THRUST_200600_302600_NS6detail15normal_iteratorINS9_10device_ptrIsEEEESE_sNS9_4plusIvEEsEEDaPvRmT3_T4_T5_mT6_P12ihipStream_tbENKUlT_T0_E_clISt17integral_constantIbLb1EEST_IbLb0EEEEDaSP_SQ_EUlSP_E0_NS1_11comp_targetILNS1_3genE3ELNS1_11target_archE908ELNS1_3gpuE7ELNS1_3repE0EEENS1_30default_config_static_selectorELNS0_4arch9wavefront6targetE1EEEvT1_,@function
_ZN7rocprim17ROCPRIM_400000_NS6detail17trampoline_kernelINS0_14default_configENS1_20scan_config_selectorIsEEZZNS1_9scan_implILNS1_25lookback_scan_determinismE0ELb0ELb0ES3_N6thrust23THRUST_200600_302600_NS6detail15normal_iteratorINS9_10device_ptrIsEEEESE_sNS9_4plusIvEEsEEDaPvRmT3_T4_T5_mT6_P12ihipStream_tbENKUlT_T0_E_clISt17integral_constantIbLb1EEST_IbLb0EEEEDaSP_SQ_EUlSP_E0_NS1_11comp_targetILNS1_3genE3ELNS1_11target_archE908ELNS1_3gpuE7ELNS1_3repE0EEENS1_30default_config_static_selectorELNS0_4arch9wavefront6targetE1EEEvT1_: ; @_ZN7rocprim17ROCPRIM_400000_NS6detail17trampoline_kernelINS0_14default_configENS1_20scan_config_selectorIsEEZZNS1_9scan_implILNS1_25lookback_scan_determinismE0ELb0ELb0ES3_N6thrust23THRUST_200600_302600_NS6detail15normal_iteratorINS9_10device_ptrIsEEEESE_sNS9_4plusIvEEsEEDaPvRmT3_T4_T5_mT6_P12ihipStream_tbENKUlT_T0_E_clISt17integral_constantIbLb1EEST_IbLb0EEEEDaSP_SQ_EUlSP_E0_NS1_11comp_targetILNS1_3genE3ELNS1_11target_archE908ELNS1_3gpuE7ELNS1_3repE0EEENS1_30default_config_static_selectorELNS0_4arch9wavefront6targetE1EEEvT1_
; %bb.0:
	.section	.rodata,"a",@progbits
	.p2align	6, 0x0
	.amdhsa_kernel _ZN7rocprim17ROCPRIM_400000_NS6detail17trampoline_kernelINS0_14default_configENS1_20scan_config_selectorIsEEZZNS1_9scan_implILNS1_25lookback_scan_determinismE0ELb0ELb0ES3_N6thrust23THRUST_200600_302600_NS6detail15normal_iteratorINS9_10device_ptrIsEEEESE_sNS9_4plusIvEEsEEDaPvRmT3_T4_T5_mT6_P12ihipStream_tbENKUlT_T0_E_clISt17integral_constantIbLb1EEST_IbLb0EEEEDaSP_SQ_EUlSP_E0_NS1_11comp_targetILNS1_3genE3ELNS1_11target_archE908ELNS1_3gpuE7ELNS1_3repE0EEENS1_30default_config_static_selectorELNS0_4arch9wavefront6targetE1EEEvT1_
		.amdhsa_group_segment_fixed_size 0
		.amdhsa_private_segment_fixed_size 0
		.amdhsa_kernarg_size 32
		.amdhsa_user_sgpr_count 6
		.amdhsa_user_sgpr_private_segment_buffer 1
		.amdhsa_user_sgpr_dispatch_ptr 0
		.amdhsa_user_sgpr_queue_ptr 0
		.amdhsa_user_sgpr_kernarg_segment_ptr 1
		.amdhsa_user_sgpr_dispatch_id 0
		.amdhsa_user_sgpr_flat_scratch_init 0
		.amdhsa_user_sgpr_kernarg_preload_length 0
		.amdhsa_user_sgpr_kernarg_preload_offset 0
		.amdhsa_user_sgpr_private_segment_size 0
		.amdhsa_uses_dynamic_stack 0
		.amdhsa_system_sgpr_private_segment_wavefront_offset 0
		.amdhsa_system_sgpr_workgroup_id_x 1
		.amdhsa_system_sgpr_workgroup_id_y 0
		.amdhsa_system_sgpr_workgroup_id_z 0
		.amdhsa_system_sgpr_workgroup_info 0
		.amdhsa_system_vgpr_workitem_id 0
		.amdhsa_next_free_vgpr 1
		.amdhsa_next_free_sgpr 0
		.amdhsa_accum_offset 4
		.amdhsa_reserve_vcc 0
		.amdhsa_reserve_flat_scratch 0
		.amdhsa_float_round_mode_32 0
		.amdhsa_float_round_mode_16_64 0
		.amdhsa_float_denorm_mode_32 3
		.amdhsa_float_denorm_mode_16_64 3
		.amdhsa_dx10_clamp 1
		.amdhsa_ieee_mode 1
		.amdhsa_fp16_overflow 0
		.amdhsa_tg_split 0
		.amdhsa_exception_fp_ieee_invalid_op 0
		.amdhsa_exception_fp_denorm_src 0
		.amdhsa_exception_fp_ieee_div_zero 0
		.amdhsa_exception_fp_ieee_overflow 0
		.amdhsa_exception_fp_ieee_underflow 0
		.amdhsa_exception_fp_ieee_inexact 0
		.amdhsa_exception_int_div_zero 0
	.end_amdhsa_kernel
	.section	.text._ZN7rocprim17ROCPRIM_400000_NS6detail17trampoline_kernelINS0_14default_configENS1_20scan_config_selectorIsEEZZNS1_9scan_implILNS1_25lookback_scan_determinismE0ELb0ELb0ES3_N6thrust23THRUST_200600_302600_NS6detail15normal_iteratorINS9_10device_ptrIsEEEESE_sNS9_4plusIvEEsEEDaPvRmT3_T4_T5_mT6_P12ihipStream_tbENKUlT_T0_E_clISt17integral_constantIbLb1EEST_IbLb0EEEEDaSP_SQ_EUlSP_E0_NS1_11comp_targetILNS1_3genE3ELNS1_11target_archE908ELNS1_3gpuE7ELNS1_3repE0EEENS1_30default_config_static_selectorELNS0_4arch9wavefront6targetE1EEEvT1_,"axG",@progbits,_ZN7rocprim17ROCPRIM_400000_NS6detail17trampoline_kernelINS0_14default_configENS1_20scan_config_selectorIsEEZZNS1_9scan_implILNS1_25lookback_scan_determinismE0ELb0ELb0ES3_N6thrust23THRUST_200600_302600_NS6detail15normal_iteratorINS9_10device_ptrIsEEEESE_sNS9_4plusIvEEsEEDaPvRmT3_T4_T5_mT6_P12ihipStream_tbENKUlT_T0_E_clISt17integral_constantIbLb1EEST_IbLb0EEEEDaSP_SQ_EUlSP_E0_NS1_11comp_targetILNS1_3genE3ELNS1_11target_archE908ELNS1_3gpuE7ELNS1_3repE0EEENS1_30default_config_static_selectorELNS0_4arch9wavefront6targetE1EEEvT1_,comdat
.Lfunc_end936:
	.size	_ZN7rocprim17ROCPRIM_400000_NS6detail17trampoline_kernelINS0_14default_configENS1_20scan_config_selectorIsEEZZNS1_9scan_implILNS1_25lookback_scan_determinismE0ELb0ELb0ES3_N6thrust23THRUST_200600_302600_NS6detail15normal_iteratorINS9_10device_ptrIsEEEESE_sNS9_4plusIvEEsEEDaPvRmT3_T4_T5_mT6_P12ihipStream_tbENKUlT_T0_E_clISt17integral_constantIbLb1EEST_IbLb0EEEEDaSP_SQ_EUlSP_E0_NS1_11comp_targetILNS1_3genE3ELNS1_11target_archE908ELNS1_3gpuE7ELNS1_3repE0EEENS1_30default_config_static_selectorELNS0_4arch9wavefront6targetE1EEEvT1_, .Lfunc_end936-_ZN7rocprim17ROCPRIM_400000_NS6detail17trampoline_kernelINS0_14default_configENS1_20scan_config_selectorIsEEZZNS1_9scan_implILNS1_25lookback_scan_determinismE0ELb0ELb0ES3_N6thrust23THRUST_200600_302600_NS6detail15normal_iteratorINS9_10device_ptrIsEEEESE_sNS9_4plusIvEEsEEDaPvRmT3_T4_T5_mT6_P12ihipStream_tbENKUlT_T0_E_clISt17integral_constantIbLb1EEST_IbLb0EEEEDaSP_SQ_EUlSP_E0_NS1_11comp_targetILNS1_3genE3ELNS1_11target_archE908ELNS1_3gpuE7ELNS1_3repE0EEENS1_30default_config_static_selectorELNS0_4arch9wavefront6targetE1EEEvT1_
                                        ; -- End function
	.section	.AMDGPU.csdata,"",@progbits
; Kernel info:
; codeLenInByte = 0
; NumSgprs: 4
; NumVgprs: 0
; NumAgprs: 0
; TotalNumVgprs: 0
; ScratchSize: 0
; MemoryBound: 0
; FloatMode: 240
; IeeeMode: 1
; LDSByteSize: 0 bytes/workgroup (compile time only)
; SGPRBlocks: 0
; VGPRBlocks: 0
; NumSGPRsForWavesPerEU: 4
; NumVGPRsForWavesPerEU: 1
; AccumOffset: 4
; Occupancy: 8
; WaveLimiterHint : 0
; COMPUTE_PGM_RSRC2:SCRATCH_EN: 0
; COMPUTE_PGM_RSRC2:USER_SGPR: 6
; COMPUTE_PGM_RSRC2:TRAP_HANDLER: 0
; COMPUTE_PGM_RSRC2:TGID_X_EN: 1
; COMPUTE_PGM_RSRC2:TGID_Y_EN: 0
; COMPUTE_PGM_RSRC2:TGID_Z_EN: 0
; COMPUTE_PGM_RSRC2:TIDIG_COMP_CNT: 0
; COMPUTE_PGM_RSRC3_GFX90A:ACCUM_OFFSET: 0
; COMPUTE_PGM_RSRC3_GFX90A:TG_SPLIT: 0
	.section	.text._ZN7rocprim17ROCPRIM_400000_NS6detail17trampoline_kernelINS0_14default_configENS1_20scan_config_selectorIsEEZZNS1_9scan_implILNS1_25lookback_scan_determinismE0ELb0ELb0ES3_N6thrust23THRUST_200600_302600_NS6detail15normal_iteratorINS9_10device_ptrIsEEEESE_sNS9_4plusIvEEsEEDaPvRmT3_T4_T5_mT6_P12ihipStream_tbENKUlT_T0_E_clISt17integral_constantIbLb1EEST_IbLb0EEEEDaSP_SQ_EUlSP_E0_NS1_11comp_targetILNS1_3genE2ELNS1_11target_archE906ELNS1_3gpuE6ELNS1_3repE0EEENS1_30default_config_static_selectorELNS0_4arch9wavefront6targetE1EEEvT1_,"axG",@progbits,_ZN7rocprim17ROCPRIM_400000_NS6detail17trampoline_kernelINS0_14default_configENS1_20scan_config_selectorIsEEZZNS1_9scan_implILNS1_25lookback_scan_determinismE0ELb0ELb0ES3_N6thrust23THRUST_200600_302600_NS6detail15normal_iteratorINS9_10device_ptrIsEEEESE_sNS9_4plusIvEEsEEDaPvRmT3_T4_T5_mT6_P12ihipStream_tbENKUlT_T0_E_clISt17integral_constantIbLb1EEST_IbLb0EEEEDaSP_SQ_EUlSP_E0_NS1_11comp_targetILNS1_3genE2ELNS1_11target_archE906ELNS1_3gpuE6ELNS1_3repE0EEENS1_30default_config_static_selectorELNS0_4arch9wavefront6targetE1EEEvT1_,comdat
	.protected	_ZN7rocprim17ROCPRIM_400000_NS6detail17trampoline_kernelINS0_14default_configENS1_20scan_config_selectorIsEEZZNS1_9scan_implILNS1_25lookback_scan_determinismE0ELb0ELb0ES3_N6thrust23THRUST_200600_302600_NS6detail15normal_iteratorINS9_10device_ptrIsEEEESE_sNS9_4plusIvEEsEEDaPvRmT3_T4_T5_mT6_P12ihipStream_tbENKUlT_T0_E_clISt17integral_constantIbLb1EEST_IbLb0EEEEDaSP_SQ_EUlSP_E0_NS1_11comp_targetILNS1_3genE2ELNS1_11target_archE906ELNS1_3gpuE6ELNS1_3repE0EEENS1_30default_config_static_selectorELNS0_4arch9wavefront6targetE1EEEvT1_ ; -- Begin function _ZN7rocprim17ROCPRIM_400000_NS6detail17trampoline_kernelINS0_14default_configENS1_20scan_config_selectorIsEEZZNS1_9scan_implILNS1_25lookback_scan_determinismE0ELb0ELb0ES3_N6thrust23THRUST_200600_302600_NS6detail15normal_iteratorINS9_10device_ptrIsEEEESE_sNS9_4plusIvEEsEEDaPvRmT3_T4_T5_mT6_P12ihipStream_tbENKUlT_T0_E_clISt17integral_constantIbLb1EEST_IbLb0EEEEDaSP_SQ_EUlSP_E0_NS1_11comp_targetILNS1_3genE2ELNS1_11target_archE906ELNS1_3gpuE6ELNS1_3repE0EEENS1_30default_config_static_selectorELNS0_4arch9wavefront6targetE1EEEvT1_
	.globl	_ZN7rocprim17ROCPRIM_400000_NS6detail17trampoline_kernelINS0_14default_configENS1_20scan_config_selectorIsEEZZNS1_9scan_implILNS1_25lookback_scan_determinismE0ELb0ELb0ES3_N6thrust23THRUST_200600_302600_NS6detail15normal_iteratorINS9_10device_ptrIsEEEESE_sNS9_4plusIvEEsEEDaPvRmT3_T4_T5_mT6_P12ihipStream_tbENKUlT_T0_E_clISt17integral_constantIbLb1EEST_IbLb0EEEEDaSP_SQ_EUlSP_E0_NS1_11comp_targetILNS1_3genE2ELNS1_11target_archE906ELNS1_3gpuE6ELNS1_3repE0EEENS1_30default_config_static_selectorELNS0_4arch9wavefront6targetE1EEEvT1_
	.p2align	8
	.type	_ZN7rocprim17ROCPRIM_400000_NS6detail17trampoline_kernelINS0_14default_configENS1_20scan_config_selectorIsEEZZNS1_9scan_implILNS1_25lookback_scan_determinismE0ELb0ELb0ES3_N6thrust23THRUST_200600_302600_NS6detail15normal_iteratorINS9_10device_ptrIsEEEESE_sNS9_4plusIvEEsEEDaPvRmT3_T4_T5_mT6_P12ihipStream_tbENKUlT_T0_E_clISt17integral_constantIbLb1EEST_IbLb0EEEEDaSP_SQ_EUlSP_E0_NS1_11comp_targetILNS1_3genE2ELNS1_11target_archE906ELNS1_3gpuE6ELNS1_3repE0EEENS1_30default_config_static_selectorELNS0_4arch9wavefront6targetE1EEEvT1_,@function
_ZN7rocprim17ROCPRIM_400000_NS6detail17trampoline_kernelINS0_14default_configENS1_20scan_config_selectorIsEEZZNS1_9scan_implILNS1_25lookback_scan_determinismE0ELb0ELb0ES3_N6thrust23THRUST_200600_302600_NS6detail15normal_iteratorINS9_10device_ptrIsEEEESE_sNS9_4plusIvEEsEEDaPvRmT3_T4_T5_mT6_P12ihipStream_tbENKUlT_T0_E_clISt17integral_constantIbLb1EEST_IbLb0EEEEDaSP_SQ_EUlSP_E0_NS1_11comp_targetILNS1_3genE2ELNS1_11target_archE906ELNS1_3gpuE6ELNS1_3repE0EEENS1_30default_config_static_selectorELNS0_4arch9wavefront6targetE1EEEvT1_: ; @_ZN7rocprim17ROCPRIM_400000_NS6detail17trampoline_kernelINS0_14default_configENS1_20scan_config_selectorIsEEZZNS1_9scan_implILNS1_25lookback_scan_determinismE0ELb0ELb0ES3_N6thrust23THRUST_200600_302600_NS6detail15normal_iteratorINS9_10device_ptrIsEEEESE_sNS9_4plusIvEEsEEDaPvRmT3_T4_T5_mT6_P12ihipStream_tbENKUlT_T0_E_clISt17integral_constantIbLb1EEST_IbLb0EEEEDaSP_SQ_EUlSP_E0_NS1_11comp_targetILNS1_3genE2ELNS1_11target_archE906ELNS1_3gpuE6ELNS1_3repE0EEENS1_30default_config_static_selectorELNS0_4arch9wavefront6targetE1EEEvT1_
; %bb.0:
	.section	.rodata,"a",@progbits
	.p2align	6, 0x0
	.amdhsa_kernel _ZN7rocprim17ROCPRIM_400000_NS6detail17trampoline_kernelINS0_14default_configENS1_20scan_config_selectorIsEEZZNS1_9scan_implILNS1_25lookback_scan_determinismE0ELb0ELb0ES3_N6thrust23THRUST_200600_302600_NS6detail15normal_iteratorINS9_10device_ptrIsEEEESE_sNS9_4plusIvEEsEEDaPvRmT3_T4_T5_mT6_P12ihipStream_tbENKUlT_T0_E_clISt17integral_constantIbLb1EEST_IbLb0EEEEDaSP_SQ_EUlSP_E0_NS1_11comp_targetILNS1_3genE2ELNS1_11target_archE906ELNS1_3gpuE6ELNS1_3repE0EEENS1_30default_config_static_selectorELNS0_4arch9wavefront6targetE1EEEvT1_
		.amdhsa_group_segment_fixed_size 0
		.amdhsa_private_segment_fixed_size 0
		.amdhsa_kernarg_size 32
		.amdhsa_user_sgpr_count 6
		.amdhsa_user_sgpr_private_segment_buffer 1
		.amdhsa_user_sgpr_dispatch_ptr 0
		.amdhsa_user_sgpr_queue_ptr 0
		.amdhsa_user_sgpr_kernarg_segment_ptr 1
		.amdhsa_user_sgpr_dispatch_id 0
		.amdhsa_user_sgpr_flat_scratch_init 0
		.amdhsa_user_sgpr_kernarg_preload_length 0
		.amdhsa_user_sgpr_kernarg_preload_offset 0
		.amdhsa_user_sgpr_private_segment_size 0
		.amdhsa_uses_dynamic_stack 0
		.amdhsa_system_sgpr_private_segment_wavefront_offset 0
		.amdhsa_system_sgpr_workgroup_id_x 1
		.amdhsa_system_sgpr_workgroup_id_y 0
		.amdhsa_system_sgpr_workgroup_id_z 0
		.amdhsa_system_sgpr_workgroup_info 0
		.amdhsa_system_vgpr_workitem_id 0
		.amdhsa_next_free_vgpr 1
		.amdhsa_next_free_sgpr 0
		.amdhsa_accum_offset 4
		.amdhsa_reserve_vcc 0
		.amdhsa_reserve_flat_scratch 0
		.amdhsa_float_round_mode_32 0
		.amdhsa_float_round_mode_16_64 0
		.amdhsa_float_denorm_mode_32 3
		.amdhsa_float_denorm_mode_16_64 3
		.amdhsa_dx10_clamp 1
		.amdhsa_ieee_mode 1
		.amdhsa_fp16_overflow 0
		.amdhsa_tg_split 0
		.amdhsa_exception_fp_ieee_invalid_op 0
		.amdhsa_exception_fp_denorm_src 0
		.amdhsa_exception_fp_ieee_div_zero 0
		.amdhsa_exception_fp_ieee_overflow 0
		.amdhsa_exception_fp_ieee_underflow 0
		.amdhsa_exception_fp_ieee_inexact 0
		.amdhsa_exception_int_div_zero 0
	.end_amdhsa_kernel
	.section	.text._ZN7rocprim17ROCPRIM_400000_NS6detail17trampoline_kernelINS0_14default_configENS1_20scan_config_selectorIsEEZZNS1_9scan_implILNS1_25lookback_scan_determinismE0ELb0ELb0ES3_N6thrust23THRUST_200600_302600_NS6detail15normal_iteratorINS9_10device_ptrIsEEEESE_sNS9_4plusIvEEsEEDaPvRmT3_T4_T5_mT6_P12ihipStream_tbENKUlT_T0_E_clISt17integral_constantIbLb1EEST_IbLb0EEEEDaSP_SQ_EUlSP_E0_NS1_11comp_targetILNS1_3genE2ELNS1_11target_archE906ELNS1_3gpuE6ELNS1_3repE0EEENS1_30default_config_static_selectorELNS0_4arch9wavefront6targetE1EEEvT1_,"axG",@progbits,_ZN7rocprim17ROCPRIM_400000_NS6detail17trampoline_kernelINS0_14default_configENS1_20scan_config_selectorIsEEZZNS1_9scan_implILNS1_25lookback_scan_determinismE0ELb0ELb0ES3_N6thrust23THRUST_200600_302600_NS6detail15normal_iteratorINS9_10device_ptrIsEEEESE_sNS9_4plusIvEEsEEDaPvRmT3_T4_T5_mT6_P12ihipStream_tbENKUlT_T0_E_clISt17integral_constantIbLb1EEST_IbLb0EEEEDaSP_SQ_EUlSP_E0_NS1_11comp_targetILNS1_3genE2ELNS1_11target_archE906ELNS1_3gpuE6ELNS1_3repE0EEENS1_30default_config_static_selectorELNS0_4arch9wavefront6targetE1EEEvT1_,comdat
.Lfunc_end937:
	.size	_ZN7rocprim17ROCPRIM_400000_NS6detail17trampoline_kernelINS0_14default_configENS1_20scan_config_selectorIsEEZZNS1_9scan_implILNS1_25lookback_scan_determinismE0ELb0ELb0ES3_N6thrust23THRUST_200600_302600_NS6detail15normal_iteratorINS9_10device_ptrIsEEEESE_sNS9_4plusIvEEsEEDaPvRmT3_T4_T5_mT6_P12ihipStream_tbENKUlT_T0_E_clISt17integral_constantIbLb1EEST_IbLb0EEEEDaSP_SQ_EUlSP_E0_NS1_11comp_targetILNS1_3genE2ELNS1_11target_archE906ELNS1_3gpuE6ELNS1_3repE0EEENS1_30default_config_static_selectorELNS0_4arch9wavefront6targetE1EEEvT1_, .Lfunc_end937-_ZN7rocprim17ROCPRIM_400000_NS6detail17trampoline_kernelINS0_14default_configENS1_20scan_config_selectorIsEEZZNS1_9scan_implILNS1_25lookback_scan_determinismE0ELb0ELb0ES3_N6thrust23THRUST_200600_302600_NS6detail15normal_iteratorINS9_10device_ptrIsEEEESE_sNS9_4plusIvEEsEEDaPvRmT3_T4_T5_mT6_P12ihipStream_tbENKUlT_T0_E_clISt17integral_constantIbLb1EEST_IbLb0EEEEDaSP_SQ_EUlSP_E0_NS1_11comp_targetILNS1_3genE2ELNS1_11target_archE906ELNS1_3gpuE6ELNS1_3repE0EEENS1_30default_config_static_selectorELNS0_4arch9wavefront6targetE1EEEvT1_
                                        ; -- End function
	.section	.AMDGPU.csdata,"",@progbits
; Kernel info:
; codeLenInByte = 0
; NumSgprs: 4
; NumVgprs: 0
; NumAgprs: 0
; TotalNumVgprs: 0
; ScratchSize: 0
; MemoryBound: 0
; FloatMode: 240
; IeeeMode: 1
; LDSByteSize: 0 bytes/workgroup (compile time only)
; SGPRBlocks: 0
; VGPRBlocks: 0
; NumSGPRsForWavesPerEU: 4
; NumVGPRsForWavesPerEU: 1
; AccumOffset: 4
; Occupancy: 8
; WaveLimiterHint : 0
; COMPUTE_PGM_RSRC2:SCRATCH_EN: 0
; COMPUTE_PGM_RSRC2:USER_SGPR: 6
; COMPUTE_PGM_RSRC2:TRAP_HANDLER: 0
; COMPUTE_PGM_RSRC2:TGID_X_EN: 1
; COMPUTE_PGM_RSRC2:TGID_Y_EN: 0
; COMPUTE_PGM_RSRC2:TGID_Z_EN: 0
; COMPUTE_PGM_RSRC2:TIDIG_COMP_CNT: 0
; COMPUTE_PGM_RSRC3_GFX90A:ACCUM_OFFSET: 0
; COMPUTE_PGM_RSRC3_GFX90A:TG_SPLIT: 0
	.section	.text._ZN7rocprim17ROCPRIM_400000_NS6detail17trampoline_kernelINS0_14default_configENS1_20scan_config_selectorIsEEZZNS1_9scan_implILNS1_25lookback_scan_determinismE0ELb0ELb0ES3_N6thrust23THRUST_200600_302600_NS6detail15normal_iteratorINS9_10device_ptrIsEEEESE_sNS9_4plusIvEEsEEDaPvRmT3_T4_T5_mT6_P12ihipStream_tbENKUlT_T0_E_clISt17integral_constantIbLb1EEST_IbLb0EEEEDaSP_SQ_EUlSP_E0_NS1_11comp_targetILNS1_3genE10ELNS1_11target_archE1201ELNS1_3gpuE5ELNS1_3repE0EEENS1_30default_config_static_selectorELNS0_4arch9wavefront6targetE1EEEvT1_,"axG",@progbits,_ZN7rocprim17ROCPRIM_400000_NS6detail17trampoline_kernelINS0_14default_configENS1_20scan_config_selectorIsEEZZNS1_9scan_implILNS1_25lookback_scan_determinismE0ELb0ELb0ES3_N6thrust23THRUST_200600_302600_NS6detail15normal_iteratorINS9_10device_ptrIsEEEESE_sNS9_4plusIvEEsEEDaPvRmT3_T4_T5_mT6_P12ihipStream_tbENKUlT_T0_E_clISt17integral_constantIbLb1EEST_IbLb0EEEEDaSP_SQ_EUlSP_E0_NS1_11comp_targetILNS1_3genE10ELNS1_11target_archE1201ELNS1_3gpuE5ELNS1_3repE0EEENS1_30default_config_static_selectorELNS0_4arch9wavefront6targetE1EEEvT1_,comdat
	.protected	_ZN7rocprim17ROCPRIM_400000_NS6detail17trampoline_kernelINS0_14default_configENS1_20scan_config_selectorIsEEZZNS1_9scan_implILNS1_25lookback_scan_determinismE0ELb0ELb0ES3_N6thrust23THRUST_200600_302600_NS6detail15normal_iteratorINS9_10device_ptrIsEEEESE_sNS9_4plusIvEEsEEDaPvRmT3_T4_T5_mT6_P12ihipStream_tbENKUlT_T0_E_clISt17integral_constantIbLb1EEST_IbLb0EEEEDaSP_SQ_EUlSP_E0_NS1_11comp_targetILNS1_3genE10ELNS1_11target_archE1201ELNS1_3gpuE5ELNS1_3repE0EEENS1_30default_config_static_selectorELNS0_4arch9wavefront6targetE1EEEvT1_ ; -- Begin function _ZN7rocprim17ROCPRIM_400000_NS6detail17trampoline_kernelINS0_14default_configENS1_20scan_config_selectorIsEEZZNS1_9scan_implILNS1_25lookback_scan_determinismE0ELb0ELb0ES3_N6thrust23THRUST_200600_302600_NS6detail15normal_iteratorINS9_10device_ptrIsEEEESE_sNS9_4plusIvEEsEEDaPvRmT3_T4_T5_mT6_P12ihipStream_tbENKUlT_T0_E_clISt17integral_constantIbLb1EEST_IbLb0EEEEDaSP_SQ_EUlSP_E0_NS1_11comp_targetILNS1_3genE10ELNS1_11target_archE1201ELNS1_3gpuE5ELNS1_3repE0EEENS1_30default_config_static_selectorELNS0_4arch9wavefront6targetE1EEEvT1_
	.globl	_ZN7rocprim17ROCPRIM_400000_NS6detail17trampoline_kernelINS0_14default_configENS1_20scan_config_selectorIsEEZZNS1_9scan_implILNS1_25lookback_scan_determinismE0ELb0ELb0ES3_N6thrust23THRUST_200600_302600_NS6detail15normal_iteratorINS9_10device_ptrIsEEEESE_sNS9_4plusIvEEsEEDaPvRmT3_T4_T5_mT6_P12ihipStream_tbENKUlT_T0_E_clISt17integral_constantIbLb1EEST_IbLb0EEEEDaSP_SQ_EUlSP_E0_NS1_11comp_targetILNS1_3genE10ELNS1_11target_archE1201ELNS1_3gpuE5ELNS1_3repE0EEENS1_30default_config_static_selectorELNS0_4arch9wavefront6targetE1EEEvT1_
	.p2align	8
	.type	_ZN7rocprim17ROCPRIM_400000_NS6detail17trampoline_kernelINS0_14default_configENS1_20scan_config_selectorIsEEZZNS1_9scan_implILNS1_25lookback_scan_determinismE0ELb0ELb0ES3_N6thrust23THRUST_200600_302600_NS6detail15normal_iteratorINS9_10device_ptrIsEEEESE_sNS9_4plusIvEEsEEDaPvRmT3_T4_T5_mT6_P12ihipStream_tbENKUlT_T0_E_clISt17integral_constantIbLb1EEST_IbLb0EEEEDaSP_SQ_EUlSP_E0_NS1_11comp_targetILNS1_3genE10ELNS1_11target_archE1201ELNS1_3gpuE5ELNS1_3repE0EEENS1_30default_config_static_selectorELNS0_4arch9wavefront6targetE1EEEvT1_,@function
_ZN7rocprim17ROCPRIM_400000_NS6detail17trampoline_kernelINS0_14default_configENS1_20scan_config_selectorIsEEZZNS1_9scan_implILNS1_25lookback_scan_determinismE0ELb0ELb0ES3_N6thrust23THRUST_200600_302600_NS6detail15normal_iteratorINS9_10device_ptrIsEEEESE_sNS9_4plusIvEEsEEDaPvRmT3_T4_T5_mT6_P12ihipStream_tbENKUlT_T0_E_clISt17integral_constantIbLb1EEST_IbLb0EEEEDaSP_SQ_EUlSP_E0_NS1_11comp_targetILNS1_3genE10ELNS1_11target_archE1201ELNS1_3gpuE5ELNS1_3repE0EEENS1_30default_config_static_selectorELNS0_4arch9wavefront6targetE1EEEvT1_: ; @_ZN7rocprim17ROCPRIM_400000_NS6detail17trampoline_kernelINS0_14default_configENS1_20scan_config_selectorIsEEZZNS1_9scan_implILNS1_25lookback_scan_determinismE0ELb0ELb0ES3_N6thrust23THRUST_200600_302600_NS6detail15normal_iteratorINS9_10device_ptrIsEEEESE_sNS9_4plusIvEEsEEDaPvRmT3_T4_T5_mT6_P12ihipStream_tbENKUlT_T0_E_clISt17integral_constantIbLb1EEST_IbLb0EEEEDaSP_SQ_EUlSP_E0_NS1_11comp_targetILNS1_3genE10ELNS1_11target_archE1201ELNS1_3gpuE5ELNS1_3repE0EEENS1_30default_config_static_selectorELNS0_4arch9wavefront6targetE1EEEvT1_
; %bb.0:
	.section	.rodata,"a",@progbits
	.p2align	6, 0x0
	.amdhsa_kernel _ZN7rocprim17ROCPRIM_400000_NS6detail17trampoline_kernelINS0_14default_configENS1_20scan_config_selectorIsEEZZNS1_9scan_implILNS1_25lookback_scan_determinismE0ELb0ELb0ES3_N6thrust23THRUST_200600_302600_NS6detail15normal_iteratorINS9_10device_ptrIsEEEESE_sNS9_4plusIvEEsEEDaPvRmT3_T4_T5_mT6_P12ihipStream_tbENKUlT_T0_E_clISt17integral_constantIbLb1EEST_IbLb0EEEEDaSP_SQ_EUlSP_E0_NS1_11comp_targetILNS1_3genE10ELNS1_11target_archE1201ELNS1_3gpuE5ELNS1_3repE0EEENS1_30default_config_static_selectorELNS0_4arch9wavefront6targetE1EEEvT1_
		.amdhsa_group_segment_fixed_size 0
		.amdhsa_private_segment_fixed_size 0
		.amdhsa_kernarg_size 32
		.amdhsa_user_sgpr_count 6
		.amdhsa_user_sgpr_private_segment_buffer 1
		.amdhsa_user_sgpr_dispatch_ptr 0
		.amdhsa_user_sgpr_queue_ptr 0
		.amdhsa_user_sgpr_kernarg_segment_ptr 1
		.amdhsa_user_sgpr_dispatch_id 0
		.amdhsa_user_sgpr_flat_scratch_init 0
		.amdhsa_user_sgpr_kernarg_preload_length 0
		.amdhsa_user_sgpr_kernarg_preload_offset 0
		.amdhsa_user_sgpr_private_segment_size 0
		.amdhsa_uses_dynamic_stack 0
		.amdhsa_system_sgpr_private_segment_wavefront_offset 0
		.amdhsa_system_sgpr_workgroup_id_x 1
		.amdhsa_system_sgpr_workgroup_id_y 0
		.amdhsa_system_sgpr_workgroup_id_z 0
		.amdhsa_system_sgpr_workgroup_info 0
		.amdhsa_system_vgpr_workitem_id 0
		.amdhsa_next_free_vgpr 1
		.amdhsa_next_free_sgpr 0
		.amdhsa_accum_offset 4
		.amdhsa_reserve_vcc 0
		.amdhsa_reserve_flat_scratch 0
		.amdhsa_float_round_mode_32 0
		.amdhsa_float_round_mode_16_64 0
		.amdhsa_float_denorm_mode_32 3
		.amdhsa_float_denorm_mode_16_64 3
		.amdhsa_dx10_clamp 1
		.amdhsa_ieee_mode 1
		.amdhsa_fp16_overflow 0
		.amdhsa_tg_split 0
		.amdhsa_exception_fp_ieee_invalid_op 0
		.amdhsa_exception_fp_denorm_src 0
		.amdhsa_exception_fp_ieee_div_zero 0
		.amdhsa_exception_fp_ieee_overflow 0
		.amdhsa_exception_fp_ieee_underflow 0
		.amdhsa_exception_fp_ieee_inexact 0
		.amdhsa_exception_int_div_zero 0
	.end_amdhsa_kernel
	.section	.text._ZN7rocprim17ROCPRIM_400000_NS6detail17trampoline_kernelINS0_14default_configENS1_20scan_config_selectorIsEEZZNS1_9scan_implILNS1_25lookback_scan_determinismE0ELb0ELb0ES3_N6thrust23THRUST_200600_302600_NS6detail15normal_iteratorINS9_10device_ptrIsEEEESE_sNS9_4plusIvEEsEEDaPvRmT3_T4_T5_mT6_P12ihipStream_tbENKUlT_T0_E_clISt17integral_constantIbLb1EEST_IbLb0EEEEDaSP_SQ_EUlSP_E0_NS1_11comp_targetILNS1_3genE10ELNS1_11target_archE1201ELNS1_3gpuE5ELNS1_3repE0EEENS1_30default_config_static_selectorELNS0_4arch9wavefront6targetE1EEEvT1_,"axG",@progbits,_ZN7rocprim17ROCPRIM_400000_NS6detail17trampoline_kernelINS0_14default_configENS1_20scan_config_selectorIsEEZZNS1_9scan_implILNS1_25lookback_scan_determinismE0ELb0ELb0ES3_N6thrust23THRUST_200600_302600_NS6detail15normal_iteratorINS9_10device_ptrIsEEEESE_sNS9_4plusIvEEsEEDaPvRmT3_T4_T5_mT6_P12ihipStream_tbENKUlT_T0_E_clISt17integral_constantIbLb1EEST_IbLb0EEEEDaSP_SQ_EUlSP_E0_NS1_11comp_targetILNS1_3genE10ELNS1_11target_archE1201ELNS1_3gpuE5ELNS1_3repE0EEENS1_30default_config_static_selectorELNS0_4arch9wavefront6targetE1EEEvT1_,comdat
.Lfunc_end938:
	.size	_ZN7rocprim17ROCPRIM_400000_NS6detail17trampoline_kernelINS0_14default_configENS1_20scan_config_selectorIsEEZZNS1_9scan_implILNS1_25lookback_scan_determinismE0ELb0ELb0ES3_N6thrust23THRUST_200600_302600_NS6detail15normal_iteratorINS9_10device_ptrIsEEEESE_sNS9_4plusIvEEsEEDaPvRmT3_T4_T5_mT6_P12ihipStream_tbENKUlT_T0_E_clISt17integral_constantIbLb1EEST_IbLb0EEEEDaSP_SQ_EUlSP_E0_NS1_11comp_targetILNS1_3genE10ELNS1_11target_archE1201ELNS1_3gpuE5ELNS1_3repE0EEENS1_30default_config_static_selectorELNS0_4arch9wavefront6targetE1EEEvT1_, .Lfunc_end938-_ZN7rocprim17ROCPRIM_400000_NS6detail17trampoline_kernelINS0_14default_configENS1_20scan_config_selectorIsEEZZNS1_9scan_implILNS1_25lookback_scan_determinismE0ELb0ELb0ES3_N6thrust23THRUST_200600_302600_NS6detail15normal_iteratorINS9_10device_ptrIsEEEESE_sNS9_4plusIvEEsEEDaPvRmT3_T4_T5_mT6_P12ihipStream_tbENKUlT_T0_E_clISt17integral_constantIbLb1EEST_IbLb0EEEEDaSP_SQ_EUlSP_E0_NS1_11comp_targetILNS1_3genE10ELNS1_11target_archE1201ELNS1_3gpuE5ELNS1_3repE0EEENS1_30default_config_static_selectorELNS0_4arch9wavefront6targetE1EEEvT1_
                                        ; -- End function
	.section	.AMDGPU.csdata,"",@progbits
; Kernel info:
; codeLenInByte = 0
; NumSgprs: 4
; NumVgprs: 0
; NumAgprs: 0
; TotalNumVgprs: 0
; ScratchSize: 0
; MemoryBound: 0
; FloatMode: 240
; IeeeMode: 1
; LDSByteSize: 0 bytes/workgroup (compile time only)
; SGPRBlocks: 0
; VGPRBlocks: 0
; NumSGPRsForWavesPerEU: 4
; NumVGPRsForWavesPerEU: 1
; AccumOffset: 4
; Occupancy: 8
; WaveLimiterHint : 0
; COMPUTE_PGM_RSRC2:SCRATCH_EN: 0
; COMPUTE_PGM_RSRC2:USER_SGPR: 6
; COMPUTE_PGM_RSRC2:TRAP_HANDLER: 0
; COMPUTE_PGM_RSRC2:TGID_X_EN: 1
; COMPUTE_PGM_RSRC2:TGID_Y_EN: 0
; COMPUTE_PGM_RSRC2:TGID_Z_EN: 0
; COMPUTE_PGM_RSRC2:TIDIG_COMP_CNT: 0
; COMPUTE_PGM_RSRC3_GFX90A:ACCUM_OFFSET: 0
; COMPUTE_PGM_RSRC3_GFX90A:TG_SPLIT: 0
	.section	.text._ZN7rocprim17ROCPRIM_400000_NS6detail17trampoline_kernelINS0_14default_configENS1_20scan_config_selectorIsEEZZNS1_9scan_implILNS1_25lookback_scan_determinismE0ELb0ELb0ES3_N6thrust23THRUST_200600_302600_NS6detail15normal_iteratorINS9_10device_ptrIsEEEESE_sNS9_4plusIvEEsEEDaPvRmT3_T4_T5_mT6_P12ihipStream_tbENKUlT_T0_E_clISt17integral_constantIbLb1EEST_IbLb0EEEEDaSP_SQ_EUlSP_E0_NS1_11comp_targetILNS1_3genE10ELNS1_11target_archE1200ELNS1_3gpuE4ELNS1_3repE0EEENS1_30default_config_static_selectorELNS0_4arch9wavefront6targetE1EEEvT1_,"axG",@progbits,_ZN7rocprim17ROCPRIM_400000_NS6detail17trampoline_kernelINS0_14default_configENS1_20scan_config_selectorIsEEZZNS1_9scan_implILNS1_25lookback_scan_determinismE0ELb0ELb0ES3_N6thrust23THRUST_200600_302600_NS6detail15normal_iteratorINS9_10device_ptrIsEEEESE_sNS9_4plusIvEEsEEDaPvRmT3_T4_T5_mT6_P12ihipStream_tbENKUlT_T0_E_clISt17integral_constantIbLb1EEST_IbLb0EEEEDaSP_SQ_EUlSP_E0_NS1_11comp_targetILNS1_3genE10ELNS1_11target_archE1200ELNS1_3gpuE4ELNS1_3repE0EEENS1_30default_config_static_selectorELNS0_4arch9wavefront6targetE1EEEvT1_,comdat
	.protected	_ZN7rocprim17ROCPRIM_400000_NS6detail17trampoline_kernelINS0_14default_configENS1_20scan_config_selectorIsEEZZNS1_9scan_implILNS1_25lookback_scan_determinismE0ELb0ELb0ES3_N6thrust23THRUST_200600_302600_NS6detail15normal_iteratorINS9_10device_ptrIsEEEESE_sNS9_4plusIvEEsEEDaPvRmT3_T4_T5_mT6_P12ihipStream_tbENKUlT_T0_E_clISt17integral_constantIbLb1EEST_IbLb0EEEEDaSP_SQ_EUlSP_E0_NS1_11comp_targetILNS1_3genE10ELNS1_11target_archE1200ELNS1_3gpuE4ELNS1_3repE0EEENS1_30default_config_static_selectorELNS0_4arch9wavefront6targetE1EEEvT1_ ; -- Begin function _ZN7rocprim17ROCPRIM_400000_NS6detail17trampoline_kernelINS0_14default_configENS1_20scan_config_selectorIsEEZZNS1_9scan_implILNS1_25lookback_scan_determinismE0ELb0ELb0ES3_N6thrust23THRUST_200600_302600_NS6detail15normal_iteratorINS9_10device_ptrIsEEEESE_sNS9_4plusIvEEsEEDaPvRmT3_T4_T5_mT6_P12ihipStream_tbENKUlT_T0_E_clISt17integral_constantIbLb1EEST_IbLb0EEEEDaSP_SQ_EUlSP_E0_NS1_11comp_targetILNS1_3genE10ELNS1_11target_archE1200ELNS1_3gpuE4ELNS1_3repE0EEENS1_30default_config_static_selectorELNS0_4arch9wavefront6targetE1EEEvT1_
	.globl	_ZN7rocprim17ROCPRIM_400000_NS6detail17trampoline_kernelINS0_14default_configENS1_20scan_config_selectorIsEEZZNS1_9scan_implILNS1_25lookback_scan_determinismE0ELb0ELb0ES3_N6thrust23THRUST_200600_302600_NS6detail15normal_iteratorINS9_10device_ptrIsEEEESE_sNS9_4plusIvEEsEEDaPvRmT3_T4_T5_mT6_P12ihipStream_tbENKUlT_T0_E_clISt17integral_constantIbLb1EEST_IbLb0EEEEDaSP_SQ_EUlSP_E0_NS1_11comp_targetILNS1_3genE10ELNS1_11target_archE1200ELNS1_3gpuE4ELNS1_3repE0EEENS1_30default_config_static_selectorELNS0_4arch9wavefront6targetE1EEEvT1_
	.p2align	8
	.type	_ZN7rocprim17ROCPRIM_400000_NS6detail17trampoline_kernelINS0_14default_configENS1_20scan_config_selectorIsEEZZNS1_9scan_implILNS1_25lookback_scan_determinismE0ELb0ELb0ES3_N6thrust23THRUST_200600_302600_NS6detail15normal_iteratorINS9_10device_ptrIsEEEESE_sNS9_4plusIvEEsEEDaPvRmT3_T4_T5_mT6_P12ihipStream_tbENKUlT_T0_E_clISt17integral_constantIbLb1EEST_IbLb0EEEEDaSP_SQ_EUlSP_E0_NS1_11comp_targetILNS1_3genE10ELNS1_11target_archE1200ELNS1_3gpuE4ELNS1_3repE0EEENS1_30default_config_static_selectorELNS0_4arch9wavefront6targetE1EEEvT1_,@function
_ZN7rocprim17ROCPRIM_400000_NS6detail17trampoline_kernelINS0_14default_configENS1_20scan_config_selectorIsEEZZNS1_9scan_implILNS1_25lookback_scan_determinismE0ELb0ELb0ES3_N6thrust23THRUST_200600_302600_NS6detail15normal_iteratorINS9_10device_ptrIsEEEESE_sNS9_4plusIvEEsEEDaPvRmT3_T4_T5_mT6_P12ihipStream_tbENKUlT_T0_E_clISt17integral_constantIbLb1EEST_IbLb0EEEEDaSP_SQ_EUlSP_E0_NS1_11comp_targetILNS1_3genE10ELNS1_11target_archE1200ELNS1_3gpuE4ELNS1_3repE0EEENS1_30default_config_static_selectorELNS0_4arch9wavefront6targetE1EEEvT1_: ; @_ZN7rocprim17ROCPRIM_400000_NS6detail17trampoline_kernelINS0_14default_configENS1_20scan_config_selectorIsEEZZNS1_9scan_implILNS1_25lookback_scan_determinismE0ELb0ELb0ES3_N6thrust23THRUST_200600_302600_NS6detail15normal_iteratorINS9_10device_ptrIsEEEESE_sNS9_4plusIvEEsEEDaPvRmT3_T4_T5_mT6_P12ihipStream_tbENKUlT_T0_E_clISt17integral_constantIbLb1EEST_IbLb0EEEEDaSP_SQ_EUlSP_E0_NS1_11comp_targetILNS1_3genE10ELNS1_11target_archE1200ELNS1_3gpuE4ELNS1_3repE0EEENS1_30default_config_static_selectorELNS0_4arch9wavefront6targetE1EEEvT1_
; %bb.0:
	.section	.rodata,"a",@progbits
	.p2align	6, 0x0
	.amdhsa_kernel _ZN7rocprim17ROCPRIM_400000_NS6detail17trampoline_kernelINS0_14default_configENS1_20scan_config_selectorIsEEZZNS1_9scan_implILNS1_25lookback_scan_determinismE0ELb0ELb0ES3_N6thrust23THRUST_200600_302600_NS6detail15normal_iteratorINS9_10device_ptrIsEEEESE_sNS9_4plusIvEEsEEDaPvRmT3_T4_T5_mT6_P12ihipStream_tbENKUlT_T0_E_clISt17integral_constantIbLb1EEST_IbLb0EEEEDaSP_SQ_EUlSP_E0_NS1_11comp_targetILNS1_3genE10ELNS1_11target_archE1200ELNS1_3gpuE4ELNS1_3repE0EEENS1_30default_config_static_selectorELNS0_4arch9wavefront6targetE1EEEvT1_
		.amdhsa_group_segment_fixed_size 0
		.amdhsa_private_segment_fixed_size 0
		.amdhsa_kernarg_size 32
		.amdhsa_user_sgpr_count 6
		.amdhsa_user_sgpr_private_segment_buffer 1
		.amdhsa_user_sgpr_dispatch_ptr 0
		.amdhsa_user_sgpr_queue_ptr 0
		.amdhsa_user_sgpr_kernarg_segment_ptr 1
		.amdhsa_user_sgpr_dispatch_id 0
		.amdhsa_user_sgpr_flat_scratch_init 0
		.amdhsa_user_sgpr_kernarg_preload_length 0
		.amdhsa_user_sgpr_kernarg_preload_offset 0
		.amdhsa_user_sgpr_private_segment_size 0
		.amdhsa_uses_dynamic_stack 0
		.amdhsa_system_sgpr_private_segment_wavefront_offset 0
		.amdhsa_system_sgpr_workgroup_id_x 1
		.amdhsa_system_sgpr_workgroup_id_y 0
		.amdhsa_system_sgpr_workgroup_id_z 0
		.amdhsa_system_sgpr_workgroup_info 0
		.amdhsa_system_vgpr_workitem_id 0
		.amdhsa_next_free_vgpr 1
		.amdhsa_next_free_sgpr 0
		.amdhsa_accum_offset 4
		.amdhsa_reserve_vcc 0
		.amdhsa_reserve_flat_scratch 0
		.amdhsa_float_round_mode_32 0
		.amdhsa_float_round_mode_16_64 0
		.amdhsa_float_denorm_mode_32 3
		.amdhsa_float_denorm_mode_16_64 3
		.amdhsa_dx10_clamp 1
		.amdhsa_ieee_mode 1
		.amdhsa_fp16_overflow 0
		.amdhsa_tg_split 0
		.amdhsa_exception_fp_ieee_invalid_op 0
		.amdhsa_exception_fp_denorm_src 0
		.amdhsa_exception_fp_ieee_div_zero 0
		.amdhsa_exception_fp_ieee_overflow 0
		.amdhsa_exception_fp_ieee_underflow 0
		.amdhsa_exception_fp_ieee_inexact 0
		.amdhsa_exception_int_div_zero 0
	.end_amdhsa_kernel
	.section	.text._ZN7rocprim17ROCPRIM_400000_NS6detail17trampoline_kernelINS0_14default_configENS1_20scan_config_selectorIsEEZZNS1_9scan_implILNS1_25lookback_scan_determinismE0ELb0ELb0ES3_N6thrust23THRUST_200600_302600_NS6detail15normal_iteratorINS9_10device_ptrIsEEEESE_sNS9_4plusIvEEsEEDaPvRmT3_T4_T5_mT6_P12ihipStream_tbENKUlT_T0_E_clISt17integral_constantIbLb1EEST_IbLb0EEEEDaSP_SQ_EUlSP_E0_NS1_11comp_targetILNS1_3genE10ELNS1_11target_archE1200ELNS1_3gpuE4ELNS1_3repE0EEENS1_30default_config_static_selectorELNS0_4arch9wavefront6targetE1EEEvT1_,"axG",@progbits,_ZN7rocprim17ROCPRIM_400000_NS6detail17trampoline_kernelINS0_14default_configENS1_20scan_config_selectorIsEEZZNS1_9scan_implILNS1_25lookback_scan_determinismE0ELb0ELb0ES3_N6thrust23THRUST_200600_302600_NS6detail15normal_iteratorINS9_10device_ptrIsEEEESE_sNS9_4plusIvEEsEEDaPvRmT3_T4_T5_mT6_P12ihipStream_tbENKUlT_T0_E_clISt17integral_constantIbLb1EEST_IbLb0EEEEDaSP_SQ_EUlSP_E0_NS1_11comp_targetILNS1_3genE10ELNS1_11target_archE1200ELNS1_3gpuE4ELNS1_3repE0EEENS1_30default_config_static_selectorELNS0_4arch9wavefront6targetE1EEEvT1_,comdat
.Lfunc_end939:
	.size	_ZN7rocprim17ROCPRIM_400000_NS6detail17trampoline_kernelINS0_14default_configENS1_20scan_config_selectorIsEEZZNS1_9scan_implILNS1_25lookback_scan_determinismE0ELb0ELb0ES3_N6thrust23THRUST_200600_302600_NS6detail15normal_iteratorINS9_10device_ptrIsEEEESE_sNS9_4plusIvEEsEEDaPvRmT3_T4_T5_mT6_P12ihipStream_tbENKUlT_T0_E_clISt17integral_constantIbLb1EEST_IbLb0EEEEDaSP_SQ_EUlSP_E0_NS1_11comp_targetILNS1_3genE10ELNS1_11target_archE1200ELNS1_3gpuE4ELNS1_3repE0EEENS1_30default_config_static_selectorELNS0_4arch9wavefront6targetE1EEEvT1_, .Lfunc_end939-_ZN7rocprim17ROCPRIM_400000_NS6detail17trampoline_kernelINS0_14default_configENS1_20scan_config_selectorIsEEZZNS1_9scan_implILNS1_25lookback_scan_determinismE0ELb0ELb0ES3_N6thrust23THRUST_200600_302600_NS6detail15normal_iteratorINS9_10device_ptrIsEEEESE_sNS9_4plusIvEEsEEDaPvRmT3_T4_T5_mT6_P12ihipStream_tbENKUlT_T0_E_clISt17integral_constantIbLb1EEST_IbLb0EEEEDaSP_SQ_EUlSP_E0_NS1_11comp_targetILNS1_3genE10ELNS1_11target_archE1200ELNS1_3gpuE4ELNS1_3repE0EEENS1_30default_config_static_selectorELNS0_4arch9wavefront6targetE1EEEvT1_
                                        ; -- End function
	.section	.AMDGPU.csdata,"",@progbits
; Kernel info:
; codeLenInByte = 0
; NumSgprs: 4
; NumVgprs: 0
; NumAgprs: 0
; TotalNumVgprs: 0
; ScratchSize: 0
; MemoryBound: 0
; FloatMode: 240
; IeeeMode: 1
; LDSByteSize: 0 bytes/workgroup (compile time only)
; SGPRBlocks: 0
; VGPRBlocks: 0
; NumSGPRsForWavesPerEU: 4
; NumVGPRsForWavesPerEU: 1
; AccumOffset: 4
; Occupancy: 8
; WaveLimiterHint : 0
; COMPUTE_PGM_RSRC2:SCRATCH_EN: 0
; COMPUTE_PGM_RSRC2:USER_SGPR: 6
; COMPUTE_PGM_RSRC2:TRAP_HANDLER: 0
; COMPUTE_PGM_RSRC2:TGID_X_EN: 1
; COMPUTE_PGM_RSRC2:TGID_Y_EN: 0
; COMPUTE_PGM_RSRC2:TGID_Z_EN: 0
; COMPUTE_PGM_RSRC2:TIDIG_COMP_CNT: 0
; COMPUTE_PGM_RSRC3_GFX90A:ACCUM_OFFSET: 0
; COMPUTE_PGM_RSRC3_GFX90A:TG_SPLIT: 0
	.section	.text._ZN7rocprim17ROCPRIM_400000_NS6detail17trampoline_kernelINS0_14default_configENS1_20scan_config_selectorIsEEZZNS1_9scan_implILNS1_25lookback_scan_determinismE0ELb0ELb0ES3_N6thrust23THRUST_200600_302600_NS6detail15normal_iteratorINS9_10device_ptrIsEEEESE_sNS9_4plusIvEEsEEDaPvRmT3_T4_T5_mT6_P12ihipStream_tbENKUlT_T0_E_clISt17integral_constantIbLb1EEST_IbLb0EEEEDaSP_SQ_EUlSP_E0_NS1_11comp_targetILNS1_3genE9ELNS1_11target_archE1100ELNS1_3gpuE3ELNS1_3repE0EEENS1_30default_config_static_selectorELNS0_4arch9wavefront6targetE1EEEvT1_,"axG",@progbits,_ZN7rocprim17ROCPRIM_400000_NS6detail17trampoline_kernelINS0_14default_configENS1_20scan_config_selectorIsEEZZNS1_9scan_implILNS1_25lookback_scan_determinismE0ELb0ELb0ES3_N6thrust23THRUST_200600_302600_NS6detail15normal_iteratorINS9_10device_ptrIsEEEESE_sNS9_4plusIvEEsEEDaPvRmT3_T4_T5_mT6_P12ihipStream_tbENKUlT_T0_E_clISt17integral_constantIbLb1EEST_IbLb0EEEEDaSP_SQ_EUlSP_E0_NS1_11comp_targetILNS1_3genE9ELNS1_11target_archE1100ELNS1_3gpuE3ELNS1_3repE0EEENS1_30default_config_static_selectorELNS0_4arch9wavefront6targetE1EEEvT1_,comdat
	.protected	_ZN7rocprim17ROCPRIM_400000_NS6detail17trampoline_kernelINS0_14default_configENS1_20scan_config_selectorIsEEZZNS1_9scan_implILNS1_25lookback_scan_determinismE0ELb0ELb0ES3_N6thrust23THRUST_200600_302600_NS6detail15normal_iteratorINS9_10device_ptrIsEEEESE_sNS9_4plusIvEEsEEDaPvRmT3_T4_T5_mT6_P12ihipStream_tbENKUlT_T0_E_clISt17integral_constantIbLb1EEST_IbLb0EEEEDaSP_SQ_EUlSP_E0_NS1_11comp_targetILNS1_3genE9ELNS1_11target_archE1100ELNS1_3gpuE3ELNS1_3repE0EEENS1_30default_config_static_selectorELNS0_4arch9wavefront6targetE1EEEvT1_ ; -- Begin function _ZN7rocprim17ROCPRIM_400000_NS6detail17trampoline_kernelINS0_14default_configENS1_20scan_config_selectorIsEEZZNS1_9scan_implILNS1_25lookback_scan_determinismE0ELb0ELb0ES3_N6thrust23THRUST_200600_302600_NS6detail15normal_iteratorINS9_10device_ptrIsEEEESE_sNS9_4plusIvEEsEEDaPvRmT3_T4_T5_mT6_P12ihipStream_tbENKUlT_T0_E_clISt17integral_constantIbLb1EEST_IbLb0EEEEDaSP_SQ_EUlSP_E0_NS1_11comp_targetILNS1_3genE9ELNS1_11target_archE1100ELNS1_3gpuE3ELNS1_3repE0EEENS1_30default_config_static_selectorELNS0_4arch9wavefront6targetE1EEEvT1_
	.globl	_ZN7rocprim17ROCPRIM_400000_NS6detail17trampoline_kernelINS0_14default_configENS1_20scan_config_selectorIsEEZZNS1_9scan_implILNS1_25lookback_scan_determinismE0ELb0ELb0ES3_N6thrust23THRUST_200600_302600_NS6detail15normal_iteratorINS9_10device_ptrIsEEEESE_sNS9_4plusIvEEsEEDaPvRmT3_T4_T5_mT6_P12ihipStream_tbENKUlT_T0_E_clISt17integral_constantIbLb1EEST_IbLb0EEEEDaSP_SQ_EUlSP_E0_NS1_11comp_targetILNS1_3genE9ELNS1_11target_archE1100ELNS1_3gpuE3ELNS1_3repE0EEENS1_30default_config_static_selectorELNS0_4arch9wavefront6targetE1EEEvT1_
	.p2align	8
	.type	_ZN7rocprim17ROCPRIM_400000_NS6detail17trampoline_kernelINS0_14default_configENS1_20scan_config_selectorIsEEZZNS1_9scan_implILNS1_25lookback_scan_determinismE0ELb0ELb0ES3_N6thrust23THRUST_200600_302600_NS6detail15normal_iteratorINS9_10device_ptrIsEEEESE_sNS9_4plusIvEEsEEDaPvRmT3_T4_T5_mT6_P12ihipStream_tbENKUlT_T0_E_clISt17integral_constantIbLb1EEST_IbLb0EEEEDaSP_SQ_EUlSP_E0_NS1_11comp_targetILNS1_3genE9ELNS1_11target_archE1100ELNS1_3gpuE3ELNS1_3repE0EEENS1_30default_config_static_selectorELNS0_4arch9wavefront6targetE1EEEvT1_,@function
_ZN7rocprim17ROCPRIM_400000_NS6detail17trampoline_kernelINS0_14default_configENS1_20scan_config_selectorIsEEZZNS1_9scan_implILNS1_25lookback_scan_determinismE0ELb0ELb0ES3_N6thrust23THRUST_200600_302600_NS6detail15normal_iteratorINS9_10device_ptrIsEEEESE_sNS9_4plusIvEEsEEDaPvRmT3_T4_T5_mT6_P12ihipStream_tbENKUlT_T0_E_clISt17integral_constantIbLb1EEST_IbLb0EEEEDaSP_SQ_EUlSP_E0_NS1_11comp_targetILNS1_3genE9ELNS1_11target_archE1100ELNS1_3gpuE3ELNS1_3repE0EEENS1_30default_config_static_selectorELNS0_4arch9wavefront6targetE1EEEvT1_: ; @_ZN7rocprim17ROCPRIM_400000_NS6detail17trampoline_kernelINS0_14default_configENS1_20scan_config_selectorIsEEZZNS1_9scan_implILNS1_25lookback_scan_determinismE0ELb0ELb0ES3_N6thrust23THRUST_200600_302600_NS6detail15normal_iteratorINS9_10device_ptrIsEEEESE_sNS9_4plusIvEEsEEDaPvRmT3_T4_T5_mT6_P12ihipStream_tbENKUlT_T0_E_clISt17integral_constantIbLb1EEST_IbLb0EEEEDaSP_SQ_EUlSP_E0_NS1_11comp_targetILNS1_3genE9ELNS1_11target_archE1100ELNS1_3gpuE3ELNS1_3repE0EEENS1_30default_config_static_selectorELNS0_4arch9wavefront6targetE1EEEvT1_
; %bb.0:
	.section	.rodata,"a",@progbits
	.p2align	6, 0x0
	.amdhsa_kernel _ZN7rocprim17ROCPRIM_400000_NS6detail17trampoline_kernelINS0_14default_configENS1_20scan_config_selectorIsEEZZNS1_9scan_implILNS1_25lookback_scan_determinismE0ELb0ELb0ES3_N6thrust23THRUST_200600_302600_NS6detail15normal_iteratorINS9_10device_ptrIsEEEESE_sNS9_4plusIvEEsEEDaPvRmT3_T4_T5_mT6_P12ihipStream_tbENKUlT_T0_E_clISt17integral_constantIbLb1EEST_IbLb0EEEEDaSP_SQ_EUlSP_E0_NS1_11comp_targetILNS1_3genE9ELNS1_11target_archE1100ELNS1_3gpuE3ELNS1_3repE0EEENS1_30default_config_static_selectorELNS0_4arch9wavefront6targetE1EEEvT1_
		.amdhsa_group_segment_fixed_size 0
		.amdhsa_private_segment_fixed_size 0
		.amdhsa_kernarg_size 32
		.amdhsa_user_sgpr_count 6
		.amdhsa_user_sgpr_private_segment_buffer 1
		.amdhsa_user_sgpr_dispatch_ptr 0
		.amdhsa_user_sgpr_queue_ptr 0
		.amdhsa_user_sgpr_kernarg_segment_ptr 1
		.amdhsa_user_sgpr_dispatch_id 0
		.amdhsa_user_sgpr_flat_scratch_init 0
		.amdhsa_user_sgpr_kernarg_preload_length 0
		.amdhsa_user_sgpr_kernarg_preload_offset 0
		.amdhsa_user_sgpr_private_segment_size 0
		.amdhsa_uses_dynamic_stack 0
		.amdhsa_system_sgpr_private_segment_wavefront_offset 0
		.amdhsa_system_sgpr_workgroup_id_x 1
		.amdhsa_system_sgpr_workgroup_id_y 0
		.amdhsa_system_sgpr_workgroup_id_z 0
		.amdhsa_system_sgpr_workgroup_info 0
		.amdhsa_system_vgpr_workitem_id 0
		.amdhsa_next_free_vgpr 1
		.amdhsa_next_free_sgpr 0
		.amdhsa_accum_offset 4
		.amdhsa_reserve_vcc 0
		.amdhsa_reserve_flat_scratch 0
		.amdhsa_float_round_mode_32 0
		.amdhsa_float_round_mode_16_64 0
		.amdhsa_float_denorm_mode_32 3
		.amdhsa_float_denorm_mode_16_64 3
		.amdhsa_dx10_clamp 1
		.amdhsa_ieee_mode 1
		.amdhsa_fp16_overflow 0
		.amdhsa_tg_split 0
		.amdhsa_exception_fp_ieee_invalid_op 0
		.amdhsa_exception_fp_denorm_src 0
		.amdhsa_exception_fp_ieee_div_zero 0
		.amdhsa_exception_fp_ieee_overflow 0
		.amdhsa_exception_fp_ieee_underflow 0
		.amdhsa_exception_fp_ieee_inexact 0
		.amdhsa_exception_int_div_zero 0
	.end_amdhsa_kernel
	.section	.text._ZN7rocprim17ROCPRIM_400000_NS6detail17trampoline_kernelINS0_14default_configENS1_20scan_config_selectorIsEEZZNS1_9scan_implILNS1_25lookback_scan_determinismE0ELb0ELb0ES3_N6thrust23THRUST_200600_302600_NS6detail15normal_iteratorINS9_10device_ptrIsEEEESE_sNS9_4plusIvEEsEEDaPvRmT3_T4_T5_mT6_P12ihipStream_tbENKUlT_T0_E_clISt17integral_constantIbLb1EEST_IbLb0EEEEDaSP_SQ_EUlSP_E0_NS1_11comp_targetILNS1_3genE9ELNS1_11target_archE1100ELNS1_3gpuE3ELNS1_3repE0EEENS1_30default_config_static_selectorELNS0_4arch9wavefront6targetE1EEEvT1_,"axG",@progbits,_ZN7rocprim17ROCPRIM_400000_NS6detail17trampoline_kernelINS0_14default_configENS1_20scan_config_selectorIsEEZZNS1_9scan_implILNS1_25lookback_scan_determinismE0ELb0ELb0ES3_N6thrust23THRUST_200600_302600_NS6detail15normal_iteratorINS9_10device_ptrIsEEEESE_sNS9_4plusIvEEsEEDaPvRmT3_T4_T5_mT6_P12ihipStream_tbENKUlT_T0_E_clISt17integral_constantIbLb1EEST_IbLb0EEEEDaSP_SQ_EUlSP_E0_NS1_11comp_targetILNS1_3genE9ELNS1_11target_archE1100ELNS1_3gpuE3ELNS1_3repE0EEENS1_30default_config_static_selectorELNS0_4arch9wavefront6targetE1EEEvT1_,comdat
.Lfunc_end940:
	.size	_ZN7rocprim17ROCPRIM_400000_NS6detail17trampoline_kernelINS0_14default_configENS1_20scan_config_selectorIsEEZZNS1_9scan_implILNS1_25lookback_scan_determinismE0ELb0ELb0ES3_N6thrust23THRUST_200600_302600_NS6detail15normal_iteratorINS9_10device_ptrIsEEEESE_sNS9_4plusIvEEsEEDaPvRmT3_T4_T5_mT6_P12ihipStream_tbENKUlT_T0_E_clISt17integral_constantIbLb1EEST_IbLb0EEEEDaSP_SQ_EUlSP_E0_NS1_11comp_targetILNS1_3genE9ELNS1_11target_archE1100ELNS1_3gpuE3ELNS1_3repE0EEENS1_30default_config_static_selectorELNS0_4arch9wavefront6targetE1EEEvT1_, .Lfunc_end940-_ZN7rocprim17ROCPRIM_400000_NS6detail17trampoline_kernelINS0_14default_configENS1_20scan_config_selectorIsEEZZNS1_9scan_implILNS1_25lookback_scan_determinismE0ELb0ELb0ES3_N6thrust23THRUST_200600_302600_NS6detail15normal_iteratorINS9_10device_ptrIsEEEESE_sNS9_4plusIvEEsEEDaPvRmT3_T4_T5_mT6_P12ihipStream_tbENKUlT_T0_E_clISt17integral_constantIbLb1EEST_IbLb0EEEEDaSP_SQ_EUlSP_E0_NS1_11comp_targetILNS1_3genE9ELNS1_11target_archE1100ELNS1_3gpuE3ELNS1_3repE0EEENS1_30default_config_static_selectorELNS0_4arch9wavefront6targetE1EEEvT1_
                                        ; -- End function
	.section	.AMDGPU.csdata,"",@progbits
; Kernel info:
; codeLenInByte = 0
; NumSgprs: 4
; NumVgprs: 0
; NumAgprs: 0
; TotalNumVgprs: 0
; ScratchSize: 0
; MemoryBound: 0
; FloatMode: 240
; IeeeMode: 1
; LDSByteSize: 0 bytes/workgroup (compile time only)
; SGPRBlocks: 0
; VGPRBlocks: 0
; NumSGPRsForWavesPerEU: 4
; NumVGPRsForWavesPerEU: 1
; AccumOffset: 4
; Occupancy: 8
; WaveLimiterHint : 0
; COMPUTE_PGM_RSRC2:SCRATCH_EN: 0
; COMPUTE_PGM_RSRC2:USER_SGPR: 6
; COMPUTE_PGM_RSRC2:TRAP_HANDLER: 0
; COMPUTE_PGM_RSRC2:TGID_X_EN: 1
; COMPUTE_PGM_RSRC2:TGID_Y_EN: 0
; COMPUTE_PGM_RSRC2:TGID_Z_EN: 0
; COMPUTE_PGM_RSRC2:TIDIG_COMP_CNT: 0
; COMPUTE_PGM_RSRC3_GFX90A:ACCUM_OFFSET: 0
; COMPUTE_PGM_RSRC3_GFX90A:TG_SPLIT: 0
	.section	.text._ZN7rocprim17ROCPRIM_400000_NS6detail17trampoline_kernelINS0_14default_configENS1_20scan_config_selectorIsEEZZNS1_9scan_implILNS1_25lookback_scan_determinismE0ELb0ELb0ES3_N6thrust23THRUST_200600_302600_NS6detail15normal_iteratorINS9_10device_ptrIsEEEESE_sNS9_4plusIvEEsEEDaPvRmT3_T4_T5_mT6_P12ihipStream_tbENKUlT_T0_E_clISt17integral_constantIbLb1EEST_IbLb0EEEEDaSP_SQ_EUlSP_E0_NS1_11comp_targetILNS1_3genE8ELNS1_11target_archE1030ELNS1_3gpuE2ELNS1_3repE0EEENS1_30default_config_static_selectorELNS0_4arch9wavefront6targetE1EEEvT1_,"axG",@progbits,_ZN7rocprim17ROCPRIM_400000_NS6detail17trampoline_kernelINS0_14default_configENS1_20scan_config_selectorIsEEZZNS1_9scan_implILNS1_25lookback_scan_determinismE0ELb0ELb0ES3_N6thrust23THRUST_200600_302600_NS6detail15normal_iteratorINS9_10device_ptrIsEEEESE_sNS9_4plusIvEEsEEDaPvRmT3_T4_T5_mT6_P12ihipStream_tbENKUlT_T0_E_clISt17integral_constantIbLb1EEST_IbLb0EEEEDaSP_SQ_EUlSP_E0_NS1_11comp_targetILNS1_3genE8ELNS1_11target_archE1030ELNS1_3gpuE2ELNS1_3repE0EEENS1_30default_config_static_selectorELNS0_4arch9wavefront6targetE1EEEvT1_,comdat
	.protected	_ZN7rocprim17ROCPRIM_400000_NS6detail17trampoline_kernelINS0_14default_configENS1_20scan_config_selectorIsEEZZNS1_9scan_implILNS1_25lookback_scan_determinismE0ELb0ELb0ES3_N6thrust23THRUST_200600_302600_NS6detail15normal_iteratorINS9_10device_ptrIsEEEESE_sNS9_4plusIvEEsEEDaPvRmT3_T4_T5_mT6_P12ihipStream_tbENKUlT_T0_E_clISt17integral_constantIbLb1EEST_IbLb0EEEEDaSP_SQ_EUlSP_E0_NS1_11comp_targetILNS1_3genE8ELNS1_11target_archE1030ELNS1_3gpuE2ELNS1_3repE0EEENS1_30default_config_static_selectorELNS0_4arch9wavefront6targetE1EEEvT1_ ; -- Begin function _ZN7rocprim17ROCPRIM_400000_NS6detail17trampoline_kernelINS0_14default_configENS1_20scan_config_selectorIsEEZZNS1_9scan_implILNS1_25lookback_scan_determinismE0ELb0ELb0ES3_N6thrust23THRUST_200600_302600_NS6detail15normal_iteratorINS9_10device_ptrIsEEEESE_sNS9_4plusIvEEsEEDaPvRmT3_T4_T5_mT6_P12ihipStream_tbENKUlT_T0_E_clISt17integral_constantIbLb1EEST_IbLb0EEEEDaSP_SQ_EUlSP_E0_NS1_11comp_targetILNS1_3genE8ELNS1_11target_archE1030ELNS1_3gpuE2ELNS1_3repE0EEENS1_30default_config_static_selectorELNS0_4arch9wavefront6targetE1EEEvT1_
	.globl	_ZN7rocprim17ROCPRIM_400000_NS6detail17trampoline_kernelINS0_14default_configENS1_20scan_config_selectorIsEEZZNS1_9scan_implILNS1_25lookback_scan_determinismE0ELb0ELb0ES3_N6thrust23THRUST_200600_302600_NS6detail15normal_iteratorINS9_10device_ptrIsEEEESE_sNS9_4plusIvEEsEEDaPvRmT3_T4_T5_mT6_P12ihipStream_tbENKUlT_T0_E_clISt17integral_constantIbLb1EEST_IbLb0EEEEDaSP_SQ_EUlSP_E0_NS1_11comp_targetILNS1_3genE8ELNS1_11target_archE1030ELNS1_3gpuE2ELNS1_3repE0EEENS1_30default_config_static_selectorELNS0_4arch9wavefront6targetE1EEEvT1_
	.p2align	8
	.type	_ZN7rocprim17ROCPRIM_400000_NS6detail17trampoline_kernelINS0_14default_configENS1_20scan_config_selectorIsEEZZNS1_9scan_implILNS1_25lookback_scan_determinismE0ELb0ELb0ES3_N6thrust23THRUST_200600_302600_NS6detail15normal_iteratorINS9_10device_ptrIsEEEESE_sNS9_4plusIvEEsEEDaPvRmT3_T4_T5_mT6_P12ihipStream_tbENKUlT_T0_E_clISt17integral_constantIbLb1EEST_IbLb0EEEEDaSP_SQ_EUlSP_E0_NS1_11comp_targetILNS1_3genE8ELNS1_11target_archE1030ELNS1_3gpuE2ELNS1_3repE0EEENS1_30default_config_static_selectorELNS0_4arch9wavefront6targetE1EEEvT1_,@function
_ZN7rocprim17ROCPRIM_400000_NS6detail17trampoline_kernelINS0_14default_configENS1_20scan_config_selectorIsEEZZNS1_9scan_implILNS1_25lookback_scan_determinismE0ELb0ELb0ES3_N6thrust23THRUST_200600_302600_NS6detail15normal_iteratorINS9_10device_ptrIsEEEESE_sNS9_4plusIvEEsEEDaPvRmT3_T4_T5_mT6_P12ihipStream_tbENKUlT_T0_E_clISt17integral_constantIbLb1EEST_IbLb0EEEEDaSP_SQ_EUlSP_E0_NS1_11comp_targetILNS1_3genE8ELNS1_11target_archE1030ELNS1_3gpuE2ELNS1_3repE0EEENS1_30default_config_static_selectorELNS0_4arch9wavefront6targetE1EEEvT1_: ; @_ZN7rocprim17ROCPRIM_400000_NS6detail17trampoline_kernelINS0_14default_configENS1_20scan_config_selectorIsEEZZNS1_9scan_implILNS1_25lookback_scan_determinismE0ELb0ELb0ES3_N6thrust23THRUST_200600_302600_NS6detail15normal_iteratorINS9_10device_ptrIsEEEESE_sNS9_4plusIvEEsEEDaPvRmT3_T4_T5_mT6_P12ihipStream_tbENKUlT_T0_E_clISt17integral_constantIbLb1EEST_IbLb0EEEEDaSP_SQ_EUlSP_E0_NS1_11comp_targetILNS1_3genE8ELNS1_11target_archE1030ELNS1_3gpuE2ELNS1_3repE0EEENS1_30default_config_static_selectorELNS0_4arch9wavefront6targetE1EEEvT1_
; %bb.0:
	.section	.rodata,"a",@progbits
	.p2align	6, 0x0
	.amdhsa_kernel _ZN7rocprim17ROCPRIM_400000_NS6detail17trampoline_kernelINS0_14default_configENS1_20scan_config_selectorIsEEZZNS1_9scan_implILNS1_25lookback_scan_determinismE0ELb0ELb0ES3_N6thrust23THRUST_200600_302600_NS6detail15normal_iteratorINS9_10device_ptrIsEEEESE_sNS9_4plusIvEEsEEDaPvRmT3_T4_T5_mT6_P12ihipStream_tbENKUlT_T0_E_clISt17integral_constantIbLb1EEST_IbLb0EEEEDaSP_SQ_EUlSP_E0_NS1_11comp_targetILNS1_3genE8ELNS1_11target_archE1030ELNS1_3gpuE2ELNS1_3repE0EEENS1_30default_config_static_selectorELNS0_4arch9wavefront6targetE1EEEvT1_
		.amdhsa_group_segment_fixed_size 0
		.amdhsa_private_segment_fixed_size 0
		.amdhsa_kernarg_size 32
		.amdhsa_user_sgpr_count 6
		.amdhsa_user_sgpr_private_segment_buffer 1
		.amdhsa_user_sgpr_dispatch_ptr 0
		.amdhsa_user_sgpr_queue_ptr 0
		.amdhsa_user_sgpr_kernarg_segment_ptr 1
		.amdhsa_user_sgpr_dispatch_id 0
		.amdhsa_user_sgpr_flat_scratch_init 0
		.amdhsa_user_sgpr_kernarg_preload_length 0
		.amdhsa_user_sgpr_kernarg_preload_offset 0
		.amdhsa_user_sgpr_private_segment_size 0
		.amdhsa_uses_dynamic_stack 0
		.amdhsa_system_sgpr_private_segment_wavefront_offset 0
		.amdhsa_system_sgpr_workgroup_id_x 1
		.amdhsa_system_sgpr_workgroup_id_y 0
		.amdhsa_system_sgpr_workgroup_id_z 0
		.amdhsa_system_sgpr_workgroup_info 0
		.amdhsa_system_vgpr_workitem_id 0
		.amdhsa_next_free_vgpr 1
		.amdhsa_next_free_sgpr 0
		.amdhsa_accum_offset 4
		.amdhsa_reserve_vcc 0
		.amdhsa_reserve_flat_scratch 0
		.amdhsa_float_round_mode_32 0
		.amdhsa_float_round_mode_16_64 0
		.amdhsa_float_denorm_mode_32 3
		.amdhsa_float_denorm_mode_16_64 3
		.amdhsa_dx10_clamp 1
		.amdhsa_ieee_mode 1
		.amdhsa_fp16_overflow 0
		.amdhsa_tg_split 0
		.amdhsa_exception_fp_ieee_invalid_op 0
		.amdhsa_exception_fp_denorm_src 0
		.amdhsa_exception_fp_ieee_div_zero 0
		.amdhsa_exception_fp_ieee_overflow 0
		.amdhsa_exception_fp_ieee_underflow 0
		.amdhsa_exception_fp_ieee_inexact 0
		.amdhsa_exception_int_div_zero 0
	.end_amdhsa_kernel
	.section	.text._ZN7rocprim17ROCPRIM_400000_NS6detail17trampoline_kernelINS0_14default_configENS1_20scan_config_selectorIsEEZZNS1_9scan_implILNS1_25lookback_scan_determinismE0ELb0ELb0ES3_N6thrust23THRUST_200600_302600_NS6detail15normal_iteratorINS9_10device_ptrIsEEEESE_sNS9_4plusIvEEsEEDaPvRmT3_T4_T5_mT6_P12ihipStream_tbENKUlT_T0_E_clISt17integral_constantIbLb1EEST_IbLb0EEEEDaSP_SQ_EUlSP_E0_NS1_11comp_targetILNS1_3genE8ELNS1_11target_archE1030ELNS1_3gpuE2ELNS1_3repE0EEENS1_30default_config_static_selectorELNS0_4arch9wavefront6targetE1EEEvT1_,"axG",@progbits,_ZN7rocprim17ROCPRIM_400000_NS6detail17trampoline_kernelINS0_14default_configENS1_20scan_config_selectorIsEEZZNS1_9scan_implILNS1_25lookback_scan_determinismE0ELb0ELb0ES3_N6thrust23THRUST_200600_302600_NS6detail15normal_iteratorINS9_10device_ptrIsEEEESE_sNS9_4plusIvEEsEEDaPvRmT3_T4_T5_mT6_P12ihipStream_tbENKUlT_T0_E_clISt17integral_constantIbLb1EEST_IbLb0EEEEDaSP_SQ_EUlSP_E0_NS1_11comp_targetILNS1_3genE8ELNS1_11target_archE1030ELNS1_3gpuE2ELNS1_3repE0EEENS1_30default_config_static_selectorELNS0_4arch9wavefront6targetE1EEEvT1_,comdat
.Lfunc_end941:
	.size	_ZN7rocprim17ROCPRIM_400000_NS6detail17trampoline_kernelINS0_14default_configENS1_20scan_config_selectorIsEEZZNS1_9scan_implILNS1_25lookback_scan_determinismE0ELb0ELb0ES3_N6thrust23THRUST_200600_302600_NS6detail15normal_iteratorINS9_10device_ptrIsEEEESE_sNS9_4plusIvEEsEEDaPvRmT3_T4_T5_mT6_P12ihipStream_tbENKUlT_T0_E_clISt17integral_constantIbLb1EEST_IbLb0EEEEDaSP_SQ_EUlSP_E0_NS1_11comp_targetILNS1_3genE8ELNS1_11target_archE1030ELNS1_3gpuE2ELNS1_3repE0EEENS1_30default_config_static_selectorELNS0_4arch9wavefront6targetE1EEEvT1_, .Lfunc_end941-_ZN7rocprim17ROCPRIM_400000_NS6detail17trampoline_kernelINS0_14default_configENS1_20scan_config_selectorIsEEZZNS1_9scan_implILNS1_25lookback_scan_determinismE0ELb0ELb0ES3_N6thrust23THRUST_200600_302600_NS6detail15normal_iteratorINS9_10device_ptrIsEEEESE_sNS9_4plusIvEEsEEDaPvRmT3_T4_T5_mT6_P12ihipStream_tbENKUlT_T0_E_clISt17integral_constantIbLb1EEST_IbLb0EEEEDaSP_SQ_EUlSP_E0_NS1_11comp_targetILNS1_3genE8ELNS1_11target_archE1030ELNS1_3gpuE2ELNS1_3repE0EEENS1_30default_config_static_selectorELNS0_4arch9wavefront6targetE1EEEvT1_
                                        ; -- End function
	.section	.AMDGPU.csdata,"",@progbits
; Kernel info:
; codeLenInByte = 0
; NumSgprs: 4
; NumVgprs: 0
; NumAgprs: 0
; TotalNumVgprs: 0
; ScratchSize: 0
; MemoryBound: 0
; FloatMode: 240
; IeeeMode: 1
; LDSByteSize: 0 bytes/workgroup (compile time only)
; SGPRBlocks: 0
; VGPRBlocks: 0
; NumSGPRsForWavesPerEU: 4
; NumVGPRsForWavesPerEU: 1
; AccumOffset: 4
; Occupancy: 8
; WaveLimiterHint : 0
; COMPUTE_PGM_RSRC2:SCRATCH_EN: 0
; COMPUTE_PGM_RSRC2:USER_SGPR: 6
; COMPUTE_PGM_RSRC2:TRAP_HANDLER: 0
; COMPUTE_PGM_RSRC2:TGID_X_EN: 1
; COMPUTE_PGM_RSRC2:TGID_Y_EN: 0
; COMPUTE_PGM_RSRC2:TGID_Z_EN: 0
; COMPUTE_PGM_RSRC2:TIDIG_COMP_CNT: 0
; COMPUTE_PGM_RSRC3_GFX90A:ACCUM_OFFSET: 0
; COMPUTE_PGM_RSRC3_GFX90A:TG_SPLIT: 0
	.section	.text._ZN7rocprim17ROCPRIM_400000_NS6detail31init_lookback_scan_state_kernelINS1_19lookback_scan_stateIsLb0ELb1EEENS1_16block_id_wrapperIjLb1EEEEEvT_jT0_jPNS7_10value_typeE,"axG",@progbits,_ZN7rocprim17ROCPRIM_400000_NS6detail31init_lookback_scan_state_kernelINS1_19lookback_scan_stateIsLb0ELb1EEENS1_16block_id_wrapperIjLb1EEEEEvT_jT0_jPNS7_10value_typeE,comdat
	.protected	_ZN7rocprim17ROCPRIM_400000_NS6detail31init_lookback_scan_state_kernelINS1_19lookback_scan_stateIsLb0ELb1EEENS1_16block_id_wrapperIjLb1EEEEEvT_jT0_jPNS7_10value_typeE ; -- Begin function _ZN7rocprim17ROCPRIM_400000_NS6detail31init_lookback_scan_state_kernelINS1_19lookback_scan_stateIsLb0ELb1EEENS1_16block_id_wrapperIjLb1EEEEEvT_jT0_jPNS7_10value_typeE
	.globl	_ZN7rocprim17ROCPRIM_400000_NS6detail31init_lookback_scan_state_kernelINS1_19lookback_scan_stateIsLb0ELb1EEENS1_16block_id_wrapperIjLb1EEEEEvT_jT0_jPNS7_10value_typeE
	.p2align	8
	.type	_ZN7rocprim17ROCPRIM_400000_NS6detail31init_lookback_scan_state_kernelINS1_19lookback_scan_stateIsLb0ELb1EEENS1_16block_id_wrapperIjLb1EEEEEvT_jT0_jPNS7_10value_typeE,@function
_ZN7rocprim17ROCPRIM_400000_NS6detail31init_lookback_scan_state_kernelINS1_19lookback_scan_stateIsLb0ELb1EEENS1_16block_id_wrapperIjLb1EEEEEvT_jT0_jPNS7_10value_typeE: ; @_ZN7rocprim17ROCPRIM_400000_NS6detail31init_lookback_scan_state_kernelINS1_19lookback_scan_stateIsLb0ELb1EEENS1_16block_id_wrapperIjLb1EEEEEvT_jT0_jPNS7_10value_typeE
; %bb.0:
	s_load_dword s7, s[4:5], 0x34
	s_load_dwordx2 s[2:3], s[4:5], 0x20
	s_load_dwordx2 s[0:1], s[4:5], 0x0
	s_load_dword s10, s[4:5], 0x8
	s_waitcnt lgkmcnt(0)
	s_and_b32 s7, s7, 0xffff
	s_mul_i32 s6, s6, s7
	s_cmp_eq_u64 s[2:3], 0
	v_add_u32_e32 v0, s6, v0
	s_cbranch_scc1 .LBB942_6
; %bb.1:
	s_load_dword s8, s[4:5], 0x18
	s_mov_b32 s9, 0
	s_waitcnt lgkmcnt(0)
	s_cmp_lt_u32 s8, s10
	s_cselect_b32 s6, s8, 0
	v_cmp_eq_u32_e32 vcc, s6, v0
	s_and_saveexec_b64 s[6:7], vcc
	s_cbranch_execz .LBB942_5
; %bb.2:
	s_add_i32 s8, s8, 64
	s_lshl_b64 s[8:9], s[8:9], 2
	s_add_u32 s8, s0, s8
	s_addc_u32 s9, s1, s9
	v_mov_b32_e32 v2, 0
	global_load_dword v1, v2, s[8:9] glc
	s_waitcnt vmcnt(0)
	v_and_b32_e32 v3, 0xff0000, v1
	v_cmp_ne_u32_e32 vcc, 0, v3
	s_cbranch_vccnz .LBB942_4
.LBB942_3:                              ; =>This Inner Loop Header: Depth=1
	global_load_dword v1, v2, s[8:9] glc
	s_waitcnt vmcnt(0)
	v_and_b32_e32 v3, 0xff0000, v1
	v_cmp_eq_u32_e32 vcc, 0, v3
	s_cbranch_vccnz .LBB942_3
.LBB942_4:
	v_mov_b32_e32 v2, 0
	global_store_short v2, v1, s[2:3]
.LBB942_5:
	s_or_b64 exec, exec, s[6:7]
.LBB942_6:
	v_cmp_eq_u32_e32 vcc, 0, v0
	s_and_saveexec_b64 s[2:3], vcc
	s_cbranch_execnz .LBB942_10
; %bb.7:
	s_or_b64 exec, exec, s[2:3]
	v_cmp_gt_u32_e32 vcc, s10, v0
	s_and_saveexec_b64 s[2:3], vcc
	s_cbranch_execnz .LBB942_11
.LBB942_8:
	s_or_b64 exec, exec, s[2:3]
	v_cmp_gt_u32_e32 vcc, 64, v0
	s_and_saveexec_b64 s[2:3], vcc
	s_cbranch_execnz .LBB942_12
.LBB942_9:
	s_endpgm
.LBB942_10:
	s_load_dwordx2 s[4:5], s[4:5], 0x10
	v_mov_b32_e32 v1, 0
	s_waitcnt lgkmcnt(0)
	global_store_dword v1, v1, s[4:5]
	s_or_b64 exec, exec, s[2:3]
	v_cmp_gt_u32_e32 vcc, s10, v0
	s_and_saveexec_b64 s[2:3], vcc
	s_cbranch_execz .LBB942_8
.LBB942_11:
	v_add_u32_e32 v2, 64, v0
	v_mov_b32_e32 v3, 0
	v_lshlrev_b64 v[4:5], 2, v[2:3]
	v_mov_b32_e32 v1, s1
	v_add_co_u32_e32 v4, vcc, s0, v4
	v_addc_co_u32_e32 v5, vcc, v1, v5, vcc
	global_store_dword v[4:5], v3, off
	s_or_b64 exec, exec, s[2:3]
	v_cmp_gt_u32_e32 vcc, 64, v0
	s_and_saveexec_b64 s[2:3], vcc
	s_cbranch_execz .LBB942_9
.LBB942_12:
	v_mov_b32_e32 v1, 0
	v_lshlrev_b64 v[0:1], 2, v[0:1]
	v_mov_b32_e32 v2, s1
	v_add_co_u32_e32 v0, vcc, s0, v0
	v_addc_co_u32_e32 v1, vcc, v2, v1, vcc
	v_mov_b32_e32 v2, 0xff0000
	global_store_dword v[0:1], v2, off
	s_endpgm
	.section	.rodata,"a",@progbits
	.p2align	6, 0x0
	.amdhsa_kernel _ZN7rocprim17ROCPRIM_400000_NS6detail31init_lookback_scan_state_kernelINS1_19lookback_scan_stateIsLb0ELb1EEENS1_16block_id_wrapperIjLb1EEEEEvT_jT0_jPNS7_10value_typeE
		.amdhsa_group_segment_fixed_size 0
		.amdhsa_private_segment_fixed_size 0
		.amdhsa_kernarg_size 296
		.amdhsa_user_sgpr_count 6
		.amdhsa_user_sgpr_private_segment_buffer 1
		.amdhsa_user_sgpr_dispatch_ptr 0
		.amdhsa_user_sgpr_queue_ptr 0
		.amdhsa_user_sgpr_kernarg_segment_ptr 1
		.amdhsa_user_sgpr_dispatch_id 0
		.amdhsa_user_sgpr_flat_scratch_init 0
		.amdhsa_user_sgpr_kernarg_preload_length 0
		.amdhsa_user_sgpr_kernarg_preload_offset 0
		.amdhsa_user_sgpr_private_segment_size 0
		.amdhsa_uses_dynamic_stack 0
		.amdhsa_system_sgpr_private_segment_wavefront_offset 0
		.amdhsa_system_sgpr_workgroup_id_x 1
		.amdhsa_system_sgpr_workgroup_id_y 0
		.amdhsa_system_sgpr_workgroup_id_z 0
		.amdhsa_system_sgpr_workgroup_info 0
		.amdhsa_system_vgpr_workitem_id 0
		.amdhsa_next_free_vgpr 6
		.amdhsa_next_free_sgpr 11
		.amdhsa_accum_offset 8
		.amdhsa_reserve_vcc 1
		.amdhsa_reserve_flat_scratch 0
		.amdhsa_float_round_mode_32 0
		.amdhsa_float_round_mode_16_64 0
		.amdhsa_float_denorm_mode_32 3
		.amdhsa_float_denorm_mode_16_64 3
		.amdhsa_dx10_clamp 1
		.amdhsa_ieee_mode 1
		.amdhsa_fp16_overflow 0
		.amdhsa_tg_split 0
		.amdhsa_exception_fp_ieee_invalid_op 0
		.amdhsa_exception_fp_denorm_src 0
		.amdhsa_exception_fp_ieee_div_zero 0
		.amdhsa_exception_fp_ieee_overflow 0
		.amdhsa_exception_fp_ieee_underflow 0
		.amdhsa_exception_fp_ieee_inexact 0
		.amdhsa_exception_int_div_zero 0
	.end_amdhsa_kernel
	.section	.text._ZN7rocprim17ROCPRIM_400000_NS6detail31init_lookback_scan_state_kernelINS1_19lookback_scan_stateIsLb0ELb1EEENS1_16block_id_wrapperIjLb1EEEEEvT_jT0_jPNS7_10value_typeE,"axG",@progbits,_ZN7rocprim17ROCPRIM_400000_NS6detail31init_lookback_scan_state_kernelINS1_19lookback_scan_stateIsLb0ELb1EEENS1_16block_id_wrapperIjLb1EEEEEvT_jT0_jPNS7_10value_typeE,comdat
.Lfunc_end942:
	.size	_ZN7rocprim17ROCPRIM_400000_NS6detail31init_lookback_scan_state_kernelINS1_19lookback_scan_stateIsLb0ELb1EEENS1_16block_id_wrapperIjLb1EEEEEvT_jT0_jPNS7_10value_typeE, .Lfunc_end942-_ZN7rocprim17ROCPRIM_400000_NS6detail31init_lookback_scan_state_kernelINS1_19lookback_scan_stateIsLb0ELb1EEENS1_16block_id_wrapperIjLb1EEEEEvT_jT0_jPNS7_10value_typeE
                                        ; -- End function
	.section	.AMDGPU.csdata,"",@progbits
; Kernel info:
; codeLenInByte = 372
; NumSgprs: 15
; NumVgprs: 6
; NumAgprs: 0
; TotalNumVgprs: 6
; ScratchSize: 0
; MemoryBound: 0
; FloatMode: 240
; IeeeMode: 1
; LDSByteSize: 0 bytes/workgroup (compile time only)
; SGPRBlocks: 1
; VGPRBlocks: 0
; NumSGPRsForWavesPerEU: 15
; NumVGPRsForWavesPerEU: 6
; AccumOffset: 8
; Occupancy: 8
; WaveLimiterHint : 0
; COMPUTE_PGM_RSRC2:SCRATCH_EN: 0
; COMPUTE_PGM_RSRC2:USER_SGPR: 6
; COMPUTE_PGM_RSRC2:TRAP_HANDLER: 0
; COMPUTE_PGM_RSRC2:TGID_X_EN: 1
; COMPUTE_PGM_RSRC2:TGID_Y_EN: 0
; COMPUTE_PGM_RSRC2:TGID_Z_EN: 0
; COMPUTE_PGM_RSRC2:TIDIG_COMP_CNT: 0
; COMPUTE_PGM_RSRC3_GFX90A:ACCUM_OFFSET: 1
; COMPUTE_PGM_RSRC3_GFX90A:TG_SPLIT: 0
	.section	.text._ZN7rocprim17ROCPRIM_400000_NS6detail17trampoline_kernelINS0_14default_configENS1_20scan_config_selectorIsEEZZNS1_9scan_implILNS1_25lookback_scan_determinismE0ELb0ELb0ES3_N6thrust23THRUST_200600_302600_NS6detail15normal_iteratorINS9_10device_ptrIsEEEESE_sNS9_4plusIvEEsEEDaPvRmT3_T4_T5_mT6_P12ihipStream_tbENKUlT_T0_E_clISt17integral_constantIbLb0EEST_IbLb1EEEEDaSP_SQ_EUlSP_E_NS1_11comp_targetILNS1_3genE0ELNS1_11target_archE4294967295ELNS1_3gpuE0ELNS1_3repE0EEENS1_30default_config_static_selectorELNS0_4arch9wavefront6targetE1EEEvT1_,"axG",@progbits,_ZN7rocprim17ROCPRIM_400000_NS6detail17trampoline_kernelINS0_14default_configENS1_20scan_config_selectorIsEEZZNS1_9scan_implILNS1_25lookback_scan_determinismE0ELb0ELb0ES3_N6thrust23THRUST_200600_302600_NS6detail15normal_iteratorINS9_10device_ptrIsEEEESE_sNS9_4plusIvEEsEEDaPvRmT3_T4_T5_mT6_P12ihipStream_tbENKUlT_T0_E_clISt17integral_constantIbLb0EEST_IbLb1EEEEDaSP_SQ_EUlSP_E_NS1_11comp_targetILNS1_3genE0ELNS1_11target_archE4294967295ELNS1_3gpuE0ELNS1_3repE0EEENS1_30default_config_static_selectorELNS0_4arch9wavefront6targetE1EEEvT1_,comdat
	.protected	_ZN7rocprim17ROCPRIM_400000_NS6detail17trampoline_kernelINS0_14default_configENS1_20scan_config_selectorIsEEZZNS1_9scan_implILNS1_25lookback_scan_determinismE0ELb0ELb0ES3_N6thrust23THRUST_200600_302600_NS6detail15normal_iteratorINS9_10device_ptrIsEEEESE_sNS9_4plusIvEEsEEDaPvRmT3_T4_T5_mT6_P12ihipStream_tbENKUlT_T0_E_clISt17integral_constantIbLb0EEST_IbLb1EEEEDaSP_SQ_EUlSP_E_NS1_11comp_targetILNS1_3genE0ELNS1_11target_archE4294967295ELNS1_3gpuE0ELNS1_3repE0EEENS1_30default_config_static_selectorELNS0_4arch9wavefront6targetE1EEEvT1_ ; -- Begin function _ZN7rocprim17ROCPRIM_400000_NS6detail17trampoline_kernelINS0_14default_configENS1_20scan_config_selectorIsEEZZNS1_9scan_implILNS1_25lookback_scan_determinismE0ELb0ELb0ES3_N6thrust23THRUST_200600_302600_NS6detail15normal_iteratorINS9_10device_ptrIsEEEESE_sNS9_4plusIvEEsEEDaPvRmT3_T4_T5_mT6_P12ihipStream_tbENKUlT_T0_E_clISt17integral_constantIbLb0EEST_IbLb1EEEEDaSP_SQ_EUlSP_E_NS1_11comp_targetILNS1_3genE0ELNS1_11target_archE4294967295ELNS1_3gpuE0ELNS1_3repE0EEENS1_30default_config_static_selectorELNS0_4arch9wavefront6targetE1EEEvT1_
	.globl	_ZN7rocprim17ROCPRIM_400000_NS6detail17trampoline_kernelINS0_14default_configENS1_20scan_config_selectorIsEEZZNS1_9scan_implILNS1_25lookback_scan_determinismE0ELb0ELb0ES3_N6thrust23THRUST_200600_302600_NS6detail15normal_iteratorINS9_10device_ptrIsEEEESE_sNS9_4plusIvEEsEEDaPvRmT3_T4_T5_mT6_P12ihipStream_tbENKUlT_T0_E_clISt17integral_constantIbLb0EEST_IbLb1EEEEDaSP_SQ_EUlSP_E_NS1_11comp_targetILNS1_3genE0ELNS1_11target_archE4294967295ELNS1_3gpuE0ELNS1_3repE0EEENS1_30default_config_static_selectorELNS0_4arch9wavefront6targetE1EEEvT1_
	.p2align	8
	.type	_ZN7rocprim17ROCPRIM_400000_NS6detail17trampoline_kernelINS0_14default_configENS1_20scan_config_selectorIsEEZZNS1_9scan_implILNS1_25lookback_scan_determinismE0ELb0ELb0ES3_N6thrust23THRUST_200600_302600_NS6detail15normal_iteratorINS9_10device_ptrIsEEEESE_sNS9_4plusIvEEsEEDaPvRmT3_T4_T5_mT6_P12ihipStream_tbENKUlT_T0_E_clISt17integral_constantIbLb0EEST_IbLb1EEEEDaSP_SQ_EUlSP_E_NS1_11comp_targetILNS1_3genE0ELNS1_11target_archE4294967295ELNS1_3gpuE0ELNS1_3repE0EEENS1_30default_config_static_selectorELNS0_4arch9wavefront6targetE1EEEvT1_,@function
_ZN7rocprim17ROCPRIM_400000_NS6detail17trampoline_kernelINS0_14default_configENS1_20scan_config_selectorIsEEZZNS1_9scan_implILNS1_25lookback_scan_determinismE0ELb0ELb0ES3_N6thrust23THRUST_200600_302600_NS6detail15normal_iteratorINS9_10device_ptrIsEEEESE_sNS9_4plusIvEEsEEDaPvRmT3_T4_T5_mT6_P12ihipStream_tbENKUlT_T0_E_clISt17integral_constantIbLb0EEST_IbLb1EEEEDaSP_SQ_EUlSP_E_NS1_11comp_targetILNS1_3genE0ELNS1_11target_archE4294967295ELNS1_3gpuE0ELNS1_3repE0EEENS1_30default_config_static_selectorELNS0_4arch9wavefront6targetE1EEEvT1_: ; @_ZN7rocprim17ROCPRIM_400000_NS6detail17trampoline_kernelINS0_14default_configENS1_20scan_config_selectorIsEEZZNS1_9scan_implILNS1_25lookback_scan_determinismE0ELb0ELb0ES3_N6thrust23THRUST_200600_302600_NS6detail15normal_iteratorINS9_10device_ptrIsEEEESE_sNS9_4plusIvEEsEEDaPvRmT3_T4_T5_mT6_P12ihipStream_tbENKUlT_T0_E_clISt17integral_constantIbLb0EEST_IbLb1EEEEDaSP_SQ_EUlSP_E_NS1_11comp_targetILNS1_3genE0ELNS1_11target_archE4294967295ELNS1_3gpuE0ELNS1_3repE0EEENS1_30default_config_static_selectorELNS0_4arch9wavefront6targetE1EEEvT1_
; %bb.0:
	.section	.rodata,"a",@progbits
	.p2align	6, 0x0
	.amdhsa_kernel _ZN7rocprim17ROCPRIM_400000_NS6detail17trampoline_kernelINS0_14default_configENS1_20scan_config_selectorIsEEZZNS1_9scan_implILNS1_25lookback_scan_determinismE0ELb0ELb0ES3_N6thrust23THRUST_200600_302600_NS6detail15normal_iteratorINS9_10device_ptrIsEEEESE_sNS9_4plusIvEEsEEDaPvRmT3_T4_T5_mT6_P12ihipStream_tbENKUlT_T0_E_clISt17integral_constantIbLb0EEST_IbLb1EEEEDaSP_SQ_EUlSP_E_NS1_11comp_targetILNS1_3genE0ELNS1_11target_archE4294967295ELNS1_3gpuE0ELNS1_3repE0EEENS1_30default_config_static_selectorELNS0_4arch9wavefront6targetE1EEEvT1_
		.amdhsa_group_segment_fixed_size 0
		.amdhsa_private_segment_fixed_size 0
		.amdhsa_kernarg_size 96
		.amdhsa_user_sgpr_count 6
		.amdhsa_user_sgpr_private_segment_buffer 1
		.amdhsa_user_sgpr_dispatch_ptr 0
		.amdhsa_user_sgpr_queue_ptr 0
		.amdhsa_user_sgpr_kernarg_segment_ptr 1
		.amdhsa_user_sgpr_dispatch_id 0
		.amdhsa_user_sgpr_flat_scratch_init 0
		.amdhsa_user_sgpr_kernarg_preload_length 0
		.amdhsa_user_sgpr_kernarg_preload_offset 0
		.amdhsa_user_sgpr_private_segment_size 0
		.amdhsa_uses_dynamic_stack 0
		.amdhsa_system_sgpr_private_segment_wavefront_offset 0
		.amdhsa_system_sgpr_workgroup_id_x 1
		.amdhsa_system_sgpr_workgroup_id_y 0
		.amdhsa_system_sgpr_workgroup_id_z 0
		.amdhsa_system_sgpr_workgroup_info 0
		.amdhsa_system_vgpr_workitem_id 0
		.amdhsa_next_free_vgpr 1
		.amdhsa_next_free_sgpr 0
		.amdhsa_accum_offset 4
		.amdhsa_reserve_vcc 0
		.amdhsa_reserve_flat_scratch 0
		.amdhsa_float_round_mode_32 0
		.amdhsa_float_round_mode_16_64 0
		.amdhsa_float_denorm_mode_32 3
		.amdhsa_float_denorm_mode_16_64 3
		.amdhsa_dx10_clamp 1
		.amdhsa_ieee_mode 1
		.amdhsa_fp16_overflow 0
		.amdhsa_tg_split 0
		.amdhsa_exception_fp_ieee_invalid_op 0
		.amdhsa_exception_fp_denorm_src 0
		.amdhsa_exception_fp_ieee_div_zero 0
		.amdhsa_exception_fp_ieee_overflow 0
		.amdhsa_exception_fp_ieee_underflow 0
		.amdhsa_exception_fp_ieee_inexact 0
		.amdhsa_exception_int_div_zero 0
	.end_amdhsa_kernel
	.section	.text._ZN7rocprim17ROCPRIM_400000_NS6detail17trampoline_kernelINS0_14default_configENS1_20scan_config_selectorIsEEZZNS1_9scan_implILNS1_25lookback_scan_determinismE0ELb0ELb0ES3_N6thrust23THRUST_200600_302600_NS6detail15normal_iteratorINS9_10device_ptrIsEEEESE_sNS9_4plusIvEEsEEDaPvRmT3_T4_T5_mT6_P12ihipStream_tbENKUlT_T0_E_clISt17integral_constantIbLb0EEST_IbLb1EEEEDaSP_SQ_EUlSP_E_NS1_11comp_targetILNS1_3genE0ELNS1_11target_archE4294967295ELNS1_3gpuE0ELNS1_3repE0EEENS1_30default_config_static_selectorELNS0_4arch9wavefront6targetE1EEEvT1_,"axG",@progbits,_ZN7rocprim17ROCPRIM_400000_NS6detail17trampoline_kernelINS0_14default_configENS1_20scan_config_selectorIsEEZZNS1_9scan_implILNS1_25lookback_scan_determinismE0ELb0ELb0ES3_N6thrust23THRUST_200600_302600_NS6detail15normal_iteratorINS9_10device_ptrIsEEEESE_sNS9_4plusIvEEsEEDaPvRmT3_T4_T5_mT6_P12ihipStream_tbENKUlT_T0_E_clISt17integral_constantIbLb0EEST_IbLb1EEEEDaSP_SQ_EUlSP_E_NS1_11comp_targetILNS1_3genE0ELNS1_11target_archE4294967295ELNS1_3gpuE0ELNS1_3repE0EEENS1_30default_config_static_selectorELNS0_4arch9wavefront6targetE1EEEvT1_,comdat
.Lfunc_end943:
	.size	_ZN7rocprim17ROCPRIM_400000_NS6detail17trampoline_kernelINS0_14default_configENS1_20scan_config_selectorIsEEZZNS1_9scan_implILNS1_25lookback_scan_determinismE0ELb0ELb0ES3_N6thrust23THRUST_200600_302600_NS6detail15normal_iteratorINS9_10device_ptrIsEEEESE_sNS9_4plusIvEEsEEDaPvRmT3_T4_T5_mT6_P12ihipStream_tbENKUlT_T0_E_clISt17integral_constantIbLb0EEST_IbLb1EEEEDaSP_SQ_EUlSP_E_NS1_11comp_targetILNS1_3genE0ELNS1_11target_archE4294967295ELNS1_3gpuE0ELNS1_3repE0EEENS1_30default_config_static_selectorELNS0_4arch9wavefront6targetE1EEEvT1_, .Lfunc_end943-_ZN7rocprim17ROCPRIM_400000_NS6detail17trampoline_kernelINS0_14default_configENS1_20scan_config_selectorIsEEZZNS1_9scan_implILNS1_25lookback_scan_determinismE0ELb0ELb0ES3_N6thrust23THRUST_200600_302600_NS6detail15normal_iteratorINS9_10device_ptrIsEEEESE_sNS9_4plusIvEEsEEDaPvRmT3_T4_T5_mT6_P12ihipStream_tbENKUlT_T0_E_clISt17integral_constantIbLb0EEST_IbLb1EEEEDaSP_SQ_EUlSP_E_NS1_11comp_targetILNS1_3genE0ELNS1_11target_archE4294967295ELNS1_3gpuE0ELNS1_3repE0EEENS1_30default_config_static_selectorELNS0_4arch9wavefront6targetE1EEEvT1_
                                        ; -- End function
	.section	.AMDGPU.csdata,"",@progbits
; Kernel info:
; codeLenInByte = 0
; NumSgprs: 4
; NumVgprs: 0
; NumAgprs: 0
; TotalNumVgprs: 0
; ScratchSize: 0
; MemoryBound: 0
; FloatMode: 240
; IeeeMode: 1
; LDSByteSize: 0 bytes/workgroup (compile time only)
; SGPRBlocks: 0
; VGPRBlocks: 0
; NumSGPRsForWavesPerEU: 4
; NumVGPRsForWavesPerEU: 1
; AccumOffset: 4
; Occupancy: 8
; WaveLimiterHint : 0
; COMPUTE_PGM_RSRC2:SCRATCH_EN: 0
; COMPUTE_PGM_RSRC2:USER_SGPR: 6
; COMPUTE_PGM_RSRC2:TRAP_HANDLER: 0
; COMPUTE_PGM_RSRC2:TGID_X_EN: 1
; COMPUTE_PGM_RSRC2:TGID_Y_EN: 0
; COMPUTE_PGM_RSRC2:TGID_Z_EN: 0
; COMPUTE_PGM_RSRC2:TIDIG_COMP_CNT: 0
; COMPUTE_PGM_RSRC3_GFX90A:ACCUM_OFFSET: 0
; COMPUTE_PGM_RSRC3_GFX90A:TG_SPLIT: 0
	.section	.text._ZN7rocprim17ROCPRIM_400000_NS6detail17trampoline_kernelINS0_14default_configENS1_20scan_config_selectorIsEEZZNS1_9scan_implILNS1_25lookback_scan_determinismE0ELb0ELb0ES3_N6thrust23THRUST_200600_302600_NS6detail15normal_iteratorINS9_10device_ptrIsEEEESE_sNS9_4plusIvEEsEEDaPvRmT3_T4_T5_mT6_P12ihipStream_tbENKUlT_T0_E_clISt17integral_constantIbLb0EEST_IbLb1EEEEDaSP_SQ_EUlSP_E_NS1_11comp_targetILNS1_3genE5ELNS1_11target_archE942ELNS1_3gpuE9ELNS1_3repE0EEENS1_30default_config_static_selectorELNS0_4arch9wavefront6targetE1EEEvT1_,"axG",@progbits,_ZN7rocprim17ROCPRIM_400000_NS6detail17trampoline_kernelINS0_14default_configENS1_20scan_config_selectorIsEEZZNS1_9scan_implILNS1_25lookback_scan_determinismE0ELb0ELb0ES3_N6thrust23THRUST_200600_302600_NS6detail15normal_iteratorINS9_10device_ptrIsEEEESE_sNS9_4plusIvEEsEEDaPvRmT3_T4_T5_mT6_P12ihipStream_tbENKUlT_T0_E_clISt17integral_constantIbLb0EEST_IbLb1EEEEDaSP_SQ_EUlSP_E_NS1_11comp_targetILNS1_3genE5ELNS1_11target_archE942ELNS1_3gpuE9ELNS1_3repE0EEENS1_30default_config_static_selectorELNS0_4arch9wavefront6targetE1EEEvT1_,comdat
	.protected	_ZN7rocprim17ROCPRIM_400000_NS6detail17trampoline_kernelINS0_14default_configENS1_20scan_config_selectorIsEEZZNS1_9scan_implILNS1_25lookback_scan_determinismE0ELb0ELb0ES3_N6thrust23THRUST_200600_302600_NS6detail15normal_iteratorINS9_10device_ptrIsEEEESE_sNS9_4plusIvEEsEEDaPvRmT3_T4_T5_mT6_P12ihipStream_tbENKUlT_T0_E_clISt17integral_constantIbLb0EEST_IbLb1EEEEDaSP_SQ_EUlSP_E_NS1_11comp_targetILNS1_3genE5ELNS1_11target_archE942ELNS1_3gpuE9ELNS1_3repE0EEENS1_30default_config_static_selectorELNS0_4arch9wavefront6targetE1EEEvT1_ ; -- Begin function _ZN7rocprim17ROCPRIM_400000_NS6detail17trampoline_kernelINS0_14default_configENS1_20scan_config_selectorIsEEZZNS1_9scan_implILNS1_25lookback_scan_determinismE0ELb0ELb0ES3_N6thrust23THRUST_200600_302600_NS6detail15normal_iteratorINS9_10device_ptrIsEEEESE_sNS9_4plusIvEEsEEDaPvRmT3_T4_T5_mT6_P12ihipStream_tbENKUlT_T0_E_clISt17integral_constantIbLb0EEST_IbLb1EEEEDaSP_SQ_EUlSP_E_NS1_11comp_targetILNS1_3genE5ELNS1_11target_archE942ELNS1_3gpuE9ELNS1_3repE0EEENS1_30default_config_static_selectorELNS0_4arch9wavefront6targetE1EEEvT1_
	.globl	_ZN7rocprim17ROCPRIM_400000_NS6detail17trampoline_kernelINS0_14default_configENS1_20scan_config_selectorIsEEZZNS1_9scan_implILNS1_25lookback_scan_determinismE0ELb0ELb0ES3_N6thrust23THRUST_200600_302600_NS6detail15normal_iteratorINS9_10device_ptrIsEEEESE_sNS9_4plusIvEEsEEDaPvRmT3_T4_T5_mT6_P12ihipStream_tbENKUlT_T0_E_clISt17integral_constantIbLb0EEST_IbLb1EEEEDaSP_SQ_EUlSP_E_NS1_11comp_targetILNS1_3genE5ELNS1_11target_archE942ELNS1_3gpuE9ELNS1_3repE0EEENS1_30default_config_static_selectorELNS0_4arch9wavefront6targetE1EEEvT1_
	.p2align	8
	.type	_ZN7rocprim17ROCPRIM_400000_NS6detail17trampoline_kernelINS0_14default_configENS1_20scan_config_selectorIsEEZZNS1_9scan_implILNS1_25lookback_scan_determinismE0ELb0ELb0ES3_N6thrust23THRUST_200600_302600_NS6detail15normal_iteratorINS9_10device_ptrIsEEEESE_sNS9_4plusIvEEsEEDaPvRmT3_T4_T5_mT6_P12ihipStream_tbENKUlT_T0_E_clISt17integral_constantIbLb0EEST_IbLb1EEEEDaSP_SQ_EUlSP_E_NS1_11comp_targetILNS1_3genE5ELNS1_11target_archE942ELNS1_3gpuE9ELNS1_3repE0EEENS1_30default_config_static_selectorELNS0_4arch9wavefront6targetE1EEEvT1_,@function
_ZN7rocprim17ROCPRIM_400000_NS6detail17trampoline_kernelINS0_14default_configENS1_20scan_config_selectorIsEEZZNS1_9scan_implILNS1_25lookback_scan_determinismE0ELb0ELb0ES3_N6thrust23THRUST_200600_302600_NS6detail15normal_iteratorINS9_10device_ptrIsEEEESE_sNS9_4plusIvEEsEEDaPvRmT3_T4_T5_mT6_P12ihipStream_tbENKUlT_T0_E_clISt17integral_constantIbLb0EEST_IbLb1EEEEDaSP_SQ_EUlSP_E_NS1_11comp_targetILNS1_3genE5ELNS1_11target_archE942ELNS1_3gpuE9ELNS1_3repE0EEENS1_30default_config_static_selectorELNS0_4arch9wavefront6targetE1EEEvT1_: ; @_ZN7rocprim17ROCPRIM_400000_NS6detail17trampoline_kernelINS0_14default_configENS1_20scan_config_selectorIsEEZZNS1_9scan_implILNS1_25lookback_scan_determinismE0ELb0ELb0ES3_N6thrust23THRUST_200600_302600_NS6detail15normal_iteratorINS9_10device_ptrIsEEEESE_sNS9_4plusIvEEsEEDaPvRmT3_T4_T5_mT6_P12ihipStream_tbENKUlT_T0_E_clISt17integral_constantIbLb0EEST_IbLb1EEEEDaSP_SQ_EUlSP_E_NS1_11comp_targetILNS1_3genE5ELNS1_11target_archE942ELNS1_3gpuE9ELNS1_3repE0EEENS1_30default_config_static_selectorELNS0_4arch9wavefront6targetE1EEEvT1_
; %bb.0:
	.section	.rodata,"a",@progbits
	.p2align	6, 0x0
	.amdhsa_kernel _ZN7rocprim17ROCPRIM_400000_NS6detail17trampoline_kernelINS0_14default_configENS1_20scan_config_selectorIsEEZZNS1_9scan_implILNS1_25lookback_scan_determinismE0ELb0ELb0ES3_N6thrust23THRUST_200600_302600_NS6detail15normal_iteratorINS9_10device_ptrIsEEEESE_sNS9_4plusIvEEsEEDaPvRmT3_T4_T5_mT6_P12ihipStream_tbENKUlT_T0_E_clISt17integral_constantIbLb0EEST_IbLb1EEEEDaSP_SQ_EUlSP_E_NS1_11comp_targetILNS1_3genE5ELNS1_11target_archE942ELNS1_3gpuE9ELNS1_3repE0EEENS1_30default_config_static_selectorELNS0_4arch9wavefront6targetE1EEEvT1_
		.amdhsa_group_segment_fixed_size 0
		.amdhsa_private_segment_fixed_size 0
		.amdhsa_kernarg_size 96
		.amdhsa_user_sgpr_count 6
		.amdhsa_user_sgpr_private_segment_buffer 1
		.amdhsa_user_sgpr_dispatch_ptr 0
		.amdhsa_user_sgpr_queue_ptr 0
		.amdhsa_user_sgpr_kernarg_segment_ptr 1
		.amdhsa_user_sgpr_dispatch_id 0
		.amdhsa_user_sgpr_flat_scratch_init 0
		.amdhsa_user_sgpr_kernarg_preload_length 0
		.amdhsa_user_sgpr_kernarg_preload_offset 0
		.amdhsa_user_sgpr_private_segment_size 0
		.amdhsa_uses_dynamic_stack 0
		.amdhsa_system_sgpr_private_segment_wavefront_offset 0
		.amdhsa_system_sgpr_workgroup_id_x 1
		.amdhsa_system_sgpr_workgroup_id_y 0
		.amdhsa_system_sgpr_workgroup_id_z 0
		.amdhsa_system_sgpr_workgroup_info 0
		.amdhsa_system_vgpr_workitem_id 0
		.amdhsa_next_free_vgpr 1
		.amdhsa_next_free_sgpr 0
		.amdhsa_accum_offset 4
		.amdhsa_reserve_vcc 0
		.amdhsa_reserve_flat_scratch 0
		.amdhsa_float_round_mode_32 0
		.amdhsa_float_round_mode_16_64 0
		.amdhsa_float_denorm_mode_32 3
		.amdhsa_float_denorm_mode_16_64 3
		.amdhsa_dx10_clamp 1
		.amdhsa_ieee_mode 1
		.amdhsa_fp16_overflow 0
		.amdhsa_tg_split 0
		.amdhsa_exception_fp_ieee_invalid_op 0
		.amdhsa_exception_fp_denorm_src 0
		.amdhsa_exception_fp_ieee_div_zero 0
		.amdhsa_exception_fp_ieee_overflow 0
		.amdhsa_exception_fp_ieee_underflow 0
		.amdhsa_exception_fp_ieee_inexact 0
		.amdhsa_exception_int_div_zero 0
	.end_amdhsa_kernel
	.section	.text._ZN7rocprim17ROCPRIM_400000_NS6detail17trampoline_kernelINS0_14default_configENS1_20scan_config_selectorIsEEZZNS1_9scan_implILNS1_25lookback_scan_determinismE0ELb0ELb0ES3_N6thrust23THRUST_200600_302600_NS6detail15normal_iteratorINS9_10device_ptrIsEEEESE_sNS9_4plusIvEEsEEDaPvRmT3_T4_T5_mT6_P12ihipStream_tbENKUlT_T0_E_clISt17integral_constantIbLb0EEST_IbLb1EEEEDaSP_SQ_EUlSP_E_NS1_11comp_targetILNS1_3genE5ELNS1_11target_archE942ELNS1_3gpuE9ELNS1_3repE0EEENS1_30default_config_static_selectorELNS0_4arch9wavefront6targetE1EEEvT1_,"axG",@progbits,_ZN7rocprim17ROCPRIM_400000_NS6detail17trampoline_kernelINS0_14default_configENS1_20scan_config_selectorIsEEZZNS1_9scan_implILNS1_25lookback_scan_determinismE0ELb0ELb0ES3_N6thrust23THRUST_200600_302600_NS6detail15normal_iteratorINS9_10device_ptrIsEEEESE_sNS9_4plusIvEEsEEDaPvRmT3_T4_T5_mT6_P12ihipStream_tbENKUlT_T0_E_clISt17integral_constantIbLb0EEST_IbLb1EEEEDaSP_SQ_EUlSP_E_NS1_11comp_targetILNS1_3genE5ELNS1_11target_archE942ELNS1_3gpuE9ELNS1_3repE0EEENS1_30default_config_static_selectorELNS0_4arch9wavefront6targetE1EEEvT1_,comdat
.Lfunc_end944:
	.size	_ZN7rocprim17ROCPRIM_400000_NS6detail17trampoline_kernelINS0_14default_configENS1_20scan_config_selectorIsEEZZNS1_9scan_implILNS1_25lookback_scan_determinismE0ELb0ELb0ES3_N6thrust23THRUST_200600_302600_NS6detail15normal_iteratorINS9_10device_ptrIsEEEESE_sNS9_4plusIvEEsEEDaPvRmT3_T4_T5_mT6_P12ihipStream_tbENKUlT_T0_E_clISt17integral_constantIbLb0EEST_IbLb1EEEEDaSP_SQ_EUlSP_E_NS1_11comp_targetILNS1_3genE5ELNS1_11target_archE942ELNS1_3gpuE9ELNS1_3repE0EEENS1_30default_config_static_selectorELNS0_4arch9wavefront6targetE1EEEvT1_, .Lfunc_end944-_ZN7rocprim17ROCPRIM_400000_NS6detail17trampoline_kernelINS0_14default_configENS1_20scan_config_selectorIsEEZZNS1_9scan_implILNS1_25lookback_scan_determinismE0ELb0ELb0ES3_N6thrust23THRUST_200600_302600_NS6detail15normal_iteratorINS9_10device_ptrIsEEEESE_sNS9_4plusIvEEsEEDaPvRmT3_T4_T5_mT6_P12ihipStream_tbENKUlT_T0_E_clISt17integral_constantIbLb0EEST_IbLb1EEEEDaSP_SQ_EUlSP_E_NS1_11comp_targetILNS1_3genE5ELNS1_11target_archE942ELNS1_3gpuE9ELNS1_3repE0EEENS1_30default_config_static_selectorELNS0_4arch9wavefront6targetE1EEEvT1_
                                        ; -- End function
	.section	.AMDGPU.csdata,"",@progbits
; Kernel info:
; codeLenInByte = 0
; NumSgprs: 4
; NumVgprs: 0
; NumAgprs: 0
; TotalNumVgprs: 0
; ScratchSize: 0
; MemoryBound: 0
; FloatMode: 240
; IeeeMode: 1
; LDSByteSize: 0 bytes/workgroup (compile time only)
; SGPRBlocks: 0
; VGPRBlocks: 0
; NumSGPRsForWavesPerEU: 4
; NumVGPRsForWavesPerEU: 1
; AccumOffset: 4
; Occupancy: 8
; WaveLimiterHint : 0
; COMPUTE_PGM_RSRC2:SCRATCH_EN: 0
; COMPUTE_PGM_RSRC2:USER_SGPR: 6
; COMPUTE_PGM_RSRC2:TRAP_HANDLER: 0
; COMPUTE_PGM_RSRC2:TGID_X_EN: 1
; COMPUTE_PGM_RSRC2:TGID_Y_EN: 0
; COMPUTE_PGM_RSRC2:TGID_Z_EN: 0
; COMPUTE_PGM_RSRC2:TIDIG_COMP_CNT: 0
; COMPUTE_PGM_RSRC3_GFX90A:ACCUM_OFFSET: 0
; COMPUTE_PGM_RSRC3_GFX90A:TG_SPLIT: 0
	.section	.text._ZN7rocprim17ROCPRIM_400000_NS6detail17trampoline_kernelINS0_14default_configENS1_20scan_config_selectorIsEEZZNS1_9scan_implILNS1_25lookback_scan_determinismE0ELb0ELb0ES3_N6thrust23THRUST_200600_302600_NS6detail15normal_iteratorINS9_10device_ptrIsEEEESE_sNS9_4plusIvEEsEEDaPvRmT3_T4_T5_mT6_P12ihipStream_tbENKUlT_T0_E_clISt17integral_constantIbLb0EEST_IbLb1EEEEDaSP_SQ_EUlSP_E_NS1_11comp_targetILNS1_3genE4ELNS1_11target_archE910ELNS1_3gpuE8ELNS1_3repE0EEENS1_30default_config_static_selectorELNS0_4arch9wavefront6targetE1EEEvT1_,"axG",@progbits,_ZN7rocprim17ROCPRIM_400000_NS6detail17trampoline_kernelINS0_14default_configENS1_20scan_config_selectorIsEEZZNS1_9scan_implILNS1_25lookback_scan_determinismE0ELb0ELb0ES3_N6thrust23THRUST_200600_302600_NS6detail15normal_iteratorINS9_10device_ptrIsEEEESE_sNS9_4plusIvEEsEEDaPvRmT3_T4_T5_mT6_P12ihipStream_tbENKUlT_T0_E_clISt17integral_constantIbLb0EEST_IbLb1EEEEDaSP_SQ_EUlSP_E_NS1_11comp_targetILNS1_3genE4ELNS1_11target_archE910ELNS1_3gpuE8ELNS1_3repE0EEENS1_30default_config_static_selectorELNS0_4arch9wavefront6targetE1EEEvT1_,comdat
	.protected	_ZN7rocprim17ROCPRIM_400000_NS6detail17trampoline_kernelINS0_14default_configENS1_20scan_config_selectorIsEEZZNS1_9scan_implILNS1_25lookback_scan_determinismE0ELb0ELb0ES3_N6thrust23THRUST_200600_302600_NS6detail15normal_iteratorINS9_10device_ptrIsEEEESE_sNS9_4plusIvEEsEEDaPvRmT3_T4_T5_mT6_P12ihipStream_tbENKUlT_T0_E_clISt17integral_constantIbLb0EEST_IbLb1EEEEDaSP_SQ_EUlSP_E_NS1_11comp_targetILNS1_3genE4ELNS1_11target_archE910ELNS1_3gpuE8ELNS1_3repE0EEENS1_30default_config_static_selectorELNS0_4arch9wavefront6targetE1EEEvT1_ ; -- Begin function _ZN7rocprim17ROCPRIM_400000_NS6detail17trampoline_kernelINS0_14default_configENS1_20scan_config_selectorIsEEZZNS1_9scan_implILNS1_25lookback_scan_determinismE0ELb0ELb0ES3_N6thrust23THRUST_200600_302600_NS6detail15normal_iteratorINS9_10device_ptrIsEEEESE_sNS9_4plusIvEEsEEDaPvRmT3_T4_T5_mT6_P12ihipStream_tbENKUlT_T0_E_clISt17integral_constantIbLb0EEST_IbLb1EEEEDaSP_SQ_EUlSP_E_NS1_11comp_targetILNS1_3genE4ELNS1_11target_archE910ELNS1_3gpuE8ELNS1_3repE0EEENS1_30default_config_static_selectorELNS0_4arch9wavefront6targetE1EEEvT1_
	.globl	_ZN7rocprim17ROCPRIM_400000_NS6detail17trampoline_kernelINS0_14default_configENS1_20scan_config_selectorIsEEZZNS1_9scan_implILNS1_25lookback_scan_determinismE0ELb0ELb0ES3_N6thrust23THRUST_200600_302600_NS6detail15normal_iteratorINS9_10device_ptrIsEEEESE_sNS9_4plusIvEEsEEDaPvRmT3_T4_T5_mT6_P12ihipStream_tbENKUlT_T0_E_clISt17integral_constantIbLb0EEST_IbLb1EEEEDaSP_SQ_EUlSP_E_NS1_11comp_targetILNS1_3genE4ELNS1_11target_archE910ELNS1_3gpuE8ELNS1_3repE0EEENS1_30default_config_static_selectorELNS0_4arch9wavefront6targetE1EEEvT1_
	.p2align	8
	.type	_ZN7rocprim17ROCPRIM_400000_NS6detail17trampoline_kernelINS0_14default_configENS1_20scan_config_selectorIsEEZZNS1_9scan_implILNS1_25lookback_scan_determinismE0ELb0ELb0ES3_N6thrust23THRUST_200600_302600_NS6detail15normal_iteratorINS9_10device_ptrIsEEEESE_sNS9_4plusIvEEsEEDaPvRmT3_T4_T5_mT6_P12ihipStream_tbENKUlT_T0_E_clISt17integral_constantIbLb0EEST_IbLb1EEEEDaSP_SQ_EUlSP_E_NS1_11comp_targetILNS1_3genE4ELNS1_11target_archE910ELNS1_3gpuE8ELNS1_3repE0EEENS1_30default_config_static_selectorELNS0_4arch9wavefront6targetE1EEEvT1_,@function
_ZN7rocprim17ROCPRIM_400000_NS6detail17trampoline_kernelINS0_14default_configENS1_20scan_config_selectorIsEEZZNS1_9scan_implILNS1_25lookback_scan_determinismE0ELb0ELb0ES3_N6thrust23THRUST_200600_302600_NS6detail15normal_iteratorINS9_10device_ptrIsEEEESE_sNS9_4plusIvEEsEEDaPvRmT3_T4_T5_mT6_P12ihipStream_tbENKUlT_T0_E_clISt17integral_constantIbLb0EEST_IbLb1EEEEDaSP_SQ_EUlSP_E_NS1_11comp_targetILNS1_3genE4ELNS1_11target_archE910ELNS1_3gpuE8ELNS1_3repE0EEENS1_30default_config_static_selectorELNS0_4arch9wavefront6targetE1EEEvT1_: ; @_ZN7rocprim17ROCPRIM_400000_NS6detail17trampoline_kernelINS0_14default_configENS1_20scan_config_selectorIsEEZZNS1_9scan_implILNS1_25lookback_scan_determinismE0ELb0ELb0ES3_N6thrust23THRUST_200600_302600_NS6detail15normal_iteratorINS9_10device_ptrIsEEEESE_sNS9_4plusIvEEsEEDaPvRmT3_T4_T5_mT6_P12ihipStream_tbENKUlT_T0_E_clISt17integral_constantIbLb0EEST_IbLb1EEEEDaSP_SQ_EUlSP_E_NS1_11comp_targetILNS1_3genE4ELNS1_11target_archE910ELNS1_3gpuE8ELNS1_3repE0EEENS1_30default_config_static_selectorELNS0_4arch9wavefront6targetE1EEEvT1_
; %bb.0:
	s_load_dwordx2 s[28:29], s[4:5], 0x28
	v_cmp_ne_u32_e64 s[0:1], 0, v0
	v_cmp_eq_u32_e64 s[2:3], 0, v0
	s_and_saveexec_b64 s[6:7], s[2:3]
	s_cbranch_execz .LBB945_4
; %bb.1:
	s_mov_b64 s[10:11], exec
	v_mbcnt_lo_u32_b32 v1, s10, 0
	v_mbcnt_hi_u32_b32 v1, s11, v1
	v_cmp_eq_u32_e32 vcc, 0, v1
                                        ; implicit-def: $vgpr2
	s_and_saveexec_b64 s[8:9], vcc
	s_cbranch_execz .LBB945_3
; %bb.2:
	s_load_dwordx2 s[12:13], s[4:5], 0x58
	s_bcnt1_i32_b64 s10, s[10:11]
	v_mov_b32_e32 v2, 0
	v_mov_b32_e32 v3, s10
	s_waitcnt lgkmcnt(0)
	global_atomic_add v2, v2, v3, s[12:13] glc
.LBB945_3:
	s_or_b64 exec, exec, s[8:9]
	s_waitcnt vmcnt(0)
	v_readfirstlane_b32 s8, v2
	v_add_u32_e32 v1, s8, v1
	v_mov_b32_e32 v2, 0
	ds_write_b32 v2, v1
.LBB945_4:
	s_or_b64 exec, exec, s[6:7]
	s_load_dwordx8 s[20:27], s[4:5], 0x0
	s_load_dword s6, s[4:5], 0x30
	s_load_dwordx8 s[12:19], s[4:5], 0x38
	v_mov_b32_e32 v1, 0
	s_waitcnt lgkmcnt(0)
	; wave barrier
	s_waitcnt lgkmcnt(0)
	ds_read_b32 v1, v1
	s_lshl_b64 s[10:11], s[22:23], 1
	s_add_u32 s7, s20, s10
	s_addc_u32 s8, s21, s11
	s_add_i32 s6, s6, -1
	s_mul_i32 s9, s6, 0x600
	s_sub_u32 s30, s26, s9
	s_waitcnt lgkmcnt(0)
	v_readfirstlane_b32 s33, v1
	s_subb_u32 s31, s27, 0
	s_mul_i32 s4, s33, 0x600
	s_mov_b32 s5, 0
	s_cmp_lg_u32 s33, s6
	s_cselect_b64 s[20:21], -1, 0
	s_lshl_b64 s[22:23], s[4:5], 1
	s_add_u32 s6, s7, s22
	s_addc_u32 s7, s8, s23
	s_mov_b64 s[4:5], -1
	s_and_b64 vcc, exec, s[20:21]
	v_lshlrev_b32_e32 v20, 1, v0
	s_waitcnt lgkmcnt(0)
	; wave barrier
	s_cbranch_vccz .LBB945_6
; %bb.5:
	v_mov_b32_e32 v1, s7
	v_add_co_u32_e32 v2, vcc, s6, v20
	v_addc_co_u32_e32 v3, vcc, 0, v1, vcc
	flat_load_ushort v1, v[2:3]
	flat_load_ushort v4, v[2:3] offset:128
	flat_load_ushort v5, v[2:3] offset:256
	;; [unrolled: 1-line block ×23, first 2 shown]
	s_mov_b64 s[4:5], 0
	s_waitcnt vmcnt(0) lgkmcnt(0)
	ds_write_b16 v20, v1
	ds_write_b16 v20, v4 offset:128
	ds_write_b16 v20, v5 offset:256
	;; [unrolled: 1-line block ×23, first 2 shown]
	s_waitcnt lgkmcnt(0)
	; wave barrier
.LBB945_6:
	s_andn2_b64 vcc, exec, s[4:5]
	v_cmp_gt_u32_e64 s[4:5], s30, v0
	s_cbranch_vccnz .LBB945_56
; %bb.7:
	v_pk_mov_b32 v[2:3], s[6:7], s[6:7] op_sel:[0,1]
	flat_load_ushort v1, v[2:3]
	s_waitcnt vmcnt(0) lgkmcnt(0)
	v_mov_b32_e32 v2, v1
	s_and_saveexec_b64 s[8:9], s[4:5]
	s_cbranch_execz .LBB945_9
; %bb.8:
	v_mov_b32_e32 v3, s7
	v_add_co_u32_e32 v2, vcc, s6, v20
	v_addc_co_u32_e32 v3, vcc, 0, v3, vcc
	flat_load_ushort v2, v[2:3]
.LBB945_9:
	s_or_b64 exec, exec, s[8:9]
	v_or_b32_e32 v3, 64, v0
	v_cmp_gt_u32_e32 vcc, s30, v3
	v_mov_b32_e32 v3, v1
	s_and_saveexec_b64 s[4:5], vcc
	s_cbranch_execz .LBB945_11
; %bb.10:
	v_mov_b32_e32 v3, s7
	v_add_co_u32_e32 v4, vcc, s6, v20
	v_addc_co_u32_e32 v5, vcc, 0, v3, vcc
	flat_load_ushort v3, v[4:5] offset:128
.LBB945_11:
	s_or_b64 exec, exec, s[4:5]
	v_or_b32_e32 v4, 0x80, v0
	v_cmp_gt_u32_e32 vcc, s30, v4
	v_mov_b32_e32 v4, v1
	s_and_saveexec_b64 s[4:5], vcc
	s_cbranch_execz .LBB945_13
; %bb.12:
	v_mov_b32_e32 v5, s7
	v_add_co_u32_e32 v4, vcc, s6, v20
	v_addc_co_u32_e32 v5, vcc, 0, v5, vcc
	flat_load_ushort v4, v[4:5] offset:256
.LBB945_13:
	;; [unrolled: 12-line block ×22, first 2 shown]
	s_or_b64 exec, exec, s[4:5]
	v_or_b32_e32 v26, 0x5c0, v0
	v_cmp_gt_u32_e32 vcc, s30, v26
	s_and_saveexec_b64 s[4:5], vcc
	s_cbranch_execz .LBB945_55
; %bb.54:
	v_mov_b32_e32 v1, s7
	v_add_co_u32_e32 v26, vcc, s6, v20
	v_addc_co_u32_e32 v27, vcc, 0, v1, vcc
	flat_load_ushort v1, v[26:27] offset:2944
.LBB945_55:
	s_or_b64 exec, exec, s[4:5]
	s_waitcnt vmcnt(0) lgkmcnt(0)
	ds_write_b16 v20, v2
	ds_write_b16 v20, v3 offset:128
	ds_write_b16 v20, v4 offset:256
	;; [unrolled: 1-line block ×23, first 2 shown]
	s_waitcnt lgkmcnt(0)
	; wave barrier
.LBB945_56:
	v_mul_u32_u24_e32 v21, 24, v0
	v_lshlrev_b32_e32 v1, 1, v21
	s_waitcnt lgkmcnt(0)
	ds_read_b128 v[10:13], v1
	ds_read_b128 v[6:9], v1 offset:16
	ds_read_b128 v[2:5], v1 offset:32
	s_cmp_lg_u32 s33, 0
	v_mbcnt_lo_u32_b32 v22, -1, 0
	v_cmp_eq_u32_e32 vcc, 63, v0
	s_waitcnt lgkmcnt(0)
	; wave barrier
	s_waitcnt lgkmcnt(0)
	s_cbranch_scc0 .LBB945_79
; %bb.57:
	v_add_u16_sdwa v14, v10, v10 dst_sel:DWORD dst_unused:UNUSED_PAD src0_sel:WORD_1 src1_sel:DWORD
	v_add_u16_e32 v14, v14, v11
	v_add_u16_sdwa v14, v14, v11 dst_sel:DWORD dst_unused:UNUSED_PAD src0_sel:DWORD src1_sel:WORD_1
	v_add_u16_e32 v14, v14, v12
	v_add_u16_sdwa v14, v14, v12 dst_sel:DWORD dst_unused:UNUSED_PAD src0_sel:DWORD src1_sel:WORD_1
	;; [unrolled: 2-line block ×10, first 2 shown]
	v_add_u16_e32 v14, v14, v5
	v_mbcnt_hi_u32_b32 v15, -1, v22
	v_add_u16_sdwa v14, v14, v5 dst_sel:DWORD dst_unused:UNUSED_PAD src0_sel:DWORD src1_sel:WORD_1
	v_and_b32_e32 v16, 15, v15
	v_cmp_ne_u32_e64 s[4:5], 0, v16
	v_mov_b32_dpp v17, v14 row_shr:1 row_mask:0xf bank_mask:0xf
	v_cndmask_b32_e64 v17, 0, v17, s[4:5]
	v_add_u16_e32 v14, v17, v14
	v_cmp_lt_u32_e64 s[4:5], 1, v16
	s_nop 0
	v_mov_b32_dpp v17, v14 row_shr:2 row_mask:0xf bank_mask:0xf
	v_cndmask_b32_e64 v17, 0, v17, s[4:5]
	v_add_u16_e32 v14, v14, v17
	v_cmp_lt_u32_e64 s[4:5], 3, v16
	s_nop 0
	;; [unrolled: 5-line block ×3, first 2 shown]
	v_mov_b32_dpp v17, v14 row_shr:8 row_mask:0xf bank_mask:0xf
	v_cndmask_b32_e64 v16, 0, v17, s[4:5]
	v_add_u16_e32 v14, v14, v16
	v_and_b32_e32 v17, 16, v15
	v_cmp_ne_u32_e64 s[4:5], 0, v17
	v_mov_b32_dpp v16, v14 row_bcast:15 row_mask:0xf bank_mask:0xf
	v_cndmask_b32_e64 v16, 0, v16, s[4:5]
	v_add_u16_e32 v14, v14, v16
	v_cmp_lt_u32_e64 s[4:5], 31, v15
	s_nop 0
	v_mov_b32_dpp v16, v14 row_bcast:31 row_mask:0xf bank_mask:0xf
	v_cndmask_b32_e64 v16, 0, v16, s[4:5]
	v_add_u16_e32 v14, v14, v16
	s_and_saveexec_b64 s[4:5], vcc
	s_cbranch_execz .LBB945_59
; %bb.58:
	v_mov_b32_e32 v16, 0
	ds_write_b16 v16, v14
.LBB945_59:
	s_or_b64 exec, exec, s[4:5]
	v_add_u32_e32 v16, -1, v15
	v_and_b32_e32 v17, 64, v15
	v_cmp_lt_i32_e32 vcc, v16, v17
	v_cndmask_b32_e32 v16, v16, v15, vcc
	v_lshlrev_b32_e32 v16, 2, v16
	ds_bpermute_b32 v23, v16, v14
	v_cmp_gt_u32_e32 vcc, 64, v0
	s_waitcnt lgkmcnt(0)
	; wave barrier
	s_waitcnt lgkmcnt(0)
	s_and_saveexec_b64 s[26:27], vcc
	s_cbranch_execz .LBB945_78
; %bb.60:
	v_mov_b32_e32 v17, 0
	ds_read_u16 v24, v17
	s_mov_b32 s9, 0
	v_cmp_eq_u32_e64 s[4:5], 0, v15
	s_and_saveexec_b64 s[6:7], s[4:5]
	s_cbranch_execz .LBB945_62
; %bb.61:
	s_add_i32 s8, s33, 64
	s_lshl_b64 s[8:9], s[8:9], 2
	s_add_u32 s8, s28, s8
	s_waitcnt lgkmcnt(0)
	v_or_b32_e32 v14, 0x10000, v24
	s_addc_u32 s9, s29, s9
	global_store_dword v17, v14, s[8:9]
.LBB945_62:
	s_or_b64 exec, exec, s[6:7]
	v_xad_u32 v14, v15, -1, s33
	v_add_u32_e32 v16, 64, v14
	v_lshlrev_b64 v[18:19], 2, v[16:17]
	v_mov_b32_e32 v16, s29
	v_add_co_u32_e32 v18, vcc, s28, v18
	v_addc_co_u32_e32 v19, vcc, v16, v19, vcc
	global_load_dword v37, v[18:19], off glc
	s_waitcnt vmcnt(0)
	v_lshrrev_b32_e32 v26, 16, v37
	v_cmp_eq_u16_sdwa s[8:9], v26, v17 src0_sel:BYTE_0 src1_sel:DWORD
	s_and_saveexec_b64 s[6:7], s[8:9]
	s_cbranch_execz .LBB945_66
; %bb.63:
	s_mov_b64 s[8:9], 0
	v_mov_b32_e32 v16, 0
.LBB945_64:                             ; =>This Inner Loop Header: Depth=1
	global_load_dword v37, v[18:19], off glc
	s_waitcnt vmcnt(0)
	v_lshrrev_b32_e32 v26, 16, v37
	v_cmp_ne_u16_sdwa s[34:35], v26, v16 src0_sel:BYTE_0 src1_sel:DWORD
	s_or_b64 s[8:9], s[34:35], s[8:9]
	s_andn2_b64 exec, exec, s[8:9]
	s_cbranch_execnz .LBB945_64
; %bb.65:
	s_or_b64 exec, exec, s[8:9]
.LBB945_66:
	s_or_b64 exec, exec, s[6:7]
	v_and_b32_e32 v27, 63, v15
	v_cmp_ne_u32_e32 vcc, 63, v27
	v_mov_b32_e32 v25, 2
	v_addc_co_u32_e32 v28, vcc, 0, v15, vcc
	v_cmp_eq_u16_sdwa s[6:7], v26, v25 src0_sel:BYTE_0 src1_sel:DWORD
	v_lshlrev_b64 v[16:17], v15, -1
	v_and_b32_e32 v29, 0xffff, v37
	v_lshlrev_b32_e32 v28, 2, v28
	v_and_b32_e32 v18, s7, v17
	ds_bpermute_b32 v30, v28, v29
	v_or_b32_e32 v18, 0x80000000, v18
	v_and_b32_e32 v19, s6, v16
	v_ffbl_b32_e32 v18, v18
	v_add_u32_e32 v18, 32, v18
	v_ffbl_b32_e32 v19, v19
	v_min_u32_e32 v18, v19, v18
	s_waitcnt lgkmcnt(0)
	v_add_u16_e32 v19, v30, v37
	v_cmp_lt_u32_e32 vcc, v27, v18
	v_cmp_gt_u32_e64 s[6:7], 62, v27
	v_cndmask_b32_e32 v31, v29, v19, vcc
	v_cndmask_b32_e64 v29, 0, 1, s[6:7]
	v_lshlrev_b32_e32 v29, 1, v29
	v_add_lshl_u32 v29, v29, v15, 2
	ds_bpermute_b32 v32, v29, v31
	v_cndmask_b32_e32 v19, v37, v19, vcc
	v_add_u32_e32 v30, 2, v27
	v_cmp_gt_u32_e64 s[6:7], v30, v18
	v_cmp_gt_u32_e64 s[8:9], 60, v27
	s_waitcnt lgkmcnt(0)
	v_add_u16_e32 v32, v19, v32
	v_cndmask_b32_e64 v33, v32, v31, s[6:7]
	v_cndmask_b32_e64 v31, 0, 1, s[8:9]
	v_lshlrev_b32_e32 v31, 2, v31
	v_add_lshl_u32 v31, v31, v15, 2
	ds_bpermute_b32 v34, v31, v33
	v_cndmask_b32_e64 v19, v32, v19, s[6:7]
	v_add_u32_e32 v32, 4, v27
	v_cmp_gt_u32_e64 s[6:7], v32, v18
	v_cmp_gt_u32_e64 s[8:9], 56, v27
	s_waitcnt lgkmcnt(0)
	v_add_u16_e32 v34, v19, v34
	v_cndmask_b32_e64 v35, v34, v33, s[6:7]
	v_cndmask_b32_e64 v33, 0, 1, s[8:9]
	v_lshlrev_b32_e32 v33, 3, v33
	v_add_lshl_u32 v33, v33, v15, 2
	ds_bpermute_b32 v36, v33, v35
	v_cndmask_b32_e64 v19, v34, v19, s[6:7]
	;; [unrolled: 11-line block ×3, first 2 shown]
	v_add_u32_e32 v36, 16, v27
	v_cmp_gt_u32_e64 s[6:7], v36, v18
	v_cmp_gt_u32_e64 s[8:9], 32, v27
	s_waitcnt lgkmcnt(0)
	v_add_u16_e32 v40, v19, v39
	v_cndmask_b32_e64 v39, v40, v38, s[6:7]
	v_cndmask_b32_e64 v38, 0, 1, s[8:9]
	v_lshlrev_b32_e32 v38, 5, v38
	v_add_lshl_u32 v38, v38, v15, 2
	ds_bpermute_b32 v15, v38, v39
	v_add_u32_e32 v39, 32, v27
	v_cndmask_b32_e64 v19, v40, v19, s[6:7]
	v_cmp_le_u32_e64 s[6:7], v39, v18
	s_waitcnt lgkmcnt(0)
	v_cndmask_b32_e64 v15, 0, v15, s[6:7]
	v_add_u16_e32 v15, v19, v15
	v_cndmask_b32_e32 v18, v37, v15, vcc
	v_mov_b32_e32 v15, 0
	s_branch .LBB945_68
.LBB945_67:                             ;   in Loop: Header=BB945_68 Depth=1
	s_or_b64 exec, exec, s[6:7]
	v_cmp_eq_u16_sdwa s[6:7], v26, v25 src0_sel:BYTE_0 src1_sel:DWORD
	v_and_b32_e32 v41, 0xffff, v40
	v_and_b32_e32 v18, s7, v17
	ds_bpermute_b32 v42, v28, v41
	v_or_b32_e32 v18, 0x80000000, v18
	v_and_b32_e32 v19, s6, v16
	v_ffbl_b32_e32 v18, v18
	v_add_u32_e32 v18, 32, v18
	v_ffbl_b32_e32 v19, v19
	v_min_u32_e32 v18, v19, v18
	s_waitcnt lgkmcnt(0)
	v_add_u16_e32 v19, v42, v40
	v_cmp_lt_u32_e32 vcc, v27, v18
	v_cndmask_b32_e32 v41, v41, v19, vcc
	ds_bpermute_b32 v42, v29, v41
	v_cndmask_b32_e32 v19, v40, v19, vcc
	v_cmp_gt_u32_e64 s[6:7], v30, v18
	v_subrev_u32_e32 v14, 64, v14
	s_waitcnt lgkmcnt(0)
	v_add_u16_e32 v42, v19, v42
	v_cndmask_b32_e64 v41, v42, v41, s[6:7]
	ds_bpermute_b32 v43, v31, v41
	v_cndmask_b32_e64 v19, v42, v19, s[6:7]
	v_cmp_gt_u32_e64 s[6:7], v32, v18
	s_waitcnt lgkmcnt(0)
	v_add_u16_e32 v42, v19, v43
	v_cndmask_b32_e64 v41, v42, v41, s[6:7]
	ds_bpermute_b32 v43, v33, v41
	v_cndmask_b32_e64 v19, v42, v19, s[6:7]
	v_cmp_gt_u32_e64 s[6:7], v34, v18
	;; [unrolled: 6-line block ×3, first 2 shown]
	s_waitcnt lgkmcnt(0)
	v_add_u16_e32 v42, v19, v43
	v_cndmask_b32_e64 v41, v42, v41, s[6:7]
	ds_bpermute_b32 v41, v38, v41
	v_cndmask_b32_e64 v19, v42, v19, s[6:7]
	v_cmp_le_u32_e64 s[6:7], v39, v18
	s_waitcnt lgkmcnt(0)
	v_cndmask_b32_e64 v18, 0, v41, s[6:7]
	v_add_u16_e32 v18, v19, v18
	v_cndmask_b32_e32 v18, v40, v18, vcc
	v_add_u16_e32 v18, v18, v37
.LBB945_68:                             ; =>This Loop Header: Depth=1
                                        ;     Child Loop BB945_71 Depth 2
	v_cmp_ne_u16_sdwa s[6:7], v26, v25 src0_sel:BYTE_0 src1_sel:DWORD
	v_cndmask_b32_e64 v19, 0, 1, s[6:7]
	;;#ASMSTART
	;;#ASMEND
	v_cmp_ne_u32_e32 vcc, 0, v19
	s_cmp_lg_u64 vcc, exec
	v_mov_b32_e32 v37, v18
	s_cbranch_scc1 .LBB945_73
; %bb.69:                               ;   in Loop: Header=BB945_68 Depth=1
	v_lshlrev_b64 v[18:19], 2, v[14:15]
	v_mov_b32_e32 v26, s29
	v_add_co_u32_e32 v18, vcc, s28, v18
	v_addc_co_u32_e32 v19, vcc, v26, v19, vcc
	global_load_dword v40, v[18:19], off glc
	s_waitcnt vmcnt(0)
	v_lshrrev_b32_e32 v26, 16, v40
	v_cmp_eq_u16_sdwa s[8:9], v26, v15 src0_sel:BYTE_0 src1_sel:DWORD
	s_and_saveexec_b64 s[6:7], s[8:9]
	s_cbranch_execz .LBB945_67
; %bb.70:                               ;   in Loop: Header=BB945_68 Depth=1
	s_mov_b64 s[8:9], 0
.LBB945_71:                             ;   Parent Loop BB945_68 Depth=1
                                        ; =>  This Inner Loop Header: Depth=2
	global_load_dword v40, v[18:19], off glc
	s_waitcnt vmcnt(0)
	v_lshrrev_b32_e32 v26, 16, v40
	v_cmp_ne_u16_sdwa s[34:35], v26, v15 src0_sel:BYTE_0 src1_sel:DWORD
	s_or_b64 s[8:9], s[34:35], s[8:9]
	s_andn2_b64 exec, exec, s[8:9]
	s_cbranch_execnz .LBB945_71
; %bb.72:                               ;   in Loop: Header=BB945_68 Depth=1
	s_or_b64 exec, exec, s[8:9]
	s_branch .LBB945_67
.LBB945_73:                             ;   in Loop: Header=BB945_68 Depth=1
                                        ; implicit-def: $vgpr18
                                        ; implicit-def: $vgpr26
	s_cbranch_execz .LBB945_68
; %bb.74:
	s_and_saveexec_b64 s[6:7], s[4:5]
	s_cbranch_execz .LBB945_76
; %bb.75:
	s_add_i32 s4, s33, 64
	s_mov_b32 s5, 0
	s_lshl_b64 s[4:5], s[4:5], 2
	v_add_u16_e32 v14, v37, v24
	s_add_u32 s4, s28, s4
	v_or_b32_e32 v14, 0x20000, v14
	s_addc_u32 s5, s29, s5
	v_mov_b32_e32 v15, 0
	global_store_dword v15, v14, s[4:5]
.LBB945_76:
	s_or_b64 exec, exec, s[6:7]
	s_and_b64 exec, exec, s[2:3]
	s_cbranch_execz .LBB945_78
; %bb.77:
	v_mov_b32_e32 v14, 0
	ds_write_b16 v14, v37
.LBB945_78:
	s_or_b64 exec, exec, s[26:27]
	v_mov_b32_e32 v14, 0
	s_waitcnt lgkmcnt(0)
	; wave barrier
	s_waitcnt lgkmcnt(0)
	ds_read_u16 v14, v14
	v_cndmask_b32_e64 v15, v23, 0, s[2:3]
	v_add_u16_e32 v15, v15, v10
	s_waitcnt lgkmcnt(0)
	v_add_u16_e32 v14, v15, v14
	v_add_u16_sdwa v15, v14, v10 dst_sel:DWORD dst_unused:UNUSED_PAD src0_sel:DWORD src1_sel:WORD_1
	v_add_u16_e32 v16, v15, v11
	v_add_u16_sdwa v17, v16, v11 dst_sel:DWORD dst_unused:UNUSED_PAD src0_sel:DWORD src1_sel:WORD_1
	;; [unrolled: 2-line block ×12, first 2 shown]
	s_branch .LBB945_89
.LBB945_79:
                                        ; implicit-def: $vgpr14
                                        ; implicit-def: $vgpr15
                                        ; implicit-def: $vgpr16
                                        ; implicit-def: $vgpr17
                                        ; implicit-def: $vgpr18
                                        ; implicit-def: $vgpr19
                                        ; implicit-def: $vgpr24
                                        ; implicit-def: $vgpr26
                                        ; implicit-def: $vgpr23
                                        ; implicit-def: $vgpr25
                                        ; implicit-def: $vgpr27
                                        ; implicit-def: $vgpr28
                                        ; implicit-def: $vgpr29
                                        ; implicit-def: $vgpr30
                                        ; implicit-def: $vgpr32
                                        ; implicit-def: $vgpr34
                                        ; implicit-def: $vgpr31
                                        ; implicit-def: $vgpr33
                                        ; implicit-def: $vgpr35
                                        ; implicit-def: $vgpr36
                                        ; implicit-def: $vgpr37
                                        ; implicit-def: $vgpr38
                                        ; implicit-def: $vgpr39
                                        ; implicit-def: $vgpr40
	s_cbranch_execz .LBB945_89
; %bb.80:
	s_cmp_lg_u64 s[16:17], 0
	s_cselect_b64 s[4:5], -1, 0
	s_and_b64 s[4:5], s[2:3], s[4:5]
	v_mov_b32_e32 v14, v10
	s_and_saveexec_b64 s[2:3], s[4:5]
	s_cbranch_execz .LBB945_82
; %bb.81:
	v_mov_b32_e32 v14, 0
	global_load_ushort v14, v14, s[12:13]
	s_waitcnt vmcnt(0)
	v_add_u16_e32 v14, v14, v10
.LBB945_82:
	s_or_b64 exec, exec, s[2:3]
	v_add_u16_sdwa v15, v14, v10 dst_sel:DWORD dst_unused:UNUSED_PAD src0_sel:DWORD src1_sel:WORD_1
	v_add_u16_e32 v16, v15, v11
	v_add_u16_sdwa v17, v16, v11 dst_sel:DWORD dst_unused:UNUSED_PAD src0_sel:DWORD src1_sel:WORD_1
	v_add_u16_e32 v18, v17, v12
	v_add_u16_sdwa v19, v18, v12 dst_sel:DWORD dst_unused:UNUSED_PAD src0_sel:DWORD src1_sel:WORD_1
	v_add_u16_e32 v24, v19, v13
	v_add_u16_sdwa v26, v24, v13 dst_sel:DWORD dst_unused:UNUSED_PAD src0_sel:DWORD src1_sel:WORD_1
	v_add_u16_e32 v23, v26, v6
	v_add_u16_sdwa v25, v23, v6 dst_sel:DWORD dst_unused:UNUSED_PAD src0_sel:DWORD src1_sel:WORD_1
	v_add_u16_e32 v27, v25, v7
	v_add_u16_sdwa v28, v27, v7 dst_sel:DWORD dst_unused:UNUSED_PAD src0_sel:DWORD src1_sel:WORD_1
	v_add_u16_e32 v29, v28, v8
	v_add_u16_sdwa v30, v29, v8 dst_sel:DWORD dst_unused:UNUSED_PAD src0_sel:DWORD src1_sel:WORD_1
	v_add_u16_e32 v32, v30, v9
	v_add_u16_sdwa v34, v32, v9 dst_sel:DWORD dst_unused:UNUSED_PAD src0_sel:DWORD src1_sel:WORD_1
	v_add_u16_e32 v31, v34, v2
	v_add_u16_sdwa v33, v31, v2 dst_sel:DWORD dst_unused:UNUSED_PAD src0_sel:DWORD src1_sel:WORD_1
	v_add_u16_e32 v35, v33, v3
	v_add_u16_sdwa v36, v35, v3 dst_sel:DWORD dst_unused:UNUSED_PAD src0_sel:DWORD src1_sel:WORD_1
	v_add_u16_e32 v37, v36, v4
	v_add_u16_sdwa v38, v37, v4 dst_sel:DWORD dst_unused:UNUSED_PAD src0_sel:DWORD src1_sel:WORD_1
	v_add_u16_e32 v39, v38, v5
	v_mbcnt_hi_u32_b32 v22, -1, v22
	v_add_u16_sdwa v40, v39, v5 dst_sel:DWORD dst_unused:UNUSED_PAD src0_sel:DWORD src1_sel:WORD_1
	v_and_b32_e32 v41, 15, v22
	v_cmp_ne_u32_e32 vcc, 0, v41
	v_mov_b32_dpp v42, v40 row_shr:1 row_mask:0xf bank_mask:0xf
	v_cndmask_b32_e32 v42, 0, v42, vcc
	v_add_u16_e32 v42, v40, v42
	v_cmp_lt_u32_e32 vcc, 1, v41
	s_nop 0
	v_mov_b32_dpp v43, v42 row_shr:2 row_mask:0xf bank_mask:0xf
	v_cndmask_b32_e32 v43, 0, v43, vcc
	v_add_u16_e32 v42, v42, v43
	v_cmp_lt_u32_e32 vcc, 3, v41
	s_nop 0
	;; [unrolled: 5-line block ×3, first 2 shown]
	v_mov_b32_dpp v43, v42 row_shr:8 row_mask:0xf bank_mask:0xf
	v_cndmask_b32_e32 v41, 0, v43, vcc
	v_add_u16_e32 v41, v42, v41
	v_and_b32_e32 v43, 16, v22
	v_cmp_ne_u32_e32 vcc, 0, v43
	v_mov_b32_dpp v42, v41 row_bcast:15 row_mask:0xf bank_mask:0xf
	v_cndmask_b32_e32 v42, 0, v42, vcc
	v_add_u16_e32 v41, v41, v42
	v_cmp_lt_u32_e32 vcc, 31, v22
	s_nop 0
	v_mov_b32_dpp v42, v41 row_bcast:31 row_mask:0xf bank_mask:0xf
	v_cndmask_b32_e32 v42, 0, v42, vcc
	v_add_u16_e32 v41, v41, v42
	v_cmp_eq_u32_e32 vcc, 63, v0
	s_and_saveexec_b64 s[2:3], vcc
	s_cbranch_execz .LBB945_84
; %bb.83:
	v_mov_b32_e32 v42, 0
	ds_write_b16 v42, v41
.LBB945_84:
	s_or_b64 exec, exec, s[2:3]
	v_add_u32_e32 v42, -1, v22
	v_and_b32_e32 v43, 64, v22
	v_cmp_lt_i32_e64 s[2:3], v42, v43
	v_cndmask_b32_e64 v22, v42, v22, s[2:3]
	v_lshlrev_b32_e32 v22, 2, v22
	ds_bpermute_b32 v22, v22, v41
	s_waitcnt lgkmcnt(0)
	; wave barrier
	s_waitcnt lgkmcnt(0)
	s_and_saveexec_b64 s[2:3], s[0:1]
	s_cbranch_execz .LBB945_86
; %bb.85:
	v_add_u16_e32 v14, v14, v22
	v_add_u16_sdwa v15, v14, v10 dst_sel:DWORD dst_unused:UNUSED_PAD src0_sel:DWORD src1_sel:WORD_1
	v_add_u16_e32 v16, v15, v11
	v_add_u16_sdwa v17, v16, v11 dst_sel:DWORD dst_unused:UNUSED_PAD src0_sel:DWORD src1_sel:WORD_1
	;; [unrolled: 2-line block ×12, first 2 shown]
	;;#ASMSTART
	;;#ASMEND
.LBB945_86:
	s_or_b64 exec, exec, s[2:3]
	s_and_saveexec_b64 s[0:1], vcc
	s_cbranch_execz .LBB945_88
; %bb.87:
	s_mov_b32 s2, 0x20000
	v_mov_b32_e32 v2, 0
	v_or_b32_sdwa v3, v40, s2 dst_sel:DWORD dst_unused:UNUSED_PAD src0_sel:WORD_0 src1_sel:DWORD
	global_store_dword v2, v3, s[28:29] offset:256
.LBB945_88:
	s_or_b64 exec, exec, s[0:1]
.LBB945_89:
	s_add_u32 s0, s24, s10
	s_addc_u32 s1, s25, s11
	s_add_u32 s2, s0, s22
	s_addc_u32 s3, s1, s23
	s_mov_b64 s[0:1], -1
	s_and_b64 vcc, exec, s[20:21]
	s_waitcnt lgkmcnt(0)
	; wave barrier
	s_cbranch_vccz .LBB945_91
; %bb.90:
	s_mov_b32 s0, 0x5040100
	v_perm_b32 v5, v26, v24, s0
	v_perm_b32 v4, v19, v18, s0
	v_perm_b32 v3, v17, v16, s0
	v_perm_b32 v2, v15, v14, s0
	ds_write_b128 v1, v[2:5]
	v_perm_b32 v5, v34, v32, s0
	v_perm_b32 v4, v30, v29, s0
	;; [unrolled: 1-line block ×4, first 2 shown]
	ds_write_b128 v1, v[2:5] offset:16
	v_perm_b32 v5, v40, v39, s0
	v_perm_b32 v4, v38, v37, s0
	;; [unrolled: 1-line block ×4, first 2 shown]
	ds_write_b128 v1, v[2:5] offset:32
	s_waitcnt lgkmcnt(0)
	; wave barrier
	s_waitcnt lgkmcnt(0)
	ds_read_u16 v4, v20
	ds_read_u16 v5, v20 offset:128
	ds_read_u16 v6, v20 offset:256
	;; [unrolled: 1-line block ×23, first 2 shown]
	v_mov_b32_e32 v3, s3
	v_add_co_u32_e32 v2, vcc, s2, v20
	v_addc_co_u32_e32 v3, vcc, 0, v3, vcc
	s_waitcnt lgkmcnt(14)
	flat_store_short v[2:3], v4
	flat_store_short v[2:3], v5 offset:128
	flat_store_short v[2:3], v6 offset:256
	;; [unrolled: 1-line block ×9, first 2 shown]
	s_waitcnt lgkmcnt(0)
	flat_store_short v[2:3], v22 offset:1280
	flat_store_short v[2:3], v41 offset:1408
	;; [unrolled: 1-line block ×14, first 2 shown]
	s_mov_b64 s[0:1], 0
.LBB945_91:
	s_andn2_b64 vcc, exec, s[0:1]
	s_cbranch_vccnz .LBB945_148
; %bb.92:
	s_mov_b32 s0, 0x5040100
	v_perm_b32 v5, v26, v24, s0
	v_perm_b32 v4, v19, v18, s0
	;; [unrolled: 1-line block ×4, first 2 shown]
	ds_write_b128 v1, v[2:5]
	v_perm_b32 v5, v34, v32, s0
	v_perm_b32 v4, v30, v29, s0
	;; [unrolled: 1-line block ×4, first 2 shown]
	ds_write_b128 v1, v[2:5] offset:16
	v_perm_b32 v5, v40, v39, s0
	v_perm_b32 v4, v38, v37, s0
	;; [unrolled: 1-line block ×4, first 2 shown]
	ds_write_b128 v1, v[2:5] offset:32
	s_waitcnt lgkmcnt(0)
	; wave barrier
	s_waitcnt lgkmcnt(0)
	ds_read_u16 v5, v20
	ds_read_u16 v4, v20 offset:128
	ds_read_u16 v7, v20 offset:256
	;; [unrolled: 1-line block ×23, first 2 shown]
	v_mov_b32_e32 v3, s3
	v_add_co_u32_e32 v2, vcc, s2, v20
	v_addc_co_u32_e32 v3, vcc, 0, v3, vcc
	v_mov_b32_e32 v1, 0
	v_cmp_gt_u32_e32 vcc, s30, v0
	s_and_saveexec_b64 s[0:1], vcc
	s_cbranch_execz .LBB945_94
; %bb.93:
	s_waitcnt lgkmcnt(0)
	flat_store_short v[2:3], v5
.LBB945_94:
	s_or_b64 exec, exec, s[0:1]
	v_or_b32_e32 v20, 64, v0
	v_cmp_gt_u32_e32 vcc, s30, v20
	s_and_saveexec_b64 s[0:1], vcc
	s_cbranch_execz .LBB945_96
; %bb.95:
	s_waitcnt lgkmcnt(0)
	flat_store_short v[2:3], v4 offset:128
.LBB945_96:
	s_or_b64 exec, exec, s[0:1]
	v_or_b32_e32 v20, 0x80, v0
	v_cmp_gt_u32_e32 vcc, s30, v20
	s_and_saveexec_b64 s[0:1], vcc
	s_cbranch_execz .LBB945_98
; %bb.97:
	s_waitcnt lgkmcnt(0)
	flat_store_short v[2:3], v7 offset:256
.LBB945_98:
	;; [unrolled: 9-line block ×23, first 2 shown]
	s_or_b64 exec, exec, s[0:1]
	v_cmp_lt_u64_e64 s[0:1], s[18:19], 2
	s_and_b64 vcc, exec, s[0:1]
	s_cbranch_vccnz .LBB945_148
; %bb.141:
	s_add_u32 s0, s30, -1
	s_addc_u32 s1, s31, -1
	s_add_u32 s2, 0, 0xaaaa0000
	s_addc_u32 s3, 0, 42
	s_add_i32 s3, s3, 0xaaaaa80
	s_mul_hi_u32 s7, s2, 0xffffffe8
	s_sub_i32 s7, s7, s2
	s_mul_i32 s8, s3, 0xffffffe8
	s_mul_i32 s4, s2, 0xffffffe8
	s_add_i32 s7, s7, s8
	s_mul_hi_u32 s5, s3, s4
	s_mul_i32 s6, s3, s4
	s_mul_i32 s9, s2, s7
	s_mul_hi_u32 s4, s2, s4
	s_mul_hi_u32 s8, s2, s7
	s_add_u32 s4, s4, s9
	s_addc_u32 s8, 0, s8
	s_add_u32 s4, s4, s6
	s_mul_hi_u32 s9, s3, s7
	s_addc_u32 s4, s8, s5
	s_addc_u32 s5, s9, 0
	s_mul_i32 s6, s3, s7
	s_add_u32 s4, s4, s6
	v_mov_b32_e32 v2, s4
	s_addc_u32 s5, 0, s5
	v_add_co_u32_e32 v2, vcc, s2, v2
	s_cmp_lg_u64 vcc, 0
	s_addc_u32 s2, s3, s5
	v_readfirstlane_b32 s5, v2
	s_mul_i32 s4, s0, s2
	s_mul_hi_u32 s6, s0, s5
	s_mul_hi_u32 s3, s0, s2
	s_add_u32 s4, s6, s4
	s_addc_u32 s3, 0, s3
	s_mul_hi_u32 s7, s1, s5
	s_mul_i32 s5, s1, s5
	s_add_u32 s4, s4, s5
	s_mul_hi_u32 s6, s1, s2
	s_addc_u32 s3, s3, s7
	s_addc_u32 s4, s6, 0
	s_mul_i32 s2, s1, s2
	s_add_u32 s2, s3, s2
	s_addc_u32 s3, 0, s4
	s_add_u32 s4, s2, 1
	s_addc_u32 s5, s3, 0
	s_add_u32 s6, s2, 2
	s_mul_i32 s8, s3, 24
	s_mul_hi_u32 s9, s2, 24
	s_addc_u32 s7, s3, 0
	s_add_i32 s9, s9, s8
	s_mul_i32 s8, s2, 24
	v_mov_b32_e32 v2, s8
	v_sub_co_u32_e32 v2, vcc, s0, v2
	s_cmp_lg_u64 vcc, 0
	s_subb_u32 s8, s1, s9
	v_subrev_co_u32_e32 v3, vcc, 24, v2
	s_cmp_lg_u64 vcc, 0
	s_subb_u32 s9, s8, 0
	v_readfirstlane_b32 s10, v3
	s_cmp_gt_u32 s10, 23
	s_cselect_b32 s10, -1, 0
	s_cmp_eq_u32 s9, 0
	s_cselect_b32 s9, s10, -1
	s_cmp_lg_u32 s9, 0
	s_cselect_b32 s4, s6, s4
	v_readfirstlane_b32 s6, v2
	s_cselect_b32 s5, s7, s5
	s_cmp_gt_u32 s6, 23
	s_cselect_b32 s6, -1, 0
	s_cmp_eq_u32 s8, 0
	s_cselect_b32 s6, s6, -1
	s_cmp_lg_u32 s6, 0
	s_cselect_b32 s3, s5, s3
	s_cselect_b32 s2, s4, s2
	v_cmp_eq_u64_e32 vcc, s[2:3], v[0:1]
	s_and_saveexec_b64 s[2:3], vcc
	s_cbranch_execz .LBB945_148
; %bb.142:
	v_mul_hi_u32_u24_e32 v1, 24, v0
	v_mov_b32_e32 v2, s1
	v_sub_co_u32_e32 v0, vcc, s0, v21
	v_subb_co_u32_e32 v1, vcc, v2, v1, vcc
	v_cmp_lt_i64_e32 vcc, 11, v[0:1]
	s_mov_b64 s[0:1], 0
	s_mov_b64 s[8:9], 0
	s_mov_b64 s[6:7], 0
	s_mov_b64 s[4:5], 0
	s_and_saveexec_b64 s[2:3], vcc
	s_xor_b64 s[2:3], exec, s[2:3]
	s_cbranch_execnz .LBB945_149
; %bb.143:
	s_andn2_saveexec_b64 s[2:3], s[2:3]
	s_cbranch_execnz .LBB945_194
.LBB945_144:
	s_or_b64 exec, exec, s[2:3]
	s_and_saveexec_b64 s[2:3], s[8:9]
	s_cbranch_execnz .LBB945_211
.LBB945_145:
	s_or_b64 exec, exec, s[2:3]
	s_and_saveexec_b64 s[2:3], s[6:7]
	s_cbranch_execnz .LBB945_212
.LBB945_146:
	s_or_b64 exec, exec, s[2:3]
	s_and_saveexec_b64 s[2:3], s[4:5]
	s_xor_b64 s[2:3], exec, s[2:3]
	s_cbranch_execnz .LBB945_213
.LBB945_147:
	s_or_b64 exec, exec, s[2:3]
	s_and_b64 exec, exec, s[0:1]
	s_cbranch_execnz .LBB945_214
.LBB945_148:
	s_endpgm
.LBB945_149:
	v_cmp_lt_i64_e32 vcc, 17, v[0:1]
	s_and_saveexec_b64 s[10:11], vcc
	s_xor_b64 s[10:11], exec, s[10:11]
	s_cbranch_execz .LBB945_171
; %bb.150:
	v_cmp_lt_i64_e32 vcc, 20, v[0:1]
                                        ; implicit-def: $vgpr10
	s_and_saveexec_b64 s[12:13], vcc
	s_xor_b64 s[12:13], exec, s[12:13]
	s_cbranch_execz .LBB945_160
; %bb.151:
	v_cmp_lt_i64_e32 vcc, 21, v[0:1]
	s_mov_b64 s[16:17], 0
                                        ; implicit-def: $vgpr10
	s_and_saveexec_b64 s[4:5], vcc
	s_xor_b64 s[4:5], exec, s[4:5]
	s_cbranch_execz .LBB945_157
; %bb.152:
	v_cmp_lt_i64_e32 vcc, 22, v[0:1]
	s_and_saveexec_b64 s[16:17], vcc
	s_xor_b64 s[16:17], exec, s[16:17]
	s_cbranch_execz .LBB945_154
; %bb.153:
	v_mov_b32_e32 v2, 0
	s_waitcnt lgkmcnt(0)
	global_store_short v2, v29, s[14:15]
                                        ; implicit-def: $vgpr28
.LBB945_154:
	s_or_saveexec_b64 s[16:17], s[16:17]
	s_mov_b64 s[18:19], 0
	s_xor_b64 exec, exec, s[16:17]
; %bb.155:
	s_mov_b64 s[18:19], exec
; %bb.156:
	s_or_b64 exec, exec, s[16:17]
	s_and_b64 s[16:17], s[18:19], exec
	s_waitcnt lgkmcnt(0)
	v_mov_b32_e32 v10, v28
                                        ; implicit-def: $vgpr11
.LBB945_157:
	s_andn2_saveexec_b64 s[4:5], s[4:5]
; %bb.158:
	s_mov_b64 s[6:7], exec
                                        ; implicit-def: $vgpr10
; %bb.159:
	s_or_b64 exec, exec, s[4:5]
	s_and_b64 s[4:5], s[16:17], exec
	s_and_b64 s[6:7], s[6:7], exec
                                        ; implicit-def: $vgpr26
                                        ; implicit-def: $vgpr12
                                        ; implicit-def: $vgpr23
.LBB945_160:
	s_andn2_saveexec_b64 s[12:13], s[12:13]
	s_cbranch_execz .LBB945_170
; %bb.161:
	v_cmp_lt_i64_e32 vcc, 18, v[0:1]
	s_mov_b64 s[16:17], 0
	s_and_saveexec_b64 s[8:9], vcc
	s_xor_b64 s[8:9], exec, s[8:9]
	s_cbranch_execz .LBB945_167
; %bb.162:
	v_cmp_lt_i64_e32 vcc, 19, v[0:1]
	s_and_saveexec_b64 s[18:19], vcc
	s_xor_b64 s[18:19], exec, s[18:19]
; %bb.163:
	s_mov_b64 s[16:17], exec
                                        ; implicit-def: $vgpr23
; %bb.164:
	s_andn2_saveexec_b64 s[18:19], s[18:19]
	s_cbranch_execz .LBB945_166
; %bb.165:
	v_mov_b32_e32 v2, 0
	s_waitcnt lgkmcnt(0)
	global_store_short v2, v23, s[14:15]
                                        ; implicit-def: $vgpr12
.LBB945_166:
	s_or_b64 exec, exec, s[18:19]
	s_and_b64 s[16:17], s[16:17], exec
                                        ; implicit-def: $vgpr26
.LBB945_167:
	s_andn2_saveexec_b64 s[8:9], s[8:9]
	s_cbranch_execz .LBB945_169
; %bb.168:
	v_mov_b32_e32 v2, 0
	s_waitcnt lgkmcnt(0)
	global_store_short v2, v26, s[14:15]
                                        ; implicit-def: $vgpr12
.LBB945_169:
	s_or_b64 exec, exec, s[8:9]
	s_and_b64 s[8:9], s[16:17], exec
                                        ; implicit-def: $vgpr10
                                        ; implicit-def: $vgpr11
.LBB945_170:
	s_or_b64 exec, exec, s[12:13]
	s_and_b64 s[4:5], s[4:5], exec
	s_and_b64 s[6:7], s[6:7], exec
	;; [unrolled: 1-line block ×3, first 2 shown]
                                        ; implicit-def: $vgpr18
                                        ; implicit-def: $vgpr13
                                        ; implicit-def: $vgpr14
                                        ; implicit-def: $vgpr24
                                        ; implicit-def: $vgpr27
.LBB945_171:
	s_andn2_saveexec_b64 s[10:11], s[10:11]
	s_cbranch_execz .LBB945_193
; %bb.172:
	v_cmp_lt_i64_e32 vcc, 14, v[0:1]
	s_mov_b64 s[12:13], s[4:5]
	s_and_saveexec_b64 s[16:17], vcc
	s_xor_b64 s[16:17], exec, s[16:17]
	s_cbranch_execz .LBB945_182
; %bb.173:
	v_cmp_lt_i64_e32 vcc, 15, v[0:1]
	s_and_saveexec_b64 s[12:13], vcc
	s_xor_b64 s[12:13], exec, s[12:13]
	s_cbranch_execz .LBB945_179
; %bb.174:
	v_cmp_lt_i64_e32 vcc, 16, v[0:1]
	s_and_saveexec_b64 s[18:19], vcc
	s_xor_b64 s[18:19], exec, s[18:19]
	s_cbranch_execz .LBB945_176
; %bb.175:
	v_mov_b32_e32 v2, 0
	s_waitcnt lgkmcnt(0)
	global_store_short v2, v27, s[14:15]
                                        ; implicit-def: $vgpr24
.LBB945_176:
	s_andn2_saveexec_b64 s[18:19], s[18:19]
	s_cbranch_execz .LBB945_178
; %bb.177:
	v_mov_b32_e32 v2, 0
	s_waitcnt lgkmcnt(0)
	global_store_short v2, v24, s[14:15]
.LBB945_178:
	s_or_b64 exec, exec, s[18:19]
                                        ; implicit-def: $vgpr10
.LBB945_179:
	s_or_saveexec_b64 s[12:13], s[12:13]
	s_mov_b64 s[18:19], s[4:5]
	s_xor_b64 exec, exec, s[12:13]
; %bb.180:
	s_or_b64 s[18:19], s[4:5], exec
; %bb.181:
	s_or_b64 exec, exec, s[12:13]
	s_andn2_b64 s[12:13], s[4:5], exec
	s_and_b64 s[18:19], s[18:19], exec
	s_or_b64 s[12:13], s[12:13], s[18:19]
                                        ; implicit-def: $vgpr18
                                        ; implicit-def: $vgpr13
                                        ; implicit-def: $vgpr14
.LBB945_182:
	s_or_saveexec_b64 s[16:17], s[16:17]
	s_mov_b64 s[18:19], s[6:7]
                                        ; implicit-def: $vgpr11
	s_xor_b64 exec, exec, s[16:17]
	s_cbranch_execz .LBB945_192
; %bb.183:
	v_cmp_lt_i64_e32 vcc, 12, v[0:1]
	s_mov_b64 s[20:21], s[6:7]
	s_mov_b64 s[22:23], s[12:13]
                                        ; implicit-def: $vgpr10
                                        ; implicit-def: $vgpr11
	s_and_saveexec_b64 s[18:19], vcc
	s_xor_b64 s[18:19], exec, s[18:19]
	s_cbranch_execz .LBB945_189
; %bb.184:
	v_cmp_lt_i64_e32 vcc, 13, v[0:1]
	s_mov_b64 s[20:21], s[12:13]
	s_and_saveexec_b64 s[22:23], vcc
	s_xor_b64 s[22:23], exec, s[22:23]
; %bb.185:
	s_or_b64 s[20:21], s[12:13], exec
                                        ; implicit-def: $vgpr13
; %bb.186:
	s_or_saveexec_b64 s[22:23], s[22:23]
	s_mov_b64 s[24:25], s[6:7]
	s_xor_b64 exec, exec, s[22:23]
; %bb.187:
	s_or_b64 s[24:25], s[6:7], exec
                                        ; implicit-def: $vgpr14
; %bb.188:
	s_or_b64 exec, exec, s[22:23]
	s_andn2_b64 s[22:23], s[12:13], exec
	s_and_b64 s[20:21], s[20:21], exec
	s_or_b64 s[22:23], s[22:23], s[20:21]
	s_andn2_b64 s[20:21], s[6:7], exec
	s_and_b64 s[24:25], s[24:25], exec
	s_or_b64 s[20:21], s[20:21], s[24:25]
	s_waitcnt lgkmcnt(0)
	v_mov_b32_e32 v10, v14
	v_mov_b32_e32 v11, v13
                                        ; implicit-def: $vgpr18
.LBB945_189:
	s_andn2_saveexec_b64 s[18:19], s[18:19]
	s_cbranch_execz .LBB945_191
; %bb.190:
	s_or_b64 s[20:21], s[20:21], exec
                                        ; implicit-def: $vgpr10
	s_waitcnt lgkmcnt(0)
	v_mov_b32_e32 v11, v18
.LBB945_191:
	s_or_b64 exec, exec, s[18:19]
	s_andn2_b64 s[12:13], s[12:13], exec
	s_and_b64 s[18:19], s[22:23], exec
	s_or_b64 s[12:13], s[12:13], s[18:19]
	s_andn2_b64 s[18:19], s[6:7], exec
	s_and_b64 s[20:21], s[20:21], exec
	s_or_b64 s[18:19], s[18:19], s[20:21]
.LBB945_192:
	s_or_b64 exec, exec, s[16:17]
	s_andn2_b64 s[4:5], s[4:5], exec
	s_and_b64 s[12:13], s[12:13], exec
	s_or_b64 s[4:5], s[4:5], s[12:13]
	s_andn2_b64 s[6:7], s[6:7], exec
	s_and_b64 s[12:13], s[18:19], exec
	s_or_b64 s[6:7], s[6:7], s[12:13]
                                        ; implicit-def: $vgpr12
.LBB945_193:
	s_or_b64 exec, exec, s[10:11]
	s_and_b64 s[4:5], s[4:5], exec
	s_and_b64 s[6:7], s[6:7], exec
	;; [unrolled: 1-line block ×3, first 2 shown]
                                        ; implicit-def: $vgpr17
                                        ; implicit-def: $vgpr15
                                        ; implicit-def: $vgpr16
                                        ; implicit-def: $vgpr25
                                        ; implicit-def: $vgpr22
                                        ; implicit-def: $vgpr19
	s_andn2_saveexec_b64 s[2:3], s[2:3]
	s_cbranch_execz .LBB945_144
.LBB945_194:
	v_cmp_lt_i64_e32 vcc, 5, v[0:1]
	s_mov_b64 s[12:13], -1
	s_mov_b64 s[10:11], s[8:9]
	s_mov_b64 s[16:17], s[6:7]
	;; [unrolled: 1-line block ×3, first 2 shown]
                                        ; implicit-def: $vgpr10
                                        ; implicit-def: $vgpr11
                                        ; implicit-def: $vgpr12
	s_and_saveexec_b64 s[0:1], vcc
	s_cbranch_execz .LBB945_210
; %bb.195:
	v_cmp_lt_i64_e32 vcc, 8, v[0:1]
	s_mov_b64 s[10:11], s[8:9]
                                        ; implicit-def: $vgpr12
	s_and_saveexec_b64 s[12:13], vcc
	s_xor_b64 s[12:13], exec, s[12:13]
	s_cbranch_execz .LBB945_205
; %bb.196:
	v_cmp_lt_i64_e32 vcc, 9, v[0:1]
	s_and_saveexec_b64 s[10:11], vcc
	s_xor_b64 s[10:11], exec, s[10:11]
	s_cbranch_execz .LBB945_202
; %bb.197:
	v_cmp_lt_i64_e32 vcc, 10, v[0:1]
	s_and_saveexec_b64 s[16:17], vcc
	s_xor_b64 s[16:17], exec, s[16:17]
; %bb.198:
                                        ; implicit-def: $vgpr22
; %bb.199:
	s_andn2_saveexec_b64 s[16:17], s[16:17]
	s_cbranch_execz .LBB945_201
; %bb.200:
	s_waitcnt lgkmcnt(0)
	v_mov_b32_e32 v19, v22
.LBB945_201:
	s_or_b64 exec, exec, s[16:17]
                                        ; implicit-def: $vgpr25
.LBB945_202:
	s_andn2_saveexec_b64 s[10:11], s[10:11]
	s_cbranch_execz .LBB945_204
; %bb.203:
	s_waitcnt lgkmcnt(0)
	v_mov_b32_e32 v19, v25
.LBB945_204:
	s_or_b64 exec, exec, s[10:11]
	s_or_b64 s[10:11], s[8:9], exec
	s_waitcnt lgkmcnt(0)
	v_mov_b32_e32 v12, v19
                                        ; implicit-def: $vgpr17
                                        ; implicit-def: $vgpr15
                                        ; implicit-def: $vgpr16
.LBB945_205:
	s_or_saveexec_b64 s[12:13], s[12:13]
	s_mov_b64 s[16:17], s[6:7]
	s_mov_b64 s[20:21], s[4:5]
                                        ; implicit-def: $vgpr10
                                        ; implicit-def: $vgpr11
	s_xor_b64 exec, exec, s[12:13]
	s_cbranch_execz .LBB945_209
; %bb.206:
	v_cmp_lt_i64_e32 vcc, 6, v[0:1]
	s_mov_b64 s[20:21], -1
	s_mov_b64 s[18:19], s[10:11]
	s_mov_b64 s[16:17], s[6:7]
	s_and_saveexec_b64 s[22:23], vcc
; %bb.207:
	v_cmp_lt_i64_e32 vcc, 7, v[0:1]
	s_andn2_b64 s[18:19], s[10:11], exec
	s_and_b64 s[24:25], vcc, exec
	s_xor_b64 s[20:21], exec, -1
	s_or_b64 s[16:17], s[6:7], exec
	s_or_b64 s[18:19], s[18:19], s[24:25]
                                        ; implicit-def: $vgpr17
; %bb.208:
	s_or_b64 exec, exec, s[22:23]
	s_andn2_b64 s[22:23], s[4:5], exec
	s_and_b64 s[20:21], s[20:21], exec
	s_or_b64 s[20:21], s[22:23], s[20:21]
	s_andn2_b64 s[22:23], s[6:7], exec
	s_and_b64 s[16:17], s[16:17], exec
	s_andn2_b64 s[10:11], s[10:11], exec
	s_and_b64 s[18:19], s[18:19], exec
	s_or_b64 s[16:17], s[22:23], s[16:17]
	s_or_b64 s[10:11], s[10:11], s[18:19]
	s_waitcnt lgkmcnt(0)
	v_mov_b32_e32 v10, v17
	v_mov_b32_e32 v11, v15
	;; [unrolled: 1-line block ×3, first 2 shown]
.LBB945_209:
	s_or_b64 exec, exec, s[12:13]
	s_andn2_b64 s[18:19], s[4:5], exec
	s_and_b64 s[20:21], s[20:21], exec
	s_or_b64 s[18:19], s[18:19], s[20:21]
	s_andn2_b64 s[20:21], s[6:7], exec
	s_and_b64 s[16:17], s[16:17], exec
	s_or_b64 s[16:17], s[20:21], s[16:17]
	s_andn2_b64 s[20:21], s[8:9], exec
	s_and_b64 s[10:11], s[10:11], exec
	s_xor_b64 s[12:13], exec, -1
	s_or_b64 s[10:11], s[20:21], s[10:11]
.LBB945_210:
	s_or_b64 exec, exec, s[0:1]
	s_and_b64 s[0:1], s[12:13], exec
	s_andn2_b64 s[4:5], s[4:5], exec
	s_and_b64 s[12:13], s[18:19], exec
	s_or_b64 s[4:5], s[4:5], s[12:13]
	s_andn2_b64 s[6:7], s[6:7], exec
	s_and_b64 s[12:13], s[16:17], exec
	s_andn2_b64 s[8:9], s[8:9], exec
	s_and_b64 s[10:11], s[10:11], exec
	s_or_b64 s[6:7], s[6:7], s[12:13]
	s_or_b64 s[8:9], s[8:9], s[10:11]
	s_or_b64 exec, exec, s[2:3]
	s_and_saveexec_b64 s[2:3], s[8:9]
	s_cbranch_execz .LBB945_145
.LBB945_211:
	v_mov_b32_e32 v2, 0
	s_andn2_b64 s[6:7], s[6:7], exec
	s_waitcnt lgkmcnt(0)
	global_store_short v2, v12, s[14:15]
                                        ; implicit-def: $vgpr10
                                        ; implicit-def: $vgpr11
	s_or_b64 exec, exec, s[2:3]
	s_and_saveexec_b64 s[2:3], s[6:7]
	s_cbranch_execz .LBB945_146
.LBB945_212:
	v_mov_b32_e32 v2, 0
	s_waitcnt lgkmcnt(0)
	global_store_short v2, v11, s[14:15]
                                        ; implicit-def: $vgpr10
	s_or_b64 exec, exec, s[2:3]
	s_and_saveexec_b64 s[2:3], s[4:5]
	s_xor_b64 s[2:3], exec, s[2:3]
	s_cbranch_execz .LBB945_147
.LBB945_213:
	v_mov_b32_e32 v2, 0
	s_waitcnt lgkmcnt(0)
	global_store_short v2, v10, s[14:15]
	s_or_b64 exec, exec, s[2:3]
	s_and_b64 exec, exec, s[0:1]
	s_cbranch_execz .LBB945_148
.LBB945_214:
	v_cmp_lt_i64_e32 vcc, 2, v[0:1]
	s_and_saveexec_b64 s[0:1], vcc
	s_xor_b64 s[0:1], exec, s[0:1]
	s_cbranch_execz .LBB945_224
; %bb.215:
	v_cmp_lt_i64_e32 vcc, 3, v[0:1]
	s_and_saveexec_b64 s[2:3], vcc
	s_xor_b64 s[2:3], exec, s[2:3]
	s_cbranch_execz .LBB945_221
; %bb.216:
	v_cmp_lt_i64_e32 vcc, 4, v[0:1]
	s_and_saveexec_b64 s[4:5], vcc
	s_xor_b64 s[4:5], exec, s[4:5]
	s_cbranch_execz .LBB945_218
; %bb.217:
	v_mov_b32_e32 v0, 0
	s_waitcnt lgkmcnt(0)
	global_store_short v0, v9, s[14:15]
                                        ; implicit-def: $vgpr6
.LBB945_218:
	s_andn2_saveexec_b64 s[4:5], s[4:5]
	s_cbranch_execz .LBB945_220
; %bb.219:
	v_mov_b32_e32 v0, 0
	s_waitcnt lgkmcnt(0)
	global_store_short v0, v6, s[14:15]
.LBB945_220:
	s_or_b64 exec, exec, s[4:5]
                                        ; implicit-def: $vgpr8
.LBB945_221:
	s_andn2_saveexec_b64 s[2:3], s[2:3]
	s_cbranch_execz .LBB945_223
; %bb.222:
	v_mov_b32_e32 v0, 0
	s_waitcnt lgkmcnt(0)
	global_store_short v0, v8, s[14:15]
.LBB945_223:
	s_or_b64 exec, exec, s[2:3]
                                        ; implicit-def: $vgpr0_vgpr1
                                        ; implicit-def: $vgpr7
                                        ; implicit-def: $vgpr4
                                        ; implicit-def: $vgpr5
.LBB945_224:
	s_andn2_saveexec_b64 s[0:1], s[0:1]
	s_cbranch_execz .LBB945_148
; %bb.225:
	v_cmp_lt_i64_e32 vcc, 1, v[0:1]
	s_and_saveexec_b64 s[0:1], vcc
	s_xor_b64 s[0:1], exec, s[0:1]
	s_cbranch_execz .LBB945_227
; %bb.226:
	v_mov_b32_e32 v0, 0
	s_waitcnt lgkmcnt(0)
	global_store_short v0, v7, s[14:15]
                                        ; implicit-def: $vgpr4
                                        ; implicit-def: $vgpr0_vgpr1
                                        ; implicit-def: $vgpr5
.LBB945_227:
	s_andn2_saveexec_b64 s[0:1], s[0:1]
	s_cbranch_execz .LBB945_148
; %bb.228:
	v_cmp_ne_u64_e32 vcc, 1, v[0:1]
	s_and_saveexec_b64 s[0:1], vcc
	s_xor_b64 s[0:1], exec, s[0:1]
	s_cbranch_execz .LBB945_230
; %bb.229:
	v_mov_b32_e32 v0, 0
	s_waitcnt lgkmcnt(0)
	global_store_short v0, v5, s[14:15]
                                        ; implicit-def: $vgpr4
.LBB945_230:
	s_andn2_saveexec_b64 s[0:1], s[0:1]
	s_cbranch_execz .LBB945_148
; %bb.231:
	v_mov_b32_e32 v0, 0
	s_waitcnt lgkmcnt(0)
	global_store_short v0, v4, s[14:15]
	s_endpgm
	.section	.rodata,"a",@progbits
	.p2align	6, 0x0
	.amdhsa_kernel _ZN7rocprim17ROCPRIM_400000_NS6detail17trampoline_kernelINS0_14default_configENS1_20scan_config_selectorIsEEZZNS1_9scan_implILNS1_25lookback_scan_determinismE0ELb0ELb0ES3_N6thrust23THRUST_200600_302600_NS6detail15normal_iteratorINS9_10device_ptrIsEEEESE_sNS9_4plusIvEEsEEDaPvRmT3_T4_T5_mT6_P12ihipStream_tbENKUlT_T0_E_clISt17integral_constantIbLb0EEST_IbLb1EEEEDaSP_SQ_EUlSP_E_NS1_11comp_targetILNS1_3genE4ELNS1_11target_archE910ELNS1_3gpuE8ELNS1_3repE0EEENS1_30default_config_static_selectorELNS0_4arch9wavefront6targetE1EEEvT1_
		.amdhsa_group_segment_fixed_size 3072
		.amdhsa_private_segment_fixed_size 0
		.amdhsa_kernarg_size 96
		.amdhsa_user_sgpr_count 6
		.amdhsa_user_sgpr_private_segment_buffer 1
		.amdhsa_user_sgpr_dispatch_ptr 0
		.amdhsa_user_sgpr_queue_ptr 0
		.amdhsa_user_sgpr_kernarg_segment_ptr 1
		.amdhsa_user_sgpr_dispatch_id 0
		.amdhsa_user_sgpr_flat_scratch_init 0
		.amdhsa_user_sgpr_kernarg_preload_length 0
		.amdhsa_user_sgpr_kernarg_preload_offset 0
		.amdhsa_user_sgpr_private_segment_size 0
		.amdhsa_uses_dynamic_stack 0
		.amdhsa_system_sgpr_private_segment_wavefront_offset 0
		.amdhsa_system_sgpr_workgroup_id_x 1
		.amdhsa_system_sgpr_workgroup_id_y 0
		.amdhsa_system_sgpr_workgroup_id_z 0
		.amdhsa_system_sgpr_workgroup_info 0
		.amdhsa_system_vgpr_workitem_id 0
		.amdhsa_next_free_vgpr 54
		.amdhsa_next_free_sgpr 36
		.amdhsa_accum_offset 56
		.amdhsa_reserve_vcc 1
		.amdhsa_reserve_flat_scratch 0
		.amdhsa_float_round_mode_32 0
		.amdhsa_float_round_mode_16_64 0
		.amdhsa_float_denorm_mode_32 3
		.amdhsa_float_denorm_mode_16_64 3
		.amdhsa_dx10_clamp 1
		.amdhsa_ieee_mode 1
		.amdhsa_fp16_overflow 0
		.amdhsa_tg_split 0
		.amdhsa_exception_fp_ieee_invalid_op 0
		.amdhsa_exception_fp_denorm_src 0
		.amdhsa_exception_fp_ieee_div_zero 0
		.amdhsa_exception_fp_ieee_overflow 0
		.amdhsa_exception_fp_ieee_underflow 0
		.amdhsa_exception_fp_ieee_inexact 0
		.amdhsa_exception_int_div_zero 0
	.end_amdhsa_kernel
	.section	.text._ZN7rocprim17ROCPRIM_400000_NS6detail17trampoline_kernelINS0_14default_configENS1_20scan_config_selectorIsEEZZNS1_9scan_implILNS1_25lookback_scan_determinismE0ELb0ELb0ES3_N6thrust23THRUST_200600_302600_NS6detail15normal_iteratorINS9_10device_ptrIsEEEESE_sNS9_4plusIvEEsEEDaPvRmT3_T4_T5_mT6_P12ihipStream_tbENKUlT_T0_E_clISt17integral_constantIbLb0EEST_IbLb1EEEEDaSP_SQ_EUlSP_E_NS1_11comp_targetILNS1_3genE4ELNS1_11target_archE910ELNS1_3gpuE8ELNS1_3repE0EEENS1_30default_config_static_selectorELNS0_4arch9wavefront6targetE1EEEvT1_,"axG",@progbits,_ZN7rocprim17ROCPRIM_400000_NS6detail17trampoline_kernelINS0_14default_configENS1_20scan_config_selectorIsEEZZNS1_9scan_implILNS1_25lookback_scan_determinismE0ELb0ELb0ES3_N6thrust23THRUST_200600_302600_NS6detail15normal_iteratorINS9_10device_ptrIsEEEESE_sNS9_4plusIvEEsEEDaPvRmT3_T4_T5_mT6_P12ihipStream_tbENKUlT_T0_E_clISt17integral_constantIbLb0EEST_IbLb1EEEEDaSP_SQ_EUlSP_E_NS1_11comp_targetILNS1_3genE4ELNS1_11target_archE910ELNS1_3gpuE8ELNS1_3repE0EEENS1_30default_config_static_selectorELNS0_4arch9wavefront6targetE1EEEvT1_,comdat
.Lfunc_end945:
	.size	_ZN7rocprim17ROCPRIM_400000_NS6detail17trampoline_kernelINS0_14default_configENS1_20scan_config_selectorIsEEZZNS1_9scan_implILNS1_25lookback_scan_determinismE0ELb0ELb0ES3_N6thrust23THRUST_200600_302600_NS6detail15normal_iteratorINS9_10device_ptrIsEEEESE_sNS9_4plusIvEEsEEDaPvRmT3_T4_T5_mT6_P12ihipStream_tbENKUlT_T0_E_clISt17integral_constantIbLb0EEST_IbLb1EEEEDaSP_SQ_EUlSP_E_NS1_11comp_targetILNS1_3genE4ELNS1_11target_archE910ELNS1_3gpuE8ELNS1_3repE0EEENS1_30default_config_static_selectorELNS0_4arch9wavefront6targetE1EEEvT1_, .Lfunc_end945-_ZN7rocprim17ROCPRIM_400000_NS6detail17trampoline_kernelINS0_14default_configENS1_20scan_config_selectorIsEEZZNS1_9scan_implILNS1_25lookback_scan_determinismE0ELb0ELb0ES3_N6thrust23THRUST_200600_302600_NS6detail15normal_iteratorINS9_10device_ptrIsEEEESE_sNS9_4plusIvEEsEEDaPvRmT3_T4_T5_mT6_P12ihipStream_tbENKUlT_T0_E_clISt17integral_constantIbLb0EEST_IbLb1EEEEDaSP_SQ_EUlSP_E_NS1_11comp_targetILNS1_3genE4ELNS1_11target_archE910ELNS1_3gpuE8ELNS1_3repE0EEENS1_30default_config_static_selectorELNS0_4arch9wavefront6targetE1EEEvT1_
                                        ; -- End function
	.section	.AMDGPU.csdata,"",@progbits
; Kernel info:
; codeLenInByte = 7984
; NumSgprs: 40
; NumVgprs: 54
; NumAgprs: 0
; TotalNumVgprs: 54
; ScratchSize: 0
; MemoryBound: 0
; FloatMode: 240
; IeeeMode: 1
; LDSByteSize: 3072 bytes/workgroup (compile time only)
; SGPRBlocks: 4
; VGPRBlocks: 6
; NumSGPRsForWavesPerEU: 40
; NumVGPRsForWavesPerEU: 54
; AccumOffset: 56
; Occupancy: 6
; WaveLimiterHint : 1
; COMPUTE_PGM_RSRC2:SCRATCH_EN: 0
; COMPUTE_PGM_RSRC2:USER_SGPR: 6
; COMPUTE_PGM_RSRC2:TRAP_HANDLER: 0
; COMPUTE_PGM_RSRC2:TGID_X_EN: 1
; COMPUTE_PGM_RSRC2:TGID_Y_EN: 0
; COMPUTE_PGM_RSRC2:TGID_Z_EN: 0
; COMPUTE_PGM_RSRC2:TIDIG_COMP_CNT: 0
; COMPUTE_PGM_RSRC3_GFX90A:ACCUM_OFFSET: 13
; COMPUTE_PGM_RSRC3_GFX90A:TG_SPLIT: 0
	.section	.text._ZN7rocprim17ROCPRIM_400000_NS6detail17trampoline_kernelINS0_14default_configENS1_20scan_config_selectorIsEEZZNS1_9scan_implILNS1_25lookback_scan_determinismE0ELb0ELb0ES3_N6thrust23THRUST_200600_302600_NS6detail15normal_iteratorINS9_10device_ptrIsEEEESE_sNS9_4plusIvEEsEEDaPvRmT3_T4_T5_mT6_P12ihipStream_tbENKUlT_T0_E_clISt17integral_constantIbLb0EEST_IbLb1EEEEDaSP_SQ_EUlSP_E_NS1_11comp_targetILNS1_3genE3ELNS1_11target_archE908ELNS1_3gpuE7ELNS1_3repE0EEENS1_30default_config_static_selectorELNS0_4arch9wavefront6targetE1EEEvT1_,"axG",@progbits,_ZN7rocprim17ROCPRIM_400000_NS6detail17trampoline_kernelINS0_14default_configENS1_20scan_config_selectorIsEEZZNS1_9scan_implILNS1_25lookback_scan_determinismE0ELb0ELb0ES3_N6thrust23THRUST_200600_302600_NS6detail15normal_iteratorINS9_10device_ptrIsEEEESE_sNS9_4plusIvEEsEEDaPvRmT3_T4_T5_mT6_P12ihipStream_tbENKUlT_T0_E_clISt17integral_constantIbLb0EEST_IbLb1EEEEDaSP_SQ_EUlSP_E_NS1_11comp_targetILNS1_3genE3ELNS1_11target_archE908ELNS1_3gpuE7ELNS1_3repE0EEENS1_30default_config_static_selectorELNS0_4arch9wavefront6targetE1EEEvT1_,comdat
	.protected	_ZN7rocprim17ROCPRIM_400000_NS6detail17trampoline_kernelINS0_14default_configENS1_20scan_config_selectorIsEEZZNS1_9scan_implILNS1_25lookback_scan_determinismE0ELb0ELb0ES3_N6thrust23THRUST_200600_302600_NS6detail15normal_iteratorINS9_10device_ptrIsEEEESE_sNS9_4plusIvEEsEEDaPvRmT3_T4_T5_mT6_P12ihipStream_tbENKUlT_T0_E_clISt17integral_constantIbLb0EEST_IbLb1EEEEDaSP_SQ_EUlSP_E_NS1_11comp_targetILNS1_3genE3ELNS1_11target_archE908ELNS1_3gpuE7ELNS1_3repE0EEENS1_30default_config_static_selectorELNS0_4arch9wavefront6targetE1EEEvT1_ ; -- Begin function _ZN7rocprim17ROCPRIM_400000_NS6detail17trampoline_kernelINS0_14default_configENS1_20scan_config_selectorIsEEZZNS1_9scan_implILNS1_25lookback_scan_determinismE0ELb0ELb0ES3_N6thrust23THRUST_200600_302600_NS6detail15normal_iteratorINS9_10device_ptrIsEEEESE_sNS9_4plusIvEEsEEDaPvRmT3_T4_T5_mT6_P12ihipStream_tbENKUlT_T0_E_clISt17integral_constantIbLb0EEST_IbLb1EEEEDaSP_SQ_EUlSP_E_NS1_11comp_targetILNS1_3genE3ELNS1_11target_archE908ELNS1_3gpuE7ELNS1_3repE0EEENS1_30default_config_static_selectorELNS0_4arch9wavefront6targetE1EEEvT1_
	.globl	_ZN7rocprim17ROCPRIM_400000_NS6detail17trampoline_kernelINS0_14default_configENS1_20scan_config_selectorIsEEZZNS1_9scan_implILNS1_25lookback_scan_determinismE0ELb0ELb0ES3_N6thrust23THRUST_200600_302600_NS6detail15normal_iteratorINS9_10device_ptrIsEEEESE_sNS9_4plusIvEEsEEDaPvRmT3_T4_T5_mT6_P12ihipStream_tbENKUlT_T0_E_clISt17integral_constantIbLb0EEST_IbLb1EEEEDaSP_SQ_EUlSP_E_NS1_11comp_targetILNS1_3genE3ELNS1_11target_archE908ELNS1_3gpuE7ELNS1_3repE0EEENS1_30default_config_static_selectorELNS0_4arch9wavefront6targetE1EEEvT1_
	.p2align	8
	.type	_ZN7rocprim17ROCPRIM_400000_NS6detail17trampoline_kernelINS0_14default_configENS1_20scan_config_selectorIsEEZZNS1_9scan_implILNS1_25lookback_scan_determinismE0ELb0ELb0ES3_N6thrust23THRUST_200600_302600_NS6detail15normal_iteratorINS9_10device_ptrIsEEEESE_sNS9_4plusIvEEsEEDaPvRmT3_T4_T5_mT6_P12ihipStream_tbENKUlT_T0_E_clISt17integral_constantIbLb0EEST_IbLb1EEEEDaSP_SQ_EUlSP_E_NS1_11comp_targetILNS1_3genE3ELNS1_11target_archE908ELNS1_3gpuE7ELNS1_3repE0EEENS1_30default_config_static_selectorELNS0_4arch9wavefront6targetE1EEEvT1_,@function
_ZN7rocprim17ROCPRIM_400000_NS6detail17trampoline_kernelINS0_14default_configENS1_20scan_config_selectorIsEEZZNS1_9scan_implILNS1_25lookback_scan_determinismE0ELb0ELb0ES3_N6thrust23THRUST_200600_302600_NS6detail15normal_iteratorINS9_10device_ptrIsEEEESE_sNS9_4plusIvEEsEEDaPvRmT3_T4_T5_mT6_P12ihipStream_tbENKUlT_T0_E_clISt17integral_constantIbLb0EEST_IbLb1EEEEDaSP_SQ_EUlSP_E_NS1_11comp_targetILNS1_3genE3ELNS1_11target_archE908ELNS1_3gpuE7ELNS1_3repE0EEENS1_30default_config_static_selectorELNS0_4arch9wavefront6targetE1EEEvT1_: ; @_ZN7rocprim17ROCPRIM_400000_NS6detail17trampoline_kernelINS0_14default_configENS1_20scan_config_selectorIsEEZZNS1_9scan_implILNS1_25lookback_scan_determinismE0ELb0ELb0ES3_N6thrust23THRUST_200600_302600_NS6detail15normal_iteratorINS9_10device_ptrIsEEEESE_sNS9_4plusIvEEsEEDaPvRmT3_T4_T5_mT6_P12ihipStream_tbENKUlT_T0_E_clISt17integral_constantIbLb0EEST_IbLb1EEEEDaSP_SQ_EUlSP_E_NS1_11comp_targetILNS1_3genE3ELNS1_11target_archE908ELNS1_3gpuE7ELNS1_3repE0EEENS1_30default_config_static_selectorELNS0_4arch9wavefront6targetE1EEEvT1_
; %bb.0:
	.section	.rodata,"a",@progbits
	.p2align	6, 0x0
	.amdhsa_kernel _ZN7rocprim17ROCPRIM_400000_NS6detail17trampoline_kernelINS0_14default_configENS1_20scan_config_selectorIsEEZZNS1_9scan_implILNS1_25lookback_scan_determinismE0ELb0ELb0ES3_N6thrust23THRUST_200600_302600_NS6detail15normal_iteratorINS9_10device_ptrIsEEEESE_sNS9_4plusIvEEsEEDaPvRmT3_T4_T5_mT6_P12ihipStream_tbENKUlT_T0_E_clISt17integral_constantIbLb0EEST_IbLb1EEEEDaSP_SQ_EUlSP_E_NS1_11comp_targetILNS1_3genE3ELNS1_11target_archE908ELNS1_3gpuE7ELNS1_3repE0EEENS1_30default_config_static_selectorELNS0_4arch9wavefront6targetE1EEEvT1_
		.amdhsa_group_segment_fixed_size 0
		.amdhsa_private_segment_fixed_size 0
		.amdhsa_kernarg_size 96
		.amdhsa_user_sgpr_count 6
		.amdhsa_user_sgpr_private_segment_buffer 1
		.amdhsa_user_sgpr_dispatch_ptr 0
		.amdhsa_user_sgpr_queue_ptr 0
		.amdhsa_user_sgpr_kernarg_segment_ptr 1
		.amdhsa_user_sgpr_dispatch_id 0
		.amdhsa_user_sgpr_flat_scratch_init 0
		.amdhsa_user_sgpr_kernarg_preload_length 0
		.amdhsa_user_sgpr_kernarg_preload_offset 0
		.amdhsa_user_sgpr_private_segment_size 0
		.amdhsa_uses_dynamic_stack 0
		.amdhsa_system_sgpr_private_segment_wavefront_offset 0
		.amdhsa_system_sgpr_workgroup_id_x 1
		.amdhsa_system_sgpr_workgroup_id_y 0
		.amdhsa_system_sgpr_workgroup_id_z 0
		.amdhsa_system_sgpr_workgroup_info 0
		.amdhsa_system_vgpr_workitem_id 0
		.amdhsa_next_free_vgpr 1
		.amdhsa_next_free_sgpr 0
		.amdhsa_accum_offset 4
		.amdhsa_reserve_vcc 0
		.amdhsa_reserve_flat_scratch 0
		.amdhsa_float_round_mode_32 0
		.amdhsa_float_round_mode_16_64 0
		.amdhsa_float_denorm_mode_32 3
		.amdhsa_float_denorm_mode_16_64 3
		.amdhsa_dx10_clamp 1
		.amdhsa_ieee_mode 1
		.amdhsa_fp16_overflow 0
		.amdhsa_tg_split 0
		.amdhsa_exception_fp_ieee_invalid_op 0
		.amdhsa_exception_fp_denorm_src 0
		.amdhsa_exception_fp_ieee_div_zero 0
		.amdhsa_exception_fp_ieee_overflow 0
		.amdhsa_exception_fp_ieee_underflow 0
		.amdhsa_exception_fp_ieee_inexact 0
		.amdhsa_exception_int_div_zero 0
	.end_amdhsa_kernel
	.section	.text._ZN7rocprim17ROCPRIM_400000_NS6detail17trampoline_kernelINS0_14default_configENS1_20scan_config_selectorIsEEZZNS1_9scan_implILNS1_25lookback_scan_determinismE0ELb0ELb0ES3_N6thrust23THRUST_200600_302600_NS6detail15normal_iteratorINS9_10device_ptrIsEEEESE_sNS9_4plusIvEEsEEDaPvRmT3_T4_T5_mT6_P12ihipStream_tbENKUlT_T0_E_clISt17integral_constantIbLb0EEST_IbLb1EEEEDaSP_SQ_EUlSP_E_NS1_11comp_targetILNS1_3genE3ELNS1_11target_archE908ELNS1_3gpuE7ELNS1_3repE0EEENS1_30default_config_static_selectorELNS0_4arch9wavefront6targetE1EEEvT1_,"axG",@progbits,_ZN7rocprim17ROCPRIM_400000_NS6detail17trampoline_kernelINS0_14default_configENS1_20scan_config_selectorIsEEZZNS1_9scan_implILNS1_25lookback_scan_determinismE0ELb0ELb0ES3_N6thrust23THRUST_200600_302600_NS6detail15normal_iteratorINS9_10device_ptrIsEEEESE_sNS9_4plusIvEEsEEDaPvRmT3_T4_T5_mT6_P12ihipStream_tbENKUlT_T0_E_clISt17integral_constantIbLb0EEST_IbLb1EEEEDaSP_SQ_EUlSP_E_NS1_11comp_targetILNS1_3genE3ELNS1_11target_archE908ELNS1_3gpuE7ELNS1_3repE0EEENS1_30default_config_static_selectorELNS0_4arch9wavefront6targetE1EEEvT1_,comdat
.Lfunc_end946:
	.size	_ZN7rocprim17ROCPRIM_400000_NS6detail17trampoline_kernelINS0_14default_configENS1_20scan_config_selectorIsEEZZNS1_9scan_implILNS1_25lookback_scan_determinismE0ELb0ELb0ES3_N6thrust23THRUST_200600_302600_NS6detail15normal_iteratorINS9_10device_ptrIsEEEESE_sNS9_4plusIvEEsEEDaPvRmT3_T4_T5_mT6_P12ihipStream_tbENKUlT_T0_E_clISt17integral_constantIbLb0EEST_IbLb1EEEEDaSP_SQ_EUlSP_E_NS1_11comp_targetILNS1_3genE3ELNS1_11target_archE908ELNS1_3gpuE7ELNS1_3repE0EEENS1_30default_config_static_selectorELNS0_4arch9wavefront6targetE1EEEvT1_, .Lfunc_end946-_ZN7rocprim17ROCPRIM_400000_NS6detail17trampoline_kernelINS0_14default_configENS1_20scan_config_selectorIsEEZZNS1_9scan_implILNS1_25lookback_scan_determinismE0ELb0ELb0ES3_N6thrust23THRUST_200600_302600_NS6detail15normal_iteratorINS9_10device_ptrIsEEEESE_sNS9_4plusIvEEsEEDaPvRmT3_T4_T5_mT6_P12ihipStream_tbENKUlT_T0_E_clISt17integral_constantIbLb0EEST_IbLb1EEEEDaSP_SQ_EUlSP_E_NS1_11comp_targetILNS1_3genE3ELNS1_11target_archE908ELNS1_3gpuE7ELNS1_3repE0EEENS1_30default_config_static_selectorELNS0_4arch9wavefront6targetE1EEEvT1_
                                        ; -- End function
	.section	.AMDGPU.csdata,"",@progbits
; Kernel info:
; codeLenInByte = 0
; NumSgprs: 4
; NumVgprs: 0
; NumAgprs: 0
; TotalNumVgprs: 0
; ScratchSize: 0
; MemoryBound: 0
; FloatMode: 240
; IeeeMode: 1
; LDSByteSize: 0 bytes/workgroup (compile time only)
; SGPRBlocks: 0
; VGPRBlocks: 0
; NumSGPRsForWavesPerEU: 4
; NumVGPRsForWavesPerEU: 1
; AccumOffset: 4
; Occupancy: 8
; WaveLimiterHint : 0
; COMPUTE_PGM_RSRC2:SCRATCH_EN: 0
; COMPUTE_PGM_RSRC2:USER_SGPR: 6
; COMPUTE_PGM_RSRC2:TRAP_HANDLER: 0
; COMPUTE_PGM_RSRC2:TGID_X_EN: 1
; COMPUTE_PGM_RSRC2:TGID_Y_EN: 0
; COMPUTE_PGM_RSRC2:TGID_Z_EN: 0
; COMPUTE_PGM_RSRC2:TIDIG_COMP_CNT: 0
; COMPUTE_PGM_RSRC3_GFX90A:ACCUM_OFFSET: 0
; COMPUTE_PGM_RSRC3_GFX90A:TG_SPLIT: 0
	.section	.text._ZN7rocprim17ROCPRIM_400000_NS6detail17trampoline_kernelINS0_14default_configENS1_20scan_config_selectorIsEEZZNS1_9scan_implILNS1_25lookback_scan_determinismE0ELb0ELb0ES3_N6thrust23THRUST_200600_302600_NS6detail15normal_iteratorINS9_10device_ptrIsEEEESE_sNS9_4plusIvEEsEEDaPvRmT3_T4_T5_mT6_P12ihipStream_tbENKUlT_T0_E_clISt17integral_constantIbLb0EEST_IbLb1EEEEDaSP_SQ_EUlSP_E_NS1_11comp_targetILNS1_3genE2ELNS1_11target_archE906ELNS1_3gpuE6ELNS1_3repE0EEENS1_30default_config_static_selectorELNS0_4arch9wavefront6targetE1EEEvT1_,"axG",@progbits,_ZN7rocprim17ROCPRIM_400000_NS6detail17trampoline_kernelINS0_14default_configENS1_20scan_config_selectorIsEEZZNS1_9scan_implILNS1_25lookback_scan_determinismE0ELb0ELb0ES3_N6thrust23THRUST_200600_302600_NS6detail15normal_iteratorINS9_10device_ptrIsEEEESE_sNS9_4plusIvEEsEEDaPvRmT3_T4_T5_mT6_P12ihipStream_tbENKUlT_T0_E_clISt17integral_constantIbLb0EEST_IbLb1EEEEDaSP_SQ_EUlSP_E_NS1_11comp_targetILNS1_3genE2ELNS1_11target_archE906ELNS1_3gpuE6ELNS1_3repE0EEENS1_30default_config_static_selectorELNS0_4arch9wavefront6targetE1EEEvT1_,comdat
	.protected	_ZN7rocprim17ROCPRIM_400000_NS6detail17trampoline_kernelINS0_14default_configENS1_20scan_config_selectorIsEEZZNS1_9scan_implILNS1_25lookback_scan_determinismE0ELb0ELb0ES3_N6thrust23THRUST_200600_302600_NS6detail15normal_iteratorINS9_10device_ptrIsEEEESE_sNS9_4plusIvEEsEEDaPvRmT3_T4_T5_mT6_P12ihipStream_tbENKUlT_T0_E_clISt17integral_constantIbLb0EEST_IbLb1EEEEDaSP_SQ_EUlSP_E_NS1_11comp_targetILNS1_3genE2ELNS1_11target_archE906ELNS1_3gpuE6ELNS1_3repE0EEENS1_30default_config_static_selectorELNS0_4arch9wavefront6targetE1EEEvT1_ ; -- Begin function _ZN7rocprim17ROCPRIM_400000_NS6detail17trampoline_kernelINS0_14default_configENS1_20scan_config_selectorIsEEZZNS1_9scan_implILNS1_25lookback_scan_determinismE0ELb0ELb0ES3_N6thrust23THRUST_200600_302600_NS6detail15normal_iteratorINS9_10device_ptrIsEEEESE_sNS9_4plusIvEEsEEDaPvRmT3_T4_T5_mT6_P12ihipStream_tbENKUlT_T0_E_clISt17integral_constantIbLb0EEST_IbLb1EEEEDaSP_SQ_EUlSP_E_NS1_11comp_targetILNS1_3genE2ELNS1_11target_archE906ELNS1_3gpuE6ELNS1_3repE0EEENS1_30default_config_static_selectorELNS0_4arch9wavefront6targetE1EEEvT1_
	.globl	_ZN7rocprim17ROCPRIM_400000_NS6detail17trampoline_kernelINS0_14default_configENS1_20scan_config_selectorIsEEZZNS1_9scan_implILNS1_25lookback_scan_determinismE0ELb0ELb0ES3_N6thrust23THRUST_200600_302600_NS6detail15normal_iteratorINS9_10device_ptrIsEEEESE_sNS9_4plusIvEEsEEDaPvRmT3_T4_T5_mT6_P12ihipStream_tbENKUlT_T0_E_clISt17integral_constantIbLb0EEST_IbLb1EEEEDaSP_SQ_EUlSP_E_NS1_11comp_targetILNS1_3genE2ELNS1_11target_archE906ELNS1_3gpuE6ELNS1_3repE0EEENS1_30default_config_static_selectorELNS0_4arch9wavefront6targetE1EEEvT1_
	.p2align	8
	.type	_ZN7rocprim17ROCPRIM_400000_NS6detail17trampoline_kernelINS0_14default_configENS1_20scan_config_selectorIsEEZZNS1_9scan_implILNS1_25lookback_scan_determinismE0ELb0ELb0ES3_N6thrust23THRUST_200600_302600_NS6detail15normal_iteratorINS9_10device_ptrIsEEEESE_sNS9_4plusIvEEsEEDaPvRmT3_T4_T5_mT6_P12ihipStream_tbENKUlT_T0_E_clISt17integral_constantIbLb0EEST_IbLb1EEEEDaSP_SQ_EUlSP_E_NS1_11comp_targetILNS1_3genE2ELNS1_11target_archE906ELNS1_3gpuE6ELNS1_3repE0EEENS1_30default_config_static_selectorELNS0_4arch9wavefront6targetE1EEEvT1_,@function
_ZN7rocprim17ROCPRIM_400000_NS6detail17trampoline_kernelINS0_14default_configENS1_20scan_config_selectorIsEEZZNS1_9scan_implILNS1_25lookback_scan_determinismE0ELb0ELb0ES3_N6thrust23THRUST_200600_302600_NS6detail15normal_iteratorINS9_10device_ptrIsEEEESE_sNS9_4plusIvEEsEEDaPvRmT3_T4_T5_mT6_P12ihipStream_tbENKUlT_T0_E_clISt17integral_constantIbLb0EEST_IbLb1EEEEDaSP_SQ_EUlSP_E_NS1_11comp_targetILNS1_3genE2ELNS1_11target_archE906ELNS1_3gpuE6ELNS1_3repE0EEENS1_30default_config_static_selectorELNS0_4arch9wavefront6targetE1EEEvT1_: ; @_ZN7rocprim17ROCPRIM_400000_NS6detail17trampoline_kernelINS0_14default_configENS1_20scan_config_selectorIsEEZZNS1_9scan_implILNS1_25lookback_scan_determinismE0ELb0ELb0ES3_N6thrust23THRUST_200600_302600_NS6detail15normal_iteratorINS9_10device_ptrIsEEEESE_sNS9_4plusIvEEsEEDaPvRmT3_T4_T5_mT6_P12ihipStream_tbENKUlT_T0_E_clISt17integral_constantIbLb0EEST_IbLb1EEEEDaSP_SQ_EUlSP_E_NS1_11comp_targetILNS1_3genE2ELNS1_11target_archE906ELNS1_3gpuE6ELNS1_3repE0EEENS1_30default_config_static_selectorELNS0_4arch9wavefront6targetE1EEEvT1_
; %bb.0:
	.section	.rodata,"a",@progbits
	.p2align	6, 0x0
	.amdhsa_kernel _ZN7rocprim17ROCPRIM_400000_NS6detail17trampoline_kernelINS0_14default_configENS1_20scan_config_selectorIsEEZZNS1_9scan_implILNS1_25lookback_scan_determinismE0ELb0ELb0ES3_N6thrust23THRUST_200600_302600_NS6detail15normal_iteratorINS9_10device_ptrIsEEEESE_sNS9_4plusIvEEsEEDaPvRmT3_T4_T5_mT6_P12ihipStream_tbENKUlT_T0_E_clISt17integral_constantIbLb0EEST_IbLb1EEEEDaSP_SQ_EUlSP_E_NS1_11comp_targetILNS1_3genE2ELNS1_11target_archE906ELNS1_3gpuE6ELNS1_3repE0EEENS1_30default_config_static_selectorELNS0_4arch9wavefront6targetE1EEEvT1_
		.amdhsa_group_segment_fixed_size 0
		.amdhsa_private_segment_fixed_size 0
		.amdhsa_kernarg_size 96
		.amdhsa_user_sgpr_count 6
		.amdhsa_user_sgpr_private_segment_buffer 1
		.amdhsa_user_sgpr_dispatch_ptr 0
		.amdhsa_user_sgpr_queue_ptr 0
		.amdhsa_user_sgpr_kernarg_segment_ptr 1
		.amdhsa_user_sgpr_dispatch_id 0
		.amdhsa_user_sgpr_flat_scratch_init 0
		.amdhsa_user_sgpr_kernarg_preload_length 0
		.amdhsa_user_sgpr_kernarg_preload_offset 0
		.amdhsa_user_sgpr_private_segment_size 0
		.amdhsa_uses_dynamic_stack 0
		.amdhsa_system_sgpr_private_segment_wavefront_offset 0
		.amdhsa_system_sgpr_workgroup_id_x 1
		.amdhsa_system_sgpr_workgroup_id_y 0
		.amdhsa_system_sgpr_workgroup_id_z 0
		.amdhsa_system_sgpr_workgroup_info 0
		.amdhsa_system_vgpr_workitem_id 0
		.amdhsa_next_free_vgpr 1
		.amdhsa_next_free_sgpr 0
		.amdhsa_accum_offset 4
		.amdhsa_reserve_vcc 0
		.amdhsa_reserve_flat_scratch 0
		.amdhsa_float_round_mode_32 0
		.amdhsa_float_round_mode_16_64 0
		.amdhsa_float_denorm_mode_32 3
		.amdhsa_float_denorm_mode_16_64 3
		.amdhsa_dx10_clamp 1
		.amdhsa_ieee_mode 1
		.amdhsa_fp16_overflow 0
		.amdhsa_tg_split 0
		.amdhsa_exception_fp_ieee_invalid_op 0
		.amdhsa_exception_fp_denorm_src 0
		.amdhsa_exception_fp_ieee_div_zero 0
		.amdhsa_exception_fp_ieee_overflow 0
		.amdhsa_exception_fp_ieee_underflow 0
		.amdhsa_exception_fp_ieee_inexact 0
		.amdhsa_exception_int_div_zero 0
	.end_amdhsa_kernel
	.section	.text._ZN7rocprim17ROCPRIM_400000_NS6detail17trampoline_kernelINS0_14default_configENS1_20scan_config_selectorIsEEZZNS1_9scan_implILNS1_25lookback_scan_determinismE0ELb0ELb0ES3_N6thrust23THRUST_200600_302600_NS6detail15normal_iteratorINS9_10device_ptrIsEEEESE_sNS9_4plusIvEEsEEDaPvRmT3_T4_T5_mT6_P12ihipStream_tbENKUlT_T0_E_clISt17integral_constantIbLb0EEST_IbLb1EEEEDaSP_SQ_EUlSP_E_NS1_11comp_targetILNS1_3genE2ELNS1_11target_archE906ELNS1_3gpuE6ELNS1_3repE0EEENS1_30default_config_static_selectorELNS0_4arch9wavefront6targetE1EEEvT1_,"axG",@progbits,_ZN7rocprim17ROCPRIM_400000_NS6detail17trampoline_kernelINS0_14default_configENS1_20scan_config_selectorIsEEZZNS1_9scan_implILNS1_25lookback_scan_determinismE0ELb0ELb0ES3_N6thrust23THRUST_200600_302600_NS6detail15normal_iteratorINS9_10device_ptrIsEEEESE_sNS9_4plusIvEEsEEDaPvRmT3_T4_T5_mT6_P12ihipStream_tbENKUlT_T0_E_clISt17integral_constantIbLb0EEST_IbLb1EEEEDaSP_SQ_EUlSP_E_NS1_11comp_targetILNS1_3genE2ELNS1_11target_archE906ELNS1_3gpuE6ELNS1_3repE0EEENS1_30default_config_static_selectorELNS0_4arch9wavefront6targetE1EEEvT1_,comdat
.Lfunc_end947:
	.size	_ZN7rocprim17ROCPRIM_400000_NS6detail17trampoline_kernelINS0_14default_configENS1_20scan_config_selectorIsEEZZNS1_9scan_implILNS1_25lookback_scan_determinismE0ELb0ELb0ES3_N6thrust23THRUST_200600_302600_NS6detail15normal_iteratorINS9_10device_ptrIsEEEESE_sNS9_4plusIvEEsEEDaPvRmT3_T4_T5_mT6_P12ihipStream_tbENKUlT_T0_E_clISt17integral_constantIbLb0EEST_IbLb1EEEEDaSP_SQ_EUlSP_E_NS1_11comp_targetILNS1_3genE2ELNS1_11target_archE906ELNS1_3gpuE6ELNS1_3repE0EEENS1_30default_config_static_selectorELNS0_4arch9wavefront6targetE1EEEvT1_, .Lfunc_end947-_ZN7rocprim17ROCPRIM_400000_NS6detail17trampoline_kernelINS0_14default_configENS1_20scan_config_selectorIsEEZZNS1_9scan_implILNS1_25lookback_scan_determinismE0ELb0ELb0ES3_N6thrust23THRUST_200600_302600_NS6detail15normal_iteratorINS9_10device_ptrIsEEEESE_sNS9_4plusIvEEsEEDaPvRmT3_T4_T5_mT6_P12ihipStream_tbENKUlT_T0_E_clISt17integral_constantIbLb0EEST_IbLb1EEEEDaSP_SQ_EUlSP_E_NS1_11comp_targetILNS1_3genE2ELNS1_11target_archE906ELNS1_3gpuE6ELNS1_3repE0EEENS1_30default_config_static_selectorELNS0_4arch9wavefront6targetE1EEEvT1_
                                        ; -- End function
	.section	.AMDGPU.csdata,"",@progbits
; Kernel info:
; codeLenInByte = 0
; NumSgprs: 4
; NumVgprs: 0
; NumAgprs: 0
; TotalNumVgprs: 0
; ScratchSize: 0
; MemoryBound: 0
; FloatMode: 240
; IeeeMode: 1
; LDSByteSize: 0 bytes/workgroup (compile time only)
; SGPRBlocks: 0
; VGPRBlocks: 0
; NumSGPRsForWavesPerEU: 4
; NumVGPRsForWavesPerEU: 1
; AccumOffset: 4
; Occupancy: 8
; WaveLimiterHint : 0
; COMPUTE_PGM_RSRC2:SCRATCH_EN: 0
; COMPUTE_PGM_RSRC2:USER_SGPR: 6
; COMPUTE_PGM_RSRC2:TRAP_HANDLER: 0
; COMPUTE_PGM_RSRC2:TGID_X_EN: 1
; COMPUTE_PGM_RSRC2:TGID_Y_EN: 0
; COMPUTE_PGM_RSRC2:TGID_Z_EN: 0
; COMPUTE_PGM_RSRC2:TIDIG_COMP_CNT: 0
; COMPUTE_PGM_RSRC3_GFX90A:ACCUM_OFFSET: 0
; COMPUTE_PGM_RSRC3_GFX90A:TG_SPLIT: 0
	.section	.text._ZN7rocprim17ROCPRIM_400000_NS6detail17trampoline_kernelINS0_14default_configENS1_20scan_config_selectorIsEEZZNS1_9scan_implILNS1_25lookback_scan_determinismE0ELb0ELb0ES3_N6thrust23THRUST_200600_302600_NS6detail15normal_iteratorINS9_10device_ptrIsEEEESE_sNS9_4plusIvEEsEEDaPvRmT3_T4_T5_mT6_P12ihipStream_tbENKUlT_T0_E_clISt17integral_constantIbLb0EEST_IbLb1EEEEDaSP_SQ_EUlSP_E_NS1_11comp_targetILNS1_3genE10ELNS1_11target_archE1201ELNS1_3gpuE5ELNS1_3repE0EEENS1_30default_config_static_selectorELNS0_4arch9wavefront6targetE1EEEvT1_,"axG",@progbits,_ZN7rocprim17ROCPRIM_400000_NS6detail17trampoline_kernelINS0_14default_configENS1_20scan_config_selectorIsEEZZNS1_9scan_implILNS1_25lookback_scan_determinismE0ELb0ELb0ES3_N6thrust23THRUST_200600_302600_NS6detail15normal_iteratorINS9_10device_ptrIsEEEESE_sNS9_4plusIvEEsEEDaPvRmT3_T4_T5_mT6_P12ihipStream_tbENKUlT_T0_E_clISt17integral_constantIbLb0EEST_IbLb1EEEEDaSP_SQ_EUlSP_E_NS1_11comp_targetILNS1_3genE10ELNS1_11target_archE1201ELNS1_3gpuE5ELNS1_3repE0EEENS1_30default_config_static_selectorELNS0_4arch9wavefront6targetE1EEEvT1_,comdat
	.protected	_ZN7rocprim17ROCPRIM_400000_NS6detail17trampoline_kernelINS0_14default_configENS1_20scan_config_selectorIsEEZZNS1_9scan_implILNS1_25lookback_scan_determinismE0ELb0ELb0ES3_N6thrust23THRUST_200600_302600_NS6detail15normal_iteratorINS9_10device_ptrIsEEEESE_sNS9_4plusIvEEsEEDaPvRmT3_T4_T5_mT6_P12ihipStream_tbENKUlT_T0_E_clISt17integral_constantIbLb0EEST_IbLb1EEEEDaSP_SQ_EUlSP_E_NS1_11comp_targetILNS1_3genE10ELNS1_11target_archE1201ELNS1_3gpuE5ELNS1_3repE0EEENS1_30default_config_static_selectorELNS0_4arch9wavefront6targetE1EEEvT1_ ; -- Begin function _ZN7rocprim17ROCPRIM_400000_NS6detail17trampoline_kernelINS0_14default_configENS1_20scan_config_selectorIsEEZZNS1_9scan_implILNS1_25lookback_scan_determinismE0ELb0ELb0ES3_N6thrust23THRUST_200600_302600_NS6detail15normal_iteratorINS9_10device_ptrIsEEEESE_sNS9_4plusIvEEsEEDaPvRmT3_T4_T5_mT6_P12ihipStream_tbENKUlT_T0_E_clISt17integral_constantIbLb0EEST_IbLb1EEEEDaSP_SQ_EUlSP_E_NS1_11comp_targetILNS1_3genE10ELNS1_11target_archE1201ELNS1_3gpuE5ELNS1_3repE0EEENS1_30default_config_static_selectorELNS0_4arch9wavefront6targetE1EEEvT1_
	.globl	_ZN7rocprim17ROCPRIM_400000_NS6detail17trampoline_kernelINS0_14default_configENS1_20scan_config_selectorIsEEZZNS1_9scan_implILNS1_25lookback_scan_determinismE0ELb0ELb0ES3_N6thrust23THRUST_200600_302600_NS6detail15normal_iteratorINS9_10device_ptrIsEEEESE_sNS9_4plusIvEEsEEDaPvRmT3_T4_T5_mT6_P12ihipStream_tbENKUlT_T0_E_clISt17integral_constantIbLb0EEST_IbLb1EEEEDaSP_SQ_EUlSP_E_NS1_11comp_targetILNS1_3genE10ELNS1_11target_archE1201ELNS1_3gpuE5ELNS1_3repE0EEENS1_30default_config_static_selectorELNS0_4arch9wavefront6targetE1EEEvT1_
	.p2align	8
	.type	_ZN7rocprim17ROCPRIM_400000_NS6detail17trampoline_kernelINS0_14default_configENS1_20scan_config_selectorIsEEZZNS1_9scan_implILNS1_25lookback_scan_determinismE0ELb0ELb0ES3_N6thrust23THRUST_200600_302600_NS6detail15normal_iteratorINS9_10device_ptrIsEEEESE_sNS9_4plusIvEEsEEDaPvRmT3_T4_T5_mT6_P12ihipStream_tbENKUlT_T0_E_clISt17integral_constantIbLb0EEST_IbLb1EEEEDaSP_SQ_EUlSP_E_NS1_11comp_targetILNS1_3genE10ELNS1_11target_archE1201ELNS1_3gpuE5ELNS1_3repE0EEENS1_30default_config_static_selectorELNS0_4arch9wavefront6targetE1EEEvT1_,@function
_ZN7rocprim17ROCPRIM_400000_NS6detail17trampoline_kernelINS0_14default_configENS1_20scan_config_selectorIsEEZZNS1_9scan_implILNS1_25lookback_scan_determinismE0ELb0ELb0ES3_N6thrust23THRUST_200600_302600_NS6detail15normal_iteratorINS9_10device_ptrIsEEEESE_sNS9_4plusIvEEsEEDaPvRmT3_T4_T5_mT6_P12ihipStream_tbENKUlT_T0_E_clISt17integral_constantIbLb0EEST_IbLb1EEEEDaSP_SQ_EUlSP_E_NS1_11comp_targetILNS1_3genE10ELNS1_11target_archE1201ELNS1_3gpuE5ELNS1_3repE0EEENS1_30default_config_static_selectorELNS0_4arch9wavefront6targetE1EEEvT1_: ; @_ZN7rocprim17ROCPRIM_400000_NS6detail17trampoline_kernelINS0_14default_configENS1_20scan_config_selectorIsEEZZNS1_9scan_implILNS1_25lookback_scan_determinismE0ELb0ELb0ES3_N6thrust23THRUST_200600_302600_NS6detail15normal_iteratorINS9_10device_ptrIsEEEESE_sNS9_4plusIvEEsEEDaPvRmT3_T4_T5_mT6_P12ihipStream_tbENKUlT_T0_E_clISt17integral_constantIbLb0EEST_IbLb1EEEEDaSP_SQ_EUlSP_E_NS1_11comp_targetILNS1_3genE10ELNS1_11target_archE1201ELNS1_3gpuE5ELNS1_3repE0EEENS1_30default_config_static_selectorELNS0_4arch9wavefront6targetE1EEEvT1_
; %bb.0:
	.section	.rodata,"a",@progbits
	.p2align	6, 0x0
	.amdhsa_kernel _ZN7rocprim17ROCPRIM_400000_NS6detail17trampoline_kernelINS0_14default_configENS1_20scan_config_selectorIsEEZZNS1_9scan_implILNS1_25lookback_scan_determinismE0ELb0ELb0ES3_N6thrust23THRUST_200600_302600_NS6detail15normal_iteratorINS9_10device_ptrIsEEEESE_sNS9_4plusIvEEsEEDaPvRmT3_T4_T5_mT6_P12ihipStream_tbENKUlT_T0_E_clISt17integral_constantIbLb0EEST_IbLb1EEEEDaSP_SQ_EUlSP_E_NS1_11comp_targetILNS1_3genE10ELNS1_11target_archE1201ELNS1_3gpuE5ELNS1_3repE0EEENS1_30default_config_static_selectorELNS0_4arch9wavefront6targetE1EEEvT1_
		.amdhsa_group_segment_fixed_size 0
		.amdhsa_private_segment_fixed_size 0
		.amdhsa_kernarg_size 96
		.amdhsa_user_sgpr_count 6
		.amdhsa_user_sgpr_private_segment_buffer 1
		.amdhsa_user_sgpr_dispatch_ptr 0
		.amdhsa_user_sgpr_queue_ptr 0
		.amdhsa_user_sgpr_kernarg_segment_ptr 1
		.amdhsa_user_sgpr_dispatch_id 0
		.amdhsa_user_sgpr_flat_scratch_init 0
		.amdhsa_user_sgpr_kernarg_preload_length 0
		.amdhsa_user_sgpr_kernarg_preload_offset 0
		.amdhsa_user_sgpr_private_segment_size 0
		.amdhsa_uses_dynamic_stack 0
		.amdhsa_system_sgpr_private_segment_wavefront_offset 0
		.amdhsa_system_sgpr_workgroup_id_x 1
		.amdhsa_system_sgpr_workgroup_id_y 0
		.amdhsa_system_sgpr_workgroup_id_z 0
		.amdhsa_system_sgpr_workgroup_info 0
		.amdhsa_system_vgpr_workitem_id 0
		.amdhsa_next_free_vgpr 1
		.amdhsa_next_free_sgpr 0
		.amdhsa_accum_offset 4
		.amdhsa_reserve_vcc 0
		.amdhsa_reserve_flat_scratch 0
		.amdhsa_float_round_mode_32 0
		.amdhsa_float_round_mode_16_64 0
		.amdhsa_float_denorm_mode_32 3
		.amdhsa_float_denorm_mode_16_64 3
		.amdhsa_dx10_clamp 1
		.amdhsa_ieee_mode 1
		.amdhsa_fp16_overflow 0
		.amdhsa_tg_split 0
		.amdhsa_exception_fp_ieee_invalid_op 0
		.amdhsa_exception_fp_denorm_src 0
		.amdhsa_exception_fp_ieee_div_zero 0
		.amdhsa_exception_fp_ieee_overflow 0
		.amdhsa_exception_fp_ieee_underflow 0
		.amdhsa_exception_fp_ieee_inexact 0
		.amdhsa_exception_int_div_zero 0
	.end_amdhsa_kernel
	.section	.text._ZN7rocprim17ROCPRIM_400000_NS6detail17trampoline_kernelINS0_14default_configENS1_20scan_config_selectorIsEEZZNS1_9scan_implILNS1_25lookback_scan_determinismE0ELb0ELb0ES3_N6thrust23THRUST_200600_302600_NS6detail15normal_iteratorINS9_10device_ptrIsEEEESE_sNS9_4plusIvEEsEEDaPvRmT3_T4_T5_mT6_P12ihipStream_tbENKUlT_T0_E_clISt17integral_constantIbLb0EEST_IbLb1EEEEDaSP_SQ_EUlSP_E_NS1_11comp_targetILNS1_3genE10ELNS1_11target_archE1201ELNS1_3gpuE5ELNS1_3repE0EEENS1_30default_config_static_selectorELNS0_4arch9wavefront6targetE1EEEvT1_,"axG",@progbits,_ZN7rocprim17ROCPRIM_400000_NS6detail17trampoline_kernelINS0_14default_configENS1_20scan_config_selectorIsEEZZNS1_9scan_implILNS1_25lookback_scan_determinismE0ELb0ELb0ES3_N6thrust23THRUST_200600_302600_NS6detail15normal_iteratorINS9_10device_ptrIsEEEESE_sNS9_4plusIvEEsEEDaPvRmT3_T4_T5_mT6_P12ihipStream_tbENKUlT_T0_E_clISt17integral_constantIbLb0EEST_IbLb1EEEEDaSP_SQ_EUlSP_E_NS1_11comp_targetILNS1_3genE10ELNS1_11target_archE1201ELNS1_3gpuE5ELNS1_3repE0EEENS1_30default_config_static_selectorELNS0_4arch9wavefront6targetE1EEEvT1_,comdat
.Lfunc_end948:
	.size	_ZN7rocprim17ROCPRIM_400000_NS6detail17trampoline_kernelINS0_14default_configENS1_20scan_config_selectorIsEEZZNS1_9scan_implILNS1_25lookback_scan_determinismE0ELb0ELb0ES3_N6thrust23THRUST_200600_302600_NS6detail15normal_iteratorINS9_10device_ptrIsEEEESE_sNS9_4plusIvEEsEEDaPvRmT3_T4_T5_mT6_P12ihipStream_tbENKUlT_T0_E_clISt17integral_constantIbLb0EEST_IbLb1EEEEDaSP_SQ_EUlSP_E_NS1_11comp_targetILNS1_3genE10ELNS1_11target_archE1201ELNS1_3gpuE5ELNS1_3repE0EEENS1_30default_config_static_selectorELNS0_4arch9wavefront6targetE1EEEvT1_, .Lfunc_end948-_ZN7rocprim17ROCPRIM_400000_NS6detail17trampoline_kernelINS0_14default_configENS1_20scan_config_selectorIsEEZZNS1_9scan_implILNS1_25lookback_scan_determinismE0ELb0ELb0ES3_N6thrust23THRUST_200600_302600_NS6detail15normal_iteratorINS9_10device_ptrIsEEEESE_sNS9_4plusIvEEsEEDaPvRmT3_T4_T5_mT6_P12ihipStream_tbENKUlT_T0_E_clISt17integral_constantIbLb0EEST_IbLb1EEEEDaSP_SQ_EUlSP_E_NS1_11comp_targetILNS1_3genE10ELNS1_11target_archE1201ELNS1_3gpuE5ELNS1_3repE0EEENS1_30default_config_static_selectorELNS0_4arch9wavefront6targetE1EEEvT1_
                                        ; -- End function
	.section	.AMDGPU.csdata,"",@progbits
; Kernel info:
; codeLenInByte = 0
; NumSgprs: 4
; NumVgprs: 0
; NumAgprs: 0
; TotalNumVgprs: 0
; ScratchSize: 0
; MemoryBound: 0
; FloatMode: 240
; IeeeMode: 1
; LDSByteSize: 0 bytes/workgroup (compile time only)
; SGPRBlocks: 0
; VGPRBlocks: 0
; NumSGPRsForWavesPerEU: 4
; NumVGPRsForWavesPerEU: 1
; AccumOffset: 4
; Occupancy: 8
; WaveLimiterHint : 0
; COMPUTE_PGM_RSRC2:SCRATCH_EN: 0
; COMPUTE_PGM_RSRC2:USER_SGPR: 6
; COMPUTE_PGM_RSRC2:TRAP_HANDLER: 0
; COMPUTE_PGM_RSRC2:TGID_X_EN: 1
; COMPUTE_PGM_RSRC2:TGID_Y_EN: 0
; COMPUTE_PGM_RSRC2:TGID_Z_EN: 0
; COMPUTE_PGM_RSRC2:TIDIG_COMP_CNT: 0
; COMPUTE_PGM_RSRC3_GFX90A:ACCUM_OFFSET: 0
; COMPUTE_PGM_RSRC3_GFX90A:TG_SPLIT: 0
	.section	.text._ZN7rocprim17ROCPRIM_400000_NS6detail17trampoline_kernelINS0_14default_configENS1_20scan_config_selectorIsEEZZNS1_9scan_implILNS1_25lookback_scan_determinismE0ELb0ELb0ES3_N6thrust23THRUST_200600_302600_NS6detail15normal_iteratorINS9_10device_ptrIsEEEESE_sNS9_4plusIvEEsEEDaPvRmT3_T4_T5_mT6_P12ihipStream_tbENKUlT_T0_E_clISt17integral_constantIbLb0EEST_IbLb1EEEEDaSP_SQ_EUlSP_E_NS1_11comp_targetILNS1_3genE10ELNS1_11target_archE1200ELNS1_3gpuE4ELNS1_3repE0EEENS1_30default_config_static_selectorELNS0_4arch9wavefront6targetE1EEEvT1_,"axG",@progbits,_ZN7rocprim17ROCPRIM_400000_NS6detail17trampoline_kernelINS0_14default_configENS1_20scan_config_selectorIsEEZZNS1_9scan_implILNS1_25lookback_scan_determinismE0ELb0ELb0ES3_N6thrust23THRUST_200600_302600_NS6detail15normal_iteratorINS9_10device_ptrIsEEEESE_sNS9_4plusIvEEsEEDaPvRmT3_T4_T5_mT6_P12ihipStream_tbENKUlT_T0_E_clISt17integral_constantIbLb0EEST_IbLb1EEEEDaSP_SQ_EUlSP_E_NS1_11comp_targetILNS1_3genE10ELNS1_11target_archE1200ELNS1_3gpuE4ELNS1_3repE0EEENS1_30default_config_static_selectorELNS0_4arch9wavefront6targetE1EEEvT1_,comdat
	.protected	_ZN7rocprim17ROCPRIM_400000_NS6detail17trampoline_kernelINS0_14default_configENS1_20scan_config_selectorIsEEZZNS1_9scan_implILNS1_25lookback_scan_determinismE0ELb0ELb0ES3_N6thrust23THRUST_200600_302600_NS6detail15normal_iteratorINS9_10device_ptrIsEEEESE_sNS9_4plusIvEEsEEDaPvRmT3_T4_T5_mT6_P12ihipStream_tbENKUlT_T0_E_clISt17integral_constantIbLb0EEST_IbLb1EEEEDaSP_SQ_EUlSP_E_NS1_11comp_targetILNS1_3genE10ELNS1_11target_archE1200ELNS1_3gpuE4ELNS1_3repE0EEENS1_30default_config_static_selectorELNS0_4arch9wavefront6targetE1EEEvT1_ ; -- Begin function _ZN7rocprim17ROCPRIM_400000_NS6detail17trampoline_kernelINS0_14default_configENS1_20scan_config_selectorIsEEZZNS1_9scan_implILNS1_25lookback_scan_determinismE0ELb0ELb0ES3_N6thrust23THRUST_200600_302600_NS6detail15normal_iteratorINS9_10device_ptrIsEEEESE_sNS9_4plusIvEEsEEDaPvRmT3_T4_T5_mT6_P12ihipStream_tbENKUlT_T0_E_clISt17integral_constantIbLb0EEST_IbLb1EEEEDaSP_SQ_EUlSP_E_NS1_11comp_targetILNS1_3genE10ELNS1_11target_archE1200ELNS1_3gpuE4ELNS1_3repE0EEENS1_30default_config_static_selectorELNS0_4arch9wavefront6targetE1EEEvT1_
	.globl	_ZN7rocprim17ROCPRIM_400000_NS6detail17trampoline_kernelINS0_14default_configENS1_20scan_config_selectorIsEEZZNS1_9scan_implILNS1_25lookback_scan_determinismE0ELb0ELb0ES3_N6thrust23THRUST_200600_302600_NS6detail15normal_iteratorINS9_10device_ptrIsEEEESE_sNS9_4plusIvEEsEEDaPvRmT3_T4_T5_mT6_P12ihipStream_tbENKUlT_T0_E_clISt17integral_constantIbLb0EEST_IbLb1EEEEDaSP_SQ_EUlSP_E_NS1_11comp_targetILNS1_3genE10ELNS1_11target_archE1200ELNS1_3gpuE4ELNS1_3repE0EEENS1_30default_config_static_selectorELNS0_4arch9wavefront6targetE1EEEvT1_
	.p2align	8
	.type	_ZN7rocprim17ROCPRIM_400000_NS6detail17trampoline_kernelINS0_14default_configENS1_20scan_config_selectorIsEEZZNS1_9scan_implILNS1_25lookback_scan_determinismE0ELb0ELb0ES3_N6thrust23THRUST_200600_302600_NS6detail15normal_iteratorINS9_10device_ptrIsEEEESE_sNS9_4plusIvEEsEEDaPvRmT3_T4_T5_mT6_P12ihipStream_tbENKUlT_T0_E_clISt17integral_constantIbLb0EEST_IbLb1EEEEDaSP_SQ_EUlSP_E_NS1_11comp_targetILNS1_3genE10ELNS1_11target_archE1200ELNS1_3gpuE4ELNS1_3repE0EEENS1_30default_config_static_selectorELNS0_4arch9wavefront6targetE1EEEvT1_,@function
_ZN7rocprim17ROCPRIM_400000_NS6detail17trampoline_kernelINS0_14default_configENS1_20scan_config_selectorIsEEZZNS1_9scan_implILNS1_25lookback_scan_determinismE0ELb0ELb0ES3_N6thrust23THRUST_200600_302600_NS6detail15normal_iteratorINS9_10device_ptrIsEEEESE_sNS9_4plusIvEEsEEDaPvRmT3_T4_T5_mT6_P12ihipStream_tbENKUlT_T0_E_clISt17integral_constantIbLb0EEST_IbLb1EEEEDaSP_SQ_EUlSP_E_NS1_11comp_targetILNS1_3genE10ELNS1_11target_archE1200ELNS1_3gpuE4ELNS1_3repE0EEENS1_30default_config_static_selectorELNS0_4arch9wavefront6targetE1EEEvT1_: ; @_ZN7rocprim17ROCPRIM_400000_NS6detail17trampoline_kernelINS0_14default_configENS1_20scan_config_selectorIsEEZZNS1_9scan_implILNS1_25lookback_scan_determinismE0ELb0ELb0ES3_N6thrust23THRUST_200600_302600_NS6detail15normal_iteratorINS9_10device_ptrIsEEEESE_sNS9_4plusIvEEsEEDaPvRmT3_T4_T5_mT6_P12ihipStream_tbENKUlT_T0_E_clISt17integral_constantIbLb0EEST_IbLb1EEEEDaSP_SQ_EUlSP_E_NS1_11comp_targetILNS1_3genE10ELNS1_11target_archE1200ELNS1_3gpuE4ELNS1_3repE0EEENS1_30default_config_static_selectorELNS0_4arch9wavefront6targetE1EEEvT1_
; %bb.0:
	.section	.rodata,"a",@progbits
	.p2align	6, 0x0
	.amdhsa_kernel _ZN7rocprim17ROCPRIM_400000_NS6detail17trampoline_kernelINS0_14default_configENS1_20scan_config_selectorIsEEZZNS1_9scan_implILNS1_25lookback_scan_determinismE0ELb0ELb0ES3_N6thrust23THRUST_200600_302600_NS6detail15normal_iteratorINS9_10device_ptrIsEEEESE_sNS9_4plusIvEEsEEDaPvRmT3_T4_T5_mT6_P12ihipStream_tbENKUlT_T0_E_clISt17integral_constantIbLb0EEST_IbLb1EEEEDaSP_SQ_EUlSP_E_NS1_11comp_targetILNS1_3genE10ELNS1_11target_archE1200ELNS1_3gpuE4ELNS1_3repE0EEENS1_30default_config_static_selectorELNS0_4arch9wavefront6targetE1EEEvT1_
		.amdhsa_group_segment_fixed_size 0
		.amdhsa_private_segment_fixed_size 0
		.amdhsa_kernarg_size 96
		.amdhsa_user_sgpr_count 6
		.amdhsa_user_sgpr_private_segment_buffer 1
		.amdhsa_user_sgpr_dispatch_ptr 0
		.amdhsa_user_sgpr_queue_ptr 0
		.amdhsa_user_sgpr_kernarg_segment_ptr 1
		.amdhsa_user_sgpr_dispatch_id 0
		.amdhsa_user_sgpr_flat_scratch_init 0
		.amdhsa_user_sgpr_kernarg_preload_length 0
		.amdhsa_user_sgpr_kernarg_preload_offset 0
		.amdhsa_user_sgpr_private_segment_size 0
		.amdhsa_uses_dynamic_stack 0
		.amdhsa_system_sgpr_private_segment_wavefront_offset 0
		.amdhsa_system_sgpr_workgroup_id_x 1
		.amdhsa_system_sgpr_workgroup_id_y 0
		.amdhsa_system_sgpr_workgroup_id_z 0
		.amdhsa_system_sgpr_workgroup_info 0
		.amdhsa_system_vgpr_workitem_id 0
		.amdhsa_next_free_vgpr 1
		.amdhsa_next_free_sgpr 0
		.amdhsa_accum_offset 4
		.amdhsa_reserve_vcc 0
		.amdhsa_reserve_flat_scratch 0
		.amdhsa_float_round_mode_32 0
		.amdhsa_float_round_mode_16_64 0
		.amdhsa_float_denorm_mode_32 3
		.amdhsa_float_denorm_mode_16_64 3
		.amdhsa_dx10_clamp 1
		.amdhsa_ieee_mode 1
		.amdhsa_fp16_overflow 0
		.amdhsa_tg_split 0
		.amdhsa_exception_fp_ieee_invalid_op 0
		.amdhsa_exception_fp_denorm_src 0
		.amdhsa_exception_fp_ieee_div_zero 0
		.amdhsa_exception_fp_ieee_overflow 0
		.amdhsa_exception_fp_ieee_underflow 0
		.amdhsa_exception_fp_ieee_inexact 0
		.amdhsa_exception_int_div_zero 0
	.end_amdhsa_kernel
	.section	.text._ZN7rocprim17ROCPRIM_400000_NS6detail17trampoline_kernelINS0_14default_configENS1_20scan_config_selectorIsEEZZNS1_9scan_implILNS1_25lookback_scan_determinismE0ELb0ELb0ES3_N6thrust23THRUST_200600_302600_NS6detail15normal_iteratorINS9_10device_ptrIsEEEESE_sNS9_4plusIvEEsEEDaPvRmT3_T4_T5_mT6_P12ihipStream_tbENKUlT_T0_E_clISt17integral_constantIbLb0EEST_IbLb1EEEEDaSP_SQ_EUlSP_E_NS1_11comp_targetILNS1_3genE10ELNS1_11target_archE1200ELNS1_3gpuE4ELNS1_3repE0EEENS1_30default_config_static_selectorELNS0_4arch9wavefront6targetE1EEEvT1_,"axG",@progbits,_ZN7rocprim17ROCPRIM_400000_NS6detail17trampoline_kernelINS0_14default_configENS1_20scan_config_selectorIsEEZZNS1_9scan_implILNS1_25lookback_scan_determinismE0ELb0ELb0ES3_N6thrust23THRUST_200600_302600_NS6detail15normal_iteratorINS9_10device_ptrIsEEEESE_sNS9_4plusIvEEsEEDaPvRmT3_T4_T5_mT6_P12ihipStream_tbENKUlT_T0_E_clISt17integral_constantIbLb0EEST_IbLb1EEEEDaSP_SQ_EUlSP_E_NS1_11comp_targetILNS1_3genE10ELNS1_11target_archE1200ELNS1_3gpuE4ELNS1_3repE0EEENS1_30default_config_static_selectorELNS0_4arch9wavefront6targetE1EEEvT1_,comdat
.Lfunc_end949:
	.size	_ZN7rocprim17ROCPRIM_400000_NS6detail17trampoline_kernelINS0_14default_configENS1_20scan_config_selectorIsEEZZNS1_9scan_implILNS1_25lookback_scan_determinismE0ELb0ELb0ES3_N6thrust23THRUST_200600_302600_NS6detail15normal_iteratorINS9_10device_ptrIsEEEESE_sNS9_4plusIvEEsEEDaPvRmT3_T4_T5_mT6_P12ihipStream_tbENKUlT_T0_E_clISt17integral_constantIbLb0EEST_IbLb1EEEEDaSP_SQ_EUlSP_E_NS1_11comp_targetILNS1_3genE10ELNS1_11target_archE1200ELNS1_3gpuE4ELNS1_3repE0EEENS1_30default_config_static_selectorELNS0_4arch9wavefront6targetE1EEEvT1_, .Lfunc_end949-_ZN7rocprim17ROCPRIM_400000_NS6detail17trampoline_kernelINS0_14default_configENS1_20scan_config_selectorIsEEZZNS1_9scan_implILNS1_25lookback_scan_determinismE0ELb0ELb0ES3_N6thrust23THRUST_200600_302600_NS6detail15normal_iteratorINS9_10device_ptrIsEEEESE_sNS9_4plusIvEEsEEDaPvRmT3_T4_T5_mT6_P12ihipStream_tbENKUlT_T0_E_clISt17integral_constantIbLb0EEST_IbLb1EEEEDaSP_SQ_EUlSP_E_NS1_11comp_targetILNS1_3genE10ELNS1_11target_archE1200ELNS1_3gpuE4ELNS1_3repE0EEENS1_30default_config_static_selectorELNS0_4arch9wavefront6targetE1EEEvT1_
                                        ; -- End function
	.section	.AMDGPU.csdata,"",@progbits
; Kernel info:
; codeLenInByte = 0
; NumSgprs: 4
; NumVgprs: 0
; NumAgprs: 0
; TotalNumVgprs: 0
; ScratchSize: 0
; MemoryBound: 0
; FloatMode: 240
; IeeeMode: 1
; LDSByteSize: 0 bytes/workgroup (compile time only)
; SGPRBlocks: 0
; VGPRBlocks: 0
; NumSGPRsForWavesPerEU: 4
; NumVGPRsForWavesPerEU: 1
; AccumOffset: 4
; Occupancy: 8
; WaveLimiterHint : 0
; COMPUTE_PGM_RSRC2:SCRATCH_EN: 0
; COMPUTE_PGM_RSRC2:USER_SGPR: 6
; COMPUTE_PGM_RSRC2:TRAP_HANDLER: 0
; COMPUTE_PGM_RSRC2:TGID_X_EN: 1
; COMPUTE_PGM_RSRC2:TGID_Y_EN: 0
; COMPUTE_PGM_RSRC2:TGID_Z_EN: 0
; COMPUTE_PGM_RSRC2:TIDIG_COMP_CNT: 0
; COMPUTE_PGM_RSRC3_GFX90A:ACCUM_OFFSET: 0
; COMPUTE_PGM_RSRC3_GFX90A:TG_SPLIT: 0
	.section	.text._ZN7rocprim17ROCPRIM_400000_NS6detail17trampoline_kernelINS0_14default_configENS1_20scan_config_selectorIsEEZZNS1_9scan_implILNS1_25lookback_scan_determinismE0ELb0ELb0ES3_N6thrust23THRUST_200600_302600_NS6detail15normal_iteratorINS9_10device_ptrIsEEEESE_sNS9_4plusIvEEsEEDaPvRmT3_T4_T5_mT6_P12ihipStream_tbENKUlT_T0_E_clISt17integral_constantIbLb0EEST_IbLb1EEEEDaSP_SQ_EUlSP_E_NS1_11comp_targetILNS1_3genE9ELNS1_11target_archE1100ELNS1_3gpuE3ELNS1_3repE0EEENS1_30default_config_static_selectorELNS0_4arch9wavefront6targetE1EEEvT1_,"axG",@progbits,_ZN7rocprim17ROCPRIM_400000_NS6detail17trampoline_kernelINS0_14default_configENS1_20scan_config_selectorIsEEZZNS1_9scan_implILNS1_25lookback_scan_determinismE0ELb0ELb0ES3_N6thrust23THRUST_200600_302600_NS6detail15normal_iteratorINS9_10device_ptrIsEEEESE_sNS9_4plusIvEEsEEDaPvRmT3_T4_T5_mT6_P12ihipStream_tbENKUlT_T0_E_clISt17integral_constantIbLb0EEST_IbLb1EEEEDaSP_SQ_EUlSP_E_NS1_11comp_targetILNS1_3genE9ELNS1_11target_archE1100ELNS1_3gpuE3ELNS1_3repE0EEENS1_30default_config_static_selectorELNS0_4arch9wavefront6targetE1EEEvT1_,comdat
	.protected	_ZN7rocprim17ROCPRIM_400000_NS6detail17trampoline_kernelINS0_14default_configENS1_20scan_config_selectorIsEEZZNS1_9scan_implILNS1_25lookback_scan_determinismE0ELb0ELb0ES3_N6thrust23THRUST_200600_302600_NS6detail15normal_iteratorINS9_10device_ptrIsEEEESE_sNS9_4plusIvEEsEEDaPvRmT3_T4_T5_mT6_P12ihipStream_tbENKUlT_T0_E_clISt17integral_constantIbLb0EEST_IbLb1EEEEDaSP_SQ_EUlSP_E_NS1_11comp_targetILNS1_3genE9ELNS1_11target_archE1100ELNS1_3gpuE3ELNS1_3repE0EEENS1_30default_config_static_selectorELNS0_4arch9wavefront6targetE1EEEvT1_ ; -- Begin function _ZN7rocprim17ROCPRIM_400000_NS6detail17trampoline_kernelINS0_14default_configENS1_20scan_config_selectorIsEEZZNS1_9scan_implILNS1_25lookback_scan_determinismE0ELb0ELb0ES3_N6thrust23THRUST_200600_302600_NS6detail15normal_iteratorINS9_10device_ptrIsEEEESE_sNS9_4plusIvEEsEEDaPvRmT3_T4_T5_mT6_P12ihipStream_tbENKUlT_T0_E_clISt17integral_constantIbLb0EEST_IbLb1EEEEDaSP_SQ_EUlSP_E_NS1_11comp_targetILNS1_3genE9ELNS1_11target_archE1100ELNS1_3gpuE3ELNS1_3repE0EEENS1_30default_config_static_selectorELNS0_4arch9wavefront6targetE1EEEvT1_
	.globl	_ZN7rocprim17ROCPRIM_400000_NS6detail17trampoline_kernelINS0_14default_configENS1_20scan_config_selectorIsEEZZNS1_9scan_implILNS1_25lookback_scan_determinismE0ELb0ELb0ES3_N6thrust23THRUST_200600_302600_NS6detail15normal_iteratorINS9_10device_ptrIsEEEESE_sNS9_4plusIvEEsEEDaPvRmT3_T4_T5_mT6_P12ihipStream_tbENKUlT_T0_E_clISt17integral_constantIbLb0EEST_IbLb1EEEEDaSP_SQ_EUlSP_E_NS1_11comp_targetILNS1_3genE9ELNS1_11target_archE1100ELNS1_3gpuE3ELNS1_3repE0EEENS1_30default_config_static_selectorELNS0_4arch9wavefront6targetE1EEEvT1_
	.p2align	8
	.type	_ZN7rocprim17ROCPRIM_400000_NS6detail17trampoline_kernelINS0_14default_configENS1_20scan_config_selectorIsEEZZNS1_9scan_implILNS1_25lookback_scan_determinismE0ELb0ELb0ES3_N6thrust23THRUST_200600_302600_NS6detail15normal_iteratorINS9_10device_ptrIsEEEESE_sNS9_4plusIvEEsEEDaPvRmT3_T4_T5_mT6_P12ihipStream_tbENKUlT_T0_E_clISt17integral_constantIbLb0EEST_IbLb1EEEEDaSP_SQ_EUlSP_E_NS1_11comp_targetILNS1_3genE9ELNS1_11target_archE1100ELNS1_3gpuE3ELNS1_3repE0EEENS1_30default_config_static_selectorELNS0_4arch9wavefront6targetE1EEEvT1_,@function
_ZN7rocprim17ROCPRIM_400000_NS6detail17trampoline_kernelINS0_14default_configENS1_20scan_config_selectorIsEEZZNS1_9scan_implILNS1_25lookback_scan_determinismE0ELb0ELb0ES3_N6thrust23THRUST_200600_302600_NS6detail15normal_iteratorINS9_10device_ptrIsEEEESE_sNS9_4plusIvEEsEEDaPvRmT3_T4_T5_mT6_P12ihipStream_tbENKUlT_T0_E_clISt17integral_constantIbLb0EEST_IbLb1EEEEDaSP_SQ_EUlSP_E_NS1_11comp_targetILNS1_3genE9ELNS1_11target_archE1100ELNS1_3gpuE3ELNS1_3repE0EEENS1_30default_config_static_selectorELNS0_4arch9wavefront6targetE1EEEvT1_: ; @_ZN7rocprim17ROCPRIM_400000_NS6detail17trampoline_kernelINS0_14default_configENS1_20scan_config_selectorIsEEZZNS1_9scan_implILNS1_25lookback_scan_determinismE0ELb0ELb0ES3_N6thrust23THRUST_200600_302600_NS6detail15normal_iteratorINS9_10device_ptrIsEEEESE_sNS9_4plusIvEEsEEDaPvRmT3_T4_T5_mT6_P12ihipStream_tbENKUlT_T0_E_clISt17integral_constantIbLb0EEST_IbLb1EEEEDaSP_SQ_EUlSP_E_NS1_11comp_targetILNS1_3genE9ELNS1_11target_archE1100ELNS1_3gpuE3ELNS1_3repE0EEENS1_30default_config_static_selectorELNS0_4arch9wavefront6targetE1EEEvT1_
; %bb.0:
	.section	.rodata,"a",@progbits
	.p2align	6, 0x0
	.amdhsa_kernel _ZN7rocprim17ROCPRIM_400000_NS6detail17trampoline_kernelINS0_14default_configENS1_20scan_config_selectorIsEEZZNS1_9scan_implILNS1_25lookback_scan_determinismE0ELb0ELb0ES3_N6thrust23THRUST_200600_302600_NS6detail15normal_iteratorINS9_10device_ptrIsEEEESE_sNS9_4plusIvEEsEEDaPvRmT3_T4_T5_mT6_P12ihipStream_tbENKUlT_T0_E_clISt17integral_constantIbLb0EEST_IbLb1EEEEDaSP_SQ_EUlSP_E_NS1_11comp_targetILNS1_3genE9ELNS1_11target_archE1100ELNS1_3gpuE3ELNS1_3repE0EEENS1_30default_config_static_selectorELNS0_4arch9wavefront6targetE1EEEvT1_
		.amdhsa_group_segment_fixed_size 0
		.amdhsa_private_segment_fixed_size 0
		.amdhsa_kernarg_size 96
		.amdhsa_user_sgpr_count 6
		.amdhsa_user_sgpr_private_segment_buffer 1
		.amdhsa_user_sgpr_dispatch_ptr 0
		.amdhsa_user_sgpr_queue_ptr 0
		.amdhsa_user_sgpr_kernarg_segment_ptr 1
		.amdhsa_user_sgpr_dispatch_id 0
		.amdhsa_user_sgpr_flat_scratch_init 0
		.amdhsa_user_sgpr_kernarg_preload_length 0
		.amdhsa_user_sgpr_kernarg_preload_offset 0
		.amdhsa_user_sgpr_private_segment_size 0
		.amdhsa_uses_dynamic_stack 0
		.amdhsa_system_sgpr_private_segment_wavefront_offset 0
		.amdhsa_system_sgpr_workgroup_id_x 1
		.amdhsa_system_sgpr_workgroup_id_y 0
		.amdhsa_system_sgpr_workgroup_id_z 0
		.amdhsa_system_sgpr_workgroup_info 0
		.amdhsa_system_vgpr_workitem_id 0
		.amdhsa_next_free_vgpr 1
		.amdhsa_next_free_sgpr 0
		.amdhsa_accum_offset 4
		.amdhsa_reserve_vcc 0
		.amdhsa_reserve_flat_scratch 0
		.amdhsa_float_round_mode_32 0
		.amdhsa_float_round_mode_16_64 0
		.amdhsa_float_denorm_mode_32 3
		.amdhsa_float_denorm_mode_16_64 3
		.amdhsa_dx10_clamp 1
		.amdhsa_ieee_mode 1
		.amdhsa_fp16_overflow 0
		.amdhsa_tg_split 0
		.amdhsa_exception_fp_ieee_invalid_op 0
		.amdhsa_exception_fp_denorm_src 0
		.amdhsa_exception_fp_ieee_div_zero 0
		.amdhsa_exception_fp_ieee_overflow 0
		.amdhsa_exception_fp_ieee_underflow 0
		.amdhsa_exception_fp_ieee_inexact 0
		.amdhsa_exception_int_div_zero 0
	.end_amdhsa_kernel
	.section	.text._ZN7rocprim17ROCPRIM_400000_NS6detail17trampoline_kernelINS0_14default_configENS1_20scan_config_selectorIsEEZZNS1_9scan_implILNS1_25lookback_scan_determinismE0ELb0ELb0ES3_N6thrust23THRUST_200600_302600_NS6detail15normal_iteratorINS9_10device_ptrIsEEEESE_sNS9_4plusIvEEsEEDaPvRmT3_T4_T5_mT6_P12ihipStream_tbENKUlT_T0_E_clISt17integral_constantIbLb0EEST_IbLb1EEEEDaSP_SQ_EUlSP_E_NS1_11comp_targetILNS1_3genE9ELNS1_11target_archE1100ELNS1_3gpuE3ELNS1_3repE0EEENS1_30default_config_static_selectorELNS0_4arch9wavefront6targetE1EEEvT1_,"axG",@progbits,_ZN7rocprim17ROCPRIM_400000_NS6detail17trampoline_kernelINS0_14default_configENS1_20scan_config_selectorIsEEZZNS1_9scan_implILNS1_25lookback_scan_determinismE0ELb0ELb0ES3_N6thrust23THRUST_200600_302600_NS6detail15normal_iteratorINS9_10device_ptrIsEEEESE_sNS9_4plusIvEEsEEDaPvRmT3_T4_T5_mT6_P12ihipStream_tbENKUlT_T0_E_clISt17integral_constantIbLb0EEST_IbLb1EEEEDaSP_SQ_EUlSP_E_NS1_11comp_targetILNS1_3genE9ELNS1_11target_archE1100ELNS1_3gpuE3ELNS1_3repE0EEENS1_30default_config_static_selectorELNS0_4arch9wavefront6targetE1EEEvT1_,comdat
.Lfunc_end950:
	.size	_ZN7rocprim17ROCPRIM_400000_NS6detail17trampoline_kernelINS0_14default_configENS1_20scan_config_selectorIsEEZZNS1_9scan_implILNS1_25lookback_scan_determinismE0ELb0ELb0ES3_N6thrust23THRUST_200600_302600_NS6detail15normal_iteratorINS9_10device_ptrIsEEEESE_sNS9_4plusIvEEsEEDaPvRmT3_T4_T5_mT6_P12ihipStream_tbENKUlT_T0_E_clISt17integral_constantIbLb0EEST_IbLb1EEEEDaSP_SQ_EUlSP_E_NS1_11comp_targetILNS1_3genE9ELNS1_11target_archE1100ELNS1_3gpuE3ELNS1_3repE0EEENS1_30default_config_static_selectorELNS0_4arch9wavefront6targetE1EEEvT1_, .Lfunc_end950-_ZN7rocprim17ROCPRIM_400000_NS6detail17trampoline_kernelINS0_14default_configENS1_20scan_config_selectorIsEEZZNS1_9scan_implILNS1_25lookback_scan_determinismE0ELb0ELb0ES3_N6thrust23THRUST_200600_302600_NS6detail15normal_iteratorINS9_10device_ptrIsEEEESE_sNS9_4plusIvEEsEEDaPvRmT3_T4_T5_mT6_P12ihipStream_tbENKUlT_T0_E_clISt17integral_constantIbLb0EEST_IbLb1EEEEDaSP_SQ_EUlSP_E_NS1_11comp_targetILNS1_3genE9ELNS1_11target_archE1100ELNS1_3gpuE3ELNS1_3repE0EEENS1_30default_config_static_selectorELNS0_4arch9wavefront6targetE1EEEvT1_
                                        ; -- End function
	.section	.AMDGPU.csdata,"",@progbits
; Kernel info:
; codeLenInByte = 0
; NumSgprs: 4
; NumVgprs: 0
; NumAgprs: 0
; TotalNumVgprs: 0
; ScratchSize: 0
; MemoryBound: 0
; FloatMode: 240
; IeeeMode: 1
; LDSByteSize: 0 bytes/workgroup (compile time only)
; SGPRBlocks: 0
; VGPRBlocks: 0
; NumSGPRsForWavesPerEU: 4
; NumVGPRsForWavesPerEU: 1
; AccumOffset: 4
; Occupancy: 8
; WaveLimiterHint : 0
; COMPUTE_PGM_RSRC2:SCRATCH_EN: 0
; COMPUTE_PGM_RSRC2:USER_SGPR: 6
; COMPUTE_PGM_RSRC2:TRAP_HANDLER: 0
; COMPUTE_PGM_RSRC2:TGID_X_EN: 1
; COMPUTE_PGM_RSRC2:TGID_Y_EN: 0
; COMPUTE_PGM_RSRC2:TGID_Z_EN: 0
; COMPUTE_PGM_RSRC2:TIDIG_COMP_CNT: 0
; COMPUTE_PGM_RSRC3_GFX90A:ACCUM_OFFSET: 0
; COMPUTE_PGM_RSRC3_GFX90A:TG_SPLIT: 0
	.section	.text._ZN7rocprim17ROCPRIM_400000_NS6detail17trampoline_kernelINS0_14default_configENS1_20scan_config_selectorIsEEZZNS1_9scan_implILNS1_25lookback_scan_determinismE0ELb0ELb0ES3_N6thrust23THRUST_200600_302600_NS6detail15normal_iteratorINS9_10device_ptrIsEEEESE_sNS9_4plusIvEEsEEDaPvRmT3_T4_T5_mT6_P12ihipStream_tbENKUlT_T0_E_clISt17integral_constantIbLb0EEST_IbLb1EEEEDaSP_SQ_EUlSP_E_NS1_11comp_targetILNS1_3genE8ELNS1_11target_archE1030ELNS1_3gpuE2ELNS1_3repE0EEENS1_30default_config_static_selectorELNS0_4arch9wavefront6targetE1EEEvT1_,"axG",@progbits,_ZN7rocprim17ROCPRIM_400000_NS6detail17trampoline_kernelINS0_14default_configENS1_20scan_config_selectorIsEEZZNS1_9scan_implILNS1_25lookback_scan_determinismE0ELb0ELb0ES3_N6thrust23THRUST_200600_302600_NS6detail15normal_iteratorINS9_10device_ptrIsEEEESE_sNS9_4plusIvEEsEEDaPvRmT3_T4_T5_mT6_P12ihipStream_tbENKUlT_T0_E_clISt17integral_constantIbLb0EEST_IbLb1EEEEDaSP_SQ_EUlSP_E_NS1_11comp_targetILNS1_3genE8ELNS1_11target_archE1030ELNS1_3gpuE2ELNS1_3repE0EEENS1_30default_config_static_selectorELNS0_4arch9wavefront6targetE1EEEvT1_,comdat
	.protected	_ZN7rocprim17ROCPRIM_400000_NS6detail17trampoline_kernelINS0_14default_configENS1_20scan_config_selectorIsEEZZNS1_9scan_implILNS1_25lookback_scan_determinismE0ELb0ELb0ES3_N6thrust23THRUST_200600_302600_NS6detail15normal_iteratorINS9_10device_ptrIsEEEESE_sNS9_4plusIvEEsEEDaPvRmT3_T4_T5_mT6_P12ihipStream_tbENKUlT_T0_E_clISt17integral_constantIbLb0EEST_IbLb1EEEEDaSP_SQ_EUlSP_E_NS1_11comp_targetILNS1_3genE8ELNS1_11target_archE1030ELNS1_3gpuE2ELNS1_3repE0EEENS1_30default_config_static_selectorELNS0_4arch9wavefront6targetE1EEEvT1_ ; -- Begin function _ZN7rocprim17ROCPRIM_400000_NS6detail17trampoline_kernelINS0_14default_configENS1_20scan_config_selectorIsEEZZNS1_9scan_implILNS1_25lookback_scan_determinismE0ELb0ELb0ES3_N6thrust23THRUST_200600_302600_NS6detail15normal_iteratorINS9_10device_ptrIsEEEESE_sNS9_4plusIvEEsEEDaPvRmT3_T4_T5_mT6_P12ihipStream_tbENKUlT_T0_E_clISt17integral_constantIbLb0EEST_IbLb1EEEEDaSP_SQ_EUlSP_E_NS1_11comp_targetILNS1_3genE8ELNS1_11target_archE1030ELNS1_3gpuE2ELNS1_3repE0EEENS1_30default_config_static_selectorELNS0_4arch9wavefront6targetE1EEEvT1_
	.globl	_ZN7rocprim17ROCPRIM_400000_NS6detail17trampoline_kernelINS0_14default_configENS1_20scan_config_selectorIsEEZZNS1_9scan_implILNS1_25lookback_scan_determinismE0ELb0ELb0ES3_N6thrust23THRUST_200600_302600_NS6detail15normal_iteratorINS9_10device_ptrIsEEEESE_sNS9_4plusIvEEsEEDaPvRmT3_T4_T5_mT6_P12ihipStream_tbENKUlT_T0_E_clISt17integral_constantIbLb0EEST_IbLb1EEEEDaSP_SQ_EUlSP_E_NS1_11comp_targetILNS1_3genE8ELNS1_11target_archE1030ELNS1_3gpuE2ELNS1_3repE0EEENS1_30default_config_static_selectorELNS0_4arch9wavefront6targetE1EEEvT1_
	.p2align	8
	.type	_ZN7rocprim17ROCPRIM_400000_NS6detail17trampoline_kernelINS0_14default_configENS1_20scan_config_selectorIsEEZZNS1_9scan_implILNS1_25lookback_scan_determinismE0ELb0ELb0ES3_N6thrust23THRUST_200600_302600_NS6detail15normal_iteratorINS9_10device_ptrIsEEEESE_sNS9_4plusIvEEsEEDaPvRmT3_T4_T5_mT6_P12ihipStream_tbENKUlT_T0_E_clISt17integral_constantIbLb0EEST_IbLb1EEEEDaSP_SQ_EUlSP_E_NS1_11comp_targetILNS1_3genE8ELNS1_11target_archE1030ELNS1_3gpuE2ELNS1_3repE0EEENS1_30default_config_static_selectorELNS0_4arch9wavefront6targetE1EEEvT1_,@function
_ZN7rocprim17ROCPRIM_400000_NS6detail17trampoline_kernelINS0_14default_configENS1_20scan_config_selectorIsEEZZNS1_9scan_implILNS1_25lookback_scan_determinismE0ELb0ELb0ES3_N6thrust23THRUST_200600_302600_NS6detail15normal_iteratorINS9_10device_ptrIsEEEESE_sNS9_4plusIvEEsEEDaPvRmT3_T4_T5_mT6_P12ihipStream_tbENKUlT_T0_E_clISt17integral_constantIbLb0EEST_IbLb1EEEEDaSP_SQ_EUlSP_E_NS1_11comp_targetILNS1_3genE8ELNS1_11target_archE1030ELNS1_3gpuE2ELNS1_3repE0EEENS1_30default_config_static_selectorELNS0_4arch9wavefront6targetE1EEEvT1_: ; @_ZN7rocprim17ROCPRIM_400000_NS6detail17trampoline_kernelINS0_14default_configENS1_20scan_config_selectorIsEEZZNS1_9scan_implILNS1_25lookback_scan_determinismE0ELb0ELb0ES3_N6thrust23THRUST_200600_302600_NS6detail15normal_iteratorINS9_10device_ptrIsEEEESE_sNS9_4plusIvEEsEEDaPvRmT3_T4_T5_mT6_P12ihipStream_tbENKUlT_T0_E_clISt17integral_constantIbLb0EEST_IbLb1EEEEDaSP_SQ_EUlSP_E_NS1_11comp_targetILNS1_3genE8ELNS1_11target_archE1030ELNS1_3gpuE2ELNS1_3repE0EEENS1_30default_config_static_selectorELNS0_4arch9wavefront6targetE1EEEvT1_
; %bb.0:
	.section	.rodata,"a",@progbits
	.p2align	6, 0x0
	.amdhsa_kernel _ZN7rocprim17ROCPRIM_400000_NS6detail17trampoline_kernelINS0_14default_configENS1_20scan_config_selectorIsEEZZNS1_9scan_implILNS1_25lookback_scan_determinismE0ELb0ELb0ES3_N6thrust23THRUST_200600_302600_NS6detail15normal_iteratorINS9_10device_ptrIsEEEESE_sNS9_4plusIvEEsEEDaPvRmT3_T4_T5_mT6_P12ihipStream_tbENKUlT_T0_E_clISt17integral_constantIbLb0EEST_IbLb1EEEEDaSP_SQ_EUlSP_E_NS1_11comp_targetILNS1_3genE8ELNS1_11target_archE1030ELNS1_3gpuE2ELNS1_3repE0EEENS1_30default_config_static_selectorELNS0_4arch9wavefront6targetE1EEEvT1_
		.amdhsa_group_segment_fixed_size 0
		.amdhsa_private_segment_fixed_size 0
		.amdhsa_kernarg_size 96
		.amdhsa_user_sgpr_count 6
		.amdhsa_user_sgpr_private_segment_buffer 1
		.amdhsa_user_sgpr_dispatch_ptr 0
		.amdhsa_user_sgpr_queue_ptr 0
		.amdhsa_user_sgpr_kernarg_segment_ptr 1
		.amdhsa_user_sgpr_dispatch_id 0
		.amdhsa_user_sgpr_flat_scratch_init 0
		.amdhsa_user_sgpr_kernarg_preload_length 0
		.amdhsa_user_sgpr_kernarg_preload_offset 0
		.amdhsa_user_sgpr_private_segment_size 0
		.amdhsa_uses_dynamic_stack 0
		.amdhsa_system_sgpr_private_segment_wavefront_offset 0
		.amdhsa_system_sgpr_workgroup_id_x 1
		.amdhsa_system_sgpr_workgroup_id_y 0
		.amdhsa_system_sgpr_workgroup_id_z 0
		.amdhsa_system_sgpr_workgroup_info 0
		.amdhsa_system_vgpr_workitem_id 0
		.amdhsa_next_free_vgpr 1
		.amdhsa_next_free_sgpr 0
		.amdhsa_accum_offset 4
		.amdhsa_reserve_vcc 0
		.amdhsa_reserve_flat_scratch 0
		.amdhsa_float_round_mode_32 0
		.amdhsa_float_round_mode_16_64 0
		.amdhsa_float_denorm_mode_32 3
		.amdhsa_float_denorm_mode_16_64 3
		.amdhsa_dx10_clamp 1
		.amdhsa_ieee_mode 1
		.amdhsa_fp16_overflow 0
		.amdhsa_tg_split 0
		.amdhsa_exception_fp_ieee_invalid_op 0
		.amdhsa_exception_fp_denorm_src 0
		.amdhsa_exception_fp_ieee_div_zero 0
		.amdhsa_exception_fp_ieee_overflow 0
		.amdhsa_exception_fp_ieee_underflow 0
		.amdhsa_exception_fp_ieee_inexact 0
		.amdhsa_exception_int_div_zero 0
	.end_amdhsa_kernel
	.section	.text._ZN7rocprim17ROCPRIM_400000_NS6detail17trampoline_kernelINS0_14default_configENS1_20scan_config_selectorIsEEZZNS1_9scan_implILNS1_25lookback_scan_determinismE0ELb0ELb0ES3_N6thrust23THRUST_200600_302600_NS6detail15normal_iteratorINS9_10device_ptrIsEEEESE_sNS9_4plusIvEEsEEDaPvRmT3_T4_T5_mT6_P12ihipStream_tbENKUlT_T0_E_clISt17integral_constantIbLb0EEST_IbLb1EEEEDaSP_SQ_EUlSP_E_NS1_11comp_targetILNS1_3genE8ELNS1_11target_archE1030ELNS1_3gpuE2ELNS1_3repE0EEENS1_30default_config_static_selectorELNS0_4arch9wavefront6targetE1EEEvT1_,"axG",@progbits,_ZN7rocprim17ROCPRIM_400000_NS6detail17trampoline_kernelINS0_14default_configENS1_20scan_config_selectorIsEEZZNS1_9scan_implILNS1_25lookback_scan_determinismE0ELb0ELb0ES3_N6thrust23THRUST_200600_302600_NS6detail15normal_iteratorINS9_10device_ptrIsEEEESE_sNS9_4plusIvEEsEEDaPvRmT3_T4_T5_mT6_P12ihipStream_tbENKUlT_T0_E_clISt17integral_constantIbLb0EEST_IbLb1EEEEDaSP_SQ_EUlSP_E_NS1_11comp_targetILNS1_3genE8ELNS1_11target_archE1030ELNS1_3gpuE2ELNS1_3repE0EEENS1_30default_config_static_selectorELNS0_4arch9wavefront6targetE1EEEvT1_,comdat
.Lfunc_end951:
	.size	_ZN7rocprim17ROCPRIM_400000_NS6detail17trampoline_kernelINS0_14default_configENS1_20scan_config_selectorIsEEZZNS1_9scan_implILNS1_25lookback_scan_determinismE0ELb0ELb0ES3_N6thrust23THRUST_200600_302600_NS6detail15normal_iteratorINS9_10device_ptrIsEEEESE_sNS9_4plusIvEEsEEDaPvRmT3_T4_T5_mT6_P12ihipStream_tbENKUlT_T0_E_clISt17integral_constantIbLb0EEST_IbLb1EEEEDaSP_SQ_EUlSP_E_NS1_11comp_targetILNS1_3genE8ELNS1_11target_archE1030ELNS1_3gpuE2ELNS1_3repE0EEENS1_30default_config_static_selectorELNS0_4arch9wavefront6targetE1EEEvT1_, .Lfunc_end951-_ZN7rocprim17ROCPRIM_400000_NS6detail17trampoline_kernelINS0_14default_configENS1_20scan_config_selectorIsEEZZNS1_9scan_implILNS1_25lookback_scan_determinismE0ELb0ELb0ES3_N6thrust23THRUST_200600_302600_NS6detail15normal_iteratorINS9_10device_ptrIsEEEESE_sNS9_4plusIvEEsEEDaPvRmT3_T4_T5_mT6_P12ihipStream_tbENKUlT_T0_E_clISt17integral_constantIbLb0EEST_IbLb1EEEEDaSP_SQ_EUlSP_E_NS1_11comp_targetILNS1_3genE8ELNS1_11target_archE1030ELNS1_3gpuE2ELNS1_3repE0EEENS1_30default_config_static_selectorELNS0_4arch9wavefront6targetE1EEEvT1_
                                        ; -- End function
	.section	.AMDGPU.csdata,"",@progbits
; Kernel info:
; codeLenInByte = 0
; NumSgprs: 4
; NumVgprs: 0
; NumAgprs: 0
; TotalNumVgprs: 0
; ScratchSize: 0
; MemoryBound: 0
; FloatMode: 240
; IeeeMode: 1
; LDSByteSize: 0 bytes/workgroup (compile time only)
; SGPRBlocks: 0
; VGPRBlocks: 0
; NumSGPRsForWavesPerEU: 4
; NumVGPRsForWavesPerEU: 1
; AccumOffset: 4
; Occupancy: 8
; WaveLimiterHint : 0
; COMPUTE_PGM_RSRC2:SCRATCH_EN: 0
; COMPUTE_PGM_RSRC2:USER_SGPR: 6
; COMPUTE_PGM_RSRC2:TRAP_HANDLER: 0
; COMPUTE_PGM_RSRC2:TGID_X_EN: 1
; COMPUTE_PGM_RSRC2:TGID_Y_EN: 0
; COMPUTE_PGM_RSRC2:TGID_Z_EN: 0
; COMPUTE_PGM_RSRC2:TIDIG_COMP_CNT: 0
; COMPUTE_PGM_RSRC3_GFX90A:ACCUM_OFFSET: 0
; COMPUTE_PGM_RSRC3_GFX90A:TG_SPLIT: 0
	.section	.text._ZN7rocprim17ROCPRIM_400000_NS6detail17trampoline_kernelINS0_14default_configENS1_20scan_config_selectorIsEEZZNS1_9scan_implILNS1_25lookback_scan_determinismE0ELb0ELb0ES3_N6thrust23THRUST_200600_302600_NS6detail15normal_iteratorINS9_10device_ptrIsEEEESE_sNS9_4plusIvEEsEEDaPvRmT3_T4_T5_mT6_P12ihipStream_tbENKUlT_T0_E_clISt17integral_constantIbLb0EEST_IbLb1EEEEDaSP_SQ_EUlSP_E0_NS1_11comp_targetILNS1_3genE0ELNS1_11target_archE4294967295ELNS1_3gpuE0ELNS1_3repE0EEENS1_30default_config_static_selectorELNS0_4arch9wavefront6targetE1EEEvT1_,"axG",@progbits,_ZN7rocprim17ROCPRIM_400000_NS6detail17trampoline_kernelINS0_14default_configENS1_20scan_config_selectorIsEEZZNS1_9scan_implILNS1_25lookback_scan_determinismE0ELb0ELb0ES3_N6thrust23THRUST_200600_302600_NS6detail15normal_iteratorINS9_10device_ptrIsEEEESE_sNS9_4plusIvEEsEEDaPvRmT3_T4_T5_mT6_P12ihipStream_tbENKUlT_T0_E_clISt17integral_constantIbLb0EEST_IbLb1EEEEDaSP_SQ_EUlSP_E0_NS1_11comp_targetILNS1_3genE0ELNS1_11target_archE4294967295ELNS1_3gpuE0ELNS1_3repE0EEENS1_30default_config_static_selectorELNS0_4arch9wavefront6targetE1EEEvT1_,comdat
	.protected	_ZN7rocprim17ROCPRIM_400000_NS6detail17trampoline_kernelINS0_14default_configENS1_20scan_config_selectorIsEEZZNS1_9scan_implILNS1_25lookback_scan_determinismE0ELb0ELb0ES3_N6thrust23THRUST_200600_302600_NS6detail15normal_iteratorINS9_10device_ptrIsEEEESE_sNS9_4plusIvEEsEEDaPvRmT3_T4_T5_mT6_P12ihipStream_tbENKUlT_T0_E_clISt17integral_constantIbLb0EEST_IbLb1EEEEDaSP_SQ_EUlSP_E0_NS1_11comp_targetILNS1_3genE0ELNS1_11target_archE4294967295ELNS1_3gpuE0ELNS1_3repE0EEENS1_30default_config_static_selectorELNS0_4arch9wavefront6targetE1EEEvT1_ ; -- Begin function _ZN7rocprim17ROCPRIM_400000_NS6detail17trampoline_kernelINS0_14default_configENS1_20scan_config_selectorIsEEZZNS1_9scan_implILNS1_25lookback_scan_determinismE0ELb0ELb0ES3_N6thrust23THRUST_200600_302600_NS6detail15normal_iteratorINS9_10device_ptrIsEEEESE_sNS9_4plusIvEEsEEDaPvRmT3_T4_T5_mT6_P12ihipStream_tbENKUlT_T0_E_clISt17integral_constantIbLb0EEST_IbLb1EEEEDaSP_SQ_EUlSP_E0_NS1_11comp_targetILNS1_3genE0ELNS1_11target_archE4294967295ELNS1_3gpuE0ELNS1_3repE0EEENS1_30default_config_static_selectorELNS0_4arch9wavefront6targetE1EEEvT1_
	.globl	_ZN7rocprim17ROCPRIM_400000_NS6detail17trampoline_kernelINS0_14default_configENS1_20scan_config_selectorIsEEZZNS1_9scan_implILNS1_25lookback_scan_determinismE0ELb0ELb0ES3_N6thrust23THRUST_200600_302600_NS6detail15normal_iteratorINS9_10device_ptrIsEEEESE_sNS9_4plusIvEEsEEDaPvRmT3_T4_T5_mT6_P12ihipStream_tbENKUlT_T0_E_clISt17integral_constantIbLb0EEST_IbLb1EEEEDaSP_SQ_EUlSP_E0_NS1_11comp_targetILNS1_3genE0ELNS1_11target_archE4294967295ELNS1_3gpuE0ELNS1_3repE0EEENS1_30default_config_static_selectorELNS0_4arch9wavefront6targetE1EEEvT1_
	.p2align	8
	.type	_ZN7rocprim17ROCPRIM_400000_NS6detail17trampoline_kernelINS0_14default_configENS1_20scan_config_selectorIsEEZZNS1_9scan_implILNS1_25lookback_scan_determinismE0ELb0ELb0ES3_N6thrust23THRUST_200600_302600_NS6detail15normal_iteratorINS9_10device_ptrIsEEEESE_sNS9_4plusIvEEsEEDaPvRmT3_T4_T5_mT6_P12ihipStream_tbENKUlT_T0_E_clISt17integral_constantIbLb0EEST_IbLb1EEEEDaSP_SQ_EUlSP_E0_NS1_11comp_targetILNS1_3genE0ELNS1_11target_archE4294967295ELNS1_3gpuE0ELNS1_3repE0EEENS1_30default_config_static_selectorELNS0_4arch9wavefront6targetE1EEEvT1_,@function
_ZN7rocprim17ROCPRIM_400000_NS6detail17trampoline_kernelINS0_14default_configENS1_20scan_config_selectorIsEEZZNS1_9scan_implILNS1_25lookback_scan_determinismE0ELb0ELb0ES3_N6thrust23THRUST_200600_302600_NS6detail15normal_iteratorINS9_10device_ptrIsEEEESE_sNS9_4plusIvEEsEEDaPvRmT3_T4_T5_mT6_P12ihipStream_tbENKUlT_T0_E_clISt17integral_constantIbLb0EEST_IbLb1EEEEDaSP_SQ_EUlSP_E0_NS1_11comp_targetILNS1_3genE0ELNS1_11target_archE4294967295ELNS1_3gpuE0ELNS1_3repE0EEENS1_30default_config_static_selectorELNS0_4arch9wavefront6targetE1EEEvT1_: ; @_ZN7rocprim17ROCPRIM_400000_NS6detail17trampoline_kernelINS0_14default_configENS1_20scan_config_selectorIsEEZZNS1_9scan_implILNS1_25lookback_scan_determinismE0ELb0ELb0ES3_N6thrust23THRUST_200600_302600_NS6detail15normal_iteratorINS9_10device_ptrIsEEEESE_sNS9_4plusIvEEsEEDaPvRmT3_T4_T5_mT6_P12ihipStream_tbENKUlT_T0_E_clISt17integral_constantIbLb0EEST_IbLb1EEEEDaSP_SQ_EUlSP_E0_NS1_11comp_targetILNS1_3genE0ELNS1_11target_archE4294967295ELNS1_3gpuE0ELNS1_3repE0EEENS1_30default_config_static_selectorELNS0_4arch9wavefront6targetE1EEEvT1_
; %bb.0:
	.section	.rodata,"a",@progbits
	.p2align	6, 0x0
	.amdhsa_kernel _ZN7rocprim17ROCPRIM_400000_NS6detail17trampoline_kernelINS0_14default_configENS1_20scan_config_selectorIsEEZZNS1_9scan_implILNS1_25lookback_scan_determinismE0ELb0ELb0ES3_N6thrust23THRUST_200600_302600_NS6detail15normal_iteratorINS9_10device_ptrIsEEEESE_sNS9_4plusIvEEsEEDaPvRmT3_T4_T5_mT6_P12ihipStream_tbENKUlT_T0_E_clISt17integral_constantIbLb0EEST_IbLb1EEEEDaSP_SQ_EUlSP_E0_NS1_11comp_targetILNS1_3genE0ELNS1_11target_archE4294967295ELNS1_3gpuE0ELNS1_3repE0EEENS1_30default_config_static_selectorELNS0_4arch9wavefront6targetE1EEEvT1_
		.amdhsa_group_segment_fixed_size 0
		.amdhsa_private_segment_fixed_size 0
		.amdhsa_kernarg_size 32
		.amdhsa_user_sgpr_count 6
		.amdhsa_user_sgpr_private_segment_buffer 1
		.amdhsa_user_sgpr_dispatch_ptr 0
		.amdhsa_user_sgpr_queue_ptr 0
		.amdhsa_user_sgpr_kernarg_segment_ptr 1
		.amdhsa_user_sgpr_dispatch_id 0
		.amdhsa_user_sgpr_flat_scratch_init 0
		.amdhsa_user_sgpr_kernarg_preload_length 0
		.amdhsa_user_sgpr_kernarg_preload_offset 0
		.amdhsa_user_sgpr_private_segment_size 0
		.amdhsa_uses_dynamic_stack 0
		.amdhsa_system_sgpr_private_segment_wavefront_offset 0
		.amdhsa_system_sgpr_workgroup_id_x 1
		.amdhsa_system_sgpr_workgroup_id_y 0
		.amdhsa_system_sgpr_workgroup_id_z 0
		.amdhsa_system_sgpr_workgroup_info 0
		.amdhsa_system_vgpr_workitem_id 0
		.amdhsa_next_free_vgpr 1
		.amdhsa_next_free_sgpr 0
		.amdhsa_accum_offset 4
		.amdhsa_reserve_vcc 0
		.amdhsa_reserve_flat_scratch 0
		.amdhsa_float_round_mode_32 0
		.amdhsa_float_round_mode_16_64 0
		.amdhsa_float_denorm_mode_32 3
		.amdhsa_float_denorm_mode_16_64 3
		.amdhsa_dx10_clamp 1
		.amdhsa_ieee_mode 1
		.amdhsa_fp16_overflow 0
		.amdhsa_tg_split 0
		.amdhsa_exception_fp_ieee_invalid_op 0
		.amdhsa_exception_fp_denorm_src 0
		.amdhsa_exception_fp_ieee_div_zero 0
		.amdhsa_exception_fp_ieee_overflow 0
		.amdhsa_exception_fp_ieee_underflow 0
		.amdhsa_exception_fp_ieee_inexact 0
		.amdhsa_exception_int_div_zero 0
	.end_amdhsa_kernel
	.section	.text._ZN7rocprim17ROCPRIM_400000_NS6detail17trampoline_kernelINS0_14default_configENS1_20scan_config_selectorIsEEZZNS1_9scan_implILNS1_25lookback_scan_determinismE0ELb0ELb0ES3_N6thrust23THRUST_200600_302600_NS6detail15normal_iteratorINS9_10device_ptrIsEEEESE_sNS9_4plusIvEEsEEDaPvRmT3_T4_T5_mT6_P12ihipStream_tbENKUlT_T0_E_clISt17integral_constantIbLb0EEST_IbLb1EEEEDaSP_SQ_EUlSP_E0_NS1_11comp_targetILNS1_3genE0ELNS1_11target_archE4294967295ELNS1_3gpuE0ELNS1_3repE0EEENS1_30default_config_static_selectorELNS0_4arch9wavefront6targetE1EEEvT1_,"axG",@progbits,_ZN7rocprim17ROCPRIM_400000_NS6detail17trampoline_kernelINS0_14default_configENS1_20scan_config_selectorIsEEZZNS1_9scan_implILNS1_25lookback_scan_determinismE0ELb0ELb0ES3_N6thrust23THRUST_200600_302600_NS6detail15normal_iteratorINS9_10device_ptrIsEEEESE_sNS9_4plusIvEEsEEDaPvRmT3_T4_T5_mT6_P12ihipStream_tbENKUlT_T0_E_clISt17integral_constantIbLb0EEST_IbLb1EEEEDaSP_SQ_EUlSP_E0_NS1_11comp_targetILNS1_3genE0ELNS1_11target_archE4294967295ELNS1_3gpuE0ELNS1_3repE0EEENS1_30default_config_static_selectorELNS0_4arch9wavefront6targetE1EEEvT1_,comdat
.Lfunc_end952:
	.size	_ZN7rocprim17ROCPRIM_400000_NS6detail17trampoline_kernelINS0_14default_configENS1_20scan_config_selectorIsEEZZNS1_9scan_implILNS1_25lookback_scan_determinismE0ELb0ELb0ES3_N6thrust23THRUST_200600_302600_NS6detail15normal_iteratorINS9_10device_ptrIsEEEESE_sNS9_4plusIvEEsEEDaPvRmT3_T4_T5_mT6_P12ihipStream_tbENKUlT_T0_E_clISt17integral_constantIbLb0EEST_IbLb1EEEEDaSP_SQ_EUlSP_E0_NS1_11comp_targetILNS1_3genE0ELNS1_11target_archE4294967295ELNS1_3gpuE0ELNS1_3repE0EEENS1_30default_config_static_selectorELNS0_4arch9wavefront6targetE1EEEvT1_, .Lfunc_end952-_ZN7rocprim17ROCPRIM_400000_NS6detail17trampoline_kernelINS0_14default_configENS1_20scan_config_selectorIsEEZZNS1_9scan_implILNS1_25lookback_scan_determinismE0ELb0ELb0ES3_N6thrust23THRUST_200600_302600_NS6detail15normal_iteratorINS9_10device_ptrIsEEEESE_sNS9_4plusIvEEsEEDaPvRmT3_T4_T5_mT6_P12ihipStream_tbENKUlT_T0_E_clISt17integral_constantIbLb0EEST_IbLb1EEEEDaSP_SQ_EUlSP_E0_NS1_11comp_targetILNS1_3genE0ELNS1_11target_archE4294967295ELNS1_3gpuE0ELNS1_3repE0EEENS1_30default_config_static_selectorELNS0_4arch9wavefront6targetE1EEEvT1_
                                        ; -- End function
	.section	.AMDGPU.csdata,"",@progbits
; Kernel info:
; codeLenInByte = 0
; NumSgprs: 4
; NumVgprs: 0
; NumAgprs: 0
; TotalNumVgprs: 0
; ScratchSize: 0
; MemoryBound: 0
; FloatMode: 240
; IeeeMode: 1
; LDSByteSize: 0 bytes/workgroup (compile time only)
; SGPRBlocks: 0
; VGPRBlocks: 0
; NumSGPRsForWavesPerEU: 4
; NumVGPRsForWavesPerEU: 1
; AccumOffset: 4
; Occupancy: 8
; WaveLimiterHint : 0
; COMPUTE_PGM_RSRC2:SCRATCH_EN: 0
; COMPUTE_PGM_RSRC2:USER_SGPR: 6
; COMPUTE_PGM_RSRC2:TRAP_HANDLER: 0
; COMPUTE_PGM_RSRC2:TGID_X_EN: 1
; COMPUTE_PGM_RSRC2:TGID_Y_EN: 0
; COMPUTE_PGM_RSRC2:TGID_Z_EN: 0
; COMPUTE_PGM_RSRC2:TIDIG_COMP_CNT: 0
; COMPUTE_PGM_RSRC3_GFX90A:ACCUM_OFFSET: 0
; COMPUTE_PGM_RSRC3_GFX90A:TG_SPLIT: 0
	.section	.text._ZN7rocprim17ROCPRIM_400000_NS6detail17trampoline_kernelINS0_14default_configENS1_20scan_config_selectorIsEEZZNS1_9scan_implILNS1_25lookback_scan_determinismE0ELb0ELb0ES3_N6thrust23THRUST_200600_302600_NS6detail15normal_iteratorINS9_10device_ptrIsEEEESE_sNS9_4plusIvEEsEEDaPvRmT3_T4_T5_mT6_P12ihipStream_tbENKUlT_T0_E_clISt17integral_constantIbLb0EEST_IbLb1EEEEDaSP_SQ_EUlSP_E0_NS1_11comp_targetILNS1_3genE5ELNS1_11target_archE942ELNS1_3gpuE9ELNS1_3repE0EEENS1_30default_config_static_selectorELNS0_4arch9wavefront6targetE1EEEvT1_,"axG",@progbits,_ZN7rocprim17ROCPRIM_400000_NS6detail17trampoline_kernelINS0_14default_configENS1_20scan_config_selectorIsEEZZNS1_9scan_implILNS1_25lookback_scan_determinismE0ELb0ELb0ES3_N6thrust23THRUST_200600_302600_NS6detail15normal_iteratorINS9_10device_ptrIsEEEESE_sNS9_4plusIvEEsEEDaPvRmT3_T4_T5_mT6_P12ihipStream_tbENKUlT_T0_E_clISt17integral_constantIbLb0EEST_IbLb1EEEEDaSP_SQ_EUlSP_E0_NS1_11comp_targetILNS1_3genE5ELNS1_11target_archE942ELNS1_3gpuE9ELNS1_3repE0EEENS1_30default_config_static_selectorELNS0_4arch9wavefront6targetE1EEEvT1_,comdat
	.protected	_ZN7rocprim17ROCPRIM_400000_NS6detail17trampoline_kernelINS0_14default_configENS1_20scan_config_selectorIsEEZZNS1_9scan_implILNS1_25lookback_scan_determinismE0ELb0ELb0ES3_N6thrust23THRUST_200600_302600_NS6detail15normal_iteratorINS9_10device_ptrIsEEEESE_sNS9_4plusIvEEsEEDaPvRmT3_T4_T5_mT6_P12ihipStream_tbENKUlT_T0_E_clISt17integral_constantIbLb0EEST_IbLb1EEEEDaSP_SQ_EUlSP_E0_NS1_11comp_targetILNS1_3genE5ELNS1_11target_archE942ELNS1_3gpuE9ELNS1_3repE0EEENS1_30default_config_static_selectorELNS0_4arch9wavefront6targetE1EEEvT1_ ; -- Begin function _ZN7rocprim17ROCPRIM_400000_NS6detail17trampoline_kernelINS0_14default_configENS1_20scan_config_selectorIsEEZZNS1_9scan_implILNS1_25lookback_scan_determinismE0ELb0ELb0ES3_N6thrust23THRUST_200600_302600_NS6detail15normal_iteratorINS9_10device_ptrIsEEEESE_sNS9_4plusIvEEsEEDaPvRmT3_T4_T5_mT6_P12ihipStream_tbENKUlT_T0_E_clISt17integral_constantIbLb0EEST_IbLb1EEEEDaSP_SQ_EUlSP_E0_NS1_11comp_targetILNS1_3genE5ELNS1_11target_archE942ELNS1_3gpuE9ELNS1_3repE0EEENS1_30default_config_static_selectorELNS0_4arch9wavefront6targetE1EEEvT1_
	.globl	_ZN7rocprim17ROCPRIM_400000_NS6detail17trampoline_kernelINS0_14default_configENS1_20scan_config_selectorIsEEZZNS1_9scan_implILNS1_25lookback_scan_determinismE0ELb0ELb0ES3_N6thrust23THRUST_200600_302600_NS6detail15normal_iteratorINS9_10device_ptrIsEEEESE_sNS9_4plusIvEEsEEDaPvRmT3_T4_T5_mT6_P12ihipStream_tbENKUlT_T0_E_clISt17integral_constantIbLb0EEST_IbLb1EEEEDaSP_SQ_EUlSP_E0_NS1_11comp_targetILNS1_3genE5ELNS1_11target_archE942ELNS1_3gpuE9ELNS1_3repE0EEENS1_30default_config_static_selectorELNS0_4arch9wavefront6targetE1EEEvT1_
	.p2align	8
	.type	_ZN7rocprim17ROCPRIM_400000_NS6detail17trampoline_kernelINS0_14default_configENS1_20scan_config_selectorIsEEZZNS1_9scan_implILNS1_25lookback_scan_determinismE0ELb0ELb0ES3_N6thrust23THRUST_200600_302600_NS6detail15normal_iteratorINS9_10device_ptrIsEEEESE_sNS9_4plusIvEEsEEDaPvRmT3_T4_T5_mT6_P12ihipStream_tbENKUlT_T0_E_clISt17integral_constantIbLb0EEST_IbLb1EEEEDaSP_SQ_EUlSP_E0_NS1_11comp_targetILNS1_3genE5ELNS1_11target_archE942ELNS1_3gpuE9ELNS1_3repE0EEENS1_30default_config_static_selectorELNS0_4arch9wavefront6targetE1EEEvT1_,@function
_ZN7rocprim17ROCPRIM_400000_NS6detail17trampoline_kernelINS0_14default_configENS1_20scan_config_selectorIsEEZZNS1_9scan_implILNS1_25lookback_scan_determinismE0ELb0ELb0ES3_N6thrust23THRUST_200600_302600_NS6detail15normal_iteratorINS9_10device_ptrIsEEEESE_sNS9_4plusIvEEsEEDaPvRmT3_T4_T5_mT6_P12ihipStream_tbENKUlT_T0_E_clISt17integral_constantIbLb0EEST_IbLb1EEEEDaSP_SQ_EUlSP_E0_NS1_11comp_targetILNS1_3genE5ELNS1_11target_archE942ELNS1_3gpuE9ELNS1_3repE0EEENS1_30default_config_static_selectorELNS0_4arch9wavefront6targetE1EEEvT1_: ; @_ZN7rocprim17ROCPRIM_400000_NS6detail17trampoline_kernelINS0_14default_configENS1_20scan_config_selectorIsEEZZNS1_9scan_implILNS1_25lookback_scan_determinismE0ELb0ELb0ES3_N6thrust23THRUST_200600_302600_NS6detail15normal_iteratorINS9_10device_ptrIsEEEESE_sNS9_4plusIvEEsEEDaPvRmT3_T4_T5_mT6_P12ihipStream_tbENKUlT_T0_E_clISt17integral_constantIbLb0EEST_IbLb1EEEEDaSP_SQ_EUlSP_E0_NS1_11comp_targetILNS1_3genE5ELNS1_11target_archE942ELNS1_3gpuE9ELNS1_3repE0EEENS1_30default_config_static_selectorELNS0_4arch9wavefront6targetE1EEEvT1_
; %bb.0:
	.section	.rodata,"a",@progbits
	.p2align	6, 0x0
	.amdhsa_kernel _ZN7rocprim17ROCPRIM_400000_NS6detail17trampoline_kernelINS0_14default_configENS1_20scan_config_selectorIsEEZZNS1_9scan_implILNS1_25lookback_scan_determinismE0ELb0ELb0ES3_N6thrust23THRUST_200600_302600_NS6detail15normal_iteratorINS9_10device_ptrIsEEEESE_sNS9_4plusIvEEsEEDaPvRmT3_T4_T5_mT6_P12ihipStream_tbENKUlT_T0_E_clISt17integral_constantIbLb0EEST_IbLb1EEEEDaSP_SQ_EUlSP_E0_NS1_11comp_targetILNS1_3genE5ELNS1_11target_archE942ELNS1_3gpuE9ELNS1_3repE0EEENS1_30default_config_static_selectorELNS0_4arch9wavefront6targetE1EEEvT1_
		.amdhsa_group_segment_fixed_size 0
		.amdhsa_private_segment_fixed_size 0
		.amdhsa_kernarg_size 32
		.amdhsa_user_sgpr_count 6
		.amdhsa_user_sgpr_private_segment_buffer 1
		.amdhsa_user_sgpr_dispatch_ptr 0
		.amdhsa_user_sgpr_queue_ptr 0
		.amdhsa_user_sgpr_kernarg_segment_ptr 1
		.amdhsa_user_sgpr_dispatch_id 0
		.amdhsa_user_sgpr_flat_scratch_init 0
		.amdhsa_user_sgpr_kernarg_preload_length 0
		.amdhsa_user_sgpr_kernarg_preload_offset 0
		.amdhsa_user_sgpr_private_segment_size 0
		.amdhsa_uses_dynamic_stack 0
		.amdhsa_system_sgpr_private_segment_wavefront_offset 0
		.amdhsa_system_sgpr_workgroup_id_x 1
		.amdhsa_system_sgpr_workgroup_id_y 0
		.amdhsa_system_sgpr_workgroup_id_z 0
		.amdhsa_system_sgpr_workgroup_info 0
		.amdhsa_system_vgpr_workitem_id 0
		.amdhsa_next_free_vgpr 1
		.amdhsa_next_free_sgpr 0
		.amdhsa_accum_offset 4
		.amdhsa_reserve_vcc 0
		.amdhsa_reserve_flat_scratch 0
		.amdhsa_float_round_mode_32 0
		.amdhsa_float_round_mode_16_64 0
		.amdhsa_float_denorm_mode_32 3
		.amdhsa_float_denorm_mode_16_64 3
		.amdhsa_dx10_clamp 1
		.amdhsa_ieee_mode 1
		.amdhsa_fp16_overflow 0
		.amdhsa_tg_split 0
		.amdhsa_exception_fp_ieee_invalid_op 0
		.amdhsa_exception_fp_denorm_src 0
		.amdhsa_exception_fp_ieee_div_zero 0
		.amdhsa_exception_fp_ieee_overflow 0
		.amdhsa_exception_fp_ieee_underflow 0
		.amdhsa_exception_fp_ieee_inexact 0
		.amdhsa_exception_int_div_zero 0
	.end_amdhsa_kernel
	.section	.text._ZN7rocprim17ROCPRIM_400000_NS6detail17trampoline_kernelINS0_14default_configENS1_20scan_config_selectorIsEEZZNS1_9scan_implILNS1_25lookback_scan_determinismE0ELb0ELb0ES3_N6thrust23THRUST_200600_302600_NS6detail15normal_iteratorINS9_10device_ptrIsEEEESE_sNS9_4plusIvEEsEEDaPvRmT3_T4_T5_mT6_P12ihipStream_tbENKUlT_T0_E_clISt17integral_constantIbLb0EEST_IbLb1EEEEDaSP_SQ_EUlSP_E0_NS1_11comp_targetILNS1_3genE5ELNS1_11target_archE942ELNS1_3gpuE9ELNS1_3repE0EEENS1_30default_config_static_selectorELNS0_4arch9wavefront6targetE1EEEvT1_,"axG",@progbits,_ZN7rocprim17ROCPRIM_400000_NS6detail17trampoline_kernelINS0_14default_configENS1_20scan_config_selectorIsEEZZNS1_9scan_implILNS1_25lookback_scan_determinismE0ELb0ELb0ES3_N6thrust23THRUST_200600_302600_NS6detail15normal_iteratorINS9_10device_ptrIsEEEESE_sNS9_4plusIvEEsEEDaPvRmT3_T4_T5_mT6_P12ihipStream_tbENKUlT_T0_E_clISt17integral_constantIbLb0EEST_IbLb1EEEEDaSP_SQ_EUlSP_E0_NS1_11comp_targetILNS1_3genE5ELNS1_11target_archE942ELNS1_3gpuE9ELNS1_3repE0EEENS1_30default_config_static_selectorELNS0_4arch9wavefront6targetE1EEEvT1_,comdat
.Lfunc_end953:
	.size	_ZN7rocprim17ROCPRIM_400000_NS6detail17trampoline_kernelINS0_14default_configENS1_20scan_config_selectorIsEEZZNS1_9scan_implILNS1_25lookback_scan_determinismE0ELb0ELb0ES3_N6thrust23THRUST_200600_302600_NS6detail15normal_iteratorINS9_10device_ptrIsEEEESE_sNS9_4plusIvEEsEEDaPvRmT3_T4_T5_mT6_P12ihipStream_tbENKUlT_T0_E_clISt17integral_constantIbLb0EEST_IbLb1EEEEDaSP_SQ_EUlSP_E0_NS1_11comp_targetILNS1_3genE5ELNS1_11target_archE942ELNS1_3gpuE9ELNS1_3repE0EEENS1_30default_config_static_selectorELNS0_4arch9wavefront6targetE1EEEvT1_, .Lfunc_end953-_ZN7rocprim17ROCPRIM_400000_NS6detail17trampoline_kernelINS0_14default_configENS1_20scan_config_selectorIsEEZZNS1_9scan_implILNS1_25lookback_scan_determinismE0ELb0ELb0ES3_N6thrust23THRUST_200600_302600_NS6detail15normal_iteratorINS9_10device_ptrIsEEEESE_sNS9_4plusIvEEsEEDaPvRmT3_T4_T5_mT6_P12ihipStream_tbENKUlT_T0_E_clISt17integral_constantIbLb0EEST_IbLb1EEEEDaSP_SQ_EUlSP_E0_NS1_11comp_targetILNS1_3genE5ELNS1_11target_archE942ELNS1_3gpuE9ELNS1_3repE0EEENS1_30default_config_static_selectorELNS0_4arch9wavefront6targetE1EEEvT1_
                                        ; -- End function
	.section	.AMDGPU.csdata,"",@progbits
; Kernel info:
; codeLenInByte = 0
; NumSgprs: 4
; NumVgprs: 0
; NumAgprs: 0
; TotalNumVgprs: 0
; ScratchSize: 0
; MemoryBound: 0
; FloatMode: 240
; IeeeMode: 1
; LDSByteSize: 0 bytes/workgroup (compile time only)
; SGPRBlocks: 0
; VGPRBlocks: 0
; NumSGPRsForWavesPerEU: 4
; NumVGPRsForWavesPerEU: 1
; AccumOffset: 4
; Occupancy: 8
; WaveLimiterHint : 0
; COMPUTE_PGM_RSRC2:SCRATCH_EN: 0
; COMPUTE_PGM_RSRC2:USER_SGPR: 6
; COMPUTE_PGM_RSRC2:TRAP_HANDLER: 0
; COMPUTE_PGM_RSRC2:TGID_X_EN: 1
; COMPUTE_PGM_RSRC2:TGID_Y_EN: 0
; COMPUTE_PGM_RSRC2:TGID_Z_EN: 0
; COMPUTE_PGM_RSRC2:TIDIG_COMP_CNT: 0
; COMPUTE_PGM_RSRC3_GFX90A:ACCUM_OFFSET: 0
; COMPUTE_PGM_RSRC3_GFX90A:TG_SPLIT: 0
	.section	.text._ZN7rocprim17ROCPRIM_400000_NS6detail17trampoline_kernelINS0_14default_configENS1_20scan_config_selectorIsEEZZNS1_9scan_implILNS1_25lookback_scan_determinismE0ELb0ELb0ES3_N6thrust23THRUST_200600_302600_NS6detail15normal_iteratorINS9_10device_ptrIsEEEESE_sNS9_4plusIvEEsEEDaPvRmT3_T4_T5_mT6_P12ihipStream_tbENKUlT_T0_E_clISt17integral_constantIbLb0EEST_IbLb1EEEEDaSP_SQ_EUlSP_E0_NS1_11comp_targetILNS1_3genE4ELNS1_11target_archE910ELNS1_3gpuE8ELNS1_3repE0EEENS1_30default_config_static_selectorELNS0_4arch9wavefront6targetE1EEEvT1_,"axG",@progbits,_ZN7rocprim17ROCPRIM_400000_NS6detail17trampoline_kernelINS0_14default_configENS1_20scan_config_selectorIsEEZZNS1_9scan_implILNS1_25lookback_scan_determinismE0ELb0ELb0ES3_N6thrust23THRUST_200600_302600_NS6detail15normal_iteratorINS9_10device_ptrIsEEEESE_sNS9_4plusIvEEsEEDaPvRmT3_T4_T5_mT6_P12ihipStream_tbENKUlT_T0_E_clISt17integral_constantIbLb0EEST_IbLb1EEEEDaSP_SQ_EUlSP_E0_NS1_11comp_targetILNS1_3genE4ELNS1_11target_archE910ELNS1_3gpuE8ELNS1_3repE0EEENS1_30default_config_static_selectorELNS0_4arch9wavefront6targetE1EEEvT1_,comdat
	.protected	_ZN7rocprim17ROCPRIM_400000_NS6detail17trampoline_kernelINS0_14default_configENS1_20scan_config_selectorIsEEZZNS1_9scan_implILNS1_25lookback_scan_determinismE0ELb0ELb0ES3_N6thrust23THRUST_200600_302600_NS6detail15normal_iteratorINS9_10device_ptrIsEEEESE_sNS9_4plusIvEEsEEDaPvRmT3_T4_T5_mT6_P12ihipStream_tbENKUlT_T0_E_clISt17integral_constantIbLb0EEST_IbLb1EEEEDaSP_SQ_EUlSP_E0_NS1_11comp_targetILNS1_3genE4ELNS1_11target_archE910ELNS1_3gpuE8ELNS1_3repE0EEENS1_30default_config_static_selectorELNS0_4arch9wavefront6targetE1EEEvT1_ ; -- Begin function _ZN7rocprim17ROCPRIM_400000_NS6detail17trampoline_kernelINS0_14default_configENS1_20scan_config_selectorIsEEZZNS1_9scan_implILNS1_25lookback_scan_determinismE0ELb0ELb0ES3_N6thrust23THRUST_200600_302600_NS6detail15normal_iteratorINS9_10device_ptrIsEEEESE_sNS9_4plusIvEEsEEDaPvRmT3_T4_T5_mT6_P12ihipStream_tbENKUlT_T0_E_clISt17integral_constantIbLb0EEST_IbLb1EEEEDaSP_SQ_EUlSP_E0_NS1_11comp_targetILNS1_3genE4ELNS1_11target_archE910ELNS1_3gpuE8ELNS1_3repE0EEENS1_30default_config_static_selectorELNS0_4arch9wavefront6targetE1EEEvT1_
	.globl	_ZN7rocprim17ROCPRIM_400000_NS6detail17trampoline_kernelINS0_14default_configENS1_20scan_config_selectorIsEEZZNS1_9scan_implILNS1_25lookback_scan_determinismE0ELb0ELb0ES3_N6thrust23THRUST_200600_302600_NS6detail15normal_iteratorINS9_10device_ptrIsEEEESE_sNS9_4plusIvEEsEEDaPvRmT3_T4_T5_mT6_P12ihipStream_tbENKUlT_T0_E_clISt17integral_constantIbLb0EEST_IbLb1EEEEDaSP_SQ_EUlSP_E0_NS1_11comp_targetILNS1_3genE4ELNS1_11target_archE910ELNS1_3gpuE8ELNS1_3repE0EEENS1_30default_config_static_selectorELNS0_4arch9wavefront6targetE1EEEvT1_
	.p2align	8
	.type	_ZN7rocprim17ROCPRIM_400000_NS6detail17trampoline_kernelINS0_14default_configENS1_20scan_config_selectorIsEEZZNS1_9scan_implILNS1_25lookback_scan_determinismE0ELb0ELb0ES3_N6thrust23THRUST_200600_302600_NS6detail15normal_iteratorINS9_10device_ptrIsEEEESE_sNS9_4plusIvEEsEEDaPvRmT3_T4_T5_mT6_P12ihipStream_tbENKUlT_T0_E_clISt17integral_constantIbLb0EEST_IbLb1EEEEDaSP_SQ_EUlSP_E0_NS1_11comp_targetILNS1_3genE4ELNS1_11target_archE910ELNS1_3gpuE8ELNS1_3repE0EEENS1_30default_config_static_selectorELNS0_4arch9wavefront6targetE1EEEvT1_,@function
_ZN7rocprim17ROCPRIM_400000_NS6detail17trampoline_kernelINS0_14default_configENS1_20scan_config_selectorIsEEZZNS1_9scan_implILNS1_25lookback_scan_determinismE0ELb0ELb0ES3_N6thrust23THRUST_200600_302600_NS6detail15normal_iteratorINS9_10device_ptrIsEEEESE_sNS9_4plusIvEEsEEDaPvRmT3_T4_T5_mT6_P12ihipStream_tbENKUlT_T0_E_clISt17integral_constantIbLb0EEST_IbLb1EEEEDaSP_SQ_EUlSP_E0_NS1_11comp_targetILNS1_3genE4ELNS1_11target_archE910ELNS1_3gpuE8ELNS1_3repE0EEENS1_30default_config_static_selectorELNS0_4arch9wavefront6targetE1EEEvT1_: ; @_ZN7rocprim17ROCPRIM_400000_NS6detail17trampoline_kernelINS0_14default_configENS1_20scan_config_selectorIsEEZZNS1_9scan_implILNS1_25lookback_scan_determinismE0ELb0ELb0ES3_N6thrust23THRUST_200600_302600_NS6detail15normal_iteratorINS9_10device_ptrIsEEEESE_sNS9_4plusIvEEsEEDaPvRmT3_T4_T5_mT6_P12ihipStream_tbENKUlT_T0_E_clISt17integral_constantIbLb0EEST_IbLb1EEEEDaSP_SQ_EUlSP_E0_NS1_11comp_targetILNS1_3genE4ELNS1_11target_archE910ELNS1_3gpuE8ELNS1_3repE0EEENS1_30default_config_static_selectorELNS0_4arch9wavefront6targetE1EEEvT1_
; %bb.0:
	s_load_dwordx4 s[52:55], s[4:5], 0x0
	v_mov_b32_e32 v1, 0
	v_lshlrev_b32_e32 v14, 1, v0
	s_waitcnt lgkmcnt(0)
	global_load_ushort v2, v1, s[52:53]
	v_cmp_gt_u32_e32 vcc, s54, v0
	s_waitcnt vmcnt(0)
	v_mov_b32_e32 v3, v2
	s_and_saveexec_b64 s[0:1], vcc
	s_cbranch_execz .LBB954_2
; %bb.1:
	global_load_ushort v3, v14, s[52:53]
.LBB954_2:
	s_or_b64 exec, exec, s[0:1]
	v_or_b32_e32 v1, 64, v0
	v_cmp_gt_u32_e64 s[0:1], s54, v1
	v_mov_b32_e32 v4, v2
	s_and_saveexec_b64 s[2:3], s[0:1]
	s_cbranch_execz .LBB954_4
; %bb.3:
	global_load_ushort v4, v14, s[52:53] offset:128
.LBB954_4:
	s_or_b64 exec, exec, s[2:3]
	v_or_b32_e32 v1, 0x80, v0
	v_cmp_gt_u32_e64 s[2:3], s54, v1
	v_mov_b32_e32 v5, v2
	s_and_saveexec_b64 s[6:7], s[2:3]
	s_cbranch_execz .LBB954_6
; %bb.5:
	global_load_ushort v5, v14, s[52:53] offset:256
.LBB954_6:
	;; [unrolled: 9-line block ×22, first 2 shown]
	s_or_b64 exec, exec, s[46:47]
	v_or_b32_e32 v1, 0x5c0, v0
	v_cmp_gt_u32_e64 s[46:47], s54, v1
	v_cmp_le_u32_e64 s[50:51], s54, v1
	s_and_saveexec_b64 s[54:55], s[50:51]
	s_xor_b64 s[50:51], exec, s[54:55]
; %bb.47:
	v_mov_b32_e32 v1, 0
; %bb.48:
	s_andn2_saveexec_b64 s[50:51], s[50:51]
	s_cbranch_execz .LBB954_50
; %bb.49:
	global_load_ushort v2, v14, s[52:53] offset:2944
	v_mov_b32_e32 v1, 0
.LBB954_50:
	s_or_b64 exec, exec, s[50:51]
	s_waitcnt vmcnt(0)
	ds_write_b16 v14, v3
	ds_write_b16 v14, v4 offset:128
	ds_write_b16 v14, v5 offset:256
	;; [unrolled: 1-line block ×23, first 2 shown]
	v_mad_u32_u24 v6, v0, 46, v14
	s_waitcnt lgkmcnt(0)
	; wave barrier
	s_waitcnt lgkmcnt(0)
	ds_read_b128 v[2:5], v6
	ds_read_b128 v[10:13], v6 offset:16
	ds_read_b128 v[6:9], v6 offset:32
	v_mbcnt_lo_u32_b32 v38, -1, 0
	v_mbcnt_hi_u32_b32 v38, -1, v38
	s_waitcnt lgkmcnt(2)
	v_add_u16_sdwa v15, v2, v2 dst_sel:DWORD dst_unused:UNUSED_PAD src0_sel:WORD_1 src1_sel:DWORD
	v_add_u16_e32 v16, v15, v3
	v_add_u16_sdwa v18, v16, v3 dst_sel:DWORD dst_unused:UNUSED_PAD src0_sel:DWORD src1_sel:WORD_1
	v_add_u16_e32 v20, v18, v4
	v_add_u16_sdwa v22, v20, v4 dst_sel:DWORD dst_unused:UNUSED_PAD src0_sel:DWORD src1_sel:WORD_1
	;; [unrolled: 2-line block ×3, first 2 shown]
	s_waitcnt lgkmcnt(1)
	v_add_u16_e32 v17, v28, v10
	v_add_u16_sdwa v19, v17, v10 dst_sel:DWORD dst_unused:UNUSED_PAD src0_sel:DWORD src1_sel:WORD_1
	v_add_u16_e32 v21, v19, v11
	v_add_u16_sdwa v24, v21, v11 dst_sel:DWORD dst_unused:UNUSED_PAD src0_sel:DWORD src1_sel:WORD_1
	v_add_u16_e32 v27, v24, v12
	v_add_u16_sdwa v30, v27, v12 dst_sel:DWORD dst_unused:UNUSED_PAD src0_sel:DWORD src1_sel:WORD_1
	v_add_u16_e32 v32, v30, v13
	v_add_u16_sdwa v34, v32, v13 dst_sel:DWORD dst_unused:UNUSED_PAD src0_sel:DWORD src1_sel:WORD_1
	s_waitcnt lgkmcnt(0)
	v_add_u16_e32 v23, v34, v6
	v_add_u16_sdwa v26, v23, v6 dst_sel:DWORD dst_unused:UNUSED_PAD src0_sel:DWORD src1_sel:WORD_1
	v_add_u16_e32 v29, v26, v7
	v_add_u16_sdwa v31, v29, v7 dst_sel:DWORD dst_unused:UNUSED_PAD src0_sel:DWORD src1_sel:WORD_1
	;; [unrolled: 2-line block ×4, first 2 shown]
	v_and_b32_e32 v39, 15, v38
	s_load_dwordx2 s[50:51], s[4:5], 0x18
	v_mov_b32_dpp v40, v37 row_shr:1 row_mask:0xf bank_mask:0xf
	v_cmp_ne_u32_e64 s[4:5], 0, v39
	v_cndmask_b32_e64 v40, 0, v40, s[4:5]
	v_add_u16_e32 v40, v40, v37
	v_cmp_lt_u32_e64 s[4:5], 1, v39
	s_waitcnt lgkmcnt(0)
	v_mov_b32_dpp v41, v40 row_shr:2 row_mask:0xf bank_mask:0xf
	v_cndmask_b32_e64 v41, 0, v41, s[4:5]
	v_add_u16_e32 v40, v40, v41
	v_cmp_lt_u32_e64 s[4:5], 3, v39
	; wave barrier
	s_nop 0
	v_mov_b32_dpp v41, v40 row_shr:4 row_mask:0xf bank_mask:0xf
	v_cndmask_b32_e64 v41, 0, v41, s[4:5]
	v_add_u16_e32 v40, v40, v41
	v_cmp_lt_u32_e64 s[4:5], 7, v39
	s_nop 0
	v_mov_b32_dpp v41, v40 row_shr:8 row_mask:0xf bank_mask:0xf
	v_cndmask_b32_e64 v39, 0, v41, s[4:5]
	v_add_u16_e32 v39, v40, v39
	v_and_b32_e32 v41, 16, v38
	v_cmp_ne_u32_e64 s[4:5], 0, v41
	v_mov_b32_dpp v40, v39 row_bcast:15 row_mask:0xf bank_mask:0xf
	v_cndmask_b32_e64 v40, 0, v40, s[4:5]
	v_add_u16_e32 v39, v39, v40
	v_cmp_lt_u32_e64 s[4:5], 31, v38
	s_nop 0
	v_mov_b32_dpp v40, v39 row_bcast:31 row_mask:0xf bank_mask:0xf
	v_cndmask_b32_e64 v40, 0, v40, s[4:5]
	v_add_u16_e32 v39, v39, v40
	v_cmp_eq_u32_e64 s[4:5], 63, v0
	s_and_saveexec_b64 s[52:53], s[4:5]
	s_cbranch_execz .LBB954_52
; %bb.51:
	v_mov_b32_e32 v40, 0
	ds_write_b16 v40, v39
.LBB954_52:
	s_or_b64 exec, exec, s[52:53]
	v_add_u32_e32 v40, -1, v38
	v_and_b32_e32 v41, 64, v38
	v_cmp_lt_i32_e64 s[4:5], v40, v41
	v_cndmask_b32_e64 v38, v40, v38, s[4:5]
	v_lshlrev_b32_e32 v38, 2, v38
	ds_bpermute_b32 v39, v38, v39
	v_mul_u32_u24_e32 v38, 46, v0
	v_cmp_ne_u32_e64 s[4:5], 0, v0
	s_waitcnt lgkmcnt(0)
	; wave barrier
	s_waitcnt lgkmcnt(0)
	s_and_saveexec_b64 s[52:53], s[4:5]
	s_cbranch_execz .LBB954_54
; %bb.53:
	v_add_u16_e32 v39, v2, v39
	v_add_u16_sdwa v15, v39, v2 dst_sel:DWORD dst_unused:UNUSED_PAD src0_sel:DWORD src1_sel:WORD_1
	v_add_u16_e32 v16, v15, v3
	v_add_u16_sdwa v18, v16, v3 dst_sel:DWORD dst_unused:UNUSED_PAD src0_sel:DWORD src1_sel:WORD_1
	;; [unrolled: 2-line block ×12, first 2 shown]
	v_mov_b32_e32 v2, v39
	;;#ASMSTART
	;;#ASMEND
.LBB954_54:
	s_or_b64 exec, exec, s[52:53]
	s_mov_b32 s4, 0x5040100
	v_add_u32_e32 v6, v14, v38
	v_perm_b32 v5, v28, v25, s4
	v_perm_b32 v4, v22, v20, s4
	;; [unrolled: 1-line block ×4, first 2 shown]
	s_waitcnt lgkmcnt(0)
	; wave barrier
	ds_write_b128 v6, v[2:5]
	v_perm_b32 v5, v34, v32, s4
	v_perm_b32 v4, v30, v27, s4
	v_perm_b32 v3, v24, v21, s4
	v_perm_b32 v2, v19, v17, s4
	ds_write_b128 v6, v[2:5] offset:16
	v_perm_b32 v5, v37, v36, s4
	v_perm_b32 v4, v35, v33, s4
	;; [unrolled: 1-line block ×4, first 2 shown]
	ds_write_b128 v6, v[2:5] offset:32
	s_waitcnt lgkmcnt(0)
	; wave barrier
	s_waitcnt lgkmcnt(0)
	ds_read_u16 v25, v14 offset:128
	ds_read_u16 v24, v14 offset:256
	;; [unrolled: 1-line block ×23, first 2 shown]
	v_lshlrev_b64 v[0:1], 1, v[0:1]
	v_mov_b32_e32 v26, s51
	v_add_co_u32_e64 v0, s[4:5], s50, v0
	v_addc_co_u32_e64 v1, s[4:5], v26, v1, s[4:5]
	s_and_saveexec_b64 s[4:5], vcc
	s_cbranch_execnz .LBB954_79
; %bb.55:
	s_or_b64 exec, exec, s[4:5]
	s_and_saveexec_b64 s[4:5], s[0:1]
	s_cbranch_execnz .LBB954_80
.LBB954_56:
	s_or_b64 exec, exec, s[4:5]
	s_and_saveexec_b64 s[0:1], s[2:3]
	s_cbranch_execnz .LBB954_81
.LBB954_57:
	s_or_b64 exec, exec, s[0:1]
	s_and_saveexec_b64 s[0:1], s[48:49]
	s_cbranch_execnz .LBB954_82
.LBB954_58:
	s_or_b64 exec, exec, s[0:1]
	s_and_saveexec_b64 s[0:1], s[6:7]
	s_cbranch_execnz .LBB954_83
.LBB954_59:
	s_or_b64 exec, exec, s[0:1]
	s_and_saveexec_b64 s[0:1], s[8:9]
	s_cbranch_execnz .LBB954_84
.LBB954_60:
	s_or_b64 exec, exec, s[0:1]
	s_and_saveexec_b64 s[0:1], s[10:11]
	s_cbranch_execnz .LBB954_85
.LBB954_61:
	s_or_b64 exec, exec, s[0:1]
	s_and_saveexec_b64 s[0:1], s[12:13]
	s_cbranch_execnz .LBB954_86
.LBB954_62:
	s_or_b64 exec, exec, s[0:1]
	s_and_saveexec_b64 s[0:1], s[14:15]
	s_cbranch_execnz .LBB954_87
.LBB954_63:
	s_or_b64 exec, exec, s[0:1]
	s_and_saveexec_b64 s[0:1], s[16:17]
	s_cbranch_execnz .LBB954_88
.LBB954_64:
	s_or_b64 exec, exec, s[0:1]
	s_and_saveexec_b64 s[0:1], s[18:19]
	s_cbranch_execnz .LBB954_89
.LBB954_65:
	s_or_b64 exec, exec, s[0:1]
	s_and_saveexec_b64 s[0:1], s[20:21]
	s_cbranch_execnz .LBB954_90
.LBB954_66:
	s_or_b64 exec, exec, s[0:1]
	s_and_saveexec_b64 s[0:1], s[22:23]
	s_cbranch_execnz .LBB954_91
.LBB954_67:
	s_or_b64 exec, exec, s[0:1]
	s_and_saveexec_b64 s[0:1], s[24:25]
	s_cbranch_execnz .LBB954_92
.LBB954_68:
	s_or_b64 exec, exec, s[0:1]
	s_and_saveexec_b64 s[0:1], s[26:27]
	s_cbranch_execnz .LBB954_93
.LBB954_69:
	s_or_b64 exec, exec, s[0:1]
	s_and_saveexec_b64 s[0:1], s[28:29]
	s_cbranch_execnz .LBB954_94
.LBB954_70:
	s_or_b64 exec, exec, s[0:1]
	s_and_saveexec_b64 s[0:1], s[30:31]
	s_cbranch_execnz .LBB954_95
.LBB954_71:
	s_or_b64 exec, exec, s[0:1]
	s_and_saveexec_b64 s[0:1], s[34:35]
	s_cbranch_execnz .LBB954_96
.LBB954_72:
	s_or_b64 exec, exec, s[0:1]
	s_and_saveexec_b64 s[0:1], s[36:37]
	s_cbranch_execnz .LBB954_97
.LBB954_73:
	s_or_b64 exec, exec, s[0:1]
	s_and_saveexec_b64 s[0:1], s[38:39]
	s_cbranch_execnz .LBB954_98
.LBB954_74:
	s_or_b64 exec, exec, s[0:1]
	s_and_saveexec_b64 s[0:1], s[40:41]
	s_cbranch_execnz .LBB954_99
.LBB954_75:
	s_or_b64 exec, exec, s[0:1]
	s_and_saveexec_b64 s[0:1], s[42:43]
	s_cbranch_execnz .LBB954_100
.LBB954_76:
	s_or_b64 exec, exec, s[0:1]
	s_and_saveexec_b64 s[0:1], s[44:45]
	s_cbranch_execnz .LBB954_101
.LBB954_77:
	s_or_b64 exec, exec, s[0:1]
	s_and_saveexec_b64 s[0:1], s[46:47]
	s_cbranch_execnz .LBB954_102
.LBB954_78:
	s_endpgm
.LBB954_79:
	ds_read_u16 v14, v14
	s_waitcnt lgkmcnt(0)
	global_store_short v[0:1], v14, off
	s_or_b64 exec, exec, s[4:5]
	s_and_saveexec_b64 s[4:5], s[0:1]
	s_cbranch_execz .LBB954_56
.LBB954_80:
	s_waitcnt lgkmcnt(14)
	global_store_short v[0:1], v25, off offset:128
	s_or_b64 exec, exec, s[4:5]
	s_and_saveexec_b64 s[0:1], s[2:3]
	s_cbranch_execz .LBB954_57
.LBB954_81:
	s_waitcnt lgkmcnt(14)
	global_store_short v[0:1], v24, off offset:256
	s_or_b64 exec, exec, s[0:1]
	s_and_saveexec_b64 s[0:1], s[48:49]
	s_cbranch_execz .LBB954_58
.LBB954_82:
	s_waitcnt lgkmcnt(14)
	global_store_short v[0:1], v23, off offset:384
	s_or_b64 exec, exec, s[0:1]
	s_and_saveexec_b64 s[0:1], s[6:7]
	s_cbranch_execz .LBB954_59
.LBB954_83:
	s_waitcnt lgkmcnt(14)
	global_store_short v[0:1], v22, off offset:512
	s_or_b64 exec, exec, s[0:1]
	s_and_saveexec_b64 s[0:1], s[8:9]
	s_cbranch_execz .LBB954_60
.LBB954_84:
	s_waitcnt lgkmcnt(14)
	global_store_short v[0:1], v21, off offset:640
	s_or_b64 exec, exec, s[0:1]
	s_and_saveexec_b64 s[0:1], s[10:11]
	s_cbranch_execz .LBB954_61
.LBB954_85:
	s_waitcnt lgkmcnt(14)
	global_store_short v[0:1], v20, off offset:768
	s_or_b64 exec, exec, s[0:1]
	s_and_saveexec_b64 s[0:1], s[12:13]
	s_cbranch_execz .LBB954_62
.LBB954_86:
	s_waitcnt lgkmcnt(14)
	global_store_short v[0:1], v19, off offset:896
	s_or_b64 exec, exec, s[0:1]
	s_and_saveexec_b64 s[0:1], s[14:15]
	s_cbranch_execz .LBB954_63
.LBB954_87:
	s_waitcnt lgkmcnt(14)
	global_store_short v[0:1], v18, off offset:1024
	s_or_b64 exec, exec, s[0:1]
	s_and_saveexec_b64 s[0:1], s[16:17]
	s_cbranch_execz .LBB954_64
.LBB954_88:
	s_waitcnt lgkmcnt(14)
	global_store_short v[0:1], v17, off offset:1152
	s_or_b64 exec, exec, s[0:1]
	s_and_saveexec_b64 s[0:1], s[18:19]
	s_cbranch_execz .LBB954_65
.LBB954_89:
	s_waitcnt lgkmcnt(13)
	global_store_short v[0:1], v16, off offset:1280
	s_or_b64 exec, exec, s[0:1]
	s_and_saveexec_b64 s[0:1], s[20:21]
	s_cbranch_execz .LBB954_66
.LBB954_90:
	s_waitcnt lgkmcnt(12)
	global_store_short v[0:1], v15, off offset:1408
	s_or_b64 exec, exec, s[0:1]
	s_and_saveexec_b64 s[0:1], s[22:23]
	s_cbranch_execz .LBB954_67
.LBB954_91:
	s_waitcnt lgkmcnt(11)
	global_store_short v[0:1], v13, off offset:1536
	s_or_b64 exec, exec, s[0:1]
	s_and_saveexec_b64 s[0:1], s[24:25]
	s_cbranch_execz .LBB954_68
.LBB954_92:
	s_waitcnt lgkmcnt(10)
	global_store_short v[0:1], v12, off offset:1664
	s_or_b64 exec, exec, s[0:1]
	s_and_saveexec_b64 s[0:1], s[26:27]
	s_cbranch_execz .LBB954_69
.LBB954_93:
	s_waitcnt lgkmcnt(9)
	global_store_short v[0:1], v11, off offset:1792
	s_or_b64 exec, exec, s[0:1]
	s_and_saveexec_b64 s[0:1], s[28:29]
	s_cbranch_execz .LBB954_70
.LBB954_94:
	s_waitcnt lgkmcnt(8)
	global_store_short v[0:1], v10, off offset:1920
	s_or_b64 exec, exec, s[0:1]
	s_and_saveexec_b64 s[0:1], s[30:31]
	s_cbranch_execz .LBB954_71
.LBB954_95:
	s_waitcnt lgkmcnt(7)
	global_store_short v[0:1], v9, off offset:2048
	s_or_b64 exec, exec, s[0:1]
	s_and_saveexec_b64 s[0:1], s[34:35]
	s_cbranch_execz .LBB954_72
.LBB954_96:
	s_waitcnt lgkmcnt(6)
	global_store_short v[0:1], v8, off offset:2176
	s_or_b64 exec, exec, s[0:1]
	s_and_saveexec_b64 s[0:1], s[36:37]
	s_cbranch_execz .LBB954_73
.LBB954_97:
	s_waitcnt lgkmcnt(5)
	global_store_short v[0:1], v7, off offset:2304
	s_or_b64 exec, exec, s[0:1]
	s_and_saveexec_b64 s[0:1], s[38:39]
	s_cbranch_execz .LBB954_74
.LBB954_98:
	s_waitcnt lgkmcnt(4)
	global_store_short v[0:1], v6, off offset:2432
	s_or_b64 exec, exec, s[0:1]
	s_and_saveexec_b64 s[0:1], s[40:41]
	s_cbranch_execz .LBB954_75
.LBB954_99:
	s_waitcnt lgkmcnt(3)
	global_store_short v[0:1], v5, off offset:2560
	s_or_b64 exec, exec, s[0:1]
	s_and_saveexec_b64 s[0:1], s[42:43]
	s_cbranch_execz .LBB954_76
.LBB954_100:
	s_waitcnt lgkmcnt(2)
	global_store_short v[0:1], v4, off offset:2688
	s_or_b64 exec, exec, s[0:1]
	s_and_saveexec_b64 s[0:1], s[44:45]
	s_cbranch_execz .LBB954_77
.LBB954_101:
	s_waitcnt lgkmcnt(1)
	global_store_short v[0:1], v3, off offset:2816
	s_or_b64 exec, exec, s[0:1]
	s_and_saveexec_b64 s[0:1], s[46:47]
	s_cbranch_execz .LBB954_78
.LBB954_102:
	s_waitcnt lgkmcnt(0)
	global_store_short v[0:1], v2, off offset:2944
	s_endpgm
	.section	.rodata,"a",@progbits
	.p2align	6, 0x0
	.amdhsa_kernel _ZN7rocprim17ROCPRIM_400000_NS6detail17trampoline_kernelINS0_14default_configENS1_20scan_config_selectorIsEEZZNS1_9scan_implILNS1_25lookback_scan_determinismE0ELb0ELb0ES3_N6thrust23THRUST_200600_302600_NS6detail15normal_iteratorINS9_10device_ptrIsEEEESE_sNS9_4plusIvEEsEEDaPvRmT3_T4_T5_mT6_P12ihipStream_tbENKUlT_T0_E_clISt17integral_constantIbLb0EEST_IbLb1EEEEDaSP_SQ_EUlSP_E0_NS1_11comp_targetILNS1_3genE4ELNS1_11target_archE910ELNS1_3gpuE8ELNS1_3repE0EEENS1_30default_config_static_selectorELNS0_4arch9wavefront6targetE1EEEvT1_
		.amdhsa_group_segment_fixed_size 3072
		.amdhsa_private_segment_fixed_size 0
		.amdhsa_kernarg_size 32
		.amdhsa_user_sgpr_count 6
		.amdhsa_user_sgpr_private_segment_buffer 1
		.amdhsa_user_sgpr_dispatch_ptr 0
		.amdhsa_user_sgpr_queue_ptr 0
		.amdhsa_user_sgpr_kernarg_segment_ptr 1
		.amdhsa_user_sgpr_dispatch_id 0
		.amdhsa_user_sgpr_flat_scratch_init 0
		.amdhsa_user_sgpr_kernarg_preload_length 0
		.amdhsa_user_sgpr_kernarg_preload_offset 0
		.amdhsa_user_sgpr_private_segment_size 0
		.amdhsa_uses_dynamic_stack 0
		.amdhsa_system_sgpr_private_segment_wavefront_offset 0
		.amdhsa_system_sgpr_workgroup_id_x 1
		.amdhsa_system_sgpr_workgroup_id_y 0
		.amdhsa_system_sgpr_workgroup_id_z 0
		.amdhsa_system_sgpr_workgroup_info 0
		.amdhsa_system_vgpr_workitem_id 0
		.amdhsa_next_free_vgpr 42
		.amdhsa_next_free_sgpr 56
		.amdhsa_accum_offset 44
		.amdhsa_reserve_vcc 1
		.amdhsa_reserve_flat_scratch 0
		.amdhsa_float_round_mode_32 0
		.amdhsa_float_round_mode_16_64 0
		.amdhsa_float_denorm_mode_32 3
		.amdhsa_float_denorm_mode_16_64 3
		.amdhsa_dx10_clamp 1
		.amdhsa_ieee_mode 1
		.amdhsa_fp16_overflow 0
		.amdhsa_tg_split 0
		.amdhsa_exception_fp_ieee_invalid_op 0
		.amdhsa_exception_fp_denorm_src 0
		.amdhsa_exception_fp_ieee_div_zero 0
		.amdhsa_exception_fp_ieee_overflow 0
		.amdhsa_exception_fp_ieee_underflow 0
		.amdhsa_exception_fp_ieee_inexact 0
		.amdhsa_exception_int_div_zero 0
	.end_amdhsa_kernel
	.section	.text._ZN7rocprim17ROCPRIM_400000_NS6detail17trampoline_kernelINS0_14default_configENS1_20scan_config_selectorIsEEZZNS1_9scan_implILNS1_25lookback_scan_determinismE0ELb0ELb0ES3_N6thrust23THRUST_200600_302600_NS6detail15normal_iteratorINS9_10device_ptrIsEEEESE_sNS9_4plusIvEEsEEDaPvRmT3_T4_T5_mT6_P12ihipStream_tbENKUlT_T0_E_clISt17integral_constantIbLb0EEST_IbLb1EEEEDaSP_SQ_EUlSP_E0_NS1_11comp_targetILNS1_3genE4ELNS1_11target_archE910ELNS1_3gpuE8ELNS1_3repE0EEENS1_30default_config_static_selectorELNS0_4arch9wavefront6targetE1EEEvT1_,"axG",@progbits,_ZN7rocprim17ROCPRIM_400000_NS6detail17trampoline_kernelINS0_14default_configENS1_20scan_config_selectorIsEEZZNS1_9scan_implILNS1_25lookback_scan_determinismE0ELb0ELb0ES3_N6thrust23THRUST_200600_302600_NS6detail15normal_iteratorINS9_10device_ptrIsEEEESE_sNS9_4plusIvEEsEEDaPvRmT3_T4_T5_mT6_P12ihipStream_tbENKUlT_T0_E_clISt17integral_constantIbLb0EEST_IbLb1EEEEDaSP_SQ_EUlSP_E0_NS1_11comp_targetILNS1_3genE4ELNS1_11target_archE910ELNS1_3gpuE8ELNS1_3repE0EEENS1_30default_config_static_selectorELNS0_4arch9wavefront6targetE1EEEvT1_,comdat
.Lfunc_end954:
	.size	_ZN7rocprim17ROCPRIM_400000_NS6detail17trampoline_kernelINS0_14default_configENS1_20scan_config_selectorIsEEZZNS1_9scan_implILNS1_25lookback_scan_determinismE0ELb0ELb0ES3_N6thrust23THRUST_200600_302600_NS6detail15normal_iteratorINS9_10device_ptrIsEEEESE_sNS9_4plusIvEEsEEDaPvRmT3_T4_T5_mT6_P12ihipStream_tbENKUlT_T0_E_clISt17integral_constantIbLb0EEST_IbLb1EEEEDaSP_SQ_EUlSP_E0_NS1_11comp_targetILNS1_3genE4ELNS1_11target_archE910ELNS1_3gpuE8ELNS1_3repE0EEENS1_30default_config_static_selectorELNS0_4arch9wavefront6targetE1EEEvT1_, .Lfunc_end954-_ZN7rocprim17ROCPRIM_400000_NS6detail17trampoline_kernelINS0_14default_configENS1_20scan_config_selectorIsEEZZNS1_9scan_implILNS1_25lookback_scan_determinismE0ELb0ELb0ES3_N6thrust23THRUST_200600_302600_NS6detail15normal_iteratorINS9_10device_ptrIsEEEESE_sNS9_4plusIvEEsEEDaPvRmT3_T4_T5_mT6_P12ihipStream_tbENKUlT_T0_E_clISt17integral_constantIbLb0EEST_IbLb1EEEEDaSP_SQ_EUlSP_E0_NS1_11comp_targetILNS1_3genE4ELNS1_11target_archE910ELNS1_3gpuE8ELNS1_3repE0EEENS1_30default_config_static_selectorELNS0_4arch9wavefront6targetE1EEEvT1_
                                        ; -- End function
	.section	.AMDGPU.csdata,"",@progbits
; Kernel info:
; codeLenInByte = 3068
; NumSgprs: 60
; NumVgprs: 42
; NumAgprs: 0
; TotalNumVgprs: 42
; ScratchSize: 0
; MemoryBound: 0
; FloatMode: 240
; IeeeMode: 1
; LDSByteSize: 3072 bytes/workgroup (compile time only)
; SGPRBlocks: 7
; VGPRBlocks: 5
; NumSGPRsForWavesPerEU: 60
; NumVGPRsForWavesPerEU: 42
; AccumOffset: 44
; Occupancy: 6
; WaveLimiterHint : 0
; COMPUTE_PGM_RSRC2:SCRATCH_EN: 0
; COMPUTE_PGM_RSRC2:USER_SGPR: 6
; COMPUTE_PGM_RSRC2:TRAP_HANDLER: 0
; COMPUTE_PGM_RSRC2:TGID_X_EN: 1
; COMPUTE_PGM_RSRC2:TGID_Y_EN: 0
; COMPUTE_PGM_RSRC2:TGID_Z_EN: 0
; COMPUTE_PGM_RSRC2:TIDIG_COMP_CNT: 0
; COMPUTE_PGM_RSRC3_GFX90A:ACCUM_OFFSET: 10
; COMPUTE_PGM_RSRC3_GFX90A:TG_SPLIT: 0
	.section	.text._ZN7rocprim17ROCPRIM_400000_NS6detail17trampoline_kernelINS0_14default_configENS1_20scan_config_selectorIsEEZZNS1_9scan_implILNS1_25lookback_scan_determinismE0ELb0ELb0ES3_N6thrust23THRUST_200600_302600_NS6detail15normal_iteratorINS9_10device_ptrIsEEEESE_sNS9_4plusIvEEsEEDaPvRmT3_T4_T5_mT6_P12ihipStream_tbENKUlT_T0_E_clISt17integral_constantIbLb0EEST_IbLb1EEEEDaSP_SQ_EUlSP_E0_NS1_11comp_targetILNS1_3genE3ELNS1_11target_archE908ELNS1_3gpuE7ELNS1_3repE0EEENS1_30default_config_static_selectorELNS0_4arch9wavefront6targetE1EEEvT1_,"axG",@progbits,_ZN7rocprim17ROCPRIM_400000_NS6detail17trampoline_kernelINS0_14default_configENS1_20scan_config_selectorIsEEZZNS1_9scan_implILNS1_25lookback_scan_determinismE0ELb0ELb0ES3_N6thrust23THRUST_200600_302600_NS6detail15normal_iteratorINS9_10device_ptrIsEEEESE_sNS9_4plusIvEEsEEDaPvRmT3_T4_T5_mT6_P12ihipStream_tbENKUlT_T0_E_clISt17integral_constantIbLb0EEST_IbLb1EEEEDaSP_SQ_EUlSP_E0_NS1_11comp_targetILNS1_3genE3ELNS1_11target_archE908ELNS1_3gpuE7ELNS1_3repE0EEENS1_30default_config_static_selectorELNS0_4arch9wavefront6targetE1EEEvT1_,comdat
	.protected	_ZN7rocprim17ROCPRIM_400000_NS6detail17trampoline_kernelINS0_14default_configENS1_20scan_config_selectorIsEEZZNS1_9scan_implILNS1_25lookback_scan_determinismE0ELb0ELb0ES3_N6thrust23THRUST_200600_302600_NS6detail15normal_iteratorINS9_10device_ptrIsEEEESE_sNS9_4plusIvEEsEEDaPvRmT3_T4_T5_mT6_P12ihipStream_tbENKUlT_T0_E_clISt17integral_constantIbLb0EEST_IbLb1EEEEDaSP_SQ_EUlSP_E0_NS1_11comp_targetILNS1_3genE3ELNS1_11target_archE908ELNS1_3gpuE7ELNS1_3repE0EEENS1_30default_config_static_selectorELNS0_4arch9wavefront6targetE1EEEvT1_ ; -- Begin function _ZN7rocprim17ROCPRIM_400000_NS6detail17trampoline_kernelINS0_14default_configENS1_20scan_config_selectorIsEEZZNS1_9scan_implILNS1_25lookback_scan_determinismE0ELb0ELb0ES3_N6thrust23THRUST_200600_302600_NS6detail15normal_iteratorINS9_10device_ptrIsEEEESE_sNS9_4plusIvEEsEEDaPvRmT3_T4_T5_mT6_P12ihipStream_tbENKUlT_T0_E_clISt17integral_constantIbLb0EEST_IbLb1EEEEDaSP_SQ_EUlSP_E0_NS1_11comp_targetILNS1_3genE3ELNS1_11target_archE908ELNS1_3gpuE7ELNS1_3repE0EEENS1_30default_config_static_selectorELNS0_4arch9wavefront6targetE1EEEvT1_
	.globl	_ZN7rocprim17ROCPRIM_400000_NS6detail17trampoline_kernelINS0_14default_configENS1_20scan_config_selectorIsEEZZNS1_9scan_implILNS1_25lookback_scan_determinismE0ELb0ELb0ES3_N6thrust23THRUST_200600_302600_NS6detail15normal_iteratorINS9_10device_ptrIsEEEESE_sNS9_4plusIvEEsEEDaPvRmT3_T4_T5_mT6_P12ihipStream_tbENKUlT_T0_E_clISt17integral_constantIbLb0EEST_IbLb1EEEEDaSP_SQ_EUlSP_E0_NS1_11comp_targetILNS1_3genE3ELNS1_11target_archE908ELNS1_3gpuE7ELNS1_3repE0EEENS1_30default_config_static_selectorELNS0_4arch9wavefront6targetE1EEEvT1_
	.p2align	8
	.type	_ZN7rocprim17ROCPRIM_400000_NS6detail17trampoline_kernelINS0_14default_configENS1_20scan_config_selectorIsEEZZNS1_9scan_implILNS1_25lookback_scan_determinismE0ELb0ELb0ES3_N6thrust23THRUST_200600_302600_NS6detail15normal_iteratorINS9_10device_ptrIsEEEESE_sNS9_4plusIvEEsEEDaPvRmT3_T4_T5_mT6_P12ihipStream_tbENKUlT_T0_E_clISt17integral_constantIbLb0EEST_IbLb1EEEEDaSP_SQ_EUlSP_E0_NS1_11comp_targetILNS1_3genE3ELNS1_11target_archE908ELNS1_3gpuE7ELNS1_3repE0EEENS1_30default_config_static_selectorELNS0_4arch9wavefront6targetE1EEEvT1_,@function
_ZN7rocprim17ROCPRIM_400000_NS6detail17trampoline_kernelINS0_14default_configENS1_20scan_config_selectorIsEEZZNS1_9scan_implILNS1_25lookback_scan_determinismE0ELb0ELb0ES3_N6thrust23THRUST_200600_302600_NS6detail15normal_iteratorINS9_10device_ptrIsEEEESE_sNS9_4plusIvEEsEEDaPvRmT3_T4_T5_mT6_P12ihipStream_tbENKUlT_T0_E_clISt17integral_constantIbLb0EEST_IbLb1EEEEDaSP_SQ_EUlSP_E0_NS1_11comp_targetILNS1_3genE3ELNS1_11target_archE908ELNS1_3gpuE7ELNS1_3repE0EEENS1_30default_config_static_selectorELNS0_4arch9wavefront6targetE1EEEvT1_: ; @_ZN7rocprim17ROCPRIM_400000_NS6detail17trampoline_kernelINS0_14default_configENS1_20scan_config_selectorIsEEZZNS1_9scan_implILNS1_25lookback_scan_determinismE0ELb0ELb0ES3_N6thrust23THRUST_200600_302600_NS6detail15normal_iteratorINS9_10device_ptrIsEEEESE_sNS9_4plusIvEEsEEDaPvRmT3_T4_T5_mT6_P12ihipStream_tbENKUlT_T0_E_clISt17integral_constantIbLb0EEST_IbLb1EEEEDaSP_SQ_EUlSP_E0_NS1_11comp_targetILNS1_3genE3ELNS1_11target_archE908ELNS1_3gpuE7ELNS1_3repE0EEENS1_30default_config_static_selectorELNS0_4arch9wavefront6targetE1EEEvT1_
; %bb.0:
	.section	.rodata,"a",@progbits
	.p2align	6, 0x0
	.amdhsa_kernel _ZN7rocprim17ROCPRIM_400000_NS6detail17trampoline_kernelINS0_14default_configENS1_20scan_config_selectorIsEEZZNS1_9scan_implILNS1_25lookback_scan_determinismE0ELb0ELb0ES3_N6thrust23THRUST_200600_302600_NS6detail15normal_iteratorINS9_10device_ptrIsEEEESE_sNS9_4plusIvEEsEEDaPvRmT3_T4_T5_mT6_P12ihipStream_tbENKUlT_T0_E_clISt17integral_constantIbLb0EEST_IbLb1EEEEDaSP_SQ_EUlSP_E0_NS1_11comp_targetILNS1_3genE3ELNS1_11target_archE908ELNS1_3gpuE7ELNS1_3repE0EEENS1_30default_config_static_selectorELNS0_4arch9wavefront6targetE1EEEvT1_
		.amdhsa_group_segment_fixed_size 0
		.amdhsa_private_segment_fixed_size 0
		.amdhsa_kernarg_size 32
		.amdhsa_user_sgpr_count 6
		.amdhsa_user_sgpr_private_segment_buffer 1
		.amdhsa_user_sgpr_dispatch_ptr 0
		.amdhsa_user_sgpr_queue_ptr 0
		.amdhsa_user_sgpr_kernarg_segment_ptr 1
		.amdhsa_user_sgpr_dispatch_id 0
		.amdhsa_user_sgpr_flat_scratch_init 0
		.amdhsa_user_sgpr_kernarg_preload_length 0
		.amdhsa_user_sgpr_kernarg_preload_offset 0
		.amdhsa_user_sgpr_private_segment_size 0
		.amdhsa_uses_dynamic_stack 0
		.amdhsa_system_sgpr_private_segment_wavefront_offset 0
		.amdhsa_system_sgpr_workgroup_id_x 1
		.amdhsa_system_sgpr_workgroup_id_y 0
		.amdhsa_system_sgpr_workgroup_id_z 0
		.amdhsa_system_sgpr_workgroup_info 0
		.amdhsa_system_vgpr_workitem_id 0
		.amdhsa_next_free_vgpr 1
		.amdhsa_next_free_sgpr 0
		.amdhsa_accum_offset 4
		.amdhsa_reserve_vcc 0
		.amdhsa_reserve_flat_scratch 0
		.amdhsa_float_round_mode_32 0
		.amdhsa_float_round_mode_16_64 0
		.amdhsa_float_denorm_mode_32 3
		.amdhsa_float_denorm_mode_16_64 3
		.amdhsa_dx10_clamp 1
		.amdhsa_ieee_mode 1
		.amdhsa_fp16_overflow 0
		.amdhsa_tg_split 0
		.amdhsa_exception_fp_ieee_invalid_op 0
		.amdhsa_exception_fp_denorm_src 0
		.amdhsa_exception_fp_ieee_div_zero 0
		.amdhsa_exception_fp_ieee_overflow 0
		.amdhsa_exception_fp_ieee_underflow 0
		.amdhsa_exception_fp_ieee_inexact 0
		.amdhsa_exception_int_div_zero 0
	.end_amdhsa_kernel
	.section	.text._ZN7rocprim17ROCPRIM_400000_NS6detail17trampoline_kernelINS0_14default_configENS1_20scan_config_selectorIsEEZZNS1_9scan_implILNS1_25lookback_scan_determinismE0ELb0ELb0ES3_N6thrust23THRUST_200600_302600_NS6detail15normal_iteratorINS9_10device_ptrIsEEEESE_sNS9_4plusIvEEsEEDaPvRmT3_T4_T5_mT6_P12ihipStream_tbENKUlT_T0_E_clISt17integral_constantIbLb0EEST_IbLb1EEEEDaSP_SQ_EUlSP_E0_NS1_11comp_targetILNS1_3genE3ELNS1_11target_archE908ELNS1_3gpuE7ELNS1_3repE0EEENS1_30default_config_static_selectorELNS0_4arch9wavefront6targetE1EEEvT1_,"axG",@progbits,_ZN7rocprim17ROCPRIM_400000_NS6detail17trampoline_kernelINS0_14default_configENS1_20scan_config_selectorIsEEZZNS1_9scan_implILNS1_25lookback_scan_determinismE0ELb0ELb0ES3_N6thrust23THRUST_200600_302600_NS6detail15normal_iteratorINS9_10device_ptrIsEEEESE_sNS9_4plusIvEEsEEDaPvRmT3_T4_T5_mT6_P12ihipStream_tbENKUlT_T0_E_clISt17integral_constantIbLb0EEST_IbLb1EEEEDaSP_SQ_EUlSP_E0_NS1_11comp_targetILNS1_3genE3ELNS1_11target_archE908ELNS1_3gpuE7ELNS1_3repE0EEENS1_30default_config_static_selectorELNS0_4arch9wavefront6targetE1EEEvT1_,comdat
.Lfunc_end955:
	.size	_ZN7rocprim17ROCPRIM_400000_NS6detail17trampoline_kernelINS0_14default_configENS1_20scan_config_selectorIsEEZZNS1_9scan_implILNS1_25lookback_scan_determinismE0ELb0ELb0ES3_N6thrust23THRUST_200600_302600_NS6detail15normal_iteratorINS9_10device_ptrIsEEEESE_sNS9_4plusIvEEsEEDaPvRmT3_T4_T5_mT6_P12ihipStream_tbENKUlT_T0_E_clISt17integral_constantIbLb0EEST_IbLb1EEEEDaSP_SQ_EUlSP_E0_NS1_11comp_targetILNS1_3genE3ELNS1_11target_archE908ELNS1_3gpuE7ELNS1_3repE0EEENS1_30default_config_static_selectorELNS0_4arch9wavefront6targetE1EEEvT1_, .Lfunc_end955-_ZN7rocprim17ROCPRIM_400000_NS6detail17trampoline_kernelINS0_14default_configENS1_20scan_config_selectorIsEEZZNS1_9scan_implILNS1_25lookback_scan_determinismE0ELb0ELb0ES3_N6thrust23THRUST_200600_302600_NS6detail15normal_iteratorINS9_10device_ptrIsEEEESE_sNS9_4plusIvEEsEEDaPvRmT3_T4_T5_mT6_P12ihipStream_tbENKUlT_T0_E_clISt17integral_constantIbLb0EEST_IbLb1EEEEDaSP_SQ_EUlSP_E0_NS1_11comp_targetILNS1_3genE3ELNS1_11target_archE908ELNS1_3gpuE7ELNS1_3repE0EEENS1_30default_config_static_selectorELNS0_4arch9wavefront6targetE1EEEvT1_
                                        ; -- End function
	.section	.AMDGPU.csdata,"",@progbits
; Kernel info:
; codeLenInByte = 0
; NumSgprs: 4
; NumVgprs: 0
; NumAgprs: 0
; TotalNumVgprs: 0
; ScratchSize: 0
; MemoryBound: 0
; FloatMode: 240
; IeeeMode: 1
; LDSByteSize: 0 bytes/workgroup (compile time only)
; SGPRBlocks: 0
; VGPRBlocks: 0
; NumSGPRsForWavesPerEU: 4
; NumVGPRsForWavesPerEU: 1
; AccumOffset: 4
; Occupancy: 8
; WaveLimiterHint : 0
; COMPUTE_PGM_RSRC2:SCRATCH_EN: 0
; COMPUTE_PGM_RSRC2:USER_SGPR: 6
; COMPUTE_PGM_RSRC2:TRAP_HANDLER: 0
; COMPUTE_PGM_RSRC2:TGID_X_EN: 1
; COMPUTE_PGM_RSRC2:TGID_Y_EN: 0
; COMPUTE_PGM_RSRC2:TGID_Z_EN: 0
; COMPUTE_PGM_RSRC2:TIDIG_COMP_CNT: 0
; COMPUTE_PGM_RSRC3_GFX90A:ACCUM_OFFSET: 0
; COMPUTE_PGM_RSRC3_GFX90A:TG_SPLIT: 0
	.section	.text._ZN7rocprim17ROCPRIM_400000_NS6detail17trampoline_kernelINS0_14default_configENS1_20scan_config_selectorIsEEZZNS1_9scan_implILNS1_25lookback_scan_determinismE0ELb0ELb0ES3_N6thrust23THRUST_200600_302600_NS6detail15normal_iteratorINS9_10device_ptrIsEEEESE_sNS9_4plusIvEEsEEDaPvRmT3_T4_T5_mT6_P12ihipStream_tbENKUlT_T0_E_clISt17integral_constantIbLb0EEST_IbLb1EEEEDaSP_SQ_EUlSP_E0_NS1_11comp_targetILNS1_3genE2ELNS1_11target_archE906ELNS1_3gpuE6ELNS1_3repE0EEENS1_30default_config_static_selectorELNS0_4arch9wavefront6targetE1EEEvT1_,"axG",@progbits,_ZN7rocprim17ROCPRIM_400000_NS6detail17trampoline_kernelINS0_14default_configENS1_20scan_config_selectorIsEEZZNS1_9scan_implILNS1_25lookback_scan_determinismE0ELb0ELb0ES3_N6thrust23THRUST_200600_302600_NS6detail15normal_iteratorINS9_10device_ptrIsEEEESE_sNS9_4plusIvEEsEEDaPvRmT3_T4_T5_mT6_P12ihipStream_tbENKUlT_T0_E_clISt17integral_constantIbLb0EEST_IbLb1EEEEDaSP_SQ_EUlSP_E0_NS1_11comp_targetILNS1_3genE2ELNS1_11target_archE906ELNS1_3gpuE6ELNS1_3repE0EEENS1_30default_config_static_selectorELNS0_4arch9wavefront6targetE1EEEvT1_,comdat
	.protected	_ZN7rocprim17ROCPRIM_400000_NS6detail17trampoline_kernelINS0_14default_configENS1_20scan_config_selectorIsEEZZNS1_9scan_implILNS1_25lookback_scan_determinismE0ELb0ELb0ES3_N6thrust23THRUST_200600_302600_NS6detail15normal_iteratorINS9_10device_ptrIsEEEESE_sNS9_4plusIvEEsEEDaPvRmT3_T4_T5_mT6_P12ihipStream_tbENKUlT_T0_E_clISt17integral_constantIbLb0EEST_IbLb1EEEEDaSP_SQ_EUlSP_E0_NS1_11comp_targetILNS1_3genE2ELNS1_11target_archE906ELNS1_3gpuE6ELNS1_3repE0EEENS1_30default_config_static_selectorELNS0_4arch9wavefront6targetE1EEEvT1_ ; -- Begin function _ZN7rocprim17ROCPRIM_400000_NS6detail17trampoline_kernelINS0_14default_configENS1_20scan_config_selectorIsEEZZNS1_9scan_implILNS1_25lookback_scan_determinismE0ELb0ELb0ES3_N6thrust23THRUST_200600_302600_NS6detail15normal_iteratorINS9_10device_ptrIsEEEESE_sNS9_4plusIvEEsEEDaPvRmT3_T4_T5_mT6_P12ihipStream_tbENKUlT_T0_E_clISt17integral_constantIbLb0EEST_IbLb1EEEEDaSP_SQ_EUlSP_E0_NS1_11comp_targetILNS1_3genE2ELNS1_11target_archE906ELNS1_3gpuE6ELNS1_3repE0EEENS1_30default_config_static_selectorELNS0_4arch9wavefront6targetE1EEEvT1_
	.globl	_ZN7rocprim17ROCPRIM_400000_NS6detail17trampoline_kernelINS0_14default_configENS1_20scan_config_selectorIsEEZZNS1_9scan_implILNS1_25lookback_scan_determinismE0ELb0ELb0ES3_N6thrust23THRUST_200600_302600_NS6detail15normal_iteratorINS9_10device_ptrIsEEEESE_sNS9_4plusIvEEsEEDaPvRmT3_T4_T5_mT6_P12ihipStream_tbENKUlT_T0_E_clISt17integral_constantIbLb0EEST_IbLb1EEEEDaSP_SQ_EUlSP_E0_NS1_11comp_targetILNS1_3genE2ELNS1_11target_archE906ELNS1_3gpuE6ELNS1_3repE0EEENS1_30default_config_static_selectorELNS0_4arch9wavefront6targetE1EEEvT1_
	.p2align	8
	.type	_ZN7rocprim17ROCPRIM_400000_NS6detail17trampoline_kernelINS0_14default_configENS1_20scan_config_selectorIsEEZZNS1_9scan_implILNS1_25lookback_scan_determinismE0ELb0ELb0ES3_N6thrust23THRUST_200600_302600_NS6detail15normal_iteratorINS9_10device_ptrIsEEEESE_sNS9_4plusIvEEsEEDaPvRmT3_T4_T5_mT6_P12ihipStream_tbENKUlT_T0_E_clISt17integral_constantIbLb0EEST_IbLb1EEEEDaSP_SQ_EUlSP_E0_NS1_11comp_targetILNS1_3genE2ELNS1_11target_archE906ELNS1_3gpuE6ELNS1_3repE0EEENS1_30default_config_static_selectorELNS0_4arch9wavefront6targetE1EEEvT1_,@function
_ZN7rocprim17ROCPRIM_400000_NS6detail17trampoline_kernelINS0_14default_configENS1_20scan_config_selectorIsEEZZNS1_9scan_implILNS1_25lookback_scan_determinismE0ELb0ELb0ES3_N6thrust23THRUST_200600_302600_NS6detail15normal_iteratorINS9_10device_ptrIsEEEESE_sNS9_4plusIvEEsEEDaPvRmT3_T4_T5_mT6_P12ihipStream_tbENKUlT_T0_E_clISt17integral_constantIbLb0EEST_IbLb1EEEEDaSP_SQ_EUlSP_E0_NS1_11comp_targetILNS1_3genE2ELNS1_11target_archE906ELNS1_3gpuE6ELNS1_3repE0EEENS1_30default_config_static_selectorELNS0_4arch9wavefront6targetE1EEEvT1_: ; @_ZN7rocprim17ROCPRIM_400000_NS6detail17trampoline_kernelINS0_14default_configENS1_20scan_config_selectorIsEEZZNS1_9scan_implILNS1_25lookback_scan_determinismE0ELb0ELb0ES3_N6thrust23THRUST_200600_302600_NS6detail15normal_iteratorINS9_10device_ptrIsEEEESE_sNS9_4plusIvEEsEEDaPvRmT3_T4_T5_mT6_P12ihipStream_tbENKUlT_T0_E_clISt17integral_constantIbLb0EEST_IbLb1EEEEDaSP_SQ_EUlSP_E0_NS1_11comp_targetILNS1_3genE2ELNS1_11target_archE906ELNS1_3gpuE6ELNS1_3repE0EEENS1_30default_config_static_selectorELNS0_4arch9wavefront6targetE1EEEvT1_
; %bb.0:
	.section	.rodata,"a",@progbits
	.p2align	6, 0x0
	.amdhsa_kernel _ZN7rocprim17ROCPRIM_400000_NS6detail17trampoline_kernelINS0_14default_configENS1_20scan_config_selectorIsEEZZNS1_9scan_implILNS1_25lookback_scan_determinismE0ELb0ELb0ES3_N6thrust23THRUST_200600_302600_NS6detail15normal_iteratorINS9_10device_ptrIsEEEESE_sNS9_4plusIvEEsEEDaPvRmT3_T4_T5_mT6_P12ihipStream_tbENKUlT_T0_E_clISt17integral_constantIbLb0EEST_IbLb1EEEEDaSP_SQ_EUlSP_E0_NS1_11comp_targetILNS1_3genE2ELNS1_11target_archE906ELNS1_3gpuE6ELNS1_3repE0EEENS1_30default_config_static_selectorELNS0_4arch9wavefront6targetE1EEEvT1_
		.amdhsa_group_segment_fixed_size 0
		.amdhsa_private_segment_fixed_size 0
		.amdhsa_kernarg_size 32
		.amdhsa_user_sgpr_count 6
		.amdhsa_user_sgpr_private_segment_buffer 1
		.amdhsa_user_sgpr_dispatch_ptr 0
		.amdhsa_user_sgpr_queue_ptr 0
		.amdhsa_user_sgpr_kernarg_segment_ptr 1
		.amdhsa_user_sgpr_dispatch_id 0
		.amdhsa_user_sgpr_flat_scratch_init 0
		.amdhsa_user_sgpr_kernarg_preload_length 0
		.amdhsa_user_sgpr_kernarg_preload_offset 0
		.amdhsa_user_sgpr_private_segment_size 0
		.amdhsa_uses_dynamic_stack 0
		.amdhsa_system_sgpr_private_segment_wavefront_offset 0
		.amdhsa_system_sgpr_workgroup_id_x 1
		.amdhsa_system_sgpr_workgroup_id_y 0
		.amdhsa_system_sgpr_workgroup_id_z 0
		.amdhsa_system_sgpr_workgroup_info 0
		.amdhsa_system_vgpr_workitem_id 0
		.amdhsa_next_free_vgpr 1
		.amdhsa_next_free_sgpr 0
		.amdhsa_accum_offset 4
		.amdhsa_reserve_vcc 0
		.amdhsa_reserve_flat_scratch 0
		.amdhsa_float_round_mode_32 0
		.amdhsa_float_round_mode_16_64 0
		.amdhsa_float_denorm_mode_32 3
		.amdhsa_float_denorm_mode_16_64 3
		.amdhsa_dx10_clamp 1
		.amdhsa_ieee_mode 1
		.amdhsa_fp16_overflow 0
		.amdhsa_tg_split 0
		.amdhsa_exception_fp_ieee_invalid_op 0
		.amdhsa_exception_fp_denorm_src 0
		.amdhsa_exception_fp_ieee_div_zero 0
		.amdhsa_exception_fp_ieee_overflow 0
		.amdhsa_exception_fp_ieee_underflow 0
		.amdhsa_exception_fp_ieee_inexact 0
		.amdhsa_exception_int_div_zero 0
	.end_amdhsa_kernel
	.section	.text._ZN7rocprim17ROCPRIM_400000_NS6detail17trampoline_kernelINS0_14default_configENS1_20scan_config_selectorIsEEZZNS1_9scan_implILNS1_25lookback_scan_determinismE0ELb0ELb0ES3_N6thrust23THRUST_200600_302600_NS6detail15normal_iteratorINS9_10device_ptrIsEEEESE_sNS9_4plusIvEEsEEDaPvRmT3_T4_T5_mT6_P12ihipStream_tbENKUlT_T0_E_clISt17integral_constantIbLb0EEST_IbLb1EEEEDaSP_SQ_EUlSP_E0_NS1_11comp_targetILNS1_3genE2ELNS1_11target_archE906ELNS1_3gpuE6ELNS1_3repE0EEENS1_30default_config_static_selectorELNS0_4arch9wavefront6targetE1EEEvT1_,"axG",@progbits,_ZN7rocprim17ROCPRIM_400000_NS6detail17trampoline_kernelINS0_14default_configENS1_20scan_config_selectorIsEEZZNS1_9scan_implILNS1_25lookback_scan_determinismE0ELb0ELb0ES3_N6thrust23THRUST_200600_302600_NS6detail15normal_iteratorINS9_10device_ptrIsEEEESE_sNS9_4plusIvEEsEEDaPvRmT3_T4_T5_mT6_P12ihipStream_tbENKUlT_T0_E_clISt17integral_constantIbLb0EEST_IbLb1EEEEDaSP_SQ_EUlSP_E0_NS1_11comp_targetILNS1_3genE2ELNS1_11target_archE906ELNS1_3gpuE6ELNS1_3repE0EEENS1_30default_config_static_selectorELNS0_4arch9wavefront6targetE1EEEvT1_,comdat
.Lfunc_end956:
	.size	_ZN7rocprim17ROCPRIM_400000_NS6detail17trampoline_kernelINS0_14default_configENS1_20scan_config_selectorIsEEZZNS1_9scan_implILNS1_25lookback_scan_determinismE0ELb0ELb0ES3_N6thrust23THRUST_200600_302600_NS6detail15normal_iteratorINS9_10device_ptrIsEEEESE_sNS9_4plusIvEEsEEDaPvRmT3_T4_T5_mT6_P12ihipStream_tbENKUlT_T0_E_clISt17integral_constantIbLb0EEST_IbLb1EEEEDaSP_SQ_EUlSP_E0_NS1_11comp_targetILNS1_3genE2ELNS1_11target_archE906ELNS1_3gpuE6ELNS1_3repE0EEENS1_30default_config_static_selectorELNS0_4arch9wavefront6targetE1EEEvT1_, .Lfunc_end956-_ZN7rocprim17ROCPRIM_400000_NS6detail17trampoline_kernelINS0_14default_configENS1_20scan_config_selectorIsEEZZNS1_9scan_implILNS1_25lookback_scan_determinismE0ELb0ELb0ES3_N6thrust23THRUST_200600_302600_NS6detail15normal_iteratorINS9_10device_ptrIsEEEESE_sNS9_4plusIvEEsEEDaPvRmT3_T4_T5_mT6_P12ihipStream_tbENKUlT_T0_E_clISt17integral_constantIbLb0EEST_IbLb1EEEEDaSP_SQ_EUlSP_E0_NS1_11comp_targetILNS1_3genE2ELNS1_11target_archE906ELNS1_3gpuE6ELNS1_3repE0EEENS1_30default_config_static_selectorELNS0_4arch9wavefront6targetE1EEEvT1_
                                        ; -- End function
	.section	.AMDGPU.csdata,"",@progbits
; Kernel info:
; codeLenInByte = 0
; NumSgprs: 4
; NumVgprs: 0
; NumAgprs: 0
; TotalNumVgprs: 0
; ScratchSize: 0
; MemoryBound: 0
; FloatMode: 240
; IeeeMode: 1
; LDSByteSize: 0 bytes/workgroup (compile time only)
; SGPRBlocks: 0
; VGPRBlocks: 0
; NumSGPRsForWavesPerEU: 4
; NumVGPRsForWavesPerEU: 1
; AccumOffset: 4
; Occupancy: 8
; WaveLimiterHint : 0
; COMPUTE_PGM_RSRC2:SCRATCH_EN: 0
; COMPUTE_PGM_RSRC2:USER_SGPR: 6
; COMPUTE_PGM_RSRC2:TRAP_HANDLER: 0
; COMPUTE_PGM_RSRC2:TGID_X_EN: 1
; COMPUTE_PGM_RSRC2:TGID_Y_EN: 0
; COMPUTE_PGM_RSRC2:TGID_Z_EN: 0
; COMPUTE_PGM_RSRC2:TIDIG_COMP_CNT: 0
; COMPUTE_PGM_RSRC3_GFX90A:ACCUM_OFFSET: 0
; COMPUTE_PGM_RSRC3_GFX90A:TG_SPLIT: 0
	.section	.text._ZN7rocprim17ROCPRIM_400000_NS6detail17trampoline_kernelINS0_14default_configENS1_20scan_config_selectorIsEEZZNS1_9scan_implILNS1_25lookback_scan_determinismE0ELb0ELb0ES3_N6thrust23THRUST_200600_302600_NS6detail15normal_iteratorINS9_10device_ptrIsEEEESE_sNS9_4plusIvEEsEEDaPvRmT3_T4_T5_mT6_P12ihipStream_tbENKUlT_T0_E_clISt17integral_constantIbLb0EEST_IbLb1EEEEDaSP_SQ_EUlSP_E0_NS1_11comp_targetILNS1_3genE10ELNS1_11target_archE1201ELNS1_3gpuE5ELNS1_3repE0EEENS1_30default_config_static_selectorELNS0_4arch9wavefront6targetE1EEEvT1_,"axG",@progbits,_ZN7rocprim17ROCPRIM_400000_NS6detail17trampoline_kernelINS0_14default_configENS1_20scan_config_selectorIsEEZZNS1_9scan_implILNS1_25lookback_scan_determinismE0ELb0ELb0ES3_N6thrust23THRUST_200600_302600_NS6detail15normal_iteratorINS9_10device_ptrIsEEEESE_sNS9_4plusIvEEsEEDaPvRmT3_T4_T5_mT6_P12ihipStream_tbENKUlT_T0_E_clISt17integral_constantIbLb0EEST_IbLb1EEEEDaSP_SQ_EUlSP_E0_NS1_11comp_targetILNS1_3genE10ELNS1_11target_archE1201ELNS1_3gpuE5ELNS1_3repE0EEENS1_30default_config_static_selectorELNS0_4arch9wavefront6targetE1EEEvT1_,comdat
	.protected	_ZN7rocprim17ROCPRIM_400000_NS6detail17trampoline_kernelINS0_14default_configENS1_20scan_config_selectorIsEEZZNS1_9scan_implILNS1_25lookback_scan_determinismE0ELb0ELb0ES3_N6thrust23THRUST_200600_302600_NS6detail15normal_iteratorINS9_10device_ptrIsEEEESE_sNS9_4plusIvEEsEEDaPvRmT3_T4_T5_mT6_P12ihipStream_tbENKUlT_T0_E_clISt17integral_constantIbLb0EEST_IbLb1EEEEDaSP_SQ_EUlSP_E0_NS1_11comp_targetILNS1_3genE10ELNS1_11target_archE1201ELNS1_3gpuE5ELNS1_3repE0EEENS1_30default_config_static_selectorELNS0_4arch9wavefront6targetE1EEEvT1_ ; -- Begin function _ZN7rocprim17ROCPRIM_400000_NS6detail17trampoline_kernelINS0_14default_configENS1_20scan_config_selectorIsEEZZNS1_9scan_implILNS1_25lookback_scan_determinismE0ELb0ELb0ES3_N6thrust23THRUST_200600_302600_NS6detail15normal_iteratorINS9_10device_ptrIsEEEESE_sNS9_4plusIvEEsEEDaPvRmT3_T4_T5_mT6_P12ihipStream_tbENKUlT_T0_E_clISt17integral_constantIbLb0EEST_IbLb1EEEEDaSP_SQ_EUlSP_E0_NS1_11comp_targetILNS1_3genE10ELNS1_11target_archE1201ELNS1_3gpuE5ELNS1_3repE0EEENS1_30default_config_static_selectorELNS0_4arch9wavefront6targetE1EEEvT1_
	.globl	_ZN7rocprim17ROCPRIM_400000_NS6detail17trampoline_kernelINS0_14default_configENS1_20scan_config_selectorIsEEZZNS1_9scan_implILNS1_25lookback_scan_determinismE0ELb0ELb0ES3_N6thrust23THRUST_200600_302600_NS6detail15normal_iteratorINS9_10device_ptrIsEEEESE_sNS9_4plusIvEEsEEDaPvRmT3_T4_T5_mT6_P12ihipStream_tbENKUlT_T0_E_clISt17integral_constantIbLb0EEST_IbLb1EEEEDaSP_SQ_EUlSP_E0_NS1_11comp_targetILNS1_3genE10ELNS1_11target_archE1201ELNS1_3gpuE5ELNS1_3repE0EEENS1_30default_config_static_selectorELNS0_4arch9wavefront6targetE1EEEvT1_
	.p2align	8
	.type	_ZN7rocprim17ROCPRIM_400000_NS6detail17trampoline_kernelINS0_14default_configENS1_20scan_config_selectorIsEEZZNS1_9scan_implILNS1_25lookback_scan_determinismE0ELb0ELb0ES3_N6thrust23THRUST_200600_302600_NS6detail15normal_iteratorINS9_10device_ptrIsEEEESE_sNS9_4plusIvEEsEEDaPvRmT3_T4_T5_mT6_P12ihipStream_tbENKUlT_T0_E_clISt17integral_constantIbLb0EEST_IbLb1EEEEDaSP_SQ_EUlSP_E0_NS1_11comp_targetILNS1_3genE10ELNS1_11target_archE1201ELNS1_3gpuE5ELNS1_3repE0EEENS1_30default_config_static_selectorELNS0_4arch9wavefront6targetE1EEEvT1_,@function
_ZN7rocprim17ROCPRIM_400000_NS6detail17trampoline_kernelINS0_14default_configENS1_20scan_config_selectorIsEEZZNS1_9scan_implILNS1_25lookback_scan_determinismE0ELb0ELb0ES3_N6thrust23THRUST_200600_302600_NS6detail15normal_iteratorINS9_10device_ptrIsEEEESE_sNS9_4plusIvEEsEEDaPvRmT3_T4_T5_mT6_P12ihipStream_tbENKUlT_T0_E_clISt17integral_constantIbLb0EEST_IbLb1EEEEDaSP_SQ_EUlSP_E0_NS1_11comp_targetILNS1_3genE10ELNS1_11target_archE1201ELNS1_3gpuE5ELNS1_3repE0EEENS1_30default_config_static_selectorELNS0_4arch9wavefront6targetE1EEEvT1_: ; @_ZN7rocprim17ROCPRIM_400000_NS6detail17trampoline_kernelINS0_14default_configENS1_20scan_config_selectorIsEEZZNS1_9scan_implILNS1_25lookback_scan_determinismE0ELb0ELb0ES3_N6thrust23THRUST_200600_302600_NS6detail15normal_iteratorINS9_10device_ptrIsEEEESE_sNS9_4plusIvEEsEEDaPvRmT3_T4_T5_mT6_P12ihipStream_tbENKUlT_T0_E_clISt17integral_constantIbLb0EEST_IbLb1EEEEDaSP_SQ_EUlSP_E0_NS1_11comp_targetILNS1_3genE10ELNS1_11target_archE1201ELNS1_3gpuE5ELNS1_3repE0EEENS1_30default_config_static_selectorELNS0_4arch9wavefront6targetE1EEEvT1_
; %bb.0:
	.section	.rodata,"a",@progbits
	.p2align	6, 0x0
	.amdhsa_kernel _ZN7rocprim17ROCPRIM_400000_NS6detail17trampoline_kernelINS0_14default_configENS1_20scan_config_selectorIsEEZZNS1_9scan_implILNS1_25lookback_scan_determinismE0ELb0ELb0ES3_N6thrust23THRUST_200600_302600_NS6detail15normal_iteratorINS9_10device_ptrIsEEEESE_sNS9_4plusIvEEsEEDaPvRmT3_T4_T5_mT6_P12ihipStream_tbENKUlT_T0_E_clISt17integral_constantIbLb0EEST_IbLb1EEEEDaSP_SQ_EUlSP_E0_NS1_11comp_targetILNS1_3genE10ELNS1_11target_archE1201ELNS1_3gpuE5ELNS1_3repE0EEENS1_30default_config_static_selectorELNS0_4arch9wavefront6targetE1EEEvT1_
		.amdhsa_group_segment_fixed_size 0
		.amdhsa_private_segment_fixed_size 0
		.amdhsa_kernarg_size 32
		.amdhsa_user_sgpr_count 6
		.amdhsa_user_sgpr_private_segment_buffer 1
		.amdhsa_user_sgpr_dispatch_ptr 0
		.amdhsa_user_sgpr_queue_ptr 0
		.amdhsa_user_sgpr_kernarg_segment_ptr 1
		.amdhsa_user_sgpr_dispatch_id 0
		.amdhsa_user_sgpr_flat_scratch_init 0
		.amdhsa_user_sgpr_kernarg_preload_length 0
		.amdhsa_user_sgpr_kernarg_preload_offset 0
		.amdhsa_user_sgpr_private_segment_size 0
		.amdhsa_uses_dynamic_stack 0
		.amdhsa_system_sgpr_private_segment_wavefront_offset 0
		.amdhsa_system_sgpr_workgroup_id_x 1
		.amdhsa_system_sgpr_workgroup_id_y 0
		.amdhsa_system_sgpr_workgroup_id_z 0
		.amdhsa_system_sgpr_workgroup_info 0
		.amdhsa_system_vgpr_workitem_id 0
		.amdhsa_next_free_vgpr 1
		.amdhsa_next_free_sgpr 0
		.amdhsa_accum_offset 4
		.amdhsa_reserve_vcc 0
		.amdhsa_reserve_flat_scratch 0
		.amdhsa_float_round_mode_32 0
		.amdhsa_float_round_mode_16_64 0
		.amdhsa_float_denorm_mode_32 3
		.amdhsa_float_denorm_mode_16_64 3
		.amdhsa_dx10_clamp 1
		.amdhsa_ieee_mode 1
		.amdhsa_fp16_overflow 0
		.amdhsa_tg_split 0
		.amdhsa_exception_fp_ieee_invalid_op 0
		.amdhsa_exception_fp_denorm_src 0
		.amdhsa_exception_fp_ieee_div_zero 0
		.amdhsa_exception_fp_ieee_overflow 0
		.amdhsa_exception_fp_ieee_underflow 0
		.amdhsa_exception_fp_ieee_inexact 0
		.amdhsa_exception_int_div_zero 0
	.end_amdhsa_kernel
	.section	.text._ZN7rocprim17ROCPRIM_400000_NS6detail17trampoline_kernelINS0_14default_configENS1_20scan_config_selectorIsEEZZNS1_9scan_implILNS1_25lookback_scan_determinismE0ELb0ELb0ES3_N6thrust23THRUST_200600_302600_NS6detail15normal_iteratorINS9_10device_ptrIsEEEESE_sNS9_4plusIvEEsEEDaPvRmT3_T4_T5_mT6_P12ihipStream_tbENKUlT_T0_E_clISt17integral_constantIbLb0EEST_IbLb1EEEEDaSP_SQ_EUlSP_E0_NS1_11comp_targetILNS1_3genE10ELNS1_11target_archE1201ELNS1_3gpuE5ELNS1_3repE0EEENS1_30default_config_static_selectorELNS0_4arch9wavefront6targetE1EEEvT1_,"axG",@progbits,_ZN7rocprim17ROCPRIM_400000_NS6detail17trampoline_kernelINS0_14default_configENS1_20scan_config_selectorIsEEZZNS1_9scan_implILNS1_25lookback_scan_determinismE0ELb0ELb0ES3_N6thrust23THRUST_200600_302600_NS6detail15normal_iteratorINS9_10device_ptrIsEEEESE_sNS9_4plusIvEEsEEDaPvRmT3_T4_T5_mT6_P12ihipStream_tbENKUlT_T0_E_clISt17integral_constantIbLb0EEST_IbLb1EEEEDaSP_SQ_EUlSP_E0_NS1_11comp_targetILNS1_3genE10ELNS1_11target_archE1201ELNS1_3gpuE5ELNS1_3repE0EEENS1_30default_config_static_selectorELNS0_4arch9wavefront6targetE1EEEvT1_,comdat
.Lfunc_end957:
	.size	_ZN7rocprim17ROCPRIM_400000_NS6detail17trampoline_kernelINS0_14default_configENS1_20scan_config_selectorIsEEZZNS1_9scan_implILNS1_25lookback_scan_determinismE0ELb0ELb0ES3_N6thrust23THRUST_200600_302600_NS6detail15normal_iteratorINS9_10device_ptrIsEEEESE_sNS9_4plusIvEEsEEDaPvRmT3_T4_T5_mT6_P12ihipStream_tbENKUlT_T0_E_clISt17integral_constantIbLb0EEST_IbLb1EEEEDaSP_SQ_EUlSP_E0_NS1_11comp_targetILNS1_3genE10ELNS1_11target_archE1201ELNS1_3gpuE5ELNS1_3repE0EEENS1_30default_config_static_selectorELNS0_4arch9wavefront6targetE1EEEvT1_, .Lfunc_end957-_ZN7rocprim17ROCPRIM_400000_NS6detail17trampoline_kernelINS0_14default_configENS1_20scan_config_selectorIsEEZZNS1_9scan_implILNS1_25lookback_scan_determinismE0ELb0ELb0ES3_N6thrust23THRUST_200600_302600_NS6detail15normal_iteratorINS9_10device_ptrIsEEEESE_sNS9_4plusIvEEsEEDaPvRmT3_T4_T5_mT6_P12ihipStream_tbENKUlT_T0_E_clISt17integral_constantIbLb0EEST_IbLb1EEEEDaSP_SQ_EUlSP_E0_NS1_11comp_targetILNS1_3genE10ELNS1_11target_archE1201ELNS1_3gpuE5ELNS1_3repE0EEENS1_30default_config_static_selectorELNS0_4arch9wavefront6targetE1EEEvT1_
                                        ; -- End function
	.section	.AMDGPU.csdata,"",@progbits
; Kernel info:
; codeLenInByte = 0
; NumSgprs: 4
; NumVgprs: 0
; NumAgprs: 0
; TotalNumVgprs: 0
; ScratchSize: 0
; MemoryBound: 0
; FloatMode: 240
; IeeeMode: 1
; LDSByteSize: 0 bytes/workgroup (compile time only)
; SGPRBlocks: 0
; VGPRBlocks: 0
; NumSGPRsForWavesPerEU: 4
; NumVGPRsForWavesPerEU: 1
; AccumOffset: 4
; Occupancy: 8
; WaveLimiterHint : 0
; COMPUTE_PGM_RSRC2:SCRATCH_EN: 0
; COMPUTE_PGM_RSRC2:USER_SGPR: 6
; COMPUTE_PGM_RSRC2:TRAP_HANDLER: 0
; COMPUTE_PGM_RSRC2:TGID_X_EN: 1
; COMPUTE_PGM_RSRC2:TGID_Y_EN: 0
; COMPUTE_PGM_RSRC2:TGID_Z_EN: 0
; COMPUTE_PGM_RSRC2:TIDIG_COMP_CNT: 0
; COMPUTE_PGM_RSRC3_GFX90A:ACCUM_OFFSET: 0
; COMPUTE_PGM_RSRC3_GFX90A:TG_SPLIT: 0
	.section	.text._ZN7rocprim17ROCPRIM_400000_NS6detail17trampoline_kernelINS0_14default_configENS1_20scan_config_selectorIsEEZZNS1_9scan_implILNS1_25lookback_scan_determinismE0ELb0ELb0ES3_N6thrust23THRUST_200600_302600_NS6detail15normal_iteratorINS9_10device_ptrIsEEEESE_sNS9_4plusIvEEsEEDaPvRmT3_T4_T5_mT6_P12ihipStream_tbENKUlT_T0_E_clISt17integral_constantIbLb0EEST_IbLb1EEEEDaSP_SQ_EUlSP_E0_NS1_11comp_targetILNS1_3genE10ELNS1_11target_archE1200ELNS1_3gpuE4ELNS1_3repE0EEENS1_30default_config_static_selectorELNS0_4arch9wavefront6targetE1EEEvT1_,"axG",@progbits,_ZN7rocprim17ROCPRIM_400000_NS6detail17trampoline_kernelINS0_14default_configENS1_20scan_config_selectorIsEEZZNS1_9scan_implILNS1_25lookback_scan_determinismE0ELb0ELb0ES3_N6thrust23THRUST_200600_302600_NS6detail15normal_iteratorINS9_10device_ptrIsEEEESE_sNS9_4plusIvEEsEEDaPvRmT3_T4_T5_mT6_P12ihipStream_tbENKUlT_T0_E_clISt17integral_constantIbLb0EEST_IbLb1EEEEDaSP_SQ_EUlSP_E0_NS1_11comp_targetILNS1_3genE10ELNS1_11target_archE1200ELNS1_3gpuE4ELNS1_3repE0EEENS1_30default_config_static_selectorELNS0_4arch9wavefront6targetE1EEEvT1_,comdat
	.protected	_ZN7rocprim17ROCPRIM_400000_NS6detail17trampoline_kernelINS0_14default_configENS1_20scan_config_selectorIsEEZZNS1_9scan_implILNS1_25lookback_scan_determinismE0ELb0ELb0ES3_N6thrust23THRUST_200600_302600_NS6detail15normal_iteratorINS9_10device_ptrIsEEEESE_sNS9_4plusIvEEsEEDaPvRmT3_T4_T5_mT6_P12ihipStream_tbENKUlT_T0_E_clISt17integral_constantIbLb0EEST_IbLb1EEEEDaSP_SQ_EUlSP_E0_NS1_11comp_targetILNS1_3genE10ELNS1_11target_archE1200ELNS1_3gpuE4ELNS1_3repE0EEENS1_30default_config_static_selectorELNS0_4arch9wavefront6targetE1EEEvT1_ ; -- Begin function _ZN7rocprim17ROCPRIM_400000_NS6detail17trampoline_kernelINS0_14default_configENS1_20scan_config_selectorIsEEZZNS1_9scan_implILNS1_25lookback_scan_determinismE0ELb0ELb0ES3_N6thrust23THRUST_200600_302600_NS6detail15normal_iteratorINS9_10device_ptrIsEEEESE_sNS9_4plusIvEEsEEDaPvRmT3_T4_T5_mT6_P12ihipStream_tbENKUlT_T0_E_clISt17integral_constantIbLb0EEST_IbLb1EEEEDaSP_SQ_EUlSP_E0_NS1_11comp_targetILNS1_3genE10ELNS1_11target_archE1200ELNS1_3gpuE4ELNS1_3repE0EEENS1_30default_config_static_selectorELNS0_4arch9wavefront6targetE1EEEvT1_
	.globl	_ZN7rocprim17ROCPRIM_400000_NS6detail17trampoline_kernelINS0_14default_configENS1_20scan_config_selectorIsEEZZNS1_9scan_implILNS1_25lookback_scan_determinismE0ELb0ELb0ES3_N6thrust23THRUST_200600_302600_NS6detail15normal_iteratorINS9_10device_ptrIsEEEESE_sNS9_4plusIvEEsEEDaPvRmT3_T4_T5_mT6_P12ihipStream_tbENKUlT_T0_E_clISt17integral_constantIbLb0EEST_IbLb1EEEEDaSP_SQ_EUlSP_E0_NS1_11comp_targetILNS1_3genE10ELNS1_11target_archE1200ELNS1_3gpuE4ELNS1_3repE0EEENS1_30default_config_static_selectorELNS0_4arch9wavefront6targetE1EEEvT1_
	.p2align	8
	.type	_ZN7rocprim17ROCPRIM_400000_NS6detail17trampoline_kernelINS0_14default_configENS1_20scan_config_selectorIsEEZZNS1_9scan_implILNS1_25lookback_scan_determinismE0ELb0ELb0ES3_N6thrust23THRUST_200600_302600_NS6detail15normal_iteratorINS9_10device_ptrIsEEEESE_sNS9_4plusIvEEsEEDaPvRmT3_T4_T5_mT6_P12ihipStream_tbENKUlT_T0_E_clISt17integral_constantIbLb0EEST_IbLb1EEEEDaSP_SQ_EUlSP_E0_NS1_11comp_targetILNS1_3genE10ELNS1_11target_archE1200ELNS1_3gpuE4ELNS1_3repE0EEENS1_30default_config_static_selectorELNS0_4arch9wavefront6targetE1EEEvT1_,@function
_ZN7rocprim17ROCPRIM_400000_NS6detail17trampoline_kernelINS0_14default_configENS1_20scan_config_selectorIsEEZZNS1_9scan_implILNS1_25lookback_scan_determinismE0ELb0ELb0ES3_N6thrust23THRUST_200600_302600_NS6detail15normal_iteratorINS9_10device_ptrIsEEEESE_sNS9_4plusIvEEsEEDaPvRmT3_T4_T5_mT6_P12ihipStream_tbENKUlT_T0_E_clISt17integral_constantIbLb0EEST_IbLb1EEEEDaSP_SQ_EUlSP_E0_NS1_11comp_targetILNS1_3genE10ELNS1_11target_archE1200ELNS1_3gpuE4ELNS1_3repE0EEENS1_30default_config_static_selectorELNS0_4arch9wavefront6targetE1EEEvT1_: ; @_ZN7rocprim17ROCPRIM_400000_NS6detail17trampoline_kernelINS0_14default_configENS1_20scan_config_selectorIsEEZZNS1_9scan_implILNS1_25lookback_scan_determinismE0ELb0ELb0ES3_N6thrust23THRUST_200600_302600_NS6detail15normal_iteratorINS9_10device_ptrIsEEEESE_sNS9_4plusIvEEsEEDaPvRmT3_T4_T5_mT6_P12ihipStream_tbENKUlT_T0_E_clISt17integral_constantIbLb0EEST_IbLb1EEEEDaSP_SQ_EUlSP_E0_NS1_11comp_targetILNS1_3genE10ELNS1_11target_archE1200ELNS1_3gpuE4ELNS1_3repE0EEENS1_30default_config_static_selectorELNS0_4arch9wavefront6targetE1EEEvT1_
; %bb.0:
	.section	.rodata,"a",@progbits
	.p2align	6, 0x0
	.amdhsa_kernel _ZN7rocprim17ROCPRIM_400000_NS6detail17trampoline_kernelINS0_14default_configENS1_20scan_config_selectorIsEEZZNS1_9scan_implILNS1_25lookback_scan_determinismE0ELb0ELb0ES3_N6thrust23THRUST_200600_302600_NS6detail15normal_iteratorINS9_10device_ptrIsEEEESE_sNS9_4plusIvEEsEEDaPvRmT3_T4_T5_mT6_P12ihipStream_tbENKUlT_T0_E_clISt17integral_constantIbLb0EEST_IbLb1EEEEDaSP_SQ_EUlSP_E0_NS1_11comp_targetILNS1_3genE10ELNS1_11target_archE1200ELNS1_3gpuE4ELNS1_3repE0EEENS1_30default_config_static_selectorELNS0_4arch9wavefront6targetE1EEEvT1_
		.amdhsa_group_segment_fixed_size 0
		.amdhsa_private_segment_fixed_size 0
		.amdhsa_kernarg_size 32
		.amdhsa_user_sgpr_count 6
		.amdhsa_user_sgpr_private_segment_buffer 1
		.amdhsa_user_sgpr_dispatch_ptr 0
		.amdhsa_user_sgpr_queue_ptr 0
		.amdhsa_user_sgpr_kernarg_segment_ptr 1
		.amdhsa_user_sgpr_dispatch_id 0
		.amdhsa_user_sgpr_flat_scratch_init 0
		.amdhsa_user_sgpr_kernarg_preload_length 0
		.amdhsa_user_sgpr_kernarg_preload_offset 0
		.amdhsa_user_sgpr_private_segment_size 0
		.amdhsa_uses_dynamic_stack 0
		.amdhsa_system_sgpr_private_segment_wavefront_offset 0
		.amdhsa_system_sgpr_workgroup_id_x 1
		.amdhsa_system_sgpr_workgroup_id_y 0
		.amdhsa_system_sgpr_workgroup_id_z 0
		.amdhsa_system_sgpr_workgroup_info 0
		.amdhsa_system_vgpr_workitem_id 0
		.amdhsa_next_free_vgpr 1
		.amdhsa_next_free_sgpr 0
		.amdhsa_accum_offset 4
		.amdhsa_reserve_vcc 0
		.amdhsa_reserve_flat_scratch 0
		.amdhsa_float_round_mode_32 0
		.amdhsa_float_round_mode_16_64 0
		.amdhsa_float_denorm_mode_32 3
		.amdhsa_float_denorm_mode_16_64 3
		.amdhsa_dx10_clamp 1
		.amdhsa_ieee_mode 1
		.amdhsa_fp16_overflow 0
		.amdhsa_tg_split 0
		.amdhsa_exception_fp_ieee_invalid_op 0
		.amdhsa_exception_fp_denorm_src 0
		.amdhsa_exception_fp_ieee_div_zero 0
		.amdhsa_exception_fp_ieee_overflow 0
		.amdhsa_exception_fp_ieee_underflow 0
		.amdhsa_exception_fp_ieee_inexact 0
		.amdhsa_exception_int_div_zero 0
	.end_amdhsa_kernel
	.section	.text._ZN7rocprim17ROCPRIM_400000_NS6detail17trampoline_kernelINS0_14default_configENS1_20scan_config_selectorIsEEZZNS1_9scan_implILNS1_25lookback_scan_determinismE0ELb0ELb0ES3_N6thrust23THRUST_200600_302600_NS6detail15normal_iteratorINS9_10device_ptrIsEEEESE_sNS9_4plusIvEEsEEDaPvRmT3_T4_T5_mT6_P12ihipStream_tbENKUlT_T0_E_clISt17integral_constantIbLb0EEST_IbLb1EEEEDaSP_SQ_EUlSP_E0_NS1_11comp_targetILNS1_3genE10ELNS1_11target_archE1200ELNS1_3gpuE4ELNS1_3repE0EEENS1_30default_config_static_selectorELNS0_4arch9wavefront6targetE1EEEvT1_,"axG",@progbits,_ZN7rocprim17ROCPRIM_400000_NS6detail17trampoline_kernelINS0_14default_configENS1_20scan_config_selectorIsEEZZNS1_9scan_implILNS1_25lookback_scan_determinismE0ELb0ELb0ES3_N6thrust23THRUST_200600_302600_NS6detail15normal_iteratorINS9_10device_ptrIsEEEESE_sNS9_4plusIvEEsEEDaPvRmT3_T4_T5_mT6_P12ihipStream_tbENKUlT_T0_E_clISt17integral_constantIbLb0EEST_IbLb1EEEEDaSP_SQ_EUlSP_E0_NS1_11comp_targetILNS1_3genE10ELNS1_11target_archE1200ELNS1_3gpuE4ELNS1_3repE0EEENS1_30default_config_static_selectorELNS0_4arch9wavefront6targetE1EEEvT1_,comdat
.Lfunc_end958:
	.size	_ZN7rocprim17ROCPRIM_400000_NS6detail17trampoline_kernelINS0_14default_configENS1_20scan_config_selectorIsEEZZNS1_9scan_implILNS1_25lookback_scan_determinismE0ELb0ELb0ES3_N6thrust23THRUST_200600_302600_NS6detail15normal_iteratorINS9_10device_ptrIsEEEESE_sNS9_4plusIvEEsEEDaPvRmT3_T4_T5_mT6_P12ihipStream_tbENKUlT_T0_E_clISt17integral_constantIbLb0EEST_IbLb1EEEEDaSP_SQ_EUlSP_E0_NS1_11comp_targetILNS1_3genE10ELNS1_11target_archE1200ELNS1_3gpuE4ELNS1_3repE0EEENS1_30default_config_static_selectorELNS0_4arch9wavefront6targetE1EEEvT1_, .Lfunc_end958-_ZN7rocprim17ROCPRIM_400000_NS6detail17trampoline_kernelINS0_14default_configENS1_20scan_config_selectorIsEEZZNS1_9scan_implILNS1_25lookback_scan_determinismE0ELb0ELb0ES3_N6thrust23THRUST_200600_302600_NS6detail15normal_iteratorINS9_10device_ptrIsEEEESE_sNS9_4plusIvEEsEEDaPvRmT3_T4_T5_mT6_P12ihipStream_tbENKUlT_T0_E_clISt17integral_constantIbLb0EEST_IbLb1EEEEDaSP_SQ_EUlSP_E0_NS1_11comp_targetILNS1_3genE10ELNS1_11target_archE1200ELNS1_3gpuE4ELNS1_3repE0EEENS1_30default_config_static_selectorELNS0_4arch9wavefront6targetE1EEEvT1_
                                        ; -- End function
	.section	.AMDGPU.csdata,"",@progbits
; Kernel info:
; codeLenInByte = 0
; NumSgprs: 4
; NumVgprs: 0
; NumAgprs: 0
; TotalNumVgprs: 0
; ScratchSize: 0
; MemoryBound: 0
; FloatMode: 240
; IeeeMode: 1
; LDSByteSize: 0 bytes/workgroup (compile time only)
; SGPRBlocks: 0
; VGPRBlocks: 0
; NumSGPRsForWavesPerEU: 4
; NumVGPRsForWavesPerEU: 1
; AccumOffset: 4
; Occupancy: 8
; WaveLimiterHint : 0
; COMPUTE_PGM_RSRC2:SCRATCH_EN: 0
; COMPUTE_PGM_RSRC2:USER_SGPR: 6
; COMPUTE_PGM_RSRC2:TRAP_HANDLER: 0
; COMPUTE_PGM_RSRC2:TGID_X_EN: 1
; COMPUTE_PGM_RSRC2:TGID_Y_EN: 0
; COMPUTE_PGM_RSRC2:TGID_Z_EN: 0
; COMPUTE_PGM_RSRC2:TIDIG_COMP_CNT: 0
; COMPUTE_PGM_RSRC3_GFX90A:ACCUM_OFFSET: 0
; COMPUTE_PGM_RSRC3_GFX90A:TG_SPLIT: 0
	.section	.text._ZN7rocprim17ROCPRIM_400000_NS6detail17trampoline_kernelINS0_14default_configENS1_20scan_config_selectorIsEEZZNS1_9scan_implILNS1_25lookback_scan_determinismE0ELb0ELb0ES3_N6thrust23THRUST_200600_302600_NS6detail15normal_iteratorINS9_10device_ptrIsEEEESE_sNS9_4plusIvEEsEEDaPvRmT3_T4_T5_mT6_P12ihipStream_tbENKUlT_T0_E_clISt17integral_constantIbLb0EEST_IbLb1EEEEDaSP_SQ_EUlSP_E0_NS1_11comp_targetILNS1_3genE9ELNS1_11target_archE1100ELNS1_3gpuE3ELNS1_3repE0EEENS1_30default_config_static_selectorELNS0_4arch9wavefront6targetE1EEEvT1_,"axG",@progbits,_ZN7rocprim17ROCPRIM_400000_NS6detail17trampoline_kernelINS0_14default_configENS1_20scan_config_selectorIsEEZZNS1_9scan_implILNS1_25lookback_scan_determinismE0ELb0ELb0ES3_N6thrust23THRUST_200600_302600_NS6detail15normal_iteratorINS9_10device_ptrIsEEEESE_sNS9_4plusIvEEsEEDaPvRmT3_T4_T5_mT6_P12ihipStream_tbENKUlT_T0_E_clISt17integral_constantIbLb0EEST_IbLb1EEEEDaSP_SQ_EUlSP_E0_NS1_11comp_targetILNS1_3genE9ELNS1_11target_archE1100ELNS1_3gpuE3ELNS1_3repE0EEENS1_30default_config_static_selectorELNS0_4arch9wavefront6targetE1EEEvT1_,comdat
	.protected	_ZN7rocprim17ROCPRIM_400000_NS6detail17trampoline_kernelINS0_14default_configENS1_20scan_config_selectorIsEEZZNS1_9scan_implILNS1_25lookback_scan_determinismE0ELb0ELb0ES3_N6thrust23THRUST_200600_302600_NS6detail15normal_iteratorINS9_10device_ptrIsEEEESE_sNS9_4plusIvEEsEEDaPvRmT3_T4_T5_mT6_P12ihipStream_tbENKUlT_T0_E_clISt17integral_constantIbLb0EEST_IbLb1EEEEDaSP_SQ_EUlSP_E0_NS1_11comp_targetILNS1_3genE9ELNS1_11target_archE1100ELNS1_3gpuE3ELNS1_3repE0EEENS1_30default_config_static_selectorELNS0_4arch9wavefront6targetE1EEEvT1_ ; -- Begin function _ZN7rocprim17ROCPRIM_400000_NS6detail17trampoline_kernelINS0_14default_configENS1_20scan_config_selectorIsEEZZNS1_9scan_implILNS1_25lookback_scan_determinismE0ELb0ELb0ES3_N6thrust23THRUST_200600_302600_NS6detail15normal_iteratorINS9_10device_ptrIsEEEESE_sNS9_4plusIvEEsEEDaPvRmT3_T4_T5_mT6_P12ihipStream_tbENKUlT_T0_E_clISt17integral_constantIbLb0EEST_IbLb1EEEEDaSP_SQ_EUlSP_E0_NS1_11comp_targetILNS1_3genE9ELNS1_11target_archE1100ELNS1_3gpuE3ELNS1_3repE0EEENS1_30default_config_static_selectorELNS0_4arch9wavefront6targetE1EEEvT1_
	.globl	_ZN7rocprim17ROCPRIM_400000_NS6detail17trampoline_kernelINS0_14default_configENS1_20scan_config_selectorIsEEZZNS1_9scan_implILNS1_25lookback_scan_determinismE0ELb0ELb0ES3_N6thrust23THRUST_200600_302600_NS6detail15normal_iteratorINS9_10device_ptrIsEEEESE_sNS9_4plusIvEEsEEDaPvRmT3_T4_T5_mT6_P12ihipStream_tbENKUlT_T0_E_clISt17integral_constantIbLb0EEST_IbLb1EEEEDaSP_SQ_EUlSP_E0_NS1_11comp_targetILNS1_3genE9ELNS1_11target_archE1100ELNS1_3gpuE3ELNS1_3repE0EEENS1_30default_config_static_selectorELNS0_4arch9wavefront6targetE1EEEvT1_
	.p2align	8
	.type	_ZN7rocprim17ROCPRIM_400000_NS6detail17trampoline_kernelINS0_14default_configENS1_20scan_config_selectorIsEEZZNS1_9scan_implILNS1_25lookback_scan_determinismE0ELb0ELb0ES3_N6thrust23THRUST_200600_302600_NS6detail15normal_iteratorINS9_10device_ptrIsEEEESE_sNS9_4plusIvEEsEEDaPvRmT3_T4_T5_mT6_P12ihipStream_tbENKUlT_T0_E_clISt17integral_constantIbLb0EEST_IbLb1EEEEDaSP_SQ_EUlSP_E0_NS1_11comp_targetILNS1_3genE9ELNS1_11target_archE1100ELNS1_3gpuE3ELNS1_3repE0EEENS1_30default_config_static_selectorELNS0_4arch9wavefront6targetE1EEEvT1_,@function
_ZN7rocprim17ROCPRIM_400000_NS6detail17trampoline_kernelINS0_14default_configENS1_20scan_config_selectorIsEEZZNS1_9scan_implILNS1_25lookback_scan_determinismE0ELb0ELb0ES3_N6thrust23THRUST_200600_302600_NS6detail15normal_iteratorINS9_10device_ptrIsEEEESE_sNS9_4plusIvEEsEEDaPvRmT3_T4_T5_mT6_P12ihipStream_tbENKUlT_T0_E_clISt17integral_constantIbLb0EEST_IbLb1EEEEDaSP_SQ_EUlSP_E0_NS1_11comp_targetILNS1_3genE9ELNS1_11target_archE1100ELNS1_3gpuE3ELNS1_3repE0EEENS1_30default_config_static_selectorELNS0_4arch9wavefront6targetE1EEEvT1_: ; @_ZN7rocprim17ROCPRIM_400000_NS6detail17trampoline_kernelINS0_14default_configENS1_20scan_config_selectorIsEEZZNS1_9scan_implILNS1_25lookback_scan_determinismE0ELb0ELb0ES3_N6thrust23THRUST_200600_302600_NS6detail15normal_iteratorINS9_10device_ptrIsEEEESE_sNS9_4plusIvEEsEEDaPvRmT3_T4_T5_mT6_P12ihipStream_tbENKUlT_T0_E_clISt17integral_constantIbLb0EEST_IbLb1EEEEDaSP_SQ_EUlSP_E0_NS1_11comp_targetILNS1_3genE9ELNS1_11target_archE1100ELNS1_3gpuE3ELNS1_3repE0EEENS1_30default_config_static_selectorELNS0_4arch9wavefront6targetE1EEEvT1_
; %bb.0:
	.section	.rodata,"a",@progbits
	.p2align	6, 0x0
	.amdhsa_kernel _ZN7rocprim17ROCPRIM_400000_NS6detail17trampoline_kernelINS0_14default_configENS1_20scan_config_selectorIsEEZZNS1_9scan_implILNS1_25lookback_scan_determinismE0ELb0ELb0ES3_N6thrust23THRUST_200600_302600_NS6detail15normal_iteratorINS9_10device_ptrIsEEEESE_sNS9_4plusIvEEsEEDaPvRmT3_T4_T5_mT6_P12ihipStream_tbENKUlT_T0_E_clISt17integral_constantIbLb0EEST_IbLb1EEEEDaSP_SQ_EUlSP_E0_NS1_11comp_targetILNS1_3genE9ELNS1_11target_archE1100ELNS1_3gpuE3ELNS1_3repE0EEENS1_30default_config_static_selectorELNS0_4arch9wavefront6targetE1EEEvT1_
		.amdhsa_group_segment_fixed_size 0
		.amdhsa_private_segment_fixed_size 0
		.amdhsa_kernarg_size 32
		.amdhsa_user_sgpr_count 6
		.amdhsa_user_sgpr_private_segment_buffer 1
		.amdhsa_user_sgpr_dispatch_ptr 0
		.amdhsa_user_sgpr_queue_ptr 0
		.amdhsa_user_sgpr_kernarg_segment_ptr 1
		.amdhsa_user_sgpr_dispatch_id 0
		.amdhsa_user_sgpr_flat_scratch_init 0
		.amdhsa_user_sgpr_kernarg_preload_length 0
		.amdhsa_user_sgpr_kernarg_preload_offset 0
		.amdhsa_user_sgpr_private_segment_size 0
		.amdhsa_uses_dynamic_stack 0
		.amdhsa_system_sgpr_private_segment_wavefront_offset 0
		.amdhsa_system_sgpr_workgroup_id_x 1
		.amdhsa_system_sgpr_workgroup_id_y 0
		.amdhsa_system_sgpr_workgroup_id_z 0
		.amdhsa_system_sgpr_workgroup_info 0
		.amdhsa_system_vgpr_workitem_id 0
		.amdhsa_next_free_vgpr 1
		.amdhsa_next_free_sgpr 0
		.amdhsa_accum_offset 4
		.amdhsa_reserve_vcc 0
		.amdhsa_reserve_flat_scratch 0
		.amdhsa_float_round_mode_32 0
		.amdhsa_float_round_mode_16_64 0
		.amdhsa_float_denorm_mode_32 3
		.amdhsa_float_denorm_mode_16_64 3
		.amdhsa_dx10_clamp 1
		.amdhsa_ieee_mode 1
		.amdhsa_fp16_overflow 0
		.amdhsa_tg_split 0
		.amdhsa_exception_fp_ieee_invalid_op 0
		.amdhsa_exception_fp_denorm_src 0
		.amdhsa_exception_fp_ieee_div_zero 0
		.amdhsa_exception_fp_ieee_overflow 0
		.amdhsa_exception_fp_ieee_underflow 0
		.amdhsa_exception_fp_ieee_inexact 0
		.amdhsa_exception_int_div_zero 0
	.end_amdhsa_kernel
	.section	.text._ZN7rocprim17ROCPRIM_400000_NS6detail17trampoline_kernelINS0_14default_configENS1_20scan_config_selectorIsEEZZNS1_9scan_implILNS1_25lookback_scan_determinismE0ELb0ELb0ES3_N6thrust23THRUST_200600_302600_NS6detail15normal_iteratorINS9_10device_ptrIsEEEESE_sNS9_4plusIvEEsEEDaPvRmT3_T4_T5_mT6_P12ihipStream_tbENKUlT_T0_E_clISt17integral_constantIbLb0EEST_IbLb1EEEEDaSP_SQ_EUlSP_E0_NS1_11comp_targetILNS1_3genE9ELNS1_11target_archE1100ELNS1_3gpuE3ELNS1_3repE0EEENS1_30default_config_static_selectorELNS0_4arch9wavefront6targetE1EEEvT1_,"axG",@progbits,_ZN7rocprim17ROCPRIM_400000_NS6detail17trampoline_kernelINS0_14default_configENS1_20scan_config_selectorIsEEZZNS1_9scan_implILNS1_25lookback_scan_determinismE0ELb0ELb0ES3_N6thrust23THRUST_200600_302600_NS6detail15normal_iteratorINS9_10device_ptrIsEEEESE_sNS9_4plusIvEEsEEDaPvRmT3_T4_T5_mT6_P12ihipStream_tbENKUlT_T0_E_clISt17integral_constantIbLb0EEST_IbLb1EEEEDaSP_SQ_EUlSP_E0_NS1_11comp_targetILNS1_3genE9ELNS1_11target_archE1100ELNS1_3gpuE3ELNS1_3repE0EEENS1_30default_config_static_selectorELNS0_4arch9wavefront6targetE1EEEvT1_,comdat
.Lfunc_end959:
	.size	_ZN7rocprim17ROCPRIM_400000_NS6detail17trampoline_kernelINS0_14default_configENS1_20scan_config_selectorIsEEZZNS1_9scan_implILNS1_25lookback_scan_determinismE0ELb0ELb0ES3_N6thrust23THRUST_200600_302600_NS6detail15normal_iteratorINS9_10device_ptrIsEEEESE_sNS9_4plusIvEEsEEDaPvRmT3_T4_T5_mT6_P12ihipStream_tbENKUlT_T0_E_clISt17integral_constantIbLb0EEST_IbLb1EEEEDaSP_SQ_EUlSP_E0_NS1_11comp_targetILNS1_3genE9ELNS1_11target_archE1100ELNS1_3gpuE3ELNS1_3repE0EEENS1_30default_config_static_selectorELNS0_4arch9wavefront6targetE1EEEvT1_, .Lfunc_end959-_ZN7rocprim17ROCPRIM_400000_NS6detail17trampoline_kernelINS0_14default_configENS1_20scan_config_selectorIsEEZZNS1_9scan_implILNS1_25lookback_scan_determinismE0ELb0ELb0ES3_N6thrust23THRUST_200600_302600_NS6detail15normal_iteratorINS9_10device_ptrIsEEEESE_sNS9_4plusIvEEsEEDaPvRmT3_T4_T5_mT6_P12ihipStream_tbENKUlT_T0_E_clISt17integral_constantIbLb0EEST_IbLb1EEEEDaSP_SQ_EUlSP_E0_NS1_11comp_targetILNS1_3genE9ELNS1_11target_archE1100ELNS1_3gpuE3ELNS1_3repE0EEENS1_30default_config_static_selectorELNS0_4arch9wavefront6targetE1EEEvT1_
                                        ; -- End function
	.section	.AMDGPU.csdata,"",@progbits
; Kernel info:
; codeLenInByte = 0
; NumSgprs: 4
; NumVgprs: 0
; NumAgprs: 0
; TotalNumVgprs: 0
; ScratchSize: 0
; MemoryBound: 0
; FloatMode: 240
; IeeeMode: 1
; LDSByteSize: 0 bytes/workgroup (compile time only)
; SGPRBlocks: 0
; VGPRBlocks: 0
; NumSGPRsForWavesPerEU: 4
; NumVGPRsForWavesPerEU: 1
; AccumOffset: 4
; Occupancy: 8
; WaveLimiterHint : 0
; COMPUTE_PGM_RSRC2:SCRATCH_EN: 0
; COMPUTE_PGM_RSRC2:USER_SGPR: 6
; COMPUTE_PGM_RSRC2:TRAP_HANDLER: 0
; COMPUTE_PGM_RSRC2:TGID_X_EN: 1
; COMPUTE_PGM_RSRC2:TGID_Y_EN: 0
; COMPUTE_PGM_RSRC2:TGID_Z_EN: 0
; COMPUTE_PGM_RSRC2:TIDIG_COMP_CNT: 0
; COMPUTE_PGM_RSRC3_GFX90A:ACCUM_OFFSET: 0
; COMPUTE_PGM_RSRC3_GFX90A:TG_SPLIT: 0
	.section	.text._ZN7rocprim17ROCPRIM_400000_NS6detail17trampoline_kernelINS0_14default_configENS1_20scan_config_selectorIsEEZZNS1_9scan_implILNS1_25lookback_scan_determinismE0ELb0ELb0ES3_N6thrust23THRUST_200600_302600_NS6detail15normal_iteratorINS9_10device_ptrIsEEEESE_sNS9_4plusIvEEsEEDaPvRmT3_T4_T5_mT6_P12ihipStream_tbENKUlT_T0_E_clISt17integral_constantIbLb0EEST_IbLb1EEEEDaSP_SQ_EUlSP_E0_NS1_11comp_targetILNS1_3genE8ELNS1_11target_archE1030ELNS1_3gpuE2ELNS1_3repE0EEENS1_30default_config_static_selectorELNS0_4arch9wavefront6targetE1EEEvT1_,"axG",@progbits,_ZN7rocprim17ROCPRIM_400000_NS6detail17trampoline_kernelINS0_14default_configENS1_20scan_config_selectorIsEEZZNS1_9scan_implILNS1_25lookback_scan_determinismE0ELb0ELb0ES3_N6thrust23THRUST_200600_302600_NS6detail15normal_iteratorINS9_10device_ptrIsEEEESE_sNS9_4plusIvEEsEEDaPvRmT3_T4_T5_mT6_P12ihipStream_tbENKUlT_T0_E_clISt17integral_constantIbLb0EEST_IbLb1EEEEDaSP_SQ_EUlSP_E0_NS1_11comp_targetILNS1_3genE8ELNS1_11target_archE1030ELNS1_3gpuE2ELNS1_3repE0EEENS1_30default_config_static_selectorELNS0_4arch9wavefront6targetE1EEEvT1_,comdat
	.protected	_ZN7rocprim17ROCPRIM_400000_NS6detail17trampoline_kernelINS0_14default_configENS1_20scan_config_selectorIsEEZZNS1_9scan_implILNS1_25lookback_scan_determinismE0ELb0ELb0ES3_N6thrust23THRUST_200600_302600_NS6detail15normal_iteratorINS9_10device_ptrIsEEEESE_sNS9_4plusIvEEsEEDaPvRmT3_T4_T5_mT6_P12ihipStream_tbENKUlT_T0_E_clISt17integral_constantIbLb0EEST_IbLb1EEEEDaSP_SQ_EUlSP_E0_NS1_11comp_targetILNS1_3genE8ELNS1_11target_archE1030ELNS1_3gpuE2ELNS1_3repE0EEENS1_30default_config_static_selectorELNS0_4arch9wavefront6targetE1EEEvT1_ ; -- Begin function _ZN7rocprim17ROCPRIM_400000_NS6detail17trampoline_kernelINS0_14default_configENS1_20scan_config_selectorIsEEZZNS1_9scan_implILNS1_25lookback_scan_determinismE0ELb0ELb0ES3_N6thrust23THRUST_200600_302600_NS6detail15normal_iteratorINS9_10device_ptrIsEEEESE_sNS9_4plusIvEEsEEDaPvRmT3_T4_T5_mT6_P12ihipStream_tbENKUlT_T0_E_clISt17integral_constantIbLb0EEST_IbLb1EEEEDaSP_SQ_EUlSP_E0_NS1_11comp_targetILNS1_3genE8ELNS1_11target_archE1030ELNS1_3gpuE2ELNS1_3repE0EEENS1_30default_config_static_selectorELNS0_4arch9wavefront6targetE1EEEvT1_
	.globl	_ZN7rocprim17ROCPRIM_400000_NS6detail17trampoline_kernelINS0_14default_configENS1_20scan_config_selectorIsEEZZNS1_9scan_implILNS1_25lookback_scan_determinismE0ELb0ELb0ES3_N6thrust23THRUST_200600_302600_NS6detail15normal_iteratorINS9_10device_ptrIsEEEESE_sNS9_4plusIvEEsEEDaPvRmT3_T4_T5_mT6_P12ihipStream_tbENKUlT_T0_E_clISt17integral_constantIbLb0EEST_IbLb1EEEEDaSP_SQ_EUlSP_E0_NS1_11comp_targetILNS1_3genE8ELNS1_11target_archE1030ELNS1_3gpuE2ELNS1_3repE0EEENS1_30default_config_static_selectorELNS0_4arch9wavefront6targetE1EEEvT1_
	.p2align	8
	.type	_ZN7rocprim17ROCPRIM_400000_NS6detail17trampoline_kernelINS0_14default_configENS1_20scan_config_selectorIsEEZZNS1_9scan_implILNS1_25lookback_scan_determinismE0ELb0ELb0ES3_N6thrust23THRUST_200600_302600_NS6detail15normal_iteratorINS9_10device_ptrIsEEEESE_sNS9_4plusIvEEsEEDaPvRmT3_T4_T5_mT6_P12ihipStream_tbENKUlT_T0_E_clISt17integral_constantIbLb0EEST_IbLb1EEEEDaSP_SQ_EUlSP_E0_NS1_11comp_targetILNS1_3genE8ELNS1_11target_archE1030ELNS1_3gpuE2ELNS1_3repE0EEENS1_30default_config_static_selectorELNS0_4arch9wavefront6targetE1EEEvT1_,@function
_ZN7rocprim17ROCPRIM_400000_NS6detail17trampoline_kernelINS0_14default_configENS1_20scan_config_selectorIsEEZZNS1_9scan_implILNS1_25lookback_scan_determinismE0ELb0ELb0ES3_N6thrust23THRUST_200600_302600_NS6detail15normal_iteratorINS9_10device_ptrIsEEEESE_sNS9_4plusIvEEsEEDaPvRmT3_T4_T5_mT6_P12ihipStream_tbENKUlT_T0_E_clISt17integral_constantIbLb0EEST_IbLb1EEEEDaSP_SQ_EUlSP_E0_NS1_11comp_targetILNS1_3genE8ELNS1_11target_archE1030ELNS1_3gpuE2ELNS1_3repE0EEENS1_30default_config_static_selectorELNS0_4arch9wavefront6targetE1EEEvT1_: ; @_ZN7rocprim17ROCPRIM_400000_NS6detail17trampoline_kernelINS0_14default_configENS1_20scan_config_selectorIsEEZZNS1_9scan_implILNS1_25lookback_scan_determinismE0ELb0ELb0ES3_N6thrust23THRUST_200600_302600_NS6detail15normal_iteratorINS9_10device_ptrIsEEEESE_sNS9_4plusIvEEsEEDaPvRmT3_T4_T5_mT6_P12ihipStream_tbENKUlT_T0_E_clISt17integral_constantIbLb0EEST_IbLb1EEEEDaSP_SQ_EUlSP_E0_NS1_11comp_targetILNS1_3genE8ELNS1_11target_archE1030ELNS1_3gpuE2ELNS1_3repE0EEENS1_30default_config_static_selectorELNS0_4arch9wavefront6targetE1EEEvT1_
; %bb.0:
	.section	.rodata,"a",@progbits
	.p2align	6, 0x0
	.amdhsa_kernel _ZN7rocprim17ROCPRIM_400000_NS6detail17trampoline_kernelINS0_14default_configENS1_20scan_config_selectorIsEEZZNS1_9scan_implILNS1_25lookback_scan_determinismE0ELb0ELb0ES3_N6thrust23THRUST_200600_302600_NS6detail15normal_iteratorINS9_10device_ptrIsEEEESE_sNS9_4plusIvEEsEEDaPvRmT3_T4_T5_mT6_P12ihipStream_tbENKUlT_T0_E_clISt17integral_constantIbLb0EEST_IbLb1EEEEDaSP_SQ_EUlSP_E0_NS1_11comp_targetILNS1_3genE8ELNS1_11target_archE1030ELNS1_3gpuE2ELNS1_3repE0EEENS1_30default_config_static_selectorELNS0_4arch9wavefront6targetE1EEEvT1_
		.amdhsa_group_segment_fixed_size 0
		.amdhsa_private_segment_fixed_size 0
		.amdhsa_kernarg_size 32
		.amdhsa_user_sgpr_count 6
		.amdhsa_user_sgpr_private_segment_buffer 1
		.amdhsa_user_sgpr_dispatch_ptr 0
		.amdhsa_user_sgpr_queue_ptr 0
		.amdhsa_user_sgpr_kernarg_segment_ptr 1
		.amdhsa_user_sgpr_dispatch_id 0
		.amdhsa_user_sgpr_flat_scratch_init 0
		.amdhsa_user_sgpr_kernarg_preload_length 0
		.amdhsa_user_sgpr_kernarg_preload_offset 0
		.amdhsa_user_sgpr_private_segment_size 0
		.amdhsa_uses_dynamic_stack 0
		.amdhsa_system_sgpr_private_segment_wavefront_offset 0
		.amdhsa_system_sgpr_workgroup_id_x 1
		.amdhsa_system_sgpr_workgroup_id_y 0
		.amdhsa_system_sgpr_workgroup_id_z 0
		.amdhsa_system_sgpr_workgroup_info 0
		.amdhsa_system_vgpr_workitem_id 0
		.amdhsa_next_free_vgpr 1
		.amdhsa_next_free_sgpr 0
		.amdhsa_accum_offset 4
		.amdhsa_reserve_vcc 0
		.amdhsa_reserve_flat_scratch 0
		.amdhsa_float_round_mode_32 0
		.amdhsa_float_round_mode_16_64 0
		.amdhsa_float_denorm_mode_32 3
		.amdhsa_float_denorm_mode_16_64 3
		.amdhsa_dx10_clamp 1
		.amdhsa_ieee_mode 1
		.amdhsa_fp16_overflow 0
		.amdhsa_tg_split 0
		.amdhsa_exception_fp_ieee_invalid_op 0
		.amdhsa_exception_fp_denorm_src 0
		.amdhsa_exception_fp_ieee_div_zero 0
		.amdhsa_exception_fp_ieee_overflow 0
		.amdhsa_exception_fp_ieee_underflow 0
		.amdhsa_exception_fp_ieee_inexact 0
		.amdhsa_exception_int_div_zero 0
	.end_amdhsa_kernel
	.section	.text._ZN7rocprim17ROCPRIM_400000_NS6detail17trampoline_kernelINS0_14default_configENS1_20scan_config_selectorIsEEZZNS1_9scan_implILNS1_25lookback_scan_determinismE0ELb0ELb0ES3_N6thrust23THRUST_200600_302600_NS6detail15normal_iteratorINS9_10device_ptrIsEEEESE_sNS9_4plusIvEEsEEDaPvRmT3_T4_T5_mT6_P12ihipStream_tbENKUlT_T0_E_clISt17integral_constantIbLb0EEST_IbLb1EEEEDaSP_SQ_EUlSP_E0_NS1_11comp_targetILNS1_3genE8ELNS1_11target_archE1030ELNS1_3gpuE2ELNS1_3repE0EEENS1_30default_config_static_selectorELNS0_4arch9wavefront6targetE1EEEvT1_,"axG",@progbits,_ZN7rocprim17ROCPRIM_400000_NS6detail17trampoline_kernelINS0_14default_configENS1_20scan_config_selectorIsEEZZNS1_9scan_implILNS1_25lookback_scan_determinismE0ELb0ELb0ES3_N6thrust23THRUST_200600_302600_NS6detail15normal_iteratorINS9_10device_ptrIsEEEESE_sNS9_4plusIvEEsEEDaPvRmT3_T4_T5_mT6_P12ihipStream_tbENKUlT_T0_E_clISt17integral_constantIbLb0EEST_IbLb1EEEEDaSP_SQ_EUlSP_E0_NS1_11comp_targetILNS1_3genE8ELNS1_11target_archE1030ELNS1_3gpuE2ELNS1_3repE0EEENS1_30default_config_static_selectorELNS0_4arch9wavefront6targetE1EEEvT1_,comdat
.Lfunc_end960:
	.size	_ZN7rocprim17ROCPRIM_400000_NS6detail17trampoline_kernelINS0_14default_configENS1_20scan_config_selectorIsEEZZNS1_9scan_implILNS1_25lookback_scan_determinismE0ELb0ELb0ES3_N6thrust23THRUST_200600_302600_NS6detail15normal_iteratorINS9_10device_ptrIsEEEESE_sNS9_4plusIvEEsEEDaPvRmT3_T4_T5_mT6_P12ihipStream_tbENKUlT_T0_E_clISt17integral_constantIbLb0EEST_IbLb1EEEEDaSP_SQ_EUlSP_E0_NS1_11comp_targetILNS1_3genE8ELNS1_11target_archE1030ELNS1_3gpuE2ELNS1_3repE0EEENS1_30default_config_static_selectorELNS0_4arch9wavefront6targetE1EEEvT1_, .Lfunc_end960-_ZN7rocprim17ROCPRIM_400000_NS6detail17trampoline_kernelINS0_14default_configENS1_20scan_config_selectorIsEEZZNS1_9scan_implILNS1_25lookback_scan_determinismE0ELb0ELb0ES3_N6thrust23THRUST_200600_302600_NS6detail15normal_iteratorINS9_10device_ptrIsEEEESE_sNS9_4plusIvEEsEEDaPvRmT3_T4_T5_mT6_P12ihipStream_tbENKUlT_T0_E_clISt17integral_constantIbLb0EEST_IbLb1EEEEDaSP_SQ_EUlSP_E0_NS1_11comp_targetILNS1_3genE8ELNS1_11target_archE1030ELNS1_3gpuE2ELNS1_3repE0EEENS1_30default_config_static_selectorELNS0_4arch9wavefront6targetE1EEEvT1_
                                        ; -- End function
	.section	.AMDGPU.csdata,"",@progbits
; Kernel info:
; codeLenInByte = 0
; NumSgprs: 4
; NumVgprs: 0
; NumAgprs: 0
; TotalNumVgprs: 0
; ScratchSize: 0
; MemoryBound: 0
; FloatMode: 240
; IeeeMode: 1
; LDSByteSize: 0 bytes/workgroup (compile time only)
; SGPRBlocks: 0
; VGPRBlocks: 0
; NumSGPRsForWavesPerEU: 4
; NumVGPRsForWavesPerEU: 1
; AccumOffset: 4
; Occupancy: 8
; WaveLimiterHint : 0
; COMPUTE_PGM_RSRC2:SCRATCH_EN: 0
; COMPUTE_PGM_RSRC2:USER_SGPR: 6
; COMPUTE_PGM_RSRC2:TRAP_HANDLER: 0
; COMPUTE_PGM_RSRC2:TGID_X_EN: 1
; COMPUTE_PGM_RSRC2:TGID_Y_EN: 0
; COMPUTE_PGM_RSRC2:TGID_Z_EN: 0
; COMPUTE_PGM_RSRC2:TIDIG_COMP_CNT: 0
; COMPUTE_PGM_RSRC3_GFX90A:ACCUM_OFFSET: 0
; COMPUTE_PGM_RSRC3_GFX90A:TG_SPLIT: 0
	.section	.text._ZN7rocprim17ROCPRIM_400000_NS6detail17trampoline_kernelINS0_14default_configENS1_22reduce_config_selectorIN6thrust23THRUST_200600_302600_NS5tupleIblNS6_9null_typeES8_S8_S8_S8_S8_S8_S8_EEEEZNS1_11reduce_implILb1ES3_NS6_12zip_iteratorINS7_INS6_11hip_rocprim26transform_input_iterator_tIbNSD_35transform_pair_of_input_iterators_tIbNS6_6detail15normal_iteratorINS6_10device_ptrIKsEEEESL_NS6_8equal_toIsEEEENSG_9not_fun_tINSD_8identityEEEEENSD_19counting_iterator_tIlEES8_S8_S8_S8_S8_S8_S8_S8_EEEEPS9_S9_NSD_9__find_if7functorIS9_EEEE10hipError_tPvRmT1_T2_T3_mT4_P12ihipStream_tbEUlT_E0_NS1_11comp_targetILNS1_3genE0ELNS1_11target_archE4294967295ELNS1_3gpuE0ELNS1_3repE0EEENS1_30default_config_static_selectorELNS0_4arch9wavefront6targetE1EEEvS14_,"axG",@progbits,_ZN7rocprim17ROCPRIM_400000_NS6detail17trampoline_kernelINS0_14default_configENS1_22reduce_config_selectorIN6thrust23THRUST_200600_302600_NS5tupleIblNS6_9null_typeES8_S8_S8_S8_S8_S8_S8_EEEEZNS1_11reduce_implILb1ES3_NS6_12zip_iteratorINS7_INS6_11hip_rocprim26transform_input_iterator_tIbNSD_35transform_pair_of_input_iterators_tIbNS6_6detail15normal_iteratorINS6_10device_ptrIKsEEEESL_NS6_8equal_toIsEEEENSG_9not_fun_tINSD_8identityEEEEENSD_19counting_iterator_tIlEES8_S8_S8_S8_S8_S8_S8_S8_EEEEPS9_S9_NSD_9__find_if7functorIS9_EEEE10hipError_tPvRmT1_T2_T3_mT4_P12ihipStream_tbEUlT_E0_NS1_11comp_targetILNS1_3genE0ELNS1_11target_archE4294967295ELNS1_3gpuE0ELNS1_3repE0EEENS1_30default_config_static_selectorELNS0_4arch9wavefront6targetE1EEEvS14_,comdat
	.protected	_ZN7rocprim17ROCPRIM_400000_NS6detail17trampoline_kernelINS0_14default_configENS1_22reduce_config_selectorIN6thrust23THRUST_200600_302600_NS5tupleIblNS6_9null_typeES8_S8_S8_S8_S8_S8_S8_EEEEZNS1_11reduce_implILb1ES3_NS6_12zip_iteratorINS7_INS6_11hip_rocprim26transform_input_iterator_tIbNSD_35transform_pair_of_input_iterators_tIbNS6_6detail15normal_iteratorINS6_10device_ptrIKsEEEESL_NS6_8equal_toIsEEEENSG_9not_fun_tINSD_8identityEEEEENSD_19counting_iterator_tIlEES8_S8_S8_S8_S8_S8_S8_S8_EEEEPS9_S9_NSD_9__find_if7functorIS9_EEEE10hipError_tPvRmT1_T2_T3_mT4_P12ihipStream_tbEUlT_E0_NS1_11comp_targetILNS1_3genE0ELNS1_11target_archE4294967295ELNS1_3gpuE0ELNS1_3repE0EEENS1_30default_config_static_selectorELNS0_4arch9wavefront6targetE1EEEvS14_ ; -- Begin function _ZN7rocprim17ROCPRIM_400000_NS6detail17trampoline_kernelINS0_14default_configENS1_22reduce_config_selectorIN6thrust23THRUST_200600_302600_NS5tupleIblNS6_9null_typeES8_S8_S8_S8_S8_S8_S8_EEEEZNS1_11reduce_implILb1ES3_NS6_12zip_iteratorINS7_INS6_11hip_rocprim26transform_input_iterator_tIbNSD_35transform_pair_of_input_iterators_tIbNS6_6detail15normal_iteratorINS6_10device_ptrIKsEEEESL_NS6_8equal_toIsEEEENSG_9not_fun_tINSD_8identityEEEEENSD_19counting_iterator_tIlEES8_S8_S8_S8_S8_S8_S8_S8_EEEEPS9_S9_NSD_9__find_if7functorIS9_EEEE10hipError_tPvRmT1_T2_T3_mT4_P12ihipStream_tbEUlT_E0_NS1_11comp_targetILNS1_3genE0ELNS1_11target_archE4294967295ELNS1_3gpuE0ELNS1_3repE0EEENS1_30default_config_static_selectorELNS0_4arch9wavefront6targetE1EEEvS14_
	.globl	_ZN7rocprim17ROCPRIM_400000_NS6detail17trampoline_kernelINS0_14default_configENS1_22reduce_config_selectorIN6thrust23THRUST_200600_302600_NS5tupleIblNS6_9null_typeES8_S8_S8_S8_S8_S8_S8_EEEEZNS1_11reduce_implILb1ES3_NS6_12zip_iteratorINS7_INS6_11hip_rocprim26transform_input_iterator_tIbNSD_35transform_pair_of_input_iterators_tIbNS6_6detail15normal_iteratorINS6_10device_ptrIKsEEEESL_NS6_8equal_toIsEEEENSG_9not_fun_tINSD_8identityEEEEENSD_19counting_iterator_tIlEES8_S8_S8_S8_S8_S8_S8_S8_EEEEPS9_S9_NSD_9__find_if7functorIS9_EEEE10hipError_tPvRmT1_T2_T3_mT4_P12ihipStream_tbEUlT_E0_NS1_11comp_targetILNS1_3genE0ELNS1_11target_archE4294967295ELNS1_3gpuE0ELNS1_3repE0EEENS1_30default_config_static_selectorELNS0_4arch9wavefront6targetE1EEEvS14_
	.p2align	8
	.type	_ZN7rocprim17ROCPRIM_400000_NS6detail17trampoline_kernelINS0_14default_configENS1_22reduce_config_selectorIN6thrust23THRUST_200600_302600_NS5tupleIblNS6_9null_typeES8_S8_S8_S8_S8_S8_S8_EEEEZNS1_11reduce_implILb1ES3_NS6_12zip_iteratorINS7_INS6_11hip_rocprim26transform_input_iterator_tIbNSD_35transform_pair_of_input_iterators_tIbNS6_6detail15normal_iteratorINS6_10device_ptrIKsEEEESL_NS6_8equal_toIsEEEENSG_9not_fun_tINSD_8identityEEEEENSD_19counting_iterator_tIlEES8_S8_S8_S8_S8_S8_S8_S8_EEEEPS9_S9_NSD_9__find_if7functorIS9_EEEE10hipError_tPvRmT1_T2_T3_mT4_P12ihipStream_tbEUlT_E0_NS1_11comp_targetILNS1_3genE0ELNS1_11target_archE4294967295ELNS1_3gpuE0ELNS1_3repE0EEENS1_30default_config_static_selectorELNS0_4arch9wavefront6targetE1EEEvS14_,@function
_ZN7rocprim17ROCPRIM_400000_NS6detail17trampoline_kernelINS0_14default_configENS1_22reduce_config_selectorIN6thrust23THRUST_200600_302600_NS5tupleIblNS6_9null_typeES8_S8_S8_S8_S8_S8_S8_EEEEZNS1_11reduce_implILb1ES3_NS6_12zip_iteratorINS7_INS6_11hip_rocprim26transform_input_iterator_tIbNSD_35transform_pair_of_input_iterators_tIbNS6_6detail15normal_iteratorINS6_10device_ptrIKsEEEESL_NS6_8equal_toIsEEEENSG_9not_fun_tINSD_8identityEEEEENSD_19counting_iterator_tIlEES8_S8_S8_S8_S8_S8_S8_S8_EEEEPS9_S9_NSD_9__find_if7functorIS9_EEEE10hipError_tPvRmT1_T2_T3_mT4_P12ihipStream_tbEUlT_E0_NS1_11comp_targetILNS1_3genE0ELNS1_11target_archE4294967295ELNS1_3gpuE0ELNS1_3repE0EEENS1_30default_config_static_selectorELNS0_4arch9wavefront6targetE1EEEvS14_: ; @_ZN7rocprim17ROCPRIM_400000_NS6detail17trampoline_kernelINS0_14default_configENS1_22reduce_config_selectorIN6thrust23THRUST_200600_302600_NS5tupleIblNS6_9null_typeES8_S8_S8_S8_S8_S8_S8_EEEEZNS1_11reduce_implILb1ES3_NS6_12zip_iteratorINS7_INS6_11hip_rocprim26transform_input_iterator_tIbNSD_35transform_pair_of_input_iterators_tIbNS6_6detail15normal_iteratorINS6_10device_ptrIKsEEEESL_NS6_8equal_toIsEEEENSG_9not_fun_tINSD_8identityEEEEENSD_19counting_iterator_tIlEES8_S8_S8_S8_S8_S8_S8_S8_EEEEPS9_S9_NSD_9__find_if7functorIS9_EEEE10hipError_tPvRmT1_T2_T3_mT4_P12ihipStream_tbEUlT_E0_NS1_11comp_targetILNS1_3genE0ELNS1_11target_archE4294967295ELNS1_3gpuE0ELNS1_3repE0EEENS1_30default_config_static_selectorELNS0_4arch9wavefront6targetE1EEEvS14_
; %bb.0:
	.section	.rodata,"a",@progbits
	.p2align	6, 0x0
	.amdhsa_kernel _ZN7rocprim17ROCPRIM_400000_NS6detail17trampoline_kernelINS0_14default_configENS1_22reduce_config_selectorIN6thrust23THRUST_200600_302600_NS5tupleIblNS6_9null_typeES8_S8_S8_S8_S8_S8_S8_EEEEZNS1_11reduce_implILb1ES3_NS6_12zip_iteratorINS7_INS6_11hip_rocprim26transform_input_iterator_tIbNSD_35transform_pair_of_input_iterators_tIbNS6_6detail15normal_iteratorINS6_10device_ptrIKsEEEESL_NS6_8equal_toIsEEEENSG_9not_fun_tINSD_8identityEEEEENSD_19counting_iterator_tIlEES8_S8_S8_S8_S8_S8_S8_S8_EEEEPS9_S9_NSD_9__find_if7functorIS9_EEEE10hipError_tPvRmT1_T2_T3_mT4_P12ihipStream_tbEUlT_E0_NS1_11comp_targetILNS1_3genE0ELNS1_11target_archE4294967295ELNS1_3gpuE0ELNS1_3repE0EEENS1_30default_config_static_selectorELNS0_4arch9wavefront6targetE1EEEvS14_
		.amdhsa_group_segment_fixed_size 0
		.amdhsa_private_segment_fixed_size 0
		.amdhsa_kernarg_size 104
		.amdhsa_user_sgpr_count 6
		.amdhsa_user_sgpr_private_segment_buffer 1
		.amdhsa_user_sgpr_dispatch_ptr 0
		.amdhsa_user_sgpr_queue_ptr 0
		.amdhsa_user_sgpr_kernarg_segment_ptr 1
		.amdhsa_user_sgpr_dispatch_id 0
		.amdhsa_user_sgpr_flat_scratch_init 0
		.amdhsa_user_sgpr_kernarg_preload_length 0
		.amdhsa_user_sgpr_kernarg_preload_offset 0
		.amdhsa_user_sgpr_private_segment_size 0
		.amdhsa_uses_dynamic_stack 0
		.amdhsa_system_sgpr_private_segment_wavefront_offset 0
		.amdhsa_system_sgpr_workgroup_id_x 1
		.amdhsa_system_sgpr_workgroup_id_y 0
		.amdhsa_system_sgpr_workgroup_id_z 0
		.amdhsa_system_sgpr_workgroup_info 0
		.amdhsa_system_vgpr_workitem_id 0
		.amdhsa_next_free_vgpr 1
		.amdhsa_next_free_sgpr 0
		.amdhsa_accum_offset 4
		.amdhsa_reserve_vcc 0
		.amdhsa_reserve_flat_scratch 0
		.amdhsa_float_round_mode_32 0
		.amdhsa_float_round_mode_16_64 0
		.amdhsa_float_denorm_mode_32 3
		.amdhsa_float_denorm_mode_16_64 3
		.amdhsa_dx10_clamp 1
		.amdhsa_ieee_mode 1
		.amdhsa_fp16_overflow 0
		.amdhsa_tg_split 0
		.amdhsa_exception_fp_ieee_invalid_op 0
		.amdhsa_exception_fp_denorm_src 0
		.amdhsa_exception_fp_ieee_div_zero 0
		.amdhsa_exception_fp_ieee_overflow 0
		.amdhsa_exception_fp_ieee_underflow 0
		.amdhsa_exception_fp_ieee_inexact 0
		.amdhsa_exception_int_div_zero 0
	.end_amdhsa_kernel
	.section	.text._ZN7rocprim17ROCPRIM_400000_NS6detail17trampoline_kernelINS0_14default_configENS1_22reduce_config_selectorIN6thrust23THRUST_200600_302600_NS5tupleIblNS6_9null_typeES8_S8_S8_S8_S8_S8_S8_EEEEZNS1_11reduce_implILb1ES3_NS6_12zip_iteratorINS7_INS6_11hip_rocprim26transform_input_iterator_tIbNSD_35transform_pair_of_input_iterators_tIbNS6_6detail15normal_iteratorINS6_10device_ptrIKsEEEESL_NS6_8equal_toIsEEEENSG_9not_fun_tINSD_8identityEEEEENSD_19counting_iterator_tIlEES8_S8_S8_S8_S8_S8_S8_S8_EEEEPS9_S9_NSD_9__find_if7functorIS9_EEEE10hipError_tPvRmT1_T2_T3_mT4_P12ihipStream_tbEUlT_E0_NS1_11comp_targetILNS1_3genE0ELNS1_11target_archE4294967295ELNS1_3gpuE0ELNS1_3repE0EEENS1_30default_config_static_selectorELNS0_4arch9wavefront6targetE1EEEvS14_,"axG",@progbits,_ZN7rocprim17ROCPRIM_400000_NS6detail17trampoline_kernelINS0_14default_configENS1_22reduce_config_selectorIN6thrust23THRUST_200600_302600_NS5tupleIblNS6_9null_typeES8_S8_S8_S8_S8_S8_S8_EEEEZNS1_11reduce_implILb1ES3_NS6_12zip_iteratorINS7_INS6_11hip_rocprim26transform_input_iterator_tIbNSD_35transform_pair_of_input_iterators_tIbNS6_6detail15normal_iteratorINS6_10device_ptrIKsEEEESL_NS6_8equal_toIsEEEENSG_9not_fun_tINSD_8identityEEEEENSD_19counting_iterator_tIlEES8_S8_S8_S8_S8_S8_S8_S8_EEEEPS9_S9_NSD_9__find_if7functorIS9_EEEE10hipError_tPvRmT1_T2_T3_mT4_P12ihipStream_tbEUlT_E0_NS1_11comp_targetILNS1_3genE0ELNS1_11target_archE4294967295ELNS1_3gpuE0ELNS1_3repE0EEENS1_30default_config_static_selectorELNS0_4arch9wavefront6targetE1EEEvS14_,comdat
.Lfunc_end961:
	.size	_ZN7rocprim17ROCPRIM_400000_NS6detail17trampoline_kernelINS0_14default_configENS1_22reduce_config_selectorIN6thrust23THRUST_200600_302600_NS5tupleIblNS6_9null_typeES8_S8_S8_S8_S8_S8_S8_EEEEZNS1_11reduce_implILb1ES3_NS6_12zip_iteratorINS7_INS6_11hip_rocprim26transform_input_iterator_tIbNSD_35transform_pair_of_input_iterators_tIbNS6_6detail15normal_iteratorINS6_10device_ptrIKsEEEESL_NS6_8equal_toIsEEEENSG_9not_fun_tINSD_8identityEEEEENSD_19counting_iterator_tIlEES8_S8_S8_S8_S8_S8_S8_S8_EEEEPS9_S9_NSD_9__find_if7functorIS9_EEEE10hipError_tPvRmT1_T2_T3_mT4_P12ihipStream_tbEUlT_E0_NS1_11comp_targetILNS1_3genE0ELNS1_11target_archE4294967295ELNS1_3gpuE0ELNS1_3repE0EEENS1_30default_config_static_selectorELNS0_4arch9wavefront6targetE1EEEvS14_, .Lfunc_end961-_ZN7rocprim17ROCPRIM_400000_NS6detail17trampoline_kernelINS0_14default_configENS1_22reduce_config_selectorIN6thrust23THRUST_200600_302600_NS5tupleIblNS6_9null_typeES8_S8_S8_S8_S8_S8_S8_EEEEZNS1_11reduce_implILb1ES3_NS6_12zip_iteratorINS7_INS6_11hip_rocprim26transform_input_iterator_tIbNSD_35transform_pair_of_input_iterators_tIbNS6_6detail15normal_iteratorINS6_10device_ptrIKsEEEESL_NS6_8equal_toIsEEEENSG_9not_fun_tINSD_8identityEEEEENSD_19counting_iterator_tIlEES8_S8_S8_S8_S8_S8_S8_S8_EEEEPS9_S9_NSD_9__find_if7functorIS9_EEEE10hipError_tPvRmT1_T2_T3_mT4_P12ihipStream_tbEUlT_E0_NS1_11comp_targetILNS1_3genE0ELNS1_11target_archE4294967295ELNS1_3gpuE0ELNS1_3repE0EEENS1_30default_config_static_selectorELNS0_4arch9wavefront6targetE1EEEvS14_
                                        ; -- End function
	.section	.AMDGPU.csdata,"",@progbits
; Kernel info:
; codeLenInByte = 0
; NumSgprs: 4
; NumVgprs: 0
; NumAgprs: 0
; TotalNumVgprs: 0
; ScratchSize: 0
; MemoryBound: 0
; FloatMode: 240
; IeeeMode: 1
; LDSByteSize: 0 bytes/workgroup (compile time only)
; SGPRBlocks: 0
; VGPRBlocks: 0
; NumSGPRsForWavesPerEU: 4
; NumVGPRsForWavesPerEU: 1
; AccumOffset: 4
; Occupancy: 8
; WaveLimiterHint : 0
; COMPUTE_PGM_RSRC2:SCRATCH_EN: 0
; COMPUTE_PGM_RSRC2:USER_SGPR: 6
; COMPUTE_PGM_RSRC2:TRAP_HANDLER: 0
; COMPUTE_PGM_RSRC2:TGID_X_EN: 1
; COMPUTE_PGM_RSRC2:TGID_Y_EN: 0
; COMPUTE_PGM_RSRC2:TGID_Z_EN: 0
; COMPUTE_PGM_RSRC2:TIDIG_COMP_CNT: 0
; COMPUTE_PGM_RSRC3_GFX90A:ACCUM_OFFSET: 0
; COMPUTE_PGM_RSRC3_GFX90A:TG_SPLIT: 0
	.section	.text._ZN7rocprim17ROCPRIM_400000_NS6detail17trampoline_kernelINS0_14default_configENS1_22reduce_config_selectorIN6thrust23THRUST_200600_302600_NS5tupleIblNS6_9null_typeES8_S8_S8_S8_S8_S8_S8_EEEEZNS1_11reduce_implILb1ES3_NS6_12zip_iteratorINS7_INS6_11hip_rocprim26transform_input_iterator_tIbNSD_35transform_pair_of_input_iterators_tIbNS6_6detail15normal_iteratorINS6_10device_ptrIKsEEEESL_NS6_8equal_toIsEEEENSG_9not_fun_tINSD_8identityEEEEENSD_19counting_iterator_tIlEES8_S8_S8_S8_S8_S8_S8_S8_EEEEPS9_S9_NSD_9__find_if7functorIS9_EEEE10hipError_tPvRmT1_T2_T3_mT4_P12ihipStream_tbEUlT_E0_NS1_11comp_targetILNS1_3genE5ELNS1_11target_archE942ELNS1_3gpuE9ELNS1_3repE0EEENS1_30default_config_static_selectorELNS0_4arch9wavefront6targetE1EEEvS14_,"axG",@progbits,_ZN7rocprim17ROCPRIM_400000_NS6detail17trampoline_kernelINS0_14default_configENS1_22reduce_config_selectorIN6thrust23THRUST_200600_302600_NS5tupleIblNS6_9null_typeES8_S8_S8_S8_S8_S8_S8_EEEEZNS1_11reduce_implILb1ES3_NS6_12zip_iteratorINS7_INS6_11hip_rocprim26transform_input_iterator_tIbNSD_35transform_pair_of_input_iterators_tIbNS6_6detail15normal_iteratorINS6_10device_ptrIKsEEEESL_NS6_8equal_toIsEEEENSG_9not_fun_tINSD_8identityEEEEENSD_19counting_iterator_tIlEES8_S8_S8_S8_S8_S8_S8_S8_EEEEPS9_S9_NSD_9__find_if7functorIS9_EEEE10hipError_tPvRmT1_T2_T3_mT4_P12ihipStream_tbEUlT_E0_NS1_11comp_targetILNS1_3genE5ELNS1_11target_archE942ELNS1_3gpuE9ELNS1_3repE0EEENS1_30default_config_static_selectorELNS0_4arch9wavefront6targetE1EEEvS14_,comdat
	.protected	_ZN7rocprim17ROCPRIM_400000_NS6detail17trampoline_kernelINS0_14default_configENS1_22reduce_config_selectorIN6thrust23THRUST_200600_302600_NS5tupleIblNS6_9null_typeES8_S8_S8_S8_S8_S8_S8_EEEEZNS1_11reduce_implILb1ES3_NS6_12zip_iteratorINS7_INS6_11hip_rocprim26transform_input_iterator_tIbNSD_35transform_pair_of_input_iterators_tIbNS6_6detail15normal_iteratorINS6_10device_ptrIKsEEEESL_NS6_8equal_toIsEEEENSG_9not_fun_tINSD_8identityEEEEENSD_19counting_iterator_tIlEES8_S8_S8_S8_S8_S8_S8_S8_EEEEPS9_S9_NSD_9__find_if7functorIS9_EEEE10hipError_tPvRmT1_T2_T3_mT4_P12ihipStream_tbEUlT_E0_NS1_11comp_targetILNS1_3genE5ELNS1_11target_archE942ELNS1_3gpuE9ELNS1_3repE0EEENS1_30default_config_static_selectorELNS0_4arch9wavefront6targetE1EEEvS14_ ; -- Begin function _ZN7rocprim17ROCPRIM_400000_NS6detail17trampoline_kernelINS0_14default_configENS1_22reduce_config_selectorIN6thrust23THRUST_200600_302600_NS5tupleIblNS6_9null_typeES8_S8_S8_S8_S8_S8_S8_EEEEZNS1_11reduce_implILb1ES3_NS6_12zip_iteratorINS7_INS6_11hip_rocprim26transform_input_iterator_tIbNSD_35transform_pair_of_input_iterators_tIbNS6_6detail15normal_iteratorINS6_10device_ptrIKsEEEESL_NS6_8equal_toIsEEEENSG_9not_fun_tINSD_8identityEEEEENSD_19counting_iterator_tIlEES8_S8_S8_S8_S8_S8_S8_S8_EEEEPS9_S9_NSD_9__find_if7functorIS9_EEEE10hipError_tPvRmT1_T2_T3_mT4_P12ihipStream_tbEUlT_E0_NS1_11comp_targetILNS1_3genE5ELNS1_11target_archE942ELNS1_3gpuE9ELNS1_3repE0EEENS1_30default_config_static_selectorELNS0_4arch9wavefront6targetE1EEEvS14_
	.globl	_ZN7rocprim17ROCPRIM_400000_NS6detail17trampoline_kernelINS0_14default_configENS1_22reduce_config_selectorIN6thrust23THRUST_200600_302600_NS5tupleIblNS6_9null_typeES8_S8_S8_S8_S8_S8_S8_EEEEZNS1_11reduce_implILb1ES3_NS6_12zip_iteratorINS7_INS6_11hip_rocprim26transform_input_iterator_tIbNSD_35transform_pair_of_input_iterators_tIbNS6_6detail15normal_iteratorINS6_10device_ptrIKsEEEESL_NS6_8equal_toIsEEEENSG_9not_fun_tINSD_8identityEEEEENSD_19counting_iterator_tIlEES8_S8_S8_S8_S8_S8_S8_S8_EEEEPS9_S9_NSD_9__find_if7functorIS9_EEEE10hipError_tPvRmT1_T2_T3_mT4_P12ihipStream_tbEUlT_E0_NS1_11comp_targetILNS1_3genE5ELNS1_11target_archE942ELNS1_3gpuE9ELNS1_3repE0EEENS1_30default_config_static_selectorELNS0_4arch9wavefront6targetE1EEEvS14_
	.p2align	8
	.type	_ZN7rocprim17ROCPRIM_400000_NS6detail17trampoline_kernelINS0_14default_configENS1_22reduce_config_selectorIN6thrust23THRUST_200600_302600_NS5tupleIblNS6_9null_typeES8_S8_S8_S8_S8_S8_S8_EEEEZNS1_11reduce_implILb1ES3_NS6_12zip_iteratorINS7_INS6_11hip_rocprim26transform_input_iterator_tIbNSD_35transform_pair_of_input_iterators_tIbNS6_6detail15normal_iteratorINS6_10device_ptrIKsEEEESL_NS6_8equal_toIsEEEENSG_9not_fun_tINSD_8identityEEEEENSD_19counting_iterator_tIlEES8_S8_S8_S8_S8_S8_S8_S8_EEEEPS9_S9_NSD_9__find_if7functorIS9_EEEE10hipError_tPvRmT1_T2_T3_mT4_P12ihipStream_tbEUlT_E0_NS1_11comp_targetILNS1_3genE5ELNS1_11target_archE942ELNS1_3gpuE9ELNS1_3repE0EEENS1_30default_config_static_selectorELNS0_4arch9wavefront6targetE1EEEvS14_,@function
_ZN7rocprim17ROCPRIM_400000_NS6detail17trampoline_kernelINS0_14default_configENS1_22reduce_config_selectorIN6thrust23THRUST_200600_302600_NS5tupleIblNS6_9null_typeES8_S8_S8_S8_S8_S8_S8_EEEEZNS1_11reduce_implILb1ES3_NS6_12zip_iteratorINS7_INS6_11hip_rocprim26transform_input_iterator_tIbNSD_35transform_pair_of_input_iterators_tIbNS6_6detail15normal_iteratorINS6_10device_ptrIKsEEEESL_NS6_8equal_toIsEEEENSG_9not_fun_tINSD_8identityEEEEENSD_19counting_iterator_tIlEES8_S8_S8_S8_S8_S8_S8_S8_EEEEPS9_S9_NSD_9__find_if7functorIS9_EEEE10hipError_tPvRmT1_T2_T3_mT4_P12ihipStream_tbEUlT_E0_NS1_11comp_targetILNS1_3genE5ELNS1_11target_archE942ELNS1_3gpuE9ELNS1_3repE0EEENS1_30default_config_static_selectorELNS0_4arch9wavefront6targetE1EEEvS14_: ; @_ZN7rocprim17ROCPRIM_400000_NS6detail17trampoline_kernelINS0_14default_configENS1_22reduce_config_selectorIN6thrust23THRUST_200600_302600_NS5tupleIblNS6_9null_typeES8_S8_S8_S8_S8_S8_S8_EEEEZNS1_11reduce_implILb1ES3_NS6_12zip_iteratorINS7_INS6_11hip_rocprim26transform_input_iterator_tIbNSD_35transform_pair_of_input_iterators_tIbNS6_6detail15normal_iteratorINS6_10device_ptrIKsEEEESL_NS6_8equal_toIsEEEENSG_9not_fun_tINSD_8identityEEEEENSD_19counting_iterator_tIlEES8_S8_S8_S8_S8_S8_S8_S8_EEEEPS9_S9_NSD_9__find_if7functorIS9_EEEE10hipError_tPvRmT1_T2_T3_mT4_P12ihipStream_tbEUlT_E0_NS1_11comp_targetILNS1_3genE5ELNS1_11target_archE942ELNS1_3gpuE9ELNS1_3repE0EEENS1_30default_config_static_selectorELNS0_4arch9wavefront6targetE1EEEvS14_
; %bb.0:
	.section	.rodata,"a",@progbits
	.p2align	6, 0x0
	.amdhsa_kernel _ZN7rocprim17ROCPRIM_400000_NS6detail17trampoline_kernelINS0_14default_configENS1_22reduce_config_selectorIN6thrust23THRUST_200600_302600_NS5tupleIblNS6_9null_typeES8_S8_S8_S8_S8_S8_S8_EEEEZNS1_11reduce_implILb1ES3_NS6_12zip_iteratorINS7_INS6_11hip_rocprim26transform_input_iterator_tIbNSD_35transform_pair_of_input_iterators_tIbNS6_6detail15normal_iteratorINS6_10device_ptrIKsEEEESL_NS6_8equal_toIsEEEENSG_9not_fun_tINSD_8identityEEEEENSD_19counting_iterator_tIlEES8_S8_S8_S8_S8_S8_S8_S8_EEEEPS9_S9_NSD_9__find_if7functorIS9_EEEE10hipError_tPvRmT1_T2_T3_mT4_P12ihipStream_tbEUlT_E0_NS1_11comp_targetILNS1_3genE5ELNS1_11target_archE942ELNS1_3gpuE9ELNS1_3repE0EEENS1_30default_config_static_selectorELNS0_4arch9wavefront6targetE1EEEvS14_
		.amdhsa_group_segment_fixed_size 0
		.amdhsa_private_segment_fixed_size 0
		.amdhsa_kernarg_size 104
		.amdhsa_user_sgpr_count 6
		.amdhsa_user_sgpr_private_segment_buffer 1
		.amdhsa_user_sgpr_dispatch_ptr 0
		.amdhsa_user_sgpr_queue_ptr 0
		.amdhsa_user_sgpr_kernarg_segment_ptr 1
		.amdhsa_user_sgpr_dispatch_id 0
		.amdhsa_user_sgpr_flat_scratch_init 0
		.amdhsa_user_sgpr_kernarg_preload_length 0
		.amdhsa_user_sgpr_kernarg_preload_offset 0
		.amdhsa_user_sgpr_private_segment_size 0
		.amdhsa_uses_dynamic_stack 0
		.amdhsa_system_sgpr_private_segment_wavefront_offset 0
		.amdhsa_system_sgpr_workgroup_id_x 1
		.amdhsa_system_sgpr_workgroup_id_y 0
		.amdhsa_system_sgpr_workgroup_id_z 0
		.amdhsa_system_sgpr_workgroup_info 0
		.amdhsa_system_vgpr_workitem_id 0
		.amdhsa_next_free_vgpr 1
		.amdhsa_next_free_sgpr 0
		.amdhsa_accum_offset 4
		.amdhsa_reserve_vcc 0
		.amdhsa_reserve_flat_scratch 0
		.amdhsa_float_round_mode_32 0
		.amdhsa_float_round_mode_16_64 0
		.amdhsa_float_denorm_mode_32 3
		.amdhsa_float_denorm_mode_16_64 3
		.amdhsa_dx10_clamp 1
		.amdhsa_ieee_mode 1
		.amdhsa_fp16_overflow 0
		.amdhsa_tg_split 0
		.amdhsa_exception_fp_ieee_invalid_op 0
		.amdhsa_exception_fp_denorm_src 0
		.amdhsa_exception_fp_ieee_div_zero 0
		.amdhsa_exception_fp_ieee_overflow 0
		.amdhsa_exception_fp_ieee_underflow 0
		.amdhsa_exception_fp_ieee_inexact 0
		.amdhsa_exception_int_div_zero 0
	.end_amdhsa_kernel
	.section	.text._ZN7rocprim17ROCPRIM_400000_NS6detail17trampoline_kernelINS0_14default_configENS1_22reduce_config_selectorIN6thrust23THRUST_200600_302600_NS5tupleIblNS6_9null_typeES8_S8_S8_S8_S8_S8_S8_EEEEZNS1_11reduce_implILb1ES3_NS6_12zip_iteratorINS7_INS6_11hip_rocprim26transform_input_iterator_tIbNSD_35transform_pair_of_input_iterators_tIbNS6_6detail15normal_iteratorINS6_10device_ptrIKsEEEESL_NS6_8equal_toIsEEEENSG_9not_fun_tINSD_8identityEEEEENSD_19counting_iterator_tIlEES8_S8_S8_S8_S8_S8_S8_S8_EEEEPS9_S9_NSD_9__find_if7functorIS9_EEEE10hipError_tPvRmT1_T2_T3_mT4_P12ihipStream_tbEUlT_E0_NS1_11comp_targetILNS1_3genE5ELNS1_11target_archE942ELNS1_3gpuE9ELNS1_3repE0EEENS1_30default_config_static_selectorELNS0_4arch9wavefront6targetE1EEEvS14_,"axG",@progbits,_ZN7rocprim17ROCPRIM_400000_NS6detail17trampoline_kernelINS0_14default_configENS1_22reduce_config_selectorIN6thrust23THRUST_200600_302600_NS5tupleIblNS6_9null_typeES8_S8_S8_S8_S8_S8_S8_EEEEZNS1_11reduce_implILb1ES3_NS6_12zip_iteratorINS7_INS6_11hip_rocprim26transform_input_iterator_tIbNSD_35transform_pair_of_input_iterators_tIbNS6_6detail15normal_iteratorINS6_10device_ptrIKsEEEESL_NS6_8equal_toIsEEEENSG_9not_fun_tINSD_8identityEEEEENSD_19counting_iterator_tIlEES8_S8_S8_S8_S8_S8_S8_S8_EEEEPS9_S9_NSD_9__find_if7functorIS9_EEEE10hipError_tPvRmT1_T2_T3_mT4_P12ihipStream_tbEUlT_E0_NS1_11comp_targetILNS1_3genE5ELNS1_11target_archE942ELNS1_3gpuE9ELNS1_3repE0EEENS1_30default_config_static_selectorELNS0_4arch9wavefront6targetE1EEEvS14_,comdat
.Lfunc_end962:
	.size	_ZN7rocprim17ROCPRIM_400000_NS6detail17trampoline_kernelINS0_14default_configENS1_22reduce_config_selectorIN6thrust23THRUST_200600_302600_NS5tupleIblNS6_9null_typeES8_S8_S8_S8_S8_S8_S8_EEEEZNS1_11reduce_implILb1ES3_NS6_12zip_iteratorINS7_INS6_11hip_rocprim26transform_input_iterator_tIbNSD_35transform_pair_of_input_iterators_tIbNS6_6detail15normal_iteratorINS6_10device_ptrIKsEEEESL_NS6_8equal_toIsEEEENSG_9not_fun_tINSD_8identityEEEEENSD_19counting_iterator_tIlEES8_S8_S8_S8_S8_S8_S8_S8_EEEEPS9_S9_NSD_9__find_if7functorIS9_EEEE10hipError_tPvRmT1_T2_T3_mT4_P12ihipStream_tbEUlT_E0_NS1_11comp_targetILNS1_3genE5ELNS1_11target_archE942ELNS1_3gpuE9ELNS1_3repE0EEENS1_30default_config_static_selectorELNS0_4arch9wavefront6targetE1EEEvS14_, .Lfunc_end962-_ZN7rocprim17ROCPRIM_400000_NS6detail17trampoline_kernelINS0_14default_configENS1_22reduce_config_selectorIN6thrust23THRUST_200600_302600_NS5tupleIblNS6_9null_typeES8_S8_S8_S8_S8_S8_S8_EEEEZNS1_11reduce_implILb1ES3_NS6_12zip_iteratorINS7_INS6_11hip_rocprim26transform_input_iterator_tIbNSD_35transform_pair_of_input_iterators_tIbNS6_6detail15normal_iteratorINS6_10device_ptrIKsEEEESL_NS6_8equal_toIsEEEENSG_9not_fun_tINSD_8identityEEEEENSD_19counting_iterator_tIlEES8_S8_S8_S8_S8_S8_S8_S8_EEEEPS9_S9_NSD_9__find_if7functorIS9_EEEE10hipError_tPvRmT1_T2_T3_mT4_P12ihipStream_tbEUlT_E0_NS1_11comp_targetILNS1_3genE5ELNS1_11target_archE942ELNS1_3gpuE9ELNS1_3repE0EEENS1_30default_config_static_selectorELNS0_4arch9wavefront6targetE1EEEvS14_
                                        ; -- End function
	.section	.AMDGPU.csdata,"",@progbits
; Kernel info:
; codeLenInByte = 0
; NumSgprs: 4
; NumVgprs: 0
; NumAgprs: 0
; TotalNumVgprs: 0
; ScratchSize: 0
; MemoryBound: 0
; FloatMode: 240
; IeeeMode: 1
; LDSByteSize: 0 bytes/workgroup (compile time only)
; SGPRBlocks: 0
; VGPRBlocks: 0
; NumSGPRsForWavesPerEU: 4
; NumVGPRsForWavesPerEU: 1
; AccumOffset: 4
; Occupancy: 8
; WaveLimiterHint : 0
; COMPUTE_PGM_RSRC2:SCRATCH_EN: 0
; COMPUTE_PGM_RSRC2:USER_SGPR: 6
; COMPUTE_PGM_RSRC2:TRAP_HANDLER: 0
; COMPUTE_PGM_RSRC2:TGID_X_EN: 1
; COMPUTE_PGM_RSRC2:TGID_Y_EN: 0
; COMPUTE_PGM_RSRC2:TGID_Z_EN: 0
; COMPUTE_PGM_RSRC2:TIDIG_COMP_CNT: 0
; COMPUTE_PGM_RSRC3_GFX90A:ACCUM_OFFSET: 0
; COMPUTE_PGM_RSRC3_GFX90A:TG_SPLIT: 0
	.section	.text._ZN7rocprim17ROCPRIM_400000_NS6detail17trampoline_kernelINS0_14default_configENS1_22reduce_config_selectorIN6thrust23THRUST_200600_302600_NS5tupleIblNS6_9null_typeES8_S8_S8_S8_S8_S8_S8_EEEEZNS1_11reduce_implILb1ES3_NS6_12zip_iteratorINS7_INS6_11hip_rocprim26transform_input_iterator_tIbNSD_35transform_pair_of_input_iterators_tIbNS6_6detail15normal_iteratorINS6_10device_ptrIKsEEEESL_NS6_8equal_toIsEEEENSG_9not_fun_tINSD_8identityEEEEENSD_19counting_iterator_tIlEES8_S8_S8_S8_S8_S8_S8_S8_EEEEPS9_S9_NSD_9__find_if7functorIS9_EEEE10hipError_tPvRmT1_T2_T3_mT4_P12ihipStream_tbEUlT_E0_NS1_11comp_targetILNS1_3genE4ELNS1_11target_archE910ELNS1_3gpuE8ELNS1_3repE0EEENS1_30default_config_static_selectorELNS0_4arch9wavefront6targetE1EEEvS14_,"axG",@progbits,_ZN7rocprim17ROCPRIM_400000_NS6detail17trampoline_kernelINS0_14default_configENS1_22reduce_config_selectorIN6thrust23THRUST_200600_302600_NS5tupleIblNS6_9null_typeES8_S8_S8_S8_S8_S8_S8_EEEEZNS1_11reduce_implILb1ES3_NS6_12zip_iteratorINS7_INS6_11hip_rocprim26transform_input_iterator_tIbNSD_35transform_pair_of_input_iterators_tIbNS6_6detail15normal_iteratorINS6_10device_ptrIKsEEEESL_NS6_8equal_toIsEEEENSG_9not_fun_tINSD_8identityEEEEENSD_19counting_iterator_tIlEES8_S8_S8_S8_S8_S8_S8_S8_EEEEPS9_S9_NSD_9__find_if7functorIS9_EEEE10hipError_tPvRmT1_T2_T3_mT4_P12ihipStream_tbEUlT_E0_NS1_11comp_targetILNS1_3genE4ELNS1_11target_archE910ELNS1_3gpuE8ELNS1_3repE0EEENS1_30default_config_static_selectorELNS0_4arch9wavefront6targetE1EEEvS14_,comdat
	.protected	_ZN7rocprim17ROCPRIM_400000_NS6detail17trampoline_kernelINS0_14default_configENS1_22reduce_config_selectorIN6thrust23THRUST_200600_302600_NS5tupleIblNS6_9null_typeES8_S8_S8_S8_S8_S8_S8_EEEEZNS1_11reduce_implILb1ES3_NS6_12zip_iteratorINS7_INS6_11hip_rocprim26transform_input_iterator_tIbNSD_35transform_pair_of_input_iterators_tIbNS6_6detail15normal_iteratorINS6_10device_ptrIKsEEEESL_NS6_8equal_toIsEEEENSG_9not_fun_tINSD_8identityEEEEENSD_19counting_iterator_tIlEES8_S8_S8_S8_S8_S8_S8_S8_EEEEPS9_S9_NSD_9__find_if7functorIS9_EEEE10hipError_tPvRmT1_T2_T3_mT4_P12ihipStream_tbEUlT_E0_NS1_11comp_targetILNS1_3genE4ELNS1_11target_archE910ELNS1_3gpuE8ELNS1_3repE0EEENS1_30default_config_static_selectorELNS0_4arch9wavefront6targetE1EEEvS14_ ; -- Begin function _ZN7rocprim17ROCPRIM_400000_NS6detail17trampoline_kernelINS0_14default_configENS1_22reduce_config_selectorIN6thrust23THRUST_200600_302600_NS5tupleIblNS6_9null_typeES8_S8_S8_S8_S8_S8_S8_EEEEZNS1_11reduce_implILb1ES3_NS6_12zip_iteratorINS7_INS6_11hip_rocprim26transform_input_iterator_tIbNSD_35transform_pair_of_input_iterators_tIbNS6_6detail15normal_iteratorINS6_10device_ptrIKsEEEESL_NS6_8equal_toIsEEEENSG_9not_fun_tINSD_8identityEEEEENSD_19counting_iterator_tIlEES8_S8_S8_S8_S8_S8_S8_S8_EEEEPS9_S9_NSD_9__find_if7functorIS9_EEEE10hipError_tPvRmT1_T2_T3_mT4_P12ihipStream_tbEUlT_E0_NS1_11comp_targetILNS1_3genE4ELNS1_11target_archE910ELNS1_3gpuE8ELNS1_3repE0EEENS1_30default_config_static_selectorELNS0_4arch9wavefront6targetE1EEEvS14_
	.globl	_ZN7rocprim17ROCPRIM_400000_NS6detail17trampoline_kernelINS0_14default_configENS1_22reduce_config_selectorIN6thrust23THRUST_200600_302600_NS5tupleIblNS6_9null_typeES8_S8_S8_S8_S8_S8_S8_EEEEZNS1_11reduce_implILb1ES3_NS6_12zip_iteratorINS7_INS6_11hip_rocprim26transform_input_iterator_tIbNSD_35transform_pair_of_input_iterators_tIbNS6_6detail15normal_iteratorINS6_10device_ptrIKsEEEESL_NS6_8equal_toIsEEEENSG_9not_fun_tINSD_8identityEEEEENSD_19counting_iterator_tIlEES8_S8_S8_S8_S8_S8_S8_S8_EEEEPS9_S9_NSD_9__find_if7functorIS9_EEEE10hipError_tPvRmT1_T2_T3_mT4_P12ihipStream_tbEUlT_E0_NS1_11comp_targetILNS1_3genE4ELNS1_11target_archE910ELNS1_3gpuE8ELNS1_3repE0EEENS1_30default_config_static_selectorELNS0_4arch9wavefront6targetE1EEEvS14_
	.p2align	8
	.type	_ZN7rocprim17ROCPRIM_400000_NS6detail17trampoline_kernelINS0_14default_configENS1_22reduce_config_selectorIN6thrust23THRUST_200600_302600_NS5tupleIblNS6_9null_typeES8_S8_S8_S8_S8_S8_S8_EEEEZNS1_11reduce_implILb1ES3_NS6_12zip_iteratorINS7_INS6_11hip_rocprim26transform_input_iterator_tIbNSD_35transform_pair_of_input_iterators_tIbNS6_6detail15normal_iteratorINS6_10device_ptrIKsEEEESL_NS6_8equal_toIsEEEENSG_9not_fun_tINSD_8identityEEEEENSD_19counting_iterator_tIlEES8_S8_S8_S8_S8_S8_S8_S8_EEEEPS9_S9_NSD_9__find_if7functorIS9_EEEE10hipError_tPvRmT1_T2_T3_mT4_P12ihipStream_tbEUlT_E0_NS1_11comp_targetILNS1_3genE4ELNS1_11target_archE910ELNS1_3gpuE8ELNS1_3repE0EEENS1_30default_config_static_selectorELNS0_4arch9wavefront6targetE1EEEvS14_,@function
_ZN7rocprim17ROCPRIM_400000_NS6detail17trampoline_kernelINS0_14default_configENS1_22reduce_config_selectorIN6thrust23THRUST_200600_302600_NS5tupleIblNS6_9null_typeES8_S8_S8_S8_S8_S8_S8_EEEEZNS1_11reduce_implILb1ES3_NS6_12zip_iteratorINS7_INS6_11hip_rocprim26transform_input_iterator_tIbNSD_35transform_pair_of_input_iterators_tIbNS6_6detail15normal_iteratorINS6_10device_ptrIKsEEEESL_NS6_8equal_toIsEEEENSG_9not_fun_tINSD_8identityEEEEENSD_19counting_iterator_tIlEES8_S8_S8_S8_S8_S8_S8_S8_EEEEPS9_S9_NSD_9__find_if7functorIS9_EEEE10hipError_tPvRmT1_T2_T3_mT4_P12ihipStream_tbEUlT_E0_NS1_11comp_targetILNS1_3genE4ELNS1_11target_archE910ELNS1_3gpuE8ELNS1_3repE0EEENS1_30default_config_static_selectorELNS0_4arch9wavefront6targetE1EEEvS14_: ; @_ZN7rocprim17ROCPRIM_400000_NS6detail17trampoline_kernelINS0_14default_configENS1_22reduce_config_selectorIN6thrust23THRUST_200600_302600_NS5tupleIblNS6_9null_typeES8_S8_S8_S8_S8_S8_S8_EEEEZNS1_11reduce_implILb1ES3_NS6_12zip_iteratorINS7_INS6_11hip_rocprim26transform_input_iterator_tIbNSD_35transform_pair_of_input_iterators_tIbNS6_6detail15normal_iteratorINS6_10device_ptrIKsEEEESL_NS6_8equal_toIsEEEENSG_9not_fun_tINSD_8identityEEEEENSD_19counting_iterator_tIlEES8_S8_S8_S8_S8_S8_S8_S8_EEEEPS9_S9_NSD_9__find_if7functorIS9_EEEE10hipError_tPvRmT1_T2_T3_mT4_P12ihipStream_tbEUlT_E0_NS1_11comp_targetILNS1_3genE4ELNS1_11target_archE910ELNS1_3gpuE8ELNS1_3repE0EEENS1_30default_config_static_selectorELNS0_4arch9wavefront6targetE1EEEvS14_
; %bb.0:
	s_load_dwordx8 s[8:15], s[4:5], 0x20
	s_load_dwordx4 s[0:3], s[4:5], 0x0
	s_load_dwordx4 s[16:19], s[4:5], 0x40
	s_mov_b32 s25, 0
	s_mov_b32 s7, s25
	s_waitcnt lgkmcnt(0)
	s_lshl_b64 s[20:21], s[10:11], 1
	s_add_u32 s22, s0, s20
	s_addc_u32 s23, s1, s21
	s_add_u32 s26, s2, s20
	s_addc_u32 s27, s3, s21
	s_lshl_b32 s24, s6, 9
	s_lshr_b64 s[0:1], s[12:13], 9
	s_lshl_b64 s[2:3], s[24:25], 1
	s_add_u32 s20, s22, s2
	s_addc_u32 s21, s23, s3
	s_add_u32 s22, s26, s2
	s_addc_u32 s23, s27, s3
	;; [unrolled: 2-line block ×4, first 2 shown]
	s_cmp_lg_u64 s[0:1], s[6:7]
	v_lshlrev_b32_e32 v1, 1, v0
	s_cbranch_scc0 .LBB963_18
; %bb.1:
	global_load_ushort v2, v1, s[22:23] offset:512
	global_load_ushort v3, v1, s[22:23]
	global_load_ushort v4, v1, s[20:21] offset:512
	global_load_ushort v5, v1, s[20:21]
	v_mov_b32_e32 v6, s9
	v_add_co_u32_e32 v7, vcc, s8, v0
	v_addc_co_u32_e32 v6, vcc, 0, v6, vcc
	v_add_co_u32_e32 v8, vcc, 0x100, v7
	v_addc_co_u32_e32 v9, vcc, 0, v6, vcc
	s_waitcnt vmcnt(1)
	v_cmp_ne_u16_e32 vcc, v4, v2
	s_waitcnt vmcnt(0)
	v_cmp_ne_u16_e64 s[0:1], v5, v3
	v_cndmask_b32_e64 v3, v9, v6, s[0:1]
	v_cndmask_b32_e64 v2, v8, v7, s[0:1]
	s_or_b64 s[0:1], s[0:1], vcc
	v_cndmask_b32_e64 v6, 0, 1, s[0:1]
	v_mov_b32_dpp v4, v2 quad_perm:[1,0,3,2] row_mask:0xf bank_mask:0xf bound_ctrl:1
	v_mov_b32_dpp v5, v3 quad_perm:[1,0,3,2] row_mask:0xf bank_mask:0xf bound_ctrl:1
	;; [unrolled: 1-line block ×3, first 2 shown]
	v_and_b32_e32 v8, 1, v7
	v_cmp_eq_u32_e32 vcc, 1, v8
	s_and_saveexec_b64 s[2:3], vcc
; %bb.2:
	v_cmp_lt_i64_e32 vcc, v[2:3], v[4:5]
	v_cndmask_b32_e64 v7, v7, 1, s[0:1]
	s_and_b64 vcc, s[0:1], vcc
	v_cndmask_b32_e32 v2, v4, v2, vcc
	v_and_b32_e32 v4, 1, v7
	v_cndmask_b32_e32 v3, v5, v3, vcc
	v_cmp_eq_u32_e32 vcc, 1, v4
	s_andn2_b64 s[0:1], s[0:1], exec
	s_and_b64 s[10:11], vcc, exec
	v_and_b32_e32 v6, 0xff, v7
	s_or_b64 s[0:1], s[0:1], s[10:11]
; %bb.3:
	s_or_b64 exec, exec, s[2:3]
	v_mov_b32_dpp v7, v6 quad_perm:[2,3,0,1] row_mask:0xf bank_mask:0xf bound_ctrl:1
	v_and_b32_e32 v8, 1, v7
	v_mov_b32_dpp v4, v2 quad_perm:[2,3,0,1] row_mask:0xf bank_mask:0xf bound_ctrl:1
	v_mov_b32_dpp v5, v3 quad_perm:[2,3,0,1] row_mask:0xf bank_mask:0xf bound_ctrl:1
	v_cmp_eq_u32_e32 vcc, 1, v8
	s_and_saveexec_b64 s[2:3], vcc
; %bb.4:
	v_cmp_lt_i64_e32 vcc, v[2:3], v[4:5]
	v_cndmask_b32_e64 v7, v7, 1, s[0:1]
	s_and_b64 vcc, s[0:1], vcc
	v_cndmask_b32_e32 v2, v4, v2, vcc
	v_and_b32_e32 v4, 1, v7
	v_cndmask_b32_e32 v3, v5, v3, vcc
	v_cmp_eq_u32_e32 vcc, 1, v4
	s_andn2_b64 s[0:1], s[0:1], exec
	s_and_b64 s[10:11], vcc, exec
	v_and_b32_e32 v6, 0xff, v7
	s_or_b64 s[0:1], s[0:1], s[10:11]
; %bb.5:
	s_or_b64 exec, exec, s[2:3]
	v_mov_b32_dpp v7, v6 row_ror:4 row_mask:0xf bank_mask:0xf bound_ctrl:1
	v_and_b32_e32 v8, 1, v7
	v_mov_b32_dpp v4, v2 row_ror:4 row_mask:0xf bank_mask:0xf bound_ctrl:1
	v_mov_b32_dpp v5, v3 row_ror:4 row_mask:0xf bank_mask:0xf bound_ctrl:1
	v_cmp_eq_u32_e32 vcc, 1, v8
	s_and_saveexec_b64 s[2:3], vcc
; %bb.6:
	v_cmp_lt_i64_e32 vcc, v[2:3], v[4:5]
	v_cndmask_b32_e64 v7, v7, 1, s[0:1]
	s_and_b64 vcc, s[0:1], vcc
	v_cndmask_b32_e32 v2, v4, v2, vcc
	v_and_b32_e32 v4, 1, v7
	v_cndmask_b32_e32 v3, v5, v3, vcc
	v_cmp_eq_u32_e32 vcc, 1, v4
	s_andn2_b64 s[0:1], s[0:1], exec
	s_and_b64 s[10:11], vcc, exec
	v_and_b32_e32 v6, 0xff, v7
	s_or_b64 s[0:1], s[0:1], s[10:11]
; %bb.7:
	s_or_b64 exec, exec, s[2:3]
	v_mov_b32_dpp v7, v6 row_ror:8 row_mask:0xf bank_mask:0xf bound_ctrl:1
	v_and_b32_e32 v8, 1, v7
	v_mov_b32_dpp v4, v2 row_ror:8 row_mask:0xf bank_mask:0xf bound_ctrl:1
	v_mov_b32_dpp v5, v3 row_ror:8 row_mask:0xf bank_mask:0xf bound_ctrl:1
	v_cmp_eq_u32_e32 vcc, 1, v8
	s_and_saveexec_b64 s[2:3], vcc
; %bb.8:
	v_cmp_lt_i64_e32 vcc, v[2:3], v[4:5]
	v_cndmask_b32_e64 v7, v7, 1, s[0:1]
	s_and_b64 vcc, s[0:1], vcc
	v_cndmask_b32_e32 v2, v4, v2, vcc
	v_and_b32_e32 v4, 1, v7
	v_cndmask_b32_e32 v3, v5, v3, vcc
	v_cmp_eq_u32_e32 vcc, 1, v4
	s_andn2_b64 s[0:1], s[0:1], exec
	s_and_b64 s[10:11], vcc, exec
	v_and_b32_e32 v6, 0xff, v7
	s_or_b64 s[0:1], s[0:1], s[10:11]
; %bb.9:
	s_or_b64 exec, exec, s[2:3]
	v_mov_b32_dpp v7, v6 row_bcast:15 row_mask:0xf bank_mask:0xf bound_ctrl:1
	v_and_b32_e32 v8, 1, v7
	v_mov_b32_dpp v4, v2 row_bcast:15 row_mask:0xf bank_mask:0xf bound_ctrl:1
	v_mov_b32_dpp v5, v3 row_bcast:15 row_mask:0xf bank_mask:0xf bound_ctrl:1
	v_cmp_eq_u32_e32 vcc, 1, v8
	s_and_saveexec_b64 s[2:3], vcc
; %bb.10:
	v_cmp_lt_i64_e32 vcc, v[2:3], v[4:5]
	v_cndmask_b32_e64 v7, v7, 1, s[0:1]
	s_and_b64 vcc, s[0:1], vcc
	v_cndmask_b32_e32 v2, v4, v2, vcc
	v_and_b32_e32 v4, 1, v7
	v_cndmask_b32_e32 v3, v5, v3, vcc
	v_cmp_eq_u32_e32 vcc, 1, v4
	s_andn2_b64 s[0:1], s[0:1], exec
	s_and_b64 s[10:11], vcc, exec
	v_and_b32_e32 v6, 0xff, v7
	s_or_b64 s[0:1], s[0:1], s[10:11]
; %bb.11:
	s_or_b64 exec, exec, s[2:3]
	v_mov_b32_dpp v7, v6 row_bcast:31 row_mask:0xf bank_mask:0xf bound_ctrl:1
	v_and_b32_e32 v8, 1, v7
	v_mov_b32_dpp v4, v2 row_bcast:31 row_mask:0xf bank_mask:0xf bound_ctrl:1
	v_mov_b32_dpp v5, v3 row_bcast:31 row_mask:0xf bank_mask:0xf bound_ctrl:1
	v_cmp_eq_u32_e32 vcc, 1, v8
	s_and_saveexec_b64 s[2:3], vcc
; %bb.12:
	v_cmp_lt_i64_e32 vcc, v[2:3], v[4:5]
	v_and_b32_e32 v6, 0xff, v7
	s_and_b64 vcc, s[0:1], vcc
	v_cndmask_b32_e32 v2, v4, v2, vcc
	v_cndmask_b32_e32 v3, v5, v3, vcc
	v_cndmask_b32_e64 v6, v6, 1, s[0:1]
; %bb.13:
	s_or_b64 exec, exec, s[2:3]
	v_mbcnt_lo_u32_b32 v4, -1, 0
	v_mbcnt_hi_u32_b32 v4, -1, v4
	v_bfrev_b32_e32 v5, 0.5
	v_lshl_or_b32 v5, v4, 2, v5
	ds_bpermute_b32 v6, v5, v6
	ds_bpermute_b32 v2, v5, v2
	;; [unrolled: 1-line block ×3, first 2 shown]
	v_cmp_eq_u32_e32 vcc, 0, v4
	s_and_saveexec_b64 s[0:1], vcc
	s_cbranch_execz .LBB963_15
; %bb.14:
	v_lshrrev_b32_e32 v5, 2, v0
	v_and_b32_e32 v5, 48, v5
	s_waitcnt lgkmcnt(2)
	ds_write_b8 v5, v6
	s_waitcnt lgkmcnt(1)
	ds_write_b64 v5, v[2:3] offset:8
.LBB963_15:
	s_or_b64 exec, exec, s[0:1]
	v_cmp_gt_u32_e32 vcc, 64, v0
	s_waitcnt lgkmcnt(0)
	s_barrier
	s_and_saveexec_b64 s[2:3], vcc
	s_cbranch_execz .LBB963_17
; %bb.16:
	v_and_b32_e32 v5, 3, v4
	v_lshlrev_b32_e32 v2, 4, v5
	ds_read_u8 v8, v2
	ds_read_b64 v[2:3], v2 offset:8
	v_cmp_ne_u32_e32 vcc, 3, v5
	v_addc_co_u32_e32 v6, vcc, 0, v4, vcc
	s_waitcnt lgkmcnt(1)
	v_and_b32_e32 v7, 0xff, v8
	v_lshlrev_b32_e32 v9, 2, v6
	ds_bpermute_b32 v10, v9, v7
	s_waitcnt lgkmcnt(1)
	ds_bpermute_b32 v6, v9, v2
	ds_bpermute_b32 v7, v9, v3
	v_and_b32_e32 v9, 1, v8
	s_waitcnt lgkmcnt(2)
	v_and_b32_e32 v11, 1, v10
	v_cmp_eq_u32_e64 s[0:1], 1, v11
	s_waitcnt lgkmcnt(0)
	v_cmp_lt_i64_e32 vcc, v[6:7], v[2:3]
	s_and_b64 vcc, s[0:1], vcc
	v_cndmask_b32_e64 v8, v8, 1, s[0:1]
	v_cndmask_b32_e32 v2, v2, v6, vcc
	v_cndmask_b32_e32 v3, v3, v7, vcc
	v_cmp_eq_u32_e32 vcc, 1, v9
	v_cndmask_b32_e32 v8, v10, v8, vcc
	v_cndmask_b32_e32 v3, v7, v3, vcc
	;; [unrolled: 1-line block ×3, first 2 shown]
	v_cmp_gt_u32_e32 vcc, 2, v5
	v_cndmask_b32_e64 v5, 0, 1, vcc
	v_lshlrev_b32_e32 v5, 1, v5
	v_and_b32_e32 v6, 0xff, v8
	v_add_lshl_u32 v5, v5, v4, 2
	ds_bpermute_b32 v6, v5, v6
	ds_bpermute_b32 v4, v5, v2
	;; [unrolled: 1-line block ×3, first 2 shown]
	v_and_b32_e32 v7, 1, v8
	s_waitcnt lgkmcnt(2)
	v_and_b32_e32 v9, 1, v6
	v_cmp_eq_u32_e64 s[0:1], 1, v9
	s_waitcnt lgkmcnt(0)
	v_cmp_lt_i64_e32 vcc, v[4:5], v[2:3]
	s_and_b64 vcc, s[0:1], vcc
	v_cndmask_b32_e64 v8, v8, 1, s[0:1]
	v_cndmask_b32_e32 v2, v2, v4, vcc
	v_cndmask_b32_e32 v3, v3, v5, vcc
	v_cmp_eq_u32_e32 vcc, 1, v7
	v_cndmask_b32_e32 v6, v6, v8, vcc
	v_cndmask_b32_e32 v3, v5, v3, vcc
	;; [unrolled: 1-line block ×3, first 2 shown]
	v_and_b32_e32 v6, 0xff, v6
.LBB963_17:
	s_or_b64 exec, exec, s[2:3]
	s_load_dword s10, s[4:5], 0x50
	s_load_dwordx2 s[2:3], s[4:5], 0x58
	s_branch .LBB963_46
.LBB963_18:
                                        ; implicit-def: $vgpr2_vgpr3
                                        ; implicit-def: $vgpr6
	s_load_dword s10, s[4:5], 0x50
	s_load_dwordx2 s[2:3], s[4:5], 0x58
	s_cbranch_execz .LBB963_46
; %bb.19:
	s_sub_i32 s11, s12, s24
	v_pk_mov_b32 v[4:5], 0, 0
	v_cmp_gt_u32_e32 vcc, s11, v0
	v_mov_b32_e32 v6, 0
	v_pk_mov_b32 v[2:3], v[4:5], v[4:5] op_sel:[0,1]
	v_mov_b32_e32 v7, 0
	s_and_saveexec_b64 s[0:1], vcc
	s_cbranch_execz .LBB963_21
; %bb.20:
	global_load_ushort v7, v1, s[20:21]
	global_load_ushort v8, v1, s[22:23]
	v_mov_b32_e32 v3, s9
	v_add_co_u32_e32 v2, vcc, s8, v0
	v_addc_co_u32_e32 v3, vcc, 0, v3, vcc
	s_waitcnt vmcnt(0)
	v_cmp_ne_u16_e32 vcc, v7, v8
	v_cndmask_b32_e64 v7, 0, 1, vcc
.LBB963_21:
	s_or_b64 exec, exec, s[0:1]
	v_or_b32_e32 v8, 0x100, v0
	v_cmp_gt_u32_e32 vcc, s11, v8
	s_and_saveexec_b64 s[4:5], vcc
	s_cbranch_execz .LBB963_23
; %bb.22:
	global_load_ushort v6, v1, s[20:21] offset:512
	global_load_ushort v9, v1, s[22:23] offset:512
	v_mov_b32_e32 v1, s9
	v_add_co_u32_e64 v4, s[0:1], s8, v8
	v_addc_co_u32_e64 v5, s[0:1], 0, v1, s[0:1]
	s_waitcnt vmcnt(0)
	v_cmp_ne_u16_e64 s[0:1], v6, v9
	v_cndmask_b32_e64 v6, 0, 1, s[0:1]
.LBB963_23:
	s_or_b64 exec, exec, s[4:5]
	s_and_saveexec_b64 s[4:5], vcc
	s_cbranch_execz .LBB963_25
; %bb.24:
	v_and_b32_e32 v8, 1, v6
	v_cmp_lt_i64_e32 vcc, v[4:5], v[2:3]
	v_cmp_eq_u32_e64 s[0:1], 1, v8
	v_and_b32_e32 v1, 1, v7
	s_and_b64 vcc, s[0:1], vcc
	v_cndmask_b32_e64 v7, v7, 1, s[0:1]
	v_cndmask_b32_e32 v2, v2, v4, vcc
	v_cndmask_b32_e32 v3, v3, v5, vcc
	v_cmp_eq_u32_e32 vcc, 1, v1
	v_cndmask_b32_e32 v7, v6, v7, vcc
	v_cndmask_b32_e32 v3, v5, v3, vcc
	v_cndmask_b32_e32 v2, v4, v2, vcc
.LBB963_25:
	s_or_b64 exec, exec, s[4:5]
	v_mbcnt_lo_u32_b32 v1, -1, 0
	v_mbcnt_hi_u32_b32 v1, -1, v1
	v_and_b32_e32 v8, 63, v1
	v_cmp_ne_u32_e32 vcc, 63, v8
	v_addc_co_u32_e32 v4, vcc, 0, v1, vcc
	v_and_b32_e32 v6, 0xffff, v7
	v_lshlrev_b32_e32 v5, 2, v4
	ds_bpermute_b32 v10, v5, v6
	ds_bpermute_b32 v4, v5, v2
	;; [unrolled: 1-line block ×3, first 2 shown]
	s_min_u32 s8, s11, 0x100
	v_and_b32_e32 v9, 0xc0, v0
	v_sub_u32_e64 v9, s8, v9 clamp
	v_add_u32_e32 v11, 1, v8
	v_cmp_lt_u32_e32 vcc, v11, v9
	s_and_saveexec_b64 s[4:5], vcc
	s_cbranch_execz .LBB963_27
; %bb.26:
	s_waitcnt lgkmcnt(0)
	v_and_b32_e32 v11, 1, v10
	v_cmp_lt_i64_e32 vcc, v[4:5], v[2:3]
	v_cmp_eq_u32_e64 s[0:1], 1, v11
	v_and_b32_e32 v6, 1, v7
	s_and_b64 vcc, s[0:1], vcc
	v_cndmask_b32_e64 v7, v7, 1, s[0:1]
	v_cndmask_b32_e32 v2, v2, v4, vcc
	v_cndmask_b32_e32 v3, v3, v5, vcc
	v_cmp_eq_u32_e32 vcc, 1, v6
	v_cndmask_b32_e32 v7, v10, v7, vcc
	v_cndmask_b32_e32 v3, v5, v3, vcc
	;; [unrolled: 1-line block ×3, first 2 shown]
	v_and_b32_e32 v6, 0xff, v7
.LBB963_27:
	s_or_b64 exec, exec, s[4:5]
	v_cmp_gt_u32_e32 vcc, 62, v8
	s_waitcnt lgkmcnt(0)
	v_cndmask_b32_e64 v4, 0, 1, vcc
	v_lshlrev_b32_e32 v4, 1, v4
	v_add_lshl_u32 v5, v4, v1, 2
	ds_bpermute_b32 v10, v5, v6
	ds_bpermute_b32 v4, v5, v2
	ds_bpermute_b32 v5, v5, v3
	v_add_u32_e32 v11, 2, v8
	v_cmp_lt_u32_e32 vcc, v11, v9
	s_and_saveexec_b64 s[4:5], vcc
	s_cbranch_execz .LBB963_29
; %bb.28:
	s_waitcnt lgkmcnt(2)
	v_and_b32_e32 v11, 1, v10
	s_waitcnt lgkmcnt(0)
	v_cmp_lt_i64_e32 vcc, v[4:5], v[2:3]
	v_cmp_eq_u32_e64 s[0:1], 1, v11
	v_and_b32_e32 v6, 1, v7
	s_and_b64 vcc, s[0:1], vcc
	v_cndmask_b32_e64 v7, v7, 1, s[0:1]
	v_cndmask_b32_e32 v2, v2, v4, vcc
	v_cndmask_b32_e32 v3, v3, v5, vcc
	v_cmp_eq_u32_e32 vcc, 1, v6
	v_cndmask_b32_e32 v7, v10, v7, vcc
	v_cndmask_b32_e32 v3, v5, v3, vcc
	v_cndmask_b32_e32 v2, v4, v2, vcc
	v_and_b32_e32 v6, 0xff, v7
.LBB963_29:
	s_or_b64 exec, exec, s[4:5]
	v_cmp_gt_u32_e32 vcc, 60, v8
	s_waitcnt lgkmcnt(1)
	v_cndmask_b32_e64 v4, 0, 1, vcc
	v_lshlrev_b32_e32 v4, 2, v4
	s_waitcnt lgkmcnt(0)
	v_add_lshl_u32 v5, v4, v1, 2
	ds_bpermute_b32 v10, v5, v6
	ds_bpermute_b32 v4, v5, v2
	ds_bpermute_b32 v5, v5, v3
	v_add_u32_e32 v11, 4, v8
	v_cmp_lt_u32_e32 vcc, v11, v9
	s_and_saveexec_b64 s[4:5], vcc
	s_cbranch_execz .LBB963_31
; %bb.30:
	s_waitcnt lgkmcnt(2)
	v_and_b32_e32 v11, 1, v10
	s_waitcnt lgkmcnt(0)
	v_cmp_lt_i64_e32 vcc, v[4:5], v[2:3]
	v_cmp_eq_u32_e64 s[0:1], 1, v11
	v_and_b32_e32 v6, 1, v7
	s_and_b64 vcc, s[0:1], vcc
	v_cndmask_b32_e64 v7, v7, 1, s[0:1]
	v_cndmask_b32_e32 v2, v2, v4, vcc
	v_cndmask_b32_e32 v3, v3, v5, vcc
	v_cmp_eq_u32_e32 vcc, 1, v6
	v_cndmask_b32_e32 v7, v10, v7, vcc
	v_cndmask_b32_e32 v3, v5, v3, vcc
	v_cndmask_b32_e32 v2, v4, v2, vcc
	v_and_b32_e32 v6, 0xff, v7
.LBB963_31:
	s_or_b64 exec, exec, s[4:5]
	v_cmp_gt_u32_e32 vcc, 56, v8
	s_waitcnt lgkmcnt(1)
	v_cndmask_b32_e64 v4, 0, 1, vcc
	v_lshlrev_b32_e32 v4, 3, v4
	s_waitcnt lgkmcnt(0)
	v_add_lshl_u32 v5, v4, v1, 2
	ds_bpermute_b32 v10, v5, v6
	ds_bpermute_b32 v4, v5, v2
	ds_bpermute_b32 v5, v5, v3
	v_add_u32_e32 v11, 8, v8
	v_cmp_lt_u32_e32 vcc, v11, v9
	s_and_saveexec_b64 s[4:5], vcc
	s_cbranch_execz .LBB963_33
; %bb.32:
	s_waitcnt lgkmcnt(2)
	v_and_b32_e32 v11, 1, v10
	s_waitcnt lgkmcnt(0)
	v_cmp_lt_i64_e32 vcc, v[4:5], v[2:3]
	v_cmp_eq_u32_e64 s[0:1], 1, v11
	v_and_b32_e32 v6, 1, v7
	s_and_b64 vcc, s[0:1], vcc
	v_cndmask_b32_e64 v7, v7, 1, s[0:1]
	v_cndmask_b32_e32 v2, v2, v4, vcc
	v_cndmask_b32_e32 v3, v3, v5, vcc
	v_cmp_eq_u32_e32 vcc, 1, v6
	v_cndmask_b32_e32 v7, v10, v7, vcc
	v_cndmask_b32_e32 v3, v5, v3, vcc
	v_cndmask_b32_e32 v2, v4, v2, vcc
	v_and_b32_e32 v6, 0xff, v7
.LBB963_33:
	s_or_b64 exec, exec, s[4:5]
	v_cmp_gt_u32_e32 vcc, 48, v8
	s_waitcnt lgkmcnt(1)
	v_cndmask_b32_e64 v4, 0, 1, vcc
	v_lshlrev_b32_e32 v4, 4, v4
	s_waitcnt lgkmcnt(0)
	v_add_lshl_u32 v5, v4, v1, 2
	ds_bpermute_b32 v10, v5, v6
	ds_bpermute_b32 v4, v5, v2
	ds_bpermute_b32 v5, v5, v3
	v_add_u32_e32 v11, 16, v8
	v_cmp_lt_u32_e32 vcc, v11, v9
	s_and_saveexec_b64 s[4:5], vcc
	s_cbranch_execz .LBB963_35
; %bb.34:
	s_waitcnt lgkmcnt(2)
	v_and_b32_e32 v11, 1, v10
	s_waitcnt lgkmcnt(0)
	v_cmp_lt_i64_e32 vcc, v[4:5], v[2:3]
	v_cmp_eq_u32_e64 s[0:1], 1, v11
	v_and_b32_e32 v6, 1, v7
	s_and_b64 vcc, s[0:1], vcc
	v_cndmask_b32_e64 v7, v7, 1, s[0:1]
	v_cndmask_b32_e32 v2, v2, v4, vcc
	v_cndmask_b32_e32 v3, v3, v5, vcc
	v_cmp_eq_u32_e32 vcc, 1, v6
	v_cndmask_b32_e32 v7, v10, v7, vcc
	v_cndmask_b32_e32 v3, v5, v3, vcc
	v_cndmask_b32_e32 v2, v4, v2, vcc
	v_and_b32_e32 v6, 0xff, v7
.LBB963_35:
	s_or_b64 exec, exec, s[4:5]
	v_cmp_gt_u32_e32 vcc, 32, v8
	s_waitcnt lgkmcnt(1)
	v_cndmask_b32_e64 v4, 0, 1, vcc
	v_lshlrev_b32_e32 v4, 5, v4
	s_waitcnt lgkmcnt(0)
	v_add_lshl_u32 v5, v4, v1, 2
	ds_bpermute_b32 v10, v5, v6
	ds_bpermute_b32 v4, v5, v2
	;; [unrolled: 1-line block ×3, first 2 shown]
	v_add_u32_e32 v8, 32, v8
	v_cmp_lt_u32_e32 vcc, v8, v9
	s_and_saveexec_b64 s[4:5], vcc
	s_cbranch_execz .LBB963_37
; %bb.36:
	s_waitcnt lgkmcnt(2)
	v_and_b32_e32 v8, 1, v10
	s_waitcnt lgkmcnt(0)
	v_cmp_lt_i64_e32 vcc, v[4:5], v[2:3]
	v_cmp_eq_u32_e64 s[0:1], 1, v8
	v_and_b32_e32 v6, 1, v7
	s_and_b64 vcc, s[0:1], vcc
	v_cndmask_b32_e64 v7, v7, 1, s[0:1]
	v_cndmask_b32_e32 v2, v2, v4, vcc
	v_cndmask_b32_e32 v3, v3, v5, vcc
	v_cmp_eq_u32_e32 vcc, 1, v6
	v_cndmask_b32_e32 v7, v10, v7, vcc
	v_cndmask_b32_e32 v3, v5, v3, vcc
	;; [unrolled: 1-line block ×3, first 2 shown]
	v_and_b32_e32 v6, 0xff, v7
.LBB963_37:
	s_or_b64 exec, exec, s[4:5]
	v_cmp_eq_u32_e32 vcc, 0, v1
	s_and_saveexec_b64 s[0:1], vcc
	s_cbranch_execz .LBB963_39
; %bb.38:
	s_waitcnt lgkmcnt(1)
	v_lshrrev_b32_e32 v4, 2, v0
	v_and_b32_e32 v4, 48, v4
	ds_write_b8 v4, v7 offset:64
	ds_write_b64 v4, v[2:3] offset:72
.LBB963_39:
	s_or_b64 exec, exec, s[0:1]
	v_cmp_gt_u32_e32 vcc, 4, v0
	s_waitcnt lgkmcnt(0)
	s_barrier
	s_and_saveexec_b64 s[4:5], vcc
	s_cbranch_execz .LBB963_45
; %bb.40:
	v_lshlrev_b32_e32 v2, 4, v1
	ds_read_u8 v7, v2 offset:64
	ds_read_b64 v[2:3], v2 offset:72
	v_and_b32_e32 v8, 3, v1
	v_cmp_ne_u32_e32 vcc, 3, v8
	v_addc_co_u32_e32 v4, vcc, 0, v1, vcc
	s_waitcnt lgkmcnt(1)
	v_and_b32_e32 v6, 0xff, v7
	v_lshlrev_b32_e32 v5, 2, v4
	ds_bpermute_b32 v9, v5, v6
	s_waitcnt lgkmcnt(1)
	ds_bpermute_b32 v4, v5, v2
	ds_bpermute_b32 v5, v5, v3
	s_add_i32 s8, s8, 63
	s_lshr_b32 s11, s8, 6
	v_add_u32_e32 v10, 1, v8
	v_cmp_gt_u32_e32 vcc, s11, v10
	s_and_saveexec_b64 s[8:9], vcc
	s_cbranch_execz .LBB963_42
; %bb.41:
	s_waitcnt lgkmcnt(2)
	v_and_b32_e32 v10, 1, v9
	s_waitcnt lgkmcnt(0)
	v_cmp_lt_i64_e32 vcc, v[4:5], v[2:3]
	v_cmp_eq_u32_e64 s[0:1], 1, v10
	v_and_b32_e32 v6, 1, v7
	s_and_b64 vcc, s[0:1], vcc
	v_cndmask_b32_e64 v7, v7, 1, s[0:1]
	v_cndmask_b32_e32 v2, v2, v4, vcc
	v_cndmask_b32_e32 v3, v3, v5, vcc
	v_cmp_eq_u32_e32 vcc, 1, v6
	v_cndmask_b32_e32 v7, v9, v7, vcc
	v_cndmask_b32_e32 v3, v5, v3, vcc
	v_cndmask_b32_e32 v2, v4, v2, vcc
	v_and_b32_e32 v6, 0xff, v7
.LBB963_42:
	s_or_b64 exec, exec, s[8:9]
	v_cmp_gt_u32_e32 vcc, 2, v8
	s_waitcnt lgkmcnt(1)
	v_cndmask_b32_e64 v4, 0, 1, vcc
	v_lshlrev_b32_e32 v4, 1, v4
	s_waitcnt lgkmcnt(0)
	v_add_lshl_u32 v5, v4, v1, 2
	ds_bpermute_b32 v1, v5, v6
	ds_bpermute_b32 v4, v5, v2
	;; [unrolled: 1-line block ×3, first 2 shown]
	v_add_u32_e32 v8, 2, v8
	v_cmp_gt_u32_e32 vcc, s11, v8
	s_and_saveexec_b64 s[8:9], vcc
	s_cbranch_execz .LBB963_44
; %bb.43:
	s_waitcnt lgkmcnt(2)
	v_and_b32_e32 v8, 1, v1
	s_waitcnt lgkmcnt(0)
	v_cmp_lt_i64_e32 vcc, v[4:5], v[2:3]
	v_cmp_eq_u32_e64 s[0:1], 1, v8
	v_and_b32_e32 v6, 1, v7
	s_and_b64 vcc, s[0:1], vcc
	v_cndmask_b32_e64 v7, v7, 1, s[0:1]
	v_cndmask_b32_e32 v2, v2, v4, vcc
	v_cndmask_b32_e32 v3, v3, v5, vcc
	v_cmp_eq_u32_e32 vcc, 1, v6
	v_cndmask_b32_e32 v1, v1, v7, vcc
	v_cndmask_b32_e32 v3, v5, v3, vcc
	;; [unrolled: 1-line block ×3, first 2 shown]
	v_and_b32_e32 v6, 0xff, v1
.LBB963_44:
	s_or_b64 exec, exec, s[8:9]
.LBB963_45:
	s_or_b64 exec, exec, s[4:5]
.LBB963_46:
	v_cmp_eq_u32_e32 vcc, 0, v0
	s_and_saveexec_b64 s[0:1], vcc
	s_cbranch_execnz .LBB963_48
; %bb.47:
	s_endpgm
.LBB963_48:
	s_mul_i32 s0, s18, s17
	s_mul_hi_u32 s1, s18, s16
	s_add_i32 s0, s1, s0
	s_mul_i32 s1, s19, s16
	s_add_i32 s1, s0, s1
	s_mul_i32 s0, s18, s16
	s_lshl_b64 s[0:1], s[0:1], 4
	s_add_u32 s4, s14, s0
	s_addc_u32 s5, s15, s1
	s_cmp_eq_u64 s[12:13], 0
	s_waitcnt lgkmcnt(0)
	v_mov_b32_e32 v0, s3
	s_cselect_b64 vcc, -1, 0
	v_cndmask_b32_e32 v1, v3, v0, vcc
	v_mov_b32_e32 v0, s2
	s_lshl_b64 s[0:1], s[6:7], 4
	v_cndmask_b32_e32 v0, v2, v0, vcc
	v_mov_b32_e32 v2, s10
	s_add_u32 s0, s4, s0
	v_cndmask_b32_e32 v2, v6, v2, vcc
	s_addc_u32 s1, s5, s1
	v_mov_b32_e32 v3, 0
	global_store_byte v3, v2, s[0:1]
	global_store_dwordx2 v3, v[0:1], s[0:1] offset:8
	s_endpgm
	.section	.rodata,"a",@progbits
	.p2align	6, 0x0
	.amdhsa_kernel _ZN7rocprim17ROCPRIM_400000_NS6detail17trampoline_kernelINS0_14default_configENS1_22reduce_config_selectorIN6thrust23THRUST_200600_302600_NS5tupleIblNS6_9null_typeES8_S8_S8_S8_S8_S8_S8_EEEEZNS1_11reduce_implILb1ES3_NS6_12zip_iteratorINS7_INS6_11hip_rocprim26transform_input_iterator_tIbNSD_35transform_pair_of_input_iterators_tIbNS6_6detail15normal_iteratorINS6_10device_ptrIKsEEEESL_NS6_8equal_toIsEEEENSG_9not_fun_tINSD_8identityEEEEENSD_19counting_iterator_tIlEES8_S8_S8_S8_S8_S8_S8_S8_EEEEPS9_S9_NSD_9__find_if7functorIS9_EEEE10hipError_tPvRmT1_T2_T3_mT4_P12ihipStream_tbEUlT_E0_NS1_11comp_targetILNS1_3genE4ELNS1_11target_archE910ELNS1_3gpuE8ELNS1_3repE0EEENS1_30default_config_static_selectorELNS0_4arch9wavefront6targetE1EEEvS14_
		.amdhsa_group_segment_fixed_size 128
		.amdhsa_private_segment_fixed_size 0
		.amdhsa_kernarg_size 104
		.amdhsa_user_sgpr_count 6
		.amdhsa_user_sgpr_private_segment_buffer 1
		.amdhsa_user_sgpr_dispatch_ptr 0
		.amdhsa_user_sgpr_queue_ptr 0
		.amdhsa_user_sgpr_kernarg_segment_ptr 1
		.amdhsa_user_sgpr_dispatch_id 0
		.amdhsa_user_sgpr_flat_scratch_init 0
		.amdhsa_user_sgpr_kernarg_preload_length 0
		.amdhsa_user_sgpr_kernarg_preload_offset 0
		.amdhsa_user_sgpr_private_segment_size 0
		.amdhsa_uses_dynamic_stack 0
		.amdhsa_system_sgpr_private_segment_wavefront_offset 0
		.amdhsa_system_sgpr_workgroup_id_x 1
		.amdhsa_system_sgpr_workgroup_id_y 0
		.amdhsa_system_sgpr_workgroup_id_z 0
		.amdhsa_system_sgpr_workgroup_info 0
		.amdhsa_system_vgpr_workitem_id 0
		.amdhsa_next_free_vgpr 12
		.amdhsa_next_free_sgpr 28
		.amdhsa_accum_offset 12
		.amdhsa_reserve_vcc 1
		.amdhsa_reserve_flat_scratch 0
		.amdhsa_float_round_mode_32 0
		.amdhsa_float_round_mode_16_64 0
		.amdhsa_float_denorm_mode_32 3
		.amdhsa_float_denorm_mode_16_64 3
		.amdhsa_dx10_clamp 1
		.amdhsa_ieee_mode 1
		.amdhsa_fp16_overflow 0
		.amdhsa_tg_split 0
		.amdhsa_exception_fp_ieee_invalid_op 0
		.amdhsa_exception_fp_denorm_src 0
		.amdhsa_exception_fp_ieee_div_zero 0
		.amdhsa_exception_fp_ieee_overflow 0
		.amdhsa_exception_fp_ieee_underflow 0
		.amdhsa_exception_fp_ieee_inexact 0
		.amdhsa_exception_int_div_zero 0
	.end_amdhsa_kernel
	.section	.text._ZN7rocprim17ROCPRIM_400000_NS6detail17trampoline_kernelINS0_14default_configENS1_22reduce_config_selectorIN6thrust23THRUST_200600_302600_NS5tupleIblNS6_9null_typeES8_S8_S8_S8_S8_S8_S8_EEEEZNS1_11reduce_implILb1ES3_NS6_12zip_iteratorINS7_INS6_11hip_rocprim26transform_input_iterator_tIbNSD_35transform_pair_of_input_iterators_tIbNS6_6detail15normal_iteratorINS6_10device_ptrIKsEEEESL_NS6_8equal_toIsEEEENSG_9not_fun_tINSD_8identityEEEEENSD_19counting_iterator_tIlEES8_S8_S8_S8_S8_S8_S8_S8_EEEEPS9_S9_NSD_9__find_if7functorIS9_EEEE10hipError_tPvRmT1_T2_T3_mT4_P12ihipStream_tbEUlT_E0_NS1_11comp_targetILNS1_3genE4ELNS1_11target_archE910ELNS1_3gpuE8ELNS1_3repE0EEENS1_30default_config_static_selectorELNS0_4arch9wavefront6targetE1EEEvS14_,"axG",@progbits,_ZN7rocprim17ROCPRIM_400000_NS6detail17trampoline_kernelINS0_14default_configENS1_22reduce_config_selectorIN6thrust23THRUST_200600_302600_NS5tupleIblNS6_9null_typeES8_S8_S8_S8_S8_S8_S8_EEEEZNS1_11reduce_implILb1ES3_NS6_12zip_iteratorINS7_INS6_11hip_rocprim26transform_input_iterator_tIbNSD_35transform_pair_of_input_iterators_tIbNS6_6detail15normal_iteratorINS6_10device_ptrIKsEEEESL_NS6_8equal_toIsEEEENSG_9not_fun_tINSD_8identityEEEEENSD_19counting_iterator_tIlEES8_S8_S8_S8_S8_S8_S8_S8_EEEEPS9_S9_NSD_9__find_if7functorIS9_EEEE10hipError_tPvRmT1_T2_T3_mT4_P12ihipStream_tbEUlT_E0_NS1_11comp_targetILNS1_3genE4ELNS1_11target_archE910ELNS1_3gpuE8ELNS1_3repE0EEENS1_30default_config_static_selectorELNS0_4arch9wavefront6targetE1EEEvS14_,comdat
.Lfunc_end963:
	.size	_ZN7rocprim17ROCPRIM_400000_NS6detail17trampoline_kernelINS0_14default_configENS1_22reduce_config_selectorIN6thrust23THRUST_200600_302600_NS5tupleIblNS6_9null_typeES8_S8_S8_S8_S8_S8_S8_EEEEZNS1_11reduce_implILb1ES3_NS6_12zip_iteratorINS7_INS6_11hip_rocprim26transform_input_iterator_tIbNSD_35transform_pair_of_input_iterators_tIbNS6_6detail15normal_iteratorINS6_10device_ptrIKsEEEESL_NS6_8equal_toIsEEEENSG_9not_fun_tINSD_8identityEEEEENSD_19counting_iterator_tIlEES8_S8_S8_S8_S8_S8_S8_S8_EEEEPS9_S9_NSD_9__find_if7functorIS9_EEEE10hipError_tPvRmT1_T2_T3_mT4_P12ihipStream_tbEUlT_E0_NS1_11comp_targetILNS1_3genE4ELNS1_11target_archE910ELNS1_3gpuE8ELNS1_3repE0EEENS1_30default_config_static_selectorELNS0_4arch9wavefront6targetE1EEEvS14_, .Lfunc_end963-_ZN7rocprim17ROCPRIM_400000_NS6detail17trampoline_kernelINS0_14default_configENS1_22reduce_config_selectorIN6thrust23THRUST_200600_302600_NS5tupleIblNS6_9null_typeES8_S8_S8_S8_S8_S8_S8_EEEEZNS1_11reduce_implILb1ES3_NS6_12zip_iteratorINS7_INS6_11hip_rocprim26transform_input_iterator_tIbNSD_35transform_pair_of_input_iterators_tIbNS6_6detail15normal_iteratorINS6_10device_ptrIKsEEEESL_NS6_8equal_toIsEEEENSG_9not_fun_tINSD_8identityEEEEENSD_19counting_iterator_tIlEES8_S8_S8_S8_S8_S8_S8_S8_EEEEPS9_S9_NSD_9__find_if7functorIS9_EEEE10hipError_tPvRmT1_T2_T3_mT4_P12ihipStream_tbEUlT_E0_NS1_11comp_targetILNS1_3genE4ELNS1_11target_archE910ELNS1_3gpuE8ELNS1_3repE0EEENS1_30default_config_static_selectorELNS0_4arch9wavefront6targetE1EEEvS14_
                                        ; -- End function
	.section	.AMDGPU.csdata,"",@progbits
; Kernel info:
; codeLenInByte = 2844
; NumSgprs: 32
; NumVgprs: 12
; NumAgprs: 0
; TotalNumVgprs: 12
; ScratchSize: 0
; MemoryBound: 0
; FloatMode: 240
; IeeeMode: 1
; LDSByteSize: 128 bytes/workgroup (compile time only)
; SGPRBlocks: 3
; VGPRBlocks: 1
; NumSGPRsForWavesPerEU: 32
; NumVGPRsForWavesPerEU: 12
; AccumOffset: 12
; Occupancy: 8
; WaveLimiterHint : 0
; COMPUTE_PGM_RSRC2:SCRATCH_EN: 0
; COMPUTE_PGM_RSRC2:USER_SGPR: 6
; COMPUTE_PGM_RSRC2:TRAP_HANDLER: 0
; COMPUTE_PGM_RSRC2:TGID_X_EN: 1
; COMPUTE_PGM_RSRC2:TGID_Y_EN: 0
; COMPUTE_PGM_RSRC2:TGID_Z_EN: 0
; COMPUTE_PGM_RSRC2:TIDIG_COMP_CNT: 0
; COMPUTE_PGM_RSRC3_GFX90A:ACCUM_OFFSET: 2
; COMPUTE_PGM_RSRC3_GFX90A:TG_SPLIT: 0
	.section	.text._ZN7rocprim17ROCPRIM_400000_NS6detail17trampoline_kernelINS0_14default_configENS1_22reduce_config_selectorIN6thrust23THRUST_200600_302600_NS5tupleIblNS6_9null_typeES8_S8_S8_S8_S8_S8_S8_EEEEZNS1_11reduce_implILb1ES3_NS6_12zip_iteratorINS7_INS6_11hip_rocprim26transform_input_iterator_tIbNSD_35transform_pair_of_input_iterators_tIbNS6_6detail15normal_iteratorINS6_10device_ptrIKsEEEESL_NS6_8equal_toIsEEEENSG_9not_fun_tINSD_8identityEEEEENSD_19counting_iterator_tIlEES8_S8_S8_S8_S8_S8_S8_S8_EEEEPS9_S9_NSD_9__find_if7functorIS9_EEEE10hipError_tPvRmT1_T2_T3_mT4_P12ihipStream_tbEUlT_E0_NS1_11comp_targetILNS1_3genE3ELNS1_11target_archE908ELNS1_3gpuE7ELNS1_3repE0EEENS1_30default_config_static_selectorELNS0_4arch9wavefront6targetE1EEEvS14_,"axG",@progbits,_ZN7rocprim17ROCPRIM_400000_NS6detail17trampoline_kernelINS0_14default_configENS1_22reduce_config_selectorIN6thrust23THRUST_200600_302600_NS5tupleIblNS6_9null_typeES8_S8_S8_S8_S8_S8_S8_EEEEZNS1_11reduce_implILb1ES3_NS6_12zip_iteratorINS7_INS6_11hip_rocprim26transform_input_iterator_tIbNSD_35transform_pair_of_input_iterators_tIbNS6_6detail15normal_iteratorINS6_10device_ptrIKsEEEESL_NS6_8equal_toIsEEEENSG_9not_fun_tINSD_8identityEEEEENSD_19counting_iterator_tIlEES8_S8_S8_S8_S8_S8_S8_S8_EEEEPS9_S9_NSD_9__find_if7functorIS9_EEEE10hipError_tPvRmT1_T2_T3_mT4_P12ihipStream_tbEUlT_E0_NS1_11comp_targetILNS1_3genE3ELNS1_11target_archE908ELNS1_3gpuE7ELNS1_3repE0EEENS1_30default_config_static_selectorELNS0_4arch9wavefront6targetE1EEEvS14_,comdat
	.protected	_ZN7rocprim17ROCPRIM_400000_NS6detail17trampoline_kernelINS0_14default_configENS1_22reduce_config_selectorIN6thrust23THRUST_200600_302600_NS5tupleIblNS6_9null_typeES8_S8_S8_S8_S8_S8_S8_EEEEZNS1_11reduce_implILb1ES3_NS6_12zip_iteratorINS7_INS6_11hip_rocprim26transform_input_iterator_tIbNSD_35transform_pair_of_input_iterators_tIbNS6_6detail15normal_iteratorINS6_10device_ptrIKsEEEESL_NS6_8equal_toIsEEEENSG_9not_fun_tINSD_8identityEEEEENSD_19counting_iterator_tIlEES8_S8_S8_S8_S8_S8_S8_S8_EEEEPS9_S9_NSD_9__find_if7functorIS9_EEEE10hipError_tPvRmT1_T2_T3_mT4_P12ihipStream_tbEUlT_E0_NS1_11comp_targetILNS1_3genE3ELNS1_11target_archE908ELNS1_3gpuE7ELNS1_3repE0EEENS1_30default_config_static_selectorELNS0_4arch9wavefront6targetE1EEEvS14_ ; -- Begin function _ZN7rocprim17ROCPRIM_400000_NS6detail17trampoline_kernelINS0_14default_configENS1_22reduce_config_selectorIN6thrust23THRUST_200600_302600_NS5tupleIblNS6_9null_typeES8_S8_S8_S8_S8_S8_S8_EEEEZNS1_11reduce_implILb1ES3_NS6_12zip_iteratorINS7_INS6_11hip_rocprim26transform_input_iterator_tIbNSD_35transform_pair_of_input_iterators_tIbNS6_6detail15normal_iteratorINS6_10device_ptrIKsEEEESL_NS6_8equal_toIsEEEENSG_9not_fun_tINSD_8identityEEEEENSD_19counting_iterator_tIlEES8_S8_S8_S8_S8_S8_S8_S8_EEEEPS9_S9_NSD_9__find_if7functorIS9_EEEE10hipError_tPvRmT1_T2_T3_mT4_P12ihipStream_tbEUlT_E0_NS1_11comp_targetILNS1_3genE3ELNS1_11target_archE908ELNS1_3gpuE7ELNS1_3repE0EEENS1_30default_config_static_selectorELNS0_4arch9wavefront6targetE1EEEvS14_
	.globl	_ZN7rocprim17ROCPRIM_400000_NS6detail17trampoline_kernelINS0_14default_configENS1_22reduce_config_selectorIN6thrust23THRUST_200600_302600_NS5tupleIblNS6_9null_typeES8_S8_S8_S8_S8_S8_S8_EEEEZNS1_11reduce_implILb1ES3_NS6_12zip_iteratorINS7_INS6_11hip_rocprim26transform_input_iterator_tIbNSD_35transform_pair_of_input_iterators_tIbNS6_6detail15normal_iteratorINS6_10device_ptrIKsEEEESL_NS6_8equal_toIsEEEENSG_9not_fun_tINSD_8identityEEEEENSD_19counting_iterator_tIlEES8_S8_S8_S8_S8_S8_S8_S8_EEEEPS9_S9_NSD_9__find_if7functorIS9_EEEE10hipError_tPvRmT1_T2_T3_mT4_P12ihipStream_tbEUlT_E0_NS1_11comp_targetILNS1_3genE3ELNS1_11target_archE908ELNS1_3gpuE7ELNS1_3repE0EEENS1_30default_config_static_selectorELNS0_4arch9wavefront6targetE1EEEvS14_
	.p2align	8
	.type	_ZN7rocprim17ROCPRIM_400000_NS6detail17trampoline_kernelINS0_14default_configENS1_22reduce_config_selectorIN6thrust23THRUST_200600_302600_NS5tupleIblNS6_9null_typeES8_S8_S8_S8_S8_S8_S8_EEEEZNS1_11reduce_implILb1ES3_NS6_12zip_iteratorINS7_INS6_11hip_rocprim26transform_input_iterator_tIbNSD_35transform_pair_of_input_iterators_tIbNS6_6detail15normal_iteratorINS6_10device_ptrIKsEEEESL_NS6_8equal_toIsEEEENSG_9not_fun_tINSD_8identityEEEEENSD_19counting_iterator_tIlEES8_S8_S8_S8_S8_S8_S8_S8_EEEEPS9_S9_NSD_9__find_if7functorIS9_EEEE10hipError_tPvRmT1_T2_T3_mT4_P12ihipStream_tbEUlT_E0_NS1_11comp_targetILNS1_3genE3ELNS1_11target_archE908ELNS1_3gpuE7ELNS1_3repE0EEENS1_30default_config_static_selectorELNS0_4arch9wavefront6targetE1EEEvS14_,@function
_ZN7rocprim17ROCPRIM_400000_NS6detail17trampoline_kernelINS0_14default_configENS1_22reduce_config_selectorIN6thrust23THRUST_200600_302600_NS5tupleIblNS6_9null_typeES8_S8_S8_S8_S8_S8_S8_EEEEZNS1_11reduce_implILb1ES3_NS6_12zip_iteratorINS7_INS6_11hip_rocprim26transform_input_iterator_tIbNSD_35transform_pair_of_input_iterators_tIbNS6_6detail15normal_iteratorINS6_10device_ptrIKsEEEESL_NS6_8equal_toIsEEEENSG_9not_fun_tINSD_8identityEEEEENSD_19counting_iterator_tIlEES8_S8_S8_S8_S8_S8_S8_S8_EEEEPS9_S9_NSD_9__find_if7functorIS9_EEEE10hipError_tPvRmT1_T2_T3_mT4_P12ihipStream_tbEUlT_E0_NS1_11comp_targetILNS1_3genE3ELNS1_11target_archE908ELNS1_3gpuE7ELNS1_3repE0EEENS1_30default_config_static_selectorELNS0_4arch9wavefront6targetE1EEEvS14_: ; @_ZN7rocprim17ROCPRIM_400000_NS6detail17trampoline_kernelINS0_14default_configENS1_22reduce_config_selectorIN6thrust23THRUST_200600_302600_NS5tupleIblNS6_9null_typeES8_S8_S8_S8_S8_S8_S8_EEEEZNS1_11reduce_implILb1ES3_NS6_12zip_iteratorINS7_INS6_11hip_rocprim26transform_input_iterator_tIbNSD_35transform_pair_of_input_iterators_tIbNS6_6detail15normal_iteratorINS6_10device_ptrIKsEEEESL_NS6_8equal_toIsEEEENSG_9not_fun_tINSD_8identityEEEEENSD_19counting_iterator_tIlEES8_S8_S8_S8_S8_S8_S8_S8_EEEEPS9_S9_NSD_9__find_if7functorIS9_EEEE10hipError_tPvRmT1_T2_T3_mT4_P12ihipStream_tbEUlT_E0_NS1_11comp_targetILNS1_3genE3ELNS1_11target_archE908ELNS1_3gpuE7ELNS1_3repE0EEENS1_30default_config_static_selectorELNS0_4arch9wavefront6targetE1EEEvS14_
; %bb.0:
	.section	.rodata,"a",@progbits
	.p2align	6, 0x0
	.amdhsa_kernel _ZN7rocprim17ROCPRIM_400000_NS6detail17trampoline_kernelINS0_14default_configENS1_22reduce_config_selectorIN6thrust23THRUST_200600_302600_NS5tupleIblNS6_9null_typeES8_S8_S8_S8_S8_S8_S8_EEEEZNS1_11reduce_implILb1ES3_NS6_12zip_iteratorINS7_INS6_11hip_rocprim26transform_input_iterator_tIbNSD_35transform_pair_of_input_iterators_tIbNS6_6detail15normal_iteratorINS6_10device_ptrIKsEEEESL_NS6_8equal_toIsEEEENSG_9not_fun_tINSD_8identityEEEEENSD_19counting_iterator_tIlEES8_S8_S8_S8_S8_S8_S8_S8_EEEEPS9_S9_NSD_9__find_if7functorIS9_EEEE10hipError_tPvRmT1_T2_T3_mT4_P12ihipStream_tbEUlT_E0_NS1_11comp_targetILNS1_3genE3ELNS1_11target_archE908ELNS1_3gpuE7ELNS1_3repE0EEENS1_30default_config_static_selectorELNS0_4arch9wavefront6targetE1EEEvS14_
		.amdhsa_group_segment_fixed_size 0
		.amdhsa_private_segment_fixed_size 0
		.amdhsa_kernarg_size 104
		.amdhsa_user_sgpr_count 6
		.amdhsa_user_sgpr_private_segment_buffer 1
		.amdhsa_user_sgpr_dispatch_ptr 0
		.amdhsa_user_sgpr_queue_ptr 0
		.amdhsa_user_sgpr_kernarg_segment_ptr 1
		.amdhsa_user_sgpr_dispatch_id 0
		.amdhsa_user_sgpr_flat_scratch_init 0
		.amdhsa_user_sgpr_kernarg_preload_length 0
		.amdhsa_user_sgpr_kernarg_preload_offset 0
		.amdhsa_user_sgpr_private_segment_size 0
		.amdhsa_uses_dynamic_stack 0
		.amdhsa_system_sgpr_private_segment_wavefront_offset 0
		.amdhsa_system_sgpr_workgroup_id_x 1
		.amdhsa_system_sgpr_workgroup_id_y 0
		.amdhsa_system_sgpr_workgroup_id_z 0
		.amdhsa_system_sgpr_workgroup_info 0
		.amdhsa_system_vgpr_workitem_id 0
		.amdhsa_next_free_vgpr 1
		.amdhsa_next_free_sgpr 0
		.amdhsa_accum_offset 4
		.amdhsa_reserve_vcc 0
		.amdhsa_reserve_flat_scratch 0
		.amdhsa_float_round_mode_32 0
		.amdhsa_float_round_mode_16_64 0
		.amdhsa_float_denorm_mode_32 3
		.amdhsa_float_denorm_mode_16_64 3
		.amdhsa_dx10_clamp 1
		.amdhsa_ieee_mode 1
		.amdhsa_fp16_overflow 0
		.amdhsa_tg_split 0
		.amdhsa_exception_fp_ieee_invalid_op 0
		.amdhsa_exception_fp_denorm_src 0
		.amdhsa_exception_fp_ieee_div_zero 0
		.amdhsa_exception_fp_ieee_overflow 0
		.amdhsa_exception_fp_ieee_underflow 0
		.amdhsa_exception_fp_ieee_inexact 0
		.amdhsa_exception_int_div_zero 0
	.end_amdhsa_kernel
	.section	.text._ZN7rocprim17ROCPRIM_400000_NS6detail17trampoline_kernelINS0_14default_configENS1_22reduce_config_selectorIN6thrust23THRUST_200600_302600_NS5tupleIblNS6_9null_typeES8_S8_S8_S8_S8_S8_S8_EEEEZNS1_11reduce_implILb1ES3_NS6_12zip_iteratorINS7_INS6_11hip_rocprim26transform_input_iterator_tIbNSD_35transform_pair_of_input_iterators_tIbNS6_6detail15normal_iteratorINS6_10device_ptrIKsEEEESL_NS6_8equal_toIsEEEENSG_9not_fun_tINSD_8identityEEEEENSD_19counting_iterator_tIlEES8_S8_S8_S8_S8_S8_S8_S8_EEEEPS9_S9_NSD_9__find_if7functorIS9_EEEE10hipError_tPvRmT1_T2_T3_mT4_P12ihipStream_tbEUlT_E0_NS1_11comp_targetILNS1_3genE3ELNS1_11target_archE908ELNS1_3gpuE7ELNS1_3repE0EEENS1_30default_config_static_selectorELNS0_4arch9wavefront6targetE1EEEvS14_,"axG",@progbits,_ZN7rocprim17ROCPRIM_400000_NS6detail17trampoline_kernelINS0_14default_configENS1_22reduce_config_selectorIN6thrust23THRUST_200600_302600_NS5tupleIblNS6_9null_typeES8_S8_S8_S8_S8_S8_S8_EEEEZNS1_11reduce_implILb1ES3_NS6_12zip_iteratorINS7_INS6_11hip_rocprim26transform_input_iterator_tIbNSD_35transform_pair_of_input_iterators_tIbNS6_6detail15normal_iteratorINS6_10device_ptrIKsEEEESL_NS6_8equal_toIsEEEENSG_9not_fun_tINSD_8identityEEEEENSD_19counting_iterator_tIlEES8_S8_S8_S8_S8_S8_S8_S8_EEEEPS9_S9_NSD_9__find_if7functorIS9_EEEE10hipError_tPvRmT1_T2_T3_mT4_P12ihipStream_tbEUlT_E0_NS1_11comp_targetILNS1_3genE3ELNS1_11target_archE908ELNS1_3gpuE7ELNS1_3repE0EEENS1_30default_config_static_selectorELNS0_4arch9wavefront6targetE1EEEvS14_,comdat
.Lfunc_end964:
	.size	_ZN7rocprim17ROCPRIM_400000_NS6detail17trampoline_kernelINS0_14default_configENS1_22reduce_config_selectorIN6thrust23THRUST_200600_302600_NS5tupleIblNS6_9null_typeES8_S8_S8_S8_S8_S8_S8_EEEEZNS1_11reduce_implILb1ES3_NS6_12zip_iteratorINS7_INS6_11hip_rocprim26transform_input_iterator_tIbNSD_35transform_pair_of_input_iterators_tIbNS6_6detail15normal_iteratorINS6_10device_ptrIKsEEEESL_NS6_8equal_toIsEEEENSG_9not_fun_tINSD_8identityEEEEENSD_19counting_iterator_tIlEES8_S8_S8_S8_S8_S8_S8_S8_EEEEPS9_S9_NSD_9__find_if7functorIS9_EEEE10hipError_tPvRmT1_T2_T3_mT4_P12ihipStream_tbEUlT_E0_NS1_11comp_targetILNS1_3genE3ELNS1_11target_archE908ELNS1_3gpuE7ELNS1_3repE0EEENS1_30default_config_static_selectorELNS0_4arch9wavefront6targetE1EEEvS14_, .Lfunc_end964-_ZN7rocprim17ROCPRIM_400000_NS6detail17trampoline_kernelINS0_14default_configENS1_22reduce_config_selectorIN6thrust23THRUST_200600_302600_NS5tupleIblNS6_9null_typeES8_S8_S8_S8_S8_S8_S8_EEEEZNS1_11reduce_implILb1ES3_NS6_12zip_iteratorINS7_INS6_11hip_rocprim26transform_input_iterator_tIbNSD_35transform_pair_of_input_iterators_tIbNS6_6detail15normal_iteratorINS6_10device_ptrIKsEEEESL_NS6_8equal_toIsEEEENSG_9not_fun_tINSD_8identityEEEEENSD_19counting_iterator_tIlEES8_S8_S8_S8_S8_S8_S8_S8_EEEEPS9_S9_NSD_9__find_if7functorIS9_EEEE10hipError_tPvRmT1_T2_T3_mT4_P12ihipStream_tbEUlT_E0_NS1_11comp_targetILNS1_3genE3ELNS1_11target_archE908ELNS1_3gpuE7ELNS1_3repE0EEENS1_30default_config_static_selectorELNS0_4arch9wavefront6targetE1EEEvS14_
                                        ; -- End function
	.section	.AMDGPU.csdata,"",@progbits
; Kernel info:
; codeLenInByte = 0
; NumSgprs: 4
; NumVgprs: 0
; NumAgprs: 0
; TotalNumVgprs: 0
; ScratchSize: 0
; MemoryBound: 0
; FloatMode: 240
; IeeeMode: 1
; LDSByteSize: 0 bytes/workgroup (compile time only)
; SGPRBlocks: 0
; VGPRBlocks: 0
; NumSGPRsForWavesPerEU: 4
; NumVGPRsForWavesPerEU: 1
; AccumOffset: 4
; Occupancy: 8
; WaveLimiterHint : 0
; COMPUTE_PGM_RSRC2:SCRATCH_EN: 0
; COMPUTE_PGM_RSRC2:USER_SGPR: 6
; COMPUTE_PGM_RSRC2:TRAP_HANDLER: 0
; COMPUTE_PGM_RSRC2:TGID_X_EN: 1
; COMPUTE_PGM_RSRC2:TGID_Y_EN: 0
; COMPUTE_PGM_RSRC2:TGID_Z_EN: 0
; COMPUTE_PGM_RSRC2:TIDIG_COMP_CNT: 0
; COMPUTE_PGM_RSRC3_GFX90A:ACCUM_OFFSET: 0
; COMPUTE_PGM_RSRC3_GFX90A:TG_SPLIT: 0
	.section	.text._ZN7rocprim17ROCPRIM_400000_NS6detail17trampoline_kernelINS0_14default_configENS1_22reduce_config_selectorIN6thrust23THRUST_200600_302600_NS5tupleIblNS6_9null_typeES8_S8_S8_S8_S8_S8_S8_EEEEZNS1_11reduce_implILb1ES3_NS6_12zip_iteratorINS7_INS6_11hip_rocprim26transform_input_iterator_tIbNSD_35transform_pair_of_input_iterators_tIbNS6_6detail15normal_iteratorINS6_10device_ptrIKsEEEESL_NS6_8equal_toIsEEEENSG_9not_fun_tINSD_8identityEEEEENSD_19counting_iterator_tIlEES8_S8_S8_S8_S8_S8_S8_S8_EEEEPS9_S9_NSD_9__find_if7functorIS9_EEEE10hipError_tPvRmT1_T2_T3_mT4_P12ihipStream_tbEUlT_E0_NS1_11comp_targetILNS1_3genE2ELNS1_11target_archE906ELNS1_3gpuE6ELNS1_3repE0EEENS1_30default_config_static_selectorELNS0_4arch9wavefront6targetE1EEEvS14_,"axG",@progbits,_ZN7rocprim17ROCPRIM_400000_NS6detail17trampoline_kernelINS0_14default_configENS1_22reduce_config_selectorIN6thrust23THRUST_200600_302600_NS5tupleIblNS6_9null_typeES8_S8_S8_S8_S8_S8_S8_EEEEZNS1_11reduce_implILb1ES3_NS6_12zip_iteratorINS7_INS6_11hip_rocprim26transform_input_iterator_tIbNSD_35transform_pair_of_input_iterators_tIbNS6_6detail15normal_iteratorINS6_10device_ptrIKsEEEESL_NS6_8equal_toIsEEEENSG_9not_fun_tINSD_8identityEEEEENSD_19counting_iterator_tIlEES8_S8_S8_S8_S8_S8_S8_S8_EEEEPS9_S9_NSD_9__find_if7functorIS9_EEEE10hipError_tPvRmT1_T2_T3_mT4_P12ihipStream_tbEUlT_E0_NS1_11comp_targetILNS1_3genE2ELNS1_11target_archE906ELNS1_3gpuE6ELNS1_3repE0EEENS1_30default_config_static_selectorELNS0_4arch9wavefront6targetE1EEEvS14_,comdat
	.protected	_ZN7rocprim17ROCPRIM_400000_NS6detail17trampoline_kernelINS0_14default_configENS1_22reduce_config_selectorIN6thrust23THRUST_200600_302600_NS5tupleIblNS6_9null_typeES8_S8_S8_S8_S8_S8_S8_EEEEZNS1_11reduce_implILb1ES3_NS6_12zip_iteratorINS7_INS6_11hip_rocprim26transform_input_iterator_tIbNSD_35transform_pair_of_input_iterators_tIbNS6_6detail15normal_iteratorINS6_10device_ptrIKsEEEESL_NS6_8equal_toIsEEEENSG_9not_fun_tINSD_8identityEEEEENSD_19counting_iterator_tIlEES8_S8_S8_S8_S8_S8_S8_S8_EEEEPS9_S9_NSD_9__find_if7functorIS9_EEEE10hipError_tPvRmT1_T2_T3_mT4_P12ihipStream_tbEUlT_E0_NS1_11comp_targetILNS1_3genE2ELNS1_11target_archE906ELNS1_3gpuE6ELNS1_3repE0EEENS1_30default_config_static_selectorELNS0_4arch9wavefront6targetE1EEEvS14_ ; -- Begin function _ZN7rocprim17ROCPRIM_400000_NS6detail17trampoline_kernelINS0_14default_configENS1_22reduce_config_selectorIN6thrust23THRUST_200600_302600_NS5tupleIblNS6_9null_typeES8_S8_S8_S8_S8_S8_S8_EEEEZNS1_11reduce_implILb1ES3_NS6_12zip_iteratorINS7_INS6_11hip_rocprim26transform_input_iterator_tIbNSD_35transform_pair_of_input_iterators_tIbNS6_6detail15normal_iteratorINS6_10device_ptrIKsEEEESL_NS6_8equal_toIsEEEENSG_9not_fun_tINSD_8identityEEEEENSD_19counting_iterator_tIlEES8_S8_S8_S8_S8_S8_S8_S8_EEEEPS9_S9_NSD_9__find_if7functorIS9_EEEE10hipError_tPvRmT1_T2_T3_mT4_P12ihipStream_tbEUlT_E0_NS1_11comp_targetILNS1_3genE2ELNS1_11target_archE906ELNS1_3gpuE6ELNS1_3repE0EEENS1_30default_config_static_selectorELNS0_4arch9wavefront6targetE1EEEvS14_
	.globl	_ZN7rocprim17ROCPRIM_400000_NS6detail17trampoline_kernelINS0_14default_configENS1_22reduce_config_selectorIN6thrust23THRUST_200600_302600_NS5tupleIblNS6_9null_typeES8_S8_S8_S8_S8_S8_S8_EEEEZNS1_11reduce_implILb1ES3_NS6_12zip_iteratorINS7_INS6_11hip_rocprim26transform_input_iterator_tIbNSD_35transform_pair_of_input_iterators_tIbNS6_6detail15normal_iteratorINS6_10device_ptrIKsEEEESL_NS6_8equal_toIsEEEENSG_9not_fun_tINSD_8identityEEEEENSD_19counting_iterator_tIlEES8_S8_S8_S8_S8_S8_S8_S8_EEEEPS9_S9_NSD_9__find_if7functorIS9_EEEE10hipError_tPvRmT1_T2_T3_mT4_P12ihipStream_tbEUlT_E0_NS1_11comp_targetILNS1_3genE2ELNS1_11target_archE906ELNS1_3gpuE6ELNS1_3repE0EEENS1_30default_config_static_selectorELNS0_4arch9wavefront6targetE1EEEvS14_
	.p2align	8
	.type	_ZN7rocprim17ROCPRIM_400000_NS6detail17trampoline_kernelINS0_14default_configENS1_22reduce_config_selectorIN6thrust23THRUST_200600_302600_NS5tupleIblNS6_9null_typeES8_S8_S8_S8_S8_S8_S8_EEEEZNS1_11reduce_implILb1ES3_NS6_12zip_iteratorINS7_INS6_11hip_rocprim26transform_input_iterator_tIbNSD_35transform_pair_of_input_iterators_tIbNS6_6detail15normal_iteratorINS6_10device_ptrIKsEEEESL_NS6_8equal_toIsEEEENSG_9not_fun_tINSD_8identityEEEEENSD_19counting_iterator_tIlEES8_S8_S8_S8_S8_S8_S8_S8_EEEEPS9_S9_NSD_9__find_if7functorIS9_EEEE10hipError_tPvRmT1_T2_T3_mT4_P12ihipStream_tbEUlT_E0_NS1_11comp_targetILNS1_3genE2ELNS1_11target_archE906ELNS1_3gpuE6ELNS1_3repE0EEENS1_30default_config_static_selectorELNS0_4arch9wavefront6targetE1EEEvS14_,@function
_ZN7rocprim17ROCPRIM_400000_NS6detail17trampoline_kernelINS0_14default_configENS1_22reduce_config_selectorIN6thrust23THRUST_200600_302600_NS5tupleIblNS6_9null_typeES8_S8_S8_S8_S8_S8_S8_EEEEZNS1_11reduce_implILb1ES3_NS6_12zip_iteratorINS7_INS6_11hip_rocprim26transform_input_iterator_tIbNSD_35transform_pair_of_input_iterators_tIbNS6_6detail15normal_iteratorINS6_10device_ptrIKsEEEESL_NS6_8equal_toIsEEEENSG_9not_fun_tINSD_8identityEEEEENSD_19counting_iterator_tIlEES8_S8_S8_S8_S8_S8_S8_S8_EEEEPS9_S9_NSD_9__find_if7functorIS9_EEEE10hipError_tPvRmT1_T2_T3_mT4_P12ihipStream_tbEUlT_E0_NS1_11comp_targetILNS1_3genE2ELNS1_11target_archE906ELNS1_3gpuE6ELNS1_3repE0EEENS1_30default_config_static_selectorELNS0_4arch9wavefront6targetE1EEEvS14_: ; @_ZN7rocprim17ROCPRIM_400000_NS6detail17trampoline_kernelINS0_14default_configENS1_22reduce_config_selectorIN6thrust23THRUST_200600_302600_NS5tupleIblNS6_9null_typeES8_S8_S8_S8_S8_S8_S8_EEEEZNS1_11reduce_implILb1ES3_NS6_12zip_iteratorINS7_INS6_11hip_rocprim26transform_input_iterator_tIbNSD_35transform_pair_of_input_iterators_tIbNS6_6detail15normal_iteratorINS6_10device_ptrIKsEEEESL_NS6_8equal_toIsEEEENSG_9not_fun_tINSD_8identityEEEEENSD_19counting_iterator_tIlEES8_S8_S8_S8_S8_S8_S8_S8_EEEEPS9_S9_NSD_9__find_if7functorIS9_EEEE10hipError_tPvRmT1_T2_T3_mT4_P12ihipStream_tbEUlT_E0_NS1_11comp_targetILNS1_3genE2ELNS1_11target_archE906ELNS1_3gpuE6ELNS1_3repE0EEENS1_30default_config_static_selectorELNS0_4arch9wavefront6targetE1EEEvS14_
; %bb.0:
	.section	.rodata,"a",@progbits
	.p2align	6, 0x0
	.amdhsa_kernel _ZN7rocprim17ROCPRIM_400000_NS6detail17trampoline_kernelINS0_14default_configENS1_22reduce_config_selectorIN6thrust23THRUST_200600_302600_NS5tupleIblNS6_9null_typeES8_S8_S8_S8_S8_S8_S8_EEEEZNS1_11reduce_implILb1ES3_NS6_12zip_iteratorINS7_INS6_11hip_rocprim26transform_input_iterator_tIbNSD_35transform_pair_of_input_iterators_tIbNS6_6detail15normal_iteratorINS6_10device_ptrIKsEEEESL_NS6_8equal_toIsEEEENSG_9not_fun_tINSD_8identityEEEEENSD_19counting_iterator_tIlEES8_S8_S8_S8_S8_S8_S8_S8_EEEEPS9_S9_NSD_9__find_if7functorIS9_EEEE10hipError_tPvRmT1_T2_T3_mT4_P12ihipStream_tbEUlT_E0_NS1_11comp_targetILNS1_3genE2ELNS1_11target_archE906ELNS1_3gpuE6ELNS1_3repE0EEENS1_30default_config_static_selectorELNS0_4arch9wavefront6targetE1EEEvS14_
		.amdhsa_group_segment_fixed_size 0
		.amdhsa_private_segment_fixed_size 0
		.amdhsa_kernarg_size 104
		.amdhsa_user_sgpr_count 6
		.amdhsa_user_sgpr_private_segment_buffer 1
		.amdhsa_user_sgpr_dispatch_ptr 0
		.amdhsa_user_sgpr_queue_ptr 0
		.amdhsa_user_sgpr_kernarg_segment_ptr 1
		.amdhsa_user_sgpr_dispatch_id 0
		.amdhsa_user_sgpr_flat_scratch_init 0
		.amdhsa_user_sgpr_kernarg_preload_length 0
		.amdhsa_user_sgpr_kernarg_preload_offset 0
		.amdhsa_user_sgpr_private_segment_size 0
		.amdhsa_uses_dynamic_stack 0
		.amdhsa_system_sgpr_private_segment_wavefront_offset 0
		.amdhsa_system_sgpr_workgroup_id_x 1
		.amdhsa_system_sgpr_workgroup_id_y 0
		.amdhsa_system_sgpr_workgroup_id_z 0
		.amdhsa_system_sgpr_workgroup_info 0
		.amdhsa_system_vgpr_workitem_id 0
		.amdhsa_next_free_vgpr 1
		.amdhsa_next_free_sgpr 0
		.amdhsa_accum_offset 4
		.amdhsa_reserve_vcc 0
		.amdhsa_reserve_flat_scratch 0
		.amdhsa_float_round_mode_32 0
		.amdhsa_float_round_mode_16_64 0
		.amdhsa_float_denorm_mode_32 3
		.amdhsa_float_denorm_mode_16_64 3
		.amdhsa_dx10_clamp 1
		.amdhsa_ieee_mode 1
		.amdhsa_fp16_overflow 0
		.amdhsa_tg_split 0
		.amdhsa_exception_fp_ieee_invalid_op 0
		.amdhsa_exception_fp_denorm_src 0
		.amdhsa_exception_fp_ieee_div_zero 0
		.amdhsa_exception_fp_ieee_overflow 0
		.amdhsa_exception_fp_ieee_underflow 0
		.amdhsa_exception_fp_ieee_inexact 0
		.amdhsa_exception_int_div_zero 0
	.end_amdhsa_kernel
	.section	.text._ZN7rocprim17ROCPRIM_400000_NS6detail17trampoline_kernelINS0_14default_configENS1_22reduce_config_selectorIN6thrust23THRUST_200600_302600_NS5tupleIblNS6_9null_typeES8_S8_S8_S8_S8_S8_S8_EEEEZNS1_11reduce_implILb1ES3_NS6_12zip_iteratorINS7_INS6_11hip_rocprim26transform_input_iterator_tIbNSD_35transform_pair_of_input_iterators_tIbNS6_6detail15normal_iteratorINS6_10device_ptrIKsEEEESL_NS6_8equal_toIsEEEENSG_9not_fun_tINSD_8identityEEEEENSD_19counting_iterator_tIlEES8_S8_S8_S8_S8_S8_S8_S8_EEEEPS9_S9_NSD_9__find_if7functorIS9_EEEE10hipError_tPvRmT1_T2_T3_mT4_P12ihipStream_tbEUlT_E0_NS1_11comp_targetILNS1_3genE2ELNS1_11target_archE906ELNS1_3gpuE6ELNS1_3repE0EEENS1_30default_config_static_selectorELNS0_4arch9wavefront6targetE1EEEvS14_,"axG",@progbits,_ZN7rocprim17ROCPRIM_400000_NS6detail17trampoline_kernelINS0_14default_configENS1_22reduce_config_selectorIN6thrust23THRUST_200600_302600_NS5tupleIblNS6_9null_typeES8_S8_S8_S8_S8_S8_S8_EEEEZNS1_11reduce_implILb1ES3_NS6_12zip_iteratorINS7_INS6_11hip_rocprim26transform_input_iterator_tIbNSD_35transform_pair_of_input_iterators_tIbNS6_6detail15normal_iteratorINS6_10device_ptrIKsEEEESL_NS6_8equal_toIsEEEENSG_9not_fun_tINSD_8identityEEEEENSD_19counting_iterator_tIlEES8_S8_S8_S8_S8_S8_S8_S8_EEEEPS9_S9_NSD_9__find_if7functorIS9_EEEE10hipError_tPvRmT1_T2_T3_mT4_P12ihipStream_tbEUlT_E0_NS1_11comp_targetILNS1_3genE2ELNS1_11target_archE906ELNS1_3gpuE6ELNS1_3repE0EEENS1_30default_config_static_selectorELNS0_4arch9wavefront6targetE1EEEvS14_,comdat
.Lfunc_end965:
	.size	_ZN7rocprim17ROCPRIM_400000_NS6detail17trampoline_kernelINS0_14default_configENS1_22reduce_config_selectorIN6thrust23THRUST_200600_302600_NS5tupleIblNS6_9null_typeES8_S8_S8_S8_S8_S8_S8_EEEEZNS1_11reduce_implILb1ES3_NS6_12zip_iteratorINS7_INS6_11hip_rocprim26transform_input_iterator_tIbNSD_35transform_pair_of_input_iterators_tIbNS6_6detail15normal_iteratorINS6_10device_ptrIKsEEEESL_NS6_8equal_toIsEEEENSG_9not_fun_tINSD_8identityEEEEENSD_19counting_iterator_tIlEES8_S8_S8_S8_S8_S8_S8_S8_EEEEPS9_S9_NSD_9__find_if7functorIS9_EEEE10hipError_tPvRmT1_T2_T3_mT4_P12ihipStream_tbEUlT_E0_NS1_11comp_targetILNS1_3genE2ELNS1_11target_archE906ELNS1_3gpuE6ELNS1_3repE0EEENS1_30default_config_static_selectorELNS0_4arch9wavefront6targetE1EEEvS14_, .Lfunc_end965-_ZN7rocprim17ROCPRIM_400000_NS6detail17trampoline_kernelINS0_14default_configENS1_22reduce_config_selectorIN6thrust23THRUST_200600_302600_NS5tupleIblNS6_9null_typeES8_S8_S8_S8_S8_S8_S8_EEEEZNS1_11reduce_implILb1ES3_NS6_12zip_iteratorINS7_INS6_11hip_rocprim26transform_input_iterator_tIbNSD_35transform_pair_of_input_iterators_tIbNS6_6detail15normal_iteratorINS6_10device_ptrIKsEEEESL_NS6_8equal_toIsEEEENSG_9not_fun_tINSD_8identityEEEEENSD_19counting_iterator_tIlEES8_S8_S8_S8_S8_S8_S8_S8_EEEEPS9_S9_NSD_9__find_if7functorIS9_EEEE10hipError_tPvRmT1_T2_T3_mT4_P12ihipStream_tbEUlT_E0_NS1_11comp_targetILNS1_3genE2ELNS1_11target_archE906ELNS1_3gpuE6ELNS1_3repE0EEENS1_30default_config_static_selectorELNS0_4arch9wavefront6targetE1EEEvS14_
                                        ; -- End function
	.section	.AMDGPU.csdata,"",@progbits
; Kernel info:
; codeLenInByte = 0
; NumSgprs: 4
; NumVgprs: 0
; NumAgprs: 0
; TotalNumVgprs: 0
; ScratchSize: 0
; MemoryBound: 0
; FloatMode: 240
; IeeeMode: 1
; LDSByteSize: 0 bytes/workgroup (compile time only)
; SGPRBlocks: 0
; VGPRBlocks: 0
; NumSGPRsForWavesPerEU: 4
; NumVGPRsForWavesPerEU: 1
; AccumOffset: 4
; Occupancy: 8
; WaveLimiterHint : 0
; COMPUTE_PGM_RSRC2:SCRATCH_EN: 0
; COMPUTE_PGM_RSRC2:USER_SGPR: 6
; COMPUTE_PGM_RSRC2:TRAP_HANDLER: 0
; COMPUTE_PGM_RSRC2:TGID_X_EN: 1
; COMPUTE_PGM_RSRC2:TGID_Y_EN: 0
; COMPUTE_PGM_RSRC2:TGID_Z_EN: 0
; COMPUTE_PGM_RSRC2:TIDIG_COMP_CNT: 0
; COMPUTE_PGM_RSRC3_GFX90A:ACCUM_OFFSET: 0
; COMPUTE_PGM_RSRC3_GFX90A:TG_SPLIT: 0
	.section	.text._ZN7rocprim17ROCPRIM_400000_NS6detail17trampoline_kernelINS0_14default_configENS1_22reduce_config_selectorIN6thrust23THRUST_200600_302600_NS5tupleIblNS6_9null_typeES8_S8_S8_S8_S8_S8_S8_EEEEZNS1_11reduce_implILb1ES3_NS6_12zip_iteratorINS7_INS6_11hip_rocprim26transform_input_iterator_tIbNSD_35transform_pair_of_input_iterators_tIbNS6_6detail15normal_iteratorINS6_10device_ptrIKsEEEESL_NS6_8equal_toIsEEEENSG_9not_fun_tINSD_8identityEEEEENSD_19counting_iterator_tIlEES8_S8_S8_S8_S8_S8_S8_S8_EEEEPS9_S9_NSD_9__find_if7functorIS9_EEEE10hipError_tPvRmT1_T2_T3_mT4_P12ihipStream_tbEUlT_E0_NS1_11comp_targetILNS1_3genE10ELNS1_11target_archE1201ELNS1_3gpuE5ELNS1_3repE0EEENS1_30default_config_static_selectorELNS0_4arch9wavefront6targetE1EEEvS14_,"axG",@progbits,_ZN7rocprim17ROCPRIM_400000_NS6detail17trampoline_kernelINS0_14default_configENS1_22reduce_config_selectorIN6thrust23THRUST_200600_302600_NS5tupleIblNS6_9null_typeES8_S8_S8_S8_S8_S8_S8_EEEEZNS1_11reduce_implILb1ES3_NS6_12zip_iteratorINS7_INS6_11hip_rocprim26transform_input_iterator_tIbNSD_35transform_pair_of_input_iterators_tIbNS6_6detail15normal_iteratorINS6_10device_ptrIKsEEEESL_NS6_8equal_toIsEEEENSG_9not_fun_tINSD_8identityEEEEENSD_19counting_iterator_tIlEES8_S8_S8_S8_S8_S8_S8_S8_EEEEPS9_S9_NSD_9__find_if7functorIS9_EEEE10hipError_tPvRmT1_T2_T3_mT4_P12ihipStream_tbEUlT_E0_NS1_11comp_targetILNS1_3genE10ELNS1_11target_archE1201ELNS1_3gpuE5ELNS1_3repE0EEENS1_30default_config_static_selectorELNS0_4arch9wavefront6targetE1EEEvS14_,comdat
	.protected	_ZN7rocprim17ROCPRIM_400000_NS6detail17trampoline_kernelINS0_14default_configENS1_22reduce_config_selectorIN6thrust23THRUST_200600_302600_NS5tupleIblNS6_9null_typeES8_S8_S8_S8_S8_S8_S8_EEEEZNS1_11reduce_implILb1ES3_NS6_12zip_iteratorINS7_INS6_11hip_rocprim26transform_input_iterator_tIbNSD_35transform_pair_of_input_iterators_tIbNS6_6detail15normal_iteratorINS6_10device_ptrIKsEEEESL_NS6_8equal_toIsEEEENSG_9not_fun_tINSD_8identityEEEEENSD_19counting_iterator_tIlEES8_S8_S8_S8_S8_S8_S8_S8_EEEEPS9_S9_NSD_9__find_if7functorIS9_EEEE10hipError_tPvRmT1_T2_T3_mT4_P12ihipStream_tbEUlT_E0_NS1_11comp_targetILNS1_3genE10ELNS1_11target_archE1201ELNS1_3gpuE5ELNS1_3repE0EEENS1_30default_config_static_selectorELNS0_4arch9wavefront6targetE1EEEvS14_ ; -- Begin function _ZN7rocprim17ROCPRIM_400000_NS6detail17trampoline_kernelINS0_14default_configENS1_22reduce_config_selectorIN6thrust23THRUST_200600_302600_NS5tupleIblNS6_9null_typeES8_S8_S8_S8_S8_S8_S8_EEEEZNS1_11reduce_implILb1ES3_NS6_12zip_iteratorINS7_INS6_11hip_rocprim26transform_input_iterator_tIbNSD_35transform_pair_of_input_iterators_tIbNS6_6detail15normal_iteratorINS6_10device_ptrIKsEEEESL_NS6_8equal_toIsEEEENSG_9not_fun_tINSD_8identityEEEEENSD_19counting_iterator_tIlEES8_S8_S8_S8_S8_S8_S8_S8_EEEEPS9_S9_NSD_9__find_if7functorIS9_EEEE10hipError_tPvRmT1_T2_T3_mT4_P12ihipStream_tbEUlT_E0_NS1_11comp_targetILNS1_3genE10ELNS1_11target_archE1201ELNS1_3gpuE5ELNS1_3repE0EEENS1_30default_config_static_selectorELNS0_4arch9wavefront6targetE1EEEvS14_
	.globl	_ZN7rocprim17ROCPRIM_400000_NS6detail17trampoline_kernelINS0_14default_configENS1_22reduce_config_selectorIN6thrust23THRUST_200600_302600_NS5tupleIblNS6_9null_typeES8_S8_S8_S8_S8_S8_S8_EEEEZNS1_11reduce_implILb1ES3_NS6_12zip_iteratorINS7_INS6_11hip_rocprim26transform_input_iterator_tIbNSD_35transform_pair_of_input_iterators_tIbNS6_6detail15normal_iteratorINS6_10device_ptrIKsEEEESL_NS6_8equal_toIsEEEENSG_9not_fun_tINSD_8identityEEEEENSD_19counting_iterator_tIlEES8_S8_S8_S8_S8_S8_S8_S8_EEEEPS9_S9_NSD_9__find_if7functorIS9_EEEE10hipError_tPvRmT1_T2_T3_mT4_P12ihipStream_tbEUlT_E0_NS1_11comp_targetILNS1_3genE10ELNS1_11target_archE1201ELNS1_3gpuE5ELNS1_3repE0EEENS1_30default_config_static_selectorELNS0_4arch9wavefront6targetE1EEEvS14_
	.p2align	8
	.type	_ZN7rocprim17ROCPRIM_400000_NS6detail17trampoline_kernelINS0_14default_configENS1_22reduce_config_selectorIN6thrust23THRUST_200600_302600_NS5tupleIblNS6_9null_typeES8_S8_S8_S8_S8_S8_S8_EEEEZNS1_11reduce_implILb1ES3_NS6_12zip_iteratorINS7_INS6_11hip_rocprim26transform_input_iterator_tIbNSD_35transform_pair_of_input_iterators_tIbNS6_6detail15normal_iteratorINS6_10device_ptrIKsEEEESL_NS6_8equal_toIsEEEENSG_9not_fun_tINSD_8identityEEEEENSD_19counting_iterator_tIlEES8_S8_S8_S8_S8_S8_S8_S8_EEEEPS9_S9_NSD_9__find_if7functorIS9_EEEE10hipError_tPvRmT1_T2_T3_mT4_P12ihipStream_tbEUlT_E0_NS1_11comp_targetILNS1_3genE10ELNS1_11target_archE1201ELNS1_3gpuE5ELNS1_3repE0EEENS1_30default_config_static_selectorELNS0_4arch9wavefront6targetE1EEEvS14_,@function
_ZN7rocprim17ROCPRIM_400000_NS6detail17trampoline_kernelINS0_14default_configENS1_22reduce_config_selectorIN6thrust23THRUST_200600_302600_NS5tupleIblNS6_9null_typeES8_S8_S8_S8_S8_S8_S8_EEEEZNS1_11reduce_implILb1ES3_NS6_12zip_iteratorINS7_INS6_11hip_rocprim26transform_input_iterator_tIbNSD_35transform_pair_of_input_iterators_tIbNS6_6detail15normal_iteratorINS6_10device_ptrIKsEEEESL_NS6_8equal_toIsEEEENSG_9not_fun_tINSD_8identityEEEEENSD_19counting_iterator_tIlEES8_S8_S8_S8_S8_S8_S8_S8_EEEEPS9_S9_NSD_9__find_if7functorIS9_EEEE10hipError_tPvRmT1_T2_T3_mT4_P12ihipStream_tbEUlT_E0_NS1_11comp_targetILNS1_3genE10ELNS1_11target_archE1201ELNS1_3gpuE5ELNS1_3repE0EEENS1_30default_config_static_selectorELNS0_4arch9wavefront6targetE1EEEvS14_: ; @_ZN7rocprim17ROCPRIM_400000_NS6detail17trampoline_kernelINS0_14default_configENS1_22reduce_config_selectorIN6thrust23THRUST_200600_302600_NS5tupleIblNS6_9null_typeES8_S8_S8_S8_S8_S8_S8_EEEEZNS1_11reduce_implILb1ES3_NS6_12zip_iteratorINS7_INS6_11hip_rocprim26transform_input_iterator_tIbNSD_35transform_pair_of_input_iterators_tIbNS6_6detail15normal_iteratorINS6_10device_ptrIKsEEEESL_NS6_8equal_toIsEEEENSG_9not_fun_tINSD_8identityEEEEENSD_19counting_iterator_tIlEES8_S8_S8_S8_S8_S8_S8_S8_EEEEPS9_S9_NSD_9__find_if7functorIS9_EEEE10hipError_tPvRmT1_T2_T3_mT4_P12ihipStream_tbEUlT_E0_NS1_11comp_targetILNS1_3genE10ELNS1_11target_archE1201ELNS1_3gpuE5ELNS1_3repE0EEENS1_30default_config_static_selectorELNS0_4arch9wavefront6targetE1EEEvS14_
; %bb.0:
	.section	.rodata,"a",@progbits
	.p2align	6, 0x0
	.amdhsa_kernel _ZN7rocprim17ROCPRIM_400000_NS6detail17trampoline_kernelINS0_14default_configENS1_22reduce_config_selectorIN6thrust23THRUST_200600_302600_NS5tupleIblNS6_9null_typeES8_S8_S8_S8_S8_S8_S8_EEEEZNS1_11reduce_implILb1ES3_NS6_12zip_iteratorINS7_INS6_11hip_rocprim26transform_input_iterator_tIbNSD_35transform_pair_of_input_iterators_tIbNS6_6detail15normal_iteratorINS6_10device_ptrIKsEEEESL_NS6_8equal_toIsEEEENSG_9not_fun_tINSD_8identityEEEEENSD_19counting_iterator_tIlEES8_S8_S8_S8_S8_S8_S8_S8_EEEEPS9_S9_NSD_9__find_if7functorIS9_EEEE10hipError_tPvRmT1_T2_T3_mT4_P12ihipStream_tbEUlT_E0_NS1_11comp_targetILNS1_3genE10ELNS1_11target_archE1201ELNS1_3gpuE5ELNS1_3repE0EEENS1_30default_config_static_selectorELNS0_4arch9wavefront6targetE1EEEvS14_
		.amdhsa_group_segment_fixed_size 0
		.amdhsa_private_segment_fixed_size 0
		.amdhsa_kernarg_size 104
		.amdhsa_user_sgpr_count 6
		.amdhsa_user_sgpr_private_segment_buffer 1
		.amdhsa_user_sgpr_dispatch_ptr 0
		.amdhsa_user_sgpr_queue_ptr 0
		.amdhsa_user_sgpr_kernarg_segment_ptr 1
		.amdhsa_user_sgpr_dispatch_id 0
		.amdhsa_user_sgpr_flat_scratch_init 0
		.amdhsa_user_sgpr_kernarg_preload_length 0
		.amdhsa_user_sgpr_kernarg_preload_offset 0
		.amdhsa_user_sgpr_private_segment_size 0
		.amdhsa_uses_dynamic_stack 0
		.amdhsa_system_sgpr_private_segment_wavefront_offset 0
		.amdhsa_system_sgpr_workgroup_id_x 1
		.amdhsa_system_sgpr_workgroup_id_y 0
		.amdhsa_system_sgpr_workgroup_id_z 0
		.amdhsa_system_sgpr_workgroup_info 0
		.amdhsa_system_vgpr_workitem_id 0
		.amdhsa_next_free_vgpr 1
		.amdhsa_next_free_sgpr 0
		.amdhsa_accum_offset 4
		.amdhsa_reserve_vcc 0
		.amdhsa_reserve_flat_scratch 0
		.amdhsa_float_round_mode_32 0
		.amdhsa_float_round_mode_16_64 0
		.amdhsa_float_denorm_mode_32 3
		.amdhsa_float_denorm_mode_16_64 3
		.amdhsa_dx10_clamp 1
		.amdhsa_ieee_mode 1
		.amdhsa_fp16_overflow 0
		.amdhsa_tg_split 0
		.amdhsa_exception_fp_ieee_invalid_op 0
		.amdhsa_exception_fp_denorm_src 0
		.amdhsa_exception_fp_ieee_div_zero 0
		.amdhsa_exception_fp_ieee_overflow 0
		.amdhsa_exception_fp_ieee_underflow 0
		.amdhsa_exception_fp_ieee_inexact 0
		.amdhsa_exception_int_div_zero 0
	.end_amdhsa_kernel
	.section	.text._ZN7rocprim17ROCPRIM_400000_NS6detail17trampoline_kernelINS0_14default_configENS1_22reduce_config_selectorIN6thrust23THRUST_200600_302600_NS5tupleIblNS6_9null_typeES8_S8_S8_S8_S8_S8_S8_EEEEZNS1_11reduce_implILb1ES3_NS6_12zip_iteratorINS7_INS6_11hip_rocprim26transform_input_iterator_tIbNSD_35transform_pair_of_input_iterators_tIbNS6_6detail15normal_iteratorINS6_10device_ptrIKsEEEESL_NS6_8equal_toIsEEEENSG_9not_fun_tINSD_8identityEEEEENSD_19counting_iterator_tIlEES8_S8_S8_S8_S8_S8_S8_S8_EEEEPS9_S9_NSD_9__find_if7functorIS9_EEEE10hipError_tPvRmT1_T2_T3_mT4_P12ihipStream_tbEUlT_E0_NS1_11comp_targetILNS1_3genE10ELNS1_11target_archE1201ELNS1_3gpuE5ELNS1_3repE0EEENS1_30default_config_static_selectorELNS0_4arch9wavefront6targetE1EEEvS14_,"axG",@progbits,_ZN7rocprim17ROCPRIM_400000_NS6detail17trampoline_kernelINS0_14default_configENS1_22reduce_config_selectorIN6thrust23THRUST_200600_302600_NS5tupleIblNS6_9null_typeES8_S8_S8_S8_S8_S8_S8_EEEEZNS1_11reduce_implILb1ES3_NS6_12zip_iteratorINS7_INS6_11hip_rocprim26transform_input_iterator_tIbNSD_35transform_pair_of_input_iterators_tIbNS6_6detail15normal_iteratorINS6_10device_ptrIKsEEEESL_NS6_8equal_toIsEEEENSG_9not_fun_tINSD_8identityEEEEENSD_19counting_iterator_tIlEES8_S8_S8_S8_S8_S8_S8_S8_EEEEPS9_S9_NSD_9__find_if7functorIS9_EEEE10hipError_tPvRmT1_T2_T3_mT4_P12ihipStream_tbEUlT_E0_NS1_11comp_targetILNS1_3genE10ELNS1_11target_archE1201ELNS1_3gpuE5ELNS1_3repE0EEENS1_30default_config_static_selectorELNS0_4arch9wavefront6targetE1EEEvS14_,comdat
.Lfunc_end966:
	.size	_ZN7rocprim17ROCPRIM_400000_NS6detail17trampoline_kernelINS0_14default_configENS1_22reduce_config_selectorIN6thrust23THRUST_200600_302600_NS5tupleIblNS6_9null_typeES8_S8_S8_S8_S8_S8_S8_EEEEZNS1_11reduce_implILb1ES3_NS6_12zip_iteratorINS7_INS6_11hip_rocprim26transform_input_iterator_tIbNSD_35transform_pair_of_input_iterators_tIbNS6_6detail15normal_iteratorINS6_10device_ptrIKsEEEESL_NS6_8equal_toIsEEEENSG_9not_fun_tINSD_8identityEEEEENSD_19counting_iterator_tIlEES8_S8_S8_S8_S8_S8_S8_S8_EEEEPS9_S9_NSD_9__find_if7functorIS9_EEEE10hipError_tPvRmT1_T2_T3_mT4_P12ihipStream_tbEUlT_E0_NS1_11comp_targetILNS1_3genE10ELNS1_11target_archE1201ELNS1_3gpuE5ELNS1_3repE0EEENS1_30default_config_static_selectorELNS0_4arch9wavefront6targetE1EEEvS14_, .Lfunc_end966-_ZN7rocprim17ROCPRIM_400000_NS6detail17trampoline_kernelINS0_14default_configENS1_22reduce_config_selectorIN6thrust23THRUST_200600_302600_NS5tupleIblNS6_9null_typeES8_S8_S8_S8_S8_S8_S8_EEEEZNS1_11reduce_implILb1ES3_NS6_12zip_iteratorINS7_INS6_11hip_rocprim26transform_input_iterator_tIbNSD_35transform_pair_of_input_iterators_tIbNS6_6detail15normal_iteratorINS6_10device_ptrIKsEEEESL_NS6_8equal_toIsEEEENSG_9not_fun_tINSD_8identityEEEEENSD_19counting_iterator_tIlEES8_S8_S8_S8_S8_S8_S8_S8_EEEEPS9_S9_NSD_9__find_if7functorIS9_EEEE10hipError_tPvRmT1_T2_T3_mT4_P12ihipStream_tbEUlT_E0_NS1_11comp_targetILNS1_3genE10ELNS1_11target_archE1201ELNS1_3gpuE5ELNS1_3repE0EEENS1_30default_config_static_selectorELNS0_4arch9wavefront6targetE1EEEvS14_
                                        ; -- End function
	.section	.AMDGPU.csdata,"",@progbits
; Kernel info:
; codeLenInByte = 0
; NumSgprs: 4
; NumVgprs: 0
; NumAgprs: 0
; TotalNumVgprs: 0
; ScratchSize: 0
; MemoryBound: 0
; FloatMode: 240
; IeeeMode: 1
; LDSByteSize: 0 bytes/workgroup (compile time only)
; SGPRBlocks: 0
; VGPRBlocks: 0
; NumSGPRsForWavesPerEU: 4
; NumVGPRsForWavesPerEU: 1
; AccumOffset: 4
; Occupancy: 8
; WaveLimiterHint : 0
; COMPUTE_PGM_RSRC2:SCRATCH_EN: 0
; COMPUTE_PGM_RSRC2:USER_SGPR: 6
; COMPUTE_PGM_RSRC2:TRAP_HANDLER: 0
; COMPUTE_PGM_RSRC2:TGID_X_EN: 1
; COMPUTE_PGM_RSRC2:TGID_Y_EN: 0
; COMPUTE_PGM_RSRC2:TGID_Z_EN: 0
; COMPUTE_PGM_RSRC2:TIDIG_COMP_CNT: 0
; COMPUTE_PGM_RSRC3_GFX90A:ACCUM_OFFSET: 0
; COMPUTE_PGM_RSRC3_GFX90A:TG_SPLIT: 0
	.section	.text._ZN7rocprim17ROCPRIM_400000_NS6detail17trampoline_kernelINS0_14default_configENS1_22reduce_config_selectorIN6thrust23THRUST_200600_302600_NS5tupleIblNS6_9null_typeES8_S8_S8_S8_S8_S8_S8_EEEEZNS1_11reduce_implILb1ES3_NS6_12zip_iteratorINS7_INS6_11hip_rocprim26transform_input_iterator_tIbNSD_35transform_pair_of_input_iterators_tIbNS6_6detail15normal_iteratorINS6_10device_ptrIKsEEEESL_NS6_8equal_toIsEEEENSG_9not_fun_tINSD_8identityEEEEENSD_19counting_iterator_tIlEES8_S8_S8_S8_S8_S8_S8_S8_EEEEPS9_S9_NSD_9__find_if7functorIS9_EEEE10hipError_tPvRmT1_T2_T3_mT4_P12ihipStream_tbEUlT_E0_NS1_11comp_targetILNS1_3genE10ELNS1_11target_archE1200ELNS1_3gpuE4ELNS1_3repE0EEENS1_30default_config_static_selectorELNS0_4arch9wavefront6targetE1EEEvS14_,"axG",@progbits,_ZN7rocprim17ROCPRIM_400000_NS6detail17trampoline_kernelINS0_14default_configENS1_22reduce_config_selectorIN6thrust23THRUST_200600_302600_NS5tupleIblNS6_9null_typeES8_S8_S8_S8_S8_S8_S8_EEEEZNS1_11reduce_implILb1ES3_NS6_12zip_iteratorINS7_INS6_11hip_rocprim26transform_input_iterator_tIbNSD_35transform_pair_of_input_iterators_tIbNS6_6detail15normal_iteratorINS6_10device_ptrIKsEEEESL_NS6_8equal_toIsEEEENSG_9not_fun_tINSD_8identityEEEEENSD_19counting_iterator_tIlEES8_S8_S8_S8_S8_S8_S8_S8_EEEEPS9_S9_NSD_9__find_if7functorIS9_EEEE10hipError_tPvRmT1_T2_T3_mT4_P12ihipStream_tbEUlT_E0_NS1_11comp_targetILNS1_3genE10ELNS1_11target_archE1200ELNS1_3gpuE4ELNS1_3repE0EEENS1_30default_config_static_selectorELNS0_4arch9wavefront6targetE1EEEvS14_,comdat
	.protected	_ZN7rocprim17ROCPRIM_400000_NS6detail17trampoline_kernelINS0_14default_configENS1_22reduce_config_selectorIN6thrust23THRUST_200600_302600_NS5tupleIblNS6_9null_typeES8_S8_S8_S8_S8_S8_S8_EEEEZNS1_11reduce_implILb1ES3_NS6_12zip_iteratorINS7_INS6_11hip_rocprim26transform_input_iterator_tIbNSD_35transform_pair_of_input_iterators_tIbNS6_6detail15normal_iteratorINS6_10device_ptrIKsEEEESL_NS6_8equal_toIsEEEENSG_9not_fun_tINSD_8identityEEEEENSD_19counting_iterator_tIlEES8_S8_S8_S8_S8_S8_S8_S8_EEEEPS9_S9_NSD_9__find_if7functorIS9_EEEE10hipError_tPvRmT1_T2_T3_mT4_P12ihipStream_tbEUlT_E0_NS1_11comp_targetILNS1_3genE10ELNS1_11target_archE1200ELNS1_3gpuE4ELNS1_3repE0EEENS1_30default_config_static_selectorELNS0_4arch9wavefront6targetE1EEEvS14_ ; -- Begin function _ZN7rocprim17ROCPRIM_400000_NS6detail17trampoline_kernelINS0_14default_configENS1_22reduce_config_selectorIN6thrust23THRUST_200600_302600_NS5tupleIblNS6_9null_typeES8_S8_S8_S8_S8_S8_S8_EEEEZNS1_11reduce_implILb1ES3_NS6_12zip_iteratorINS7_INS6_11hip_rocprim26transform_input_iterator_tIbNSD_35transform_pair_of_input_iterators_tIbNS6_6detail15normal_iteratorINS6_10device_ptrIKsEEEESL_NS6_8equal_toIsEEEENSG_9not_fun_tINSD_8identityEEEEENSD_19counting_iterator_tIlEES8_S8_S8_S8_S8_S8_S8_S8_EEEEPS9_S9_NSD_9__find_if7functorIS9_EEEE10hipError_tPvRmT1_T2_T3_mT4_P12ihipStream_tbEUlT_E0_NS1_11comp_targetILNS1_3genE10ELNS1_11target_archE1200ELNS1_3gpuE4ELNS1_3repE0EEENS1_30default_config_static_selectorELNS0_4arch9wavefront6targetE1EEEvS14_
	.globl	_ZN7rocprim17ROCPRIM_400000_NS6detail17trampoline_kernelINS0_14default_configENS1_22reduce_config_selectorIN6thrust23THRUST_200600_302600_NS5tupleIblNS6_9null_typeES8_S8_S8_S8_S8_S8_S8_EEEEZNS1_11reduce_implILb1ES3_NS6_12zip_iteratorINS7_INS6_11hip_rocprim26transform_input_iterator_tIbNSD_35transform_pair_of_input_iterators_tIbNS6_6detail15normal_iteratorINS6_10device_ptrIKsEEEESL_NS6_8equal_toIsEEEENSG_9not_fun_tINSD_8identityEEEEENSD_19counting_iterator_tIlEES8_S8_S8_S8_S8_S8_S8_S8_EEEEPS9_S9_NSD_9__find_if7functorIS9_EEEE10hipError_tPvRmT1_T2_T3_mT4_P12ihipStream_tbEUlT_E0_NS1_11comp_targetILNS1_3genE10ELNS1_11target_archE1200ELNS1_3gpuE4ELNS1_3repE0EEENS1_30default_config_static_selectorELNS0_4arch9wavefront6targetE1EEEvS14_
	.p2align	8
	.type	_ZN7rocprim17ROCPRIM_400000_NS6detail17trampoline_kernelINS0_14default_configENS1_22reduce_config_selectorIN6thrust23THRUST_200600_302600_NS5tupleIblNS6_9null_typeES8_S8_S8_S8_S8_S8_S8_EEEEZNS1_11reduce_implILb1ES3_NS6_12zip_iteratorINS7_INS6_11hip_rocprim26transform_input_iterator_tIbNSD_35transform_pair_of_input_iterators_tIbNS6_6detail15normal_iteratorINS6_10device_ptrIKsEEEESL_NS6_8equal_toIsEEEENSG_9not_fun_tINSD_8identityEEEEENSD_19counting_iterator_tIlEES8_S8_S8_S8_S8_S8_S8_S8_EEEEPS9_S9_NSD_9__find_if7functorIS9_EEEE10hipError_tPvRmT1_T2_T3_mT4_P12ihipStream_tbEUlT_E0_NS1_11comp_targetILNS1_3genE10ELNS1_11target_archE1200ELNS1_3gpuE4ELNS1_3repE0EEENS1_30default_config_static_selectorELNS0_4arch9wavefront6targetE1EEEvS14_,@function
_ZN7rocprim17ROCPRIM_400000_NS6detail17trampoline_kernelINS0_14default_configENS1_22reduce_config_selectorIN6thrust23THRUST_200600_302600_NS5tupleIblNS6_9null_typeES8_S8_S8_S8_S8_S8_S8_EEEEZNS1_11reduce_implILb1ES3_NS6_12zip_iteratorINS7_INS6_11hip_rocprim26transform_input_iterator_tIbNSD_35transform_pair_of_input_iterators_tIbNS6_6detail15normal_iteratorINS6_10device_ptrIKsEEEESL_NS6_8equal_toIsEEEENSG_9not_fun_tINSD_8identityEEEEENSD_19counting_iterator_tIlEES8_S8_S8_S8_S8_S8_S8_S8_EEEEPS9_S9_NSD_9__find_if7functorIS9_EEEE10hipError_tPvRmT1_T2_T3_mT4_P12ihipStream_tbEUlT_E0_NS1_11comp_targetILNS1_3genE10ELNS1_11target_archE1200ELNS1_3gpuE4ELNS1_3repE0EEENS1_30default_config_static_selectorELNS0_4arch9wavefront6targetE1EEEvS14_: ; @_ZN7rocprim17ROCPRIM_400000_NS6detail17trampoline_kernelINS0_14default_configENS1_22reduce_config_selectorIN6thrust23THRUST_200600_302600_NS5tupleIblNS6_9null_typeES8_S8_S8_S8_S8_S8_S8_EEEEZNS1_11reduce_implILb1ES3_NS6_12zip_iteratorINS7_INS6_11hip_rocprim26transform_input_iterator_tIbNSD_35transform_pair_of_input_iterators_tIbNS6_6detail15normal_iteratorINS6_10device_ptrIKsEEEESL_NS6_8equal_toIsEEEENSG_9not_fun_tINSD_8identityEEEEENSD_19counting_iterator_tIlEES8_S8_S8_S8_S8_S8_S8_S8_EEEEPS9_S9_NSD_9__find_if7functorIS9_EEEE10hipError_tPvRmT1_T2_T3_mT4_P12ihipStream_tbEUlT_E0_NS1_11comp_targetILNS1_3genE10ELNS1_11target_archE1200ELNS1_3gpuE4ELNS1_3repE0EEENS1_30default_config_static_selectorELNS0_4arch9wavefront6targetE1EEEvS14_
; %bb.0:
	.section	.rodata,"a",@progbits
	.p2align	6, 0x0
	.amdhsa_kernel _ZN7rocprim17ROCPRIM_400000_NS6detail17trampoline_kernelINS0_14default_configENS1_22reduce_config_selectorIN6thrust23THRUST_200600_302600_NS5tupleIblNS6_9null_typeES8_S8_S8_S8_S8_S8_S8_EEEEZNS1_11reduce_implILb1ES3_NS6_12zip_iteratorINS7_INS6_11hip_rocprim26transform_input_iterator_tIbNSD_35transform_pair_of_input_iterators_tIbNS6_6detail15normal_iteratorINS6_10device_ptrIKsEEEESL_NS6_8equal_toIsEEEENSG_9not_fun_tINSD_8identityEEEEENSD_19counting_iterator_tIlEES8_S8_S8_S8_S8_S8_S8_S8_EEEEPS9_S9_NSD_9__find_if7functorIS9_EEEE10hipError_tPvRmT1_T2_T3_mT4_P12ihipStream_tbEUlT_E0_NS1_11comp_targetILNS1_3genE10ELNS1_11target_archE1200ELNS1_3gpuE4ELNS1_3repE0EEENS1_30default_config_static_selectorELNS0_4arch9wavefront6targetE1EEEvS14_
		.amdhsa_group_segment_fixed_size 0
		.amdhsa_private_segment_fixed_size 0
		.amdhsa_kernarg_size 104
		.amdhsa_user_sgpr_count 6
		.amdhsa_user_sgpr_private_segment_buffer 1
		.amdhsa_user_sgpr_dispatch_ptr 0
		.amdhsa_user_sgpr_queue_ptr 0
		.amdhsa_user_sgpr_kernarg_segment_ptr 1
		.amdhsa_user_sgpr_dispatch_id 0
		.amdhsa_user_sgpr_flat_scratch_init 0
		.amdhsa_user_sgpr_kernarg_preload_length 0
		.amdhsa_user_sgpr_kernarg_preload_offset 0
		.amdhsa_user_sgpr_private_segment_size 0
		.amdhsa_uses_dynamic_stack 0
		.amdhsa_system_sgpr_private_segment_wavefront_offset 0
		.amdhsa_system_sgpr_workgroup_id_x 1
		.amdhsa_system_sgpr_workgroup_id_y 0
		.amdhsa_system_sgpr_workgroup_id_z 0
		.amdhsa_system_sgpr_workgroup_info 0
		.amdhsa_system_vgpr_workitem_id 0
		.amdhsa_next_free_vgpr 1
		.amdhsa_next_free_sgpr 0
		.amdhsa_accum_offset 4
		.amdhsa_reserve_vcc 0
		.amdhsa_reserve_flat_scratch 0
		.amdhsa_float_round_mode_32 0
		.amdhsa_float_round_mode_16_64 0
		.amdhsa_float_denorm_mode_32 3
		.amdhsa_float_denorm_mode_16_64 3
		.amdhsa_dx10_clamp 1
		.amdhsa_ieee_mode 1
		.amdhsa_fp16_overflow 0
		.amdhsa_tg_split 0
		.amdhsa_exception_fp_ieee_invalid_op 0
		.amdhsa_exception_fp_denorm_src 0
		.amdhsa_exception_fp_ieee_div_zero 0
		.amdhsa_exception_fp_ieee_overflow 0
		.amdhsa_exception_fp_ieee_underflow 0
		.amdhsa_exception_fp_ieee_inexact 0
		.amdhsa_exception_int_div_zero 0
	.end_amdhsa_kernel
	.section	.text._ZN7rocprim17ROCPRIM_400000_NS6detail17trampoline_kernelINS0_14default_configENS1_22reduce_config_selectorIN6thrust23THRUST_200600_302600_NS5tupleIblNS6_9null_typeES8_S8_S8_S8_S8_S8_S8_EEEEZNS1_11reduce_implILb1ES3_NS6_12zip_iteratorINS7_INS6_11hip_rocprim26transform_input_iterator_tIbNSD_35transform_pair_of_input_iterators_tIbNS6_6detail15normal_iteratorINS6_10device_ptrIKsEEEESL_NS6_8equal_toIsEEEENSG_9not_fun_tINSD_8identityEEEEENSD_19counting_iterator_tIlEES8_S8_S8_S8_S8_S8_S8_S8_EEEEPS9_S9_NSD_9__find_if7functorIS9_EEEE10hipError_tPvRmT1_T2_T3_mT4_P12ihipStream_tbEUlT_E0_NS1_11comp_targetILNS1_3genE10ELNS1_11target_archE1200ELNS1_3gpuE4ELNS1_3repE0EEENS1_30default_config_static_selectorELNS0_4arch9wavefront6targetE1EEEvS14_,"axG",@progbits,_ZN7rocprim17ROCPRIM_400000_NS6detail17trampoline_kernelINS0_14default_configENS1_22reduce_config_selectorIN6thrust23THRUST_200600_302600_NS5tupleIblNS6_9null_typeES8_S8_S8_S8_S8_S8_S8_EEEEZNS1_11reduce_implILb1ES3_NS6_12zip_iteratorINS7_INS6_11hip_rocprim26transform_input_iterator_tIbNSD_35transform_pair_of_input_iterators_tIbNS6_6detail15normal_iteratorINS6_10device_ptrIKsEEEESL_NS6_8equal_toIsEEEENSG_9not_fun_tINSD_8identityEEEEENSD_19counting_iterator_tIlEES8_S8_S8_S8_S8_S8_S8_S8_EEEEPS9_S9_NSD_9__find_if7functorIS9_EEEE10hipError_tPvRmT1_T2_T3_mT4_P12ihipStream_tbEUlT_E0_NS1_11comp_targetILNS1_3genE10ELNS1_11target_archE1200ELNS1_3gpuE4ELNS1_3repE0EEENS1_30default_config_static_selectorELNS0_4arch9wavefront6targetE1EEEvS14_,comdat
.Lfunc_end967:
	.size	_ZN7rocprim17ROCPRIM_400000_NS6detail17trampoline_kernelINS0_14default_configENS1_22reduce_config_selectorIN6thrust23THRUST_200600_302600_NS5tupleIblNS6_9null_typeES8_S8_S8_S8_S8_S8_S8_EEEEZNS1_11reduce_implILb1ES3_NS6_12zip_iteratorINS7_INS6_11hip_rocprim26transform_input_iterator_tIbNSD_35transform_pair_of_input_iterators_tIbNS6_6detail15normal_iteratorINS6_10device_ptrIKsEEEESL_NS6_8equal_toIsEEEENSG_9not_fun_tINSD_8identityEEEEENSD_19counting_iterator_tIlEES8_S8_S8_S8_S8_S8_S8_S8_EEEEPS9_S9_NSD_9__find_if7functorIS9_EEEE10hipError_tPvRmT1_T2_T3_mT4_P12ihipStream_tbEUlT_E0_NS1_11comp_targetILNS1_3genE10ELNS1_11target_archE1200ELNS1_3gpuE4ELNS1_3repE0EEENS1_30default_config_static_selectorELNS0_4arch9wavefront6targetE1EEEvS14_, .Lfunc_end967-_ZN7rocprim17ROCPRIM_400000_NS6detail17trampoline_kernelINS0_14default_configENS1_22reduce_config_selectorIN6thrust23THRUST_200600_302600_NS5tupleIblNS6_9null_typeES8_S8_S8_S8_S8_S8_S8_EEEEZNS1_11reduce_implILb1ES3_NS6_12zip_iteratorINS7_INS6_11hip_rocprim26transform_input_iterator_tIbNSD_35transform_pair_of_input_iterators_tIbNS6_6detail15normal_iteratorINS6_10device_ptrIKsEEEESL_NS6_8equal_toIsEEEENSG_9not_fun_tINSD_8identityEEEEENSD_19counting_iterator_tIlEES8_S8_S8_S8_S8_S8_S8_S8_EEEEPS9_S9_NSD_9__find_if7functorIS9_EEEE10hipError_tPvRmT1_T2_T3_mT4_P12ihipStream_tbEUlT_E0_NS1_11comp_targetILNS1_3genE10ELNS1_11target_archE1200ELNS1_3gpuE4ELNS1_3repE0EEENS1_30default_config_static_selectorELNS0_4arch9wavefront6targetE1EEEvS14_
                                        ; -- End function
	.section	.AMDGPU.csdata,"",@progbits
; Kernel info:
; codeLenInByte = 0
; NumSgprs: 4
; NumVgprs: 0
; NumAgprs: 0
; TotalNumVgprs: 0
; ScratchSize: 0
; MemoryBound: 0
; FloatMode: 240
; IeeeMode: 1
; LDSByteSize: 0 bytes/workgroup (compile time only)
; SGPRBlocks: 0
; VGPRBlocks: 0
; NumSGPRsForWavesPerEU: 4
; NumVGPRsForWavesPerEU: 1
; AccumOffset: 4
; Occupancy: 8
; WaveLimiterHint : 0
; COMPUTE_PGM_RSRC2:SCRATCH_EN: 0
; COMPUTE_PGM_RSRC2:USER_SGPR: 6
; COMPUTE_PGM_RSRC2:TRAP_HANDLER: 0
; COMPUTE_PGM_RSRC2:TGID_X_EN: 1
; COMPUTE_PGM_RSRC2:TGID_Y_EN: 0
; COMPUTE_PGM_RSRC2:TGID_Z_EN: 0
; COMPUTE_PGM_RSRC2:TIDIG_COMP_CNT: 0
; COMPUTE_PGM_RSRC3_GFX90A:ACCUM_OFFSET: 0
; COMPUTE_PGM_RSRC3_GFX90A:TG_SPLIT: 0
	.section	.text._ZN7rocprim17ROCPRIM_400000_NS6detail17trampoline_kernelINS0_14default_configENS1_22reduce_config_selectorIN6thrust23THRUST_200600_302600_NS5tupleIblNS6_9null_typeES8_S8_S8_S8_S8_S8_S8_EEEEZNS1_11reduce_implILb1ES3_NS6_12zip_iteratorINS7_INS6_11hip_rocprim26transform_input_iterator_tIbNSD_35transform_pair_of_input_iterators_tIbNS6_6detail15normal_iteratorINS6_10device_ptrIKsEEEESL_NS6_8equal_toIsEEEENSG_9not_fun_tINSD_8identityEEEEENSD_19counting_iterator_tIlEES8_S8_S8_S8_S8_S8_S8_S8_EEEEPS9_S9_NSD_9__find_if7functorIS9_EEEE10hipError_tPvRmT1_T2_T3_mT4_P12ihipStream_tbEUlT_E0_NS1_11comp_targetILNS1_3genE9ELNS1_11target_archE1100ELNS1_3gpuE3ELNS1_3repE0EEENS1_30default_config_static_selectorELNS0_4arch9wavefront6targetE1EEEvS14_,"axG",@progbits,_ZN7rocprim17ROCPRIM_400000_NS6detail17trampoline_kernelINS0_14default_configENS1_22reduce_config_selectorIN6thrust23THRUST_200600_302600_NS5tupleIblNS6_9null_typeES8_S8_S8_S8_S8_S8_S8_EEEEZNS1_11reduce_implILb1ES3_NS6_12zip_iteratorINS7_INS6_11hip_rocprim26transform_input_iterator_tIbNSD_35transform_pair_of_input_iterators_tIbNS6_6detail15normal_iteratorINS6_10device_ptrIKsEEEESL_NS6_8equal_toIsEEEENSG_9not_fun_tINSD_8identityEEEEENSD_19counting_iterator_tIlEES8_S8_S8_S8_S8_S8_S8_S8_EEEEPS9_S9_NSD_9__find_if7functorIS9_EEEE10hipError_tPvRmT1_T2_T3_mT4_P12ihipStream_tbEUlT_E0_NS1_11comp_targetILNS1_3genE9ELNS1_11target_archE1100ELNS1_3gpuE3ELNS1_3repE0EEENS1_30default_config_static_selectorELNS0_4arch9wavefront6targetE1EEEvS14_,comdat
	.protected	_ZN7rocprim17ROCPRIM_400000_NS6detail17trampoline_kernelINS0_14default_configENS1_22reduce_config_selectorIN6thrust23THRUST_200600_302600_NS5tupleIblNS6_9null_typeES8_S8_S8_S8_S8_S8_S8_EEEEZNS1_11reduce_implILb1ES3_NS6_12zip_iteratorINS7_INS6_11hip_rocprim26transform_input_iterator_tIbNSD_35transform_pair_of_input_iterators_tIbNS6_6detail15normal_iteratorINS6_10device_ptrIKsEEEESL_NS6_8equal_toIsEEEENSG_9not_fun_tINSD_8identityEEEEENSD_19counting_iterator_tIlEES8_S8_S8_S8_S8_S8_S8_S8_EEEEPS9_S9_NSD_9__find_if7functorIS9_EEEE10hipError_tPvRmT1_T2_T3_mT4_P12ihipStream_tbEUlT_E0_NS1_11comp_targetILNS1_3genE9ELNS1_11target_archE1100ELNS1_3gpuE3ELNS1_3repE0EEENS1_30default_config_static_selectorELNS0_4arch9wavefront6targetE1EEEvS14_ ; -- Begin function _ZN7rocprim17ROCPRIM_400000_NS6detail17trampoline_kernelINS0_14default_configENS1_22reduce_config_selectorIN6thrust23THRUST_200600_302600_NS5tupleIblNS6_9null_typeES8_S8_S8_S8_S8_S8_S8_EEEEZNS1_11reduce_implILb1ES3_NS6_12zip_iteratorINS7_INS6_11hip_rocprim26transform_input_iterator_tIbNSD_35transform_pair_of_input_iterators_tIbNS6_6detail15normal_iteratorINS6_10device_ptrIKsEEEESL_NS6_8equal_toIsEEEENSG_9not_fun_tINSD_8identityEEEEENSD_19counting_iterator_tIlEES8_S8_S8_S8_S8_S8_S8_S8_EEEEPS9_S9_NSD_9__find_if7functorIS9_EEEE10hipError_tPvRmT1_T2_T3_mT4_P12ihipStream_tbEUlT_E0_NS1_11comp_targetILNS1_3genE9ELNS1_11target_archE1100ELNS1_3gpuE3ELNS1_3repE0EEENS1_30default_config_static_selectorELNS0_4arch9wavefront6targetE1EEEvS14_
	.globl	_ZN7rocprim17ROCPRIM_400000_NS6detail17trampoline_kernelINS0_14default_configENS1_22reduce_config_selectorIN6thrust23THRUST_200600_302600_NS5tupleIblNS6_9null_typeES8_S8_S8_S8_S8_S8_S8_EEEEZNS1_11reduce_implILb1ES3_NS6_12zip_iteratorINS7_INS6_11hip_rocprim26transform_input_iterator_tIbNSD_35transform_pair_of_input_iterators_tIbNS6_6detail15normal_iteratorINS6_10device_ptrIKsEEEESL_NS6_8equal_toIsEEEENSG_9not_fun_tINSD_8identityEEEEENSD_19counting_iterator_tIlEES8_S8_S8_S8_S8_S8_S8_S8_EEEEPS9_S9_NSD_9__find_if7functorIS9_EEEE10hipError_tPvRmT1_T2_T3_mT4_P12ihipStream_tbEUlT_E0_NS1_11comp_targetILNS1_3genE9ELNS1_11target_archE1100ELNS1_3gpuE3ELNS1_3repE0EEENS1_30default_config_static_selectorELNS0_4arch9wavefront6targetE1EEEvS14_
	.p2align	8
	.type	_ZN7rocprim17ROCPRIM_400000_NS6detail17trampoline_kernelINS0_14default_configENS1_22reduce_config_selectorIN6thrust23THRUST_200600_302600_NS5tupleIblNS6_9null_typeES8_S8_S8_S8_S8_S8_S8_EEEEZNS1_11reduce_implILb1ES3_NS6_12zip_iteratorINS7_INS6_11hip_rocprim26transform_input_iterator_tIbNSD_35transform_pair_of_input_iterators_tIbNS6_6detail15normal_iteratorINS6_10device_ptrIKsEEEESL_NS6_8equal_toIsEEEENSG_9not_fun_tINSD_8identityEEEEENSD_19counting_iterator_tIlEES8_S8_S8_S8_S8_S8_S8_S8_EEEEPS9_S9_NSD_9__find_if7functorIS9_EEEE10hipError_tPvRmT1_T2_T3_mT4_P12ihipStream_tbEUlT_E0_NS1_11comp_targetILNS1_3genE9ELNS1_11target_archE1100ELNS1_3gpuE3ELNS1_3repE0EEENS1_30default_config_static_selectorELNS0_4arch9wavefront6targetE1EEEvS14_,@function
_ZN7rocprim17ROCPRIM_400000_NS6detail17trampoline_kernelINS0_14default_configENS1_22reduce_config_selectorIN6thrust23THRUST_200600_302600_NS5tupleIblNS6_9null_typeES8_S8_S8_S8_S8_S8_S8_EEEEZNS1_11reduce_implILb1ES3_NS6_12zip_iteratorINS7_INS6_11hip_rocprim26transform_input_iterator_tIbNSD_35transform_pair_of_input_iterators_tIbNS6_6detail15normal_iteratorINS6_10device_ptrIKsEEEESL_NS6_8equal_toIsEEEENSG_9not_fun_tINSD_8identityEEEEENSD_19counting_iterator_tIlEES8_S8_S8_S8_S8_S8_S8_S8_EEEEPS9_S9_NSD_9__find_if7functorIS9_EEEE10hipError_tPvRmT1_T2_T3_mT4_P12ihipStream_tbEUlT_E0_NS1_11comp_targetILNS1_3genE9ELNS1_11target_archE1100ELNS1_3gpuE3ELNS1_3repE0EEENS1_30default_config_static_selectorELNS0_4arch9wavefront6targetE1EEEvS14_: ; @_ZN7rocprim17ROCPRIM_400000_NS6detail17trampoline_kernelINS0_14default_configENS1_22reduce_config_selectorIN6thrust23THRUST_200600_302600_NS5tupleIblNS6_9null_typeES8_S8_S8_S8_S8_S8_S8_EEEEZNS1_11reduce_implILb1ES3_NS6_12zip_iteratorINS7_INS6_11hip_rocprim26transform_input_iterator_tIbNSD_35transform_pair_of_input_iterators_tIbNS6_6detail15normal_iteratorINS6_10device_ptrIKsEEEESL_NS6_8equal_toIsEEEENSG_9not_fun_tINSD_8identityEEEEENSD_19counting_iterator_tIlEES8_S8_S8_S8_S8_S8_S8_S8_EEEEPS9_S9_NSD_9__find_if7functorIS9_EEEE10hipError_tPvRmT1_T2_T3_mT4_P12ihipStream_tbEUlT_E0_NS1_11comp_targetILNS1_3genE9ELNS1_11target_archE1100ELNS1_3gpuE3ELNS1_3repE0EEENS1_30default_config_static_selectorELNS0_4arch9wavefront6targetE1EEEvS14_
; %bb.0:
	.section	.rodata,"a",@progbits
	.p2align	6, 0x0
	.amdhsa_kernel _ZN7rocprim17ROCPRIM_400000_NS6detail17trampoline_kernelINS0_14default_configENS1_22reduce_config_selectorIN6thrust23THRUST_200600_302600_NS5tupleIblNS6_9null_typeES8_S8_S8_S8_S8_S8_S8_EEEEZNS1_11reduce_implILb1ES3_NS6_12zip_iteratorINS7_INS6_11hip_rocprim26transform_input_iterator_tIbNSD_35transform_pair_of_input_iterators_tIbNS6_6detail15normal_iteratorINS6_10device_ptrIKsEEEESL_NS6_8equal_toIsEEEENSG_9not_fun_tINSD_8identityEEEEENSD_19counting_iterator_tIlEES8_S8_S8_S8_S8_S8_S8_S8_EEEEPS9_S9_NSD_9__find_if7functorIS9_EEEE10hipError_tPvRmT1_T2_T3_mT4_P12ihipStream_tbEUlT_E0_NS1_11comp_targetILNS1_3genE9ELNS1_11target_archE1100ELNS1_3gpuE3ELNS1_3repE0EEENS1_30default_config_static_selectorELNS0_4arch9wavefront6targetE1EEEvS14_
		.amdhsa_group_segment_fixed_size 0
		.amdhsa_private_segment_fixed_size 0
		.amdhsa_kernarg_size 104
		.amdhsa_user_sgpr_count 6
		.amdhsa_user_sgpr_private_segment_buffer 1
		.amdhsa_user_sgpr_dispatch_ptr 0
		.amdhsa_user_sgpr_queue_ptr 0
		.amdhsa_user_sgpr_kernarg_segment_ptr 1
		.amdhsa_user_sgpr_dispatch_id 0
		.amdhsa_user_sgpr_flat_scratch_init 0
		.amdhsa_user_sgpr_kernarg_preload_length 0
		.amdhsa_user_sgpr_kernarg_preload_offset 0
		.amdhsa_user_sgpr_private_segment_size 0
		.amdhsa_uses_dynamic_stack 0
		.amdhsa_system_sgpr_private_segment_wavefront_offset 0
		.amdhsa_system_sgpr_workgroup_id_x 1
		.amdhsa_system_sgpr_workgroup_id_y 0
		.amdhsa_system_sgpr_workgroup_id_z 0
		.amdhsa_system_sgpr_workgroup_info 0
		.amdhsa_system_vgpr_workitem_id 0
		.amdhsa_next_free_vgpr 1
		.amdhsa_next_free_sgpr 0
		.amdhsa_accum_offset 4
		.amdhsa_reserve_vcc 0
		.amdhsa_reserve_flat_scratch 0
		.amdhsa_float_round_mode_32 0
		.amdhsa_float_round_mode_16_64 0
		.amdhsa_float_denorm_mode_32 3
		.amdhsa_float_denorm_mode_16_64 3
		.amdhsa_dx10_clamp 1
		.amdhsa_ieee_mode 1
		.amdhsa_fp16_overflow 0
		.amdhsa_tg_split 0
		.amdhsa_exception_fp_ieee_invalid_op 0
		.amdhsa_exception_fp_denorm_src 0
		.amdhsa_exception_fp_ieee_div_zero 0
		.amdhsa_exception_fp_ieee_overflow 0
		.amdhsa_exception_fp_ieee_underflow 0
		.amdhsa_exception_fp_ieee_inexact 0
		.amdhsa_exception_int_div_zero 0
	.end_amdhsa_kernel
	.section	.text._ZN7rocprim17ROCPRIM_400000_NS6detail17trampoline_kernelINS0_14default_configENS1_22reduce_config_selectorIN6thrust23THRUST_200600_302600_NS5tupleIblNS6_9null_typeES8_S8_S8_S8_S8_S8_S8_EEEEZNS1_11reduce_implILb1ES3_NS6_12zip_iteratorINS7_INS6_11hip_rocprim26transform_input_iterator_tIbNSD_35transform_pair_of_input_iterators_tIbNS6_6detail15normal_iteratorINS6_10device_ptrIKsEEEESL_NS6_8equal_toIsEEEENSG_9not_fun_tINSD_8identityEEEEENSD_19counting_iterator_tIlEES8_S8_S8_S8_S8_S8_S8_S8_EEEEPS9_S9_NSD_9__find_if7functorIS9_EEEE10hipError_tPvRmT1_T2_T3_mT4_P12ihipStream_tbEUlT_E0_NS1_11comp_targetILNS1_3genE9ELNS1_11target_archE1100ELNS1_3gpuE3ELNS1_3repE0EEENS1_30default_config_static_selectorELNS0_4arch9wavefront6targetE1EEEvS14_,"axG",@progbits,_ZN7rocprim17ROCPRIM_400000_NS6detail17trampoline_kernelINS0_14default_configENS1_22reduce_config_selectorIN6thrust23THRUST_200600_302600_NS5tupleIblNS6_9null_typeES8_S8_S8_S8_S8_S8_S8_EEEEZNS1_11reduce_implILb1ES3_NS6_12zip_iteratorINS7_INS6_11hip_rocprim26transform_input_iterator_tIbNSD_35transform_pair_of_input_iterators_tIbNS6_6detail15normal_iteratorINS6_10device_ptrIKsEEEESL_NS6_8equal_toIsEEEENSG_9not_fun_tINSD_8identityEEEEENSD_19counting_iterator_tIlEES8_S8_S8_S8_S8_S8_S8_S8_EEEEPS9_S9_NSD_9__find_if7functorIS9_EEEE10hipError_tPvRmT1_T2_T3_mT4_P12ihipStream_tbEUlT_E0_NS1_11comp_targetILNS1_3genE9ELNS1_11target_archE1100ELNS1_3gpuE3ELNS1_3repE0EEENS1_30default_config_static_selectorELNS0_4arch9wavefront6targetE1EEEvS14_,comdat
.Lfunc_end968:
	.size	_ZN7rocprim17ROCPRIM_400000_NS6detail17trampoline_kernelINS0_14default_configENS1_22reduce_config_selectorIN6thrust23THRUST_200600_302600_NS5tupleIblNS6_9null_typeES8_S8_S8_S8_S8_S8_S8_EEEEZNS1_11reduce_implILb1ES3_NS6_12zip_iteratorINS7_INS6_11hip_rocprim26transform_input_iterator_tIbNSD_35transform_pair_of_input_iterators_tIbNS6_6detail15normal_iteratorINS6_10device_ptrIKsEEEESL_NS6_8equal_toIsEEEENSG_9not_fun_tINSD_8identityEEEEENSD_19counting_iterator_tIlEES8_S8_S8_S8_S8_S8_S8_S8_EEEEPS9_S9_NSD_9__find_if7functorIS9_EEEE10hipError_tPvRmT1_T2_T3_mT4_P12ihipStream_tbEUlT_E0_NS1_11comp_targetILNS1_3genE9ELNS1_11target_archE1100ELNS1_3gpuE3ELNS1_3repE0EEENS1_30default_config_static_selectorELNS0_4arch9wavefront6targetE1EEEvS14_, .Lfunc_end968-_ZN7rocprim17ROCPRIM_400000_NS6detail17trampoline_kernelINS0_14default_configENS1_22reduce_config_selectorIN6thrust23THRUST_200600_302600_NS5tupleIblNS6_9null_typeES8_S8_S8_S8_S8_S8_S8_EEEEZNS1_11reduce_implILb1ES3_NS6_12zip_iteratorINS7_INS6_11hip_rocprim26transform_input_iterator_tIbNSD_35transform_pair_of_input_iterators_tIbNS6_6detail15normal_iteratorINS6_10device_ptrIKsEEEESL_NS6_8equal_toIsEEEENSG_9not_fun_tINSD_8identityEEEEENSD_19counting_iterator_tIlEES8_S8_S8_S8_S8_S8_S8_S8_EEEEPS9_S9_NSD_9__find_if7functorIS9_EEEE10hipError_tPvRmT1_T2_T3_mT4_P12ihipStream_tbEUlT_E0_NS1_11comp_targetILNS1_3genE9ELNS1_11target_archE1100ELNS1_3gpuE3ELNS1_3repE0EEENS1_30default_config_static_selectorELNS0_4arch9wavefront6targetE1EEEvS14_
                                        ; -- End function
	.section	.AMDGPU.csdata,"",@progbits
; Kernel info:
; codeLenInByte = 0
; NumSgprs: 4
; NumVgprs: 0
; NumAgprs: 0
; TotalNumVgprs: 0
; ScratchSize: 0
; MemoryBound: 0
; FloatMode: 240
; IeeeMode: 1
; LDSByteSize: 0 bytes/workgroup (compile time only)
; SGPRBlocks: 0
; VGPRBlocks: 0
; NumSGPRsForWavesPerEU: 4
; NumVGPRsForWavesPerEU: 1
; AccumOffset: 4
; Occupancy: 8
; WaveLimiterHint : 0
; COMPUTE_PGM_RSRC2:SCRATCH_EN: 0
; COMPUTE_PGM_RSRC2:USER_SGPR: 6
; COMPUTE_PGM_RSRC2:TRAP_HANDLER: 0
; COMPUTE_PGM_RSRC2:TGID_X_EN: 1
; COMPUTE_PGM_RSRC2:TGID_Y_EN: 0
; COMPUTE_PGM_RSRC2:TGID_Z_EN: 0
; COMPUTE_PGM_RSRC2:TIDIG_COMP_CNT: 0
; COMPUTE_PGM_RSRC3_GFX90A:ACCUM_OFFSET: 0
; COMPUTE_PGM_RSRC3_GFX90A:TG_SPLIT: 0
	.section	.text._ZN7rocprim17ROCPRIM_400000_NS6detail17trampoline_kernelINS0_14default_configENS1_22reduce_config_selectorIN6thrust23THRUST_200600_302600_NS5tupleIblNS6_9null_typeES8_S8_S8_S8_S8_S8_S8_EEEEZNS1_11reduce_implILb1ES3_NS6_12zip_iteratorINS7_INS6_11hip_rocprim26transform_input_iterator_tIbNSD_35transform_pair_of_input_iterators_tIbNS6_6detail15normal_iteratorINS6_10device_ptrIKsEEEESL_NS6_8equal_toIsEEEENSG_9not_fun_tINSD_8identityEEEEENSD_19counting_iterator_tIlEES8_S8_S8_S8_S8_S8_S8_S8_EEEEPS9_S9_NSD_9__find_if7functorIS9_EEEE10hipError_tPvRmT1_T2_T3_mT4_P12ihipStream_tbEUlT_E0_NS1_11comp_targetILNS1_3genE8ELNS1_11target_archE1030ELNS1_3gpuE2ELNS1_3repE0EEENS1_30default_config_static_selectorELNS0_4arch9wavefront6targetE1EEEvS14_,"axG",@progbits,_ZN7rocprim17ROCPRIM_400000_NS6detail17trampoline_kernelINS0_14default_configENS1_22reduce_config_selectorIN6thrust23THRUST_200600_302600_NS5tupleIblNS6_9null_typeES8_S8_S8_S8_S8_S8_S8_EEEEZNS1_11reduce_implILb1ES3_NS6_12zip_iteratorINS7_INS6_11hip_rocprim26transform_input_iterator_tIbNSD_35transform_pair_of_input_iterators_tIbNS6_6detail15normal_iteratorINS6_10device_ptrIKsEEEESL_NS6_8equal_toIsEEEENSG_9not_fun_tINSD_8identityEEEEENSD_19counting_iterator_tIlEES8_S8_S8_S8_S8_S8_S8_S8_EEEEPS9_S9_NSD_9__find_if7functorIS9_EEEE10hipError_tPvRmT1_T2_T3_mT4_P12ihipStream_tbEUlT_E0_NS1_11comp_targetILNS1_3genE8ELNS1_11target_archE1030ELNS1_3gpuE2ELNS1_3repE0EEENS1_30default_config_static_selectorELNS0_4arch9wavefront6targetE1EEEvS14_,comdat
	.protected	_ZN7rocprim17ROCPRIM_400000_NS6detail17trampoline_kernelINS0_14default_configENS1_22reduce_config_selectorIN6thrust23THRUST_200600_302600_NS5tupleIblNS6_9null_typeES8_S8_S8_S8_S8_S8_S8_EEEEZNS1_11reduce_implILb1ES3_NS6_12zip_iteratorINS7_INS6_11hip_rocprim26transform_input_iterator_tIbNSD_35transform_pair_of_input_iterators_tIbNS6_6detail15normal_iteratorINS6_10device_ptrIKsEEEESL_NS6_8equal_toIsEEEENSG_9not_fun_tINSD_8identityEEEEENSD_19counting_iterator_tIlEES8_S8_S8_S8_S8_S8_S8_S8_EEEEPS9_S9_NSD_9__find_if7functorIS9_EEEE10hipError_tPvRmT1_T2_T3_mT4_P12ihipStream_tbEUlT_E0_NS1_11comp_targetILNS1_3genE8ELNS1_11target_archE1030ELNS1_3gpuE2ELNS1_3repE0EEENS1_30default_config_static_selectorELNS0_4arch9wavefront6targetE1EEEvS14_ ; -- Begin function _ZN7rocprim17ROCPRIM_400000_NS6detail17trampoline_kernelINS0_14default_configENS1_22reduce_config_selectorIN6thrust23THRUST_200600_302600_NS5tupleIblNS6_9null_typeES8_S8_S8_S8_S8_S8_S8_EEEEZNS1_11reduce_implILb1ES3_NS6_12zip_iteratorINS7_INS6_11hip_rocprim26transform_input_iterator_tIbNSD_35transform_pair_of_input_iterators_tIbNS6_6detail15normal_iteratorINS6_10device_ptrIKsEEEESL_NS6_8equal_toIsEEEENSG_9not_fun_tINSD_8identityEEEEENSD_19counting_iterator_tIlEES8_S8_S8_S8_S8_S8_S8_S8_EEEEPS9_S9_NSD_9__find_if7functorIS9_EEEE10hipError_tPvRmT1_T2_T3_mT4_P12ihipStream_tbEUlT_E0_NS1_11comp_targetILNS1_3genE8ELNS1_11target_archE1030ELNS1_3gpuE2ELNS1_3repE0EEENS1_30default_config_static_selectorELNS0_4arch9wavefront6targetE1EEEvS14_
	.globl	_ZN7rocprim17ROCPRIM_400000_NS6detail17trampoline_kernelINS0_14default_configENS1_22reduce_config_selectorIN6thrust23THRUST_200600_302600_NS5tupleIblNS6_9null_typeES8_S8_S8_S8_S8_S8_S8_EEEEZNS1_11reduce_implILb1ES3_NS6_12zip_iteratorINS7_INS6_11hip_rocprim26transform_input_iterator_tIbNSD_35transform_pair_of_input_iterators_tIbNS6_6detail15normal_iteratorINS6_10device_ptrIKsEEEESL_NS6_8equal_toIsEEEENSG_9not_fun_tINSD_8identityEEEEENSD_19counting_iterator_tIlEES8_S8_S8_S8_S8_S8_S8_S8_EEEEPS9_S9_NSD_9__find_if7functorIS9_EEEE10hipError_tPvRmT1_T2_T3_mT4_P12ihipStream_tbEUlT_E0_NS1_11comp_targetILNS1_3genE8ELNS1_11target_archE1030ELNS1_3gpuE2ELNS1_3repE0EEENS1_30default_config_static_selectorELNS0_4arch9wavefront6targetE1EEEvS14_
	.p2align	8
	.type	_ZN7rocprim17ROCPRIM_400000_NS6detail17trampoline_kernelINS0_14default_configENS1_22reduce_config_selectorIN6thrust23THRUST_200600_302600_NS5tupleIblNS6_9null_typeES8_S8_S8_S8_S8_S8_S8_EEEEZNS1_11reduce_implILb1ES3_NS6_12zip_iteratorINS7_INS6_11hip_rocprim26transform_input_iterator_tIbNSD_35transform_pair_of_input_iterators_tIbNS6_6detail15normal_iteratorINS6_10device_ptrIKsEEEESL_NS6_8equal_toIsEEEENSG_9not_fun_tINSD_8identityEEEEENSD_19counting_iterator_tIlEES8_S8_S8_S8_S8_S8_S8_S8_EEEEPS9_S9_NSD_9__find_if7functorIS9_EEEE10hipError_tPvRmT1_T2_T3_mT4_P12ihipStream_tbEUlT_E0_NS1_11comp_targetILNS1_3genE8ELNS1_11target_archE1030ELNS1_3gpuE2ELNS1_3repE0EEENS1_30default_config_static_selectorELNS0_4arch9wavefront6targetE1EEEvS14_,@function
_ZN7rocprim17ROCPRIM_400000_NS6detail17trampoline_kernelINS0_14default_configENS1_22reduce_config_selectorIN6thrust23THRUST_200600_302600_NS5tupleIblNS6_9null_typeES8_S8_S8_S8_S8_S8_S8_EEEEZNS1_11reduce_implILb1ES3_NS6_12zip_iteratorINS7_INS6_11hip_rocprim26transform_input_iterator_tIbNSD_35transform_pair_of_input_iterators_tIbNS6_6detail15normal_iteratorINS6_10device_ptrIKsEEEESL_NS6_8equal_toIsEEEENSG_9not_fun_tINSD_8identityEEEEENSD_19counting_iterator_tIlEES8_S8_S8_S8_S8_S8_S8_S8_EEEEPS9_S9_NSD_9__find_if7functorIS9_EEEE10hipError_tPvRmT1_T2_T3_mT4_P12ihipStream_tbEUlT_E0_NS1_11comp_targetILNS1_3genE8ELNS1_11target_archE1030ELNS1_3gpuE2ELNS1_3repE0EEENS1_30default_config_static_selectorELNS0_4arch9wavefront6targetE1EEEvS14_: ; @_ZN7rocprim17ROCPRIM_400000_NS6detail17trampoline_kernelINS0_14default_configENS1_22reduce_config_selectorIN6thrust23THRUST_200600_302600_NS5tupleIblNS6_9null_typeES8_S8_S8_S8_S8_S8_S8_EEEEZNS1_11reduce_implILb1ES3_NS6_12zip_iteratorINS7_INS6_11hip_rocprim26transform_input_iterator_tIbNSD_35transform_pair_of_input_iterators_tIbNS6_6detail15normal_iteratorINS6_10device_ptrIKsEEEESL_NS6_8equal_toIsEEEENSG_9not_fun_tINSD_8identityEEEEENSD_19counting_iterator_tIlEES8_S8_S8_S8_S8_S8_S8_S8_EEEEPS9_S9_NSD_9__find_if7functorIS9_EEEE10hipError_tPvRmT1_T2_T3_mT4_P12ihipStream_tbEUlT_E0_NS1_11comp_targetILNS1_3genE8ELNS1_11target_archE1030ELNS1_3gpuE2ELNS1_3repE0EEENS1_30default_config_static_selectorELNS0_4arch9wavefront6targetE1EEEvS14_
; %bb.0:
	.section	.rodata,"a",@progbits
	.p2align	6, 0x0
	.amdhsa_kernel _ZN7rocprim17ROCPRIM_400000_NS6detail17trampoline_kernelINS0_14default_configENS1_22reduce_config_selectorIN6thrust23THRUST_200600_302600_NS5tupleIblNS6_9null_typeES8_S8_S8_S8_S8_S8_S8_EEEEZNS1_11reduce_implILb1ES3_NS6_12zip_iteratorINS7_INS6_11hip_rocprim26transform_input_iterator_tIbNSD_35transform_pair_of_input_iterators_tIbNS6_6detail15normal_iteratorINS6_10device_ptrIKsEEEESL_NS6_8equal_toIsEEEENSG_9not_fun_tINSD_8identityEEEEENSD_19counting_iterator_tIlEES8_S8_S8_S8_S8_S8_S8_S8_EEEEPS9_S9_NSD_9__find_if7functorIS9_EEEE10hipError_tPvRmT1_T2_T3_mT4_P12ihipStream_tbEUlT_E0_NS1_11comp_targetILNS1_3genE8ELNS1_11target_archE1030ELNS1_3gpuE2ELNS1_3repE0EEENS1_30default_config_static_selectorELNS0_4arch9wavefront6targetE1EEEvS14_
		.amdhsa_group_segment_fixed_size 0
		.amdhsa_private_segment_fixed_size 0
		.amdhsa_kernarg_size 104
		.amdhsa_user_sgpr_count 6
		.amdhsa_user_sgpr_private_segment_buffer 1
		.amdhsa_user_sgpr_dispatch_ptr 0
		.amdhsa_user_sgpr_queue_ptr 0
		.amdhsa_user_sgpr_kernarg_segment_ptr 1
		.amdhsa_user_sgpr_dispatch_id 0
		.amdhsa_user_sgpr_flat_scratch_init 0
		.amdhsa_user_sgpr_kernarg_preload_length 0
		.amdhsa_user_sgpr_kernarg_preload_offset 0
		.amdhsa_user_sgpr_private_segment_size 0
		.amdhsa_uses_dynamic_stack 0
		.amdhsa_system_sgpr_private_segment_wavefront_offset 0
		.amdhsa_system_sgpr_workgroup_id_x 1
		.amdhsa_system_sgpr_workgroup_id_y 0
		.amdhsa_system_sgpr_workgroup_id_z 0
		.amdhsa_system_sgpr_workgroup_info 0
		.amdhsa_system_vgpr_workitem_id 0
		.amdhsa_next_free_vgpr 1
		.amdhsa_next_free_sgpr 0
		.amdhsa_accum_offset 4
		.amdhsa_reserve_vcc 0
		.amdhsa_reserve_flat_scratch 0
		.amdhsa_float_round_mode_32 0
		.amdhsa_float_round_mode_16_64 0
		.amdhsa_float_denorm_mode_32 3
		.amdhsa_float_denorm_mode_16_64 3
		.amdhsa_dx10_clamp 1
		.amdhsa_ieee_mode 1
		.amdhsa_fp16_overflow 0
		.amdhsa_tg_split 0
		.amdhsa_exception_fp_ieee_invalid_op 0
		.amdhsa_exception_fp_denorm_src 0
		.amdhsa_exception_fp_ieee_div_zero 0
		.amdhsa_exception_fp_ieee_overflow 0
		.amdhsa_exception_fp_ieee_underflow 0
		.amdhsa_exception_fp_ieee_inexact 0
		.amdhsa_exception_int_div_zero 0
	.end_amdhsa_kernel
	.section	.text._ZN7rocprim17ROCPRIM_400000_NS6detail17trampoline_kernelINS0_14default_configENS1_22reduce_config_selectorIN6thrust23THRUST_200600_302600_NS5tupleIblNS6_9null_typeES8_S8_S8_S8_S8_S8_S8_EEEEZNS1_11reduce_implILb1ES3_NS6_12zip_iteratorINS7_INS6_11hip_rocprim26transform_input_iterator_tIbNSD_35transform_pair_of_input_iterators_tIbNS6_6detail15normal_iteratorINS6_10device_ptrIKsEEEESL_NS6_8equal_toIsEEEENSG_9not_fun_tINSD_8identityEEEEENSD_19counting_iterator_tIlEES8_S8_S8_S8_S8_S8_S8_S8_EEEEPS9_S9_NSD_9__find_if7functorIS9_EEEE10hipError_tPvRmT1_T2_T3_mT4_P12ihipStream_tbEUlT_E0_NS1_11comp_targetILNS1_3genE8ELNS1_11target_archE1030ELNS1_3gpuE2ELNS1_3repE0EEENS1_30default_config_static_selectorELNS0_4arch9wavefront6targetE1EEEvS14_,"axG",@progbits,_ZN7rocprim17ROCPRIM_400000_NS6detail17trampoline_kernelINS0_14default_configENS1_22reduce_config_selectorIN6thrust23THRUST_200600_302600_NS5tupleIblNS6_9null_typeES8_S8_S8_S8_S8_S8_S8_EEEEZNS1_11reduce_implILb1ES3_NS6_12zip_iteratorINS7_INS6_11hip_rocprim26transform_input_iterator_tIbNSD_35transform_pair_of_input_iterators_tIbNS6_6detail15normal_iteratorINS6_10device_ptrIKsEEEESL_NS6_8equal_toIsEEEENSG_9not_fun_tINSD_8identityEEEEENSD_19counting_iterator_tIlEES8_S8_S8_S8_S8_S8_S8_S8_EEEEPS9_S9_NSD_9__find_if7functorIS9_EEEE10hipError_tPvRmT1_T2_T3_mT4_P12ihipStream_tbEUlT_E0_NS1_11comp_targetILNS1_3genE8ELNS1_11target_archE1030ELNS1_3gpuE2ELNS1_3repE0EEENS1_30default_config_static_selectorELNS0_4arch9wavefront6targetE1EEEvS14_,comdat
.Lfunc_end969:
	.size	_ZN7rocprim17ROCPRIM_400000_NS6detail17trampoline_kernelINS0_14default_configENS1_22reduce_config_selectorIN6thrust23THRUST_200600_302600_NS5tupleIblNS6_9null_typeES8_S8_S8_S8_S8_S8_S8_EEEEZNS1_11reduce_implILb1ES3_NS6_12zip_iteratorINS7_INS6_11hip_rocprim26transform_input_iterator_tIbNSD_35transform_pair_of_input_iterators_tIbNS6_6detail15normal_iteratorINS6_10device_ptrIKsEEEESL_NS6_8equal_toIsEEEENSG_9not_fun_tINSD_8identityEEEEENSD_19counting_iterator_tIlEES8_S8_S8_S8_S8_S8_S8_S8_EEEEPS9_S9_NSD_9__find_if7functorIS9_EEEE10hipError_tPvRmT1_T2_T3_mT4_P12ihipStream_tbEUlT_E0_NS1_11comp_targetILNS1_3genE8ELNS1_11target_archE1030ELNS1_3gpuE2ELNS1_3repE0EEENS1_30default_config_static_selectorELNS0_4arch9wavefront6targetE1EEEvS14_, .Lfunc_end969-_ZN7rocprim17ROCPRIM_400000_NS6detail17trampoline_kernelINS0_14default_configENS1_22reduce_config_selectorIN6thrust23THRUST_200600_302600_NS5tupleIblNS6_9null_typeES8_S8_S8_S8_S8_S8_S8_EEEEZNS1_11reduce_implILb1ES3_NS6_12zip_iteratorINS7_INS6_11hip_rocprim26transform_input_iterator_tIbNSD_35transform_pair_of_input_iterators_tIbNS6_6detail15normal_iteratorINS6_10device_ptrIKsEEEESL_NS6_8equal_toIsEEEENSG_9not_fun_tINSD_8identityEEEEENSD_19counting_iterator_tIlEES8_S8_S8_S8_S8_S8_S8_S8_EEEEPS9_S9_NSD_9__find_if7functorIS9_EEEE10hipError_tPvRmT1_T2_T3_mT4_P12ihipStream_tbEUlT_E0_NS1_11comp_targetILNS1_3genE8ELNS1_11target_archE1030ELNS1_3gpuE2ELNS1_3repE0EEENS1_30default_config_static_selectorELNS0_4arch9wavefront6targetE1EEEvS14_
                                        ; -- End function
	.section	.AMDGPU.csdata,"",@progbits
; Kernel info:
; codeLenInByte = 0
; NumSgprs: 4
; NumVgprs: 0
; NumAgprs: 0
; TotalNumVgprs: 0
; ScratchSize: 0
; MemoryBound: 0
; FloatMode: 240
; IeeeMode: 1
; LDSByteSize: 0 bytes/workgroup (compile time only)
; SGPRBlocks: 0
; VGPRBlocks: 0
; NumSGPRsForWavesPerEU: 4
; NumVGPRsForWavesPerEU: 1
; AccumOffset: 4
; Occupancy: 8
; WaveLimiterHint : 0
; COMPUTE_PGM_RSRC2:SCRATCH_EN: 0
; COMPUTE_PGM_RSRC2:USER_SGPR: 6
; COMPUTE_PGM_RSRC2:TRAP_HANDLER: 0
; COMPUTE_PGM_RSRC2:TGID_X_EN: 1
; COMPUTE_PGM_RSRC2:TGID_Y_EN: 0
; COMPUTE_PGM_RSRC2:TGID_Z_EN: 0
; COMPUTE_PGM_RSRC2:TIDIG_COMP_CNT: 0
; COMPUTE_PGM_RSRC3_GFX90A:ACCUM_OFFSET: 0
; COMPUTE_PGM_RSRC3_GFX90A:TG_SPLIT: 0
	.section	.text._ZN7rocprim17ROCPRIM_400000_NS6detail17trampoline_kernelINS0_14default_configENS1_22reduce_config_selectorIN6thrust23THRUST_200600_302600_NS5tupleIblNS6_9null_typeES8_S8_S8_S8_S8_S8_S8_EEEEZNS1_11reduce_implILb1ES3_NS6_12zip_iteratorINS7_INS6_11hip_rocprim26transform_input_iterator_tIbNSD_35transform_pair_of_input_iterators_tIbNS6_6detail15normal_iteratorINS6_10device_ptrIKsEEEESL_NS6_8equal_toIsEEEENSG_9not_fun_tINSD_8identityEEEEENSD_19counting_iterator_tIlEES8_S8_S8_S8_S8_S8_S8_S8_EEEEPS9_S9_NSD_9__find_if7functorIS9_EEEE10hipError_tPvRmT1_T2_T3_mT4_P12ihipStream_tbEUlT_E1_NS1_11comp_targetILNS1_3genE0ELNS1_11target_archE4294967295ELNS1_3gpuE0ELNS1_3repE0EEENS1_30default_config_static_selectorELNS0_4arch9wavefront6targetE1EEEvS14_,"axG",@progbits,_ZN7rocprim17ROCPRIM_400000_NS6detail17trampoline_kernelINS0_14default_configENS1_22reduce_config_selectorIN6thrust23THRUST_200600_302600_NS5tupleIblNS6_9null_typeES8_S8_S8_S8_S8_S8_S8_EEEEZNS1_11reduce_implILb1ES3_NS6_12zip_iteratorINS7_INS6_11hip_rocprim26transform_input_iterator_tIbNSD_35transform_pair_of_input_iterators_tIbNS6_6detail15normal_iteratorINS6_10device_ptrIKsEEEESL_NS6_8equal_toIsEEEENSG_9not_fun_tINSD_8identityEEEEENSD_19counting_iterator_tIlEES8_S8_S8_S8_S8_S8_S8_S8_EEEEPS9_S9_NSD_9__find_if7functorIS9_EEEE10hipError_tPvRmT1_T2_T3_mT4_P12ihipStream_tbEUlT_E1_NS1_11comp_targetILNS1_3genE0ELNS1_11target_archE4294967295ELNS1_3gpuE0ELNS1_3repE0EEENS1_30default_config_static_selectorELNS0_4arch9wavefront6targetE1EEEvS14_,comdat
	.protected	_ZN7rocprim17ROCPRIM_400000_NS6detail17trampoline_kernelINS0_14default_configENS1_22reduce_config_selectorIN6thrust23THRUST_200600_302600_NS5tupleIblNS6_9null_typeES8_S8_S8_S8_S8_S8_S8_EEEEZNS1_11reduce_implILb1ES3_NS6_12zip_iteratorINS7_INS6_11hip_rocprim26transform_input_iterator_tIbNSD_35transform_pair_of_input_iterators_tIbNS6_6detail15normal_iteratorINS6_10device_ptrIKsEEEESL_NS6_8equal_toIsEEEENSG_9not_fun_tINSD_8identityEEEEENSD_19counting_iterator_tIlEES8_S8_S8_S8_S8_S8_S8_S8_EEEEPS9_S9_NSD_9__find_if7functorIS9_EEEE10hipError_tPvRmT1_T2_T3_mT4_P12ihipStream_tbEUlT_E1_NS1_11comp_targetILNS1_3genE0ELNS1_11target_archE4294967295ELNS1_3gpuE0ELNS1_3repE0EEENS1_30default_config_static_selectorELNS0_4arch9wavefront6targetE1EEEvS14_ ; -- Begin function _ZN7rocprim17ROCPRIM_400000_NS6detail17trampoline_kernelINS0_14default_configENS1_22reduce_config_selectorIN6thrust23THRUST_200600_302600_NS5tupleIblNS6_9null_typeES8_S8_S8_S8_S8_S8_S8_EEEEZNS1_11reduce_implILb1ES3_NS6_12zip_iteratorINS7_INS6_11hip_rocprim26transform_input_iterator_tIbNSD_35transform_pair_of_input_iterators_tIbNS6_6detail15normal_iteratorINS6_10device_ptrIKsEEEESL_NS6_8equal_toIsEEEENSG_9not_fun_tINSD_8identityEEEEENSD_19counting_iterator_tIlEES8_S8_S8_S8_S8_S8_S8_S8_EEEEPS9_S9_NSD_9__find_if7functorIS9_EEEE10hipError_tPvRmT1_T2_T3_mT4_P12ihipStream_tbEUlT_E1_NS1_11comp_targetILNS1_3genE0ELNS1_11target_archE4294967295ELNS1_3gpuE0ELNS1_3repE0EEENS1_30default_config_static_selectorELNS0_4arch9wavefront6targetE1EEEvS14_
	.globl	_ZN7rocprim17ROCPRIM_400000_NS6detail17trampoline_kernelINS0_14default_configENS1_22reduce_config_selectorIN6thrust23THRUST_200600_302600_NS5tupleIblNS6_9null_typeES8_S8_S8_S8_S8_S8_S8_EEEEZNS1_11reduce_implILb1ES3_NS6_12zip_iteratorINS7_INS6_11hip_rocprim26transform_input_iterator_tIbNSD_35transform_pair_of_input_iterators_tIbNS6_6detail15normal_iteratorINS6_10device_ptrIKsEEEESL_NS6_8equal_toIsEEEENSG_9not_fun_tINSD_8identityEEEEENSD_19counting_iterator_tIlEES8_S8_S8_S8_S8_S8_S8_S8_EEEEPS9_S9_NSD_9__find_if7functorIS9_EEEE10hipError_tPvRmT1_T2_T3_mT4_P12ihipStream_tbEUlT_E1_NS1_11comp_targetILNS1_3genE0ELNS1_11target_archE4294967295ELNS1_3gpuE0ELNS1_3repE0EEENS1_30default_config_static_selectorELNS0_4arch9wavefront6targetE1EEEvS14_
	.p2align	8
	.type	_ZN7rocprim17ROCPRIM_400000_NS6detail17trampoline_kernelINS0_14default_configENS1_22reduce_config_selectorIN6thrust23THRUST_200600_302600_NS5tupleIblNS6_9null_typeES8_S8_S8_S8_S8_S8_S8_EEEEZNS1_11reduce_implILb1ES3_NS6_12zip_iteratorINS7_INS6_11hip_rocprim26transform_input_iterator_tIbNSD_35transform_pair_of_input_iterators_tIbNS6_6detail15normal_iteratorINS6_10device_ptrIKsEEEESL_NS6_8equal_toIsEEEENSG_9not_fun_tINSD_8identityEEEEENSD_19counting_iterator_tIlEES8_S8_S8_S8_S8_S8_S8_S8_EEEEPS9_S9_NSD_9__find_if7functorIS9_EEEE10hipError_tPvRmT1_T2_T3_mT4_P12ihipStream_tbEUlT_E1_NS1_11comp_targetILNS1_3genE0ELNS1_11target_archE4294967295ELNS1_3gpuE0ELNS1_3repE0EEENS1_30default_config_static_selectorELNS0_4arch9wavefront6targetE1EEEvS14_,@function
_ZN7rocprim17ROCPRIM_400000_NS6detail17trampoline_kernelINS0_14default_configENS1_22reduce_config_selectorIN6thrust23THRUST_200600_302600_NS5tupleIblNS6_9null_typeES8_S8_S8_S8_S8_S8_S8_EEEEZNS1_11reduce_implILb1ES3_NS6_12zip_iteratorINS7_INS6_11hip_rocprim26transform_input_iterator_tIbNSD_35transform_pair_of_input_iterators_tIbNS6_6detail15normal_iteratorINS6_10device_ptrIKsEEEESL_NS6_8equal_toIsEEEENSG_9not_fun_tINSD_8identityEEEEENSD_19counting_iterator_tIlEES8_S8_S8_S8_S8_S8_S8_S8_EEEEPS9_S9_NSD_9__find_if7functorIS9_EEEE10hipError_tPvRmT1_T2_T3_mT4_P12ihipStream_tbEUlT_E1_NS1_11comp_targetILNS1_3genE0ELNS1_11target_archE4294967295ELNS1_3gpuE0ELNS1_3repE0EEENS1_30default_config_static_selectorELNS0_4arch9wavefront6targetE1EEEvS14_: ; @_ZN7rocprim17ROCPRIM_400000_NS6detail17trampoline_kernelINS0_14default_configENS1_22reduce_config_selectorIN6thrust23THRUST_200600_302600_NS5tupleIblNS6_9null_typeES8_S8_S8_S8_S8_S8_S8_EEEEZNS1_11reduce_implILb1ES3_NS6_12zip_iteratorINS7_INS6_11hip_rocprim26transform_input_iterator_tIbNSD_35transform_pair_of_input_iterators_tIbNS6_6detail15normal_iteratorINS6_10device_ptrIKsEEEESL_NS6_8equal_toIsEEEENSG_9not_fun_tINSD_8identityEEEEENSD_19counting_iterator_tIlEES8_S8_S8_S8_S8_S8_S8_S8_EEEEPS9_S9_NSD_9__find_if7functorIS9_EEEE10hipError_tPvRmT1_T2_T3_mT4_P12ihipStream_tbEUlT_E1_NS1_11comp_targetILNS1_3genE0ELNS1_11target_archE4294967295ELNS1_3gpuE0ELNS1_3repE0EEENS1_30default_config_static_selectorELNS0_4arch9wavefront6targetE1EEEvS14_
; %bb.0:
	.section	.rodata,"a",@progbits
	.p2align	6, 0x0
	.amdhsa_kernel _ZN7rocprim17ROCPRIM_400000_NS6detail17trampoline_kernelINS0_14default_configENS1_22reduce_config_selectorIN6thrust23THRUST_200600_302600_NS5tupleIblNS6_9null_typeES8_S8_S8_S8_S8_S8_S8_EEEEZNS1_11reduce_implILb1ES3_NS6_12zip_iteratorINS7_INS6_11hip_rocprim26transform_input_iterator_tIbNSD_35transform_pair_of_input_iterators_tIbNS6_6detail15normal_iteratorINS6_10device_ptrIKsEEEESL_NS6_8equal_toIsEEEENSG_9not_fun_tINSD_8identityEEEEENSD_19counting_iterator_tIlEES8_S8_S8_S8_S8_S8_S8_S8_EEEEPS9_S9_NSD_9__find_if7functorIS9_EEEE10hipError_tPvRmT1_T2_T3_mT4_P12ihipStream_tbEUlT_E1_NS1_11comp_targetILNS1_3genE0ELNS1_11target_archE4294967295ELNS1_3gpuE0ELNS1_3repE0EEENS1_30default_config_static_selectorELNS0_4arch9wavefront6targetE1EEEvS14_
		.amdhsa_group_segment_fixed_size 0
		.amdhsa_private_segment_fixed_size 0
		.amdhsa_kernarg_size 88
		.amdhsa_user_sgpr_count 6
		.amdhsa_user_sgpr_private_segment_buffer 1
		.amdhsa_user_sgpr_dispatch_ptr 0
		.amdhsa_user_sgpr_queue_ptr 0
		.amdhsa_user_sgpr_kernarg_segment_ptr 1
		.amdhsa_user_sgpr_dispatch_id 0
		.amdhsa_user_sgpr_flat_scratch_init 0
		.amdhsa_user_sgpr_kernarg_preload_length 0
		.amdhsa_user_sgpr_kernarg_preload_offset 0
		.amdhsa_user_sgpr_private_segment_size 0
		.amdhsa_uses_dynamic_stack 0
		.amdhsa_system_sgpr_private_segment_wavefront_offset 0
		.amdhsa_system_sgpr_workgroup_id_x 1
		.amdhsa_system_sgpr_workgroup_id_y 0
		.amdhsa_system_sgpr_workgroup_id_z 0
		.amdhsa_system_sgpr_workgroup_info 0
		.amdhsa_system_vgpr_workitem_id 0
		.amdhsa_next_free_vgpr 1
		.amdhsa_next_free_sgpr 0
		.amdhsa_accum_offset 4
		.amdhsa_reserve_vcc 0
		.amdhsa_reserve_flat_scratch 0
		.amdhsa_float_round_mode_32 0
		.amdhsa_float_round_mode_16_64 0
		.amdhsa_float_denorm_mode_32 3
		.amdhsa_float_denorm_mode_16_64 3
		.amdhsa_dx10_clamp 1
		.amdhsa_ieee_mode 1
		.amdhsa_fp16_overflow 0
		.amdhsa_tg_split 0
		.amdhsa_exception_fp_ieee_invalid_op 0
		.amdhsa_exception_fp_denorm_src 0
		.amdhsa_exception_fp_ieee_div_zero 0
		.amdhsa_exception_fp_ieee_overflow 0
		.amdhsa_exception_fp_ieee_underflow 0
		.amdhsa_exception_fp_ieee_inexact 0
		.amdhsa_exception_int_div_zero 0
	.end_amdhsa_kernel
	.section	.text._ZN7rocprim17ROCPRIM_400000_NS6detail17trampoline_kernelINS0_14default_configENS1_22reduce_config_selectorIN6thrust23THRUST_200600_302600_NS5tupleIblNS6_9null_typeES8_S8_S8_S8_S8_S8_S8_EEEEZNS1_11reduce_implILb1ES3_NS6_12zip_iteratorINS7_INS6_11hip_rocprim26transform_input_iterator_tIbNSD_35transform_pair_of_input_iterators_tIbNS6_6detail15normal_iteratorINS6_10device_ptrIKsEEEESL_NS6_8equal_toIsEEEENSG_9not_fun_tINSD_8identityEEEEENSD_19counting_iterator_tIlEES8_S8_S8_S8_S8_S8_S8_S8_EEEEPS9_S9_NSD_9__find_if7functorIS9_EEEE10hipError_tPvRmT1_T2_T3_mT4_P12ihipStream_tbEUlT_E1_NS1_11comp_targetILNS1_3genE0ELNS1_11target_archE4294967295ELNS1_3gpuE0ELNS1_3repE0EEENS1_30default_config_static_selectorELNS0_4arch9wavefront6targetE1EEEvS14_,"axG",@progbits,_ZN7rocprim17ROCPRIM_400000_NS6detail17trampoline_kernelINS0_14default_configENS1_22reduce_config_selectorIN6thrust23THRUST_200600_302600_NS5tupleIblNS6_9null_typeES8_S8_S8_S8_S8_S8_S8_EEEEZNS1_11reduce_implILb1ES3_NS6_12zip_iteratorINS7_INS6_11hip_rocprim26transform_input_iterator_tIbNSD_35transform_pair_of_input_iterators_tIbNS6_6detail15normal_iteratorINS6_10device_ptrIKsEEEESL_NS6_8equal_toIsEEEENSG_9not_fun_tINSD_8identityEEEEENSD_19counting_iterator_tIlEES8_S8_S8_S8_S8_S8_S8_S8_EEEEPS9_S9_NSD_9__find_if7functorIS9_EEEE10hipError_tPvRmT1_T2_T3_mT4_P12ihipStream_tbEUlT_E1_NS1_11comp_targetILNS1_3genE0ELNS1_11target_archE4294967295ELNS1_3gpuE0ELNS1_3repE0EEENS1_30default_config_static_selectorELNS0_4arch9wavefront6targetE1EEEvS14_,comdat
.Lfunc_end970:
	.size	_ZN7rocprim17ROCPRIM_400000_NS6detail17trampoline_kernelINS0_14default_configENS1_22reduce_config_selectorIN6thrust23THRUST_200600_302600_NS5tupleIblNS6_9null_typeES8_S8_S8_S8_S8_S8_S8_EEEEZNS1_11reduce_implILb1ES3_NS6_12zip_iteratorINS7_INS6_11hip_rocprim26transform_input_iterator_tIbNSD_35transform_pair_of_input_iterators_tIbNS6_6detail15normal_iteratorINS6_10device_ptrIKsEEEESL_NS6_8equal_toIsEEEENSG_9not_fun_tINSD_8identityEEEEENSD_19counting_iterator_tIlEES8_S8_S8_S8_S8_S8_S8_S8_EEEEPS9_S9_NSD_9__find_if7functorIS9_EEEE10hipError_tPvRmT1_T2_T3_mT4_P12ihipStream_tbEUlT_E1_NS1_11comp_targetILNS1_3genE0ELNS1_11target_archE4294967295ELNS1_3gpuE0ELNS1_3repE0EEENS1_30default_config_static_selectorELNS0_4arch9wavefront6targetE1EEEvS14_, .Lfunc_end970-_ZN7rocprim17ROCPRIM_400000_NS6detail17trampoline_kernelINS0_14default_configENS1_22reduce_config_selectorIN6thrust23THRUST_200600_302600_NS5tupleIblNS6_9null_typeES8_S8_S8_S8_S8_S8_S8_EEEEZNS1_11reduce_implILb1ES3_NS6_12zip_iteratorINS7_INS6_11hip_rocprim26transform_input_iterator_tIbNSD_35transform_pair_of_input_iterators_tIbNS6_6detail15normal_iteratorINS6_10device_ptrIKsEEEESL_NS6_8equal_toIsEEEENSG_9not_fun_tINSD_8identityEEEEENSD_19counting_iterator_tIlEES8_S8_S8_S8_S8_S8_S8_S8_EEEEPS9_S9_NSD_9__find_if7functorIS9_EEEE10hipError_tPvRmT1_T2_T3_mT4_P12ihipStream_tbEUlT_E1_NS1_11comp_targetILNS1_3genE0ELNS1_11target_archE4294967295ELNS1_3gpuE0ELNS1_3repE0EEENS1_30default_config_static_selectorELNS0_4arch9wavefront6targetE1EEEvS14_
                                        ; -- End function
	.section	.AMDGPU.csdata,"",@progbits
; Kernel info:
; codeLenInByte = 0
; NumSgprs: 4
; NumVgprs: 0
; NumAgprs: 0
; TotalNumVgprs: 0
; ScratchSize: 0
; MemoryBound: 0
; FloatMode: 240
; IeeeMode: 1
; LDSByteSize: 0 bytes/workgroup (compile time only)
; SGPRBlocks: 0
; VGPRBlocks: 0
; NumSGPRsForWavesPerEU: 4
; NumVGPRsForWavesPerEU: 1
; AccumOffset: 4
; Occupancy: 8
; WaveLimiterHint : 0
; COMPUTE_PGM_RSRC2:SCRATCH_EN: 0
; COMPUTE_PGM_RSRC2:USER_SGPR: 6
; COMPUTE_PGM_RSRC2:TRAP_HANDLER: 0
; COMPUTE_PGM_RSRC2:TGID_X_EN: 1
; COMPUTE_PGM_RSRC2:TGID_Y_EN: 0
; COMPUTE_PGM_RSRC2:TGID_Z_EN: 0
; COMPUTE_PGM_RSRC2:TIDIG_COMP_CNT: 0
; COMPUTE_PGM_RSRC3_GFX90A:ACCUM_OFFSET: 0
; COMPUTE_PGM_RSRC3_GFX90A:TG_SPLIT: 0
	.section	.text._ZN7rocprim17ROCPRIM_400000_NS6detail17trampoline_kernelINS0_14default_configENS1_22reduce_config_selectorIN6thrust23THRUST_200600_302600_NS5tupleIblNS6_9null_typeES8_S8_S8_S8_S8_S8_S8_EEEEZNS1_11reduce_implILb1ES3_NS6_12zip_iteratorINS7_INS6_11hip_rocprim26transform_input_iterator_tIbNSD_35transform_pair_of_input_iterators_tIbNS6_6detail15normal_iteratorINS6_10device_ptrIKsEEEESL_NS6_8equal_toIsEEEENSG_9not_fun_tINSD_8identityEEEEENSD_19counting_iterator_tIlEES8_S8_S8_S8_S8_S8_S8_S8_EEEEPS9_S9_NSD_9__find_if7functorIS9_EEEE10hipError_tPvRmT1_T2_T3_mT4_P12ihipStream_tbEUlT_E1_NS1_11comp_targetILNS1_3genE5ELNS1_11target_archE942ELNS1_3gpuE9ELNS1_3repE0EEENS1_30default_config_static_selectorELNS0_4arch9wavefront6targetE1EEEvS14_,"axG",@progbits,_ZN7rocprim17ROCPRIM_400000_NS6detail17trampoline_kernelINS0_14default_configENS1_22reduce_config_selectorIN6thrust23THRUST_200600_302600_NS5tupleIblNS6_9null_typeES8_S8_S8_S8_S8_S8_S8_EEEEZNS1_11reduce_implILb1ES3_NS6_12zip_iteratorINS7_INS6_11hip_rocprim26transform_input_iterator_tIbNSD_35transform_pair_of_input_iterators_tIbNS6_6detail15normal_iteratorINS6_10device_ptrIKsEEEESL_NS6_8equal_toIsEEEENSG_9not_fun_tINSD_8identityEEEEENSD_19counting_iterator_tIlEES8_S8_S8_S8_S8_S8_S8_S8_EEEEPS9_S9_NSD_9__find_if7functorIS9_EEEE10hipError_tPvRmT1_T2_T3_mT4_P12ihipStream_tbEUlT_E1_NS1_11comp_targetILNS1_3genE5ELNS1_11target_archE942ELNS1_3gpuE9ELNS1_3repE0EEENS1_30default_config_static_selectorELNS0_4arch9wavefront6targetE1EEEvS14_,comdat
	.protected	_ZN7rocprim17ROCPRIM_400000_NS6detail17trampoline_kernelINS0_14default_configENS1_22reduce_config_selectorIN6thrust23THRUST_200600_302600_NS5tupleIblNS6_9null_typeES8_S8_S8_S8_S8_S8_S8_EEEEZNS1_11reduce_implILb1ES3_NS6_12zip_iteratorINS7_INS6_11hip_rocprim26transform_input_iterator_tIbNSD_35transform_pair_of_input_iterators_tIbNS6_6detail15normal_iteratorINS6_10device_ptrIKsEEEESL_NS6_8equal_toIsEEEENSG_9not_fun_tINSD_8identityEEEEENSD_19counting_iterator_tIlEES8_S8_S8_S8_S8_S8_S8_S8_EEEEPS9_S9_NSD_9__find_if7functorIS9_EEEE10hipError_tPvRmT1_T2_T3_mT4_P12ihipStream_tbEUlT_E1_NS1_11comp_targetILNS1_3genE5ELNS1_11target_archE942ELNS1_3gpuE9ELNS1_3repE0EEENS1_30default_config_static_selectorELNS0_4arch9wavefront6targetE1EEEvS14_ ; -- Begin function _ZN7rocprim17ROCPRIM_400000_NS6detail17trampoline_kernelINS0_14default_configENS1_22reduce_config_selectorIN6thrust23THRUST_200600_302600_NS5tupleIblNS6_9null_typeES8_S8_S8_S8_S8_S8_S8_EEEEZNS1_11reduce_implILb1ES3_NS6_12zip_iteratorINS7_INS6_11hip_rocprim26transform_input_iterator_tIbNSD_35transform_pair_of_input_iterators_tIbNS6_6detail15normal_iteratorINS6_10device_ptrIKsEEEESL_NS6_8equal_toIsEEEENSG_9not_fun_tINSD_8identityEEEEENSD_19counting_iterator_tIlEES8_S8_S8_S8_S8_S8_S8_S8_EEEEPS9_S9_NSD_9__find_if7functorIS9_EEEE10hipError_tPvRmT1_T2_T3_mT4_P12ihipStream_tbEUlT_E1_NS1_11comp_targetILNS1_3genE5ELNS1_11target_archE942ELNS1_3gpuE9ELNS1_3repE0EEENS1_30default_config_static_selectorELNS0_4arch9wavefront6targetE1EEEvS14_
	.globl	_ZN7rocprim17ROCPRIM_400000_NS6detail17trampoline_kernelINS0_14default_configENS1_22reduce_config_selectorIN6thrust23THRUST_200600_302600_NS5tupleIblNS6_9null_typeES8_S8_S8_S8_S8_S8_S8_EEEEZNS1_11reduce_implILb1ES3_NS6_12zip_iteratorINS7_INS6_11hip_rocprim26transform_input_iterator_tIbNSD_35transform_pair_of_input_iterators_tIbNS6_6detail15normal_iteratorINS6_10device_ptrIKsEEEESL_NS6_8equal_toIsEEEENSG_9not_fun_tINSD_8identityEEEEENSD_19counting_iterator_tIlEES8_S8_S8_S8_S8_S8_S8_S8_EEEEPS9_S9_NSD_9__find_if7functorIS9_EEEE10hipError_tPvRmT1_T2_T3_mT4_P12ihipStream_tbEUlT_E1_NS1_11comp_targetILNS1_3genE5ELNS1_11target_archE942ELNS1_3gpuE9ELNS1_3repE0EEENS1_30default_config_static_selectorELNS0_4arch9wavefront6targetE1EEEvS14_
	.p2align	8
	.type	_ZN7rocprim17ROCPRIM_400000_NS6detail17trampoline_kernelINS0_14default_configENS1_22reduce_config_selectorIN6thrust23THRUST_200600_302600_NS5tupleIblNS6_9null_typeES8_S8_S8_S8_S8_S8_S8_EEEEZNS1_11reduce_implILb1ES3_NS6_12zip_iteratorINS7_INS6_11hip_rocprim26transform_input_iterator_tIbNSD_35transform_pair_of_input_iterators_tIbNS6_6detail15normal_iteratorINS6_10device_ptrIKsEEEESL_NS6_8equal_toIsEEEENSG_9not_fun_tINSD_8identityEEEEENSD_19counting_iterator_tIlEES8_S8_S8_S8_S8_S8_S8_S8_EEEEPS9_S9_NSD_9__find_if7functorIS9_EEEE10hipError_tPvRmT1_T2_T3_mT4_P12ihipStream_tbEUlT_E1_NS1_11comp_targetILNS1_3genE5ELNS1_11target_archE942ELNS1_3gpuE9ELNS1_3repE0EEENS1_30default_config_static_selectorELNS0_4arch9wavefront6targetE1EEEvS14_,@function
_ZN7rocprim17ROCPRIM_400000_NS6detail17trampoline_kernelINS0_14default_configENS1_22reduce_config_selectorIN6thrust23THRUST_200600_302600_NS5tupleIblNS6_9null_typeES8_S8_S8_S8_S8_S8_S8_EEEEZNS1_11reduce_implILb1ES3_NS6_12zip_iteratorINS7_INS6_11hip_rocprim26transform_input_iterator_tIbNSD_35transform_pair_of_input_iterators_tIbNS6_6detail15normal_iteratorINS6_10device_ptrIKsEEEESL_NS6_8equal_toIsEEEENSG_9not_fun_tINSD_8identityEEEEENSD_19counting_iterator_tIlEES8_S8_S8_S8_S8_S8_S8_S8_EEEEPS9_S9_NSD_9__find_if7functorIS9_EEEE10hipError_tPvRmT1_T2_T3_mT4_P12ihipStream_tbEUlT_E1_NS1_11comp_targetILNS1_3genE5ELNS1_11target_archE942ELNS1_3gpuE9ELNS1_3repE0EEENS1_30default_config_static_selectorELNS0_4arch9wavefront6targetE1EEEvS14_: ; @_ZN7rocprim17ROCPRIM_400000_NS6detail17trampoline_kernelINS0_14default_configENS1_22reduce_config_selectorIN6thrust23THRUST_200600_302600_NS5tupleIblNS6_9null_typeES8_S8_S8_S8_S8_S8_S8_EEEEZNS1_11reduce_implILb1ES3_NS6_12zip_iteratorINS7_INS6_11hip_rocprim26transform_input_iterator_tIbNSD_35transform_pair_of_input_iterators_tIbNS6_6detail15normal_iteratorINS6_10device_ptrIKsEEEESL_NS6_8equal_toIsEEEENSG_9not_fun_tINSD_8identityEEEEENSD_19counting_iterator_tIlEES8_S8_S8_S8_S8_S8_S8_S8_EEEEPS9_S9_NSD_9__find_if7functorIS9_EEEE10hipError_tPvRmT1_T2_T3_mT4_P12ihipStream_tbEUlT_E1_NS1_11comp_targetILNS1_3genE5ELNS1_11target_archE942ELNS1_3gpuE9ELNS1_3repE0EEENS1_30default_config_static_selectorELNS0_4arch9wavefront6targetE1EEEvS14_
; %bb.0:
	.section	.rodata,"a",@progbits
	.p2align	6, 0x0
	.amdhsa_kernel _ZN7rocprim17ROCPRIM_400000_NS6detail17trampoline_kernelINS0_14default_configENS1_22reduce_config_selectorIN6thrust23THRUST_200600_302600_NS5tupleIblNS6_9null_typeES8_S8_S8_S8_S8_S8_S8_EEEEZNS1_11reduce_implILb1ES3_NS6_12zip_iteratorINS7_INS6_11hip_rocprim26transform_input_iterator_tIbNSD_35transform_pair_of_input_iterators_tIbNS6_6detail15normal_iteratorINS6_10device_ptrIKsEEEESL_NS6_8equal_toIsEEEENSG_9not_fun_tINSD_8identityEEEEENSD_19counting_iterator_tIlEES8_S8_S8_S8_S8_S8_S8_S8_EEEEPS9_S9_NSD_9__find_if7functorIS9_EEEE10hipError_tPvRmT1_T2_T3_mT4_P12ihipStream_tbEUlT_E1_NS1_11comp_targetILNS1_3genE5ELNS1_11target_archE942ELNS1_3gpuE9ELNS1_3repE0EEENS1_30default_config_static_selectorELNS0_4arch9wavefront6targetE1EEEvS14_
		.amdhsa_group_segment_fixed_size 0
		.amdhsa_private_segment_fixed_size 0
		.amdhsa_kernarg_size 88
		.amdhsa_user_sgpr_count 6
		.amdhsa_user_sgpr_private_segment_buffer 1
		.amdhsa_user_sgpr_dispatch_ptr 0
		.amdhsa_user_sgpr_queue_ptr 0
		.amdhsa_user_sgpr_kernarg_segment_ptr 1
		.amdhsa_user_sgpr_dispatch_id 0
		.amdhsa_user_sgpr_flat_scratch_init 0
		.amdhsa_user_sgpr_kernarg_preload_length 0
		.amdhsa_user_sgpr_kernarg_preload_offset 0
		.amdhsa_user_sgpr_private_segment_size 0
		.amdhsa_uses_dynamic_stack 0
		.amdhsa_system_sgpr_private_segment_wavefront_offset 0
		.amdhsa_system_sgpr_workgroup_id_x 1
		.amdhsa_system_sgpr_workgroup_id_y 0
		.amdhsa_system_sgpr_workgroup_id_z 0
		.amdhsa_system_sgpr_workgroup_info 0
		.amdhsa_system_vgpr_workitem_id 0
		.amdhsa_next_free_vgpr 1
		.amdhsa_next_free_sgpr 0
		.amdhsa_accum_offset 4
		.amdhsa_reserve_vcc 0
		.amdhsa_reserve_flat_scratch 0
		.amdhsa_float_round_mode_32 0
		.amdhsa_float_round_mode_16_64 0
		.amdhsa_float_denorm_mode_32 3
		.amdhsa_float_denorm_mode_16_64 3
		.amdhsa_dx10_clamp 1
		.amdhsa_ieee_mode 1
		.amdhsa_fp16_overflow 0
		.amdhsa_tg_split 0
		.amdhsa_exception_fp_ieee_invalid_op 0
		.amdhsa_exception_fp_denorm_src 0
		.amdhsa_exception_fp_ieee_div_zero 0
		.amdhsa_exception_fp_ieee_overflow 0
		.amdhsa_exception_fp_ieee_underflow 0
		.amdhsa_exception_fp_ieee_inexact 0
		.amdhsa_exception_int_div_zero 0
	.end_amdhsa_kernel
	.section	.text._ZN7rocprim17ROCPRIM_400000_NS6detail17trampoline_kernelINS0_14default_configENS1_22reduce_config_selectorIN6thrust23THRUST_200600_302600_NS5tupleIblNS6_9null_typeES8_S8_S8_S8_S8_S8_S8_EEEEZNS1_11reduce_implILb1ES3_NS6_12zip_iteratorINS7_INS6_11hip_rocprim26transform_input_iterator_tIbNSD_35transform_pair_of_input_iterators_tIbNS6_6detail15normal_iteratorINS6_10device_ptrIKsEEEESL_NS6_8equal_toIsEEEENSG_9not_fun_tINSD_8identityEEEEENSD_19counting_iterator_tIlEES8_S8_S8_S8_S8_S8_S8_S8_EEEEPS9_S9_NSD_9__find_if7functorIS9_EEEE10hipError_tPvRmT1_T2_T3_mT4_P12ihipStream_tbEUlT_E1_NS1_11comp_targetILNS1_3genE5ELNS1_11target_archE942ELNS1_3gpuE9ELNS1_3repE0EEENS1_30default_config_static_selectorELNS0_4arch9wavefront6targetE1EEEvS14_,"axG",@progbits,_ZN7rocprim17ROCPRIM_400000_NS6detail17trampoline_kernelINS0_14default_configENS1_22reduce_config_selectorIN6thrust23THRUST_200600_302600_NS5tupleIblNS6_9null_typeES8_S8_S8_S8_S8_S8_S8_EEEEZNS1_11reduce_implILb1ES3_NS6_12zip_iteratorINS7_INS6_11hip_rocprim26transform_input_iterator_tIbNSD_35transform_pair_of_input_iterators_tIbNS6_6detail15normal_iteratorINS6_10device_ptrIKsEEEESL_NS6_8equal_toIsEEEENSG_9not_fun_tINSD_8identityEEEEENSD_19counting_iterator_tIlEES8_S8_S8_S8_S8_S8_S8_S8_EEEEPS9_S9_NSD_9__find_if7functorIS9_EEEE10hipError_tPvRmT1_T2_T3_mT4_P12ihipStream_tbEUlT_E1_NS1_11comp_targetILNS1_3genE5ELNS1_11target_archE942ELNS1_3gpuE9ELNS1_3repE0EEENS1_30default_config_static_selectorELNS0_4arch9wavefront6targetE1EEEvS14_,comdat
.Lfunc_end971:
	.size	_ZN7rocprim17ROCPRIM_400000_NS6detail17trampoline_kernelINS0_14default_configENS1_22reduce_config_selectorIN6thrust23THRUST_200600_302600_NS5tupleIblNS6_9null_typeES8_S8_S8_S8_S8_S8_S8_EEEEZNS1_11reduce_implILb1ES3_NS6_12zip_iteratorINS7_INS6_11hip_rocprim26transform_input_iterator_tIbNSD_35transform_pair_of_input_iterators_tIbNS6_6detail15normal_iteratorINS6_10device_ptrIKsEEEESL_NS6_8equal_toIsEEEENSG_9not_fun_tINSD_8identityEEEEENSD_19counting_iterator_tIlEES8_S8_S8_S8_S8_S8_S8_S8_EEEEPS9_S9_NSD_9__find_if7functorIS9_EEEE10hipError_tPvRmT1_T2_T3_mT4_P12ihipStream_tbEUlT_E1_NS1_11comp_targetILNS1_3genE5ELNS1_11target_archE942ELNS1_3gpuE9ELNS1_3repE0EEENS1_30default_config_static_selectorELNS0_4arch9wavefront6targetE1EEEvS14_, .Lfunc_end971-_ZN7rocprim17ROCPRIM_400000_NS6detail17trampoline_kernelINS0_14default_configENS1_22reduce_config_selectorIN6thrust23THRUST_200600_302600_NS5tupleIblNS6_9null_typeES8_S8_S8_S8_S8_S8_S8_EEEEZNS1_11reduce_implILb1ES3_NS6_12zip_iteratorINS7_INS6_11hip_rocprim26transform_input_iterator_tIbNSD_35transform_pair_of_input_iterators_tIbNS6_6detail15normal_iteratorINS6_10device_ptrIKsEEEESL_NS6_8equal_toIsEEEENSG_9not_fun_tINSD_8identityEEEEENSD_19counting_iterator_tIlEES8_S8_S8_S8_S8_S8_S8_S8_EEEEPS9_S9_NSD_9__find_if7functorIS9_EEEE10hipError_tPvRmT1_T2_T3_mT4_P12ihipStream_tbEUlT_E1_NS1_11comp_targetILNS1_3genE5ELNS1_11target_archE942ELNS1_3gpuE9ELNS1_3repE0EEENS1_30default_config_static_selectorELNS0_4arch9wavefront6targetE1EEEvS14_
                                        ; -- End function
	.section	.AMDGPU.csdata,"",@progbits
; Kernel info:
; codeLenInByte = 0
; NumSgprs: 4
; NumVgprs: 0
; NumAgprs: 0
; TotalNumVgprs: 0
; ScratchSize: 0
; MemoryBound: 0
; FloatMode: 240
; IeeeMode: 1
; LDSByteSize: 0 bytes/workgroup (compile time only)
; SGPRBlocks: 0
; VGPRBlocks: 0
; NumSGPRsForWavesPerEU: 4
; NumVGPRsForWavesPerEU: 1
; AccumOffset: 4
; Occupancy: 8
; WaveLimiterHint : 0
; COMPUTE_PGM_RSRC2:SCRATCH_EN: 0
; COMPUTE_PGM_RSRC2:USER_SGPR: 6
; COMPUTE_PGM_RSRC2:TRAP_HANDLER: 0
; COMPUTE_PGM_RSRC2:TGID_X_EN: 1
; COMPUTE_PGM_RSRC2:TGID_Y_EN: 0
; COMPUTE_PGM_RSRC2:TGID_Z_EN: 0
; COMPUTE_PGM_RSRC2:TIDIG_COMP_CNT: 0
; COMPUTE_PGM_RSRC3_GFX90A:ACCUM_OFFSET: 0
; COMPUTE_PGM_RSRC3_GFX90A:TG_SPLIT: 0
	.section	.text._ZN7rocprim17ROCPRIM_400000_NS6detail17trampoline_kernelINS0_14default_configENS1_22reduce_config_selectorIN6thrust23THRUST_200600_302600_NS5tupleIblNS6_9null_typeES8_S8_S8_S8_S8_S8_S8_EEEEZNS1_11reduce_implILb1ES3_NS6_12zip_iteratorINS7_INS6_11hip_rocprim26transform_input_iterator_tIbNSD_35transform_pair_of_input_iterators_tIbNS6_6detail15normal_iteratorINS6_10device_ptrIKsEEEESL_NS6_8equal_toIsEEEENSG_9not_fun_tINSD_8identityEEEEENSD_19counting_iterator_tIlEES8_S8_S8_S8_S8_S8_S8_S8_EEEEPS9_S9_NSD_9__find_if7functorIS9_EEEE10hipError_tPvRmT1_T2_T3_mT4_P12ihipStream_tbEUlT_E1_NS1_11comp_targetILNS1_3genE4ELNS1_11target_archE910ELNS1_3gpuE8ELNS1_3repE0EEENS1_30default_config_static_selectorELNS0_4arch9wavefront6targetE1EEEvS14_,"axG",@progbits,_ZN7rocprim17ROCPRIM_400000_NS6detail17trampoline_kernelINS0_14default_configENS1_22reduce_config_selectorIN6thrust23THRUST_200600_302600_NS5tupleIblNS6_9null_typeES8_S8_S8_S8_S8_S8_S8_EEEEZNS1_11reduce_implILb1ES3_NS6_12zip_iteratorINS7_INS6_11hip_rocprim26transform_input_iterator_tIbNSD_35transform_pair_of_input_iterators_tIbNS6_6detail15normal_iteratorINS6_10device_ptrIKsEEEESL_NS6_8equal_toIsEEEENSG_9not_fun_tINSD_8identityEEEEENSD_19counting_iterator_tIlEES8_S8_S8_S8_S8_S8_S8_S8_EEEEPS9_S9_NSD_9__find_if7functorIS9_EEEE10hipError_tPvRmT1_T2_T3_mT4_P12ihipStream_tbEUlT_E1_NS1_11comp_targetILNS1_3genE4ELNS1_11target_archE910ELNS1_3gpuE8ELNS1_3repE0EEENS1_30default_config_static_selectorELNS0_4arch9wavefront6targetE1EEEvS14_,comdat
	.protected	_ZN7rocprim17ROCPRIM_400000_NS6detail17trampoline_kernelINS0_14default_configENS1_22reduce_config_selectorIN6thrust23THRUST_200600_302600_NS5tupleIblNS6_9null_typeES8_S8_S8_S8_S8_S8_S8_EEEEZNS1_11reduce_implILb1ES3_NS6_12zip_iteratorINS7_INS6_11hip_rocprim26transform_input_iterator_tIbNSD_35transform_pair_of_input_iterators_tIbNS6_6detail15normal_iteratorINS6_10device_ptrIKsEEEESL_NS6_8equal_toIsEEEENSG_9not_fun_tINSD_8identityEEEEENSD_19counting_iterator_tIlEES8_S8_S8_S8_S8_S8_S8_S8_EEEEPS9_S9_NSD_9__find_if7functorIS9_EEEE10hipError_tPvRmT1_T2_T3_mT4_P12ihipStream_tbEUlT_E1_NS1_11comp_targetILNS1_3genE4ELNS1_11target_archE910ELNS1_3gpuE8ELNS1_3repE0EEENS1_30default_config_static_selectorELNS0_4arch9wavefront6targetE1EEEvS14_ ; -- Begin function _ZN7rocprim17ROCPRIM_400000_NS6detail17trampoline_kernelINS0_14default_configENS1_22reduce_config_selectorIN6thrust23THRUST_200600_302600_NS5tupleIblNS6_9null_typeES8_S8_S8_S8_S8_S8_S8_EEEEZNS1_11reduce_implILb1ES3_NS6_12zip_iteratorINS7_INS6_11hip_rocprim26transform_input_iterator_tIbNSD_35transform_pair_of_input_iterators_tIbNS6_6detail15normal_iteratorINS6_10device_ptrIKsEEEESL_NS6_8equal_toIsEEEENSG_9not_fun_tINSD_8identityEEEEENSD_19counting_iterator_tIlEES8_S8_S8_S8_S8_S8_S8_S8_EEEEPS9_S9_NSD_9__find_if7functorIS9_EEEE10hipError_tPvRmT1_T2_T3_mT4_P12ihipStream_tbEUlT_E1_NS1_11comp_targetILNS1_3genE4ELNS1_11target_archE910ELNS1_3gpuE8ELNS1_3repE0EEENS1_30default_config_static_selectorELNS0_4arch9wavefront6targetE1EEEvS14_
	.globl	_ZN7rocprim17ROCPRIM_400000_NS6detail17trampoline_kernelINS0_14default_configENS1_22reduce_config_selectorIN6thrust23THRUST_200600_302600_NS5tupleIblNS6_9null_typeES8_S8_S8_S8_S8_S8_S8_EEEEZNS1_11reduce_implILb1ES3_NS6_12zip_iteratorINS7_INS6_11hip_rocprim26transform_input_iterator_tIbNSD_35transform_pair_of_input_iterators_tIbNS6_6detail15normal_iteratorINS6_10device_ptrIKsEEEESL_NS6_8equal_toIsEEEENSG_9not_fun_tINSD_8identityEEEEENSD_19counting_iterator_tIlEES8_S8_S8_S8_S8_S8_S8_S8_EEEEPS9_S9_NSD_9__find_if7functorIS9_EEEE10hipError_tPvRmT1_T2_T3_mT4_P12ihipStream_tbEUlT_E1_NS1_11comp_targetILNS1_3genE4ELNS1_11target_archE910ELNS1_3gpuE8ELNS1_3repE0EEENS1_30default_config_static_selectorELNS0_4arch9wavefront6targetE1EEEvS14_
	.p2align	8
	.type	_ZN7rocprim17ROCPRIM_400000_NS6detail17trampoline_kernelINS0_14default_configENS1_22reduce_config_selectorIN6thrust23THRUST_200600_302600_NS5tupleIblNS6_9null_typeES8_S8_S8_S8_S8_S8_S8_EEEEZNS1_11reduce_implILb1ES3_NS6_12zip_iteratorINS7_INS6_11hip_rocprim26transform_input_iterator_tIbNSD_35transform_pair_of_input_iterators_tIbNS6_6detail15normal_iteratorINS6_10device_ptrIKsEEEESL_NS6_8equal_toIsEEEENSG_9not_fun_tINSD_8identityEEEEENSD_19counting_iterator_tIlEES8_S8_S8_S8_S8_S8_S8_S8_EEEEPS9_S9_NSD_9__find_if7functorIS9_EEEE10hipError_tPvRmT1_T2_T3_mT4_P12ihipStream_tbEUlT_E1_NS1_11comp_targetILNS1_3genE4ELNS1_11target_archE910ELNS1_3gpuE8ELNS1_3repE0EEENS1_30default_config_static_selectorELNS0_4arch9wavefront6targetE1EEEvS14_,@function
_ZN7rocprim17ROCPRIM_400000_NS6detail17trampoline_kernelINS0_14default_configENS1_22reduce_config_selectorIN6thrust23THRUST_200600_302600_NS5tupleIblNS6_9null_typeES8_S8_S8_S8_S8_S8_S8_EEEEZNS1_11reduce_implILb1ES3_NS6_12zip_iteratorINS7_INS6_11hip_rocprim26transform_input_iterator_tIbNSD_35transform_pair_of_input_iterators_tIbNS6_6detail15normal_iteratorINS6_10device_ptrIKsEEEESL_NS6_8equal_toIsEEEENSG_9not_fun_tINSD_8identityEEEEENSD_19counting_iterator_tIlEES8_S8_S8_S8_S8_S8_S8_S8_EEEEPS9_S9_NSD_9__find_if7functorIS9_EEEE10hipError_tPvRmT1_T2_T3_mT4_P12ihipStream_tbEUlT_E1_NS1_11comp_targetILNS1_3genE4ELNS1_11target_archE910ELNS1_3gpuE8ELNS1_3repE0EEENS1_30default_config_static_selectorELNS0_4arch9wavefront6targetE1EEEvS14_: ; @_ZN7rocprim17ROCPRIM_400000_NS6detail17trampoline_kernelINS0_14default_configENS1_22reduce_config_selectorIN6thrust23THRUST_200600_302600_NS5tupleIblNS6_9null_typeES8_S8_S8_S8_S8_S8_S8_EEEEZNS1_11reduce_implILb1ES3_NS6_12zip_iteratorINS7_INS6_11hip_rocprim26transform_input_iterator_tIbNSD_35transform_pair_of_input_iterators_tIbNS6_6detail15normal_iteratorINS6_10device_ptrIKsEEEESL_NS6_8equal_toIsEEEENSG_9not_fun_tINSD_8identityEEEEENSD_19counting_iterator_tIlEES8_S8_S8_S8_S8_S8_S8_S8_EEEEPS9_S9_NSD_9__find_if7functorIS9_EEEE10hipError_tPvRmT1_T2_T3_mT4_P12ihipStream_tbEUlT_E1_NS1_11comp_targetILNS1_3genE4ELNS1_11target_archE910ELNS1_3gpuE8ELNS1_3repE0EEENS1_30default_config_static_selectorELNS0_4arch9wavefront6targetE1EEEvS14_
; %bb.0:
	s_load_dword s38, s[4:5], 0x4
	s_load_dwordx4 s[24:27], s[4:5], 0x8
	s_load_dwordx4 s[20:23], s[4:5], 0x28
	s_load_dword s33, s[4:5], 0x40
	s_load_dwordx2 s[18:19], s[4:5], 0x48
	s_waitcnt lgkmcnt(0)
	s_cmp_lt_i32 s38, 4
	s_cbranch_scc1 .LBB972_21
; %bb.1:
	s_cmp_gt_i32 s38, 7
	s_cbranch_scc0 .LBB972_22
; %bb.2:
	s_cmp_eq_u32 s38, 8
	s_mov_b64 s[28:29], 0
	s_cbranch_scc0 .LBB972_23
; %bb.3:
	s_mov_b32 s7, 0
	s_lshl_b32 s36, s6, 11
	s_mov_b32 s37, s7
	s_lshr_b64 s[0:1], s[22:23], 11
	s_lshl_b64 s[2:3], s[36:37], 1
	s_add_u32 s30, s24, s2
	s_addc_u32 s31, s25, s3
	s_add_u32 s34, s26, s2
	s_addc_u32 s35, s27, s3
	;; [unrolled: 2-line block ×3, first 2 shown]
	s_cmp_lg_u64 s[0:1], s[6:7]
	s_cbranch_scc0 .LBB972_44
; %bb.4:
	v_lshlrev_b32_e32 v1, 1, v0
	global_load_ushort v2, v1, s[30:31] offset:512
	global_load_ushort v3, v1, s[30:31] offset:1024
	global_load_ushort v4, v1, s[34:35] offset:1024
	global_load_ushort v5, v1, s[30:31] offset:2048
	global_load_ushort v6, v1, s[34:35] offset:2048
	global_load_ushort v7, v1, s[30:31] offset:3072
	global_load_ushort v8, v1, s[30:31] offset:3584
	global_load_ushort v9, v1, s[34:35] offset:3072
	global_load_ushort v10, v1, s[34:35] offset:3584
	global_load_ushort v11, v1, s[34:35] offset:512
	global_load_ushort v12, v1, s[30:31] offset:1536
	global_load_ushort v13, v1, s[34:35] offset:1536
	global_load_ushort v14, v1, s[30:31] offset:2560
	global_load_ushort v15, v1, s[34:35] offset:2560
	global_load_ushort v16, v1, s[30:31]
	s_nop 0
	global_load_ushort v1, v1, s[34:35]
	v_mov_b32_e32 v17, s40
	v_add_co_u32_e32 v25, vcc, s39, v0
	v_mov_b32_e32 v18, 0x200
	v_mov_b32_e32 v19, 0x100
	v_addc_co_u32_e32 v17, vcc, 0, v17, vcc
	v_mov_b32_e32 v20, 0x400
	v_mov_b32_e32 v21, 0x300
	;; [unrolled: 1-line block ×5, first 2 shown]
	s_waitcnt vmcnt(13)
	v_cmp_ne_u16_e32 vcc, v3, v4
	s_waitcnt vmcnt(11)
	v_cmp_ne_u16_e64 s[0:1], v5, v6
	s_waitcnt vmcnt(8)
	v_cmp_ne_u16_e64 s[2:3], v7, v9
	;; [unrolled: 2-line block ×4, first 2 shown]
	v_cndmask_b32_e64 v2, v18, v19, s[10:11]
	s_waitcnt vmcnt(4)
	v_cmp_ne_u16_e64 s[12:13], v12, v13
	v_cndmask_b32_e64 v3, v20, v21, s[12:13]
	s_waitcnt vmcnt(2)
	v_cmp_ne_u16_e64 s[14:15], v14, v15
	;; [unrolled: 3-line block ×3, first 2 shown]
	s_or_b64 s[10:11], s[16:17], s[10:11]
	s_or_b64 vcc, s[10:11], vcc
	v_cndmask_b32_e64 v1, v2, 0, s[16:17]
	s_or_b64 s[10:11], vcc, s[12:13]
	v_cndmask_b32_e32 v1, v3, v1, vcc
	s_or_b64 vcc, s[10:11], s[0:1]
	s_or_b64 s[0:1], vcc, s[14:15]
	v_cndmask_b32_e32 v1, v4, v1, vcc
	s_or_b64 vcc, s[0:1], s[2:3]
	v_cndmask_b32_e32 v1, v24, v1, vcc
	v_add_co_u32_e64 v2, s[0:1], v25, v1
	v_addc_co_u32_e64 v3, s[0:1], 0, v17, s[0:1]
	s_or_b64 s[0:1], vcc, s[8:9]
	v_cndmask_b32_e64 v1, 0, 1, s[0:1]
	v_mov_b32_dpp v4, v2 quad_perm:[1,0,3,2] row_mask:0xf bank_mask:0xf bound_ctrl:1
	v_mov_b32_dpp v5, v3 quad_perm:[1,0,3,2] row_mask:0xf bank_mask:0xf bound_ctrl:1
	;; [unrolled: 1-line block ×3, first 2 shown]
	v_and_b32_e32 v7, 1, v6
	v_cmp_eq_u32_e32 vcc, 1, v7
	s_and_saveexec_b64 s[2:3], vcc
; %bb.5:
	v_cmp_lt_i64_e32 vcc, v[2:3], v[4:5]
	v_cndmask_b32_e64 v6, v6, 1, s[0:1]
	s_and_b64 vcc, s[0:1], vcc
	v_cndmask_b32_e32 v2, v4, v2, vcc
	v_and_b32_e32 v4, 1, v6
	v_cndmask_b32_e32 v3, v5, v3, vcc
	v_cmp_eq_u32_e32 vcc, 1, v4
	s_andn2_b64 s[0:1], s[0:1], exec
	s_and_b64 s[8:9], vcc, exec
	v_and_b32_e32 v1, 0xff, v6
	s_or_b64 s[0:1], s[0:1], s[8:9]
; %bb.6:
	s_or_b64 exec, exec, s[2:3]
	v_mov_b32_dpp v6, v1 quad_perm:[2,3,0,1] row_mask:0xf bank_mask:0xf bound_ctrl:1
	v_and_b32_e32 v7, 1, v6
	v_mov_b32_dpp v4, v2 quad_perm:[2,3,0,1] row_mask:0xf bank_mask:0xf bound_ctrl:1
	v_mov_b32_dpp v5, v3 quad_perm:[2,3,0,1] row_mask:0xf bank_mask:0xf bound_ctrl:1
	v_cmp_eq_u32_e32 vcc, 1, v7
	s_and_saveexec_b64 s[2:3], vcc
; %bb.7:
	v_cmp_lt_i64_e32 vcc, v[2:3], v[4:5]
	v_cndmask_b32_e64 v6, v6, 1, s[0:1]
	s_and_b64 vcc, s[0:1], vcc
	v_cndmask_b32_e32 v2, v4, v2, vcc
	v_and_b32_e32 v4, 1, v6
	v_cndmask_b32_e32 v3, v5, v3, vcc
	v_cmp_eq_u32_e32 vcc, 1, v4
	s_andn2_b64 s[0:1], s[0:1], exec
	s_and_b64 s[8:9], vcc, exec
	v_and_b32_e32 v1, 0xff, v6
	s_or_b64 s[0:1], s[0:1], s[8:9]
; %bb.8:
	s_or_b64 exec, exec, s[2:3]
	v_mov_b32_dpp v6, v1 row_ror:4 row_mask:0xf bank_mask:0xf bound_ctrl:1
	v_and_b32_e32 v7, 1, v6
	v_mov_b32_dpp v4, v2 row_ror:4 row_mask:0xf bank_mask:0xf bound_ctrl:1
	v_mov_b32_dpp v5, v3 row_ror:4 row_mask:0xf bank_mask:0xf bound_ctrl:1
	v_cmp_eq_u32_e32 vcc, 1, v7
	s_and_saveexec_b64 s[2:3], vcc
; %bb.9:
	v_cmp_lt_i64_e32 vcc, v[2:3], v[4:5]
	v_cndmask_b32_e64 v6, v6, 1, s[0:1]
	s_and_b64 vcc, s[0:1], vcc
	v_cndmask_b32_e32 v2, v4, v2, vcc
	v_and_b32_e32 v4, 1, v6
	v_cndmask_b32_e32 v3, v5, v3, vcc
	v_cmp_eq_u32_e32 vcc, 1, v4
	s_andn2_b64 s[0:1], s[0:1], exec
	s_and_b64 s[8:9], vcc, exec
	v_and_b32_e32 v1, 0xff, v6
	s_or_b64 s[0:1], s[0:1], s[8:9]
; %bb.10:
	s_or_b64 exec, exec, s[2:3]
	v_mov_b32_dpp v6, v1 row_ror:8 row_mask:0xf bank_mask:0xf bound_ctrl:1
	v_and_b32_e32 v7, 1, v6
	v_mov_b32_dpp v4, v2 row_ror:8 row_mask:0xf bank_mask:0xf bound_ctrl:1
	v_mov_b32_dpp v5, v3 row_ror:8 row_mask:0xf bank_mask:0xf bound_ctrl:1
	v_cmp_eq_u32_e32 vcc, 1, v7
	s_and_saveexec_b64 s[2:3], vcc
; %bb.11:
	v_cmp_lt_i64_e32 vcc, v[2:3], v[4:5]
	v_cndmask_b32_e64 v6, v6, 1, s[0:1]
	s_and_b64 vcc, s[0:1], vcc
	v_cndmask_b32_e32 v2, v4, v2, vcc
	v_and_b32_e32 v4, 1, v6
	v_cndmask_b32_e32 v3, v5, v3, vcc
	v_cmp_eq_u32_e32 vcc, 1, v4
	s_andn2_b64 s[0:1], s[0:1], exec
	s_and_b64 s[8:9], vcc, exec
	v_and_b32_e32 v1, 0xff, v6
	s_or_b64 s[0:1], s[0:1], s[8:9]
; %bb.12:
	s_or_b64 exec, exec, s[2:3]
	v_mov_b32_dpp v6, v1 row_bcast:15 row_mask:0xf bank_mask:0xf bound_ctrl:1
	v_and_b32_e32 v7, 1, v6
	v_mov_b32_dpp v4, v2 row_bcast:15 row_mask:0xf bank_mask:0xf bound_ctrl:1
	v_mov_b32_dpp v5, v3 row_bcast:15 row_mask:0xf bank_mask:0xf bound_ctrl:1
	v_cmp_eq_u32_e32 vcc, 1, v7
	s_and_saveexec_b64 s[2:3], vcc
; %bb.13:
	v_cmp_lt_i64_e32 vcc, v[2:3], v[4:5]
	v_cndmask_b32_e64 v6, v6, 1, s[0:1]
	s_and_b64 vcc, s[0:1], vcc
	v_cndmask_b32_e32 v2, v4, v2, vcc
	v_and_b32_e32 v4, 1, v6
	v_cndmask_b32_e32 v3, v5, v3, vcc
	v_cmp_eq_u32_e32 vcc, 1, v4
	s_andn2_b64 s[0:1], s[0:1], exec
	s_and_b64 s[8:9], vcc, exec
	v_and_b32_e32 v1, 0xff, v6
	s_or_b64 s[0:1], s[0:1], s[8:9]
; %bb.14:
	s_or_b64 exec, exec, s[2:3]
	v_mov_b32_dpp v6, v1 row_bcast:31 row_mask:0xf bank_mask:0xf bound_ctrl:1
	v_and_b32_e32 v7, 1, v6
	v_mov_b32_dpp v4, v2 row_bcast:31 row_mask:0xf bank_mask:0xf bound_ctrl:1
	v_mov_b32_dpp v5, v3 row_bcast:31 row_mask:0xf bank_mask:0xf bound_ctrl:1
	v_cmp_eq_u32_e32 vcc, 1, v7
	s_and_saveexec_b64 s[2:3], vcc
; %bb.15:
	v_cmp_lt_i64_e32 vcc, v[2:3], v[4:5]
	v_and_b32_e32 v1, 0xff, v6
	s_and_b64 vcc, s[0:1], vcc
	v_cndmask_b32_e32 v2, v4, v2, vcc
	v_cndmask_b32_e32 v3, v5, v3, vcc
	v_cndmask_b32_e64 v1, v1, 1, s[0:1]
; %bb.16:
	s_or_b64 exec, exec, s[2:3]
	v_mbcnt_lo_u32_b32 v4, -1, 0
	v_mbcnt_hi_u32_b32 v4, -1, v4
	v_bfrev_b32_e32 v5, 0.5
	v_lshl_or_b32 v5, v4, 2, v5
	ds_bpermute_b32 v7, v5, v1
	ds_bpermute_b32 v2, v5, v2
	ds_bpermute_b32 v3, v5, v3
	v_cmp_eq_u32_e32 vcc, 0, v4
	s_and_saveexec_b64 s[0:1], vcc
	s_cbranch_execz .LBB972_18
; %bb.17:
	v_lshrrev_b32_e32 v1, 2, v0
	v_and_b32_e32 v1, 48, v1
	s_waitcnt lgkmcnt(2)
	ds_write_b8 v1, v7 offset:192
	s_waitcnt lgkmcnt(1)
	ds_write_b64 v1, v[2:3] offset:200
.LBB972_18:
	s_or_b64 exec, exec, s[0:1]
	v_cmp_gt_u32_e32 vcc, 64, v0
	s_waitcnt lgkmcnt(0)
	s_barrier
	s_and_saveexec_b64 s[2:3], vcc
	s_cbranch_execz .LBB972_20
; %bb.19:
	v_and_b32_e32 v1, 3, v4
	v_lshlrev_b32_e32 v2, 4, v1
	ds_read_u8 v5, v2 offset:192
	ds_read_b64 v[2:3], v2 offset:200
	v_cmp_ne_u32_e32 vcc, 3, v1
	v_addc_co_u32_e32 v6, vcc, 0, v4, vcc
	s_waitcnt lgkmcnt(1)
	v_and_b32_e32 v7, 0xff, v5
	v_lshlrev_b32_e32 v8, 2, v6
	ds_bpermute_b32 v9, v8, v7
	s_waitcnt lgkmcnt(1)
	ds_bpermute_b32 v6, v8, v2
	ds_bpermute_b32 v7, v8, v3
	v_and_b32_e32 v8, 1, v5
	s_waitcnt lgkmcnt(2)
	v_and_b32_e32 v10, 1, v9
	v_cmp_eq_u32_e64 s[0:1], 1, v10
	s_waitcnt lgkmcnt(0)
	v_cmp_lt_i64_e32 vcc, v[6:7], v[2:3]
	s_and_b64 vcc, s[0:1], vcc
	v_cndmask_b32_e64 v5, v5, 1, s[0:1]
	v_cndmask_b32_e32 v2, v2, v6, vcc
	v_cndmask_b32_e32 v3, v3, v7, vcc
	v_cmp_eq_u32_e32 vcc, 1, v8
	v_cndmask_b32_e32 v8, v9, v5, vcc
	v_cndmask_b32_e32 v3, v7, v3, vcc
	;; [unrolled: 1-line block ×3, first 2 shown]
	v_cmp_gt_u32_e32 vcc, 2, v1
	v_cndmask_b32_e64 v1, 0, 1, vcc
	v_lshlrev_b32_e32 v1, 1, v1
	v_and_b32_e32 v5, 0xff, v8
	v_add_lshl_u32 v1, v1, v4, 2
	ds_bpermute_b32 v6, v1, v5
	ds_bpermute_b32 v4, v1, v2
	;; [unrolled: 1-line block ×3, first 2 shown]
	v_and_b32_e32 v1, 1, v8
	s_waitcnt lgkmcnt(2)
	v_and_b32_e32 v7, 1, v6
	v_cmp_eq_u32_e64 s[0:1], 1, v7
	s_waitcnt lgkmcnt(0)
	v_cmp_lt_i64_e32 vcc, v[4:5], v[2:3]
	s_and_b64 vcc, s[0:1], vcc
	v_cndmask_b32_e64 v7, v8, 1, s[0:1]
	v_cndmask_b32_e32 v2, v2, v4, vcc
	v_cndmask_b32_e32 v3, v3, v5, vcc
	v_cmp_eq_u32_e32 vcc, 1, v1
	v_cndmask_b32_e32 v1, v6, v7, vcc
	v_cndmask_b32_e32 v3, v5, v3, vcc
	;; [unrolled: 1-line block ×3, first 2 shown]
	v_and_b32_e32 v7, 0xff, v1
.LBB972_20:
	s_or_b64 exec, exec, s[2:3]
	s_branch .LBB972_89
.LBB972_21:
	s_mov_b64 s[10:11], 0
                                        ; implicit-def: $vgpr4_vgpr5
                                        ; implicit-def: $vgpr1
	s_cbranch_execnz .LBB972_133
	s_branch .LBB972_208
.LBB972_22:
	s_mov_b64 s[28:29], -1
.LBB972_23:
	s_mov_b64 s[10:11], 0
                                        ; implicit-def: $vgpr4_vgpr5
                                        ; implicit-def: $vgpr1
	s_and_b64 vcc, exec, s[28:29]
	s_cbranch_vccz .LBB972_94
.LBB972_24:
	s_cmp_eq_u32 s38, 4
	s_cbranch_scc0 .LBB972_43
; %bb.25:
	s_mov_b32 s7, 0
	s_lshl_b32 s16, s6, 10
	s_mov_b32 s17, s7
	s_lshr_b64 s[0:1], s[22:23], 10
	s_lshl_b64 s[2:3], s[16:17], 1
	s_add_u32 s12, s24, s2
	s_addc_u32 s13, s25, s3
	s_add_u32 s14, s26, s2
	s_addc_u32 s15, s27, s3
	;; [unrolled: 2-line block ×3, first 2 shown]
	s_cmp_lg_u64 s[0:1], s[6:7]
	s_cbranch_scc0 .LBB972_95
; %bb.26:
	v_lshlrev_b32_e32 v1, 1, v0
	global_load_ushort v2, v1, s[12:13] offset:1024
	global_load_ushort v3, v1, s[14:15] offset:512
	s_waitcnt lgkmcnt(1)
	global_load_ushort v4, v1, s[14:15] offset:1024
	s_waitcnt lgkmcnt(0)
	global_load_ushort v5, v1, s[14:15] offset:1536
	global_load_ushort v6, v1, s[12:13] offset:1536
	;; [unrolled: 1-line block ×3, first 2 shown]
	global_load_ushort v8, v1, s[14:15]
	global_load_ushort v9, v1, s[12:13]
	v_mov_b32_e32 v1, s29
	v_add_co_u32_e32 v13, vcc, s28, v0
	v_mov_b32_e32 v10, 0x200
	v_mov_b32_e32 v11, 0x100
	v_addc_co_u32_e32 v1, vcc, 0, v1, vcc
	v_mov_b32_e32 v12, 0x300
	s_waitcnt vmcnt(5)
	v_cmp_ne_u16_e32 vcc, v2, v4
	s_waitcnt vmcnt(3)
	v_cmp_ne_u16_e64 s[0:1], v6, v5
	s_waitcnt vmcnt(2)
	v_cmp_ne_u16_e64 s[2:3], v7, v3
	v_cndmask_b32_e64 v2, v10, v11, s[2:3]
	s_waitcnt vmcnt(0)
	v_cmp_ne_u16_e64 s[8:9], v9, v8
	s_or_b64 s[2:3], s[8:9], s[2:3]
	v_cndmask_b32_e64 v2, v2, 0, s[8:9]
	s_or_b64 vcc, s[2:3], vcc
	v_cndmask_b32_e32 v2, v12, v2, vcc
	v_add_co_u32_e64 v2, s[2:3], v13, v2
	s_or_b64 s[0:1], vcc, s[0:1]
	v_addc_co_u32_e64 v3, s[2:3], 0, v1, s[2:3]
	v_cndmask_b32_e64 v1, 0, 1, s[0:1]
	v_mov_b32_dpp v4, v2 quad_perm:[1,0,3,2] row_mask:0xf bank_mask:0xf bound_ctrl:1
	v_mov_b32_dpp v5, v3 quad_perm:[1,0,3,2] row_mask:0xf bank_mask:0xf bound_ctrl:1
	;; [unrolled: 1-line block ×3, first 2 shown]
	v_and_b32_e32 v7, 1, v6
	v_cmp_eq_u32_e32 vcc, 1, v7
	s_and_saveexec_b64 s[2:3], vcc
; %bb.27:
	v_cmp_lt_i64_e32 vcc, v[2:3], v[4:5]
	v_cndmask_b32_e64 v6, v6, 1, s[0:1]
	s_and_b64 vcc, s[0:1], vcc
	v_cndmask_b32_e32 v2, v4, v2, vcc
	v_and_b32_e32 v4, 1, v6
	v_cndmask_b32_e32 v3, v5, v3, vcc
	v_cmp_eq_u32_e32 vcc, 1, v4
	s_andn2_b64 s[0:1], s[0:1], exec
	s_and_b64 s[8:9], vcc, exec
	v_and_b32_e32 v1, 0xff, v6
	s_or_b64 s[0:1], s[0:1], s[8:9]
; %bb.28:
	s_or_b64 exec, exec, s[2:3]
	v_mov_b32_dpp v6, v1 quad_perm:[2,3,0,1] row_mask:0xf bank_mask:0xf bound_ctrl:1
	v_and_b32_e32 v7, 1, v6
	v_mov_b32_dpp v4, v2 quad_perm:[2,3,0,1] row_mask:0xf bank_mask:0xf bound_ctrl:1
	v_mov_b32_dpp v5, v3 quad_perm:[2,3,0,1] row_mask:0xf bank_mask:0xf bound_ctrl:1
	v_cmp_eq_u32_e32 vcc, 1, v7
	s_and_saveexec_b64 s[2:3], vcc
; %bb.29:
	v_cmp_lt_i64_e32 vcc, v[2:3], v[4:5]
	v_cndmask_b32_e64 v6, v6, 1, s[0:1]
	s_and_b64 vcc, s[0:1], vcc
	v_cndmask_b32_e32 v2, v4, v2, vcc
	v_and_b32_e32 v4, 1, v6
	v_cndmask_b32_e32 v3, v5, v3, vcc
	v_cmp_eq_u32_e32 vcc, 1, v4
	s_andn2_b64 s[0:1], s[0:1], exec
	s_and_b64 s[8:9], vcc, exec
	v_and_b32_e32 v1, 0xff, v6
	s_or_b64 s[0:1], s[0:1], s[8:9]
; %bb.30:
	s_or_b64 exec, exec, s[2:3]
	v_mov_b32_dpp v6, v1 row_ror:4 row_mask:0xf bank_mask:0xf bound_ctrl:1
	v_and_b32_e32 v7, 1, v6
	v_mov_b32_dpp v4, v2 row_ror:4 row_mask:0xf bank_mask:0xf bound_ctrl:1
	v_mov_b32_dpp v5, v3 row_ror:4 row_mask:0xf bank_mask:0xf bound_ctrl:1
	v_cmp_eq_u32_e32 vcc, 1, v7
	s_and_saveexec_b64 s[2:3], vcc
; %bb.31:
	v_cmp_lt_i64_e32 vcc, v[2:3], v[4:5]
	v_cndmask_b32_e64 v6, v6, 1, s[0:1]
	s_and_b64 vcc, s[0:1], vcc
	v_cndmask_b32_e32 v2, v4, v2, vcc
	v_and_b32_e32 v4, 1, v6
	v_cndmask_b32_e32 v3, v5, v3, vcc
	v_cmp_eq_u32_e32 vcc, 1, v4
	s_andn2_b64 s[0:1], s[0:1], exec
	s_and_b64 s[8:9], vcc, exec
	v_and_b32_e32 v1, 0xff, v6
	s_or_b64 s[0:1], s[0:1], s[8:9]
; %bb.32:
	s_or_b64 exec, exec, s[2:3]
	v_mov_b32_dpp v6, v1 row_ror:8 row_mask:0xf bank_mask:0xf bound_ctrl:1
	v_and_b32_e32 v7, 1, v6
	v_mov_b32_dpp v4, v2 row_ror:8 row_mask:0xf bank_mask:0xf bound_ctrl:1
	v_mov_b32_dpp v5, v3 row_ror:8 row_mask:0xf bank_mask:0xf bound_ctrl:1
	v_cmp_eq_u32_e32 vcc, 1, v7
	s_and_saveexec_b64 s[2:3], vcc
; %bb.33:
	v_cmp_lt_i64_e32 vcc, v[2:3], v[4:5]
	v_cndmask_b32_e64 v6, v6, 1, s[0:1]
	s_and_b64 vcc, s[0:1], vcc
	v_cndmask_b32_e32 v2, v4, v2, vcc
	v_and_b32_e32 v4, 1, v6
	v_cndmask_b32_e32 v3, v5, v3, vcc
	v_cmp_eq_u32_e32 vcc, 1, v4
	s_andn2_b64 s[0:1], s[0:1], exec
	s_and_b64 s[8:9], vcc, exec
	v_and_b32_e32 v1, 0xff, v6
	s_or_b64 s[0:1], s[0:1], s[8:9]
; %bb.34:
	s_or_b64 exec, exec, s[2:3]
	v_mov_b32_dpp v6, v1 row_bcast:15 row_mask:0xf bank_mask:0xf bound_ctrl:1
	v_and_b32_e32 v7, 1, v6
	v_mov_b32_dpp v4, v2 row_bcast:15 row_mask:0xf bank_mask:0xf bound_ctrl:1
	v_mov_b32_dpp v5, v3 row_bcast:15 row_mask:0xf bank_mask:0xf bound_ctrl:1
	v_cmp_eq_u32_e32 vcc, 1, v7
	s_and_saveexec_b64 s[2:3], vcc
; %bb.35:
	v_cmp_lt_i64_e32 vcc, v[2:3], v[4:5]
	v_cndmask_b32_e64 v6, v6, 1, s[0:1]
	s_and_b64 vcc, s[0:1], vcc
	v_cndmask_b32_e32 v2, v4, v2, vcc
	v_and_b32_e32 v4, 1, v6
	v_cndmask_b32_e32 v3, v5, v3, vcc
	v_cmp_eq_u32_e32 vcc, 1, v4
	s_andn2_b64 s[0:1], s[0:1], exec
	s_and_b64 s[8:9], vcc, exec
	v_and_b32_e32 v1, 0xff, v6
	s_or_b64 s[0:1], s[0:1], s[8:9]
; %bb.36:
	s_or_b64 exec, exec, s[2:3]
	v_mov_b32_dpp v6, v1 row_bcast:31 row_mask:0xf bank_mask:0xf bound_ctrl:1
	v_and_b32_e32 v7, 1, v6
	v_mov_b32_dpp v4, v2 row_bcast:31 row_mask:0xf bank_mask:0xf bound_ctrl:1
	v_mov_b32_dpp v5, v3 row_bcast:31 row_mask:0xf bank_mask:0xf bound_ctrl:1
	v_cmp_eq_u32_e32 vcc, 1, v7
	s_and_saveexec_b64 s[2:3], vcc
; %bb.37:
	v_cmp_lt_i64_e32 vcc, v[2:3], v[4:5]
	v_and_b32_e32 v1, 0xff, v6
	s_and_b64 vcc, s[0:1], vcc
	v_cndmask_b32_e32 v2, v4, v2, vcc
	v_cndmask_b32_e32 v3, v5, v3, vcc
	v_cndmask_b32_e64 v1, v1, 1, s[0:1]
; %bb.38:
	s_or_b64 exec, exec, s[2:3]
	v_mbcnt_lo_u32_b32 v4, -1, 0
	v_mbcnt_hi_u32_b32 v4, -1, v4
	v_bfrev_b32_e32 v5, 0.5
	v_lshl_or_b32 v5, v4, 2, v5
	ds_bpermute_b32 v6, v5, v1
	ds_bpermute_b32 v2, v5, v2
	;; [unrolled: 1-line block ×3, first 2 shown]
	v_cmp_eq_u32_e32 vcc, 0, v4
	s_and_saveexec_b64 s[0:1], vcc
	s_cbranch_execz .LBB972_40
; %bb.39:
	v_lshrrev_b32_e32 v1, 2, v0
	v_and_b32_e32 v1, 48, v1
	s_waitcnt lgkmcnt(2)
	ds_write_b8 v1, v6 offset:128
	s_waitcnt lgkmcnt(1)
	ds_write_b64 v1, v[2:3] offset:136
.LBB972_40:
	s_or_b64 exec, exec, s[0:1]
	v_cmp_gt_u32_e32 vcc, 64, v0
	s_waitcnt lgkmcnt(0)
	s_barrier
	s_and_saveexec_b64 s[2:3], vcc
	s_cbranch_execz .LBB972_42
; %bb.41:
	v_and_b32_e32 v1, 3, v4
	v_lshlrev_b32_e32 v2, 4, v1
	ds_read_u8 v5, v2 offset:128
	ds_read_b64 v[2:3], v2 offset:136
	v_cmp_ne_u32_e32 vcc, 3, v1
	v_addc_co_u32_e32 v6, vcc, 0, v4, vcc
	s_waitcnt lgkmcnt(1)
	v_and_b32_e32 v7, 0xff, v5
	v_lshlrev_b32_e32 v8, 2, v6
	ds_bpermute_b32 v9, v8, v7
	s_waitcnt lgkmcnt(1)
	ds_bpermute_b32 v6, v8, v2
	ds_bpermute_b32 v7, v8, v3
	v_and_b32_e32 v8, 1, v5
	s_waitcnt lgkmcnt(2)
	v_and_b32_e32 v10, 1, v9
	v_cmp_eq_u32_e64 s[0:1], 1, v10
	s_waitcnt lgkmcnt(0)
	v_cmp_lt_i64_e32 vcc, v[6:7], v[2:3]
	s_and_b64 vcc, s[0:1], vcc
	v_cndmask_b32_e64 v5, v5, 1, s[0:1]
	v_cndmask_b32_e32 v2, v2, v6, vcc
	v_cndmask_b32_e32 v3, v3, v7, vcc
	v_cmp_eq_u32_e32 vcc, 1, v8
	v_cndmask_b32_e32 v8, v9, v5, vcc
	v_cndmask_b32_e32 v3, v7, v3, vcc
	;; [unrolled: 1-line block ×3, first 2 shown]
	v_cmp_gt_u32_e32 vcc, 2, v1
	v_cndmask_b32_e64 v1, 0, 1, vcc
	v_lshlrev_b32_e32 v1, 1, v1
	v_and_b32_e32 v5, 0xff, v8
	v_add_lshl_u32 v1, v1, v4, 2
	ds_bpermute_b32 v6, v1, v5
	ds_bpermute_b32 v4, v1, v2
	;; [unrolled: 1-line block ×3, first 2 shown]
	v_and_b32_e32 v1, 1, v8
	s_waitcnt lgkmcnt(2)
	v_and_b32_e32 v7, 1, v6
	v_cmp_eq_u32_e64 s[0:1], 1, v7
	s_waitcnt lgkmcnt(0)
	v_cmp_lt_i64_e32 vcc, v[4:5], v[2:3]
	s_and_b64 vcc, s[0:1], vcc
	v_cndmask_b32_e64 v7, v8, 1, s[0:1]
	v_cndmask_b32_e32 v2, v2, v4, vcc
	v_cndmask_b32_e32 v3, v3, v5, vcc
	v_cmp_eq_u32_e32 vcc, 1, v1
	v_cndmask_b32_e32 v1, v6, v7, vcc
	v_cndmask_b32_e32 v3, v5, v3, vcc
	;; [unrolled: 1-line block ×3, first 2 shown]
	v_and_b32_e32 v6, 0xff, v1
.LBB972_42:
	s_or_b64 exec, exec, s[2:3]
	s_branch .LBB972_128
.LBB972_43:
                                        ; implicit-def: $vgpr4_vgpr5
                                        ; implicit-def: $vgpr1
	s_branch .LBB972_208
.LBB972_44:
                                        ; implicit-def: $vgpr2_vgpr3
                                        ; implicit-def: $vgpr7
	s_cbranch_execz .LBB972_89
; %bb.45:
	s_sub_i32 s41, s22, s36
	v_pk_mov_b32 v[4:5], 0, 0
	v_cmp_gt_u32_e32 vcc, s41, v0
	v_mov_b32_e32 v18, 0
	v_pk_mov_b32 v[2:3], v[4:5], v[4:5] op_sel:[0,1]
	v_mov_b32_e32 v1, 0
	s_and_saveexec_b64 s[0:1], vcc
	s_cbranch_execz .LBB972_47
; %bb.46:
	v_lshlrev_b32_e32 v1, 1, v0
	global_load_ushort v6, v1, s[30:31]
	global_load_ushort v7, v1, s[34:35]
	v_mov_b32_e32 v1, s40
	v_add_co_u32_e32 v2, vcc, s39, v0
	v_addc_co_u32_e32 v3, vcc, 0, v1, vcc
	s_waitcnt vmcnt(0)
	v_cmp_ne_u16_e32 vcc, v6, v7
	v_cndmask_b32_e64 v1, 0, 1, vcc
.LBB972_47:
	s_or_b64 exec, exec, s[0:1]
	v_or_b32_e32 v6, 0x100, v0
	v_cmp_gt_u32_e64 s[8:9], s41, v6
	s_and_saveexec_b64 s[0:1], s[8:9]
	s_cbranch_execz .LBB972_49
; %bb.48:
	v_lshlrev_b32_e32 v4, 1, v0
	global_load_ushort v7, v4, s[30:31] offset:512
	global_load_ushort v8, v4, s[34:35] offset:512
	v_mov_b32_e32 v5, s40
	v_add_co_u32_e32 v4, vcc, s39, v6
	v_addc_co_u32_e32 v5, vcc, 0, v5, vcc
	s_waitcnt vmcnt(0)
	v_cmp_ne_u16_e32 vcc, v7, v8
	v_cndmask_b32_e64 v18, 0, 1, vcc
.LBB972_49:
	s_or_b64 exec, exec, s[0:1]
	v_or_b32_e32 v8, 0x200, v0
	v_pk_mov_b32 v[6:7], 0, 0
	v_cmp_gt_u32_e32 vcc, s41, v8
	v_mov_b32_e32 v19, 0
	v_pk_mov_b32 v[12:13], v[6:7], v[6:7] op_sel:[0,1]
	v_mov_b32_e32 v23, 0
	s_and_saveexec_b64 s[2:3], vcc
	s_cbranch_execz .LBB972_51
; %bb.50:
	v_lshlrev_b32_e32 v9, 1, v0
	global_load_ushort v10, v9, s[30:31] offset:1024
	global_load_ushort v11, v9, s[34:35] offset:1024
	v_mov_b32_e32 v9, s40
	v_add_co_u32_e64 v12, s[0:1], s39, v8
	v_addc_co_u32_e64 v13, s[0:1], 0, v9, s[0:1]
	s_waitcnt vmcnt(0)
	v_cmp_ne_u16_e64 s[0:1], v10, v11
	v_cndmask_b32_e64 v23, 0, 1, s[0:1]
.LBB972_51:
	s_or_b64 exec, exec, s[2:3]
	v_or_b32_e32 v8, 0x300, v0
	v_cmp_gt_u32_e64 s[10:11], s41, v8
	s_and_saveexec_b64 s[2:3], s[10:11]
	s_cbranch_execz .LBB972_53
; %bb.52:
	v_lshlrev_b32_e32 v6, 1, v0
	global_load_ushort v9, v6, s[30:31] offset:1536
	global_load_ushort v10, v6, s[34:35] offset:1536
	v_mov_b32_e32 v7, s40
	v_add_co_u32_e64 v6, s[0:1], s39, v8
	v_addc_co_u32_e64 v7, s[0:1], 0, v7, s[0:1]
	s_waitcnt vmcnt(0)
	v_cmp_ne_u16_e64 s[0:1], v9, v10
	v_cndmask_b32_e64 v19, 0, 1, s[0:1]
.LBB972_53:
	s_or_b64 exec, exec, s[2:3]
	v_or_b32_e32 v10, 0x400, v0
	v_pk_mov_b32 v[8:9], 0, 0
	v_cmp_gt_u32_e64 s[0:1], s41, v10
	v_mov_b32_e32 v20, 0
	v_pk_mov_b32 v[14:15], v[8:9], v[8:9] op_sel:[0,1]
	v_mov_b32_e32 v24, 0
	s_and_saveexec_b64 s[12:13], s[0:1]
	s_cbranch_execz .LBB972_55
; %bb.54:
	v_lshlrev_b32_e32 v11, 1, v0
	global_load_ushort v16, v11, s[30:31] offset:2048
	global_load_ushort v17, v11, s[34:35] offset:2048
	v_mov_b32_e32 v11, s40
	v_add_co_u32_e64 v14, s[2:3], s39, v10
	v_addc_co_u32_e64 v15, s[2:3], 0, v11, s[2:3]
	s_waitcnt vmcnt(0)
	v_cmp_ne_u16_e64 s[2:3], v16, v17
	v_cndmask_b32_e64 v24, 0, 1, s[2:3]
.LBB972_55:
	s_or_b64 exec, exec, s[12:13]
	v_or_b32_e32 v10, 0x500, v0
	v_cmp_gt_u32_e64 s[12:13], s41, v10
	s_and_saveexec_b64 s[14:15], s[12:13]
	s_cbranch_execz .LBB972_57
; %bb.56:
	v_lshlrev_b32_e32 v8, 1, v0
	global_load_ushort v11, v8, s[30:31] offset:2560
	global_load_ushort v16, v8, s[34:35] offset:2560
	v_mov_b32_e32 v9, s40
	v_add_co_u32_e64 v8, s[2:3], s39, v10
	v_addc_co_u32_e64 v9, s[2:3], 0, v9, s[2:3]
	s_waitcnt vmcnt(0)
	v_cmp_ne_u16_e64 s[2:3], v11, v16
	v_cndmask_b32_e64 v20, 0, 1, s[2:3]
.LBB972_57:
	s_or_b64 exec, exec, s[14:15]
	v_or_b32_e32 v25, 0x600, v0
	v_pk_mov_b32 v[10:11], 0, 0
	v_cmp_gt_u32_e64 s[2:3], s41, v25
	v_mov_b32_e32 v21, 0
	v_mov_b32_e32 v22, 0
	v_pk_mov_b32 v[16:17], v[10:11], v[10:11] op_sel:[0,1]
	s_and_saveexec_b64 s[16:17], s[2:3]
	s_cbranch_execz .LBB972_59
; %bb.58:
	v_lshlrev_b32_e32 v16, 1, v0
	global_load_ushort v22, v16, s[30:31] offset:3072
	global_load_ushort v26, v16, s[34:35] offset:3072
	v_mov_b32_e32 v17, s40
	v_add_co_u32_e64 v16, s[14:15], s39, v25
	v_addc_co_u32_e64 v17, s[14:15], 0, v17, s[14:15]
	s_waitcnt vmcnt(0)
	v_cmp_ne_u16_e64 s[14:15], v22, v26
	v_cndmask_b32_e64 v22, 0, 1, s[14:15]
.LBB972_59:
	s_or_b64 exec, exec, s[16:17]
	v_or_b32_e32 v25, 0x700, v0
	v_cmp_gt_u32_e64 s[14:15], s41, v25
	s_and_saveexec_b64 s[36:37], s[14:15]
	s_cbranch_execnz .LBB972_240
; %bb.60:
	s_or_b64 exec, exec, s[36:37]
	s_and_saveexec_b64 s[30:31], s[8:9]
	s_cbranch_execnz .LBB972_241
.LBB972_61:
	s_or_b64 exec, exec, s[30:31]
	s_and_saveexec_b64 s[16:17], vcc
	s_cbranch_execnz .LBB972_242
.LBB972_62:
	s_or_b64 exec, exec, s[16:17]
	s_and_saveexec_b64 s[16:17], s[10:11]
	s_cbranch_execnz .LBB972_243
.LBB972_63:
	s_or_b64 exec, exec, s[16:17]
	s_and_saveexec_b64 s[8:9], s[0:1]
	s_cbranch_execnz .LBB972_244
.LBB972_64:
	s_or_b64 exec, exec, s[8:9]
	s_and_saveexec_b64 s[8:9], s[12:13]
	s_cbranch_execnz .LBB972_245
.LBB972_65:
	s_or_b64 exec, exec, s[8:9]
	s_and_saveexec_b64 s[8:9], s[2:3]
	s_cbranch_execnz .LBB972_246
.LBB972_66:
	s_or_b64 exec, exec, s[8:9]
	s_and_saveexec_b64 s[2:3], s[14:15]
	s_cbranch_execz .LBB972_68
.LBB972_67:
	v_and_b32_e32 v5, 1, v21
	v_cmp_lt_i64_e32 vcc, v[10:11], v[2:3]
	v_cmp_eq_u32_e64 s[0:1], 1, v5
	v_and_b32_e32 v4, 1, v1
	s_and_b64 vcc, s[0:1], vcc
	v_cndmask_b32_e64 v1, v1, 1, s[0:1]
	v_cndmask_b32_e32 v2, v2, v10, vcc
	v_cndmask_b32_e32 v3, v3, v11, vcc
	v_cmp_eq_u32_e32 vcc, 1, v4
	v_cndmask_b32_e32 v1, v21, v1, vcc
	v_cndmask_b32_e32 v3, v11, v3, vcc
	;; [unrolled: 1-line block ×3, first 2 shown]
.LBB972_68:
	s_or_b64 exec, exec, s[2:3]
	v_mbcnt_lo_u32_b32 v4, -1, 0
	v_mbcnt_hi_u32_b32 v6, -1, v4
	v_and_b32_e32 v8, 63, v6
	v_cmp_ne_u32_e32 vcc, 63, v8
	v_addc_co_u32_e32 v4, vcc, 0, v6, vcc
	v_and_b32_e32 v7, 0xffff, v1
	v_lshlrev_b32_e32 v5, 2, v4
	ds_bpermute_b32 v11, v5, v7
	ds_bpermute_b32 v4, v5, v2
	;; [unrolled: 1-line block ×3, first 2 shown]
	s_min_u32 s8, s41, 0x100
	v_and_b32_e32 v9, 0xc0, v0
	v_sub_u32_e64 v10, s8, v9 clamp
	v_add_u32_e32 v9, 1, v8
	v_cmp_lt_u32_e32 vcc, v9, v10
	v_mov_b32_e32 v9, v7
	s_and_saveexec_b64 s[0:1], vcc
	s_xor_b64 s[2:3], exec, s[0:1]
	s_cbranch_execz .LBB972_70
; %bb.69:
	s_waitcnt lgkmcnt(2)
	v_and_b32_e32 v9, 1, v11
	s_waitcnt lgkmcnt(0)
	v_cmp_lt_i64_e32 vcc, v[4:5], v[2:3]
	v_cmp_eq_u32_e64 s[0:1], 1, v9
	v_and_b32_e32 v1, 1, v1
	s_and_b64 vcc, s[0:1], vcc
	v_cndmask_b32_e64 v7, v7, 1, s[0:1]
	v_cndmask_b32_e32 v2, v2, v4, vcc
	v_cndmask_b32_e32 v3, v3, v5, vcc
	v_cmp_eq_u32_e32 vcc, 1, v1
	v_cndmask_b32_e32 v9, v11, v7, vcc
	v_cndmask_b32_e32 v3, v5, v3, vcc
	;; [unrolled: 1-line block ×3, first 2 shown]
	v_and_b32_e32 v7, 0xff, v9
.LBB972_70:
	s_or_b64 exec, exec, s[2:3]
	v_cmp_gt_u32_e32 vcc, 62, v8
	v_cndmask_b32_e64 v1, 0, 1, vcc
	v_lshlrev_b32_e32 v1, 1, v1
	s_waitcnt lgkmcnt(0)
	v_add_lshl_u32 v5, v1, v6, 2
	ds_bpermute_b32 v1, v5, v7
	ds_bpermute_b32 v4, v5, v2
	ds_bpermute_b32 v5, v5, v3
	v_add_u32_e32 v11, 2, v8
	v_cmp_lt_u32_e32 vcc, v11, v10
	s_and_saveexec_b64 s[2:3], vcc
	s_cbranch_execz .LBB972_72
; %bb.71:
	s_waitcnt lgkmcnt(2)
	v_and_b32_e32 v11, 1, v1
	s_waitcnt lgkmcnt(0)
	v_cmp_lt_i64_e32 vcc, v[4:5], v[2:3]
	v_cmp_eq_u32_e64 s[0:1], 1, v11
	v_and_b32_e32 v7, 1, v9
	s_and_b64 vcc, s[0:1], vcc
	v_cndmask_b32_e64 v9, v9, 1, s[0:1]
	v_cndmask_b32_e32 v2, v2, v4, vcc
	v_cndmask_b32_e32 v3, v3, v5, vcc
	v_cmp_eq_u32_e32 vcc, 1, v7
	v_cndmask_b32_e32 v9, v1, v9, vcc
	v_cndmask_b32_e32 v3, v5, v3, vcc
	v_cndmask_b32_e32 v2, v4, v2, vcc
	v_and_b32_e32 v7, 0xff, v9
.LBB972_72:
	s_or_b64 exec, exec, s[2:3]
	v_cmp_gt_u32_e32 vcc, 60, v8
	s_waitcnt lgkmcnt(2)
	v_cndmask_b32_e64 v1, 0, 1, vcc
	v_lshlrev_b32_e32 v1, 2, v1
	s_waitcnt lgkmcnt(0)
	v_add_lshl_u32 v5, v1, v6, 2
	ds_bpermute_b32 v1, v5, v7
	ds_bpermute_b32 v4, v5, v2
	ds_bpermute_b32 v5, v5, v3
	v_add_u32_e32 v11, 4, v8
	v_cmp_lt_u32_e32 vcc, v11, v10
	s_and_saveexec_b64 s[2:3], vcc
	s_cbranch_execz .LBB972_74
; %bb.73:
	s_waitcnt lgkmcnt(2)
	v_and_b32_e32 v11, 1, v1
	s_waitcnt lgkmcnt(0)
	v_cmp_lt_i64_e32 vcc, v[4:5], v[2:3]
	v_cmp_eq_u32_e64 s[0:1], 1, v11
	v_and_b32_e32 v7, 1, v9
	s_and_b64 vcc, s[0:1], vcc
	v_cndmask_b32_e64 v9, v9, 1, s[0:1]
	v_cndmask_b32_e32 v2, v2, v4, vcc
	v_cndmask_b32_e32 v3, v3, v5, vcc
	v_cmp_eq_u32_e32 vcc, 1, v7
	v_cndmask_b32_e32 v9, v1, v9, vcc
	v_cndmask_b32_e32 v3, v5, v3, vcc
	v_cndmask_b32_e32 v2, v4, v2, vcc
	v_and_b32_e32 v7, 0xff, v9
.LBB972_74:
	s_or_b64 exec, exec, s[2:3]
	v_cmp_gt_u32_e32 vcc, 56, v8
	s_waitcnt lgkmcnt(2)
	;; [unrolled: 31-line block ×4, first 2 shown]
	v_cndmask_b32_e64 v1, 0, 1, vcc
	v_lshlrev_b32_e32 v1, 5, v1
	s_waitcnt lgkmcnt(0)
	v_add_lshl_u32 v5, v1, v6, 2
	ds_bpermute_b32 v1, v5, v7
	ds_bpermute_b32 v4, v5, v2
	;; [unrolled: 1-line block ×3, first 2 shown]
	v_add_u32_e32 v8, 32, v8
	v_cmp_lt_u32_e32 vcc, v8, v10
	s_and_saveexec_b64 s[2:3], vcc
	s_cbranch_execz .LBB972_80
; %bb.79:
	s_waitcnt lgkmcnt(2)
	v_and_b32_e32 v8, 1, v1
	s_waitcnt lgkmcnt(0)
	v_cmp_lt_i64_e32 vcc, v[4:5], v[2:3]
	v_cmp_eq_u32_e64 s[0:1], 1, v8
	v_and_b32_e32 v7, 1, v9
	s_and_b64 vcc, s[0:1], vcc
	v_cndmask_b32_e64 v8, v9, 1, s[0:1]
	v_cndmask_b32_e32 v2, v2, v4, vcc
	v_cndmask_b32_e32 v3, v3, v5, vcc
	v_cmp_eq_u32_e32 vcc, 1, v7
	v_cndmask_b32_e32 v9, v1, v8, vcc
	v_cndmask_b32_e32 v3, v5, v3, vcc
	;; [unrolled: 1-line block ×3, first 2 shown]
	v_and_b32_e32 v7, 0xff, v9
.LBB972_80:
	s_or_b64 exec, exec, s[2:3]
	v_cmp_eq_u32_e32 vcc, 0, v6
	s_and_saveexec_b64 s[0:1], vcc
	s_cbranch_execz .LBB972_82
; %bb.81:
	s_waitcnt lgkmcnt(2)
	v_lshrrev_b32_e32 v1, 2, v0
	v_and_b32_e32 v1, 48, v1
	ds_write_b8 v1, v9 offset:256
	ds_write_b64 v1, v[2:3] offset:264
.LBB972_82:
	s_or_b64 exec, exec, s[0:1]
	v_cmp_gt_u32_e32 vcc, 4, v0
	s_waitcnt lgkmcnt(0)
	s_barrier
	s_and_saveexec_b64 s[2:3], vcc
	s_cbranch_execz .LBB972_88
; %bb.83:
	v_lshlrev_b32_e32 v2, 4, v6
	ds_read_u8 v1, v2 offset:256
	ds_read_b64 v[2:3], v2 offset:264
	v_and_b32_e32 v8, 3, v6
	v_cmp_ne_u32_e32 vcc, 3, v8
	v_addc_co_u32_e32 v4, vcc, 0, v6, vcc
	s_waitcnt lgkmcnt(1)
	v_and_b32_e32 v7, 0xff, v1
	v_lshlrev_b32_e32 v5, 2, v4
	ds_bpermute_b32 v9, v5, v7
	s_waitcnt lgkmcnt(1)
	ds_bpermute_b32 v4, v5, v2
	ds_bpermute_b32 v5, v5, v3
	s_add_i32 s8, s8, 63
	s_lshr_b32 s10, s8, 6
	v_add_u32_e32 v10, 1, v8
	v_cmp_gt_u32_e32 vcc, s10, v10
	s_and_saveexec_b64 s[8:9], vcc
	s_cbranch_execz .LBB972_85
; %bb.84:
	s_waitcnt lgkmcnt(2)
	v_and_b32_e32 v10, 1, v9
	s_waitcnt lgkmcnt(0)
	v_cmp_lt_i64_e32 vcc, v[4:5], v[2:3]
	v_cmp_eq_u32_e64 s[0:1], 1, v10
	v_and_b32_e32 v7, 1, v1
	s_and_b64 vcc, s[0:1], vcc
	v_cndmask_b32_e64 v1, v1, 1, s[0:1]
	v_cndmask_b32_e32 v2, v2, v4, vcc
	v_cndmask_b32_e32 v3, v3, v5, vcc
	v_cmp_eq_u32_e32 vcc, 1, v7
	v_cndmask_b32_e32 v1, v9, v1, vcc
	v_cndmask_b32_e32 v3, v5, v3, vcc
	;; [unrolled: 1-line block ×3, first 2 shown]
	v_and_b32_e32 v7, 0xff, v1
.LBB972_85:
	s_or_b64 exec, exec, s[8:9]
	v_cmp_gt_u32_e32 vcc, 2, v8
	s_waitcnt lgkmcnt(1)
	v_cndmask_b32_e64 v4, 0, 1, vcc
	v_lshlrev_b32_e32 v4, 1, v4
	s_waitcnt lgkmcnt(0)
	v_add_lshl_u32 v5, v4, v6, 2
	ds_bpermute_b32 v6, v5, v7
	ds_bpermute_b32 v4, v5, v2
	;; [unrolled: 1-line block ×3, first 2 shown]
	v_add_u32_e32 v8, 2, v8
	v_cmp_gt_u32_e32 vcc, s10, v8
	s_and_saveexec_b64 s[8:9], vcc
	s_cbranch_execz .LBB972_87
; %bb.86:
	s_waitcnt lgkmcnt(2)
	v_and_b32_e32 v8, 1, v6
	s_waitcnt lgkmcnt(0)
	v_cmp_lt_i64_e32 vcc, v[4:5], v[2:3]
	v_cmp_eq_u32_e64 s[0:1], 1, v8
	v_and_b32_e32 v7, 1, v1
	s_and_b64 vcc, s[0:1], vcc
	v_cndmask_b32_e64 v1, v1, 1, s[0:1]
	v_cndmask_b32_e32 v2, v2, v4, vcc
	v_cndmask_b32_e32 v3, v3, v5, vcc
	v_cmp_eq_u32_e32 vcc, 1, v7
	v_cndmask_b32_e32 v1, v6, v1, vcc
	v_cndmask_b32_e32 v3, v5, v3, vcc
	v_cndmask_b32_e32 v2, v4, v2, vcc
	v_and_b32_e32 v7, 0xff, v1
.LBB972_87:
	s_or_b64 exec, exec, s[8:9]
.LBB972_88:
	s_or_b64 exec, exec, s[2:3]
.LBB972_89:
	v_cmp_eq_u32_e32 vcc, 0, v0
	s_mov_b64 s[10:11], 0
                                        ; implicit-def: $vgpr4_vgpr5
                                        ; implicit-def: $vgpr1
	s_and_saveexec_b64 s[0:1], vcc
	s_xor_b64 s[8:9], exec, s[0:1]
	s_cbranch_execz .LBB972_93
; %bb.90:
	s_cmp_eq_u64 s[22:23], 0
	s_waitcnt lgkmcnt(0)
	v_pk_mov_b32 v[4:5], s[18:19], s[18:19] op_sel:[0,1]
	v_mov_b32_e32 v1, s33
	s_cbranch_scc1 .LBB972_92
; %bb.91:
	v_and_b32_e32 v1, 1, v7
	s_bitcmp1_b32 s33, 0
	v_mov_b32_e32 v4, s33
	v_cmp_eq_u32_e32 vcc, 1, v1
	v_cmp_gt_i64_e64 s[2:3], s[18:19], v[2:3]
	v_cndmask_b32_e64 v1, v4, 1, vcc
	s_cselect_b64 s[0:1], -1, 0
	v_mov_b32_e32 v4, s18
	s_and_b64 vcc, vcc, s[2:3]
	v_mov_b32_e32 v5, s19
	v_cndmask_b32_e32 v4, v4, v2, vcc
	v_cndmask_b32_e32 v5, v5, v3, vcc
	v_cndmask_b32_e64 v1, v7, v1, s[0:1]
	v_cndmask_b32_e64 v5, v3, v5, s[0:1]
	v_cndmask_b32_e64 v4, v2, v4, s[0:1]
.LBB972_92:
	s_mov_b64 s[10:11], exec
.LBB972_93:
	s_or_b64 exec, exec, s[8:9]
	s_and_b64 vcc, exec, s[28:29]
	s_cbranch_vccnz .LBB972_24
.LBB972_94:
	s_branch .LBB972_208
.LBB972_95:
                                        ; implicit-def: $vgpr2_vgpr3
                                        ; implicit-def: $vgpr6
	s_cbranch_execz .LBB972_128
; %bb.96:
	s_sub_i32 s30, s22, s16
	s_waitcnt lgkmcnt(0)
	v_pk_mov_b32 v[4:5], 0, 0
	v_cmp_gt_u32_e32 vcc, s30, v0
	v_mov_b32_e32 v1, 0
	v_pk_mov_b32 v[2:3], v[4:5], v[4:5] op_sel:[0,1]
	v_mov_b32_e32 v10, 0
	s_and_saveexec_b64 s[0:1], vcc
	s_cbranch_execz .LBB972_98
; %bb.97:
	v_lshlrev_b32_e32 v2, 1, v0
	global_load_ushort v6, v2, s[12:13]
	global_load_ushort v7, v2, s[14:15]
	v_mov_b32_e32 v3, s29
	v_add_co_u32_e32 v2, vcc, s28, v0
	v_addc_co_u32_e32 v3, vcc, 0, v3, vcc
	s_waitcnt vmcnt(0)
	v_cmp_ne_u16_e32 vcc, v6, v7
	v_cndmask_b32_e64 v10, 0, 1, vcc
.LBB972_98:
	s_or_b64 exec, exec, s[0:1]
	v_or_b32_e32 v6, 0x100, v0
	v_cmp_gt_u32_e64 s[0:1], s30, v6
	s_and_saveexec_b64 s[2:3], s[0:1]
	s_cbranch_execz .LBB972_100
; %bb.99:
	v_lshlrev_b32_e32 v1, 1, v0
	global_load_ushort v7, v1, s[12:13] offset:512
	global_load_ushort v8, v1, s[14:15] offset:512
	v_mov_b32_e32 v1, s29
	v_add_co_u32_e32 v4, vcc, s28, v6
	v_addc_co_u32_e32 v5, vcc, 0, v1, vcc
	s_waitcnt vmcnt(0)
	v_cmp_ne_u16_e32 vcc, v7, v8
	v_cndmask_b32_e64 v1, 0, 1, vcc
.LBB972_100:
	s_or_b64 exec, exec, s[2:3]
	v_or_b32_e32 v13, 0x200, v0
	v_pk_mov_b32 v[6:7], 0, 0
	v_cmp_gt_u32_e32 vcc, s30, v13
	v_mov_b32_e32 v11, 0
	v_pk_mov_b32 v[8:9], v[6:7], v[6:7] op_sel:[0,1]
	v_mov_b32_e32 v12, 0
	s_and_saveexec_b64 s[8:9], vcc
	s_cbranch_execz .LBB972_102
; %bb.101:
	v_lshlrev_b32_e32 v8, 1, v0
	global_load_ushort v12, v8, s[12:13] offset:1024
	global_load_ushort v14, v8, s[14:15] offset:1024
	v_mov_b32_e32 v9, s29
	v_add_co_u32_e64 v8, s[2:3], s28, v13
	v_addc_co_u32_e64 v9, s[2:3], 0, v9, s[2:3]
	s_waitcnt vmcnt(0)
	v_cmp_ne_u16_e64 s[2:3], v12, v14
	v_cndmask_b32_e64 v12, 0, 1, s[2:3]
.LBB972_102:
	s_or_b64 exec, exec, s[8:9]
	v_or_b32_e32 v13, 0x300, v0
	v_cmp_gt_u32_e64 s[2:3], s30, v13
	s_and_saveexec_b64 s[16:17], s[2:3]
	s_cbranch_execnz .LBB972_247
; %bb.103:
	s_or_b64 exec, exec, s[16:17]
	s_and_saveexec_b64 s[12:13], s[0:1]
	s_cbranch_execnz .LBB972_248
.LBB972_104:
	s_or_b64 exec, exec, s[12:13]
	s_and_saveexec_b64 s[8:9], vcc
	s_cbranch_execnz .LBB972_249
.LBB972_105:
	s_or_b64 exec, exec, s[8:9]
	s_and_saveexec_b64 s[8:9], s[2:3]
	s_cbranch_execz .LBB972_107
.LBB972_106:
	v_and_b32_e32 v4, 1, v11
	v_cmp_lt_i64_e32 vcc, v[6:7], v[2:3]
	v_cmp_eq_u32_e64 s[0:1], 1, v4
	v_and_b32_e32 v1, 1, v10
	s_and_b64 vcc, s[0:1], vcc
	v_cndmask_b32_e64 v4, v10, 1, s[0:1]
	v_cndmask_b32_e32 v2, v2, v6, vcc
	v_cndmask_b32_e32 v3, v3, v7, vcc
	v_cmp_eq_u32_e32 vcc, 1, v1
	v_cndmask_b32_e32 v10, v11, v4, vcc
	v_cndmask_b32_e32 v3, v7, v3, vcc
	;; [unrolled: 1-line block ×3, first 2 shown]
.LBB972_107:
	s_or_b64 exec, exec, s[8:9]
	v_mbcnt_lo_u32_b32 v1, -1, 0
	v_mbcnt_hi_u32_b32 v1, -1, v1
	v_and_b32_e32 v7, 63, v1
	v_cmp_ne_u32_e32 vcc, 63, v7
	v_addc_co_u32_e32 v4, vcc, 0, v1, vcc
	v_and_b32_e32 v6, 0xffff, v10
	v_lshlrev_b32_e32 v5, 2, v4
	ds_bpermute_b32 v11, v5, v6
	ds_bpermute_b32 v4, v5, v2
	;; [unrolled: 1-line block ×3, first 2 shown]
	s_min_u32 s8, s30, 0x100
	v_and_b32_e32 v8, 0xc0, v0
	v_sub_u32_e64 v9, s8, v8 clamp
	v_add_u32_e32 v8, 1, v7
	v_cmp_lt_u32_e32 vcc, v8, v9
	v_mov_b32_e32 v8, v6
	s_and_saveexec_b64 s[0:1], vcc
	s_xor_b64 s[2:3], exec, s[0:1]
	s_cbranch_execz .LBB972_109
; %bb.108:
	v_and_b32_e32 v8, 1, v10
	s_waitcnt lgkmcnt(2)
	v_and_b32_e32 v10, 1, v11
	s_waitcnt lgkmcnt(0)
	v_cmp_lt_i64_e32 vcc, v[4:5], v[2:3]
	v_cmp_eq_u32_e64 s[0:1], 1, v10
	s_and_b64 vcc, s[0:1], vcc
	v_cndmask_b32_e64 v6, v6, 1, s[0:1]
	v_cndmask_b32_e32 v2, v2, v4, vcc
	v_cndmask_b32_e32 v3, v3, v5, vcc
	v_cmp_eq_u32_e32 vcc, 1, v8
	v_cndmask_b32_e32 v8, v11, v6, vcc
	v_cndmask_b32_e32 v3, v5, v3, vcc
	v_cndmask_b32_e32 v2, v4, v2, vcc
	v_and_b32_e32 v6, 0xff, v8
.LBB972_109:
	s_or_b64 exec, exec, s[2:3]
	v_cmp_gt_u32_e32 vcc, 62, v7
	s_waitcnt lgkmcnt(1)
	v_cndmask_b32_e64 v4, 0, 1, vcc
	v_lshlrev_b32_e32 v4, 1, v4
	s_waitcnt lgkmcnt(0)
	v_add_lshl_u32 v5, v4, v1, 2
	ds_bpermute_b32 v10, v5, v6
	ds_bpermute_b32 v4, v5, v2
	ds_bpermute_b32 v5, v5, v3
	v_add_u32_e32 v11, 2, v7
	v_cmp_lt_u32_e32 vcc, v11, v9
	s_and_saveexec_b64 s[2:3], vcc
	s_cbranch_execz .LBB972_111
; %bb.110:
	s_waitcnt lgkmcnt(2)
	v_and_b32_e32 v11, 1, v10
	s_waitcnt lgkmcnt(0)
	v_cmp_lt_i64_e32 vcc, v[4:5], v[2:3]
	v_cmp_eq_u32_e64 s[0:1], 1, v11
	v_and_b32_e32 v6, 1, v8
	s_and_b64 vcc, s[0:1], vcc
	v_cndmask_b32_e64 v8, v8, 1, s[0:1]
	v_cndmask_b32_e32 v2, v2, v4, vcc
	v_cndmask_b32_e32 v3, v3, v5, vcc
	v_cmp_eq_u32_e32 vcc, 1, v6
	v_cndmask_b32_e32 v8, v10, v8, vcc
	v_cndmask_b32_e32 v3, v5, v3, vcc
	v_cndmask_b32_e32 v2, v4, v2, vcc
	v_and_b32_e32 v6, 0xff, v8
.LBB972_111:
	s_or_b64 exec, exec, s[2:3]
	v_cmp_gt_u32_e32 vcc, 60, v7
	s_waitcnt lgkmcnt(1)
	v_cndmask_b32_e64 v4, 0, 1, vcc
	v_lshlrev_b32_e32 v4, 2, v4
	s_waitcnt lgkmcnt(0)
	v_add_lshl_u32 v5, v4, v1, 2
	ds_bpermute_b32 v10, v5, v6
	ds_bpermute_b32 v4, v5, v2
	ds_bpermute_b32 v5, v5, v3
	v_add_u32_e32 v11, 4, v7
	v_cmp_lt_u32_e32 vcc, v11, v9
	s_and_saveexec_b64 s[2:3], vcc
	s_cbranch_execz .LBB972_113
; %bb.112:
	s_waitcnt lgkmcnt(2)
	v_and_b32_e32 v11, 1, v10
	s_waitcnt lgkmcnt(0)
	v_cmp_lt_i64_e32 vcc, v[4:5], v[2:3]
	v_cmp_eq_u32_e64 s[0:1], 1, v11
	v_and_b32_e32 v6, 1, v8
	s_and_b64 vcc, s[0:1], vcc
	v_cndmask_b32_e64 v8, v8, 1, s[0:1]
	v_cndmask_b32_e32 v2, v2, v4, vcc
	v_cndmask_b32_e32 v3, v3, v5, vcc
	v_cmp_eq_u32_e32 vcc, 1, v6
	v_cndmask_b32_e32 v8, v10, v8, vcc
	v_cndmask_b32_e32 v3, v5, v3, vcc
	v_cndmask_b32_e32 v2, v4, v2, vcc
	v_and_b32_e32 v6, 0xff, v8
.LBB972_113:
	;; [unrolled: 31-line block ×5, first 2 shown]
	s_or_b64 exec, exec, s[2:3]
	v_cmp_eq_u32_e32 vcc, 0, v1
	s_and_saveexec_b64 s[0:1], vcc
	s_cbranch_execz .LBB972_121
; %bb.120:
	s_waitcnt lgkmcnt(1)
	v_lshrrev_b32_e32 v4, 2, v0
	v_and_b32_e32 v4, 48, v4
	ds_write_b8 v4, v8 offset:256
	ds_write_b64 v4, v[2:3] offset:264
.LBB972_121:
	s_or_b64 exec, exec, s[0:1]
	v_cmp_gt_u32_e32 vcc, 4, v0
	s_waitcnt lgkmcnt(0)
	s_barrier
	s_and_saveexec_b64 s[2:3], vcc
	s_cbranch_execz .LBB972_127
; %bb.122:
	v_lshlrev_b32_e32 v2, 4, v1
	ds_read_u8 v7, v2 offset:256
	ds_read_b64 v[2:3], v2 offset:264
	v_and_b32_e32 v8, 3, v1
	v_cmp_ne_u32_e32 vcc, 3, v8
	v_addc_co_u32_e32 v4, vcc, 0, v1, vcc
	s_waitcnt lgkmcnt(1)
	v_and_b32_e32 v6, 0xff, v7
	v_lshlrev_b32_e32 v5, 2, v4
	ds_bpermute_b32 v9, v5, v6
	s_waitcnt lgkmcnt(1)
	ds_bpermute_b32 v4, v5, v2
	ds_bpermute_b32 v5, v5, v3
	s_add_i32 s8, s8, 63
	s_lshr_b32 s12, s8, 6
	v_add_u32_e32 v10, 1, v8
	v_cmp_gt_u32_e32 vcc, s12, v10
	s_and_saveexec_b64 s[8:9], vcc
	s_cbranch_execz .LBB972_124
; %bb.123:
	s_waitcnt lgkmcnt(2)
	v_and_b32_e32 v10, 1, v9
	s_waitcnt lgkmcnt(0)
	v_cmp_lt_i64_e32 vcc, v[4:5], v[2:3]
	v_cmp_eq_u32_e64 s[0:1], 1, v10
	v_and_b32_e32 v6, 1, v7
	s_and_b64 vcc, s[0:1], vcc
	v_cndmask_b32_e64 v7, v7, 1, s[0:1]
	v_cndmask_b32_e32 v2, v2, v4, vcc
	v_cndmask_b32_e32 v3, v3, v5, vcc
	v_cmp_eq_u32_e32 vcc, 1, v6
	v_cndmask_b32_e32 v7, v9, v7, vcc
	v_cndmask_b32_e32 v3, v5, v3, vcc
	;; [unrolled: 1-line block ×3, first 2 shown]
	v_and_b32_e32 v6, 0xff, v7
.LBB972_124:
	s_or_b64 exec, exec, s[8:9]
	v_cmp_gt_u32_e32 vcc, 2, v8
	s_waitcnt lgkmcnt(1)
	v_cndmask_b32_e64 v4, 0, 1, vcc
	v_lshlrev_b32_e32 v4, 1, v4
	s_waitcnt lgkmcnt(0)
	v_add_lshl_u32 v5, v4, v1, 2
	ds_bpermute_b32 v1, v5, v6
	ds_bpermute_b32 v4, v5, v2
	ds_bpermute_b32 v5, v5, v3
	v_add_u32_e32 v8, 2, v8
	v_cmp_gt_u32_e32 vcc, s12, v8
	s_and_saveexec_b64 s[8:9], vcc
	s_cbranch_execz .LBB972_126
; %bb.125:
	s_waitcnt lgkmcnt(2)
	v_and_b32_e32 v8, 1, v1
	s_waitcnt lgkmcnt(0)
	v_cmp_lt_i64_e32 vcc, v[4:5], v[2:3]
	v_cmp_eq_u32_e64 s[0:1], 1, v8
	v_and_b32_e32 v6, 1, v7
	s_and_b64 vcc, s[0:1], vcc
	v_cndmask_b32_e64 v7, v7, 1, s[0:1]
	v_cndmask_b32_e32 v2, v2, v4, vcc
	v_cndmask_b32_e32 v3, v3, v5, vcc
	v_cmp_eq_u32_e32 vcc, 1, v6
	v_cndmask_b32_e32 v1, v1, v7, vcc
	v_cndmask_b32_e32 v3, v5, v3, vcc
	;; [unrolled: 1-line block ×3, first 2 shown]
	v_and_b32_e32 v6, 0xff, v1
.LBB972_126:
	s_or_b64 exec, exec, s[8:9]
.LBB972_127:
	s_or_b64 exec, exec, s[2:3]
.LBB972_128:
	v_cmp_eq_u32_e32 vcc, 0, v0
                                        ; implicit-def: $vgpr4_vgpr5
                                        ; implicit-def: $vgpr1
	s_and_saveexec_b64 s[0:1], vcc
	s_xor_b64 s[8:9], exec, s[0:1]
	s_cbranch_execz .LBB972_132
; %bb.129:
	s_cmp_eq_u64 s[22:23], 0
	s_waitcnt lgkmcnt(0)
	v_pk_mov_b32 v[4:5], s[18:19], s[18:19] op_sel:[0,1]
	v_mov_b32_e32 v1, s33
	s_cbranch_scc1 .LBB972_131
; %bb.130:
	v_and_b32_e32 v1, 1, v6
	s_bitcmp1_b32 s33, 0
	v_mov_b32_e32 v4, s33
	v_cmp_eq_u32_e32 vcc, 1, v1
	v_cmp_gt_i64_e64 s[2:3], s[18:19], v[2:3]
	v_cndmask_b32_e64 v1, v4, 1, vcc
	s_cselect_b64 s[0:1], -1, 0
	v_mov_b32_e32 v4, s18
	s_and_b64 vcc, vcc, s[2:3]
	v_mov_b32_e32 v5, s19
	v_cndmask_b32_e32 v4, v4, v2, vcc
	v_cndmask_b32_e32 v5, v5, v3, vcc
	v_cndmask_b32_e64 v1, v6, v1, s[0:1]
	v_cndmask_b32_e64 v5, v3, v5, s[0:1]
	;; [unrolled: 1-line block ×3, first 2 shown]
.LBB972_131:
	s_or_b64 s[10:11], s[10:11], exec
.LBB972_132:
	s_or_b64 exec, exec, s[8:9]
	s_branch .LBB972_208
.LBB972_133:
	s_cmp_gt_i32 s38, 1
	s_cbranch_scc0 .LBB972_153
; %bb.134:
	s_cmp_eq_u32 s38, 2
	s_cbranch_scc0 .LBB972_154
; %bb.135:
	s_mov_b32 s7, 0
	s_lshl_b32 s12, s6, 9
	s_mov_b32 s13, s7
	s_lshr_b64 s[0:1], s[22:23], 9
	s_lshl_b64 s[8:9], s[12:13], 1
	s_add_u32 s2, s24, s8
	s_addc_u32 s3, s25, s9
	s_add_u32 s8, s26, s8
	s_addc_u32 s9, s27, s9
	s_add_u32 s16, s20, s12
	s_addc_u32 s17, s21, 0
	s_cmp_lg_u64 s[0:1], s[6:7]
	s_cbranch_scc0 .LBB972_155
; %bb.136:
	s_waitcnt lgkmcnt(2)
	v_lshlrev_b32_e32 v1, 1, v0
	global_load_ushort v2, v1, s[8:9] offset:512
	global_load_ushort v3, v1, s[8:9]
	s_waitcnt lgkmcnt(1)
	global_load_ushort v4, v1, s[2:3] offset:512
	s_waitcnt lgkmcnt(0)
	global_load_ushort v5, v1, s[2:3]
	v_mov_b32_e32 v1, s17
	v_add_co_u32_e32 v6, vcc, s16, v0
	v_addc_co_u32_e32 v1, vcc, 0, v1, vcc
	v_add_co_u32_e32 v7, vcc, 0x100, v6
	v_addc_co_u32_e32 v8, vcc, 0, v1, vcc
	s_waitcnt vmcnt(1)
	v_cmp_ne_u16_e32 vcc, v4, v2
	s_waitcnt vmcnt(0)
	v_cmp_ne_u16_e64 s[0:1], v5, v3
	v_cndmask_b32_e64 v3, v8, v1, s[0:1]
	v_cndmask_b32_e64 v2, v7, v6, s[0:1]
	s_or_b64 s[0:1], s[0:1], vcc
	v_cndmask_b32_e64 v1, 0, 1, s[0:1]
	v_mov_b32_dpp v4, v2 quad_perm:[1,0,3,2] row_mask:0xf bank_mask:0xf bound_ctrl:1
	v_mov_b32_dpp v5, v3 quad_perm:[1,0,3,2] row_mask:0xf bank_mask:0xf bound_ctrl:1
	;; [unrolled: 1-line block ×3, first 2 shown]
	v_and_b32_e32 v7, 1, v6
	v_cmp_eq_u32_e32 vcc, 1, v7
	s_and_saveexec_b64 s[14:15], vcc
; %bb.137:
	v_cmp_lt_i64_e32 vcc, v[2:3], v[4:5]
	v_cndmask_b32_e64 v6, v6, 1, s[0:1]
	s_and_b64 vcc, s[0:1], vcc
	v_cndmask_b32_e32 v2, v4, v2, vcc
	v_and_b32_e32 v4, 1, v6
	v_cndmask_b32_e32 v3, v5, v3, vcc
	v_cmp_eq_u32_e32 vcc, 1, v4
	s_andn2_b64 s[0:1], s[0:1], exec
	s_and_b64 s[28:29], vcc, exec
	v_and_b32_e32 v1, 0xff, v6
	s_or_b64 s[0:1], s[0:1], s[28:29]
; %bb.138:
	s_or_b64 exec, exec, s[14:15]
	v_mov_b32_dpp v6, v1 quad_perm:[2,3,0,1] row_mask:0xf bank_mask:0xf bound_ctrl:1
	v_and_b32_e32 v7, 1, v6
	v_mov_b32_dpp v4, v2 quad_perm:[2,3,0,1] row_mask:0xf bank_mask:0xf bound_ctrl:1
	v_mov_b32_dpp v5, v3 quad_perm:[2,3,0,1] row_mask:0xf bank_mask:0xf bound_ctrl:1
	v_cmp_eq_u32_e32 vcc, 1, v7
	s_and_saveexec_b64 s[14:15], vcc
; %bb.139:
	v_cmp_lt_i64_e32 vcc, v[2:3], v[4:5]
	v_cndmask_b32_e64 v6, v6, 1, s[0:1]
	s_and_b64 vcc, s[0:1], vcc
	v_cndmask_b32_e32 v2, v4, v2, vcc
	v_and_b32_e32 v4, 1, v6
	v_cndmask_b32_e32 v3, v5, v3, vcc
	v_cmp_eq_u32_e32 vcc, 1, v4
	s_andn2_b64 s[0:1], s[0:1], exec
	s_and_b64 s[28:29], vcc, exec
	v_and_b32_e32 v1, 0xff, v6
	s_or_b64 s[0:1], s[0:1], s[28:29]
; %bb.140:
	s_or_b64 exec, exec, s[14:15]
	v_mov_b32_dpp v6, v1 row_ror:4 row_mask:0xf bank_mask:0xf bound_ctrl:1
	v_and_b32_e32 v7, 1, v6
	v_mov_b32_dpp v4, v2 row_ror:4 row_mask:0xf bank_mask:0xf bound_ctrl:1
	v_mov_b32_dpp v5, v3 row_ror:4 row_mask:0xf bank_mask:0xf bound_ctrl:1
	v_cmp_eq_u32_e32 vcc, 1, v7
	s_and_saveexec_b64 s[14:15], vcc
; %bb.141:
	v_cmp_lt_i64_e32 vcc, v[2:3], v[4:5]
	v_cndmask_b32_e64 v6, v6, 1, s[0:1]
	s_and_b64 vcc, s[0:1], vcc
	v_cndmask_b32_e32 v2, v4, v2, vcc
	v_and_b32_e32 v4, 1, v6
	v_cndmask_b32_e32 v3, v5, v3, vcc
	v_cmp_eq_u32_e32 vcc, 1, v4
	s_andn2_b64 s[0:1], s[0:1], exec
	s_and_b64 s[28:29], vcc, exec
	v_and_b32_e32 v1, 0xff, v6
	s_or_b64 s[0:1], s[0:1], s[28:29]
; %bb.142:
	s_or_b64 exec, exec, s[14:15]
	v_mov_b32_dpp v6, v1 row_ror:8 row_mask:0xf bank_mask:0xf bound_ctrl:1
	v_and_b32_e32 v7, 1, v6
	v_mov_b32_dpp v4, v2 row_ror:8 row_mask:0xf bank_mask:0xf bound_ctrl:1
	v_mov_b32_dpp v5, v3 row_ror:8 row_mask:0xf bank_mask:0xf bound_ctrl:1
	v_cmp_eq_u32_e32 vcc, 1, v7
	s_and_saveexec_b64 s[14:15], vcc
; %bb.143:
	v_cmp_lt_i64_e32 vcc, v[2:3], v[4:5]
	v_cndmask_b32_e64 v6, v6, 1, s[0:1]
	s_and_b64 vcc, s[0:1], vcc
	v_cndmask_b32_e32 v2, v4, v2, vcc
	v_and_b32_e32 v4, 1, v6
	v_cndmask_b32_e32 v3, v5, v3, vcc
	v_cmp_eq_u32_e32 vcc, 1, v4
	s_andn2_b64 s[0:1], s[0:1], exec
	s_and_b64 s[28:29], vcc, exec
	v_and_b32_e32 v1, 0xff, v6
	s_or_b64 s[0:1], s[0:1], s[28:29]
; %bb.144:
	s_or_b64 exec, exec, s[14:15]
	v_mov_b32_dpp v6, v1 row_bcast:15 row_mask:0xf bank_mask:0xf bound_ctrl:1
	v_and_b32_e32 v7, 1, v6
	v_mov_b32_dpp v4, v2 row_bcast:15 row_mask:0xf bank_mask:0xf bound_ctrl:1
	v_mov_b32_dpp v5, v3 row_bcast:15 row_mask:0xf bank_mask:0xf bound_ctrl:1
	v_cmp_eq_u32_e32 vcc, 1, v7
	s_and_saveexec_b64 s[14:15], vcc
; %bb.145:
	v_cmp_lt_i64_e32 vcc, v[2:3], v[4:5]
	v_cndmask_b32_e64 v6, v6, 1, s[0:1]
	s_and_b64 vcc, s[0:1], vcc
	v_cndmask_b32_e32 v2, v4, v2, vcc
	v_and_b32_e32 v4, 1, v6
	v_cndmask_b32_e32 v3, v5, v3, vcc
	v_cmp_eq_u32_e32 vcc, 1, v4
	s_andn2_b64 s[0:1], s[0:1], exec
	s_and_b64 s[28:29], vcc, exec
	v_and_b32_e32 v1, 0xff, v6
	s_or_b64 s[0:1], s[0:1], s[28:29]
; %bb.146:
	s_or_b64 exec, exec, s[14:15]
	v_mov_b32_dpp v6, v1 row_bcast:31 row_mask:0xf bank_mask:0xf bound_ctrl:1
	v_and_b32_e32 v7, 1, v6
	v_mov_b32_dpp v4, v2 row_bcast:31 row_mask:0xf bank_mask:0xf bound_ctrl:1
	v_mov_b32_dpp v5, v3 row_bcast:31 row_mask:0xf bank_mask:0xf bound_ctrl:1
	v_cmp_eq_u32_e32 vcc, 1, v7
	s_and_saveexec_b64 s[14:15], vcc
; %bb.147:
	v_cmp_lt_i64_e32 vcc, v[2:3], v[4:5]
	v_and_b32_e32 v1, 0xff, v6
	s_and_b64 vcc, s[0:1], vcc
	v_cndmask_b32_e32 v2, v4, v2, vcc
	v_cndmask_b32_e32 v3, v5, v3, vcc
	v_cndmask_b32_e64 v1, v1, 1, s[0:1]
; %bb.148:
	s_or_b64 exec, exec, s[14:15]
	v_mbcnt_lo_u32_b32 v4, -1, 0
	v_mbcnt_hi_u32_b32 v4, -1, v4
	v_bfrev_b32_e32 v5, 0.5
	v_lshl_or_b32 v5, v4, 2, v5
	ds_bpermute_b32 v6, v5, v1
	ds_bpermute_b32 v2, v5, v2
	;; [unrolled: 1-line block ×3, first 2 shown]
	v_cmp_eq_u32_e32 vcc, 0, v4
	s_and_saveexec_b64 s[0:1], vcc
	s_cbranch_execz .LBB972_150
; %bb.149:
	v_lshrrev_b32_e32 v1, 2, v0
	v_and_b32_e32 v1, 48, v1
	s_waitcnt lgkmcnt(2)
	ds_write_b8 v1, v6 offset:64
	s_waitcnt lgkmcnt(1)
	ds_write_b64 v1, v[2:3] offset:72
.LBB972_150:
	s_or_b64 exec, exec, s[0:1]
	v_cmp_gt_u32_e32 vcc, 64, v0
	s_waitcnt lgkmcnt(0)
	s_barrier
	s_and_saveexec_b64 s[14:15], vcc
	s_cbranch_execz .LBB972_152
; %bb.151:
	v_and_b32_e32 v1, 3, v4
	v_lshlrev_b32_e32 v2, 4, v1
	ds_read_u8 v5, v2 offset:64
	ds_read_b64 v[2:3], v2 offset:72
	v_cmp_ne_u32_e32 vcc, 3, v1
	v_addc_co_u32_e32 v6, vcc, 0, v4, vcc
	s_waitcnt lgkmcnt(1)
	v_and_b32_e32 v7, 0xff, v5
	v_lshlrev_b32_e32 v8, 2, v6
	ds_bpermute_b32 v9, v8, v7
	s_waitcnt lgkmcnt(1)
	ds_bpermute_b32 v6, v8, v2
	ds_bpermute_b32 v7, v8, v3
	v_and_b32_e32 v8, 1, v5
	s_waitcnt lgkmcnt(2)
	v_and_b32_e32 v10, 1, v9
	v_cmp_eq_u32_e64 s[0:1], 1, v10
	s_waitcnt lgkmcnt(0)
	v_cmp_lt_i64_e32 vcc, v[6:7], v[2:3]
	s_and_b64 vcc, s[0:1], vcc
	v_cndmask_b32_e64 v5, v5, 1, s[0:1]
	v_cndmask_b32_e32 v2, v2, v6, vcc
	v_cndmask_b32_e32 v3, v3, v7, vcc
	v_cmp_eq_u32_e32 vcc, 1, v8
	v_cndmask_b32_e32 v8, v9, v5, vcc
	v_cndmask_b32_e32 v3, v7, v3, vcc
	;; [unrolled: 1-line block ×3, first 2 shown]
	v_cmp_gt_u32_e32 vcc, 2, v1
	v_cndmask_b32_e64 v1, 0, 1, vcc
	v_lshlrev_b32_e32 v1, 1, v1
	v_and_b32_e32 v5, 0xff, v8
	v_add_lshl_u32 v1, v1, v4, 2
	ds_bpermute_b32 v6, v1, v5
	ds_bpermute_b32 v4, v1, v2
	;; [unrolled: 1-line block ×3, first 2 shown]
	v_and_b32_e32 v1, 1, v8
	s_waitcnt lgkmcnt(2)
	v_and_b32_e32 v7, 1, v6
	v_cmp_eq_u32_e64 s[0:1], 1, v7
	s_waitcnt lgkmcnt(0)
	v_cmp_lt_i64_e32 vcc, v[4:5], v[2:3]
	s_and_b64 vcc, s[0:1], vcc
	v_cndmask_b32_e64 v7, v8, 1, s[0:1]
	v_cndmask_b32_e32 v2, v2, v4, vcc
	v_cndmask_b32_e32 v3, v3, v5, vcc
	v_cmp_eq_u32_e32 vcc, 1, v1
	v_cndmask_b32_e32 v1, v6, v7, vcc
	v_cndmask_b32_e32 v3, v5, v3, vcc
	;; [unrolled: 1-line block ×3, first 2 shown]
	v_and_b32_e32 v6, 0xff, v1
.LBB972_152:
	s_or_b64 exec, exec, s[14:15]
	s_branch .LBB972_183
.LBB972_153:
                                        ; implicit-def: $vgpr4_vgpr5
                                        ; implicit-def: $vgpr1
	s_cbranch_execnz .LBB972_188
	s_branch .LBB972_208
.LBB972_154:
                                        ; implicit-def: $vgpr4_vgpr5
                                        ; implicit-def: $vgpr1
	s_branch .LBB972_208
.LBB972_155:
                                        ; implicit-def: $vgpr2_vgpr3
                                        ; implicit-def: $vgpr6
	s_cbranch_execz .LBB972_183
; %bb.156:
	s_sub_i32 s14, s22, s12
	s_waitcnt lgkmcnt(0)
	v_pk_mov_b32 v[4:5], 0, 0
	v_cmp_gt_u32_e32 vcc, s14, v0
	v_mov_b32_e32 v1, 0
	v_pk_mov_b32 v[2:3], v[4:5], v[4:5] op_sel:[0,1]
	v_mov_b32_e32 v7, 0
	s_and_saveexec_b64 s[0:1], vcc
	s_cbranch_execz .LBB972_158
; %bb.157:
	v_lshlrev_b32_e32 v2, 1, v0
	global_load_ushort v6, v2, s[2:3]
	global_load_ushort v7, v2, s[8:9]
	v_mov_b32_e32 v3, s17
	v_add_co_u32_e32 v2, vcc, s16, v0
	v_addc_co_u32_e32 v3, vcc, 0, v3, vcc
	s_waitcnt vmcnt(0)
	v_cmp_ne_u16_e32 vcc, v6, v7
	v_cndmask_b32_e64 v7, 0, 1, vcc
.LBB972_158:
	s_or_b64 exec, exec, s[0:1]
	v_or_b32_e32 v6, 0x100, v0
	v_cmp_gt_u32_e32 vcc, s14, v6
	s_and_saveexec_b64 s[12:13], vcc
	s_cbranch_execz .LBB972_160
; %bb.159:
	v_lshlrev_b32_e32 v1, 1, v0
	global_load_ushort v8, v1, s[2:3] offset:512
	global_load_ushort v9, v1, s[8:9] offset:512
	v_mov_b32_e32 v1, s17
	v_add_co_u32_e64 v4, s[0:1], s16, v6
	v_addc_co_u32_e64 v5, s[0:1], 0, v1, s[0:1]
	s_waitcnt vmcnt(0)
	v_cmp_ne_u16_e64 s[0:1], v8, v9
	v_cndmask_b32_e64 v1, 0, 1, s[0:1]
.LBB972_160:
	s_or_b64 exec, exec, s[12:13]
	s_and_saveexec_b64 s[2:3], vcc
	s_cbranch_execz .LBB972_162
; %bb.161:
	v_and_b32_e32 v8, 1, v1
	v_cmp_lt_i64_e32 vcc, v[4:5], v[2:3]
	v_cmp_eq_u32_e64 s[0:1], 1, v8
	v_and_b32_e32 v6, 1, v7
	s_and_b64 vcc, s[0:1], vcc
	v_cndmask_b32_e64 v7, v7, 1, s[0:1]
	v_cndmask_b32_e32 v2, v2, v4, vcc
	v_cndmask_b32_e32 v3, v3, v5, vcc
	v_cmp_eq_u32_e32 vcc, 1, v6
	v_cndmask_b32_e32 v7, v1, v7, vcc
	v_cndmask_b32_e32 v3, v5, v3, vcc
	;; [unrolled: 1-line block ×3, first 2 shown]
.LBB972_162:
	s_or_b64 exec, exec, s[2:3]
	v_mbcnt_lo_u32_b32 v1, -1, 0
	v_mbcnt_hi_u32_b32 v1, -1, v1
	v_and_b32_e32 v8, 63, v1
	v_cmp_ne_u32_e32 vcc, 63, v8
	v_addc_co_u32_e32 v4, vcc, 0, v1, vcc
	v_and_b32_e32 v6, 0xffff, v7
	v_lshlrev_b32_e32 v5, 2, v4
	ds_bpermute_b32 v10, v5, v6
	ds_bpermute_b32 v4, v5, v2
	ds_bpermute_b32 v5, v5, v3
	s_min_u32 s8, s14, 0x100
	v_and_b32_e32 v9, 0xc0, v0
	v_sub_u32_e64 v9, s8, v9 clamp
	v_add_u32_e32 v11, 1, v8
	v_cmp_lt_u32_e32 vcc, v11, v9
	s_and_saveexec_b64 s[2:3], vcc
	s_cbranch_execz .LBB972_164
; %bb.163:
	s_waitcnt lgkmcnt(2)
	v_and_b32_e32 v11, 1, v10
	s_waitcnt lgkmcnt(0)
	v_cmp_lt_i64_e32 vcc, v[4:5], v[2:3]
	v_cmp_eq_u32_e64 s[0:1], 1, v11
	v_and_b32_e32 v6, 1, v7
	s_and_b64 vcc, s[0:1], vcc
	v_cndmask_b32_e64 v7, v7, 1, s[0:1]
	v_cndmask_b32_e32 v2, v2, v4, vcc
	v_cndmask_b32_e32 v3, v3, v5, vcc
	v_cmp_eq_u32_e32 vcc, 1, v6
	v_cndmask_b32_e32 v7, v10, v7, vcc
	v_cndmask_b32_e32 v3, v5, v3, vcc
	v_cndmask_b32_e32 v2, v4, v2, vcc
	v_and_b32_e32 v6, 0xff, v7
.LBB972_164:
	s_or_b64 exec, exec, s[2:3]
	v_cmp_gt_u32_e32 vcc, 62, v8
	s_waitcnt lgkmcnt(1)
	v_cndmask_b32_e64 v4, 0, 1, vcc
	v_lshlrev_b32_e32 v4, 1, v4
	s_waitcnt lgkmcnt(0)
	v_add_lshl_u32 v5, v4, v1, 2
	ds_bpermute_b32 v10, v5, v6
	ds_bpermute_b32 v4, v5, v2
	ds_bpermute_b32 v5, v5, v3
	v_add_u32_e32 v11, 2, v8
	v_cmp_lt_u32_e32 vcc, v11, v9
	s_and_saveexec_b64 s[2:3], vcc
	s_cbranch_execz .LBB972_166
; %bb.165:
	s_waitcnt lgkmcnt(2)
	v_and_b32_e32 v11, 1, v10
	s_waitcnt lgkmcnt(0)
	v_cmp_lt_i64_e32 vcc, v[4:5], v[2:3]
	v_cmp_eq_u32_e64 s[0:1], 1, v11
	v_and_b32_e32 v6, 1, v7
	s_and_b64 vcc, s[0:1], vcc
	v_cndmask_b32_e64 v7, v7, 1, s[0:1]
	v_cndmask_b32_e32 v2, v2, v4, vcc
	v_cndmask_b32_e32 v3, v3, v5, vcc
	v_cmp_eq_u32_e32 vcc, 1, v6
	v_cndmask_b32_e32 v7, v10, v7, vcc
	v_cndmask_b32_e32 v3, v5, v3, vcc
	v_cndmask_b32_e32 v2, v4, v2, vcc
	v_and_b32_e32 v6, 0xff, v7
.LBB972_166:
	s_or_b64 exec, exec, s[2:3]
	v_cmp_gt_u32_e32 vcc, 60, v8
	s_waitcnt lgkmcnt(1)
	v_cndmask_b32_e64 v4, 0, 1, vcc
	v_lshlrev_b32_e32 v4, 2, v4
	s_waitcnt lgkmcnt(0)
	v_add_lshl_u32 v5, v4, v1, 2
	ds_bpermute_b32 v10, v5, v6
	ds_bpermute_b32 v4, v5, v2
	ds_bpermute_b32 v5, v5, v3
	;; [unrolled: 31-line block ×5, first 2 shown]
	v_add_u32_e32 v8, 32, v8
	v_cmp_lt_u32_e32 vcc, v8, v9
	s_and_saveexec_b64 s[2:3], vcc
	s_cbranch_execz .LBB972_174
; %bb.173:
	s_waitcnt lgkmcnt(2)
	v_and_b32_e32 v8, 1, v10
	s_waitcnt lgkmcnt(0)
	v_cmp_lt_i64_e32 vcc, v[4:5], v[2:3]
	v_cmp_eq_u32_e64 s[0:1], 1, v8
	v_and_b32_e32 v6, 1, v7
	s_and_b64 vcc, s[0:1], vcc
	v_cndmask_b32_e64 v7, v7, 1, s[0:1]
	v_cndmask_b32_e32 v2, v2, v4, vcc
	v_cndmask_b32_e32 v3, v3, v5, vcc
	v_cmp_eq_u32_e32 vcc, 1, v6
	v_cndmask_b32_e32 v7, v10, v7, vcc
	v_cndmask_b32_e32 v3, v5, v3, vcc
	;; [unrolled: 1-line block ×3, first 2 shown]
	v_and_b32_e32 v6, 0xff, v7
.LBB972_174:
	s_or_b64 exec, exec, s[2:3]
	v_cmp_eq_u32_e32 vcc, 0, v1
	s_and_saveexec_b64 s[0:1], vcc
	s_cbranch_execz .LBB972_176
; %bb.175:
	s_waitcnt lgkmcnt(1)
	v_lshrrev_b32_e32 v4, 2, v0
	v_and_b32_e32 v4, 48, v4
	ds_write_b8 v4, v7 offset:256
	ds_write_b64 v4, v[2:3] offset:264
.LBB972_176:
	s_or_b64 exec, exec, s[0:1]
	v_cmp_gt_u32_e32 vcc, 4, v0
	s_waitcnt lgkmcnt(0)
	s_barrier
	s_and_saveexec_b64 s[2:3], vcc
	s_cbranch_execz .LBB972_182
; %bb.177:
	v_lshlrev_b32_e32 v2, 4, v1
	ds_read_u8 v7, v2 offset:256
	ds_read_b64 v[2:3], v2 offset:264
	v_and_b32_e32 v8, 3, v1
	v_cmp_ne_u32_e32 vcc, 3, v8
	v_addc_co_u32_e32 v4, vcc, 0, v1, vcc
	s_waitcnt lgkmcnt(1)
	v_and_b32_e32 v6, 0xff, v7
	v_lshlrev_b32_e32 v5, 2, v4
	ds_bpermute_b32 v9, v5, v6
	s_waitcnt lgkmcnt(1)
	ds_bpermute_b32 v4, v5, v2
	ds_bpermute_b32 v5, v5, v3
	s_add_i32 s8, s8, 63
	s_lshr_b32 s12, s8, 6
	v_add_u32_e32 v10, 1, v8
	v_cmp_gt_u32_e32 vcc, s12, v10
	s_and_saveexec_b64 s[8:9], vcc
	s_cbranch_execz .LBB972_179
; %bb.178:
	s_waitcnt lgkmcnt(2)
	v_and_b32_e32 v10, 1, v9
	s_waitcnt lgkmcnt(0)
	v_cmp_lt_i64_e32 vcc, v[4:5], v[2:3]
	v_cmp_eq_u32_e64 s[0:1], 1, v10
	v_and_b32_e32 v6, 1, v7
	s_and_b64 vcc, s[0:1], vcc
	v_cndmask_b32_e64 v7, v7, 1, s[0:1]
	v_cndmask_b32_e32 v2, v2, v4, vcc
	v_cndmask_b32_e32 v3, v3, v5, vcc
	v_cmp_eq_u32_e32 vcc, 1, v6
	v_cndmask_b32_e32 v7, v9, v7, vcc
	v_cndmask_b32_e32 v3, v5, v3, vcc
	;; [unrolled: 1-line block ×3, first 2 shown]
	v_and_b32_e32 v6, 0xff, v7
.LBB972_179:
	s_or_b64 exec, exec, s[8:9]
	v_cmp_gt_u32_e32 vcc, 2, v8
	s_waitcnt lgkmcnt(1)
	v_cndmask_b32_e64 v4, 0, 1, vcc
	v_lshlrev_b32_e32 v4, 1, v4
	s_waitcnt lgkmcnt(0)
	v_add_lshl_u32 v5, v4, v1, 2
	ds_bpermute_b32 v1, v5, v6
	ds_bpermute_b32 v4, v5, v2
	ds_bpermute_b32 v5, v5, v3
	v_add_u32_e32 v8, 2, v8
	v_cmp_gt_u32_e32 vcc, s12, v8
	s_and_saveexec_b64 s[8:9], vcc
	s_cbranch_execz .LBB972_181
; %bb.180:
	s_waitcnt lgkmcnt(2)
	v_and_b32_e32 v8, 1, v1
	s_waitcnt lgkmcnt(0)
	v_cmp_lt_i64_e32 vcc, v[4:5], v[2:3]
	v_cmp_eq_u32_e64 s[0:1], 1, v8
	v_and_b32_e32 v6, 1, v7
	s_and_b64 vcc, s[0:1], vcc
	v_cndmask_b32_e64 v7, v7, 1, s[0:1]
	v_cndmask_b32_e32 v2, v2, v4, vcc
	v_cndmask_b32_e32 v3, v3, v5, vcc
	v_cmp_eq_u32_e32 vcc, 1, v6
	v_cndmask_b32_e32 v1, v1, v7, vcc
	v_cndmask_b32_e32 v3, v5, v3, vcc
	;; [unrolled: 1-line block ×3, first 2 shown]
	v_and_b32_e32 v6, 0xff, v1
.LBB972_181:
	s_or_b64 exec, exec, s[8:9]
.LBB972_182:
	s_or_b64 exec, exec, s[2:3]
.LBB972_183:
	v_cmp_eq_u32_e32 vcc, 0, v0
                                        ; implicit-def: $vgpr4_vgpr5
                                        ; implicit-def: $vgpr1
	s_and_saveexec_b64 s[0:1], vcc
	s_xor_b64 s[8:9], exec, s[0:1]
	s_cbranch_execz .LBB972_187
; %bb.184:
	s_cmp_eq_u64 s[22:23], 0
	s_waitcnt lgkmcnt(0)
	v_pk_mov_b32 v[4:5], s[18:19], s[18:19] op_sel:[0,1]
	v_mov_b32_e32 v1, s33
	s_cbranch_scc1 .LBB972_186
; %bb.185:
	v_and_b32_e32 v1, 1, v6
	s_bitcmp1_b32 s33, 0
	v_mov_b32_e32 v4, s33
	v_cmp_eq_u32_e32 vcc, 1, v1
	v_cmp_gt_i64_e64 s[2:3], s[18:19], v[2:3]
	v_cndmask_b32_e64 v1, v4, 1, vcc
	s_cselect_b64 s[0:1], -1, 0
	v_mov_b32_e32 v4, s18
	s_and_b64 vcc, vcc, s[2:3]
	v_mov_b32_e32 v5, s19
	v_cndmask_b32_e32 v4, v4, v2, vcc
	v_cndmask_b32_e32 v5, v5, v3, vcc
	v_cndmask_b32_e64 v1, v6, v1, s[0:1]
	v_cndmask_b32_e64 v5, v3, v5, s[0:1]
	;; [unrolled: 1-line block ×3, first 2 shown]
.LBB972_186:
	s_or_b64 s[10:11], s[10:11], exec
.LBB972_187:
	s_or_b64 exec, exec, s[8:9]
	s_branch .LBB972_208
.LBB972_188:
	s_cmp_eq_u32 s38, 1
	s_cbranch_scc0 .LBB972_207
; %bb.189:
	s_mov_b32 s3, 0
	s_lshl_b32 s2, s6, 8
	s_mov_b32 s7, s3
	s_lshr_b64 s[0:1], s[22:23], 8
	s_cmp_lg_u64 s[0:1], s[6:7]
	s_cbranch_scc0 .LBB972_211
; %bb.190:
	s_lshl_b64 s[0:1], s[2:3], 1
	s_add_u32 s8, s24, s0
	s_addc_u32 s9, s25, s1
	s_add_u32 s0, s26, s0
	s_waitcnt lgkmcnt(2)
	v_lshlrev_b32_e32 v1, 1, v0
	s_addc_u32 s1, s27, s1
	s_waitcnt lgkmcnt(0)
	global_load_ushort v5, v1, s[8:9]
	global_load_ushort v6, v1, s[0:1]
	s_add_u32 s0, s20, s2
	s_addc_u32 s1, s21, 0
	v_mov_b32_e32 v1, s1
	v_add_co_u32_e32 v2, vcc, s0, v0
	v_addc_co_u32_e32 v3, vcc, 0, v1, vcc
	s_nop 0
	v_mov_b32_dpp v4, v2 quad_perm:[1,0,3,2] row_mask:0xf bank_mask:0xf bound_ctrl:1
	s_waitcnt vmcnt(0)
	v_cmp_ne_u16_e32 vcc, v5, v6
	v_cndmask_b32_e64 v1, 0, 1, vcc
	v_cndmask_b32_e64 v6, 0, 1, vcc
	v_mov_b32_dpp v5, v3 quad_perm:[1,0,3,2] row_mask:0xf bank_mask:0xf bound_ctrl:1
	v_mov_b32_dpp v1, v1 quad_perm:[1,0,3,2] row_mask:0xf bank_mask:0xf bound_ctrl:1
	v_and_b32_e32 v7, 1, v1
	v_cmp_eq_u32_e64 s[0:1], 1, v7
	s_and_saveexec_b64 s[8:9], s[0:1]
; %bb.191:
	v_cmp_lt_i64_e64 s[0:1], v[2:3], v[4:5]
	v_cndmask_b32_e64 v6, v1, 1, vcc
	s_and_b64 vcc, vcc, s[0:1]
	v_cndmask_b32_e32 v3, v5, v3, vcc
	v_cndmask_b32_e32 v2, v4, v2, vcc
; %bb.192:
	s_or_b64 exec, exec, s[8:9]
	v_and_b32_e32 v1, 0xff, v6
	v_and_b32_e32 v6, 1, v6
	v_mov_b32_dpp v4, v2 quad_perm:[2,3,0,1] row_mask:0xf bank_mask:0xf bound_ctrl:1
	v_mov_b32_dpp v7, v1 quad_perm:[2,3,0,1] row_mask:0xf bank_mask:0xf bound_ctrl:1
	v_and_b32_e32 v8, 1, v7
	v_mov_b32_dpp v5, v3 quad_perm:[2,3,0,1] row_mask:0xf bank_mask:0xf bound_ctrl:1
	v_cmp_eq_u32_e32 vcc, 1, v8
	v_cmp_eq_u32_e64 s[0:1], 1, v6
	s_and_saveexec_b64 s[8:9], vcc
; %bb.193:
	v_cmp_lt_i64_e32 vcc, v[2:3], v[4:5]
	v_cndmask_b32_e64 v6, v7, 1, s[0:1]
	s_and_b64 vcc, s[0:1], vcc
	v_cndmask_b32_e32 v2, v4, v2, vcc
	v_and_b32_e32 v4, 1, v6
	v_cndmask_b32_e32 v3, v5, v3, vcc
	v_cmp_eq_u32_e32 vcc, 1, v4
	s_andn2_b64 s[0:1], s[0:1], exec
	s_and_b64 s[12:13], vcc, exec
	v_and_b32_e32 v1, 0xff, v6
	s_or_b64 s[0:1], s[0:1], s[12:13]
; %bb.194:
	s_or_b64 exec, exec, s[8:9]
	v_mov_b32_dpp v6, v1 row_ror:4 row_mask:0xf bank_mask:0xf bound_ctrl:1
	v_and_b32_e32 v7, 1, v6
	v_mov_b32_dpp v4, v2 row_ror:4 row_mask:0xf bank_mask:0xf bound_ctrl:1
	v_mov_b32_dpp v5, v3 row_ror:4 row_mask:0xf bank_mask:0xf bound_ctrl:1
	v_cmp_eq_u32_e32 vcc, 1, v7
	s_and_saveexec_b64 s[8:9], vcc
; %bb.195:
	v_cmp_lt_i64_e32 vcc, v[2:3], v[4:5]
	v_cndmask_b32_e64 v6, v6, 1, s[0:1]
	s_and_b64 vcc, s[0:1], vcc
	v_cndmask_b32_e32 v2, v4, v2, vcc
	v_and_b32_e32 v4, 1, v6
	v_cndmask_b32_e32 v3, v5, v3, vcc
	v_cmp_eq_u32_e32 vcc, 1, v4
	s_andn2_b64 s[0:1], s[0:1], exec
	s_and_b64 s[12:13], vcc, exec
	v_and_b32_e32 v1, 0xff, v6
	s_or_b64 s[0:1], s[0:1], s[12:13]
; %bb.196:
	s_or_b64 exec, exec, s[8:9]
	v_mov_b32_dpp v6, v1 row_ror:8 row_mask:0xf bank_mask:0xf bound_ctrl:1
	v_and_b32_e32 v7, 1, v6
	v_mov_b32_dpp v4, v2 row_ror:8 row_mask:0xf bank_mask:0xf bound_ctrl:1
	v_mov_b32_dpp v5, v3 row_ror:8 row_mask:0xf bank_mask:0xf bound_ctrl:1
	v_cmp_eq_u32_e32 vcc, 1, v7
	s_and_saveexec_b64 s[8:9], vcc
; %bb.197:
	v_cmp_lt_i64_e32 vcc, v[2:3], v[4:5]
	v_cndmask_b32_e64 v6, v6, 1, s[0:1]
	s_and_b64 vcc, s[0:1], vcc
	v_cndmask_b32_e32 v2, v4, v2, vcc
	v_and_b32_e32 v4, 1, v6
	v_cndmask_b32_e32 v3, v5, v3, vcc
	v_cmp_eq_u32_e32 vcc, 1, v4
	s_andn2_b64 s[0:1], s[0:1], exec
	s_and_b64 s[12:13], vcc, exec
	v_and_b32_e32 v1, 0xff, v6
	s_or_b64 s[0:1], s[0:1], s[12:13]
; %bb.198:
	s_or_b64 exec, exec, s[8:9]
	v_mov_b32_dpp v6, v1 row_bcast:15 row_mask:0xf bank_mask:0xf bound_ctrl:1
	v_and_b32_e32 v7, 1, v6
	v_mov_b32_dpp v4, v2 row_bcast:15 row_mask:0xf bank_mask:0xf bound_ctrl:1
	v_mov_b32_dpp v5, v3 row_bcast:15 row_mask:0xf bank_mask:0xf bound_ctrl:1
	v_cmp_eq_u32_e32 vcc, 1, v7
	s_and_saveexec_b64 s[8:9], vcc
; %bb.199:
	v_cmp_lt_i64_e32 vcc, v[2:3], v[4:5]
	v_cndmask_b32_e64 v6, v6, 1, s[0:1]
	s_and_b64 vcc, s[0:1], vcc
	v_cndmask_b32_e32 v2, v4, v2, vcc
	v_and_b32_e32 v4, 1, v6
	v_cndmask_b32_e32 v3, v5, v3, vcc
	v_cmp_eq_u32_e32 vcc, 1, v4
	s_andn2_b64 s[0:1], s[0:1], exec
	s_and_b64 s[12:13], vcc, exec
	v_and_b32_e32 v1, 0xff, v6
	s_or_b64 s[0:1], s[0:1], s[12:13]
; %bb.200:
	s_or_b64 exec, exec, s[8:9]
	v_mov_b32_dpp v6, v1 row_bcast:31 row_mask:0xf bank_mask:0xf bound_ctrl:1
	v_and_b32_e32 v7, 1, v6
	v_mov_b32_dpp v4, v2 row_bcast:31 row_mask:0xf bank_mask:0xf bound_ctrl:1
	v_mov_b32_dpp v5, v3 row_bcast:31 row_mask:0xf bank_mask:0xf bound_ctrl:1
	v_cmp_eq_u32_e32 vcc, 1, v7
	s_and_saveexec_b64 s[8:9], vcc
; %bb.201:
	v_cmp_lt_i64_e32 vcc, v[2:3], v[4:5]
	v_and_b32_e32 v1, 0xff, v6
	s_and_b64 vcc, s[0:1], vcc
	v_cndmask_b32_e32 v2, v4, v2, vcc
	v_cndmask_b32_e32 v3, v5, v3, vcc
	v_cndmask_b32_e64 v1, v1, 1, s[0:1]
; %bb.202:
	s_or_b64 exec, exec, s[8:9]
	v_mbcnt_lo_u32_b32 v4, -1, 0
	v_mbcnt_hi_u32_b32 v4, -1, v4
	v_bfrev_b32_e32 v5, 0.5
	v_lshl_or_b32 v5, v4, 2, v5
	ds_bpermute_b32 v6, v5, v1
	ds_bpermute_b32 v2, v5, v2
	;; [unrolled: 1-line block ×3, first 2 shown]
	v_cmp_eq_u32_e32 vcc, 0, v4
	s_and_saveexec_b64 s[0:1], vcc
	s_cbranch_execz .LBB972_204
; %bb.203:
	v_lshrrev_b32_e32 v1, 2, v0
	v_and_b32_e32 v1, 48, v1
	s_waitcnt lgkmcnt(2)
	ds_write_b8 v1, v6
	s_waitcnt lgkmcnt(1)
	ds_write_b64 v1, v[2:3] offset:8
.LBB972_204:
	s_or_b64 exec, exec, s[0:1]
	v_cmp_gt_u32_e32 vcc, 64, v0
	s_waitcnt lgkmcnt(0)
	s_barrier
	s_and_saveexec_b64 s[8:9], vcc
	s_cbranch_execz .LBB972_206
; %bb.205:
	v_and_b32_e32 v1, 3, v4
	v_lshlrev_b32_e32 v2, 4, v1
	ds_read_u8 v5, v2
	ds_read_b64 v[2:3], v2 offset:8
	v_cmp_ne_u32_e32 vcc, 3, v1
	v_addc_co_u32_e32 v6, vcc, 0, v4, vcc
	s_waitcnt lgkmcnt(1)
	v_and_b32_e32 v7, 0xff, v5
	v_lshlrev_b32_e32 v8, 2, v6
	ds_bpermute_b32 v9, v8, v7
	s_waitcnt lgkmcnt(1)
	ds_bpermute_b32 v6, v8, v2
	ds_bpermute_b32 v7, v8, v3
	v_and_b32_e32 v8, 1, v5
	s_waitcnt lgkmcnt(2)
	v_and_b32_e32 v10, 1, v9
	v_cmp_eq_u32_e64 s[0:1], 1, v10
	s_waitcnt lgkmcnt(0)
	v_cmp_lt_i64_e32 vcc, v[6:7], v[2:3]
	s_and_b64 vcc, s[0:1], vcc
	v_cndmask_b32_e64 v5, v5, 1, s[0:1]
	v_cndmask_b32_e32 v2, v2, v6, vcc
	v_cndmask_b32_e32 v3, v3, v7, vcc
	v_cmp_eq_u32_e32 vcc, 1, v8
	v_cndmask_b32_e32 v8, v9, v5, vcc
	v_cndmask_b32_e32 v3, v7, v3, vcc
	;; [unrolled: 1-line block ×3, first 2 shown]
	v_cmp_gt_u32_e32 vcc, 2, v1
	v_cndmask_b32_e64 v1, 0, 1, vcc
	v_lshlrev_b32_e32 v1, 1, v1
	v_and_b32_e32 v5, 0xff, v8
	v_add_lshl_u32 v1, v1, v4, 2
	ds_bpermute_b32 v6, v1, v5
	ds_bpermute_b32 v4, v1, v2
	;; [unrolled: 1-line block ×3, first 2 shown]
	v_and_b32_e32 v1, 1, v8
	s_waitcnt lgkmcnt(2)
	v_and_b32_e32 v7, 1, v6
	v_cmp_eq_u32_e64 s[0:1], 1, v7
	s_waitcnt lgkmcnt(0)
	v_cmp_lt_i64_e32 vcc, v[4:5], v[2:3]
	s_and_b64 vcc, s[0:1], vcc
	v_cndmask_b32_e64 v7, v8, 1, s[0:1]
	v_cndmask_b32_e32 v2, v2, v4, vcc
	v_cndmask_b32_e32 v3, v3, v5, vcc
	v_cmp_eq_u32_e32 vcc, 1, v1
	v_cndmask_b32_e32 v1, v6, v7, vcc
	v_cndmask_b32_e32 v3, v5, v3, vcc
	;; [unrolled: 1-line block ×3, first 2 shown]
	v_and_b32_e32 v6, 0xff, v1
.LBB972_206:
	s_or_b64 exec, exec, s[8:9]
	s_branch .LBB972_235
.LBB972_207:
                                        ; implicit-def: $vgpr4_vgpr5
                                        ; implicit-def: $vgpr1
                                        ; implicit-def: $sgpr6_sgpr7
.LBB972_208:
	s_and_saveexec_b64 s[0:1], s[10:11]
	s_cbranch_execz .LBB972_210
.LBB972_209:
	s_load_dwordx2 s[0:1], s[4:5], 0x38
	s_lshl_b64 s[2:3], s[6:7], 4
	v_mov_b32_e32 v0, 0
	s_waitcnt lgkmcnt(0)
	s_add_u32 s0, s0, s2
	s_addc_u32 s1, s1, s3
	global_store_byte v0, v1, s[0:1]
	global_store_dwordx2 v0, v[4:5], s[0:1] offset:8
.LBB972_210:
	s_endpgm
.LBB972_211:
                                        ; implicit-def: $vgpr2_vgpr3
                                        ; implicit-def: $vgpr6
	s_cbranch_execz .LBB972_235
; %bb.212:
	s_sub_i32 s8, s22, s2
	v_cmp_gt_u32_e32 vcc, s8, v0
	v_pk_mov_b32 v[2:3], 0, 0
	v_mov_b32_e32 v7, 0
	s_and_saveexec_b64 s[0:1], vcc
	s_cbranch_execz .LBB972_214
; %bb.213:
	s_lshl_b64 s[12:13], s[2:3], 1
	s_add_u32 s14, s26, s12
	s_addc_u32 s15, s27, s13
	s_add_u32 s12, s24, s12
	s_addc_u32 s13, s25, s13
	s_waitcnt lgkmcnt(2)
	v_lshlrev_b32_e32 v1, 1, v0
	s_waitcnt lgkmcnt(1)
	global_load_ushort v4, v1, s[12:13]
	s_waitcnt lgkmcnt(0)
	global_load_ushort v5, v1, s[14:15]
	s_add_u32 s2, s20, s2
	s_addc_u32 s3, s21, 0
	v_mov_b32_e32 v1, s3
	v_add_co_u32_e32 v2, vcc, s2, v0
	v_addc_co_u32_e32 v3, vcc, 0, v1, vcc
	s_waitcnt vmcnt(0)
	v_cmp_ne_u16_e32 vcc, v4, v5
	v_cndmask_b32_e64 v7, 0, 1, vcc
.LBB972_214:
	s_or_b64 exec, exec, s[0:1]
	s_waitcnt lgkmcnt(2)
	v_mbcnt_lo_u32_b32 v1, -1, 0
	v_mbcnt_hi_u32_b32 v1, -1, v1
	v_and_b32_e32 v8, 63, v1
	v_cmp_ne_u32_e32 vcc, 63, v8
	s_waitcnt lgkmcnt(1)
	v_addc_co_u32_e32 v4, vcc, 0, v1, vcc
	v_and_b32_e32 v6, 0xffff, v7
	s_waitcnt lgkmcnt(0)
	v_lshlrev_b32_e32 v5, 2, v4
	ds_bpermute_b32 v10, v5, v6
	ds_bpermute_b32 v4, v5, v2
	;; [unrolled: 1-line block ×3, first 2 shown]
	s_min_u32 s8, s8, 0x100
	v_and_b32_e32 v9, 0xc0, v0
	v_sub_u32_e64 v9, s8, v9 clamp
	v_add_u32_e32 v11, 1, v8
	v_cmp_lt_u32_e32 vcc, v11, v9
	s_and_saveexec_b64 s[2:3], vcc
	s_cbranch_execz .LBB972_216
; %bb.215:
	s_waitcnt lgkmcnt(2)
	v_and_b32_e32 v11, 1, v10
	s_waitcnt lgkmcnt(0)
	v_cmp_lt_i64_e32 vcc, v[4:5], v[2:3]
	v_cmp_eq_u32_e64 s[0:1], 1, v11
	v_and_b32_e32 v6, 1, v7
	s_and_b64 vcc, s[0:1], vcc
	v_cndmask_b32_e64 v7, v7, 1, s[0:1]
	v_cndmask_b32_e32 v2, v2, v4, vcc
	v_cndmask_b32_e32 v3, v3, v5, vcc
	v_cmp_eq_u32_e32 vcc, 1, v6
	v_cndmask_b32_e32 v7, v10, v7, vcc
	v_cndmask_b32_e32 v3, v5, v3, vcc
	v_cndmask_b32_e32 v2, v4, v2, vcc
	v_and_b32_e32 v6, 0xff, v7
.LBB972_216:
	s_or_b64 exec, exec, s[2:3]
	v_cmp_gt_u32_e32 vcc, 62, v8
	s_waitcnt lgkmcnt(1)
	v_cndmask_b32_e64 v4, 0, 1, vcc
	v_lshlrev_b32_e32 v4, 1, v4
	s_waitcnt lgkmcnt(0)
	v_add_lshl_u32 v5, v4, v1, 2
	ds_bpermute_b32 v10, v5, v6
	ds_bpermute_b32 v4, v5, v2
	ds_bpermute_b32 v5, v5, v3
	v_add_u32_e32 v11, 2, v8
	v_cmp_lt_u32_e32 vcc, v11, v9
	s_and_saveexec_b64 s[2:3], vcc
	s_cbranch_execz .LBB972_218
; %bb.217:
	s_waitcnt lgkmcnt(2)
	v_and_b32_e32 v11, 1, v10
	s_waitcnt lgkmcnt(0)
	v_cmp_lt_i64_e32 vcc, v[4:5], v[2:3]
	v_cmp_eq_u32_e64 s[0:1], 1, v11
	v_and_b32_e32 v6, 1, v7
	s_and_b64 vcc, s[0:1], vcc
	v_cndmask_b32_e64 v7, v7, 1, s[0:1]
	v_cndmask_b32_e32 v2, v2, v4, vcc
	v_cndmask_b32_e32 v3, v3, v5, vcc
	v_cmp_eq_u32_e32 vcc, 1, v6
	v_cndmask_b32_e32 v7, v10, v7, vcc
	v_cndmask_b32_e32 v3, v5, v3, vcc
	v_cndmask_b32_e32 v2, v4, v2, vcc
	v_and_b32_e32 v6, 0xff, v7
.LBB972_218:
	s_or_b64 exec, exec, s[2:3]
	v_cmp_gt_u32_e32 vcc, 60, v8
	s_waitcnt lgkmcnt(1)
	v_cndmask_b32_e64 v4, 0, 1, vcc
	v_lshlrev_b32_e32 v4, 2, v4
	s_waitcnt lgkmcnt(0)
	v_add_lshl_u32 v5, v4, v1, 2
	ds_bpermute_b32 v10, v5, v6
	ds_bpermute_b32 v4, v5, v2
	ds_bpermute_b32 v5, v5, v3
	;; [unrolled: 31-line block ×5, first 2 shown]
	v_add_u32_e32 v8, 32, v8
	v_cmp_lt_u32_e32 vcc, v8, v9
	s_and_saveexec_b64 s[2:3], vcc
	s_cbranch_execz .LBB972_226
; %bb.225:
	s_waitcnt lgkmcnt(2)
	v_and_b32_e32 v8, 1, v10
	s_waitcnt lgkmcnt(0)
	v_cmp_lt_i64_e32 vcc, v[4:5], v[2:3]
	v_cmp_eq_u32_e64 s[0:1], 1, v8
	v_and_b32_e32 v6, 1, v7
	s_and_b64 vcc, s[0:1], vcc
	v_cndmask_b32_e64 v7, v7, 1, s[0:1]
	v_cndmask_b32_e32 v2, v2, v4, vcc
	v_cndmask_b32_e32 v3, v3, v5, vcc
	v_cmp_eq_u32_e32 vcc, 1, v6
	v_cndmask_b32_e32 v7, v10, v7, vcc
	v_cndmask_b32_e32 v3, v5, v3, vcc
	;; [unrolled: 1-line block ×3, first 2 shown]
	v_and_b32_e32 v6, 0xff, v7
.LBB972_226:
	s_or_b64 exec, exec, s[2:3]
	v_cmp_eq_u32_e32 vcc, 0, v1
	s_and_saveexec_b64 s[0:1], vcc
	s_cbranch_execz .LBB972_228
; %bb.227:
	s_waitcnt lgkmcnt(1)
	v_lshrrev_b32_e32 v4, 2, v0
	v_and_b32_e32 v4, 48, v4
	ds_write_b8 v4, v7 offset:256
	ds_write_b64 v4, v[2:3] offset:264
.LBB972_228:
	s_or_b64 exec, exec, s[0:1]
	v_cmp_gt_u32_e32 vcc, 4, v0
	s_waitcnt lgkmcnt(0)
	s_barrier
	s_and_saveexec_b64 s[2:3], vcc
	s_cbranch_execz .LBB972_234
; %bb.229:
	v_lshlrev_b32_e32 v2, 4, v1
	ds_read_u8 v7, v2 offset:256
	ds_read_b64 v[2:3], v2 offset:264
	v_and_b32_e32 v8, 3, v1
	v_cmp_ne_u32_e32 vcc, 3, v8
	v_addc_co_u32_e32 v4, vcc, 0, v1, vcc
	s_waitcnt lgkmcnt(1)
	v_and_b32_e32 v6, 0xff, v7
	v_lshlrev_b32_e32 v5, 2, v4
	ds_bpermute_b32 v9, v5, v6
	s_waitcnt lgkmcnt(1)
	ds_bpermute_b32 v4, v5, v2
	ds_bpermute_b32 v5, v5, v3
	s_add_i32 s8, s8, 63
	s_lshr_b32 s12, s8, 6
	v_add_u32_e32 v10, 1, v8
	v_cmp_gt_u32_e32 vcc, s12, v10
	s_and_saveexec_b64 s[8:9], vcc
	s_cbranch_execz .LBB972_231
; %bb.230:
	s_waitcnt lgkmcnt(2)
	v_and_b32_e32 v10, 1, v9
	s_waitcnt lgkmcnt(0)
	v_cmp_lt_i64_e32 vcc, v[4:5], v[2:3]
	v_cmp_eq_u32_e64 s[0:1], 1, v10
	v_and_b32_e32 v6, 1, v7
	s_and_b64 vcc, s[0:1], vcc
	v_cndmask_b32_e64 v7, v7, 1, s[0:1]
	v_cndmask_b32_e32 v2, v2, v4, vcc
	v_cndmask_b32_e32 v3, v3, v5, vcc
	v_cmp_eq_u32_e32 vcc, 1, v6
	v_cndmask_b32_e32 v7, v9, v7, vcc
	v_cndmask_b32_e32 v3, v5, v3, vcc
	;; [unrolled: 1-line block ×3, first 2 shown]
	v_and_b32_e32 v6, 0xff, v7
.LBB972_231:
	s_or_b64 exec, exec, s[8:9]
	v_cmp_gt_u32_e32 vcc, 2, v8
	s_waitcnt lgkmcnt(1)
	v_cndmask_b32_e64 v4, 0, 1, vcc
	v_lshlrev_b32_e32 v4, 1, v4
	s_waitcnt lgkmcnt(0)
	v_add_lshl_u32 v5, v4, v1, 2
	ds_bpermute_b32 v1, v5, v6
	ds_bpermute_b32 v4, v5, v2
	;; [unrolled: 1-line block ×3, first 2 shown]
	v_add_u32_e32 v8, 2, v8
	v_cmp_gt_u32_e32 vcc, s12, v8
	s_and_saveexec_b64 s[8:9], vcc
	s_cbranch_execz .LBB972_233
; %bb.232:
	s_waitcnt lgkmcnt(2)
	v_and_b32_e32 v8, 1, v1
	s_waitcnt lgkmcnt(0)
	v_cmp_lt_i64_e32 vcc, v[4:5], v[2:3]
	v_cmp_eq_u32_e64 s[0:1], 1, v8
	v_and_b32_e32 v6, 1, v7
	s_and_b64 vcc, s[0:1], vcc
	v_cndmask_b32_e64 v7, v7, 1, s[0:1]
	v_cndmask_b32_e32 v2, v2, v4, vcc
	v_cndmask_b32_e32 v3, v3, v5, vcc
	v_cmp_eq_u32_e32 vcc, 1, v6
	v_cndmask_b32_e32 v1, v1, v7, vcc
	v_cndmask_b32_e32 v3, v5, v3, vcc
	;; [unrolled: 1-line block ×3, first 2 shown]
	v_and_b32_e32 v6, 0xff, v1
.LBB972_233:
	s_or_b64 exec, exec, s[8:9]
.LBB972_234:
	s_or_b64 exec, exec, s[2:3]
.LBB972_235:
	v_cmp_eq_u32_e32 vcc, 0, v0
                                        ; implicit-def: $vgpr4_vgpr5
                                        ; implicit-def: $vgpr1
	s_and_saveexec_b64 s[8:9], vcc
	s_cbranch_execz .LBB972_239
; %bb.236:
	s_cmp_eq_u64 s[22:23], 0
	s_waitcnt lgkmcnt(0)
	v_pk_mov_b32 v[4:5], s[18:19], s[18:19] op_sel:[0,1]
	v_mov_b32_e32 v1, s33
	s_cbranch_scc1 .LBB972_238
; %bb.237:
	v_and_b32_e32 v0, 1, v6
	s_bitcmp1_b32 s33, 0
	v_mov_b32_e32 v1, s33
	v_cmp_eq_u32_e32 vcc, 1, v0
	v_cmp_gt_i64_e64 s[2:3], s[18:19], v[2:3]
	v_cndmask_b32_e64 v0, v1, 1, vcc
	s_cselect_b64 s[0:1], -1, 0
	v_mov_b32_e32 v1, s18
	s_and_b64 vcc, vcc, s[2:3]
	v_cndmask_b32_e32 v4, v1, v2, vcc
	v_mov_b32_e32 v1, s19
	v_cndmask_b32_e32 v5, v1, v3, vcc
	v_cndmask_b32_e64 v1, v6, v0, s[0:1]
	v_cndmask_b32_e64 v5, v3, v5, s[0:1]
	;; [unrolled: 1-line block ×3, first 2 shown]
.LBB972_238:
	s_or_b64 s[10:11], s[10:11], exec
.LBB972_239:
	s_or_b64 exec, exec, s[8:9]
	s_and_saveexec_b64 s[0:1], s[10:11]
	s_cbranch_execnz .LBB972_209
	s_branch .LBB972_210
.LBB972_240:
	v_lshlrev_b32_e32 v10, 1, v0
	global_load_ushort v21, v10, s[30:31] offset:3584
	global_load_ushort v26, v10, s[34:35] offset:3584
	v_mov_b32_e32 v11, s40
	v_add_co_u32_e64 v10, s[16:17], s39, v25
	v_addc_co_u32_e64 v11, s[16:17], 0, v11, s[16:17]
	s_waitcnt vmcnt(0)
	v_cmp_ne_u16_e64 s[16:17], v21, v26
	v_cndmask_b32_e64 v21, 0, 1, s[16:17]
	s_or_b64 exec, exec, s[36:37]
	s_and_saveexec_b64 s[30:31], s[8:9]
	s_cbranch_execz .LBB972_61
.LBB972_241:
	v_and_b32_e32 v26, 1, v18
	v_cmp_lt_i64_e64 s[8:9], v[4:5], v[2:3]
	v_cmp_eq_u32_e64 s[16:17], 1, v26
	v_and_b32_e32 v25, 1, v1
	s_and_b64 s[8:9], s[16:17], s[8:9]
	v_cndmask_b32_e64 v1, v1, 1, s[16:17]
	v_cndmask_b32_e64 v2, v2, v4, s[8:9]
	v_cndmask_b32_e64 v3, v3, v5, s[8:9]
	v_cmp_eq_u32_e64 s[8:9], 1, v25
	v_cndmask_b32_e64 v1, v18, v1, s[8:9]
	v_cndmask_b32_e64 v3, v5, v3, s[8:9]
	v_cndmask_b32_e64 v2, v4, v2, s[8:9]
	s_or_b64 exec, exec, s[30:31]
	s_and_saveexec_b64 s[16:17], vcc
	s_cbranch_execz .LBB972_62
.LBB972_242:
	v_and_b32_e32 v5, 1, v23
	v_cmp_lt_i64_e32 vcc, v[12:13], v[2:3]
	v_cmp_eq_u32_e64 s[8:9], 1, v5
	v_and_b32_e32 v4, 1, v1
	s_and_b64 vcc, s[8:9], vcc
	v_cndmask_b32_e64 v1, v1, 1, s[8:9]
	v_cndmask_b32_e32 v2, v2, v12, vcc
	v_cndmask_b32_e32 v3, v3, v13, vcc
	v_cmp_eq_u32_e32 vcc, 1, v4
	v_cndmask_b32_e32 v1, v23, v1, vcc
	v_cndmask_b32_e32 v3, v13, v3, vcc
	;; [unrolled: 1-line block ×3, first 2 shown]
	s_or_b64 exec, exec, s[16:17]
	s_and_saveexec_b64 s[16:17], s[10:11]
	s_cbranch_execz .LBB972_63
.LBB972_243:
	v_and_b32_e32 v5, 1, v19
	v_cmp_lt_i64_e32 vcc, v[6:7], v[2:3]
	v_cmp_eq_u32_e64 s[8:9], 1, v5
	v_and_b32_e32 v4, 1, v1
	s_and_b64 vcc, s[8:9], vcc
	v_cndmask_b32_e64 v1, v1, 1, s[8:9]
	v_cndmask_b32_e32 v2, v2, v6, vcc
	v_cndmask_b32_e32 v3, v3, v7, vcc
	v_cmp_eq_u32_e32 vcc, 1, v4
	v_cndmask_b32_e32 v1, v19, v1, vcc
	v_cndmask_b32_e32 v3, v7, v3, vcc
	;; [unrolled: 1-line block ×3, first 2 shown]
	s_or_b64 exec, exec, s[16:17]
	s_and_saveexec_b64 s[8:9], s[0:1]
	s_cbranch_execz .LBB972_64
.LBB972_244:
	v_and_b32_e32 v5, 1, v24
	v_cmp_lt_i64_e32 vcc, v[14:15], v[2:3]
	v_cmp_eq_u32_e64 s[0:1], 1, v5
	v_and_b32_e32 v4, 1, v1
	s_and_b64 vcc, s[0:1], vcc
	v_cndmask_b32_e64 v1, v1, 1, s[0:1]
	v_cndmask_b32_e32 v2, v2, v14, vcc
	v_cndmask_b32_e32 v3, v3, v15, vcc
	v_cmp_eq_u32_e32 vcc, 1, v4
	v_cndmask_b32_e32 v1, v24, v1, vcc
	v_cndmask_b32_e32 v3, v15, v3, vcc
	;; [unrolled: 1-line block ×3, first 2 shown]
	s_or_b64 exec, exec, s[8:9]
	s_and_saveexec_b64 s[8:9], s[12:13]
	s_cbranch_execz .LBB972_65
.LBB972_245:
	v_and_b32_e32 v5, 1, v20
	v_cmp_lt_i64_e32 vcc, v[8:9], v[2:3]
	v_cmp_eq_u32_e64 s[0:1], 1, v5
	v_and_b32_e32 v4, 1, v1
	s_and_b64 vcc, s[0:1], vcc
	v_cndmask_b32_e64 v1, v1, 1, s[0:1]
	v_cndmask_b32_e32 v2, v2, v8, vcc
	v_cndmask_b32_e32 v3, v3, v9, vcc
	v_cmp_eq_u32_e32 vcc, 1, v4
	v_cndmask_b32_e32 v1, v20, v1, vcc
	v_cndmask_b32_e32 v3, v9, v3, vcc
	;; [unrolled: 1-line block ×3, first 2 shown]
	s_or_b64 exec, exec, s[8:9]
	s_and_saveexec_b64 s[8:9], s[2:3]
	s_cbranch_execz .LBB972_66
.LBB972_246:
	v_and_b32_e32 v5, 1, v22
	v_cmp_lt_i64_e32 vcc, v[16:17], v[2:3]
	v_cmp_eq_u32_e64 s[0:1], 1, v5
	v_and_b32_e32 v4, 1, v1
	s_and_b64 vcc, s[0:1], vcc
	v_cndmask_b32_e64 v1, v1, 1, s[0:1]
	v_cndmask_b32_e32 v2, v2, v16, vcc
	v_cndmask_b32_e32 v3, v3, v17, vcc
	v_cmp_eq_u32_e32 vcc, 1, v4
	v_cndmask_b32_e32 v1, v22, v1, vcc
	v_cndmask_b32_e32 v3, v17, v3, vcc
	;; [unrolled: 1-line block ×3, first 2 shown]
	s_or_b64 exec, exec, s[8:9]
	s_and_saveexec_b64 s[2:3], s[14:15]
	s_cbranch_execnz .LBB972_67
	s_branch .LBB972_68
.LBB972_247:
	v_lshlrev_b32_e32 v6, 1, v0
	global_load_ushort v11, v6, s[12:13] offset:1536
	global_load_ushort v14, v6, s[14:15] offset:1536
	v_mov_b32_e32 v7, s29
	v_add_co_u32_e64 v6, s[8:9], s28, v13
	v_addc_co_u32_e64 v7, s[8:9], 0, v7, s[8:9]
	s_waitcnt vmcnt(0)
	v_cmp_ne_u16_e64 s[8:9], v11, v14
	v_cndmask_b32_e64 v11, 0, 1, s[8:9]
	s_or_b64 exec, exec, s[16:17]
	s_and_saveexec_b64 s[12:13], s[0:1]
	s_cbranch_execz .LBB972_104
.LBB972_248:
	v_and_b32_e32 v14, 1, v1
	v_cmp_lt_i64_e64 s[0:1], v[4:5], v[2:3]
	v_cmp_eq_u32_e64 s[8:9], 1, v14
	v_and_b32_e32 v13, 1, v10
	s_and_b64 s[0:1], s[8:9], s[0:1]
	v_cndmask_b32_e64 v10, v10, 1, s[8:9]
	v_cndmask_b32_e64 v2, v2, v4, s[0:1]
	;; [unrolled: 1-line block ×3, first 2 shown]
	v_cmp_eq_u32_e64 s[0:1], 1, v13
	v_cndmask_b32_e64 v10, v1, v10, s[0:1]
	v_cndmask_b32_e64 v3, v5, v3, s[0:1]
	;; [unrolled: 1-line block ×3, first 2 shown]
	s_or_b64 exec, exec, s[12:13]
	s_and_saveexec_b64 s[8:9], vcc
	s_cbranch_execz .LBB972_105
.LBB972_249:
	v_and_b32_e32 v4, 1, v12
	v_cmp_lt_i64_e32 vcc, v[8:9], v[2:3]
	v_cmp_eq_u32_e64 s[0:1], 1, v4
	v_and_b32_e32 v1, 1, v10
	s_and_b64 vcc, s[0:1], vcc
	v_cndmask_b32_e64 v4, v10, 1, s[0:1]
	v_cndmask_b32_e32 v2, v2, v8, vcc
	v_cndmask_b32_e32 v3, v3, v9, vcc
	v_cmp_eq_u32_e32 vcc, 1, v1
	v_cndmask_b32_e32 v10, v12, v4, vcc
	v_cndmask_b32_e32 v3, v9, v3, vcc
	;; [unrolled: 1-line block ×3, first 2 shown]
	s_or_b64 exec, exec, s[8:9]
	s_and_saveexec_b64 s[8:9], s[2:3]
	s_cbranch_execnz .LBB972_106
	s_branch .LBB972_107
	.section	.rodata,"a",@progbits
	.p2align	6, 0x0
	.amdhsa_kernel _ZN7rocprim17ROCPRIM_400000_NS6detail17trampoline_kernelINS0_14default_configENS1_22reduce_config_selectorIN6thrust23THRUST_200600_302600_NS5tupleIblNS6_9null_typeES8_S8_S8_S8_S8_S8_S8_EEEEZNS1_11reduce_implILb1ES3_NS6_12zip_iteratorINS7_INS6_11hip_rocprim26transform_input_iterator_tIbNSD_35transform_pair_of_input_iterators_tIbNS6_6detail15normal_iteratorINS6_10device_ptrIKsEEEESL_NS6_8equal_toIsEEEENSG_9not_fun_tINSD_8identityEEEEENSD_19counting_iterator_tIlEES8_S8_S8_S8_S8_S8_S8_S8_EEEEPS9_S9_NSD_9__find_if7functorIS9_EEEE10hipError_tPvRmT1_T2_T3_mT4_P12ihipStream_tbEUlT_E1_NS1_11comp_targetILNS1_3genE4ELNS1_11target_archE910ELNS1_3gpuE8ELNS1_3repE0EEENS1_30default_config_static_selectorELNS0_4arch9wavefront6targetE1EEEvS14_
		.amdhsa_group_segment_fixed_size 320
		.amdhsa_private_segment_fixed_size 0
		.amdhsa_kernarg_size 88
		.amdhsa_user_sgpr_count 6
		.amdhsa_user_sgpr_private_segment_buffer 1
		.amdhsa_user_sgpr_dispatch_ptr 0
		.amdhsa_user_sgpr_queue_ptr 0
		.amdhsa_user_sgpr_kernarg_segment_ptr 1
		.amdhsa_user_sgpr_dispatch_id 0
		.amdhsa_user_sgpr_flat_scratch_init 0
		.amdhsa_user_sgpr_kernarg_preload_length 0
		.amdhsa_user_sgpr_kernarg_preload_offset 0
		.amdhsa_user_sgpr_private_segment_size 0
		.amdhsa_uses_dynamic_stack 0
		.amdhsa_system_sgpr_private_segment_wavefront_offset 0
		.amdhsa_system_sgpr_workgroup_id_x 1
		.amdhsa_system_sgpr_workgroup_id_y 0
		.amdhsa_system_sgpr_workgroup_id_z 0
		.amdhsa_system_sgpr_workgroup_info 0
		.amdhsa_system_vgpr_workitem_id 0
		.amdhsa_next_free_vgpr 27
		.amdhsa_next_free_sgpr 42
		.amdhsa_accum_offset 28
		.amdhsa_reserve_vcc 1
		.amdhsa_reserve_flat_scratch 0
		.amdhsa_float_round_mode_32 0
		.amdhsa_float_round_mode_16_64 0
		.amdhsa_float_denorm_mode_32 3
		.amdhsa_float_denorm_mode_16_64 3
		.amdhsa_dx10_clamp 1
		.amdhsa_ieee_mode 1
		.amdhsa_fp16_overflow 0
		.amdhsa_tg_split 0
		.amdhsa_exception_fp_ieee_invalid_op 0
		.amdhsa_exception_fp_denorm_src 0
		.amdhsa_exception_fp_ieee_div_zero 0
		.amdhsa_exception_fp_ieee_overflow 0
		.amdhsa_exception_fp_ieee_underflow 0
		.amdhsa_exception_fp_ieee_inexact 0
		.amdhsa_exception_int_div_zero 0
	.end_amdhsa_kernel
	.section	.text._ZN7rocprim17ROCPRIM_400000_NS6detail17trampoline_kernelINS0_14default_configENS1_22reduce_config_selectorIN6thrust23THRUST_200600_302600_NS5tupleIblNS6_9null_typeES8_S8_S8_S8_S8_S8_S8_EEEEZNS1_11reduce_implILb1ES3_NS6_12zip_iteratorINS7_INS6_11hip_rocprim26transform_input_iterator_tIbNSD_35transform_pair_of_input_iterators_tIbNS6_6detail15normal_iteratorINS6_10device_ptrIKsEEEESL_NS6_8equal_toIsEEEENSG_9not_fun_tINSD_8identityEEEEENSD_19counting_iterator_tIlEES8_S8_S8_S8_S8_S8_S8_S8_EEEEPS9_S9_NSD_9__find_if7functorIS9_EEEE10hipError_tPvRmT1_T2_T3_mT4_P12ihipStream_tbEUlT_E1_NS1_11comp_targetILNS1_3genE4ELNS1_11target_archE910ELNS1_3gpuE8ELNS1_3repE0EEENS1_30default_config_static_selectorELNS0_4arch9wavefront6targetE1EEEvS14_,"axG",@progbits,_ZN7rocprim17ROCPRIM_400000_NS6detail17trampoline_kernelINS0_14default_configENS1_22reduce_config_selectorIN6thrust23THRUST_200600_302600_NS5tupleIblNS6_9null_typeES8_S8_S8_S8_S8_S8_S8_EEEEZNS1_11reduce_implILb1ES3_NS6_12zip_iteratorINS7_INS6_11hip_rocprim26transform_input_iterator_tIbNSD_35transform_pair_of_input_iterators_tIbNS6_6detail15normal_iteratorINS6_10device_ptrIKsEEEESL_NS6_8equal_toIsEEEENSG_9not_fun_tINSD_8identityEEEEENSD_19counting_iterator_tIlEES8_S8_S8_S8_S8_S8_S8_S8_EEEEPS9_S9_NSD_9__find_if7functorIS9_EEEE10hipError_tPvRmT1_T2_T3_mT4_P12ihipStream_tbEUlT_E1_NS1_11comp_targetILNS1_3genE4ELNS1_11target_archE910ELNS1_3gpuE8ELNS1_3repE0EEENS1_30default_config_static_selectorELNS0_4arch9wavefront6targetE1EEEvS14_,comdat
.Lfunc_end972:
	.size	_ZN7rocprim17ROCPRIM_400000_NS6detail17trampoline_kernelINS0_14default_configENS1_22reduce_config_selectorIN6thrust23THRUST_200600_302600_NS5tupleIblNS6_9null_typeES8_S8_S8_S8_S8_S8_S8_EEEEZNS1_11reduce_implILb1ES3_NS6_12zip_iteratorINS7_INS6_11hip_rocprim26transform_input_iterator_tIbNSD_35transform_pair_of_input_iterators_tIbNS6_6detail15normal_iteratorINS6_10device_ptrIKsEEEESL_NS6_8equal_toIsEEEENSG_9not_fun_tINSD_8identityEEEEENSD_19counting_iterator_tIlEES8_S8_S8_S8_S8_S8_S8_S8_EEEEPS9_S9_NSD_9__find_if7functorIS9_EEEE10hipError_tPvRmT1_T2_T3_mT4_P12ihipStream_tbEUlT_E1_NS1_11comp_targetILNS1_3genE4ELNS1_11target_archE910ELNS1_3gpuE8ELNS1_3repE0EEENS1_30default_config_static_selectorELNS0_4arch9wavefront6targetE1EEEvS14_, .Lfunc_end972-_ZN7rocprim17ROCPRIM_400000_NS6detail17trampoline_kernelINS0_14default_configENS1_22reduce_config_selectorIN6thrust23THRUST_200600_302600_NS5tupleIblNS6_9null_typeES8_S8_S8_S8_S8_S8_S8_EEEEZNS1_11reduce_implILb1ES3_NS6_12zip_iteratorINS7_INS6_11hip_rocprim26transform_input_iterator_tIbNSD_35transform_pair_of_input_iterators_tIbNS6_6detail15normal_iteratorINS6_10device_ptrIKsEEEESL_NS6_8equal_toIsEEEENSG_9not_fun_tINSD_8identityEEEEENSD_19counting_iterator_tIlEES8_S8_S8_S8_S8_S8_S8_S8_EEEEPS9_S9_NSD_9__find_if7functorIS9_EEEE10hipError_tPvRmT1_T2_T3_mT4_P12ihipStream_tbEUlT_E1_NS1_11comp_targetILNS1_3genE4ELNS1_11target_archE910ELNS1_3gpuE8ELNS1_3repE0EEENS1_30default_config_static_selectorELNS0_4arch9wavefront6targetE1EEEvS14_
                                        ; -- End function
	.section	.AMDGPU.csdata,"",@progbits
; Kernel info:
; codeLenInByte = 13112
; NumSgprs: 46
; NumVgprs: 27
; NumAgprs: 0
; TotalNumVgprs: 27
; ScratchSize: 0
; MemoryBound: 0
; FloatMode: 240
; IeeeMode: 1
; LDSByteSize: 320 bytes/workgroup (compile time only)
; SGPRBlocks: 5
; VGPRBlocks: 3
; NumSGPRsForWavesPerEU: 46
; NumVGPRsForWavesPerEU: 27
; AccumOffset: 28
; Occupancy: 8
; WaveLimiterHint : 0
; COMPUTE_PGM_RSRC2:SCRATCH_EN: 0
; COMPUTE_PGM_RSRC2:USER_SGPR: 6
; COMPUTE_PGM_RSRC2:TRAP_HANDLER: 0
; COMPUTE_PGM_RSRC2:TGID_X_EN: 1
; COMPUTE_PGM_RSRC2:TGID_Y_EN: 0
; COMPUTE_PGM_RSRC2:TGID_Z_EN: 0
; COMPUTE_PGM_RSRC2:TIDIG_COMP_CNT: 0
; COMPUTE_PGM_RSRC3_GFX90A:ACCUM_OFFSET: 6
; COMPUTE_PGM_RSRC3_GFX90A:TG_SPLIT: 0
	.section	.text._ZN7rocprim17ROCPRIM_400000_NS6detail17trampoline_kernelINS0_14default_configENS1_22reduce_config_selectorIN6thrust23THRUST_200600_302600_NS5tupleIblNS6_9null_typeES8_S8_S8_S8_S8_S8_S8_EEEEZNS1_11reduce_implILb1ES3_NS6_12zip_iteratorINS7_INS6_11hip_rocprim26transform_input_iterator_tIbNSD_35transform_pair_of_input_iterators_tIbNS6_6detail15normal_iteratorINS6_10device_ptrIKsEEEESL_NS6_8equal_toIsEEEENSG_9not_fun_tINSD_8identityEEEEENSD_19counting_iterator_tIlEES8_S8_S8_S8_S8_S8_S8_S8_EEEEPS9_S9_NSD_9__find_if7functorIS9_EEEE10hipError_tPvRmT1_T2_T3_mT4_P12ihipStream_tbEUlT_E1_NS1_11comp_targetILNS1_3genE3ELNS1_11target_archE908ELNS1_3gpuE7ELNS1_3repE0EEENS1_30default_config_static_selectorELNS0_4arch9wavefront6targetE1EEEvS14_,"axG",@progbits,_ZN7rocprim17ROCPRIM_400000_NS6detail17trampoline_kernelINS0_14default_configENS1_22reduce_config_selectorIN6thrust23THRUST_200600_302600_NS5tupleIblNS6_9null_typeES8_S8_S8_S8_S8_S8_S8_EEEEZNS1_11reduce_implILb1ES3_NS6_12zip_iteratorINS7_INS6_11hip_rocprim26transform_input_iterator_tIbNSD_35transform_pair_of_input_iterators_tIbNS6_6detail15normal_iteratorINS6_10device_ptrIKsEEEESL_NS6_8equal_toIsEEEENSG_9not_fun_tINSD_8identityEEEEENSD_19counting_iterator_tIlEES8_S8_S8_S8_S8_S8_S8_S8_EEEEPS9_S9_NSD_9__find_if7functorIS9_EEEE10hipError_tPvRmT1_T2_T3_mT4_P12ihipStream_tbEUlT_E1_NS1_11comp_targetILNS1_3genE3ELNS1_11target_archE908ELNS1_3gpuE7ELNS1_3repE0EEENS1_30default_config_static_selectorELNS0_4arch9wavefront6targetE1EEEvS14_,comdat
	.protected	_ZN7rocprim17ROCPRIM_400000_NS6detail17trampoline_kernelINS0_14default_configENS1_22reduce_config_selectorIN6thrust23THRUST_200600_302600_NS5tupleIblNS6_9null_typeES8_S8_S8_S8_S8_S8_S8_EEEEZNS1_11reduce_implILb1ES3_NS6_12zip_iteratorINS7_INS6_11hip_rocprim26transform_input_iterator_tIbNSD_35transform_pair_of_input_iterators_tIbNS6_6detail15normal_iteratorINS6_10device_ptrIKsEEEESL_NS6_8equal_toIsEEEENSG_9not_fun_tINSD_8identityEEEEENSD_19counting_iterator_tIlEES8_S8_S8_S8_S8_S8_S8_S8_EEEEPS9_S9_NSD_9__find_if7functorIS9_EEEE10hipError_tPvRmT1_T2_T3_mT4_P12ihipStream_tbEUlT_E1_NS1_11comp_targetILNS1_3genE3ELNS1_11target_archE908ELNS1_3gpuE7ELNS1_3repE0EEENS1_30default_config_static_selectorELNS0_4arch9wavefront6targetE1EEEvS14_ ; -- Begin function _ZN7rocprim17ROCPRIM_400000_NS6detail17trampoline_kernelINS0_14default_configENS1_22reduce_config_selectorIN6thrust23THRUST_200600_302600_NS5tupleIblNS6_9null_typeES8_S8_S8_S8_S8_S8_S8_EEEEZNS1_11reduce_implILb1ES3_NS6_12zip_iteratorINS7_INS6_11hip_rocprim26transform_input_iterator_tIbNSD_35transform_pair_of_input_iterators_tIbNS6_6detail15normal_iteratorINS6_10device_ptrIKsEEEESL_NS6_8equal_toIsEEEENSG_9not_fun_tINSD_8identityEEEEENSD_19counting_iterator_tIlEES8_S8_S8_S8_S8_S8_S8_S8_EEEEPS9_S9_NSD_9__find_if7functorIS9_EEEE10hipError_tPvRmT1_T2_T3_mT4_P12ihipStream_tbEUlT_E1_NS1_11comp_targetILNS1_3genE3ELNS1_11target_archE908ELNS1_3gpuE7ELNS1_3repE0EEENS1_30default_config_static_selectorELNS0_4arch9wavefront6targetE1EEEvS14_
	.globl	_ZN7rocprim17ROCPRIM_400000_NS6detail17trampoline_kernelINS0_14default_configENS1_22reduce_config_selectorIN6thrust23THRUST_200600_302600_NS5tupleIblNS6_9null_typeES8_S8_S8_S8_S8_S8_S8_EEEEZNS1_11reduce_implILb1ES3_NS6_12zip_iteratorINS7_INS6_11hip_rocprim26transform_input_iterator_tIbNSD_35transform_pair_of_input_iterators_tIbNS6_6detail15normal_iteratorINS6_10device_ptrIKsEEEESL_NS6_8equal_toIsEEEENSG_9not_fun_tINSD_8identityEEEEENSD_19counting_iterator_tIlEES8_S8_S8_S8_S8_S8_S8_S8_EEEEPS9_S9_NSD_9__find_if7functorIS9_EEEE10hipError_tPvRmT1_T2_T3_mT4_P12ihipStream_tbEUlT_E1_NS1_11comp_targetILNS1_3genE3ELNS1_11target_archE908ELNS1_3gpuE7ELNS1_3repE0EEENS1_30default_config_static_selectorELNS0_4arch9wavefront6targetE1EEEvS14_
	.p2align	8
	.type	_ZN7rocprim17ROCPRIM_400000_NS6detail17trampoline_kernelINS0_14default_configENS1_22reduce_config_selectorIN6thrust23THRUST_200600_302600_NS5tupleIblNS6_9null_typeES8_S8_S8_S8_S8_S8_S8_EEEEZNS1_11reduce_implILb1ES3_NS6_12zip_iteratorINS7_INS6_11hip_rocprim26transform_input_iterator_tIbNSD_35transform_pair_of_input_iterators_tIbNS6_6detail15normal_iteratorINS6_10device_ptrIKsEEEESL_NS6_8equal_toIsEEEENSG_9not_fun_tINSD_8identityEEEEENSD_19counting_iterator_tIlEES8_S8_S8_S8_S8_S8_S8_S8_EEEEPS9_S9_NSD_9__find_if7functorIS9_EEEE10hipError_tPvRmT1_T2_T3_mT4_P12ihipStream_tbEUlT_E1_NS1_11comp_targetILNS1_3genE3ELNS1_11target_archE908ELNS1_3gpuE7ELNS1_3repE0EEENS1_30default_config_static_selectorELNS0_4arch9wavefront6targetE1EEEvS14_,@function
_ZN7rocprim17ROCPRIM_400000_NS6detail17trampoline_kernelINS0_14default_configENS1_22reduce_config_selectorIN6thrust23THRUST_200600_302600_NS5tupleIblNS6_9null_typeES8_S8_S8_S8_S8_S8_S8_EEEEZNS1_11reduce_implILb1ES3_NS6_12zip_iteratorINS7_INS6_11hip_rocprim26transform_input_iterator_tIbNSD_35transform_pair_of_input_iterators_tIbNS6_6detail15normal_iteratorINS6_10device_ptrIKsEEEESL_NS6_8equal_toIsEEEENSG_9not_fun_tINSD_8identityEEEEENSD_19counting_iterator_tIlEES8_S8_S8_S8_S8_S8_S8_S8_EEEEPS9_S9_NSD_9__find_if7functorIS9_EEEE10hipError_tPvRmT1_T2_T3_mT4_P12ihipStream_tbEUlT_E1_NS1_11comp_targetILNS1_3genE3ELNS1_11target_archE908ELNS1_3gpuE7ELNS1_3repE0EEENS1_30default_config_static_selectorELNS0_4arch9wavefront6targetE1EEEvS14_: ; @_ZN7rocprim17ROCPRIM_400000_NS6detail17trampoline_kernelINS0_14default_configENS1_22reduce_config_selectorIN6thrust23THRUST_200600_302600_NS5tupleIblNS6_9null_typeES8_S8_S8_S8_S8_S8_S8_EEEEZNS1_11reduce_implILb1ES3_NS6_12zip_iteratorINS7_INS6_11hip_rocprim26transform_input_iterator_tIbNSD_35transform_pair_of_input_iterators_tIbNS6_6detail15normal_iteratorINS6_10device_ptrIKsEEEESL_NS6_8equal_toIsEEEENSG_9not_fun_tINSD_8identityEEEEENSD_19counting_iterator_tIlEES8_S8_S8_S8_S8_S8_S8_S8_EEEEPS9_S9_NSD_9__find_if7functorIS9_EEEE10hipError_tPvRmT1_T2_T3_mT4_P12ihipStream_tbEUlT_E1_NS1_11comp_targetILNS1_3genE3ELNS1_11target_archE908ELNS1_3gpuE7ELNS1_3repE0EEENS1_30default_config_static_selectorELNS0_4arch9wavefront6targetE1EEEvS14_
; %bb.0:
	.section	.rodata,"a",@progbits
	.p2align	6, 0x0
	.amdhsa_kernel _ZN7rocprim17ROCPRIM_400000_NS6detail17trampoline_kernelINS0_14default_configENS1_22reduce_config_selectorIN6thrust23THRUST_200600_302600_NS5tupleIblNS6_9null_typeES8_S8_S8_S8_S8_S8_S8_EEEEZNS1_11reduce_implILb1ES3_NS6_12zip_iteratorINS7_INS6_11hip_rocprim26transform_input_iterator_tIbNSD_35transform_pair_of_input_iterators_tIbNS6_6detail15normal_iteratorINS6_10device_ptrIKsEEEESL_NS6_8equal_toIsEEEENSG_9not_fun_tINSD_8identityEEEEENSD_19counting_iterator_tIlEES8_S8_S8_S8_S8_S8_S8_S8_EEEEPS9_S9_NSD_9__find_if7functorIS9_EEEE10hipError_tPvRmT1_T2_T3_mT4_P12ihipStream_tbEUlT_E1_NS1_11comp_targetILNS1_3genE3ELNS1_11target_archE908ELNS1_3gpuE7ELNS1_3repE0EEENS1_30default_config_static_selectorELNS0_4arch9wavefront6targetE1EEEvS14_
		.amdhsa_group_segment_fixed_size 0
		.amdhsa_private_segment_fixed_size 0
		.amdhsa_kernarg_size 88
		.amdhsa_user_sgpr_count 6
		.amdhsa_user_sgpr_private_segment_buffer 1
		.amdhsa_user_sgpr_dispatch_ptr 0
		.amdhsa_user_sgpr_queue_ptr 0
		.amdhsa_user_sgpr_kernarg_segment_ptr 1
		.amdhsa_user_sgpr_dispatch_id 0
		.amdhsa_user_sgpr_flat_scratch_init 0
		.amdhsa_user_sgpr_kernarg_preload_length 0
		.amdhsa_user_sgpr_kernarg_preload_offset 0
		.amdhsa_user_sgpr_private_segment_size 0
		.amdhsa_uses_dynamic_stack 0
		.amdhsa_system_sgpr_private_segment_wavefront_offset 0
		.amdhsa_system_sgpr_workgroup_id_x 1
		.amdhsa_system_sgpr_workgroup_id_y 0
		.amdhsa_system_sgpr_workgroup_id_z 0
		.amdhsa_system_sgpr_workgroup_info 0
		.amdhsa_system_vgpr_workitem_id 0
		.amdhsa_next_free_vgpr 1
		.amdhsa_next_free_sgpr 0
		.amdhsa_accum_offset 4
		.amdhsa_reserve_vcc 0
		.amdhsa_reserve_flat_scratch 0
		.amdhsa_float_round_mode_32 0
		.amdhsa_float_round_mode_16_64 0
		.amdhsa_float_denorm_mode_32 3
		.amdhsa_float_denorm_mode_16_64 3
		.amdhsa_dx10_clamp 1
		.amdhsa_ieee_mode 1
		.amdhsa_fp16_overflow 0
		.amdhsa_tg_split 0
		.amdhsa_exception_fp_ieee_invalid_op 0
		.amdhsa_exception_fp_denorm_src 0
		.amdhsa_exception_fp_ieee_div_zero 0
		.amdhsa_exception_fp_ieee_overflow 0
		.amdhsa_exception_fp_ieee_underflow 0
		.amdhsa_exception_fp_ieee_inexact 0
		.amdhsa_exception_int_div_zero 0
	.end_amdhsa_kernel
	.section	.text._ZN7rocprim17ROCPRIM_400000_NS6detail17trampoline_kernelINS0_14default_configENS1_22reduce_config_selectorIN6thrust23THRUST_200600_302600_NS5tupleIblNS6_9null_typeES8_S8_S8_S8_S8_S8_S8_EEEEZNS1_11reduce_implILb1ES3_NS6_12zip_iteratorINS7_INS6_11hip_rocprim26transform_input_iterator_tIbNSD_35transform_pair_of_input_iterators_tIbNS6_6detail15normal_iteratorINS6_10device_ptrIKsEEEESL_NS6_8equal_toIsEEEENSG_9not_fun_tINSD_8identityEEEEENSD_19counting_iterator_tIlEES8_S8_S8_S8_S8_S8_S8_S8_EEEEPS9_S9_NSD_9__find_if7functorIS9_EEEE10hipError_tPvRmT1_T2_T3_mT4_P12ihipStream_tbEUlT_E1_NS1_11comp_targetILNS1_3genE3ELNS1_11target_archE908ELNS1_3gpuE7ELNS1_3repE0EEENS1_30default_config_static_selectorELNS0_4arch9wavefront6targetE1EEEvS14_,"axG",@progbits,_ZN7rocprim17ROCPRIM_400000_NS6detail17trampoline_kernelINS0_14default_configENS1_22reduce_config_selectorIN6thrust23THRUST_200600_302600_NS5tupleIblNS6_9null_typeES8_S8_S8_S8_S8_S8_S8_EEEEZNS1_11reduce_implILb1ES3_NS6_12zip_iteratorINS7_INS6_11hip_rocprim26transform_input_iterator_tIbNSD_35transform_pair_of_input_iterators_tIbNS6_6detail15normal_iteratorINS6_10device_ptrIKsEEEESL_NS6_8equal_toIsEEEENSG_9not_fun_tINSD_8identityEEEEENSD_19counting_iterator_tIlEES8_S8_S8_S8_S8_S8_S8_S8_EEEEPS9_S9_NSD_9__find_if7functorIS9_EEEE10hipError_tPvRmT1_T2_T3_mT4_P12ihipStream_tbEUlT_E1_NS1_11comp_targetILNS1_3genE3ELNS1_11target_archE908ELNS1_3gpuE7ELNS1_3repE0EEENS1_30default_config_static_selectorELNS0_4arch9wavefront6targetE1EEEvS14_,comdat
.Lfunc_end973:
	.size	_ZN7rocprim17ROCPRIM_400000_NS6detail17trampoline_kernelINS0_14default_configENS1_22reduce_config_selectorIN6thrust23THRUST_200600_302600_NS5tupleIblNS6_9null_typeES8_S8_S8_S8_S8_S8_S8_EEEEZNS1_11reduce_implILb1ES3_NS6_12zip_iteratorINS7_INS6_11hip_rocprim26transform_input_iterator_tIbNSD_35transform_pair_of_input_iterators_tIbNS6_6detail15normal_iteratorINS6_10device_ptrIKsEEEESL_NS6_8equal_toIsEEEENSG_9not_fun_tINSD_8identityEEEEENSD_19counting_iterator_tIlEES8_S8_S8_S8_S8_S8_S8_S8_EEEEPS9_S9_NSD_9__find_if7functorIS9_EEEE10hipError_tPvRmT1_T2_T3_mT4_P12ihipStream_tbEUlT_E1_NS1_11comp_targetILNS1_3genE3ELNS1_11target_archE908ELNS1_3gpuE7ELNS1_3repE0EEENS1_30default_config_static_selectorELNS0_4arch9wavefront6targetE1EEEvS14_, .Lfunc_end973-_ZN7rocprim17ROCPRIM_400000_NS6detail17trampoline_kernelINS0_14default_configENS1_22reduce_config_selectorIN6thrust23THRUST_200600_302600_NS5tupleIblNS6_9null_typeES8_S8_S8_S8_S8_S8_S8_EEEEZNS1_11reduce_implILb1ES3_NS6_12zip_iteratorINS7_INS6_11hip_rocprim26transform_input_iterator_tIbNSD_35transform_pair_of_input_iterators_tIbNS6_6detail15normal_iteratorINS6_10device_ptrIKsEEEESL_NS6_8equal_toIsEEEENSG_9not_fun_tINSD_8identityEEEEENSD_19counting_iterator_tIlEES8_S8_S8_S8_S8_S8_S8_S8_EEEEPS9_S9_NSD_9__find_if7functorIS9_EEEE10hipError_tPvRmT1_T2_T3_mT4_P12ihipStream_tbEUlT_E1_NS1_11comp_targetILNS1_3genE3ELNS1_11target_archE908ELNS1_3gpuE7ELNS1_3repE0EEENS1_30default_config_static_selectorELNS0_4arch9wavefront6targetE1EEEvS14_
                                        ; -- End function
	.section	.AMDGPU.csdata,"",@progbits
; Kernel info:
; codeLenInByte = 0
; NumSgprs: 4
; NumVgprs: 0
; NumAgprs: 0
; TotalNumVgprs: 0
; ScratchSize: 0
; MemoryBound: 0
; FloatMode: 240
; IeeeMode: 1
; LDSByteSize: 0 bytes/workgroup (compile time only)
; SGPRBlocks: 0
; VGPRBlocks: 0
; NumSGPRsForWavesPerEU: 4
; NumVGPRsForWavesPerEU: 1
; AccumOffset: 4
; Occupancy: 8
; WaveLimiterHint : 0
; COMPUTE_PGM_RSRC2:SCRATCH_EN: 0
; COMPUTE_PGM_RSRC2:USER_SGPR: 6
; COMPUTE_PGM_RSRC2:TRAP_HANDLER: 0
; COMPUTE_PGM_RSRC2:TGID_X_EN: 1
; COMPUTE_PGM_RSRC2:TGID_Y_EN: 0
; COMPUTE_PGM_RSRC2:TGID_Z_EN: 0
; COMPUTE_PGM_RSRC2:TIDIG_COMP_CNT: 0
; COMPUTE_PGM_RSRC3_GFX90A:ACCUM_OFFSET: 0
; COMPUTE_PGM_RSRC3_GFX90A:TG_SPLIT: 0
	.section	.text._ZN7rocprim17ROCPRIM_400000_NS6detail17trampoline_kernelINS0_14default_configENS1_22reduce_config_selectorIN6thrust23THRUST_200600_302600_NS5tupleIblNS6_9null_typeES8_S8_S8_S8_S8_S8_S8_EEEEZNS1_11reduce_implILb1ES3_NS6_12zip_iteratorINS7_INS6_11hip_rocprim26transform_input_iterator_tIbNSD_35transform_pair_of_input_iterators_tIbNS6_6detail15normal_iteratorINS6_10device_ptrIKsEEEESL_NS6_8equal_toIsEEEENSG_9not_fun_tINSD_8identityEEEEENSD_19counting_iterator_tIlEES8_S8_S8_S8_S8_S8_S8_S8_EEEEPS9_S9_NSD_9__find_if7functorIS9_EEEE10hipError_tPvRmT1_T2_T3_mT4_P12ihipStream_tbEUlT_E1_NS1_11comp_targetILNS1_3genE2ELNS1_11target_archE906ELNS1_3gpuE6ELNS1_3repE0EEENS1_30default_config_static_selectorELNS0_4arch9wavefront6targetE1EEEvS14_,"axG",@progbits,_ZN7rocprim17ROCPRIM_400000_NS6detail17trampoline_kernelINS0_14default_configENS1_22reduce_config_selectorIN6thrust23THRUST_200600_302600_NS5tupleIblNS6_9null_typeES8_S8_S8_S8_S8_S8_S8_EEEEZNS1_11reduce_implILb1ES3_NS6_12zip_iteratorINS7_INS6_11hip_rocprim26transform_input_iterator_tIbNSD_35transform_pair_of_input_iterators_tIbNS6_6detail15normal_iteratorINS6_10device_ptrIKsEEEESL_NS6_8equal_toIsEEEENSG_9not_fun_tINSD_8identityEEEEENSD_19counting_iterator_tIlEES8_S8_S8_S8_S8_S8_S8_S8_EEEEPS9_S9_NSD_9__find_if7functorIS9_EEEE10hipError_tPvRmT1_T2_T3_mT4_P12ihipStream_tbEUlT_E1_NS1_11comp_targetILNS1_3genE2ELNS1_11target_archE906ELNS1_3gpuE6ELNS1_3repE0EEENS1_30default_config_static_selectorELNS0_4arch9wavefront6targetE1EEEvS14_,comdat
	.protected	_ZN7rocprim17ROCPRIM_400000_NS6detail17trampoline_kernelINS0_14default_configENS1_22reduce_config_selectorIN6thrust23THRUST_200600_302600_NS5tupleIblNS6_9null_typeES8_S8_S8_S8_S8_S8_S8_EEEEZNS1_11reduce_implILb1ES3_NS6_12zip_iteratorINS7_INS6_11hip_rocprim26transform_input_iterator_tIbNSD_35transform_pair_of_input_iterators_tIbNS6_6detail15normal_iteratorINS6_10device_ptrIKsEEEESL_NS6_8equal_toIsEEEENSG_9not_fun_tINSD_8identityEEEEENSD_19counting_iterator_tIlEES8_S8_S8_S8_S8_S8_S8_S8_EEEEPS9_S9_NSD_9__find_if7functorIS9_EEEE10hipError_tPvRmT1_T2_T3_mT4_P12ihipStream_tbEUlT_E1_NS1_11comp_targetILNS1_3genE2ELNS1_11target_archE906ELNS1_3gpuE6ELNS1_3repE0EEENS1_30default_config_static_selectorELNS0_4arch9wavefront6targetE1EEEvS14_ ; -- Begin function _ZN7rocprim17ROCPRIM_400000_NS6detail17trampoline_kernelINS0_14default_configENS1_22reduce_config_selectorIN6thrust23THRUST_200600_302600_NS5tupleIblNS6_9null_typeES8_S8_S8_S8_S8_S8_S8_EEEEZNS1_11reduce_implILb1ES3_NS6_12zip_iteratorINS7_INS6_11hip_rocprim26transform_input_iterator_tIbNSD_35transform_pair_of_input_iterators_tIbNS6_6detail15normal_iteratorINS6_10device_ptrIKsEEEESL_NS6_8equal_toIsEEEENSG_9not_fun_tINSD_8identityEEEEENSD_19counting_iterator_tIlEES8_S8_S8_S8_S8_S8_S8_S8_EEEEPS9_S9_NSD_9__find_if7functorIS9_EEEE10hipError_tPvRmT1_T2_T3_mT4_P12ihipStream_tbEUlT_E1_NS1_11comp_targetILNS1_3genE2ELNS1_11target_archE906ELNS1_3gpuE6ELNS1_3repE0EEENS1_30default_config_static_selectorELNS0_4arch9wavefront6targetE1EEEvS14_
	.globl	_ZN7rocprim17ROCPRIM_400000_NS6detail17trampoline_kernelINS0_14default_configENS1_22reduce_config_selectorIN6thrust23THRUST_200600_302600_NS5tupleIblNS6_9null_typeES8_S8_S8_S8_S8_S8_S8_EEEEZNS1_11reduce_implILb1ES3_NS6_12zip_iteratorINS7_INS6_11hip_rocprim26transform_input_iterator_tIbNSD_35transform_pair_of_input_iterators_tIbNS6_6detail15normal_iteratorINS6_10device_ptrIKsEEEESL_NS6_8equal_toIsEEEENSG_9not_fun_tINSD_8identityEEEEENSD_19counting_iterator_tIlEES8_S8_S8_S8_S8_S8_S8_S8_EEEEPS9_S9_NSD_9__find_if7functorIS9_EEEE10hipError_tPvRmT1_T2_T3_mT4_P12ihipStream_tbEUlT_E1_NS1_11comp_targetILNS1_3genE2ELNS1_11target_archE906ELNS1_3gpuE6ELNS1_3repE0EEENS1_30default_config_static_selectorELNS0_4arch9wavefront6targetE1EEEvS14_
	.p2align	8
	.type	_ZN7rocprim17ROCPRIM_400000_NS6detail17trampoline_kernelINS0_14default_configENS1_22reduce_config_selectorIN6thrust23THRUST_200600_302600_NS5tupleIblNS6_9null_typeES8_S8_S8_S8_S8_S8_S8_EEEEZNS1_11reduce_implILb1ES3_NS6_12zip_iteratorINS7_INS6_11hip_rocprim26transform_input_iterator_tIbNSD_35transform_pair_of_input_iterators_tIbNS6_6detail15normal_iteratorINS6_10device_ptrIKsEEEESL_NS6_8equal_toIsEEEENSG_9not_fun_tINSD_8identityEEEEENSD_19counting_iterator_tIlEES8_S8_S8_S8_S8_S8_S8_S8_EEEEPS9_S9_NSD_9__find_if7functorIS9_EEEE10hipError_tPvRmT1_T2_T3_mT4_P12ihipStream_tbEUlT_E1_NS1_11comp_targetILNS1_3genE2ELNS1_11target_archE906ELNS1_3gpuE6ELNS1_3repE0EEENS1_30default_config_static_selectorELNS0_4arch9wavefront6targetE1EEEvS14_,@function
_ZN7rocprim17ROCPRIM_400000_NS6detail17trampoline_kernelINS0_14default_configENS1_22reduce_config_selectorIN6thrust23THRUST_200600_302600_NS5tupleIblNS6_9null_typeES8_S8_S8_S8_S8_S8_S8_EEEEZNS1_11reduce_implILb1ES3_NS6_12zip_iteratorINS7_INS6_11hip_rocprim26transform_input_iterator_tIbNSD_35transform_pair_of_input_iterators_tIbNS6_6detail15normal_iteratorINS6_10device_ptrIKsEEEESL_NS6_8equal_toIsEEEENSG_9not_fun_tINSD_8identityEEEEENSD_19counting_iterator_tIlEES8_S8_S8_S8_S8_S8_S8_S8_EEEEPS9_S9_NSD_9__find_if7functorIS9_EEEE10hipError_tPvRmT1_T2_T3_mT4_P12ihipStream_tbEUlT_E1_NS1_11comp_targetILNS1_3genE2ELNS1_11target_archE906ELNS1_3gpuE6ELNS1_3repE0EEENS1_30default_config_static_selectorELNS0_4arch9wavefront6targetE1EEEvS14_: ; @_ZN7rocprim17ROCPRIM_400000_NS6detail17trampoline_kernelINS0_14default_configENS1_22reduce_config_selectorIN6thrust23THRUST_200600_302600_NS5tupleIblNS6_9null_typeES8_S8_S8_S8_S8_S8_S8_EEEEZNS1_11reduce_implILb1ES3_NS6_12zip_iteratorINS7_INS6_11hip_rocprim26transform_input_iterator_tIbNSD_35transform_pair_of_input_iterators_tIbNS6_6detail15normal_iteratorINS6_10device_ptrIKsEEEESL_NS6_8equal_toIsEEEENSG_9not_fun_tINSD_8identityEEEEENSD_19counting_iterator_tIlEES8_S8_S8_S8_S8_S8_S8_S8_EEEEPS9_S9_NSD_9__find_if7functorIS9_EEEE10hipError_tPvRmT1_T2_T3_mT4_P12ihipStream_tbEUlT_E1_NS1_11comp_targetILNS1_3genE2ELNS1_11target_archE906ELNS1_3gpuE6ELNS1_3repE0EEENS1_30default_config_static_selectorELNS0_4arch9wavefront6targetE1EEEvS14_
; %bb.0:
	.section	.rodata,"a",@progbits
	.p2align	6, 0x0
	.amdhsa_kernel _ZN7rocprim17ROCPRIM_400000_NS6detail17trampoline_kernelINS0_14default_configENS1_22reduce_config_selectorIN6thrust23THRUST_200600_302600_NS5tupleIblNS6_9null_typeES8_S8_S8_S8_S8_S8_S8_EEEEZNS1_11reduce_implILb1ES3_NS6_12zip_iteratorINS7_INS6_11hip_rocprim26transform_input_iterator_tIbNSD_35transform_pair_of_input_iterators_tIbNS6_6detail15normal_iteratorINS6_10device_ptrIKsEEEESL_NS6_8equal_toIsEEEENSG_9not_fun_tINSD_8identityEEEEENSD_19counting_iterator_tIlEES8_S8_S8_S8_S8_S8_S8_S8_EEEEPS9_S9_NSD_9__find_if7functorIS9_EEEE10hipError_tPvRmT1_T2_T3_mT4_P12ihipStream_tbEUlT_E1_NS1_11comp_targetILNS1_3genE2ELNS1_11target_archE906ELNS1_3gpuE6ELNS1_3repE0EEENS1_30default_config_static_selectorELNS0_4arch9wavefront6targetE1EEEvS14_
		.amdhsa_group_segment_fixed_size 0
		.amdhsa_private_segment_fixed_size 0
		.amdhsa_kernarg_size 88
		.amdhsa_user_sgpr_count 6
		.amdhsa_user_sgpr_private_segment_buffer 1
		.amdhsa_user_sgpr_dispatch_ptr 0
		.amdhsa_user_sgpr_queue_ptr 0
		.amdhsa_user_sgpr_kernarg_segment_ptr 1
		.amdhsa_user_sgpr_dispatch_id 0
		.amdhsa_user_sgpr_flat_scratch_init 0
		.amdhsa_user_sgpr_kernarg_preload_length 0
		.amdhsa_user_sgpr_kernarg_preload_offset 0
		.amdhsa_user_sgpr_private_segment_size 0
		.amdhsa_uses_dynamic_stack 0
		.amdhsa_system_sgpr_private_segment_wavefront_offset 0
		.amdhsa_system_sgpr_workgroup_id_x 1
		.amdhsa_system_sgpr_workgroup_id_y 0
		.amdhsa_system_sgpr_workgroup_id_z 0
		.amdhsa_system_sgpr_workgroup_info 0
		.amdhsa_system_vgpr_workitem_id 0
		.amdhsa_next_free_vgpr 1
		.amdhsa_next_free_sgpr 0
		.amdhsa_accum_offset 4
		.amdhsa_reserve_vcc 0
		.amdhsa_reserve_flat_scratch 0
		.amdhsa_float_round_mode_32 0
		.amdhsa_float_round_mode_16_64 0
		.amdhsa_float_denorm_mode_32 3
		.amdhsa_float_denorm_mode_16_64 3
		.amdhsa_dx10_clamp 1
		.amdhsa_ieee_mode 1
		.amdhsa_fp16_overflow 0
		.amdhsa_tg_split 0
		.amdhsa_exception_fp_ieee_invalid_op 0
		.amdhsa_exception_fp_denorm_src 0
		.amdhsa_exception_fp_ieee_div_zero 0
		.amdhsa_exception_fp_ieee_overflow 0
		.amdhsa_exception_fp_ieee_underflow 0
		.amdhsa_exception_fp_ieee_inexact 0
		.amdhsa_exception_int_div_zero 0
	.end_amdhsa_kernel
	.section	.text._ZN7rocprim17ROCPRIM_400000_NS6detail17trampoline_kernelINS0_14default_configENS1_22reduce_config_selectorIN6thrust23THRUST_200600_302600_NS5tupleIblNS6_9null_typeES8_S8_S8_S8_S8_S8_S8_EEEEZNS1_11reduce_implILb1ES3_NS6_12zip_iteratorINS7_INS6_11hip_rocprim26transform_input_iterator_tIbNSD_35transform_pair_of_input_iterators_tIbNS6_6detail15normal_iteratorINS6_10device_ptrIKsEEEESL_NS6_8equal_toIsEEEENSG_9not_fun_tINSD_8identityEEEEENSD_19counting_iterator_tIlEES8_S8_S8_S8_S8_S8_S8_S8_EEEEPS9_S9_NSD_9__find_if7functorIS9_EEEE10hipError_tPvRmT1_T2_T3_mT4_P12ihipStream_tbEUlT_E1_NS1_11comp_targetILNS1_3genE2ELNS1_11target_archE906ELNS1_3gpuE6ELNS1_3repE0EEENS1_30default_config_static_selectorELNS0_4arch9wavefront6targetE1EEEvS14_,"axG",@progbits,_ZN7rocprim17ROCPRIM_400000_NS6detail17trampoline_kernelINS0_14default_configENS1_22reduce_config_selectorIN6thrust23THRUST_200600_302600_NS5tupleIblNS6_9null_typeES8_S8_S8_S8_S8_S8_S8_EEEEZNS1_11reduce_implILb1ES3_NS6_12zip_iteratorINS7_INS6_11hip_rocprim26transform_input_iterator_tIbNSD_35transform_pair_of_input_iterators_tIbNS6_6detail15normal_iteratorINS6_10device_ptrIKsEEEESL_NS6_8equal_toIsEEEENSG_9not_fun_tINSD_8identityEEEEENSD_19counting_iterator_tIlEES8_S8_S8_S8_S8_S8_S8_S8_EEEEPS9_S9_NSD_9__find_if7functorIS9_EEEE10hipError_tPvRmT1_T2_T3_mT4_P12ihipStream_tbEUlT_E1_NS1_11comp_targetILNS1_3genE2ELNS1_11target_archE906ELNS1_3gpuE6ELNS1_3repE0EEENS1_30default_config_static_selectorELNS0_4arch9wavefront6targetE1EEEvS14_,comdat
.Lfunc_end974:
	.size	_ZN7rocprim17ROCPRIM_400000_NS6detail17trampoline_kernelINS0_14default_configENS1_22reduce_config_selectorIN6thrust23THRUST_200600_302600_NS5tupleIblNS6_9null_typeES8_S8_S8_S8_S8_S8_S8_EEEEZNS1_11reduce_implILb1ES3_NS6_12zip_iteratorINS7_INS6_11hip_rocprim26transform_input_iterator_tIbNSD_35transform_pair_of_input_iterators_tIbNS6_6detail15normal_iteratorINS6_10device_ptrIKsEEEESL_NS6_8equal_toIsEEEENSG_9not_fun_tINSD_8identityEEEEENSD_19counting_iterator_tIlEES8_S8_S8_S8_S8_S8_S8_S8_EEEEPS9_S9_NSD_9__find_if7functorIS9_EEEE10hipError_tPvRmT1_T2_T3_mT4_P12ihipStream_tbEUlT_E1_NS1_11comp_targetILNS1_3genE2ELNS1_11target_archE906ELNS1_3gpuE6ELNS1_3repE0EEENS1_30default_config_static_selectorELNS0_4arch9wavefront6targetE1EEEvS14_, .Lfunc_end974-_ZN7rocprim17ROCPRIM_400000_NS6detail17trampoline_kernelINS0_14default_configENS1_22reduce_config_selectorIN6thrust23THRUST_200600_302600_NS5tupleIblNS6_9null_typeES8_S8_S8_S8_S8_S8_S8_EEEEZNS1_11reduce_implILb1ES3_NS6_12zip_iteratorINS7_INS6_11hip_rocprim26transform_input_iterator_tIbNSD_35transform_pair_of_input_iterators_tIbNS6_6detail15normal_iteratorINS6_10device_ptrIKsEEEESL_NS6_8equal_toIsEEEENSG_9not_fun_tINSD_8identityEEEEENSD_19counting_iterator_tIlEES8_S8_S8_S8_S8_S8_S8_S8_EEEEPS9_S9_NSD_9__find_if7functorIS9_EEEE10hipError_tPvRmT1_T2_T3_mT4_P12ihipStream_tbEUlT_E1_NS1_11comp_targetILNS1_3genE2ELNS1_11target_archE906ELNS1_3gpuE6ELNS1_3repE0EEENS1_30default_config_static_selectorELNS0_4arch9wavefront6targetE1EEEvS14_
                                        ; -- End function
	.section	.AMDGPU.csdata,"",@progbits
; Kernel info:
; codeLenInByte = 0
; NumSgprs: 4
; NumVgprs: 0
; NumAgprs: 0
; TotalNumVgprs: 0
; ScratchSize: 0
; MemoryBound: 0
; FloatMode: 240
; IeeeMode: 1
; LDSByteSize: 0 bytes/workgroup (compile time only)
; SGPRBlocks: 0
; VGPRBlocks: 0
; NumSGPRsForWavesPerEU: 4
; NumVGPRsForWavesPerEU: 1
; AccumOffset: 4
; Occupancy: 8
; WaveLimiterHint : 0
; COMPUTE_PGM_RSRC2:SCRATCH_EN: 0
; COMPUTE_PGM_RSRC2:USER_SGPR: 6
; COMPUTE_PGM_RSRC2:TRAP_HANDLER: 0
; COMPUTE_PGM_RSRC2:TGID_X_EN: 1
; COMPUTE_PGM_RSRC2:TGID_Y_EN: 0
; COMPUTE_PGM_RSRC2:TGID_Z_EN: 0
; COMPUTE_PGM_RSRC2:TIDIG_COMP_CNT: 0
; COMPUTE_PGM_RSRC3_GFX90A:ACCUM_OFFSET: 0
; COMPUTE_PGM_RSRC3_GFX90A:TG_SPLIT: 0
	.section	.text._ZN7rocprim17ROCPRIM_400000_NS6detail17trampoline_kernelINS0_14default_configENS1_22reduce_config_selectorIN6thrust23THRUST_200600_302600_NS5tupleIblNS6_9null_typeES8_S8_S8_S8_S8_S8_S8_EEEEZNS1_11reduce_implILb1ES3_NS6_12zip_iteratorINS7_INS6_11hip_rocprim26transform_input_iterator_tIbNSD_35transform_pair_of_input_iterators_tIbNS6_6detail15normal_iteratorINS6_10device_ptrIKsEEEESL_NS6_8equal_toIsEEEENSG_9not_fun_tINSD_8identityEEEEENSD_19counting_iterator_tIlEES8_S8_S8_S8_S8_S8_S8_S8_EEEEPS9_S9_NSD_9__find_if7functorIS9_EEEE10hipError_tPvRmT1_T2_T3_mT4_P12ihipStream_tbEUlT_E1_NS1_11comp_targetILNS1_3genE10ELNS1_11target_archE1201ELNS1_3gpuE5ELNS1_3repE0EEENS1_30default_config_static_selectorELNS0_4arch9wavefront6targetE1EEEvS14_,"axG",@progbits,_ZN7rocprim17ROCPRIM_400000_NS6detail17trampoline_kernelINS0_14default_configENS1_22reduce_config_selectorIN6thrust23THRUST_200600_302600_NS5tupleIblNS6_9null_typeES8_S8_S8_S8_S8_S8_S8_EEEEZNS1_11reduce_implILb1ES3_NS6_12zip_iteratorINS7_INS6_11hip_rocprim26transform_input_iterator_tIbNSD_35transform_pair_of_input_iterators_tIbNS6_6detail15normal_iteratorINS6_10device_ptrIKsEEEESL_NS6_8equal_toIsEEEENSG_9not_fun_tINSD_8identityEEEEENSD_19counting_iterator_tIlEES8_S8_S8_S8_S8_S8_S8_S8_EEEEPS9_S9_NSD_9__find_if7functorIS9_EEEE10hipError_tPvRmT1_T2_T3_mT4_P12ihipStream_tbEUlT_E1_NS1_11comp_targetILNS1_3genE10ELNS1_11target_archE1201ELNS1_3gpuE5ELNS1_3repE0EEENS1_30default_config_static_selectorELNS0_4arch9wavefront6targetE1EEEvS14_,comdat
	.protected	_ZN7rocprim17ROCPRIM_400000_NS6detail17trampoline_kernelINS0_14default_configENS1_22reduce_config_selectorIN6thrust23THRUST_200600_302600_NS5tupleIblNS6_9null_typeES8_S8_S8_S8_S8_S8_S8_EEEEZNS1_11reduce_implILb1ES3_NS6_12zip_iteratorINS7_INS6_11hip_rocprim26transform_input_iterator_tIbNSD_35transform_pair_of_input_iterators_tIbNS6_6detail15normal_iteratorINS6_10device_ptrIKsEEEESL_NS6_8equal_toIsEEEENSG_9not_fun_tINSD_8identityEEEEENSD_19counting_iterator_tIlEES8_S8_S8_S8_S8_S8_S8_S8_EEEEPS9_S9_NSD_9__find_if7functorIS9_EEEE10hipError_tPvRmT1_T2_T3_mT4_P12ihipStream_tbEUlT_E1_NS1_11comp_targetILNS1_3genE10ELNS1_11target_archE1201ELNS1_3gpuE5ELNS1_3repE0EEENS1_30default_config_static_selectorELNS0_4arch9wavefront6targetE1EEEvS14_ ; -- Begin function _ZN7rocprim17ROCPRIM_400000_NS6detail17trampoline_kernelINS0_14default_configENS1_22reduce_config_selectorIN6thrust23THRUST_200600_302600_NS5tupleIblNS6_9null_typeES8_S8_S8_S8_S8_S8_S8_EEEEZNS1_11reduce_implILb1ES3_NS6_12zip_iteratorINS7_INS6_11hip_rocprim26transform_input_iterator_tIbNSD_35transform_pair_of_input_iterators_tIbNS6_6detail15normal_iteratorINS6_10device_ptrIKsEEEESL_NS6_8equal_toIsEEEENSG_9not_fun_tINSD_8identityEEEEENSD_19counting_iterator_tIlEES8_S8_S8_S8_S8_S8_S8_S8_EEEEPS9_S9_NSD_9__find_if7functorIS9_EEEE10hipError_tPvRmT1_T2_T3_mT4_P12ihipStream_tbEUlT_E1_NS1_11comp_targetILNS1_3genE10ELNS1_11target_archE1201ELNS1_3gpuE5ELNS1_3repE0EEENS1_30default_config_static_selectorELNS0_4arch9wavefront6targetE1EEEvS14_
	.globl	_ZN7rocprim17ROCPRIM_400000_NS6detail17trampoline_kernelINS0_14default_configENS1_22reduce_config_selectorIN6thrust23THRUST_200600_302600_NS5tupleIblNS6_9null_typeES8_S8_S8_S8_S8_S8_S8_EEEEZNS1_11reduce_implILb1ES3_NS6_12zip_iteratorINS7_INS6_11hip_rocprim26transform_input_iterator_tIbNSD_35transform_pair_of_input_iterators_tIbNS6_6detail15normal_iteratorINS6_10device_ptrIKsEEEESL_NS6_8equal_toIsEEEENSG_9not_fun_tINSD_8identityEEEEENSD_19counting_iterator_tIlEES8_S8_S8_S8_S8_S8_S8_S8_EEEEPS9_S9_NSD_9__find_if7functorIS9_EEEE10hipError_tPvRmT1_T2_T3_mT4_P12ihipStream_tbEUlT_E1_NS1_11comp_targetILNS1_3genE10ELNS1_11target_archE1201ELNS1_3gpuE5ELNS1_3repE0EEENS1_30default_config_static_selectorELNS0_4arch9wavefront6targetE1EEEvS14_
	.p2align	8
	.type	_ZN7rocprim17ROCPRIM_400000_NS6detail17trampoline_kernelINS0_14default_configENS1_22reduce_config_selectorIN6thrust23THRUST_200600_302600_NS5tupleIblNS6_9null_typeES8_S8_S8_S8_S8_S8_S8_EEEEZNS1_11reduce_implILb1ES3_NS6_12zip_iteratorINS7_INS6_11hip_rocprim26transform_input_iterator_tIbNSD_35transform_pair_of_input_iterators_tIbNS6_6detail15normal_iteratorINS6_10device_ptrIKsEEEESL_NS6_8equal_toIsEEEENSG_9not_fun_tINSD_8identityEEEEENSD_19counting_iterator_tIlEES8_S8_S8_S8_S8_S8_S8_S8_EEEEPS9_S9_NSD_9__find_if7functorIS9_EEEE10hipError_tPvRmT1_T2_T3_mT4_P12ihipStream_tbEUlT_E1_NS1_11comp_targetILNS1_3genE10ELNS1_11target_archE1201ELNS1_3gpuE5ELNS1_3repE0EEENS1_30default_config_static_selectorELNS0_4arch9wavefront6targetE1EEEvS14_,@function
_ZN7rocprim17ROCPRIM_400000_NS6detail17trampoline_kernelINS0_14default_configENS1_22reduce_config_selectorIN6thrust23THRUST_200600_302600_NS5tupleIblNS6_9null_typeES8_S8_S8_S8_S8_S8_S8_EEEEZNS1_11reduce_implILb1ES3_NS6_12zip_iteratorINS7_INS6_11hip_rocprim26transform_input_iterator_tIbNSD_35transform_pair_of_input_iterators_tIbNS6_6detail15normal_iteratorINS6_10device_ptrIKsEEEESL_NS6_8equal_toIsEEEENSG_9not_fun_tINSD_8identityEEEEENSD_19counting_iterator_tIlEES8_S8_S8_S8_S8_S8_S8_S8_EEEEPS9_S9_NSD_9__find_if7functorIS9_EEEE10hipError_tPvRmT1_T2_T3_mT4_P12ihipStream_tbEUlT_E1_NS1_11comp_targetILNS1_3genE10ELNS1_11target_archE1201ELNS1_3gpuE5ELNS1_3repE0EEENS1_30default_config_static_selectorELNS0_4arch9wavefront6targetE1EEEvS14_: ; @_ZN7rocprim17ROCPRIM_400000_NS6detail17trampoline_kernelINS0_14default_configENS1_22reduce_config_selectorIN6thrust23THRUST_200600_302600_NS5tupleIblNS6_9null_typeES8_S8_S8_S8_S8_S8_S8_EEEEZNS1_11reduce_implILb1ES3_NS6_12zip_iteratorINS7_INS6_11hip_rocprim26transform_input_iterator_tIbNSD_35transform_pair_of_input_iterators_tIbNS6_6detail15normal_iteratorINS6_10device_ptrIKsEEEESL_NS6_8equal_toIsEEEENSG_9not_fun_tINSD_8identityEEEEENSD_19counting_iterator_tIlEES8_S8_S8_S8_S8_S8_S8_S8_EEEEPS9_S9_NSD_9__find_if7functorIS9_EEEE10hipError_tPvRmT1_T2_T3_mT4_P12ihipStream_tbEUlT_E1_NS1_11comp_targetILNS1_3genE10ELNS1_11target_archE1201ELNS1_3gpuE5ELNS1_3repE0EEENS1_30default_config_static_selectorELNS0_4arch9wavefront6targetE1EEEvS14_
; %bb.0:
	.section	.rodata,"a",@progbits
	.p2align	6, 0x0
	.amdhsa_kernel _ZN7rocprim17ROCPRIM_400000_NS6detail17trampoline_kernelINS0_14default_configENS1_22reduce_config_selectorIN6thrust23THRUST_200600_302600_NS5tupleIblNS6_9null_typeES8_S8_S8_S8_S8_S8_S8_EEEEZNS1_11reduce_implILb1ES3_NS6_12zip_iteratorINS7_INS6_11hip_rocprim26transform_input_iterator_tIbNSD_35transform_pair_of_input_iterators_tIbNS6_6detail15normal_iteratorINS6_10device_ptrIKsEEEESL_NS6_8equal_toIsEEEENSG_9not_fun_tINSD_8identityEEEEENSD_19counting_iterator_tIlEES8_S8_S8_S8_S8_S8_S8_S8_EEEEPS9_S9_NSD_9__find_if7functorIS9_EEEE10hipError_tPvRmT1_T2_T3_mT4_P12ihipStream_tbEUlT_E1_NS1_11comp_targetILNS1_3genE10ELNS1_11target_archE1201ELNS1_3gpuE5ELNS1_3repE0EEENS1_30default_config_static_selectorELNS0_4arch9wavefront6targetE1EEEvS14_
		.amdhsa_group_segment_fixed_size 0
		.amdhsa_private_segment_fixed_size 0
		.amdhsa_kernarg_size 88
		.amdhsa_user_sgpr_count 6
		.amdhsa_user_sgpr_private_segment_buffer 1
		.amdhsa_user_sgpr_dispatch_ptr 0
		.amdhsa_user_sgpr_queue_ptr 0
		.amdhsa_user_sgpr_kernarg_segment_ptr 1
		.amdhsa_user_sgpr_dispatch_id 0
		.amdhsa_user_sgpr_flat_scratch_init 0
		.amdhsa_user_sgpr_kernarg_preload_length 0
		.amdhsa_user_sgpr_kernarg_preload_offset 0
		.amdhsa_user_sgpr_private_segment_size 0
		.amdhsa_uses_dynamic_stack 0
		.amdhsa_system_sgpr_private_segment_wavefront_offset 0
		.amdhsa_system_sgpr_workgroup_id_x 1
		.amdhsa_system_sgpr_workgroup_id_y 0
		.amdhsa_system_sgpr_workgroup_id_z 0
		.amdhsa_system_sgpr_workgroup_info 0
		.amdhsa_system_vgpr_workitem_id 0
		.amdhsa_next_free_vgpr 1
		.amdhsa_next_free_sgpr 0
		.amdhsa_accum_offset 4
		.amdhsa_reserve_vcc 0
		.amdhsa_reserve_flat_scratch 0
		.amdhsa_float_round_mode_32 0
		.amdhsa_float_round_mode_16_64 0
		.amdhsa_float_denorm_mode_32 3
		.amdhsa_float_denorm_mode_16_64 3
		.amdhsa_dx10_clamp 1
		.amdhsa_ieee_mode 1
		.amdhsa_fp16_overflow 0
		.amdhsa_tg_split 0
		.amdhsa_exception_fp_ieee_invalid_op 0
		.amdhsa_exception_fp_denorm_src 0
		.amdhsa_exception_fp_ieee_div_zero 0
		.amdhsa_exception_fp_ieee_overflow 0
		.amdhsa_exception_fp_ieee_underflow 0
		.amdhsa_exception_fp_ieee_inexact 0
		.amdhsa_exception_int_div_zero 0
	.end_amdhsa_kernel
	.section	.text._ZN7rocprim17ROCPRIM_400000_NS6detail17trampoline_kernelINS0_14default_configENS1_22reduce_config_selectorIN6thrust23THRUST_200600_302600_NS5tupleIblNS6_9null_typeES8_S8_S8_S8_S8_S8_S8_EEEEZNS1_11reduce_implILb1ES3_NS6_12zip_iteratorINS7_INS6_11hip_rocprim26transform_input_iterator_tIbNSD_35transform_pair_of_input_iterators_tIbNS6_6detail15normal_iteratorINS6_10device_ptrIKsEEEESL_NS6_8equal_toIsEEEENSG_9not_fun_tINSD_8identityEEEEENSD_19counting_iterator_tIlEES8_S8_S8_S8_S8_S8_S8_S8_EEEEPS9_S9_NSD_9__find_if7functorIS9_EEEE10hipError_tPvRmT1_T2_T3_mT4_P12ihipStream_tbEUlT_E1_NS1_11comp_targetILNS1_3genE10ELNS1_11target_archE1201ELNS1_3gpuE5ELNS1_3repE0EEENS1_30default_config_static_selectorELNS0_4arch9wavefront6targetE1EEEvS14_,"axG",@progbits,_ZN7rocprim17ROCPRIM_400000_NS6detail17trampoline_kernelINS0_14default_configENS1_22reduce_config_selectorIN6thrust23THRUST_200600_302600_NS5tupleIblNS6_9null_typeES8_S8_S8_S8_S8_S8_S8_EEEEZNS1_11reduce_implILb1ES3_NS6_12zip_iteratorINS7_INS6_11hip_rocprim26transform_input_iterator_tIbNSD_35transform_pair_of_input_iterators_tIbNS6_6detail15normal_iteratorINS6_10device_ptrIKsEEEESL_NS6_8equal_toIsEEEENSG_9not_fun_tINSD_8identityEEEEENSD_19counting_iterator_tIlEES8_S8_S8_S8_S8_S8_S8_S8_EEEEPS9_S9_NSD_9__find_if7functorIS9_EEEE10hipError_tPvRmT1_T2_T3_mT4_P12ihipStream_tbEUlT_E1_NS1_11comp_targetILNS1_3genE10ELNS1_11target_archE1201ELNS1_3gpuE5ELNS1_3repE0EEENS1_30default_config_static_selectorELNS0_4arch9wavefront6targetE1EEEvS14_,comdat
.Lfunc_end975:
	.size	_ZN7rocprim17ROCPRIM_400000_NS6detail17trampoline_kernelINS0_14default_configENS1_22reduce_config_selectorIN6thrust23THRUST_200600_302600_NS5tupleIblNS6_9null_typeES8_S8_S8_S8_S8_S8_S8_EEEEZNS1_11reduce_implILb1ES3_NS6_12zip_iteratorINS7_INS6_11hip_rocprim26transform_input_iterator_tIbNSD_35transform_pair_of_input_iterators_tIbNS6_6detail15normal_iteratorINS6_10device_ptrIKsEEEESL_NS6_8equal_toIsEEEENSG_9not_fun_tINSD_8identityEEEEENSD_19counting_iterator_tIlEES8_S8_S8_S8_S8_S8_S8_S8_EEEEPS9_S9_NSD_9__find_if7functorIS9_EEEE10hipError_tPvRmT1_T2_T3_mT4_P12ihipStream_tbEUlT_E1_NS1_11comp_targetILNS1_3genE10ELNS1_11target_archE1201ELNS1_3gpuE5ELNS1_3repE0EEENS1_30default_config_static_selectorELNS0_4arch9wavefront6targetE1EEEvS14_, .Lfunc_end975-_ZN7rocprim17ROCPRIM_400000_NS6detail17trampoline_kernelINS0_14default_configENS1_22reduce_config_selectorIN6thrust23THRUST_200600_302600_NS5tupleIblNS6_9null_typeES8_S8_S8_S8_S8_S8_S8_EEEEZNS1_11reduce_implILb1ES3_NS6_12zip_iteratorINS7_INS6_11hip_rocprim26transform_input_iterator_tIbNSD_35transform_pair_of_input_iterators_tIbNS6_6detail15normal_iteratorINS6_10device_ptrIKsEEEESL_NS6_8equal_toIsEEEENSG_9not_fun_tINSD_8identityEEEEENSD_19counting_iterator_tIlEES8_S8_S8_S8_S8_S8_S8_S8_EEEEPS9_S9_NSD_9__find_if7functorIS9_EEEE10hipError_tPvRmT1_T2_T3_mT4_P12ihipStream_tbEUlT_E1_NS1_11comp_targetILNS1_3genE10ELNS1_11target_archE1201ELNS1_3gpuE5ELNS1_3repE0EEENS1_30default_config_static_selectorELNS0_4arch9wavefront6targetE1EEEvS14_
                                        ; -- End function
	.section	.AMDGPU.csdata,"",@progbits
; Kernel info:
; codeLenInByte = 0
; NumSgprs: 4
; NumVgprs: 0
; NumAgprs: 0
; TotalNumVgprs: 0
; ScratchSize: 0
; MemoryBound: 0
; FloatMode: 240
; IeeeMode: 1
; LDSByteSize: 0 bytes/workgroup (compile time only)
; SGPRBlocks: 0
; VGPRBlocks: 0
; NumSGPRsForWavesPerEU: 4
; NumVGPRsForWavesPerEU: 1
; AccumOffset: 4
; Occupancy: 8
; WaveLimiterHint : 0
; COMPUTE_PGM_RSRC2:SCRATCH_EN: 0
; COMPUTE_PGM_RSRC2:USER_SGPR: 6
; COMPUTE_PGM_RSRC2:TRAP_HANDLER: 0
; COMPUTE_PGM_RSRC2:TGID_X_EN: 1
; COMPUTE_PGM_RSRC2:TGID_Y_EN: 0
; COMPUTE_PGM_RSRC2:TGID_Z_EN: 0
; COMPUTE_PGM_RSRC2:TIDIG_COMP_CNT: 0
; COMPUTE_PGM_RSRC3_GFX90A:ACCUM_OFFSET: 0
; COMPUTE_PGM_RSRC3_GFX90A:TG_SPLIT: 0
	.section	.text._ZN7rocprim17ROCPRIM_400000_NS6detail17trampoline_kernelINS0_14default_configENS1_22reduce_config_selectorIN6thrust23THRUST_200600_302600_NS5tupleIblNS6_9null_typeES8_S8_S8_S8_S8_S8_S8_EEEEZNS1_11reduce_implILb1ES3_NS6_12zip_iteratorINS7_INS6_11hip_rocprim26transform_input_iterator_tIbNSD_35transform_pair_of_input_iterators_tIbNS6_6detail15normal_iteratorINS6_10device_ptrIKsEEEESL_NS6_8equal_toIsEEEENSG_9not_fun_tINSD_8identityEEEEENSD_19counting_iterator_tIlEES8_S8_S8_S8_S8_S8_S8_S8_EEEEPS9_S9_NSD_9__find_if7functorIS9_EEEE10hipError_tPvRmT1_T2_T3_mT4_P12ihipStream_tbEUlT_E1_NS1_11comp_targetILNS1_3genE10ELNS1_11target_archE1200ELNS1_3gpuE4ELNS1_3repE0EEENS1_30default_config_static_selectorELNS0_4arch9wavefront6targetE1EEEvS14_,"axG",@progbits,_ZN7rocprim17ROCPRIM_400000_NS6detail17trampoline_kernelINS0_14default_configENS1_22reduce_config_selectorIN6thrust23THRUST_200600_302600_NS5tupleIblNS6_9null_typeES8_S8_S8_S8_S8_S8_S8_EEEEZNS1_11reduce_implILb1ES3_NS6_12zip_iteratorINS7_INS6_11hip_rocprim26transform_input_iterator_tIbNSD_35transform_pair_of_input_iterators_tIbNS6_6detail15normal_iteratorINS6_10device_ptrIKsEEEESL_NS6_8equal_toIsEEEENSG_9not_fun_tINSD_8identityEEEEENSD_19counting_iterator_tIlEES8_S8_S8_S8_S8_S8_S8_S8_EEEEPS9_S9_NSD_9__find_if7functorIS9_EEEE10hipError_tPvRmT1_T2_T3_mT4_P12ihipStream_tbEUlT_E1_NS1_11comp_targetILNS1_3genE10ELNS1_11target_archE1200ELNS1_3gpuE4ELNS1_3repE0EEENS1_30default_config_static_selectorELNS0_4arch9wavefront6targetE1EEEvS14_,comdat
	.protected	_ZN7rocprim17ROCPRIM_400000_NS6detail17trampoline_kernelINS0_14default_configENS1_22reduce_config_selectorIN6thrust23THRUST_200600_302600_NS5tupleIblNS6_9null_typeES8_S8_S8_S8_S8_S8_S8_EEEEZNS1_11reduce_implILb1ES3_NS6_12zip_iteratorINS7_INS6_11hip_rocprim26transform_input_iterator_tIbNSD_35transform_pair_of_input_iterators_tIbNS6_6detail15normal_iteratorINS6_10device_ptrIKsEEEESL_NS6_8equal_toIsEEEENSG_9not_fun_tINSD_8identityEEEEENSD_19counting_iterator_tIlEES8_S8_S8_S8_S8_S8_S8_S8_EEEEPS9_S9_NSD_9__find_if7functorIS9_EEEE10hipError_tPvRmT1_T2_T3_mT4_P12ihipStream_tbEUlT_E1_NS1_11comp_targetILNS1_3genE10ELNS1_11target_archE1200ELNS1_3gpuE4ELNS1_3repE0EEENS1_30default_config_static_selectorELNS0_4arch9wavefront6targetE1EEEvS14_ ; -- Begin function _ZN7rocprim17ROCPRIM_400000_NS6detail17trampoline_kernelINS0_14default_configENS1_22reduce_config_selectorIN6thrust23THRUST_200600_302600_NS5tupleIblNS6_9null_typeES8_S8_S8_S8_S8_S8_S8_EEEEZNS1_11reduce_implILb1ES3_NS6_12zip_iteratorINS7_INS6_11hip_rocprim26transform_input_iterator_tIbNSD_35transform_pair_of_input_iterators_tIbNS6_6detail15normal_iteratorINS6_10device_ptrIKsEEEESL_NS6_8equal_toIsEEEENSG_9not_fun_tINSD_8identityEEEEENSD_19counting_iterator_tIlEES8_S8_S8_S8_S8_S8_S8_S8_EEEEPS9_S9_NSD_9__find_if7functorIS9_EEEE10hipError_tPvRmT1_T2_T3_mT4_P12ihipStream_tbEUlT_E1_NS1_11comp_targetILNS1_3genE10ELNS1_11target_archE1200ELNS1_3gpuE4ELNS1_3repE0EEENS1_30default_config_static_selectorELNS0_4arch9wavefront6targetE1EEEvS14_
	.globl	_ZN7rocprim17ROCPRIM_400000_NS6detail17trampoline_kernelINS0_14default_configENS1_22reduce_config_selectorIN6thrust23THRUST_200600_302600_NS5tupleIblNS6_9null_typeES8_S8_S8_S8_S8_S8_S8_EEEEZNS1_11reduce_implILb1ES3_NS6_12zip_iteratorINS7_INS6_11hip_rocprim26transform_input_iterator_tIbNSD_35transform_pair_of_input_iterators_tIbNS6_6detail15normal_iteratorINS6_10device_ptrIKsEEEESL_NS6_8equal_toIsEEEENSG_9not_fun_tINSD_8identityEEEEENSD_19counting_iterator_tIlEES8_S8_S8_S8_S8_S8_S8_S8_EEEEPS9_S9_NSD_9__find_if7functorIS9_EEEE10hipError_tPvRmT1_T2_T3_mT4_P12ihipStream_tbEUlT_E1_NS1_11comp_targetILNS1_3genE10ELNS1_11target_archE1200ELNS1_3gpuE4ELNS1_3repE0EEENS1_30default_config_static_selectorELNS0_4arch9wavefront6targetE1EEEvS14_
	.p2align	8
	.type	_ZN7rocprim17ROCPRIM_400000_NS6detail17trampoline_kernelINS0_14default_configENS1_22reduce_config_selectorIN6thrust23THRUST_200600_302600_NS5tupleIblNS6_9null_typeES8_S8_S8_S8_S8_S8_S8_EEEEZNS1_11reduce_implILb1ES3_NS6_12zip_iteratorINS7_INS6_11hip_rocprim26transform_input_iterator_tIbNSD_35transform_pair_of_input_iterators_tIbNS6_6detail15normal_iteratorINS6_10device_ptrIKsEEEESL_NS6_8equal_toIsEEEENSG_9not_fun_tINSD_8identityEEEEENSD_19counting_iterator_tIlEES8_S8_S8_S8_S8_S8_S8_S8_EEEEPS9_S9_NSD_9__find_if7functorIS9_EEEE10hipError_tPvRmT1_T2_T3_mT4_P12ihipStream_tbEUlT_E1_NS1_11comp_targetILNS1_3genE10ELNS1_11target_archE1200ELNS1_3gpuE4ELNS1_3repE0EEENS1_30default_config_static_selectorELNS0_4arch9wavefront6targetE1EEEvS14_,@function
_ZN7rocprim17ROCPRIM_400000_NS6detail17trampoline_kernelINS0_14default_configENS1_22reduce_config_selectorIN6thrust23THRUST_200600_302600_NS5tupleIblNS6_9null_typeES8_S8_S8_S8_S8_S8_S8_EEEEZNS1_11reduce_implILb1ES3_NS6_12zip_iteratorINS7_INS6_11hip_rocprim26transform_input_iterator_tIbNSD_35transform_pair_of_input_iterators_tIbNS6_6detail15normal_iteratorINS6_10device_ptrIKsEEEESL_NS6_8equal_toIsEEEENSG_9not_fun_tINSD_8identityEEEEENSD_19counting_iterator_tIlEES8_S8_S8_S8_S8_S8_S8_S8_EEEEPS9_S9_NSD_9__find_if7functorIS9_EEEE10hipError_tPvRmT1_T2_T3_mT4_P12ihipStream_tbEUlT_E1_NS1_11comp_targetILNS1_3genE10ELNS1_11target_archE1200ELNS1_3gpuE4ELNS1_3repE0EEENS1_30default_config_static_selectorELNS0_4arch9wavefront6targetE1EEEvS14_: ; @_ZN7rocprim17ROCPRIM_400000_NS6detail17trampoline_kernelINS0_14default_configENS1_22reduce_config_selectorIN6thrust23THRUST_200600_302600_NS5tupleIblNS6_9null_typeES8_S8_S8_S8_S8_S8_S8_EEEEZNS1_11reduce_implILb1ES3_NS6_12zip_iteratorINS7_INS6_11hip_rocprim26transform_input_iterator_tIbNSD_35transform_pair_of_input_iterators_tIbNS6_6detail15normal_iteratorINS6_10device_ptrIKsEEEESL_NS6_8equal_toIsEEEENSG_9not_fun_tINSD_8identityEEEEENSD_19counting_iterator_tIlEES8_S8_S8_S8_S8_S8_S8_S8_EEEEPS9_S9_NSD_9__find_if7functorIS9_EEEE10hipError_tPvRmT1_T2_T3_mT4_P12ihipStream_tbEUlT_E1_NS1_11comp_targetILNS1_3genE10ELNS1_11target_archE1200ELNS1_3gpuE4ELNS1_3repE0EEENS1_30default_config_static_selectorELNS0_4arch9wavefront6targetE1EEEvS14_
; %bb.0:
	.section	.rodata,"a",@progbits
	.p2align	6, 0x0
	.amdhsa_kernel _ZN7rocprim17ROCPRIM_400000_NS6detail17trampoline_kernelINS0_14default_configENS1_22reduce_config_selectorIN6thrust23THRUST_200600_302600_NS5tupleIblNS6_9null_typeES8_S8_S8_S8_S8_S8_S8_EEEEZNS1_11reduce_implILb1ES3_NS6_12zip_iteratorINS7_INS6_11hip_rocprim26transform_input_iterator_tIbNSD_35transform_pair_of_input_iterators_tIbNS6_6detail15normal_iteratorINS6_10device_ptrIKsEEEESL_NS6_8equal_toIsEEEENSG_9not_fun_tINSD_8identityEEEEENSD_19counting_iterator_tIlEES8_S8_S8_S8_S8_S8_S8_S8_EEEEPS9_S9_NSD_9__find_if7functorIS9_EEEE10hipError_tPvRmT1_T2_T3_mT4_P12ihipStream_tbEUlT_E1_NS1_11comp_targetILNS1_3genE10ELNS1_11target_archE1200ELNS1_3gpuE4ELNS1_3repE0EEENS1_30default_config_static_selectorELNS0_4arch9wavefront6targetE1EEEvS14_
		.amdhsa_group_segment_fixed_size 0
		.amdhsa_private_segment_fixed_size 0
		.amdhsa_kernarg_size 88
		.amdhsa_user_sgpr_count 6
		.amdhsa_user_sgpr_private_segment_buffer 1
		.amdhsa_user_sgpr_dispatch_ptr 0
		.amdhsa_user_sgpr_queue_ptr 0
		.amdhsa_user_sgpr_kernarg_segment_ptr 1
		.amdhsa_user_sgpr_dispatch_id 0
		.amdhsa_user_sgpr_flat_scratch_init 0
		.amdhsa_user_sgpr_kernarg_preload_length 0
		.amdhsa_user_sgpr_kernarg_preload_offset 0
		.amdhsa_user_sgpr_private_segment_size 0
		.amdhsa_uses_dynamic_stack 0
		.amdhsa_system_sgpr_private_segment_wavefront_offset 0
		.amdhsa_system_sgpr_workgroup_id_x 1
		.amdhsa_system_sgpr_workgroup_id_y 0
		.amdhsa_system_sgpr_workgroup_id_z 0
		.amdhsa_system_sgpr_workgroup_info 0
		.amdhsa_system_vgpr_workitem_id 0
		.amdhsa_next_free_vgpr 1
		.amdhsa_next_free_sgpr 0
		.amdhsa_accum_offset 4
		.amdhsa_reserve_vcc 0
		.amdhsa_reserve_flat_scratch 0
		.amdhsa_float_round_mode_32 0
		.amdhsa_float_round_mode_16_64 0
		.amdhsa_float_denorm_mode_32 3
		.amdhsa_float_denorm_mode_16_64 3
		.amdhsa_dx10_clamp 1
		.amdhsa_ieee_mode 1
		.amdhsa_fp16_overflow 0
		.amdhsa_tg_split 0
		.amdhsa_exception_fp_ieee_invalid_op 0
		.amdhsa_exception_fp_denorm_src 0
		.amdhsa_exception_fp_ieee_div_zero 0
		.amdhsa_exception_fp_ieee_overflow 0
		.amdhsa_exception_fp_ieee_underflow 0
		.amdhsa_exception_fp_ieee_inexact 0
		.amdhsa_exception_int_div_zero 0
	.end_amdhsa_kernel
	.section	.text._ZN7rocprim17ROCPRIM_400000_NS6detail17trampoline_kernelINS0_14default_configENS1_22reduce_config_selectorIN6thrust23THRUST_200600_302600_NS5tupleIblNS6_9null_typeES8_S8_S8_S8_S8_S8_S8_EEEEZNS1_11reduce_implILb1ES3_NS6_12zip_iteratorINS7_INS6_11hip_rocprim26transform_input_iterator_tIbNSD_35transform_pair_of_input_iterators_tIbNS6_6detail15normal_iteratorINS6_10device_ptrIKsEEEESL_NS6_8equal_toIsEEEENSG_9not_fun_tINSD_8identityEEEEENSD_19counting_iterator_tIlEES8_S8_S8_S8_S8_S8_S8_S8_EEEEPS9_S9_NSD_9__find_if7functorIS9_EEEE10hipError_tPvRmT1_T2_T3_mT4_P12ihipStream_tbEUlT_E1_NS1_11comp_targetILNS1_3genE10ELNS1_11target_archE1200ELNS1_3gpuE4ELNS1_3repE0EEENS1_30default_config_static_selectorELNS0_4arch9wavefront6targetE1EEEvS14_,"axG",@progbits,_ZN7rocprim17ROCPRIM_400000_NS6detail17trampoline_kernelINS0_14default_configENS1_22reduce_config_selectorIN6thrust23THRUST_200600_302600_NS5tupleIblNS6_9null_typeES8_S8_S8_S8_S8_S8_S8_EEEEZNS1_11reduce_implILb1ES3_NS6_12zip_iteratorINS7_INS6_11hip_rocprim26transform_input_iterator_tIbNSD_35transform_pair_of_input_iterators_tIbNS6_6detail15normal_iteratorINS6_10device_ptrIKsEEEESL_NS6_8equal_toIsEEEENSG_9not_fun_tINSD_8identityEEEEENSD_19counting_iterator_tIlEES8_S8_S8_S8_S8_S8_S8_S8_EEEEPS9_S9_NSD_9__find_if7functorIS9_EEEE10hipError_tPvRmT1_T2_T3_mT4_P12ihipStream_tbEUlT_E1_NS1_11comp_targetILNS1_3genE10ELNS1_11target_archE1200ELNS1_3gpuE4ELNS1_3repE0EEENS1_30default_config_static_selectorELNS0_4arch9wavefront6targetE1EEEvS14_,comdat
.Lfunc_end976:
	.size	_ZN7rocprim17ROCPRIM_400000_NS6detail17trampoline_kernelINS0_14default_configENS1_22reduce_config_selectorIN6thrust23THRUST_200600_302600_NS5tupleIblNS6_9null_typeES8_S8_S8_S8_S8_S8_S8_EEEEZNS1_11reduce_implILb1ES3_NS6_12zip_iteratorINS7_INS6_11hip_rocprim26transform_input_iterator_tIbNSD_35transform_pair_of_input_iterators_tIbNS6_6detail15normal_iteratorINS6_10device_ptrIKsEEEESL_NS6_8equal_toIsEEEENSG_9not_fun_tINSD_8identityEEEEENSD_19counting_iterator_tIlEES8_S8_S8_S8_S8_S8_S8_S8_EEEEPS9_S9_NSD_9__find_if7functorIS9_EEEE10hipError_tPvRmT1_T2_T3_mT4_P12ihipStream_tbEUlT_E1_NS1_11comp_targetILNS1_3genE10ELNS1_11target_archE1200ELNS1_3gpuE4ELNS1_3repE0EEENS1_30default_config_static_selectorELNS0_4arch9wavefront6targetE1EEEvS14_, .Lfunc_end976-_ZN7rocprim17ROCPRIM_400000_NS6detail17trampoline_kernelINS0_14default_configENS1_22reduce_config_selectorIN6thrust23THRUST_200600_302600_NS5tupleIblNS6_9null_typeES8_S8_S8_S8_S8_S8_S8_EEEEZNS1_11reduce_implILb1ES3_NS6_12zip_iteratorINS7_INS6_11hip_rocprim26transform_input_iterator_tIbNSD_35transform_pair_of_input_iterators_tIbNS6_6detail15normal_iteratorINS6_10device_ptrIKsEEEESL_NS6_8equal_toIsEEEENSG_9not_fun_tINSD_8identityEEEEENSD_19counting_iterator_tIlEES8_S8_S8_S8_S8_S8_S8_S8_EEEEPS9_S9_NSD_9__find_if7functorIS9_EEEE10hipError_tPvRmT1_T2_T3_mT4_P12ihipStream_tbEUlT_E1_NS1_11comp_targetILNS1_3genE10ELNS1_11target_archE1200ELNS1_3gpuE4ELNS1_3repE0EEENS1_30default_config_static_selectorELNS0_4arch9wavefront6targetE1EEEvS14_
                                        ; -- End function
	.section	.AMDGPU.csdata,"",@progbits
; Kernel info:
; codeLenInByte = 0
; NumSgprs: 4
; NumVgprs: 0
; NumAgprs: 0
; TotalNumVgprs: 0
; ScratchSize: 0
; MemoryBound: 0
; FloatMode: 240
; IeeeMode: 1
; LDSByteSize: 0 bytes/workgroup (compile time only)
; SGPRBlocks: 0
; VGPRBlocks: 0
; NumSGPRsForWavesPerEU: 4
; NumVGPRsForWavesPerEU: 1
; AccumOffset: 4
; Occupancy: 8
; WaveLimiterHint : 0
; COMPUTE_PGM_RSRC2:SCRATCH_EN: 0
; COMPUTE_PGM_RSRC2:USER_SGPR: 6
; COMPUTE_PGM_RSRC2:TRAP_HANDLER: 0
; COMPUTE_PGM_RSRC2:TGID_X_EN: 1
; COMPUTE_PGM_RSRC2:TGID_Y_EN: 0
; COMPUTE_PGM_RSRC2:TGID_Z_EN: 0
; COMPUTE_PGM_RSRC2:TIDIG_COMP_CNT: 0
; COMPUTE_PGM_RSRC3_GFX90A:ACCUM_OFFSET: 0
; COMPUTE_PGM_RSRC3_GFX90A:TG_SPLIT: 0
	.section	.text._ZN7rocprim17ROCPRIM_400000_NS6detail17trampoline_kernelINS0_14default_configENS1_22reduce_config_selectorIN6thrust23THRUST_200600_302600_NS5tupleIblNS6_9null_typeES8_S8_S8_S8_S8_S8_S8_EEEEZNS1_11reduce_implILb1ES3_NS6_12zip_iteratorINS7_INS6_11hip_rocprim26transform_input_iterator_tIbNSD_35transform_pair_of_input_iterators_tIbNS6_6detail15normal_iteratorINS6_10device_ptrIKsEEEESL_NS6_8equal_toIsEEEENSG_9not_fun_tINSD_8identityEEEEENSD_19counting_iterator_tIlEES8_S8_S8_S8_S8_S8_S8_S8_EEEEPS9_S9_NSD_9__find_if7functorIS9_EEEE10hipError_tPvRmT1_T2_T3_mT4_P12ihipStream_tbEUlT_E1_NS1_11comp_targetILNS1_3genE9ELNS1_11target_archE1100ELNS1_3gpuE3ELNS1_3repE0EEENS1_30default_config_static_selectorELNS0_4arch9wavefront6targetE1EEEvS14_,"axG",@progbits,_ZN7rocprim17ROCPRIM_400000_NS6detail17trampoline_kernelINS0_14default_configENS1_22reduce_config_selectorIN6thrust23THRUST_200600_302600_NS5tupleIblNS6_9null_typeES8_S8_S8_S8_S8_S8_S8_EEEEZNS1_11reduce_implILb1ES3_NS6_12zip_iteratorINS7_INS6_11hip_rocprim26transform_input_iterator_tIbNSD_35transform_pair_of_input_iterators_tIbNS6_6detail15normal_iteratorINS6_10device_ptrIKsEEEESL_NS6_8equal_toIsEEEENSG_9not_fun_tINSD_8identityEEEEENSD_19counting_iterator_tIlEES8_S8_S8_S8_S8_S8_S8_S8_EEEEPS9_S9_NSD_9__find_if7functorIS9_EEEE10hipError_tPvRmT1_T2_T3_mT4_P12ihipStream_tbEUlT_E1_NS1_11comp_targetILNS1_3genE9ELNS1_11target_archE1100ELNS1_3gpuE3ELNS1_3repE0EEENS1_30default_config_static_selectorELNS0_4arch9wavefront6targetE1EEEvS14_,comdat
	.protected	_ZN7rocprim17ROCPRIM_400000_NS6detail17trampoline_kernelINS0_14default_configENS1_22reduce_config_selectorIN6thrust23THRUST_200600_302600_NS5tupleIblNS6_9null_typeES8_S8_S8_S8_S8_S8_S8_EEEEZNS1_11reduce_implILb1ES3_NS6_12zip_iteratorINS7_INS6_11hip_rocprim26transform_input_iterator_tIbNSD_35transform_pair_of_input_iterators_tIbNS6_6detail15normal_iteratorINS6_10device_ptrIKsEEEESL_NS6_8equal_toIsEEEENSG_9not_fun_tINSD_8identityEEEEENSD_19counting_iterator_tIlEES8_S8_S8_S8_S8_S8_S8_S8_EEEEPS9_S9_NSD_9__find_if7functorIS9_EEEE10hipError_tPvRmT1_T2_T3_mT4_P12ihipStream_tbEUlT_E1_NS1_11comp_targetILNS1_3genE9ELNS1_11target_archE1100ELNS1_3gpuE3ELNS1_3repE0EEENS1_30default_config_static_selectorELNS0_4arch9wavefront6targetE1EEEvS14_ ; -- Begin function _ZN7rocprim17ROCPRIM_400000_NS6detail17trampoline_kernelINS0_14default_configENS1_22reduce_config_selectorIN6thrust23THRUST_200600_302600_NS5tupleIblNS6_9null_typeES8_S8_S8_S8_S8_S8_S8_EEEEZNS1_11reduce_implILb1ES3_NS6_12zip_iteratorINS7_INS6_11hip_rocprim26transform_input_iterator_tIbNSD_35transform_pair_of_input_iterators_tIbNS6_6detail15normal_iteratorINS6_10device_ptrIKsEEEESL_NS6_8equal_toIsEEEENSG_9not_fun_tINSD_8identityEEEEENSD_19counting_iterator_tIlEES8_S8_S8_S8_S8_S8_S8_S8_EEEEPS9_S9_NSD_9__find_if7functorIS9_EEEE10hipError_tPvRmT1_T2_T3_mT4_P12ihipStream_tbEUlT_E1_NS1_11comp_targetILNS1_3genE9ELNS1_11target_archE1100ELNS1_3gpuE3ELNS1_3repE0EEENS1_30default_config_static_selectorELNS0_4arch9wavefront6targetE1EEEvS14_
	.globl	_ZN7rocprim17ROCPRIM_400000_NS6detail17trampoline_kernelINS0_14default_configENS1_22reduce_config_selectorIN6thrust23THRUST_200600_302600_NS5tupleIblNS6_9null_typeES8_S8_S8_S8_S8_S8_S8_EEEEZNS1_11reduce_implILb1ES3_NS6_12zip_iteratorINS7_INS6_11hip_rocprim26transform_input_iterator_tIbNSD_35transform_pair_of_input_iterators_tIbNS6_6detail15normal_iteratorINS6_10device_ptrIKsEEEESL_NS6_8equal_toIsEEEENSG_9not_fun_tINSD_8identityEEEEENSD_19counting_iterator_tIlEES8_S8_S8_S8_S8_S8_S8_S8_EEEEPS9_S9_NSD_9__find_if7functorIS9_EEEE10hipError_tPvRmT1_T2_T3_mT4_P12ihipStream_tbEUlT_E1_NS1_11comp_targetILNS1_3genE9ELNS1_11target_archE1100ELNS1_3gpuE3ELNS1_3repE0EEENS1_30default_config_static_selectorELNS0_4arch9wavefront6targetE1EEEvS14_
	.p2align	8
	.type	_ZN7rocprim17ROCPRIM_400000_NS6detail17trampoline_kernelINS0_14default_configENS1_22reduce_config_selectorIN6thrust23THRUST_200600_302600_NS5tupleIblNS6_9null_typeES8_S8_S8_S8_S8_S8_S8_EEEEZNS1_11reduce_implILb1ES3_NS6_12zip_iteratorINS7_INS6_11hip_rocprim26transform_input_iterator_tIbNSD_35transform_pair_of_input_iterators_tIbNS6_6detail15normal_iteratorINS6_10device_ptrIKsEEEESL_NS6_8equal_toIsEEEENSG_9not_fun_tINSD_8identityEEEEENSD_19counting_iterator_tIlEES8_S8_S8_S8_S8_S8_S8_S8_EEEEPS9_S9_NSD_9__find_if7functorIS9_EEEE10hipError_tPvRmT1_T2_T3_mT4_P12ihipStream_tbEUlT_E1_NS1_11comp_targetILNS1_3genE9ELNS1_11target_archE1100ELNS1_3gpuE3ELNS1_3repE0EEENS1_30default_config_static_selectorELNS0_4arch9wavefront6targetE1EEEvS14_,@function
_ZN7rocprim17ROCPRIM_400000_NS6detail17trampoline_kernelINS0_14default_configENS1_22reduce_config_selectorIN6thrust23THRUST_200600_302600_NS5tupleIblNS6_9null_typeES8_S8_S8_S8_S8_S8_S8_EEEEZNS1_11reduce_implILb1ES3_NS6_12zip_iteratorINS7_INS6_11hip_rocprim26transform_input_iterator_tIbNSD_35transform_pair_of_input_iterators_tIbNS6_6detail15normal_iteratorINS6_10device_ptrIKsEEEESL_NS6_8equal_toIsEEEENSG_9not_fun_tINSD_8identityEEEEENSD_19counting_iterator_tIlEES8_S8_S8_S8_S8_S8_S8_S8_EEEEPS9_S9_NSD_9__find_if7functorIS9_EEEE10hipError_tPvRmT1_T2_T3_mT4_P12ihipStream_tbEUlT_E1_NS1_11comp_targetILNS1_3genE9ELNS1_11target_archE1100ELNS1_3gpuE3ELNS1_3repE0EEENS1_30default_config_static_selectorELNS0_4arch9wavefront6targetE1EEEvS14_: ; @_ZN7rocprim17ROCPRIM_400000_NS6detail17trampoline_kernelINS0_14default_configENS1_22reduce_config_selectorIN6thrust23THRUST_200600_302600_NS5tupleIblNS6_9null_typeES8_S8_S8_S8_S8_S8_S8_EEEEZNS1_11reduce_implILb1ES3_NS6_12zip_iteratorINS7_INS6_11hip_rocprim26transform_input_iterator_tIbNSD_35transform_pair_of_input_iterators_tIbNS6_6detail15normal_iteratorINS6_10device_ptrIKsEEEESL_NS6_8equal_toIsEEEENSG_9not_fun_tINSD_8identityEEEEENSD_19counting_iterator_tIlEES8_S8_S8_S8_S8_S8_S8_S8_EEEEPS9_S9_NSD_9__find_if7functorIS9_EEEE10hipError_tPvRmT1_T2_T3_mT4_P12ihipStream_tbEUlT_E1_NS1_11comp_targetILNS1_3genE9ELNS1_11target_archE1100ELNS1_3gpuE3ELNS1_3repE0EEENS1_30default_config_static_selectorELNS0_4arch9wavefront6targetE1EEEvS14_
; %bb.0:
	.section	.rodata,"a",@progbits
	.p2align	6, 0x0
	.amdhsa_kernel _ZN7rocprim17ROCPRIM_400000_NS6detail17trampoline_kernelINS0_14default_configENS1_22reduce_config_selectorIN6thrust23THRUST_200600_302600_NS5tupleIblNS6_9null_typeES8_S8_S8_S8_S8_S8_S8_EEEEZNS1_11reduce_implILb1ES3_NS6_12zip_iteratorINS7_INS6_11hip_rocprim26transform_input_iterator_tIbNSD_35transform_pair_of_input_iterators_tIbNS6_6detail15normal_iteratorINS6_10device_ptrIKsEEEESL_NS6_8equal_toIsEEEENSG_9not_fun_tINSD_8identityEEEEENSD_19counting_iterator_tIlEES8_S8_S8_S8_S8_S8_S8_S8_EEEEPS9_S9_NSD_9__find_if7functorIS9_EEEE10hipError_tPvRmT1_T2_T3_mT4_P12ihipStream_tbEUlT_E1_NS1_11comp_targetILNS1_3genE9ELNS1_11target_archE1100ELNS1_3gpuE3ELNS1_3repE0EEENS1_30default_config_static_selectorELNS0_4arch9wavefront6targetE1EEEvS14_
		.amdhsa_group_segment_fixed_size 0
		.amdhsa_private_segment_fixed_size 0
		.amdhsa_kernarg_size 88
		.amdhsa_user_sgpr_count 6
		.amdhsa_user_sgpr_private_segment_buffer 1
		.amdhsa_user_sgpr_dispatch_ptr 0
		.amdhsa_user_sgpr_queue_ptr 0
		.amdhsa_user_sgpr_kernarg_segment_ptr 1
		.amdhsa_user_sgpr_dispatch_id 0
		.amdhsa_user_sgpr_flat_scratch_init 0
		.amdhsa_user_sgpr_kernarg_preload_length 0
		.amdhsa_user_sgpr_kernarg_preload_offset 0
		.amdhsa_user_sgpr_private_segment_size 0
		.amdhsa_uses_dynamic_stack 0
		.amdhsa_system_sgpr_private_segment_wavefront_offset 0
		.amdhsa_system_sgpr_workgroup_id_x 1
		.amdhsa_system_sgpr_workgroup_id_y 0
		.amdhsa_system_sgpr_workgroup_id_z 0
		.amdhsa_system_sgpr_workgroup_info 0
		.amdhsa_system_vgpr_workitem_id 0
		.amdhsa_next_free_vgpr 1
		.amdhsa_next_free_sgpr 0
		.amdhsa_accum_offset 4
		.amdhsa_reserve_vcc 0
		.amdhsa_reserve_flat_scratch 0
		.amdhsa_float_round_mode_32 0
		.amdhsa_float_round_mode_16_64 0
		.amdhsa_float_denorm_mode_32 3
		.amdhsa_float_denorm_mode_16_64 3
		.amdhsa_dx10_clamp 1
		.amdhsa_ieee_mode 1
		.amdhsa_fp16_overflow 0
		.amdhsa_tg_split 0
		.amdhsa_exception_fp_ieee_invalid_op 0
		.amdhsa_exception_fp_denorm_src 0
		.amdhsa_exception_fp_ieee_div_zero 0
		.amdhsa_exception_fp_ieee_overflow 0
		.amdhsa_exception_fp_ieee_underflow 0
		.amdhsa_exception_fp_ieee_inexact 0
		.amdhsa_exception_int_div_zero 0
	.end_amdhsa_kernel
	.section	.text._ZN7rocprim17ROCPRIM_400000_NS6detail17trampoline_kernelINS0_14default_configENS1_22reduce_config_selectorIN6thrust23THRUST_200600_302600_NS5tupleIblNS6_9null_typeES8_S8_S8_S8_S8_S8_S8_EEEEZNS1_11reduce_implILb1ES3_NS6_12zip_iteratorINS7_INS6_11hip_rocprim26transform_input_iterator_tIbNSD_35transform_pair_of_input_iterators_tIbNS6_6detail15normal_iteratorINS6_10device_ptrIKsEEEESL_NS6_8equal_toIsEEEENSG_9not_fun_tINSD_8identityEEEEENSD_19counting_iterator_tIlEES8_S8_S8_S8_S8_S8_S8_S8_EEEEPS9_S9_NSD_9__find_if7functorIS9_EEEE10hipError_tPvRmT1_T2_T3_mT4_P12ihipStream_tbEUlT_E1_NS1_11comp_targetILNS1_3genE9ELNS1_11target_archE1100ELNS1_3gpuE3ELNS1_3repE0EEENS1_30default_config_static_selectorELNS0_4arch9wavefront6targetE1EEEvS14_,"axG",@progbits,_ZN7rocprim17ROCPRIM_400000_NS6detail17trampoline_kernelINS0_14default_configENS1_22reduce_config_selectorIN6thrust23THRUST_200600_302600_NS5tupleIblNS6_9null_typeES8_S8_S8_S8_S8_S8_S8_EEEEZNS1_11reduce_implILb1ES3_NS6_12zip_iteratorINS7_INS6_11hip_rocprim26transform_input_iterator_tIbNSD_35transform_pair_of_input_iterators_tIbNS6_6detail15normal_iteratorINS6_10device_ptrIKsEEEESL_NS6_8equal_toIsEEEENSG_9not_fun_tINSD_8identityEEEEENSD_19counting_iterator_tIlEES8_S8_S8_S8_S8_S8_S8_S8_EEEEPS9_S9_NSD_9__find_if7functorIS9_EEEE10hipError_tPvRmT1_T2_T3_mT4_P12ihipStream_tbEUlT_E1_NS1_11comp_targetILNS1_3genE9ELNS1_11target_archE1100ELNS1_3gpuE3ELNS1_3repE0EEENS1_30default_config_static_selectorELNS0_4arch9wavefront6targetE1EEEvS14_,comdat
.Lfunc_end977:
	.size	_ZN7rocprim17ROCPRIM_400000_NS6detail17trampoline_kernelINS0_14default_configENS1_22reduce_config_selectorIN6thrust23THRUST_200600_302600_NS5tupleIblNS6_9null_typeES8_S8_S8_S8_S8_S8_S8_EEEEZNS1_11reduce_implILb1ES3_NS6_12zip_iteratorINS7_INS6_11hip_rocprim26transform_input_iterator_tIbNSD_35transform_pair_of_input_iterators_tIbNS6_6detail15normal_iteratorINS6_10device_ptrIKsEEEESL_NS6_8equal_toIsEEEENSG_9not_fun_tINSD_8identityEEEEENSD_19counting_iterator_tIlEES8_S8_S8_S8_S8_S8_S8_S8_EEEEPS9_S9_NSD_9__find_if7functorIS9_EEEE10hipError_tPvRmT1_T2_T3_mT4_P12ihipStream_tbEUlT_E1_NS1_11comp_targetILNS1_3genE9ELNS1_11target_archE1100ELNS1_3gpuE3ELNS1_3repE0EEENS1_30default_config_static_selectorELNS0_4arch9wavefront6targetE1EEEvS14_, .Lfunc_end977-_ZN7rocprim17ROCPRIM_400000_NS6detail17trampoline_kernelINS0_14default_configENS1_22reduce_config_selectorIN6thrust23THRUST_200600_302600_NS5tupleIblNS6_9null_typeES8_S8_S8_S8_S8_S8_S8_EEEEZNS1_11reduce_implILb1ES3_NS6_12zip_iteratorINS7_INS6_11hip_rocprim26transform_input_iterator_tIbNSD_35transform_pair_of_input_iterators_tIbNS6_6detail15normal_iteratorINS6_10device_ptrIKsEEEESL_NS6_8equal_toIsEEEENSG_9not_fun_tINSD_8identityEEEEENSD_19counting_iterator_tIlEES8_S8_S8_S8_S8_S8_S8_S8_EEEEPS9_S9_NSD_9__find_if7functorIS9_EEEE10hipError_tPvRmT1_T2_T3_mT4_P12ihipStream_tbEUlT_E1_NS1_11comp_targetILNS1_3genE9ELNS1_11target_archE1100ELNS1_3gpuE3ELNS1_3repE0EEENS1_30default_config_static_selectorELNS0_4arch9wavefront6targetE1EEEvS14_
                                        ; -- End function
	.section	.AMDGPU.csdata,"",@progbits
; Kernel info:
; codeLenInByte = 0
; NumSgprs: 4
; NumVgprs: 0
; NumAgprs: 0
; TotalNumVgprs: 0
; ScratchSize: 0
; MemoryBound: 0
; FloatMode: 240
; IeeeMode: 1
; LDSByteSize: 0 bytes/workgroup (compile time only)
; SGPRBlocks: 0
; VGPRBlocks: 0
; NumSGPRsForWavesPerEU: 4
; NumVGPRsForWavesPerEU: 1
; AccumOffset: 4
; Occupancy: 8
; WaveLimiterHint : 0
; COMPUTE_PGM_RSRC2:SCRATCH_EN: 0
; COMPUTE_PGM_RSRC2:USER_SGPR: 6
; COMPUTE_PGM_RSRC2:TRAP_HANDLER: 0
; COMPUTE_PGM_RSRC2:TGID_X_EN: 1
; COMPUTE_PGM_RSRC2:TGID_Y_EN: 0
; COMPUTE_PGM_RSRC2:TGID_Z_EN: 0
; COMPUTE_PGM_RSRC2:TIDIG_COMP_CNT: 0
; COMPUTE_PGM_RSRC3_GFX90A:ACCUM_OFFSET: 0
; COMPUTE_PGM_RSRC3_GFX90A:TG_SPLIT: 0
	.section	.text._ZN7rocprim17ROCPRIM_400000_NS6detail17trampoline_kernelINS0_14default_configENS1_22reduce_config_selectorIN6thrust23THRUST_200600_302600_NS5tupleIblNS6_9null_typeES8_S8_S8_S8_S8_S8_S8_EEEEZNS1_11reduce_implILb1ES3_NS6_12zip_iteratorINS7_INS6_11hip_rocprim26transform_input_iterator_tIbNSD_35transform_pair_of_input_iterators_tIbNS6_6detail15normal_iteratorINS6_10device_ptrIKsEEEESL_NS6_8equal_toIsEEEENSG_9not_fun_tINSD_8identityEEEEENSD_19counting_iterator_tIlEES8_S8_S8_S8_S8_S8_S8_S8_EEEEPS9_S9_NSD_9__find_if7functorIS9_EEEE10hipError_tPvRmT1_T2_T3_mT4_P12ihipStream_tbEUlT_E1_NS1_11comp_targetILNS1_3genE8ELNS1_11target_archE1030ELNS1_3gpuE2ELNS1_3repE0EEENS1_30default_config_static_selectorELNS0_4arch9wavefront6targetE1EEEvS14_,"axG",@progbits,_ZN7rocprim17ROCPRIM_400000_NS6detail17trampoline_kernelINS0_14default_configENS1_22reduce_config_selectorIN6thrust23THRUST_200600_302600_NS5tupleIblNS6_9null_typeES8_S8_S8_S8_S8_S8_S8_EEEEZNS1_11reduce_implILb1ES3_NS6_12zip_iteratorINS7_INS6_11hip_rocprim26transform_input_iterator_tIbNSD_35transform_pair_of_input_iterators_tIbNS6_6detail15normal_iteratorINS6_10device_ptrIKsEEEESL_NS6_8equal_toIsEEEENSG_9not_fun_tINSD_8identityEEEEENSD_19counting_iterator_tIlEES8_S8_S8_S8_S8_S8_S8_S8_EEEEPS9_S9_NSD_9__find_if7functorIS9_EEEE10hipError_tPvRmT1_T2_T3_mT4_P12ihipStream_tbEUlT_E1_NS1_11comp_targetILNS1_3genE8ELNS1_11target_archE1030ELNS1_3gpuE2ELNS1_3repE0EEENS1_30default_config_static_selectorELNS0_4arch9wavefront6targetE1EEEvS14_,comdat
	.protected	_ZN7rocprim17ROCPRIM_400000_NS6detail17trampoline_kernelINS0_14default_configENS1_22reduce_config_selectorIN6thrust23THRUST_200600_302600_NS5tupleIblNS6_9null_typeES8_S8_S8_S8_S8_S8_S8_EEEEZNS1_11reduce_implILb1ES3_NS6_12zip_iteratorINS7_INS6_11hip_rocprim26transform_input_iterator_tIbNSD_35transform_pair_of_input_iterators_tIbNS6_6detail15normal_iteratorINS6_10device_ptrIKsEEEESL_NS6_8equal_toIsEEEENSG_9not_fun_tINSD_8identityEEEEENSD_19counting_iterator_tIlEES8_S8_S8_S8_S8_S8_S8_S8_EEEEPS9_S9_NSD_9__find_if7functorIS9_EEEE10hipError_tPvRmT1_T2_T3_mT4_P12ihipStream_tbEUlT_E1_NS1_11comp_targetILNS1_3genE8ELNS1_11target_archE1030ELNS1_3gpuE2ELNS1_3repE0EEENS1_30default_config_static_selectorELNS0_4arch9wavefront6targetE1EEEvS14_ ; -- Begin function _ZN7rocprim17ROCPRIM_400000_NS6detail17trampoline_kernelINS0_14default_configENS1_22reduce_config_selectorIN6thrust23THRUST_200600_302600_NS5tupleIblNS6_9null_typeES8_S8_S8_S8_S8_S8_S8_EEEEZNS1_11reduce_implILb1ES3_NS6_12zip_iteratorINS7_INS6_11hip_rocprim26transform_input_iterator_tIbNSD_35transform_pair_of_input_iterators_tIbNS6_6detail15normal_iteratorINS6_10device_ptrIKsEEEESL_NS6_8equal_toIsEEEENSG_9not_fun_tINSD_8identityEEEEENSD_19counting_iterator_tIlEES8_S8_S8_S8_S8_S8_S8_S8_EEEEPS9_S9_NSD_9__find_if7functorIS9_EEEE10hipError_tPvRmT1_T2_T3_mT4_P12ihipStream_tbEUlT_E1_NS1_11comp_targetILNS1_3genE8ELNS1_11target_archE1030ELNS1_3gpuE2ELNS1_3repE0EEENS1_30default_config_static_selectorELNS0_4arch9wavefront6targetE1EEEvS14_
	.globl	_ZN7rocprim17ROCPRIM_400000_NS6detail17trampoline_kernelINS0_14default_configENS1_22reduce_config_selectorIN6thrust23THRUST_200600_302600_NS5tupleIblNS6_9null_typeES8_S8_S8_S8_S8_S8_S8_EEEEZNS1_11reduce_implILb1ES3_NS6_12zip_iteratorINS7_INS6_11hip_rocprim26transform_input_iterator_tIbNSD_35transform_pair_of_input_iterators_tIbNS6_6detail15normal_iteratorINS6_10device_ptrIKsEEEESL_NS6_8equal_toIsEEEENSG_9not_fun_tINSD_8identityEEEEENSD_19counting_iterator_tIlEES8_S8_S8_S8_S8_S8_S8_S8_EEEEPS9_S9_NSD_9__find_if7functorIS9_EEEE10hipError_tPvRmT1_T2_T3_mT4_P12ihipStream_tbEUlT_E1_NS1_11comp_targetILNS1_3genE8ELNS1_11target_archE1030ELNS1_3gpuE2ELNS1_3repE0EEENS1_30default_config_static_selectorELNS0_4arch9wavefront6targetE1EEEvS14_
	.p2align	8
	.type	_ZN7rocprim17ROCPRIM_400000_NS6detail17trampoline_kernelINS0_14default_configENS1_22reduce_config_selectorIN6thrust23THRUST_200600_302600_NS5tupleIblNS6_9null_typeES8_S8_S8_S8_S8_S8_S8_EEEEZNS1_11reduce_implILb1ES3_NS6_12zip_iteratorINS7_INS6_11hip_rocprim26transform_input_iterator_tIbNSD_35transform_pair_of_input_iterators_tIbNS6_6detail15normal_iteratorINS6_10device_ptrIKsEEEESL_NS6_8equal_toIsEEEENSG_9not_fun_tINSD_8identityEEEEENSD_19counting_iterator_tIlEES8_S8_S8_S8_S8_S8_S8_S8_EEEEPS9_S9_NSD_9__find_if7functorIS9_EEEE10hipError_tPvRmT1_T2_T3_mT4_P12ihipStream_tbEUlT_E1_NS1_11comp_targetILNS1_3genE8ELNS1_11target_archE1030ELNS1_3gpuE2ELNS1_3repE0EEENS1_30default_config_static_selectorELNS0_4arch9wavefront6targetE1EEEvS14_,@function
_ZN7rocprim17ROCPRIM_400000_NS6detail17trampoline_kernelINS0_14default_configENS1_22reduce_config_selectorIN6thrust23THRUST_200600_302600_NS5tupleIblNS6_9null_typeES8_S8_S8_S8_S8_S8_S8_EEEEZNS1_11reduce_implILb1ES3_NS6_12zip_iteratorINS7_INS6_11hip_rocprim26transform_input_iterator_tIbNSD_35transform_pair_of_input_iterators_tIbNS6_6detail15normal_iteratorINS6_10device_ptrIKsEEEESL_NS6_8equal_toIsEEEENSG_9not_fun_tINSD_8identityEEEEENSD_19counting_iterator_tIlEES8_S8_S8_S8_S8_S8_S8_S8_EEEEPS9_S9_NSD_9__find_if7functorIS9_EEEE10hipError_tPvRmT1_T2_T3_mT4_P12ihipStream_tbEUlT_E1_NS1_11comp_targetILNS1_3genE8ELNS1_11target_archE1030ELNS1_3gpuE2ELNS1_3repE0EEENS1_30default_config_static_selectorELNS0_4arch9wavefront6targetE1EEEvS14_: ; @_ZN7rocprim17ROCPRIM_400000_NS6detail17trampoline_kernelINS0_14default_configENS1_22reduce_config_selectorIN6thrust23THRUST_200600_302600_NS5tupleIblNS6_9null_typeES8_S8_S8_S8_S8_S8_S8_EEEEZNS1_11reduce_implILb1ES3_NS6_12zip_iteratorINS7_INS6_11hip_rocprim26transform_input_iterator_tIbNSD_35transform_pair_of_input_iterators_tIbNS6_6detail15normal_iteratorINS6_10device_ptrIKsEEEESL_NS6_8equal_toIsEEEENSG_9not_fun_tINSD_8identityEEEEENSD_19counting_iterator_tIlEES8_S8_S8_S8_S8_S8_S8_S8_EEEEPS9_S9_NSD_9__find_if7functorIS9_EEEE10hipError_tPvRmT1_T2_T3_mT4_P12ihipStream_tbEUlT_E1_NS1_11comp_targetILNS1_3genE8ELNS1_11target_archE1030ELNS1_3gpuE2ELNS1_3repE0EEENS1_30default_config_static_selectorELNS0_4arch9wavefront6targetE1EEEvS14_
; %bb.0:
	.section	.rodata,"a",@progbits
	.p2align	6, 0x0
	.amdhsa_kernel _ZN7rocprim17ROCPRIM_400000_NS6detail17trampoline_kernelINS0_14default_configENS1_22reduce_config_selectorIN6thrust23THRUST_200600_302600_NS5tupleIblNS6_9null_typeES8_S8_S8_S8_S8_S8_S8_EEEEZNS1_11reduce_implILb1ES3_NS6_12zip_iteratorINS7_INS6_11hip_rocprim26transform_input_iterator_tIbNSD_35transform_pair_of_input_iterators_tIbNS6_6detail15normal_iteratorINS6_10device_ptrIKsEEEESL_NS6_8equal_toIsEEEENSG_9not_fun_tINSD_8identityEEEEENSD_19counting_iterator_tIlEES8_S8_S8_S8_S8_S8_S8_S8_EEEEPS9_S9_NSD_9__find_if7functorIS9_EEEE10hipError_tPvRmT1_T2_T3_mT4_P12ihipStream_tbEUlT_E1_NS1_11comp_targetILNS1_3genE8ELNS1_11target_archE1030ELNS1_3gpuE2ELNS1_3repE0EEENS1_30default_config_static_selectorELNS0_4arch9wavefront6targetE1EEEvS14_
		.amdhsa_group_segment_fixed_size 0
		.amdhsa_private_segment_fixed_size 0
		.amdhsa_kernarg_size 88
		.amdhsa_user_sgpr_count 6
		.amdhsa_user_sgpr_private_segment_buffer 1
		.amdhsa_user_sgpr_dispatch_ptr 0
		.amdhsa_user_sgpr_queue_ptr 0
		.amdhsa_user_sgpr_kernarg_segment_ptr 1
		.amdhsa_user_sgpr_dispatch_id 0
		.amdhsa_user_sgpr_flat_scratch_init 0
		.amdhsa_user_sgpr_kernarg_preload_length 0
		.amdhsa_user_sgpr_kernarg_preload_offset 0
		.amdhsa_user_sgpr_private_segment_size 0
		.amdhsa_uses_dynamic_stack 0
		.amdhsa_system_sgpr_private_segment_wavefront_offset 0
		.amdhsa_system_sgpr_workgroup_id_x 1
		.amdhsa_system_sgpr_workgroup_id_y 0
		.amdhsa_system_sgpr_workgroup_id_z 0
		.amdhsa_system_sgpr_workgroup_info 0
		.amdhsa_system_vgpr_workitem_id 0
		.amdhsa_next_free_vgpr 1
		.amdhsa_next_free_sgpr 0
		.amdhsa_accum_offset 4
		.amdhsa_reserve_vcc 0
		.amdhsa_reserve_flat_scratch 0
		.amdhsa_float_round_mode_32 0
		.amdhsa_float_round_mode_16_64 0
		.amdhsa_float_denorm_mode_32 3
		.amdhsa_float_denorm_mode_16_64 3
		.amdhsa_dx10_clamp 1
		.amdhsa_ieee_mode 1
		.amdhsa_fp16_overflow 0
		.amdhsa_tg_split 0
		.amdhsa_exception_fp_ieee_invalid_op 0
		.amdhsa_exception_fp_denorm_src 0
		.amdhsa_exception_fp_ieee_div_zero 0
		.amdhsa_exception_fp_ieee_overflow 0
		.amdhsa_exception_fp_ieee_underflow 0
		.amdhsa_exception_fp_ieee_inexact 0
		.amdhsa_exception_int_div_zero 0
	.end_amdhsa_kernel
	.section	.text._ZN7rocprim17ROCPRIM_400000_NS6detail17trampoline_kernelINS0_14default_configENS1_22reduce_config_selectorIN6thrust23THRUST_200600_302600_NS5tupleIblNS6_9null_typeES8_S8_S8_S8_S8_S8_S8_EEEEZNS1_11reduce_implILb1ES3_NS6_12zip_iteratorINS7_INS6_11hip_rocprim26transform_input_iterator_tIbNSD_35transform_pair_of_input_iterators_tIbNS6_6detail15normal_iteratorINS6_10device_ptrIKsEEEESL_NS6_8equal_toIsEEEENSG_9not_fun_tINSD_8identityEEEEENSD_19counting_iterator_tIlEES8_S8_S8_S8_S8_S8_S8_S8_EEEEPS9_S9_NSD_9__find_if7functorIS9_EEEE10hipError_tPvRmT1_T2_T3_mT4_P12ihipStream_tbEUlT_E1_NS1_11comp_targetILNS1_3genE8ELNS1_11target_archE1030ELNS1_3gpuE2ELNS1_3repE0EEENS1_30default_config_static_selectorELNS0_4arch9wavefront6targetE1EEEvS14_,"axG",@progbits,_ZN7rocprim17ROCPRIM_400000_NS6detail17trampoline_kernelINS0_14default_configENS1_22reduce_config_selectorIN6thrust23THRUST_200600_302600_NS5tupleIblNS6_9null_typeES8_S8_S8_S8_S8_S8_S8_EEEEZNS1_11reduce_implILb1ES3_NS6_12zip_iteratorINS7_INS6_11hip_rocprim26transform_input_iterator_tIbNSD_35transform_pair_of_input_iterators_tIbNS6_6detail15normal_iteratorINS6_10device_ptrIKsEEEESL_NS6_8equal_toIsEEEENSG_9not_fun_tINSD_8identityEEEEENSD_19counting_iterator_tIlEES8_S8_S8_S8_S8_S8_S8_S8_EEEEPS9_S9_NSD_9__find_if7functorIS9_EEEE10hipError_tPvRmT1_T2_T3_mT4_P12ihipStream_tbEUlT_E1_NS1_11comp_targetILNS1_3genE8ELNS1_11target_archE1030ELNS1_3gpuE2ELNS1_3repE0EEENS1_30default_config_static_selectorELNS0_4arch9wavefront6targetE1EEEvS14_,comdat
.Lfunc_end978:
	.size	_ZN7rocprim17ROCPRIM_400000_NS6detail17trampoline_kernelINS0_14default_configENS1_22reduce_config_selectorIN6thrust23THRUST_200600_302600_NS5tupleIblNS6_9null_typeES8_S8_S8_S8_S8_S8_S8_EEEEZNS1_11reduce_implILb1ES3_NS6_12zip_iteratorINS7_INS6_11hip_rocprim26transform_input_iterator_tIbNSD_35transform_pair_of_input_iterators_tIbNS6_6detail15normal_iteratorINS6_10device_ptrIKsEEEESL_NS6_8equal_toIsEEEENSG_9not_fun_tINSD_8identityEEEEENSD_19counting_iterator_tIlEES8_S8_S8_S8_S8_S8_S8_S8_EEEEPS9_S9_NSD_9__find_if7functorIS9_EEEE10hipError_tPvRmT1_T2_T3_mT4_P12ihipStream_tbEUlT_E1_NS1_11comp_targetILNS1_3genE8ELNS1_11target_archE1030ELNS1_3gpuE2ELNS1_3repE0EEENS1_30default_config_static_selectorELNS0_4arch9wavefront6targetE1EEEvS14_, .Lfunc_end978-_ZN7rocprim17ROCPRIM_400000_NS6detail17trampoline_kernelINS0_14default_configENS1_22reduce_config_selectorIN6thrust23THRUST_200600_302600_NS5tupleIblNS6_9null_typeES8_S8_S8_S8_S8_S8_S8_EEEEZNS1_11reduce_implILb1ES3_NS6_12zip_iteratorINS7_INS6_11hip_rocprim26transform_input_iterator_tIbNSD_35transform_pair_of_input_iterators_tIbNS6_6detail15normal_iteratorINS6_10device_ptrIKsEEEESL_NS6_8equal_toIsEEEENSG_9not_fun_tINSD_8identityEEEEENSD_19counting_iterator_tIlEES8_S8_S8_S8_S8_S8_S8_S8_EEEEPS9_S9_NSD_9__find_if7functorIS9_EEEE10hipError_tPvRmT1_T2_T3_mT4_P12ihipStream_tbEUlT_E1_NS1_11comp_targetILNS1_3genE8ELNS1_11target_archE1030ELNS1_3gpuE2ELNS1_3repE0EEENS1_30default_config_static_selectorELNS0_4arch9wavefront6targetE1EEEvS14_
                                        ; -- End function
	.section	.AMDGPU.csdata,"",@progbits
; Kernel info:
; codeLenInByte = 0
; NumSgprs: 4
; NumVgprs: 0
; NumAgprs: 0
; TotalNumVgprs: 0
; ScratchSize: 0
; MemoryBound: 0
; FloatMode: 240
; IeeeMode: 1
; LDSByteSize: 0 bytes/workgroup (compile time only)
; SGPRBlocks: 0
; VGPRBlocks: 0
; NumSGPRsForWavesPerEU: 4
; NumVGPRsForWavesPerEU: 1
; AccumOffset: 4
; Occupancy: 8
; WaveLimiterHint : 0
; COMPUTE_PGM_RSRC2:SCRATCH_EN: 0
; COMPUTE_PGM_RSRC2:USER_SGPR: 6
; COMPUTE_PGM_RSRC2:TRAP_HANDLER: 0
; COMPUTE_PGM_RSRC2:TGID_X_EN: 1
; COMPUTE_PGM_RSRC2:TGID_Y_EN: 0
; COMPUTE_PGM_RSRC2:TGID_Z_EN: 0
; COMPUTE_PGM_RSRC2:TIDIG_COMP_CNT: 0
; COMPUTE_PGM_RSRC3_GFX90A:ACCUM_OFFSET: 0
; COMPUTE_PGM_RSRC3_GFX90A:TG_SPLIT: 0
	.section	.text._ZN7rocprim17ROCPRIM_400000_NS6detail17trampoline_kernelINS0_14default_configENS1_20scan_config_selectorIsEEZZNS1_9scan_implILNS1_25lookback_scan_determinismE0ELb1ELb1ES3_N6thrust23THRUST_200600_302600_NS6detail15normal_iteratorINS9_10device_ptrIsEEEESE_sNS9_4plusIvEEsEEDaPvRmT3_T4_T5_mT6_P12ihipStream_tbENKUlT_T0_E_clISt17integral_constantIbLb0EESU_EEDaSP_SQ_EUlSP_E_NS1_11comp_targetILNS1_3genE0ELNS1_11target_archE4294967295ELNS1_3gpuE0ELNS1_3repE0EEENS1_30default_config_static_selectorELNS0_4arch9wavefront6targetE1EEEvT1_,"axG",@progbits,_ZN7rocprim17ROCPRIM_400000_NS6detail17trampoline_kernelINS0_14default_configENS1_20scan_config_selectorIsEEZZNS1_9scan_implILNS1_25lookback_scan_determinismE0ELb1ELb1ES3_N6thrust23THRUST_200600_302600_NS6detail15normal_iteratorINS9_10device_ptrIsEEEESE_sNS9_4plusIvEEsEEDaPvRmT3_T4_T5_mT6_P12ihipStream_tbENKUlT_T0_E_clISt17integral_constantIbLb0EESU_EEDaSP_SQ_EUlSP_E_NS1_11comp_targetILNS1_3genE0ELNS1_11target_archE4294967295ELNS1_3gpuE0ELNS1_3repE0EEENS1_30default_config_static_selectorELNS0_4arch9wavefront6targetE1EEEvT1_,comdat
	.protected	_ZN7rocprim17ROCPRIM_400000_NS6detail17trampoline_kernelINS0_14default_configENS1_20scan_config_selectorIsEEZZNS1_9scan_implILNS1_25lookback_scan_determinismE0ELb1ELb1ES3_N6thrust23THRUST_200600_302600_NS6detail15normal_iteratorINS9_10device_ptrIsEEEESE_sNS9_4plusIvEEsEEDaPvRmT3_T4_T5_mT6_P12ihipStream_tbENKUlT_T0_E_clISt17integral_constantIbLb0EESU_EEDaSP_SQ_EUlSP_E_NS1_11comp_targetILNS1_3genE0ELNS1_11target_archE4294967295ELNS1_3gpuE0ELNS1_3repE0EEENS1_30default_config_static_selectorELNS0_4arch9wavefront6targetE1EEEvT1_ ; -- Begin function _ZN7rocprim17ROCPRIM_400000_NS6detail17trampoline_kernelINS0_14default_configENS1_20scan_config_selectorIsEEZZNS1_9scan_implILNS1_25lookback_scan_determinismE0ELb1ELb1ES3_N6thrust23THRUST_200600_302600_NS6detail15normal_iteratorINS9_10device_ptrIsEEEESE_sNS9_4plusIvEEsEEDaPvRmT3_T4_T5_mT6_P12ihipStream_tbENKUlT_T0_E_clISt17integral_constantIbLb0EESU_EEDaSP_SQ_EUlSP_E_NS1_11comp_targetILNS1_3genE0ELNS1_11target_archE4294967295ELNS1_3gpuE0ELNS1_3repE0EEENS1_30default_config_static_selectorELNS0_4arch9wavefront6targetE1EEEvT1_
	.globl	_ZN7rocprim17ROCPRIM_400000_NS6detail17trampoline_kernelINS0_14default_configENS1_20scan_config_selectorIsEEZZNS1_9scan_implILNS1_25lookback_scan_determinismE0ELb1ELb1ES3_N6thrust23THRUST_200600_302600_NS6detail15normal_iteratorINS9_10device_ptrIsEEEESE_sNS9_4plusIvEEsEEDaPvRmT3_T4_T5_mT6_P12ihipStream_tbENKUlT_T0_E_clISt17integral_constantIbLb0EESU_EEDaSP_SQ_EUlSP_E_NS1_11comp_targetILNS1_3genE0ELNS1_11target_archE4294967295ELNS1_3gpuE0ELNS1_3repE0EEENS1_30default_config_static_selectorELNS0_4arch9wavefront6targetE1EEEvT1_
	.p2align	8
	.type	_ZN7rocprim17ROCPRIM_400000_NS6detail17trampoline_kernelINS0_14default_configENS1_20scan_config_selectorIsEEZZNS1_9scan_implILNS1_25lookback_scan_determinismE0ELb1ELb1ES3_N6thrust23THRUST_200600_302600_NS6detail15normal_iteratorINS9_10device_ptrIsEEEESE_sNS9_4plusIvEEsEEDaPvRmT3_T4_T5_mT6_P12ihipStream_tbENKUlT_T0_E_clISt17integral_constantIbLb0EESU_EEDaSP_SQ_EUlSP_E_NS1_11comp_targetILNS1_3genE0ELNS1_11target_archE4294967295ELNS1_3gpuE0ELNS1_3repE0EEENS1_30default_config_static_selectorELNS0_4arch9wavefront6targetE1EEEvT1_,@function
_ZN7rocprim17ROCPRIM_400000_NS6detail17trampoline_kernelINS0_14default_configENS1_20scan_config_selectorIsEEZZNS1_9scan_implILNS1_25lookback_scan_determinismE0ELb1ELb1ES3_N6thrust23THRUST_200600_302600_NS6detail15normal_iteratorINS9_10device_ptrIsEEEESE_sNS9_4plusIvEEsEEDaPvRmT3_T4_T5_mT6_P12ihipStream_tbENKUlT_T0_E_clISt17integral_constantIbLb0EESU_EEDaSP_SQ_EUlSP_E_NS1_11comp_targetILNS1_3genE0ELNS1_11target_archE4294967295ELNS1_3gpuE0ELNS1_3repE0EEENS1_30default_config_static_selectorELNS0_4arch9wavefront6targetE1EEEvT1_: ; @_ZN7rocprim17ROCPRIM_400000_NS6detail17trampoline_kernelINS0_14default_configENS1_20scan_config_selectorIsEEZZNS1_9scan_implILNS1_25lookback_scan_determinismE0ELb1ELb1ES3_N6thrust23THRUST_200600_302600_NS6detail15normal_iteratorINS9_10device_ptrIsEEEESE_sNS9_4plusIvEEsEEDaPvRmT3_T4_T5_mT6_P12ihipStream_tbENKUlT_T0_E_clISt17integral_constantIbLb0EESU_EEDaSP_SQ_EUlSP_E_NS1_11comp_targetILNS1_3genE0ELNS1_11target_archE4294967295ELNS1_3gpuE0ELNS1_3repE0EEENS1_30default_config_static_selectorELNS0_4arch9wavefront6targetE1EEEvT1_
; %bb.0:
	.section	.rodata,"a",@progbits
	.p2align	6, 0x0
	.amdhsa_kernel _ZN7rocprim17ROCPRIM_400000_NS6detail17trampoline_kernelINS0_14default_configENS1_20scan_config_selectorIsEEZZNS1_9scan_implILNS1_25lookback_scan_determinismE0ELb1ELb1ES3_N6thrust23THRUST_200600_302600_NS6detail15normal_iteratorINS9_10device_ptrIsEEEESE_sNS9_4plusIvEEsEEDaPvRmT3_T4_T5_mT6_P12ihipStream_tbENKUlT_T0_E_clISt17integral_constantIbLb0EESU_EEDaSP_SQ_EUlSP_E_NS1_11comp_targetILNS1_3genE0ELNS1_11target_archE4294967295ELNS1_3gpuE0ELNS1_3repE0EEENS1_30default_config_static_selectorELNS0_4arch9wavefront6targetE1EEEvT1_
		.amdhsa_group_segment_fixed_size 0
		.amdhsa_private_segment_fixed_size 0
		.amdhsa_kernarg_size 96
		.amdhsa_user_sgpr_count 6
		.amdhsa_user_sgpr_private_segment_buffer 1
		.amdhsa_user_sgpr_dispatch_ptr 0
		.amdhsa_user_sgpr_queue_ptr 0
		.amdhsa_user_sgpr_kernarg_segment_ptr 1
		.amdhsa_user_sgpr_dispatch_id 0
		.amdhsa_user_sgpr_flat_scratch_init 0
		.amdhsa_user_sgpr_kernarg_preload_length 0
		.amdhsa_user_sgpr_kernarg_preload_offset 0
		.amdhsa_user_sgpr_private_segment_size 0
		.amdhsa_uses_dynamic_stack 0
		.amdhsa_system_sgpr_private_segment_wavefront_offset 0
		.amdhsa_system_sgpr_workgroup_id_x 1
		.amdhsa_system_sgpr_workgroup_id_y 0
		.amdhsa_system_sgpr_workgroup_id_z 0
		.amdhsa_system_sgpr_workgroup_info 0
		.amdhsa_system_vgpr_workitem_id 0
		.amdhsa_next_free_vgpr 1
		.amdhsa_next_free_sgpr 0
		.amdhsa_accum_offset 4
		.amdhsa_reserve_vcc 0
		.amdhsa_reserve_flat_scratch 0
		.amdhsa_float_round_mode_32 0
		.amdhsa_float_round_mode_16_64 0
		.amdhsa_float_denorm_mode_32 3
		.amdhsa_float_denorm_mode_16_64 3
		.amdhsa_dx10_clamp 1
		.amdhsa_ieee_mode 1
		.amdhsa_fp16_overflow 0
		.amdhsa_tg_split 0
		.amdhsa_exception_fp_ieee_invalid_op 0
		.amdhsa_exception_fp_denorm_src 0
		.amdhsa_exception_fp_ieee_div_zero 0
		.amdhsa_exception_fp_ieee_overflow 0
		.amdhsa_exception_fp_ieee_underflow 0
		.amdhsa_exception_fp_ieee_inexact 0
		.amdhsa_exception_int_div_zero 0
	.end_amdhsa_kernel
	.section	.text._ZN7rocprim17ROCPRIM_400000_NS6detail17trampoline_kernelINS0_14default_configENS1_20scan_config_selectorIsEEZZNS1_9scan_implILNS1_25lookback_scan_determinismE0ELb1ELb1ES3_N6thrust23THRUST_200600_302600_NS6detail15normal_iteratorINS9_10device_ptrIsEEEESE_sNS9_4plusIvEEsEEDaPvRmT3_T4_T5_mT6_P12ihipStream_tbENKUlT_T0_E_clISt17integral_constantIbLb0EESU_EEDaSP_SQ_EUlSP_E_NS1_11comp_targetILNS1_3genE0ELNS1_11target_archE4294967295ELNS1_3gpuE0ELNS1_3repE0EEENS1_30default_config_static_selectorELNS0_4arch9wavefront6targetE1EEEvT1_,"axG",@progbits,_ZN7rocprim17ROCPRIM_400000_NS6detail17trampoline_kernelINS0_14default_configENS1_20scan_config_selectorIsEEZZNS1_9scan_implILNS1_25lookback_scan_determinismE0ELb1ELb1ES3_N6thrust23THRUST_200600_302600_NS6detail15normal_iteratorINS9_10device_ptrIsEEEESE_sNS9_4plusIvEEsEEDaPvRmT3_T4_T5_mT6_P12ihipStream_tbENKUlT_T0_E_clISt17integral_constantIbLb0EESU_EEDaSP_SQ_EUlSP_E_NS1_11comp_targetILNS1_3genE0ELNS1_11target_archE4294967295ELNS1_3gpuE0ELNS1_3repE0EEENS1_30default_config_static_selectorELNS0_4arch9wavefront6targetE1EEEvT1_,comdat
.Lfunc_end979:
	.size	_ZN7rocprim17ROCPRIM_400000_NS6detail17trampoline_kernelINS0_14default_configENS1_20scan_config_selectorIsEEZZNS1_9scan_implILNS1_25lookback_scan_determinismE0ELb1ELb1ES3_N6thrust23THRUST_200600_302600_NS6detail15normal_iteratorINS9_10device_ptrIsEEEESE_sNS9_4plusIvEEsEEDaPvRmT3_T4_T5_mT6_P12ihipStream_tbENKUlT_T0_E_clISt17integral_constantIbLb0EESU_EEDaSP_SQ_EUlSP_E_NS1_11comp_targetILNS1_3genE0ELNS1_11target_archE4294967295ELNS1_3gpuE0ELNS1_3repE0EEENS1_30default_config_static_selectorELNS0_4arch9wavefront6targetE1EEEvT1_, .Lfunc_end979-_ZN7rocprim17ROCPRIM_400000_NS6detail17trampoline_kernelINS0_14default_configENS1_20scan_config_selectorIsEEZZNS1_9scan_implILNS1_25lookback_scan_determinismE0ELb1ELb1ES3_N6thrust23THRUST_200600_302600_NS6detail15normal_iteratorINS9_10device_ptrIsEEEESE_sNS9_4plusIvEEsEEDaPvRmT3_T4_T5_mT6_P12ihipStream_tbENKUlT_T0_E_clISt17integral_constantIbLb0EESU_EEDaSP_SQ_EUlSP_E_NS1_11comp_targetILNS1_3genE0ELNS1_11target_archE4294967295ELNS1_3gpuE0ELNS1_3repE0EEENS1_30default_config_static_selectorELNS0_4arch9wavefront6targetE1EEEvT1_
                                        ; -- End function
	.section	.AMDGPU.csdata,"",@progbits
; Kernel info:
; codeLenInByte = 0
; NumSgprs: 4
; NumVgprs: 0
; NumAgprs: 0
; TotalNumVgprs: 0
; ScratchSize: 0
; MemoryBound: 0
; FloatMode: 240
; IeeeMode: 1
; LDSByteSize: 0 bytes/workgroup (compile time only)
; SGPRBlocks: 0
; VGPRBlocks: 0
; NumSGPRsForWavesPerEU: 4
; NumVGPRsForWavesPerEU: 1
; AccumOffset: 4
; Occupancy: 8
; WaveLimiterHint : 0
; COMPUTE_PGM_RSRC2:SCRATCH_EN: 0
; COMPUTE_PGM_RSRC2:USER_SGPR: 6
; COMPUTE_PGM_RSRC2:TRAP_HANDLER: 0
; COMPUTE_PGM_RSRC2:TGID_X_EN: 1
; COMPUTE_PGM_RSRC2:TGID_Y_EN: 0
; COMPUTE_PGM_RSRC2:TGID_Z_EN: 0
; COMPUTE_PGM_RSRC2:TIDIG_COMP_CNT: 0
; COMPUTE_PGM_RSRC3_GFX90A:ACCUM_OFFSET: 0
; COMPUTE_PGM_RSRC3_GFX90A:TG_SPLIT: 0
	.section	.text._ZN7rocprim17ROCPRIM_400000_NS6detail17trampoline_kernelINS0_14default_configENS1_20scan_config_selectorIsEEZZNS1_9scan_implILNS1_25lookback_scan_determinismE0ELb1ELb1ES3_N6thrust23THRUST_200600_302600_NS6detail15normal_iteratorINS9_10device_ptrIsEEEESE_sNS9_4plusIvEEsEEDaPvRmT3_T4_T5_mT6_P12ihipStream_tbENKUlT_T0_E_clISt17integral_constantIbLb0EESU_EEDaSP_SQ_EUlSP_E_NS1_11comp_targetILNS1_3genE5ELNS1_11target_archE942ELNS1_3gpuE9ELNS1_3repE0EEENS1_30default_config_static_selectorELNS0_4arch9wavefront6targetE1EEEvT1_,"axG",@progbits,_ZN7rocprim17ROCPRIM_400000_NS6detail17trampoline_kernelINS0_14default_configENS1_20scan_config_selectorIsEEZZNS1_9scan_implILNS1_25lookback_scan_determinismE0ELb1ELb1ES3_N6thrust23THRUST_200600_302600_NS6detail15normal_iteratorINS9_10device_ptrIsEEEESE_sNS9_4plusIvEEsEEDaPvRmT3_T4_T5_mT6_P12ihipStream_tbENKUlT_T0_E_clISt17integral_constantIbLb0EESU_EEDaSP_SQ_EUlSP_E_NS1_11comp_targetILNS1_3genE5ELNS1_11target_archE942ELNS1_3gpuE9ELNS1_3repE0EEENS1_30default_config_static_selectorELNS0_4arch9wavefront6targetE1EEEvT1_,comdat
	.protected	_ZN7rocprim17ROCPRIM_400000_NS6detail17trampoline_kernelINS0_14default_configENS1_20scan_config_selectorIsEEZZNS1_9scan_implILNS1_25lookback_scan_determinismE0ELb1ELb1ES3_N6thrust23THRUST_200600_302600_NS6detail15normal_iteratorINS9_10device_ptrIsEEEESE_sNS9_4plusIvEEsEEDaPvRmT3_T4_T5_mT6_P12ihipStream_tbENKUlT_T0_E_clISt17integral_constantIbLb0EESU_EEDaSP_SQ_EUlSP_E_NS1_11comp_targetILNS1_3genE5ELNS1_11target_archE942ELNS1_3gpuE9ELNS1_3repE0EEENS1_30default_config_static_selectorELNS0_4arch9wavefront6targetE1EEEvT1_ ; -- Begin function _ZN7rocprim17ROCPRIM_400000_NS6detail17trampoline_kernelINS0_14default_configENS1_20scan_config_selectorIsEEZZNS1_9scan_implILNS1_25lookback_scan_determinismE0ELb1ELb1ES3_N6thrust23THRUST_200600_302600_NS6detail15normal_iteratorINS9_10device_ptrIsEEEESE_sNS9_4plusIvEEsEEDaPvRmT3_T4_T5_mT6_P12ihipStream_tbENKUlT_T0_E_clISt17integral_constantIbLb0EESU_EEDaSP_SQ_EUlSP_E_NS1_11comp_targetILNS1_3genE5ELNS1_11target_archE942ELNS1_3gpuE9ELNS1_3repE0EEENS1_30default_config_static_selectorELNS0_4arch9wavefront6targetE1EEEvT1_
	.globl	_ZN7rocprim17ROCPRIM_400000_NS6detail17trampoline_kernelINS0_14default_configENS1_20scan_config_selectorIsEEZZNS1_9scan_implILNS1_25lookback_scan_determinismE0ELb1ELb1ES3_N6thrust23THRUST_200600_302600_NS6detail15normal_iteratorINS9_10device_ptrIsEEEESE_sNS9_4plusIvEEsEEDaPvRmT3_T4_T5_mT6_P12ihipStream_tbENKUlT_T0_E_clISt17integral_constantIbLb0EESU_EEDaSP_SQ_EUlSP_E_NS1_11comp_targetILNS1_3genE5ELNS1_11target_archE942ELNS1_3gpuE9ELNS1_3repE0EEENS1_30default_config_static_selectorELNS0_4arch9wavefront6targetE1EEEvT1_
	.p2align	8
	.type	_ZN7rocprim17ROCPRIM_400000_NS6detail17trampoline_kernelINS0_14default_configENS1_20scan_config_selectorIsEEZZNS1_9scan_implILNS1_25lookback_scan_determinismE0ELb1ELb1ES3_N6thrust23THRUST_200600_302600_NS6detail15normal_iteratorINS9_10device_ptrIsEEEESE_sNS9_4plusIvEEsEEDaPvRmT3_T4_T5_mT6_P12ihipStream_tbENKUlT_T0_E_clISt17integral_constantIbLb0EESU_EEDaSP_SQ_EUlSP_E_NS1_11comp_targetILNS1_3genE5ELNS1_11target_archE942ELNS1_3gpuE9ELNS1_3repE0EEENS1_30default_config_static_selectorELNS0_4arch9wavefront6targetE1EEEvT1_,@function
_ZN7rocprim17ROCPRIM_400000_NS6detail17trampoline_kernelINS0_14default_configENS1_20scan_config_selectorIsEEZZNS1_9scan_implILNS1_25lookback_scan_determinismE0ELb1ELb1ES3_N6thrust23THRUST_200600_302600_NS6detail15normal_iteratorINS9_10device_ptrIsEEEESE_sNS9_4plusIvEEsEEDaPvRmT3_T4_T5_mT6_P12ihipStream_tbENKUlT_T0_E_clISt17integral_constantIbLb0EESU_EEDaSP_SQ_EUlSP_E_NS1_11comp_targetILNS1_3genE5ELNS1_11target_archE942ELNS1_3gpuE9ELNS1_3repE0EEENS1_30default_config_static_selectorELNS0_4arch9wavefront6targetE1EEEvT1_: ; @_ZN7rocprim17ROCPRIM_400000_NS6detail17trampoline_kernelINS0_14default_configENS1_20scan_config_selectorIsEEZZNS1_9scan_implILNS1_25lookback_scan_determinismE0ELb1ELb1ES3_N6thrust23THRUST_200600_302600_NS6detail15normal_iteratorINS9_10device_ptrIsEEEESE_sNS9_4plusIvEEsEEDaPvRmT3_T4_T5_mT6_P12ihipStream_tbENKUlT_T0_E_clISt17integral_constantIbLb0EESU_EEDaSP_SQ_EUlSP_E_NS1_11comp_targetILNS1_3genE5ELNS1_11target_archE942ELNS1_3gpuE9ELNS1_3repE0EEENS1_30default_config_static_selectorELNS0_4arch9wavefront6targetE1EEEvT1_
; %bb.0:
	.section	.rodata,"a",@progbits
	.p2align	6, 0x0
	.amdhsa_kernel _ZN7rocprim17ROCPRIM_400000_NS6detail17trampoline_kernelINS0_14default_configENS1_20scan_config_selectorIsEEZZNS1_9scan_implILNS1_25lookback_scan_determinismE0ELb1ELb1ES3_N6thrust23THRUST_200600_302600_NS6detail15normal_iteratorINS9_10device_ptrIsEEEESE_sNS9_4plusIvEEsEEDaPvRmT3_T4_T5_mT6_P12ihipStream_tbENKUlT_T0_E_clISt17integral_constantIbLb0EESU_EEDaSP_SQ_EUlSP_E_NS1_11comp_targetILNS1_3genE5ELNS1_11target_archE942ELNS1_3gpuE9ELNS1_3repE0EEENS1_30default_config_static_selectorELNS0_4arch9wavefront6targetE1EEEvT1_
		.amdhsa_group_segment_fixed_size 0
		.amdhsa_private_segment_fixed_size 0
		.amdhsa_kernarg_size 96
		.amdhsa_user_sgpr_count 6
		.amdhsa_user_sgpr_private_segment_buffer 1
		.amdhsa_user_sgpr_dispatch_ptr 0
		.amdhsa_user_sgpr_queue_ptr 0
		.amdhsa_user_sgpr_kernarg_segment_ptr 1
		.amdhsa_user_sgpr_dispatch_id 0
		.amdhsa_user_sgpr_flat_scratch_init 0
		.amdhsa_user_sgpr_kernarg_preload_length 0
		.amdhsa_user_sgpr_kernarg_preload_offset 0
		.amdhsa_user_sgpr_private_segment_size 0
		.amdhsa_uses_dynamic_stack 0
		.amdhsa_system_sgpr_private_segment_wavefront_offset 0
		.amdhsa_system_sgpr_workgroup_id_x 1
		.amdhsa_system_sgpr_workgroup_id_y 0
		.amdhsa_system_sgpr_workgroup_id_z 0
		.amdhsa_system_sgpr_workgroup_info 0
		.amdhsa_system_vgpr_workitem_id 0
		.amdhsa_next_free_vgpr 1
		.amdhsa_next_free_sgpr 0
		.amdhsa_accum_offset 4
		.amdhsa_reserve_vcc 0
		.amdhsa_reserve_flat_scratch 0
		.amdhsa_float_round_mode_32 0
		.amdhsa_float_round_mode_16_64 0
		.amdhsa_float_denorm_mode_32 3
		.amdhsa_float_denorm_mode_16_64 3
		.amdhsa_dx10_clamp 1
		.amdhsa_ieee_mode 1
		.amdhsa_fp16_overflow 0
		.amdhsa_tg_split 0
		.amdhsa_exception_fp_ieee_invalid_op 0
		.amdhsa_exception_fp_denorm_src 0
		.amdhsa_exception_fp_ieee_div_zero 0
		.amdhsa_exception_fp_ieee_overflow 0
		.amdhsa_exception_fp_ieee_underflow 0
		.amdhsa_exception_fp_ieee_inexact 0
		.amdhsa_exception_int_div_zero 0
	.end_amdhsa_kernel
	.section	.text._ZN7rocprim17ROCPRIM_400000_NS6detail17trampoline_kernelINS0_14default_configENS1_20scan_config_selectorIsEEZZNS1_9scan_implILNS1_25lookback_scan_determinismE0ELb1ELb1ES3_N6thrust23THRUST_200600_302600_NS6detail15normal_iteratorINS9_10device_ptrIsEEEESE_sNS9_4plusIvEEsEEDaPvRmT3_T4_T5_mT6_P12ihipStream_tbENKUlT_T0_E_clISt17integral_constantIbLb0EESU_EEDaSP_SQ_EUlSP_E_NS1_11comp_targetILNS1_3genE5ELNS1_11target_archE942ELNS1_3gpuE9ELNS1_3repE0EEENS1_30default_config_static_selectorELNS0_4arch9wavefront6targetE1EEEvT1_,"axG",@progbits,_ZN7rocprim17ROCPRIM_400000_NS6detail17trampoline_kernelINS0_14default_configENS1_20scan_config_selectorIsEEZZNS1_9scan_implILNS1_25lookback_scan_determinismE0ELb1ELb1ES3_N6thrust23THRUST_200600_302600_NS6detail15normal_iteratorINS9_10device_ptrIsEEEESE_sNS9_4plusIvEEsEEDaPvRmT3_T4_T5_mT6_P12ihipStream_tbENKUlT_T0_E_clISt17integral_constantIbLb0EESU_EEDaSP_SQ_EUlSP_E_NS1_11comp_targetILNS1_3genE5ELNS1_11target_archE942ELNS1_3gpuE9ELNS1_3repE0EEENS1_30default_config_static_selectorELNS0_4arch9wavefront6targetE1EEEvT1_,comdat
.Lfunc_end980:
	.size	_ZN7rocprim17ROCPRIM_400000_NS6detail17trampoline_kernelINS0_14default_configENS1_20scan_config_selectorIsEEZZNS1_9scan_implILNS1_25lookback_scan_determinismE0ELb1ELb1ES3_N6thrust23THRUST_200600_302600_NS6detail15normal_iteratorINS9_10device_ptrIsEEEESE_sNS9_4plusIvEEsEEDaPvRmT3_T4_T5_mT6_P12ihipStream_tbENKUlT_T0_E_clISt17integral_constantIbLb0EESU_EEDaSP_SQ_EUlSP_E_NS1_11comp_targetILNS1_3genE5ELNS1_11target_archE942ELNS1_3gpuE9ELNS1_3repE0EEENS1_30default_config_static_selectorELNS0_4arch9wavefront6targetE1EEEvT1_, .Lfunc_end980-_ZN7rocprim17ROCPRIM_400000_NS6detail17trampoline_kernelINS0_14default_configENS1_20scan_config_selectorIsEEZZNS1_9scan_implILNS1_25lookback_scan_determinismE0ELb1ELb1ES3_N6thrust23THRUST_200600_302600_NS6detail15normal_iteratorINS9_10device_ptrIsEEEESE_sNS9_4plusIvEEsEEDaPvRmT3_T4_T5_mT6_P12ihipStream_tbENKUlT_T0_E_clISt17integral_constantIbLb0EESU_EEDaSP_SQ_EUlSP_E_NS1_11comp_targetILNS1_3genE5ELNS1_11target_archE942ELNS1_3gpuE9ELNS1_3repE0EEENS1_30default_config_static_selectorELNS0_4arch9wavefront6targetE1EEEvT1_
                                        ; -- End function
	.section	.AMDGPU.csdata,"",@progbits
; Kernel info:
; codeLenInByte = 0
; NumSgprs: 4
; NumVgprs: 0
; NumAgprs: 0
; TotalNumVgprs: 0
; ScratchSize: 0
; MemoryBound: 0
; FloatMode: 240
; IeeeMode: 1
; LDSByteSize: 0 bytes/workgroup (compile time only)
; SGPRBlocks: 0
; VGPRBlocks: 0
; NumSGPRsForWavesPerEU: 4
; NumVGPRsForWavesPerEU: 1
; AccumOffset: 4
; Occupancy: 8
; WaveLimiterHint : 0
; COMPUTE_PGM_RSRC2:SCRATCH_EN: 0
; COMPUTE_PGM_RSRC2:USER_SGPR: 6
; COMPUTE_PGM_RSRC2:TRAP_HANDLER: 0
; COMPUTE_PGM_RSRC2:TGID_X_EN: 1
; COMPUTE_PGM_RSRC2:TGID_Y_EN: 0
; COMPUTE_PGM_RSRC2:TGID_Z_EN: 0
; COMPUTE_PGM_RSRC2:TIDIG_COMP_CNT: 0
; COMPUTE_PGM_RSRC3_GFX90A:ACCUM_OFFSET: 0
; COMPUTE_PGM_RSRC3_GFX90A:TG_SPLIT: 0
	.section	.text._ZN7rocprim17ROCPRIM_400000_NS6detail17trampoline_kernelINS0_14default_configENS1_20scan_config_selectorIsEEZZNS1_9scan_implILNS1_25lookback_scan_determinismE0ELb1ELb1ES3_N6thrust23THRUST_200600_302600_NS6detail15normal_iteratorINS9_10device_ptrIsEEEESE_sNS9_4plusIvEEsEEDaPvRmT3_T4_T5_mT6_P12ihipStream_tbENKUlT_T0_E_clISt17integral_constantIbLb0EESU_EEDaSP_SQ_EUlSP_E_NS1_11comp_targetILNS1_3genE4ELNS1_11target_archE910ELNS1_3gpuE8ELNS1_3repE0EEENS1_30default_config_static_selectorELNS0_4arch9wavefront6targetE1EEEvT1_,"axG",@progbits,_ZN7rocprim17ROCPRIM_400000_NS6detail17trampoline_kernelINS0_14default_configENS1_20scan_config_selectorIsEEZZNS1_9scan_implILNS1_25lookback_scan_determinismE0ELb1ELb1ES3_N6thrust23THRUST_200600_302600_NS6detail15normal_iteratorINS9_10device_ptrIsEEEESE_sNS9_4plusIvEEsEEDaPvRmT3_T4_T5_mT6_P12ihipStream_tbENKUlT_T0_E_clISt17integral_constantIbLb0EESU_EEDaSP_SQ_EUlSP_E_NS1_11comp_targetILNS1_3genE4ELNS1_11target_archE910ELNS1_3gpuE8ELNS1_3repE0EEENS1_30default_config_static_selectorELNS0_4arch9wavefront6targetE1EEEvT1_,comdat
	.protected	_ZN7rocprim17ROCPRIM_400000_NS6detail17trampoline_kernelINS0_14default_configENS1_20scan_config_selectorIsEEZZNS1_9scan_implILNS1_25lookback_scan_determinismE0ELb1ELb1ES3_N6thrust23THRUST_200600_302600_NS6detail15normal_iteratorINS9_10device_ptrIsEEEESE_sNS9_4plusIvEEsEEDaPvRmT3_T4_T5_mT6_P12ihipStream_tbENKUlT_T0_E_clISt17integral_constantIbLb0EESU_EEDaSP_SQ_EUlSP_E_NS1_11comp_targetILNS1_3genE4ELNS1_11target_archE910ELNS1_3gpuE8ELNS1_3repE0EEENS1_30default_config_static_selectorELNS0_4arch9wavefront6targetE1EEEvT1_ ; -- Begin function _ZN7rocprim17ROCPRIM_400000_NS6detail17trampoline_kernelINS0_14default_configENS1_20scan_config_selectorIsEEZZNS1_9scan_implILNS1_25lookback_scan_determinismE0ELb1ELb1ES3_N6thrust23THRUST_200600_302600_NS6detail15normal_iteratorINS9_10device_ptrIsEEEESE_sNS9_4plusIvEEsEEDaPvRmT3_T4_T5_mT6_P12ihipStream_tbENKUlT_T0_E_clISt17integral_constantIbLb0EESU_EEDaSP_SQ_EUlSP_E_NS1_11comp_targetILNS1_3genE4ELNS1_11target_archE910ELNS1_3gpuE8ELNS1_3repE0EEENS1_30default_config_static_selectorELNS0_4arch9wavefront6targetE1EEEvT1_
	.globl	_ZN7rocprim17ROCPRIM_400000_NS6detail17trampoline_kernelINS0_14default_configENS1_20scan_config_selectorIsEEZZNS1_9scan_implILNS1_25lookback_scan_determinismE0ELb1ELb1ES3_N6thrust23THRUST_200600_302600_NS6detail15normal_iteratorINS9_10device_ptrIsEEEESE_sNS9_4plusIvEEsEEDaPvRmT3_T4_T5_mT6_P12ihipStream_tbENKUlT_T0_E_clISt17integral_constantIbLb0EESU_EEDaSP_SQ_EUlSP_E_NS1_11comp_targetILNS1_3genE4ELNS1_11target_archE910ELNS1_3gpuE8ELNS1_3repE0EEENS1_30default_config_static_selectorELNS0_4arch9wavefront6targetE1EEEvT1_
	.p2align	8
	.type	_ZN7rocprim17ROCPRIM_400000_NS6detail17trampoline_kernelINS0_14default_configENS1_20scan_config_selectorIsEEZZNS1_9scan_implILNS1_25lookback_scan_determinismE0ELb1ELb1ES3_N6thrust23THRUST_200600_302600_NS6detail15normal_iteratorINS9_10device_ptrIsEEEESE_sNS9_4plusIvEEsEEDaPvRmT3_T4_T5_mT6_P12ihipStream_tbENKUlT_T0_E_clISt17integral_constantIbLb0EESU_EEDaSP_SQ_EUlSP_E_NS1_11comp_targetILNS1_3genE4ELNS1_11target_archE910ELNS1_3gpuE8ELNS1_3repE0EEENS1_30default_config_static_selectorELNS0_4arch9wavefront6targetE1EEEvT1_,@function
_ZN7rocprim17ROCPRIM_400000_NS6detail17trampoline_kernelINS0_14default_configENS1_20scan_config_selectorIsEEZZNS1_9scan_implILNS1_25lookback_scan_determinismE0ELb1ELb1ES3_N6thrust23THRUST_200600_302600_NS6detail15normal_iteratorINS9_10device_ptrIsEEEESE_sNS9_4plusIvEEsEEDaPvRmT3_T4_T5_mT6_P12ihipStream_tbENKUlT_T0_E_clISt17integral_constantIbLb0EESU_EEDaSP_SQ_EUlSP_E_NS1_11comp_targetILNS1_3genE4ELNS1_11target_archE910ELNS1_3gpuE8ELNS1_3repE0EEENS1_30default_config_static_selectorELNS0_4arch9wavefront6targetE1EEEvT1_: ; @_ZN7rocprim17ROCPRIM_400000_NS6detail17trampoline_kernelINS0_14default_configENS1_20scan_config_selectorIsEEZZNS1_9scan_implILNS1_25lookback_scan_determinismE0ELb1ELb1ES3_N6thrust23THRUST_200600_302600_NS6detail15normal_iteratorINS9_10device_ptrIsEEEESE_sNS9_4plusIvEEsEEDaPvRmT3_T4_T5_mT6_P12ihipStream_tbENKUlT_T0_E_clISt17integral_constantIbLb0EESU_EEDaSP_SQ_EUlSP_E_NS1_11comp_targetILNS1_3genE4ELNS1_11target_archE910ELNS1_3gpuE8ELNS1_3repE0EEENS1_30default_config_static_selectorELNS0_4arch9wavefront6targetE1EEEvT1_
; %bb.0:
	s_load_dwordx8 s[12:19], s[4:5], 0x0
	s_load_dword s1, s[4:5], 0x30
	s_mul_i32 s0, s6, 0x600
	v_lshlrev_b32_e32 v20, 1, v0
	s_waitcnt lgkmcnt(0)
	s_lshl_b64 s[22:23], s[14:15], 1
	s_add_u32 s27, s12, s22
	s_addc_u32 s28, s13, s23
	s_add_i32 s2, s1, -1
	s_mul_i32 s3, s2, 0x600
	s_sub_u32 s7, s18, s3
	s_subb_u32 s26, s19, 0
	s_mov_b32 s1, 0
	s_cmp_lg_u32 s6, s2
	s_cselect_b64 s[18:19], -1, 0
	s_lshl_b64 s[20:21], s[0:1], 1
	s_add_u32 s2, s27, s20
	s_addc_u32 s3, s28, s21
	s_mov_b64 s[0:1], -1
	s_and_b64 vcc, exec, s[18:19]
	s_cbranch_vccz .LBB981_2
; %bb.1:
	v_mov_b32_e32 v1, s3
	v_add_co_u32_e32 v2, vcc, s2, v20
	v_addc_co_u32_e32 v3, vcc, 0, v1, vcc
	flat_load_ushort v1, v[2:3]
	flat_load_ushort v4, v[2:3] offset:128
	flat_load_ushort v5, v[2:3] offset:256
	;; [unrolled: 1-line block ×23, first 2 shown]
	s_mov_b64 s[0:1], 0
	s_waitcnt vmcnt(0) lgkmcnt(0)
	ds_write_b16 v20, v1
	ds_write_b16 v20, v4 offset:128
	ds_write_b16 v20, v5 offset:256
	;; [unrolled: 1-line block ×23, first 2 shown]
	s_waitcnt lgkmcnt(0)
	; wave barrier
.LBB981_2:
	s_load_dwordx2 s[24:25], s[4:5], 0x28
	s_andn2_b64 vcc, exec, s[0:1]
	v_cmp_gt_u32_e64 s[0:1], s7, v0
	s_cbranch_vccnz .LBB981_52
; %bb.3:
	v_pk_mov_b32 v[2:3], s[2:3], s[2:3] op_sel:[0,1]
	flat_load_ushort v1, v[2:3]
	s_waitcnt vmcnt(0) lgkmcnt(0)
	v_mov_b32_e32 v2, v1
	s_and_saveexec_b64 s[8:9], s[0:1]
	s_cbranch_execz .LBB981_5
; %bb.4:
	v_mov_b32_e32 v3, s3
	v_add_co_u32_e32 v2, vcc, s2, v20
	v_addc_co_u32_e32 v3, vcc, 0, v3, vcc
	flat_load_ushort v2, v[2:3]
.LBB981_5:
	s_or_b64 exec, exec, s[8:9]
	v_or_b32_e32 v3, 64, v0
	v_cmp_gt_u32_e32 vcc, s7, v3
	v_mov_b32_e32 v3, v1
	s_and_saveexec_b64 s[0:1], vcc
	s_cbranch_execz .LBB981_7
; %bb.6:
	v_mov_b32_e32 v3, s3
	v_add_co_u32_e32 v4, vcc, s2, v20
	v_addc_co_u32_e32 v5, vcc, 0, v3, vcc
	flat_load_ushort v3, v[4:5] offset:128
.LBB981_7:
	s_or_b64 exec, exec, s[0:1]
	v_or_b32_e32 v4, 0x80, v0
	v_cmp_gt_u32_e32 vcc, s7, v4
	v_mov_b32_e32 v4, v1
	s_and_saveexec_b64 s[0:1], vcc
	s_cbranch_execz .LBB981_9
; %bb.8:
	v_mov_b32_e32 v5, s3
	v_add_co_u32_e32 v4, vcc, s2, v20
	v_addc_co_u32_e32 v5, vcc, 0, v5, vcc
	flat_load_ushort v4, v[4:5] offset:256
.LBB981_9:
	;; [unrolled: 12-line block ×22, first 2 shown]
	s_or_b64 exec, exec, s[0:1]
	v_or_b32_e32 v26, 0x5c0, v0
	v_cmp_gt_u32_e32 vcc, s7, v26
	s_and_saveexec_b64 s[0:1], vcc
	s_cbranch_execz .LBB981_51
; %bb.50:
	v_mov_b32_e32 v1, s3
	v_add_co_u32_e32 v26, vcc, s2, v20
	v_addc_co_u32_e32 v27, vcc, 0, v1, vcc
	flat_load_ushort v1, v[26:27] offset:2944
.LBB981_51:
	s_or_b64 exec, exec, s[0:1]
	s_waitcnt vmcnt(0) lgkmcnt(0)
	ds_write_b16 v20, v2
	ds_write_b16 v20, v3 offset:128
	ds_write_b16 v20, v4 offset:256
	;; [unrolled: 1-line block ×23, first 2 shown]
	s_waitcnt lgkmcnt(0)
	; wave barrier
.LBB981_52:
	v_mul_u32_u24_e32 v21, 24, v0
	v_lshlrev_b32_e32 v1, 1, v21
	s_waitcnt lgkmcnt(0)
	ds_read_b128 v[10:13], v1
	ds_read_b128 v[6:9], v1 offset:16
	ds_read_b128 v[2:5], v1 offset:32
	s_cmp_lg_u32 s6, 0
	v_mbcnt_lo_u32_b32 v22, -1, 0
	s_waitcnt lgkmcnt(2)
	v_add_u16_sdwa v14, v10, v10 dst_sel:DWORD dst_unused:UNUSED_PAD src0_sel:WORD_1 src1_sel:DWORD
	v_add_u16_e32 v23, v14, v11
	v_cmp_eq_u32_e32 vcc, 63, v0
	s_waitcnt lgkmcnt(0)
	; wave barrier
	s_waitcnt lgkmcnt(0)
	s_cbranch_scc0 .LBB981_75
; %bb.53:
	v_add_u16_sdwa v14, v23, v11 dst_sel:DWORD dst_unused:UNUSED_PAD src0_sel:DWORD src1_sel:WORD_1
	v_add_u16_e32 v14, v14, v12
	v_add_u16_sdwa v14, v14, v12 dst_sel:DWORD dst_unused:UNUSED_PAD src0_sel:DWORD src1_sel:WORD_1
	v_add_u16_e32 v14, v14, v13
	;; [unrolled: 2-line block ×10, first 2 shown]
	v_mbcnt_hi_u32_b32 v15, -1, v22
	v_add_u16_sdwa v14, v14, v5 dst_sel:DWORD dst_unused:UNUSED_PAD src0_sel:DWORD src1_sel:WORD_1
	v_and_b32_e32 v16, 15, v15
	v_cmp_ne_u32_e64 s[0:1], 0, v16
	v_mov_b32_dpp v17, v14 row_shr:1 row_mask:0xf bank_mask:0xf
	v_cndmask_b32_e64 v17, 0, v17, s[0:1]
	v_add_u16_e32 v14, v17, v14
	v_cmp_lt_u32_e64 s[0:1], 1, v16
	s_nop 0
	v_mov_b32_dpp v17, v14 row_shr:2 row_mask:0xf bank_mask:0xf
	v_cndmask_b32_e64 v17, 0, v17, s[0:1]
	v_add_u16_e32 v14, v14, v17
	v_cmp_lt_u32_e64 s[0:1], 3, v16
	s_nop 0
	;; [unrolled: 5-line block ×3, first 2 shown]
	v_mov_b32_dpp v17, v14 row_shr:8 row_mask:0xf bank_mask:0xf
	v_cndmask_b32_e64 v16, 0, v17, s[0:1]
	v_add_u16_e32 v14, v14, v16
	v_and_b32_e32 v17, 16, v15
	v_cmp_ne_u32_e64 s[0:1], 0, v17
	v_mov_b32_dpp v16, v14 row_bcast:15 row_mask:0xf bank_mask:0xf
	v_cndmask_b32_e64 v16, 0, v16, s[0:1]
	v_add_u16_e32 v14, v14, v16
	v_cmp_lt_u32_e64 s[0:1], 31, v15
	s_nop 0
	v_mov_b32_dpp v16, v14 row_bcast:31 row_mask:0xf bank_mask:0xf
	v_cndmask_b32_e64 v16, 0, v16, s[0:1]
	v_add_u16_e32 v14, v14, v16
	s_and_saveexec_b64 s[0:1], vcc
	s_cbranch_execz .LBB981_55
; %bb.54:
	v_mov_b32_e32 v16, 0
	ds_write_b16 v16, v14
.LBB981_55:
	s_or_b64 exec, exec, s[0:1]
	v_add_u32_e32 v16, -1, v15
	v_and_b32_e32 v17, 64, v15
	v_cmp_lt_i32_e32 vcc, v16, v17
	v_cndmask_b32_e32 v16, v16, v15, vcc
	v_lshlrev_b32_e32 v16, 2, v16
	ds_bpermute_b32 v24, v16, v14
	v_cmp_gt_u32_e32 vcc, 64, v0
	s_waitcnt lgkmcnt(0)
	; wave barrier
	s_waitcnt lgkmcnt(0)
	s_and_saveexec_b64 s[10:11], vcc
	s_cbranch_execz .LBB981_74
; %bb.56:
	v_mov_b32_e32 v17, 0
	ds_read_u16 v25, v17
	s_mov_b32 s9, 0
	v_cmp_eq_u32_e64 s[0:1], 0, v15
	s_and_saveexec_b64 s[2:3], s[0:1]
	s_cbranch_execz .LBB981_58
; %bb.57:
	s_add_i32 s8, s6, 64
	s_lshl_b64 s[8:9], s[8:9], 2
	s_add_u32 s8, s24, s8
	s_waitcnt lgkmcnt(0)
	v_or_b32_e32 v14, 0x10000, v25
	s_addc_u32 s9, s25, s9
	global_store_dword v17, v14, s[8:9]
.LBB981_58:
	s_or_b64 exec, exec, s[2:3]
	v_xad_u32 v14, v15, -1, s6
	v_add_u32_e32 v16, 64, v14
	v_lshlrev_b64 v[18:19], 2, v[16:17]
	v_mov_b32_e32 v16, s25
	v_add_co_u32_e32 v18, vcc, s24, v18
	v_addc_co_u32_e32 v19, vcc, v16, v19, vcc
	global_load_dword v38, v[18:19], off glc
	s_waitcnt vmcnt(0)
	v_lshrrev_b32_e32 v27, 16, v38
	v_cmp_eq_u16_sdwa s[8:9], v27, v17 src0_sel:BYTE_0 src1_sel:DWORD
	s_and_saveexec_b64 s[2:3], s[8:9]
	s_cbranch_execz .LBB981_62
; %bb.59:
	s_mov_b64 s[8:9], 0
	v_mov_b32_e32 v16, 0
.LBB981_60:                             ; =>This Inner Loop Header: Depth=1
	global_load_dword v38, v[18:19], off glc
	s_waitcnt vmcnt(0)
	v_lshrrev_b32_e32 v27, 16, v38
	v_cmp_ne_u16_sdwa s[12:13], v27, v16 src0_sel:BYTE_0 src1_sel:DWORD
	s_or_b64 s[8:9], s[12:13], s[8:9]
	s_andn2_b64 exec, exec, s[8:9]
	s_cbranch_execnz .LBB981_60
; %bb.61:
	s_or_b64 exec, exec, s[8:9]
.LBB981_62:
	s_or_b64 exec, exec, s[2:3]
	v_and_b32_e32 v28, 63, v15
	v_cmp_ne_u32_e32 vcc, 63, v28
	v_mov_b32_e32 v26, 2
	v_addc_co_u32_e32 v29, vcc, 0, v15, vcc
	v_cmp_eq_u16_sdwa s[2:3], v27, v26 src0_sel:BYTE_0 src1_sel:DWORD
	v_lshlrev_b64 v[16:17], v15, -1
	v_and_b32_e32 v30, 0xffff, v38
	v_lshlrev_b32_e32 v29, 2, v29
	v_and_b32_e32 v18, s3, v17
	ds_bpermute_b32 v31, v29, v30
	v_or_b32_e32 v18, 0x80000000, v18
	v_and_b32_e32 v19, s2, v16
	v_ffbl_b32_e32 v18, v18
	v_add_u32_e32 v18, 32, v18
	v_ffbl_b32_e32 v19, v19
	v_min_u32_e32 v18, v19, v18
	s_waitcnt lgkmcnt(0)
	v_add_u16_e32 v19, v31, v38
	v_cmp_lt_u32_e32 vcc, v28, v18
	v_cmp_gt_u32_e64 s[2:3], 62, v28
	v_cndmask_b32_e32 v32, v30, v19, vcc
	v_cndmask_b32_e64 v30, 0, 1, s[2:3]
	v_lshlrev_b32_e32 v30, 1, v30
	v_add_lshl_u32 v30, v30, v15, 2
	ds_bpermute_b32 v33, v30, v32
	v_cndmask_b32_e32 v19, v38, v19, vcc
	v_add_u32_e32 v31, 2, v28
	v_cmp_gt_u32_e64 s[2:3], v31, v18
	v_cmp_gt_u32_e64 s[8:9], 60, v28
	s_waitcnt lgkmcnt(0)
	v_add_u16_e32 v33, v19, v33
	v_cndmask_b32_e64 v34, v33, v32, s[2:3]
	v_cndmask_b32_e64 v32, 0, 1, s[8:9]
	v_lshlrev_b32_e32 v32, 2, v32
	v_add_lshl_u32 v32, v32, v15, 2
	ds_bpermute_b32 v35, v32, v34
	v_cndmask_b32_e64 v19, v33, v19, s[2:3]
	v_add_u32_e32 v33, 4, v28
	v_cmp_gt_u32_e64 s[2:3], v33, v18
	v_cmp_gt_u32_e64 s[8:9], 56, v28
	s_waitcnt lgkmcnt(0)
	v_add_u16_e32 v35, v19, v35
	v_cndmask_b32_e64 v36, v35, v34, s[2:3]
	v_cndmask_b32_e64 v34, 0, 1, s[8:9]
	v_lshlrev_b32_e32 v34, 3, v34
	v_add_lshl_u32 v34, v34, v15, 2
	ds_bpermute_b32 v37, v34, v36
	v_cndmask_b32_e64 v19, v35, v19, s[2:3]
	;; [unrolled: 11-line block ×3, first 2 shown]
	v_add_u32_e32 v37, 16, v28
	v_cmp_gt_u32_e64 s[2:3], v37, v18
	v_cmp_gt_u32_e64 s[8:9], 32, v28
	s_waitcnt lgkmcnt(0)
	v_add_u16_e32 v41, v19, v40
	v_cndmask_b32_e64 v40, v41, v39, s[2:3]
	v_cndmask_b32_e64 v39, 0, 1, s[8:9]
	v_lshlrev_b32_e32 v39, 5, v39
	v_add_lshl_u32 v39, v39, v15, 2
	ds_bpermute_b32 v15, v39, v40
	v_add_u32_e32 v40, 32, v28
	v_cndmask_b32_e64 v19, v41, v19, s[2:3]
	v_cmp_le_u32_e64 s[2:3], v40, v18
	s_waitcnt lgkmcnt(0)
	v_cndmask_b32_e64 v15, 0, v15, s[2:3]
	v_add_u16_e32 v15, v19, v15
	v_cndmask_b32_e32 v18, v38, v15, vcc
	v_mov_b32_e32 v15, 0
	s_branch .LBB981_64
.LBB981_63:                             ;   in Loop: Header=BB981_64 Depth=1
	s_or_b64 exec, exec, s[2:3]
	v_cmp_eq_u16_sdwa s[2:3], v27, v26 src0_sel:BYTE_0 src1_sel:DWORD
	v_and_b32_e32 v42, 0xffff, v41
	v_and_b32_e32 v18, s3, v17
	ds_bpermute_b32 v43, v29, v42
	v_or_b32_e32 v18, 0x80000000, v18
	v_and_b32_e32 v19, s2, v16
	v_ffbl_b32_e32 v18, v18
	v_add_u32_e32 v18, 32, v18
	v_ffbl_b32_e32 v19, v19
	v_min_u32_e32 v18, v19, v18
	s_waitcnt lgkmcnt(0)
	v_add_u16_e32 v19, v43, v41
	v_cmp_lt_u32_e32 vcc, v28, v18
	v_cndmask_b32_e32 v42, v42, v19, vcc
	ds_bpermute_b32 v43, v30, v42
	v_cndmask_b32_e32 v19, v41, v19, vcc
	v_cmp_gt_u32_e64 s[2:3], v31, v18
	v_subrev_u32_e32 v14, 64, v14
	s_waitcnt lgkmcnt(0)
	v_add_u16_e32 v43, v19, v43
	v_cndmask_b32_e64 v42, v43, v42, s[2:3]
	ds_bpermute_b32 v44, v32, v42
	v_cndmask_b32_e64 v19, v43, v19, s[2:3]
	v_cmp_gt_u32_e64 s[2:3], v33, v18
	s_waitcnt lgkmcnt(0)
	v_add_u16_e32 v43, v19, v44
	v_cndmask_b32_e64 v42, v43, v42, s[2:3]
	ds_bpermute_b32 v44, v34, v42
	v_cndmask_b32_e64 v19, v43, v19, s[2:3]
	v_cmp_gt_u32_e64 s[2:3], v35, v18
	;; [unrolled: 6-line block ×3, first 2 shown]
	s_waitcnt lgkmcnt(0)
	v_add_u16_e32 v43, v19, v44
	v_cndmask_b32_e64 v42, v43, v42, s[2:3]
	ds_bpermute_b32 v42, v39, v42
	v_cndmask_b32_e64 v19, v43, v19, s[2:3]
	v_cmp_le_u32_e64 s[2:3], v40, v18
	s_waitcnt lgkmcnt(0)
	v_cndmask_b32_e64 v18, 0, v42, s[2:3]
	v_add_u16_e32 v18, v19, v18
	v_cndmask_b32_e32 v18, v41, v18, vcc
	v_add_u16_e32 v18, v18, v38
.LBB981_64:                             ; =>This Loop Header: Depth=1
                                        ;     Child Loop BB981_67 Depth 2
	v_cmp_ne_u16_sdwa s[2:3], v27, v26 src0_sel:BYTE_0 src1_sel:DWORD
	v_cndmask_b32_e64 v19, 0, 1, s[2:3]
	;;#ASMSTART
	;;#ASMEND
	v_cmp_ne_u32_e32 vcc, 0, v19
	s_cmp_lg_u64 vcc, exec
	v_mov_b32_e32 v38, v18
	s_cbranch_scc1 .LBB981_69
; %bb.65:                               ;   in Loop: Header=BB981_64 Depth=1
	v_lshlrev_b64 v[18:19], 2, v[14:15]
	v_mov_b32_e32 v27, s25
	v_add_co_u32_e32 v18, vcc, s24, v18
	v_addc_co_u32_e32 v19, vcc, v27, v19, vcc
	global_load_dword v41, v[18:19], off glc
	s_waitcnt vmcnt(0)
	v_lshrrev_b32_e32 v27, 16, v41
	v_cmp_eq_u16_sdwa s[8:9], v27, v15 src0_sel:BYTE_0 src1_sel:DWORD
	s_and_saveexec_b64 s[2:3], s[8:9]
	s_cbranch_execz .LBB981_63
; %bb.66:                               ;   in Loop: Header=BB981_64 Depth=1
	s_mov_b64 s[8:9], 0
.LBB981_67:                             ;   Parent Loop BB981_64 Depth=1
                                        ; =>  This Inner Loop Header: Depth=2
	global_load_dword v41, v[18:19], off glc
	s_waitcnt vmcnt(0)
	v_lshrrev_b32_e32 v27, 16, v41
	v_cmp_ne_u16_sdwa s[12:13], v27, v15 src0_sel:BYTE_0 src1_sel:DWORD
	s_or_b64 s[8:9], s[12:13], s[8:9]
	s_andn2_b64 exec, exec, s[8:9]
	s_cbranch_execnz .LBB981_67
; %bb.68:                               ;   in Loop: Header=BB981_64 Depth=1
	s_or_b64 exec, exec, s[8:9]
	s_branch .LBB981_63
.LBB981_69:                             ;   in Loop: Header=BB981_64 Depth=1
                                        ; implicit-def: $vgpr18
                                        ; implicit-def: $vgpr27
	s_cbranch_execz .LBB981_64
; %bb.70:
	s_and_saveexec_b64 s[2:3], s[0:1]
	s_cbranch_execz .LBB981_72
; %bb.71:
	s_add_i32 s0, s6, 64
	s_mov_b32 s1, 0
	s_lshl_b64 s[0:1], s[0:1], 2
	v_add_u16_e32 v14, v38, v25
	s_add_u32 s0, s24, s0
	v_or_b32_e32 v14, 0x20000, v14
	s_addc_u32 s1, s25, s1
	v_mov_b32_e32 v15, 0
	global_store_dword v15, v14, s[0:1]
.LBB981_72:
	s_or_b64 exec, exec, s[2:3]
	v_cmp_eq_u32_e32 vcc, 0, v0
	s_and_b64 exec, exec, vcc
	s_cbranch_execz .LBB981_74
; %bb.73:
	v_mov_b32_e32 v14, 0
	ds_write_b16 v14, v38
.LBB981_74:
	s_or_b64 exec, exec, s[10:11]
	v_mov_b32_e32 v14, 0
	s_waitcnt lgkmcnt(0)
	; wave barrier
	s_waitcnt lgkmcnt(0)
	ds_read_u16 v14, v14
	v_cmp_ne_u32_e32 vcc, 0, v0
	v_cndmask_b32_e32 v15, 0, v24, vcc
	s_waitcnt lgkmcnt(0)
	v_add_u16_e32 v14, v14, v15
	s_load_dwordx8 s[8:15], s[4:5], 0x38
	s_branch .LBB981_83
.LBB981_75:
                                        ; implicit-def: $vgpr14
	s_load_dwordx8 s[8:15], s[4:5], 0x38
	s_cbranch_execz .LBB981_83
; %bb.76:
	s_load_dword s0, s[4:5], 0x20
	s_waitcnt lgkmcnt(0)
	s_cmp_eq_u64 s[12:13], 0
	v_mov_b32_e32 v15, s0
	s_cbranch_scc1 .LBB981_78
; %bb.77:
	v_mov_b32_e32 v15, s28
	v_add_co_u32_e64 v14, vcc, -2, s27
	v_addc_co_u32_e32 v15, vcc, -1, v15, vcc
	v_mov_b32_e32 v16, 0
	flat_load_ushort v17, v[14:15]
	global_load_ushort v18, v16, s[8:9]
	s_waitcnt vmcnt(0) lgkmcnt(0)
	v_add_u16_e32 v15, v18, v17
.LBB981_78:
	v_add_u16_sdwa v14, v23, v11 dst_sel:DWORD dst_unused:UNUSED_PAD src0_sel:DWORD src1_sel:WORD_1
	v_add_u16_e32 v14, v14, v12
	v_add_u16_sdwa v14, v14, v12 dst_sel:DWORD dst_unused:UNUSED_PAD src0_sel:DWORD src1_sel:WORD_1
	v_add_u16_e32 v14, v14, v13
	v_add_u16_sdwa v14, v14, v13 dst_sel:DWORD dst_unused:UNUSED_PAD src0_sel:DWORD src1_sel:WORD_1
	v_add_u16_e32 v14, v14, v6
	v_add_u16_sdwa v14, v14, v6 dst_sel:DWORD dst_unused:UNUSED_PAD src0_sel:DWORD src1_sel:WORD_1
	v_add_u16_e32 v14, v14, v7
	v_add_u16_sdwa v14, v14, v7 dst_sel:DWORD dst_unused:UNUSED_PAD src0_sel:DWORD src1_sel:WORD_1
	v_add_u16_e32 v14, v14, v8
	v_add_u16_sdwa v14, v14, v8 dst_sel:DWORD dst_unused:UNUSED_PAD src0_sel:DWORD src1_sel:WORD_1
	v_add_u16_e32 v14, v14, v9
	v_add_u16_sdwa v14, v14, v9 dst_sel:DWORD dst_unused:UNUSED_PAD src0_sel:DWORD src1_sel:WORD_1
	v_add_u16_e32 v14, v14, v2
	v_add_u16_sdwa v14, v14, v2 dst_sel:DWORD dst_unused:UNUSED_PAD src0_sel:DWORD src1_sel:WORD_1
	v_add_u16_e32 v14, v14, v3
	v_add_u16_sdwa v14, v14, v3 dst_sel:DWORD dst_unused:UNUSED_PAD src0_sel:DWORD src1_sel:WORD_1
	v_add_u16_e32 v14, v14, v4
	v_add_u16_sdwa v14, v14, v4 dst_sel:DWORD dst_unused:UNUSED_PAD src0_sel:DWORD src1_sel:WORD_1
	v_add_u16_e32 v14, v14, v5
	v_add_u16_sdwa v16, v14, v5 dst_sel:DWORD dst_unused:UNUSED_PAD src0_sel:DWORD src1_sel:WORD_1
	v_mbcnt_hi_u32_b32 v14, -1, v22
	v_and_b32_e32 v17, 15, v14
	v_mov_b32_dpp v18, v16 row_shr:1 row_mask:0xf bank_mask:0xf
	v_cmp_ne_u32_e32 vcc, 0, v17
	v_cndmask_b32_e32 v18, 0, v18, vcc
	v_add_u16_e32 v16, v18, v16
	v_cmp_lt_u32_e32 vcc, 1, v17
	s_nop 0
	v_mov_b32_dpp v18, v16 row_shr:2 row_mask:0xf bank_mask:0xf
	v_cndmask_b32_e32 v18, 0, v18, vcc
	v_add_u16_e32 v16, v16, v18
	v_cmp_lt_u32_e32 vcc, 3, v17
	s_nop 0
	v_mov_b32_dpp v18, v16 row_shr:4 row_mask:0xf bank_mask:0xf
	;; [unrolled: 5-line block ×3, first 2 shown]
	v_cndmask_b32_e32 v17, 0, v18, vcc
	v_add_u16_e32 v16, v16, v17
	v_and_b32_e32 v18, 16, v14
	v_cmp_ne_u32_e32 vcc, 0, v18
	v_mov_b32_dpp v17, v16 row_bcast:15 row_mask:0xf bank_mask:0xf
	v_cndmask_b32_e32 v17, 0, v17, vcc
	v_add_u16_e32 v16, v16, v17
	v_cmp_lt_u32_e32 vcc, 31, v14
	s_nop 0
	v_mov_b32_dpp v17, v16 row_bcast:31 row_mask:0xf bank_mask:0xf
	v_cndmask_b32_e32 v17, 0, v17, vcc
	v_add_u16_e32 v16, v16, v17
	v_cmp_eq_u32_e32 vcc, 63, v0
	s_and_saveexec_b64 s[0:1], vcc
	s_cbranch_execz .LBB981_80
; %bb.79:
	v_mov_b32_e32 v17, 0
	ds_write_b16 v17, v16
.LBB981_80:
	s_or_b64 exec, exec, s[0:1]
	v_add_u32_e32 v17, -1, v14
	v_and_b32_e32 v18, 64, v14
	v_cmp_lt_i32_e32 vcc, v17, v18
	v_cndmask_b32_e32 v17, v17, v14, vcc
	v_add_u16_e32 v16, v16, v15
	v_lshlrev_b32_e32 v17, 2, v17
	ds_bpermute_b32 v16, v17, v16
	v_cmp_eq_u32_e32 vcc, 0, v14
	v_cmp_eq_u32_e64 s[0:1], 0, v0
	s_or_b64 vcc, s[0:1], vcc
	s_waitcnt lgkmcnt(0)
	v_cndmask_b32_e32 v14, v16, v15, vcc
	; wave barrier
	s_and_saveexec_b64 s[2:3], s[0:1]
	s_cbranch_execz .LBB981_82
; %bb.81:
	v_mov_b32_e32 v14, 0
	ds_read_u16 v16, v14
	s_waitcnt lgkmcnt(0)
	v_add_u16_e32 v16, v16, v15
	v_or_b32_e32 v16, 0x20000, v16
	global_store_dword v14, v16, s[24:25] offset:256
	v_mov_b32_e32 v14, v15
.LBB981_82:
	s_or_b64 exec, exec, s[2:3]
.LBB981_83:
	v_add_u16_e32 v15, v14, v10
	v_add_u16_sdwa v16, v15, v10 dst_sel:DWORD dst_unused:UNUSED_PAD src0_sel:DWORD src1_sel:WORD_1
	v_add_u16_e32 v17, v16, v11
	v_add_u16_sdwa v19, v17, v11 dst_sel:DWORD dst_unused:UNUSED_PAD src0_sel:DWORD src1_sel:WORD_1
	;; [unrolled: 2-line block ×9, first 2 shown]
	v_add_u16_e32 v8, v2, v3
	s_add_u32 s0, s16, s22
	v_add_u16_sdwa v3, v8, v3 dst_sel:DWORD dst_unused:UNUSED_PAD src0_sel:DWORD src1_sel:WORD_1
	s_addc_u32 s1, s17, s23
	v_add_u16_e32 v9, v3, v4
	v_add_u16_sdwa v4, v9, v4 dst_sel:DWORD dst_unused:UNUSED_PAD src0_sel:DWORD src1_sel:WORD_1
	s_add_u32 s2, s0, s20
	v_add_u16_e32 v5, v4, v5
	s_addc_u32 s3, s1, s21
	s_mov_b64 s[0:1], -1
	s_and_b64 vcc, exec, s[18:19]
	s_waitcnt lgkmcnt(0)
	; wave barrier
	s_waitcnt lgkmcnt(0)
	s_cbranch_vccz .LBB981_85
; %bb.84:
	s_mov_b32 s0, 0x5040100
	v_perm_b32 v31, v27, v25, s0
	v_perm_b32 v30, v23, v19, s0
	;; [unrolled: 1-line block ×4, first 2 shown]
	ds_write_b128 v1, v[28:31]
	v_perm_b32 v31, v26, v24, s0
	v_perm_b32 v30, v22, v18, s0
	;; [unrolled: 1-line block ×4, first 2 shown]
	ds_write_b128 v1, v[28:31] offset:16
	v_perm_b32 v31, v5, v4, s0
	v_perm_b32 v30, v9, v3, s0
	;; [unrolled: 1-line block ×4, first 2 shown]
	ds_write_b128 v1, v[28:31] offset:32
	s_waitcnt lgkmcnt(0)
	; wave barrier
	s_waitcnt lgkmcnt(0)
	ds_read_u16 v30, v20
	ds_read_u16 v31, v20 offset:128
	ds_read_u16 v32, v20 offset:256
	;; [unrolled: 1-line block ×23, first 2 shown]
	v_mov_b32_e32 v29, s3
	v_add_co_u32_e32 v28, vcc, s2, v20
	v_addc_co_u32_e32 v29, vcc, 0, v29, vcc
	s_waitcnt lgkmcnt(14)
	flat_store_short v[28:29], v30
	flat_store_short v[28:29], v31 offset:128
	flat_store_short v[28:29], v32 offset:256
	;; [unrolled: 1-line block ×9, first 2 shown]
	s_waitcnt lgkmcnt(0)
	flat_store_short v[28:29], v40 offset:1280
	flat_store_short v[28:29], v41 offset:1408
	;; [unrolled: 1-line block ×14, first 2 shown]
	s_mov_b64 s[0:1], 0
.LBB981_85:
	s_andn2_b64 vcc, exec, s[0:1]
	s_cbranch_vccnz .LBB981_142
; %bb.86:
	s_mov_b32 s0, 0x5040100
	v_perm_b32 v31, v27, v25, s0
	v_perm_b32 v30, v23, v19, s0
	;; [unrolled: 1-line block ×12, first 2 shown]
	ds_write_b128 v1, v[28:31]
	ds_write_b128 v1, v[12:15] offset:16
	ds_write_b128 v1, v[2:5] offset:32
	s_waitcnt lgkmcnt(0)
	; wave barrier
	s_waitcnt lgkmcnt(0)
	ds_read_u16 v5, v20
	ds_read_u16 v4, v20 offset:128
	ds_read_u16 v7, v20 offset:256
	;; [unrolled: 1-line block ×23, first 2 shown]
	v_mov_b32_e32 v3, s3
	v_add_co_u32_e32 v2, vcc, s2, v20
	v_addc_co_u32_e32 v3, vcc, 0, v3, vcc
	v_mov_b32_e32 v1, 0
	v_cmp_gt_u32_e32 vcc, s7, v0
	s_and_saveexec_b64 s[0:1], vcc
	s_cbranch_execz .LBB981_88
; %bb.87:
	s_waitcnt lgkmcnt(0)
	flat_store_short v[2:3], v5
.LBB981_88:
	s_or_b64 exec, exec, s[0:1]
	v_or_b32_e32 v20, 64, v0
	v_cmp_gt_u32_e32 vcc, s7, v20
	s_and_saveexec_b64 s[0:1], vcc
	s_cbranch_execz .LBB981_90
; %bb.89:
	s_waitcnt lgkmcnt(0)
	flat_store_short v[2:3], v4 offset:128
.LBB981_90:
	s_or_b64 exec, exec, s[0:1]
	v_or_b32_e32 v20, 0x80, v0
	v_cmp_gt_u32_e32 vcc, s7, v20
	s_and_saveexec_b64 s[0:1], vcc
	s_cbranch_execz .LBB981_92
; %bb.91:
	s_waitcnt lgkmcnt(0)
	flat_store_short v[2:3], v7 offset:256
.LBB981_92:
	;; [unrolled: 9-line block ×23, first 2 shown]
	s_or_b64 exec, exec, s[0:1]
	v_cmp_lt_u64_e64 s[0:1], s[14:15], 2
	s_and_b64 vcc, exec, s[0:1]
	s_cbranch_vccnz .LBB981_142
; %bb.135:
	s_add_u32 s0, s7, -1
	s_addc_u32 s1, s26, -1
	s_add_u32 s2, 0, 0xaaaa0000
	s_addc_u32 s3, 0, 42
	s_add_i32 s3, s3, 0xaaaaa80
	s_mul_hi_u32 s7, s2, 0xffffffe8
	s_sub_i32 s7, s7, s2
	s_mul_i32 s8, s3, 0xffffffe8
	s_mul_i32 s4, s2, 0xffffffe8
	s_add_i32 s7, s7, s8
	s_mul_hi_u32 s5, s3, s4
	s_mul_i32 s6, s3, s4
	s_mul_i32 s9, s2, s7
	s_mul_hi_u32 s4, s2, s4
	s_mul_hi_u32 s8, s2, s7
	s_add_u32 s4, s4, s9
	s_addc_u32 s8, 0, s8
	s_add_u32 s4, s4, s6
	s_mul_hi_u32 s9, s3, s7
	s_addc_u32 s4, s8, s5
	s_addc_u32 s5, s9, 0
	s_mul_i32 s6, s3, s7
	s_add_u32 s4, s4, s6
	v_mov_b32_e32 v2, s4
	s_addc_u32 s5, 0, s5
	v_add_co_u32_e32 v2, vcc, s2, v2
	s_cmp_lg_u64 vcc, 0
	s_addc_u32 s2, s3, s5
	v_readfirstlane_b32 s5, v2
	s_mul_i32 s4, s0, s2
	s_mul_hi_u32 s6, s0, s5
	s_mul_hi_u32 s3, s0, s2
	s_add_u32 s4, s6, s4
	s_addc_u32 s3, 0, s3
	s_mul_hi_u32 s7, s1, s5
	s_mul_i32 s5, s1, s5
	s_add_u32 s4, s4, s5
	s_mul_hi_u32 s6, s1, s2
	s_addc_u32 s3, s3, s7
	s_addc_u32 s4, s6, 0
	s_mul_i32 s2, s1, s2
	s_add_u32 s2, s3, s2
	s_addc_u32 s3, 0, s4
	s_add_u32 s4, s2, 1
	s_addc_u32 s5, s3, 0
	s_add_u32 s6, s2, 2
	s_mul_i32 s8, s3, 24
	s_mul_hi_u32 s9, s2, 24
	s_addc_u32 s7, s3, 0
	s_add_i32 s9, s9, s8
	s_mul_i32 s8, s2, 24
	v_mov_b32_e32 v2, s8
	v_sub_co_u32_e32 v2, vcc, s0, v2
	s_cmp_lg_u64 vcc, 0
	s_subb_u32 s8, s1, s9
	v_subrev_co_u32_e32 v3, vcc, 24, v2
	s_cmp_lg_u64 vcc, 0
	s_subb_u32 s9, s8, 0
	v_readfirstlane_b32 s12, v3
	s_cmp_gt_u32 s12, 23
	s_cselect_b32 s12, -1, 0
	s_cmp_eq_u32 s9, 0
	s_cselect_b32 s9, s12, -1
	s_cmp_lg_u32 s9, 0
	s_cselect_b32 s4, s6, s4
	v_readfirstlane_b32 s6, v2
	s_cselect_b32 s5, s7, s5
	s_cmp_gt_u32 s6, 23
	s_cselect_b32 s6, -1, 0
	s_cmp_eq_u32 s8, 0
	s_cselect_b32 s6, s6, -1
	s_cmp_lg_u32 s6, 0
	s_cselect_b32 s3, s5, s3
	s_cselect_b32 s2, s4, s2
	v_cmp_eq_u64_e32 vcc, s[2:3], v[0:1]
	s_and_saveexec_b64 s[2:3], vcc
	s_cbranch_execz .LBB981_142
; %bb.136:
	v_mul_hi_u32_u24_e32 v1, 24, v0
	v_mov_b32_e32 v2, s1
	v_sub_co_u32_e32 v0, vcc, s0, v21
	v_subb_co_u32_e32 v1, vcc, v2, v1, vcc
	v_cmp_lt_i64_e32 vcc, 11, v[0:1]
	s_mov_b64 s[0:1], 0
	s_mov_b64 s[8:9], 0
	;; [unrolled: 1-line block ×4, first 2 shown]
	s_and_saveexec_b64 s[2:3], vcc
	s_xor_b64 s[2:3], exec, s[2:3]
	s_cbranch_execnz .LBB981_143
; %bb.137:
	s_andn2_saveexec_b64 s[2:3], s[2:3]
	s_cbranch_execnz .LBB981_188
.LBB981_138:
	s_or_b64 exec, exec, s[2:3]
	s_and_saveexec_b64 s[2:3], s[8:9]
	s_cbranch_execnz .LBB981_205
.LBB981_139:
	s_or_b64 exec, exec, s[2:3]
	s_and_saveexec_b64 s[2:3], s[6:7]
	s_cbranch_execnz .LBB981_206
.LBB981_140:
	s_or_b64 exec, exec, s[2:3]
	s_and_saveexec_b64 s[2:3], s[4:5]
	s_xor_b64 s[2:3], exec, s[2:3]
	s_cbranch_execnz .LBB981_207
.LBB981_141:
	s_or_b64 exec, exec, s[2:3]
	s_and_b64 exec, exec, s[0:1]
	s_cbranch_execnz .LBB981_208
.LBB981_142:
	s_endpgm
.LBB981_143:
	v_cmp_lt_i64_e32 vcc, 17, v[0:1]
	s_and_saveexec_b64 s[12:13], vcc
	s_xor_b64 s[12:13], exec, s[12:13]
	s_cbranch_execz .LBB981_165
; %bb.144:
	v_cmp_lt_i64_e32 vcc, 20, v[0:1]
                                        ; implicit-def: $vgpr10
	s_and_saveexec_b64 s[14:15], vcc
	s_xor_b64 s[14:15], exec, s[14:15]
	s_cbranch_execz .LBB981_154
; %bb.145:
	v_cmp_lt_i64_e32 vcc, 21, v[0:1]
	s_mov_b64 s[16:17], 0
                                        ; implicit-def: $vgpr10
	s_and_saveexec_b64 s[4:5], vcc
	s_xor_b64 s[4:5], exec, s[4:5]
	s_cbranch_execz .LBB981_151
; %bb.146:
	v_cmp_lt_i64_e32 vcc, 22, v[0:1]
	s_and_saveexec_b64 s[16:17], vcc
	s_xor_b64 s[16:17], exec, s[16:17]
	s_cbranch_execz .LBB981_148
; %bb.147:
	v_mov_b32_e32 v2, 0
	s_waitcnt lgkmcnt(0)
	global_store_short v2, v29, s[10:11]
                                        ; implicit-def: $vgpr28
.LBB981_148:
	s_or_saveexec_b64 s[16:17], s[16:17]
	s_mov_b64 s[18:19], 0
	s_xor_b64 exec, exec, s[16:17]
; %bb.149:
	s_mov_b64 s[18:19], exec
; %bb.150:
	s_or_b64 exec, exec, s[16:17]
	s_and_b64 s[16:17], s[18:19], exec
	s_waitcnt lgkmcnt(0)
	v_mov_b32_e32 v10, v28
                                        ; implicit-def: $vgpr11
.LBB981_151:
	s_andn2_saveexec_b64 s[4:5], s[4:5]
; %bb.152:
	s_mov_b64 s[6:7], exec
                                        ; implicit-def: $vgpr10
; %bb.153:
	s_or_b64 exec, exec, s[4:5]
	s_and_b64 s[4:5], s[16:17], exec
	s_and_b64 s[6:7], s[6:7], exec
                                        ; implicit-def: $vgpr26
                                        ; implicit-def: $vgpr12
                                        ; implicit-def: $vgpr23
.LBB981_154:
	s_andn2_saveexec_b64 s[14:15], s[14:15]
	s_cbranch_execz .LBB981_164
; %bb.155:
	v_cmp_lt_i64_e32 vcc, 18, v[0:1]
	s_mov_b64 s[16:17], 0
	s_and_saveexec_b64 s[8:9], vcc
	s_xor_b64 s[8:9], exec, s[8:9]
	s_cbranch_execz .LBB981_161
; %bb.156:
	v_cmp_lt_i64_e32 vcc, 19, v[0:1]
	s_and_saveexec_b64 s[18:19], vcc
	s_xor_b64 s[18:19], exec, s[18:19]
; %bb.157:
	s_mov_b64 s[16:17], exec
                                        ; implicit-def: $vgpr23
; %bb.158:
	s_andn2_saveexec_b64 s[18:19], s[18:19]
	s_cbranch_execz .LBB981_160
; %bb.159:
	v_mov_b32_e32 v2, 0
	s_waitcnt lgkmcnt(0)
	global_store_short v2, v23, s[10:11]
                                        ; implicit-def: $vgpr12
.LBB981_160:
	s_or_b64 exec, exec, s[18:19]
	s_and_b64 s[16:17], s[16:17], exec
                                        ; implicit-def: $vgpr26
.LBB981_161:
	s_andn2_saveexec_b64 s[8:9], s[8:9]
	s_cbranch_execz .LBB981_163
; %bb.162:
	v_mov_b32_e32 v2, 0
	s_waitcnt lgkmcnt(0)
	global_store_short v2, v26, s[10:11]
                                        ; implicit-def: $vgpr12
.LBB981_163:
	s_or_b64 exec, exec, s[8:9]
	s_and_b64 s[8:9], s[16:17], exec
                                        ; implicit-def: $vgpr10
                                        ; implicit-def: $vgpr11
.LBB981_164:
	s_or_b64 exec, exec, s[14:15]
	s_and_b64 s[4:5], s[4:5], exec
	s_and_b64 s[6:7], s[6:7], exec
	s_and_b64 s[8:9], s[8:9], exec
                                        ; implicit-def: $vgpr18
                                        ; implicit-def: $vgpr13
                                        ; implicit-def: $vgpr14
                                        ; implicit-def: $vgpr24
                                        ; implicit-def: $vgpr27
.LBB981_165:
	s_andn2_saveexec_b64 s[12:13], s[12:13]
	s_cbranch_execz .LBB981_187
; %bb.166:
	v_cmp_lt_i64_e32 vcc, 14, v[0:1]
	s_mov_b64 s[14:15], s[4:5]
	s_and_saveexec_b64 s[16:17], vcc
	s_xor_b64 s[16:17], exec, s[16:17]
	s_cbranch_execz .LBB981_176
; %bb.167:
	v_cmp_lt_i64_e32 vcc, 15, v[0:1]
	s_and_saveexec_b64 s[14:15], vcc
	s_xor_b64 s[14:15], exec, s[14:15]
	s_cbranch_execz .LBB981_173
; %bb.168:
	v_cmp_lt_i64_e32 vcc, 16, v[0:1]
	s_and_saveexec_b64 s[18:19], vcc
	s_xor_b64 s[18:19], exec, s[18:19]
	s_cbranch_execz .LBB981_170
; %bb.169:
	v_mov_b32_e32 v2, 0
	s_waitcnt lgkmcnt(0)
	global_store_short v2, v27, s[10:11]
                                        ; implicit-def: $vgpr24
.LBB981_170:
	s_andn2_saveexec_b64 s[18:19], s[18:19]
	s_cbranch_execz .LBB981_172
; %bb.171:
	v_mov_b32_e32 v2, 0
	s_waitcnt lgkmcnt(0)
	global_store_short v2, v24, s[10:11]
.LBB981_172:
	s_or_b64 exec, exec, s[18:19]
                                        ; implicit-def: $vgpr10
.LBB981_173:
	s_or_saveexec_b64 s[14:15], s[14:15]
	s_mov_b64 s[18:19], s[4:5]
	s_xor_b64 exec, exec, s[14:15]
; %bb.174:
	s_or_b64 s[18:19], s[4:5], exec
; %bb.175:
	s_or_b64 exec, exec, s[14:15]
	s_andn2_b64 s[14:15], s[4:5], exec
	s_and_b64 s[18:19], s[18:19], exec
	s_or_b64 s[14:15], s[14:15], s[18:19]
                                        ; implicit-def: $vgpr18
                                        ; implicit-def: $vgpr13
                                        ; implicit-def: $vgpr14
.LBB981_176:
	s_or_saveexec_b64 s[16:17], s[16:17]
	s_mov_b64 s[18:19], s[6:7]
                                        ; implicit-def: $vgpr11
	s_xor_b64 exec, exec, s[16:17]
	s_cbranch_execz .LBB981_186
; %bb.177:
	v_cmp_lt_i64_e32 vcc, 12, v[0:1]
	s_mov_b64 s[20:21], s[6:7]
	s_mov_b64 s[22:23], s[14:15]
                                        ; implicit-def: $vgpr10
                                        ; implicit-def: $vgpr11
	s_and_saveexec_b64 s[18:19], vcc
	s_xor_b64 s[18:19], exec, s[18:19]
	s_cbranch_execz .LBB981_183
; %bb.178:
	v_cmp_lt_i64_e32 vcc, 13, v[0:1]
	s_mov_b64 s[20:21], s[14:15]
	s_and_saveexec_b64 s[22:23], vcc
	s_xor_b64 s[22:23], exec, s[22:23]
; %bb.179:
	s_or_b64 s[20:21], s[14:15], exec
                                        ; implicit-def: $vgpr13
; %bb.180:
	s_or_saveexec_b64 s[22:23], s[22:23]
	s_mov_b64 s[24:25], s[6:7]
	s_xor_b64 exec, exec, s[22:23]
; %bb.181:
	s_or_b64 s[24:25], s[6:7], exec
                                        ; implicit-def: $vgpr14
; %bb.182:
	s_or_b64 exec, exec, s[22:23]
	s_andn2_b64 s[22:23], s[14:15], exec
	s_and_b64 s[20:21], s[20:21], exec
	s_or_b64 s[22:23], s[22:23], s[20:21]
	s_andn2_b64 s[20:21], s[6:7], exec
	s_and_b64 s[24:25], s[24:25], exec
	s_or_b64 s[20:21], s[20:21], s[24:25]
	s_waitcnt lgkmcnt(0)
	v_mov_b32_e32 v10, v14
	v_mov_b32_e32 v11, v13
                                        ; implicit-def: $vgpr18
.LBB981_183:
	s_andn2_saveexec_b64 s[18:19], s[18:19]
	s_cbranch_execz .LBB981_185
; %bb.184:
	s_or_b64 s[20:21], s[20:21], exec
                                        ; implicit-def: $vgpr10
	s_waitcnt lgkmcnt(0)
	v_mov_b32_e32 v11, v18
.LBB981_185:
	s_or_b64 exec, exec, s[18:19]
	s_andn2_b64 s[14:15], s[14:15], exec
	s_and_b64 s[18:19], s[22:23], exec
	s_or_b64 s[14:15], s[14:15], s[18:19]
	s_andn2_b64 s[18:19], s[6:7], exec
	s_and_b64 s[20:21], s[20:21], exec
	s_or_b64 s[18:19], s[18:19], s[20:21]
.LBB981_186:
	s_or_b64 exec, exec, s[16:17]
	s_andn2_b64 s[4:5], s[4:5], exec
	s_and_b64 s[14:15], s[14:15], exec
	s_or_b64 s[4:5], s[4:5], s[14:15]
	s_andn2_b64 s[6:7], s[6:7], exec
	s_and_b64 s[14:15], s[18:19], exec
	s_or_b64 s[6:7], s[6:7], s[14:15]
                                        ; implicit-def: $vgpr12
.LBB981_187:
	s_or_b64 exec, exec, s[12:13]
	s_and_b64 s[4:5], s[4:5], exec
	s_and_b64 s[6:7], s[6:7], exec
	;; [unrolled: 1-line block ×3, first 2 shown]
                                        ; implicit-def: $vgpr17
                                        ; implicit-def: $vgpr15
                                        ; implicit-def: $vgpr16
                                        ; implicit-def: $vgpr25
                                        ; implicit-def: $vgpr22
                                        ; implicit-def: $vgpr19
	s_andn2_saveexec_b64 s[2:3], s[2:3]
	s_cbranch_execz .LBB981_138
.LBB981_188:
	v_cmp_lt_i64_e32 vcc, 5, v[0:1]
	s_mov_b64 s[14:15], -1
	s_mov_b64 s[12:13], s[8:9]
	s_mov_b64 s[16:17], s[6:7]
	;; [unrolled: 1-line block ×3, first 2 shown]
                                        ; implicit-def: $vgpr10
                                        ; implicit-def: $vgpr11
                                        ; implicit-def: $vgpr12
	s_and_saveexec_b64 s[0:1], vcc
	s_cbranch_execz .LBB981_204
; %bb.189:
	v_cmp_lt_i64_e32 vcc, 8, v[0:1]
	s_mov_b64 s[12:13], s[8:9]
                                        ; implicit-def: $vgpr12
	s_and_saveexec_b64 s[14:15], vcc
	s_xor_b64 s[14:15], exec, s[14:15]
	s_cbranch_execz .LBB981_199
; %bb.190:
	v_cmp_lt_i64_e32 vcc, 9, v[0:1]
	s_and_saveexec_b64 s[12:13], vcc
	s_xor_b64 s[12:13], exec, s[12:13]
	s_cbranch_execz .LBB981_196
; %bb.191:
	v_cmp_lt_i64_e32 vcc, 10, v[0:1]
	s_and_saveexec_b64 s[16:17], vcc
	s_xor_b64 s[16:17], exec, s[16:17]
; %bb.192:
                                        ; implicit-def: $vgpr22
; %bb.193:
	s_andn2_saveexec_b64 s[16:17], s[16:17]
	s_cbranch_execz .LBB981_195
; %bb.194:
	s_waitcnt lgkmcnt(0)
	v_mov_b32_e32 v19, v22
.LBB981_195:
	s_or_b64 exec, exec, s[16:17]
                                        ; implicit-def: $vgpr25
.LBB981_196:
	s_andn2_saveexec_b64 s[12:13], s[12:13]
	s_cbranch_execz .LBB981_198
; %bb.197:
	s_waitcnt lgkmcnt(0)
	v_mov_b32_e32 v19, v25
.LBB981_198:
	s_or_b64 exec, exec, s[12:13]
	s_or_b64 s[12:13], s[8:9], exec
	s_waitcnt lgkmcnt(0)
	v_mov_b32_e32 v12, v19
                                        ; implicit-def: $vgpr17
                                        ; implicit-def: $vgpr15
                                        ; implicit-def: $vgpr16
.LBB981_199:
	s_or_saveexec_b64 s[14:15], s[14:15]
	s_mov_b64 s[16:17], s[6:7]
	s_mov_b64 s[20:21], s[4:5]
                                        ; implicit-def: $vgpr10
                                        ; implicit-def: $vgpr11
	s_xor_b64 exec, exec, s[14:15]
	s_cbranch_execz .LBB981_203
; %bb.200:
	v_cmp_lt_i64_e32 vcc, 6, v[0:1]
	s_mov_b64 s[20:21], -1
	s_mov_b64 s[18:19], s[12:13]
	s_mov_b64 s[16:17], s[6:7]
	s_and_saveexec_b64 s[22:23], vcc
; %bb.201:
	v_cmp_lt_i64_e32 vcc, 7, v[0:1]
	s_andn2_b64 s[18:19], s[12:13], exec
	s_and_b64 s[24:25], vcc, exec
	s_xor_b64 s[20:21], exec, -1
	s_or_b64 s[16:17], s[6:7], exec
	s_or_b64 s[18:19], s[18:19], s[24:25]
                                        ; implicit-def: $vgpr17
; %bb.202:
	s_or_b64 exec, exec, s[22:23]
	s_andn2_b64 s[22:23], s[4:5], exec
	s_and_b64 s[20:21], s[20:21], exec
	s_or_b64 s[20:21], s[22:23], s[20:21]
	s_andn2_b64 s[22:23], s[6:7], exec
	s_and_b64 s[16:17], s[16:17], exec
	s_andn2_b64 s[12:13], s[12:13], exec
	s_and_b64 s[18:19], s[18:19], exec
	s_or_b64 s[16:17], s[22:23], s[16:17]
	s_or_b64 s[12:13], s[12:13], s[18:19]
	s_waitcnt lgkmcnt(0)
	v_mov_b32_e32 v10, v17
	v_mov_b32_e32 v11, v15
	;; [unrolled: 1-line block ×3, first 2 shown]
.LBB981_203:
	s_or_b64 exec, exec, s[14:15]
	s_andn2_b64 s[18:19], s[4:5], exec
	s_and_b64 s[20:21], s[20:21], exec
	s_or_b64 s[18:19], s[18:19], s[20:21]
	s_andn2_b64 s[20:21], s[6:7], exec
	s_and_b64 s[16:17], s[16:17], exec
	s_or_b64 s[16:17], s[20:21], s[16:17]
	s_andn2_b64 s[20:21], s[8:9], exec
	s_and_b64 s[12:13], s[12:13], exec
	s_xor_b64 s[14:15], exec, -1
	s_or_b64 s[12:13], s[20:21], s[12:13]
.LBB981_204:
	s_or_b64 exec, exec, s[0:1]
	s_and_b64 s[0:1], s[14:15], exec
	s_andn2_b64 s[4:5], s[4:5], exec
	s_and_b64 s[14:15], s[18:19], exec
	s_or_b64 s[4:5], s[4:5], s[14:15]
	s_andn2_b64 s[6:7], s[6:7], exec
	s_and_b64 s[14:15], s[16:17], exec
	s_andn2_b64 s[8:9], s[8:9], exec
	s_and_b64 s[12:13], s[12:13], exec
	s_or_b64 s[6:7], s[6:7], s[14:15]
	s_or_b64 s[8:9], s[8:9], s[12:13]
	s_or_b64 exec, exec, s[2:3]
	s_and_saveexec_b64 s[2:3], s[8:9]
	s_cbranch_execz .LBB981_139
.LBB981_205:
	v_mov_b32_e32 v2, 0
	s_andn2_b64 s[6:7], s[6:7], exec
	s_waitcnt lgkmcnt(0)
	global_store_short v2, v12, s[10:11]
                                        ; implicit-def: $vgpr10
                                        ; implicit-def: $vgpr11
	s_or_b64 exec, exec, s[2:3]
	s_and_saveexec_b64 s[2:3], s[6:7]
	s_cbranch_execz .LBB981_140
.LBB981_206:
	v_mov_b32_e32 v2, 0
	s_waitcnt lgkmcnt(0)
	global_store_short v2, v11, s[10:11]
                                        ; implicit-def: $vgpr10
	s_or_b64 exec, exec, s[2:3]
	s_and_saveexec_b64 s[2:3], s[4:5]
	s_xor_b64 s[2:3], exec, s[2:3]
	s_cbranch_execz .LBB981_141
.LBB981_207:
	v_mov_b32_e32 v2, 0
	s_waitcnt lgkmcnt(0)
	global_store_short v2, v10, s[10:11]
	s_or_b64 exec, exec, s[2:3]
	s_and_b64 exec, exec, s[0:1]
	s_cbranch_execz .LBB981_142
.LBB981_208:
	v_cmp_lt_i64_e32 vcc, 2, v[0:1]
	s_and_saveexec_b64 s[0:1], vcc
	s_xor_b64 s[0:1], exec, s[0:1]
	s_cbranch_execz .LBB981_218
; %bb.209:
	v_cmp_lt_i64_e32 vcc, 3, v[0:1]
	s_and_saveexec_b64 s[2:3], vcc
	s_xor_b64 s[2:3], exec, s[2:3]
	s_cbranch_execz .LBB981_215
; %bb.210:
	;; [unrolled: 5-line block ×3, first 2 shown]
	v_mov_b32_e32 v0, 0
	s_waitcnt lgkmcnt(0)
	global_store_short v0, v9, s[10:11]
                                        ; implicit-def: $vgpr6
.LBB981_212:
	s_andn2_saveexec_b64 s[4:5], s[4:5]
	s_cbranch_execz .LBB981_214
; %bb.213:
	v_mov_b32_e32 v0, 0
	s_waitcnt lgkmcnt(0)
	global_store_short v0, v6, s[10:11]
.LBB981_214:
	s_or_b64 exec, exec, s[4:5]
                                        ; implicit-def: $vgpr8
.LBB981_215:
	s_andn2_saveexec_b64 s[2:3], s[2:3]
	s_cbranch_execz .LBB981_217
; %bb.216:
	v_mov_b32_e32 v0, 0
	s_waitcnt lgkmcnt(0)
	global_store_short v0, v8, s[10:11]
.LBB981_217:
	s_or_b64 exec, exec, s[2:3]
                                        ; implicit-def: $vgpr0_vgpr1
                                        ; implicit-def: $vgpr7
                                        ; implicit-def: $vgpr4
                                        ; implicit-def: $vgpr5
.LBB981_218:
	s_andn2_saveexec_b64 s[0:1], s[0:1]
	s_cbranch_execz .LBB981_142
; %bb.219:
	v_cmp_lt_i64_e32 vcc, 1, v[0:1]
	s_and_saveexec_b64 s[0:1], vcc
	s_xor_b64 s[0:1], exec, s[0:1]
	s_cbranch_execz .LBB981_221
; %bb.220:
	v_mov_b32_e32 v0, 0
	s_waitcnt lgkmcnt(0)
	global_store_short v0, v7, s[10:11]
                                        ; implicit-def: $vgpr4
                                        ; implicit-def: $vgpr0_vgpr1
                                        ; implicit-def: $vgpr5
.LBB981_221:
	s_andn2_saveexec_b64 s[0:1], s[0:1]
	s_cbranch_execz .LBB981_142
; %bb.222:
	v_cmp_ne_u64_e32 vcc, 1, v[0:1]
	s_and_saveexec_b64 s[0:1], vcc
	s_xor_b64 s[0:1], exec, s[0:1]
	s_cbranch_execz .LBB981_224
; %bb.223:
	v_mov_b32_e32 v0, 0
	s_waitcnt lgkmcnt(0)
	global_store_short v0, v5, s[10:11]
                                        ; implicit-def: $vgpr4
.LBB981_224:
	s_andn2_saveexec_b64 s[0:1], s[0:1]
	s_cbranch_execz .LBB981_142
; %bb.225:
	v_mov_b32_e32 v0, 0
	s_waitcnt lgkmcnt(0)
	global_store_short v0, v4, s[10:11]
	s_endpgm
	.section	.rodata,"a",@progbits
	.p2align	6, 0x0
	.amdhsa_kernel _ZN7rocprim17ROCPRIM_400000_NS6detail17trampoline_kernelINS0_14default_configENS1_20scan_config_selectorIsEEZZNS1_9scan_implILNS1_25lookback_scan_determinismE0ELb1ELb1ES3_N6thrust23THRUST_200600_302600_NS6detail15normal_iteratorINS9_10device_ptrIsEEEESE_sNS9_4plusIvEEsEEDaPvRmT3_T4_T5_mT6_P12ihipStream_tbENKUlT_T0_E_clISt17integral_constantIbLb0EESU_EEDaSP_SQ_EUlSP_E_NS1_11comp_targetILNS1_3genE4ELNS1_11target_archE910ELNS1_3gpuE8ELNS1_3repE0EEENS1_30default_config_static_selectorELNS0_4arch9wavefront6targetE1EEEvT1_
		.amdhsa_group_segment_fixed_size 3072
		.amdhsa_private_segment_fixed_size 0
		.amdhsa_kernarg_size 96
		.amdhsa_user_sgpr_count 6
		.amdhsa_user_sgpr_private_segment_buffer 1
		.amdhsa_user_sgpr_dispatch_ptr 0
		.amdhsa_user_sgpr_queue_ptr 0
		.amdhsa_user_sgpr_kernarg_segment_ptr 1
		.amdhsa_user_sgpr_dispatch_id 0
		.amdhsa_user_sgpr_flat_scratch_init 0
		.amdhsa_user_sgpr_kernarg_preload_length 0
		.amdhsa_user_sgpr_kernarg_preload_offset 0
		.amdhsa_user_sgpr_private_segment_size 0
		.amdhsa_uses_dynamic_stack 0
		.amdhsa_system_sgpr_private_segment_wavefront_offset 0
		.amdhsa_system_sgpr_workgroup_id_x 1
		.amdhsa_system_sgpr_workgroup_id_y 0
		.amdhsa_system_sgpr_workgroup_id_z 0
		.amdhsa_system_sgpr_workgroup_info 0
		.amdhsa_system_vgpr_workitem_id 0
		.amdhsa_next_free_vgpr 54
		.amdhsa_next_free_sgpr 29
		.amdhsa_accum_offset 56
		.amdhsa_reserve_vcc 1
		.amdhsa_reserve_flat_scratch 0
		.amdhsa_float_round_mode_32 0
		.amdhsa_float_round_mode_16_64 0
		.amdhsa_float_denorm_mode_32 3
		.amdhsa_float_denorm_mode_16_64 3
		.amdhsa_dx10_clamp 1
		.amdhsa_ieee_mode 1
		.amdhsa_fp16_overflow 0
		.amdhsa_tg_split 0
		.amdhsa_exception_fp_ieee_invalid_op 0
		.amdhsa_exception_fp_denorm_src 0
		.amdhsa_exception_fp_ieee_div_zero 0
		.amdhsa_exception_fp_ieee_overflow 0
		.amdhsa_exception_fp_ieee_underflow 0
		.amdhsa_exception_fp_ieee_inexact 0
		.amdhsa_exception_int_div_zero 0
	.end_amdhsa_kernel
	.section	.text._ZN7rocprim17ROCPRIM_400000_NS6detail17trampoline_kernelINS0_14default_configENS1_20scan_config_selectorIsEEZZNS1_9scan_implILNS1_25lookback_scan_determinismE0ELb1ELb1ES3_N6thrust23THRUST_200600_302600_NS6detail15normal_iteratorINS9_10device_ptrIsEEEESE_sNS9_4plusIvEEsEEDaPvRmT3_T4_T5_mT6_P12ihipStream_tbENKUlT_T0_E_clISt17integral_constantIbLb0EESU_EEDaSP_SQ_EUlSP_E_NS1_11comp_targetILNS1_3genE4ELNS1_11target_archE910ELNS1_3gpuE8ELNS1_3repE0EEENS1_30default_config_static_selectorELNS0_4arch9wavefront6targetE1EEEvT1_,"axG",@progbits,_ZN7rocprim17ROCPRIM_400000_NS6detail17trampoline_kernelINS0_14default_configENS1_20scan_config_selectorIsEEZZNS1_9scan_implILNS1_25lookback_scan_determinismE0ELb1ELb1ES3_N6thrust23THRUST_200600_302600_NS6detail15normal_iteratorINS9_10device_ptrIsEEEESE_sNS9_4plusIvEEsEEDaPvRmT3_T4_T5_mT6_P12ihipStream_tbENKUlT_T0_E_clISt17integral_constantIbLb0EESU_EEDaSP_SQ_EUlSP_E_NS1_11comp_targetILNS1_3genE4ELNS1_11target_archE910ELNS1_3gpuE8ELNS1_3repE0EEENS1_30default_config_static_selectorELNS0_4arch9wavefront6targetE1EEEvT1_,comdat
.Lfunc_end981:
	.size	_ZN7rocprim17ROCPRIM_400000_NS6detail17trampoline_kernelINS0_14default_configENS1_20scan_config_selectorIsEEZZNS1_9scan_implILNS1_25lookback_scan_determinismE0ELb1ELb1ES3_N6thrust23THRUST_200600_302600_NS6detail15normal_iteratorINS9_10device_ptrIsEEEESE_sNS9_4plusIvEEsEEDaPvRmT3_T4_T5_mT6_P12ihipStream_tbENKUlT_T0_E_clISt17integral_constantIbLb0EESU_EEDaSP_SQ_EUlSP_E_NS1_11comp_targetILNS1_3genE4ELNS1_11target_archE910ELNS1_3gpuE8ELNS1_3repE0EEENS1_30default_config_static_selectorELNS0_4arch9wavefront6targetE1EEEvT1_, .Lfunc_end981-_ZN7rocprim17ROCPRIM_400000_NS6detail17trampoline_kernelINS0_14default_configENS1_20scan_config_selectorIsEEZZNS1_9scan_implILNS1_25lookback_scan_determinismE0ELb1ELb1ES3_N6thrust23THRUST_200600_302600_NS6detail15normal_iteratorINS9_10device_ptrIsEEEESE_sNS9_4plusIvEEsEEDaPvRmT3_T4_T5_mT6_P12ihipStream_tbENKUlT_T0_E_clISt17integral_constantIbLb0EESU_EEDaSP_SQ_EUlSP_E_NS1_11comp_targetILNS1_3genE4ELNS1_11target_archE910ELNS1_3gpuE8ELNS1_3repE0EEENS1_30default_config_static_selectorELNS0_4arch9wavefront6targetE1EEEvT1_
                                        ; -- End function
	.section	.AMDGPU.csdata,"",@progbits
; Kernel info:
; codeLenInByte = 7724
; NumSgprs: 33
; NumVgprs: 54
; NumAgprs: 0
; TotalNumVgprs: 54
; ScratchSize: 0
; MemoryBound: 0
; FloatMode: 240
; IeeeMode: 1
; LDSByteSize: 3072 bytes/workgroup (compile time only)
; SGPRBlocks: 4
; VGPRBlocks: 6
; NumSGPRsForWavesPerEU: 33
; NumVGPRsForWavesPerEU: 54
; AccumOffset: 56
; Occupancy: 6
; WaveLimiterHint : 1
; COMPUTE_PGM_RSRC2:SCRATCH_EN: 0
; COMPUTE_PGM_RSRC2:USER_SGPR: 6
; COMPUTE_PGM_RSRC2:TRAP_HANDLER: 0
; COMPUTE_PGM_RSRC2:TGID_X_EN: 1
; COMPUTE_PGM_RSRC2:TGID_Y_EN: 0
; COMPUTE_PGM_RSRC2:TGID_Z_EN: 0
; COMPUTE_PGM_RSRC2:TIDIG_COMP_CNT: 0
; COMPUTE_PGM_RSRC3_GFX90A:ACCUM_OFFSET: 13
; COMPUTE_PGM_RSRC3_GFX90A:TG_SPLIT: 0
	.section	.text._ZN7rocprim17ROCPRIM_400000_NS6detail17trampoline_kernelINS0_14default_configENS1_20scan_config_selectorIsEEZZNS1_9scan_implILNS1_25lookback_scan_determinismE0ELb1ELb1ES3_N6thrust23THRUST_200600_302600_NS6detail15normal_iteratorINS9_10device_ptrIsEEEESE_sNS9_4plusIvEEsEEDaPvRmT3_T4_T5_mT6_P12ihipStream_tbENKUlT_T0_E_clISt17integral_constantIbLb0EESU_EEDaSP_SQ_EUlSP_E_NS1_11comp_targetILNS1_3genE3ELNS1_11target_archE908ELNS1_3gpuE7ELNS1_3repE0EEENS1_30default_config_static_selectorELNS0_4arch9wavefront6targetE1EEEvT1_,"axG",@progbits,_ZN7rocprim17ROCPRIM_400000_NS6detail17trampoline_kernelINS0_14default_configENS1_20scan_config_selectorIsEEZZNS1_9scan_implILNS1_25lookback_scan_determinismE0ELb1ELb1ES3_N6thrust23THRUST_200600_302600_NS6detail15normal_iteratorINS9_10device_ptrIsEEEESE_sNS9_4plusIvEEsEEDaPvRmT3_T4_T5_mT6_P12ihipStream_tbENKUlT_T0_E_clISt17integral_constantIbLb0EESU_EEDaSP_SQ_EUlSP_E_NS1_11comp_targetILNS1_3genE3ELNS1_11target_archE908ELNS1_3gpuE7ELNS1_3repE0EEENS1_30default_config_static_selectorELNS0_4arch9wavefront6targetE1EEEvT1_,comdat
	.protected	_ZN7rocprim17ROCPRIM_400000_NS6detail17trampoline_kernelINS0_14default_configENS1_20scan_config_selectorIsEEZZNS1_9scan_implILNS1_25lookback_scan_determinismE0ELb1ELb1ES3_N6thrust23THRUST_200600_302600_NS6detail15normal_iteratorINS9_10device_ptrIsEEEESE_sNS9_4plusIvEEsEEDaPvRmT3_T4_T5_mT6_P12ihipStream_tbENKUlT_T0_E_clISt17integral_constantIbLb0EESU_EEDaSP_SQ_EUlSP_E_NS1_11comp_targetILNS1_3genE3ELNS1_11target_archE908ELNS1_3gpuE7ELNS1_3repE0EEENS1_30default_config_static_selectorELNS0_4arch9wavefront6targetE1EEEvT1_ ; -- Begin function _ZN7rocprim17ROCPRIM_400000_NS6detail17trampoline_kernelINS0_14default_configENS1_20scan_config_selectorIsEEZZNS1_9scan_implILNS1_25lookback_scan_determinismE0ELb1ELb1ES3_N6thrust23THRUST_200600_302600_NS6detail15normal_iteratorINS9_10device_ptrIsEEEESE_sNS9_4plusIvEEsEEDaPvRmT3_T4_T5_mT6_P12ihipStream_tbENKUlT_T0_E_clISt17integral_constantIbLb0EESU_EEDaSP_SQ_EUlSP_E_NS1_11comp_targetILNS1_3genE3ELNS1_11target_archE908ELNS1_3gpuE7ELNS1_3repE0EEENS1_30default_config_static_selectorELNS0_4arch9wavefront6targetE1EEEvT1_
	.globl	_ZN7rocprim17ROCPRIM_400000_NS6detail17trampoline_kernelINS0_14default_configENS1_20scan_config_selectorIsEEZZNS1_9scan_implILNS1_25lookback_scan_determinismE0ELb1ELb1ES3_N6thrust23THRUST_200600_302600_NS6detail15normal_iteratorINS9_10device_ptrIsEEEESE_sNS9_4plusIvEEsEEDaPvRmT3_T4_T5_mT6_P12ihipStream_tbENKUlT_T0_E_clISt17integral_constantIbLb0EESU_EEDaSP_SQ_EUlSP_E_NS1_11comp_targetILNS1_3genE3ELNS1_11target_archE908ELNS1_3gpuE7ELNS1_3repE0EEENS1_30default_config_static_selectorELNS0_4arch9wavefront6targetE1EEEvT1_
	.p2align	8
	.type	_ZN7rocprim17ROCPRIM_400000_NS6detail17trampoline_kernelINS0_14default_configENS1_20scan_config_selectorIsEEZZNS1_9scan_implILNS1_25lookback_scan_determinismE0ELb1ELb1ES3_N6thrust23THRUST_200600_302600_NS6detail15normal_iteratorINS9_10device_ptrIsEEEESE_sNS9_4plusIvEEsEEDaPvRmT3_T4_T5_mT6_P12ihipStream_tbENKUlT_T0_E_clISt17integral_constantIbLb0EESU_EEDaSP_SQ_EUlSP_E_NS1_11comp_targetILNS1_3genE3ELNS1_11target_archE908ELNS1_3gpuE7ELNS1_3repE0EEENS1_30default_config_static_selectorELNS0_4arch9wavefront6targetE1EEEvT1_,@function
_ZN7rocprim17ROCPRIM_400000_NS6detail17trampoline_kernelINS0_14default_configENS1_20scan_config_selectorIsEEZZNS1_9scan_implILNS1_25lookback_scan_determinismE0ELb1ELb1ES3_N6thrust23THRUST_200600_302600_NS6detail15normal_iteratorINS9_10device_ptrIsEEEESE_sNS9_4plusIvEEsEEDaPvRmT3_T4_T5_mT6_P12ihipStream_tbENKUlT_T0_E_clISt17integral_constantIbLb0EESU_EEDaSP_SQ_EUlSP_E_NS1_11comp_targetILNS1_3genE3ELNS1_11target_archE908ELNS1_3gpuE7ELNS1_3repE0EEENS1_30default_config_static_selectorELNS0_4arch9wavefront6targetE1EEEvT1_: ; @_ZN7rocprim17ROCPRIM_400000_NS6detail17trampoline_kernelINS0_14default_configENS1_20scan_config_selectorIsEEZZNS1_9scan_implILNS1_25lookback_scan_determinismE0ELb1ELb1ES3_N6thrust23THRUST_200600_302600_NS6detail15normal_iteratorINS9_10device_ptrIsEEEESE_sNS9_4plusIvEEsEEDaPvRmT3_T4_T5_mT6_P12ihipStream_tbENKUlT_T0_E_clISt17integral_constantIbLb0EESU_EEDaSP_SQ_EUlSP_E_NS1_11comp_targetILNS1_3genE3ELNS1_11target_archE908ELNS1_3gpuE7ELNS1_3repE0EEENS1_30default_config_static_selectorELNS0_4arch9wavefront6targetE1EEEvT1_
; %bb.0:
	.section	.rodata,"a",@progbits
	.p2align	6, 0x0
	.amdhsa_kernel _ZN7rocprim17ROCPRIM_400000_NS6detail17trampoline_kernelINS0_14default_configENS1_20scan_config_selectorIsEEZZNS1_9scan_implILNS1_25lookback_scan_determinismE0ELb1ELb1ES3_N6thrust23THRUST_200600_302600_NS6detail15normal_iteratorINS9_10device_ptrIsEEEESE_sNS9_4plusIvEEsEEDaPvRmT3_T4_T5_mT6_P12ihipStream_tbENKUlT_T0_E_clISt17integral_constantIbLb0EESU_EEDaSP_SQ_EUlSP_E_NS1_11comp_targetILNS1_3genE3ELNS1_11target_archE908ELNS1_3gpuE7ELNS1_3repE0EEENS1_30default_config_static_selectorELNS0_4arch9wavefront6targetE1EEEvT1_
		.amdhsa_group_segment_fixed_size 0
		.amdhsa_private_segment_fixed_size 0
		.amdhsa_kernarg_size 96
		.amdhsa_user_sgpr_count 6
		.amdhsa_user_sgpr_private_segment_buffer 1
		.amdhsa_user_sgpr_dispatch_ptr 0
		.amdhsa_user_sgpr_queue_ptr 0
		.amdhsa_user_sgpr_kernarg_segment_ptr 1
		.amdhsa_user_sgpr_dispatch_id 0
		.amdhsa_user_sgpr_flat_scratch_init 0
		.amdhsa_user_sgpr_kernarg_preload_length 0
		.amdhsa_user_sgpr_kernarg_preload_offset 0
		.amdhsa_user_sgpr_private_segment_size 0
		.amdhsa_uses_dynamic_stack 0
		.amdhsa_system_sgpr_private_segment_wavefront_offset 0
		.amdhsa_system_sgpr_workgroup_id_x 1
		.amdhsa_system_sgpr_workgroup_id_y 0
		.amdhsa_system_sgpr_workgroup_id_z 0
		.amdhsa_system_sgpr_workgroup_info 0
		.amdhsa_system_vgpr_workitem_id 0
		.amdhsa_next_free_vgpr 1
		.amdhsa_next_free_sgpr 0
		.amdhsa_accum_offset 4
		.amdhsa_reserve_vcc 0
		.amdhsa_reserve_flat_scratch 0
		.amdhsa_float_round_mode_32 0
		.amdhsa_float_round_mode_16_64 0
		.amdhsa_float_denorm_mode_32 3
		.amdhsa_float_denorm_mode_16_64 3
		.amdhsa_dx10_clamp 1
		.amdhsa_ieee_mode 1
		.amdhsa_fp16_overflow 0
		.amdhsa_tg_split 0
		.amdhsa_exception_fp_ieee_invalid_op 0
		.amdhsa_exception_fp_denorm_src 0
		.amdhsa_exception_fp_ieee_div_zero 0
		.amdhsa_exception_fp_ieee_overflow 0
		.amdhsa_exception_fp_ieee_underflow 0
		.amdhsa_exception_fp_ieee_inexact 0
		.amdhsa_exception_int_div_zero 0
	.end_amdhsa_kernel
	.section	.text._ZN7rocprim17ROCPRIM_400000_NS6detail17trampoline_kernelINS0_14default_configENS1_20scan_config_selectorIsEEZZNS1_9scan_implILNS1_25lookback_scan_determinismE0ELb1ELb1ES3_N6thrust23THRUST_200600_302600_NS6detail15normal_iteratorINS9_10device_ptrIsEEEESE_sNS9_4plusIvEEsEEDaPvRmT3_T4_T5_mT6_P12ihipStream_tbENKUlT_T0_E_clISt17integral_constantIbLb0EESU_EEDaSP_SQ_EUlSP_E_NS1_11comp_targetILNS1_3genE3ELNS1_11target_archE908ELNS1_3gpuE7ELNS1_3repE0EEENS1_30default_config_static_selectorELNS0_4arch9wavefront6targetE1EEEvT1_,"axG",@progbits,_ZN7rocprim17ROCPRIM_400000_NS6detail17trampoline_kernelINS0_14default_configENS1_20scan_config_selectorIsEEZZNS1_9scan_implILNS1_25lookback_scan_determinismE0ELb1ELb1ES3_N6thrust23THRUST_200600_302600_NS6detail15normal_iteratorINS9_10device_ptrIsEEEESE_sNS9_4plusIvEEsEEDaPvRmT3_T4_T5_mT6_P12ihipStream_tbENKUlT_T0_E_clISt17integral_constantIbLb0EESU_EEDaSP_SQ_EUlSP_E_NS1_11comp_targetILNS1_3genE3ELNS1_11target_archE908ELNS1_3gpuE7ELNS1_3repE0EEENS1_30default_config_static_selectorELNS0_4arch9wavefront6targetE1EEEvT1_,comdat
.Lfunc_end982:
	.size	_ZN7rocprim17ROCPRIM_400000_NS6detail17trampoline_kernelINS0_14default_configENS1_20scan_config_selectorIsEEZZNS1_9scan_implILNS1_25lookback_scan_determinismE0ELb1ELb1ES3_N6thrust23THRUST_200600_302600_NS6detail15normal_iteratorINS9_10device_ptrIsEEEESE_sNS9_4plusIvEEsEEDaPvRmT3_T4_T5_mT6_P12ihipStream_tbENKUlT_T0_E_clISt17integral_constantIbLb0EESU_EEDaSP_SQ_EUlSP_E_NS1_11comp_targetILNS1_3genE3ELNS1_11target_archE908ELNS1_3gpuE7ELNS1_3repE0EEENS1_30default_config_static_selectorELNS0_4arch9wavefront6targetE1EEEvT1_, .Lfunc_end982-_ZN7rocprim17ROCPRIM_400000_NS6detail17trampoline_kernelINS0_14default_configENS1_20scan_config_selectorIsEEZZNS1_9scan_implILNS1_25lookback_scan_determinismE0ELb1ELb1ES3_N6thrust23THRUST_200600_302600_NS6detail15normal_iteratorINS9_10device_ptrIsEEEESE_sNS9_4plusIvEEsEEDaPvRmT3_T4_T5_mT6_P12ihipStream_tbENKUlT_T0_E_clISt17integral_constantIbLb0EESU_EEDaSP_SQ_EUlSP_E_NS1_11comp_targetILNS1_3genE3ELNS1_11target_archE908ELNS1_3gpuE7ELNS1_3repE0EEENS1_30default_config_static_selectorELNS0_4arch9wavefront6targetE1EEEvT1_
                                        ; -- End function
	.section	.AMDGPU.csdata,"",@progbits
; Kernel info:
; codeLenInByte = 0
; NumSgprs: 4
; NumVgprs: 0
; NumAgprs: 0
; TotalNumVgprs: 0
; ScratchSize: 0
; MemoryBound: 0
; FloatMode: 240
; IeeeMode: 1
; LDSByteSize: 0 bytes/workgroup (compile time only)
; SGPRBlocks: 0
; VGPRBlocks: 0
; NumSGPRsForWavesPerEU: 4
; NumVGPRsForWavesPerEU: 1
; AccumOffset: 4
; Occupancy: 8
; WaveLimiterHint : 0
; COMPUTE_PGM_RSRC2:SCRATCH_EN: 0
; COMPUTE_PGM_RSRC2:USER_SGPR: 6
; COMPUTE_PGM_RSRC2:TRAP_HANDLER: 0
; COMPUTE_PGM_RSRC2:TGID_X_EN: 1
; COMPUTE_PGM_RSRC2:TGID_Y_EN: 0
; COMPUTE_PGM_RSRC2:TGID_Z_EN: 0
; COMPUTE_PGM_RSRC2:TIDIG_COMP_CNT: 0
; COMPUTE_PGM_RSRC3_GFX90A:ACCUM_OFFSET: 0
; COMPUTE_PGM_RSRC3_GFX90A:TG_SPLIT: 0
	.section	.text._ZN7rocprim17ROCPRIM_400000_NS6detail17trampoline_kernelINS0_14default_configENS1_20scan_config_selectorIsEEZZNS1_9scan_implILNS1_25lookback_scan_determinismE0ELb1ELb1ES3_N6thrust23THRUST_200600_302600_NS6detail15normal_iteratorINS9_10device_ptrIsEEEESE_sNS9_4plusIvEEsEEDaPvRmT3_T4_T5_mT6_P12ihipStream_tbENKUlT_T0_E_clISt17integral_constantIbLb0EESU_EEDaSP_SQ_EUlSP_E_NS1_11comp_targetILNS1_3genE2ELNS1_11target_archE906ELNS1_3gpuE6ELNS1_3repE0EEENS1_30default_config_static_selectorELNS0_4arch9wavefront6targetE1EEEvT1_,"axG",@progbits,_ZN7rocprim17ROCPRIM_400000_NS6detail17trampoline_kernelINS0_14default_configENS1_20scan_config_selectorIsEEZZNS1_9scan_implILNS1_25lookback_scan_determinismE0ELb1ELb1ES3_N6thrust23THRUST_200600_302600_NS6detail15normal_iteratorINS9_10device_ptrIsEEEESE_sNS9_4plusIvEEsEEDaPvRmT3_T4_T5_mT6_P12ihipStream_tbENKUlT_T0_E_clISt17integral_constantIbLb0EESU_EEDaSP_SQ_EUlSP_E_NS1_11comp_targetILNS1_3genE2ELNS1_11target_archE906ELNS1_3gpuE6ELNS1_3repE0EEENS1_30default_config_static_selectorELNS0_4arch9wavefront6targetE1EEEvT1_,comdat
	.protected	_ZN7rocprim17ROCPRIM_400000_NS6detail17trampoline_kernelINS0_14default_configENS1_20scan_config_selectorIsEEZZNS1_9scan_implILNS1_25lookback_scan_determinismE0ELb1ELb1ES3_N6thrust23THRUST_200600_302600_NS6detail15normal_iteratorINS9_10device_ptrIsEEEESE_sNS9_4plusIvEEsEEDaPvRmT3_T4_T5_mT6_P12ihipStream_tbENKUlT_T0_E_clISt17integral_constantIbLb0EESU_EEDaSP_SQ_EUlSP_E_NS1_11comp_targetILNS1_3genE2ELNS1_11target_archE906ELNS1_3gpuE6ELNS1_3repE0EEENS1_30default_config_static_selectorELNS0_4arch9wavefront6targetE1EEEvT1_ ; -- Begin function _ZN7rocprim17ROCPRIM_400000_NS6detail17trampoline_kernelINS0_14default_configENS1_20scan_config_selectorIsEEZZNS1_9scan_implILNS1_25lookback_scan_determinismE0ELb1ELb1ES3_N6thrust23THRUST_200600_302600_NS6detail15normal_iteratorINS9_10device_ptrIsEEEESE_sNS9_4plusIvEEsEEDaPvRmT3_T4_T5_mT6_P12ihipStream_tbENKUlT_T0_E_clISt17integral_constantIbLb0EESU_EEDaSP_SQ_EUlSP_E_NS1_11comp_targetILNS1_3genE2ELNS1_11target_archE906ELNS1_3gpuE6ELNS1_3repE0EEENS1_30default_config_static_selectorELNS0_4arch9wavefront6targetE1EEEvT1_
	.globl	_ZN7rocprim17ROCPRIM_400000_NS6detail17trampoline_kernelINS0_14default_configENS1_20scan_config_selectorIsEEZZNS1_9scan_implILNS1_25lookback_scan_determinismE0ELb1ELb1ES3_N6thrust23THRUST_200600_302600_NS6detail15normal_iteratorINS9_10device_ptrIsEEEESE_sNS9_4plusIvEEsEEDaPvRmT3_T4_T5_mT6_P12ihipStream_tbENKUlT_T0_E_clISt17integral_constantIbLb0EESU_EEDaSP_SQ_EUlSP_E_NS1_11comp_targetILNS1_3genE2ELNS1_11target_archE906ELNS1_3gpuE6ELNS1_3repE0EEENS1_30default_config_static_selectorELNS0_4arch9wavefront6targetE1EEEvT1_
	.p2align	8
	.type	_ZN7rocprim17ROCPRIM_400000_NS6detail17trampoline_kernelINS0_14default_configENS1_20scan_config_selectorIsEEZZNS1_9scan_implILNS1_25lookback_scan_determinismE0ELb1ELb1ES3_N6thrust23THRUST_200600_302600_NS6detail15normal_iteratorINS9_10device_ptrIsEEEESE_sNS9_4plusIvEEsEEDaPvRmT3_T4_T5_mT6_P12ihipStream_tbENKUlT_T0_E_clISt17integral_constantIbLb0EESU_EEDaSP_SQ_EUlSP_E_NS1_11comp_targetILNS1_3genE2ELNS1_11target_archE906ELNS1_3gpuE6ELNS1_3repE0EEENS1_30default_config_static_selectorELNS0_4arch9wavefront6targetE1EEEvT1_,@function
_ZN7rocprim17ROCPRIM_400000_NS6detail17trampoline_kernelINS0_14default_configENS1_20scan_config_selectorIsEEZZNS1_9scan_implILNS1_25lookback_scan_determinismE0ELb1ELb1ES3_N6thrust23THRUST_200600_302600_NS6detail15normal_iteratorINS9_10device_ptrIsEEEESE_sNS9_4plusIvEEsEEDaPvRmT3_T4_T5_mT6_P12ihipStream_tbENKUlT_T0_E_clISt17integral_constantIbLb0EESU_EEDaSP_SQ_EUlSP_E_NS1_11comp_targetILNS1_3genE2ELNS1_11target_archE906ELNS1_3gpuE6ELNS1_3repE0EEENS1_30default_config_static_selectorELNS0_4arch9wavefront6targetE1EEEvT1_: ; @_ZN7rocprim17ROCPRIM_400000_NS6detail17trampoline_kernelINS0_14default_configENS1_20scan_config_selectorIsEEZZNS1_9scan_implILNS1_25lookback_scan_determinismE0ELb1ELb1ES3_N6thrust23THRUST_200600_302600_NS6detail15normal_iteratorINS9_10device_ptrIsEEEESE_sNS9_4plusIvEEsEEDaPvRmT3_T4_T5_mT6_P12ihipStream_tbENKUlT_T0_E_clISt17integral_constantIbLb0EESU_EEDaSP_SQ_EUlSP_E_NS1_11comp_targetILNS1_3genE2ELNS1_11target_archE906ELNS1_3gpuE6ELNS1_3repE0EEENS1_30default_config_static_selectorELNS0_4arch9wavefront6targetE1EEEvT1_
; %bb.0:
	.section	.rodata,"a",@progbits
	.p2align	6, 0x0
	.amdhsa_kernel _ZN7rocprim17ROCPRIM_400000_NS6detail17trampoline_kernelINS0_14default_configENS1_20scan_config_selectorIsEEZZNS1_9scan_implILNS1_25lookback_scan_determinismE0ELb1ELb1ES3_N6thrust23THRUST_200600_302600_NS6detail15normal_iteratorINS9_10device_ptrIsEEEESE_sNS9_4plusIvEEsEEDaPvRmT3_T4_T5_mT6_P12ihipStream_tbENKUlT_T0_E_clISt17integral_constantIbLb0EESU_EEDaSP_SQ_EUlSP_E_NS1_11comp_targetILNS1_3genE2ELNS1_11target_archE906ELNS1_3gpuE6ELNS1_3repE0EEENS1_30default_config_static_selectorELNS0_4arch9wavefront6targetE1EEEvT1_
		.amdhsa_group_segment_fixed_size 0
		.amdhsa_private_segment_fixed_size 0
		.amdhsa_kernarg_size 96
		.amdhsa_user_sgpr_count 6
		.amdhsa_user_sgpr_private_segment_buffer 1
		.amdhsa_user_sgpr_dispatch_ptr 0
		.amdhsa_user_sgpr_queue_ptr 0
		.amdhsa_user_sgpr_kernarg_segment_ptr 1
		.amdhsa_user_sgpr_dispatch_id 0
		.amdhsa_user_sgpr_flat_scratch_init 0
		.amdhsa_user_sgpr_kernarg_preload_length 0
		.amdhsa_user_sgpr_kernarg_preload_offset 0
		.amdhsa_user_sgpr_private_segment_size 0
		.amdhsa_uses_dynamic_stack 0
		.amdhsa_system_sgpr_private_segment_wavefront_offset 0
		.amdhsa_system_sgpr_workgroup_id_x 1
		.amdhsa_system_sgpr_workgroup_id_y 0
		.amdhsa_system_sgpr_workgroup_id_z 0
		.amdhsa_system_sgpr_workgroup_info 0
		.amdhsa_system_vgpr_workitem_id 0
		.amdhsa_next_free_vgpr 1
		.amdhsa_next_free_sgpr 0
		.amdhsa_accum_offset 4
		.amdhsa_reserve_vcc 0
		.amdhsa_reserve_flat_scratch 0
		.amdhsa_float_round_mode_32 0
		.amdhsa_float_round_mode_16_64 0
		.amdhsa_float_denorm_mode_32 3
		.amdhsa_float_denorm_mode_16_64 3
		.amdhsa_dx10_clamp 1
		.amdhsa_ieee_mode 1
		.amdhsa_fp16_overflow 0
		.amdhsa_tg_split 0
		.amdhsa_exception_fp_ieee_invalid_op 0
		.amdhsa_exception_fp_denorm_src 0
		.amdhsa_exception_fp_ieee_div_zero 0
		.amdhsa_exception_fp_ieee_overflow 0
		.amdhsa_exception_fp_ieee_underflow 0
		.amdhsa_exception_fp_ieee_inexact 0
		.amdhsa_exception_int_div_zero 0
	.end_amdhsa_kernel
	.section	.text._ZN7rocprim17ROCPRIM_400000_NS6detail17trampoline_kernelINS0_14default_configENS1_20scan_config_selectorIsEEZZNS1_9scan_implILNS1_25lookback_scan_determinismE0ELb1ELb1ES3_N6thrust23THRUST_200600_302600_NS6detail15normal_iteratorINS9_10device_ptrIsEEEESE_sNS9_4plusIvEEsEEDaPvRmT3_T4_T5_mT6_P12ihipStream_tbENKUlT_T0_E_clISt17integral_constantIbLb0EESU_EEDaSP_SQ_EUlSP_E_NS1_11comp_targetILNS1_3genE2ELNS1_11target_archE906ELNS1_3gpuE6ELNS1_3repE0EEENS1_30default_config_static_selectorELNS0_4arch9wavefront6targetE1EEEvT1_,"axG",@progbits,_ZN7rocprim17ROCPRIM_400000_NS6detail17trampoline_kernelINS0_14default_configENS1_20scan_config_selectorIsEEZZNS1_9scan_implILNS1_25lookback_scan_determinismE0ELb1ELb1ES3_N6thrust23THRUST_200600_302600_NS6detail15normal_iteratorINS9_10device_ptrIsEEEESE_sNS9_4plusIvEEsEEDaPvRmT3_T4_T5_mT6_P12ihipStream_tbENKUlT_T0_E_clISt17integral_constantIbLb0EESU_EEDaSP_SQ_EUlSP_E_NS1_11comp_targetILNS1_3genE2ELNS1_11target_archE906ELNS1_3gpuE6ELNS1_3repE0EEENS1_30default_config_static_selectorELNS0_4arch9wavefront6targetE1EEEvT1_,comdat
.Lfunc_end983:
	.size	_ZN7rocprim17ROCPRIM_400000_NS6detail17trampoline_kernelINS0_14default_configENS1_20scan_config_selectorIsEEZZNS1_9scan_implILNS1_25lookback_scan_determinismE0ELb1ELb1ES3_N6thrust23THRUST_200600_302600_NS6detail15normal_iteratorINS9_10device_ptrIsEEEESE_sNS9_4plusIvEEsEEDaPvRmT3_T4_T5_mT6_P12ihipStream_tbENKUlT_T0_E_clISt17integral_constantIbLb0EESU_EEDaSP_SQ_EUlSP_E_NS1_11comp_targetILNS1_3genE2ELNS1_11target_archE906ELNS1_3gpuE6ELNS1_3repE0EEENS1_30default_config_static_selectorELNS0_4arch9wavefront6targetE1EEEvT1_, .Lfunc_end983-_ZN7rocprim17ROCPRIM_400000_NS6detail17trampoline_kernelINS0_14default_configENS1_20scan_config_selectorIsEEZZNS1_9scan_implILNS1_25lookback_scan_determinismE0ELb1ELb1ES3_N6thrust23THRUST_200600_302600_NS6detail15normal_iteratorINS9_10device_ptrIsEEEESE_sNS9_4plusIvEEsEEDaPvRmT3_T4_T5_mT6_P12ihipStream_tbENKUlT_T0_E_clISt17integral_constantIbLb0EESU_EEDaSP_SQ_EUlSP_E_NS1_11comp_targetILNS1_3genE2ELNS1_11target_archE906ELNS1_3gpuE6ELNS1_3repE0EEENS1_30default_config_static_selectorELNS0_4arch9wavefront6targetE1EEEvT1_
                                        ; -- End function
	.section	.AMDGPU.csdata,"",@progbits
; Kernel info:
; codeLenInByte = 0
; NumSgprs: 4
; NumVgprs: 0
; NumAgprs: 0
; TotalNumVgprs: 0
; ScratchSize: 0
; MemoryBound: 0
; FloatMode: 240
; IeeeMode: 1
; LDSByteSize: 0 bytes/workgroup (compile time only)
; SGPRBlocks: 0
; VGPRBlocks: 0
; NumSGPRsForWavesPerEU: 4
; NumVGPRsForWavesPerEU: 1
; AccumOffset: 4
; Occupancy: 8
; WaveLimiterHint : 0
; COMPUTE_PGM_RSRC2:SCRATCH_EN: 0
; COMPUTE_PGM_RSRC2:USER_SGPR: 6
; COMPUTE_PGM_RSRC2:TRAP_HANDLER: 0
; COMPUTE_PGM_RSRC2:TGID_X_EN: 1
; COMPUTE_PGM_RSRC2:TGID_Y_EN: 0
; COMPUTE_PGM_RSRC2:TGID_Z_EN: 0
; COMPUTE_PGM_RSRC2:TIDIG_COMP_CNT: 0
; COMPUTE_PGM_RSRC3_GFX90A:ACCUM_OFFSET: 0
; COMPUTE_PGM_RSRC3_GFX90A:TG_SPLIT: 0
	.section	.text._ZN7rocprim17ROCPRIM_400000_NS6detail17trampoline_kernelINS0_14default_configENS1_20scan_config_selectorIsEEZZNS1_9scan_implILNS1_25lookback_scan_determinismE0ELb1ELb1ES3_N6thrust23THRUST_200600_302600_NS6detail15normal_iteratorINS9_10device_ptrIsEEEESE_sNS9_4plusIvEEsEEDaPvRmT3_T4_T5_mT6_P12ihipStream_tbENKUlT_T0_E_clISt17integral_constantIbLb0EESU_EEDaSP_SQ_EUlSP_E_NS1_11comp_targetILNS1_3genE10ELNS1_11target_archE1201ELNS1_3gpuE5ELNS1_3repE0EEENS1_30default_config_static_selectorELNS0_4arch9wavefront6targetE1EEEvT1_,"axG",@progbits,_ZN7rocprim17ROCPRIM_400000_NS6detail17trampoline_kernelINS0_14default_configENS1_20scan_config_selectorIsEEZZNS1_9scan_implILNS1_25lookback_scan_determinismE0ELb1ELb1ES3_N6thrust23THRUST_200600_302600_NS6detail15normal_iteratorINS9_10device_ptrIsEEEESE_sNS9_4plusIvEEsEEDaPvRmT3_T4_T5_mT6_P12ihipStream_tbENKUlT_T0_E_clISt17integral_constantIbLb0EESU_EEDaSP_SQ_EUlSP_E_NS1_11comp_targetILNS1_3genE10ELNS1_11target_archE1201ELNS1_3gpuE5ELNS1_3repE0EEENS1_30default_config_static_selectorELNS0_4arch9wavefront6targetE1EEEvT1_,comdat
	.protected	_ZN7rocprim17ROCPRIM_400000_NS6detail17trampoline_kernelINS0_14default_configENS1_20scan_config_selectorIsEEZZNS1_9scan_implILNS1_25lookback_scan_determinismE0ELb1ELb1ES3_N6thrust23THRUST_200600_302600_NS6detail15normal_iteratorINS9_10device_ptrIsEEEESE_sNS9_4plusIvEEsEEDaPvRmT3_T4_T5_mT6_P12ihipStream_tbENKUlT_T0_E_clISt17integral_constantIbLb0EESU_EEDaSP_SQ_EUlSP_E_NS1_11comp_targetILNS1_3genE10ELNS1_11target_archE1201ELNS1_3gpuE5ELNS1_3repE0EEENS1_30default_config_static_selectorELNS0_4arch9wavefront6targetE1EEEvT1_ ; -- Begin function _ZN7rocprim17ROCPRIM_400000_NS6detail17trampoline_kernelINS0_14default_configENS1_20scan_config_selectorIsEEZZNS1_9scan_implILNS1_25lookback_scan_determinismE0ELb1ELb1ES3_N6thrust23THRUST_200600_302600_NS6detail15normal_iteratorINS9_10device_ptrIsEEEESE_sNS9_4plusIvEEsEEDaPvRmT3_T4_T5_mT6_P12ihipStream_tbENKUlT_T0_E_clISt17integral_constantIbLb0EESU_EEDaSP_SQ_EUlSP_E_NS1_11comp_targetILNS1_3genE10ELNS1_11target_archE1201ELNS1_3gpuE5ELNS1_3repE0EEENS1_30default_config_static_selectorELNS0_4arch9wavefront6targetE1EEEvT1_
	.globl	_ZN7rocprim17ROCPRIM_400000_NS6detail17trampoline_kernelINS0_14default_configENS1_20scan_config_selectorIsEEZZNS1_9scan_implILNS1_25lookback_scan_determinismE0ELb1ELb1ES3_N6thrust23THRUST_200600_302600_NS6detail15normal_iteratorINS9_10device_ptrIsEEEESE_sNS9_4plusIvEEsEEDaPvRmT3_T4_T5_mT6_P12ihipStream_tbENKUlT_T0_E_clISt17integral_constantIbLb0EESU_EEDaSP_SQ_EUlSP_E_NS1_11comp_targetILNS1_3genE10ELNS1_11target_archE1201ELNS1_3gpuE5ELNS1_3repE0EEENS1_30default_config_static_selectorELNS0_4arch9wavefront6targetE1EEEvT1_
	.p2align	8
	.type	_ZN7rocprim17ROCPRIM_400000_NS6detail17trampoline_kernelINS0_14default_configENS1_20scan_config_selectorIsEEZZNS1_9scan_implILNS1_25lookback_scan_determinismE0ELb1ELb1ES3_N6thrust23THRUST_200600_302600_NS6detail15normal_iteratorINS9_10device_ptrIsEEEESE_sNS9_4plusIvEEsEEDaPvRmT3_T4_T5_mT6_P12ihipStream_tbENKUlT_T0_E_clISt17integral_constantIbLb0EESU_EEDaSP_SQ_EUlSP_E_NS1_11comp_targetILNS1_3genE10ELNS1_11target_archE1201ELNS1_3gpuE5ELNS1_3repE0EEENS1_30default_config_static_selectorELNS0_4arch9wavefront6targetE1EEEvT1_,@function
_ZN7rocprim17ROCPRIM_400000_NS6detail17trampoline_kernelINS0_14default_configENS1_20scan_config_selectorIsEEZZNS1_9scan_implILNS1_25lookback_scan_determinismE0ELb1ELb1ES3_N6thrust23THRUST_200600_302600_NS6detail15normal_iteratorINS9_10device_ptrIsEEEESE_sNS9_4plusIvEEsEEDaPvRmT3_T4_T5_mT6_P12ihipStream_tbENKUlT_T0_E_clISt17integral_constantIbLb0EESU_EEDaSP_SQ_EUlSP_E_NS1_11comp_targetILNS1_3genE10ELNS1_11target_archE1201ELNS1_3gpuE5ELNS1_3repE0EEENS1_30default_config_static_selectorELNS0_4arch9wavefront6targetE1EEEvT1_: ; @_ZN7rocprim17ROCPRIM_400000_NS6detail17trampoline_kernelINS0_14default_configENS1_20scan_config_selectorIsEEZZNS1_9scan_implILNS1_25lookback_scan_determinismE0ELb1ELb1ES3_N6thrust23THRUST_200600_302600_NS6detail15normal_iteratorINS9_10device_ptrIsEEEESE_sNS9_4plusIvEEsEEDaPvRmT3_T4_T5_mT6_P12ihipStream_tbENKUlT_T0_E_clISt17integral_constantIbLb0EESU_EEDaSP_SQ_EUlSP_E_NS1_11comp_targetILNS1_3genE10ELNS1_11target_archE1201ELNS1_3gpuE5ELNS1_3repE0EEENS1_30default_config_static_selectorELNS0_4arch9wavefront6targetE1EEEvT1_
; %bb.0:
	.section	.rodata,"a",@progbits
	.p2align	6, 0x0
	.amdhsa_kernel _ZN7rocprim17ROCPRIM_400000_NS6detail17trampoline_kernelINS0_14default_configENS1_20scan_config_selectorIsEEZZNS1_9scan_implILNS1_25lookback_scan_determinismE0ELb1ELb1ES3_N6thrust23THRUST_200600_302600_NS6detail15normal_iteratorINS9_10device_ptrIsEEEESE_sNS9_4plusIvEEsEEDaPvRmT3_T4_T5_mT6_P12ihipStream_tbENKUlT_T0_E_clISt17integral_constantIbLb0EESU_EEDaSP_SQ_EUlSP_E_NS1_11comp_targetILNS1_3genE10ELNS1_11target_archE1201ELNS1_3gpuE5ELNS1_3repE0EEENS1_30default_config_static_selectorELNS0_4arch9wavefront6targetE1EEEvT1_
		.amdhsa_group_segment_fixed_size 0
		.amdhsa_private_segment_fixed_size 0
		.amdhsa_kernarg_size 96
		.amdhsa_user_sgpr_count 6
		.amdhsa_user_sgpr_private_segment_buffer 1
		.amdhsa_user_sgpr_dispatch_ptr 0
		.amdhsa_user_sgpr_queue_ptr 0
		.amdhsa_user_sgpr_kernarg_segment_ptr 1
		.amdhsa_user_sgpr_dispatch_id 0
		.amdhsa_user_sgpr_flat_scratch_init 0
		.amdhsa_user_sgpr_kernarg_preload_length 0
		.amdhsa_user_sgpr_kernarg_preload_offset 0
		.amdhsa_user_sgpr_private_segment_size 0
		.amdhsa_uses_dynamic_stack 0
		.amdhsa_system_sgpr_private_segment_wavefront_offset 0
		.amdhsa_system_sgpr_workgroup_id_x 1
		.amdhsa_system_sgpr_workgroup_id_y 0
		.amdhsa_system_sgpr_workgroup_id_z 0
		.amdhsa_system_sgpr_workgroup_info 0
		.amdhsa_system_vgpr_workitem_id 0
		.amdhsa_next_free_vgpr 1
		.amdhsa_next_free_sgpr 0
		.amdhsa_accum_offset 4
		.amdhsa_reserve_vcc 0
		.amdhsa_reserve_flat_scratch 0
		.amdhsa_float_round_mode_32 0
		.amdhsa_float_round_mode_16_64 0
		.amdhsa_float_denorm_mode_32 3
		.amdhsa_float_denorm_mode_16_64 3
		.amdhsa_dx10_clamp 1
		.amdhsa_ieee_mode 1
		.amdhsa_fp16_overflow 0
		.amdhsa_tg_split 0
		.amdhsa_exception_fp_ieee_invalid_op 0
		.amdhsa_exception_fp_denorm_src 0
		.amdhsa_exception_fp_ieee_div_zero 0
		.amdhsa_exception_fp_ieee_overflow 0
		.amdhsa_exception_fp_ieee_underflow 0
		.amdhsa_exception_fp_ieee_inexact 0
		.amdhsa_exception_int_div_zero 0
	.end_amdhsa_kernel
	.section	.text._ZN7rocprim17ROCPRIM_400000_NS6detail17trampoline_kernelINS0_14default_configENS1_20scan_config_selectorIsEEZZNS1_9scan_implILNS1_25lookback_scan_determinismE0ELb1ELb1ES3_N6thrust23THRUST_200600_302600_NS6detail15normal_iteratorINS9_10device_ptrIsEEEESE_sNS9_4plusIvEEsEEDaPvRmT3_T4_T5_mT6_P12ihipStream_tbENKUlT_T0_E_clISt17integral_constantIbLb0EESU_EEDaSP_SQ_EUlSP_E_NS1_11comp_targetILNS1_3genE10ELNS1_11target_archE1201ELNS1_3gpuE5ELNS1_3repE0EEENS1_30default_config_static_selectorELNS0_4arch9wavefront6targetE1EEEvT1_,"axG",@progbits,_ZN7rocprim17ROCPRIM_400000_NS6detail17trampoline_kernelINS0_14default_configENS1_20scan_config_selectorIsEEZZNS1_9scan_implILNS1_25lookback_scan_determinismE0ELb1ELb1ES3_N6thrust23THRUST_200600_302600_NS6detail15normal_iteratorINS9_10device_ptrIsEEEESE_sNS9_4plusIvEEsEEDaPvRmT3_T4_T5_mT6_P12ihipStream_tbENKUlT_T0_E_clISt17integral_constantIbLb0EESU_EEDaSP_SQ_EUlSP_E_NS1_11comp_targetILNS1_3genE10ELNS1_11target_archE1201ELNS1_3gpuE5ELNS1_3repE0EEENS1_30default_config_static_selectorELNS0_4arch9wavefront6targetE1EEEvT1_,comdat
.Lfunc_end984:
	.size	_ZN7rocprim17ROCPRIM_400000_NS6detail17trampoline_kernelINS0_14default_configENS1_20scan_config_selectorIsEEZZNS1_9scan_implILNS1_25lookback_scan_determinismE0ELb1ELb1ES3_N6thrust23THRUST_200600_302600_NS6detail15normal_iteratorINS9_10device_ptrIsEEEESE_sNS9_4plusIvEEsEEDaPvRmT3_T4_T5_mT6_P12ihipStream_tbENKUlT_T0_E_clISt17integral_constantIbLb0EESU_EEDaSP_SQ_EUlSP_E_NS1_11comp_targetILNS1_3genE10ELNS1_11target_archE1201ELNS1_3gpuE5ELNS1_3repE0EEENS1_30default_config_static_selectorELNS0_4arch9wavefront6targetE1EEEvT1_, .Lfunc_end984-_ZN7rocprim17ROCPRIM_400000_NS6detail17trampoline_kernelINS0_14default_configENS1_20scan_config_selectorIsEEZZNS1_9scan_implILNS1_25lookback_scan_determinismE0ELb1ELb1ES3_N6thrust23THRUST_200600_302600_NS6detail15normal_iteratorINS9_10device_ptrIsEEEESE_sNS9_4plusIvEEsEEDaPvRmT3_T4_T5_mT6_P12ihipStream_tbENKUlT_T0_E_clISt17integral_constantIbLb0EESU_EEDaSP_SQ_EUlSP_E_NS1_11comp_targetILNS1_3genE10ELNS1_11target_archE1201ELNS1_3gpuE5ELNS1_3repE0EEENS1_30default_config_static_selectorELNS0_4arch9wavefront6targetE1EEEvT1_
                                        ; -- End function
	.section	.AMDGPU.csdata,"",@progbits
; Kernel info:
; codeLenInByte = 0
; NumSgprs: 4
; NumVgprs: 0
; NumAgprs: 0
; TotalNumVgprs: 0
; ScratchSize: 0
; MemoryBound: 0
; FloatMode: 240
; IeeeMode: 1
; LDSByteSize: 0 bytes/workgroup (compile time only)
; SGPRBlocks: 0
; VGPRBlocks: 0
; NumSGPRsForWavesPerEU: 4
; NumVGPRsForWavesPerEU: 1
; AccumOffset: 4
; Occupancy: 8
; WaveLimiterHint : 0
; COMPUTE_PGM_RSRC2:SCRATCH_EN: 0
; COMPUTE_PGM_RSRC2:USER_SGPR: 6
; COMPUTE_PGM_RSRC2:TRAP_HANDLER: 0
; COMPUTE_PGM_RSRC2:TGID_X_EN: 1
; COMPUTE_PGM_RSRC2:TGID_Y_EN: 0
; COMPUTE_PGM_RSRC2:TGID_Z_EN: 0
; COMPUTE_PGM_RSRC2:TIDIG_COMP_CNT: 0
; COMPUTE_PGM_RSRC3_GFX90A:ACCUM_OFFSET: 0
; COMPUTE_PGM_RSRC3_GFX90A:TG_SPLIT: 0
	.section	.text._ZN7rocprim17ROCPRIM_400000_NS6detail17trampoline_kernelINS0_14default_configENS1_20scan_config_selectorIsEEZZNS1_9scan_implILNS1_25lookback_scan_determinismE0ELb1ELb1ES3_N6thrust23THRUST_200600_302600_NS6detail15normal_iteratorINS9_10device_ptrIsEEEESE_sNS9_4plusIvEEsEEDaPvRmT3_T4_T5_mT6_P12ihipStream_tbENKUlT_T0_E_clISt17integral_constantIbLb0EESU_EEDaSP_SQ_EUlSP_E_NS1_11comp_targetILNS1_3genE10ELNS1_11target_archE1200ELNS1_3gpuE4ELNS1_3repE0EEENS1_30default_config_static_selectorELNS0_4arch9wavefront6targetE1EEEvT1_,"axG",@progbits,_ZN7rocprim17ROCPRIM_400000_NS6detail17trampoline_kernelINS0_14default_configENS1_20scan_config_selectorIsEEZZNS1_9scan_implILNS1_25lookback_scan_determinismE0ELb1ELb1ES3_N6thrust23THRUST_200600_302600_NS6detail15normal_iteratorINS9_10device_ptrIsEEEESE_sNS9_4plusIvEEsEEDaPvRmT3_T4_T5_mT6_P12ihipStream_tbENKUlT_T0_E_clISt17integral_constantIbLb0EESU_EEDaSP_SQ_EUlSP_E_NS1_11comp_targetILNS1_3genE10ELNS1_11target_archE1200ELNS1_3gpuE4ELNS1_3repE0EEENS1_30default_config_static_selectorELNS0_4arch9wavefront6targetE1EEEvT1_,comdat
	.protected	_ZN7rocprim17ROCPRIM_400000_NS6detail17trampoline_kernelINS0_14default_configENS1_20scan_config_selectorIsEEZZNS1_9scan_implILNS1_25lookback_scan_determinismE0ELb1ELb1ES3_N6thrust23THRUST_200600_302600_NS6detail15normal_iteratorINS9_10device_ptrIsEEEESE_sNS9_4plusIvEEsEEDaPvRmT3_T4_T5_mT6_P12ihipStream_tbENKUlT_T0_E_clISt17integral_constantIbLb0EESU_EEDaSP_SQ_EUlSP_E_NS1_11comp_targetILNS1_3genE10ELNS1_11target_archE1200ELNS1_3gpuE4ELNS1_3repE0EEENS1_30default_config_static_selectorELNS0_4arch9wavefront6targetE1EEEvT1_ ; -- Begin function _ZN7rocprim17ROCPRIM_400000_NS6detail17trampoline_kernelINS0_14default_configENS1_20scan_config_selectorIsEEZZNS1_9scan_implILNS1_25lookback_scan_determinismE0ELb1ELb1ES3_N6thrust23THRUST_200600_302600_NS6detail15normal_iteratorINS9_10device_ptrIsEEEESE_sNS9_4plusIvEEsEEDaPvRmT3_T4_T5_mT6_P12ihipStream_tbENKUlT_T0_E_clISt17integral_constantIbLb0EESU_EEDaSP_SQ_EUlSP_E_NS1_11comp_targetILNS1_3genE10ELNS1_11target_archE1200ELNS1_3gpuE4ELNS1_3repE0EEENS1_30default_config_static_selectorELNS0_4arch9wavefront6targetE1EEEvT1_
	.globl	_ZN7rocprim17ROCPRIM_400000_NS6detail17trampoline_kernelINS0_14default_configENS1_20scan_config_selectorIsEEZZNS1_9scan_implILNS1_25lookback_scan_determinismE0ELb1ELb1ES3_N6thrust23THRUST_200600_302600_NS6detail15normal_iteratorINS9_10device_ptrIsEEEESE_sNS9_4plusIvEEsEEDaPvRmT3_T4_T5_mT6_P12ihipStream_tbENKUlT_T0_E_clISt17integral_constantIbLb0EESU_EEDaSP_SQ_EUlSP_E_NS1_11comp_targetILNS1_3genE10ELNS1_11target_archE1200ELNS1_3gpuE4ELNS1_3repE0EEENS1_30default_config_static_selectorELNS0_4arch9wavefront6targetE1EEEvT1_
	.p2align	8
	.type	_ZN7rocprim17ROCPRIM_400000_NS6detail17trampoline_kernelINS0_14default_configENS1_20scan_config_selectorIsEEZZNS1_9scan_implILNS1_25lookback_scan_determinismE0ELb1ELb1ES3_N6thrust23THRUST_200600_302600_NS6detail15normal_iteratorINS9_10device_ptrIsEEEESE_sNS9_4plusIvEEsEEDaPvRmT3_T4_T5_mT6_P12ihipStream_tbENKUlT_T0_E_clISt17integral_constantIbLb0EESU_EEDaSP_SQ_EUlSP_E_NS1_11comp_targetILNS1_3genE10ELNS1_11target_archE1200ELNS1_3gpuE4ELNS1_3repE0EEENS1_30default_config_static_selectorELNS0_4arch9wavefront6targetE1EEEvT1_,@function
_ZN7rocprim17ROCPRIM_400000_NS6detail17trampoline_kernelINS0_14default_configENS1_20scan_config_selectorIsEEZZNS1_9scan_implILNS1_25lookback_scan_determinismE0ELb1ELb1ES3_N6thrust23THRUST_200600_302600_NS6detail15normal_iteratorINS9_10device_ptrIsEEEESE_sNS9_4plusIvEEsEEDaPvRmT3_T4_T5_mT6_P12ihipStream_tbENKUlT_T0_E_clISt17integral_constantIbLb0EESU_EEDaSP_SQ_EUlSP_E_NS1_11comp_targetILNS1_3genE10ELNS1_11target_archE1200ELNS1_3gpuE4ELNS1_3repE0EEENS1_30default_config_static_selectorELNS0_4arch9wavefront6targetE1EEEvT1_: ; @_ZN7rocprim17ROCPRIM_400000_NS6detail17trampoline_kernelINS0_14default_configENS1_20scan_config_selectorIsEEZZNS1_9scan_implILNS1_25lookback_scan_determinismE0ELb1ELb1ES3_N6thrust23THRUST_200600_302600_NS6detail15normal_iteratorINS9_10device_ptrIsEEEESE_sNS9_4plusIvEEsEEDaPvRmT3_T4_T5_mT6_P12ihipStream_tbENKUlT_T0_E_clISt17integral_constantIbLb0EESU_EEDaSP_SQ_EUlSP_E_NS1_11comp_targetILNS1_3genE10ELNS1_11target_archE1200ELNS1_3gpuE4ELNS1_3repE0EEENS1_30default_config_static_selectorELNS0_4arch9wavefront6targetE1EEEvT1_
; %bb.0:
	.section	.rodata,"a",@progbits
	.p2align	6, 0x0
	.amdhsa_kernel _ZN7rocprim17ROCPRIM_400000_NS6detail17trampoline_kernelINS0_14default_configENS1_20scan_config_selectorIsEEZZNS1_9scan_implILNS1_25lookback_scan_determinismE0ELb1ELb1ES3_N6thrust23THRUST_200600_302600_NS6detail15normal_iteratorINS9_10device_ptrIsEEEESE_sNS9_4plusIvEEsEEDaPvRmT3_T4_T5_mT6_P12ihipStream_tbENKUlT_T0_E_clISt17integral_constantIbLb0EESU_EEDaSP_SQ_EUlSP_E_NS1_11comp_targetILNS1_3genE10ELNS1_11target_archE1200ELNS1_3gpuE4ELNS1_3repE0EEENS1_30default_config_static_selectorELNS0_4arch9wavefront6targetE1EEEvT1_
		.amdhsa_group_segment_fixed_size 0
		.amdhsa_private_segment_fixed_size 0
		.amdhsa_kernarg_size 96
		.amdhsa_user_sgpr_count 6
		.amdhsa_user_sgpr_private_segment_buffer 1
		.amdhsa_user_sgpr_dispatch_ptr 0
		.amdhsa_user_sgpr_queue_ptr 0
		.amdhsa_user_sgpr_kernarg_segment_ptr 1
		.amdhsa_user_sgpr_dispatch_id 0
		.amdhsa_user_sgpr_flat_scratch_init 0
		.amdhsa_user_sgpr_kernarg_preload_length 0
		.amdhsa_user_sgpr_kernarg_preload_offset 0
		.amdhsa_user_sgpr_private_segment_size 0
		.amdhsa_uses_dynamic_stack 0
		.amdhsa_system_sgpr_private_segment_wavefront_offset 0
		.amdhsa_system_sgpr_workgroup_id_x 1
		.amdhsa_system_sgpr_workgroup_id_y 0
		.amdhsa_system_sgpr_workgroup_id_z 0
		.amdhsa_system_sgpr_workgroup_info 0
		.amdhsa_system_vgpr_workitem_id 0
		.amdhsa_next_free_vgpr 1
		.amdhsa_next_free_sgpr 0
		.amdhsa_accum_offset 4
		.amdhsa_reserve_vcc 0
		.amdhsa_reserve_flat_scratch 0
		.amdhsa_float_round_mode_32 0
		.amdhsa_float_round_mode_16_64 0
		.amdhsa_float_denorm_mode_32 3
		.amdhsa_float_denorm_mode_16_64 3
		.amdhsa_dx10_clamp 1
		.amdhsa_ieee_mode 1
		.amdhsa_fp16_overflow 0
		.amdhsa_tg_split 0
		.amdhsa_exception_fp_ieee_invalid_op 0
		.amdhsa_exception_fp_denorm_src 0
		.amdhsa_exception_fp_ieee_div_zero 0
		.amdhsa_exception_fp_ieee_overflow 0
		.amdhsa_exception_fp_ieee_underflow 0
		.amdhsa_exception_fp_ieee_inexact 0
		.amdhsa_exception_int_div_zero 0
	.end_amdhsa_kernel
	.section	.text._ZN7rocprim17ROCPRIM_400000_NS6detail17trampoline_kernelINS0_14default_configENS1_20scan_config_selectorIsEEZZNS1_9scan_implILNS1_25lookback_scan_determinismE0ELb1ELb1ES3_N6thrust23THRUST_200600_302600_NS6detail15normal_iteratorINS9_10device_ptrIsEEEESE_sNS9_4plusIvEEsEEDaPvRmT3_T4_T5_mT6_P12ihipStream_tbENKUlT_T0_E_clISt17integral_constantIbLb0EESU_EEDaSP_SQ_EUlSP_E_NS1_11comp_targetILNS1_3genE10ELNS1_11target_archE1200ELNS1_3gpuE4ELNS1_3repE0EEENS1_30default_config_static_selectorELNS0_4arch9wavefront6targetE1EEEvT1_,"axG",@progbits,_ZN7rocprim17ROCPRIM_400000_NS6detail17trampoline_kernelINS0_14default_configENS1_20scan_config_selectorIsEEZZNS1_9scan_implILNS1_25lookback_scan_determinismE0ELb1ELb1ES3_N6thrust23THRUST_200600_302600_NS6detail15normal_iteratorINS9_10device_ptrIsEEEESE_sNS9_4plusIvEEsEEDaPvRmT3_T4_T5_mT6_P12ihipStream_tbENKUlT_T0_E_clISt17integral_constantIbLb0EESU_EEDaSP_SQ_EUlSP_E_NS1_11comp_targetILNS1_3genE10ELNS1_11target_archE1200ELNS1_3gpuE4ELNS1_3repE0EEENS1_30default_config_static_selectorELNS0_4arch9wavefront6targetE1EEEvT1_,comdat
.Lfunc_end985:
	.size	_ZN7rocprim17ROCPRIM_400000_NS6detail17trampoline_kernelINS0_14default_configENS1_20scan_config_selectorIsEEZZNS1_9scan_implILNS1_25lookback_scan_determinismE0ELb1ELb1ES3_N6thrust23THRUST_200600_302600_NS6detail15normal_iteratorINS9_10device_ptrIsEEEESE_sNS9_4plusIvEEsEEDaPvRmT3_T4_T5_mT6_P12ihipStream_tbENKUlT_T0_E_clISt17integral_constantIbLb0EESU_EEDaSP_SQ_EUlSP_E_NS1_11comp_targetILNS1_3genE10ELNS1_11target_archE1200ELNS1_3gpuE4ELNS1_3repE0EEENS1_30default_config_static_selectorELNS0_4arch9wavefront6targetE1EEEvT1_, .Lfunc_end985-_ZN7rocprim17ROCPRIM_400000_NS6detail17trampoline_kernelINS0_14default_configENS1_20scan_config_selectorIsEEZZNS1_9scan_implILNS1_25lookback_scan_determinismE0ELb1ELb1ES3_N6thrust23THRUST_200600_302600_NS6detail15normal_iteratorINS9_10device_ptrIsEEEESE_sNS9_4plusIvEEsEEDaPvRmT3_T4_T5_mT6_P12ihipStream_tbENKUlT_T0_E_clISt17integral_constantIbLb0EESU_EEDaSP_SQ_EUlSP_E_NS1_11comp_targetILNS1_3genE10ELNS1_11target_archE1200ELNS1_3gpuE4ELNS1_3repE0EEENS1_30default_config_static_selectorELNS0_4arch9wavefront6targetE1EEEvT1_
                                        ; -- End function
	.section	.AMDGPU.csdata,"",@progbits
; Kernel info:
; codeLenInByte = 0
; NumSgprs: 4
; NumVgprs: 0
; NumAgprs: 0
; TotalNumVgprs: 0
; ScratchSize: 0
; MemoryBound: 0
; FloatMode: 240
; IeeeMode: 1
; LDSByteSize: 0 bytes/workgroup (compile time only)
; SGPRBlocks: 0
; VGPRBlocks: 0
; NumSGPRsForWavesPerEU: 4
; NumVGPRsForWavesPerEU: 1
; AccumOffset: 4
; Occupancy: 8
; WaveLimiterHint : 0
; COMPUTE_PGM_RSRC2:SCRATCH_EN: 0
; COMPUTE_PGM_RSRC2:USER_SGPR: 6
; COMPUTE_PGM_RSRC2:TRAP_HANDLER: 0
; COMPUTE_PGM_RSRC2:TGID_X_EN: 1
; COMPUTE_PGM_RSRC2:TGID_Y_EN: 0
; COMPUTE_PGM_RSRC2:TGID_Z_EN: 0
; COMPUTE_PGM_RSRC2:TIDIG_COMP_CNT: 0
; COMPUTE_PGM_RSRC3_GFX90A:ACCUM_OFFSET: 0
; COMPUTE_PGM_RSRC3_GFX90A:TG_SPLIT: 0
	.section	.text._ZN7rocprim17ROCPRIM_400000_NS6detail17trampoline_kernelINS0_14default_configENS1_20scan_config_selectorIsEEZZNS1_9scan_implILNS1_25lookback_scan_determinismE0ELb1ELb1ES3_N6thrust23THRUST_200600_302600_NS6detail15normal_iteratorINS9_10device_ptrIsEEEESE_sNS9_4plusIvEEsEEDaPvRmT3_T4_T5_mT6_P12ihipStream_tbENKUlT_T0_E_clISt17integral_constantIbLb0EESU_EEDaSP_SQ_EUlSP_E_NS1_11comp_targetILNS1_3genE9ELNS1_11target_archE1100ELNS1_3gpuE3ELNS1_3repE0EEENS1_30default_config_static_selectorELNS0_4arch9wavefront6targetE1EEEvT1_,"axG",@progbits,_ZN7rocprim17ROCPRIM_400000_NS6detail17trampoline_kernelINS0_14default_configENS1_20scan_config_selectorIsEEZZNS1_9scan_implILNS1_25lookback_scan_determinismE0ELb1ELb1ES3_N6thrust23THRUST_200600_302600_NS6detail15normal_iteratorINS9_10device_ptrIsEEEESE_sNS9_4plusIvEEsEEDaPvRmT3_T4_T5_mT6_P12ihipStream_tbENKUlT_T0_E_clISt17integral_constantIbLb0EESU_EEDaSP_SQ_EUlSP_E_NS1_11comp_targetILNS1_3genE9ELNS1_11target_archE1100ELNS1_3gpuE3ELNS1_3repE0EEENS1_30default_config_static_selectorELNS0_4arch9wavefront6targetE1EEEvT1_,comdat
	.protected	_ZN7rocprim17ROCPRIM_400000_NS6detail17trampoline_kernelINS0_14default_configENS1_20scan_config_selectorIsEEZZNS1_9scan_implILNS1_25lookback_scan_determinismE0ELb1ELb1ES3_N6thrust23THRUST_200600_302600_NS6detail15normal_iteratorINS9_10device_ptrIsEEEESE_sNS9_4plusIvEEsEEDaPvRmT3_T4_T5_mT6_P12ihipStream_tbENKUlT_T0_E_clISt17integral_constantIbLb0EESU_EEDaSP_SQ_EUlSP_E_NS1_11comp_targetILNS1_3genE9ELNS1_11target_archE1100ELNS1_3gpuE3ELNS1_3repE0EEENS1_30default_config_static_selectorELNS0_4arch9wavefront6targetE1EEEvT1_ ; -- Begin function _ZN7rocprim17ROCPRIM_400000_NS6detail17trampoline_kernelINS0_14default_configENS1_20scan_config_selectorIsEEZZNS1_9scan_implILNS1_25lookback_scan_determinismE0ELb1ELb1ES3_N6thrust23THRUST_200600_302600_NS6detail15normal_iteratorINS9_10device_ptrIsEEEESE_sNS9_4plusIvEEsEEDaPvRmT3_T4_T5_mT6_P12ihipStream_tbENKUlT_T0_E_clISt17integral_constantIbLb0EESU_EEDaSP_SQ_EUlSP_E_NS1_11comp_targetILNS1_3genE9ELNS1_11target_archE1100ELNS1_3gpuE3ELNS1_3repE0EEENS1_30default_config_static_selectorELNS0_4arch9wavefront6targetE1EEEvT1_
	.globl	_ZN7rocprim17ROCPRIM_400000_NS6detail17trampoline_kernelINS0_14default_configENS1_20scan_config_selectorIsEEZZNS1_9scan_implILNS1_25lookback_scan_determinismE0ELb1ELb1ES3_N6thrust23THRUST_200600_302600_NS6detail15normal_iteratorINS9_10device_ptrIsEEEESE_sNS9_4plusIvEEsEEDaPvRmT3_T4_T5_mT6_P12ihipStream_tbENKUlT_T0_E_clISt17integral_constantIbLb0EESU_EEDaSP_SQ_EUlSP_E_NS1_11comp_targetILNS1_3genE9ELNS1_11target_archE1100ELNS1_3gpuE3ELNS1_3repE0EEENS1_30default_config_static_selectorELNS0_4arch9wavefront6targetE1EEEvT1_
	.p2align	8
	.type	_ZN7rocprim17ROCPRIM_400000_NS6detail17trampoline_kernelINS0_14default_configENS1_20scan_config_selectorIsEEZZNS1_9scan_implILNS1_25lookback_scan_determinismE0ELb1ELb1ES3_N6thrust23THRUST_200600_302600_NS6detail15normal_iteratorINS9_10device_ptrIsEEEESE_sNS9_4plusIvEEsEEDaPvRmT3_T4_T5_mT6_P12ihipStream_tbENKUlT_T0_E_clISt17integral_constantIbLb0EESU_EEDaSP_SQ_EUlSP_E_NS1_11comp_targetILNS1_3genE9ELNS1_11target_archE1100ELNS1_3gpuE3ELNS1_3repE0EEENS1_30default_config_static_selectorELNS0_4arch9wavefront6targetE1EEEvT1_,@function
_ZN7rocprim17ROCPRIM_400000_NS6detail17trampoline_kernelINS0_14default_configENS1_20scan_config_selectorIsEEZZNS1_9scan_implILNS1_25lookback_scan_determinismE0ELb1ELb1ES3_N6thrust23THRUST_200600_302600_NS6detail15normal_iteratorINS9_10device_ptrIsEEEESE_sNS9_4plusIvEEsEEDaPvRmT3_T4_T5_mT6_P12ihipStream_tbENKUlT_T0_E_clISt17integral_constantIbLb0EESU_EEDaSP_SQ_EUlSP_E_NS1_11comp_targetILNS1_3genE9ELNS1_11target_archE1100ELNS1_3gpuE3ELNS1_3repE0EEENS1_30default_config_static_selectorELNS0_4arch9wavefront6targetE1EEEvT1_: ; @_ZN7rocprim17ROCPRIM_400000_NS6detail17trampoline_kernelINS0_14default_configENS1_20scan_config_selectorIsEEZZNS1_9scan_implILNS1_25lookback_scan_determinismE0ELb1ELb1ES3_N6thrust23THRUST_200600_302600_NS6detail15normal_iteratorINS9_10device_ptrIsEEEESE_sNS9_4plusIvEEsEEDaPvRmT3_T4_T5_mT6_P12ihipStream_tbENKUlT_T0_E_clISt17integral_constantIbLb0EESU_EEDaSP_SQ_EUlSP_E_NS1_11comp_targetILNS1_3genE9ELNS1_11target_archE1100ELNS1_3gpuE3ELNS1_3repE0EEENS1_30default_config_static_selectorELNS0_4arch9wavefront6targetE1EEEvT1_
; %bb.0:
	.section	.rodata,"a",@progbits
	.p2align	6, 0x0
	.amdhsa_kernel _ZN7rocprim17ROCPRIM_400000_NS6detail17trampoline_kernelINS0_14default_configENS1_20scan_config_selectorIsEEZZNS1_9scan_implILNS1_25lookback_scan_determinismE0ELb1ELb1ES3_N6thrust23THRUST_200600_302600_NS6detail15normal_iteratorINS9_10device_ptrIsEEEESE_sNS9_4plusIvEEsEEDaPvRmT3_T4_T5_mT6_P12ihipStream_tbENKUlT_T0_E_clISt17integral_constantIbLb0EESU_EEDaSP_SQ_EUlSP_E_NS1_11comp_targetILNS1_3genE9ELNS1_11target_archE1100ELNS1_3gpuE3ELNS1_3repE0EEENS1_30default_config_static_selectorELNS0_4arch9wavefront6targetE1EEEvT1_
		.amdhsa_group_segment_fixed_size 0
		.amdhsa_private_segment_fixed_size 0
		.amdhsa_kernarg_size 96
		.amdhsa_user_sgpr_count 6
		.amdhsa_user_sgpr_private_segment_buffer 1
		.amdhsa_user_sgpr_dispatch_ptr 0
		.amdhsa_user_sgpr_queue_ptr 0
		.amdhsa_user_sgpr_kernarg_segment_ptr 1
		.amdhsa_user_sgpr_dispatch_id 0
		.amdhsa_user_sgpr_flat_scratch_init 0
		.amdhsa_user_sgpr_kernarg_preload_length 0
		.amdhsa_user_sgpr_kernarg_preload_offset 0
		.amdhsa_user_sgpr_private_segment_size 0
		.amdhsa_uses_dynamic_stack 0
		.amdhsa_system_sgpr_private_segment_wavefront_offset 0
		.amdhsa_system_sgpr_workgroup_id_x 1
		.amdhsa_system_sgpr_workgroup_id_y 0
		.amdhsa_system_sgpr_workgroup_id_z 0
		.amdhsa_system_sgpr_workgroup_info 0
		.amdhsa_system_vgpr_workitem_id 0
		.amdhsa_next_free_vgpr 1
		.amdhsa_next_free_sgpr 0
		.amdhsa_accum_offset 4
		.amdhsa_reserve_vcc 0
		.amdhsa_reserve_flat_scratch 0
		.amdhsa_float_round_mode_32 0
		.amdhsa_float_round_mode_16_64 0
		.amdhsa_float_denorm_mode_32 3
		.amdhsa_float_denorm_mode_16_64 3
		.amdhsa_dx10_clamp 1
		.amdhsa_ieee_mode 1
		.amdhsa_fp16_overflow 0
		.amdhsa_tg_split 0
		.amdhsa_exception_fp_ieee_invalid_op 0
		.amdhsa_exception_fp_denorm_src 0
		.amdhsa_exception_fp_ieee_div_zero 0
		.amdhsa_exception_fp_ieee_overflow 0
		.amdhsa_exception_fp_ieee_underflow 0
		.amdhsa_exception_fp_ieee_inexact 0
		.amdhsa_exception_int_div_zero 0
	.end_amdhsa_kernel
	.section	.text._ZN7rocprim17ROCPRIM_400000_NS6detail17trampoline_kernelINS0_14default_configENS1_20scan_config_selectorIsEEZZNS1_9scan_implILNS1_25lookback_scan_determinismE0ELb1ELb1ES3_N6thrust23THRUST_200600_302600_NS6detail15normal_iteratorINS9_10device_ptrIsEEEESE_sNS9_4plusIvEEsEEDaPvRmT3_T4_T5_mT6_P12ihipStream_tbENKUlT_T0_E_clISt17integral_constantIbLb0EESU_EEDaSP_SQ_EUlSP_E_NS1_11comp_targetILNS1_3genE9ELNS1_11target_archE1100ELNS1_3gpuE3ELNS1_3repE0EEENS1_30default_config_static_selectorELNS0_4arch9wavefront6targetE1EEEvT1_,"axG",@progbits,_ZN7rocprim17ROCPRIM_400000_NS6detail17trampoline_kernelINS0_14default_configENS1_20scan_config_selectorIsEEZZNS1_9scan_implILNS1_25lookback_scan_determinismE0ELb1ELb1ES3_N6thrust23THRUST_200600_302600_NS6detail15normal_iteratorINS9_10device_ptrIsEEEESE_sNS9_4plusIvEEsEEDaPvRmT3_T4_T5_mT6_P12ihipStream_tbENKUlT_T0_E_clISt17integral_constantIbLb0EESU_EEDaSP_SQ_EUlSP_E_NS1_11comp_targetILNS1_3genE9ELNS1_11target_archE1100ELNS1_3gpuE3ELNS1_3repE0EEENS1_30default_config_static_selectorELNS0_4arch9wavefront6targetE1EEEvT1_,comdat
.Lfunc_end986:
	.size	_ZN7rocprim17ROCPRIM_400000_NS6detail17trampoline_kernelINS0_14default_configENS1_20scan_config_selectorIsEEZZNS1_9scan_implILNS1_25lookback_scan_determinismE0ELb1ELb1ES3_N6thrust23THRUST_200600_302600_NS6detail15normal_iteratorINS9_10device_ptrIsEEEESE_sNS9_4plusIvEEsEEDaPvRmT3_T4_T5_mT6_P12ihipStream_tbENKUlT_T0_E_clISt17integral_constantIbLb0EESU_EEDaSP_SQ_EUlSP_E_NS1_11comp_targetILNS1_3genE9ELNS1_11target_archE1100ELNS1_3gpuE3ELNS1_3repE0EEENS1_30default_config_static_selectorELNS0_4arch9wavefront6targetE1EEEvT1_, .Lfunc_end986-_ZN7rocprim17ROCPRIM_400000_NS6detail17trampoline_kernelINS0_14default_configENS1_20scan_config_selectorIsEEZZNS1_9scan_implILNS1_25lookback_scan_determinismE0ELb1ELb1ES3_N6thrust23THRUST_200600_302600_NS6detail15normal_iteratorINS9_10device_ptrIsEEEESE_sNS9_4plusIvEEsEEDaPvRmT3_T4_T5_mT6_P12ihipStream_tbENKUlT_T0_E_clISt17integral_constantIbLb0EESU_EEDaSP_SQ_EUlSP_E_NS1_11comp_targetILNS1_3genE9ELNS1_11target_archE1100ELNS1_3gpuE3ELNS1_3repE0EEENS1_30default_config_static_selectorELNS0_4arch9wavefront6targetE1EEEvT1_
                                        ; -- End function
	.section	.AMDGPU.csdata,"",@progbits
; Kernel info:
; codeLenInByte = 0
; NumSgprs: 4
; NumVgprs: 0
; NumAgprs: 0
; TotalNumVgprs: 0
; ScratchSize: 0
; MemoryBound: 0
; FloatMode: 240
; IeeeMode: 1
; LDSByteSize: 0 bytes/workgroup (compile time only)
; SGPRBlocks: 0
; VGPRBlocks: 0
; NumSGPRsForWavesPerEU: 4
; NumVGPRsForWavesPerEU: 1
; AccumOffset: 4
; Occupancy: 8
; WaveLimiterHint : 0
; COMPUTE_PGM_RSRC2:SCRATCH_EN: 0
; COMPUTE_PGM_RSRC2:USER_SGPR: 6
; COMPUTE_PGM_RSRC2:TRAP_HANDLER: 0
; COMPUTE_PGM_RSRC2:TGID_X_EN: 1
; COMPUTE_PGM_RSRC2:TGID_Y_EN: 0
; COMPUTE_PGM_RSRC2:TGID_Z_EN: 0
; COMPUTE_PGM_RSRC2:TIDIG_COMP_CNT: 0
; COMPUTE_PGM_RSRC3_GFX90A:ACCUM_OFFSET: 0
; COMPUTE_PGM_RSRC3_GFX90A:TG_SPLIT: 0
	.section	.text._ZN7rocprim17ROCPRIM_400000_NS6detail17trampoline_kernelINS0_14default_configENS1_20scan_config_selectorIsEEZZNS1_9scan_implILNS1_25lookback_scan_determinismE0ELb1ELb1ES3_N6thrust23THRUST_200600_302600_NS6detail15normal_iteratorINS9_10device_ptrIsEEEESE_sNS9_4plusIvEEsEEDaPvRmT3_T4_T5_mT6_P12ihipStream_tbENKUlT_T0_E_clISt17integral_constantIbLb0EESU_EEDaSP_SQ_EUlSP_E_NS1_11comp_targetILNS1_3genE8ELNS1_11target_archE1030ELNS1_3gpuE2ELNS1_3repE0EEENS1_30default_config_static_selectorELNS0_4arch9wavefront6targetE1EEEvT1_,"axG",@progbits,_ZN7rocprim17ROCPRIM_400000_NS6detail17trampoline_kernelINS0_14default_configENS1_20scan_config_selectorIsEEZZNS1_9scan_implILNS1_25lookback_scan_determinismE0ELb1ELb1ES3_N6thrust23THRUST_200600_302600_NS6detail15normal_iteratorINS9_10device_ptrIsEEEESE_sNS9_4plusIvEEsEEDaPvRmT3_T4_T5_mT6_P12ihipStream_tbENKUlT_T0_E_clISt17integral_constantIbLb0EESU_EEDaSP_SQ_EUlSP_E_NS1_11comp_targetILNS1_3genE8ELNS1_11target_archE1030ELNS1_3gpuE2ELNS1_3repE0EEENS1_30default_config_static_selectorELNS0_4arch9wavefront6targetE1EEEvT1_,comdat
	.protected	_ZN7rocprim17ROCPRIM_400000_NS6detail17trampoline_kernelINS0_14default_configENS1_20scan_config_selectorIsEEZZNS1_9scan_implILNS1_25lookback_scan_determinismE0ELb1ELb1ES3_N6thrust23THRUST_200600_302600_NS6detail15normal_iteratorINS9_10device_ptrIsEEEESE_sNS9_4plusIvEEsEEDaPvRmT3_T4_T5_mT6_P12ihipStream_tbENKUlT_T0_E_clISt17integral_constantIbLb0EESU_EEDaSP_SQ_EUlSP_E_NS1_11comp_targetILNS1_3genE8ELNS1_11target_archE1030ELNS1_3gpuE2ELNS1_3repE0EEENS1_30default_config_static_selectorELNS0_4arch9wavefront6targetE1EEEvT1_ ; -- Begin function _ZN7rocprim17ROCPRIM_400000_NS6detail17trampoline_kernelINS0_14default_configENS1_20scan_config_selectorIsEEZZNS1_9scan_implILNS1_25lookback_scan_determinismE0ELb1ELb1ES3_N6thrust23THRUST_200600_302600_NS6detail15normal_iteratorINS9_10device_ptrIsEEEESE_sNS9_4plusIvEEsEEDaPvRmT3_T4_T5_mT6_P12ihipStream_tbENKUlT_T0_E_clISt17integral_constantIbLb0EESU_EEDaSP_SQ_EUlSP_E_NS1_11comp_targetILNS1_3genE8ELNS1_11target_archE1030ELNS1_3gpuE2ELNS1_3repE0EEENS1_30default_config_static_selectorELNS0_4arch9wavefront6targetE1EEEvT1_
	.globl	_ZN7rocprim17ROCPRIM_400000_NS6detail17trampoline_kernelINS0_14default_configENS1_20scan_config_selectorIsEEZZNS1_9scan_implILNS1_25lookback_scan_determinismE0ELb1ELb1ES3_N6thrust23THRUST_200600_302600_NS6detail15normal_iteratorINS9_10device_ptrIsEEEESE_sNS9_4plusIvEEsEEDaPvRmT3_T4_T5_mT6_P12ihipStream_tbENKUlT_T0_E_clISt17integral_constantIbLb0EESU_EEDaSP_SQ_EUlSP_E_NS1_11comp_targetILNS1_3genE8ELNS1_11target_archE1030ELNS1_3gpuE2ELNS1_3repE0EEENS1_30default_config_static_selectorELNS0_4arch9wavefront6targetE1EEEvT1_
	.p2align	8
	.type	_ZN7rocprim17ROCPRIM_400000_NS6detail17trampoline_kernelINS0_14default_configENS1_20scan_config_selectorIsEEZZNS1_9scan_implILNS1_25lookback_scan_determinismE0ELb1ELb1ES3_N6thrust23THRUST_200600_302600_NS6detail15normal_iteratorINS9_10device_ptrIsEEEESE_sNS9_4plusIvEEsEEDaPvRmT3_T4_T5_mT6_P12ihipStream_tbENKUlT_T0_E_clISt17integral_constantIbLb0EESU_EEDaSP_SQ_EUlSP_E_NS1_11comp_targetILNS1_3genE8ELNS1_11target_archE1030ELNS1_3gpuE2ELNS1_3repE0EEENS1_30default_config_static_selectorELNS0_4arch9wavefront6targetE1EEEvT1_,@function
_ZN7rocprim17ROCPRIM_400000_NS6detail17trampoline_kernelINS0_14default_configENS1_20scan_config_selectorIsEEZZNS1_9scan_implILNS1_25lookback_scan_determinismE0ELb1ELb1ES3_N6thrust23THRUST_200600_302600_NS6detail15normal_iteratorINS9_10device_ptrIsEEEESE_sNS9_4plusIvEEsEEDaPvRmT3_T4_T5_mT6_P12ihipStream_tbENKUlT_T0_E_clISt17integral_constantIbLb0EESU_EEDaSP_SQ_EUlSP_E_NS1_11comp_targetILNS1_3genE8ELNS1_11target_archE1030ELNS1_3gpuE2ELNS1_3repE0EEENS1_30default_config_static_selectorELNS0_4arch9wavefront6targetE1EEEvT1_: ; @_ZN7rocprim17ROCPRIM_400000_NS6detail17trampoline_kernelINS0_14default_configENS1_20scan_config_selectorIsEEZZNS1_9scan_implILNS1_25lookback_scan_determinismE0ELb1ELb1ES3_N6thrust23THRUST_200600_302600_NS6detail15normal_iteratorINS9_10device_ptrIsEEEESE_sNS9_4plusIvEEsEEDaPvRmT3_T4_T5_mT6_P12ihipStream_tbENKUlT_T0_E_clISt17integral_constantIbLb0EESU_EEDaSP_SQ_EUlSP_E_NS1_11comp_targetILNS1_3genE8ELNS1_11target_archE1030ELNS1_3gpuE2ELNS1_3repE0EEENS1_30default_config_static_selectorELNS0_4arch9wavefront6targetE1EEEvT1_
; %bb.0:
	.section	.rodata,"a",@progbits
	.p2align	6, 0x0
	.amdhsa_kernel _ZN7rocprim17ROCPRIM_400000_NS6detail17trampoline_kernelINS0_14default_configENS1_20scan_config_selectorIsEEZZNS1_9scan_implILNS1_25lookback_scan_determinismE0ELb1ELb1ES3_N6thrust23THRUST_200600_302600_NS6detail15normal_iteratorINS9_10device_ptrIsEEEESE_sNS9_4plusIvEEsEEDaPvRmT3_T4_T5_mT6_P12ihipStream_tbENKUlT_T0_E_clISt17integral_constantIbLb0EESU_EEDaSP_SQ_EUlSP_E_NS1_11comp_targetILNS1_3genE8ELNS1_11target_archE1030ELNS1_3gpuE2ELNS1_3repE0EEENS1_30default_config_static_selectorELNS0_4arch9wavefront6targetE1EEEvT1_
		.amdhsa_group_segment_fixed_size 0
		.amdhsa_private_segment_fixed_size 0
		.amdhsa_kernarg_size 96
		.amdhsa_user_sgpr_count 6
		.amdhsa_user_sgpr_private_segment_buffer 1
		.amdhsa_user_sgpr_dispatch_ptr 0
		.amdhsa_user_sgpr_queue_ptr 0
		.amdhsa_user_sgpr_kernarg_segment_ptr 1
		.amdhsa_user_sgpr_dispatch_id 0
		.amdhsa_user_sgpr_flat_scratch_init 0
		.amdhsa_user_sgpr_kernarg_preload_length 0
		.amdhsa_user_sgpr_kernarg_preload_offset 0
		.amdhsa_user_sgpr_private_segment_size 0
		.amdhsa_uses_dynamic_stack 0
		.amdhsa_system_sgpr_private_segment_wavefront_offset 0
		.amdhsa_system_sgpr_workgroup_id_x 1
		.amdhsa_system_sgpr_workgroup_id_y 0
		.amdhsa_system_sgpr_workgroup_id_z 0
		.amdhsa_system_sgpr_workgroup_info 0
		.amdhsa_system_vgpr_workitem_id 0
		.amdhsa_next_free_vgpr 1
		.amdhsa_next_free_sgpr 0
		.amdhsa_accum_offset 4
		.amdhsa_reserve_vcc 0
		.amdhsa_reserve_flat_scratch 0
		.amdhsa_float_round_mode_32 0
		.amdhsa_float_round_mode_16_64 0
		.amdhsa_float_denorm_mode_32 3
		.amdhsa_float_denorm_mode_16_64 3
		.amdhsa_dx10_clamp 1
		.amdhsa_ieee_mode 1
		.amdhsa_fp16_overflow 0
		.amdhsa_tg_split 0
		.amdhsa_exception_fp_ieee_invalid_op 0
		.amdhsa_exception_fp_denorm_src 0
		.amdhsa_exception_fp_ieee_div_zero 0
		.amdhsa_exception_fp_ieee_overflow 0
		.amdhsa_exception_fp_ieee_underflow 0
		.amdhsa_exception_fp_ieee_inexact 0
		.amdhsa_exception_int_div_zero 0
	.end_amdhsa_kernel
	.section	.text._ZN7rocprim17ROCPRIM_400000_NS6detail17trampoline_kernelINS0_14default_configENS1_20scan_config_selectorIsEEZZNS1_9scan_implILNS1_25lookback_scan_determinismE0ELb1ELb1ES3_N6thrust23THRUST_200600_302600_NS6detail15normal_iteratorINS9_10device_ptrIsEEEESE_sNS9_4plusIvEEsEEDaPvRmT3_T4_T5_mT6_P12ihipStream_tbENKUlT_T0_E_clISt17integral_constantIbLb0EESU_EEDaSP_SQ_EUlSP_E_NS1_11comp_targetILNS1_3genE8ELNS1_11target_archE1030ELNS1_3gpuE2ELNS1_3repE0EEENS1_30default_config_static_selectorELNS0_4arch9wavefront6targetE1EEEvT1_,"axG",@progbits,_ZN7rocprim17ROCPRIM_400000_NS6detail17trampoline_kernelINS0_14default_configENS1_20scan_config_selectorIsEEZZNS1_9scan_implILNS1_25lookback_scan_determinismE0ELb1ELb1ES3_N6thrust23THRUST_200600_302600_NS6detail15normal_iteratorINS9_10device_ptrIsEEEESE_sNS9_4plusIvEEsEEDaPvRmT3_T4_T5_mT6_P12ihipStream_tbENKUlT_T0_E_clISt17integral_constantIbLb0EESU_EEDaSP_SQ_EUlSP_E_NS1_11comp_targetILNS1_3genE8ELNS1_11target_archE1030ELNS1_3gpuE2ELNS1_3repE0EEENS1_30default_config_static_selectorELNS0_4arch9wavefront6targetE1EEEvT1_,comdat
.Lfunc_end987:
	.size	_ZN7rocprim17ROCPRIM_400000_NS6detail17trampoline_kernelINS0_14default_configENS1_20scan_config_selectorIsEEZZNS1_9scan_implILNS1_25lookback_scan_determinismE0ELb1ELb1ES3_N6thrust23THRUST_200600_302600_NS6detail15normal_iteratorINS9_10device_ptrIsEEEESE_sNS9_4plusIvEEsEEDaPvRmT3_T4_T5_mT6_P12ihipStream_tbENKUlT_T0_E_clISt17integral_constantIbLb0EESU_EEDaSP_SQ_EUlSP_E_NS1_11comp_targetILNS1_3genE8ELNS1_11target_archE1030ELNS1_3gpuE2ELNS1_3repE0EEENS1_30default_config_static_selectorELNS0_4arch9wavefront6targetE1EEEvT1_, .Lfunc_end987-_ZN7rocprim17ROCPRIM_400000_NS6detail17trampoline_kernelINS0_14default_configENS1_20scan_config_selectorIsEEZZNS1_9scan_implILNS1_25lookback_scan_determinismE0ELb1ELb1ES3_N6thrust23THRUST_200600_302600_NS6detail15normal_iteratorINS9_10device_ptrIsEEEESE_sNS9_4plusIvEEsEEDaPvRmT3_T4_T5_mT6_P12ihipStream_tbENKUlT_T0_E_clISt17integral_constantIbLb0EESU_EEDaSP_SQ_EUlSP_E_NS1_11comp_targetILNS1_3genE8ELNS1_11target_archE1030ELNS1_3gpuE2ELNS1_3repE0EEENS1_30default_config_static_selectorELNS0_4arch9wavefront6targetE1EEEvT1_
                                        ; -- End function
	.section	.AMDGPU.csdata,"",@progbits
; Kernel info:
; codeLenInByte = 0
; NumSgprs: 4
; NumVgprs: 0
; NumAgprs: 0
; TotalNumVgprs: 0
; ScratchSize: 0
; MemoryBound: 0
; FloatMode: 240
; IeeeMode: 1
; LDSByteSize: 0 bytes/workgroup (compile time only)
; SGPRBlocks: 0
; VGPRBlocks: 0
; NumSGPRsForWavesPerEU: 4
; NumVGPRsForWavesPerEU: 1
; AccumOffset: 4
; Occupancy: 8
; WaveLimiterHint : 0
; COMPUTE_PGM_RSRC2:SCRATCH_EN: 0
; COMPUTE_PGM_RSRC2:USER_SGPR: 6
; COMPUTE_PGM_RSRC2:TRAP_HANDLER: 0
; COMPUTE_PGM_RSRC2:TGID_X_EN: 1
; COMPUTE_PGM_RSRC2:TGID_Y_EN: 0
; COMPUTE_PGM_RSRC2:TGID_Z_EN: 0
; COMPUTE_PGM_RSRC2:TIDIG_COMP_CNT: 0
; COMPUTE_PGM_RSRC3_GFX90A:ACCUM_OFFSET: 0
; COMPUTE_PGM_RSRC3_GFX90A:TG_SPLIT: 0
	.section	.text._ZN7rocprim17ROCPRIM_400000_NS6detail17trampoline_kernelINS0_14default_configENS1_20scan_config_selectorIsEEZZNS1_9scan_implILNS1_25lookback_scan_determinismE0ELb1ELb1ES3_N6thrust23THRUST_200600_302600_NS6detail15normal_iteratorINS9_10device_ptrIsEEEESE_sNS9_4plusIvEEsEEDaPvRmT3_T4_T5_mT6_P12ihipStream_tbENKUlT_T0_E_clISt17integral_constantIbLb0EESU_EEDaSP_SQ_EUlSP_E0_NS1_11comp_targetILNS1_3genE0ELNS1_11target_archE4294967295ELNS1_3gpuE0ELNS1_3repE0EEENS1_30default_config_static_selectorELNS0_4arch9wavefront6targetE1EEEvT1_,"axG",@progbits,_ZN7rocprim17ROCPRIM_400000_NS6detail17trampoline_kernelINS0_14default_configENS1_20scan_config_selectorIsEEZZNS1_9scan_implILNS1_25lookback_scan_determinismE0ELb1ELb1ES3_N6thrust23THRUST_200600_302600_NS6detail15normal_iteratorINS9_10device_ptrIsEEEESE_sNS9_4plusIvEEsEEDaPvRmT3_T4_T5_mT6_P12ihipStream_tbENKUlT_T0_E_clISt17integral_constantIbLb0EESU_EEDaSP_SQ_EUlSP_E0_NS1_11comp_targetILNS1_3genE0ELNS1_11target_archE4294967295ELNS1_3gpuE0ELNS1_3repE0EEENS1_30default_config_static_selectorELNS0_4arch9wavefront6targetE1EEEvT1_,comdat
	.protected	_ZN7rocprim17ROCPRIM_400000_NS6detail17trampoline_kernelINS0_14default_configENS1_20scan_config_selectorIsEEZZNS1_9scan_implILNS1_25lookback_scan_determinismE0ELb1ELb1ES3_N6thrust23THRUST_200600_302600_NS6detail15normal_iteratorINS9_10device_ptrIsEEEESE_sNS9_4plusIvEEsEEDaPvRmT3_T4_T5_mT6_P12ihipStream_tbENKUlT_T0_E_clISt17integral_constantIbLb0EESU_EEDaSP_SQ_EUlSP_E0_NS1_11comp_targetILNS1_3genE0ELNS1_11target_archE4294967295ELNS1_3gpuE0ELNS1_3repE0EEENS1_30default_config_static_selectorELNS0_4arch9wavefront6targetE1EEEvT1_ ; -- Begin function _ZN7rocprim17ROCPRIM_400000_NS6detail17trampoline_kernelINS0_14default_configENS1_20scan_config_selectorIsEEZZNS1_9scan_implILNS1_25lookback_scan_determinismE0ELb1ELb1ES3_N6thrust23THRUST_200600_302600_NS6detail15normal_iteratorINS9_10device_ptrIsEEEESE_sNS9_4plusIvEEsEEDaPvRmT3_T4_T5_mT6_P12ihipStream_tbENKUlT_T0_E_clISt17integral_constantIbLb0EESU_EEDaSP_SQ_EUlSP_E0_NS1_11comp_targetILNS1_3genE0ELNS1_11target_archE4294967295ELNS1_3gpuE0ELNS1_3repE0EEENS1_30default_config_static_selectorELNS0_4arch9wavefront6targetE1EEEvT1_
	.globl	_ZN7rocprim17ROCPRIM_400000_NS6detail17trampoline_kernelINS0_14default_configENS1_20scan_config_selectorIsEEZZNS1_9scan_implILNS1_25lookback_scan_determinismE0ELb1ELb1ES3_N6thrust23THRUST_200600_302600_NS6detail15normal_iteratorINS9_10device_ptrIsEEEESE_sNS9_4plusIvEEsEEDaPvRmT3_T4_T5_mT6_P12ihipStream_tbENKUlT_T0_E_clISt17integral_constantIbLb0EESU_EEDaSP_SQ_EUlSP_E0_NS1_11comp_targetILNS1_3genE0ELNS1_11target_archE4294967295ELNS1_3gpuE0ELNS1_3repE0EEENS1_30default_config_static_selectorELNS0_4arch9wavefront6targetE1EEEvT1_
	.p2align	8
	.type	_ZN7rocprim17ROCPRIM_400000_NS6detail17trampoline_kernelINS0_14default_configENS1_20scan_config_selectorIsEEZZNS1_9scan_implILNS1_25lookback_scan_determinismE0ELb1ELb1ES3_N6thrust23THRUST_200600_302600_NS6detail15normal_iteratorINS9_10device_ptrIsEEEESE_sNS9_4plusIvEEsEEDaPvRmT3_T4_T5_mT6_P12ihipStream_tbENKUlT_T0_E_clISt17integral_constantIbLb0EESU_EEDaSP_SQ_EUlSP_E0_NS1_11comp_targetILNS1_3genE0ELNS1_11target_archE4294967295ELNS1_3gpuE0ELNS1_3repE0EEENS1_30default_config_static_selectorELNS0_4arch9wavefront6targetE1EEEvT1_,@function
_ZN7rocprim17ROCPRIM_400000_NS6detail17trampoline_kernelINS0_14default_configENS1_20scan_config_selectorIsEEZZNS1_9scan_implILNS1_25lookback_scan_determinismE0ELb1ELb1ES3_N6thrust23THRUST_200600_302600_NS6detail15normal_iteratorINS9_10device_ptrIsEEEESE_sNS9_4plusIvEEsEEDaPvRmT3_T4_T5_mT6_P12ihipStream_tbENKUlT_T0_E_clISt17integral_constantIbLb0EESU_EEDaSP_SQ_EUlSP_E0_NS1_11comp_targetILNS1_3genE0ELNS1_11target_archE4294967295ELNS1_3gpuE0ELNS1_3repE0EEENS1_30default_config_static_selectorELNS0_4arch9wavefront6targetE1EEEvT1_: ; @_ZN7rocprim17ROCPRIM_400000_NS6detail17trampoline_kernelINS0_14default_configENS1_20scan_config_selectorIsEEZZNS1_9scan_implILNS1_25lookback_scan_determinismE0ELb1ELb1ES3_N6thrust23THRUST_200600_302600_NS6detail15normal_iteratorINS9_10device_ptrIsEEEESE_sNS9_4plusIvEEsEEDaPvRmT3_T4_T5_mT6_P12ihipStream_tbENKUlT_T0_E_clISt17integral_constantIbLb0EESU_EEDaSP_SQ_EUlSP_E0_NS1_11comp_targetILNS1_3genE0ELNS1_11target_archE4294967295ELNS1_3gpuE0ELNS1_3repE0EEENS1_30default_config_static_selectorELNS0_4arch9wavefront6targetE1EEEvT1_
; %bb.0:
	.section	.rodata,"a",@progbits
	.p2align	6, 0x0
	.amdhsa_kernel _ZN7rocprim17ROCPRIM_400000_NS6detail17trampoline_kernelINS0_14default_configENS1_20scan_config_selectorIsEEZZNS1_9scan_implILNS1_25lookback_scan_determinismE0ELb1ELb1ES3_N6thrust23THRUST_200600_302600_NS6detail15normal_iteratorINS9_10device_ptrIsEEEESE_sNS9_4plusIvEEsEEDaPvRmT3_T4_T5_mT6_P12ihipStream_tbENKUlT_T0_E_clISt17integral_constantIbLb0EESU_EEDaSP_SQ_EUlSP_E0_NS1_11comp_targetILNS1_3genE0ELNS1_11target_archE4294967295ELNS1_3gpuE0ELNS1_3repE0EEENS1_30default_config_static_selectorELNS0_4arch9wavefront6targetE1EEEvT1_
		.amdhsa_group_segment_fixed_size 0
		.amdhsa_private_segment_fixed_size 0
		.amdhsa_kernarg_size 32
		.amdhsa_user_sgpr_count 6
		.amdhsa_user_sgpr_private_segment_buffer 1
		.amdhsa_user_sgpr_dispatch_ptr 0
		.amdhsa_user_sgpr_queue_ptr 0
		.amdhsa_user_sgpr_kernarg_segment_ptr 1
		.amdhsa_user_sgpr_dispatch_id 0
		.amdhsa_user_sgpr_flat_scratch_init 0
		.amdhsa_user_sgpr_kernarg_preload_length 0
		.amdhsa_user_sgpr_kernarg_preload_offset 0
		.amdhsa_user_sgpr_private_segment_size 0
		.amdhsa_uses_dynamic_stack 0
		.amdhsa_system_sgpr_private_segment_wavefront_offset 0
		.amdhsa_system_sgpr_workgroup_id_x 1
		.amdhsa_system_sgpr_workgroup_id_y 0
		.amdhsa_system_sgpr_workgroup_id_z 0
		.amdhsa_system_sgpr_workgroup_info 0
		.amdhsa_system_vgpr_workitem_id 0
		.amdhsa_next_free_vgpr 1
		.amdhsa_next_free_sgpr 0
		.amdhsa_accum_offset 4
		.amdhsa_reserve_vcc 0
		.amdhsa_reserve_flat_scratch 0
		.amdhsa_float_round_mode_32 0
		.amdhsa_float_round_mode_16_64 0
		.amdhsa_float_denorm_mode_32 3
		.amdhsa_float_denorm_mode_16_64 3
		.amdhsa_dx10_clamp 1
		.amdhsa_ieee_mode 1
		.amdhsa_fp16_overflow 0
		.amdhsa_tg_split 0
		.amdhsa_exception_fp_ieee_invalid_op 0
		.amdhsa_exception_fp_denorm_src 0
		.amdhsa_exception_fp_ieee_div_zero 0
		.amdhsa_exception_fp_ieee_overflow 0
		.amdhsa_exception_fp_ieee_underflow 0
		.amdhsa_exception_fp_ieee_inexact 0
		.amdhsa_exception_int_div_zero 0
	.end_amdhsa_kernel
	.section	.text._ZN7rocprim17ROCPRIM_400000_NS6detail17trampoline_kernelINS0_14default_configENS1_20scan_config_selectorIsEEZZNS1_9scan_implILNS1_25lookback_scan_determinismE0ELb1ELb1ES3_N6thrust23THRUST_200600_302600_NS6detail15normal_iteratorINS9_10device_ptrIsEEEESE_sNS9_4plusIvEEsEEDaPvRmT3_T4_T5_mT6_P12ihipStream_tbENKUlT_T0_E_clISt17integral_constantIbLb0EESU_EEDaSP_SQ_EUlSP_E0_NS1_11comp_targetILNS1_3genE0ELNS1_11target_archE4294967295ELNS1_3gpuE0ELNS1_3repE0EEENS1_30default_config_static_selectorELNS0_4arch9wavefront6targetE1EEEvT1_,"axG",@progbits,_ZN7rocprim17ROCPRIM_400000_NS6detail17trampoline_kernelINS0_14default_configENS1_20scan_config_selectorIsEEZZNS1_9scan_implILNS1_25lookback_scan_determinismE0ELb1ELb1ES3_N6thrust23THRUST_200600_302600_NS6detail15normal_iteratorINS9_10device_ptrIsEEEESE_sNS9_4plusIvEEsEEDaPvRmT3_T4_T5_mT6_P12ihipStream_tbENKUlT_T0_E_clISt17integral_constantIbLb0EESU_EEDaSP_SQ_EUlSP_E0_NS1_11comp_targetILNS1_3genE0ELNS1_11target_archE4294967295ELNS1_3gpuE0ELNS1_3repE0EEENS1_30default_config_static_selectorELNS0_4arch9wavefront6targetE1EEEvT1_,comdat
.Lfunc_end988:
	.size	_ZN7rocprim17ROCPRIM_400000_NS6detail17trampoline_kernelINS0_14default_configENS1_20scan_config_selectorIsEEZZNS1_9scan_implILNS1_25lookback_scan_determinismE0ELb1ELb1ES3_N6thrust23THRUST_200600_302600_NS6detail15normal_iteratorINS9_10device_ptrIsEEEESE_sNS9_4plusIvEEsEEDaPvRmT3_T4_T5_mT6_P12ihipStream_tbENKUlT_T0_E_clISt17integral_constantIbLb0EESU_EEDaSP_SQ_EUlSP_E0_NS1_11comp_targetILNS1_3genE0ELNS1_11target_archE4294967295ELNS1_3gpuE0ELNS1_3repE0EEENS1_30default_config_static_selectorELNS0_4arch9wavefront6targetE1EEEvT1_, .Lfunc_end988-_ZN7rocprim17ROCPRIM_400000_NS6detail17trampoline_kernelINS0_14default_configENS1_20scan_config_selectorIsEEZZNS1_9scan_implILNS1_25lookback_scan_determinismE0ELb1ELb1ES3_N6thrust23THRUST_200600_302600_NS6detail15normal_iteratorINS9_10device_ptrIsEEEESE_sNS9_4plusIvEEsEEDaPvRmT3_T4_T5_mT6_P12ihipStream_tbENKUlT_T0_E_clISt17integral_constantIbLb0EESU_EEDaSP_SQ_EUlSP_E0_NS1_11comp_targetILNS1_3genE0ELNS1_11target_archE4294967295ELNS1_3gpuE0ELNS1_3repE0EEENS1_30default_config_static_selectorELNS0_4arch9wavefront6targetE1EEEvT1_
                                        ; -- End function
	.section	.AMDGPU.csdata,"",@progbits
; Kernel info:
; codeLenInByte = 0
; NumSgprs: 4
; NumVgprs: 0
; NumAgprs: 0
; TotalNumVgprs: 0
; ScratchSize: 0
; MemoryBound: 0
; FloatMode: 240
; IeeeMode: 1
; LDSByteSize: 0 bytes/workgroup (compile time only)
; SGPRBlocks: 0
; VGPRBlocks: 0
; NumSGPRsForWavesPerEU: 4
; NumVGPRsForWavesPerEU: 1
; AccumOffset: 4
; Occupancy: 8
; WaveLimiterHint : 0
; COMPUTE_PGM_RSRC2:SCRATCH_EN: 0
; COMPUTE_PGM_RSRC2:USER_SGPR: 6
; COMPUTE_PGM_RSRC2:TRAP_HANDLER: 0
; COMPUTE_PGM_RSRC2:TGID_X_EN: 1
; COMPUTE_PGM_RSRC2:TGID_Y_EN: 0
; COMPUTE_PGM_RSRC2:TGID_Z_EN: 0
; COMPUTE_PGM_RSRC2:TIDIG_COMP_CNT: 0
; COMPUTE_PGM_RSRC3_GFX90A:ACCUM_OFFSET: 0
; COMPUTE_PGM_RSRC3_GFX90A:TG_SPLIT: 0
	.section	.text._ZN7rocprim17ROCPRIM_400000_NS6detail17trampoline_kernelINS0_14default_configENS1_20scan_config_selectorIsEEZZNS1_9scan_implILNS1_25lookback_scan_determinismE0ELb1ELb1ES3_N6thrust23THRUST_200600_302600_NS6detail15normal_iteratorINS9_10device_ptrIsEEEESE_sNS9_4plusIvEEsEEDaPvRmT3_T4_T5_mT6_P12ihipStream_tbENKUlT_T0_E_clISt17integral_constantIbLb0EESU_EEDaSP_SQ_EUlSP_E0_NS1_11comp_targetILNS1_3genE5ELNS1_11target_archE942ELNS1_3gpuE9ELNS1_3repE0EEENS1_30default_config_static_selectorELNS0_4arch9wavefront6targetE1EEEvT1_,"axG",@progbits,_ZN7rocprim17ROCPRIM_400000_NS6detail17trampoline_kernelINS0_14default_configENS1_20scan_config_selectorIsEEZZNS1_9scan_implILNS1_25lookback_scan_determinismE0ELb1ELb1ES3_N6thrust23THRUST_200600_302600_NS6detail15normal_iteratorINS9_10device_ptrIsEEEESE_sNS9_4plusIvEEsEEDaPvRmT3_T4_T5_mT6_P12ihipStream_tbENKUlT_T0_E_clISt17integral_constantIbLb0EESU_EEDaSP_SQ_EUlSP_E0_NS1_11comp_targetILNS1_3genE5ELNS1_11target_archE942ELNS1_3gpuE9ELNS1_3repE0EEENS1_30default_config_static_selectorELNS0_4arch9wavefront6targetE1EEEvT1_,comdat
	.protected	_ZN7rocprim17ROCPRIM_400000_NS6detail17trampoline_kernelINS0_14default_configENS1_20scan_config_selectorIsEEZZNS1_9scan_implILNS1_25lookback_scan_determinismE0ELb1ELb1ES3_N6thrust23THRUST_200600_302600_NS6detail15normal_iteratorINS9_10device_ptrIsEEEESE_sNS9_4plusIvEEsEEDaPvRmT3_T4_T5_mT6_P12ihipStream_tbENKUlT_T0_E_clISt17integral_constantIbLb0EESU_EEDaSP_SQ_EUlSP_E0_NS1_11comp_targetILNS1_3genE5ELNS1_11target_archE942ELNS1_3gpuE9ELNS1_3repE0EEENS1_30default_config_static_selectorELNS0_4arch9wavefront6targetE1EEEvT1_ ; -- Begin function _ZN7rocprim17ROCPRIM_400000_NS6detail17trampoline_kernelINS0_14default_configENS1_20scan_config_selectorIsEEZZNS1_9scan_implILNS1_25lookback_scan_determinismE0ELb1ELb1ES3_N6thrust23THRUST_200600_302600_NS6detail15normal_iteratorINS9_10device_ptrIsEEEESE_sNS9_4plusIvEEsEEDaPvRmT3_T4_T5_mT6_P12ihipStream_tbENKUlT_T0_E_clISt17integral_constantIbLb0EESU_EEDaSP_SQ_EUlSP_E0_NS1_11comp_targetILNS1_3genE5ELNS1_11target_archE942ELNS1_3gpuE9ELNS1_3repE0EEENS1_30default_config_static_selectorELNS0_4arch9wavefront6targetE1EEEvT1_
	.globl	_ZN7rocprim17ROCPRIM_400000_NS6detail17trampoline_kernelINS0_14default_configENS1_20scan_config_selectorIsEEZZNS1_9scan_implILNS1_25lookback_scan_determinismE0ELb1ELb1ES3_N6thrust23THRUST_200600_302600_NS6detail15normal_iteratorINS9_10device_ptrIsEEEESE_sNS9_4plusIvEEsEEDaPvRmT3_T4_T5_mT6_P12ihipStream_tbENKUlT_T0_E_clISt17integral_constantIbLb0EESU_EEDaSP_SQ_EUlSP_E0_NS1_11comp_targetILNS1_3genE5ELNS1_11target_archE942ELNS1_3gpuE9ELNS1_3repE0EEENS1_30default_config_static_selectorELNS0_4arch9wavefront6targetE1EEEvT1_
	.p2align	8
	.type	_ZN7rocprim17ROCPRIM_400000_NS6detail17trampoline_kernelINS0_14default_configENS1_20scan_config_selectorIsEEZZNS1_9scan_implILNS1_25lookback_scan_determinismE0ELb1ELb1ES3_N6thrust23THRUST_200600_302600_NS6detail15normal_iteratorINS9_10device_ptrIsEEEESE_sNS9_4plusIvEEsEEDaPvRmT3_T4_T5_mT6_P12ihipStream_tbENKUlT_T0_E_clISt17integral_constantIbLb0EESU_EEDaSP_SQ_EUlSP_E0_NS1_11comp_targetILNS1_3genE5ELNS1_11target_archE942ELNS1_3gpuE9ELNS1_3repE0EEENS1_30default_config_static_selectorELNS0_4arch9wavefront6targetE1EEEvT1_,@function
_ZN7rocprim17ROCPRIM_400000_NS6detail17trampoline_kernelINS0_14default_configENS1_20scan_config_selectorIsEEZZNS1_9scan_implILNS1_25lookback_scan_determinismE0ELb1ELb1ES3_N6thrust23THRUST_200600_302600_NS6detail15normal_iteratorINS9_10device_ptrIsEEEESE_sNS9_4plusIvEEsEEDaPvRmT3_T4_T5_mT6_P12ihipStream_tbENKUlT_T0_E_clISt17integral_constantIbLb0EESU_EEDaSP_SQ_EUlSP_E0_NS1_11comp_targetILNS1_3genE5ELNS1_11target_archE942ELNS1_3gpuE9ELNS1_3repE0EEENS1_30default_config_static_selectorELNS0_4arch9wavefront6targetE1EEEvT1_: ; @_ZN7rocprim17ROCPRIM_400000_NS6detail17trampoline_kernelINS0_14default_configENS1_20scan_config_selectorIsEEZZNS1_9scan_implILNS1_25lookback_scan_determinismE0ELb1ELb1ES3_N6thrust23THRUST_200600_302600_NS6detail15normal_iteratorINS9_10device_ptrIsEEEESE_sNS9_4plusIvEEsEEDaPvRmT3_T4_T5_mT6_P12ihipStream_tbENKUlT_T0_E_clISt17integral_constantIbLb0EESU_EEDaSP_SQ_EUlSP_E0_NS1_11comp_targetILNS1_3genE5ELNS1_11target_archE942ELNS1_3gpuE9ELNS1_3repE0EEENS1_30default_config_static_selectorELNS0_4arch9wavefront6targetE1EEEvT1_
; %bb.0:
	.section	.rodata,"a",@progbits
	.p2align	6, 0x0
	.amdhsa_kernel _ZN7rocprim17ROCPRIM_400000_NS6detail17trampoline_kernelINS0_14default_configENS1_20scan_config_selectorIsEEZZNS1_9scan_implILNS1_25lookback_scan_determinismE0ELb1ELb1ES3_N6thrust23THRUST_200600_302600_NS6detail15normal_iteratorINS9_10device_ptrIsEEEESE_sNS9_4plusIvEEsEEDaPvRmT3_T4_T5_mT6_P12ihipStream_tbENKUlT_T0_E_clISt17integral_constantIbLb0EESU_EEDaSP_SQ_EUlSP_E0_NS1_11comp_targetILNS1_3genE5ELNS1_11target_archE942ELNS1_3gpuE9ELNS1_3repE0EEENS1_30default_config_static_selectorELNS0_4arch9wavefront6targetE1EEEvT1_
		.amdhsa_group_segment_fixed_size 0
		.amdhsa_private_segment_fixed_size 0
		.amdhsa_kernarg_size 32
		.amdhsa_user_sgpr_count 6
		.amdhsa_user_sgpr_private_segment_buffer 1
		.amdhsa_user_sgpr_dispatch_ptr 0
		.amdhsa_user_sgpr_queue_ptr 0
		.amdhsa_user_sgpr_kernarg_segment_ptr 1
		.amdhsa_user_sgpr_dispatch_id 0
		.amdhsa_user_sgpr_flat_scratch_init 0
		.amdhsa_user_sgpr_kernarg_preload_length 0
		.amdhsa_user_sgpr_kernarg_preload_offset 0
		.amdhsa_user_sgpr_private_segment_size 0
		.amdhsa_uses_dynamic_stack 0
		.amdhsa_system_sgpr_private_segment_wavefront_offset 0
		.amdhsa_system_sgpr_workgroup_id_x 1
		.amdhsa_system_sgpr_workgroup_id_y 0
		.amdhsa_system_sgpr_workgroup_id_z 0
		.amdhsa_system_sgpr_workgroup_info 0
		.amdhsa_system_vgpr_workitem_id 0
		.amdhsa_next_free_vgpr 1
		.amdhsa_next_free_sgpr 0
		.amdhsa_accum_offset 4
		.amdhsa_reserve_vcc 0
		.amdhsa_reserve_flat_scratch 0
		.amdhsa_float_round_mode_32 0
		.amdhsa_float_round_mode_16_64 0
		.amdhsa_float_denorm_mode_32 3
		.amdhsa_float_denorm_mode_16_64 3
		.amdhsa_dx10_clamp 1
		.amdhsa_ieee_mode 1
		.amdhsa_fp16_overflow 0
		.amdhsa_tg_split 0
		.amdhsa_exception_fp_ieee_invalid_op 0
		.amdhsa_exception_fp_denorm_src 0
		.amdhsa_exception_fp_ieee_div_zero 0
		.amdhsa_exception_fp_ieee_overflow 0
		.amdhsa_exception_fp_ieee_underflow 0
		.amdhsa_exception_fp_ieee_inexact 0
		.amdhsa_exception_int_div_zero 0
	.end_amdhsa_kernel
	.section	.text._ZN7rocprim17ROCPRIM_400000_NS6detail17trampoline_kernelINS0_14default_configENS1_20scan_config_selectorIsEEZZNS1_9scan_implILNS1_25lookback_scan_determinismE0ELb1ELb1ES3_N6thrust23THRUST_200600_302600_NS6detail15normal_iteratorINS9_10device_ptrIsEEEESE_sNS9_4plusIvEEsEEDaPvRmT3_T4_T5_mT6_P12ihipStream_tbENKUlT_T0_E_clISt17integral_constantIbLb0EESU_EEDaSP_SQ_EUlSP_E0_NS1_11comp_targetILNS1_3genE5ELNS1_11target_archE942ELNS1_3gpuE9ELNS1_3repE0EEENS1_30default_config_static_selectorELNS0_4arch9wavefront6targetE1EEEvT1_,"axG",@progbits,_ZN7rocprim17ROCPRIM_400000_NS6detail17trampoline_kernelINS0_14default_configENS1_20scan_config_selectorIsEEZZNS1_9scan_implILNS1_25lookback_scan_determinismE0ELb1ELb1ES3_N6thrust23THRUST_200600_302600_NS6detail15normal_iteratorINS9_10device_ptrIsEEEESE_sNS9_4plusIvEEsEEDaPvRmT3_T4_T5_mT6_P12ihipStream_tbENKUlT_T0_E_clISt17integral_constantIbLb0EESU_EEDaSP_SQ_EUlSP_E0_NS1_11comp_targetILNS1_3genE5ELNS1_11target_archE942ELNS1_3gpuE9ELNS1_3repE0EEENS1_30default_config_static_selectorELNS0_4arch9wavefront6targetE1EEEvT1_,comdat
.Lfunc_end989:
	.size	_ZN7rocprim17ROCPRIM_400000_NS6detail17trampoline_kernelINS0_14default_configENS1_20scan_config_selectorIsEEZZNS1_9scan_implILNS1_25lookback_scan_determinismE0ELb1ELb1ES3_N6thrust23THRUST_200600_302600_NS6detail15normal_iteratorINS9_10device_ptrIsEEEESE_sNS9_4plusIvEEsEEDaPvRmT3_T4_T5_mT6_P12ihipStream_tbENKUlT_T0_E_clISt17integral_constantIbLb0EESU_EEDaSP_SQ_EUlSP_E0_NS1_11comp_targetILNS1_3genE5ELNS1_11target_archE942ELNS1_3gpuE9ELNS1_3repE0EEENS1_30default_config_static_selectorELNS0_4arch9wavefront6targetE1EEEvT1_, .Lfunc_end989-_ZN7rocprim17ROCPRIM_400000_NS6detail17trampoline_kernelINS0_14default_configENS1_20scan_config_selectorIsEEZZNS1_9scan_implILNS1_25lookback_scan_determinismE0ELb1ELb1ES3_N6thrust23THRUST_200600_302600_NS6detail15normal_iteratorINS9_10device_ptrIsEEEESE_sNS9_4plusIvEEsEEDaPvRmT3_T4_T5_mT6_P12ihipStream_tbENKUlT_T0_E_clISt17integral_constantIbLb0EESU_EEDaSP_SQ_EUlSP_E0_NS1_11comp_targetILNS1_3genE5ELNS1_11target_archE942ELNS1_3gpuE9ELNS1_3repE0EEENS1_30default_config_static_selectorELNS0_4arch9wavefront6targetE1EEEvT1_
                                        ; -- End function
	.section	.AMDGPU.csdata,"",@progbits
; Kernel info:
; codeLenInByte = 0
; NumSgprs: 4
; NumVgprs: 0
; NumAgprs: 0
; TotalNumVgprs: 0
; ScratchSize: 0
; MemoryBound: 0
; FloatMode: 240
; IeeeMode: 1
; LDSByteSize: 0 bytes/workgroup (compile time only)
; SGPRBlocks: 0
; VGPRBlocks: 0
; NumSGPRsForWavesPerEU: 4
; NumVGPRsForWavesPerEU: 1
; AccumOffset: 4
; Occupancy: 8
; WaveLimiterHint : 0
; COMPUTE_PGM_RSRC2:SCRATCH_EN: 0
; COMPUTE_PGM_RSRC2:USER_SGPR: 6
; COMPUTE_PGM_RSRC2:TRAP_HANDLER: 0
; COMPUTE_PGM_RSRC2:TGID_X_EN: 1
; COMPUTE_PGM_RSRC2:TGID_Y_EN: 0
; COMPUTE_PGM_RSRC2:TGID_Z_EN: 0
; COMPUTE_PGM_RSRC2:TIDIG_COMP_CNT: 0
; COMPUTE_PGM_RSRC3_GFX90A:ACCUM_OFFSET: 0
; COMPUTE_PGM_RSRC3_GFX90A:TG_SPLIT: 0
	.section	.text._ZN7rocprim17ROCPRIM_400000_NS6detail17trampoline_kernelINS0_14default_configENS1_20scan_config_selectorIsEEZZNS1_9scan_implILNS1_25lookback_scan_determinismE0ELb1ELb1ES3_N6thrust23THRUST_200600_302600_NS6detail15normal_iteratorINS9_10device_ptrIsEEEESE_sNS9_4plusIvEEsEEDaPvRmT3_T4_T5_mT6_P12ihipStream_tbENKUlT_T0_E_clISt17integral_constantIbLb0EESU_EEDaSP_SQ_EUlSP_E0_NS1_11comp_targetILNS1_3genE4ELNS1_11target_archE910ELNS1_3gpuE8ELNS1_3repE0EEENS1_30default_config_static_selectorELNS0_4arch9wavefront6targetE1EEEvT1_,"axG",@progbits,_ZN7rocprim17ROCPRIM_400000_NS6detail17trampoline_kernelINS0_14default_configENS1_20scan_config_selectorIsEEZZNS1_9scan_implILNS1_25lookback_scan_determinismE0ELb1ELb1ES3_N6thrust23THRUST_200600_302600_NS6detail15normal_iteratorINS9_10device_ptrIsEEEESE_sNS9_4plusIvEEsEEDaPvRmT3_T4_T5_mT6_P12ihipStream_tbENKUlT_T0_E_clISt17integral_constantIbLb0EESU_EEDaSP_SQ_EUlSP_E0_NS1_11comp_targetILNS1_3genE4ELNS1_11target_archE910ELNS1_3gpuE8ELNS1_3repE0EEENS1_30default_config_static_selectorELNS0_4arch9wavefront6targetE1EEEvT1_,comdat
	.protected	_ZN7rocprim17ROCPRIM_400000_NS6detail17trampoline_kernelINS0_14default_configENS1_20scan_config_selectorIsEEZZNS1_9scan_implILNS1_25lookback_scan_determinismE0ELb1ELb1ES3_N6thrust23THRUST_200600_302600_NS6detail15normal_iteratorINS9_10device_ptrIsEEEESE_sNS9_4plusIvEEsEEDaPvRmT3_T4_T5_mT6_P12ihipStream_tbENKUlT_T0_E_clISt17integral_constantIbLb0EESU_EEDaSP_SQ_EUlSP_E0_NS1_11comp_targetILNS1_3genE4ELNS1_11target_archE910ELNS1_3gpuE8ELNS1_3repE0EEENS1_30default_config_static_selectorELNS0_4arch9wavefront6targetE1EEEvT1_ ; -- Begin function _ZN7rocprim17ROCPRIM_400000_NS6detail17trampoline_kernelINS0_14default_configENS1_20scan_config_selectorIsEEZZNS1_9scan_implILNS1_25lookback_scan_determinismE0ELb1ELb1ES3_N6thrust23THRUST_200600_302600_NS6detail15normal_iteratorINS9_10device_ptrIsEEEESE_sNS9_4plusIvEEsEEDaPvRmT3_T4_T5_mT6_P12ihipStream_tbENKUlT_T0_E_clISt17integral_constantIbLb0EESU_EEDaSP_SQ_EUlSP_E0_NS1_11comp_targetILNS1_3genE4ELNS1_11target_archE910ELNS1_3gpuE8ELNS1_3repE0EEENS1_30default_config_static_selectorELNS0_4arch9wavefront6targetE1EEEvT1_
	.globl	_ZN7rocprim17ROCPRIM_400000_NS6detail17trampoline_kernelINS0_14default_configENS1_20scan_config_selectorIsEEZZNS1_9scan_implILNS1_25lookback_scan_determinismE0ELb1ELb1ES3_N6thrust23THRUST_200600_302600_NS6detail15normal_iteratorINS9_10device_ptrIsEEEESE_sNS9_4plusIvEEsEEDaPvRmT3_T4_T5_mT6_P12ihipStream_tbENKUlT_T0_E_clISt17integral_constantIbLb0EESU_EEDaSP_SQ_EUlSP_E0_NS1_11comp_targetILNS1_3genE4ELNS1_11target_archE910ELNS1_3gpuE8ELNS1_3repE0EEENS1_30default_config_static_selectorELNS0_4arch9wavefront6targetE1EEEvT1_
	.p2align	8
	.type	_ZN7rocprim17ROCPRIM_400000_NS6detail17trampoline_kernelINS0_14default_configENS1_20scan_config_selectorIsEEZZNS1_9scan_implILNS1_25lookback_scan_determinismE0ELb1ELb1ES3_N6thrust23THRUST_200600_302600_NS6detail15normal_iteratorINS9_10device_ptrIsEEEESE_sNS9_4plusIvEEsEEDaPvRmT3_T4_T5_mT6_P12ihipStream_tbENKUlT_T0_E_clISt17integral_constantIbLb0EESU_EEDaSP_SQ_EUlSP_E0_NS1_11comp_targetILNS1_3genE4ELNS1_11target_archE910ELNS1_3gpuE8ELNS1_3repE0EEENS1_30default_config_static_selectorELNS0_4arch9wavefront6targetE1EEEvT1_,@function
_ZN7rocprim17ROCPRIM_400000_NS6detail17trampoline_kernelINS0_14default_configENS1_20scan_config_selectorIsEEZZNS1_9scan_implILNS1_25lookback_scan_determinismE0ELb1ELb1ES3_N6thrust23THRUST_200600_302600_NS6detail15normal_iteratorINS9_10device_ptrIsEEEESE_sNS9_4plusIvEEsEEDaPvRmT3_T4_T5_mT6_P12ihipStream_tbENKUlT_T0_E_clISt17integral_constantIbLb0EESU_EEDaSP_SQ_EUlSP_E0_NS1_11comp_targetILNS1_3genE4ELNS1_11target_archE910ELNS1_3gpuE8ELNS1_3repE0EEENS1_30default_config_static_selectorELNS0_4arch9wavefront6targetE1EEEvT1_: ; @_ZN7rocprim17ROCPRIM_400000_NS6detail17trampoline_kernelINS0_14default_configENS1_20scan_config_selectorIsEEZZNS1_9scan_implILNS1_25lookback_scan_determinismE0ELb1ELb1ES3_N6thrust23THRUST_200600_302600_NS6detail15normal_iteratorINS9_10device_ptrIsEEEESE_sNS9_4plusIvEEsEEDaPvRmT3_T4_T5_mT6_P12ihipStream_tbENKUlT_T0_E_clISt17integral_constantIbLb0EESU_EEDaSP_SQ_EUlSP_E0_NS1_11comp_targetILNS1_3genE4ELNS1_11target_archE910ELNS1_3gpuE8ELNS1_3repE0EEENS1_30default_config_static_selectorELNS0_4arch9wavefront6targetE1EEEvT1_
; %bb.0:
	s_load_dwordx4 s[52:55], s[4:5], 0x0
	v_mov_b32_e32 v1, 0
	v_lshlrev_b32_e32 v14, 1, v0
	s_waitcnt lgkmcnt(0)
	global_load_ushort v2, v1, s[52:53]
	v_cmp_gt_u32_e32 vcc, s54, v0
	s_waitcnt vmcnt(0)
	v_mov_b32_e32 v3, v2
	s_and_saveexec_b64 s[0:1], vcc
	s_cbranch_execz .LBB990_2
; %bb.1:
	global_load_ushort v3, v14, s[52:53]
.LBB990_2:
	s_or_b64 exec, exec, s[0:1]
	v_or_b32_e32 v1, 64, v0
	v_cmp_gt_u32_e64 s[0:1], s54, v1
	v_mov_b32_e32 v4, v2
	s_and_saveexec_b64 s[2:3], s[0:1]
	s_cbranch_execz .LBB990_4
; %bb.3:
	global_load_ushort v4, v14, s[52:53] offset:128
.LBB990_4:
	s_or_b64 exec, exec, s[2:3]
	v_or_b32_e32 v1, 0x80, v0
	v_cmp_gt_u32_e64 s[2:3], s54, v1
	v_mov_b32_e32 v5, v2
	s_and_saveexec_b64 s[6:7], s[2:3]
	s_cbranch_execz .LBB990_6
; %bb.5:
	global_load_ushort v5, v14, s[52:53] offset:256
.LBB990_6:
	s_or_b64 exec, exec, s[6:7]
	v_or_b32_e32 v1, 0xc0, v0
	v_cmp_gt_u32_e64 s[48:49], s54, v1
	v_mov_b32_e32 v6, v2
	s_and_saveexec_b64 s[6:7], s[48:49]
	s_cbranch_execz .LBB990_8
; %bb.7:
	global_load_ushort v6, v14, s[52:53] offset:384
.LBB990_8:
	s_or_b64 exec, exec, s[6:7]
	v_or_b32_e32 v1, 0x100, v0
	v_cmp_gt_u32_e64 s[6:7], s54, v1
	v_mov_b32_e32 v7, v2
	s_and_saveexec_b64 s[8:9], s[6:7]
	s_cbranch_execz .LBB990_10
; %bb.9:
	global_load_ushort v7, v14, s[52:53] offset:512
.LBB990_10:
	s_or_b64 exec, exec, s[8:9]
	v_or_b32_e32 v1, 0x140, v0
	v_cmp_gt_u32_e64 s[8:9], s54, v1
	v_mov_b32_e32 v8, v2
	s_and_saveexec_b64 s[10:11], s[8:9]
	s_cbranch_execz .LBB990_12
; %bb.11:
	global_load_ushort v8, v14, s[52:53] offset:640
.LBB990_12:
	s_or_b64 exec, exec, s[10:11]
	v_or_b32_e32 v1, 0x180, v0
	v_cmp_gt_u32_e64 s[10:11], s54, v1
	v_mov_b32_e32 v9, v2
	s_and_saveexec_b64 s[12:13], s[10:11]
	s_cbranch_execz .LBB990_14
; %bb.13:
	global_load_ushort v9, v14, s[52:53] offset:768
.LBB990_14:
	s_or_b64 exec, exec, s[12:13]
	v_or_b32_e32 v1, 0x1c0, v0
	v_cmp_gt_u32_e64 s[12:13], s54, v1
	v_mov_b32_e32 v10, v2
	s_and_saveexec_b64 s[14:15], s[12:13]
	s_cbranch_execz .LBB990_16
; %bb.15:
	global_load_ushort v10, v14, s[52:53] offset:896
.LBB990_16:
	s_or_b64 exec, exec, s[14:15]
	v_or_b32_e32 v1, 0x200, v0
	v_cmp_gt_u32_e64 s[14:15], s54, v1
	v_mov_b32_e32 v11, v2
	s_and_saveexec_b64 s[16:17], s[14:15]
	s_cbranch_execz .LBB990_18
; %bb.17:
	global_load_ushort v11, v14, s[52:53] offset:1024
.LBB990_18:
	s_or_b64 exec, exec, s[16:17]
	v_or_b32_e32 v1, 0x240, v0
	v_cmp_gt_u32_e64 s[16:17], s54, v1
	v_mov_b32_e32 v12, v2
	s_and_saveexec_b64 s[18:19], s[16:17]
	s_cbranch_execz .LBB990_20
; %bb.19:
	global_load_ushort v12, v14, s[52:53] offset:1152
.LBB990_20:
	s_or_b64 exec, exec, s[18:19]
	v_or_b32_e32 v1, 0x280, v0
	v_cmp_gt_u32_e64 s[18:19], s54, v1
	v_mov_b32_e32 v13, v2
	s_and_saveexec_b64 s[20:21], s[18:19]
	s_cbranch_execz .LBB990_22
; %bb.21:
	global_load_ushort v13, v14, s[52:53] offset:1280
.LBB990_22:
	s_or_b64 exec, exec, s[20:21]
	v_or_b32_e32 v1, 0x2c0, v0
	v_cmp_gt_u32_e64 s[20:21], s54, v1
	v_mov_b32_e32 v15, v2
	s_and_saveexec_b64 s[22:23], s[20:21]
	s_cbranch_execz .LBB990_24
; %bb.23:
	global_load_ushort v15, v14, s[52:53] offset:1408
.LBB990_24:
	s_or_b64 exec, exec, s[22:23]
	v_or_b32_e32 v1, 0x300, v0
	v_cmp_gt_u32_e64 s[22:23], s54, v1
	v_mov_b32_e32 v16, v2
	s_and_saveexec_b64 s[24:25], s[22:23]
	s_cbranch_execz .LBB990_26
; %bb.25:
	global_load_ushort v16, v14, s[52:53] offset:1536
.LBB990_26:
	s_or_b64 exec, exec, s[24:25]
	v_or_b32_e32 v1, 0x340, v0
	v_cmp_gt_u32_e64 s[24:25], s54, v1
	v_mov_b32_e32 v17, v2
	s_and_saveexec_b64 s[26:27], s[24:25]
	s_cbranch_execz .LBB990_28
; %bb.27:
	global_load_ushort v17, v14, s[52:53] offset:1664
.LBB990_28:
	s_or_b64 exec, exec, s[26:27]
	v_or_b32_e32 v1, 0x380, v0
	v_cmp_gt_u32_e64 s[26:27], s54, v1
	v_mov_b32_e32 v18, v2
	s_and_saveexec_b64 s[28:29], s[26:27]
	s_cbranch_execz .LBB990_30
; %bb.29:
	global_load_ushort v18, v14, s[52:53] offset:1792
.LBB990_30:
	s_or_b64 exec, exec, s[28:29]
	v_or_b32_e32 v1, 0x3c0, v0
	v_cmp_gt_u32_e64 s[28:29], s54, v1
	v_mov_b32_e32 v19, v2
	s_and_saveexec_b64 s[30:31], s[28:29]
	s_cbranch_execz .LBB990_32
; %bb.31:
	global_load_ushort v19, v14, s[52:53] offset:1920
.LBB990_32:
	s_or_b64 exec, exec, s[30:31]
	v_or_b32_e32 v1, 0x400, v0
	v_cmp_gt_u32_e64 s[30:31], s54, v1
	v_mov_b32_e32 v20, v2
	s_and_saveexec_b64 s[34:35], s[30:31]
	s_cbranch_execz .LBB990_34
; %bb.33:
	global_load_ushort v20, v14, s[52:53] offset:2048
.LBB990_34:
	s_or_b64 exec, exec, s[34:35]
	v_or_b32_e32 v1, 0x440, v0
	v_cmp_gt_u32_e64 s[34:35], s54, v1
	v_mov_b32_e32 v21, v2
	s_and_saveexec_b64 s[36:37], s[34:35]
	s_cbranch_execz .LBB990_36
; %bb.35:
	global_load_ushort v21, v14, s[52:53] offset:2176
.LBB990_36:
	s_or_b64 exec, exec, s[36:37]
	v_or_b32_e32 v1, 0x480, v0
	v_cmp_gt_u32_e64 s[36:37], s54, v1
	v_mov_b32_e32 v22, v2
	s_and_saveexec_b64 s[38:39], s[36:37]
	s_cbranch_execz .LBB990_38
; %bb.37:
	global_load_ushort v22, v14, s[52:53] offset:2304
.LBB990_38:
	s_or_b64 exec, exec, s[38:39]
	v_or_b32_e32 v1, 0x4c0, v0
	v_cmp_gt_u32_e64 s[38:39], s54, v1
	v_mov_b32_e32 v23, v2
	s_and_saveexec_b64 s[40:41], s[38:39]
	s_cbranch_execz .LBB990_40
; %bb.39:
	global_load_ushort v23, v14, s[52:53] offset:2432
.LBB990_40:
	s_or_b64 exec, exec, s[40:41]
	v_or_b32_e32 v1, 0x500, v0
	v_cmp_gt_u32_e64 s[40:41], s54, v1
	v_mov_b32_e32 v24, v2
	s_and_saveexec_b64 s[42:43], s[40:41]
	s_cbranch_execz .LBB990_42
; %bb.41:
	global_load_ushort v24, v14, s[52:53] offset:2560
.LBB990_42:
	s_or_b64 exec, exec, s[42:43]
	v_or_b32_e32 v1, 0x540, v0
	v_cmp_gt_u32_e64 s[42:43], s54, v1
	v_mov_b32_e32 v25, v2
	s_and_saveexec_b64 s[44:45], s[42:43]
	s_cbranch_execz .LBB990_44
; %bb.43:
	global_load_ushort v25, v14, s[52:53] offset:2688
.LBB990_44:
	s_or_b64 exec, exec, s[44:45]
	v_or_b32_e32 v1, 0x580, v0
	v_cmp_gt_u32_e64 s[44:45], s54, v1
	v_mov_b32_e32 v26, v2
	s_and_saveexec_b64 s[46:47], s[44:45]
	s_cbranch_execz .LBB990_46
; %bb.45:
	global_load_ushort v26, v14, s[52:53] offset:2816
.LBB990_46:
	s_or_b64 exec, exec, s[46:47]
	v_or_b32_e32 v1, 0x5c0, v0
	v_cmp_gt_u32_e64 s[46:47], s54, v1
	v_cmp_le_u32_e64 s[50:51], s54, v1
	s_and_saveexec_b64 s[54:55], s[50:51]
	s_xor_b64 s[50:51], exec, s[54:55]
; %bb.47:
	v_mov_b32_e32 v1, 0
; %bb.48:
	s_or_saveexec_b64 s[50:51], s[50:51]
	s_load_dword s33, s[4:5], 0x10
	s_load_dwordx2 s[54:55], s[4:5], 0x18
	s_xor_b64 exec, exec, s[50:51]
	s_cbranch_execz .LBB990_50
; %bb.49:
	global_load_ushort v2, v14, s[52:53] offset:2944
	v_mov_b32_e32 v1, 0
.LBB990_50:
	s_or_b64 exec, exec, s[50:51]
	s_waitcnt vmcnt(0)
	ds_write_b16 v14, v3
	ds_write_b16 v14, v4 offset:128
	ds_write_b16 v14, v5 offset:256
	;; [unrolled: 1-line block ×23, first 2 shown]
	v_mad_u32_u24 v2, v0, 46, v14
	s_waitcnt lgkmcnt(0)
	; wave barrier
	s_waitcnt lgkmcnt(0)
	ds_read_b128 v[10:13], v2
	ds_read_b128 v[6:9], v2 offset:16
	ds_read_b128 v[2:5], v2 offset:32
	v_mul_u32_u24_e32 v15, 46, v0
	s_waitcnt lgkmcnt(0)
	v_add_u16_sdwa v16, v10, v10 dst_sel:DWORD dst_unused:UNUSED_PAD src0_sel:WORD_1 src1_sel:DWORD
	v_add_u16_e32 v16, v16, v11
	v_add_u16_sdwa v16, v16, v11 dst_sel:DWORD dst_unused:UNUSED_PAD src0_sel:DWORD src1_sel:WORD_1
	v_add_u16_e32 v16, v16, v12
	v_add_u16_sdwa v16, v16, v12 dst_sel:DWORD dst_unused:UNUSED_PAD src0_sel:DWORD src1_sel:WORD_1
	v_add_u16_e32 v16, v16, v13
	v_add_u16_sdwa v16, v16, v13 dst_sel:DWORD dst_unused:UNUSED_PAD src0_sel:DWORD src1_sel:WORD_1
	v_add_u16_e32 v16, v16, v6
	v_add_u16_sdwa v16, v16, v6 dst_sel:DWORD dst_unused:UNUSED_PAD src0_sel:DWORD src1_sel:WORD_1
	v_add_u16_e32 v16, v16, v7
	v_add_u16_sdwa v16, v16, v7 dst_sel:DWORD dst_unused:UNUSED_PAD src0_sel:DWORD src1_sel:WORD_1
	v_add_u16_e32 v16, v16, v8
	v_add_u16_sdwa v16, v16, v8 dst_sel:DWORD dst_unused:UNUSED_PAD src0_sel:DWORD src1_sel:WORD_1
	v_add_u16_e32 v16, v16, v9
	v_add_u16_sdwa v16, v16, v9 dst_sel:DWORD dst_unused:UNUSED_PAD src0_sel:DWORD src1_sel:WORD_1
	v_add_u16_e32 v16, v16, v2
	v_add_u16_sdwa v16, v16, v2 dst_sel:DWORD dst_unused:UNUSED_PAD src0_sel:DWORD src1_sel:WORD_1
	v_add_u16_e32 v16, v16, v3
	v_add_u16_sdwa v16, v16, v3 dst_sel:DWORD dst_unused:UNUSED_PAD src0_sel:DWORD src1_sel:WORD_1
	v_add_u16_e32 v16, v16, v4
	v_add_u16_sdwa v16, v16, v4 dst_sel:DWORD dst_unused:UNUSED_PAD src0_sel:DWORD src1_sel:WORD_1
	v_add_u16_e32 v16, v16, v5
	v_add_u16_sdwa v17, v16, v5 dst_sel:DWORD dst_unused:UNUSED_PAD src0_sel:DWORD src1_sel:WORD_1
	v_mbcnt_lo_u32_b32 v16, -1, 0
	v_mbcnt_hi_u32_b32 v16, -1, v16
	v_and_b32_e32 v18, 15, v16
	v_mov_b32_dpp v19, v17 row_shr:1 row_mask:0xf bank_mask:0xf
	v_cmp_ne_u32_e64 s[4:5], 0, v18
	v_cndmask_b32_e64 v19, 0, v19, s[4:5]
	v_add_u16_e32 v17, v19, v17
	v_cmp_lt_u32_e64 s[4:5], 1, v18
	; wave barrier
	s_nop 0
	v_mov_b32_dpp v19, v17 row_shr:2 row_mask:0xf bank_mask:0xf
	v_cndmask_b32_e64 v19, 0, v19, s[4:5]
	v_add_u16_e32 v17, v17, v19
	v_cmp_lt_u32_e64 s[4:5], 3, v18
	s_nop 0
	v_mov_b32_dpp v19, v17 row_shr:4 row_mask:0xf bank_mask:0xf
	v_cndmask_b32_e64 v19, 0, v19, s[4:5]
	v_add_u16_e32 v17, v17, v19
	v_cmp_lt_u32_e64 s[4:5], 7, v18
	s_nop 0
	v_mov_b32_dpp v19, v17 row_shr:8 row_mask:0xf bank_mask:0xf
	v_cndmask_b32_e64 v18, 0, v19, s[4:5]
	v_add_u16_e32 v17, v17, v18
	v_and_b32_e32 v19, 16, v16
	v_cmp_ne_u32_e64 s[4:5], 0, v19
	v_mov_b32_dpp v18, v17 row_bcast:15 row_mask:0xf bank_mask:0xf
	v_cndmask_b32_e64 v18, 0, v18, s[4:5]
	v_add_u16_e32 v17, v17, v18
	v_cmp_lt_u32_e64 s[4:5], 31, v16
	s_nop 0
	v_mov_b32_dpp v18, v17 row_bcast:31 row_mask:0xf bank_mask:0xf
	v_cndmask_b32_e64 v18, 0, v18, s[4:5]
	v_add_u16_e32 v17, v17, v18
	v_cmp_eq_u32_e64 s[4:5], 63, v0
	s_and_saveexec_b64 s[50:51], s[4:5]
	s_cbranch_execz .LBB990_52
; %bb.51:
	v_mov_b32_e32 v18, 0
	ds_write_b16 v18, v17
.LBB990_52:
	s_or_b64 exec, exec, s[50:51]
	v_add_u32_e32 v18, -1, v16
	v_and_b32_e32 v19, 64, v16
	v_cmp_lt_i32_e64 s[4:5], v18, v19
	v_cndmask_b32_e64 v18, v18, v16, s[4:5]
	v_add_u16_e32 v17, s33, v17
	v_lshlrev_b32_e32 v18, 2, v18
	ds_bpermute_b32 v17, v18, v17
	v_cmp_eq_u32_e64 s[4:5], 0, v16
	v_cmp_eq_u32_e64 s[50:51], 0, v0
	v_mov_b32_e32 v16, s33
	s_or_b64 s[4:5], s[50:51], s[4:5]
	s_waitcnt lgkmcnt(0)
	v_cndmask_b32_e64 v16, v17, v16, s[4:5]
	v_add_u16_e32 v17, v16, v10
	v_add_u16_sdwa v10, v17, v10 dst_sel:DWORD dst_unused:UNUSED_PAD src0_sel:DWORD src1_sel:WORD_1
	v_add_u16_e32 v18, v10, v11
	v_add_u16_sdwa v11, v18, v11 dst_sel:DWORD dst_unused:UNUSED_PAD src0_sel:DWORD src1_sel:WORD_1
	;; [unrolled: 2-line block ×11, first 2 shown]
	s_mov_b32 s4, 0x5040100
	v_add_u16_e32 v31, v30, v5
	v_add_u32_e32 v15, v14, v15
	v_perm_b32 v2, v17, v16, s4
	v_perm_b32 v3, v18, v10, s4
	;; [unrolled: 1-line block ×4, first 2 shown]
	s_waitcnt lgkmcnt(0)
	; wave barrier
	s_waitcnt lgkmcnt(0)
	s_waitcnt lgkmcnt(0)
	; wave barrier
	ds_write_b128 v15, v[2:5]
	v_perm_b32 v2, v21, v13, s4
	v_perm_b32 v3, v22, v6, s4
	;; [unrolled: 1-line block ×4, first 2 shown]
	ds_write_b128 v15, v[2:5] offset:16
	v_perm_b32 v2, v25, v9, s4
	v_perm_b32 v3, v27, v26, s4
	;; [unrolled: 1-line block ×4, first 2 shown]
	ds_write_b128 v15, v[2:5] offset:32
	s_waitcnt lgkmcnt(0)
	; wave barrier
	s_waitcnt lgkmcnt(0)
	ds_read_u16 v25, v14 offset:128
	ds_read_u16 v24, v14 offset:256
	;; [unrolled: 1-line block ×23, first 2 shown]
	v_lshlrev_b64 v[0:1], 1, v[0:1]
	v_mov_b32_e32 v26, s55
	v_add_co_u32_e64 v0, s[4:5], s54, v0
	v_addc_co_u32_e64 v1, s[4:5], v26, v1, s[4:5]
	s_and_saveexec_b64 s[4:5], vcc
	s_cbranch_execnz .LBB990_77
; %bb.53:
	s_or_b64 exec, exec, s[4:5]
	s_and_saveexec_b64 s[4:5], s[0:1]
	s_cbranch_execnz .LBB990_78
.LBB990_54:
	s_or_b64 exec, exec, s[4:5]
	s_and_saveexec_b64 s[0:1], s[2:3]
	s_cbranch_execnz .LBB990_79
.LBB990_55:
	s_or_b64 exec, exec, s[0:1]
	s_and_saveexec_b64 s[0:1], s[48:49]
	s_cbranch_execnz .LBB990_80
.LBB990_56:
	s_or_b64 exec, exec, s[0:1]
	s_and_saveexec_b64 s[0:1], s[6:7]
	s_cbranch_execnz .LBB990_81
.LBB990_57:
	s_or_b64 exec, exec, s[0:1]
	s_and_saveexec_b64 s[0:1], s[8:9]
	s_cbranch_execnz .LBB990_82
.LBB990_58:
	s_or_b64 exec, exec, s[0:1]
	s_and_saveexec_b64 s[0:1], s[10:11]
	s_cbranch_execnz .LBB990_83
.LBB990_59:
	s_or_b64 exec, exec, s[0:1]
	s_and_saveexec_b64 s[0:1], s[12:13]
	s_cbranch_execnz .LBB990_84
.LBB990_60:
	s_or_b64 exec, exec, s[0:1]
	s_and_saveexec_b64 s[0:1], s[14:15]
	s_cbranch_execnz .LBB990_85
.LBB990_61:
	s_or_b64 exec, exec, s[0:1]
	s_and_saveexec_b64 s[0:1], s[16:17]
	s_cbranch_execnz .LBB990_86
.LBB990_62:
	s_or_b64 exec, exec, s[0:1]
	s_and_saveexec_b64 s[0:1], s[18:19]
	s_cbranch_execnz .LBB990_87
.LBB990_63:
	s_or_b64 exec, exec, s[0:1]
	s_and_saveexec_b64 s[0:1], s[20:21]
	s_cbranch_execnz .LBB990_88
.LBB990_64:
	s_or_b64 exec, exec, s[0:1]
	s_and_saveexec_b64 s[0:1], s[22:23]
	s_cbranch_execnz .LBB990_89
.LBB990_65:
	s_or_b64 exec, exec, s[0:1]
	s_and_saveexec_b64 s[0:1], s[24:25]
	s_cbranch_execnz .LBB990_90
.LBB990_66:
	s_or_b64 exec, exec, s[0:1]
	s_and_saveexec_b64 s[0:1], s[26:27]
	s_cbranch_execnz .LBB990_91
.LBB990_67:
	s_or_b64 exec, exec, s[0:1]
	s_and_saveexec_b64 s[0:1], s[28:29]
	s_cbranch_execnz .LBB990_92
.LBB990_68:
	s_or_b64 exec, exec, s[0:1]
	s_and_saveexec_b64 s[0:1], s[30:31]
	s_cbranch_execnz .LBB990_93
.LBB990_69:
	s_or_b64 exec, exec, s[0:1]
	s_and_saveexec_b64 s[0:1], s[34:35]
	s_cbranch_execnz .LBB990_94
.LBB990_70:
	s_or_b64 exec, exec, s[0:1]
	s_and_saveexec_b64 s[0:1], s[36:37]
	s_cbranch_execnz .LBB990_95
.LBB990_71:
	s_or_b64 exec, exec, s[0:1]
	s_and_saveexec_b64 s[0:1], s[38:39]
	s_cbranch_execnz .LBB990_96
.LBB990_72:
	s_or_b64 exec, exec, s[0:1]
	s_and_saveexec_b64 s[0:1], s[40:41]
	s_cbranch_execnz .LBB990_97
.LBB990_73:
	s_or_b64 exec, exec, s[0:1]
	s_and_saveexec_b64 s[0:1], s[42:43]
	s_cbranch_execnz .LBB990_98
.LBB990_74:
	s_or_b64 exec, exec, s[0:1]
	s_and_saveexec_b64 s[0:1], s[44:45]
	s_cbranch_execnz .LBB990_99
.LBB990_75:
	s_or_b64 exec, exec, s[0:1]
	s_and_saveexec_b64 s[0:1], s[46:47]
	s_cbranch_execnz .LBB990_100
.LBB990_76:
	s_endpgm
.LBB990_77:
	ds_read_u16 v14, v14
	s_waitcnt lgkmcnt(0)
	global_store_short v[0:1], v14, off
	s_or_b64 exec, exec, s[4:5]
	s_and_saveexec_b64 s[4:5], s[0:1]
	s_cbranch_execz .LBB990_54
.LBB990_78:
	s_waitcnt lgkmcnt(14)
	global_store_short v[0:1], v25, off offset:128
	s_or_b64 exec, exec, s[4:5]
	s_and_saveexec_b64 s[0:1], s[2:3]
	s_cbranch_execz .LBB990_55
.LBB990_79:
	s_waitcnt lgkmcnt(14)
	global_store_short v[0:1], v24, off offset:256
	s_or_b64 exec, exec, s[0:1]
	s_and_saveexec_b64 s[0:1], s[48:49]
	s_cbranch_execz .LBB990_56
.LBB990_80:
	s_waitcnt lgkmcnt(14)
	global_store_short v[0:1], v23, off offset:384
	s_or_b64 exec, exec, s[0:1]
	s_and_saveexec_b64 s[0:1], s[6:7]
	s_cbranch_execz .LBB990_57
.LBB990_81:
	s_waitcnt lgkmcnt(14)
	global_store_short v[0:1], v22, off offset:512
	s_or_b64 exec, exec, s[0:1]
	s_and_saveexec_b64 s[0:1], s[8:9]
	s_cbranch_execz .LBB990_58
.LBB990_82:
	s_waitcnt lgkmcnt(14)
	global_store_short v[0:1], v21, off offset:640
	s_or_b64 exec, exec, s[0:1]
	s_and_saveexec_b64 s[0:1], s[10:11]
	s_cbranch_execz .LBB990_59
.LBB990_83:
	s_waitcnt lgkmcnt(14)
	global_store_short v[0:1], v20, off offset:768
	s_or_b64 exec, exec, s[0:1]
	s_and_saveexec_b64 s[0:1], s[12:13]
	s_cbranch_execz .LBB990_60
.LBB990_84:
	s_waitcnt lgkmcnt(14)
	global_store_short v[0:1], v19, off offset:896
	s_or_b64 exec, exec, s[0:1]
	s_and_saveexec_b64 s[0:1], s[14:15]
	s_cbranch_execz .LBB990_61
.LBB990_85:
	s_waitcnt lgkmcnt(14)
	global_store_short v[0:1], v18, off offset:1024
	s_or_b64 exec, exec, s[0:1]
	s_and_saveexec_b64 s[0:1], s[16:17]
	s_cbranch_execz .LBB990_62
.LBB990_86:
	s_waitcnt lgkmcnt(14)
	global_store_short v[0:1], v17, off offset:1152
	s_or_b64 exec, exec, s[0:1]
	s_and_saveexec_b64 s[0:1], s[18:19]
	s_cbranch_execz .LBB990_63
.LBB990_87:
	s_waitcnt lgkmcnt(13)
	global_store_short v[0:1], v16, off offset:1280
	s_or_b64 exec, exec, s[0:1]
	s_and_saveexec_b64 s[0:1], s[20:21]
	s_cbranch_execz .LBB990_64
.LBB990_88:
	s_waitcnt lgkmcnt(12)
	global_store_short v[0:1], v15, off offset:1408
	s_or_b64 exec, exec, s[0:1]
	s_and_saveexec_b64 s[0:1], s[22:23]
	s_cbranch_execz .LBB990_65
.LBB990_89:
	s_waitcnt lgkmcnt(11)
	global_store_short v[0:1], v13, off offset:1536
	s_or_b64 exec, exec, s[0:1]
	s_and_saveexec_b64 s[0:1], s[24:25]
	s_cbranch_execz .LBB990_66
.LBB990_90:
	s_waitcnt lgkmcnt(10)
	global_store_short v[0:1], v12, off offset:1664
	s_or_b64 exec, exec, s[0:1]
	s_and_saveexec_b64 s[0:1], s[26:27]
	s_cbranch_execz .LBB990_67
.LBB990_91:
	s_waitcnt lgkmcnt(9)
	global_store_short v[0:1], v11, off offset:1792
	s_or_b64 exec, exec, s[0:1]
	s_and_saveexec_b64 s[0:1], s[28:29]
	s_cbranch_execz .LBB990_68
.LBB990_92:
	s_waitcnt lgkmcnt(8)
	global_store_short v[0:1], v10, off offset:1920
	s_or_b64 exec, exec, s[0:1]
	s_and_saveexec_b64 s[0:1], s[30:31]
	s_cbranch_execz .LBB990_69
.LBB990_93:
	s_waitcnt lgkmcnt(7)
	global_store_short v[0:1], v9, off offset:2048
	s_or_b64 exec, exec, s[0:1]
	s_and_saveexec_b64 s[0:1], s[34:35]
	s_cbranch_execz .LBB990_70
.LBB990_94:
	s_waitcnt lgkmcnt(6)
	global_store_short v[0:1], v8, off offset:2176
	s_or_b64 exec, exec, s[0:1]
	s_and_saveexec_b64 s[0:1], s[36:37]
	s_cbranch_execz .LBB990_71
.LBB990_95:
	s_waitcnt lgkmcnt(5)
	global_store_short v[0:1], v7, off offset:2304
	s_or_b64 exec, exec, s[0:1]
	s_and_saveexec_b64 s[0:1], s[38:39]
	s_cbranch_execz .LBB990_72
.LBB990_96:
	s_waitcnt lgkmcnt(4)
	global_store_short v[0:1], v6, off offset:2432
	s_or_b64 exec, exec, s[0:1]
	s_and_saveexec_b64 s[0:1], s[40:41]
	s_cbranch_execz .LBB990_73
.LBB990_97:
	s_waitcnt lgkmcnt(3)
	global_store_short v[0:1], v5, off offset:2560
	s_or_b64 exec, exec, s[0:1]
	s_and_saveexec_b64 s[0:1], s[42:43]
	s_cbranch_execz .LBB990_74
.LBB990_98:
	s_waitcnt lgkmcnt(2)
	global_store_short v[0:1], v4, off offset:2688
	s_or_b64 exec, exec, s[0:1]
	s_and_saveexec_b64 s[0:1], s[44:45]
	s_cbranch_execz .LBB990_75
.LBB990_99:
	s_waitcnt lgkmcnt(1)
	global_store_short v[0:1], v3, off offset:2816
	s_or_b64 exec, exec, s[0:1]
	s_and_saveexec_b64 s[0:1], s[46:47]
	s_cbranch_execz .LBB990_76
.LBB990_100:
	s_waitcnt lgkmcnt(0)
	global_store_short v[0:1], v2, off offset:2944
	s_endpgm
	.section	.rodata,"a",@progbits
	.p2align	6, 0x0
	.amdhsa_kernel _ZN7rocprim17ROCPRIM_400000_NS6detail17trampoline_kernelINS0_14default_configENS1_20scan_config_selectorIsEEZZNS1_9scan_implILNS1_25lookback_scan_determinismE0ELb1ELb1ES3_N6thrust23THRUST_200600_302600_NS6detail15normal_iteratorINS9_10device_ptrIsEEEESE_sNS9_4plusIvEEsEEDaPvRmT3_T4_T5_mT6_P12ihipStream_tbENKUlT_T0_E_clISt17integral_constantIbLb0EESU_EEDaSP_SQ_EUlSP_E0_NS1_11comp_targetILNS1_3genE4ELNS1_11target_archE910ELNS1_3gpuE8ELNS1_3repE0EEENS1_30default_config_static_selectorELNS0_4arch9wavefront6targetE1EEEvT1_
		.amdhsa_group_segment_fixed_size 3072
		.amdhsa_private_segment_fixed_size 0
		.amdhsa_kernarg_size 32
		.amdhsa_user_sgpr_count 6
		.amdhsa_user_sgpr_private_segment_buffer 1
		.amdhsa_user_sgpr_dispatch_ptr 0
		.amdhsa_user_sgpr_queue_ptr 0
		.amdhsa_user_sgpr_kernarg_segment_ptr 1
		.amdhsa_user_sgpr_dispatch_id 0
		.amdhsa_user_sgpr_flat_scratch_init 0
		.amdhsa_user_sgpr_kernarg_preload_length 0
		.amdhsa_user_sgpr_kernarg_preload_offset 0
		.amdhsa_user_sgpr_private_segment_size 0
		.amdhsa_uses_dynamic_stack 0
		.amdhsa_system_sgpr_private_segment_wavefront_offset 0
		.amdhsa_system_sgpr_workgroup_id_x 1
		.amdhsa_system_sgpr_workgroup_id_y 0
		.amdhsa_system_sgpr_workgroup_id_z 0
		.amdhsa_system_sgpr_workgroup_info 0
		.amdhsa_system_vgpr_workitem_id 0
		.amdhsa_next_free_vgpr 32
		.amdhsa_next_free_sgpr 56
		.amdhsa_accum_offset 32
		.amdhsa_reserve_vcc 1
		.amdhsa_reserve_flat_scratch 0
		.amdhsa_float_round_mode_32 0
		.amdhsa_float_round_mode_16_64 0
		.amdhsa_float_denorm_mode_32 3
		.amdhsa_float_denorm_mode_16_64 3
		.amdhsa_dx10_clamp 1
		.amdhsa_ieee_mode 1
		.amdhsa_fp16_overflow 0
		.amdhsa_tg_split 0
		.amdhsa_exception_fp_ieee_invalid_op 0
		.amdhsa_exception_fp_denorm_src 0
		.amdhsa_exception_fp_ieee_div_zero 0
		.amdhsa_exception_fp_ieee_overflow 0
		.amdhsa_exception_fp_ieee_underflow 0
		.amdhsa_exception_fp_ieee_inexact 0
		.amdhsa_exception_int_div_zero 0
	.end_amdhsa_kernel
	.section	.text._ZN7rocprim17ROCPRIM_400000_NS6detail17trampoline_kernelINS0_14default_configENS1_20scan_config_selectorIsEEZZNS1_9scan_implILNS1_25lookback_scan_determinismE0ELb1ELb1ES3_N6thrust23THRUST_200600_302600_NS6detail15normal_iteratorINS9_10device_ptrIsEEEESE_sNS9_4plusIvEEsEEDaPvRmT3_T4_T5_mT6_P12ihipStream_tbENKUlT_T0_E_clISt17integral_constantIbLb0EESU_EEDaSP_SQ_EUlSP_E0_NS1_11comp_targetILNS1_3genE4ELNS1_11target_archE910ELNS1_3gpuE8ELNS1_3repE0EEENS1_30default_config_static_selectorELNS0_4arch9wavefront6targetE1EEEvT1_,"axG",@progbits,_ZN7rocprim17ROCPRIM_400000_NS6detail17trampoline_kernelINS0_14default_configENS1_20scan_config_selectorIsEEZZNS1_9scan_implILNS1_25lookback_scan_determinismE0ELb1ELb1ES3_N6thrust23THRUST_200600_302600_NS6detail15normal_iteratorINS9_10device_ptrIsEEEESE_sNS9_4plusIvEEsEEDaPvRmT3_T4_T5_mT6_P12ihipStream_tbENKUlT_T0_E_clISt17integral_constantIbLb0EESU_EEDaSP_SQ_EUlSP_E0_NS1_11comp_targetILNS1_3genE4ELNS1_11target_archE910ELNS1_3gpuE8ELNS1_3repE0EEENS1_30default_config_static_selectorELNS0_4arch9wavefront6targetE1EEEvT1_,comdat
.Lfunc_end990:
	.size	_ZN7rocprim17ROCPRIM_400000_NS6detail17trampoline_kernelINS0_14default_configENS1_20scan_config_selectorIsEEZZNS1_9scan_implILNS1_25lookback_scan_determinismE0ELb1ELb1ES3_N6thrust23THRUST_200600_302600_NS6detail15normal_iteratorINS9_10device_ptrIsEEEESE_sNS9_4plusIvEEsEEDaPvRmT3_T4_T5_mT6_P12ihipStream_tbENKUlT_T0_E_clISt17integral_constantIbLb0EESU_EEDaSP_SQ_EUlSP_E0_NS1_11comp_targetILNS1_3genE4ELNS1_11target_archE910ELNS1_3gpuE8ELNS1_3repE0EEENS1_30default_config_static_selectorELNS0_4arch9wavefront6targetE1EEEvT1_, .Lfunc_end990-_ZN7rocprim17ROCPRIM_400000_NS6detail17trampoline_kernelINS0_14default_configENS1_20scan_config_selectorIsEEZZNS1_9scan_implILNS1_25lookback_scan_determinismE0ELb1ELb1ES3_N6thrust23THRUST_200600_302600_NS6detail15normal_iteratorINS9_10device_ptrIsEEEESE_sNS9_4plusIvEEsEEDaPvRmT3_T4_T5_mT6_P12ihipStream_tbENKUlT_T0_E_clISt17integral_constantIbLb0EESU_EEDaSP_SQ_EUlSP_E0_NS1_11comp_targetILNS1_3genE4ELNS1_11target_archE910ELNS1_3gpuE8ELNS1_3repE0EEENS1_30default_config_static_selectorELNS0_4arch9wavefront6targetE1EEEvT1_
                                        ; -- End function
	.section	.AMDGPU.csdata,"",@progbits
; Kernel info:
; codeLenInByte = 3080
; NumSgprs: 60
; NumVgprs: 32
; NumAgprs: 0
; TotalNumVgprs: 32
; ScratchSize: 0
; MemoryBound: 0
; FloatMode: 240
; IeeeMode: 1
; LDSByteSize: 3072 bytes/workgroup (compile time only)
; SGPRBlocks: 7
; VGPRBlocks: 3
; NumSGPRsForWavesPerEU: 60
; NumVGPRsForWavesPerEU: 32
; AccumOffset: 32
; Occupancy: 6
; WaveLimiterHint : 0
; COMPUTE_PGM_RSRC2:SCRATCH_EN: 0
; COMPUTE_PGM_RSRC2:USER_SGPR: 6
; COMPUTE_PGM_RSRC2:TRAP_HANDLER: 0
; COMPUTE_PGM_RSRC2:TGID_X_EN: 1
; COMPUTE_PGM_RSRC2:TGID_Y_EN: 0
; COMPUTE_PGM_RSRC2:TGID_Z_EN: 0
; COMPUTE_PGM_RSRC2:TIDIG_COMP_CNT: 0
; COMPUTE_PGM_RSRC3_GFX90A:ACCUM_OFFSET: 7
; COMPUTE_PGM_RSRC3_GFX90A:TG_SPLIT: 0
	.section	.text._ZN7rocprim17ROCPRIM_400000_NS6detail17trampoline_kernelINS0_14default_configENS1_20scan_config_selectorIsEEZZNS1_9scan_implILNS1_25lookback_scan_determinismE0ELb1ELb1ES3_N6thrust23THRUST_200600_302600_NS6detail15normal_iteratorINS9_10device_ptrIsEEEESE_sNS9_4plusIvEEsEEDaPvRmT3_T4_T5_mT6_P12ihipStream_tbENKUlT_T0_E_clISt17integral_constantIbLb0EESU_EEDaSP_SQ_EUlSP_E0_NS1_11comp_targetILNS1_3genE3ELNS1_11target_archE908ELNS1_3gpuE7ELNS1_3repE0EEENS1_30default_config_static_selectorELNS0_4arch9wavefront6targetE1EEEvT1_,"axG",@progbits,_ZN7rocprim17ROCPRIM_400000_NS6detail17trampoline_kernelINS0_14default_configENS1_20scan_config_selectorIsEEZZNS1_9scan_implILNS1_25lookback_scan_determinismE0ELb1ELb1ES3_N6thrust23THRUST_200600_302600_NS6detail15normal_iteratorINS9_10device_ptrIsEEEESE_sNS9_4plusIvEEsEEDaPvRmT3_T4_T5_mT6_P12ihipStream_tbENKUlT_T0_E_clISt17integral_constantIbLb0EESU_EEDaSP_SQ_EUlSP_E0_NS1_11comp_targetILNS1_3genE3ELNS1_11target_archE908ELNS1_3gpuE7ELNS1_3repE0EEENS1_30default_config_static_selectorELNS0_4arch9wavefront6targetE1EEEvT1_,comdat
	.protected	_ZN7rocprim17ROCPRIM_400000_NS6detail17trampoline_kernelINS0_14default_configENS1_20scan_config_selectorIsEEZZNS1_9scan_implILNS1_25lookback_scan_determinismE0ELb1ELb1ES3_N6thrust23THRUST_200600_302600_NS6detail15normal_iteratorINS9_10device_ptrIsEEEESE_sNS9_4plusIvEEsEEDaPvRmT3_T4_T5_mT6_P12ihipStream_tbENKUlT_T0_E_clISt17integral_constantIbLb0EESU_EEDaSP_SQ_EUlSP_E0_NS1_11comp_targetILNS1_3genE3ELNS1_11target_archE908ELNS1_3gpuE7ELNS1_3repE0EEENS1_30default_config_static_selectorELNS0_4arch9wavefront6targetE1EEEvT1_ ; -- Begin function _ZN7rocprim17ROCPRIM_400000_NS6detail17trampoline_kernelINS0_14default_configENS1_20scan_config_selectorIsEEZZNS1_9scan_implILNS1_25lookback_scan_determinismE0ELb1ELb1ES3_N6thrust23THRUST_200600_302600_NS6detail15normal_iteratorINS9_10device_ptrIsEEEESE_sNS9_4plusIvEEsEEDaPvRmT3_T4_T5_mT6_P12ihipStream_tbENKUlT_T0_E_clISt17integral_constantIbLb0EESU_EEDaSP_SQ_EUlSP_E0_NS1_11comp_targetILNS1_3genE3ELNS1_11target_archE908ELNS1_3gpuE7ELNS1_3repE0EEENS1_30default_config_static_selectorELNS0_4arch9wavefront6targetE1EEEvT1_
	.globl	_ZN7rocprim17ROCPRIM_400000_NS6detail17trampoline_kernelINS0_14default_configENS1_20scan_config_selectorIsEEZZNS1_9scan_implILNS1_25lookback_scan_determinismE0ELb1ELb1ES3_N6thrust23THRUST_200600_302600_NS6detail15normal_iteratorINS9_10device_ptrIsEEEESE_sNS9_4plusIvEEsEEDaPvRmT3_T4_T5_mT6_P12ihipStream_tbENKUlT_T0_E_clISt17integral_constantIbLb0EESU_EEDaSP_SQ_EUlSP_E0_NS1_11comp_targetILNS1_3genE3ELNS1_11target_archE908ELNS1_3gpuE7ELNS1_3repE0EEENS1_30default_config_static_selectorELNS0_4arch9wavefront6targetE1EEEvT1_
	.p2align	8
	.type	_ZN7rocprim17ROCPRIM_400000_NS6detail17trampoline_kernelINS0_14default_configENS1_20scan_config_selectorIsEEZZNS1_9scan_implILNS1_25lookback_scan_determinismE0ELb1ELb1ES3_N6thrust23THRUST_200600_302600_NS6detail15normal_iteratorINS9_10device_ptrIsEEEESE_sNS9_4plusIvEEsEEDaPvRmT3_T4_T5_mT6_P12ihipStream_tbENKUlT_T0_E_clISt17integral_constantIbLb0EESU_EEDaSP_SQ_EUlSP_E0_NS1_11comp_targetILNS1_3genE3ELNS1_11target_archE908ELNS1_3gpuE7ELNS1_3repE0EEENS1_30default_config_static_selectorELNS0_4arch9wavefront6targetE1EEEvT1_,@function
_ZN7rocprim17ROCPRIM_400000_NS6detail17trampoline_kernelINS0_14default_configENS1_20scan_config_selectorIsEEZZNS1_9scan_implILNS1_25lookback_scan_determinismE0ELb1ELb1ES3_N6thrust23THRUST_200600_302600_NS6detail15normal_iteratorINS9_10device_ptrIsEEEESE_sNS9_4plusIvEEsEEDaPvRmT3_T4_T5_mT6_P12ihipStream_tbENKUlT_T0_E_clISt17integral_constantIbLb0EESU_EEDaSP_SQ_EUlSP_E0_NS1_11comp_targetILNS1_3genE3ELNS1_11target_archE908ELNS1_3gpuE7ELNS1_3repE0EEENS1_30default_config_static_selectorELNS0_4arch9wavefront6targetE1EEEvT1_: ; @_ZN7rocprim17ROCPRIM_400000_NS6detail17trampoline_kernelINS0_14default_configENS1_20scan_config_selectorIsEEZZNS1_9scan_implILNS1_25lookback_scan_determinismE0ELb1ELb1ES3_N6thrust23THRUST_200600_302600_NS6detail15normal_iteratorINS9_10device_ptrIsEEEESE_sNS9_4plusIvEEsEEDaPvRmT3_T4_T5_mT6_P12ihipStream_tbENKUlT_T0_E_clISt17integral_constantIbLb0EESU_EEDaSP_SQ_EUlSP_E0_NS1_11comp_targetILNS1_3genE3ELNS1_11target_archE908ELNS1_3gpuE7ELNS1_3repE0EEENS1_30default_config_static_selectorELNS0_4arch9wavefront6targetE1EEEvT1_
; %bb.0:
	.section	.rodata,"a",@progbits
	.p2align	6, 0x0
	.amdhsa_kernel _ZN7rocprim17ROCPRIM_400000_NS6detail17trampoline_kernelINS0_14default_configENS1_20scan_config_selectorIsEEZZNS1_9scan_implILNS1_25lookback_scan_determinismE0ELb1ELb1ES3_N6thrust23THRUST_200600_302600_NS6detail15normal_iteratorINS9_10device_ptrIsEEEESE_sNS9_4plusIvEEsEEDaPvRmT3_T4_T5_mT6_P12ihipStream_tbENKUlT_T0_E_clISt17integral_constantIbLb0EESU_EEDaSP_SQ_EUlSP_E0_NS1_11comp_targetILNS1_3genE3ELNS1_11target_archE908ELNS1_3gpuE7ELNS1_3repE0EEENS1_30default_config_static_selectorELNS0_4arch9wavefront6targetE1EEEvT1_
		.amdhsa_group_segment_fixed_size 0
		.amdhsa_private_segment_fixed_size 0
		.amdhsa_kernarg_size 32
		.amdhsa_user_sgpr_count 6
		.amdhsa_user_sgpr_private_segment_buffer 1
		.amdhsa_user_sgpr_dispatch_ptr 0
		.amdhsa_user_sgpr_queue_ptr 0
		.amdhsa_user_sgpr_kernarg_segment_ptr 1
		.amdhsa_user_sgpr_dispatch_id 0
		.amdhsa_user_sgpr_flat_scratch_init 0
		.amdhsa_user_sgpr_kernarg_preload_length 0
		.amdhsa_user_sgpr_kernarg_preload_offset 0
		.amdhsa_user_sgpr_private_segment_size 0
		.amdhsa_uses_dynamic_stack 0
		.amdhsa_system_sgpr_private_segment_wavefront_offset 0
		.amdhsa_system_sgpr_workgroup_id_x 1
		.amdhsa_system_sgpr_workgroup_id_y 0
		.amdhsa_system_sgpr_workgroup_id_z 0
		.amdhsa_system_sgpr_workgroup_info 0
		.amdhsa_system_vgpr_workitem_id 0
		.amdhsa_next_free_vgpr 1
		.amdhsa_next_free_sgpr 0
		.amdhsa_accum_offset 4
		.amdhsa_reserve_vcc 0
		.amdhsa_reserve_flat_scratch 0
		.amdhsa_float_round_mode_32 0
		.amdhsa_float_round_mode_16_64 0
		.amdhsa_float_denorm_mode_32 3
		.amdhsa_float_denorm_mode_16_64 3
		.amdhsa_dx10_clamp 1
		.amdhsa_ieee_mode 1
		.amdhsa_fp16_overflow 0
		.amdhsa_tg_split 0
		.amdhsa_exception_fp_ieee_invalid_op 0
		.amdhsa_exception_fp_denorm_src 0
		.amdhsa_exception_fp_ieee_div_zero 0
		.amdhsa_exception_fp_ieee_overflow 0
		.amdhsa_exception_fp_ieee_underflow 0
		.amdhsa_exception_fp_ieee_inexact 0
		.amdhsa_exception_int_div_zero 0
	.end_amdhsa_kernel
	.section	.text._ZN7rocprim17ROCPRIM_400000_NS6detail17trampoline_kernelINS0_14default_configENS1_20scan_config_selectorIsEEZZNS1_9scan_implILNS1_25lookback_scan_determinismE0ELb1ELb1ES3_N6thrust23THRUST_200600_302600_NS6detail15normal_iteratorINS9_10device_ptrIsEEEESE_sNS9_4plusIvEEsEEDaPvRmT3_T4_T5_mT6_P12ihipStream_tbENKUlT_T0_E_clISt17integral_constantIbLb0EESU_EEDaSP_SQ_EUlSP_E0_NS1_11comp_targetILNS1_3genE3ELNS1_11target_archE908ELNS1_3gpuE7ELNS1_3repE0EEENS1_30default_config_static_selectorELNS0_4arch9wavefront6targetE1EEEvT1_,"axG",@progbits,_ZN7rocprim17ROCPRIM_400000_NS6detail17trampoline_kernelINS0_14default_configENS1_20scan_config_selectorIsEEZZNS1_9scan_implILNS1_25lookback_scan_determinismE0ELb1ELb1ES3_N6thrust23THRUST_200600_302600_NS6detail15normal_iteratorINS9_10device_ptrIsEEEESE_sNS9_4plusIvEEsEEDaPvRmT3_T4_T5_mT6_P12ihipStream_tbENKUlT_T0_E_clISt17integral_constantIbLb0EESU_EEDaSP_SQ_EUlSP_E0_NS1_11comp_targetILNS1_3genE3ELNS1_11target_archE908ELNS1_3gpuE7ELNS1_3repE0EEENS1_30default_config_static_selectorELNS0_4arch9wavefront6targetE1EEEvT1_,comdat
.Lfunc_end991:
	.size	_ZN7rocprim17ROCPRIM_400000_NS6detail17trampoline_kernelINS0_14default_configENS1_20scan_config_selectorIsEEZZNS1_9scan_implILNS1_25lookback_scan_determinismE0ELb1ELb1ES3_N6thrust23THRUST_200600_302600_NS6detail15normal_iteratorINS9_10device_ptrIsEEEESE_sNS9_4plusIvEEsEEDaPvRmT3_T4_T5_mT6_P12ihipStream_tbENKUlT_T0_E_clISt17integral_constantIbLb0EESU_EEDaSP_SQ_EUlSP_E0_NS1_11comp_targetILNS1_3genE3ELNS1_11target_archE908ELNS1_3gpuE7ELNS1_3repE0EEENS1_30default_config_static_selectorELNS0_4arch9wavefront6targetE1EEEvT1_, .Lfunc_end991-_ZN7rocprim17ROCPRIM_400000_NS6detail17trampoline_kernelINS0_14default_configENS1_20scan_config_selectorIsEEZZNS1_9scan_implILNS1_25lookback_scan_determinismE0ELb1ELb1ES3_N6thrust23THRUST_200600_302600_NS6detail15normal_iteratorINS9_10device_ptrIsEEEESE_sNS9_4plusIvEEsEEDaPvRmT3_T4_T5_mT6_P12ihipStream_tbENKUlT_T0_E_clISt17integral_constantIbLb0EESU_EEDaSP_SQ_EUlSP_E0_NS1_11comp_targetILNS1_3genE3ELNS1_11target_archE908ELNS1_3gpuE7ELNS1_3repE0EEENS1_30default_config_static_selectorELNS0_4arch9wavefront6targetE1EEEvT1_
                                        ; -- End function
	.section	.AMDGPU.csdata,"",@progbits
; Kernel info:
; codeLenInByte = 0
; NumSgprs: 4
; NumVgprs: 0
; NumAgprs: 0
; TotalNumVgprs: 0
; ScratchSize: 0
; MemoryBound: 0
; FloatMode: 240
; IeeeMode: 1
; LDSByteSize: 0 bytes/workgroup (compile time only)
; SGPRBlocks: 0
; VGPRBlocks: 0
; NumSGPRsForWavesPerEU: 4
; NumVGPRsForWavesPerEU: 1
; AccumOffset: 4
; Occupancy: 8
; WaveLimiterHint : 0
; COMPUTE_PGM_RSRC2:SCRATCH_EN: 0
; COMPUTE_PGM_RSRC2:USER_SGPR: 6
; COMPUTE_PGM_RSRC2:TRAP_HANDLER: 0
; COMPUTE_PGM_RSRC2:TGID_X_EN: 1
; COMPUTE_PGM_RSRC2:TGID_Y_EN: 0
; COMPUTE_PGM_RSRC2:TGID_Z_EN: 0
; COMPUTE_PGM_RSRC2:TIDIG_COMP_CNT: 0
; COMPUTE_PGM_RSRC3_GFX90A:ACCUM_OFFSET: 0
; COMPUTE_PGM_RSRC3_GFX90A:TG_SPLIT: 0
	.section	.text._ZN7rocprim17ROCPRIM_400000_NS6detail17trampoline_kernelINS0_14default_configENS1_20scan_config_selectorIsEEZZNS1_9scan_implILNS1_25lookback_scan_determinismE0ELb1ELb1ES3_N6thrust23THRUST_200600_302600_NS6detail15normal_iteratorINS9_10device_ptrIsEEEESE_sNS9_4plusIvEEsEEDaPvRmT3_T4_T5_mT6_P12ihipStream_tbENKUlT_T0_E_clISt17integral_constantIbLb0EESU_EEDaSP_SQ_EUlSP_E0_NS1_11comp_targetILNS1_3genE2ELNS1_11target_archE906ELNS1_3gpuE6ELNS1_3repE0EEENS1_30default_config_static_selectorELNS0_4arch9wavefront6targetE1EEEvT1_,"axG",@progbits,_ZN7rocprim17ROCPRIM_400000_NS6detail17trampoline_kernelINS0_14default_configENS1_20scan_config_selectorIsEEZZNS1_9scan_implILNS1_25lookback_scan_determinismE0ELb1ELb1ES3_N6thrust23THRUST_200600_302600_NS6detail15normal_iteratorINS9_10device_ptrIsEEEESE_sNS9_4plusIvEEsEEDaPvRmT3_T4_T5_mT6_P12ihipStream_tbENKUlT_T0_E_clISt17integral_constantIbLb0EESU_EEDaSP_SQ_EUlSP_E0_NS1_11comp_targetILNS1_3genE2ELNS1_11target_archE906ELNS1_3gpuE6ELNS1_3repE0EEENS1_30default_config_static_selectorELNS0_4arch9wavefront6targetE1EEEvT1_,comdat
	.protected	_ZN7rocprim17ROCPRIM_400000_NS6detail17trampoline_kernelINS0_14default_configENS1_20scan_config_selectorIsEEZZNS1_9scan_implILNS1_25lookback_scan_determinismE0ELb1ELb1ES3_N6thrust23THRUST_200600_302600_NS6detail15normal_iteratorINS9_10device_ptrIsEEEESE_sNS9_4plusIvEEsEEDaPvRmT3_T4_T5_mT6_P12ihipStream_tbENKUlT_T0_E_clISt17integral_constantIbLb0EESU_EEDaSP_SQ_EUlSP_E0_NS1_11comp_targetILNS1_3genE2ELNS1_11target_archE906ELNS1_3gpuE6ELNS1_3repE0EEENS1_30default_config_static_selectorELNS0_4arch9wavefront6targetE1EEEvT1_ ; -- Begin function _ZN7rocprim17ROCPRIM_400000_NS6detail17trampoline_kernelINS0_14default_configENS1_20scan_config_selectorIsEEZZNS1_9scan_implILNS1_25lookback_scan_determinismE0ELb1ELb1ES3_N6thrust23THRUST_200600_302600_NS6detail15normal_iteratorINS9_10device_ptrIsEEEESE_sNS9_4plusIvEEsEEDaPvRmT3_T4_T5_mT6_P12ihipStream_tbENKUlT_T0_E_clISt17integral_constantIbLb0EESU_EEDaSP_SQ_EUlSP_E0_NS1_11comp_targetILNS1_3genE2ELNS1_11target_archE906ELNS1_3gpuE6ELNS1_3repE0EEENS1_30default_config_static_selectorELNS0_4arch9wavefront6targetE1EEEvT1_
	.globl	_ZN7rocprim17ROCPRIM_400000_NS6detail17trampoline_kernelINS0_14default_configENS1_20scan_config_selectorIsEEZZNS1_9scan_implILNS1_25lookback_scan_determinismE0ELb1ELb1ES3_N6thrust23THRUST_200600_302600_NS6detail15normal_iteratorINS9_10device_ptrIsEEEESE_sNS9_4plusIvEEsEEDaPvRmT3_T4_T5_mT6_P12ihipStream_tbENKUlT_T0_E_clISt17integral_constantIbLb0EESU_EEDaSP_SQ_EUlSP_E0_NS1_11comp_targetILNS1_3genE2ELNS1_11target_archE906ELNS1_3gpuE6ELNS1_3repE0EEENS1_30default_config_static_selectorELNS0_4arch9wavefront6targetE1EEEvT1_
	.p2align	8
	.type	_ZN7rocprim17ROCPRIM_400000_NS6detail17trampoline_kernelINS0_14default_configENS1_20scan_config_selectorIsEEZZNS1_9scan_implILNS1_25lookback_scan_determinismE0ELb1ELb1ES3_N6thrust23THRUST_200600_302600_NS6detail15normal_iteratorINS9_10device_ptrIsEEEESE_sNS9_4plusIvEEsEEDaPvRmT3_T4_T5_mT6_P12ihipStream_tbENKUlT_T0_E_clISt17integral_constantIbLb0EESU_EEDaSP_SQ_EUlSP_E0_NS1_11comp_targetILNS1_3genE2ELNS1_11target_archE906ELNS1_3gpuE6ELNS1_3repE0EEENS1_30default_config_static_selectorELNS0_4arch9wavefront6targetE1EEEvT1_,@function
_ZN7rocprim17ROCPRIM_400000_NS6detail17trampoline_kernelINS0_14default_configENS1_20scan_config_selectorIsEEZZNS1_9scan_implILNS1_25lookback_scan_determinismE0ELb1ELb1ES3_N6thrust23THRUST_200600_302600_NS6detail15normal_iteratorINS9_10device_ptrIsEEEESE_sNS9_4plusIvEEsEEDaPvRmT3_T4_T5_mT6_P12ihipStream_tbENKUlT_T0_E_clISt17integral_constantIbLb0EESU_EEDaSP_SQ_EUlSP_E0_NS1_11comp_targetILNS1_3genE2ELNS1_11target_archE906ELNS1_3gpuE6ELNS1_3repE0EEENS1_30default_config_static_selectorELNS0_4arch9wavefront6targetE1EEEvT1_: ; @_ZN7rocprim17ROCPRIM_400000_NS6detail17trampoline_kernelINS0_14default_configENS1_20scan_config_selectorIsEEZZNS1_9scan_implILNS1_25lookback_scan_determinismE0ELb1ELb1ES3_N6thrust23THRUST_200600_302600_NS6detail15normal_iteratorINS9_10device_ptrIsEEEESE_sNS9_4plusIvEEsEEDaPvRmT3_T4_T5_mT6_P12ihipStream_tbENKUlT_T0_E_clISt17integral_constantIbLb0EESU_EEDaSP_SQ_EUlSP_E0_NS1_11comp_targetILNS1_3genE2ELNS1_11target_archE906ELNS1_3gpuE6ELNS1_3repE0EEENS1_30default_config_static_selectorELNS0_4arch9wavefront6targetE1EEEvT1_
; %bb.0:
	.section	.rodata,"a",@progbits
	.p2align	6, 0x0
	.amdhsa_kernel _ZN7rocprim17ROCPRIM_400000_NS6detail17trampoline_kernelINS0_14default_configENS1_20scan_config_selectorIsEEZZNS1_9scan_implILNS1_25lookback_scan_determinismE0ELb1ELb1ES3_N6thrust23THRUST_200600_302600_NS6detail15normal_iteratorINS9_10device_ptrIsEEEESE_sNS9_4plusIvEEsEEDaPvRmT3_T4_T5_mT6_P12ihipStream_tbENKUlT_T0_E_clISt17integral_constantIbLb0EESU_EEDaSP_SQ_EUlSP_E0_NS1_11comp_targetILNS1_3genE2ELNS1_11target_archE906ELNS1_3gpuE6ELNS1_3repE0EEENS1_30default_config_static_selectorELNS0_4arch9wavefront6targetE1EEEvT1_
		.amdhsa_group_segment_fixed_size 0
		.amdhsa_private_segment_fixed_size 0
		.amdhsa_kernarg_size 32
		.amdhsa_user_sgpr_count 6
		.amdhsa_user_sgpr_private_segment_buffer 1
		.amdhsa_user_sgpr_dispatch_ptr 0
		.amdhsa_user_sgpr_queue_ptr 0
		.amdhsa_user_sgpr_kernarg_segment_ptr 1
		.amdhsa_user_sgpr_dispatch_id 0
		.amdhsa_user_sgpr_flat_scratch_init 0
		.amdhsa_user_sgpr_kernarg_preload_length 0
		.amdhsa_user_sgpr_kernarg_preload_offset 0
		.amdhsa_user_sgpr_private_segment_size 0
		.amdhsa_uses_dynamic_stack 0
		.amdhsa_system_sgpr_private_segment_wavefront_offset 0
		.amdhsa_system_sgpr_workgroup_id_x 1
		.amdhsa_system_sgpr_workgroup_id_y 0
		.amdhsa_system_sgpr_workgroup_id_z 0
		.amdhsa_system_sgpr_workgroup_info 0
		.amdhsa_system_vgpr_workitem_id 0
		.amdhsa_next_free_vgpr 1
		.amdhsa_next_free_sgpr 0
		.amdhsa_accum_offset 4
		.amdhsa_reserve_vcc 0
		.amdhsa_reserve_flat_scratch 0
		.amdhsa_float_round_mode_32 0
		.amdhsa_float_round_mode_16_64 0
		.amdhsa_float_denorm_mode_32 3
		.amdhsa_float_denorm_mode_16_64 3
		.amdhsa_dx10_clamp 1
		.amdhsa_ieee_mode 1
		.amdhsa_fp16_overflow 0
		.amdhsa_tg_split 0
		.amdhsa_exception_fp_ieee_invalid_op 0
		.amdhsa_exception_fp_denorm_src 0
		.amdhsa_exception_fp_ieee_div_zero 0
		.amdhsa_exception_fp_ieee_overflow 0
		.amdhsa_exception_fp_ieee_underflow 0
		.amdhsa_exception_fp_ieee_inexact 0
		.amdhsa_exception_int_div_zero 0
	.end_amdhsa_kernel
	.section	.text._ZN7rocprim17ROCPRIM_400000_NS6detail17trampoline_kernelINS0_14default_configENS1_20scan_config_selectorIsEEZZNS1_9scan_implILNS1_25lookback_scan_determinismE0ELb1ELb1ES3_N6thrust23THRUST_200600_302600_NS6detail15normal_iteratorINS9_10device_ptrIsEEEESE_sNS9_4plusIvEEsEEDaPvRmT3_T4_T5_mT6_P12ihipStream_tbENKUlT_T0_E_clISt17integral_constantIbLb0EESU_EEDaSP_SQ_EUlSP_E0_NS1_11comp_targetILNS1_3genE2ELNS1_11target_archE906ELNS1_3gpuE6ELNS1_3repE0EEENS1_30default_config_static_selectorELNS0_4arch9wavefront6targetE1EEEvT1_,"axG",@progbits,_ZN7rocprim17ROCPRIM_400000_NS6detail17trampoline_kernelINS0_14default_configENS1_20scan_config_selectorIsEEZZNS1_9scan_implILNS1_25lookback_scan_determinismE0ELb1ELb1ES3_N6thrust23THRUST_200600_302600_NS6detail15normal_iteratorINS9_10device_ptrIsEEEESE_sNS9_4plusIvEEsEEDaPvRmT3_T4_T5_mT6_P12ihipStream_tbENKUlT_T0_E_clISt17integral_constantIbLb0EESU_EEDaSP_SQ_EUlSP_E0_NS1_11comp_targetILNS1_3genE2ELNS1_11target_archE906ELNS1_3gpuE6ELNS1_3repE0EEENS1_30default_config_static_selectorELNS0_4arch9wavefront6targetE1EEEvT1_,comdat
.Lfunc_end992:
	.size	_ZN7rocprim17ROCPRIM_400000_NS6detail17trampoline_kernelINS0_14default_configENS1_20scan_config_selectorIsEEZZNS1_9scan_implILNS1_25lookback_scan_determinismE0ELb1ELb1ES3_N6thrust23THRUST_200600_302600_NS6detail15normal_iteratorINS9_10device_ptrIsEEEESE_sNS9_4plusIvEEsEEDaPvRmT3_T4_T5_mT6_P12ihipStream_tbENKUlT_T0_E_clISt17integral_constantIbLb0EESU_EEDaSP_SQ_EUlSP_E0_NS1_11comp_targetILNS1_3genE2ELNS1_11target_archE906ELNS1_3gpuE6ELNS1_3repE0EEENS1_30default_config_static_selectorELNS0_4arch9wavefront6targetE1EEEvT1_, .Lfunc_end992-_ZN7rocprim17ROCPRIM_400000_NS6detail17trampoline_kernelINS0_14default_configENS1_20scan_config_selectorIsEEZZNS1_9scan_implILNS1_25lookback_scan_determinismE0ELb1ELb1ES3_N6thrust23THRUST_200600_302600_NS6detail15normal_iteratorINS9_10device_ptrIsEEEESE_sNS9_4plusIvEEsEEDaPvRmT3_T4_T5_mT6_P12ihipStream_tbENKUlT_T0_E_clISt17integral_constantIbLb0EESU_EEDaSP_SQ_EUlSP_E0_NS1_11comp_targetILNS1_3genE2ELNS1_11target_archE906ELNS1_3gpuE6ELNS1_3repE0EEENS1_30default_config_static_selectorELNS0_4arch9wavefront6targetE1EEEvT1_
                                        ; -- End function
	.section	.AMDGPU.csdata,"",@progbits
; Kernel info:
; codeLenInByte = 0
; NumSgprs: 4
; NumVgprs: 0
; NumAgprs: 0
; TotalNumVgprs: 0
; ScratchSize: 0
; MemoryBound: 0
; FloatMode: 240
; IeeeMode: 1
; LDSByteSize: 0 bytes/workgroup (compile time only)
; SGPRBlocks: 0
; VGPRBlocks: 0
; NumSGPRsForWavesPerEU: 4
; NumVGPRsForWavesPerEU: 1
; AccumOffset: 4
; Occupancy: 8
; WaveLimiterHint : 0
; COMPUTE_PGM_RSRC2:SCRATCH_EN: 0
; COMPUTE_PGM_RSRC2:USER_SGPR: 6
; COMPUTE_PGM_RSRC2:TRAP_HANDLER: 0
; COMPUTE_PGM_RSRC2:TGID_X_EN: 1
; COMPUTE_PGM_RSRC2:TGID_Y_EN: 0
; COMPUTE_PGM_RSRC2:TGID_Z_EN: 0
; COMPUTE_PGM_RSRC2:TIDIG_COMP_CNT: 0
; COMPUTE_PGM_RSRC3_GFX90A:ACCUM_OFFSET: 0
; COMPUTE_PGM_RSRC3_GFX90A:TG_SPLIT: 0
	.section	.text._ZN7rocprim17ROCPRIM_400000_NS6detail17trampoline_kernelINS0_14default_configENS1_20scan_config_selectorIsEEZZNS1_9scan_implILNS1_25lookback_scan_determinismE0ELb1ELb1ES3_N6thrust23THRUST_200600_302600_NS6detail15normal_iteratorINS9_10device_ptrIsEEEESE_sNS9_4plusIvEEsEEDaPvRmT3_T4_T5_mT6_P12ihipStream_tbENKUlT_T0_E_clISt17integral_constantIbLb0EESU_EEDaSP_SQ_EUlSP_E0_NS1_11comp_targetILNS1_3genE10ELNS1_11target_archE1201ELNS1_3gpuE5ELNS1_3repE0EEENS1_30default_config_static_selectorELNS0_4arch9wavefront6targetE1EEEvT1_,"axG",@progbits,_ZN7rocprim17ROCPRIM_400000_NS6detail17trampoline_kernelINS0_14default_configENS1_20scan_config_selectorIsEEZZNS1_9scan_implILNS1_25lookback_scan_determinismE0ELb1ELb1ES3_N6thrust23THRUST_200600_302600_NS6detail15normal_iteratorINS9_10device_ptrIsEEEESE_sNS9_4plusIvEEsEEDaPvRmT3_T4_T5_mT6_P12ihipStream_tbENKUlT_T0_E_clISt17integral_constantIbLb0EESU_EEDaSP_SQ_EUlSP_E0_NS1_11comp_targetILNS1_3genE10ELNS1_11target_archE1201ELNS1_3gpuE5ELNS1_3repE0EEENS1_30default_config_static_selectorELNS0_4arch9wavefront6targetE1EEEvT1_,comdat
	.protected	_ZN7rocprim17ROCPRIM_400000_NS6detail17trampoline_kernelINS0_14default_configENS1_20scan_config_selectorIsEEZZNS1_9scan_implILNS1_25lookback_scan_determinismE0ELb1ELb1ES3_N6thrust23THRUST_200600_302600_NS6detail15normal_iteratorINS9_10device_ptrIsEEEESE_sNS9_4plusIvEEsEEDaPvRmT3_T4_T5_mT6_P12ihipStream_tbENKUlT_T0_E_clISt17integral_constantIbLb0EESU_EEDaSP_SQ_EUlSP_E0_NS1_11comp_targetILNS1_3genE10ELNS1_11target_archE1201ELNS1_3gpuE5ELNS1_3repE0EEENS1_30default_config_static_selectorELNS0_4arch9wavefront6targetE1EEEvT1_ ; -- Begin function _ZN7rocprim17ROCPRIM_400000_NS6detail17trampoline_kernelINS0_14default_configENS1_20scan_config_selectorIsEEZZNS1_9scan_implILNS1_25lookback_scan_determinismE0ELb1ELb1ES3_N6thrust23THRUST_200600_302600_NS6detail15normal_iteratorINS9_10device_ptrIsEEEESE_sNS9_4plusIvEEsEEDaPvRmT3_T4_T5_mT6_P12ihipStream_tbENKUlT_T0_E_clISt17integral_constantIbLb0EESU_EEDaSP_SQ_EUlSP_E0_NS1_11comp_targetILNS1_3genE10ELNS1_11target_archE1201ELNS1_3gpuE5ELNS1_3repE0EEENS1_30default_config_static_selectorELNS0_4arch9wavefront6targetE1EEEvT1_
	.globl	_ZN7rocprim17ROCPRIM_400000_NS6detail17trampoline_kernelINS0_14default_configENS1_20scan_config_selectorIsEEZZNS1_9scan_implILNS1_25lookback_scan_determinismE0ELb1ELb1ES3_N6thrust23THRUST_200600_302600_NS6detail15normal_iteratorINS9_10device_ptrIsEEEESE_sNS9_4plusIvEEsEEDaPvRmT3_T4_T5_mT6_P12ihipStream_tbENKUlT_T0_E_clISt17integral_constantIbLb0EESU_EEDaSP_SQ_EUlSP_E0_NS1_11comp_targetILNS1_3genE10ELNS1_11target_archE1201ELNS1_3gpuE5ELNS1_3repE0EEENS1_30default_config_static_selectorELNS0_4arch9wavefront6targetE1EEEvT1_
	.p2align	8
	.type	_ZN7rocprim17ROCPRIM_400000_NS6detail17trampoline_kernelINS0_14default_configENS1_20scan_config_selectorIsEEZZNS1_9scan_implILNS1_25lookback_scan_determinismE0ELb1ELb1ES3_N6thrust23THRUST_200600_302600_NS6detail15normal_iteratorINS9_10device_ptrIsEEEESE_sNS9_4plusIvEEsEEDaPvRmT3_T4_T5_mT6_P12ihipStream_tbENKUlT_T0_E_clISt17integral_constantIbLb0EESU_EEDaSP_SQ_EUlSP_E0_NS1_11comp_targetILNS1_3genE10ELNS1_11target_archE1201ELNS1_3gpuE5ELNS1_3repE0EEENS1_30default_config_static_selectorELNS0_4arch9wavefront6targetE1EEEvT1_,@function
_ZN7rocprim17ROCPRIM_400000_NS6detail17trampoline_kernelINS0_14default_configENS1_20scan_config_selectorIsEEZZNS1_9scan_implILNS1_25lookback_scan_determinismE0ELb1ELb1ES3_N6thrust23THRUST_200600_302600_NS6detail15normal_iteratorINS9_10device_ptrIsEEEESE_sNS9_4plusIvEEsEEDaPvRmT3_T4_T5_mT6_P12ihipStream_tbENKUlT_T0_E_clISt17integral_constantIbLb0EESU_EEDaSP_SQ_EUlSP_E0_NS1_11comp_targetILNS1_3genE10ELNS1_11target_archE1201ELNS1_3gpuE5ELNS1_3repE0EEENS1_30default_config_static_selectorELNS0_4arch9wavefront6targetE1EEEvT1_: ; @_ZN7rocprim17ROCPRIM_400000_NS6detail17trampoline_kernelINS0_14default_configENS1_20scan_config_selectorIsEEZZNS1_9scan_implILNS1_25lookback_scan_determinismE0ELb1ELb1ES3_N6thrust23THRUST_200600_302600_NS6detail15normal_iteratorINS9_10device_ptrIsEEEESE_sNS9_4plusIvEEsEEDaPvRmT3_T4_T5_mT6_P12ihipStream_tbENKUlT_T0_E_clISt17integral_constantIbLb0EESU_EEDaSP_SQ_EUlSP_E0_NS1_11comp_targetILNS1_3genE10ELNS1_11target_archE1201ELNS1_3gpuE5ELNS1_3repE0EEENS1_30default_config_static_selectorELNS0_4arch9wavefront6targetE1EEEvT1_
; %bb.0:
	.section	.rodata,"a",@progbits
	.p2align	6, 0x0
	.amdhsa_kernel _ZN7rocprim17ROCPRIM_400000_NS6detail17trampoline_kernelINS0_14default_configENS1_20scan_config_selectorIsEEZZNS1_9scan_implILNS1_25lookback_scan_determinismE0ELb1ELb1ES3_N6thrust23THRUST_200600_302600_NS6detail15normal_iteratorINS9_10device_ptrIsEEEESE_sNS9_4plusIvEEsEEDaPvRmT3_T4_T5_mT6_P12ihipStream_tbENKUlT_T0_E_clISt17integral_constantIbLb0EESU_EEDaSP_SQ_EUlSP_E0_NS1_11comp_targetILNS1_3genE10ELNS1_11target_archE1201ELNS1_3gpuE5ELNS1_3repE0EEENS1_30default_config_static_selectorELNS0_4arch9wavefront6targetE1EEEvT1_
		.amdhsa_group_segment_fixed_size 0
		.amdhsa_private_segment_fixed_size 0
		.amdhsa_kernarg_size 32
		.amdhsa_user_sgpr_count 6
		.amdhsa_user_sgpr_private_segment_buffer 1
		.amdhsa_user_sgpr_dispatch_ptr 0
		.amdhsa_user_sgpr_queue_ptr 0
		.amdhsa_user_sgpr_kernarg_segment_ptr 1
		.amdhsa_user_sgpr_dispatch_id 0
		.amdhsa_user_sgpr_flat_scratch_init 0
		.amdhsa_user_sgpr_kernarg_preload_length 0
		.amdhsa_user_sgpr_kernarg_preload_offset 0
		.amdhsa_user_sgpr_private_segment_size 0
		.amdhsa_uses_dynamic_stack 0
		.amdhsa_system_sgpr_private_segment_wavefront_offset 0
		.amdhsa_system_sgpr_workgroup_id_x 1
		.amdhsa_system_sgpr_workgroup_id_y 0
		.amdhsa_system_sgpr_workgroup_id_z 0
		.amdhsa_system_sgpr_workgroup_info 0
		.amdhsa_system_vgpr_workitem_id 0
		.amdhsa_next_free_vgpr 1
		.amdhsa_next_free_sgpr 0
		.amdhsa_accum_offset 4
		.amdhsa_reserve_vcc 0
		.amdhsa_reserve_flat_scratch 0
		.amdhsa_float_round_mode_32 0
		.amdhsa_float_round_mode_16_64 0
		.amdhsa_float_denorm_mode_32 3
		.amdhsa_float_denorm_mode_16_64 3
		.amdhsa_dx10_clamp 1
		.amdhsa_ieee_mode 1
		.amdhsa_fp16_overflow 0
		.amdhsa_tg_split 0
		.amdhsa_exception_fp_ieee_invalid_op 0
		.amdhsa_exception_fp_denorm_src 0
		.amdhsa_exception_fp_ieee_div_zero 0
		.amdhsa_exception_fp_ieee_overflow 0
		.amdhsa_exception_fp_ieee_underflow 0
		.amdhsa_exception_fp_ieee_inexact 0
		.amdhsa_exception_int_div_zero 0
	.end_amdhsa_kernel
	.section	.text._ZN7rocprim17ROCPRIM_400000_NS6detail17trampoline_kernelINS0_14default_configENS1_20scan_config_selectorIsEEZZNS1_9scan_implILNS1_25lookback_scan_determinismE0ELb1ELb1ES3_N6thrust23THRUST_200600_302600_NS6detail15normal_iteratorINS9_10device_ptrIsEEEESE_sNS9_4plusIvEEsEEDaPvRmT3_T4_T5_mT6_P12ihipStream_tbENKUlT_T0_E_clISt17integral_constantIbLb0EESU_EEDaSP_SQ_EUlSP_E0_NS1_11comp_targetILNS1_3genE10ELNS1_11target_archE1201ELNS1_3gpuE5ELNS1_3repE0EEENS1_30default_config_static_selectorELNS0_4arch9wavefront6targetE1EEEvT1_,"axG",@progbits,_ZN7rocprim17ROCPRIM_400000_NS6detail17trampoline_kernelINS0_14default_configENS1_20scan_config_selectorIsEEZZNS1_9scan_implILNS1_25lookback_scan_determinismE0ELb1ELb1ES3_N6thrust23THRUST_200600_302600_NS6detail15normal_iteratorINS9_10device_ptrIsEEEESE_sNS9_4plusIvEEsEEDaPvRmT3_T4_T5_mT6_P12ihipStream_tbENKUlT_T0_E_clISt17integral_constantIbLb0EESU_EEDaSP_SQ_EUlSP_E0_NS1_11comp_targetILNS1_3genE10ELNS1_11target_archE1201ELNS1_3gpuE5ELNS1_3repE0EEENS1_30default_config_static_selectorELNS0_4arch9wavefront6targetE1EEEvT1_,comdat
.Lfunc_end993:
	.size	_ZN7rocprim17ROCPRIM_400000_NS6detail17trampoline_kernelINS0_14default_configENS1_20scan_config_selectorIsEEZZNS1_9scan_implILNS1_25lookback_scan_determinismE0ELb1ELb1ES3_N6thrust23THRUST_200600_302600_NS6detail15normal_iteratorINS9_10device_ptrIsEEEESE_sNS9_4plusIvEEsEEDaPvRmT3_T4_T5_mT6_P12ihipStream_tbENKUlT_T0_E_clISt17integral_constantIbLb0EESU_EEDaSP_SQ_EUlSP_E0_NS1_11comp_targetILNS1_3genE10ELNS1_11target_archE1201ELNS1_3gpuE5ELNS1_3repE0EEENS1_30default_config_static_selectorELNS0_4arch9wavefront6targetE1EEEvT1_, .Lfunc_end993-_ZN7rocprim17ROCPRIM_400000_NS6detail17trampoline_kernelINS0_14default_configENS1_20scan_config_selectorIsEEZZNS1_9scan_implILNS1_25lookback_scan_determinismE0ELb1ELb1ES3_N6thrust23THRUST_200600_302600_NS6detail15normal_iteratorINS9_10device_ptrIsEEEESE_sNS9_4plusIvEEsEEDaPvRmT3_T4_T5_mT6_P12ihipStream_tbENKUlT_T0_E_clISt17integral_constantIbLb0EESU_EEDaSP_SQ_EUlSP_E0_NS1_11comp_targetILNS1_3genE10ELNS1_11target_archE1201ELNS1_3gpuE5ELNS1_3repE0EEENS1_30default_config_static_selectorELNS0_4arch9wavefront6targetE1EEEvT1_
                                        ; -- End function
	.section	.AMDGPU.csdata,"",@progbits
; Kernel info:
; codeLenInByte = 0
; NumSgprs: 4
; NumVgprs: 0
; NumAgprs: 0
; TotalNumVgprs: 0
; ScratchSize: 0
; MemoryBound: 0
; FloatMode: 240
; IeeeMode: 1
; LDSByteSize: 0 bytes/workgroup (compile time only)
; SGPRBlocks: 0
; VGPRBlocks: 0
; NumSGPRsForWavesPerEU: 4
; NumVGPRsForWavesPerEU: 1
; AccumOffset: 4
; Occupancy: 8
; WaveLimiterHint : 0
; COMPUTE_PGM_RSRC2:SCRATCH_EN: 0
; COMPUTE_PGM_RSRC2:USER_SGPR: 6
; COMPUTE_PGM_RSRC2:TRAP_HANDLER: 0
; COMPUTE_PGM_RSRC2:TGID_X_EN: 1
; COMPUTE_PGM_RSRC2:TGID_Y_EN: 0
; COMPUTE_PGM_RSRC2:TGID_Z_EN: 0
; COMPUTE_PGM_RSRC2:TIDIG_COMP_CNT: 0
; COMPUTE_PGM_RSRC3_GFX90A:ACCUM_OFFSET: 0
; COMPUTE_PGM_RSRC3_GFX90A:TG_SPLIT: 0
	.section	.text._ZN7rocprim17ROCPRIM_400000_NS6detail17trampoline_kernelINS0_14default_configENS1_20scan_config_selectorIsEEZZNS1_9scan_implILNS1_25lookback_scan_determinismE0ELb1ELb1ES3_N6thrust23THRUST_200600_302600_NS6detail15normal_iteratorINS9_10device_ptrIsEEEESE_sNS9_4plusIvEEsEEDaPvRmT3_T4_T5_mT6_P12ihipStream_tbENKUlT_T0_E_clISt17integral_constantIbLb0EESU_EEDaSP_SQ_EUlSP_E0_NS1_11comp_targetILNS1_3genE10ELNS1_11target_archE1200ELNS1_3gpuE4ELNS1_3repE0EEENS1_30default_config_static_selectorELNS0_4arch9wavefront6targetE1EEEvT1_,"axG",@progbits,_ZN7rocprim17ROCPRIM_400000_NS6detail17trampoline_kernelINS0_14default_configENS1_20scan_config_selectorIsEEZZNS1_9scan_implILNS1_25lookback_scan_determinismE0ELb1ELb1ES3_N6thrust23THRUST_200600_302600_NS6detail15normal_iteratorINS9_10device_ptrIsEEEESE_sNS9_4plusIvEEsEEDaPvRmT3_T4_T5_mT6_P12ihipStream_tbENKUlT_T0_E_clISt17integral_constantIbLb0EESU_EEDaSP_SQ_EUlSP_E0_NS1_11comp_targetILNS1_3genE10ELNS1_11target_archE1200ELNS1_3gpuE4ELNS1_3repE0EEENS1_30default_config_static_selectorELNS0_4arch9wavefront6targetE1EEEvT1_,comdat
	.protected	_ZN7rocprim17ROCPRIM_400000_NS6detail17trampoline_kernelINS0_14default_configENS1_20scan_config_selectorIsEEZZNS1_9scan_implILNS1_25lookback_scan_determinismE0ELb1ELb1ES3_N6thrust23THRUST_200600_302600_NS6detail15normal_iteratorINS9_10device_ptrIsEEEESE_sNS9_4plusIvEEsEEDaPvRmT3_T4_T5_mT6_P12ihipStream_tbENKUlT_T0_E_clISt17integral_constantIbLb0EESU_EEDaSP_SQ_EUlSP_E0_NS1_11comp_targetILNS1_3genE10ELNS1_11target_archE1200ELNS1_3gpuE4ELNS1_3repE0EEENS1_30default_config_static_selectorELNS0_4arch9wavefront6targetE1EEEvT1_ ; -- Begin function _ZN7rocprim17ROCPRIM_400000_NS6detail17trampoline_kernelINS0_14default_configENS1_20scan_config_selectorIsEEZZNS1_9scan_implILNS1_25lookback_scan_determinismE0ELb1ELb1ES3_N6thrust23THRUST_200600_302600_NS6detail15normal_iteratorINS9_10device_ptrIsEEEESE_sNS9_4plusIvEEsEEDaPvRmT3_T4_T5_mT6_P12ihipStream_tbENKUlT_T0_E_clISt17integral_constantIbLb0EESU_EEDaSP_SQ_EUlSP_E0_NS1_11comp_targetILNS1_3genE10ELNS1_11target_archE1200ELNS1_3gpuE4ELNS1_3repE0EEENS1_30default_config_static_selectorELNS0_4arch9wavefront6targetE1EEEvT1_
	.globl	_ZN7rocprim17ROCPRIM_400000_NS6detail17trampoline_kernelINS0_14default_configENS1_20scan_config_selectorIsEEZZNS1_9scan_implILNS1_25lookback_scan_determinismE0ELb1ELb1ES3_N6thrust23THRUST_200600_302600_NS6detail15normal_iteratorINS9_10device_ptrIsEEEESE_sNS9_4plusIvEEsEEDaPvRmT3_T4_T5_mT6_P12ihipStream_tbENKUlT_T0_E_clISt17integral_constantIbLb0EESU_EEDaSP_SQ_EUlSP_E0_NS1_11comp_targetILNS1_3genE10ELNS1_11target_archE1200ELNS1_3gpuE4ELNS1_3repE0EEENS1_30default_config_static_selectorELNS0_4arch9wavefront6targetE1EEEvT1_
	.p2align	8
	.type	_ZN7rocprim17ROCPRIM_400000_NS6detail17trampoline_kernelINS0_14default_configENS1_20scan_config_selectorIsEEZZNS1_9scan_implILNS1_25lookback_scan_determinismE0ELb1ELb1ES3_N6thrust23THRUST_200600_302600_NS6detail15normal_iteratorINS9_10device_ptrIsEEEESE_sNS9_4plusIvEEsEEDaPvRmT3_T4_T5_mT6_P12ihipStream_tbENKUlT_T0_E_clISt17integral_constantIbLb0EESU_EEDaSP_SQ_EUlSP_E0_NS1_11comp_targetILNS1_3genE10ELNS1_11target_archE1200ELNS1_3gpuE4ELNS1_3repE0EEENS1_30default_config_static_selectorELNS0_4arch9wavefront6targetE1EEEvT1_,@function
_ZN7rocprim17ROCPRIM_400000_NS6detail17trampoline_kernelINS0_14default_configENS1_20scan_config_selectorIsEEZZNS1_9scan_implILNS1_25lookback_scan_determinismE0ELb1ELb1ES3_N6thrust23THRUST_200600_302600_NS6detail15normal_iteratorINS9_10device_ptrIsEEEESE_sNS9_4plusIvEEsEEDaPvRmT3_T4_T5_mT6_P12ihipStream_tbENKUlT_T0_E_clISt17integral_constantIbLb0EESU_EEDaSP_SQ_EUlSP_E0_NS1_11comp_targetILNS1_3genE10ELNS1_11target_archE1200ELNS1_3gpuE4ELNS1_3repE0EEENS1_30default_config_static_selectorELNS0_4arch9wavefront6targetE1EEEvT1_: ; @_ZN7rocprim17ROCPRIM_400000_NS6detail17trampoline_kernelINS0_14default_configENS1_20scan_config_selectorIsEEZZNS1_9scan_implILNS1_25lookback_scan_determinismE0ELb1ELb1ES3_N6thrust23THRUST_200600_302600_NS6detail15normal_iteratorINS9_10device_ptrIsEEEESE_sNS9_4plusIvEEsEEDaPvRmT3_T4_T5_mT6_P12ihipStream_tbENKUlT_T0_E_clISt17integral_constantIbLb0EESU_EEDaSP_SQ_EUlSP_E0_NS1_11comp_targetILNS1_3genE10ELNS1_11target_archE1200ELNS1_3gpuE4ELNS1_3repE0EEENS1_30default_config_static_selectorELNS0_4arch9wavefront6targetE1EEEvT1_
; %bb.0:
	.section	.rodata,"a",@progbits
	.p2align	6, 0x0
	.amdhsa_kernel _ZN7rocprim17ROCPRIM_400000_NS6detail17trampoline_kernelINS0_14default_configENS1_20scan_config_selectorIsEEZZNS1_9scan_implILNS1_25lookback_scan_determinismE0ELb1ELb1ES3_N6thrust23THRUST_200600_302600_NS6detail15normal_iteratorINS9_10device_ptrIsEEEESE_sNS9_4plusIvEEsEEDaPvRmT3_T4_T5_mT6_P12ihipStream_tbENKUlT_T0_E_clISt17integral_constantIbLb0EESU_EEDaSP_SQ_EUlSP_E0_NS1_11comp_targetILNS1_3genE10ELNS1_11target_archE1200ELNS1_3gpuE4ELNS1_3repE0EEENS1_30default_config_static_selectorELNS0_4arch9wavefront6targetE1EEEvT1_
		.amdhsa_group_segment_fixed_size 0
		.amdhsa_private_segment_fixed_size 0
		.amdhsa_kernarg_size 32
		.amdhsa_user_sgpr_count 6
		.amdhsa_user_sgpr_private_segment_buffer 1
		.amdhsa_user_sgpr_dispatch_ptr 0
		.amdhsa_user_sgpr_queue_ptr 0
		.amdhsa_user_sgpr_kernarg_segment_ptr 1
		.amdhsa_user_sgpr_dispatch_id 0
		.amdhsa_user_sgpr_flat_scratch_init 0
		.amdhsa_user_sgpr_kernarg_preload_length 0
		.amdhsa_user_sgpr_kernarg_preload_offset 0
		.amdhsa_user_sgpr_private_segment_size 0
		.amdhsa_uses_dynamic_stack 0
		.amdhsa_system_sgpr_private_segment_wavefront_offset 0
		.amdhsa_system_sgpr_workgroup_id_x 1
		.amdhsa_system_sgpr_workgroup_id_y 0
		.amdhsa_system_sgpr_workgroup_id_z 0
		.amdhsa_system_sgpr_workgroup_info 0
		.amdhsa_system_vgpr_workitem_id 0
		.amdhsa_next_free_vgpr 1
		.amdhsa_next_free_sgpr 0
		.amdhsa_accum_offset 4
		.amdhsa_reserve_vcc 0
		.amdhsa_reserve_flat_scratch 0
		.amdhsa_float_round_mode_32 0
		.amdhsa_float_round_mode_16_64 0
		.amdhsa_float_denorm_mode_32 3
		.amdhsa_float_denorm_mode_16_64 3
		.amdhsa_dx10_clamp 1
		.amdhsa_ieee_mode 1
		.amdhsa_fp16_overflow 0
		.amdhsa_tg_split 0
		.amdhsa_exception_fp_ieee_invalid_op 0
		.amdhsa_exception_fp_denorm_src 0
		.amdhsa_exception_fp_ieee_div_zero 0
		.amdhsa_exception_fp_ieee_overflow 0
		.amdhsa_exception_fp_ieee_underflow 0
		.amdhsa_exception_fp_ieee_inexact 0
		.amdhsa_exception_int_div_zero 0
	.end_amdhsa_kernel
	.section	.text._ZN7rocprim17ROCPRIM_400000_NS6detail17trampoline_kernelINS0_14default_configENS1_20scan_config_selectorIsEEZZNS1_9scan_implILNS1_25lookback_scan_determinismE0ELb1ELb1ES3_N6thrust23THRUST_200600_302600_NS6detail15normal_iteratorINS9_10device_ptrIsEEEESE_sNS9_4plusIvEEsEEDaPvRmT3_T4_T5_mT6_P12ihipStream_tbENKUlT_T0_E_clISt17integral_constantIbLb0EESU_EEDaSP_SQ_EUlSP_E0_NS1_11comp_targetILNS1_3genE10ELNS1_11target_archE1200ELNS1_3gpuE4ELNS1_3repE0EEENS1_30default_config_static_selectorELNS0_4arch9wavefront6targetE1EEEvT1_,"axG",@progbits,_ZN7rocprim17ROCPRIM_400000_NS6detail17trampoline_kernelINS0_14default_configENS1_20scan_config_selectorIsEEZZNS1_9scan_implILNS1_25lookback_scan_determinismE0ELb1ELb1ES3_N6thrust23THRUST_200600_302600_NS6detail15normal_iteratorINS9_10device_ptrIsEEEESE_sNS9_4plusIvEEsEEDaPvRmT3_T4_T5_mT6_P12ihipStream_tbENKUlT_T0_E_clISt17integral_constantIbLb0EESU_EEDaSP_SQ_EUlSP_E0_NS1_11comp_targetILNS1_3genE10ELNS1_11target_archE1200ELNS1_3gpuE4ELNS1_3repE0EEENS1_30default_config_static_selectorELNS0_4arch9wavefront6targetE1EEEvT1_,comdat
.Lfunc_end994:
	.size	_ZN7rocprim17ROCPRIM_400000_NS6detail17trampoline_kernelINS0_14default_configENS1_20scan_config_selectorIsEEZZNS1_9scan_implILNS1_25lookback_scan_determinismE0ELb1ELb1ES3_N6thrust23THRUST_200600_302600_NS6detail15normal_iteratorINS9_10device_ptrIsEEEESE_sNS9_4plusIvEEsEEDaPvRmT3_T4_T5_mT6_P12ihipStream_tbENKUlT_T0_E_clISt17integral_constantIbLb0EESU_EEDaSP_SQ_EUlSP_E0_NS1_11comp_targetILNS1_3genE10ELNS1_11target_archE1200ELNS1_3gpuE4ELNS1_3repE0EEENS1_30default_config_static_selectorELNS0_4arch9wavefront6targetE1EEEvT1_, .Lfunc_end994-_ZN7rocprim17ROCPRIM_400000_NS6detail17trampoline_kernelINS0_14default_configENS1_20scan_config_selectorIsEEZZNS1_9scan_implILNS1_25lookback_scan_determinismE0ELb1ELb1ES3_N6thrust23THRUST_200600_302600_NS6detail15normal_iteratorINS9_10device_ptrIsEEEESE_sNS9_4plusIvEEsEEDaPvRmT3_T4_T5_mT6_P12ihipStream_tbENKUlT_T0_E_clISt17integral_constantIbLb0EESU_EEDaSP_SQ_EUlSP_E0_NS1_11comp_targetILNS1_3genE10ELNS1_11target_archE1200ELNS1_3gpuE4ELNS1_3repE0EEENS1_30default_config_static_selectorELNS0_4arch9wavefront6targetE1EEEvT1_
                                        ; -- End function
	.section	.AMDGPU.csdata,"",@progbits
; Kernel info:
; codeLenInByte = 0
; NumSgprs: 4
; NumVgprs: 0
; NumAgprs: 0
; TotalNumVgprs: 0
; ScratchSize: 0
; MemoryBound: 0
; FloatMode: 240
; IeeeMode: 1
; LDSByteSize: 0 bytes/workgroup (compile time only)
; SGPRBlocks: 0
; VGPRBlocks: 0
; NumSGPRsForWavesPerEU: 4
; NumVGPRsForWavesPerEU: 1
; AccumOffset: 4
; Occupancy: 8
; WaveLimiterHint : 0
; COMPUTE_PGM_RSRC2:SCRATCH_EN: 0
; COMPUTE_PGM_RSRC2:USER_SGPR: 6
; COMPUTE_PGM_RSRC2:TRAP_HANDLER: 0
; COMPUTE_PGM_RSRC2:TGID_X_EN: 1
; COMPUTE_PGM_RSRC2:TGID_Y_EN: 0
; COMPUTE_PGM_RSRC2:TGID_Z_EN: 0
; COMPUTE_PGM_RSRC2:TIDIG_COMP_CNT: 0
; COMPUTE_PGM_RSRC3_GFX90A:ACCUM_OFFSET: 0
; COMPUTE_PGM_RSRC3_GFX90A:TG_SPLIT: 0
	.section	.text._ZN7rocprim17ROCPRIM_400000_NS6detail17trampoline_kernelINS0_14default_configENS1_20scan_config_selectorIsEEZZNS1_9scan_implILNS1_25lookback_scan_determinismE0ELb1ELb1ES3_N6thrust23THRUST_200600_302600_NS6detail15normal_iteratorINS9_10device_ptrIsEEEESE_sNS9_4plusIvEEsEEDaPvRmT3_T4_T5_mT6_P12ihipStream_tbENKUlT_T0_E_clISt17integral_constantIbLb0EESU_EEDaSP_SQ_EUlSP_E0_NS1_11comp_targetILNS1_3genE9ELNS1_11target_archE1100ELNS1_3gpuE3ELNS1_3repE0EEENS1_30default_config_static_selectorELNS0_4arch9wavefront6targetE1EEEvT1_,"axG",@progbits,_ZN7rocprim17ROCPRIM_400000_NS6detail17trampoline_kernelINS0_14default_configENS1_20scan_config_selectorIsEEZZNS1_9scan_implILNS1_25lookback_scan_determinismE0ELb1ELb1ES3_N6thrust23THRUST_200600_302600_NS6detail15normal_iteratorINS9_10device_ptrIsEEEESE_sNS9_4plusIvEEsEEDaPvRmT3_T4_T5_mT6_P12ihipStream_tbENKUlT_T0_E_clISt17integral_constantIbLb0EESU_EEDaSP_SQ_EUlSP_E0_NS1_11comp_targetILNS1_3genE9ELNS1_11target_archE1100ELNS1_3gpuE3ELNS1_3repE0EEENS1_30default_config_static_selectorELNS0_4arch9wavefront6targetE1EEEvT1_,comdat
	.protected	_ZN7rocprim17ROCPRIM_400000_NS6detail17trampoline_kernelINS0_14default_configENS1_20scan_config_selectorIsEEZZNS1_9scan_implILNS1_25lookback_scan_determinismE0ELb1ELb1ES3_N6thrust23THRUST_200600_302600_NS6detail15normal_iteratorINS9_10device_ptrIsEEEESE_sNS9_4plusIvEEsEEDaPvRmT3_T4_T5_mT6_P12ihipStream_tbENKUlT_T0_E_clISt17integral_constantIbLb0EESU_EEDaSP_SQ_EUlSP_E0_NS1_11comp_targetILNS1_3genE9ELNS1_11target_archE1100ELNS1_3gpuE3ELNS1_3repE0EEENS1_30default_config_static_selectorELNS0_4arch9wavefront6targetE1EEEvT1_ ; -- Begin function _ZN7rocprim17ROCPRIM_400000_NS6detail17trampoline_kernelINS0_14default_configENS1_20scan_config_selectorIsEEZZNS1_9scan_implILNS1_25lookback_scan_determinismE0ELb1ELb1ES3_N6thrust23THRUST_200600_302600_NS6detail15normal_iteratorINS9_10device_ptrIsEEEESE_sNS9_4plusIvEEsEEDaPvRmT3_T4_T5_mT6_P12ihipStream_tbENKUlT_T0_E_clISt17integral_constantIbLb0EESU_EEDaSP_SQ_EUlSP_E0_NS1_11comp_targetILNS1_3genE9ELNS1_11target_archE1100ELNS1_3gpuE3ELNS1_3repE0EEENS1_30default_config_static_selectorELNS0_4arch9wavefront6targetE1EEEvT1_
	.globl	_ZN7rocprim17ROCPRIM_400000_NS6detail17trampoline_kernelINS0_14default_configENS1_20scan_config_selectorIsEEZZNS1_9scan_implILNS1_25lookback_scan_determinismE0ELb1ELb1ES3_N6thrust23THRUST_200600_302600_NS6detail15normal_iteratorINS9_10device_ptrIsEEEESE_sNS9_4plusIvEEsEEDaPvRmT3_T4_T5_mT6_P12ihipStream_tbENKUlT_T0_E_clISt17integral_constantIbLb0EESU_EEDaSP_SQ_EUlSP_E0_NS1_11comp_targetILNS1_3genE9ELNS1_11target_archE1100ELNS1_3gpuE3ELNS1_3repE0EEENS1_30default_config_static_selectorELNS0_4arch9wavefront6targetE1EEEvT1_
	.p2align	8
	.type	_ZN7rocprim17ROCPRIM_400000_NS6detail17trampoline_kernelINS0_14default_configENS1_20scan_config_selectorIsEEZZNS1_9scan_implILNS1_25lookback_scan_determinismE0ELb1ELb1ES3_N6thrust23THRUST_200600_302600_NS6detail15normal_iteratorINS9_10device_ptrIsEEEESE_sNS9_4plusIvEEsEEDaPvRmT3_T4_T5_mT6_P12ihipStream_tbENKUlT_T0_E_clISt17integral_constantIbLb0EESU_EEDaSP_SQ_EUlSP_E0_NS1_11comp_targetILNS1_3genE9ELNS1_11target_archE1100ELNS1_3gpuE3ELNS1_3repE0EEENS1_30default_config_static_selectorELNS0_4arch9wavefront6targetE1EEEvT1_,@function
_ZN7rocprim17ROCPRIM_400000_NS6detail17trampoline_kernelINS0_14default_configENS1_20scan_config_selectorIsEEZZNS1_9scan_implILNS1_25lookback_scan_determinismE0ELb1ELb1ES3_N6thrust23THRUST_200600_302600_NS6detail15normal_iteratorINS9_10device_ptrIsEEEESE_sNS9_4plusIvEEsEEDaPvRmT3_T4_T5_mT6_P12ihipStream_tbENKUlT_T0_E_clISt17integral_constantIbLb0EESU_EEDaSP_SQ_EUlSP_E0_NS1_11comp_targetILNS1_3genE9ELNS1_11target_archE1100ELNS1_3gpuE3ELNS1_3repE0EEENS1_30default_config_static_selectorELNS0_4arch9wavefront6targetE1EEEvT1_: ; @_ZN7rocprim17ROCPRIM_400000_NS6detail17trampoline_kernelINS0_14default_configENS1_20scan_config_selectorIsEEZZNS1_9scan_implILNS1_25lookback_scan_determinismE0ELb1ELb1ES3_N6thrust23THRUST_200600_302600_NS6detail15normal_iteratorINS9_10device_ptrIsEEEESE_sNS9_4plusIvEEsEEDaPvRmT3_T4_T5_mT6_P12ihipStream_tbENKUlT_T0_E_clISt17integral_constantIbLb0EESU_EEDaSP_SQ_EUlSP_E0_NS1_11comp_targetILNS1_3genE9ELNS1_11target_archE1100ELNS1_3gpuE3ELNS1_3repE0EEENS1_30default_config_static_selectorELNS0_4arch9wavefront6targetE1EEEvT1_
; %bb.0:
	.section	.rodata,"a",@progbits
	.p2align	6, 0x0
	.amdhsa_kernel _ZN7rocprim17ROCPRIM_400000_NS6detail17trampoline_kernelINS0_14default_configENS1_20scan_config_selectorIsEEZZNS1_9scan_implILNS1_25lookback_scan_determinismE0ELb1ELb1ES3_N6thrust23THRUST_200600_302600_NS6detail15normal_iteratorINS9_10device_ptrIsEEEESE_sNS9_4plusIvEEsEEDaPvRmT3_T4_T5_mT6_P12ihipStream_tbENKUlT_T0_E_clISt17integral_constantIbLb0EESU_EEDaSP_SQ_EUlSP_E0_NS1_11comp_targetILNS1_3genE9ELNS1_11target_archE1100ELNS1_3gpuE3ELNS1_3repE0EEENS1_30default_config_static_selectorELNS0_4arch9wavefront6targetE1EEEvT1_
		.amdhsa_group_segment_fixed_size 0
		.amdhsa_private_segment_fixed_size 0
		.amdhsa_kernarg_size 32
		.amdhsa_user_sgpr_count 6
		.amdhsa_user_sgpr_private_segment_buffer 1
		.amdhsa_user_sgpr_dispatch_ptr 0
		.amdhsa_user_sgpr_queue_ptr 0
		.amdhsa_user_sgpr_kernarg_segment_ptr 1
		.amdhsa_user_sgpr_dispatch_id 0
		.amdhsa_user_sgpr_flat_scratch_init 0
		.amdhsa_user_sgpr_kernarg_preload_length 0
		.amdhsa_user_sgpr_kernarg_preload_offset 0
		.amdhsa_user_sgpr_private_segment_size 0
		.amdhsa_uses_dynamic_stack 0
		.amdhsa_system_sgpr_private_segment_wavefront_offset 0
		.amdhsa_system_sgpr_workgroup_id_x 1
		.amdhsa_system_sgpr_workgroup_id_y 0
		.amdhsa_system_sgpr_workgroup_id_z 0
		.amdhsa_system_sgpr_workgroup_info 0
		.amdhsa_system_vgpr_workitem_id 0
		.amdhsa_next_free_vgpr 1
		.amdhsa_next_free_sgpr 0
		.amdhsa_accum_offset 4
		.amdhsa_reserve_vcc 0
		.amdhsa_reserve_flat_scratch 0
		.amdhsa_float_round_mode_32 0
		.amdhsa_float_round_mode_16_64 0
		.amdhsa_float_denorm_mode_32 3
		.amdhsa_float_denorm_mode_16_64 3
		.amdhsa_dx10_clamp 1
		.amdhsa_ieee_mode 1
		.amdhsa_fp16_overflow 0
		.amdhsa_tg_split 0
		.amdhsa_exception_fp_ieee_invalid_op 0
		.amdhsa_exception_fp_denorm_src 0
		.amdhsa_exception_fp_ieee_div_zero 0
		.amdhsa_exception_fp_ieee_overflow 0
		.amdhsa_exception_fp_ieee_underflow 0
		.amdhsa_exception_fp_ieee_inexact 0
		.amdhsa_exception_int_div_zero 0
	.end_amdhsa_kernel
	.section	.text._ZN7rocprim17ROCPRIM_400000_NS6detail17trampoline_kernelINS0_14default_configENS1_20scan_config_selectorIsEEZZNS1_9scan_implILNS1_25lookback_scan_determinismE0ELb1ELb1ES3_N6thrust23THRUST_200600_302600_NS6detail15normal_iteratorINS9_10device_ptrIsEEEESE_sNS9_4plusIvEEsEEDaPvRmT3_T4_T5_mT6_P12ihipStream_tbENKUlT_T0_E_clISt17integral_constantIbLb0EESU_EEDaSP_SQ_EUlSP_E0_NS1_11comp_targetILNS1_3genE9ELNS1_11target_archE1100ELNS1_3gpuE3ELNS1_3repE0EEENS1_30default_config_static_selectorELNS0_4arch9wavefront6targetE1EEEvT1_,"axG",@progbits,_ZN7rocprim17ROCPRIM_400000_NS6detail17trampoline_kernelINS0_14default_configENS1_20scan_config_selectorIsEEZZNS1_9scan_implILNS1_25lookback_scan_determinismE0ELb1ELb1ES3_N6thrust23THRUST_200600_302600_NS6detail15normal_iteratorINS9_10device_ptrIsEEEESE_sNS9_4plusIvEEsEEDaPvRmT3_T4_T5_mT6_P12ihipStream_tbENKUlT_T0_E_clISt17integral_constantIbLb0EESU_EEDaSP_SQ_EUlSP_E0_NS1_11comp_targetILNS1_3genE9ELNS1_11target_archE1100ELNS1_3gpuE3ELNS1_3repE0EEENS1_30default_config_static_selectorELNS0_4arch9wavefront6targetE1EEEvT1_,comdat
.Lfunc_end995:
	.size	_ZN7rocprim17ROCPRIM_400000_NS6detail17trampoline_kernelINS0_14default_configENS1_20scan_config_selectorIsEEZZNS1_9scan_implILNS1_25lookback_scan_determinismE0ELb1ELb1ES3_N6thrust23THRUST_200600_302600_NS6detail15normal_iteratorINS9_10device_ptrIsEEEESE_sNS9_4plusIvEEsEEDaPvRmT3_T4_T5_mT6_P12ihipStream_tbENKUlT_T0_E_clISt17integral_constantIbLb0EESU_EEDaSP_SQ_EUlSP_E0_NS1_11comp_targetILNS1_3genE9ELNS1_11target_archE1100ELNS1_3gpuE3ELNS1_3repE0EEENS1_30default_config_static_selectorELNS0_4arch9wavefront6targetE1EEEvT1_, .Lfunc_end995-_ZN7rocprim17ROCPRIM_400000_NS6detail17trampoline_kernelINS0_14default_configENS1_20scan_config_selectorIsEEZZNS1_9scan_implILNS1_25lookback_scan_determinismE0ELb1ELb1ES3_N6thrust23THRUST_200600_302600_NS6detail15normal_iteratorINS9_10device_ptrIsEEEESE_sNS9_4plusIvEEsEEDaPvRmT3_T4_T5_mT6_P12ihipStream_tbENKUlT_T0_E_clISt17integral_constantIbLb0EESU_EEDaSP_SQ_EUlSP_E0_NS1_11comp_targetILNS1_3genE9ELNS1_11target_archE1100ELNS1_3gpuE3ELNS1_3repE0EEENS1_30default_config_static_selectorELNS0_4arch9wavefront6targetE1EEEvT1_
                                        ; -- End function
	.section	.AMDGPU.csdata,"",@progbits
; Kernel info:
; codeLenInByte = 0
; NumSgprs: 4
; NumVgprs: 0
; NumAgprs: 0
; TotalNumVgprs: 0
; ScratchSize: 0
; MemoryBound: 0
; FloatMode: 240
; IeeeMode: 1
; LDSByteSize: 0 bytes/workgroup (compile time only)
; SGPRBlocks: 0
; VGPRBlocks: 0
; NumSGPRsForWavesPerEU: 4
; NumVGPRsForWavesPerEU: 1
; AccumOffset: 4
; Occupancy: 8
; WaveLimiterHint : 0
; COMPUTE_PGM_RSRC2:SCRATCH_EN: 0
; COMPUTE_PGM_RSRC2:USER_SGPR: 6
; COMPUTE_PGM_RSRC2:TRAP_HANDLER: 0
; COMPUTE_PGM_RSRC2:TGID_X_EN: 1
; COMPUTE_PGM_RSRC2:TGID_Y_EN: 0
; COMPUTE_PGM_RSRC2:TGID_Z_EN: 0
; COMPUTE_PGM_RSRC2:TIDIG_COMP_CNT: 0
; COMPUTE_PGM_RSRC3_GFX90A:ACCUM_OFFSET: 0
; COMPUTE_PGM_RSRC3_GFX90A:TG_SPLIT: 0
	.section	.text._ZN7rocprim17ROCPRIM_400000_NS6detail17trampoline_kernelINS0_14default_configENS1_20scan_config_selectorIsEEZZNS1_9scan_implILNS1_25lookback_scan_determinismE0ELb1ELb1ES3_N6thrust23THRUST_200600_302600_NS6detail15normal_iteratorINS9_10device_ptrIsEEEESE_sNS9_4plusIvEEsEEDaPvRmT3_T4_T5_mT6_P12ihipStream_tbENKUlT_T0_E_clISt17integral_constantIbLb0EESU_EEDaSP_SQ_EUlSP_E0_NS1_11comp_targetILNS1_3genE8ELNS1_11target_archE1030ELNS1_3gpuE2ELNS1_3repE0EEENS1_30default_config_static_selectorELNS0_4arch9wavefront6targetE1EEEvT1_,"axG",@progbits,_ZN7rocprim17ROCPRIM_400000_NS6detail17trampoline_kernelINS0_14default_configENS1_20scan_config_selectorIsEEZZNS1_9scan_implILNS1_25lookback_scan_determinismE0ELb1ELb1ES3_N6thrust23THRUST_200600_302600_NS6detail15normal_iteratorINS9_10device_ptrIsEEEESE_sNS9_4plusIvEEsEEDaPvRmT3_T4_T5_mT6_P12ihipStream_tbENKUlT_T0_E_clISt17integral_constantIbLb0EESU_EEDaSP_SQ_EUlSP_E0_NS1_11comp_targetILNS1_3genE8ELNS1_11target_archE1030ELNS1_3gpuE2ELNS1_3repE0EEENS1_30default_config_static_selectorELNS0_4arch9wavefront6targetE1EEEvT1_,comdat
	.protected	_ZN7rocprim17ROCPRIM_400000_NS6detail17trampoline_kernelINS0_14default_configENS1_20scan_config_selectorIsEEZZNS1_9scan_implILNS1_25lookback_scan_determinismE0ELb1ELb1ES3_N6thrust23THRUST_200600_302600_NS6detail15normal_iteratorINS9_10device_ptrIsEEEESE_sNS9_4plusIvEEsEEDaPvRmT3_T4_T5_mT6_P12ihipStream_tbENKUlT_T0_E_clISt17integral_constantIbLb0EESU_EEDaSP_SQ_EUlSP_E0_NS1_11comp_targetILNS1_3genE8ELNS1_11target_archE1030ELNS1_3gpuE2ELNS1_3repE0EEENS1_30default_config_static_selectorELNS0_4arch9wavefront6targetE1EEEvT1_ ; -- Begin function _ZN7rocprim17ROCPRIM_400000_NS6detail17trampoline_kernelINS0_14default_configENS1_20scan_config_selectorIsEEZZNS1_9scan_implILNS1_25lookback_scan_determinismE0ELb1ELb1ES3_N6thrust23THRUST_200600_302600_NS6detail15normal_iteratorINS9_10device_ptrIsEEEESE_sNS9_4plusIvEEsEEDaPvRmT3_T4_T5_mT6_P12ihipStream_tbENKUlT_T0_E_clISt17integral_constantIbLb0EESU_EEDaSP_SQ_EUlSP_E0_NS1_11comp_targetILNS1_3genE8ELNS1_11target_archE1030ELNS1_3gpuE2ELNS1_3repE0EEENS1_30default_config_static_selectorELNS0_4arch9wavefront6targetE1EEEvT1_
	.globl	_ZN7rocprim17ROCPRIM_400000_NS6detail17trampoline_kernelINS0_14default_configENS1_20scan_config_selectorIsEEZZNS1_9scan_implILNS1_25lookback_scan_determinismE0ELb1ELb1ES3_N6thrust23THRUST_200600_302600_NS6detail15normal_iteratorINS9_10device_ptrIsEEEESE_sNS9_4plusIvEEsEEDaPvRmT3_T4_T5_mT6_P12ihipStream_tbENKUlT_T0_E_clISt17integral_constantIbLb0EESU_EEDaSP_SQ_EUlSP_E0_NS1_11comp_targetILNS1_3genE8ELNS1_11target_archE1030ELNS1_3gpuE2ELNS1_3repE0EEENS1_30default_config_static_selectorELNS0_4arch9wavefront6targetE1EEEvT1_
	.p2align	8
	.type	_ZN7rocprim17ROCPRIM_400000_NS6detail17trampoline_kernelINS0_14default_configENS1_20scan_config_selectorIsEEZZNS1_9scan_implILNS1_25lookback_scan_determinismE0ELb1ELb1ES3_N6thrust23THRUST_200600_302600_NS6detail15normal_iteratorINS9_10device_ptrIsEEEESE_sNS9_4plusIvEEsEEDaPvRmT3_T4_T5_mT6_P12ihipStream_tbENKUlT_T0_E_clISt17integral_constantIbLb0EESU_EEDaSP_SQ_EUlSP_E0_NS1_11comp_targetILNS1_3genE8ELNS1_11target_archE1030ELNS1_3gpuE2ELNS1_3repE0EEENS1_30default_config_static_selectorELNS0_4arch9wavefront6targetE1EEEvT1_,@function
_ZN7rocprim17ROCPRIM_400000_NS6detail17trampoline_kernelINS0_14default_configENS1_20scan_config_selectorIsEEZZNS1_9scan_implILNS1_25lookback_scan_determinismE0ELb1ELb1ES3_N6thrust23THRUST_200600_302600_NS6detail15normal_iteratorINS9_10device_ptrIsEEEESE_sNS9_4plusIvEEsEEDaPvRmT3_T4_T5_mT6_P12ihipStream_tbENKUlT_T0_E_clISt17integral_constantIbLb0EESU_EEDaSP_SQ_EUlSP_E0_NS1_11comp_targetILNS1_3genE8ELNS1_11target_archE1030ELNS1_3gpuE2ELNS1_3repE0EEENS1_30default_config_static_selectorELNS0_4arch9wavefront6targetE1EEEvT1_: ; @_ZN7rocprim17ROCPRIM_400000_NS6detail17trampoline_kernelINS0_14default_configENS1_20scan_config_selectorIsEEZZNS1_9scan_implILNS1_25lookback_scan_determinismE0ELb1ELb1ES3_N6thrust23THRUST_200600_302600_NS6detail15normal_iteratorINS9_10device_ptrIsEEEESE_sNS9_4plusIvEEsEEDaPvRmT3_T4_T5_mT6_P12ihipStream_tbENKUlT_T0_E_clISt17integral_constantIbLb0EESU_EEDaSP_SQ_EUlSP_E0_NS1_11comp_targetILNS1_3genE8ELNS1_11target_archE1030ELNS1_3gpuE2ELNS1_3repE0EEENS1_30default_config_static_selectorELNS0_4arch9wavefront6targetE1EEEvT1_
; %bb.0:
	.section	.rodata,"a",@progbits
	.p2align	6, 0x0
	.amdhsa_kernel _ZN7rocprim17ROCPRIM_400000_NS6detail17trampoline_kernelINS0_14default_configENS1_20scan_config_selectorIsEEZZNS1_9scan_implILNS1_25lookback_scan_determinismE0ELb1ELb1ES3_N6thrust23THRUST_200600_302600_NS6detail15normal_iteratorINS9_10device_ptrIsEEEESE_sNS9_4plusIvEEsEEDaPvRmT3_T4_T5_mT6_P12ihipStream_tbENKUlT_T0_E_clISt17integral_constantIbLb0EESU_EEDaSP_SQ_EUlSP_E0_NS1_11comp_targetILNS1_3genE8ELNS1_11target_archE1030ELNS1_3gpuE2ELNS1_3repE0EEENS1_30default_config_static_selectorELNS0_4arch9wavefront6targetE1EEEvT1_
		.amdhsa_group_segment_fixed_size 0
		.amdhsa_private_segment_fixed_size 0
		.amdhsa_kernarg_size 32
		.amdhsa_user_sgpr_count 6
		.amdhsa_user_sgpr_private_segment_buffer 1
		.amdhsa_user_sgpr_dispatch_ptr 0
		.amdhsa_user_sgpr_queue_ptr 0
		.amdhsa_user_sgpr_kernarg_segment_ptr 1
		.amdhsa_user_sgpr_dispatch_id 0
		.amdhsa_user_sgpr_flat_scratch_init 0
		.amdhsa_user_sgpr_kernarg_preload_length 0
		.amdhsa_user_sgpr_kernarg_preload_offset 0
		.amdhsa_user_sgpr_private_segment_size 0
		.amdhsa_uses_dynamic_stack 0
		.amdhsa_system_sgpr_private_segment_wavefront_offset 0
		.amdhsa_system_sgpr_workgroup_id_x 1
		.amdhsa_system_sgpr_workgroup_id_y 0
		.amdhsa_system_sgpr_workgroup_id_z 0
		.amdhsa_system_sgpr_workgroup_info 0
		.amdhsa_system_vgpr_workitem_id 0
		.amdhsa_next_free_vgpr 1
		.amdhsa_next_free_sgpr 0
		.amdhsa_accum_offset 4
		.amdhsa_reserve_vcc 0
		.amdhsa_reserve_flat_scratch 0
		.amdhsa_float_round_mode_32 0
		.amdhsa_float_round_mode_16_64 0
		.amdhsa_float_denorm_mode_32 3
		.amdhsa_float_denorm_mode_16_64 3
		.amdhsa_dx10_clamp 1
		.amdhsa_ieee_mode 1
		.amdhsa_fp16_overflow 0
		.amdhsa_tg_split 0
		.amdhsa_exception_fp_ieee_invalid_op 0
		.amdhsa_exception_fp_denorm_src 0
		.amdhsa_exception_fp_ieee_div_zero 0
		.amdhsa_exception_fp_ieee_overflow 0
		.amdhsa_exception_fp_ieee_underflow 0
		.amdhsa_exception_fp_ieee_inexact 0
		.amdhsa_exception_int_div_zero 0
	.end_amdhsa_kernel
	.section	.text._ZN7rocprim17ROCPRIM_400000_NS6detail17trampoline_kernelINS0_14default_configENS1_20scan_config_selectorIsEEZZNS1_9scan_implILNS1_25lookback_scan_determinismE0ELb1ELb1ES3_N6thrust23THRUST_200600_302600_NS6detail15normal_iteratorINS9_10device_ptrIsEEEESE_sNS9_4plusIvEEsEEDaPvRmT3_T4_T5_mT6_P12ihipStream_tbENKUlT_T0_E_clISt17integral_constantIbLb0EESU_EEDaSP_SQ_EUlSP_E0_NS1_11comp_targetILNS1_3genE8ELNS1_11target_archE1030ELNS1_3gpuE2ELNS1_3repE0EEENS1_30default_config_static_selectorELNS0_4arch9wavefront6targetE1EEEvT1_,"axG",@progbits,_ZN7rocprim17ROCPRIM_400000_NS6detail17trampoline_kernelINS0_14default_configENS1_20scan_config_selectorIsEEZZNS1_9scan_implILNS1_25lookback_scan_determinismE0ELb1ELb1ES3_N6thrust23THRUST_200600_302600_NS6detail15normal_iteratorINS9_10device_ptrIsEEEESE_sNS9_4plusIvEEsEEDaPvRmT3_T4_T5_mT6_P12ihipStream_tbENKUlT_T0_E_clISt17integral_constantIbLb0EESU_EEDaSP_SQ_EUlSP_E0_NS1_11comp_targetILNS1_3genE8ELNS1_11target_archE1030ELNS1_3gpuE2ELNS1_3repE0EEENS1_30default_config_static_selectorELNS0_4arch9wavefront6targetE1EEEvT1_,comdat
.Lfunc_end996:
	.size	_ZN7rocprim17ROCPRIM_400000_NS6detail17trampoline_kernelINS0_14default_configENS1_20scan_config_selectorIsEEZZNS1_9scan_implILNS1_25lookback_scan_determinismE0ELb1ELb1ES3_N6thrust23THRUST_200600_302600_NS6detail15normal_iteratorINS9_10device_ptrIsEEEESE_sNS9_4plusIvEEsEEDaPvRmT3_T4_T5_mT6_P12ihipStream_tbENKUlT_T0_E_clISt17integral_constantIbLb0EESU_EEDaSP_SQ_EUlSP_E0_NS1_11comp_targetILNS1_3genE8ELNS1_11target_archE1030ELNS1_3gpuE2ELNS1_3repE0EEENS1_30default_config_static_selectorELNS0_4arch9wavefront6targetE1EEEvT1_, .Lfunc_end996-_ZN7rocprim17ROCPRIM_400000_NS6detail17trampoline_kernelINS0_14default_configENS1_20scan_config_selectorIsEEZZNS1_9scan_implILNS1_25lookback_scan_determinismE0ELb1ELb1ES3_N6thrust23THRUST_200600_302600_NS6detail15normal_iteratorINS9_10device_ptrIsEEEESE_sNS9_4plusIvEEsEEDaPvRmT3_T4_T5_mT6_P12ihipStream_tbENKUlT_T0_E_clISt17integral_constantIbLb0EESU_EEDaSP_SQ_EUlSP_E0_NS1_11comp_targetILNS1_3genE8ELNS1_11target_archE1030ELNS1_3gpuE2ELNS1_3repE0EEENS1_30default_config_static_selectorELNS0_4arch9wavefront6targetE1EEEvT1_
                                        ; -- End function
	.section	.AMDGPU.csdata,"",@progbits
; Kernel info:
; codeLenInByte = 0
; NumSgprs: 4
; NumVgprs: 0
; NumAgprs: 0
; TotalNumVgprs: 0
; ScratchSize: 0
; MemoryBound: 0
; FloatMode: 240
; IeeeMode: 1
; LDSByteSize: 0 bytes/workgroup (compile time only)
; SGPRBlocks: 0
; VGPRBlocks: 0
; NumSGPRsForWavesPerEU: 4
; NumVGPRsForWavesPerEU: 1
; AccumOffset: 4
; Occupancy: 8
; WaveLimiterHint : 0
; COMPUTE_PGM_RSRC2:SCRATCH_EN: 0
; COMPUTE_PGM_RSRC2:USER_SGPR: 6
; COMPUTE_PGM_RSRC2:TRAP_HANDLER: 0
; COMPUTE_PGM_RSRC2:TGID_X_EN: 1
; COMPUTE_PGM_RSRC2:TGID_Y_EN: 0
; COMPUTE_PGM_RSRC2:TGID_Z_EN: 0
; COMPUTE_PGM_RSRC2:TIDIG_COMP_CNT: 0
; COMPUTE_PGM_RSRC3_GFX90A:ACCUM_OFFSET: 0
; COMPUTE_PGM_RSRC3_GFX90A:TG_SPLIT: 0
	.section	.text._ZN7rocprim17ROCPRIM_400000_NS6detail17trampoline_kernelINS0_14default_configENS1_20scan_config_selectorIsEEZZNS1_9scan_implILNS1_25lookback_scan_determinismE0ELb1ELb1ES3_N6thrust23THRUST_200600_302600_NS6detail15normal_iteratorINS9_10device_ptrIsEEEESE_sNS9_4plusIvEEsEEDaPvRmT3_T4_T5_mT6_P12ihipStream_tbENKUlT_T0_E_clISt17integral_constantIbLb1EESU_EEDaSP_SQ_EUlSP_E_NS1_11comp_targetILNS1_3genE0ELNS1_11target_archE4294967295ELNS1_3gpuE0ELNS1_3repE0EEENS1_30default_config_static_selectorELNS0_4arch9wavefront6targetE1EEEvT1_,"axG",@progbits,_ZN7rocprim17ROCPRIM_400000_NS6detail17trampoline_kernelINS0_14default_configENS1_20scan_config_selectorIsEEZZNS1_9scan_implILNS1_25lookback_scan_determinismE0ELb1ELb1ES3_N6thrust23THRUST_200600_302600_NS6detail15normal_iteratorINS9_10device_ptrIsEEEESE_sNS9_4plusIvEEsEEDaPvRmT3_T4_T5_mT6_P12ihipStream_tbENKUlT_T0_E_clISt17integral_constantIbLb1EESU_EEDaSP_SQ_EUlSP_E_NS1_11comp_targetILNS1_3genE0ELNS1_11target_archE4294967295ELNS1_3gpuE0ELNS1_3repE0EEENS1_30default_config_static_selectorELNS0_4arch9wavefront6targetE1EEEvT1_,comdat
	.protected	_ZN7rocprim17ROCPRIM_400000_NS6detail17trampoline_kernelINS0_14default_configENS1_20scan_config_selectorIsEEZZNS1_9scan_implILNS1_25lookback_scan_determinismE0ELb1ELb1ES3_N6thrust23THRUST_200600_302600_NS6detail15normal_iteratorINS9_10device_ptrIsEEEESE_sNS9_4plusIvEEsEEDaPvRmT3_T4_T5_mT6_P12ihipStream_tbENKUlT_T0_E_clISt17integral_constantIbLb1EESU_EEDaSP_SQ_EUlSP_E_NS1_11comp_targetILNS1_3genE0ELNS1_11target_archE4294967295ELNS1_3gpuE0ELNS1_3repE0EEENS1_30default_config_static_selectorELNS0_4arch9wavefront6targetE1EEEvT1_ ; -- Begin function _ZN7rocprim17ROCPRIM_400000_NS6detail17trampoline_kernelINS0_14default_configENS1_20scan_config_selectorIsEEZZNS1_9scan_implILNS1_25lookback_scan_determinismE0ELb1ELb1ES3_N6thrust23THRUST_200600_302600_NS6detail15normal_iteratorINS9_10device_ptrIsEEEESE_sNS9_4plusIvEEsEEDaPvRmT3_T4_T5_mT6_P12ihipStream_tbENKUlT_T0_E_clISt17integral_constantIbLb1EESU_EEDaSP_SQ_EUlSP_E_NS1_11comp_targetILNS1_3genE0ELNS1_11target_archE4294967295ELNS1_3gpuE0ELNS1_3repE0EEENS1_30default_config_static_selectorELNS0_4arch9wavefront6targetE1EEEvT1_
	.globl	_ZN7rocprim17ROCPRIM_400000_NS6detail17trampoline_kernelINS0_14default_configENS1_20scan_config_selectorIsEEZZNS1_9scan_implILNS1_25lookback_scan_determinismE0ELb1ELb1ES3_N6thrust23THRUST_200600_302600_NS6detail15normal_iteratorINS9_10device_ptrIsEEEESE_sNS9_4plusIvEEsEEDaPvRmT3_T4_T5_mT6_P12ihipStream_tbENKUlT_T0_E_clISt17integral_constantIbLb1EESU_EEDaSP_SQ_EUlSP_E_NS1_11comp_targetILNS1_3genE0ELNS1_11target_archE4294967295ELNS1_3gpuE0ELNS1_3repE0EEENS1_30default_config_static_selectorELNS0_4arch9wavefront6targetE1EEEvT1_
	.p2align	8
	.type	_ZN7rocprim17ROCPRIM_400000_NS6detail17trampoline_kernelINS0_14default_configENS1_20scan_config_selectorIsEEZZNS1_9scan_implILNS1_25lookback_scan_determinismE0ELb1ELb1ES3_N6thrust23THRUST_200600_302600_NS6detail15normal_iteratorINS9_10device_ptrIsEEEESE_sNS9_4plusIvEEsEEDaPvRmT3_T4_T5_mT6_P12ihipStream_tbENKUlT_T0_E_clISt17integral_constantIbLb1EESU_EEDaSP_SQ_EUlSP_E_NS1_11comp_targetILNS1_3genE0ELNS1_11target_archE4294967295ELNS1_3gpuE0ELNS1_3repE0EEENS1_30default_config_static_selectorELNS0_4arch9wavefront6targetE1EEEvT1_,@function
_ZN7rocprim17ROCPRIM_400000_NS6detail17trampoline_kernelINS0_14default_configENS1_20scan_config_selectorIsEEZZNS1_9scan_implILNS1_25lookback_scan_determinismE0ELb1ELb1ES3_N6thrust23THRUST_200600_302600_NS6detail15normal_iteratorINS9_10device_ptrIsEEEESE_sNS9_4plusIvEEsEEDaPvRmT3_T4_T5_mT6_P12ihipStream_tbENKUlT_T0_E_clISt17integral_constantIbLb1EESU_EEDaSP_SQ_EUlSP_E_NS1_11comp_targetILNS1_3genE0ELNS1_11target_archE4294967295ELNS1_3gpuE0ELNS1_3repE0EEENS1_30default_config_static_selectorELNS0_4arch9wavefront6targetE1EEEvT1_: ; @_ZN7rocprim17ROCPRIM_400000_NS6detail17trampoline_kernelINS0_14default_configENS1_20scan_config_selectorIsEEZZNS1_9scan_implILNS1_25lookback_scan_determinismE0ELb1ELb1ES3_N6thrust23THRUST_200600_302600_NS6detail15normal_iteratorINS9_10device_ptrIsEEEESE_sNS9_4plusIvEEsEEDaPvRmT3_T4_T5_mT6_P12ihipStream_tbENKUlT_T0_E_clISt17integral_constantIbLb1EESU_EEDaSP_SQ_EUlSP_E_NS1_11comp_targetILNS1_3genE0ELNS1_11target_archE4294967295ELNS1_3gpuE0ELNS1_3repE0EEENS1_30default_config_static_selectorELNS0_4arch9wavefront6targetE1EEEvT1_
; %bb.0:
	.section	.rodata,"a",@progbits
	.p2align	6, 0x0
	.amdhsa_kernel _ZN7rocprim17ROCPRIM_400000_NS6detail17trampoline_kernelINS0_14default_configENS1_20scan_config_selectorIsEEZZNS1_9scan_implILNS1_25lookback_scan_determinismE0ELb1ELb1ES3_N6thrust23THRUST_200600_302600_NS6detail15normal_iteratorINS9_10device_ptrIsEEEESE_sNS9_4plusIvEEsEEDaPvRmT3_T4_T5_mT6_P12ihipStream_tbENKUlT_T0_E_clISt17integral_constantIbLb1EESU_EEDaSP_SQ_EUlSP_E_NS1_11comp_targetILNS1_3genE0ELNS1_11target_archE4294967295ELNS1_3gpuE0ELNS1_3repE0EEENS1_30default_config_static_selectorELNS0_4arch9wavefront6targetE1EEEvT1_
		.amdhsa_group_segment_fixed_size 0
		.amdhsa_private_segment_fixed_size 0
		.amdhsa_kernarg_size 96
		.amdhsa_user_sgpr_count 6
		.amdhsa_user_sgpr_private_segment_buffer 1
		.amdhsa_user_sgpr_dispatch_ptr 0
		.amdhsa_user_sgpr_queue_ptr 0
		.amdhsa_user_sgpr_kernarg_segment_ptr 1
		.amdhsa_user_sgpr_dispatch_id 0
		.amdhsa_user_sgpr_flat_scratch_init 0
		.amdhsa_user_sgpr_kernarg_preload_length 0
		.amdhsa_user_sgpr_kernarg_preload_offset 0
		.amdhsa_user_sgpr_private_segment_size 0
		.amdhsa_uses_dynamic_stack 0
		.amdhsa_system_sgpr_private_segment_wavefront_offset 0
		.amdhsa_system_sgpr_workgroup_id_x 1
		.amdhsa_system_sgpr_workgroup_id_y 0
		.amdhsa_system_sgpr_workgroup_id_z 0
		.amdhsa_system_sgpr_workgroup_info 0
		.amdhsa_system_vgpr_workitem_id 0
		.amdhsa_next_free_vgpr 1
		.amdhsa_next_free_sgpr 0
		.amdhsa_accum_offset 4
		.amdhsa_reserve_vcc 0
		.amdhsa_reserve_flat_scratch 0
		.amdhsa_float_round_mode_32 0
		.amdhsa_float_round_mode_16_64 0
		.amdhsa_float_denorm_mode_32 3
		.amdhsa_float_denorm_mode_16_64 3
		.amdhsa_dx10_clamp 1
		.amdhsa_ieee_mode 1
		.amdhsa_fp16_overflow 0
		.amdhsa_tg_split 0
		.amdhsa_exception_fp_ieee_invalid_op 0
		.amdhsa_exception_fp_denorm_src 0
		.amdhsa_exception_fp_ieee_div_zero 0
		.amdhsa_exception_fp_ieee_overflow 0
		.amdhsa_exception_fp_ieee_underflow 0
		.amdhsa_exception_fp_ieee_inexact 0
		.amdhsa_exception_int_div_zero 0
	.end_amdhsa_kernel
	.section	.text._ZN7rocprim17ROCPRIM_400000_NS6detail17trampoline_kernelINS0_14default_configENS1_20scan_config_selectorIsEEZZNS1_9scan_implILNS1_25lookback_scan_determinismE0ELb1ELb1ES3_N6thrust23THRUST_200600_302600_NS6detail15normal_iteratorINS9_10device_ptrIsEEEESE_sNS9_4plusIvEEsEEDaPvRmT3_T4_T5_mT6_P12ihipStream_tbENKUlT_T0_E_clISt17integral_constantIbLb1EESU_EEDaSP_SQ_EUlSP_E_NS1_11comp_targetILNS1_3genE0ELNS1_11target_archE4294967295ELNS1_3gpuE0ELNS1_3repE0EEENS1_30default_config_static_selectorELNS0_4arch9wavefront6targetE1EEEvT1_,"axG",@progbits,_ZN7rocprim17ROCPRIM_400000_NS6detail17trampoline_kernelINS0_14default_configENS1_20scan_config_selectorIsEEZZNS1_9scan_implILNS1_25lookback_scan_determinismE0ELb1ELb1ES3_N6thrust23THRUST_200600_302600_NS6detail15normal_iteratorINS9_10device_ptrIsEEEESE_sNS9_4plusIvEEsEEDaPvRmT3_T4_T5_mT6_P12ihipStream_tbENKUlT_T0_E_clISt17integral_constantIbLb1EESU_EEDaSP_SQ_EUlSP_E_NS1_11comp_targetILNS1_3genE0ELNS1_11target_archE4294967295ELNS1_3gpuE0ELNS1_3repE0EEENS1_30default_config_static_selectorELNS0_4arch9wavefront6targetE1EEEvT1_,comdat
.Lfunc_end997:
	.size	_ZN7rocprim17ROCPRIM_400000_NS6detail17trampoline_kernelINS0_14default_configENS1_20scan_config_selectorIsEEZZNS1_9scan_implILNS1_25lookback_scan_determinismE0ELb1ELb1ES3_N6thrust23THRUST_200600_302600_NS6detail15normal_iteratorINS9_10device_ptrIsEEEESE_sNS9_4plusIvEEsEEDaPvRmT3_T4_T5_mT6_P12ihipStream_tbENKUlT_T0_E_clISt17integral_constantIbLb1EESU_EEDaSP_SQ_EUlSP_E_NS1_11comp_targetILNS1_3genE0ELNS1_11target_archE4294967295ELNS1_3gpuE0ELNS1_3repE0EEENS1_30default_config_static_selectorELNS0_4arch9wavefront6targetE1EEEvT1_, .Lfunc_end997-_ZN7rocprim17ROCPRIM_400000_NS6detail17trampoline_kernelINS0_14default_configENS1_20scan_config_selectorIsEEZZNS1_9scan_implILNS1_25lookback_scan_determinismE0ELb1ELb1ES3_N6thrust23THRUST_200600_302600_NS6detail15normal_iteratorINS9_10device_ptrIsEEEESE_sNS9_4plusIvEEsEEDaPvRmT3_T4_T5_mT6_P12ihipStream_tbENKUlT_T0_E_clISt17integral_constantIbLb1EESU_EEDaSP_SQ_EUlSP_E_NS1_11comp_targetILNS1_3genE0ELNS1_11target_archE4294967295ELNS1_3gpuE0ELNS1_3repE0EEENS1_30default_config_static_selectorELNS0_4arch9wavefront6targetE1EEEvT1_
                                        ; -- End function
	.section	.AMDGPU.csdata,"",@progbits
; Kernel info:
; codeLenInByte = 0
; NumSgprs: 4
; NumVgprs: 0
; NumAgprs: 0
; TotalNumVgprs: 0
; ScratchSize: 0
; MemoryBound: 0
; FloatMode: 240
; IeeeMode: 1
; LDSByteSize: 0 bytes/workgroup (compile time only)
; SGPRBlocks: 0
; VGPRBlocks: 0
; NumSGPRsForWavesPerEU: 4
; NumVGPRsForWavesPerEU: 1
; AccumOffset: 4
; Occupancy: 8
; WaveLimiterHint : 0
; COMPUTE_PGM_RSRC2:SCRATCH_EN: 0
; COMPUTE_PGM_RSRC2:USER_SGPR: 6
; COMPUTE_PGM_RSRC2:TRAP_HANDLER: 0
; COMPUTE_PGM_RSRC2:TGID_X_EN: 1
; COMPUTE_PGM_RSRC2:TGID_Y_EN: 0
; COMPUTE_PGM_RSRC2:TGID_Z_EN: 0
; COMPUTE_PGM_RSRC2:TIDIG_COMP_CNT: 0
; COMPUTE_PGM_RSRC3_GFX90A:ACCUM_OFFSET: 0
; COMPUTE_PGM_RSRC3_GFX90A:TG_SPLIT: 0
	.section	.text._ZN7rocprim17ROCPRIM_400000_NS6detail17trampoline_kernelINS0_14default_configENS1_20scan_config_selectorIsEEZZNS1_9scan_implILNS1_25lookback_scan_determinismE0ELb1ELb1ES3_N6thrust23THRUST_200600_302600_NS6detail15normal_iteratorINS9_10device_ptrIsEEEESE_sNS9_4plusIvEEsEEDaPvRmT3_T4_T5_mT6_P12ihipStream_tbENKUlT_T0_E_clISt17integral_constantIbLb1EESU_EEDaSP_SQ_EUlSP_E_NS1_11comp_targetILNS1_3genE5ELNS1_11target_archE942ELNS1_3gpuE9ELNS1_3repE0EEENS1_30default_config_static_selectorELNS0_4arch9wavefront6targetE1EEEvT1_,"axG",@progbits,_ZN7rocprim17ROCPRIM_400000_NS6detail17trampoline_kernelINS0_14default_configENS1_20scan_config_selectorIsEEZZNS1_9scan_implILNS1_25lookback_scan_determinismE0ELb1ELb1ES3_N6thrust23THRUST_200600_302600_NS6detail15normal_iteratorINS9_10device_ptrIsEEEESE_sNS9_4plusIvEEsEEDaPvRmT3_T4_T5_mT6_P12ihipStream_tbENKUlT_T0_E_clISt17integral_constantIbLb1EESU_EEDaSP_SQ_EUlSP_E_NS1_11comp_targetILNS1_3genE5ELNS1_11target_archE942ELNS1_3gpuE9ELNS1_3repE0EEENS1_30default_config_static_selectorELNS0_4arch9wavefront6targetE1EEEvT1_,comdat
	.protected	_ZN7rocprim17ROCPRIM_400000_NS6detail17trampoline_kernelINS0_14default_configENS1_20scan_config_selectorIsEEZZNS1_9scan_implILNS1_25lookback_scan_determinismE0ELb1ELb1ES3_N6thrust23THRUST_200600_302600_NS6detail15normal_iteratorINS9_10device_ptrIsEEEESE_sNS9_4plusIvEEsEEDaPvRmT3_T4_T5_mT6_P12ihipStream_tbENKUlT_T0_E_clISt17integral_constantIbLb1EESU_EEDaSP_SQ_EUlSP_E_NS1_11comp_targetILNS1_3genE5ELNS1_11target_archE942ELNS1_3gpuE9ELNS1_3repE0EEENS1_30default_config_static_selectorELNS0_4arch9wavefront6targetE1EEEvT1_ ; -- Begin function _ZN7rocprim17ROCPRIM_400000_NS6detail17trampoline_kernelINS0_14default_configENS1_20scan_config_selectorIsEEZZNS1_9scan_implILNS1_25lookback_scan_determinismE0ELb1ELb1ES3_N6thrust23THRUST_200600_302600_NS6detail15normal_iteratorINS9_10device_ptrIsEEEESE_sNS9_4plusIvEEsEEDaPvRmT3_T4_T5_mT6_P12ihipStream_tbENKUlT_T0_E_clISt17integral_constantIbLb1EESU_EEDaSP_SQ_EUlSP_E_NS1_11comp_targetILNS1_3genE5ELNS1_11target_archE942ELNS1_3gpuE9ELNS1_3repE0EEENS1_30default_config_static_selectorELNS0_4arch9wavefront6targetE1EEEvT1_
	.globl	_ZN7rocprim17ROCPRIM_400000_NS6detail17trampoline_kernelINS0_14default_configENS1_20scan_config_selectorIsEEZZNS1_9scan_implILNS1_25lookback_scan_determinismE0ELb1ELb1ES3_N6thrust23THRUST_200600_302600_NS6detail15normal_iteratorINS9_10device_ptrIsEEEESE_sNS9_4plusIvEEsEEDaPvRmT3_T4_T5_mT6_P12ihipStream_tbENKUlT_T0_E_clISt17integral_constantIbLb1EESU_EEDaSP_SQ_EUlSP_E_NS1_11comp_targetILNS1_3genE5ELNS1_11target_archE942ELNS1_3gpuE9ELNS1_3repE0EEENS1_30default_config_static_selectorELNS0_4arch9wavefront6targetE1EEEvT1_
	.p2align	8
	.type	_ZN7rocprim17ROCPRIM_400000_NS6detail17trampoline_kernelINS0_14default_configENS1_20scan_config_selectorIsEEZZNS1_9scan_implILNS1_25lookback_scan_determinismE0ELb1ELb1ES3_N6thrust23THRUST_200600_302600_NS6detail15normal_iteratorINS9_10device_ptrIsEEEESE_sNS9_4plusIvEEsEEDaPvRmT3_T4_T5_mT6_P12ihipStream_tbENKUlT_T0_E_clISt17integral_constantIbLb1EESU_EEDaSP_SQ_EUlSP_E_NS1_11comp_targetILNS1_3genE5ELNS1_11target_archE942ELNS1_3gpuE9ELNS1_3repE0EEENS1_30default_config_static_selectorELNS0_4arch9wavefront6targetE1EEEvT1_,@function
_ZN7rocprim17ROCPRIM_400000_NS6detail17trampoline_kernelINS0_14default_configENS1_20scan_config_selectorIsEEZZNS1_9scan_implILNS1_25lookback_scan_determinismE0ELb1ELb1ES3_N6thrust23THRUST_200600_302600_NS6detail15normal_iteratorINS9_10device_ptrIsEEEESE_sNS9_4plusIvEEsEEDaPvRmT3_T4_T5_mT6_P12ihipStream_tbENKUlT_T0_E_clISt17integral_constantIbLb1EESU_EEDaSP_SQ_EUlSP_E_NS1_11comp_targetILNS1_3genE5ELNS1_11target_archE942ELNS1_3gpuE9ELNS1_3repE0EEENS1_30default_config_static_selectorELNS0_4arch9wavefront6targetE1EEEvT1_: ; @_ZN7rocprim17ROCPRIM_400000_NS6detail17trampoline_kernelINS0_14default_configENS1_20scan_config_selectorIsEEZZNS1_9scan_implILNS1_25lookback_scan_determinismE0ELb1ELb1ES3_N6thrust23THRUST_200600_302600_NS6detail15normal_iteratorINS9_10device_ptrIsEEEESE_sNS9_4plusIvEEsEEDaPvRmT3_T4_T5_mT6_P12ihipStream_tbENKUlT_T0_E_clISt17integral_constantIbLb1EESU_EEDaSP_SQ_EUlSP_E_NS1_11comp_targetILNS1_3genE5ELNS1_11target_archE942ELNS1_3gpuE9ELNS1_3repE0EEENS1_30default_config_static_selectorELNS0_4arch9wavefront6targetE1EEEvT1_
; %bb.0:
	.section	.rodata,"a",@progbits
	.p2align	6, 0x0
	.amdhsa_kernel _ZN7rocprim17ROCPRIM_400000_NS6detail17trampoline_kernelINS0_14default_configENS1_20scan_config_selectorIsEEZZNS1_9scan_implILNS1_25lookback_scan_determinismE0ELb1ELb1ES3_N6thrust23THRUST_200600_302600_NS6detail15normal_iteratorINS9_10device_ptrIsEEEESE_sNS9_4plusIvEEsEEDaPvRmT3_T4_T5_mT6_P12ihipStream_tbENKUlT_T0_E_clISt17integral_constantIbLb1EESU_EEDaSP_SQ_EUlSP_E_NS1_11comp_targetILNS1_3genE5ELNS1_11target_archE942ELNS1_3gpuE9ELNS1_3repE0EEENS1_30default_config_static_selectorELNS0_4arch9wavefront6targetE1EEEvT1_
		.amdhsa_group_segment_fixed_size 0
		.amdhsa_private_segment_fixed_size 0
		.amdhsa_kernarg_size 96
		.amdhsa_user_sgpr_count 6
		.amdhsa_user_sgpr_private_segment_buffer 1
		.amdhsa_user_sgpr_dispatch_ptr 0
		.amdhsa_user_sgpr_queue_ptr 0
		.amdhsa_user_sgpr_kernarg_segment_ptr 1
		.amdhsa_user_sgpr_dispatch_id 0
		.amdhsa_user_sgpr_flat_scratch_init 0
		.amdhsa_user_sgpr_kernarg_preload_length 0
		.amdhsa_user_sgpr_kernarg_preload_offset 0
		.amdhsa_user_sgpr_private_segment_size 0
		.amdhsa_uses_dynamic_stack 0
		.amdhsa_system_sgpr_private_segment_wavefront_offset 0
		.amdhsa_system_sgpr_workgroup_id_x 1
		.amdhsa_system_sgpr_workgroup_id_y 0
		.amdhsa_system_sgpr_workgroup_id_z 0
		.amdhsa_system_sgpr_workgroup_info 0
		.amdhsa_system_vgpr_workitem_id 0
		.amdhsa_next_free_vgpr 1
		.amdhsa_next_free_sgpr 0
		.amdhsa_accum_offset 4
		.amdhsa_reserve_vcc 0
		.amdhsa_reserve_flat_scratch 0
		.amdhsa_float_round_mode_32 0
		.amdhsa_float_round_mode_16_64 0
		.amdhsa_float_denorm_mode_32 3
		.amdhsa_float_denorm_mode_16_64 3
		.amdhsa_dx10_clamp 1
		.amdhsa_ieee_mode 1
		.amdhsa_fp16_overflow 0
		.amdhsa_tg_split 0
		.amdhsa_exception_fp_ieee_invalid_op 0
		.amdhsa_exception_fp_denorm_src 0
		.amdhsa_exception_fp_ieee_div_zero 0
		.amdhsa_exception_fp_ieee_overflow 0
		.amdhsa_exception_fp_ieee_underflow 0
		.amdhsa_exception_fp_ieee_inexact 0
		.amdhsa_exception_int_div_zero 0
	.end_amdhsa_kernel
	.section	.text._ZN7rocprim17ROCPRIM_400000_NS6detail17trampoline_kernelINS0_14default_configENS1_20scan_config_selectorIsEEZZNS1_9scan_implILNS1_25lookback_scan_determinismE0ELb1ELb1ES3_N6thrust23THRUST_200600_302600_NS6detail15normal_iteratorINS9_10device_ptrIsEEEESE_sNS9_4plusIvEEsEEDaPvRmT3_T4_T5_mT6_P12ihipStream_tbENKUlT_T0_E_clISt17integral_constantIbLb1EESU_EEDaSP_SQ_EUlSP_E_NS1_11comp_targetILNS1_3genE5ELNS1_11target_archE942ELNS1_3gpuE9ELNS1_3repE0EEENS1_30default_config_static_selectorELNS0_4arch9wavefront6targetE1EEEvT1_,"axG",@progbits,_ZN7rocprim17ROCPRIM_400000_NS6detail17trampoline_kernelINS0_14default_configENS1_20scan_config_selectorIsEEZZNS1_9scan_implILNS1_25lookback_scan_determinismE0ELb1ELb1ES3_N6thrust23THRUST_200600_302600_NS6detail15normal_iteratorINS9_10device_ptrIsEEEESE_sNS9_4plusIvEEsEEDaPvRmT3_T4_T5_mT6_P12ihipStream_tbENKUlT_T0_E_clISt17integral_constantIbLb1EESU_EEDaSP_SQ_EUlSP_E_NS1_11comp_targetILNS1_3genE5ELNS1_11target_archE942ELNS1_3gpuE9ELNS1_3repE0EEENS1_30default_config_static_selectorELNS0_4arch9wavefront6targetE1EEEvT1_,comdat
.Lfunc_end998:
	.size	_ZN7rocprim17ROCPRIM_400000_NS6detail17trampoline_kernelINS0_14default_configENS1_20scan_config_selectorIsEEZZNS1_9scan_implILNS1_25lookback_scan_determinismE0ELb1ELb1ES3_N6thrust23THRUST_200600_302600_NS6detail15normal_iteratorINS9_10device_ptrIsEEEESE_sNS9_4plusIvEEsEEDaPvRmT3_T4_T5_mT6_P12ihipStream_tbENKUlT_T0_E_clISt17integral_constantIbLb1EESU_EEDaSP_SQ_EUlSP_E_NS1_11comp_targetILNS1_3genE5ELNS1_11target_archE942ELNS1_3gpuE9ELNS1_3repE0EEENS1_30default_config_static_selectorELNS0_4arch9wavefront6targetE1EEEvT1_, .Lfunc_end998-_ZN7rocprim17ROCPRIM_400000_NS6detail17trampoline_kernelINS0_14default_configENS1_20scan_config_selectorIsEEZZNS1_9scan_implILNS1_25lookback_scan_determinismE0ELb1ELb1ES3_N6thrust23THRUST_200600_302600_NS6detail15normal_iteratorINS9_10device_ptrIsEEEESE_sNS9_4plusIvEEsEEDaPvRmT3_T4_T5_mT6_P12ihipStream_tbENKUlT_T0_E_clISt17integral_constantIbLb1EESU_EEDaSP_SQ_EUlSP_E_NS1_11comp_targetILNS1_3genE5ELNS1_11target_archE942ELNS1_3gpuE9ELNS1_3repE0EEENS1_30default_config_static_selectorELNS0_4arch9wavefront6targetE1EEEvT1_
                                        ; -- End function
	.section	.AMDGPU.csdata,"",@progbits
; Kernel info:
; codeLenInByte = 0
; NumSgprs: 4
; NumVgprs: 0
; NumAgprs: 0
; TotalNumVgprs: 0
; ScratchSize: 0
; MemoryBound: 0
; FloatMode: 240
; IeeeMode: 1
; LDSByteSize: 0 bytes/workgroup (compile time only)
; SGPRBlocks: 0
; VGPRBlocks: 0
; NumSGPRsForWavesPerEU: 4
; NumVGPRsForWavesPerEU: 1
; AccumOffset: 4
; Occupancy: 8
; WaveLimiterHint : 0
; COMPUTE_PGM_RSRC2:SCRATCH_EN: 0
; COMPUTE_PGM_RSRC2:USER_SGPR: 6
; COMPUTE_PGM_RSRC2:TRAP_HANDLER: 0
; COMPUTE_PGM_RSRC2:TGID_X_EN: 1
; COMPUTE_PGM_RSRC2:TGID_Y_EN: 0
; COMPUTE_PGM_RSRC2:TGID_Z_EN: 0
; COMPUTE_PGM_RSRC2:TIDIG_COMP_CNT: 0
; COMPUTE_PGM_RSRC3_GFX90A:ACCUM_OFFSET: 0
; COMPUTE_PGM_RSRC3_GFX90A:TG_SPLIT: 0
	.section	.text._ZN7rocprim17ROCPRIM_400000_NS6detail17trampoline_kernelINS0_14default_configENS1_20scan_config_selectorIsEEZZNS1_9scan_implILNS1_25lookback_scan_determinismE0ELb1ELb1ES3_N6thrust23THRUST_200600_302600_NS6detail15normal_iteratorINS9_10device_ptrIsEEEESE_sNS9_4plusIvEEsEEDaPvRmT3_T4_T5_mT6_P12ihipStream_tbENKUlT_T0_E_clISt17integral_constantIbLb1EESU_EEDaSP_SQ_EUlSP_E_NS1_11comp_targetILNS1_3genE4ELNS1_11target_archE910ELNS1_3gpuE8ELNS1_3repE0EEENS1_30default_config_static_selectorELNS0_4arch9wavefront6targetE1EEEvT1_,"axG",@progbits,_ZN7rocprim17ROCPRIM_400000_NS6detail17trampoline_kernelINS0_14default_configENS1_20scan_config_selectorIsEEZZNS1_9scan_implILNS1_25lookback_scan_determinismE0ELb1ELb1ES3_N6thrust23THRUST_200600_302600_NS6detail15normal_iteratorINS9_10device_ptrIsEEEESE_sNS9_4plusIvEEsEEDaPvRmT3_T4_T5_mT6_P12ihipStream_tbENKUlT_T0_E_clISt17integral_constantIbLb1EESU_EEDaSP_SQ_EUlSP_E_NS1_11comp_targetILNS1_3genE4ELNS1_11target_archE910ELNS1_3gpuE8ELNS1_3repE0EEENS1_30default_config_static_selectorELNS0_4arch9wavefront6targetE1EEEvT1_,comdat
	.protected	_ZN7rocprim17ROCPRIM_400000_NS6detail17trampoline_kernelINS0_14default_configENS1_20scan_config_selectorIsEEZZNS1_9scan_implILNS1_25lookback_scan_determinismE0ELb1ELb1ES3_N6thrust23THRUST_200600_302600_NS6detail15normal_iteratorINS9_10device_ptrIsEEEESE_sNS9_4plusIvEEsEEDaPvRmT3_T4_T5_mT6_P12ihipStream_tbENKUlT_T0_E_clISt17integral_constantIbLb1EESU_EEDaSP_SQ_EUlSP_E_NS1_11comp_targetILNS1_3genE4ELNS1_11target_archE910ELNS1_3gpuE8ELNS1_3repE0EEENS1_30default_config_static_selectorELNS0_4arch9wavefront6targetE1EEEvT1_ ; -- Begin function _ZN7rocprim17ROCPRIM_400000_NS6detail17trampoline_kernelINS0_14default_configENS1_20scan_config_selectorIsEEZZNS1_9scan_implILNS1_25lookback_scan_determinismE0ELb1ELb1ES3_N6thrust23THRUST_200600_302600_NS6detail15normal_iteratorINS9_10device_ptrIsEEEESE_sNS9_4plusIvEEsEEDaPvRmT3_T4_T5_mT6_P12ihipStream_tbENKUlT_T0_E_clISt17integral_constantIbLb1EESU_EEDaSP_SQ_EUlSP_E_NS1_11comp_targetILNS1_3genE4ELNS1_11target_archE910ELNS1_3gpuE8ELNS1_3repE0EEENS1_30default_config_static_selectorELNS0_4arch9wavefront6targetE1EEEvT1_
	.globl	_ZN7rocprim17ROCPRIM_400000_NS6detail17trampoline_kernelINS0_14default_configENS1_20scan_config_selectorIsEEZZNS1_9scan_implILNS1_25lookback_scan_determinismE0ELb1ELb1ES3_N6thrust23THRUST_200600_302600_NS6detail15normal_iteratorINS9_10device_ptrIsEEEESE_sNS9_4plusIvEEsEEDaPvRmT3_T4_T5_mT6_P12ihipStream_tbENKUlT_T0_E_clISt17integral_constantIbLb1EESU_EEDaSP_SQ_EUlSP_E_NS1_11comp_targetILNS1_3genE4ELNS1_11target_archE910ELNS1_3gpuE8ELNS1_3repE0EEENS1_30default_config_static_selectorELNS0_4arch9wavefront6targetE1EEEvT1_
	.p2align	8
	.type	_ZN7rocprim17ROCPRIM_400000_NS6detail17trampoline_kernelINS0_14default_configENS1_20scan_config_selectorIsEEZZNS1_9scan_implILNS1_25lookback_scan_determinismE0ELb1ELb1ES3_N6thrust23THRUST_200600_302600_NS6detail15normal_iteratorINS9_10device_ptrIsEEEESE_sNS9_4plusIvEEsEEDaPvRmT3_T4_T5_mT6_P12ihipStream_tbENKUlT_T0_E_clISt17integral_constantIbLb1EESU_EEDaSP_SQ_EUlSP_E_NS1_11comp_targetILNS1_3genE4ELNS1_11target_archE910ELNS1_3gpuE8ELNS1_3repE0EEENS1_30default_config_static_selectorELNS0_4arch9wavefront6targetE1EEEvT1_,@function
_ZN7rocprim17ROCPRIM_400000_NS6detail17trampoline_kernelINS0_14default_configENS1_20scan_config_selectorIsEEZZNS1_9scan_implILNS1_25lookback_scan_determinismE0ELb1ELb1ES3_N6thrust23THRUST_200600_302600_NS6detail15normal_iteratorINS9_10device_ptrIsEEEESE_sNS9_4plusIvEEsEEDaPvRmT3_T4_T5_mT6_P12ihipStream_tbENKUlT_T0_E_clISt17integral_constantIbLb1EESU_EEDaSP_SQ_EUlSP_E_NS1_11comp_targetILNS1_3genE4ELNS1_11target_archE910ELNS1_3gpuE8ELNS1_3repE0EEENS1_30default_config_static_selectorELNS0_4arch9wavefront6targetE1EEEvT1_: ; @_ZN7rocprim17ROCPRIM_400000_NS6detail17trampoline_kernelINS0_14default_configENS1_20scan_config_selectorIsEEZZNS1_9scan_implILNS1_25lookback_scan_determinismE0ELb1ELb1ES3_N6thrust23THRUST_200600_302600_NS6detail15normal_iteratorINS9_10device_ptrIsEEEESE_sNS9_4plusIvEEsEEDaPvRmT3_T4_T5_mT6_P12ihipStream_tbENKUlT_T0_E_clISt17integral_constantIbLb1EESU_EEDaSP_SQ_EUlSP_E_NS1_11comp_targetILNS1_3genE4ELNS1_11target_archE910ELNS1_3gpuE8ELNS1_3repE0EEENS1_30default_config_static_selectorELNS0_4arch9wavefront6targetE1EEEvT1_
; %bb.0:
	s_load_dword s30, s[4:5], 0x20
	s_load_dwordx2 s[24:25], s[4:5], 0x28
	v_cmp_eq_u32_e64 s[0:1], 0, v0
	s_and_saveexec_b64 s[2:3], s[0:1]
	s_cbranch_execz .LBB999_4
; %bb.1:
	s_mov_b64 s[8:9], exec
	v_mbcnt_lo_u32_b32 v1, s8, 0
	v_mbcnt_hi_u32_b32 v1, s9, v1
	v_cmp_eq_u32_e32 vcc, 0, v1
                                        ; implicit-def: $vgpr2
	s_and_saveexec_b64 s[6:7], vcc
	s_cbranch_execz .LBB999_3
; %bb.2:
	s_load_dwordx2 s[10:11], s[4:5], 0x58
	s_bcnt1_i32_b64 s8, s[8:9]
	v_mov_b32_e32 v2, 0
	v_mov_b32_e32 v3, s8
	s_waitcnt lgkmcnt(0)
	global_atomic_add v2, v2, v3, s[10:11] glc
.LBB999_3:
	s_or_b64 exec, exec, s[6:7]
	s_waitcnt vmcnt(0)
	v_readfirstlane_b32 s6, v2
	v_add_u32_e32 v1, s6, v1
	v_mov_b32_e32 v2, 0
	ds_write_b32 v2, v1
.LBB999_4:
	s_or_b64 exec, exec, s[2:3]
	s_load_dwordx8 s[16:23], s[4:5], 0x0
	s_load_dword s2, s[4:5], 0x30
	s_load_dwordx8 s[8:15], s[4:5], 0x38
	v_mov_b32_e32 v1, 0
	s_waitcnt lgkmcnt(0)
	; wave barrier
	s_waitcnt lgkmcnt(0)
	ds_read_b32 v1, v1
	s_lshl_b64 s[26:27], s[18:19], 1
	s_add_u32 s31, s16, s26
	s_addc_u32 s33, s17, s27
	s_add_i32 s2, s2, -1
	s_mul_i32 s3, s2, 0x600
	s_sub_u32 s28, s22, s3
	s_waitcnt lgkmcnt(0)
	v_readfirstlane_b32 s34, v1
	s_subb_u32 s29, s23, 0
	s_mul_i32 s4, s34, 0x600
	s_mov_b32 s5, 0
	s_cmp_lg_u32 s34, s2
	s_cselect_b64 s[16:17], -1, 0
	s_lshl_b64 s[18:19], s[4:5], 1
	s_add_u32 s4, s31, s18
	s_addc_u32 s5, s33, s19
	s_mov_b64 s[2:3], -1
	s_and_b64 vcc, exec, s[16:17]
	v_lshlrev_b32_e32 v20, 1, v0
	s_waitcnt lgkmcnt(0)
	; wave barrier
	s_cbranch_vccz .LBB999_6
; %bb.5:
	v_mov_b32_e32 v1, s5
	v_add_co_u32_e32 v2, vcc, s4, v20
	v_addc_co_u32_e32 v3, vcc, 0, v1, vcc
	flat_load_ushort v1, v[2:3]
	flat_load_ushort v4, v[2:3] offset:128
	flat_load_ushort v5, v[2:3] offset:256
	;; [unrolled: 1-line block ×23, first 2 shown]
	s_mov_b64 s[2:3], 0
	s_waitcnt vmcnt(0) lgkmcnt(0)
	ds_write_b16 v20, v1
	ds_write_b16 v20, v4 offset:128
	ds_write_b16 v20, v5 offset:256
	;; [unrolled: 1-line block ×23, first 2 shown]
	s_waitcnt lgkmcnt(0)
	; wave barrier
.LBB999_6:
	s_andn2_b64 vcc, exec, s[2:3]
	v_cmp_gt_u32_e64 s[2:3], s28, v0
	s_cbranch_vccnz .LBB999_56
; %bb.7:
	v_pk_mov_b32 v[2:3], s[4:5], s[4:5] op_sel:[0,1]
	flat_load_ushort v1, v[2:3]
	s_waitcnt vmcnt(0) lgkmcnt(0)
	v_mov_b32_e32 v2, v1
	s_and_saveexec_b64 s[6:7], s[2:3]
	s_cbranch_execz .LBB999_9
; %bb.8:
	v_mov_b32_e32 v3, s5
	v_add_co_u32_e32 v2, vcc, s4, v20
	v_addc_co_u32_e32 v3, vcc, 0, v3, vcc
	flat_load_ushort v2, v[2:3]
.LBB999_9:
	s_or_b64 exec, exec, s[6:7]
	v_or_b32_e32 v3, 64, v0
	v_cmp_gt_u32_e32 vcc, s28, v3
	v_mov_b32_e32 v3, v1
	s_and_saveexec_b64 s[2:3], vcc
	s_cbranch_execz .LBB999_11
; %bb.10:
	v_mov_b32_e32 v3, s5
	v_add_co_u32_e32 v4, vcc, s4, v20
	v_addc_co_u32_e32 v5, vcc, 0, v3, vcc
	flat_load_ushort v3, v[4:5] offset:128
.LBB999_11:
	s_or_b64 exec, exec, s[2:3]
	v_or_b32_e32 v4, 0x80, v0
	v_cmp_gt_u32_e32 vcc, s28, v4
	v_mov_b32_e32 v4, v1
	s_and_saveexec_b64 s[2:3], vcc
	s_cbranch_execz .LBB999_13
; %bb.12:
	v_mov_b32_e32 v5, s5
	v_add_co_u32_e32 v4, vcc, s4, v20
	v_addc_co_u32_e32 v5, vcc, 0, v5, vcc
	flat_load_ushort v4, v[4:5] offset:256
.LBB999_13:
	;; [unrolled: 12-line block ×22, first 2 shown]
	s_or_b64 exec, exec, s[2:3]
	v_or_b32_e32 v26, 0x5c0, v0
	v_cmp_gt_u32_e32 vcc, s28, v26
	s_and_saveexec_b64 s[2:3], vcc
	s_cbranch_execz .LBB999_55
; %bb.54:
	v_mov_b32_e32 v1, s5
	v_add_co_u32_e32 v26, vcc, s4, v20
	v_addc_co_u32_e32 v27, vcc, 0, v1, vcc
	flat_load_ushort v1, v[26:27] offset:2944
.LBB999_55:
	s_or_b64 exec, exec, s[2:3]
	s_waitcnt vmcnt(0) lgkmcnt(0)
	ds_write_b16 v20, v2
	ds_write_b16 v20, v3 offset:128
	ds_write_b16 v20, v4 offset:256
	;; [unrolled: 1-line block ×23, first 2 shown]
	s_waitcnt lgkmcnt(0)
	; wave barrier
.LBB999_56:
	v_mul_u32_u24_e32 v21, 24, v0
	v_lshlrev_b32_e32 v1, 1, v21
	s_waitcnt lgkmcnt(0)
	ds_read_b128 v[10:13], v1
	ds_read_b128 v[6:9], v1 offset:16
	ds_read_b128 v[2:5], v1 offset:32
	s_cmp_lg_u32 s34, 0
	v_mbcnt_lo_u32_b32 v22, -1, 0
	s_waitcnt lgkmcnt(2)
	v_add_u16_sdwa v14, v10, v10 dst_sel:DWORD dst_unused:UNUSED_PAD src0_sel:WORD_1 src1_sel:DWORD
	v_add_u16_e32 v23, v14, v11
	v_cmp_eq_u32_e32 vcc, 63, v0
	s_waitcnt lgkmcnt(0)
	; wave barrier
	s_waitcnt lgkmcnt(0)
	s_cbranch_scc0 .LBB999_83
; %bb.57:
	v_add_u16_sdwa v14, v23, v11 dst_sel:DWORD dst_unused:UNUSED_PAD src0_sel:DWORD src1_sel:WORD_1
	v_add_u16_e32 v14, v14, v12
	v_add_u16_sdwa v14, v14, v12 dst_sel:DWORD dst_unused:UNUSED_PAD src0_sel:DWORD src1_sel:WORD_1
	v_add_u16_e32 v14, v14, v13
	;; [unrolled: 2-line block ×10, first 2 shown]
	v_mbcnt_hi_u32_b32 v15, -1, v22
	v_add_u16_sdwa v14, v14, v5 dst_sel:DWORD dst_unused:UNUSED_PAD src0_sel:DWORD src1_sel:WORD_1
	v_and_b32_e32 v16, 15, v15
	v_cmp_ne_u32_e64 s[2:3], 0, v16
	v_mov_b32_dpp v17, v14 row_shr:1 row_mask:0xf bank_mask:0xf
	v_cndmask_b32_e64 v17, 0, v17, s[2:3]
	v_add_u16_e32 v14, v17, v14
	v_cmp_lt_u32_e64 s[2:3], 1, v16
	s_nop 0
	v_mov_b32_dpp v17, v14 row_shr:2 row_mask:0xf bank_mask:0xf
	v_cndmask_b32_e64 v17, 0, v17, s[2:3]
	v_add_u16_e32 v14, v14, v17
	v_cmp_lt_u32_e64 s[2:3], 3, v16
	s_nop 0
	;; [unrolled: 5-line block ×3, first 2 shown]
	v_mov_b32_dpp v17, v14 row_shr:8 row_mask:0xf bank_mask:0xf
	v_cndmask_b32_e64 v16, 0, v17, s[2:3]
	v_add_u16_e32 v14, v14, v16
	v_and_b32_e32 v17, 16, v15
	v_cmp_ne_u32_e64 s[2:3], 0, v17
	v_mov_b32_dpp v16, v14 row_bcast:15 row_mask:0xf bank_mask:0xf
	v_cndmask_b32_e64 v16, 0, v16, s[2:3]
	v_add_u16_e32 v14, v14, v16
	v_cmp_lt_u32_e64 s[2:3], 31, v15
	s_nop 0
	v_mov_b32_dpp v16, v14 row_bcast:31 row_mask:0xf bank_mask:0xf
	v_cndmask_b32_e64 v16, 0, v16, s[2:3]
	v_add_u16_e32 v14, v14, v16
	s_and_saveexec_b64 s[2:3], vcc
	s_cbranch_execz .LBB999_59
; %bb.58:
	v_mov_b32_e32 v16, 0
	ds_write_b16 v16, v14
.LBB999_59:
	s_or_b64 exec, exec, s[2:3]
	v_add_u32_e32 v16, -1, v15
	v_and_b32_e32 v17, 64, v15
	v_cmp_lt_i32_e32 vcc, v16, v17
	v_cndmask_b32_e32 v16, v16, v15, vcc
	v_lshlrev_b32_e32 v16, 2, v16
	ds_bpermute_b32 v24, v16, v14
	v_cmp_gt_u32_e32 vcc, 64, v0
	s_waitcnt lgkmcnt(0)
	; wave barrier
	s_waitcnt lgkmcnt(0)
	s_and_saveexec_b64 s[22:23], vcc
	s_cbranch_execz .LBB999_82
; %bb.60:
	v_mov_b32_e32 v19, 0
	ds_read_u16 v25, v19
	s_mov_b32 s7, 0
	v_cmp_eq_u32_e64 s[2:3], 0, v15
	s_and_saveexec_b64 s[4:5], s[2:3]
	s_cbranch_execz .LBB999_62
; %bb.61:
	s_add_i32 s6, s34, 64
	s_lshl_b64 s[6:7], s[6:7], 2
	s_add_u32 s6, s24, s6
	s_waitcnt lgkmcnt(0)
	v_or_b32_e32 v14, 0x10000, v25
	s_addc_u32 s7, s25, s7
	global_store_dword v19, v14, s[6:7]
.LBB999_62:
	s_or_b64 exec, exec, s[4:5]
	v_xad_u32 v14, v15, -1, s34
	v_add_u32_e32 v18, 64, v14
	v_lshlrev_b64 v[16:17], 2, v[18:19]
	v_mov_b32_e32 v18, s25
	v_add_co_u32_e32 v16, vcc, s24, v16
	v_addc_co_u32_e32 v17, vcc, v18, v17, vcc
	global_load_dword v18, v[16:17], off glc
	s_waitcnt vmcnt(0)
	v_lshrrev_b32_e32 v29, 16, v18
	v_cmp_eq_u16_sdwa s[6:7], v29, v19 src0_sel:BYTE_0 src1_sel:DWORD
	s_and_saveexec_b64 s[4:5], s[6:7]
	s_cbranch_execz .LBB999_68
; %bb.63:
	s_mov_b32 s35, 1
	s_mov_b64 s[6:7], 0
	v_mov_b32_e32 v19, 0
.LBB999_64:                             ; =>This Loop Header: Depth=1
                                        ;     Child Loop BB999_65 Depth 2
	s_max_u32 s36, s35, 1
.LBB999_65:                             ;   Parent Loop BB999_64 Depth=1
                                        ; =>  This Inner Loop Header: Depth=2
	s_add_i32 s36, s36, -1
	s_cmp_eq_u32 s36, 0
	s_sleep 1
	s_cbranch_scc0 .LBB999_65
; %bb.66:                               ;   in Loop: Header=BB999_64 Depth=1
	global_load_dword v18, v[16:17], off glc
	s_cmp_lt_u32 s35, 32
	s_cselect_b64 s[36:37], -1, 0
	s_cmp_lg_u64 s[36:37], 0
	s_addc_u32 s35, s35, 0
	s_waitcnt vmcnt(0)
	v_lshrrev_b32_e32 v29, 16, v18
	v_cmp_ne_u16_sdwa s[36:37], v29, v19 src0_sel:BYTE_0 src1_sel:DWORD
	s_or_b64 s[6:7], s[36:37], s[6:7]
	s_andn2_b64 exec, exec, s[6:7]
	s_cbranch_execnz .LBB999_64
; %bb.67:
	s_or_b64 exec, exec, s[6:7]
.LBB999_68:
	s_or_b64 exec, exec, s[4:5]
	v_and_b32_e32 v27, 63, v15
	v_cmp_ne_u32_e32 vcc, 63, v27
	v_mov_b32_e32 v26, 2
	v_addc_co_u32_e32 v28, vcc, 0, v15, vcc
	v_cmp_eq_u16_sdwa s[4:5], v29, v26 src0_sel:BYTE_0 src1_sel:DWORD
	v_lshlrev_b64 v[16:17], v15, -1
	v_and_b32_e32 v31, 0xffff, v18
	v_lshlrev_b32_e32 v28, 2, v28
	v_and_b32_e32 v19, s5, v17
	ds_bpermute_b32 v32, v28, v31
	v_or_b32_e32 v19, 0x80000000, v19
	v_and_b32_e32 v30, s4, v16
	v_ffbl_b32_e32 v19, v19
	v_add_u32_e32 v19, 32, v19
	v_ffbl_b32_e32 v30, v30
	v_cmp_gt_u32_e64 s[4:5], 62, v27
	v_min_u32_e32 v19, v30, v19
	v_cndmask_b32_e64 v30, 0, 1, s[4:5]
	s_waitcnt lgkmcnt(0)
	v_add_u16_e32 v32, v32, v18
	v_cmp_lt_u32_e32 vcc, v27, v19
	v_lshlrev_b32_e32 v30, 1, v30
	v_cndmask_b32_e32 v33, v31, v32, vcc
	v_add_lshl_u32 v30, v30, v15, 2
	ds_bpermute_b32 v34, v30, v33
	v_cmp_gt_u32_e64 s[6:7], 60, v27
	v_cndmask_b32_e32 v35, v18, v32, vcc
	v_add_u32_e32 v31, 2, v27
	v_cndmask_b32_e64 v32, 0, 1, s[6:7]
	s_waitcnt lgkmcnt(0)
	v_add_u16_e32 v34, v35, v34
	v_cmp_gt_u32_e64 s[4:5], v31, v19
	v_lshlrev_b32_e32 v32, 2, v32
	v_cndmask_b32_e64 v36, v34, v33, s[4:5]
	v_add_lshl_u32 v32, v32, v15, 2
	ds_bpermute_b32 v37, v32, v36
	v_cmp_gt_u32_e64 s[6:7], 56, v27
	v_cndmask_b32_e64 v35, v34, v35, s[4:5]
	v_add_u32_e32 v33, 4, v27
	v_cndmask_b32_e64 v34, 0, 1, s[6:7]
	s_waitcnt lgkmcnt(0)
	v_add_u16_e32 v37, v35, v37
	v_cmp_gt_u32_e64 s[4:5], v33, v19
	v_lshlrev_b32_e32 v34, 3, v34
	v_cndmask_b32_e64 v36, v37, v36, s[4:5]
	v_add_lshl_u32 v34, v34, v15, 2
	ds_bpermute_b32 v38, v34, v36
	v_cndmask_b32_e64 v37, v37, v35, s[4:5]
	v_add_u32_e32 v35, 8, v27
	v_cmp_gt_u32_e64 s[4:5], v35, v19
	v_cmp_gt_u32_e64 s[6:7], 48, v27
	s_waitcnt lgkmcnt(0)
	v_add_u16_e32 v38, v37, v38
	v_cndmask_b32_e64 v39, v38, v36, s[4:5]
	v_cndmask_b32_e64 v36, 0, 1, s[6:7]
	v_lshlrev_b32_e32 v36, 4, v36
	v_add_lshl_u32 v36, v36, v15, 2
	ds_bpermute_b32 v40, v36, v39
	v_cndmask_b32_e64 v38, v38, v37, s[4:5]
	v_add_u32_e32 v37, 16, v27
	v_cmp_gt_u32_e64 s[4:5], v37, v19
	v_cmp_gt_u32_e64 s[6:7], 32, v27
	s_waitcnt lgkmcnt(0)
	v_add_u16_e32 v41, v38, v40
	v_cndmask_b32_e64 v40, v41, v39, s[4:5]
	v_cndmask_b32_e64 v39, 0, 1, s[6:7]
	v_lshlrev_b32_e32 v39, 5, v39
	v_add_lshl_u32 v39, v39, v15, 2
	ds_bpermute_b32 v15, v39, v40
	v_add_u32_e32 v40, 32, v27
	v_cndmask_b32_e64 v38, v41, v38, s[4:5]
	v_cmp_le_u32_e64 s[4:5], v40, v19
	s_waitcnt lgkmcnt(0)
	v_cndmask_b32_e64 v15, 0, v15, s[4:5]
	v_add_u16_e32 v15, v38, v15
	v_cndmask_b32_e32 v18, v18, v15, vcc
	v_mov_b32_e32 v15, 0
	s_branch .LBB999_70
.LBB999_69:                             ;   in Loop: Header=BB999_70 Depth=1
	s_or_b64 exec, exec, s[4:5]
	v_cmp_eq_u16_sdwa s[4:5], v29, v26 src0_sel:BYTE_0 src1_sel:DWORD
	v_and_b32_e32 v42, 0xffff, v41
	v_and_b32_e32 v18, s5, v17
	ds_bpermute_b32 v43, v28, v42
	v_or_b32_e32 v18, 0x80000000, v18
	v_and_b32_e32 v19, s4, v16
	v_ffbl_b32_e32 v18, v18
	v_add_u32_e32 v18, 32, v18
	v_ffbl_b32_e32 v19, v19
	v_min_u32_e32 v18, v19, v18
	s_waitcnt lgkmcnt(0)
	v_add_u16_e32 v19, v43, v41
	v_cmp_lt_u32_e32 vcc, v27, v18
	v_cndmask_b32_e32 v42, v42, v19, vcc
	ds_bpermute_b32 v43, v30, v42
	v_cndmask_b32_e32 v19, v41, v19, vcc
	v_cmp_gt_u32_e64 s[4:5], v31, v18
	v_subrev_u32_e32 v14, 64, v14
	s_waitcnt lgkmcnt(0)
	v_add_u16_e32 v43, v19, v43
	v_cndmask_b32_e64 v42, v43, v42, s[4:5]
	ds_bpermute_b32 v44, v32, v42
	v_cndmask_b32_e64 v19, v43, v19, s[4:5]
	v_cmp_gt_u32_e64 s[4:5], v33, v18
	s_waitcnt lgkmcnt(0)
	v_add_u16_e32 v43, v19, v44
	v_cndmask_b32_e64 v42, v43, v42, s[4:5]
	ds_bpermute_b32 v44, v34, v42
	v_cndmask_b32_e64 v19, v43, v19, s[4:5]
	v_cmp_gt_u32_e64 s[4:5], v35, v18
	;; [unrolled: 6-line block ×3, first 2 shown]
	s_waitcnt lgkmcnt(0)
	v_add_u16_e32 v43, v19, v44
	v_cndmask_b32_e64 v42, v43, v42, s[4:5]
	ds_bpermute_b32 v42, v39, v42
	v_cndmask_b32_e64 v19, v43, v19, s[4:5]
	v_cmp_le_u32_e64 s[4:5], v40, v18
	s_waitcnt lgkmcnt(0)
	v_cndmask_b32_e64 v18, 0, v42, s[4:5]
	v_add_u16_e32 v18, v19, v18
	v_cndmask_b32_e32 v18, v41, v18, vcc
	v_add_u16_e32 v18, v18, v38
.LBB999_70:                             ; =>This Loop Header: Depth=1
                                        ;     Child Loop BB999_73 Depth 2
                                        ;       Child Loop BB999_74 Depth 3
	v_cmp_ne_u16_sdwa s[4:5], v29, v26 src0_sel:BYTE_0 src1_sel:DWORD
	v_cndmask_b32_e64 v19, 0, 1, s[4:5]
	;;#ASMSTART
	;;#ASMEND
	v_cmp_ne_u32_e32 vcc, 0, v19
	s_cmp_lg_u64 vcc, exec
	v_mov_b32_e32 v38, v18
	s_cbranch_scc1 .LBB999_77
; %bb.71:                               ;   in Loop: Header=BB999_70 Depth=1
	v_lshlrev_b64 v[18:19], 2, v[14:15]
	v_mov_b32_e32 v29, s25
	v_add_co_u32_e32 v18, vcc, s24, v18
	v_addc_co_u32_e32 v19, vcc, v29, v19, vcc
	global_load_dword v41, v[18:19], off glc
	s_waitcnt vmcnt(0)
	v_lshrrev_b32_e32 v29, 16, v41
	v_cmp_eq_u16_sdwa s[6:7], v29, v15 src0_sel:BYTE_0 src1_sel:DWORD
	s_and_saveexec_b64 s[4:5], s[6:7]
	s_cbranch_execz .LBB999_69
; %bb.72:                               ;   in Loop: Header=BB999_70 Depth=1
	s_mov_b32 s35, 1
	s_mov_b64 s[6:7], 0
.LBB999_73:                             ;   Parent Loop BB999_70 Depth=1
                                        ; =>  This Loop Header: Depth=2
                                        ;       Child Loop BB999_74 Depth 3
	s_max_u32 s36, s35, 1
.LBB999_74:                             ;   Parent Loop BB999_70 Depth=1
                                        ;     Parent Loop BB999_73 Depth=2
                                        ; =>    This Inner Loop Header: Depth=3
	s_add_i32 s36, s36, -1
	s_cmp_eq_u32 s36, 0
	s_sleep 1
	s_cbranch_scc0 .LBB999_74
; %bb.75:                               ;   in Loop: Header=BB999_73 Depth=2
	global_load_dword v41, v[18:19], off glc
	s_cmp_lt_u32 s35, 32
	s_cselect_b64 s[36:37], -1, 0
	s_cmp_lg_u64 s[36:37], 0
	s_addc_u32 s35, s35, 0
	s_waitcnt vmcnt(0)
	v_lshrrev_b32_e32 v29, 16, v41
	v_cmp_ne_u16_sdwa s[36:37], v29, v15 src0_sel:BYTE_0 src1_sel:DWORD
	s_or_b64 s[6:7], s[36:37], s[6:7]
	s_andn2_b64 exec, exec, s[6:7]
	s_cbranch_execnz .LBB999_73
; %bb.76:                               ;   in Loop: Header=BB999_70 Depth=1
	s_or_b64 exec, exec, s[6:7]
	s_branch .LBB999_69
.LBB999_77:                             ;   in Loop: Header=BB999_70 Depth=1
                                        ; implicit-def: $vgpr18
                                        ; implicit-def: $vgpr29
	s_cbranch_execz .LBB999_70
; %bb.78:
	s_and_saveexec_b64 s[4:5], s[2:3]
	s_cbranch_execz .LBB999_80
; %bb.79:
	s_add_i32 s2, s34, 64
	s_mov_b32 s3, 0
	s_lshl_b64 s[2:3], s[2:3], 2
	v_add_u16_e32 v14, v38, v25
	s_add_u32 s2, s24, s2
	v_or_b32_e32 v14, 0x20000, v14
	s_addc_u32 s3, s25, s3
	v_mov_b32_e32 v15, 0
	global_store_dword v15, v14, s[2:3]
.LBB999_80:
	s_or_b64 exec, exec, s[4:5]
	s_and_b64 exec, exec, s[0:1]
	s_cbranch_execz .LBB999_82
; %bb.81:
	v_mov_b32_e32 v14, 0
	ds_write_b16 v14, v38
.LBB999_82:
	s_or_b64 exec, exec, s[22:23]
	v_mov_b32_e32 v14, 0
	s_waitcnt lgkmcnt(0)
	; wave barrier
	s_waitcnt lgkmcnt(0)
	ds_read_u16 v14, v14
	v_cndmask_b32_e64 v15, v24, 0, s[0:1]
	s_waitcnt lgkmcnt(0)
	v_add_u16_e32 v14, v14, v15
	s_branch .LBB999_91
.LBB999_83:
                                        ; implicit-def: $vgpr14
	s_cbranch_execz .LBB999_91
; %bb.84:
	s_cmp_eq_u64 s[12:13], 0
	v_mov_b32_e32 v15, s30
	s_cbranch_scc1 .LBB999_86
; %bb.85:
	v_mov_b32_e32 v15, s33
	v_add_co_u32_e64 v14, vcc, -2, s31
	v_addc_co_u32_e32 v15, vcc, -1, v15, vcc
	v_mov_b32_e32 v16, 0
	flat_load_ushort v17, v[14:15]
	global_load_ushort v18, v16, s[8:9]
	s_waitcnt vmcnt(0) lgkmcnt(0)
	v_add_u16_e32 v15, v18, v17
.LBB999_86:
	v_add_u16_sdwa v14, v23, v11 dst_sel:DWORD dst_unused:UNUSED_PAD src0_sel:DWORD src1_sel:WORD_1
	v_add_u16_e32 v14, v14, v12
	v_add_u16_sdwa v14, v14, v12 dst_sel:DWORD dst_unused:UNUSED_PAD src0_sel:DWORD src1_sel:WORD_1
	v_add_u16_e32 v14, v14, v13
	;; [unrolled: 2-line block ×10, first 2 shown]
	v_add_u16_sdwa v16, v14, v5 dst_sel:DWORD dst_unused:UNUSED_PAD src0_sel:DWORD src1_sel:WORD_1
	v_mbcnt_hi_u32_b32 v14, -1, v22
	v_and_b32_e32 v17, 15, v14
	v_mov_b32_dpp v18, v16 row_shr:1 row_mask:0xf bank_mask:0xf
	v_cmp_ne_u32_e32 vcc, 0, v17
	v_cndmask_b32_e32 v18, 0, v18, vcc
	v_add_u16_e32 v16, v18, v16
	v_cmp_lt_u32_e32 vcc, 1, v17
	s_nop 0
	v_mov_b32_dpp v18, v16 row_shr:2 row_mask:0xf bank_mask:0xf
	v_cndmask_b32_e32 v18, 0, v18, vcc
	v_add_u16_e32 v16, v16, v18
	v_cmp_lt_u32_e32 vcc, 3, v17
	s_nop 0
	v_mov_b32_dpp v18, v16 row_shr:4 row_mask:0xf bank_mask:0xf
	;; [unrolled: 5-line block ×3, first 2 shown]
	v_cndmask_b32_e32 v17, 0, v18, vcc
	v_add_u16_e32 v16, v16, v17
	v_and_b32_e32 v18, 16, v14
	v_cmp_ne_u32_e32 vcc, 0, v18
	v_mov_b32_dpp v17, v16 row_bcast:15 row_mask:0xf bank_mask:0xf
	v_cndmask_b32_e32 v17, 0, v17, vcc
	v_add_u16_e32 v16, v16, v17
	v_cmp_lt_u32_e32 vcc, 31, v14
	s_nop 0
	v_mov_b32_dpp v17, v16 row_bcast:31 row_mask:0xf bank_mask:0xf
	v_cndmask_b32_e32 v17, 0, v17, vcc
	v_add_u16_e32 v16, v16, v17
	v_cmp_eq_u32_e32 vcc, 63, v0
	s_and_saveexec_b64 s[2:3], vcc
	s_cbranch_execz .LBB999_88
; %bb.87:
	v_mov_b32_e32 v17, 0
	ds_write_b16 v17, v16
.LBB999_88:
	s_or_b64 exec, exec, s[2:3]
	v_add_u32_e32 v17, -1, v14
	v_and_b32_e32 v18, 64, v14
	v_cmp_lt_i32_e32 vcc, v17, v18
	v_cndmask_b32_e32 v17, v17, v14, vcc
	v_add_u16_e32 v16, v16, v15
	v_lshlrev_b32_e32 v17, 2, v17
	ds_bpermute_b32 v16, v17, v16
	v_cmp_eq_u32_e32 vcc, 0, v14
	s_or_b64 vcc, s[0:1], vcc
	s_waitcnt lgkmcnt(0)
	; wave barrier
	s_waitcnt lgkmcnt(0)
	v_cndmask_b32_e32 v14, v16, v15, vcc
	s_and_saveexec_b64 s[2:3], s[0:1]
	s_cbranch_execz .LBB999_90
; %bb.89:
	v_mov_b32_e32 v14, 0
	ds_read_u16 v16, v14
	s_waitcnt lgkmcnt(0)
	v_add_u16_e32 v16, v16, v15
	v_or_b32_e32 v16, 0x20000, v16
	global_store_dword v14, v16, s[24:25] offset:256
	v_mov_b32_e32 v14, v15
.LBB999_90:
	s_or_b64 exec, exec, s[2:3]
.LBB999_91:
	v_add_u16_e32 v15, v14, v10
	v_add_u16_sdwa v16, v15, v10 dst_sel:DWORD dst_unused:UNUSED_PAD src0_sel:DWORD src1_sel:WORD_1
	v_add_u16_e32 v17, v16, v11
	v_add_u16_sdwa v19, v17, v11 dst_sel:DWORD dst_unused:UNUSED_PAD src0_sel:DWORD src1_sel:WORD_1
	;; [unrolled: 2-line block ×9, first 2 shown]
	v_add_u16_e32 v8, v2, v3
	s_add_u32 s0, s20, s26
	v_add_u16_sdwa v3, v8, v3 dst_sel:DWORD dst_unused:UNUSED_PAD src0_sel:DWORD src1_sel:WORD_1
	s_addc_u32 s1, s21, s27
	v_add_u16_e32 v9, v3, v4
	v_add_u16_sdwa v4, v9, v4 dst_sel:DWORD dst_unused:UNUSED_PAD src0_sel:DWORD src1_sel:WORD_1
	s_add_u32 s2, s0, s18
	v_add_u16_e32 v5, v4, v5
	s_addc_u32 s3, s1, s19
	s_mov_b64 s[0:1], -1
	s_and_b64 vcc, exec, s[16:17]
	s_waitcnt lgkmcnt(0)
	; wave barrier
	s_cbranch_vccz .LBB999_93
; %bb.92:
	s_mov_b32 s0, 0x5040100
	v_perm_b32 v31, v27, v25, s0
	v_perm_b32 v30, v23, v19, s0
	;; [unrolled: 1-line block ×4, first 2 shown]
	ds_write_b128 v1, v[28:31]
	v_perm_b32 v31, v26, v24, s0
	v_perm_b32 v30, v22, v18, s0
	;; [unrolled: 1-line block ×4, first 2 shown]
	ds_write_b128 v1, v[28:31] offset:16
	v_perm_b32 v31, v5, v4, s0
	v_perm_b32 v30, v9, v3, s0
	;; [unrolled: 1-line block ×4, first 2 shown]
	ds_write_b128 v1, v[28:31] offset:32
	s_waitcnt lgkmcnt(0)
	; wave barrier
	s_waitcnt lgkmcnt(0)
	ds_read_u16 v30, v20
	ds_read_u16 v31, v20 offset:128
	ds_read_u16 v32, v20 offset:256
	;; [unrolled: 1-line block ×23, first 2 shown]
	v_mov_b32_e32 v29, s3
	v_add_co_u32_e32 v28, vcc, s2, v20
	v_addc_co_u32_e32 v29, vcc, 0, v29, vcc
	s_waitcnt lgkmcnt(14)
	flat_store_short v[28:29], v30
	flat_store_short v[28:29], v31 offset:128
	flat_store_short v[28:29], v32 offset:256
	;; [unrolled: 1-line block ×9, first 2 shown]
	s_waitcnt lgkmcnt(0)
	flat_store_short v[28:29], v40 offset:1280
	flat_store_short v[28:29], v41 offset:1408
	;; [unrolled: 1-line block ×14, first 2 shown]
	s_mov_b64 s[0:1], 0
.LBB999_93:
	s_andn2_b64 vcc, exec, s[0:1]
	s_cbranch_vccnz .LBB999_150
; %bb.94:
	s_mov_b32 s0, 0x5040100
	v_perm_b32 v31, v27, v25, s0
	v_perm_b32 v30, v23, v19, s0
	v_perm_b32 v29, v17, v16, s0
	v_perm_b32 v28, v15, v14, s0
	v_perm_b32 v15, v26, v24, s0
	v_perm_b32 v14, v22, v18, s0
	v_perm_b32 v13, v13, v12, s0
	v_perm_b32 v12, v11, v10, s0
	v_perm_b32 v5, v5, v4, s0
	v_perm_b32 v4, v9, v3, s0
	v_perm_b32 v3, v8, v2, s0
	v_perm_b32 v2, v7, v6, s0
	ds_write_b128 v1, v[28:31]
	ds_write_b128 v1, v[12:15] offset:16
	ds_write_b128 v1, v[2:5] offset:32
	s_waitcnt lgkmcnt(0)
	; wave barrier
	s_waitcnt lgkmcnt(0)
	ds_read_u16 v5, v20
	ds_read_u16 v4, v20 offset:128
	ds_read_u16 v7, v20 offset:256
	;; [unrolled: 1-line block ×23, first 2 shown]
	v_mov_b32_e32 v3, s3
	v_add_co_u32_e32 v2, vcc, s2, v20
	v_addc_co_u32_e32 v3, vcc, 0, v3, vcc
	v_mov_b32_e32 v1, 0
	v_cmp_gt_u32_e32 vcc, s28, v0
	s_and_saveexec_b64 s[0:1], vcc
	s_cbranch_execz .LBB999_96
; %bb.95:
	s_waitcnt lgkmcnt(0)
	flat_store_short v[2:3], v5
.LBB999_96:
	s_or_b64 exec, exec, s[0:1]
	v_or_b32_e32 v20, 64, v0
	v_cmp_gt_u32_e32 vcc, s28, v20
	s_and_saveexec_b64 s[0:1], vcc
	s_cbranch_execz .LBB999_98
; %bb.97:
	s_waitcnt lgkmcnt(0)
	flat_store_short v[2:3], v4 offset:128
.LBB999_98:
	s_or_b64 exec, exec, s[0:1]
	v_or_b32_e32 v20, 0x80, v0
	v_cmp_gt_u32_e32 vcc, s28, v20
	s_and_saveexec_b64 s[0:1], vcc
	s_cbranch_execz .LBB999_100
; %bb.99:
	s_waitcnt lgkmcnt(0)
	flat_store_short v[2:3], v7 offset:256
.LBB999_100:
	;; [unrolled: 9-line block ×23, first 2 shown]
	s_or_b64 exec, exec, s[0:1]
	v_cmp_lt_u64_e64 s[0:1], s[14:15], 2
	s_and_b64 vcc, exec, s[0:1]
	s_cbranch_vccnz .LBB999_150
; %bb.143:
	s_add_u32 s0, s28, -1
	s_addc_u32 s1, s29, -1
	s_add_u32 s2, 0, 0xaaaa0000
	s_addc_u32 s3, 0, 42
	s_add_i32 s3, s3, 0xaaaaa80
	s_mul_hi_u32 s7, s2, 0xffffffe8
	s_sub_i32 s7, s7, s2
	s_mul_i32 s8, s3, 0xffffffe8
	s_mul_i32 s4, s2, 0xffffffe8
	s_add_i32 s7, s7, s8
	s_mul_hi_u32 s5, s3, s4
	s_mul_i32 s6, s3, s4
	s_mul_i32 s9, s2, s7
	s_mul_hi_u32 s4, s2, s4
	s_mul_hi_u32 s8, s2, s7
	s_add_u32 s4, s4, s9
	s_addc_u32 s8, 0, s8
	s_add_u32 s4, s4, s6
	s_mul_hi_u32 s9, s3, s7
	s_addc_u32 s4, s8, s5
	s_addc_u32 s5, s9, 0
	s_mul_i32 s6, s3, s7
	s_add_u32 s4, s4, s6
	v_mov_b32_e32 v2, s4
	s_addc_u32 s5, 0, s5
	v_add_co_u32_e32 v2, vcc, s2, v2
	s_cmp_lg_u64 vcc, 0
	s_addc_u32 s2, s3, s5
	v_readfirstlane_b32 s5, v2
	s_mul_i32 s4, s0, s2
	s_mul_hi_u32 s6, s0, s5
	s_mul_hi_u32 s3, s0, s2
	s_add_u32 s4, s6, s4
	s_addc_u32 s3, 0, s3
	s_mul_hi_u32 s7, s1, s5
	s_mul_i32 s5, s1, s5
	s_add_u32 s4, s4, s5
	s_mul_hi_u32 s6, s1, s2
	s_addc_u32 s3, s3, s7
	s_addc_u32 s4, s6, 0
	s_mul_i32 s2, s1, s2
	s_add_u32 s2, s3, s2
	s_addc_u32 s3, 0, s4
	s_add_u32 s4, s2, 1
	s_addc_u32 s5, s3, 0
	s_add_u32 s6, s2, 2
	s_mul_i32 s8, s3, 24
	s_mul_hi_u32 s9, s2, 24
	s_addc_u32 s7, s3, 0
	s_add_i32 s9, s9, s8
	s_mul_i32 s8, s2, 24
	v_mov_b32_e32 v2, s8
	v_sub_co_u32_e32 v2, vcc, s0, v2
	s_cmp_lg_u64 vcc, 0
	s_subb_u32 s8, s1, s9
	v_subrev_co_u32_e32 v3, vcc, 24, v2
	s_cmp_lg_u64 vcc, 0
	s_subb_u32 s9, s8, 0
	v_readfirstlane_b32 s12, v3
	s_cmp_gt_u32 s12, 23
	s_cselect_b32 s12, -1, 0
	s_cmp_eq_u32 s9, 0
	s_cselect_b32 s9, s12, -1
	s_cmp_lg_u32 s9, 0
	s_cselect_b32 s4, s6, s4
	v_readfirstlane_b32 s6, v2
	s_cselect_b32 s5, s7, s5
	s_cmp_gt_u32 s6, 23
	s_cselect_b32 s6, -1, 0
	s_cmp_eq_u32 s8, 0
	s_cselect_b32 s6, s6, -1
	s_cmp_lg_u32 s6, 0
	s_cselect_b32 s3, s5, s3
	s_cselect_b32 s2, s4, s2
	v_cmp_eq_u64_e32 vcc, s[2:3], v[0:1]
	s_and_saveexec_b64 s[2:3], vcc
	s_cbranch_execz .LBB999_150
; %bb.144:
	v_mul_hi_u32_u24_e32 v1, 24, v0
	v_mov_b32_e32 v2, s1
	v_sub_co_u32_e32 v0, vcc, s0, v21
	v_subb_co_u32_e32 v1, vcc, v2, v1, vcc
	v_cmp_lt_i64_e32 vcc, 11, v[0:1]
	s_mov_b64 s[0:1], 0
	s_mov_b64 s[8:9], 0
	;; [unrolled: 1-line block ×4, first 2 shown]
	s_and_saveexec_b64 s[2:3], vcc
	s_xor_b64 s[2:3], exec, s[2:3]
	s_cbranch_execnz .LBB999_151
; %bb.145:
	s_andn2_saveexec_b64 s[2:3], s[2:3]
	s_cbranch_execnz .LBB999_196
.LBB999_146:
	s_or_b64 exec, exec, s[2:3]
	s_and_saveexec_b64 s[2:3], s[8:9]
	s_cbranch_execnz .LBB999_213
.LBB999_147:
	s_or_b64 exec, exec, s[2:3]
	s_and_saveexec_b64 s[2:3], s[6:7]
	s_cbranch_execnz .LBB999_214
.LBB999_148:
	s_or_b64 exec, exec, s[2:3]
	s_and_saveexec_b64 s[2:3], s[4:5]
	s_xor_b64 s[2:3], exec, s[2:3]
	s_cbranch_execnz .LBB999_215
.LBB999_149:
	s_or_b64 exec, exec, s[2:3]
	s_and_b64 exec, exec, s[0:1]
	s_cbranch_execnz .LBB999_216
.LBB999_150:
	s_endpgm
.LBB999_151:
	v_cmp_lt_i64_e32 vcc, 17, v[0:1]
	s_and_saveexec_b64 s[12:13], vcc
	s_xor_b64 s[12:13], exec, s[12:13]
	s_cbranch_execz .LBB999_173
; %bb.152:
	v_cmp_lt_i64_e32 vcc, 20, v[0:1]
                                        ; implicit-def: $vgpr10
	s_and_saveexec_b64 s[14:15], vcc
	s_xor_b64 s[14:15], exec, s[14:15]
	s_cbranch_execz .LBB999_162
; %bb.153:
	v_cmp_lt_i64_e32 vcc, 21, v[0:1]
	s_mov_b64 s[16:17], 0
                                        ; implicit-def: $vgpr10
	s_and_saveexec_b64 s[4:5], vcc
	s_xor_b64 s[4:5], exec, s[4:5]
	s_cbranch_execz .LBB999_159
; %bb.154:
	v_cmp_lt_i64_e32 vcc, 22, v[0:1]
	s_and_saveexec_b64 s[16:17], vcc
	s_xor_b64 s[16:17], exec, s[16:17]
	s_cbranch_execz .LBB999_156
; %bb.155:
	v_mov_b32_e32 v2, 0
	s_waitcnt lgkmcnt(0)
	global_store_short v2, v29, s[10:11]
                                        ; implicit-def: $vgpr28
.LBB999_156:
	s_or_saveexec_b64 s[16:17], s[16:17]
	s_mov_b64 s[18:19], 0
	s_xor_b64 exec, exec, s[16:17]
; %bb.157:
	s_mov_b64 s[18:19], exec
; %bb.158:
	s_or_b64 exec, exec, s[16:17]
	s_and_b64 s[16:17], s[18:19], exec
	s_waitcnt lgkmcnt(0)
	v_mov_b32_e32 v10, v28
                                        ; implicit-def: $vgpr11
.LBB999_159:
	s_andn2_saveexec_b64 s[4:5], s[4:5]
; %bb.160:
	s_mov_b64 s[6:7], exec
                                        ; implicit-def: $vgpr10
; %bb.161:
	s_or_b64 exec, exec, s[4:5]
	s_and_b64 s[4:5], s[16:17], exec
	s_and_b64 s[6:7], s[6:7], exec
                                        ; implicit-def: $vgpr26
                                        ; implicit-def: $vgpr12
                                        ; implicit-def: $vgpr23
.LBB999_162:
	s_andn2_saveexec_b64 s[14:15], s[14:15]
	s_cbranch_execz .LBB999_172
; %bb.163:
	v_cmp_lt_i64_e32 vcc, 18, v[0:1]
	s_mov_b64 s[16:17], 0
	s_and_saveexec_b64 s[8:9], vcc
	s_xor_b64 s[8:9], exec, s[8:9]
	s_cbranch_execz .LBB999_169
; %bb.164:
	v_cmp_lt_i64_e32 vcc, 19, v[0:1]
	s_and_saveexec_b64 s[18:19], vcc
	s_xor_b64 s[18:19], exec, s[18:19]
; %bb.165:
	s_mov_b64 s[16:17], exec
                                        ; implicit-def: $vgpr23
; %bb.166:
	s_andn2_saveexec_b64 s[18:19], s[18:19]
	s_cbranch_execz .LBB999_168
; %bb.167:
	v_mov_b32_e32 v2, 0
	s_waitcnt lgkmcnt(0)
	global_store_short v2, v23, s[10:11]
                                        ; implicit-def: $vgpr12
.LBB999_168:
	s_or_b64 exec, exec, s[18:19]
	s_and_b64 s[16:17], s[16:17], exec
                                        ; implicit-def: $vgpr26
.LBB999_169:
	s_andn2_saveexec_b64 s[8:9], s[8:9]
	s_cbranch_execz .LBB999_171
; %bb.170:
	v_mov_b32_e32 v2, 0
	s_waitcnt lgkmcnt(0)
	global_store_short v2, v26, s[10:11]
                                        ; implicit-def: $vgpr12
.LBB999_171:
	s_or_b64 exec, exec, s[8:9]
	s_and_b64 s[8:9], s[16:17], exec
                                        ; implicit-def: $vgpr10
                                        ; implicit-def: $vgpr11
.LBB999_172:
	s_or_b64 exec, exec, s[14:15]
	s_and_b64 s[4:5], s[4:5], exec
	s_and_b64 s[6:7], s[6:7], exec
	s_and_b64 s[8:9], s[8:9], exec
                                        ; implicit-def: $vgpr18
                                        ; implicit-def: $vgpr13
                                        ; implicit-def: $vgpr14
                                        ; implicit-def: $vgpr24
                                        ; implicit-def: $vgpr27
.LBB999_173:
	s_andn2_saveexec_b64 s[12:13], s[12:13]
	s_cbranch_execz .LBB999_195
; %bb.174:
	v_cmp_lt_i64_e32 vcc, 14, v[0:1]
	s_mov_b64 s[14:15], s[4:5]
	s_and_saveexec_b64 s[16:17], vcc
	s_xor_b64 s[16:17], exec, s[16:17]
	s_cbranch_execz .LBB999_184
; %bb.175:
	v_cmp_lt_i64_e32 vcc, 15, v[0:1]
	s_and_saveexec_b64 s[14:15], vcc
	s_xor_b64 s[14:15], exec, s[14:15]
	s_cbranch_execz .LBB999_181
; %bb.176:
	v_cmp_lt_i64_e32 vcc, 16, v[0:1]
	s_and_saveexec_b64 s[18:19], vcc
	s_xor_b64 s[18:19], exec, s[18:19]
	s_cbranch_execz .LBB999_178
; %bb.177:
	v_mov_b32_e32 v2, 0
	s_waitcnt lgkmcnt(0)
	global_store_short v2, v27, s[10:11]
                                        ; implicit-def: $vgpr24
.LBB999_178:
	s_andn2_saveexec_b64 s[18:19], s[18:19]
	s_cbranch_execz .LBB999_180
; %bb.179:
	v_mov_b32_e32 v2, 0
	s_waitcnt lgkmcnt(0)
	global_store_short v2, v24, s[10:11]
.LBB999_180:
	s_or_b64 exec, exec, s[18:19]
                                        ; implicit-def: $vgpr10
.LBB999_181:
	s_or_saveexec_b64 s[14:15], s[14:15]
	s_mov_b64 s[18:19], s[4:5]
	s_xor_b64 exec, exec, s[14:15]
; %bb.182:
	s_or_b64 s[18:19], s[4:5], exec
; %bb.183:
	s_or_b64 exec, exec, s[14:15]
	s_andn2_b64 s[14:15], s[4:5], exec
	s_and_b64 s[18:19], s[18:19], exec
	s_or_b64 s[14:15], s[14:15], s[18:19]
                                        ; implicit-def: $vgpr18
                                        ; implicit-def: $vgpr13
                                        ; implicit-def: $vgpr14
.LBB999_184:
	s_or_saveexec_b64 s[16:17], s[16:17]
	s_mov_b64 s[18:19], s[6:7]
                                        ; implicit-def: $vgpr11
	s_xor_b64 exec, exec, s[16:17]
	s_cbranch_execz .LBB999_194
; %bb.185:
	v_cmp_lt_i64_e32 vcc, 12, v[0:1]
	s_mov_b64 s[20:21], s[6:7]
	s_mov_b64 s[22:23], s[14:15]
                                        ; implicit-def: $vgpr10
                                        ; implicit-def: $vgpr11
	s_and_saveexec_b64 s[18:19], vcc
	s_xor_b64 s[18:19], exec, s[18:19]
	s_cbranch_execz .LBB999_191
; %bb.186:
	v_cmp_lt_i64_e32 vcc, 13, v[0:1]
	s_mov_b64 s[20:21], s[14:15]
	s_and_saveexec_b64 s[22:23], vcc
	s_xor_b64 s[22:23], exec, s[22:23]
; %bb.187:
	s_or_b64 s[20:21], s[14:15], exec
                                        ; implicit-def: $vgpr13
; %bb.188:
	s_or_saveexec_b64 s[22:23], s[22:23]
	s_mov_b64 s[24:25], s[6:7]
	s_xor_b64 exec, exec, s[22:23]
; %bb.189:
	s_or_b64 s[24:25], s[6:7], exec
                                        ; implicit-def: $vgpr14
; %bb.190:
	s_or_b64 exec, exec, s[22:23]
	s_andn2_b64 s[22:23], s[14:15], exec
	s_and_b64 s[20:21], s[20:21], exec
	s_or_b64 s[22:23], s[22:23], s[20:21]
	s_andn2_b64 s[20:21], s[6:7], exec
	s_and_b64 s[24:25], s[24:25], exec
	s_or_b64 s[20:21], s[20:21], s[24:25]
	s_waitcnt lgkmcnt(0)
	v_mov_b32_e32 v10, v14
	v_mov_b32_e32 v11, v13
                                        ; implicit-def: $vgpr18
.LBB999_191:
	s_andn2_saveexec_b64 s[18:19], s[18:19]
	s_cbranch_execz .LBB999_193
; %bb.192:
	s_or_b64 s[20:21], s[20:21], exec
                                        ; implicit-def: $vgpr10
	s_waitcnt lgkmcnt(0)
	v_mov_b32_e32 v11, v18
.LBB999_193:
	s_or_b64 exec, exec, s[18:19]
	s_andn2_b64 s[14:15], s[14:15], exec
	s_and_b64 s[18:19], s[22:23], exec
	s_or_b64 s[14:15], s[14:15], s[18:19]
	s_andn2_b64 s[18:19], s[6:7], exec
	s_and_b64 s[20:21], s[20:21], exec
	s_or_b64 s[18:19], s[18:19], s[20:21]
.LBB999_194:
	s_or_b64 exec, exec, s[16:17]
	s_andn2_b64 s[4:5], s[4:5], exec
	s_and_b64 s[14:15], s[14:15], exec
	s_or_b64 s[4:5], s[4:5], s[14:15]
	s_andn2_b64 s[6:7], s[6:7], exec
	s_and_b64 s[14:15], s[18:19], exec
	s_or_b64 s[6:7], s[6:7], s[14:15]
                                        ; implicit-def: $vgpr12
.LBB999_195:
	s_or_b64 exec, exec, s[12:13]
	s_and_b64 s[4:5], s[4:5], exec
	s_and_b64 s[6:7], s[6:7], exec
	;; [unrolled: 1-line block ×3, first 2 shown]
                                        ; implicit-def: $vgpr17
                                        ; implicit-def: $vgpr15
                                        ; implicit-def: $vgpr16
                                        ; implicit-def: $vgpr25
                                        ; implicit-def: $vgpr22
                                        ; implicit-def: $vgpr19
	s_andn2_saveexec_b64 s[2:3], s[2:3]
	s_cbranch_execz .LBB999_146
.LBB999_196:
	v_cmp_lt_i64_e32 vcc, 5, v[0:1]
	s_mov_b64 s[14:15], -1
	s_mov_b64 s[12:13], s[8:9]
	s_mov_b64 s[16:17], s[6:7]
	;; [unrolled: 1-line block ×3, first 2 shown]
                                        ; implicit-def: $vgpr10
                                        ; implicit-def: $vgpr11
                                        ; implicit-def: $vgpr12
	s_and_saveexec_b64 s[0:1], vcc
	s_cbranch_execz .LBB999_212
; %bb.197:
	v_cmp_lt_i64_e32 vcc, 8, v[0:1]
	s_mov_b64 s[12:13], s[8:9]
                                        ; implicit-def: $vgpr12
	s_and_saveexec_b64 s[14:15], vcc
	s_xor_b64 s[14:15], exec, s[14:15]
	s_cbranch_execz .LBB999_207
; %bb.198:
	v_cmp_lt_i64_e32 vcc, 9, v[0:1]
	s_and_saveexec_b64 s[12:13], vcc
	s_xor_b64 s[12:13], exec, s[12:13]
	s_cbranch_execz .LBB999_204
; %bb.199:
	v_cmp_lt_i64_e32 vcc, 10, v[0:1]
	s_and_saveexec_b64 s[16:17], vcc
	s_xor_b64 s[16:17], exec, s[16:17]
; %bb.200:
                                        ; implicit-def: $vgpr22
; %bb.201:
	s_andn2_saveexec_b64 s[16:17], s[16:17]
	s_cbranch_execz .LBB999_203
; %bb.202:
	s_waitcnt lgkmcnt(0)
	v_mov_b32_e32 v19, v22
.LBB999_203:
	s_or_b64 exec, exec, s[16:17]
                                        ; implicit-def: $vgpr25
.LBB999_204:
	s_andn2_saveexec_b64 s[12:13], s[12:13]
	s_cbranch_execz .LBB999_206
; %bb.205:
	s_waitcnt lgkmcnt(0)
	v_mov_b32_e32 v19, v25
.LBB999_206:
	s_or_b64 exec, exec, s[12:13]
	s_or_b64 s[12:13], s[8:9], exec
	s_waitcnt lgkmcnt(0)
	v_mov_b32_e32 v12, v19
                                        ; implicit-def: $vgpr17
                                        ; implicit-def: $vgpr15
                                        ; implicit-def: $vgpr16
.LBB999_207:
	s_or_saveexec_b64 s[14:15], s[14:15]
	s_mov_b64 s[16:17], s[6:7]
	s_mov_b64 s[20:21], s[4:5]
                                        ; implicit-def: $vgpr10
                                        ; implicit-def: $vgpr11
	s_xor_b64 exec, exec, s[14:15]
	s_cbranch_execz .LBB999_211
; %bb.208:
	v_cmp_lt_i64_e32 vcc, 6, v[0:1]
	s_mov_b64 s[20:21], -1
	s_mov_b64 s[18:19], s[12:13]
	s_mov_b64 s[16:17], s[6:7]
	s_and_saveexec_b64 s[22:23], vcc
; %bb.209:
	v_cmp_lt_i64_e32 vcc, 7, v[0:1]
	s_andn2_b64 s[18:19], s[12:13], exec
	s_and_b64 s[24:25], vcc, exec
	s_xor_b64 s[20:21], exec, -1
	s_or_b64 s[16:17], s[6:7], exec
	s_or_b64 s[18:19], s[18:19], s[24:25]
                                        ; implicit-def: $vgpr17
; %bb.210:
	s_or_b64 exec, exec, s[22:23]
	s_andn2_b64 s[22:23], s[4:5], exec
	s_and_b64 s[20:21], s[20:21], exec
	s_or_b64 s[20:21], s[22:23], s[20:21]
	s_andn2_b64 s[22:23], s[6:7], exec
	s_and_b64 s[16:17], s[16:17], exec
	s_andn2_b64 s[12:13], s[12:13], exec
	s_and_b64 s[18:19], s[18:19], exec
	s_or_b64 s[16:17], s[22:23], s[16:17]
	s_or_b64 s[12:13], s[12:13], s[18:19]
	s_waitcnt lgkmcnt(0)
	v_mov_b32_e32 v10, v17
	v_mov_b32_e32 v11, v15
	;; [unrolled: 1-line block ×3, first 2 shown]
.LBB999_211:
	s_or_b64 exec, exec, s[14:15]
	s_andn2_b64 s[18:19], s[4:5], exec
	s_and_b64 s[20:21], s[20:21], exec
	s_or_b64 s[18:19], s[18:19], s[20:21]
	s_andn2_b64 s[20:21], s[6:7], exec
	s_and_b64 s[16:17], s[16:17], exec
	s_or_b64 s[16:17], s[20:21], s[16:17]
	s_andn2_b64 s[20:21], s[8:9], exec
	s_and_b64 s[12:13], s[12:13], exec
	s_xor_b64 s[14:15], exec, -1
	s_or_b64 s[12:13], s[20:21], s[12:13]
.LBB999_212:
	s_or_b64 exec, exec, s[0:1]
	s_and_b64 s[0:1], s[14:15], exec
	s_andn2_b64 s[4:5], s[4:5], exec
	s_and_b64 s[14:15], s[18:19], exec
	s_or_b64 s[4:5], s[4:5], s[14:15]
	s_andn2_b64 s[6:7], s[6:7], exec
	s_and_b64 s[14:15], s[16:17], exec
	s_andn2_b64 s[8:9], s[8:9], exec
	s_and_b64 s[12:13], s[12:13], exec
	s_or_b64 s[6:7], s[6:7], s[14:15]
	s_or_b64 s[8:9], s[8:9], s[12:13]
	s_or_b64 exec, exec, s[2:3]
	s_and_saveexec_b64 s[2:3], s[8:9]
	s_cbranch_execz .LBB999_147
.LBB999_213:
	v_mov_b32_e32 v2, 0
	s_andn2_b64 s[6:7], s[6:7], exec
	s_waitcnt lgkmcnt(0)
	global_store_short v2, v12, s[10:11]
                                        ; implicit-def: $vgpr10
                                        ; implicit-def: $vgpr11
	s_or_b64 exec, exec, s[2:3]
	s_and_saveexec_b64 s[2:3], s[6:7]
	s_cbranch_execz .LBB999_148
.LBB999_214:
	v_mov_b32_e32 v2, 0
	s_waitcnt lgkmcnt(0)
	global_store_short v2, v11, s[10:11]
                                        ; implicit-def: $vgpr10
	s_or_b64 exec, exec, s[2:3]
	s_and_saveexec_b64 s[2:3], s[4:5]
	s_xor_b64 s[2:3], exec, s[2:3]
	s_cbranch_execz .LBB999_149
.LBB999_215:
	v_mov_b32_e32 v2, 0
	s_waitcnt lgkmcnt(0)
	global_store_short v2, v10, s[10:11]
	s_or_b64 exec, exec, s[2:3]
	s_and_b64 exec, exec, s[0:1]
	s_cbranch_execz .LBB999_150
.LBB999_216:
	v_cmp_lt_i64_e32 vcc, 2, v[0:1]
	s_and_saveexec_b64 s[0:1], vcc
	s_xor_b64 s[0:1], exec, s[0:1]
	s_cbranch_execz .LBB999_226
; %bb.217:
	v_cmp_lt_i64_e32 vcc, 3, v[0:1]
	s_and_saveexec_b64 s[2:3], vcc
	s_xor_b64 s[2:3], exec, s[2:3]
	s_cbranch_execz .LBB999_223
; %bb.218:
	;; [unrolled: 5-line block ×3, first 2 shown]
	v_mov_b32_e32 v0, 0
	s_waitcnt lgkmcnt(0)
	global_store_short v0, v9, s[10:11]
                                        ; implicit-def: $vgpr6
.LBB999_220:
	s_andn2_saveexec_b64 s[4:5], s[4:5]
	s_cbranch_execz .LBB999_222
; %bb.221:
	v_mov_b32_e32 v0, 0
	s_waitcnt lgkmcnt(0)
	global_store_short v0, v6, s[10:11]
.LBB999_222:
	s_or_b64 exec, exec, s[4:5]
                                        ; implicit-def: $vgpr8
.LBB999_223:
	s_andn2_saveexec_b64 s[2:3], s[2:3]
	s_cbranch_execz .LBB999_225
; %bb.224:
	v_mov_b32_e32 v0, 0
	s_waitcnt lgkmcnt(0)
	global_store_short v0, v8, s[10:11]
.LBB999_225:
	s_or_b64 exec, exec, s[2:3]
                                        ; implicit-def: $vgpr0_vgpr1
                                        ; implicit-def: $vgpr7
                                        ; implicit-def: $vgpr4
                                        ; implicit-def: $vgpr5
.LBB999_226:
	s_andn2_saveexec_b64 s[0:1], s[0:1]
	s_cbranch_execz .LBB999_150
; %bb.227:
	v_cmp_lt_i64_e32 vcc, 1, v[0:1]
	s_and_saveexec_b64 s[0:1], vcc
	s_xor_b64 s[0:1], exec, s[0:1]
	s_cbranch_execz .LBB999_229
; %bb.228:
	v_mov_b32_e32 v0, 0
	s_waitcnt lgkmcnt(0)
	global_store_short v0, v7, s[10:11]
                                        ; implicit-def: $vgpr4
                                        ; implicit-def: $vgpr0_vgpr1
                                        ; implicit-def: $vgpr5
.LBB999_229:
	s_andn2_saveexec_b64 s[0:1], s[0:1]
	s_cbranch_execz .LBB999_150
; %bb.230:
	v_cmp_ne_u64_e32 vcc, 1, v[0:1]
	s_and_saveexec_b64 s[0:1], vcc
	s_xor_b64 s[0:1], exec, s[0:1]
	s_cbranch_execz .LBB999_232
; %bb.231:
	v_mov_b32_e32 v0, 0
	s_waitcnt lgkmcnt(0)
	global_store_short v0, v5, s[10:11]
                                        ; implicit-def: $vgpr4
.LBB999_232:
	s_andn2_saveexec_b64 s[0:1], s[0:1]
	s_cbranch_execz .LBB999_150
; %bb.233:
	v_mov_b32_e32 v0, 0
	s_waitcnt lgkmcnt(0)
	global_store_short v0, v4, s[10:11]
	s_endpgm
	.section	.rodata,"a",@progbits
	.p2align	6, 0x0
	.amdhsa_kernel _ZN7rocprim17ROCPRIM_400000_NS6detail17trampoline_kernelINS0_14default_configENS1_20scan_config_selectorIsEEZZNS1_9scan_implILNS1_25lookback_scan_determinismE0ELb1ELb1ES3_N6thrust23THRUST_200600_302600_NS6detail15normal_iteratorINS9_10device_ptrIsEEEESE_sNS9_4plusIvEEsEEDaPvRmT3_T4_T5_mT6_P12ihipStream_tbENKUlT_T0_E_clISt17integral_constantIbLb1EESU_EEDaSP_SQ_EUlSP_E_NS1_11comp_targetILNS1_3genE4ELNS1_11target_archE910ELNS1_3gpuE8ELNS1_3repE0EEENS1_30default_config_static_selectorELNS0_4arch9wavefront6targetE1EEEvT1_
		.amdhsa_group_segment_fixed_size 3072
		.amdhsa_private_segment_fixed_size 0
		.amdhsa_kernarg_size 96
		.amdhsa_user_sgpr_count 6
		.amdhsa_user_sgpr_private_segment_buffer 1
		.amdhsa_user_sgpr_dispatch_ptr 0
		.amdhsa_user_sgpr_queue_ptr 0
		.amdhsa_user_sgpr_kernarg_segment_ptr 1
		.amdhsa_user_sgpr_dispatch_id 0
		.amdhsa_user_sgpr_flat_scratch_init 0
		.amdhsa_user_sgpr_kernarg_preload_length 0
		.amdhsa_user_sgpr_kernarg_preload_offset 0
		.amdhsa_user_sgpr_private_segment_size 0
		.amdhsa_uses_dynamic_stack 0
		.amdhsa_system_sgpr_private_segment_wavefront_offset 0
		.amdhsa_system_sgpr_workgroup_id_x 1
		.amdhsa_system_sgpr_workgroup_id_y 0
		.amdhsa_system_sgpr_workgroup_id_z 0
		.amdhsa_system_sgpr_workgroup_info 0
		.amdhsa_system_vgpr_workitem_id 0
		.amdhsa_next_free_vgpr 54
		.amdhsa_next_free_sgpr 38
		.amdhsa_accum_offset 56
		.amdhsa_reserve_vcc 1
		.amdhsa_reserve_flat_scratch 0
		.amdhsa_float_round_mode_32 0
		.amdhsa_float_round_mode_16_64 0
		.amdhsa_float_denorm_mode_32 3
		.amdhsa_float_denorm_mode_16_64 3
		.amdhsa_dx10_clamp 1
		.amdhsa_ieee_mode 1
		.amdhsa_fp16_overflow 0
		.amdhsa_tg_split 0
		.amdhsa_exception_fp_ieee_invalid_op 0
		.amdhsa_exception_fp_denorm_src 0
		.amdhsa_exception_fp_ieee_div_zero 0
		.amdhsa_exception_fp_ieee_overflow 0
		.amdhsa_exception_fp_ieee_underflow 0
		.amdhsa_exception_fp_ieee_inexact 0
		.amdhsa_exception_int_div_zero 0
	.end_amdhsa_kernel
	.section	.text._ZN7rocprim17ROCPRIM_400000_NS6detail17trampoline_kernelINS0_14default_configENS1_20scan_config_selectorIsEEZZNS1_9scan_implILNS1_25lookback_scan_determinismE0ELb1ELb1ES3_N6thrust23THRUST_200600_302600_NS6detail15normal_iteratorINS9_10device_ptrIsEEEESE_sNS9_4plusIvEEsEEDaPvRmT3_T4_T5_mT6_P12ihipStream_tbENKUlT_T0_E_clISt17integral_constantIbLb1EESU_EEDaSP_SQ_EUlSP_E_NS1_11comp_targetILNS1_3genE4ELNS1_11target_archE910ELNS1_3gpuE8ELNS1_3repE0EEENS1_30default_config_static_selectorELNS0_4arch9wavefront6targetE1EEEvT1_,"axG",@progbits,_ZN7rocprim17ROCPRIM_400000_NS6detail17trampoline_kernelINS0_14default_configENS1_20scan_config_selectorIsEEZZNS1_9scan_implILNS1_25lookback_scan_determinismE0ELb1ELb1ES3_N6thrust23THRUST_200600_302600_NS6detail15normal_iteratorINS9_10device_ptrIsEEEESE_sNS9_4plusIvEEsEEDaPvRmT3_T4_T5_mT6_P12ihipStream_tbENKUlT_T0_E_clISt17integral_constantIbLb1EESU_EEDaSP_SQ_EUlSP_E_NS1_11comp_targetILNS1_3genE4ELNS1_11target_archE910ELNS1_3gpuE8ELNS1_3repE0EEENS1_30default_config_static_selectorELNS0_4arch9wavefront6targetE1EEEvT1_,comdat
.Lfunc_end999:
	.size	_ZN7rocprim17ROCPRIM_400000_NS6detail17trampoline_kernelINS0_14default_configENS1_20scan_config_selectorIsEEZZNS1_9scan_implILNS1_25lookback_scan_determinismE0ELb1ELb1ES3_N6thrust23THRUST_200600_302600_NS6detail15normal_iteratorINS9_10device_ptrIsEEEESE_sNS9_4plusIvEEsEEDaPvRmT3_T4_T5_mT6_P12ihipStream_tbENKUlT_T0_E_clISt17integral_constantIbLb1EESU_EEDaSP_SQ_EUlSP_E_NS1_11comp_targetILNS1_3genE4ELNS1_11target_archE910ELNS1_3gpuE8ELNS1_3repE0EEENS1_30default_config_static_selectorELNS0_4arch9wavefront6targetE1EEEvT1_, .Lfunc_end999-_ZN7rocprim17ROCPRIM_400000_NS6detail17trampoline_kernelINS0_14default_configENS1_20scan_config_selectorIsEEZZNS1_9scan_implILNS1_25lookback_scan_determinismE0ELb1ELb1ES3_N6thrust23THRUST_200600_302600_NS6detail15normal_iteratorINS9_10device_ptrIsEEEESE_sNS9_4plusIvEEsEEDaPvRmT3_T4_T5_mT6_P12ihipStream_tbENKUlT_T0_E_clISt17integral_constantIbLb1EESU_EEDaSP_SQ_EUlSP_E_NS1_11comp_targetILNS1_3genE4ELNS1_11target_archE910ELNS1_3gpuE8ELNS1_3repE0EEENS1_30default_config_static_selectorELNS0_4arch9wavefront6targetE1EEEvT1_
                                        ; -- End function
	.section	.AMDGPU.csdata,"",@progbits
; Kernel info:
; codeLenInByte = 7920
; NumSgprs: 42
; NumVgprs: 54
; NumAgprs: 0
; TotalNumVgprs: 54
; ScratchSize: 0
; MemoryBound: 0
; FloatMode: 240
; IeeeMode: 1
; LDSByteSize: 3072 bytes/workgroup (compile time only)
; SGPRBlocks: 5
; VGPRBlocks: 6
; NumSGPRsForWavesPerEU: 42
; NumVGPRsForWavesPerEU: 54
; AccumOffset: 56
; Occupancy: 6
; WaveLimiterHint : 1
; COMPUTE_PGM_RSRC2:SCRATCH_EN: 0
; COMPUTE_PGM_RSRC2:USER_SGPR: 6
; COMPUTE_PGM_RSRC2:TRAP_HANDLER: 0
; COMPUTE_PGM_RSRC2:TGID_X_EN: 1
; COMPUTE_PGM_RSRC2:TGID_Y_EN: 0
; COMPUTE_PGM_RSRC2:TGID_Z_EN: 0
; COMPUTE_PGM_RSRC2:TIDIG_COMP_CNT: 0
; COMPUTE_PGM_RSRC3_GFX90A:ACCUM_OFFSET: 13
; COMPUTE_PGM_RSRC3_GFX90A:TG_SPLIT: 0
	.section	.text._ZN7rocprim17ROCPRIM_400000_NS6detail17trampoline_kernelINS0_14default_configENS1_20scan_config_selectorIsEEZZNS1_9scan_implILNS1_25lookback_scan_determinismE0ELb1ELb1ES3_N6thrust23THRUST_200600_302600_NS6detail15normal_iteratorINS9_10device_ptrIsEEEESE_sNS9_4plusIvEEsEEDaPvRmT3_T4_T5_mT6_P12ihipStream_tbENKUlT_T0_E_clISt17integral_constantIbLb1EESU_EEDaSP_SQ_EUlSP_E_NS1_11comp_targetILNS1_3genE3ELNS1_11target_archE908ELNS1_3gpuE7ELNS1_3repE0EEENS1_30default_config_static_selectorELNS0_4arch9wavefront6targetE1EEEvT1_,"axG",@progbits,_ZN7rocprim17ROCPRIM_400000_NS6detail17trampoline_kernelINS0_14default_configENS1_20scan_config_selectorIsEEZZNS1_9scan_implILNS1_25lookback_scan_determinismE0ELb1ELb1ES3_N6thrust23THRUST_200600_302600_NS6detail15normal_iteratorINS9_10device_ptrIsEEEESE_sNS9_4plusIvEEsEEDaPvRmT3_T4_T5_mT6_P12ihipStream_tbENKUlT_T0_E_clISt17integral_constantIbLb1EESU_EEDaSP_SQ_EUlSP_E_NS1_11comp_targetILNS1_3genE3ELNS1_11target_archE908ELNS1_3gpuE7ELNS1_3repE0EEENS1_30default_config_static_selectorELNS0_4arch9wavefront6targetE1EEEvT1_,comdat
	.protected	_ZN7rocprim17ROCPRIM_400000_NS6detail17trampoline_kernelINS0_14default_configENS1_20scan_config_selectorIsEEZZNS1_9scan_implILNS1_25lookback_scan_determinismE0ELb1ELb1ES3_N6thrust23THRUST_200600_302600_NS6detail15normal_iteratorINS9_10device_ptrIsEEEESE_sNS9_4plusIvEEsEEDaPvRmT3_T4_T5_mT6_P12ihipStream_tbENKUlT_T0_E_clISt17integral_constantIbLb1EESU_EEDaSP_SQ_EUlSP_E_NS1_11comp_targetILNS1_3genE3ELNS1_11target_archE908ELNS1_3gpuE7ELNS1_3repE0EEENS1_30default_config_static_selectorELNS0_4arch9wavefront6targetE1EEEvT1_ ; -- Begin function _ZN7rocprim17ROCPRIM_400000_NS6detail17trampoline_kernelINS0_14default_configENS1_20scan_config_selectorIsEEZZNS1_9scan_implILNS1_25lookback_scan_determinismE0ELb1ELb1ES3_N6thrust23THRUST_200600_302600_NS6detail15normal_iteratorINS9_10device_ptrIsEEEESE_sNS9_4plusIvEEsEEDaPvRmT3_T4_T5_mT6_P12ihipStream_tbENKUlT_T0_E_clISt17integral_constantIbLb1EESU_EEDaSP_SQ_EUlSP_E_NS1_11comp_targetILNS1_3genE3ELNS1_11target_archE908ELNS1_3gpuE7ELNS1_3repE0EEENS1_30default_config_static_selectorELNS0_4arch9wavefront6targetE1EEEvT1_
	.globl	_ZN7rocprim17ROCPRIM_400000_NS6detail17trampoline_kernelINS0_14default_configENS1_20scan_config_selectorIsEEZZNS1_9scan_implILNS1_25lookback_scan_determinismE0ELb1ELb1ES3_N6thrust23THRUST_200600_302600_NS6detail15normal_iteratorINS9_10device_ptrIsEEEESE_sNS9_4plusIvEEsEEDaPvRmT3_T4_T5_mT6_P12ihipStream_tbENKUlT_T0_E_clISt17integral_constantIbLb1EESU_EEDaSP_SQ_EUlSP_E_NS1_11comp_targetILNS1_3genE3ELNS1_11target_archE908ELNS1_3gpuE7ELNS1_3repE0EEENS1_30default_config_static_selectorELNS0_4arch9wavefront6targetE1EEEvT1_
	.p2align	8
	.type	_ZN7rocprim17ROCPRIM_400000_NS6detail17trampoline_kernelINS0_14default_configENS1_20scan_config_selectorIsEEZZNS1_9scan_implILNS1_25lookback_scan_determinismE0ELb1ELb1ES3_N6thrust23THRUST_200600_302600_NS6detail15normal_iteratorINS9_10device_ptrIsEEEESE_sNS9_4plusIvEEsEEDaPvRmT3_T4_T5_mT6_P12ihipStream_tbENKUlT_T0_E_clISt17integral_constantIbLb1EESU_EEDaSP_SQ_EUlSP_E_NS1_11comp_targetILNS1_3genE3ELNS1_11target_archE908ELNS1_3gpuE7ELNS1_3repE0EEENS1_30default_config_static_selectorELNS0_4arch9wavefront6targetE1EEEvT1_,@function
_ZN7rocprim17ROCPRIM_400000_NS6detail17trampoline_kernelINS0_14default_configENS1_20scan_config_selectorIsEEZZNS1_9scan_implILNS1_25lookback_scan_determinismE0ELb1ELb1ES3_N6thrust23THRUST_200600_302600_NS6detail15normal_iteratorINS9_10device_ptrIsEEEESE_sNS9_4plusIvEEsEEDaPvRmT3_T4_T5_mT6_P12ihipStream_tbENKUlT_T0_E_clISt17integral_constantIbLb1EESU_EEDaSP_SQ_EUlSP_E_NS1_11comp_targetILNS1_3genE3ELNS1_11target_archE908ELNS1_3gpuE7ELNS1_3repE0EEENS1_30default_config_static_selectorELNS0_4arch9wavefront6targetE1EEEvT1_: ; @_ZN7rocprim17ROCPRIM_400000_NS6detail17trampoline_kernelINS0_14default_configENS1_20scan_config_selectorIsEEZZNS1_9scan_implILNS1_25lookback_scan_determinismE0ELb1ELb1ES3_N6thrust23THRUST_200600_302600_NS6detail15normal_iteratorINS9_10device_ptrIsEEEESE_sNS9_4plusIvEEsEEDaPvRmT3_T4_T5_mT6_P12ihipStream_tbENKUlT_T0_E_clISt17integral_constantIbLb1EESU_EEDaSP_SQ_EUlSP_E_NS1_11comp_targetILNS1_3genE3ELNS1_11target_archE908ELNS1_3gpuE7ELNS1_3repE0EEENS1_30default_config_static_selectorELNS0_4arch9wavefront6targetE1EEEvT1_
; %bb.0:
	.section	.rodata,"a",@progbits
	.p2align	6, 0x0
	.amdhsa_kernel _ZN7rocprim17ROCPRIM_400000_NS6detail17trampoline_kernelINS0_14default_configENS1_20scan_config_selectorIsEEZZNS1_9scan_implILNS1_25lookback_scan_determinismE0ELb1ELb1ES3_N6thrust23THRUST_200600_302600_NS6detail15normal_iteratorINS9_10device_ptrIsEEEESE_sNS9_4plusIvEEsEEDaPvRmT3_T4_T5_mT6_P12ihipStream_tbENKUlT_T0_E_clISt17integral_constantIbLb1EESU_EEDaSP_SQ_EUlSP_E_NS1_11comp_targetILNS1_3genE3ELNS1_11target_archE908ELNS1_3gpuE7ELNS1_3repE0EEENS1_30default_config_static_selectorELNS0_4arch9wavefront6targetE1EEEvT1_
		.amdhsa_group_segment_fixed_size 0
		.amdhsa_private_segment_fixed_size 0
		.amdhsa_kernarg_size 96
		.amdhsa_user_sgpr_count 6
		.amdhsa_user_sgpr_private_segment_buffer 1
		.amdhsa_user_sgpr_dispatch_ptr 0
		.amdhsa_user_sgpr_queue_ptr 0
		.amdhsa_user_sgpr_kernarg_segment_ptr 1
		.amdhsa_user_sgpr_dispatch_id 0
		.amdhsa_user_sgpr_flat_scratch_init 0
		.amdhsa_user_sgpr_kernarg_preload_length 0
		.amdhsa_user_sgpr_kernarg_preload_offset 0
		.amdhsa_user_sgpr_private_segment_size 0
		.amdhsa_uses_dynamic_stack 0
		.amdhsa_system_sgpr_private_segment_wavefront_offset 0
		.amdhsa_system_sgpr_workgroup_id_x 1
		.amdhsa_system_sgpr_workgroup_id_y 0
		.amdhsa_system_sgpr_workgroup_id_z 0
		.amdhsa_system_sgpr_workgroup_info 0
		.amdhsa_system_vgpr_workitem_id 0
		.amdhsa_next_free_vgpr 1
		.amdhsa_next_free_sgpr 0
		.amdhsa_accum_offset 4
		.amdhsa_reserve_vcc 0
		.amdhsa_reserve_flat_scratch 0
		.amdhsa_float_round_mode_32 0
		.amdhsa_float_round_mode_16_64 0
		.amdhsa_float_denorm_mode_32 3
		.amdhsa_float_denorm_mode_16_64 3
		.amdhsa_dx10_clamp 1
		.amdhsa_ieee_mode 1
		.amdhsa_fp16_overflow 0
		.amdhsa_tg_split 0
		.amdhsa_exception_fp_ieee_invalid_op 0
		.amdhsa_exception_fp_denorm_src 0
		.amdhsa_exception_fp_ieee_div_zero 0
		.amdhsa_exception_fp_ieee_overflow 0
		.amdhsa_exception_fp_ieee_underflow 0
		.amdhsa_exception_fp_ieee_inexact 0
		.amdhsa_exception_int_div_zero 0
	.end_amdhsa_kernel
	.section	.text._ZN7rocprim17ROCPRIM_400000_NS6detail17trampoline_kernelINS0_14default_configENS1_20scan_config_selectorIsEEZZNS1_9scan_implILNS1_25lookback_scan_determinismE0ELb1ELb1ES3_N6thrust23THRUST_200600_302600_NS6detail15normal_iteratorINS9_10device_ptrIsEEEESE_sNS9_4plusIvEEsEEDaPvRmT3_T4_T5_mT6_P12ihipStream_tbENKUlT_T0_E_clISt17integral_constantIbLb1EESU_EEDaSP_SQ_EUlSP_E_NS1_11comp_targetILNS1_3genE3ELNS1_11target_archE908ELNS1_3gpuE7ELNS1_3repE0EEENS1_30default_config_static_selectorELNS0_4arch9wavefront6targetE1EEEvT1_,"axG",@progbits,_ZN7rocprim17ROCPRIM_400000_NS6detail17trampoline_kernelINS0_14default_configENS1_20scan_config_selectorIsEEZZNS1_9scan_implILNS1_25lookback_scan_determinismE0ELb1ELb1ES3_N6thrust23THRUST_200600_302600_NS6detail15normal_iteratorINS9_10device_ptrIsEEEESE_sNS9_4plusIvEEsEEDaPvRmT3_T4_T5_mT6_P12ihipStream_tbENKUlT_T0_E_clISt17integral_constantIbLb1EESU_EEDaSP_SQ_EUlSP_E_NS1_11comp_targetILNS1_3genE3ELNS1_11target_archE908ELNS1_3gpuE7ELNS1_3repE0EEENS1_30default_config_static_selectorELNS0_4arch9wavefront6targetE1EEEvT1_,comdat
.Lfunc_end1000:
	.size	_ZN7rocprim17ROCPRIM_400000_NS6detail17trampoline_kernelINS0_14default_configENS1_20scan_config_selectorIsEEZZNS1_9scan_implILNS1_25lookback_scan_determinismE0ELb1ELb1ES3_N6thrust23THRUST_200600_302600_NS6detail15normal_iteratorINS9_10device_ptrIsEEEESE_sNS9_4plusIvEEsEEDaPvRmT3_T4_T5_mT6_P12ihipStream_tbENKUlT_T0_E_clISt17integral_constantIbLb1EESU_EEDaSP_SQ_EUlSP_E_NS1_11comp_targetILNS1_3genE3ELNS1_11target_archE908ELNS1_3gpuE7ELNS1_3repE0EEENS1_30default_config_static_selectorELNS0_4arch9wavefront6targetE1EEEvT1_, .Lfunc_end1000-_ZN7rocprim17ROCPRIM_400000_NS6detail17trampoline_kernelINS0_14default_configENS1_20scan_config_selectorIsEEZZNS1_9scan_implILNS1_25lookback_scan_determinismE0ELb1ELb1ES3_N6thrust23THRUST_200600_302600_NS6detail15normal_iteratorINS9_10device_ptrIsEEEESE_sNS9_4plusIvEEsEEDaPvRmT3_T4_T5_mT6_P12ihipStream_tbENKUlT_T0_E_clISt17integral_constantIbLb1EESU_EEDaSP_SQ_EUlSP_E_NS1_11comp_targetILNS1_3genE3ELNS1_11target_archE908ELNS1_3gpuE7ELNS1_3repE0EEENS1_30default_config_static_selectorELNS0_4arch9wavefront6targetE1EEEvT1_
                                        ; -- End function
	.section	.AMDGPU.csdata,"",@progbits
; Kernel info:
; codeLenInByte = 0
; NumSgprs: 4
; NumVgprs: 0
; NumAgprs: 0
; TotalNumVgprs: 0
; ScratchSize: 0
; MemoryBound: 0
; FloatMode: 240
; IeeeMode: 1
; LDSByteSize: 0 bytes/workgroup (compile time only)
; SGPRBlocks: 0
; VGPRBlocks: 0
; NumSGPRsForWavesPerEU: 4
; NumVGPRsForWavesPerEU: 1
; AccumOffset: 4
; Occupancy: 8
; WaveLimiterHint : 0
; COMPUTE_PGM_RSRC2:SCRATCH_EN: 0
; COMPUTE_PGM_RSRC2:USER_SGPR: 6
; COMPUTE_PGM_RSRC2:TRAP_HANDLER: 0
; COMPUTE_PGM_RSRC2:TGID_X_EN: 1
; COMPUTE_PGM_RSRC2:TGID_Y_EN: 0
; COMPUTE_PGM_RSRC2:TGID_Z_EN: 0
; COMPUTE_PGM_RSRC2:TIDIG_COMP_CNT: 0
; COMPUTE_PGM_RSRC3_GFX90A:ACCUM_OFFSET: 0
; COMPUTE_PGM_RSRC3_GFX90A:TG_SPLIT: 0
	.section	.text._ZN7rocprim17ROCPRIM_400000_NS6detail17trampoline_kernelINS0_14default_configENS1_20scan_config_selectorIsEEZZNS1_9scan_implILNS1_25lookback_scan_determinismE0ELb1ELb1ES3_N6thrust23THRUST_200600_302600_NS6detail15normal_iteratorINS9_10device_ptrIsEEEESE_sNS9_4plusIvEEsEEDaPvRmT3_T4_T5_mT6_P12ihipStream_tbENKUlT_T0_E_clISt17integral_constantIbLb1EESU_EEDaSP_SQ_EUlSP_E_NS1_11comp_targetILNS1_3genE2ELNS1_11target_archE906ELNS1_3gpuE6ELNS1_3repE0EEENS1_30default_config_static_selectorELNS0_4arch9wavefront6targetE1EEEvT1_,"axG",@progbits,_ZN7rocprim17ROCPRIM_400000_NS6detail17trampoline_kernelINS0_14default_configENS1_20scan_config_selectorIsEEZZNS1_9scan_implILNS1_25lookback_scan_determinismE0ELb1ELb1ES3_N6thrust23THRUST_200600_302600_NS6detail15normal_iteratorINS9_10device_ptrIsEEEESE_sNS9_4plusIvEEsEEDaPvRmT3_T4_T5_mT6_P12ihipStream_tbENKUlT_T0_E_clISt17integral_constantIbLb1EESU_EEDaSP_SQ_EUlSP_E_NS1_11comp_targetILNS1_3genE2ELNS1_11target_archE906ELNS1_3gpuE6ELNS1_3repE0EEENS1_30default_config_static_selectorELNS0_4arch9wavefront6targetE1EEEvT1_,comdat
	.protected	_ZN7rocprim17ROCPRIM_400000_NS6detail17trampoline_kernelINS0_14default_configENS1_20scan_config_selectorIsEEZZNS1_9scan_implILNS1_25lookback_scan_determinismE0ELb1ELb1ES3_N6thrust23THRUST_200600_302600_NS6detail15normal_iteratorINS9_10device_ptrIsEEEESE_sNS9_4plusIvEEsEEDaPvRmT3_T4_T5_mT6_P12ihipStream_tbENKUlT_T0_E_clISt17integral_constantIbLb1EESU_EEDaSP_SQ_EUlSP_E_NS1_11comp_targetILNS1_3genE2ELNS1_11target_archE906ELNS1_3gpuE6ELNS1_3repE0EEENS1_30default_config_static_selectorELNS0_4arch9wavefront6targetE1EEEvT1_ ; -- Begin function _ZN7rocprim17ROCPRIM_400000_NS6detail17trampoline_kernelINS0_14default_configENS1_20scan_config_selectorIsEEZZNS1_9scan_implILNS1_25lookback_scan_determinismE0ELb1ELb1ES3_N6thrust23THRUST_200600_302600_NS6detail15normal_iteratorINS9_10device_ptrIsEEEESE_sNS9_4plusIvEEsEEDaPvRmT3_T4_T5_mT6_P12ihipStream_tbENKUlT_T0_E_clISt17integral_constantIbLb1EESU_EEDaSP_SQ_EUlSP_E_NS1_11comp_targetILNS1_3genE2ELNS1_11target_archE906ELNS1_3gpuE6ELNS1_3repE0EEENS1_30default_config_static_selectorELNS0_4arch9wavefront6targetE1EEEvT1_
	.globl	_ZN7rocprim17ROCPRIM_400000_NS6detail17trampoline_kernelINS0_14default_configENS1_20scan_config_selectorIsEEZZNS1_9scan_implILNS1_25lookback_scan_determinismE0ELb1ELb1ES3_N6thrust23THRUST_200600_302600_NS6detail15normal_iteratorINS9_10device_ptrIsEEEESE_sNS9_4plusIvEEsEEDaPvRmT3_T4_T5_mT6_P12ihipStream_tbENKUlT_T0_E_clISt17integral_constantIbLb1EESU_EEDaSP_SQ_EUlSP_E_NS1_11comp_targetILNS1_3genE2ELNS1_11target_archE906ELNS1_3gpuE6ELNS1_3repE0EEENS1_30default_config_static_selectorELNS0_4arch9wavefront6targetE1EEEvT1_
	.p2align	8
	.type	_ZN7rocprim17ROCPRIM_400000_NS6detail17trampoline_kernelINS0_14default_configENS1_20scan_config_selectorIsEEZZNS1_9scan_implILNS1_25lookback_scan_determinismE0ELb1ELb1ES3_N6thrust23THRUST_200600_302600_NS6detail15normal_iteratorINS9_10device_ptrIsEEEESE_sNS9_4plusIvEEsEEDaPvRmT3_T4_T5_mT6_P12ihipStream_tbENKUlT_T0_E_clISt17integral_constantIbLb1EESU_EEDaSP_SQ_EUlSP_E_NS1_11comp_targetILNS1_3genE2ELNS1_11target_archE906ELNS1_3gpuE6ELNS1_3repE0EEENS1_30default_config_static_selectorELNS0_4arch9wavefront6targetE1EEEvT1_,@function
_ZN7rocprim17ROCPRIM_400000_NS6detail17trampoline_kernelINS0_14default_configENS1_20scan_config_selectorIsEEZZNS1_9scan_implILNS1_25lookback_scan_determinismE0ELb1ELb1ES3_N6thrust23THRUST_200600_302600_NS6detail15normal_iteratorINS9_10device_ptrIsEEEESE_sNS9_4plusIvEEsEEDaPvRmT3_T4_T5_mT6_P12ihipStream_tbENKUlT_T0_E_clISt17integral_constantIbLb1EESU_EEDaSP_SQ_EUlSP_E_NS1_11comp_targetILNS1_3genE2ELNS1_11target_archE906ELNS1_3gpuE6ELNS1_3repE0EEENS1_30default_config_static_selectorELNS0_4arch9wavefront6targetE1EEEvT1_: ; @_ZN7rocprim17ROCPRIM_400000_NS6detail17trampoline_kernelINS0_14default_configENS1_20scan_config_selectorIsEEZZNS1_9scan_implILNS1_25lookback_scan_determinismE0ELb1ELb1ES3_N6thrust23THRUST_200600_302600_NS6detail15normal_iteratorINS9_10device_ptrIsEEEESE_sNS9_4plusIvEEsEEDaPvRmT3_T4_T5_mT6_P12ihipStream_tbENKUlT_T0_E_clISt17integral_constantIbLb1EESU_EEDaSP_SQ_EUlSP_E_NS1_11comp_targetILNS1_3genE2ELNS1_11target_archE906ELNS1_3gpuE6ELNS1_3repE0EEENS1_30default_config_static_selectorELNS0_4arch9wavefront6targetE1EEEvT1_
; %bb.0:
	.section	.rodata,"a",@progbits
	.p2align	6, 0x0
	.amdhsa_kernel _ZN7rocprim17ROCPRIM_400000_NS6detail17trampoline_kernelINS0_14default_configENS1_20scan_config_selectorIsEEZZNS1_9scan_implILNS1_25lookback_scan_determinismE0ELb1ELb1ES3_N6thrust23THRUST_200600_302600_NS6detail15normal_iteratorINS9_10device_ptrIsEEEESE_sNS9_4plusIvEEsEEDaPvRmT3_T4_T5_mT6_P12ihipStream_tbENKUlT_T0_E_clISt17integral_constantIbLb1EESU_EEDaSP_SQ_EUlSP_E_NS1_11comp_targetILNS1_3genE2ELNS1_11target_archE906ELNS1_3gpuE6ELNS1_3repE0EEENS1_30default_config_static_selectorELNS0_4arch9wavefront6targetE1EEEvT1_
		.amdhsa_group_segment_fixed_size 0
		.amdhsa_private_segment_fixed_size 0
		.amdhsa_kernarg_size 96
		.amdhsa_user_sgpr_count 6
		.amdhsa_user_sgpr_private_segment_buffer 1
		.amdhsa_user_sgpr_dispatch_ptr 0
		.amdhsa_user_sgpr_queue_ptr 0
		.amdhsa_user_sgpr_kernarg_segment_ptr 1
		.amdhsa_user_sgpr_dispatch_id 0
		.amdhsa_user_sgpr_flat_scratch_init 0
		.amdhsa_user_sgpr_kernarg_preload_length 0
		.amdhsa_user_sgpr_kernarg_preload_offset 0
		.amdhsa_user_sgpr_private_segment_size 0
		.amdhsa_uses_dynamic_stack 0
		.amdhsa_system_sgpr_private_segment_wavefront_offset 0
		.amdhsa_system_sgpr_workgroup_id_x 1
		.amdhsa_system_sgpr_workgroup_id_y 0
		.amdhsa_system_sgpr_workgroup_id_z 0
		.amdhsa_system_sgpr_workgroup_info 0
		.amdhsa_system_vgpr_workitem_id 0
		.amdhsa_next_free_vgpr 1
		.amdhsa_next_free_sgpr 0
		.amdhsa_accum_offset 4
		.amdhsa_reserve_vcc 0
		.amdhsa_reserve_flat_scratch 0
		.amdhsa_float_round_mode_32 0
		.amdhsa_float_round_mode_16_64 0
		.amdhsa_float_denorm_mode_32 3
		.amdhsa_float_denorm_mode_16_64 3
		.amdhsa_dx10_clamp 1
		.amdhsa_ieee_mode 1
		.amdhsa_fp16_overflow 0
		.amdhsa_tg_split 0
		.amdhsa_exception_fp_ieee_invalid_op 0
		.amdhsa_exception_fp_denorm_src 0
		.amdhsa_exception_fp_ieee_div_zero 0
		.amdhsa_exception_fp_ieee_overflow 0
		.amdhsa_exception_fp_ieee_underflow 0
		.amdhsa_exception_fp_ieee_inexact 0
		.amdhsa_exception_int_div_zero 0
	.end_amdhsa_kernel
	.section	.text._ZN7rocprim17ROCPRIM_400000_NS6detail17trampoline_kernelINS0_14default_configENS1_20scan_config_selectorIsEEZZNS1_9scan_implILNS1_25lookback_scan_determinismE0ELb1ELb1ES3_N6thrust23THRUST_200600_302600_NS6detail15normal_iteratorINS9_10device_ptrIsEEEESE_sNS9_4plusIvEEsEEDaPvRmT3_T4_T5_mT6_P12ihipStream_tbENKUlT_T0_E_clISt17integral_constantIbLb1EESU_EEDaSP_SQ_EUlSP_E_NS1_11comp_targetILNS1_3genE2ELNS1_11target_archE906ELNS1_3gpuE6ELNS1_3repE0EEENS1_30default_config_static_selectorELNS0_4arch9wavefront6targetE1EEEvT1_,"axG",@progbits,_ZN7rocprim17ROCPRIM_400000_NS6detail17trampoline_kernelINS0_14default_configENS1_20scan_config_selectorIsEEZZNS1_9scan_implILNS1_25lookback_scan_determinismE0ELb1ELb1ES3_N6thrust23THRUST_200600_302600_NS6detail15normal_iteratorINS9_10device_ptrIsEEEESE_sNS9_4plusIvEEsEEDaPvRmT3_T4_T5_mT6_P12ihipStream_tbENKUlT_T0_E_clISt17integral_constantIbLb1EESU_EEDaSP_SQ_EUlSP_E_NS1_11comp_targetILNS1_3genE2ELNS1_11target_archE906ELNS1_3gpuE6ELNS1_3repE0EEENS1_30default_config_static_selectorELNS0_4arch9wavefront6targetE1EEEvT1_,comdat
.Lfunc_end1001:
	.size	_ZN7rocprim17ROCPRIM_400000_NS6detail17trampoline_kernelINS0_14default_configENS1_20scan_config_selectorIsEEZZNS1_9scan_implILNS1_25lookback_scan_determinismE0ELb1ELb1ES3_N6thrust23THRUST_200600_302600_NS6detail15normal_iteratorINS9_10device_ptrIsEEEESE_sNS9_4plusIvEEsEEDaPvRmT3_T4_T5_mT6_P12ihipStream_tbENKUlT_T0_E_clISt17integral_constantIbLb1EESU_EEDaSP_SQ_EUlSP_E_NS1_11comp_targetILNS1_3genE2ELNS1_11target_archE906ELNS1_3gpuE6ELNS1_3repE0EEENS1_30default_config_static_selectorELNS0_4arch9wavefront6targetE1EEEvT1_, .Lfunc_end1001-_ZN7rocprim17ROCPRIM_400000_NS6detail17trampoline_kernelINS0_14default_configENS1_20scan_config_selectorIsEEZZNS1_9scan_implILNS1_25lookback_scan_determinismE0ELb1ELb1ES3_N6thrust23THRUST_200600_302600_NS6detail15normal_iteratorINS9_10device_ptrIsEEEESE_sNS9_4plusIvEEsEEDaPvRmT3_T4_T5_mT6_P12ihipStream_tbENKUlT_T0_E_clISt17integral_constantIbLb1EESU_EEDaSP_SQ_EUlSP_E_NS1_11comp_targetILNS1_3genE2ELNS1_11target_archE906ELNS1_3gpuE6ELNS1_3repE0EEENS1_30default_config_static_selectorELNS0_4arch9wavefront6targetE1EEEvT1_
                                        ; -- End function
	.section	.AMDGPU.csdata,"",@progbits
; Kernel info:
; codeLenInByte = 0
; NumSgprs: 4
; NumVgprs: 0
; NumAgprs: 0
; TotalNumVgprs: 0
; ScratchSize: 0
; MemoryBound: 0
; FloatMode: 240
; IeeeMode: 1
; LDSByteSize: 0 bytes/workgroup (compile time only)
; SGPRBlocks: 0
; VGPRBlocks: 0
; NumSGPRsForWavesPerEU: 4
; NumVGPRsForWavesPerEU: 1
; AccumOffset: 4
; Occupancy: 8
; WaveLimiterHint : 0
; COMPUTE_PGM_RSRC2:SCRATCH_EN: 0
; COMPUTE_PGM_RSRC2:USER_SGPR: 6
; COMPUTE_PGM_RSRC2:TRAP_HANDLER: 0
; COMPUTE_PGM_RSRC2:TGID_X_EN: 1
; COMPUTE_PGM_RSRC2:TGID_Y_EN: 0
; COMPUTE_PGM_RSRC2:TGID_Z_EN: 0
; COMPUTE_PGM_RSRC2:TIDIG_COMP_CNT: 0
; COMPUTE_PGM_RSRC3_GFX90A:ACCUM_OFFSET: 0
; COMPUTE_PGM_RSRC3_GFX90A:TG_SPLIT: 0
	.section	.text._ZN7rocprim17ROCPRIM_400000_NS6detail17trampoline_kernelINS0_14default_configENS1_20scan_config_selectorIsEEZZNS1_9scan_implILNS1_25lookback_scan_determinismE0ELb1ELb1ES3_N6thrust23THRUST_200600_302600_NS6detail15normal_iteratorINS9_10device_ptrIsEEEESE_sNS9_4plusIvEEsEEDaPvRmT3_T4_T5_mT6_P12ihipStream_tbENKUlT_T0_E_clISt17integral_constantIbLb1EESU_EEDaSP_SQ_EUlSP_E_NS1_11comp_targetILNS1_3genE10ELNS1_11target_archE1201ELNS1_3gpuE5ELNS1_3repE0EEENS1_30default_config_static_selectorELNS0_4arch9wavefront6targetE1EEEvT1_,"axG",@progbits,_ZN7rocprim17ROCPRIM_400000_NS6detail17trampoline_kernelINS0_14default_configENS1_20scan_config_selectorIsEEZZNS1_9scan_implILNS1_25lookback_scan_determinismE0ELb1ELb1ES3_N6thrust23THRUST_200600_302600_NS6detail15normal_iteratorINS9_10device_ptrIsEEEESE_sNS9_4plusIvEEsEEDaPvRmT3_T4_T5_mT6_P12ihipStream_tbENKUlT_T0_E_clISt17integral_constantIbLb1EESU_EEDaSP_SQ_EUlSP_E_NS1_11comp_targetILNS1_3genE10ELNS1_11target_archE1201ELNS1_3gpuE5ELNS1_3repE0EEENS1_30default_config_static_selectorELNS0_4arch9wavefront6targetE1EEEvT1_,comdat
	.protected	_ZN7rocprim17ROCPRIM_400000_NS6detail17trampoline_kernelINS0_14default_configENS1_20scan_config_selectorIsEEZZNS1_9scan_implILNS1_25lookback_scan_determinismE0ELb1ELb1ES3_N6thrust23THRUST_200600_302600_NS6detail15normal_iteratorINS9_10device_ptrIsEEEESE_sNS9_4plusIvEEsEEDaPvRmT3_T4_T5_mT6_P12ihipStream_tbENKUlT_T0_E_clISt17integral_constantIbLb1EESU_EEDaSP_SQ_EUlSP_E_NS1_11comp_targetILNS1_3genE10ELNS1_11target_archE1201ELNS1_3gpuE5ELNS1_3repE0EEENS1_30default_config_static_selectorELNS0_4arch9wavefront6targetE1EEEvT1_ ; -- Begin function _ZN7rocprim17ROCPRIM_400000_NS6detail17trampoline_kernelINS0_14default_configENS1_20scan_config_selectorIsEEZZNS1_9scan_implILNS1_25lookback_scan_determinismE0ELb1ELb1ES3_N6thrust23THRUST_200600_302600_NS6detail15normal_iteratorINS9_10device_ptrIsEEEESE_sNS9_4plusIvEEsEEDaPvRmT3_T4_T5_mT6_P12ihipStream_tbENKUlT_T0_E_clISt17integral_constantIbLb1EESU_EEDaSP_SQ_EUlSP_E_NS1_11comp_targetILNS1_3genE10ELNS1_11target_archE1201ELNS1_3gpuE5ELNS1_3repE0EEENS1_30default_config_static_selectorELNS0_4arch9wavefront6targetE1EEEvT1_
	.globl	_ZN7rocprim17ROCPRIM_400000_NS6detail17trampoline_kernelINS0_14default_configENS1_20scan_config_selectorIsEEZZNS1_9scan_implILNS1_25lookback_scan_determinismE0ELb1ELb1ES3_N6thrust23THRUST_200600_302600_NS6detail15normal_iteratorINS9_10device_ptrIsEEEESE_sNS9_4plusIvEEsEEDaPvRmT3_T4_T5_mT6_P12ihipStream_tbENKUlT_T0_E_clISt17integral_constantIbLb1EESU_EEDaSP_SQ_EUlSP_E_NS1_11comp_targetILNS1_3genE10ELNS1_11target_archE1201ELNS1_3gpuE5ELNS1_3repE0EEENS1_30default_config_static_selectorELNS0_4arch9wavefront6targetE1EEEvT1_
	.p2align	8
	.type	_ZN7rocprim17ROCPRIM_400000_NS6detail17trampoline_kernelINS0_14default_configENS1_20scan_config_selectorIsEEZZNS1_9scan_implILNS1_25lookback_scan_determinismE0ELb1ELb1ES3_N6thrust23THRUST_200600_302600_NS6detail15normal_iteratorINS9_10device_ptrIsEEEESE_sNS9_4plusIvEEsEEDaPvRmT3_T4_T5_mT6_P12ihipStream_tbENKUlT_T0_E_clISt17integral_constantIbLb1EESU_EEDaSP_SQ_EUlSP_E_NS1_11comp_targetILNS1_3genE10ELNS1_11target_archE1201ELNS1_3gpuE5ELNS1_3repE0EEENS1_30default_config_static_selectorELNS0_4arch9wavefront6targetE1EEEvT1_,@function
_ZN7rocprim17ROCPRIM_400000_NS6detail17trampoline_kernelINS0_14default_configENS1_20scan_config_selectorIsEEZZNS1_9scan_implILNS1_25lookback_scan_determinismE0ELb1ELb1ES3_N6thrust23THRUST_200600_302600_NS6detail15normal_iteratorINS9_10device_ptrIsEEEESE_sNS9_4plusIvEEsEEDaPvRmT3_T4_T5_mT6_P12ihipStream_tbENKUlT_T0_E_clISt17integral_constantIbLb1EESU_EEDaSP_SQ_EUlSP_E_NS1_11comp_targetILNS1_3genE10ELNS1_11target_archE1201ELNS1_3gpuE5ELNS1_3repE0EEENS1_30default_config_static_selectorELNS0_4arch9wavefront6targetE1EEEvT1_: ; @_ZN7rocprim17ROCPRIM_400000_NS6detail17trampoline_kernelINS0_14default_configENS1_20scan_config_selectorIsEEZZNS1_9scan_implILNS1_25lookback_scan_determinismE0ELb1ELb1ES3_N6thrust23THRUST_200600_302600_NS6detail15normal_iteratorINS9_10device_ptrIsEEEESE_sNS9_4plusIvEEsEEDaPvRmT3_T4_T5_mT6_P12ihipStream_tbENKUlT_T0_E_clISt17integral_constantIbLb1EESU_EEDaSP_SQ_EUlSP_E_NS1_11comp_targetILNS1_3genE10ELNS1_11target_archE1201ELNS1_3gpuE5ELNS1_3repE0EEENS1_30default_config_static_selectorELNS0_4arch9wavefront6targetE1EEEvT1_
; %bb.0:
	.section	.rodata,"a",@progbits
	.p2align	6, 0x0
	.amdhsa_kernel _ZN7rocprim17ROCPRIM_400000_NS6detail17trampoline_kernelINS0_14default_configENS1_20scan_config_selectorIsEEZZNS1_9scan_implILNS1_25lookback_scan_determinismE0ELb1ELb1ES3_N6thrust23THRUST_200600_302600_NS6detail15normal_iteratorINS9_10device_ptrIsEEEESE_sNS9_4plusIvEEsEEDaPvRmT3_T4_T5_mT6_P12ihipStream_tbENKUlT_T0_E_clISt17integral_constantIbLb1EESU_EEDaSP_SQ_EUlSP_E_NS1_11comp_targetILNS1_3genE10ELNS1_11target_archE1201ELNS1_3gpuE5ELNS1_3repE0EEENS1_30default_config_static_selectorELNS0_4arch9wavefront6targetE1EEEvT1_
		.amdhsa_group_segment_fixed_size 0
		.amdhsa_private_segment_fixed_size 0
		.amdhsa_kernarg_size 96
		.amdhsa_user_sgpr_count 6
		.amdhsa_user_sgpr_private_segment_buffer 1
		.amdhsa_user_sgpr_dispatch_ptr 0
		.amdhsa_user_sgpr_queue_ptr 0
		.amdhsa_user_sgpr_kernarg_segment_ptr 1
		.amdhsa_user_sgpr_dispatch_id 0
		.amdhsa_user_sgpr_flat_scratch_init 0
		.amdhsa_user_sgpr_kernarg_preload_length 0
		.amdhsa_user_sgpr_kernarg_preload_offset 0
		.amdhsa_user_sgpr_private_segment_size 0
		.amdhsa_uses_dynamic_stack 0
		.amdhsa_system_sgpr_private_segment_wavefront_offset 0
		.amdhsa_system_sgpr_workgroup_id_x 1
		.amdhsa_system_sgpr_workgroup_id_y 0
		.amdhsa_system_sgpr_workgroup_id_z 0
		.amdhsa_system_sgpr_workgroup_info 0
		.amdhsa_system_vgpr_workitem_id 0
		.amdhsa_next_free_vgpr 1
		.amdhsa_next_free_sgpr 0
		.amdhsa_accum_offset 4
		.amdhsa_reserve_vcc 0
		.amdhsa_reserve_flat_scratch 0
		.amdhsa_float_round_mode_32 0
		.amdhsa_float_round_mode_16_64 0
		.amdhsa_float_denorm_mode_32 3
		.amdhsa_float_denorm_mode_16_64 3
		.amdhsa_dx10_clamp 1
		.amdhsa_ieee_mode 1
		.amdhsa_fp16_overflow 0
		.amdhsa_tg_split 0
		.amdhsa_exception_fp_ieee_invalid_op 0
		.amdhsa_exception_fp_denorm_src 0
		.amdhsa_exception_fp_ieee_div_zero 0
		.amdhsa_exception_fp_ieee_overflow 0
		.amdhsa_exception_fp_ieee_underflow 0
		.amdhsa_exception_fp_ieee_inexact 0
		.amdhsa_exception_int_div_zero 0
	.end_amdhsa_kernel
	.section	.text._ZN7rocprim17ROCPRIM_400000_NS6detail17trampoline_kernelINS0_14default_configENS1_20scan_config_selectorIsEEZZNS1_9scan_implILNS1_25lookback_scan_determinismE0ELb1ELb1ES3_N6thrust23THRUST_200600_302600_NS6detail15normal_iteratorINS9_10device_ptrIsEEEESE_sNS9_4plusIvEEsEEDaPvRmT3_T4_T5_mT6_P12ihipStream_tbENKUlT_T0_E_clISt17integral_constantIbLb1EESU_EEDaSP_SQ_EUlSP_E_NS1_11comp_targetILNS1_3genE10ELNS1_11target_archE1201ELNS1_3gpuE5ELNS1_3repE0EEENS1_30default_config_static_selectorELNS0_4arch9wavefront6targetE1EEEvT1_,"axG",@progbits,_ZN7rocprim17ROCPRIM_400000_NS6detail17trampoline_kernelINS0_14default_configENS1_20scan_config_selectorIsEEZZNS1_9scan_implILNS1_25lookback_scan_determinismE0ELb1ELb1ES3_N6thrust23THRUST_200600_302600_NS6detail15normal_iteratorINS9_10device_ptrIsEEEESE_sNS9_4plusIvEEsEEDaPvRmT3_T4_T5_mT6_P12ihipStream_tbENKUlT_T0_E_clISt17integral_constantIbLb1EESU_EEDaSP_SQ_EUlSP_E_NS1_11comp_targetILNS1_3genE10ELNS1_11target_archE1201ELNS1_3gpuE5ELNS1_3repE0EEENS1_30default_config_static_selectorELNS0_4arch9wavefront6targetE1EEEvT1_,comdat
.Lfunc_end1002:
	.size	_ZN7rocprim17ROCPRIM_400000_NS6detail17trampoline_kernelINS0_14default_configENS1_20scan_config_selectorIsEEZZNS1_9scan_implILNS1_25lookback_scan_determinismE0ELb1ELb1ES3_N6thrust23THRUST_200600_302600_NS6detail15normal_iteratorINS9_10device_ptrIsEEEESE_sNS9_4plusIvEEsEEDaPvRmT3_T4_T5_mT6_P12ihipStream_tbENKUlT_T0_E_clISt17integral_constantIbLb1EESU_EEDaSP_SQ_EUlSP_E_NS1_11comp_targetILNS1_3genE10ELNS1_11target_archE1201ELNS1_3gpuE5ELNS1_3repE0EEENS1_30default_config_static_selectorELNS0_4arch9wavefront6targetE1EEEvT1_, .Lfunc_end1002-_ZN7rocprim17ROCPRIM_400000_NS6detail17trampoline_kernelINS0_14default_configENS1_20scan_config_selectorIsEEZZNS1_9scan_implILNS1_25lookback_scan_determinismE0ELb1ELb1ES3_N6thrust23THRUST_200600_302600_NS6detail15normal_iteratorINS9_10device_ptrIsEEEESE_sNS9_4plusIvEEsEEDaPvRmT3_T4_T5_mT6_P12ihipStream_tbENKUlT_T0_E_clISt17integral_constantIbLb1EESU_EEDaSP_SQ_EUlSP_E_NS1_11comp_targetILNS1_3genE10ELNS1_11target_archE1201ELNS1_3gpuE5ELNS1_3repE0EEENS1_30default_config_static_selectorELNS0_4arch9wavefront6targetE1EEEvT1_
                                        ; -- End function
	.section	.AMDGPU.csdata,"",@progbits
; Kernel info:
; codeLenInByte = 0
; NumSgprs: 4
; NumVgprs: 0
; NumAgprs: 0
; TotalNumVgprs: 0
; ScratchSize: 0
; MemoryBound: 0
; FloatMode: 240
; IeeeMode: 1
; LDSByteSize: 0 bytes/workgroup (compile time only)
; SGPRBlocks: 0
; VGPRBlocks: 0
; NumSGPRsForWavesPerEU: 4
; NumVGPRsForWavesPerEU: 1
; AccumOffset: 4
; Occupancy: 8
; WaveLimiterHint : 0
; COMPUTE_PGM_RSRC2:SCRATCH_EN: 0
; COMPUTE_PGM_RSRC2:USER_SGPR: 6
; COMPUTE_PGM_RSRC2:TRAP_HANDLER: 0
; COMPUTE_PGM_RSRC2:TGID_X_EN: 1
; COMPUTE_PGM_RSRC2:TGID_Y_EN: 0
; COMPUTE_PGM_RSRC2:TGID_Z_EN: 0
; COMPUTE_PGM_RSRC2:TIDIG_COMP_CNT: 0
; COMPUTE_PGM_RSRC3_GFX90A:ACCUM_OFFSET: 0
; COMPUTE_PGM_RSRC3_GFX90A:TG_SPLIT: 0
	.section	.text._ZN7rocprim17ROCPRIM_400000_NS6detail17trampoline_kernelINS0_14default_configENS1_20scan_config_selectorIsEEZZNS1_9scan_implILNS1_25lookback_scan_determinismE0ELb1ELb1ES3_N6thrust23THRUST_200600_302600_NS6detail15normal_iteratorINS9_10device_ptrIsEEEESE_sNS9_4plusIvEEsEEDaPvRmT3_T4_T5_mT6_P12ihipStream_tbENKUlT_T0_E_clISt17integral_constantIbLb1EESU_EEDaSP_SQ_EUlSP_E_NS1_11comp_targetILNS1_3genE10ELNS1_11target_archE1200ELNS1_3gpuE4ELNS1_3repE0EEENS1_30default_config_static_selectorELNS0_4arch9wavefront6targetE1EEEvT1_,"axG",@progbits,_ZN7rocprim17ROCPRIM_400000_NS6detail17trampoline_kernelINS0_14default_configENS1_20scan_config_selectorIsEEZZNS1_9scan_implILNS1_25lookback_scan_determinismE0ELb1ELb1ES3_N6thrust23THRUST_200600_302600_NS6detail15normal_iteratorINS9_10device_ptrIsEEEESE_sNS9_4plusIvEEsEEDaPvRmT3_T4_T5_mT6_P12ihipStream_tbENKUlT_T0_E_clISt17integral_constantIbLb1EESU_EEDaSP_SQ_EUlSP_E_NS1_11comp_targetILNS1_3genE10ELNS1_11target_archE1200ELNS1_3gpuE4ELNS1_3repE0EEENS1_30default_config_static_selectorELNS0_4arch9wavefront6targetE1EEEvT1_,comdat
	.protected	_ZN7rocprim17ROCPRIM_400000_NS6detail17trampoline_kernelINS0_14default_configENS1_20scan_config_selectorIsEEZZNS1_9scan_implILNS1_25lookback_scan_determinismE0ELb1ELb1ES3_N6thrust23THRUST_200600_302600_NS6detail15normal_iteratorINS9_10device_ptrIsEEEESE_sNS9_4plusIvEEsEEDaPvRmT3_T4_T5_mT6_P12ihipStream_tbENKUlT_T0_E_clISt17integral_constantIbLb1EESU_EEDaSP_SQ_EUlSP_E_NS1_11comp_targetILNS1_3genE10ELNS1_11target_archE1200ELNS1_3gpuE4ELNS1_3repE0EEENS1_30default_config_static_selectorELNS0_4arch9wavefront6targetE1EEEvT1_ ; -- Begin function _ZN7rocprim17ROCPRIM_400000_NS6detail17trampoline_kernelINS0_14default_configENS1_20scan_config_selectorIsEEZZNS1_9scan_implILNS1_25lookback_scan_determinismE0ELb1ELb1ES3_N6thrust23THRUST_200600_302600_NS6detail15normal_iteratorINS9_10device_ptrIsEEEESE_sNS9_4plusIvEEsEEDaPvRmT3_T4_T5_mT6_P12ihipStream_tbENKUlT_T0_E_clISt17integral_constantIbLb1EESU_EEDaSP_SQ_EUlSP_E_NS1_11comp_targetILNS1_3genE10ELNS1_11target_archE1200ELNS1_3gpuE4ELNS1_3repE0EEENS1_30default_config_static_selectorELNS0_4arch9wavefront6targetE1EEEvT1_
	.globl	_ZN7rocprim17ROCPRIM_400000_NS6detail17trampoline_kernelINS0_14default_configENS1_20scan_config_selectorIsEEZZNS1_9scan_implILNS1_25lookback_scan_determinismE0ELb1ELb1ES3_N6thrust23THRUST_200600_302600_NS6detail15normal_iteratorINS9_10device_ptrIsEEEESE_sNS9_4plusIvEEsEEDaPvRmT3_T4_T5_mT6_P12ihipStream_tbENKUlT_T0_E_clISt17integral_constantIbLb1EESU_EEDaSP_SQ_EUlSP_E_NS1_11comp_targetILNS1_3genE10ELNS1_11target_archE1200ELNS1_3gpuE4ELNS1_3repE0EEENS1_30default_config_static_selectorELNS0_4arch9wavefront6targetE1EEEvT1_
	.p2align	8
	.type	_ZN7rocprim17ROCPRIM_400000_NS6detail17trampoline_kernelINS0_14default_configENS1_20scan_config_selectorIsEEZZNS1_9scan_implILNS1_25lookback_scan_determinismE0ELb1ELb1ES3_N6thrust23THRUST_200600_302600_NS6detail15normal_iteratorINS9_10device_ptrIsEEEESE_sNS9_4plusIvEEsEEDaPvRmT3_T4_T5_mT6_P12ihipStream_tbENKUlT_T0_E_clISt17integral_constantIbLb1EESU_EEDaSP_SQ_EUlSP_E_NS1_11comp_targetILNS1_3genE10ELNS1_11target_archE1200ELNS1_3gpuE4ELNS1_3repE0EEENS1_30default_config_static_selectorELNS0_4arch9wavefront6targetE1EEEvT1_,@function
_ZN7rocprim17ROCPRIM_400000_NS6detail17trampoline_kernelINS0_14default_configENS1_20scan_config_selectorIsEEZZNS1_9scan_implILNS1_25lookback_scan_determinismE0ELb1ELb1ES3_N6thrust23THRUST_200600_302600_NS6detail15normal_iteratorINS9_10device_ptrIsEEEESE_sNS9_4plusIvEEsEEDaPvRmT3_T4_T5_mT6_P12ihipStream_tbENKUlT_T0_E_clISt17integral_constantIbLb1EESU_EEDaSP_SQ_EUlSP_E_NS1_11comp_targetILNS1_3genE10ELNS1_11target_archE1200ELNS1_3gpuE4ELNS1_3repE0EEENS1_30default_config_static_selectorELNS0_4arch9wavefront6targetE1EEEvT1_: ; @_ZN7rocprim17ROCPRIM_400000_NS6detail17trampoline_kernelINS0_14default_configENS1_20scan_config_selectorIsEEZZNS1_9scan_implILNS1_25lookback_scan_determinismE0ELb1ELb1ES3_N6thrust23THRUST_200600_302600_NS6detail15normal_iteratorINS9_10device_ptrIsEEEESE_sNS9_4plusIvEEsEEDaPvRmT3_T4_T5_mT6_P12ihipStream_tbENKUlT_T0_E_clISt17integral_constantIbLb1EESU_EEDaSP_SQ_EUlSP_E_NS1_11comp_targetILNS1_3genE10ELNS1_11target_archE1200ELNS1_3gpuE4ELNS1_3repE0EEENS1_30default_config_static_selectorELNS0_4arch9wavefront6targetE1EEEvT1_
; %bb.0:
	.section	.rodata,"a",@progbits
	.p2align	6, 0x0
	.amdhsa_kernel _ZN7rocprim17ROCPRIM_400000_NS6detail17trampoline_kernelINS0_14default_configENS1_20scan_config_selectorIsEEZZNS1_9scan_implILNS1_25lookback_scan_determinismE0ELb1ELb1ES3_N6thrust23THRUST_200600_302600_NS6detail15normal_iteratorINS9_10device_ptrIsEEEESE_sNS9_4plusIvEEsEEDaPvRmT3_T4_T5_mT6_P12ihipStream_tbENKUlT_T0_E_clISt17integral_constantIbLb1EESU_EEDaSP_SQ_EUlSP_E_NS1_11comp_targetILNS1_3genE10ELNS1_11target_archE1200ELNS1_3gpuE4ELNS1_3repE0EEENS1_30default_config_static_selectorELNS0_4arch9wavefront6targetE1EEEvT1_
		.amdhsa_group_segment_fixed_size 0
		.amdhsa_private_segment_fixed_size 0
		.amdhsa_kernarg_size 96
		.amdhsa_user_sgpr_count 6
		.amdhsa_user_sgpr_private_segment_buffer 1
		.amdhsa_user_sgpr_dispatch_ptr 0
		.amdhsa_user_sgpr_queue_ptr 0
		.amdhsa_user_sgpr_kernarg_segment_ptr 1
		.amdhsa_user_sgpr_dispatch_id 0
		.amdhsa_user_sgpr_flat_scratch_init 0
		.amdhsa_user_sgpr_kernarg_preload_length 0
		.amdhsa_user_sgpr_kernarg_preload_offset 0
		.amdhsa_user_sgpr_private_segment_size 0
		.amdhsa_uses_dynamic_stack 0
		.amdhsa_system_sgpr_private_segment_wavefront_offset 0
		.amdhsa_system_sgpr_workgroup_id_x 1
		.amdhsa_system_sgpr_workgroup_id_y 0
		.amdhsa_system_sgpr_workgroup_id_z 0
		.amdhsa_system_sgpr_workgroup_info 0
		.amdhsa_system_vgpr_workitem_id 0
		.amdhsa_next_free_vgpr 1
		.amdhsa_next_free_sgpr 0
		.amdhsa_accum_offset 4
		.amdhsa_reserve_vcc 0
		.amdhsa_reserve_flat_scratch 0
		.amdhsa_float_round_mode_32 0
		.amdhsa_float_round_mode_16_64 0
		.amdhsa_float_denorm_mode_32 3
		.amdhsa_float_denorm_mode_16_64 3
		.amdhsa_dx10_clamp 1
		.amdhsa_ieee_mode 1
		.amdhsa_fp16_overflow 0
		.amdhsa_tg_split 0
		.amdhsa_exception_fp_ieee_invalid_op 0
		.amdhsa_exception_fp_denorm_src 0
		.amdhsa_exception_fp_ieee_div_zero 0
		.amdhsa_exception_fp_ieee_overflow 0
		.amdhsa_exception_fp_ieee_underflow 0
		.amdhsa_exception_fp_ieee_inexact 0
		.amdhsa_exception_int_div_zero 0
	.end_amdhsa_kernel
	.section	.text._ZN7rocprim17ROCPRIM_400000_NS6detail17trampoline_kernelINS0_14default_configENS1_20scan_config_selectorIsEEZZNS1_9scan_implILNS1_25lookback_scan_determinismE0ELb1ELb1ES3_N6thrust23THRUST_200600_302600_NS6detail15normal_iteratorINS9_10device_ptrIsEEEESE_sNS9_4plusIvEEsEEDaPvRmT3_T4_T5_mT6_P12ihipStream_tbENKUlT_T0_E_clISt17integral_constantIbLb1EESU_EEDaSP_SQ_EUlSP_E_NS1_11comp_targetILNS1_3genE10ELNS1_11target_archE1200ELNS1_3gpuE4ELNS1_3repE0EEENS1_30default_config_static_selectorELNS0_4arch9wavefront6targetE1EEEvT1_,"axG",@progbits,_ZN7rocprim17ROCPRIM_400000_NS6detail17trampoline_kernelINS0_14default_configENS1_20scan_config_selectorIsEEZZNS1_9scan_implILNS1_25lookback_scan_determinismE0ELb1ELb1ES3_N6thrust23THRUST_200600_302600_NS6detail15normal_iteratorINS9_10device_ptrIsEEEESE_sNS9_4plusIvEEsEEDaPvRmT3_T4_T5_mT6_P12ihipStream_tbENKUlT_T0_E_clISt17integral_constantIbLb1EESU_EEDaSP_SQ_EUlSP_E_NS1_11comp_targetILNS1_3genE10ELNS1_11target_archE1200ELNS1_3gpuE4ELNS1_3repE0EEENS1_30default_config_static_selectorELNS0_4arch9wavefront6targetE1EEEvT1_,comdat
.Lfunc_end1003:
	.size	_ZN7rocprim17ROCPRIM_400000_NS6detail17trampoline_kernelINS0_14default_configENS1_20scan_config_selectorIsEEZZNS1_9scan_implILNS1_25lookback_scan_determinismE0ELb1ELb1ES3_N6thrust23THRUST_200600_302600_NS6detail15normal_iteratorINS9_10device_ptrIsEEEESE_sNS9_4plusIvEEsEEDaPvRmT3_T4_T5_mT6_P12ihipStream_tbENKUlT_T0_E_clISt17integral_constantIbLb1EESU_EEDaSP_SQ_EUlSP_E_NS1_11comp_targetILNS1_3genE10ELNS1_11target_archE1200ELNS1_3gpuE4ELNS1_3repE0EEENS1_30default_config_static_selectorELNS0_4arch9wavefront6targetE1EEEvT1_, .Lfunc_end1003-_ZN7rocprim17ROCPRIM_400000_NS6detail17trampoline_kernelINS0_14default_configENS1_20scan_config_selectorIsEEZZNS1_9scan_implILNS1_25lookback_scan_determinismE0ELb1ELb1ES3_N6thrust23THRUST_200600_302600_NS6detail15normal_iteratorINS9_10device_ptrIsEEEESE_sNS9_4plusIvEEsEEDaPvRmT3_T4_T5_mT6_P12ihipStream_tbENKUlT_T0_E_clISt17integral_constantIbLb1EESU_EEDaSP_SQ_EUlSP_E_NS1_11comp_targetILNS1_3genE10ELNS1_11target_archE1200ELNS1_3gpuE4ELNS1_3repE0EEENS1_30default_config_static_selectorELNS0_4arch9wavefront6targetE1EEEvT1_
                                        ; -- End function
	.section	.AMDGPU.csdata,"",@progbits
; Kernel info:
; codeLenInByte = 0
; NumSgprs: 4
; NumVgprs: 0
; NumAgprs: 0
; TotalNumVgprs: 0
; ScratchSize: 0
; MemoryBound: 0
; FloatMode: 240
; IeeeMode: 1
; LDSByteSize: 0 bytes/workgroup (compile time only)
; SGPRBlocks: 0
; VGPRBlocks: 0
; NumSGPRsForWavesPerEU: 4
; NumVGPRsForWavesPerEU: 1
; AccumOffset: 4
; Occupancy: 8
; WaveLimiterHint : 0
; COMPUTE_PGM_RSRC2:SCRATCH_EN: 0
; COMPUTE_PGM_RSRC2:USER_SGPR: 6
; COMPUTE_PGM_RSRC2:TRAP_HANDLER: 0
; COMPUTE_PGM_RSRC2:TGID_X_EN: 1
; COMPUTE_PGM_RSRC2:TGID_Y_EN: 0
; COMPUTE_PGM_RSRC2:TGID_Z_EN: 0
; COMPUTE_PGM_RSRC2:TIDIG_COMP_CNT: 0
; COMPUTE_PGM_RSRC3_GFX90A:ACCUM_OFFSET: 0
; COMPUTE_PGM_RSRC3_GFX90A:TG_SPLIT: 0
	.section	.text._ZN7rocprim17ROCPRIM_400000_NS6detail17trampoline_kernelINS0_14default_configENS1_20scan_config_selectorIsEEZZNS1_9scan_implILNS1_25lookback_scan_determinismE0ELb1ELb1ES3_N6thrust23THRUST_200600_302600_NS6detail15normal_iteratorINS9_10device_ptrIsEEEESE_sNS9_4plusIvEEsEEDaPvRmT3_T4_T5_mT6_P12ihipStream_tbENKUlT_T0_E_clISt17integral_constantIbLb1EESU_EEDaSP_SQ_EUlSP_E_NS1_11comp_targetILNS1_3genE9ELNS1_11target_archE1100ELNS1_3gpuE3ELNS1_3repE0EEENS1_30default_config_static_selectorELNS0_4arch9wavefront6targetE1EEEvT1_,"axG",@progbits,_ZN7rocprim17ROCPRIM_400000_NS6detail17trampoline_kernelINS0_14default_configENS1_20scan_config_selectorIsEEZZNS1_9scan_implILNS1_25lookback_scan_determinismE0ELb1ELb1ES3_N6thrust23THRUST_200600_302600_NS6detail15normal_iteratorINS9_10device_ptrIsEEEESE_sNS9_4plusIvEEsEEDaPvRmT3_T4_T5_mT6_P12ihipStream_tbENKUlT_T0_E_clISt17integral_constantIbLb1EESU_EEDaSP_SQ_EUlSP_E_NS1_11comp_targetILNS1_3genE9ELNS1_11target_archE1100ELNS1_3gpuE3ELNS1_3repE0EEENS1_30default_config_static_selectorELNS0_4arch9wavefront6targetE1EEEvT1_,comdat
	.protected	_ZN7rocprim17ROCPRIM_400000_NS6detail17trampoline_kernelINS0_14default_configENS1_20scan_config_selectorIsEEZZNS1_9scan_implILNS1_25lookback_scan_determinismE0ELb1ELb1ES3_N6thrust23THRUST_200600_302600_NS6detail15normal_iteratorINS9_10device_ptrIsEEEESE_sNS9_4plusIvEEsEEDaPvRmT3_T4_T5_mT6_P12ihipStream_tbENKUlT_T0_E_clISt17integral_constantIbLb1EESU_EEDaSP_SQ_EUlSP_E_NS1_11comp_targetILNS1_3genE9ELNS1_11target_archE1100ELNS1_3gpuE3ELNS1_3repE0EEENS1_30default_config_static_selectorELNS0_4arch9wavefront6targetE1EEEvT1_ ; -- Begin function _ZN7rocprim17ROCPRIM_400000_NS6detail17trampoline_kernelINS0_14default_configENS1_20scan_config_selectorIsEEZZNS1_9scan_implILNS1_25lookback_scan_determinismE0ELb1ELb1ES3_N6thrust23THRUST_200600_302600_NS6detail15normal_iteratorINS9_10device_ptrIsEEEESE_sNS9_4plusIvEEsEEDaPvRmT3_T4_T5_mT6_P12ihipStream_tbENKUlT_T0_E_clISt17integral_constantIbLb1EESU_EEDaSP_SQ_EUlSP_E_NS1_11comp_targetILNS1_3genE9ELNS1_11target_archE1100ELNS1_3gpuE3ELNS1_3repE0EEENS1_30default_config_static_selectorELNS0_4arch9wavefront6targetE1EEEvT1_
	.globl	_ZN7rocprim17ROCPRIM_400000_NS6detail17trampoline_kernelINS0_14default_configENS1_20scan_config_selectorIsEEZZNS1_9scan_implILNS1_25lookback_scan_determinismE0ELb1ELb1ES3_N6thrust23THRUST_200600_302600_NS6detail15normal_iteratorINS9_10device_ptrIsEEEESE_sNS9_4plusIvEEsEEDaPvRmT3_T4_T5_mT6_P12ihipStream_tbENKUlT_T0_E_clISt17integral_constantIbLb1EESU_EEDaSP_SQ_EUlSP_E_NS1_11comp_targetILNS1_3genE9ELNS1_11target_archE1100ELNS1_3gpuE3ELNS1_3repE0EEENS1_30default_config_static_selectorELNS0_4arch9wavefront6targetE1EEEvT1_
	.p2align	8
	.type	_ZN7rocprim17ROCPRIM_400000_NS6detail17trampoline_kernelINS0_14default_configENS1_20scan_config_selectorIsEEZZNS1_9scan_implILNS1_25lookback_scan_determinismE0ELb1ELb1ES3_N6thrust23THRUST_200600_302600_NS6detail15normal_iteratorINS9_10device_ptrIsEEEESE_sNS9_4plusIvEEsEEDaPvRmT3_T4_T5_mT6_P12ihipStream_tbENKUlT_T0_E_clISt17integral_constantIbLb1EESU_EEDaSP_SQ_EUlSP_E_NS1_11comp_targetILNS1_3genE9ELNS1_11target_archE1100ELNS1_3gpuE3ELNS1_3repE0EEENS1_30default_config_static_selectorELNS0_4arch9wavefront6targetE1EEEvT1_,@function
_ZN7rocprim17ROCPRIM_400000_NS6detail17trampoline_kernelINS0_14default_configENS1_20scan_config_selectorIsEEZZNS1_9scan_implILNS1_25lookback_scan_determinismE0ELb1ELb1ES3_N6thrust23THRUST_200600_302600_NS6detail15normal_iteratorINS9_10device_ptrIsEEEESE_sNS9_4plusIvEEsEEDaPvRmT3_T4_T5_mT6_P12ihipStream_tbENKUlT_T0_E_clISt17integral_constantIbLb1EESU_EEDaSP_SQ_EUlSP_E_NS1_11comp_targetILNS1_3genE9ELNS1_11target_archE1100ELNS1_3gpuE3ELNS1_3repE0EEENS1_30default_config_static_selectorELNS0_4arch9wavefront6targetE1EEEvT1_: ; @_ZN7rocprim17ROCPRIM_400000_NS6detail17trampoline_kernelINS0_14default_configENS1_20scan_config_selectorIsEEZZNS1_9scan_implILNS1_25lookback_scan_determinismE0ELb1ELb1ES3_N6thrust23THRUST_200600_302600_NS6detail15normal_iteratorINS9_10device_ptrIsEEEESE_sNS9_4plusIvEEsEEDaPvRmT3_T4_T5_mT6_P12ihipStream_tbENKUlT_T0_E_clISt17integral_constantIbLb1EESU_EEDaSP_SQ_EUlSP_E_NS1_11comp_targetILNS1_3genE9ELNS1_11target_archE1100ELNS1_3gpuE3ELNS1_3repE0EEENS1_30default_config_static_selectorELNS0_4arch9wavefront6targetE1EEEvT1_
; %bb.0:
	.section	.rodata,"a",@progbits
	.p2align	6, 0x0
	.amdhsa_kernel _ZN7rocprim17ROCPRIM_400000_NS6detail17trampoline_kernelINS0_14default_configENS1_20scan_config_selectorIsEEZZNS1_9scan_implILNS1_25lookback_scan_determinismE0ELb1ELb1ES3_N6thrust23THRUST_200600_302600_NS6detail15normal_iteratorINS9_10device_ptrIsEEEESE_sNS9_4plusIvEEsEEDaPvRmT3_T4_T5_mT6_P12ihipStream_tbENKUlT_T0_E_clISt17integral_constantIbLb1EESU_EEDaSP_SQ_EUlSP_E_NS1_11comp_targetILNS1_3genE9ELNS1_11target_archE1100ELNS1_3gpuE3ELNS1_3repE0EEENS1_30default_config_static_selectorELNS0_4arch9wavefront6targetE1EEEvT1_
		.amdhsa_group_segment_fixed_size 0
		.amdhsa_private_segment_fixed_size 0
		.amdhsa_kernarg_size 96
		.amdhsa_user_sgpr_count 6
		.amdhsa_user_sgpr_private_segment_buffer 1
		.amdhsa_user_sgpr_dispatch_ptr 0
		.amdhsa_user_sgpr_queue_ptr 0
		.amdhsa_user_sgpr_kernarg_segment_ptr 1
		.amdhsa_user_sgpr_dispatch_id 0
		.amdhsa_user_sgpr_flat_scratch_init 0
		.amdhsa_user_sgpr_kernarg_preload_length 0
		.amdhsa_user_sgpr_kernarg_preload_offset 0
		.amdhsa_user_sgpr_private_segment_size 0
		.amdhsa_uses_dynamic_stack 0
		.amdhsa_system_sgpr_private_segment_wavefront_offset 0
		.amdhsa_system_sgpr_workgroup_id_x 1
		.amdhsa_system_sgpr_workgroup_id_y 0
		.amdhsa_system_sgpr_workgroup_id_z 0
		.amdhsa_system_sgpr_workgroup_info 0
		.amdhsa_system_vgpr_workitem_id 0
		.amdhsa_next_free_vgpr 1
		.amdhsa_next_free_sgpr 0
		.amdhsa_accum_offset 4
		.amdhsa_reserve_vcc 0
		.amdhsa_reserve_flat_scratch 0
		.amdhsa_float_round_mode_32 0
		.amdhsa_float_round_mode_16_64 0
		.amdhsa_float_denorm_mode_32 3
		.amdhsa_float_denorm_mode_16_64 3
		.amdhsa_dx10_clamp 1
		.amdhsa_ieee_mode 1
		.amdhsa_fp16_overflow 0
		.amdhsa_tg_split 0
		.amdhsa_exception_fp_ieee_invalid_op 0
		.amdhsa_exception_fp_denorm_src 0
		.amdhsa_exception_fp_ieee_div_zero 0
		.amdhsa_exception_fp_ieee_overflow 0
		.amdhsa_exception_fp_ieee_underflow 0
		.amdhsa_exception_fp_ieee_inexact 0
		.amdhsa_exception_int_div_zero 0
	.end_amdhsa_kernel
	.section	.text._ZN7rocprim17ROCPRIM_400000_NS6detail17trampoline_kernelINS0_14default_configENS1_20scan_config_selectorIsEEZZNS1_9scan_implILNS1_25lookback_scan_determinismE0ELb1ELb1ES3_N6thrust23THRUST_200600_302600_NS6detail15normal_iteratorINS9_10device_ptrIsEEEESE_sNS9_4plusIvEEsEEDaPvRmT3_T4_T5_mT6_P12ihipStream_tbENKUlT_T0_E_clISt17integral_constantIbLb1EESU_EEDaSP_SQ_EUlSP_E_NS1_11comp_targetILNS1_3genE9ELNS1_11target_archE1100ELNS1_3gpuE3ELNS1_3repE0EEENS1_30default_config_static_selectorELNS0_4arch9wavefront6targetE1EEEvT1_,"axG",@progbits,_ZN7rocprim17ROCPRIM_400000_NS6detail17trampoline_kernelINS0_14default_configENS1_20scan_config_selectorIsEEZZNS1_9scan_implILNS1_25lookback_scan_determinismE0ELb1ELb1ES3_N6thrust23THRUST_200600_302600_NS6detail15normal_iteratorINS9_10device_ptrIsEEEESE_sNS9_4plusIvEEsEEDaPvRmT3_T4_T5_mT6_P12ihipStream_tbENKUlT_T0_E_clISt17integral_constantIbLb1EESU_EEDaSP_SQ_EUlSP_E_NS1_11comp_targetILNS1_3genE9ELNS1_11target_archE1100ELNS1_3gpuE3ELNS1_3repE0EEENS1_30default_config_static_selectorELNS0_4arch9wavefront6targetE1EEEvT1_,comdat
.Lfunc_end1004:
	.size	_ZN7rocprim17ROCPRIM_400000_NS6detail17trampoline_kernelINS0_14default_configENS1_20scan_config_selectorIsEEZZNS1_9scan_implILNS1_25lookback_scan_determinismE0ELb1ELb1ES3_N6thrust23THRUST_200600_302600_NS6detail15normal_iteratorINS9_10device_ptrIsEEEESE_sNS9_4plusIvEEsEEDaPvRmT3_T4_T5_mT6_P12ihipStream_tbENKUlT_T0_E_clISt17integral_constantIbLb1EESU_EEDaSP_SQ_EUlSP_E_NS1_11comp_targetILNS1_3genE9ELNS1_11target_archE1100ELNS1_3gpuE3ELNS1_3repE0EEENS1_30default_config_static_selectorELNS0_4arch9wavefront6targetE1EEEvT1_, .Lfunc_end1004-_ZN7rocprim17ROCPRIM_400000_NS6detail17trampoline_kernelINS0_14default_configENS1_20scan_config_selectorIsEEZZNS1_9scan_implILNS1_25lookback_scan_determinismE0ELb1ELb1ES3_N6thrust23THRUST_200600_302600_NS6detail15normal_iteratorINS9_10device_ptrIsEEEESE_sNS9_4plusIvEEsEEDaPvRmT3_T4_T5_mT6_P12ihipStream_tbENKUlT_T0_E_clISt17integral_constantIbLb1EESU_EEDaSP_SQ_EUlSP_E_NS1_11comp_targetILNS1_3genE9ELNS1_11target_archE1100ELNS1_3gpuE3ELNS1_3repE0EEENS1_30default_config_static_selectorELNS0_4arch9wavefront6targetE1EEEvT1_
                                        ; -- End function
	.section	.AMDGPU.csdata,"",@progbits
; Kernel info:
; codeLenInByte = 0
; NumSgprs: 4
; NumVgprs: 0
; NumAgprs: 0
; TotalNumVgprs: 0
; ScratchSize: 0
; MemoryBound: 0
; FloatMode: 240
; IeeeMode: 1
; LDSByteSize: 0 bytes/workgroup (compile time only)
; SGPRBlocks: 0
; VGPRBlocks: 0
; NumSGPRsForWavesPerEU: 4
; NumVGPRsForWavesPerEU: 1
; AccumOffset: 4
; Occupancy: 8
; WaveLimiterHint : 0
; COMPUTE_PGM_RSRC2:SCRATCH_EN: 0
; COMPUTE_PGM_RSRC2:USER_SGPR: 6
; COMPUTE_PGM_RSRC2:TRAP_HANDLER: 0
; COMPUTE_PGM_RSRC2:TGID_X_EN: 1
; COMPUTE_PGM_RSRC2:TGID_Y_EN: 0
; COMPUTE_PGM_RSRC2:TGID_Z_EN: 0
; COMPUTE_PGM_RSRC2:TIDIG_COMP_CNT: 0
; COMPUTE_PGM_RSRC3_GFX90A:ACCUM_OFFSET: 0
; COMPUTE_PGM_RSRC3_GFX90A:TG_SPLIT: 0
	.section	.text._ZN7rocprim17ROCPRIM_400000_NS6detail17trampoline_kernelINS0_14default_configENS1_20scan_config_selectorIsEEZZNS1_9scan_implILNS1_25lookback_scan_determinismE0ELb1ELb1ES3_N6thrust23THRUST_200600_302600_NS6detail15normal_iteratorINS9_10device_ptrIsEEEESE_sNS9_4plusIvEEsEEDaPvRmT3_T4_T5_mT6_P12ihipStream_tbENKUlT_T0_E_clISt17integral_constantIbLb1EESU_EEDaSP_SQ_EUlSP_E_NS1_11comp_targetILNS1_3genE8ELNS1_11target_archE1030ELNS1_3gpuE2ELNS1_3repE0EEENS1_30default_config_static_selectorELNS0_4arch9wavefront6targetE1EEEvT1_,"axG",@progbits,_ZN7rocprim17ROCPRIM_400000_NS6detail17trampoline_kernelINS0_14default_configENS1_20scan_config_selectorIsEEZZNS1_9scan_implILNS1_25lookback_scan_determinismE0ELb1ELb1ES3_N6thrust23THRUST_200600_302600_NS6detail15normal_iteratorINS9_10device_ptrIsEEEESE_sNS9_4plusIvEEsEEDaPvRmT3_T4_T5_mT6_P12ihipStream_tbENKUlT_T0_E_clISt17integral_constantIbLb1EESU_EEDaSP_SQ_EUlSP_E_NS1_11comp_targetILNS1_3genE8ELNS1_11target_archE1030ELNS1_3gpuE2ELNS1_3repE0EEENS1_30default_config_static_selectorELNS0_4arch9wavefront6targetE1EEEvT1_,comdat
	.protected	_ZN7rocprim17ROCPRIM_400000_NS6detail17trampoline_kernelINS0_14default_configENS1_20scan_config_selectorIsEEZZNS1_9scan_implILNS1_25lookback_scan_determinismE0ELb1ELb1ES3_N6thrust23THRUST_200600_302600_NS6detail15normal_iteratorINS9_10device_ptrIsEEEESE_sNS9_4plusIvEEsEEDaPvRmT3_T4_T5_mT6_P12ihipStream_tbENKUlT_T0_E_clISt17integral_constantIbLb1EESU_EEDaSP_SQ_EUlSP_E_NS1_11comp_targetILNS1_3genE8ELNS1_11target_archE1030ELNS1_3gpuE2ELNS1_3repE0EEENS1_30default_config_static_selectorELNS0_4arch9wavefront6targetE1EEEvT1_ ; -- Begin function _ZN7rocprim17ROCPRIM_400000_NS6detail17trampoline_kernelINS0_14default_configENS1_20scan_config_selectorIsEEZZNS1_9scan_implILNS1_25lookback_scan_determinismE0ELb1ELb1ES3_N6thrust23THRUST_200600_302600_NS6detail15normal_iteratorINS9_10device_ptrIsEEEESE_sNS9_4plusIvEEsEEDaPvRmT3_T4_T5_mT6_P12ihipStream_tbENKUlT_T0_E_clISt17integral_constantIbLb1EESU_EEDaSP_SQ_EUlSP_E_NS1_11comp_targetILNS1_3genE8ELNS1_11target_archE1030ELNS1_3gpuE2ELNS1_3repE0EEENS1_30default_config_static_selectorELNS0_4arch9wavefront6targetE1EEEvT1_
	.globl	_ZN7rocprim17ROCPRIM_400000_NS6detail17trampoline_kernelINS0_14default_configENS1_20scan_config_selectorIsEEZZNS1_9scan_implILNS1_25lookback_scan_determinismE0ELb1ELb1ES3_N6thrust23THRUST_200600_302600_NS6detail15normal_iteratorINS9_10device_ptrIsEEEESE_sNS9_4plusIvEEsEEDaPvRmT3_T4_T5_mT6_P12ihipStream_tbENKUlT_T0_E_clISt17integral_constantIbLb1EESU_EEDaSP_SQ_EUlSP_E_NS1_11comp_targetILNS1_3genE8ELNS1_11target_archE1030ELNS1_3gpuE2ELNS1_3repE0EEENS1_30default_config_static_selectorELNS0_4arch9wavefront6targetE1EEEvT1_
	.p2align	8
	.type	_ZN7rocprim17ROCPRIM_400000_NS6detail17trampoline_kernelINS0_14default_configENS1_20scan_config_selectorIsEEZZNS1_9scan_implILNS1_25lookback_scan_determinismE0ELb1ELb1ES3_N6thrust23THRUST_200600_302600_NS6detail15normal_iteratorINS9_10device_ptrIsEEEESE_sNS9_4plusIvEEsEEDaPvRmT3_T4_T5_mT6_P12ihipStream_tbENKUlT_T0_E_clISt17integral_constantIbLb1EESU_EEDaSP_SQ_EUlSP_E_NS1_11comp_targetILNS1_3genE8ELNS1_11target_archE1030ELNS1_3gpuE2ELNS1_3repE0EEENS1_30default_config_static_selectorELNS0_4arch9wavefront6targetE1EEEvT1_,@function
_ZN7rocprim17ROCPRIM_400000_NS6detail17trampoline_kernelINS0_14default_configENS1_20scan_config_selectorIsEEZZNS1_9scan_implILNS1_25lookback_scan_determinismE0ELb1ELb1ES3_N6thrust23THRUST_200600_302600_NS6detail15normal_iteratorINS9_10device_ptrIsEEEESE_sNS9_4plusIvEEsEEDaPvRmT3_T4_T5_mT6_P12ihipStream_tbENKUlT_T0_E_clISt17integral_constantIbLb1EESU_EEDaSP_SQ_EUlSP_E_NS1_11comp_targetILNS1_3genE8ELNS1_11target_archE1030ELNS1_3gpuE2ELNS1_3repE0EEENS1_30default_config_static_selectorELNS0_4arch9wavefront6targetE1EEEvT1_: ; @_ZN7rocprim17ROCPRIM_400000_NS6detail17trampoline_kernelINS0_14default_configENS1_20scan_config_selectorIsEEZZNS1_9scan_implILNS1_25lookback_scan_determinismE0ELb1ELb1ES3_N6thrust23THRUST_200600_302600_NS6detail15normal_iteratorINS9_10device_ptrIsEEEESE_sNS9_4plusIvEEsEEDaPvRmT3_T4_T5_mT6_P12ihipStream_tbENKUlT_T0_E_clISt17integral_constantIbLb1EESU_EEDaSP_SQ_EUlSP_E_NS1_11comp_targetILNS1_3genE8ELNS1_11target_archE1030ELNS1_3gpuE2ELNS1_3repE0EEENS1_30default_config_static_selectorELNS0_4arch9wavefront6targetE1EEEvT1_
; %bb.0:
	.section	.rodata,"a",@progbits
	.p2align	6, 0x0
	.amdhsa_kernel _ZN7rocprim17ROCPRIM_400000_NS6detail17trampoline_kernelINS0_14default_configENS1_20scan_config_selectorIsEEZZNS1_9scan_implILNS1_25lookback_scan_determinismE0ELb1ELb1ES3_N6thrust23THRUST_200600_302600_NS6detail15normal_iteratorINS9_10device_ptrIsEEEESE_sNS9_4plusIvEEsEEDaPvRmT3_T4_T5_mT6_P12ihipStream_tbENKUlT_T0_E_clISt17integral_constantIbLb1EESU_EEDaSP_SQ_EUlSP_E_NS1_11comp_targetILNS1_3genE8ELNS1_11target_archE1030ELNS1_3gpuE2ELNS1_3repE0EEENS1_30default_config_static_selectorELNS0_4arch9wavefront6targetE1EEEvT1_
		.amdhsa_group_segment_fixed_size 0
		.amdhsa_private_segment_fixed_size 0
		.amdhsa_kernarg_size 96
		.amdhsa_user_sgpr_count 6
		.amdhsa_user_sgpr_private_segment_buffer 1
		.amdhsa_user_sgpr_dispatch_ptr 0
		.amdhsa_user_sgpr_queue_ptr 0
		.amdhsa_user_sgpr_kernarg_segment_ptr 1
		.amdhsa_user_sgpr_dispatch_id 0
		.amdhsa_user_sgpr_flat_scratch_init 0
		.amdhsa_user_sgpr_kernarg_preload_length 0
		.amdhsa_user_sgpr_kernarg_preload_offset 0
		.amdhsa_user_sgpr_private_segment_size 0
		.amdhsa_uses_dynamic_stack 0
		.amdhsa_system_sgpr_private_segment_wavefront_offset 0
		.amdhsa_system_sgpr_workgroup_id_x 1
		.amdhsa_system_sgpr_workgroup_id_y 0
		.amdhsa_system_sgpr_workgroup_id_z 0
		.amdhsa_system_sgpr_workgroup_info 0
		.amdhsa_system_vgpr_workitem_id 0
		.amdhsa_next_free_vgpr 1
		.amdhsa_next_free_sgpr 0
		.amdhsa_accum_offset 4
		.amdhsa_reserve_vcc 0
		.amdhsa_reserve_flat_scratch 0
		.amdhsa_float_round_mode_32 0
		.amdhsa_float_round_mode_16_64 0
		.amdhsa_float_denorm_mode_32 3
		.amdhsa_float_denorm_mode_16_64 3
		.amdhsa_dx10_clamp 1
		.amdhsa_ieee_mode 1
		.amdhsa_fp16_overflow 0
		.amdhsa_tg_split 0
		.amdhsa_exception_fp_ieee_invalid_op 0
		.amdhsa_exception_fp_denorm_src 0
		.amdhsa_exception_fp_ieee_div_zero 0
		.amdhsa_exception_fp_ieee_overflow 0
		.amdhsa_exception_fp_ieee_underflow 0
		.amdhsa_exception_fp_ieee_inexact 0
		.amdhsa_exception_int_div_zero 0
	.end_amdhsa_kernel
	.section	.text._ZN7rocprim17ROCPRIM_400000_NS6detail17trampoline_kernelINS0_14default_configENS1_20scan_config_selectorIsEEZZNS1_9scan_implILNS1_25lookback_scan_determinismE0ELb1ELb1ES3_N6thrust23THRUST_200600_302600_NS6detail15normal_iteratorINS9_10device_ptrIsEEEESE_sNS9_4plusIvEEsEEDaPvRmT3_T4_T5_mT6_P12ihipStream_tbENKUlT_T0_E_clISt17integral_constantIbLb1EESU_EEDaSP_SQ_EUlSP_E_NS1_11comp_targetILNS1_3genE8ELNS1_11target_archE1030ELNS1_3gpuE2ELNS1_3repE0EEENS1_30default_config_static_selectorELNS0_4arch9wavefront6targetE1EEEvT1_,"axG",@progbits,_ZN7rocprim17ROCPRIM_400000_NS6detail17trampoline_kernelINS0_14default_configENS1_20scan_config_selectorIsEEZZNS1_9scan_implILNS1_25lookback_scan_determinismE0ELb1ELb1ES3_N6thrust23THRUST_200600_302600_NS6detail15normal_iteratorINS9_10device_ptrIsEEEESE_sNS9_4plusIvEEsEEDaPvRmT3_T4_T5_mT6_P12ihipStream_tbENKUlT_T0_E_clISt17integral_constantIbLb1EESU_EEDaSP_SQ_EUlSP_E_NS1_11comp_targetILNS1_3genE8ELNS1_11target_archE1030ELNS1_3gpuE2ELNS1_3repE0EEENS1_30default_config_static_selectorELNS0_4arch9wavefront6targetE1EEEvT1_,comdat
.Lfunc_end1005:
	.size	_ZN7rocprim17ROCPRIM_400000_NS6detail17trampoline_kernelINS0_14default_configENS1_20scan_config_selectorIsEEZZNS1_9scan_implILNS1_25lookback_scan_determinismE0ELb1ELb1ES3_N6thrust23THRUST_200600_302600_NS6detail15normal_iteratorINS9_10device_ptrIsEEEESE_sNS9_4plusIvEEsEEDaPvRmT3_T4_T5_mT6_P12ihipStream_tbENKUlT_T0_E_clISt17integral_constantIbLb1EESU_EEDaSP_SQ_EUlSP_E_NS1_11comp_targetILNS1_3genE8ELNS1_11target_archE1030ELNS1_3gpuE2ELNS1_3repE0EEENS1_30default_config_static_selectorELNS0_4arch9wavefront6targetE1EEEvT1_, .Lfunc_end1005-_ZN7rocprim17ROCPRIM_400000_NS6detail17trampoline_kernelINS0_14default_configENS1_20scan_config_selectorIsEEZZNS1_9scan_implILNS1_25lookback_scan_determinismE0ELb1ELb1ES3_N6thrust23THRUST_200600_302600_NS6detail15normal_iteratorINS9_10device_ptrIsEEEESE_sNS9_4plusIvEEsEEDaPvRmT3_T4_T5_mT6_P12ihipStream_tbENKUlT_T0_E_clISt17integral_constantIbLb1EESU_EEDaSP_SQ_EUlSP_E_NS1_11comp_targetILNS1_3genE8ELNS1_11target_archE1030ELNS1_3gpuE2ELNS1_3repE0EEENS1_30default_config_static_selectorELNS0_4arch9wavefront6targetE1EEEvT1_
                                        ; -- End function
	.section	.AMDGPU.csdata,"",@progbits
; Kernel info:
; codeLenInByte = 0
; NumSgprs: 4
; NumVgprs: 0
; NumAgprs: 0
; TotalNumVgprs: 0
; ScratchSize: 0
; MemoryBound: 0
; FloatMode: 240
; IeeeMode: 1
; LDSByteSize: 0 bytes/workgroup (compile time only)
; SGPRBlocks: 0
; VGPRBlocks: 0
; NumSGPRsForWavesPerEU: 4
; NumVGPRsForWavesPerEU: 1
; AccumOffset: 4
; Occupancy: 8
; WaveLimiterHint : 0
; COMPUTE_PGM_RSRC2:SCRATCH_EN: 0
; COMPUTE_PGM_RSRC2:USER_SGPR: 6
; COMPUTE_PGM_RSRC2:TRAP_HANDLER: 0
; COMPUTE_PGM_RSRC2:TGID_X_EN: 1
; COMPUTE_PGM_RSRC2:TGID_Y_EN: 0
; COMPUTE_PGM_RSRC2:TGID_Z_EN: 0
; COMPUTE_PGM_RSRC2:TIDIG_COMP_CNT: 0
; COMPUTE_PGM_RSRC3_GFX90A:ACCUM_OFFSET: 0
; COMPUTE_PGM_RSRC3_GFX90A:TG_SPLIT: 0
	.section	.text._ZN7rocprim17ROCPRIM_400000_NS6detail17trampoline_kernelINS0_14default_configENS1_20scan_config_selectorIsEEZZNS1_9scan_implILNS1_25lookback_scan_determinismE0ELb1ELb1ES3_N6thrust23THRUST_200600_302600_NS6detail15normal_iteratorINS9_10device_ptrIsEEEESE_sNS9_4plusIvEEsEEDaPvRmT3_T4_T5_mT6_P12ihipStream_tbENKUlT_T0_E_clISt17integral_constantIbLb1EESU_EEDaSP_SQ_EUlSP_E0_NS1_11comp_targetILNS1_3genE0ELNS1_11target_archE4294967295ELNS1_3gpuE0ELNS1_3repE0EEENS1_30default_config_static_selectorELNS0_4arch9wavefront6targetE1EEEvT1_,"axG",@progbits,_ZN7rocprim17ROCPRIM_400000_NS6detail17trampoline_kernelINS0_14default_configENS1_20scan_config_selectorIsEEZZNS1_9scan_implILNS1_25lookback_scan_determinismE0ELb1ELb1ES3_N6thrust23THRUST_200600_302600_NS6detail15normal_iteratorINS9_10device_ptrIsEEEESE_sNS9_4plusIvEEsEEDaPvRmT3_T4_T5_mT6_P12ihipStream_tbENKUlT_T0_E_clISt17integral_constantIbLb1EESU_EEDaSP_SQ_EUlSP_E0_NS1_11comp_targetILNS1_3genE0ELNS1_11target_archE4294967295ELNS1_3gpuE0ELNS1_3repE0EEENS1_30default_config_static_selectorELNS0_4arch9wavefront6targetE1EEEvT1_,comdat
	.protected	_ZN7rocprim17ROCPRIM_400000_NS6detail17trampoline_kernelINS0_14default_configENS1_20scan_config_selectorIsEEZZNS1_9scan_implILNS1_25lookback_scan_determinismE0ELb1ELb1ES3_N6thrust23THRUST_200600_302600_NS6detail15normal_iteratorINS9_10device_ptrIsEEEESE_sNS9_4plusIvEEsEEDaPvRmT3_T4_T5_mT6_P12ihipStream_tbENKUlT_T0_E_clISt17integral_constantIbLb1EESU_EEDaSP_SQ_EUlSP_E0_NS1_11comp_targetILNS1_3genE0ELNS1_11target_archE4294967295ELNS1_3gpuE0ELNS1_3repE0EEENS1_30default_config_static_selectorELNS0_4arch9wavefront6targetE1EEEvT1_ ; -- Begin function _ZN7rocprim17ROCPRIM_400000_NS6detail17trampoline_kernelINS0_14default_configENS1_20scan_config_selectorIsEEZZNS1_9scan_implILNS1_25lookback_scan_determinismE0ELb1ELb1ES3_N6thrust23THRUST_200600_302600_NS6detail15normal_iteratorINS9_10device_ptrIsEEEESE_sNS9_4plusIvEEsEEDaPvRmT3_T4_T5_mT6_P12ihipStream_tbENKUlT_T0_E_clISt17integral_constantIbLb1EESU_EEDaSP_SQ_EUlSP_E0_NS1_11comp_targetILNS1_3genE0ELNS1_11target_archE4294967295ELNS1_3gpuE0ELNS1_3repE0EEENS1_30default_config_static_selectorELNS0_4arch9wavefront6targetE1EEEvT1_
	.globl	_ZN7rocprim17ROCPRIM_400000_NS6detail17trampoline_kernelINS0_14default_configENS1_20scan_config_selectorIsEEZZNS1_9scan_implILNS1_25lookback_scan_determinismE0ELb1ELb1ES3_N6thrust23THRUST_200600_302600_NS6detail15normal_iteratorINS9_10device_ptrIsEEEESE_sNS9_4plusIvEEsEEDaPvRmT3_T4_T5_mT6_P12ihipStream_tbENKUlT_T0_E_clISt17integral_constantIbLb1EESU_EEDaSP_SQ_EUlSP_E0_NS1_11comp_targetILNS1_3genE0ELNS1_11target_archE4294967295ELNS1_3gpuE0ELNS1_3repE0EEENS1_30default_config_static_selectorELNS0_4arch9wavefront6targetE1EEEvT1_
	.p2align	8
	.type	_ZN7rocprim17ROCPRIM_400000_NS6detail17trampoline_kernelINS0_14default_configENS1_20scan_config_selectorIsEEZZNS1_9scan_implILNS1_25lookback_scan_determinismE0ELb1ELb1ES3_N6thrust23THRUST_200600_302600_NS6detail15normal_iteratorINS9_10device_ptrIsEEEESE_sNS9_4plusIvEEsEEDaPvRmT3_T4_T5_mT6_P12ihipStream_tbENKUlT_T0_E_clISt17integral_constantIbLb1EESU_EEDaSP_SQ_EUlSP_E0_NS1_11comp_targetILNS1_3genE0ELNS1_11target_archE4294967295ELNS1_3gpuE0ELNS1_3repE0EEENS1_30default_config_static_selectorELNS0_4arch9wavefront6targetE1EEEvT1_,@function
_ZN7rocprim17ROCPRIM_400000_NS6detail17trampoline_kernelINS0_14default_configENS1_20scan_config_selectorIsEEZZNS1_9scan_implILNS1_25lookback_scan_determinismE0ELb1ELb1ES3_N6thrust23THRUST_200600_302600_NS6detail15normal_iteratorINS9_10device_ptrIsEEEESE_sNS9_4plusIvEEsEEDaPvRmT3_T4_T5_mT6_P12ihipStream_tbENKUlT_T0_E_clISt17integral_constantIbLb1EESU_EEDaSP_SQ_EUlSP_E0_NS1_11comp_targetILNS1_3genE0ELNS1_11target_archE4294967295ELNS1_3gpuE0ELNS1_3repE0EEENS1_30default_config_static_selectorELNS0_4arch9wavefront6targetE1EEEvT1_: ; @_ZN7rocprim17ROCPRIM_400000_NS6detail17trampoline_kernelINS0_14default_configENS1_20scan_config_selectorIsEEZZNS1_9scan_implILNS1_25lookback_scan_determinismE0ELb1ELb1ES3_N6thrust23THRUST_200600_302600_NS6detail15normal_iteratorINS9_10device_ptrIsEEEESE_sNS9_4plusIvEEsEEDaPvRmT3_T4_T5_mT6_P12ihipStream_tbENKUlT_T0_E_clISt17integral_constantIbLb1EESU_EEDaSP_SQ_EUlSP_E0_NS1_11comp_targetILNS1_3genE0ELNS1_11target_archE4294967295ELNS1_3gpuE0ELNS1_3repE0EEENS1_30default_config_static_selectorELNS0_4arch9wavefront6targetE1EEEvT1_
; %bb.0:
	.section	.rodata,"a",@progbits
	.p2align	6, 0x0
	.amdhsa_kernel _ZN7rocprim17ROCPRIM_400000_NS6detail17trampoline_kernelINS0_14default_configENS1_20scan_config_selectorIsEEZZNS1_9scan_implILNS1_25lookback_scan_determinismE0ELb1ELb1ES3_N6thrust23THRUST_200600_302600_NS6detail15normal_iteratorINS9_10device_ptrIsEEEESE_sNS9_4plusIvEEsEEDaPvRmT3_T4_T5_mT6_P12ihipStream_tbENKUlT_T0_E_clISt17integral_constantIbLb1EESU_EEDaSP_SQ_EUlSP_E0_NS1_11comp_targetILNS1_3genE0ELNS1_11target_archE4294967295ELNS1_3gpuE0ELNS1_3repE0EEENS1_30default_config_static_selectorELNS0_4arch9wavefront6targetE1EEEvT1_
		.amdhsa_group_segment_fixed_size 0
		.amdhsa_private_segment_fixed_size 0
		.amdhsa_kernarg_size 32
		.amdhsa_user_sgpr_count 6
		.amdhsa_user_sgpr_private_segment_buffer 1
		.amdhsa_user_sgpr_dispatch_ptr 0
		.amdhsa_user_sgpr_queue_ptr 0
		.amdhsa_user_sgpr_kernarg_segment_ptr 1
		.amdhsa_user_sgpr_dispatch_id 0
		.amdhsa_user_sgpr_flat_scratch_init 0
		.amdhsa_user_sgpr_kernarg_preload_length 0
		.amdhsa_user_sgpr_kernarg_preload_offset 0
		.amdhsa_user_sgpr_private_segment_size 0
		.amdhsa_uses_dynamic_stack 0
		.amdhsa_system_sgpr_private_segment_wavefront_offset 0
		.amdhsa_system_sgpr_workgroup_id_x 1
		.amdhsa_system_sgpr_workgroup_id_y 0
		.amdhsa_system_sgpr_workgroup_id_z 0
		.amdhsa_system_sgpr_workgroup_info 0
		.amdhsa_system_vgpr_workitem_id 0
		.amdhsa_next_free_vgpr 1
		.amdhsa_next_free_sgpr 0
		.amdhsa_accum_offset 4
		.amdhsa_reserve_vcc 0
		.amdhsa_reserve_flat_scratch 0
		.amdhsa_float_round_mode_32 0
		.amdhsa_float_round_mode_16_64 0
		.amdhsa_float_denorm_mode_32 3
		.amdhsa_float_denorm_mode_16_64 3
		.amdhsa_dx10_clamp 1
		.amdhsa_ieee_mode 1
		.amdhsa_fp16_overflow 0
		.amdhsa_tg_split 0
		.amdhsa_exception_fp_ieee_invalid_op 0
		.amdhsa_exception_fp_denorm_src 0
		.amdhsa_exception_fp_ieee_div_zero 0
		.amdhsa_exception_fp_ieee_overflow 0
		.amdhsa_exception_fp_ieee_underflow 0
		.amdhsa_exception_fp_ieee_inexact 0
		.amdhsa_exception_int_div_zero 0
	.end_amdhsa_kernel
	.section	.text._ZN7rocprim17ROCPRIM_400000_NS6detail17trampoline_kernelINS0_14default_configENS1_20scan_config_selectorIsEEZZNS1_9scan_implILNS1_25lookback_scan_determinismE0ELb1ELb1ES3_N6thrust23THRUST_200600_302600_NS6detail15normal_iteratorINS9_10device_ptrIsEEEESE_sNS9_4plusIvEEsEEDaPvRmT3_T4_T5_mT6_P12ihipStream_tbENKUlT_T0_E_clISt17integral_constantIbLb1EESU_EEDaSP_SQ_EUlSP_E0_NS1_11comp_targetILNS1_3genE0ELNS1_11target_archE4294967295ELNS1_3gpuE0ELNS1_3repE0EEENS1_30default_config_static_selectorELNS0_4arch9wavefront6targetE1EEEvT1_,"axG",@progbits,_ZN7rocprim17ROCPRIM_400000_NS6detail17trampoline_kernelINS0_14default_configENS1_20scan_config_selectorIsEEZZNS1_9scan_implILNS1_25lookback_scan_determinismE0ELb1ELb1ES3_N6thrust23THRUST_200600_302600_NS6detail15normal_iteratorINS9_10device_ptrIsEEEESE_sNS9_4plusIvEEsEEDaPvRmT3_T4_T5_mT6_P12ihipStream_tbENKUlT_T0_E_clISt17integral_constantIbLb1EESU_EEDaSP_SQ_EUlSP_E0_NS1_11comp_targetILNS1_3genE0ELNS1_11target_archE4294967295ELNS1_3gpuE0ELNS1_3repE0EEENS1_30default_config_static_selectorELNS0_4arch9wavefront6targetE1EEEvT1_,comdat
.Lfunc_end1006:
	.size	_ZN7rocprim17ROCPRIM_400000_NS6detail17trampoline_kernelINS0_14default_configENS1_20scan_config_selectorIsEEZZNS1_9scan_implILNS1_25lookback_scan_determinismE0ELb1ELb1ES3_N6thrust23THRUST_200600_302600_NS6detail15normal_iteratorINS9_10device_ptrIsEEEESE_sNS9_4plusIvEEsEEDaPvRmT3_T4_T5_mT6_P12ihipStream_tbENKUlT_T0_E_clISt17integral_constantIbLb1EESU_EEDaSP_SQ_EUlSP_E0_NS1_11comp_targetILNS1_3genE0ELNS1_11target_archE4294967295ELNS1_3gpuE0ELNS1_3repE0EEENS1_30default_config_static_selectorELNS0_4arch9wavefront6targetE1EEEvT1_, .Lfunc_end1006-_ZN7rocprim17ROCPRIM_400000_NS6detail17trampoline_kernelINS0_14default_configENS1_20scan_config_selectorIsEEZZNS1_9scan_implILNS1_25lookback_scan_determinismE0ELb1ELb1ES3_N6thrust23THRUST_200600_302600_NS6detail15normal_iteratorINS9_10device_ptrIsEEEESE_sNS9_4plusIvEEsEEDaPvRmT3_T4_T5_mT6_P12ihipStream_tbENKUlT_T0_E_clISt17integral_constantIbLb1EESU_EEDaSP_SQ_EUlSP_E0_NS1_11comp_targetILNS1_3genE0ELNS1_11target_archE4294967295ELNS1_3gpuE0ELNS1_3repE0EEENS1_30default_config_static_selectorELNS0_4arch9wavefront6targetE1EEEvT1_
                                        ; -- End function
	.section	.AMDGPU.csdata,"",@progbits
; Kernel info:
; codeLenInByte = 0
; NumSgprs: 4
; NumVgprs: 0
; NumAgprs: 0
; TotalNumVgprs: 0
; ScratchSize: 0
; MemoryBound: 0
; FloatMode: 240
; IeeeMode: 1
; LDSByteSize: 0 bytes/workgroup (compile time only)
; SGPRBlocks: 0
; VGPRBlocks: 0
; NumSGPRsForWavesPerEU: 4
; NumVGPRsForWavesPerEU: 1
; AccumOffset: 4
; Occupancy: 8
; WaveLimiterHint : 0
; COMPUTE_PGM_RSRC2:SCRATCH_EN: 0
; COMPUTE_PGM_RSRC2:USER_SGPR: 6
; COMPUTE_PGM_RSRC2:TRAP_HANDLER: 0
; COMPUTE_PGM_RSRC2:TGID_X_EN: 1
; COMPUTE_PGM_RSRC2:TGID_Y_EN: 0
; COMPUTE_PGM_RSRC2:TGID_Z_EN: 0
; COMPUTE_PGM_RSRC2:TIDIG_COMP_CNT: 0
; COMPUTE_PGM_RSRC3_GFX90A:ACCUM_OFFSET: 0
; COMPUTE_PGM_RSRC3_GFX90A:TG_SPLIT: 0
	.section	.text._ZN7rocprim17ROCPRIM_400000_NS6detail17trampoline_kernelINS0_14default_configENS1_20scan_config_selectorIsEEZZNS1_9scan_implILNS1_25lookback_scan_determinismE0ELb1ELb1ES3_N6thrust23THRUST_200600_302600_NS6detail15normal_iteratorINS9_10device_ptrIsEEEESE_sNS9_4plusIvEEsEEDaPvRmT3_T4_T5_mT6_P12ihipStream_tbENKUlT_T0_E_clISt17integral_constantIbLb1EESU_EEDaSP_SQ_EUlSP_E0_NS1_11comp_targetILNS1_3genE5ELNS1_11target_archE942ELNS1_3gpuE9ELNS1_3repE0EEENS1_30default_config_static_selectorELNS0_4arch9wavefront6targetE1EEEvT1_,"axG",@progbits,_ZN7rocprim17ROCPRIM_400000_NS6detail17trampoline_kernelINS0_14default_configENS1_20scan_config_selectorIsEEZZNS1_9scan_implILNS1_25lookback_scan_determinismE0ELb1ELb1ES3_N6thrust23THRUST_200600_302600_NS6detail15normal_iteratorINS9_10device_ptrIsEEEESE_sNS9_4plusIvEEsEEDaPvRmT3_T4_T5_mT6_P12ihipStream_tbENKUlT_T0_E_clISt17integral_constantIbLb1EESU_EEDaSP_SQ_EUlSP_E0_NS1_11comp_targetILNS1_3genE5ELNS1_11target_archE942ELNS1_3gpuE9ELNS1_3repE0EEENS1_30default_config_static_selectorELNS0_4arch9wavefront6targetE1EEEvT1_,comdat
	.protected	_ZN7rocprim17ROCPRIM_400000_NS6detail17trampoline_kernelINS0_14default_configENS1_20scan_config_selectorIsEEZZNS1_9scan_implILNS1_25lookback_scan_determinismE0ELb1ELb1ES3_N6thrust23THRUST_200600_302600_NS6detail15normal_iteratorINS9_10device_ptrIsEEEESE_sNS9_4plusIvEEsEEDaPvRmT3_T4_T5_mT6_P12ihipStream_tbENKUlT_T0_E_clISt17integral_constantIbLb1EESU_EEDaSP_SQ_EUlSP_E0_NS1_11comp_targetILNS1_3genE5ELNS1_11target_archE942ELNS1_3gpuE9ELNS1_3repE0EEENS1_30default_config_static_selectorELNS0_4arch9wavefront6targetE1EEEvT1_ ; -- Begin function _ZN7rocprim17ROCPRIM_400000_NS6detail17trampoline_kernelINS0_14default_configENS1_20scan_config_selectorIsEEZZNS1_9scan_implILNS1_25lookback_scan_determinismE0ELb1ELb1ES3_N6thrust23THRUST_200600_302600_NS6detail15normal_iteratorINS9_10device_ptrIsEEEESE_sNS9_4plusIvEEsEEDaPvRmT3_T4_T5_mT6_P12ihipStream_tbENKUlT_T0_E_clISt17integral_constantIbLb1EESU_EEDaSP_SQ_EUlSP_E0_NS1_11comp_targetILNS1_3genE5ELNS1_11target_archE942ELNS1_3gpuE9ELNS1_3repE0EEENS1_30default_config_static_selectorELNS0_4arch9wavefront6targetE1EEEvT1_
	.globl	_ZN7rocprim17ROCPRIM_400000_NS6detail17trampoline_kernelINS0_14default_configENS1_20scan_config_selectorIsEEZZNS1_9scan_implILNS1_25lookback_scan_determinismE0ELb1ELb1ES3_N6thrust23THRUST_200600_302600_NS6detail15normal_iteratorINS9_10device_ptrIsEEEESE_sNS9_4plusIvEEsEEDaPvRmT3_T4_T5_mT6_P12ihipStream_tbENKUlT_T0_E_clISt17integral_constantIbLb1EESU_EEDaSP_SQ_EUlSP_E0_NS1_11comp_targetILNS1_3genE5ELNS1_11target_archE942ELNS1_3gpuE9ELNS1_3repE0EEENS1_30default_config_static_selectorELNS0_4arch9wavefront6targetE1EEEvT1_
	.p2align	8
	.type	_ZN7rocprim17ROCPRIM_400000_NS6detail17trampoline_kernelINS0_14default_configENS1_20scan_config_selectorIsEEZZNS1_9scan_implILNS1_25lookback_scan_determinismE0ELb1ELb1ES3_N6thrust23THRUST_200600_302600_NS6detail15normal_iteratorINS9_10device_ptrIsEEEESE_sNS9_4plusIvEEsEEDaPvRmT3_T4_T5_mT6_P12ihipStream_tbENKUlT_T0_E_clISt17integral_constantIbLb1EESU_EEDaSP_SQ_EUlSP_E0_NS1_11comp_targetILNS1_3genE5ELNS1_11target_archE942ELNS1_3gpuE9ELNS1_3repE0EEENS1_30default_config_static_selectorELNS0_4arch9wavefront6targetE1EEEvT1_,@function
_ZN7rocprim17ROCPRIM_400000_NS6detail17trampoline_kernelINS0_14default_configENS1_20scan_config_selectorIsEEZZNS1_9scan_implILNS1_25lookback_scan_determinismE0ELb1ELb1ES3_N6thrust23THRUST_200600_302600_NS6detail15normal_iteratorINS9_10device_ptrIsEEEESE_sNS9_4plusIvEEsEEDaPvRmT3_T4_T5_mT6_P12ihipStream_tbENKUlT_T0_E_clISt17integral_constantIbLb1EESU_EEDaSP_SQ_EUlSP_E0_NS1_11comp_targetILNS1_3genE5ELNS1_11target_archE942ELNS1_3gpuE9ELNS1_3repE0EEENS1_30default_config_static_selectorELNS0_4arch9wavefront6targetE1EEEvT1_: ; @_ZN7rocprim17ROCPRIM_400000_NS6detail17trampoline_kernelINS0_14default_configENS1_20scan_config_selectorIsEEZZNS1_9scan_implILNS1_25lookback_scan_determinismE0ELb1ELb1ES3_N6thrust23THRUST_200600_302600_NS6detail15normal_iteratorINS9_10device_ptrIsEEEESE_sNS9_4plusIvEEsEEDaPvRmT3_T4_T5_mT6_P12ihipStream_tbENKUlT_T0_E_clISt17integral_constantIbLb1EESU_EEDaSP_SQ_EUlSP_E0_NS1_11comp_targetILNS1_3genE5ELNS1_11target_archE942ELNS1_3gpuE9ELNS1_3repE0EEENS1_30default_config_static_selectorELNS0_4arch9wavefront6targetE1EEEvT1_
; %bb.0:
	.section	.rodata,"a",@progbits
	.p2align	6, 0x0
	.amdhsa_kernel _ZN7rocprim17ROCPRIM_400000_NS6detail17trampoline_kernelINS0_14default_configENS1_20scan_config_selectorIsEEZZNS1_9scan_implILNS1_25lookback_scan_determinismE0ELb1ELb1ES3_N6thrust23THRUST_200600_302600_NS6detail15normal_iteratorINS9_10device_ptrIsEEEESE_sNS9_4plusIvEEsEEDaPvRmT3_T4_T5_mT6_P12ihipStream_tbENKUlT_T0_E_clISt17integral_constantIbLb1EESU_EEDaSP_SQ_EUlSP_E0_NS1_11comp_targetILNS1_3genE5ELNS1_11target_archE942ELNS1_3gpuE9ELNS1_3repE0EEENS1_30default_config_static_selectorELNS0_4arch9wavefront6targetE1EEEvT1_
		.amdhsa_group_segment_fixed_size 0
		.amdhsa_private_segment_fixed_size 0
		.amdhsa_kernarg_size 32
		.amdhsa_user_sgpr_count 6
		.amdhsa_user_sgpr_private_segment_buffer 1
		.amdhsa_user_sgpr_dispatch_ptr 0
		.amdhsa_user_sgpr_queue_ptr 0
		.amdhsa_user_sgpr_kernarg_segment_ptr 1
		.amdhsa_user_sgpr_dispatch_id 0
		.amdhsa_user_sgpr_flat_scratch_init 0
		.amdhsa_user_sgpr_kernarg_preload_length 0
		.amdhsa_user_sgpr_kernarg_preload_offset 0
		.amdhsa_user_sgpr_private_segment_size 0
		.amdhsa_uses_dynamic_stack 0
		.amdhsa_system_sgpr_private_segment_wavefront_offset 0
		.amdhsa_system_sgpr_workgroup_id_x 1
		.amdhsa_system_sgpr_workgroup_id_y 0
		.amdhsa_system_sgpr_workgroup_id_z 0
		.amdhsa_system_sgpr_workgroup_info 0
		.amdhsa_system_vgpr_workitem_id 0
		.amdhsa_next_free_vgpr 1
		.amdhsa_next_free_sgpr 0
		.amdhsa_accum_offset 4
		.amdhsa_reserve_vcc 0
		.amdhsa_reserve_flat_scratch 0
		.amdhsa_float_round_mode_32 0
		.amdhsa_float_round_mode_16_64 0
		.amdhsa_float_denorm_mode_32 3
		.amdhsa_float_denorm_mode_16_64 3
		.amdhsa_dx10_clamp 1
		.amdhsa_ieee_mode 1
		.amdhsa_fp16_overflow 0
		.amdhsa_tg_split 0
		.amdhsa_exception_fp_ieee_invalid_op 0
		.amdhsa_exception_fp_denorm_src 0
		.amdhsa_exception_fp_ieee_div_zero 0
		.amdhsa_exception_fp_ieee_overflow 0
		.amdhsa_exception_fp_ieee_underflow 0
		.amdhsa_exception_fp_ieee_inexact 0
		.amdhsa_exception_int_div_zero 0
	.end_amdhsa_kernel
	.section	.text._ZN7rocprim17ROCPRIM_400000_NS6detail17trampoline_kernelINS0_14default_configENS1_20scan_config_selectorIsEEZZNS1_9scan_implILNS1_25lookback_scan_determinismE0ELb1ELb1ES3_N6thrust23THRUST_200600_302600_NS6detail15normal_iteratorINS9_10device_ptrIsEEEESE_sNS9_4plusIvEEsEEDaPvRmT3_T4_T5_mT6_P12ihipStream_tbENKUlT_T0_E_clISt17integral_constantIbLb1EESU_EEDaSP_SQ_EUlSP_E0_NS1_11comp_targetILNS1_3genE5ELNS1_11target_archE942ELNS1_3gpuE9ELNS1_3repE0EEENS1_30default_config_static_selectorELNS0_4arch9wavefront6targetE1EEEvT1_,"axG",@progbits,_ZN7rocprim17ROCPRIM_400000_NS6detail17trampoline_kernelINS0_14default_configENS1_20scan_config_selectorIsEEZZNS1_9scan_implILNS1_25lookback_scan_determinismE0ELb1ELb1ES3_N6thrust23THRUST_200600_302600_NS6detail15normal_iteratorINS9_10device_ptrIsEEEESE_sNS9_4plusIvEEsEEDaPvRmT3_T4_T5_mT6_P12ihipStream_tbENKUlT_T0_E_clISt17integral_constantIbLb1EESU_EEDaSP_SQ_EUlSP_E0_NS1_11comp_targetILNS1_3genE5ELNS1_11target_archE942ELNS1_3gpuE9ELNS1_3repE0EEENS1_30default_config_static_selectorELNS0_4arch9wavefront6targetE1EEEvT1_,comdat
.Lfunc_end1007:
	.size	_ZN7rocprim17ROCPRIM_400000_NS6detail17trampoline_kernelINS0_14default_configENS1_20scan_config_selectorIsEEZZNS1_9scan_implILNS1_25lookback_scan_determinismE0ELb1ELb1ES3_N6thrust23THRUST_200600_302600_NS6detail15normal_iteratorINS9_10device_ptrIsEEEESE_sNS9_4plusIvEEsEEDaPvRmT3_T4_T5_mT6_P12ihipStream_tbENKUlT_T0_E_clISt17integral_constantIbLb1EESU_EEDaSP_SQ_EUlSP_E0_NS1_11comp_targetILNS1_3genE5ELNS1_11target_archE942ELNS1_3gpuE9ELNS1_3repE0EEENS1_30default_config_static_selectorELNS0_4arch9wavefront6targetE1EEEvT1_, .Lfunc_end1007-_ZN7rocprim17ROCPRIM_400000_NS6detail17trampoline_kernelINS0_14default_configENS1_20scan_config_selectorIsEEZZNS1_9scan_implILNS1_25lookback_scan_determinismE0ELb1ELb1ES3_N6thrust23THRUST_200600_302600_NS6detail15normal_iteratorINS9_10device_ptrIsEEEESE_sNS9_4plusIvEEsEEDaPvRmT3_T4_T5_mT6_P12ihipStream_tbENKUlT_T0_E_clISt17integral_constantIbLb1EESU_EEDaSP_SQ_EUlSP_E0_NS1_11comp_targetILNS1_3genE5ELNS1_11target_archE942ELNS1_3gpuE9ELNS1_3repE0EEENS1_30default_config_static_selectorELNS0_4arch9wavefront6targetE1EEEvT1_
                                        ; -- End function
	.section	.AMDGPU.csdata,"",@progbits
; Kernel info:
; codeLenInByte = 0
; NumSgprs: 4
; NumVgprs: 0
; NumAgprs: 0
; TotalNumVgprs: 0
; ScratchSize: 0
; MemoryBound: 0
; FloatMode: 240
; IeeeMode: 1
; LDSByteSize: 0 bytes/workgroup (compile time only)
; SGPRBlocks: 0
; VGPRBlocks: 0
; NumSGPRsForWavesPerEU: 4
; NumVGPRsForWavesPerEU: 1
; AccumOffset: 4
; Occupancy: 8
; WaveLimiterHint : 0
; COMPUTE_PGM_RSRC2:SCRATCH_EN: 0
; COMPUTE_PGM_RSRC2:USER_SGPR: 6
; COMPUTE_PGM_RSRC2:TRAP_HANDLER: 0
; COMPUTE_PGM_RSRC2:TGID_X_EN: 1
; COMPUTE_PGM_RSRC2:TGID_Y_EN: 0
; COMPUTE_PGM_RSRC2:TGID_Z_EN: 0
; COMPUTE_PGM_RSRC2:TIDIG_COMP_CNT: 0
; COMPUTE_PGM_RSRC3_GFX90A:ACCUM_OFFSET: 0
; COMPUTE_PGM_RSRC3_GFX90A:TG_SPLIT: 0
	.section	.text._ZN7rocprim17ROCPRIM_400000_NS6detail17trampoline_kernelINS0_14default_configENS1_20scan_config_selectorIsEEZZNS1_9scan_implILNS1_25lookback_scan_determinismE0ELb1ELb1ES3_N6thrust23THRUST_200600_302600_NS6detail15normal_iteratorINS9_10device_ptrIsEEEESE_sNS9_4plusIvEEsEEDaPvRmT3_T4_T5_mT6_P12ihipStream_tbENKUlT_T0_E_clISt17integral_constantIbLb1EESU_EEDaSP_SQ_EUlSP_E0_NS1_11comp_targetILNS1_3genE4ELNS1_11target_archE910ELNS1_3gpuE8ELNS1_3repE0EEENS1_30default_config_static_selectorELNS0_4arch9wavefront6targetE1EEEvT1_,"axG",@progbits,_ZN7rocprim17ROCPRIM_400000_NS6detail17trampoline_kernelINS0_14default_configENS1_20scan_config_selectorIsEEZZNS1_9scan_implILNS1_25lookback_scan_determinismE0ELb1ELb1ES3_N6thrust23THRUST_200600_302600_NS6detail15normal_iteratorINS9_10device_ptrIsEEEESE_sNS9_4plusIvEEsEEDaPvRmT3_T4_T5_mT6_P12ihipStream_tbENKUlT_T0_E_clISt17integral_constantIbLb1EESU_EEDaSP_SQ_EUlSP_E0_NS1_11comp_targetILNS1_3genE4ELNS1_11target_archE910ELNS1_3gpuE8ELNS1_3repE0EEENS1_30default_config_static_selectorELNS0_4arch9wavefront6targetE1EEEvT1_,comdat
	.protected	_ZN7rocprim17ROCPRIM_400000_NS6detail17trampoline_kernelINS0_14default_configENS1_20scan_config_selectorIsEEZZNS1_9scan_implILNS1_25lookback_scan_determinismE0ELb1ELb1ES3_N6thrust23THRUST_200600_302600_NS6detail15normal_iteratorINS9_10device_ptrIsEEEESE_sNS9_4plusIvEEsEEDaPvRmT3_T4_T5_mT6_P12ihipStream_tbENKUlT_T0_E_clISt17integral_constantIbLb1EESU_EEDaSP_SQ_EUlSP_E0_NS1_11comp_targetILNS1_3genE4ELNS1_11target_archE910ELNS1_3gpuE8ELNS1_3repE0EEENS1_30default_config_static_selectorELNS0_4arch9wavefront6targetE1EEEvT1_ ; -- Begin function _ZN7rocprim17ROCPRIM_400000_NS6detail17trampoline_kernelINS0_14default_configENS1_20scan_config_selectorIsEEZZNS1_9scan_implILNS1_25lookback_scan_determinismE0ELb1ELb1ES3_N6thrust23THRUST_200600_302600_NS6detail15normal_iteratorINS9_10device_ptrIsEEEESE_sNS9_4plusIvEEsEEDaPvRmT3_T4_T5_mT6_P12ihipStream_tbENKUlT_T0_E_clISt17integral_constantIbLb1EESU_EEDaSP_SQ_EUlSP_E0_NS1_11comp_targetILNS1_3genE4ELNS1_11target_archE910ELNS1_3gpuE8ELNS1_3repE0EEENS1_30default_config_static_selectorELNS0_4arch9wavefront6targetE1EEEvT1_
	.globl	_ZN7rocprim17ROCPRIM_400000_NS6detail17trampoline_kernelINS0_14default_configENS1_20scan_config_selectorIsEEZZNS1_9scan_implILNS1_25lookback_scan_determinismE0ELb1ELb1ES3_N6thrust23THRUST_200600_302600_NS6detail15normal_iteratorINS9_10device_ptrIsEEEESE_sNS9_4plusIvEEsEEDaPvRmT3_T4_T5_mT6_P12ihipStream_tbENKUlT_T0_E_clISt17integral_constantIbLb1EESU_EEDaSP_SQ_EUlSP_E0_NS1_11comp_targetILNS1_3genE4ELNS1_11target_archE910ELNS1_3gpuE8ELNS1_3repE0EEENS1_30default_config_static_selectorELNS0_4arch9wavefront6targetE1EEEvT1_
	.p2align	8
	.type	_ZN7rocprim17ROCPRIM_400000_NS6detail17trampoline_kernelINS0_14default_configENS1_20scan_config_selectorIsEEZZNS1_9scan_implILNS1_25lookback_scan_determinismE0ELb1ELb1ES3_N6thrust23THRUST_200600_302600_NS6detail15normal_iteratorINS9_10device_ptrIsEEEESE_sNS9_4plusIvEEsEEDaPvRmT3_T4_T5_mT6_P12ihipStream_tbENKUlT_T0_E_clISt17integral_constantIbLb1EESU_EEDaSP_SQ_EUlSP_E0_NS1_11comp_targetILNS1_3genE4ELNS1_11target_archE910ELNS1_3gpuE8ELNS1_3repE0EEENS1_30default_config_static_selectorELNS0_4arch9wavefront6targetE1EEEvT1_,@function
_ZN7rocprim17ROCPRIM_400000_NS6detail17trampoline_kernelINS0_14default_configENS1_20scan_config_selectorIsEEZZNS1_9scan_implILNS1_25lookback_scan_determinismE0ELb1ELb1ES3_N6thrust23THRUST_200600_302600_NS6detail15normal_iteratorINS9_10device_ptrIsEEEESE_sNS9_4plusIvEEsEEDaPvRmT3_T4_T5_mT6_P12ihipStream_tbENKUlT_T0_E_clISt17integral_constantIbLb1EESU_EEDaSP_SQ_EUlSP_E0_NS1_11comp_targetILNS1_3genE4ELNS1_11target_archE910ELNS1_3gpuE8ELNS1_3repE0EEENS1_30default_config_static_selectorELNS0_4arch9wavefront6targetE1EEEvT1_: ; @_ZN7rocprim17ROCPRIM_400000_NS6detail17trampoline_kernelINS0_14default_configENS1_20scan_config_selectorIsEEZZNS1_9scan_implILNS1_25lookback_scan_determinismE0ELb1ELb1ES3_N6thrust23THRUST_200600_302600_NS6detail15normal_iteratorINS9_10device_ptrIsEEEESE_sNS9_4plusIvEEsEEDaPvRmT3_T4_T5_mT6_P12ihipStream_tbENKUlT_T0_E_clISt17integral_constantIbLb1EESU_EEDaSP_SQ_EUlSP_E0_NS1_11comp_targetILNS1_3genE4ELNS1_11target_archE910ELNS1_3gpuE8ELNS1_3repE0EEENS1_30default_config_static_selectorELNS0_4arch9wavefront6targetE1EEEvT1_
; %bb.0:
	s_load_dwordx4 s[52:55], s[4:5], 0x0
	v_mov_b32_e32 v1, 0
	v_lshlrev_b32_e32 v14, 1, v0
	s_waitcnt lgkmcnt(0)
	global_load_ushort v2, v1, s[52:53]
	v_cmp_gt_u32_e32 vcc, s54, v0
	s_waitcnt vmcnt(0)
	v_mov_b32_e32 v3, v2
	s_and_saveexec_b64 s[0:1], vcc
	s_cbranch_execz .LBB1008_2
; %bb.1:
	global_load_ushort v3, v14, s[52:53]
.LBB1008_2:
	s_or_b64 exec, exec, s[0:1]
	v_or_b32_e32 v1, 64, v0
	v_cmp_gt_u32_e64 s[0:1], s54, v1
	v_mov_b32_e32 v4, v2
	s_and_saveexec_b64 s[2:3], s[0:1]
	s_cbranch_execz .LBB1008_4
; %bb.3:
	global_load_ushort v4, v14, s[52:53] offset:128
.LBB1008_4:
	s_or_b64 exec, exec, s[2:3]
	v_or_b32_e32 v1, 0x80, v0
	v_cmp_gt_u32_e64 s[2:3], s54, v1
	v_mov_b32_e32 v5, v2
	s_and_saveexec_b64 s[6:7], s[2:3]
	s_cbranch_execz .LBB1008_6
; %bb.5:
	global_load_ushort v5, v14, s[52:53] offset:256
.LBB1008_6:
	;; [unrolled: 9-line block ×22, first 2 shown]
	s_or_b64 exec, exec, s[46:47]
	v_or_b32_e32 v1, 0x5c0, v0
	v_cmp_gt_u32_e64 s[46:47], s54, v1
	v_cmp_le_u32_e64 s[50:51], s54, v1
	s_and_saveexec_b64 s[54:55], s[50:51]
	s_xor_b64 s[50:51], exec, s[54:55]
; %bb.47:
	v_mov_b32_e32 v1, 0
; %bb.48:
	s_or_saveexec_b64 s[50:51], s[50:51]
	s_load_dword s33, s[4:5], 0x10
	s_load_dwordx2 s[54:55], s[4:5], 0x18
	s_xor_b64 exec, exec, s[50:51]
	s_cbranch_execz .LBB1008_50
; %bb.49:
	global_load_ushort v2, v14, s[52:53] offset:2944
	v_mov_b32_e32 v1, 0
.LBB1008_50:
	s_or_b64 exec, exec, s[50:51]
	s_waitcnt vmcnt(0)
	ds_write_b16 v14, v3
	ds_write_b16 v14, v4 offset:128
	ds_write_b16 v14, v5 offset:256
	;; [unrolled: 1-line block ×23, first 2 shown]
	v_mad_u32_u24 v2, v0, 46, v14
	s_waitcnt lgkmcnt(0)
	; wave barrier
	s_waitcnt lgkmcnt(0)
	ds_read_b128 v[10:13], v2
	ds_read_b128 v[6:9], v2 offset:16
	ds_read_b128 v[2:5], v2 offset:32
	v_mul_u32_u24_e32 v15, 46, v0
	s_waitcnt lgkmcnt(0)
	v_add_u16_sdwa v16, v10, v10 dst_sel:DWORD dst_unused:UNUSED_PAD src0_sel:WORD_1 src1_sel:DWORD
	v_add_u16_e32 v16, v16, v11
	v_add_u16_sdwa v16, v16, v11 dst_sel:DWORD dst_unused:UNUSED_PAD src0_sel:DWORD src1_sel:WORD_1
	v_add_u16_e32 v16, v16, v12
	v_add_u16_sdwa v16, v16, v12 dst_sel:DWORD dst_unused:UNUSED_PAD src0_sel:DWORD src1_sel:WORD_1
	;; [unrolled: 2-line block ×11, first 2 shown]
	v_mbcnt_lo_u32_b32 v16, -1, 0
	v_mbcnt_hi_u32_b32 v16, -1, v16
	v_and_b32_e32 v18, 15, v16
	v_mov_b32_dpp v19, v17 row_shr:1 row_mask:0xf bank_mask:0xf
	v_cmp_ne_u32_e64 s[4:5], 0, v18
	v_cndmask_b32_e64 v19, 0, v19, s[4:5]
	v_add_u16_e32 v17, v19, v17
	v_cmp_lt_u32_e64 s[4:5], 1, v18
	; wave barrier
	s_nop 0
	v_mov_b32_dpp v19, v17 row_shr:2 row_mask:0xf bank_mask:0xf
	v_cndmask_b32_e64 v19, 0, v19, s[4:5]
	v_add_u16_e32 v17, v17, v19
	v_cmp_lt_u32_e64 s[4:5], 3, v18
	s_nop 0
	v_mov_b32_dpp v19, v17 row_shr:4 row_mask:0xf bank_mask:0xf
	v_cndmask_b32_e64 v19, 0, v19, s[4:5]
	v_add_u16_e32 v17, v17, v19
	v_cmp_lt_u32_e64 s[4:5], 7, v18
	s_nop 0
	v_mov_b32_dpp v19, v17 row_shr:8 row_mask:0xf bank_mask:0xf
	v_cndmask_b32_e64 v18, 0, v19, s[4:5]
	v_add_u16_e32 v17, v17, v18
	v_and_b32_e32 v19, 16, v16
	v_cmp_ne_u32_e64 s[4:5], 0, v19
	v_mov_b32_dpp v18, v17 row_bcast:15 row_mask:0xf bank_mask:0xf
	v_cndmask_b32_e64 v18, 0, v18, s[4:5]
	v_add_u16_e32 v17, v17, v18
	v_cmp_lt_u32_e64 s[4:5], 31, v16
	s_nop 0
	v_mov_b32_dpp v18, v17 row_bcast:31 row_mask:0xf bank_mask:0xf
	v_cndmask_b32_e64 v18, 0, v18, s[4:5]
	v_add_u16_e32 v17, v17, v18
	v_cmp_eq_u32_e64 s[4:5], 63, v0
	s_and_saveexec_b64 s[50:51], s[4:5]
	s_cbranch_execz .LBB1008_52
; %bb.51:
	v_mov_b32_e32 v18, 0
	ds_write_b16 v18, v17
.LBB1008_52:
	s_or_b64 exec, exec, s[50:51]
	v_add_u32_e32 v18, -1, v16
	v_and_b32_e32 v19, 64, v16
	v_cmp_lt_i32_e64 s[4:5], v18, v19
	v_cndmask_b32_e64 v18, v18, v16, s[4:5]
	v_add_u16_e32 v17, s33, v17
	v_lshlrev_b32_e32 v18, 2, v18
	ds_bpermute_b32 v17, v18, v17
	v_cmp_eq_u32_e64 s[4:5], 0, v16
	v_cmp_eq_u32_e64 s[50:51], 0, v0
	v_mov_b32_e32 v16, s33
	s_or_b64 s[4:5], s[50:51], s[4:5]
	s_waitcnt lgkmcnt(0)
	v_cndmask_b32_e64 v16, v17, v16, s[4:5]
	v_add_u16_e32 v17, v16, v10
	v_add_u16_sdwa v10, v17, v10 dst_sel:DWORD dst_unused:UNUSED_PAD src0_sel:DWORD src1_sel:WORD_1
	v_add_u16_e32 v18, v10, v11
	v_add_u16_sdwa v11, v18, v11 dst_sel:DWORD dst_unused:UNUSED_PAD src0_sel:DWORD src1_sel:WORD_1
	;; [unrolled: 2-line block ×11, first 2 shown]
	s_mov_b32 s4, 0x5040100
	v_add_u16_e32 v31, v30, v5
	v_add_u32_e32 v15, v14, v15
	v_perm_b32 v2, v17, v16, s4
	v_perm_b32 v3, v18, v10, s4
	;; [unrolled: 1-line block ×4, first 2 shown]
	s_waitcnt lgkmcnt(0)
	; wave barrier
	s_waitcnt lgkmcnt(0)
	s_waitcnt lgkmcnt(0)
	; wave barrier
	ds_write_b128 v15, v[2:5]
	v_perm_b32 v2, v21, v13, s4
	v_perm_b32 v3, v22, v6, s4
	;; [unrolled: 1-line block ×4, first 2 shown]
	ds_write_b128 v15, v[2:5] offset:16
	v_perm_b32 v2, v25, v9, s4
	v_perm_b32 v3, v27, v26, s4
	;; [unrolled: 1-line block ×4, first 2 shown]
	ds_write_b128 v15, v[2:5] offset:32
	s_waitcnt lgkmcnt(0)
	; wave barrier
	s_waitcnt lgkmcnt(0)
	ds_read_u16 v25, v14 offset:128
	ds_read_u16 v24, v14 offset:256
	;; [unrolled: 1-line block ×23, first 2 shown]
	v_lshlrev_b64 v[0:1], 1, v[0:1]
	v_mov_b32_e32 v26, s55
	v_add_co_u32_e64 v0, s[4:5], s54, v0
	v_addc_co_u32_e64 v1, s[4:5], v26, v1, s[4:5]
	s_and_saveexec_b64 s[4:5], vcc
	s_cbranch_execnz .LBB1008_77
; %bb.53:
	s_or_b64 exec, exec, s[4:5]
	s_and_saveexec_b64 s[4:5], s[0:1]
	s_cbranch_execnz .LBB1008_78
.LBB1008_54:
	s_or_b64 exec, exec, s[4:5]
	s_and_saveexec_b64 s[0:1], s[2:3]
	s_cbranch_execnz .LBB1008_79
.LBB1008_55:
	s_or_b64 exec, exec, s[0:1]
	s_and_saveexec_b64 s[0:1], s[48:49]
	s_cbranch_execnz .LBB1008_80
.LBB1008_56:
	s_or_b64 exec, exec, s[0:1]
	s_and_saveexec_b64 s[0:1], s[6:7]
	s_cbranch_execnz .LBB1008_81
.LBB1008_57:
	s_or_b64 exec, exec, s[0:1]
	s_and_saveexec_b64 s[0:1], s[8:9]
	s_cbranch_execnz .LBB1008_82
.LBB1008_58:
	s_or_b64 exec, exec, s[0:1]
	s_and_saveexec_b64 s[0:1], s[10:11]
	s_cbranch_execnz .LBB1008_83
.LBB1008_59:
	s_or_b64 exec, exec, s[0:1]
	s_and_saveexec_b64 s[0:1], s[12:13]
	s_cbranch_execnz .LBB1008_84
.LBB1008_60:
	s_or_b64 exec, exec, s[0:1]
	s_and_saveexec_b64 s[0:1], s[14:15]
	s_cbranch_execnz .LBB1008_85
.LBB1008_61:
	s_or_b64 exec, exec, s[0:1]
	s_and_saveexec_b64 s[0:1], s[16:17]
	s_cbranch_execnz .LBB1008_86
.LBB1008_62:
	s_or_b64 exec, exec, s[0:1]
	s_and_saveexec_b64 s[0:1], s[18:19]
	s_cbranch_execnz .LBB1008_87
.LBB1008_63:
	s_or_b64 exec, exec, s[0:1]
	s_and_saveexec_b64 s[0:1], s[20:21]
	s_cbranch_execnz .LBB1008_88
.LBB1008_64:
	s_or_b64 exec, exec, s[0:1]
	s_and_saveexec_b64 s[0:1], s[22:23]
	s_cbranch_execnz .LBB1008_89
.LBB1008_65:
	s_or_b64 exec, exec, s[0:1]
	s_and_saveexec_b64 s[0:1], s[24:25]
	s_cbranch_execnz .LBB1008_90
.LBB1008_66:
	s_or_b64 exec, exec, s[0:1]
	s_and_saveexec_b64 s[0:1], s[26:27]
	s_cbranch_execnz .LBB1008_91
.LBB1008_67:
	s_or_b64 exec, exec, s[0:1]
	s_and_saveexec_b64 s[0:1], s[28:29]
	s_cbranch_execnz .LBB1008_92
.LBB1008_68:
	s_or_b64 exec, exec, s[0:1]
	s_and_saveexec_b64 s[0:1], s[30:31]
	s_cbranch_execnz .LBB1008_93
.LBB1008_69:
	s_or_b64 exec, exec, s[0:1]
	s_and_saveexec_b64 s[0:1], s[34:35]
	s_cbranch_execnz .LBB1008_94
.LBB1008_70:
	s_or_b64 exec, exec, s[0:1]
	s_and_saveexec_b64 s[0:1], s[36:37]
	s_cbranch_execnz .LBB1008_95
.LBB1008_71:
	s_or_b64 exec, exec, s[0:1]
	s_and_saveexec_b64 s[0:1], s[38:39]
	s_cbranch_execnz .LBB1008_96
.LBB1008_72:
	s_or_b64 exec, exec, s[0:1]
	s_and_saveexec_b64 s[0:1], s[40:41]
	s_cbranch_execnz .LBB1008_97
.LBB1008_73:
	s_or_b64 exec, exec, s[0:1]
	s_and_saveexec_b64 s[0:1], s[42:43]
	s_cbranch_execnz .LBB1008_98
.LBB1008_74:
	s_or_b64 exec, exec, s[0:1]
	s_and_saveexec_b64 s[0:1], s[44:45]
	s_cbranch_execnz .LBB1008_99
.LBB1008_75:
	s_or_b64 exec, exec, s[0:1]
	s_and_saveexec_b64 s[0:1], s[46:47]
	s_cbranch_execnz .LBB1008_100
.LBB1008_76:
	s_endpgm
.LBB1008_77:
	ds_read_u16 v14, v14
	s_waitcnt lgkmcnt(0)
	global_store_short v[0:1], v14, off
	s_or_b64 exec, exec, s[4:5]
	s_and_saveexec_b64 s[4:5], s[0:1]
	s_cbranch_execz .LBB1008_54
.LBB1008_78:
	s_waitcnt lgkmcnt(14)
	global_store_short v[0:1], v25, off offset:128
	s_or_b64 exec, exec, s[4:5]
	s_and_saveexec_b64 s[0:1], s[2:3]
	s_cbranch_execz .LBB1008_55
.LBB1008_79:
	s_waitcnt lgkmcnt(14)
	global_store_short v[0:1], v24, off offset:256
	s_or_b64 exec, exec, s[0:1]
	s_and_saveexec_b64 s[0:1], s[48:49]
	s_cbranch_execz .LBB1008_56
.LBB1008_80:
	s_waitcnt lgkmcnt(14)
	global_store_short v[0:1], v23, off offset:384
	s_or_b64 exec, exec, s[0:1]
	s_and_saveexec_b64 s[0:1], s[6:7]
	s_cbranch_execz .LBB1008_57
.LBB1008_81:
	s_waitcnt lgkmcnt(14)
	global_store_short v[0:1], v22, off offset:512
	s_or_b64 exec, exec, s[0:1]
	s_and_saveexec_b64 s[0:1], s[8:9]
	s_cbranch_execz .LBB1008_58
.LBB1008_82:
	s_waitcnt lgkmcnt(14)
	global_store_short v[0:1], v21, off offset:640
	s_or_b64 exec, exec, s[0:1]
	s_and_saveexec_b64 s[0:1], s[10:11]
	s_cbranch_execz .LBB1008_59
.LBB1008_83:
	s_waitcnt lgkmcnt(14)
	global_store_short v[0:1], v20, off offset:768
	s_or_b64 exec, exec, s[0:1]
	s_and_saveexec_b64 s[0:1], s[12:13]
	s_cbranch_execz .LBB1008_60
.LBB1008_84:
	s_waitcnt lgkmcnt(14)
	global_store_short v[0:1], v19, off offset:896
	s_or_b64 exec, exec, s[0:1]
	s_and_saveexec_b64 s[0:1], s[14:15]
	s_cbranch_execz .LBB1008_61
.LBB1008_85:
	s_waitcnt lgkmcnt(14)
	global_store_short v[0:1], v18, off offset:1024
	s_or_b64 exec, exec, s[0:1]
	s_and_saveexec_b64 s[0:1], s[16:17]
	s_cbranch_execz .LBB1008_62
.LBB1008_86:
	s_waitcnt lgkmcnt(14)
	global_store_short v[0:1], v17, off offset:1152
	s_or_b64 exec, exec, s[0:1]
	s_and_saveexec_b64 s[0:1], s[18:19]
	s_cbranch_execz .LBB1008_63
.LBB1008_87:
	s_waitcnt lgkmcnt(13)
	global_store_short v[0:1], v16, off offset:1280
	s_or_b64 exec, exec, s[0:1]
	s_and_saveexec_b64 s[0:1], s[20:21]
	s_cbranch_execz .LBB1008_64
.LBB1008_88:
	s_waitcnt lgkmcnt(12)
	global_store_short v[0:1], v15, off offset:1408
	s_or_b64 exec, exec, s[0:1]
	s_and_saveexec_b64 s[0:1], s[22:23]
	s_cbranch_execz .LBB1008_65
.LBB1008_89:
	s_waitcnt lgkmcnt(11)
	global_store_short v[0:1], v13, off offset:1536
	s_or_b64 exec, exec, s[0:1]
	s_and_saveexec_b64 s[0:1], s[24:25]
	s_cbranch_execz .LBB1008_66
.LBB1008_90:
	s_waitcnt lgkmcnt(10)
	global_store_short v[0:1], v12, off offset:1664
	s_or_b64 exec, exec, s[0:1]
	s_and_saveexec_b64 s[0:1], s[26:27]
	s_cbranch_execz .LBB1008_67
.LBB1008_91:
	s_waitcnt lgkmcnt(9)
	global_store_short v[0:1], v11, off offset:1792
	s_or_b64 exec, exec, s[0:1]
	s_and_saveexec_b64 s[0:1], s[28:29]
	s_cbranch_execz .LBB1008_68
.LBB1008_92:
	s_waitcnt lgkmcnt(8)
	global_store_short v[0:1], v10, off offset:1920
	s_or_b64 exec, exec, s[0:1]
	s_and_saveexec_b64 s[0:1], s[30:31]
	s_cbranch_execz .LBB1008_69
.LBB1008_93:
	s_waitcnt lgkmcnt(7)
	global_store_short v[0:1], v9, off offset:2048
	s_or_b64 exec, exec, s[0:1]
	s_and_saveexec_b64 s[0:1], s[34:35]
	s_cbranch_execz .LBB1008_70
.LBB1008_94:
	s_waitcnt lgkmcnt(6)
	global_store_short v[0:1], v8, off offset:2176
	s_or_b64 exec, exec, s[0:1]
	s_and_saveexec_b64 s[0:1], s[36:37]
	s_cbranch_execz .LBB1008_71
.LBB1008_95:
	s_waitcnt lgkmcnt(5)
	global_store_short v[0:1], v7, off offset:2304
	s_or_b64 exec, exec, s[0:1]
	s_and_saveexec_b64 s[0:1], s[38:39]
	s_cbranch_execz .LBB1008_72
.LBB1008_96:
	s_waitcnt lgkmcnt(4)
	global_store_short v[0:1], v6, off offset:2432
	s_or_b64 exec, exec, s[0:1]
	s_and_saveexec_b64 s[0:1], s[40:41]
	s_cbranch_execz .LBB1008_73
.LBB1008_97:
	s_waitcnt lgkmcnt(3)
	global_store_short v[0:1], v5, off offset:2560
	s_or_b64 exec, exec, s[0:1]
	s_and_saveexec_b64 s[0:1], s[42:43]
	s_cbranch_execz .LBB1008_74
.LBB1008_98:
	s_waitcnt lgkmcnt(2)
	global_store_short v[0:1], v4, off offset:2688
	s_or_b64 exec, exec, s[0:1]
	s_and_saveexec_b64 s[0:1], s[44:45]
	s_cbranch_execz .LBB1008_75
.LBB1008_99:
	s_waitcnt lgkmcnt(1)
	global_store_short v[0:1], v3, off offset:2816
	s_or_b64 exec, exec, s[0:1]
	s_and_saveexec_b64 s[0:1], s[46:47]
	s_cbranch_execz .LBB1008_76
.LBB1008_100:
	s_waitcnt lgkmcnt(0)
	global_store_short v[0:1], v2, off offset:2944
	s_endpgm
	.section	.rodata,"a",@progbits
	.p2align	6, 0x0
	.amdhsa_kernel _ZN7rocprim17ROCPRIM_400000_NS6detail17trampoline_kernelINS0_14default_configENS1_20scan_config_selectorIsEEZZNS1_9scan_implILNS1_25lookback_scan_determinismE0ELb1ELb1ES3_N6thrust23THRUST_200600_302600_NS6detail15normal_iteratorINS9_10device_ptrIsEEEESE_sNS9_4plusIvEEsEEDaPvRmT3_T4_T5_mT6_P12ihipStream_tbENKUlT_T0_E_clISt17integral_constantIbLb1EESU_EEDaSP_SQ_EUlSP_E0_NS1_11comp_targetILNS1_3genE4ELNS1_11target_archE910ELNS1_3gpuE8ELNS1_3repE0EEENS1_30default_config_static_selectorELNS0_4arch9wavefront6targetE1EEEvT1_
		.amdhsa_group_segment_fixed_size 3072
		.amdhsa_private_segment_fixed_size 0
		.amdhsa_kernarg_size 32
		.amdhsa_user_sgpr_count 6
		.amdhsa_user_sgpr_private_segment_buffer 1
		.amdhsa_user_sgpr_dispatch_ptr 0
		.amdhsa_user_sgpr_queue_ptr 0
		.amdhsa_user_sgpr_kernarg_segment_ptr 1
		.amdhsa_user_sgpr_dispatch_id 0
		.amdhsa_user_sgpr_flat_scratch_init 0
		.amdhsa_user_sgpr_kernarg_preload_length 0
		.amdhsa_user_sgpr_kernarg_preload_offset 0
		.amdhsa_user_sgpr_private_segment_size 0
		.amdhsa_uses_dynamic_stack 0
		.amdhsa_system_sgpr_private_segment_wavefront_offset 0
		.amdhsa_system_sgpr_workgroup_id_x 1
		.amdhsa_system_sgpr_workgroup_id_y 0
		.amdhsa_system_sgpr_workgroup_id_z 0
		.amdhsa_system_sgpr_workgroup_info 0
		.amdhsa_system_vgpr_workitem_id 0
		.amdhsa_next_free_vgpr 32
		.amdhsa_next_free_sgpr 56
		.amdhsa_accum_offset 32
		.amdhsa_reserve_vcc 1
		.amdhsa_reserve_flat_scratch 0
		.amdhsa_float_round_mode_32 0
		.amdhsa_float_round_mode_16_64 0
		.amdhsa_float_denorm_mode_32 3
		.amdhsa_float_denorm_mode_16_64 3
		.amdhsa_dx10_clamp 1
		.amdhsa_ieee_mode 1
		.amdhsa_fp16_overflow 0
		.amdhsa_tg_split 0
		.amdhsa_exception_fp_ieee_invalid_op 0
		.amdhsa_exception_fp_denorm_src 0
		.amdhsa_exception_fp_ieee_div_zero 0
		.amdhsa_exception_fp_ieee_overflow 0
		.amdhsa_exception_fp_ieee_underflow 0
		.amdhsa_exception_fp_ieee_inexact 0
		.amdhsa_exception_int_div_zero 0
	.end_amdhsa_kernel
	.section	.text._ZN7rocprim17ROCPRIM_400000_NS6detail17trampoline_kernelINS0_14default_configENS1_20scan_config_selectorIsEEZZNS1_9scan_implILNS1_25lookback_scan_determinismE0ELb1ELb1ES3_N6thrust23THRUST_200600_302600_NS6detail15normal_iteratorINS9_10device_ptrIsEEEESE_sNS9_4plusIvEEsEEDaPvRmT3_T4_T5_mT6_P12ihipStream_tbENKUlT_T0_E_clISt17integral_constantIbLb1EESU_EEDaSP_SQ_EUlSP_E0_NS1_11comp_targetILNS1_3genE4ELNS1_11target_archE910ELNS1_3gpuE8ELNS1_3repE0EEENS1_30default_config_static_selectorELNS0_4arch9wavefront6targetE1EEEvT1_,"axG",@progbits,_ZN7rocprim17ROCPRIM_400000_NS6detail17trampoline_kernelINS0_14default_configENS1_20scan_config_selectorIsEEZZNS1_9scan_implILNS1_25lookback_scan_determinismE0ELb1ELb1ES3_N6thrust23THRUST_200600_302600_NS6detail15normal_iteratorINS9_10device_ptrIsEEEESE_sNS9_4plusIvEEsEEDaPvRmT3_T4_T5_mT6_P12ihipStream_tbENKUlT_T0_E_clISt17integral_constantIbLb1EESU_EEDaSP_SQ_EUlSP_E0_NS1_11comp_targetILNS1_3genE4ELNS1_11target_archE910ELNS1_3gpuE8ELNS1_3repE0EEENS1_30default_config_static_selectorELNS0_4arch9wavefront6targetE1EEEvT1_,comdat
.Lfunc_end1008:
	.size	_ZN7rocprim17ROCPRIM_400000_NS6detail17trampoline_kernelINS0_14default_configENS1_20scan_config_selectorIsEEZZNS1_9scan_implILNS1_25lookback_scan_determinismE0ELb1ELb1ES3_N6thrust23THRUST_200600_302600_NS6detail15normal_iteratorINS9_10device_ptrIsEEEESE_sNS9_4plusIvEEsEEDaPvRmT3_T4_T5_mT6_P12ihipStream_tbENKUlT_T0_E_clISt17integral_constantIbLb1EESU_EEDaSP_SQ_EUlSP_E0_NS1_11comp_targetILNS1_3genE4ELNS1_11target_archE910ELNS1_3gpuE8ELNS1_3repE0EEENS1_30default_config_static_selectorELNS0_4arch9wavefront6targetE1EEEvT1_, .Lfunc_end1008-_ZN7rocprim17ROCPRIM_400000_NS6detail17trampoline_kernelINS0_14default_configENS1_20scan_config_selectorIsEEZZNS1_9scan_implILNS1_25lookback_scan_determinismE0ELb1ELb1ES3_N6thrust23THRUST_200600_302600_NS6detail15normal_iteratorINS9_10device_ptrIsEEEESE_sNS9_4plusIvEEsEEDaPvRmT3_T4_T5_mT6_P12ihipStream_tbENKUlT_T0_E_clISt17integral_constantIbLb1EESU_EEDaSP_SQ_EUlSP_E0_NS1_11comp_targetILNS1_3genE4ELNS1_11target_archE910ELNS1_3gpuE8ELNS1_3repE0EEENS1_30default_config_static_selectorELNS0_4arch9wavefront6targetE1EEEvT1_
                                        ; -- End function
	.section	.AMDGPU.csdata,"",@progbits
; Kernel info:
; codeLenInByte = 3080
; NumSgprs: 60
; NumVgprs: 32
; NumAgprs: 0
; TotalNumVgprs: 32
; ScratchSize: 0
; MemoryBound: 0
; FloatMode: 240
; IeeeMode: 1
; LDSByteSize: 3072 bytes/workgroup (compile time only)
; SGPRBlocks: 7
; VGPRBlocks: 3
; NumSGPRsForWavesPerEU: 60
; NumVGPRsForWavesPerEU: 32
; AccumOffset: 32
; Occupancy: 6
; WaveLimiterHint : 0
; COMPUTE_PGM_RSRC2:SCRATCH_EN: 0
; COMPUTE_PGM_RSRC2:USER_SGPR: 6
; COMPUTE_PGM_RSRC2:TRAP_HANDLER: 0
; COMPUTE_PGM_RSRC2:TGID_X_EN: 1
; COMPUTE_PGM_RSRC2:TGID_Y_EN: 0
; COMPUTE_PGM_RSRC2:TGID_Z_EN: 0
; COMPUTE_PGM_RSRC2:TIDIG_COMP_CNT: 0
; COMPUTE_PGM_RSRC3_GFX90A:ACCUM_OFFSET: 7
; COMPUTE_PGM_RSRC3_GFX90A:TG_SPLIT: 0
	.section	.text._ZN7rocprim17ROCPRIM_400000_NS6detail17trampoline_kernelINS0_14default_configENS1_20scan_config_selectorIsEEZZNS1_9scan_implILNS1_25lookback_scan_determinismE0ELb1ELb1ES3_N6thrust23THRUST_200600_302600_NS6detail15normal_iteratorINS9_10device_ptrIsEEEESE_sNS9_4plusIvEEsEEDaPvRmT3_T4_T5_mT6_P12ihipStream_tbENKUlT_T0_E_clISt17integral_constantIbLb1EESU_EEDaSP_SQ_EUlSP_E0_NS1_11comp_targetILNS1_3genE3ELNS1_11target_archE908ELNS1_3gpuE7ELNS1_3repE0EEENS1_30default_config_static_selectorELNS0_4arch9wavefront6targetE1EEEvT1_,"axG",@progbits,_ZN7rocprim17ROCPRIM_400000_NS6detail17trampoline_kernelINS0_14default_configENS1_20scan_config_selectorIsEEZZNS1_9scan_implILNS1_25lookback_scan_determinismE0ELb1ELb1ES3_N6thrust23THRUST_200600_302600_NS6detail15normal_iteratorINS9_10device_ptrIsEEEESE_sNS9_4plusIvEEsEEDaPvRmT3_T4_T5_mT6_P12ihipStream_tbENKUlT_T0_E_clISt17integral_constantIbLb1EESU_EEDaSP_SQ_EUlSP_E0_NS1_11comp_targetILNS1_3genE3ELNS1_11target_archE908ELNS1_3gpuE7ELNS1_3repE0EEENS1_30default_config_static_selectorELNS0_4arch9wavefront6targetE1EEEvT1_,comdat
	.protected	_ZN7rocprim17ROCPRIM_400000_NS6detail17trampoline_kernelINS0_14default_configENS1_20scan_config_selectorIsEEZZNS1_9scan_implILNS1_25lookback_scan_determinismE0ELb1ELb1ES3_N6thrust23THRUST_200600_302600_NS6detail15normal_iteratorINS9_10device_ptrIsEEEESE_sNS9_4plusIvEEsEEDaPvRmT3_T4_T5_mT6_P12ihipStream_tbENKUlT_T0_E_clISt17integral_constantIbLb1EESU_EEDaSP_SQ_EUlSP_E0_NS1_11comp_targetILNS1_3genE3ELNS1_11target_archE908ELNS1_3gpuE7ELNS1_3repE0EEENS1_30default_config_static_selectorELNS0_4arch9wavefront6targetE1EEEvT1_ ; -- Begin function _ZN7rocprim17ROCPRIM_400000_NS6detail17trampoline_kernelINS0_14default_configENS1_20scan_config_selectorIsEEZZNS1_9scan_implILNS1_25lookback_scan_determinismE0ELb1ELb1ES3_N6thrust23THRUST_200600_302600_NS6detail15normal_iteratorINS9_10device_ptrIsEEEESE_sNS9_4plusIvEEsEEDaPvRmT3_T4_T5_mT6_P12ihipStream_tbENKUlT_T0_E_clISt17integral_constantIbLb1EESU_EEDaSP_SQ_EUlSP_E0_NS1_11comp_targetILNS1_3genE3ELNS1_11target_archE908ELNS1_3gpuE7ELNS1_3repE0EEENS1_30default_config_static_selectorELNS0_4arch9wavefront6targetE1EEEvT1_
	.globl	_ZN7rocprim17ROCPRIM_400000_NS6detail17trampoline_kernelINS0_14default_configENS1_20scan_config_selectorIsEEZZNS1_9scan_implILNS1_25lookback_scan_determinismE0ELb1ELb1ES3_N6thrust23THRUST_200600_302600_NS6detail15normal_iteratorINS9_10device_ptrIsEEEESE_sNS9_4plusIvEEsEEDaPvRmT3_T4_T5_mT6_P12ihipStream_tbENKUlT_T0_E_clISt17integral_constantIbLb1EESU_EEDaSP_SQ_EUlSP_E0_NS1_11comp_targetILNS1_3genE3ELNS1_11target_archE908ELNS1_3gpuE7ELNS1_3repE0EEENS1_30default_config_static_selectorELNS0_4arch9wavefront6targetE1EEEvT1_
	.p2align	8
	.type	_ZN7rocprim17ROCPRIM_400000_NS6detail17trampoline_kernelINS0_14default_configENS1_20scan_config_selectorIsEEZZNS1_9scan_implILNS1_25lookback_scan_determinismE0ELb1ELb1ES3_N6thrust23THRUST_200600_302600_NS6detail15normal_iteratorINS9_10device_ptrIsEEEESE_sNS9_4plusIvEEsEEDaPvRmT3_T4_T5_mT6_P12ihipStream_tbENKUlT_T0_E_clISt17integral_constantIbLb1EESU_EEDaSP_SQ_EUlSP_E0_NS1_11comp_targetILNS1_3genE3ELNS1_11target_archE908ELNS1_3gpuE7ELNS1_3repE0EEENS1_30default_config_static_selectorELNS0_4arch9wavefront6targetE1EEEvT1_,@function
_ZN7rocprim17ROCPRIM_400000_NS6detail17trampoline_kernelINS0_14default_configENS1_20scan_config_selectorIsEEZZNS1_9scan_implILNS1_25lookback_scan_determinismE0ELb1ELb1ES3_N6thrust23THRUST_200600_302600_NS6detail15normal_iteratorINS9_10device_ptrIsEEEESE_sNS9_4plusIvEEsEEDaPvRmT3_T4_T5_mT6_P12ihipStream_tbENKUlT_T0_E_clISt17integral_constantIbLb1EESU_EEDaSP_SQ_EUlSP_E0_NS1_11comp_targetILNS1_3genE3ELNS1_11target_archE908ELNS1_3gpuE7ELNS1_3repE0EEENS1_30default_config_static_selectorELNS0_4arch9wavefront6targetE1EEEvT1_: ; @_ZN7rocprim17ROCPRIM_400000_NS6detail17trampoline_kernelINS0_14default_configENS1_20scan_config_selectorIsEEZZNS1_9scan_implILNS1_25lookback_scan_determinismE0ELb1ELb1ES3_N6thrust23THRUST_200600_302600_NS6detail15normal_iteratorINS9_10device_ptrIsEEEESE_sNS9_4plusIvEEsEEDaPvRmT3_T4_T5_mT6_P12ihipStream_tbENKUlT_T0_E_clISt17integral_constantIbLb1EESU_EEDaSP_SQ_EUlSP_E0_NS1_11comp_targetILNS1_3genE3ELNS1_11target_archE908ELNS1_3gpuE7ELNS1_3repE0EEENS1_30default_config_static_selectorELNS0_4arch9wavefront6targetE1EEEvT1_
; %bb.0:
	.section	.rodata,"a",@progbits
	.p2align	6, 0x0
	.amdhsa_kernel _ZN7rocprim17ROCPRIM_400000_NS6detail17trampoline_kernelINS0_14default_configENS1_20scan_config_selectorIsEEZZNS1_9scan_implILNS1_25lookback_scan_determinismE0ELb1ELb1ES3_N6thrust23THRUST_200600_302600_NS6detail15normal_iteratorINS9_10device_ptrIsEEEESE_sNS9_4plusIvEEsEEDaPvRmT3_T4_T5_mT6_P12ihipStream_tbENKUlT_T0_E_clISt17integral_constantIbLb1EESU_EEDaSP_SQ_EUlSP_E0_NS1_11comp_targetILNS1_3genE3ELNS1_11target_archE908ELNS1_3gpuE7ELNS1_3repE0EEENS1_30default_config_static_selectorELNS0_4arch9wavefront6targetE1EEEvT1_
		.amdhsa_group_segment_fixed_size 0
		.amdhsa_private_segment_fixed_size 0
		.amdhsa_kernarg_size 32
		.amdhsa_user_sgpr_count 6
		.amdhsa_user_sgpr_private_segment_buffer 1
		.amdhsa_user_sgpr_dispatch_ptr 0
		.amdhsa_user_sgpr_queue_ptr 0
		.amdhsa_user_sgpr_kernarg_segment_ptr 1
		.amdhsa_user_sgpr_dispatch_id 0
		.amdhsa_user_sgpr_flat_scratch_init 0
		.amdhsa_user_sgpr_kernarg_preload_length 0
		.amdhsa_user_sgpr_kernarg_preload_offset 0
		.amdhsa_user_sgpr_private_segment_size 0
		.amdhsa_uses_dynamic_stack 0
		.amdhsa_system_sgpr_private_segment_wavefront_offset 0
		.amdhsa_system_sgpr_workgroup_id_x 1
		.amdhsa_system_sgpr_workgroup_id_y 0
		.amdhsa_system_sgpr_workgroup_id_z 0
		.amdhsa_system_sgpr_workgroup_info 0
		.amdhsa_system_vgpr_workitem_id 0
		.amdhsa_next_free_vgpr 1
		.amdhsa_next_free_sgpr 0
		.amdhsa_accum_offset 4
		.amdhsa_reserve_vcc 0
		.amdhsa_reserve_flat_scratch 0
		.amdhsa_float_round_mode_32 0
		.amdhsa_float_round_mode_16_64 0
		.amdhsa_float_denorm_mode_32 3
		.amdhsa_float_denorm_mode_16_64 3
		.amdhsa_dx10_clamp 1
		.amdhsa_ieee_mode 1
		.amdhsa_fp16_overflow 0
		.amdhsa_tg_split 0
		.amdhsa_exception_fp_ieee_invalid_op 0
		.amdhsa_exception_fp_denorm_src 0
		.amdhsa_exception_fp_ieee_div_zero 0
		.amdhsa_exception_fp_ieee_overflow 0
		.amdhsa_exception_fp_ieee_underflow 0
		.amdhsa_exception_fp_ieee_inexact 0
		.amdhsa_exception_int_div_zero 0
	.end_amdhsa_kernel
	.section	.text._ZN7rocprim17ROCPRIM_400000_NS6detail17trampoline_kernelINS0_14default_configENS1_20scan_config_selectorIsEEZZNS1_9scan_implILNS1_25lookback_scan_determinismE0ELb1ELb1ES3_N6thrust23THRUST_200600_302600_NS6detail15normal_iteratorINS9_10device_ptrIsEEEESE_sNS9_4plusIvEEsEEDaPvRmT3_T4_T5_mT6_P12ihipStream_tbENKUlT_T0_E_clISt17integral_constantIbLb1EESU_EEDaSP_SQ_EUlSP_E0_NS1_11comp_targetILNS1_3genE3ELNS1_11target_archE908ELNS1_3gpuE7ELNS1_3repE0EEENS1_30default_config_static_selectorELNS0_4arch9wavefront6targetE1EEEvT1_,"axG",@progbits,_ZN7rocprim17ROCPRIM_400000_NS6detail17trampoline_kernelINS0_14default_configENS1_20scan_config_selectorIsEEZZNS1_9scan_implILNS1_25lookback_scan_determinismE0ELb1ELb1ES3_N6thrust23THRUST_200600_302600_NS6detail15normal_iteratorINS9_10device_ptrIsEEEESE_sNS9_4plusIvEEsEEDaPvRmT3_T4_T5_mT6_P12ihipStream_tbENKUlT_T0_E_clISt17integral_constantIbLb1EESU_EEDaSP_SQ_EUlSP_E0_NS1_11comp_targetILNS1_3genE3ELNS1_11target_archE908ELNS1_3gpuE7ELNS1_3repE0EEENS1_30default_config_static_selectorELNS0_4arch9wavefront6targetE1EEEvT1_,comdat
.Lfunc_end1009:
	.size	_ZN7rocprim17ROCPRIM_400000_NS6detail17trampoline_kernelINS0_14default_configENS1_20scan_config_selectorIsEEZZNS1_9scan_implILNS1_25lookback_scan_determinismE0ELb1ELb1ES3_N6thrust23THRUST_200600_302600_NS6detail15normal_iteratorINS9_10device_ptrIsEEEESE_sNS9_4plusIvEEsEEDaPvRmT3_T4_T5_mT6_P12ihipStream_tbENKUlT_T0_E_clISt17integral_constantIbLb1EESU_EEDaSP_SQ_EUlSP_E0_NS1_11comp_targetILNS1_3genE3ELNS1_11target_archE908ELNS1_3gpuE7ELNS1_3repE0EEENS1_30default_config_static_selectorELNS0_4arch9wavefront6targetE1EEEvT1_, .Lfunc_end1009-_ZN7rocprim17ROCPRIM_400000_NS6detail17trampoline_kernelINS0_14default_configENS1_20scan_config_selectorIsEEZZNS1_9scan_implILNS1_25lookback_scan_determinismE0ELb1ELb1ES3_N6thrust23THRUST_200600_302600_NS6detail15normal_iteratorINS9_10device_ptrIsEEEESE_sNS9_4plusIvEEsEEDaPvRmT3_T4_T5_mT6_P12ihipStream_tbENKUlT_T0_E_clISt17integral_constantIbLb1EESU_EEDaSP_SQ_EUlSP_E0_NS1_11comp_targetILNS1_3genE3ELNS1_11target_archE908ELNS1_3gpuE7ELNS1_3repE0EEENS1_30default_config_static_selectorELNS0_4arch9wavefront6targetE1EEEvT1_
                                        ; -- End function
	.section	.AMDGPU.csdata,"",@progbits
; Kernel info:
; codeLenInByte = 0
; NumSgprs: 4
; NumVgprs: 0
; NumAgprs: 0
; TotalNumVgprs: 0
; ScratchSize: 0
; MemoryBound: 0
; FloatMode: 240
; IeeeMode: 1
; LDSByteSize: 0 bytes/workgroup (compile time only)
; SGPRBlocks: 0
; VGPRBlocks: 0
; NumSGPRsForWavesPerEU: 4
; NumVGPRsForWavesPerEU: 1
; AccumOffset: 4
; Occupancy: 8
; WaveLimiterHint : 0
; COMPUTE_PGM_RSRC2:SCRATCH_EN: 0
; COMPUTE_PGM_RSRC2:USER_SGPR: 6
; COMPUTE_PGM_RSRC2:TRAP_HANDLER: 0
; COMPUTE_PGM_RSRC2:TGID_X_EN: 1
; COMPUTE_PGM_RSRC2:TGID_Y_EN: 0
; COMPUTE_PGM_RSRC2:TGID_Z_EN: 0
; COMPUTE_PGM_RSRC2:TIDIG_COMP_CNT: 0
; COMPUTE_PGM_RSRC3_GFX90A:ACCUM_OFFSET: 0
; COMPUTE_PGM_RSRC3_GFX90A:TG_SPLIT: 0
	.section	.text._ZN7rocprim17ROCPRIM_400000_NS6detail17trampoline_kernelINS0_14default_configENS1_20scan_config_selectorIsEEZZNS1_9scan_implILNS1_25lookback_scan_determinismE0ELb1ELb1ES3_N6thrust23THRUST_200600_302600_NS6detail15normal_iteratorINS9_10device_ptrIsEEEESE_sNS9_4plusIvEEsEEDaPvRmT3_T4_T5_mT6_P12ihipStream_tbENKUlT_T0_E_clISt17integral_constantIbLb1EESU_EEDaSP_SQ_EUlSP_E0_NS1_11comp_targetILNS1_3genE2ELNS1_11target_archE906ELNS1_3gpuE6ELNS1_3repE0EEENS1_30default_config_static_selectorELNS0_4arch9wavefront6targetE1EEEvT1_,"axG",@progbits,_ZN7rocprim17ROCPRIM_400000_NS6detail17trampoline_kernelINS0_14default_configENS1_20scan_config_selectorIsEEZZNS1_9scan_implILNS1_25lookback_scan_determinismE0ELb1ELb1ES3_N6thrust23THRUST_200600_302600_NS6detail15normal_iteratorINS9_10device_ptrIsEEEESE_sNS9_4plusIvEEsEEDaPvRmT3_T4_T5_mT6_P12ihipStream_tbENKUlT_T0_E_clISt17integral_constantIbLb1EESU_EEDaSP_SQ_EUlSP_E0_NS1_11comp_targetILNS1_3genE2ELNS1_11target_archE906ELNS1_3gpuE6ELNS1_3repE0EEENS1_30default_config_static_selectorELNS0_4arch9wavefront6targetE1EEEvT1_,comdat
	.protected	_ZN7rocprim17ROCPRIM_400000_NS6detail17trampoline_kernelINS0_14default_configENS1_20scan_config_selectorIsEEZZNS1_9scan_implILNS1_25lookback_scan_determinismE0ELb1ELb1ES3_N6thrust23THRUST_200600_302600_NS6detail15normal_iteratorINS9_10device_ptrIsEEEESE_sNS9_4plusIvEEsEEDaPvRmT3_T4_T5_mT6_P12ihipStream_tbENKUlT_T0_E_clISt17integral_constantIbLb1EESU_EEDaSP_SQ_EUlSP_E0_NS1_11comp_targetILNS1_3genE2ELNS1_11target_archE906ELNS1_3gpuE6ELNS1_3repE0EEENS1_30default_config_static_selectorELNS0_4arch9wavefront6targetE1EEEvT1_ ; -- Begin function _ZN7rocprim17ROCPRIM_400000_NS6detail17trampoline_kernelINS0_14default_configENS1_20scan_config_selectorIsEEZZNS1_9scan_implILNS1_25lookback_scan_determinismE0ELb1ELb1ES3_N6thrust23THRUST_200600_302600_NS6detail15normal_iteratorINS9_10device_ptrIsEEEESE_sNS9_4plusIvEEsEEDaPvRmT3_T4_T5_mT6_P12ihipStream_tbENKUlT_T0_E_clISt17integral_constantIbLb1EESU_EEDaSP_SQ_EUlSP_E0_NS1_11comp_targetILNS1_3genE2ELNS1_11target_archE906ELNS1_3gpuE6ELNS1_3repE0EEENS1_30default_config_static_selectorELNS0_4arch9wavefront6targetE1EEEvT1_
	.globl	_ZN7rocprim17ROCPRIM_400000_NS6detail17trampoline_kernelINS0_14default_configENS1_20scan_config_selectorIsEEZZNS1_9scan_implILNS1_25lookback_scan_determinismE0ELb1ELb1ES3_N6thrust23THRUST_200600_302600_NS6detail15normal_iteratorINS9_10device_ptrIsEEEESE_sNS9_4plusIvEEsEEDaPvRmT3_T4_T5_mT6_P12ihipStream_tbENKUlT_T0_E_clISt17integral_constantIbLb1EESU_EEDaSP_SQ_EUlSP_E0_NS1_11comp_targetILNS1_3genE2ELNS1_11target_archE906ELNS1_3gpuE6ELNS1_3repE0EEENS1_30default_config_static_selectorELNS0_4arch9wavefront6targetE1EEEvT1_
	.p2align	8
	.type	_ZN7rocprim17ROCPRIM_400000_NS6detail17trampoline_kernelINS0_14default_configENS1_20scan_config_selectorIsEEZZNS1_9scan_implILNS1_25lookback_scan_determinismE0ELb1ELb1ES3_N6thrust23THRUST_200600_302600_NS6detail15normal_iteratorINS9_10device_ptrIsEEEESE_sNS9_4plusIvEEsEEDaPvRmT3_T4_T5_mT6_P12ihipStream_tbENKUlT_T0_E_clISt17integral_constantIbLb1EESU_EEDaSP_SQ_EUlSP_E0_NS1_11comp_targetILNS1_3genE2ELNS1_11target_archE906ELNS1_3gpuE6ELNS1_3repE0EEENS1_30default_config_static_selectorELNS0_4arch9wavefront6targetE1EEEvT1_,@function
_ZN7rocprim17ROCPRIM_400000_NS6detail17trampoline_kernelINS0_14default_configENS1_20scan_config_selectorIsEEZZNS1_9scan_implILNS1_25lookback_scan_determinismE0ELb1ELb1ES3_N6thrust23THRUST_200600_302600_NS6detail15normal_iteratorINS9_10device_ptrIsEEEESE_sNS9_4plusIvEEsEEDaPvRmT3_T4_T5_mT6_P12ihipStream_tbENKUlT_T0_E_clISt17integral_constantIbLb1EESU_EEDaSP_SQ_EUlSP_E0_NS1_11comp_targetILNS1_3genE2ELNS1_11target_archE906ELNS1_3gpuE6ELNS1_3repE0EEENS1_30default_config_static_selectorELNS0_4arch9wavefront6targetE1EEEvT1_: ; @_ZN7rocprim17ROCPRIM_400000_NS6detail17trampoline_kernelINS0_14default_configENS1_20scan_config_selectorIsEEZZNS1_9scan_implILNS1_25lookback_scan_determinismE0ELb1ELb1ES3_N6thrust23THRUST_200600_302600_NS6detail15normal_iteratorINS9_10device_ptrIsEEEESE_sNS9_4plusIvEEsEEDaPvRmT3_T4_T5_mT6_P12ihipStream_tbENKUlT_T0_E_clISt17integral_constantIbLb1EESU_EEDaSP_SQ_EUlSP_E0_NS1_11comp_targetILNS1_3genE2ELNS1_11target_archE906ELNS1_3gpuE6ELNS1_3repE0EEENS1_30default_config_static_selectorELNS0_4arch9wavefront6targetE1EEEvT1_
; %bb.0:
	.section	.rodata,"a",@progbits
	.p2align	6, 0x0
	.amdhsa_kernel _ZN7rocprim17ROCPRIM_400000_NS6detail17trampoline_kernelINS0_14default_configENS1_20scan_config_selectorIsEEZZNS1_9scan_implILNS1_25lookback_scan_determinismE0ELb1ELb1ES3_N6thrust23THRUST_200600_302600_NS6detail15normal_iteratorINS9_10device_ptrIsEEEESE_sNS9_4plusIvEEsEEDaPvRmT3_T4_T5_mT6_P12ihipStream_tbENKUlT_T0_E_clISt17integral_constantIbLb1EESU_EEDaSP_SQ_EUlSP_E0_NS1_11comp_targetILNS1_3genE2ELNS1_11target_archE906ELNS1_3gpuE6ELNS1_3repE0EEENS1_30default_config_static_selectorELNS0_4arch9wavefront6targetE1EEEvT1_
		.amdhsa_group_segment_fixed_size 0
		.amdhsa_private_segment_fixed_size 0
		.amdhsa_kernarg_size 32
		.amdhsa_user_sgpr_count 6
		.amdhsa_user_sgpr_private_segment_buffer 1
		.amdhsa_user_sgpr_dispatch_ptr 0
		.amdhsa_user_sgpr_queue_ptr 0
		.amdhsa_user_sgpr_kernarg_segment_ptr 1
		.amdhsa_user_sgpr_dispatch_id 0
		.amdhsa_user_sgpr_flat_scratch_init 0
		.amdhsa_user_sgpr_kernarg_preload_length 0
		.amdhsa_user_sgpr_kernarg_preload_offset 0
		.amdhsa_user_sgpr_private_segment_size 0
		.amdhsa_uses_dynamic_stack 0
		.amdhsa_system_sgpr_private_segment_wavefront_offset 0
		.amdhsa_system_sgpr_workgroup_id_x 1
		.amdhsa_system_sgpr_workgroup_id_y 0
		.amdhsa_system_sgpr_workgroup_id_z 0
		.amdhsa_system_sgpr_workgroup_info 0
		.amdhsa_system_vgpr_workitem_id 0
		.amdhsa_next_free_vgpr 1
		.amdhsa_next_free_sgpr 0
		.amdhsa_accum_offset 4
		.amdhsa_reserve_vcc 0
		.amdhsa_reserve_flat_scratch 0
		.amdhsa_float_round_mode_32 0
		.amdhsa_float_round_mode_16_64 0
		.amdhsa_float_denorm_mode_32 3
		.amdhsa_float_denorm_mode_16_64 3
		.amdhsa_dx10_clamp 1
		.amdhsa_ieee_mode 1
		.amdhsa_fp16_overflow 0
		.amdhsa_tg_split 0
		.amdhsa_exception_fp_ieee_invalid_op 0
		.amdhsa_exception_fp_denorm_src 0
		.amdhsa_exception_fp_ieee_div_zero 0
		.amdhsa_exception_fp_ieee_overflow 0
		.amdhsa_exception_fp_ieee_underflow 0
		.amdhsa_exception_fp_ieee_inexact 0
		.amdhsa_exception_int_div_zero 0
	.end_amdhsa_kernel
	.section	.text._ZN7rocprim17ROCPRIM_400000_NS6detail17trampoline_kernelINS0_14default_configENS1_20scan_config_selectorIsEEZZNS1_9scan_implILNS1_25lookback_scan_determinismE0ELb1ELb1ES3_N6thrust23THRUST_200600_302600_NS6detail15normal_iteratorINS9_10device_ptrIsEEEESE_sNS9_4plusIvEEsEEDaPvRmT3_T4_T5_mT6_P12ihipStream_tbENKUlT_T0_E_clISt17integral_constantIbLb1EESU_EEDaSP_SQ_EUlSP_E0_NS1_11comp_targetILNS1_3genE2ELNS1_11target_archE906ELNS1_3gpuE6ELNS1_3repE0EEENS1_30default_config_static_selectorELNS0_4arch9wavefront6targetE1EEEvT1_,"axG",@progbits,_ZN7rocprim17ROCPRIM_400000_NS6detail17trampoline_kernelINS0_14default_configENS1_20scan_config_selectorIsEEZZNS1_9scan_implILNS1_25lookback_scan_determinismE0ELb1ELb1ES3_N6thrust23THRUST_200600_302600_NS6detail15normal_iteratorINS9_10device_ptrIsEEEESE_sNS9_4plusIvEEsEEDaPvRmT3_T4_T5_mT6_P12ihipStream_tbENKUlT_T0_E_clISt17integral_constantIbLb1EESU_EEDaSP_SQ_EUlSP_E0_NS1_11comp_targetILNS1_3genE2ELNS1_11target_archE906ELNS1_3gpuE6ELNS1_3repE0EEENS1_30default_config_static_selectorELNS0_4arch9wavefront6targetE1EEEvT1_,comdat
.Lfunc_end1010:
	.size	_ZN7rocprim17ROCPRIM_400000_NS6detail17trampoline_kernelINS0_14default_configENS1_20scan_config_selectorIsEEZZNS1_9scan_implILNS1_25lookback_scan_determinismE0ELb1ELb1ES3_N6thrust23THRUST_200600_302600_NS6detail15normal_iteratorINS9_10device_ptrIsEEEESE_sNS9_4plusIvEEsEEDaPvRmT3_T4_T5_mT6_P12ihipStream_tbENKUlT_T0_E_clISt17integral_constantIbLb1EESU_EEDaSP_SQ_EUlSP_E0_NS1_11comp_targetILNS1_3genE2ELNS1_11target_archE906ELNS1_3gpuE6ELNS1_3repE0EEENS1_30default_config_static_selectorELNS0_4arch9wavefront6targetE1EEEvT1_, .Lfunc_end1010-_ZN7rocprim17ROCPRIM_400000_NS6detail17trampoline_kernelINS0_14default_configENS1_20scan_config_selectorIsEEZZNS1_9scan_implILNS1_25lookback_scan_determinismE0ELb1ELb1ES3_N6thrust23THRUST_200600_302600_NS6detail15normal_iteratorINS9_10device_ptrIsEEEESE_sNS9_4plusIvEEsEEDaPvRmT3_T4_T5_mT6_P12ihipStream_tbENKUlT_T0_E_clISt17integral_constantIbLb1EESU_EEDaSP_SQ_EUlSP_E0_NS1_11comp_targetILNS1_3genE2ELNS1_11target_archE906ELNS1_3gpuE6ELNS1_3repE0EEENS1_30default_config_static_selectorELNS0_4arch9wavefront6targetE1EEEvT1_
                                        ; -- End function
	.section	.AMDGPU.csdata,"",@progbits
; Kernel info:
; codeLenInByte = 0
; NumSgprs: 4
; NumVgprs: 0
; NumAgprs: 0
; TotalNumVgprs: 0
; ScratchSize: 0
; MemoryBound: 0
; FloatMode: 240
; IeeeMode: 1
; LDSByteSize: 0 bytes/workgroup (compile time only)
; SGPRBlocks: 0
; VGPRBlocks: 0
; NumSGPRsForWavesPerEU: 4
; NumVGPRsForWavesPerEU: 1
; AccumOffset: 4
; Occupancy: 8
; WaveLimiterHint : 0
; COMPUTE_PGM_RSRC2:SCRATCH_EN: 0
; COMPUTE_PGM_RSRC2:USER_SGPR: 6
; COMPUTE_PGM_RSRC2:TRAP_HANDLER: 0
; COMPUTE_PGM_RSRC2:TGID_X_EN: 1
; COMPUTE_PGM_RSRC2:TGID_Y_EN: 0
; COMPUTE_PGM_RSRC2:TGID_Z_EN: 0
; COMPUTE_PGM_RSRC2:TIDIG_COMP_CNT: 0
; COMPUTE_PGM_RSRC3_GFX90A:ACCUM_OFFSET: 0
; COMPUTE_PGM_RSRC3_GFX90A:TG_SPLIT: 0
	.section	.text._ZN7rocprim17ROCPRIM_400000_NS6detail17trampoline_kernelINS0_14default_configENS1_20scan_config_selectorIsEEZZNS1_9scan_implILNS1_25lookback_scan_determinismE0ELb1ELb1ES3_N6thrust23THRUST_200600_302600_NS6detail15normal_iteratorINS9_10device_ptrIsEEEESE_sNS9_4plusIvEEsEEDaPvRmT3_T4_T5_mT6_P12ihipStream_tbENKUlT_T0_E_clISt17integral_constantIbLb1EESU_EEDaSP_SQ_EUlSP_E0_NS1_11comp_targetILNS1_3genE10ELNS1_11target_archE1201ELNS1_3gpuE5ELNS1_3repE0EEENS1_30default_config_static_selectorELNS0_4arch9wavefront6targetE1EEEvT1_,"axG",@progbits,_ZN7rocprim17ROCPRIM_400000_NS6detail17trampoline_kernelINS0_14default_configENS1_20scan_config_selectorIsEEZZNS1_9scan_implILNS1_25lookback_scan_determinismE0ELb1ELb1ES3_N6thrust23THRUST_200600_302600_NS6detail15normal_iteratorINS9_10device_ptrIsEEEESE_sNS9_4plusIvEEsEEDaPvRmT3_T4_T5_mT6_P12ihipStream_tbENKUlT_T0_E_clISt17integral_constantIbLb1EESU_EEDaSP_SQ_EUlSP_E0_NS1_11comp_targetILNS1_3genE10ELNS1_11target_archE1201ELNS1_3gpuE5ELNS1_3repE0EEENS1_30default_config_static_selectorELNS0_4arch9wavefront6targetE1EEEvT1_,comdat
	.protected	_ZN7rocprim17ROCPRIM_400000_NS6detail17trampoline_kernelINS0_14default_configENS1_20scan_config_selectorIsEEZZNS1_9scan_implILNS1_25lookback_scan_determinismE0ELb1ELb1ES3_N6thrust23THRUST_200600_302600_NS6detail15normal_iteratorINS9_10device_ptrIsEEEESE_sNS9_4plusIvEEsEEDaPvRmT3_T4_T5_mT6_P12ihipStream_tbENKUlT_T0_E_clISt17integral_constantIbLb1EESU_EEDaSP_SQ_EUlSP_E0_NS1_11comp_targetILNS1_3genE10ELNS1_11target_archE1201ELNS1_3gpuE5ELNS1_3repE0EEENS1_30default_config_static_selectorELNS0_4arch9wavefront6targetE1EEEvT1_ ; -- Begin function _ZN7rocprim17ROCPRIM_400000_NS6detail17trampoline_kernelINS0_14default_configENS1_20scan_config_selectorIsEEZZNS1_9scan_implILNS1_25lookback_scan_determinismE0ELb1ELb1ES3_N6thrust23THRUST_200600_302600_NS6detail15normal_iteratorINS9_10device_ptrIsEEEESE_sNS9_4plusIvEEsEEDaPvRmT3_T4_T5_mT6_P12ihipStream_tbENKUlT_T0_E_clISt17integral_constantIbLb1EESU_EEDaSP_SQ_EUlSP_E0_NS1_11comp_targetILNS1_3genE10ELNS1_11target_archE1201ELNS1_3gpuE5ELNS1_3repE0EEENS1_30default_config_static_selectorELNS0_4arch9wavefront6targetE1EEEvT1_
	.globl	_ZN7rocprim17ROCPRIM_400000_NS6detail17trampoline_kernelINS0_14default_configENS1_20scan_config_selectorIsEEZZNS1_9scan_implILNS1_25lookback_scan_determinismE0ELb1ELb1ES3_N6thrust23THRUST_200600_302600_NS6detail15normal_iteratorINS9_10device_ptrIsEEEESE_sNS9_4plusIvEEsEEDaPvRmT3_T4_T5_mT6_P12ihipStream_tbENKUlT_T0_E_clISt17integral_constantIbLb1EESU_EEDaSP_SQ_EUlSP_E0_NS1_11comp_targetILNS1_3genE10ELNS1_11target_archE1201ELNS1_3gpuE5ELNS1_3repE0EEENS1_30default_config_static_selectorELNS0_4arch9wavefront6targetE1EEEvT1_
	.p2align	8
	.type	_ZN7rocprim17ROCPRIM_400000_NS6detail17trampoline_kernelINS0_14default_configENS1_20scan_config_selectorIsEEZZNS1_9scan_implILNS1_25lookback_scan_determinismE0ELb1ELb1ES3_N6thrust23THRUST_200600_302600_NS6detail15normal_iteratorINS9_10device_ptrIsEEEESE_sNS9_4plusIvEEsEEDaPvRmT3_T4_T5_mT6_P12ihipStream_tbENKUlT_T0_E_clISt17integral_constantIbLb1EESU_EEDaSP_SQ_EUlSP_E0_NS1_11comp_targetILNS1_3genE10ELNS1_11target_archE1201ELNS1_3gpuE5ELNS1_3repE0EEENS1_30default_config_static_selectorELNS0_4arch9wavefront6targetE1EEEvT1_,@function
_ZN7rocprim17ROCPRIM_400000_NS6detail17trampoline_kernelINS0_14default_configENS1_20scan_config_selectorIsEEZZNS1_9scan_implILNS1_25lookback_scan_determinismE0ELb1ELb1ES3_N6thrust23THRUST_200600_302600_NS6detail15normal_iteratorINS9_10device_ptrIsEEEESE_sNS9_4plusIvEEsEEDaPvRmT3_T4_T5_mT6_P12ihipStream_tbENKUlT_T0_E_clISt17integral_constantIbLb1EESU_EEDaSP_SQ_EUlSP_E0_NS1_11comp_targetILNS1_3genE10ELNS1_11target_archE1201ELNS1_3gpuE5ELNS1_3repE0EEENS1_30default_config_static_selectorELNS0_4arch9wavefront6targetE1EEEvT1_: ; @_ZN7rocprim17ROCPRIM_400000_NS6detail17trampoline_kernelINS0_14default_configENS1_20scan_config_selectorIsEEZZNS1_9scan_implILNS1_25lookback_scan_determinismE0ELb1ELb1ES3_N6thrust23THRUST_200600_302600_NS6detail15normal_iteratorINS9_10device_ptrIsEEEESE_sNS9_4plusIvEEsEEDaPvRmT3_T4_T5_mT6_P12ihipStream_tbENKUlT_T0_E_clISt17integral_constantIbLb1EESU_EEDaSP_SQ_EUlSP_E0_NS1_11comp_targetILNS1_3genE10ELNS1_11target_archE1201ELNS1_3gpuE5ELNS1_3repE0EEENS1_30default_config_static_selectorELNS0_4arch9wavefront6targetE1EEEvT1_
; %bb.0:
	.section	.rodata,"a",@progbits
	.p2align	6, 0x0
	.amdhsa_kernel _ZN7rocprim17ROCPRIM_400000_NS6detail17trampoline_kernelINS0_14default_configENS1_20scan_config_selectorIsEEZZNS1_9scan_implILNS1_25lookback_scan_determinismE0ELb1ELb1ES3_N6thrust23THRUST_200600_302600_NS6detail15normal_iteratorINS9_10device_ptrIsEEEESE_sNS9_4plusIvEEsEEDaPvRmT3_T4_T5_mT6_P12ihipStream_tbENKUlT_T0_E_clISt17integral_constantIbLb1EESU_EEDaSP_SQ_EUlSP_E0_NS1_11comp_targetILNS1_3genE10ELNS1_11target_archE1201ELNS1_3gpuE5ELNS1_3repE0EEENS1_30default_config_static_selectorELNS0_4arch9wavefront6targetE1EEEvT1_
		.amdhsa_group_segment_fixed_size 0
		.amdhsa_private_segment_fixed_size 0
		.amdhsa_kernarg_size 32
		.amdhsa_user_sgpr_count 6
		.amdhsa_user_sgpr_private_segment_buffer 1
		.amdhsa_user_sgpr_dispatch_ptr 0
		.amdhsa_user_sgpr_queue_ptr 0
		.amdhsa_user_sgpr_kernarg_segment_ptr 1
		.amdhsa_user_sgpr_dispatch_id 0
		.amdhsa_user_sgpr_flat_scratch_init 0
		.amdhsa_user_sgpr_kernarg_preload_length 0
		.amdhsa_user_sgpr_kernarg_preload_offset 0
		.amdhsa_user_sgpr_private_segment_size 0
		.amdhsa_uses_dynamic_stack 0
		.amdhsa_system_sgpr_private_segment_wavefront_offset 0
		.amdhsa_system_sgpr_workgroup_id_x 1
		.amdhsa_system_sgpr_workgroup_id_y 0
		.amdhsa_system_sgpr_workgroup_id_z 0
		.amdhsa_system_sgpr_workgroup_info 0
		.amdhsa_system_vgpr_workitem_id 0
		.amdhsa_next_free_vgpr 1
		.amdhsa_next_free_sgpr 0
		.amdhsa_accum_offset 4
		.amdhsa_reserve_vcc 0
		.amdhsa_reserve_flat_scratch 0
		.amdhsa_float_round_mode_32 0
		.amdhsa_float_round_mode_16_64 0
		.amdhsa_float_denorm_mode_32 3
		.amdhsa_float_denorm_mode_16_64 3
		.amdhsa_dx10_clamp 1
		.amdhsa_ieee_mode 1
		.amdhsa_fp16_overflow 0
		.amdhsa_tg_split 0
		.amdhsa_exception_fp_ieee_invalid_op 0
		.amdhsa_exception_fp_denorm_src 0
		.amdhsa_exception_fp_ieee_div_zero 0
		.amdhsa_exception_fp_ieee_overflow 0
		.amdhsa_exception_fp_ieee_underflow 0
		.amdhsa_exception_fp_ieee_inexact 0
		.amdhsa_exception_int_div_zero 0
	.end_amdhsa_kernel
	.section	.text._ZN7rocprim17ROCPRIM_400000_NS6detail17trampoline_kernelINS0_14default_configENS1_20scan_config_selectorIsEEZZNS1_9scan_implILNS1_25lookback_scan_determinismE0ELb1ELb1ES3_N6thrust23THRUST_200600_302600_NS6detail15normal_iteratorINS9_10device_ptrIsEEEESE_sNS9_4plusIvEEsEEDaPvRmT3_T4_T5_mT6_P12ihipStream_tbENKUlT_T0_E_clISt17integral_constantIbLb1EESU_EEDaSP_SQ_EUlSP_E0_NS1_11comp_targetILNS1_3genE10ELNS1_11target_archE1201ELNS1_3gpuE5ELNS1_3repE0EEENS1_30default_config_static_selectorELNS0_4arch9wavefront6targetE1EEEvT1_,"axG",@progbits,_ZN7rocprim17ROCPRIM_400000_NS6detail17trampoline_kernelINS0_14default_configENS1_20scan_config_selectorIsEEZZNS1_9scan_implILNS1_25lookback_scan_determinismE0ELb1ELb1ES3_N6thrust23THRUST_200600_302600_NS6detail15normal_iteratorINS9_10device_ptrIsEEEESE_sNS9_4plusIvEEsEEDaPvRmT3_T4_T5_mT6_P12ihipStream_tbENKUlT_T0_E_clISt17integral_constantIbLb1EESU_EEDaSP_SQ_EUlSP_E0_NS1_11comp_targetILNS1_3genE10ELNS1_11target_archE1201ELNS1_3gpuE5ELNS1_3repE0EEENS1_30default_config_static_selectorELNS0_4arch9wavefront6targetE1EEEvT1_,comdat
.Lfunc_end1011:
	.size	_ZN7rocprim17ROCPRIM_400000_NS6detail17trampoline_kernelINS0_14default_configENS1_20scan_config_selectorIsEEZZNS1_9scan_implILNS1_25lookback_scan_determinismE0ELb1ELb1ES3_N6thrust23THRUST_200600_302600_NS6detail15normal_iteratorINS9_10device_ptrIsEEEESE_sNS9_4plusIvEEsEEDaPvRmT3_T4_T5_mT6_P12ihipStream_tbENKUlT_T0_E_clISt17integral_constantIbLb1EESU_EEDaSP_SQ_EUlSP_E0_NS1_11comp_targetILNS1_3genE10ELNS1_11target_archE1201ELNS1_3gpuE5ELNS1_3repE0EEENS1_30default_config_static_selectorELNS0_4arch9wavefront6targetE1EEEvT1_, .Lfunc_end1011-_ZN7rocprim17ROCPRIM_400000_NS6detail17trampoline_kernelINS0_14default_configENS1_20scan_config_selectorIsEEZZNS1_9scan_implILNS1_25lookback_scan_determinismE0ELb1ELb1ES3_N6thrust23THRUST_200600_302600_NS6detail15normal_iteratorINS9_10device_ptrIsEEEESE_sNS9_4plusIvEEsEEDaPvRmT3_T4_T5_mT6_P12ihipStream_tbENKUlT_T0_E_clISt17integral_constantIbLb1EESU_EEDaSP_SQ_EUlSP_E0_NS1_11comp_targetILNS1_3genE10ELNS1_11target_archE1201ELNS1_3gpuE5ELNS1_3repE0EEENS1_30default_config_static_selectorELNS0_4arch9wavefront6targetE1EEEvT1_
                                        ; -- End function
	.section	.AMDGPU.csdata,"",@progbits
; Kernel info:
; codeLenInByte = 0
; NumSgprs: 4
; NumVgprs: 0
; NumAgprs: 0
; TotalNumVgprs: 0
; ScratchSize: 0
; MemoryBound: 0
; FloatMode: 240
; IeeeMode: 1
; LDSByteSize: 0 bytes/workgroup (compile time only)
; SGPRBlocks: 0
; VGPRBlocks: 0
; NumSGPRsForWavesPerEU: 4
; NumVGPRsForWavesPerEU: 1
; AccumOffset: 4
; Occupancy: 8
; WaveLimiterHint : 0
; COMPUTE_PGM_RSRC2:SCRATCH_EN: 0
; COMPUTE_PGM_RSRC2:USER_SGPR: 6
; COMPUTE_PGM_RSRC2:TRAP_HANDLER: 0
; COMPUTE_PGM_RSRC2:TGID_X_EN: 1
; COMPUTE_PGM_RSRC2:TGID_Y_EN: 0
; COMPUTE_PGM_RSRC2:TGID_Z_EN: 0
; COMPUTE_PGM_RSRC2:TIDIG_COMP_CNT: 0
; COMPUTE_PGM_RSRC3_GFX90A:ACCUM_OFFSET: 0
; COMPUTE_PGM_RSRC3_GFX90A:TG_SPLIT: 0
	.section	.text._ZN7rocprim17ROCPRIM_400000_NS6detail17trampoline_kernelINS0_14default_configENS1_20scan_config_selectorIsEEZZNS1_9scan_implILNS1_25lookback_scan_determinismE0ELb1ELb1ES3_N6thrust23THRUST_200600_302600_NS6detail15normal_iteratorINS9_10device_ptrIsEEEESE_sNS9_4plusIvEEsEEDaPvRmT3_T4_T5_mT6_P12ihipStream_tbENKUlT_T0_E_clISt17integral_constantIbLb1EESU_EEDaSP_SQ_EUlSP_E0_NS1_11comp_targetILNS1_3genE10ELNS1_11target_archE1200ELNS1_3gpuE4ELNS1_3repE0EEENS1_30default_config_static_selectorELNS0_4arch9wavefront6targetE1EEEvT1_,"axG",@progbits,_ZN7rocprim17ROCPRIM_400000_NS6detail17trampoline_kernelINS0_14default_configENS1_20scan_config_selectorIsEEZZNS1_9scan_implILNS1_25lookback_scan_determinismE0ELb1ELb1ES3_N6thrust23THRUST_200600_302600_NS6detail15normal_iteratorINS9_10device_ptrIsEEEESE_sNS9_4plusIvEEsEEDaPvRmT3_T4_T5_mT6_P12ihipStream_tbENKUlT_T0_E_clISt17integral_constantIbLb1EESU_EEDaSP_SQ_EUlSP_E0_NS1_11comp_targetILNS1_3genE10ELNS1_11target_archE1200ELNS1_3gpuE4ELNS1_3repE0EEENS1_30default_config_static_selectorELNS0_4arch9wavefront6targetE1EEEvT1_,comdat
	.protected	_ZN7rocprim17ROCPRIM_400000_NS6detail17trampoline_kernelINS0_14default_configENS1_20scan_config_selectorIsEEZZNS1_9scan_implILNS1_25lookback_scan_determinismE0ELb1ELb1ES3_N6thrust23THRUST_200600_302600_NS6detail15normal_iteratorINS9_10device_ptrIsEEEESE_sNS9_4plusIvEEsEEDaPvRmT3_T4_T5_mT6_P12ihipStream_tbENKUlT_T0_E_clISt17integral_constantIbLb1EESU_EEDaSP_SQ_EUlSP_E0_NS1_11comp_targetILNS1_3genE10ELNS1_11target_archE1200ELNS1_3gpuE4ELNS1_3repE0EEENS1_30default_config_static_selectorELNS0_4arch9wavefront6targetE1EEEvT1_ ; -- Begin function _ZN7rocprim17ROCPRIM_400000_NS6detail17trampoline_kernelINS0_14default_configENS1_20scan_config_selectorIsEEZZNS1_9scan_implILNS1_25lookback_scan_determinismE0ELb1ELb1ES3_N6thrust23THRUST_200600_302600_NS6detail15normal_iteratorINS9_10device_ptrIsEEEESE_sNS9_4plusIvEEsEEDaPvRmT3_T4_T5_mT6_P12ihipStream_tbENKUlT_T0_E_clISt17integral_constantIbLb1EESU_EEDaSP_SQ_EUlSP_E0_NS1_11comp_targetILNS1_3genE10ELNS1_11target_archE1200ELNS1_3gpuE4ELNS1_3repE0EEENS1_30default_config_static_selectorELNS0_4arch9wavefront6targetE1EEEvT1_
	.globl	_ZN7rocprim17ROCPRIM_400000_NS6detail17trampoline_kernelINS0_14default_configENS1_20scan_config_selectorIsEEZZNS1_9scan_implILNS1_25lookback_scan_determinismE0ELb1ELb1ES3_N6thrust23THRUST_200600_302600_NS6detail15normal_iteratorINS9_10device_ptrIsEEEESE_sNS9_4plusIvEEsEEDaPvRmT3_T4_T5_mT6_P12ihipStream_tbENKUlT_T0_E_clISt17integral_constantIbLb1EESU_EEDaSP_SQ_EUlSP_E0_NS1_11comp_targetILNS1_3genE10ELNS1_11target_archE1200ELNS1_3gpuE4ELNS1_3repE0EEENS1_30default_config_static_selectorELNS0_4arch9wavefront6targetE1EEEvT1_
	.p2align	8
	.type	_ZN7rocprim17ROCPRIM_400000_NS6detail17trampoline_kernelINS0_14default_configENS1_20scan_config_selectorIsEEZZNS1_9scan_implILNS1_25lookback_scan_determinismE0ELb1ELb1ES3_N6thrust23THRUST_200600_302600_NS6detail15normal_iteratorINS9_10device_ptrIsEEEESE_sNS9_4plusIvEEsEEDaPvRmT3_T4_T5_mT6_P12ihipStream_tbENKUlT_T0_E_clISt17integral_constantIbLb1EESU_EEDaSP_SQ_EUlSP_E0_NS1_11comp_targetILNS1_3genE10ELNS1_11target_archE1200ELNS1_3gpuE4ELNS1_3repE0EEENS1_30default_config_static_selectorELNS0_4arch9wavefront6targetE1EEEvT1_,@function
_ZN7rocprim17ROCPRIM_400000_NS6detail17trampoline_kernelINS0_14default_configENS1_20scan_config_selectorIsEEZZNS1_9scan_implILNS1_25lookback_scan_determinismE0ELb1ELb1ES3_N6thrust23THRUST_200600_302600_NS6detail15normal_iteratorINS9_10device_ptrIsEEEESE_sNS9_4plusIvEEsEEDaPvRmT3_T4_T5_mT6_P12ihipStream_tbENKUlT_T0_E_clISt17integral_constantIbLb1EESU_EEDaSP_SQ_EUlSP_E0_NS1_11comp_targetILNS1_3genE10ELNS1_11target_archE1200ELNS1_3gpuE4ELNS1_3repE0EEENS1_30default_config_static_selectorELNS0_4arch9wavefront6targetE1EEEvT1_: ; @_ZN7rocprim17ROCPRIM_400000_NS6detail17trampoline_kernelINS0_14default_configENS1_20scan_config_selectorIsEEZZNS1_9scan_implILNS1_25lookback_scan_determinismE0ELb1ELb1ES3_N6thrust23THRUST_200600_302600_NS6detail15normal_iteratorINS9_10device_ptrIsEEEESE_sNS9_4plusIvEEsEEDaPvRmT3_T4_T5_mT6_P12ihipStream_tbENKUlT_T0_E_clISt17integral_constantIbLb1EESU_EEDaSP_SQ_EUlSP_E0_NS1_11comp_targetILNS1_3genE10ELNS1_11target_archE1200ELNS1_3gpuE4ELNS1_3repE0EEENS1_30default_config_static_selectorELNS0_4arch9wavefront6targetE1EEEvT1_
; %bb.0:
	.section	.rodata,"a",@progbits
	.p2align	6, 0x0
	.amdhsa_kernel _ZN7rocprim17ROCPRIM_400000_NS6detail17trampoline_kernelINS0_14default_configENS1_20scan_config_selectorIsEEZZNS1_9scan_implILNS1_25lookback_scan_determinismE0ELb1ELb1ES3_N6thrust23THRUST_200600_302600_NS6detail15normal_iteratorINS9_10device_ptrIsEEEESE_sNS9_4plusIvEEsEEDaPvRmT3_T4_T5_mT6_P12ihipStream_tbENKUlT_T0_E_clISt17integral_constantIbLb1EESU_EEDaSP_SQ_EUlSP_E0_NS1_11comp_targetILNS1_3genE10ELNS1_11target_archE1200ELNS1_3gpuE4ELNS1_3repE0EEENS1_30default_config_static_selectorELNS0_4arch9wavefront6targetE1EEEvT1_
		.amdhsa_group_segment_fixed_size 0
		.amdhsa_private_segment_fixed_size 0
		.amdhsa_kernarg_size 32
		.amdhsa_user_sgpr_count 6
		.amdhsa_user_sgpr_private_segment_buffer 1
		.amdhsa_user_sgpr_dispatch_ptr 0
		.amdhsa_user_sgpr_queue_ptr 0
		.amdhsa_user_sgpr_kernarg_segment_ptr 1
		.amdhsa_user_sgpr_dispatch_id 0
		.amdhsa_user_sgpr_flat_scratch_init 0
		.amdhsa_user_sgpr_kernarg_preload_length 0
		.amdhsa_user_sgpr_kernarg_preload_offset 0
		.amdhsa_user_sgpr_private_segment_size 0
		.amdhsa_uses_dynamic_stack 0
		.amdhsa_system_sgpr_private_segment_wavefront_offset 0
		.amdhsa_system_sgpr_workgroup_id_x 1
		.amdhsa_system_sgpr_workgroup_id_y 0
		.amdhsa_system_sgpr_workgroup_id_z 0
		.amdhsa_system_sgpr_workgroup_info 0
		.amdhsa_system_vgpr_workitem_id 0
		.amdhsa_next_free_vgpr 1
		.amdhsa_next_free_sgpr 0
		.amdhsa_accum_offset 4
		.amdhsa_reserve_vcc 0
		.amdhsa_reserve_flat_scratch 0
		.amdhsa_float_round_mode_32 0
		.amdhsa_float_round_mode_16_64 0
		.amdhsa_float_denorm_mode_32 3
		.amdhsa_float_denorm_mode_16_64 3
		.amdhsa_dx10_clamp 1
		.amdhsa_ieee_mode 1
		.amdhsa_fp16_overflow 0
		.amdhsa_tg_split 0
		.amdhsa_exception_fp_ieee_invalid_op 0
		.amdhsa_exception_fp_denorm_src 0
		.amdhsa_exception_fp_ieee_div_zero 0
		.amdhsa_exception_fp_ieee_overflow 0
		.amdhsa_exception_fp_ieee_underflow 0
		.amdhsa_exception_fp_ieee_inexact 0
		.amdhsa_exception_int_div_zero 0
	.end_amdhsa_kernel
	.section	.text._ZN7rocprim17ROCPRIM_400000_NS6detail17trampoline_kernelINS0_14default_configENS1_20scan_config_selectorIsEEZZNS1_9scan_implILNS1_25lookback_scan_determinismE0ELb1ELb1ES3_N6thrust23THRUST_200600_302600_NS6detail15normal_iteratorINS9_10device_ptrIsEEEESE_sNS9_4plusIvEEsEEDaPvRmT3_T4_T5_mT6_P12ihipStream_tbENKUlT_T0_E_clISt17integral_constantIbLb1EESU_EEDaSP_SQ_EUlSP_E0_NS1_11comp_targetILNS1_3genE10ELNS1_11target_archE1200ELNS1_3gpuE4ELNS1_3repE0EEENS1_30default_config_static_selectorELNS0_4arch9wavefront6targetE1EEEvT1_,"axG",@progbits,_ZN7rocprim17ROCPRIM_400000_NS6detail17trampoline_kernelINS0_14default_configENS1_20scan_config_selectorIsEEZZNS1_9scan_implILNS1_25lookback_scan_determinismE0ELb1ELb1ES3_N6thrust23THRUST_200600_302600_NS6detail15normal_iteratorINS9_10device_ptrIsEEEESE_sNS9_4plusIvEEsEEDaPvRmT3_T4_T5_mT6_P12ihipStream_tbENKUlT_T0_E_clISt17integral_constantIbLb1EESU_EEDaSP_SQ_EUlSP_E0_NS1_11comp_targetILNS1_3genE10ELNS1_11target_archE1200ELNS1_3gpuE4ELNS1_3repE0EEENS1_30default_config_static_selectorELNS0_4arch9wavefront6targetE1EEEvT1_,comdat
.Lfunc_end1012:
	.size	_ZN7rocprim17ROCPRIM_400000_NS6detail17trampoline_kernelINS0_14default_configENS1_20scan_config_selectorIsEEZZNS1_9scan_implILNS1_25lookback_scan_determinismE0ELb1ELb1ES3_N6thrust23THRUST_200600_302600_NS6detail15normal_iteratorINS9_10device_ptrIsEEEESE_sNS9_4plusIvEEsEEDaPvRmT3_T4_T5_mT6_P12ihipStream_tbENKUlT_T0_E_clISt17integral_constantIbLb1EESU_EEDaSP_SQ_EUlSP_E0_NS1_11comp_targetILNS1_3genE10ELNS1_11target_archE1200ELNS1_3gpuE4ELNS1_3repE0EEENS1_30default_config_static_selectorELNS0_4arch9wavefront6targetE1EEEvT1_, .Lfunc_end1012-_ZN7rocprim17ROCPRIM_400000_NS6detail17trampoline_kernelINS0_14default_configENS1_20scan_config_selectorIsEEZZNS1_9scan_implILNS1_25lookback_scan_determinismE0ELb1ELb1ES3_N6thrust23THRUST_200600_302600_NS6detail15normal_iteratorINS9_10device_ptrIsEEEESE_sNS9_4plusIvEEsEEDaPvRmT3_T4_T5_mT6_P12ihipStream_tbENKUlT_T0_E_clISt17integral_constantIbLb1EESU_EEDaSP_SQ_EUlSP_E0_NS1_11comp_targetILNS1_3genE10ELNS1_11target_archE1200ELNS1_3gpuE4ELNS1_3repE0EEENS1_30default_config_static_selectorELNS0_4arch9wavefront6targetE1EEEvT1_
                                        ; -- End function
	.section	.AMDGPU.csdata,"",@progbits
; Kernel info:
; codeLenInByte = 0
; NumSgprs: 4
; NumVgprs: 0
; NumAgprs: 0
; TotalNumVgprs: 0
; ScratchSize: 0
; MemoryBound: 0
; FloatMode: 240
; IeeeMode: 1
; LDSByteSize: 0 bytes/workgroup (compile time only)
; SGPRBlocks: 0
; VGPRBlocks: 0
; NumSGPRsForWavesPerEU: 4
; NumVGPRsForWavesPerEU: 1
; AccumOffset: 4
; Occupancy: 8
; WaveLimiterHint : 0
; COMPUTE_PGM_RSRC2:SCRATCH_EN: 0
; COMPUTE_PGM_RSRC2:USER_SGPR: 6
; COMPUTE_PGM_RSRC2:TRAP_HANDLER: 0
; COMPUTE_PGM_RSRC2:TGID_X_EN: 1
; COMPUTE_PGM_RSRC2:TGID_Y_EN: 0
; COMPUTE_PGM_RSRC2:TGID_Z_EN: 0
; COMPUTE_PGM_RSRC2:TIDIG_COMP_CNT: 0
; COMPUTE_PGM_RSRC3_GFX90A:ACCUM_OFFSET: 0
; COMPUTE_PGM_RSRC3_GFX90A:TG_SPLIT: 0
	.section	.text._ZN7rocprim17ROCPRIM_400000_NS6detail17trampoline_kernelINS0_14default_configENS1_20scan_config_selectorIsEEZZNS1_9scan_implILNS1_25lookback_scan_determinismE0ELb1ELb1ES3_N6thrust23THRUST_200600_302600_NS6detail15normal_iteratorINS9_10device_ptrIsEEEESE_sNS9_4plusIvEEsEEDaPvRmT3_T4_T5_mT6_P12ihipStream_tbENKUlT_T0_E_clISt17integral_constantIbLb1EESU_EEDaSP_SQ_EUlSP_E0_NS1_11comp_targetILNS1_3genE9ELNS1_11target_archE1100ELNS1_3gpuE3ELNS1_3repE0EEENS1_30default_config_static_selectorELNS0_4arch9wavefront6targetE1EEEvT1_,"axG",@progbits,_ZN7rocprim17ROCPRIM_400000_NS6detail17trampoline_kernelINS0_14default_configENS1_20scan_config_selectorIsEEZZNS1_9scan_implILNS1_25lookback_scan_determinismE0ELb1ELb1ES3_N6thrust23THRUST_200600_302600_NS6detail15normal_iteratorINS9_10device_ptrIsEEEESE_sNS9_4plusIvEEsEEDaPvRmT3_T4_T5_mT6_P12ihipStream_tbENKUlT_T0_E_clISt17integral_constantIbLb1EESU_EEDaSP_SQ_EUlSP_E0_NS1_11comp_targetILNS1_3genE9ELNS1_11target_archE1100ELNS1_3gpuE3ELNS1_3repE0EEENS1_30default_config_static_selectorELNS0_4arch9wavefront6targetE1EEEvT1_,comdat
	.protected	_ZN7rocprim17ROCPRIM_400000_NS6detail17trampoline_kernelINS0_14default_configENS1_20scan_config_selectorIsEEZZNS1_9scan_implILNS1_25lookback_scan_determinismE0ELb1ELb1ES3_N6thrust23THRUST_200600_302600_NS6detail15normal_iteratorINS9_10device_ptrIsEEEESE_sNS9_4plusIvEEsEEDaPvRmT3_T4_T5_mT6_P12ihipStream_tbENKUlT_T0_E_clISt17integral_constantIbLb1EESU_EEDaSP_SQ_EUlSP_E0_NS1_11comp_targetILNS1_3genE9ELNS1_11target_archE1100ELNS1_3gpuE3ELNS1_3repE0EEENS1_30default_config_static_selectorELNS0_4arch9wavefront6targetE1EEEvT1_ ; -- Begin function _ZN7rocprim17ROCPRIM_400000_NS6detail17trampoline_kernelINS0_14default_configENS1_20scan_config_selectorIsEEZZNS1_9scan_implILNS1_25lookback_scan_determinismE0ELb1ELb1ES3_N6thrust23THRUST_200600_302600_NS6detail15normal_iteratorINS9_10device_ptrIsEEEESE_sNS9_4plusIvEEsEEDaPvRmT3_T4_T5_mT6_P12ihipStream_tbENKUlT_T0_E_clISt17integral_constantIbLb1EESU_EEDaSP_SQ_EUlSP_E0_NS1_11comp_targetILNS1_3genE9ELNS1_11target_archE1100ELNS1_3gpuE3ELNS1_3repE0EEENS1_30default_config_static_selectorELNS0_4arch9wavefront6targetE1EEEvT1_
	.globl	_ZN7rocprim17ROCPRIM_400000_NS6detail17trampoline_kernelINS0_14default_configENS1_20scan_config_selectorIsEEZZNS1_9scan_implILNS1_25lookback_scan_determinismE0ELb1ELb1ES3_N6thrust23THRUST_200600_302600_NS6detail15normal_iteratorINS9_10device_ptrIsEEEESE_sNS9_4plusIvEEsEEDaPvRmT3_T4_T5_mT6_P12ihipStream_tbENKUlT_T0_E_clISt17integral_constantIbLb1EESU_EEDaSP_SQ_EUlSP_E0_NS1_11comp_targetILNS1_3genE9ELNS1_11target_archE1100ELNS1_3gpuE3ELNS1_3repE0EEENS1_30default_config_static_selectorELNS0_4arch9wavefront6targetE1EEEvT1_
	.p2align	8
	.type	_ZN7rocprim17ROCPRIM_400000_NS6detail17trampoline_kernelINS0_14default_configENS1_20scan_config_selectorIsEEZZNS1_9scan_implILNS1_25lookback_scan_determinismE0ELb1ELb1ES3_N6thrust23THRUST_200600_302600_NS6detail15normal_iteratorINS9_10device_ptrIsEEEESE_sNS9_4plusIvEEsEEDaPvRmT3_T4_T5_mT6_P12ihipStream_tbENKUlT_T0_E_clISt17integral_constantIbLb1EESU_EEDaSP_SQ_EUlSP_E0_NS1_11comp_targetILNS1_3genE9ELNS1_11target_archE1100ELNS1_3gpuE3ELNS1_3repE0EEENS1_30default_config_static_selectorELNS0_4arch9wavefront6targetE1EEEvT1_,@function
_ZN7rocprim17ROCPRIM_400000_NS6detail17trampoline_kernelINS0_14default_configENS1_20scan_config_selectorIsEEZZNS1_9scan_implILNS1_25lookback_scan_determinismE0ELb1ELb1ES3_N6thrust23THRUST_200600_302600_NS6detail15normal_iteratorINS9_10device_ptrIsEEEESE_sNS9_4plusIvEEsEEDaPvRmT3_T4_T5_mT6_P12ihipStream_tbENKUlT_T0_E_clISt17integral_constantIbLb1EESU_EEDaSP_SQ_EUlSP_E0_NS1_11comp_targetILNS1_3genE9ELNS1_11target_archE1100ELNS1_3gpuE3ELNS1_3repE0EEENS1_30default_config_static_selectorELNS0_4arch9wavefront6targetE1EEEvT1_: ; @_ZN7rocprim17ROCPRIM_400000_NS6detail17trampoline_kernelINS0_14default_configENS1_20scan_config_selectorIsEEZZNS1_9scan_implILNS1_25lookback_scan_determinismE0ELb1ELb1ES3_N6thrust23THRUST_200600_302600_NS6detail15normal_iteratorINS9_10device_ptrIsEEEESE_sNS9_4plusIvEEsEEDaPvRmT3_T4_T5_mT6_P12ihipStream_tbENKUlT_T0_E_clISt17integral_constantIbLb1EESU_EEDaSP_SQ_EUlSP_E0_NS1_11comp_targetILNS1_3genE9ELNS1_11target_archE1100ELNS1_3gpuE3ELNS1_3repE0EEENS1_30default_config_static_selectorELNS0_4arch9wavefront6targetE1EEEvT1_
; %bb.0:
	.section	.rodata,"a",@progbits
	.p2align	6, 0x0
	.amdhsa_kernel _ZN7rocprim17ROCPRIM_400000_NS6detail17trampoline_kernelINS0_14default_configENS1_20scan_config_selectorIsEEZZNS1_9scan_implILNS1_25lookback_scan_determinismE0ELb1ELb1ES3_N6thrust23THRUST_200600_302600_NS6detail15normal_iteratorINS9_10device_ptrIsEEEESE_sNS9_4plusIvEEsEEDaPvRmT3_T4_T5_mT6_P12ihipStream_tbENKUlT_T0_E_clISt17integral_constantIbLb1EESU_EEDaSP_SQ_EUlSP_E0_NS1_11comp_targetILNS1_3genE9ELNS1_11target_archE1100ELNS1_3gpuE3ELNS1_3repE0EEENS1_30default_config_static_selectorELNS0_4arch9wavefront6targetE1EEEvT1_
		.amdhsa_group_segment_fixed_size 0
		.amdhsa_private_segment_fixed_size 0
		.amdhsa_kernarg_size 32
		.amdhsa_user_sgpr_count 6
		.amdhsa_user_sgpr_private_segment_buffer 1
		.amdhsa_user_sgpr_dispatch_ptr 0
		.amdhsa_user_sgpr_queue_ptr 0
		.amdhsa_user_sgpr_kernarg_segment_ptr 1
		.amdhsa_user_sgpr_dispatch_id 0
		.amdhsa_user_sgpr_flat_scratch_init 0
		.amdhsa_user_sgpr_kernarg_preload_length 0
		.amdhsa_user_sgpr_kernarg_preload_offset 0
		.amdhsa_user_sgpr_private_segment_size 0
		.amdhsa_uses_dynamic_stack 0
		.amdhsa_system_sgpr_private_segment_wavefront_offset 0
		.amdhsa_system_sgpr_workgroup_id_x 1
		.amdhsa_system_sgpr_workgroup_id_y 0
		.amdhsa_system_sgpr_workgroup_id_z 0
		.amdhsa_system_sgpr_workgroup_info 0
		.amdhsa_system_vgpr_workitem_id 0
		.amdhsa_next_free_vgpr 1
		.amdhsa_next_free_sgpr 0
		.amdhsa_accum_offset 4
		.amdhsa_reserve_vcc 0
		.amdhsa_reserve_flat_scratch 0
		.amdhsa_float_round_mode_32 0
		.amdhsa_float_round_mode_16_64 0
		.amdhsa_float_denorm_mode_32 3
		.amdhsa_float_denorm_mode_16_64 3
		.amdhsa_dx10_clamp 1
		.amdhsa_ieee_mode 1
		.amdhsa_fp16_overflow 0
		.amdhsa_tg_split 0
		.amdhsa_exception_fp_ieee_invalid_op 0
		.amdhsa_exception_fp_denorm_src 0
		.amdhsa_exception_fp_ieee_div_zero 0
		.amdhsa_exception_fp_ieee_overflow 0
		.amdhsa_exception_fp_ieee_underflow 0
		.amdhsa_exception_fp_ieee_inexact 0
		.amdhsa_exception_int_div_zero 0
	.end_amdhsa_kernel
	.section	.text._ZN7rocprim17ROCPRIM_400000_NS6detail17trampoline_kernelINS0_14default_configENS1_20scan_config_selectorIsEEZZNS1_9scan_implILNS1_25lookback_scan_determinismE0ELb1ELb1ES3_N6thrust23THRUST_200600_302600_NS6detail15normal_iteratorINS9_10device_ptrIsEEEESE_sNS9_4plusIvEEsEEDaPvRmT3_T4_T5_mT6_P12ihipStream_tbENKUlT_T0_E_clISt17integral_constantIbLb1EESU_EEDaSP_SQ_EUlSP_E0_NS1_11comp_targetILNS1_3genE9ELNS1_11target_archE1100ELNS1_3gpuE3ELNS1_3repE0EEENS1_30default_config_static_selectorELNS0_4arch9wavefront6targetE1EEEvT1_,"axG",@progbits,_ZN7rocprim17ROCPRIM_400000_NS6detail17trampoline_kernelINS0_14default_configENS1_20scan_config_selectorIsEEZZNS1_9scan_implILNS1_25lookback_scan_determinismE0ELb1ELb1ES3_N6thrust23THRUST_200600_302600_NS6detail15normal_iteratorINS9_10device_ptrIsEEEESE_sNS9_4plusIvEEsEEDaPvRmT3_T4_T5_mT6_P12ihipStream_tbENKUlT_T0_E_clISt17integral_constantIbLb1EESU_EEDaSP_SQ_EUlSP_E0_NS1_11comp_targetILNS1_3genE9ELNS1_11target_archE1100ELNS1_3gpuE3ELNS1_3repE0EEENS1_30default_config_static_selectorELNS0_4arch9wavefront6targetE1EEEvT1_,comdat
.Lfunc_end1013:
	.size	_ZN7rocprim17ROCPRIM_400000_NS6detail17trampoline_kernelINS0_14default_configENS1_20scan_config_selectorIsEEZZNS1_9scan_implILNS1_25lookback_scan_determinismE0ELb1ELb1ES3_N6thrust23THRUST_200600_302600_NS6detail15normal_iteratorINS9_10device_ptrIsEEEESE_sNS9_4plusIvEEsEEDaPvRmT3_T4_T5_mT6_P12ihipStream_tbENKUlT_T0_E_clISt17integral_constantIbLb1EESU_EEDaSP_SQ_EUlSP_E0_NS1_11comp_targetILNS1_3genE9ELNS1_11target_archE1100ELNS1_3gpuE3ELNS1_3repE0EEENS1_30default_config_static_selectorELNS0_4arch9wavefront6targetE1EEEvT1_, .Lfunc_end1013-_ZN7rocprim17ROCPRIM_400000_NS6detail17trampoline_kernelINS0_14default_configENS1_20scan_config_selectorIsEEZZNS1_9scan_implILNS1_25lookback_scan_determinismE0ELb1ELb1ES3_N6thrust23THRUST_200600_302600_NS6detail15normal_iteratorINS9_10device_ptrIsEEEESE_sNS9_4plusIvEEsEEDaPvRmT3_T4_T5_mT6_P12ihipStream_tbENKUlT_T0_E_clISt17integral_constantIbLb1EESU_EEDaSP_SQ_EUlSP_E0_NS1_11comp_targetILNS1_3genE9ELNS1_11target_archE1100ELNS1_3gpuE3ELNS1_3repE0EEENS1_30default_config_static_selectorELNS0_4arch9wavefront6targetE1EEEvT1_
                                        ; -- End function
	.section	.AMDGPU.csdata,"",@progbits
; Kernel info:
; codeLenInByte = 0
; NumSgprs: 4
; NumVgprs: 0
; NumAgprs: 0
; TotalNumVgprs: 0
; ScratchSize: 0
; MemoryBound: 0
; FloatMode: 240
; IeeeMode: 1
; LDSByteSize: 0 bytes/workgroup (compile time only)
; SGPRBlocks: 0
; VGPRBlocks: 0
; NumSGPRsForWavesPerEU: 4
; NumVGPRsForWavesPerEU: 1
; AccumOffset: 4
; Occupancy: 8
; WaveLimiterHint : 0
; COMPUTE_PGM_RSRC2:SCRATCH_EN: 0
; COMPUTE_PGM_RSRC2:USER_SGPR: 6
; COMPUTE_PGM_RSRC2:TRAP_HANDLER: 0
; COMPUTE_PGM_RSRC2:TGID_X_EN: 1
; COMPUTE_PGM_RSRC2:TGID_Y_EN: 0
; COMPUTE_PGM_RSRC2:TGID_Z_EN: 0
; COMPUTE_PGM_RSRC2:TIDIG_COMP_CNT: 0
; COMPUTE_PGM_RSRC3_GFX90A:ACCUM_OFFSET: 0
; COMPUTE_PGM_RSRC3_GFX90A:TG_SPLIT: 0
	.section	.text._ZN7rocprim17ROCPRIM_400000_NS6detail17trampoline_kernelINS0_14default_configENS1_20scan_config_selectorIsEEZZNS1_9scan_implILNS1_25lookback_scan_determinismE0ELb1ELb1ES3_N6thrust23THRUST_200600_302600_NS6detail15normal_iteratorINS9_10device_ptrIsEEEESE_sNS9_4plusIvEEsEEDaPvRmT3_T4_T5_mT6_P12ihipStream_tbENKUlT_T0_E_clISt17integral_constantIbLb1EESU_EEDaSP_SQ_EUlSP_E0_NS1_11comp_targetILNS1_3genE8ELNS1_11target_archE1030ELNS1_3gpuE2ELNS1_3repE0EEENS1_30default_config_static_selectorELNS0_4arch9wavefront6targetE1EEEvT1_,"axG",@progbits,_ZN7rocprim17ROCPRIM_400000_NS6detail17trampoline_kernelINS0_14default_configENS1_20scan_config_selectorIsEEZZNS1_9scan_implILNS1_25lookback_scan_determinismE0ELb1ELb1ES3_N6thrust23THRUST_200600_302600_NS6detail15normal_iteratorINS9_10device_ptrIsEEEESE_sNS9_4plusIvEEsEEDaPvRmT3_T4_T5_mT6_P12ihipStream_tbENKUlT_T0_E_clISt17integral_constantIbLb1EESU_EEDaSP_SQ_EUlSP_E0_NS1_11comp_targetILNS1_3genE8ELNS1_11target_archE1030ELNS1_3gpuE2ELNS1_3repE0EEENS1_30default_config_static_selectorELNS0_4arch9wavefront6targetE1EEEvT1_,comdat
	.protected	_ZN7rocprim17ROCPRIM_400000_NS6detail17trampoline_kernelINS0_14default_configENS1_20scan_config_selectorIsEEZZNS1_9scan_implILNS1_25lookback_scan_determinismE0ELb1ELb1ES3_N6thrust23THRUST_200600_302600_NS6detail15normal_iteratorINS9_10device_ptrIsEEEESE_sNS9_4plusIvEEsEEDaPvRmT3_T4_T5_mT6_P12ihipStream_tbENKUlT_T0_E_clISt17integral_constantIbLb1EESU_EEDaSP_SQ_EUlSP_E0_NS1_11comp_targetILNS1_3genE8ELNS1_11target_archE1030ELNS1_3gpuE2ELNS1_3repE0EEENS1_30default_config_static_selectorELNS0_4arch9wavefront6targetE1EEEvT1_ ; -- Begin function _ZN7rocprim17ROCPRIM_400000_NS6detail17trampoline_kernelINS0_14default_configENS1_20scan_config_selectorIsEEZZNS1_9scan_implILNS1_25lookback_scan_determinismE0ELb1ELb1ES3_N6thrust23THRUST_200600_302600_NS6detail15normal_iteratorINS9_10device_ptrIsEEEESE_sNS9_4plusIvEEsEEDaPvRmT3_T4_T5_mT6_P12ihipStream_tbENKUlT_T0_E_clISt17integral_constantIbLb1EESU_EEDaSP_SQ_EUlSP_E0_NS1_11comp_targetILNS1_3genE8ELNS1_11target_archE1030ELNS1_3gpuE2ELNS1_3repE0EEENS1_30default_config_static_selectorELNS0_4arch9wavefront6targetE1EEEvT1_
	.globl	_ZN7rocprim17ROCPRIM_400000_NS6detail17trampoline_kernelINS0_14default_configENS1_20scan_config_selectorIsEEZZNS1_9scan_implILNS1_25lookback_scan_determinismE0ELb1ELb1ES3_N6thrust23THRUST_200600_302600_NS6detail15normal_iteratorINS9_10device_ptrIsEEEESE_sNS9_4plusIvEEsEEDaPvRmT3_T4_T5_mT6_P12ihipStream_tbENKUlT_T0_E_clISt17integral_constantIbLb1EESU_EEDaSP_SQ_EUlSP_E0_NS1_11comp_targetILNS1_3genE8ELNS1_11target_archE1030ELNS1_3gpuE2ELNS1_3repE0EEENS1_30default_config_static_selectorELNS0_4arch9wavefront6targetE1EEEvT1_
	.p2align	8
	.type	_ZN7rocprim17ROCPRIM_400000_NS6detail17trampoline_kernelINS0_14default_configENS1_20scan_config_selectorIsEEZZNS1_9scan_implILNS1_25lookback_scan_determinismE0ELb1ELb1ES3_N6thrust23THRUST_200600_302600_NS6detail15normal_iteratorINS9_10device_ptrIsEEEESE_sNS9_4plusIvEEsEEDaPvRmT3_T4_T5_mT6_P12ihipStream_tbENKUlT_T0_E_clISt17integral_constantIbLb1EESU_EEDaSP_SQ_EUlSP_E0_NS1_11comp_targetILNS1_3genE8ELNS1_11target_archE1030ELNS1_3gpuE2ELNS1_3repE0EEENS1_30default_config_static_selectorELNS0_4arch9wavefront6targetE1EEEvT1_,@function
_ZN7rocprim17ROCPRIM_400000_NS6detail17trampoline_kernelINS0_14default_configENS1_20scan_config_selectorIsEEZZNS1_9scan_implILNS1_25lookback_scan_determinismE0ELb1ELb1ES3_N6thrust23THRUST_200600_302600_NS6detail15normal_iteratorINS9_10device_ptrIsEEEESE_sNS9_4plusIvEEsEEDaPvRmT3_T4_T5_mT6_P12ihipStream_tbENKUlT_T0_E_clISt17integral_constantIbLb1EESU_EEDaSP_SQ_EUlSP_E0_NS1_11comp_targetILNS1_3genE8ELNS1_11target_archE1030ELNS1_3gpuE2ELNS1_3repE0EEENS1_30default_config_static_selectorELNS0_4arch9wavefront6targetE1EEEvT1_: ; @_ZN7rocprim17ROCPRIM_400000_NS6detail17trampoline_kernelINS0_14default_configENS1_20scan_config_selectorIsEEZZNS1_9scan_implILNS1_25lookback_scan_determinismE0ELb1ELb1ES3_N6thrust23THRUST_200600_302600_NS6detail15normal_iteratorINS9_10device_ptrIsEEEESE_sNS9_4plusIvEEsEEDaPvRmT3_T4_T5_mT6_P12ihipStream_tbENKUlT_T0_E_clISt17integral_constantIbLb1EESU_EEDaSP_SQ_EUlSP_E0_NS1_11comp_targetILNS1_3genE8ELNS1_11target_archE1030ELNS1_3gpuE2ELNS1_3repE0EEENS1_30default_config_static_selectorELNS0_4arch9wavefront6targetE1EEEvT1_
; %bb.0:
	.section	.rodata,"a",@progbits
	.p2align	6, 0x0
	.amdhsa_kernel _ZN7rocprim17ROCPRIM_400000_NS6detail17trampoline_kernelINS0_14default_configENS1_20scan_config_selectorIsEEZZNS1_9scan_implILNS1_25lookback_scan_determinismE0ELb1ELb1ES3_N6thrust23THRUST_200600_302600_NS6detail15normal_iteratorINS9_10device_ptrIsEEEESE_sNS9_4plusIvEEsEEDaPvRmT3_T4_T5_mT6_P12ihipStream_tbENKUlT_T0_E_clISt17integral_constantIbLb1EESU_EEDaSP_SQ_EUlSP_E0_NS1_11comp_targetILNS1_3genE8ELNS1_11target_archE1030ELNS1_3gpuE2ELNS1_3repE0EEENS1_30default_config_static_selectorELNS0_4arch9wavefront6targetE1EEEvT1_
		.amdhsa_group_segment_fixed_size 0
		.amdhsa_private_segment_fixed_size 0
		.amdhsa_kernarg_size 32
		.amdhsa_user_sgpr_count 6
		.amdhsa_user_sgpr_private_segment_buffer 1
		.amdhsa_user_sgpr_dispatch_ptr 0
		.amdhsa_user_sgpr_queue_ptr 0
		.amdhsa_user_sgpr_kernarg_segment_ptr 1
		.amdhsa_user_sgpr_dispatch_id 0
		.amdhsa_user_sgpr_flat_scratch_init 0
		.amdhsa_user_sgpr_kernarg_preload_length 0
		.amdhsa_user_sgpr_kernarg_preload_offset 0
		.amdhsa_user_sgpr_private_segment_size 0
		.amdhsa_uses_dynamic_stack 0
		.amdhsa_system_sgpr_private_segment_wavefront_offset 0
		.amdhsa_system_sgpr_workgroup_id_x 1
		.amdhsa_system_sgpr_workgroup_id_y 0
		.amdhsa_system_sgpr_workgroup_id_z 0
		.amdhsa_system_sgpr_workgroup_info 0
		.amdhsa_system_vgpr_workitem_id 0
		.amdhsa_next_free_vgpr 1
		.amdhsa_next_free_sgpr 0
		.amdhsa_accum_offset 4
		.amdhsa_reserve_vcc 0
		.amdhsa_reserve_flat_scratch 0
		.amdhsa_float_round_mode_32 0
		.amdhsa_float_round_mode_16_64 0
		.amdhsa_float_denorm_mode_32 3
		.amdhsa_float_denorm_mode_16_64 3
		.amdhsa_dx10_clamp 1
		.amdhsa_ieee_mode 1
		.amdhsa_fp16_overflow 0
		.amdhsa_tg_split 0
		.amdhsa_exception_fp_ieee_invalid_op 0
		.amdhsa_exception_fp_denorm_src 0
		.amdhsa_exception_fp_ieee_div_zero 0
		.amdhsa_exception_fp_ieee_overflow 0
		.amdhsa_exception_fp_ieee_underflow 0
		.amdhsa_exception_fp_ieee_inexact 0
		.amdhsa_exception_int_div_zero 0
	.end_amdhsa_kernel
	.section	.text._ZN7rocprim17ROCPRIM_400000_NS6detail17trampoline_kernelINS0_14default_configENS1_20scan_config_selectorIsEEZZNS1_9scan_implILNS1_25lookback_scan_determinismE0ELb1ELb1ES3_N6thrust23THRUST_200600_302600_NS6detail15normal_iteratorINS9_10device_ptrIsEEEESE_sNS9_4plusIvEEsEEDaPvRmT3_T4_T5_mT6_P12ihipStream_tbENKUlT_T0_E_clISt17integral_constantIbLb1EESU_EEDaSP_SQ_EUlSP_E0_NS1_11comp_targetILNS1_3genE8ELNS1_11target_archE1030ELNS1_3gpuE2ELNS1_3repE0EEENS1_30default_config_static_selectorELNS0_4arch9wavefront6targetE1EEEvT1_,"axG",@progbits,_ZN7rocprim17ROCPRIM_400000_NS6detail17trampoline_kernelINS0_14default_configENS1_20scan_config_selectorIsEEZZNS1_9scan_implILNS1_25lookback_scan_determinismE0ELb1ELb1ES3_N6thrust23THRUST_200600_302600_NS6detail15normal_iteratorINS9_10device_ptrIsEEEESE_sNS9_4plusIvEEsEEDaPvRmT3_T4_T5_mT6_P12ihipStream_tbENKUlT_T0_E_clISt17integral_constantIbLb1EESU_EEDaSP_SQ_EUlSP_E0_NS1_11comp_targetILNS1_3genE8ELNS1_11target_archE1030ELNS1_3gpuE2ELNS1_3repE0EEENS1_30default_config_static_selectorELNS0_4arch9wavefront6targetE1EEEvT1_,comdat
.Lfunc_end1014:
	.size	_ZN7rocprim17ROCPRIM_400000_NS6detail17trampoline_kernelINS0_14default_configENS1_20scan_config_selectorIsEEZZNS1_9scan_implILNS1_25lookback_scan_determinismE0ELb1ELb1ES3_N6thrust23THRUST_200600_302600_NS6detail15normal_iteratorINS9_10device_ptrIsEEEESE_sNS9_4plusIvEEsEEDaPvRmT3_T4_T5_mT6_P12ihipStream_tbENKUlT_T0_E_clISt17integral_constantIbLb1EESU_EEDaSP_SQ_EUlSP_E0_NS1_11comp_targetILNS1_3genE8ELNS1_11target_archE1030ELNS1_3gpuE2ELNS1_3repE0EEENS1_30default_config_static_selectorELNS0_4arch9wavefront6targetE1EEEvT1_, .Lfunc_end1014-_ZN7rocprim17ROCPRIM_400000_NS6detail17trampoline_kernelINS0_14default_configENS1_20scan_config_selectorIsEEZZNS1_9scan_implILNS1_25lookback_scan_determinismE0ELb1ELb1ES3_N6thrust23THRUST_200600_302600_NS6detail15normal_iteratorINS9_10device_ptrIsEEEESE_sNS9_4plusIvEEsEEDaPvRmT3_T4_T5_mT6_P12ihipStream_tbENKUlT_T0_E_clISt17integral_constantIbLb1EESU_EEDaSP_SQ_EUlSP_E0_NS1_11comp_targetILNS1_3genE8ELNS1_11target_archE1030ELNS1_3gpuE2ELNS1_3repE0EEENS1_30default_config_static_selectorELNS0_4arch9wavefront6targetE1EEEvT1_
                                        ; -- End function
	.section	.AMDGPU.csdata,"",@progbits
; Kernel info:
; codeLenInByte = 0
; NumSgprs: 4
; NumVgprs: 0
; NumAgprs: 0
; TotalNumVgprs: 0
; ScratchSize: 0
; MemoryBound: 0
; FloatMode: 240
; IeeeMode: 1
; LDSByteSize: 0 bytes/workgroup (compile time only)
; SGPRBlocks: 0
; VGPRBlocks: 0
; NumSGPRsForWavesPerEU: 4
; NumVGPRsForWavesPerEU: 1
; AccumOffset: 4
; Occupancy: 8
; WaveLimiterHint : 0
; COMPUTE_PGM_RSRC2:SCRATCH_EN: 0
; COMPUTE_PGM_RSRC2:USER_SGPR: 6
; COMPUTE_PGM_RSRC2:TRAP_HANDLER: 0
; COMPUTE_PGM_RSRC2:TGID_X_EN: 1
; COMPUTE_PGM_RSRC2:TGID_Y_EN: 0
; COMPUTE_PGM_RSRC2:TGID_Z_EN: 0
; COMPUTE_PGM_RSRC2:TIDIG_COMP_CNT: 0
; COMPUTE_PGM_RSRC3_GFX90A:ACCUM_OFFSET: 0
; COMPUTE_PGM_RSRC3_GFX90A:TG_SPLIT: 0
	.section	.text._ZN7rocprim17ROCPRIM_400000_NS6detail17trampoline_kernelINS0_14default_configENS1_20scan_config_selectorIsEEZZNS1_9scan_implILNS1_25lookback_scan_determinismE0ELb1ELb1ES3_N6thrust23THRUST_200600_302600_NS6detail15normal_iteratorINS9_10device_ptrIsEEEESE_sNS9_4plusIvEEsEEDaPvRmT3_T4_T5_mT6_P12ihipStream_tbENKUlT_T0_E_clISt17integral_constantIbLb1EEST_IbLb0EEEEDaSP_SQ_EUlSP_E_NS1_11comp_targetILNS1_3genE0ELNS1_11target_archE4294967295ELNS1_3gpuE0ELNS1_3repE0EEENS1_30default_config_static_selectorELNS0_4arch9wavefront6targetE1EEEvT1_,"axG",@progbits,_ZN7rocprim17ROCPRIM_400000_NS6detail17trampoline_kernelINS0_14default_configENS1_20scan_config_selectorIsEEZZNS1_9scan_implILNS1_25lookback_scan_determinismE0ELb1ELb1ES3_N6thrust23THRUST_200600_302600_NS6detail15normal_iteratorINS9_10device_ptrIsEEEESE_sNS9_4plusIvEEsEEDaPvRmT3_T4_T5_mT6_P12ihipStream_tbENKUlT_T0_E_clISt17integral_constantIbLb1EEST_IbLb0EEEEDaSP_SQ_EUlSP_E_NS1_11comp_targetILNS1_3genE0ELNS1_11target_archE4294967295ELNS1_3gpuE0ELNS1_3repE0EEENS1_30default_config_static_selectorELNS0_4arch9wavefront6targetE1EEEvT1_,comdat
	.protected	_ZN7rocprim17ROCPRIM_400000_NS6detail17trampoline_kernelINS0_14default_configENS1_20scan_config_selectorIsEEZZNS1_9scan_implILNS1_25lookback_scan_determinismE0ELb1ELb1ES3_N6thrust23THRUST_200600_302600_NS6detail15normal_iteratorINS9_10device_ptrIsEEEESE_sNS9_4plusIvEEsEEDaPvRmT3_T4_T5_mT6_P12ihipStream_tbENKUlT_T0_E_clISt17integral_constantIbLb1EEST_IbLb0EEEEDaSP_SQ_EUlSP_E_NS1_11comp_targetILNS1_3genE0ELNS1_11target_archE4294967295ELNS1_3gpuE0ELNS1_3repE0EEENS1_30default_config_static_selectorELNS0_4arch9wavefront6targetE1EEEvT1_ ; -- Begin function _ZN7rocprim17ROCPRIM_400000_NS6detail17trampoline_kernelINS0_14default_configENS1_20scan_config_selectorIsEEZZNS1_9scan_implILNS1_25lookback_scan_determinismE0ELb1ELb1ES3_N6thrust23THRUST_200600_302600_NS6detail15normal_iteratorINS9_10device_ptrIsEEEESE_sNS9_4plusIvEEsEEDaPvRmT3_T4_T5_mT6_P12ihipStream_tbENKUlT_T0_E_clISt17integral_constantIbLb1EEST_IbLb0EEEEDaSP_SQ_EUlSP_E_NS1_11comp_targetILNS1_3genE0ELNS1_11target_archE4294967295ELNS1_3gpuE0ELNS1_3repE0EEENS1_30default_config_static_selectorELNS0_4arch9wavefront6targetE1EEEvT1_
	.globl	_ZN7rocprim17ROCPRIM_400000_NS6detail17trampoline_kernelINS0_14default_configENS1_20scan_config_selectorIsEEZZNS1_9scan_implILNS1_25lookback_scan_determinismE0ELb1ELb1ES3_N6thrust23THRUST_200600_302600_NS6detail15normal_iteratorINS9_10device_ptrIsEEEESE_sNS9_4plusIvEEsEEDaPvRmT3_T4_T5_mT6_P12ihipStream_tbENKUlT_T0_E_clISt17integral_constantIbLb1EEST_IbLb0EEEEDaSP_SQ_EUlSP_E_NS1_11comp_targetILNS1_3genE0ELNS1_11target_archE4294967295ELNS1_3gpuE0ELNS1_3repE0EEENS1_30default_config_static_selectorELNS0_4arch9wavefront6targetE1EEEvT1_
	.p2align	8
	.type	_ZN7rocprim17ROCPRIM_400000_NS6detail17trampoline_kernelINS0_14default_configENS1_20scan_config_selectorIsEEZZNS1_9scan_implILNS1_25lookback_scan_determinismE0ELb1ELb1ES3_N6thrust23THRUST_200600_302600_NS6detail15normal_iteratorINS9_10device_ptrIsEEEESE_sNS9_4plusIvEEsEEDaPvRmT3_T4_T5_mT6_P12ihipStream_tbENKUlT_T0_E_clISt17integral_constantIbLb1EEST_IbLb0EEEEDaSP_SQ_EUlSP_E_NS1_11comp_targetILNS1_3genE0ELNS1_11target_archE4294967295ELNS1_3gpuE0ELNS1_3repE0EEENS1_30default_config_static_selectorELNS0_4arch9wavefront6targetE1EEEvT1_,@function
_ZN7rocprim17ROCPRIM_400000_NS6detail17trampoline_kernelINS0_14default_configENS1_20scan_config_selectorIsEEZZNS1_9scan_implILNS1_25lookback_scan_determinismE0ELb1ELb1ES3_N6thrust23THRUST_200600_302600_NS6detail15normal_iteratorINS9_10device_ptrIsEEEESE_sNS9_4plusIvEEsEEDaPvRmT3_T4_T5_mT6_P12ihipStream_tbENKUlT_T0_E_clISt17integral_constantIbLb1EEST_IbLb0EEEEDaSP_SQ_EUlSP_E_NS1_11comp_targetILNS1_3genE0ELNS1_11target_archE4294967295ELNS1_3gpuE0ELNS1_3repE0EEENS1_30default_config_static_selectorELNS0_4arch9wavefront6targetE1EEEvT1_: ; @_ZN7rocprim17ROCPRIM_400000_NS6detail17trampoline_kernelINS0_14default_configENS1_20scan_config_selectorIsEEZZNS1_9scan_implILNS1_25lookback_scan_determinismE0ELb1ELb1ES3_N6thrust23THRUST_200600_302600_NS6detail15normal_iteratorINS9_10device_ptrIsEEEESE_sNS9_4plusIvEEsEEDaPvRmT3_T4_T5_mT6_P12ihipStream_tbENKUlT_T0_E_clISt17integral_constantIbLb1EEST_IbLb0EEEEDaSP_SQ_EUlSP_E_NS1_11comp_targetILNS1_3genE0ELNS1_11target_archE4294967295ELNS1_3gpuE0ELNS1_3repE0EEENS1_30default_config_static_selectorELNS0_4arch9wavefront6targetE1EEEvT1_
; %bb.0:
	.section	.rodata,"a",@progbits
	.p2align	6, 0x0
	.amdhsa_kernel _ZN7rocprim17ROCPRIM_400000_NS6detail17trampoline_kernelINS0_14default_configENS1_20scan_config_selectorIsEEZZNS1_9scan_implILNS1_25lookback_scan_determinismE0ELb1ELb1ES3_N6thrust23THRUST_200600_302600_NS6detail15normal_iteratorINS9_10device_ptrIsEEEESE_sNS9_4plusIvEEsEEDaPvRmT3_T4_T5_mT6_P12ihipStream_tbENKUlT_T0_E_clISt17integral_constantIbLb1EEST_IbLb0EEEEDaSP_SQ_EUlSP_E_NS1_11comp_targetILNS1_3genE0ELNS1_11target_archE4294967295ELNS1_3gpuE0ELNS1_3repE0EEENS1_30default_config_static_selectorELNS0_4arch9wavefront6targetE1EEEvT1_
		.amdhsa_group_segment_fixed_size 0
		.amdhsa_private_segment_fixed_size 0
		.amdhsa_kernarg_size 96
		.amdhsa_user_sgpr_count 6
		.amdhsa_user_sgpr_private_segment_buffer 1
		.amdhsa_user_sgpr_dispatch_ptr 0
		.amdhsa_user_sgpr_queue_ptr 0
		.amdhsa_user_sgpr_kernarg_segment_ptr 1
		.amdhsa_user_sgpr_dispatch_id 0
		.amdhsa_user_sgpr_flat_scratch_init 0
		.amdhsa_user_sgpr_kernarg_preload_length 0
		.amdhsa_user_sgpr_kernarg_preload_offset 0
		.amdhsa_user_sgpr_private_segment_size 0
		.amdhsa_uses_dynamic_stack 0
		.amdhsa_system_sgpr_private_segment_wavefront_offset 0
		.amdhsa_system_sgpr_workgroup_id_x 1
		.amdhsa_system_sgpr_workgroup_id_y 0
		.amdhsa_system_sgpr_workgroup_id_z 0
		.amdhsa_system_sgpr_workgroup_info 0
		.amdhsa_system_vgpr_workitem_id 0
		.amdhsa_next_free_vgpr 1
		.amdhsa_next_free_sgpr 0
		.amdhsa_accum_offset 4
		.amdhsa_reserve_vcc 0
		.amdhsa_reserve_flat_scratch 0
		.amdhsa_float_round_mode_32 0
		.amdhsa_float_round_mode_16_64 0
		.amdhsa_float_denorm_mode_32 3
		.amdhsa_float_denorm_mode_16_64 3
		.amdhsa_dx10_clamp 1
		.amdhsa_ieee_mode 1
		.amdhsa_fp16_overflow 0
		.amdhsa_tg_split 0
		.amdhsa_exception_fp_ieee_invalid_op 0
		.amdhsa_exception_fp_denorm_src 0
		.amdhsa_exception_fp_ieee_div_zero 0
		.amdhsa_exception_fp_ieee_overflow 0
		.amdhsa_exception_fp_ieee_underflow 0
		.amdhsa_exception_fp_ieee_inexact 0
		.amdhsa_exception_int_div_zero 0
	.end_amdhsa_kernel
	.section	.text._ZN7rocprim17ROCPRIM_400000_NS6detail17trampoline_kernelINS0_14default_configENS1_20scan_config_selectorIsEEZZNS1_9scan_implILNS1_25lookback_scan_determinismE0ELb1ELb1ES3_N6thrust23THRUST_200600_302600_NS6detail15normal_iteratorINS9_10device_ptrIsEEEESE_sNS9_4plusIvEEsEEDaPvRmT3_T4_T5_mT6_P12ihipStream_tbENKUlT_T0_E_clISt17integral_constantIbLb1EEST_IbLb0EEEEDaSP_SQ_EUlSP_E_NS1_11comp_targetILNS1_3genE0ELNS1_11target_archE4294967295ELNS1_3gpuE0ELNS1_3repE0EEENS1_30default_config_static_selectorELNS0_4arch9wavefront6targetE1EEEvT1_,"axG",@progbits,_ZN7rocprim17ROCPRIM_400000_NS6detail17trampoline_kernelINS0_14default_configENS1_20scan_config_selectorIsEEZZNS1_9scan_implILNS1_25lookback_scan_determinismE0ELb1ELb1ES3_N6thrust23THRUST_200600_302600_NS6detail15normal_iteratorINS9_10device_ptrIsEEEESE_sNS9_4plusIvEEsEEDaPvRmT3_T4_T5_mT6_P12ihipStream_tbENKUlT_T0_E_clISt17integral_constantIbLb1EEST_IbLb0EEEEDaSP_SQ_EUlSP_E_NS1_11comp_targetILNS1_3genE0ELNS1_11target_archE4294967295ELNS1_3gpuE0ELNS1_3repE0EEENS1_30default_config_static_selectorELNS0_4arch9wavefront6targetE1EEEvT1_,comdat
.Lfunc_end1015:
	.size	_ZN7rocprim17ROCPRIM_400000_NS6detail17trampoline_kernelINS0_14default_configENS1_20scan_config_selectorIsEEZZNS1_9scan_implILNS1_25lookback_scan_determinismE0ELb1ELb1ES3_N6thrust23THRUST_200600_302600_NS6detail15normal_iteratorINS9_10device_ptrIsEEEESE_sNS9_4plusIvEEsEEDaPvRmT3_T4_T5_mT6_P12ihipStream_tbENKUlT_T0_E_clISt17integral_constantIbLb1EEST_IbLb0EEEEDaSP_SQ_EUlSP_E_NS1_11comp_targetILNS1_3genE0ELNS1_11target_archE4294967295ELNS1_3gpuE0ELNS1_3repE0EEENS1_30default_config_static_selectorELNS0_4arch9wavefront6targetE1EEEvT1_, .Lfunc_end1015-_ZN7rocprim17ROCPRIM_400000_NS6detail17trampoline_kernelINS0_14default_configENS1_20scan_config_selectorIsEEZZNS1_9scan_implILNS1_25lookback_scan_determinismE0ELb1ELb1ES3_N6thrust23THRUST_200600_302600_NS6detail15normal_iteratorINS9_10device_ptrIsEEEESE_sNS9_4plusIvEEsEEDaPvRmT3_T4_T5_mT6_P12ihipStream_tbENKUlT_T0_E_clISt17integral_constantIbLb1EEST_IbLb0EEEEDaSP_SQ_EUlSP_E_NS1_11comp_targetILNS1_3genE0ELNS1_11target_archE4294967295ELNS1_3gpuE0ELNS1_3repE0EEENS1_30default_config_static_selectorELNS0_4arch9wavefront6targetE1EEEvT1_
                                        ; -- End function
	.section	.AMDGPU.csdata,"",@progbits
; Kernel info:
; codeLenInByte = 0
; NumSgprs: 4
; NumVgprs: 0
; NumAgprs: 0
; TotalNumVgprs: 0
; ScratchSize: 0
; MemoryBound: 0
; FloatMode: 240
; IeeeMode: 1
; LDSByteSize: 0 bytes/workgroup (compile time only)
; SGPRBlocks: 0
; VGPRBlocks: 0
; NumSGPRsForWavesPerEU: 4
; NumVGPRsForWavesPerEU: 1
; AccumOffset: 4
; Occupancy: 8
; WaveLimiterHint : 0
; COMPUTE_PGM_RSRC2:SCRATCH_EN: 0
; COMPUTE_PGM_RSRC2:USER_SGPR: 6
; COMPUTE_PGM_RSRC2:TRAP_HANDLER: 0
; COMPUTE_PGM_RSRC2:TGID_X_EN: 1
; COMPUTE_PGM_RSRC2:TGID_Y_EN: 0
; COMPUTE_PGM_RSRC2:TGID_Z_EN: 0
; COMPUTE_PGM_RSRC2:TIDIG_COMP_CNT: 0
; COMPUTE_PGM_RSRC3_GFX90A:ACCUM_OFFSET: 0
; COMPUTE_PGM_RSRC3_GFX90A:TG_SPLIT: 0
	.section	.text._ZN7rocprim17ROCPRIM_400000_NS6detail17trampoline_kernelINS0_14default_configENS1_20scan_config_selectorIsEEZZNS1_9scan_implILNS1_25lookback_scan_determinismE0ELb1ELb1ES3_N6thrust23THRUST_200600_302600_NS6detail15normal_iteratorINS9_10device_ptrIsEEEESE_sNS9_4plusIvEEsEEDaPvRmT3_T4_T5_mT6_P12ihipStream_tbENKUlT_T0_E_clISt17integral_constantIbLb1EEST_IbLb0EEEEDaSP_SQ_EUlSP_E_NS1_11comp_targetILNS1_3genE5ELNS1_11target_archE942ELNS1_3gpuE9ELNS1_3repE0EEENS1_30default_config_static_selectorELNS0_4arch9wavefront6targetE1EEEvT1_,"axG",@progbits,_ZN7rocprim17ROCPRIM_400000_NS6detail17trampoline_kernelINS0_14default_configENS1_20scan_config_selectorIsEEZZNS1_9scan_implILNS1_25lookback_scan_determinismE0ELb1ELb1ES3_N6thrust23THRUST_200600_302600_NS6detail15normal_iteratorINS9_10device_ptrIsEEEESE_sNS9_4plusIvEEsEEDaPvRmT3_T4_T5_mT6_P12ihipStream_tbENKUlT_T0_E_clISt17integral_constantIbLb1EEST_IbLb0EEEEDaSP_SQ_EUlSP_E_NS1_11comp_targetILNS1_3genE5ELNS1_11target_archE942ELNS1_3gpuE9ELNS1_3repE0EEENS1_30default_config_static_selectorELNS0_4arch9wavefront6targetE1EEEvT1_,comdat
	.protected	_ZN7rocprim17ROCPRIM_400000_NS6detail17trampoline_kernelINS0_14default_configENS1_20scan_config_selectorIsEEZZNS1_9scan_implILNS1_25lookback_scan_determinismE0ELb1ELb1ES3_N6thrust23THRUST_200600_302600_NS6detail15normal_iteratorINS9_10device_ptrIsEEEESE_sNS9_4plusIvEEsEEDaPvRmT3_T4_T5_mT6_P12ihipStream_tbENKUlT_T0_E_clISt17integral_constantIbLb1EEST_IbLb0EEEEDaSP_SQ_EUlSP_E_NS1_11comp_targetILNS1_3genE5ELNS1_11target_archE942ELNS1_3gpuE9ELNS1_3repE0EEENS1_30default_config_static_selectorELNS0_4arch9wavefront6targetE1EEEvT1_ ; -- Begin function _ZN7rocprim17ROCPRIM_400000_NS6detail17trampoline_kernelINS0_14default_configENS1_20scan_config_selectorIsEEZZNS1_9scan_implILNS1_25lookback_scan_determinismE0ELb1ELb1ES3_N6thrust23THRUST_200600_302600_NS6detail15normal_iteratorINS9_10device_ptrIsEEEESE_sNS9_4plusIvEEsEEDaPvRmT3_T4_T5_mT6_P12ihipStream_tbENKUlT_T0_E_clISt17integral_constantIbLb1EEST_IbLb0EEEEDaSP_SQ_EUlSP_E_NS1_11comp_targetILNS1_3genE5ELNS1_11target_archE942ELNS1_3gpuE9ELNS1_3repE0EEENS1_30default_config_static_selectorELNS0_4arch9wavefront6targetE1EEEvT1_
	.globl	_ZN7rocprim17ROCPRIM_400000_NS6detail17trampoline_kernelINS0_14default_configENS1_20scan_config_selectorIsEEZZNS1_9scan_implILNS1_25lookback_scan_determinismE0ELb1ELb1ES3_N6thrust23THRUST_200600_302600_NS6detail15normal_iteratorINS9_10device_ptrIsEEEESE_sNS9_4plusIvEEsEEDaPvRmT3_T4_T5_mT6_P12ihipStream_tbENKUlT_T0_E_clISt17integral_constantIbLb1EEST_IbLb0EEEEDaSP_SQ_EUlSP_E_NS1_11comp_targetILNS1_3genE5ELNS1_11target_archE942ELNS1_3gpuE9ELNS1_3repE0EEENS1_30default_config_static_selectorELNS0_4arch9wavefront6targetE1EEEvT1_
	.p2align	8
	.type	_ZN7rocprim17ROCPRIM_400000_NS6detail17trampoline_kernelINS0_14default_configENS1_20scan_config_selectorIsEEZZNS1_9scan_implILNS1_25lookback_scan_determinismE0ELb1ELb1ES3_N6thrust23THRUST_200600_302600_NS6detail15normal_iteratorINS9_10device_ptrIsEEEESE_sNS9_4plusIvEEsEEDaPvRmT3_T4_T5_mT6_P12ihipStream_tbENKUlT_T0_E_clISt17integral_constantIbLb1EEST_IbLb0EEEEDaSP_SQ_EUlSP_E_NS1_11comp_targetILNS1_3genE5ELNS1_11target_archE942ELNS1_3gpuE9ELNS1_3repE0EEENS1_30default_config_static_selectorELNS0_4arch9wavefront6targetE1EEEvT1_,@function
_ZN7rocprim17ROCPRIM_400000_NS6detail17trampoline_kernelINS0_14default_configENS1_20scan_config_selectorIsEEZZNS1_9scan_implILNS1_25lookback_scan_determinismE0ELb1ELb1ES3_N6thrust23THRUST_200600_302600_NS6detail15normal_iteratorINS9_10device_ptrIsEEEESE_sNS9_4plusIvEEsEEDaPvRmT3_T4_T5_mT6_P12ihipStream_tbENKUlT_T0_E_clISt17integral_constantIbLb1EEST_IbLb0EEEEDaSP_SQ_EUlSP_E_NS1_11comp_targetILNS1_3genE5ELNS1_11target_archE942ELNS1_3gpuE9ELNS1_3repE0EEENS1_30default_config_static_selectorELNS0_4arch9wavefront6targetE1EEEvT1_: ; @_ZN7rocprim17ROCPRIM_400000_NS6detail17trampoline_kernelINS0_14default_configENS1_20scan_config_selectorIsEEZZNS1_9scan_implILNS1_25lookback_scan_determinismE0ELb1ELb1ES3_N6thrust23THRUST_200600_302600_NS6detail15normal_iteratorINS9_10device_ptrIsEEEESE_sNS9_4plusIvEEsEEDaPvRmT3_T4_T5_mT6_P12ihipStream_tbENKUlT_T0_E_clISt17integral_constantIbLb1EEST_IbLb0EEEEDaSP_SQ_EUlSP_E_NS1_11comp_targetILNS1_3genE5ELNS1_11target_archE942ELNS1_3gpuE9ELNS1_3repE0EEENS1_30default_config_static_selectorELNS0_4arch9wavefront6targetE1EEEvT1_
; %bb.0:
	.section	.rodata,"a",@progbits
	.p2align	6, 0x0
	.amdhsa_kernel _ZN7rocprim17ROCPRIM_400000_NS6detail17trampoline_kernelINS0_14default_configENS1_20scan_config_selectorIsEEZZNS1_9scan_implILNS1_25lookback_scan_determinismE0ELb1ELb1ES3_N6thrust23THRUST_200600_302600_NS6detail15normal_iteratorINS9_10device_ptrIsEEEESE_sNS9_4plusIvEEsEEDaPvRmT3_T4_T5_mT6_P12ihipStream_tbENKUlT_T0_E_clISt17integral_constantIbLb1EEST_IbLb0EEEEDaSP_SQ_EUlSP_E_NS1_11comp_targetILNS1_3genE5ELNS1_11target_archE942ELNS1_3gpuE9ELNS1_3repE0EEENS1_30default_config_static_selectorELNS0_4arch9wavefront6targetE1EEEvT1_
		.amdhsa_group_segment_fixed_size 0
		.amdhsa_private_segment_fixed_size 0
		.amdhsa_kernarg_size 96
		.amdhsa_user_sgpr_count 6
		.amdhsa_user_sgpr_private_segment_buffer 1
		.amdhsa_user_sgpr_dispatch_ptr 0
		.amdhsa_user_sgpr_queue_ptr 0
		.amdhsa_user_sgpr_kernarg_segment_ptr 1
		.amdhsa_user_sgpr_dispatch_id 0
		.amdhsa_user_sgpr_flat_scratch_init 0
		.amdhsa_user_sgpr_kernarg_preload_length 0
		.amdhsa_user_sgpr_kernarg_preload_offset 0
		.amdhsa_user_sgpr_private_segment_size 0
		.amdhsa_uses_dynamic_stack 0
		.amdhsa_system_sgpr_private_segment_wavefront_offset 0
		.amdhsa_system_sgpr_workgroup_id_x 1
		.amdhsa_system_sgpr_workgroup_id_y 0
		.amdhsa_system_sgpr_workgroup_id_z 0
		.amdhsa_system_sgpr_workgroup_info 0
		.amdhsa_system_vgpr_workitem_id 0
		.amdhsa_next_free_vgpr 1
		.amdhsa_next_free_sgpr 0
		.amdhsa_accum_offset 4
		.amdhsa_reserve_vcc 0
		.amdhsa_reserve_flat_scratch 0
		.amdhsa_float_round_mode_32 0
		.amdhsa_float_round_mode_16_64 0
		.amdhsa_float_denorm_mode_32 3
		.amdhsa_float_denorm_mode_16_64 3
		.amdhsa_dx10_clamp 1
		.amdhsa_ieee_mode 1
		.amdhsa_fp16_overflow 0
		.amdhsa_tg_split 0
		.amdhsa_exception_fp_ieee_invalid_op 0
		.amdhsa_exception_fp_denorm_src 0
		.amdhsa_exception_fp_ieee_div_zero 0
		.amdhsa_exception_fp_ieee_overflow 0
		.amdhsa_exception_fp_ieee_underflow 0
		.amdhsa_exception_fp_ieee_inexact 0
		.amdhsa_exception_int_div_zero 0
	.end_amdhsa_kernel
	.section	.text._ZN7rocprim17ROCPRIM_400000_NS6detail17trampoline_kernelINS0_14default_configENS1_20scan_config_selectorIsEEZZNS1_9scan_implILNS1_25lookback_scan_determinismE0ELb1ELb1ES3_N6thrust23THRUST_200600_302600_NS6detail15normal_iteratorINS9_10device_ptrIsEEEESE_sNS9_4plusIvEEsEEDaPvRmT3_T4_T5_mT6_P12ihipStream_tbENKUlT_T0_E_clISt17integral_constantIbLb1EEST_IbLb0EEEEDaSP_SQ_EUlSP_E_NS1_11comp_targetILNS1_3genE5ELNS1_11target_archE942ELNS1_3gpuE9ELNS1_3repE0EEENS1_30default_config_static_selectorELNS0_4arch9wavefront6targetE1EEEvT1_,"axG",@progbits,_ZN7rocprim17ROCPRIM_400000_NS6detail17trampoline_kernelINS0_14default_configENS1_20scan_config_selectorIsEEZZNS1_9scan_implILNS1_25lookback_scan_determinismE0ELb1ELb1ES3_N6thrust23THRUST_200600_302600_NS6detail15normal_iteratorINS9_10device_ptrIsEEEESE_sNS9_4plusIvEEsEEDaPvRmT3_T4_T5_mT6_P12ihipStream_tbENKUlT_T0_E_clISt17integral_constantIbLb1EEST_IbLb0EEEEDaSP_SQ_EUlSP_E_NS1_11comp_targetILNS1_3genE5ELNS1_11target_archE942ELNS1_3gpuE9ELNS1_3repE0EEENS1_30default_config_static_selectorELNS0_4arch9wavefront6targetE1EEEvT1_,comdat
.Lfunc_end1016:
	.size	_ZN7rocprim17ROCPRIM_400000_NS6detail17trampoline_kernelINS0_14default_configENS1_20scan_config_selectorIsEEZZNS1_9scan_implILNS1_25lookback_scan_determinismE0ELb1ELb1ES3_N6thrust23THRUST_200600_302600_NS6detail15normal_iteratorINS9_10device_ptrIsEEEESE_sNS9_4plusIvEEsEEDaPvRmT3_T4_T5_mT6_P12ihipStream_tbENKUlT_T0_E_clISt17integral_constantIbLb1EEST_IbLb0EEEEDaSP_SQ_EUlSP_E_NS1_11comp_targetILNS1_3genE5ELNS1_11target_archE942ELNS1_3gpuE9ELNS1_3repE0EEENS1_30default_config_static_selectorELNS0_4arch9wavefront6targetE1EEEvT1_, .Lfunc_end1016-_ZN7rocprim17ROCPRIM_400000_NS6detail17trampoline_kernelINS0_14default_configENS1_20scan_config_selectorIsEEZZNS1_9scan_implILNS1_25lookback_scan_determinismE0ELb1ELb1ES3_N6thrust23THRUST_200600_302600_NS6detail15normal_iteratorINS9_10device_ptrIsEEEESE_sNS9_4plusIvEEsEEDaPvRmT3_T4_T5_mT6_P12ihipStream_tbENKUlT_T0_E_clISt17integral_constantIbLb1EEST_IbLb0EEEEDaSP_SQ_EUlSP_E_NS1_11comp_targetILNS1_3genE5ELNS1_11target_archE942ELNS1_3gpuE9ELNS1_3repE0EEENS1_30default_config_static_selectorELNS0_4arch9wavefront6targetE1EEEvT1_
                                        ; -- End function
	.section	.AMDGPU.csdata,"",@progbits
; Kernel info:
; codeLenInByte = 0
; NumSgprs: 4
; NumVgprs: 0
; NumAgprs: 0
; TotalNumVgprs: 0
; ScratchSize: 0
; MemoryBound: 0
; FloatMode: 240
; IeeeMode: 1
; LDSByteSize: 0 bytes/workgroup (compile time only)
; SGPRBlocks: 0
; VGPRBlocks: 0
; NumSGPRsForWavesPerEU: 4
; NumVGPRsForWavesPerEU: 1
; AccumOffset: 4
; Occupancy: 8
; WaveLimiterHint : 0
; COMPUTE_PGM_RSRC2:SCRATCH_EN: 0
; COMPUTE_PGM_RSRC2:USER_SGPR: 6
; COMPUTE_PGM_RSRC2:TRAP_HANDLER: 0
; COMPUTE_PGM_RSRC2:TGID_X_EN: 1
; COMPUTE_PGM_RSRC2:TGID_Y_EN: 0
; COMPUTE_PGM_RSRC2:TGID_Z_EN: 0
; COMPUTE_PGM_RSRC2:TIDIG_COMP_CNT: 0
; COMPUTE_PGM_RSRC3_GFX90A:ACCUM_OFFSET: 0
; COMPUTE_PGM_RSRC3_GFX90A:TG_SPLIT: 0
	.section	.text._ZN7rocprim17ROCPRIM_400000_NS6detail17trampoline_kernelINS0_14default_configENS1_20scan_config_selectorIsEEZZNS1_9scan_implILNS1_25lookback_scan_determinismE0ELb1ELb1ES3_N6thrust23THRUST_200600_302600_NS6detail15normal_iteratorINS9_10device_ptrIsEEEESE_sNS9_4plusIvEEsEEDaPvRmT3_T4_T5_mT6_P12ihipStream_tbENKUlT_T0_E_clISt17integral_constantIbLb1EEST_IbLb0EEEEDaSP_SQ_EUlSP_E_NS1_11comp_targetILNS1_3genE4ELNS1_11target_archE910ELNS1_3gpuE8ELNS1_3repE0EEENS1_30default_config_static_selectorELNS0_4arch9wavefront6targetE1EEEvT1_,"axG",@progbits,_ZN7rocprim17ROCPRIM_400000_NS6detail17trampoline_kernelINS0_14default_configENS1_20scan_config_selectorIsEEZZNS1_9scan_implILNS1_25lookback_scan_determinismE0ELb1ELb1ES3_N6thrust23THRUST_200600_302600_NS6detail15normal_iteratorINS9_10device_ptrIsEEEESE_sNS9_4plusIvEEsEEDaPvRmT3_T4_T5_mT6_P12ihipStream_tbENKUlT_T0_E_clISt17integral_constantIbLb1EEST_IbLb0EEEEDaSP_SQ_EUlSP_E_NS1_11comp_targetILNS1_3genE4ELNS1_11target_archE910ELNS1_3gpuE8ELNS1_3repE0EEENS1_30default_config_static_selectorELNS0_4arch9wavefront6targetE1EEEvT1_,comdat
	.protected	_ZN7rocprim17ROCPRIM_400000_NS6detail17trampoline_kernelINS0_14default_configENS1_20scan_config_selectorIsEEZZNS1_9scan_implILNS1_25lookback_scan_determinismE0ELb1ELb1ES3_N6thrust23THRUST_200600_302600_NS6detail15normal_iteratorINS9_10device_ptrIsEEEESE_sNS9_4plusIvEEsEEDaPvRmT3_T4_T5_mT6_P12ihipStream_tbENKUlT_T0_E_clISt17integral_constantIbLb1EEST_IbLb0EEEEDaSP_SQ_EUlSP_E_NS1_11comp_targetILNS1_3genE4ELNS1_11target_archE910ELNS1_3gpuE8ELNS1_3repE0EEENS1_30default_config_static_selectorELNS0_4arch9wavefront6targetE1EEEvT1_ ; -- Begin function _ZN7rocprim17ROCPRIM_400000_NS6detail17trampoline_kernelINS0_14default_configENS1_20scan_config_selectorIsEEZZNS1_9scan_implILNS1_25lookback_scan_determinismE0ELb1ELb1ES3_N6thrust23THRUST_200600_302600_NS6detail15normal_iteratorINS9_10device_ptrIsEEEESE_sNS9_4plusIvEEsEEDaPvRmT3_T4_T5_mT6_P12ihipStream_tbENKUlT_T0_E_clISt17integral_constantIbLb1EEST_IbLb0EEEEDaSP_SQ_EUlSP_E_NS1_11comp_targetILNS1_3genE4ELNS1_11target_archE910ELNS1_3gpuE8ELNS1_3repE0EEENS1_30default_config_static_selectorELNS0_4arch9wavefront6targetE1EEEvT1_
	.globl	_ZN7rocprim17ROCPRIM_400000_NS6detail17trampoline_kernelINS0_14default_configENS1_20scan_config_selectorIsEEZZNS1_9scan_implILNS1_25lookback_scan_determinismE0ELb1ELb1ES3_N6thrust23THRUST_200600_302600_NS6detail15normal_iteratorINS9_10device_ptrIsEEEESE_sNS9_4plusIvEEsEEDaPvRmT3_T4_T5_mT6_P12ihipStream_tbENKUlT_T0_E_clISt17integral_constantIbLb1EEST_IbLb0EEEEDaSP_SQ_EUlSP_E_NS1_11comp_targetILNS1_3genE4ELNS1_11target_archE910ELNS1_3gpuE8ELNS1_3repE0EEENS1_30default_config_static_selectorELNS0_4arch9wavefront6targetE1EEEvT1_
	.p2align	8
	.type	_ZN7rocprim17ROCPRIM_400000_NS6detail17trampoline_kernelINS0_14default_configENS1_20scan_config_selectorIsEEZZNS1_9scan_implILNS1_25lookback_scan_determinismE0ELb1ELb1ES3_N6thrust23THRUST_200600_302600_NS6detail15normal_iteratorINS9_10device_ptrIsEEEESE_sNS9_4plusIvEEsEEDaPvRmT3_T4_T5_mT6_P12ihipStream_tbENKUlT_T0_E_clISt17integral_constantIbLb1EEST_IbLb0EEEEDaSP_SQ_EUlSP_E_NS1_11comp_targetILNS1_3genE4ELNS1_11target_archE910ELNS1_3gpuE8ELNS1_3repE0EEENS1_30default_config_static_selectorELNS0_4arch9wavefront6targetE1EEEvT1_,@function
_ZN7rocprim17ROCPRIM_400000_NS6detail17trampoline_kernelINS0_14default_configENS1_20scan_config_selectorIsEEZZNS1_9scan_implILNS1_25lookback_scan_determinismE0ELb1ELb1ES3_N6thrust23THRUST_200600_302600_NS6detail15normal_iteratorINS9_10device_ptrIsEEEESE_sNS9_4plusIvEEsEEDaPvRmT3_T4_T5_mT6_P12ihipStream_tbENKUlT_T0_E_clISt17integral_constantIbLb1EEST_IbLb0EEEEDaSP_SQ_EUlSP_E_NS1_11comp_targetILNS1_3genE4ELNS1_11target_archE910ELNS1_3gpuE8ELNS1_3repE0EEENS1_30default_config_static_selectorELNS0_4arch9wavefront6targetE1EEEvT1_: ; @_ZN7rocprim17ROCPRIM_400000_NS6detail17trampoline_kernelINS0_14default_configENS1_20scan_config_selectorIsEEZZNS1_9scan_implILNS1_25lookback_scan_determinismE0ELb1ELb1ES3_N6thrust23THRUST_200600_302600_NS6detail15normal_iteratorINS9_10device_ptrIsEEEESE_sNS9_4plusIvEEsEEDaPvRmT3_T4_T5_mT6_P12ihipStream_tbENKUlT_T0_E_clISt17integral_constantIbLb1EEST_IbLb0EEEEDaSP_SQ_EUlSP_E_NS1_11comp_targetILNS1_3genE4ELNS1_11target_archE910ELNS1_3gpuE8ELNS1_3repE0EEENS1_30default_config_static_selectorELNS0_4arch9wavefront6targetE1EEEvT1_
; %bb.0:
	s_load_dwordx8 s[12:19], s[4:5], 0x0
	s_load_dword s1, s[4:5], 0x30
	s_mul_i32 s0, s6, 0x600
	v_lshlrev_b32_e32 v20, 1, v0
	s_waitcnt lgkmcnt(0)
	s_lshl_b64 s[22:23], s[14:15], 1
	s_add_u32 s27, s12, s22
	s_addc_u32 s28, s13, s23
	s_add_i32 s2, s1, -1
	s_mul_i32 s3, s2, 0x600
	s_sub_u32 s7, s18, s3
	s_subb_u32 s26, s19, 0
	s_mov_b32 s1, 0
	s_cmp_lg_u32 s6, s2
	s_cselect_b64 s[18:19], -1, 0
	s_lshl_b64 s[20:21], s[0:1], 1
	s_add_u32 s2, s27, s20
	s_addc_u32 s3, s28, s21
	s_mov_b64 s[0:1], -1
	s_and_b64 vcc, exec, s[18:19]
	s_cbranch_vccz .LBB1017_2
; %bb.1:
	v_mov_b32_e32 v1, s3
	v_add_co_u32_e32 v2, vcc, s2, v20
	v_addc_co_u32_e32 v3, vcc, 0, v1, vcc
	flat_load_ushort v1, v[2:3]
	flat_load_ushort v4, v[2:3] offset:128
	flat_load_ushort v5, v[2:3] offset:256
	;; [unrolled: 1-line block ×23, first 2 shown]
	s_mov_b64 s[0:1], 0
	s_waitcnt vmcnt(0) lgkmcnt(0)
	ds_write_b16 v20, v1
	ds_write_b16 v20, v4 offset:128
	ds_write_b16 v20, v5 offset:256
	;; [unrolled: 1-line block ×23, first 2 shown]
	s_waitcnt lgkmcnt(0)
	; wave barrier
.LBB1017_2:
	s_load_dwordx2 s[24:25], s[4:5], 0x28
	s_andn2_b64 vcc, exec, s[0:1]
	v_cmp_gt_u32_e64 s[0:1], s7, v0
	s_cbranch_vccnz .LBB1017_52
; %bb.3:
	v_pk_mov_b32 v[2:3], s[2:3], s[2:3] op_sel:[0,1]
	flat_load_ushort v1, v[2:3]
	s_waitcnt vmcnt(0) lgkmcnt(0)
	v_mov_b32_e32 v2, v1
	s_and_saveexec_b64 s[8:9], s[0:1]
	s_cbranch_execz .LBB1017_5
; %bb.4:
	v_mov_b32_e32 v3, s3
	v_add_co_u32_e32 v2, vcc, s2, v20
	v_addc_co_u32_e32 v3, vcc, 0, v3, vcc
	flat_load_ushort v2, v[2:3]
.LBB1017_5:
	s_or_b64 exec, exec, s[8:9]
	v_or_b32_e32 v3, 64, v0
	v_cmp_gt_u32_e32 vcc, s7, v3
	v_mov_b32_e32 v3, v1
	s_and_saveexec_b64 s[0:1], vcc
	s_cbranch_execz .LBB1017_7
; %bb.6:
	v_mov_b32_e32 v3, s3
	v_add_co_u32_e32 v4, vcc, s2, v20
	v_addc_co_u32_e32 v5, vcc, 0, v3, vcc
	flat_load_ushort v3, v[4:5] offset:128
.LBB1017_7:
	s_or_b64 exec, exec, s[0:1]
	v_or_b32_e32 v4, 0x80, v0
	v_cmp_gt_u32_e32 vcc, s7, v4
	v_mov_b32_e32 v4, v1
	s_and_saveexec_b64 s[0:1], vcc
	s_cbranch_execz .LBB1017_9
; %bb.8:
	v_mov_b32_e32 v5, s3
	v_add_co_u32_e32 v4, vcc, s2, v20
	v_addc_co_u32_e32 v5, vcc, 0, v5, vcc
	flat_load_ushort v4, v[4:5] offset:256
.LBB1017_9:
	;; [unrolled: 12-line block ×22, first 2 shown]
	s_or_b64 exec, exec, s[0:1]
	v_or_b32_e32 v26, 0x5c0, v0
	v_cmp_gt_u32_e32 vcc, s7, v26
	s_and_saveexec_b64 s[0:1], vcc
	s_cbranch_execz .LBB1017_51
; %bb.50:
	v_mov_b32_e32 v1, s3
	v_add_co_u32_e32 v26, vcc, s2, v20
	v_addc_co_u32_e32 v27, vcc, 0, v1, vcc
	flat_load_ushort v1, v[26:27] offset:2944
.LBB1017_51:
	s_or_b64 exec, exec, s[0:1]
	s_waitcnt vmcnt(0) lgkmcnt(0)
	ds_write_b16 v20, v2
	ds_write_b16 v20, v3 offset:128
	ds_write_b16 v20, v4 offset:256
	;; [unrolled: 1-line block ×23, first 2 shown]
	s_waitcnt lgkmcnt(0)
	; wave barrier
.LBB1017_52:
	v_mul_u32_u24_e32 v21, 24, v0
	v_lshlrev_b32_e32 v1, 1, v21
	s_waitcnt lgkmcnt(0)
	ds_read_b128 v[10:13], v1
	ds_read_b128 v[6:9], v1 offset:16
	ds_read_b128 v[2:5], v1 offset:32
	s_cmp_lg_u32 s6, 0
	v_mbcnt_lo_u32_b32 v22, -1, 0
	s_waitcnt lgkmcnt(2)
	v_add_u16_sdwa v14, v10, v10 dst_sel:DWORD dst_unused:UNUSED_PAD src0_sel:WORD_1 src1_sel:DWORD
	v_add_u16_e32 v23, v14, v11
	v_cmp_eq_u32_e32 vcc, 63, v0
	s_waitcnt lgkmcnt(0)
	; wave barrier
	s_waitcnt lgkmcnt(0)
	s_cbranch_scc0 .LBB1017_79
; %bb.53:
	v_add_u16_sdwa v14, v23, v11 dst_sel:DWORD dst_unused:UNUSED_PAD src0_sel:DWORD src1_sel:WORD_1
	v_add_u16_e32 v14, v14, v12
	v_add_u16_sdwa v14, v14, v12 dst_sel:DWORD dst_unused:UNUSED_PAD src0_sel:DWORD src1_sel:WORD_1
	v_add_u16_e32 v14, v14, v13
	;; [unrolled: 2-line block ×10, first 2 shown]
	v_mbcnt_hi_u32_b32 v15, -1, v22
	v_add_u16_sdwa v14, v14, v5 dst_sel:DWORD dst_unused:UNUSED_PAD src0_sel:DWORD src1_sel:WORD_1
	v_and_b32_e32 v16, 15, v15
	v_cmp_ne_u32_e64 s[0:1], 0, v16
	v_mov_b32_dpp v17, v14 row_shr:1 row_mask:0xf bank_mask:0xf
	v_cndmask_b32_e64 v17, 0, v17, s[0:1]
	v_add_u16_e32 v14, v17, v14
	v_cmp_lt_u32_e64 s[0:1], 1, v16
	s_nop 0
	v_mov_b32_dpp v17, v14 row_shr:2 row_mask:0xf bank_mask:0xf
	v_cndmask_b32_e64 v17, 0, v17, s[0:1]
	v_add_u16_e32 v14, v14, v17
	v_cmp_lt_u32_e64 s[0:1], 3, v16
	s_nop 0
	;; [unrolled: 5-line block ×3, first 2 shown]
	v_mov_b32_dpp v17, v14 row_shr:8 row_mask:0xf bank_mask:0xf
	v_cndmask_b32_e64 v16, 0, v17, s[0:1]
	v_add_u16_e32 v14, v14, v16
	v_and_b32_e32 v17, 16, v15
	v_cmp_ne_u32_e64 s[0:1], 0, v17
	v_mov_b32_dpp v16, v14 row_bcast:15 row_mask:0xf bank_mask:0xf
	v_cndmask_b32_e64 v16, 0, v16, s[0:1]
	v_add_u16_e32 v14, v14, v16
	v_cmp_lt_u32_e64 s[0:1], 31, v15
	s_nop 0
	v_mov_b32_dpp v16, v14 row_bcast:31 row_mask:0xf bank_mask:0xf
	v_cndmask_b32_e64 v16, 0, v16, s[0:1]
	v_add_u16_e32 v14, v14, v16
	s_and_saveexec_b64 s[0:1], vcc
	s_cbranch_execz .LBB1017_55
; %bb.54:
	v_mov_b32_e32 v16, 0
	ds_write_b16 v16, v14
.LBB1017_55:
	s_or_b64 exec, exec, s[0:1]
	v_add_u32_e32 v16, -1, v15
	v_and_b32_e32 v17, 64, v15
	v_cmp_lt_i32_e32 vcc, v16, v17
	v_cndmask_b32_e32 v16, v16, v15, vcc
	v_lshlrev_b32_e32 v16, 2, v16
	ds_bpermute_b32 v24, v16, v14
	v_cmp_gt_u32_e32 vcc, 64, v0
	s_waitcnt lgkmcnt(0)
	; wave barrier
	s_waitcnt lgkmcnt(0)
	s_and_saveexec_b64 s[10:11], vcc
	s_cbranch_execz .LBB1017_78
; %bb.56:
	v_mov_b32_e32 v19, 0
	ds_read_u16 v25, v19
	s_mov_b32 s9, 0
	v_cmp_eq_u32_e64 s[0:1], 0, v15
	s_and_saveexec_b64 s[2:3], s[0:1]
	s_cbranch_execz .LBB1017_58
; %bb.57:
	s_add_i32 s8, s6, 64
	s_lshl_b64 s[8:9], s[8:9], 2
	s_add_u32 s8, s24, s8
	s_waitcnt lgkmcnt(0)
	v_or_b32_e32 v14, 0x10000, v25
	s_addc_u32 s9, s25, s9
	global_store_dword v19, v14, s[8:9]
.LBB1017_58:
	s_or_b64 exec, exec, s[2:3]
	v_xad_u32 v14, v15, -1, s6
	v_add_u32_e32 v18, 64, v14
	v_lshlrev_b64 v[16:17], 2, v[18:19]
	v_mov_b32_e32 v18, s25
	v_add_co_u32_e32 v16, vcc, s24, v16
	v_addc_co_u32_e32 v17, vcc, v18, v17, vcc
	global_load_dword v18, v[16:17], off glc
	s_waitcnt vmcnt(0)
	v_lshrrev_b32_e32 v29, 16, v18
	v_cmp_eq_u16_sdwa s[8:9], v29, v19 src0_sel:BYTE_0 src1_sel:DWORD
	s_and_saveexec_b64 s[2:3], s[8:9]
	s_cbranch_execz .LBB1017_64
; %bb.59:
	s_mov_b32 s12, 1
	s_mov_b64 s[8:9], 0
	v_mov_b32_e32 v19, 0
.LBB1017_60:                            ; =>This Loop Header: Depth=1
                                        ;     Child Loop BB1017_61 Depth 2
	s_max_u32 s13, s12, 1
.LBB1017_61:                            ;   Parent Loop BB1017_60 Depth=1
                                        ; =>  This Inner Loop Header: Depth=2
	s_add_i32 s13, s13, -1
	s_cmp_eq_u32 s13, 0
	s_sleep 1
	s_cbranch_scc0 .LBB1017_61
; %bb.62:                               ;   in Loop: Header=BB1017_60 Depth=1
	global_load_dword v18, v[16:17], off glc
	s_cmp_lt_u32 s12, 32
	s_cselect_b64 s[14:15], -1, 0
	s_cmp_lg_u64 s[14:15], 0
	s_addc_u32 s12, s12, 0
	s_waitcnt vmcnt(0)
	v_lshrrev_b32_e32 v29, 16, v18
	v_cmp_ne_u16_sdwa s[14:15], v29, v19 src0_sel:BYTE_0 src1_sel:DWORD
	s_or_b64 s[8:9], s[14:15], s[8:9]
	s_andn2_b64 exec, exec, s[8:9]
	s_cbranch_execnz .LBB1017_60
; %bb.63:
	s_or_b64 exec, exec, s[8:9]
.LBB1017_64:
	s_or_b64 exec, exec, s[2:3]
	v_and_b32_e32 v27, 63, v15
	v_cmp_ne_u32_e32 vcc, 63, v27
	v_mov_b32_e32 v26, 2
	v_addc_co_u32_e32 v28, vcc, 0, v15, vcc
	v_cmp_eq_u16_sdwa s[2:3], v29, v26 src0_sel:BYTE_0 src1_sel:DWORD
	v_lshlrev_b64 v[16:17], v15, -1
	v_and_b32_e32 v31, 0xffff, v18
	v_lshlrev_b32_e32 v28, 2, v28
	v_and_b32_e32 v19, s3, v17
	ds_bpermute_b32 v32, v28, v31
	v_or_b32_e32 v19, 0x80000000, v19
	v_and_b32_e32 v30, s2, v16
	v_ffbl_b32_e32 v19, v19
	v_add_u32_e32 v19, 32, v19
	v_ffbl_b32_e32 v30, v30
	v_cmp_gt_u32_e64 s[2:3], 62, v27
	v_min_u32_e32 v19, v30, v19
	v_cndmask_b32_e64 v30, 0, 1, s[2:3]
	s_waitcnt lgkmcnt(0)
	v_add_u16_e32 v32, v32, v18
	v_cmp_lt_u32_e32 vcc, v27, v19
	v_lshlrev_b32_e32 v30, 1, v30
	v_cndmask_b32_e32 v33, v31, v32, vcc
	v_add_lshl_u32 v30, v30, v15, 2
	ds_bpermute_b32 v34, v30, v33
	v_cmp_gt_u32_e64 s[8:9], 60, v27
	v_cndmask_b32_e32 v35, v18, v32, vcc
	v_add_u32_e32 v31, 2, v27
	v_cndmask_b32_e64 v32, 0, 1, s[8:9]
	s_waitcnt lgkmcnt(0)
	v_add_u16_e32 v34, v35, v34
	v_cmp_gt_u32_e64 s[2:3], v31, v19
	v_lshlrev_b32_e32 v32, 2, v32
	v_cndmask_b32_e64 v36, v34, v33, s[2:3]
	v_add_lshl_u32 v32, v32, v15, 2
	ds_bpermute_b32 v37, v32, v36
	v_cmp_gt_u32_e64 s[8:9], 56, v27
	v_cndmask_b32_e64 v35, v34, v35, s[2:3]
	v_add_u32_e32 v33, 4, v27
	v_cndmask_b32_e64 v34, 0, 1, s[8:9]
	s_waitcnt lgkmcnt(0)
	v_add_u16_e32 v37, v35, v37
	v_cmp_gt_u32_e64 s[2:3], v33, v19
	v_lshlrev_b32_e32 v34, 3, v34
	v_cndmask_b32_e64 v36, v37, v36, s[2:3]
	v_add_lshl_u32 v34, v34, v15, 2
	ds_bpermute_b32 v38, v34, v36
	v_cndmask_b32_e64 v37, v37, v35, s[2:3]
	v_add_u32_e32 v35, 8, v27
	v_cmp_gt_u32_e64 s[2:3], v35, v19
	v_cmp_gt_u32_e64 s[8:9], 48, v27
	s_waitcnt lgkmcnt(0)
	v_add_u16_e32 v38, v37, v38
	v_cndmask_b32_e64 v39, v38, v36, s[2:3]
	v_cndmask_b32_e64 v36, 0, 1, s[8:9]
	v_lshlrev_b32_e32 v36, 4, v36
	v_add_lshl_u32 v36, v36, v15, 2
	ds_bpermute_b32 v40, v36, v39
	v_cndmask_b32_e64 v38, v38, v37, s[2:3]
	v_add_u32_e32 v37, 16, v27
	v_cmp_gt_u32_e64 s[2:3], v37, v19
	v_cmp_gt_u32_e64 s[8:9], 32, v27
	s_waitcnt lgkmcnt(0)
	v_add_u16_e32 v41, v38, v40
	v_cndmask_b32_e64 v40, v41, v39, s[2:3]
	v_cndmask_b32_e64 v39, 0, 1, s[8:9]
	v_lshlrev_b32_e32 v39, 5, v39
	v_add_lshl_u32 v39, v39, v15, 2
	ds_bpermute_b32 v15, v39, v40
	v_add_u32_e32 v40, 32, v27
	v_cndmask_b32_e64 v38, v41, v38, s[2:3]
	v_cmp_le_u32_e64 s[2:3], v40, v19
	s_waitcnt lgkmcnt(0)
	v_cndmask_b32_e64 v15, 0, v15, s[2:3]
	v_add_u16_e32 v15, v38, v15
	v_cndmask_b32_e32 v18, v18, v15, vcc
	v_mov_b32_e32 v15, 0
	s_branch .LBB1017_66
.LBB1017_65:                            ;   in Loop: Header=BB1017_66 Depth=1
	s_or_b64 exec, exec, s[2:3]
	v_cmp_eq_u16_sdwa s[2:3], v29, v26 src0_sel:BYTE_0 src1_sel:DWORD
	v_and_b32_e32 v42, 0xffff, v41
	v_and_b32_e32 v18, s3, v17
	ds_bpermute_b32 v43, v28, v42
	v_or_b32_e32 v18, 0x80000000, v18
	v_and_b32_e32 v19, s2, v16
	v_ffbl_b32_e32 v18, v18
	v_add_u32_e32 v18, 32, v18
	v_ffbl_b32_e32 v19, v19
	v_min_u32_e32 v18, v19, v18
	s_waitcnt lgkmcnt(0)
	v_add_u16_e32 v19, v43, v41
	v_cmp_lt_u32_e32 vcc, v27, v18
	v_cndmask_b32_e32 v42, v42, v19, vcc
	ds_bpermute_b32 v43, v30, v42
	v_cndmask_b32_e32 v19, v41, v19, vcc
	v_cmp_gt_u32_e64 s[2:3], v31, v18
	v_subrev_u32_e32 v14, 64, v14
	s_waitcnt lgkmcnt(0)
	v_add_u16_e32 v43, v19, v43
	v_cndmask_b32_e64 v42, v43, v42, s[2:3]
	ds_bpermute_b32 v44, v32, v42
	v_cndmask_b32_e64 v19, v43, v19, s[2:3]
	v_cmp_gt_u32_e64 s[2:3], v33, v18
	s_waitcnt lgkmcnt(0)
	v_add_u16_e32 v43, v19, v44
	v_cndmask_b32_e64 v42, v43, v42, s[2:3]
	ds_bpermute_b32 v44, v34, v42
	v_cndmask_b32_e64 v19, v43, v19, s[2:3]
	v_cmp_gt_u32_e64 s[2:3], v35, v18
	;; [unrolled: 6-line block ×3, first 2 shown]
	s_waitcnt lgkmcnt(0)
	v_add_u16_e32 v43, v19, v44
	v_cndmask_b32_e64 v42, v43, v42, s[2:3]
	ds_bpermute_b32 v42, v39, v42
	v_cndmask_b32_e64 v19, v43, v19, s[2:3]
	v_cmp_le_u32_e64 s[2:3], v40, v18
	s_waitcnt lgkmcnt(0)
	v_cndmask_b32_e64 v18, 0, v42, s[2:3]
	v_add_u16_e32 v18, v19, v18
	v_cndmask_b32_e32 v18, v41, v18, vcc
	v_add_u16_e32 v18, v18, v38
.LBB1017_66:                            ; =>This Loop Header: Depth=1
                                        ;     Child Loop BB1017_69 Depth 2
                                        ;       Child Loop BB1017_70 Depth 3
	v_cmp_ne_u16_sdwa s[2:3], v29, v26 src0_sel:BYTE_0 src1_sel:DWORD
	v_cndmask_b32_e64 v19, 0, 1, s[2:3]
	;;#ASMSTART
	;;#ASMEND
	v_cmp_ne_u32_e32 vcc, 0, v19
	s_cmp_lg_u64 vcc, exec
	v_mov_b32_e32 v38, v18
	s_cbranch_scc1 .LBB1017_73
; %bb.67:                               ;   in Loop: Header=BB1017_66 Depth=1
	v_lshlrev_b64 v[18:19], 2, v[14:15]
	v_mov_b32_e32 v29, s25
	v_add_co_u32_e32 v18, vcc, s24, v18
	v_addc_co_u32_e32 v19, vcc, v29, v19, vcc
	global_load_dword v41, v[18:19], off glc
	s_waitcnt vmcnt(0)
	v_lshrrev_b32_e32 v29, 16, v41
	v_cmp_eq_u16_sdwa s[8:9], v29, v15 src0_sel:BYTE_0 src1_sel:DWORD
	s_and_saveexec_b64 s[2:3], s[8:9]
	s_cbranch_execz .LBB1017_65
; %bb.68:                               ;   in Loop: Header=BB1017_66 Depth=1
	s_mov_b32 s12, 1
	s_mov_b64 s[8:9], 0
.LBB1017_69:                            ;   Parent Loop BB1017_66 Depth=1
                                        ; =>  This Loop Header: Depth=2
                                        ;       Child Loop BB1017_70 Depth 3
	s_max_u32 s13, s12, 1
.LBB1017_70:                            ;   Parent Loop BB1017_66 Depth=1
                                        ;     Parent Loop BB1017_69 Depth=2
                                        ; =>    This Inner Loop Header: Depth=3
	s_add_i32 s13, s13, -1
	s_cmp_eq_u32 s13, 0
	s_sleep 1
	s_cbranch_scc0 .LBB1017_70
; %bb.71:                               ;   in Loop: Header=BB1017_69 Depth=2
	global_load_dword v41, v[18:19], off glc
	s_cmp_lt_u32 s12, 32
	s_cselect_b64 s[14:15], -1, 0
	s_cmp_lg_u64 s[14:15], 0
	s_addc_u32 s12, s12, 0
	s_waitcnt vmcnt(0)
	v_lshrrev_b32_e32 v29, 16, v41
	v_cmp_ne_u16_sdwa s[14:15], v29, v15 src0_sel:BYTE_0 src1_sel:DWORD
	s_or_b64 s[8:9], s[14:15], s[8:9]
	s_andn2_b64 exec, exec, s[8:9]
	s_cbranch_execnz .LBB1017_69
; %bb.72:                               ;   in Loop: Header=BB1017_66 Depth=1
	s_or_b64 exec, exec, s[8:9]
	s_branch .LBB1017_65
.LBB1017_73:                            ;   in Loop: Header=BB1017_66 Depth=1
                                        ; implicit-def: $vgpr18
                                        ; implicit-def: $vgpr29
	s_cbranch_execz .LBB1017_66
; %bb.74:
	s_and_saveexec_b64 s[2:3], s[0:1]
	s_cbranch_execz .LBB1017_76
; %bb.75:
	s_add_i32 s0, s6, 64
	s_mov_b32 s1, 0
	s_lshl_b64 s[0:1], s[0:1], 2
	v_add_u16_e32 v14, v38, v25
	s_add_u32 s0, s24, s0
	v_or_b32_e32 v14, 0x20000, v14
	s_addc_u32 s1, s25, s1
	v_mov_b32_e32 v15, 0
	global_store_dword v15, v14, s[0:1]
.LBB1017_76:
	s_or_b64 exec, exec, s[2:3]
	v_cmp_eq_u32_e32 vcc, 0, v0
	s_and_b64 exec, exec, vcc
	s_cbranch_execz .LBB1017_78
; %bb.77:
	v_mov_b32_e32 v14, 0
	ds_write_b16 v14, v38
.LBB1017_78:
	s_or_b64 exec, exec, s[10:11]
	v_mov_b32_e32 v14, 0
	s_waitcnt lgkmcnt(0)
	; wave barrier
	s_waitcnt lgkmcnt(0)
	ds_read_u16 v14, v14
	v_cmp_ne_u32_e32 vcc, 0, v0
	v_cndmask_b32_e32 v15, 0, v24, vcc
	s_waitcnt lgkmcnt(0)
	v_add_u16_e32 v14, v14, v15
	s_load_dwordx8 s[8:15], s[4:5], 0x38
	s_branch .LBB1017_87
.LBB1017_79:
                                        ; implicit-def: $vgpr14
	s_load_dwordx8 s[8:15], s[4:5], 0x38
	s_cbranch_execz .LBB1017_87
; %bb.80:
	s_load_dword s0, s[4:5], 0x20
	s_waitcnt lgkmcnt(0)
	s_cmp_eq_u64 s[12:13], 0
	v_mov_b32_e32 v15, s0
	s_cbranch_scc1 .LBB1017_82
; %bb.81:
	v_mov_b32_e32 v15, s28
	v_add_co_u32_e64 v14, vcc, -2, s27
	v_addc_co_u32_e32 v15, vcc, -1, v15, vcc
	v_mov_b32_e32 v16, 0
	flat_load_ushort v17, v[14:15]
	global_load_ushort v18, v16, s[8:9]
	s_waitcnt vmcnt(0) lgkmcnt(0)
	v_add_u16_e32 v15, v18, v17
.LBB1017_82:
	v_add_u16_sdwa v14, v23, v11 dst_sel:DWORD dst_unused:UNUSED_PAD src0_sel:DWORD src1_sel:WORD_1
	v_add_u16_e32 v14, v14, v12
	v_add_u16_sdwa v14, v14, v12 dst_sel:DWORD dst_unused:UNUSED_PAD src0_sel:DWORD src1_sel:WORD_1
	v_add_u16_e32 v14, v14, v13
	;; [unrolled: 2-line block ×10, first 2 shown]
	v_add_u16_sdwa v16, v14, v5 dst_sel:DWORD dst_unused:UNUSED_PAD src0_sel:DWORD src1_sel:WORD_1
	v_mbcnt_hi_u32_b32 v14, -1, v22
	v_and_b32_e32 v17, 15, v14
	v_mov_b32_dpp v18, v16 row_shr:1 row_mask:0xf bank_mask:0xf
	v_cmp_ne_u32_e32 vcc, 0, v17
	v_cndmask_b32_e32 v18, 0, v18, vcc
	v_add_u16_e32 v16, v18, v16
	v_cmp_lt_u32_e32 vcc, 1, v17
	s_nop 0
	v_mov_b32_dpp v18, v16 row_shr:2 row_mask:0xf bank_mask:0xf
	v_cndmask_b32_e32 v18, 0, v18, vcc
	v_add_u16_e32 v16, v16, v18
	v_cmp_lt_u32_e32 vcc, 3, v17
	s_nop 0
	v_mov_b32_dpp v18, v16 row_shr:4 row_mask:0xf bank_mask:0xf
	;; [unrolled: 5-line block ×3, first 2 shown]
	v_cndmask_b32_e32 v17, 0, v18, vcc
	v_add_u16_e32 v16, v16, v17
	v_and_b32_e32 v18, 16, v14
	v_cmp_ne_u32_e32 vcc, 0, v18
	v_mov_b32_dpp v17, v16 row_bcast:15 row_mask:0xf bank_mask:0xf
	v_cndmask_b32_e32 v17, 0, v17, vcc
	v_add_u16_e32 v16, v16, v17
	v_cmp_lt_u32_e32 vcc, 31, v14
	s_nop 0
	v_mov_b32_dpp v17, v16 row_bcast:31 row_mask:0xf bank_mask:0xf
	v_cndmask_b32_e32 v17, 0, v17, vcc
	v_add_u16_e32 v16, v16, v17
	v_cmp_eq_u32_e32 vcc, 63, v0
	s_and_saveexec_b64 s[0:1], vcc
	s_cbranch_execz .LBB1017_84
; %bb.83:
	v_mov_b32_e32 v17, 0
	ds_write_b16 v17, v16
.LBB1017_84:
	s_or_b64 exec, exec, s[0:1]
	v_add_u32_e32 v17, -1, v14
	v_and_b32_e32 v18, 64, v14
	v_cmp_lt_i32_e32 vcc, v17, v18
	v_cndmask_b32_e32 v17, v17, v14, vcc
	v_add_u16_e32 v16, v16, v15
	v_lshlrev_b32_e32 v17, 2, v17
	ds_bpermute_b32 v16, v17, v16
	v_cmp_eq_u32_e32 vcc, 0, v14
	v_cmp_eq_u32_e64 s[0:1], 0, v0
	s_or_b64 vcc, s[0:1], vcc
	s_waitcnt lgkmcnt(0)
	v_cndmask_b32_e32 v14, v16, v15, vcc
	; wave barrier
	s_and_saveexec_b64 s[2:3], s[0:1]
	s_cbranch_execz .LBB1017_86
; %bb.85:
	v_mov_b32_e32 v14, 0
	ds_read_u16 v16, v14
	s_waitcnt lgkmcnt(0)
	v_add_u16_e32 v16, v16, v15
	v_or_b32_e32 v16, 0x20000, v16
	global_store_dword v14, v16, s[24:25] offset:256
	v_mov_b32_e32 v14, v15
.LBB1017_86:
	s_or_b64 exec, exec, s[2:3]
.LBB1017_87:
	v_add_u16_e32 v15, v14, v10
	v_add_u16_sdwa v16, v15, v10 dst_sel:DWORD dst_unused:UNUSED_PAD src0_sel:DWORD src1_sel:WORD_1
	v_add_u16_e32 v17, v16, v11
	v_add_u16_sdwa v19, v17, v11 dst_sel:DWORD dst_unused:UNUSED_PAD src0_sel:DWORD src1_sel:WORD_1
	;; [unrolled: 2-line block ×9, first 2 shown]
	v_add_u16_e32 v8, v2, v3
	s_add_u32 s0, s16, s22
	v_add_u16_sdwa v3, v8, v3 dst_sel:DWORD dst_unused:UNUSED_PAD src0_sel:DWORD src1_sel:WORD_1
	s_addc_u32 s1, s17, s23
	v_add_u16_e32 v9, v3, v4
	v_add_u16_sdwa v4, v9, v4 dst_sel:DWORD dst_unused:UNUSED_PAD src0_sel:DWORD src1_sel:WORD_1
	s_add_u32 s2, s0, s20
	v_add_u16_e32 v5, v4, v5
	s_addc_u32 s3, s1, s21
	s_mov_b64 s[0:1], -1
	s_and_b64 vcc, exec, s[18:19]
	s_waitcnt lgkmcnt(0)
	; wave barrier
	s_waitcnt lgkmcnt(0)
	s_cbranch_vccz .LBB1017_89
; %bb.88:
	s_mov_b32 s0, 0x5040100
	v_perm_b32 v31, v27, v25, s0
	v_perm_b32 v30, v23, v19, s0
	;; [unrolled: 1-line block ×4, first 2 shown]
	ds_write_b128 v1, v[28:31]
	v_perm_b32 v31, v26, v24, s0
	v_perm_b32 v30, v22, v18, s0
	;; [unrolled: 1-line block ×4, first 2 shown]
	ds_write_b128 v1, v[28:31] offset:16
	v_perm_b32 v31, v5, v4, s0
	v_perm_b32 v30, v9, v3, s0
	;; [unrolled: 1-line block ×4, first 2 shown]
	ds_write_b128 v1, v[28:31] offset:32
	s_waitcnt lgkmcnt(0)
	; wave barrier
	s_waitcnt lgkmcnt(0)
	ds_read_u16 v30, v20
	ds_read_u16 v31, v20 offset:128
	ds_read_u16 v32, v20 offset:256
	;; [unrolled: 1-line block ×23, first 2 shown]
	v_mov_b32_e32 v29, s3
	v_add_co_u32_e32 v28, vcc, s2, v20
	v_addc_co_u32_e32 v29, vcc, 0, v29, vcc
	s_waitcnt lgkmcnt(14)
	flat_store_short v[28:29], v30
	flat_store_short v[28:29], v31 offset:128
	flat_store_short v[28:29], v32 offset:256
	flat_store_short v[28:29], v33 offset:384
	flat_store_short v[28:29], v34 offset:512
	flat_store_short v[28:29], v35 offset:640
	flat_store_short v[28:29], v36 offset:768
	flat_store_short v[28:29], v37 offset:896
	flat_store_short v[28:29], v38 offset:1024
	flat_store_short v[28:29], v39 offset:1152
	s_waitcnt lgkmcnt(0)
	flat_store_short v[28:29], v40 offset:1280
	flat_store_short v[28:29], v41 offset:1408
	;; [unrolled: 1-line block ×14, first 2 shown]
	s_mov_b64 s[0:1], 0
.LBB1017_89:
	s_andn2_b64 vcc, exec, s[0:1]
	s_cbranch_vccnz .LBB1017_146
; %bb.90:
	s_mov_b32 s0, 0x5040100
	v_perm_b32 v31, v27, v25, s0
	v_perm_b32 v30, v23, v19, s0
	;; [unrolled: 1-line block ×12, first 2 shown]
	ds_write_b128 v1, v[28:31]
	ds_write_b128 v1, v[12:15] offset:16
	ds_write_b128 v1, v[2:5] offset:32
	s_waitcnt lgkmcnt(0)
	; wave barrier
	s_waitcnt lgkmcnt(0)
	ds_read_u16 v5, v20
	ds_read_u16 v4, v20 offset:128
	ds_read_u16 v7, v20 offset:256
	;; [unrolled: 1-line block ×23, first 2 shown]
	v_mov_b32_e32 v3, s3
	v_add_co_u32_e32 v2, vcc, s2, v20
	v_addc_co_u32_e32 v3, vcc, 0, v3, vcc
	v_mov_b32_e32 v1, 0
	v_cmp_gt_u32_e32 vcc, s7, v0
	s_and_saveexec_b64 s[0:1], vcc
	s_cbranch_execz .LBB1017_92
; %bb.91:
	s_waitcnt lgkmcnt(0)
	flat_store_short v[2:3], v5
.LBB1017_92:
	s_or_b64 exec, exec, s[0:1]
	v_or_b32_e32 v20, 64, v0
	v_cmp_gt_u32_e32 vcc, s7, v20
	s_and_saveexec_b64 s[0:1], vcc
	s_cbranch_execz .LBB1017_94
; %bb.93:
	s_waitcnt lgkmcnt(0)
	flat_store_short v[2:3], v4 offset:128
.LBB1017_94:
	s_or_b64 exec, exec, s[0:1]
	v_or_b32_e32 v20, 0x80, v0
	v_cmp_gt_u32_e32 vcc, s7, v20
	s_and_saveexec_b64 s[0:1], vcc
	s_cbranch_execz .LBB1017_96
; %bb.95:
	s_waitcnt lgkmcnt(0)
	flat_store_short v[2:3], v7 offset:256
.LBB1017_96:
	;; [unrolled: 9-line block ×23, first 2 shown]
	s_or_b64 exec, exec, s[0:1]
	v_cmp_lt_u64_e64 s[0:1], s[14:15], 2
	s_and_b64 vcc, exec, s[0:1]
	s_cbranch_vccnz .LBB1017_146
; %bb.139:
	s_add_u32 s0, s7, -1
	s_addc_u32 s1, s26, -1
	s_add_u32 s2, 0, 0xaaaa0000
	s_addc_u32 s3, 0, 42
	s_add_i32 s3, s3, 0xaaaaa80
	s_mul_hi_u32 s7, s2, 0xffffffe8
	s_sub_i32 s7, s7, s2
	s_mul_i32 s8, s3, 0xffffffe8
	s_mul_i32 s4, s2, 0xffffffe8
	s_add_i32 s7, s7, s8
	s_mul_hi_u32 s5, s3, s4
	s_mul_i32 s6, s3, s4
	s_mul_i32 s9, s2, s7
	s_mul_hi_u32 s4, s2, s4
	s_mul_hi_u32 s8, s2, s7
	s_add_u32 s4, s4, s9
	s_addc_u32 s8, 0, s8
	s_add_u32 s4, s4, s6
	s_mul_hi_u32 s9, s3, s7
	s_addc_u32 s4, s8, s5
	s_addc_u32 s5, s9, 0
	s_mul_i32 s6, s3, s7
	s_add_u32 s4, s4, s6
	v_mov_b32_e32 v2, s4
	s_addc_u32 s5, 0, s5
	v_add_co_u32_e32 v2, vcc, s2, v2
	s_cmp_lg_u64 vcc, 0
	s_addc_u32 s2, s3, s5
	v_readfirstlane_b32 s5, v2
	s_mul_i32 s4, s0, s2
	s_mul_hi_u32 s6, s0, s5
	s_mul_hi_u32 s3, s0, s2
	s_add_u32 s4, s6, s4
	s_addc_u32 s3, 0, s3
	s_mul_hi_u32 s7, s1, s5
	s_mul_i32 s5, s1, s5
	s_add_u32 s4, s4, s5
	s_mul_hi_u32 s6, s1, s2
	s_addc_u32 s3, s3, s7
	s_addc_u32 s4, s6, 0
	s_mul_i32 s2, s1, s2
	s_add_u32 s2, s3, s2
	s_addc_u32 s3, 0, s4
	s_add_u32 s4, s2, 1
	s_addc_u32 s5, s3, 0
	s_add_u32 s6, s2, 2
	s_mul_i32 s8, s3, 24
	s_mul_hi_u32 s9, s2, 24
	s_addc_u32 s7, s3, 0
	s_add_i32 s9, s9, s8
	s_mul_i32 s8, s2, 24
	v_mov_b32_e32 v2, s8
	v_sub_co_u32_e32 v2, vcc, s0, v2
	s_cmp_lg_u64 vcc, 0
	s_subb_u32 s8, s1, s9
	v_subrev_co_u32_e32 v3, vcc, 24, v2
	s_cmp_lg_u64 vcc, 0
	s_subb_u32 s9, s8, 0
	v_readfirstlane_b32 s12, v3
	s_cmp_gt_u32 s12, 23
	s_cselect_b32 s12, -1, 0
	s_cmp_eq_u32 s9, 0
	s_cselect_b32 s9, s12, -1
	s_cmp_lg_u32 s9, 0
	s_cselect_b32 s4, s6, s4
	v_readfirstlane_b32 s6, v2
	s_cselect_b32 s5, s7, s5
	s_cmp_gt_u32 s6, 23
	s_cselect_b32 s6, -1, 0
	s_cmp_eq_u32 s8, 0
	s_cselect_b32 s6, s6, -1
	s_cmp_lg_u32 s6, 0
	s_cselect_b32 s3, s5, s3
	s_cselect_b32 s2, s4, s2
	v_cmp_eq_u64_e32 vcc, s[2:3], v[0:1]
	s_and_saveexec_b64 s[2:3], vcc
	s_cbranch_execz .LBB1017_146
; %bb.140:
	v_mul_hi_u32_u24_e32 v1, 24, v0
	v_mov_b32_e32 v2, s1
	v_sub_co_u32_e32 v0, vcc, s0, v21
	v_subb_co_u32_e32 v1, vcc, v2, v1, vcc
	v_cmp_lt_i64_e32 vcc, 11, v[0:1]
	s_mov_b64 s[0:1], 0
	s_mov_b64 s[8:9], 0
	s_mov_b64 s[6:7], 0
	s_mov_b64 s[4:5], 0
	s_and_saveexec_b64 s[2:3], vcc
	s_xor_b64 s[2:3], exec, s[2:3]
	s_cbranch_execnz .LBB1017_147
; %bb.141:
	s_andn2_saveexec_b64 s[2:3], s[2:3]
	s_cbranch_execnz .LBB1017_192
.LBB1017_142:
	s_or_b64 exec, exec, s[2:3]
	s_and_saveexec_b64 s[2:3], s[8:9]
	s_cbranch_execnz .LBB1017_209
.LBB1017_143:
	s_or_b64 exec, exec, s[2:3]
	s_and_saveexec_b64 s[2:3], s[6:7]
	s_cbranch_execnz .LBB1017_210
.LBB1017_144:
	s_or_b64 exec, exec, s[2:3]
	s_and_saveexec_b64 s[2:3], s[4:5]
	s_xor_b64 s[2:3], exec, s[2:3]
	s_cbranch_execnz .LBB1017_211
.LBB1017_145:
	s_or_b64 exec, exec, s[2:3]
	s_and_b64 exec, exec, s[0:1]
	s_cbranch_execnz .LBB1017_212
.LBB1017_146:
	s_endpgm
.LBB1017_147:
	v_cmp_lt_i64_e32 vcc, 17, v[0:1]
	s_and_saveexec_b64 s[12:13], vcc
	s_xor_b64 s[12:13], exec, s[12:13]
	s_cbranch_execz .LBB1017_169
; %bb.148:
	v_cmp_lt_i64_e32 vcc, 20, v[0:1]
                                        ; implicit-def: $vgpr10
	s_and_saveexec_b64 s[14:15], vcc
	s_xor_b64 s[14:15], exec, s[14:15]
	s_cbranch_execz .LBB1017_158
; %bb.149:
	v_cmp_lt_i64_e32 vcc, 21, v[0:1]
	s_mov_b64 s[16:17], 0
                                        ; implicit-def: $vgpr10
	s_and_saveexec_b64 s[4:5], vcc
	s_xor_b64 s[4:5], exec, s[4:5]
	s_cbranch_execz .LBB1017_155
; %bb.150:
	v_cmp_lt_i64_e32 vcc, 22, v[0:1]
	s_and_saveexec_b64 s[16:17], vcc
	s_xor_b64 s[16:17], exec, s[16:17]
	s_cbranch_execz .LBB1017_152
; %bb.151:
	v_mov_b32_e32 v2, 0
	s_waitcnt lgkmcnt(0)
	global_store_short v2, v29, s[10:11]
                                        ; implicit-def: $vgpr28
.LBB1017_152:
	s_or_saveexec_b64 s[16:17], s[16:17]
	s_mov_b64 s[18:19], 0
	s_xor_b64 exec, exec, s[16:17]
; %bb.153:
	s_mov_b64 s[18:19], exec
; %bb.154:
	s_or_b64 exec, exec, s[16:17]
	s_and_b64 s[16:17], s[18:19], exec
	s_waitcnt lgkmcnt(0)
	v_mov_b32_e32 v10, v28
                                        ; implicit-def: $vgpr11
.LBB1017_155:
	s_andn2_saveexec_b64 s[4:5], s[4:5]
; %bb.156:
	s_mov_b64 s[6:7], exec
                                        ; implicit-def: $vgpr10
; %bb.157:
	s_or_b64 exec, exec, s[4:5]
	s_and_b64 s[4:5], s[16:17], exec
	s_and_b64 s[6:7], s[6:7], exec
                                        ; implicit-def: $vgpr26
                                        ; implicit-def: $vgpr12
                                        ; implicit-def: $vgpr23
.LBB1017_158:
	s_andn2_saveexec_b64 s[14:15], s[14:15]
	s_cbranch_execz .LBB1017_168
; %bb.159:
	v_cmp_lt_i64_e32 vcc, 18, v[0:1]
	s_mov_b64 s[16:17], 0
	s_and_saveexec_b64 s[8:9], vcc
	s_xor_b64 s[8:9], exec, s[8:9]
	s_cbranch_execz .LBB1017_165
; %bb.160:
	v_cmp_lt_i64_e32 vcc, 19, v[0:1]
	s_and_saveexec_b64 s[18:19], vcc
	s_xor_b64 s[18:19], exec, s[18:19]
; %bb.161:
	s_mov_b64 s[16:17], exec
                                        ; implicit-def: $vgpr23
; %bb.162:
	s_andn2_saveexec_b64 s[18:19], s[18:19]
	s_cbranch_execz .LBB1017_164
; %bb.163:
	v_mov_b32_e32 v2, 0
	s_waitcnt lgkmcnt(0)
	global_store_short v2, v23, s[10:11]
                                        ; implicit-def: $vgpr12
.LBB1017_164:
	s_or_b64 exec, exec, s[18:19]
	s_and_b64 s[16:17], s[16:17], exec
                                        ; implicit-def: $vgpr26
.LBB1017_165:
	s_andn2_saveexec_b64 s[8:9], s[8:9]
	s_cbranch_execz .LBB1017_167
; %bb.166:
	v_mov_b32_e32 v2, 0
	s_waitcnt lgkmcnt(0)
	global_store_short v2, v26, s[10:11]
                                        ; implicit-def: $vgpr12
.LBB1017_167:
	s_or_b64 exec, exec, s[8:9]
	s_and_b64 s[8:9], s[16:17], exec
                                        ; implicit-def: $vgpr10
                                        ; implicit-def: $vgpr11
.LBB1017_168:
	s_or_b64 exec, exec, s[14:15]
	s_and_b64 s[4:5], s[4:5], exec
	s_and_b64 s[6:7], s[6:7], exec
	;; [unrolled: 1-line block ×3, first 2 shown]
                                        ; implicit-def: $vgpr18
                                        ; implicit-def: $vgpr13
                                        ; implicit-def: $vgpr14
                                        ; implicit-def: $vgpr24
                                        ; implicit-def: $vgpr27
.LBB1017_169:
	s_andn2_saveexec_b64 s[12:13], s[12:13]
	s_cbranch_execz .LBB1017_191
; %bb.170:
	v_cmp_lt_i64_e32 vcc, 14, v[0:1]
	s_mov_b64 s[14:15], s[4:5]
	s_and_saveexec_b64 s[16:17], vcc
	s_xor_b64 s[16:17], exec, s[16:17]
	s_cbranch_execz .LBB1017_180
; %bb.171:
	v_cmp_lt_i64_e32 vcc, 15, v[0:1]
	s_and_saveexec_b64 s[14:15], vcc
	s_xor_b64 s[14:15], exec, s[14:15]
	s_cbranch_execz .LBB1017_177
; %bb.172:
	v_cmp_lt_i64_e32 vcc, 16, v[0:1]
	s_and_saveexec_b64 s[18:19], vcc
	s_xor_b64 s[18:19], exec, s[18:19]
	s_cbranch_execz .LBB1017_174
; %bb.173:
	v_mov_b32_e32 v2, 0
	s_waitcnt lgkmcnt(0)
	global_store_short v2, v27, s[10:11]
                                        ; implicit-def: $vgpr24
.LBB1017_174:
	s_andn2_saveexec_b64 s[18:19], s[18:19]
	s_cbranch_execz .LBB1017_176
; %bb.175:
	v_mov_b32_e32 v2, 0
	s_waitcnt lgkmcnt(0)
	global_store_short v2, v24, s[10:11]
.LBB1017_176:
	s_or_b64 exec, exec, s[18:19]
                                        ; implicit-def: $vgpr10
.LBB1017_177:
	s_or_saveexec_b64 s[14:15], s[14:15]
	s_mov_b64 s[18:19], s[4:5]
	s_xor_b64 exec, exec, s[14:15]
; %bb.178:
	s_or_b64 s[18:19], s[4:5], exec
; %bb.179:
	s_or_b64 exec, exec, s[14:15]
	s_andn2_b64 s[14:15], s[4:5], exec
	s_and_b64 s[18:19], s[18:19], exec
	s_or_b64 s[14:15], s[14:15], s[18:19]
                                        ; implicit-def: $vgpr18
                                        ; implicit-def: $vgpr13
                                        ; implicit-def: $vgpr14
.LBB1017_180:
	s_or_saveexec_b64 s[16:17], s[16:17]
	s_mov_b64 s[18:19], s[6:7]
                                        ; implicit-def: $vgpr11
	s_xor_b64 exec, exec, s[16:17]
	s_cbranch_execz .LBB1017_190
; %bb.181:
	v_cmp_lt_i64_e32 vcc, 12, v[0:1]
	s_mov_b64 s[20:21], s[6:7]
	s_mov_b64 s[22:23], s[14:15]
                                        ; implicit-def: $vgpr10
                                        ; implicit-def: $vgpr11
	s_and_saveexec_b64 s[18:19], vcc
	s_xor_b64 s[18:19], exec, s[18:19]
	s_cbranch_execz .LBB1017_187
; %bb.182:
	v_cmp_lt_i64_e32 vcc, 13, v[0:1]
	s_mov_b64 s[20:21], s[14:15]
	s_and_saveexec_b64 s[22:23], vcc
	s_xor_b64 s[22:23], exec, s[22:23]
; %bb.183:
	s_or_b64 s[20:21], s[14:15], exec
                                        ; implicit-def: $vgpr13
; %bb.184:
	s_or_saveexec_b64 s[22:23], s[22:23]
	s_mov_b64 s[24:25], s[6:7]
	s_xor_b64 exec, exec, s[22:23]
; %bb.185:
	s_or_b64 s[24:25], s[6:7], exec
                                        ; implicit-def: $vgpr14
; %bb.186:
	s_or_b64 exec, exec, s[22:23]
	s_andn2_b64 s[22:23], s[14:15], exec
	s_and_b64 s[20:21], s[20:21], exec
	s_or_b64 s[22:23], s[22:23], s[20:21]
	s_andn2_b64 s[20:21], s[6:7], exec
	s_and_b64 s[24:25], s[24:25], exec
	s_or_b64 s[20:21], s[20:21], s[24:25]
	s_waitcnt lgkmcnt(0)
	v_mov_b32_e32 v10, v14
	v_mov_b32_e32 v11, v13
                                        ; implicit-def: $vgpr18
.LBB1017_187:
	s_andn2_saveexec_b64 s[18:19], s[18:19]
	s_cbranch_execz .LBB1017_189
; %bb.188:
	s_or_b64 s[20:21], s[20:21], exec
                                        ; implicit-def: $vgpr10
	s_waitcnt lgkmcnt(0)
	v_mov_b32_e32 v11, v18
.LBB1017_189:
	s_or_b64 exec, exec, s[18:19]
	s_andn2_b64 s[14:15], s[14:15], exec
	s_and_b64 s[18:19], s[22:23], exec
	s_or_b64 s[14:15], s[14:15], s[18:19]
	s_andn2_b64 s[18:19], s[6:7], exec
	s_and_b64 s[20:21], s[20:21], exec
	s_or_b64 s[18:19], s[18:19], s[20:21]
.LBB1017_190:
	s_or_b64 exec, exec, s[16:17]
	s_andn2_b64 s[4:5], s[4:5], exec
	s_and_b64 s[14:15], s[14:15], exec
	s_or_b64 s[4:5], s[4:5], s[14:15]
	s_andn2_b64 s[6:7], s[6:7], exec
	s_and_b64 s[14:15], s[18:19], exec
	s_or_b64 s[6:7], s[6:7], s[14:15]
                                        ; implicit-def: $vgpr12
.LBB1017_191:
	s_or_b64 exec, exec, s[12:13]
	s_and_b64 s[4:5], s[4:5], exec
	s_and_b64 s[6:7], s[6:7], exec
	;; [unrolled: 1-line block ×3, first 2 shown]
                                        ; implicit-def: $vgpr17
                                        ; implicit-def: $vgpr15
                                        ; implicit-def: $vgpr16
                                        ; implicit-def: $vgpr25
                                        ; implicit-def: $vgpr22
                                        ; implicit-def: $vgpr19
	s_andn2_saveexec_b64 s[2:3], s[2:3]
	s_cbranch_execz .LBB1017_142
.LBB1017_192:
	v_cmp_lt_i64_e32 vcc, 5, v[0:1]
	s_mov_b64 s[14:15], -1
	s_mov_b64 s[12:13], s[8:9]
	s_mov_b64 s[16:17], s[6:7]
	;; [unrolled: 1-line block ×3, first 2 shown]
                                        ; implicit-def: $vgpr10
                                        ; implicit-def: $vgpr11
                                        ; implicit-def: $vgpr12
	s_and_saveexec_b64 s[0:1], vcc
	s_cbranch_execz .LBB1017_208
; %bb.193:
	v_cmp_lt_i64_e32 vcc, 8, v[0:1]
	s_mov_b64 s[12:13], s[8:9]
                                        ; implicit-def: $vgpr12
	s_and_saveexec_b64 s[14:15], vcc
	s_xor_b64 s[14:15], exec, s[14:15]
	s_cbranch_execz .LBB1017_203
; %bb.194:
	v_cmp_lt_i64_e32 vcc, 9, v[0:1]
	s_and_saveexec_b64 s[12:13], vcc
	s_xor_b64 s[12:13], exec, s[12:13]
	s_cbranch_execz .LBB1017_200
; %bb.195:
	v_cmp_lt_i64_e32 vcc, 10, v[0:1]
	s_and_saveexec_b64 s[16:17], vcc
	s_xor_b64 s[16:17], exec, s[16:17]
; %bb.196:
                                        ; implicit-def: $vgpr22
; %bb.197:
	s_andn2_saveexec_b64 s[16:17], s[16:17]
	s_cbranch_execz .LBB1017_199
; %bb.198:
	s_waitcnt lgkmcnt(0)
	v_mov_b32_e32 v19, v22
.LBB1017_199:
	s_or_b64 exec, exec, s[16:17]
                                        ; implicit-def: $vgpr25
.LBB1017_200:
	s_andn2_saveexec_b64 s[12:13], s[12:13]
	s_cbranch_execz .LBB1017_202
; %bb.201:
	s_waitcnt lgkmcnt(0)
	v_mov_b32_e32 v19, v25
.LBB1017_202:
	s_or_b64 exec, exec, s[12:13]
	s_or_b64 s[12:13], s[8:9], exec
	s_waitcnt lgkmcnt(0)
	v_mov_b32_e32 v12, v19
                                        ; implicit-def: $vgpr17
                                        ; implicit-def: $vgpr15
                                        ; implicit-def: $vgpr16
.LBB1017_203:
	s_or_saveexec_b64 s[14:15], s[14:15]
	s_mov_b64 s[16:17], s[6:7]
	s_mov_b64 s[20:21], s[4:5]
                                        ; implicit-def: $vgpr10
                                        ; implicit-def: $vgpr11
	s_xor_b64 exec, exec, s[14:15]
	s_cbranch_execz .LBB1017_207
; %bb.204:
	v_cmp_lt_i64_e32 vcc, 6, v[0:1]
	s_mov_b64 s[20:21], -1
	s_mov_b64 s[18:19], s[12:13]
	s_mov_b64 s[16:17], s[6:7]
	s_and_saveexec_b64 s[22:23], vcc
; %bb.205:
	v_cmp_lt_i64_e32 vcc, 7, v[0:1]
	s_andn2_b64 s[18:19], s[12:13], exec
	s_and_b64 s[24:25], vcc, exec
	s_xor_b64 s[20:21], exec, -1
	s_or_b64 s[16:17], s[6:7], exec
	s_or_b64 s[18:19], s[18:19], s[24:25]
                                        ; implicit-def: $vgpr17
; %bb.206:
	s_or_b64 exec, exec, s[22:23]
	s_andn2_b64 s[22:23], s[4:5], exec
	s_and_b64 s[20:21], s[20:21], exec
	s_or_b64 s[20:21], s[22:23], s[20:21]
	s_andn2_b64 s[22:23], s[6:7], exec
	s_and_b64 s[16:17], s[16:17], exec
	s_andn2_b64 s[12:13], s[12:13], exec
	s_and_b64 s[18:19], s[18:19], exec
	s_or_b64 s[16:17], s[22:23], s[16:17]
	s_or_b64 s[12:13], s[12:13], s[18:19]
	s_waitcnt lgkmcnt(0)
	v_mov_b32_e32 v10, v17
	v_mov_b32_e32 v11, v15
	;; [unrolled: 1-line block ×3, first 2 shown]
.LBB1017_207:
	s_or_b64 exec, exec, s[14:15]
	s_andn2_b64 s[18:19], s[4:5], exec
	s_and_b64 s[20:21], s[20:21], exec
	s_or_b64 s[18:19], s[18:19], s[20:21]
	s_andn2_b64 s[20:21], s[6:7], exec
	s_and_b64 s[16:17], s[16:17], exec
	s_or_b64 s[16:17], s[20:21], s[16:17]
	s_andn2_b64 s[20:21], s[8:9], exec
	s_and_b64 s[12:13], s[12:13], exec
	s_xor_b64 s[14:15], exec, -1
	s_or_b64 s[12:13], s[20:21], s[12:13]
.LBB1017_208:
	s_or_b64 exec, exec, s[0:1]
	s_and_b64 s[0:1], s[14:15], exec
	s_andn2_b64 s[4:5], s[4:5], exec
	s_and_b64 s[14:15], s[18:19], exec
	s_or_b64 s[4:5], s[4:5], s[14:15]
	s_andn2_b64 s[6:7], s[6:7], exec
	s_and_b64 s[14:15], s[16:17], exec
	s_andn2_b64 s[8:9], s[8:9], exec
	s_and_b64 s[12:13], s[12:13], exec
	s_or_b64 s[6:7], s[6:7], s[14:15]
	s_or_b64 s[8:9], s[8:9], s[12:13]
	s_or_b64 exec, exec, s[2:3]
	s_and_saveexec_b64 s[2:3], s[8:9]
	s_cbranch_execz .LBB1017_143
.LBB1017_209:
	v_mov_b32_e32 v2, 0
	s_andn2_b64 s[6:7], s[6:7], exec
	s_waitcnt lgkmcnt(0)
	global_store_short v2, v12, s[10:11]
                                        ; implicit-def: $vgpr10
                                        ; implicit-def: $vgpr11
	s_or_b64 exec, exec, s[2:3]
	s_and_saveexec_b64 s[2:3], s[6:7]
	s_cbranch_execz .LBB1017_144
.LBB1017_210:
	v_mov_b32_e32 v2, 0
	s_waitcnt lgkmcnt(0)
	global_store_short v2, v11, s[10:11]
                                        ; implicit-def: $vgpr10
	s_or_b64 exec, exec, s[2:3]
	s_and_saveexec_b64 s[2:3], s[4:5]
	s_xor_b64 s[2:3], exec, s[2:3]
	s_cbranch_execz .LBB1017_145
.LBB1017_211:
	v_mov_b32_e32 v2, 0
	s_waitcnt lgkmcnt(0)
	global_store_short v2, v10, s[10:11]
	s_or_b64 exec, exec, s[2:3]
	s_and_b64 exec, exec, s[0:1]
	s_cbranch_execz .LBB1017_146
.LBB1017_212:
	v_cmp_lt_i64_e32 vcc, 2, v[0:1]
	s_and_saveexec_b64 s[0:1], vcc
	s_xor_b64 s[0:1], exec, s[0:1]
	s_cbranch_execz .LBB1017_222
; %bb.213:
	v_cmp_lt_i64_e32 vcc, 3, v[0:1]
	s_and_saveexec_b64 s[2:3], vcc
	s_xor_b64 s[2:3], exec, s[2:3]
	s_cbranch_execz .LBB1017_219
; %bb.214:
	;; [unrolled: 5-line block ×3, first 2 shown]
	v_mov_b32_e32 v0, 0
	s_waitcnt lgkmcnt(0)
	global_store_short v0, v9, s[10:11]
                                        ; implicit-def: $vgpr6
.LBB1017_216:
	s_andn2_saveexec_b64 s[4:5], s[4:5]
	s_cbranch_execz .LBB1017_218
; %bb.217:
	v_mov_b32_e32 v0, 0
	s_waitcnt lgkmcnt(0)
	global_store_short v0, v6, s[10:11]
.LBB1017_218:
	s_or_b64 exec, exec, s[4:5]
                                        ; implicit-def: $vgpr8
.LBB1017_219:
	s_andn2_saveexec_b64 s[2:3], s[2:3]
	s_cbranch_execz .LBB1017_221
; %bb.220:
	v_mov_b32_e32 v0, 0
	s_waitcnt lgkmcnt(0)
	global_store_short v0, v8, s[10:11]
.LBB1017_221:
	s_or_b64 exec, exec, s[2:3]
                                        ; implicit-def: $vgpr0_vgpr1
                                        ; implicit-def: $vgpr7
                                        ; implicit-def: $vgpr4
                                        ; implicit-def: $vgpr5
.LBB1017_222:
	s_andn2_saveexec_b64 s[0:1], s[0:1]
	s_cbranch_execz .LBB1017_146
; %bb.223:
	v_cmp_lt_i64_e32 vcc, 1, v[0:1]
	s_and_saveexec_b64 s[0:1], vcc
	s_xor_b64 s[0:1], exec, s[0:1]
	s_cbranch_execz .LBB1017_225
; %bb.224:
	v_mov_b32_e32 v0, 0
	s_waitcnt lgkmcnt(0)
	global_store_short v0, v7, s[10:11]
                                        ; implicit-def: $vgpr4
                                        ; implicit-def: $vgpr0_vgpr1
                                        ; implicit-def: $vgpr5
.LBB1017_225:
	s_andn2_saveexec_b64 s[0:1], s[0:1]
	s_cbranch_execz .LBB1017_146
; %bb.226:
	v_cmp_ne_u64_e32 vcc, 1, v[0:1]
	s_and_saveexec_b64 s[0:1], vcc
	s_xor_b64 s[0:1], exec, s[0:1]
	s_cbranch_execz .LBB1017_228
; %bb.227:
	v_mov_b32_e32 v0, 0
	s_waitcnt lgkmcnt(0)
	global_store_short v0, v5, s[10:11]
                                        ; implicit-def: $vgpr4
.LBB1017_228:
	s_andn2_saveexec_b64 s[0:1], s[0:1]
	s_cbranch_execz .LBB1017_146
; %bb.229:
	v_mov_b32_e32 v0, 0
	s_waitcnt lgkmcnt(0)
	global_store_short v0, v4, s[10:11]
	s_endpgm
	.section	.rodata,"a",@progbits
	.p2align	6, 0x0
	.amdhsa_kernel _ZN7rocprim17ROCPRIM_400000_NS6detail17trampoline_kernelINS0_14default_configENS1_20scan_config_selectorIsEEZZNS1_9scan_implILNS1_25lookback_scan_determinismE0ELb1ELb1ES3_N6thrust23THRUST_200600_302600_NS6detail15normal_iteratorINS9_10device_ptrIsEEEESE_sNS9_4plusIvEEsEEDaPvRmT3_T4_T5_mT6_P12ihipStream_tbENKUlT_T0_E_clISt17integral_constantIbLb1EEST_IbLb0EEEEDaSP_SQ_EUlSP_E_NS1_11comp_targetILNS1_3genE4ELNS1_11target_archE910ELNS1_3gpuE8ELNS1_3repE0EEENS1_30default_config_static_selectorELNS0_4arch9wavefront6targetE1EEEvT1_
		.amdhsa_group_segment_fixed_size 3072
		.amdhsa_private_segment_fixed_size 0
		.amdhsa_kernarg_size 96
		.amdhsa_user_sgpr_count 6
		.amdhsa_user_sgpr_private_segment_buffer 1
		.amdhsa_user_sgpr_dispatch_ptr 0
		.amdhsa_user_sgpr_queue_ptr 0
		.amdhsa_user_sgpr_kernarg_segment_ptr 1
		.amdhsa_user_sgpr_dispatch_id 0
		.amdhsa_user_sgpr_flat_scratch_init 0
		.amdhsa_user_sgpr_kernarg_preload_length 0
		.amdhsa_user_sgpr_kernarg_preload_offset 0
		.amdhsa_user_sgpr_private_segment_size 0
		.amdhsa_uses_dynamic_stack 0
		.amdhsa_system_sgpr_private_segment_wavefront_offset 0
		.amdhsa_system_sgpr_workgroup_id_x 1
		.amdhsa_system_sgpr_workgroup_id_y 0
		.amdhsa_system_sgpr_workgroup_id_z 0
		.amdhsa_system_sgpr_workgroup_info 0
		.amdhsa_system_vgpr_workitem_id 0
		.amdhsa_next_free_vgpr 54
		.amdhsa_next_free_sgpr 29
		.amdhsa_accum_offset 56
		.amdhsa_reserve_vcc 1
		.amdhsa_reserve_flat_scratch 0
		.amdhsa_float_round_mode_32 0
		.amdhsa_float_round_mode_16_64 0
		.amdhsa_float_denorm_mode_32 3
		.amdhsa_float_denorm_mode_16_64 3
		.amdhsa_dx10_clamp 1
		.amdhsa_ieee_mode 1
		.amdhsa_fp16_overflow 0
		.amdhsa_tg_split 0
		.amdhsa_exception_fp_ieee_invalid_op 0
		.amdhsa_exception_fp_denorm_src 0
		.amdhsa_exception_fp_ieee_div_zero 0
		.amdhsa_exception_fp_ieee_overflow 0
		.amdhsa_exception_fp_ieee_underflow 0
		.amdhsa_exception_fp_ieee_inexact 0
		.amdhsa_exception_int_div_zero 0
	.end_amdhsa_kernel
	.section	.text._ZN7rocprim17ROCPRIM_400000_NS6detail17trampoline_kernelINS0_14default_configENS1_20scan_config_selectorIsEEZZNS1_9scan_implILNS1_25lookback_scan_determinismE0ELb1ELb1ES3_N6thrust23THRUST_200600_302600_NS6detail15normal_iteratorINS9_10device_ptrIsEEEESE_sNS9_4plusIvEEsEEDaPvRmT3_T4_T5_mT6_P12ihipStream_tbENKUlT_T0_E_clISt17integral_constantIbLb1EEST_IbLb0EEEEDaSP_SQ_EUlSP_E_NS1_11comp_targetILNS1_3genE4ELNS1_11target_archE910ELNS1_3gpuE8ELNS1_3repE0EEENS1_30default_config_static_selectorELNS0_4arch9wavefront6targetE1EEEvT1_,"axG",@progbits,_ZN7rocprim17ROCPRIM_400000_NS6detail17trampoline_kernelINS0_14default_configENS1_20scan_config_selectorIsEEZZNS1_9scan_implILNS1_25lookback_scan_determinismE0ELb1ELb1ES3_N6thrust23THRUST_200600_302600_NS6detail15normal_iteratorINS9_10device_ptrIsEEEESE_sNS9_4plusIvEEsEEDaPvRmT3_T4_T5_mT6_P12ihipStream_tbENKUlT_T0_E_clISt17integral_constantIbLb1EEST_IbLb0EEEEDaSP_SQ_EUlSP_E_NS1_11comp_targetILNS1_3genE4ELNS1_11target_archE910ELNS1_3gpuE8ELNS1_3repE0EEENS1_30default_config_static_selectorELNS0_4arch9wavefront6targetE1EEEvT1_,comdat
.Lfunc_end1017:
	.size	_ZN7rocprim17ROCPRIM_400000_NS6detail17trampoline_kernelINS0_14default_configENS1_20scan_config_selectorIsEEZZNS1_9scan_implILNS1_25lookback_scan_determinismE0ELb1ELb1ES3_N6thrust23THRUST_200600_302600_NS6detail15normal_iteratorINS9_10device_ptrIsEEEESE_sNS9_4plusIvEEsEEDaPvRmT3_T4_T5_mT6_P12ihipStream_tbENKUlT_T0_E_clISt17integral_constantIbLb1EEST_IbLb0EEEEDaSP_SQ_EUlSP_E_NS1_11comp_targetILNS1_3genE4ELNS1_11target_archE910ELNS1_3gpuE8ELNS1_3repE0EEENS1_30default_config_static_selectorELNS0_4arch9wavefront6targetE1EEEvT1_, .Lfunc_end1017-_ZN7rocprim17ROCPRIM_400000_NS6detail17trampoline_kernelINS0_14default_configENS1_20scan_config_selectorIsEEZZNS1_9scan_implILNS1_25lookback_scan_determinismE0ELb1ELb1ES3_N6thrust23THRUST_200600_302600_NS6detail15normal_iteratorINS9_10device_ptrIsEEEESE_sNS9_4plusIvEEsEEDaPvRmT3_T4_T5_mT6_P12ihipStream_tbENKUlT_T0_E_clISt17integral_constantIbLb1EEST_IbLb0EEEEDaSP_SQ_EUlSP_E_NS1_11comp_targetILNS1_3genE4ELNS1_11target_archE910ELNS1_3gpuE8ELNS1_3repE0EEENS1_30default_config_static_selectorELNS0_4arch9wavefront6targetE1EEEvT1_
                                        ; -- End function
	.section	.AMDGPU.csdata,"",@progbits
; Kernel info:
; codeLenInByte = 7804
; NumSgprs: 33
; NumVgprs: 54
; NumAgprs: 0
; TotalNumVgprs: 54
; ScratchSize: 0
; MemoryBound: 0
; FloatMode: 240
; IeeeMode: 1
; LDSByteSize: 3072 bytes/workgroup (compile time only)
; SGPRBlocks: 4
; VGPRBlocks: 6
; NumSGPRsForWavesPerEU: 33
; NumVGPRsForWavesPerEU: 54
; AccumOffset: 56
; Occupancy: 6
; WaveLimiterHint : 1
; COMPUTE_PGM_RSRC2:SCRATCH_EN: 0
; COMPUTE_PGM_RSRC2:USER_SGPR: 6
; COMPUTE_PGM_RSRC2:TRAP_HANDLER: 0
; COMPUTE_PGM_RSRC2:TGID_X_EN: 1
; COMPUTE_PGM_RSRC2:TGID_Y_EN: 0
; COMPUTE_PGM_RSRC2:TGID_Z_EN: 0
; COMPUTE_PGM_RSRC2:TIDIG_COMP_CNT: 0
; COMPUTE_PGM_RSRC3_GFX90A:ACCUM_OFFSET: 13
; COMPUTE_PGM_RSRC3_GFX90A:TG_SPLIT: 0
	.section	.text._ZN7rocprim17ROCPRIM_400000_NS6detail17trampoline_kernelINS0_14default_configENS1_20scan_config_selectorIsEEZZNS1_9scan_implILNS1_25lookback_scan_determinismE0ELb1ELb1ES3_N6thrust23THRUST_200600_302600_NS6detail15normal_iteratorINS9_10device_ptrIsEEEESE_sNS9_4plusIvEEsEEDaPvRmT3_T4_T5_mT6_P12ihipStream_tbENKUlT_T0_E_clISt17integral_constantIbLb1EEST_IbLb0EEEEDaSP_SQ_EUlSP_E_NS1_11comp_targetILNS1_3genE3ELNS1_11target_archE908ELNS1_3gpuE7ELNS1_3repE0EEENS1_30default_config_static_selectorELNS0_4arch9wavefront6targetE1EEEvT1_,"axG",@progbits,_ZN7rocprim17ROCPRIM_400000_NS6detail17trampoline_kernelINS0_14default_configENS1_20scan_config_selectorIsEEZZNS1_9scan_implILNS1_25lookback_scan_determinismE0ELb1ELb1ES3_N6thrust23THRUST_200600_302600_NS6detail15normal_iteratorINS9_10device_ptrIsEEEESE_sNS9_4plusIvEEsEEDaPvRmT3_T4_T5_mT6_P12ihipStream_tbENKUlT_T0_E_clISt17integral_constantIbLb1EEST_IbLb0EEEEDaSP_SQ_EUlSP_E_NS1_11comp_targetILNS1_3genE3ELNS1_11target_archE908ELNS1_3gpuE7ELNS1_3repE0EEENS1_30default_config_static_selectorELNS0_4arch9wavefront6targetE1EEEvT1_,comdat
	.protected	_ZN7rocprim17ROCPRIM_400000_NS6detail17trampoline_kernelINS0_14default_configENS1_20scan_config_selectorIsEEZZNS1_9scan_implILNS1_25lookback_scan_determinismE0ELb1ELb1ES3_N6thrust23THRUST_200600_302600_NS6detail15normal_iteratorINS9_10device_ptrIsEEEESE_sNS9_4plusIvEEsEEDaPvRmT3_T4_T5_mT6_P12ihipStream_tbENKUlT_T0_E_clISt17integral_constantIbLb1EEST_IbLb0EEEEDaSP_SQ_EUlSP_E_NS1_11comp_targetILNS1_3genE3ELNS1_11target_archE908ELNS1_3gpuE7ELNS1_3repE0EEENS1_30default_config_static_selectorELNS0_4arch9wavefront6targetE1EEEvT1_ ; -- Begin function _ZN7rocprim17ROCPRIM_400000_NS6detail17trampoline_kernelINS0_14default_configENS1_20scan_config_selectorIsEEZZNS1_9scan_implILNS1_25lookback_scan_determinismE0ELb1ELb1ES3_N6thrust23THRUST_200600_302600_NS6detail15normal_iteratorINS9_10device_ptrIsEEEESE_sNS9_4plusIvEEsEEDaPvRmT3_T4_T5_mT6_P12ihipStream_tbENKUlT_T0_E_clISt17integral_constantIbLb1EEST_IbLb0EEEEDaSP_SQ_EUlSP_E_NS1_11comp_targetILNS1_3genE3ELNS1_11target_archE908ELNS1_3gpuE7ELNS1_3repE0EEENS1_30default_config_static_selectorELNS0_4arch9wavefront6targetE1EEEvT1_
	.globl	_ZN7rocprim17ROCPRIM_400000_NS6detail17trampoline_kernelINS0_14default_configENS1_20scan_config_selectorIsEEZZNS1_9scan_implILNS1_25lookback_scan_determinismE0ELb1ELb1ES3_N6thrust23THRUST_200600_302600_NS6detail15normal_iteratorINS9_10device_ptrIsEEEESE_sNS9_4plusIvEEsEEDaPvRmT3_T4_T5_mT6_P12ihipStream_tbENKUlT_T0_E_clISt17integral_constantIbLb1EEST_IbLb0EEEEDaSP_SQ_EUlSP_E_NS1_11comp_targetILNS1_3genE3ELNS1_11target_archE908ELNS1_3gpuE7ELNS1_3repE0EEENS1_30default_config_static_selectorELNS0_4arch9wavefront6targetE1EEEvT1_
	.p2align	8
	.type	_ZN7rocprim17ROCPRIM_400000_NS6detail17trampoline_kernelINS0_14default_configENS1_20scan_config_selectorIsEEZZNS1_9scan_implILNS1_25lookback_scan_determinismE0ELb1ELb1ES3_N6thrust23THRUST_200600_302600_NS6detail15normal_iteratorINS9_10device_ptrIsEEEESE_sNS9_4plusIvEEsEEDaPvRmT3_T4_T5_mT6_P12ihipStream_tbENKUlT_T0_E_clISt17integral_constantIbLb1EEST_IbLb0EEEEDaSP_SQ_EUlSP_E_NS1_11comp_targetILNS1_3genE3ELNS1_11target_archE908ELNS1_3gpuE7ELNS1_3repE0EEENS1_30default_config_static_selectorELNS0_4arch9wavefront6targetE1EEEvT1_,@function
_ZN7rocprim17ROCPRIM_400000_NS6detail17trampoline_kernelINS0_14default_configENS1_20scan_config_selectorIsEEZZNS1_9scan_implILNS1_25lookback_scan_determinismE0ELb1ELb1ES3_N6thrust23THRUST_200600_302600_NS6detail15normal_iteratorINS9_10device_ptrIsEEEESE_sNS9_4plusIvEEsEEDaPvRmT3_T4_T5_mT6_P12ihipStream_tbENKUlT_T0_E_clISt17integral_constantIbLb1EEST_IbLb0EEEEDaSP_SQ_EUlSP_E_NS1_11comp_targetILNS1_3genE3ELNS1_11target_archE908ELNS1_3gpuE7ELNS1_3repE0EEENS1_30default_config_static_selectorELNS0_4arch9wavefront6targetE1EEEvT1_: ; @_ZN7rocprim17ROCPRIM_400000_NS6detail17trampoline_kernelINS0_14default_configENS1_20scan_config_selectorIsEEZZNS1_9scan_implILNS1_25lookback_scan_determinismE0ELb1ELb1ES3_N6thrust23THRUST_200600_302600_NS6detail15normal_iteratorINS9_10device_ptrIsEEEESE_sNS9_4plusIvEEsEEDaPvRmT3_T4_T5_mT6_P12ihipStream_tbENKUlT_T0_E_clISt17integral_constantIbLb1EEST_IbLb0EEEEDaSP_SQ_EUlSP_E_NS1_11comp_targetILNS1_3genE3ELNS1_11target_archE908ELNS1_3gpuE7ELNS1_3repE0EEENS1_30default_config_static_selectorELNS0_4arch9wavefront6targetE1EEEvT1_
; %bb.0:
	.section	.rodata,"a",@progbits
	.p2align	6, 0x0
	.amdhsa_kernel _ZN7rocprim17ROCPRIM_400000_NS6detail17trampoline_kernelINS0_14default_configENS1_20scan_config_selectorIsEEZZNS1_9scan_implILNS1_25lookback_scan_determinismE0ELb1ELb1ES3_N6thrust23THRUST_200600_302600_NS6detail15normal_iteratorINS9_10device_ptrIsEEEESE_sNS9_4plusIvEEsEEDaPvRmT3_T4_T5_mT6_P12ihipStream_tbENKUlT_T0_E_clISt17integral_constantIbLb1EEST_IbLb0EEEEDaSP_SQ_EUlSP_E_NS1_11comp_targetILNS1_3genE3ELNS1_11target_archE908ELNS1_3gpuE7ELNS1_3repE0EEENS1_30default_config_static_selectorELNS0_4arch9wavefront6targetE1EEEvT1_
		.amdhsa_group_segment_fixed_size 0
		.amdhsa_private_segment_fixed_size 0
		.amdhsa_kernarg_size 96
		.amdhsa_user_sgpr_count 6
		.amdhsa_user_sgpr_private_segment_buffer 1
		.amdhsa_user_sgpr_dispatch_ptr 0
		.amdhsa_user_sgpr_queue_ptr 0
		.amdhsa_user_sgpr_kernarg_segment_ptr 1
		.amdhsa_user_sgpr_dispatch_id 0
		.amdhsa_user_sgpr_flat_scratch_init 0
		.amdhsa_user_sgpr_kernarg_preload_length 0
		.amdhsa_user_sgpr_kernarg_preload_offset 0
		.amdhsa_user_sgpr_private_segment_size 0
		.amdhsa_uses_dynamic_stack 0
		.amdhsa_system_sgpr_private_segment_wavefront_offset 0
		.amdhsa_system_sgpr_workgroup_id_x 1
		.amdhsa_system_sgpr_workgroup_id_y 0
		.amdhsa_system_sgpr_workgroup_id_z 0
		.amdhsa_system_sgpr_workgroup_info 0
		.amdhsa_system_vgpr_workitem_id 0
		.amdhsa_next_free_vgpr 1
		.amdhsa_next_free_sgpr 0
		.amdhsa_accum_offset 4
		.amdhsa_reserve_vcc 0
		.amdhsa_reserve_flat_scratch 0
		.amdhsa_float_round_mode_32 0
		.amdhsa_float_round_mode_16_64 0
		.amdhsa_float_denorm_mode_32 3
		.amdhsa_float_denorm_mode_16_64 3
		.amdhsa_dx10_clamp 1
		.amdhsa_ieee_mode 1
		.amdhsa_fp16_overflow 0
		.amdhsa_tg_split 0
		.amdhsa_exception_fp_ieee_invalid_op 0
		.amdhsa_exception_fp_denorm_src 0
		.amdhsa_exception_fp_ieee_div_zero 0
		.amdhsa_exception_fp_ieee_overflow 0
		.amdhsa_exception_fp_ieee_underflow 0
		.amdhsa_exception_fp_ieee_inexact 0
		.amdhsa_exception_int_div_zero 0
	.end_amdhsa_kernel
	.section	.text._ZN7rocprim17ROCPRIM_400000_NS6detail17trampoline_kernelINS0_14default_configENS1_20scan_config_selectorIsEEZZNS1_9scan_implILNS1_25lookback_scan_determinismE0ELb1ELb1ES3_N6thrust23THRUST_200600_302600_NS6detail15normal_iteratorINS9_10device_ptrIsEEEESE_sNS9_4plusIvEEsEEDaPvRmT3_T4_T5_mT6_P12ihipStream_tbENKUlT_T0_E_clISt17integral_constantIbLb1EEST_IbLb0EEEEDaSP_SQ_EUlSP_E_NS1_11comp_targetILNS1_3genE3ELNS1_11target_archE908ELNS1_3gpuE7ELNS1_3repE0EEENS1_30default_config_static_selectorELNS0_4arch9wavefront6targetE1EEEvT1_,"axG",@progbits,_ZN7rocprim17ROCPRIM_400000_NS6detail17trampoline_kernelINS0_14default_configENS1_20scan_config_selectorIsEEZZNS1_9scan_implILNS1_25lookback_scan_determinismE0ELb1ELb1ES3_N6thrust23THRUST_200600_302600_NS6detail15normal_iteratorINS9_10device_ptrIsEEEESE_sNS9_4plusIvEEsEEDaPvRmT3_T4_T5_mT6_P12ihipStream_tbENKUlT_T0_E_clISt17integral_constantIbLb1EEST_IbLb0EEEEDaSP_SQ_EUlSP_E_NS1_11comp_targetILNS1_3genE3ELNS1_11target_archE908ELNS1_3gpuE7ELNS1_3repE0EEENS1_30default_config_static_selectorELNS0_4arch9wavefront6targetE1EEEvT1_,comdat
.Lfunc_end1018:
	.size	_ZN7rocprim17ROCPRIM_400000_NS6detail17trampoline_kernelINS0_14default_configENS1_20scan_config_selectorIsEEZZNS1_9scan_implILNS1_25lookback_scan_determinismE0ELb1ELb1ES3_N6thrust23THRUST_200600_302600_NS6detail15normal_iteratorINS9_10device_ptrIsEEEESE_sNS9_4plusIvEEsEEDaPvRmT3_T4_T5_mT6_P12ihipStream_tbENKUlT_T0_E_clISt17integral_constantIbLb1EEST_IbLb0EEEEDaSP_SQ_EUlSP_E_NS1_11comp_targetILNS1_3genE3ELNS1_11target_archE908ELNS1_3gpuE7ELNS1_3repE0EEENS1_30default_config_static_selectorELNS0_4arch9wavefront6targetE1EEEvT1_, .Lfunc_end1018-_ZN7rocprim17ROCPRIM_400000_NS6detail17trampoline_kernelINS0_14default_configENS1_20scan_config_selectorIsEEZZNS1_9scan_implILNS1_25lookback_scan_determinismE0ELb1ELb1ES3_N6thrust23THRUST_200600_302600_NS6detail15normal_iteratorINS9_10device_ptrIsEEEESE_sNS9_4plusIvEEsEEDaPvRmT3_T4_T5_mT6_P12ihipStream_tbENKUlT_T0_E_clISt17integral_constantIbLb1EEST_IbLb0EEEEDaSP_SQ_EUlSP_E_NS1_11comp_targetILNS1_3genE3ELNS1_11target_archE908ELNS1_3gpuE7ELNS1_3repE0EEENS1_30default_config_static_selectorELNS0_4arch9wavefront6targetE1EEEvT1_
                                        ; -- End function
	.section	.AMDGPU.csdata,"",@progbits
; Kernel info:
; codeLenInByte = 0
; NumSgprs: 4
; NumVgprs: 0
; NumAgprs: 0
; TotalNumVgprs: 0
; ScratchSize: 0
; MemoryBound: 0
; FloatMode: 240
; IeeeMode: 1
; LDSByteSize: 0 bytes/workgroup (compile time only)
; SGPRBlocks: 0
; VGPRBlocks: 0
; NumSGPRsForWavesPerEU: 4
; NumVGPRsForWavesPerEU: 1
; AccumOffset: 4
; Occupancy: 8
; WaveLimiterHint : 0
; COMPUTE_PGM_RSRC2:SCRATCH_EN: 0
; COMPUTE_PGM_RSRC2:USER_SGPR: 6
; COMPUTE_PGM_RSRC2:TRAP_HANDLER: 0
; COMPUTE_PGM_RSRC2:TGID_X_EN: 1
; COMPUTE_PGM_RSRC2:TGID_Y_EN: 0
; COMPUTE_PGM_RSRC2:TGID_Z_EN: 0
; COMPUTE_PGM_RSRC2:TIDIG_COMP_CNT: 0
; COMPUTE_PGM_RSRC3_GFX90A:ACCUM_OFFSET: 0
; COMPUTE_PGM_RSRC3_GFX90A:TG_SPLIT: 0
	.section	.text._ZN7rocprim17ROCPRIM_400000_NS6detail17trampoline_kernelINS0_14default_configENS1_20scan_config_selectorIsEEZZNS1_9scan_implILNS1_25lookback_scan_determinismE0ELb1ELb1ES3_N6thrust23THRUST_200600_302600_NS6detail15normal_iteratorINS9_10device_ptrIsEEEESE_sNS9_4plusIvEEsEEDaPvRmT3_T4_T5_mT6_P12ihipStream_tbENKUlT_T0_E_clISt17integral_constantIbLb1EEST_IbLb0EEEEDaSP_SQ_EUlSP_E_NS1_11comp_targetILNS1_3genE2ELNS1_11target_archE906ELNS1_3gpuE6ELNS1_3repE0EEENS1_30default_config_static_selectorELNS0_4arch9wavefront6targetE1EEEvT1_,"axG",@progbits,_ZN7rocprim17ROCPRIM_400000_NS6detail17trampoline_kernelINS0_14default_configENS1_20scan_config_selectorIsEEZZNS1_9scan_implILNS1_25lookback_scan_determinismE0ELb1ELb1ES3_N6thrust23THRUST_200600_302600_NS6detail15normal_iteratorINS9_10device_ptrIsEEEESE_sNS9_4plusIvEEsEEDaPvRmT3_T4_T5_mT6_P12ihipStream_tbENKUlT_T0_E_clISt17integral_constantIbLb1EEST_IbLb0EEEEDaSP_SQ_EUlSP_E_NS1_11comp_targetILNS1_3genE2ELNS1_11target_archE906ELNS1_3gpuE6ELNS1_3repE0EEENS1_30default_config_static_selectorELNS0_4arch9wavefront6targetE1EEEvT1_,comdat
	.protected	_ZN7rocprim17ROCPRIM_400000_NS6detail17trampoline_kernelINS0_14default_configENS1_20scan_config_selectorIsEEZZNS1_9scan_implILNS1_25lookback_scan_determinismE0ELb1ELb1ES3_N6thrust23THRUST_200600_302600_NS6detail15normal_iteratorINS9_10device_ptrIsEEEESE_sNS9_4plusIvEEsEEDaPvRmT3_T4_T5_mT6_P12ihipStream_tbENKUlT_T0_E_clISt17integral_constantIbLb1EEST_IbLb0EEEEDaSP_SQ_EUlSP_E_NS1_11comp_targetILNS1_3genE2ELNS1_11target_archE906ELNS1_3gpuE6ELNS1_3repE0EEENS1_30default_config_static_selectorELNS0_4arch9wavefront6targetE1EEEvT1_ ; -- Begin function _ZN7rocprim17ROCPRIM_400000_NS6detail17trampoline_kernelINS0_14default_configENS1_20scan_config_selectorIsEEZZNS1_9scan_implILNS1_25lookback_scan_determinismE0ELb1ELb1ES3_N6thrust23THRUST_200600_302600_NS6detail15normal_iteratorINS9_10device_ptrIsEEEESE_sNS9_4plusIvEEsEEDaPvRmT3_T4_T5_mT6_P12ihipStream_tbENKUlT_T0_E_clISt17integral_constantIbLb1EEST_IbLb0EEEEDaSP_SQ_EUlSP_E_NS1_11comp_targetILNS1_3genE2ELNS1_11target_archE906ELNS1_3gpuE6ELNS1_3repE0EEENS1_30default_config_static_selectorELNS0_4arch9wavefront6targetE1EEEvT1_
	.globl	_ZN7rocprim17ROCPRIM_400000_NS6detail17trampoline_kernelINS0_14default_configENS1_20scan_config_selectorIsEEZZNS1_9scan_implILNS1_25lookback_scan_determinismE0ELb1ELb1ES3_N6thrust23THRUST_200600_302600_NS6detail15normal_iteratorINS9_10device_ptrIsEEEESE_sNS9_4plusIvEEsEEDaPvRmT3_T4_T5_mT6_P12ihipStream_tbENKUlT_T0_E_clISt17integral_constantIbLb1EEST_IbLb0EEEEDaSP_SQ_EUlSP_E_NS1_11comp_targetILNS1_3genE2ELNS1_11target_archE906ELNS1_3gpuE6ELNS1_3repE0EEENS1_30default_config_static_selectorELNS0_4arch9wavefront6targetE1EEEvT1_
	.p2align	8
	.type	_ZN7rocprim17ROCPRIM_400000_NS6detail17trampoline_kernelINS0_14default_configENS1_20scan_config_selectorIsEEZZNS1_9scan_implILNS1_25lookback_scan_determinismE0ELb1ELb1ES3_N6thrust23THRUST_200600_302600_NS6detail15normal_iteratorINS9_10device_ptrIsEEEESE_sNS9_4plusIvEEsEEDaPvRmT3_T4_T5_mT6_P12ihipStream_tbENKUlT_T0_E_clISt17integral_constantIbLb1EEST_IbLb0EEEEDaSP_SQ_EUlSP_E_NS1_11comp_targetILNS1_3genE2ELNS1_11target_archE906ELNS1_3gpuE6ELNS1_3repE0EEENS1_30default_config_static_selectorELNS0_4arch9wavefront6targetE1EEEvT1_,@function
_ZN7rocprim17ROCPRIM_400000_NS6detail17trampoline_kernelINS0_14default_configENS1_20scan_config_selectorIsEEZZNS1_9scan_implILNS1_25lookback_scan_determinismE0ELb1ELb1ES3_N6thrust23THRUST_200600_302600_NS6detail15normal_iteratorINS9_10device_ptrIsEEEESE_sNS9_4plusIvEEsEEDaPvRmT3_T4_T5_mT6_P12ihipStream_tbENKUlT_T0_E_clISt17integral_constantIbLb1EEST_IbLb0EEEEDaSP_SQ_EUlSP_E_NS1_11comp_targetILNS1_3genE2ELNS1_11target_archE906ELNS1_3gpuE6ELNS1_3repE0EEENS1_30default_config_static_selectorELNS0_4arch9wavefront6targetE1EEEvT1_: ; @_ZN7rocprim17ROCPRIM_400000_NS6detail17trampoline_kernelINS0_14default_configENS1_20scan_config_selectorIsEEZZNS1_9scan_implILNS1_25lookback_scan_determinismE0ELb1ELb1ES3_N6thrust23THRUST_200600_302600_NS6detail15normal_iteratorINS9_10device_ptrIsEEEESE_sNS9_4plusIvEEsEEDaPvRmT3_T4_T5_mT6_P12ihipStream_tbENKUlT_T0_E_clISt17integral_constantIbLb1EEST_IbLb0EEEEDaSP_SQ_EUlSP_E_NS1_11comp_targetILNS1_3genE2ELNS1_11target_archE906ELNS1_3gpuE6ELNS1_3repE0EEENS1_30default_config_static_selectorELNS0_4arch9wavefront6targetE1EEEvT1_
; %bb.0:
	.section	.rodata,"a",@progbits
	.p2align	6, 0x0
	.amdhsa_kernel _ZN7rocprim17ROCPRIM_400000_NS6detail17trampoline_kernelINS0_14default_configENS1_20scan_config_selectorIsEEZZNS1_9scan_implILNS1_25lookback_scan_determinismE0ELb1ELb1ES3_N6thrust23THRUST_200600_302600_NS6detail15normal_iteratorINS9_10device_ptrIsEEEESE_sNS9_4plusIvEEsEEDaPvRmT3_T4_T5_mT6_P12ihipStream_tbENKUlT_T0_E_clISt17integral_constantIbLb1EEST_IbLb0EEEEDaSP_SQ_EUlSP_E_NS1_11comp_targetILNS1_3genE2ELNS1_11target_archE906ELNS1_3gpuE6ELNS1_3repE0EEENS1_30default_config_static_selectorELNS0_4arch9wavefront6targetE1EEEvT1_
		.amdhsa_group_segment_fixed_size 0
		.amdhsa_private_segment_fixed_size 0
		.amdhsa_kernarg_size 96
		.amdhsa_user_sgpr_count 6
		.amdhsa_user_sgpr_private_segment_buffer 1
		.amdhsa_user_sgpr_dispatch_ptr 0
		.amdhsa_user_sgpr_queue_ptr 0
		.amdhsa_user_sgpr_kernarg_segment_ptr 1
		.amdhsa_user_sgpr_dispatch_id 0
		.amdhsa_user_sgpr_flat_scratch_init 0
		.amdhsa_user_sgpr_kernarg_preload_length 0
		.amdhsa_user_sgpr_kernarg_preload_offset 0
		.amdhsa_user_sgpr_private_segment_size 0
		.amdhsa_uses_dynamic_stack 0
		.amdhsa_system_sgpr_private_segment_wavefront_offset 0
		.amdhsa_system_sgpr_workgroup_id_x 1
		.amdhsa_system_sgpr_workgroup_id_y 0
		.amdhsa_system_sgpr_workgroup_id_z 0
		.amdhsa_system_sgpr_workgroup_info 0
		.amdhsa_system_vgpr_workitem_id 0
		.amdhsa_next_free_vgpr 1
		.amdhsa_next_free_sgpr 0
		.amdhsa_accum_offset 4
		.amdhsa_reserve_vcc 0
		.amdhsa_reserve_flat_scratch 0
		.amdhsa_float_round_mode_32 0
		.amdhsa_float_round_mode_16_64 0
		.amdhsa_float_denorm_mode_32 3
		.amdhsa_float_denorm_mode_16_64 3
		.amdhsa_dx10_clamp 1
		.amdhsa_ieee_mode 1
		.amdhsa_fp16_overflow 0
		.amdhsa_tg_split 0
		.amdhsa_exception_fp_ieee_invalid_op 0
		.amdhsa_exception_fp_denorm_src 0
		.amdhsa_exception_fp_ieee_div_zero 0
		.amdhsa_exception_fp_ieee_overflow 0
		.amdhsa_exception_fp_ieee_underflow 0
		.amdhsa_exception_fp_ieee_inexact 0
		.amdhsa_exception_int_div_zero 0
	.end_amdhsa_kernel
	.section	.text._ZN7rocprim17ROCPRIM_400000_NS6detail17trampoline_kernelINS0_14default_configENS1_20scan_config_selectorIsEEZZNS1_9scan_implILNS1_25lookback_scan_determinismE0ELb1ELb1ES3_N6thrust23THRUST_200600_302600_NS6detail15normal_iteratorINS9_10device_ptrIsEEEESE_sNS9_4plusIvEEsEEDaPvRmT3_T4_T5_mT6_P12ihipStream_tbENKUlT_T0_E_clISt17integral_constantIbLb1EEST_IbLb0EEEEDaSP_SQ_EUlSP_E_NS1_11comp_targetILNS1_3genE2ELNS1_11target_archE906ELNS1_3gpuE6ELNS1_3repE0EEENS1_30default_config_static_selectorELNS0_4arch9wavefront6targetE1EEEvT1_,"axG",@progbits,_ZN7rocprim17ROCPRIM_400000_NS6detail17trampoline_kernelINS0_14default_configENS1_20scan_config_selectorIsEEZZNS1_9scan_implILNS1_25lookback_scan_determinismE0ELb1ELb1ES3_N6thrust23THRUST_200600_302600_NS6detail15normal_iteratorINS9_10device_ptrIsEEEESE_sNS9_4plusIvEEsEEDaPvRmT3_T4_T5_mT6_P12ihipStream_tbENKUlT_T0_E_clISt17integral_constantIbLb1EEST_IbLb0EEEEDaSP_SQ_EUlSP_E_NS1_11comp_targetILNS1_3genE2ELNS1_11target_archE906ELNS1_3gpuE6ELNS1_3repE0EEENS1_30default_config_static_selectorELNS0_4arch9wavefront6targetE1EEEvT1_,comdat
.Lfunc_end1019:
	.size	_ZN7rocprim17ROCPRIM_400000_NS6detail17trampoline_kernelINS0_14default_configENS1_20scan_config_selectorIsEEZZNS1_9scan_implILNS1_25lookback_scan_determinismE0ELb1ELb1ES3_N6thrust23THRUST_200600_302600_NS6detail15normal_iteratorINS9_10device_ptrIsEEEESE_sNS9_4plusIvEEsEEDaPvRmT3_T4_T5_mT6_P12ihipStream_tbENKUlT_T0_E_clISt17integral_constantIbLb1EEST_IbLb0EEEEDaSP_SQ_EUlSP_E_NS1_11comp_targetILNS1_3genE2ELNS1_11target_archE906ELNS1_3gpuE6ELNS1_3repE0EEENS1_30default_config_static_selectorELNS0_4arch9wavefront6targetE1EEEvT1_, .Lfunc_end1019-_ZN7rocprim17ROCPRIM_400000_NS6detail17trampoline_kernelINS0_14default_configENS1_20scan_config_selectorIsEEZZNS1_9scan_implILNS1_25lookback_scan_determinismE0ELb1ELb1ES3_N6thrust23THRUST_200600_302600_NS6detail15normal_iteratorINS9_10device_ptrIsEEEESE_sNS9_4plusIvEEsEEDaPvRmT3_T4_T5_mT6_P12ihipStream_tbENKUlT_T0_E_clISt17integral_constantIbLb1EEST_IbLb0EEEEDaSP_SQ_EUlSP_E_NS1_11comp_targetILNS1_3genE2ELNS1_11target_archE906ELNS1_3gpuE6ELNS1_3repE0EEENS1_30default_config_static_selectorELNS0_4arch9wavefront6targetE1EEEvT1_
                                        ; -- End function
	.section	.AMDGPU.csdata,"",@progbits
; Kernel info:
; codeLenInByte = 0
; NumSgprs: 4
; NumVgprs: 0
; NumAgprs: 0
; TotalNumVgprs: 0
; ScratchSize: 0
; MemoryBound: 0
; FloatMode: 240
; IeeeMode: 1
; LDSByteSize: 0 bytes/workgroup (compile time only)
; SGPRBlocks: 0
; VGPRBlocks: 0
; NumSGPRsForWavesPerEU: 4
; NumVGPRsForWavesPerEU: 1
; AccumOffset: 4
; Occupancy: 8
; WaveLimiterHint : 0
; COMPUTE_PGM_RSRC2:SCRATCH_EN: 0
; COMPUTE_PGM_RSRC2:USER_SGPR: 6
; COMPUTE_PGM_RSRC2:TRAP_HANDLER: 0
; COMPUTE_PGM_RSRC2:TGID_X_EN: 1
; COMPUTE_PGM_RSRC2:TGID_Y_EN: 0
; COMPUTE_PGM_RSRC2:TGID_Z_EN: 0
; COMPUTE_PGM_RSRC2:TIDIG_COMP_CNT: 0
; COMPUTE_PGM_RSRC3_GFX90A:ACCUM_OFFSET: 0
; COMPUTE_PGM_RSRC3_GFX90A:TG_SPLIT: 0
	.section	.text._ZN7rocprim17ROCPRIM_400000_NS6detail17trampoline_kernelINS0_14default_configENS1_20scan_config_selectorIsEEZZNS1_9scan_implILNS1_25lookback_scan_determinismE0ELb1ELb1ES3_N6thrust23THRUST_200600_302600_NS6detail15normal_iteratorINS9_10device_ptrIsEEEESE_sNS9_4plusIvEEsEEDaPvRmT3_T4_T5_mT6_P12ihipStream_tbENKUlT_T0_E_clISt17integral_constantIbLb1EEST_IbLb0EEEEDaSP_SQ_EUlSP_E_NS1_11comp_targetILNS1_3genE10ELNS1_11target_archE1201ELNS1_3gpuE5ELNS1_3repE0EEENS1_30default_config_static_selectorELNS0_4arch9wavefront6targetE1EEEvT1_,"axG",@progbits,_ZN7rocprim17ROCPRIM_400000_NS6detail17trampoline_kernelINS0_14default_configENS1_20scan_config_selectorIsEEZZNS1_9scan_implILNS1_25lookback_scan_determinismE0ELb1ELb1ES3_N6thrust23THRUST_200600_302600_NS6detail15normal_iteratorINS9_10device_ptrIsEEEESE_sNS9_4plusIvEEsEEDaPvRmT3_T4_T5_mT6_P12ihipStream_tbENKUlT_T0_E_clISt17integral_constantIbLb1EEST_IbLb0EEEEDaSP_SQ_EUlSP_E_NS1_11comp_targetILNS1_3genE10ELNS1_11target_archE1201ELNS1_3gpuE5ELNS1_3repE0EEENS1_30default_config_static_selectorELNS0_4arch9wavefront6targetE1EEEvT1_,comdat
	.protected	_ZN7rocprim17ROCPRIM_400000_NS6detail17trampoline_kernelINS0_14default_configENS1_20scan_config_selectorIsEEZZNS1_9scan_implILNS1_25lookback_scan_determinismE0ELb1ELb1ES3_N6thrust23THRUST_200600_302600_NS6detail15normal_iteratorINS9_10device_ptrIsEEEESE_sNS9_4plusIvEEsEEDaPvRmT3_T4_T5_mT6_P12ihipStream_tbENKUlT_T0_E_clISt17integral_constantIbLb1EEST_IbLb0EEEEDaSP_SQ_EUlSP_E_NS1_11comp_targetILNS1_3genE10ELNS1_11target_archE1201ELNS1_3gpuE5ELNS1_3repE0EEENS1_30default_config_static_selectorELNS0_4arch9wavefront6targetE1EEEvT1_ ; -- Begin function _ZN7rocprim17ROCPRIM_400000_NS6detail17trampoline_kernelINS0_14default_configENS1_20scan_config_selectorIsEEZZNS1_9scan_implILNS1_25lookback_scan_determinismE0ELb1ELb1ES3_N6thrust23THRUST_200600_302600_NS6detail15normal_iteratorINS9_10device_ptrIsEEEESE_sNS9_4plusIvEEsEEDaPvRmT3_T4_T5_mT6_P12ihipStream_tbENKUlT_T0_E_clISt17integral_constantIbLb1EEST_IbLb0EEEEDaSP_SQ_EUlSP_E_NS1_11comp_targetILNS1_3genE10ELNS1_11target_archE1201ELNS1_3gpuE5ELNS1_3repE0EEENS1_30default_config_static_selectorELNS0_4arch9wavefront6targetE1EEEvT1_
	.globl	_ZN7rocprim17ROCPRIM_400000_NS6detail17trampoline_kernelINS0_14default_configENS1_20scan_config_selectorIsEEZZNS1_9scan_implILNS1_25lookback_scan_determinismE0ELb1ELb1ES3_N6thrust23THRUST_200600_302600_NS6detail15normal_iteratorINS9_10device_ptrIsEEEESE_sNS9_4plusIvEEsEEDaPvRmT3_T4_T5_mT6_P12ihipStream_tbENKUlT_T0_E_clISt17integral_constantIbLb1EEST_IbLb0EEEEDaSP_SQ_EUlSP_E_NS1_11comp_targetILNS1_3genE10ELNS1_11target_archE1201ELNS1_3gpuE5ELNS1_3repE0EEENS1_30default_config_static_selectorELNS0_4arch9wavefront6targetE1EEEvT1_
	.p2align	8
	.type	_ZN7rocprim17ROCPRIM_400000_NS6detail17trampoline_kernelINS0_14default_configENS1_20scan_config_selectorIsEEZZNS1_9scan_implILNS1_25lookback_scan_determinismE0ELb1ELb1ES3_N6thrust23THRUST_200600_302600_NS6detail15normal_iteratorINS9_10device_ptrIsEEEESE_sNS9_4plusIvEEsEEDaPvRmT3_T4_T5_mT6_P12ihipStream_tbENKUlT_T0_E_clISt17integral_constantIbLb1EEST_IbLb0EEEEDaSP_SQ_EUlSP_E_NS1_11comp_targetILNS1_3genE10ELNS1_11target_archE1201ELNS1_3gpuE5ELNS1_3repE0EEENS1_30default_config_static_selectorELNS0_4arch9wavefront6targetE1EEEvT1_,@function
_ZN7rocprim17ROCPRIM_400000_NS6detail17trampoline_kernelINS0_14default_configENS1_20scan_config_selectorIsEEZZNS1_9scan_implILNS1_25lookback_scan_determinismE0ELb1ELb1ES3_N6thrust23THRUST_200600_302600_NS6detail15normal_iteratorINS9_10device_ptrIsEEEESE_sNS9_4plusIvEEsEEDaPvRmT3_T4_T5_mT6_P12ihipStream_tbENKUlT_T0_E_clISt17integral_constantIbLb1EEST_IbLb0EEEEDaSP_SQ_EUlSP_E_NS1_11comp_targetILNS1_3genE10ELNS1_11target_archE1201ELNS1_3gpuE5ELNS1_3repE0EEENS1_30default_config_static_selectorELNS0_4arch9wavefront6targetE1EEEvT1_: ; @_ZN7rocprim17ROCPRIM_400000_NS6detail17trampoline_kernelINS0_14default_configENS1_20scan_config_selectorIsEEZZNS1_9scan_implILNS1_25lookback_scan_determinismE0ELb1ELb1ES3_N6thrust23THRUST_200600_302600_NS6detail15normal_iteratorINS9_10device_ptrIsEEEESE_sNS9_4plusIvEEsEEDaPvRmT3_T4_T5_mT6_P12ihipStream_tbENKUlT_T0_E_clISt17integral_constantIbLb1EEST_IbLb0EEEEDaSP_SQ_EUlSP_E_NS1_11comp_targetILNS1_3genE10ELNS1_11target_archE1201ELNS1_3gpuE5ELNS1_3repE0EEENS1_30default_config_static_selectorELNS0_4arch9wavefront6targetE1EEEvT1_
; %bb.0:
	.section	.rodata,"a",@progbits
	.p2align	6, 0x0
	.amdhsa_kernel _ZN7rocprim17ROCPRIM_400000_NS6detail17trampoline_kernelINS0_14default_configENS1_20scan_config_selectorIsEEZZNS1_9scan_implILNS1_25lookback_scan_determinismE0ELb1ELb1ES3_N6thrust23THRUST_200600_302600_NS6detail15normal_iteratorINS9_10device_ptrIsEEEESE_sNS9_4plusIvEEsEEDaPvRmT3_T4_T5_mT6_P12ihipStream_tbENKUlT_T0_E_clISt17integral_constantIbLb1EEST_IbLb0EEEEDaSP_SQ_EUlSP_E_NS1_11comp_targetILNS1_3genE10ELNS1_11target_archE1201ELNS1_3gpuE5ELNS1_3repE0EEENS1_30default_config_static_selectorELNS0_4arch9wavefront6targetE1EEEvT1_
		.amdhsa_group_segment_fixed_size 0
		.amdhsa_private_segment_fixed_size 0
		.amdhsa_kernarg_size 96
		.amdhsa_user_sgpr_count 6
		.amdhsa_user_sgpr_private_segment_buffer 1
		.amdhsa_user_sgpr_dispatch_ptr 0
		.amdhsa_user_sgpr_queue_ptr 0
		.amdhsa_user_sgpr_kernarg_segment_ptr 1
		.amdhsa_user_sgpr_dispatch_id 0
		.amdhsa_user_sgpr_flat_scratch_init 0
		.amdhsa_user_sgpr_kernarg_preload_length 0
		.amdhsa_user_sgpr_kernarg_preload_offset 0
		.amdhsa_user_sgpr_private_segment_size 0
		.amdhsa_uses_dynamic_stack 0
		.amdhsa_system_sgpr_private_segment_wavefront_offset 0
		.amdhsa_system_sgpr_workgroup_id_x 1
		.amdhsa_system_sgpr_workgroup_id_y 0
		.amdhsa_system_sgpr_workgroup_id_z 0
		.amdhsa_system_sgpr_workgroup_info 0
		.amdhsa_system_vgpr_workitem_id 0
		.amdhsa_next_free_vgpr 1
		.amdhsa_next_free_sgpr 0
		.amdhsa_accum_offset 4
		.amdhsa_reserve_vcc 0
		.amdhsa_reserve_flat_scratch 0
		.amdhsa_float_round_mode_32 0
		.amdhsa_float_round_mode_16_64 0
		.amdhsa_float_denorm_mode_32 3
		.amdhsa_float_denorm_mode_16_64 3
		.amdhsa_dx10_clamp 1
		.amdhsa_ieee_mode 1
		.amdhsa_fp16_overflow 0
		.amdhsa_tg_split 0
		.amdhsa_exception_fp_ieee_invalid_op 0
		.amdhsa_exception_fp_denorm_src 0
		.amdhsa_exception_fp_ieee_div_zero 0
		.amdhsa_exception_fp_ieee_overflow 0
		.amdhsa_exception_fp_ieee_underflow 0
		.amdhsa_exception_fp_ieee_inexact 0
		.amdhsa_exception_int_div_zero 0
	.end_amdhsa_kernel
	.section	.text._ZN7rocprim17ROCPRIM_400000_NS6detail17trampoline_kernelINS0_14default_configENS1_20scan_config_selectorIsEEZZNS1_9scan_implILNS1_25lookback_scan_determinismE0ELb1ELb1ES3_N6thrust23THRUST_200600_302600_NS6detail15normal_iteratorINS9_10device_ptrIsEEEESE_sNS9_4plusIvEEsEEDaPvRmT3_T4_T5_mT6_P12ihipStream_tbENKUlT_T0_E_clISt17integral_constantIbLb1EEST_IbLb0EEEEDaSP_SQ_EUlSP_E_NS1_11comp_targetILNS1_3genE10ELNS1_11target_archE1201ELNS1_3gpuE5ELNS1_3repE0EEENS1_30default_config_static_selectorELNS0_4arch9wavefront6targetE1EEEvT1_,"axG",@progbits,_ZN7rocprim17ROCPRIM_400000_NS6detail17trampoline_kernelINS0_14default_configENS1_20scan_config_selectorIsEEZZNS1_9scan_implILNS1_25lookback_scan_determinismE0ELb1ELb1ES3_N6thrust23THRUST_200600_302600_NS6detail15normal_iteratorINS9_10device_ptrIsEEEESE_sNS9_4plusIvEEsEEDaPvRmT3_T4_T5_mT6_P12ihipStream_tbENKUlT_T0_E_clISt17integral_constantIbLb1EEST_IbLb0EEEEDaSP_SQ_EUlSP_E_NS1_11comp_targetILNS1_3genE10ELNS1_11target_archE1201ELNS1_3gpuE5ELNS1_3repE0EEENS1_30default_config_static_selectorELNS0_4arch9wavefront6targetE1EEEvT1_,comdat
.Lfunc_end1020:
	.size	_ZN7rocprim17ROCPRIM_400000_NS6detail17trampoline_kernelINS0_14default_configENS1_20scan_config_selectorIsEEZZNS1_9scan_implILNS1_25lookback_scan_determinismE0ELb1ELb1ES3_N6thrust23THRUST_200600_302600_NS6detail15normal_iteratorINS9_10device_ptrIsEEEESE_sNS9_4plusIvEEsEEDaPvRmT3_T4_T5_mT6_P12ihipStream_tbENKUlT_T0_E_clISt17integral_constantIbLb1EEST_IbLb0EEEEDaSP_SQ_EUlSP_E_NS1_11comp_targetILNS1_3genE10ELNS1_11target_archE1201ELNS1_3gpuE5ELNS1_3repE0EEENS1_30default_config_static_selectorELNS0_4arch9wavefront6targetE1EEEvT1_, .Lfunc_end1020-_ZN7rocprim17ROCPRIM_400000_NS6detail17trampoline_kernelINS0_14default_configENS1_20scan_config_selectorIsEEZZNS1_9scan_implILNS1_25lookback_scan_determinismE0ELb1ELb1ES3_N6thrust23THRUST_200600_302600_NS6detail15normal_iteratorINS9_10device_ptrIsEEEESE_sNS9_4plusIvEEsEEDaPvRmT3_T4_T5_mT6_P12ihipStream_tbENKUlT_T0_E_clISt17integral_constantIbLb1EEST_IbLb0EEEEDaSP_SQ_EUlSP_E_NS1_11comp_targetILNS1_3genE10ELNS1_11target_archE1201ELNS1_3gpuE5ELNS1_3repE0EEENS1_30default_config_static_selectorELNS0_4arch9wavefront6targetE1EEEvT1_
                                        ; -- End function
	.section	.AMDGPU.csdata,"",@progbits
; Kernel info:
; codeLenInByte = 0
; NumSgprs: 4
; NumVgprs: 0
; NumAgprs: 0
; TotalNumVgprs: 0
; ScratchSize: 0
; MemoryBound: 0
; FloatMode: 240
; IeeeMode: 1
; LDSByteSize: 0 bytes/workgroup (compile time only)
; SGPRBlocks: 0
; VGPRBlocks: 0
; NumSGPRsForWavesPerEU: 4
; NumVGPRsForWavesPerEU: 1
; AccumOffset: 4
; Occupancy: 8
; WaveLimiterHint : 0
; COMPUTE_PGM_RSRC2:SCRATCH_EN: 0
; COMPUTE_PGM_RSRC2:USER_SGPR: 6
; COMPUTE_PGM_RSRC2:TRAP_HANDLER: 0
; COMPUTE_PGM_RSRC2:TGID_X_EN: 1
; COMPUTE_PGM_RSRC2:TGID_Y_EN: 0
; COMPUTE_PGM_RSRC2:TGID_Z_EN: 0
; COMPUTE_PGM_RSRC2:TIDIG_COMP_CNT: 0
; COMPUTE_PGM_RSRC3_GFX90A:ACCUM_OFFSET: 0
; COMPUTE_PGM_RSRC3_GFX90A:TG_SPLIT: 0
	.section	.text._ZN7rocprim17ROCPRIM_400000_NS6detail17trampoline_kernelINS0_14default_configENS1_20scan_config_selectorIsEEZZNS1_9scan_implILNS1_25lookback_scan_determinismE0ELb1ELb1ES3_N6thrust23THRUST_200600_302600_NS6detail15normal_iteratorINS9_10device_ptrIsEEEESE_sNS9_4plusIvEEsEEDaPvRmT3_T4_T5_mT6_P12ihipStream_tbENKUlT_T0_E_clISt17integral_constantIbLb1EEST_IbLb0EEEEDaSP_SQ_EUlSP_E_NS1_11comp_targetILNS1_3genE10ELNS1_11target_archE1200ELNS1_3gpuE4ELNS1_3repE0EEENS1_30default_config_static_selectorELNS0_4arch9wavefront6targetE1EEEvT1_,"axG",@progbits,_ZN7rocprim17ROCPRIM_400000_NS6detail17trampoline_kernelINS0_14default_configENS1_20scan_config_selectorIsEEZZNS1_9scan_implILNS1_25lookback_scan_determinismE0ELb1ELb1ES3_N6thrust23THRUST_200600_302600_NS6detail15normal_iteratorINS9_10device_ptrIsEEEESE_sNS9_4plusIvEEsEEDaPvRmT3_T4_T5_mT6_P12ihipStream_tbENKUlT_T0_E_clISt17integral_constantIbLb1EEST_IbLb0EEEEDaSP_SQ_EUlSP_E_NS1_11comp_targetILNS1_3genE10ELNS1_11target_archE1200ELNS1_3gpuE4ELNS1_3repE0EEENS1_30default_config_static_selectorELNS0_4arch9wavefront6targetE1EEEvT1_,comdat
	.protected	_ZN7rocprim17ROCPRIM_400000_NS6detail17trampoline_kernelINS0_14default_configENS1_20scan_config_selectorIsEEZZNS1_9scan_implILNS1_25lookback_scan_determinismE0ELb1ELb1ES3_N6thrust23THRUST_200600_302600_NS6detail15normal_iteratorINS9_10device_ptrIsEEEESE_sNS9_4plusIvEEsEEDaPvRmT3_T4_T5_mT6_P12ihipStream_tbENKUlT_T0_E_clISt17integral_constantIbLb1EEST_IbLb0EEEEDaSP_SQ_EUlSP_E_NS1_11comp_targetILNS1_3genE10ELNS1_11target_archE1200ELNS1_3gpuE4ELNS1_3repE0EEENS1_30default_config_static_selectorELNS0_4arch9wavefront6targetE1EEEvT1_ ; -- Begin function _ZN7rocprim17ROCPRIM_400000_NS6detail17trampoline_kernelINS0_14default_configENS1_20scan_config_selectorIsEEZZNS1_9scan_implILNS1_25lookback_scan_determinismE0ELb1ELb1ES3_N6thrust23THRUST_200600_302600_NS6detail15normal_iteratorINS9_10device_ptrIsEEEESE_sNS9_4plusIvEEsEEDaPvRmT3_T4_T5_mT6_P12ihipStream_tbENKUlT_T0_E_clISt17integral_constantIbLb1EEST_IbLb0EEEEDaSP_SQ_EUlSP_E_NS1_11comp_targetILNS1_3genE10ELNS1_11target_archE1200ELNS1_3gpuE4ELNS1_3repE0EEENS1_30default_config_static_selectorELNS0_4arch9wavefront6targetE1EEEvT1_
	.globl	_ZN7rocprim17ROCPRIM_400000_NS6detail17trampoline_kernelINS0_14default_configENS1_20scan_config_selectorIsEEZZNS1_9scan_implILNS1_25lookback_scan_determinismE0ELb1ELb1ES3_N6thrust23THRUST_200600_302600_NS6detail15normal_iteratorINS9_10device_ptrIsEEEESE_sNS9_4plusIvEEsEEDaPvRmT3_T4_T5_mT6_P12ihipStream_tbENKUlT_T0_E_clISt17integral_constantIbLb1EEST_IbLb0EEEEDaSP_SQ_EUlSP_E_NS1_11comp_targetILNS1_3genE10ELNS1_11target_archE1200ELNS1_3gpuE4ELNS1_3repE0EEENS1_30default_config_static_selectorELNS0_4arch9wavefront6targetE1EEEvT1_
	.p2align	8
	.type	_ZN7rocprim17ROCPRIM_400000_NS6detail17trampoline_kernelINS0_14default_configENS1_20scan_config_selectorIsEEZZNS1_9scan_implILNS1_25lookback_scan_determinismE0ELb1ELb1ES3_N6thrust23THRUST_200600_302600_NS6detail15normal_iteratorINS9_10device_ptrIsEEEESE_sNS9_4plusIvEEsEEDaPvRmT3_T4_T5_mT6_P12ihipStream_tbENKUlT_T0_E_clISt17integral_constantIbLb1EEST_IbLb0EEEEDaSP_SQ_EUlSP_E_NS1_11comp_targetILNS1_3genE10ELNS1_11target_archE1200ELNS1_3gpuE4ELNS1_3repE0EEENS1_30default_config_static_selectorELNS0_4arch9wavefront6targetE1EEEvT1_,@function
_ZN7rocprim17ROCPRIM_400000_NS6detail17trampoline_kernelINS0_14default_configENS1_20scan_config_selectorIsEEZZNS1_9scan_implILNS1_25lookback_scan_determinismE0ELb1ELb1ES3_N6thrust23THRUST_200600_302600_NS6detail15normal_iteratorINS9_10device_ptrIsEEEESE_sNS9_4plusIvEEsEEDaPvRmT3_T4_T5_mT6_P12ihipStream_tbENKUlT_T0_E_clISt17integral_constantIbLb1EEST_IbLb0EEEEDaSP_SQ_EUlSP_E_NS1_11comp_targetILNS1_3genE10ELNS1_11target_archE1200ELNS1_3gpuE4ELNS1_3repE0EEENS1_30default_config_static_selectorELNS0_4arch9wavefront6targetE1EEEvT1_: ; @_ZN7rocprim17ROCPRIM_400000_NS6detail17trampoline_kernelINS0_14default_configENS1_20scan_config_selectorIsEEZZNS1_9scan_implILNS1_25lookback_scan_determinismE0ELb1ELb1ES3_N6thrust23THRUST_200600_302600_NS6detail15normal_iteratorINS9_10device_ptrIsEEEESE_sNS9_4plusIvEEsEEDaPvRmT3_T4_T5_mT6_P12ihipStream_tbENKUlT_T0_E_clISt17integral_constantIbLb1EEST_IbLb0EEEEDaSP_SQ_EUlSP_E_NS1_11comp_targetILNS1_3genE10ELNS1_11target_archE1200ELNS1_3gpuE4ELNS1_3repE0EEENS1_30default_config_static_selectorELNS0_4arch9wavefront6targetE1EEEvT1_
; %bb.0:
	.section	.rodata,"a",@progbits
	.p2align	6, 0x0
	.amdhsa_kernel _ZN7rocprim17ROCPRIM_400000_NS6detail17trampoline_kernelINS0_14default_configENS1_20scan_config_selectorIsEEZZNS1_9scan_implILNS1_25lookback_scan_determinismE0ELb1ELb1ES3_N6thrust23THRUST_200600_302600_NS6detail15normal_iteratorINS9_10device_ptrIsEEEESE_sNS9_4plusIvEEsEEDaPvRmT3_T4_T5_mT6_P12ihipStream_tbENKUlT_T0_E_clISt17integral_constantIbLb1EEST_IbLb0EEEEDaSP_SQ_EUlSP_E_NS1_11comp_targetILNS1_3genE10ELNS1_11target_archE1200ELNS1_3gpuE4ELNS1_3repE0EEENS1_30default_config_static_selectorELNS0_4arch9wavefront6targetE1EEEvT1_
		.amdhsa_group_segment_fixed_size 0
		.amdhsa_private_segment_fixed_size 0
		.amdhsa_kernarg_size 96
		.amdhsa_user_sgpr_count 6
		.amdhsa_user_sgpr_private_segment_buffer 1
		.amdhsa_user_sgpr_dispatch_ptr 0
		.amdhsa_user_sgpr_queue_ptr 0
		.amdhsa_user_sgpr_kernarg_segment_ptr 1
		.amdhsa_user_sgpr_dispatch_id 0
		.amdhsa_user_sgpr_flat_scratch_init 0
		.amdhsa_user_sgpr_kernarg_preload_length 0
		.amdhsa_user_sgpr_kernarg_preload_offset 0
		.amdhsa_user_sgpr_private_segment_size 0
		.amdhsa_uses_dynamic_stack 0
		.amdhsa_system_sgpr_private_segment_wavefront_offset 0
		.amdhsa_system_sgpr_workgroup_id_x 1
		.amdhsa_system_sgpr_workgroup_id_y 0
		.amdhsa_system_sgpr_workgroup_id_z 0
		.amdhsa_system_sgpr_workgroup_info 0
		.amdhsa_system_vgpr_workitem_id 0
		.amdhsa_next_free_vgpr 1
		.amdhsa_next_free_sgpr 0
		.amdhsa_accum_offset 4
		.amdhsa_reserve_vcc 0
		.amdhsa_reserve_flat_scratch 0
		.amdhsa_float_round_mode_32 0
		.amdhsa_float_round_mode_16_64 0
		.amdhsa_float_denorm_mode_32 3
		.amdhsa_float_denorm_mode_16_64 3
		.amdhsa_dx10_clamp 1
		.amdhsa_ieee_mode 1
		.amdhsa_fp16_overflow 0
		.amdhsa_tg_split 0
		.amdhsa_exception_fp_ieee_invalid_op 0
		.amdhsa_exception_fp_denorm_src 0
		.amdhsa_exception_fp_ieee_div_zero 0
		.amdhsa_exception_fp_ieee_overflow 0
		.amdhsa_exception_fp_ieee_underflow 0
		.amdhsa_exception_fp_ieee_inexact 0
		.amdhsa_exception_int_div_zero 0
	.end_amdhsa_kernel
	.section	.text._ZN7rocprim17ROCPRIM_400000_NS6detail17trampoline_kernelINS0_14default_configENS1_20scan_config_selectorIsEEZZNS1_9scan_implILNS1_25lookback_scan_determinismE0ELb1ELb1ES3_N6thrust23THRUST_200600_302600_NS6detail15normal_iteratorINS9_10device_ptrIsEEEESE_sNS9_4plusIvEEsEEDaPvRmT3_T4_T5_mT6_P12ihipStream_tbENKUlT_T0_E_clISt17integral_constantIbLb1EEST_IbLb0EEEEDaSP_SQ_EUlSP_E_NS1_11comp_targetILNS1_3genE10ELNS1_11target_archE1200ELNS1_3gpuE4ELNS1_3repE0EEENS1_30default_config_static_selectorELNS0_4arch9wavefront6targetE1EEEvT1_,"axG",@progbits,_ZN7rocprim17ROCPRIM_400000_NS6detail17trampoline_kernelINS0_14default_configENS1_20scan_config_selectorIsEEZZNS1_9scan_implILNS1_25lookback_scan_determinismE0ELb1ELb1ES3_N6thrust23THRUST_200600_302600_NS6detail15normal_iteratorINS9_10device_ptrIsEEEESE_sNS9_4plusIvEEsEEDaPvRmT3_T4_T5_mT6_P12ihipStream_tbENKUlT_T0_E_clISt17integral_constantIbLb1EEST_IbLb0EEEEDaSP_SQ_EUlSP_E_NS1_11comp_targetILNS1_3genE10ELNS1_11target_archE1200ELNS1_3gpuE4ELNS1_3repE0EEENS1_30default_config_static_selectorELNS0_4arch9wavefront6targetE1EEEvT1_,comdat
.Lfunc_end1021:
	.size	_ZN7rocprim17ROCPRIM_400000_NS6detail17trampoline_kernelINS0_14default_configENS1_20scan_config_selectorIsEEZZNS1_9scan_implILNS1_25lookback_scan_determinismE0ELb1ELb1ES3_N6thrust23THRUST_200600_302600_NS6detail15normal_iteratorINS9_10device_ptrIsEEEESE_sNS9_4plusIvEEsEEDaPvRmT3_T4_T5_mT6_P12ihipStream_tbENKUlT_T0_E_clISt17integral_constantIbLb1EEST_IbLb0EEEEDaSP_SQ_EUlSP_E_NS1_11comp_targetILNS1_3genE10ELNS1_11target_archE1200ELNS1_3gpuE4ELNS1_3repE0EEENS1_30default_config_static_selectorELNS0_4arch9wavefront6targetE1EEEvT1_, .Lfunc_end1021-_ZN7rocprim17ROCPRIM_400000_NS6detail17trampoline_kernelINS0_14default_configENS1_20scan_config_selectorIsEEZZNS1_9scan_implILNS1_25lookback_scan_determinismE0ELb1ELb1ES3_N6thrust23THRUST_200600_302600_NS6detail15normal_iteratorINS9_10device_ptrIsEEEESE_sNS9_4plusIvEEsEEDaPvRmT3_T4_T5_mT6_P12ihipStream_tbENKUlT_T0_E_clISt17integral_constantIbLb1EEST_IbLb0EEEEDaSP_SQ_EUlSP_E_NS1_11comp_targetILNS1_3genE10ELNS1_11target_archE1200ELNS1_3gpuE4ELNS1_3repE0EEENS1_30default_config_static_selectorELNS0_4arch9wavefront6targetE1EEEvT1_
                                        ; -- End function
	.section	.AMDGPU.csdata,"",@progbits
; Kernel info:
; codeLenInByte = 0
; NumSgprs: 4
; NumVgprs: 0
; NumAgprs: 0
; TotalNumVgprs: 0
; ScratchSize: 0
; MemoryBound: 0
; FloatMode: 240
; IeeeMode: 1
; LDSByteSize: 0 bytes/workgroup (compile time only)
; SGPRBlocks: 0
; VGPRBlocks: 0
; NumSGPRsForWavesPerEU: 4
; NumVGPRsForWavesPerEU: 1
; AccumOffset: 4
; Occupancy: 8
; WaveLimiterHint : 0
; COMPUTE_PGM_RSRC2:SCRATCH_EN: 0
; COMPUTE_PGM_RSRC2:USER_SGPR: 6
; COMPUTE_PGM_RSRC2:TRAP_HANDLER: 0
; COMPUTE_PGM_RSRC2:TGID_X_EN: 1
; COMPUTE_PGM_RSRC2:TGID_Y_EN: 0
; COMPUTE_PGM_RSRC2:TGID_Z_EN: 0
; COMPUTE_PGM_RSRC2:TIDIG_COMP_CNT: 0
; COMPUTE_PGM_RSRC3_GFX90A:ACCUM_OFFSET: 0
; COMPUTE_PGM_RSRC3_GFX90A:TG_SPLIT: 0
	.section	.text._ZN7rocprim17ROCPRIM_400000_NS6detail17trampoline_kernelINS0_14default_configENS1_20scan_config_selectorIsEEZZNS1_9scan_implILNS1_25lookback_scan_determinismE0ELb1ELb1ES3_N6thrust23THRUST_200600_302600_NS6detail15normal_iteratorINS9_10device_ptrIsEEEESE_sNS9_4plusIvEEsEEDaPvRmT3_T4_T5_mT6_P12ihipStream_tbENKUlT_T0_E_clISt17integral_constantIbLb1EEST_IbLb0EEEEDaSP_SQ_EUlSP_E_NS1_11comp_targetILNS1_3genE9ELNS1_11target_archE1100ELNS1_3gpuE3ELNS1_3repE0EEENS1_30default_config_static_selectorELNS0_4arch9wavefront6targetE1EEEvT1_,"axG",@progbits,_ZN7rocprim17ROCPRIM_400000_NS6detail17trampoline_kernelINS0_14default_configENS1_20scan_config_selectorIsEEZZNS1_9scan_implILNS1_25lookback_scan_determinismE0ELb1ELb1ES3_N6thrust23THRUST_200600_302600_NS6detail15normal_iteratorINS9_10device_ptrIsEEEESE_sNS9_4plusIvEEsEEDaPvRmT3_T4_T5_mT6_P12ihipStream_tbENKUlT_T0_E_clISt17integral_constantIbLb1EEST_IbLb0EEEEDaSP_SQ_EUlSP_E_NS1_11comp_targetILNS1_3genE9ELNS1_11target_archE1100ELNS1_3gpuE3ELNS1_3repE0EEENS1_30default_config_static_selectorELNS0_4arch9wavefront6targetE1EEEvT1_,comdat
	.protected	_ZN7rocprim17ROCPRIM_400000_NS6detail17trampoline_kernelINS0_14default_configENS1_20scan_config_selectorIsEEZZNS1_9scan_implILNS1_25lookback_scan_determinismE0ELb1ELb1ES3_N6thrust23THRUST_200600_302600_NS6detail15normal_iteratorINS9_10device_ptrIsEEEESE_sNS9_4plusIvEEsEEDaPvRmT3_T4_T5_mT6_P12ihipStream_tbENKUlT_T0_E_clISt17integral_constantIbLb1EEST_IbLb0EEEEDaSP_SQ_EUlSP_E_NS1_11comp_targetILNS1_3genE9ELNS1_11target_archE1100ELNS1_3gpuE3ELNS1_3repE0EEENS1_30default_config_static_selectorELNS0_4arch9wavefront6targetE1EEEvT1_ ; -- Begin function _ZN7rocprim17ROCPRIM_400000_NS6detail17trampoline_kernelINS0_14default_configENS1_20scan_config_selectorIsEEZZNS1_9scan_implILNS1_25lookback_scan_determinismE0ELb1ELb1ES3_N6thrust23THRUST_200600_302600_NS6detail15normal_iteratorINS9_10device_ptrIsEEEESE_sNS9_4plusIvEEsEEDaPvRmT3_T4_T5_mT6_P12ihipStream_tbENKUlT_T0_E_clISt17integral_constantIbLb1EEST_IbLb0EEEEDaSP_SQ_EUlSP_E_NS1_11comp_targetILNS1_3genE9ELNS1_11target_archE1100ELNS1_3gpuE3ELNS1_3repE0EEENS1_30default_config_static_selectorELNS0_4arch9wavefront6targetE1EEEvT1_
	.globl	_ZN7rocprim17ROCPRIM_400000_NS6detail17trampoline_kernelINS0_14default_configENS1_20scan_config_selectorIsEEZZNS1_9scan_implILNS1_25lookback_scan_determinismE0ELb1ELb1ES3_N6thrust23THRUST_200600_302600_NS6detail15normal_iteratorINS9_10device_ptrIsEEEESE_sNS9_4plusIvEEsEEDaPvRmT3_T4_T5_mT6_P12ihipStream_tbENKUlT_T0_E_clISt17integral_constantIbLb1EEST_IbLb0EEEEDaSP_SQ_EUlSP_E_NS1_11comp_targetILNS1_3genE9ELNS1_11target_archE1100ELNS1_3gpuE3ELNS1_3repE0EEENS1_30default_config_static_selectorELNS0_4arch9wavefront6targetE1EEEvT1_
	.p2align	8
	.type	_ZN7rocprim17ROCPRIM_400000_NS6detail17trampoline_kernelINS0_14default_configENS1_20scan_config_selectorIsEEZZNS1_9scan_implILNS1_25lookback_scan_determinismE0ELb1ELb1ES3_N6thrust23THRUST_200600_302600_NS6detail15normal_iteratorINS9_10device_ptrIsEEEESE_sNS9_4plusIvEEsEEDaPvRmT3_T4_T5_mT6_P12ihipStream_tbENKUlT_T0_E_clISt17integral_constantIbLb1EEST_IbLb0EEEEDaSP_SQ_EUlSP_E_NS1_11comp_targetILNS1_3genE9ELNS1_11target_archE1100ELNS1_3gpuE3ELNS1_3repE0EEENS1_30default_config_static_selectorELNS0_4arch9wavefront6targetE1EEEvT1_,@function
_ZN7rocprim17ROCPRIM_400000_NS6detail17trampoline_kernelINS0_14default_configENS1_20scan_config_selectorIsEEZZNS1_9scan_implILNS1_25lookback_scan_determinismE0ELb1ELb1ES3_N6thrust23THRUST_200600_302600_NS6detail15normal_iteratorINS9_10device_ptrIsEEEESE_sNS9_4plusIvEEsEEDaPvRmT3_T4_T5_mT6_P12ihipStream_tbENKUlT_T0_E_clISt17integral_constantIbLb1EEST_IbLb0EEEEDaSP_SQ_EUlSP_E_NS1_11comp_targetILNS1_3genE9ELNS1_11target_archE1100ELNS1_3gpuE3ELNS1_3repE0EEENS1_30default_config_static_selectorELNS0_4arch9wavefront6targetE1EEEvT1_: ; @_ZN7rocprim17ROCPRIM_400000_NS6detail17trampoline_kernelINS0_14default_configENS1_20scan_config_selectorIsEEZZNS1_9scan_implILNS1_25lookback_scan_determinismE0ELb1ELb1ES3_N6thrust23THRUST_200600_302600_NS6detail15normal_iteratorINS9_10device_ptrIsEEEESE_sNS9_4plusIvEEsEEDaPvRmT3_T4_T5_mT6_P12ihipStream_tbENKUlT_T0_E_clISt17integral_constantIbLb1EEST_IbLb0EEEEDaSP_SQ_EUlSP_E_NS1_11comp_targetILNS1_3genE9ELNS1_11target_archE1100ELNS1_3gpuE3ELNS1_3repE0EEENS1_30default_config_static_selectorELNS0_4arch9wavefront6targetE1EEEvT1_
; %bb.0:
	.section	.rodata,"a",@progbits
	.p2align	6, 0x0
	.amdhsa_kernel _ZN7rocprim17ROCPRIM_400000_NS6detail17trampoline_kernelINS0_14default_configENS1_20scan_config_selectorIsEEZZNS1_9scan_implILNS1_25lookback_scan_determinismE0ELb1ELb1ES3_N6thrust23THRUST_200600_302600_NS6detail15normal_iteratorINS9_10device_ptrIsEEEESE_sNS9_4plusIvEEsEEDaPvRmT3_T4_T5_mT6_P12ihipStream_tbENKUlT_T0_E_clISt17integral_constantIbLb1EEST_IbLb0EEEEDaSP_SQ_EUlSP_E_NS1_11comp_targetILNS1_3genE9ELNS1_11target_archE1100ELNS1_3gpuE3ELNS1_3repE0EEENS1_30default_config_static_selectorELNS0_4arch9wavefront6targetE1EEEvT1_
		.amdhsa_group_segment_fixed_size 0
		.amdhsa_private_segment_fixed_size 0
		.amdhsa_kernarg_size 96
		.amdhsa_user_sgpr_count 6
		.amdhsa_user_sgpr_private_segment_buffer 1
		.amdhsa_user_sgpr_dispatch_ptr 0
		.amdhsa_user_sgpr_queue_ptr 0
		.amdhsa_user_sgpr_kernarg_segment_ptr 1
		.amdhsa_user_sgpr_dispatch_id 0
		.amdhsa_user_sgpr_flat_scratch_init 0
		.amdhsa_user_sgpr_kernarg_preload_length 0
		.amdhsa_user_sgpr_kernarg_preload_offset 0
		.amdhsa_user_sgpr_private_segment_size 0
		.amdhsa_uses_dynamic_stack 0
		.amdhsa_system_sgpr_private_segment_wavefront_offset 0
		.amdhsa_system_sgpr_workgroup_id_x 1
		.amdhsa_system_sgpr_workgroup_id_y 0
		.amdhsa_system_sgpr_workgroup_id_z 0
		.amdhsa_system_sgpr_workgroup_info 0
		.amdhsa_system_vgpr_workitem_id 0
		.amdhsa_next_free_vgpr 1
		.amdhsa_next_free_sgpr 0
		.amdhsa_accum_offset 4
		.amdhsa_reserve_vcc 0
		.amdhsa_reserve_flat_scratch 0
		.amdhsa_float_round_mode_32 0
		.amdhsa_float_round_mode_16_64 0
		.amdhsa_float_denorm_mode_32 3
		.amdhsa_float_denorm_mode_16_64 3
		.amdhsa_dx10_clamp 1
		.amdhsa_ieee_mode 1
		.amdhsa_fp16_overflow 0
		.amdhsa_tg_split 0
		.amdhsa_exception_fp_ieee_invalid_op 0
		.amdhsa_exception_fp_denorm_src 0
		.amdhsa_exception_fp_ieee_div_zero 0
		.amdhsa_exception_fp_ieee_overflow 0
		.amdhsa_exception_fp_ieee_underflow 0
		.amdhsa_exception_fp_ieee_inexact 0
		.amdhsa_exception_int_div_zero 0
	.end_amdhsa_kernel
	.section	.text._ZN7rocprim17ROCPRIM_400000_NS6detail17trampoline_kernelINS0_14default_configENS1_20scan_config_selectorIsEEZZNS1_9scan_implILNS1_25lookback_scan_determinismE0ELb1ELb1ES3_N6thrust23THRUST_200600_302600_NS6detail15normal_iteratorINS9_10device_ptrIsEEEESE_sNS9_4plusIvEEsEEDaPvRmT3_T4_T5_mT6_P12ihipStream_tbENKUlT_T0_E_clISt17integral_constantIbLb1EEST_IbLb0EEEEDaSP_SQ_EUlSP_E_NS1_11comp_targetILNS1_3genE9ELNS1_11target_archE1100ELNS1_3gpuE3ELNS1_3repE0EEENS1_30default_config_static_selectorELNS0_4arch9wavefront6targetE1EEEvT1_,"axG",@progbits,_ZN7rocprim17ROCPRIM_400000_NS6detail17trampoline_kernelINS0_14default_configENS1_20scan_config_selectorIsEEZZNS1_9scan_implILNS1_25lookback_scan_determinismE0ELb1ELb1ES3_N6thrust23THRUST_200600_302600_NS6detail15normal_iteratorINS9_10device_ptrIsEEEESE_sNS9_4plusIvEEsEEDaPvRmT3_T4_T5_mT6_P12ihipStream_tbENKUlT_T0_E_clISt17integral_constantIbLb1EEST_IbLb0EEEEDaSP_SQ_EUlSP_E_NS1_11comp_targetILNS1_3genE9ELNS1_11target_archE1100ELNS1_3gpuE3ELNS1_3repE0EEENS1_30default_config_static_selectorELNS0_4arch9wavefront6targetE1EEEvT1_,comdat
.Lfunc_end1022:
	.size	_ZN7rocprim17ROCPRIM_400000_NS6detail17trampoline_kernelINS0_14default_configENS1_20scan_config_selectorIsEEZZNS1_9scan_implILNS1_25lookback_scan_determinismE0ELb1ELb1ES3_N6thrust23THRUST_200600_302600_NS6detail15normal_iteratorINS9_10device_ptrIsEEEESE_sNS9_4plusIvEEsEEDaPvRmT3_T4_T5_mT6_P12ihipStream_tbENKUlT_T0_E_clISt17integral_constantIbLb1EEST_IbLb0EEEEDaSP_SQ_EUlSP_E_NS1_11comp_targetILNS1_3genE9ELNS1_11target_archE1100ELNS1_3gpuE3ELNS1_3repE0EEENS1_30default_config_static_selectorELNS0_4arch9wavefront6targetE1EEEvT1_, .Lfunc_end1022-_ZN7rocprim17ROCPRIM_400000_NS6detail17trampoline_kernelINS0_14default_configENS1_20scan_config_selectorIsEEZZNS1_9scan_implILNS1_25lookback_scan_determinismE0ELb1ELb1ES3_N6thrust23THRUST_200600_302600_NS6detail15normal_iteratorINS9_10device_ptrIsEEEESE_sNS9_4plusIvEEsEEDaPvRmT3_T4_T5_mT6_P12ihipStream_tbENKUlT_T0_E_clISt17integral_constantIbLb1EEST_IbLb0EEEEDaSP_SQ_EUlSP_E_NS1_11comp_targetILNS1_3genE9ELNS1_11target_archE1100ELNS1_3gpuE3ELNS1_3repE0EEENS1_30default_config_static_selectorELNS0_4arch9wavefront6targetE1EEEvT1_
                                        ; -- End function
	.section	.AMDGPU.csdata,"",@progbits
; Kernel info:
; codeLenInByte = 0
; NumSgprs: 4
; NumVgprs: 0
; NumAgprs: 0
; TotalNumVgprs: 0
; ScratchSize: 0
; MemoryBound: 0
; FloatMode: 240
; IeeeMode: 1
; LDSByteSize: 0 bytes/workgroup (compile time only)
; SGPRBlocks: 0
; VGPRBlocks: 0
; NumSGPRsForWavesPerEU: 4
; NumVGPRsForWavesPerEU: 1
; AccumOffset: 4
; Occupancy: 8
; WaveLimiterHint : 0
; COMPUTE_PGM_RSRC2:SCRATCH_EN: 0
; COMPUTE_PGM_RSRC2:USER_SGPR: 6
; COMPUTE_PGM_RSRC2:TRAP_HANDLER: 0
; COMPUTE_PGM_RSRC2:TGID_X_EN: 1
; COMPUTE_PGM_RSRC2:TGID_Y_EN: 0
; COMPUTE_PGM_RSRC2:TGID_Z_EN: 0
; COMPUTE_PGM_RSRC2:TIDIG_COMP_CNT: 0
; COMPUTE_PGM_RSRC3_GFX90A:ACCUM_OFFSET: 0
; COMPUTE_PGM_RSRC3_GFX90A:TG_SPLIT: 0
	.section	.text._ZN7rocprim17ROCPRIM_400000_NS6detail17trampoline_kernelINS0_14default_configENS1_20scan_config_selectorIsEEZZNS1_9scan_implILNS1_25lookback_scan_determinismE0ELb1ELb1ES3_N6thrust23THRUST_200600_302600_NS6detail15normal_iteratorINS9_10device_ptrIsEEEESE_sNS9_4plusIvEEsEEDaPvRmT3_T4_T5_mT6_P12ihipStream_tbENKUlT_T0_E_clISt17integral_constantIbLb1EEST_IbLb0EEEEDaSP_SQ_EUlSP_E_NS1_11comp_targetILNS1_3genE8ELNS1_11target_archE1030ELNS1_3gpuE2ELNS1_3repE0EEENS1_30default_config_static_selectorELNS0_4arch9wavefront6targetE1EEEvT1_,"axG",@progbits,_ZN7rocprim17ROCPRIM_400000_NS6detail17trampoline_kernelINS0_14default_configENS1_20scan_config_selectorIsEEZZNS1_9scan_implILNS1_25lookback_scan_determinismE0ELb1ELb1ES3_N6thrust23THRUST_200600_302600_NS6detail15normal_iteratorINS9_10device_ptrIsEEEESE_sNS9_4plusIvEEsEEDaPvRmT3_T4_T5_mT6_P12ihipStream_tbENKUlT_T0_E_clISt17integral_constantIbLb1EEST_IbLb0EEEEDaSP_SQ_EUlSP_E_NS1_11comp_targetILNS1_3genE8ELNS1_11target_archE1030ELNS1_3gpuE2ELNS1_3repE0EEENS1_30default_config_static_selectorELNS0_4arch9wavefront6targetE1EEEvT1_,comdat
	.protected	_ZN7rocprim17ROCPRIM_400000_NS6detail17trampoline_kernelINS0_14default_configENS1_20scan_config_selectorIsEEZZNS1_9scan_implILNS1_25lookback_scan_determinismE0ELb1ELb1ES3_N6thrust23THRUST_200600_302600_NS6detail15normal_iteratorINS9_10device_ptrIsEEEESE_sNS9_4plusIvEEsEEDaPvRmT3_T4_T5_mT6_P12ihipStream_tbENKUlT_T0_E_clISt17integral_constantIbLb1EEST_IbLb0EEEEDaSP_SQ_EUlSP_E_NS1_11comp_targetILNS1_3genE8ELNS1_11target_archE1030ELNS1_3gpuE2ELNS1_3repE0EEENS1_30default_config_static_selectorELNS0_4arch9wavefront6targetE1EEEvT1_ ; -- Begin function _ZN7rocprim17ROCPRIM_400000_NS6detail17trampoline_kernelINS0_14default_configENS1_20scan_config_selectorIsEEZZNS1_9scan_implILNS1_25lookback_scan_determinismE0ELb1ELb1ES3_N6thrust23THRUST_200600_302600_NS6detail15normal_iteratorINS9_10device_ptrIsEEEESE_sNS9_4plusIvEEsEEDaPvRmT3_T4_T5_mT6_P12ihipStream_tbENKUlT_T0_E_clISt17integral_constantIbLb1EEST_IbLb0EEEEDaSP_SQ_EUlSP_E_NS1_11comp_targetILNS1_3genE8ELNS1_11target_archE1030ELNS1_3gpuE2ELNS1_3repE0EEENS1_30default_config_static_selectorELNS0_4arch9wavefront6targetE1EEEvT1_
	.globl	_ZN7rocprim17ROCPRIM_400000_NS6detail17trampoline_kernelINS0_14default_configENS1_20scan_config_selectorIsEEZZNS1_9scan_implILNS1_25lookback_scan_determinismE0ELb1ELb1ES3_N6thrust23THRUST_200600_302600_NS6detail15normal_iteratorINS9_10device_ptrIsEEEESE_sNS9_4plusIvEEsEEDaPvRmT3_T4_T5_mT6_P12ihipStream_tbENKUlT_T0_E_clISt17integral_constantIbLb1EEST_IbLb0EEEEDaSP_SQ_EUlSP_E_NS1_11comp_targetILNS1_3genE8ELNS1_11target_archE1030ELNS1_3gpuE2ELNS1_3repE0EEENS1_30default_config_static_selectorELNS0_4arch9wavefront6targetE1EEEvT1_
	.p2align	8
	.type	_ZN7rocprim17ROCPRIM_400000_NS6detail17trampoline_kernelINS0_14default_configENS1_20scan_config_selectorIsEEZZNS1_9scan_implILNS1_25lookback_scan_determinismE0ELb1ELb1ES3_N6thrust23THRUST_200600_302600_NS6detail15normal_iteratorINS9_10device_ptrIsEEEESE_sNS9_4plusIvEEsEEDaPvRmT3_T4_T5_mT6_P12ihipStream_tbENKUlT_T0_E_clISt17integral_constantIbLb1EEST_IbLb0EEEEDaSP_SQ_EUlSP_E_NS1_11comp_targetILNS1_3genE8ELNS1_11target_archE1030ELNS1_3gpuE2ELNS1_3repE0EEENS1_30default_config_static_selectorELNS0_4arch9wavefront6targetE1EEEvT1_,@function
_ZN7rocprim17ROCPRIM_400000_NS6detail17trampoline_kernelINS0_14default_configENS1_20scan_config_selectorIsEEZZNS1_9scan_implILNS1_25lookback_scan_determinismE0ELb1ELb1ES3_N6thrust23THRUST_200600_302600_NS6detail15normal_iteratorINS9_10device_ptrIsEEEESE_sNS9_4plusIvEEsEEDaPvRmT3_T4_T5_mT6_P12ihipStream_tbENKUlT_T0_E_clISt17integral_constantIbLb1EEST_IbLb0EEEEDaSP_SQ_EUlSP_E_NS1_11comp_targetILNS1_3genE8ELNS1_11target_archE1030ELNS1_3gpuE2ELNS1_3repE0EEENS1_30default_config_static_selectorELNS0_4arch9wavefront6targetE1EEEvT1_: ; @_ZN7rocprim17ROCPRIM_400000_NS6detail17trampoline_kernelINS0_14default_configENS1_20scan_config_selectorIsEEZZNS1_9scan_implILNS1_25lookback_scan_determinismE0ELb1ELb1ES3_N6thrust23THRUST_200600_302600_NS6detail15normal_iteratorINS9_10device_ptrIsEEEESE_sNS9_4plusIvEEsEEDaPvRmT3_T4_T5_mT6_P12ihipStream_tbENKUlT_T0_E_clISt17integral_constantIbLb1EEST_IbLb0EEEEDaSP_SQ_EUlSP_E_NS1_11comp_targetILNS1_3genE8ELNS1_11target_archE1030ELNS1_3gpuE2ELNS1_3repE0EEENS1_30default_config_static_selectorELNS0_4arch9wavefront6targetE1EEEvT1_
; %bb.0:
	.section	.rodata,"a",@progbits
	.p2align	6, 0x0
	.amdhsa_kernel _ZN7rocprim17ROCPRIM_400000_NS6detail17trampoline_kernelINS0_14default_configENS1_20scan_config_selectorIsEEZZNS1_9scan_implILNS1_25lookback_scan_determinismE0ELb1ELb1ES3_N6thrust23THRUST_200600_302600_NS6detail15normal_iteratorINS9_10device_ptrIsEEEESE_sNS9_4plusIvEEsEEDaPvRmT3_T4_T5_mT6_P12ihipStream_tbENKUlT_T0_E_clISt17integral_constantIbLb1EEST_IbLb0EEEEDaSP_SQ_EUlSP_E_NS1_11comp_targetILNS1_3genE8ELNS1_11target_archE1030ELNS1_3gpuE2ELNS1_3repE0EEENS1_30default_config_static_selectorELNS0_4arch9wavefront6targetE1EEEvT1_
		.amdhsa_group_segment_fixed_size 0
		.amdhsa_private_segment_fixed_size 0
		.amdhsa_kernarg_size 96
		.amdhsa_user_sgpr_count 6
		.amdhsa_user_sgpr_private_segment_buffer 1
		.amdhsa_user_sgpr_dispatch_ptr 0
		.amdhsa_user_sgpr_queue_ptr 0
		.amdhsa_user_sgpr_kernarg_segment_ptr 1
		.amdhsa_user_sgpr_dispatch_id 0
		.amdhsa_user_sgpr_flat_scratch_init 0
		.amdhsa_user_sgpr_kernarg_preload_length 0
		.amdhsa_user_sgpr_kernarg_preload_offset 0
		.amdhsa_user_sgpr_private_segment_size 0
		.amdhsa_uses_dynamic_stack 0
		.amdhsa_system_sgpr_private_segment_wavefront_offset 0
		.amdhsa_system_sgpr_workgroup_id_x 1
		.amdhsa_system_sgpr_workgroup_id_y 0
		.amdhsa_system_sgpr_workgroup_id_z 0
		.amdhsa_system_sgpr_workgroup_info 0
		.amdhsa_system_vgpr_workitem_id 0
		.amdhsa_next_free_vgpr 1
		.amdhsa_next_free_sgpr 0
		.amdhsa_accum_offset 4
		.amdhsa_reserve_vcc 0
		.amdhsa_reserve_flat_scratch 0
		.amdhsa_float_round_mode_32 0
		.amdhsa_float_round_mode_16_64 0
		.amdhsa_float_denorm_mode_32 3
		.amdhsa_float_denorm_mode_16_64 3
		.amdhsa_dx10_clamp 1
		.amdhsa_ieee_mode 1
		.amdhsa_fp16_overflow 0
		.amdhsa_tg_split 0
		.amdhsa_exception_fp_ieee_invalid_op 0
		.amdhsa_exception_fp_denorm_src 0
		.amdhsa_exception_fp_ieee_div_zero 0
		.amdhsa_exception_fp_ieee_overflow 0
		.amdhsa_exception_fp_ieee_underflow 0
		.amdhsa_exception_fp_ieee_inexact 0
		.amdhsa_exception_int_div_zero 0
	.end_amdhsa_kernel
	.section	.text._ZN7rocprim17ROCPRIM_400000_NS6detail17trampoline_kernelINS0_14default_configENS1_20scan_config_selectorIsEEZZNS1_9scan_implILNS1_25lookback_scan_determinismE0ELb1ELb1ES3_N6thrust23THRUST_200600_302600_NS6detail15normal_iteratorINS9_10device_ptrIsEEEESE_sNS9_4plusIvEEsEEDaPvRmT3_T4_T5_mT6_P12ihipStream_tbENKUlT_T0_E_clISt17integral_constantIbLb1EEST_IbLb0EEEEDaSP_SQ_EUlSP_E_NS1_11comp_targetILNS1_3genE8ELNS1_11target_archE1030ELNS1_3gpuE2ELNS1_3repE0EEENS1_30default_config_static_selectorELNS0_4arch9wavefront6targetE1EEEvT1_,"axG",@progbits,_ZN7rocprim17ROCPRIM_400000_NS6detail17trampoline_kernelINS0_14default_configENS1_20scan_config_selectorIsEEZZNS1_9scan_implILNS1_25lookback_scan_determinismE0ELb1ELb1ES3_N6thrust23THRUST_200600_302600_NS6detail15normal_iteratorINS9_10device_ptrIsEEEESE_sNS9_4plusIvEEsEEDaPvRmT3_T4_T5_mT6_P12ihipStream_tbENKUlT_T0_E_clISt17integral_constantIbLb1EEST_IbLb0EEEEDaSP_SQ_EUlSP_E_NS1_11comp_targetILNS1_3genE8ELNS1_11target_archE1030ELNS1_3gpuE2ELNS1_3repE0EEENS1_30default_config_static_selectorELNS0_4arch9wavefront6targetE1EEEvT1_,comdat
.Lfunc_end1023:
	.size	_ZN7rocprim17ROCPRIM_400000_NS6detail17trampoline_kernelINS0_14default_configENS1_20scan_config_selectorIsEEZZNS1_9scan_implILNS1_25lookback_scan_determinismE0ELb1ELb1ES3_N6thrust23THRUST_200600_302600_NS6detail15normal_iteratorINS9_10device_ptrIsEEEESE_sNS9_4plusIvEEsEEDaPvRmT3_T4_T5_mT6_P12ihipStream_tbENKUlT_T0_E_clISt17integral_constantIbLb1EEST_IbLb0EEEEDaSP_SQ_EUlSP_E_NS1_11comp_targetILNS1_3genE8ELNS1_11target_archE1030ELNS1_3gpuE2ELNS1_3repE0EEENS1_30default_config_static_selectorELNS0_4arch9wavefront6targetE1EEEvT1_, .Lfunc_end1023-_ZN7rocprim17ROCPRIM_400000_NS6detail17trampoline_kernelINS0_14default_configENS1_20scan_config_selectorIsEEZZNS1_9scan_implILNS1_25lookback_scan_determinismE0ELb1ELb1ES3_N6thrust23THRUST_200600_302600_NS6detail15normal_iteratorINS9_10device_ptrIsEEEESE_sNS9_4plusIvEEsEEDaPvRmT3_T4_T5_mT6_P12ihipStream_tbENKUlT_T0_E_clISt17integral_constantIbLb1EEST_IbLb0EEEEDaSP_SQ_EUlSP_E_NS1_11comp_targetILNS1_3genE8ELNS1_11target_archE1030ELNS1_3gpuE2ELNS1_3repE0EEENS1_30default_config_static_selectorELNS0_4arch9wavefront6targetE1EEEvT1_
                                        ; -- End function
	.section	.AMDGPU.csdata,"",@progbits
; Kernel info:
; codeLenInByte = 0
; NumSgprs: 4
; NumVgprs: 0
; NumAgprs: 0
; TotalNumVgprs: 0
; ScratchSize: 0
; MemoryBound: 0
; FloatMode: 240
; IeeeMode: 1
; LDSByteSize: 0 bytes/workgroup (compile time only)
; SGPRBlocks: 0
; VGPRBlocks: 0
; NumSGPRsForWavesPerEU: 4
; NumVGPRsForWavesPerEU: 1
; AccumOffset: 4
; Occupancy: 8
; WaveLimiterHint : 0
; COMPUTE_PGM_RSRC2:SCRATCH_EN: 0
; COMPUTE_PGM_RSRC2:USER_SGPR: 6
; COMPUTE_PGM_RSRC2:TRAP_HANDLER: 0
; COMPUTE_PGM_RSRC2:TGID_X_EN: 1
; COMPUTE_PGM_RSRC2:TGID_Y_EN: 0
; COMPUTE_PGM_RSRC2:TGID_Z_EN: 0
; COMPUTE_PGM_RSRC2:TIDIG_COMP_CNT: 0
; COMPUTE_PGM_RSRC3_GFX90A:ACCUM_OFFSET: 0
; COMPUTE_PGM_RSRC3_GFX90A:TG_SPLIT: 0
	.section	.text._ZN7rocprim17ROCPRIM_400000_NS6detail17trampoline_kernelINS0_14default_configENS1_20scan_config_selectorIsEEZZNS1_9scan_implILNS1_25lookback_scan_determinismE0ELb1ELb1ES3_N6thrust23THRUST_200600_302600_NS6detail15normal_iteratorINS9_10device_ptrIsEEEESE_sNS9_4plusIvEEsEEDaPvRmT3_T4_T5_mT6_P12ihipStream_tbENKUlT_T0_E_clISt17integral_constantIbLb1EEST_IbLb0EEEEDaSP_SQ_EUlSP_E0_NS1_11comp_targetILNS1_3genE0ELNS1_11target_archE4294967295ELNS1_3gpuE0ELNS1_3repE0EEENS1_30default_config_static_selectorELNS0_4arch9wavefront6targetE1EEEvT1_,"axG",@progbits,_ZN7rocprim17ROCPRIM_400000_NS6detail17trampoline_kernelINS0_14default_configENS1_20scan_config_selectorIsEEZZNS1_9scan_implILNS1_25lookback_scan_determinismE0ELb1ELb1ES3_N6thrust23THRUST_200600_302600_NS6detail15normal_iteratorINS9_10device_ptrIsEEEESE_sNS9_4plusIvEEsEEDaPvRmT3_T4_T5_mT6_P12ihipStream_tbENKUlT_T0_E_clISt17integral_constantIbLb1EEST_IbLb0EEEEDaSP_SQ_EUlSP_E0_NS1_11comp_targetILNS1_3genE0ELNS1_11target_archE4294967295ELNS1_3gpuE0ELNS1_3repE0EEENS1_30default_config_static_selectorELNS0_4arch9wavefront6targetE1EEEvT1_,comdat
	.protected	_ZN7rocprim17ROCPRIM_400000_NS6detail17trampoline_kernelINS0_14default_configENS1_20scan_config_selectorIsEEZZNS1_9scan_implILNS1_25lookback_scan_determinismE0ELb1ELb1ES3_N6thrust23THRUST_200600_302600_NS6detail15normal_iteratorINS9_10device_ptrIsEEEESE_sNS9_4plusIvEEsEEDaPvRmT3_T4_T5_mT6_P12ihipStream_tbENKUlT_T0_E_clISt17integral_constantIbLb1EEST_IbLb0EEEEDaSP_SQ_EUlSP_E0_NS1_11comp_targetILNS1_3genE0ELNS1_11target_archE4294967295ELNS1_3gpuE0ELNS1_3repE0EEENS1_30default_config_static_selectorELNS0_4arch9wavefront6targetE1EEEvT1_ ; -- Begin function _ZN7rocprim17ROCPRIM_400000_NS6detail17trampoline_kernelINS0_14default_configENS1_20scan_config_selectorIsEEZZNS1_9scan_implILNS1_25lookback_scan_determinismE0ELb1ELb1ES3_N6thrust23THRUST_200600_302600_NS6detail15normal_iteratorINS9_10device_ptrIsEEEESE_sNS9_4plusIvEEsEEDaPvRmT3_T4_T5_mT6_P12ihipStream_tbENKUlT_T0_E_clISt17integral_constantIbLb1EEST_IbLb0EEEEDaSP_SQ_EUlSP_E0_NS1_11comp_targetILNS1_3genE0ELNS1_11target_archE4294967295ELNS1_3gpuE0ELNS1_3repE0EEENS1_30default_config_static_selectorELNS0_4arch9wavefront6targetE1EEEvT1_
	.globl	_ZN7rocprim17ROCPRIM_400000_NS6detail17trampoline_kernelINS0_14default_configENS1_20scan_config_selectorIsEEZZNS1_9scan_implILNS1_25lookback_scan_determinismE0ELb1ELb1ES3_N6thrust23THRUST_200600_302600_NS6detail15normal_iteratorINS9_10device_ptrIsEEEESE_sNS9_4plusIvEEsEEDaPvRmT3_T4_T5_mT6_P12ihipStream_tbENKUlT_T0_E_clISt17integral_constantIbLb1EEST_IbLb0EEEEDaSP_SQ_EUlSP_E0_NS1_11comp_targetILNS1_3genE0ELNS1_11target_archE4294967295ELNS1_3gpuE0ELNS1_3repE0EEENS1_30default_config_static_selectorELNS0_4arch9wavefront6targetE1EEEvT1_
	.p2align	8
	.type	_ZN7rocprim17ROCPRIM_400000_NS6detail17trampoline_kernelINS0_14default_configENS1_20scan_config_selectorIsEEZZNS1_9scan_implILNS1_25lookback_scan_determinismE0ELb1ELb1ES3_N6thrust23THRUST_200600_302600_NS6detail15normal_iteratorINS9_10device_ptrIsEEEESE_sNS9_4plusIvEEsEEDaPvRmT3_T4_T5_mT6_P12ihipStream_tbENKUlT_T0_E_clISt17integral_constantIbLb1EEST_IbLb0EEEEDaSP_SQ_EUlSP_E0_NS1_11comp_targetILNS1_3genE0ELNS1_11target_archE4294967295ELNS1_3gpuE0ELNS1_3repE0EEENS1_30default_config_static_selectorELNS0_4arch9wavefront6targetE1EEEvT1_,@function
_ZN7rocprim17ROCPRIM_400000_NS6detail17trampoline_kernelINS0_14default_configENS1_20scan_config_selectorIsEEZZNS1_9scan_implILNS1_25lookback_scan_determinismE0ELb1ELb1ES3_N6thrust23THRUST_200600_302600_NS6detail15normal_iteratorINS9_10device_ptrIsEEEESE_sNS9_4plusIvEEsEEDaPvRmT3_T4_T5_mT6_P12ihipStream_tbENKUlT_T0_E_clISt17integral_constantIbLb1EEST_IbLb0EEEEDaSP_SQ_EUlSP_E0_NS1_11comp_targetILNS1_3genE0ELNS1_11target_archE4294967295ELNS1_3gpuE0ELNS1_3repE0EEENS1_30default_config_static_selectorELNS0_4arch9wavefront6targetE1EEEvT1_: ; @_ZN7rocprim17ROCPRIM_400000_NS6detail17trampoline_kernelINS0_14default_configENS1_20scan_config_selectorIsEEZZNS1_9scan_implILNS1_25lookback_scan_determinismE0ELb1ELb1ES3_N6thrust23THRUST_200600_302600_NS6detail15normal_iteratorINS9_10device_ptrIsEEEESE_sNS9_4plusIvEEsEEDaPvRmT3_T4_T5_mT6_P12ihipStream_tbENKUlT_T0_E_clISt17integral_constantIbLb1EEST_IbLb0EEEEDaSP_SQ_EUlSP_E0_NS1_11comp_targetILNS1_3genE0ELNS1_11target_archE4294967295ELNS1_3gpuE0ELNS1_3repE0EEENS1_30default_config_static_selectorELNS0_4arch9wavefront6targetE1EEEvT1_
; %bb.0:
	.section	.rodata,"a",@progbits
	.p2align	6, 0x0
	.amdhsa_kernel _ZN7rocprim17ROCPRIM_400000_NS6detail17trampoline_kernelINS0_14default_configENS1_20scan_config_selectorIsEEZZNS1_9scan_implILNS1_25lookback_scan_determinismE0ELb1ELb1ES3_N6thrust23THRUST_200600_302600_NS6detail15normal_iteratorINS9_10device_ptrIsEEEESE_sNS9_4plusIvEEsEEDaPvRmT3_T4_T5_mT6_P12ihipStream_tbENKUlT_T0_E_clISt17integral_constantIbLb1EEST_IbLb0EEEEDaSP_SQ_EUlSP_E0_NS1_11comp_targetILNS1_3genE0ELNS1_11target_archE4294967295ELNS1_3gpuE0ELNS1_3repE0EEENS1_30default_config_static_selectorELNS0_4arch9wavefront6targetE1EEEvT1_
		.amdhsa_group_segment_fixed_size 0
		.amdhsa_private_segment_fixed_size 0
		.amdhsa_kernarg_size 32
		.amdhsa_user_sgpr_count 6
		.amdhsa_user_sgpr_private_segment_buffer 1
		.amdhsa_user_sgpr_dispatch_ptr 0
		.amdhsa_user_sgpr_queue_ptr 0
		.amdhsa_user_sgpr_kernarg_segment_ptr 1
		.amdhsa_user_sgpr_dispatch_id 0
		.amdhsa_user_sgpr_flat_scratch_init 0
		.amdhsa_user_sgpr_kernarg_preload_length 0
		.amdhsa_user_sgpr_kernarg_preload_offset 0
		.amdhsa_user_sgpr_private_segment_size 0
		.amdhsa_uses_dynamic_stack 0
		.amdhsa_system_sgpr_private_segment_wavefront_offset 0
		.amdhsa_system_sgpr_workgroup_id_x 1
		.amdhsa_system_sgpr_workgroup_id_y 0
		.amdhsa_system_sgpr_workgroup_id_z 0
		.amdhsa_system_sgpr_workgroup_info 0
		.amdhsa_system_vgpr_workitem_id 0
		.amdhsa_next_free_vgpr 1
		.amdhsa_next_free_sgpr 0
		.amdhsa_accum_offset 4
		.amdhsa_reserve_vcc 0
		.amdhsa_reserve_flat_scratch 0
		.amdhsa_float_round_mode_32 0
		.amdhsa_float_round_mode_16_64 0
		.amdhsa_float_denorm_mode_32 3
		.amdhsa_float_denorm_mode_16_64 3
		.amdhsa_dx10_clamp 1
		.amdhsa_ieee_mode 1
		.amdhsa_fp16_overflow 0
		.amdhsa_tg_split 0
		.amdhsa_exception_fp_ieee_invalid_op 0
		.amdhsa_exception_fp_denorm_src 0
		.amdhsa_exception_fp_ieee_div_zero 0
		.amdhsa_exception_fp_ieee_overflow 0
		.amdhsa_exception_fp_ieee_underflow 0
		.amdhsa_exception_fp_ieee_inexact 0
		.amdhsa_exception_int_div_zero 0
	.end_amdhsa_kernel
	.section	.text._ZN7rocprim17ROCPRIM_400000_NS6detail17trampoline_kernelINS0_14default_configENS1_20scan_config_selectorIsEEZZNS1_9scan_implILNS1_25lookback_scan_determinismE0ELb1ELb1ES3_N6thrust23THRUST_200600_302600_NS6detail15normal_iteratorINS9_10device_ptrIsEEEESE_sNS9_4plusIvEEsEEDaPvRmT3_T4_T5_mT6_P12ihipStream_tbENKUlT_T0_E_clISt17integral_constantIbLb1EEST_IbLb0EEEEDaSP_SQ_EUlSP_E0_NS1_11comp_targetILNS1_3genE0ELNS1_11target_archE4294967295ELNS1_3gpuE0ELNS1_3repE0EEENS1_30default_config_static_selectorELNS0_4arch9wavefront6targetE1EEEvT1_,"axG",@progbits,_ZN7rocprim17ROCPRIM_400000_NS6detail17trampoline_kernelINS0_14default_configENS1_20scan_config_selectorIsEEZZNS1_9scan_implILNS1_25lookback_scan_determinismE0ELb1ELb1ES3_N6thrust23THRUST_200600_302600_NS6detail15normal_iteratorINS9_10device_ptrIsEEEESE_sNS9_4plusIvEEsEEDaPvRmT3_T4_T5_mT6_P12ihipStream_tbENKUlT_T0_E_clISt17integral_constantIbLb1EEST_IbLb0EEEEDaSP_SQ_EUlSP_E0_NS1_11comp_targetILNS1_3genE0ELNS1_11target_archE4294967295ELNS1_3gpuE0ELNS1_3repE0EEENS1_30default_config_static_selectorELNS0_4arch9wavefront6targetE1EEEvT1_,comdat
.Lfunc_end1024:
	.size	_ZN7rocprim17ROCPRIM_400000_NS6detail17trampoline_kernelINS0_14default_configENS1_20scan_config_selectorIsEEZZNS1_9scan_implILNS1_25lookback_scan_determinismE0ELb1ELb1ES3_N6thrust23THRUST_200600_302600_NS6detail15normal_iteratorINS9_10device_ptrIsEEEESE_sNS9_4plusIvEEsEEDaPvRmT3_T4_T5_mT6_P12ihipStream_tbENKUlT_T0_E_clISt17integral_constantIbLb1EEST_IbLb0EEEEDaSP_SQ_EUlSP_E0_NS1_11comp_targetILNS1_3genE0ELNS1_11target_archE4294967295ELNS1_3gpuE0ELNS1_3repE0EEENS1_30default_config_static_selectorELNS0_4arch9wavefront6targetE1EEEvT1_, .Lfunc_end1024-_ZN7rocprim17ROCPRIM_400000_NS6detail17trampoline_kernelINS0_14default_configENS1_20scan_config_selectorIsEEZZNS1_9scan_implILNS1_25lookback_scan_determinismE0ELb1ELb1ES3_N6thrust23THRUST_200600_302600_NS6detail15normal_iteratorINS9_10device_ptrIsEEEESE_sNS9_4plusIvEEsEEDaPvRmT3_T4_T5_mT6_P12ihipStream_tbENKUlT_T0_E_clISt17integral_constantIbLb1EEST_IbLb0EEEEDaSP_SQ_EUlSP_E0_NS1_11comp_targetILNS1_3genE0ELNS1_11target_archE4294967295ELNS1_3gpuE0ELNS1_3repE0EEENS1_30default_config_static_selectorELNS0_4arch9wavefront6targetE1EEEvT1_
                                        ; -- End function
	.section	.AMDGPU.csdata,"",@progbits
; Kernel info:
; codeLenInByte = 0
; NumSgprs: 4
; NumVgprs: 0
; NumAgprs: 0
; TotalNumVgprs: 0
; ScratchSize: 0
; MemoryBound: 0
; FloatMode: 240
; IeeeMode: 1
; LDSByteSize: 0 bytes/workgroup (compile time only)
; SGPRBlocks: 0
; VGPRBlocks: 0
; NumSGPRsForWavesPerEU: 4
; NumVGPRsForWavesPerEU: 1
; AccumOffset: 4
; Occupancy: 8
; WaveLimiterHint : 0
; COMPUTE_PGM_RSRC2:SCRATCH_EN: 0
; COMPUTE_PGM_RSRC2:USER_SGPR: 6
; COMPUTE_PGM_RSRC2:TRAP_HANDLER: 0
; COMPUTE_PGM_RSRC2:TGID_X_EN: 1
; COMPUTE_PGM_RSRC2:TGID_Y_EN: 0
; COMPUTE_PGM_RSRC2:TGID_Z_EN: 0
; COMPUTE_PGM_RSRC2:TIDIG_COMP_CNT: 0
; COMPUTE_PGM_RSRC3_GFX90A:ACCUM_OFFSET: 0
; COMPUTE_PGM_RSRC3_GFX90A:TG_SPLIT: 0
	.section	.text._ZN7rocprim17ROCPRIM_400000_NS6detail17trampoline_kernelINS0_14default_configENS1_20scan_config_selectorIsEEZZNS1_9scan_implILNS1_25lookback_scan_determinismE0ELb1ELb1ES3_N6thrust23THRUST_200600_302600_NS6detail15normal_iteratorINS9_10device_ptrIsEEEESE_sNS9_4plusIvEEsEEDaPvRmT3_T4_T5_mT6_P12ihipStream_tbENKUlT_T0_E_clISt17integral_constantIbLb1EEST_IbLb0EEEEDaSP_SQ_EUlSP_E0_NS1_11comp_targetILNS1_3genE5ELNS1_11target_archE942ELNS1_3gpuE9ELNS1_3repE0EEENS1_30default_config_static_selectorELNS0_4arch9wavefront6targetE1EEEvT1_,"axG",@progbits,_ZN7rocprim17ROCPRIM_400000_NS6detail17trampoline_kernelINS0_14default_configENS1_20scan_config_selectorIsEEZZNS1_9scan_implILNS1_25lookback_scan_determinismE0ELb1ELb1ES3_N6thrust23THRUST_200600_302600_NS6detail15normal_iteratorINS9_10device_ptrIsEEEESE_sNS9_4plusIvEEsEEDaPvRmT3_T4_T5_mT6_P12ihipStream_tbENKUlT_T0_E_clISt17integral_constantIbLb1EEST_IbLb0EEEEDaSP_SQ_EUlSP_E0_NS1_11comp_targetILNS1_3genE5ELNS1_11target_archE942ELNS1_3gpuE9ELNS1_3repE0EEENS1_30default_config_static_selectorELNS0_4arch9wavefront6targetE1EEEvT1_,comdat
	.protected	_ZN7rocprim17ROCPRIM_400000_NS6detail17trampoline_kernelINS0_14default_configENS1_20scan_config_selectorIsEEZZNS1_9scan_implILNS1_25lookback_scan_determinismE0ELb1ELb1ES3_N6thrust23THRUST_200600_302600_NS6detail15normal_iteratorINS9_10device_ptrIsEEEESE_sNS9_4plusIvEEsEEDaPvRmT3_T4_T5_mT6_P12ihipStream_tbENKUlT_T0_E_clISt17integral_constantIbLb1EEST_IbLb0EEEEDaSP_SQ_EUlSP_E0_NS1_11comp_targetILNS1_3genE5ELNS1_11target_archE942ELNS1_3gpuE9ELNS1_3repE0EEENS1_30default_config_static_selectorELNS0_4arch9wavefront6targetE1EEEvT1_ ; -- Begin function _ZN7rocprim17ROCPRIM_400000_NS6detail17trampoline_kernelINS0_14default_configENS1_20scan_config_selectorIsEEZZNS1_9scan_implILNS1_25lookback_scan_determinismE0ELb1ELb1ES3_N6thrust23THRUST_200600_302600_NS6detail15normal_iteratorINS9_10device_ptrIsEEEESE_sNS9_4plusIvEEsEEDaPvRmT3_T4_T5_mT6_P12ihipStream_tbENKUlT_T0_E_clISt17integral_constantIbLb1EEST_IbLb0EEEEDaSP_SQ_EUlSP_E0_NS1_11comp_targetILNS1_3genE5ELNS1_11target_archE942ELNS1_3gpuE9ELNS1_3repE0EEENS1_30default_config_static_selectorELNS0_4arch9wavefront6targetE1EEEvT1_
	.globl	_ZN7rocprim17ROCPRIM_400000_NS6detail17trampoline_kernelINS0_14default_configENS1_20scan_config_selectorIsEEZZNS1_9scan_implILNS1_25lookback_scan_determinismE0ELb1ELb1ES3_N6thrust23THRUST_200600_302600_NS6detail15normal_iteratorINS9_10device_ptrIsEEEESE_sNS9_4plusIvEEsEEDaPvRmT3_T4_T5_mT6_P12ihipStream_tbENKUlT_T0_E_clISt17integral_constantIbLb1EEST_IbLb0EEEEDaSP_SQ_EUlSP_E0_NS1_11comp_targetILNS1_3genE5ELNS1_11target_archE942ELNS1_3gpuE9ELNS1_3repE0EEENS1_30default_config_static_selectorELNS0_4arch9wavefront6targetE1EEEvT1_
	.p2align	8
	.type	_ZN7rocprim17ROCPRIM_400000_NS6detail17trampoline_kernelINS0_14default_configENS1_20scan_config_selectorIsEEZZNS1_9scan_implILNS1_25lookback_scan_determinismE0ELb1ELb1ES3_N6thrust23THRUST_200600_302600_NS6detail15normal_iteratorINS9_10device_ptrIsEEEESE_sNS9_4plusIvEEsEEDaPvRmT3_T4_T5_mT6_P12ihipStream_tbENKUlT_T0_E_clISt17integral_constantIbLb1EEST_IbLb0EEEEDaSP_SQ_EUlSP_E0_NS1_11comp_targetILNS1_3genE5ELNS1_11target_archE942ELNS1_3gpuE9ELNS1_3repE0EEENS1_30default_config_static_selectorELNS0_4arch9wavefront6targetE1EEEvT1_,@function
_ZN7rocprim17ROCPRIM_400000_NS6detail17trampoline_kernelINS0_14default_configENS1_20scan_config_selectorIsEEZZNS1_9scan_implILNS1_25lookback_scan_determinismE0ELb1ELb1ES3_N6thrust23THRUST_200600_302600_NS6detail15normal_iteratorINS9_10device_ptrIsEEEESE_sNS9_4plusIvEEsEEDaPvRmT3_T4_T5_mT6_P12ihipStream_tbENKUlT_T0_E_clISt17integral_constantIbLb1EEST_IbLb0EEEEDaSP_SQ_EUlSP_E0_NS1_11comp_targetILNS1_3genE5ELNS1_11target_archE942ELNS1_3gpuE9ELNS1_3repE0EEENS1_30default_config_static_selectorELNS0_4arch9wavefront6targetE1EEEvT1_: ; @_ZN7rocprim17ROCPRIM_400000_NS6detail17trampoline_kernelINS0_14default_configENS1_20scan_config_selectorIsEEZZNS1_9scan_implILNS1_25lookback_scan_determinismE0ELb1ELb1ES3_N6thrust23THRUST_200600_302600_NS6detail15normal_iteratorINS9_10device_ptrIsEEEESE_sNS9_4plusIvEEsEEDaPvRmT3_T4_T5_mT6_P12ihipStream_tbENKUlT_T0_E_clISt17integral_constantIbLb1EEST_IbLb0EEEEDaSP_SQ_EUlSP_E0_NS1_11comp_targetILNS1_3genE5ELNS1_11target_archE942ELNS1_3gpuE9ELNS1_3repE0EEENS1_30default_config_static_selectorELNS0_4arch9wavefront6targetE1EEEvT1_
; %bb.0:
	.section	.rodata,"a",@progbits
	.p2align	6, 0x0
	.amdhsa_kernel _ZN7rocprim17ROCPRIM_400000_NS6detail17trampoline_kernelINS0_14default_configENS1_20scan_config_selectorIsEEZZNS1_9scan_implILNS1_25lookback_scan_determinismE0ELb1ELb1ES3_N6thrust23THRUST_200600_302600_NS6detail15normal_iteratorINS9_10device_ptrIsEEEESE_sNS9_4plusIvEEsEEDaPvRmT3_T4_T5_mT6_P12ihipStream_tbENKUlT_T0_E_clISt17integral_constantIbLb1EEST_IbLb0EEEEDaSP_SQ_EUlSP_E0_NS1_11comp_targetILNS1_3genE5ELNS1_11target_archE942ELNS1_3gpuE9ELNS1_3repE0EEENS1_30default_config_static_selectorELNS0_4arch9wavefront6targetE1EEEvT1_
		.amdhsa_group_segment_fixed_size 0
		.amdhsa_private_segment_fixed_size 0
		.amdhsa_kernarg_size 32
		.amdhsa_user_sgpr_count 6
		.amdhsa_user_sgpr_private_segment_buffer 1
		.amdhsa_user_sgpr_dispatch_ptr 0
		.amdhsa_user_sgpr_queue_ptr 0
		.amdhsa_user_sgpr_kernarg_segment_ptr 1
		.amdhsa_user_sgpr_dispatch_id 0
		.amdhsa_user_sgpr_flat_scratch_init 0
		.amdhsa_user_sgpr_kernarg_preload_length 0
		.amdhsa_user_sgpr_kernarg_preload_offset 0
		.amdhsa_user_sgpr_private_segment_size 0
		.amdhsa_uses_dynamic_stack 0
		.amdhsa_system_sgpr_private_segment_wavefront_offset 0
		.amdhsa_system_sgpr_workgroup_id_x 1
		.amdhsa_system_sgpr_workgroup_id_y 0
		.amdhsa_system_sgpr_workgroup_id_z 0
		.amdhsa_system_sgpr_workgroup_info 0
		.amdhsa_system_vgpr_workitem_id 0
		.amdhsa_next_free_vgpr 1
		.amdhsa_next_free_sgpr 0
		.amdhsa_accum_offset 4
		.amdhsa_reserve_vcc 0
		.amdhsa_reserve_flat_scratch 0
		.amdhsa_float_round_mode_32 0
		.amdhsa_float_round_mode_16_64 0
		.amdhsa_float_denorm_mode_32 3
		.amdhsa_float_denorm_mode_16_64 3
		.amdhsa_dx10_clamp 1
		.amdhsa_ieee_mode 1
		.amdhsa_fp16_overflow 0
		.amdhsa_tg_split 0
		.amdhsa_exception_fp_ieee_invalid_op 0
		.amdhsa_exception_fp_denorm_src 0
		.amdhsa_exception_fp_ieee_div_zero 0
		.amdhsa_exception_fp_ieee_overflow 0
		.amdhsa_exception_fp_ieee_underflow 0
		.amdhsa_exception_fp_ieee_inexact 0
		.amdhsa_exception_int_div_zero 0
	.end_amdhsa_kernel
	.section	.text._ZN7rocprim17ROCPRIM_400000_NS6detail17trampoline_kernelINS0_14default_configENS1_20scan_config_selectorIsEEZZNS1_9scan_implILNS1_25lookback_scan_determinismE0ELb1ELb1ES3_N6thrust23THRUST_200600_302600_NS6detail15normal_iteratorINS9_10device_ptrIsEEEESE_sNS9_4plusIvEEsEEDaPvRmT3_T4_T5_mT6_P12ihipStream_tbENKUlT_T0_E_clISt17integral_constantIbLb1EEST_IbLb0EEEEDaSP_SQ_EUlSP_E0_NS1_11comp_targetILNS1_3genE5ELNS1_11target_archE942ELNS1_3gpuE9ELNS1_3repE0EEENS1_30default_config_static_selectorELNS0_4arch9wavefront6targetE1EEEvT1_,"axG",@progbits,_ZN7rocprim17ROCPRIM_400000_NS6detail17trampoline_kernelINS0_14default_configENS1_20scan_config_selectorIsEEZZNS1_9scan_implILNS1_25lookback_scan_determinismE0ELb1ELb1ES3_N6thrust23THRUST_200600_302600_NS6detail15normal_iteratorINS9_10device_ptrIsEEEESE_sNS9_4plusIvEEsEEDaPvRmT3_T4_T5_mT6_P12ihipStream_tbENKUlT_T0_E_clISt17integral_constantIbLb1EEST_IbLb0EEEEDaSP_SQ_EUlSP_E0_NS1_11comp_targetILNS1_3genE5ELNS1_11target_archE942ELNS1_3gpuE9ELNS1_3repE0EEENS1_30default_config_static_selectorELNS0_4arch9wavefront6targetE1EEEvT1_,comdat
.Lfunc_end1025:
	.size	_ZN7rocprim17ROCPRIM_400000_NS6detail17trampoline_kernelINS0_14default_configENS1_20scan_config_selectorIsEEZZNS1_9scan_implILNS1_25lookback_scan_determinismE0ELb1ELb1ES3_N6thrust23THRUST_200600_302600_NS6detail15normal_iteratorINS9_10device_ptrIsEEEESE_sNS9_4plusIvEEsEEDaPvRmT3_T4_T5_mT6_P12ihipStream_tbENKUlT_T0_E_clISt17integral_constantIbLb1EEST_IbLb0EEEEDaSP_SQ_EUlSP_E0_NS1_11comp_targetILNS1_3genE5ELNS1_11target_archE942ELNS1_3gpuE9ELNS1_3repE0EEENS1_30default_config_static_selectorELNS0_4arch9wavefront6targetE1EEEvT1_, .Lfunc_end1025-_ZN7rocprim17ROCPRIM_400000_NS6detail17trampoline_kernelINS0_14default_configENS1_20scan_config_selectorIsEEZZNS1_9scan_implILNS1_25lookback_scan_determinismE0ELb1ELb1ES3_N6thrust23THRUST_200600_302600_NS6detail15normal_iteratorINS9_10device_ptrIsEEEESE_sNS9_4plusIvEEsEEDaPvRmT3_T4_T5_mT6_P12ihipStream_tbENKUlT_T0_E_clISt17integral_constantIbLb1EEST_IbLb0EEEEDaSP_SQ_EUlSP_E0_NS1_11comp_targetILNS1_3genE5ELNS1_11target_archE942ELNS1_3gpuE9ELNS1_3repE0EEENS1_30default_config_static_selectorELNS0_4arch9wavefront6targetE1EEEvT1_
                                        ; -- End function
	.section	.AMDGPU.csdata,"",@progbits
; Kernel info:
; codeLenInByte = 0
; NumSgprs: 4
; NumVgprs: 0
; NumAgprs: 0
; TotalNumVgprs: 0
; ScratchSize: 0
; MemoryBound: 0
; FloatMode: 240
; IeeeMode: 1
; LDSByteSize: 0 bytes/workgroup (compile time only)
; SGPRBlocks: 0
; VGPRBlocks: 0
; NumSGPRsForWavesPerEU: 4
; NumVGPRsForWavesPerEU: 1
; AccumOffset: 4
; Occupancy: 8
; WaveLimiterHint : 0
; COMPUTE_PGM_RSRC2:SCRATCH_EN: 0
; COMPUTE_PGM_RSRC2:USER_SGPR: 6
; COMPUTE_PGM_RSRC2:TRAP_HANDLER: 0
; COMPUTE_PGM_RSRC2:TGID_X_EN: 1
; COMPUTE_PGM_RSRC2:TGID_Y_EN: 0
; COMPUTE_PGM_RSRC2:TGID_Z_EN: 0
; COMPUTE_PGM_RSRC2:TIDIG_COMP_CNT: 0
; COMPUTE_PGM_RSRC3_GFX90A:ACCUM_OFFSET: 0
; COMPUTE_PGM_RSRC3_GFX90A:TG_SPLIT: 0
	.section	.text._ZN7rocprim17ROCPRIM_400000_NS6detail17trampoline_kernelINS0_14default_configENS1_20scan_config_selectorIsEEZZNS1_9scan_implILNS1_25lookback_scan_determinismE0ELb1ELb1ES3_N6thrust23THRUST_200600_302600_NS6detail15normal_iteratorINS9_10device_ptrIsEEEESE_sNS9_4plusIvEEsEEDaPvRmT3_T4_T5_mT6_P12ihipStream_tbENKUlT_T0_E_clISt17integral_constantIbLb1EEST_IbLb0EEEEDaSP_SQ_EUlSP_E0_NS1_11comp_targetILNS1_3genE4ELNS1_11target_archE910ELNS1_3gpuE8ELNS1_3repE0EEENS1_30default_config_static_selectorELNS0_4arch9wavefront6targetE1EEEvT1_,"axG",@progbits,_ZN7rocprim17ROCPRIM_400000_NS6detail17trampoline_kernelINS0_14default_configENS1_20scan_config_selectorIsEEZZNS1_9scan_implILNS1_25lookback_scan_determinismE0ELb1ELb1ES3_N6thrust23THRUST_200600_302600_NS6detail15normal_iteratorINS9_10device_ptrIsEEEESE_sNS9_4plusIvEEsEEDaPvRmT3_T4_T5_mT6_P12ihipStream_tbENKUlT_T0_E_clISt17integral_constantIbLb1EEST_IbLb0EEEEDaSP_SQ_EUlSP_E0_NS1_11comp_targetILNS1_3genE4ELNS1_11target_archE910ELNS1_3gpuE8ELNS1_3repE0EEENS1_30default_config_static_selectorELNS0_4arch9wavefront6targetE1EEEvT1_,comdat
	.protected	_ZN7rocprim17ROCPRIM_400000_NS6detail17trampoline_kernelINS0_14default_configENS1_20scan_config_selectorIsEEZZNS1_9scan_implILNS1_25lookback_scan_determinismE0ELb1ELb1ES3_N6thrust23THRUST_200600_302600_NS6detail15normal_iteratorINS9_10device_ptrIsEEEESE_sNS9_4plusIvEEsEEDaPvRmT3_T4_T5_mT6_P12ihipStream_tbENKUlT_T0_E_clISt17integral_constantIbLb1EEST_IbLb0EEEEDaSP_SQ_EUlSP_E0_NS1_11comp_targetILNS1_3genE4ELNS1_11target_archE910ELNS1_3gpuE8ELNS1_3repE0EEENS1_30default_config_static_selectorELNS0_4arch9wavefront6targetE1EEEvT1_ ; -- Begin function _ZN7rocprim17ROCPRIM_400000_NS6detail17trampoline_kernelINS0_14default_configENS1_20scan_config_selectorIsEEZZNS1_9scan_implILNS1_25lookback_scan_determinismE0ELb1ELb1ES3_N6thrust23THRUST_200600_302600_NS6detail15normal_iteratorINS9_10device_ptrIsEEEESE_sNS9_4plusIvEEsEEDaPvRmT3_T4_T5_mT6_P12ihipStream_tbENKUlT_T0_E_clISt17integral_constantIbLb1EEST_IbLb0EEEEDaSP_SQ_EUlSP_E0_NS1_11comp_targetILNS1_3genE4ELNS1_11target_archE910ELNS1_3gpuE8ELNS1_3repE0EEENS1_30default_config_static_selectorELNS0_4arch9wavefront6targetE1EEEvT1_
	.globl	_ZN7rocprim17ROCPRIM_400000_NS6detail17trampoline_kernelINS0_14default_configENS1_20scan_config_selectorIsEEZZNS1_9scan_implILNS1_25lookback_scan_determinismE0ELb1ELb1ES3_N6thrust23THRUST_200600_302600_NS6detail15normal_iteratorINS9_10device_ptrIsEEEESE_sNS9_4plusIvEEsEEDaPvRmT3_T4_T5_mT6_P12ihipStream_tbENKUlT_T0_E_clISt17integral_constantIbLb1EEST_IbLb0EEEEDaSP_SQ_EUlSP_E0_NS1_11comp_targetILNS1_3genE4ELNS1_11target_archE910ELNS1_3gpuE8ELNS1_3repE0EEENS1_30default_config_static_selectorELNS0_4arch9wavefront6targetE1EEEvT1_
	.p2align	8
	.type	_ZN7rocprim17ROCPRIM_400000_NS6detail17trampoline_kernelINS0_14default_configENS1_20scan_config_selectorIsEEZZNS1_9scan_implILNS1_25lookback_scan_determinismE0ELb1ELb1ES3_N6thrust23THRUST_200600_302600_NS6detail15normal_iteratorINS9_10device_ptrIsEEEESE_sNS9_4plusIvEEsEEDaPvRmT3_T4_T5_mT6_P12ihipStream_tbENKUlT_T0_E_clISt17integral_constantIbLb1EEST_IbLb0EEEEDaSP_SQ_EUlSP_E0_NS1_11comp_targetILNS1_3genE4ELNS1_11target_archE910ELNS1_3gpuE8ELNS1_3repE0EEENS1_30default_config_static_selectorELNS0_4arch9wavefront6targetE1EEEvT1_,@function
_ZN7rocprim17ROCPRIM_400000_NS6detail17trampoline_kernelINS0_14default_configENS1_20scan_config_selectorIsEEZZNS1_9scan_implILNS1_25lookback_scan_determinismE0ELb1ELb1ES3_N6thrust23THRUST_200600_302600_NS6detail15normal_iteratorINS9_10device_ptrIsEEEESE_sNS9_4plusIvEEsEEDaPvRmT3_T4_T5_mT6_P12ihipStream_tbENKUlT_T0_E_clISt17integral_constantIbLb1EEST_IbLb0EEEEDaSP_SQ_EUlSP_E0_NS1_11comp_targetILNS1_3genE4ELNS1_11target_archE910ELNS1_3gpuE8ELNS1_3repE0EEENS1_30default_config_static_selectorELNS0_4arch9wavefront6targetE1EEEvT1_: ; @_ZN7rocprim17ROCPRIM_400000_NS6detail17trampoline_kernelINS0_14default_configENS1_20scan_config_selectorIsEEZZNS1_9scan_implILNS1_25lookback_scan_determinismE0ELb1ELb1ES3_N6thrust23THRUST_200600_302600_NS6detail15normal_iteratorINS9_10device_ptrIsEEEESE_sNS9_4plusIvEEsEEDaPvRmT3_T4_T5_mT6_P12ihipStream_tbENKUlT_T0_E_clISt17integral_constantIbLb1EEST_IbLb0EEEEDaSP_SQ_EUlSP_E0_NS1_11comp_targetILNS1_3genE4ELNS1_11target_archE910ELNS1_3gpuE8ELNS1_3repE0EEENS1_30default_config_static_selectorELNS0_4arch9wavefront6targetE1EEEvT1_
; %bb.0:
	s_load_dwordx4 s[52:55], s[4:5], 0x0
	v_mov_b32_e32 v1, 0
	v_lshlrev_b32_e32 v14, 1, v0
	s_waitcnt lgkmcnt(0)
	global_load_ushort v2, v1, s[52:53]
	v_cmp_gt_u32_e32 vcc, s54, v0
	s_waitcnt vmcnt(0)
	v_mov_b32_e32 v3, v2
	s_and_saveexec_b64 s[0:1], vcc
	s_cbranch_execz .LBB1026_2
; %bb.1:
	global_load_ushort v3, v14, s[52:53]
.LBB1026_2:
	s_or_b64 exec, exec, s[0:1]
	v_or_b32_e32 v1, 64, v0
	v_cmp_gt_u32_e64 s[0:1], s54, v1
	v_mov_b32_e32 v4, v2
	s_and_saveexec_b64 s[2:3], s[0:1]
	s_cbranch_execz .LBB1026_4
; %bb.3:
	global_load_ushort v4, v14, s[52:53] offset:128
.LBB1026_4:
	s_or_b64 exec, exec, s[2:3]
	v_or_b32_e32 v1, 0x80, v0
	v_cmp_gt_u32_e64 s[2:3], s54, v1
	v_mov_b32_e32 v5, v2
	s_and_saveexec_b64 s[6:7], s[2:3]
	s_cbranch_execz .LBB1026_6
; %bb.5:
	global_load_ushort v5, v14, s[52:53] offset:256
.LBB1026_6:
	;; [unrolled: 9-line block ×22, first 2 shown]
	s_or_b64 exec, exec, s[46:47]
	v_or_b32_e32 v1, 0x5c0, v0
	v_cmp_gt_u32_e64 s[46:47], s54, v1
	v_cmp_le_u32_e64 s[50:51], s54, v1
	s_and_saveexec_b64 s[54:55], s[50:51]
	s_xor_b64 s[50:51], exec, s[54:55]
; %bb.47:
	v_mov_b32_e32 v1, 0
; %bb.48:
	s_or_saveexec_b64 s[50:51], s[50:51]
	s_load_dword s33, s[4:5], 0x10
	s_load_dwordx2 s[54:55], s[4:5], 0x18
	s_xor_b64 exec, exec, s[50:51]
	s_cbranch_execz .LBB1026_50
; %bb.49:
	global_load_ushort v2, v14, s[52:53] offset:2944
	v_mov_b32_e32 v1, 0
.LBB1026_50:
	s_or_b64 exec, exec, s[50:51]
	s_waitcnt vmcnt(0)
	ds_write_b16 v14, v3
	ds_write_b16 v14, v4 offset:128
	ds_write_b16 v14, v5 offset:256
	;; [unrolled: 1-line block ×23, first 2 shown]
	v_mad_u32_u24 v2, v0, 46, v14
	s_waitcnt lgkmcnt(0)
	; wave barrier
	s_waitcnt lgkmcnt(0)
	ds_read_b128 v[10:13], v2
	ds_read_b128 v[6:9], v2 offset:16
	ds_read_b128 v[2:5], v2 offset:32
	v_mul_u32_u24_e32 v15, 46, v0
	s_waitcnt lgkmcnt(0)
	v_add_u16_sdwa v16, v10, v10 dst_sel:DWORD dst_unused:UNUSED_PAD src0_sel:WORD_1 src1_sel:DWORD
	v_add_u16_e32 v16, v16, v11
	v_add_u16_sdwa v16, v16, v11 dst_sel:DWORD dst_unused:UNUSED_PAD src0_sel:DWORD src1_sel:WORD_1
	v_add_u16_e32 v16, v16, v12
	v_add_u16_sdwa v16, v16, v12 dst_sel:DWORD dst_unused:UNUSED_PAD src0_sel:DWORD src1_sel:WORD_1
	;; [unrolled: 2-line block ×11, first 2 shown]
	v_mbcnt_lo_u32_b32 v16, -1, 0
	v_mbcnt_hi_u32_b32 v16, -1, v16
	v_and_b32_e32 v18, 15, v16
	v_mov_b32_dpp v19, v17 row_shr:1 row_mask:0xf bank_mask:0xf
	v_cmp_ne_u32_e64 s[4:5], 0, v18
	v_cndmask_b32_e64 v19, 0, v19, s[4:5]
	v_add_u16_e32 v17, v19, v17
	v_cmp_lt_u32_e64 s[4:5], 1, v18
	; wave barrier
	s_nop 0
	v_mov_b32_dpp v19, v17 row_shr:2 row_mask:0xf bank_mask:0xf
	v_cndmask_b32_e64 v19, 0, v19, s[4:5]
	v_add_u16_e32 v17, v17, v19
	v_cmp_lt_u32_e64 s[4:5], 3, v18
	s_nop 0
	v_mov_b32_dpp v19, v17 row_shr:4 row_mask:0xf bank_mask:0xf
	v_cndmask_b32_e64 v19, 0, v19, s[4:5]
	v_add_u16_e32 v17, v17, v19
	v_cmp_lt_u32_e64 s[4:5], 7, v18
	s_nop 0
	v_mov_b32_dpp v19, v17 row_shr:8 row_mask:0xf bank_mask:0xf
	v_cndmask_b32_e64 v18, 0, v19, s[4:5]
	v_add_u16_e32 v17, v17, v18
	v_and_b32_e32 v19, 16, v16
	v_cmp_ne_u32_e64 s[4:5], 0, v19
	v_mov_b32_dpp v18, v17 row_bcast:15 row_mask:0xf bank_mask:0xf
	v_cndmask_b32_e64 v18, 0, v18, s[4:5]
	v_add_u16_e32 v17, v17, v18
	v_cmp_lt_u32_e64 s[4:5], 31, v16
	s_nop 0
	v_mov_b32_dpp v18, v17 row_bcast:31 row_mask:0xf bank_mask:0xf
	v_cndmask_b32_e64 v18, 0, v18, s[4:5]
	v_add_u16_e32 v17, v17, v18
	v_cmp_eq_u32_e64 s[4:5], 63, v0
	s_and_saveexec_b64 s[50:51], s[4:5]
	s_cbranch_execz .LBB1026_52
; %bb.51:
	v_mov_b32_e32 v18, 0
	ds_write_b16 v18, v17
.LBB1026_52:
	s_or_b64 exec, exec, s[50:51]
	v_add_u32_e32 v18, -1, v16
	v_and_b32_e32 v19, 64, v16
	v_cmp_lt_i32_e64 s[4:5], v18, v19
	v_cndmask_b32_e64 v18, v18, v16, s[4:5]
	v_add_u16_e32 v17, s33, v17
	v_lshlrev_b32_e32 v18, 2, v18
	ds_bpermute_b32 v17, v18, v17
	v_cmp_eq_u32_e64 s[4:5], 0, v16
	v_cmp_eq_u32_e64 s[50:51], 0, v0
	v_mov_b32_e32 v16, s33
	s_or_b64 s[4:5], s[50:51], s[4:5]
	s_waitcnt lgkmcnt(0)
	v_cndmask_b32_e64 v16, v17, v16, s[4:5]
	v_add_u16_e32 v17, v16, v10
	v_add_u16_sdwa v10, v17, v10 dst_sel:DWORD dst_unused:UNUSED_PAD src0_sel:DWORD src1_sel:WORD_1
	v_add_u16_e32 v18, v10, v11
	v_add_u16_sdwa v11, v18, v11 dst_sel:DWORD dst_unused:UNUSED_PAD src0_sel:DWORD src1_sel:WORD_1
	v_add_u16_e32 v19, v11, v12
	v_add_u16_sdwa v12, v19, v12 dst_sel:DWORD dst_unused:UNUSED_PAD src0_sel:DWORD src1_sel:WORD_1
	v_add_u16_e32 v20, v12, v13
	v_add_u16_sdwa v13, v20, v13 dst_sel:DWORD dst_unused:UNUSED_PAD src0_sel:DWORD src1_sel:WORD_1
	v_add_u16_e32 v21, v13, v6
	v_add_u16_sdwa v6, v21, v6 dst_sel:DWORD dst_unused:UNUSED_PAD src0_sel:DWORD src1_sel:WORD_1
	v_add_u16_e32 v22, v6, v7
	v_add_u16_sdwa v7, v22, v7 dst_sel:DWORD dst_unused:UNUSED_PAD src0_sel:DWORD src1_sel:WORD_1
	v_add_u16_e32 v23, v7, v8
	v_add_u16_sdwa v8, v23, v8 dst_sel:DWORD dst_unused:UNUSED_PAD src0_sel:DWORD src1_sel:WORD_1
	v_add_u16_e32 v24, v8, v9
	v_add_u16_sdwa v9, v24, v9 dst_sel:DWORD dst_unused:UNUSED_PAD src0_sel:DWORD src1_sel:WORD_1
	v_add_u16_e32 v25, v9, v2
	v_add_u16_sdwa v26, v25, v2 dst_sel:DWORD dst_unused:UNUSED_PAD src0_sel:DWORD src1_sel:WORD_1
	v_add_u16_e32 v27, v26, v3
	v_add_u16_sdwa v28, v27, v3 dst_sel:DWORD dst_unused:UNUSED_PAD src0_sel:DWORD src1_sel:WORD_1
	v_add_u16_e32 v29, v28, v4
	v_add_u16_sdwa v30, v29, v4 dst_sel:DWORD dst_unused:UNUSED_PAD src0_sel:DWORD src1_sel:WORD_1
	s_mov_b32 s4, 0x5040100
	v_add_u16_e32 v31, v30, v5
	v_add_u32_e32 v15, v14, v15
	v_perm_b32 v2, v17, v16, s4
	v_perm_b32 v3, v18, v10, s4
	;; [unrolled: 1-line block ×4, first 2 shown]
	s_waitcnt lgkmcnt(0)
	; wave barrier
	s_waitcnt lgkmcnt(0)
	s_waitcnt lgkmcnt(0)
	; wave barrier
	ds_write_b128 v15, v[2:5]
	v_perm_b32 v2, v21, v13, s4
	v_perm_b32 v3, v22, v6, s4
	;; [unrolled: 1-line block ×4, first 2 shown]
	ds_write_b128 v15, v[2:5] offset:16
	v_perm_b32 v2, v25, v9, s4
	v_perm_b32 v3, v27, v26, s4
	v_perm_b32 v4, v29, v28, s4
	v_perm_b32 v5, v31, v30, s4
	ds_write_b128 v15, v[2:5] offset:32
	s_waitcnt lgkmcnt(0)
	; wave barrier
	s_waitcnt lgkmcnt(0)
	ds_read_u16 v25, v14 offset:128
	ds_read_u16 v24, v14 offset:256
	ds_read_u16 v23, v14 offset:384
	ds_read_u16 v22, v14 offset:512
	ds_read_u16 v21, v14 offset:640
	ds_read_u16 v20, v14 offset:768
	ds_read_u16 v19, v14 offset:896
	ds_read_u16 v18, v14 offset:1024
	ds_read_u16 v17, v14 offset:1152
	ds_read_u16 v16, v14 offset:1280
	ds_read_u16 v15, v14 offset:1408
	ds_read_u16 v13, v14 offset:1536
	ds_read_u16 v12, v14 offset:1664
	ds_read_u16 v11, v14 offset:1792
	ds_read_u16 v10, v14 offset:1920
	ds_read_u16 v9, v14 offset:2048
	ds_read_u16 v8, v14 offset:2176
	ds_read_u16 v7, v14 offset:2304
	ds_read_u16 v6, v14 offset:2432
	ds_read_u16 v5, v14 offset:2560
	ds_read_u16 v4, v14 offset:2688
	ds_read_u16 v3, v14 offset:2816
	ds_read_u16 v2, v14 offset:2944
	v_lshlrev_b64 v[0:1], 1, v[0:1]
	v_mov_b32_e32 v26, s55
	v_add_co_u32_e64 v0, s[4:5], s54, v0
	v_addc_co_u32_e64 v1, s[4:5], v26, v1, s[4:5]
	s_and_saveexec_b64 s[4:5], vcc
	s_cbranch_execnz .LBB1026_77
; %bb.53:
	s_or_b64 exec, exec, s[4:5]
	s_and_saveexec_b64 s[4:5], s[0:1]
	s_cbranch_execnz .LBB1026_78
.LBB1026_54:
	s_or_b64 exec, exec, s[4:5]
	s_and_saveexec_b64 s[0:1], s[2:3]
	s_cbranch_execnz .LBB1026_79
.LBB1026_55:
	s_or_b64 exec, exec, s[0:1]
	s_and_saveexec_b64 s[0:1], s[48:49]
	s_cbranch_execnz .LBB1026_80
.LBB1026_56:
	s_or_b64 exec, exec, s[0:1]
	s_and_saveexec_b64 s[0:1], s[6:7]
	s_cbranch_execnz .LBB1026_81
.LBB1026_57:
	s_or_b64 exec, exec, s[0:1]
	s_and_saveexec_b64 s[0:1], s[8:9]
	s_cbranch_execnz .LBB1026_82
.LBB1026_58:
	s_or_b64 exec, exec, s[0:1]
	s_and_saveexec_b64 s[0:1], s[10:11]
	s_cbranch_execnz .LBB1026_83
.LBB1026_59:
	s_or_b64 exec, exec, s[0:1]
	s_and_saveexec_b64 s[0:1], s[12:13]
	s_cbranch_execnz .LBB1026_84
.LBB1026_60:
	s_or_b64 exec, exec, s[0:1]
	s_and_saveexec_b64 s[0:1], s[14:15]
	s_cbranch_execnz .LBB1026_85
.LBB1026_61:
	s_or_b64 exec, exec, s[0:1]
	s_and_saveexec_b64 s[0:1], s[16:17]
	s_cbranch_execnz .LBB1026_86
.LBB1026_62:
	s_or_b64 exec, exec, s[0:1]
	s_and_saveexec_b64 s[0:1], s[18:19]
	s_cbranch_execnz .LBB1026_87
.LBB1026_63:
	s_or_b64 exec, exec, s[0:1]
	s_and_saveexec_b64 s[0:1], s[20:21]
	s_cbranch_execnz .LBB1026_88
.LBB1026_64:
	s_or_b64 exec, exec, s[0:1]
	s_and_saveexec_b64 s[0:1], s[22:23]
	s_cbranch_execnz .LBB1026_89
.LBB1026_65:
	s_or_b64 exec, exec, s[0:1]
	s_and_saveexec_b64 s[0:1], s[24:25]
	s_cbranch_execnz .LBB1026_90
.LBB1026_66:
	s_or_b64 exec, exec, s[0:1]
	s_and_saveexec_b64 s[0:1], s[26:27]
	s_cbranch_execnz .LBB1026_91
.LBB1026_67:
	s_or_b64 exec, exec, s[0:1]
	s_and_saveexec_b64 s[0:1], s[28:29]
	s_cbranch_execnz .LBB1026_92
.LBB1026_68:
	s_or_b64 exec, exec, s[0:1]
	s_and_saveexec_b64 s[0:1], s[30:31]
	s_cbranch_execnz .LBB1026_93
.LBB1026_69:
	s_or_b64 exec, exec, s[0:1]
	s_and_saveexec_b64 s[0:1], s[34:35]
	s_cbranch_execnz .LBB1026_94
.LBB1026_70:
	s_or_b64 exec, exec, s[0:1]
	s_and_saveexec_b64 s[0:1], s[36:37]
	s_cbranch_execnz .LBB1026_95
.LBB1026_71:
	s_or_b64 exec, exec, s[0:1]
	s_and_saveexec_b64 s[0:1], s[38:39]
	s_cbranch_execnz .LBB1026_96
.LBB1026_72:
	s_or_b64 exec, exec, s[0:1]
	s_and_saveexec_b64 s[0:1], s[40:41]
	s_cbranch_execnz .LBB1026_97
.LBB1026_73:
	s_or_b64 exec, exec, s[0:1]
	s_and_saveexec_b64 s[0:1], s[42:43]
	s_cbranch_execnz .LBB1026_98
.LBB1026_74:
	s_or_b64 exec, exec, s[0:1]
	s_and_saveexec_b64 s[0:1], s[44:45]
	s_cbranch_execnz .LBB1026_99
.LBB1026_75:
	s_or_b64 exec, exec, s[0:1]
	s_and_saveexec_b64 s[0:1], s[46:47]
	s_cbranch_execnz .LBB1026_100
.LBB1026_76:
	s_endpgm
.LBB1026_77:
	ds_read_u16 v14, v14
	s_waitcnt lgkmcnt(0)
	global_store_short v[0:1], v14, off
	s_or_b64 exec, exec, s[4:5]
	s_and_saveexec_b64 s[4:5], s[0:1]
	s_cbranch_execz .LBB1026_54
.LBB1026_78:
	s_waitcnt lgkmcnt(14)
	global_store_short v[0:1], v25, off offset:128
	s_or_b64 exec, exec, s[4:5]
	s_and_saveexec_b64 s[0:1], s[2:3]
	s_cbranch_execz .LBB1026_55
.LBB1026_79:
	s_waitcnt lgkmcnt(14)
	global_store_short v[0:1], v24, off offset:256
	s_or_b64 exec, exec, s[0:1]
	s_and_saveexec_b64 s[0:1], s[48:49]
	s_cbranch_execz .LBB1026_56
.LBB1026_80:
	s_waitcnt lgkmcnt(14)
	global_store_short v[0:1], v23, off offset:384
	s_or_b64 exec, exec, s[0:1]
	s_and_saveexec_b64 s[0:1], s[6:7]
	s_cbranch_execz .LBB1026_57
.LBB1026_81:
	s_waitcnt lgkmcnt(14)
	global_store_short v[0:1], v22, off offset:512
	s_or_b64 exec, exec, s[0:1]
	s_and_saveexec_b64 s[0:1], s[8:9]
	s_cbranch_execz .LBB1026_58
.LBB1026_82:
	s_waitcnt lgkmcnt(14)
	global_store_short v[0:1], v21, off offset:640
	s_or_b64 exec, exec, s[0:1]
	s_and_saveexec_b64 s[0:1], s[10:11]
	s_cbranch_execz .LBB1026_59
.LBB1026_83:
	s_waitcnt lgkmcnt(14)
	global_store_short v[0:1], v20, off offset:768
	s_or_b64 exec, exec, s[0:1]
	s_and_saveexec_b64 s[0:1], s[12:13]
	s_cbranch_execz .LBB1026_60
.LBB1026_84:
	s_waitcnt lgkmcnt(14)
	global_store_short v[0:1], v19, off offset:896
	s_or_b64 exec, exec, s[0:1]
	s_and_saveexec_b64 s[0:1], s[14:15]
	s_cbranch_execz .LBB1026_61
.LBB1026_85:
	s_waitcnt lgkmcnt(14)
	global_store_short v[0:1], v18, off offset:1024
	s_or_b64 exec, exec, s[0:1]
	s_and_saveexec_b64 s[0:1], s[16:17]
	s_cbranch_execz .LBB1026_62
.LBB1026_86:
	s_waitcnt lgkmcnt(14)
	global_store_short v[0:1], v17, off offset:1152
	s_or_b64 exec, exec, s[0:1]
	s_and_saveexec_b64 s[0:1], s[18:19]
	s_cbranch_execz .LBB1026_63
.LBB1026_87:
	s_waitcnt lgkmcnt(13)
	global_store_short v[0:1], v16, off offset:1280
	s_or_b64 exec, exec, s[0:1]
	s_and_saveexec_b64 s[0:1], s[20:21]
	s_cbranch_execz .LBB1026_64
.LBB1026_88:
	s_waitcnt lgkmcnt(12)
	global_store_short v[0:1], v15, off offset:1408
	s_or_b64 exec, exec, s[0:1]
	s_and_saveexec_b64 s[0:1], s[22:23]
	s_cbranch_execz .LBB1026_65
.LBB1026_89:
	s_waitcnt lgkmcnt(11)
	global_store_short v[0:1], v13, off offset:1536
	s_or_b64 exec, exec, s[0:1]
	s_and_saveexec_b64 s[0:1], s[24:25]
	s_cbranch_execz .LBB1026_66
.LBB1026_90:
	s_waitcnt lgkmcnt(10)
	global_store_short v[0:1], v12, off offset:1664
	s_or_b64 exec, exec, s[0:1]
	s_and_saveexec_b64 s[0:1], s[26:27]
	s_cbranch_execz .LBB1026_67
.LBB1026_91:
	s_waitcnt lgkmcnt(9)
	global_store_short v[0:1], v11, off offset:1792
	s_or_b64 exec, exec, s[0:1]
	s_and_saveexec_b64 s[0:1], s[28:29]
	s_cbranch_execz .LBB1026_68
.LBB1026_92:
	s_waitcnt lgkmcnt(8)
	global_store_short v[0:1], v10, off offset:1920
	s_or_b64 exec, exec, s[0:1]
	s_and_saveexec_b64 s[0:1], s[30:31]
	s_cbranch_execz .LBB1026_69
.LBB1026_93:
	s_waitcnt lgkmcnt(7)
	global_store_short v[0:1], v9, off offset:2048
	s_or_b64 exec, exec, s[0:1]
	s_and_saveexec_b64 s[0:1], s[34:35]
	s_cbranch_execz .LBB1026_70
.LBB1026_94:
	s_waitcnt lgkmcnt(6)
	global_store_short v[0:1], v8, off offset:2176
	s_or_b64 exec, exec, s[0:1]
	s_and_saveexec_b64 s[0:1], s[36:37]
	s_cbranch_execz .LBB1026_71
.LBB1026_95:
	s_waitcnt lgkmcnt(5)
	global_store_short v[0:1], v7, off offset:2304
	s_or_b64 exec, exec, s[0:1]
	s_and_saveexec_b64 s[0:1], s[38:39]
	s_cbranch_execz .LBB1026_72
.LBB1026_96:
	s_waitcnt lgkmcnt(4)
	global_store_short v[0:1], v6, off offset:2432
	s_or_b64 exec, exec, s[0:1]
	s_and_saveexec_b64 s[0:1], s[40:41]
	s_cbranch_execz .LBB1026_73
.LBB1026_97:
	s_waitcnt lgkmcnt(3)
	global_store_short v[0:1], v5, off offset:2560
	s_or_b64 exec, exec, s[0:1]
	s_and_saveexec_b64 s[0:1], s[42:43]
	s_cbranch_execz .LBB1026_74
.LBB1026_98:
	s_waitcnt lgkmcnt(2)
	global_store_short v[0:1], v4, off offset:2688
	s_or_b64 exec, exec, s[0:1]
	s_and_saveexec_b64 s[0:1], s[44:45]
	s_cbranch_execz .LBB1026_75
.LBB1026_99:
	s_waitcnt lgkmcnt(1)
	global_store_short v[0:1], v3, off offset:2816
	s_or_b64 exec, exec, s[0:1]
	s_and_saveexec_b64 s[0:1], s[46:47]
	s_cbranch_execz .LBB1026_76
.LBB1026_100:
	s_waitcnt lgkmcnt(0)
	global_store_short v[0:1], v2, off offset:2944
	s_endpgm
	.section	.rodata,"a",@progbits
	.p2align	6, 0x0
	.amdhsa_kernel _ZN7rocprim17ROCPRIM_400000_NS6detail17trampoline_kernelINS0_14default_configENS1_20scan_config_selectorIsEEZZNS1_9scan_implILNS1_25lookback_scan_determinismE0ELb1ELb1ES3_N6thrust23THRUST_200600_302600_NS6detail15normal_iteratorINS9_10device_ptrIsEEEESE_sNS9_4plusIvEEsEEDaPvRmT3_T4_T5_mT6_P12ihipStream_tbENKUlT_T0_E_clISt17integral_constantIbLb1EEST_IbLb0EEEEDaSP_SQ_EUlSP_E0_NS1_11comp_targetILNS1_3genE4ELNS1_11target_archE910ELNS1_3gpuE8ELNS1_3repE0EEENS1_30default_config_static_selectorELNS0_4arch9wavefront6targetE1EEEvT1_
		.amdhsa_group_segment_fixed_size 3072
		.amdhsa_private_segment_fixed_size 0
		.amdhsa_kernarg_size 32
		.amdhsa_user_sgpr_count 6
		.amdhsa_user_sgpr_private_segment_buffer 1
		.amdhsa_user_sgpr_dispatch_ptr 0
		.amdhsa_user_sgpr_queue_ptr 0
		.amdhsa_user_sgpr_kernarg_segment_ptr 1
		.amdhsa_user_sgpr_dispatch_id 0
		.amdhsa_user_sgpr_flat_scratch_init 0
		.amdhsa_user_sgpr_kernarg_preload_length 0
		.amdhsa_user_sgpr_kernarg_preload_offset 0
		.amdhsa_user_sgpr_private_segment_size 0
		.amdhsa_uses_dynamic_stack 0
		.amdhsa_system_sgpr_private_segment_wavefront_offset 0
		.amdhsa_system_sgpr_workgroup_id_x 1
		.amdhsa_system_sgpr_workgroup_id_y 0
		.amdhsa_system_sgpr_workgroup_id_z 0
		.amdhsa_system_sgpr_workgroup_info 0
		.amdhsa_system_vgpr_workitem_id 0
		.amdhsa_next_free_vgpr 32
		.amdhsa_next_free_sgpr 56
		.amdhsa_accum_offset 32
		.amdhsa_reserve_vcc 1
		.amdhsa_reserve_flat_scratch 0
		.amdhsa_float_round_mode_32 0
		.amdhsa_float_round_mode_16_64 0
		.amdhsa_float_denorm_mode_32 3
		.amdhsa_float_denorm_mode_16_64 3
		.amdhsa_dx10_clamp 1
		.amdhsa_ieee_mode 1
		.amdhsa_fp16_overflow 0
		.amdhsa_tg_split 0
		.amdhsa_exception_fp_ieee_invalid_op 0
		.amdhsa_exception_fp_denorm_src 0
		.amdhsa_exception_fp_ieee_div_zero 0
		.amdhsa_exception_fp_ieee_overflow 0
		.amdhsa_exception_fp_ieee_underflow 0
		.amdhsa_exception_fp_ieee_inexact 0
		.amdhsa_exception_int_div_zero 0
	.end_amdhsa_kernel
	.section	.text._ZN7rocprim17ROCPRIM_400000_NS6detail17trampoline_kernelINS0_14default_configENS1_20scan_config_selectorIsEEZZNS1_9scan_implILNS1_25lookback_scan_determinismE0ELb1ELb1ES3_N6thrust23THRUST_200600_302600_NS6detail15normal_iteratorINS9_10device_ptrIsEEEESE_sNS9_4plusIvEEsEEDaPvRmT3_T4_T5_mT6_P12ihipStream_tbENKUlT_T0_E_clISt17integral_constantIbLb1EEST_IbLb0EEEEDaSP_SQ_EUlSP_E0_NS1_11comp_targetILNS1_3genE4ELNS1_11target_archE910ELNS1_3gpuE8ELNS1_3repE0EEENS1_30default_config_static_selectorELNS0_4arch9wavefront6targetE1EEEvT1_,"axG",@progbits,_ZN7rocprim17ROCPRIM_400000_NS6detail17trampoline_kernelINS0_14default_configENS1_20scan_config_selectorIsEEZZNS1_9scan_implILNS1_25lookback_scan_determinismE0ELb1ELb1ES3_N6thrust23THRUST_200600_302600_NS6detail15normal_iteratorINS9_10device_ptrIsEEEESE_sNS9_4plusIvEEsEEDaPvRmT3_T4_T5_mT6_P12ihipStream_tbENKUlT_T0_E_clISt17integral_constantIbLb1EEST_IbLb0EEEEDaSP_SQ_EUlSP_E0_NS1_11comp_targetILNS1_3genE4ELNS1_11target_archE910ELNS1_3gpuE8ELNS1_3repE0EEENS1_30default_config_static_selectorELNS0_4arch9wavefront6targetE1EEEvT1_,comdat
.Lfunc_end1026:
	.size	_ZN7rocprim17ROCPRIM_400000_NS6detail17trampoline_kernelINS0_14default_configENS1_20scan_config_selectorIsEEZZNS1_9scan_implILNS1_25lookback_scan_determinismE0ELb1ELb1ES3_N6thrust23THRUST_200600_302600_NS6detail15normal_iteratorINS9_10device_ptrIsEEEESE_sNS9_4plusIvEEsEEDaPvRmT3_T4_T5_mT6_P12ihipStream_tbENKUlT_T0_E_clISt17integral_constantIbLb1EEST_IbLb0EEEEDaSP_SQ_EUlSP_E0_NS1_11comp_targetILNS1_3genE4ELNS1_11target_archE910ELNS1_3gpuE8ELNS1_3repE0EEENS1_30default_config_static_selectorELNS0_4arch9wavefront6targetE1EEEvT1_, .Lfunc_end1026-_ZN7rocprim17ROCPRIM_400000_NS6detail17trampoline_kernelINS0_14default_configENS1_20scan_config_selectorIsEEZZNS1_9scan_implILNS1_25lookback_scan_determinismE0ELb1ELb1ES3_N6thrust23THRUST_200600_302600_NS6detail15normal_iteratorINS9_10device_ptrIsEEEESE_sNS9_4plusIvEEsEEDaPvRmT3_T4_T5_mT6_P12ihipStream_tbENKUlT_T0_E_clISt17integral_constantIbLb1EEST_IbLb0EEEEDaSP_SQ_EUlSP_E0_NS1_11comp_targetILNS1_3genE4ELNS1_11target_archE910ELNS1_3gpuE8ELNS1_3repE0EEENS1_30default_config_static_selectorELNS0_4arch9wavefront6targetE1EEEvT1_
                                        ; -- End function
	.section	.AMDGPU.csdata,"",@progbits
; Kernel info:
; codeLenInByte = 3080
; NumSgprs: 60
; NumVgprs: 32
; NumAgprs: 0
; TotalNumVgprs: 32
; ScratchSize: 0
; MemoryBound: 0
; FloatMode: 240
; IeeeMode: 1
; LDSByteSize: 3072 bytes/workgroup (compile time only)
; SGPRBlocks: 7
; VGPRBlocks: 3
; NumSGPRsForWavesPerEU: 60
; NumVGPRsForWavesPerEU: 32
; AccumOffset: 32
; Occupancy: 6
; WaveLimiterHint : 0
; COMPUTE_PGM_RSRC2:SCRATCH_EN: 0
; COMPUTE_PGM_RSRC2:USER_SGPR: 6
; COMPUTE_PGM_RSRC2:TRAP_HANDLER: 0
; COMPUTE_PGM_RSRC2:TGID_X_EN: 1
; COMPUTE_PGM_RSRC2:TGID_Y_EN: 0
; COMPUTE_PGM_RSRC2:TGID_Z_EN: 0
; COMPUTE_PGM_RSRC2:TIDIG_COMP_CNT: 0
; COMPUTE_PGM_RSRC3_GFX90A:ACCUM_OFFSET: 7
; COMPUTE_PGM_RSRC3_GFX90A:TG_SPLIT: 0
	.section	.text._ZN7rocprim17ROCPRIM_400000_NS6detail17trampoline_kernelINS0_14default_configENS1_20scan_config_selectorIsEEZZNS1_9scan_implILNS1_25lookback_scan_determinismE0ELb1ELb1ES3_N6thrust23THRUST_200600_302600_NS6detail15normal_iteratorINS9_10device_ptrIsEEEESE_sNS9_4plusIvEEsEEDaPvRmT3_T4_T5_mT6_P12ihipStream_tbENKUlT_T0_E_clISt17integral_constantIbLb1EEST_IbLb0EEEEDaSP_SQ_EUlSP_E0_NS1_11comp_targetILNS1_3genE3ELNS1_11target_archE908ELNS1_3gpuE7ELNS1_3repE0EEENS1_30default_config_static_selectorELNS0_4arch9wavefront6targetE1EEEvT1_,"axG",@progbits,_ZN7rocprim17ROCPRIM_400000_NS6detail17trampoline_kernelINS0_14default_configENS1_20scan_config_selectorIsEEZZNS1_9scan_implILNS1_25lookback_scan_determinismE0ELb1ELb1ES3_N6thrust23THRUST_200600_302600_NS6detail15normal_iteratorINS9_10device_ptrIsEEEESE_sNS9_4plusIvEEsEEDaPvRmT3_T4_T5_mT6_P12ihipStream_tbENKUlT_T0_E_clISt17integral_constantIbLb1EEST_IbLb0EEEEDaSP_SQ_EUlSP_E0_NS1_11comp_targetILNS1_3genE3ELNS1_11target_archE908ELNS1_3gpuE7ELNS1_3repE0EEENS1_30default_config_static_selectorELNS0_4arch9wavefront6targetE1EEEvT1_,comdat
	.protected	_ZN7rocprim17ROCPRIM_400000_NS6detail17trampoline_kernelINS0_14default_configENS1_20scan_config_selectorIsEEZZNS1_9scan_implILNS1_25lookback_scan_determinismE0ELb1ELb1ES3_N6thrust23THRUST_200600_302600_NS6detail15normal_iteratorINS9_10device_ptrIsEEEESE_sNS9_4plusIvEEsEEDaPvRmT3_T4_T5_mT6_P12ihipStream_tbENKUlT_T0_E_clISt17integral_constantIbLb1EEST_IbLb0EEEEDaSP_SQ_EUlSP_E0_NS1_11comp_targetILNS1_3genE3ELNS1_11target_archE908ELNS1_3gpuE7ELNS1_3repE0EEENS1_30default_config_static_selectorELNS0_4arch9wavefront6targetE1EEEvT1_ ; -- Begin function _ZN7rocprim17ROCPRIM_400000_NS6detail17trampoline_kernelINS0_14default_configENS1_20scan_config_selectorIsEEZZNS1_9scan_implILNS1_25lookback_scan_determinismE0ELb1ELb1ES3_N6thrust23THRUST_200600_302600_NS6detail15normal_iteratorINS9_10device_ptrIsEEEESE_sNS9_4plusIvEEsEEDaPvRmT3_T4_T5_mT6_P12ihipStream_tbENKUlT_T0_E_clISt17integral_constantIbLb1EEST_IbLb0EEEEDaSP_SQ_EUlSP_E0_NS1_11comp_targetILNS1_3genE3ELNS1_11target_archE908ELNS1_3gpuE7ELNS1_3repE0EEENS1_30default_config_static_selectorELNS0_4arch9wavefront6targetE1EEEvT1_
	.globl	_ZN7rocprim17ROCPRIM_400000_NS6detail17trampoline_kernelINS0_14default_configENS1_20scan_config_selectorIsEEZZNS1_9scan_implILNS1_25lookback_scan_determinismE0ELb1ELb1ES3_N6thrust23THRUST_200600_302600_NS6detail15normal_iteratorINS9_10device_ptrIsEEEESE_sNS9_4plusIvEEsEEDaPvRmT3_T4_T5_mT6_P12ihipStream_tbENKUlT_T0_E_clISt17integral_constantIbLb1EEST_IbLb0EEEEDaSP_SQ_EUlSP_E0_NS1_11comp_targetILNS1_3genE3ELNS1_11target_archE908ELNS1_3gpuE7ELNS1_3repE0EEENS1_30default_config_static_selectorELNS0_4arch9wavefront6targetE1EEEvT1_
	.p2align	8
	.type	_ZN7rocprim17ROCPRIM_400000_NS6detail17trampoline_kernelINS0_14default_configENS1_20scan_config_selectorIsEEZZNS1_9scan_implILNS1_25lookback_scan_determinismE0ELb1ELb1ES3_N6thrust23THRUST_200600_302600_NS6detail15normal_iteratorINS9_10device_ptrIsEEEESE_sNS9_4plusIvEEsEEDaPvRmT3_T4_T5_mT6_P12ihipStream_tbENKUlT_T0_E_clISt17integral_constantIbLb1EEST_IbLb0EEEEDaSP_SQ_EUlSP_E0_NS1_11comp_targetILNS1_3genE3ELNS1_11target_archE908ELNS1_3gpuE7ELNS1_3repE0EEENS1_30default_config_static_selectorELNS0_4arch9wavefront6targetE1EEEvT1_,@function
_ZN7rocprim17ROCPRIM_400000_NS6detail17trampoline_kernelINS0_14default_configENS1_20scan_config_selectorIsEEZZNS1_9scan_implILNS1_25lookback_scan_determinismE0ELb1ELb1ES3_N6thrust23THRUST_200600_302600_NS6detail15normal_iteratorINS9_10device_ptrIsEEEESE_sNS9_4plusIvEEsEEDaPvRmT3_T4_T5_mT6_P12ihipStream_tbENKUlT_T0_E_clISt17integral_constantIbLb1EEST_IbLb0EEEEDaSP_SQ_EUlSP_E0_NS1_11comp_targetILNS1_3genE3ELNS1_11target_archE908ELNS1_3gpuE7ELNS1_3repE0EEENS1_30default_config_static_selectorELNS0_4arch9wavefront6targetE1EEEvT1_: ; @_ZN7rocprim17ROCPRIM_400000_NS6detail17trampoline_kernelINS0_14default_configENS1_20scan_config_selectorIsEEZZNS1_9scan_implILNS1_25lookback_scan_determinismE0ELb1ELb1ES3_N6thrust23THRUST_200600_302600_NS6detail15normal_iteratorINS9_10device_ptrIsEEEESE_sNS9_4plusIvEEsEEDaPvRmT3_T4_T5_mT6_P12ihipStream_tbENKUlT_T0_E_clISt17integral_constantIbLb1EEST_IbLb0EEEEDaSP_SQ_EUlSP_E0_NS1_11comp_targetILNS1_3genE3ELNS1_11target_archE908ELNS1_3gpuE7ELNS1_3repE0EEENS1_30default_config_static_selectorELNS0_4arch9wavefront6targetE1EEEvT1_
; %bb.0:
	.section	.rodata,"a",@progbits
	.p2align	6, 0x0
	.amdhsa_kernel _ZN7rocprim17ROCPRIM_400000_NS6detail17trampoline_kernelINS0_14default_configENS1_20scan_config_selectorIsEEZZNS1_9scan_implILNS1_25lookback_scan_determinismE0ELb1ELb1ES3_N6thrust23THRUST_200600_302600_NS6detail15normal_iteratorINS9_10device_ptrIsEEEESE_sNS9_4plusIvEEsEEDaPvRmT3_T4_T5_mT6_P12ihipStream_tbENKUlT_T0_E_clISt17integral_constantIbLb1EEST_IbLb0EEEEDaSP_SQ_EUlSP_E0_NS1_11comp_targetILNS1_3genE3ELNS1_11target_archE908ELNS1_3gpuE7ELNS1_3repE0EEENS1_30default_config_static_selectorELNS0_4arch9wavefront6targetE1EEEvT1_
		.amdhsa_group_segment_fixed_size 0
		.amdhsa_private_segment_fixed_size 0
		.amdhsa_kernarg_size 32
		.amdhsa_user_sgpr_count 6
		.amdhsa_user_sgpr_private_segment_buffer 1
		.amdhsa_user_sgpr_dispatch_ptr 0
		.amdhsa_user_sgpr_queue_ptr 0
		.amdhsa_user_sgpr_kernarg_segment_ptr 1
		.amdhsa_user_sgpr_dispatch_id 0
		.amdhsa_user_sgpr_flat_scratch_init 0
		.amdhsa_user_sgpr_kernarg_preload_length 0
		.amdhsa_user_sgpr_kernarg_preload_offset 0
		.amdhsa_user_sgpr_private_segment_size 0
		.amdhsa_uses_dynamic_stack 0
		.amdhsa_system_sgpr_private_segment_wavefront_offset 0
		.amdhsa_system_sgpr_workgroup_id_x 1
		.amdhsa_system_sgpr_workgroup_id_y 0
		.amdhsa_system_sgpr_workgroup_id_z 0
		.amdhsa_system_sgpr_workgroup_info 0
		.amdhsa_system_vgpr_workitem_id 0
		.amdhsa_next_free_vgpr 1
		.amdhsa_next_free_sgpr 0
		.amdhsa_accum_offset 4
		.amdhsa_reserve_vcc 0
		.amdhsa_reserve_flat_scratch 0
		.amdhsa_float_round_mode_32 0
		.amdhsa_float_round_mode_16_64 0
		.amdhsa_float_denorm_mode_32 3
		.amdhsa_float_denorm_mode_16_64 3
		.amdhsa_dx10_clamp 1
		.amdhsa_ieee_mode 1
		.amdhsa_fp16_overflow 0
		.amdhsa_tg_split 0
		.amdhsa_exception_fp_ieee_invalid_op 0
		.amdhsa_exception_fp_denorm_src 0
		.amdhsa_exception_fp_ieee_div_zero 0
		.amdhsa_exception_fp_ieee_overflow 0
		.amdhsa_exception_fp_ieee_underflow 0
		.amdhsa_exception_fp_ieee_inexact 0
		.amdhsa_exception_int_div_zero 0
	.end_amdhsa_kernel
	.section	.text._ZN7rocprim17ROCPRIM_400000_NS6detail17trampoline_kernelINS0_14default_configENS1_20scan_config_selectorIsEEZZNS1_9scan_implILNS1_25lookback_scan_determinismE0ELb1ELb1ES3_N6thrust23THRUST_200600_302600_NS6detail15normal_iteratorINS9_10device_ptrIsEEEESE_sNS9_4plusIvEEsEEDaPvRmT3_T4_T5_mT6_P12ihipStream_tbENKUlT_T0_E_clISt17integral_constantIbLb1EEST_IbLb0EEEEDaSP_SQ_EUlSP_E0_NS1_11comp_targetILNS1_3genE3ELNS1_11target_archE908ELNS1_3gpuE7ELNS1_3repE0EEENS1_30default_config_static_selectorELNS0_4arch9wavefront6targetE1EEEvT1_,"axG",@progbits,_ZN7rocprim17ROCPRIM_400000_NS6detail17trampoline_kernelINS0_14default_configENS1_20scan_config_selectorIsEEZZNS1_9scan_implILNS1_25lookback_scan_determinismE0ELb1ELb1ES3_N6thrust23THRUST_200600_302600_NS6detail15normal_iteratorINS9_10device_ptrIsEEEESE_sNS9_4plusIvEEsEEDaPvRmT3_T4_T5_mT6_P12ihipStream_tbENKUlT_T0_E_clISt17integral_constantIbLb1EEST_IbLb0EEEEDaSP_SQ_EUlSP_E0_NS1_11comp_targetILNS1_3genE3ELNS1_11target_archE908ELNS1_3gpuE7ELNS1_3repE0EEENS1_30default_config_static_selectorELNS0_4arch9wavefront6targetE1EEEvT1_,comdat
.Lfunc_end1027:
	.size	_ZN7rocprim17ROCPRIM_400000_NS6detail17trampoline_kernelINS0_14default_configENS1_20scan_config_selectorIsEEZZNS1_9scan_implILNS1_25lookback_scan_determinismE0ELb1ELb1ES3_N6thrust23THRUST_200600_302600_NS6detail15normal_iteratorINS9_10device_ptrIsEEEESE_sNS9_4plusIvEEsEEDaPvRmT3_T4_T5_mT6_P12ihipStream_tbENKUlT_T0_E_clISt17integral_constantIbLb1EEST_IbLb0EEEEDaSP_SQ_EUlSP_E0_NS1_11comp_targetILNS1_3genE3ELNS1_11target_archE908ELNS1_3gpuE7ELNS1_3repE0EEENS1_30default_config_static_selectorELNS0_4arch9wavefront6targetE1EEEvT1_, .Lfunc_end1027-_ZN7rocprim17ROCPRIM_400000_NS6detail17trampoline_kernelINS0_14default_configENS1_20scan_config_selectorIsEEZZNS1_9scan_implILNS1_25lookback_scan_determinismE0ELb1ELb1ES3_N6thrust23THRUST_200600_302600_NS6detail15normal_iteratorINS9_10device_ptrIsEEEESE_sNS9_4plusIvEEsEEDaPvRmT3_T4_T5_mT6_P12ihipStream_tbENKUlT_T0_E_clISt17integral_constantIbLb1EEST_IbLb0EEEEDaSP_SQ_EUlSP_E0_NS1_11comp_targetILNS1_3genE3ELNS1_11target_archE908ELNS1_3gpuE7ELNS1_3repE0EEENS1_30default_config_static_selectorELNS0_4arch9wavefront6targetE1EEEvT1_
                                        ; -- End function
	.section	.AMDGPU.csdata,"",@progbits
; Kernel info:
; codeLenInByte = 0
; NumSgprs: 4
; NumVgprs: 0
; NumAgprs: 0
; TotalNumVgprs: 0
; ScratchSize: 0
; MemoryBound: 0
; FloatMode: 240
; IeeeMode: 1
; LDSByteSize: 0 bytes/workgroup (compile time only)
; SGPRBlocks: 0
; VGPRBlocks: 0
; NumSGPRsForWavesPerEU: 4
; NumVGPRsForWavesPerEU: 1
; AccumOffset: 4
; Occupancy: 8
; WaveLimiterHint : 0
; COMPUTE_PGM_RSRC2:SCRATCH_EN: 0
; COMPUTE_PGM_RSRC2:USER_SGPR: 6
; COMPUTE_PGM_RSRC2:TRAP_HANDLER: 0
; COMPUTE_PGM_RSRC2:TGID_X_EN: 1
; COMPUTE_PGM_RSRC2:TGID_Y_EN: 0
; COMPUTE_PGM_RSRC2:TGID_Z_EN: 0
; COMPUTE_PGM_RSRC2:TIDIG_COMP_CNT: 0
; COMPUTE_PGM_RSRC3_GFX90A:ACCUM_OFFSET: 0
; COMPUTE_PGM_RSRC3_GFX90A:TG_SPLIT: 0
	.section	.text._ZN7rocprim17ROCPRIM_400000_NS6detail17trampoline_kernelINS0_14default_configENS1_20scan_config_selectorIsEEZZNS1_9scan_implILNS1_25lookback_scan_determinismE0ELb1ELb1ES3_N6thrust23THRUST_200600_302600_NS6detail15normal_iteratorINS9_10device_ptrIsEEEESE_sNS9_4plusIvEEsEEDaPvRmT3_T4_T5_mT6_P12ihipStream_tbENKUlT_T0_E_clISt17integral_constantIbLb1EEST_IbLb0EEEEDaSP_SQ_EUlSP_E0_NS1_11comp_targetILNS1_3genE2ELNS1_11target_archE906ELNS1_3gpuE6ELNS1_3repE0EEENS1_30default_config_static_selectorELNS0_4arch9wavefront6targetE1EEEvT1_,"axG",@progbits,_ZN7rocprim17ROCPRIM_400000_NS6detail17trampoline_kernelINS0_14default_configENS1_20scan_config_selectorIsEEZZNS1_9scan_implILNS1_25lookback_scan_determinismE0ELb1ELb1ES3_N6thrust23THRUST_200600_302600_NS6detail15normal_iteratorINS9_10device_ptrIsEEEESE_sNS9_4plusIvEEsEEDaPvRmT3_T4_T5_mT6_P12ihipStream_tbENKUlT_T0_E_clISt17integral_constantIbLb1EEST_IbLb0EEEEDaSP_SQ_EUlSP_E0_NS1_11comp_targetILNS1_3genE2ELNS1_11target_archE906ELNS1_3gpuE6ELNS1_3repE0EEENS1_30default_config_static_selectorELNS0_4arch9wavefront6targetE1EEEvT1_,comdat
	.protected	_ZN7rocprim17ROCPRIM_400000_NS6detail17trampoline_kernelINS0_14default_configENS1_20scan_config_selectorIsEEZZNS1_9scan_implILNS1_25lookback_scan_determinismE0ELb1ELb1ES3_N6thrust23THRUST_200600_302600_NS6detail15normal_iteratorINS9_10device_ptrIsEEEESE_sNS9_4plusIvEEsEEDaPvRmT3_T4_T5_mT6_P12ihipStream_tbENKUlT_T0_E_clISt17integral_constantIbLb1EEST_IbLb0EEEEDaSP_SQ_EUlSP_E0_NS1_11comp_targetILNS1_3genE2ELNS1_11target_archE906ELNS1_3gpuE6ELNS1_3repE0EEENS1_30default_config_static_selectorELNS0_4arch9wavefront6targetE1EEEvT1_ ; -- Begin function _ZN7rocprim17ROCPRIM_400000_NS6detail17trampoline_kernelINS0_14default_configENS1_20scan_config_selectorIsEEZZNS1_9scan_implILNS1_25lookback_scan_determinismE0ELb1ELb1ES3_N6thrust23THRUST_200600_302600_NS6detail15normal_iteratorINS9_10device_ptrIsEEEESE_sNS9_4plusIvEEsEEDaPvRmT3_T4_T5_mT6_P12ihipStream_tbENKUlT_T0_E_clISt17integral_constantIbLb1EEST_IbLb0EEEEDaSP_SQ_EUlSP_E0_NS1_11comp_targetILNS1_3genE2ELNS1_11target_archE906ELNS1_3gpuE6ELNS1_3repE0EEENS1_30default_config_static_selectorELNS0_4arch9wavefront6targetE1EEEvT1_
	.globl	_ZN7rocprim17ROCPRIM_400000_NS6detail17trampoline_kernelINS0_14default_configENS1_20scan_config_selectorIsEEZZNS1_9scan_implILNS1_25lookback_scan_determinismE0ELb1ELb1ES3_N6thrust23THRUST_200600_302600_NS6detail15normal_iteratorINS9_10device_ptrIsEEEESE_sNS9_4plusIvEEsEEDaPvRmT3_T4_T5_mT6_P12ihipStream_tbENKUlT_T0_E_clISt17integral_constantIbLb1EEST_IbLb0EEEEDaSP_SQ_EUlSP_E0_NS1_11comp_targetILNS1_3genE2ELNS1_11target_archE906ELNS1_3gpuE6ELNS1_3repE0EEENS1_30default_config_static_selectorELNS0_4arch9wavefront6targetE1EEEvT1_
	.p2align	8
	.type	_ZN7rocprim17ROCPRIM_400000_NS6detail17trampoline_kernelINS0_14default_configENS1_20scan_config_selectorIsEEZZNS1_9scan_implILNS1_25lookback_scan_determinismE0ELb1ELb1ES3_N6thrust23THRUST_200600_302600_NS6detail15normal_iteratorINS9_10device_ptrIsEEEESE_sNS9_4plusIvEEsEEDaPvRmT3_T4_T5_mT6_P12ihipStream_tbENKUlT_T0_E_clISt17integral_constantIbLb1EEST_IbLb0EEEEDaSP_SQ_EUlSP_E0_NS1_11comp_targetILNS1_3genE2ELNS1_11target_archE906ELNS1_3gpuE6ELNS1_3repE0EEENS1_30default_config_static_selectorELNS0_4arch9wavefront6targetE1EEEvT1_,@function
_ZN7rocprim17ROCPRIM_400000_NS6detail17trampoline_kernelINS0_14default_configENS1_20scan_config_selectorIsEEZZNS1_9scan_implILNS1_25lookback_scan_determinismE0ELb1ELb1ES3_N6thrust23THRUST_200600_302600_NS6detail15normal_iteratorINS9_10device_ptrIsEEEESE_sNS9_4plusIvEEsEEDaPvRmT3_T4_T5_mT6_P12ihipStream_tbENKUlT_T0_E_clISt17integral_constantIbLb1EEST_IbLb0EEEEDaSP_SQ_EUlSP_E0_NS1_11comp_targetILNS1_3genE2ELNS1_11target_archE906ELNS1_3gpuE6ELNS1_3repE0EEENS1_30default_config_static_selectorELNS0_4arch9wavefront6targetE1EEEvT1_: ; @_ZN7rocprim17ROCPRIM_400000_NS6detail17trampoline_kernelINS0_14default_configENS1_20scan_config_selectorIsEEZZNS1_9scan_implILNS1_25lookback_scan_determinismE0ELb1ELb1ES3_N6thrust23THRUST_200600_302600_NS6detail15normal_iteratorINS9_10device_ptrIsEEEESE_sNS9_4plusIvEEsEEDaPvRmT3_T4_T5_mT6_P12ihipStream_tbENKUlT_T0_E_clISt17integral_constantIbLb1EEST_IbLb0EEEEDaSP_SQ_EUlSP_E0_NS1_11comp_targetILNS1_3genE2ELNS1_11target_archE906ELNS1_3gpuE6ELNS1_3repE0EEENS1_30default_config_static_selectorELNS0_4arch9wavefront6targetE1EEEvT1_
; %bb.0:
	.section	.rodata,"a",@progbits
	.p2align	6, 0x0
	.amdhsa_kernel _ZN7rocprim17ROCPRIM_400000_NS6detail17trampoline_kernelINS0_14default_configENS1_20scan_config_selectorIsEEZZNS1_9scan_implILNS1_25lookback_scan_determinismE0ELb1ELb1ES3_N6thrust23THRUST_200600_302600_NS6detail15normal_iteratorINS9_10device_ptrIsEEEESE_sNS9_4plusIvEEsEEDaPvRmT3_T4_T5_mT6_P12ihipStream_tbENKUlT_T0_E_clISt17integral_constantIbLb1EEST_IbLb0EEEEDaSP_SQ_EUlSP_E0_NS1_11comp_targetILNS1_3genE2ELNS1_11target_archE906ELNS1_3gpuE6ELNS1_3repE0EEENS1_30default_config_static_selectorELNS0_4arch9wavefront6targetE1EEEvT1_
		.amdhsa_group_segment_fixed_size 0
		.amdhsa_private_segment_fixed_size 0
		.amdhsa_kernarg_size 32
		.amdhsa_user_sgpr_count 6
		.amdhsa_user_sgpr_private_segment_buffer 1
		.amdhsa_user_sgpr_dispatch_ptr 0
		.amdhsa_user_sgpr_queue_ptr 0
		.amdhsa_user_sgpr_kernarg_segment_ptr 1
		.amdhsa_user_sgpr_dispatch_id 0
		.amdhsa_user_sgpr_flat_scratch_init 0
		.amdhsa_user_sgpr_kernarg_preload_length 0
		.amdhsa_user_sgpr_kernarg_preload_offset 0
		.amdhsa_user_sgpr_private_segment_size 0
		.amdhsa_uses_dynamic_stack 0
		.amdhsa_system_sgpr_private_segment_wavefront_offset 0
		.amdhsa_system_sgpr_workgroup_id_x 1
		.amdhsa_system_sgpr_workgroup_id_y 0
		.amdhsa_system_sgpr_workgroup_id_z 0
		.amdhsa_system_sgpr_workgroup_info 0
		.amdhsa_system_vgpr_workitem_id 0
		.amdhsa_next_free_vgpr 1
		.amdhsa_next_free_sgpr 0
		.amdhsa_accum_offset 4
		.amdhsa_reserve_vcc 0
		.amdhsa_reserve_flat_scratch 0
		.amdhsa_float_round_mode_32 0
		.amdhsa_float_round_mode_16_64 0
		.amdhsa_float_denorm_mode_32 3
		.amdhsa_float_denorm_mode_16_64 3
		.amdhsa_dx10_clamp 1
		.amdhsa_ieee_mode 1
		.amdhsa_fp16_overflow 0
		.amdhsa_tg_split 0
		.amdhsa_exception_fp_ieee_invalid_op 0
		.amdhsa_exception_fp_denorm_src 0
		.amdhsa_exception_fp_ieee_div_zero 0
		.amdhsa_exception_fp_ieee_overflow 0
		.amdhsa_exception_fp_ieee_underflow 0
		.amdhsa_exception_fp_ieee_inexact 0
		.amdhsa_exception_int_div_zero 0
	.end_amdhsa_kernel
	.section	.text._ZN7rocprim17ROCPRIM_400000_NS6detail17trampoline_kernelINS0_14default_configENS1_20scan_config_selectorIsEEZZNS1_9scan_implILNS1_25lookback_scan_determinismE0ELb1ELb1ES3_N6thrust23THRUST_200600_302600_NS6detail15normal_iteratorINS9_10device_ptrIsEEEESE_sNS9_4plusIvEEsEEDaPvRmT3_T4_T5_mT6_P12ihipStream_tbENKUlT_T0_E_clISt17integral_constantIbLb1EEST_IbLb0EEEEDaSP_SQ_EUlSP_E0_NS1_11comp_targetILNS1_3genE2ELNS1_11target_archE906ELNS1_3gpuE6ELNS1_3repE0EEENS1_30default_config_static_selectorELNS0_4arch9wavefront6targetE1EEEvT1_,"axG",@progbits,_ZN7rocprim17ROCPRIM_400000_NS6detail17trampoline_kernelINS0_14default_configENS1_20scan_config_selectorIsEEZZNS1_9scan_implILNS1_25lookback_scan_determinismE0ELb1ELb1ES3_N6thrust23THRUST_200600_302600_NS6detail15normal_iteratorINS9_10device_ptrIsEEEESE_sNS9_4plusIvEEsEEDaPvRmT3_T4_T5_mT6_P12ihipStream_tbENKUlT_T0_E_clISt17integral_constantIbLb1EEST_IbLb0EEEEDaSP_SQ_EUlSP_E0_NS1_11comp_targetILNS1_3genE2ELNS1_11target_archE906ELNS1_3gpuE6ELNS1_3repE0EEENS1_30default_config_static_selectorELNS0_4arch9wavefront6targetE1EEEvT1_,comdat
.Lfunc_end1028:
	.size	_ZN7rocprim17ROCPRIM_400000_NS6detail17trampoline_kernelINS0_14default_configENS1_20scan_config_selectorIsEEZZNS1_9scan_implILNS1_25lookback_scan_determinismE0ELb1ELb1ES3_N6thrust23THRUST_200600_302600_NS6detail15normal_iteratorINS9_10device_ptrIsEEEESE_sNS9_4plusIvEEsEEDaPvRmT3_T4_T5_mT6_P12ihipStream_tbENKUlT_T0_E_clISt17integral_constantIbLb1EEST_IbLb0EEEEDaSP_SQ_EUlSP_E0_NS1_11comp_targetILNS1_3genE2ELNS1_11target_archE906ELNS1_3gpuE6ELNS1_3repE0EEENS1_30default_config_static_selectorELNS0_4arch9wavefront6targetE1EEEvT1_, .Lfunc_end1028-_ZN7rocprim17ROCPRIM_400000_NS6detail17trampoline_kernelINS0_14default_configENS1_20scan_config_selectorIsEEZZNS1_9scan_implILNS1_25lookback_scan_determinismE0ELb1ELb1ES3_N6thrust23THRUST_200600_302600_NS6detail15normal_iteratorINS9_10device_ptrIsEEEESE_sNS9_4plusIvEEsEEDaPvRmT3_T4_T5_mT6_P12ihipStream_tbENKUlT_T0_E_clISt17integral_constantIbLb1EEST_IbLb0EEEEDaSP_SQ_EUlSP_E0_NS1_11comp_targetILNS1_3genE2ELNS1_11target_archE906ELNS1_3gpuE6ELNS1_3repE0EEENS1_30default_config_static_selectorELNS0_4arch9wavefront6targetE1EEEvT1_
                                        ; -- End function
	.section	.AMDGPU.csdata,"",@progbits
; Kernel info:
; codeLenInByte = 0
; NumSgprs: 4
; NumVgprs: 0
; NumAgprs: 0
; TotalNumVgprs: 0
; ScratchSize: 0
; MemoryBound: 0
; FloatMode: 240
; IeeeMode: 1
; LDSByteSize: 0 bytes/workgroup (compile time only)
; SGPRBlocks: 0
; VGPRBlocks: 0
; NumSGPRsForWavesPerEU: 4
; NumVGPRsForWavesPerEU: 1
; AccumOffset: 4
; Occupancy: 8
; WaveLimiterHint : 0
; COMPUTE_PGM_RSRC2:SCRATCH_EN: 0
; COMPUTE_PGM_RSRC2:USER_SGPR: 6
; COMPUTE_PGM_RSRC2:TRAP_HANDLER: 0
; COMPUTE_PGM_RSRC2:TGID_X_EN: 1
; COMPUTE_PGM_RSRC2:TGID_Y_EN: 0
; COMPUTE_PGM_RSRC2:TGID_Z_EN: 0
; COMPUTE_PGM_RSRC2:TIDIG_COMP_CNT: 0
; COMPUTE_PGM_RSRC3_GFX90A:ACCUM_OFFSET: 0
; COMPUTE_PGM_RSRC3_GFX90A:TG_SPLIT: 0
	.section	.text._ZN7rocprim17ROCPRIM_400000_NS6detail17trampoline_kernelINS0_14default_configENS1_20scan_config_selectorIsEEZZNS1_9scan_implILNS1_25lookback_scan_determinismE0ELb1ELb1ES3_N6thrust23THRUST_200600_302600_NS6detail15normal_iteratorINS9_10device_ptrIsEEEESE_sNS9_4plusIvEEsEEDaPvRmT3_T4_T5_mT6_P12ihipStream_tbENKUlT_T0_E_clISt17integral_constantIbLb1EEST_IbLb0EEEEDaSP_SQ_EUlSP_E0_NS1_11comp_targetILNS1_3genE10ELNS1_11target_archE1201ELNS1_3gpuE5ELNS1_3repE0EEENS1_30default_config_static_selectorELNS0_4arch9wavefront6targetE1EEEvT1_,"axG",@progbits,_ZN7rocprim17ROCPRIM_400000_NS6detail17trampoline_kernelINS0_14default_configENS1_20scan_config_selectorIsEEZZNS1_9scan_implILNS1_25lookback_scan_determinismE0ELb1ELb1ES3_N6thrust23THRUST_200600_302600_NS6detail15normal_iteratorINS9_10device_ptrIsEEEESE_sNS9_4plusIvEEsEEDaPvRmT3_T4_T5_mT6_P12ihipStream_tbENKUlT_T0_E_clISt17integral_constantIbLb1EEST_IbLb0EEEEDaSP_SQ_EUlSP_E0_NS1_11comp_targetILNS1_3genE10ELNS1_11target_archE1201ELNS1_3gpuE5ELNS1_3repE0EEENS1_30default_config_static_selectorELNS0_4arch9wavefront6targetE1EEEvT1_,comdat
	.protected	_ZN7rocprim17ROCPRIM_400000_NS6detail17trampoline_kernelINS0_14default_configENS1_20scan_config_selectorIsEEZZNS1_9scan_implILNS1_25lookback_scan_determinismE0ELb1ELb1ES3_N6thrust23THRUST_200600_302600_NS6detail15normal_iteratorINS9_10device_ptrIsEEEESE_sNS9_4plusIvEEsEEDaPvRmT3_T4_T5_mT6_P12ihipStream_tbENKUlT_T0_E_clISt17integral_constantIbLb1EEST_IbLb0EEEEDaSP_SQ_EUlSP_E0_NS1_11comp_targetILNS1_3genE10ELNS1_11target_archE1201ELNS1_3gpuE5ELNS1_3repE0EEENS1_30default_config_static_selectorELNS0_4arch9wavefront6targetE1EEEvT1_ ; -- Begin function _ZN7rocprim17ROCPRIM_400000_NS6detail17trampoline_kernelINS0_14default_configENS1_20scan_config_selectorIsEEZZNS1_9scan_implILNS1_25lookback_scan_determinismE0ELb1ELb1ES3_N6thrust23THRUST_200600_302600_NS6detail15normal_iteratorINS9_10device_ptrIsEEEESE_sNS9_4plusIvEEsEEDaPvRmT3_T4_T5_mT6_P12ihipStream_tbENKUlT_T0_E_clISt17integral_constantIbLb1EEST_IbLb0EEEEDaSP_SQ_EUlSP_E0_NS1_11comp_targetILNS1_3genE10ELNS1_11target_archE1201ELNS1_3gpuE5ELNS1_3repE0EEENS1_30default_config_static_selectorELNS0_4arch9wavefront6targetE1EEEvT1_
	.globl	_ZN7rocprim17ROCPRIM_400000_NS6detail17trampoline_kernelINS0_14default_configENS1_20scan_config_selectorIsEEZZNS1_9scan_implILNS1_25lookback_scan_determinismE0ELb1ELb1ES3_N6thrust23THRUST_200600_302600_NS6detail15normal_iteratorINS9_10device_ptrIsEEEESE_sNS9_4plusIvEEsEEDaPvRmT3_T4_T5_mT6_P12ihipStream_tbENKUlT_T0_E_clISt17integral_constantIbLb1EEST_IbLb0EEEEDaSP_SQ_EUlSP_E0_NS1_11comp_targetILNS1_3genE10ELNS1_11target_archE1201ELNS1_3gpuE5ELNS1_3repE0EEENS1_30default_config_static_selectorELNS0_4arch9wavefront6targetE1EEEvT1_
	.p2align	8
	.type	_ZN7rocprim17ROCPRIM_400000_NS6detail17trampoline_kernelINS0_14default_configENS1_20scan_config_selectorIsEEZZNS1_9scan_implILNS1_25lookback_scan_determinismE0ELb1ELb1ES3_N6thrust23THRUST_200600_302600_NS6detail15normal_iteratorINS9_10device_ptrIsEEEESE_sNS9_4plusIvEEsEEDaPvRmT3_T4_T5_mT6_P12ihipStream_tbENKUlT_T0_E_clISt17integral_constantIbLb1EEST_IbLb0EEEEDaSP_SQ_EUlSP_E0_NS1_11comp_targetILNS1_3genE10ELNS1_11target_archE1201ELNS1_3gpuE5ELNS1_3repE0EEENS1_30default_config_static_selectorELNS0_4arch9wavefront6targetE1EEEvT1_,@function
_ZN7rocprim17ROCPRIM_400000_NS6detail17trampoline_kernelINS0_14default_configENS1_20scan_config_selectorIsEEZZNS1_9scan_implILNS1_25lookback_scan_determinismE0ELb1ELb1ES3_N6thrust23THRUST_200600_302600_NS6detail15normal_iteratorINS9_10device_ptrIsEEEESE_sNS9_4plusIvEEsEEDaPvRmT3_T4_T5_mT6_P12ihipStream_tbENKUlT_T0_E_clISt17integral_constantIbLb1EEST_IbLb0EEEEDaSP_SQ_EUlSP_E0_NS1_11comp_targetILNS1_3genE10ELNS1_11target_archE1201ELNS1_3gpuE5ELNS1_3repE0EEENS1_30default_config_static_selectorELNS0_4arch9wavefront6targetE1EEEvT1_: ; @_ZN7rocprim17ROCPRIM_400000_NS6detail17trampoline_kernelINS0_14default_configENS1_20scan_config_selectorIsEEZZNS1_9scan_implILNS1_25lookback_scan_determinismE0ELb1ELb1ES3_N6thrust23THRUST_200600_302600_NS6detail15normal_iteratorINS9_10device_ptrIsEEEESE_sNS9_4plusIvEEsEEDaPvRmT3_T4_T5_mT6_P12ihipStream_tbENKUlT_T0_E_clISt17integral_constantIbLb1EEST_IbLb0EEEEDaSP_SQ_EUlSP_E0_NS1_11comp_targetILNS1_3genE10ELNS1_11target_archE1201ELNS1_3gpuE5ELNS1_3repE0EEENS1_30default_config_static_selectorELNS0_4arch9wavefront6targetE1EEEvT1_
; %bb.0:
	.section	.rodata,"a",@progbits
	.p2align	6, 0x0
	.amdhsa_kernel _ZN7rocprim17ROCPRIM_400000_NS6detail17trampoline_kernelINS0_14default_configENS1_20scan_config_selectorIsEEZZNS1_9scan_implILNS1_25lookback_scan_determinismE0ELb1ELb1ES3_N6thrust23THRUST_200600_302600_NS6detail15normal_iteratorINS9_10device_ptrIsEEEESE_sNS9_4plusIvEEsEEDaPvRmT3_T4_T5_mT6_P12ihipStream_tbENKUlT_T0_E_clISt17integral_constantIbLb1EEST_IbLb0EEEEDaSP_SQ_EUlSP_E0_NS1_11comp_targetILNS1_3genE10ELNS1_11target_archE1201ELNS1_3gpuE5ELNS1_3repE0EEENS1_30default_config_static_selectorELNS0_4arch9wavefront6targetE1EEEvT1_
		.amdhsa_group_segment_fixed_size 0
		.amdhsa_private_segment_fixed_size 0
		.amdhsa_kernarg_size 32
		.amdhsa_user_sgpr_count 6
		.amdhsa_user_sgpr_private_segment_buffer 1
		.amdhsa_user_sgpr_dispatch_ptr 0
		.amdhsa_user_sgpr_queue_ptr 0
		.amdhsa_user_sgpr_kernarg_segment_ptr 1
		.amdhsa_user_sgpr_dispatch_id 0
		.amdhsa_user_sgpr_flat_scratch_init 0
		.amdhsa_user_sgpr_kernarg_preload_length 0
		.amdhsa_user_sgpr_kernarg_preload_offset 0
		.amdhsa_user_sgpr_private_segment_size 0
		.amdhsa_uses_dynamic_stack 0
		.amdhsa_system_sgpr_private_segment_wavefront_offset 0
		.amdhsa_system_sgpr_workgroup_id_x 1
		.amdhsa_system_sgpr_workgroup_id_y 0
		.amdhsa_system_sgpr_workgroup_id_z 0
		.amdhsa_system_sgpr_workgroup_info 0
		.amdhsa_system_vgpr_workitem_id 0
		.amdhsa_next_free_vgpr 1
		.amdhsa_next_free_sgpr 0
		.amdhsa_accum_offset 4
		.amdhsa_reserve_vcc 0
		.amdhsa_reserve_flat_scratch 0
		.amdhsa_float_round_mode_32 0
		.amdhsa_float_round_mode_16_64 0
		.amdhsa_float_denorm_mode_32 3
		.amdhsa_float_denorm_mode_16_64 3
		.amdhsa_dx10_clamp 1
		.amdhsa_ieee_mode 1
		.amdhsa_fp16_overflow 0
		.amdhsa_tg_split 0
		.amdhsa_exception_fp_ieee_invalid_op 0
		.amdhsa_exception_fp_denorm_src 0
		.amdhsa_exception_fp_ieee_div_zero 0
		.amdhsa_exception_fp_ieee_overflow 0
		.amdhsa_exception_fp_ieee_underflow 0
		.amdhsa_exception_fp_ieee_inexact 0
		.amdhsa_exception_int_div_zero 0
	.end_amdhsa_kernel
	.section	.text._ZN7rocprim17ROCPRIM_400000_NS6detail17trampoline_kernelINS0_14default_configENS1_20scan_config_selectorIsEEZZNS1_9scan_implILNS1_25lookback_scan_determinismE0ELb1ELb1ES3_N6thrust23THRUST_200600_302600_NS6detail15normal_iteratorINS9_10device_ptrIsEEEESE_sNS9_4plusIvEEsEEDaPvRmT3_T4_T5_mT6_P12ihipStream_tbENKUlT_T0_E_clISt17integral_constantIbLb1EEST_IbLb0EEEEDaSP_SQ_EUlSP_E0_NS1_11comp_targetILNS1_3genE10ELNS1_11target_archE1201ELNS1_3gpuE5ELNS1_3repE0EEENS1_30default_config_static_selectorELNS0_4arch9wavefront6targetE1EEEvT1_,"axG",@progbits,_ZN7rocprim17ROCPRIM_400000_NS6detail17trampoline_kernelINS0_14default_configENS1_20scan_config_selectorIsEEZZNS1_9scan_implILNS1_25lookback_scan_determinismE0ELb1ELb1ES3_N6thrust23THRUST_200600_302600_NS6detail15normal_iteratorINS9_10device_ptrIsEEEESE_sNS9_4plusIvEEsEEDaPvRmT3_T4_T5_mT6_P12ihipStream_tbENKUlT_T0_E_clISt17integral_constantIbLb1EEST_IbLb0EEEEDaSP_SQ_EUlSP_E0_NS1_11comp_targetILNS1_3genE10ELNS1_11target_archE1201ELNS1_3gpuE5ELNS1_3repE0EEENS1_30default_config_static_selectorELNS0_4arch9wavefront6targetE1EEEvT1_,comdat
.Lfunc_end1029:
	.size	_ZN7rocprim17ROCPRIM_400000_NS6detail17trampoline_kernelINS0_14default_configENS1_20scan_config_selectorIsEEZZNS1_9scan_implILNS1_25lookback_scan_determinismE0ELb1ELb1ES3_N6thrust23THRUST_200600_302600_NS6detail15normal_iteratorINS9_10device_ptrIsEEEESE_sNS9_4plusIvEEsEEDaPvRmT3_T4_T5_mT6_P12ihipStream_tbENKUlT_T0_E_clISt17integral_constantIbLb1EEST_IbLb0EEEEDaSP_SQ_EUlSP_E0_NS1_11comp_targetILNS1_3genE10ELNS1_11target_archE1201ELNS1_3gpuE5ELNS1_3repE0EEENS1_30default_config_static_selectorELNS0_4arch9wavefront6targetE1EEEvT1_, .Lfunc_end1029-_ZN7rocprim17ROCPRIM_400000_NS6detail17trampoline_kernelINS0_14default_configENS1_20scan_config_selectorIsEEZZNS1_9scan_implILNS1_25lookback_scan_determinismE0ELb1ELb1ES3_N6thrust23THRUST_200600_302600_NS6detail15normal_iteratorINS9_10device_ptrIsEEEESE_sNS9_4plusIvEEsEEDaPvRmT3_T4_T5_mT6_P12ihipStream_tbENKUlT_T0_E_clISt17integral_constantIbLb1EEST_IbLb0EEEEDaSP_SQ_EUlSP_E0_NS1_11comp_targetILNS1_3genE10ELNS1_11target_archE1201ELNS1_3gpuE5ELNS1_3repE0EEENS1_30default_config_static_selectorELNS0_4arch9wavefront6targetE1EEEvT1_
                                        ; -- End function
	.section	.AMDGPU.csdata,"",@progbits
; Kernel info:
; codeLenInByte = 0
; NumSgprs: 4
; NumVgprs: 0
; NumAgprs: 0
; TotalNumVgprs: 0
; ScratchSize: 0
; MemoryBound: 0
; FloatMode: 240
; IeeeMode: 1
; LDSByteSize: 0 bytes/workgroup (compile time only)
; SGPRBlocks: 0
; VGPRBlocks: 0
; NumSGPRsForWavesPerEU: 4
; NumVGPRsForWavesPerEU: 1
; AccumOffset: 4
; Occupancy: 8
; WaveLimiterHint : 0
; COMPUTE_PGM_RSRC2:SCRATCH_EN: 0
; COMPUTE_PGM_RSRC2:USER_SGPR: 6
; COMPUTE_PGM_RSRC2:TRAP_HANDLER: 0
; COMPUTE_PGM_RSRC2:TGID_X_EN: 1
; COMPUTE_PGM_RSRC2:TGID_Y_EN: 0
; COMPUTE_PGM_RSRC2:TGID_Z_EN: 0
; COMPUTE_PGM_RSRC2:TIDIG_COMP_CNT: 0
; COMPUTE_PGM_RSRC3_GFX90A:ACCUM_OFFSET: 0
; COMPUTE_PGM_RSRC3_GFX90A:TG_SPLIT: 0
	.section	.text._ZN7rocprim17ROCPRIM_400000_NS6detail17trampoline_kernelINS0_14default_configENS1_20scan_config_selectorIsEEZZNS1_9scan_implILNS1_25lookback_scan_determinismE0ELb1ELb1ES3_N6thrust23THRUST_200600_302600_NS6detail15normal_iteratorINS9_10device_ptrIsEEEESE_sNS9_4plusIvEEsEEDaPvRmT3_T4_T5_mT6_P12ihipStream_tbENKUlT_T0_E_clISt17integral_constantIbLb1EEST_IbLb0EEEEDaSP_SQ_EUlSP_E0_NS1_11comp_targetILNS1_3genE10ELNS1_11target_archE1200ELNS1_3gpuE4ELNS1_3repE0EEENS1_30default_config_static_selectorELNS0_4arch9wavefront6targetE1EEEvT1_,"axG",@progbits,_ZN7rocprim17ROCPRIM_400000_NS6detail17trampoline_kernelINS0_14default_configENS1_20scan_config_selectorIsEEZZNS1_9scan_implILNS1_25lookback_scan_determinismE0ELb1ELb1ES3_N6thrust23THRUST_200600_302600_NS6detail15normal_iteratorINS9_10device_ptrIsEEEESE_sNS9_4plusIvEEsEEDaPvRmT3_T4_T5_mT6_P12ihipStream_tbENKUlT_T0_E_clISt17integral_constantIbLb1EEST_IbLb0EEEEDaSP_SQ_EUlSP_E0_NS1_11comp_targetILNS1_3genE10ELNS1_11target_archE1200ELNS1_3gpuE4ELNS1_3repE0EEENS1_30default_config_static_selectorELNS0_4arch9wavefront6targetE1EEEvT1_,comdat
	.protected	_ZN7rocprim17ROCPRIM_400000_NS6detail17trampoline_kernelINS0_14default_configENS1_20scan_config_selectorIsEEZZNS1_9scan_implILNS1_25lookback_scan_determinismE0ELb1ELb1ES3_N6thrust23THRUST_200600_302600_NS6detail15normal_iteratorINS9_10device_ptrIsEEEESE_sNS9_4plusIvEEsEEDaPvRmT3_T4_T5_mT6_P12ihipStream_tbENKUlT_T0_E_clISt17integral_constantIbLb1EEST_IbLb0EEEEDaSP_SQ_EUlSP_E0_NS1_11comp_targetILNS1_3genE10ELNS1_11target_archE1200ELNS1_3gpuE4ELNS1_3repE0EEENS1_30default_config_static_selectorELNS0_4arch9wavefront6targetE1EEEvT1_ ; -- Begin function _ZN7rocprim17ROCPRIM_400000_NS6detail17trampoline_kernelINS0_14default_configENS1_20scan_config_selectorIsEEZZNS1_9scan_implILNS1_25lookback_scan_determinismE0ELb1ELb1ES3_N6thrust23THRUST_200600_302600_NS6detail15normal_iteratorINS9_10device_ptrIsEEEESE_sNS9_4plusIvEEsEEDaPvRmT3_T4_T5_mT6_P12ihipStream_tbENKUlT_T0_E_clISt17integral_constantIbLb1EEST_IbLb0EEEEDaSP_SQ_EUlSP_E0_NS1_11comp_targetILNS1_3genE10ELNS1_11target_archE1200ELNS1_3gpuE4ELNS1_3repE0EEENS1_30default_config_static_selectorELNS0_4arch9wavefront6targetE1EEEvT1_
	.globl	_ZN7rocprim17ROCPRIM_400000_NS6detail17trampoline_kernelINS0_14default_configENS1_20scan_config_selectorIsEEZZNS1_9scan_implILNS1_25lookback_scan_determinismE0ELb1ELb1ES3_N6thrust23THRUST_200600_302600_NS6detail15normal_iteratorINS9_10device_ptrIsEEEESE_sNS9_4plusIvEEsEEDaPvRmT3_T4_T5_mT6_P12ihipStream_tbENKUlT_T0_E_clISt17integral_constantIbLb1EEST_IbLb0EEEEDaSP_SQ_EUlSP_E0_NS1_11comp_targetILNS1_3genE10ELNS1_11target_archE1200ELNS1_3gpuE4ELNS1_3repE0EEENS1_30default_config_static_selectorELNS0_4arch9wavefront6targetE1EEEvT1_
	.p2align	8
	.type	_ZN7rocprim17ROCPRIM_400000_NS6detail17trampoline_kernelINS0_14default_configENS1_20scan_config_selectorIsEEZZNS1_9scan_implILNS1_25lookback_scan_determinismE0ELb1ELb1ES3_N6thrust23THRUST_200600_302600_NS6detail15normal_iteratorINS9_10device_ptrIsEEEESE_sNS9_4plusIvEEsEEDaPvRmT3_T4_T5_mT6_P12ihipStream_tbENKUlT_T0_E_clISt17integral_constantIbLb1EEST_IbLb0EEEEDaSP_SQ_EUlSP_E0_NS1_11comp_targetILNS1_3genE10ELNS1_11target_archE1200ELNS1_3gpuE4ELNS1_3repE0EEENS1_30default_config_static_selectorELNS0_4arch9wavefront6targetE1EEEvT1_,@function
_ZN7rocprim17ROCPRIM_400000_NS6detail17trampoline_kernelINS0_14default_configENS1_20scan_config_selectorIsEEZZNS1_9scan_implILNS1_25lookback_scan_determinismE0ELb1ELb1ES3_N6thrust23THRUST_200600_302600_NS6detail15normal_iteratorINS9_10device_ptrIsEEEESE_sNS9_4plusIvEEsEEDaPvRmT3_T4_T5_mT6_P12ihipStream_tbENKUlT_T0_E_clISt17integral_constantIbLb1EEST_IbLb0EEEEDaSP_SQ_EUlSP_E0_NS1_11comp_targetILNS1_3genE10ELNS1_11target_archE1200ELNS1_3gpuE4ELNS1_3repE0EEENS1_30default_config_static_selectorELNS0_4arch9wavefront6targetE1EEEvT1_: ; @_ZN7rocprim17ROCPRIM_400000_NS6detail17trampoline_kernelINS0_14default_configENS1_20scan_config_selectorIsEEZZNS1_9scan_implILNS1_25lookback_scan_determinismE0ELb1ELb1ES3_N6thrust23THRUST_200600_302600_NS6detail15normal_iteratorINS9_10device_ptrIsEEEESE_sNS9_4plusIvEEsEEDaPvRmT3_T4_T5_mT6_P12ihipStream_tbENKUlT_T0_E_clISt17integral_constantIbLb1EEST_IbLb0EEEEDaSP_SQ_EUlSP_E0_NS1_11comp_targetILNS1_3genE10ELNS1_11target_archE1200ELNS1_3gpuE4ELNS1_3repE0EEENS1_30default_config_static_selectorELNS0_4arch9wavefront6targetE1EEEvT1_
; %bb.0:
	.section	.rodata,"a",@progbits
	.p2align	6, 0x0
	.amdhsa_kernel _ZN7rocprim17ROCPRIM_400000_NS6detail17trampoline_kernelINS0_14default_configENS1_20scan_config_selectorIsEEZZNS1_9scan_implILNS1_25lookback_scan_determinismE0ELb1ELb1ES3_N6thrust23THRUST_200600_302600_NS6detail15normal_iteratorINS9_10device_ptrIsEEEESE_sNS9_4plusIvEEsEEDaPvRmT3_T4_T5_mT6_P12ihipStream_tbENKUlT_T0_E_clISt17integral_constantIbLb1EEST_IbLb0EEEEDaSP_SQ_EUlSP_E0_NS1_11comp_targetILNS1_3genE10ELNS1_11target_archE1200ELNS1_3gpuE4ELNS1_3repE0EEENS1_30default_config_static_selectorELNS0_4arch9wavefront6targetE1EEEvT1_
		.amdhsa_group_segment_fixed_size 0
		.amdhsa_private_segment_fixed_size 0
		.amdhsa_kernarg_size 32
		.amdhsa_user_sgpr_count 6
		.amdhsa_user_sgpr_private_segment_buffer 1
		.amdhsa_user_sgpr_dispatch_ptr 0
		.amdhsa_user_sgpr_queue_ptr 0
		.amdhsa_user_sgpr_kernarg_segment_ptr 1
		.amdhsa_user_sgpr_dispatch_id 0
		.amdhsa_user_sgpr_flat_scratch_init 0
		.amdhsa_user_sgpr_kernarg_preload_length 0
		.amdhsa_user_sgpr_kernarg_preload_offset 0
		.amdhsa_user_sgpr_private_segment_size 0
		.amdhsa_uses_dynamic_stack 0
		.amdhsa_system_sgpr_private_segment_wavefront_offset 0
		.amdhsa_system_sgpr_workgroup_id_x 1
		.amdhsa_system_sgpr_workgroup_id_y 0
		.amdhsa_system_sgpr_workgroup_id_z 0
		.amdhsa_system_sgpr_workgroup_info 0
		.amdhsa_system_vgpr_workitem_id 0
		.amdhsa_next_free_vgpr 1
		.amdhsa_next_free_sgpr 0
		.amdhsa_accum_offset 4
		.amdhsa_reserve_vcc 0
		.amdhsa_reserve_flat_scratch 0
		.amdhsa_float_round_mode_32 0
		.amdhsa_float_round_mode_16_64 0
		.amdhsa_float_denorm_mode_32 3
		.amdhsa_float_denorm_mode_16_64 3
		.amdhsa_dx10_clamp 1
		.amdhsa_ieee_mode 1
		.amdhsa_fp16_overflow 0
		.amdhsa_tg_split 0
		.amdhsa_exception_fp_ieee_invalid_op 0
		.amdhsa_exception_fp_denorm_src 0
		.amdhsa_exception_fp_ieee_div_zero 0
		.amdhsa_exception_fp_ieee_overflow 0
		.amdhsa_exception_fp_ieee_underflow 0
		.amdhsa_exception_fp_ieee_inexact 0
		.amdhsa_exception_int_div_zero 0
	.end_amdhsa_kernel
	.section	.text._ZN7rocprim17ROCPRIM_400000_NS6detail17trampoline_kernelINS0_14default_configENS1_20scan_config_selectorIsEEZZNS1_9scan_implILNS1_25lookback_scan_determinismE0ELb1ELb1ES3_N6thrust23THRUST_200600_302600_NS6detail15normal_iteratorINS9_10device_ptrIsEEEESE_sNS9_4plusIvEEsEEDaPvRmT3_T4_T5_mT6_P12ihipStream_tbENKUlT_T0_E_clISt17integral_constantIbLb1EEST_IbLb0EEEEDaSP_SQ_EUlSP_E0_NS1_11comp_targetILNS1_3genE10ELNS1_11target_archE1200ELNS1_3gpuE4ELNS1_3repE0EEENS1_30default_config_static_selectorELNS0_4arch9wavefront6targetE1EEEvT1_,"axG",@progbits,_ZN7rocprim17ROCPRIM_400000_NS6detail17trampoline_kernelINS0_14default_configENS1_20scan_config_selectorIsEEZZNS1_9scan_implILNS1_25lookback_scan_determinismE0ELb1ELb1ES3_N6thrust23THRUST_200600_302600_NS6detail15normal_iteratorINS9_10device_ptrIsEEEESE_sNS9_4plusIvEEsEEDaPvRmT3_T4_T5_mT6_P12ihipStream_tbENKUlT_T0_E_clISt17integral_constantIbLb1EEST_IbLb0EEEEDaSP_SQ_EUlSP_E0_NS1_11comp_targetILNS1_3genE10ELNS1_11target_archE1200ELNS1_3gpuE4ELNS1_3repE0EEENS1_30default_config_static_selectorELNS0_4arch9wavefront6targetE1EEEvT1_,comdat
.Lfunc_end1030:
	.size	_ZN7rocprim17ROCPRIM_400000_NS6detail17trampoline_kernelINS0_14default_configENS1_20scan_config_selectorIsEEZZNS1_9scan_implILNS1_25lookback_scan_determinismE0ELb1ELb1ES3_N6thrust23THRUST_200600_302600_NS6detail15normal_iteratorINS9_10device_ptrIsEEEESE_sNS9_4plusIvEEsEEDaPvRmT3_T4_T5_mT6_P12ihipStream_tbENKUlT_T0_E_clISt17integral_constantIbLb1EEST_IbLb0EEEEDaSP_SQ_EUlSP_E0_NS1_11comp_targetILNS1_3genE10ELNS1_11target_archE1200ELNS1_3gpuE4ELNS1_3repE0EEENS1_30default_config_static_selectorELNS0_4arch9wavefront6targetE1EEEvT1_, .Lfunc_end1030-_ZN7rocprim17ROCPRIM_400000_NS6detail17trampoline_kernelINS0_14default_configENS1_20scan_config_selectorIsEEZZNS1_9scan_implILNS1_25lookback_scan_determinismE0ELb1ELb1ES3_N6thrust23THRUST_200600_302600_NS6detail15normal_iteratorINS9_10device_ptrIsEEEESE_sNS9_4plusIvEEsEEDaPvRmT3_T4_T5_mT6_P12ihipStream_tbENKUlT_T0_E_clISt17integral_constantIbLb1EEST_IbLb0EEEEDaSP_SQ_EUlSP_E0_NS1_11comp_targetILNS1_3genE10ELNS1_11target_archE1200ELNS1_3gpuE4ELNS1_3repE0EEENS1_30default_config_static_selectorELNS0_4arch9wavefront6targetE1EEEvT1_
                                        ; -- End function
	.section	.AMDGPU.csdata,"",@progbits
; Kernel info:
; codeLenInByte = 0
; NumSgprs: 4
; NumVgprs: 0
; NumAgprs: 0
; TotalNumVgprs: 0
; ScratchSize: 0
; MemoryBound: 0
; FloatMode: 240
; IeeeMode: 1
; LDSByteSize: 0 bytes/workgroup (compile time only)
; SGPRBlocks: 0
; VGPRBlocks: 0
; NumSGPRsForWavesPerEU: 4
; NumVGPRsForWavesPerEU: 1
; AccumOffset: 4
; Occupancy: 8
; WaveLimiterHint : 0
; COMPUTE_PGM_RSRC2:SCRATCH_EN: 0
; COMPUTE_PGM_RSRC2:USER_SGPR: 6
; COMPUTE_PGM_RSRC2:TRAP_HANDLER: 0
; COMPUTE_PGM_RSRC2:TGID_X_EN: 1
; COMPUTE_PGM_RSRC2:TGID_Y_EN: 0
; COMPUTE_PGM_RSRC2:TGID_Z_EN: 0
; COMPUTE_PGM_RSRC2:TIDIG_COMP_CNT: 0
; COMPUTE_PGM_RSRC3_GFX90A:ACCUM_OFFSET: 0
; COMPUTE_PGM_RSRC3_GFX90A:TG_SPLIT: 0
	.section	.text._ZN7rocprim17ROCPRIM_400000_NS6detail17trampoline_kernelINS0_14default_configENS1_20scan_config_selectorIsEEZZNS1_9scan_implILNS1_25lookback_scan_determinismE0ELb1ELb1ES3_N6thrust23THRUST_200600_302600_NS6detail15normal_iteratorINS9_10device_ptrIsEEEESE_sNS9_4plusIvEEsEEDaPvRmT3_T4_T5_mT6_P12ihipStream_tbENKUlT_T0_E_clISt17integral_constantIbLb1EEST_IbLb0EEEEDaSP_SQ_EUlSP_E0_NS1_11comp_targetILNS1_3genE9ELNS1_11target_archE1100ELNS1_3gpuE3ELNS1_3repE0EEENS1_30default_config_static_selectorELNS0_4arch9wavefront6targetE1EEEvT1_,"axG",@progbits,_ZN7rocprim17ROCPRIM_400000_NS6detail17trampoline_kernelINS0_14default_configENS1_20scan_config_selectorIsEEZZNS1_9scan_implILNS1_25lookback_scan_determinismE0ELb1ELb1ES3_N6thrust23THRUST_200600_302600_NS6detail15normal_iteratorINS9_10device_ptrIsEEEESE_sNS9_4plusIvEEsEEDaPvRmT3_T4_T5_mT6_P12ihipStream_tbENKUlT_T0_E_clISt17integral_constantIbLb1EEST_IbLb0EEEEDaSP_SQ_EUlSP_E0_NS1_11comp_targetILNS1_3genE9ELNS1_11target_archE1100ELNS1_3gpuE3ELNS1_3repE0EEENS1_30default_config_static_selectorELNS0_4arch9wavefront6targetE1EEEvT1_,comdat
	.protected	_ZN7rocprim17ROCPRIM_400000_NS6detail17trampoline_kernelINS0_14default_configENS1_20scan_config_selectorIsEEZZNS1_9scan_implILNS1_25lookback_scan_determinismE0ELb1ELb1ES3_N6thrust23THRUST_200600_302600_NS6detail15normal_iteratorINS9_10device_ptrIsEEEESE_sNS9_4plusIvEEsEEDaPvRmT3_T4_T5_mT6_P12ihipStream_tbENKUlT_T0_E_clISt17integral_constantIbLb1EEST_IbLb0EEEEDaSP_SQ_EUlSP_E0_NS1_11comp_targetILNS1_3genE9ELNS1_11target_archE1100ELNS1_3gpuE3ELNS1_3repE0EEENS1_30default_config_static_selectorELNS0_4arch9wavefront6targetE1EEEvT1_ ; -- Begin function _ZN7rocprim17ROCPRIM_400000_NS6detail17trampoline_kernelINS0_14default_configENS1_20scan_config_selectorIsEEZZNS1_9scan_implILNS1_25lookback_scan_determinismE0ELb1ELb1ES3_N6thrust23THRUST_200600_302600_NS6detail15normal_iteratorINS9_10device_ptrIsEEEESE_sNS9_4plusIvEEsEEDaPvRmT3_T4_T5_mT6_P12ihipStream_tbENKUlT_T0_E_clISt17integral_constantIbLb1EEST_IbLb0EEEEDaSP_SQ_EUlSP_E0_NS1_11comp_targetILNS1_3genE9ELNS1_11target_archE1100ELNS1_3gpuE3ELNS1_3repE0EEENS1_30default_config_static_selectorELNS0_4arch9wavefront6targetE1EEEvT1_
	.globl	_ZN7rocprim17ROCPRIM_400000_NS6detail17trampoline_kernelINS0_14default_configENS1_20scan_config_selectorIsEEZZNS1_9scan_implILNS1_25lookback_scan_determinismE0ELb1ELb1ES3_N6thrust23THRUST_200600_302600_NS6detail15normal_iteratorINS9_10device_ptrIsEEEESE_sNS9_4plusIvEEsEEDaPvRmT3_T4_T5_mT6_P12ihipStream_tbENKUlT_T0_E_clISt17integral_constantIbLb1EEST_IbLb0EEEEDaSP_SQ_EUlSP_E0_NS1_11comp_targetILNS1_3genE9ELNS1_11target_archE1100ELNS1_3gpuE3ELNS1_3repE0EEENS1_30default_config_static_selectorELNS0_4arch9wavefront6targetE1EEEvT1_
	.p2align	8
	.type	_ZN7rocprim17ROCPRIM_400000_NS6detail17trampoline_kernelINS0_14default_configENS1_20scan_config_selectorIsEEZZNS1_9scan_implILNS1_25lookback_scan_determinismE0ELb1ELb1ES3_N6thrust23THRUST_200600_302600_NS6detail15normal_iteratorINS9_10device_ptrIsEEEESE_sNS9_4plusIvEEsEEDaPvRmT3_T4_T5_mT6_P12ihipStream_tbENKUlT_T0_E_clISt17integral_constantIbLb1EEST_IbLb0EEEEDaSP_SQ_EUlSP_E0_NS1_11comp_targetILNS1_3genE9ELNS1_11target_archE1100ELNS1_3gpuE3ELNS1_3repE0EEENS1_30default_config_static_selectorELNS0_4arch9wavefront6targetE1EEEvT1_,@function
_ZN7rocprim17ROCPRIM_400000_NS6detail17trampoline_kernelINS0_14default_configENS1_20scan_config_selectorIsEEZZNS1_9scan_implILNS1_25lookback_scan_determinismE0ELb1ELb1ES3_N6thrust23THRUST_200600_302600_NS6detail15normal_iteratorINS9_10device_ptrIsEEEESE_sNS9_4plusIvEEsEEDaPvRmT3_T4_T5_mT6_P12ihipStream_tbENKUlT_T0_E_clISt17integral_constantIbLb1EEST_IbLb0EEEEDaSP_SQ_EUlSP_E0_NS1_11comp_targetILNS1_3genE9ELNS1_11target_archE1100ELNS1_3gpuE3ELNS1_3repE0EEENS1_30default_config_static_selectorELNS0_4arch9wavefront6targetE1EEEvT1_: ; @_ZN7rocprim17ROCPRIM_400000_NS6detail17trampoline_kernelINS0_14default_configENS1_20scan_config_selectorIsEEZZNS1_9scan_implILNS1_25lookback_scan_determinismE0ELb1ELb1ES3_N6thrust23THRUST_200600_302600_NS6detail15normal_iteratorINS9_10device_ptrIsEEEESE_sNS9_4plusIvEEsEEDaPvRmT3_T4_T5_mT6_P12ihipStream_tbENKUlT_T0_E_clISt17integral_constantIbLb1EEST_IbLb0EEEEDaSP_SQ_EUlSP_E0_NS1_11comp_targetILNS1_3genE9ELNS1_11target_archE1100ELNS1_3gpuE3ELNS1_3repE0EEENS1_30default_config_static_selectorELNS0_4arch9wavefront6targetE1EEEvT1_
; %bb.0:
	.section	.rodata,"a",@progbits
	.p2align	6, 0x0
	.amdhsa_kernel _ZN7rocprim17ROCPRIM_400000_NS6detail17trampoline_kernelINS0_14default_configENS1_20scan_config_selectorIsEEZZNS1_9scan_implILNS1_25lookback_scan_determinismE0ELb1ELb1ES3_N6thrust23THRUST_200600_302600_NS6detail15normal_iteratorINS9_10device_ptrIsEEEESE_sNS9_4plusIvEEsEEDaPvRmT3_T4_T5_mT6_P12ihipStream_tbENKUlT_T0_E_clISt17integral_constantIbLb1EEST_IbLb0EEEEDaSP_SQ_EUlSP_E0_NS1_11comp_targetILNS1_3genE9ELNS1_11target_archE1100ELNS1_3gpuE3ELNS1_3repE0EEENS1_30default_config_static_selectorELNS0_4arch9wavefront6targetE1EEEvT1_
		.amdhsa_group_segment_fixed_size 0
		.amdhsa_private_segment_fixed_size 0
		.amdhsa_kernarg_size 32
		.amdhsa_user_sgpr_count 6
		.amdhsa_user_sgpr_private_segment_buffer 1
		.amdhsa_user_sgpr_dispatch_ptr 0
		.amdhsa_user_sgpr_queue_ptr 0
		.amdhsa_user_sgpr_kernarg_segment_ptr 1
		.amdhsa_user_sgpr_dispatch_id 0
		.amdhsa_user_sgpr_flat_scratch_init 0
		.amdhsa_user_sgpr_kernarg_preload_length 0
		.amdhsa_user_sgpr_kernarg_preload_offset 0
		.amdhsa_user_sgpr_private_segment_size 0
		.amdhsa_uses_dynamic_stack 0
		.amdhsa_system_sgpr_private_segment_wavefront_offset 0
		.amdhsa_system_sgpr_workgroup_id_x 1
		.amdhsa_system_sgpr_workgroup_id_y 0
		.amdhsa_system_sgpr_workgroup_id_z 0
		.amdhsa_system_sgpr_workgroup_info 0
		.amdhsa_system_vgpr_workitem_id 0
		.amdhsa_next_free_vgpr 1
		.amdhsa_next_free_sgpr 0
		.amdhsa_accum_offset 4
		.amdhsa_reserve_vcc 0
		.amdhsa_reserve_flat_scratch 0
		.amdhsa_float_round_mode_32 0
		.amdhsa_float_round_mode_16_64 0
		.amdhsa_float_denorm_mode_32 3
		.amdhsa_float_denorm_mode_16_64 3
		.amdhsa_dx10_clamp 1
		.amdhsa_ieee_mode 1
		.amdhsa_fp16_overflow 0
		.amdhsa_tg_split 0
		.amdhsa_exception_fp_ieee_invalid_op 0
		.amdhsa_exception_fp_denorm_src 0
		.amdhsa_exception_fp_ieee_div_zero 0
		.amdhsa_exception_fp_ieee_overflow 0
		.amdhsa_exception_fp_ieee_underflow 0
		.amdhsa_exception_fp_ieee_inexact 0
		.amdhsa_exception_int_div_zero 0
	.end_amdhsa_kernel
	.section	.text._ZN7rocprim17ROCPRIM_400000_NS6detail17trampoline_kernelINS0_14default_configENS1_20scan_config_selectorIsEEZZNS1_9scan_implILNS1_25lookback_scan_determinismE0ELb1ELb1ES3_N6thrust23THRUST_200600_302600_NS6detail15normal_iteratorINS9_10device_ptrIsEEEESE_sNS9_4plusIvEEsEEDaPvRmT3_T4_T5_mT6_P12ihipStream_tbENKUlT_T0_E_clISt17integral_constantIbLb1EEST_IbLb0EEEEDaSP_SQ_EUlSP_E0_NS1_11comp_targetILNS1_3genE9ELNS1_11target_archE1100ELNS1_3gpuE3ELNS1_3repE0EEENS1_30default_config_static_selectorELNS0_4arch9wavefront6targetE1EEEvT1_,"axG",@progbits,_ZN7rocprim17ROCPRIM_400000_NS6detail17trampoline_kernelINS0_14default_configENS1_20scan_config_selectorIsEEZZNS1_9scan_implILNS1_25lookback_scan_determinismE0ELb1ELb1ES3_N6thrust23THRUST_200600_302600_NS6detail15normal_iteratorINS9_10device_ptrIsEEEESE_sNS9_4plusIvEEsEEDaPvRmT3_T4_T5_mT6_P12ihipStream_tbENKUlT_T0_E_clISt17integral_constantIbLb1EEST_IbLb0EEEEDaSP_SQ_EUlSP_E0_NS1_11comp_targetILNS1_3genE9ELNS1_11target_archE1100ELNS1_3gpuE3ELNS1_3repE0EEENS1_30default_config_static_selectorELNS0_4arch9wavefront6targetE1EEEvT1_,comdat
.Lfunc_end1031:
	.size	_ZN7rocprim17ROCPRIM_400000_NS6detail17trampoline_kernelINS0_14default_configENS1_20scan_config_selectorIsEEZZNS1_9scan_implILNS1_25lookback_scan_determinismE0ELb1ELb1ES3_N6thrust23THRUST_200600_302600_NS6detail15normal_iteratorINS9_10device_ptrIsEEEESE_sNS9_4plusIvEEsEEDaPvRmT3_T4_T5_mT6_P12ihipStream_tbENKUlT_T0_E_clISt17integral_constantIbLb1EEST_IbLb0EEEEDaSP_SQ_EUlSP_E0_NS1_11comp_targetILNS1_3genE9ELNS1_11target_archE1100ELNS1_3gpuE3ELNS1_3repE0EEENS1_30default_config_static_selectorELNS0_4arch9wavefront6targetE1EEEvT1_, .Lfunc_end1031-_ZN7rocprim17ROCPRIM_400000_NS6detail17trampoline_kernelINS0_14default_configENS1_20scan_config_selectorIsEEZZNS1_9scan_implILNS1_25lookback_scan_determinismE0ELb1ELb1ES3_N6thrust23THRUST_200600_302600_NS6detail15normal_iteratorINS9_10device_ptrIsEEEESE_sNS9_4plusIvEEsEEDaPvRmT3_T4_T5_mT6_P12ihipStream_tbENKUlT_T0_E_clISt17integral_constantIbLb1EEST_IbLb0EEEEDaSP_SQ_EUlSP_E0_NS1_11comp_targetILNS1_3genE9ELNS1_11target_archE1100ELNS1_3gpuE3ELNS1_3repE0EEENS1_30default_config_static_selectorELNS0_4arch9wavefront6targetE1EEEvT1_
                                        ; -- End function
	.section	.AMDGPU.csdata,"",@progbits
; Kernel info:
; codeLenInByte = 0
; NumSgprs: 4
; NumVgprs: 0
; NumAgprs: 0
; TotalNumVgprs: 0
; ScratchSize: 0
; MemoryBound: 0
; FloatMode: 240
; IeeeMode: 1
; LDSByteSize: 0 bytes/workgroup (compile time only)
; SGPRBlocks: 0
; VGPRBlocks: 0
; NumSGPRsForWavesPerEU: 4
; NumVGPRsForWavesPerEU: 1
; AccumOffset: 4
; Occupancy: 8
; WaveLimiterHint : 0
; COMPUTE_PGM_RSRC2:SCRATCH_EN: 0
; COMPUTE_PGM_RSRC2:USER_SGPR: 6
; COMPUTE_PGM_RSRC2:TRAP_HANDLER: 0
; COMPUTE_PGM_RSRC2:TGID_X_EN: 1
; COMPUTE_PGM_RSRC2:TGID_Y_EN: 0
; COMPUTE_PGM_RSRC2:TGID_Z_EN: 0
; COMPUTE_PGM_RSRC2:TIDIG_COMP_CNT: 0
; COMPUTE_PGM_RSRC3_GFX90A:ACCUM_OFFSET: 0
; COMPUTE_PGM_RSRC3_GFX90A:TG_SPLIT: 0
	.section	.text._ZN7rocprim17ROCPRIM_400000_NS6detail17trampoline_kernelINS0_14default_configENS1_20scan_config_selectorIsEEZZNS1_9scan_implILNS1_25lookback_scan_determinismE0ELb1ELb1ES3_N6thrust23THRUST_200600_302600_NS6detail15normal_iteratorINS9_10device_ptrIsEEEESE_sNS9_4plusIvEEsEEDaPvRmT3_T4_T5_mT6_P12ihipStream_tbENKUlT_T0_E_clISt17integral_constantIbLb1EEST_IbLb0EEEEDaSP_SQ_EUlSP_E0_NS1_11comp_targetILNS1_3genE8ELNS1_11target_archE1030ELNS1_3gpuE2ELNS1_3repE0EEENS1_30default_config_static_selectorELNS0_4arch9wavefront6targetE1EEEvT1_,"axG",@progbits,_ZN7rocprim17ROCPRIM_400000_NS6detail17trampoline_kernelINS0_14default_configENS1_20scan_config_selectorIsEEZZNS1_9scan_implILNS1_25lookback_scan_determinismE0ELb1ELb1ES3_N6thrust23THRUST_200600_302600_NS6detail15normal_iteratorINS9_10device_ptrIsEEEESE_sNS9_4plusIvEEsEEDaPvRmT3_T4_T5_mT6_P12ihipStream_tbENKUlT_T0_E_clISt17integral_constantIbLb1EEST_IbLb0EEEEDaSP_SQ_EUlSP_E0_NS1_11comp_targetILNS1_3genE8ELNS1_11target_archE1030ELNS1_3gpuE2ELNS1_3repE0EEENS1_30default_config_static_selectorELNS0_4arch9wavefront6targetE1EEEvT1_,comdat
	.protected	_ZN7rocprim17ROCPRIM_400000_NS6detail17trampoline_kernelINS0_14default_configENS1_20scan_config_selectorIsEEZZNS1_9scan_implILNS1_25lookback_scan_determinismE0ELb1ELb1ES3_N6thrust23THRUST_200600_302600_NS6detail15normal_iteratorINS9_10device_ptrIsEEEESE_sNS9_4plusIvEEsEEDaPvRmT3_T4_T5_mT6_P12ihipStream_tbENKUlT_T0_E_clISt17integral_constantIbLb1EEST_IbLb0EEEEDaSP_SQ_EUlSP_E0_NS1_11comp_targetILNS1_3genE8ELNS1_11target_archE1030ELNS1_3gpuE2ELNS1_3repE0EEENS1_30default_config_static_selectorELNS0_4arch9wavefront6targetE1EEEvT1_ ; -- Begin function _ZN7rocprim17ROCPRIM_400000_NS6detail17trampoline_kernelINS0_14default_configENS1_20scan_config_selectorIsEEZZNS1_9scan_implILNS1_25lookback_scan_determinismE0ELb1ELb1ES3_N6thrust23THRUST_200600_302600_NS6detail15normal_iteratorINS9_10device_ptrIsEEEESE_sNS9_4plusIvEEsEEDaPvRmT3_T4_T5_mT6_P12ihipStream_tbENKUlT_T0_E_clISt17integral_constantIbLb1EEST_IbLb0EEEEDaSP_SQ_EUlSP_E0_NS1_11comp_targetILNS1_3genE8ELNS1_11target_archE1030ELNS1_3gpuE2ELNS1_3repE0EEENS1_30default_config_static_selectorELNS0_4arch9wavefront6targetE1EEEvT1_
	.globl	_ZN7rocprim17ROCPRIM_400000_NS6detail17trampoline_kernelINS0_14default_configENS1_20scan_config_selectorIsEEZZNS1_9scan_implILNS1_25lookback_scan_determinismE0ELb1ELb1ES3_N6thrust23THRUST_200600_302600_NS6detail15normal_iteratorINS9_10device_ptrIsEEEESE_sNS9_4plusIvEEsEEDaPvRmT3_T4_T5_mT6_P12ihipStream_tbENKUlT_T0_E_clISt17integral_constantIbLb1EEST_IbLb0EEEEDaSP_SQ_EUlSP_E0_NS1_11comp_targetILNS1_3genE8ELNS1_11target_archE1030ELNS1_3gpuE2ELNS1_3repE0EEENS1_30default_config_static_selectorELNS0_4arch9wavefront6targetE1EEEvT1_
	.p2align	8
	.type	_ZN7rocprim17ROCPRIM_400000_NS6detail17trampoline_kernelINS0_14default_configENS1_20scan_config_selectorIsEEZZNS1_9scan_implILNS1_25lookback_scan_determinismE0ELb1ELb1ES3_N6thrust23THRUST_200600_302600_NS6detail15normal_iteratorINS9_10device_ptrIsEEEESE_sNS9_4plusIvEEsEEDaPvRmT3_T4_T5_mT6_P12ihipStream_tbENKUlT_T0_E_clISt17integral_constantIbLb1EEST_IbLb0EEEEDaSP_SQ_EUlSP_E0_NS1_11comp_targetILNS1_3genE8ELNS1_11target_archE1030ELNS1_3gpuE2ELNS1_3repE0EEENS1_30default_config_static_selectorELNS0_4arch9wavefront6targetE1EEEvT1_,@function
_ZN7rocprim17ROCPRIM_400000_NS6detail17trampoline_kernelINS0_14default_configENS1_20scan_config_selectorIsEEZZNS1_9scan_implILNS1_25lookback_scan_determinismE0ELb1ELb1ES3_N6thrust23THRUST_200600_302600_NS6detail15normal_iteratorINS9_10device_ptrIsEEEESE_sNS9_4plusIvEEsEEDaPvRmT3_T4_T5_mT6_P12ihipStream_tbENKUlT_T0_E_clISt17integral_constantIbLb1EEST_IbLb0EEEEDaSP_SQ_EUlSP_E0_NS1_11comp_targetILNS1_3genE8ELNS1_11target_archE1030ELNS1_3gpuE2ELNS1_3repE0EEENS1_30default_config_static_selectorELNS0_4arch9wavefront6targetE1EEEvT1_: ; @_ZN7rocprim17ROCPRIM_400000_NS6detail17trampoline_kernelINS0_14default_configENS1_20scan_config_selectorIsEEZZNS1_9scan_implILNS1_25lookback_scan_determinismE0ELb1ELb1ES3_N6thrust23THRUST_200600_302600_NS6detail15normal_iteratorINS9_10device_ptrIsEEEESE_sNS9_4plusIvEEsEEDaPvRmT3_T4_T5_mT6_P12ihipStream_tbENKUlT_T0_E_clISt17integral_constantIbLb1EEST_IbLb0EEEEDaSP_SQ_EUlSP_E0_NS1_11comp_targetILNS1_3genE8ELNS1_11target_archE1030ELNS1_3gpuE2ELNS1_3repE0EEENS1_30default_config_static_selectorELNS0_4arch9wavefront6targetE1EEEvT1_
; %bb.0:
	.section	.rodata,"a",@progbits
	.p2align	6, 0x0
	.amdhsa_kernel _ZN7rocprim17ROCPRIM_400000_NS6detail17trampoline_kernelINS0_14default_configENS1_20scan_config_selectorIsEEZZNS1_9scan_implILNS1_25lookback_scan_determinismE0ELb1ELb1ES3_N6thrust23THRUST_200600_302600_NS6detail15normal_iteratorINS9_10device_ptrIsEEEESE_sNS9_4plusIvEEsEEDaPvRmT3_T4_T5_mT6_P12ihipStream_tbENKUlT_T0_E_clISt17integral_constantIbLb1EEST_IbLb0EEEEDaSP_SQ_EUlSP_E0_NS1_11comp_targetILNS1_3genE8ELNS1_11target_archE1030ELNS1_3gpuE2ELNS1_3repE0EEENS1_30default_config_static_selectorELNS0_4arch9wavefront6targetE1EEEvT1_
		.amdhsa_group_segment_fixed_size 0
		.amdhsa_private_segment_fixed_size 0
		.amdhsa_kernarg_size 32
		.amdhsa_user_sgpr_count 6
		.amdhsa_user_sgpr_private_segment_buffer 1
		.amdhsa_user_sgpr_dispatch_ptr 0
		.amdhsa_user_sgpr_queue_ptr 0
		.amdhsa_user_sgpr_kernarg_segment_ptr 1
		.amdhsa_user_sgpr_dispatch_id 0
		.amdhsa_user_sgpr_flat_scratch_init 0
		.amdhsa_user_sgpr_kernarg_preload_length 0
		.amdhsa_user_sgpr_kernarg_preload_offset 0
		.amdhsa_user_sgpr_private_segment_size 0
		.amdhsa_uses_dynamic_stack 0
		.amdhsa_system_sgpr_private_segment_wavefront_offset 0
		.amdhsa_system_sgpr_workgroup_id_x 1
		.amdhsa_system_sgpr_workgroup_id_y 0
		.amdhsa_system_sgpr_workgroup_id_z 0
		.amdhsa_system_sgpr_workgroup_info 0
		.amdhsa_system_vgpr_workitem_id 0
		.amdhsa_next_free_vgpr 1
		.amdhsa_next_free_sgpr 0
		.amdhsa_accum_offset 4
		.amdhsa_reserve_vcc 0
		.amdhsa_reserve_flat_scratch 0
		.amdhsa_float_round_mode_32 0
		.amdhsa_float_round_mode_16_64 0
		.amdhsa_float_denorm_mode_32 3
		.amdhsa_float_denorm_mode_16_64 3
		.amdhsa_dx10_clamp 1
		.amdhsa_ieee_mode 1
		.amdhsa_fp16_overflow 0
		.amdhsa_tg_split 0
		.amdhsa_exception_fp_ieee_invalid_op 0
		.amdhsa_exception_fp_denorm_src 0
		.amdhsa_exception_fp_ieee_div_zero 0
		.amdhsa_exception_fp_ieee_overflow 0
		.amdhsa_exception_fp_ieee_underflow 0
		.amdhsa_exception_fp_ieee_inexact 0
		.amdhsa_exception_int_div_zero 0
	.end_amdhsa_kernel
	.section	.text._ZN7rocprim17ROCPRIM_400000_NS6detail17trampoline_kernelINS0_14default_configENS1_20scan_config_selectorIsEEZZNS1_9scan_implILNS1_25lookback_scan_determinismE0ELb1ELb1ES3_N6thrust23THRUST_200600_302600_NS6detail15normal_iteratorINS9_10device_ptrIsEEEESE_sNS9_4plusIvEEsEEDaPvRmT3_T4_T5_mT6_P12ihipStream_tbENKUlT_T0_E_clISt17integral_constantIbLb1EEST_IbLb0EEEEDaSP_SQ_EUlSP_E0_NS1_11comp_targetILNS1_3genE8ELNS1_11target_archE1030ELNS1_3gpuE2ELNS1_3repE0EEENS1_30default_config_static_selectorELNS0_4arch9wavefront6targetE1EEEvT1_,"axG",@progbits,_ZN7rocprim17ROCPRIM_400000_NS6detail17trampoline_kernelINS0_14default_configENS1_20scan_config_selectorIsEEZZNS1_9scan_implILNS1_25lookback_scan_determinismE0ELb1ELb1ES3_N6thrust23THRUST_200600_302600_NS6detail15normal_iteratorINS9_10device_ptrIsEEEESE_sNS9_4plusIvEEsEEDaPvRmT3_T4_T5_mT6_P12ihipStream_tbENKUlT_T0_E_clISt17integral_constantIbLb1EEST_IbLb0EEEEDaSP_SQ_EUlSP_E0_NS1_11comp_targetILNS1_3genE8ELNS1_11target_archE1030ELNS1_3gpuE2ELNS1_3repE0EEENS1_30default_config_static_selectorELNS0_4arch9wavefront6targetE1EEEvT1_,comdat
.Lfunc_end1032:
	.size	_ZN7rocprim17ROCPRIM_400000_NS6detail17trampoline_kernelINS0_14default_configENS1_20scan_config_selectorIsEEZZNS1_9scan_implILNS1_25lookback_scan_determinismE0ELb1ELb1ES3_N6thrust23THRUST_200600_302600_NS6detail15normal_iteratorINS9_10device_ptrIsEEEESE_sNS9_4plusIvEEsEEDaPvRmT3_T4_T5_mT6_P12ihipStream_tbENKUlT_T0_E_clISt17integral_constantIbLb1EEST_IbLb0EEEEDaSP_SQ_EUlSP_E0_NS1_11comp_targetILNS1_3genE8ELNS1_11target_archE1030ELNS1_3gpuE2ELNS1_3repE0EEENS1_30default_config_static_selectorELNS0_4arch9wavefront6targetE1EEEvT1_, .Lfunc_end1032-_ZN7rocprim17ROCPRIM_400000_NS6detail17trampoline_kernelINS0_14default_configENS1_20scan_config_selectorIsEEZZNS1_9scan_implILNS1_25lookback_scan_determinismE0ELb1ELb1ES3_N6thrust23THRUST_200600_302600_NS6detail15normal_iteratorINS9_10device_ptrIsEEEESE_sNS9_4plusIvEEsEEDaPvRmT3_T4_T5_mT6_P12ihipStream_tbENKUlT_T0_E_clISt17integral_constantIbLb1EEST_IbLb0EEEEDaSP_SQ_EUlSP_E0_NS1_11comp_targetILNS1_3genE8ELNS1_11target_archE1030ELNS1_3gpuE2ELNS1_3repE0EEENS1_30default_config_static_selectorELNS0_4arch9wavefront6targetE1EEEvT1_
                                        ; -- End function
	.section	.AMDGPU.csdata,"",@progbits
; Kernel info:
; codeLenInByte = 0
; NumSgprs: 4
; NumVgprs: 0
; NumAgprs: 0
; TotalNumVgprs: 0
; ScratchSize: 0
; MemoryBound: 0
; FloatMode: 240
; IeeeMode: 1
; LDSByteSize: 0 bytes/workgroup (compile time only)
; SGPRBlocks: 0
; VGPRBlocks: 0
; NumSGPRsForWavesPerEU: 4
; NumVGPRsForWavesPerEU: 1
; AccumOffset: 4
; Occupancy: 8
; WaveLimiterHint : 0
; COMPUTE_PGM_RSRC2:SCRATCH_EN: 0
; COMPUTE_PGM_RSRC2:USER_SGPR: 6
; COMPUTE_PGM_RSRC2:TRAP_HANDLER: 0
; COMPUTE_PGM_RSRC2:TGID_X_EN: 1
; COMPUTE_PGM_RSRC2:TGID_Y_EN: 0
; COMPUTE_PGM_RSRC2:TGID_Z_EN: 0
; COMPUTE_PGM_RSRC2:TIDIG_COMP_CNT: 0
; COMPUTE_PGM_RSRC3_GFX90A:ACCUM_OFFSET: 0
; COMPUTE_PGM_RSRC3_GFX90A:TG_SPLIT: 0
	.section	.text._ZN7rocprim17ROCPRIM_400000_NS6detail17trampoline_kernelINS0_14default_configENS1_20scan_config_selectorIsEEZZNS1_9scan_implILNS1_25lookback_scan_determinismE0ELb1ELb1ES3_N6thrust23THRUST_200600_302600_NS6detail15normal_iteratorINS9_10device_ptrIsEEEESE_sNS9_4plusIvEEsEEDaPvRmT3_T4_T5_mT6_P12ihipStream_tbENKUlT_T0_E_clISt17integral_constantIbLb0EEST_IbLb1EEEEDaSP_SQ_EUlSP_E_NS1_11comp_targetILNS1_3genE0ELNS1_11target_archE4294967295ELNS1_3gpuE0ELNS1_3repE0EEENS1_30default_config_static_selectorELNS0_4arch9wavefront6targetE1EEEvT1_,"axG",@progbits,_ZN7rocprim17ROCPRIM_400000_NS6detail17trampoline_kernelINS0_14default_configENS1_20scan_config_selectorIsEEZZNS1_9scan_implILNS1_25lookback_scan_determinismE0ELb1ELb1ES3_N6thrust23THRUST_200600_302600_NS6detail15normal_iteratorINS9_10device_ptrIsEEEESE_sNS9_4plusIvEEsEEDaPvRmT3_T4_T5_mT6_P12ihipStream_tbENKUlT_T0_E_clISt17integral_constantIbLb0EEST_IbLb1EEEEDaSP_SQ_EUlSP_E_NS1_11comp_targetILNS1_3genE0ELNS1_11target_archE4294967295ELNS1_3gpuE0ELNS1_3repE0EEENS1_30default_config_static_selectorELNS0_4arch9wavefront6targetE1EEEvT1_,comdat
	.protected	_ZN7rocprim17ROCPRIM_400000_NS6detail17trampoline_kernelINS0_14default_configENS1_20scan_config_selectorIsEEZZNS1_9scan_implILNS1_25lookback_scan_determinismE0ELb1ELb1ES3_N6thrust23THRUST_200600_302600_NS6detail15normal_iteratorINS9_10device_ptrIsEEEESE_sNS9_4plusIvEEsEEDaPvRmT3_T4_T5_mT6_P12ihipStream_tbENKUlT_T0_E_clISt17integral_constantIbLb0EEST_IbLb1EEEEDaSP_SQ_EUlSP_E_NS1_11comp_targetILNS1_3genE0ELNS1_11target_archE4294967295ELNS1_3gpuE0ELNS1_3repE0EEENS1_30default_config_static_selectorELNS0_4arch9wavefront6targetE1EEEvT1_ ; -- Begin function _ZN7rocprim17ROCPRIM_400000_NS6detail17trampoline_kernelINS0_14default_configENS1_20scan_config_selectorIsEEZZNS1_9scan_implILNS1_25lookback_scan_determinismE0ELb1ELb1ES3_N6thrust23THRUST_200600_302600_NS6detail15normal_iteratorINS9_10device_ptrIsEEEESE_sNS9_4plusIvEEsEEDaPvRmT3_T4_T5_mT6_P12ihipStream_tbENKUlT_T0_E_clISt17integral_constantIbLb0EEST_IbLb1EEEEDaSP_SQ_EUlSP_E_NS1_11comp_targetILNS1_3genE0ELNS1_11target_archE4294967295ELNS1_3gpuE0ELNS1_3repE0EEENS1_30default_config_static_selectorELNS0_4arch9wavefront6targetE1EEEvT1_
	.globl	_ZN7rocprim17ROCPRIM_400000_NS6detail17trampoline_kernelINS0_14default_configENS1_20scan_config_selectorIsEEZZNS1_9scan_implILNS1_25lookback_scan_determinismE0ELb1ELb1ES3_N6thrust23THRUST_200600_302600_NS6detail15normal_iteratorINS9_10device_ptrIsEEEESE_sNS9_4plusIvEEsEEDaPvRmT3_T4_T5_mT6_P12ihipStream_tbENKUlT_T0_E_clISt17integral_constantIbLb0EEST_IbLb1EEEEDaSP_SQ_EUlSP_E_NS1_11comp_targetILNS1_3genE0ELNS1_11target_archE4294967295ELNS1_3gpuE0ELNS1_3repE0EEENS1_30default_config_static_selectorELNS0_4arch9wavefront6targetE1EEEvT1_
	.p2align	8
	.type	_ZN7rocprim17ROCPRIM_400000_NS6detail17trampoline_kernelINS0_14default_configENS1_20scan_config_selectorIsEEZZNS1_9scan_implILNS1_25lookback_scan_determinismE0ELb1ELb1ES3_N6thrust23THRUST_200600_302600_NS6detail15normal_iteratorINS9_10device_ptrIsEEEESE_sNS9_4plusIvEEsEEDaPvRmT3_T4_T5_mT6_P12ihipStream_tbENKUlT_T0_E_clISt17integral_constantIbLb0EEST_IbLb1EEEEDaSP_SQ_EUlSP_E_NS1_11comp_targetILNS1_3genE0ELNS1_11target_archE4294967295ELNS1_3gpuE0ELNS1_3repE0EEENS1_30default_config_static_selectorELNS0_4arch9wavefront6targetE1EEEvT1_,@function
_ZN7rocprim17ROCPRIM_400000_NS6detail17trampoline_kernelINS0_14default_configENS1_20scan_config_selectorIsEEZZNS1_9scan_implILNS1_25lookback_scan_determinismE0ELb1ELb1ES3_N6thrust23THRUST_200600_302600_NS6detail15normal_iteratorINS9_10device_ptrIsEEEESE_sNS9_4plusIvEEsEEDaPvRmT3_T4_T5_mT6_P12ihipStream_tbENKUlT_T0_E_clISt17integral_constantIbLb0EEST_IbLb1EEEEDaSP_SQ_EUlSP_E_NS1_11comp_targetILNS1_3genE0ELNS1_11target_archE4294967295ELNS1_3gpuE0ELNS1_3repE0EEENS1_30default_config_static_selectorELNS0_4arch9wavefront6targetE1EEEvT1_: ; @_ZN7rocprim17ROCPRIM_400000_NS6detail17trampoline_kernelINS0_14default_configENS1_20scan_config_selectorIsEEZZNS1_9scan_implILNS1_25lookback_scan_determinismE0ELb1ELb1ES3_N6thrust23THRUST_200600_302600_NS6detail15normal_iteratorINS9_10device_ptrIsEEEESE_sNS9_4plusIvEEsEEDaPvRmT3_T4_T5_mT6_P12ihipStream_tbENKUlT_T0_E_clISt17integral_constantIbLb0EEST_IbLb1EEEEDaSP_SQ_EUlSP_E_NS1_11comp_targetILNS1_3genE0ELNS1_11target_archE4294967295ELNS1_3gpuE0ELNS1_3repE0EEENS1_30default_config_static_selectorELNS0_4arch9wavefront6targetE1EEEvT1_
; %bb.0:
	.section	.rodata,"a",@progbits
	.p2align	6, 0x0
	.amdhsa_kernel _ZN7rocprim17ROCPRIM_400000_NS6detail17trampoline_kernelINS0_14default_configENS1_20scan_config_selectorIsEEZZNS1_9scan_implILNS1_25lookback_scan_determinismE0ELb1ELb1ES3_N6thrust23THRUST_200600_302600_NS6detail15normal_iteratorINS9_10device_ptrIsEEEESE_sNS9_4plusIvEEsEEDaPvRmT3_T4_T5_mT6_P12ihipStream_tbENKUlT_T0_E_clISt17integral_constantIbLb0EEST_IbLb1EEEEDaSP_SQ_EUlSP_E_NS1_11comp_targetILNS1_3genE0ELNS1_11target_archE4294967295ELNS1_3gpuE0ELNS1_3repE0EEENS1_30default_config_static_selectorELNS0_4arch9wavefront6targetE1EEEvT1_
		.amdhsa_group_segment_fixed_size 0
		.amdhsa_private_segment_fixed_size 0
		.amdhsa_kernarg_size 96
		.amdhsa_user_sgpr_count 6
		.amdhsa_user_sgpr_private_segment_buffer 1
		.amdhsa_user_sgpr_dispatch_ptr 0
		.amdhsa_user_sgpr_queue_ptr 0
		.amdhsa_user_sgpr_kernarg_segment_ptr 1
		.amdhsa_user_sgpr_dispatch_id 0
		.amdhsa_user_sgpr_flat_scratch_init 0
		.amdhsa_user_sgpr_kernarg_preload_length 0
		.amdhsa_user_sgpr_kernarg_preload_offset 0
		.amdhsa_user_sgpr_private_segment_size 0
		.amdhsa_uses_dynamic_stack 0
		.amdhsa_system_sgpr_private_segment_wavefront_offset 0
		.amdhsa_system_sgpr_workgroup_id_x 1
		.amdhsa_system_sgpr_workgroup_id_y 0
		.amdhsa_system_sgpr_workgroup_id_z 0
		.amdhsa_system_sgpr_workgroup_info 0
		.amdhsa_system_vgpr_workitem_id 0
		.amdhsa_next_free_vgpr 1
		.amdhsa_next_free_sgpr 0
		.amdhsa_accum_offset 4
		.amdhsa_reserve_vcc 0
		.amdhsa_reserve_flat_scratch 0
		.amdhsa_float_round_mode_32 0
		.amdhsa_float_round_mode_16_64 0
		.amdhsa_float_denorm_mode_32 3
		.amdhsa_float_denorm_mode_16_64 3
		.amdhsa_dx10_clamp 1
		.amdhsa_ieee_mode 1
		.amdhsa_fp16_overflow 0
		.amdhsa_tg_split 0
		.amdhsa_exception_fp_ieee_invalid_op 0
		.amdhsa_exception_fp_denorm_src 0
		.amdhsa_exception_fp_ieee_div_zero 0
		.amdhsa_exception_fp_ieee_overflow 0
		.amdhsa_exception_fp_ieee_underflow 0
		.amdhsa_exception_fp_ieee_inexact 0
		.amdhsa_exception_int_div_zero 0
	.end_amdhsa_kernel
	.section	.text._ZN7rocprim17ROCPRIM_400000_NS6detail17trampoline_kernelINS0_14default_configENS1_20scan_config_selectorIsEEZZNS1_9scan_implILNS1_25lookback_scan_determinismE0ELb1ELb1ES3_N6thrust23THRUST_200600_302600_NS6detail15normal_iteratorINS9_10device_ptrIsEEEESE_sNS9_4plusIvEEsEEDaPvRmT3_T4_T5_mT6_P12ihipStream_tbENKUlT_T0_E_clISt17integral_constantIbLb0EEST_IbLb1EEEEDaSP_SQ_EUlSP_E_NS1_11comp_targetILNS1_3genE0ELNS1_11target_archE4294967295ELNS1_3gpuE0ELNS1_3repE0EEENS1_30default_config_static_selectorELNS0_4arch9wavefront6targetE1EEEvT1_,"axG",@progbits,_ZN7rocprim17ROCPRIM_400000_NS6detail17trampoline_kernelINS0_14default_configENS1_20scan_config_selectorIsEEZZNS1_9scan_implILNS1_25lookback_scan_determinismE0ELb1ELb1ES3_N6thrust23THRUST_200600_302600_NS6detail15normal_iteratorINS9_10device_ptrIsEEEESE_sNS9_4plusIvEEsEEDaPvRmT3_T4_T5_mT6_P12ihipStream_tbENKUlT_T0_E_clISt17integral_constantIbLb0EEST_IbLb1EEEEDaSP_SQ_EUlSP_E_NS1_11comp_targetILNS1_3genE0ELNS1_11target_archE4294967295ELNS1_3gpuE0ELNS1_3repE0EEENS1_30default_config_static_selectorELNS0_4arch9wavefront6targetE1EEEvT1_,comdat
.Lfunc_end1033:
	.size	_ZN7rocprim17ROCPRIM_400000_NS6detail17trampoline_kernelINS0_14default_configENS1_20scan_config_selectorIsEEZZNS1_9scan_implILNS1_25lookback_scan_determinismE0ELb1ELb1ES3_N6thrust23THRUST_200600_302600_NS6detail15normal_iteratorINS9_10device_ptrIsEEEESE_sNS9_4plusIvEEsEEDaPvRmT3_T4_T5_mT6_P12ihipStream_tbENKUlT_T0_E_clISt17integral_constantIbLb0EEST_IbLb1EEEEDaSP_SQ_EUlSP_E_NS1_11comp_targetILNS1_3genE0ELNS1_11target_archE4294967295ELNS1_3gpuE0ELNS1_3repE0EEENS1_30default_config_static_selectorELNS0_4arch9wavefront6targetE1EEEvT1_, .Lfunc_end1033-_ZN7rocprim17ROCPRIM_400000_NS6detail17trampoline_kernelINS0_14default_configENS1_20scan_config_selectorIsEEZZNS1_9scan_implILNS1_25lookback_scan_determinismE0ELb1ELb1ES3_N6thrust23THRUST_200600_302600_NS6detail15normal_iteratorINS9_10device_ptrIsEEEESE_sNS9_4plusIvEEsEEDaPvRmT3_T4_T5_mT6_P12ihipStream_tbENKUlT_T0_E_clISt17integral_constantIbLb0EEST_IbLb1EEEEDaSP_SQ_EUlSP_E_NS1_11comp_targetILNS1_3genE0ELNS1_11target_archE4294967295ELNS1_3gpuE0ELNS1_3repE0EEENS1_30default_config_static_selectorELNS0_4arch9wavefront6targetE1EEEvT1_
                                        ; -- End function
	.section	.AMDGPU.csdata,"",@progbits
; Kernel info:
; codeLenInByte = 0
; NumSgprs: 4
; NumVgprs: 0
; NumAgprs: 0
; TotalNumVgprs: 0
; ScratchSize: 0
; MemoryBound: 0
; FloatMode: 240
; IeeeMode: 1
; LDSByteSize: 0 bytes/workgroup (compile time only)
; SGPRBlocks: 0
; VGPRBlocks: 0
; NumSGPRsForWavesPerEU: 4
; NumVGPRsForWavesPerEU: 1
; AccumOffset: 4
; Occupancy: 8
; WaveLimiterHint : 0
; COMPUTE_PGM_RSRC2:SCRATCH_EN: 0
; COMPUTE_PGM_RSRC2:USER_SGPR: 6
; COMPUTE_PGM_RSRC2:TRAP_HANDLER: 0
; COMPUTE_PGM_RSRC2:TGID_X_EN: 1
; COMPUTE_PGM_RSRC2:TGID_Y_EN: 0
; COMPUTE_PGM_RSRC2:TGID_Z_EN: 0
; COMPUTE_PGM_RSRC2:TIDIG_COMP_CNT: 0
; COMPUTE_PGM_RSRC3_GFX90A:ACCUM_OFFSET: 0
; COMPUTE_PGM_RSRC3_GFX90A:TG_SPLIT: 0
	.section	.text._ZN7rocprim17ROCPRIM_400000_NS6detail17trampoline_kernelINS0_14default_configENS1_20scan_config_selectorIsEEZZNS1_9scan_implILNS1_25lookback_scan_determinismE0ELb1ELb1ES3_N6thrust23THRUST_200600_302600_NS6detail15normal_iteratorINS9_10device_ptrIsEEEESE_sNS9_4plusIvEEsEEDaPvRmT3_T4_T5_mT6_P12ihipStream_tbENKUlT_T0_E_clISt17integral_constantIbLb0EEST_IbLb1EEEEDaSP_SQ_EUlSP_E_NS1_11comp_targetILNS1_3genE5ELNS1_11target_archE942ELNS1_3gpuE9ELNS1_3repE0EEENS1_30default_config_static_selectorELNS0_4arch9wavefront6targetE1EEEvT1_,"axG",@progbits,_ZN7rocprim17ROCPRIM_400000_NS6detail17trampoline_kernelINS0_14default_configENS1_20scan_config_selectorIsEEZZNS1_9scan_implILNS1_25lookback_scan_determinismE0ELb1ELb1ES3_N6thrust23THRUST_200600_302600_NS6detail15normal_iteratorINS9_10device_ptrIsEEEESE_sNS9_4plusIvEEsEEDaPvRmT3_T4_T5_mT6_P12ihipStream_tbENKUlT_T0_E_clISt17integral_constantIbLb0EEST_IbLb1EEEEDaSP_SQ_EUlSP_E_NS1_11comp_targetILNS1_3genE5ELNS1_11target_archE942ELNS1_3gpuE9ELNS1_3repE0EEENS1_30default_config_static_selectorELNS0_4arch9wavefront6targetE1EEEvT1_,comdat
	.protected	_ZN7rocprim17ROCPRIM_400000_NS6detail17trampoline_kernelINS0_14default_configENS1_20scan_config_selectorIsEEZZNS1_9scan_implILNS1_25lookback_scan_determinismE0ELb1ELb1ES3_N6thrust23THRUST_200600_302600_NS6detail15normal_iteratorINS9_10device_ptrIsEEEESE_sNS9_4plusIvEEsEEDaPvRmT3_T4_T5_mT6_P12ihipStream_tbENKUlT_T0_E_clISt17integral_constantIbLb0EEST_IbLb1EEEEDaSP_SQ_EUlSP_E_NS1_11comp_targetILNS1_3genE5ELNS1_11target_archE942ELNS1_3gpuE9ELNS1_3repE0EEENS1_30default_config_static_selectorELNS0_4arch9wavefront6targetE1EEEvT1_ ; -- Begin function _ZN7rocprim17ROCPRIM_400000_NS6detail17trampoline_kernelINS0_14default_configENS1_20scan_config_selectorIsEEZZNS1_9scan_implILNS1_25lookback_scan_determinismE0ELb1ELb1ES3_N6thrust23THRUST_200600_302600_NS6detail15normal_iteratorINS9_10device_ptrIsEEEESE_sNS9_4plusIvEEsEEDaPvRmT3_T4_T5_mT6_P12ihipStream_tbENKUlT_T0_E_clISt17integral_constantIbLb0EEST_IbLb1EEEEDaSP_SQ_EUlSP_E_NS1_11comp_targetILNS1_3genE5ELNS1_11target_archE942ELNS1_3gpuE9ELNS1_3repE0EEENS1_30default_config_static_selectorELNS0_4arch9wavefront6targetE1EEEvT1_
	.globl	_ZN7rocprim17ROCPRIM_400000_NS6detail17trampoline_kernelINS0_14default_configENS1_20scan_config_selectorIsEEZZNS1_9scan_implILNS1_25lookback_scan_determinismE0ELb1ELb1ES3_N6thrust23THRUST_200600_302600_NS6detail15normal_iteratorINS9_10device_ptrIsEEEESE_sNS9_4plusIvEEsEEDaPvRmT3_T4_T5_mT6_P12ihipStream_tbENKUlT_T0_E_clISt17integral_constantIbLb0EEST_IbLb1EEEEDaSP_SQ_EUlSP_E_NS1_11comp_targetILNS1_3genE5ELNS1_11target_archE942ELNS1_3gpuE9ELNS1_3repE0EEENS1_30default_config_static_selectorELNS0_4arch9wavefront6targetE1EEEvT1_
	.p2align	8
	.type	_ZN7rocprim17ROCPRIM_400000_NS6detail17trampoline_kernelINS0_14default_configENS1_20scan_config_selectorIsEEZZNS1_9scan_implILNS1_25lookback_scan_determinismE0ELb1ELb1ES3_N6thrust23THRUST_200600_302600_NS6detail15normal_iteratorINS9_10device_ptrIsEEEESE_sNS9_4plusIvEEsEEDaPvRmT3_T4_T5_mT6_P12ihipStream_tbENKUlT_T0_E_clISt17integral_constantIbLb0EEST_IbLb1EEEEDaSP_SQ_EUlSP_E_NS1_11comp_targetILNS1_3genE5ELNS1_11target_archE942ELNS1_3gpuE9ELNS1_3repE0EEENS1_30default_config_static_selectorELNS0_4arch9wavefront6targetE1EEEvT1_,@function
_ZN7rocprim17ROCPRIM_400000_NS6detail17trampoline_kernelINS0_14default_configENS1_20scan_config_selectorIsEEZZNS1_9scan_implILNS1_25lookback_scan_determinismE0ELb1ELb1ES3_N6thrust23THRUST_200600_302600_NS6detail15normal_iteratorINS9_10device_ptrIsEEEESE_sNS9_4plusIvEEsEEDaPvRmT3_T4_T5_mT6_P12ihipStream_tbENKUlT_T0_E_clISt17integral_constantIbLb0EEST_IbLb1EEEEDaSP_SQ_EUlSP_E_NS1_11comp_targetILNS1_3genE5ELNS1_11target_archE942ELNS1_3gpuE9ELNS1_3repE0EEENS1_30default_config_static_selectorELNS0_4arch9wavefront6targetE1EEEvT1_: ; @_ZN7rocprim17ROCPRIM_400000_NS6detail17trampoline_kernelINS0_14default_configENS1_20scan_config_selectorIsEEZZNS1_9scan_implILNS1_25lookback_scan_determinismE0ELb1ELb1ES3_N6thrust23THRUST_200600_302600_NS6detail15normal_iteratorINS9_10device_ptrIsEEEESE_sNS9_4plusIvEEsEEDaPvRmT3_T4_T5_mT6_P12ihipStream_tbENKUlT_T0_E_clISt17integral_constantIbLb0EEST_IbLb1EEEEDaSP_SQ_EUlSP_E_NS1_11comp_targetILNS1_3genE5ELNS1_11target_archE942ELNS1_3gpuE9ELNS1_3repE0EEENS1_30default_config_static_selectorELNS0_4arch9wavefront6targetE1EEEvT1_
; %bb.0:
	.section	.rodata,"a",@progbits
	.p2align	6, 0x0
	.amdhsa_kernel _ZN7rocprim17ROCPRIM_400000_NS6detail17trampoline_kernelINS0_14default_configENS1_20scan_config_selectorIsEEZZNS1_9scan_implILNS1_25lookback_scan_determinismE0ELb1ELb1ES3_N6thrust23THRUST_200600_302600_NS6detail15normal_iteratorINS9_10device_ptrIsEEEESE_sNS9_4plusIvEEsEEDaPvRmT3_T4_T5_mT6_P12ihipStream_tbENKUlT_T0_E_clISt17integral_constantIbLb0EEST_IbLb1EEEEDaSP_SQ_EUlSP_E_NS1_11comp_targetILNS1_3genE5ELNS1_11target_archE942ELNS1_3gpuE9ELNS1_3repE0EEENS1_30default_config_static_selectorELNS0_4arch9wavefront6targetE1EEEvT1_
		.amdhsa_group_segment_fixed_size 0
		.amdhsa_private_segment_fixed_size 0
		.amdhsa_kernarg_size 96
		.amdhsa_user_sgpr_count 6
		.amdhsa_user_sgpr_private_segment_buffer 1
		.amdhsa_user_sgpr_dispatch_ptr 0
		.amdhsa_user_sgpr_queue_ptr 0
		.amdhsa_user_sgpr_kernarg_segment_ptr 1
		.amdhsa_user_sgpr_dispatch_id 0
		.amdhsa_user_sgpr_flat_scratch_init 0
		.amdhsa_user_sgpr_kernarg_preload_length 0
		.amdhsa_user_sgpr_kernarg_preload_offset 0
		.amdhsa_user_sgpr_private_segment_size 0
		.amdhsa_uses_dynamic_stack 0
		.amdhsa_system_sgpr_private_segment_wavefront_offset 0
		.amdhsa_system_sgpr_workgroup_id_x 1
		.amdhsa_system_sgpr_workgroup_id_y 0
		.amdhsa_system_sgpr_workgroup_id_z 0
		.amdhsa_system_sgpr_workgroup_info 0
		.amdhsa_system_vgpr_workitem_id 0
		.amdhsa_next_free_vgpr 1
		.amdhsa_next_free_sgpr 0
		.amdhsa_accum_offset 4
		.amdhsa_reserve_vcc 0
		.amdhsa_reserve_flat_scratch 0
		.amdhsa_float_round_mode_32 0
		.amdhsa_float_round_mode_16_64 0
		.amdhsa_float_denorm_mode_32 3
		.amdhsa_float_denorm_mode_16_64 3
		.amdhsa_dx10_clamp 1
		.amdhsa_ieee_mode 1
		.amdhsa_fp16_overflow 0
		.amdhsa_tg_split 0
		.amdhsa_exception_fp_ieee_invalid_op 0
		.amdhsa_exception_fp_denorm_src 0
		.amdhsa_exception_fp_ieee_div_zero 0
		.amdhsa_exception_fp_ieee_overflow 0
		.amdhsa_exception_fp_ieee_underflow 0
		.amdhsa_exception_fp_ieee_inexact 0
		.amdhsa_exception_int_div_zero 0
	.end_amdhsa_kernel
	.section	.text._ZN7rocprim17ROCPRIM_400000_NS6detail17trampoline_kernelINS0_14default_configENS1_20scan_config_selectorIsEEZZNS1_9scan_implILNS1_25lookback_scan_determinismE0ELb1ELb1ES3_N6thrust23THRUST_200600_302600_NS6detail15normal_iteratorINS9_10device_ptrIsEEEESE_sNS9_4plusIvEEsEEDaPvRmT3_T4_T5_mT6_P12ihipStream_tbENKUlT_T0_E_clISt17integral_constantIbLb0EEST_IbLb1EEEEDaSP_SQ_EUlSP_E_NS1_11comp_targetILNS1_3genE5ELNS1_11target_archE942ELNS1_3gpuE9ELNS1_3repE0EEENS1_30default_config_static_selectorELNS0_4arch9wavefront6targetE1EEEvT1_,"axG",@progbits,_ZN7rocprim17ROCPRIM_400000_NS6detail17trampoline_kernelINS0_14default_configENS1_20scan_config_selectorIsEEZZNS1_9scan_implILNS1_25lookback_scan_determinismE0ELb1ELb1ES3_N6thrust23THRUST_200600_302600_NS6detail15normal_iteratorINS9_10device_ptrIsEEEESE_sNS9_4plusIvEEsEEDaPvRmT3_T4_T5_mT6_P12ihipStream_tbENKUlT_T0_E_clISt17integral_constantIbLb0EEST_IbLb1EEEEDaSP_SQ_EUlSP_E_NS1_11comp_targetILNS1_3genE5ELNS1_11target_archE942ELNS1_3gpuE9ELNS1_3repE0EEENS1_30default_config_static_selectorELNS0_4arch9wavefront6targetE1EEEvT1_,comdat
.Lfunc_end1034:
	.size	_ZN7rocprim17ROCPRIM_400000_NS6detail17trampoline_kernelINS0_14default_configENS1_20scan_config_selectorIsEEZZNS1_9scan_implILNS1_25lookback_scan_determinismE0ELb1ELb1ES3_N6thrust23THRUST_200600_302600_NS6detail15normal_iteratorINS9_10device_ptrIsEEEESE_sNS9_4plusIvEEsEEDaPvRmT3_T4_T5_mT6_P12ihipStream_tbENKUlT_T0_E_clISt17integral_constantIbLb0EEST_IbLb1EEEEDaSP_SQ_EUlSP_E_NS1_11comp_targetILNS1_3genE5ELNS1_11target_archE942ELNS1_3gpuE9ELNS1_3repE0EEENS1_30default_config_static_selectorELNS0_4arch9wavefront6targetE1EEEvT1_, .Lfunc_end1034-_ZN7rocprim17ROCPRIM_400000_NS6detail17trampoline_kernelINS0_14default_configENS1_20scan_config_selectorIsEEZZNS1_9scan_implILNS1_25lookback_scan_determinismE0ELb1ELb1ES3_N6thrust23THRUST_200600_302600_NS6detail15normal_iteratorINS9_10device_ptrIsEEEESE_sNS9_4plusIvEEsEEDaPvRmT3_T4_T5_mT6_P12ihipStream_tbENKUlT_T0_E_clISt17integral_constantIbLb0EEST_IbLb1EEEEDaSP_SQ_EUlSP_E_NS1_11comp_targetILNS1_3genE5ELNS1_11target_archE942ELNS1_3gpuE9ELNS1_3repE0EEENS1_30default_config_static_selectorELNS0_4arch9wavefront6targetE1EEEvT1_
                                        ; -- End function
	.section	.AMDGPU.csdata,"",@progbits
; Kernel info:
; codeLenInByte = 0
; NumSgprs: 4
; NumVgprs: 0
; NumAgprs: 0
; TotalNumVgprs: 0
; ScratchSize: 0
; MemoryBound: 0
; FloatMode: 240
; IeeeMode: 1
; LDSByteSize: 0 bytes/workgroup (compile time only)
; SGPRBlocks: 0
; VGPRBlocks: 0
; NumSGPRsForWavesPerEU: 4
; NumVGPRsForWavesPerEU: 1
; AccumOffset: 4
; Occupancy: 8
; WaveLimiterHint : 0
; COMPUTE_PGM_RSRC2:SCRATCH_EN: 0
; COMPUTE_PGM_RSRC2:USER_SGPR: 6
; COMPUTE_PGM_RSRC2:TRAP_HANDLER: 0
; COMPUTE_PGM_RSRC2:TGID_X_EN: 1
; COMPUTE_PGM_RSRC2:TGID_Y_EN: 0
; COMPUTE_PGM_RSRC2:TGID_Z_EN: 0
; COMPUTE_PGM_RSRC2:TIDIG_COMP_CNT: 0
; COMPUTE_PGM_RSRC3_GFX90A:ACCUM_OFFSET: 0
; COMPUTE_PGM_RSRC3_GFX90A:TG_SPLIT: 0
	.section	.text._ZN7rocprim17ROCPRIM_400000_NS6detail17trampoline_kernelINS0_14default_configENS1_20scan_config_selectorIsEEZZNS1_9scan_implILNS1_25lookback_scan_determinismE0ELb1ELb1ES3_N6thrust23THRUST_200600_302600_NS6detail15normal_iteratorINS9_10device_ptrIsEEEESE_sNS9_4plusIvEEsEEDaPvRmT3_T4_T5_mT6_P12ihipStream_tbENKUlT_T0_E_clISt17integral_constantIbLb0EEST_IbLb1EEEEDaSP_SQ_EUlSP_E_NS1_11comp_targetILNS1_3genE4ELNS1_11target_archE910ELNS1_3gpuE8ELNS1_3repE0EEENS1_30default_config_static_selectorELNS0_4arch9wavefront6targetE1EEEvT1_,"axG",@progbits,_ZN7rocprim17ROCPRIM_400000_NS6detail17trampoline_kernelINS0_14default_configENS1_20scan_config_selectorIsEEZZNS1_9scan_implILNS1_25lookback_scan_determinismE0ELb1ELb1ES3_N6thrust23THRUST_200600_302600_NS6detail15normal_iteratorINS9_10device_ptrIsEEEESE_sNS9_4plusIvEEsEEDaPvRmT3_T4_T5_mT6_P12ihipStream_tbENKUlT_T0_E_clISt17integral_constantIbLb0EEST_IbLb1EEEEDaSP_SQ_EUlSP_E_NS1_11comp_targetILNS1_3genE4ELNS1_11target_archE910ELNS1_3gpuE8ELNS1_3repE0EEENS1_30default_config_static_selectorELNS0_4arch9wavefront6targetE1EEEvT1_,comdat
	.protected	_ZN7rocprim17ROCPRIM_400000_NS6detail17trampoline_kernelINS0_14default_configENS1_20scan_config_selectorIsEEZZNS1_9scan_implILNS1_25lookback_scan_determinismE0ELb1ELb1ES3_N6thrust23THRUST_200600_302600_NS6detail15normal_iteratorINS9_10device_ptrIsEEEESE_sNS9_4plusIvEEsEEDaPvRmT3_T4_T5_mT6_P12ihipStream_tbENKUlT_T0_E_clISt17integral_constantIbLb0EEST_IbLb1EEEEDaSP_SQ_EUlSP_E_NS1_11comp_targetILNS1_3genE4ELNS1_11target_archE910ELNS1_3gpuE8ELNS1_3repE0EEENS1_30default_config_static_selectorELNS0_4arch9wavefront6targetE1EEEvT1_ ; -- Begin function _ZN7rocprim17ROCPRIM_400000_NS6detail17trampoline_kernelINS0_14default_configENS1_20scan_config_selectorIsEEZZNS1_9scan_implILNS1_25lookback_scan_determinismE0ELb1ELb1ES3_N6thrust23THRUST_200600_302600_NS6detail15normal_iteratorINS9_10device_ptrIsEEEESE_sNS9_4plusIvEEsEEDaPvRmT3_T4_T5_mT6_P12ihipStream_tbENKUlT_T0_E_clISt17integral_constantIbLb0EEST_IbLb1EEEEDaSP_SQ_EUlSP_E_NS1_11comp_targetILNS1_3genE4ELNS1_11target_archE910ELNS1_3gpuE8ELNS1_3repE0EEENS1_30default_config_static_selectorELNS0_4arch9wavefront6targetE1EEEvT1_
	.globl	_ZN7rocprim17ROCPRIM_400000_NS6detail17trampoline_kernelINS0_14default_configENS1_20scan_config_selectorIsEEZZNS1_9scan_implILNS1_25lookback_scan_determinismE0ELb1ELb1ES3_N6thrust23THRUST_200600_302600_NS6detail15normal_iteratorINS9_10device_ptrIsEEEESE_sNS9_4plusIvEEsEEDaPvRmT3_T4_T5_mT6_P12ihipStream_tbENKUlT_T0_E_clISt17integral_constantIbLb0EEST_IbLb1EEEEDaSP_SQ_EUlSP_E_NS1_11comp_targetILNS1_3genE4ELNS1_11target_archE910ELNS1_3gpuE8ELNS1_3repE0EEENS1_30default_config_static_selectorELNS0_4arch9wavefront6targetE1EEEvT1_
	.p2align	8
	.type	_ZN7rocprim17ROCPRIM_400000_NS6detail17trampoline_kernelINS0_14default_configENS1_20scan_config_selectorIsEEZZNS1_9scan_implILNS1_25lookback_scan_determinismE0ELb1ELb1ES3_N6thrust23THRUST_200600_302600_NS6detail15normal_iteratorINS9_10device_ptrIsEEEESE_sNS9_4plusIvEEsEEDaPvRmT3_T4_T5_mT6_P12ihipStream_tbENKUlT_T0_E_clISt17integral_constantIbLb0EEST_IbLb1EEEEDaSP_SQ_EUlSP_E_NS1_11comp_targetILNS1_3genE4ELNS1_11target_archE910ELNS1_3gpuE8ELNS1_3repE0EEENS1_30default_config_static_selectorELNS0_4arch9wavefront6targetE1EEEvT1_,@function
_ZN7rocprim17ROCPRIM_400000_NS6detail17trampoline_kernelINS0_14default_configENS1_20scan_config_selectorIsEEZZNS1_9scan_implILNS1_25lookback_scan_determinismE0ELb1ELb1ES3_N6thrust23THRUST_200600_302600_NS6detail15normal_iteratorINS9_10device_ptrIsEEEESE_sNS9_4plusIvEEsEEDaPvRmT3_T4_T5_mT6_P12ihipStream_tbENKUlT_T0_E_clISt17integral_constantIbLb0EEST_IbLb1EEEEDaSP_SQ_EUlSP_E_NS1_11comp_targetILNS1_3genE4ELNS1_11target_archE910ELNS1_3gpuE8ELNS1_3repE0EEENS1_30default_config_static_selectorELNS0_4arch9wavefront6targetE1EEEvT1_: ; @_ZN7rocprim17ROCPRIM_400000_NS6detail17trampoline_kernelINS0_14default_configENS1_20scan_config_selectorIsEEZZNS1_9scan_implILNS1_25lookback_scan_determinismE0ELb1ELb1ES3_N6thrust23THRUST_200600_302600_NS6detail15normal_iteratorINS9_10device_ptrIsEEEESE_sNS9_4plusIvEEsEEDaPvRmT3_T4_T5_mT6_P12ihipStream_tbENKUlT_T0_E_clISt17integral_constantIbLb0EEST_IbLb1EEEEDaSP_SQ_EUlSP_E_NS1_11comp_targetILNS1_3genE4ELNS1_11target_archE910ELNS1_3gpuE8ELNS1_3repE0EEENS1_30default_config_static_selectorELNS0_4arch9wavefront6targetE1EEEvT1_
; %bb.0:
	s_load_dword s30, s[4:5], 0x20
	s_load_dwordx2 s[24:25], s[4:5], 0x28
	v_cmp_eq_u32_e64 s[0:1], 0, v0
	s_and_saveexec_b64 s[2:3], s[0:1]
	s_cbranch_execz .LBB1035_4
; %bb.1:
	s_mov_b64 s[8:9], exec
	v_mbcnt_lo_u32_b32 v1, s8, 0
	v_mbcnt_hi_u32_b32 v1, s9, v1
	v_cmp_eq_u32_e32 vcc, 0, v1
                                        ; implicit-def: $vgpr2
	s_and_saveexec_b64 s[6:7], vcc
	s_cbranch_execz .LBB1035_3
; %bb.2:
	s_load_dwordx2 s[10:11], s[4:5], 0x58
	s_bcnt1_i32_b64 s8, s[8:9]
	v_mov_b32_e32 v2, 0
	v_mov_b32_e32 v3, s8
	s_waitcnt lgkmcnt(0)
	global_atomic_add v2, v2, v3, s[10:11] glc
.LBB1035_3:
	s_or_b64 exec, exec, s[6:7]
	s_waitcnt vmcnt(0)
	v_readfirstlane_b32 s6, v2
	v_add_u32_e32 v1, s6, v1
	v_mov_b32_e32 v2, 0
	ds_write_b32 v2, v1
.LBB1035_4:
	s_or_b64 exec, exec, s[2:3]
	s_load_dwordx8 s[16:23], s[4:5], 0x0
	s_load_dword s2, s[4:5], 0x30
	s_load_dwordx8 s[8:15], s[4:5], 0x38
	v_mov_b32_e32 v1, 0
	s_waitcnt lgkmcnt(0)
	; wave barrier
	s_waitcnt lgkmcnt(0)
	ds_read_b32 v1, v1
	s_lshl_b64 s[26:27], s[18:19], 1
	s_add_u32 s31, s16, s26
	s_addc_u32 s33, s17, s27
	s_add_i32 s2, s2, -1
	s_mul_i32 s3, s2, 0x600
	s_sub_u32 s28, s22, s3
	s_waitcnt lgkmcnt(0)
	v_readfirstlane_b32 s34, v1
	s_subb_u32 s29, s23, 0
	s_mul_i32 s4, s34, 0x600
	s_mov_b32 s5, 0
	s_cmp_lg_u32 s34, s2
	s_cselect_b64 s[16:17], -1, 0
	s_lshl_b64 s[18:19], s[4:5], 1
	s_add_u32 s4, s31, s18
	s_addc_u32 s5, s33, s19
	s_mov_b64 s[2:3], -1
	s_and_b64 vcc, exec, s[16:17]
	v_lshlrev_b32_e32 v20, 1, v0
	s_waitcnt lgkmcnt(0)
	; wave barrier
	s_cbranch_vccz .LBB1035_6
; %bb.5:
	v_mov_b32_e32 v1, s5
	v_add_co_u32_e32 v2, vcc, s4, v20
	v_addc_co_u32_e32 v3, vcc, 0, v1, vcc
	flat_load_ushort v1, v[2:3]
	flat_load_ushort v4, v[2:3] offset:128
	flat_load_ushort v5, v[2:3] offset:256
	;; [unrolled: 1-line block ×23, first 2 shown]
	s_mov_b64 s[2:3], 0
	s_waitcnt vmcnt(0) lgkmcnt(0)
	ds_write_b16 v20, v1
	ds_write_b16 v20, v4 offset:128
	ds_write_b16 v20, v5 offset:256
	;; [unrolled: 1-line block ×23, first 2 shown]
	s_waitcnt lgkmcnt(0)
	; wave barrier
.LBB1035_6:
	s_andn2_b64 vcc, exec, s[2:3]
	v_cmp_gt_u32_e64 s[2:3], s28, v0
	s_cbranch_vccnz .LBB1035_56
; %bb.7:
	v_pk_mov_b32 v[2:3], s[4:5], s[4:5] op_sel:[0,1]
	flat_load_ushort v1, v[2:3]
	s_waitcnt vmcnt(0) lgkmcnt(0)
	v_mov_b32_e32 v2, v1
	s_and_saveexec_b64 s[6:7], s[2:3]
	s_cbranch_execz .LBB1035_9
; %bb.8:
	v_mov_b32_e32 v3, s5
	v_add_co_u32_e32 v2, vcc, s4, v20
	v_addc_co_u32_e32 v3, vcc, 0, v3, vcc
	flat_load_ushort v2, v[2:3]
.LBB1035_9:
	s_or_b64 exec, exec, s[6:7]
	v_or_b32_e32 v3, 64, v0
	v_cmp_gt_u32_e32 vcc, s28, v3
	v_mov_b32_e32 v3, v1
	s_and_saveexec_b64 s[2:3], vcc
	s_cbranch_execz .LBB1035_11
; %bb.10:
	v_mov_b32_e32 v3, s5
	v_add_co_u32_e32 v4, vcc, s4, v20
	v_addc_co_u32_e32 v5, vcc, 0, v3, vcc
	flat_load_ushort v3, v[4:5] offset:128
.LBB1035_11:
	s_or_b64 exec, exec, s[2:3]
	v_or_b32_e32 v4, 0x80, v0
	v_cmp_gt_u32_e32 vcc, s28, v4
	v_mov_b32_e32 v4, v1
	s_and_saveexec_b64 s[2:3], vcc
	s_cbranch_execz .LBB1035_13
; %bb.12:
	v_mov_b32_e32 v5, s5
	v_add_co_u32_e32 v4, vcc, s4, v20
	v_addc_co_u32_e32 v5, vcc, 0, v5, vcc
	flat_load_ushort v4, v[4:5] offset:256
.LBB1035_13:
	s_or_b64 exec, exec, s[2:3]
	v_or_b32_e32 v5, 0xc0, v0
	v_cmp_gt_u32_e32 vcc, s28, v5
	v_mov_b32_e32 v5, v1
	s_and_saveexec_b64 s[2:3], vcc
	s_cbranch_execz .LBB1035_15
; %bb.14:
	v_mov_b32_e32 v5, s5
	v_add_co_u32_e32 v6, vcc, s4, v20
	v_addc_co_u32_e32 v7, vcc, 0, v5, vcc
	flat_load_ushort v5, v[6:7] offset:384
.LBB1035_15:
	s_or_b64 exec, exec, s[2:3]
	v_or_b32_e32 v6, 0x100, v0
	v_cmp_gt_u32_e32 vcc, s28, v6
	v_mov_b32_e32 v6, v1
	s_and_saveexec_b64 s[2:3], vcc
	s_cbranch_execz .LBB1035_17
; %bb.16:
	v_mov_b32_e32 v7, s5
	v_add_co_u32_e32 v6, vcc, s4, v20
	v_addc_co_u32_e32 v7, vcc, 0, v7, vcc
	flat_load_ushort v6, v[6:7] offset:512
.LBB1035_17:
	s_or_b64 exec, exec, s[2:3]
	v_or_b32_e32 v7, 0x140, v0
	v_cmp_gt_u32_e32 vcc, s28, v7
	v_mov_b32_e32 v7, v1
	s_and_saveexec_b64 s[2:3], vcc
	s_cbranch_execz .LBB1035_19
; %bb.18:
	v_mov_b32_e32 v7, s5
	v_add_co_u32_e32 v8, vcc, s4, v20
	v_addc_co_u32_e32 v9, vcc, 0, v7, vcc
	flat_load_ushort v7, v[8:9] offset:640
.LBB1035_19:
	s_or_b64 exec, exec, s[2:3]
	v_or_b32_e32 v8, 0x180, v0
	v_cmp_gt_u32_e32 vcc, s28, v8
	v_mov_b32_e32 v8, v1
	s_and_saveexec_b64 s[2:3], vcc
	s_cbranch_execz .LBB1035_21
; %bb.20:
	v_mov_b32_e32 v9, s5
	v_add_co_u32_e32 v8, vcc, s4, v20
	v_addc_co_u32_e32 v9, vcc, 0, v9, vcc
	flat_load_ushort v8, v[8:9] offset:768
.LBB1035_21:
	s_or_b64 exec, exec, s[2:3]
	v_or_b32_e32 v9, 0x1c0, v0
	v_cmp_gt_u32_e32 vcc, s28, v9
	v_mov_b32_e32 v9, v1
	s_and_saveexec_b64 s[2:3], vcc
	s_cbranch_execz .LBB1035_23
; %bb.22:
	v_mov_b32_e32 v9, s5
	v_add_co_u32_e32 v10, vcc, s4, v20
	v_addc_co_u32_e32 v11, vcc, 0, v9, vcc
	flat_load_ushort v9, v[10:11] offset:896
.LBB1035_23:
	s_or_b64 exec, exec, s[2:3]
	v_or_b32_e32 v10, 0x200, v0
	v_cmp_gt_u32_e32 vcc, s28, v10
	v_mov_b32_e32 v10, v1
	s_and_saveexec_b64 s[2:3], vcc
	s_cbranch_execz .LBB1035_25
; %bb.24:
	v_mov_b32_e32 v11, s5
	v_add_co_u32_e32 v10, vcc, s4, v20
	v_addc_co_u32_e32 v11, vcc, 0, v11, vcc
	flat_load_ushort v10, v[10:11] offset:1024
.LBB1035_25:
	s_or_b64 exec, exec, s[2:3]
	v_or_b32_e32 v11, 0x240, v0
	v_cmp_gt_u32_e32 vcc, s28, v11
	v_mov_b32_e32 v11, v1
	s_and_saveexec_b64 s[2:3], vcc
	s_cbranch_execz .LBB1035_27
; %bb.26:
	v_mov_b32_e32 v11, s5
	v_add_co_u32_e32 v12, vcc, s4, v20
	v_addc_co_u32_e32 v13, vcc, 0, v11, vcc
	flat_load_ushort v11, v[12:13] offset:1152
.LBB1035_27:
	s_or_b64 exec, exec, s[2:3]
	v_or_b32_e32 v12, 0x280, v0
	v_cmp_gt_u32_e32 vcc, s28, v12
	v_mov_b32_e32 v12, v1
	s_and_saveexec_b64 s[2:3], vcc
	s_cbranch_execz .LBB1035_29
; %bb.28:
	v_mov_b32_e32 v13, s5
	v_add_co_u32_e32 v12, vcc, s4, v20
	v_addc_co_u32_e32 v13, vcc, 0, v13, vcc
	flat_load_ushort v12, v[12:13] offset:1280
.LBB1035_29:
	s_or_b64 exec, exec, s[2:3]
	v_or_b32_e32 v13, 0x2c0, v0
	v_cmp_gt_u32_e32 vcc, s28, v13
	v_mov_b32_e32 v13, v1
	s_and_saveexec_b64 s[2:3], vcc
	s_cbranch_execz .LBB1035_31
; %bb.30:
	v_mov_b32_e32 v13, s5
	v_add_co_u32_e32 v14, vcc, s4, v20
	v_addc_co_u32_e32 v15, vcc, 0, v13, vcc
	flat_load_ushort v13, v[14:15] offset:1408
.LBB1035_31:
	s_or_b64 exec, exec, s[2:3]
	v_or_b32_e32 v14, 0x300, v0
	v_cmp_gt_u32_e32 vcc, s28, v14
	v_mov_b32_e32 v14, v1
	s_and_saveexec_b64 s[2:3], vcc
	s_cbranch_execz .LBB1035_33
; %bb.32:
	v_mov_b32_e32 v15, s5
	v_add_co_u32_e32 v14, vcc, s4, v20
	v_addc_co_u32_e32 v15, vcc, 0, v15, vcc
	flat_load_ushort v14, v[14:15] offset:1536
.LBB1035_33:
	s_or_b64 exec, exec, s[2:3]
	v_or_b32_e32 v15, 0x340, v0
	v_cmp_gt_u32_e32 vcc, s28, v15
	v_mov_b32_e32 v15, v1
	s_and_saveexec_b64 s[2:3], vcc
	s_cbranch_execz .LBB1035_35
; %bb.34:
	v_mov_b32_e32 v15, s5
	v_add_co_u32_e32 v16, vcc, s4, v20
	v_addc_co_u32_e32 v17, vcc, 0, v15, vcc
	flat_load_ushort v15, v[16:17] offset:1664
.LBB1035_35:
	s_or_b64 exec, exec, s[2:3]
	v_or_b32_e32 v16, 0x380, v0
	v_cmp_gt_u32_e32 vcc, s28, v16
	v_mov_b32_e32 v16, v1
	s_and_saveexec_b64 s[2:3], vcc
	s_cbranch_execz .LBB1035_37
; %bb.36:
	v_mov_b32_e32 v17, s5
	v_add_co_u32_e32 v16, vcc, s4, v20
	v_addc_co_u32_e32 v17, vcc, 0, v17, vcc
	flat_load_ushort v16, v[16:17] offset:1792
.LBB1035_37:
	s_or_b64 exec, exec, s[2:3]
	v_or_b32_e32 v17, 0x3c0, v0
	v_cmp_gt_u32_e32 vcc, s28, v17
	v_mov_b32_e32 v17, v1
	s_and_saveexec_b64 s[2:3], vcc
	s_cbranch_execz .LBB1035_39
; %bb.38:
	v_mov_b32_e32 v17, s5
	v_add_co_u32_e32 v18, vcc, s4, v20
	v_addc_co_u32_e32 v19, vcc, 0, v17, vcc
	flat_load_ushort v17, v[18:19] offset:1920
.LBB1035_39:
	s_or_b64 exec, exec, s[2:3]
	v_or_b32_e32 v18, 0x400, v0
	v_cmp_gt_u32_e32 vcc, s28, v18
	v_mov_b32_e32 v18, v1
	s_and_saveexec_b64 s[2:3], vcc
	s_cbranch_execz .LBB1035_41
; %bb.40:
	v_mov_b32_e32 v19, s5
	v_add_co_u32_e32 v18, vcc, s4, v20
	v_addc_co_u32_e32 v19, vcc, 0, v19, vcc
	flat_load_ushort v18, v[18:19] offset:2048
.LBB1035_41:
	s_or_b64 exec, exec, s[2:3]
	v_or_b32_e32 v19, 0x440, v0
	v_cmp_gt_u32_e32 vcc, s28, v19
	v_mov_b32_e32 v19, v1
	s_and_saveexec_b64 s[2:3], vcc
	s_cbranch_execz .LBB1035_43
; %bb.42:
	v_mov_b32_e32 v19, s5
	v_add_co_u32_e32 v22, vcc, s4, v20
	v_addc_co_u32_e32 v23, vcc, 0, v19, vcc
	flat_load_ushort v19, v[22:23] offset:2176
.LBB1035_43:
	s_or_b64 exec, exec, s[2:3]
	v_or_b32_e32 v21, 0x480, v0
	v_cmp_gt_u32_e32 vcc, s28, v21
	v_mov_b32_e32 v21, v1
	s_and_saveexec_b64 s[2:3], vcc
	s_cbranch_execz .LBB1035_45
; %bb.44:
	v_mov_b32_e32 v21, s5
	v_add_co_u32_e32 v22, vcc, s4, v20
	v_addc_co_u32_e32 v23, vcc, 0, v21, vcc
	flat_load_ushort v21, v[22:23] offset:2304
.LBB1035_45:
	s_or_b64 exec, exec, s[2:3]
	v_or_b32_e32 v22, 0x4c0, v0
	v_cmp_gt_u32_e32 vcc, s28, v22
	v_mov_b32_e32 v22, v1
	s_and_saveexec_b64 s[2:3], vcc
	s_cbranch_execz .LBB1035_47
; %bb.46:
	v_mov_b32_e32 v23, s5
	v_add_co_u32_e32 v22, vcc, s4, v20
	v_addc_co_u32_e32 v23, vcc, 0, v23, vcc
	flat_load_ushort v22, v[22:23] offset:2432
.LBB1035_47:
	s_or_b64 exec, exec, s[2:3]
	v_or_b32_e32 v23, 0x500, v0
	v_cmp_gt_u32_e32 vcc, s28, v23
	v_mov_b32_e32 v23, v1
	s_and_saveexec_b64 s[2:3], vcc
	s_cbranch_execz .LBB1035_49
; %bb.48:
	v_mov_b32_e32 v23, s5
	v_add_co_u32_e32 v24, vcc, s4, v20
	v_addc_co_u32_e32 v25, vcc, 0, v23, vcc
	flat_load_ushort v23, v[24:25] offset:2560
.LBB1035_49:
	s_or_b64 exec, exec, s[2:3]
	v_or_b32_e32 v24, 0x540, v0
	v_cmp_gt_u32_e32 vcc, s28, v24
	v_mov_b32_e32 v24, v1
	s_and_saveexec_b64 s[2:3], vcc
	s_cbranch_execz .LBB1035_51
; %bb.50:
	v_mov_b32_e32 v25, s5
	v_add_co_u32_e32 v24, vcc, s4, v20
	v_addc_co_u32_e32 v25, vcc, 0, v25, vcc
	flat_load_ushort v24, v[24:25] offset:2688
.LBB1035_51:
	s_or_b64 exec, exec, s[2:3]
	v_or_b32_e32 v25, 0x580, v0
	v_cmp_gt_u32_e32 vcc, s28, v25
	v_mov_b32_e32 v25, v1
	s_and_saveexec_b64 s[2:3], vcc
	s_cbranch_execz .LBB1035_53
; %bb.52:
	v_mov_b32_e32 v25, s5
	v_add_co_u32_e32 v26, vcc, s4, v20
	v_addc_co_u32_e32 v27, vcc, 0, v25, vcc
	flat_load_ushort v25, v[26:27] offset:2816
.LBB1035_53:
	s_or_b64 exec, exec, s[2:3]
	v_or_b32_e32 v26, 0x5c0, v0
	v_cmp_gt_u32_e32 vcc, s28, v26
	s_and_saveexec_b64 s[2:3], vcc
	s_cbranch_execz .LBB1035_55
; %bb.54:
	v_mov_b32_e32 v1, s5
	v_add_co_u32_e32 v26, vcc, s4, v20
	v_addc_co_u32_e32 v27, vcc, 0, v1, vcc
	flat_load_ushort v1, v[26:27] offset:2944
.LBB1035_55:
	s_or_b64 exec, exec, s[2:3]
	s_waitcnt vmcnt(0) lgkmcnt(0)
	ds_write_b16 v20, v2
	ds_write_b16 v20, v3 offset:128
	ds_write_b16 v20, v4 offset:256
	;; [unrolled: 1-line block ×23, first 2 shown]
	s_waitcnt lgkmcnt(0)
	; wave barrier
.LBB1035_56:
	v_mul_u32_u24_e32 v21, 24, v0
	v_lshlrev_b32_e32 v1, 1, v21
	s_waitcnt lgkmcnt(0)
	ds_read_b128 v[10:13], v1
	ds_read_b128 v[6:9], v1 offset:16
	ds_read_b128 v[2:5], v1 offset:32
	s_cmp_lg_u32 s34, 0
	v_mbcnt_lo_u32_b32 v22, -1, 0
	s_waitcnt lgkmcnt(2)
	v_add_u16_sdwa v14, v10, v10 dst_sel:DWORD dst_unused:UNUSED_PAD src0_sel:WORD_1 src1_sel:DWORD
	v_add_u16_e32 v23, v14, v11
	v_cmp_eq_u32_e32 vcc, 63, v0
	s_waitcnt lgkmcnt(0)
	; wave barrier
	s_waitcnt lgkmcnt(0)
	s_cbranch_scc0 .LBB1035_79
; %bb.57:
	v_add_u16_sdwa v14, v23, v11 dst_sel:DWORD dst_unused:UNUSED_PAD src0_sel:DWORD src1_sel:WORD_1
	v_add_u16_e32 v14, v14, v12
	v_add_u16_sdwa v14, v14, v12 dst_sel:DWORD dst_unused:UNUSED_PAD src0_sel:DWORD src1_sel:WORD_1
	v_add_u16_e32 v14, v14, v13
	;; [unrolled: 2-line block ×10, first 2 shown]
	v_mbcnt_hi_u32_b32 v15, -1, v22
	v_add_u16_sdwa v14, v14, v5 dst_sel:DWORD dst_unused:UNUSED_PAD src0_sel:DWORD src1_sel:WORD_1
	v_and_b32_e32 v16, 15, v15
	v_cmp_ne_u32_e64 s[2:3], 0, v16
	v_mov_b32_dpp v17, v14 row_shr:1 row_mask:0xf bank_mask:0xf
	v_cndmask_b32_e64 v17, 0, v17, s[2:3]
	v_add_u16_e32 v14, v17, v14
	v_cmp_lt_u32_e64 s[2:3], 1, v16
	s_nop 0
	v_mov_b32_dpp v17, v14 row_shr:2 row_mask:0xf bank_mask:0xf
	v_cndmask_b32_e64 v17, 0, v17, s[2:3]
	v_add_u16_e32 v14, v14, v17
	v_cmp_lt_u32_e64 s[2:3], 3, v16
	s_nop 0
	;; [unrolled: 5-line block ×3, first 2 shown]
	v_mov_b32_dpp v17, v14 row_shr:8 row_mask:0xf bank_mask:0xf
	v_cndmask_b32_e64 v16, 0, v17, s[2:3]
	v_add_u16_e32 v14, v14, v16
	v_and_b32_e32 v17, 16, v15
	v_cmp_ne_u32_e64 s[2:3], 0, v17
	v_mov_b32_dpp v16, v14 row_bcast:15 row_mask:0xf bank_mask:0xf
	v_cndmask_b32_e64 v16, 0, v16, s[2:3]
	v_add_u16_e32 v14, v14, v16
	v_cmp_lt_u32_e64 s[2:3], 31, v15
	s_nop 0
	v_mov_b32_dpp v16, v14 row_bcast:31 row_mask:0xf bank_mask:0xf
	v_cndmask_b32_e64 v16, 0, v16, s[2:3]
	v_add_u16_e32 v14, v14, v16
	s_and_saveexec_b64 s[2:3], vcc
	s_cbranch_execz .LBB1035_59
; %bb.58:
	v_mov_b32_e32 v16, 0
	ds_write_b16 v16, v14
.LBB1035_59:
	s_or_b64 exec, exec, s[2:3]
	v_add_u32_e32 v16, -1, v15
	v_and_b32_e32 v17, 64, v15
	v_cmp_lt_i32_e32 vcc, v16, v17
	v_cndmask_b32_e32 v16, v16, v15, vcc
	v_lshlrev_b32_e32 v16, 2, v16
	ds_bpermute_b32 v24, v16, v14
	v_cmp_gt_u32_e32 vcc, 64, v0
	s_waitcnt lgkmcnt(0)
	; wave barrier
	s_waitcnt lgkmcnt(0)
	s_and_saveexec_b64 s[22:23], vcc
	s_cbranch_execz .LBB1035_78
; %bb.60:
	v_mov_b32_e32 v17, 0
	ds_read_u16 v25, v17
	s_mov_b32 s7, 0
	v_cmp_eq_u32_e64 s[2:3], 0, v15
	s_and_saveexec_b64 s[4:5], s[2:3]
	s_cbranch_execz .LBB1035_62
; %bb.61:
	s_add_i32 s6, s34, 64
	s_lshl_b64 s[6:7], s[6:7], 2
	s_add_u32 s6, s24, s6
	s_waitcnt lgkmcnt(0)
	v_or_b32_e32 v14, 0x10000, v25
	s_addc_u32 s7, s25, s7
	global_store_dword v17, v14, s[6:7]
.LBB1035_62:
	s_or_b64 exec, exec, s[4:5]
	v_xad_u32 v14, v15, -1, s34
	v_add_u32_e32 v16, 64, v14
	v_lshlrev_b64 v[18:19], 2, v[16:17]
	v_mov_b32_e32 v16, s25
	v_add_co_u32_e32 v18, vcc, s24, v18
	v_addc_co_u32_e32 v19, vcc, v16, v19, vcc
	global_load_dword v38, v[18:19], off glc
	s_waitcnt vmcnt(0)
	v_lshrrev_b32_e32 v27, 16, v38
	v_cmp_eq_u16_sdwa s[6:7], v27, v17 src0_sel:BYTE_0 src1_sel:DWORD
	s_and_saveexec_b64 s[4:5], s[6:7]
	s_cbranch_execz .LBB1035_66
; %bb.63:
	s_mov_b64 s[6:7], 0
	v_mov_b32_e32 v16, 0
.LBB1035_64:                            ; =>This Inner Loop Header: Depth=1
	global_load_dword v38, v[18:19], off glc
	s_waitcnt vmcnt(0)
	v_lshrrev_b32_e32 v27, 16, v38
	v_cmp_ne_u16_sdwa s[36:37], v27, v16 src0_sel:BYTE_0 src1_sel:DWORD
	s_or_b64 s[6:7], s[36:37], s[6:7]
	s_andn2_b64 exec, exec, s[6:7]
	s_cbranch_execnz .LBB1035_64
; %bb.65:
	s_or_b64 exec, exec, s[6:7]
.LBB1035_66:
	s_or_b64 exec, exec, s[4:5]
	v_and_b32_e32 v28, 63, v15
	v_cmp_ne_u32_e32 vcc, 63, v28
	v_mov_b32_e32 v26, 2
	v_addc_co_u32_e32 v29, vcc, 0, v15, vcc
	v_cmp_eq_u16_sdwa s[4:5], v27, v26 src0_sel:BYTE_0 src1_sel:DWORD
	v_lshlrev_b64 v[16:17], v15, -1
	v_and_b32_e32 v30, 0xffff, v38
	v_lshlrev_b32_e32 v29, 2, v29
	v_and_b32_e32 v18, s5, v17
	ds_bpermute_b32 v31, v29, v30
	v_or_b32_e32 v18, 0x80000000, v18
	v_and_b32_e32 v19, s4, v16
	v_ffbl_b32_e32 v18, v18
	v_add_u32_e32 v18, 32, v18
	v_ffbl_b32_e32 v19, v19
	v_min_u32_e32 v18, v19, v18
	s_waitcnt lgkmcnt(0)
	v_add_u16_e32 v19, v31, v38
	v_cmp_lt_u32_e32 vcc, v28, v18
	v_cmp_gt_u32_e64 s[4:5], 62, v28
	v_cndmask_b32_e32 v32, v30, v19, vcc
	v_cndmask_b32_e64 v30, 0, 1, s[4:5]
	v_lshlrev_b32_e32 v30, 1, v30
	v_add_lshl_u32 v30, v30, v15, 2
	ds_bpermute_b32 v33, v30, v32
	v_cndmask_b32_e32 v19, v38, v19, vcc
	v_add_u32_e32 v31, 2, v28
	v_cmp_gt_u32_e64 s[4:5], v31, v18
	v_cmp_gt_u32_e64 s[6:7], 60, v28
	s_waitcnt lgkmcnt(0)
	v_add_u16_e32 v33, v19, v33
	v_cndmask_b32_e64 v34, v33, v32, s[4:5]
	v_cndmask_b32_e64 v32, 0, 1, s[6:7]
	v_lshlrev_b32_e32 v32, 2, v32
	v_add_lshl_u32 v32, v32, v15, 2
	ds_bpermute_b32 v35, v32, v34
	v_cndmask_b32_e64 v19, v33, v19, s[4:5]
	v_add_u32_e32 v33, 4, v28
	v_cmp_gt_u32_e64 s[4:5], v33, v18
	v_cmp_gt_u32_e64 s[6:7], 56, v28
	s_waitcnt lgkmcnt(0)
	v_add_u16_e32 v35, v19, v35
	v_cndmask_b32_e64 v36, v35, v34, s[4:5]
	v_cndmask_b32_e64 v34, 0, 1, s[6:7]
	v_lshlrev_b32_e32 v34, 3, v34
	v_add_lshl_u32 v34, v34, v15, 2
	ds_bpermute_b32 v37, v34, v36
	v_cndmask_b32_e64 v19, v35, v19, s[4:5]
	;; [unrolled: 11-line block ×3, first 2 shown]
	v_add_u32_e32 v37, 16, v28
	v_cmp_gt_u32_e64 s[4:5], v37, v18
	v_cmp_gt_u32_e64 s[6:7], 32, v28
	s_waitcnt lgkmcnt(0)
	v_add_u16_e32 v41, v19, v40
	v_cndmask_b32_e64 v40, v41, v39, s[4:5]
	v_cndmask_b32_e64 v39, 0, 1, s[6:7]
	v_lshlrev_b32_e32 v39, 5, v39
	v_add_lshl_u32 v39, v39, v15, 2
	ds_bpermute_b32 v15, v39, v40
	v_add_u32_e32 v40, 32, v28
	v_cndmask_b32_e64 v19, v41, v19, s[4:5]
	v_cmp_le_u32_e64 s[4:5], v40, v18
	s_waitcnt lgkmcnt(0)
	v_cndmask_b32_e64 v15, 0, v15, s[4:5]
	v_add_u16_e32 v15, v19, v15
	v_cndmask_b32_e32 v18, v38, v15, vcc
	v_mov_b32_e32 v15, 0
	s_branch .LBB1035_68
.LBB1035_67:                            ;   in Loop: Header=BB1035_68 Depth=1
	s_or_b64 exec, exec, s[4:5]
	v_cmp_eq_u16_sdwa s[4:5], v27, v26 src0_sel:BYTE_0 src1_sel:DWORD
	v_and_b32_e32 v42, 0xffff, v41
	v_and_b32_e32 v18, s5, v17
	ds_bpermute_b32 v43, v29, v42
	v_or_b32_e32 v18, 0x80000000, v18
	v_and_b32_e32 v19, s4, v16
	v_ffbl_b32_e32 v18, v18
	v_add_u32_e32 v18, 32, v18
	v_ffbl_b32_e32 v19, v19
	v_min_u32_e32 v18, v19, v18
	s_waitcnt lgkmcnt(0)
	v_add_u16_e32 v19, v43, v41
	v_cmp_lt_u32_e32 vcc, v28, v18
	v_cndmask_b32_e32 v42, v42, v19, vcc
	ds_bpermute_b32 v43, v30, v42
	v_cndmask_b32_e32 v19, v41, v19, vcc
	v_cmp_gt_u32_e64 s[4:5], v31, v18
	v_subrev_u32_e32 v14, 64, v14
	s_waitcnt lgkmcnt(0)
	v_add_u16_e32 v43, v19, v43
	v_cndmask_b32_e64 v42, v43, v42, s[4:5]
	ds_bpermute_b32 v44, v32, v42
	v_cndmask_b32_e64 v19, v43, v19, s[4:5]
	v_cmp_gt_u32_e64 s[4:5], v33, v18
	s_waitcnt lgkmcnt(0)
	v_add_u16_e32 v43, v19, v44
	v_cndmask_b32_e64 v42, v43, v42, s[4:5]
	ds_bpermute_b32 v44, v34, v42
	v_cndmask_b32_e64 v19, v43, v19, s[4:5]
	v_cmp_gt_u32_e64 s[4:5], v35, v18
	;; [unrolled: 6-line block ×3, first 2 shown]
	s_waitcnt lgkmcnt(0)
	v_add_u16_e32 v43, v19, v44
	v_cndmask_b32_e64 v42, v43, v42, s[4:5]
	ds_bpermute_b32 v42, v39, v42
	v_cndmask_b32_e64 v19, v43, v19, s[4:5]
	v_cmp_le_u32_e64 s[4:5], v40, v18
	s_waitcnt lgkmcnt(0)
	v_cndmask_b32_e64 v18, 0, v42, s[4:5]
	v_add_u16_e32 v18, v19, v18
	v_cndmask_b32_e32 v18, v41, v18, vcc
	v_add_u16_e32 v18, v18, v38
.LBB1035_68:                            ; =>This Loop Header: Depth=1
                                        ;     Child Loop BB1035_71 Depth 2
	v_cmp_ne_u16_sdwa s[4:5], v27, v26 src0_sel:BYTE_0 src1_sel:DWORD
	v_cndmask_b32_e64 v19, 0, 1, s[4:5]
	;;#ASMSTART
	;;#ASMEND
	v_cmp_ne_u32_e32 vcc, 0, v19
	s_cmp_lg_u64 vcc, exec
	v_mov_b32_e32 v38, v18
	s_cbranch_scc1 .LBB1035_73
; %bb.69:                               ;   in Loop: Header=BB1035_68 Depth=1
	v_lshlrev_b64 v[18:19], 2, v[14:15]
	v_mov_b32_e32 v27, s25
	v_add_co_u32_e32 v18, vcc, s24, v18
	v_addc_co_u32_e32 v19, vcc, v27, v19, vcc
	global_load_dword v41, v[18:19], off glc
	s_waitcnt vmcnt(0)
	v_lshrrev_b32_e32 v27, 16, v41
	v_cmp_eq_u16_sdwa s[6:7], v27, v15 src0_sel:BYTE_0 src1_sel:DWORD
	s_and_saveexec_b64 s[4:5], s[6:7]
	s_cbranch_execz .LBB1035_67
; %bb.70:                               ;   in Loop: Header=BB1035_68 Depth=1
	s_mov_b64 s[6:7], 0
.LBB1035_71:                            ;   Parent Loop BB1035_68 Depth=1
                                        ; =>  This Inner Loop Header: Depth=2
	global_load_dword v41, v[18:19], off glc
	s_waitcnt vmcnt(0)
	v_lshrrev_b32_e32 v27, 16, v41
	v_cmp_ne_u16_sdwa s[36:37], v27, v15 src0_sel:BYTE_0 src1_sel:DWORD
	s_or_b64 s[6:7], s[36:37], s[6:7]
	s_andn2_b64 exec, exec, s[6:7]
	s_cbranch_execnz .LBB1035_71
; %bb.72:                               ;   in Loop: Header=BB1035_68 Depth=1
	s_or_b64 exec, exec, s[6:7]
	s_branch .LBB1035_67
.LBB1035_73:                            ;   in Loop: Header=BB1035_68 Depth=1
                                        ; implicit-def: $vgpr18
                                        ; implicit-def: $vgpr27
	s_cbranch_execz .LBB1035_68
; %bb.74:
	s_and_saveexec_b64 s[4:5], s[2:3]
	s_cbranch_execz .LBB1035_76
; %bb.75:
	s_add_i32 s2, s34, 64
	s_mov_b32 s3, 0
	s_lshl_b64 s[2:3], s[2:3], 2
	v_add_u16_e32 v14, v38, v25
	s_add_u32 s2, s24, s2
	v_or_b32_e32 v14, 0x20000, v14
	s_addc_u32 s3, s25, s3
	v_mov_b32_e32 v15, 0
	global_store_dword v15, v14, s[2:3]
.LBB1035_76:
	s_or_b64 exec, exec, s[4:5]
	s_and_b64 exec, exec, s[0:1]
	s_cbranch_execz .LBB1035_78
; %bb.77:
	v_mov_b32_e32 v14, 0
	ds_write_b16 v14, v38
.LBB1035_78:
	s_or_b64 exec, exec, s[22:23]
	v_mov_b32_e32 v14, 0
	s_waitcnt lgkmcnt(0)
	; wave barrier
	s_waitcnt lgkmcnt(0)
	ds_read_u16 v14, v14
	v_cndmask_b32_e64 v15, v24, 0, s[0:1]
	s_waitcnt lgkmcnt(0)
	v_add_u16_e32 v14, v14, v15
	s_branch .LBB1035_87
.LBB1035_79:
                                        ; implicit-def: $vgpr14
	s_cbranch_execz .LBB1035_87
; %bb.80:
	s_cmp_eq_u64 s[12:13], 0
	v_mov_b32_e32 v15, s30
	s_cbranch_scc1 .LBB1035_82
; %bb.81:
	v_mov_b32_e32 v15, s33
	v_add_co_u32_e64 v14, vcc, -2, s31
	v_addc_co_u32_e32 v15, vcc, -1, v15, vcc
	v_mov_b32_e32 v16, 0
	flat_load_ushort v17, v[14:15]
	global_load_ushort v18, v16, s[8:9]
	s_waitcnt vmcnt(0) lgkmcnt(0)
	v_add_u16_e32 v15, v18, v17
.LBB1035_82:
	v_add_u16_sdwa v14, v23, v11 dst_sel:DWORD dst_unused:UNUSED_PAD src0_sel:DWORD src1_sel:WORD_1
	v_add_u16_e32 v14, v14, v12
	v_add_u16_sdwa v14, v14, v12 dst_sel:DWORD dst_unused:UNUSED_PAD src0_sel:DWORD src1_sel:WORD_1
	v_add_u16_e32 v14, v14, v13
	;; [unrolled: 2-line block ×10, first 2 shown]
	v_add_u16_sdwa v16, v14, v5 dst_sel:DWORD dst_unused:UNUSED_PAD src0_sel:DWORD src1_sel:WORD_1
	v_mbcnt_hi_u32_b32 v14, -1, v22
	v_and_b32_e32 v17, 15, v14
	v_mov_b32_dpp v18, v16 row_shr:1 row_mask:0xf bank_mask:0xf
	v_cmp_ne_u32_e32 vcc, 0, v17
	v_cndmask_b32_e32 v18, 0, v18, vcc
	v_add_u16_e32 v16, v18, v16
	v_cmp_lt_u32_e32 vcc, 1, v17
	s_nop 0
	v_mov_b32_dpp v18, v16 row_shr:2 row_mask:0xf bank_mask:0xf
	v_cndmask_b32_e32 v18, 0, v18, vcc
	v_add_u16_e32 v16, v16, v18
	v_cmp_lt_u32_e32 vcc, 3, v17
	s_nop 0
	v_mov_b32_dpp v18, v16 row_shr:4 row_mask:0xf bank_mask:0xf
	;; [unrolled: 5-line block ×3, first 2 shown]
	v_cndmask_b32_e32 v17, 0, v18, vcc
	v_add_u16_e32 v16, v16, v17
	v_and_b32_e32 v18, 16, v14
	v_cmp_ne_u32_e32 vcc, 0, v18
	v_mov_b32_dpp v17, v16 row_bcast:15 row_mask:0xf bank_mask:0xf
	v_cndmask_b32_e32 v17, 0, v17, vcc
	v_add_u16_e32 v16, v16, v17
	v_cmp_lt_u32_e32 vcc, 31, v14
	s_nop 0
	v_mov_b32_dpp v17, v16 row_bcast:31 row_mask:0xf bank_mask:0xf
	v_cndmask_b32_e32 v17, 0, v17, vcc
	v_add_u16_e32 v16, v16, v17
	v_cmp_eq_u32_e32 vcc, 63, v0
	s_and_saveexec_b64 s[2:3], vcc
	s_cbranch_execz .LBB1035_84
; %bb.83:
	v_mov_b32_e32 v17, 0
	ds_write_b16 v17, v16
.LBB1035_84:
	s_or_b64 exec, exec, s[2:3]
	v_add_u32_e32 v17, -1, v14
	v_and_b32_e32 v18, 64, v14
	v_cmp_lt_i32_e32 vcc, v17, v18
	v_cndmask_b32_e32 v17, v17, v14, vcc
	v_add_u16_e32 v16, v16, v15
	v_lshlrev_b32_e32 v17, 2, v17
	ds_bpermute_b32 v16, v17, v16
	v_cmp_eq_u32_e32 vcc, 0, v14
	s_or_b64 vcc, s[0:1], vcc
	s_waitcnt lgkmcnt(0)
	; wave barrier
	s_waitcnt lgkmcnt(0)
	v_cndmask_b32_e32 v14, v16, v15, vcc
	s_and_saveexec_b64 s[2:3], s[0:1]
	s_cbranch_execz .LBB1035_86
; %bb.85:
	v_mov_b32_e32 v14, 0
	ds_read_u16 v16, v14
	s_waitcnt lgkmcnt(0)
	v_add_u16_e32 v16, v16, v15
	v_or_b32_e32 v16, 0x20000, v16
	global_store_dword v14, v16, s[24:25] offset:256
	v_mov_b32_e32 v14, v15
.LBB1035_86:
	s_or_b64 exec, exec, s[2:3]
.LBB1035_87:
	v_add_u16_e32 v15, v14, v10
	v_add_u16_sdwa v16, v15, v10 dst_sel:DWORD dst_unused:UNUSED_PAD src0_sel:DWORD src1_sel:WORD_1
	v_add_u16_e32 v17, v16, v11
	v_add_u16_sdwa v19, v17, v11 dst_sel:DWORD dst_unused:UNUSED_PAD src0_sel:DWORD src1_sel:WORD_1
	;; [unrolled: 2-line block ×9, first 2 shown]
	v_add_u16_e32 v8, v2, v3
	s_add_u32 s0, s20, s26
	v_add_u16_sdwa v3, v8, v3 dst_sel:DWORD dst_unused:UNUSED_PAD src0_sel:DWORD src1_sel:WORD_1
	s_addc_u32 s1, s21, s27
	v_add_u16_e32 v9, v3, v4
	v_add_u16_sdwa v4, v9, v4 dst_sel:DWORD dst_unused:UNUSED_PAD src0_sel:DWORD src1_sel:WORD_1
	s_add_u32 s2, s0, s18
	v_add_u16_e32 v5, v4, v5
	s_addc_u32 s3, s1, s19
	s_mov_b64 s[0:1], -1
	s_and_b64 vcc, exec, s[16:17]
	s_waitcnt lgkmcnt(0)
	; wave barrier
	s_cbranch_vccz .LBB1035_89
; %bb.88:
	s_mov_b32 s0, 0x5040100
	v_perm_b32 v31, v27, v25, s0
	v_perm_b32 v30, v23, v19, s0
	;; [unrolled: 1-line block ×4, first 2 shown]
	ds_write_b128 v1, v[28:31]
	v_perm_b32 v31, v26, v24, s0
	v_perm_b32 v30, v22, v18, s0
	v_perm_b32 v29, v13, v12, s0
	v_perm_b32 v28, v11, v10, s0
	ds_write_b128 v1, v[28:31] offset:16
	v_perm_b32 v31, v5, v4, s0
	v_perm_b32 v30, v9, v3, s0
	;; [unrolled: 1-line block ×4, first 2 shown]
	ds_write_b128 v1, v[28:31] offset:32
	s_waitcnt lgkmcnt(0)
	; wave barrier
	s_waitcnt lgkmcnt(0)
	ds_read_u16 v30, v20
	ds_read_u16 v31, v20 offset:128
	ds_read_u16 v32, v20 offset:256
	ds_read_u16 v33, v20 offset:384
	ds_read_u16 v34, v20 offset:512
	ds_read_u16 v35, v20 offset:640
	ds_read_u16 v36, v20 offset:768
	ds_read_u16 v37, v20 offset:896
	ds_read_u16 v38, v20 offset:1024
	ds_read_u16 v39, v20 offset:1152
	ds_read_u16 v40, v20 offset:1280
	ds_read_u16 v41, v20 offset:1408
	ds_read_u16 v42, v20 offset:1536
	ds_read_u16 v43, v20 offset:1664
	ds_read_u16 v44, v20 offset:1792
	ds_read_u16 v45, v20 offset:1920
	ds_read_u16 v46, v20 offset:2048
	ds_read_u16 v47, v20 offset:2176
	ds_read_u16 v48, v20 offset:2304
	ds_read_u16 v49, v20 offset:2432
	ds_read_u16 v50, v20 offset:2560
	ds_read_u16 v51, v20 offset:2688
	ds_read_u16 v52, v20 offset:2816
	ds_read_u16 v53, v20 offset:2944
	v_mov_b32_e32 v29, s3
	v_add_co_u32_e32 v28, vcc, s2, v20
	v_addc_co_u32_e32 v29, vcc, 0, v29, vcc
	s_waitcnt lgkmcnt(14)
	flat_store_short v[28:29], v30
	flat_store_short v[28:29], v31 offset:128
	flat_store_short v[28:29], v32 offset:256
	;; [unrolled: 1-line block ×9, first 2 shown]
	s_waitcnt lgkmcnt(0)
	flat_store_short v[28:29], v40 offset:1280
	flat_store_short v[28:29], v41 offset:1408
	flat_store_short v[28:29], v42 offset:1536
	flat_store_short v[28:29], v43 offset:1664
	flat_store_short v[28:29], v44 offset:1792
	flat_store_short v[28:29], v45 offset:1920
	flat_store_short v[28:29], v46 offset:2048
	flat_store_short v[28:29], v47 offset:2176
	flat_store_short v[28:29], v48 offset:2304
	flat_store_short v[28:29], v49 offset:2432
	flat_store_short v[28:29], v50 offset:2560
	flat_store_short v[28:29], v51 offset:2688
	flat_store_short v[28:29], v52 offset:2816
	flat_store_short v[28:29], v53 offset:2944
	s_mov_b64 s[0:1], 0
.LBB1035_89:
	s_andn2_b64 vcc, exec, s[0:1]
	s_cbranch_vccnz .LBB1035_146
; %bb.90:
	s_mov_b32 s0, 0x5040100
	v_perm_b32 v31, v27, v25, s0
	v_perm_b32 v30, v23, v19, s0
	;; [unrolled: 1-line block ×12, first 2 shown]
	ds_write_b128 v1, v[28:31]
	ds_write_b128 v1, v[12:15] offset:16
	ds_write_b128 v1, v[2:5] offset:32
	s_waitcnt lgkmcnt(0)
	; wave barrier
	s_waitcnt lgkmcnt(0)
	ds_read_u16 v5, v20
	ds_read_u16 v4, v20 offset:128
	ds_read_u16 v7, v20 offset:256
	;; [unrolled: 1-line block ×23, first 2 shown]
	v_mov_b32_e32 v3, s3
	v_add_co_u32_e32 v2, vcc, s2, v20
	v_addc_co_u32_e32 v3, vcc, 0, v3, vcc
	v_mov_b32_e32 v1, 0
	v_cmp_gt_u32_e32 vcc, s28, v0
	s_and_saveexec_b64 s[0:1], vcc
	s_cbranch_execz .LBB1035_92
; %bb.91:
	s_waitcnt lgkmcnt(0)
	flat_store_short v[2:3], v5
.LBB1035_92:
	s_or_b64 exec, exec, s[0:1]
	v_or_b32_e32 v20, 64, v0
	v_cmp_gt_u32_e32 vcc, s28, v20
	s_and_saveexec_b64 s[0:1], vcc
	s_cbranch_execz .LBB1035_94
; %bb.93:
	s_waitcnt lgkmcnt(0)
	flat_store_short v[2:3], v4 offset:128
.LBB1035_94:
	s_or_b64 exec, exec, s[0:1]
	v_or_b32_e32 v20, 0x80, v0
	v_cmp_gt_u32_e32 vcc, s28, v20
	s_and_saveexec_b64 s[0:1], vcc
	s_cbranch_execz .LBB1035_96
; %bb.95:
	s_waitcnt lgkmcnt(0)
	flat_store_short v[2:3], v7 offset:256
.LBB1035_96:
	;; [unrolled: 9-line block ×23, first 2 shown]
	s_or_b64 exec, exec, s[0:1]
	v_cmp_lt_u64_e64 s[0:1], s[14:15], 2
	s_and_b64 vcc, exec, s[0:1]
	s_cbranch_vccnz .LBB1035_146
; %bb.139:
	s_add_u32 s0, s28, -1
	s_addc_u32 s1, s29, -1
	s_add_u32 s2, 0, 0xaaaa0000
	s_addc_u32 s3, 0, 42
	s_add_i32 s3, s3, 0xaaaaa80
	s_mul_hi_u32 s7, s2, 0xffffffe8
	s_sub_i32 s7, s7, s2
	s_mul_i32 s8, s3, 0xffffffe8
	s_mul_i32 s4, s2, 0xffffffe8
	s_add_i32 s7, s7, s8
	s_mul_hi_u32 s5, s3, s4
	s_mul_i32 s6, s3, s4
	s_mul_i32 s9, s2, s7
	s_mul_hi_u32 s4, s2, s4
	s_mul_hi_u32 s8, s2, s7
	s_add_u32 s4, s4, s9
	s_addc_u32 s8, 0, s8
	s_add_u32 s4, s4, s6
	s_mul_hi_u32 s9, s3, s7
	s_addc_u32 s4, s8, s5
	s_addc_u32 s5, s9, 0
	s_mul_i32 s6, s3, s7
	s_add_u32 s4, s4, s6
	v_mov_b32_e32 v2, s4
	s_addc_u32 s5, 0, s5
	v_add_co_u32_e32 v2, vcc, s2, v2
	s_cmp_lg_u64 vcc, 0
	s_addc_u32 s2, s3, s5
	v_readfirstlane_b32 s5, v2
	s_mul_i32 s4, s0, s2
	s_mul_hi_u32 s6, s0, s5
	s_mul_hi_u32 s3, s0, s2
	s_add_u32 s4, s6, s4
	s_addc_u32 s3, 0, s3
	s_mul_hi_u32 s7, s1, s5
	s_mul_i32 s5, s1, s5
	s_add_u32 s4, s4, s5
	s_mul_hi_u32 s6, s1, s2
	s_addc_u32 s3, s3, s7
	s_addc_u32 s4, s6, 0
	s_mul_i32 s2, s1, s2
	s_add_u32 s2, s3, s2
	s_addc_u32 s3, 0, s4
	s_add_u32 s4, s2, 1
	s_addc_u32 s5, s3, 0
	s_add_u32 s6, s2, 2
	s_mul_i32 s8, s3, 24
	s_mul_hi_u32 s9, s2, 24
	s_addc_u32 s7, s3, 0
	s_add_i32 s9, s9, s8
	s_mul_i32 s8, s2, 24
	v_mov_b32_e32 v2, s8
	v_sub_co_u32_e32 v2, vcc, s0, v2
	s_cmp_lg_u64 vcc, 0
	s_subb_u32 s8, s1, s9
	v_subrev_co_u32_e32 v3, vcc, 24, v2
	s_cmp_lg_u64 vcc, 0
	s_subb_u32 s9, s8, 0
	v_readfirstlane_b32 s12, v3
	s_cmp_gt_u32 s12, 23
	s_cselect_b32 s12, -1, 0
	s_cmp_eq_u32 s9, 0
	s_cselect_b32 s9, s12, -1
	s_cmp_lg_u32 s9, 0
	s_cselect_b32 s4, s6, s4
	v_readfirstlane_b32 s6, v2
	s_cselect_b32 s5, s7, s5
	s_cmp_gt_u32 s6, 23
	s_cselect_b32 s6, -1, 0
	s_cmp_eq_u32 s8, 0
	s_cselect_b32 s6, s6, -1
	s_cmp_lg_u32 s6, 0
	s_cselect_b32 s3, s5, s3
	s_cselect_b32 s2, s4, s2
	v_cmp_eq_u64_e32 vcc, s[2:3], v[0:1]
	s_and_saveexec_b64 s[2:3], vcc
	s_cbranch_execz .LBB1035_146
; %bb.140:
	v_mul_hi_u32_u24_e32 v1, 24, v0
	v_mov_b32_e32 v2, s1
	v_sub_co_u32_e32 v0, vcc, s0, v21
	v_subb_co_u32_e32 v1, vcc, v2, v1, vcc
	v_cmp_lt_i64_e32 vcc, 11, v[0:1]
	s_mov_b64 s[0:1], 0
	s_mov_b64 s[8:9], 0
	;; [unrolled: 1-line block ×4, first 2 shown]
	s_and_saveexec_b64 s[2:3], vcc
	s_xor_b64 s[2:3], exec, s[2:3]
	s_cbranch_execnz .LBB1035_147
; %bb.141:
	s_andn2_saveexec_b64 s[2:3], s[2:3]
	s_cbranch_execnz .LBB1035_192
.LBB1035_142:
	s_or_b64 exec, exec, s[2:3]
	s_and_saveexec_b64 s[2:3], s[8:9]
	s_cbranch_execnz .LBB1035_209
.LBB1035_143:
	s_or_b64 exec, exec, s[2:3]
	s_and_saveexec_b64 s[2:3], s[6:7]
	s_cbranch_execnz .LBB1035_210
.LBB1035_144:
	s_or_b64 exec, exec, s[2:3]
	s_and_saveexec_b64 s[2:3], s[4:5]
	s_xor_b64 s[2:3], exec, s[2:3]
	s_cbranch_execnz .LBB1035_211
.LBB1035_145:
	s_or_b64 exec, exec, s[2:3]
	s_and_b64 exec, exec, s[0:1]
	s_cbranch_execnz .LBB1035_212
.LBB1035_146:
	s_endpgm
.LBB1035_147:
	v_cmp_lt_i64_e32 vcc, 17, v[0:1]
	s_and_saveexec_b64 s[12:13], vcc
	s_xor_b64 s[12:13], exec, s[12:13]
	s_cbranch_execz .LBB1035_169
; %bb.148:
	v_cmp_lt_i64_e32 vcc, 20, v[0:1]
                                        ; implicit-def: $vgpr10
	s_and_saveexec_b64 s[14:15], vcc
	s_xor_b64 s[14:15], exec, s[14:15]
	s_cbranch_execz .LBB1035_158
; %bb.149:
	v_cmp_lt_i64_e32 vcc, 21, v[0:1]
	s_mov_b64 s[16:17], 0
                                        ; implicit-def: $vgpr10
	s_and_saveexec_b64 s[4:5], vcc
	s_xor_b64 s[4:5], exec, s[4:5]
	s_cbranch_execz .LBB1035_155
; %bb.150:
	v_cmp_lt_i64_e32 vcc, 22, v[0:1]
	s_and_saveexec_b64 s[16:17], vcc
	s_xor_b64 s[16:17], exec, s[16:17]
	s_cbranch_execz .LBB1035_152
; %bb.151:
	v_mov_b32_e32 v2, 0
	s_waitcnt lgkmcnt(0)
	global_store_short v2, v29, s[10:11]
                                        ; implicit-def: $vgpr28
.LBB1035_152:
	s_or_saveexec_b64 s[16:17], s[16:17]
	s_mov_b64 s[18:19], 0
	s_xor_b64 exec, exec, s[16:17]
; %bb.153:
	s_mov_b64 s[18:19], exec
; %bb.154:
	s_or_b64 exec, exec, s[16:17]
	s_and_b64 s[16:17], s[18:19], exec
	s_waitcnt lgkmcnt(0)
	v_mov_b32_e32 v10, v28
                                        ; implicit-def: $vgpr11
.LBB1035_155:
	s_andn2_saveexec_b64 s[4:5], s[4:5]
; %bb.156:
	s_mov_b64 s[6:7], exec
                                        ; implicit-def: $vgpr10
; %bb.157:
	s_or_b64 exec, exec, s[4:5]
	s_and_b64 s[4:5], s[16:17], exec
	s_and_b64 s[6:7], s[6:7], exec
                                        ; implicit-def: $vgpr26
                                        ; implicit-def: $vgpr12
                                        ; implicit-def: $vgpr23
.LBB1035_158:
	s_andn2_saveexec_b64 s[14:15], s[14:15]
	s_cbranch_execz .LBB1035_168
; %bb.159:
	v_cmp_lt_i64_e32 vcc, 18, v[0:1]
	s_mov_b64 s[16:17], 0
	s_and_saveexec_b64 s[8:9], vcc
	s_xor_b64 s[8:9], exec, s[8:9]
	s_cbranch_execz .LBB1035_165
; %bb.160:
	v_cmp_lt_i64_e32 vcc, 19, v[0:1]
	s_and_saveexec_b64 s[18:19], vcc
	s_xor_b64 s[18:19], exec, s[18:19]
; %bb.161:
	s_mov_b64 s[16:17], exec
                                        ; implicit-def: $vgpr23
; %bb.162:
	s_andn2_saveexec_b64 s[18:19], s[18:19]
	s_cbranch_execz .LBB1035_164
; %bb.163:
	v_mov_b32_e32 v2, 0
	s_waitcnt lgkmcnt(0)
	global_store_short v2, v23, s[10:11]
                                        ; implicit-def: $vgpr12
.LBB1035_164:
	s_or_b64 exec, exec, s[18:19]
	s_and_b64 s[16:17], s[16:17], exec
                                        ; implicit-def: $vgpr26
.LBB1035_165:
	s_andn2_saveexec_b64 s[8:9], s[8:9]
	s_cbranch_execz .LBB1035_167
; %bb.166:
	v_mov_b32_e32 v2, 0
	s_waitcnt lgkmcnt(0)
	global_store_short v2, v26, s[10:11]
                                        ; implicit-def: $vgpr12
.LBB1035_167:
	s_or_b64 exec, exec, s[8:9]
	s_and_b64 s[8:9], s[16:17], exec
                                        ; implicit-def: $vgpr10
                                        ; implicit-def: $vgpr11
.LBB1035_168:
	s_or_b64 exec, exec, s[14:15]
	s_and_b64 s[4:5], s[4:5], exec
	s_and_b64 s[6:7], s[6:7], exec
	;; [unrolled: 1-line block ×3, first 2 shown]
                                        ; implicit-def: $vgpr18
                                        ; implicit-def: $vgpr13
                                        ; implicit-def: $vgpr14
                                        ; implicit-def: $vgpr24
                                        ; implicit-def: $vgpr27
.LBB1035_169:
	s_andn2_saveexec_b64 s[12:13], s[12:13]
	s_cbranch_execz .LBB1035_191
; %bb.170:
	v_cmp_lt_i64_e32 vcc, 14, v[0:1]
	s_mov_b64 s[14:15], s[4:5]
	s_and_saveexec_b64 s[16:17], vcc
	s_xor_b64 s[16:17], exec, s[16:17]
	s_cbranch_execz .LBB1035_180
; %bb.171:
	v_cmp_lt_i64_e32 vcc, 15, v[0:1]
	s_and_saveexec_b64 s[14:15], vcc
	s_xor_b64 s[14:15], exec, s[14:15]
	s_cbranch_execz .LBB1035_177
; %bb.172:
	v_cmp_lt_i64_e32 vcc, 16, v[0:1]
	s_and_saveexec_b64 s[18:19], vcc
	s_xor_b64 s[18:19], exec, s[18:19]
	s_cbranch_execz .LBB1035_174
; %bb.173:
	v_mov_b32_e32 v2, 0
	s_waitcnt lgkmcnt(0)
	global_store_short v2, v27, s[10:11]
                                        ; implicit-def: $vgpr24
.LBB1035_174:
	s_andn2_saveexec_b64 s[18:19], s[18:19]
	s_cbranch_execz .LBB1035_176
; %bb.175:
	v_mov_b32_e32 v2, 0
	s_waitcnt lgkmcnt(0)
	global_store_short v2, v24, s[10:11]
.LBB1035_176:
	s_or_b64 exec, exec, s[18:19]
                                        ; implicit-def: $vgpr10
.LBB1035_177:
	s_or_saveexec_b64 s[14:15], s[14:15]
	s_mov_b64 s[18:19], s[4:5]
	s_xor_b64 exec, exec, s[14:15]
; %bb.178:
	s_or_b64 s[18:19], s[4:5], exec
; %bb.179:
	s_or_b64 exec, exec, s[14:15]
	s_andn2_b64 s[14:15], s[4:5], exec
	s_and_b64 s[18:19], s[18:19], exec
	s_or_b64 s[14:15], s[14:15], s[18:19]
                                        ; implicit-def: $vgpr18
                                        ; implicit-def: $vgpr13
                                        ; implicit-def: $vgpr14
.LBB1035_180:
	s_or_saveexec_b64 s[16:17], s[16:17]
	s_mov_b64 s[18:19], s[6:7]
                                        ; implicit-def: $vgpr11
	s_xor_b64 exec, exec, s[16:17]
	s_cbranch_execz .LBB1035_190
; %bb.181:
	v_cmp_lt_i64_e32 vcc, 12, v[0:1]
	s_mov_b64 s[20:21], s[6:7]
	s_mov_b64 s[22:23], s[14:15]
                                        ; implicit-def: $vgpr10
                                        ; implicit-def: $vgpr11
	s_and_saveexec_b64 s[18:19], vcc
	s_xor_b64 s[18:19], exec, s[18:19]
	s_cbranch_execz .LBB1035_187
; %bb.182:
	v_cmp_lt_i64_e32 vcc, 13, v[0:1]
	s_mov_b64 s[20:21], s[14:15]
	s_and_saveexec_b64 s[22:23], vcc
	s_xor_b64 s[22:23], exec, s[22:23]
; %bb.183:
	s_or_b64 s[20:21], s[14:15], exec
                                        ; implicit-def: $vgpr13
; %bb.184:
	s_or_saveexec_b64 s[22:23], s[22:23]
	s_mov_b64 s[24:25], s[6:7]
	s_xor_b64 exec, exec, s[22:23]
; %bb.185:
	s_or_b64 s[24:25], s[6:7], exec
                                        ; implicit-def: $vgpr14
; %bb.186:
	s_or_b64 exec, exec, s[22:23]
	s_andn2_b64 s[22:23], s[14:15], exec
	s_and_b64 s[20:21], s[20:21], exec
	s_or_b64 s[22:23], s[22:23], s[20:21]
	s_andn2_b64 s[20:21], s[6:7], exec
	s_and_b64 s[24:25], s[24:25], exec
	s_or_b64 s[20:21], s[20:21], s[24:25]
	s_waitcnt lgkmcnt(0)
	v_mov_b32_e32 v10, v14
	v_mov_b32_e32 v11, v13
                                        ; implicit-def: $vgpr18
.LBB1035_187:
	s_andn2_saveexec_b64 s[18:19], s[18:19]
	s_cbranch_execz .LBB1035_189
; %bb.188:
	s_or_b64 s[20:21], s[20:21], exec
                                        ; implicit-def: $vgpr10
	s_waitcnt lgkmcnt(0)
	v_mov_b32_e32 v11, v18
.LBB1035_189:
	s_or_b64 exec, exec, s[18:19]
	s_andn2_b64 s[14:15], s[14:15], exec
	s_and_b64 s[18:19], s[22:23], exec
	s_or_b64 s[14:15], s[14:15], s[18:19]
	s_andn2_b64 s[18:19], s[6:7], exec
	s_and_b64 s[20:21], s[20:21], exec
	s_or_b64 s[18:19], s[18:19], s[20:21]
.LBB1035_190:
	s_or_b64 exec, exec, s[16:17]
	s_andn2_b64 s[4:5], s[4:5], exec
	s_and_b64 s[14:15], s[14:15], exec
	s_or_b64 s[4:5], s[4:5], s[14:15]
	s_andn2_b64 s[6:7], s[6:7], exec
	s_and_b64 s[14:15], s[18:19], exec
	s_or_b64 s[6:7], s[6:7], s[14:15]
                                        ; implicit-def: $vgpr12
.LBB1035_191:
	s_or_b64 exec, exec, s[12:13]
	s_and_b64 s[4:5], s[4:5], exec
	s_and_b64 s[6:7], s[6:7], exec
	;; [unrolled: 1-line block ×3, first 2 shown]
                                        ; implicit-def: $vgpr17
                                        ; implicit-def: $vgpr15
                                        ; implicit-def: $vgpr16
                                        ; implicit-def: $vgpr25
                                        ; implicit-def: $vgpr22
                                        ; implicit-def: $vgpr19
	s_andn2_saveexec_b64 s[2:3], s[2:3]
	s_cbranch_execz .LBB1035_142
.LBB1035_192:
	v_cmp_lt_i64_e32 vcc, 5, v[0:1]
	s_mov_b64 s[14:15], -1
	s_mov_b64 s[12:13], s[8:9]
	s_mov_b64 s[16:17], s[6:7]
	;; [unrolled: 1-line block ×3, first 2 shown]
                                        ; implicit-def: $vgpr10
                                        ; implicit-def: $vgpr11
                                        ; implicit-def: $vgpr12
	s_and_saveexec_b64 s[0:1], vcc
	s_cbranch_execz .LBB1035_208
; %bb.193:
	v_cmp_lt_i64_e32 vcc, 8, v[0:1]
	s_mov_b64 s[12:13], s[8:9]
                                        ; implicit-def: $vgpr12
	s_and_saveexec_b64 s[14:15], vcc
	s_xor_b64 s[14:15], exec, s[14:15]
	s_cbranch_execz .LBB1035_203
; %bb.194:
	v_cmp_lt_i64_e32 vcc, 9, v[0:1]
	s_and_saveexec_b64 s[12:13], vcc
	s_xor_b64 s[12:13], exec, s[12:13]
	s_cbranch_execz .LBB1035_200
; %bb.195:
	v_cmp_lt_i64_e32 vcc, 10, v[0:1]
	s_and_saveexec_b64 s[16:17], vcc
	s_xor_b64 s[16:17], exec, s[16:17]
; %bb.196:
                                        ; implicit-def: $vgpr22
; %bb.197:
	s_andn2_saveexec_b64 s[16:17], s[16:17]
	s_cbranch_execz .LBB1035_199
; %bb.198:
	s_waitcnt lgkmcnt(0)
	v_mov_b32_e32 v19, v22
.LBB1035_199:
	s_or_b64 exec, exec, s[16:17]
                                        ; implicit-def: $vgpr25
.LBB1035_200:
	s_andn2_saveexec_b64 s[12:13], s[12:13]
	s_cbranch_execz .LBB1035_202
; %bb.201:
	s_waitcnt lgkmcnt(0)
	v_mov_b32_e32 v19, v25
.LBB1035_202:
	s_or_b64 exec, exec, s[12:13]
	s_or_b64 s[12:13], s[8:9], exec
	s_waitcnt lgkmcnt(0)
	v_mov_b32_e32 v12, v19
                                        ; implicit-def: $vgpr17
                                        ; implicit-def: $vgpr15
                                        ; implicit-def: $vgpr16
.LBB1035_203:
	s_or_saveexec_b64 s[14:15], s[14:15]
	s_mov_b64 s[16:17], s[6:7]
	s_mov_b64 s[20:21], s[4:5]
                                        ; implicit-def: $vgpr10
                                        ; implicit-def: $vgpr11
	s_xor_b64 exec, exec, s[14:15]
	s_cbranch_execz .LBB1035_207
; %bb.204:
	v_cmp_lt_i64_e32 vcc, 6, v[0:1]
	s_mov_b64 s[20:21], -1
	s_mov_b64 s[18:19], s[12:13]
	s_mov_b64 s[16:17], s[6:7]
	s_and_saveexec_b64 s[22:23], vcc
; %bb.205:
	v_cmp_lt_i64_e32 vcc, 7, v[0:1]
	s_andn2_b64 s[18:19], s[12:13], exec
	s_and_b64 s[24:25], vcc, exec
	s_xor_b64 s[20:21], exec, -1
	s_or_b64 s[16:17], s[6:7], exec
	s_or_b64 s[18:19], s[18:19], s[24:25]
                                        ; implicit-def: $vgpr17
; %bb.206:
	s_or_b64 exec, exec, s[22:23]
	s_andn2_b64 s[22:23], s[4:5], exec
	s_and_b64 s[20:21], s[20:21], exec
	s_or_b64 s[20:21], s[22:23], s[20:21]
	s_andn2_b64 s[22:23], s[6:7], exec
	s_and_b64 s[16:17], s[16:17], exec
	s_andn2_b64 s[12:13], s[12:13], exec
	s_and_b64 s[18:19], s[18:19], exec
	s_or_b64 s[16:17], s[22:23], s[16:17]
	s_or_b64 s[12:13], s[12:13], s[18:19]
	s_waitcnt lgkmcnt(0)
	v_mov_b32_e32 v10, v17
	v_mov_b32_e32 v11, v15
	;; [unrolled: 1-line block ×3, first 2 shown]
.LBB1035_207:
	s_or_b64 exec, exec, s[14:15]
	s_andn2_b64 s[18:19], s[4:5], exec
	s_and_b64 s[20:21], s[20:21], exec
	s_or_b64 s[18:19], s[18:19], s[20:21]
	s_andn2_b64 s[20:21], s[6:7], exec
	s_and_b64 s[16:17], s[16:17], exec
	s_or_b64 s[16:17], s[20:21], s[16:17]
	s_andn2_b64 s[20:21], s[8:9], exec
	s_and_b64 s[12:13], s[12:13], exec
	s_xor_b64 s[14:15], exec, -1
	s_or_b64 s[12:13], s[20:21], s[12:13]
.LBB1035_208:
	s_or_b64 exec, exec, s[0:1]
	s_and_b64 s[0:1], s[14:15], exec
	s_andn2_b64 s[4:5], s[4:5], exec
	s_and_b64 s[14:15], s[18:19], exec
	s_or_b64 s[4:5], s[4:5], s[14:15]
	s_andn2_b64 s[6:7], s[6:7], exec
	s_and_b64 s[14:15], s[16:17], exec
	s_andn2_b64 s[8:9], s[8:9], exec
	s_and_b64 s[12:13], s[12:13], exec
	s_or_b64 s[6:7], s[6:7], s[14:15]
	s_or_b64 s[8:9], s[8:9], s[12:13]
	s_or_b64 exec, exec, s[2:3]
	s_and_saveexec_b64 s[2:3], s[8:9]
	s_cbranch_execz .LBB1035_143
.LBB1035_209:
	v_mov_b32_e32 v2, 0
	s_andn2_b64 s[6:7], s[6:7], exec
	s_waitcnt lgkmcnt(0)
	global_store_short v2, v12, s[10:11]
                                        ; implicit-def: $vgpr10
                                        ; implicit-def: $vgpr11
	s_or_b64 exec, exec, s[2:3]
	s_and_saveexec_b64 s[2:3], s[6:7]
	s_cbranch_execz .LBB1035_144
.LBB1035_210:
	v_mov_b32_e32 v2, 0
	s_waitcnt lgkmcnt(0)
	global_store_short v2, v11, s[10:11]
                                        ; implicit-def: $vgpr10
	s_or_b64 exec, exec, s[2:3]
	s_and_saveexec_b64 s[2:3], s[4:5]
	s_xor_b64 s[2:3], exec, s[2:3]
	s_cbranch_execz .LBB1035_145
.LBB1035_211:
	v_mov_b32_e32 v2, 0
	s_waitcnt lgkmcnt(0)
	global_store_short v2, v10, s[10:11]
	s_or_b64 exec, exec, s[2:3]
	s_and_b64 exec, exec, s[0:1]
	s_cbranch_execz .LBB1035_146
.LBB1035_212:
	v_cmp_lt_i64_e32 vcc, 2, v[0:1]
	s_and_saveexec_b64 s[0:1], vcc
	s_xor_b64 s[0:1], exec, s[0:1]
	s_cbranch_execz .LBB1035_222
; %bb.213:
	v_cmp_lt_i64_e32 vcc, 3, v[0:1]
	s_and_saveexec_b64 s[2:3], vcc
	s_xor_b64 s[2:3], exec, s[2:3]
	s_cbranch_execz .LBB1035_219
; %bb.214:
	;; [unrolled: 5-line block ×3, first 2 shown]
	v_mov_b32_e32 v0, 0
	s_waitcnt lgkmcnt(0)
	global_store_short v0, v9, s[10:11]
                                        ; implicit-def: $vgpr6
.LBB1035_216:
	s_andn2_saveexec_b64 s[4:5], s[4:5]
	s_cbranch_execz .LBB1035_218
; %bb.217:
	v_mov_b32_e32 v0, 0
	s_waitcnt lgkmcnt(0)
	global_store_short v0, v6, s[10:11]
.LBB1035_218:
	s_or_b64 exec, exec, s[4:5]
                                        ; implicit-def: $vgpr8
.LBB1035_219:
	s_andn2_saveexec_b64 s[2:3], s[2:3]
	s_cbranch_execz .LBB1035_221
; %bb.220:
	v_mov_b32_e32 v0, 0
	s_waitcnt lgkmcnt(0)
	global_store_short v0, v8, s[10:11]
.LBB1035_221:
	s_or_b64 exec, exec, s[2:3]
                                        ; implicit-def: $vgpr0_vgpr1
                                        ; implicit-def: $vgpr7
                                        ; implicit-def: $vgpr4
                                        ; implicit-def: $vgpr5
.LBB1035_222:
	s_andn2_saveexec_b64 s[0:1], s[0:1]
	s_cbranch_execz .LBB1035_146
; %bb.223:
	v_cmp_lt_i64_e32 vcc, 1, v[0:1]
	s_and_saveexec_b64 s[0:1], vcc
	s_xor_b64 s[0:1], exec, s[0:1]
	s_cbranch_execz .LBB1035_225
; %bb.224:
	v_mov_b32_e32 v0, 0
	s_waitcnt lgkmcnt(0)
	global_store_short v0, v7, s[10:11]
                                        ; implicit-def: $vgpr4
                                        ; implicit-def: $vgpr0_vgpr1
                                        ; implicit-def: $vgpr5
.LBB1035_225:
	s_andn2_saveexec_b64 s[0:1], s[0:1]
	s_cbranch_execz .LBB1035_146
; %bb.226:
	v_cmp_ne_u64_e32 vcc, 1, v[0:1]
	s_and_saveexec_b64 s[0:1], vcc
	s_xor_b64 s[0:1], exec, s[0:1]
	s_cbranch_execz .LBB1035_228
; %bb.227:
	v_mov_b32_e32 v0, 0
	s_waitcnt lgkmcnt(0)
	global_store_short v0, v5, s[10:11]
                                        ; implicit-def: $vgpr4
.LBB1035_228:
	s_andn2_saveexec_b64 s[0:1], s[0:1]
	s_cbranch_execz .LBB1035_146
; %bb.229:
	v_mov_b32_e32 v0, 0
	s_waitcnt lgkmcnt(0)
	global_store_short v0, v4, s[10:11]
	s_endpgm
	.section	.rodata,"a",@progbits
	.p2align	6, 0x0
	.amdhsa_kernel _ZN7rocprim17ROCPRIM_400000_NS6detail17trampoline_kernelINS0_14default_configENS1_20scan_config_selectorIsEEZZNS1_9scan_implILNS1_25lookback_scan_determinismE0ELb1ELb1ES3_N6thrust23THRUST_200600_302600_NS6detail15normal_iteratorINS9_10device_ptrIsEEEESE_sNS9_4plusIvEEsEEDaPvRmT3_T4_T5_mT6_P12ihipStream_tbENKUlT_T0_E_clISt17integral_constantIbLb0EEST_IbLb1EEEEDaSP_SQ_EUlSP_E_NS1_11comp_targetILNS1_3genE4ELNS1_11target_archE910ELNS1_3gpuE8ELNS1_3repE0EEENS1_30default_config_static_selectorELNS0_4arch9wavefront6targetE1EEEvT1_
		.amdhsa_group_segment_fixed_size 3072
		.amdhsa_private_segment_fixed_size 0
		.amdhsa_kernarg_size 96
		.amdhsa_user_sgpr_count 6
		.amdhsa_user_sgpr_private_segment_buffer 1
		.amdhsa_user_sgpr_dispatch_ptr 0
		.amdhsa_user_sgpr_queue_ptr 0
		.amdhsa_user_sgpr_kernarg_segment_ptr 1
		.amdhsa_user_sgpr_dispatch_id 0
		.amdhsa_user_sgpr_flat_scratch_init 0
		.amdhsa_user_sgpr_kernarg_preload_length 0
		.amdhsa_user_sgpr_kernarg_preload_offset 0
		.amdhsa_user_sgpr_private_segment_size 0
		.amdhsa_uses_dynamic_stack 0
		.amdhsa_system_sgpr_private_segment_wavefront_offset 0
		.amdhsa_system_sgpr_workgroup_id_x 1
		.amdhsa_system_sgpr_workgroup_id_y 0
		.amdhsa_system_sgpr_workgroup_id_z 0
		.amdhsa_system_sgpr_workgroup_info 0
		.amdhsa_system_vgpr_workitem_id 0
		.amdhsa_next_free_vgpr 54
		.amdhsa_next_free_sgpr 38
		.amdhsa_accum_offset 56
		.amdhsa_reserve_vcc 1
		.amdhsa_reserve_flat_scratch 0
		.amdhsa_float_round_mode_32 0
		.amdhsa_float_round_mode_16_64 0
		.amdhsa_float_denorm_mode_32 3
		.amdhsa_float_denorm_mode_16_64 3
		.amdhsa_dx10_clamp 1
		.amdhsa_ieee_mode 1
		.amdhsa_fp16_overflow 0
		.amdhsa_tg_split 0
		.amdhsa_exception_fp_ieee_invalid_op 0
		.amdhsa_exception_fp_denorm_src 0
		.amdhsa_exception_fp_ieee_div_zero 0
		.amdhsa_exception_fp_ieee_overflow 0
		.amdhsa_exception_fp_ieee_underflow 0
		.amdhsa_exception_fp_ieee_inexact 0
		.amdhsa_exception_int_div_zero 0
	.end_amdhsa_kernel
	.section	.text._ZN7rocprim17ROCPRIM_400000_NS6detail17trampoline_kernelINS0_14default_configENS1_20scan_config_selectorIsEEZZNS1_9scan_implILNS1_25lookback_scan_determinismE0ELb1ELb1ES3_N6thrust23THRUST_200600_302600_NS6detail15normal_iteratorINS9_10device_ptrIsEEEESE_sNS9_4plusIvEEsEEDaPvRmT3_T4_T5_mT6_P12ihipStream_tbENKUlT_T0_E_clISt17integral_constantIbLb0EEST_IbLb1EEEEDaSP_SQ_EUlSP_E_NS1_11comp_targetILNS1_3genE4ELNS1_11target_archE910ELNS1_3gpuE8ELNS1_3repE0EEENS1_30default_config_static_selectorELNS0_4arch9wavefront6targetE1EEEvT1_,"axG",@progbits,_ZN7rocprim17ROCPRIM_400000_NS6detail17trampoline_kernelINS0_14default_configENS1_20scan_config_selectorIsEEZZNS1_9scan_implILNS1_25lookback_scan_determinismE0ELb1ELb1ES3_N6thrust23THRUST_200600_302600_NS6detail15normal_iteratorINS9_10device_ptrIsEEEESE_sNS9_4plusIvEEsEEDaPvRmT3_T4_T5_mT6_P12ihipStream_tbENKUlT_T0_E_clISt17integral_constantIbLb0EEST_IbLb1EEEEDaSP_SQ_EUlSP_E_NS1_11comp_targetILNS1_3genE4ELNS1_11target_archE910ELNS1_3gpuE8ELNS1_3repE0EEENS1_30default_config_static_selectorELNS0_4arch9wavefront6targetE1EEEvT1_,comdat
.Lfunc_end1035:
	.size	_ZN7rocprim17ROCPRIM_400000_NS6detail17trampoline_kernelINS0_14default_configENS1_20scan_config_selectorIsEEZZNS1_9scan_implILNS1_25lookback_scan_determinismE0ELb1ELb1ES3_N6thrust23THRUST_200600_302600_NS6detail15normal_iteratorINS9_10device_ptrIsEEEESE_sNS9_4plusIvEEsEEDaPvRmT3_T4_T5_mT6_P12ihipStream_tbENKUlT_T0_E_clISt17integral_constantIbLb0EEST_IbLb1EEEEDaSP_SQ_EUlSP_E_NS1_11comp_targetILNS1_3genE4ELNS1_11target_archE910ELNS1_3gpuE8ELNS1_3repE0EEENS1_30default_config_static_selectorELNS0_4arch9wavefront6targetE1EEEvT1_, .Lfunc_end1035-_ZN7rocprim17ROCPRIM_400000_NS6detail17trampoline_kernelINS0_14default_configENS1_20scan_config_selectorIsEEZZNS1_9scan_implILNS1_25lookback_scan_determinismE0ELb1ELb1ES3_N6thrust23THRUST_200600_302600_NS6detail15normal_iteratorINS9_10device_ptrIsEEEESE_sNS9_4plusIvEEsEEDaPvRmT3_T4_T5_mT6_P12ihipStream_tbENKUlT_T0_E_clISt17integral_constantIbLb0EEST_IbLb1EEEEDaSP_SQ_EUlSP_E_NS1_11comp_targetILNS1_3genE4ELNS1_11target_archE910ELNS1_3gpuE8ELNS1_3repE0EEENS1_30default_config_static_selectorELNS0_4arch9wavefront6targetE1EEEvT1_
                                        ; -- End function
	.section	.AMDGPU.csdata,"",@progbits
; Kernel info:
; codeLenInByte = 7840
; NumSgprs: 42
; NumVgprs: 54
; NumAgprs: 0
; TotalNumVgprs: 54
; ScratchSize: 0
; MemoryBound: 0
; FloatMode: 240
; IeeeMode: 1
; LDSByteSize: 3072 bytes/workgroup (compile time only)
; SGPRBlocks: 5
; VGPRBlocks: 6
; NumSGPRsForWavesPerEU: 42
; NumVGPRsForWavesPerEU: 54
; AccumOffset: 56
; Occupancy: 6
; WaveLimiterHint : 1
; COMPUTE_PGM_RSRC2:SCRATCH_EN: 0
; COMPUTE_PGM_RSRC2:USER_SGPR: 6
; COMPUTE_PGM_RSRC2:TRAP_HANDLER: 0
; COMPUTE_PGM_RSRC2:TGID_X_EN: 1
; COMPUTE_PGM_RSRC2:TGID_Y_EN: 0
; COMPUTE_PGM_RSRC2:TGID_Z_EN: 0
; COMPUTE_PGM_RSRC2:TIDIG_COMP_CNT: 0
; COMPUTE_PGM_RSRC3_GFX90A:ACCUM_OFFSET: 13
; COMPUTE_PGM_RSRC3_GFX90A:TG_SPLIT: 0
	.section	.text._ZN7rocprim17ROCPRIM_400000_NS6detail17trampoline_kernelINS0_14default_configENS1_20scan_config_selectorIsEEZZNS1_9scan_implILNS1_25lookback_scan_determinismE0ELb1ELb1ES3_N6thrust23THRUST_200600_302600_NS6detail15normal_iteratorINS9_10device_ptrIsEEEESE_sNS9_4plusIvEEsEEDaPvRmT3_T4_T5_mT6_P12ihipStream_tbENKUlT_T0_E_clISt17integral_constantIbLb0EEST_IbLb1EEEEDaSP_SQ_EUlSP_E_NS1_11comp_targetILNS1_3genE3ELNS1_11target_archE908ELNS1_3gpuE7ELNS1_3repE0EEENS1_30default_config_static_selectorELNS0_4arch9wavefront6targetE1EEEvT1_,"axG",@progbits,_ZN7rocprim17ROCPRIM_400000_NS6detail17trampoline_kernelINS0_14default_configENS1_20scan_config_selectorIsEEZZNS1_9scan_implILNS1_25lookback_scan_determinismE0ELb1ELb1ES3_N6thrust23THRUST_200600_302600_NS6detail15normal_iteratorINS9_10device_ptrIsEEEESE_sNS9_4plusIvEEsEEDaPvRmT3_T4_T5_mT6_P12ihipStream_tbENKUlT_T0_E_clISt17integral_constantIbLb0EEST_IbLb1EEEEDaSP_SQ_EUlSP_E_NS1_11comp_targetILNS1_3genE3ELNS1_11target_archE908ELNS1_3gpuE7ELNS1_3repE0EEENS1_30default_config_static_selectorELNS0_4arch9wavefront6targetE1EEEvT1_,comdat
	.protected	_ZN7rocprim17ROCPRIM_400000_NS6detail17trampoline_kernelINS0_14default_configENS1_20scan_config_selectorIsEEZZNS1_9scan_implILNS1_25lookback_scan_determinismE0ELb1ELb1ES3_N6thrust23THRUST_200600_302600_NS6detail15normal_iteratorINS9_10device_ptrIsEEEESE_sNS9_4plusIvEEsEEDaPvRmT3_T4_T5_mT6_P12ihipStream_tbENKUlT_T0_E_clISt17integral_constantIbLb0EEST_IbLb1EEEEDaSP_SQ_EUlSP_E_NS1_11comp_targetILNS1_3genE3ELNS1_11target_archE908ELNS1_3gpuE7ELNS1_3repE0EEENS1_30default_config_static_selectorELNS0_4arch9wavefront6targetE1EEEvT1_ ; -- Begin function _ZN7rocprim17ROCPRIM_400000_NS6detail17trampoline_kernelINS0_14default_configENS1_20scan_config_selectorIsEEZZNS1_9scan_implILNS1_25lookback_scan_determinismE0ELb1ELb1ES3_N6thrust23THRUST_200600_302600_NS6detail15normal_iteratorINS9_10device_ptrIsEEEESE_sNS9_4plusIvEEsEEDaPvRmT3_T4_T5_mT6_P12ihipStream_tbENKUlT_T0_E_clISt17integral_constantIbLb0EEST_IbLb1EEEEDaSP_SQ_EUlSP_E_NS1_11comp_targetILNS1_3genE3ELNS1_11target_archE908ELNS1_3gpuE7ELNS1_3repE0EEENS1_30default_config_static_selectorELNS0_4arch9wavefront6targetE1EEEvT1_
	.globl	_ZN7rocprim17ROCPRIM_400000_NS6detail17trampoline_kernelINS0_14default_configENS1_20scan_config_selectorIsEEZZNS1_9scan_implILNS1_25lookback_scan_determinismE0ELb1ELb1ES3_N6thrust23THRUST_200600_302600_NS6detail15normal_iteratorINS9_10device_ptrIsEEEESE_sNS9_4plusIvEEsEEDaPvRmT3_T4_T5_mT6_P12ihipStream_tbENKUlT_T0_E_clISt17integral_constantIbLb0EEST_IbLb1EEEEDaSP_SQ_EUlSP_E_NS1_11comp_targetILNS1_3genE3ELNS1_11target_archE908ELNS1_3gpuE7ELNS1_3repE0EEENS1_30default_config_static_selectorELNS0_4arch9wavefront6targetE1EEEvT1_
	.p2align	8
	.type	_ZN7rocprim17ROCPRIM_400000_NS6detail17trampoline_kernelINS0_14default_configENS1_20scan_config_selectorIsEEZZNS1_9scan_implILNS1_25lookback_scan_determinismE0ELb1ELb1ES3_N6thrust23THRUST_200600_302600_NS6detail15normal_iteratorINS9_10device_ptrIsEEEESE_sNS9_4plusIvEEsEEDaPvRmT3_T4_T5_mT6_P12ihipStream_tbENKUlT_T0_E_clISt17integral_constantIbLb0EEST_IbLb1EEEEDaSP_SQ_EUlSP_E_NS1_11comp_targetILNS1_3genE3ELNS1_11target_archE908ELNS1_3gpuE7ELNS1_3repE0EEENS1_30default_config_static_selectorELNS0_4arch9wavefront6targetE1EEEvT1_,@function
_ZN7rocprim17ROCPRIM_400000_NS6detail17trampoline_kernelINS0_14default_configENS1_20scan_config_selectorIsEEZZNS1_9scan_implILNS1_25lookback_scan_determinismE0ELb1ELb1ES3_N6thrust23THRUST_200600_302600_NS6detail15normal_iteratorINS9_10device_ptrIsEEEESE_sNS9_4plusIvEEsEEDaPvRmT3_T4_T5_mT6_P12ihipStream_tbENKUlT_T0_E_clISt17integral_constantIbLb0EEST_IbLb1EEEEDaSP_SQ_EUlSP_E_NS1_11comp_targetILNS1_3genE3ELNS1_11target_archE908ELNS1_3gpuE7ELNS1_3repE0EEENS1_30default_config_static_selectorELNS0_4arch9wavefront6targetE1EEEvT1_: ; @_ZN7rocprim17ROCPRIM_400000_NS6detail17trampoline_kernelINS0_14default_configENS1_20scan_config_selectorIsEEZZNS1_9scan_implILNS1_25lookback_scan_determinismE0ELb1ELb1ES3_N6thrust23THRUST_200600_302600_NS6detail15normal_iteratorINS9_10device_ptrIsEEEESE_sNS9_4plusIvEEsEEDaPvRmT3_T4_T5_mT6_P12ihipStream_tbENKUlT_T0_E_clISt17integral_constantIbLb0EEST_IbLb1EEEEDaSP_SQ_EUlSP_E_NS1_11comp_targetILNS1_3genE3ELNS1_11target_archE908ELNS1_3gpuE7ELNS1_3repE0EEENS1_30default_config_static_selectorELNS0_4arch9wavefront6targetE1EEEvT1_
; %bb.0:
	.section	.rodata,"a",@progbits
	.p2align	6, 0x0
	.amdhsa_kernel _ZN7rocprim17ROCPRIM_400000_NS6detail17trampoline_kernelINS0_14default_configENS1_20scan_config_selectorIsEEZZNS1_9scan_implILNS1_25lookback_scan_determinismE0ELb1ELb1ES3_N6thrust23THRUST_200600_302600_NS6detail15normal_iteratorINS9_10device_ptrIsEEEESE_sNS9_4plusIvEEsEEDaPvRmT3_T4_T5_mT6_P12ihipStream_tbENKUlT_T0_E_clISt17integral_constantIbLb0EEST_IbLb1EEEEDaSP_SQ_EUlSP_E_NS1_11comp_targetILNS1_3genE3ELNS1_11target_archE908ELNS1_3gpuE7ELNS1_3repE0EEENS1_30default_config_static_selectorELNS0_4arch9wavefront6targetE1EEEvT1_
		.amdhsa_group_segment_fixed_size 0
		.amdhsa_private_segment_fixed_size 0
		.amdhsa_kernarg_size 96
		.amdhsa_user_sgpr_count 6
		.amdhsa_user_sgpr_private_segment_buffer 1
		.amdhsa_user_sgpr_dispatch_ptr 0
		.amdhsa_user_sgpr_queue_ptr 0
		.amdhsa_user_sgpr_kernarg_segment_ptr 1
		.amdhsa_user_sgpr_dispatch_id 0
		.amdhsa_user_sgpr_flat_scratch_init 0
		.amdhsa_user_sgpr_kernarg_preload_length 0
		.amdhsa_user_sgpr_kernarg_preload_offset 0
		.amdhsa_user_sgpr_private_segment_size 0
		.amdhsa_uses_dynamic_stack 0
		.amdhsa_system_sgpr_private_segment_wavefront_offset 0
		.amdhsa_system_sgpr_workgroup_id_x 1
		.amdhsa_system_sgpr_workgroup_id_y 0
		.amdhsa_system_sgpr_workgroup_id_z 0
		.amdhsa_system_sgpr_workgroup_info 0
		.amdhsa_system_vgpr_workitem_id 0
		.amdhsa_next_free_vgpr 1
		.amdhsa_next_free_sgpr 0
		.amdhsa_accum_offset 4
		.amdhsa_reserve_vcc 0
		.amdhsa_reserve_flat_scratch 0
		.amdhsa_float_round_mode_32 0
		.amdhsa_float_round_mode_16_64 0
		.amdhsa_float_denorm_mode_32 3
		.amdhsa_float_denorm_mode_16_64 3
		.amdhsa_dx10_clamp 1
		.amdhsa_ieee_mode 1
		.amdhsa_fp16_overflow 0
		.amdhsa_tg_split 0
		.amdhsa_exception_fp_ieee_invalid_op 0
		.amdhsa_exception_fp_denorm_src 0
		.amdhsa_exception_fp_ieee_div_zero 0
		.amdhsa_exception_fp_ieee_overflow 0
		.amdhsa_exception_fp_ieee_underflow 0
		.amdhsa_exception_fp_ieee_inexact 0
		.amdhsa_exception_int_div_zero 0
	.end_amdhsa_kernel
	.section	.text._ZN7rocprim17ROCPRIM_400000_NS6detail17trampoline_kernelINS0_14default_configENS1_20scan_config_selectorIsEEZZNS1_9scan_implILNS1_25lookback_scan_determinismE0ELb1ELb1ES3_N6thrust23THRUST_200600_302600_NS6detail15normal_iteratorINS9_10device_ptrIsEEEESE_sNS9_4plusIvEEsEEDaPvRmT3_T4_T5_mT6_P12ihipStream_tbENKUlT_T0_E_clISt17integral_constantIbLb0EEST_IbLb1EEEEDaSP_SQ_EUlSP_E_NS1_11comp_targetILNS1_3genE3ELNS1_11target_archE908ELNS1_3gpuE7ELNS1_3repE0EEENS1_30default_config_static_selectorELNS0_4arch9wavefront6targetE1EEEvT1_,"axG",@progbits,_ZN7rocprim17ROCPRIM_400000_NS6detail17trampoline_kernelINS0_14default_configENS1_20scan_config_selectorIsEEZZNS1_9scan_implILNS1_25lookback_scan_determinismE0ELb1ELb1ES3_N6thrust23THRUST_200600_302600_NS6detail15normal_iteratorINS9_10device_ptrIsEEEESE_sNS9_4plusIvEEsEEDaPvRmT3_T4_T5_mT6_P12ihipStream_tbENKUlT_T0_E_clISt17integral_constantIbLb0EEST_IbLb1EEEEDaSP_SQ_EUlSP_E_NS1_11comp_targetILNS1_3genE3ELNS1_11target_archE908ELNS1_3gpuE7ELNS1_3repE0EEENS1_30default_config_static_selectorELNS0_4arch9wavefront6targetE1EEEvT1_,comdat
.Lfunc_end1036:
	.size	_ZN7rocprim17ROCPRIM_400000_NS6detail17trampoline_kernelINS0_14default_configENS1_20scan_config_selectorIsEEZZNS1_9scan_implILNS1_25lookback_scan_determinismE0ELb1ELb1ES3_N6thrust23THRUST_200600_302600_NS6detail15normal_iteratorINS9_10device_ptrIsEEEESE_sNS9_4plusIvEEsEEDaPvRmT3_T4_T5_mT6_P12ihipStream_tbENKUlT_T0_E_clISt17integral_constantIbLb0EEST_IbLb1EEEEDaSP_SQ_EUlSP_E_NS1_11comp_targetILNS1_3genE3ELNS1_11target_archE908ELNS1_3gpuE7ELNS1_3repE0EEENS1_30default_config_static_selectorELNS0_4arch9wavefront6targetE1EEEvT1_, .Lfunc_end1036-_ZN7rocprim17ROCPRIM_400000_NS6detail17trampoline_kernelINS0_14default_configENS1_20scan_config_selectorIsEEZZNS1_9scan_implILNS1_25lookback_scan_determinismE0ELb1ELb1ES3_N6thrust23THRUST_200600_302600_NS6detail15normal_iteratorINS9_10device_ptrIsEEEESE_sNS9_4plusIvEEsEEDaPvRmT3_T4_T5_mT6_P12ihipStream_tbENKUlT_T0_E_clISt17integral_constantIbLb0EEST_IbLb1EEEEDaSP_SQ_EUlSP_E_NS1_11comp_targetILNS1_3genE3ELNS1_11target_archE908ELNS1_3gpuE7ELNS1_3repE0EEENS1_30default_config_static_selectorELNS0_4arch9wavefront6targetE1EEEvT1_
                                        ; -- End function
	.section	.AMDGPU.csdata,"",@progbits
; Kernel info:
; codeLenInByte = 0
; NumSgprs: 4
; NumVgprs: 0
; NumAgprs: 0
; TotalNumVgprs: 0
; ScratchSize: 0
; MemoryBound: 0
; FloatMode: 240
; IeeeMode: 1
; LDSByteSize: 0 bytes/workgroup (compile time only)
; SGPRBlocks: 0
; VGPRBlocks: 0
; NumSGPRsForWavesPerEU: 4
; NumVGPRsForWavesPerEU: 1
; AccumOffset: 4
; Occupancy: 8
; WaveLimiterHint : 0
; COMPUTE_PGM_RSRC2:SCRATCH_EN: 0
; COMPUTE_PGM_RSRC2:USER_SGPR: 6
; COMPUTE_PGM_RSRC2:TRAP_HANDLER: 0
; COMPUTE_PGM_RSRC2:TGID_X_EN: 1
; COMPUTE_PGM_RSRC2:TGID_Y_EN: 0
; COMPUTE_PGM_RSRC2:TGID_Z_EN: 0
; COMPUTE_PGM_RSRC2:TIDIG_COMP_CNT: 0
; COMPUTE_PGM_RSRC3_GFX90A:ACCUM_OFFSET: 0
; COMPUTE_PGM_RSRC3_GFX90A:TG_SPLIT: 0
	.section	.text._ZN7rocprim17ROCPRIM_400000_NS6detail17trampoline_kernelINS0_14default_configENS1_20scan_config_selectorIsEEZZNS1_9scan_implILNS1_25lookback_scan_determinismE0ELb1ELb1ES3_N6thrust23THRUST_200600_302600_NS6detail15normal_iteratorINS9_10device_ptrIsEEEESE_sNS9_4plusIvEEsEEDaPvRmT3_T4_T5_mT6_P12ihipStream_tbENKUlT_T0_E_clISt17integral_constantIbLb0EEST_IbLb1EEEEDaSP_SQ_EUlSP_E_NS1_11comp_targetILNS1_3genE2ELNS1_11target_archE906ELNS1_3gpuE6ELNS1_3repE0EEENS1_30default_config_static_selectorELNS0_4arch9wavefront6targetE1EEEvT1_,"axG",@progbits,_ZN7rocprim17ROCPRIM_400000_NS6detail17trampoline_kernelINS0_14default_configENS1_20scan_config_selectorIsEEZZNS1_9scan_implILNS1_25lookback_scan_determinismE0ELb1ELb1ES3_N6thrust23THRUST_200600_302600_NS6detail15normal_iteratorINS9_10device_ptrIsEEEESE_sNS9_4plusIvEEsEEDaPvRmT3_T4_T5_mT6_P12ihipStream_tbENKUlT_T0_E_clISt17integral_constantIbLb0EEST_IbLb1EEEEDaSP_SQ_EUlSP_E_NS1_11comp_targetILNS1_3genE2ELNS1_11target_archE906ELNS1_3gpuE6ELNS1_3repE0EEENS1_30default_config_static_selectorELNS0_4arch9wavefront6targetE1EEEvT1_,comdat
	.protected	_ZN7rocprim17ROCPRIM_400000_NS6detail17trampoline_kernelINS0_14default_configENS1_20scan_config_selectorIsEEZZNS1_9scan_implILNS1_25lookback_scan_determinismE0ELb1ELb1ES3_N6thrust23THRUST_200600_302600_NS6detail15normal_iteratorINS9_10device_ptrIsEEEESE_sNS9_4plusIvEEsEEDaPvRmT3_T4_T5_mT6_P12ihipStream_tbENKUlT_T0_E_clISt17integral_constantIbLb0EEST_IbLb1EEEEDaSP_SQ_EUlSP_E_NS1_11comp_targetILNS1_3genE2ELNS1_11target_archE906ELNS1_3gpuE6ELNS1_3repE0EEENS1_30default_config_static_selectorELNS0_4arch9wavefront6targetE1EEEvT1_ ; -- Begin function _ZN7rocprim17ROCPRIM_400000_NS6detail17trampoline_kernelINS0_14default_configENS1_20scan_config_selectorIsEEZZNS1_9scan_implILNS1_25lookback_scan_determinismE0ELb1ELb1ES3_N6thrust23THRUST_200600_302600_NS6detail15normal_iteratorINS9_10device_ptrIsEEEESE_sNS9_4plusIvEEsEEDaPvRmT3_T4_T5_mT6_P12ihipStream_tbENKUlT_T0_E_clISt17integral_constantIbLb0EEST_IbLb1EEEEDaSP_SQ_EUlSP_E_NS1_11comp_targetILNS1_3genE2ELNS1_11target_archE906ELNS1_3gpuE6ELNS1_3repE0EEENS1_30default_config_static_selectorELNS0_4arch9wavefront6targetE1EEEvT1_
	.globl	_ZN7rocprim17ROCPRIM_400000_NS6detail17trampoline_kernelINS0_14default_configENS1_20scan_config_selectorIsEEZZNS1_9scan_implILNS1_25lookback_scan_determinismE0ELb1ELb1ES3_N6thrust23THRUST_200600_302600_NS6detail15normal_iteratorINS9_10device_ptrIsEEEESE_sNS9_4plusIvEEsEEDaPvRmT3_T4_T5_mT6_P12ihipStream_tbENKUlT_T0_E_clISt17integral_constantIbLb0EEST_IbLb1EEEEDaSP_SQ_EUlSP_E_NS1_11comp_targetILNS1_3genE2ELNS1_11target_archE906ELNS1_3gpuE6ELNS1_3repE0EEENS1_30default_config_static_selectorELNS0_4arch9wavefront6targetE1EEEvT1_
	.p2align	8
	.type	_ZN7rocprim17ROCPRIM_400000_NS6detail17trampoline_kernelINS0_14default_configENS1_20scan_config_selectorIsEEZZNS1_9scan_implILNS1_25lookback_scan_determinismE0ELb1ELb1ES3_N6thrust23THRUST_200600_302600_NS6detail15normal_iteratorINS9_10device_ptrIsEEEESE_sNS9_4plusIvEEsEEDaPvRmT3_T4_T5_mT6_P12ihipStream_tbENKUlT_T0_E_clISt17integral_constantIbLb0EEST_IbLb1EEEEDaSP_SQ_EUlSP_E_NS1_11comp_targetILNS1_3genE2ELNS1_11target_archE906ELNS1_3gpuE6ELNS1_3repE0EEENS1_30default_config_static_selectorELNS0_4arch9wavefront6targetE1EEEvT1_,@function
_ZN7rocprim17ROCPRIM_400000_NS6detail17trampoline_kernelINS0_14default_configENS1_20scan_config_selectorIsEEZZNS1_9scan_implILNS1_25lookback_scan_determinismE0ELb1ELb1ES3_N6thrust23THRUST_200600_302600_NS6detail15normal_iteratorINS9_10device_ptrIsEEEESE_sNS9_4plusIvEEsEEDaPvRmT3_T4_T5_mT6_P12ihipStream_tbENKUlT_T0_E_clISt17integral_constantIbLb0EEST_IbLb1EEEEDaSP_SQ_EUlSP_E_NS1_11comp_targetILNS1_3genE2ELNS1_11target_archE906ELNS1_3gpuE6ELNS1_3repE0EEENS1_30default_config_static_selectorELNS0_4arch9wavefront6targetE1EEEvT1_: ; @_ZN7rocprim17ROCPRIM_400000_NS6detail17trampoline_kernelINS0_14default_configENS1_20scan_config_selectorIsEEZZNS1_9scan_implILNS1_25lookback_scan_determinismE0ELb1ELb1ES3_N6thrust23THRUST_200600_302600_NS6detail15normal_iteratorINS9_10device_ptrIsEEEESE_sNS9_4plusIvEEsEEDaPvRmT3_T4_T5_mT6_P12ihipStream_tbENKUlT_T0_E_clISt17integral_constantIbLb0EEST_IbLb1EEEEDaSP_SQ_EUlSP_E_NS1_11comp_targetILNS1_3genE2ELNS1_11target_archE906ELNS1_3gpuE6ELNS1_3repE0EEENS1_30default_config_static_selectorELNS0_4arch9wavefront6targetE1EEEvT1_
; %bb.0:
	.section	.rodata,"a",@progbits
	.p2align	6, 0x0
	.amdhsa_kernel _ZN7rocprim17ROCPRIM_400000_NS6detail17trampoline_kernelINS0_14default_configENS1_20scan_config_selectorIsEEZZNS1_9scan_implILNS1_25lookback_scan_determinismE0ELb1ELb1ES3_N6thrust23THRUST_200600_302600_NS6detail15normal_iteratorINS9_10device_ptrIsEEEESE_sNS9_4plusIvEEsEEDaPvRmT3_T4_T5_mT6_P12ihipStream_tbENKUlT_T0_E_clISt17integral_constantIbLb0EEST_IbLb1EEEEDaSP_SQ_EUlSP_E_NS1_11comp_targetILNS1_3genE2ELNS1_11target_archE906ELNS1_3gpuE6ELNS1_3repE0EEENS1_30default_config_static_selectorELNS0_4arch9wavefront6targetE1EEEvT1_
		.amdhsa_group_segment_fixed_size 0
		.amdhsa_private_segment_fixed_size 0
		.amdhsa_kernarg_size 96
		.amdhsa_user_sgpr_count 6
		.amdhsa_user_sgpr_private_segment_buffer 1
		.amdhsa_user_sgpr_dispatch_ptr 0
		.amdhsa_user_sgpr_queue_ptr 0
		.amdhsa_user_sgpr_kernarg_segment_ptr 1
		.amdhsa_user_sgpr_dispatch_id 0
		.amdhsa_user_sgpr_flat_scratch_init 0
		.amdhsa_user_sgpr_kernarg_preload_length 0
		.amdhsa_user_sgpr_kernarg_preload_offset 0
		.amdhsa_user_sgpr_private_segment_size 0
		.amdhsa_uses_dynamic_stack 0
		.amdhsa_system_sgpr_private_segment_wavefront_offset 0
		.amdhsa_system_sgpr_workgroup_id_x 1
		.amdhsa_system_sgpr_workgroup_id_y 0
		.amdhsa_system_sgpr_workgroup_id_z 0
		.amdhsa_system_sgpr_workgroup_info 0
		.amdhsa_system_vgpr_workitem_id 0
		.amdhsa_next_free_vgpr 1
		.amdhsa_next_free_sgpr 0
		.amdhsa_accum_offset 4
		.amdhsa_reserve_vcc 0
		.amdhsa_reserve_flat_scratch 0
		.amdhsa_float_round_mode_32 0
		.amdhsa_float_round_mode_16_64 0
		.amdhsa_float_denorm_mode_32 3
		.amdhsa_float_denorm_mode_16_64 3
		.amdhsa_dx10_clamp 1
		.amdhsa_ieee_mode 1
		.amdhsa_fp16_overflow 0
		.amdhsa_tg_split 0
		.amdhsa_exception_fp_ieee_invalid_op 0
		.amdhsa_exception_fp_denorm_src 0
		.amdhsa_exception_fp_ieee_div_zero 0
		.amdhsa_exception_fp_ieee_overflow 0
		.amdhsa_exception_fp_ieee_underflow 0
		.amdhsa_exception_fp_ieee_inexact 0
		.amdhsa_exception_int_div_zero 0
	.end_amdhsa_kernel
	.section	.text._ZN7rocprim17ROCPRIM_400000_NS6detail17trampoline_kernelINS0_14default_configENS1_20scan_config_selectorIsEEZZNS1_9scan_implILNS1_25lookback_scan_determinismE0ELb1ELb1ES3_N6thrust23THRUST_200600_302600_NS6detail15normal_iteratorINS9_10device_ptrIsEEEESE_sNS9_4plusIvEEsEEDaPvRmT3_T4_T5_mT6_P12ihipStream_tbENKUlT_T0_E_clISt17integral_constantIbLb0EEST_IbLb1EEEEDaSP_SQ_EUlSP_E_NS1_11comp_targetILNS1_3genE2ELNS1_11target_archE906ELNS1_3gpuE6ELNS1_3repE0EEENS1_30default_config_static_selectorELNS0_4arch9wavefront6targetE1EEEvT1_,"axG",@progbits,_ZN7rocprim17ROCPRIM_400000_NS6detail17trampoline_kernelINS0_14default_configENS1_20scan_config_selectorIsEEZZNS1_9scan_implILNS1_25lookback_scan_determinismE0ELb1ELb1ES3_N6thrust23THRUST_200600_302600_NS6detail15normal_iteratorINS9_10device_ptrIsEEEESE_sNS9_4plusIvEEsEEDaPvRmT3_T4_T5_mT6_P12ihipStream_tbENKUlT_T0_E_clISt17integral_constantIbLb0EEST_IbLb1EEEEDaSP_SQ_EUlSP_E_NS1_11comp_targetILNS1_3genE2ELNS1_11target_archE906ELNS1_3gpuE6ELNS1_3repE0EEENS1_30default_config_static_selectorELNS0_4arch9wavefront6targetE1EEEvT1_,comdat
.Lfunc_end1037:
	.size	_ZN7rocprim17ROCPRIM_400000_NS6detail17trampoline_kernelINS0_14default_configENS1_20scan_config_selectorIsEEZZNS1_9scan_implILNS1_25lookback_scan_determinismE0ELb1ELb1ES3_N6thrust23THRUST_200600_302600_NS6detail15normal_iteratorINS9_10device_ptrIsEEEESE_sNS9_4plusIvEEsEEDaPvRmT3_T4_T5_mT6_P12ihipStream_tbENKUlT_T0_E_clISt17integral_constantIbLb0EEST_IbLb1EEEEDaSP_SQ_EUlSP_E_NS1_11comp_targetILNS1_3genE2ELNS1_11target_archE906ELNS1_3gpuE6ELNS1_3repE0EEENS1_30default_config_static_selectorELNS0_4arch9wavefront6targetE1EEEvT1_, .Lfunc_end1037-_ZN7rocprim17ROCPRIM_400000_NS6detail17trampoline_kernelINS0_14default_configENS1_20scan_config_selectorIsEEZZNS1_9scan_implILNS1_25lookback_scan_determinismE0ELb1ELb1ES3_N6thrust23THRUST_200600_302600_NS6detail15normal_iteratorINS9_10device_ptrIsEEEESE_sNS9_4plusIvEEsEEDaPvRmT3_T4_T5_mT6_P12ihipStream_tbENKUlT_T0_E_clISt17integral_constantIbLb0EEST_IbLb1EEEEDaSP_SQ_EUlSP_E_NS1_11comp_targetILNS1_3genE2ELNS1_11target_archE906ELNS1_3gpuE6ELNS1_3repE0EEENS1_30default_config_static_selectorELNS0_4arch9wavefront6targetE1EEEvT1_
                                        ; -- End function
	.section	.AMDGPU.csdata,"",@progbits
; Kernel info:
; codeLenInByte = 0
; NumSgprs: 4
; NumVgprs: 0
; NumAgprs: 0
; TotalNumVgprs: 0
; ScratchSize: 0
; MemoryBound: 0
; FloatMode: 240
; IeeeMode: 1
; LDSByteSize: 0 bytes/workgroup (compile time only)
; SGPRBlocks: 0
; VGPRBlocks: 0
; NumSGPRsForWavesPerEU: 4
; NumVGPRsForWavesPerEU: 1
; AccumOffset: 4
; Occupancy: 8
; WaveLimiterHint : 0
; COMPUTE_PGM_RSRC2:SCRATCH_EN: 0
; COMPUTE_PGM_RSRC2:USER_SGPR: 6
; COMPUTE_PGM_RSRC2:TRAP_HANDLER: 0
; COMPUTE_PGM_RSRC2:TGID_X_EN: 1
; COMPUTE_PGM_RSRC2:TGID_Y_EN: 0
; COMPUTE_PGM_RSRC2:TGID_Z_EN: 0
; COMPUTE_PGM_RSRC2:TIDIG_COMP_CNT: 0
; COMPUTE_PGM_RSRC3_GFX90A:ACCUM_OFFSET: 0
; COMPUTE_PGM_RSRC3_GFX90A:TG_SPLIT: 0
	.section	.text._ZN7rocprim17ROCPRIM_400000_NS6detail17trampoline_kernelINS0_14default_configENS1_20scan_config_selectorIsEEZZNS1_9scan_implILNS1_25lookback_scan_determinismE0ELb1ELb1ES3_N6thrust23THRUST_200600_302600_NS6detail15normal_iteratorINS9_10device_ptrIsEEEESE_sNS9_4plusIvEEsEEDaPvRmT3_T4_T5_mT6_P12ihipStream_tbENKUlT_T0_E_clISt17integral_constantIbLb0EEST_IbLb1EEEEDaSP_SQ_EUlSP_E_NS1_11comp_targetILNS1_3genE10ELNS1_11target_archE1201ELNS1_3gpuE5ELNS1_3repE0EEENS1_30default_config_static_selectorELNS0_4arch9wavefront6targetE1EEEvT1_,"axG",@progbits,_ZN7rocprim17ROCPRIM_400000_NS6detail17trampoline_kernelINS0_14default_configENS1_20scan_config_selectorIsEEZZNS1_9scan_implILNS1_25lookback_scan_determinismE0ELb1ELb1ES3_N6thrust23THRUST_200600_302600_NS6detail15normal_iteratorINS9_10device_ptrIsEEEESE_sNS9_4plusIvEEsEEDaPvRmT3_T4_T5_mT6_P12ihipStream_tbENKUlT_T0_E_clISt17integral_constantIbLb0EEST_IbLb1EEEEDaSP_SQ_EUlSP_E_NS1_11comp_targetILNS1_3genE10ELNS1_11target_archE1201ELNS1_3gpuE5ELNS1_3repE0EEENS1_30default_config_static_selectorELNS0_4arch9wavefront6targetE1EEEvT1_,comdat
	.protected	_ZN7rocprim17ROCPRIM_400000_NS6detail17trampoline_kernelINS0_14default_configENS1_20scan_config_selectorIsEEZZNS1_9scan_implILNS1_25lookback_scan_determinismE0ELb1ELb1ES3_N6thrust23THRUST_200600_302600_NS6detail15normal_iteratorINS9_10device_ptrIsEEEESE_sNS9_4plusIvEEsEEDaPvRmT3_T4_T5_mT6_P12ihipStream_tbENKUlT_T0_E_clISt17integral_constantIbLb0EEST_IbLb1EEEEDaSP_SQ_EUlSP_E_NS1_11comp_targetILNS1_3genE10ELNS1_11target_archE1201ELNS1_3gpuE5ELNS1_3repE0EEENS1_30default_config_static_selectorELNS0_4arch9wavefront6targetE1EEEvT1_ ; -- Begin function _ZN7rocprim17ROCPRIM_400000_NS6detail17trampoline_kernelINS0_14default_configENS1_20scan_config_selectorIsEEZZNS1_9scan_implILNS1_25lookback_scan_determinismE0ELb1ELb1ES3_N6thrust23THRUST_200600_302600_NS6detail15normal_iteratorINS9_10device_ptrIsEEEESE_sNS9_4plusIvEEsEEDaPvRmT3_T4_T5_mT6_P12ihipStream_tbENKUlT_T0_E_clISt17integral_constantIbLb0EEST_IbLb1EEEEDaSP_SQ_EUlSP_E_NS1_11comp_targetILNS1_3genE10ELNS1_11target_archE1201ELNS1_3gpuE5ELNS1_3repE0EEENS1_30default_config_static_selectorELNS0_4arch9wavefront6targetE1EEEvT1_
	.globl	_ZN7rocprim17ROCPRIM_400000_NS6detail17trampoline_kernelINS0_14default_configENS1_20scan_config_selectorIsEEZZNS1_9scan_implILNS1_25lookback_scan_determinismE0ELb1ELb1ES3_N6thrust23THRUST_200600_302600_NS6detail15normal_iteratorINS9_10device_ptrIsEEEESE_sNS9_4plusIvEEsEEDaPvRmT3_T4_T5_mT6_P12ihipStream_tbENKUlT_T0_E_clISt17integral_constantIbLb0EEST_IbLb1EEEEDaSP_SQ_EUlSP_E_NS1_11comp_targetILNS1_3genE10ELNS1_11target_archE1201ELNS1_3gpuE5ELNS1_3repE0EEENS1_30default_config_static_selectorELNS0_4arch9wavefront6targetE1EEEvT1_
	.p2align	8
	.type	_ZN7rocprim17ROCPRIM_400000_NS6detail17trampoline_kernelINS0_14default_configENS1_20scan_config_selectorIsEEZZNS1_9scan_implILNS1_25lookback_scan_determinismE0ELb1ELb1ES3_N6thrust23THRUST_200600_302600_NS6detail15normal_iteratorINS9_10device_ptrIsEEEESE_sNS9_4plusIvEEsEEDaPvRmT3_T4_T5_mT6_P12ihipStream_tbENKUlT_T0_E_clISt17integral_constantIbLb0EEST_IbLb1EEEEDaSP_SQ_EUlSP_E_NS1_11comp_targetILNS1_3genE10ELNS1_11target_archE1201ELNS1_3gpuE5ELNS1_3repE0EEENS1_30default_config_static_selectorELNS0_4arch9wavefront6targetE1EEEvT1_,@function
_ZN7rocprim17ROCPRIM_400000_NS6detail17trampoline_kernelINS0_14default_configENS1_20scan_config_selectorIsEEZZNS1_9scan_implILNS1_25lookback_scan_determinismE0ELb1ELb1ES3_N6thrust23THRUST_200600_302600_NS6detail15normal_iteratorINS9_10device_ptrIsEEEESE_sNS9_4plusIvEEsEEDaPvRmT3_T4_T5_mT6_P12ihipStream_tbENKUlT_T0_E_clISt17integral_constantIbLb0EEST_IbLb1EEEEDaSP_SQ_EUlSP_E_NS1_11comp_targetILNS1_3genE10ELNS1_11target_archE1201ELNS1_3gpuE5ELNS1_3repE0EEENS1_30default_config_static_selectorELNS0_4arch9wavefront6targetE1EEEvT1_: ; @_ZN7rocprim17ROCPRIM_400000_NS6detail17trampoline_kernelINS0_14default_configENS1_20scan_config_selectorIsEEZZNS1_9scan_implILNS1_25lookback_scan_determinismE0ELb1ELb1ES3_N6thrust23THRUST_200600_302600_NS6detail15normal_iteratorINS9_10device_ptrIsEEEESE_sNS9_4plusIvEEsEEDaPvRmT3_T4_T5_mT6_P12ihipStream_tbENKUlT_T0_E_clISt17integral_constantIbLb0EEST_IbLb1EEEEDaSP_SQ_EUlSP_E_NS1_11comp_targetILNS1_3genE10ELNS1_11target_archE1201ELNS1_3gpuE5ELNS1_3repE0EEENS1_30default_config_static_selectorELNS0_4arch9wavefront6targetE1EEEvT1_
; %bb.0:
	.section	.rodata,"a",@progbits
	.p2align	6, 0x0
	.amdhsa_kernel _ZN7rocprim17ROCPRIM_400000_NS6detail17trampoline_kernelINS0_14default_configENS1_20scan_config_selectorIsEEZZNS1_9scan_implILNS1_25lookback_scan_determinismE0ELb1ELb1ES3_N6thrust23THRUST_200600_302600_NS6detail15normal_iteratorINS9_10device_ptrIsEEEESE_sNS9_4plusIvEEsEEDaPvRmT3_T4_T5_mT6_P12ihipStream_tbENKUlT_T0_E_clISt17integral_constantIbLb0EEST_IbLb1EEEEDaSP_SQ_EUlSP_E_NS1_11comp_targetILNS1_3genE10ELNS1_11target_archE1201ELNS1_3gpuE5ELNS1_3repE0EEENS1_30default_config_static_selectorELNS0_4arch9wavefront6targetE1EEEvT1_
		.amdhsa_group_segment_fixed_size 0
		.amdhsa_private_segment_fixed_size 0
		.amdhsa_kernarg_size 96
		.amdhsa_user_sgpr_count 6
		.amdhsa_user_sgpr_private_segment_buffer 1
		.amdhsa_user_sgpr_dispatch_ptr 0
		.amdhsa_user_sgpr_queue_ptr 0
		.amdhsa_user_sgpr_kernarg_segment_ptr 1
		.amdhsa_user_sgpr_dispatch_id 0
		.amdhsa_user_sgpr_flat_scratch_init 0
		.amdhsa_user_sgpr_kernarg_preload_length 0
		.amdhsa_user_sgpr_kernarg_preload_offset 0
		.amdhsa_user_sgpr_private_segment_size 0
		.amdhsa_uses_dynamic_stack 0
		.amdhsa_system_sgpr_private_segment_wavefront_offset 0
		.amdhsa_system_sgpr_workgroup_id_x 1
		.amdhsa_system_sgpr_workgroup_id_y 0
		.amdhsa_system_sgpr_workgroup_id_z 0
		.amdhsa_system_sgpr_workgroup_info 0
		.amdhsa_system_vgpr_workitem_id 0
		.amdhsa_next_free_vgpr 1
		.amdhsa_next_free_sgpr 0
		.amdhsa_accum_offset 4
		.amdhsa_reserve_vcc 0
		.amdhsa_reserve_flat_scratch 0
		.amdhsa_float_round_mode_32 0
		.amdhsa_float_round_mode_16_64 0
		.amdhsa_float_denorm_mode_32 3
		.amdhsa_float_denorm_mode_16_64 3
		.amdhsa_dx10_clamp 1
		.amdhsa_ieee_mode 1
		.amdhsa_fp16_overflow 0
		.amdhsa_tg_split 0
		.amdhsa_exception_fp_ieee_invalid_op 0
		.amdhsa_exception_fp_denorm_src 0
		.amdhsa_exception_fp_ieee_div_zero 0
		.amdhsa_exception_fp_ieee_overflow 0
		.amdhsa_exception_fp_ieee_underflow 0
		.amdhsa_exception_fp_ieee_inexact 0
		.amdhsa_exception_int_div_zero 0
	.end_amdhsa_kernel
	.section	.text._ZN7rocprim17ROCPRIM_400000_NS6detail17trampoline_kernelINS0_14default_configENS1_20scan_config_selectorIsEEZZNS1_9scan_implILNS1_25lookback_scan_determinismE0ELb1ELb1ES3_N6thrust23THRUST_200600_302600_NS6detail15normal_iteratorINS9_10device_ptrIsEEEESE_sNS9_4plusIvEEsEEDaPvRmT3_T4_T5_mT6_P12ihipStream_tbENKUlT_T0_E_clISt17integral_constantIbLb0EEST_IbLb1EEEEDaSP_SQ_EUlSP_E_NS1_11comp_targetILNS1_3genE10ELNS1_11target_archE1201ELNS1_3gpuE5ELNS1_3repE0EEENS1_30default_config_static_selectorELNS0_4arch9wavefront6targetE1EEEvT1_,"axG",@progbits,_ZN7rocprim17ROCPRIM_400000_NS6detail17trampoline_kernelINS0_14default_configENS1_20scan_config_selectorIsEEZZNS1_9scan_implILNS1_25lookback_scan_determinismE0ELb1ELb1ES3_N6thrust23THRUST_200600_302600_NS6detail15normal_iteratorINS9_10device_ptrIsEEEESE_sNS9_4plusIvEEsEEDaPvRmT3_T4_T5_mT6_P12ihipStream_tbENKUlT_T0_E_clISt17integral_constantIbLb0EEST_IbLb1EEEEDaSP_SQ_EUlSP_E_NS1_11comp_targetILNS1_3genE10ELNS1_11target_archE1201ELNS1_3gpuE5ELNS1_3repE0EEENS1_30default_config_static_selectorELNS0_4arch9wavefront6targetE1EEEvT1_,comdat
.Lfunc_end1038:
	.size	_ZN7rocprim17ROCPRIM_400000_NS6detail17trampoline_kernelINS0_14default_configENS1_20scan_config_selectorIsEEZZNS1_9scan_implILNS1_25lookback_scan_determinismE0ELb1ELb1ES3_N6thrust23THRUST_200600_302600_NS6detail15normal_iteratorINS9_10device_ptrIsEEEESE_sNS9_4plusIvEEsEEDaPvRmT3_T4_T5_mT6_P12ihipStream_tbENKUlT_T0_E_clISt17integral_constantIbLb0EEST_IbLb1EEEEDaSP_SQ_EUlSP_E_NS1_11comp_targetILNS1_3genE10ELNS1_11target_archE1201ELNS1_3gpuE5ELNS1_3repE0EEENS1_30default_config_static_selectorELNS0_4arch9wavefront6targetE1EEEvT1_, .Lfunc_end1038-_ZN7rocprim17ROCPRIM_400000_NS6detail17trampoline_kernelINS0_14default_configENS1_20scan_config_selectorIsEEZZNS1_9scan_implILNS1_25lookback_scan_determinismE0ELb1ELb1ES3_N6thrust23THRUST_200600_302600_NS6detail15normal_iteratorINS9_10device_ptrIsEEEESE_sNS9_4plusIvEEsEEDaPvRmT3_T4_T5_mT6_P12ihipStream_tbENKUlT_T0_E_clISt17integral_constantIbLb0EEST_IbLb1EEEEDaSP_SQ_EUlSP_E_NS1_11comp_targetILNS1_3genE10ELNS1_11target_archE1201ELNS1_3gpuE5ELNS1_3repE0EEENS1_30default_config_static_selectorELNS0_4arch9wavefront6targetE1EEEvT1_
                                        ; -- End function
	.section	.AMDGPU.csdata,"",@progbits
; Kernel info:
; codeLenInByte = 0
; NumSgprs: 4
; NumVgprs: 0
; NumAgprs: 0
; TotalNumVgprs: 0
; ScratchSize: 0
; MemoryBound: 0
; FloatMode: 240
; IeeeMode: 1
; LDSByteSize: 0 bytes/workgroup (compile time only)
; SGPRBlocks: 0
; VGPRBlocks: 0
; NumSGPRsForWavesPerEU: 4
; NumVGPRsForWavesPerEU: 1
; AccumOffset: 4
; Occupancy: 8
; WaveLimiterHint : 0
; COMPUTE_PGM_RSRC2:SCRATCH_EN: 0
; COMPUTE_PGM_RSRC2:USER_SGPR: 6
; COMPUTE_PGM_RSRC2:TRAP_HANDLER: 0
; COMPUTE_PGM_RSRC2:TGID_X_EN: 1
; COMPUTE_PGM_RSRC2:TGID_Y_EN: 0
; COMPUTE_PGM_RSRC2:TGID_Z_EN: 0
; COMPUTE_PGM_RSRC2:TIDIG_COMP_CNT: 0
; COMPUTE_PGM_RSRC3_GFX90A:ACCUM_OFFSET: 0
; COMPUTE_PGM_RSRC3_GFX90A:TG_SPLIT: 0
	.section	.text._ZN7rocprim17ROCPRIM_400000_NS6detail17trampoline_kernelINS0_14default_configENS1_20scan_config_selectorIsEEZZNS1_9scan_implILNS1_25lookback_scan_determinismE0ELb1ELb1ES3_N6thrust23THRUST_200600_302600_NS6detail15normal_iteratorINS9_10device_ptrIsEEEESE_sNS9_4plusIvEEsEEDaPvRmT3_T4_T5_mT6_P12ihipStream_tbENKUlT_T0_E_clISt17integral_constantIbLb0EEST_IbLb1EEEEDaSP_SQ_EUlSP_E_NS1_11comp_targetILNS1_3genE10ELNS1_11target_archE1200ELNS1_3gpuE4ELNS1_3repE0EEENS1_30default_config_static_selectorELNS0_4arch9wavefront6targetE1EEEvT1_,"axG",@progbits,_ZN7rocprim17ROCPRIM_400000_NS6detail17trampoline_kernelINS0_14default_configENS1_20scan_config_selectorIsEEZZNS1_9scan_implILNS1_25lookback_scan_determinismE0ELb1ELb1ES3_N6thrust23THRUST_200600_302600_NS6detail15normal_iteratorINS9_10device_ptrIsEEEESE_sNS9_4plusIvEEsEEDaPvRmT3_T4_T5_mT6_P12ihipStream_tbENKUlT_T0_E_clISt17integral_constantIbLb0EEST_IbLb1EEEEDaSP_SQ_EUlSP_E_NS1_11comp_targetILNS1_3genE10ELNS1_11target_archE1200ELNS1_3gpuE4ELNS1_3repE0EEENS1_30default_config_static_selectorELNS0_4arch9wavefront6targetE1EEEvT1_,comdat
	.protected	_ZN7rocprim17ROCPRIM_400000_NS6detail17trampoline_kernelINS0_14default_configENS1_20scan_config_selectorIsEEZZNS1_9scan_implILNS1_25lookback_scan_determinismE0ELb1ELb1ES3_N6thrust23THRUST_200600_302600_NS6detail15normal_iteratorINS9_10device_ptrIsEEEESE_sNS9_4plusIvEEsEEDaPvRmT3_T4_T5_mT6_P12ihipStream_tbENKUlT_T0_E_clISt17integral_constantIbLb0EEST_IbLb1EEEEDaSP_SQ_EUlSP_E_NS1_11comp_targetILNS1_3genE10ELNS1_11target_archE1200ELNS1_3gpuE4ELNS1_3repE0EEENS1_30default_config_static_selectorELNS0_4arch9wavefront6targetE1EEEvT1_ ; -- Begin function _ZN7rocprim17ROCPRIM_400000_NS6detail17trampoline_kernelINS0_14default_configENS1_20scan_config_selectorIsEEZZNS1_9scan_implILNS1_25lookback_scan_determinismE0ELb1ELb1ES3_N6thrust23THRUST_200600_302600_NS6detail15normal_iteratorINS9_10device_ptrIsEEEESE_sNS9_4plusIvEEsEEDaPvRmT3_T4_T5_mT6_P12ihipStream_tbENKUlT_T0_E_clISt17integral_constantIbLb0EEST_IbLb1EEEEDaSP_SQ_EUlSP_E_NS1_11comp_targetILNS1_3genE10ELNS1_11target_archE1200ELNS1_3gpuE4ELNS1_3repE0EEENS1_30default_config_static_selectorELNS0_4arch9wavefront6targetE1EEEvT1_
	.globl	_ZN7rocprim17ROCPRIM_400000_NS6detail17trampoline_kernelINS0_14default_configENS1_20scan_config_selectorIsEEZZNS1_9scan_implILNS1_25lookback_scan_determinismE0ELb1ELb1ES3_N6thrust23THRUST_200600_302600_NS6detail15normal_iteratorINS9_10device_ptrIsEEEESE_sNS9_4plusIvEEsEEDaPvRmT3_T4_T5_mT6_P12ihipStream_tbENKUlT_T0_E_clISt17integral_constantIbLb0EEST_IbLb1EEEEDaSP_SQ_EUlSP_E_NS1_11comp_targetILNS1_3genE10ELNS1_11target_archE1200ELNS1_3gpuE4ELNS1_3repE0EEENS1_30default_config_static_selectorELNS0_4arch9wavefront6targetE1EEEvT1_
	.p2align	8
	.type	_ZN7rocprim17ROCPRIM_400000_NS6detail17trampoline_kernelINS0_14default_configENS1_20scan_config_selectorIsEEZZNS1_9scan_implILNS1_25lookback_scan_determinismE0ELb1ELb1ES3_N6thrust23THRUST_200600_302600_NS6detail15normal_iteratorINS9_10device_ptrIsEEEESE_sNS9_4plusIvEEsEEDaPvRmT3_T4_T5_mT6_P12ihipStream_tbENKUlT_T0_E_clISt17integral_constantIbLb0EEST_IbLb1EEEEDaSP_SQ_EUlSP_E_NS1_11comp_targetILNS1_3genE10ELNS1_11target_archE1200ELNS1_3gpuE4ELNS1_3repE0EEENS1_30default_config_static_selectorELNS0_4arch9wavefront6targetE1EEEvT1_,@function
_ZN7rocprim17ROCPRIM_400000_NS6detail17trampoline_kernelINS0_14default_configENS1_20scan_config_selectorIsEEZZNS1_9scan_implILNS1_25lookback_scan_determinismE0ELb1ELb1ES3_N6thrust23THRUST_200600_302600_NS6detail15normal_iteratorINS9_10device_ptrIsEEEESE_sNS9_4plusIvEEsEEDaPvRmT3_T4_T5_mT6_P12ihipStream_tbENKUlT_T0_E_clISt17integral_constantIbLb0EEST_IbLb1EEEEDaSP_SQ_EUlSP_E_NS1_11comp_targetILNS1_3genE10ELNS1_11target_archE1200ELNS1_3gpuE4ELNS1_3repE0EEENS1_30default_config_static_selectorELNS0_4arch9wavefront6targetE1EEEvT1_: ; @_ZN7rocprim17ROCPRIM_400000_NS6detail17trampoline_kernelINS0_14default_configENS1_20scan_config_selectorIsEEZZNS1_9scan_implILNS1_25lookback_scan_determinismE0ELb1ELb1ES3_N6thrust23THRUST_200600_302600_NS6detail15normal_iteratorINS9_10device_ptrIsEEEESE_sNS9_4plusIvEEsEEDaPvRmT3_T4_T5_mT6_P12ihipStream_tbENKUlT_T0_E_clISt17integral_constantIbLb0EEST_IbLb1EEEEDaSP_SQ_EUlSP_E_NS1_11comp_targetILNS1_3genE10ELNS1_11target_archE1200ELNS1_3gpuE4ELNS1_3repE0EEENS1_30default_config_static_selectorELNS0_4arch9wavefront6targetE1EEEvT1_
; %bb.0:
	.section	.rodata,"a",@progbits
	.p2align	6, 0x0
	.amdhsa_kernel _ZN7rocprim17ROCPRIM_400000_NS6detail17trampoline_kernelINS0_14default_configENS1_20scan_config_selectorIsEEZZNS1_9scan_implILNS1_25lookback_scan_determinismE0ELb1ELb1ES3_N6thrust23THRUST_200600_302600_NS6detail15normal_iteratorINS9_10device_ptrIsEEEESE_sNS9_4plusIvEEsEEDaPvRmT3_T4_T5_mT6_P12ihipStream_tbENKUlT_T0_E_clISt17integral_constantIbLb0EEST_IbLb1EEEEDaSP_SQ_EUlSP_E_NS1_11comp_targetILNS1_3genE10ELNS1_11target_archE1200ELNS1_3gpuE4ELNS1_3repE0EEENS1_30default_config_static_selectorELNS0_4arch9wavefront6targetE1EEEvT1_
		.amdhsa_group_segment_fixed_size 0
		.amdhsa_private_segment_fixed_size 0
		.amdhsa_kernarg_size 96
		.amdhsa_user_sgpr_count 6
		.amdhsa_user_sgpr_private_segment_buffer 1
		.amdhsa_user_sgpr_dispatch_ptr 0
		.amdhsa_user_sgpr_queue_ptr 0
		.amdhsa_user_sgpr_kernarg_segment_ptr 1
		.amdhsa_user_sgpr_dispatch_id 0
		.amdhsa_user_sgpr_flat_scratch_init 0
		.amdhsa_user_sgpr_kernarg_preload_length 0
		.amdhsa_user_sgpr_kernarg_preload_offset 0
		.amdhsa_user_sgpr_private_segment_size 0
		.amdhsa_uses_dynamic_stack 0
		.amdhsa_system_sgpr_private_segment_wavefront_offset 0
		.amdhsa_system_sgpr_workgroup_id_x 1
		.amdhsa_system_sgpr_workgroup_id_y 0
		.amdhsa_system_sgpr_workgroup_id_z 0
		.amdhsa_system_sgpr_workgroup_info 0
		.amdhsa_system_vgpr_workitem_id 0
		.amdhsa_next_free_vgpr 1
		.amdhsa_next_free_sgpr 0
		.amdhsa_accum_offset 4
		.amdhsa_reserve_vcc 0
		.amdhsa_reserve_flat_scratch 0
		.amdhsa_float_round_mode_32 0
		.amdhsa_float_round_mode_16_64 0
		.amdhsa_float_denorm_mode_32 3
		.amdhsa_float_denorm_mode_16_64 3
		.amdhsa_dx10_clamp 1
		.amdhsa_ieee_mode 1
		.amdhsa_fp16_overflow 0
		.amdhsa_tg_split 0
		.amdhsa_exception_fp_ieee_invalid_op 0
		.amdhsa_exception_fp_denorm_src 0
		.amdhsa_exception_fp_ieee_div_zero 0
		.amdhsa_exception_fp_ieee_overflow 0
		.amdhsa_exception_fp_ieee_underflow 0
		.amdhsa_exception_fp_ieee_inexact 0
		.amdhsa_exception_int_div_zero 0
	.end_amdhsa_kernel
	.section	.text._ZN7rocprim17ROCPRIM_400000_NS6detail17trampoline_kernelINS0_14default_configENS1_20scan_config_selectorIsEEZZNS1_9scan_implILNS1_25lookback_scan_determinismE0ELb1ELb1ES3_N6thrust23THRUST_200600_302600_NS6detail15normal_iteratorINS9_10device_ptrIsEEEESE_sNS9_4plusIvEEsEEDaPvRmT3_T4_T5_mT6_P12ihipStream_tbENKUlT_T0_E_clISt17integral_constantIbLb0EEST_IbLb1EEEEDaSP_SQ_EUlSP_E_NS1_11comp_targetILNS1_3genE10ELNS1_11target_archE1200ELNS1_3gpuE4ELNS1_3repE0EEENS1_30default_config_static_selectorELNS0_4arch9wavefront6targetE1EEEvT1_,"axG",@progbits,_ZN7rocprim17ROCPRIM_400000_NS6detail17trampoline_kernelINS0_14default_configENS1_20scan_config_selectorIsEEZZNS1_9scan_implILNS1_25lookback_scan_determinismE0ELb1ELb1ES3_N6thrust23THRUST_200600_302600_NS6detail15normal_iteratorINS9_10device_ptrIsEEEESE_sNS9_4plusIvEEsEEDaPvRmT3_T4_T5_mT6_P12ihipStream_tbENKUlT_T0_E_clISt17integral_constantIbLb0EEST_IbLb1EEEEDaSP_SQ_EUlSP_E_NS1_11comp_targetILNS1_3genE10ELNS1_11target_archE1200ELNS1_3gpuE4ELNS1_3repE0EEENS1_30default_config_static_selectorELNS0_4arch9wavefront6targetE1EEEvT1_,comdat
.Lfunc_end1039:
	.size	_ZN7rocprim17ROCPRIM_400000_NS6detail17trampoline_kernelINS0_14default_configENS1_20scan_config_selectorIsEEZZNS1_9scan_implILNS1_25lookback_scan_determinismE0ELb1ELb1ES3_N6thrust23THRUST_200600_302600_NS6detail15normal_iteratorINS9_10device_ptrIsEEEESE_sNS9_4plusIvEEsEEDaPvRmT3_T4_T5_mT6_P12ihipStream_tbENKUlT_T0_E_clISt17integral_constantIbLb0EEST_IbLb1EEEEDaSP_SQ_EUlSP_E_NS1_11comp_targetILNS1_3genE10ELNS1_11target_archE1200ELNS1_3gpuE4ELNS1_3repE0EEENS1_30default_config_static_selectorELNS0_4arch9wavefront6targetE1EEEvT1_, .Lfunc_end1039-_ZN7rocprim17ROCPRIM_400000_NS6detail17trampoline_kernelINS0_14default_configENS1_20scan_config_selectorIsEEZZNS1_9scan_implILNS1_25lookback_scan_determinismE0ELb1ELb1ES3_N6thrust23THRUST_200600_302600_NS6detail15normal_iteratorINS9_10device_ptrIsEEEESE_sNS9_4plusIvEEsEEDaPvRmT3_T4_T5_mT6_P12ihipStream_tbENKUlT_T0_E_clISt17integral_constantIbLb0EEST_IbLb1EEEEDaSP_SQ_EUlSP_E_NS1_11comp_targetILNS1_3genE10ELNS1_11target_archE1200ELNS1_3gpuE4ELNS1_3repE0EEENS1_30default_config_static_selectorELNS0_4arch9wavefront6targetE1EEEvT1_
                                        ; -- End function
	.section	.AMDGPU.csdata,"",@progbits
; Kernel info:
; codeLenInByte = 0
; NumSgprs: 4
; NumVgprs: 0
; NumAgprs: 0
; TotalNumVgprs: 0
; ScratchSize: 0
; MemoryBound: 0
; FloatMode: 240
; IeeeMode: 1
; LDSByteSize: 0 bytes/workgroup (compile time only)
; SGPRBlocks: 0
; VGPRBlocks: 0
; NumSGPRsForWavesPerEU: 4
; NumVGPRsForWavesPerEU: 1
; AccumOffset: 4
; Occupancy: 8
; WaveLimiterHint : 0
; COMPUTE_PGM_RSRC2:SCRATCH_EN: 0
; COMPUTE_PGM_RSRC2:USER_SGPR: 6
; COMPUTE_PGM_RSRC2:TRAP_HANDLER: 0
; COMPUTE_PGM_RSRC2:TGID_X_EN: 1
; COMPUTE_PGM_RSRC2:TGID_Y_EN: 0
; COMPUTE_PGM_RSRC2:TGID_Z_EN: 0
; COMPUTE_PGM_RSRC2:TIDIG_COMP_CNT: 0
; COMPUTE_PGM_RSRC3_GFX90A:ACCUM_OFFSET: 0
; COMPUTE_PGM_RSRC3_GFX90A:TG_SPLIT: 0
	.section	.text._ZN7rocprim17ROCPRIM_400000_NS6detail17trampoline_kernelINS0_14default_configENS1_20scan_config_selectorIsEEZZNS1_9scan_implILNS1_25lookback_scan_determinismE0ELb1ELb1ES3_N6thrust23THRUST_200600_302600_NS6detail15normal_iteratorINS9_10device_ptrIsEEEESE_sNS9_4plusIvEEsEEDaPvRmT3_T4_T5_mT6_P12ihipStream_tbENKUlT_T0_E_clISt17integral_constantIbLb0EEST_IbLb1EEEEDaSP_SQ_EUlSP_E_NS1_11comp_targetILNS1_3genE9ELNS1_11target_archE1100ELNS1_3gpuE3ELNS1_3repE0EEENS1_30default_config_static_selectorELNS0_4arch9wavefront6targetE1EEEvT1_,"axG",@progbits,_ZN7rocprim17ROCPRIM_400000_NS6detail17trampoline_kernelINS0_14default_configENS1_20scan_config_selectorIsEEZZNS1_9scan_implILNS1_25lookback_scan_determinismE0ELb1ELb1ES3_N6thrust23THRUST_200600_302600_NS6detail15normal_iteratorINS9_10device_ptrIsEEEESE_sNS9_4plusIvEEsEEDaPvRmT3_T4_T5_mT6_P12ihipStream_tbENKUlT_T0_E_clISt17integral_constantIbLb0EEST_IbLb1EEEEDaSP_SQ_EUlSP_E_NS1_11comp_targetILNS1_3genE9ELNS1_11target_archE1100ELNS1_3gpuE3ELNS1_3repE0EEENS1_30default_config_static_selectorELNS0_4arch9wavefront6targetE1EEEvT1_,comdat
	.protected	_ZN7rocprim17ROCPRIM_400000_NS6detail17trampoline_kernelINS0_14default_configENS1_20scan_config_selectorIsEEZZNS1_9scan_implILNS1_25lookback_scan_determinismE0ELb1ELb1ES3_N6thrust23THRUST_200600_302600_NS6detail15normal_iteratorINS9_10device_ptrIsEEEESE_sNS9_4plusIvEEsEEDaPvRmT3_T4_T5_mT6_P12ihipStream_tbENKUlT_T0_E_clISt17integral_constantIbLb0EEST_IbLb1EEEEDaSP_SQ_EUlSP_E_NS1_11comp_targetILNS1_3genE9ELNS1_11target_archE1100ELNS1_3gpuE3ELNS1_3repE0EEENS1_30default_config_static_selectorELNS0_4arch9wavefront6targetE1EEEvT1_ ; -- Begin function _ZN7rocprim17ROCPRIM_400000_NS6detail17trampoline_kernelINS0_14default_configENS1_20scan_config_selectorIsEEZZNS1_9scan_implILNS1_25lookback_scan_determinismE0ELb1ELb1ES3_N6thrust23THRUST_200600_302600_NS6detail15normal_iteratorINS9_10device_ptrIsEEEESE_sNS9_4plusIvEEsEEDaPvRmT3_T4_T5_mT6_P12ihipStream_tbENKUlT_T0_E_clISt17integral_constantIbLb0EEST_IbLb1EEEEDaSP_SQ_EUlSP_E_NS1_11comp_targetILNS1_3genE9ELNS1_11target_archE1100ELNS1_3gpuE3ELNS1_3repE0EEENS1_30default_config_static_selectorELNS0_4arch9wavefront6targetE1EEEvT1_
	.globl	_ZN7rocprim17ROCPRIM_400000_NS6detail17trampoline_kernelINS0_14default_configENS1_20scan_config_selectorIsEEZZNS1_9scan_implILNS1_25lookback_scan_determinismE0ELb1ELb1ES3_N6thrust23THRUST_200600_302600_NS6detail15normal_iteratorINS9_10device_ptrIsEEEESE_sNS9_4plusIvEEsEEDaPvRmT3_T4_T5_mT6_P12ihipStream_tbENKUlT_T0_E_clISt17integral_constantIbLb0EEST_IbLb1EEEEDaSP_SQ_EUlSP_E_NS1_11comp_targetILNS1_3genE9ELNS1_11target_archE1100ELNS1_3gpuE3ELNS1_3repE0EEENS1_30default_config_static_selectorELNS0_4arch9wavefront6targetE1EEEvT1_
	.p2align	8
	.type	_ZN7rocprim17ROCPRIM_400000_NS6detail17trampoline_kernelINS0_14default_configENS1_20scan_config_selectorIsEEZZNS1_9scan_implILNS1_25lookback_scan_determinismE0ELb1ELb1ES3_N6thrust23THRUST_200600_302600_NS6detail15normal_iteratorINS9_10device_ptrIsEEEESE_sNS9_4plusIvEEsEEDaPvRmT3_T4_T5_mT6_P12ihipStream_tbENKUlT_T0_E_clISt17integral_constantIbLb0EEST_IbLb1EEEEDaSP_SQ_EUlSP_E_NS1_11comp_targetILNS1_3genE9ELNS1_11target_archE1100ELNS1_3gpuE3ELNS1_3repE0EEENS1_30default_config_static_selectorELNS0_4arch9wavefront6targetE1EEEvT1_,@function
_ZN7rocprim17ROCPRIM_400000_NS6detail17trampoline_kernelINS0_14default_configENS1_20scan_config_selectorIsEEZZNS1_9scan_implILNS1_25lookback_scan_determinismE0ELb1ELb1ES3_N6thrust23THRUST_200600_302600_NS6detail15normal_iteratorINS9_10device_ptrIsEEEESE_sNS9_4plusIvEEsEEDaPvRmT3_T4_T5_mT6_P12ihipStream_tbENKUlT_T0_E_clISt17integral_constantIbLb0EEST_IbLb1EEEEDaSP_SQ_EUlSP_E_NS1_11comp_targetILNS1_3genE9ELNS1_11target_archE1100ELNS1_3gpuE3ELNS1_3repE0EEENS1_30default_config_static_selectorELNS0_4arch9wavefront6targetE1EEEvT1_: ; @_ZN7rocprim17ROCPRIM_400000_NS6detail17trampoline_kernelINS0_14default_configENS1_20scan_config_selectorIsEEZZNS1_9scan_implILNS1_25lookback_scan_determinismE0ELb1ELb1ES3_N6thrust23THRUST_200600_302600_NS6detail15normal_iteratorINS9_10device_ptrIsEEEESE_sNS9_4plusIvEEsEEDaPvRmT3_T4_T5_mT6_P12ihipStream_tbENKUlT_T0_E_clISt17integral_constantIbLb0EEST_IbLb1EEEEDaSP_SQ_EUlSP_E_NS1_11comp_targetILNS1_3genE9ELNS1_11target_archE1100ELNS1_3gpuE3ELNS1_3repE0EEENS1_30default_config_static_selectorELNS0_4arch9wavefront6targetE1EEEvT1_
; %bb.0:
	.section	.rodata,"a",@progbits
	.p2align	6, 0x0
	.amdhsa_kernel _ZN7rocprim17ROCPRIM_400000_NS6detail17trampoline_kernelINS0_14default_configENS1_20scan_config_selectorIsEEZZNS1_9scan_implILNS1_25lookback_scan_determinismE0ELb1ELb1ES3_N6thrust23THRUST_200600_302600_NS6detail15normal_iteratorINS9_10device_ptrIsEEEESE_sNS9_4plusIvEEsEEDaPvRmT3_T4_T5_mT6_P12ihipStream_tbENKUlT_T0_E_clISt17integral_constantIbLb0EEST_IbLb1EEEEDaSP_SQ_EUlSP_E_NS1_11comp_targetILNS1_3genE9ELNS1_11target_archE1100ELNS1_3gpuE3ELNS1_3repE0EEENS1_30default_config_static_selectorELNS0_4arch9wavefront6targetE1EEEvT1_
		.amdhsa_group_segment_fixed_size 0
		.amdhsa_private_segment_fixed_size 0
		.amdhsa_kernarg_size 96
		.amdhsa_user_sgpr_count 6
		.amdhsa_user_sgpr_private_segment_buffer 1
		.amdhsa_user_sgpr_dispatch_ptr 0
		.amdhsa_user_sgpr_queue_ptr 0
		.amdhsa_user_sgpr_kernarg_segment_ptr 1
		.amdhsa_user_sgpr_dispatch_id 0
		.amdhsa_user_sgpr_flat_scratch_init 0
		.amdhsa_user_sgpr_kernarg_preload_length 0
		.amdhsa_user_sgpr_kernarg_preload_offset 0
		.amdhsa_user_sgpr_private_segment_size 0
		.amdhsa_uses_dynamic_stack 0
		.amdhsa_system_sgpr_private_segment_wavefront_offset 0
		.amdhsa_system_sgpr_workgroup_id_x 1
		.amdhsa_system_sgpr_workgroup_id_y 0
		.amdhsa_system_sgpr_workgroup_id_z 0
		.amdhsa_system_sgpr_workgroup_info 0
		.amdhsa_system_vgpr_workitem_id 0
		.amdhsa_next_free_vgpr 1
		.amdhsa_next_free_sgpr 0
		.amdhsa_accum_offset 4
		.amdhsa_reserve_vcc 0
		.amdhsa_reserve_flat_scratch 0
		.amdhsa_float_round_mode_32 0
		.amdhsa_float_round_mode_16_64 0
		.amdhsa_float_denorm_mode_32 3
		.amdhsa_float_denorm_mode_16_64 3
		.amdhsa_dx10_clamp 1
		.amdhsa_ieee_mode 1
		.amdhsa_fp16_overflow 0
		.amdhsa_tg_split 0
		.amdhsa_exception_fp_ieee_invalid_op 0
		.amdhsa_exception_fp_denorm_src 0
		.amdhsa_exception_fp_ieee_div_zero 0
		.amdhsa_exception_fp_ieee_overflow 0
		.amdhsa_exception_fp_ieee_underflow 0
		.amdhsa_exception_fp_ieee_inexact 0
		.amdhsa_exception_int_div_zero 0
	.end_amdhsa_kernel
	.section	.text._ZN7rocprim17ROCPRIM_400000_NS6detail17trampoline_kernelINS0_14default_configENS1_20scan_config_selectorIsEEZZNS1_9scan_implILNS1_25lookback_scan_determinismE0ELb1ELb1ES3_N6thrust23THRUST_200600_302600_NS6detail15normal_iteratorINS9_10device_ptrIsEEEESE_sNS9_4plusIvEEsEEDaPvRmT3_T4_T5_mT6_P12ihipStream_tbENKUlT_T0_E_clISt17integral_constantIbLb0EEST_IbLb1EEEEDaSP_SQ_EUlSP_E_NS1_11comp_targetILNS1_3genE9ELNS1_11target_archE1100ELNS1_3gpuE3ELNS1_3repE0EEENS1_30default_config_static_selectorELNS0_4arch9wavefront6targetE1EEEvT1_,"axG",@progbits,_ZN7rocprim17ROCPRIM_400000_NS6detail17trampoline_kernelINS0_14default_configENS1_20scan_config_selectorIsEEZZNS1_9scan_implILNS1_25lookback_scan_determinismE0ELb1ELb1ES3_N6thrust23THRUST_200600_302600_NS6detail15normal_iteratorINS9_10device_ptrIsEEEESE_sNS9_4plusIvEEsEEDaPvRmT3_T4_T5_mT6_P12ihipStream_tbENKUlT_T0_E_clISt17integral_constantIbLb0EEST_IbLb1EEEEDaSP_SQ_EUlSP_E_NS1_11comp_targetILNS1_3genE9ELNS1_11target_archE1100ELNS1_3gpuE3ELNS1_3repE0EEENS1_30default_config_static_selectorELNS0_4arch9wavefront6targetE1EEEvT1_,comdat
.Lfunc_end1040:
	.size	_ZN7rocprim17ROCPRIM_400000_NS6detail17trampoline_kernelINS0_14default_configENS1_20scan_config_selectorIsEEZZNS1_9scan_implILNS1_25lookback_scan_determinismE0ELb1ELb1ES3_N6thrust23THRUST_200600_302600_NS6detail15normal_iteratorINS9_10device_ptrIsEEEESE_sNS9_4plusIvEEsEEDaPvRmT3_T4_T5_mT6_P12ihipStream_tbENKUlT_T0_E_clISt17integral_constantIbLb0EEST_IbLb1EEEEDaSP_SQ_EUlSP_E_NS1_11comp_targetILNS1_3genE9ELNS1_11target_archE1100ELNS1_3gpuE3ELNS1_3repE0EEENS1_30default_config_static_selectorELNS0_4arch9wavefront6targetE1EEEvT1_, .Lfunc_end1040-_ZN7rocprim17ROCPRIM_400000_NS6detail17trampoline_kernelINS0_14default_configENS1_20scan_config_selectorIsEEZZNS1_9scan_implILNS1_25lookback_scan_determinismE0ELb1ELb1ES3_N6thrust23THRUST_200600_302600_NS6detail15normal_iteratorINS9_10device_ptrIsEEEESE_sNS9_4plusIvEEsEEDaPvRmT3_T4_T5_mT6_P12ihipStream_tbENKUlT_T0_E_clISt17integral_constantIbLb0EEST_IbLb1EEEEDaSP_SQ_EUlSP_E_NS1_11comp_targetILNS1_3genE9ELNS1_11target_archE1100ELNS1_3gpuE3ELNS1_3repE0EEENS1_30default_config_static_selectorELNS0_4arch9wavefront6targetE1EEEvT1_
                                        ; -- End function
	.section	.AMDGPU.csdata,"",@progbits
; Kernel info:
; codeLenInByte = 0
; NumSgprs: 4
; NumVgprs: 0
; NumAgprs: 0
; TotalNumVgprs: 0
; ScratchSize: 0
; MemoryBound: 0
; FloatMode: 240
; IeeeMode: 1
; LDSByteSize: 0 bytes/workgroup (compile time only)
; SGPRBlocks: 0
; VGPRBlocks: 0
; NumSGPRsForWavesPerEU: 4
; NumVGPRsForWavesPerEU: 1
; AccumOffset: 4
; Occupancy: 8
; WaveLimiterHint : 0
; COMPUTE_PGM_RSRC2:SCRATCH_EN: 0
; COMPUTE_PGM_RSRC2:USER_SGPR: 6
; COMPUTE_PGM_RSRC2:TRAP_HANDLER: 0
; COMPUTE_PGM_RSRC2:TGID_X_EN: 1
; COMPUTE_PGM_RSRC2:TGID_Y_EN: 0
; COMPUTE_PGM_RSRC2:TGID_Z_EN: 0
; COMPUTE_PGM_RSRC2:TIDIG_COMP_CNT: 0
; COMPUTE_PGM_RSRC3_GFX90A:ACCUM_OFFSET: 0
; COMPUTE_PGM_RSRC3_GFX90A:TG_SPLIT: 0
	.section	.text._ZN7rocprim17ROCPRIM_400000_NS6detail17trampoline_kernelINS0_14default_configENS1_20scan_config_selectorIsEEZZNS1_9scan_implILNS1_25lookback_scan_determinismE0ELb1ELb1ES3_N6thrust23THRUST_200600_302600_NS6detail15normal_iteratorINS9_10device_ptrIsEEEESE_sNS9_4plusIvEEsEEDaPvRmT3_T4_T5_mT6_P12ihipStream_tbENKUlT_T0_E_clISt17integral_constantIbLb0EEST_IbLb1EEEEDaSP_SQ_EUlSP_E_NS1_11comp_targetILNS1_3genE8ELNS1_11target_archE1030ELNS1_3gpuE2ELNS1_3repE0EEENS1_30default_config_static_selectorELNS0_4arch9wavefront6targetE1EEEvT1_,"axG",@progbits,_ZN7rocprim17ROCPRIM_400000_NS6detail17trampoline_kernelINS0_14default_configENS1_20scan_config_selectorIsEEZZNS1_9scan_implILNS1_25lookback_scan_determinismE0ELb1ELb1ES3_N6thrust23THRUST_200600_302600_NS6detail15normal_iteratorINS9_10device_ptrIsEEEESE_sNS9_4plusIvEEsEEDaPvRmT3_T4_T5_mT6_P12ihipStream_tbENKUlT_T0_E_clISt17integral_constantIbLb0EEST_IbLb1EEEEDaSP_SQ_EUlSP_E_NS1_11comp_targetILNS1_3genE8ELNS1_11target_archE1030ELNS1_3gpuE2ELNS1_3repE0EEENS1_30default_config_static_selectorELNS0_4arch9wavefront6targetE1EEEvT1_,comdat
	.protected	_ZN7rocprim17ROCPRIM_400000_NS6detail17trampoline_kernelINS0_14default_configENS1_20scan_config_selectorIsEEZZNS1_9scan_implILNS1_25lookback_scan_determinismE0ELb1ELb1ES3_N6thrust23THRUST_200600_302600_NS6detail15normal_iteratorINS9_10device_ptrIsEEEESE_sNS9_4plusIvEEsEEDaPvRmT3_T4_T5_mT6_P12ihipStream_tbENKUlT_T0_E_clISt17integral_constantIbLb0EEST_IbLb1EEEEDaSP_SQ_EUlSP_E_NS1_11comp_targetILNS1_3genE8ELNS1_11target_archE1030ELNS1_3gpuE2ELNS1_3repE0EEENS1_30default_config_static_selectorELNS0_4arch9wavefront6targetE1EEEvT1_ ; -- Begin function _ZN7rocprim17ROCPRIM_400000_NS6detail17trampoline_kernelINS0_14default_configENS1_20scan_config_selectorIsEEZZNS1_9scan_implILNS1_25lookback_scan_determinismE0ELb1ELb1ES3_N6thrust23THRUST_200600_302600_NS6detail15normal_iteratorINS9_10device_ptrIsEEEESE_sNS9_4plusIvEEsEEDaPvRmT3_T4_T5_mT6_P12ihipStream_tbENKUlT_T0_E_clISt17integral_constantIbLb0EEST_IbLb1EEEEDaSP_SQ_EUlSP_E_NS1_11comp_targetILNS1_3genE8ELNS1_11target_archE1030ELNS1_3gpuE2ELNS1_3repE0EEENS1_30default_config_static_selectorELNS0_4arch9wavefront6targetE1EEEvT1_
	.globl	_ZN7rocprim17ROCPRIM_400000_NS6detail17trampoline_kernelINS0_14default_configENS1_20scan_config_selectorIsEEZZNS1_9scan_implILNS1_25lookback_scan_determinismE0ELb1ELb1ES3_N6thrust23THRUST_200600_302600_NS6detail15normal_iteratorINS9_10device_ptrIsEEEESE_sNS9_4plusIvEEsEEDaPvRmT3_T4_T5_mT6_P12ihipStream_tbENKUlT_T0_E_clISt17integral_constantIbLb0EEST_IbLb1EEEEDaSP_SQ_EUlSP_E_NS1_11comp_targetILNS1_3genE8ELNS1_11target_archE1030ELNS1_3gpuE2ELNS1_3repE0EEENS1_30default_config_static_selectorELNS0_4arch9wavefront6targetE1EEEvT1_
	.p2align	8
	.type	_ZN7rocprim17ROCPRIM_400000_NS6detail17trampoline_kernelINS0_14default_configENS1_20scan_config_selectorIsEEZZNS1_9scan_implILNS1_25lookback_scan_determinismE0ELb1ELb1ES3_N6thrust23THRUST_200600_302600_NS6detail15normal_iteratorINS9_10device_ptrIsEEEESE_sNS9_4plusIvEEsEEDaPvRmT3_T4_T5_mT6_P12ihipStream_tbENKUlT_T0_E_clISt17integral_constantIbLb0EEST_IbLb1EEEEDaSP_SQ_EUlSP_E_NS1_11comp_targetILNS1_3genE8ELNS1_11target_archE1030ELNS1_3gpuE2ELNS1_3repE0EEENS1_30default_config_static_selectorELNS0_4arch9wavefront6targetE1EEEvT1_,@function
_ZN7rocprim17ROCPRIM_400000_NS6detail17trampoline_kernelINS0_14default_configENS1_20scan_config_selectorIsEEZZNS1_9scan_implILNS1_25lookback_scan_determinismE0ELb1ELb1ES3_N6thrust23THRUST_200600_302600_NS6detail15normal_iteratorINS9_10device_ptrIsEEEESE_sNS9_4plusIvEEsEEDaPvRmT3_T4_T5_mT6_P12ihipStream_tbENKUlT_T0_E_clISt17integral_constantIbLb0EEST_IbLb1EEEEDaSP_SQ_EUlSP_E_NS1_11comp_targetILNS1_3genE8ELNS1_11target_archE1030ELNS1_3gpuE2ELNS1_3repE0EEENS1_30default_config_static_selectorELNS0_4arch9wavefront6targetE1EEEvT1_: ; @_ZN7rocprim17ROCPRIM_400000_NS6detail17trampoline_kernelINS0_14default_configENS1_20scan_config_selectorIsEEZZNS1_9scan_implILNS1_25lookback_scan_determinismE0ELb1ELb1ES3_N6thrust23THRUST_200600_302600_NS6detail15normal_iteratorINS9_10device_ptrIsEEEESE_sNS9_4plusIvEEsEEDaPvRmT3_T4_T5_mT6_P12ihipStream_tbENKUlT_T0_E_clISt17integral_constantIbLb0EEST_IbLb1EEEEDaSP_SQ_EUlSP_E_NS1_11comp_targetILNS1_3genE8ELNS1_11target_archE1030ELNS1_3gpuE2ELNS1_3repE0EEENS1_30default_config_static_selectorELNS0_4arch9wavefront6targetE1EEEvT1_
; %bb.0:
	.section	.rodata,"a",@progbits
	.p2align	6, 0x0
	.amdhsa_kernel _ZN7rocprim17ROCPRIM_400000_NS6detail17trampoline_kernelINS0_14default_configENS1_20scan_config_selectorIsEEZZNS1_9scan_implILNS1_25lookback_scan_determinismE0ELb1ELb1ES3_N6thrust23THRUST_200600_302600_NS6detail15normal_iteratorINS9_10device_ptrIsEEEESE_sNS9_4plusIvEEsEEDaPvRmT3_T4_T5_mT6_P12ihipStream_tbENKUlT_T0_E_clISt17integral_constantIbLb0EEST_IbLb1EEEEDaSP_SQ_EUlSP_E_NS1_11comp_targetILNS1_3genE8ELNS1_11target_archE1030ELNS1_3gpuE2ELNS1_3repE0EEENS1_30default_config_static_selectorELNS0_4arch9wavefront6targetE1EEEvT1_
		.amdhsa_group_segment_fixed_size 0
		.amdhsa_private_segment_fixed_size 0
		.amdhsa_kernarg_size 96
		.amdhsa_user_sgpr_count 6
		.amdhsa_user_sgpr_private_segment_buffer 1
		.amdhsa_user_sgpr_dispatch_ptr 0
		.amdhsa_user_sgpr_queue_ptr 0
		.amdhsa_user_sgpr_kernarg_segment_ptr 1
		.amdhsa_user_sgpr_dispatch_id 0
		.amdhsa_user_sgpr_flat_scratch_init 0
		.amdhsa_user_sgpr_kernarg_preload_length 0
		.amdhsa_user_sgpr_kernarg_preload_offset 0
		.amdhsa_user_sgpr_private_segment_size 0
		.amdhsa_uses_dynamic_stack 0
		.amdhsa_system_sgpr_private_segment_wavefront_offset 0
		.amdhsa_system_sgpr_workgroup_id_x 1
		.amdhsa_system_sgpr_workgroup_id_y 0
		.amdhsa_system_sgpr_workgroup_id_z 0
		.amdhsa_system_sgpr_workgroup_info 0
		.amdhsa_system_vgpr_workitem_id 0
		.amdhsa_next_free_vgpr 1
		.amdhsa_next_free_sgpr 0
		.amdhsa_accum_offset 4
		.amdhsa_reserve_vcc 0
		.amdhsa_reserve_flat_scratch 0
		.amdhsa_float_round_mode_32 0
		.amdhsa_float_round_mode_16_64 0
		.amdhsa_float_denorm_mode_32 3
		.amdhsa_float_denorm_mode_16_64 3
		.amdhsa_dx10_clamp 1
		.amdhsa_ieee_mode 1
		.amdhsa_fp16_overflow 0
		.amdhsa_tg_split 0
		.amdhsa_exception_fp_ieee_invalid_op 0
		.amdhsa_exception_fp_denorm_src 0
		.amdhsa_exception_fp_ieee_div_zero 0
		.amdhsa_exception_fp_ieee_overflow 0
		.amdhsa_exception_fp_ieee_underflow 0
		.amdhsa_exception_fp_ieee_inexact 0
		.amdhsa_exception_int_div_zero 0
	.end_amdhsa_kernel
	.section	.text._ZN7rocprim17ROCPRIM_400000_NS6detail17trampoline_kernelINS0_14default_configENS1_20scan_config_selectorIsEEZZNS1_9scan_implILNS1_25lookback_scan_determinismE0ELb1ELb1ES3_N6thrust23THRUST_200600_302600_NS6detail15normal_iteratorINS9_10device_ptrIsEEEESE_sNS9_4plusIvEEsEEDaPvRmT3_T4_T5_mT6_P12ihipStream_tbENKUlT_T0_E_clISt17integral_constantIbLb0EEST_IbLb1EEEEDaSP_SQ_EUlSP_E_NS1_11comp_targetILNS1_3genE8ELNS1_11target_archE1030ELNS1_3gpuE2ELNS1_3repE0EEENS1_30default_config_static_selectorELNS0_4arch9wavefront6targetE1EEEvT1_,"axG",@progbits,_ZN7rocprim17ROCPRIM_400000_NS6detail17trampoline_kernelINS0_14default_configENS1_20scan_config_selectorIsEEZZNS1_9scan_implILNS1_25lookback_scan_determinismE0ELb1ELb1ES3_N6thrust23THRUST_200600_302600_NS6detail15normal_iteratorINS9_10device_ptrIsEEEESE_sNS9_4plusIvEEsEEDaPvRmT3_T4_T5_mT6_P12ihipStream_tbENKUlT_T0_E_clISt17integral_constantIbLb0EEST_IbLb1EEEEDaSP_SQ_EUlSP_E_NS1_11comp_targetILNS1_3genE8ELNS1_11target_archE1030ELNS1_3gpuE2ELNS1_3repE0EEENS1_30default_config_static_selectorELNS0_4arch9wavefront6targetE1EEEvT1_,comdat
.Lfunc_end1041:
	.size	_ZN7rocprim17ROCPRIM_400000_NS6detail17trampoline_kernelINS0_14default_configENS1_20scan_config_selectorIsEEZZNS1_9scan_implILNS1_25lookback_scan_determinismE0ELb1ELb1ES3_N6thrust23THRUST_200600_302600_NS6detail15normal_iteratorINS9_10device_ptrIsEEEESE_sNS9_4plusIvEEsEEDaPvRmT3_T4_T5_mT6_P12ihipStream_tbENKUlT_T0_E_clISt17integral_constantIbLb0EEST_IbLb1EEEEDaSP_SQ_EUlSP_E_NS1_11comp_targetILNS1_3genE8ELNS1_11target_archE1030ELNS1_3gpuE2ELNS1_3repE0EEENS1_30default_config_static_selectorELNS0_4arch9wavefront6targetE1EEEvT1_, .Lfunc_end1041-_ZN7rocprim17ROCPRIM_400000_NS6detail17trampoline_kernelINS0_14default_configENS1_20scan_config_selectorIsEEZZNS1_9scan_implILNS1_25lookback_scan_determinismE0ELb1ELb1ES3_N6thrust23THRUST_200600_302600_NS6detail15normal_iteratorINS9_10device_ptrIsEEEESE_sNS9_4plusIvEEsEEDaPvRmT3_T4_T5_mT6_P12ihipStream_tbENKUlT_T0_E_clISt17integral_constantIbLb0EEST_IbLb1EEEEDaSP_SQ_EUlSP_E_NS1_11comp_targetILNS1_3genE8ELNS1_11target_archE1030ELNS1_3gpuE2ELNS1_3repE0EEENS1_30default_config_static_selectorELNS0_4arch9wavefront6targetE1EEEvT1_
                                        ; -- End function
	.section	.AMDGPU.csdata,"",@progbits
; Kernel info:
; codeLenInByte = 0
; NumSgprs: 4
; NumVgprs: 0
; NumAgprs: 0
; TotalNumVgprs: 0
; ScratchSize: 0
; MemoryBound: 0
; FloatMode: 240
; IeeeMode: 1
; LDSByteSize: 0 bytes/workgroup (compile time only)
; SGPRBlocks: 0
; VGPRBlocks: 0
; NumSGPRsForWavesPerEU: 4
; NumVGPRsForWavesPerEU: 1
; AccumOffset: 4
; Occupancy: 8
; WaveLimiterHint : 0
; COMPUTE_PGM_RSRC2:SCRATCH_EN: 0
; COMPUTE_PGM_RSRC2:USER_SGPR: 6
; COMPUTE_PGM_RSRC2:TRAP_HANDLER: 0
; COMPUTE_PGM_RSRC2:TGID_X_EN: 1
; COMPUTE_PGM_RSRC2:TGID_Y_EN: 0
; COMPUTE_PGM_RSRC2:TGID_Z_EN: 0
; COMPUTE_PGM_RSRC2:TIDIG_COMP_CNT: 0
; COMPUTE_PGM_RSRC3_GFX90A:ACCUM_OFFSET: 0
; COMPUTE_PGM_RSRC3_GFX90A:TG_SPLIT: 0
	.section	.text._ZN7rocprim17ROCPRIM_400000_NS6detail17trampoline_kernelINS0_14default_configENS1_20scan_config_selectorIsEEZZNS1_9scan_implILNS1_25lookback_scan_determinismE0ELb1ELb1ES3_N6thrust23THRUST_200600_302600_NS6detail15normal_iteratorINS9_10device_ptrIsEEEESE_sNS9_4plusIvEEsEEDaPvRmT3_T4_T5_mT6_P12ihipStream_tbENKUlT_T0_E_clISt17integral_constantIbLb0EEST_IbLb1EEEEDaSP_SQ_EUlSP_E0_NS1_11comp_targetILNS1_3genE0ELNS1_11target_archE4294967295ELNS1_3gpuE0ELNS1_3repE0EEENS1_30default_config_static_selectorELNS0_4arch9wavefront6targetE1EEEvT1_,"axG",@progbits,_ZN7rocprim17ROCPRIM_400000_NS6detail17trampoline_kernelINS0_14default_configENS1_20scan_config_selectorIsEEZZNS1_9scan_implILNS1_25lookback_scan_determinismE0ELb1ELb1ES3_N6thrust23THRUST_200600_302600_NS6detail15normal_iteratorINS9_10device_ptrIsEEEESE_sNS9_4plusIvEEsEEDaPvRmT3_T4_T5_mT6_P12ihipStream_tbENKUlT_T0_E_clISt17integral_constantIbLb0EEST_IbLb1EEEEDaSP_SQ_EUlSP_E0_NS1_11comp_targetILNS1_3genE0ELNS1_11target_archE4294967295ELNS1_3gpuE0ELNS1_3repE0EEENS1_30default_config_static_selectorELNS0_4arch9wavefront6targetE1EEEvT1_,comdat
	.protected	_ZN7rocprim17ROCPRIM_400000_NS6detail17trampoline_kernelINS0_14default_configENS1_20scan_config_selectorIsEEZZNS1_9scan_implILNS1_25lookback_scan_determinismE0ELb1ELb1ES3_N6thrust23THRUST_200600_302600_NS6detail15normal_iteratorINS9_10device_ptrIsEEEESE_sNS9_4plusIvEEsEEDaPvRmT3_T4_T5_mT6_P12ihipStream_tbENKUlT_T0_E_clISt17integral_constantIbLb0EEST_IbLb1EEEEDaSP_SQ_EUlSP_E0_NS1_11comp_targetILNS1_3genE0ELNS1_11target_archE4294967295ELNS1_3gpuE0ELNS1_3repE0EEENS1_30default_config_static_selectorELNS0_4arch9wavefront6targetE1EEEvT1_ ; -- Begin function _ZN7rocprim17ROCPRIM_400000_NS6detail17trampoline_kernelINS0_14default_configENS1_20scan_config_selectorIsEEZZNS1_9scan_implILNS1_25lookback_scan_determinismE0ELb1ELb1ES3_N6thrust23THRUST_200600_302600_NS6detail15normal_iteratorINS9_10device_ptrIsEEEESE_sNS9_4plusIvEEsEEDaPvRmT3_T4_T5_mT6_P12ihipStream_tbENKUlT_T0_E_clISt17integral_constantIbLb0EEST_IbLb1EEEEDaSP_SQ_EUlSP_E0_NS1_11comp_targetILNS1_3genE0ELNS1_11target_archE4294967295ELNS1_3gpuE0ELNS1_3repE0EEENS1_30default_config_static_selectorELNS0_4arch9wavefront6targetE1EEEvT1_
	.globl	_ZN7rocprim17ROCPRIM_400000_NS6detail17trampoline_kernelINS0_14default_configENS1_20scan_config_selectorIsEEZZNS1_9scan_implILNS1_25lookback_scan_determinismE0ELb1ELb1ES3_N6thrust23THRUST_200600_302600_NS6detail15normal_iteratorINS9_10device_ptrIsEEEESE_sNS9_4plusIvEEsEEDaPvRmT3_T4_T5_mT6_P12ihipStream_tbENKUlT_T0_E_clISt17integral_constantIbLb0EEST_IbLb1EEEEDaSP_SQ_EUlSP_E0_NS1_11comp_targetILNS1_3genE0ELNS1_11target_archE4294967295ELNS1_3gpuE0ELNS1_3repE0EEENS1_30default_config_static_selectorELNS0_4arch9wavefront6targetE1EEEvT1_
	.p2align	8
	.type	_ZN7rocprim17ROCPRIM_400000_NS6detail17trampoline_kernelINS0_14default_configENS1_20scan_config_selectorIsEEZZNS1_9scan_implILNS1_25lookback_scan_determinismE0ELb1ELb1ES3_N6thrust23THRUST_200600_302600_NS6detail15normal_iteratorINS9_10device_ptrIsEEEESE_sNS9_4plusIvEEsEEDaPvRmT3_T4_T5_mT6_P12ihipStream_tbENKUlT_T0_E_clISt17integral_constantIbLb0EEST_IbLb1EEEEDaSP_SQ_EUlSP_E0_NS1_11comp_targetILNS1_3genE0ELNS1_11target_archE4294967295ELNS1_3gpuE0ELNS1_3repE0EEENS1_30default_config_static_selectorELNS0_4arch9wavefront6targetE1EEEvT1_,@function
_ZN7rocprim17ROCPRIM_400000_NS6detail17trampoline_kernelINS0_14default_configENS1_20scan_config_selectorIsEEZZNS1_9scan_implILNS1_25lookback_scan_determinismE0ELb1ELb1ES3_N6thrust23THRUST_200600_302600_NS6detail15normal_iteratorINS9_10device_ptrIsEEEESE_sNS9_4plusIvEEsEEDaPvRmT3_T4_T5_mT6_P12ihipStream_tbENKUlT_T0_E_clISt17integral_constantIbLb0EEST_IbLb1EEEEDaSP_SQ_EUlSP_E0_NS1_11comp_targetILNS1_3genE0ELNS1_11target_archE4294967295ELNS1_3gpuE0ELNS1_3repE0EEENS1_30default_config_static_selectorELNS0_4arch9wavefront6targetE1EEEvT1_: ; @_ZN7rocprim17ROCPRIM_400000_NS6detail17trampoline_kernelINS0_14default_configENS1_20scan_config_selectorIsEEZZNS1_9scan_implILNS1_25lookback_scan_determinismE0ELb1ELb1ES3_N6thrust23THRUST_200600_302600_NS6detail15normal_iteratorINS9_10device_ptrIsEEEESE_sNS9_4plusIvEEsEEDaPvRmT3_T4_T5_mT6_P12ihipStream_tbENKUlT_T0_E_clISt17integral_constantIbLb0EEST_IbLb1EEEEDaSP_SQ_EUlSP_E0_NS1_11comp_targetILNS1_3genE0ELNS1_11target_archE4294967295ELNS1_3gpuE0ELNS1_3repE0EEENS1_30default_config_static_selectorELNS0_4arch9wavefront6targetE1EEEvT1_
; %bb.0:
	.section	.rodata,"a",@progbits
	.p2align	6, 0x0
	.amdhsa_kernel _ZN7rocprim17ROCPRIM_400000_NS6detail17trampoline_kernelINS0_14default_configENS1_20scan_config_selectorIsEEZZNS1_9scan_implILNS1_25lookback_scan_determinismE0ELb1ELb1ES3_N6thrust23THRUST_200600_302600_NS6detail15normal_iteratorINS9_10device_ptrIsEEEESE_sNS9_4plusIvEEsEEDaPvRmT3_T4_T5_mT6_P12ihipStream_tbENKUlT_T0_E_clISt17integral_constantIbLb0EEST_IbLb1EEEEDaSP_SQ_EUlSP_E0_NS1_11comp_targetILNS1_3genE0ELNS1_11target_archE4294967295ELNS1_3gpuE0ELNS1_3repE0EEENS1_30default_config_static_selectorELNS0_4arch9wavefront6targetE1EEEvT1_
		.amdhsa_group_segment_fixed_size 0
		.amdhsa_private_segment_fixed_size 0
		.amdhsa_kernarg_size 32
		.amdhsa_user_sgpr_count 6
		.amdhsa_user_sgpr_private_segment_buffer 1
		.amdhsa_user_sgpr_dispatch_ptr 0
		.amdhsa_user_sgpr_queue_ptr 0
		.amdhsa_user_sgpr_kernarg_segment_ptr 1
		.amdhsa_user_sgpr_dispatch_id 0
		.amdhsa_user_sgpr_flat_scratch_init 0
		.amdhsa_user_sgpr_kernarg_preload_length 0
		.amdhsa_user_sgpr_kernarg_preload_offset 0
		.amdhsa_user_sgpr_private_segment_size 0
		.amdhsa_uses_dynamic_stack 0
		.amdhsa_system_sgpr_private_segment_wavefront_offset 0
		.amdhsa_system_sgpr_workgroup_id_x 1
		.amdhsa_system_sgpr_workgroup_id_y 0
		.amdhsa_system_sgpr_workgroup_id_z 0
		.amdhsa_system_sgpr_workgroup_info 0
		.amdhsa_system_vgpr_workitem_id 0
		.amdhsa_next_free_vgpr 1
		.amdhsa_next_free_sgpr 0
		.amdhsa_accum_offset 4
		.amdhsa_reserve_vcc 0
		.amdhsa_reserve_flat_scratch 0
		.amdhsa_float_round_mode_32 0
		.amdhsa_float_round_mode_16_64 0
		.amdhsa_float_denorm_mode_32 3
		.amdhsa_float_denorm_mode_16_64 3
		.amdhsa_dx10_clamp 1
		.amdhsa_ieee_mode 1
		.amdhsa_fp16_overflow 0
		.amdhsa_tg_split 0
		.amdhsa_exception_fp_ieee_invalid_op 0
		.amdhsa_exception_fp_denorm_src 0
		.amdhsa_exception_fp_ieee_div_zero 0
		.amdhsa_exception_fp_ieee_overflow 0
		.amdhsa_exception_fp_ieee_underflow 0
		.amdhsa_exception_fp_ieee_inexact 0
		.amdhsa_exception_int_div_zero 0
	.end_amdhsa_kernel
	.section	.text._ZN7rocprim17ROCPRIM_400000_NS6detail17trampoline_kernelINS0_14default_configENS1_20scan_config_selectorIsEEZZNS1_9scan_implILNS1_25lookback_scan_determinismE0ELb1ELb1ES3_N6thrust23THRUST_200600_302600_NS6detail15normal_iteratorINS9_10device_ptrIsEEEESE_sNS9_4plusIvEEsEEDaPvRmT3_T4_T5_mT6_P12ihipStream_tbENKUlT_T0_E_clISt17integral_constantIbLb0EEST_IbLb1EEEEDaSP_SQ_EUlSP_E0_NS1_11comp_targetILNS1_3genE0ELNS1_11target_archE4294967295ELNS1_3gpuE0ELNS1_3repE0EEENS1_30default_config_static_selectorELNS0_4arch9wavefront6targetE1EEEvT1_,"axG",@progbits,_ZN7rocprim17ROCPRIM_400000_NS6detail17trampoline_kernelINS0_14default_configENS1_20scan_config_selectorIsEEZZNS1_9scan_implILNS1_25lookback_scan_determinismE0ELb1ELb1ES3_N6thrust23THRUST_200600_302600_NS6detail15normal_iteratorINS9_10device_ptrIsEEEESE_sNS9_4plusIvEEsEEDaPvRmT3_T4_T5_mT6_P12ihipStream_tbENKUlT_T0_E_clISt17integral_constantIbLb0EEST_IbLb1EEEEDaSP_SQ_EUlSP_E0_NS1_11comp_targetILNS1_3genE0ELNS1_11target_archE4294967295ELNS1_3gpuE0ELNS1_3repE0EEENS1_30default_config_static_selectorELNS0_4arch9wavefront6targetE1EEEvT1_,comdat
.Lfunc_end1042:
	.size	_ZN7rocprim17ROCPRIM_400000_NS6detail17trampoline_kernelINS0_14default_configENS1_20scan_config_selectorIsEEZZNS1_9scan_implILNS1_25lookback_scan_determinismE0ELb1ELb1ES3_N6thrust23THRUST_200600_302600_NS6detail15normal_iteratorINS9_10device_ptrIsEEEESE_sNS9_4plusIvEEsEEDaPvRmT3_T4_T5_mT6_P12ihipStream_tbENKUlT_T0_E_clISt17integral_constantIbLb0EEST_IbLb1EEEEDaSP_SQ_EUlSP_E0_NS1_11comp_targetILNS1_3genE0ELNS1_11target_archE4294967295ELNS1_3gpuE0ELNS1_3repE0EEENS1_30default_config_static_selectorELNS0_4arch9wavefront6targetE1EEEvT1_, .Lfunc_end1042-_ZN7rocprim17ROCPRIM_400000_NS6detail17trampoline_kernelINS0_14default_configENS1_20scan_config_selectorIsEEZZNS1_9scan_implILNS1_25lookback_scan_determinismE0ELb1ELb1ES3_N6thrust23THRUST_200600_302600_NS6detail15normal_iteratorINS9_10device_ptrIsEEEESE_sNS9_4plusIvEEsEEDaPvRmT3_T4_T5_mT6_P12ihipStream_tbENKUlT_T0_E_clISt17integral_constantIbLb0EEST_IbLb1EEEEDaSP_SQ_EUlSP_E0_NS1_11comp_targetILNS1_3genE0ELNS1_11target_archE4294967295ELNS1_3gpuE0ELNS1_3repE0EEENS1_30default_config_static_selectorELNS0_4arch9wavefront6targetE1EEEvT1_
                                        ; -- End function
	.section	.AMDGPU.csdata,"",@progbits
; Kernel info:
; codeLenInByte = 0
; NumSgprs: 4
; NumVgprs: 0
; NumAgprs: 0
; TotalNumVgprs: 0
; ScratchSize: 0
; MemoryBound: 0
; FloatMode: 240
; IeeeMode: 1
; LDSByteSize: 0 bytes/workgroup (compile time only)
; SGPRBlocks: 0
; VGPRBlocks: 0
; NumSGPRsForWavesPerEU: 4
; NumVGPRsForWavesPerEU: 1
; AccumOffset: 4
; Occupancy: 8
; WaveLimiterHint : 0
; COMPUTE_PGM_RSRC2:SCRATCH_EN: 0
; COMPUTE_PGM_RSRC2:USER_SGPR: 6
; COMPUTE_PGM_RSRC2:TRAP_HANDLER: 0
; COMPUTE_PGM_RSRC2:TGID_X_EN: 1
; COMPUTE_PGM_RSRC2:TGID_Y_EN: 0
; COMPUTE_PGM_RSRC2:TGID_Z_EN: 0
; COMPUTE_PGM_RSRC2:TIDIG_COMP_CNT: 0
; COMPUTE_PGM_RSRC3_GFX90A:ACCUM_OFFSET: 0
; COMPUTE_PGM_RSRC3_GFX90A:TG_SPLIT: 0
	.section	.text._ZN7rocprim17ROCPRIM_400000_NS6detail17trampoline_kernelINS0_14default_configENS1_20scan_config_selectorIsEEZZNS1_9scan_implILNS1_25lookback_scan_determinismE0ELb1ELb1ES3_N6thrust23THRUST_200600_302600_NS6detail15normal_iteratorINS9_10device_ptrIsEEEESE_sNS9_4plusIvEEsEEDaPvRmT3_T4_T5_mT6_P12ihipStream_tbENKUlT_T0_E_clISt17integral_constantIbLb0EEST_IbLb1EEEEDaSP_SQ_EUlSP_E0_NS1_11comp_targetILNS1_3genE5ELNS1_11target_archE942ELNS1_3gpuE9ELNS1_3repE0EEENS1_30default_config_static_selectorELNS0_4arch9wavefront6targetE1EEEvT1_,"axG",@progbits,_ZN7rocprim17ROCPRIM_400000_NS6detail17trampoline_kernelINS0_14default_configENS1_20scan_config_selectorIsEEZZNS1_9scan_implILNS1_25lookback_scan_determinismE0ELb1ELb1ES3_N6thrust23THRUST_200600_302600_NS6detail15normal_iteratorINS9_10device_ptrIsEEEESE_sNS9_4plusIvEEsEEDaPvRmT3_T4_T5_mT6_P12ihipStream_tbENKUlT_T0_E_clISt17integral_constantIbLb0EEST_IbLb1EEEEDaSP_SQ_EUlSP_E0_NS1_11comp_targetILNS1_3genE5ELNS1_11target_archE942ELNS1_3gpuE9ELNS1_3repE0EEENS1_30default_config_static_selectorELNS0_4arch9wavefront6targetE1EEEvT1_,comdat
	.protected	_ZN7rocprim17ROCPRIM_400000_NS6detail17trampoline_kernelINS0_14default_configENS1_20scan_config_selectorIsEEZZNS1_9scan_implILNS1_25lookback_scan_determinismE0ELb1ELb1ES3_N6thrust23THRUST_200600_302600_NS6detail15normal_iteratorINS9_10device_ptrIsEEEESE_sNS9_4plusIvEEsEEDaPvRmT3_T4_T5_mT6_P12ihipStream_tbENKUlT_T0_E_clISt17integral_constantIbLb0EEST_IbLb1EEEEDaSP_SQ_EUlSP_E0_NS1_11comp_targetILNS1_3genE5ELNS1_11target_archE942ELNS1_3gpuE9ELNS1_3repE0EEENS1_30default_config_static_selectorELNS0_4arch9wavefront6targetE1EEEvT1_ ; -- Begin function _ZN7rocprim17ROCPRIM_400000_NS6detail17trampoline_kernelINS0_14default_configENS1_20scan_config_selectorIsEEZZNS1_9scan_implILNS1_25lookback_scan_determinismE0ELb1ELb1ES3_N6thrust23THRUST_200600_302600_NS6detail15normal_iteratorINS9_10device_ptrIsEEEESE_sNS9_4plusIvEEsEEDaPvRmT3_T4_T5_mT6_P12ihipStream_tbENKUlT_T0_E_clISt17integral_constantIbLb0EEST_IbLb1EEEEDaSP_SQ_EUlSP_E0_NS1_11comp_targetILNS1_3genE5ELNS1_11target_archE942ELNS1_3gpuE9ELNS1_3repE0EEENS1_30default_config_static_selectorELNS0_4arch9wavefront6targetE1EEEvT1_
	.globl	_ZN7rocprim17ROCPRIM_400000_NS6detail17trampoline_kernelINS0_14default_configENS1_20scan_config_selectorIsEEZZNS1_9scan_implILNS1_25lookback_scan_determinismE0ELb1ELb1ES3_N6thrust23THRUST_200600_302600_NS6detail15normal_iteratorINS9_10device_ptrIsEEEESE_sNS9_4plusIvEEsEEDaPvRmT3_T4_T5_mT6_P12ihipStream_tbENKUlT_T0_E_clISt17integral_constantIbLb0EEST_IbLb1EEEEDaSP_SQ_EUlSP_E0_NS1_11comp_targetILNS1_3genE5ELNS1_11target_archE942ELNS1_3gpuE9ELNS1_3repE0EEENS1_30default_config_static_selectorELNS0_4arch9wavefront6targetE1EEEvT1_
	.p2align	8
	.type	_ZN7rocprim17ROCPRIM_400000_NS6detail17trampoline_kernelINS0_14default_configENS1_20scan_config_selectorIsEEZZNS1_9scan_implILNS1_25lookback_scan_determinismE0ELb1ELb1ES3_N6thrust23THRUST_200600_302600_NS6detail15normal_iteratorINS9_10device_ptrIsEEEESE_sNS9_4plusIvEEsEEDaPvRmT3_T4_T5_mT6_P12ihipStream_tbENKUlT_T0_E_clISt17integral_constantIbLb0EEST_IbLb1EEEEDaSP_SQ_EUlSP_E0_NS1_11comp_targetILNS1_3genE5ELNS1_11target_archE942ELNS1_3gpuE9ELNS1_3repE0EEENS1_30default_config_static_selectorELNS0_4arch9wavefront6targetE1EEEvT1_,@function
_ZN7rocprim17ROCPRIM_400000_NS6detail17trampoline_kernelINS0_14default_configENS1_20scan_config_selectorIsEEZZNS1_9scan_implILNS1_25lookback_scan_determinismE0ELb1ELb1ES3_N6thrust23THRUST_200600_302600_NS6detail15normal_iteratorINS9_10device_ptrIsEEEESE_sNS9_4plusIvEEsEEDaPvRmT3_T4_T5_mT6_P12ihipStream_tbENKUlT_T0_E_clISt17integral_constantIbLb0EEST_IbLb1EEEEDaSP_SQ_EUlSP_E0_NS1_11comp_targetILNS1_3genE5ELNS1_11target_archE942ELNS1_3gpuE9ELNS1_3repE0EEENS1_30default_config_static_selectorELNS0_4arch9wavefront6targetE1EEEvT1_: ; @_ZN7rocprim17ROCPRIM_400000_NS6detail17trampoline_kernelINS0_14default_configENS1_20scan_config_selectorIsEEZZNS1_9scan_implILNS1_25lookback_scan_determinismE0ELb1ELb1ES3_N6thrust23THRUST_200600_302600_NS6detail15normal_iteratorINS9_10device_ptrIsEEEESE_sNS9_4plusIvEEsEEDaPvRmT3_T4_T5_mT6_P12ihipStream_tbENKUlT_T0_E_clISt17integral_constantIbLb0EEST_IbLb1EEEEDaSP_SQ_EUlSP_E0_NS1_11comp_targetILNS1_3genE5ELNS1_11target_archE942ELNS1_3gpuE9ELNS1_3repE0EEENS1_30default_config_static_selectorELNS0_4arch9wavefront6targetE1EEEvT1_
; %bb.0:
	.section	.rodata,"a",@progbits
	.p2align	6, 0x0
	.amdhsa_kernel _ZN7rocprim17ROCPRIM_400000_NS6detail17trampoline_kernelINS0_14default_configENS1_20scan_config_selectorIsEEZZNS1_9scan_implILNS1_25lookback_scan_determinismE0ELb1ELb1ES3_N6thrust23THRUST_200600_302600_NS6detail15normal_iteratorINS9_10device_ptrIsEEEESE_sNS9_4plusIvEEsEEDaPvRmT3_T4_T5_mT6_P12ihipStream_tbENKUlT_T0_E_clISt17integral_constantIbLb0EEST_IbLb1EEEEDaSP_SQ_EUlSP_E0_NS1_11comp_targetILNS1_3genE5ELNS1_11target_archE942ELNS1_3gpuE9ELNS1_3repE0EEENS1_30default_config_static_selectorELNS0_4arch9wavefront6targetE1EEEvT1_
		.amdhsa_group_segment_fixed_size 0
		.amdhsa_private_segment_fixed_size 0
		.amdhsa_kernarg_size 32
		.amdhsa_user_sgpr_count 6
		.amdhsa_user_sgpr_private_segment_buffer 1
		.amdhsa_user_sgpr_dispatch_ptr 0
		.amdhsa_user_sgpr_queue_ptr 0
		.amdhsa_user_sgpr_kernarg_segment_ptr 1
		.amdhsa_user_sgpr_dispatch_id 0
		.amdhsa_user_sgpr_flat_scratch_init 0
		.amdhsa_user_sgpr_kernarg_preload_length 0
		.amdhsa_user_sgpr_kernarg_preload_offset 0
		.amdhsa_user_sgpr_private_segment_size 0
		.amdhsa_uses_dynamic_stack 0
		.amdhsa_system_sgpr_private_segment_wavefront_offset 0
		.amdhsa_system_sgpr_workgroup_id_x 1
		.amdhsa_system_sgpr_workgroup_id_y 0
		.amdhsa_system_sgpr_workgroup_id_z 0
		.amdhsa_system_sgpr_workgroup_info 0
		.amdhsa_system_vgpr_workitem_id 0
		.amdhsa_next_free_vgpr 1
		.amdhsa_next_free_sgpr 0
		.amdhsa_accum_offset 4
		.amdhsa_reserve_vcc 0
		.amdhsa_reserve_flat_scratch 0
		.amdhsa_float_round_mode_32 0
		.amdhsa_float_round_mode_16_64 0
		.amdhsa_float_denorm_mode_32 3
		.amdhsa_float_denorm_mode_16_64 3
		.amdhsa_dx10_clamp 1
		.amdhsa_ieee_mode 1
		.amdhsa_fp16_overflow 0
		.amdhsa_tg_split 0
		.amdhsa_exception_fp_ieee_invalid_op 0
		.amdhsa_exception_fp_denorm_src 0
		.amdhsa_exception_fp_ieee_div_zero 0
		.amdhsa_exception_fp_ieee_overflow 0
		.amdhsa_exception_fp_ieee_underflow 0
		.amdhsa_exception_fp_ieee_inexact 0
		.amdhsa_exception_int_div_zero 0
	.end_amdhsa_kernel
	.section	.text._ZN7rocprim17ROCPRIM_400000_NS6detail17trampoline_kernelINS0_14default_configENS1_20scan_config_selectorIsEEZZNS1_9scan_implILNS1_25lookback_scan_determinismE0ELb1ELb1ES3_N6thrust23THRUST_200600_302600_NS6detail15normal_iteratorINS9_10device_ptrIsEEEESE_sNS9_4plusIvEEsEEDaPvRmT3_T4_T5_mT6_P12ihipStream_tbENKUlT_T0_E_clISt17integral_constantIbLb0EEST_IbLb1EEEEDaSP_SQ_EUlSP_E0_NS1_11comp_targetILNS1_3genE5ELNS1_11target_archE942ELNS1_3gpuE9ELNS1_3repE0EEENS1_30default_config_static_selectorELNS0_4arch9wavefront6targetE1EEEvT1_,"axG",@progbits,_ZN7rocprim17ROCPRIM_400000_NS6detail17trampoline_kernelINS0_14default_configENS1_20scan_config_selectorIsEEZZNS1_9scan_implILNS1_25lookback_scan_determinismE0ELb1ELb1ES3_N6thrust23THRUST_200600_302600_NS6detail15normal_iteratorINS9_10device_ptrIsEEEESE_sNS9_4plusIvEEsEEDaPvRmT3_T4_T5_mT6_P12ihipStream_tbENKUlT_T0_E_clISt17integral_constantIbLb0EEST_IbLb1EEEEDaSP_SQ_EUlSP_E0_NS1_11comp_targetILNS1_3genE5ELNS1_11target_archE942ELNS1_3gpuE9ELNS1_3repE0EEENS1_30default_config_static_selectorELNS0_4arch9wavefront6targetE1EEEvT1_,comdat
.Lfunc_end1043:
	.size	_ZN7rocprim17ROCPRIM_400000_NS6detail17trampoline_kernelINS0_14default_configENS1_20scan_config_selectorIsEEZZNS1_9scan_implILNS1_25lookback_scan_determinismE0ELb1ELb1ES3_N6thrust23THRUST_200600_302600_NS6detail15normal_iteratorINS9_10device_ptrIsEEEESE_sNS9_4plusIvEEsEEDaPvRmT3_T4_T5_mT6_P12ihipStream_tbENKUlT_T0_E_clISt17integral_constantIbLb0EEST_IbLb1EEEEDaSP_SQ_EUlSP_E0_NS1_11comp_targetILNS1_3genE5ELNS1_11target_archE942ELNS1_3gpuE9ELNS1_3repE0EEENS1_30default_config_static_selectorELNS0_4arch9wavefront6targetE1EEEvT1_, .Lfunc_end1043-_ZN7rocprim17ROCPRIM_400000_NS6detail17trampoline_kernelINS0_14default_configENS1_20scan_config_selectorIsEEZZNS1_9scan_implILNS1_25lookback_scan_determinismE0ELb1ELb1ES3_N6thrust23THRUST_200600_302600_NS6detail15normal_iteratorINS9_10device_ptrIsEEEESE_sNS9_4plusIvEEsEEDaPvRmT3_T4_T5_mT6_P12ihipStream_tbENKUlT_T0_E_clISt17integral_constantIbLb0EEST_IbLb1EEEEDaSP_SQ_EUlSP_E0_NS1_11comp_targetILNS1_3genE5ELNS1_11target_archE942ELNS1_3gpuE9ELNS1_3repE0EEENS1_30default_config_static_selectorELNS0_4arch9wavefront6targetE1EEEvT1_
                                        ; -- End function
	.section	.AMDGPU.csdata,"",@progbits
; Kernel info:
; codeLenInByte = 0
; NumSgprs: 4
; NumVgprs: 0
; NumAgprs: 0
; TotalNumVgprs: 0
; ScratchSize: 0
; MemoryBound: 0
; FloatMode: 240
; IeeeMode: 1
; LDSByteSize: 0 bytes/workgroup (compile time only)
; SGPRBlocks: 0
; VGPRBlocks: 0
; NumSGPRsForWavesPerEU: 4
; NumVGPRsForWavesPerEU: 1
; AccumOffset: 4
; Occupancy: 8
; WaveLimiterHint : 0
; COMPUTE_PGM_RSRC2:SCRATCH_EN: 0
; COMPUTE_PGM_RSRC2:USER_SGPR: 6
; COMPUTE_PGM_RSRC2:TRAP_HANDLER: 0
; COMPUTE_PGM_RSRC2:TGID_X_EN: 1
; COMPUTE_PGM_RSRC2:TGID_Y_EN: 0
; COMPUTE_PGM_RSRC2:TGID_Z_EN: 0
; COMPUTE_PGM_RSRC2:TIDIG_COMP_CNT: 0
; COMPUTE_PGM_RSRC3_GFX90A:ACCUM_OFFSET: 0
; COMPUTE_PGM_RSRC3_GFX90A:TG_SPLIT: 0
	.section	.text._ZN7rocprim17ROCPRIM_400000_NS6detail17trampoline_kernelINS0_14default_configENS1_20scan_config_selectorIsEEZZNS1_9scan_implILNS1_25lookback_scan_determinismE0ELb1ELb1ES3_N6thrust23THRUST_200600_302600_NS6detail15normal_iteratorINS9_10device_ptrIsEEEESE_sNS9_4plusIvEEsEEDaPvRmT3_T4_T5_mT6_P12ihipStream_tbENKUlT_T0_E_clISt17integral_constantIbLb0EEST_IbLb1EEEEDaSP_SQ_EUlSP_E0_NS1_11comp_targetILNS1_3genE4ELNS1_11target_archE910ELNS1_3gpuE8ELNS1_3repE0EEENS1_30default_config_static_selectorELNS0_4arch9wavefront6targetE1EEEvT1_,"axG",@progbits,_ZN7rocprim17ROCPRIM_400000_NS6detail17trampoline_kernelINS0_14default_configENS1_20scan_config_selectorIsEEZZNS1_9scan_implILNS1_25lookback_scan_determinismE0ELb1ELb1ES3_N6thrust23THRUST_200600_302600_NS6detail15normal_iteratorINS9_10device_ptrIsEEEESE_sNS9_4plusIvEEsEEDaPvRmT3_T4_T5_mT6_P12ihipStream_tbENKUlT_T0_E_clISt17integral_constantIbLb0EEST_IbLb1EEEEDaSP_SQ_EUlSP_E0_NS1_11comp_targetILNS1_3genE4ELNS1_11target_archE910ELNS1_3gpuE8ELNS1_3repE0EEENS1_30default_config_static_selectorELNS0_4arch9wavefront6targetE1EEEvT1_,comdat
	.protected	_ZN7rocprim17ROCPRIM_400000_NS6detail17trampoline_kernelINS0_14default_configENS1_20scan_config_selectorIsEEZZNS1_9scan_implILNS1_25lookback_scan_determinismE0ELb1ELb1ES3_N6thrust23THRUST_200600_302600_NS6detail15normal_iteratorINS9_10device_ptrIsEEEESE_sNS9_4plusIvEEsEEDaPvRmT3_T4_T5_mT6_P12ihipStream_tbENKUlT_T0_E_clISt17integral_constantIbLb0EEST_IbLb1EEEEDaSP_SQ_EUlSP_E0_NS1_11comp_targetILNS1_3genE4ELNS1_11target_archE910ELNS1_3gpuE8ELNS1_3repE0EEENS1_30default_config_static_selectorELNS0_4arch9wavefront6targetE1EEEvT1_ ; -- Begin function _ZN7rocprim17ROCPRIM_400000_NS6detail17trampoline_kernelINS0_14default_configENS1_20scan_config_selectorIsEEZZNS1_9scan_implILNS1_25lookback_scan_determinismE0ELb1ELb1ES3_N6thrust23THRUST_200600_302600_NS6detail15normal_iteratorINS9_10device_ptrIsEEEESE_sNS9_4plusIvEEsEEDaPvRmT3_T4_T5_mT6_P12ihipStream_tbENKUlT_T0_E_clISt17integral_constantIbLb0EEST_IbLb1EEEEDaSP_SQ_EUlSP_E0_NS1_11comp_targetILNS1_3genE4ELNS1_11target_archE910ELNS1_3gpuE8ELNS1_3repE0EEENS1_30default_config_static_selectorELNS0_4arch9wavefront6targetE1EEEvT1_
	.globl	_ZN7rocprim17ROCPRIM_400000_NS6detail17trampoline_kernelINS0_14default_configENS1_20scan_config_selectorIsEEZZNS1_9scan_implILNS1_25lookback_scan_determinismE0ELb1ELb1ES3_N6thrust23THRUST_200600_302600_NS6detail15normal_iteratorINS9_10device_ptrIsEEEESE_sNS9_4plusIvEEsEEDaPvRmT3_T4_T5_mT6_P12ihipStream_tbENKUlT_T0_E_clISt17integral_constantIbLb0EEST_IbLb1EEEEDaSP_SQ_EUlSP_E0_NS1_11comp_targetILNS1_3genE4ELNS1_11target_archE910ELNS1_3gpuE8ELNS1_3repE0EEENS1_30default_config_static_selectorELNS0_4arch9wavefront6targetE1EEEvT1_
	.p2align	8
	.type	_ZN7rocprim17ROCPRIM_400000_NS6detail17trampoline_kernelINS0_14default_configENS1_20scan_config_selectorIsEEZZNS1_9scan_implILNS1_25lookback_scan_determinismE0ELb1ELb1ES3_N6thrust23THRUST_200600_302600_NS6detail15normal_iteratorINS9_10device_ptrIsEEEESE_sNS9_4plusIvEEsEEDaPvRmT3_T4_T5_mT6_P12ihipStream_tbENKUlT_T0_E_clISt17integral_constantIbLb0EEST_IbLb1EEEEDaSP_SQ_EUlSP_E0_NS1_11comp_targetILNS1_3genE4ELNS1_11target_archE910ELNS1_3gpuE8ELNS1_3repE0EEENS1_30default_config_static_selectorELNS0_4arch9wavefront6targetE1EEEvT1_,@function
_ZN7rocprim17ROCPRIM_400000_NS6detail17trampoline_kernelINS0_14default_configENS1_20scan_config_selectorIsEEZZNS1_9scan_implILNS1_25lookback_scan_determinismE0ELb1ELb1ES3_N6thrust23THRUST_200600_302600_NS6detail15normal_iteratorINS9_10device_ptrIsEEEESE_sNS9_4plusIvEEsEEDaPvRmT3_T4_T5_mT6_P12ihipStream_tbENKUlT_T0_E_clISt17integral_constantIbLb0EEST_IbLb1EEEEDaSP_SQ_EUlSP_E0_NS1_11comp_targetILNS1_3genE4ELNS1_11target_archE910ELNS1_3gpuE8ELNS1_3repE0EEENS1_30default_config_static_selectorELNS0_4arch9wavefront6targetE1EEEvT1_: ; @_ZN7rocprim17ROCPRIM_400000_NS6detail17trampoline_kernelINS0_14default_configENS1_20scan_config_selectorIsEEZZNS1_9scan_implILNS1_25lookback_scan_determinismE0ELb1ELb1ES3_N6thrust23THRUST_200600_302600_NS6detail15normal_iteratorINS9_10device_ptrIsEEEESE_sNS9_4plusIvEEsEEDaPvRmT3_T4_T5_mT6_P12ihipStream_tbENKUlT_T0_E_clISt17integral_constantIbLb0EEST_IbLb1EEEEDaSP_SQ_EUlSP_E0_NS1_11comp_targetILNS1_3genE4ELNS1_11target_archE910ELNS1_3gpuE8ELNS1_3repE0EEENS1_30default_config_static_selectorELNS0_4arch9wavefront6targetE1EEEvT1_
; %bb.0:
	s_load_dwordx4 s[52:55], s[4:5], 0x0
	v_mov_b32_e32 v1, 0
	v_lshlrev_b32_e32 v14, 1, v0
	s_waitcnt lgkmcnt(0)
	global_load_ushort v2, v1, s[52:53]
	v_cmp_gt_u32_e32 vcc, s54, v0
	s_waitcnt vmcnt(0)
	v_mov_b32_e32 v3, v2
	s_and_saveexec_b64 s[0:1], vcc
	s_cbranch_execz .LBB1044_2
; %bb.1:
	global_load_ushort v3, v14, s[52:53]
.LBB1044_2:
	s_or_b64 exec, exec, s[0:1]
	v_or_b32_e32 v1, 64, v0
	v_cmp_gt_u32_e64 s[0:1], s54, v1
	v_mov_b32_e32 v4, v2
	s_and_saveexec_b64 s[2:3], s[0:1]
	s_cbranch_execz .LBB1044_4
; %bb.3:
	global_load_ushort v4, v14, s[52:53] offset:128
.LBB1044_4:
	s_or_b64 exec, exec, s[2:3]
	v_or_b32_e32 v1, 0x80, v0
	v_cmp_gt_u32_e64 s[2:3], s54, v1
	v_mov_b32_e32 v5, v2
	s_and_saveexec_b64 s[6:7], s[2:3]
	s_cbranch_execz .LBB1044_6
; %bb.5:
	global_load_ushort v5, v14, s[52:53] offset:256
.LBB1044_6:
	;; [unrolled: 9-line block ×22, first 2 shown]
	s_or_b64 exec, exec, s[46:47]
	v_or_b32_e32 v1, 0x5c0, v0
	v_cmp_gt_u32_e64 s[46:47], s54, v1
	v_cmp_le_u32_e64 s[50:51], s54, v1
	s_and_saveexec_b64 s[54:55], s[50:51]
	s_xor_b64 s[50:51], exec, s[54:55]
; %bb.47:
	v_mov_b32_e32 v1, 0
; %bb.48:
	s_or_saveexec_b64 s[50:51], s[50:51]
	s_load_dword s33, s[4:5], 0x10
	s_load_dwordx2 s[54:55], s[4:5], 0x18
	s_xor_b64 exec, exec, s[50:51]
	s_cbranch_execz .LBB1044_50
; %bb.49:
	global_load_ushort v2, v14, s[52:53] offset:2944
	v_mov_b32_e32 v1, 0
.LBB1044_50:
	s_or_b64 exec, exec, s[50:51]
	s_waitcnt vmcnt(0)
	ds_write_b16 v14, v3
	ds_write_b16 v14, v4 offset:128
	ds_write_b16 v14, v5 offset:256
	;; [unrolled: 1-line block ×23, first 2 shown]
	v_mad_u32_u24 v2, v0, 46, v14
	s_waitcnt lgkmcnt(0)
	; wave barrier
	s_waitcnt lgkmcnt(0)
	ds_read_b128 v[10:13], v2
	ds_read_b128 v[6:9], v2 offset:16
	ds_read_b128 v[2:5], v2 offset:32
	v_mul_u32_u24_e32 v15, 46, v0
	s_waitcnt lgkmcnt(0)
	v_add_u16_sdwa v16, v10, v10 dst_sel:DWORD dst_unused:UNUSED_PAD src0_sel:WORD_1 src1_sel:DWORD
	v_add_u16_e32 v16, v16, v11
	v_add_u16_sdwa v16, v16, v11 dst_sel:DWORD dst_unused:UNUSED_PAD src0_sel:DWORD src1_sel:WORD_1
	v_add_u16_e32 v16, v16, v12
	v_add_u16_sdwa v16, v16, v12 dst_sel:DWORD dst_unused:UNUSED_PAD src0_sel:DWORD src1_sel:WORD_1
	;; [unrolled: 2-line block ×11, first 2 shown]
	v_mbcnt_lo_u32_b32 v16, -1, 0
	v_mbcnt_hi_u32_b32 v16, -1, v16
	v_and_b32_e32 v18, 15, v16
	v_mov_b32_dpp v19, v17 row_shr:1 row_mask:0xf bank_mask:0xf
	v_cmp_ne_u32_e64 s[4:5], 0, v18
	v_cndmask_b32_e64 v19, 0, v19, s[4:5]
	v_add_u16_e32 v17, v19, v17
	v_cmp_lt_u32_e64 s[4:5], 1, v18
	; wave barrier
	s_nop 0
	v_mov_b32_dpp v19, v17 row_shr:2 row_mask:0xf bank_mask:0xf
	v_cndmask_b32_e64 v19, 0, v19, s[4:5]
	v_add_u16_e32 v17, v17, v19
	v_cmp_lt_u32_e64 s[4:5], 3, v18
	s_nop 0
	v_mov_b32_dpp v19, v17 row_shr:4 row_mask:0xf bank_mask:0xf
	v_cndmask_b32_e64 v19, 0, v19, s[4:5]
	v_add_u16_e32 v17, v17, v19
	v_cmp_lt_u32_e64 s[4:5], 7, v18
	s_nop 0
	v_mov_b32_dpp v19, v17 row_shr:8 row_mask:0xf bank_mask:0xf
	v_cndmask_b32_e64 v18, 0, v19, s[4:5]
	v_add_u16_e32 v17, v17, v18
	v_and_b32_e32 v19, 16, v16
	v_cmp_ne_u32_e64 s[4:5], 0, v19
	v_mov_b32_dpp v18, v17 row_bcast:15 row_mask:0xf bank_mask:0xf
	v_cndmask_b32_e64 v18, 0, v18, s[4:5]
	v_add_u16_e32 v17, v17, v18
	v_cmp_lt_u32_e64 s[4:5], 31, v16
	s_nop 0
	v_mov_b32_dpp v18, v17 row_bcast:31 row_mask:0xf bank_mask:0xf
	v_cndmask_b32_e64 v18, 0, v18, s[4:5]
	v_add_u16_e32 v17, v17, v18
	v_cmp_eq_u32_e64 s[4:5], 63, v0
	s_and_saveexec_b64 s[50:51], s[4:5]
	s_cbranch_execz .LBB1044_52
; %bb.51:
	v_mov_b32_e32 v18, 0
	ds_write_b16 v18, v17
.LBB1044_52:
	s_or_b64 exec, exec, s[50:51]
	v_add_u32_e32 v18, -1, v16
	v_and_b32_e32 v19, 64, v16
	v_cmp_lt_i32_e64 s[4:5], v18, v19
	v_cndmask_b32_e64 v18, v18, v16, s[4:5]
	v_add_u16_e32 v17, s33, v17
	v_lshlrev_b32_e32 v18, 2, v18
	ds_bpermute_b32 v17, v18, v17
	v_cmp_eq_u32_e64 s[4:5], 0, v16
	v_cmp_eq_u32_e64 s[50:51], 0, v0
	v_mov_b32_e32 v16, s33
	s_or_b64 s[4:5], s[50:51], s[4:5]
	s_waitcnt lgkmcnt(0)
	v_cndmask_b32_e64 v16, v17, v16, s[4:5]
	v_add_u16_e32 v17, v16, v10
	v_add_u16_sdwa v10, v17, v10 dst_sel:DWORD dst_unused:UNUSED_PAD src0_sel:DWORD src1_sel:WORD_1
	v_add_u16_e32 v18, v10, v11
	v_add_u16_sdwa v11, v18, v11 dst_sel:DWORD dst_unused:UNUSED_PAD src0_sel:DWORD src1_sel:WORD_1
	v_add_u16_e32 v19, v11, v12
	v_add_u16_sdwa v12, v19, v12 dst_sel:DWORD dst_unused:UNUSED_PAD src0_sel:DWORD src1_sel:WORD_1
	v_add_u16_e32 v20, v12, v13
	v_add_u16_sdwa v13, v20, v13 dst_sel:DWORD dst_unused:UNUSED_PAD src0_sel:DWORD src1_sel:WORD_1
	v_add_u16_e32 v21, v13, v6
	v_add_u16_sdwa v6, v21, v6 dst_sel:DWORD dst_unused:UNUSED_PAD src0_sel:DWORD src1_sel:WORD_1
	v_add_u16_e32 v22, v6, v7
	v_add_u16_sdwa v7, v22, v7 dst_sel:DWORD dst_unused:UNUSED_PAD src0_sel:DWORD src1_sel:WORD_1
	v_add_u16_e32 v23, v7, v8
	v_add_u16_sdwa v8, v23, v8 dst_sel:DWORD dst_unused:UNUSED_PAD src0_sel:DWORD src1_sel:WORD_1
	v_add_u16_e32 v24, v8, v9
	v_add_u16_sdwa v9, v24, v9 dst_sel:DWORD dst_unused:UNUSED_PAD src0_sel:DWORD src1_sel:WORD_1
	v_add_u16_e32 v25, v9, v2
	v_add_u16_sdwa v26, v25, v2 dst_sel:DWORD dst_unused:UNUSED_PAD src0_sel:DWORD src1_sel:WORD_1
	v_add_u16_e32 v27, v26, v3
	v_add_u16_sdwa v28, v27, v3 dst_sel:DWORD dst_unused:UNUSED_PAD src0_sel:DWORD src1_sel:WORD_1
	v_add_u16_e32 v29, v28, v4
	v_add_u16_sdwa v30, v29, v4 dst_sel:DWORD dst_unused:UNUSED_PAD src0_sel:DWORD src1_sel:WORD_1
	s_mov_b32 s4, 0x5040100
	v_add_u16_e32 v31, v30, v5
	v_add_u32_e32 v15, v14, v15
	v_perm_b32 v2, v17, v16, s4
	v_perm_b32 v3, v18, v10, s4
	;; [unrolled: 1-line block ×4, first 2 shown]
	s_waitcnt lgkmcnt(0)
	; wave barrier
	s_waitcnt lgkmcnt(0)
	s_waitcnt lgkmcnt(0)
	; wave barrier
	ds_write_b128 v15, v[2:5]
	v_perm_b32 v2, v21, v13, s4
	v_perm_b32 v3, v22, v6, s4
	;; [unrolled: 1-line block ×4, first 2 shown]
	ds_write_b128 v15, v[2:5] offset:16
	v_perm_b32 v2, v25, v9, s4
	v_perm_b32 v3, v27, v26, s4
	v_perm_b32 v4, v29, v28, s4
	v_perm_b32 v5, v31, v30, s4
	ds_write_b128 v15, v[2:5] offset:32
	s_waitcnt lgkmcnt(0)
	; wave barrier
	s_waitcnt lgkmcnt(0)
	ds_read_u16 v25, v14 offset:128
	ds_read_u16 v24, v14 offset:256
	;; [unrolled: 1-line block ×23, first 2 shown]
	v_lshlrev_b64 v[0:1], 1, v[0:1]
	v_mov_b32_e32 v26, s55
	v_add_co_u32_e64 v0, s[4:5], s54, v0
	v_addc_co_u32_e64 v1, s[4:5], v26, v1, s[4:5]
	s_and_saveexec_b64 s[4:5], vcc
	s_cbranch_execnz .LBB1044_77
; %bb.53:
	s_or_b64 exec, exec, s[4:5]
	s_and_saveexec_b64 s[4:5], s[0:1]
	s_cbranch_execnz .LBB1044_78
.LBB1044_54:
	s_or_b64 exec, exec, s[4:5]
	s_and_saveexec_b64 s[0:1], s[2:3]
	s_cbranch_execnz .LBB1044_79
.LBB1044_55:
	s_or_b64 exec, exec, s[0:1]
	s_and_saveexec_b64 s[0:1], s[48:49]
	s_cbranch_execnz .LBB1044_80
.LBB1044_56:
	s_or_b64 exec, exec, s[0:1]
	s_and_saveexec_b64 s[0:1], s[6:7]
	s_cbranch_execnz .LBB1044_81
.LBB1044_57:
	s_or_b64 exec, exec, s[0:1]
	s_and_saveexec_b64 s[0:1], s[8:9]
	s_cbranch_execnz .LBB1044_82
.LBB1044_58:
	s_or_b64 exec, exec, s[0:1]
	s_and_saveexec_b64 s[0:1], s[10:11]
	s_cbranch_execnz .LBB1044_83
.LBB1044_59:
	s_or_b64 exec, exec, s[0:1]
	s_and_saveexec_b64 s[0:1], s[12:13]
	s_cbranch_execnz .LBB1044_84
.LBB1044_60:
	s_or_b64 exec, exec, s[0:1]
	s_and_saveexec_b64 s[0:1], s[14:15]
	s_cbranch_execnz .LBB1044_85
.LBB1044_61:
	s_or_b64 exec, exec, s[0:1]
	s_and_saveexec_b64 s[0:1], s[16:17]
	s_cbranch_execnz .LBB1044_86
.LBB1044_62:
	s_or_b64 exec, exec, s[0:1]
	s_and_saveexec_b64 s[0:1], s[18:19]
	s_cbranch_execnz .LBB1044_87
.LBB1044_63:
	s_or_b64 exec, exec, s[0:1]
	s_and_saveexec_b64 s[0:1], s[20:21]
	s_cbranch_execnz .LBB1044_88
.LBB1044_64:
	s_or_b64 exec, exec, s[0:1]
	s_and_saveexec_b64 s[0:1], s[22:23]
	s_cbranch_execnz .LBB1044_89
.LBB1044_65:
	s_or_b64 exec, exec, s[0:1]
	s_and_saveexec_b64 s[0:1], s[24:25]
	s_cbranch_execnz .LBB1044_90
.LBB1044_66:
	s_or_b64 exec, exec, s[0:1]
	s_and_saveexec_b64 s[0:1], s[26:27]
	s_cbranch_execnz .LBB1044_91
.LBB1044_67:
	s_or_b64 exec, exec, s[0:1]
	s_and_saveexec_b64 s[0:1], s[28:29]
	s_cbranch_execnz .LBB1044_92
.LBB1044_68:
	s_or_b64 exec, exec, s[0:1]
	s_and_saveexec_b64 s[0:1], s[30:31]
	s_cbranch_execnz .LBB1044_93
.LBB1044_69:
	s_or_b64 exec, exec, s[0:1]
	s_and_saveexec_b64 s[0:1], s[34:35]
	s_cbranch_execnz .LBB1044_94
.LBB1044_70:
	s_or_b64 exec, exec, s[0:1]
	s_and_saveexec_b64 s[0:1], s[36:37]
	s_cbranch_execnz .LBB1044_95
.LBB1044_71:
	s_or_b64 exec, exec, s[0:1]
	s_and_saveexec_b64 s[0:1], s[38:39]
	s_cbranch_execnz .LBB1044_96
.LBB1044_72:
	s_or_b64 exec, exec, s[0:1]
	s_and_saveexec_b64 s[0:1], s[40:41]
	s_cbranch_execnz .LBB1044_97
.LBB1044_73:
	s_or_b64 exec, exec, s[0:1]
	s_and_saveexec_b64 s[0:1], s[42:43]
	s_cbranch_execnz .LBB1044_98
.LBB1044_74:
	s_or_b64 exec, exec, s[0:1]
	s_and_saveexec_b64 s[0:1], s[44:45]
	s_cbranch_execnz .LBB1044_99
.LBB1044_75:
	s_or_b64 exec, exec, s[0:1]
	s_and_saveexec_b64 s[0:1], s[46:47]
	s_cbranch_execnz .LBB1044_100
.LBB1044_76:
	s_endpgm
.LBB1044_77:
	ds_read_u16 v14, v14
	s_waitcnt lgkmcnt(0)
	global_store_short v[0:1], v14, off
	s_or_b64 exec, exec, s[4:5]
	s_and_saveexec_b64 s[4:5], s[0:1]
	s_cbranch_execz .LBB1044_54
.LBB1044_78:
	s_waitcnt lgkmcnt(14)
	global_store_short v[0:1], v25, off offset:128
	s_or_b64 exec, exec, s[4:5]
	s_and_saveexec_b64 s[0:1], s[2:3]
	s_cbranch_execz .LBB1044_55
.LBB1044_79:
	s_waitcnt lgkmcnt(14)
	global_store_short v[0:1], v24, off offset:256
	s_or_b64 exec, exec, s[0:1]
	s_and_saveexec_b64 s[0:1], s[48:49]
	s_cbranch_execz .LBB1044_56
.LBB1044_80:
	s_waitcnt lgkmcnt(14)
	global_store_short v[0:1], v23, off offset:384
	s_or_b64 exec, exec, s[0:1]
	s_and_saveexec_b64 s[0:1], s[6:7]
	s_cbranch_execz .LBB1044_57
.LBB1044_81:
	s_waitcnt lgkmcnt(14)
	global_store_short v[0:1], v22, off offset:512
	s_or_b64 exec, exec, s[0:1]
	s_and_saveexec_b64 s[0:1], s[8:9]
	s_cbranch_execz .LBB1044_58
.LBB1044_82:
	s_waitcnt lgkmcnt(14)
	global_store_short v[0:1], v21, off offset:640
	s_or_b64 exec, exec, s[0:1]
	s_and_saveexec_b64 s[0:1], s[10:11]
	s_cbranch_execz .LBB1044_59
.LBB1044_83:
	s_waitcnt lgkmcnt(14)
	global_store_short v[0:1], v20, off offset:768
	s_or_b64 exec, exec, s[0:1]
	s_and_saveexec_b64 s[0:1], s[12:13]
	s_cbranch_execz .LBB1044_60
.LBB1044_84:
	s_waitcnt lgkmcnt(14)
	global_store_short v[0:1], v19, off offset:896
	s_or_b64 exec, exec, s[0:1]
	s_and_saveexec_b64 s[0:1], s[14:15]
	s_cbranch_execz .LBB1044_61
.LBB1044_85:
	s_waitcnt lgkmcnt(14)
	global_store_short v[0:1], v18, off offset:1024
	s_or_b64 exec, exec, s[0:1]
	s_and_saveexec_b64 s[0:1], s[16:17]
	s_cbranch_execz .LBB1044_62
.LBB1044_86:
	s_waitcnt lgkmcnt(14)
	global_store_short v[0:1], v17, off offset:1152
	s_or_b64 exec, exec, s[0:1]
	s_and_saveexec_b64 s[0:1], s[18:19]
	s_cbranch_execz .LBB1044_63
.LBB1044_87:
	s_waitcnt lgkmcnt(13)
	global_store_short v[0:1], v16, off offset:1280
	s_or_b64 exec, exec, s[0:1]
	s_and_saveexec_b64 s[0:1], s[20:21]
	s_cbranch_execz .LBB1044_64
.LBB1044_88:
	s_waitcnt lgkmcnt(12)
	global_store_short v[0:1], v15, off offset:1408
	s_or_b64 exec, exec, s[0:1]
	s_and_saveexec_b64 s[0:1], s[22:23]
	s_cbranch_execz .LBB1044_65
.LBB1044_89:
	s_waitcnt lgkmcnt(11)
	global_store_short v[0:1], v13, off offset:1536
	s_or_b64 exec, exec, s[0:1]
	s_and_saveexec_b64 s[0:1], s[24:25]
	s_cbranch_execz .LBB1044_66
.LBB1044_90:
	s_waitcnt lgkmcnt(10)
	global_store_short v[0:1], v12, off offset:1664
	s_or_b64 exec, exec, s[0:1]
	s_and_saveexec_b64 s[0:1], s[26:27]
	s_cbranch_execz .LBB1044_67
.LBB1044_91:
	s_waitcnt lgkmcnt(9)
	global_store_short v[0:1], v11, off offset:1792
	s_or_b64 exec, exec, s[0:1]
	s_and_saveexec_b64 s[0:1], s[28:29]
	s_cbranch_execz .LBB1044_68
.LBB1044_92:
	s_waitcnt lgkmcnt(8)
	global_store_short v[0:1], v10, off offset:1920
	s_or_b64 exec, exec, s[0:1]
	s_and_saveexec_b64 s[0:1], s[30:31]
	s_cbranch_execz .LBB1044_69
.LBB1044_93:
	s_waitcnt lgkmcnt(7)
	global_store_short v[0:1], v9, off offset:2048
	s_or_b64 exec, exec, s[0:1]
	s_and_saveexec_b64 s[0:1], s[34:35]
	s_cbranch_execz .LBB1044_70
.LBB1044_94:
	s_waitcnt lgkmcnt(6)
	global_store_short v[0:1], v8, off offset:2176
	s_or_b64 exec, exec, s[0:1]
	s_and_saveexec_b64 s[0:1], s[36:37]
	s_cbranch_execz .LBB1044_71
.LBB1044_95:
	s_waitcnt lgkmcnt(5)
	global_store_short v[0:1], v7, off offset:2304
	s_or_b64 exec, exec, s[0:1]
	s_and_saveexec_b64 s[0:1], s[38:39]
	s_cbranch_execz .LBB1044_72
.LBB1044_96:
	s_waitcnt lgkmcnt(4)
	global_store_short v[0:1], v6, off offset:2432
	s_or_b64 exec, exec, s[0:1]
	s_and_saveexec_b64 s[0:1], s[40:41]
	s_cbranch_execz .LBB1044_73
.LBB1044_97:
	s_waitcnt lgkmcnt(3)
	global_store_short v[0:1], v5, off offset:2560
	s_or_b64 exec, exec, s[0:1]
	s_and_saveexec_b64 s[0:1], s[42:43]
	s_cbranch_execz .LBB1044_74
.LBB1044_98:
	s_waitcnt lgkmcnt(2)
	global_store_short v[0:1], v4, off offset:2688
	s_or_b64 exec, exec, s[0:1]
	s_and_saveexec_b64 s[0:1], s[44:45]
	s_cbranch_execz .LBB1044_75
.LBB1044_99:
	s_waitcnt lgkmcnt(1)
	global_store_short v[0:1], v3, off offset:2816
	s_or_b64 exec, exec, s[0:1]
	s_and_saveexec_b64 s[0:1], s[46:47]
	s_cbranch_execz .LBB1044_76
.LBB1044_100:
	s_waitcnt lgkmcnt(0)
	global_store_short v[0:1], v2, off offset:2944
	s_endpgm
	.section	.rodata,"a",@progbits
	.p2align	6, 0x0
	.amdhsa_kernel _ZN7rocprim17ROCPRIM_400000_NS6detail17trampoline_kernelINS0_14default_configENS1_20scan_config_selectorIsEEZZNS1_9scan_implILNS1_25lookback_scan_determinismE0ELb1ELb1ES3_N6thrust23THRUST_200600_302600_NS6detail15normal_iteratorINS9_10device_ptrIsEEEESE_sNS9_4plusIvEEsEEDaPvRmT3_T4_T5_mT6_P12ihipStream_tbENKUlT_T0_E_clISt17integral_constantIbLb0EEST_IbLb1EEEEDaSP_SQ_EUlSP_E0_NS1_11comp_targetILNS1_3genE4ELNS1_11target_archE910ELNS1_3gpuE8ELNS1_3repE0EEENS1_30default_config_static_selectorELNS0_4arch9wavefront6targetE1EEEvT1_
		.amdhsa_group_segment_fixed_size 3072
		.amdhsa_private_segment_fixed_size 0
		.amdhsa_kernarg_size 32
		.amdhsa_user_sgpr_count 6
		.amdhsa_user_sgpr_private_segment_buffer 1
		.amdhsa_user_sgpr_dispatch_ptr 0
		.amdhsa_user_sgpr_queue_ptr 0
		.amdhsa_user_sgpr_kernarg_segment_ptr 1
		.amdhsa_user_sgpr_dispatch_id 0
		.amdhsa_user_sgpr_flat_scratch_init 0
		.amdhsa_user_sgpr_kernarg_preload_length 0
		.amdhsa_user_sgpr_kernarg_preload_offset 0
		.amdhsa_user_sgpr_private_segment_size 0
		.amdhsa_uses_dynamic_stack 0
		.amdhsa_system_sgpr_private_segment_wavefront_offset 0
		.amdhsa_system_sgpr_workgroup_id_x 1
		.amdhsa_system_sgpr_workgroup_id_y 0
		.amdhsa_system_sgpr_workgroup_id_z 0
		.amdhsa_system_sgpr_workgroup_info 0
		.amdhsa_system_vgpr_workitem_id 0
		.amdhsa_next_free_vgpr 32
		.amdhsa_next_free_sgpr 56
		.amdhsa_accum_offset 32
		.amdhsa_reserve_vcc 1
		.amdhsa_reserve_flat_scratch 0
		.amdhsa_float_round_mode_32 0
		.amdhsa_float_round_mode_16_64 0
		.amdhsa_float_denorm_mode_32 3
		.amdhsa_float_denorm_mode_16_64 3
		.amdhsa_dx10_clamp 1
		.amdhsa_ieee_mode 1
		.amdhsa_fp16_overflow 0
		.amdhsa_tg_split 0
		.amdhsa_exception_fp_ieee_invalid_op 0
		.amdhsa_exception_fp_denorm_src 0
		.amdhsa_exception_fp_ieee_div_zero 0
		.amdhsa_exception_fp_ieee_overflow 0
		.amdhsa_exception_fp_ieee_underflow 0
		.amdhsa_exception_fp_ieee_inexact 0
		.amdhsa_exception_int_div_zero 0
	.end_amdhsa_kernel
	.section	.text._ZN7rocprim17ROCPRIM_400000_NS6detail17trampoline_kernelINS0_14default_configENS1_20scan_config_selectorIsEEZZNS1_9scan_implILNS1_25lookback_scan_determinismE0ELb1ELb1ES3_N6thrust23THRUST_200600_302600_NS6detail15normal_iteratorINS9_10device_ptrIsEEEESE_sNS9_4plusIvEEsEEDaPvRmT3_T4_T5_mT6_P12ihipStream_tbENKUlT_T0_E_clISt17integral_constantIbLb0EEST_IbLb1EEEEDaSP_SQ_EUlSP_E0_NS1_11comp_targetILNS1_3genE4ELNS1_11target_archE910ELNS1_3gpuE8ELNS1_3repE0EEENS1_30default_config_static_selectorELNS0_4arch9wavefront6targetE1EEEvT1_,"axG",@progbits,_ZN7rocprim17ROCPRIM_400000_NS6detail17trampoline_kernelINS0_14default_configENS1_20scan_config_selectorIsEEZZNS1_9scan_implILNS1_25lookback_scan_determinismE0ELb1ELb1ES3_N6thrust23THRUST_200600_302600_NS6detail15normal_iteratorINS9_10device_ptrIsEEEESE_sNS9_4plusIvEEsEEDaPvRmT3_T4_T5_mT6_P12ihipStream_tbENKUlT_T0_E_clISt17integral_constantIbLb0EEST_IbLb1EEEEDaSP_SQ_EUlSP_E0_NS1_11comp_targetILNS1_3genE4ELNS1_11target_archE910ELNS1_3gpuE8ELNS1_3repE0EEENS1_30default_config_static_selectorELNS0_4arch9wavefront6targetE1EEEvT1_,comdat
.Lfunc_end1044:
	.size	_ZN7rocprim17ROCPRIM_400000_NS6detail17trampoline_kernelINS0_14default_configENS1_20scan_config_selectorIsEEZZNS1_9scan_implILNS1_25lookback_scan_determinismE0ELb1ELb1ES3_N6thrust23THRUST_200600_302600_NS6detail15normal_iteratorINS9_10device_ptrIsEEEESE_sNS9_4plusIvEEsEEDaPvRmT3_T4_T5_mT6_P12ihipStream_tbENKUlT_T0_E_clISt17integral_constantIbLb0EEST_IbLb1EEEEDaSP_SQ_EUlSP_E0_NS1_11comp_targetILNS1_3genE4ELNS1_11target_archE910ELNS1_3gpuE8ELNS1_3repE0EEENS1_30default_config_static_selectorELNS0_4arch9wavefront6targetE1EEEvT1_, .Lfunc_end1044-_ZN7rocprim17ROCPRIM_400000_NS6detail17trampoline_kernelINS0_14default_configENS1_20scan_config_selectorIsEEZZNS1_9scan_implILNS1_25lookback_scan_determinismE0ELb1ELb1ES3_N6thrust23THRUST_200600_302600_NS6detail15normal_iteratorINS9_10device_ptrIsEEEESE_sNS9_4plusIvEEsEEDaPvRmT3_T4_T5_mT6_P12ihipStream_tbENKUlT_T0_E_clISt17integral_constantIbLb0EEST_IbLb1EEEEDaSP_SQ_EUlSP_E0_NS1_11comp_targetILNS1_3genE4ELNS1_11target_archE910ELNS1_3gpuE8ELNS1_3repE0EEENS1_30default_config_static_selectorELNS0_4arch9wavefront6targetE1EEEvT1_
                                        ; -- End function
	.section	.AMDGPU.csdata,"",@progbits
; Kernel info:
; codeLenInByte = 3080
; NumSgprs: 60
; NumVgprs: 32
; NumAgprs: 0
; TotalNumVgprs: 32
; ScratchSize: 0
; MemoryBound: 0
; FloatMode: 240
; IeeeMode: 1
; LDSByteSize: 3072 bytes/workgroup (compile time only)
; SGPRBlocks: 7
; VGPRBlocks: 3
; NumSGPRsForWavesPerEU: 60
; NumVGPRsForWavesPerEU: 32
; AccumOffset: 32
; Occupancy: 6
; WaveLimiterHint : 0
; COMPUTE_PGM_RSRC2:SCRATCH_EN: 0
; COMPUTE_PGM_RSRC2:USER_SGPR: 6
; COMPUTE_PGM_RSRC2:TRAP_HANDLER: 0
; COMPUTE_PGM_RSRC2:TGID_X_EN: 1
; COMPUTE_PGM_RSRC2:TGID_Y_EN: 0
; COMPUTE_PGM_RSRC2:TGID_Z_EN: 0
; COMPUTE_PGM_RSRC2:TIDIG_COMP_CNT: 0
; COMPUTE_PGM_RSRC3_GFX90A:ACCUM_OFFSET: 7
; COMPUTE_PGM_RSRC3_GFX90A:TG_SPLIT: 0
	.section	.text._ZN7rocprim17ROCPRIM_400000_NS6detail17trampoline_kernelINS0_14default_configENS1_20scan_config_selectorIsEEZZNS1_9scan_implILNS1_25lookback_scan_determinismE0ELb1ELb1ES3_N6thrust23THRUST_200600_302600_NS6detail15normal_iteratorINS9_10device_ptrIsEEEESE_sNS9_4plusIvEEsEEDaPvRmT3_T4_T5_mT6_P12ihipStream_tbENKUlT_T0_E_clISt17integral_constantIbLb0EEST_IbLb1EEEEDaSP_SQ_EUlSP_E0_NS1_11comp_targetILNS1_3genE3ELNS1_11target_archE908ELNS1_3gpuE7ELNS1_3repE0EEENS1_30default_config_static_selectorELNS0_4arch9wavefront6targetE1EEEvT1_,"axG",@progbits,_ZN7rocprim17ROCPRIM_400000_NS6detail17trampoline_kernelINS0_14default_configENS1_20scan_config_selectorIsEEZZNS1_9scan_implILNS1_25lookback_scan_determinismE0ELb1ELb1ES3_N6thrust23THRUST_200600_302600_NS6detail15normal_iteratorINS9_10device_ptrIsEEEESE_sNS9_4plusIvEEsEEDaPvRmT3_T4_T5_mT6_P12ihipStream_tbENKUlT_T0_E_clISt17integral_constantIbLb0EEST_IbLb1EEEEDaSP_SQ_EUlSP_E0_NS1_11comp_targetILNS1_3genE3ELNS1_11target_archE908ELNS1_3gpuE7ELNS1_3repE0EEENS1_30default_config_static_selectorELNS0_4arch9wavefront6targetE1EEEvT1_,comdat
	.protected	_ZN7rocprim17ROCPRIM_400000_NS6detail17trampoline_kernelINS0_14default_configENS1_20scan_config_selectorIsEEZZNS1_9scan_implILNS1_25lookback_scan_determinismE0ELb1ELb1ES3_N6thrust23THRUST_200600_302600_NS6detail15normal_iteratorINS9_10device_ptrIsEEEESE_sNS9_4plusIvEEsEEDaPvRmT3_T4_T5_mT6_P12ihipStream_tbENKUlT_T0_E_clISt17integral_constantIbLb0EEST_IbLb1EEEEDaSP_SQ_EUlSP_E0_NS1_11comp_targetILNS1_3genE3ELNS1_11target_archE908ELNS1_3gpuE7ELNS1_3repE0EEENS1_30default_config_static_selectorELNS0_4arch9wavefront6targetE1EEEvT1_ ; -- Begin function _ZN7rocprim17ROCPRIM_400000_NS6detail17trampoline_kernelINS0_14default_configENS1_20scan_config_selectorIsEEZZNS1_9scan_implILNS1_25lookback_scan_determinismE0ELb1ELb1ES3_N6thrust23THRUST_200600_302600_NS6detail15normal_iteratorINS9_10device_ptrIsEEEESE_sNS9_4plusIvEEsEEDaPvRmT3_T4_T5_mT6_P12ihipStream_tbENKUlT_T0_E_clISt17integral_constantIbLb0EEST_IbLb1EEEEDaSP_SQ_EUlSP_E0_NS1_11comp_targetILNS1_3genE3ELNS1_11target_archE908ELNS1_3gpuE7ELNS1_3repE0EEENS1_30default_config_static_selectorELNS0_4arch9wavefront6targetE1EEEvT1_
	.globl	_ZN7rocprim17ROCPRIM_400000_NS6detail17trampoline_kernelINS0_14default_configENS1_20scan_config_selectorIsEEZZNS1_9scan_implILNS1_25lookback_scan_determinismE0ELb1ELb1ES3_N6thrust23THRUST_200600_302600_NS6detail15normal_iteratorINS9_10device_ptrIsEEEESE_sNS9_4plusIvEEsEEDaPvRmT3_T4_T5_mT6_P12ihipStream_tbENKUlT_T0_E_clISt17integral_constantIbLb0EEST_IbLb1EEEEDaSP_SQ_EUlSP_E0_NS1_11comp_targetILNS1_3genE3ELNS1_11target_archE908ELNS1_3gpuE7ELNS1_3repE0EEENS1_30default_config_static_selectorELNS0_4arch9wavefront6targetE1EEEvT1_
	.p2align	8
	.type	_ZN7rocprim17ROCPRIM_400000_NS6detail17trampoline_kernelINS0_14default_configENS1_20scan_config_selectorIsEEZZNS1_9scan_implILNS1_25lookback_scan_determinismE0ELb1ELb1ES3_N6thrust23THRUST_200600_302600_NS6detail15normal_iteratorINS9_10device_ptrIsEEEESE_sNS9_4plusIvEEsEEDaPvRmT3_T4_T5_mT6_P12ihipStream_tbENKUlT_T0_E_clISt17integral_constantIbLb0EEST_IbLb1EEEEDaSP_SQ_EUlSP_E0_NS1_11comp_targetILNS1_3genE3ELNS1_11target_archE908ELNS1_3gpuE7ELNS1_3repE0EEENS1_30default_config_static_selectorELNS0_4arch9wavefront6targetE1EEEvT1_,@function
_ZN7rocprim17ROCPRIM_400000_NS6detail17trampoline_kernelINS0_14default_configENS1_20scan_config_selectorIsEEZZNS1_9scan_implILNS1_25lookback_scan_determinismE0ELb1ELb1ES3_N6thrust23THRUST_200600_302600_NS6detail15normal_iteratorINS9_10device_ptrIsEEEESE_sNS9_4plusIvEEsEEDaPvRmT3_T4_T5_mT6_P12ihipStream_tbENKUlT_T0_E_clISt17integral_constantIbLb0EEST_IbLb1EEEEDaSP_SQ_EUlSP_E0_NS1_11comp_targetILNS1_3genE3ELNS1_11target_archE908ELNS1_3gpuE7ELNS1_3repE0EEENS1_30default_config_static_selectorELNS0_4arch9wavefront6targetE1EEEvT1_: ; @_ZN7rocprim17ROCPRIM_400000_NS6detail17trampoline_kernelINS0_14default_configENS1_20scan_config_selectorIsEEZZNS1_9scan_implILNS1_25lookback_scan_determinismE0ELb1ELb1ES3_N6thrust23THRUST_200600_302600_NS6detail15normal_iteratorINS9_10device_ptrIsEEEESE_sNS9_4plusIvEEsEEDaPvRmT3_T4_T5_mT6_P12ihipStream_tbENKUlT_T0_E_clISt17integral_constantIbLb0EEST_IbLb1EEEEDaSP_SQ_EUlSP_E0_NS1_11comp_targetILNS1_3genE3ELNS1_11target_archE908ELNS1_3gpuE7ELNS1_3repE0EEENS1_30default_config_static_selectorELNS0_4arch9wavefront6targetE1EEEvT1_
; %bb.0:
	.section	.rodata,"a",@progbits
	.p2align	6, 0x0
	.amdhsa_kernel _ZN7rocprim17ROCPRIM_400000_NS6detail17trampoline_kernelINS0_14default_configENS1_20scan_config_selectorIsEEZZNS1_9scan_implILNS1_25lookback_scan_determinismE0ELb1ELb1ES3_N6thrust23THRUST_200600_302600_NS6detail15normal_iteratorINS9_10device_ptrIsEEEESE_sNS9_4plusIvEEsEEDaPvRmT3_T4_T5_mT6_P12ihipStream_tbENKUlT_T0_E_clISt17integral_constantIbLb0EEST_IbLb1EEEEDaSP_SQ_EUlSP_E0_NS1_11comp_targetILNS1_3genE3ELNS1_11target_archE908ELNS1_3gpuE7ELNS1_3repE0EEENS1_30default_config_static_selectorELNS0_4arch9wavefront6targetE1EEEvT1_
		.amdhsa_group_segment_fixed_size 0
		.amdhsa_private_segment_fixed_size 0
		.amdhsa_kernarg_size 32
		.amdhsa_user_sgpr_count 6
		.amdhsa_user_sgpr_private_segment_buffer 1
		.amdhsa_user_sgpr_dispatch_ptr 0
		.amdhsa_user_sgpr_queue_ptr 0
		.amdhsa_user_sgpr_kernarg_segment_ptr 1
		.amdhsa_user_sgpr_dispatch_id 0
		.amdhsa_user_sgpr_flat_scratch_init 0
		.amdhsa_user_sgpr_kernarg_preload_length 0
		.amdhsa_user_sgpr_kernarg_preload_offset 0
		.amdhsa_user_sgpr_private_segment_size 0
		.amdhsa_uses_dynamic_stack 0
		.amdhsa_system_sgpr_private_segment_wavefront_offset 0
		.amdhsa_system_sgpr_workgroup_id_x 1
		.amdhsa_system_sgpr_workgroup_id_y 0
		.amdhsa_system_sgpr_workgroup_id_z 0
		.amdhsa_system_sgpr_workgroup_info 0
		.amdhsa_system_vgpr_workitem_id 0
		.amdhsa_next_free_vgpr 1
		.amdhsa_next_free_sgpr 0
		.amdhsa_accum_offset 4
		.amdhsa_reserve_vcc 0
		.amdhsa_reserve_flat_scratch 0
		.amdhsa_float_round_mode_32 0
		.amdhsa_float_round_mode_16_64 0
		.amdhsa_float_denorm_mode_32 3
		.amdhsa_float_denorm_mode_16_64 3
		.amdhsa_dx10_clamp 1
		.amdhsa_ieee_mode 1
		.amdhsa_fp16_overflow 0
		.amdhsa_tg_split 0
		.amdhsa_exception_fp_ieee_invalid_op 0
		.amdhsa_exception_fp_denorm_src 0
		.amdhsa_exception_fp_ieee_div_zero 0
		.amdhsa_exception_fp_ieee_overflow 0
		.amdhsa_exception_fp_ieee_underflow 0
		.amdhsa_exception_fp_ieee_inexact 0
		.amdhsa_exception_int_div_zero 0
	.end_amdhsa_kernel
	.section	.text._ZN7rocprim17ROCPRIM_400000_NS6detail17trampoline_kernelINS0_14default_configENS1_20scan_config_selectorIsEEZZNS1_9scan_implILNS1_25lookback_scan_determinismE0ELb1ELb1ES3_N6thrust23THRUST_200600_302600_NS6detail15normal_iteratorINS9_10device_ptrIsEEEESE_sNS9_4plusIvEEsEEDaPvRmT3_T4_T5_mT6_P12ihipStream_tbENKUlT_T0_E_clISt17integral_constantIbLb0EEST_IbLb1EEEEDaSP_SQ_EUlSP_E0_NS1_11comp_targetILNS1_3genE3ELNS1_11target_archE908ELNS1_3gpuE7ELNS1_3repE0EEENS1_30default_config_static_selectorELNS0_4arch9wavefront6targetE1EEEvT1_,"axG",@progbits,_ZN7rocprim17ROCPRIM_400000_NS6detail17trampoline_kernelINS0_14default_configENS1_20scan_config_selectorIsEEZZNS1_9scan_implILNS1_25lookback_scan_determinismE0ELb1ELb1ES3_N6thrust23THRUST_200600_302600_NS6detail15normal_iteratorINS9_10device_ptrIsEEEESE_sNS9_4plusIvEEsEEDaPvRmT3_T4_T5_mT6_P12ihipStream_tbENKUlT_T0_E_clISt17integral_constantIbLb0EEST_IbLb1EEEEDaSP_SQ_EUlSP_E0_NS1_11comp_targetILNS1_3genE3ELNS1_11target_archE908ELNS1_3gpuE7ELNS1_3repE0EEENS1_30default_config_static_selectorELNS0_4arch9wavefront6targetE1EEEvT1_,comdat
.Lfunc_end1045:
	.size	_ZN7rocprim17ROCPRIM_400000_NS6detail17trampoline_kernelINS0_14default_configENS1_20scan_config_selectorIsEEZZNS1_9scan_implILNS1_25lookback_scan_determinismE0ELb1ELb1ES3_N6thrust23THRUST_200600_302600_NS6detail15normal_iteratorINS9_10device_ptrIsEEEESE_sNS9_4plusIvEEsEEDaPvRmT3_T4_T5_mT6_P12ihipStream_tbENKUlT_T0_E_clISt17integral_constantIbLb0EEST_IbLb1EEEEDaSP_SQ_EUlSP_E0_NS1_11comp_targetILNS1_3genE3ELNS1_11target_archE908ELNS1_3gpuE7ELNS1_3repE0EEENS1_30default_config_static_selectorELNS0_4arch9wavefront6targetE1EEEvT1_, .Lfunc_end1045-_ZN7rocprim17ROCPRIM_400000_NS6detail17trampoline_kernelINS0_14default_configENS1_20scan_config_selectorIsEEZZNS1_9scan_implILNS1_25lookback_scan_determinismE0ELb1ELb1ES3_N6thrust23THRUST_200600_302600_NS6detail15normal_iteratorINS9_10device_ptrIsEEEESE_sNS9_4plusIvEEsEEDaPvRmT3_T4_T5_mT6_P12ihipStream_tbENKUlT_T0_E_clISt17integral_constantIbLb0EEST_IbLb1EEEEDaSP_SQ_EUlSP_E0_NS1_11comp_targetILNS1_3genE3ELNS1_11target_archE908ELNS1_3gpuE7ELNS1_3repE0EEENS1_30default_config_static_selectorELNS0_4arch9wavefront6targetE1EEEvT1_
                                        ; -- End function
	.section	.AMDGPU.csdata,"",@progbits
; Kernel info:
; codeLenInByte = 0
; NumSgprs: 4
; NumVgprs: 0
; NumAgprs: 0
; TotalNumVgprs: 0
; ScratchSize: 0
; MemoryBound: 0
; FloatMode: 240
; IeeeMode: 1
; LDSByteSize: 0 bytes/workgroup (compile time only)
; SGPRBlocks: 0
; VGPRBlocks: 0
; NumSGPRsForWavesPerEU: 4
; NumVGPRsForWavesPerEU: 1
; AccumOffset: 4
; Occupancy: 8
; WaveLimiterHint : 0
; COMPUTE_PGM_RSRC2:SCRATCH_EN: 0
; COMPUTE_PGM_RSRC2:USER_SGPR: 6
; COMPUTE_PGM_RSRC2:TRAP_HANDLER: 0
; COMPUTE_PGM_RSRC2:TGID_X_EN: 1
; COMPUTE_PGM_RSRC2:TGID_Y_EN: 0
; COMPUTE_PGM_RSRC2:TGID_Z_EN: 0
; COMPUTE_PGM_RSRC2:TIDIG_COMP_CNT: 0
; COMPUTE_PGM_RSRC3_GFX90A:ACCUM_OFFSET: 0
; COMPUTE_PGM_RSRC3_GFX90A:TG_SPLIT: 0
	.section	.text._ZN7rocprim17ROCPRIM_400000_NS6detail17trampoline_kernelINS0_14default_configENS1_20scan_config_selectorIsEEZZNS1_9scan_implILNS1_25lookback_scan_determinismE0ELb1ELb1ES3_N6thrust23THRUST_200600_302600_NS6detail15normal_iteratorINS9_10device_ptrIsEEEESE_sNS9_4plusIvEEsEEDaPvRmT3_T4_T5_mT6_P12ihipStream_tbENKUlT_T0_E_clISt17integral_constantIbLb0EEST_IbLb1EEEEDaSP_SQ_EUlSP_E0_NS1_11comp_targetILNS1_3genE2ELNS1_11target_archE906ELNS1_3gpuE6ELNS1_3repE0EEENS1_30default_config_static_selectorELNS0_4arch9wavefront6targetE1EEEvT1_,"axG",@progbits,_ZN7rocprim17ROCPRIM_400000_NS6detail17trampoline_kernelINS0_14default_configENS1_20scan_config_selectorIsEEZZNS1_9scan_implILNS1_25lookback_scan_determinismE0ELb1ELb1ES3_N6thrust23THRUST_200600_302600_NS6detail15normal_iteratorINS9_10device_ptrIsEEEESE_sNS9_4plusIvEEsEEDaPvRmT3_T4_T5_mT6_P12ihipStream_tbENKUlT_T0_E_clISt17integral_constantIbLb0EEST_IbLb1EEEEDaSP_SQ_EUlSP_E0_NS1_11comp_targetILNS1_3genE2ELNS1_11target_archE906ELNS1_3gpuE6ELNS1_3repE0EEENS1_30default_config_static_selectorELNS0_4arch9wavefront6targetE1EEEvT1_,comdat
	.protected	_ZN7rocprim17ROCPRIM_400000_NS6detail17trampoline_kernelINS0_14default_configENS1_20scan_config_selectorIsEEZZNS1_9scan_implILNS1_25lookback_scan_determinismE0ELb1ELb1ES3_N6thrust23THRUST_200600_302600_NS6detail15normal_iteratorINS9_10device_ptrIsEEEESE_sNS9_4plusIvEEsEEDaPvRmT3_T4_T5_mT6_P12ihipStream_tbENKUlT_T0_E_clISt17integral_constantIbLb0EEST_IbLb1EEEEDaSP_SQ_EUlSP_E0_NS1_11comp_targetILNS1_3genE2ELNS1_11target_archE906ELNS1_3gpuE6ELNS1_3repE0EEENS1_30default_config_static_selectorELNS0_4arch9wavefront6targetE1EEEvT1_ ; -- Begin function _ZN7rocprim17ROCPRIM_400000_NS6detail17trampoline_kernelINS0_14default_configENS1_20scan_config_selectorIsEEZZNS1_9scan_implILNS1_25lookback_scan_determinismE0ELb1ELb1ES3_N6thrust23THRUST_200600_302600_NS6detail15normal_iteratorINS9_10device_ptrIsEEEESE_sNS9_4plusIvEEsEEDaPvRmT3_T4_T5_mT6_P12ihipStream_tbENKUlT_T0_E_clISt17integral_constantIbLb0EEST_IbLb1EEEEDaSP_SQ_EUlSP_E0_NS1_11comp_targetILNS1_3genE2ELNS1_11target_archE906ELNS1_3gpuE6ELNS1_3repE0EEENS1_30default_config_static_selectorELNS0_4arch9wavefront6targetE1EEEvT1_
	.globl	_ZN7rocprim17ROCPRIM_400000_NS6detail17trampoline_kernelINS0_14default_configENS1_20scan_config_selectorIsEEZZNS1_9scan_implILNS1_25lookback_scan_determinismE0ELb1ELb1ES3_N6thrust23THRUST_200600_302600_NS6detail15normal_iteratorINS9_10device_ptrIsEEEESE_sNS9_4plusIvEEsEEDaPvRmT3_T4_T5_mT6_P12ihipStream_tbENKUlT_T0_E_clISt17integral_constantIbLb0EEST_IbLb1EEEEDaSP_SQ_EUlSP_E0_NS1_11comp_targetILNS1_3genE2ELNS1_11target_archE906ELNS1_3gpuE6ELNS1_3repE0EEENS1_30default_config_static_selectorELNS0_4arch9wavefront6targetE1EEEvT1_
	.p2align	8
	.type	_ZN7rocprim17ROCPRIM_400000_NS6detail17trampoline_kernelINS0_14default_configENS1_20scan_config_selectorIsEEZZNS1_9scan_implILNS1_25lookback_scan_determinismE0ELb1ELb1ES3_N6thrust23THRUST_200600_302600_NS6detail15normal_iteratorINS9_10device_ptrIsEEEESE_sNS9_4plusIvEEsEEDaPvRmT3_T4_T5_mT6_P12ihipStream_tbENKUlT_T0_E_clISt17integral_constantIbLb0EEST_IbLb1EEEEDaSP_SQ_EUlSP_E0_NS1_11comp_targetILNS1_3genE2ELNS1_11target_archE906ELNS1_3gpuE6ELNS1_3repE0EEENS1_30default_config_static_selectorELNS0_4arch9wavefront6targetE1EEEvT1_,@function
_ZN7rocprim17ROCPRIM_400000_NS6detail17trampoline_kernelINS0_14default_configENS1_20scan_config_selectorIsEEZZNS1_9scan_implILNS1_25lookback_scan_determinismE0ELb1ELb1ES3_N6thrust23THRUST_200600_302600_NS6detail15normal_iteratorINS9_10device_ptrIsEEEESE_sNS9_4plusIvEEsEEDaPvRmT3_T4_T5_mT6_P12ihipStream_tbENKUlT_T0_E_clISt17integral_constantIbLb0EEST_IbLb1EEEEDaSP_SQ_EUlSP_E0_NS1_11comp_targetILNS1_3genE2ELNS1_11target_archE906ELNS1_3gpuE6ELNS1_3repE0EEENS1_30default_config_static_selectorELNS0_4arch9wavefront6targetE1EEEvT1_: ; @_ZN7rocprim17ROCPRIM_400000_NS6detail17trampoline_kernelINS0_14default_configENS1_20scan_config_selectorIsEEZZNS1_9scan_implILNS1_25lookback_scan_determinismE0ELb1ELb1ES3_N6thrust23THRUST_200600_302600_NS6detail15normal_iteratorINS9_10device_ptrIsEEEESE_sNS9_4plusIvEEsEEDaPvRmT3_T4_T5_mT6_P12ihipStream_tbENKUlT_T0_E_clISt17integral_constantIbLb0EEST_IbLb1EEEEDaSP_SQ_EUlSP_E0_NS1_11comp_targetILNS1_3genE2ELNS1_11target_archE906ELNS1_3gpuE6ELNS1_3repE0EEENS1_30default_config_static_selectorELNS0_4arch9wavefront6targetE1EEEvT1_
; %bb.0:
	.section	.rodata,"a",@progbits
	.p2align	6, 0x0
	.amdhsa_kernel _ZN7rocprim17ROCPRIM_400000_NS6detail17trampoline_kernelINS0_14default_configENS1_20scan_config_selectorIsEEZZNS1_9scan_implILNS1_25lookback_scan_determinismE0ELb1ELb1ES3_N6thrust23THRUST_200600_302600_NS6detail15normal_iteratorINS9_10device_ptrIsEEEESE_sNS9_4plusIvEEsEEDaPvRmT3_T4_T5_mT6_P12ihipStream_tbENKUlT_T0_E_clISt17integral_constantIbLb0EEST_IbLb1EEEEDaSP_SQ_EUlSP_E0_NS1_11comp_targetILNS1_3genE2ELNS1_11target_archE906ELNS1_3gpuE6ELNS1_3repE0EEENS1_30default_config_static_selectorELNS0_4arch9wavefront6targetE1EEEvT1_
		.amdhsa_group_segment_fixed_size 0
		.amdhsa_private_segment_fixed_size 0
		.amdhsa_kernarg_size 32
		.amdhsa_user_sgpr_count 6
		.amdhsa_user_sgpr_private_segment_buffer 1
		.amdhsa_user_sgpr_dispatch_ptr 0
		.amdhsa_user_sgpr_queue_ptr 0
		.amdhsa_user_sgpr_kernarg_segment_ptr 1
		.amdhsa_user_sgpr_dispatch_id 0
		.amdhsa_user_sgpr_flat_scratch_init 0
		.amdhsa_user_sgpr_kernarg_preload_length 0
		.amdhsa_user_sgpr_kernarg_preload_offset 0
		.amdhsa_user_sgpr_private_segment_size 0
		.amdhsa_uses_dynamic_stack 0
		.amdhsa_system_sgpr_private_segment_wavefront_offset 0
		.amdhsa_system_sgpr_workgroup_id_x 1
		.amdhsa_system_sgpr_workgroup_id_y 0
		.amdhsa_system_sgpr_workgroup_id_z 0
		.amdhsa_system_sgpr_workgroup_info 0
		.amdhsa_system_vgpr_workitem_id 0
		.amdhsa_next_free_vgpr 1
		.amdhsa_next_free_sgpr 0
		.amdhsa_accum_offset 4
		.amdhsa_reserve_vcc 0
		.amdhsa_reserve_flat_scratch 0
		.amdhsa_float_round_mode_32 0
		.amdhsa_float_round_mode_16_64 0
		.amdhsa_float_denorm_mode_32 3
		.amdhsa_float_denorm_mode_16_64 3
		.amdhsa_dx10_clamp 1
		.amdhsa_ieee_mode 1
		.amdhsa_fp16_overflow 0
		.amdhsa_tg_split 0
		.amdhsa_exception_fp_ieee_invalid_op 0
		.amdhsa_exception_fp_denorm_src 0
		.amdhsa_exception_fp_ieee_div_zero 0
		.amdhsa_exception_fp_ieee_overflow 0
		.amdhsa_exception_fp_ieee_underflow 0
		.amdhsa_exception_fp_ieee_inexact 0
		.amdhsa_exception_int_div_zero 0
	.end_amdhsa_kernel
	.section	.text._ZN7rocprim17ROCPRIM_400000_NS6detail17trampoline_kernelINS0_14default_configENS1_20scan_config_selectorIsEEZZNS1_9scan_implILNS1_25lookback_scan_determinismE0ELb1ELb1ES3_N6thrust23THRUST_200600_302600_NS6detail15normal_iteratorINS9_10device_ptrIsEEEESE_sNS9_4plusIvEEsEEDaPvRmT3_T4_T5_mT6_P12ihipStream_tbENKUlT_T0_E_clISt17integral_constantIbLb0EEST_IbLb1EEEEDaSP_SQ_EUlSP_E0_NS1_11comp_targetILNS1_3genE2ELNS1_11target_archE906ELNS1_3gpuE6ELNS1_3repE0EEENS1_30default_config_static_selectorELNS0_4arch9wavefront6targetE1EEEvT1_,"axG",@progbits,_ZN7rocprim17ROCPRIM_400000_NS6detail17trampoline_kernelINS0_14default_configENS1_20scan_config_selectorIsEEZZNS1_9scan_implILNS1_25lookback_scan_determinismE0ELb1ELb1ES3_N6thrust23THRUST_200600_302600_NS6detail15normal_iteratorINS9_10device_ptrIsEEEESE_sNS9_4plusIvEEsEEDaPvRmT3_T4_T5_mT6_P12ihipStream_tbENKUlT_T0_E_clISt17integral_constantIbLb0EEST_IbLb1EEEEDaSP_SQ_EUlSP_E0_NS1_11comp_targetILNS1_3genE2ELNS1_11target_archE906ELNS1_3gpuE6ELNS1_3repE0EEENS1_30default_config_static_selectorELNS0_4arch9wavefront6targetE1EEEvT1_,comdat
.Lfunc_end1046:
	.size	_ZN7rocprim17ROCPRIM_400000_NS6detail17trampoline_kernelINS0_14default_configENS1_20scan_config_selectorIsEEZZNS1_9scan_implILNS1_25lookback_scan_determinismE0ELb1ELb1ES3_N6thrust23THRUST_200600_302600_NS6detail15normal_iteratorINS9_10device_ptrIsEEEESE_sNS9_4plusIvEEsEEDaPvRmT3_T4_T5_mT6_P12ihipStream_tbENKUlT_T0_E_clISt17integral_constantIbLb0EEST_IbLb1EEEEDaSP_SQ_EUlSP_E0_NS1_11comp_targetILNS1_3genE2ELNS1_11target_archE906ELNS1_3gpuE6ELNS1_3repE0EEENS1_30default_config_static_selectorELNS0_4arch9wavefront6targetE1EEEvT1_, .Lfunc_end1046-_ZN7rocprim17ROCPRIM_400000_NS6detail17trampoline_kernelINS0_14default_configENS1_20scan_config_selectorIsEEZZNS1_9scan_implILNS1_25lookback_scan_determinismE0ELb1ELb1ES3_N6thrust23THRUST_200600_302600_NS6detail15normal_iteratorINS9_10device_ptrIsEEEESE_sNS9_4plusIvEEsEEDaPvRmT3_T4_T5_mT6_P12ihipStream_tbENKUlT_T0_E_clISt17integral_constantIbLb0EEST_IbLb1EEEEDaSP_SQ_EUlSP_E0_NS1_11comp_targetILNS1_3genE2ELNS1_11target_archE906ELNS1_3gpuE6ELNS1_3repE0EEENS1_30default_config_static_selectorELNS0_4arch9wavefront6targetE1EEEvT1_
                                        ; -- End function
	.section	.AMDGPU.csdata,"",@progbits
; Kernel info:
; codeLenInByte = 0
; NumSgprs: 4
; NumVgprs: 0
; NumAgprs: 0
; TotalNumVgprs: 0
; ScratchSize: 0
; MemoryBound: 0
; FloatMode: 240
; IeeeMode: 1
; LDSByteSize: 0 bytes/workgroup (compile time only)
; SGPRBlocks: 0
; VGPRBlocks: 0
; NumSGPRsForWavesPerEU: 4
; NumVGPRsForWavesPerEU: 1
; AccumOffset: 4
; Occupancy: 8
; WaveLimiterHint : 0
; COMPUTE_PGM_RSRC2:SCRATCH_EN: 0
; COMPUTE_PGM_RSRC2:USER_SGPR: 6
; COMPUTE_PGM_RSRC2:TRAP_HANDLER: 0
; COMPUTE_PGM_RSRC2:TGID_X_EN: 1
; COMPUTE_PGM_RSRC2:TGID_Y_EN: 0
; COMPUTE_PGM_RSRC2:TGID_Z_EN: 0
; COMPUTE_PGM_RSRC2:TIDIG_COMP_CNT: 0
; COMPUTE_PGM_RSRC3_GFX90A:ACCUM_OFFSET: 0
; COMPUTE_PGM_RSRC3_GFX90A:TG_SPLIT: 0
	.section	.text._ZN7rocprim17ROCPRIM_400000_NS6detail17trampoline_kernelINS0_14default_configENS1_20scan_config_selectorIsEEZZNS1_9scan_implILNS1_25lookback_scan_determinismE0ELb1ELb1ES3_N6thrust23THRUST_200600_302600_NS6detail15normal_iteratorINS9_10device_ptrIsEEEESE_sNS9_4plusIvEEsEEDaPvRmT3_T4_T5_mT6_P12ihipStream_tbENKUlT_T0_E_clISt17integral_constantIbLb0EEST_IbLb1EEEEDaSP_SQ_EUlSP_E0_NS1_11comp_targetILNS1_3genE10ELNS1_11target_archE1201ELNS1_3gpuE5ELNS1_3repE0EEENS1_30default_config_static_selectorELNS0_4arch9wavefront6targetE1EEEvT1_,"axG",@progbits,_ZN7rocprim17ROCPRIM_400000_NS6detail17trampoline_kernelINS0_14default_configENS1_20scan_config_selectorIsEEZZNS1_9scan_implILNS1_25lookback_scan_determinismE0ELb1ELb1ES3_N6thrust23THRUST_200600_302600_NS6detail15normal_iteratorINS9_10device_ptrIsEEEESE_sNS9_4plusIvEEsEEDaPvRmT3_T4_T5_mT6_P12ihipStream_tbENKUlT_T0_E_clISt17integral_constantIbLb0EEST_IbLb1EEEEDaSP_SQ_EUlSP_E0_NS1_11comp_targetILNS1_3genE10ELNS1_11target_archE1201ELNS1_3gpuE5ELNS1_3repE0EEENS1_30default_config_static_selectorELNS0_4arch9wavefront6targetE1EEEvT1_,comdat
	.protected	_ZN7rocprim17ROCPRIM_400000_NS6detail17trampoline_kernelINS0_14default_configENS1_20scan_config_selectorIsEEZZNS1_9scan_implILNS1_25lookback_scan_determinismE0ELb1ELb1ES3_N6thrust23THRUST_200600_302600_NS6detail15normal_iteratorINS9_10device_ptrIsEEEESE_sNS9_4plusIvEEsEEDaPvRmT3_T4_T5_mT6_P12ihipStream_tbENKUlT_T0_E_clISt17integral_constantIbLb0EEST_IbLb1EEEEDaSP_SQ_EUlSP_E0_NS1_11comp_targetILNS1_3genE10ELNS1_11target_archE1201ELNS1_3gpuE5ELNS1_3repE0EEENS1_30default_config_static_selectorELNS0_4arch9wavefront6targetE1EEEvT1_ ; -- Begin function _ZN7rocprim17ROCPRIM_400000_NS6detail17trampoline_kernelINS0_14default_configENS1_20scan_config_selectorIsEEZZNS1_9scan_implILNS1_25lookback_scan_determinismE0ELb1ELb1ES3_N6thrust23THRUST_200600_302600_NS6detail15normal_iteratorINS9_10device_ptrIsEEEESE_sNS9_4plusIvEEsEEDaPvRmT3_T4_T5_mT6_P12ihipStream_tbENKUlT_T0_E_clISt17integral_constantIbLb0EEST_IbLb1EEEEDaSP_SQ_EUlSP_E0_NS1_11comp_targetILNS1_3genE10ELNS1_11target_archE1201ELNS1_3gpuE5ELNS1_3repE0EEENS1_30default_config_static_selectorELNS0_4arch9wavefront6targetE1EEEvT1_
	.globl	_ZN7rocprim17ROCPRIM_400000_NS6detail17trampoline_kernelINS0_14default_configENS1_20scan_config_selectorIsEEZZNS1_9scan_implILNS1_25lookback_scan_determinismE0ELb1ELb1ES3_N6thrust23THRUST_200600_302600_NS6detail15normal_iteratorINS9_10device_ptrIsEEEESE_sNS9_4plusIvEEsEEDaPvRmT3_T4_T5_mT6_P12ihipStream_tbENKUlT_T0_E_clISt17integral_constantIbLb0EEST_IbLb1EEEEDaSP_SQ_EUlSP_E0_NS1_11comp_targetILNS1_3genE10ELNS1_11target_archE1201ELNS1_3gpuE5ELNS1_3repE0EEENS1_30default_config_static_selectorELNS0_4arch9wavefront6targetE1EEEvT1_
	.p2align	8
	.type	_ZN7rocprim17ROCPRIM_400000_NS6detail17trampoline_kernelINS0_14default_configENS1_20scan_config_selectorIsEEZZNS1_9scan_implILNS1_25lookback_scan_determinismE0ELb1ELb1ES3_N6thrust23THRUST_200600_302600_NS6detail15normal_iteratorINS9_10device_ptrIsEEEESE_sNS9_4plusIvEEsEEDaPvRmT3_T4_T5_mT6_P12ihipStream_tbENKUlT_T0_E_clISt17integral_constantIbLb0EEST_IbLb1EEEEDaSP_SQ_EUlSP_E0_NS1_11comp_targetILNS1_3genE10ELNS1_11target_archE1201ELNS1_3gpuE5ELNS1_3repE0EEENS1_30default_config_static_selectorELNS0_4arch9wavefront6targetE1EEEvT1_,@function
_ZN7rocprim17ROCPRIM_400000_NS6detail17trampoline_kernelINS0_14default_configENS1_20scan_config_selectorIsEEZZNS1_9scan_implILNS1_25lookback_scan_determinismE0ELb1ELb1ES3_N6thrust23THRUST_200600_302600_NS6detail15normal_iteratorINS9_10device_ptrIsEEEESE_sNS9_4plusIvEEsEEDaPvRmT3_T4_T5_mT6_P12ihipStream_tbENKUlT_T0_E_clISt17integral_constantIbLb0EEST_IbLb1EEEEDaSP_SQ_EUlSP_E0_NS1_11comp_targetILNS1_3genE10ELNS1_11target_archE1201ELNS1_3gpuE5ELNS1_3repE0EEENS1_30default_config_static_selectorELNS0_4arch9wavefront6targetE1EEEvT1_: ; @_ZN7rocprim17ROCPRIM_400000_NS6detail17trampoline_kernelINS0_14default_configENS1_20scan_config_selectorIsEEZZNS1_9scan_implILNS1_25lookback_scan_determinismE0ELb1ELb1ES3_N6thrust23THRUST_200600_302600_NS6detail15normal_iteratorINS9_10device_ptrIsEEEESE_sNS9_4plusIvEEsEEDaPvRmT3_T4_T5_mT6_P12ihipStream_tbENKUlT_T0_E_clISt17integral_constantIbLb0EEST_IbLb1EEEEDaSP_SQ_EUlSP_E0_NS1_11comp_targetILNS1_3genE10ELNS1_11target_archE1201ELNS1_3gpuE5ELNS1_3repE0EEENS1_30default_config_static_selectorELNS0_4arch9wavefront6targetE1EEEvT1_
; %bb.0:
	.section	.rodata,"a",@progbits
	.p2align	6, 0x0
	.amdhsa_kernel _ZN7rocprim17ROCPRIM_400000_NS6detail17trampoline_kernelINS0_14default_configENS1_20scan_config_selectorIsEEZZNS1_9scan_implILNS1_25lookback_scan_determinismE0ELb1ELb1ES3_N6thrust23THRUST_200600_302600_NS6detail15normal_iteratorINS9_10device_ptrIsEEEESE_sNS9_4plusIvEEsEEDaPvRmT3_T4_T5_mT6_P12ihipStream_tbENKUlT_T0_E_clISt17integral_constantIbLb0EEST_IbLb1EEEEDaSP_SQ_EUlSP_E0_NS1_11comp_targetILNS1_3genE10ELNS1_11target_archE1201ELNS1_3gpuE5ELNS1_3repE0EEENS1_30default_config_static_selectorELNS0_4arch9wavefront6targetE1EEEvT1_
		.amdhsa_group_segment_fixed_size 0
		.amdhsa_private_segment_fixed_size 0
		.amdhsa_kernarg_size 32
		.amdhsa_user_sgpr_count 6
		.amdhsa_user_sgpr_private_segment_buffer 1
		.amdhsa_user_sgpr_dispatch_ptr 0
		.amdhsa_user_sgpr_queue_ptr 0
		.amdhsa_user_sgpr_kernarg_segment_ptr 1
		.amdhsa_user_sgpr_dispatch_id 0
		.amdhsa_user_sgpr_flat_scratch_init 0
		.amdhsa_user_sgpr_kernarg_preload_length 0
		.amdhsa_user_sgpr_kernarg_preload_offset 0
		.amdhsa_user_sgpr_private_segment_size 0
		.amdhsa_uses_dynamic_stack 0
		.amdhsa_system_sgpr_private_segment_wavefront_offset 0
		.amdhsa_system_sgpr_workgroup_id_x 1
		.amdhsa_system_sgpr_workgroup_id_y 0
		.amdhsa_system_sgpr_workgroup_id_z 0
		.amdhsa_system_sgpr_workgroup_info 0
		.amdhsa_system_vgpr_workitem_id 0
		.amdhsa_next_free_vgpr 1
		.amdhsa_next_free_sgpr 0
		.amdhsa_accum_offset 4
		.amdhsa_reserve_vcc 0
		.amdhsa_reserve_flat_scratch 0
		.amdhsa_float_round_mode_32 0
		.amdhsa_float_round_mode_16_64 0
		.amdhsa_float_denorm_mode_32 3
		.amdhsa_float_denorm_mode_16_64 3
		.amdhsa_dx10_clamp 1
		.amdhsa_ieee_mode 1
		.amdhsa_fp16_overflow 0
		.amdhsa_tg_split 0
		.amdhsa_exception_fp_ieee_invalid_op 0
		.amdhsa_exception_fp_denorm_src 0
		.amdhsa_exception_fp_ieee_div_zero 0
		.amdhsa_exception_fp_ieee_overflow 0
		.amdhsa_exception_fp_ieee_underflow 0
		.amdhsa_exception_fp_ieee_inexact 0
		.amdhsa_exception_int_div_zero 0
	.end_amdhsa_kernel
	.section	.text._ZN7rocprim17ROCPRIM_400000_NS6detail17trampoline_kernelINS0_14default_configENS1_20scan_config_selectorIsEEZZNS1_9scan_implILNS1_25lookback_scan_determinismE0ELb1ELb1ES3_N6thrust23THRUST_200600_302600_NS6detail15normal_iteratorINS9_10device_ptrIsEEEESE_sNS9_4plusIvEEsEEDaPvRmT3_T4_T5_mT6_P12ihipStream_tbENKUlT_T0_E_clISt17integral_constantIbLb0EEST_IbLb1EEEEDaSP_SQ_EUlSP_E0_NS1_11comp_targetILNS1_3genE10ELNS1_11target_archE1201ELNS1_3gpuE5ELNS1_3repE0EEENS1_30default_config_static_selectorELNS0_4arch9wavefront6targetE1EEEvT1_,"axG",@progbits,_ZN7rocprim17ROCPRIM_400000_NS6detail17trampoline_kernelINS0_14default_configENS1_20scan_config_selectorIsEEZZNS1_9scan_implILNS1_25lookback_scan_determinismE0ELb1ELb1ES3_N6thrust23THRUST_200600_302600_NS6detail15normal_iteratorINS9_10device_ptrIsEEEESE_sNS9_4plusIvEEsEEDaPvRmT3_T4_T5_mT6_P12ihipStream_tbENKUlT_T0_E_clISt17integral_constantIbLb0EEST_IbLb1EEEEDaSP_SQ_EUlSP_E0_NS1_11comp_targetILNS1_3genE10ELNS1_11target_archE1201ELNS1_3gpuE5ELNS1_3repE0EEENS1_30default_config_static_selectorELNS0_4arch9wavefront6targetE1EEEvT1_,comdat
.Lfunc_end1047:
	.size	_ZN7rocprim17ROCPRIM_400000_NS6detail17trampoline_kernelINS0_14default_configENS1_20scan_config_selectorIsEEZZNS1_9scan_implILNS1_25lookback_scan_determinismE0ELb1ELb1ES3_N6thrust23THRUST_200600_302600_NS6detail15normal_iteratorINS9_10device_ptrIsEEEESE_sNS9_4plusIvEEsEEDaPvRmT3_T4_T5_mT6_P12ihipStream_tbENKUlT_T0_E_clISt17integral_constantIbLb0EEST_IbLb1EEEEDaSP_SQ_EUlSP_E0_NS1_11comp_targetILNS1_3genE10ELNS1_11target_archE1201ELNS1_3gpuE5ELNS1_3repE0EEENS1_30default_config_static_selectorELNS0_4arch9wavefront6targetE1EEEvT1_, .Lfunc_end1047-_ZN7rocprim17ROCPRIM_400000_NS6detail17trampoline_kernelINS0_14default_configENS1_20scan_config_selectorIsEEZZNS1_9scan_implILNS1_25lookback_scan_determinismE0ELb1ELb1ES3_N6thrust23THRUST_200600_302600_NS6detail15normal_iteratorINS9_10device_ptrIsEEEESE_sNS9_4plusIvEEsEEDaPvRmT3_T4_T5_mT6_P12ihipStream_tbENKUlT_T0_E_clISt17integral_constantIbLb0EEST_IbLb1EEEEDaSP_SQ_EUlSP_E0_NS1_11comp_targetILNS1_3genE10ELNS1_11target_archE1201ELNS1_3gpuE5ELNS1_3repE0EEENS1_30default_config_static_selectorELNS0_4arch9wavefront6targetE1EEEvT1_
                                        ; -- End function
	.section	.AMDGPU.csdata,"",@progbits
; Kernel info:
; codeLenInByte = 0
; NumSgprs: 4
; NumVgprs: 0
; NumAgprs: 0
; TotalNumVgprs: 0
; ScratchSize: 0
; MemoryBound: 0
; FloatMode: 240
; IeeeMode: 1
; LDSByteSize: 0 bytes/workgroup (compile time only)
; SGPRBlocks: 0
; VGPRBlocks: 0
; NumSGPRsForWavesPerEU: 4
; NumVGPRsForWavesPerEU: 1
; AccumOffset: 4
; Occupancy: 8
; WaveLimiterHint : 0
; COMPUTE_PGM_RSRC2:SCRATCH_EN: 0
; COMPUTE_PGM_RSRC2:USER_SGPR: 6
; COMPUTE_PGM_RSRC2:TRAP_HANDLER: 0
; COMPUTE_PGM_RSRC2:TGID_X_EN: 1
; COMPUTE_PGM_RSRC2:TGID_Y_EN: 0
; COMPUTE_PGM_RSRC2:TGID_Z_EN: 0
; COMPUTE_PGM_RSRC2:TIDIG_COMP_CNT: 0
; COMPUTE_PGM_RSRC3_GFX90A:ACCUM_OFFSET: 0
; COMPUTE_PGM_RSRC3_GFX90A:TG_SPLIT: 0
	.section	.text._ZN7rocprim17ROCPRIM_400000_NS6detail17trampoline_kernelINS0_14default_configENS1_20scan_config_selectorIsEEZZNS1_9scan_implILNS1_25lookback_scan_determinismE0ELb1ELb1ES3_N6thrust23THRUST_200600_302600_NS6detail15normal_iteratorINS9_10device_ptrIsEEEESE_sNS9_4plusIvEEsEEDaPvRmT3_T4_T5_mT6_P12ihipStream_tbENKUlT_T0_E_clISt17integral_constantIbLb0EEST_IbLb1EEEEDaSP_SQ_EUlSP_E0_NS1_11comp_targetILNS1_3genE10ELNS1_11target_archE1200ELNS1_3gpuE4ELNS1_3repE0EEENS1_30default_config_static_selectorELNS0_4arch9wavefront6targetE1EEEvT1_,"axG",@progbits,_ZN7rocprim17ROCPRIM_400000_NS6detail17trampoline_kernelINS0_14default_configENS1_20scan_config_selectorIsEEZZNS1_9scan_implILNS1_25lookback_scan_determinismE0ELb1ELb1ES3_N6thrust23THRUST_200600_302600_NS6detail15normal_iteratorINS9_10device_ptrIsEEEESE_sNS9_4plusIvEEsEEDaPvRmT3_T4_T5_mT6_P12ihipStream_tbENKUlT_T0_E_clISt17integral_constantIbLb0EEST_IbLb1EEEEDaSP_SQ_EUlSP_E0_NS1_11comp_targetILNS1_3genE10ELNS1_11target_archE1200ELNS1_3gpuE4ELNS1_3repE0EEENS1_30default_config_static_selectorELNS0_4arch9wavefront6targetE1EEEvT1_,comdat
	.protected	_ZN7rocprim17ROCPRIM_400000_NS6detail17trampoline_kernelINS0_14default_configENS1_20scan_config_selectorIsEEZZNS1_9scan_implILNS1_25lookback_scan_determinismE0ELb1ELb1ES3_N6thrust23THRUST_200600_302600_NS6detail15normal_iteratorINS9_10device_ptrIsEEEESE_sNS9_4plusIvEEsEEDaPvRmT3_T4_T5_mT6_P12ihipStream_tbENKUlT_T0_E_clISt17integral_constantIbLb0EEST_IbLb1EEEEDaSP_SQ_EUlSP_E0_NS1_11comp_targetILNS1_3genE10ELNS1_11target_archE1200ELNS1_3gpuE4ELNS1_3repE0EEENS1_30default_config_static_selectorELNS0_4arch9wavefront6targetE1EEEvT1_ ; -- Begin function _ZN7rocprim17ROCPRIM_400000_NS6detail17trampoline_kernelINS0_14default_configENS1_20scan_config_selectorIsEEZZNS1_9scan_implILNS1_25lookback_scan_determinismE0ELb1ELb1ES3_N6thrust23THRUST_200600_302600_NS6detail15normal_iteratorINS9_10device_ptrIsEEEESE_sNS9_4plusIvEEsEEDaPvRmT3_T4_T5_mT6_P12ihipStream_tbENKUlT_T0_E_clISt17integral_constantIbLb0EEST_IbLb1EEEEDaSP_SQ_EUlSP_E0_NS1_11comp_targetILNS1_3genE10ELNS1_11target_archE1200ELNS1_3gpuE4ELNS1_3repE0EEENS1_30default_config_static_selectorELNS0_4arch9wavefront6targetE1EEEvT1_
	.globl	_ZN7rocprim17ROCPRIM_400000_NS6detail17trampoline_kernelINS0_14default_configENS1_20scan_config_selectorIsEEZZNS1_9scan_implILNS1_25lookback_scan_determinismE0ELb1ELb1ES3_N6thrust23THRUST_200600_302600_NS6detail15normal_iteratorINS9_10device_ptrIsEEEESE_sNS9_4plusIvEEsEEDaPvRmT3_T4_T5_mT6_P12ihipStream_tbENKUlT_T0_E_clISt17integral_constantIbLb0EEST_IbLb1EEEEDaSP_SQ_EUlSP_E0_NS1_11comp_targetILNS1_3genE10ELNS1_11target_archE1200ELNS1_3gpuE4ELNS1_3repE0EEENS1_30default_config_static_selectorELNS0_4arch9wavefront6targetE1EEEvT1_
	.p2align	8
	.type	_ZN7rocprim17ROCPRIM_400000_NS6detail17trampoline_kernelINS0_14default_configENS1_20scan_config_selectorIsEEZZNS1_9scan_implILNS1_25lookback_scan_determinismE0ELb1ELb1ES3_N6thrust23THRUST_200600_302600_NS6detail15normal_iteratorINS9_10device_ptrIsEEEESE_sNS9_4plusIvEEsEEDaPvRmT3_T4_T5_mT6_P12ihipStream_tbENKUlT_T0_E_clISt17integral_constantIbLb0EEST_IbLb1EEEEDaSP_SQ_EUlSP_E0_NS1_11comp_targetILNS1_3genE10ELNS1_11target_archE1200ELNS1_3gpuE4ELNS1_3repE0EEENS1_30default_config_static_selectorELNS0_4arch9wavefront6targetE1EEEvT1_,@function
_ZN7rocprim17ROCPRIM_400000_NS6detail17trampoline_kernelINS0_14default_configENS1_20scan_config_selectorIsEEZZNS1_9scan_implILNS1_25lookback_scan_determinismE0ELb1ELb1ES3_N6thrust23THRUST_200600_302600_NS6detail15normal_iteratorINS9_10device_ptrIsEEEESE_sNS9_4plusIvEEsEEDaPvRmT3_T4_T5_mT6_P12ihipStream_tbENKUlT_T0_E_clISt17integral_constantIbLb0EEST_IbLb1EEEEDaSP_SQ_EUlSP_E0_NS1_11comp_targetILNS1_3genE10ELNS1_11target_archE1200ELNS1_3gpuE4ELNS1_3repE0EEENS1_30default_config_static_selectorELNS0_4arch9wavefront6targetE1EEEvT1_: ; @_ZN7rocprim17ROCPRIM_400000_NS6detail17trampoline_kernelINS0_14default_configENS1_20scan_config_selectorIsEEZZNS1_9scan_implILNS1_25lookback_scan_determinismE0ELb1ELb1ES3_N6thrust23THRUST_200600_302600_NS6detail15normal_iteratorINS9_10device_ptrIsEEEESE_sNS9_4plusIvEEsEEDaPvRmT3_T4_T5_mT6_P12ihipStream_tbENKUlT_T0_E_clISt17integral_constantIbLb0EEST_IbLb1EEEEDaSP_SQ_EUlSP_E0_NS1_11comp_targetILNS1_3genE10ELNS1_11target_archE1200ELNS1_3gpuE4ELNS1_3repE0EEENS1_30default_config_static_selectorELNS0_4arch9wavefront6targetE1EEEvT1_
; %bb.0:
	.section	.rodata,"a",@progbits
	.p2align	6, 0x0
	.amdhsa_kernel _ZN7rocprim17ROCPRIM_400000_NS6detail17trampoline_kernelINS0_14default_configENS1_20scan_config_selectorIsEEZZNS1_9scan_implILNS1_25lookback_scan_determinismE0ELb1ELb1ES3_N6thrust23THRUST_200600_302600_NS6detail15normal_iteratorINS9_10device_ptrIsEEEESE_sNS9_4plusIvEEsEEDaPvRmT3_T4_T5_mT6_P12ihipStream_tbENKUlT_T0_E_clISt17integral_constantIbLb0EEST_IbLb1EEEEDaSP_SQ_EUlSP_E0_NS1_11comp_targetILNS1_3genE10ELNS1_11target_archE1200ELNS1_3gpuE4ELNS1_3repE0EEENS1_30default_config_static_selectorELNS0_4arch9wavefront6targetE1EEEvT1_
		.amdhsa_group_segment_fixed_size 0
		.amdhsa_private_segment_fixed_size 0
		.amdhsa_kernarg_size 32
		.amdhsa_user_sgpr_count 6
		.amdhsa_user_sgpr_private_segment_buffer 1
		.amdhsa_user_sgpr_dispatch_ptr 0
		.amdhsa_user_sgpr_queue_ptr 0
		.amdhsa_user_sgpr_kernarg_segment_ptr 1
		.amdhsa_user_sgpr_dispatch_id 0
		.amdhsa_user_sgpr_flat_scratch_init 0
		.amdhsa_user_sgpr_kernarg_preload_length 0
		.amdhsa_user_sgpr_kernarg_preload_offset 0
		.amdhsa_user_sgpr_private_segment_size 0
		.amdhsa_uses_dynamic_stack 0
		.amdhsa_system_sgpr_private_segment_wavefront_offset 0
		.amdhsa_system_sgpr_workgroup_id_x 1
		.amdhsa_system_sgpr_workgroup_id_y 0
		.amdhsa_system_sgpr_workgroup_id_z 0
		.amdhsa_system_sgpr_workgroup_info 0
		.amdhsa_system_vgpr_workitem_id 0
		.amdhsa_next_free_vgpr 1
		.amdhsa_next_free_sgpr 0
		.amdhsa_accum_offset 4
		.amdhsa_reserve_vcc 0
		.amdhsa_reserve_flat_scratch 0
		.amdhsa_float_round_mode_32 0
		.amdhsa_float_round_mode_16_64 0
		.amdhsa_float_denorm_mode_32 3
		.amdhsa_float_denorm_mode_16_64 3
		.amdhsa_dx10_clamp 1
		.amdhsa_ieee_mode 1
		.amdhsa_fp16_overflow 0
		.amdhsa_tg_split 0
		.amdhsa_exception_fp_ieee_invalid_op 0
		.amdhsa_exception_fp_denorm_src 0
		.amdhsa_exception_fp_ieee_div_zero 0
		.amdhsa_exception_fp_ieee_overflow 0
		.amdhsa_exception_fp_ieee_underflow 0
		.amdhsa_exception_fp_ieee_inexact 0
		.amdhsa_exception_int_div_zero 0
	.end_amdhsa_kernel
	.section	.text._ZN7rocprim17ROCPRIM_400000_NS6detail17trampoline_kernelINS0_14default_configENS1_20scan_config_selectorIsEEZZNS1_9scan_implILNS1_25lookback_scan_determinismE0ELb1ELb1ES3_N6thrust23THRUST_200600_302600_NS6detail15normal_iteratorINS9_10device_ptrIsEEEESE_sNS9_4plusIvEEsEEDaPvRmT3_T4_T5_mT6_P12ihipStream_tbENKUlT_T0_E_clISt17integral_constantIbLb0EEST_IbLb1EEEEDaSP_SQ_EUlSP_E0_NS1_11comp_targetILNS1_3genE10ELNS1_11target_archE1200ELNS1_3gpuE4ELNS1_3repE0EEENS1_30default_config_static_selectorELNS0_4arch9wavefront6targetE1EEEvT1_,"axG",@progbits,_ZN7rocprim17ROCPRIM_400000_NS6detail17trampoline_kernelINS0_14default_configENS1_20scan_config_selectorIsEEZZNS1_9scan_implILNS1_25lookback_scan_determinismE0ELb1ELb1ES3_N6thrust23THRUST_200600_302600_NS6detail15normal_iteratorINS9_10device_ptrIsEEEESE_sNS9_4plusIvEEsEEDaPvRmT3_T4_T5_mT6_P12ihipStream_tbENKUlT_T0_E_clISt17integral_constantIbLb0EEST_IbLb1EEEEDaSP_SQ_EUlSP_E0_NS1_11comp_targetILNS1_3genE10ELNS1_11target_archE1200ELNS1_3gpuE4ELNS1_3repE0EEENS1_30default_config_static_selectorELNS0_4arch9wavefront6targetE1EEEvT1_,comdat
.Lfunc_end1048:
	.size	_ZN7rocprim17ROCPRIM_400000_NS6detail17trampoline_kernelINS0_14default_configENS1_20scan_config_selectorIsEEZZNS1_9scan_implILNS1_25lookback_scan_determinismE0ELb1ELb1ES3_N6thrust23THRUST_200600_302600_NS6detail15normal_iteratorINS9_10device_ptrIsEEEESE_sNS9_4plusIvEEsEEDaPvRmT3_T4_T5_mT6_P12ihipStream_tbENKUlT_T0_E_clISt17integral_constantIbLb0EEST_IbLb1EEEEDaSP_SQ_EUlSP_E0_NS1_11comp_targetILNS1_3genE10ELNS1_11target_archE1200ELNS1_3gpuE4ELNS1_3repE0EEENS1_30default_config_static_selectorELNS0_4arch9wavefront6targetE1EEEvT1_, .Lfunc_end1048-_ZN7rocprim17ROCPRIM_400000_NS6detail17trampoline_kernelINS0_14default_configENS1_20scan_config_selectorIsEEZZNS1_9scan_implILNS1_25lookback_scan_determinismE0ELb1ELb1ES3_N6thrust23THRUST_200600_302600_NS6detail15normal_iteratorINS9_10device_ptrIsEEEESE_sNS9_4plusIvEEsEEDaPvRmT3_T4_T5_mT6_P12ihipStream_tbENKUlT_T0_E_clISt17integral_constantIbLb0EEST_IbLb1EEEEDaSP_SQ_EUlSP_E0_NS1_11comp_targetILNS1_3genE10ELNS1_11target_archE1200ELNS1_3gpuE4ELNS1_3repE0EEENS1_30default_config_static_selectorELNS0_4arch9wavefront6targetE1EEEvT1_
                                        ; -- End function
	.section	.AMDGPU.csdata,"",@progbits
; Kernel info:
; codeLenInByte = 0
; NumSgprs: 4
; NumVgprs: 0
; NumAgprs: 0
; TotalNumVgprs: 0
; ScratchSize: 0
; MemoryBound: 0
; FloatMode: 240
; IeeeMode: 1
; LDSByteSize: 0 bytes/workgroup (compile time only)
; SGPRBlocks: 0
; VGPRBlocks: 0
; NumSGPRsForWavesPerEU: 4
; NumVGPRsForWavesPerEU: 1
; AccumOffset: 4
; Occupancy: 8
; WaveLimiterHint : 0
; COMPUTE_PGM_RSRC2:SCRATCH_EN: 0
; COMPUTE_PGM_RSRC2:USER_SGPR: 6
; COMPUTE_PGM_RSRC2:TRAP_HANDLER: 0
; COMPUTE_PGM_RSRC2:TGID_X_EN: 1
; COMPUTE_PGM_RSRC2:TGID_Y_EN: 0
; COMPUTE_PGM_RSRC2:TGID_Z_EN: 0
; COMPUTE_PGM_RSRC2:TIDIG_COMP_CNT: 0
; COMPUTE_PGM_RSRC3_GFX90A:ACCUM_OFFSET: 0
; COMPUTE_PGM_RSRC3_GFX90A:TG_SPLIT: 0
	.section	.text._ZN7rocprim17ROCPRIM_400000_NS6detail17trampoline_kernelINS0_14default_configENS1_20scan_config_selectorIsEEZZNS1_9scan_implILNS1_25lookback_scan_determinismE0ELb1ELb1ES3_N6thrust23THRUST_200600_302600_NS6detail15normal_iteratorINS9_10device_ptrIsEEEESE_sNS9_4plusIvEEsEEDaPvRmT3_T4_T5_mT6_P12ihipStream_tbENKUlT_T0_E_clISt17integral_constantIbLb0EEST_IbLb1EEEEDaSP_SQ_EUlSP_E0_NS1_11comp_targetILNS1_3genE9ELNS1_11target_archE1100ELNS1_3gpuE3ELNS1_3repE0EEENS1_30default_config_static_selectorELNS0_4arch9wavefront6targetE1EEEvT1_,"axG",@progbits,_ZN7rocprim17ROCPRIM_400000_NS6detail17trampoline_kernelINS0_14default_configENS1_20scan_config_selectorIsEEZZNS1_9scan_implILNS1_25lookback_scan_determinismE0ELb1ELb1ES3_N6thrust23THRUST_200600_302600_NS6detail15normal_iteratorINS9_10device_ptrIsEEEESE_sNS9_4plusIvEEsEEDaPvRmT3_T4_T5_mT6_P12ihipStream_tbENKUlT_T0_E_clISt17integral_constantIbLb0EEST_IbLb1EEEEDaSP_SQ_EUlSP_E0_NS1_11comp_targetILNS1_3genE9ELNS1_11target_archE1100ELNS1_3gpuE3ELNS1_3repE0EEENS1_30default_config_static_selectorELNS0_4arch9wavefront6targetE1EEEvT1_,comdat
	.protected	_ZN7rocprim17ROCPRIM_400000_NS6detail17trampoline_kernelINS0_14default_configENS1_20scan_config_selectorIsEEZZNS1_9scan_implILNS1_25lookback_scan_determinismE0ELb1ELb1ES3_N6thrust23THRUST_200600_302600_NS6detail15normal_iteratorINS9_10device_ptrIsEEEESE_sNS9_4plusIvEEsEEDaPvRmT3_T4_T5_mT6_P12ihipStream_tbENKUlT_T0_E_clISt17integral_constantIbLb0EEST_IbLb1EEEEDaSP_SQ_EUlSP_E0_NS1_11comp_targetILNS1_3genE9ELNS1_11target_archE1100ELNS1_3gpuE3ELNS1_3repE0EEENS1_30default_config_static_selectorELNS0_4arch9wavefront6targetE1EEEvT1_ ; -- Begin function _ZN7rocprim17ROCPRIM_400000_NS6detail17trampoline_kernelINS0_14default_configENS1_20scan_config_selectorIsEEZZNS1_9scan_implILNS1_25lookback_scan_determinismE0ELb1ELb1ES3_N6thrust23THRUST_200600_302600_NS6detail15normal_iteratorINS9_10device_ptrIsEEEESE_sNS9_4plusIvEEsEEDaPvRmT3_T4_T5_mT6_P12ihipStream_tbENKUlT_T0_E_clISt17integral_constantIbLb0EEST_IbLb1EEEEDaSP_SQ_EUlSP_E0_NS1_11comp_targetILNS1_3genE9ELNS1_11target_archE1100ELNS1_3gpuE3ELNS1_3repE0EEENS1_30default_config_static_selectorELNS0_4arch9wavefront6targetE1EEEvT1_
	.globl	_ZN7rocprim17ROCPRIM_400000_NS6detail17trampoline_kernelINS0_14default_configENS1_20scan_config_selectorIsEEZZNS1_9scan_implILNS1_25lookback_scan_determinismE0ELb1ELb1ES3_N6thrust23THRUST_200600_302600_NS6detail15normal_iteratorINS9_10device_ptrIsEEEESE_sNS9_4plusIvEEsEEDaPvRmT3_T4_T5_mT6_P12ihipStream_tbENKUlT_T0_E_clISt17integral_constantIbLb0EEST_IbLb1EEEEDaSP_SQ_EUlSP_E0_NS1_11comp_targetILNS1_3genE9ELNS1_11target_archE1100ELNS1_3gpuE3ELNS1_3repE0EEENS1_30default_config_static_selectorELNS0_4arch9wavefront6targetE1EEEvT1_
	.p2align	8
	.type	_ZN7rocprim17ROCPRIM_400000_NS6detail17trampoline_kernelINS0_14default_configENS1_20scan_config_selectorIsEEZZNS1_9scan_implILNS1_25lookback_scan_determinismE0ELb1ELb1ES3_N6thrust23THRUST_200600_302600_NS6detail15normal_iteratorINS9_10device_ptrIsEEEESE_sNS9_4plusIvEEsEEDaPvRmT3_T4_T5_mT6_P12ihipStream_tbENKUlT_T0_E_clISt17integral_constantIbLb0EEST_IbLb1EEEEDaSP_SQ_EUlSP_E0_NS1_11comp_targetILNS1_3genE9ELNS1_11target_archE1100ELNS1_3gpuE3ELNS1_3repE0EEENS1_30default_config_static_selectorELNS0_4arch9wavefront6targetE1EEEvT1_,@function
_ZN7rocprim17ROCPRIM_400000_NS6detail17trampoline_kernelINS0_14default_configENS1_20scan_config_selectorIsEEZZNS1_9scan_implILNS1_25lookback_scan_determinismE0ELb1ELb1ES3_N6thrust23THRUST_200600_302600_NS6detail15normal_iteratorINS9_10device_ptrIsEEEESE_sNS9_4plusIvEEsEEDaPvRmT3_T4_T5_mT6_P12ihipStream_tbENKUlT_T0_E_clISt17integral_constantIbLb0EEST_IbLb1EEEEDaSP_SQ_EUlSP_E0_NS1_11comp_targetILNS1_3genE9ELNS1_11target_archE1100ELNS1_3gpuE3ELNS1_3repE0EEENS1_30default_config_static_selectorELNS0_4arch9wavefront6targetE1EEEvT1_: ; @_ZN7rocprim17ROCPRIM_400000_NS6detail17trampoline_kernelINS0_14default_configENS1_20scan_config_selectorIsEEZZNS1_9scan_implILNS1_25lookback_scan_determinismE0ELb1ELb1ES3_N6thrust23THRUST_200600_302600_NS6detail15normal_iteratorINS9_10device_ptrIsEEEESE_sNS9_4plusIvEEsEEDaPvRmT3_T4_T5_mT6_P12ihipStream_tbENKUlT_T0_E_clISt17integral_constantIbLb0EEST_IbLb1EEEEDaSP_SQ_EUlSP_E0_NS1_11comp_targetILNS1_3genE9ELNS1_11target_archE1100ELNS1_3gpuE3ELNS1_3repE0EEENS1_30default_config_static_selectorELNS0_4arch9wavefront6targetE1EEEvT1_
; %bb.0:
	.section	.rodata,"a",@progbits
	.p2align	6, 0x0
	.amdhsa_kernel _ZN7rocprim17ROCPRIM_400000_NS6detail17trampoline_kernelINS0_14default_configENS1_20scan_config_selectorIsEEZZNS1_9scan_implILNS1_25lookback_scan_determinismE0ELb1ELb1ES3_N6thrust23THRUST_200600_302600_NS6detail15normal_iteratorINS9_10device_ptrIsEEEESE_sNS9_4plusIvEEsEEDaPvRmT3_T4_T5_mT6_P12ihipStream_tbENKUlT_T0_E_clISt17integral_constantIbLb0EEST_IbLb1EEEEDaSP_SQ_EUlSP_E0_NS1_11comp_targetILNS1_3genE9ELNS1_11target_archE1100ELNS1_3gpuE3ELNS1_3repE0EEENS1_30default_config_static_selectorELNS0_4arch9wavefront6targetE1EEEvT1_
		.amdhsa_group_segment_fixed_size 0
		.amdhsa_private_segment_fixed_size 0
		.amdhsa_kernarg_size 32
		.amdhsa_user_sgpr_count 6
		.amdhsa_user_sgpr_private_segment_buffer 1
		.amdhsa_user_sgpr_dispatch_ptr 0
		.amdhsa_user_sgpr_queue_ptr 0
		.amdhsa_user_sgpr_kernarg_segment_ptr 1
		.amdhsa_user_sgpr_dispatch_id 0
		.amdhsa_user_sgpr_flat_scratch_init 0
		.amdhsa_user_sgpr_kernarg_preload_length 0
		.amdhsa_user_sgpr_kernarg_preload_offset 0
		.amdhsa_user_sgpr_private_segment_size 0
		.amdhsa_uses_dynamic_stack 0
		.amdhsa_system_sgpr_private_segment_wavefront_offset 0
		.amdhsa_system_sgpr_workgroup_id_x 1
		.amdhsa_system_sgpr_workgroup_id_y 0
		.amdhsa_system_sgpr_workgroup_id_z 0
		.amdhsa_system_sgpr_workgroup_info 0
		.amdhsa_system_vgpr_workitem_id 0
		.amdhsa_next_free_vgpr 1
		.amdhsa_next_free_sgpr 0
		.amdhsa_accum_offset 4
		.amdhsa_reserve_vcc 0
		.amdhsa_reserve_flat_scratch 0
		.amdhsa_float_round_mode_32 0
		.amdhsa_float_round_mode_16_64 0
		.amdhsa_float_denorm_mode_32 3
		.amdhsa_float_denorm_mode_16_64 3
		.amdhsa_dx10_clamp 1
		.amdhsa_ieee_mode 1
		.amdhsa_fp16_overflow 0
		.amdhsa_tg_split 0
		.amdhsa_exception_fp_ieee_invalid_op 0
		.amdhsa_exception_fp_denorm_src 0
		.amdhsa_exception_fp_ieee_div_zero 0
		.amdhsa_exception_fp_ieee_overflow 0
		.amdhsa_exception_fp_ieee_underflow 0
		.amdhsa_exception_fp_ieee_inexact 0
		.amdhsa_exception_int_div_zero 0
	.end_amdhsa_kernel
	.section	.text._ZN7rocprim17ROCPRIM_400000_NS6detail17trampoline_kernelINS0_14default_configENS1_20scan_config_selectorIsEEZZNS1_9scan_implILNS1_25lookback_scan_determinismE0ELb1ELb1ES3_N6thrust23THRUST_200600_302600_NS6detail15normal_iteratorINS9_10device_ptrIsEEEESE_sNS9_4plusIvEEsEEDaPvRmT3_T4_T5_mT6_P12ihipStream_tbENKUlT_T0_E_clISt17integral_constantIbLb0EEST_IbLb1EEEEDaSP_SQ_EUlSP_E0_NS1_11comp_targetILNS1_3genE9ELNS1_11target_archE1100ELNS1_3gpuE3ELNS1_3repE0EEENS1_30default_config_static_selectorELNS0_4arch9wavefront6targetE1EEEvT1_,"axG",@progbits,_ZN7rocprim17ROCPRIM_400000_NS6detail17trampoline_kernelINS0_14default_configENS1_20scan_config_selectorIsEEZZNS1_9scan_implILNS1_25lookback_scan_determinismE0ELb1ELb1ES3_N6thrust23THRUST_200600_302600_NS6detail15normal_iteratorINS9_10device_ptrIsEEEESE_sNS9_4plusIvEEsEEDaPvRmT3_T4_T5_mT6_P12ihipStream_tbENKUlT_T0_E_clISt17integral_constantIbLb0EEST_IbLb1EEEEDaSP_SQ_EUlSP_E0_NS1_11comp_targetILNS1_3genE9ELNS1_11target_archE1100ELNS1_3gpuE3ELNS1_3repE0EEENS1_30default_config_static_selectorELNS0_4arch9wavefront6targetE1EEEvT1_,comdat
.Lfunc_end1049:
	.size	_ZN7rocprim17ROCPRIM_400000_NS6detail17trampoline_kernelINS0_14default_configENS1_20scan_config_selectorIsEEZZNS1_9scan_implILNS1_25lookback_scan_determinismE0ELb1ELb1ES3_N6thrust23THRUST_200600_302600_NS6detail15normal_iteratorINS9_10device_ptrIsEEEESE_sNS9_4plusIvEEsEEDaPvRmT3_T4_T5_mT6_P12ihipStream_tbENKUlT_T0_E_clISt17integral_constantIbLb0EEST_IbLb1EEEEDaSP_SQ_EUlSP_E0_NS1_11comp_targetILNS1_3genE9ELNS1_11target_archE1100ELNS1_3gpuE3ELNS1_3repE0EEENS1_30default_config_static_selectorELNS0_4arch9wavefront6targetE1EEEvT1_, .Lfunc_end1049-_ZN7rocprim17ROCPRIM_400000_NS6detail17trampoline_kernelINS0_14default_configENS1_20scan_config_selectorIsEEZZNS1_9scan_implILNS1_25lookback_scan_determinismE0ELb1ELb1ES3_N6thrust23THRUST_200600_302600_NS6detail15normal_iteratorINS9_10device_ptrIsEEEESE_sNS9_4plusIvEEsEEDaPvRmT3_T4_T5_mT6_P12ihipStream_tbENKUlT_T0_E_clISt17integral_constantIbLb0EEST_IbLb1EEEEDaSP_SQ_EUlSP_E0_NS1_11comp_targetILNS1_3genE9ELNS1_11target_archE1100ELNS1_3gpuE3ELNS1_3repE0EEENS1_30default_config_static_selectorELNS0_4arch9wavefront6targetE1EEEvT1_
                                        ; -- End function
	.section	.AMDGPU.csdata,"",@progbits
; Kernel info:
; codeLenInByte = 0
; NumSgprs: 4
; NumVgprs: 0
; NumAgprs: 0
; TotalNumVgprs: 0
; ScratchSize: 0
; MemoryBound: 0
; FloatMode: 240
; IeeeMode: 1
; LDSByteSize: 0 bytes/workgroup (compile time only)
; SGPRBlocks: 0
; VGPRBlocks: 0
; NumSGPRsForWavesPerEU: 4
; NumVGPRsForWavesPerEU: 1
; AccumOffset: 4
; Occupancy: 8
; WaveLimiterHint : 0
; COMPUTE_PGM_RSRC2:SCRATCH_EN: 0
; COMPUTE_PGM_RSRC2:USER_SGPR: 6
; COMPUTE_PGM_RSRC2:TRAP_HANDLER: 0
; COMPUTE_PGM_RSRC2:TGID_X_EN: 1
; COMPUTE_PGM_RSRC2:TGID_Y_EN: 0
; COMPUTE_PGM_RSRC2:TGID_Z_EN: 0
; COMPUTE_PGM_RSRC2:TIDIG_COMP_CNT: 0
; COMPUTE_PGM_RSRC3_GFX90A:ACCUM_OFFSET: 0
; COMPUTE_PGM_RSRC3_GFX90A:TG_SPLIT: 0
	.section	.text._ZN7rocprim17ROCPRIM_400000_NS6detail17trampoline_kernelINS0_14default_configENS1_20scan_config_selectorIsEEZZNS1_9scan_implILNS1_25lookback_scan_determinismE0ELb1ELb1ES3_N6thrust23THRUST_200600_302600_NS6detail15normal_iteratorINS9_10device_ptrIsEEEESE_sNS9_4plusIvEEsEEDaPvRmT3_T4_T5_mT6_P12ihipStream_tbENKUlT_T0_E_clISt17integral_constantIbLb0EEST_IbLb1EEEEDaSP_SQ_EUlSP_E0_NS1_11comp_targetILNS1_3genE8ELNS1_11target_archE1030ELNS1_3gpuE2ELNS1_3repE0EEENS1_30default_config_static_selectorELNS0_4arch9wavefront6targetE1EEEvT1_,"axG",@progbits,_ZN7rocprim17ROCPRIM_400000_NS6detail17trampoline_kernelINS0_14default_configENS1_20scan_config_selectorIsEEZZNS1_9scan_implILNS1_25lookback_scan_determinismE0ELb1ELb1ES3_N6thrust23THRUST_200600_302600_NS6detail15normal_iteratorINS9_10device_ptrIsEEEESE_sNS9_4plusIvEEsEEDaPvRmT3_T4_T5_mT6_P12ihipStream_tbENKUlT_T0_E_clISt17integral_constantIbLb0EEST_IbLb1EEEEDaSP_SQ_EUlSP_E0_NS1_11comp_targetILNS1_3genE8ELNS1_11target_archE1030ELNS1_3gpuE2ELNS1_3repE0EEENS1_30default_config_static_selectorELNS0_4arch9wavefront6targetE1EEEvT1_,comdat
	.protected	_ZN7rocprim17ROCPRIM_400000_NS6detail17trampoline_kernelINS0_14default_configENS1_20scan_config_selectorIsEEZZNS1_9scan_implILNS1_25lookback_scan_determinismE0ELb1ELb1ES3_N6thrust23THRUST_200600_302600_NS6detail15normal_iteratorINS9_10device_ptrIsEEEESE_sNS9_4plusIvEEsEEDaPvRmT3_T4_T5_mT6_P12ihipStream_tbENKUlT_T0_E_clISt17integral_constantIbLb0EEST_IbLb1EEEEDaSP_SQ_EUlSP_E0_NS1_11comp_targetILNS1_3genE8ELNS1_11target_archE1030ELNS1_3gpuE2ELNS1_3repE0EEENS1_30default_config_static_selectorELNS0_4arch9wavefront6targetE1EEEvT1_ ; -- Begin function _ZN7rocprim17ROCPRIM_400000_NS6detail17trampoline_kernelINS0_14default_configENS1_20scan_config_selectorIsEEZZNS1_9scan_implILNS1_25lookback_scan_determinismE0ELb1ELb1ES3_N6thrust23THRUST_200600_302600_NS6detail15normal_iteratorINS9_10device_ptrIsEEEESE_sNS9_4plusIvEEsEEDaPvRmT3_T4_T5_mT6_P12ihipStream_tbENKUlT_T0_E_clISt17integral_constantIbLb0EEST_IbLb1EEEEDaSP_SQ_EUlSP_E0_NS1_11comp_targetILNS1_3genE8ELNS1_11target_archE1030ELNS1_3gpuE2ELNS1_3repE0EEENS1_30default_config_static_selectorELNS0_4arch9wavefront6targetE1EEEvT1_
	.globl	_ZN7rocprim17ROCPRIM_400000_NS6detail17trampoline_kernelINS0_14default_configENS1_20scan_config_selectorIsEEZZNS1_9scan_implILNS1_25lookback_scan_determinismE0ELb1ELb1ES3_N6thrust23THRUST_200600_302600_NS6detail15normal_iteratorINS9_10device_ptrIsEEEESE_sNS9_4plusIvEEsEEDaPvRmT3_T4_T5_mT6_P12ihipStream_tbENKUlT_T0_E_clISt17integral_constantIbLb0EEST_IbLb1EEEEDaSP_SQ_EUlSP_E0_NS1_11comp_targetILNS1_3genE8ELNS1_11target_archE1030ELNS1_3gpuE2ELNS1_3repE0EEENS1_30default_config_static_selectorELNS0_4arch9wavefront6targetE1EEEvT1_
	.p2align	8
	.type	_ZN7rocprim17ROCPRIM_400000_NS6detail17trampoline_kernelINS0_14default_configENS1_20scan_config_selectorIsEEZZNS1_9scan_implILNS1_25lookback_scan_determinismE0ELb1ELb1ES3_N6thrust23THRUST_200600_302600_NS6detail15normal_iteratorINS9_10device_ptrIsEEEESE_sNS9_4plusIvEEsEEDaPvRmT3_T4_T5_mT6_P12ihipStream_tbENKUlT_T0_E_clISt17integral_constantIbLb0EEST_IbLb1EEEEDaSP_SQ_EUlSP_E0_NS1_11comp_targetILNS1_3genE8ELNS1_11target_archE1030ELNS1_3gpuE2ELNS1_3repE0EEENS1_30default_config_static_selectorELNS0_4arch9wavefront6targetE1EEEvT1_,@function
_ZN7rocprim17ROCPRIM_400000_NS6detail17trampoline_kernelINS0_14default_configENS1_20scan_config_selectorIsEEZZNS1_9scan_implILNS1_25lookback_scan_determinismE0ELb1ELb1ES3_N6thrust23THRUST_200600_302600_NS6detail15normal_iteratorINS9_10device_ptrIsEEEESE_sNS9_4plusIvEEsEEDaPvRmT3_T4_T5_mT6_P12ihipStream_tbENKUlT_T0_E_clISt17integral_constantIbLb0EEST_IbLb1EEEEDaSP_SQ_EUlSP_E0_NS1_11comp_targetILNS1_3genE8ELNS1_11target_archE1030ELNS1_3gpuE2ELNS1_3repE0EEENS1_30default_config_static_selectorELNS0_4arch9wavefront6targetE1EEEvT1_: ; @_ZN7rocprim17ROCPRIM_400000_NS6detail17trampoline_kernelINS0_14default_configENS1_20scan_config_selectorIsEEZZNS1_9scan_implILNS1_25lookback_scan_determinismE0ELb1ELb1ES3_N6thrust23THRUST_200600_302600_NS6detail15normal_iteratorINS9_10device_ptrIsEEEESE_sNS9_4plusIvEEsEEDaPvRmT3_T4_T5_mT6_P12ihipStream_tbENKUlT_T0_E_clISt17integral_constantIbLb0EEST_IbLb1EEEEDaSP_SQ_EUlSP_E0_NS1_11comp_targetILNS1_3genE8ELNS1_11target_archE1030ELNS1_3gpuE2ELNS1_3repE0EEENS1_30default_config_static_selectorELNS0_4arch9wavefront6targetE1EEEvT1_
; %bb.0:
	.section	.rodata,"a",@progbits
	.p2align	6, 0x0
	.amdhsa_kernel _ZN7rocprim17ROCPRIM_400000_NS6detail17trampoline_kernelINS0_14default_configENS1_20scan_config_selectorIsEEZZNS1_9scan_implILNS1_25lookback_scan_determinismE0ELb1ELb1ES3_N6thrust23THRUST_200600_302600_NS6detail15normal_iteratorINS9_10device_ptrIsEEEESE_sNS9_4plusIvEEsEEDaPvRmT3_T4_T5_mT6_P12ihipStream_tbENKUlT_T0_E_clISt17integral_constantIbLb0EEST_IbLb1EEEEDaSP_SQ_EUlSP_E0_NS1_11comp_targetILNS1_3genE8ELNS1_11target_archE1030ELNS1_3gpuE2ELNS1_3repE0EEENS1_30default_config_static_selectorELNS0_4arch9wavefront6targetE1EEEvT1_
		.amdhsa_group_segment_fixed_size 0
		.amdhsa_private_segment_fixed_size 0
		.amdhsa_kernarg_size 32
		.amdhsa_user_sgpr_count 6
		.amdhsa_user_sgpr_private_segment_buffer 1
		.amdhsa_user_sgpr_dispatch_ptr 0
		.amdhsa_user_sgpr_queue_ptr 0
		.amdhsa_user_sgpr_kernarg_segment_ptr 1
		.amdhsa_user_sgpr_dispatch_id 0
		.amdhsa_user_sgpr_flat_scratch_init 0
		.amdhsa_user_sgpr_kernarg_preload_length 0
		.amdhsa_user_sgpr_kernarg_preload_offset 0
		.amdhsa_user_sgpr_private_segment_size 0
		.amdhsa_uses_dynamic_stack 0
		.amdhsa_system_sgpr_private_segment_wavefront_offset 0
		.amdhsa_system_sgpr_workgroup_id_x 1
		.amdhsa_system_sgpr_workgroup_id_y 0
		.amdhsa_system_sgpr_workgroup_id_z 0
		.amdhsa_system_sgpr_workgroup_info 0
		.amdhsa_system_vgpr_workitem_id 0
		.amdhsa_next_free_vgpr 1
		.amdhsa_next_free_sgpr 0
		.amdhsa_accum_offset 4
		.amdhsa_reserve_vcc 0
		.amdhsa_reserve_flat_scratch 0
		.amdhsa_float_round_mode_32 0
		.amdhsa_float_round_mode_16_64 0
		.amdhsa_float_denorm_mode_32 3
		.amdhsa_float_denorm_mode_16_64 3
		.amdhsa_dx10_clamp 1
		.amdhsa_ieee_mode 1
		.amdhsa_fp16_overflow 0
		.amdhsa_tg_split 0
		.amdhsa_exception_fp_ieee_invalid_op 0
		.amdhsa_exception_fp_denorm_src 0
		.amdhsa_exception_fp_ieee_div_zero 0
		.amdhsa_exception_fp_ieee_overflow 0
		.amdhsa_exception_fp_ieee_underflow 0
		.amdhsa_exception_fp_ieee_inexact 0
		.amdhsa_exception_int_div_zero 0
	.end_amdhsa_kernel
	.section	.text._ZN7rocprim17ROCPRIM_400000_NS6detail17trampoline_kernelINS0_14default_configENS1_20scan_config_selectorIsEEZZNS1_9scan_implILNS1_25lookback_scan_determinismE0ELb1ELb1ES3_N6thrust23THRUST_200600_302600_NS6detail15normal_iteratorINS9_10device_ptrIsEEEESE_sNS9_4plusIvEEsEEDaPvRmT3_T4_T5_mT6_P12ihipStream_tbENKUlT_T0_E_clISt17integral_constantIbLb0EEST_IbLb1EEEEDaSP_SQ_EUlSP_E0_NS1_11comp_targetILNS1_3genE8ELNS1_11target_archE1030ELNS1_3gpuE2ELNS1_3repE0EEENS1_30default_config_static_selectorELNS0_4arch9wavefront6targetE1EEEvT1_,"axG",@progbits,_ZN7rocprim17ROCPRIM_400000_NS6detail17trampoline_kernelINS0_14default_configENS1_20scan_config_selectorIsEEZZNS1_9scan_implILNS1_25lookback_scan_determinismE0ELb1ELb1ES3_N6thrust23THRUST_200600_302600_NS6detail15normal_iteratorINS9_10device_ptrIsEEEESE_sNS9_4plusIvEEsEEDaPvRmT3_T4_T5_mT6_P12ihipStream_tbENKUlT_T0_E_clISt17integral_constantIbLb0EEST_IbLb1EEEEDaSP_SQ_EUlSP_E0_NS1_11comp_targetILNS1_3genE8ELNS1_11target_archE1030ELNS1_3gpuE2ELNS1_3repE0EEENS1_30default_config_static_selectorELNS0_4arch9wavefront6targetE1EEEvT1_,comdat
.Lfunc_end1050:
	.size	_ZN7rocprim17ROCPRIM_400000_NS6detail17trampoline_kernelINS0_14default_configENS1_20scan_config_selectorIsEEZZNS1_9scan_implILNS1_25lookback_scan_determinismE0ELb1ELb1ES3_N6thrust23THRUST_200600_302600_NS6detail15normal_iteratorINS9_10device_ptrIsEEEESE_sNS9_4plusIvEEsEEDaPvRmT3_T4_T5_mT6_P12ihipStream_tbENKUlT_T0_E_clISt17integral_constantIbLb0EEST_IbLb1EEEEDaSP_SQ_EUlSP_E0_NS1_11comp_targetILNS1_3genE8ELNS1_11target_archE1030ELNS1_3gpuE2ELNS1_3repE0EEENS1_30default_config_static_selectorELNS0_4arch9wavefront6targetE1EEEvT1_, .Lfunc_end1050-_ZN7rocprim17ROCPRIM_400000_NS6detail17trampoline_kernelINS0_14default_configENS1_20scan_config_selectorIsEEZZNS1_9scan_implILNS1_25lookback_scan_determinismE0ELb1ELb1ES3_N6thrust23THRUST_200600_302600_NS6detail15normal_iteratorINS9_10device_ptrIsEEEESE_sNS9_4plusIvEEsEEDaPvRmT3_T4_T5_mT6_P12ihipStream_tbENKUlT_T0_E_clISt17integral_constantIbLb0EEST_IbLb1EEEEDaSP_SQ_EUlSP_E0_NS1_11comp_targetILNS1_3genE8ELNS1_11target_archE1030ELNS1_3gpuE2ELNS1_3repE0EEENS1_30default_config_static_selectorELNS0_4arch9wavefront6targetE1EEEvT1_
                                        ; -- End function
	.section	.AMDGPU.csdata,"",@progbits
; Kernel info:
; codeLenInByte = 0
; NumSgprs: 4
; NumVgprs: 0
; NumAgprs: 0
; TotalNumVgprs: 0
; ScratchSize: 0
; MemoryBound: 0
; FloatMode: 240
; IeeeMode: 1
; LDSByteSize: 0 bytes/workgroup (compile time only)
; SGPRBlocks: 0
; VGPRBlocks: 0
; NumSGPRsForWavesPerEU: 4
; NumVGPRsForWavesPerEU: 1
; AccumOffset: 4
; Occupancy: 8
; WaveLimiterHint : 0
; COMPUTE_PGM_RSRC2:SCRATCH_EN: 0
; COMPUTE_PGM_RSRC2:USER_SGPR: 6
; COMPUTE_PGM_RSRC2:TRAP_HANDLER: 0
; COMPUTE_PGM_RSRC2:TGID_X_EN: 1
; COMPUTE_PGM_RSRC2:TGID_Y_EN: 0
; COMPUTE_PGM_RSRC2:TGID_Z_EN: 0
; COMPUTE_PGM_RSRC2:TIDIG_COMP_CNT: 0
; COMPUTE_PGM_RSRC3_GFX90A:ACCUM_OFFSET: 0
; COMPUTE_PGM_RSRC3_GFX90A:TG_SPLIT: 0
	.section	.text._ZN7rocprim17ROCPRIM_400000_NS6detail17trampoline_kernelINS0_14default_configENS1_20scan_config_selectorIsEEZZNS1_9scan_implILNS1_25lookback_scan_determinismE0ELb0ELb0ES3_N6thrust23THRUST_200600_302600_NS6detail15normal_iteratorINS9_10device_ptrIsEEEESE_sNS9_4plusIsEEsEEDaPvRmT3_T4_T5_mT6_P12ihipStream_tbENKUlT_T0_E_clISt17integral_constantIbLb0EESU_EEDaSP_SQ_EUlSP_E_NS1_11comp_targetILNS1_3genE0ELNS1_11target_archE4294967295ELNS1_3gpuE0ELNS1_3repE0EEENS1_30default_config_static_selectorELNS0_4arch9wavefront6targetE1EEEvT1_,"axG",@progbits,_ZN7rocprim17ROCPRIM_400000_NS6detail17trampoline_kernelINS0_14default_configENS1_20scan_config_selectorIsEEZZNS1_9scan_implILNS1_25lookback_scan_determinismE0ELb0ELb0ES3_N6thrust23THRUST_200600_302600_NS6detail15normal_iteratorINS9_10device_ptrIsEEEESE_sNS9_4plusIsEEsEEDaPvRmT3_T4_T5_mT6_P12ihipStream_tbENKUlT_T0_E_clISt17integral_constantIbLb0EESU_EEDaSP_SQ_EUlSP_E_NS1_11comp_targetILNS1_3genE0ELNS1_11target_archE4294967295ELNS1_3gpuE0ELNS1_3repE0EEENS1_30default_config_static_selectorELNS0_4arch9wavefront6targetE1EEEvT1_,comdat
	.protected	_ZN7rocprim17ROCPRIM_400000_NS6detail17trampoline_kernelINS0_14default_configENS1_20scan_config_selectorIsEEZZNS1_9scan_implILNS1_25lookback_scan_determinismE0ELb0ELb0ES3_N6thrust23THRUST_200600_302600_NS6detail15normal_iteratorINS9_10device_ptrIsEEEESE_sNS9_4plusIsEEsEEDaPvRmT3_T4_T5_mT6_P12ihipStream_tbENKUlT_T0_E_clISt17integral_constantIbLb0EESU_EEDaSP_SQ_EUlSP_E_NS1_11comp_targetILNS1_3genE0ELNS1_11target_archE4294967295ELNS1_3gpuE0ELNS1_3repE0EEENS1_30default_config_static_selectorELNS0_4arch9wavefront6targetE1EEEvT1_ ; -- Begin function _ZN7rocprim17ROCPRIM_400000_NS6detail17trampoline_kernelINS0_14default_configENS1_20scan_config_selectorIsEEZZNS1_9scan_implILNS1_25lookback_scan_determinismE0ELb0ELb0ES3_N6thrust23THRUST_200600_302600_NS6detail15normal_iteratorINS9_10device_ptrIsEEEESE_sNS9_4plusIsEEsEEDaPvRmT3_T4_T5_mT6_P12ihipStream_tbENKUlT_T0_E_clISt17integral_constantIbLb0EESU_EEDaSP_SQ_EUlSP_E_NS1_11comp_targetILNS1_3genE0ELNS1_11target_archE4294967295ELNS1_3gpuE0ELNS1_3repE0EEENS1_30default_config_static_selectorELNS0_4arch9wavefront6targetE1EEEvT1_
	.globl	_ZN7rocprim17ROCPRIM_400000_NS6detail17trampoline_kernelINS0_14default_configENS1_20scan_config_selectorIsEEZZNS1_9scan_implILNS1_25lookback_scan_determinismE0ELb0ELb0ES3_N6thrust23THRUST_200600_302600_NS6detail15normal_iteratorINS9_10device_ptrIsEEEESE_sNS9_4plusIsEEsEEDaPvRmT3_T4_T5_mT6_P12ihipStream_tbENKUlT_T0_E_clISt17integral_constantIbLb0EESU_EEDaSP_SQ_EUlSP_E_NS1_11comp_targetILNS1_3genE0ELNS1_11target_archE4294967295ELNS1_3gpuE0ELNS1_3repE0EEENS1_30default_config_static_selectorELNS0_4arch9wavefront6targetE1EEEvT1_
	.p2align	8
	.type	_ZN7rocprim17ROCPRIM_400000_NS6detail17trampoline_kernelINS0_14default_configENS1_20scan_config_selectorIsEEZZNS1_9scan_implILNS1_25lookback_scan_determinismE0ELb0ELb0ES3_N6thrust23THRUST_200600_302600_NS6detail15normal_iteratorINS9_10device_ptrIsEEEESE_sNS9_4plusIsEEsEEDaPvRmT3_T4_T5_mT6_P12ihipStream_tbENKUlT_T0_E_clISt17integral_constantIbLb0EESU_EEDaSP_SQ_EUlSP_E_NS1_11comp_targetILNS1_3genE0ELNS1_11target_archE4294967295ELNS1_3gpuE0ELNS1_3repE0EEENS1_30default_config_static_selectorELNS0_4arch9wavefront6targetE1EEEvT1_,@function
_ZN7rocprim17ROCPRIM_400000_NS6detail17trampoline_kernelINS0_14default_configENS1_20scan_config_selectorIsEEZZNS1_9scan_implILNS1_25lookback_scan_determinismE0ELb0ELb0ES3_N6thrust23THRUST_200600_302600_NS6detail15normal_iteratorINS9_10device_ptrIsEEEESE_sNS9_4plusIsEEsEEDaPvRmT3_T4_T5_mT6_P12ihipStream_tbENKUlT_T0_E_clISt17integral_constantIbLb0EESU_EEDaSP_SQ_EUlSP_E_NS1_11comp_targetILNS1_3genE0ELNS1_11target_archE4294967295ELNS1_3gpuE0ELNS1_3repE0EEENS1_30default_config_static_selectorELNS0_4arch9wavefront6targetE1EEEvT1_: ; @_ZN7rocprim17ROCPRIM_400000_NS6detail17trampoline_kernelINS0_14default_configENS1_20scan_config_selectorIsEEZZNS1_9scan_implILNS1_25lookback_scan_determinismE0ELb0ELb0ES3_N6thrust23THRUST_200600_302600_NS6detail15normal_iteratorINS9_10device_ptrIsEEEESE_sNS9_4plusIsEEsEEDaPvRmT3_T4_T5_mT6_P12ihipStream_tbENKUlT_T0_E_clISt17integral_constantIbLb0EESU_EEDaSP_SQ_EUlSP_E_NS1_11comp_targetILNS1_3genE0ELNS1_11target_archE4294967295ELNS1_3gpuE0ELNS1_3repE0EEENS1_30default_config_static_selectorELNS0_4arch9wavefront6targetE1EEEvT1_
; %bb.0:
	.section	.rodata,"a",@progbits
	.p2align	6, 0x0
	.amdhsa_kernel _ZN7rocprim17ROCPRIM_400000_NS6detail17trampoline_kernelINS0_14default_configENS1_20scan_config_selectorIsEEZZNS1_9scan_implILNS1_25lookback_scan_determinismE0ELb0ELb0ES3_N6thrust23THRUST_200600_302600_NS6detail15normal_iteratorINS9_10device_ptrIsEEEESE_sNS9_4plusIsEEsEEDaPvRmT3_T4_T5_mT6_P12ihipStream_tbENKUlT_T0_E_clISt17integral_constantIbLb0EESU_EEDaSP_SQ_EUlSP_E_NS1_11comp_targetILNS1_3genE0ELNS1_11target_archE4294967295ELNS1_3gpuE0ELNS1_3repE0EEENS1_30default_config_static_selectorELNS0_4arch9wavefront6targetE1EEEvT1_
		.amdhsa_group_segment_fixed_size 0
		.amdhsa_private_segment_fixed_size 0
		.amdhsa_kernarg_size 96
		.amdhsa_user_sgpr_count 6
		.amdhsa_user_sgpr_private_segment_buffer 1
		.amdhsa_user_sgpr_dispatch_ptr 0
		.amdhsa_user_sgpr_queue_ptr 0
		.amdhsa_user_sgpr_kernarg_segment_ptr 1
		.amdhsa_user_sgpr_dispatch_id 0
		.amdhsa_user_sgpr_flat_scratch_init 0
		.amdhsa_user_sgpr_kernarg_preload_length 0
		.amdhsa_user_sgpr_kernarg_preload_offset 0
		.amdhsa_user_sgpr_private_segment_size 0
		.amdhsa_uses_dynamic_stack 0
		.amdhsa_system_sgpr_private_segment_wavefront_offset 0
		.amdhsa_system_sgpr_workgroup_id_x 1
		.amdhsa_system_sgpr_workgroup_id_y 0
		.amdhsa_system_sgpr_workgroup_id_z 0
		.amdhsa_system_sgpr_workgroup_info 0
		.amdhsa_system_vgpr_workitem_id 0
		.amdhsa_next_free_vgpr 1
		.amdhsa_next_free_sgpr 0
		.amdhsa_accum_offset 4
		.amdhsa_reserve_vcc 0
		.amdhsa_reserve_flat_scratch 0
		.amdhsa_float_round_mode_32 0
		.amdhsa_float_round_mode_16_64 0
		.amdhsa_float_denorm_mode_32 3
		.amdhsa_float_denorm_mode_16_64 3
		.amdhsa_dx10_clamp 1
		.amdhsa_ieee_mode 1
		.amdhsa_fp16_overflow 0
		.amdhsa_tg_split 0
		.amdhsa_exception_fp_ieee_invalid_op 0
		.amdhsa_exception_fp_denorm_src 0
		.amdhsa_exception_fp_ieee_div_zero 0
		.amdhsa_exception_fp_ieee_overflow 0
		.amdhsa_exception_fp_ieee_underflow 0
		.amdhsa_exception_fp_ieee_inexact 0
		.amdhsa_exception_int_div_zero 0
	.end_amdhsa_kernel
	.section	.text._ZN7rocprim17ROCPRIM_400000_NS6detail17trampoline_kernelINS0_14default_configENS1_20scan_config_selectorIsEEZZNS1_9scan_implILNS1_25lookback_scan_determinismE0ELb0ELb0ES3_N6thrust23THRUST_200600_302600_NS6detail15normal_iteratorINS9_10device_ptrIsEEEESE_sNS9_4plusIsEEsEEDaPvRmT3_T4_T5_mT6_P12ihipStream_tbENKUlT_T0_E_clISt17integral_constantIbLb0EESU_EEDaSP_SQ_EUlSP_E_NS1_11comp_targetILNS1_3genE0ELNS1_11target_archE4294967295ELNS1_3gpuE0ELNS1_3repE0EEENS1_30default_config_static_selectorELNS0_4arch9wavefront6targetE1EEEvT1_,"axG",@progbits,_ZN7rocprim17ROCPRIM_400000_NS6detail17trampoline_kernelINS0_14default_configENS1_20scan_config_selectorIsEEZZNS1_9scan_implILNS1_25lookback_scan_determinismE0ELb0ELb0ES3_N6thrust23THRUST_200600_302600_NS6detail15normal_iteratorINS9_10device_ptrIsEEEESE_sNS9_4plusIsEEsEEDaPvRmT3_T4_T5_mT6_P12ihipStream_tbENKUlT_T0_E_clISt17integral_constantIbLb0EESU_EEDaSP_SQ_EUlSP_E_NS1_11comp_targetILNS1_3genE0ELNS1_11target_archE4294967295ELNS1_3gpuE0ELNS1_3repE0EEENS1_30default_config_static_selectorELNS0_4arch9wavefront6targetE1EEEvT1_,comdat
.Lfunc_end1051:
	.size	_ZN7rocprim17ROCPRIM_400000_NS6detail17trampoline_kernelINS0_14default_configENS1_20scan_config_selectorIsEEZZNS1_9scan_implILNS1_25lookback_scan_determinismE0ELb0ELb0ES3_N6thrust23THRUST_200600_302600_NS6detail15normal_iteratorINS9_10device_ptrIsEEEESE_sNS9_4plusIsEEsEEDaPvRmT3_T4_T5_mT6_P12ihipStream_tbENKUlT_T0_E_clISt17integral_constantIbLb0EESU_EEDaSP_SQ_EUlSP_E_NS1_11comp_targetILNS1_3genE0ELNS1_11target_archE4294967295ELNS1_3gpuE0ELNS1_3repE0EEENS1_30default_config_static_selectorELNS0_4arch9wavefront6targetE1EEEvT1_, .Lfunc_end1051-_ZN7rocprim17ROCPRIM_400000_NS6detail17trampoline_kernelINS0_14default_configENS1_20scan_config_selectorIsEEZZNS1_9scan_implILNS1_25lookback_scan_determinismE0ELb0ELb0ES3_N6thrust23THRUST_200600_302600_NS6detail15normal_iteratorINS9_10device_ptrIsEEEESE_sNS9_4plusIsEEsEEDaPvRmT3_T4_T5_mT6_P12ihipStream_tbENKUlT_T0_E_clISt17integral_constantIbLb0EESU_EEDaSP_SQ_EUlSP_E_NS1_11comp_targetILNS1_3genE0ELNS1_11target_archE4294967295ELNS1_3gpuE0ELNS1_3repE0EEENS1_30default_config_static_selectorELNS0_4arch9wavefront6targetE1EEEvT1_
                                        ; -- End function
	.section	.AMDGPU.csdata,"",@progbits
; Kernel info:
; codeLenInByte = 0
; NumSgprs: 4
; NumVgprs: 0
; NumAgprs: 0
; TotalNumVgprs: 0
; ScratchSize: 0
; MemoryBound: 0
; FloatMode: 240
; IeeeMode: 1
; LDSByteSize: 0 bytes/workgroup (compile time only)
; SGPRBlocks: 0
; VGPRBlocks: 0
; NumSGPRsForWavesPerEU: 4
; NumVGPRsForWavesPerEU: 1
; AccumOffset: 4
; Occupancy: 8
; WaveLimiterHint : 0
; COMPUTE_PGM_RSRC2:SCRATCH_EN: 0
; COMPUTE_PGM_RSRC2:USER_SGPR: 6
; COMPUTE_PGM_RSRC2:TRAP_HANDLER: 0
; COMPUTE_PGM_RSRC2:TGID_X_EN: 1
; COMPUTE_PGM_RSRC2:TGID_Y_EN: 0
; COMPUTE_PGM_RSRC2:TGID_Z_EN: 0
; COMPUTE_PGM_RSRC2:TIDIG_COMP_CNT: 0
; COMPUTE_PGM_RSRC3_GFX90A:ACCUM_OFFSET: 0
; COMPUTE_PGM_RSRC3_GFX90A:TG_SPLIT: 0
	.section	.text._ZN7rocprim17ROCPRIM_400000_NS6detail17trampoline_kernelINS0_14default_configENS1_20scan_config_selectorIsEEZZNS1_9scan_implILNS1_25lookback_scan_determinismE0ELb0ELb0ES3_N6thrust23THRUST_200600_302600_NS6detail15normal_iteratorINS9_10device_ptrIsEEEESE_sNS9_4plusIsEEsEEDaPvRmT3_T4_T5_mT6_P12ihipStream_tbENKUlT_T0_E_clISt17integral_constantIbLb0EESU_EEDaSP_SQ_EUlSP_E_NS1_11comp_targetILNS1_3genE5ELNS1_11target_archE942ELNS1_3gpuE9ELNS1_3repE0EEENS1_30default_config_static_selectorELNS0_4arch9wavefront6targetE1EEEvT1_,"axG",@progbits,_ZN7rocprim17ROCPRIM_400000_NS6detail17trampoline_kernelINS0_14default_configENS1_20scan_config_selectorIsEEZZNS1_9scan_implILNS1_25lookback_scan_determinismE0ELb0ELb0ES3_N6thrust23THRUST_200600_302600_NS6detail15normal_iteratorINS9_10device_ptrIsEEEESE_sNS9_4plusIsEEsEEDaPvRmT3_T4_T5_mT6_P12ihipStream_tbENKUlT_T0_E_clISt17integral_constantIbLb0EESU_EEDaSP_SQ_EUlSP_E_NS1_11comp_targetILNS1_3genE5ELNS1_11target_archE942ELNS1_3gpuE9ELNS1_3repE0EEENS1_30default_config_static_selectorELNS0_4arch9wavefront6targetE1EEEvT1_,comdat
	.protected	_ZN7rocprim17ROCPRIM_400000_NS6detail17trampoline_kernelINS0_14default_configENS1_20scan_config_selectorIsEEZZNS1_9scan_implILNS1_25lookback_scan_determinismE0ELb0ELb0ES3_N6thrust23THRUST_200600_302600_NS6detail15normal_iteratorINS9_10device_ptrIsEEEESE_sNS9_4plusIsEEsEEDaPvRmT3_T4_T5_mT6_P12ihipStream_tbENKUlT_T0_E_clISt17integral_constantIbLb0EESU_EEDaSP_SQ_EUlSP_E_NS1_11comp_targetILNS1_3genE5ELNS1_11target_archE942ELNS1_3gpuE9ELNS1_3repE0EEENS1_30default_config_static_selectorELNS0_4arch9wavefront6targetE1EEEvT1_ ; -- Begin function _ZN7rocprim17ROCPRIM_400000_NS6detail17trampoline_kernelINS0_14default_configENS1_20scan_config_selectorIsEEZZNS1_9scan_implILNS1_25lookback_scan_determinismE0ELb0ELb0ES3_N6thrust23THRUST_200600_302600_NS6detail15normal_iteratorINS9_10device_ptrIsEEEESE_sNS9_4plusIsEEsEEDaPvRmT3_T4_T5_mT6_P12ihipStream_tbENKUlT_T0_E_clISt17integral_constantIbLb0EESU_EEDaSP_SQ_EUlSP_E_NS1_11comp_targetILNS1_3genE5ELNS1_11target_archE942ELNS1_3gpuE9ELNS1_3repE0EEENS1_30default_config_static_selectorELNS0_4arch9wavefront6targetE1EEEvT1_
	.globl	_ZN7rocprim17ROCPRIM_400000_NS6detail17trampoline_kernelINS0_14default_configENS1_20scan_config_selectorIsEEZZNS1_9scan_implILNS1_25lookback_scan_determinismE0ELb0ELb0ES3_N6thrust23THRUST_200600_302600_NS6detail15normal_iteratorINS9_10device_ptrIsEEEESE_sNS9_4plusIsEEsEEDaPvRmT3_T4_T5_mT6_P12ihipStream_tbENKUlT_T0_E_clISt17integral_constantIbLb0EESU_EEDaSP_SQ_EUlSP_E_NS1_11comp_targetILNS1_3genE5ELNS1_11target_archE942ELNS1_3gpuE9ELNS1_3repE0EEENS1_30default_config_static_selectorELNS0_4arch9wavefront6targetE1EEEvT1_
	.p2align	8
	.type	_ZN7rocprim17ROCPRIM_400000_NS6detail17trampoline_kernelINS0_14default_configENS1_20scan_config_selectorIsEEZZNS1_9scan_implILNS1_25lookback_scan_determinismE0ELb0ELb0ES3_N6thrust23THRUST_200600_302600_NS6detail15normal_iteratorINS9_10device_ptrIsEEEESE_sNS9_4plusIsEEsEEDaPvRmT3_T4_T5_mT6_P12ihipStream_tbENKUlT_T0_E_clISt17integral_constantIbLb0EESU_EEDaSP_SQ_EUlSP_E_NS1_11comp_targetILNS1_3genE5ELNS1_11target_archE942ELNS1_3gpuE9ELNS1_3repE0EEENS1_30default_config_static_selectorELNS0_4arch9wavefront6targetE1EEEvT1_,@function
_ZN7rocprim17ROCPRIM_400000_NS6detail17trampoline_kernelINS0_14default_configENS1_20scan_config_selectorIsEEZZNS1_9scan_implILNS1_25lookback_scan_determinismE0ELb0ELb0ES3_N6thrust23THRUST_200600_302600_NS6detail15normal_iteratorINS9_10device_ptrIsEEEESE_sNS9_4plusIsEEsEEDaPvRmT3_T4_T5_mT6_P12ihipStream_tbENKUlT_T0_E_clISt17integral_constantIbLb0EESU_EEDaSP_SQ_EUlSP_E_NS1_11comp_targetILNS1_3genE5ELNS1_11target_archE942ELNS1_3gpuE9ELNS1_3repE0EEENS1_30default_config_static_selectorELNS0_4arch9wavefront6targetE1EEEvT1_: ; @_ZN7rocprim17ROCPRIM_400000_NS6detail17trampoline_kernelINS0_14default_configENS1_20scan_config_selectorIsEEZZNS1_9scan_implILNS1_25lookback_scan_determinismE0ELb0ELb0ES3_N6thrust23THRUST_200600_302600_NS6detail15normal_iteratorINS9_10device_ptrIsEEEESE_sNS9_4plusIsEEsEEDaPvRmT3_T4_T5_mT6_P12ihipStream_tbENKUlT_T0_E_clISt17integral_constantIbLb0EESU_EEDaSP_SQ_EUlSP_E_NS1_11comp_targetILNS1_3genE5ELNS1_11target_archE942ELNS1_3gpuE9ELNS1_3repE0EEENS1_30default_config_static_selectorELNS0_4arch9wavefront6targetE1EEEvT1_
; %bb.0:
	.section	.rodata,"a",@progbits
	.p2align	6, 0x0
	.amdhsa_kernel _ZN7rocprim17ROCPRIM_400000_NS6detail17trampoline_kernelINS0_14default_configENS1_20scan_config_selectorIsEEZZNS1_9scan_implILNS1_25lookback_scan_determinismE0ELb0ELb0ES3_N6thrust23THRUST_200600_302600_NS6detail15normal_iteratorINS9_10device_ptrIsEEEESE_sNS9_4plusIsEEsEEDaPvRmT3_T4_T5_mT6_P12ihipStream_tbENKUlT_T0_E_clISt17integral_constantIbLb0EESU_EEDaSP_SQ_EUlSP_E_NS1_11comp_targetILNS1_3genE5ELNS1_11target_archE942ELNS1_3gpuE9ELNS1_3repE0EEENS1_30default_config_static_selectorELNS0_4arch9wavefront6targetE1EEEvT1_
		.amdhsa_group_segment_fixed_size 0
		.amdhsa_private_segment_fixed_size 0
		.amdhsa_kernarg_size 96
		.amdhsa_user_sgpr_count 6
		.amdhsa_user_sgpr_private_segment_buffer 1
		.amdhsa_user_sgpr_dispatch_ptr 0
		.amdhsa_user_sgpr_queue_ptr 0
		.amdhsa_user_sgpr_kernarg_segment_ptr 1
		.amdhsa_user_sgpr_dispatch_id 0
		.amdhsa_user_sgpr_flat_scratch_init 0
		.amdhsa_user_sgpr_kernarg_preload_length 0
		.amdhsa_user_sgpr_kernarg_preload_offset 0
		.amdhsa_user_sgpr_private_segment_size 0
		.amdhsa_uses_dynamic_stack 0
		.amdhsa_system_sgpr_private_segment_wavefront_offset 0
		.amdhsa_system_sgpr_workgroup_id_x 1
		.amdhsa_system_sgpr_workgroup_id_y 0
		.amdhsa_system_sgpr_workgroup_id_z 0
		.amdhsa_system_sgpr_workgroup_info 0
		.amdhsa_system_vgpr_workitem_id 0
		.amdhsa_next_free_vgpr 1
		.amdhsa_next_free_sgpr 0
		.amdhsa_accum_offset 4
		.amdhsa_reserve_vcc 0
		.amdhsa_reserve_flat_scratch 0
		.amdhsa_float_round_mode_32 0
		.amdhsa_float_round_mode_16_64 0
		.amdhsa_float_denorm_mode_32 3
		.amdhsa_float_denorm_mode_16_64 3
		.amdhsa_dx10_clamp 1
		.amdhsa_ieee_mode 1
		.amdhsa_fp16_overflow 0
		.amdhsa_tg_split 0
		.amdhsa_exception_fp_ieee_invalid_op 0
		.amdhsa_exception_fp_denorm_src 0
		.amdhsa_exception_fp_ieee_div_zero 0
		.amdhsa_exception_fp_ieee_overflow 0
		.amdhsa_exception_fp_ieee_underflow 0
		.amdhsa_exception_fp_ieee_inexact 0
		.amdhsa_exception_int_div_zero 0
	.end_amdhsa_kernel
	.section	.text._ZN7rocprim17ROCPRIM_400000_NS6detail17trampoline_kernelINS0_14default_configENS1_20scan_config_selectorIsEEZZNS1_9scan_implILNS1_25lookback_scan_determinismE0ELb0ELb0ES3_N6thrust23THRUST_200600_302600_NS6detail15normal_iteratorINS9_10device_ptrIsEEEESE_sNS9_4plusIsEEsEEDaPvRmT3_T4_T5_mT6_P12ihipStream_tbENKUlT_T0_E_clISt17integral_constantIbLb0EESU_EEDaSP_SQ_EUlSP_E_NS1_11comp_targetILNS1_3genE5ELNS1_11target_archE942ELNS1_3gpuE9ELNS1_3repE0EEENS1_30default_config_static_selectorELNS0_4arch9wavefront6targetE1EEEvT1_,"axG",@progbits,_ZN7rocprim17ROCPRIM_400000_NS6detail17trampoline_kernelINS0_14default_configENS1_20scan_config_selectorIsEEZZNS1_9scan_implILNS1_25lookback_scan_determinismE0ELb0ELb0ES3_N6thrust23THRUST_200600_302600_NS6detail15normal_iteratorINS9_10device_ptrIsEEEESE_sNS9_4plusIsEEsEEDaPvRmT3_T4_T5_mT6_P12ihipStream_tbENKUlT_T0_E_clISt17integral_constantIbLb0EESU_EEDaSP_SQ_EUlSP_E_NS1_11comp_targetILNS1_3genE5ELNS1_11target_archE942ELNS1_3gpuE9ELNS1_3repE0EEENS1_30default_config_static_selectorELNS0_4arch9wavefront6targetE1EEEvT1_,comdat
.Lfunc_end1052:
	.size	_ZN7rocprim17ROCPRIM_400000_NS6detail17trampoline_kernelINS0_14default_configENS1_20scan_config_selectorIsEEZZNS1_9scan_implILNS1_25lookback_scan_determinismE0ELb0ELb0ES3_N6thrust23THRUST_200600_302600_NS6detail15normal_iteratorINS9_10device_ptrIsEEEESE_sNS9_4plusIsEEsEEDaPvRmT3_T4_T5_mT6_P12ihipStream_tbENKUlT_T0_E_clISt17integral_constantIbLb0EESU_EEDaSP_SQ_EUlSP_E_NS1_11comp_targetILNS1_3genE5ELNS1_11target_archE942ELNS1_3gpuE9ELNS1_3repE0EEENS1_30default_config_static_selectorELNS0_4arch9wavefront6targetE1EEEvT1_, .Lfunc_end1052-_ZN7rocprim17ROCPRIM_400000_NS6detail17trampoline_kernelINS0_14default_configENS1_20scan_config_selectorIsEEZZNS1_9scan_implILNS1_25lookback_scan_determinismE0ELb0ELb0ES3_N6thrust23THRUST_200600_302600_NS6detail15normal_iteratorINS9_10device_ptrIsEEEESE_sNS9_4plusIsEEsEEDaPvRmT3_T4_T5_mT6_P12ihipStream_tbENKUlT_T0_E_clISt17integral_constantIbLb0EESU_EEDaSP_SQ_EUlSP_E_NS1_11comp_targetILNS1_3genE5ELNS1_11target_archE942ELNS1_3gpuE9ELNS1_3repE0EEENS1_30default_config_static_selectorELNS0_4arch9wavefront6targetE1EEEvT1_
                                        ; -- End function
	.section	.AMDGPU.csdata,"",@progbits
; Kernel info:
; codeLenInByte = 0
; NumSgprs: 4
; NumVgprs: 0
; NumAgprs: 0
; TotalNumVgprs: 0
; ScratchSize: 0
; MemoryBound: 0
; FloatMode: 240
; IeeeMode: 1
; LDSByteSize: 0 bytes/workgroup (compile time only)
; SGPRBlocks: 0
; VGPRBlocks: 0
; NumSGPRsForWavesPerEU: 4
; NumVGPRsForWavesPerEU: 1
; AccumOffset: 4
; Occupancy: 8
; WaveLimiterHint : 0
; COMPUTE_PGM_RSRC2:SCRATCH_EN: 0
; COMPUTE_PGM_RSRC2:USER_SGPR: 6
; COMPUTE_PGM_RSRC2:TRAP_HANDLER: 0
; COMPUTE_PGM_RSRC2:TGID_X_EN: 1
; COMPUTE_PGM_RSRC2:TGID_Y_EN: 0
; COMPUTE_PGM_RSRC2:TGID_Z_EN: 0
; COMPUTE_PGM_RSRC2:TIDIG_COMP_CNT: 0
; COMPUTE_PGM_RSRC3_GFX90A:ACCUM_OFFSET: 0
; COMPUTE_PGM_RSRC3_GFX90A:TG_SPLIT: 0
	.section	.text._ZN7rocprim17ROCPRIM_400000_NS6detail17trampoline_kernelINS0_14default_configENS1_20scan_config_selectorIsEEZZNS1_9scan_implILNS1_25lookback_scan_determinismE0ELb0ELb0ES3_N6thrust23THRUST_200600_302600_NS6detail15normal_iteratorINS9_10device_ptrIsEEEESE_sNS9_4plusIsEEsEEDaPvRmT3_T4_T5_mT6_P12ihipStream_tbENKUlT_T0_E_clISt17integral_constantIbLb0EESU_EEDaSP_SQ_EUlSP_E_NS1_11comp_targetILNS1_3genE4ELNS1_11target_archE910ELNS1_3gpuE8ELNS1_3repE0EEENS1_30default_config_static_selectorELNS0_4arch9wavefront6targetE1EEEvT1_,"axG",@progbits,_ZN7rocprim17ROCPRIM_400000_NS6detail17trampoline_kernelINS0_14default_configENS1_20scan_config_selectorIsEEZZNS1_9scan_implILNS1_25lookback_scan_determinismE0ELb0ELb0ES3_N6thrust23THRUST_200600_302600_NS6detail15normal_iteratorINS9_10device_ptrIsEEEESE_sNS9_4plusIsEEsEEDaPvRmT3_T4_T5_mT6_P12ihipStream_tbENKUlT_T0_E_clISt17integral_constantIbLb0EESU_EEDaSP_SQ_EUlSP_E_NS1_11comp_targetILNS1_3genE4ELNS1_11target_archE910ELNS1_3gpuE8ELNS1_3repE0EEENS1_30default_config_static_selectorELNS0_4arch9wavefront6targetE1EEEvT1_,comdat
	.protected	_ZN7rocprim17ROCPRIM_400000_NS6detail17trampoline_kernelINS0_14default_configENS1_20scan_config_selectorIsEEZZNS1_9scan_implILNS1_25lookback_scan_determinismE0ELb0ELb0ES3_N6thrust23THRUST_200600_302600_NS6detail15normal_iteratorINS9_10device_ptrIsEEEESE_sNS9_4plusIsEEsEEDaPvRmT3_T4_T5_mT6_P12ihipStream_tbENKUlT_T0_E_clISt17integral_constantIbLb0EESU_EEDaSP_SQ_EUlSP_E_NS1_11comp_targetILNS1_3genE4ELNS1_11target_archE910ELNS1_3gpuE8ELNS1_3repE0EEENS1_30default_config_static_selectorELNS0_4arch9wavefront6targetE1EEEvT1_ ; -- Begin function _ZN7rocprim17ROCPRIM_400000_NS6detail17trampoline_kernelINS0_14default_configENS1_20scan_config_selectorIsEEZZNS1_9scan_implILNS1_25lookback_scan_determinismE0ELb0ELb0ES3_N6thrust23THRUST_200600_302600_NS6detail15normal_iteratorINS9_10device_ptrIsEEEESE_sNS9_4plusIsEEsEEDaPvRmT3_T4_T5_mT6_P12ihipStream_tbENKUlT_T0_E_clISt17integral_constantIbLb0EESU_EEDaSP_SQ_EUlSP_E_NS1_11comp_targetILNS1_3genE4ELNS1_11target_archE910ELNS1_3gpuE8ELNS1_3repE0EEENS1_30default_config_static_selectorELNS0_4arch9wavefront6targetE1EEEvT1_
	.globl	_ZN7rocprim17ROCPRIM_400000_NS6detail17trampoline_kernelINS0_14default_configENS1_20scan_config_selectorIsEEZZNS1_9scan_implILNS1_25lookback_scan_determinismE0ELb0ELb0ES3_N6thrust23THRUST_200600_302600_NS6detail15normal_iteratorINS9_10device_ptrIsEEEESE_sNS9_4plusIsEEsEEDaPvRmT3_T4_T5_mT6_P12ihipStream_tbENKUlT_T0_E_clISt17integral_constantIbLb0EESU_EEDaSP_SQ_EUlSP_E_NS1_11comp_targetILNS1_3genE4ELNS1_11target_archE910ELNS1_3gpuE8ELNS1_3repE0EEENS1_30default_config_static_selectorELNS0_4arch9wavefront6targetE1EEEvT1_
	.p2align	8
	.type	_ZN7rocprim17ROCPRIM_400000_NS6detail17trampoline_kernelINS0_14default_configENS1_20scan_config_selectorIsEEZZNS1_9scan_implILNS1_25lookback_scan_determinismE0ELb0ELb0ES3_N6thrust23THRUST_200600_302600_NS6detail15normal_iteratorINS9_10device_ptrIsEEEESE_sNS9_4plusIsEEsEEDaPvRmT3_T4_T5_mT6_P12ihipStream_tbENKUlT_T0_E_clISt17integral_constantIbLb0EESU_EEDaSP_SQ_EUlSP_E_NS1_11comp_targetILNS1_3genE4ELNS1_11target_archE910ELNS1_3gpuE8ELNS1_3repE0EEENS1_30default_config_static_selectorELNS0_4arch9wavefront6targetE1EEEvT1_,@function
_ZN7rocprim17ROCPRIM_400000_NS6detail17trampoline_kernelINS0_14default_configENS1_20scan_config_selectorIsEEZZNS1_9scan_implILNS1_25lookback_scan_determinismE0ELb0ELb0ES3_N6thrust23THRUST_200600_302600_NS6detail15normal_iteratorINS9_10device_ptrIsEEEESE_sNS9_4plusIsEEsEEDaPvRmT3_T4_T5_mT6_P12ihipStream_tbENKUlT_T0_E_clISt17integral_constantIbLb0EESU_EEDaSP_SQ_EUlSP_E_NS1_11comp_targetILNS1_3genE4ELNS1_11target_archE910ELNS1_3gpuE8ELNS1_3repE0EEENS1_30default_config_static_selectorELNS0_4arch9wavefront6targetE1EEEvT1_: ; @_ZN7rocprim17ROCPRIM_400000_NS6detail17trampoline_kernelINS0_14default_configENS1_20scan_config_selectorIsEEZZNS1_9scan_implILNS1_25lookback_scan_determinismE0ELb0ELb0ES3_N6thrust23THRUST_200600_302600_NS6detail15normal_iteratorINS9_10device_ptrIsEEEESE_sNS9_4plusIsEEsEEDaPvRmT3_T4_T5_mT6_P12ihipStream_tbENKUlT_T0_E_clISt17integral_constantIbLb0EESU_EEDaSP_SQ_EUlSP_E_NS1_11comp_targetILNS1_3genE4ELNS1_11target_archE910ELNS1_3gpuE8ELNS1_3repE0EEENS1_30default_config_static_selectorELNS0_4arch9wavefront6targetE1EEEvT1_
; %bb.0:
	s_load_dwordx8 s[8:15], s[4:5], 0x0
	s_load_dword s1, s[4:5], 0x30
	s_mul_i32 s0, s6, 0x600
	v_lshlrev_b32_e32 v20, 1, v0
	s_waitcnt lgkmcnt(0)
	s_lshl_b64 s[16:17], s[10:11], 1
	s_add_u32 s2, s8, s16
	s_addc_u32 s3, s9, s17
	s_add_i32 s7, s1, -1
	s_mul_i32 s8, s7, 0x600
	s_sub_u32 s22, s14, s8
	s_subb_u32 s23, s15, 0
	s_mov_b32 s1, 0
	s_cmp_lg_u32 s6, s7
	s_cselect_b64 s[14:15], -1, 0
	s_lshl_b64 s[18:19], s[0:1], 1
	s_add_u32 s2, s2, s18
	s_addc_u32 s3, s3, s19
	s_mov_b64 s[0:1], -1
	s_and_b64 vcc, exec, s[14:15]
	s_cbranch_vccz .LBB1053_2
; %bb.1:
	v_mov_b32_e32 v1, s3
	v_add_co_u32_e32 v2, vcc, s2, v20
	v_addc_co_u32_e32 v3, vcc, 0, v1, vcc
	flat_load_ushort v1, v[2:3]
	flat_load_ushort v4, v[2:3] offset:128
	flat_load_ushort v5, v[2:3] offset:256
	;; [unrolled: 1-line block ×23, first 2 shown]
	s_mov_b64 s[0:1], 0
	s_waitcnt vmcnt(0) lgkmcnt(0)
	ds_write_b16 v20, v1
	ds_write_b16 v20, v4 offset:128
	ds_write_b16 v20, v5 offset:256
	;; [unrolled: 1-line block ×23, first 2 shown]
	s_waitcnt lgkmcnt(0)
	; wave barrier
.LBB1053_2:
	s_load_dwordx2 s[20:21], s[4:5], 0x28
	s_andn2_b64 vcc, exec, s[0:1]
	v_cmp_gt_u32_e64 s[0:1], s22, v0
	s_cbranch_vccnz .LBB1053_52
; %bb.3:
	v_pk_mov_b32 v[2:3], s[2:3], s[2:3] op_sel:[0,1]
	flat_load_ushort v1, v[2:3]
	s_waitcnt vmcnt(0) lgkmcnt(0)
	v_mov_b32_e32 v2, v1
	s_and_saveexec_b64 s[8:9], s[0:1]
	s_cbranch_execz .LBB1053_5
; %bb.4:
	v_mov_b32_e32 v3, s3
	v_add_co_u32_e32 v2, vcc, s2, v20
	v_addc_co_u32_e32 v3, vcc, 0, v3, vcc
	flat_load_ushort v2, v[2:3]
.LBB1053_5:
	s_or_b64 exec, exec, s[8:9]
	v_or_b32_e32 v3, 64, v0
	v_cmp_gt_u32_e32 vcc, s22, v3
	v_mov_b32_e32 v3, v1
	s_and_saveexec_b64 s[0:1], vcc
	s_cbranch_execz .LBB1053_7
; %bb.6:
	v_mov_b32_e32 v3, s3
	v_add_co_u32_e32 v4, vcc, s2, v20
	v_addc_co_u32_e32 v5, vcc, 0, v3, vcc
	flat_load_ushort v3, v[4:5] offset:128
.LBB1053_7:
	s_or_b64 exec, exec, s[0:1]
	v_or_b32_e32 v4, 0x80, v0
	v_cmp_gt_u32_e32 vcc, s22, v4
	v_mov_b32_e32 v4, v1
	s_and_saveexec_b64 s[0:1], vcc
	s_cbranch_execz .LBB1053_9
; %bb.8:
	v_mov_b32_e32 v5, s3
	v_add_co_u32_e32 v4, vcc, s2, v20
	v_addc_co_u32_e32 v5, vcc, 0, v5, vcc
	flat_load_ushort v4, v[4:5] offset:256
.LBB1053_9:
	;; [unrolled: 12-line block ×22, first 2 shown]
	s_or_b64 exec, exec, s[0:1]
	v_or_b32_e32 v26, 0x5c0, v0
	v_cmp_gt_u32_e32 vcc, s22, v26
	s_and_saveexec_b64 s[0:1], vcc
	s_cbranch_execz .LBB1053_51
; %bb.50:
	v_mov_b32_e32 v1, s3
	v_add_co_u32_e32 v26, vcc, s2, v20
	v_addc_co_u32_e32 v27, vcc, 0, v1, vcc
	flat_load_ushort v1, v[26:27] offset:2944
.LBB1053_51:
	s_or_b64 exec, exec, s[0:1]
	s_waitcnt vmcnt(0) lgkmcnt(0)
	ds_write_b16 v20, v2
	ds_write_b16 v20, v3 offset:128
	ds_write_b16 v20, v4 offset:256
	;; [unrolled: 1-line block ×23, first 2 shown]
	s_waitcnt lgkmcnt(0)
	; wave barrier
.LBB1053_52:
	v_mul_u32_u24_e32 v21, 24, v0
	v_lshlrev_b32_e32 v1, 1, v21
	s_waitcnt lgkmcnt(0)
	ds_read_b128 v[10:13], v1
	ds_read_b128 v[6:9], v1 offset:16
	ds_read_b128 v[2:5], v1 offset:32
	s_cmp_lg_u32 s6, 0
	v_mbcnt_lo_u32_b32 v22, -1, 0
	v_cmp_eq_u32_e32 vcc, 63, v0
	s_waitcnt lgkmcnt(0)
	; wave barrier
	s_waitcnt lgkmcnt(0)
	s_cbranch_scc0 .LBB1053_75
; %bb.53:
	v_add_u16_sdwa v14, v10, v10 dst_sel:DWORD dst_unused:UNUSED_PAD src0_sel:WORD_1 src1_sel:DWORD
	v_add_u16_e32 v14, v14, v11
	v_add_u16_sdwa v14, v14, v11 dst_sel:DWORD dst_unused:UNUSED_PAD src0_sel:DWORD src1_sel:WORD_1
	v_add_u16_e32 v14, v14, v12
	v_add_u16_sdwa v14, v14, v12 dst_sel:DWORD dst_unused:UNUSED_PAD src0_sel:DWORD src1_sel:WORD_1
	;; [unrolled: 2-line block ×10, first 2 shown]
	v_add_u16_e32 v14, v14, v5
	v_mbcnt_hi_u32_b32 v15, -1, v22
	v_add_u16_sdwa v14, v14, v5 dst_sel:DWORD dst_unused:UNUSED_PAD src0_sel:DWORD src1_sel:WORD_1
	v_and_b32_e32 v16, 15, v15
	v_cmp_ne_u32_e64 s[0:1], 0, v16
	v_mov_b32_dpp v17, v14 row_shr:1 row_mask:0xf bank_mask:0xf
	v_cndmask_b32_e64 v17, 0, v17, s[0:1]
	v_add_u16_e32 v14, v17, v14
	v_cmp_lt_u32_e64 s[0:1], 1, v16
	s_nop 0
	v_mov_b32_dpp v17, v14 row_shr:2 row_mask:0xf bank_mask:0xf
	v_cndmask_b32_e64 v17, 0, v17, s[0:1]
	v_add_u16_e32 v14, v14, v17
	v_cmp_lt_u32_e64 s[0:1], 3, v16
	s_nop 0
	v_mov_b32_dpp v17, v14 row_shr:4 row_mask:0xf bank_mask:0xf
	v_cndmask_b32_e64 v17, 0, v17, s[0:1]
	v_add_u16_e32 v14, v14, v17
	v_cmp_lt_u32_e64 s[0:1], 7, v16
	s_nop 0
	v_mov_b32_dpp v17, v14 row_shr:8 row_mask:0xf bank_mask:0xf
	v_cndmask_b32_e64 v16, 0, v17, s[0:1]
	v_add_u16_e32 v14, v14, v16
	v_and_b32_e32 v17, 16, v15
	v_cmp_ne_u32_e64 s[0:1], 0, v17
	v_mov_b32_dpp v16, v14 row_bcast:15 row_mask:0xf bank_mask:0xf
	v_cndmask_b32_e64 v16, 0, v16, s[0:1]
	v_add_u16_e32 v14, v14, v16
	v_cmp_lt_u32_e64 s[0:1], 31, v15
	s_nop 0
	v_mov_b32_dpp v16, v14 row_bcast:31 row_mask:0xf bank_mask:0xf
	v_cndmask_b32_e64 v16, 0, v16, s[0:1]
	v_add_u16_e32 v14, v14, v16
	s_and_saveexec_b64 s[0:1], vcc
	s_cbranch_execz .LBB1053_55
; %bb.54:
	v_mov_b32_e32 v16, 0
	ds_write_b16 v16, v14
.LBB1053_55:
	s_or_b64 exec, exec, s[0:1]
	v_add_u32_e32 v16, -1, v15
	v_and_b32_e32 v17, 64, v15
	v_cmp_lt_i32_e32 vcc, v16, v17
	v_cndmask_b32_e32 v16, v16, v15, vcc
	v_lshlrev_b32_e32 v16, 2, v16
	ds_bpermute_b32 v23, v16, v14
	v_cmp_gt_u32_e32 vcc, 64, v0
	s_waitcnt lgkmcnt(0)
	; wave barrier
	s_waitcnt lgkmcnt(0)
	s_and_saveexec_b64 s[10:11], vcc
	s_cbranch_execz .LBB1053_74
; %bb.56:
	v_mov_b32_e32 v17, 0
	ds_read_u16 v24, v17
	s_mov_b32 s9, 0
	v_cmp_eq_u32_e64 s[0:1], 0, v15
	s_and_saveexec_b64 s[2:3], s[0:1]
	s_cbranch_execz .LBB1053_58
; %bb.57:
	s_add_i32 s8, s6, 64
	s_lshl_b64 s[8:9], s[8:9], 2
	s_add_u32 s8, s20, s8
	s_waitcnt lgkmcnt(0)
	v_or_b32_e32 v14, 0x10000, v24
	s_addc_u32 s9, s21, s9
	global_store_dword v17, v14, s[8:9]
.LBB1053_58:
	s_or_b64 exec, exec, s[2:3]
	v_xad_u32 v14, v15, -1, s6
	v_add_u32_e32 v16, 64, v14
	v_lshlrev_b64 v[18:19], 2, v[16:17]
	v_mov_b32_e32 v16, s21
	v_add_co_u32_e32 v18, vcc, s20, v18
	v_addc_co_u32_e32 v19, vcc, v16, v19, vcc
	global_load_dword v37, v[18:19], off glc
	s_waitcnt vmcnt(0)
	v_lshrrev_b32_e32 v26, 16, v37
	v_cmp_eq_u16_sdwa s[8:9], v26, v17 src0_sel:BYTE_0 src1_sel:DWORD
	s_and_saveexec_b64 s[2:3], s[8:9]
	s_cbranch_execz .LBB1053_62
; %bb.59:
	s_mov_b64 s[8:9], 0
	v_mov_b32_e32 v16, 0
.LBB1053_60:                            ; =>This Inner Loop Header: Depth=1
	global_load_dword v37, v[18:19], off glc
	s_waitcnt vmcnt(0)
	v_lshrrev_b32_e32 v26, 16, v37
	v_cmp_ne_u16_sdwa s[24:25], v26, v16 src0_sel:BYTE_0 src1_sel:DWORD
	s_or_b64 s[8:9], s[24:25], s[8:9]
	s_andn2_b64 exec, exec, s[8:9]
	s_cbranch_execnz .LBB1053_60
; %bb.61:
	s_or_b64 exec, exec, s[8:9]
.LBB1053_62:
	s_or_b64 exec, exec, s[2:3]
	v_and_b32_e32 v27, 63, v15
	v_cmp_ne_u32_e32 vcc, 63, v27
	v_mov_b32_e32 v25, 2
	v_addc_co_u32_e32 v28, vcc, 0, v15, vcc
	v_cmp_eq_u16_sdwa s[2:3], v26, v25 src0_sel:BYTE_0 src1_sel:DWORD
	v_lshlrev_b64 v[16:17], v15, -1
	v_and_b32_e32 v29, 0xffff, v37
	v_lshlrev_b32_e32 v28, 2, v28
	v_and_b32_e32 v18, s3, v17
	ds_bpermute_b32 v30, v28, v29
	v_or_b32_e32 v18, 0x80000000, v18
	v_and_b32_e32 v19, s2, v16
	v_ffbl_b32_e32 v18, v18
	v_add_u32_e32 v18, 32, v18
	v_ffbl_b32_e32 v19, v19
	v_min_u32_e32 v18, v19, v18
	s_waitcnt lgkmcnt(0)
	v_add_u16_e32 v19, v30, v37
	v_cmp_lt_u32_e32 vcc, v27, v18
	v_cmp_gt_u32_e64 s[2:3], 62, v27
	v_cndmask_b32_e32 v31, v29, v19, vcc
	v_cndmask_b32_e64 v29, 0, 1, s[2:3]
	v_lshlrev_b32_e32 v29, 1, v29
	v_add_lshl_u32 v29, v29, v15, 2
	ds_bpermute_b32 v32, v29, v31
	v_cndmask_b32_e32 v19, v37, v19, vcc
	v_add_u32_e32 v30, 2, v27
	v_cmp_gt_u32_e64 s[2:3], v30, v18
	v_cmp_gt_u32_e64 s[8:9], 60, v27
	s_waitcnt lgkmcnt(0)
	v_add_u16_e32 v32, v19, v32
	v_cndmask_b32_e64 v33, v32, v31, s[2:3]
	v_cndmask_b32_e64 v31, 0, 1, s[8:9]
	v_lshlrev_b32_e32 v31, 2, v31
	v_add_lshl_u32 v31, v31, v15, 2
	ds_bpermute_b32 v34, v31, v33
	v_cndmask_b32_e64 v19, v32, v19, s[2:3]
	v_add_u32_e32 v32, 4, v27
	v_cmp_gt_u32_e64 s[2:3], v32, v18
	v_cmp_gt_u32_e64 s[8:9], 56, v27
	s_waitcnt lgkmcnt(0)
	v_add_u16_e32 v34, v19, v34
	v_cndmask_b32_e64 v35, v34, v33, s[2:3]
	v_cndmask_b32_e64 v33, 0, 1, s[8:9]
	v_lshlrev_b32_e32 v33, 3, v33
	v_add_lshl_u32 v33, v33, v15, 2
	ds_bpermute_b32 v36, v33, v35
	v_cndmask_b32_e64 v19, v34, v19, s[2:3]
	;; [unrolled: 11-line block ×3, first 2 shown]
	v_add_u32_e32 v36, 16, v27
	v_cmp_gt_u32_e64 s[2:3], v36, v18
	v_cmp_gt_u32_e64 s[8:9], 32, v27
	s_waitcnt lgkmcnt(0)
	v_add_u16_e32 v40, v19, v39
	v_cndmask_b32_e64 v39, v40, v38, s[2:3]
	v_cndmask_b32_e64 v38, 0, 1, s[8:9]
	v_lshlrev_b32_e32 v38, 5, v38
	v_add_lshl_u32 v38, v38, v15, 2
	ds_bpermute_b32 v15, v38, v39
	v_add_u32_e32 v39, 32, v27
	v_cndmask_b32_e64 v19, v40, v19, s[2:3]
	v_cmp_le_u32_e64 s[2:3], v39, v18
	s_waitcnt lgkmcnt(0)
	v_cndmask_b32_e64 v15, 0, v15, s[2:3]
	v_add_u16_e32 v15, v19, v15
	v_cndmask_b32_e32 v18, v37, v15, vcc
	v_mov_b32_e32 v15, 0
	s_branch .LBB1053_64
.LBB1053_63:                            ;   in Loop: Header=BB1053_64 Depth=1
	s_or_b64 exec, exec, s[2:3]
	v_cmp_eq_u16_sdwa s[2:3], v26, v25 src0_sel:BYTE_0 src1_sel:DWORD
	v_and_b32_e32 v41, 0xffff, v40
	v_and_b32_e32 v18, s3, v17
	ds_bpermute_b32 v42, v28, v41
	v_or_b32_e32 v18, 0x80000000, v18
	v_and_b32_e32 v19, s2, v16
	v_ffbl_b32_e32 v18, v18
	v_add_u32_e32 v18, 32, v18
	v_ffbl_b32_e32 v19, v19
	v_min_u32_e32 v18, v19, v18
	s_waitcnt lgkmcnt(0)
	v_add_u16_e32 v19, v42, v40
	v_cmp_lt_u32_e32 vcc, v27, v18
	v_cndmask_b32_e32 v41, v41, v19, vcc
	ds_bpermute_b32 v42, v29, v41
	v_cndmask_b32_e32 v19, v40, v19, vcc
	v_cmp_gt_u32_e64 s[2:3], v30, v18
	v_subrev_u32_e32 v14, 64, v14
	s_waitcnt lgkmcnt(0)
	v_add_u16_e32 v42, v19, v42
	v_cndmask_b32_e64 v41, v42, v41, s[2:3]
	ds_bpermute_b32 v43, v31, v41
	v_cndmask_b32_e64 v19, v42, v19, s[2:3]
	v_cmp_gt_u32_e64 s[2:3], v32, v18
	s_waitcnt lgkmcnt(0)
	v_add_u16_e32 v42, v19, v43
	v_cndmask_b32_e64 v41, v42, v41, s[2:3]
	ds_bpermute_b32 v43, v33, v41
	v_cndmask_b32_e64 v19, v42, v19, s[2:3]
	v_cmp_gt_u32_e64 s[2:3], v34, v18
	;; [unrolled: 6-line block ×3, first 2 shown]
	s_waitcnt lgkmcnt(0)
	v_add_u16_e32 v42, v19, v43
	v_cndmask_b32_e64 v41, v42, v41, s[2:3]
	ds_bpermute_b32 v41, v38, v41
	v_cndmask_b32_e64 v19, v42, v19, s[2:3]
	v_cmp_le_u32_e64 s[2:3], v39, v18
	s_waitcnt lgkmcnt(0)
	v_cndmask_b32_e64 v18, 0, v41, s[2:3]
	v_add_u16_e32 v18, v19, v18
	v_cndmask_b32_e32 v18, v40, v18, vcc
	v_add_u16_e32 v18, v18, v37
.LBB1053_64:                            ; =>This Loop Header: Depth=1
                                        ;     Child Loop BB1053_67 Depth 2
	v_cmp_ne_u16_sdwa s[2:3], v26, v25 src0_sel:BYTE_0 src1_sel:DWORD
	v_cndmask_b32_e64 v19, 0, 1, s[2:3]
	;;#ASMSTART
	;;#ASMEND
	v_cmp_ne_u32_e32 vcc, 0, v19
	s_cmp_lg_u64 vcc, exec
	v_mov_b32_e32 v37, v18
	s_cbranch_scc1 .LBB1053_69
; %bb.65:                               ;   in Loop: Header=BB1053_64 Depth=1
	v_lshlrev_b64 v[18:19], 2, v[14:15]
	v_mov_b32_e32 v26, s21
	v_add_co_u32_e32 v18, vcc, s20, v18
	v_addc_co_u32_e32 v19, vcc, v26, v19, vcc
	global_load_dword v40, v[18:19], off glc
	s_waitcnt vmcnt(0)
	v_lshrrev_b32_e32 v26, 16, v40
	v_cmp_eq_u16_sdwa s[8:9], v26, v15 src0_sel:BYTE_0 src1_sel:DWORD
	s_and_saveexec_b64 s[2:3], s[8:9]
	s_cbranch_execz .LBB1053_63
; %bb.66:                               ;   in Loop: Header=BB1053_64 Depth=1
	s_mov_b64 s[8:9], 0
.LBB1053_67:                            ;   Parent Loop BB1053_64 Depth=1
                                        ; =>  This Inner Loop Header: Depth=2
	global_load_dword v40, v[18:19], off glc
	s_waitcnt vmcnt(0)
	v_lshrrev_b32_e32 v26, 16, v40
	v_cmp_ne_u16_sdwa s[24:25], v26, v15 src0_sel:BYTE_0 src1_sel:DWORD
	s_or_b64 s[8:9], s[24:25], s[8:9]
	s_andn2_b64 exec, exec, s[8:9]
	s_cbranch_execnz .LBB1053_67
; %bb.68:                               ;   in Loop: Header=BB1053_64 Depth=1
	s_or_b64 exec, exec, s[8:9]
	s_branch .LBB1053_63
.LBB1053_69:                            ;   in Loop: Header=BB1053_64 Depth=1
                                        ; implicit-def: $vgpr18
                                        ; implicit-def: $vgpr26
	s_cbranch_execz .LBB1053_64
; %bb.70:
	s_and_saveexec_b64 s[2:3], s[0:1]
	s_cbranch_execz .LBB1053_72
; %bb.71:
	s_add_i32 s0, s6, 64
	s_mov_b32 s1, 0
	s_lshl_b64 s[0:1], s[0:1], 2
	v_add_u16_e32 v14, v37, v24
	s_add_u32 s0, s20, s0
	v_or_b32_e32 v14, 0x20000, v14
	s_addc_u32 s1, s21, s1
	v_mov_b32_e32 v15, 0
	global_store_dword v15, v14, s[0:1]
.LBB1053_72:
	s_or_b64 exec, exec, s[2:3]
	v_cmp_eq_u32_e32 vcc, 0, v0
	s_and_b64 exec, exec, vcc
	s_cbranch_execz .LBB1053_74
; %bb.73:
	v_mov_b32_e32 v14, 0
	ds_write_b16 v14, v37
.LBB1053_74:
	s_or_b64 exec, exec, s[10:11]
	v_mov_b32_e32 v14, 0
	s_waitcnt lgkmcnt(0)
	; wave barrier
	s_waitcnt lgkmcnt(0)
	ds_read_u16 v14, v14
	v_cmp_ne_u32_e32 vcc, 0, v0
	v_cndmask_b32_e32 v15, 0, v23, vcc
	v_add_u16_e32 v15, v15, v10
	s_waitcnt lgkmcnt(0)
	v_add_u16_e32 v14, v15, v14
	v_add_u16_sdwa v15, v14, v10 dst_sel:DWORD dst_unused:UNUSED_PAD src0_sel:DWORD src1_sel:WORD_1
	v_add_u16_e32 v16, v15, v11
	v_add_u16_sdwa v17, v16, v11 dst_sel:DWORD dst_unused:UNUSED_PAD src0_sel:DWORD src1_sel:WORD_1
	;; [unrolled: 2-line block ×12, first 2 shown]
	s_load_dwordx8 s[4:11], s[4:5], 0x38
	s_branch .LBB1053_85
.LBB1053_75:
                                        ; implicit-def: $vgpr14
                                        ; implicit-def: $vgpr15
                                        ; implicit-def: $vgpr16
                                        ; implicit-def: $vgpr17
                                        ; implicit-def: $vgpr18
                                        ; implicit-def: $vgpr19
                                        ; implicit-def: $vgpr24
                                        ; implicit-def: $vgpr26
                                        ; implicit-def: $vgpr23
                                        ; implicit-def: $vgpr25
                                        ; implicit-def: $vgpr27
                                        ; implicit-def: $vgpr28
                                        ; implicit-def: $vgpr29
                                        ; implicit-def: $vgpr30
                                        ; implicit-def: $vgpr32
                                        ; implicit-def: $vgpr34
                                        ; implicit-def: $vgpr31
                                        ; implicit-def: $vgpr33
                                        ; implicit-def: $vgpr35
                                        ; implicit-def: $vgpr36
                                        ; implicit-def: $vgpr37
                                        ; implicit-def: $vgpr38
                                        ; implicit-def: $vgpr39
                                        ; implicit-def: $vgpr40
	s_load_dwordx8 s[4:11], s[4:5], 0x38
	s_cbranch_execz .LBB1053_85
; %bb.76:
	s_waitcnt lgkmcnt(0)
	s_cmp_lg_u64 s[8:9], 0
	s_cselect_b64 s[2:3], -1, 0
	v_cmp_eq_u32_e32 vcc, 0, v0
	v_cmp_ne_u32_e64 s[0:1], 0, v0
	s_and_b64 s[8:9], vcc, s[2:3]
	v_mov_b32_e32 v14, v10
	s_and_saveexec_b64 s[2:3], s[8:9]
	s_cbranch_execz .LBB1053_78
; %bb.77:
	v_mov_b32_e32 v14, 0
	global_load_ushort v14, v14, s[4:5]
	s_waitcnt vmcnt(0)
	v_add_u16_e32 v14, v14, v10
.LBB1053_78:
	s_or_b64 exec, exec, s[2:3]
	v_add_u16_sdwa v15, v14, v10 dst_sel:DWORD dst_unused:UNUSED_PAD src0_sel:DWORD src1_sel:WORD_1
	v_add_u16_e32 v16, v15, v11
	v_add_u16_sdwa v17, v16, v11 dst_sel:DWORD dst_unused:UNUSED_PAD src0_sel:DWORD src1_sel:WORD_1
	v_add_u16_e32 v18, v17, v12
	;; [unrolled: 2-line block ×11, first 2 shown]
	v_mbcnt_hi_u32_b32 v22, -1, v22
	v_add_u16_sdwa v40, v39, v5 dst_sel:DWORD dst_unused:UNUSED_PAD src0_sel:DWORD src1_sel:WORD_1
	v_and_b32_e32 v41, 15, v22
	v_cmp_ne_u32_e32 vcc, 0, v41
	v_mov_b32_dpp v42, v40 row_shr:1 row_mask:0xf bank_mask:0xf
	v_cndmask_b32_e32 v42, 0, v42, vcc
	v_add_u16_e32 v42, v40, v42
	v_cmp_lt_u32_e32 vcc, 1, v41
	s_nop 0
	v_mov_b32_dpp v43, v42 row_shr:2 row_mask:0xf bank_mask:0xf
	v_cndmask_b32_e32 v43, 0, v43, vcc
	v_add_u16_e32 v42, v42, v43
	v_cmp_lt_u32_e32 vcc, 3, v41
	s_nop 0
	v_mov_b32_dpp v43, v42 row_shr:4 row_mask:0xf bank_mask:0xf
	v_cndmask_b32_e32 v43, 0, v43, vcc
	v_add_u16_e32 v42, v42, v43
	v_cmp_lt_u32_e32 vcc, 7, v41
	s_nop 0
	v_mov_b32_dpp v43, v42 row_shr:8 row_mask:0xf bank_mask:0xf
	v_cndmask_b32_e32 v41, 0, v43, vcc
	v_add_u16_e32 v41, v42, v41
	v_and_b32_e32 v43, 16, v22
	v_cmp_ne_u32_e32 vcc, 0, v43
	v_mov_b32_dpp v42, v41 row_bcast:15 row_mask:0xf bank_mask:0xf
	v_cndmask_b32_e32 v42, 0, v42, vcc
	v_add_u16_e32 v41, v41, v42
	v_cmp_lt_u32_e32 vcc, 31, v22
	s_nop 0
	v_mov_b32_dpp v42, v41 row_bcast:31 row_mask:0xf bank_mask:0xf
	v_cndmask_b32_e32 v42, 0, v42, vcc
	v_add_u16_e32 v41, v41, v42
	v_cmp_eq_u32_e32 vcc, 63, v0
	s_and_saveexec_b64 s[2:3], vcc
	s_cbranch_execz .LBB1053_80
; %bb.79:
	v_mov_b32_e32 v42, 0
	ds_write_b16 v42, v41
.LBB1053_80:
	s_or_b64 exec, exec, s[2:3]
	v_add_u32_e32 v42, -1, v22
	v_and_b32_e32 v43, 64, v22
	v_cmp_lt_i32_e64 s[2:3], v42, v43
	v_cndmask_b32_e64 v22, v42, v22, s[2:3]
	v_lshlrev_b32_e32 v22, 2, v22
	ds_bpermute_b32 v22, v22, v41
	s_waitcnt lgkmcnt(0)
	; wave barrier
	s_waitcnt lgkmcnt(0)
	s_and_saveexec_b64 s[2:3], s[0:1]
	s_cbranch_execz .LBB1053_82
; %bb.81:
	v_add_u16_e32 v14, v14, v22
	v_add_u16_sdwa v15, v14, v10 dst_sel:DWORD dst_unused:UNUSED_PAD src0_sel:DWORD src1_sel:WORD_1
	v_add_u16_e32 v16, v15, v11
	v_add_u16_sdwa v17, v16, v11 dst_sel:DWORD dst_unused:UNUSED_PAD src0_sel:DWORD src1_sel:WORD_1
	;; [unrolled: 2-line block ×12, first 2 shown]
	;;#ASMSTART
	;;#ASMEND
.LBB1053_82:
	s_or_b64 exec, exec, s[2:3]
	s_and_saveexec_b64 s[0:1], vcc
	s_cbranch_execz .LBB1053_84
; %bb.83:
	s_mov_b32 s2, 0x20000
	v_mov_b32_e32 v2, 0
	v_or_b32_sdwa v3, v40, s2 dst_sel:DWORD dst_unused:UNUSED_PAD src0_sel:WORD_0 src1_sel:DWORD
	global_store_dword v2, v3, s[20:21] offset:256
.LBB1053_84:
	s_or_b64 exec, exec, s[0:1]
.LBB1053_85:
	s_add_u32 s0, s12, s16
	s_addc_u32 s1, s13, s17
	s_add_u32 s2, s0, s18
	s_addc_u32 s3, s1, s19
	s_mov_b64 s[0:1], -1
	s_and_b64 vcc, exec, s[14:15]
	s_waitcnt lgkmcnt(0)
	; wave barrier
	s_waitcnt lgkmcnt(0)
	s_cbranch_vccz .LBB1053_87
; %bb.86:
	s_mov_b32 s0, 0x5040100
	v_perm_b32 v5, v26, v24, s0
	v_perm_b32 v4, v19, v18, s0
	;; [unrolled: 1-line block ×4, first 2 shown]
	ds_write_b128 v1, v[2:5]
	v_perm_b32 v5, v34, v32, s0
	v_perm_b32 v4, v30, v29, s0
	;; [unrolled: 1-line block ×4, first 2 shown]
	ds_write_b128 v1, v[2:5] offset:16
	v_perm_b32 v5, v40, v39, s0
	v_perm_b32 v4, v38, v37, s0
	;; [unrolled: 1-line block ×4, first 2 shown]
	ds_write_b128 v1, v[2:5] offset:32
	s_waitcnt lgkmcnt(0)
	; wave barrier
	s_waitcnt lgkmcnt(0)
	ds_read_u16 v4, v20
	ds_read_u16 v5, v20 offset:128
	ds_read_u16 v6, v20 offset:256
	;; [unrolled: 1-line block ×23, first 2 shown]
	v_mov_b32_e32 v3, s3
	v_add_co_u32_e32 v2, vcc, s2, v20
	v_addc_co_u32_e32 v3, vcc, 0, v3, vcc
	s_waitcnt lgkmcnt(14)
	flat_store_short v[2:3], v4
	flat_store_short v[2:3], v5 offset:128
	flat_store_short v[2:3], v6 offset:256
	;; [unrolled: 1-line block ×9, first 2 shown]
	s_waitcnt lgkmcnt(0)
	flat_store_short v[2:3], v22 offset:1280
	flat_store_short v[2:3], v41 offset:1408
	;; [unrolled: 1-line block ×14, first 2 shown]
	s_mov_b64 s[0:1], 0
.LBB1053_87:
	s_andn2_b64 vcc, exec, s[0:1]
	s_cbranch_vccnz .LBB1053_144
; %bb.88:
	s_mov_b32 s0, 0x5040100
	v_perm_b32 v5, v26, v24, s0
	v_perm_b32 v4, v19, v18, s0
	;; [unrolled: 1-line block ×4, first 2 shown]
	ds_write_b128 v1, v[2:5]
	v_perm_b32 v5, v34, v32, s0
	v_perm_b32 v4, v30, v29, s0
	;; [unrolled: 1-line block ×4, first 2 shown]
	ds_write_b128 v1, v[2:5] offset:16
	v_perm_b32 v5, v40, v39, s0
	v_perm_b32 v4, v38, v37, s0
	;; [unrolled: 1-line block ×4, first 2 shown]
	ds_write_b128 v1, v[2:5] offset:32
	s_waitcnt lgkmcnt(0)
	; wave barrier
	s_waitcnt lgkmcnt(0)
	ds_read_u16 v5, v20
	ds_read_u16 v4, v20 offset:128
	ds_read_u16 v7, v20 offset:256
	;; [unrolled: 1-line block ×23, first 2 shown]
	v_mov_b32_e32 v3, s3
	v_add_co_u32_e32 v2, vcc, s2, v20
	v_addc_co_u32_e32 v3, vcc, 0, v3, vcc
	v_mov_b32_e32 v1, 0
	v_cmp_gt_u32_e32 vcc, s22, v0
	s_and_saveexec_b64 s[0:1], vcc
	s_cbranch_execz .LBB1053_90
; %bb.89:
	s_waitcnt lgkmcnt(0)
	flat_store_short v[2:3], v5
.LBB1053_90:
	s_or_b64 exec, exec, s[0:1]
	v_or_b32_e32 v20, 64, v0
	v_cmp_gt_u32_e32 vcc, s22, v20
	s_and_saveexec_b64 s[0:1], vcc
	s_cbranch_execz .LBB1053_92
; %bb.91:
	s_waitcnt lgkmcnt(0)
	flat_store_short v[2:3], v4 offset:128
.LBB1053_92:
	s_or_b64 exec, exec, s[0:1]
	v_or_b32_e32 v20, 0x80, v0
	v_cmp_gt_u32_e32 vcc, s22, v20
	s_and_saveexec_b64 s[0:1], vcc
	s_cbranch_execz .LBB1053_94
; %bb.93:
	s_waitcnt lgkmcnt(0)
	flat_store_short v[2:3], v7 offset:256
.LBB1053_94:
	;; [unrolled: 9-line block ×23, first 2 shown]
	s_or_b64 exec, exec, s[0:1]
	v_cmp_lt_u64_e64 s[0:1], s[10:11], 2
	s_and_b64 vcc, exec, s[0:1]
	s_cbranch_vccnz .LBB1053_144
; %bb.137:
	s_add_u32 s0, s22, -1
	s_addc_u32 s1, s23, -1
	s_add_u32 s2, 0, 0xaaaa0000
	s_addc_u32 s3, 0, 42
	s_add_i32 s3, s3, 0xaaaaa80
	s_mul_hi_u32 s9, s2, 0xffffffe8
	s_sub_i32 s9, s9, s2
	s_mul_i32 s10, s3, 0xffffffe8
	s_mul_i32 s4, s2, 0xffffffe8
	s_add_i32 s9, s9, s10
	s_mul_hi_u32 s5, s3, s4
	s_mul_i32 s8, s3, s4
	s_mul_i32 s11, s2, s9
	s_mul_hi_u32 s4, s2, s4
	s_mul_hi_u32 s10, s2, s9
	s_add_u32 s4, s4, s11
	s_addc_u32 s10, 0, s10
	s_add_u32 s4, s4, s8
	s_mul_hi_u32 s11, s3, s9
	s_addc_u32 s4, s10, s5
	s_addc_u32 s5, s11, 0
	s_mul_i32 s8, s3, s9
	s_add_u32 s4, s4, s8
	v_mov_b32_e32 v2, s4
	s_addc_u32 s5, 0, s5
	v_add_co_u32_e32 v2, vcc, s2, v2
	s_cmp_lg_u64 vcc, 0
	s_addc_u32 s2, s3, s5
	v_readfirstlane_b32 s5, v2
	s_mul_i32 s4, s0, s2
	s_mul_hi_u32 s8, s0, s5
	s_mul_hi_u32 s3, s0, s2
	s_add_u32 s4, s8, s4
	s_addc_u32 s3, 0, s3
	s_mul_hi_u32 s9, s1, s5
	s_mul_i32 s5, s1, s5
	s_add_u32 s4, s4, s5
	s_mul_hi_u32 s8, s1, s2
	s_addc_u32 s3, s3, s9
	s_addc_u32 s4, s8, 0
	s_mul_i32 s2, s1, s2
	s_add_u32 s2, s3, s2
	s_addc_u32 s3, 0, s4
	s_add_u32 s4, s2, 1
	s_addc_u32 s5, s3, 0
	s_add_u32 s8, s2, 2
	s_mul_i32 s10, s3, 24
	s_mul_hi_u32 s11, s2, 24
	s_addc_u32 s9, s3, 0
	s_add_i32 s11, s11, s10
	s_mul_i32 s10, s2, 24
	v_mov_b32_e32 v2, s10
	v_sub_co_u32_e32 v2, vcc, s0, v2
	s_cmp_lg_u64 vcc, 0
	s_subb_u32 s10, s1, s11
	v_subrev_co_u32_e32 v3, vcc, 24, v2
	s_cmp_lg_u64 vcc, 0
	s_subb_u32 s11, s10, 0
	v_readfirstlane_b32 s12, v3
	s_cmp_gt_u32 s12, 23
	s_cselect_b32 s12, -1, 0
	s_cmp_eq_u32 s11, 0
	s_cselect_b32 s11, s12, -1
	s_cmp_lg_u32 s11, 0
	s_cselect_b32 s4, s8, s4
	v_readfirstlane_b32 s8, v2
	s_cselect_b32 s5, s9, s5
	s_cmp_gt_u32 s8, 23
	s_cselect_b32 s8, -1, 0
	s_cmp_eq_u32 s10, 0
	s_cselect_b32 s8, s8, -1
	s_cmp_lg_u32 s8, 0
	s_cselect_b32 s3, s5, s3
	s_cselect_b32 s2, s4, s2
	v_cmp_eq_u64_e32 vcc, s[2:3], v[0:1]
	s_and_saveexec_b64 s[2:3], vcc
	s_cbranch_execz .LBB1053_144
; %bb.138:
	v_mul_hi_u32_u24_e32 v1, 24, v0
	v_mov_b32_e32 v2, s1
	v_sub_co_u32_e32 v0, vcc, s0, v21
	v_subb_co_u32_e32 v1, vcc, v2, v1, vcc
	v_cmp_lt_i64_e32 vcc, 11, v[0:1]
	s_mov_b64 s[0:1], 0
	s_mov_b64 s[10:11], 0
	;; [unrolled: 1-line block ×4, first 2 shown]
	s_and_saveexec_b64 s[2:3], vcc
	s_xor_b64 s[2:3], exec, s[2:3]
	s_cbranch_execnz .LBB1053_145
; %bb.139:
	s_andn2_saveexec_b64 s[2:3], s[2:3]
	s_cbranch_execnz .LBB1053_190
.LBB1053_140:
	s_or_b64 exec, exec, s[2:3]
	s_and_saveexec_b64 s[2:3], s[10:11]
	s_cbranch_execnz .LBB1053_207
.LBB1053_141:
	s_or_b64 exec, exec, s[2:3]
	s_and_saveexec_b64 s[2:3], s[8:9]
	s_cbranch_execnz .LBB1053_208
.LBB1053_142:
	s_or_b64 exec, exec, s[2:3]
	s_and_saveexec_b64 s[2:3], s[4:5]
	s_xor_b64 s[2:3], exec, s[2:3]
	s_cbranch_execnz .LBB1053_209
.LBB1053_143:
	s_or_b64 exec, exec, s[2:3]
	s_and_b64 exec, exec, s[0:1]
	s_cbranch_execnz .LBB1053_210
.LBB1053_144:
	s_endpgm
.LBB1053_145:
	v_cmp_lt_i64_e32 vcc, 17, v[0:1]
	s_and_saveexec_b64 s[12:13], vcc
	s_xor_b64 s[12:13], exec, s[12:13]
	s_cbranch_execz .LBB1053_167
; %bb.146:
	v_cmp_lt_i64_e32 vcc, 20, v[0:1]
                                        ; implicit-def: $vgpr10
	s_and_saveexec_b64 s[14:15], vcc
	s_xor_b64 s[14:15], exec, s[14:15]
	s_cbranch_execz .LBB1053_156
; %bb.147:
	v_cmp_lt_i64_e32 vcc, 21, v[0:1]
	s_mov_b64 s[16:17], 0
                                        ; implicit-def: $vgpr10
	s_and_saveexec_b64 s[4:5], vcc
	s_xor_b64 s[4:5], exec, s[4:5]
	s_cbranch_execz .LBB1053_153
; %bb.148:
	v_cmp_lt_i64_e32 vcc, 22, v[0:1]
	s_and_saveexec_b64 s[16:17], vcc
	s_xor_b64 s[16:17], exec, s[16:17]
	s_cbranch_execz .LBB1053_150
; %bb.149:
	v_mov_b32_e32 v2, 0
	s_waitcnt lgkmcnt(0)
	global_store_short v2, v29, s[6:7]
                                        ; implicit-def: $vgpr28
.LBB1053_150:
	s_or_saveexec_b64 s[16:17], s[16:17]
	s_mov_b64 s[18:19], 0
	s_xor_b64 exec, exec, s[16:17]
; %bb.151:
	s_mov_b64 s[18:19], exec
; %bb.152:
	s_or_b64 exec, exec, s[16:17]
	s_and_b64 s[16:17], s[18:19], exec
	s_waitcnt lgkmcnt(0)
	v_mov_b32_e32 v10, v28
                                        ; implicit-def: $vgpr11
.LBB1053_153:
	s_andn2_saveexec_b64 s[4:5], s[4:5]
; %bb.154:
	s_mov_b64 s[8:9], exec
                                        ; implicit-def: $vgpr10
; %bb.155:
	s_or_b64 exec, exec, s[4:5]
	s_and_b64 s[4:5], s[16:17], exec
	s_and_b64 s[8:9], s[8:9], exec
                                        ; implicit-def: $vgpr26
                                        ; implicit-def: $vgpr12
                                        ; implicit-def: $vgpr23
.LBB1053_156:
	s_andn2_saveexec_b64 s[14:15], s[14:15]
	s_cbranch_execz .LBB1053_166
; %bb.157:
	v_cmp_lt_i64_e32 vcc, 18, v[0:1]
	s_mov_b64 s[16:17], 0
	s_and_saveexec_b64 s[10:11], vcc
	s_xor_b64 s[10:11], exec, s[10:11]
	s_cbranch_execz .LBB1053_163
; %bb.158:
	v_cmp_lt_i64_e32 vcc, 19, v[0:1]
	s_and_saveexec_b64 s[18:19], vcc
	s_xor_b64 s[18:19], exec, s[18:19]
; %bb.159:
	s_mov_b64 s[16:17], exec
                                        ; implicit-def: $vgpr23
; %bb.160:
	s_andn2_saveexec_b64 s[18:19], s[18:19]
	s_cbranch_execz .LBB1053_162
; %bb.161:
	v_mov_b32_e32 v2, 0
	s_waitcnt lgkmcnt(0)
	global_store_short v2, v23, s[6:7]
                                        ; implicit-def: $vgpr12
.LBB1053_162:
	s_or_b64 exec, exec, s[18:19]
	s_and_b64 s[16:17], s[16:17], exec
                                        ; implicit-def: $vgpr26
.LBB1053_163:
	s_andn2_saveexec_b64 s[10:11], s[10:11]
	s_cbranch_execz .LBB1053_165
; %bb.164:
	v_mov_b32_e32 v2, 0
	s_waitcnt lgkmcnt(0)
	global_store_short v2, v26, s[6:7]
                                        ; implicit-def: $vgpr12
.LBB1053_165:
	s_or_b64 exec, exec, s[10:11]
	s_and_b64 s[10:11], s[16:17], exec
                                        ; implicit-def: $vgpr10
                                        ; implicit-def: $vgpr11
.LBB1053_166:
	s_or_b64 exec, exec, s[14:15]
	s_and_b64 s[4:5], s[4:5], exec
	s_and_b64 s[8:9], s[8:9], exec
	s_and_b64 s[10:11], s[10:11], exec
                                        ; implicit-def: $vgpr18
                                        ; implicit-def: $vgpr13
                                        ; implicit-def: $vgpr14
                                        ; implicit-def: $vgpr24
                                        ; implicit-def: $vgpr27
.LBB1053_167:
	s_andn2_saveexec_b64 s[12:13], s[12:13]
	s_cbranch_execz .LBB1053_189
; %bb.168:
	v_cmp_lt_i64_e32 vcc, 14, v[0:1]
	s_mov_b64 s[14:15], s[4:5]
	s_and_saveexec_b64 s[16:17], vcc
	s_xor_b64 s[16:17], exec, s[16:17]
	s_cbranch_execz .LBB1053_178
; %bb.169:
	v_cmp_lt_i64_e32 vcc, 15, v[0:1]
	s_and_saveexec_b64 s[14:15], vcc
	s_xor_b64 s[14:15], exec, s[14:15]
	s_cbranch_execz .LBB1053_175
; %bb.170:
	v_cmp_lt_i64_e32 vcc, 16, v[0:1]
	s_and_saveexec_b64 s[18:19], vcc
	s_xor_b64 s[18:19], exec, s[18:19]
	s_cbranch_execz .LBB1053_172
; %bb.171:
	v_mov_b32_e32 v2, 0
	s_waitcnt lgkmcnt(0)
	global_store_short v2, v27, s[6:7]
                                        ; implicit-def: $vgpr24
.LBB1053_172:
	s_andn2_saveexec_b64 s[18:19], s[18:19]
	s_cbranch_execz .LBB1053_174
; %bb.173:
	v_mov_b32_e32 v2, 0
	s_waitcnt lgkmcnt(0)
	global_store_short v2, v24, s[6:7]
.LBB1053_174:
	s_or_b64 exec, exec, s[18:19]
                                        ; implicit-def: $vgpr10
.LBB1053_175:
	s_or_saveexec_b64 s[14:15], s[14:15]
	s_mov_b64 s[18:19], s[4:5]
	s_xor_b64 exec, exec, s[14:15]
; %bb.176:
	s_or_b64 s[18:19], s[4:5], exec
; %bb.177:
	s_or_b64 exec, exec, s[14:15]
	s_andn2_b64 s[14:15], s[4:5], exec
	s_and_b64 s[18:19], s[18:19], exec
	s_or_b64 s[14:15], s[14:15], s[18:19]
                                        ; implicit-def: $vgpr18
                                        ; implicit-def: $vgpr13
                                        ; implicit-def: $vgpr14
.LBB1053_178:
	s_or_saveexec_b64 s[16:17], s[16:17]
	s_mov_b64 s[18:19], s[8:9]
                                        ; implicit-def: $vgpr11
	s_xor_b64 exec, exec, s[16:17]
	s_cbranch_execz .LBB1053_188
; %bb.179:
	v_cmp_lt_i64_e32 vcc, 12, v[0:1]
	s_mov_b64 s[20:21], s[8:9]
	s_mov_b64 s[22:23], s[14:15]
                                        ; implicit-def: $vgpr10
                                        ; implicit-def: $vgpr11
	s_and_saveexec_b64 s[18:19], vcc
	s_xor_b64 s[18:19], exec, s[18:19]
	s_cbranch_execz .LBB1053_185
; %bb.180:
	v_cmp_lt_i64_e32 vcc, 13, v[0:1]
	s_mov_b64 s[20:21], s[14:15]
	s_and_saveexec_b64 s[22:23], vcc
	s_xor_b64 s[22:23], exec, s[22:23]
; %bb.181:
	s_or_b64 s[20:21], s[14:15], exec
                                        ; implicit-def: $vgpr13
; %bb.182:
	s_or_saveexec_b64 s[22:23], s[22:23]
	s_mov_b64 s[24:25], s[8:9]
	s_xor_b64 exec, exec, s[22:23]
; %bb.183:
	s_or_b64 s[24:25], s[8:9], exec
                                        ; implicit-def: $vgpr14
; %bb.184:
	s_or_b64 exec, exec, s[22:23]
	s_andn2_b64 s[22:23], s[14:15], exec
	s_and_b64 s[20:21], s[20:21], exec
	s_or_b64 s[22:23], s[22:23], s[20:21]
	s_andn2_b64 s[20:21], s[8:9], exec
	s_and_b64 s[24:25], s[24:25], exec
	s_or_b64 s[20:21], s[20:21], s[24:25]
	s_waitcnt lgkmcnt(0)
	v_mov_b32_e32 v10, v14
	v_mov_b32_e32 v11, v13
                                        ; implicit-def: $vgpr18
.LBB1053_185:
	s_andn2_saveexec_b64 s[18:19], s[18:19]
	s_cbranch_execz .LBB1053_187
; %bb.186:
	s_or_b64 s[20:21], s[20:21], exec
                                        ; implicit-def: $vgpr10
	s_waitcnt lgkmcnt(0)
	v_mov_b32_e32 v11, v18
.LBB1053_187:
	s_or_b64 exec, exec, s[18:19]
	s_andn2_b64 s[14:15], s[14:15], exec
	s_and_b64 s[18:19], s[22:23], exec
	s_or_b64 s[14:15], s[14:15], s[18:19]
	s_andn2_b64 s[18:19], s[8:9], exec
	s_and_b64 s[20:21], s[20:21], exec
	s_or_b64 s[18:19], s[18:19], s[20:21]
.LBB1053_188:
	s_or_b64 exec, exec, s[16:17]
	s_andn2_b64 s[4:5], s[4:5], exec
	s_and_b64 s[14:15], s[14:15], exec
	s_or_b64 s[4:5], s[4:5], s[14:15]
	s_andn2_b64 s[8:9], s[8:9], exec
	s_and_b64 s[14:15], s[18:19], exec
	s_or_b64 s[8:9], s[8:9], s[14:15]
                                        ; implicit-def: $vgpr12
.LBB1053_189:
	s_or_b64 exec, exec, s[12:13]
	s_and_b64 s[4:5], s[4:5], exec
	s_and_b64 s[8:9], s[8:9], exec
	s_and_b64 s[10:11], s[10:11], exec
                                        ; implicit-def: $vgpr17
                                        ; implicit-def: $vgpr15
                                        ; implicit-def: $vgpr16
                                        ; implicit-def: $vgpr25
                                        ; implicit-def: $vgpr22
                                        ; implicit-def: $vgpr19
	s_andn2_saveexec_b64 s[2:3], s[2:3]
	s_cbranch_execz .LBB1053_140
.LBB1053_190:
	v_cmp_lt_i64_e32 vcc, 5, v[0:1]
	s_mov_b64 s[14:15], -1
	s_mov_b64 s[12:13], s[10:11]
	s_mov_b64 s[16:17], s[8:9]
	s_mov_b64 s[18:19], s[4:5]
                                        ; implicit-def: $vgpr10
                                        ; implicit-def: $vgpr11
                                        ; implicit-def: $vgpr12
	s_and_saveexec_b64 s[0:1], vcc
	s_cbranch_execz .LBB1053_206
; %bb.191:
	v_cmp_lt_i64_e32 vcc, 8, v[0:1]
	s_mov_b64 s[12:13], s[10:11]
                                        ; implicit-def: $vgpr12
	s_and_saveexec_b64 s[14:15], vcc
	s_xor_b64 s[14:15], exec, s[14:15]
	s_cbranch_execz .LBB1053_201
; %bb.192:
	v_cmp_lt_i64_e32 vcc, 9, v[0:1]
	s_and_saveexec_b64 s[12:13], vcc
	s_xor_b64 s[12:13], exec, s[12:13]
	s_cbranch_execz .LBB1053_198
; %bb.193:
	v_cmp_lt_i64_e32 vcc, 10, v[0:1]
	s_and_saveexec_b64 s[16:17], vcc
	s_xor_b64 s[16:17], exec, s[16:17]
; %bb.194:
                                        ; implicit-def: $vgpr22
; %bb.195:
	s_andn2_saveexec_b64 s[16:17], s[16:17]
	s_cbranch_execz .LBB1053_197
; %bb.196:
	s_waitcnt lgkmcnt(0)
	v_mov_b32_e32 v19, v22
.LBB1053_197:
	s_or_b64 exec, exec, s[16:17]
                                        ; implicit-def: $vgpr25
.LBB1053_198:
	s_andn2_saveexec_b64 s[12:13], s[12:13]
	s_cbranch_execz .LBB1053_200
; %bb.199:
	s_waitcnt lgkmcnt(0)
	v_mov_b32_e32 v19, v25
.LBB1053_200:
	s_or_b64 exec, exec, s[12:13]
	s_or_b64 s[12:13], s[10:11], exec
	s_waitcnt lgkmcnt(0)
	v_mov_b32_e32 v12, v19
                                        ; implicit-def: $vgpr17
                                        ; implicit-def: $vgpr15
                                        ; implicit-def: $vgpr16
.LBB1053_201:
	s_or_saveexec_b64 s[14:15], s[14:15]
	s_mov_b64 s[16:17], s[8:9]
	s_mov_b64 s[20:21], s[4:5]
                                        ; implicit-def: $vgpr10
                                        ; implicit-def: $vgpr11
	s_xor_b64 exec, exec, s[14:15]
	s_cbranch_execz .LBB1053_205
; %bb.202:
	v_cmp_lt_i64_e32 vcc, 6, v[0:1]
	s_mov_b64 s[20:21], -1
	s_mov_b64 s[18:19], s[12:13]
	s_mov_b64 s[16:17], s[8:9]
	s_and_saveexec_b64 s[22:23], vcc
; %bb.203:
	v_cmp_lt_i64_e32 vcc, 7, v[0:1]
	s_andn2_b64 s[18:19], s[12:13], exec
	s_and_b64 s[24:25], vcc, exec
	s_xor_b64 s[20:21], exec, -1
	s_or_b64 s[16:17], s[8:9], exec
	s_or_b64 s[18:19], s[18:19], s[24:25]
                                        ; implicit-def: $vgpr17
; %bb.204:
	s_or_b64 exec, exec, s[22:23]
	s_andn2_b64 s[22:23], s[4:5], exec
	s_and_b64 s[20:21], s[20:21], exec
	s_or_b64 s[20:21], s[22:23], s[20:21]
	s_andn2_b64 s[22:23], s[8:9], exec
	s_and_b64 s[16:17], s[16:17], exec
	s_andn2_b64 s[12:13], s[12:13], exec
	s_and_b64 s[18:19], s[18:19], exec
	s_or_b64 s[16:17], s[22:23], s[16:17]
	s_or_b64 s[12:13], s[12:13], s[18:19]
	s_waitcnt lgkmcnt(0)
	v_mov_b32_e32 v10, v17
	v_mov_b32_e32 v11, v15
	v_mov_b32_e32 v12, v16
.LBB1053_205:
	s_or_b64 exec, exec, s[14:15]
	s_andn2_b64 s[18:19], s[4:5], exec
	s_and_b64 s[20:21], s[20:21], exec
	s_or_b64 s[18:19], s[18:19], s[20:21]
	s_andn2_b64 s[20:21], s[8:9], exec
	s_and_b64 s[16:17], s[16:17], exec
	s_or_b64 s[16:17], s[20:21], s[16:17]
	s_andn2_b64 s[20:21], s[10:11], exec
	s_and_b64 s[12:13], s[12:13], exec
	s_xor_b64 s[14:15], exec, -1
	s_or_b64 s[12:13], s[20:21], s[12:13]
.LBB1053_206:
	s_or_b64 exec, exec, s[0:1]
	s_and_b64 s[0:1], s[14:15], exec
	s_andn2_b64 s[4:5], s[4:5], exec
	s_and_b64 s[14:15], s[18:19], exec
	s_or_b64 s[4:5], s[4:5], s[14:15]
	s_andn2_b64 s[8:9], s[8:9], exec
	s_and_b64 s[14:15], s[16:17], exec
	s_andn2_b64 s[10:11], s[10:11], exec
	s_and_b64 s[12:13], s[12:13], exec
	s_or_b64 s[8:9], s[8:9], s[14:15]
	s_or_b64 s[10:11], s[10:11], s[12:13]
	s_or_b64 exec, exec, s[2:3]
	s_and_saveexec_b64 s[2:3], s[10:11]
	s_cbranch_execz .LBB1053_141
.LBB1053_207:
	v_mov_b32_e32 v2, 0
	s_andn2_b64 s[8:9], s[8:9], exec
	s_waitcnt lgkmcnt(0)
	global_store_short v2, v12, s[6:7]
                                        ; implicit-def: $vgpr10
                                        ; implicit-def: $vgpr11
	s_or_b64 exec, exec, s[2:3]
	s_and_saveexec_b64 s[2:3], s[8:9]
	s_cbranch_execz .LBB1053_142
.LBB1053_208:
	v_mov_b32_e32 v2, 0
	s_waitcnt lgkmcnt(0)
	global_store_short v2, v11, s[6:7]
                                        ; implicit-def: $vgpr10
	s_or_b64 exec, exec, s[2:3]
	s_and_saveexec_b64 s[2:3], s[4:5]
	s_xor_b64 s[2:3], exec, s[2:3]
	s_cbranch_execz .LBB1053_143
.LBB1053_209:
	v_mov_b32_e32 v2, 0
	s_waitcnt lgkmcnt(0)
	global_store_short v2, v10, s[6:7]
	s_or_b64 exec, exec, s[2:3]
	s_and_b64 exec, exec, s[0:1]
	s_cbranch_execz .LBB1053_144
.LBB1053_210:
	v_cmp_lt_i64_e32 vcc, 2, v[0:1]
	s_and_saveexec_b64 s[0:1], vcc
	s_xor_b64 s[0:1], exec, s[0:1]
	s_cbranch_execz .LBB1053_220
; %bb.211:
	v_cmp_lt_i64_e32 vcc, 3, v[0:1]
	s_and_saveexec_b64 s[2:3], vcc
	s_xor_b64 s[2:3], exec, s[2:3]
	s_cbranch_execz .LBB1053_217
; %bb.212:
	;; [unrolled: 5-line block ×3, first 2 shown]
	v_mov_b32_e32 v0, 0
	s_waitcnt lgkmcnt(0)
	global_store_short v0, v9, s[6:7]
                                        ; implicit-def: $vgpr6
.LBB1053_214:
	s_andn2_saveexec_b64 s[4:5], s[4:5]
	s_cbranch_execz .LBB1053_216
; %bb.215:
	v_mov_b32_e32 v0, 0
	s_waitcnt lgkmcnt(0)
	global_store_short v0, v6, s[6:7]
.LBB1053_216:
	s_or_b64 exec, exec, s[4:5]
                                        ; implicit-def: $vgpr8
.LBB1053_217:
	s_andn2_saveexec_b64 s[2:3], s[2:3]
	s_cbranch_execz .LBB1053_219
; %bb.218:
	v_mov_b32_e32 v0, 0
	s_waitcnt lgkmcnt(0)
	global_store_short v0, v8, s[6:7]
.LBB1053_219:
	s_or_b64 exec, exec, s[2:3]
                                        ; implicit-def: $vgpr0_vgpr1
                                        ; implicit-def: $vgpr7
                                        ; implicit-def: $vgpr4
                                        ; implicit-def: $vgpr5
.LBB1053_220:
	s_andn2_saveexec_b64 s[0:1], s[0:1]
	s_cbranch_execz .LBB1053_144
; %bb.221:
	v_cmp_lt_i64_e32 vcc, 1, v[0:1]
	s_and_saveexec_b64 s[0:1], vcc
	s_xor_b64 s[0:1], exec, s[0:1]
	s_cbranch_execz .LBB1053_223
; %bb.222:
	v_mov_b32_e32 v0, 0
	s_waitcnt lgkmcnt(0)
	global_store_short v0, v7, s[6:7]
                                        ; implicit-def: $vgpr4
                                        ; implicit-def: $vgpr0_vgpr1
                                        ; implicit-def: $vgpr5
.LBB1053_223:
	s_andn2_saveexec_b64 s[0:1], s[0:1]
	s_cbranch_execz .LBB1053_144
; %bb.224:
	v_cmp_ne_u64_e32 vcc, 1, v[0:1]
	s_and_saveexec_b64 s[0:1], vcc
	s_xor_b64 s[0:1], exec, s[0:1]
	s_cbranch_execz .LBB1053_226
; %bb.225:
	v_mov_b32_e32 v0, 0
	s_waitcnt lgkmcnt(0)
	global_store_short v0, v5, s[6:7]
                                        ; implicit-def: $vgpr4
.LBB1053_226:
	s_andn2_saveexec_b64 s[0:1], s[0:1]
	s_cbranch_execz .LBB1053_144
; %bb.227:
	v_mov_b32_e32 v0, 0
	s_waitcnt lgkmcnt(0)
	global_store_short v0, v4, s[6:7]
	s_endpgm
	.section	.rodata,"a",@progbits
	.p2align	6, 0x0
	.amdhsa_kernel _ZN7rocprim17ROCPRIM_400000_NS6detail17trampoline_kernelINS0_14default_configENS1_20scan_config_selectorIsEEZZNS1_9scan_implILNS1_25lookback_scan_determinismE0ELb0ELb0ES3_N6thrust23THRUST_200600_302600_NS6detail15normal_iteratorINS9_10device_ptrIsEEEESE_sNS9_4plusIsEEsEEDaPvRmT3_T4_T5_mT6_P12ihipStream_tbENKUlT_T0_E_clISt17integral_constantIbLb0EESU_EEDaSP_SQ_EUlSP_E_NS1_11comp_targetILNS1_3genE4ELNS1_11target_archE910ELNS1_3gpuE8ELNS1_3repE0EEENS1_30default_config_static_selectorELNS0_4arch9wavefront6targetE1EEEvT1_
		.amdhsa_group_segment_fixed_size 3072
		.amdhsa_private_segment_fixed_size 0
		.amdhsa_kernarg_size 96
		.amdhsa_user_sgpr_count 6
		.amdhsa_user_sgpr_private_segment_buffer 1
		.amdhsa_user_sgpr_dispatch_ptr 0
		.amdhsa_user_sgpr_queue_ptr 0
		.amdhsa_user_sgpr_kernarg_segment_ptr 1
		.amdhsa_user_sgpr_dispatch_id 0
		.amdhsa_user_sgpr_flat_scratch_init 0
		.amdhsa_user_sgpr_kernarg_preload_length 0
		.amdhsa_user_sgpr_kernarg_preload_offset 0
		.amdhsa_user_sgpr_private_segment_size 0
		.amdhsa_uses_dynamic_stack 0
		.amdhsa_system_sgpr_private_segment_wavefront_offset 0
		.amdhsa_system_sgpr_workgroup_id_x 1
		.amdhsa_system_sgpr_workgroup_id_y 0
		.amdhsa_system_sgpr_workgroup_id_z 0
		.amdhsa_system_sgpr_workgroup_info 0
		.amdhsa_system_vgpr_workitem_id 0
		.amdhsa_next_free_vgpr 54
		.amdhsa_next_free_sgpr 26
		.amdhsa_accum_offset 56
		.amdhsa_reserve_vcc 1
		.amdhsa_reserve_flat_scratch 0
		.amdhsa_float_round_mode_32 0
		.amdhsa_float_round_mode_16_64 0
		.amdhsa_float_denorm_mode_32 3
		.amdhsa_float_denorm_mode_16_64 3
		.amdhsa_dx10_clamp 1
		.amdhsa_ieee_mode 1
		.amdhsa_fp16_overflow 0
		.amdhsa_tg_split 0
		.amdhsa_exception_fp_ieee_invalid_op 0
		.amdhsa_exception_fp_denorm_src 0
		.amdhsa_exception_fp_ieee_div_zero 0
		.amdhsa_exception_fp_ieee_overflow 0
		.amdhsa_exception_fp_ieee_underflow 0
		.amdhsa_exception_fp_ieee_inexact 0
		.amdhsa_exception_int_div_zero 0
	.end_amdhsa_kernel
	.section	.text._ZN7rocprim17ROCPRIM_400000_NS6detail17trampoline_kernelINS0_14default_configENS1_20scan_config_selectorIsEEZZNS1_9scan_implILNS1_25lookback_scan_determinismE0ELb0ELb0ES3_N6thrust23THRUST_200600_302600_NS6detail15normal_iteratorINS9_10device_ptrIsEEEESE_sNS9_4plusIsEEsEEDaPvRmT3_T4_T5_mT6_P12ihipStream_tbENKUlT_T0_E_clISt17integral_constantIbLb0EESU_EEDaSP_SQ_EUlSP_E_NS1_11comp_targetILNS1_3genE4ELNS1_11target_archE910ELNS1_3gpuE8ELNS1_3repE0EEENS1_30default_config_static_selectorELNS0_4arch9wavefront6targetE1EEEvT1_,"axG",@progbits,_ZN7rocprim17ROCPRIM_400000_NS6detail17trampoline_kernelINS0_14default_configENS1_20scan_config_selectorIsEEZZNS1_9scan_implILNS1_25lookback_scan_determinismE0ELb0ELb0ES3_N6thrust23THRUST_200600_302600_NS6detail15normal_iteratorINS9_10device_ptrIsEEEESE_sNS9_4plusIsEEsEEDaPvRmT3_T4_T5_mT6_P12ihipStream_tbENKUlT_T0_E_clISt17integral_constantIbLb0EESU_EEDaSP_SQ_EUlSP_E_NS1_11comp_targetILNS1_3genE4ELNS1_11target_archE910ELNS1_3gpuE8ELNS1_3repE0EEENS1_30default_config_static_selectorELNS0_4arch9wavefront6targetE1EEEvT1_,comdat
.Lfunc_end1053:
	.size	_ZN7rocprim17ROCPRIM_400000_NS6detail17trampoline_kernelINS0_14default_configENS1_20scan_config_selectorIsEEZZNS1_9scan_implILNS1_25lookback_scan_determinismE0ELb0ELb0ES3_N6thrust23THRUST_200600_302600_NS6detail15normal_iteratorINS9_10device_ptrIsEEEESE_sNS9_4plusIsEEsEEDaPvRmT3_T4_T5_mT6_P12ihipStream_tbENKUlT_T0_E_clISt17integral_constantIbLb0EESU_EEDaSP_SQ_EUlSP_E_NS1_11comp_targetILNS1_3genE4ELNS1_11target_archE910ELNS1_3gpuE8ELNS1_3repE0EEENS1_30default_config_static_selectorELNS0_4arch9wavefront6targetE1EEEvT1_, .Lfunc_end1053-_ZN7rocprim17ROCPRIM_400000_NS6detail17trampoline_kernelINS0_14default_configENS1_20scan_config_selectorIsEEZZNS1_9scan_implILNS1_25lookback_scan_determinismE0ELb0ELb0ES3_N6thrust23THRUST_200600_302600_NS6detail15normal_iteratorINS9_10device_ptrIsEEEESE_sNS9_4plusIsEEsEEDaPvRmT3_T4_T5_mT6_P12ihipStream_tbENKUlT_T0_E_clISt17integral_constantIbLb0EESU_EEDaSP_SQ_EUlSP_E_NS1_11comp_targetILNS1_3genE4ELNS1_11target_archE910ELNS1_3gpuE8ELNS1_3repE0EEENS1_30default_config_static_selectorELNS0_4arch9wavefront6targetE1EEEvT1_
                                        ; -- End function
	.section	.AMDGPU.csdata,"",@progbits
; Kernel info:
; codeLenInByte = 7868
; NumSgprs: 30
; NumVgprs: 54
; NumAgprs: 0
; TotalNumVgprs: 54
; ScratchSize: 0
; MemoryBound: 0
; FloatMode: 240
; IeeeMode: 1
; LDSByteSize: 3072 bytes/workgroup (compile time only)
; SGPRBlocks: 3
; VGPRBlocks: 6
; NumSGPRsForWavesPerEU: 30
; NumVGPRsForWavesPerEU: 54
; AccumOffset: 56
; Occupancy: 6
; WaveLimiterHint : 1
; COMPUTE_PGM_RSRC2:SCRATCH_EN: 0
; COMPUTE_PGM_RSRC2:USER_SGPR: 6
; COMPUTE_PGM_RSRC2:TRAP_HANDLER: 0
; COMPUTE_PGM_RSRC2:TGID_X_EN: 1
; COMPUTE_PGM_RSRC2:TGID_Y_EN: 0
; COMPUTE_PGM_RSRC2:TGID_Z_EN: 0
; COMPUTE_PGM_RSRC2:TIDIG_COMP_CNT: 0
; COMPUTE_PGM_RSRC3_GFX90A:ACCUM_OFFSET: 13
; COMPUTE_PGM_RSRC3_GFX90A:TG_SPLIT: 0
	.section	.text._ZN7rocprim17ROCPRIM_400000_NS6detail17trampoline_kernelINS0_14default_configENS1_20scan_config_selectorIsEEZZNS1_9scan_implILNS1_25lookback_scan_determinismE0ELb0ELb0ES3_N6thrust23THRUST_200600_302600_NS6detail15normal_iteratorINS9_10device_ptrIsEEEESE_sNS9_4plusIsEEsEEDaPvRmT3_T4_T5_mT6_P12ihipStream_tbENKUlT_T0_E_clISt17integral_constantIbLb0EESU_EEDaSP_SQ_EUlSP_E_NS1_11comp_targetILNS1_3genE3ELNS1_11target_archE908ELNS1_3gpuE7ELNS1_3repE0EEENS1_30default_config_static_selectorELNS0_4arch9wavefront6targetE1EEEvT1_,"axG",@progbits,_ZN7rocprim17ROCPRIM_400000_NS6detail17trampoline_kernelINS0_14default_configENS1_20scan_config_selectorIsEEZZNS1_9scan_implILNS1_25lookback_scan_determinismE0ELb0ELb0ES3_N6thrust23THRUST_200600_302600_NS6detail15normal_iteratorINS9_10device_ptrIsEEEESE_sNS9_4plusIsEEsEEDaPvRmT3_T4_T5_mT6_P12ihipStream_tbENKUlT_T0_E_clISt17integral_constantIbLb0EESU_EEDaSP_SQ_EUlSP_E_NS1_11comp_targetILNS1_3genE3ELNS1_11target_archE908ELNS1_3gpuE7ELNS1_3repE0EEENS1_30default_config_static_selectorELNS0_4arch9wavefront6targetE1EEEvT1_,comdat
	.protected	_ZN7rocprim17ROCPRIM_400000_NS6detail17trampoline_kernelINS0_14default_configENS1_20scan_config_selectorIsEEZZNS1_9scan_implILNS1_25lookback_scan_determinismE0ELb0ELb0ES3_N6thrust23THRUST_200600_302600_NS6detail15normal_iteratorINS9_10device_ptrIsEEEESE_sNS9_4plusIsEEsEEDaPvRmT3_T4_T5_mT6_P12ihipStream_tbENKUlT_T0_E_clISt17integral_constantIbLb0EESU_EEDaSP_SQ_EUlSP_E_NS1_11comp_targetILNS1_3genE3ELNS1_11target_archE908ELNS1_3gpuE7ELNS1_3repE0EEENS1_30default_config_static_selectorELNS0_4arch9wavefront6targetE1EEEvT1_ ; -- Begin function _ZN7rocprim17ROCPRIM_400000_NS6detail17trampoline_kernelINS0_14default_configENS1_20scan_config_selectorIsEEZZNS1_9scan_implILNS1_25lookback_scan_determinismE0ELb0ELb0ES3_N6thrust23THRUST_200600_302600_NS6detail15normal_iteratorINS9_10device_ptrIsEEEESE_sNS9_4plusIsEEsEEDaPvRmT3_T4_T5_mT6_P12ihipStream_tbENKUlT_T0_E_clISt17integral_constantIbLb0EESU_EEDaSP_SQ_EUlSP_E_NS1_11comp_targetILNS1_3genE3ELNS1_11target_archE908ELNS1_3gpuE7ELNS1_3repE0EEENS1_30default_config_static_selectorELNS0_4arch9wavefront6targetE1EEEvT1_
	.globl	_ZN7rocprim17ROCPRIM_400000_NS6detail17trampoline_kernelINS0_14default_configENS1_20scan_config_selectorIsEEZZNS1_9scan_implILNS1_25lookback_scan_determinismE0ELb0ELb0ES3_N6thrust23THRUST_200600_302600_NS6detail15normal_iteratorINS9_10device_ptrIsEEEESE_sNS9_4plusIsEEsEEDaPvRmT3_T4_T5_mT6_P12ihipStream_tbENKUlT_T0_E_clISt17integral_constantIbLb0EESU_EEDaSP_SQ_EUlSP_E_NS1_11comp_targetILNS1_3genE3ELNS1_11target_archE908ELNS1_3gpuE7ELNS1_3repE0EEENS1_30default_config_static_selectorELNS0_4arch9wavefront6targetE1EEEvT1_
	.p2align	8
	.type	_ZN7rocprim17ROCPRIM_400000_NS6detail17trampoline_kernelINS0_14default_configENS1_20scan_config_selectorIsEEZZNS1_9scan_implILNS1_25lookback_scan_determinismE0ELb0ELb0ES3_N6thrust23THRUST_200600_302600_NS6detail15normal_iteratorINS9_10device_ptrIsEEEESE_sNS9_4plusIsEEsEEDaPvRmT3_T4_T5_mT6_P12ihipStream_tbENKUlT_T0_E_clISt17integral_constantIbLb0EESU_EEDaSP_SQ_EUlSP_E_NS1_11comp_targetILNS1_3genE3ELNS1_11target_archE908ELNS1_3gpuE7ELNS1_3repE0EEENS1_30default_config_static_selectorELNS0_4arch9wavefront6targetE1EEEvT1_,@function
_ZN7rocprim17ROCPRIM_400000_NS6detail17trampoline_kernelINS0_14default_configENS1_20scan_config_selectorIsEEZZNS1_9scan_implILNS1_25lookback_scan_determinismE0ELb0ELb0ES3_N6thrust23THRUST_200600_302600_NS6detail15normal_iteratorINS9_10device_ptrIsEEEESE_sNS9_4plusIsEEsEEDaPvRmT3_T4_T5_mT6_P12ihipStream_tbENKUlT_T0_E_clISt17integral_constantIbLb0EESU_EEDaSP_SQ_EUlSP_E_NS1_11comp_targetILNS1_3genE3ELNS1_11target_archE908ELNS1_3gpuE7ELNS1_3repE0EEENS1_30default_config_static_selectorELNS0_4arch9wavefront6targetE1EEEvT1_: ; @_ZN7rocprim17ROCPRIM_400000_NS6detail17trampoline_kernelINS0_14default_configENS1_20scan_config_selectorIsEEZZNS1_9scan_implILNS1_25lookback_scan_determinismE0ELb0ELb0ES3_N6thrust23THRUST_200600_302600_NS6detail15normal_iteratorINS9_10device_ptrIsEEEESE_sNS9_4plusIsEEsEEDaPvRmT3_T4_T5_mT6_P12ihipStream_tbENKUlT_T0_E_clISt17integral_constantIbLb0EESU_EEDaSP_SQ_EUlSP_E_NS1_11comp_targetILNS1_3genE3ELNS1_11target_archE908ELNS1_3gpuE7ELNS1_3repE0EEENS1_30default_config_static_selectorELNS0_4arch9wavefront6targetE1EEEvT1_
; %bb.0:
	.section	.rodata,"a",@progbits
	.p2align	6, 0x0
	.amdhsa_kernel _ZN7rocprim17ROCPRIM_400000_NS6detail17trampoline_kernelINS0_14default_configENS1_20scan_config_selectorIsEEZZNS1_9scan_implILNS1_25lookback_scan_determinismE0ELb0ELb0ES3_N6thrust23THRUST_200600_302600_NS6detail15normal_iteratorINS9_10device_ptrIsEEEESE_sNS9_4plusIsEEsEEDaPvRmT3_T4_T5_mT6_P12ihipStream_tbENKUlT_T0_E_clISt17integral_constantIbLb0EESU_EEDaSP_SQ_EUlSP_E_NS1_11comp_targetILNS1_3genE3ELNS1_11target_archE908ELNS1_3gpuE7ELNS1_3repE0EEENS1_30default_config_static_selectorELNS0_4arch9wavefront6targetE1EEEvT1_
		.amdhsa_group_segment_fixed_size 0
		.amdhsa_private_segment_fixed_size 0
		.amdhsa_kernarg_size 96
		.amdhsa_user_sgpr_count 6
		.amdhsa_user_sgpr_private_segment_buffer 1
		.amdhsa_user_sgpr_dispatch_ptr 0
		.amdhsa_user_sgpr_queue_ptr 0
		.amdhsa_user_sgpr_kernarg_segment_ptr 1
		.amdhsa_user_sgpr_dispatch_id 0
		.amdhsa_user_sgpr_flat_scratch_init 0
		.amdhsa_user_sgpr_kernarg_preload_length 0
		.amdhsa_user_sgpr_kernarg_preload_offset 0
		.amdhsa_user_sgpr_private_segment_size 0
		.amdhsa_uses_dynamic_stack 0
		.amdhsa_system_sgpr_private_segment_wavefront_offset 0
		.amdhsa_system_sgpr_workgroup_id_x 1
		.amdhsa_system_sgpr_workgroup_id_y 0
		.amdhsa_system_sgpr_workgroup_id_z 0
		.amdhsa_system_sgpr_workgroup_info 0
		.amdhsa_system_vgpr_workitem_id 0
		.amdhsa_next_free_vgpr 1
		.amdhsa_next_free_sgpr 0
		.amdhsa_accum_offset 4
		.amdhsa_reserve_vcc 0
		.amdhsa_reserve_flat_scratch 0
		.amdhsa_float_round_mode_32 0
		.amdhsa_float_round_mode_16_64 0
		.amdhsa_float_denorm_mode_32 3
		.amdhsa_float_denorm_mode_16_64 3
		.amdhsa_dx10_clamp 1
		.amdhsa_ieee_mode 1
		.amdhsa_fp16_overflow 0
		.amdhsa_tg_split 0
		.amdhsa_exception_fp_ieee_invalid_op 0
		.amdhsa_exception_fp_denorm_src 0
		.amdhsa_exception_fp_ieee_div_zero 0
		.amdhsa_exception_fp_ieee_overflow 0
		.amdhsa_exception_fp_ieee_underflow 0
		.amdhsa_exception_fp_ieee_inexact 0
		.amdhsa_exception_int_div_zero 0
	.end_amdhsa_kernel
	.section	.text._ZN7rocprim17ROCPRIM_400000_NS6detail17trampoline_kernelINS0_14default_configENS1_20scan_config_selectorIsEEZZNS1_9scan_implILNS1_25lookback_scan_determinismE0ELb0ELb0ES3_N6thrust23THRUST_200600_302600_NS6detail15normal_iteratorINS9_10device_ptrIsEEEESE_sNS9_4plusIsEEsEEDaPvRmT3_T4_T5_mT6_P12ihipStream_tbENKUlT_T0_E_clISt17integral_constantIbLb0EESU_EEDaSP_SQ_EUlSP_E_NS1_11comp_targetILNS1_3genE3ELNS1_11target_archE908ELNS1_3gpuE7ELNS1_3repE0EEENS1_30default_config_static_selectorELNS0_4arch9wavefront6targetE1EEEvT1_,"axG",@progbits,_ZN7rocprim17ROCPRIM_400000_NS6detail17trampoline_kernelINS0_14default_configENS1_20scan_config_selectorIsEEZZNS1_9scan_implILNS1_25lookback_scan_determinismE0ELb0ELb0ES3_N6thrust23THRUST_200600_302600_NS6detail15normal_iteratorINS9_10device_ptrIsEEEESE_sNS9_4plusIsEEsEEDaPvRmT3_T4_T5_mT6_P12ihipStream_tbENKUlT_T0_E_clISt17integral_constantIbLb0EESU_EEDaSP_SQ_EUlSP_E_NS1_11comp_targetILNS1_3genE3ELNS1_11target_archE908ELNS1_3gpuE7ELNS1_3repE0EEENS1_30default_config_static_selectorELNS0_4arch9wavefront6targetE1EEEvT1_,comdat
.Lfunc_end1054:
	.size	_ZN7rocprim17ROCPRIM_400000_NS6detail17trampoline_kernelINS0_14default_configENS1_20scan_config_selectorIsEEZZNS1_9scan_implILNS1_25lookback_scan_determinismE0ELb0ELb0ES3_N6thrust23THRUST_200600_302600_NS6detail15normal_iteratorINS9_10device_ptrIsEEEESE_sNS9_4plusIsEEsEEDaPvRmT3_T4_T5_mT6_P12ihipStream_tbENKUlT_T0_E_clISt17integral_constantIbLb0EESU_EEDaSP_SQ_EUlSP_E_NS1_11comp_targetILNS1_3genE3ELNS1_11target_archE908ELNS1_3gpuE7ELNS1_3repE0EEENS1_30default_config_static_selectorELNS0_4arch9wavefront6targetE1EEEvT1_, .Lfunc_end1054-_ZN7rocprim17ROCPRIM_400000_NS6detail17trampoline_kernelINS0_14default_configENS1_20scan_config_selectorIsEEZZNS1_9scan_implILNS1_25lookback_scan_determinismE0ELb0ELb0ES3_N6thrust23THRUST_200600_302600_NS6detail15normal_iteratorINS9_10device_ptrIsEEEESE_sNS9_4plusIsEEsEEDaPvRmT3_T4_T5_mT6_P12ihipStream_tbENKUlT_T0_E_clISt17integral_constantIbLb0EESU_EEDaSP_SQ_EUlSP_E_NS1_11comp_targetILNS1_3genE3ELNS1_11target_archE908ELNS1_3gpuE7ELNS1_3repE0EEENS1_30default_config_static_selectorELNS0_4arch9wavefront6targetE1EEEvT1_
                                        ; -- End function
	.section	.AMDGPU.csdata,"",@progbits
; Kernel info:
; codeLenInByte = 0
; NumSgprs: 4
; NumVgprs: 0
; NumAgprs: 0
; TotalNumVgprs: 0
; ScratchSize: 0
; MemoryBound: 0
; FloatMode: 240
; IeeeMode: 1
; LDSByteSize: 0 bytes/workgroup (compile time only)
; SGPRBlocks: 0
; VGPRBlocks: 0
; NumSGPRsForWavesPerEU: 4
; NumVGPRsForWavesPerEU: 1
; AccumOffset: 4
; Occupancy: 8
; WaveLimiterHint : 0
; COMPUTE_PGM_RSRC2:SCRATCH_EN: 0
; COMPUTE_PGM_RSRC2:USER_SGPR: 6
; COMPUTE_PGM_RSRC2:TRAP_HANDLER: 0
; COMPUTE_PGM_RSRC2:TGID_X_EN: 1
; COMPUTE_PGM_RSRC2:TGID_Y_EN: 0
; COMPUTE_PGM_RSRC2:TGID_Z_EN: 0
; COMPUTE_PGM_RSRC2:TIDIG_COMP_CNT: 0
; COMPUTE_PGM_RSRC3_GFX90A:ACCUM_OFFSET: 0
; COMPUTE_PGM_RSRC3_GFX90A:TG_SPLIT: 0
	.section	.text._ZN7rocprim17ROCPRIM_400000_NS6detail17trampoline_kernelINS0_14default_configENS1_20scan_config_selectorIsEEZZNS1_9scan_implILNS1_25lookback_scan_determinismE0ELb0ELb0ES3_N6thrust23THRUST_200600_302600_NS6detail15normal_iteratorINS9_10device_ptrIsEEEESE_sNS9_4plusIsEEsEEDaPvRmT3_T4_T5_mT6_P12ihipStream_tbENKUlT_T0_E_clISt17integral_constantIbLb0EESU_EEDaSP_SQ_EUlSP_E_NS1_11comp_targetILNS1_3genE2ELNS1_11target_archE906ELNS1_3gpuE6ELNS1_3repE0EEENS1_30default_config_static_selectorELNS0_4arch9wavefront6targetE1EEEvT1_,"axG",@progbits,_ZN7rocprim17ROCPRIM_400000_NS6detail17trampoline_kernelINS0_14default_configENS1_20scan_config_selectorIsEEZZNS1_9scan_implILNS1_25lookback_scan_determinismE0ELb0ELb0ES3_N6thrust23THRUST_200600_302600_NS6detail15normal_iteratorINS9_10device_ptrIsEEEESE_sNS9_4plusIsEEsEEDaPvRmT3_T4_T5_mT6_P12ihipStream_tbENKUlT_T0_E_clISt17integral_constantIbLb0EESU_EEDaSP_SQ_EUlSP_E_NS1_11comp_targetILNS1_3genE2ELNS1_11target_archE906ELNS1_3gpuE6ELNS1_3repE0EEENS1_30default_config_static_selectorELNS0_4arch9wavefront6targetE1EEEvT1_,comdat
	.protected	_ZN7rocprim17ROCPRIM_400000_NS6detail17trampoline_kernelINS0_14default_configENS1_20scan_config_selectorIsEEZZNS1_9scan_implILNS1_25lookback_scan_determinismE0ELb0ELb0ES3_N6thrust23THRUST_200600_302600_NS6detail15normal_iteratorINS9_10device_ptrIsEEEESE_sNS9_4plusIsEEsEEDaPvRmT3_T4_T5_mT6_P12ihipStream_tbENKUlT_T0_E_clISt17integral_constantIbLb0EESU_EEDaSP_SQ_EUlSP_E_NS1_11comp_targetILNS1_3genE2ELNS1_11target_archE906ELNS1_3gpuE6ELNS1_3repE0EEENS1_30default_config_static_selectorELNS0_4arch9wavefront6targetE1EEEvT1_ ; -- Begin function _ZN7rocprim17ROCPRIM_400000_NS6detail17trampoline_kernelINS0_14default_configENS1_20scan_config_selectorIsEEZZNS1_9scan_implILNS1_25lookback_scan_determinismE0ELb0ELb0ES3_N6thrust23THRUST_200600_302600_NS6detail15normal_iteratorINS9_10device_ptrIsEEEESE_sNS9_4plusIsEEsEEDaPvRmT3_T4_T5_mT6_P12ihipStream_tbENKUlT_T0_E_clISt17integral_constantIbLb0EESU_EEDaSP_SQ_EUlSP_E_NS1_11comp_targetILNS1_3genE2ELNS1_11target_archE906ELNS1_3gpuE6ELNS1_3repE0EEENS1_30default_config_static_selectorELNS0_4arch9wavefront6targetE1EEEvT1_
	.globl	_ZN7rocprim17ROCPRIM_400000_NS6detail17trampoline_kernelINS0_14default_configENS1_20scan_config_selectorIsEEZZNS1_9scan_implILNS1_25lookback_scan_determinismE0ELb0ELb0ES3_N6thrust23THRUST_200600_302600_NS6detail15normal_iteratorINS9_10device_ptrIsEEEESE_sNS9_4plusIsEEsEEDaPvRmT3_T4_T5_mT6_P12ihipStream_tbENKUlT_T0_E_clISt17integral_constantIbLb0EESU_EEDaSP_SQ_EUlSP_E_NS1_11comp_targetILNS1_3genE2ELNS1_11target_archE906ELNS1_3gpuE6ELNS1_3repE0EEENS1_30default_config_static_selectorELNS0_4arch9wavefront6targetE1EEEvT1_
	.p2align	8
	.type	_ZN7rocprim17ROCPRIM_400000_NS6detail17trampoline_kernelINS0_14default_configENS1_20scan_config_selectorIsEEZZNS1_9scan_implILNS1_25lookback_scan_determinismE0ELb0ELb0ES3_N6thrust23THRUST_200600_302600_NS6detail15normal_iteratorINS9_10device_ptrIsEEEESE_sNS9_4plusIsEEsEEDaPvRmT3_T4_T5_mT6_P12ihipStream_tbENKUlT_T0_E_clISt17integral_constantIbLb0EESU_EEDaSP_SQ_EUlSP_E_NS1_11comp_targetILNS1_3genE2ELNS1_11target_archE906ELNS1_3gpuE6ELNS1_3repE0EEENS1_30default_config_static_selectorELNS0_4arch9wavefront6targetE1EEEvT1_,@function
_ZN7rocprim17ROCPRIM_400000_NS6detail17trampoline_kernelINS0_14default_configENS1_20scan_config_selectorIsEEZZNS1_9scan_implILNS1_25lookback_scan_determinismE0ELb0ELb0ES3_N6thrust23THRUST_200600_302600_NS6detail15normal_iteratorINS9_10device_ptrIsEEEESE_sNS9_4plusIsEEsEEDaPvRmT3_T4_T5_mT6_P12ihipStream_tbENKUlT_T0_E_clISt17integral_constantIbLb0EESU_EEDaSP_SQ_EUlSP_E_NS1_11comp_targetILNS1_3genE2ELNS1_11target_archE906ELNS1_3gpuE6ELNS1_3repE0EEENS1_30default_config_static_selectorELNS0_4arch9wavefront6targetE1EEEvT1_: ; @_ZN7rocprim17ROCPRIM_400000_NS6detail17trampoline_kernelINS0_14default_configENS1_20scan_config_selectorIsEEZZNS1_9scan_implILNS1_25lookback_scan_determinismE0ELb0ELb0ES3_N6thrust23THRUST_200600_302600_NS6detail15normal_iteratorINS9_10device_ptrIsEEEESE_sNS9_4plusIsEEsEEDaPvRmT3_T4_T5_mT6_P12ihipStream_tbENKUlT_T0_E_clISt17integral_constantIbLb0EESU_EEDaSP_SQ_EUlSP_E_NS1_11comp_targetILNS1_3genE2ELNS1_11target_archE906ELNS1_3gpuE6ELNS1_3repE0EEENS1_30default_config_static_selectorELNS0_4arch9wavefront6targetE1EEEvT1_
; %bb.0:
	.section	.rodata,"a",@progbits
	.p2align	6, 0x0
	.amdhsa_kernel _ZN7rocprim17ROCPRIM_400000_NS6detail17trampoline_kernelINS0_14default_configENS1_20scan_config_selectorIsEEZZNS1_9scan_implILNS1_25lookback_scan_determinismE0ELb0ELb0ES3_N6thrust23THRUST_200600_302600_NS6detail15normal_iteratorINS9_10device_ptrIsEEEESE_sNS9_4plusIsEEsEEDaPvRmT3_T4_T5_mT6_P12ihipStream_tbENKUlT_T0_E_clISt17integral_constantIbLb0EESU_EEDaSP_SQ_EUlSP_E_NS1_11comp_targetILNS1_3genE2ELNS1_11target_archE906ELNS1_3gpuE6ELNS1_3repE0EEENS1_30default_config_static_selectorELNS0_4arch9wavefront6targetE1EEEvT1_
		.amdhsa_group_segment_fixed_size 0
		.amdhsa_private_segment_fixed_size 0
		.amdhsa_kernarg_size 96
		.amdhsa_user_sgpr_count 6
		.amdhsa_user_sgpr_private_segment_buffer 1
		.amdhsa_user_sgpr_dispatch_ptr 0
		.amdhsa_user_sgpr_queue_ptr 0
		.amdhsa_user_sgpr_kernarg_segment_ptr 1
		.amdhsa_user_sgpr_dispatch_id 0
		.amdhsa_user_sgpr_flat_scratch_init 0
		.amdhsa_user_sgpr_kernarg_preload_length 0
		.amdhsa_user_sgpr_kernarg_preload_offset 0
		.amdhsa_user_sgpr_private_segment_size 0
		.amdhsa_uses_dynamic_stack 0
		.amdhsa_system_sgpr_private_segment_wavefront_offset 0
		.amdhsa_system_sgpr_workgroup_id_x 1
		.amdhsa_system_sgpr_workgroup_id_y 0
		.amdhsa_system_sgpr_workgroup_id_z 0
		.amdhsa_system_sgpr_workgroup_info 0
		.amdhsa_system_vgpr_workitem_id 0
		.amdhsa_next_free_vgpr 1
		.amdhsa_next_free_sgpr 0
		.amdhsa_accum_offset 4
		.amdhsa_reserve_vcc 0
		.amdhsa_reserve_flat_scratch 0
		.amdhsa_float_round_mode_32 0
		.amdhsa_float_round_mode_16_64 0
		.amdhsa_float_denorm_mode_32 3
		.amdhsa_float_denorm_mode_16_64 3
		.amdhsa_dx10_clamp 1
		.amdhsa_ieee_mode 1
		.amdhsa_fp16_overflow 0
		.amdhsa_tg_split 0
		.amdhsa_exception_fp_ieee_invalid_op 0
		.amdhsa_exception_fp_denorm_src 0
		.amdhsa_exception_fp_ieee_div_zero 0
		.amdhsa_exception_fp_ieee_overflow 0
		.amdhsa_exception_fp_ieee_underflow 0
		.amdhsa_exception_fp_ieee_inexact 0
		.amdhsa_exception_int_div_zero 0
	.end_amdhsa_kernel
	.section	.text._ZN7rocprim17ROCPRIM_400000_NS6detail17trampoline_kernelINS0_14default_configENS1_20scan_config_selectorIsEEZZNS1_9scan_implILNS1_25lookback_scan_determinismE0ELb0ELb0ES3_N6thrust23THRUST_200600_302600_NS6detail15normal_iteratorINS9_10device_ptrIsEEEESE_sNS9_4plusIsEEsEEDaPvRmT3_T4_T5_mT6_P12ihipStream_tbENKUlT_T0_E_clISt17integral_constantIbLb0EESU_EEDaSP_SQ_EUlSP_E_NS1_11comp_targetILNS1_3genE2ELNS1_11target_archE906ELNS1_3gpuE6ELNS1_3repE0EEENS1_30default_config_static_selectorELNS0_4arch9wavefront6targetE1EEEvT1_,"axG",@progbits,_ZN7rocprim17ROCPRIM_400000_NS6detail17trampoline_kernelINS0_14default_configENS1_20scan_config_selectorIsEEZZNS1_9scan_implILNS1_25lookback_scan_determinismE0ELb0ELb0ES3_N6thrust23THRUST_200600_302600_NS6detail15normal_iteratorINS9_10device_ptrIsEEEESE_sNS9_4plusIsEEsEEDaPvRmT3_T4_T5_mT6_P12ihipStream_tbENKUlT_T0_E_clISt17integral_constantIbLb0EESU_EEDaSP_SQ_EUlSP_E_NS1_11comp_targetILNS1_3genE2ELNS1_11target_archE906ELNS1_3gpuE6ELNS1_3repE0EEENS1_30default_config_static_selectorELNS0_4arch9wavefront6targetE1EEEvT1_,comdat
.Lfunc_end1055:
	.size	_ZN7rocprim17ROCPRIM_400000_NS6detail17trampoline_kernelINS0_14default_configENS1_20scan_config_selectorIsEEZZNS1_9scan_implILNS1_25lookback_scan_determinismE0ELb0ELb0ES3_N6thrust23THRUST_200600_302600_NS6detail15normal_iteratorINS9_10device_ptrIsEEEESE_sNS9_4plusIsEEsEEDaPvRmT3_T4_T5_mT6_P12ihipStream_tbENKUlT_T0_E_clISt17integral_constantIbLb0EESU_EEDaSP_SQ_EUlSP_E_NS1_11comp_targetILNS1_3genE2ELNS1_11target_archE906ELNS1_3gpuE6ELNS1_3repE0EEENS1_30default_config_static_selectorELNS0_4arch9wavefront6targetE1EEEvT1_, .Lfunc_end1055-_ZN7rocprim17ROCPRIM_400000_NS6detail17trampoline_kernelINS0_14default_configENS1_20scan_config_selectorIsEEZZNS1_9scan_implILNS1_25lookback_scan_determinismE0ELb0ELb0ES3_N6thrust23THRUST_200600_302600_NS6detail15normal_iteratorINS9_10device_ptrIsEEEESE_sNS9_4plusIsEEsEEDaPvRmT3_T4_T5_mT6_P12ihipStream_tbENKUlT_T0_E_clISt17integral_constantIbLb0EESU_EEDaSP_SQ_EUlSP_E_NS1_11comp_targetILNS1_3genE2ELNS1_11target_archE906ELNS1_3gpuE6ELNS1_3repE0EEENS1_30default_config_static_selectorELNS0_4arch9wavefront6targetE1EEEvT1_
                                        ; -- End function
	.section	.AMDGPU.csdata,"",@progbits
; Kernel info:
; codeLenInByte = 0
; NumSgprs: 4
; NumVgprs: 0
; NumAgprs: 0
; TotalNumVgprs: 0
; ScratchSize: 0
; MemoryBound: 0
; FloatMode: 240
; IeeeMode: 1
; LDSByteSize: 0 bytes/workgroup (compile time only)
; SGPRBlocks: 0
; VGPRBlocks: 0
; NumSGPRsForWavesPerEU: 4
; NumVGPRsForWavesPerEU: 1
; AccumOffset: 4
; Occupancy: 8
; WaveLimiterHint : 0
; COMPUTE_PGM_RSRC2:SCRATCH_EN: 0
; COMPUTE_PGM_RSRC2:USER_SGPR: 6
; COMPUTE_PGM_RSRC2:TRAP_HANDLER: 0
; COMPUTE_PGM_RSRC2:TGID_X_EN: 1
; COMPUTE_PGM_RSRC2:TGID_Y_EN: 0
; COMPUTE_PGM_RSRC2:TGID_Z_EN: 0
; COMPUTE_PGM_RSRC2:TIDIG_COMP_CNT: 0
; COMPUTE_PGM_RSRC3_GFX90A:ACCUM_OFFSET: 0
; COMPUTE_PGM_RSRC3_GFX90A:TG_SPLIT: 0
	.section	.text._ZN7rocprim17ROCPRIM_400000_NS6detail17trampoline_kernelINS0_14default_configENS1_20scan_config_selectorIsEEZZNS1_9scan_implILNS1_25lookback_scan_determinismE0ELb0ELb0ES3_N6thrust23THRUST_200600_302600_NS6detail15normal_iteratorINS9_10device_ptrIsEEEESE_sNS9_4plusIsEEsEEDaPvRmT3_T4_T5_mT6_P12ihipStream_tbENKUlT_T0_E_clISt17integral_constantIbLb0EESU_EEDaSP_SQ_EUlSP_E_NS1_11comp_targetILNS1_3genE10ELNS1_11target_archE1201ELNS1_3gpuE5ELNS1_3repE0EEENS1_30default_config_static_selectorELNS0_4arch9wavefront6targetE1EEEvT1_,"axG",@progbits,_ZN7rocprim17ROCPRIM_400000_NS6detail17trampoline_kernelINS0_14default_configENS1_20scan_config_selectorIsEEZZNS1_9scan_implILNS1_25lookback_scan_determinismE0ELb0ELb0ES3_N6thrust23THRUST_200600_302600_NS6detail15normal_iteratorINS9_10device_ptrIsEEEESE_sNS9_4plusIsEEsEEDaPvRmT3_T4_T5_mT6_P12ihipStream_tbENKUlT_T0_E_clISt17integral_constantIbLb0EESU_EEDaSP_SQ_EUlSP_E_NS1_11comp_targetILNS1_3genE10ELNS1_11target_archE1201ELNS1_3gpuE5ELNS1_3repE0EEENS1_30default_config_static_selectorELNS0_4arch9wavefront6targetE1EEEvT1_,comdat
	.protected	_ZN7rocprim17ROCPRIM_400000_NS6detail17trampoline_kernelINS0_14default_configENS1_20scan_config_selectorIsEEZZNS1_9scan_implILNS1_25lookback_scan_determinismE0ELb0ELb0ES3_N6thrust23THRUST_200600_302600_NS6detail15normal_iteratorINS9_10device_ptrIsEEEESE_sNS9_4plusIsEEsEEDaPvRmT3_T4_T5_mT6_P12ihipStream_tbENKUlT_T0_E_clISt17integral_constantIbLb0EESU_EEDaSP_SQ_EUlSP_E_NS1_11comp_targetILNS1_3genE10ELNS1_11target_archE1201ELNS1_3gpuE5ELNS1_3repE0EEENS1_30default_config_static_selectorELNS0_4arch9wavefront6targetE1EEEvT1_ ; -- Begin function _ZN7rocprim17ROCPRIM_400000_NS6detail17trampoline_kernelINS0_14default_configENS1_20scan_config_selectorIsEEZZNS1_9scan_implILNS1_25lookback_scan_determinismE0ELb0ELb0ES3_N6thrust23THRUST_200600_302600_NS6detail15normal_iteratorINS9_10device_ptrIsEEEESE_sNS9_4plusIsEEsEEDaPvRmT3_T4_T5_mT6_P12ihipStream_tbENKUlT_T0_E_clISt17integral_constantIbLb0EESU_EEDaSP_SQ_EUlSP_E_NS1_11comp_targetILNS1_3genE10ELNS1_11target_archE1201ELNS1_3gpuE5ELNS1_3repE0EEENS1_30default_config_static_selectorELNS0_4arch9wavefront6targetE1EEEvT1_
	.globl	_ZN7rocprim17ROCPRIM_400000_NS6detail17trampoline_kernelINS0_14default_configENS1_20scan_config_selectorIsEEZZNS1_9scan_implILNS1_25lookback_scan_determinismE0ELb0ELb0ES3_N6thrust23THRUST_200600_302600_NS6detail15normal_iteratorINS9_10device_ptrIsEEEESE_sNS9_4plusIsEEsEEDaPvRmT3_T4_T5_mT6_P12ihipStream_tbENKUlT_T0_E_clISt17integral_constantIbLb0EESU_EEDaSP_SQ_EUlSP_E_NS1_11comp_targetILNS1_3genE10ELNS1_11target_archE1201ELNS1_3gpuE5ELNS1_3repE0EEENS1_30default_config_static_selectorELNS0_4arch9wavefront6targetE1EEEvT1_
	.p2align	8
	.type	_ZN7rocprim17ROCPRIM_400000_NS6detail17trampoline_kernelINS0_14default_configENS1_20scan_config_selectorIsEEZZNS1_9scan_implILNS1_25lookback_scan_determinismE0ELb0ELb0ES3_N6thrust23THRUST_200600_302600_NS6detail15normal_iteratorINS9_10device_ptrIsEEEESE_sNS9_4plusIsEEsEEDaPvRmT3_T4_T5_mT6_P12ihipStream_tbENKUlT_T0_E_clISt17integral_constantIbLb0EESU_EEDaSP_SQ_EUlSP_E_NS1_11comp_targetILNS1_3genE10ELNS1_11target_archE1201ELNS1_3gpuE5ELNS1_3repE0EEENS1_30default_config_static_selectorELNS0_4arch9wavefront6targetE1EEEvT1_,@function
_ZN7rocprim17ROCPRIM_400000_NS6detail17trampoline_kernelINS0_14default_configENS1_20scan_config_selectorIsEEZZNS1_9scan_implILNS1_25lookback_scan_determinismE0ELb0ELb0ES3_N6thrust23THRUST_200600_302600_NS6detail15normal_iteratorINS9_10device_ptrIsEEEESE_sNS9_4plusIsEEsEEDaPvRmT3_T4_T5_mT6_P12ihipStream_tbENKUlT_T0_E_clISt17integral_constantIbLb0EESU_EEDaSP_SQ_EUlSP_E_NS1_11comp_targetILNS1_3genE10ELNS1_11target_archE1201ELNS1_3gpuE5ELNS1_3repE0EEENS1_30default_config_static_selectorELNS0_4arch9wavefront6targetE1EEEvT1_: ; @_ZN7rocprim17ROCPRIM_400000_NS6detail17trampoline_kernelINS0_14default_configENS1_20scan_config_selectorIsEEZZNS1_9scan_implILNS1_25lookback_scan_determinismE0ELb0ELb0ES3_N6thrust23THRUST_200600_302600_NS6detail15normal_iteratorINS9_10device_ptrIsEEEESE_sNS9_4plusIsEEsEEDaPvRmT3_T4_T5_mT6_P12ihipStream_tbENKUlT_T0_E_clISt17integral_constantIbLb0EESU_EEDaSP_SQ_EUlSP_E_NS1_11comp_targetILNS1_3genE10ELNS1_11target_archE1201ELNS1_3gpuE5ELNS1_3repE0EEENS1_30default_config_static_selectorELNS0_4arch9wavefront6targetE1EEEvT1_
; %bb.0:
	.section	.rodata,"a",@progbits
	.p2align	6, 0x0
	.amdhsa_kernel _ZN7rocprim17ROCPRIM_400000_NS6detail17trampoline_kernelINS0_14default_configENS1_20scan_config_selectorIsEEZZNS1_9scan_implILNS1_25lookback_scan_determinismE0ELb0ELb0ES3_N6thrust23THRUST_200600_302600_NS6detail15normal_iteratorINS9_10device_ptrIsEEEESE_sNS9_4plusIsEEsEEDaPvRmT3_T4_T5_mT6_P12ihipStream_tbENKUlT_T0_E_clISt17integral_constantIbLb0EESU_EEDaSP_SQ_EUlSP_E_NS1_11comp_targetILNS1_3genE10ELNS1_11target_archE1201ELNS1_3gpuE5ELNS1_3repE0EEENS1_30default_config_static_selectorELNS0_4arch9wavefront6targetE1EEEvT1_
		.amdhsa_group_segment_fixed_size 0
		.amdhsa_private_segment_fixed_size 0
		.amdhsa_kernarg_size 96
		.amdhsa_user_sgpr_count 6
		.amdhsa_user_sgpr_private_segment_buffer 1
		.amdhsa_user_sgpr_dispatch_ptr 0
		.amdhsa_user_sgpr_queue_ptr 0
		.amdhsa_user_sgpr_kernarg_segment_ptr 1
		.amdhsa_user_sgpr_dispatch_id 0
		.amdhsa_user_sgpr_flat_scratch_init 0
		.amdhsa_user_sgpr_kernarg_preload_length 0
		.amdhsa_user_sgpr_kernarg_preload_offset 0
		.amdhsa_user_sgpr_private_segment_size 0
		.amdhsa_uses_dynamic_stack 0
		.amdhsa_system_sgpr_private_segment_wavefront_offset 0
		.amdhsa_system_sgpr_workgroup_id_x 1
		.amdhsa_system_sgpr_workgroup_id_y 0
		.amdhsa_system_sgpr_workgroup_id_z 0
		.amdhsa_system_sgpr_workgroup_info 0
		.amdhsa_system_vgpr_workitem_id 0
		.amdhsa_next_free_vgpr 1
		.amdhsa_next_free_sgpr 0
		.amdhsa_accum_offset 4
		.amdhsa_reserve_vcc 0
		.amdhsa_reserve_flat_scratch 0
		.amdhsa_float_round_mode_32 0
		.amdhsa_float_round_mode_16_64 0
		.amdhsa_float_denorm_mode_32 3
		.amdhsa_float_denorm_mode_16_64 3
		.amdhsa_dx10_clamp 1
		.amdhsa_ieee_mode 1
		.amdhsa_fp16_overflow 0
		.amdhsa_tg_split 0
		.amdhsa_exception_fp_ieee_invalid_op 0
		.amdhsa_exception_fp_denorm_src 0
		.amdhsa_exception_fp_ieee_div_zero 0
		.amdhsa_exception_fp_ieee_overflow 0
		.amdhsa_exception_fp_ieee_underflow 0
		.amdhsa_exception_fp_ieee_inexact 0
		.amdhsa_exception_int_div_zero 0
	.end_amdhsa_kernel
	.section	.text._ZN7rocprim17ROCPRIM_400000_NS6detail17trampoline_kernelINS0_14default_configENS1_20scan_config_selectorIsEEZZNS1_9scan_implILNS1_25lookback_scan_determinismE0ELb0ELb0ES3_N6thrust23THRUST_200600_302600_NS6detail15normal_iteratorINS9_10device_ptrIsEEEESE_sNS9_4plusIsEEsEEDaPvRmT3_T4_T5_mT6_P12ihipStream_tbENKUlT_T0_E_clISt17integral_constantIbLb0EESU_EEDaSP_SQ_EUlSP_E_NS1_11comp_targetILNS1_3genE10ELNS1_11target_archE1201ELNS1_3gpuE5ELNS1_3repE0EEENS1_30default_config_static_selectorELNS0_4arch9wavefront6targetE1EEEvT1_,"axG",@progbits,_ZN7rocprim17ROCPRIM_400000_NS6detail17trampoline_kernelINS0_14default_configENS1_20scan_config_selectorIsEEZZNS1_9scan_implILNS1_25lookback_scan_determinismE0ELb0ELb0ES3_N6thrust23THRUST_200600_302600_NS6detail15normal_iteratorINS9_10device_ptrIsEEEESE_sNS9_4plusIsEEsEEDaPvRmT3_T4_T5_mT6_P12ihipStream_tbENKUlT_T0_E_clISt17integral_constantIbLb0EESU_EEDaSP_SQ_EUlSP_E_NS1_11comp_targetILNS1_3genE10ELNS1_11target_archE1201ELNS1_3gpuE5ELNS1_3repE0EEENS1_30default_config_static_selectorELNS0_4arch9wavefront6targetE1EEEvT1_,comdat
.Lfunc_end1056:
	.size	_ZN7rocprim17ROCPRIM_400000_NS6detail17trampoline_kernelINS0_14default_configENS1_20scan_config_selectorIsEEZZNS1_9scan_implILNS1_25lookback_scan_determinismE0ELb0ELb0ES3_N6thrust23THRUST_200600_302600_NS6detail15normal_iteratorINS9_10device_ptrIsEEEESE_sNS9_4plusIsEEsEEDaPvRmT3_T4_T5_mT6_P12ihipStream_tbENKUlT_T0_E_clISt17integral_constantIbLb0EESU_EEDaSP_SQ_EUlSP_E_NS1_11comp_targetILNS1_3genE10ELNS1_11target_archE1201ELNS1_3gpuE5ELNS1_3repE0EEENS1_30default_config_static_selectorELNS0_4arch9wavefront6targetE1EEEvT1_, .Lfunc_end1056-_ZN7rocprim17ROCPRIM_400000_NS6detail17trampoline_kernelINS0_14default_configENS1_20scan_config_selectorIsEEZZNS1_9scan_implILNS1_25lookback_scan_determinismE0ELb0ELb0ES3_N6thrust23THRUST_200600_302600_NS6detail15normal_iteratorINS9_10device_ptrIsEEEESE_sNS9_4plusIsEEsEEDaPvRmT3_T4_T5_mT6_P12ihipStream_tbENKUlT_T0_E_clISt17integral_constantIbLb0EESU_EEDaSP_SQ_EUlSP_E_NS1_11comp_targetILNS1_3genE10ELNS1_11target_archE1201ELNS1_3gpuE5ELNS1_3repE0EEENS1_30default_config_static_selectorELNS0_4arch9wavefront6targetE1EEEvT1_
                                        ; -- End function
	.section	.AMDGPU.csdata,"",@progbits
; Kernel info:
; codeLenInByte = 0
; NumSgprs: 4
; NumVgprs: 0
; NumAgprs: 0
; TotalNumVgprs: 0
; ScratchSize: 0
; MemoryBound: 0
; FloatMode: 240
; IeeeMode: 1
; LDSByteSize: 0 bytes/workgroup (compile time only)
; SGPRBlocks: 0
; VGPRBlocks: 0
; NumSGPRsForWavesPerEU: 4
; NumVGPRsForWavesPerEU: 1
; AccumOffset: 4
; Occupancy: 8
; WaveLimiterHint : 0
; COMPUTE_PGM_RSRC2:SCRATCH_EN: 0
; COMPUTE_PGM_RSRC2:USER_SGPR: 6
; COMPUTE_PGM_RSRC2:TRAP_HANDLER: 0
; COMPUTE_PGM_RSRC2:TGID_X_EN: 1
; COMPUTE_PGM_RSRC2:TGID_Y_EN: 0
; COMPUTE_PGM_RSRC2:TGID_Z_EN: 0
; COMPUTE_PGM_RSRC2:TIDIG_COMP_CNT: 0
; COMPUTE_PGM_RSRC3_GFX90A:ACCUM_OFFSET: 0
; COMPUTE_PGM_RSRC3_GFX90A:TG_SPLIT: 0
	.section	.text._ZN7rocprim17ROCPRIM_400000_NS6detail17trampoline_kernelINS0_14default_configENS1_20scan_config_selectorIsEEZZNS1_9scan_implILNS1_25lookback_scan_determinismE0ELb0ELb0ES3_N6thrust23THRUST_200600_302600_NS6detail15normal_iteratorINS9_10device_ptrIsEEEESE_sNS9_4plusIsEEsEEDaPvRmT3_T4_T5_mT6_P12ihipStream_tbENKUlT_T0_E_clISt17integral_constantIbLb0EESU_EEDaSP_SQ_EUlSP_E_NS1_11comp_targetILNS1_3genE10ELNS1_11target_archE1200ELNS1_3gpuE4ELNS1_3repE0EEENS1_30default_config_static_selectorELNS0_4arch9wavefront6targetE1EEEvT1_,"axG",@progbits,_ZN7rocprim17ROCPRIM_400000_NS6detail17trampoline_kernelINS0_14default_configENS1_20scan_config_selectorIsEEZZNS1_9scan_implILNS1_25lookback_scan_determinismE0ELb0ELb0ES3_N6thrust23THRUST_200600_302600_NS6detail15normal_iteratorINS9_10device_ptrIsEEEESE_sNS9_4plusIsEEsEEDaPvRmT3_T4_T5_mT6_P12ihipStream_tbENKUlT_T0_E_clISt17integral_constantIbLb0EESU_EEDaSP_SQ_EUlSP_E_NS1_11comp_targetILNS1_3genE10ELNS1_11target_archE1200ELNS1_3gpuE4ELNS1_3repE0EEENS1_30default_config_static_selectorELNS0_4arch9wavefront6targetE1EEEvT1_,comdat
	.protected	_ZN7rocprim17ROCPRIM_400000_NS6detail17trampoline_kernelINS0_14default_configENS1_20scan_config_selectorIsEEZZNS1_9scan_implILNS1_25lookback_scan_determinismE0ELb0ELb0ES3_N6thrust23THRUST_200600_302600_NS6detail15normal_iteratorINS9_10device_ptrIsEEEESE_sNS9_4plusIsEEsEEDaPvRmT3_T4_T5_mT6_P12ihipStream_tbENKUlT_T0_E_clISt17integral_constantIbLb0EESU_EEDaSP_SQ_EUlSP_E_NS1_11comp_targetILNS1_3genE10ELNS1_11target_archE1200ELNS1_3gpuE4ELNS1_3repE0EEENS1_30default_config_static_selectorELNS0_4arch9wavefront6targetE1EEEvT1_ ; -- Begin function _ZN7rocprim17ROCPRIM_400000_NS6detail17trampoline_kernelINS0_14default_configENS1_20scan_config_selectorIsEEZZNS1_9scan_implILNS1_25lookback_scan_determinismE0ELb0ELb0ES3_N6thrust23THRUST_200600_302600_NS6detail15normal_iteratorINS9_10device_ptrIsEEEESE_sNS9_4plusIsEEsEEDaPvRmT3_T4_T5_mT6_P12ihipStream_tbENKUlT_T0_E_clISt17integral_constantIbLb0EESU_EEDaSP_SQ_EUlSP_E_NS1_11comp_targetILNS1_3genE10ELNS1_11target_archE1200ELNS1_3gpuE4ELNS1_3repE0EEENS1_30default_config_static_selectorELNS0_4arch9wavefront6targetE1EEEvT1_
	.globl	_ZN7rocprim17ROCPRIM_400000_NS6detail17trampoline_kernelINS0_14default_configENS1_20scan_config_selectorIsEEZZNS1_9scan_implILNS1_25lookback_scan_determinismE0ELb0ELb0ES3_N6thrust23THRUST_200600_302600_NS6detail15normal_iteratorINS9_10device_ptrIsEEEESE_sNS9_4plusIsEEsEEDaPvRmT3_T4_T5_mT6_P12ihipStream_tbENKUlT_T0_E_clISt17integral_constantIbLb0EESU_EEDaSP_SQ_EUlSP_E_NS1_11comp_targetILNS1_3genE10ELNS1_11target_archE1200ELNS1_3gpuE4ELNS1_3repE0EEENS1_30default_config_static_selectorELNS0_4arch9wavefront6targetE1EEEvT1_
	.p2align	8
	.type	_ZN7rocprim17ROCPRIM_400000_NS6detail17trampoline_kernelINS0_14default_configENS1_20scan_config_selectorIsEEZZNS1_9scan_implILNS1_25lookback_scan_determinismE0ELb0ELb0ES3_N6thrust23THRUST_200600_302600_NS6detail15normal_iteratorINS9_10device_ptrIsEEEESE_sNS9_4plusIsEEsEEDaPvRmT3_T4_T5_mT6_P12ihipStream_tbENKUlT_T0_E_clISt17integral_constantIbLb0EESU_EEDaSP_SQ_EUlSP_E_NS1_11comp_targetILNS1_3genE10ELNS1_11target_archE1200ELNS1_3gpuE4ELNS1_3repE0EEENS1_30default_config_static_selectorELNS0_4arch9wavefront6targetE1EEEvT1_,@function
_ZN7rocprim17ROCPRIM_400000_NS6detail17trampoline_kernelINS0_14default_configENS1_20scan_config_selectorIsEEZZNS1_9scan_implILNS1_25lookback_scan_determinismE0ELb0ELb0ES3_N6thrust23THRUST_200600_302600_NS6detail15normal_iteratorINS9_10device_ptrIsEEEESE_sNS9_4plusIsEEsEEDaPvRmT3_T4_T5_mT6_P12ihipStream_tbENKUlT_T0_E_clISt17integral_constantIbLb0EESU_EEDaSP_SQ_EUlSP_E_NS1_11comp_targetILNS1_3genE10ELNS1_11target_archE1200ELNS1_3gpuE4ELNS1_3repE0EEENS1_30default_config_static_selectorELNS0_4arch9wavefront6targetE1EEEvT1_: ; @_ZN7rocprim17ROCPRIM_400000_NS6detail17trampoline_kernelINS0_14default_configENS1_20scan_config_selectorIsEEZZNS1_9scan_implILNS1_25lookback_scan_determinismE0ELb0ELb0ES3_N6thrust23THRUST_200600_302600_NS6detail15normal_iteratorINS9_10device_ptrIsEEEESE_sNS9_4plusIsEEsEEDaPvRmT3_T4_T5_mT6_P12ihipStream_tbENKUlT_T0_E_clISt17integral_constantIbLb0EESU_EEDaSP_SQ_EUlSP_E_NS1_11comp_targetILNS1_3genE10ELNS1_11target_archE1200ELNS1_3gpuE4ELNS1_3repE0EEENS1_30default_config_static_selectorELNS0_4arch9wavefront6targetE1EEEvT1_
; %bb.0:
	.section	.rodata,"a",@progbits
	.p2align	6, 0x0
	.amdhsa_kernel _ZN7rocprim17ROCPRIM_400000_NS6detail17trampoline_kernelINS0_14default_configENS1_20scan_config_selectorIsEEZZNS1_9scan_implILNS1_25lookback_scan_determinismE0ELb0ELb0ES3_N6thrust23THRUST_200600_302600_NS6detail15normal_iteratorINS9_10device_ptrIsEEEESE_sNS9_4plusIsEEsEEDaPvRmT3_T4_T5_mT6_P12ihipStream_tbENKUlT_T0_E_clISt17integral_constantIbLb0EESU_EEDaSP_SQ_EUlSP_E_NS1_11comp_targetILNS1_3genE10ELNS1_11target_archE1200ELNS1_3gpuE4ELNS1_3repE0EEENS1_30default_config_static_selectorELNS0_4arch9wavefront6targetE1EEEvT1_
		.amdhsa_group_segment_fixed_size 0
		.amdhsa_private_segment_fixed_size 0
		.amdhsa_kernarg_size 96
		.amdhsa_user_sgpr_count 6
		.amdhsa_user_sgpr_private_segment_buffer 1
		.amdhsa_user_sgpr_dispatch_ptr 0
		.amdhsa_user_sgpr_queue_ptr 0
		.amdhsa_user_sgpr_kernarg_segment_ptr 1
		.amdhsa_user_sgpr_dispatch_id 0
		.amdhsa_user_sgpr_flat_scratch_init 0
		.amdhsa_user_sgpr_kernarg_preload_length 0
		.amdhsa_user_sgpr_kernarg_preload_offset 0
		.amdhsa_user_sgpr_private_segment_size 0
		.amdhsa_uses_dynamic_stack 0
		.amdhsa_system_sgpr_private_segment_wavefront_offset 0
		.amdhsa_system_sgpr_workgroup_id_x 1
		.amdhsa_system_sgpr_workgroup_id_y 0
		.amdhsa_system_sgpr_workgroup_id_z 0
		.amdhsa_system_sgpr_workgroup_info 0
		.amdhsa_system_vgpr_workitem_id 0
		.amdhsa_next_free_vgpr 1
		.amdhsa_next_free_sgpr 0
		.amdhsa_accum_offset 4
		.amdhsa_reserve_vcc 0
		.amdhsa_reserve_flat_scratch 0
		.amdhsa_float_round_mode_32 0
		.amdhsa_float_round_mode_16_64 0
		.amdhsa_float_denorm_mode_32 3
		.amdhsa_float_denorm_mode_16_64 3
		.amdhsa_dx10_clamp 1
		.amdhsa_ieee_mode 1
		.amdhsa_fp16_overflow 0
		.amdhsa_tg_split 0
		.amdhsa_exception_fp_ieee_invalid_op 0
		.amdhsa_exception_fp_denorm_src 0
		.amdhsa_exception_fp_ieee_div_zero 0
		.amdhsa_exception_fp_ieee_overflow 0
		.amdhsa_exception_fp_ieee_underflow 0
		.amdhsa_exception_fp_ieee_inexact 0
		.amdhsa_exception_int_div_zero 0
	.end_amdhsa_kernel
	.section	.text._ZN7rocprim17ROCPRIM_400000_NS6detail17trampoline_kernelINS0_14default_configENS1_20scan_config_selectorIsEEZZNS1_9scan_implILNS1_25lookback_scan_determinismE0ELb0ELb0ES3_N6thrust23THRUST_200600_302600_NS6detail15normal_iteratorINS9_10device_ptrIsEEEESE_sNS9_4plusIsEEsEEDaPvRmT3_T4_T5_mT6_P12ihipStream_tbENKUlT_T0_E_clISt17integral_constantIbLb0EESU_EEDaSP_SQ_EUlSP_E_NS1_11comp_targetILNS1_3genE10ELNS1_11target_archE1200ELNS1_3gpuE4ELNS1_3repE0EEENS1_30default_config_static_selectorELNS0_4arch9wavefront6targetE1EEEvT1_,"axG",@progbits,_ZN7rocprim17ROCPRIM_400000_NS6detail17trampoline_kernelINS0_14default_configENS1_20scan_config_selectorIsEEZZNS1_9scan_implILNS1_25lookback_scan_determinismE0ELb0ELb0ES3_N6thrust23THRUST_200600_302600_NS6detail15normal_iteratorINS9_10device_ptrIsEEEESE_sNS9_4plusIsEEsEEDaPvRmT3_T4_T5_mT6_P12ihipStream_tbENKUlT_T0_E_clISt17integral_constantIbLb0EESU_EEDaSP_SQ_EUlSP_E_NS1_11comp_targetILNS1_3genE10ELNS1_11target_archE1200ELNS1_3gpuE4ELNS1_3repE0EEENS1_30default_config_static_selectorELNS0_4arch9wavefront6targetE1EEEvT1_,comdat
.Lfunc_end1057:
	.size	_ZN7rocprim17ROCPRIM_400000_NS6detail17trampoline_kernelINS0_14default_configENS1_20scan_config_selectorIsEEZZNS1_9scan_implILNS1_25lookback_scan_determinismE0ELb0ELb0ES3_N6thrust23THRUST_200600_302600_NS6detail15normal_iteratorINS9_10device_ptrIsEEEESE_sNS9_4plusIsEEsEEDaPvRmT3_T4_T5_mT6_P12ihipStream_tbENKUlT_T0_E_clISt17integral_constantIbLb0EESU_EEDaSP_SQ_EUlSP_E_NS1_11comp_targetILNS1_3genE10ELNS1_11target_archE1200ELNS1_3gpuE4ELNS1_3repE0EEENS1_30default_config_static_selectorELNS0_4arch9wavefront6targetE1EEEvT1_, .Lfunc_end1057-_ZN7rocprim17ROCPRIM_400000_NS6detail17trampoline_kernelINS0_14default_configENS1_20scan_config_selectorIsEEZZNS1_9scan_implILNS1_25lookback_scan_determinismE0ELb0ELb0ES3_N6thrust23THRUST_200600_302600_NS6detail15normal_iteratorINS9_10device_ptrIsEEEESE_sNS9_4plusIsEEsEEDaPvRmT3_T4_T5_mT6_P12ihipStream_tbENKUlT_T0_E_clISt17integral_constantIbLb0EESU_EEDaSP_SQ_EUlSP_E_NS1_11comp_targetILNS1_3genE10ELNS1_11target_archE1200ELNS1_3gpuE4ELNS1_3repE0EEENS1_30default_config_static_selectorELNS0_4arch9wavefront6targetE1EEEvT1_
                                        ; -- End function
	.section	.AMDGPU.csdata,"",@progbits
; Kernel info:
; codeLenInByte = 0
; NumSgprs: 4
; NumVgprs: 0
; NumAgprs: 0
; TotalNumVgprs: 0
; ScratchSize: 0
; MemoryBound: 0
; FloatMode: 240
; IeeeMode: 1
; LDSByteSize: 0 bytes/workgroup (compile time only)
; SGPRBlocks: 0
; VGPRBlocks: 0
; NumSGPRsForWavesPerEU: 4
; NumVGPRsForWavesPerEU: 1
; AccumOffset: 4
; Occupancy: 8
; WaveLimiterHint : 0
; COMPUTE_PGM_RSRC2:SCRATCH_EN: 0
; COMPUTE_PGM_RSRC2:USER_SGPR: 6
; COMPUTE_PGM_RSRC2:TRAP_HANDLER: 0
; COMPUTE_PGM_RSRC2:TGID_X_EN: 1
; COMPUTE_PGM_RSRC2:TGID_Y_EN: 0
; COMPUTE_PGM_RSRC2:TGID_Z_EN: 0
; COMPUTE_PGM_RSRC2:TIDIG_COMP_CNT: 0
; COMPUTE_PGM_RSRC3_GFX90A:ACCUM_OFFSET: 0
; COMPUTE_PGM_RSRC3_GFX90A:TG_SPLIT: 0
	.section	.text._ZN7rocprim17ROCPRIM_400000_NS6detail17trampoline_kernelINS0_14default_configENS1_20scan_config_selectorIsEEZZNS1_9scan_implILNS1_25lookback_scan_determinismE0ELb0ELb0ES3_N6thrust23THRUST_200600_302600_NS6detail15normal_iteratorINS9_10device_ptrIsEEEESE_sNS9_4plusIsEEsEEDaPvRmT3_T4_T5_mT6_P12ihipStream_tbENKUlT_T0_E_clISt17integral_constantIbLb0EESU_EEDaSP_SQ_EUlSP_E_NS1_11comp_targetILNS1_3genE9ELNS1_11target_archE1100ELNS1_3gpuE3ELNS1_3repE0EEENS1_30default_config_static_selectorELNS0_4arch9wavefront6targetE1EEEvT1_,"axG",@progbits,_ZN7rocprim17ROCPRIM_400000_NS6detail17trampoline_kernelINS0_14default_configENS1_20scan_config_selectorIsEEZZNS1_9scan_implILNS1_25lookback_scan_determinismE0ELb0ELb0ES3_N6thrust23THRUST_200600_302600_NS6detail15normal_iteratorINS9_10device_ptrIsEEEESE_sNS9_4plusIsEEsEEDaPvRmT3_T4_T5_mT6_P12ihipStream_tbENKUlT_T0_E_clISt17integral_constantIbLb0EESU_EEDaSP_SQ_EUlSP_E_NS1_11comp_targetILNS1_3genE9ELNS1_11target_archE1100ELNS1_3gpuE3ELNS1_3repE0EEENS1_30default_config_static_selectorELNS0_4arch9wavefront6targetE1EEEvT1_,comdat
	.protected	_ZN7rocprim17ROCPRIM_400000_NS6detail17trampoline_kernelINS0_14default_configENS1_20scan_config_selectorIsEEZZNS1_9scan_implILNS1_25lookback_scan_determinismE0ELb0ELb0ES3_N6thrust23THRUST_200600_302600_NS6detail15normal_iteratorINS9_10device_ptrIsEEEESE_sNS9_4plusIsEEsEEDaPvRmT3_T4_T5_mT6_P12ihipStream_tbENKUlT_T0_E_clISt17integral_constantIbLb0EESU_EEDaSP_SQ_EUlSP_E_NS1_11comp_targetILNS1_3genE9ELNS1_11target_archE1100ELNS1_3gpuE3ELNS1_3repE0EEENS1_30default_config_static_selectorELNS0_4arch9wavefront6targetE1EEEvT1_ ; -- Begin function _ZN7rocprim17ROCPRIM_400000_NS6detail17trampoline_kernelINS0_14default_configENS1_20scan_config_selectorIsEEZZNS1_9scan_implILNS1_25lookback_scan_determinismE0ELb0ELb0ES3_N6thrust23THRUST_200600_302600_NS6detail15normal_iteratorINS9_10device_ptrIsEEEESE_sNS9_4plusIsEEsEEDaPvRmT3_T4_T5_mT6_P12ihipStream_tbENKUlT_T0_E_clISt17integral_constantIbLb0EESU_EEDaSP_SQ_EUlSP_E_NS1_11comp_targetILNS1_3genE9ELNS1_11target_archE1100ELNS1_3gpuE3ELNS1_3repE0EEENS1_30default_config_static_selectorELNS0_4arch9wavefront6targetE1EEEvT1_
	.globl	_ZN7rocprim17ROCPRIM_400000_NS6detail17trampoline_kernelINS0_14default_configENS1_20scan_config_selectorIsEEZZNS1_9scan_implILNS1_25lookback_scan_determinismE0ELb0ELb0ES3_N6thrust23THRUST_200600_302600_NS6detail15normal_iteratorINS9_10device_ptrIsEEEESE_sNS9_4plusIsEEsEEDaPvRmT3_T4_T5_mT6_P12ihipStream_tbENKUlT_T0_E_clISt17integral_constantIbLb0EESU_EEDaSP_SQ_EUlSP_E_NS1_11comp_targetILNS1_3genE9ELNS1_11target_archE1100ELNS1_3gpuE3ELNS1_3repE0EEENS1_30default_config_static_selectorELNS0_4arch9wavefront6targetE1EEEvT1_
	.p2align	8
	.type	_ZN7rocprim17ROCPRIM_400000_NS6detail17trampoline_kernelINS0_14default_configENS1_20scan_config_selectorIsEEZZNS1_9scan_implILNS1_25lookback_scan_determinismE0ELb0ELb0ES3_N6thrust23THRUST_200600_302600_NS6detail15normal_iteratorINS9_10device_ptrIsEEEESE_sNS9_4plusIsEEsEEDaPvRmT3_T4_T5_mT6_P12ihipStream_tbENKUlT_T0_E_clISt17integral_constantIbLb0EESU_EEDaSP_SQ_EUlSP_E_NS1_11comp_targetILNS1_3genE9ELNS1_11target_archE1100ELNS1_3gpuE3ELNS1_3repE0EEENS1_30default_config_static_selectorELNS0_4arch9wavefront6targetE1EEEvT1_,@function
_ZN7rocprim17ROCPRIM_400000_NS6detail17trampoline_kernelINS0_14default_configENS1_20scan_config_selectorIsEEZZNS1_9scan_implILNS1_25lookback_scan_determinismE0ELb0ELb0ES3_N6thrust23THRUST_200600_302600_NS6detail15normal_iteratorINS9_10device_ptrIsEEEESE_sNS9_4plusIsEEsEEDaPvRmT3_T4_T5_mT6_P12ihipStream_tbENKUlT_T0_E_clISt17integral_constantIbLb0EESU_EEDaSP_SQ_EUlSP_E_NS1_11comp_targetILNS1_3genE9ELNS1_11target_archE1100ELNS1_3gpuE3ELNS1_3repE0EEENS1_30default_config_static_selectorELNS0_4arch9wavefront6targetE1EEEvT1_: ; @_ZN7rocprim17ROCPRIM_400000_NS6detail17trampoline_kernelINS0_14default_configENS1_20scan_config_selectorIsEEZZNS1_9scan_implILNS1_25lookback_scan_determinismE0ELb0ELb0ES3_N6thrust23THRUST_200600_302600_NS6detail15normal_iteratorINS9_10device_ptrIsEEEESE_sNS9_4plusIsEEsEEDaPvRmT3_T4_T5_mT6_P12ihipStream_tbENKUlT_T0_E_clISt17integral_constantIbLb0EESU_EEDaSP_SQ_EUlSP_E_NS1_11comp_targetILNS1_3genE9ELNS1_11target_archE1100ELNS1_3gpuE3ELNS1_3repE0EEENS1_30default_config_static_selectorELNS0_4arch9wavefront6targetE1EEEvT1_
; %bb.0:
	.section	.rodata,"a",@progbits
	.p2align	6, 0x0
	.amdhsa_kernel _ZN7rocprim17ROCPRIM_400000_NS6detail17trampoline_kernelINS0_14default_configENS1_20scan_config_selectorIsEEZZNS1_9scan_implILNS1_25lookback_scan_determinismE0ELb0ELb0ES3_N6thrust23THRUST_200600_302600_NS6detail15normal_iteratorINS9_10device_ptrIsEEEESE_sNS9_4plusIsEEsEEDaPvRmT3_T4_T5_mT6_P12ihipStream_tbENKUlT_T0_E_clISt17integral_constantIbLb0EESU_EEDaSP_SQ_EUlSP_E_NS1_11comp_targetILNS1_3genE9ELNS1_11target_archE1100ELNS1_3gpuE3ELNS1_3repE0EEENS1_30default_config_static_selectorELNS0_4arch9wavefront6targetE1EEEvT1_
		.amdhsa_group_segment_fixed_size 0
		.amdhsa_private_segment_fixed_size 0
		.amdhsa_kernarg_size 96
		.amdhsa_user_sgpr_count 6
		.amdhsa_user_sgpr_private_segment_buffer 1
		.amdhsa_user_sgpr_dispatch_ptr 0
		.amdhsa_user_sgpr_queue_ptr 0
		.amdhsa_user_sgpr_kernarg_segment_ptr 1
		.amdhsa_user_sgpr_dispatch_id 0
		.amdhsa_user_sgpr_flat_scratch_init 0
		.amdhsa_user_sgpr_kernarg_preload_length 0
		.amdhsa_user_sgpr_kernarg_preload_offset 0
		.amdhsa_user_sgpr_private_segment_size 0
		.amdhsa_uses_dynamic_stack 0
		.amdhsa_system_sgpr_private_segment_wavefront_offset 0
		.amdhsa_system_sgpr_workgroup_id_x 1
		.amdhsa_system_sgpr_workgroup_id_y 0
		.amdhsa_system_sgpr_workgroup_id_z 0
		.amdhsa_system_sgpr_workgroup_info 0
		.amdhsa_system_vgpr_workitem_id 0
		.amdhsa_next_free_vgpr 1
		.amdhsa_next_free_sgpr 0
		.amdhsa_accum_offset 4
		.amdhsa_reserve_vcc 0
		.amdhsa_reserve_flat_scratch 0
		.amdhsa_float_round_mode_32 0
		.amdhsa_float_round_mode_16_64 0
		.amdhsa_float_denorm_mode_32 3
		.amdhsa_float_denorm_mode_16_64 3
		.amdhsa_dx10_clamp 1
		.amdhsa_ieee_mode 1
		.amdhsa_fp16_overflow 0
		.amdhsa_tg_split 0
		.amdhsa_exception_fp_ieee_invalid_op 0
		.amdhsa_exception_fp_denorm_src 0
		.amdhsa_exception_fp_ieee_div_zero 0
		.amdhsa_exception_fp_ieee_overflow 0
		.amdhsa_exception_fp_ieee_underflow 0
		.amdhsa_exception_fp_ieee_inexact 0
		.amdhsa_exception_int_div_zero 0
	.end_amdhsa_kernel
	.section	.text._ZN7rocprim17ROCPRIM_400000_NS6detail17trampoline_kernelINS0_14default_configENS1_20scan_config_selectorIsEEZZNS1_9scan_implILNS1_25lookback_scan_determinismE0ELb0ELb0ES3_N6thrust23THRUST_200600_302600_NS6detail15normal_iteratorINS9_10device_ptrIsEEEESE_sNS9_4plusIsEEsEEDaPvRmT3_T4_T5_mT6_P12ihipStream_tbENKUlT_T0_E_clISt17integral_constantIbLb0EESU_EEDaSP_SQ_EUlSP_E_NS1_11comp_targetILNS1_3genE9ELNS1_11target_archE1100ELNS1_3gpuE3ELNS1_3repE0EEENS1_30default_config_static_selectorELNS0_4arch9wavefront6targetE1EEEvT1_,"axG",@progbits,_ZN7rocprim17ROCPRIM_400000_NS6detail17trampoline_kernelINS0_14default_configENS1_20scan_config_selectorIsEEZZNS1_9scan_implILNS1_25lookback_scan_determinismE0ELb0ELb0ES3_N6thrust23THRUST_200600_302600_NS6detail15normal_iteratorINS9_10device_ptrIsEEEESE_sNS9_4plusIsEEsEEDaPvRmT3_T4_T5_mT6_P12ihipStream_tbENKUlT_T0_E_clISt17integral_constantIbLb0EESU_EEDaSP_SQ_EUlSP_E_NS1_11comp_targetILNS1_3genE9ELNS1_11target_archE1100ELNS1_3gpuE3ELNS1_3repE0EEENS1_30default_config_static_selectorELNS0_4arch9wavefront6targetE1EEEvT1_,comdat
.Lfunc_end1058:
	.size	_ZN7rocprim17ROCPRIM_400000_NS6detail17trampoline_kernelINS0_14default_configENS1_20scan_config_selectorIsEEZZNS1_9scan_implILNS1_25lookback_scan_determinismE0ELb0ELb0ES3_N6thrust23THRUST_200600_302600_NS6detail15normal_iteratorINS9_10device_ptrIsEEEESE_sNS9_4plusIsEEsEEDaPvRmT3_T4_T5_mT6_P12ihipStream_tbENKUlT_T0_E_clISt17integral_constantIbLb0EESU_EEDaSP_SQ_EUlSP_E_NS1_11comp_targetILNS1_3genE9ELNS1_11target_archE1100ELNS1_3gpuE3ELNS1_3repE0EEENS1_30default_config_static_selectorELNS0_4arch9wavefront6targetE1EEEvT1_, .Lfunc_end1058-_ZN7rocprim17ROCPRIM_400000_NS6detail17trampoline_kernelINS0_14default_configENS1_20scan_config_selectorIsEEZZNS1_9scan_implILNS1_25lookback_scan_determinismE0ELb0ELb0ES3_N6thrust23THRUST_200600_302600_NS6detail15normal_iteratorINS9_10device_ptrIsEEEESE_sNS9_4plusIsEEsEEDaPvRmT3_T4_T5_mT6_P12ihipStream_tbENKUlT_T0_E_clISt17integral_constantIbLb0EESU_EEDaSP_SQ_EUlSP_E_NS1_11comp_targetILNS1_3genE9ELNS1_11target_archE1100ELNS1_3gpuE3ELNS1_3repE0EEENS1_30default_config_static_selectorELNS0_4arch9wavefront6targetE1EEEvT1_
                                        ; -- End function
	.section	.AMDGPU.csdata,"",@progbits
; Kernel info:
; codeLenInByte = 0
; NumSgprs: 4
; NumVgprs: 0
; NumAgprs: 0
; TotalNumVgprs: 0
; ScratchSize: 0
; MemoryBound: 0
; FloatMode: 240
; IeeeMode: 1
; LDSByteSize: 0 bytes/workgroup (compile time only)
; SGPRBlocks: 0
; VGPRBlocks: 0
; NumSGPRsForWavesPerEU: 4
; NumVGPRsForWavesPerEU: 1
; AccumOffset: 4
; Occupancy: 8
; WaveLimiterHint : 0
; COMPUTE_PGM_RSRC2:SCRATCH_EN: 0
; COMPUTE_PGM_RSRC2:USER_SGPR: 6
; COMPUTE_PGM_RSRC2:TRAP_HANDLER: 0
; COMPUTE_PGM_RSRC2:TGID_X_EN: 1
; COMPUTE_PGM_RSRC2:TGID_Y_EN: 0
; COMPUTE_PGM_RSRC2:TGID_Z_EN: 0
; COMPUTE_PGM_RSRC2:TIDIG_COMP_CNT: 0
; COMPUTE_PGM_RSRC3_GFX90A:ACCUM_OFFSET: 0
; COMPUTE_PGM_RSRC3_GFX90A:TG_SPLIT: 0
	.section	.text._ZN7rocprim17ROCPRIM_400000_NS6detail17trampoline_kernelINS0_14default_configENS1_20scan_config_selectorIsEEZZNS1_9scan_implILNS1_25lookback_scan_determinismE0ELb0ELb0ES3_N6thrust23THRUST_200600_302600_NS6detail15normal_iteratorINS9_10device_ptrIsEEEESE_sNS9_4plusIsEEsEEDaPvRmT3_T4_T5_mT6_P12ihipStream_tbENKUlT_T0_E_clISt17integral_constantIbLb0EESU_EEDaSP_SQ_EUlSP_E_NS1_11comp_targetILNS1_3genE8ELNS1_11target_archE1030ELNS1_3gpuE2ELNS1_3repE0EEENS1_30default_config_static_selectorELNS0_4arch9wavefront6targetE1EEEvT1_,"axG",@progbits,_ZN7rocprim17ROCPRIM_400000_NS6detail17trampoline_kernelINS0_14default_configENS1_20scan_config_selectorIsEEZZNS1_9scan_implILNS1_25lookback_scan_determinismE0ELb0ELb0ES3_N6thrust23THRUST_200600_302600_NS6detail15normal_iteratorINS9_10device_ptrIsEEEESE_sNS9_4plusIsEEsEEDaPvRmT3_T4_T5_mT6_P12ihipStream_tbENKUlT_T0_E_clISt17integral_constantIbLb0EESU_EEDaSP_SQ_EUlSP_E_NS1_11comp_targetILNS1_3genE8ELNS1_11target_archE1030ELNS1_3gpuE2ELNS1_3repE0EEENS1_30default_config_static_selectorELNS0_4arch9wavefront6targetE1EEEvT1_,comdat
	.protected	_ZN7rocprim17ROCPRIM_400000_NS6detail17trampoline_kernelINS0_14default_configENS1_20scan_config_selectorIsEEZZNS1_9scan_implILNS1_25lookback_scan_determinismE0ELb0ELb0ES3_N6thrust23THRUST_200600_302600_NS6detail15normal_iteratorINS9_10device_ptrIsEEEESE_sNS9_4plusIsEEsEEDaPvRmT3_T4_T5_mT6_P12ihipStream_tbENKUlT_T0_E_clISt17integral_constantIbLb0EESU_EEDaSP_SQ_EUlSP_E_NS1_11comp_targetILNS1_3genE8ELNS1_11target_archE1030ELNS1_3gpuE2ELNS1_3repE0EEENS1_30default_config_static_selectorELNS0_4arch9wavefront6targetE1EEEvT1_ ; -- Begin function _ZN7rocprim17ROCPRIM_400000_NS6detail17trampoline_kernelINS0_14default_configENS1_20scan_config_selectorIsEEZZNS1_9scan_implILNS1_25lookback_scan_determinismE0ELb0ELb0ES3_N6thrust23THRUST_200600_302600_NS6detail15normal_iteratorINS9_10device_ptrIsEEEESE_sNS9_4plusIsEEsEEDaPvRmT3_T4_T5_mT6_P12ihipStream_tbENKUlT_T0_E_clISt17integral_constantIbLb0EESU_EEDaSP_SQ_EUlSP_E_NS1_11comp_targetILNS1_3genE8ELNS1_11target_archE1030ELNS1_3gpuE2ELNS1_3repE0EEENS1_30default_config_static_selectorELNS0_4arch9wavefront6targetE1EEEvT1_
	.globl	_ZN7rocprim17ROCPRIM_400000_NS6detail17trampoline_kernelINS0_14default_configENS1_20scan_config_selectorIsEEZZNS1_9scan_implILNS1_25lookback_scan_determinismE0ELb0ELb0ES3_N6thrust23THRUST_200600_302600_NS6detail15normal_iteratorINS9_10device_ptrIsEEEESE_sNS9_4plusIsEEsEEDaPvRmT3_T4_T5_mT6_P12ihipStream_tbENKUlT_T0_E_clISt17integral_constantIbLb0EESU_EEDaSP_SQ_EUlSP_E_NS1_11comp_targetILNS1_3genE8ELNS1_11target_archE1030ELNS1_3gpuE2ELNS1_3repE0EEENS1_30default_config_static_selectorELNS0_4arch9wavefront6targetE1EEEvT1_
	.p2align	8
	.type	_ZN7rocprim17ROCPRIM_400000_NS6detail17trampoline_kernelINS0_14default_configENS1_20scan_config_selectorIsEEZZNS1_9scan_implILNS1_25lookback_scan_determinismE0ELb0ELb0ES3_N6thrust23THRUST_200600_302600_NS6detail15normal_iteratorINS9_10device_ptrIsEEEESE_sNS9_4plusIsEEsEEDaPvRmT3_T4_T5_mT6_P12ihipStream_tbENKUlT_T0_E_clISt17integral_constantIbLb0EESU_EEDaSP_SQ_EUlSP_E_NS1_11comp_targetILNS1_3genE8ELNS1_11target_archE1030ELNS1_3gpuE2ELNS1_3repE0EEENS1_30default_config_static_selectorELNS0_4arch9wavefront6targetE1EEEvT1_,@function
_ZN7rocprim17ROCPRIM_400000_NS6detail17trampoline_kernelINS0_14default_configENS1_20scan_config_selectorIsEEZZNS1_9scan_implILNS1_25lookback_scan_determinismE0ELb0ELb0ES3_N6thrust23THRUST_200600_302600_NS6detail15normal_iteratorINS9_10device_ptrIsEEEESE_sNS9_4plusIsEEsEEDaPvRmT3_T4_T5_mT6_P12ihipStream_tbENKUlT_T0_E_clISt17integral_constantIbLb0EESU_EEDaSP_SQ_EUlSP_E_NS1_11comp_targetILNS1_3genE8ELNS1_11target_archE1030ELNS1_3gpuE2ELNS1_3repE0EEENS1_30default_config_static_selectorELNS0_4arch9wavefront6targetE1EEEvT1_: ; @_ZN7rocprim17ROCPRIM_400000_NS6detail17trampoline_kernelINS0_14default_configENS1_20scan_config_selectorIsEEZZNS1_9scan_implILNS1_25lookback_scan_determinismE0ELb0ELb0ES3_N6thrust23THRUST_200600_302600_NS6detail15normal_iteratorINS9_10device_ptrIsEEEESE_sNS9_4plusIsEEsEEDaPvRmT3_T4_T5_mT6_P12ihipStream_tbENKUlT_T0_E_clISt17integral_constantIbLb0EESU_EEDaSP_SQ_EUlSP_E_NS1_11comp_targetILNS1_3genE8ELNS1_11target_archE1030ELNS1_3gpuE2ELNS1_3repE0EEENS1_30default_config_static_selectorELNS0_4arch9wavefront6targetE1EEEvT1_
; %bb.0:
	.section	.rodata,"a",@progbits
	.p2align	6, 0x0
	.amdhsa_kernel _ZN7rocprim17ROCPRIM_400000_NS6detail17trampoline_kernelINS0_14default_configENS1_20scan_config_selectorIsEEZZNS1_9scan_implILNS1_25lookback_scan_determinismE0ELb0ELb0ES3_N6thrust23THRUST_200600_302600_NS6detail15normal_iteratorINS9_10device_ptrIsEEEESE_sNS9_4plusIsEEsEEDaPvRmT3_T4_T5_mT6_P12ihipStream_tbENKUlT_T0_E_clISt17integral_constantIbLb0EESU_EEDaSP_SQ_EUlSP_E_NS1_11comp_targetILNS1_3genE8ELNS1_11target_archE1030ELNS1_3gpuE2ELNS1_3repE0EEENS1_30default_config_static_selectorELNS0_4arch9wavefront6targetE1EEEvT1_
		.amdhsa_group_segment_fixed_size 0
		.amdhsa_private_segment_fixed_size 0
		.amdhsa_kernarg_size 96
		.amdhsa_user_sgpr_count 6
		.amdhsa_user_sgpr_private_segment_buffer 1
		.amdhsa_user_sgpr_dispatch_ptr 0
		.amdhsa_user_sgpr_queue_ptr 0
		.amdhsa_user_sgpr_kernarg_segment_ptr 1
		.amdhsa_user_sgpr_dispatch_id 0
		.amdhsa_user_sgpr_flat_scratch_init 0
		.amdhsa_user_sgpr_kernarg_preload_length 0
		.amdhsa_user_sgpr_kernarg_preload_offset 0
		.amdhsa_user_sgpr_private_segment_size 0
		.amdhsa_uses_dynamic_stack 0
		.amdhsa_system_sgpr_private_segment_wavefront_offset 0
		.amdhsa_system_sgpr_workgroup_id_x 1
		.amdhsa_system_sgpr_workgroup_id_y 0
		.amdhsa_system_sgpr_workgroup_id_z 0
		.amdhsa_system_sgpr_workgroup_info 0
		.amdhsa_system_vgpr_workitem_id 0
		.amdhsa_next_free_vgpr 1
		.amdhsa_next_free_sgpr 0
		.amdhsa_accum_offset 4
		.amdhsa_reserve_vcc 0
		.amdhsa_reserve_flat_scratch 0
		.amdhsa_float_round_mode_32 0
		.amdhsa_float_round_mode_16_64 0
		.amdhsa_float_denorm_mode_32 3
		.amdhsa_float_denorm_mode_16_64 3
		.amdhsa_dx10_clamp 1
		.amdhsa_ieee_mode 1
		.amdhsa_fp16_overflow 0
		.amdhsa_tg_split 0
		.amdhsa_exception_fp_ieee_invalid_op 0
		.amdhsa_exception_fp_denorm_src 0
		.amdhsa_exception_fp_ieee_div_zero 0
		.amdhsa_exception_fp_ieee_overflow 0
		.amdhsa_exception_fp_ieee_underflow 0
		.amdhsa_exception_fp_ieee_inexact 0
		.amdhsa_exception_int_div_zero 0
	.end_amdhsa_kernel
	.section	.text._ZN7rocprim17ROCPRIM_400000_NS6detail17trampoline_kernelINS0_14default_configENS1_20scan_config_selectorIsEEZZNS1_9scan_implILNS1_25lookback_scan_determinismE0ELb0ELb0ES3_N6thrust23THRUST_200600_302600_NS6detail15normal_iteratorINS9_10device_ptrIsEEEESE_sNS9_4plusIsEEsEEDaPvRmT3_T4_T5_mT6_P12ihipStream_tbENKUlT_T0_E_clISt17integral_constantIbLb0EESU_EEDaSP_SQ_EUlSP_E_NS1_11comp_targetILNS1_3genE8ELNS1_11target_archE1030ELNS1_3gpuE2ELNS1_3repE0EEENS1_30default_config_static_selectorELNS0_4arch9wavefront6targetE1EEEvT1_,"axG",@progbits,_ZN7rocprim17ROCPRIM_400000_NS6detail17trampoline_kernelINS0_14default_configENS1_20scan_config_selectorIsEEZZNS1_9scan_implILNS1_25lookback_scan_determinismE0ELb0ELb0ES3_N6thrust23THRUST_200600_302600_NS6detail15normal_iteratorINS9_10device_ptrIsEEEESE_sNS9_4plusIsEEsEEDaPvRmT3_T4_T5_mT6_P12ihipStream_tbENKUlT_T0_E_clISt17integral_constantIbLb0EESU_EEDaSP_SQ_EUlSP_E_NS1_11comp_targetILNS1_3genE8ELNS1_11target_archE1030ELNS1_3gpuE2ELNS1_3repE0EEENS1_30default_config_static_selectorELNS0_4arch9wavefront6targetE1EEEvT1_,comdat
.Lfunc_end1059:
	.size	_ZN7rocprim17ROCPRIM_400000_NS6detail17trampoline_kernelINS0_14default_configENS1_20scan_config_selectorIsEEZZNS1_9scan_implILNS1_25lookback_scan_determinismE0ELb0ELb0ES3_N6thrust23THRUST_200600_302600_NS6detail15normal_iteratorINS9_10device_ptrIsEEEESE_sNS9_4plusIsEEsEEDaPvRmT3_T4_T5_mT6_P12ihipStream_tbENKUlT_T0_E_clISt17integral_constantIbLb0EESU_EEDaSP_SQ_EUlSP_E_NS1_11comp_targetILNS1_3genE8ELNS1_11target_archE1030ELNS1_3gpuE2ELNS1_3repE0EEENS1_30default_config_static_selectorELNS0_4arch9wavefront6targetE1EEEvT1_, .Lfunc_end1059-_ZN7rocprim17ROCPRIM_400000_NS6detail17trampoline_kernelINS0_14default_configENS1_20scan_config_selectorIsEEZZNS1_9scan_implILNS1_25lookback_scan_determinismE0ELb0ELb0ES3_N6thrust23THRUST_200600_302600_NS6detail15normal_iteratorINS9_10device_ptrIsEEEESE_sNS9_4plusIsEEsEEDaPvRmT3_T4_T5_mT6_P12ihipStream_tbENKUlT_T0_E_clISt17integral_constantIbLb0EESU_EEDaSP_SQ_EUlSP_E_NS1_11comp_targetILNS1_3genE8ELNS1_11target_archE1030ELNS1_3gpuE2ELNS1_3repE0EEENS1_30default_config_static_selectorELNS0_4arch9wavefront6targetE1EEEvT1_
                                        ; -- End function
	.section	.AMDGPU.csdata,"",@progbits
; Kernel info:
; codeLenInByte = 0
; NumSgprs: 4
; NumVgprs: 0
; NumAgprs: 0
; TotalNumVgprs: 0
; ScratchSize: 0
; MemoryBound: 0
; FloatMode: 240
; IeeeMode: 1
; LDSByteSize: 0 bytes/workgroup (compile time only)
; SGPRBlocks: 0
; VGPRBlocks: 0
; NumSGPRsForWavesPerEU: 4
; NumVGPRsForWavesPerEU: 1
; AccumOffset: 4
; Occupancy: 8
; WaveLimiterHint : 0
; COMPUTE_PGM_RSRC2:SCRATCH_EN: 0
; COMPUTE_PGM_RSRC2:USER_SGPR: 6
; COMPUTE_PGM_RSRC2:TRAP_HANDLER: 0
; COMPUTE_PGM_RSRC2:TGID_X_EN: 1
; COMPUTE_PGM_RSRC2:TGID_Y_EN: 0
; COMPUTE_PGM_RSRC2:TGID_Z_EN: 0
; COMPUTE_PGM_RSRC2:TIDIG_COMP_CNT: 0
; COMPUTE_PGM_RSRC3_GFX90A:ACCUM_OFFSET: 0
; COMPUTE_PGM_RSRC3_GFX90A:TG_SPLIT: 0
	.section	.text._ZN7rocprim17ROCPRIM_400000_NS6detail17trampoline_kernelINS0_14default_configENS1_20scan_config_selectorIsEEZZNS1_9scan_implILNS1_25lookback_scan_determinismE0ELb0ELb0ES3_N6thrust23THRUST_200600_302600_NS6detail15normal_iteratorINS9_10device_ptrIsEEEESE_sNS9_4plusIsEEsEEDaPvRmT3_T4_T5_mT6_P12ihipStream_tbENKUlT_T0_E_clISt17integral_constantIbLb0EESU_EEDaSP_SQ_EUlSP_E0_NS1_11comp_targetILNS1_3genE0ELNS1_11target_archE4294967295ELNS1_3gpuE0ELNS1_3repE0EEENS1_30default_config_static_selectorELNS0_4arch9wavefront6targetE1EEEvT1_,"axG",@progbits,_ZN7rocprim17ROCPRIM_400000_NS6detail17trampoline_kernelINS0_14default_configENS1_20scan_config_selectorIsEEZZNS1_9scan_implILNS1_25lookback_scan_determinismE0ELb0ELb0ES3_N6thrust23THRUST_200600_302600_NS6detail15normal_iteratorINS9_10device_ptrIsEEEESE_sNS9_4plusIsEEsEEDaPvRmT3_T4_T5_mT6_P12ihipStream_tbENKUlT_T0_E_clISt17integral_constantIbLb0EESU_EEDaSP_SQ_EUlSP_E0_NS1_11comp_targetILNS1_3genE0ELNS1_11target_archE4294967295ELNS1_3gpuE0ELNS1_3repE0EEENS1_30default_config_static_selectorELNS0_4arch9wavefront6targetE1EEEvT1_,comdat
	.protected	_ZN7rocprim17ROCPRIM_400000_NS6detail17trampoline_kernelINS0_14default_configENS1_20scan_config_selectorIsEEZZNS1_9scan_implILNS1_25lookback_scan_determinismE0ELb0ELb0ES3_N6thrust23THRUST_200600_302600_NS6detail15normal_iteratorINS9_10device_ptrIsEEEESE_sNS9_4plusIsEEsEEDaPvRmT3_T4_T5_mT6_P12ihipStream_tbENKUlT_T0_E_clISt17integral_constantIbLb0EESU_EEDaSP_SQ_EUlSP_E0_NS1_11comp_targetILNS1_3genE0ELNS1_11target_archE4294967295ELNS1_3gpuE0ELNS1_3repE0EEENS1_30default_config_static_selectorELNS0_4arch9wavefront6targetE1EEEvT1_ ; -- Begin function _ZN7rocprim17ROCPRIM_400000_NS6detail17trampoline_kernelINS0_14default_configENS1_20scan_config_selectorIsEEZZNS1_9scan_implILNS1_25lookback_scan_determinismE0ELb0ELb0ES3_N6thrust23THRUST_200600_302600_NS6detail15normal_iteratorINS9_10device_ptrIsEEEESE_sNS9_4plusIsEEsEEDaPvRmT3_T4_T5_mT6_P12ihipStream_tbENKUlT_T0_E_clISt17integral_constantIbLb0EESU_EEDaSP_SQ_EUlSP_E0_NS1_11comp_targetILNS1_3genE0ELNS1_11target_archE4294967295ELNS1_3gpuE0ELNS1_3repE0EEENS1_30default_config_static_selectorELNS0_4arch9wavefront6targetE1EEEvT1_
	.globl	_ZN7rocprim17ROCPRIM_400000_NS6detail17trampoline_kernelINS0_14default_configENS1_20scan_config_selectorIsEEZZNS1_9scan_implILNS1_25lookback_scan_determinismE0ELb0ELb0ES3_N6thrust23THRUST_200600_302600_NS6detail15normal_iteratorINS9_10device_ptrIsEEEESE_sNS9_4plusIsEEsEEDaPvRmT3_T4_T5_mT6_P12ihipStream_tbENKUlT_T0_E_clISt17integral_constantIbLb0EESU_EEDaSP_SQ_EUlSP_E0_NS1_11comp_targetILNS1_3genE0ELNS1_11target_archE4294967295ELNS1_3gpuE0ELNS1_3repE0EEENS1_30default_config_static_selectorELNS0_4arch9wavefront6targetE1EEEvT1_
	.p2align	8
	.type	_ZN7rocprim17ROCPRIM_400000_NS6detail17trampoline_kernelINS0_14default_configENS1_20scan_config_selectorIsEEZZNS1_9scan_implILNS1_25lookback_scan_determinismE0ELb0ELb0ES3_N6thrust23THRUST_200600_302600_NS6detail15normal_iteratorINS9_10device_ptrIsEEEESE_sNS9_4plusIsEEsEEDaPvRmT3_T4_T5_mT6_P12ihipStream_tbENKUlT_T0_E_clISt17integral_constantIbLb0EESU_EEDaSP_SQ_EUlSP_E0_NS1_11comp_targetILNS1_3genE0ELNS1_11target_archE4294967295ELNS1_3gpuE0ELNS1_3repE0EEENS1_30default_config_static_selectorELNS0_4arch9wavefront6targetE1EEEvT1_,@function
_ZN7rocprim17ROCPRIM_400000_NS6detail17trampoline_kernelINS0_14default_configENS1_20scan_config_selectorIsEEZZNS1_9scan_implILNS1_25lookback_scan_determinismE0ELb0ELb0ES3_N6thrust23THRUST_200600_302600_NS6detail15normal_iteratorINS9_10device_ptrIsEEEESE_sNS9_4plusIsEEsEEDaPvRmT3_T4_T5_mT6_P12ihipStream_tbENKUlT_T0_E_clISt17integral_constantIbLb0EESU_EEDaSP_SQ_EUlSP_E0_NS1_11comp_targetILNS1_3genE0ELNS1_11target_archE4294967295ELNS1_3gpuE0ELNS1_3repE0EEENS1_30default_config_static_selectorELNS0_4arch9wavefront6targetE1EEEvT1_: ; @_ZN7rocprim17ROCPRIM_400000_NS6detail17trampoline_kernelINS0_14default_configENS1_20scan_config_selectorIsEEZZNS1_9scan_implILNS1_25lookback_scan_determinismE0ELb0ELb0ES3_N6thrust23THRUST_200600_302600_NS6detail15normal_iteratorINS9_10device_ptrIsEEEESE_sNS9_4plusIsEEsEEDaPvRmT3_T4_T5_mT6_P12ihipStream_tbENKUlT_T0_E_clISt17integral_constantIbLb0EESU_EEDaSP_SQ_EUlSP_E0_NS1_11comp_targetILNS1_3genE0ELNS1_11target_archE4294967295ELNS1_3gpuE0ELNS1_3repE0EEENS1_30default_config_static_selectorELNS0_4arch9wavefront6targetE1EEEvT1_
; %bb.0:
	.section	.rodata,"a",@progbits
	.p2align	6, 0x0
	.amdhsa_kernel _ZN7rocprim17ROCPRIM_400000_NS6detail17trampoline_kernelINS0_14default_configENS1_20scan_config_selectorIsEEZZNS1_9scan_implILNS1_25lookback_scan_determinismE0ELb0ELb0ES3_N6thrust23THRUST_200600_302600_NS6detail15normal_iteratorINS9_10device_ptrIsEEEESE_sNS9_4plusIsEEsEEDaPvRmT3_T4_T5_mT6_P12ihipStream_tbENKUlT_T0_E_clISt17integral_constantIbLb0EESU_EEDaSP_SQ_EUlSP_E0_NS1_11comp_targetILNS1_3genE0ELNS1_11target_archE4294967295ELNS1_3gpuE0ELNS1_3repE0EEENS1_30default_config_static_selectorELNS0_4arch9wavefront6targetE1EEEvT1_
		.amdhsa_group_segment_fixed_size 0
		.amdhsa_private_segment_fixed_size 0
		.amdhsa_kernarg_size 32
		.amdhsa_user_sgpr_count 6
		.amdhsa_user_sgpr_private_segment_buffer 1
		.amdhsa_user_sgpr_dispatch_ptr 0
		.amdhsa_user_sgpr_queue_ptr 0
		.amdhsa_user_sgpr_kernarg_segment_ptr 1
		.amdhsa_user_sgpr_dispatch_id 0
		.amdhsa_user_sgpr_flat_scratch_init 0
		.amdhsa_user_sgpr_kernarg_preload_length 0
		.amdhsa_user_sgpr_kernarg_preload_offset 0
		.amdhsa_user_sgpr_private_segment_size 0
		.amdhsa_uses_dynamic_stack 0
		.amdhsa_system_sgpr_private_segment_wavefront_offset 0
		.amdhsa_system_sgpr_workgroup_id_x 1
		.amdhsa_system_sgpr_workgroup_id_y 0
		.amdhsa_system_sgpr_workgroup_id_z 0
		.amdhsa_system_sgpr_workgroup_info 0
		.amdhsa_system_vgpr_workitem_id 0
		.amdhsa_next_free_vgpr 1
		.amdhsa_next_free_sgpr 0
		.amdhsa_accum_offset 4
		.amdhsa_reserve_vcc 0
		.amdhsa_reserve_flat_scratch 0
		.amdhsa_float_round_mode_32 0
		.amdhsa_float_round_mode_16_64 0
		.amdhsa_float_denorm_mode_32 3
		.amdhsa_float_denorm_mode_16_64 3
		.amdhsa_dx10_clamp 1
		.amdhsa_ieee_mode 1
		.amdhsa_fp16_overflow 0
		.amdhsa_tg_split 0
		.amdhsa_exception_fp_ieee_invalid_op 0
		.amdhsa_exception_fp_denorm_src 0
		.amdhsa_exception_fp_ieee_div_zero 0
		.amdhsa_exception_fp_ieee_overflow 0
		.amdhsa_exception_fp_ieee_underflow 0
		.amdhsa_exception_fp_ieee_inexact 0
		.amdhsa_exception_int_div_zero 0
	.end_amdhsa_kernel
	.section	.text._ZN7rocprim17ROCPRIM_400000_NS6detail17trampoline_kernelINS0_14default_configENS1_20scan_config_selectorIsEEZZNS1_9scan_implILNS1_25lookback_scan_determinismE0ELb0ELb0ES3_N6thrust23THRUST_200600_302600_NS6detail15normal_iteratorINS9_10device_ptrIsEEEESE_sNS9_4plusIsEEsEEDaPvRmT3_T4_T5_mT6_P12ihipStream_tbENKUlT_T0_E_clISt17integral_constantIbLb0EESU_EEDaSP_SQ_EUlSP_E0_NS1_11comp_targetILNS1_3genE0ELNS1_11target_archE4294967295ELNS1_3gpuE0ELNS1_3repE0EEENS1_30default_config_static_selectorELNS0_4arch9wavefront6targetE1EEEvT1_,"axG",@progbits,_ZN7rocprim17ROCPRIM_400000_NS6detail17trampoline_kernelINS0_14default_configENS1_20scan_config_selectorIsEEZZNS1_9scan_implILNS1_25lookback_scan_determinismE0ELb0ELb0ES3_N6thrust23THRUST_200600_302600_NS6detail15normal_iteratorINS9_10device_ptrIsEEEESE_sNS9_4plusIsEEsEEDaPvRmT3_T4_T5_mT6_P12ihipStream_tbENKUlT_T0_E_clISt17integral_constantIbLb0EESU_EEDaSP_SQ_EUlSP_E0_NS1_11comp_targetILNS1_3genE0ELNS1_11target_archE4294967295ELNS1_3gpuE0ELNS1_3repE0EEENS1_30default_config_static_selectorELNS0_4arch9wavefront6targetE1EEEvT1_,comdat
.Lfunc_end1060:
	.size	_ZN7rocprim17ROCPRIM_400000_NS6detail17trampoline_kernelINS0_14default_configENS1_20scan_config_selectorIsEEZZNS1_9scan_implILNS1_25lookback_scan_determinismE0ELb0ELb0ES3_N6thrust23THRUST_200600_302600_NS6detail15normal_iteratorINS9_10device_ptrIsEEEESE_sNS9_4plusIsEEsEEDaPvRmT3_T4_T5_mT6_P12ihipStream_tbENKUlT_T0_E_clISt17integral_constantIbLb0EESU_EEDaSP_SQ_EUlSP_E0_NS1_11comp_targetILNS1_3genE0ELNS1_11target_archE4294967295ELNS1_3gpuE0ELNS1_3repE0EEENS1_30default_config_static_selectorELNS0_4arch9wavefront6targetE1EEEvT1_, .Lfunc_end1060-_ZN7rocprim17ROCPRIM_400000_NS6detail17trampoline_kernelINS0_14default_configENS1_20scan_config_selectorIsEEZZNS1_9scan_implILNS1_25lookback_scan_determinismE0ELb0ELb0ES3_N6thrust23THRUST_200600_302600_NS6detail15normal_iteratorINS9_10device_ptrIsEEEESE_sNS9_4plusIsEEsEEDaPvRmT3_T4_T5_mT6_P12ihipStream_tbENKUlT_T0_E_clISt17integral_constantIbLb0EESU_EEDaSP_SQ_EUlSP_E0_NS1_11comp_targetILNS1_3genE0ELNS1_11target_archE4294967295ELNS1_3gpuE0ELNS1_3repE0EEENS1_30default_config_static_selectorELNS0_4arch9wavefront6targetE1EEEvT1_
                                        ; -- End function
	.section	.AMDGPU.csdata,"",@progbits
; Kernel info:
; codeLenInByte = 0
; NumSgprs: 4
; NumVgprs: 0
; NumAgprs: 0
; TotalNumVgprs: 0
; ScratchSize: 0
; MemoryBound: 0
; FloatMode: 240
; IeeeMode: 1
; LDSByteSize: 0 bytes/workgroup (compile time only)
; SGPRBlocks: 0
; VGPRBlocks: 0
; NumSGPRsForWavesPerEU: 4
; NumVGPRsForWavesPerEU: 1
; AccumOffset: 4
; Occupancy: 8
; WaveLimiterHint : 0
; COMPUTE_PGM_RSRC2:SCRATCH_EN: 0
; COMPUTE_PGM_RSRC2:USER_SGPR: 6
; COMPUTE_PGM_RSRC2:TRAP_HANDLER: 0
; COMPUTE_PGM_RSRC2:TGID_X_EN: 1
; COMPUTE_PGM_RSRC2:TGID_Y_EN: 0
; COMPUTE_PGM_RSRC2:TGID_Z_EN: 0
; COMPUTE_PGM_RSRC2:TIDIG_COMP_CNT: 0
; COMPUTE_PGM_RSRC3_GFX90A:ACCUM_OFFSET: 0
; COMPUTE_PGM_RSRC3_GFX90A:TG_SPLIT: 0
	.section	.text._ZN7rocprim17ROCPRIM_400000_NS6detail17trampoline_kernelINS0_14default_configENS1_20scan_config_selectorIsEEZZNS1_9scan_implILNS1_25lookback_scan_determinismE0ELb0ELb0ES3_N6thrust23THRUST_200600_302600_NS6detail15normal_iteratorINS9_10device_ptrIsEEEESE_sNS9_4plusIsEEsEEDaPvRmT3_T4_T5_mT6_P12ihipStream_tbENKUlT_T0_E_clISt17integral_constantIbLb0EESU_EEDaSP_SQ_EUlSP_E0_NS1_11comp_targetILNS1_3genE5ELNS1_11target_archE942ELNS1_3gpuE9ELNS1_3repE0EEENS1_30default_config_static_selectorELNS0_4arch9wavefront6targetE1EEEvT1_,"axG",@progbits,_ZN7rocprim17ROCPRIM_400000_NS6detail17trampoline_kernelINS0_14default_configENS1_20scan_config_selectorIsEEZZNS1_9scan_implILNS1_25lookback_scan_determinismE0ELb0ELb0ES3_N6thrust23THRUST_200600_302600_NS6detail15normal_iteratorINS9_10device_ptrIsEEEESE_sNS9_4plusIsEEsEEDaPvRmT3_T4_T5_mT6_P12ihipStream_tbENKUlT_T0_E_clISt17integral_constantIbLb0EESU_EEDaSP_SQ_EUlSP_E0_NS1_11comp_targetILNS1_3genE5ELNS1_11target_archE942ELNS1_3gpuE9ELNS1_3repE0EEENS1_30default_config_static_selectorELNS0_4arch9wavefront6targetE1EEEvT1_,comdat
	.protected	_ZN7rocprim17ROCPRIM_400000_NS6detail17trampoline_kernelINS0_14default_configENS1_20scan_config_selectorIsEEZZNS1_9scan_implILNS1_25lookback_scan_determinismE0ELb0ELb0ES3_N6thrust23THRUST_200600_302600_NS6detail15normal_iteratorINS9_10device_ptrIsEEEESE_sNS9_4plusIsEEsEEDaPvRmT3_T4_T5_mT6_P12ihipStream_tbENKUlT_T0_E_clISt17integral_constantIbLb0EESU_EEDaSP_SQ_EUlSP_E0_NS1_11comp_targetILNS1_3genE5ELNS1_11target_archE942ELNS1_3gpuE9ELNS1_3repE0EEENS1_30default_config_static_selectorELNS0_4arch9wavefront6targetE1EEEvT1_ ; -- Begin function _ZN7rocprim17ROCPRIM_400000_NS6detail17trampoline_kernelINS0_14default_configENS1_20scan_config_selectorIsEEZZNS1_9scan_implILNS1_25lookback_scan_determinismE0ELb0ELb0ES3_N6thrust23THRUST_200600_302600_NS6detail15normal_iteratorINS9_10device_ptrIsEEEESE_sNS9_4plusIsEEsEEDaPvRmT3_T4_T5_mT6_P12ihipStream_tbENKUlT_T0_E_clISt17integral_constantIbLb0EESU_EEDaSP_SQ_EUlSP_E0_NS1_11comp_targetILNS1_3genE5ELNS1_11target_archE942ELNS1_3gpuE9ELNS1_3repE0EEENS1_30default_config_static_selectorELNS0_4arch9wavefront6targetE1EEEvT1_
	.globl	_ZN7rocprim17ROCPRIM_400000_NS6detail17trampoline_kernelINS0_14default_configENS1_20scan_config_selectorIsEEZZNS1_9scan_implILNS1_25lookback_scan_determinismE0ELb0ELb0ES3_N6thrust23THRUST_200600_302600_NS6detail15normal_iteratorINS9_10device_ptrIsEEEESE_sNS9_4plusIsEEsEEDaPvRmT3_T4_T5_mT6_P12ihipStream_tbENKUlT_T0_E_clISt17integral_constantIbLb0EESU_EEDaSP_SQ_EUlSP_E0_NS1_11comp_targetILNS1_3genE5ELNS1_11target_archE942ELNS1_3gpuE9ELNS1_3repE0EEENS1_30default_config_static_selectorELNS0_4arch9wavefront6targetE1EEEvT1_
	.p2align	8
	.type	_ZN7rocprim17ROCPRIM_400000_NS6detail17trampoline_kernelINS0_14default_configENS1_20scan_config_selectorIsEEZZNS1_9scan_implILNS1_25lookback_scan_determinismE0ELb0ELb0ES3_N6thrust23THRUST_200600_302600_NS6detail15normal_iteratorINS9_10device_ptrIsEEEESE_sNS9_4plusIsEEsEEDaPvRmT3_T4_T5_mT6_P12ihipStream_tbENKUlT_T0_E_clISt17integral_constantIbLb0EESU_EEDaSP_SQ_EUlSP_E0_NS1_11comp_targetILNS1_3genE5ELNS1_11target_archE942ELNS1_3gpuE9ELNS1_3repE0EEENS1_30default_config_static_selectorELNS0_4arch9wavefront6targetE1EEEvT1_,@function
_ZN7rocprim17ROCPRIM_400000_NS6detail17trampoline_kernelINS0_14default_configENS1_20scan_config_selectorIsEEZZNS1_9scan_implILNS1_25lookback_scan_determinismE0ELb0ELb0ES3_N6thrust23THRUST_200600_302600_NS6detail15normal_iteratorINS9_10device_ptrIsEEEESE_sNS9_4plusIsEEsEEDaPvRmT3_T4_T5_mT6_P12ihipStream_tbENKUlT_T0_E_clISt17integral_constantIbLb0EESU_EEDaSP_SQ_EUlSP_E0_NS1_11comp_targetILNS1_3genE5ELNS1_11target_archE942ELNS1_3gpuE9ELNS1_3repE0EEENS1_30default_config_static_selectorELNS0_4arch9wavefront6targetE1EEEvT1_: ; @_ZN7rocprim17ROCPRIM_400000_NS6detail17trampoline_kernelINS0_14default_configENS1_20scan_config_selectorIsEEZZNS1_9scan_implILNS1_25lookback_scan_determinismE0ELb0ELb0ES3_N6thrust23THRUST_200600_302600_NS6detail15normal_iteratorINS9_10device_ptrIsEEEESE_sNS9_4plusIsEEsEEDaPvRmT3_T4_T5_mT6_P12ihipStream_tbENKUlT_T0_E_clISt17integral_constantIbLb0EESU_EEDaSP_SQ_EUlSP_E0_NS1_11comp_targetILNS1_3genE5ELNS1_11target_archE942ELNS1_3gpuE9ELNS1_3repE0EEENS1_30default_config_static_selectorELNS0_4arch9wavefront6targetE1EEEvT1_
; %bb.0:
	.section	.rodata,"a",@progbits
	.p2align	6, 0x0
	.amdhsa_kernel _ZN7rocprim17ROCPRIM_400000_NS6detail17trampoline_kernelINS0_14default_configENS1_20scan_config_selectorIsEEZZNS1_9scan_implILNS1_25lookback_scan_determinismE0ELb0ELb0ES3_N6thrust23THRUST_200600_302600_NS6detail15normal_iteratorINS9_10device_ptrIsEEEESE_sNS9_4plusIsEEsEEDaPvRmT3_T4_T5_mT6_P12ihipStream_tbENKUlT_T0_E_clISt17integral_constantIbLb0EESU_EEDaSP_SQ_EUlSP_E0_NS1_11comp_targetILNS1_3genE5ELNS1_11target_archE942ELNS1_3gpuE9ELNS1_3repE0EEENS1_30default_config_static_selectorELNS0_4arch9wavefront6targetE1EEEvT1_
		.amdhsa_group_segment_fixed_size 0
		.amdhsa_private_segment_fixed_size 0
		.amdhsa_kernarg_size 32
		.amdhsa_user_sgpr_count 6
		.amdhsa_user_sgpr_private_segment_buffer 1
		.amdhsa_user_sgpr_dispatch_ptr 0
		.amdhsa_user_sgpr_queue_ptr 0
		.amdhsa_user_sgpr_kernarg_segment_ptr 1
		.amdhsa_user_sgpr_dispatch_id 0
		.amdhsa_user_sgpr_flat_scratch_init 0
		.amdhsa_user_sgpr_kernarg_preload_length 0
		.amdhsa_user_sgpr_kernarg_preload_offset 0
		.amdhsa_user_sgpr_private_segment_size 0
		.amdhsa_uses_dynamic_stack 0
		.amdhsa_system_sgpr_private_segment_wavefront_offset 0
		.amdhsa_system_sgpr_workgroup_id_x 1
		.amdhsa_system_sgpr_workgroup_id_y 0
		.amdhsa_system_sgpr_workgroup_id_z 0
		.amdhsa_system_sgpr_workgroup_info 0
		.amdhsa_system_vgpr_workitem_id 0
		.amdhsa_next_free_vgpr 1
		.amdhsa_next_free_sgpr 0
		.amdhsa_accum_offset 4
		.amdhsa_reserve_vcc 0
		.amdhsa_reserve_flat_scratch 0
		.amdhsa_float_round_mode_32 0
		.amdhsa_float_round_mode_16_64 0
		.amdhsa_float_denorm_mode_32 3
		.amdhsa_float_denorm_mode_16_64 3
		.amdhsa_dx10_clamp 1
		.amdhsa_ieee_mode 1
		.amdhsa_fp16_overflow 0
		.amdhsa_tg_split 0
		.amdhsa_exception_fp_ieee_invalid_op 0
		.amdhsa_exception_fp_denorm_src 0
		.amdhsa_exception_fp_ieee_div_zero 0
		.amdhsa_exception_fp_ieee_overflow 0
		.amdhsa_exception_fp_ieee_underflow 0
		.amdhsa_exception_fp_ieee_inexact 0
		.amdhsa_exception_int_div_zero 0
	.end_amdhsa_kernel
	.section	.text._ZN7rocprim17ROCPRIM_400000_NS6detail17trampoline_kernelINS0_14default_configENS1_20scan_config_selectorIsEEZZNS1_9scan_implILNS1_25lookback_scan_determinismE0ELb0ELb0ES3_N6thrust23THRUST_200600_302600_NS6detail15normal_iteratorINS9_10device_ptrIsEEEESE_sNS9_4plusIsEEsEEDaPvRmT3_T4_T5_mT6_P12ihipStream_tbENKUlT_T0_E_clISt17integral_constantIbLb0EESU_EEDaSP_SQ_EUlSP_E0_NS1_11comp_targetILNS1_3genE5ELNS1_11target_archE942ELNS1_3gpuE9ELNS1_3repE0EEENS1_30default_config_static_selectorELNS0_4arch9wavefront6targetE1EEEvT1_,"axG",@progbits,_ZN7rocprim17ROCPRIM_400000_NS6detail17trampoline_kernelINS0_14default_configENS1_20scan_config_selectorIsEEZZNS1_9scan_implILNS1_25lookback_scan_determinismE0ELb0ELb0ES3_N6thrust23THRUST_200600_302600_NS6detail15normal_iteratorINS9_10device_ptrIsEEEESE_sNS9_4plusIsEEsEEDaPvRmT3_T4_T5_mT6_P12ihipStream_tbENKUlT_T0_E_clISt17integral_constantIbLb0EESU_EEDaSP_SQ_EUlSP_E0_NS1_11comp_targetILNS1_3genE5ELNS1_11target_archE942ELNS1_3gpuE9ELNS1_3repE0EEENS1_30default_config_static_selectorELNS0_4arch9wavefront6targetE1EEEvT1_,comdat
.Lfunc_end1061:
	.size	_ZN7rocprim17ROCPRIM_400000_NS6detail17trampoline_kernelINS0_14default_configENS1_20scan_config_selectorIsEEZZNS1_9scan_implILNS1_25lookback_scan_determinismE0ELb0ELb0ES3_N6thrust23THRUST_200600_302600_NS6detail15normal_iteratorINS9_10device_ptrIsEEEESE_sNS9_4plusIsEEsEEDaPvRmT3_T4_T5_mT6_P12ihipStream_tbENKUlT_T0_E_clISt17integral_constantIbLb0EESU_EEDaSP_SQ_EUlSP_E0_NS1_11comp_targetILNS1_3genE5ELNS1_11target_archE942ELNS1_3gpuE9ELNS1_3repE0EEENS1_30default_config_static_selectorELNS0_4arch9wavefront6targetE1EEEvT1_, .Lfunc_end1061-_ZN7rocprim17ROCPRIM_400000_NS6detail17trampoline_kernelINS0_14default_configENS1_20scan_config_selectorIsEEZZNS1_9scan_implILNS1_25lookback_scan_determinismE0ELb0ELb0ES3_N6thrust23THRUST_200600_302600_NS6detail15normal_iteratorINS9_10device_ptrIsEEEESE_sNS9_4plusIsEEsEEDaPvRmT3_T4_T5_mT6_P12ihipStream_tbENKUlT_T0_E_clISt17integral_constantIbLb0EESU_EEDaSP_SQ_EUlSP_E0_NS1_11comp_targetILNS1_3genE5ELNS1_11target_archE942ELNS1_3gpuE9ELNS1_3repE0EEENS1_30default_config_static_selectorELNS0_4arch9wavefront6targetE1EEEvT1_
                                        ; -- End function
	.section	.AMDGPU.csdata,"",@progbits
; Kernel info:
; codeLenInByte = 0
; NumSgprs: 4
; NumVgprs: 0
; NumAgprs: 0
; TotalNumVgprs: 0
; ScratchSize: 0
; MemoryBound: 0
; FloatMode: 240
; IeeeMode: 1
; LDSByteSize: 0 bytes/workgroup (compile time only)
; SGPRBlocks: 0
; VGPRBlocks: 0
; NumSGPRsForWavesPerEU: 4
; NumVGPRsForWavesPerEU: 1
; AccumOffset: 4
; Occupancy: 8
; WaveLimiterHint : 0
; COMPUTE_PGM_RSRC2:SCRATCH_EN: 0
; COMPUTE_PGM_RSRC2:USER_SGPR: 6
; COMPUTE_PGM_RSRC2:TRAP_HANDLER: 0
; COMPUTE_PGM_RSRC2:TGID_X_EN: 1
; COMPUTE_PGM_RSRC2:TGID_Y_EN: 0
; COMPUTE_PGM_RSRC2:TGID_Z_EN: 0
; COMPUTE_PGM_RSRC2:TIDIG_COMP_CNT: 0
; COMPUTE_PGM_RSRC3_GFX90A:ACCUM_OFFSET: 0
; COMPUTE_PGM_RSRC3_GFX90A:TG_SPLIT: 0
	.section	.text._ZN7rocprim17ROCPRIM_400000_NS6detail17trampoline_kernelINS0_14default_configENS1_20scan_config_selectorIsEEZZNS1_9scan_implILNS1_25lookback_scan_determinismE0ELb0ELb0ES3_N6thrust23THRUST_200600_302600_NS6detail15normal_iteratorINS9_10device_ptrIsEEEESE_sNS9_4plusIsEEsEEDaPvRmT3_T4_T5_mT6_P12ihipStream_tbENKUlT_T0_E_clISt17integral_constantIbLb0EESU_EEDaSP_SQ_EUlSP_E0_NS1_11comp_targetILNS1_3genE4ELNS1_11target_archE910ELNS1_3gpuE8ELNS1_3repE0EEENS1_30default_config_static_selectorELNS0_4arch9wavefront6targetE1EEEvT1_,"axG",@progbits,_ZN7rocprim17ROCPRIM_400000_NS6detail17trampoline_kernelINS0_14default_configENS1_20scan_config_selectorIsEEZZNS1_9scan_implILNS1_25lookback_scan_determinismE0ELb0ELb0ES3_N6thrust23THRUST_200600_302600_NS6detail15normal_iteratorINS9_10device_ptrIsEEEESE_sNS9_4plusIsEEsEEDaPvRmT3_T4_T5_mT6_P12ihipStream_tbENKUlT_T0_E_clISt17integral_constantIbLb0EESU_EEDaSP_SQ_EUlSP_E0_NS1_11comp_targetILNS1_3genE4ELNS1_11target_archE910ELNS1_3gpuE8ELNS1_3repE0EEENS1_30default_config_static_selectorELNS0_4arch9wavefront6targetE1EEEvT1_,comdat
	.protected	_ZN7rocprim17ROCPRIM_400000_NS6detail17trampoline_kernelINS0_14default_configENS1_20scan_config_selectorIsEEZZNS1_9scan_implILNS1_25lookback_scan_determinismE0ELb0ELb0ES3_N6thrust23THRUST_200600_302600_NS6detail15normal_iteratorINS9_10device_ptrIsEEEESE_sNS9_4plusIsEEsEEDaPvRmT3_T4_T5_mT6_P12ihipStream_tbENKUlT_T0_E_clISt17integral_constantIbLb0EESU_EEDaSP_SQ_EUlSP_E0_NS1_11comp_targetILNS1_3genE4ELNS1_11target_archE910ELNS1_3gpuE8ELNS1_3repE0EEENS1_30default_config_static_selectorELNS0_4arch9wavefront6targetE1EEEvT1_ ; -- Begin function _ZN7rocprim17ROCPRIM_400000_NS6detail17trampoline_kernelINS0_14default_configENS1_20scan_config_selectorIsEEZZNS1_9scan_implILNS1_25lookback_scan_determinismE0ELb0ELb0ES3_N6thrust23THRUST_200600_302600_NS6detail15normal_iteratorINS9_10device_ptrIsEEEESE_sNS9_4plusIsEEsEEDaPvRmT3_T4_T5_mT6_P12ihipStream_tbENKUlT_T0_E_clISt17integral_constantIbLb0EESU_EEDaSP_SQ_EUlSP_E0_NS1_11comp_targetILNS1_3genE4ELNS1_11target_archE910ELNS1_3gpuE8ELNS1_3repE0EEENS1_30default_config_static_selectorELNS0_4arch9wavefront6targetE1EEEvT1_
	.globl	_ZN7rocprim17ROCPRIM_400000_NS6detail17trampoline_kernelINS0_14default_configENS1_20scan_config_selectorIsEEZZNS1_9scan_implILNS1_25lookback_scan_determinismE0ELb0ELb0ES3_N6thrust23THRUST_200600_302600_NS6detail15normal_iteratorINS9_10device_ptrIsEEEESE_sNS9_4plusIsEEsEEDaPvRmT3_T4_T5_mT6_P12ihipStream_tbENKUlT_T0_E_clISt17integral_constantIbLb0EESU_EEDaSP_SQ_EUlSP_E0_NS1_11comp_targetILNS1_3genE4ELNS1_11target_archE910ELNS1_3gpuE8ELNS1_3repE0EEENS1_30default_config_static_selectorELNS0_4arch9wavefront6targetE1EEEvT1_
	.p2align	8
	.type	_ZN7rocprim17ROCPRIM_400000_NS6detail17trampoline_kernelINS0_14default_configENS1_20scan_config_selectorIsEEZZNS1_9scan_implILNS1_25lookback_scan_determinismE0ELb0ELb0ES3_N6thrust23THRUST_200600_302600_NS6detail15normal_iteratorINS9_10device_ptrIsEEEESE_sNS9_4plusIsEEsEEDaPvRmT3_T4_T5_mT6_P12ihipStream_tbENKUlT_T0_E_clISt17integral_constantIbLb0EESU_EEDaSP_SQ_EUlSP_E0_NS1_11comp_targetILNS1_3genE4ELNS1_11target_archE910ELNS1_3gpuE8ELNS1_3repE0EEENS1_30default_config_static_selectorELNS0_4arch9wavefront6targetE1EEEvT1_,@function
_ZN7rocprim17ROCPRIM_400000_NS6detail17trampoline_kernelINS0_14default_configENS1_20scan_config_selectorIsEEZZNS1_9scan_implILNS1_25lookback_scan_determinismE0ELb0ELb0ES3_N6thrust23THRUST_200600_302600_NS6detail15normal_iteratorINS9_10device_ptrIsEEEESE_sNS9_4plusIsEEsEEDaPvRmT3_T4_T5_mT6_P12ihipStream_tbENKUlT_T0_E_clISt17integral_constantIbLb0EESU_EEDaSP_SQ_EUlSP_E0_NS1_11comp_targetILNS1_3genE4ELNS1_11target_archE910ELNS1_3gpuE8ELNS1_3repE0EEENS1_30default_config_static_selectorELNS0_4arch9wavefront6targetE1EEEvT1_: ; @_ZN7rocprim17ROCPRIM_400000_NS6detail17trampoline_kernelINS0_14default_configENS1_20scan_config_selectorIsEEZZNS1_9scan_implILNS1_25lookback_scan_determinismE0ELb0ELb0ES3_N6thrust23THRUST_200600_302600_NS6detail15normal_iteratorINS9_10device_ptrIsEEEESE_sNS9_4plusIsEEsEEDaPvRmT3_T4_T5_mT6_P12ihipStream_tbENKUlT_T0_E_clISt17integral_constantIbLb0EESU_EEDaSP_SQ_EUlSP_E0_NS1_11comp_targetILNS1_3genE4ELNS1_11target_archE910ELNS1_3gpuE8ELNS1_3repE0EEENS1_30default_config_static_selectorELNS0_4arch9wavefront6targetE1EEEvT1_
; %bb.0:
	s_load_dwordx4 s[52:55], s[4:5], 0x0
	v_mov_b32_e32 v1, 0
	v_lshlrev_b32_e32 v14, 1, v0
	s_waitcnt lgkmcnt(0)
	global_load_ushort v2, v1, s[52:53]
	v_cmp_gt_u32_e32 vcc, s54, v0
	s_waitcnt vmcnt(0)
	v_mov_b32_e32 v3, v2
	s_and_saveexec_b64 s[0:1], vcc
	s_cbranch_execz .LBB1062_2
; %bb.1:
	global_load_ushort v3, v14, s[52:53]
.LBB1062_2:
	s_or_b64 exec, exec, s[0:1]
	v_or_b32_e32 v1, 64, v0
	v_cmp_gt_u32_e64 s[0:1], s54, v1
	v_mov_b32_e32 v4, v2
	s_and_saveexec_b64 s[2:3], s[0:1]
	s_cbranch_execz .LBB1062_4
; %bb.3:
	global_load_ushort v4, v14, s[52:53] offset:128
.LBB1062_4:
	s_or_b64 exec, exec, s[2:3]
	v_or_b32_e32 v1, 0x80, v0
	v_cmp_gt_u32_e64 s[2:3], s54, v1
	v_mov_b32_e32 v5, v2
	s_and_saveexec_b64 s[6:7], s[2:3]
	s_cbranch_execz .LBB1062_6
; %bb.5:
	global_load_ushort v5, v14, s[52:53] offset:256
.LBB1062_6:
	;; [unrolled: 9-line block ×22, first 2 shown]
	s_or_b64 exec, exec, s[46:47]
	v_or_b32_e32 v1, 0x5c0, v0
	v_cmp_gt_u32_e64 s[46:47], s54, v1
	v_cmp_le_u32_e64 s[50:51], s54, v1
	s_and_saveexec_b64 s[54:55], s[50:51]
	s_xor_b64 s[50:51], exec, s[54:55]
; %bb.47:
	v_mov_b32_e32 v1, 0
; %bb.48:
	s_andn2_saveexec_b64 s[50:51], s[50:51]
	s_cbranch_execz .LBB1062_50
; %bb.49:
	global_load_ushort v2, v14, s[52:53] offset:2944
	v_mov_b32_e32 v1, 0
.LBB1062_50:
	s_or_b64 exec, exec, s[50:51]
	s_waitcnt vmcnt(0)
	ds_write_b16 v14, v3
	ds_write_b16 v14, v4 offset:128
	ds_write_b16 v14, v5 offset:256
	;; [unrolled: 1-line block ×23, first 2 shown]
	v_mad_u32_u24 v6, v0, 46, v14
	s_waitcnt lgkmcnt(0)
	; wave barrier
	s_waitcnt lgkmcnt(0)
	ds_read_b128 v[2:5], v6
	ds_read_b128 v[10:13], v6 offset:16
	ds_read_b128 v[6:9], v6 offset:32
	v_mbcnt_lo_u32_b32 v38, -1, 0
	v_mbcnt_hi_u32_b32 v38, -1, v38
	s_waitcnt lgkmcnt(2)
	v_add_u16_sdwa v15, v2, v2 dst_sel:DWORD dst_unused:UNUSED_PAD src0_sel:WORD_1 src1_sel:DWORD
	v_add_u16_e32 v16, v15, v3
	v_add_u16_sdwa v18, v16, v3 dst_sel:DWORD dst_unused:UNUSED_PAD src0_sel:DWORD src1_sel:WORD_1
	v_add_u16_e32 v20, v18, v4
	v_add_u16_sdwa v22, v20, v4 dst_sel:DWORD dst_unused:UNUSED_PAD src0_sel:DWORD src1_sel:WORD_1
	;; [unrolled: 2-line block ×3, first 2 shown]
	s_waitcnt lgkmcnt(1)
	v_add_u16_e32 v17, v28, v10
	v_add_u16_sdwa v19, v17, v10 dst_sel:DWORD dst_unused:UNUSED_PAD src0_sel:DWORD src1_sel:WORD_1
	v_add_u16_e32 v21, v19, v11
	v_add_u16_sdwa v24, v21, v11 dst_sel:DWORD dst_unused:UNUSED_PAD src0_sel:DWORD src1_sel:WORD_1
	;; [unrolled: 2-line block ×4, first 2 shown]
	s_waitcnt lgkmcnt(0)
	v_add_u16_e32 v23, v34, v6
	v_add_u16_sdwa v26, v23, v6 dst_sel:DWORD dst_unused:UNUSED_PAD src0_sel:DWORD src1_sel:WORD_1
	v_add_u16_e32 v29, v26, v7
	v_add_u16_sdwa v31, v29, v7 dst_sel:DWORD dst_unused:UNUSED_PAD src0_sel:DWORD src1_sel:WORD_1
	;; [unrolled: 2-line block ×4, first 2 shown]
	v_and_b32_e32 v39, 15, v38
	s_load_dwordx2 s[50:51], s[4:5], 0x18
	v_mov_b32_dpp v40, v37 row_shr:1 row_mask:0xf bank_mask:0xf
	v_cmp_ne_u32_e64 s[4:5], 0, v39
	v_cndmask_b32_e64 v40, 0, v40, s[4:5]
	v_add_u16_e32 v40, v40, v37
	v_cmp_lt_u32_e64 s[4:5], 1, v39
	s_waitcnt lgkmcnt(0)
	v_mov_b32_dpp v41, v40 row_shr:2 row_mask:0xf bank_mask:0xf
	v_cndmask_b32_e64 v41, 0, v41, s[4:5]
	v_add_u16_e32 v40, v40, v41
	v_cmp_lt_u32_e64 s[4:5], 3, v39
	; wave barrier
	s_nop 0
	v_mov_b32_dpp v41, v40 row_shr:4 row_mask:0xf bank_mask:0xf
	v_cndmask_b32_e64 v41, 0, v41, s[4:5]
	v_add_u16_e32 v40, v40, v41
	v_cmp_lt_u32_e64 s[4:5], 7, v39
	s_nop 0
	v_mov_b32_dpp v41, v40 row_shr:8 row_mask:0xf bank_mask:0xf
	v_cndmask_b32_e64 v39, 0, v41, s[4:5]
	v_add_u16_e32 v39, v40, v39
	v_and_b32_e32 v41, 16, v38
	v_cmp_ne_u32_e64 s[4:5], 0, v41
	v_mov_b32_dpp v40, v39 row_bcast:15 row_mask:0xf bank_mask:0xf
	v_cndmask_b32_e64 v40, 0, v40, s[4:5]
	v_add_u16_e32 v39, v39, v40
	v_cmp_lt_u32_e64 s[4:5], 31, v38
	s_nop 0
	v_mov_b32_dpp v40, v39 row_bcast:31 row_mask:0xf bank_mask:0xf
	v_cndmask_b32_e64 v40, 0, v40, s[4:5]
	v_add_u16_e32 v39, v39, v40
	v_cmp_eq_u32_e64 s[4:5], 63, v0
	s_and_saveexec_b64 s[52:53], s[4:5]
	s_cbranch_execz .LBB1062_52
; %bb.51:
	v_mov_b32_e32 v40, 0
	ds_write_b16 v40, v39
.LBB1062_52:
	s_or_b64 exec, exec, s[52:53]
	v_add_u32_e32 v40, -1, v38
	v_and_b32_e32 v41, 64, v38
	v_cmp_lt_i32_e64 s[4:5], v40, v41
	v_cndmask_b32_e64 v38, v40, v38, s[4:5]
	v_lshlrev_b32_e32 v38, 2, v38
	ds_bpermute_b32 v39, v38, v39
	v_mul_u32_u24_e32 v38, 46, v0
	v_cmp_ne_u32_e64 s[4:5], 0, v0
	s_waitcnt lgkmcnt(0)
	; wave barrier
	s_waitcnt lgkmcnt(0)
	s_and_saveexec_b64 s[52:53], s[4:5]
	s_cbranch_execz .LBB1062_54
; %bb.53:
	v_add_u16_e32 v39, v2, v39
	v_add_u16_sdwa v15, v39, v2 dst_sel:DWORD dst_unused:UNUSED_PAD src0_sel:DWORD src1_sel:WORD_1
	v_add_u16_e32 v16, v15, v3
	v_add_u16_sdwa v18, v16, v3 dst_sel:DWORD dst_unused:UNUSED_PAD src0_sel:DWORD src1_sel:WORD_1
	;; [unrolled: 2-line block ×12, first 2 shown]
	v_mov_b32_e32 v2, v39
	;;#ASMSTART
	;;#ASMEND
.LBB1062_54:
	s_or_b64 exec, exec, s[52:53]
	s_mov_b32 s4, 0x5040100
	v_add_u32_e32 v6, v14, v38
	v_perm_b32 v5, v28, v25, s4
	v_perm_b32 v4, v22, v20, s4
	;; [unrolled: 1-line block ×4, first 2 shown]
	s_waitcnt lgkmcnt(0)
	; wave barrier
	ds_write_b128 v6, v[2:5]
	v_perm_b32 v5, v34, v32, s4
	v_perm_b32 v4, v30, v27, s4
	;; [unrolled: 1-line block ×4, first 2 shown]
	ds_write_b128 v6, v[2:5] offset:16
	v_perm_b32 v5, v37, v36, s4
	v_perm_b32 v4, v35, v33, s4
	v_perm_b32 v3, v31, v29, s4
	v_perm_b32 v2, v26, v23, s4
	ds_write_b128 v6, v[2:5] offset:32
	s_waitcnt lgkmcnt(0)
	; wave barrier
	s_waitcnt lgkmcnt(0)
	ds_read_u16 v25, v14 offset:128
	ds_read_u16 v24, v14 offset:256
	;; [unrolled: 1-line block ×23, first 2 shown]
	v_lshlrev_b64 v[0:1], 1, v[0:1]
	v_mov_b32_e32 v26, s51
	v_add_co_u32_e64 v0, s[4:5], s50, v0
	v_addc_co_u32_e64 v1, s[4:5], v26, v1, s[4:5]
	s_and_saveexec_b64 s[4:5], vcc
	s_cbranch_execnz .LBB1062_79
; %bb.55:
	s_or_b64 exec, exec, s[4:5]
	s_and_saveexec_b64 s[4:5], s[0:1]
	s_cbranch_execnz .LBB1062_80
.LBB1062_56:
	s_or_b64 exec, exec, s[4:5]
	s_and_saveexec_b64 s[0:1], s[2:3]
	s_cbranch_execnz .LBB1062_81
.LBB1062_57:
	s_or_b64 exec, exec, s[0:1]
	s_and_saveexec_b64 s[0:1], s[48:49]
	s_cbranch_execnz .LBB1062_82
.LBB1062_58:
	s_or_b64 exec, exec, s[0:1]
	s_and_saveexec_b64 s[0:1], s[6:7]
	s_cbranch_execnz .LBB1062_83
.LBB1062_59:
	s_or_b64 exec, exec, s[0:1]
	s_and_saveexec_b64 s[0:1], s[8:9]
	s_cbranch_execnz .LBB1062_84
.LBB1062_60:
	s_or_b64 exec, exec, s[0:1]
	s_and_saveexec_b64 s[0:1], s[10:11]
	s_cbranch_execnz .LBB1062_85
.LBB1062_61:
	s_or_b64 exec, exec, s[0:1]
	s_and_saveexec_b64 s[0:1], s[12:13]
	s_cbranch_execnz .LBB1062_86
.LBB1062_62:
	s_or_b64 exec, exec, s[0:1]
	s_and_saveexec_b64 s[0:1], s[14:15]
	s_cbranch_execnz .LBB1062_87
.LBB1062_63:
	s_or_b64 exec, exec, s[0:1]
	s_and_saveexec_b64 s[0:1], s[16:17]
	s_cbranch_execnz .LBB1062_88
.LBB1062_64:
	s_or_b64 exec, exec, s[0:1]
	s_and_saveexec_b64 s[0:1], s[18:19]
	s_cbranch_execnz .LBB1062_89
.LBB1062_65:
	s_or_b64 exec, exec, s[0:1]
	s_and_saveexec_b64 s[0:1], s[20:21]
	s_cbranch_execnz .LBB1062_90
.LBB1062_66:
	s_or_b64 exec, exec, s[0:1]
	s_and_saveexec_b64 s[0:1], s[22:23]
	s_cbranch_execnz .LBB1062_91
.LBB1062_67:
	s_or_b64 exec, exec, s[0:1]
	s_and_saveexec_b64 s[0:1], s[24:25]
	s_cbranch_execnz .LBB1062_92
.LBB1062_68:
	s_or_b64 exec, exec, s[0:1]
	s_and_saveexec_b64 s[0:1], s[26:27]
	s_cbranch_execnz .LBB1062_93
.LBB1062_69:
	s_or_b64 exec, exec, s[0:1]
	s_and_saveexec_b64 s[0:1], s[28:29]
	s_cbranch_execnz .LBB1062_94
.LBB1062_70:
	s_or_b64 exec, exec, s[0:1]
	s_and_saveexec_b64 s[0:1], s[30:31]
	s_cbranch_execnz .LBB1062_95
.LBB1062_71:
	s_or_b64 exec, exec, s[0:1]
	s_and_saveexec_b64 s[0:1], s[34:35]
	s_cbranch_execnz .LBB1062_96
.LBB1062_72:
	s_or_b64 exec, exec, s[0:1]
	s_and_saveexec_b64 s[0:1], s[36:37]
	s_cbranch_execnz .LBB1062_97
.LBB1062_73:
	s_or_b64 exec, exec, s[0:1]
	s_and_saveexec_b64 s[0:1], s[38:39]
	s_cbranch_execnz .LBB1062_98
.LBB1062_74:
	s_or_b64 exec, exec, s[0:1]
	s_and_saveexec_b64 s[0:1], s[40:41]
	s_cbranch_execnz .LBB1062_99
.LBB1062_75:
	s_or_b64 exec, exec, s[0:1]
	s_and_saveexec_b64 s[0:1], s[42:43]
	s_cbranch_execnz .LBB1062_100
.LBB1062_76:
	s_or_b64 exec, exec, s[0:1]
	s_and_saveexec_b64 s[0:1], s[44:45]
	s_cbranch_execnz .LBB1062_101
.LBB1062_77:
	s_or_b64 exec, exec, s[0:1]
	s_and_saveexec_b64 s[0:1], s[46:47]
	s_cbranch_execnz .LBB1062_102
.LBB1062_78:
	s_endpgm
.LBB1062_79:
	ds_read_u16 v14, v14
	s_waitcnt lgkmcnt(0)
	global_store_short v[0:1], v14, off
	s_or_b64 exec, exec, s[4:5]
	s_and_saveexec_b64 s[4:5], s[0:1]
	s_cbranch_execz .LBB1062_56
.LBB1062_80:
	s_waitcnt lgkmcnt(14)
	global_store_short v[0:1], v25, off offset:128
	s_or_b64 exec, exec, s[4:5]
	s_and_saveexec_b64 s[0:1], s[2:3]
	s_cbranch_execz .LBB1062_57
.LBB1062_81:
	s_waitcnt lgkmcnt(14)
	global_store_short v[0:1], v24, off offset:256
	s_or_b64 exec, exec, s[0:1]
	s_and_saveexec_b64 s[0:1], s[48:49]
	s_cbranch_execz .LBB1062_58
.LBB1062_82:
	s_waitcnt lgkmcnt(14)
	global_store_short v[0:1], v23, off offset:384
	s_or_b64 exec, exec, s[0:1]
	s_and_saveexec_b64 s[0:1], s[6:7]
	s_cbranch_execz .LBB1062_59
.LBB1062_83:
	s_waitcnt lgkmcnt(14)
	global_store_short v[0:1], v22, off offset:512
	s_or_b64 exec, exec, s[0:1]
	s_and_saveexec_b64 s[0:1], s[8:9]
	s_cbranch_execz .LBB1062_60
.LBB1062_84:
	s_waitcnt lgkmcnt(14)
	global_store_short v[0:1], v21, off offset:640
	s_or_b64 exec, exec, s[0:1]
	s_and_saveexec_b64 s[0:1], s[10:11]
	s_cbranch_execz .LBB1062_61
.LBB1062_85:
	s_waitcnt lgkmcnt(14)
	global_store_short v[0:1], v20, off offset:768
	s_or_b64 exec, exec, s[0:1]
	s_and_saveexec_b64 s[0:1], s[12:13]
	s_cbranch_execz .LBB1062_62
.LBB1062_86:
	s_waitcnt lgkmcnt(14)
	global_store_short v[0:1], v19, off offset:896
	s_or_b64 exec, exec, s[0:1]
	s_and_saveexec_b64 s[0:1], s[14:15]
	s_cbranch_execz .LBB1062_63
.LBB1062_87:
	s_waitcnt lgkmcnt(14)
	global_store_short v[0:1], v18, off offset:1024
	s_or_b64 exec, exec, s[0:1]
	s_and_saveexec_b64 s[0:1], s[16:17]
	s_cbranch_execz .LBB1062_64
.LBB1062_88:
	s_waitcnt lgkmcnt(14)
	global_store_short v[0:1], v17, off offset:1152
	s_or_b64 exec, exec, s[0:1]
	s_and_saveexec_b64 s[0:1], s[18:19]
	s_cbranch_execz .LBB1062_65
.LBB1062_89:
	s_waitcnt lgkmcnt(13)
	global_store_short v[0:1], v16, off offset:1280
	s_or_b64 exec, exec, s[0:1]
	s_and_saveexec_b64 s[0:1], s[20:21]
	s_cbranch_execz .LBB1062_66
.LBB1062_90:
	s_waitcnt lgkmcnt(12)
	global_store_short v[0:1], v15, off offset:1408
	s_or_b64 exec, exec, s[0:1]
	s_and_saveexec_b64 s[0:1], s[22:23]
	s_cbranch_execz .LBB1062_67
.LBB1062_91:
	s_waitcnt lgkmcnt(11)
	global_store_short v[0:1], v13, off offset:1536
	s_or_b64 exec, exec, s[0:1]
	s_and_saveexec_b64 s[0:1], s[24:25]
	s_cbranch_execz .LBB1062_68
.LBB1062_92:
	s_waitcnt lgkmcnt(10)
	global_store_short v[0:1], v12, off offset:1664
	s_or_b64 exec, exec, s[0:1]
	s_and_saveexec_b64 s[0:1], s[26:27]
	s_cbranch_execz .LBB1062_69
.LBB1062_93:
	s_waitcnt lgkmcnt(9)
	global_store_short v[0:1], v11, off offset:1792
	s_or_b64 exec, exec, s[0:1]
	s_and_saveexec_b64 s[0:1], s[28:29]
	s_cbranch_execz .LBB1062_70
.LBB1062_94:
	s_waitcnt lgkmcnt(8)
	global_store_short v[0:1], v10, off offset:1920
	s_or_b64 exec, exec, s[0:1]
	s_and_saveexec_b64 s[0:1], s[30:31]
	s_cbranch_execz .LBB1062_71
.LBB1062_95:
	s_waitcnt lgkmcnt(7)
	global_store_short v[0:1], v9, off offset:2048
	s_or_b64 exec, exec, s[0:1]
	s_and_saveexec_b64 s[0:1], s[34:35]
	s_cbranch_execz .LBB1062_72
.LBB1062_96:
	s_waitcnt lgkmcnt(6)
	global_store_short v[0:1], v8, off offset:2176
	s_or_b64 exec, exec, s[0:1]
	s_and_saveexec_b64 s[0:1], s[36:37]
	s_cbranch_execz .LBB1062_73
.LBB1062_97:
	s_waitcnt lgkmcnt(5)
	global_store_short v[0:1], v7, off offset:2304
	s_or_b64 exec, exec, s[0:1]
	s_and_saveexec_b64 s[0:1], s[38:39]
	s_cbranch_execz .LBB1062_74
.LBB1062_98:
	s_waitcnt lgkmcnt(4)
	global_store_short v[0:1], v6, off offset:2432
	s_or_b64 exec, exec, s[0:1]
	s_and_saveexec_b64 s[0:1], s[40:41]
	s_cbranch_execz .LBB1062_75
.LBB1062_99:
	s_waitcnt lgkmcnt(3)
	global_store_short v[0:1], v5, off offset:2560
	s_or_b64 exec, exec, s[0:1]
	s_and_saveexec_b64 s[0:1], s[42:43]
	s_cbranch_execz .LBB1062_76
.LBB1062_100:
	s_waitcnt lgkmcnt(2)
	global_store_short v[0:1], v4, off offset:2688
	s_or_b64 exec, exec, s[0:1]
	s_and_saveexec_b64 s[0:1], s[44:45]
	s_cbranch_execz .LBB1062_77
.LBB1062_101:
	s_waitcnt lgkmcnt(1)
	global_store_short v[0:1], v3, off offset:2816
	s_or_b64 exec, exec, s[0:1]
	s_and_saveexec_b64 s[0:1], s[46:47]
	s_cbranch_execz .LBB1062_78
.LBB1062_102:
	s_waitcnt lgkmcnt(0)
	global_store_short v[0:1], v2, off offset:2944
	s_endpgm
	.section	.rodata,"a",@progbits
	.p2align	6, 0x0
	.amdhsa_kernel _ZN7rocprim17ROCPRIM_400000_NS6detail17trampoline_kernelINS0_14default_configENS1_20scan_config_selectorIsEEZZNS1_9scan_implILNS1_25lookback_scan_determinismE0ELb0ELb0ES3_N6thrust23THRUST_200600_302600_NS6detail15normal_iteratorINS9_10device_ptrIsEEEESE_sNS9_4plusIsEEsEEDaPvRmT3_T4_T5_mT6_P12ihipStream_tbENKUlT_T0_E_clISt17integral_constantIbLb0EESU_EEDaSP_SQ_EUlSP_E0_NS1_11comp_targetILNS1_3genE4ELNS1_11target_archE910ELNS1_3gpuE8ELNS1_3repE0EEENS1_30default_config_static_selectorELNS0_4arch9wavefront6targetE1EEEvT1_
		.amdhsa_group_segment_fixed_size 3072
		.amdhsa_private_segment_fixed_size 0
		.amdhsa_kernarg_size 32
		.amdhsa_user_sgpr_count 6
		.amdhsa_user_sgpr_private_segment_buffer 1
		.amdhsa_user_sgpr_dispatch_ptr 0
		.amdhsa_user_sgpr_queue_ptr 0
		.amdhsa_user_sgpr_kernarg_segment_ptr 1
		.amdhsa_user_sgpr_dispatch_id 0
		.amdhsa_user_sgpr_flat_scratch_init 0
		.amdhsa_user_sgpr_kernarg_preload_length 0
		.amdhsa_user_sgpr_kernarg_preload_offset 0
		.amdhsa_user_sgpr_private_segment_size 0
		.amdhsa_uses_dynamic_stack 0
		.amdhsa_system_sgpr_private_segment_wavefront_offset 0
		.amdhsa_system_sgpr_workgroup_id_x 1
		.amdhsa_system_sgpr_workgroup_id_y 0
		.amdhsa_system_sgpr_workgroup_id_z 0
		.amdhsa_system_sgpr_workgroup_info 0
		.amdhsa_system_vgpr_workitem_id 0
		.amdhsa_next_free_vgpr 42
		.amdhsa_next_free_sgpr 56
		.amdhsa_accum_offset 44
		.amdhsa_reserve_vcc 1
		.amdhsa_reserve_flat_scratch 0
		.amdhsa_float_round_mode_32 0
		.amdhsa_float_round_mode_16_64 0
		.amdhsa_float_denorm_mode_32 3
		.amdhsa_float_denorm_mode_16_64 3
		.amdhsa_dx10_clamp 1
		.amdhsa_ieee_mode 1
		.amdhsa_fp16_overflow 0
		.amdhsa_tg_split 0
		.amdhsa_exception_fp_ieee_invalid_op 0
		.amdhsa_exception_fp_denorm_src 0
		.amdhsa_exception_fp_ieee_div_zero 0
		.amdhsa_exception_fp_ieee_overflow 0
		.amdhsa_exception_fp_ieee_underflow 0
		.amdhsa_exception_fp_ieee_inexact 0
		.amdhsa_exception_int_div_zero 0
	.end_amdhsa_kernel
	.section	.text._ZN7rocprim17ROCPRIM_400000_NS6detail17trampoline_kernelINS0_14default_configENS1_20scan_config_selectorIsEEZZNS1_9scan_implILNS1_25lookback_scan_determinismE0ELb0ELb0ES3_N6thrust23THRUST_200600_302600_NS6detail15normal_iteratorINS9_10device_ptrIsEEEESE_sNS9_4plusIsEEsEEDaPvRmT3_T4_T5_mT6_P12ihipStream_tbENKUlT_T0_E_clISt17integral_constantIbLb0EESU_EEDaSP_SQ_EUlSP_E0_NS1_11comp_targetILNS1_3genE4ELNS1_11target_archE910ELNS1_3gpuE8ELNS1_3repE0EEENS1_30default_config_static_selectorELNS0_4arch9wavefront6targetE1EEEvT1_,"axG",@progbits,_ZN7rocprim17ROCPRIM_400000_NS6detail17trampoline_kernelINS0_14default_configENS1_20scan_config_selectorIsEEZZNS1_9scan_implILNS1_25lookback_scan_determinismE0ELb0ELb0ES3_N6thrust23THRUST_200600_302600_NS6detail15normal_iteratorINS9_10device_ptrIsEEEESE_sNS9_4plusIsEEsEEDaPvRmT3_T4_T5_mT6_P12ihipStream_tbENKUlT_T0_E_clISt17integral_constantIbLb0EESU_EEDaSP_SQ_EUlSP_E0_NS1_11comp_targetILNS1_3genE4ELNS1_11target_archE910ELNS1_3gpuE8ELNS1_3repE0EEENS1_30default_config_static_selectorELNS0_4arch9wavefront6targetE1EEEvT1_,comdat
.Lfunc_end1062:
	.size	_ZN7rocprim17ROCPRIM_400000_NS6detail17trampoline_kernelINS0_14default_configENS1_20scan_config_selectorIsEEZZNS1_9scan_implILNS1_25lookback_scan_determinismE0ELb0ELb0ES3_N6thrust23THRUST_200600_302600_NS6detail15normal_iteratorINS9_10device_ptrIsEEEESE_sNS9_4plusIsEEsEEDaPvRmT3_T4_T5_mT6_P12ihipStream_tbENKUlT_T0_E_clISt17integral_constantIbLb0EESU_EEDaSP_SQ_EUlSP_E0_NS1_11comp_targetILNS1_3genE4ELNS1_11target_archE910ELNS1_3gpuE8ELNS1_3repE0EEENS1_30default_config_static_selectorELNS0_4arch9wavefront6targetE1EEEvT1_, .Lfunc_end1062-_ZN7rocprim17ROCPRIM_400000_NS6detail17trampoline_kernelINS0_14default_configENS1_20scan_config_selectorIsEEZZNS1_9scan_implILNS1_25lookback_scan_determinismE0ELb0ELb0ES3_N6thrust23THRUST_200600_302600_NS6detail15normal_iteratorINS9_10device_ptrIsEEEESE_sNS9_4plusIsEEsEEDaPvRmT3_T4_T5_mT6_P12ihipStream_tbENKUlT_T0_E_clISt17integral_constantIbLb0EESU_EEDaSP_SQ_EUlSP_E0_NS1_11comp_targetILNS1_3genE4ELNS1_11target_archE910ELNS1_3gpuE8ELNS1_3repE0EEENS1_30default_config_static_selectorELNS0_4arch9wavefront6targetE1EEEvT1_
                                        ; -- End function
	.section	.AMDGPU.csdata,"",@progbits
; Kernel info:
; codeLenInByte = 3068
; NumSgprs: 60
; NumVgprs: 42
; NumAgprs: 0
; TotalNumVgprs: 42
; ScratchSize: 0
; MemoryBound: 0
; FloatMode: 240
; IeeeMode: 1
; LDSByteSize: 3072 bytes/workgroup (compile time only)
; SGPRBlocks: 7
; VGPRBlocks: 5
; NumSGPRsForWavesPerEU: 60
; NumVGPRsForWavesPerEU: 42
; AccumOffset: 44
; Occupancy: 6
; WaveLimiterHint : 0
; COMPUTE_PGM_RSRC2:SCRATCH_EN: 0
; COMPUTE_PGM_RSRC2:USER_SGPR: 6
; COMPUTE_PGM_RSRC2:TRAP_HANDLER: 0
; COMPUTE_PGM_RSRC2:TGID_X_EN: 1
; COMPUTE_PGM_RSRC2:TGID_Y_EN: 0
; COMPUTE_PGM_RSRC2:TGID_Z_EN: 0
; COMPUTE_PGM_RSRC2:TIDIG_COMP_CNT: 0
; COMPUTE_PGM_RSRC3_GFX90A:ACCUM_OFFSET: 10
; COMPUTE_PGM_RSRC3_GFX90A:TG_SPLIT: 0
	.section	.text._ZN7rocprim17ROCPRIM_400000_NS6detail17trampoline_kernelINS0_14default_configENS1_20scan_config_selectorIsEEZZNS1_9scan_implILNS1_25lookback_scan_determinismE0ELb0ELb0ES3_N6thrust23THRUST_200600_302600_NS6detail15normal_iteratorINS9_10device_ptrIsEEEESE_sNS9_4plusIsEEsEEDaPvRmT3_T4_T5_mT6_P12ihipStream_tbENKUlT_T0_E_clISt17integral_constantIbLb0EESU_EEDaSP_SQ_EUlSP_E0_NS1_11comp_targetILNS1_3genE3ELNS1_11target_archE908ELNS1_3gpuE7ELNS1_3repE0EEENS1_30default_config_static_selectorELNS0_4arch9wavefront6targetE1EEEvT1_,"axG",@progbits,_ZN7rocprim17ROCPRIM_400000_NS6detail17trampoline_kernelINS0_14default_configENS1_20scan_config_selectorIsEEZZNS1_9scan_implILNS1_25lookback_scan_determinismE0ELb0ELb0ES3_N6thrust23THRUST_200600_302600_NS6detail15normal_iteratorINS9_10device_ptrIsEEEESE_sNS9_4plusIsEEsEEDaPvRmT3_T4_T5_mT6_P12ihipStream_tbENKUlT_T0_E_clISt17integral_constantIbLb0EESU_EEDaSP_SQ_EUlSP_E0_NS1_11comp_targetILNS1_3genE3ELNS1_11target_archE908ELNS1_3gpuE7ELNS1_3repE0EEENS1_30default_config_static_selectorELNS0_4arch9wavefront6targetE1EEEvT1_,comdat
	.protected	_ZN7rocprim17ROCPRIM_400000_NS6detail17trampoline_kernelINS0_14default_configENS1_20scan_config_selectorIsEEZZNS1_9scan_implILNS1_25lookback_scan_determinismE0ELb0ELb0ES3_N6thrust23THRUST_200600_302600_NS6detail15normal_iteratorINS9_10device_ptrIsEEEESE_sNS9_4plusIsEEsEEDaPvRmT3_T4_T5_mT6_P12ihipStream_tbENKUlT_T0_E_clISt17integral_constantIbLb0EESU_EEDaSP_SQ_EUlSP_E0_NS1_11comp_targetILNS1_3genE3ELNS1_11target_archE908ELNS1_3gpuE7ELNS1_3repE0EEENS1_30default_config_static_selectorELNS0_4arch9wavefront6targetE1EEEvT1_ ; -- Begin function _ZN7rocprim17ROCPRIM_400000_NS6detail17trampoline_kernelINS0_14default_configENS1_20scan_config_selectorIsEEZZNS1_9scan_implILNS1_25lookback_scan_determinismE0ELb0ELb0ES3_N6thrust23THRUST_200600_302600_NS6detail15normal_iteratorINS9_10device_ptrIsEEEESE_sNS9_4plusIsEEsEEDaPvRmT3_T4_T5_mT6_P12ihipStream_tbENKUlT_T0_E_clISt17integral_constantIbLb0EESU_EEDaSP_SQ_EUlSP_E0_NS1_11comp_targetILNS1_3genE3ELNS1_11target_archE908ELNS1_3gpuE7ELNS1_3repE0EEENS1_30default_config_static_selectorELNS0_4arch9wavefront6targetE1EEEvT1_
	.globl	_ZN7rocprim17ROCPRIM_400000_NS6detail17trampoline_kernelINS0_14default_configENS1_20scan_config_selectorIsEEZZNS1_9scan_implILNS1_25lookback_scan_determinismE0ELb0ELb0ES3_N6thrust23THRUST_200600_302600_NS6detail15normal_iteratorINS9_10device_ptrIsEEEESE_sNS9_4plusIsEEsEEDaPvRmT3_T4_T5_mT6_P12ihipStream_tbENKUlT_T0_E_clISt17integral_constantIbLb0EESU_EEDaSP_SQ_EUlSP_E0_NS1_11comp_targetILNS1_3genE3ELNS1_11target_archE908ELNS1_3gpuE7ELNS1_3repE0EEENS1_30default_config_static_selectorELNS0_4arch9wavefront6targetE1EEEvT1_
	.p2align	8
	.type	_ZN7rocprim17ROCPRIM_400000_NS6detail17trampoline_kernelINS0_14default_configENS1_20scan_config_selectorIsEEZZNS1_9scan_implILNS1_25lookback_scan_determinismE0ELb0ELb0ES3_N6thrust23THRUST_200600_302600_NS6detail15normal_iteratorINS9_10device_ptrIsEEEESE_sNS9_4plusIsEEsEEDaPvRmT3_T4_T5_mT6_P12ihipStream_tbENKUlT_T0_E_clISt17integral_constantIbLb0EESU_EEDaSP_SQ_EUlSP_E0_NS1_11comp_targetILNS1_3genE3ELNS1_11target_archE908ELNS1_3gpuE7ELNS1_3repE0EEENS1_30default_config_static_selectorELNS0_4arch9wavefront6targetE1EEEvT1_,@function
_ZN7rocprim17ROCPRIM_400000_NS6detail17trampoline_kernelINS0_14default_configENS1_20scan_config_selectorIsEEZZNS1_9scan_implILNS1_25lookback_scan_determinismE0ELb0ELb0ES3_N6thrust23THRUST_200600_302600_NS6detail15normal_iteratorINS9_10device_ptrIsEEEESE_sNS9_4plusIsEEsEEDaPvRmT3_T4_T5_mT6_P12ihipStream_tbENKUlT_T0_E_clISt17integral_constantIbLb0EESU_EEDaSP_SQ_EUlSP_E0_NS1_11comp_targetILNS1_3genE3ELNS1_11target_archE908ELNS1_3gpuE7ELNS1_3repE0EEENS1_30default_config_static_selectorELNS0_4arch9wavefront6targetE1EEEvT1_: ; @_ZN7rocprim17ROCPRIM_400000_NS6detail17trampoline_kernelINS0_14default_configENS1_20scan_config_selectorIsEEZZNS1_9scan_implILNS1_25lookback_scan_determinismE0ELb0ELb0ES3_N6thrust23THRUST_200600_302600_NS6detail15normal_iteratorINS9_10device_ptrIsEEEESE_sNS9_4plusIsEEsEEDaPvRmT3_T4_T5_mT6_P12ihipStream_tbENKUlT_T0_E_clISt17integral_constantIbLb0EESU_EEDaSP_SQ_EUlSP_E0_NS1_11comp_targetILNS1_3genE3ELNS1_11target_archE908ELNS1_3gpuE7ELNS1_3repE0EEENS1_30default_config_static_selectorELNS0_4arch9wavefront6targetE1EEEvT1_
; %bb.0:
	.section	.rodata,"a",@progbits
	.p2align	6, 0x0
	.amdhsa_kernel _ZN7rocprim17ROCPRIM_400000_NS6detail17trampoline_kernelINS0_14default_configENS1_20scan_config_selectorIsEEZZNS1_9scan_implILNS1_25lookback_scan_determinismE0ELb0ELb0ES3_N6thrust23THRUST_200600_302600_NS6detail15normal_iteratorINS9_10device_ptrIsEEEESE_sNS9_4plusIsEEsEEDaPvRmT3_T4_T5_mT6_P12ihipStream_tbENKUlT_T0_E_clISt17integral_constantIbLb0EESU_EEDaSP_SQ_EUlSP_E0_NS1_11comp_targetILNS1_3genE3ELNS1_11target_archE908ELNS1_3gpuE7ELNS1_3repE0EEENS1_30default_config_static_selectorELNS0_4arch9wavefront6targetE1EEEvT1_
		.amdhsa_group_segment_fixed_size 0
		.amdhsa_private_segment_fixed_size 0
		.amdhsa_kernarg_size 32
		.amdhsa_user_sgpr_count 6
		.amdhsa_user_sgpr_private_segment_buffer 1
		.amdhsa_user_sgpr_dispatch_ptr 0
		.amdhsa_user_sgpr_queue_ptr 0
		.amdhsa_user_sgpr_kernarg_segment_ptr 1
		.amdhsa_user_sgpr_dispatch_id 0
		.amdhsa_user_sgpr_flat_scratch_init 0
		.amdhsa_user_sgpr_kernarg_preload_length 0
		.amdhsa_user_sgpr_kernarg_preload_offset 0
		.amdhsa_user_sgpr_private_segment_size 0
		.amdhsa_uses_dynamic_stack 0
		.amdhsa_system_sgpr_private_segment_wavefront_offset 0
		.amdhsa_system_sgpr_workgroup_id_x 1
		.amdhsa_system_sgpr_workgroup_id_y 0
		.amdhsa_system_sgpr_workgroup_id_z 0
		.amdhsa_system_sgpr_workgroup_info 0
		.amdhsa_system_vgpr_workitem_id 0
		.amdhsa_next_free_vgpr 1
		.amdhsa_next_free_sgpr 0
		.amdhsa_accum_offset 4
		.amdhsa_reserve_vcc 0
		.amdhsa_reserve_flat_scratch 0
		.amdhsa_float_round_mode_32 0
		.amdhsa_float_round_mode_16_64 0
		.amdhsa_float_denorm_mode_32 3
		.amdhsa_float_denorm_mode_16_64 3
		.amdhsa_dx10_clamp 1
		.amdhsa_ieee_mode 1
		.amdhsa_fp16_overflow 0
		.amdhsa_tg_split 0
		.amdhsa_exception_fp_ieee_invalid_op 0
		.amdhsa_exception_fp_denorm_src 0
		.amdhsa_exception_fp_ieee_div_zero 0
		.amdhsa_exception_fp_ieee_overflow 0
		.amdhsa_exception_fp_ieee_underflow 0
		.amdhsa_exception_fp_ieee_inexact 0
		.amdhsa_exception_int_div_zero 0
	.end_amdhsa_kernel
	.section	.text._ZN7rocprim17ROCPRIM_400000_NS6detail17trampoline_kernelINS0_14default_configENS1_20scan_config_selectorIsEEZZNS1_9scan_implILNS1_25lookback_scan_determinismE0ELb0ELb0ES3_N6thrust23THRUST_200600_302600_NS6detail15normal_iteratorINS9_10device_ptrIsEEEESE_sNS9_4plusIsEEsEEDaPvRmT3_T4_T5_mT6_P12ihipStream_tbENKUlT_T0_E_clISt17integral_constantIbLb0EESU_EEDaSP_SQ_EUlSP_E0_NS1_11comp_targetILNS1_3genE3ELNS1_11target_archE908ELNS1_3gpuE7ELNS1_3repE0EEENS1_30default_config_static_selectorELNS0_4arch9wavefront6targetE1EEEvT1_,"axG",@progbits,_ZN7rocprim17ROCPRIM_400000_NS6detail17trampoline_kernelINS0_14default_configENS1_20scan_config_selectorIsEEZZNS1_9scan_implILNS1_25lookback_scan_determinismE0ELb0ELb0ES3_N6thrust23THRUST_200600_302600_NS6detail15normal_iteratorINS9_10device_ptrIsEEEESE_sNS9_4plusIsEEsEEDaPvRmT3_T4_T5_mT6_P12ihipStream_tbENKUlT_T0_E_clISt17integral_constantIbLb0EESU_EEDaSP_SQ_EUlSP_E0_NS1_11comp_targetILNS1_3genE3ELNS1_11target_archE908ELNS1_3gpuE7ELNS1_3repE0EEENS1_30default_config_static_selectorELNS0_4arch9wavefront6targetE1EEEvT1_,comdat
.Lfunc_end1063:
	.size	_ZN7rocprim17ROCPRIM_400000_NS6detail17trampoline_kernelINS0_14default_configENS1_20scan_config_selectorIsEEZZNS1_9scan_implILNS1_25lookback_scan_determinismE0ELb0ELb0ES3_N6thrust23THRUST_200600_302600_NS6detail15normal_iteratorINS9_10device_ptrIsEEEESE_sNS9_4plusIsEEsEEDaPvRmT3_T4_T5_mT6_P12ihipStream_tbENKUlT_T0_E_clISt17integral_constantIbLb0EESU_EEDaSP_SQ_EUlSP_E0_NS1_11comp_targetILNS1_3genE3ELNS1_11target_archE908ELNS1_3gpuE7ELNS1_3repE0EEENS1_30default_config_static_selectorELNS0_4arch9wavefront6targetE1EEEvT1_, .Lfunc_end1063-_ZN7rocprim17ROCPRIM_400000_NS6detail17trampoline_kernelINS0_14default_configENS1_20scan_config_selectorIsEEZZNS1_9scan_implILNS1_25lookback_scan_determinismE0ELb0ELb0ES3_N6thrust23THRUST_200600_302600_NS6detail15normal_iteratorINS9_10device_ptrIsEEEESE_sNS9_4plusIsEEsEEDaPvRmT3_T4_T5_mT6_P12ihipStream_tbENKUlT_T0_E_clISt17integral_constantIbLb0EESU_EEDaSP_SQ_EUlSP_E0_NS1_11comp_targetILNS1_3genE3ELNS1_11target_archE908ELNS1_3gpuE7ELNS1_3repE0EEENS1_30default_config_static_selectorELNS0_4arch9wavefront6targetE1EEEvT1_
                                        ; -- End function
	.section	.AMDGPU.csdata,"",@progbits
; Kernel info:
; codeLenInByte = 0
; NumSgprs: 4
; NumVgprs: 0
; NumAgprs: 0
; TotalNumVgprs: 0
; ScratchSize: 0
; MemoryBound: 0
; FloatMode: 240
; IeeeMode: 1
; LDSByteSize: 0 bytes/workgroup (compile time only)
; SGPRBlocks: 0
; VGPRBlocks: 0
; NumSGPRsForWavesPerEU: 4
; NumVGPRsForWavesPerEU: 1
; AccumOffset: 4
; Occupancy: 8
; WaveLimiterHint : 0
; COMPUTE_PGM_RSRC2:SCRATCH_EN: 0
; COMPUTE_PGM_RSRC2:USER_SGPR: 6
; COMPUTE_PGM_RSRC2:TRAP_HANDLER: 0
; COMPUTE_PGM_RSRC2:TGID_X_EN: 1
; COMPUTE_PGM_RSRC2:TGID_Y_EN: 0
; COMPUTE_PGM_RSRC2:TGID_Z_EN: 0
; COMPUTE_PGM_RSRC2:TIDIG_COMP_CNT: 0
; COMPUTE_PGM_RSRC3_GFX90A:ACCUM_OFFSET: 0
; COMPUTE_PGM_RSRC3_GFX90A:TG_SPLIT: 0
	.section	.text._ZN7rocprim17ROCPRIM_400000_NS6detail17trampoline_kernelINS0_14default_configENS1_20scan_config_selectorIsEEZZNS1_9scan_implILNS1_25lookback_scan_determinismE0ELb0ELb0ES3_N6thrust23THRUST_200600_302600_NS6detail15normal_iteratorINS9_10device_ptrIsEEEESE_sNS9_4plusIsEEsEEDaPvRmT3_T4_T5_mT6_P12ihipStream_tbENKUlT_T0_E_clISt17integral_constantIbLb0EESU_EEDaSP_SQ_EUlSP_E0_NS1_11comp_targetILNS1_3genE2ELNS1_11target_archE906ELNS1_3gpuE6ELNS1_3repE0EEENS1_30default_config_static_selectorELNS0_4arch9wavefront6targetE1EEEvT1_,"axG",@progbits,_ZN7rocprim17ROCPRIM_400000_NS6detail17trampoline_kernelINS0_14default_configENS1_20scan_config_selectorIsEEZZNS1_9scan_implILNS1_25lookback_scan_determinismE0ELb0ELb0ES3_N6thrust23THRUST_200600_302600_NS6detail15normal_iteratorINS9_10device_ptrIsEEEESE_sNS9_4plusIsEEsEEDaPvRmT3_T4_T5_mT6_P12ihipStream_tbENKUlT_T0_E_clISt17integral_constantIbLb0EESU_EEDaSP_SQ_EUlSP_E0_NS1_11comp_targetILNS1_3genE2ELNS1_11target_archE906ELNS1_3gpuE6ELNS1_3repE0EEENS1_30default_config_static_selectorELNS0_4arch9wavefront6targetE1EEEvT1_,comdat
	.protected	_ZN7rocprim17ROCPRIM_400000_NS6detail17trampoline_kernelINS0_14default_configENS1_20scan_config_selectorIsEEZZNS1_9scan_implILNS1_25lookback_scan_determinismE0ELb0ELb0ES3_N6thrust23THRUST_200600_302600_NS6detail15normal_iteratorINS9_10device_ptrIsEEEESE_sNS9_4plusIsEEsEEDaPvRmT3_T4_T5_mT6_P12ihipStream_tbENKUlT_T0_E_clISt17integral_constantIbLb0EESU_EEDaSP_SQ_EUlSP_E0_NS1_11comp_targetILNS1_3genE2ELNS1_11target_archE906ELNS1_3gpuE6ELNS1_3repE0EEENS1_30default_config_static_selectorELNS0_4arch9wavefront6targetE1EEEvT1_ ; -- Begin function _ZN7rocprim17ROCPRIM_400000_NS6detail17trampoline_kernelINS0_14default_configENS1_20scan_config_selectorIsEEZZNS1_9scan_implILNS1_25lookback_scan_determinismE0ELb0ELb0ES3_N6thrust23THRUST_200600_302600_NS6detail15normal_iteratorINS9_10device_ptrIsEEEESE_sNS9_4plusIsEEsEEDaPvRmT3_T4_T5_mT6_P12ihipStream_tbENKUlT_T0_E_clISt17integral_constantIbLb0EESU_EEDaSP_SQ_EUlSP_E0_NS1_11comp_targetILNS1_3genE2ELNS1_11target_archE906ELNS1_3gpuE6ELNS1_3repE0EEENS1_30default_config_static_selectorELNS0_4arch9wavefront6targetE1EEEvT1_
	.globl	_ZN7rocprim17ROCPRIM_400000_NS6detail17trampoline_kernelINS0_14default_configENS1_20scan_config_selectorIsEEZZNS1_9scan_implILNS1_25lookback_scan_determinismE0ELb0ELb0ES3_N6thrust23THRUST_200600_302600_NS6detail15normal_iteratorINS9_10device_ptrIsEEEESE_sNS9_4plusIsEEsEEDaPvRmT3_T4_T5_mT6_P12ihipStream_tbENKUlT_T0_E_clISt17integral_constantIbLb0EESU_EEDaSP_SQ_EUlSP_E0_NS1_11comp_targetILNS1_3genE2ELNS1_11target_archE906ELNS1_3gpuE6ELNS1_3repE0EEENS1_30default_config_static_selectorELNS0_4arch9wavefront6targetE1EEEvT1_
	.p2align	8
	.type	_ZN7rocprim17ROCPRIM_400000_NS6detail17trampoline_kernelINS0_14default_configENS1_20scan_config_selectorIsEEZZNS1_9scan_implILNS1_25lookback_scan_determinismE0ELb0ELb0ES3_N6thrust23THRUST_200600_302600_NS6detail15normal_iteratorINS9_10device_ptrIsEEEESE_sNS9_4plusIsEEsEEDaPvRmT3_T4_T5_mT6_P12ihipStream_tbENKUlT_T0_E_clISt17integral_constantIbLb0EESU_EEDaSP_SQ_EUlSP_E0_NS1_11comp_targetILNS1_3genE2ELNS1_11target_archE906ELNS1_3gpuE6ELNS1_3repE0EEENS1_30default_config_static_selectorELNS0_4arch9wavefront6targetE1EEEvT1_,@function
_ZN7rocprim17ROCPRIM_400000_NS6detail17trampoline_kernelINS0_14default_configENS1_20scan_config_selectorIsEEZZNS1_9scan_implILNS1_25lookback_scan_determinismE0ELb0ELb0ES3_N6thrust23THRUST_200600_302600_NS6detail15normal_iteratorINS9_10device_ptrIsEEEESE_sNS9_4plusIsEEsEEDaPvRmT3_T4_T5_mT6_P12ihipStream_tbENKUlT_T0_E_clISt17integral_constantIbLb0EESU_EEDaSP_SQ_EUlSP_E0_NS1_11comp_targetILNS1_3genE2ELNS1_11target_archE906ELNS1_3gpuE6ELNS1_3repE0EEENS1_30default_config_static_selectorELNS0_4arch9wavefront6targetE1EEEvT1_: ; @_ZN7rocprim17ROCPRIM_400000_NS6detail17trampoline_kernelINS0_14default_configENS1_20scan_config_selectorIsEEZZNS1_9scan_implILNS1_25lookback_scan_determinismE0ELb0ELb0ES3_N6thrust23THRUST_200600_302600_NS6detail15normal_iteratorINS9_10device_ptrIsEEEESE_sNS9_4plusIsEEsEEDaPvRmT3_T4_T5_mT6_P12ihipStream_tbENKUlT_T0_E_clISt17integral_constantIbLb0EESU_EEDaSP_SQ_EUlSP_E0_NS1_11comp_targetILNS1_3genE2ELNS1_11target_archE906ELNS1_3gpuE6ELNS1_3repE0EEENS1_30default_config_static_selectorELNS0_4arch9wavefront6targetE1EEEvT1_
; %bb.0:
	.section	.rodata,"a",@progbits
	.p2align	6, 0x0
	.amdhsa_kernel _ZN7rocprim17ROCPRIM_400000_NS6detail17trampoline_kernelINS0_14default_configENS1_20scan_config_selectorIsEEZZNS1_9scan_implILNS1_25lookback_scan_determinismE0ELb0ELb0ES3_N6thrust23THRUST_200600_302600_NS6detail15normal_iteratorINS9_10device_ptrIsEEEESE_sNS9_4plusIsEEsEEDaPvRmT3_T4_T5_mT6_P12ihipStream_tbENKUlT_T0_E_clISt17integral_constantIbLb0EESU_EEDaSP_SQ_EUlSP_E0_NS1_11comp_targetILNS1_3genE2ELNS1_11target_archE906ELNS1_3gpuE6ELNS1_3repE0EEENS1_30default_config_static_selectorELNS0_4arch9wavefront6targetE1EEEvT1_
		.amdhsa_group_segment_fixed_size 0
		.amdhsa_private_segment_fixed_size 0
		.amdhsa_kernarg_size 32
		.amdhsa_user_sgpr_count 6
		.amdhsa_user_sgpr_private_segment_buffer 1
		.amdhsa_user_sgpr_dispatch_ptr 0
		.amdhsa_user_sgpr_queue_ptr 0
		.amdhsa_user_sgpr_kernarg_segment_ptr 1
		.amdhsa_user_sgpr_dispatch_id 0
		.amdhsa_user_sgpr_flat_scratch_init 0
		.amdhsa_user_sgpr_kernarg_preload_length 0
		.amdhsa_user_sgpr_kernarg_preload_offset 0
		.amdhsa_user_sgpr_private_segment_size 0
		.amdhsa_uses_dynamic_stack 0
		.amdhsa_system_sgpr_private_segment_wavefront_offset 0
		.amdhsa_system_sgpr_workgroup_id_x 1
		.amdhsa_system_sgpr_workgroup_id_y 0
		.amdhsa_system_sgpr_workgroup_id_z 0
		.amdhsa_system_sgpr_workgroup_info 0
		.amdhsa_system_vgpr_workitem_id 0
		.amdhsa_next_free_vgpr 1
		.amdhsa_next_free_sgpr 0
		.amdhsa_accum_offset 4
		.amdhsa_reserve_vcc 0
		.amdhsa_reserve_flat_scratch 0
		.amdhsa_float_round_mode_32 0
		.amdhsa_float_round_mode_16_64 0
		.amdhsa_float_denorm_mode_32 3
		.amdhsa_float_denorm_mode_16_64 3
		.amdhsa_dx10_clamp 1
		.amdhsa_ieee_mode 1
		.amdhsa_fp16_overflow 0
		.amdhsa_tg_split 0
		.amdhsa_exception_fp_ieee_invalid_op 0
		.amdhsa_exception_fp_denorm_src 0
		.amdhsa_exception_fp_ieee_div_zero 0
		.amdhsa_exception_fp_ieee_overflow 0
		.amdhsa_exception_fp_ieee_underflow 0
		.amdhsa_exception_fp_ieee_inexact 0
		.amdhsa_exception_int_div_zero 0
	.end_amdhsa_kernel
	.section	.text._ZN7rocprim17ROCPRIM_400000_NS6detail17trampoline_kernelINS0_14default_configENS1_20scan_config_selectorIsEEZZNS1_9scan_implILNS1_25lookback_scan_determinismE0ELb0ELb0ES3_N6thrust23THRUST_200600_302600_NS6detail15normal_iteratorINS9_10device_ptrIsEEEESE_sNS9_4plusIsEEsEEDaPvRmT3_T4_T5_mT6_P12ihipStream_tbENKUlT_T0_E_clISt17integral_constantIbLb0EESU_EEDaSP_SQ_EUlSP_E0_NS1_11comp_targetILNS1_3genE2ELNS1_11target_archE906ELNS1_3gpuE6ELNS1_3repE0EEENS1_30default_config_static_selectorELNS0_4arch9wavefront6targetE1EEEvT1_,"axG",@progbits,_ZN7rocprim17ROCPRIM_400000_NS6detail17trampoline_kernelINS0_14default_configENS1_20scan_config_selectorIsEEZZNS1_9scan_implILNS1_25lookback_scan_determinismE0ELb0ELb0ES3_N6thrust23THRUST_200600_302600_NS6detail15normal_iteratorINS9_10device_ptrIsEEEESE_sNS9_4plusIsEEsEEDaPvRmT3_T4_T5_mT6_P12ihipStream_tbENKUlT_T0_E_clISt17integral_constantIbLb0EESU_EEDaSP_SQ_EUlSP_E0_NS1_11comp_targetILNS1_3genE2ELNS1_11target_archE906ELNS1_3gpuE6ELNS1_3repE0EEENS1_30default_config_static_selectorELNS0_4arch9wavefront6targetE1EEEvT1_,comdat
.Lfunc_end1064:
	.size	_ZN7rocprim17ROCPRIM_400000_NS6detail17trampoline_kernelINS0_14default_configENS1_20scan_config_selectorIsEEZZNS1_9scan_implILNS1_25lookback_scan_determinismE0ELb0ELb0ES3_N6thrust23THRUST_200600_302600_NS6detail15normal_iteratorINS9_10device_ptrIsEEEESE_sNS9_4plusIsEEsEEDaPvRmT3_T4_T5_mT6_P12ihipStream_tbENKUlT_T0_E_clISt17integral_constantIbLb0EESU_EEDaSP_SQ_EUlSP_E0_NS1_11comp_targetILNS1_3genE2ELNS1_11target_archE906ELNS1_3gpuE6ELNS1_3repE0EEENS1_30default_config_static_selectorELNS0_4arch9wavefront6targetE1EEEvT1_, .Lfunc_end1064-_ZN7rocprim17ROCPRIM_400000_NS6detail17trampoline_kernelINS0_14default_configENS1_20scan_config_selectorIsEEZZNS1_9scan_implILNS1_25lookback_scan_determinismE0ELb0ELb0ES3_N6thrust23THRUST_200600_302600_NS6detail15normal_iteratorINS9_10device_ptrIsEEEESE_sNS9_4plusIsEEsEEDaPvRmT3_T4_T5_mT6_P12ihipStream_tbENKUlT_T0_E_clISt17integral_constantIbLb0EESU_EEDaSP_SQ_EUlSP_E0_NS1_11comp_targetILNS1_3genE2ELNS1_11target_archE906ELNS1_3gpuE6ELNS1_3repE0EEENS1_30default_config_static_selectorELNS0_4arch9wavefront6targetE1EEEvT1_
                                        ; -- End function
	.section	.AMDGPU.csdata,"",@progbits
; Kernel info:
; codeLenInByte = 0
; NumSgprs: 4
; NumVgprs: 0
; NumAgprs: 0
; TotalNumVgprs: 0
; ScratchSize: 0
; MemoryBound: 0
; FloatMode: 240
; IeeeMode: 1
; LDSByteSize: 0 bytes/workgroup (compile time only)
; SGPRBlocks: 0
; VGPRBlocks: 0
; NumSGPRsForWavesPerEU: 4
; NumVGPRsForWavesPerEU: 1
; AccumOffset: 4
; Occupancy: 8
; WaveLimiterHint : 0
; COMPUTE_PGM_RSRC2:SCRATCH_EN: 0
; COMPUTE_PGM_RSRC2:USER_SGPR: 6
; COMPUTE_PGM_RSRC2:TRAP_HANDLER: 0
; COMPUTE_PGM_RSRC2:TGID_X_EN: 1
; COMPUTE_PGM_RSRC2:TGID_Y_EN: 0
; COMPUTE_PGM_RSRC2:TGID_Z_EN: 0
; COMPUTE_PGM_RSRC2:TIDIG_COMP_CNT: 0
; COMPUTE_PGM_RSRC3_GFX90A:ACCUM_OFFSET: 0
; COMPUTE_PGM_RSRC3_GFX90A:TG_SPLIT: 0
	.section	.text._ZN7rocprim17ROCPRIM_400000_NS6detail17trampoline_kernelINS0_14default_configENS1_20scan_config_selectorIsEEZZNS1_9scan_implILNS1_25lookback_scan_determinismE0ELb0ELb0ES3_N6thrust23THRUST_200600_302600_NS6detail15normal_iteratorINS9_10device_ptrIsEEEESE_sNS9_4plusIsEEsEEDaPvRmT3_T4_T5_mT6_P12ihipStream_tbENKUlT_T0_E_clISt17integral_constantIbLb0EESU_EEDaSP_SQ_EUlSP_E0_NS1_11comp_targetILNS1_3genE10ELNS1_11target_archE1201ELNS1_3gpuE5ELNS1_3repE0EEENS1_30default_config_static_selectorELNS0_4arch9wavefront6targetE1EEEvT1_,"axG",@progbits,_ZN7rocprim17ROCPRIM_400000_NS6detail17trampoline_kernelINS0_14default_configENS1_20scan_config_selectorIsEEZZNS1_9scan_implILNS1_25lookback_scan_determinismE0ELb0ELb0ES3_N6thrust23THRUST_200600_302600_NS6detail15normal_iteratorINS9_10device_ptrIsEEEESE_sNS9_4plusIsEEsEEDaPvRmT3_T4_T5_mT6_P12ihipStream_tbENKUlT_T0_E_clISt17integral_constantIbLb0EESU_EEDaSP_SQ_EUlSP_E0_NS1_11comp_targetILNS1_3genE10ELNS1_11target_archE1201ELNS1_3gpuE5ELNS1_3repE0EEENS1_30default_config_static_selectorELNS0_4arch9wavefront6targetE1EEEvT1_,comdat
	.protected	_ZN7rocprim17ROCPRIM_400000_NS6detail17trampoline_kernelINS0_14default_configENS1_20scan_config_selectorIsEEZZNS1_9scan_implILNS1_25lookback_scan_determinismE0ELb0ELb0ES3_N6thrust23THRUST_200600_302600_NS6detail15normal_iteratorINS9_10device_ptrIsEEEESE_sNS9_4plusIsEEsEEDaPvRmT3_T4_T5_mT6_P12ihipStream_tbENKUlT_T0_E_clISt17integral_constantIbLb0EESU_EEDaSP_SQ_EUlSP_E0_NS1_11comp_targetILNS1_3genE10ELNS1_11target_archE1201ELNS1_3gpuE5ELNS1_3repE0EEENS1_30default_config_static_selectorELNS0_4arch9wavefront6targetE1EEEvT1_ ; -- Begin function _ZN7rocprim17ROCPRIM_400000_NS6detail17trampoline_kernelINS0_14default_configENS1_20scan_config_selectorIsEEZZNS1_9scan_implILNS1_25lookback_scan_determinismE0ELb0ELb0ES3_N6thrust23THRUST_200600_302600_NS6detail15normal_iteratorINS9_10device_ptrIsEEEESE_sNS9_4plusIsEEsEEDaPvRmT3_T4_T5_mT6_P12ihipStream_tbENKUlT_T0_E_clISt17integral_constantIbLb0EESU_EEDaSP_SQ_EUlSP_E0_NS1_11comp_targetILNS1_3genE10ELNS1_11target_archE1201ELNS1_3gpuE5ELNS1_3repE0EEENS1_30default_config_static_selectorELNS0_4arch9wavefront6targetE1EEEvT1_
	.globl	_ZN7rocprim17ROCPRIM_400000_NS6detail17trampoline_kernelINS0_14default_configENS1_20scan_config_selectorIsEEZZNS1_9scan_implILNS1_25lookback_scan_determinismE0ELb0ELb0ES3_N6thrust23THRUST_200600_302600_NS6detail15normal_iteratorINS9_10device_ptrIsEEEESE_sNS9_4plusIsEEsEEDaPvRmT3_T4_T5_mT6_P12ihipStream_tbENKUlT_T0_E_clISt17integral_constantIbLb0EESU_EEDaSP_SQ_EUlSP_E0_NS1_11comp_targetILNS1_3genE10ELNS1_11target_archE1201ELNS1_3gpuE5ELNS1_3repE0EEENS1_30default_config_static_selectorELNS0_4arch9wavefront6targetE1EEEvT1_
	.p2align	8
	.type	_ZN7rocprim17ROCPRIM_400000_NS6detail17trampoline_kernelINS0_14default_configENS1_20scan_config_selectorIsEEZZNS1_9scan_implILNS1_25lookback_scan_determinismE0ELb0ELb0ES3_N6thrust23THRUST_200600_302600_NS6detail15normal_iteratorINS9_10device_ptrIsEEEESE_sNS9_4plusIsEEsEEDaPvRmT3_T4_T5_mT6_P12ihipStream_tbENKUlT_T0_E_clISt17integral_constantIbLb0EESU_EEDaSP_SQ_EUlSP_E0_NS1_11comp_targetILNS1_3genE10ELNS1_11target_archE1201ELNS1_3gpuE5ELNS1_3repE0EEENS1_30default_config_static_selectorELNS0_4arch9wavefront6targetE1EEEvT1_,@function
_ZN7rocprim17ROCPRIM_400000_NS6detail17trampoline_kernelINS0_14default_configENS1_20scan_config_selectorIsEEZZNS1_9scan_implILNS1_25lookback_scan_determinismE0ELb0ELb0ES3_N6thrust23THRUST_200600_302600_NS6detail15normal_iteratorINS9_10device_ptrIsEEEESE_sNS9_4plusIsEEsEEDaPvRmT3_T4_T5_mT6_P12ihipStream_tbENKUlT_T0_E_clISt17integral_constantIbLb0EESU_EEDaSP_SQ_EUlSP_E0_NS1_11comp_targetILNS1_3genE10ELNS1_11target_archE1201ELNS1_3gpuE5ELNS1_3repE0EEENS1_30default_config_static_selectorELNS0_4arch9wavefront6targetE1EEEvT1_: ; @_ZN7rocprim17ROCPRIM_400000_NS6detail17trampoline_kernelINS0_14default_configENS1_20scan_config_selectorIsEEZZNS1_9scan_implILNS1_25lookback_scan_determinismE0ELb0ELb0ES3_N6thrust23THRUST_200600_302600_NS6detail15normal_iteratorINS9_10device_ptrIsEEEESE_sNS9_4plusIsEEsEEDaPvRmT3_T4_T5_mT6_P12ihipStream_tbENKUlT_T0_E_clISt17integral_constantIbLb0EESU_EEDaSP_SQ_EUlSP_E0_NS1_11comp_targetILNS1_3genE10ELNS1_11target_archE1201ELNS1_3gpuE5ELNS1_3repE0EEENS1_30default_config_static_selectorELNS0_4arch9wavefront6targetE1EEEvT1_
; %bb.0:
	.section	.rodata,"a",@progbits
	.p2align	6, 0x0
	.amdhsa_kernel _ZN7rocprim17ROCPRIM_400000_NS6detail17trampoline_kernelINS0_14default_configENS1_20scan_config_selectorIsEEZZNS1_9scan_implILNS1_25lookback_scan_determinismE0ELb0ELb0ES3_N6thrust23THRUST_200600_302600_NS6detail15normal_iteratorINS9_10device_ptrIsEEEESE_sNS9_4plusIsEEsEEDaPvRmT3_T4_T5_mT6_P12ihipStream_tbENKUlT_T0_E_clISt17integral_constantIbLb0EESU_EEDaSP_SQ_EUlSP_E0_NS1_11comp_targetILNS1_3genE10ELNS1_11target_archE1201ELNS1_3gpuE5ELNS1_3repE0EEENS1_30default_config_static_selectorELNS0_4arch9wavefront6targetE1EEEvT1_
		.amdhsa_group_segment_fixed_size 0
		.amdhsa_private_segment_fixed_size 0
		.amdhsa_kernarg_size 32
		.amdhsa_user_sgpr_count 6
		.amdhsa_user_sgpr_private_segment_buffer 1
		.amdhsa_user_sgpr_dispatch_ptr 0
		.amdhsa_user_sgpr_queue_ptr 0
		.amdhsa_user_sgpr_kernarg_segment_ptr 1
		.amdhsa_user_sgpr_dispatch_id 0
		.amdhsa_user_sgpr_flat_scratch_init 0
		.amdhsa_user_sgpr_kernarg_preload_length 0
		.amdhsa_user_sgpr_kernarg_preload_offset 0
		.amdhsa_user_sgpr_private_segment_size 0
		.amdhsa_uses_dynamic_stack 0
		.amdhsa_system_sgpr_private_segment_wavefront_offset 0
		.amdhsa_system_sgpr_workgroup_id_x 1
		.amdhsa_system_sgpr_workgroup_id_y 0
		.amdhsa_system_sgpr_workgroup_id_z 0
		.amdhsa_system_sgpr_workgroup_info 0
		.amdhsa_system_vgpr_workitem_id 0
		.amdhsa_next_free_vgpr 1
		.amdhsa_next_free_sgpr 0
		.amdhsa_accum_offset 4
		.amdhsa_reserve_vcc 0
		.amdhsa_reserve_flat_scratch 0
		.amdhsa_float_round_mode_32 0
		.amdhsa_float_round_mode_16_64 0
		.amdhsa_float_denorm_mode_32 3
		.amdhsa_float_denorm_mode_16_64 3
		.amdhsa_dx10_clamp 1
		.amdhsa_ieee_mode 1
		.amdhsa_fp16_overflow 0
		.amdhsa_tg_split 0
		.amdhsa_exception_fp_ieee_invalid_op 0
		.amdhsa_exception_fp_denorm_src 0
		.amdhsa_exception_fp_ieee_div_zero 0
		.amdhsa_exception_fp_ieee_overflow 0
		.amdhsa_exception_fp_ieee_underflow 0
		.amdhsa_exception_fp_ieee_inexact 0
		.amdhsa_exception_int_div_zero 0
	.end_amdhsa_kernel
	.section	.text._ZN7rocprim17ROCPRIM_400000_NS6detail17trampoline_kernelINS0_14default_configENS1_20scan_config_selectorIsEEZZNS1_9scan_implILNS1_25lookback_scan_determinismE0ELb0ELb0ES3_N6thrust23THRUST_200600_302600_NS6detail15normal_iteratorINS9_10device_ptrIsEEEESE_sNS9_4plusIsEEsEEDaPvRmT3_T4_T5_mT6_P12ihipStream_tbENKUlT_T0_E_clISt17integral_constantIbLb0EESU_EEDaSP_SQ_EUlSP_E0_NS1_11comp_targetILNS1_3genE10ELNS1_11target_archE1201ELNS1_3gpuE5ELNS1_3repE0EEENS1_30default_config_static_selectorELNS0_4arch9wavefront6targetE1EEEvT1_,"axG",@progbits,_ZN7rocprim17ROCPRIM_400000_NS6detail17trampoline_kernelINS0_14default_configENS1_20scan_config_selectorIsEEZZNS1_9scan_implILNS1_25lookback_scan_determinismE0ELb0ELb0ES3_N6thrust23THRUST_200600_302600_NS6detail15normal_iteratorINS9_10device_ptrIsEEEESE_sNS9_4plusIsEEsEEDaPvRmT3_T4_T5_mT6_P12ihipStream_tbENKUlT_T0_E_clISt17integral_constantIbLb0EESU_EEDaSP_SQ_EUlSP_E0_NS1_11comp_targetILNS1_3genE10ELNS1_11target_archE1201ELNS1_3gpuE5ELNS1_3repE0EEENS1_30default_config_static_selectorELNS0_4arch9wavefront6targetE1EEEvT1_,comdat
.Lfunc_end1065:
	.size	_ZN7rocprim17ROCPRIM_400000_NS6detail17trampoline_kernelINS0_14default_configENS1_20scan_config_selectorIsEEZZNS1_9scan_implILNS1_25lookback_scan_determinismE0ELb0ELb0ES3_N6thrust23THRUST_200600_302600_NS6detail15normal_iteratorINS9_10device_ptrIsEEEESE_sNS9_4plusIsEEsEEDaPvRmT3_T4_T5_mT6_P12ihipStream_tbENKUlT_T0_E_clISt17integral_constantIbLb0EESU_EEDaSP_SQ_EUlSP_E0_NS1_11comp_targetILNS1_3genE10ELNS1_11target_archE1201ELNS1_3gpuE5ELNS1_3repE0EEENS1_30default_config_static_selectorELNS0_4arch9wavefront6targetE1EEEvT1_, .Lfunc_end1065-_ZN7rocprim17ROCPRIM_400000_NS6detail17trampoline_kernelINS0_14default_configENS1_20scan_config_selectorIsEEZZNS1_9scan_implILNS1_25lookback_scan_determinismE0ELb0ELb0ES3_N6thrust23THRUST_200600_302600_NS6detail15normal_iteratorINS9_10device_ptrIsEEEESE_sNS9_4plusIsEEsEEDaPvRmT3_T4_T5_mT6_P12ihipStream_tbENKUlT_T0_E_clISt17integral_constantIbLb0EESU_EEDaSP_SQ_EUlSP_E0_NS1_11comp_targetILNS1_3genE10ELNS1_11target_archE1201ELNS1_3gpuE5ELNS1_3repE0EEENS1_30default_config_static_selectorELNS0_4arch9wavefront6targetE1EEEvT1_
                                        ; -- End function
	.section	.AMDGPU.csdata,"",@progbits
; Kernel info:
; codeLenInByte = 0
; NumSgprs: 4
; NumVgprs: 0
; NumAgprs: 0
; TotalNumVgprs: 0
; ScratchSize: 0
; MemoryBound: 0
; FloatMode: 240
; IeeeMode: 1
; LDSByteSize: 0 bytes/workgroup (compile time only)
; SGPRBlocks: 0
; VGPRBlocks: 0
; NumSGPRsForWavesPerEU: 4
; NumVGPRsForWavesPerEU: 1
; AccumOffset: 4
; Occupancy: 8
; WaveLimiterHint : 0
; COMPUTE_PGM_RSRC2:SCRATCH_EN: 0
; COMPUTE_PGM_RSRC2:USER_SGPR: 6
; COMPUTE_PGM_RSRC2:TRAP_HANDLER: 0
; COMPUTE_PGM_RSRC2:TGID_X_EN: 1
; COMPUTE_PGM_RSRC2:TGID_Y_EN: 0
; COMPUTE_PGM_RSRC2:TGID_Z_EN: 0
; COMPUTE_PGM_RSRC2:TIDIG_COMP_CNT: 0
; COMPUTE_PGM_RSRC3_GFX90A:ACCUM_OFFSET: 0
; COMPUTE_PGM_RSRC3_GFX90A:TG_SPLIT: 0
	.section	.text._ZN7rocprim17ROCPRIM_400000_NS6detail17trampoline_kernelINS0_14default_configENS1_20scan_config_selectorIsEEZZNS1_9scan_implILNS1_25lookback_scan_determinismE0ELb0ELb0ES3_N6thrust23THRUST_200600_302600_NS6detail15normal_iteratorINS9_10device_ptrIsEEEESE_sNS9_4plusIsEEsEEDaPvRmT3_T4_T5_mT6_P12ihipStream_tbENKUlT_T0_E_clISt17integral_constantIbLb0EESU_EEDaSP_SQ_EUlSP_E0_NS1_11comp_targetILNS1_3genE10ELNS1_11target_archE1200ELNS1_3gpuE4ELNS1_3repE0EEENS1_30default_config_static_selectorELNS0_4arch9wavefront6targetE1EEEvT1_,"axG",@progbits,_ZN7rocprim17ROCPRIM_400000_NS6detail17trampoline_kernelINS0_14default_configENS1_20scan_config_selectorIsEEZZNS1_9scan_implILNS1_25lookback_scan_determinismE0ELb0ELb0ES3_N6thrust23THRUST_200600_302600_NS6detail15normal_iteratorINS9_10device_ptrIsEEEESE_sNS9_4plusIsEEsEEDaPvRmT3_T4_T5_mT6_P12ihipStream_tbENKUlT_T0_E_clISt17integral_constantIbLb0EESU_EEDaSP_SQ_EUlSP_E0_NS1_11comp_targetILNS1_3genE10ELNS1_11target_archE1200ELNS1_3gpuE4ELNS1_3repE0EEENS1_30default_config_static_selectorELNS0_4arch9wavefront6targetE1EEEvT1_,comdat
	.protected	_ZN7rocprim17ROCPRIM_400000_NS6detail17trampoline_kernelINS0_14default_configENS1_20scan_config_selectorIsEEZZNS1_9scan_implILNS1_25lookback_scan_determinismE0ELb0ELb0ES3_N6thrust23THRUST_200600_302600_NS6detail15normal_iteratorINS9_10device_ptrIsEEEESE_sNS9_4plusIsEEsEEDaPvRmT3_T4_T5_mT6_P12ihipStream_tbENKUlT_T0_E_clISt17integral_constantIbLb0EESU_EEDaSP_SQ_EUlSP_E0_NS1_11comp_targetILNS1_3genE10ELNS1_11target_archE1200ELNS1_3gpuE4ELNS1_3repE0EEENS1_30default_config_static_selectorELNS0_4arch9wavefront6targetE1EEEvT1_ ; -- Begin function _ZN7rocprim17ROCPRIM_400000_NS6detail17trampoline_kernelINS0_14default_configENS1_20scan_config_selectorIsEEZZNS1_9scan_implILNS1_25lookback_scan_determinismE0ELb0ELb0ES3_N6thrust23THRUST_200600_302600_NS6detail15normal_iteratorINS9_10device_ptrIsEEEESE_sNS9_4plusIsEEsEEDaPvRmT3_T4_T5_mT6_P12ihipStream_tbENKUlT_T0_E_clISt17integral_constantIbLb0EESU_EEDaSP_SQ_EUlSP_E0_NS1_11comp_targetILNS1_3genE10ELNS1_11target_archE1200ELNS1_3gpuE4ELNS1_3repE0EEENS1_30default_config_static_selectorELNS0_4arch9wavefront6targetE1EEEvT1_
	.globl	_ZN7rocprim17ROCPRIM_400000_NS6detail17trampoline_kernelINS0_14default_configENS1_20scan_config_selectorIsEEZZNS1_9scan_implILNS1_25lookback_scan_determinismE0ELb0ELb0ES3_N6thrust23THRUST_200600_302600_NS6detail15normal_iteratorINS9_10device_ptrIsEEEESE_sNS9_4plusIsEEsEEDaPvRmT3_T4_T5_mT6_P12ihipStream_tbENKUlT_T0_E_clISt17integral_constantIbLb0EESU_EEDaSP_SQ_EUlSP_E0_NS1_11comp_targetILNS1_3genE10ELNS1_11target_archE1200ELNS1_3gpuE4ELNS1_3repE0EEENS1_30default_config_static_selectorELNS0_4arch9wavefront6targetE1EEEvT1_
	.p2align	8
	.type	_ZN7rocprim17ROCPRIM_400000_NS6detail17trampoline_kernelINS0_14default_configENS1_20scan_config_selectorIsEEZZNS1_9scan_implILNS1_25lookback_scan_determinismE0ELb0ELb0ES3_N6thrust23THRUST_200600_302600_NS6detail15normal_iteratorINS9_10device_ptrIsEEEESE_sNS9_4plusIsEEsEEDaPvRmT3_T4_T5_mT6_P12ihipStream_tbENKUlT_T0_E_clISt17integral_constantIbLb0EESU_EEDaSP_SQ_EUlSP_E0_NS1_11comp_targetILNS1_3genE10ELNS1_11target_archE1200ELNS1_3gpuE4ELNS1_3repE0EEENS1_30default_config_static_selectorELNS0_4arch9wavefront6targetE1EEEvT1_,@function
_ZN7rocprim17ROCPRIM_400000_NS6detail17trampoline_kernelINS0_14default_configENS1_20scan_config_selectorIsEEZZNS1_9scan_implILNS1_25lookback_scan_determinismE0ELb0ELb0ES3_N6thrust23THRUST_200600_302600_NS6detail15normal_iteratorINS9_10device_ptrIsEEEESE_sNS9_4plusIsEEsEEDaPvRmT3_T4_T5_mT6_P12ihipStream_tbENKUlT_T0_E_clISt17integral_constantIbLb0EESU_EEDaSP_SQ_EUlSP_E0_NS1_11comp_targetILNS1_3genE10ELNS1_11target_archE1200ELNS1_3gpuE4ELNS1_3repE0EEENS1_30default_config_static_selectorELNS0_4arch9wavefront6targetE1EEEvT1_: ; @_ZN7rocprim17ROCPRIM_400000_NS6detail17trampoline_kernelINS0_14default_configENS1_20scan_config_selectorIsEEZZNS1_9scan_implILNS1_25lookback_scan_determinismE0ELb0ELb0ES3_N6thrust23THRUST_200600_302600_NS6detail15normal_iteratorINS9_10device_ptrIsEEEESE_sNS9_4plusIsEEsEEDaPvRmT3_T4_T5_mT6_P12ihipStream_tbENKUlT_T0_E_clISt17integral_constantIbLb0EESU_EEDaSP_SQ_EUlSP_E0_NS1_11comp_targetILNS1_3genE10ELNS1_11target_archE1200ELNS1_3gpuE4ELNS1_3repE0EEENS1_30default_config_static_selectorELNS0_4arch9wavefront6targetE1EEEvT1_
; %bb.0:
	.section	.rodata,"a",@progbits
	.p2align	6, 0x0
	.amdhsa_kernel _ZN7rocprim17ROCPRIM_400000_NS6detail17trampoline_kernelINS0_14default_configENS1_20scan_config_selectorIsEEZZNS1_9scan_implILNS1_25lookback_scan_determinismE0ELb0ELb0ES3_N6thrust23THRUST_200600_302600_NS6detail15normal_iteratorINS9_10device_ptrIsEEEESE_sNS9_4plusIsEEsEEDaPvRmT3_T4_T5_mT6_P12ihipStream_tbENKUlT_T0_E_clISt17integral_constantIbLb0EESU_EEDaSP_SQ_EUlSP_E0_NS1_11comp_targetILNS1_3genE10ELNS1_11target_archE1200ELNS1_3gpuE4ELNS1_3repE0EEENS1_30default_config_static_selectorELNS0_4arch9wavefront6targetE1EEEvT1_
		.amdhsa_group_segment_fixed_size 0
		.amdhsa_private_segment_fixed_size 0
		.amdhsa_kernarg_size 32
		.amdhsa_user_sgpr_count 6
		.amdhsa_user_sgpr_private_segment_buffer 1
		.amdhsa_user_sgpr_dispatch_ptr 0
		.amdhsa_user_sgpr_queue_ptr 0
		.amdhsa_user_sgpr_kernarg_segment_ptr 1
		.amdhsa_user_sgpr_dispatch_id 0
		.amdhsa_user_sgpr_flat_scratch_init 0
		.amdhsa_user_sgpr_kernarg_preload_length 0
		.amdhsa_user_sgpr_kernarg_preload_offset 0
		.amdhsa_user_sgpr_private_segment_size 0
		.amdhsa_uses_dynamic_stack 0
		.amdhsa_system_sgpr_private_segment_wavefront_offset 0
		.amdhsa_system_sgpr_workgroup_id_x 1
		.amdhsa_system_sgpr_workgroup_id_y 0
		.amdhsa_system_sgpr_workgroup_id_z 0
		.amdhsa_system_sgpr_workgroup_info 0
		.amdhsa_system_vgpr_workitem_id 0
		.amdhsa_next_free_vgpr 1
		.amdhsa_next_free_sgpr 0
		.amdhsa_accum_offset 4
		.amdhsa_reserve_vcc 0
		.amdhsa_reserve_flat_scratch 0
		.amdhsa_float_round_mode_32 0
		.amdhsa_float_round_mode_16_64 0
		.amdhsa_float_denorm_mode_32 3
		.amdhsa_float_denorm_mode_16_64 3
		.amdhsa_dx10_clamp 1
		.amdhsa_ieee_mode 1
		.amdhsa_fp16_overflow 0
		.amdhsa_tg_split 0
		.amdhsa_exception_fp_ieee_invalid_op 0
		.amdhsa_exception_fp_denorm_src 0
		.amdhsa_exception_fp_ieee_div_zero 0
		.amdhsa_exception_fp_ieee_overflow 0
		.amdhsa_exception_fp_ieee_underflow 0
		.amdhsa_exception_fp_ieee_inexact 0
		.amdhsa_exception_int_div_zero 0
	.end_amdhsa_kernel
	.section	.text._ZN7rocprim17ROCPRIM_400000_NS6detail17trampoline_kernelINS0_14default_configENS1_20scan_config_selectorIsEEZZNS1_9scan_implILNS1_25lookback_scan_determinismE0ELb0ELb0ES3_N6thrust23THRUST_200600_302600_NS6detail15normal_iteratorINS9_10device_ptrIsEEEESE_sNS9_4plusIsEEsEEDaPvRmT3_T4_T5_mT6_P12ihipStream_tbENKUlT_T0_E_clISt17integral_constantIbLb0EESU_EEDaSP_SQ_EUlSP_E0_NS1_11comp_targetILNS1_3genE10ELNS1_11target_archE1200ELNS1_3gpuE4ELNS1_3repE0EEENS1_30default_config_static_selectorELNS0_4arch9wavefront6targetE1EEEvT1_,"axG",@progbits,_ZN7rocprim17ROCPRIM_400000_NS6detail17trampoline_kernelINS0_14default_configENS1_20scan_config_selectorIsEEZZNS1_9scan_implILNS1_25lookback_scan_determinismE0ELb0ELb0ES3_N6thrust23THRUST_200600_302600_NS6detail15normal_iteratorINS9_10device_ptrIsEEEESE_sNS9_4plusIsEEsEEDaPvRmT3_T4_T5_mT6_P12ihipStream_tbENKUlT_T0_E_clISt17integral_constantIbLb0EESU_EEDaSP_SQ_EUlSP_E0_NS1_11comp_targetILNS1_3genE10ELNS1_11target_archE1200ELNS1_3gpuE4ELNS1_3repE0EEENS1_30default_config_static_selectorELNS0_4arch9wavefront6targetE1EEEvT1_,comdat
.Lfunc_end1066:
	.size	_ZN7rocprim17ROCPRIM_400000_NS6detail17trampoline_kernelINS0_14default_configENS1_20scan_config_selectorIsEEZZNS1_9scan_implILNS1_25lookback_scan_determinismE0ELb0ELb0ES3_N6thrust23THRUST_200600_302600_NS6detail15normal_iteratorINS9_10device_ptrIsEEEESE_sNS9_4plusIsEEsEEDaPvRmT3_T4_T5_mT6_P12ihipStream_tbENKUlT_T0_E_clISt17integral_constantIbLb0EESU_EEDaSP_SQ_EUlSP_E0_NS1_11comp_targetILNS1_3genE10ELNS1_11target_archE1200ELNS1_3gpuE4ELNS1_3repE0EEENS1_30default_config_static_selectorELNS0_4arch9wavefront6targetE1EEEvT1_, .Lfunc_end1066-_ZN7rocprim17ROCPRIM_400000_NS6detail17trampoline_kernelINS0_14default_configENS1_20scan_config_selectorIsEEZZNS1_9scan_implILNS1_25lookback_scan_determinismE0ELb0ELb0ES3_N6thrust23THRUST_200600_302600_NS6detail15normal_iteratorINS9_10device_ptrIsEEEESE_sNS9_4plusIsEEsEEDaPvRmT3_T4_T5_mT6_P12ihipStream_tbENKUlT_T0_E_clISt17integral_constantIbLb0EESU_EEDaSP_SQ_EUlSP_E0_NS1_11comp_targetILNS1_3genE10ELNS1_11target_archE1200ELNS1_3gpuE4ELNS1_3repE0EEENS1_30default_config_static_selectorELNS0_4arch9wavefront6targetE1EEEvT1_
                                        ; -- End function
	.section	.AMDGPU.csdata,"",@progbits
; Kernel info:
; codeLenInByte = 0
; NumSgprs: 4
; NumVgprs: 0
; NumAgprs: 0
; TotalNumVgprs: 0
; ScratchSize: 0
; MemoryBound: 0
; FloatMode: 240
; IeeeMode: 1
; LDSByteSize: 0 bytes/workgroup (compile time only)
; SGPRBlocks: 0
; VGPRBlocks: 0
; NumSGPRsForWavesPerEU: 4
; NumVGPRsForWavesPerEU: 1
; AccumOffset: 4
; Occupancy: 8
; WaveLimiterHint : 0
; COMPUTE_PGM_RSRC2:SCRATCH_EN: 0
; COMPUTE_PGM_RSRC2:USER_SGPR: 6
; COMPUTE_PGM_RSRC2:TRAP_HANDLER: 0
; COMPUTE_PGM_RSRC2:TGID_X_EN: 1
; COMPUTE_PGM_RSRC2:TGID_Y_EN: 0
; COMPUTE_PGM_RSRC2:TGID_Z_EN: 0
; COMPUTE_PGM_RSRC2:TIDIG_COMP_CNT: 0
; COMPUTE_PGM_RSRC3_GFX90A:ACCUM_OFFSET: 0
; COMPUTE_PGM_RSRC3_GFX90A:TG_SPLIT: 0
	.section	.text._ZN7rocprim17ROCPRIM_400000_NS6detail17trampoline_kernelINS0_14default_configENS1_20scan_config_selectorIsEEZZNS1_9scan_implILNS1_25lookback_scan_determinismE0ELb0ELb0ES3_N6thrust23THRUST_200600_302600_NS6detail15normal_iteratorINS9_10device_ptrIsEEEESE_sNS9_4plusIsEEsEEDaPvRmT3_T4_T5_mT6_P12ihipStream_tbENKUlT_T0_E_clISt17integral_constantIbLb0EESU_EEDaSP_SQ_EUlSP_E0_NS1_11comp_targetILNS1_3genE9ELNS1_11target_archE1100ELNS1_3gpuE3ELNS1_3repE0EEENS1_30default_config_static_selectorELNS0_4arch9wavefront6targetE1EEEvT1_,"axG",@progbits,_ZN7rocprim17ROCPRIM_400000_NS6detail17trampoline_kernelINS0_14default_configENS1_20scan_config_selectorIsEEZZNS1_9scan_implILNS1_25lookback_scan_determinismE0ELb0ELb0ES3_N6thrust23THRUST_200600_302600_NS6detail15normal_iteratorINS9_10device_ptrIsEEEESE_sNS9_4plusIsEEsEEDaPvRmT3_T4_T5_mT6_P12ihipStream_tbENKUlT_T0_E_clISt17integral_constantIbLb0EESU_EEDaSP_SQ_EUlSP_E0_NS1_11comp_targetILNS1_3genE9ELNS1_11target_archE1100ELNS1_3gpuE3ELNS1_3repE0EEENS1_30default_config_static_selectorELNS0_4arch9wavefront6targetE1EEEvT1_,comdat
	.protected	_ZN7rocprim17ROCPRIM_400000_NS6detail17trampoline_kernelINS0_14default_configENS1_20scan_config_selectorIsEEZZNS1_9scan_implILNS1_25lookback_scan_determinismE0ELb0ELb0ES3_N6thrust23THRUST_200600_302600_NS6detail15normal_iteratorINS9_10device_ptrIsEEEESE_sNS9_4plusIsEEsEEDaPvRmT3_T4_T5_mT6_P12ihipStream_tbENKUlT_T0_E_clISt17integral_constantIbLb0EESU_EEDaSP_SQ_EUlSP_E0_NS1_11comp_targetILNS1_3genE9ELNS1_11target_archE1100ELNS1_3gpuE3ELNS1_3repE0EEENS1_30default_config_static_selectorELNS0_4arch9wavefront6targetE1EEEvT1_ ; -- Begin function _ZN7rocprim17ROCPRIM_400000_NS6detail17trampoline_kernelINS0_14default_configENS1_20scan_config_selectorIsEEZZNS1_9scan_implILNS1_25lookback_scan_determinismE0ELb0ELb0ES3_N6thrust23THRUST_200600_302600_NS6detail15normal_iteratorINS9_10device_ptrIsEEEESE_sNS9_4plusIsEEsEEDaPvRmT3_T4_T5_mT6_P12ihipStream_tbENKUlT_T0_E_clISt17integral_constantIbLb0EESU_EEDaSP_SQ_EUlSP_E0_NS1_11comp_targetILNS1_3genE9ELNS1_11target_archE1100ELNS1_3gpuE3ELNS1_3repE0EEENS1_30default_config_static_selectorELNS0_4arch9wavefront6targetE1EEEvT1_
	.globl	_ZN7rocprim17ROCPRIM_400000_NS6detail17trampoline_kernelINS0_14default_configENS1_20scan_config_selectorIsEEZZNS1_9scan_implILNS1_25lookback_scan_determinismE0ELb0ELb0ES3_N6thrust23THRUST_200600_302600_NS6detail15normal_iteratorINS9_10device_ptrIsEEEESE_sNS9_4plusIsEEsEEDaPvRmT3_T4_T5_mT6_P12ihipStream_tbENKUlT_T0_E_clISt17integral_constantIbLb0EESU_EEDaSP_SQ_EUlSP_E0_NS1_11comp_targetILNS1_3genE9ELNS1_11target_archE1100ELNS1_3gpuE3ELNS1_3repE0EEENS1_30default_config_static_selectorELNS0_4arch9wavefront6targetE1EEEvT1_
	.p2align	8
	.type	_ZN7rocprim17ROCPRIM_400000_NS6detail17trampoline_kernelINS0_14default_configENS1_20scan_config_selectorIsEEZZNS1_9scan_implILNS1_25lookback_scan_determinismE0ELb0ELb0ES3_N6thrust23THRUST_200600_302600_NS6detail15normal_iteratorINS9_10device_ptrIsEEEESE_sNS9_4plusIsEEsEEDaPvRmT3_T4_T5_mT6_P12ihipStream_tbENKUlT_T0_E_clISt17integral_constantIbLb0EESU_EEDaSP_SQ_EUlSP_E0_NS1_11comp_targetILNS1_3genE9ELNS1_11target_archE1100ELNS1_3gpuE3ELNS1_3repE0EEENS1_30default_config_static_selectorELNS0_4arch9wavefront6targetE1EEEvT1_,@function
_ZN7rocprim17ROCPRIM_400000_NS6detail17trampoline_kernelINS0_14default_configENS1_20scan_config_selectorIsEEZZNS1_9scan_implILNS1_25lookback_scan_determinismE0ELb0ELb0ES3_N6thrust23THRUST_200600_302600_NS6detail15normal_iteratorINS9_10device_ptrIsEEEESE_sNS9_4plusIsEEsEEDaPvRmT3_T4_T5_mT6_P12ihipStream_tbENKUlT_T0_E_clISt17integral_constantIbLb0EESU_EEDaSP_SQ_EUlSP_E0_NS1_11comp_targetILNS1_3genE9ELNS1_11target_archE1100ELNS1_3gpuE3ELNS1_3repE0EEENS1_30default_config_static_selectorELNS0_4arch9wavefront6targetE1EEEvT1_: ; @_ZN7rocprim17ROCPRIM_400000_NS6detail17trampoline_kernelINS0_14default_configENS1_20scan_config_selectorIsEEZZNS1_9scan_implILNS1_25lookback_scan_determinismE0ELb0ELb0ES3_N6thrust23THRUST_200600_302600_NS6detail15normal_iteratorINS9_10device_ptrIsEEEESE_sNS9_4plusIsEEsEEDaPvRmT3_T4_T5_mT6_P12ihipStream_tbENKUlT_T0_E_clISt17integral_constantIbLb0EESU_EEDaSP_SQ_EUlSP_E0_NS1_11comp_targetILNS1_3genE9ELNS1_11target_archE1100ELNS1_3gpuE3ELNS1_3repE0EEENS1_30default_config_static_selectorELNS0_4arch9wavefront6targetE1EEEvT1_
; %bb.0:
	.section	.rodata,"a",@progbits
	.p2align	6, 0x0
	.amdhsa_kernel _ZN7rocprim17ROCPRIM_400000_NS6detail17trampoline_kernelINS0_14default_configENS1_20scan_config_selectorIsEEZZNS1_9scan_implILNS1_25lookback_scan_determinismE0ELb0ELb0ES3_N6thrust23THRUST_200600_302600_NS6detail15normal_iteratorINS9_10device_ptrIsEEEESE_sNS9_4plusIsEEsEEDaPvRmT3_T4_T5_mT6_P12ihipStream_tbENKUlT_T0_E_clISt17integral_constantIbLb0EESU_EEDaSP_SQ_EUlSP_E0_NS1_11comp_targetILNS1_3genE9ELNS1_11target_archE1100ELNS1_3gpuE3ELNS1_3repE0EEENS1_30default_config_static_selectorELNS0_4arch9wavefront6targetE1EEEvT1_
		.amdhsa_group_segment_fixed_size 0
		.amdhsa_private_segment_fixed_size 0
		.amdhsa_kernarg_size 32
		.amdhsa_user_sgpr_count 6
		.amdhsa_user_sgpr_private_segment_buffer 1
		.amdhsa_user_sgpr_dispatch_ptr 0
		.amdhsa_user_sgpr_queue_ptr 0
		.amdhsa_user_sgpr_kernarg_segment_ptr 1
		.amdhsa_user_sgpr_dispatch_id 0
		.amdhsa_user_sgpr_flat_scratch_init 0
		.amdhsa_user_sgpr_kernarg_preload_length 0
		.amdhsa_user_sgpr_kernarg_preload_offset 0
		.amdhsa_user_sgpr_private_segment_size 0
		.amdhsa_uses_dynamic_stack 0
		.amdhsa_system_sgpr_private_segment_wavefront_offset 0
		.amdhsa_system_sgpr_workgroup_id_x 1
		.amdhsa_system_sgpr_workgroup_id_y 0
		.amdhsa_system_sgpr_workgroup_id_z 0
		.amdhsa_system_sgpr_workgroup_info 0
		.amdhsa_system_vgpr_workitem_id 0
		.amdhsa_next_free_vgpr 1
		.amdhsa_next_free_sgpr 0
		.amdhsa_accum_offset 4
		.amdhsa_reserve_vcc 0
		.amdhsa_reserve_flat_scratch 0
		.amdhsa_float_round_mode_32 0
		.amdhsa_float_round_mode_16_64 0
		.amdhsa_float_denorm_mode_32 3
		.amdhsa_float_denorm_mode_16_64 3
		.amdhsa_dx10_clamp 1
		.amdhsa_ieee_mode 1
		.amdhsa_fp16_overflow 0
		.amdhsa_tg_split 0
		.amdhsa_exception_fp_ieee_invalid_op 0
		.amdhsa_exception_fp_denorm_src 0
		.amdhsa_exception_fp_ieee_div_zero 0
		.amdhsa_exception_fp_ieee_overflow 0
		.amdhsa_exception_fp_ieee_underflow 0
		.amdhsa_exception_fp_ieee_inexact 0
		.amdhsa_exception_int_div_zero 0
	.end_amdhsa_kernel
	.section	.text._ZN7rocprim17ROCPRIM_400000_NS6detail17trampoline_kernelINS0_14default_configENS1_20scan_config_selectorIsEEZZNS1_9scan_implILNS1_25lookback_scan_determinismE0ELb0ELb0ES3_N6thrust23THRUST_200600_302600_NS6detail15normal_iteratorINS9_10device_ptrIsEEEESE_sNS9_4plusIsEEsEEDaPvRmT3_T4_T5_mT6_P12ihipStream_tbENKUlT_T0_E_clISt17integral_constantIbLb0EESU_EEDaSP_SQ_EUlSP_E0_NS1_11comp_targetILNS1_3genE9ELNS1_11target_archE1100ELNS1_3gpuE3ELNS1_3repE0EEENS1_30default_config_static_selectorELNS0_4arch9wavefront6targetE1EEEvT1_,"axG",@progbits,_ZN7rocprim17ROCPRIM_400000_NS6detail17trampoline_kernelINS0_14default_configENS1_20scan_config_selectorIsEEZZNS1_9scan_implILNS1_25lookback_scan_determinismE0ELb0ELb0ES3_N6thrust23THRUST_200600_302600_NS6detail15normal_iteratorINS9_10device_ptrIsEEEESE_sNS9_4plusIsEEsEEDaPvRmT3_T4_T5_mT6_P12ihipStream_tbENKUlT_T0_E_clISt17integral_constantIbLb0EESU_EEDaSP_SQ_EUlSP_E0_NS1_11comp_targetILNS1_3genE9ELNS1_11target_archE1100ELNS1_3gpuE3ELNS1_3repE0EEENS1_30default_config_static_selectorELNS0_4arch9wavefront6targetE1EEEvT1_,comdat
.Lfunc_end1067:
	.size	_ZN7rocprim17ROCPRIM_400000_NS6detail17trampoline_kernelINS0_14default_configENS1_20scan_config_selectorIsEEZZNS1_9scan_implILNS1_25lookback_scan_determinismE0ELb0ELb0ES3_N6thrust23THRUST_200600_302600_NS6detail15normal_iteratorINS9_10device_ptrIsEEEESE_sNS9_4plusIsEEsEEDaPvRmT3_T4_T5_mT6_P12ihipStream_tbENKUlT_T0_E_clISt17integral_constantIbLb0EESU_EEDaSP_SQ_EUlSP_E0_NS1_11comp_targetILNS1_3genE9ELNS1_11target_archE1100ELNS1_3gpuE3ELNS1_3repE0EEENS1_30default_config_static_selectorELNS0_4arch9wavefront6targetE1EEEvT1_, .Lfunc_end1067-_ZN7rocprim17ROCPRIM_400000_NS6detail17trampoline_kernelINS0_14default_configENS1_20scan_config_selectorIsEEZZNS1_9scan_implILNS1_25lookback_scan_determinismE0ELb0ELb0ES3_N6thrust23THRUST_200600_302600_NS6detail15normal_iteratorINS9_10device_ptrIsEEEESE_sNS9_4plusIsEEsEEDaPvRmT3_T4_T5_mT6_P12ihipStream_tbENKUlT_T0_E_clISt17integral_constantIbLb0EESU_EEDaSP_SQ_EUlSP_E0_NS1_11comp_targetILNS1_3genE9ELNS1_11target_archE1100ELNS1_3gpuE3ELNS1_3repE0EEENS1_30default_config_static_selectorELNS0_4arch9wavefront6targetE1EEEvT1_
                                        ; -- End function
	.section	.AMDGPU.csdata,"",@progbits
; Kernel info:
; codeLenInByte = 0
; NumSgprs: 4
; NumVgprs: 0
; NumAgprs: 0
; TotalNumVgprs: 0
; ScratchSize: 0
; MemoryBound: 0
; FloatMode: 240
; IeeeMode: 1
; LDSByteSize: 0 bytes/workgroup (compile time only)
; SGPRBlocks: 0
; VGPRBlocks: 0
; NumSGPRsForWavesPerEU: 4
; NumVGPRsForWavesPerEU: 1
; AccumOffset: 4
; Occupancy: 8
; WaveLimiterHint : 0
; COMPUTE_PGM_RSRC2:SCRATCH_EN: 0
; COMPUTE_PGM_RSRC2:USER_SGPR: 6
; COMPUTE_PGM_RSRC2:TRAP_HANDLER: 0
; COMPUTE_PGM_RSRC2:TGID_X_EN: 1
; COMPUTE_PGM_RSRC2:TGID_Y_EN: 0
; COMPUTE_PGM_RSRC2:TGID_Z_EN: 0
; COMPUTE_PGM_RSRC2:TIDIG_COMP_CNT: 0
; COMPUTE_PGM_RSRC3_GFX90A:ACCUM_OFFSET: 0
; COMPUTE_PGM_RSRC3_GFX90A:TG_SPLIT: 0
	.section	.text._ZN7rocprim17ROCPRIM_400000_NS6detail17trampoline_kernelINS0_14default_configENS1_20scan_config_selectorIsEEZZNS1_9scan_implILNS1_25lookback_scan_determinismE0ELb0ELb0ES3_N6thrust23THRUST_200600_302600_NS6detail15normal_iteratorINS9_10device_ptrIsEEEESE_sNS9_4plusIsEEsEEDaPvRmT3_T4_T5_mT6_P12ihipStream_tbENKUlT_T0_E_clISt17integral_constantIbLb0EESU_EEDaSP_SQ_EUlSP_E0_NS1_11comp_targetILNS1_3genE8ELNS1_11target_archE1030ELNS1_3gpuE2ELNS1_3repE0EEENS1_30default_config_static_selectorELNS0_4arch9wavefront6targetE1EEEvT1_,"axG",@progbits,_ZN7rocprim17ROCPRIM_400000_NS6detail17trampoline_kernelINS0_14default_configENS1_20scan_config_selectorIsEEZZNS1_9scan_implILNS1_25lookback_scan_determinismE0ELb0ELb0ES3_N6thrust23THRUST_200600_302600_NS6detail15normal_iteratorINS9_10device_ptrIsEEEESE_sNS9_4plusIsEEsEEDaPvRmT3_T4_T5_mT6_P12ihipStream_tbENKUlT_T0_E_clISt17integral_constantIbLb0EESU_EEDaSP_SQ_EUlSP_E0_NS1_11comp_targetILNS1_3genE8ELNS1_11target_archE1030ELNS1_3gpuE2ELNS1_3repE0EEENS1_30default_config_static_selectorELNS0_4arch9wavefront6targetE1EEEvT1_,comdat
	.protected	_ZN7rocprim17ROCPRIM_400000_NS6detail17trampoline_kernelINS0_14default_configENS1_20scan_config_selectorIsEEZZNS1_9scan_implILNS1_25lookback_scan_determinismE0ELb0ELb0ES3_N6thrust23THRUST_200600_302600_NS6detail15normal_iteratorINS9_10device_ptrIsEEEESE_sNS9_4plusIsEEsEEDaPvRmT3_T4_T5_mT6_P12ihipStream_tbENKUlT_T0_E_clISt17integral_constantIbLb0EESU_EEDaSP_SQ_EUlSP_E0_NS1_11comp_targetILNS1_3genE8ELNS1_11target_archE1030ELNS1_3gpuE2ELNS1_3repE0EEENS1_30default_config_static_selectorELNS0_4arch9wavefront6targetE1EEEvT1_ ; -- Begin function _ZN7rocprim17ROCPRIM_400000_NS6detail17trampoline_kernelINS0_14default_configENS1_20scan_config_selectorIsEEZZNS1_9scan_implILNS1_25lookback_scan_determinismE0ELb0ELb0ES3_N6thrust23THRUST_200600_302600_NS6detail15normal_iteratorINS9_10device_ptrIsEEEESE_sNS9_4plusIsEEsEEDaPvRmT3_T4_T5_mT6_P12ihipStream_tbENKUlT_T0_E_clISt17integral_constantIbLb0EESU_EEDaSP_SQ_EUlSP_E0_NS1_11comp_targetILNS1_3genE8ELNS1_11target_archE1030ELNS1_3gpuE2ELNS1_3repE0EEENS1_30default_config_static_selectorELNS0_4arch9wavefront6targetE1EEEvT1_
	.globl	_ZN7rocprim17ROCPRIM_400000_NS6detail17trampoline_kernelINS0_14default_configENS1_20scan_config_selectorIsEEZZNS1_9scan_implILNS1_25lookback_scan_determinismE0ELb0ELb0ES3_N6thrust23THRUST_200600_302600_NS6detail15normal_iteratorINS9_10device_ptrIsEEEESE_sNS9_4plusIsEEsEEDaPvRmT3_T4_T5_mT6_P12ihipStream_tbENKUlT_T0_E_clISt17integral_constantIbLb0EESU_EEDaSP_SQ_EUlSP_E0_NS1_11comp_targetILNS1_3genE8ELNS1_11target_archE1030ELNS1_3gpuE2ELNS1_3repE0EEENS1_30default_config_static_selectorELNS0_4arch9wavefront6targetE1EEEvT1_
	.p2align	8
	.type	_ZN7rocprim17ROCPRIM_400000_NS6detail17trampoline_kernelINS0_14default_configENS1_20scan_config_selectorIsEEZZNS1_9scan_implILNS1_25lookback_scan_determinismE0ELb0ELb0ES3_N6thrust23THRUST_200600_302600_NS6detail15normal_iteratorINS9_10device_ptrIsEEEESE_sNS9_4plusIsEEsEEDaPvRmT3_T4_T5_mT6_P12ihipStream_tbENKUlT_T0_E_clISt17integral_constantIbLb0EESU_EEDaSP_SQ_EUlSP_E0_NS1_11comp_targetILNS1_3genE8ELNS1_11target_archE1030ELNS1_3gpuE2ELNS1_3repE0EEENS1_30default_config_static_selectorELNS0_4arch9wavefront6targetE1EEEvT1_,@function
_ZN7rocprim17ROCPRIM_400000_NS6detail17trampoline_kernelINS0_14default_configENS1_20scan_config_selectorIsEEZZNS1_9scan_implILNS1_25lookback_scan_determinismE0ELb0ELb0ES3_N6thrust23THRUST_200600_302600_NS6detail15normal_iteratorINS9_10device_ptrIsEEEESE_sNS9_4plusIsEEsEEDaPvRmT3_T4_T5_mT6_P12ihipStream_tbENKUlT_T0_E_clISt17integral_constantIbLb0EESU_EEDaSP_SQ_EUlSP_E0_NS1_11comp_targetILNS1_3genE8ELNS1_11target_archE1030ELNS1_3gpuE2ELNS1_3repE0EEENS1_30default_config_static_selectorELNS0_4arch9wavefront6targetE1EEEvT1_: ; @_ZN7rocprim17ROCPRIM_400000_NS6detail17trampoline_kernelINS0_14default_configENS1_20scan_config_selectorIsEEZZNS1_9scan_implILNS1_25lookback_scan_determinismE0ELb0ELb0ES3_N6thrust23THRUST_200600_302600_NS6detail15normal_iteratorINS9_10device_ptrIsEEEESE_sNS9_4plusIsEEsEEDaPvRmT3_T4_T5_mT6_P12ihipStream_tbENKUlT_T0_E_clISt17integral_constantIbLb0EESU_EEDaSP_SQ_EUlSP_E0_NS1_11comp_targetILNS1_3genE8ELNS1_11target_archE1030ELNS1_3gpuE2ELNS1_3repE0EEENS1_30default_config_static_selectorELNS0_4arch9wavefront6targetE1EEEvT1_
; %bb.0:
	.section	.rodata,"a",@progbits
	.p2align	6, 0x0
	.amdhsa_kernel _ZN7rocprim17ROCPRIM_400000_NS6detail17trampoline_kernelINS0_14default_configENS1_20scan_config_selectorIsEEZZNS1_9scan_implILNS1_25lookback_scan_determinismE0ELb0ELb0ES3_N6thrust23THRUST_200600_302600_NS6detail15normal_iteratorINS9_10device_ptrIsEEEESE_sNS9_4plusIsEEsEEDaPvRmT3_T4_T5_mT6_P12ihipStream_tbENKUlT_T0_E_clISt17integral_constantIbLb0EESU_EEDaSP_SQ_EUlSP_E0_NS1_11comp_targetILNS1_3genE8ELNS1_11target_archE1030ELNS1_3gpuE2ELNS1_3repE0EEENS1_30default_config_static_selectorELNS0_4arch9wavefront6targetE1EEEvT1_
		.amdhsa_group_segment_fixed_size 0
		.amdhsa_private_segment_fixed_size 0
		.amdhsa_kernarg_size 32
		.amdhsa_user_sgpr_count 6
		.amdhsa_user_sgpr_private_segment_buffer 1
		.amdhsa_user_sgpr_dispatch_ptr 0
		.amdhsa_user_sgpr_queue_ptr 0
		.amdhsa_user_sgpr_kernarg_segment_ptr 1
		.amdhsa_user_sgpr_dispatch_id 0
		.amdhsa_user_sgpr_flat_scratch_init 0
		.amdhsa_user_sgpr_kernarg_preload_length 0
		.amdhsa_user_sgpr_kernarg_preload_offset 0
		.amdhsa_user_sgpr_private_segment_size 0
		.amdhsa_uses_dynamic_stack 0
		.amdhsa_system_sgpr_private_segment_wavefront_offset 0
		.amdhsa_system_sgpr_workgroup_id_x 1
		.amdhsa_system_sgpr_workgroup_id_y 0
		.amdhsa_system_sgpr_workgroup_id_z 0
		.amdhsa_system_sgpr_workgroup_info 0
		.amdhsa_system_vgpr_workitem_id 0
		.amdhsa_next_free_vgpr 1
		.amdhsa_next_free_sgpr 0
		.amdhsa_accum_offset 4
		.amdhsa_reserve_vcc 0
		.amdhsa_reserve_flat_scratch 0
		.amdhsa_float_round_mode_32 0
		.amdhsa_float_round_mode_16_64 0
		.amdhsa_float_denorm_mode_32 3
		.amdhsa_float_denorm_mode_16_64 3
		.amdhsa_dx10_clamp 1
		.amdhsa_ieee_mode 1
		.amdhsa_fp16_overflow 0
		.amdhsa_tg_split 0
		.amdhsa_exception_fp_ieee_invalid_op 0
		.amdhsa_exception_fp_denorm_src 0
		.amdhsa_exception_fp_ieee_div_zero 0
		.amdhsa_exception_fp_ieee_overflow 0
		.amdhsa_exception_fp_ieee_underflow 0
		.amdhsa_exception_fp_ieee_inexact 0
		.amdhsa_exception_int_div_zero 0
	.end_amdhsa_kernel
	.section	.text._ZN7rocprim17ROCPRIM_400000_NS6detail17trampoline_kernelINS0_14default_configENS1_20scan_config_selectorIsEEZZNS1_9scan_implILNS1_25lookback_scan_determinismE0ELb0ELb0ES3_N6thrust23THRUST_200600_302600_NS6detail15normal_iteratorINS9_10device_ptrIsEEEESE_sNS9_4plusIsEEsEEDaPvRmT3_T4_T5_mT6_P12ihipStream_tbENKUlT_T0_E_clISt17integral_constantIbLb0EESU_EEDaSP_SQ_EUlSP_E0_NS1_11comp_targetILNS1_3genE8ELNS1_11target_archE1030ELNS1_3gpuE2ELNS1_3repE0EEENS1_30default_config_static_selectorELNS0_4arch9wavefront6targetE1EEEvT1_,"axG",@progbits,_ZN7rocprim17ROCPRIM_400000_NS6detail17trampoline_kernelINS0_14default_configENS1_20scan_config_selectorIsEEZZNS1_9scan_implILNS1_25lookback_scan_determinismE0ELb0ELb0ES3_N6thrust23THRUST_200600_302600_NS6detail15normal_iteratorINS9_10device_ptrIsEEEESE_sNS9_4plusIsEEsEEDaPvRmT3_T4_T5_mT6_P12ihipStream_tbENKUlT_T0_E_clISt17integral_constantIbLb0EESU_EEDaSP_SQ_EUlSP_E0_NS1_11comp_targetILNS1_3genE8ELNS1_11target_archE1030ELNS1_3gpuE2ELNS1_3repE0EEENS1_30default_config_static_selectorELNS0_4arch9wavefront6targetE1EEEvT1_,comdat
.Lfunc_end1068:
	.size	_ZN7rocprim17ROCPRIM_400000_NS6detail17trampoline_kernelINS0_14default_configENS1_20scan_config_selectorIsEEZZNS1_9scan_implILNS1_25lookback_scan_determinismE0ELb0ELb0ES3_N6thrust23THRUST_200600_302600_NS6detail15normal_iteratorINS9_10device_ptrIsEEEESE_sNS9_4plusIsEEsEEDaPvRmT3_T4_T5_mT6_P12ihipStream_tbENKUlT_T0_E_clISt17integral_constantIbLb0EESU_EEDaSP_SQ_EUlSP_E0_NS1_11comp_targetILNS1_3genE8ELNS1_11target_archE1030ELNS1_3gpuE2ELNS1_3repE0EEENS1_30default_config_static_selectorELNS0_4arch9wavefront6targetE1EEEvT1_, .Lfunc_end1068-_ZN7rocprim17ROCPRIM_400000_NS6detail17trampoline_kernelINS0_14default_configENS1_20scan_config_selectorIsEEZZNS1_9scan_implILNS1_25lookback_scan_determinismE0ELb0ELb0ES3_N6thrust23THRUST_200600_302600_NS6detail15normal_iteratorINS9_10device_ptrIsEEEESE_sNS9_4plusIsEEsEEDaPvRmT3_T4_T5_mT6_P12ihipStream_tbENKUlT_T0_E_clISt17integral_constantIbLb0EESU_EEDaSP_SQ_EUlSP_E0_NS1_11comp_targetILNS1_3genE8ELNS1_11target_archE1030ELNS1_3gpuE2ELNS1_3repE0EEENS1_30default_config_static_selectorELNS0_4arch9wavefront6targetE1EEEvT1_
                                        ; -- End function
	.section	.AMDGPU.csdata,"",@progbits
; Kernel info:
; codeLenInByte = 0
; NumSgprs: 4
; NumVgprs: 0
; NumAgprs: 0
; TotalNumVgprs: 0
; ScratchSize: 0
; MemoryBound: 0
; FloatMode: 240
; IeeeMode: 1
; LDSByteSize: 0 bytes/workgroup (compile time only)
; SGPRBlocks: 0
; VGPRBlocks: 0
; NumSGPRsForWavesPerEU: 4
; NumVGPRsForWavesPerEU: 1
; AccumOffset: 4
; Occupancy: 8
; WaveLimiterHint : 0
; COMPUTE_PGM_RSRC2:SCRATCH_EN: 0
; COMPUTE_PGM_RSRC2:USER_SGPR: 6
; COMPUTE_PGM_RSRC2:TRAP_HANDLER: 0
; COMPUTE_PGM_RSRC2:TGID_X_EN: 1
; COMPUTE_PGM_RSRC2:TGID_Y_EN: 0
; COMPUTE_PGM_RSRC2:TGID_Z_EN: 0
; COMPUTE_PGM_RSRC2:TIDIG_COMP_CNT: 0
; COMPUTE_PGM_RSRC3_GFX90A:ACCUM_OFFSET: 0
; COMPUTE_PGM_RSRC3_GFX90A:TG_SPLIT: 0
	.section	.text._ZN7rocprim17ROCPRIM_400000_NS6detail17trampoline_kernelINS0_14default_configENS1_20scan_config_selectorIsEEZZNS1_9scan_implILNS1_25lookback_scan_determinismE0ELb0ELb0ES3_N6thrust23THRUST_200600_302600_NS6detail15normal_iteratorINS9_10device_ptrIsEEEESE_sNS9_4plusIsEEsEEDaPvRmT3_T4_T5_mT6_P12ihipStream_tbENKUlT_T0_E_clISt17integral_constantIbLb1EESU_EEDaSP_SQ_EUlSP_E_NS1_11comp_targetILNS1_3genE0ELNS1_11target_archE4294967295ELNS1_3gpuE0ELNS1_3repE0EEENS1_30default_config_static_selectorELNS0_4arch9wavefront6targetE1EEEvT1_,"axG",@progbits,_ZN7rocprim17ROCPRIM_400000_NS6detail17trampoline_kernelINS0_14default_configENS1_20scan_config_selectorIsEEZZNS1_9scan_implILNS1_25lookback_scan_determinismE0ELb0ELb0ES3_N6thrust23THRUST_200600_302600_NS6detail15normal_iteratorINS9_10device_ptrIsEEEESE_sNS9_4plusIsEEsEEDaPvRmT3_T4_T5_mT6_P12ihipStream_tbENKUlT_T0_E_clISt17integral_constantIbLb1EESU_EEDaSP_SQ_EUlSP_E_NS1_11comp_targetILNS1_3genE0ELNS1_11target_archE4294967295ELNS1_3gpuE0ELNS1_3repE0EEENS1_30default_config_static_selectorELNS0_4arch9wavefront6targetE1EEEvT1_,comdat
	.protected	_ZN7rocprim17ROCPRIM_400000_NS6detail17trampoline_kernelINS0_14default_configENS1_20scan_config_selectorIsEEZZNS1_9scan_implILNS1_25lookback_scan_determinismE0ELb0ELb0ES3_N6thrust23THRUST_200600_302600_NS6detail15normal_iteratorINS9_10device_ptrIsEEEESE_sNS9_4plusIsEEsEEDaPvRmT3_T4_T5_mT6_P12ihipStream_tbENKUlT_T0_E_clISt17integral_constantIbLb1EESU_EEDaSP_SQ_EUlSP_E_NS1_11comp_targetILNS1_3genE0ELNS1_11target_archE4294967295ELNS1_3gpuE0ELNS1_3repE0EEENS1_30default_config_static_selectorELNS0_4arch9wavefront6targetE1EEEvT1_ ; -- Begin function _ZN7rocprim17ROCPRIM_400000_NS6detail17trampoline_kernelINS0_14default_configENS1_20scan_config_selectorIsEEZZNS1_9scan_implILNS1_25lookback_scan_determinismE0ELb0ELb0ES3_N6thrust23THRUST_200600_302600_NS6detail15normal_iteratorINS9_10device_ptrIsEEEESE_sNS9_4plusIsEEsEEDaPvRmT3_T4_T5_mT6_P12ihipStream_tbENKUlT_T0_E_clISt17integral_constantIbLb1EESU_EEDaSP_SQ_EUlSP_E_NS1_11comp_targetILNS1_3genE0ELNS1_11target_archE4294967295ELNS1_3gpuE0ELNS1_3repE0EEENS1_30default_config_static_selectorELNS0_4arch9wavefront6targetE1EEEvT1_
	.globl	_ZN7rocprim17ROCPRIM_400000_NS6detail17trampoline_kernelINS0_14default_configENS1_20scan_config_selectorIsEEZZNS1_9scan_implILNS1_25lookback_scan_determinismE0ELb0ELb0ES3_N6thrust23THRUST_200600_302600_NS6detail15normal_iteratorINS9_10device_ptrIsEEEESE_sNS9_4plusIsEEsEEDaPvRmT3_T4_T5_mT6_P12ihipStream_tbENKUlT_T0_E_clISt17integral_constantIbLb1EESU_EEDaSP_SQ_EUlSP_E_NS1_11comp_targetILNS1_3genE0ELNS1_11target_archE4294967295ELNS1_3gpuE0ELNS1_3repE0EEENS1_30default_config_static_selectorELNS0_4arch9wavefront6targetE1EEEvT1_
	.p2align	8
	.type	_ZN7rocprim17ROCPRIM_400000_NS6detail17trampoline_kernelINS0_14default_configENS1_20scan_config_selectorIsEEZZNS1_9scan_implILNS1_25lookback_scan_determinismE0ELb0ELb0ES3_N6thrust23THRUST_200600_302600_NS6detail15normal_iteratorINS9_10device_ptrIsEEEESE_sNS9_4plusIsEEsEEDaPvRmT3_T4_T5_mT6_P12ihipStream_tbENKUlT_T0_E_clISt17integral_constantIbLb1EESU_EEDaSP_SQ_EUlSP_E_NS1_11comp_targetILNS1_3genE0ELNS1_11target_archE4294967295ELNS1_3gpuE0ELNS1_3repE0EEENS1_30default_config_static_selectorELNS0_4arch9wavefront6targetE1EEEvT1_,@function
_ZN7rocprim17ROCPRIM_400000_NS6detail17trampoline_kernelINS0_14default_configENS1_20scan_config_selectorIsEEZZNS1_9scan_implILNS1_25lookback_scan_determinismE0ELb0ELb0ES3_N6thrust23THRUST_200600_302600_NS6detail15normal_iteratorINS9_10device_ptrIsEEEESE_sNS9_4plusIsEEsEEDaPvRmT3_T4_T5_mT6_P12ihipStream_tbENKUlT_T0_E_clISt17integral_constantIbLb1EESU_EEDaSP_SQ_EUlSP_E_NS1_11comp_targetILNS1_3genE0ELNS1_11target_archE4294967295ELNS1_3gpuE0ELNS1_3repE0EEENS1_30default_config_static_selectorELNS0_4arch9wavefront6targetE1EEEvT1_: ; @_ZN7rocprim17ROCPRIM_400000_NS6detail17trampoline_kernelINS0_14default_configENS1_20scan_config_selectorIsEEZZNS1_9scan_implILNS1_25lookback_scan_determinismE0ELb0ELb0ES3_N6thrust23THRUST_200600_302600_NS6detail15normal_iteratorINS9_10device_ptrIsEEEESE_sNS9_4plusIsEEsEEDaPvRmT3_T4_T5_mT6_P12ihipStream_tbENKUlT_T0_E_clISt17integral_constantIbLb1EESU_EEDaSP_SQ_EUlSP_E_NS1_11comp_targetILNS1_3genE0ELNS1_11target_archE4294967295ELNS1_3gpuE0ELNS1_3repE0EEENS1_30default_config_static_selectorELNS0_4arch9wavefront6targetE1EEEvT1_
; %bb.0:
	.section	.rodata,"a",@progbits
	.p2align	6, 0x0
	.amdhsa_kernel _ZN7rocprim17ROCPRIM_400000_NS6detail17trampoline_kernelINS0_14default_configENS1_20scan_config_selectorIsEEZZNS1_9scan_implILNS1_25lookback_scan_determinismE0ELb0ELb0ES3_N6thrust23THRUST_200600_302600_NS6detail15normal_iteratorINS9_10device_ptrIsEEEESE_sNS9_4plusIsEEsEEDaPvRmT3_T4_T5_mT6_P12ihipStream_tbENKUlT_T0_E_clISt17integral_constantIbLb1EESU_EEDaSP_SQ_EUlSP_E_NS1_11comp_targetILNS1_3genE0ELNS1_11target_archE4294967295ELNS1_3gpuE0ELNS1_3repE0EEENS1_30default_config_static_selectorELNS0_4arch9wavefront6targetE1EEEvT1_
		.amdhsa_group_segment_fixed_size 0
		.amdhsa_private_segment_fixed_size 0
		.amdhsa_kernarg_size 96
		.amdhsa_user_sgpr_count 6
		.amdhsa_user_sgpr_private_segment_buffer 1
		.amdhsa_user_sgpr_dispatch_ptr 0
		.amdhsa_user_sgpr_queue_ptr 0
		.amdhsa_user_sgpr_kernarg_segment_ptr 1
		.amdhsa_user_sgpr_dispatch_id 0
		.amdhsa_user_sgpr_flat_scratch_init 0
		.amdhsa_user_sgpr_kernarg_preload_length 0
		.amdhsa_user_sgpr_kernarg_preload_offset 0
		.amdhsa_user_sgpr_private_segment_size 0
		.amdhsa_uses_dynamic_stack 0
		.amdhsa_system_sgpr_private_segment_wavefront_offset 0
		.amdhsa_system_sgpr_workgroup_id_x 1
		.amdhsa_system_sgpr_workgroup_id_y 0
		.amdhsa_system_sgpr_workgroup_id_z 0
		.amdhsa_system_sgpr_workgroup_info 0
		.amdhsa_system_vgpr_workitem_id 0
		.amdhsa_next_free_vgpr 1
		.amdhsa_next_free_sgpr 0
		.amdhsa_accum_offset 4
		.amdhsa_reserve_vcc 0
		.amdhsa_reserve_flat_scratch 0
		.amdhsa_float_round_mode_32 0
		.amdhsa_float_round_mode_16_64 0
		.amdhsa_float_denorm_mode_32 3
		.amdhsa_float_denorm_mode_16_64 3
		.amdhsa_dx10_clamp 1
		.amdhsa_ieee_mode 1
		.amdhsa_fp16_overflow 0
		.amdhsa_tg_split 0
		.amdhsa_exception_fp_ieee_invalid_op 0
		.amdhsa_exception_fp_denorm_src 0
		.amdhsa_exception_fp_ieee_div_zero 0
		.amdhsa_exception_fp_ieee_overflow 0
		.amdhsa_exception_fp_ieee_underflow 0
		.amdhsa_exception_fp_ieee_inexact 0
		.amdhsa_exception_int_div_zero 0
	.end_amdhsa_kernel
	.section	.text._ZN7rocprim17ROCPRIM_400000_NS6detail17trampoline_kernelINS0_14default_configENS1_20scan_config_selectorIsEEZZNS1_9scan_implILNS1_25lookback_scan_determinismE0ELb0ELb0ES3_N6thrust23THRUST_200600_302600_NS6detail15normal_iteratorINS9_10device_ptrIsEEEESE_sNS9_4plusIsEEsEEDaPvRmT3_T4_T5_mT6_P12ihipStream_tbENKUlT_T0_E_clISt17integral_constantIbLb1EESU_EEDaSP_SQ_EUlSP_E_NS1_11comp_targetILNS1_3genE0ELNS1_11target_archE4294967295ELNS1_3gpuE0ELNS1_3repE0EEENS1_30default_config_static_selectorELNS0_4arch9wavefront6targetE1EEEvT1_,"axG",@progbits,_ZN7rocprim17ROCPRIM_400000_NS6detail17trampoline_kernelINS0_14default_configENS1_20scan_config_selectorIsEEZZNS1_9scan_implILNS1_25lookback_scan_determinismE0ELb0ELb0ES3_N6thrust23THRUST_200600_302600_NS6detail15normal_iteratorINS9_10device_ptrIsEEEESE_sNS9_4plusIsEEsEEDaPvRmT3_T4_T5_mT6_P12ihipStream_tbENKUlT_T0_E_clISt17integral_constantIbLb1EESU_EEDaSP_SQ_EUlSP_E_NS1_11comp_targetILNS1_3genE0ELNS1_11target_archE4294967295ELNS1_3gpuE0ELNS1_3repE0EEENS1_30default_config_static_selectorELNS0_4arch9wavefront6targetE1EEEvT1_,comdat
.Lfunc_end1069:
	.size	_ZN7rocprim17ROCPRIM_400000_NS6detail17trampoline_kernelINS0_14default_configENS1_20scan_config_selectorIsEEZZNS1_9scan_implILNS1_25lookback_scan_determinismE0ELb0ELb0ES3_N6thrust23THRUST_200600_302600_NS6detail15normal_iteratorINS9_10device_ptrIsEEEESE_sNS9_4plusIsEEsEEDaPvRmT3_T4_T5_mT6_P12ihipStream_tbENKUlT_T0_E_clISt17integral_constantIbLb1EESU_EEDaSP_SQ_EUlSP_E_NS1_11comp_targetILNS1_3genE0ELNS1_11target_archE4294967295ELNS1_3gpuE0ELNS1_3repE0EEENS1_30default_config_static_selectorELNS0_4arch9wavefront6targetE1EEEvT1_, .Lfunc_end1069-_ZN7rocprim17ROCPRIM_400000_NS6detail17trampoline_kernelINS0_14default_configENS1_20scan_config_selectorIsEEZZNS1_9scan_implILNS1_25lookback_scan_determinismE0ELb0ELb0ES3_N6thrust23THRUST_200600_302600_NS6detail15normal_iteratorINS9_10device_ptrIsEEEESE_sNS9_4plusIsEEsEEDaPvRmT3_T4_T5_mT6_P12ihipStream_tbENKUlT_T0_E_clISt17integral_constantIbLb1EESU_EEDaSP_SQ_EUlSP_E_NS1_11comp_targetILNS1_3genE0ELNS1_11target_archE4294967295ELNS1_3gpuE0ELNS1_3repE0EEENS1_30default_config_static_selectorELNS0_4arch9wavefront6targetE1EEEvT1_
                                        ; -- End function
	.section	.AMDGPU.csdata,"",@progbits
; Kernel info:
; codeLenInByte = 0
; NumSgprs: 4
; NumVgprs: 0
; NumAgprs: 0
; TotalNumVgprs: 0
; ScratchSize: 0
; MemoryBound: 0
; FloatMode: 240
; IeeeMode: 1
; LDSByteSize: 0 bytes/workgroup (compile time only)
; SGPRBlocks: 0
; VGPRBlocks: 0
; NumSGPRsForWavesPerEU: 4
; NumVGPRsForWavesPerEU: 1
; AccumOffset: 4
; Occupancy: 8
; WaveLimiterHint : 0
; COMPUTE_PGM_RSRC2:SCRATCH_EN: 0
; COMPUTE_PGM_RSRC2:USER_SGPR: 6
; COMPUTE_PGM_RSRC2:TRAP_HANDLER: 0
; COMPUTE_PGM_RSRC2:TGID_X_EN: 1
; COMPUTE_PGM_RSRC2:TGID_Y_EN: 0
; COMPUTE_PGM_RSRC2:TGID_Z_EN: 0
; COMPUTE_PGM_RSRC2:TIDIG_COMP_CNT: 0
; COMPUTE_PGM_RSRC3_GFX90A:ACCUM_OFFSET: 0
; COMPUTE_PGM_RSRC3_GFX90A:TG_SPLIT: 0
	.section	.text._ZN7rocprim17ROCPRIM_400000_NS6detail17trampoline_kernelINS0_14default_configENS1_20scan_config_selectorIsEEZZNS1_9scan_implILNS1_25lookback_scan_determinismE0ELb0ELb0ES3_N6thrust23THRUST_200600_302600_NS6detail15normal_iteratorINS9_10device_ptrIsEEEESE_sNS9_4plusIsEEsEEDaPvRmT3_T4_T5_mT6_P12ihipStream_tbENKUlT_T0_E_clISt17integral_constantIbLb1EESU_EEDaSP_SQ_EUlSP_E_NS1_11comp_targetILNS1_3genE5ELNS1_11target_archE942ELNS1_3gpuE9ELNS1_3repE0EEENS1_30default_config_static_selectorELNS0_4arch9wavefront6targetE1EEEvT1_,"axG",@progbits,_ZN7rocprim17ROCPRIM_400000_NS6detail17trampoline_kernelINS0_14default_configENS1_20scan_config_selectorIsEEZZNS1_9scan_implILNS1_25lookback_scan_determinismE0ELb0ELb0ES3_N6thrust23THRUST_200600_302600_NS6detail15normal_iteratorINS9_10device_ptrIsEEEESE_sNS9_4plusIsEEsEEDaPvRmT3_T4_T5_mT6_P12ihipStream_tbENKUlT_T0_E_clISt17integral_constantIbLb1EESU_EEDaSP_SQ_EUlSP_E_NS1_11comp_targetILNS1_3genE5ELNS1_11target_archE942ELNS1_3gpuE9ELNS1_3repE0EEENS1_30default_config_static_selectorELNS0_4arch9wavefront6targetE1EEEvT1_,comdat
	.protected	_ZN7rocprim17ROCPRIM_400000_NS6detail17trampoline_kernelINS0_14default_configENS1_20scan_config_selectorIsEEZZNS1_9scan_implILNS1_25lookback_scan_determinismE0ELb0ELb0ES3_N6thrust23THRUST_200600_302600_NS6detail15normal_iteratorINS9_10device_ptrIsEEEESE_sNS9_4plusIsEEsEEDaPvRmT3_T4_T5_mT6_P12ihipStream_tbENKUlT_T0_E_clISt17integral_constantIbLb1EESU_EEDaSP_SQ_EUlSP_E_NS1_11comp_targetILNS1_3genE5ELNS1_11target_archE942ELNS1_3gpuE9ELNS1_3repE0EEENS1_30default_config_static_selectorELNS0_4arch9wavefront6targetE1EEEvT1_ ; -- Begin function _ZN7rocprim17ROCPRIM_400000_NS6detail17trampoline_kernelINS0_14default_configENS1_20scan_config_selectorIsEEZZNS1_9scan_implILNS1_25lookback_scan_determinismE0ELb0ELb0ES3_N6thrust23THRUST_200600_302600_NS6detail15normal_iteratorINS9_10device_ptrIsEEEESE_sNS9_4plusIsEEsEEDaPvRmT3_T4_T5_mT6_P12ihipStream_tbENKUlT_T0_E_clISt17integral_constantIbLb1EESU_EEDaSP_SQ_EUlSP_E_NS1_11comp_targetILNS1_3genE5ELNS1_11target_archE942ELNS1_3gpuE9ELNS1_3repE0EEENS1_30default_config_static_selectorELNS0_4arch9wavefront6targetE1EEEvT1_
	.globl	_ZN7rocprim17ROCPRIM_400000_NS6detail17trampoline_kernelINS0_14default_configENS1_20scan_config_selectorIsEEZZNS1_9scan_implILNS1_25lookback_scan_determinismE0ELb0ELb0ES3_N6thrust23THRUST_200600_302600_NS6detail15normal_iteratorINS9_10device_ptrIsEEEESE_sNS9_4plusIsEEsEEDaPvRmT3_T4_T5_mT6_P12ihipStream_tbENKUlT_T0_E_clISt17integral_constantIbLb1EESU_EEDaSP_SQ_EUlSP_E_NS1_11comp_targetILNS1_3genE5ELNS1_11target_archE942ELNS1_3gpuE9ELNS1_3repE0EEENS1_30default_config_static_selectorELNS0_4arch9wavefront6targetE1EEEvT1_
	.p2align	8
	.type	_ZN7rocprim17ROCPRIM_400000_NS6detail17trampoline_kernelINS0_14default_configENS1_20scan_config_selectorIsEEZZNS1_9scan_implILNS1_25lookback_scan_determinismE0ELb0ELb0ES3_N6thrust23THRUST_200600_302600_NS6detail15normal_iteratorINS9_10device_ptrIsEEEESE_sNS9_4plusIsEEsEEDaPvRmT3_T4_T5_mT6_P12ihipStream_tbENKUlT_T0_E_clISt17integral_constantIbLb1EESU_EEDaSP_SQ_EUlSP_E_NS1_11comp_targetILNS1_3genE5ELNS1_11target_archE942ELNS1_3gpuE9ELNS1_3repE0EEENS1_30default_config_static_selectorELNS0_4arch9wavefront6targetE1EEEvT1_,@function
_ZN7rocprim17ROCPRIM_400000_NS6detail17trampoline_kernelINS0_14default_configENS1_20scan_config_selectorIsEEZZNS1_9scan_implILNS1_25lookback_scan_determinismE0ELb0ELb0ES3_N6thrust23THRUST_200600_302600_NS6detail15normal_iteratorINS9_10device_ptrIsEEEESE_sNS9_4plusIsEEsEEDaPvRmT3_T4_T5_mT6_P12ihipStream_tbENKUlT_T0_E_clISt17integral_constantIbLb1EESU_EEDaSP_SQ_EUlSP_E_NS1_11comp_targetILNS1_3genE5ELNS1_11target_archE942ELNS1_3gpuE9ELNS1_3repE0EEENS1_30default_config_static_selectorELNS0_4arch9wavefront6targetE1EEEvT1_: ; @_ZN7rocprim17ROCPRIM_400000_NS6detail17trampoline_kernelINS0_14default_configENS1_20scan_config_selectorIsEEZZNS1_9scan_implILNS1_25lookback_scan_determinismE0ELb0ELb0ES3_N6thrust23THRUST_200600_302600_NS6detail15normal_iteratorINS9_10device_ptrIsEEEESE_sNS9_4plusIsEEsEEDaPvRmT3_T4_T5_mT6_P12ihipStream_tbENKUlT_T0_E_clISt17integral_constantIbLb1EESU_EEDaSP_SQ_EUlSP_E_NS1_11comp_targetILNS1_3genE5ELNS1_11target_archE942ELNS1_3gpuE9ELNS1_3repE0EEENS1_30default_config_static_selectorELNS0_4arch9wavefront6targetE1EEEvT1_
; %bb.0:
	.section	.rodata,"a",@progbits
	.p2align	6, 0x0
	.amdhsa_kernel _ZN7rocprim17ROCPRIM_400000_NS6detail17trampoline_kernelINS0_14default_configENS1_20scan_config_selectorIsEEZZNS1_9scan_implILNS1_25lookback_scan_determinismE0ELb0ELb0ES3_N6thrust23THRUST_200600_302600_NS6detail15normal_iteratorINS9_10device_ptrIsEEEESE_sNS9_4plusIsEEsEEDaPvRmT3_T4_T5_mT6_P12ihipStream_tbENKUlT_T0_E_clISt17integral_constantIbLb1EESU_EEDaSP_SQ_EUlSP_E_NS1_11comp_targetILNS1_3genE5ELNS1_11target_archE942ELNS1_3gpuE9ELNS1_3repE0EEENS1_30default_config_static_selectorELNS0_4arch9wavefront6targetE1EEEvT1_
		.amdhsa_group_segment_fixed_size 0
		.amdhsa_private_segment_fixed_size 0
		.amdhsa_kernarg_size 96
		.amdhsa_user_sgpr_count 6
		.amdhsa_user_sgpr_private_segment_buffer 1
		.amdhsa_user_sgpr_dispatch_ptr 0
		.amdhsa_user_sgpr_queue_ptr 0
		.amdhsa_user_sgpr_kernarg_segment_ptr 1
		.amdhsa_user_sgpr_dispatch_id 0
		.amdhsa_user_sgpr_flat_scratch_init 0
		.amdhsa_user_sgpr_kernarg_preload_length 0
		.amdhsa_user_sgpr_kernarg_preload_offset 0
		.amdhsa_user_sgpr_private_segment_size 0
		.amdhsa_uses_dynamic_stack 0
		.amdhsa_system_sgpr_private_segment_wavefront_offset 0
		.amdhsa_system_sgpr_workgroup_id_x 1
		.amdhsa_system_sgpr_workgroup_id_y 0
		.amdhsa_system_sgpr_workgroup_id_z 0
		.amdhsa_system_sgpr_workgroup_info 0
		.amdhsa_system_vgpr_workitem_id 0
		.amdhsa_next_free_vgpr 1
		.amdhsa_next_free_sgpr 0
		.amdhsa_accum_offset 4
		.amdhsa_reserve_vcc 0
		.amdhsa_reserve_flat_scratch 0
		.amdhsa_float_round_mode_32 0
		.amdhsa_float_round_mode_16_64 0
		.amdhsa_float_denorm_mode_32 3
		.amdhsa_float_denorm_mode_16_64 3
		.amdhsa_dx10_clamp 1
		.amdhsa_ieee_mode 1
		.amdhsa_fp16_overflow 0
		.amdhsa_tg_split 0
		.amdhsa_exception_fp_ieee_invalid_op 0
		.amdhsa_exception_fp_denorm_src 0
		.amdhsa_exception_fp_ieee_div_zero 0
		.amdhsa_exception_fp_ieee_overflow 0
		.amdhsa_exception_fp_ieee_underflow 0
		.amdhsa_exception_fp_ieee_inexact 0
		.amdhsa_exception_int_div_zero 0
	.end_amdhsa_kernel
	.section	.text._ZN7rocprim17ROCPRIM_400000_NS6detail17trampoline_kernelINS0_14default_configENS1_20scan_config_selectorIsEEZZNS1_9scan_implILNS1_25lookback_scan_determinismE0ELb0ELb0ES3_N6thrust23THRUST_200600_302600_NS6detail15normal_iteratorINS9_10device_ptrIsEEEESE_sNS9_4plusIsEEsEEDaPvRmT3_T4_T5_mT6_P12ihipStream_tbENKUlT_T0_E_clISt17integral_constantIbLb1EESU_EEDaSP_SQ_EUlSP_E_NS1_11comp_targetILNS1_3genE5ELNS1_11target_archE942ELNS1_3gpuE9ELNS1_3repE0EEENS1_30default_config_static_selectorELNS0_4arch9wavefront6targetE1EEEvT1_,"axG",@progbits,_ZN7rocprim17ROCPRIM_400000_NS6detail17trampoline_kernelINS0_14default_configENS1_20scan_config_selectorIsEEZZNS1_9scan_implILNS1_25lookback_scan_determinismE0ELb0ELb0ES3_N6thrust23THRUST_200600_302600_NS6detail15normal_iteratorINS9_10device_ptrIsEEEESE_sNS9_4plusIsEEsEEDaPvRmT3_T4_T5_mT6_P12ihipStream_tbENKUlT_T0_E_clISt17integral_constantIbLb1EESU_EEDaSP_SQ_EUlSP_E_NS1_11comp_targetILNS1_3genE5ELNS1_11target_archE942ELNS1_3gpuE9ELNS1_3repE0EEENS1_30default_config_static_selectorELNS0_4arch9wavefront6targetE1EEEvT1_,comdat
.Lfunc_end1070:
	.size	_ZN7rocprim17ROCPRIM_400000_NS6detail17trampoline_kernelINS0_14default_configENS1_20scan_config_selectorIsEEZZNS1_9scan_implILNS1_25lookback_scan_determinismE0ELb0ELb0ES3_N6thrust23THRUST_200600_302600_NS6detail15normal_iteratorINS9_10device_ptrIsEEEESE_sNS9_4plusIsEEsEEDaPvRmT3_T4_T5_mT6_P12ihipStream_tbENKUlT_T0_E_clISt17integral_constantIbLb1EESU_EEDaSP_SQ_EUlSP_E_NS1_11comp_targetILNS1_3genE5ELNS1_11target_archE942ELNS1_3gpuE9ELNS1_3repE0EEENS1_30default_config_static_selectorELNS0_4arch9wavefront6targetE1EEEvT1_, .Lfunc_end1070-_ZN7rocprim17ROCPRIM_400000_NS6detail17trampoline_kernelINS0_14default_configENS1_20scan_config_selectorIsEEZZNS1_9scan_implILNS1_25lookback_scan_determinismE0ELb0ELb0ES3_N6thrust23THRUST_200600_302600_NS6detail15normal_iteratorINS9_10device_ptrIsEEEESE_sNS9_4plusIsEEsEEDaPvRmT3_T4_T5_mT6_P12ihipStream_tbENKUlT_T0_E_clISt17integral_constantIbLb1EESU_EEDaSP_SQ_EUlSP_E_NS1_11comp_targetILNS1_3genE5ELNS1_11target_archE942ELNS1_3gpuE9ELNS1_3repE0EEENS1_30default_config_static_selectorELNS0_4arch9wavefront6targetE1EEEvT1_
                                        ; -- End function
	.section	.AMDGPU.csdata,"",@progbits
; Kernel info:
; codeLenInByte = 0
; NumSgprs: 4
; NumVgprs: 0
; NumAgprs: 0
; TotalNumVgprs: 0
; ScratchSize: 0
; MemoryBound: 0
; FloatMode: 240
; IeeeMode: 1
; LDSByteSize: 0 bytes/workgroup (compile time only)
; SGPRBlocks: 0
; VGPRBlocks: 0
; NumSGPRsForWavesPerEU: 4
; NumVGPRsForWavesPerEU: 1
; AccumOffset: 4
; Occupancy: 8
; WaveLimiterHint : 0
; COMPUTE_PGM_RSRC2:SCRATCH_EN: 0
; COMPUTE_PGM_RSRC2:USER_SGPR: 6
; COMPUTE_PGM_RSRC2:TRAP_HANDLER: 0
; COMPUTE_PGM_RSRC2:TGID_X_EN: 1
; COMPUTE_PGM_RSRC2:TGID_Y_EN: 0
; COMPUTE_PGM_RSRC2:TGID_Z_EN: 0
; COMPUTE_PGM_RSRC2:TIDIG_COMP_CNT: 0
; COMPUTE_PGM_RSRC3_GFX90A:ACCUM_OFFSET: 0
; COMPUTE_PGM_RSRC3_GFX90A:TG_SPLIT: 0
	.section	.text._ZN7rocprim17ROCPRIM_400000_NS6detail17trampoline_kernelINS0_14default_configENS1_20scan_config_selectorIsEEZZNS1_9scan_implILNS1_25lookback_scan_determinismE0ELb0ELb0ES3_N6thrust23THRUST_200600_302600_NS6detail15normal_iteratorINS9_10device_ptrIsEEEESE_sNS9_4plusIsEEsEEDaPvRmT3_T4_T5_mT6_P12ihipStream_tbENKUlT_T0_E_clISt17integral_constantIbLb1EESU_EEDaSP_SQ_EUlSP_E_NS1_11comp_targetILNS1_3genE4ELNS1_11target_archE910ELNS1_3gpuE8ELNS1_3repE0EEENS1_30default_config_static_selectorELNS0_4arch9wavefront6targetE1EEEvT1_,"axG",@progbits,_ZN7rocprim17ROCPRIM_400000_NS6detail17trampoline_kernelINS0_14default_configENS1_20scan_config_selectorIsEEZZNS1_9scan_implILNS1_25lookback_scan_determinismE0ELb0ELb0ES3_N6thrust23THRUST_200600_302600_NS6detail15normal_iteratorINS9_10device_ptrIsEEEESE_sNS9_4plusIsEEsEEDaPvRmT3_T4_T5_mT6_P12ihipStream_tbENKUlT_T0_E_clISt17integral_constantIbLb1EESU_EEDaSP_SQ_EUlSP_E_NS1_11comp_targetILNS1_3genE4ELNS1_11target_archE910ELNS1_3gpuE8ELNS1_3repE0EEENS1_30default_config_static_selectorELNS0_4arch9wavefront6targetE1EEEvT1_,comdat
	.protected	_ZN7rocprim17ROCPRIM_400000_NS6detail17trampoline_kernelINS0_14default_configENS1_20scan_config_selectorIsEEZZNS1_9scan_implILNS1_25lookback_scan_determinismE0ELb0ELb0ES3_N6thrust23THRUST_200600_302600_NS6detail15normal_iteratorINS9_10device_ptrIsEEEESE_sNS9_4plusIsEEsEEDaPvRmT3_T4_T5_mT6_P12ihipStream_tbENKUlT_T0_E_clISt17integral_constantIbLb1EESU_EEDaSP_SQ_EUlSP_E_NS1_11comp_targetILNS1_3genE4ELNS1_11target_archE910ELNS1_3gpuE8ELNS1_3repE0EEENS1_30default_config_static_selectorELNS0_4arch9wavefront6targetE1EEEvT1_ ; -- Begin function _ZN7rocprim17ROCPRIM_400000_NS6detail17trampoline_kernelINS0_14default_configENS1_20scan_config_selectorIsEEZZNS1_9scan_implILNS1_25lookback_scan_determinismE0ELb0ELb0ES3_N6thrust23THRUST_200600_302600_NS6detail15normal_iteratorINS9_10device_ptrIsEEEESE_sNS9_4plusIsEEsEEDaPvRmT3_T4_T5_mT6_P12ihipStream_tbENKUlT_T0_E_clISt17integral_constantIbLb1EESU_EEDaSP_SQ_EUlSP_E_NS1_11comp_targetILNS1_3genE4ELNS1_11target_archE910ELNS1_3gpuE8ELNS1_3repE0EEENS1_30default_config_static_selectorELNS0_4arch9wavefront6targetE1EEEvT1_
	.globl	_ZN7rocprim17ROCPRIM_400000_NS6detail17trampoline_kernelINS0_14default_configENS1_20scan_config_selectorIsEEZZNS1_9scan_implILNS1_25lookback_scan_determinismE0ELb0ELb0ES3_N6thrust23THRUST_200600_302600_NS6detail15normal_iteratorINS9_10device_ptrIsEEEESE_sNS9_4plusIsEEsEEDaPvRmT3_T4_T5_mT6_P12ihipStream_tbENKUlT_T0_E_clISt17integral_constantIbLb1EESU_EEDaSP_SQ_EUlSP_E_NS1_11comp_targetILNS1_3genE4ELNS1_11target_archE910ELNS1_3gpuE8ELNS1_3repE0EEENS1_30default_config_static_selectorELNS0_4arch9wavefront6targetE1EEEvT1_
	.p2align	8
	.type	_ZN7rocprim17ROCPRIM_400000_NS6detail17trampoline_kernelINS0_14default_configENS1_20scan_config_selectorIsEEZZNS1_9scan_implILNS1_25lookback_scan_determinismE0ELb0ELb0ES3_N6thrust23THRUST_200600_302600_NS6detail15normal_iteratorINS9_10device_ptrIsEEEESE_sNS9_4plusIsEEsEEDaPvRmT3_T4_T5_mT6_P12ihipStream_tbENKUlT_T0_E_clISt17integral_constantIbLb1EESU_EEDaSP_SQ_EUlSP_E_NS1_11comp_targetILNS1_3genE4ELNS1_11target_archE910ELNS1_3gpuE8ELNS1_3repE0EEENS1_30default_config_static_selectorELNS0_4arch9wavefront6targetE1EEEvT1_,@function
_ZN7rocprim17ROCPRIM_400000_NS6detail17trampoline_kernelINS0_14default_configENS1_20scan_config_selectorIsEEZZNS1_9scan_implILNS1_25lookback_scan_determinismE0ELb0ELb0ES3_N6thrust23THRUST_200600_302600_NS6detail15normal_iteratorINS9_10device_ptrIsEEEESE_sNS9_4plusIsEEsEEDaPvRmT3_T4_T5_mT6_P12ihipStream_tbENKUlT_T0_E_clISt17integral_constantIbLb1EESU_EEDaSP_SQ_EUlSP_E_NS1_11comp_targetILNS1_3genE4ELNS1_11target_archE910ELNS1_3gpuE8ELNS1_3repE0EEENS1_30default_config_static_selectorELNS0_4arch9wavefront6targetE1EEEvT1_: ; @_ZN7rocprim17ROCPRIM_400000_NS6detail17trampoline_kernelINS0_14default_configENS1_20scan_config_selectorIsEEZZNS1_9scan_implILNS1_25lookback_scan_determinismE0ELb0ELb0ES3_N6thrust23THRUST_200600_302600_NS6detail15normal_iteratorINS9_10device_ptrIsEEEESE_sNS9_4plusIsEEsEEDaPvRmT3_T4_T5_mT6_P12ihipStream_tbENKUlT_T0_E_clISt17integral_constantIbLb1EESU_EEDaSP_SQ_EUlSP_E_NS1_11comp_targetILNS1_3genE4ELNS1_11target_archE910ELNS1_3gpuE8ELNS1_3repE0EEENS1_30default_config_static_selectorELNS0_4arch9wavefront6targetE1EEEvT1_
; %bb.0:
	s_load_dwordx2 s[28:29], s[4:5], 0x28
	v_cmp_ne_u32_e64 s[0:1], 0, v0
	v_cmp_eq_u32_e64 s[2:3], 0, v0
	s_and_saveexec_b64 s[6:7], s[2:3]
	s_cbranch_execz .LBB1071_4
; %bb.1:
	s_mov_b64 s[10:11], exec
	v_mbcnt_lo_u32_b32 v1, s10, 0
	v_mbcnt_hi_u32_b32 v1, s11, v1
	v_cmp_eq_u32_e32 vcc, 0, v1
                                        ; implicit-def: $vgpr2
	s_and_saveexec_b64 s[8:9], vcc
	s_cbranch_execz .LBB1071_3
; %bb.2:
	s_load_dwordx2 s[12:13], s[4:5], 0x58
	s_bcnt1_i32_b64 s10, s[10:11]
	v_mov_b32_e32 v2, 0
	v_mov_b32_e32 v3, s10
	s_waitcnt lgkmcnt(0)
	global_atomic_add v2, v2, v3, s[12:13] glc
.LBB1071_3:
	s_or_b64 exec, exec, s[8:9]
	s_waitcnt vmcnt(0)
	v_readfirstlane_b32 s8, v2
	v_add_u32_e32 v1, s8, v1
	v_mov_b32_e32 v2, 0
	ds_write_b32 v2, v1
.LBB1071_4:
	s_or_b64 exec, exec, s[6:7]
	s_load_dwordx8 s[20:27], s[4:5], 0x0
	s_load_dword s6, s[4:5], 0x30
	s_load_dwordx8 s[12:19], s[4:5], 0x38
	v_mov_b32_e32 v1, 0
	s_waitcnt lgkmcnt(0)
	; wave barrier
	s_waitcnt lgkmcnt(0)
	ds_read_b32 v1, v1
	s_lshl_b64 s[10:11], s[22:23], 1
	s_add_u32 s7, s20, s10
	s_addc_u32 s8, s21, s11
	s_add_i32 s6, s6, -1
	s_mul_i32 s9, s6, 0x600
	s_sub_u32 s30, s26, s9
	s_waitcnt lgkmcnt(0)
	v_readfirstlane_b32 s33, v1
	s_subb_u32 s31, s27, 0
	s_mul_i32 s4, s33, 0x600
	s_mov_b32 s5, 0
	s_cmp_lg_u32 s33, s6
	s_cselect_b64 s[20:21], -1, 0
	s_lshl_b64 s[22:23], s[4:5], 1
	s_add_u32 s6, s7, s22
	s_addc_u32 s7, s8, s23
	s_mov_b64 s[4:5], -1
	s_and_b64 vcc, exec, s[20:21]
	v_lshlrev_b32_e32 v20, 1, v0
	s_waitcnt lgkmcnt(0)
	; wave barrier
	s_cbranch_vccz .LBB1071_6
; %bb.5:
	v_mov_b32_e32 v1, s7
	v_add_co_u32_e32 v2, vcc, s6, v20
	v_addc_co_u32_e32 v3, vcc, 0, v1, vcc
	flat_load_ushort v1, v[2:3]
	flat_load_ushort v4, v[2:3] offset:128
	flat_load_ushort v5, v[2:3] offset:256
	;; [unrolled: 1-line block ×23, first 2 shown]
	s_mov_b64 s[4:5], 0
	s_waitcnt vmcnt(0) lgkmcnt(0)
	ds_write_b16 v20, v1
	ds_write_b16 v20, v4 offset:128
	ds_write_b16 v20, v5 offset:256
	;; [unrolled: 1-line block ×23, first 2 shown]
	s_waitcnt lgkmcnt(0)
	; wave barrier
.LBB1071_6:
	s_andn2_b64 vcc, exec, s[4:5]
	v_cmp_gt_u32_e64 s[4:5], s30, v0
	s_cbranch_vccnz .LBB1071_56
; %bb.7:
	v_pk_mov_b32 v[2:3], s[6:7], s[6:7] op_sel:[0,1]
	flat_load_ushort v1, v[2:3]
	s_waitcnt vmcnt(0) lgkmcnt(0)
	v_mov_b32_e32 v2, v1
	s_and_saveexec_b64 s[8:9], s[4:5]
	s_cbranch_execz .LBB1071_9
; %bb.8:
	v_mov_b32_e32 v3, s7
	v_add_co_u32_e32 v2, vcc, s6, v20
	v_addc_co_u32_e32 v3, vcc, 0, v3, vcc
	flat_load_ushort v2, v[2:3]
.LBB1071_9:
	s_or_b64 exec, exec, s[8:9]
	v_or_b32_e32 v3, 64, v0
	v_cmp_gt_u32_e32 vcc, s30, v3
	v_mov_b32_e32 v3, v1
	s_and_saveexec_b64 s[4:5], vcc
	s_cbranch_execz .LBB1071_11
; %bb.10:
	v_mov_b32_e32 v3, s7
	v_add_co_u32_e32 v4, vcc, s6, v20
	v_addc_co_u32_e32 v5, vcc, 0, v3, vcc
	flat_load_ushort v3, v[4:5] offset:128
.LBB1071_11:
	s_or_b64 exec, exec, s[4:5]
	v_or_b32_e32 v4, 0x80, v0
	v_cmp_gt_u32_e32 vcc, s30, v4
	v_mov_b32_e32 v4, v1
	s_and_saveexec_b64 s[4:5], vcc
	s_cbranch_execz .LBB1071_13
; %bb.12:
	v_mov_b32_e32 v5, s7
	v_add_co_u32_e32 v4, vcc, s6, v20
	v_addc_co_u32_e32 v5, vcc, 0, v5, vcc
	flat_load_ushort v4, v[4:5] offset:256
.LBB1071_13:
	;; [unrolled: 12-line block ×22, first 2 shown]
	s_or_b64 exec, exec, s[4:5]
	v_or_b32_e32 v26, 0x5c0, v0
	v_cmp_gt_u32_e32 vcc, s30, v26
	s_and_saveexec_b64 s[4:5], vcc
	s_cbranch_execz .LBB1071_55
; %bb.54:
	v_mov_b32_e32 v1, s7
	v_add_co_u32_e32 v26, vcc, s6, v20
	v_addc_co_u32_e32 v27, vcc, 0, v1, vcc
	flat_load_ushort v1, v[26:27] offset:2944
.LBB1071_55:
	s_or_b64 exec, exec, s[4:5]
	s_waitcnt vmcnt(0) lgkmcnt(0)
	ds_write_b16 v20, v2
	ds_write_b16 v20, v3 offset:128
	ds_write_b16 v20, v4 offset:256
	;; [unrolled: 1-line block ×23, first 2 shown]
	s_waitcnt lgkmcnt(0)
	; wave barrier
.LBB1071_56:
	v_mul_u32_u24_e32 v21, 24, v0
	v_lshlrev_b32_e32 v1, 1, v21
	s_waitcnt lgkmcnt(0)
	ds_read_b128 v[10:13], v1
	ds_read_b128 v[6:9], v1 offset:16
	ds_read_b128 v[2:5], v1 offset:32
	s_cmp_lg_u32 s33, 0
	v_mbcnt_lo_u32_b32 v22, -1, 0
	v_cmp_eq_u32_e32 vcc, 63, v0
	s_waitcnt lgkmcnt(0)
	; wave barrier
	s_waitcnt lgkmcnt(0)
	s_cbranch_scc0 .LBB1071_83
; %bb.57:
	v_add_u16_sdwa v14, v10, v10 dst_sel:DWORD dst_unused:UNUSED_PAD src0_sel:WORD_1 src1_sel:DWORD
	v_add_u16_e32 v14, v14, v11
	v_add_u16_sdwa v14, v14, v11 dst_sel:DWORD dst_unused:UNUSED_PAD src0_sel:DWORD src1_sel:WORD_1
	v_add_u16_e32 v14, v14, v12
	v_add_u16_sdwa v14, v14, v12 dst_sel:DWORD dst_unused:UNUSED_PAD src0_sel:DWORD src1_sel:WORD_1
	;; [unrolled: 2-line block ×10, first 2 shown]
	v_add_u16_e32 v14, v14, v5
	v_mbcnt_hi_u32_b32 v15, -1, v22
	v_add_u16_sdwa v14, v14, v5 dst_sel:DWORD dst_unused:UNUSED_PAD src0_sel:DWORD src1_sel:WORD_1
	v_and_b32_e32 v16, 15, v15
	v_cmp_ne_u32_e64 s[4:5], 0, v16
	v_mov_b32_dpp v17, v14 row_shr:1 row_mask:0xf bank_mask:0xf
	v_cndmask_b32_e64 v17, 0, v17, s[4:5]
	v_add_u16_e32 v14, v17, v14
	v_cmp_lt_u32_e64 s[4:5], 1, v16
	s_nop 0
	v_mov_b32_dpp v17, v14 row_shr:2 row_mask:0xf bank_mask:0xf
	v_cndmask_b32_e64 v17, 0, v17, s[4:5]
	v_add_u16_e32 v14, v14, v17
	v_cmp_lt_u32_e64 s[4:5], 3, v16
	s_nop 0
	;; [unrolled: 5-line block ×3, first 2 shown]
	v_mov_b32_dpp v17, v14 row_shr:8 row_mask:0xf bank_mask:0xf
	v_cndmask_b32_e64 v16, 0, v17, s[4:5]
	v_add_u16_e32 v14, v14, v16
	v_and_b32_e32 v17, 16, v15
	v_cmp_ne_u32_e64 s[4:5], 0, v17
	v_mov_b32_dpp v16, v14 row_bcast:15 row_mask:0xf bank_mask:0xf
	v_cndmask_b32_e64 v16, 0, v16, s[4:5]
	v_add_u16_e32 v14, v14, v16
	v_cmp_lt_u32_e64 s[4:5], 31, v15
	s_nop 0
	v_mov_b32_dpp v16, v14 row_bcast:31 row_mask:0xf bank_mask:0xf
	v_cndmask_b32_e64 v16, 0, v16, s[4:5]
	v_add_u16_e32 v14, v14, v16
	s_and_saveexec_b64 s[4:5], vcc
	s_cbranch_execz .LBB1071_59
; %bb.58:
	v_mov_b32_e32 v16, 0
	ds_write_b16 v16, v14
.LBB1071_59:
	s_or_b64 exec, exec, s[4:5]
	v_add_u32_e32 v16, -1, v15
	v_and_b32_e32 v17, 64, v15
	v_cmp_lt_i32_e32 vcc, v16, v17
	v_cndmask_b32_e32 v16, v16, v15, vcc
	v_lshlrev_b32_e32 v16, 2, v16
	ds_bpermute_b32 v23, v16, v14
	v_cmp_gt_u32_e32 vcc, 64, v0
	s_waitcnt lgkmcnt(0)
	; wave barrier
	s_waitcnt lgkmcnt(0)
	s_and_saveexec_b64 s[26:27], vcc
	s_cbranch_execz .LBB1071_82
; %bb.60:
	v_mov_b32_e32 v19, 0
	ds_read_u16 v24, v19
	s_mov_b32 s9, 0
	v_cmp_eq_u32_e64 s[4:5], 0, v15
	s_and_saveexec_b64 s[6:7], s[4:5]
	s_cbranch_execz .LBB1071_62
; %bb.61:
	s_add_i32 s8, s33, 64
	s_lshl_b64 s[8:9], s[8:9], 2
	s_add_u32 s8, s28, s8
	s_waitcnt lgkmcnt(0)
	v_or_b32_e32 v14, 0x10000, v24
	s_addc_u32 s9, s29, s9
	global_store_dword v19, v14, s[8:9]
.LBB1071_62:
	s_or_b64 exec, exec, s[6:7]
	v_xad_u32 v14, v15, -1, s33
	v_add_u32_e32 v18, 64, v14
	v_lshlrev_b64 v[16:17], 2, v[18:19]
	v_mov_b32_e32 v18, s29
	v_add_co_u32_e32 v16, vcc, s28, v16
	v_addc_co_u32_e32 v17, vcc, v18, v17, vcc
	global_load_dword v18, v[16:17], off glc
	s_waitcnt vmcnt(0)
	v_lshrrev_b32_e32 v28, 16, v18
	v_cmp_eq_u16_sdwa s[8:9], v28, v19 src0_sel:BYTE_0 src1_sel:DWORD
	s_and_saveexec_b64 s[6:7], s[8:9]
	s_cbranch_execz .LBB1071_68
; %bb.63:
	s_mov_b32 s34, 1
	s_mov_b64 s[8:9], 0
	v_mov_b32_e32 v19, 0
.LBB1071_64:                            ; =>This Loop Header: Depth=1
                                        ;     Child Loop BB1071_65 Depth 2
	s_max_u32 s35, s34, 1
.LBB1071_65:                            ;   Parent Loop BB1071_64 Depth=1
                                        ; =>  This Inner Loop Header: Depth=2
	s_add_i32 s35, s35, -1
	s_cmp_eq_u32 s35, 0
	s_sleep 1
	s_cbranch_scc0 .LBB1071_65
; %bb.66:                               ;   in Loop: Header=BB1071_64 Depth=1
	global_load_dword v18, v[16:17], off glc
	s_cmp_lt_u32 s34, 32
	s_cselect_b64 s[36:37], -1, 0
	s_cmp_lg_u64 s[36:37], 0
	s_addc_u32 s34, s34, 0
	s_waitcnt vmcnt(0)
	v_lshrrev_b32_e32 v28, 16, v18
	v_cmp_ne_u16_sdwa s[36:37], v28, v19 src0_sel:BYTE_0 src1_sel:DWORD
	s_or_b64 s[8:9], s[36:37], s[8:9]
	s_andn2_b64 exec, exec, s[8:9]
	s_cbranch_execnz .LBB1071_64
; %bb.67:
	s_or_b64 exec, exec, s[8:9]
.LBB1071_68:
	s_or_b64 exec, exec, s[6:7]
	v_and_b32_e32 v26, 63, v15
	v_cmp_ne_u32_e32 vcc, 63, v26
	v_mov_b32_e32 v25, 2
	v_addc_co_u32_e32 v27, vcc, 0, v15, vcc
	v_cmp_eq_u16_sdwa s[6:7], v28, v25 src0_sel:BYTE_0 src1_sel:DWORD
	v_lshlrev_b64 v[16:17], v15, -1
	v_and_b32_e32 v30, 0xffff, v18
	v_lshlrev_b32_e32 v27, 2, v27
	v_and_b32_e32 v19, s7, v17
	ds_bpermute_b32 v31, v27, v30
	v_or_b32_e32 v19, 0x80000000, v19
	v_and_b32_e32 v29, s6, v16
	v_ffbl_b32_e32 v19, v19
	v_add_u32_e32 v19, 32, v19
	v_ffbl_b32_e32 v29, v29
	v_cmp_gt_u32_e64 s[6:7], 62, v26
	v_min_u32_e32 v19, v29, v19
	v_cndmask_b32_e64 v29, 0, 1, s[6:7]
	s_waitcnt lgkmcnt(0)
	v_add_u16_e32 v31, v31, v18
	v_cmp_lt_u32_e32 vcc, v26, v19
	v_lshlrev_b32_e32 v29, 1, v29
	v_cndmask_b32_e32 v32, v30, v31, vcc
	v_add_lshl_u32 v29, v29, v15, 2
	ds_bpermute_b32 v33, v29, v32
	v_cmp_gt_u32_e64 s[8:9], 60, v26
	v_cndmask_b32_e32 v34, v18, v31, vcc
	v_add_u32_e32 v30, 2, v26
	v_cndmask_b32_e64 v31, 0, 1, s[8:9]
	s_waitcnt lgkmcnt(0)
	v_add_u16_e32 v33, v34, v33
	v_cmp_gt_u32_e64 s[6:7], v30, v19
	v_lshlrev_b32_e32 v31, 2, v31
	v_cndmask_b32_e64 v35, v33, v32, s[6:7]
	v_add_lshl_u32 v31, v31, v15, 2
	ds_bpermute_b32 v36, v31, v35
	v_cmp_gt_u32_e64 s[8:9], 56, v26
	v_cndmask_b32_e64 v34, v33, v34, s[6:7]
	v_add_u32_e32 v32, 4, v26
	v_cndmask_b32_e64 v33, 0, 1, s[8:9]
	s_waitcnt lgkmcnt(0)
	v_add_u16_e32 v36, v34, v36
	v_cmp_gt_u32_e64 s[6:7], v32, v19
	v_lshlrev_b32_e32 v33, 3, v33
	v_cndmask_b32_e64 v35, v36, v35, s[6:7]
	v_add_lshl_u32 v33, v33, v15, 2
	ds_bpermute_b32 v37, v33, v35
	v_cndmask_b32_e64 v36, v36, v34, s[6:7]
	v_add_u32_e32 v34, 8, v26
	v_cmp_gt_u32_e64 s[6:7], v34, v19
	v_cmp_gt_u32_e64 s[8:9], 48, v26
	s_waitcnt lgkmcnt(0)
	v_add_u16_e32 v37, v36, v37
	v_cndmask_b32_e64 v38, v37, v35, s[6:7]
	v_cndmask_b32_e64 v35, 0, 1, s[8:9]
	v_lshlrev_b32_e32 v35, 4, v35
	v_add_lshl_u32 v35, v35, v15, 2
	ds_bpermute_b32 v39, v35, v38
	v_cndmask_b32_e64 v37, v37, v36, s[6:7]
	v_add_u32_e32 v36, 16, v26
	v_cmp_gt_u32_e64 s[6:7], v36, v19
	v_cmp_gt_u32_e64 s[8:9], 32, v26
	s_waitcnt lgkmcnt(0)
	v_add_u16_e32 v40, v37, v39
	v_cndmask_b32_e64 v39, v40, v38, s[6:7]
	v_cndmask_b32_e64 v38, 0, 1, s[8:9]
	v_lshlrev_b32_e32 v38, 5, v38
	v_add_lshl_u32 v38, v38, v15, 2
	ds_bpermute_b32 v15, v38, v39
	v_add_u32_e32 v39, 32, v26
	v_cndmask_b32_e64 v37, v40, v37, s[6:7]
	v_cmp_le_u32_e64 s[6:7], v39, v19
	s_waitcnt lgkmcnt(0)
	v_cndmask_b32_e64 v15, 0, v15, s[6:7]
	v_add_u16_e32 v15, v37, v15
	v_cndmask_b32_e32 v18, v18, v15, vcc
	v_mov_b32_e32 v15, 0
	s_branch .LBB1071_70
.LBB1071_69:                            ;   in Loop: Header=BB1071_70 Depth=1
	s_or_b64 exec, exec, s[6:7]
	v_cmp_eq_u16_sdwa s[6:7], v28, v25 src0_sel:BYTE_0 src1_sel:DWORD
	v_and_b32_e32 v41, 0xffff, v40
	v_and_b32_e32 v18, s7, v17
	ds_bpermute_b32 v42, v27, v41
	v_or_b32_e32 v18, 0x80000000, v18
	v_and_b32_e32 v19, s6, v16
	v_ffbl_b32_e32 v18, v18
	v_add_u32_e32 v18, 32, v18
	v_ffbl_b32_e32 v19, v19
	v_min_u32_e32 v18, v19, v18
	s_waitcnt lgkmcnt(0)
	v_add_u16_e32 v19, v42, v40
	v_cmp_lt_u32_e32 vcc, v26, v18
	v_cndmask_b32_e32 v41, v41, v19, vcc
	ds_bpermute_b32 v42, v29, v41
	v_cndmask_b32_e32 v19, v40, v19, vcc
	v_cmp_gt_u32_e64 s[6:7], v30, v18
	v_subrev_u32_e32 v14, 64, v14
	s_waitcnt lgkmcnt(0)
	v_add_u16_e32 v42, v19, v42
	v_cndmask_b32_e64 v41, v42, v41, s[6:7]
	ds_bpermute_b32 v43, v31, v41
	v_cndmask_b32_e64 v19, v42, v19, s[6:7]
	v_cmp_gt_u32_e64 s[6:7], v32, v18
	s_waitcnt lgkmcnt(0)
	v_add_u16_e32 v42, v19, v43
	v_cndmask_b32_e64 v41, v42, v41, s[6:7]
	ds_bpermute_b32 v43, v33, v41
	v_cndmask_b32_e64 v19, v42, v19, s[6:7]
	v_cmp_gt_u32_e64 s[6:7], v34, v18
	;; [unrolled: 6-line block ×3, first 2 shown]
	s_waitcnt lgkmcnt(0)
	v_add_u16_e32 v42, v19, v43
	v_cndmask_b32_e64 v41, v42, v41, s[6:7]
	ds_bpermute_b32 v41, v38, v41
	v_cndmask_b32_e64 v19, v42, v19, s[6:7]
	v_cmp_le_u32_e64 s[6:7], v39, v18
	s_waitcnt lgkmcnt(0)
	v_cndmask_b32_e64 v18, 0, v41, s[6:7]
	v_add_u16_e32 v18, v19, v18
	v_cndmask_b32_e32 v18, v40, v18, vcc
	v_add_u16_e32 v18, v18, v37
.LBB1071_70:                            ; =>This Loop Header: Depth=1
                                        ;     Child Loop BB1071_73 Depth 2
                                        ;       Child Loop BB1071_74 Depth 3
	v_cmp_ne_u16_sdwa s[6:7], v28, v25 src0_sel:BYTE_0 src1_sel:DWORD
	v_cndmask_b32_e64 v19, 0, 1, s[6:7]
	;;#ASMSTART
	;;#ASMEND
	v_cmp_ne_u32_e32 vcc, 0, v19
	s_cmp_lg_u64 vcc, exec
	v_mov_b32_e32 v37, v18
	s_cbranch_scc1 .LBB1071_77
; %bb.71:                               ;   in Loop: Header=BB1071_70 Depth=1
	v_lshlrev_b64 v[18:19], 2, v[14:15]
	v_mov_b32_e32 v28, s29
	v_add_co_u32_e32 v18, vcc, s28, v18
	v_addc_co_u32_e32 v19, vcc, v28, v19, vcc
	global_load_dword v40, v[18:19], off glc
	s_waitcnt vmcnt(0)
	v_lshrrev_b32_e32 v28, 16, v40
	v_cmp_eq_u16_sdwa s[8:9], v28, v15 src0_sel:BYTE_0 src1_sel:DWORD
	s_and_saveexec_b64 s[6:7], s[8:9]
	s_cbranch_execz .LBB1071_69
; %bb.72:                               ;   in Loop: Header=BB1071_70 Depth=1
	s_mov_b32 s34, 1
	s_mov_b64 s[8:9], 0
.LBB1071_73:                            ;   Parent Loop BB1071_70 Depth=1
                                        ; =>  This Loop Header: Depth=2
                                        ;       Child Loop BB1071_74 Depth 3
	s_max_u32 s35, s34, 1
.LBB1071_74:                            ;   Parent Loop BB1071_70 Depth=1
                                        ;     Parent Loop BB1071_73 Depth=2
                                        ; =>    This Inner Loop Header: Depth=3
	s_add_i32 s35, s35, -1
	s_cmp_eq_u32 s35, 0
	s_sleep 1
	s_cbranch_scc0 .LBB1071_74
; %bb.75:                               ;   in Loop: Header=BB1071_73 Depth=2
	global_load_dword v40, v[18:19], off glc
	s_cmp_lt_u32 s34, 32
	s_cselect_b64 s[36:37], -1, 0
	s_cmp_lg_u64 s[36:37], 0
	s_addc_u32 s34, s34, 0
	s_waitcnt vmcnt(0)
	v_lshrrev_b32_e32 v28, 16, v40
	v_cmp_ne_u16_sdwa s[36:37], v28, v15 src0_sel:BYTE_0 src1_sel:DWORD
	s_or_b64 s[8:9], s[36:37], s[8:9]
	s_andn2_b64 exec, exec, s[8:9]
	s_cbranch_execnz .LBB1071_73
; %bb.76:                               ;   in Loop: Header=BB1071_70 Depth=1
	s_or_b64 exec, exec, s[8:9]
	s_branch .LBB1071_69
.LBB1071_77:                            ;   in Loop: Header=BB1071_70 Depth=1
                                        ; implicit-def: $vgpr18
                                        ; implicit-def: $vgpr28
	s_cbranch_execz .LBB1071_70
; %bb.78:
	s_and_saveexec_b64 s[6:7], s[4:5]
	s_cbranch_execz .LBB1071_80
; %bb.79:
	s_add_i32 s4, s33, 64
	s_mov_b32 s5, 0
	s_lshl_b64 s[4:5], s[4:5], 2
	v_add_u16_e32 v14, v37, v24
	s_add_u32 s4, s28, s4
	v_or_b32_e32 v14, 0x20000, v14
	s_addc_u32 s5, s29, s5
	v_mov_b32_e32 v15, 0
	global_store_dword v15, v14, s[4:5]
.LBB1071_80:
	s_or_b64 exec, exec, s[6:7]
	s_and_b64 exec, exec, s[2:3]
	s_cbranch_execz .LBB1071_82
; %bb.81:
	v_mov_b32_e32 v14, 0
	ds_write_b16 v14, v37
.LBB1071_82:
	s_or_b64 exec, exec, s[26:27]
	v_mov_b32_e32 v14, 0
	s_waitcnt lgkmcnt(0)
	; wave barrier
	s_waitcnt lgkmcnt(0)
	ds_read_u16 v14, v14
	v_cndmask_b32_e64 v15, v23, 0, s[2:3]
	v_add_u16_e32 v15, v15, v10
	s_waitcnt lgkmcnt(0)
	v_add_u16_e32 v14, v15, v14
	v_add_u16_sdwa v15, v14, v10 dst_sel:DWORD dst_unused:UNUSED_PAD src0_sel:DWORD src1_sel:WORD_1
	v_add_u16_e32 v16, v15, v11
	v_add_u16_sdwa v17, v16, v11 dst_sel:DWORD dst_unused:UNUSED_PAD src0_sel:DWORD src1_sel:WORD_1
	;; [unrolled: 2-line block ×12, first 2 shown]
	s_branch .LBB1071_93
.LBB1071_83:
                                        ; implicit-def: $vgpr14
                                        ; implicit-def: $vgpr15
                                        ; implicit-def: $vgpr16
                                        ; implicit-def: $vgpr17
                                        ; implicit-def: $vgpr18
                                        ; implicit-def: $vgpr19
                                        ; implicit-def: $vgpr24
                                        ; implicit-def: $vgpr26
                                        ; implicit-def: $vgpr23
                                        ; implicit-def: $vgpr25
                                        ; implicit-def: $vgpr27
                                        ; implicit-def: $vgpr28
                                        ; implicit-def: $vgpr29
                                        ; implicit-def: $vgpr30
                                        ; implicit-def: $vgpr32
                                        ; implicit-def: $vgpr34
                                        ; implicit-def: $vgpr31
                                        ; implicit-def: $vgpr33
                                        ; implicit-def: $vgpr35
                                        ; implicit-def: $vgpr36
                                        ; implicit-def: $vgpr37
                                        ; implicit-def: $vgpr38
                                        ; implicit-def: $vgpr39
                                        ; implicit-def: $vgpr40
	s_cbranch_execz .LBB1071_93
; %bb.84:
	s_cmp_lg_u64 s[16:17], 0
	s_cselect_b64 s[4:5], -1, 0
	s_and_b64 s[4:5], s[2:3], s[4:5]
	v_mov_b32_e32 v14, v10
	s_and_saveexec_b64 s[2:3], s[4:5]
	s_cbranch_execz .LBB1071_86
; %bb.85:
	v_mov_b32_e32 v14, 0
	global_load_ushort v14, v14, s[12:13]
	s_waitcnt vmcnt(0)
	v_add_u16_e32 v14, v14, v10
.LBB1071_86:
	s_or_b64 exec, exec, s[2:3]
	v_add_u16_sdwa v15, v14, v10 dst_sel:DWORD dst_unused:UNUSED_PAD src0_sel:DWORD src1_sel:WORD_1
	v_add_u16_e32 v16, v15, v11
	v_add_u16_sdwa v17, v16, v11 dst_sel:DWORD dst_unused:UNUSED_PAD src0_sel:DWORD src1_sel:WORD_1
	v_add_u16_e32 v18, v17, v12
	v_add_u16_sdwa v19, v18, v12 dst_sel:DWORD dst_unused:UNUSED_PAD src0_sel:DWORD src1_sel:WORD_1
	v_add_u16_e32 v24, v19, v13
	v_add_u16_sdwa v26, v24, v13 dst_sel:DWORD dst_unused:UNUSED_PAD src0_sel:DWORD src1_sel:WORD_1
	v_add_u16_e32 v23, v26, v6
	v_add_u16_sdwa v25, v23, v6 dst_sel:DWORD dst_unused:UNUSED_PAD src0_sel:DWORD src1_sel:WORD_1
	v_add_u16_e32 v27, v25, v7
	v_add_u16_sdwa v28, v27, v7 dst_sel:DWORD dst_unused:UNUSED_PAD src0_sel:DWORD src1_sel:WORD_1
	v_add_u16_e32 v29, v28, v8
	v_add_u16_sdwa v30, v29, v8 dst_sel:DWORD dst_unused:UNUSED_PAD src0_sel:DWORD src1_sel:WORD_1
	v_add_u16_e32 v32, v30, v9
	v_add_u16_sdwa v34, v32, v9 dst_sel:DWORD dst_unused:UNUSED_PAD src0_sel:DWORD src1_sel:WORD_1
	v_add_u16_e32 v31, v34, v2
	v_add_u16_sdwa v33, v31, v2 dst_sel:DWORD dst_unused:UNUSED_PAD src0_sel:DWORD src1_sel:WORD_1
	v_add_u16_e32 v35, v33, v3
	v_add_u16_sdwa v36, v35, v3 dst_sel:DWORD dst_unused:UNUSED_PAD src0_sel:DWORD src1_sel:WORD_1
	v_add_u16_e32 v37, v36, v4
	v_add_u16_sdwa v38, v37, v4 dst_sel:DWORD dst_unused:UNUSED_PAD src0_sel:DWORD src1_sel:WORD_1
	v_add_u16_e32 v39, v38, v5
	v_mbcnt_hi_u32_b32 v22, -1, v22
	v_add_u16_sdwa v40, v39, v5 dst_sel:DWORD dst_unused:UNUSED_PAD src0_sel:DWORD src1_sel:WORD_1
	v_and_b32_e32 v41, 15, v22
	v_cmp_ne_u32_e32 vcc, 0, v41
	v_mov_b32_dpp v42, v40 row_shr:1 row_mask:0xf bank_mask:0xf
	v_cndmask_b32_e32 v42, 0, v42, vcc
	v_add_u16_e32 v42, v40, v42
	v_cmp_lt_u32_e32 vcc, 1, v41
	s_nop 0
	v_mov_b32_dpp v43, v42 row_shr:2 row_mask:0xf bank_mask:0xf
	v_cndmask_b32_e32 v43, 0, v43, vcc
	v_add_u16_e32 v42, v42, v43
	v_cmp_lt_u32_e32 vcc, 3, v41
	s_nop 0
	v_mov_b32_dpp v43, v42 row_shr:4 row_mask:0xf bank_mask:0xf
	v_cndmask_b32_e32 v43, 0, v43, vcc
	v_add_u16_e32 v42, v42, v43
	v_cmp_lt_u32_e32 vcc, 7, v41
	s_nop 0
	v_mov_b32_dpp v43, v42 row_shr:8 row_mask:0xf bank_mask:0xf
	v_cndmask_b32_e32 v41, 0, v43, vcc
	v_add_u16_e32 v41, v42, v41
	v_and_b32_e32 v43, 16, v22
	v_cmp_ne_u32_e32 vcc, 0, v43
	v_mov_b32_dpp v42, v41 row_bcast:15 row_mask:0xf bank_mask:0xf
	v_cndmask_b32_e32 v42, 0, v42, vcc
	v_add_u16_e32 v41, v41, v42
	v_cmp_lt_u32_e32 vcc, 31, v22
	s_nop 0
	v_mov_b32_dpp v42, v41 row_bcast:31 row_mask:0xf bank_mask:0xf
	v_cndmask_b32_e32 v42, 0, v42, vcc
	v_add_u16_e32 v41, v41, v42
	v_cmp_eq_u32_e32 vcc, 63, v0
	s_and_saveexec_b64 s[2:3], vcc
	s_cbranch_execz .LBB1071_88
; %bb.87:
	v_mov_b32_e32 v42, 0
	ds_write_b16 v42, v41
.LBB1071_88:
	s_or_b64 exec, exec, s[2:3]
	v_add_u32_e32 v42, -1, v22
	v_and_b32_e32 v43, 64, v22
	v_cmp_lt_i32_e64 s[2:3], v42, v43
	v_cndmask_b32_e64 v22, v42, v22, s[2:3]
	v_lshlrev_b32_e32 v22, 2, v22
	ds_bpermute_b32 v22, v22, v41
	s_waitcnt lgkmcnt(0)
	; wave barrier
	s_waitcnt lgkmcnt(0)
	s_and_saveexec_b64 s[2:3], s[0:1]
	s_cbranch_execz .LBB1071_90
; %bb.89:
	v_add_u16_e32 v14, v14, v22
	v_add_u16_sdwa v15, v14, v10 dst_sel:DWORD dst_unused:UNUSED_PAD src0_sel:DWORD src1_sel:WORD_1
	v_add_u16_e32 v16, v15, v11
	v_add_u16_sdwa v17, v16, v11 dst_sel:DWORD dst_unused:UNUSED_PAD src0_sel:DWORD src1_sel:WORD_1
	;; [unrolled: 2-line block ×12, first 2 shown]
	;;#ASMSTART
	;;#ASMEND
.LBB1071_90:
	s_or_b64 exec, exec, s[2:3]
	s_and_saveexec_b64 s[0:1], vcc
	s_cbranch_execz .LBB1071_92
; %bb.91:
	s_mov_b32 s2, 0x20000
	v_mov_b32_e32 v2, 0
	v_or_b32_sdwa v3, v40, s2 dst_sel:DWORD dst_unused:UNUSED_PAD src0_sel:WORD_0 src1_sel:DWORD
	global_store_dword v2, v3, s[28:29] offset:256
.LBB1071_92:
	s_or_b64 exec, exec, s[0:1]
.LBB1071_93:
	s_add_u32 s0, s24, s10
	s_addc_u32 s1, s25, s11
	s_add_u32 s2, s0, s22
	s_addc_u32 s3, s1, s23
	s_mov_b64 s[0:1], -1
	s_and_b64 vcc, exec, s[20:21]
	s_waitcnt lgkmcnt(0)
	; wave barrier
	s_cbranch_vccz .LBB1071_95
; %bb.94:
	s_mov_b32 s0, 0x5040100
	v_perm_b32 v5, v26, v24, s0
	v_perm_b32 v4, v19, v18, s0
	;; [unrolled: 1-line block ×4, first 2 shown]
	ds_write_b128 v1, v[2:5]
	v_perm_b32 v5, v34, v32, s0
	v_perm_b32 v4, v30, v29, s0
	;; [unrolled: 1-line block ×4, first 2 shown]
	ds_write_b128 v1, v[2:5] offset:16
	v_perm_b32 v5, v40, v39, s0
	v_perm_b32 v4, v38, v37, s0
	;; [unrolled: 1-line block ×4, first 2 shown]
	ds_write_b128 v1, v[2:5] offset:32
	s_waitcnt lgkmcnt(0)
	; wave barrier
	s_waitcnt lgkmcnt(0)
	ds_read_u16 v4, v20
	ds_read_u16 v5, v20 offset:128
	ds_read_u16 v6, v20 offset:256
	;; [unrolled: 1-line block ×23, first 2 shown]
	v_mov_b32_e32 v3, s3
	v_add_co_u32_e32 v2, vcc, s2, v20
	v_addc_co_u32_e32 v3, vcc, 0, v3, vcc
	s_waitcnt lgkmcnt(14)
	flat_store_short v[2:3], v4
	flat_store_short v[2:3], v5 offset:128
	flat_store_short v[2:3], v6 offset:256
	;; [unrolled: 1-line block ×9, first 2 shown]
	s_waitcnt lgkmcnt(0)
	flat_store_short v[2:3], v22 offset:1280
	flat_store_short v[2:3], v41 offset:1408
	;; [unrolled: 1-line block ×14, first 2 shown]
	s_mov_b64 s[0:1], 0
.LBB1071_95:
	s_andn2_b64 vcc, exec, s[0:1]
	s_cbranch_vccnz .LBB1071_152
; %bb.96:
	s_mov_b32 s0, 0x5040100
	v_perm_b32 v5, v26, v24, s0
	v_perm_b32 v4, v19, v18, s0
	v_perm_b32 v3, v17, v16, s0
	v_perm_b32 v2, v15, v14, s0
	ds_write_b128 v1, v[2:5]
	v_perm_b32 v5, v34, v32, s0
	v_perm_b32 v4, v30, v29, s0
	;; [unrolled: 1-line block ×4, first 2 shown]
	ds_write_b128 v1, v[2:5] offset:16
	v_perm_b32 v5, v40, v39, s0
	v_perm_b32 v4, v38, v37, s0
	;; [unrolled: 1-line block ×4, first 2 shown]
	ds_write_b128 v1, v[2:5] offset:32
	s_waitcnt lgkmcnt(0)
	; wave barrier
	s_waitcnt lgkmcnt(0)
	ds_read_u16 v5, v20
	ds_read_u16 v4, v20 offset:128
	ds_read_u16 v7, v20 offset:256
	;; [unrolled: 1-line block ×23, first 2 shown]
	v_mov_b32_e32 v3, s3
	v_add_co_u32_e32 v2, vcc, s2, v20
	v_addc_co_u32_e32 v3, vcc, 0, v3, vcc
	v_mov_b32_e32 v1, 0
	v_cmp_gt_u32_e32 vcc, s30, v0
	s_and_saveexec_b64 s[0:1], vcc
	s_cbranch_execz .LBB1071_98
; %bb.97:
	s_waitcnt lgkmcnt(0)
	flat_store_short v[2:3], v5
.LBB1071_98:
	s_or_b64 exec, exec, s[0:1]
	v_or_b32_e32 v20, 64, v0
	v_cmp_gt_u32_e32 vcc, s30, v20
	s_and_saveexec_b64 s[0:1], vcc
	s_cbranch_execz .LBB1071_100
; %bb.99:
	s_waitcnt lgkmcnt(0)
	flat_store_short v[2:3], v4 offset:128
.LBB1071_100:
	s_or_b64 exec, exec, s[0:1]
	v_or_b32_e32 v20, 0x80, v0
	v_cmp_gt_u32_e32 vcc, s30, v20
	s_and_saveexec_b64 s[0:1], vcc
	s_cbranch_execz .LBB1071_102
; %bb.101:
	s_waitcnt lgkmcnt(0)
	flat_store_short v[2:3], v7 offset:256
.LBB1071_102:
	;; [unrolled: 9-line block ×23, first 2 shown]
	s_or_b64 exec, exec, s[0:1]
	v_cmp_lt_u64_e64 s[0:1], s[18:19], 2
	s_and_b64 vcc, exec, s[0:1]
	s_cbranch_vccnz .LBB1071_152
; %bb.145:
	s_add_u32 s0, s30, -1
	s_addc_u32 s1, s31, -1
	s_add_u32 s2, 0, 0xaaaa0000
	s_addc_u32 s3, 0, 42
	s_add_i32 s3, s3, 0xaaaaa80
	s_mul_hi_u32 s7, s2, 0xffffffe8
	s_sub_i32 s7, s7, s2
	s_mul_i32 s8, s3, 0xffffffe8
	s_mul_i32 s4, s2, 0xffffffe8
	s_add_i32 s7, s7, s8
	s_mul_hi_u32 s5, s3, s4
	s_mul_i32 s6, s3, s4
	s_mul_i32 s9, s2, s7
	s_mul_hi_u32 s4, s2, s4
	s_mul_hi_u32 s8, s2, s7
	s_add_u32 s4, s4, s9
	s_addc_u32 s8, 0, s8
	s_add_u32 s4, s4, s6
	s_mul_hi_u32 s9, s3, s7
	s_addc_u32 s4, s8, s5
	s_addc_u32 s5, s9, 0
	s_mul_i32 s6, s3, s7
	s_add_u32 s4, s4, s6
	v_mov_b32_e32 v2, s4
	s_addc_u32 s5, 0, s5
	v_add_co_u32_e32 v2, vcc, s2, v2
	s_cmp_lg_u64 vcc, 0
	s_addc_u32 s2, s3, s5
	v_readfirstlane_b32 s5, v2
	s_mul_i32 s4, s0, s2
	s_mul_hi_u32 s6, s0, s5
	s_mul_hi_u32 s3, s0, s2
	s_add_u32 s4, s6, s4
	s_addc_u32 s3, 0, s3
	s_mul_hi_u32 s7, s1, s5
	s_mul_i32 s5, s1, s5
	s_add_u32 s4, s4, s5
	s_mul_hi_u32 s6, s1, s2
	s_addc_u32 s3, s3, s7
	s_addc_u32 s4, s6, 0
	s_mul_i32 s2, s1, s2
	s_add_u32 s2, s3, s2
	s_addc_u32 s3, 0, s4
	s_add_u32 s4, s2, 1
	s_addc_u32 s5, s3, 0
	s_add_u32 s6, s2, 2
	s_mul_i32 s8, s3, 24
	s_mul_hi_u32 s9, s2, 24
	s_addc_u32 s7, s3, 0
	s_add_i32 s9, s9, s8
	s_mul_i32 s8, s2, 24
	v_mov_b32_e32 v2, s8
	v_sub_co_u32_e32 v2, vcc, s0, v2
	s_cmp_lg_u64 vcc, 0
	s_subb_u32 s8, s1, s9
	v_subrev_co_u32_e32 v3, vcc, 24, v2
	s_cmp_lg_u64 vcc, 0
	s_subb_u32 s9, s8, 0
	v_readfirstlane_b32 s10, v3
	s_cmp_gt_u32 s10, 23
	s_cselect_b32 s10, -1, 0
	s_cmp_eq_u32 s9, 0
	s_cselect_b32 s9, s10, -1
	s_cmp_lg_u32 s9, 0
	s_cselect_b32 s4, s6, s4
	v_readfirstlane_b32 s6, v2
	s_cselect_b32 s5, s7, s5
	s_cmp_gt_u32 s6, 23
	s_cselect_b32 s6, -1, 0
	s_cmp_eq_u32 s8, 0
	s_cselect_b32 s6, s6, -1
	s_cmp_lg_u32 s6, 0
	s_cselect_b32 s3, s5, s3
	s_cselect_b32 s2, s4, s2
	v_cmp_eq_u64_e32 vcc, s[2:3], v[0:1]
	s_and_saveexec_b64 s[2:3], vcc
	s_cbranch_execz .LBB1071_152
; %bb.146:
	v_mul_hi_u32_u24_e32 v1, 24, v0
	v_mov_b32_e32 v2, s1
	v_sub_co_u32_e32 v0, vcc, s0, v21
	v_subb_co_u32_e32 v1, vcc, v2, v1, vcc
	v_cmp_lt_i64_e32 vcc, 11, v[0:1]
	s_mov_b64 s[0:1], 0
	s_mov_b64 s[8:9], 0
	;; [unrolled: 1-line block ×4, first 2 shown]
	s_and_saveexec_b64 s[2:3], vcc
	s_xor_b64 s[2:3], exec, s[2:3]
	s_cbranch_execnz .LBB1071_153
; %bb.147:
	s_andn2_saveexec_b64 s[2:3], s[2:3]
	s_cbranch_execnz .LBB1071_198
.LBB1071_148:
	s_or_b64 exec, exec, s[2:3]
	s_and_saveexec_b64 s[2:3], s[8:9]
	s_cbranch_execnz .LBB1071_215
.LBB1071_149:
	s_or_b64 exec, exec, s[2:3]
	s_and_saveexec_b64 s[2:3], s[6:7]
	s_cbranch_execnz .LBB1071_216
.LBB1071_150:
	s_or_b64 exec, exec, s[2:3]
	s_and_saveexec_b64 s[2:3], s[4:5]
	s_xor_b64 s[2:3], exec, s[2:3]
	s_cbranch_execnz .LBB1071_217
.LBB1071_151:
	s_or_b64 exec, exec, s[2:3]
	s_and_b64 exec, exec, s[0:1]
	s_cbranch_execnz .LBB1071_218
.LBB1071_152:
	s_endpgm
.LBB1071_153:
	v_cmp_lt_i64_e32 vcc, 17, v[0:1]
	s_and_saveexec_b64 s[10:11], vcc
	s_xor_b64 s[10:11], exec, s[10:11]
	s_cbranch_execz .LBB1071_175
; %bb.154:
	v_cmp_lt_i64_e32 vcc, 20, v[0:1]
                                        ; implicit-def: $vgpr10
	s_and_saveexec_b64 s[12:13], vcc
	s_xor_b64 s[12:13], exec, s[12:13]
	s_cbranch_execz .LBB1071_164
; %bb.155:
	v_cmp_lt_i64_e32 vcc, 21, v[0:1]
	s_mov_b64 s[16:17], 0
                                        ; implicit-def: $vgpr10
	s_and_saveexec_b64 s[4:5], vcc
	s_xor_b64 s[4:5], exec, s[4:5]
	s_cbranch_execz .LBB1071_161
; %bb.156:
	v_cmp_lt_i64_e32 vcc, 22, v[0:1]
	s_and_saveexec_b64 s[16:17], vcc
	s_xor_b64 s[16:17], exec, s[16:17]
	s_cbranch_execz .LBB1071_158
; %bb.157:
	v_mov_b32_e32 v2, 0
	s_waitcnt lgkmcnt(0)
	global_store_short v2, v29, s[14:15]
                                        ; implicit-def: $vgpr28
.LBB1071_158:
	s_or_saveexec_b64 s[16:17], s[16:17]
	s_mov_b64 s[18:19], 0
	s_xor_b64 exec, exec, s[16:17]
; %bb.159:
	s_mov_b64 s[18:19], exec
; %bb.160:
	s_or_b64 exec, exec, s[16:17]
	s_and_b64 s[16:17], s[18:19], exec
	s_waitcnt lgkmcnt(0)
	v_mov_b32_e32 v10, v28
                                        ; implicit-def: $vgpr11
.LBB1071_161:
	s_andn2_saveexec_b64 s[4:5], s[4:5]
; %bb.162:
	s_mov_b64 s[6:7], exec
                                        ; implicit-def: $vgpr10
; %bb.163:
	s_or_b64 exec, exec, s[4:5]
	s_and_b64 s[4:5], s[16:17], exec
	s_and_b64 s[6:7], s[6:7], exec
                                        ; implicit-def: $vgpr26
                                        ; implicit-def: $vgpr12
                                        ; implicit-def: $vgpr23
.LBB1071_164:
	s_andn2_saveexec_b64 s[12:13], s[12:13]
	s_cbranch_execz .LBB1071_174
; %bb.165:
	v_cmp_lt_i64_e32 vcc, 18, v[0:1]
	s_mov_b64 s[16:17], 0
	s_and_saveexec_b64 s[8:9], vcc
	s_xor_b64 s[8:9], exec, s[8:9]
	s_cbranch_execz .LBB1071_171
; %bb.166:
	v_cmp_lt_i64_e32 vcc, 19, v[0:1]
	s_and_saveexec_b64 s[18:19], vcc
	s_xor_b64 s[18:19], exec, s[18:19]
; %bb.167:
	s_mov_b64 s[16:17], exec
                                        ; implicit-def: $vgpr23
; %bb.168:
	s_andn2_saveexec_b64 s[18:19], s[18:19]
	s_cbranch_execz .LBB1071_170
; %bb.169:
	v_mov_b32_e32 v2, 0
	s_waitcnt lgkmcnt(0)
	global_store_short v2, v23, s[14:15]
                                        ; implicit-def: $vgpr12
.LBB1071_170:
	s_or_b64 exec, exec, s[18:19]
	s_and_b64 s[16:17], s[16:17], exec
                                        ; implicit-def: $vgpr26
.LBB1071_171:
	s_andn2_saveexec_b64 s[8:9], s[8:9]
	s_cbranch_execz .LBB1071_173
; %bb.172:
	v_mov_b32_e32 v2, 0
	s_waitcnt lgkmcnt(0)
	global_store_short v2, v26, s[14:15]
                                        ; implicit-def: $vgpr12
.LBB1071_173:
	s_or_b64 exec, exec, s[8:9]
	s_and_b64 s[8:9], s[16:17], exec
                                        ; implicit-def: $vgpr10
                                        ; implicit-def: $vgpr11
.LBB1071_174:
	s_or_b64 exec, exec, s[12:13]
	s_and_b64 s[4:5], s[4:5], exec
	s_and_b64 s[6:7], s[6:7], exec
	;; [unrolled: 1-line block ×3, first 2 shown]
                                        ; implicit-def: $vgpr18
                                        ; implicit-def: $vgpr13
                                        ; implicit-def: $vgpr14
                                        ; implicit-def: $vgpr24
                                        ; implicit-def: $vgpr27
.LBB1071_175:
	s_andn2_saveexec_b64 s[10:11], s[10:11]
	s_cbranch_execz .LBB1071_197
; %bb.176:
	v_cmp_lt_i64_e32 vcc, 14, v[0:1]
	s_mov_b64 s[12:13], s[4:5]
	s_and_saveexec_b64 s[16:17], vcc
	s_xor_b64 s[16:17], exec, s[16:17]
	s_cbranch_execz .LBB1071_186
; %bb.177:
	v_cmp_lt_i64_e32 vcc, 15, v[0:1]
	s_and_saveexec_b64 s[12:13], vcc
	s_xor_b64 s[12:13], exec, s[12:13]
	s_cbranch_execz .LBB1071_183
; %bb.178:
	v_cmp_lt_i64_e32 vcc, 16, v[0:1]
	s_and_saveexec_b64 s[18:19], vcc
	s_xor_b64 s[18:19], exec, s[18:19]
	s_cbranch_execz .LBB1071_180
; %bb.179:
	v_mov_b32_e32 v2, 0
	s_waitcnt lgkmcnt(0)
	global_store_short v2, v27, s[14:15]
                                        ; implicit-def: $vgpr24
.LBB1071_180:
	s_andn2_saveexec_b64 s[18:19], s[18:19]
	s_cbranch_execz .LBB1071_182
; %bb.181:
	v_mov_b32_e32 v2, 0
	s_waitcnt lgkmcnt(0)
	global_store_short v2, v24, s[14:15]
.LBB1071_182:
	s_or_b64 exec, exec, s[18:19]
                                        ; implicit-def: $vgpr10
.LBB1071_183:
	s_or_saveexec_b64 s[12:13], s[12:13]
	s_mov_b64 s[18:19], s[4:5]
	s_xor_b64 exec, exec, s[12:13]
; %bb.184:
	s_or_b64 s[18:19], s[4:5], exec
; %bb.185:
	s_or_b64 exec, exec, s[12:13]
	s_andn2_b64 s[12:13], s[4:5], exec
	s_and_b64 s[18:19], s[18:19], exec
	s_or_b64 s[12:13], s[12:13], s[18:19]
                                        ; implicit-def: $vgpr18
                                        ; implicit-def: $vgpr13
                                        ; implicit-def: $vgpr14
.LBB1071_186:
	s_or_saveexec_b64 s[16:17], s[16:17]
	s_mov_b64 s[18:19], s[6:7]
                                        ; implicit-def: $vgpr11
	s_xor_b64 exec, exec, s[16:17]
	s_cbranch_execz .LBB1071_196
; %bb.187:
	v_cmp_lt_i64_e32 vcc, 12, v[0:1]
	s_mov_b64 s[20:21], s[6:7]
	s_mov_b64 s[22:23], s[12:13]
                                        ; implicit-def: $vgpr10
                                        ; implicit-def: $vgpr11
	s_and_saveexec_b64 s[18:19], vcc
	s_xor_b64 s[18:19], exec, s[18:19]
	s_cbranch_execz .LBB1071_193
; %bb.188:
	v_cmp_lt_i64_e32 vcc, 13, v[0:1]
	s_mov_b64 s[20:21], s[12:13]
	s_and_saveexec_b64 s[22:23], vcc
	s_xor_b64 s[22:23], exec, s[22:23]
; %bb.189:
	s_or_b64 s[20:21], s[12:13], exec
                                        ; implicit-def: $vgpr13
; %bb.190:
	s_or_saveexec_b64 s[22:23], s[22:23]
	s_mov_b64 s[24:25], s[6:7]
	s_xor_b64 exec, exec, s[22:23]
; %bb.191:
	s_or_b64 s[24:25], s[6:7], exec
                                        ; implicit-def: $vgpr14
; %bb.192:
	s_or_b64 exec, exec, s[22:23]
	s_andn2_b64 s[22:23], s[12:13], exec
	s_and_b64 s[20:21], s[20:21], exec
	s_or_b64 s[22:23], s[22:23], s[20:21]
	s_andn2_b64 s[20:21], s[6:7], exec
	s_and_b64 s[24:25], s[24:25], exec
	s_or_b64 s[20:21], s[20:21], s[24:25]
	s_waitcnt lgkmcnt(0)
	v_mov_b32_e32 v10, v14
	v_mov_b32_e32 v11, v13
                                        ; implicit-def: $vgpr18
.LBB1071_193:
	s_andn2_saveexec_b64 s[18:19], s[18:19]
	s_cbranch_execz .LBB1071_195
; %bb.194:
	s_or_b64 s[20:21], s[20:21], exec
                                        ; implicit-def: $vgpr10
	s_waitcnt lgkmcnt(0)
	v_mov_b32_e32 v11, v18
.LBB1071_195:
	s_or_b64 exec, exec, s[18:19]
	s_andn2_b64 s[12:13], s[12:13], exec
	s_and_b64 s[18:19], s[22:23], exec
	s_or_b64 s[12:13], s[12:13], s[18:19]
	s_andn2_b64 s[18:19], s[6:7], exec
	s_and_b64 s[20:21], s[20:21], exec
	s_or_b64 s[18:19], s[18:19], s[20:21]
.LBB1071_196:
	s_or_b64 exec, exec, s[16:17]
	s_andn2_b64 s[4:5], s[4:5], exec
	s_and_b64 s[12:13], s[12:13], exec
	s_or_b64 s[4:5], s[4:5], s[12:13]
	s_andn2_b64 s[6:7], s[6:7], exec
	s_and_b64 s[12:13], s[18:19], exec
	s_or_b64 s[6:7], s[6:7], s[12:13]
                                        ; implicit-def: $vgpr12
.LBB1071_197:
	s_or_b64 exec, exec, s[10:11]
	s_and_b64 s[4:5], s[4:5], exec
	s_and_b64 s[6:7], s[6:7], exec
	s_and_b64 s[8:9], s[8:9], exec
                                        ; implicit-def: $vgpr17
                                        ; implicit-def: $vgpr15
                                        ; implicit-def: $vgpr16
                                        ; implicit-def: $vgpr25
                                        ; implicit-def: $vgpr22
                                        ; implicit-def: $vgpr19
	s_andn2_saveexec_b64 s[2:3], s[2:3]
	s_cbranch_execz .LBB1071_148
.LBB1071_198:
	v_cmp_lt_i64_e32 vcc, 5, v[0:1]
	s_mov_b64 s[12:13], -1
	s_mov_b64 s[10:11], s[8:9]
	s_mov_b64 s[16:17], s[6:7]
	s_mov_b64 s[18:19], s[4:5]
                                        ; implicit-def: $vgpr10
                                        ; implicit-def: $vgpr11
                                        ; implicit-def: $vgpr12
	s_and_saveexec_b64 s[0:1], vcc
	s_cbranch_execz .LBB1071_214
; %bb.199:
	v_cmp_lt_i64_e32 vcc, 8, v[0:1]
	s_mov_b64 s[10:11], s[8:9]
                                        ; implicit-def: $vgpr12
	s_and_saveexec_b64 s[12:13], vcc
	s_xor_b64 s[12:13], exec, s[12:13]
	s_cbranch_execz .LBB1071_209
; %bb.200:
	v_cmp_lt_i64_e32 vcc, 9, v[0:1]
	s_and_saveexec_b64 s[10:11], vcc
	s_xor_b64 s[10:11], exec, s[10:11]
	s_cbranch_execz .LBB1071_206
; %bb.201:
	v_cmp_lt_i64_e32 vcc, 10, v[0:1]
	s_and_saveexec_b64 s[16:17], vcc
	s_xor_b64 s[16:17], exec, s[16:17]
; %bb.202:
                                        ; implicit-def: $vgpr22
; %bb.203:
	s_andn2_saveexec_b64 s[16:17], s[16:17]
	s_cbranch_execz .LBB1071_205
; %bb.204:
	s_waitcnt lgkmcnt(0)
	v_mov_b32_e32 v19, v22
.LBB1071_205:
	s_or_b64 exec, exec, s[16:17]
                                        ; implicit-def: $vgpr25
.LBB1071_206:
	s_andn2_saveexec_b64 s[10:11], s[10:11]
	s_cbranch_execz .LBB1071_208
; %bb.207:
	s_waitcnt lgkmcnt(0)
	v_mov_b32_e32 v19, v25
.LBB1071_208:
	s_or_b64 exec, exec, s[10:11]
	s_or_b64 s[10:11], s[8:9], exec
	s_waitcnt lgkmcnt(0)
	v_mov_b32_e32 v12, v19
                                        ; implicit-def: $vgpr17
                                        ; implicit-def: $vgpr15
                                        ; implicit-def: $vgpr16
.LBB1071_209:
	s_or_saveexec_b64 s[12:13], s[12:13]
	s_mov_b64 s[16:17], s[6:7]
	s_mov_b64 s[20:21], s[4:5]
                                        ; implicit-def: $vgpr10
                                        ; implicit-def: $vgpr11
	s_xor_b64 exec, exec, s[12:13]
	s_cbranch_execz .LBB1071_213
; %bb.210:
	v_cmp_lt_i64_e32 vcc, 6, v[0:1]
	s_mov_b64 s[20:21], -1
	s_mov_b64 s[18:19], s[10:11]
	s_mov_b64 s[16:17], s[6:7]
	s_and_saveexec_b64 s[22:23], vcc
; %bb.211:
	v_cmp_lt_i64_e32 vcc, 7, v[0:1]
	s_andn2_b64 s[18:19], s[10:11], exec
	s_and_b64 s[24:25], vcc, exec
	s_xor_b64 s[20:21], exec, -1
	s_or_b64 s[16:17], s[6:7], exec
	s_or_b64 s[18:19], s[18:19], s[24:25]
                                        ; implicit-def: $vgpr17
; %bb.212:
	s_or_b64 exec, exec, s[22:23]
	s_andn2_b64 s[22:23], s[4:5], exec
	s_and_b64 s[20:21], s[20:21], exec
	s_or_b64 s[20:21], s[22:23], s[20:21]
	s_andn2_b64 s[22:23], s[6:7], exec
	s_and_b64 s[16:17], s[16:17], exec
	s_andn2_b64 s[10:11], s[10:11], exec
	s_and_b64 s[18:19], s[18:19], exec
	s_or_b64 s[16:17], s[22:23], s[16:17]
	s_or_b64 s[10:11], s[10:11], s[18:19]
	s_waitcnt lgkmcnt(0)
	v_mov_b32_e32 v10, v17
	v_mov_b32_e32 v11, v15
	;; [unrolled: 1-line block ×3, first 2 shown]
.LBB1071_213:
	s_or_b64 exec, exec, s[12:13]
	s_andn2_b64 s[18:19], s[4:5], exec
	s_and_b64 s[20:21], s[20:21], exec
	s_or_b64 s[18:19], s[18:19], s[20:21]
	s_andn2_b64 s[20:21], s[6:7], exec
	s_and_b64 s[16:17], s[16:17], exec
	s_or_b64 s[16:17], s[20:21], s[16:17]
	s_andn2_b64 s[20:21], s[8:9], exec
	s_and_b64 s[10:11], s[10:11], exec
	s_xor_b64 s[12:13], exec, -1
	s_or_b64 s[10:11], s[20:21], s[10:11]
.LBB1071_214:
	s_or_b64 exec, exec, s[0:1]
	s_and_b64 s[0:1], s[12:13], exec
	s_andn2_b64 s[4:5], s[4:5], exec
	s_and_b64 s[12:13], s[18:19], exec
	s_or_b64 s[4:5], s[4:5], s[12:13]
	s_andn2_b64 s[6:7], s[6:7], exec
	s_and_b64 s[12:13], s[16:17], exec
	s_andn2_b64 s[8:9], s[8:9], exec
	s_and_b64 s[10:11], s[10:11], exec
	s_or_b64 s[6:7], s[6:7], s[12:13]
	s_or_b64 s[8:9], s[8:9], s[10:11]
	s_or_b64 exec, exec, s[2:3]
	s_and_saveexec_b64 s[2:3], s[8:9]
	s_cbranch_execz .LBB1071_149
.LBB1071_215:
	v_mov_b32_e32 v2, 0
	s_andn2_b64 s[6:7], s[6:7], exec
	s_waitcnt lgkmcnt(0)
	global_store_short v2, v12, s[14:15]
                                        ; implicit-def: $vgpr10
                                        ; implicit-def: $vgpr11
	s_or_b64 exec, exec, s[2:3]
	s_and_saveexec_b64 s[2:3], s[6:7]
	s_cbranch_execz .LBB1071_150
.LBB1071_216:
	v_mov_b32_e32 v2, 0
	s_waitcnt lgkmcnt(0)
	global_store_short v2, v11, s[14:15]
                                        ; implicit-def: $vgpr10
	s_or_b64 exec, exec, s[2:3]
	s_and_saveexec_b64 s[2:3], s[4:5]
	s_xor_b64 s[2:3], exec, s[2:3]
	s_cbranch_execz .LBB1071_151
.LBB1071_217:
	v_mov_b32_e32 v2, 0
	s_waitcnt lgkmcnt(0)
	global_store_short v2, v10, s[14:15]
	s_or_b64 exec, exec, s[2:3]
	s_and_b64 exec, exec, s[0:1]
	s_cbranch_execz .LBB1071_152
.LBB1071_218:
	v_cmp_lt_i64_e32 vcc, 2, v[0:1]
	s_and_saveexec_b64 s[0:1], vcc
	s_xor_b64 s[0:1], exec, s[0:1]
	s_cbranch_execz .LBB1071_228
; %bb.219:
	v_cmp_lt_i64_e32 vcc, 3, v[0:1]
	s_and_saveexec_b64 s[2:3], vcc
	s_xor_b64 s[2:3], exec, s[2:3]
	s_cbranch_execz .LBB1071_225
; %bb.220:
	;; [unrolled: 5-line block ×3, first 2 shown]
	v_mov_b32_e32 v0, 0
	s_waitcnt lgkmcnt(0)
	global_store_short v0, v9, s[14:15]
                                        ; implicit-def: $vgpr6
.LBB1071_222:
	s_andn2_saveexec_b64 s[4:5], s[4:5]
	s_cbranch_execz .LBB1071_224
; %bb.223:
	v_mov_b32_e32 v0, 0
	s_waitcnt lgkmcnt(0)
	global_store_short v0, v6, s[14:15]
.LBB1071_224:
	s_or_b64 exec, exec, s[4:5]
                                        ; implicit-def: $vgpr8
.LBB1071_225:
	s_andn2_saveexec_b64 s[2:3], s[2:3]
	s_cbranch_execz .LBB1071_227
; %bb.226:
	v_mov_b32_e32 v0, 0
	s_waitcnt lgkmcnt(0)
	global_store_short v0, v8, s[14:15]
.LBB1071_227:
	s_or_b64 exec, exec, s[2:3]
                                        ; implicit-def: $vgpr0_vgpr1
                                        ; implicit-def: $vgpr7
                                        ; implicit-def: $vgpr4
                                        ; implicit-def: $vgpr5
.LBB1071_228:
	s_andn2_saveexec_b64 s[0:1], s[0:1]
	s_cbranch_execz .LBB1071_152
; %bb.229:
	v_cmp_lt_i64_e32 vcc, 1, v[0:1]
	s_and_saveexec_b64 s[0:1], vcc
	s_xor_b64 s[0:1], exec, s[0:1]
	s_cbranch_execz .LBB1071_231
; %bb.230:
	v_mov_b32_e32 v0, 0
	s_waitcnt lgkmcnt(0)
	global_store_short v0, v7, s[14:15]
                                        ; implicit-def: $vgpr4
                                        ; implicit-def: $vgpr0_vgpr1
                                        ; implicit-def: $vgpr5
.LBB1071_231:
	s_andn2_saveexec_b64 s[0:1], s[0:1]
	s_cbranch_execz .LBB1071_152
; %bb.232:
	v_cmp_ne_u64_e32 vcc, 1, v[0:1]
	s_and_saveexec_b64 s[0:1], vcc
	s_xor_b64 s[0:1], exec, s[0:1]
	s_cbranch_execz .LBB1071_234
; %bb.233:
	v_mov_b32_e32 v0, 0
	s_waitcnt lgkmcnt(0)
	global_store_short v0, v5, s[14:15]
                                        ; implicit-def: $vgpr4
.LBB1071_234:
	s_andn2_saveexec_b64 s[0:1], s[0:1]
	s_cbranch_execz .LBB1071_152
; %bb.235:
	v_mov_b32_e32 v0, 0
	s_waitcnt lgkmcnt(0)
	global_store_short v0, v4, s[14:15]
	s_endpgm
	.section	.rodata,"a",@progbits
	.p2align	6, 0x0
	.amdhsa_kernel _ZN7rocprim17ROCPRIM_400000_NS6detail17trampoline_kernelINS0_14default_configENS1_20scan_config_selectorIsEEZZNS1_9scan_implILNS1_25lookback_scan_determinismE0ELb0ELb0ES3_N6thrust23THRUST_200600_302600_NS6detail15normal_iteratorINS9_10device_ptrIsEEEESE_sNS9_4plusIsEEsEEDaPvRmT3_T4_T5_mT6_P12ihipStream_tbENKUlT_T0_E_clISt17integral_constantIbLb1EESU_EEDaSP_SQ_EUlSP_E_NS1_11comp_targetILNS1_3genE4ELNS1_11target_archE910ELNS1_3gpuE8ELNS1_3repE0EEENS1_30default_config_static_selectorELNS0_4arch9wavefront6targetE1EEEvT1_
		.amdhsa_group_segment_fixed_size 3072
		.amdhsa_private_segment_fixed_size 0
		.amdhsa_kernarg_size 96
		.amdhsa_user_sgpr_count 6
		.amdhsa_user_sgpr_private_segment_buffer 1
		.amdhsa_user_sgpr_dispatch_ptr 0
		.amdhsa_user_sgpr_queue_ptr 0
		.amdhsa_user_sgpr_kernarg_segment_ptr 1
		.amdhsa_user_sgpr_dispatch_id 0
		.amdhsa_user_sgpr_flat_scratch_init 0
		.amdhsa_user_sgpr_kernarg_preload_length 0
		.amdhsa_user_sgpr_kernarg_preload_offset 0
		.amdhsa_user_sgpr_private_segment_size 0
		.amdhsa_uses_dynamic_stack 0
		.amdhsa_system_sgpr_private_segment_wavefront_offset 0
		.amdhsa_system_sgpr_workgroup_id_x 1
		.amdhsa_system_sgpr_workgroup_id_y 0
		.amdhsa_system_sgpr_workgroup_id_z 0
		.amdhsa_system_sgpr_workgroup_info 0
		.amdhsa_system_vgpr_workitem_id 0
		.amdhsa_next_free_vgpr 54
		.amdhsa_next_free_sgpr 38
		.amdhsa_accum_offset 56
		.amdhsa_reserve_vcc 1
		.amdhsa_reserve_flat_scratch 0
		.amdhsa_float_round_mode_32 0
		.amdhsa_float_round_mode_16_64 0
		.amdhsa_float_denorm_mode_32 3
		.amdhsa_float_denorm_mode_16_64 3
		.amdhsa_dx10_clamp 1
		.amdhsa_ieee_mode 1
		.amdhsa_fp16_overflow 0
		.amdhsa_tg_split 0
		.amdhsa_exception_fp_ieee_invalid_op 0
		.amdhsa_exception_fp_denorm_src 0
		.amdhsa_exception_fp_ieee_div_zero 0
		.amdhsa_exception_fp_ieee_overflow 0
		.amdhsa_exception_fp_ieee_underflow 0
		.amdhsa_exception_fp_ieee_inexact 0
		.amdhsa_exception_int_div_zero 0
	.end_amdhsa_kernel
	.section	.text._ZN7rocprim17ROCPRIM_400000_NS6detail17trampoline_kernelINS0_14default_configENS1_20scan_config_selectorIsEEZZNS1_9scan_implILNS1_25lookback_scan_determinismE0ELb0ELb0ES3_N6thrust23THRUST_200600_302600_NS6detail15normal_iteratorINS9_10device_ptrIsEEEESE_sNS9_4plusIsEEsEEDaPvRmT3_T4_T5_mT6_P12ihipStream_tbENKUlT_T0_E_clISt17integral_constantIbLb1EESU_EEDaSP_SQ_EUlSP_E_NS1_11comp_targetILNS1_3genE4ELNS1_11target_archE910ELNS1_3gpuE8ELNS1_3repE0EEENS1_30default_config_static_selectorELNS0_4arch9wavefront6targetE1EEEvT1_,"axG",@progbits,_ZN7rocprim17ROCPRIM_400000_NS6detail17trampoline_kernelINS0_14default_configENS1_20scan_config_selectorIsEEZZNS1_9scan_implILNS1_25lookback_scan_determinismE0ELb0ELb0ES3_N6thrust23THRUST_200600_302600_NS6detail15normal_iteratorINS9_10device_ptrIsEEEESE_sNS9_4plusIsEEsEEDaPvRmT3_T4_T5_mT6_P12ihipStream_tbENKUlT_T0_E_clISt17integral_constantIbLb1EESU_EEDaSP_SQ_EUlSP_E_NS1_11comp_targetILNS1_3genE4ELNS1_11target_archE910ELNS1_3gpuE8ELNS1_3repE0EEENS1_30default_config_static_selectorELNS0_4arch9wavefront6targetE1EEEvT1_,comdat
.Lfunc_end1071:
	.size	_ZN7rocprim17ROCPRIM_400000_NS6detail17trampoline_kernelINS0_14default_configENS1_20scan_config_selectorIsEEZZNS1_9scan_implILNS1_25lookback_scan_determinismE0ELb0ELb0ES3_N6thrust23THRUST_200600_302600_NS6detail15normal_iteratorINS9_10device_ptrIsEEEESE_sNS9_4plusIsEEsEEDaPvRmT3_T4_T5_mT6_P12ihipStream_tbENKUlT_T0_E_clISt17integral_constantIbLb1EESU_EEDaSP_SQ_EUlSP_E_NS1_11comp_targetILNS1_3genE4ELNS1_11target_archE910ELNS1_3gpuE8ELNS1_3repE0EEENS1_30default_config_static_selectorELNS0_4arch9wavefront6targetE1EEEvT1_, .Lfunc_end1071-_ZN7rocprim17ROCPRIM_400000_NS6detail17trampoline_kernelINS0_14default_configENS1_20scan_config_selectorIsEEZZNS1_9scan_implILNS1_25lookback_scan_determinismE0ELb0ELb0ES3_N6thrust23THRUST_200600_302600_NS6detail15normal_iteratorINS9_10device_ptrIsEEEESE_sNS9_4plusIsEEsEEDaPvRmT3_T4_T5_mT6_P12ihipStream_tbENKUlT_T0_E_clISt17integral_constantIbLb1EESU_EEDaSP_SQ_EUlSP_E_NS1_11comp_targetILNS1_3genE4ELNS1_11target_archE910ELNS1_3gpuE8ELNS1_3repE0EEENS1_30default_config_static_selectorELNS0_4arch9wavefront6targetE1EEEvT1_
                                        ; -- End function
	.section	.AMDGPU.csdata,"",@progbits
; Kernel info:
; codeLenInByte = 8064
; NumSgprs: 42
; NumVgprs: 54
; NumAgprs: 0
; TotalNumVgprs: 54
; ScratchSize: 0
; MemoryBound: 0
; FloatMode: 240
; IeeeMode: 1
; LDSByteSize: 3072 bytes/workgroup (compile time only)
; SGPRBlocks: 5
; VGPRBlocks: 6
; NumSGPRsForWavesPerEU: 42
; NumVGPRsForWavesPerEU: 54
; AccumOffset: 56
; Occupancy: 6
; WaveLimiterHint : 1
; COMPUTE_PGM_RSRC2:SCRATCH_EN: 0
; COMPUTE_PGM_RSRC2:USER_SGPR: 6
; COMPUTE_PGM_RSRC2:TRAP_HANDLER: 0
; COMPUTE_PGM_RSRC2:TGID_X_EN: 1
; COMPUTE_PGM_RSRC2:TGID_Y_EN: 0
; COMPUTE_PGM_RSRC2:TGID_Z_EN: 0
; COMPUTE_PGM_RSRC2:TIDIG_COMP_CNT: 0
; COMPUTE_PGM_RSRC3_GFX90A:ACCUM_OFFSET: 13
; COMPUTE_PGM_RSRC3_GFX90A:TG_SPLIT: 0
	.section	.text._ZN7rocprim17ROCPRIM_400000_NS6detail17trampoline_kernelINS0_14default_configENS1_20scan_config_selectorIsEEZZNS1_9scan_implILNS1_25lookback_scan_determinismE0ELb0ELb0ES3_N6thrust23THRUST_200600_302600_NS6detail15normal_iteratorINS9_10device_ptrIsEEEESE_sNS9_4plusIsEEsEEDaPvRmT3_T4_T5_mT6_P12ihipStream_tbENKUlT_T0_E_clISt17integral_constantIbLb1EESU_EEDaSP_SQ_EUlSP_E_NS1_11comp_targetILNS1_3genE3ELNS1_11target_archE908ELNS1_3gpuE7ELNS1_3repE0EEENS1_30default_config_static_selectorELNS0_4arch9wavefront6targetE1EEEvT1_,"axG",@progbits,_ZN7rocprim17ROCPRIM_400000_NS6detail17trampoline_kernelINS0_14default_configENS1_20scan_config_selectorIsEEZZNS1_9scan_implILNS1_25lookback_scan_determinismE0ELb0ELb0ES3_N6thrust23THRUST_200600_302600_NS6detail15normal_iteratorINS9_10device_ptrIsEEEESE_sNS9_4plusIsEEsEEDaPvRmT3_T4_T5_mT6_P12ihipStream_tbENKUlT_T0_E_clISt17integral_constantIbLb1EESU_EEDaSP_SQ_EUlSP_E_NS1_11comp_targetILNS1_3genE3ELNS1_11target_archE908ELNS1_3gpuE7ELNS1_3repE0EEENS1_30default_config_static_selectorELNS0_4arch9wavefront6targetE1EEEvT1_,comdat
	.protected	_ZN7rocprim17ROCPRIM_400000_NS6detail17trampoline_kernelINS0_14default_configENS1_20scan_config_selectorIsEEZZNS1_9scan_implILNS1_25lookback_scan_determinismE0ELb0ELb0ES3_N6thrust23THRUST_200600_302600_NS6detail15normal_iteratorINS9_10device_ptrIsEEEESE_sNS9_4plusIsEEsEEDaPvRmT3_T4_T5_mT6_P12ihipStream_tbENKUlT_T0_E_clISt17integral_constantIbLb1EESU_EEDaSP_SQ_EUlSP_E_NS1_11comp_targetILNS1_3genE3ELNS1_11target_archE908ELNS1_3gpuE7ELNS1_3repE0EEENS1_30default_config_static_selectorELNS0_4arch9wavefront6targetE1EEEvT1_ ; -- Begin function _ZN7rocprim17ROCPRIM_400000_NS6detail17trampoline_kernelINS0_14default_configENS1_20scan_config_selectorIsEEZZNS1_9scan_implILNS1_25lookback_scan_determinismE0ELb0ELb0ES3_N6thrust23THRUST_200600_302600_NS6detail15normal_iteratorINS9_10device_ptrIsEEEESE_sNS9_4plusIsEEsEEDaPvRmT3_T4_T5_mT6_P12ihipStream_tbENKUlT_T0_E_clISt17integral_constantIbLb1EESU_EEDaSP_SQ_EUlSP_E_NS1_11comp_targetILNS1_3genE3ELNS1_11target_archE908ELNS1_3gpuE7ELNS1_3repE0EEENS1_30default_config_static_selectorELNS0_4arch9wavefront6targetE1EEEvT1_
	.globl	_ZN7rocprim17ROCPRIM_400000_NS6detail17trampoline_kernelINS0_14default_configENS1_20scan_config_selectorIsEEZZNS1_9scan_implILNS1_25lookback_scan_determinismE0ELb0ELb0ES3_N6thrust23THRUST_200600_302600_NS6detail15normal_iteratorINS9_10device_ptrIsEEEESE_sNS9_4plusIsEEsEEDaPvRmT3_T4_T5_mT6_P12ihipStream_tbENKUlT_T0_E_clISt17integral_constantIbLb1EESU_EEDaSP_SQ_EUlSP_E_NS1_11comp_targetILNS1_3genE3ELNS1_11target_archE908ELNS1_3gpuE7ELNS1_3repE0EEENS1_30default_config_static_selectorELNS0_4arch9wavefront6targetE1EEEvT1_
	.p2align	8
	.type	_ZN7rocprim17ROCPRIM_400000_NS6detail17trampoline_kernelINS0_14default_configENS1_20scan_config_selectorIsEEZZNS1_9scan_implILNS1_25lookback_scan_determinismE0ELb0ELb0ES3_N6thrust23THRUST_200600_302600_NS6detail15normal_iteratorINS9_10device_ptrIsEEEESE_sNS9_4plusIsEEsEEDaPvRmT3_T4_T5_mT6_P12ihipStream_tbENKUlT_T0_E_clISt17integral_constantIbLb1EESU_EEDaSP_SQ_EUlSP_E_NS1_11comp_targetILNS1_3genE3ELNS1_11target_archE908ELNS1_3gpuE7ELNS1_3repE0EEENS1_30default_config_static_selectorELNS0_4arch9wavefront6targetE1EEEvT1_,@function
_ZN7rocprim17ROCPRIM_400000_NS6detail17trampoline_kernelINS0_14default_configENS1_20scan_config_selectorIsEEZZNS1_9scan_implILNS1_25lookback_scan_determinismE0ELb0ELb0ES3_N6thrust23THRUST_200600_302600_NS6detail15normal_iteratorINS9_10device_ptrIsEEEESE_sNS9_4plusIsEEsEEDaPvRmT3_T4_T5_mT6_P12ihipStream_tbENKUlT_T0_E_clISt17integral_constantIbLb1EESU_EEDaSP_SQ_EUlSP_E_NS1_11comp_targetILNS1_3genE3ELNS1_11target_archE908ELNS1_3gpuE7ELNS1_3repE0EEENS1_30default_config_static_selectorELNS0_4arch9wavefront6targetE1EEEvT1_: ; @_ZN7rocprim17ROCPRIM_400000_NS6detail17trampoline_kernelINS0_14default_configENS1_20scan_config_selectorIsEEZZNS1_9scan_implILNS1_25lookback_scan_determinismE0ELb0ELb0ES3_N6thrust23THRUST_200600_302600_NS6detail15normal_iteratorINS9_10device_ptrIsEEEESE_sNS9_4plusIsEEsEEDaPvRmT3_T4_T5_mT6_P12ihipStream_tbENKUlT_T0_E_clISt17integral_constantIbLb1EESU_EEDaSP_SQ_EUlSP_E_NS1_11comp_targetILNS1_3genE3ELNS1_11target_archE908ELNS1_3gpuE7ELNS1_3repE0EEENS1_30default_config_static_selectorELNS0_4arch9wavefront6targetE1EEEvT1_
; %bb.0:
	.section	.rodata,"a",@progbits
	.p2align	6, 0x0
	.amdhsa_kernel _ZN7rocprim17ROCPRIM_400000_NS6detail17trampoline_kernelINS0_14default_configENS1_20scan_config_selectorIsEEZZNS1_9scan_implILNS1_25lookback_scan_determinismE0ELb0ELb0ES3_N6thrust23THRUST_200600_302600_NS6detail15normal_iteratorINS9_10device_ptrIsEEEESE_sNS9_4plusIsEEsEEDaPvRmT3_T4_T5_mT6_P12ihipStream_tbENKUlT_T0_E_clISt17integral_constantIbLb1EESU_EEDaSP_SQ_EUlSP_E_NS1_11comp_targetILNS1_3genE3ELNS1_11target_archE908ELNS1_3gpuE7ELNS1_3repE0EEENS1_30default_config_static_selectorELNS0_4arch9wavefront6targetE1EEEvT1_
		.amdhsa_group_segment_fixed_size 0
		.amdhsa_private_segment_fixed_size 0
		.amdhsa_kernarg_size 96
		.amdhsa_user_sgpr_count 6
		.amdhsa_user_sgpr_private_segment_buffer 1
		.amdhsa_user_sgpr_dispatch_ptr 0
		.amdhsa_user_sgpr_queue_ptr 0
		.amdhsa_user_sgpr_kernarg_segment_ptr 1
		.amdhsa_user_sgpr_dispatch_id 0
		.amdhsa_user_sgpr_flat_scratch_init 0
		.amdhsa_user_sgpr_kernarg_preload_length 0
		.amdhsa_user_sgpr_kernarg_preload_offset 0
		.amdhsa_user_sgpr_private_segment_size 0
		.amdhsa_uses_dynamic_stack 0
		.amdhsa_system_sgpr_private_segment_wavefront_offset 0
		.amdhsa_system_sgpr_workgroup_id_x 1
		.amdhsa_system_sgpr_workgroup_id_y 0
		.amdhsa_system_sgpr_workgroup_id_z 0
		.amdhsa_system_sgpr_workgroup_info 0
		.amdhsa_system_vgpr_workitem_id 0
		.amdhsa_next_free_vgpr 1
		.amdhsa_next_free_sgpr 0
		.amdhsa_accum_offset 4
		.amdhsa_reserve_vcc 0
		.amdhsa_reserve_flat_scratch 0
		.amdhsa_float_round_mode_32 0
		.amdhsa_float_round_mode_16_64 0
		.amdhsa_float_denorm_mode_32 3
		.amdhsa_float_denorm_mode_16_64 3
		.amdhsa_dx10_clamp 1
		.amdhsa_ieee_mode 1
		.amdhsa_fp16_overflow 0
		.amdhsa_tg_split 0
		.amdhsa_exception_fp_ieee_invalid_op 0
		.amdhsa_exception_fp_denorm_src 0
		.amdhsa_exception_fp_ieee_div_zero 0
		.amdhsa_exception_fp_ieee_overflow 0
		.amdhsa_exception_fp_ieee_underflow 0
		.amdhsa_exception_fp_ieee_inexact 0
		.amdhsa_exception_int_div_zero 0
	.end_amdhsa_kernel
	.section	.text._ZN7rocprim17ROCPRIM_400000_NS6detail17trampoline_kernelINS0_14default_configENS1_20scan_config_selectorIsEEZZNS1_9scan_implILNS1_25lookback_scan_determinismE0ELb0ELb0ES3_N6thrust23THRUST_200600_302600_NS6detail15normal_iteratorINS9_10device_ptrIsEEEESE_sNS9_4plusIsEEsEEDaPvRmT3_T4_T5_mT6_P12ihipStream_tbENKUlT_T0_E_clISt17integral_constantIbLb1EESU_EEDaSP_SQ_EUlSP_E_NS1_11comp_targetILNS1_3genE3ELNS1_11target_archE908ELNS1_3gpuE7ELNS1_3repE0EEENS1_30default_config_static_selectorELNS0_4arch9wavefront6targetE1EEEvT1_,"axG",@progbits,_ZN7rocprim17ROCPRIM_400000_NS6detail17trampoline_kernelINS0_14default_configENS1_20scan_config_selectorIsEEZZNS1_9scan_implILNS1_25lookback_scan_determinismE0ELb0ELb0ES3_N6thrust23THRUST_200600_302600_NS6detail15normal_iteratorINS9_10device_ptrIsEEEESE_sNS9_4plusIsEEsEEDaPvRmT3_T4_T5_mT6_P12ihipStream_tbENKUlT_T0_E_clISt17integral_constantIbLb1EESU_EEDaSP_SQ_EUlSP_E_NS1_11comp_targetILNS1_3genE3ELNS1_11target_archE908ELNS1_3gpuE7ELNS1_3repE0EEENS1_30default_config_static_selectorELNS0_4arch9wavefront6targetE1EEEvT1_,comdat
.Lfunc_end1072:
	.size	_ZN7rocprim17ROCPRIM_400000_NS6detail17trampoline_kernelINS0_14default_configENS1_20scan_config_selectorIsEEZZNS1_9scan_implILNS1_25lookback_scan_determinismE0ELb0ELb0ES3_N6thrust23THRUST_200600_302600_NS6detail15normal_iteratorINS9_10device_ptrIsEEEESE_sNS9_4plusIsEEsEEDaPvRmT3_T4_T5_mT6_P12ihipStream_tbENKUlT_T0_E_clISt17integral_constantIbLb1EESU_EEDaSP_SQ_EUlSP_E_NS1_11comp_targetILNS1_3genE3ELNS1_11target_archE908ELNS1_3gpuE7ELNS1_3repE0EEENS1_30default_config_static_selectorELNS0_4arch9wavefront6targetE1EEEvT1_, .Lfunc_end1072-_ZN7rocprim17ROCPRIM_400000_NS6detail17trampoline_kernelINS0_14default_configENS1_20scan_config_selectorIsEEZZNS1_9scan_implILNS1_25lookback_scan_determinismE0ELb0ELb0ES3_N6thrust23THRUST_200600_302600_NS6detail15normal_iteratorINS9_10device_ptrIsEEEESE_sNS9_4plusIsEEsEEDaPvRmT3_T4_T5_mT6_P12ihipStream_tbENKUlT_T0_E_clISt17integral_constantIbLb1EESU_EEDaSP_SQ_EUlSP_E_NS1_11comp_targetILNS1_3genE3ELNS1_11target_archE908ELNS1_3gpuE7ELNS1_3repE0EEENS1_30default_config_static_selectorELNS0_4arch9wavefront6targetE1EEEvT1_
                                        ; -- End function
	.section	.AMDGPU.csdata,"",@progbits
; Kernel info:
; codeLenInByte = 0
; NumSgprs: 4
; NumVgprs: 0
; NumAgprs: 0
; TotalNumVgprs: 0
; ScratchSize: 0
; MemoryBound: 0
; FloatMode: 240
; IeeeMode: 1
; LDSByteSize: 0 bytes/workgroup (compile time only)
; SGPRBlocks: 0
; VGPRBlocks: 0
; NumSGPRsForWavesPerEU: 4
; NumVGPRsForWavesPerEU: 1
; AccumOffset: 4
; Occupancy: 8
; WaveLimiterHint : 0
; COMPUTE_PGM_RSRC2:SCRATCH_EN: 0
; COMPUTE_PGM_RSRC2:USER_SGPR: 6
; COMPUTE_PGM_RSRC2:TRAP_HANDLER: 0
; COMPUTE_PGM_RSRC2:TGID_X_EN: 1
; COMPUTE_PGM_RSRC2:TGID_Y_EN: 0
; COMPUTE_PGM_RSRC2:TGID_Z_EN: 0
; COMPUTE_PGM_RSRC2:TIDIG_COMP_CNT: 0
; COMPUTE_PGM_RSRC3_GFX90A:ACCUM_OFFSET: 0
; COMPUTE_PGM_RSRC3_GFX90A:TG_SPLIT: 0
	.section	.text._ZN7rocprim17ROCPRIM_400000_NS6detail17trampoline_kernelINS0_14default_configENS1_20scan_config_selectorIsEEZZNS1_9scan_implILNS1_25lookback_scan_determinismE0ELb0ELb0ES3_N6thrust23THRUST_200600_302600_NS6detail15normal_iteratorINS9_10device_ptrIsEEEESE_sNS9_4plusIsEEsEEDaPvRmT3_T4_T5_mT6_P12ihipStream_tbENKUlT_T0_E_clISt17integral_constantIbLb1EESU_EEDaSP_SQ_EUlSP_E_NS1_11comp_targetILNS1_3genE2ELNS1_11target_archE906ELNS1_3gpuE6ELNS1_3repE0EEENS1_30default_config_static_selectorELNS0_4arch9wavefront6targetE1EEEvT1_,"axG",@progbits,_ZN7rocprim17ROCPRIM_400000_NS6detail17trampoline_kernelINS0_14default_configENS1_20scan_config_selectorIsEEZZNS1_9scan_implILNS1_25lookback_scan_determinismE0ELb0ELb0ES3_N6thrust23THRUST_200600_302600_NS6detail15normal_iteratorINS9_10device_ptrIsEEEESE_sNS9_4plusIsEEsEEDaPvRmT3_T4_T5_mT6_P12ihipStream_tbENKUlT_T0_E_clISt17integral_constantIbLb1EESU_EEDaSP_SQ_EUlSP_E_NS1_11comp_targetILNS1_3genE2ELNS1_11target_archE906ELNS1_3gpuE6ELNS1_3repE0EEENS1_30default_config_static_selectorELNS0_4arch9wavefront6targetE1EEEvT1_,comdat
	.protected	_ZN7rocprim17ROCPRIM_400000_NS6detail17trampoline_kernelINS0_14default_configENS1_20scan_config_selectorIsEEZZNS1_9scan_implILNS1_25lookback_scan_determinismE0ELb0ELb0ES3_N6thrust23THRUST_200600_302600_NS6detail15normal_iteratorINS9_10device_ptrIsEEEESE_sNS9_4plusIsEEsEEDaPvRmT3_T4_T5_mT6_P12ihipStream_tbENKUlT_T0_E_clISt17integral_constantIbLb1EESU_EEDaSP_SQ_EUlSP_E_NS1_11comp_targetILNS1_3genE2ELNS1_11target_archE906ELNS1_3gpuE6ELNS1_3repE0EEENS1_30default_config_static_selectorELNS0_4arch9wavefront6targetE1EEEvT1_ ; -- Begin function _ZN7rocprim17ROCPRIM_400000_NS6detail17trampoline_kernelINS0_14default_configENS1_20scan_config_selectorIsEEZZNS1_9scan_implILNS1_25lookback_scan_determinismE0ELb0ELb0ES3_N6thrust23THRUST_200600_302600_NS6detail15normal_iteratorINS9_10device_ptrIsEEEESE_sNS9_4plusIsEEsEEDaPvRmT3_T4_T5_mT6_P12ihipStream_tbENKUlT_T0_E_clISt17integral_constantIbLb1EESU_EEDaSP_SQ_EUlSP_E_NS1_11comp_targetILNS1_3genE2ELNS1_11target_archE906ELNS1_3gpuE6ELNS1_3repE0EEENS1_30default_config_static_selectorELNS0_4arch9wavefront6targetE1EEEvT1_
	.globl	_ZN7rocprim17ROCPRIM_400000_NS6detail17trampoline_kernelINS0_14default_configENS1_20scan_config_selectorIsEEZZNS1_9scan_implILNS1_25lookback_scan_determinismE0ELb0ELb0ES3_N6thrust23THRUST_200600_302600_NS6detail15normal_iteratorINS9_10device_ptrIsEEEESE_sNS9_4plusIsEEsEEDaPvRmT3_T4_T5_mT6_P12ihipStream_tbENKUlT_T0_E_clISt17integral_constantIbLb1EESU_EEDaSP_SQ_EUlSP_E_NS1_11comp_targetILNS1_3genE2ELNS1_11target_archE906ELNS1_3gpuE6ELNS1_3repE0EEENS1_30default_config_static_selectorELNS0_4arch9wavefront6targetE1EEEvT1_
	.p2align	8
	.type	_ZN7rocprim17ROCPRIM_400000_NS6detail17trampoline_kernelINS0_14default_configENS1_20scan_config_selectorIsEEZZNS1_9scan_implILNS1_25lookback_scan_determinismE0ELb0ELb0ES3_N6thrust23THRUST_200600_302600_NS6detail15normal_iteratorINS9_10device_ptrIsEEEESE_sNS9_4plusIsEEsEEDaPvRmT3_T4_T5_mT6_P12ihipStream_tbENKUlT_T0_E_clISt17integral_constantIbLb1EESU_EEDaSP_SQ_EUlSP_E_NS1_11comp_targetILNS1_3genE2ELNS1_11target_archE906ELNS1_3gpuE6ELNS1_3repE0EEENS1_30default_config_static_selectorELNS0_4arch9wavefront6targetE1EEEvT1_,@function
_ZN7rocprim17ROCPRIM_400000_NS6detail17trampoline_kernelINS0_14default_configENS1_20scan_config_selectorIsEEZZNS1_9scan_implILNS1_25lookback_scan_determinismE0ELb0ELb0ES3_N6thrust23THRUST_200600_302600_NS6detail15normal_iteratorINS9_10device_ptrIsEEEESE_sNS9_4plusIsEEsEEDaPvRmT3_T4_T5_mT6_P12ihipStream_tbENKUlT_T0_E_clISt17integral_constantIbLb1EESU_EEDaSP_SQ_EUlSP_E_NS1_11comp_targetILNS1_3genE2ELNS1_11target_archE906ELNS1_3gpuE6ELNS1_3repE0EEENS1_30default_config_static_selectorELNS0_4arch9wavefront6targetE1EEEvT1_: ; @_ZN7rocprim17ROCPRIM_400000_NS6detail17trampoline_kernelINS0_14default_configENS1_20scan_config_selectorIsEEZZNS1_9scan_implILNS1_25lookback_scan_determinismE0ELb0ELb0ES3_N6thrust23THRUST_200600_302600_NS6detail15normal_iteratorINS9_10device_ptrIsEEEESE_sNS9_4plusIsEEsEEDaPvRmT3_T4_T5_mT6_P12ihipStream_tbENKUlT_T0_E_clISt17integral_constantIbLb1EESU_EEDaSP_SQ_EUlSP_E_NS1_11comp_targetILNS1_3genE2ELNS1_11target_archE906ELNS1_3gpuE6ELNS1_3repE0EEENS1_30default_config_static_selectorELNS0_4arch9wavefront6targetE1EEEvT1_
; %bb.0:
	.section	.rodata,"a",@progbits
	.p2align	6, 0x0
	.amdhsa_kernel _ZN7rocprim17ROCPRIM_400000_NS6detail17trampoline_kernelINS0_14default_configENS1_20scan_config_selectorIsEEZZNS1_9scan_implILNS1_25lookback_scan_determinismE0ELb0ELb0ES3_N6thrust23THRUST_200600_302600_NS6detail15normal_iteratorINS9_10device_ptrIsEEEESE_sNS9_4plusIsEEsEEDaPvRmT3_T4_T5_mT6_P12ihipStream_tbENKUlT_T0_E_clISt17integral_constantIbLb1EESU_EEDaSP_SQ_EUlSP_E_NS1_11comp_targetILNS1_3genE2ELNS1_11target_archE906ELNS1_3gpuE6ELNS1_3repE0EEENS1_30default_config_static_selectorELNS0_4arch9wavefront6targetE1EEEvT1_
		.amdhsa_group_segment_fixed_size 0
		.amdhsa_private_segment_fixed_size 0
		.amdhsa_kernarg_size 96
		.amdhsa_user_sgpr_count 6
		.amdhsa_user_sgpr_private_segment_buffer 1
		.amdhsa_user_sgpr_dispatch_ptr 0
		.amdhsa_user_sgpr_queue_ptr 0
		.amdhsa_user_sgpr_kernarg_segment_ptr 1
		.amdhsa_user_sgpr_dispatch_id 0
		.amdhsa_user_sgpr_flat_scratch_init 0
		.amdhsa_user_sgpr_kernarg_preload_length 0
		.amdhsa_user_sgpr_kernarg_preload_offset 0
		.amdhsa_user_sgpr_private_segment_size 0
		.amdhsa_uses_dynamic_stack 0
		.amdhsa_system_sgpr_private_segment_wavefront_offset 0
		.amdhsa_system_sgpr_workgroup_id_x 1
		.amdhsa_system_sgpr_workgroup_id_y 0
		.amdhsa_system_sgpr_workgroup_id_z 0
		.amdhsa_system_sgpr_workgroup_info 0
		.amdhsa_system_vgpr_workitem_id 0
		.amdhsa_next_free_vgpr 1
		.amdhsa_next_free_sgpr 0
		.amdhsa_accum_offset 4
		.amdhsa_reserve_vcc 0
		.amdhsa_reserve_flat_scratch 0
		.amdhsa_float_round_mode_32 0
		.amdhsa_float_round_mode_16_64 0
		.amdhsa_float_denorm_mode_32 3
		.amdhsa_float_denorm_mode_16_64 3
		.amdhsa_dx10_clamp 1
		.amdhsa_ieee_mode 1
		.amdhsa_fp16_overflow 0
		.amdhsa_tg_split 0
		.amdhsa_exception_fp_ieee_invalid_op 0
		.amdhsa_exception_fp_denorm_src 0
		.amdhsa_exception_fp_ieee_div_zero 0
		.amdhsa_exception_fp_ieee_overflow 0
		.amdhsa_exception_fp_ieee_underflow 0
		.amdhsa_exception_fp_ieee_inexact 0
		.amdhsa_exception_int_div_zero 0
	.end_amdhsa_kernel
	.section	.text._ZN7rocprim17ROCPRIM_400000_NS6detail17trampoline_kernelINS0_14default_configENS1_20scan_config_selectorIsEEZZNS1_9scan_implILNS1_25lookback_scan_determinismE0ELb0ELb0ES3_N6thrust23THRUST_200600_302600_NS6detail15normal_iteratorINS9_10device_ptrIsEEEESE_sNS9_4plusIsEEsEEDaPvRmT3_T4_T5_mT6_P12ihipStream_tbENKUlT_T0_E_clISt17integral_constantIbLb1EESU_EEDaSP_SQ_EUlSP_E_NS1_11comp_targetILNS1_3genE2ELNS1_11target_archE906ELNS1_3gpuE6ELNS1_3repE0EEENS1_30default_config_static_selectorELNS0_4arch9wavefront6targetE1EEEvT1_,"axG",@progbits,_ZN7rocprim17ROCPRIM_400000_NS6detail17trampoline_kernelINS0_14default_configENS1_20scan_config_selectorIsEEZZNS1_9scan_implILNS1_25lookback_scan_determinismE0ELb0ELb0ES3_N6thrust23THRUST_200600_302600_NS6detail15normal_iteratorINS9_10device_ptrIsEEEESE_sNS9_4plusIsEEsEEDaPvRmT3_T4_T5_mT6_P12ihipStream_tbENKUlT_T0_E_clISt17integral_constantIbLb1EESU_EEDaSP_SQ_EUlSP_E_NS1_11comp_targetILNS1_3genE2ELNS1_11target_archE906ELNS1_3gpuE6ELNS1_3repE0EEENS1_30default_config_static_selectorELNS0_4arch9wavefront6targetE1EEEvT1_,comdat
.Lfunc_end1073:
	.size	_ZN7rocprim17ROCPRIM_400000_NS6detail17trampoline_kernelINS0_14default_configENS1_20scan_config_selectorIsEEZZNS1_9scan_implILNS1_25lookback_scan_determinismE0ELb0ELb0ES3_N6thrust23THRUST_200600_302600_NS6detail15normal_iteratorINS9_10device_ptrIsEEEESE_sNS9_4plusIsEEsEEDaPvRmT3_T4_T5_mT6_P12ihipStream_tbENKUlT_T0_E_clISt17integral_constantIbLb1EESU_EEDaSP_SQ_EUlSP_E_NS1_11comp_targetILNS1_3genE2ELNS1_11target_archE906ELNS1_3gpuE6ELNS1_3repE0EEENS1_30default_config_static_selectorELNS0_4arch9wavefront6targetE1EEEvT1_, .Lfunc_end1073-_ZN7rocprim17ROCPRIM_400000_NS6detail17trampoline_kernelINS0_14default_configENS1_20scan_config_selectorIsEEZZNS1_9scan_implILNS1_25lookback_scan_determinismE0ELb0ELb0ES3_N6thrust23THRUST_200600_302600_NS6detail15normal_iteratorINS9_10device_ptrIsEEEESE_sNS9_4plusIsEEsEEDaPvRmT3_T4_T5_mT6_P12ihipStream_tbENKUlT_T0_E_clISt17integral_constantIbLb1EESU_EEDaSP_SQ_EUlSP_E_NS1_11comp_targetILNS1_3genE2ELNS1_11target_archE906ELNS1_3gpuE6ELNS1_3repE0EEENS1_30default_config_static_selectorELNS0_4arch9wavefront6targetE1EEEvT1_
                                        ; -- End function
	.section	.AMDGPU.csdata,"",@progbits
; Kernel info:
; codeLenInByte = 0
; NumSgprs: 4
; NumVgprs: 0
; NumAgprs: 0
; TotalNumVgprs: 0
; ScratchSize: 0
; MemoryBound: 0
; FloatMode: 240
; IeeeMode: 1
; LDSByteSize: 0 bytes/workgroup (compile time only)
; SGPRBlocks: 0
; VGPRBlocks: 0
; NumSGPRsForWavesPerEU: 4
; NumVGPRsForWavesPerEU: 1
; AccumOffset: 4
; Occupancy: 8
; WaveLimiterHint : 0
; COMPUTE_PGM_RSRC2:SCRATCH_EN: 0
; COMPUTE_PGM_RSRC2:USER_SGPR: 6
; COMPUTE_PGM_RSRC2:TRAP_HANDLER: 0
; COMPUTE_PGM_RSRC2:TGID_X_EN: 1
; COMPUTE_PGM_RSRC2:TGID_Y_EN: 0
; COMPUTE_PGM_RSRC2:TGID_Z_EN: 0
; COMPUTE_PGM_RSRC2:TIDIG_COMP_CNT: 0
; COMPUTE_PGM_RSRC3_GFX90A:ACCUM_OFFSET: 0
; COMPUTE_PGM_RSRC3_GFX90A:TG_SPLIT: 0
	.section	.text._ZN7rocprim17ROCPRIM_400000_NS6detail17trampoline_kernelINS0_14default_configENS1_20scan_config_selectorIsEEZZNS1_9scan_implILNS1_25lookback_scan_determinismE0ELb0ELb0ES3_N6thrust23THRUST_200600_302600_NS6detail15normal_iteratorINS9_10device_ptrIsEEEESE_sNS9_4plusIsEEsEEDaPvRmT3_T4_T5_mT6_P12ihipStream_tbENKUlT_T0_E_clISt17integral_constantIbLb1EESU_EEDaSP_SQ_EUlSP_E_NS1_11comp_targetILNS1_3genE10ELNS1_11target_archE1201ELNS1_3gpuE5ELNS1_3repE0EEENS1_30default_config_static_selectorELNS0_4arch9wavefront6targetE1EEEvT1_,"axG",@progbits,_ZN7rocprim17ROCPRIM_400000_NS6detail17trampoline_kernelINS0_14default_configENS1_20scan_config_selectorIsEEZZNS1_9scan_implILNS1_25lookback_scan_determinismE0ELb0ELb0ES3_N6thrust23THRUST_200600_302600_NS6detail15normal_iteratorINS9_10device_ptrIsEEEESE_sNS9_4plusIsEEsEEDaPvRmT3_T4_T5_mT6_P12ihipStream_tbENKUlT_T0_E_clISt17integral_constantIbLb1EESU_EEDaSP_SQ_EUlSP_E_NS1_11comp_targetILNS1_3genE10ELNS1_11target_archE1201ELNS1_3gpuE5ELNS1_3repE0EEENS1_30default_config_static_selectorELNS0_4arch9wavefront6targetE1EEEvT1_,comdat
	.protected	_ZN7rocprim17ROCPRIM_400000_NS6detail17trampoline_kernelINS0_14default_configENS1_20scan_config_selectorIsEEZZNS1_9scan_implILNS1_25lookback_scan_determinismE0ELb0ELb0ES3_N6thrust23THRUST_200600_302600_NS6detail15normal_iteratorINS9_10device_ptrIsEEEESE_sNS9_4plusIsEEsEEDaPvRmT3_T4_T5_mT6_P12ihipStream_tbENKUlT_T0_E_clISt17integral_constantIbLb1EESU_EEDaSP_SQ_EUlSP_E_NS1_11comp_targetILNS1_3genE10ELNS1_11target_archE1201ELNS1_3gpuE5ELNS1_3repE0EEENS1_30default_config_static_selectorELNS0_4arch9wavefront6targetE1EEEvT1_ ; -- Begin function _ZN7rocprim17ROCPRIM_400000_NS6detail17trampoline_kernelINS0_14default_configENS1_20scan_config_selectorIsEEZZNS1_9scan_implILNS1_25lookback_scan_determinismE0ELb0ELb0ES3_N6thrust23THRUST_200600_302600_NS6detail15normal_iteratorINS9_10device_ptrIsEEEESE_sNS9_4plusIsEEsEEDaPvRmT3_T4_T5_mT6_P12ihipStream_tbENKUlT_T0_E_clISt17integral_constantIbLb1EESU_EEDaSP_SQ_EUlSP_E_NS1_11comp_targetILNS1_3genE10ELNS1_11target_archE1201ELNS1_3gpuE5ELNS1_3repE0EEENS1_30default_config_static_selectorELNS0_4arch9wavefront6targetE1EEEvT1_
	.globl	_ZN7rocprim17ROCPRIM_400000_NS6detail17trampoline_kernelINS0_14default_configENS1_20scan_config_selectorIsEEZZNS1_9scan_implILNS1_25lookback_scan_determinismE0ELb0ELb0ES3_N6thrust23THRUST_200600_302600_NS6detail15normal_iteratorINS9_10device_ptrIsEEEESE_sNS9_4plusIsEEsEEDaPvRmT3_T4_T5_mT6_P12ihipStream_tbENKUlT_T0_E_clISt17integral_constantIbLb1EESU_EEDaSP_SQ_EUlSP_E_NS1_11comp_targetILNS1_3genE10ELNS1_11target_archE1201ELNS1_3gpuE5ELNS1_3repE0EEENS1_30default_config_static_selectorELNS0_4arch9wavefront6targetE1EEEvT1_
	.p2align	8
	.type	_ZN7rocprim17ROCPRIM_400000_NS6detail17trampoline_kernelINS0_14default_configENS1_20scan_config_selectorIsEEZZNS1_9scan_implILNS1_25lookback_scan_determinismE0ELb0ELb0ES3_N6thrust23THRUST_200600_302600_NS6detail15normal_iteratorINS9_10device_ptrIsEEEESE_sNS9_4plusIsEEsEEDaPvRmT3_T4_T5_mT6_P12ihipStream_tbENKUlT_T0_E_clISt17integral_constantIbLb1EESU_EEDaSP_SQ_EUlSP_E_NS1_11comp_targetILNS1_3genE10ELNS1_11target_archE1201ELNS1_3gpuE5ELNS1_3repE0EEENS1_30default_config_static_selectorELNS0_4arch9wavefront6targetE1EEEvT1_,@function
_ZN7rocprim17ROCPRIM_400000_NS6detail17trampoline_kernelINS0_14default_configENS1_20scan_config_selectorIsEEZZNS1_9scan_implILNS1_25lookback_scan_determinismE0ELb0ELb0ES3_N6thrust23THRUST_200600_302600_NS6detail15normal_iteratorINS9_10device_ptrIsEEEESE_sNS9_4plusIsEEsEEDaPvRmT3_T4_T5_mT6_P12ihipStream_tbENKUlT_T0_E_clISt17integral_constantIbLb1EESU_EEDaSP_SQ_EUlSP_E_NS1_11comp_targetILNS1_3genE10ELNS1_11target_archE1201ELNS1_3gpuE5ELNS1_3repE0EEENS1_30default_config_static_selectorELNS0_4arch9wavefront6targetE1EEEvT1_: ; @_ZN7rocprim17ROCPRIM_400000_NS6detail17trampoline_kernelINS0_14default_configENS1_20scan_config_selectorIsEEZZNS1_9scan_implILNS1_25lookback_scan_determinismE0ELb0ELb0ES3_N6thrust23THRUST_200600_302600_NS6detail15normal_iteratorINS9_10device_ptrIsEEEESE_sNS9_4plusIsEEsEEDaPvRmT3_T4_T5_mT6_P12ihipStream_tbENKUlT_T0_E_clISt17integral_constantIbLb1EESU_EEDaSP_SQ_EUlSP_E_NS1_11comp_targetILNS1_3genE10ELNS1_11target_archE1201ELNS1_3gpuE5ELNS1_3repE0EEENS1_30default_config_static_selectorELNS0_4arch9wavefront6targetE1EEEvT1_
; %bb.0:
	.section	.rodata,"a",@progbits
	.p2align	6, 0x0
	.amdhsa_kernel _ZN7rocprim17ROCPRIM_400000_NS6detail17trampoline_kernelINS0_14default_configENS1_20scan_config_selectorIsEEZZNS1_9scan_implILNS1_25lookback_scan_determinismE0ELb0ELb0ES3_N6thrust23THRUST_200600_302600_NS6detail15normal_iteratorINS9_10device_ptrIsEEEESE_sNS9_4plusIsEEsEEDaPvRmT3_T4_T5_mT6_P12ihipStream_tbENKUlT_T0_E_clISt17integral_constantIbLb1EESU_EEDaSP_SQ_EUlSP_E_NS1_11comp_targetILNS1_3genE10ELNS1_11target_archE1201ELNS1_3gpuE5ELNS1_3repE0EEENS1_30default_config_static_selectorELNS0_4arch9wavefront6targetE1EEEvT1_
		.amdhsa_group_segment_fixed_size 0
		.amdhsa_private_segment_fixed_size 0
		.amdhsa_kernarg_size 96
		.amdhsa_user_sgpr_count 6
		.amdhsa_user_sgpr_private_segment_buffer 1
		.amdhsa_user_sgpr_dispatch_ptr 0
		.amdhsa_user_sgpr_queue_ptr 0
		.amdhsa_user_sgpr_kernarg_segment_ptr 1
		.amdhsa_user_sgpr_dispatch_id 0
		.amdhsa_user_sgpr_flat_scratch_init 0
		.amdhsa_user_sgpr_kernarg_preload_length 0
		.amdhsa_user_sgpr_kernarg_preload_offset 0
		.amdhsa_user_sgpr_private_segment_size 0
		.amdhsa_uses_dynamic_stack 0
		.amdhsa_system_sgpr_private_segment_wavefront_offset 0
		.amdhsa_system_sgpr_workgroup_id_x 1
		.amdhsa_system_sgpr_workgroup_id_y 0
		.amdhsa_system_sgpr_workgroup_id_z 0
		.amdhsa_system_sgpr_workgroup_info 0
		.amdhsa_system_vgpr_workitem_id 0
		.amdhsa_next_free_vgpr 1
		.amdhsa_next_free_sgpr 0
		.amdhsa_accum_offset 4
		.amdhsa_reserve_vcc 0
		.amdhsa_reserve_flat_scratch 0
		.amdhsa_float_round_mode_32 0
		.amdhsa_float_round_mode_16_64 0
		.amdhsa_float_denorm_mode_32 3
		.amdhsa_float_denorm_mode_16_64 3
		.amdhsa_dx10_clamp 1
		.amdhsa_ieee_mode 1
		.amdhsa_fp16_overflow 0
		.amdhsa_tg_split 0
		.amdhsa_exception_fp_ieee_invalid_op 0
		.amdhsa_exception_fp_denorm_src 0
		.amdhsa_exception_fp_ieee_div_zero 0
		.amdhsa_exception_fp_ieee_overflow 0
		.amdhsa_exception_fp_ieee_underflow 0
		.amdhsa_exception_fp_ieee_inexact 0
		.amdhsa_exception_int_div_zero 0
	.end_amdhsa_kernel
	.section	.text._ZN7rocprim17ROCPRIM_400000_NS6detail17trampoline_kernelINS0_14default_configENS1_20scan_config_selectorIsEEZZNS1_9scan_implILNS1_25lookback_scan_determinismE0ELb0ELb0ES3_N6thrust23THRUST_200600_302600_NS6detail15normal_iteratorINS9_10device_ptrIsEEEESE_sNS9_4plusIsEEsEEDaPvRmT3_T4_T5_mT6_P12ihipStream_tbENKUlT_T0_E_clISt17integral_constantIbLb1EESU_EEDaSP_SQ_EUlSP_E_NS1_11comp_targetILNS1_3genE10ELNS1_11target_archE1201ELNS1_3gpuE5ELNS1_3repE0EEENS1_30default_config_static_selectorELNS0_4arch9wavefront6targetE1EEEvT1_,"axG",@progbits,_ZN7rocprim17ROCPRIM_400000_NS6detail17trampoline_kernelINS0_14default_configENS1_20scan_config_selectorIsEEZZNS1_9scan_implILNS1_25lookback_scan_determinismE0ELb0ELb0ES3_N6thrust23THRUST_200600_302600_NS6detail15normal_iteratorINS9_10device_ptrIsEEEESE_sNS9_4plusIsEEsEEDaPvRmT3_T4_T5_mT6_P12ihipStream_tbENKUlT_T0_E_clISt17integral_constantIbLb1EESU_EEDaSP_SQ_EUlSP_E_NS1_11comp_targetILNS1_3genE10ELNS1_11target_archE1201ELNS1_3gpuE5ELNS1_3repE0EEENS1_30default_config_static_selectorELNS0_4arch9wavefront6targetE1EEEvT1_,comdat
.Lfunc_end1074:
	.size	_ZN7rocprim17ROCPRIM_400000_NS6detail17trampoline_kernelINS0_14default_configENS1_20scan_config_selectorIsEEZZNS1_9scan_implILNS1_25lookback_scan_determinismE0ELb0ELb0ES3_N6thrust23THRUST_200600_302600_NS6detail15normal_iteratorINS9_10device_ptrIsEEEESE_sNS9_4plusIsEEsEEDaPvRmT3_T4_T5_mT6_P12ihipStream_tbENKUlT_T0_E_clISt17integral_constantIbLb1EESU_EEDaSP_SQ_EUlSP_E_NS1_11comp_targetILNS1_3genE10ELNS1_11target_archE1201ELNS1_3gpuE5ELNS1_3repE0EEENS1_30default_config_static_selectorELNS0_4arch9wavefront6targetE1EEEvT1_, .Lfunc_end1074-_ZN7rocprim17ROCPRIM_400000_NS6detail17trampoline_kernelINS0_14default_configENS1_20scan_config_selectorIsEEZZNS1_9scan_implILNS1_25lookback_scan_determinismE0ELb0ELb0ES3_N6thrust23THRUST_200600_302600_NS6detail15normal_iteratorINS9_10device_ptrIsEEEESE_sNS9_4plusIsEEsEEDaPvRmT3_T4_T5_mT6_P12ihipStream_tbENKUlT_T0_E_clISt17integral_constantIbLb1EESU_EEDaSP_SQ_EUlSP_E_NS1_11comp_targetILNS1_3genE10ELNS1_11target_archE1201ELNS1_3gpuE5ELNS1_3repE0EEENS1_30default_config_static_selectorELNS0_4arch9wavefront6targetE1EEEvT1_
                                        ; -- End function
	.section	.AMDGPU.csdata,"",@progbits
; Kernel info:
; codeLenInByte = 0
; NumSgprs: 4
; NumVgprs: 0
; NumAgprs: 0
; TotalNumVgprs: 0
; ScratchSize: 0
; MemoryBound: 0
; FloatMode: 240
; IeeeMode: 1
; LDSByteSize: 0 bytes/workgroup (compile time only)
; SGPRBlocks: 0
; VGPRBlocks: 0
; NumSGPRsForWavesPerEU: 4
; NumVGPRsForWavesPerEU: 1
; AccumOffset: 4
; Occupancy: 8
; WaveLimiterHint : 0
; COMPUTE_PGM_RSRC2:SCRATCH_EN: 0
; COMPUTE_PGM_RSRC2:USER_SGPR: 6
; COMPUTE_PGM_RSRC2:TRAP_HANDLER: 0
; COMPUTE_PGM_RSRC2:TGID_X_EN: 1
; COMPUTE_PGM_RSRC2:TGID_Y_EN: 0
; COMPUTE_PGM_RSRC2:TGID_Z_EN: 0
; COMPUTE_PGM_RSRC2:TIDIG_COMP_CNT: 0
; COMPUTE_PGM_RSRC3_GFX90A:ACCUM_OFFSET: 0
; COMPUTE_PGM_RSRC3_GFX90A:TG_SPLIT: 0
	.section	.text._ZN7rocprim17ROCPRIM_400000_NS6detail17trampoline_kernelINS0_14default_configENS1_20scan_config_selectorIsEEZZNS1_9scan_implILNS1_25lookback_scan_determinismE0ELb0ELb0ES3_N6thrust23THRUST_200600_302600_NS6detail15normal_iteratorINS9_10device_ptrIsEEEESE_sNS9_4plusIsEEsEEDaPvRmT3_T4_T5_mT6_P12ihipStream_tbENKUlT_T0_E_clISt17integral_constantIbLb1EESU_EEDaSP_SQ_EUlSP_E_NS1_11comp_targetILNS1_3genE10ELNS1_11target_archE1200ELNS1_3gpuE4ELNS1_3repE0EEENS1_30default_config_static_selectorELNS0_4arch9wavefront6targetE1EEEvT1_,"axG",@progbits,_ZN7rocprim17ROCPRIM_400000_NS6detail17trampoline_kernelINS0_14default_configENS1_20scan_config_selectorIsEEZZNS1_9scan_implILNS1_25lookback_scan_determinismE0ELb0ELb0ES3_N6thrust23THRUST_200600_302600_NS6detail15normal_iteratorINS9_10device_ptrIsEEEESE_sNS9_4plusIsEEsEEDaPvRmT3_T4_T5_mT6_P12ihipStream_tbENKUlT_T0_E_clISt17integral_constantIbLb1EESU_EEDaSP_SQ_EUlSP_E_NS1_11comp_targetILNS1_3genE10ELNS1_11target_archE1200ELNS1_3gpuE4ELNS1_3repE0EEENS1_30default_config_static_selectorELNS0_4arch9wavefront6targetE1EEEvT1_,comdat
	.protected	_ZN7rocprim17ROCPRIM_400000_NS6detail17trampoline_kernelINS0_14default_configENS1_20scan_config_selectorIsEEZZNS1_9scan_implILNS1_25lookback_scan_determinismE0ELb0ELb0ES3_N6thrust23THRUST_200600_302600_NS6detail15normal_iteratorINS9_10device_ptrIsEEEESE_sNS9_4plusIsEEsEEDaPvRmT3_T4_T5_mT6_P12ihipStream_tbENKUlT_T0_E_clISt17integral_constantIbLb1EESU_EEDaSP_SQ_EUlSP_E_NS1_11comp_targetILNS1_3genE10ELNS1_11target_archE1200ELNS1_3gpuE4ELNS1_3repE0EEENS1_30default_config_static_selectorELNS0_4arch9wavefront6targetE1EEEvT1_ ; -- Begin function _ZN7rocprim17ROCPRIM_400000_NS6detail17trampoline_kernelINS0_14default_configENS1_20scan_config_selectorIsEEZZNS1_9scan_implILNS1_25lookback_scan_determinismE0ELb0ELb0ES3_N6thrust23THRUST_200600_302600_NS6detail15normal_iteratorINS9_10device_ptrIsEEEESE_sNS9_4plusIsEEsEEDaPvRmT3_T4_T5_mT6_P12ihipStream_tbENKUlT_T0_E_clISt17integral_constantIbLb1EESU_EEDaSP_SQ_EUlSP_E_NS1_11comp_targetILNS1_3genE10ELNS1_11target_archE1200ELNS1_3gpuE4ELNS1_3repE0EEENS1_30default_config_static_selectorELNS0_4arch9wavefront6targetE1EEEvT1_
	.globl	_ZN7rocprim17ROCPRIM_400000_NS6detail17trampoline_kernelINS0_14default_configENS1_20scan_config_selectorIsEEZZNS1_9scan_implILNS1_25lookback_scan_determinismE0ELb0ELb0ES3_N6thrust23THRUST_200600_302600_NS6detail15normal_iteratorINS9_10device_ptrIsEEEESE_sNS9_4plusIsEEsEEDaPvRmT3_T4_T5_mT6_P12ihipStream_tbENKUlT_T0_E_clISt17integral_constantIbLb1EESU_EEDaSP_SQ_EUlSP_E_NS1_11comp_targetILNS1_3genE10ELNS1_11target_archE1200ELNS1_3gpuE4ELNS1_3repE0EEENS1_30default_config_static_selectorELNS0_4arch9wavefront6targetE1EEEvT1_
	.p2align	8
	.type	_ZN7rocprim17ROCPRIM_400000_NS6detail17trampoline_kernelINS0_14default_configENS1_20scan_config_selectorIsEEZZNS1_9scan_implILNS1_25lookback_scan_determinismE0ELb0ELb0ES3_N6thrust23THRUST_200600_302600_NS6detail15normal_iteratorINS9_10device_ptrIsEEEESE_sNS9_4plusIsEEsEEDaPvRmT3_T4_T5_mT6_P12ihipStream_tbENKUlT_T0_E_clISt17integral_constantIbLb1EESU_EEDaSP_SQ_EUlSP_E_NS1_11comp_targetILNS1_3genE10ELNS1_11target_archE1200ELNS1_3gpuE4ELNS1_3repE0EEENS1_30default_config_static_selectorELNS0_4arch9wavefront6targetE1EEEvT1_,@function
_ZN7rocprim17ROCPRIM_400000_NS6detail17trampoline_kernelINS0_14default_configENS1_20scan_config_selectorIsEEZZNS1_9scan_implILNS1_25lookback_scan_determinismE0ELb0ELb0ES3_N6thrust23THRUST_200600_302600_NS6detail15normal_iteratorINS9_10device_ptrIsEEEESE_sNS9_4plusIsEEsEEDaPvRmT3_T4_T5_mT6_P12ihipStream_tbENKUlT_T0_E_clISt17integral_constantIbLb1EESU_EEDaSP_SQ_EUlSP_E_NS1_11comp_targetILNS1_3genE10ELNS1_11target_archE1200ELNS1_3gpuE4ELNS1_3repE0EEENS1_30default_config_static_selectorELNS0_4arch9wavefront6targetE1EEEvT1_: ; @_ZN7rocprim17ROCPRIM_400000_NS6detail17trampoline_kernelINS0_14default_configENS1_20scan_config_selectorIsEEZZNS1_9scan_implILNS1_25lookback_scan_determinismE0ELb0ELb0ES3_N6thrust23THRUST_200600_302600_NS6detail15normal_iteratorINS9_10device_ptrIsEEEESE_sNS9_4plusIsEEsEEDaPvRmT3_T4_T5_mT6_P12ihipStream_tbENKUlT_T0_E_clISt17integral_constantIbLb1EESU_EEDaSP_SQ_EUlSP_E_NS1_11comp_targetILNS1_3genE10ELNS1_11target_archE1200ELNS1_3gpuE4ELNS1_3repE0EEENS1_30default_config_static_selectorELNS0_4arch9wavefront6targetE1EEEvT1_
; %bb.0:
	.section	.rodata,"a",@progbits
	.p2align	6, 0x0
	.amdhsa_kernel _ZN7rocprim17ROCPRIM_400000_NS6detail17trampoline_kernelINS0_14default_configENS1_20scan_config_selectorIsEEZZNS1_9scan_implILNS1_25lookback_scan_determinismE0ELb0ELb0ES3_N6thrust23THRUST_200600_302600_NS6detail15normal_iteratorINS9_10device_ptrIsEEEESE_sNS9_4plusIsEEsEEDaPvRmT3_T4_T5_mT6_P12ihipStream_tbENKUlT_T0_E_clISt17integral_constantIbLb1EESU_EEDaSP_SQ_EUlSP_E_NS1_11comp_targetILNS1_3genE10ELNS1_11target_archE1200ELNS1_3gpuE4ELNS1_3repE0EEENS1_30default_config_static_selectorELNS0_4arch9wavefront6targetE1EEEvT1_
		.amdhsa_group_segment_fixed_size 0
		.amdhsa_private_segment_fixed_size 0
		.amdhsa_kernarg_size 96
		.amdhsa_user_sgpr_count 6
		.amdhsa_user_sgpr_private_segment_buffer 1
		.amdhsa_user_sgpr_dispatch_ptr 0
		.amdhsa_user_sgpr_queue_ptr 0
		.amdhsa_user_sgpr_kernarg_segment_ptr 1
		.amdhsa_user_sgpr_dispatch_id 0
		.amdhsa_user_sgpr_flat_scratch_init 0
		.amdhsa_user_sgpr_kernarg_preload_length 0
		.amdhsa_user_sgpr_kernarg_preload_offset 0
		.amdhsa_user_sgpr_private_segment_size 0
		.amdhsa_uses_dynamic_stack 0
		.amdhsa_system_sgpr_private_segment_wavefront_offset 0
		.amdhsa_system_sgpr_workgroup_id_x 1
		.amdhsa_system_sgpr_workgroup_id_y 0
		.amdhsa_system_sgpr_workgroup_id_z 0
		.amdhsa_system_sgpr_workgroup_info 0
		.amdhsa_system_vgpr_workitem_id 0
		.amdhsa_next_free_vgpr 1
		.amdhsa_next_free_sgpr 0
		.amdhsa_accum_offset 4
		.amdhsa_reserve_vcc 0
		.amdhsa_reserve_flat_scratch 0
		.amdhsa_float_round_mode_32 0
		.amdhsa_float_round_mode_16_64 0
		.amdhsa_float_denorm_mode_32 3
		.amdhsa_float_denorm_mode_16_64 3
		.amdhsa_dx10_clamp 1
		.amdhsa_ieee_mode 1
		.amdhsa_fp16_overflow 0
		.amdhsa_tg_split 0
		.amdhsa_exception_fp_ieee_invalid_op 0
		.amdhsa_exception_fp_denorm_src 0
		.amdhsa_exception_fp_ieee_div_zero 0
		.amdhsa_exception_fp_ieee_overflow 0
		.amdhsa_exception_fp_ieee_underflow 0
		.amdhsa_exception_fp_ieee_inexact 0
		.amdhsa_exception_int_div_zero 0
	.end_amdhsa_kernel
	.section	.text._ZN7rocprim17ROCPRIM_400000_NS6detail17trampoline_kernelINS0_14default_configENS1_20scan_config_selectorIsEEZZNS1_9scan_implILNS1_25lookback_scan_determinismE0ELb0ELb0ES3_N6thrust23THRUST_200600_302600_NS6detail15normal_iteratorINS9_10device_ptrIsEEEESE_sNS9_4plusIsEEsEEDaPvRmT3_T4_T5_mT6_P12ihipStream_tbENKUlT_T0_E_clISt17integral_constantIbLb1EESU_EEDaSP_SQ_EUlSP_E_NS1_11comp_targetILNS1_3genE10ELNS1_11target_archE1200ELNS1_3gpuE4ELNS1_3repE0EEENS1_30default_config_static_selectorELNS0_4arch9wavefront6targetE1EEEvT1_,"axG",@progbits,_ZN7rocprim17ROCPRIM_400000_NS6detail17trampoline_kernelINS0_14default_configENS1_20scan_config_selectorIsEEZZNS1_9scan_implILNS1_25lookback_scan_determinismE0ELb0ELb0ES3_N6thrust23THRUST_200600_302600_NS6detail15normal_iteratorINS9_10device_ptrIsEEEESE_sNS9_4plusIsEEsEEDaPvRmT3_T4_T5_mT6_P12ihipStream_tbENKUlT_T0_E_clISt17integral_constantIbLb1EESU_EEDaSP_SQ_EUlSP_E_NS1_11comp_targetILNS1_3genE10ELNS1_11target_archE1200ELNS1_3gpuE4ELNS1_3repE0EEENS1_30default_config_static_selectorELNS0_4arch9wavefront6targetE1EEEvT1_,comdat
.Lfunc_end1075:
	.size	_ZN7rocprim17ROCPRIM_400000_NS6detail17trampoline_kernelINS0_14default_configENS1_20scan_config_selectorIsEEZZNS1_9scan_implILNS1_25lookback_scan_determinismE0ELb0ELb0ES3_N6thrust23THRUST_200600_302600_NS6detail15normal_iteratorINS9_10device_ptrIsEEEESE_sNS9_4plusIsEEsEEDaPvRmT3_T4_T5_mT6_P12ihipStream_tbENKUlT_T0_E_clISt17integral_constantIbLb1EESU_EEDaSP_SQ_EUlSP_E_NS1_11comp_targetILNS1_3genE10ELNS1_11target_archE1200ELNS1_3gpuE4ELNS1_3repE0EEENS1_30default_config_static_selectorELNS0_4arch9wavefront6targetE1EEEvT1_, .Lfunc_end1075-_ZN7rocprim17ROCPRIM_400000_NS6detail17trampoline_kernelINS0_14default_configENS1_20scan_config_selectorIsEEZZNS1_9scan_implILNS1_25lookback_scan_determinismE0ELb0ELb0ES3_N6thrust23THRUST_200600_302600_NS6detail15normal_iteratorINS9_10device_ptrIsEEEESE_sNS9_4plusIsEEsEEDaPvRmT3_T4_T5_mT6_P12ihipStream_tbENKUlT_T0_E_clISt17integral_constantIbLb1EESU_EEDaSP_SQ_EUlSP_E_NS1_11comp_targetILNS1_3genE10ELNS1_11target_archE1200ELNS1_3gpuE4ELNS1_3repE0EEENS1_30default_config_static_selectorELNS0_4arch9wavefront6targetE1EEEvT1_
                                        ; -- End function
	.section	.AMDGPU.csdata,"",@progbits
; Kernel info:
; codeLenInByte = 0
; NumSgprs: 4
; NumVgprs: 0
; NumAgprs: 0
; TotalNumVgprs: 0
; ScratchSize: 0
; MemoryBound: 0
; FloatMode: 240
; IeeeMode: 1
; LDSByteSize: 0 bytes/workgroup (compile time only)
; SGPRBlocks: 0
; VGPRBlocks: 0
; NumSGPRsForWavesPerEU: 4
; NumVGPRsForWavesPerEU: 1
; AccumOffset: 4
; Occupancy: 8
; WaveLimiterHint : 0
; COMPUTE_PGM_RSRC2:SCRATCH_EN: 0
; COMPUTE_PGM_RSRC2:USER_SGPR: 6
; COMPUTE_PGM_RSRC2:TRAP_HANDLER: 0
; COMPUTE_PGM_RSRC2:TGID_X_EN: 1
; COMPUTE_PGM_RSRC2:TGID_Y_EN: 0
; COMPUTE_PGM_RSRC2:TGID_Z_EN: 0
; COMPUTE_PGM_RSRC2:TIDIG_COMP_CNT: 0
; COMPUTE_PGM_RSRC3_GFX90A:ACCUM_OFFSET: 0
; COMPUTE_PGM_RSRC3_GFX90A:TG_SPLIT: 0
	.section	.text._ZN7rocprim17ROCPRIM_400000_NS6detail17trampoline_kernelINS0_14default_configENS1_20scan_config_selectorIsEEZZNS1_9scan_implILNS1_25lookback_scan_determinismE0ELb0ELb0ES3_N6thrust23THRUST_200600_302600_NS6detail15normal_iteratorINS9_10device_ptrIsEEEESE_sNS9_4plusIsEEsEEDaPvRmT3_T4_T5_mT6_P12ihipStream_tbENKUlT_T0_E_clISt17integral_constantIbLb1EESU_EEDaSP_SQ_EUlSP_E_NS1_11comp_targetILNS1_3genE9ELNS1_11target_archE1100ELNS1_3gpuE3ELNS1_3repE0EEENS1_30default_config_static_selectorELNS0_4arch9wavefront6targetE1EEEvT1_,"axG",@progbits,_ZN7rocprim17ROCPRIM_400000_NS6detail17trampoline_kernelINS0_14default_configENS1_20scan_config_selectorIsEEZZNS1_9scan_implILNS1_25lookback_scan_determinismE0ELb0ELb0ES3_N6thrust23THRUST_200600_302600_NS6detail15normal_iteratorINS9_10device_ptrIsEEEESE_sNS9_4plusIsEEsEEDaPvRmT3_T4_T5_mT6_P12ihipStream_tbENKUlT_T0_E_clISt17integral_constantIbLb1EESU_EEDaSP_SQ_EUlSP_E_NS1_11comp_targetILNS1_3genE9ELNS1_11target_archE1100ELNS1_3gpuE3ELNS1_3repE0EEENS1_30default_config_static_selectorELNS0_4arch9wavefront6targetE1EEEvT1_,comdat
	.protected	_ZN7rocprim17ROCPRIM_400000_NS6detail17trampoline_kernelINS0_14default_configENS1_20scan_config_selectorIsEEZZNS1_9scan_implILNS1_25lookback_scan_determinismE0ELb0ELb0ES3_N6thrust23THRUST_200600_302600_NS6detail15normal_iteratorINS9_10device_ptrIsEEEESE_sNS9_4plusIsEEsEEDaPvRmT3_T4_T5_mT6_P12ihipStream_tbENKUlT_T0_E_clISt17integral_constantIbLb1EESU_EEDaSP_SQ_EUlSP_E_NS1_11comp_targetILNS1_3genE9ELNS1_11target_archE1100ELNS1_3gpuE3ELNS1_3repE0EEENS1_30default_config_static_selectorELNS0_4arch9wavefront6targetE1EEEvT1_ ; -- Begin function _ZN7rocprim17ROCPRIM_400000_NS6detail17trampoline_kernelINS0_14default_configENS1_20scan_config_selectorIsEEZZNS1_9scan_implILNS1_25lookback_scan_determinismE0ELb0ELb0ES3_N6thrust23THRUST_200600_302600_NS6detail15normal_iteratorINS9_10device_ptrIsEEEESE_sNS9_4plusIsEEsEEDaPvRmT3_T4_T5_mT6_P12ihipStream_tbENKUlT_T0_E_clISt17integral_constantIbLb1EESU_EEDaSP_SQ_EUlSP_E_NS1_11comp_targetILNS1_3genE9ELNS1_11target_archE1100ELNS1_3gpuE3ELNS1_3repE0EEENS1_30default_config_static_selectorELNS0_4arch9wavefront6targetE1EEEvT1_
	.globl	_ZN7rocprim17ROCPRIM_400000_NS6detail17trampoline_kernelINS0_14default_configENS1_20scan_config_selectorIsEEZZNS1_9scan_implILNS1_25lookback_scan_determinismE0ELb0ELb0ES3_N6thrust23THRUST_200600_302600_NS6detail15normal_iteratorINS9_10device_ptrIsEEEESE_sNS9_4plusIsEEsEEDaPvRmT3_T4_T5_mT6_P12ihipStream_tbENKUlT_T0_E_clISt17integral_constantIbLb1EESU_EEDaSP_SQ_EUlSP_E_NS1_11comp_targetILNS1_3genE9ELNS1_11target_archE1100ELNS1_3gpuE3ELNS1_3repE0EEENS1_30default_config_static_selectorELNS0_4arch9wavefront6targetE1EEEvT1_
	.p2align	8
	.type	_ZN7rocprim17ROCPRIM_400000_NS6detail17trampoline_kernelINS0_14default_configENS1_20scan_config_selectorIsEEZZNS1_9scan_implILNS1_25lookback_scan_determinismE0ELb0ELb0ES3_N6thrust23THRUST_200600_302600_NS6detail15normal_iteratorINS9_10device_ptrIsEEEESE_sNS9_4plusIsEEsEEDaPvRmT3_T4_T5_mT6_P12ihipStream_tbENKUlT_T0_E_clISt17integral_constantIbLb1EESU_EEDaSP_SQ_EUlSP_E_NS1_11comp_targetILNS1_3genE9ELNS1_11target_archE1100ELNS1_3gpuE3ELNS1_3repE0EEENS1_30default_config_static_selectorELNS0_4arch9wavefront6targetE1EEEvT1_,@function
_ZN7rocprim17ROCPRIM_400000_NS6detail17trampoline_kernelINS0_14default_configENS1_20scan_config_selectorIsEEZZNS1_9scan_implILNS1_25lookback_scan_determinismE0ELb0ELb0ES3_N6thrust23THRUST_200600_302600_NS6detail15normal_iteratorINS9_10device_ptrIsEEEESE_sNS9_4plusIsEEsEEDaPvRmT3_T4_T5_mT6_P12ihipStream_tbENKUlT_T0_E_clISt17integral_constantIbLb1EESU_EEDaSP_SQ_EUlSP_E_NS1_11comp_targetILNS1_3genE9ELNS1_11target_archE1100ELNS1_3gpuE3ELNS1_3repE0EEENS1_30default_config_static_selectorELNS0_4arch9wavefront6targetE1EEEvT1_: ; @_ZN7rocprim17ROCPRIM_400000_NS6detail17trampoline_kernelINS0_14default_configENS1_20scan_config_selectorIsEEZZNS1_9scan_implILNS1_25lookback_scan_determinismE0ELb0ELb0ES3_N6thrust23THRUST_200600_302600_NS6detail15normal_iteratorINS9_10device_ptrIsEEEESE_sNS9_4plusIsEEsEEDaPvRmT3_T4_T5_mT6_P12ihipStream_tbENKUlT_T0_E_clISt17integral_constantIbLb1EESU_EEDaSP_SQ_EUlSP_E_NS1_11comp_targetILNS1_3genE9ELNS1_11target_archE1100ELNS1_3gpuE3ELNS1_3repE0EEENS1_30default_config_static_selectorELNS0_4arch9wavefront6targetE1EEEvT1_
; %bb.0:
	.section	.rodata,"a",@progbits
	.p2align	6, 0x0
	.amdhsa_kernel _ZN7rocprim17ROCPRIM_400000_NS6detail17trampoline_kernelINS0_14default_configENS1_20scan_config_selectorIsEEZZNS1_9scan_implILNS1_25lookback_scan_determinismE0ELb0ELb0ES3_N6thrust23THRUST_200600_302600_NS6detail15normal_iteratorINS9_10device_ptrIsEEEESE_sNS9_4plusIsEEsEEDaPvRmT3_T4_T5_mT6_P12ihipStream_tbENKUlT_T0_E_clISt17integral_constantIbLb1EESU_EEDaSP_SQ_EUlSP_E_NS1_11comp_targetILNS1_3genE9ELNS1_11target_archE1100ELNS1_3gpuE3ELNS1_3repE0EEENS1_30default_config_static_selectorELNS0_4arch9wavefront6targetE1EEEvT1_
		.amdhsa_group_segment_fixed_size 0
		.amdhsa_private_segment_fixed_size 0
		.amdhsa_kernarg_size 96
		.amdhsa_user_sgpr_count 6
		.amdhsa_user_sgpr_private_segment_buffer 1
		.amdhsa_user_sgpr_dispatch_ptr 0
		.amdhsa_user_sgpr_queue_ptr 0
		.amdhsa_user_sgpr_kernarg_segment_ptr 1
		.amdhsa_user_sgpr_dispatch_id 0
		.amdhsa_user_sgpr_flat_scratch_init 0
		.amdhsa_user_sgpr_kernarg_preload_length 0
		.amdhsa_user_sgpr_kernarg_preload_offset 0
		.amdhsa_user_sgpr_private_segment_size 0
		.amdhsa_uses_dynamic_stack 0
		.amdhsa_system_sgpr_private_segment_wavefront_offset 0
		.amdhsa_system_sgpr_workgroup_id_x 1
		.amdhsa_system_sgpr_workgroup_id_y 0
		.amdhsa_system_sgpr_workgroup_id_z 0
		.amdhsa_system_sgpr_workgroup_info 0
		.amdhsa_system_vgpr_workitem_id 0
		.amdhsa_next_free_vgpr 1
		.amdhsa_next_free_sgpr 0
		.amdhsa_accum_offset 4
		.amdhsa_reserve_vcc 0
		.amdhsa_reserve_flat_scratch 0
		.amdhsa_float_round_mode_32 0
		.amdhsa_float_round_mode_16_64 0
		.amdhsa_float_denorm_mode_32 3
		.amdhsa_float_denorm_mode_16_64 3
		.amdhsa_dx10_clamp 1
		.amdhsa_ieee_mode 1
		.amdhsa_fp16_overflow 0
		.amdhsa_tg_split 0
		.amdhsa_exception_fp_ieee_invalid_op 0
		.amdhsa_exception_fp_denorm_src 0
		.amdhsa_exception_fp_ieee_div_zero 0
		.amdhsa_exception_fp_ieee_overflow 0
		.amdhsa_exception_fp_ieee_underflow 0
		.amdhsa_exception_fp_ieee_inexact 0
		.amdhsa_exception_int_div_zero 0
	.end_amdhsa_kernel
	.section	.text._ZN7rocprim17ROCPRIM_400000_NS6detail17trampoline_kernelINS0_14default_configENS1_20scan_config_selectorIsEEZZNS1_9scan_implILNS1_25lookback_scan_determinismE0ELb0ELb0ES3_N6thrust23THRUST_200600_302600_NS6detail15normal_iteratorINS9_10device_ptrIsEEEESE_sNS9_4plusIsEEsEEDaPvRmT3_T4_T5_mT6_P12ihipStream_tbENKUlT_T0_E_clISt17integral_constantIbLb1EESU_EEDaSP_SQ_EUlSP_E_NS1_11comp_targetILNS1_3genE9ELNS1_11target_archE1100ELNS1_3gpuE3ELNS1_3repE0EEENS1_30default_config_static_selectorELNS0_4arch9wavefront6targetE1EEEvT1_,"axG",@progbits,_ZN7rocprim17ROCPRIM_400000_NS6detail17trampoline_kernelINS0_14default_configENS1_20scan_config_selectorIsEEZZNS1_9scan_implILNS1_25lookback_scan_determinismE0ELb0ELb0ES3_N6thrust23THRUST_200600_302600_NS6detail15normal_iteratorINS9_10device_ptrIsEEEESE_sNS9_4plusIsEEsEEDaPvRmT3_T4_T5_mT6_P12ihipStream_tbENKUlT_T0_E_clISt17integral_constantIbLb1EESU_EEDaSP_SQ_EUlSP_E_NS1_11comp_targetILNS1_3genE9ELNS1_11target_archE1100ELNS1_3gpuE3ELNS1_3repE0EEENS1_30default_config_static_selectorELNS0_4arch9wavefront6targetE1EEEvT1_,comdat
.Lfunc_end1076:
	.size	_ZN7rocprim17ROCPRIM_400000_NS6detail17trampoline_kernelINS0_14default_configENS1_20scan_config_selectorIsEEZZNS1_9scan_implILNS1_25lookback_scan_determinismE0ELb0ELb0ES3_N6thrust23THRUST_200600_302600_NS6detail15normal_iteratorINS9_10device_ptrIsEEEESE_sNS9_4plusIsEEsEEDaPvRmT3_T4_T5_mT6_P12ihipStream_tbENKUlT_T0_E_clISt17integral_constantIbLb1EESU_EEDaSP_SQ_EUlSP_E_NS1_11comp_targetILNS1_3genE9ELNS1_11target_archE1100ELNS1_3gpuE3ELNS1_3repE0EEENS1_30default_config_static_selectorELNS0_4arch9wavefront6targetE1EEEvT1_, .Lfunc_end1076-_ZN7rocprim17ROCPRIM_400000_NS6detail17trampoline_kernelINS0_14default_configENS1_20scan_config_selectorIsEEZZNS1_9scan_implILNS1_25lookback_scan_determinismE0ELb0ELb0ES3_N6thrust23THRUST_200600_302600_NS6detail15normal_iteratorINS9_10device_ptrIsEEEESE_sNS9_4plusIsEEsEEDaPvRmT3_T4_T5_mT6_P12ihipStream_tbENKUlT_T0_E_clISt17integral_constantIbLb1EESU_EEDaSP_SQ_EUlSP_E_NS1_11comp_targetILNS1_3genE9ELNS1_11target_archE1100ELNS1_3gpuE3ELNS1_3repE0EEENS1_30default_config_static_selectorELNS0_4arch9wavefront6targetE1EEEvT1_
                                        ; -- End function
	.section	.AMDGPU.csdata,"",@progbits
; Kernel info:
; codeLenInByte = 0
; NumSgprs: 4
; NumVgprs: 0
; NumAgprs: 0
; TotalNumVgprs: 0
; ScratchSize: 0
; MemoryBound: 0
; FloatMode: 240
; IeeeMode: 1
; LDSByteSize: 0 bytes/workgroup (compile time only)
; SGPRBlocks: 0
; VGPRBlocks: 0
; NumSGPRsForWavesPerEU: 4
; NumVGPRsForWavesPerEU: 1
; AccumOffset: 4
; Occupancy: 8
; WaveLimiterHint : 0
; COMPUTE_PGM_RSRC2:SCRATCH_EN: 0
; COMPUTE_PGM_RSRC2:USER_SGPR: 6
; COMPUTE_PGM_RSRC2:TRAP_HANDLER: 0
; COMPUTE_PGM_RSRC2:TGID_X_EN: 1
; COMPUTE_PGM_RSRC2:TGID_Y_EN: 0
; COMPUTE_PGM_RSRC2:TGID_Z_EN: 0
; COMPUTE_PGM_RSRC2:TIDIG_COMP_CNT: 0
; COMPUTE_PGM_RSRC3_GFX90A:ACCUM_OFFSET: 0
; COMPUTE_PGM_RSRC3_GFX90A:TG_SPLIT: 0
	.section	.text._ZN7rocprim17ROCPRIM_400000_NS6detail17trampoline_kernelINS0_14default_configENS1_20scan_config_selectorIsEEZZNS1_9scan_implILNS1_25lookback_scan_determinismE0ELb0ELb0ES3_N6thrust23THRUST_200600_302600_NS6detail15normal_iteratorINS9_10device_ptrIsEEEESE_sNS9_4plusIsEEsEEDaPvRmT3_T4_T5_mT6_P12ihipStream_tbENKUlT_T0_E_clISt17integral_constantIbLb1EESU_EEDaSP_SQ_EUlSP_E_NS1_11comp_targetILNS1_3genE8ELNS1_11target_archE1030ELNS1_3gpuE2ELNS1_3repE0EEENS1_30default_config_static_selectorELNS0_4arch9wavefront6targetE1EEEvT1_,"axG",@progbits,_ZN7rocprim17ROCPRIM_400000_NS6detail17trampoline_kernelINS0_14default_configENS1_20scan_config_selectorIsEEZZNS1_9scan_implILNS1_25lookback_scan_determinismE0ELb0ELb0ES3_N6thrust23THRUST_200600_302600_NS6detail15normal_iteratorINS9_10device_ptrIsEEEESE_sNS9_4plusIsEEsEEDaPvRmT3_T4_T5_mT6_P12ihipStream_tbENKUlT_T0_E_clISt17integral_constantIbLb1EESU_EEDaSP_SQ_EUlSP_E_NS1_11comp_targetILNS1_3genE8ELNS1_11target_archE1030ELNS1_3gpuE2ELNS1_3repE0EEENS1_30default_config_static_selectorELNS0_4arch9wavefront6targetE1EEEvT1_,comdat
	.protected	_ZN7rocprim17ROCPRIM_400000_NS6detail17trampoline_kernelINS0_14default_configENS1_20scan_config_selectorIsEEZZNS1_9scan_implILNS1_25lookback_scan_determinismE0ELb0ELb0ES3_N6thrust23THRUST_200600_302600_NS6detail15normal_iteratorINS9_10device_ptrIsEEEESE_sNS9_4plusIsEEsEEDaPvRmT3_T4_T5_mT6_P12ihipStream_tbENKUlT_T0_E_clISt17integral_constantIbLb1EESU_EEDaSP_SQ_EUlSP_E_NS1_11comp_targetILNS1_3genE8ELNS1_11target_archE1030ELNS1_3gpuE2ELNS1_3repE0EEENS1_30default_config_static_selectorELNS0_4arch9wavefront6targetE1EEEvT1_ ; -- Begin function _ZN7rocprim17ROCPRIM_400000_NS6detail17trampoline_kernelINS0_14default_configENS1_20scan_config_selectorIsEEZZNS1_9scan_implILNS1_25lookback_scan_determinismE0ELb0ELb0ES3_N6thrust23THRUST_200600_302600_NS6detail15normal_iteratorINS9_10device_ptrIsEEEESE_sNS9_4plusIsEEsEEDaPvRmT3_T4_T5_mT6_P12ihipStream_tbENKUlT_T0_E_clISt17integral_constantIbLb1EESU_EEDaSP_SQ_EUlSP_E_NS1_11comp_targetILNS1_3genE8ELNS1_11target_archE1030ELNS1_3gpuE2ELNS1_3repE0EEENS1_30default_config_static_selectorELNS0_4arch9wavefront6targetE1EEEvT1_
	.globl	_ZN7rocprim17ROCPRIM_400000_NS6detail17trampoline_kernelINS0_14default_configENS1_20scan_config_selectorIsEEZZNS1_9scan_implILNS1_25lookback_scan_determinismE0ELb0ELb0ES3_N6thrust23THRUST_200600_302600_NS6detail15normal_iteratorINS9_10device_ptrIsEEEESE_sNS9_4plusIsEEsEEDaPvRmT3_T4_T5_mT6_P12ihipStream_tbENKUlT_T0_E_clISt17integral_constantIbLb1EESU_EEDaSP_SQ_EUlSP_E_NS1_11comp_targetILNS1_3genE8ELNS1_11target_archE1030ELNS1_3gpuE2ELNS1_3repE0EEENS1_30default_config_static_selectorELNS0_4arch9wavefront6targetE1EEEvT1_
	.p2align	8
	.type	_ZN7rocprim17ROCPRIM_400000_NS6detail17trampoline_kernelINS0_14default_configENS1_20scan_config_selectorIsEEZZNS1_9scan_implILNS1_25lookback_scan_determinismE0ELb0ELb0ES3_N6thrust23THRUST_200600_302600_NS6detail15normal_iteratorINS9_10device_ptrIsEEEESE_sNS9_4plusIsEEsEEDaPvRmT3_T4_T5_mT6_P12ihipStream_tbENKUlT_T0_E_clISt17integral_constantIbLb1EESU_EEDaSP_SQ_EUlSP_E_NS1_11comp_targetILNS1_3genE8ELNS1_11target_archE1030ELNS1_3gpuE2ELNS1_3repE0EEENS1_30default_config_static_selectorELNS0_4arch9wavefront6targetE1EEEvT1_,@function
_ZN7rocprim17ROCPRIM_400000_NS6detail17trampoline_kernelINS0_14default_configENS1_20scan_config_selectorIsEEZZNS1_9scan_implILNS1_25lookback_scan_determinismE0ELb0ELb0ES3_N6thrust23THRUST_200600_302600_NS6detail15normal_iteratorINS9_10device_ptrIsEEEESE_sNS9_4plusIsEEsEEDaPvRmT3_T4_T5_mT6_P12ihipStream_tbENKUlT_T0_E_clISt17integral_constantIbLb1EESU_EEDaSP_SQ_EUlSP_E_NS1_11comp_targetILNS1_3genE8ELNS1_11target_archE1030ELNS1_3gpuE2ELNS1_3repE0EEENS1_30default_config_static_selectorELNS0_4arch9wavefront6targetE1EEEvT1_: ; @_ZN7rocprim17ROCPRIM_400000_NS6detail17trampoline_kernelINS0_14default_configENS1_20scan_config_selectorIsEEZZNS1_9scan_implILNS1_25lookback_scan_determinismE0ELb0ELb0ES3_N6thrust23THRUST_200600_302600_NS6detail15normal_iteratorINS9_10device_ptrIsEEEESE_sNS9_4plusIsEEsEEDaPvRmT3_T4_T5_mT6_P12ihipStream_tbENKUlT_T0_E_clISt17integral_constantIbLb1EESU_EEDaSP_SQ_EUlSP_E_NS1_11comp_targetILNS1_3genE8ELNS1_11target_archE1030ELNS1_3gpuE2ELNS1_3repE0EEENS1_30default_config_static_selectorELNS0_4arch9wavefront6targetE1EEEvT1_
; %bb.0:
	.section	.rodata,"a",@progbits
	.p2align	6, 0x0
	.amdhsa_kernel _ZN7rocprim17ROCPRIM_400000_NS6detail17trampoline_kernelINS0_14default_configENS1_20scan_config_selectorIsEEZZNS1_9scan_implILNS1_25lookback_scan_determinismE0ELb0ELb0ES3_N6thrust23THRUST_200600_302600_NS6detail15normal_iteratorINS9_10device_ptrIsEEEESE_sNS9_4plusIsEEsEEDaPvRmT3_T4_T5_mT6_P12ihipStream_tbENKUlT_T0_E_clISt17integral_constantIbLb1EESU_EEDaSP_SQ_EUlSP_E_NS1_11comp_targetILNS1_3genE8ELNS1_11target_archE1030ELNS1_3gpuE2ELNS1_3repE0EEENS1_30default_config_static_selectorELNS0_4arch9wavefront6targetE1EEEvT1_
		.amdhsa_group_segment_fixed_size 0
		.amdhsa_private_segment_fixed_size 0
		.amdhsa_kernarg_size 96
		.amdhsa_user_sgpr_count 6
		.amdhsa_user_sgpr_private_segment_buffer 1
		.amdhsa_user_sgpr_dispatch_ptr 0
		.amdhsa_user_sgpr_queue_ptr 0
		.amdhsa_user_sgpr_kernarg_segment_ptr 1
		.amdhsa_user_sgpr_dispatch_id 0
		.amdhsa_user_sgpr_flat_scratch_init 0
		.amdhsa_user_sgpr_kernarg_preload_length 0
		.amdhsa_user_sgpr_kernarg_preload_offset 0
		.amdhsa_user_sgpr_private_segment_size 0
		.amdhsa_uses_dynamic_stack 0
		.amdhsa_system_sgpr_private_segment_wavefront_offset 0
		.amdhsa_system_sgpr_workgroup_id_x 1
		.amdhsa_system_sgpr_workgroup_id_y 0
		.amdhsa_system_sgpr_workgroup_id_z 0
		.amdhsa_system_sgpr_workgroup_info 0
		.amdhsa_system_vgpr_workitem_id 0
		.amdhsa_next_free_vgpr 1
		.amdhsa_next_free_sgpr 0
		.amdhsa_accum_offset 4
		.amdhsa_reserve_vcc 0
		.amdhsa_reserve_flat_scratch 0
		.amdhsa_float_round_mode_32 0
		.amdhsa_float_round_mode_16_64 0
		.amdhsa_float_denorm_mode_32 3
		.amdhsa_float_denorm_mode_16_64 3
		.amdhsa_dx10_clamp 1
		.amdhsa_ieee_mode 1
		.amdhsa_fp16_overflow 0
		.amdhsa_tg_split 0
		.amdhsa_exception_fp_ieee_invalid_op 0
		.amdhsa_exception_fp_denorm_src 0
		.amdhsa_exception_fp_ieee_div_zero 0
		.amdhsa_exception_fp_ieee_overflow 0
		.amdhsa_exception_fp_ieee_underflow 0
		.amdhsa_exception_fp_ieee_inexact 0
		.amdhsa_exception_int_div_zero 0
	.end_amdhsa_kernel
	.section	.text._ZN7rocprim17ROCPRIM_400000_NS6detail17trampoline_kernelINS0_14default_configENS1_20scan_config_selectorIsEEZZNS1_9scan_implILNS1_25lookback_scan_determinismE0ELb0ELb0ES3_N6thrust23THRUST_200600_302600_NS6detail15normal_iteratorINS9_10device_ptrIsEEEESE_sNS9_4plusIsEEsEEDaPvRmT3_T4_T5_mT6_P12ihipStream_tbENKUlT_T0_E_clISt17integral_constantIbLb1EESU_EEDaSP_SQ_EUlSP_E_NS1_11comp_targetILNS1_3genE8ELNS1_11target_archE1030ELNS1_3gpuE2ELNS1_3repE0EEENS1_30default_config_static_selectorELNS0_4arch9wavefront6targetE1EEEvT1_,"axG",@progbits,_ZN7rocprim17ROCPRIM_400000_NS6detail17trampoline_kernelINS0_14default_configENS1_20scan_config_selectorIsEEZZNS1_9scan_implILNS1_25lookback_scan_determinismE0ELb0ELb0ES3_N6thrust23THRUST_200600_302600_NS6detail15normal_iteratorINS9_10device_ptrIsEEEESE_sNS9_4plusIsEEsEEDaPvRmT3_T4_T5_mT6_P12ihipStream_tbENKUlT_T0_E_clISt17integral_constantIbLb1EESU_EEDaSP_SQ_EUlSP_E_NS1_11comp_targetILNS1_3genE8ELNS1_11target_archE1030ELNS1_3gpuE2ELNS1_3repE0EEENS1_30default_config_static_selectorELNS0_4arch9wavefront6targetE1EEEvT1_,comdat
.Lfunc_end1077:
	.size	_ZN7rocprim17ROCPRIM_400000_NS6detail17trampoline_kernelINS0_14default_configENS1_20scan_config_selectorIsEEZZNS1_9scan_implILNS1_25lookback_scan_determinismE0ELb0ELb0ES3_N6thrust23THRUST_200600_302600_NS6detail15normal_iteratorINS9_10device_ptrIsEEEESE_sNS9_4plusIsEEsEEDaPvRmT3_T4_T5_mT6_P12ihipStream_tbENKUlT_T0_E_clISt17integral_constantIbLb1EESU_EEDaSP_SQ_EUlSP_E_NS1_11comp_targetILNS1_3genE8ELNS1_11target_archE1030ELNS1_3gpuE2ELNS1_3repE0EEENS1_30default_config_static_selectorELNS0_4arch9wavefront6targetE1EEEvT1_, .Lfunc_end1077-_ZN7rocprim17ROCPRIM_400000_NS6detail17trampoline_kernelINS0_14default_configENS1_20scan_config_selectorIsEEZZNS1_9scan_implILNS1_25lookback_scan_determinismE0ELb0ELb0ES3_N6thrust23THRUST_200600_302600_NS6detail15normal_iteratorINS9_10device_ptrIsEEEESE_sNS9_4plusIsEEsEEDaPvRmT3_T4_T5_mT6_P12ihipStream_tbENKUlT_T0_E_clISt17integral_constantIbLb1EESU_EEDaSP_SQ_EUlSP_E_NS1_11comp_targetILNS1_3genE8ELNS1_11target_archE1030ELNS1_3gpuE2ELNS1_3repE0EEENS1_30default_config_static_selectorELNS0_4arch9wavefront6targetE1EEEvT1_
                                        ; -- End function
	.section	.AMDGPU.csdata,"",@progbits
; Kernel info:
; codeLenInByte = 0
; NumSgprs: 4
; NumVgprs: 0
; NumAgprs: 0
; TotalNumVgprs: 0
; ScratchSize: 0
; MemoryBound: 0
; FloatMode: 240
; IeeeMode: 1
; LDSByteSize: 0 bytes/workgroup (compile time only)
; SGPRBlocks: 0
; VGPRBlocks: 0
; NumSGPRsForWavesPerEU: 4
; NumVGPRsForWavesPerEU: 1
; AccumOffset: 4
; Occupancy: 8
; WaveLimiterHint : 0
; COMPUTE_PGM_RSRC2:SCRATCH_EN: 0
; COMPUTE_PGM_RSRC2:USER_SGPR: 6
; COMPUTE_PGM_RSRC2:TRAP_HANDLER: 0
; COMPUTE_PGM_RSRC2:TGID_X_EN: 1
; COMPUTE_PGM_RSRC2:TGID_Y_EN: 0
; COMPUTE_PGM_RSRC2:TGID_Z_EN: 0
; COMPUTE_PGM_RSRC2:TIDIG_COMP_CNT: 0
; COMPUTE_PGM_RSRC3_GFX90A:ACCUM_OFFSET: 0
; COMPUTE_PGM_RSRC3_GFX90A:TG_SPLIT: 0
	.section	.text._ZN7rocprim17ROCPRIM_400000_NS6detail17trampoline_kernelINS0_14default_configENS1_20scan_config_selectorIsEEZZNS1_9scan_implILNS1_25lookback_scan_determinismE0ELb0ELb0ES3_N6thrust23THRUST_200600_302600_NS6detail15normal_iteratorINS9_10device_ptrIsEEEESE_sNS9_4plusIsEEsEEDaPvRmT3_T4_T5_mT6_P12ihipStream_tbENKUlT_T0_E_clISt17integral_constantIbLb1EESU_EEDaSP_SQ_EUlSP_E0_NS1_11comp_targetILNS1_3genE0ELNS1_11target_archE4294967295ELNS1_3gpuE0ELNS1_3repE0EEENS1_30default_config_static_selectorELNS0_4arch9wavefront6targetE1EEEvT1_,"axG",@progbits,_ZN7rocprim17ROCPRIM_400000_NS6detail17trampoline_kernelINS0_14default_configENS1_20scan_config_selectorIsEEZZNS1_9scan_implILNS1_25lookback_scan_determinismE0ELb0ELb0ES3_N6thrust23THRUST_200600_302600_NS6detail15normal_iteratorINS9_10device_ptrIsEEEESE_sNS9_4plusIsEEsEEDaPvRmT3_T4_T5_mT6_P12ihipStream_tbENKUlT_T0_E_clISt17integral_constantIbLb1EESU_EEDaSP_SQ_EUlSP_E0_NS1_11comp_targetILNS1_3genE0ELNS1_11target_archE4294967295ELNS1_3gpuE0ELNS1_3repE0EEENS1_30default_config_static_selectorELNS0_4arch9wavefront6targetE1EEEvT1_,comdat
	.protected	_ZN7rocprim17ROCPRIM_400000_NS6detail17trampoline_kernelINS0_14default_configENS1_20scan_config_selectorIsEEZZNS1_9scan_implILNS1_25lookback_scan_determinismE0ELb0ELb0ES3_N6thrust23THRUST_200600_302600_NS6detail15normal_iteratorINS9_10device_ptrIsEEEESE_sNS9_4plusIsEEsEEDaPvRmT3_T4_T5_mT6_P12ihipStream_tbENKUlT_T0_E_clISt17integral_constantIbLb1EESU_EEDaSP_SQ_EUlSP_E0_NS1_11comp_targetILNS1_3genE0ELNS1_11target_archE4294967295ELNS1_3gpuE0ELNS1_3repE0EEENS1_30default_config_static_selectorELNS0_4arch9wavefront6targetE1EEEvT1_ ; -- Begin function _ZN7rocprim17ROCPRIM_400000_NS6detail17trampoline_kernelINS0_14default_configENS1_20scan_config_selectorIsEEZZNS1_9scan_implILNS1_25lookback_scan_determinismE0ELb0ELb0ES3_N6thrust23THRUST_200600_302600_NS6detail15normal_iteratorINS9_10device_ptrIsEEEESE_sNS9_4plusIsEEsEEDaPvRmT3_T4_T5_mT6_P12ihipStream_tbENKUlT_T0_E_clISt17integral_constantIbLb1EESU_EEDaSP_SQ_EUlSP_E0_NS1_11comp_targetILNS1_3genE0ELNS1_11target_archE4294967295ELNS1_3gpuE0ELNS1_3repE0EEENS1_30default_config_static_selectorELNS0_4arch9wavefront6targetE1EEEvT1_
	.globl	_ZN7rocprim17ROCPRIM_400000_NS6detail17trampoline_kernelINS0_14default_configENS1_20scan_config_selectorIsEEZZNS1_9scan_implILNS1_25lookback_scan_determinismE0ELb0ELb0ES3_N6thrust23THRUST_200600_302600_NS6detail15normal_iteratorINS9_10device_ptrIsEEEESE_sNS9_4plusIsEEsEEDaPvRmT3_T4_T5_mT6_P12ihipStream_tbENKUlT_T0_E_clISt17integral_constantIbLb1EESU_EEDaSP_SQ_EUlSP_E0_NS1_11comp_targetILNS1_3genE0ELNS1_11target_archE4294967295ELNS1_3gpuE0ELNS1_3repE0EEENS1_30default_config_static_selectorELNS0_4arch9wavefront6targetE1EEEvT1_
	.p2align	8
	.type	_ZN7rocprim17ROCPRIM_400000_NS6detail17trampoline_kernelINS0_14default_configENS1_20scan_config_selectorIsEEZZNS1_9scan_implILNS1_25lookback_scan_determinismE0ELb0ELb0ES3_N6thrust23THRUST_200600_302600_NS6detail15normal_iteratorINS9_10device_ptrIsEEEESE_sNS9_4plusIsEEsEEDaPvRmT3_T4_T5_mT6_P12ihipStream_tbENKUlT_T0_E_clISt17integral_constantIbLb1EESU_EEDaSP_SQ_EUlSP_E0_NS1_11comp_targetILNS1_3genE0ELNS1_11target_archE4294967295ELNS1_3gpuE0ELNS1_3repE0EEENS1_30default_config_static_selectorELNS0_4arch9wavefront6targetE1EEEvT1_,@function
_ZN7rocprim17ROCPRIM_400000_NS6detail17trampoline_kernelINS0_14default_configENS1_20scan_config_selectorIsEEZZNS1_9scan_implILNS1_25lookback_scan_determinismE0ELb0ELb0ES3_N6thrust23THRUST_200600_302600_NS6detail15normal_iteratorINS9_10device_ptrIsEEEESE_sNS9_4plusIsEEsEEDaPvRmT3_T4_T5_mT6_P12ihipStream_tbENKUlT_T0_E_clISt17integral_constantIbLb1EESU_EEDaSP_SQ_EUlSP_E0_NS1_11comp_targetILNS1_3genE0ELNS1_11target_archE4294967295ELNS1_3gpuE0ELNS1_3repE0EEENS1_30default_config_static_selectorELNS0_4arch9wavefront6targetE1EEEvT1_: ; @_ZN7rocprim17ROCPRIM_400000_NS6detail17trampoline_kernelINS0_14default_configENS1_20scan_config_selectorIsEEZZNS1_9scan_implILNS1_25lookback_scan_determinismE0ELb0ELb0ES3_N6thrust23THRUST_200600_302600_NS6detail15normal_iteratorINS9_10device_ptrIsEEEESE_sNS9_4plusIsEEsEEDaPvRmT3_T4_T5_mT6_P12ihipStream_tbENKUlT_T0_E_clISt17integral_constantIbLb1EESU_EEDaSP_SQ_EUlSP_E0_NS1_11comp_targetILNS1_3genE0ELNS1_11target_archE4294967295ELNS1_3gpuE0ELNS1_3repE0EEENS1_30default_config_static_selectorELNS0_4arch9wavefront6targetE1EEEvT1_
; %bb.0:
	.section	.rodata,"a",@progbits
	.p2align	6, 0x0
	.amdhsa_kernel _ZN7rocprim17ROCPRIM_400000_NS6detail17trampoline_kernelINS0_14default_configENS1_20scan_config_selectorIsEEZZNS1_9scan_implILNS1_25lookback_scan_determinismE0ELb0ELb0ES3_N6thrust23THRUST_200600_302600_NS6detail15normal_iteratorINS9_10device_ptrIsEEEESE_sNS9_4plusIsEEsEEDaPvRmT3_T4_T5_mT6_P12ihipStream_tbENKUlT_T0_E_clISt17integral_constantIbLb1EESU_EEDaSP_SQ_EUlSP_E0_NS1_11comp_targetILNS1_3genE0ELNS1_11target_archE4294967295ELNS1_3gpuE0ELNS1_3repE0EEENS1_30default_config_static_selectorELNS0_4arch9wavefront6targetE1EEEvT1_
		.amdhsa_group_segment_fixed_size 0
		.amdhsa_private_segment_fixed_size 0
		.amdhsa_kernarg_size 32
		.amdhsa_user_sgpr_count 6
		.amdhsa_user_sgpr_private_segment_buffer 1
		.amdhsa_user_sgpr_dispatch_ptr 0
		.amdhsa_user_sgpr_queue_ptr 0
		.amdhsa_user_sgpr_kernarg_segment_ptr 1
		.amdhsa_user_sgpr_dispatch_id 0
		.amdhsa_user_sgpr_flat_scratch_init 0
		.amdhsa_user_sgpr_kernarg_preload_length 0
		.amdhsa_user_sgpr_kernarg_preload_offset 0
		.amdhsa_user_sgpr_private_segment_size 0
		.amdhsa_uses_dynamic_stack 0
		.amdhsa_system_sgpr_private_segment_wavefront_offset 0
		.amdhsa_system_sgpr_workgroup_id_x 1
		.amdhsa_system_sgpr_workgroup_id_y 0
		.amdhsa_system_sgpr_workgroup_id_z 0
		.amdhsa_system_sgpr_workgroup_info 0
		.amdhsa_system_vgpr_workitem_id 0
		.amdhsa_next_free_vgpr 1
		.amdhsa_next_free_sgpr 0
		.amdhsa_accum_offset 4
		.amdhsa_reserve_vcc 0
		.amdhsa_reserve_flat_scratch 0
		.amdhsa_float_round_mode_32 0
		.amdhsa_float_round_mode_16_64 0
		.amdhsa_float_denorm_mode_32 3
		.amdhsa_float_denorm_mode_16_64 3
		.amdhsa_dx10_clamp 1
		.amdhsa_ieee_mode 1
		.amdhsa_fp16_overflow 0
		.amdhsa_tg_split 0
		.amdhsa_exception_fp_ieee_invalid_op 0
		.amdhsa_exception_fp_denorm_src 0
		.amdhsa_exception_fp_ieee_div_zero 0
		.amdhsa_exception_fp_ieee_overflow 0
		.amdhsa_exception_fp_ieee_underflow 0
		.amdhsa_exception_fp_ieee_inexact 0
		.amdhsa_exception_int_div_zero 0
	.end_amdhsa_kernel
	.section	.text._ZN7rocprim17ROCPRIM_400000_NS6detail17trampoline_kernelINS0_14default_configENS1_20scan_config_selectorIsEEZZNS1_9scan_implILNS1_25lookback_scan_determinismE0ELb0ELb0ES3_N6thrust23THRUST_200600_302600_NS6detail15normal_iteratorINS9_10device_ptrIsEEEESE_sNS9_4plusIsEEsEEDaPvRmT3_T4_T5_mT6_P12ihipStream_tbENKUlT_T0_E_clISt17integral_constantIbLb1EESU_EEDaSP_SQ_EUlSP_E0_NS1_11comp_targetILNS1_3genE0ELNS1_11target_archE4294967295ELNS1_3gpuE0ELNS1_3repE0EEENS1_30default_config_static_selectorELNS0_4arch9wavefront6targetE1EEEvT1_,"axG",@progbits,_ZN7rocprim17ROCPRIM_400000_NS6detail17trampoline_kernelINS0_14default_configENS1_20scan_config_selectorIsEEZZNS1_9scan_implILNS1_25lookback_scan_determinismE0ELb0ELb0ES3_N6thrust23THRUST_200600_302600_NS6detail15normal_iteratorINS9_10device_ptrIsEEEESE_sNS9_4plusIsEEsEEDaPvRmT3_T4_T5_mT6_P12ihipStream_tbENKUlT_T0_E_clISt17integral_constantIbLb1EESU_EEDaSP_SQ_EUlSP_E0_NS1_11comp_targetILNS1_3genE0ELNS1_11target_archE4294967295ELNS1_3gpuE0ELNS1_3repE0EEENS1_30default_config_static_selectorELNS0_4arch9wavefront6targetE1EEEvT1_,comdat
.Lfunc_end1078:
	.size	_ZN7rocprim17ROCPRIM_400000_NS6detail17trampoline_kernelINS0_14default_configENS1_20scan_config_selectorIsEEZZNS1_9scan_implILNS1_25lookback_scan_determinismE0ELb0ELb0ES3_N6thrust23THRUST_200600_302600_NS6detail15normal_iteratorINS9_10device_ptrIsEEEESE_sNS9_4plusIsEEsEEDaPvRmT3_T4_T5_mT6_P12ihipStream_tbENKUlT_T0_E_clISt17integral_constantIbLb1EESU_EEDaSP_SQ_EUlSP_E0_NS1_11comp_targetILNS1_3genE0ELNS1_11target_archE4294967295ELNS1_3gpuE0ELNS1_3repE0EEENS1_30default_config_static_selectorELNS0_4arch9wavefront6targetE1EEEvT1_, .Lfunc_end1078-_ZN7rocprim17ROCPRIM_400000_NS6detail17trampoline_kernelINS0_14default_configENS1_20scan_config_selectorIsEEZZNS1_9scan_implILNS1_25lookback_scan_determinismE0ELb0ELb0ES3_N6thrust23THRUST_200600_302600_NS6detail15normal_iteratorINS9_10device_ptrIsEEEESE_sNS9_4plusIsEEsEEDaPvRmT3_T4_T5_mT6_P12ihipStream_tbENKUlT_T0_E_clISt17integral_constantIbLb1EESU_EEDaSP_SQ_EUlSP_E0_NS1_11comp_targetILNS1_3genE0ELNS1_11target_archE4294967295ELNS1_3gpuE0ELNS1_3repE0EEENS1_30default_config_static_selectorELNS0_4arch9wavefront6targetE1EEEvT1_
                                        ; -- End function
	.section	.AMDGPU.csdata,"",@progbits
; Kernel info:
; codeLenInByte = 0
; NumSgprs: 4
; NumVgprs: 0
; NumAgprs: 0
; TotalNumVgprs: 0
; ScratchSize: 0
; MemoryBound: 0
; FloatMode: 240
; IeeeMode: 1
; LDSByteSize: 0 bytes/workgroup (compile time only)
; SGPRBlocks: 0
; VGPRBlocks: 0
; NumSGPRsForWavesPerEU: 4
; NumVGPRsForWavesPerEU: 1
; AccumOffset: 4
; Occupancy: 8
; WaveLimiterHint : 0
; COMPUTE_PGM_RSRC2:SCRATCH_EN: 0
; COMPUTE_PGM_RSRC2:USER_SGPR: 6
; COMPUTE_PGM_RSRC2:TRAP_HANDLER: 0
; COMPUTE_PGM_RSRC2:TGID_X_EN: 1
; COMPUTE_PGM_RSRC2:TGID_Y_EN: 0
; COMPUTE_PGM_RSRC2:TGID_Z_EN: 0
; COMPUTE_PGM_RSRC2:TIDIG_COMP_CNT: 0
; COMPUTE_PGM_RSRC3_GFX90A:ACCUM_OFFSET: 0
; COMPUTE_PGM_RSRC3_GFX90A:TG_SPLIT: 0
	.section	.text._ZN7rocprim17ROCPRIM_400000_NS6detail17trampoline_kernelINS0_14default_configENS1_20scan_config_selectorIsEEZZNS1_9scan_implILNS1_25lookback_scan_determinismE0ELb0ELb0ES3_N6thrust23THRUST_200600_302600_NS6detail15normal_iteratorINS9_10device_ptrIsEEEESE_sNS9_4plusIsEEsEEDaPvRmT3_T4_T5_mT6_P12ihipStream_tbENKUlT_T0_E_clISt17integral_constantIbLb1EESU_EEDaSP_SQ_EUlSP_E0_NS1_11comp_targetILNS1_3genE5ELNS1_11target_archE942ELNS1_3gpuE9ELNS1_3repE0EEENS1_30default_config_static_selectorELNS0_4arch9wavefront6targetE1EEEvT1_,"axG",@progbits,_ZN7rocprim17ROCPRIM_400000_NS6detail17trampoline_kernelINS0_14default_configENS1_20scan_config_selectorIsEEZZNS1_9scan_implILNS1_25lookback_scan_determinismE0ELb0ELb0ES3_N6thrust23THRUST_200600_302600_NS6detail15normal_iteratorINS9_10device_ptrIsEEEESE_sNS9_4plusIsEEsEEDaPvRmT3_T4_T5_mT6_P12ihipStream_tbENKUlT_T0_E_clISt17integral_constantIbLb1EESU_EEDaSP_SQ_EUlSP_E0_NS1_11comp_targetILNS1_3genE5ELNS1_11target_archE942ELNS1_3gpuE9ELNS1_3repE0EEENS1_30default_config_static_selectorELNS0_4arch9wavefront6targetE1EEEvT1_,comdat
	.protected	_ZN7rocprim17ROCPRIM_400000_NS6detail17trampoline_kernelINS0_14default_configENS1_20scan_config_selectorIsEEZZNS1_9scan_implILNS1_25lookback_scan_determinismE0ELb0ELb0ES3_N6thrust23THRUST_200600_302600_NS6detail15normal_iteratorINS9_10device_ptrIsEEEESE_sNS9_4plusIsEEsEEDaPvRmT3_T4_T5_mT6_P12ihipStream_tbENKUlT_T0_E_clISt17integral_constantIbLb1EESU_EEDaSP_SQ_EUlSP_E0_NS1_11comp_targetILNS1_3genE5ELNS1_11target_archE942ELNS1_3gpuE9ELNS1_3repE0EEENS1_30default_config_static_selectorELNS0_4arch9wavefront6targetE1EEEvT1_ ; -- Begin function _ZN7rocprim17ROCPRIM_400000_NS6detail17trampoline_kernelINS0_14default_configENS1_20scan_config_selectorIsEEZZNS1_9scan_implILNS1_25lookback_scan_determinismE0ELb0ELb0ES3_N6thrust23THRUST_200600_302600_NS6detail15normal_iteratorINS9_10device_ptrIsEEEESE_sNS9_4plusIsEEsEEDaPvRmT3_T4_T5_mT6_P12ihipStream_tbENKUlT_T0_E_clISt17integral_constantIbLb1EESU_EEDaSP_SQ_EUlSP_E0_NS1_11comp_targetILNS1_3genE5ELNS1_11target_archE942ELNS1_3gpuE9ELNS1_3repE0EEENS1_30default_config_static_selectorELNS0_4arch9wavefront6targetE1EEEvT1_
	.globl	_ZN7rocprim17ROCPRIM_400000_NS6detail17trampoline_kernelINS0_14default_configENS1_20scan_config_selectorIsEEZZNS1_9scan_implILNS1_25lookback_scan_determinismE0ELb0ELb0ES3_N6thrust23THRUST_200600_302600_NS6detail15normal_iteratorINS9_10device_ptrIsEEEESE_sNS9_4plusIsEEsEEDaPvRmT3_T4_T5_mT6_P12ihipStream_tbENKUlT_T0_E_clISt17integral_constantIbLb1EESU_EEDaSP_SQ_EUlSP_E0_NS1_11comp_targetILNS1_3genE5ELNS1_11target_archE942ELNS1_3gpuE9ELNS1_3repE0EEENS1_30default_config_static_selectorELNS0_4arch9wavefront6targetE1EEEvT1_
	.p2align	8
	.type	_ZN7rocprim17ROCPRIM_400000_NS6detail17trampoline_kernelINS0_14default_configENS1_20scan_config_selectorIsEEZZNS1_9scan_implILNS1_25lookback_scan_determinismE0ELb0ELb0ES3_N6thrust23THRUST_200600_302600_NS6detail15normal_iteratorINS9_10device_ptrIsEEEESE_sNS9_4plusIsEEsEEDaPvRmT3_T4_T5_mT6_P12ihipStream_tbENKUlT_T0_E_clISt17integral_constantIbLb1EESU_EEDaSP_SQ_EUlSP_E0_NS1_11comp_targetILNS1_3genE5ELNS1_11target_archE942ELNS1_3gpuE9ELNS1_3repE0EEENS1_30default_config_static_selectorELNS0_4arch9wavefront6targetE1EEEvT1_,@function
_ZN7rocprim17ROCPRIM_400000_NS6detail17trampoline_kernelINS0_14default_configENS1_20scan_config_selectorIsEEZZNS1_9scan_implILNS1_25lookback_scan_determinismE0ELb0ELb0ES3_N6thrust23THRUST_200600_302600_NS6detail15normal_iteratorINS9_10device_ptrIsEEEESE_sNS9_4plusIsEEsEEDaPvRmT3_T4_T5_mT6_P12ihipStream_tbENKUlT_T0_E_clISt17integral_constantIbLb1EESU_EEDaSP_SQ_EUlSP_E0_NS1_11comp_targetILNS1_3genE5ELNS1_11target_archE942ELNS1_3gpuE9ELNS1_3repE0EEENS1_30default_config_static_selectorELNS0_4arch9wavefront6targetE1EEEvT1_: ; @_ZN7rocprim17ROCPRIM_400000_NS6detail17trampoline_kernelINS0_14default_configENS1_20scan_config_selectorIsEEZZNS1_9scan_implILNS1_25lookback_scan_determinismE0ELb0ELb0ES3_N6thrust23THRUST_200600_302600_NS6detail15normal_iteratorINS9_10device_ptrIsEEEESE_sNS9_4plusIsEEsEEDaPvRmT3_T4_T5_mT6_P12ihipStream_tbENKUlT_T0_E_clISt17integral_constantIbLb1EESU_EEDaSP_SQ_EUlSP_E0_NS1_11comp_targetILNS1_3genE5ELNS1_11target_archE942ELNS1_3gpuE9ELNS1_3repE0EEENS1_30default_config_static_selectorELNS0_4arch9wavefront6targetE1EEEvT1_
; %bb.0:
	.section	.rodata,"a",@progbits
	.p2align	6, 0x0
	.amdhsa_kernel _ZN7rocprim17ROCPRIM_400000_NS6detail17trampoline_kernelINS0_14default_configENS1_20scan_config_selectorIsEEZZNS1_9scan_implILNS1_25lookback_scan_determinismE0ELb0ELb0ES3_N6thrust23THRUST_200600_302600_NS6detail15normal_iteratorINS9_10device_ptrIsEEEESE_sNS9_4plusIsEEsEEDaPvRmT3_T4_T5_mT6_P12ihipStream_tbENKUlT_T0_E_clISt17integral_constantIbLb1EESU_EEDaSP_SQ_EUlSP_E0_NS1_11comp_targetILNS1_3genE5ELNS1_11target_archE942ELNS1_3gpuE9ELNS1_3repE0EEENS1_30default_config_static_selectorELNS0_4arch9wavefront6targetE1EEEvT1_
		.amdhsa_group_segment_fixed_size 0
		.amdhsa_private_segment_fixed_size 0
		.amdhsa_kernarg_size 32
		.amdhsa_user_sgpr_count 6
		.amdhsa_user_sgpr_private_segment_buffer 1
		.amdhsa_user_sgpr_dispatch_ptr 0
		.amdhsa_user_sgpr_queue_ptr 0
		.amdhsa_user_sgpr_kernarg_segment_ptr 1
		.amdhsa_user_sgpr_dispatch_id 0
		.amdhsa_user_sgpr_flat_scratch_init 0
		.amdhsa_user_sgpr_kernarg_preload_length 0
		.amdhsa_user_sgpr_kernarg_preload_offset 0
		.amdhsa_user_sgpr_private_segment_size 0
		.amdhsa_uses_dynamic_stack 0
		.amdhsa_system_sgpr_private_segment_wavefront_offset 0
		.amdhsa_system_sgpr_workgroup_id_x 1
		.amdhsa_system_sgpr_workgroup_id_y 0
		.amdhsa_system_sgpr_workgroup_id_z 0
		.amdhsa_system_sgpr_workgroup_info 0
		.amdhsa_system_vgpr_workitem_id 0
		.amdhsa_next_free_vgpr 1
		.amdhsa_next_free_sgpr 0
		.amdhsa_accum_offset 4
		.amdhsa_reserve_vcc 0
		.amdhsa_reserve_flat_scratch 0
		.amdhsa_float_round_mode_32 0
		.amdhsa_float_round_mode_16_64 0
		.amdhsa_float_denorm_mode_32 3
		.amdhsa_float_denorm_mode_16_64 3
		.amdhsa_dx10_clamp 1
		.amdhsa_ieee_mode 1
		.amdhsa_fp16_overflow 0
		.amdhsa_tg_split 0
		.amdhsa_exception_fp_ieee_invalid_op 0
		.amdhsa_exception_fp_denorm_src 0
		.amdhsa_exception_fp_ieee_div_zero 0
		.amdhsa_exception_fp_ieee_overflow 0
		.amdhsa_exception_fp_ieee_underflow 0
		.amdhsa_exception_fp_ieee_inexact 0
		.amdhsa_exception_int_div_zero 0
	.end_amdhsa_kernel
	.section	.text._ZN7rocprim17ROCPRIM_400000_NS6detail17trampoline_kernelINS0_14default_configENS1_20scan_config_selectorIsEEZZNS1_9scan_implILNS1_25lookback_scan_determinismE0ELb0ELb0ES3_N6thrust23THRUST_200600_302600_NS6detail15normal_iteratorINS9_10device_ptrIsEEEESE_sNS9_4plusIsEEsEEDaPvRmT3_T4_T5_mT6_P12ihipStream_tbENKUlT_T0_E_clISt17integral_constantIbLb1EESU_EEDaSP_SQ_EUlSP_E0_NS1_11comp_targetILNS1_3genE5ELNS1_11target_archE942ELNS1_3gpuE9ELNS1_3repE0EEENS1_30default_config_static_selectorELNS0_4arch9wavefront6targetE1EEEvT1_,"axG",@progbits,_ZN7rocprim17ROCPRIM_400000_NS6detail17trampoline_kernelINS0_14default_configENS1_20scan_config_selectorIsEEZZNS1_9scan_implILNS1_25lookback_scan_determinismE0ELb0ELb0ES3_N6thrust23THRUST_200600_302600_NS6detail15normal_iteratorINS9_10device_ptrIsEEEESE_sNS9_4plusIsEEsEEDaPvRmT3_T4_T5_mT6_P12ihipStream_tbENKUlT_T0_E_clISt17integral_constantIbLb1EESU_EEDaSP_SQ_EUlSP_E0_NS1_11comp_targetILNS1_3genE5ELNS1_11target_archE942ELNS1_3gpuE9ELNS1_3repE0EEENS1_30default_config_static_selectorELNS0_4arch9wavefront6targetE1EEEvT1_,comdat
.Lfunc_end1079:
	.size	_ZN7rocprim17ROCPRIM_400000_NS6detail17trampoline_kernelINS0_14default_configENS1_20scan_config_selectorIsEEZZNS1_9scan_implILNS1_25lookback_scan_determinismE0ELb0ELb0ES3_N6thrust23THRUST_200600_302600_NS6detail15normal_iteratorINS9_10device_ptrIsEEEESE_sNS9_4plusIsEEsEEDaPvRmT3_T4_T5_mT6_P12ihipStream_tbENKUlT_T0_E_clISt17integral_constantIbLb1EESU_EEDaSP_SQ_EUlSP_E0_NS1_11comp_targetILNS1_3genE5ELNS1_11target_archE942ELNS1_3gpuE9ELNS1_3repE0EEENS1_30default_config_static_selectorELNS0_4arch9wavefront6targetE1EEEvT1_, .Lfunc_end1079-_ZN7rocprim17ROCPRIM_400000_NS6detail17trampoline_kernelINS0_14default_configENS1_20scan_config_selectorIsEEZZNS1_9scan_implILNS1_25lookback_scan_determinismE0ELb0ELb0ES3_N6thrust23THRUST_200600_302600_NS6detail15normal_iteratorINS9_10device_ptrIsEEEESE_sNS9_4plusIsEEsEEDaPvRmT3_T4_T5_mT6_P12ihipStream_tbENKUlT_T0_E_clISt17integral_constantIbLb1EESU_EEDaSP_SQ_EUlSP_E0_NS1_11comp_targetILNS1_3genE5ELNS1_11target_archE942ELNS1_3gpuE9ELNS1_3repE0EEENS1_30default_config_static_selectorELNS0_4arch9wavefront6targetE1EEEvT1_
                                        ; -- End function
	.section	.AMDGPU.csdata,"",@progbits
; Kernel info:
; codeLenInByte = 0
; NumSgprs: 4
; NumVgprs: 0
; NumAgprs: 0
; TotalNumVgprs: 0
; ScratchSize: 0
; MemoryBound: 0
; FloatMode: 240
; IeeeMode: 1
; LDSByteSize: 0 bytes/workgroup (compile time only)
; SGPRBlocks: 0
; VGPRBlocks: 0
; NumSGPRsForWavesPerEU: 4
; NumVGPRsForWavesPerEU: 1
; AccumOffset: 4
; Occupancy: 8
; WaveLimiterHint : 0
; COMPUTE_PGM_RSRC2:SCRATCH_EN: 0
; COMPUTE_PGM_RSRC2:USER_SGPR: 6
; COMPUTE_PGM_RSRC2:TRAP_HANDLER: 0
; COMPUTE_PGM_RSRC2:TGID_X_EN: 1
; COMPUTE_PGM_RSRC2:TGID_Y_EN: 0
; COMPUTE_PGM_RSRC2:TGID_Z_EN: 0
; COMPUTE_PGM_RSRC2:TIDIG_COMP_CNT: 0
; COMPUTE_PGM_RSRC3_GFX90A:ACCUM_OFFSET: 0
; COMPUTE_PGM_RSRC3_GFX90A:TG_SPLIT: 0
	.section	.text._ZN7rocprim17ROCPRIM_400000_NS6detail17trampoline_kernelINS0_14default_configENS1_20scan_config_selectorIsEEZZNS1_9scan_implILNS1_25lookback_scan_determinismE0ELb0ELb0ES3_N6thrust23THRUST_200600_302600_NS6detail15normal_iteratorINS9_10device_ptrIsEEEESE_sNS9_4plusIsEEsEEDaPvRmT3_T4_T5_mT6_P12ihipStream_tbENKUlT_T0_E_clISt17integral_constantIbLb1EESU_EEDaSP_SQ_EUlSP_E0_NS1_11comp_targetILNS1_3genE4ELNS1_11target_archE910ELNS1_3gpuE8ELNS1_3repE0EEENS1_30default_config_static_selectorELNS0_4arch9wavefront6targetE1EEEvT1_,"axG",@progbits,_ZN7rocprim17ROCPRIM_400000_NS6detail17trampoline_kernelINS0_14default_configENS1_20scan_config_selectorIsEEZZNS1_9scan_implILNS1_25lookback_scan_determinismE0ELb0ELb0ES3_N6thrust23THRUST_200600_302600_NS6detail15normal_iteratorINS9_10device_ptrIsEEEESE_sNS9_4plusIsEEsEEDaPvRmT3_T4_T5_mT6_P12ihipStream_tbENKUlT_T0_E_clISt17integral_constantIbLb1EESU_EEDaSP_SQ_EUlSP_E0_NS1_11comp_targetILNS1_3genE4ELNS1_11target_archE910ELNS1_3gpuE8ELNS1_3repE0EEENS1_30default_config_static_selectorELNS0_4arch9wavefront6targetE1EEEvT1_,comdat
	.protected	_ZN7rocprim17ROCPRIM_400000_NS6detail17trampoline_kernelINS0_14default_configENS1_20scan_config_selectorIsEEZZNS1_9scan_implILNS1_25lookback_scan_determinismE0ELb0ELb0ES3_N6thrust23THRUST_200600_302600_NS6detail15normal_iteratorINS9_10device_ptrIsEEEESE_sNS9_4plusIsEEsEEDaPvRmT3_T4_T5_mT6_P12ihipStream_tbENKUlT_T0_E_clISt17integral_constantIbLb1EESU_EEDaSP_SQ_EUlSP_E0_NS1_11comp_targetILNS1_3genE4ELNS1_11target_archE910ELNS1_3gpuE8ELNS1_3repE0EEENS1_30default_config_static_selectorELNS0_4arch9wavefront6targetE1EEEvT1_ ; -- Begin function _ZN7rocprim17ROCPRIM_400000_NS6detail17trampoline_kernelINS0_14default_configENS1_20scan_config_selectorIsEEZZNS1_9scan_implILNS1_25lookback_scan_determinismE0ELb0ELb0ES3_N6thrust23THRUST_200600_302600_NS6detail15normal_iteratorINS9_10device_ptrIsEEEESE_sNS9_4plusIsEEsEEDaPvRmT3_T4_T5_mT6_P12ihipStream_tbENKUlT_T0_E_clISt17integral_constantIbLb1EESU_EEDaSP_SQ_EUlSP_E0_NS1_11comp_targetILNS1_3genE4ELNS1_11target_archE910ELNS1_3gpuE8ELNS1_3repE0EEENS1_30default_config_static_selectorELNS0_4arch9wavefront6targetE1EEEvT1_
	.globl	_ZN7rocprim17ROCPRIM_400000_NS6detail17trampoline_kernelINS0_14default_configENS1_20scan_config_selectorIsEEZZNS1_9scan_implILNS1_25lookback_scan_determinismE0ELb0ELb0ES3_N6thrust23THRUST_200600_302600_NS6detail15normal_iteratorINS9_10device_ptrIsEEEESE_sNS9_4plusIsEEsEEDaPvRmT3_T4_T5_mT6_P12ihipStream_tbENKUlT_T0_E_clISt17integral_constantIbLb1EESU_EEDaSP_SQ_EUlSP_E0_NS1_11comp_targetILNS1_3genE4ELNS1_11target_archE910ELNS1_3gpuE8ELNS1_3repE0EEENS1_30default_config_static_selectorELNS0_4arch9wavefront6targetE1EEEvT1_
	.p2align	8
	.type	_ZN7rocprim17ROCPRIM_400000_NS6detail17trampoline_kernelINS0_14default_configENS1_20scan_config_selectorIsEEZZNS1_9scan_implILNS1_25lookback_scan_determinismE0ELb0ELb0ES3_N6thrust23THRUST_200600_302600_NS6detail15normal_iteratorINS9_10device_ptrIsEEEESE_sNS9_4plusIsEEsEEDaPvRmT3_T4_T5_mT6_P12ihipStream_tbENKUlT_T0_E_clISt17integral_constantIbLb1EESU_EEDaSP_SQ_EUlSP_E0_NS1_11comp_targetILNS1_3genE4ELNS1_11target_archE910ELNS1_3gpuE8ELNS1_3repE0EEENS1_30default_config_static_selectorELNS0_4arch9wavefront6targetE1EEEvT1_,@function
_ZN7rocprim17ROCPRIM_400000_NS6detail17trampoline_kernelINS0_14default_configENS1_20scan_config_selectorIsEEZZNS1_9scan_implILNS1_25lookback_scan_determinismE0ELb0ELb0ES3_N6thrust23THRUST_200600_302600_NS6detail15normal_iteratorINS9_10device_ptrIsEEEESE_sNS9_4plusIsEEsEEDaPvRmT3_T4_T5_mT6_P12ihipStream_tbENKUlT_T0_E_clISt17integral_constantIbLb1EESU_EEDaSP_SQ_EUlSP_E0_NS1_11comp_targetILNS1_3genE4ELNS1_11target_archE910ELNS1_3gpuE8ELNS1_3repE0EEENS1_30default_config_static_selectorELNS0_4arch9wavefront6targetE1EEEvT1_: ; @_ZN7rocprim17ROCPRIM_400000_NS6detail17trampoline_kernelINS0_14default_configENS1_20scan_config_selectorIsEEZZNS1_9scan_implILNS1_25lookback_scan_determinismE0ELb0ELb0ES3_N6thrust23THRUST_200600_302600_NS6detail15normal_iteratorINS9_10device_ptrIsEEEESE_sNS9_4plusIsEEsEEDaPvRmT3_T4_T5_mT6_P12ihipStream_tbENKUlT_T0_E_clISt17integral_constantIbLb1EESU_EEDaSP_SQ_EUlSP_E0_NS1_11comp_targetILNS1_3genE4ELNS1_11target_archE910ELNS1_3gpuE8ELNS1_3repE0EEENS1_30default_config_static_selectorELNS0_4arch9wavefront6targetE1EEEvT1_
; %bb.0:
	s_load_dwordx4 s[52:55], s[4:5], 0x0
	v_mov_b32_e32 v1, 0
	v_lshlrev_b32_e32 v14, 1, v0
	s_waitcnt lgkmcnt(0)
	global_load_ushort v2, v1, s[52:53]
	v_cmp_gt_u32_e32 vcc, s54, v0
	s_waitcnt vmcnt(0)
	v_mov_b32_e32 v3, v2
	s_and_saveexec_b64 s[0:1], vcc
	s_cbranch_execz .LBB1080_2
; %bb.1:
	global_load_ushort v3, v14, s[52:53]
.LBB1080_2:
	s_or_b64 exec, exec, s[0:1]
	v_or_b32_e32 v1, 64, v0
	v_cmp_gt_u32_e64 s[0:1], s54, v1
	v_mov_b32_e32 v4, v2
	s_and_saveexec_b64 s[2:3], s[0:1]
	s_cbranch_execz .LBB1080_4
; %bb.3:
	global_load_ushort v4, v14, s[52:53] offset:128
.LBB1080_4:
	s_or_b64 exec, exec, s[2:3]
	v_or_b32_e32 v1, 0x80, v0
	v_cmp_gt_u32_e64 s[2:3], s54, v1
	v_mov_b32_e32 v5, v2
	s_and_saveexec_b64 s[6:7], s[2:3]
	s_cbranch_execz .LBB1080_6
; %bb.5:
	global_load_ushort v5, v14, s[52:53] offset:256
.LBB1080_6:
	s_or_b64 exec, exec, s[6:7]
	v_or_b32_e32 v1, 0xc0, v0
	v_cmp_gt_u32_e64 s[48:49], s54, v1
	v_mov_b32_e32 v6, v2
	s_and_saveexec_b64 s[6:7], s[48:49]
	s_cbranch_execz .LBB1080_8
; %bb.7:
	global_load_ushort v6, v14, s[52:53] offset:384
.LBB1080_8:
	s_or_b64 exec, exec, s[6:7]
	v_or_b32_e32 v1, 0x100, v0
	v_cmp_gt_u32_e64 s[6:7], s54, v1
	v_mov_b32_e32 v7, v2
	s_and_saveexec_b64 s[8:9], s[6:7]
	s_cbranch_execz .LBB1080_10
; %bb.9:
	global_load_ushort v7, v14, s[52:53] offset:512
.LBB1080_10:
	s_or_b64 exec, exec, s[8:9]
	v_or_b32_e32 v1, 0x140, v0
	v_cmp_gt_u32_e64 s[8:9], s54, v1
	v_mov_b32_e32 v8, v2
	s_and_saveexec_b64 s[10:11], s[8:9]
	s_cbranch_execz .LBB1080_12
; %bb.11:
	global_load_ushort v8, v14, s[52:53] offset:640
.LBB1080_12:
	s_or_b64 exec, exec, s[10:11]
	v_or_b32_e32 v1, 0x180, v0
	v_cmp_gt_u32_e64 s[10:11], s54, v1
	v_mov_b32_e32 v9, v2
	s_and_saveexec_b64 s[12:13], s[10:11]
	s_cbranch_execz .LBB1080_14
; %bb.13:
	global_load_ushort v9, v14, s[52:53] offset:768
.LBB1080_14:
	s_or_b64 exec, exec, s[12:13]
	v_or_b32_e32 v1, 0x1c0, v0
	v_cmp_gt_u32_e64 s[12:13], s54, v1
	v_mov_b32_e32 v10, v2
	s_and_saveexec_b64 s[14:15], s[12:13]
	s_cbranch_execz .LBB1080_16
; %bb.15:
	global_load_ushort v10, v14, s[52:53] offset:896
.LBB1080_16:
	s_or_b64 exec, exec, s[14:15]
	v_or_b32_e32 v1, 0x200, v0
	v_cmp_gt_u32_e64 s[14:15], s54, v1
	v_mov_b32_e32 v11, v2
	s_and_saveexec_b64 s[16:17], s[14:15]
	s_cbranch_execz .LBB1080_18
; %bb.17:
	global_load_ushort v11, v14, s[52:53] offset:1024
.LBB1080_18:
	s_or_b64 exec, exec, s[16:17]
	v_or_b32_e32 v1, 0x240, v0
	v_cmp_gt_u32_e64 s[16:17], s54, v1
	v_mov_b32_e32 v12, v2
	s_and_saveexec_b64 s[18:19], s[16:17]
	s_cbranch_execz .LBB1080_20
; %bb.19:
	global_load_ushort v12, v14, s[52:53] offset:1152
.LBB1080_20:
	s_or_b64 exec, exec, s[18:19]
	v_or_b32_e32 v1, 0x280, v0
	v_cmp_gt_u32_e64 s[18:19], s54, v1
	v_mov_b32_e32 v13, v2
	s_and_saveexec_b64 s[20:21], s[18:19]
	s_cbranch_execz .LBB1080_22
; %bb.21:
	global_load_ushort v13, v14, s[52:53] offset:1280
.LBB1080_22:
	s_or_b64 exec, exec, s[20:21]
	v_or_b32_e32 v1, 0x2c0, v0
	v_cmp_gt_u32_e64 s[20:21], s54, v1
	v_mov_b32_e32 v15, v2
	s_and_saveexec_b64 s[22:23], s[20:21]
	s_cbranch_execz .LBB1080_24
; %bb.23:
	global_load_ushort v15, v14, s[52:53] offset:1408
.LBB1080_24:
	s_or_b64 exec, exec, s[22:23]
	v_or_b32_e32 v1, 0x300, v0
	v_cmp_gt_u32_e64 s[22:23], s54, v1
	v_mov_b32_e32 v16, v2
	s_and_saveexec_b64 s[24:25], s[22:23]
	s_cbranch_execz .LBB1080_26
; %bb.25:
	global_load_ushort v16, v14, s[52:53] offset:1536
.LBB1080_26:
	s_or_b64 exec, exec, s[24:25]
	v_or_b32_e32 v1, 0x340, v0
	v_cmp_gt_u32_e64 s[24:25], s54, v1
	v_mov_b32_e32 v17, v2
	s_and_saveexec_b64 s[26:27], s[24:25]
	s_cbranch_execz .LBB1080_28
; %bb.27:
	global_load_ushort v17, v14, s[52:53] offset:1664
.LBB1080_28:
	s_or_b64 exec, exec, s[26:27]
	v_or_b32_e32 v1, 0x380, v0
	v_cmp_gt_u32_e64 s[26:27], s54, v1
	v_mov_b32_e32 v18, v2
	s_and_saveexec_b64 s[28:29], s[26:27]
	s_cbranch_execz .LBB1080_30
; %bb.29:
	global_load_ushort v18, v14, s[52:53] offset:1792
.LBB1080_30:
	s_or_b64 exec, exec, s[28:29]
	v_or_b32_e32 v1, 0x3c0, v0
	v_cmp_gt_u32_e64 s[28:29], s54, v1
	v_mov_b32_e32 v19, v2
	s_and_saveexec_b64 s[30:31], s[28:29]
	s_cbranch_execz .LBB1080_32
; %bb.31:
	global_load_ushort v19, v14, s[52:53] offset:1920
.LBB1080_32:
	s_or_b64 exec, exec, s[30:31]
	v_or_b32_e32 v1, 0x400, v0
	v_cmp_gt_u32_e64 s[30:31], s54, v1
	v_mov_b32_e32 v20, v2
	s_and_saveexec_b64 s[34:35], s[30:31]
	s_cbranch_execz .LBB1080_34
; %bb.33:
	global_load_ushort v20, v14, s[52:53] offset:2048
.LBB1080_34:
	s_or_b64 exec, exec, s[34:35]
	v_or_b32_e32 v1, 0x440, v0
	v_cmp_gt_u32_e64 s[34:35], s54, v1
	v_mov_b32_e32 v21, v2
	s_and_saveexec_b64 s[36:37], s[34:35]
	s_cbranch_execz .LBB1080_36
; %bb.35:
	global_load_ushort v21, v14, s[52:53] offset:2176
.LBB1080_36:
	s_or_b64 exec, exec, s[36:37]
	v_or_b32_e32 v1, 0x480, v0
	v_cmp_gt_u32_e64 s[36:37], s54, v1
	v_mov_b32_e32 v22, v2
	s_and_saveexec_b64 s[38:39], s[36:37]
	s_cbranch_execz .LBB1080_38
; %bb.37:
	global_load_ushort v22, v14, s[52:53] offset:2304
.LBB1080_38:
	s_or_b64 exec, exec, s[38:39]
	v_or_b32_e32 v1, 0x4c0, v0
	v_cmp_gt_u32_e64 s[38:39], s54, v1
	v_mov_b32_e32 v23, v2
	s_and_saveexec_b64 s[40:41], s[38:39]
	s_cbranch_execz .LBB1080_40
; %bb.39:
	global_load_ushort v23, v14, s[52:53] offset:2432
.LBB1080_40:
	s_or_b64 exec, exec, s[40:41]
	v_or_b32_e32 v1, 0x500, v0
	v_cmp_gt_u32_e64 s[40:41], s54, v1
	v_mov_b32_e32 v24, v2
	s_and_saveexec_b64 s[42:43], s[40:41]
	s_cbranch_execz .LBB1080_42
; %bb.41:
	global_load_ushort v24, v14, s[52:53] offset:2560
.LBB1080_42:
	s_or_b64 exec, exec, s[42:43]
	v_or_b32_e32 v1, 0x540, v0
	v_cmp_gt_u32_e64 s[42:43], s54, v1
	v_mov_b32_e32 v25, v2
	s_and_saveexec_b64 s[44:45], s[42:43]
	s_cbranch_execz .LBB1080_44
; %bb.43:
	global_load_ushort v25, v14, s[52:53] offset:2688
.LBB1080_44:
	s_or_b64 exec, exec, s[44:45]
	v_or_b32_e32 v1, 0x580, v0
	v_cmp_gt_u32_e64 s[44:45], s54, v1
	v_mov_b32_e32 v26, v2
	s_and_saveexec_b64 s[46:47], s[44:45]
	s_cbranch_execz .LBB1080_46
; %bb.45:
	global_load_ushort v26, v14, s[52:53] offset:2816
.LBB1080_46:
	s_or_b64 exec, exec, s[46:47]
	v_or_b32_e32 v1, 0x5c0, v0
	v_cmp_gt_u32_e64 s[46:47], s54, v1
	v_cmp_le_u32_e64 s[50:51], s54, v1
	s_and_saveexec_b64 s[54:55], s[50:51]
	s_xor_b64 s[50:51], exec, s[54:55]
; %bb.47:
	v_mov_b32_e32 v1, 0
; %bb.48:
	s_andn2_saveexec_b64 s[50:51], s[50:51]
	s_cbranch_execz .LBB1080_50
; %bb.49:
	global_load_ushort v2, v14, s[52:53] offset:2944
	v_mov_b32_e32 v1, 0
.LBB1080_50:
	s_or_b64 exec, exec, s[50:51]
	s_waitcnt vmcnt(0)
	ds_write_b16 v14, v3
	ds_write_b16 v14, v4 offset:128
	ds_write_b16 v14, v5 offset:256
	;; [unrolled: 1-line block ×23, first 2 shown]
	v_mad_u32_u24 v6, v0, 46, v14
	s_waitcnt lgkmcnt(0)
	; wave barrier
	s_waitcnt lgkmcnt(0)
	ds_read_b128 v[2:5], v6
	ds_read_b128 v[10:13], v6 offset:16
	ds_read_b128 v[6:9], v6 offset:32
	v_mbcnt_lo_u32_b32 v38, -1, 0
	v_mbcnt_hi_u32_b32 v38, -1, v38
	s_waitcnt lgkmcnt(2)
	v_add_u16_sdwa v15, v2, v2 dst_sel:DWORD dst_unused:UNUSED_PAD src0_sel:WORD_1 src1_sel:DWORD
	v_add_u16_e32 v16, v15, v3
	v_add_u16_sdwa v18, v16, v3 dst_sel:DWORD dst_unused:UNUSED_PAD src0_sel:DWORD src1_sel:WORD_1
	v_add_u16_e32 v20, v18, v4
	v_add_u16_sdwa v22, v20, v4 dst_sel:DWORD dst_unused:UNUSED_PAD src0_sel:DWORD src1_sel:WORD_1
	;; [unrolled: 2-line block ×3, first 2 shown]
	s_waitcnt lgkmcnt(1)
	v_add_u16_e32 v17, v28, v10
	v_add_u16_sdwa v19, v17, v10 dst_sel:DWORD dst_unused:UNUSED_PAD src0_sel:DWORD src1_sel:WORD_1
	v_add_u16_e32 v21, v19, v11
	v_add_u16_sdwa v24, v21, v11 dst_sel:DWORD dst_unused:UNUSED_PAD src0_sel:DWORD src1_sel:WORD_1
	v_add_u16_e32 v27, v24, v12
	v_add_u16_sdwa v30, v27, v12 dst_sel:DWORD dst_unused:UNUSED_PAD src0_sel:DWORD src1_sel:WORD_1
	v_add_u16_e32 v32, v30, v13
	v_add_u16_sdwa v34, v32, v13 dst_sel:DWORD dst_unused:UNUSED_PAD src0_sel:DWORD src1_sel:WORD_1
	s_waitcnt lgkmcnt(0)
	v_add_u16_e32 v23, v34, v6
	v_add_u16_sdwa v26, v23, v6 dst_sel:DWORD dst_unused:UNUSED_PAD src0_sel:DWORD src1_sel:WORD_1
	v_add_u16_e32 v29, v26, v7
	v_add_u16_sdwa v31, v29, v7 dst_sel:DWORD dst_unused:UNUSED_PAD src0_sel:DWORD src1_sel:WORD_1
	;; [unrolled: 2-line block ×4, first 2 shown]
	v_and_b32_e32 v39, 15, v38
	s_load_dwordx2 s[50:51], s[4:5], 0x18
	v_mov_b32_dpp v40, v37 row_shr:1 row_mask:0xf bank_mask:0xf
	v_cmp_ne_u32_e64 s[4:5], 0, v39
	v_cndmask_b32_e64 v40, 0, v40, s[4:5]
	v_add_u16_e32 v40, v40, v37
	v_cmp_lt_u32_e64 s[4:5], 1, v39
	s_waitcnt lgkmcnt(0)
	v_mov_b32_dpp v41, v40 row_shr:2 row_mask:0xf bank_mask:0xf
	v_cndmask_b32_e64 v41, 0, v41, s[4:5]
	v_add_u16_e32 v40, v40, v41
	v_cmp_lt_u32_e64 s[4:5], 3, v39
	; wave barrier
	s_nop 0
	v_mov_b32_dpp v41, v40 row_shr:4 row_mask:0xf bank_mask:0xf
	v_cndmask_b32_e64 v41, 0, v41, s[4:5]
	v_add_u16_e32 v40, v40, v41
	v_cmp_lt_u32_e64 s[4:5], 7, v39
	s_nop 0
	v_mov_b32_dpp v41, v40 row_shr:8 row_mask:0xf bank_mask:0xf
	v_cndmask_b32_e64 v39, 0, v41, s[4:5]
	v_add_u16_e32 v39, v40, v39
	v_and_b32_e32 v41, 16, v38
	v_cmp_ne_u32_e64 s[4:5], 0, v41
	v_mov_b32_dpp v40, v39 row_bcast:15 row_mask:0xf bank_mask:0xf
	v_cndmask_b32_e64 v40, 0, v40, s[4:5]
	v_add_u16_e32 v39, v39, v40
	v_cmp_lt_u32_e64 s[4:5], 31, v38
	s_nop 0
	v_mov_b32_dpp v40, v39 row_bcast:31 row_mask:0xf bank_mask:0xf
	v_cndmask_b32_e64 v40, 0, v40, s[4:5]
	v_add_u16_e32 v39, v39, v40
	v_cmp_eq_u32_e64 s[4:5], 63, v0
	s_and_saveexec_b64 s[52:53], s[4:5]
	s_cbranch_execz .LBB1080_52
; %bb.51:
	v_mov_b32_e32 v40, 0
	ds_write_b16 v40, v39
.LBB1080_52:
	s_or_b64 exec, exec, s[52:53]
	v_add_u32_e32 v40, -1, v38
	v_and_b32_e32 v41, 64, v38
	v_cmp_lt_i32_e64 s[4:5], v40, v41
	v_cndmask_b32_e64 v38, v40, v38, s[4:5]
	v_lshlrev_b32_e32 v38, 2, v38
	ds_bpermute_b32 v39, v38, v39
	v_mul_u32_u24_e32 v38, 46, v0
	v_cmp_ne_u32_e64 s[4:5], 0, v0
	s_waitcnt lgkmcnt(0)
	; wave barrier
	s_waitcnt lgkmcnt(0)
	s_and_saveexec_b64 s[52:53], s[4:5]
	s_cbranch_execz .LBB1080_54
; %bb.53:
	v_add_u16_e32 v39, v2, v39
	v_add_u16_sdwa v15, v39, v2 dst_sel:DWORD dst_unused:UNUSED_PAD src0_sel:DWORD src1_sel:WORD_1
	v_add_u16_e32 v16, v15, v3
	v_add_u16_sdwa v18, v16, v3 dst_sel:DWORD dst_unused:UNUSED_PAD src0_sel:DWORD src1_sel:WORD_1
	;; [unrolled: 2-line block ×12, first 2 shown]
	v_mov_b32_e32 v2, v39
	;;#ASMSTART
	;;#ASMEND
.LBB1080_54:
	s_or_b64 exec, exec, s[52:53]
	s_mov_b32 s4, 0x5040100
	v_add_u32_e32 v6, v14, v38
	v_perm_b32 v5, v28, v25, s4
	v_perm_b32 v4, v22, v20, s4
	;; [unrolled: 1-line block ×4, first 2 shown]
	s_waitcnt lgkmcnt(0)
	; wave barrier
	ds_write_b128 v6, v[2:5]
	v_perm_b32 v5, v34, v32, s4
	v_perm_b32 v4, v30, v27, s4
	;; [unrolled: 1-line block ×4, first 2 shown]
	ds_write_b128 v6, v[2:5] offset:16
	v_perm_b32 v5, v37, v36, s4
	v_perm_b32 v4, v35, v33, s4
	;; [unrolled: 1-line block ×4, first 2 shown]
	ds_write_b128 v6, v[2:5] offset:32
	s_waitcnt lgkmcnt(0)
	; wave barrier
	s_waitcnt lgkmcnt(0)
	ds_read_u16 v25, v14 offset:128
	ds_read_u16 v24, v14 offset:256
	;; [unrolled: 1-line block ×23, first 2 shown]
	v_lshlrev_b64 v[0:1], 1, v[0:1]
	v_mov_b32_e32 v26, s51
	v_add_co_u32_e64 v0, s[4:5], s50, v0
	v_addc_co_u32_e64 v1, s[4:5], v26, v1, s[4:5]
	s_and_saveexec_b64 s[4:5], vcc
	s_cbranch_execnz .LBB1080_79
; %bb.55:
	s_or_b64 exec, exec, s[4:5]
	s_and_saveexec_b64 s[4:5], s[0:1]
	s_cbranch_execnz .LBB1080_80
.LBB1080_56:
	s_or_b64 exec, exec, s[4:5]
	s_and_saveexec_b64 s[0:1], s[2:3]
	s_cbranch_execnz .LBB1080_81
.LBB1080_57:
	s_or_b64 exec, exec, s[0:1]
	s_and_saveexec_b64 s[0:1], s[48:49]
	s_cbranch_execnz .LBB1080_82
.LBB1080_58:
	s_or_b64 exec, exec, s[0:1]
	s_and_saveexec_b64 s[0:1], s[6:7]
	s_cbranch_execnz .LBB1080_83
.LBB1080_59:
	s_or_b64 exec, exec, s[0:1]
	s_and_saveexec_b64 s[0:1], s[8:9]
	s_cbranch_execnz .LBB1080_84
.LBB1080_60:
	s_or_b64 exec, exec, s[0:1]
	s_and_saveexec_b64 s[0:1], s[10:11]
	s_cbranch_execnz .LBB1080_85
.LBB1080_61:
	s_or_b64 exec, exec, s[0:1]
	s_and_saveexec_b64 s[0:1], s[12:13]
	s_cbranch_execnz .LBB1080_86
.LBB1080_62:
	s_or_b64 exec, exec, s[0:1]
	s_and_saveexec_b64 s[0:1], s[14:15]
	s_cbranch_execnz .LBB1080_87
.LBB1080_63:
	s_or_b64 exec, exec, s[0:1]
	s_and_saveexec_b64 s[0:1], s[16:17]
	s_cbranch_execnz .LBB1080_88
.LBB1080_64:
	s_or_b64 exec, exec, s[0:1]
	s_and_saveexec_b64 s[0:1], s[18:19]
	s_cbranch_execnz .LBB1080_89
.LBB1080_65:
	s_or_b64 exec, exec, s[0:1]
	s_and_saveexec_b64 s[0:1], s[20:21]
	s_cbranch_execnz .LBB1080_90
.LBB1080_66:
	s_or_b64 exec, exec, s[0:1]
	s_and_saveexec_b64 s[0:1], s[22:23]
	s_cbranch_execnz .LBB1080_91
.LBB1080_67:
	s_or_b64 exec, exec, s[0:1]
	s_and_saveexec_b64 s[0:1], s[24:25]
	s_cbranch_execnz .LBB1080_92
.LBB1080_68:
	s_or_b64 exec, exec, s[0:1]
	s_and_saveexec_b64 s[0:1], s[26:27]
	s_cbranch_execnz .LBB1080_93
.LBB1080_69:
	s_or_b64 exec, exec, s[0:1]
	s_and_saveexec_b64 s[0:1], s[28:29]
	s_cbranch_execnz .LBB1080_94
.LBB1080_70:
	s_or_b64 exec, exec, s[0:1]
	s_and_saveexec_b64 s[0:1], s[30:31]
	s_cbranch_execnz .LBB1080_95
.LBB1080_71:
	s_or_b64 exec, exec, s[0:1]
	s_and_saveexec_b64 s[0:1], s[34:35]
	s_cbranch_execnz .LBB1080_96
.LBB1080_72:
	s_or_b64 exec, exec, s[0:1]
	s_and_saveexec_b64 s[0:1], s[36:37]
	s_cbranch_execnz .LBB1080_97
.LBB1080_73:
	s_or_b64 exec, exec, s[0:1]
	s_and_saveexec_b64 s[0:1], s[38:39]
	s_cbranch_execnz .LBB1080_98
.LBB1080_74:
	s_or_b64 exec, exec, s[0:1]
	s_and_saveexec_b64 s[0:1], s[40:41]
	s_cbranch_execnz .LBB1080_99
.LBB1080_75:
	s_or_b64 exec, exec, s[0:1]
	s_and_saveexec_b64 s[0:1], s[42:43]
	s_cbranch_execnz .LBB1080_100
.LBB1080_76:
	s_or_b64 exec, exec, s[0:1]
	s_and_saveexec_b64 s[0:1], s[44:45]
	s_cbranch_execnz .LBB1080_101
.LBB1080_77:
	s_or_b64 exec, exec, s[0:1]
	s_and_saveexec_b64 s[0:1], s[46:47]
	s_cbranch_execnz .LBB1080_102
.LBB1080_78:
	s_endpgm
.LBB1080_79:
	ds_read_u16 v14, v14
	s_waitcnt lgkmcnt(0)
	global_store_short v[0:1], v14, off
	s_or_b64 exec, exec, s[4:5]
	s_and_saveexec_b64 s[4:5], s[0:1]
	s_cbranch_execz .LBB1080_56
.LBB1080_80:
	s_waitcnt lgkmcnt(14)
	global_store_short v[0:1], v25, off offset:128
	s_or_b64 exec, exec, s[4:5]
	s_and_saveexec_b64 s[0:1], s[2:3]
	s_cbranch_execz .LBB1080_57
.LBB1080_81:
	s_waitcnt lgkmcnt(14)
	global_store_short v[0:1], v24, off offset:256
	s_or_b64 exec, exec, s[0:1]
	s_and_saveexec_b64 s[0:1], s[48:49]
	s_cbranch_execz .LBB1080_58
.LBB1080_82:
	s_waitcnt lgkmcnt(14)
	global_store_short v[0:1], v23, off offset:384
	s_or_b64 exec, exec, s[0:1]
	s_and_saveexec_b64 s[0:1], s[6:7]
	s_cbranch_execz .LBB1080_59
.LBB1080_83:
	s_waitcnt lgkmcnt(14)
	global_store_short v[0:1], v22, off offset:512
	s_or_b64 exec, exec, s[0:1]
	s_and_saveexec_b64 s[0:1], s[8:9]
	s_cbranch_execz .LBB1080_60
.LBB1080_84:
	s_waitcnt lgkmcnt(14)
	global_store_short v[0:1], v21, off offset:640
	s_or_b64 exec, exec, s[0:1]
	s_and_saveexec_b64 s[0:1], s[10:11]
	s_cbranch_execz .LBB1080_61
.LBB1080_85:
	s_waitcnt lgkmcnt(14)
	global_store_short v[0:1], v20, off offset:768
	s_or_b64 exec, exec, s[0:1]
	s_and_saveexec_b64 s[0:1], s[12:13]
	s_cbranch_execz .LBB1080_62
.LBB1080_86:
	s_waitcnt lgkmcnt(14)
	global_store_short v[0:1], v19, off offset:896
	s_or_b64 exec, exec, s[0:1]
	s_and_saveexec_b64 s[0:1], s[14:15]
	s_cbranch_execz .LBB1080_63
.LBB1080_87:
	s_waitcnt lgkmcnt(14)
	global_store_short v[0:1], v18, off offset:1024
	s_or_b64 exec, exec, s[0:1]
	s_and_saveexec_b64 s[0:1], s[16:17]
	s_cbranch_execz .LBB1080_64
.LBB1080_88:
	s_waitcnt lgkmcnt(14)
	global_store_short v[0:1], v17, off offset:1152
	s_or_b64 exec, exec, s[0:1]
	s_and_saveexec_b64 s[0:1], s[18:19]
	s_cbranch_execz .LBB1080_65
.LBB1080_89:
	s_waitcnt lgkmcnt(13)
	global_store_short v[0:1], v16, off offset:1280
	s_or_b64 exec, exec, s[0:1]
	s_and_saveexec_b64 s[0:1], s[20:21]
	s_cbranch_execz .LBB1080_66
.LBB1080_90:
	s_waitcnt lgkmcnt(12)
	global_store_short v[0:1], v15, off offset:1408
	s_or_b64 exec, exec, s[0:1]
	s_and_saveexec_b64 s[0:1], s[22:23]
	s_cbranch_execz .LBB1080_67
.LBB1080_91:
	s_waitcnt lgkmcnt(11)
	global_store_short v[0:1], v13, off offset:1536
	s_or_b64 exec, exec, s[0:1]
	s_and_saveexec_b64 s[0:1], s[24:25]
	s_cbranch_execz .LBB1080_68
.LBB1080_92:
	s_waitcnt lgkmcnt(10)
	global_store_short v[0:1], v12, off offset:1664
	s_or_b64 exec, exec, s[0:1]
	s_and_saveexec_b64 s[0:1], s[26:27]
	s_cbranch_execz .LBB1080_69
.LBB1080_93:
	s_waitcnt lgkmcnt(9)
	global_store_short v[0:1], v11, off offset:1792
	s_or_b64 exec, exec, s[0:1]
	s_and_saveexec_b64 s[0:1], s[28:29]
	s_cbranch_execz .LBB1080_70
.LBB1080_94:
	s_waitcnt lgkmcnt(8)
	global_store_short v[0:1], v10, off offset:1920
	s_or_b64 exec, exec, s[0:1]
	s_and_saveexec_b64 s[0:1], s[30:31]
	s_cbranch_execz .LBB1080_71
.LBB1080_95:
	s_waitcnt lgkmcnt(7)
	global_store_short v[0:1], v9, off offset:2048
	s_or_b64 exec, exec, s[0:1]
	s_and_saveexec_b64 s[0:1], s[34:35]
	s_cbranch_execz .LBB1080_72
.LBB1080_96:
	s_waitcnt lgkmcnt(6)
	global_store_short v[0:1], v8, off offset:2176
	s_or_b64 exec, exec, s[0:1]
	s_and_saveexec_b64 s[0:1], s[36:37]
	s_cbranch_execz .LBB1080_73
.LBB1080_97:
	s_waitcnt lgkmcnt(5)
	global_store_short v[0:1], v7, off offset:2304
	s_or_b64 exec, exec, s[0:1]
	s_and_saveexec_b64 s[0:1], s[38:39]
	s_cbranch_execz .LBB1080_74
.LBB1080_98:
	s_waitcnt lgkmcnt(4)
	global_store_short v[0:1], v6, off offset:2432
	s_or_b64 exec, exec, s[0:1]
	s_and_saveexec_b64 s[0:1], s[40:41]
	s_cbranch_execz .LBB1080_75
.LBB1080_99:
	s_waitcnt lgkmcnt(3)
	global_store_short v[0:1], v5, off offset:2560
	s_or_b64 exec, exec, s[0:1]
	s_and_saveexec_b64 s[0:1], s[42:43]
	s_cbranch_execz .LBB1080_76
.LBB1080_100:
	s_waitcnt lgkmcnt(2)
	global_store_short v[0:1], v4, off offset:2688
	s_or_b64 exec, exec, s[0:1]
	s_and_saveexec_b64 s[0:1], s[44:45]
	s_cbranch_execz .LBB1080_77
.LBB1080_101:
	s_waitcnt lgkmcnt(1)
	global_store_short v[0:1], v3, off offset:2816
	s_or_b64 exec, exec, s[0:1]
	s_and_saveexec_b64 s[0:1], s[46:47]
	s_cbranch_execz .LBB1080_78
.LBB1080_102:
	s_waitcnt lgkmcnt(0)
	global_store_short v[0:1], v2, off offset:2944
	s_endpgm
	.section	.rodata,"a",@progbits
	.p2align	6, 0x0
	.amdhsa_kernel _ZN7rocprim17ROCPRIM_400000_NS6detail17trampoline_kernelINS0_14default_configENS1_20scan_config_selectorIsEEZZNS1_9scan_implILNS1_25lookback_scan_determinismE0ELb0ELb0ES3_N6thrust23THRUST_200600_302600_NS6detail15normal_iteratorINS9_10device_ptrIsEEEESE_sNS9_4plusIsEEsEEDaPvRmT3_T4_T5_mT6_P12ihipStream_tbENKUlT_T0_E_clISt17integral_constantIbLb1EESU_EEDaSP_SQ_EUlSP_E0_NS1_11comp_targetILNS1_3genE4ELNS1_11target_archE910ELNS1_3gpuE8ELNS1_3repE0EEENS1_30default_config_static_selectorELNS0_4arch9wavefront6targetE1EEEvT1_
		.amdhsa_group_segment_fixed_size 3072
		.amdhsa_private_segment_fixed_size 0
		.amdhsa_kernarg_size 32
		.amdhsa_user_sgpr_count 6
		.amdhsa_user_sgpr_private_segment_buffer 1
		.amdhsa_user_sgpr_dispatch_ptr 0
		.amdhsa_user_sgpr_queue_ptr 0
		.amdhsa_user_sgpr_kernarg_segment_ptr 1
		.amdhsa_user_sgpr_dispatch_id 0
		.amdhsa_user_sgpr_flat_scratch_init 0
		.amdhsa_user_sgpr_kernarg_preload_length 0
		.amdhsa_user_sgpr_kernarg_preload_offset 0
		.amdhsa_user_sgpr_private_segment_size 0
		.amdhsa_uses_dynamic_stack 0
		.amdhsa_system_sgpr_private_segment_wavefront_offset 0
		.amdhsa_system_sgpr_workgroup_id_x 1
		.amdhsa_system_sgpr_workgroup_id_y 0
		.amdhsa_system_sgpr_workgroup_id_z 0
		.amdhsa_system_sgpr_workgroup_info 0
		.amdhsa_system_vgpr_workitem_id 0
		.amdhsa_next_free_vgpr 42
		.amdhsa_next_free_sgpr 56
		.amdhsa_accum_offset 44
		.amdhsa_reserve_vcc 1
		.amdhsa_reserve_flat_scratch 0
		.amdhsa_float_round_mode_32 0
		.amdhsa_float_round_mode_16_64 0
		.amdhsa_float_denorm_mode_32 3
		.amdhsa_float_denorm_mode_16_64 3
		.amdhsa_dx10_clamp 1
		.amdhsa_ieee_mode 1
		.amdhsa_fp16_overflow 0
		.amdhsa_tg_split 0
		.amdhsa_exception_fp_ieee_invalid_op 0
		.amdhsa_exception_fp_denorm_src 0
		.amdhsa_exception_fp_ieee_div_zero 0
		.amdhsa_exception_fp_ieee_overflow 0
		.amdhsa_exception_fp_ieee_underflow 0
		.amdhsa_exception_fp_ieee_inexact 0
		.amdhsa_exception_int_div_zero 0
	.end_amdhsa_kernel
	.section	.text._ZN7rocprim17ROCPRIM_400000_NS6detail17trampoline_kernelINS0_14default_configENS1_20scan_config_selectorIsEEZZNS1_9scan_implILNS1_25lookback_scan_determinismE0ELb0ELb0ES3_N6thrust23THRUST_200600_302600_NS6detail15normal_iteratorINS9_10device_ptrIsEEEESE_sNS9_4plusIsEEsEEDaPvRmT3_T4_T5_mT6_P12ihipStream_tbENKUlT_T0_E_clISt17integral_constantIbLb1EESU_EEDaSP_SQ_EUlSP_E0_NS1_11comp_targetILNS1_3genE4ELNS1_11target_archE910ELNS1_3gpuE8ELNS1_3repE0EEENS1_30default_config_static_selectorELNS0_4arch9wavefront6targetE1EEEvT1_,"axG",@progbits,_ZN7rocprim17ROCPRIM_400000_NS6detail17trampoline_kernelINS0_14default_configENS1_20scan_config_selectorIsEEZZNS1_9scan_implILNS1_25lookback_scan_determinismE0ELb0ELb0ES3_N6thrust23THRUST_200600_302600_NS6detail15normal_iteratorINS9_10device_ptrIsEEEESE_sNS9_4plusIsEEsEEDaPvRmT3_T4_T5_mT6_P12ihipStream_tbENKUlT_T0_E_clISt17integral_constantIbLb1EESU_EEDaSP_SQ_EUlSP_E0_NS1_11comp_targetILNS1_3genE4ELNS1_11target_archE910ELNS1_3gpuE8ELNS1_3repE0EEENS1_30default_config_static_selectorELNS0_4arch9wavefront6targetE1EEEvT1_,comdat
.Lfunc_end1080:
	.size	_ZN7rocprim17ROCPRIM_400000_NS6detail17trampoline_kernelINS0_14default_configENS1_20scan_config_selectorIsEEZZNS1_9scan_implILNS1_25lookback_scan_determinismE0ELb0ELb0ES3_N6thrust23THRUST_200600_302600_NS6detail15normal_iteratorINS9_10device_ptrIsEEEESE_sNS9_4plusIsEEsEEDaPvRmT3_T4_T5_mT6_P12ihipStream_tbENKUlT_T0_E_clISt17integral_constantIbLb1EESU_EEDaSP_SQ_EUlSP_E0_NS1_11comp_targetILNS1_3genE4ELNS1_11target_archE910ELNS1_3gpuE8ELNS1_3repE0EEENS1_30default_config_static_selectorELNS0_4arch9wavefront6targetE1EEEvT1_, .Lfunc_end1080-_ZN7rocprim17ROCPRIM_400000_NS6detail17trampoline_kernelINS0_14default_configENS1_20scan_config_selectorIsEEZZNS1_9scan_implILNS1_25lookback_scan_determinismE0ELb0ELb0ES3_N6thrust23THRUST_200600_302600_NS6detail15normal_iteratorINS9_10device_ptrIsEEEESE_sNS9_4plusIsEEsEEDaPvRmT3_T4_T5_mT6_P12ihipStream_tbENKUlT_T0_E_clISt17integral_constantIbLb1EESU_EEDaSP_SQ_EUlSP_E0_NS1_11comp_targetILNS1_3genE4ELNS1_11target_archE910ELNS1_3gpuE8ELNS1_3repE0EEENS1_30default_config_static_selectorELNS0_4arch9wavefront6targetE1EEEvT1_
                                        ; -- End function
	.section	.AMDGPU.csdata,"",@progbits
; Kernel info:
; codeLenInByte = 3068
; NumSgprs: 60
; NumVgprs: 42
; NumAgprs: 0
; TotalNumVgprs: 42
; ScratchSize: 0
; MemoryBound: 0
; FloatMode: 240
; IeeeMode: 1
; LDSByteSize: 3072 bytes/workgroup (compile time only)
; SGPRBlocks: 7
; VGPRBlocks: 5
; NumSGPRsForWavesPerEU: 60
; NumVGPRsForWavesPerEU: 42
; AccumOffset: 44
; Occupancy: 6
; WaveLimiterHint : 0
; COMPUTE_PGM_RSRC2:SCRATCH_EN: 0
; COMPUTE_PGM_RSRC2:USER_SGPR: 6
; COMPUTE_PGM_RSRC2:TRAP_HANDLER: 0
; COMPUTE_PGM_RSRC2:TGID_X_EN: 1
; COMPUTE_PGM_RSRC2:TGID_Y_EN: 0
; COMPUTE_PGM_RSRC2:TGID_Z_EN: 0
; COMPUTE_PGM_RSRC2:TIDIG_COMP_CNT: 0
; COMPUTE_PGM_RSRC3_GFX90A:ACCUM_OFFSET: 10
; COMPUTE_PGM_RSRC3_GFX90A:TG_SPLIT: 0
	.section	.text._ZN7rocprim17ROCPRIM_400000_NS6detail17trampoline_kernelINS0_14default_configENS1_20scan_config_selectorIsEEZZNS1_9scan_implILNS1_25lookback_scan_determinismE0ELb0ELb0ES3_N6thrust23THRUST_200600_302600_NS6detail15normal_iteratorINS9_10device_ptrIsEEEESE_sNS9_4plusIsEEsEEDaPvRmT3_T4_T5_mT6_P12ihipStream_tbENKUlT_T0_E_clISt17integral_constantIbLb1EESU_EEDaSP_SQ_EUlSP_E0_NS1_11comp_targetILNS1_3genE3ELNS1_11target_archE908ELNS1_3gpuE7ELNS1_3repE0EEENS1_30default_config_static_selectorELNS0_4arch9wavefront6targetE1EEEvT1_,"axG",@progbits,_ZN7rocprim17ROCPRIM_400000_NS6detail17trampoline_kernelINS0_14default_configENS1_20scan_config_selectorIsEEZZNS1_9scan_implILNS1_25lookback_scan_determinismE0ELb0ELb0ES3_N6thrust23THRUST_200600_302600_NS6detail15normal_iteratorINS9_10device_ptrIsEEEESE_sNS9_4plusIsEEsEEDaPvRmT3_T4_T5_mT6_P12ihipStream_tbENKUlT_T0_E_clISt17integral_constantIbLb1EESU_EEDaSP_SQ_EUlSP_E0_NS1_11comp_targetILNS1_3genE3ELNS1_11target_archE908ELNS1_3gpuE7ELNS1_3repE0EEENS1_30default_config_static_selectorELNS0_4arch9wavefront6targetE1EEEvT1_,comdat
	.protected	_ZN7rocprim17ROCPRIM_400000_NS6detail17trampoline_kernelINS0_14default_configENS1_20scan_config_selectorIsEEZZNS1_9scan_implILNS1_25lookback_scan_determinismE0ELb0ELb0ES3_N6thrust23THRUST_200600_302600_NS6detail15normal_iteratorINS9_10device_ptrIsEEEESE_sNS9_4plusIsEEsEEDaPvRmT3_T4_T5_mT6_P12ihipStream_tbENKUlT_T0_E_clISt17integral_constantIbLb1EESU_EEDaSP_SQ_EUlSP_E0_NS1_11comp_targetILNS1_3genE3ELNS1_11target_archE908ELNS1_3gpuE7ELNS1_3repE0EEENS1_30default_config_static_selectorELNS0_4arch9wavefront6targetE1EEEvT1_ ; -- Begin function _ZN7rocprim17ROCPRIM_400000_NS6detail17trampoline_kernelINS0_14default_configENS1_20scan_config_selectorIsEEZZNS1_9scan_implILNS1_25lookback_scan_determinismE0ELb0ELb0ES3_N6thrust23THRUST_200600_302600_NS6detail15normal_iteratorINS9_10device_ptrIsEEEESE_sNS9_4plusIsEEsEEDaPvRmT3_T4_T5_mT6_P12ihipStream_tbENKUlT_T0_E_clISt17integral_constantIbLb1EESU_EEDaSP_SQ_EUlSP_E0_NS1_11comp_targetILNS1_3genE3ELNS1_11target_archE908ELNS1_3gpuE7ELNS1_3repE0EEENS1_30default_config_static_selectorELNS0_4arch9wavefront6targetE1EEEvT1_
	.globl	_ZN7rocprim17ROCPRIM_400000_NS6detail17trampoline_kernelINS0_14default_configENS1_20scan_config_selectorIsEEZZNS1_9scan_implILNS1_25lookback_scan_determinismE0ELb0ELb0ES3_N6thrust23THRUST_200600_302600_NS6detail15normal_iteratorINS9_10device_ptrIsEEEESE_sNS9_4plusIsEEsEEDaPvRmT3_T4_T5_mT6_P12ihipStream_tbENKUlT_T0_E_clISt17integral_constantIbLb1EESU_EEDaSP_SQ_EUlSP_E0_NS1_11comp_targetILNS1_3genE3ELNS1_11target_archE908ELNS1_3gpuE7ELNS1_3repE0EEENS1_30default_config_static_selectorELNS0_4arch9wavefront6targetE1EEEvT1_
	.p2align	8
	.type	_ZN7rocprim17ROCPRIM_400000_NS6detail17trampoline_kernelINS0_14default_configENS1_20scan_config_selectorIsEEZZNS1_9scan_implILNS1_25lookback_scan_determinismE0ELb0ELb0ES3_N6thrust23THRUST_200600_302600_NS6detail15normal_iteratorINS9_10device_ptrIsEEEESE_sNS9_4plusIsEEsEEDaPvRmT3_T4_T5_mT6_P12ihipStream_tbENKUlT_T0_E_clISt17integral_constantIbLb1EESU_EEDaSP_SQ_EUlSP_E0_NS1_11comp_targetILNS1_3genE3ELNS1_11target_archE908ELNS1_3gpuE7ELNS1_3repE0EEENS1_30default_config_static_selectorELNS0_4arch9wavefront6targetE1EEEvT1_,@function
_ZN7rocprim17ROCPRIM_400000_NS6detail17trampoline_kernelINS0_14default_configENS1_20scan_config_selectorIsEEZZNS1_9scan_implILNS1_25lookback_scan_determinismE0ELb0ELb0ES3_N6thrust23THRUST_200600_302600_NS6detail15normal_iteratorINS9_10device_ptrIsEEEESE_sNS9_4plusIsEEsEEDaPvRmT3_T4_T5_mT6_P12ihipStream_tbENKUlT_T0_E_clISt17integral_constantIbLb1EESU_EEDaSP_SQ_EUlSP_E0_NS1_11comp_targetILNS1_3genE3ELNS1_11target_archE908ELNS1_3gpuE7ELNS1_3repE0EEENS1_30default_config_static_selectorELNS0_4arch9wavefront6targetE1EEEvT1_: ; @_ZN7rocprim17ROCPRIM_400000_NS6detail17trampoline_kernelINS0_14default_configENS1_20scan_config_selectorIsEEZZNS1_9scan_implILNS1_25lookback_scan_determinismE0ELb0ELb0ES3_N6thrust23THRUST_200600_302600_NS6detail15normal_iteratorINS9_10device_ptrIsEEEESE_sNS9_4plusIsEEsEEDaPvRmT3_T4_T5_mT6_P12ihipStream_tbENKUlT_T0_E_clISt17integral_constantIbLb1EESU_EEDaSP_SQ_EUlSP_E0_NS1_11comp_targetILNS1_3genE3ELNS1_11target_archE908ELNS1_3gpuE7ELNS1_3repE0EEENS1_30default_config_static_selectorELNS0_4arch9wavefront6targetE1EEEvT1_
; %bb.0:
	.section	.rodata,"a",@progbits
	.p2align	6, 0x0
	.amdhsa_kernel _ZN7rocprim17ROCPRIM_400000_NS6detail17trampoline_kernelINS0_14default_configENS1_20scan_config_selectorIsEEZZNS1_9scan_implILNS1_25lookback_scan_determinismE0ELb0ELb0ES3_N6thrust23THRUST_200600_302600_NS6detail15normal_iteratorINS9_10device_ptrIsEEEESE_sNS9_4plusIsEEsEEDaPvRmT3_T4_T5_mT6_P12ihipStream_tbENKUlT_T0_E_clISt17integral_constantIbLb1EESU_EEDaSP_SQ_EUlSP_E0_NS1_11comp_targetILNS1_3genE3ELNS1_11target_archE908ELNS1_3gpuE7ELNS1_3repE0EEENS1_30default_config_static_selectorELNS0_4arch9wavefront6targetE1EEEvT1_
		.amdhsa_group_segment_fixed_size 0
		.amdhsa_private_segment_fixed_size 0
		.amdhsa_kernarg_size 32
		.amdhsa_user_sgpr_count 6
		.amdhsa_user_sgpr_private_segment_buffer 1
		.amdhsa_user_sgpr_dispatch_ptr 0
		.amdhsa_user_sgpr_queue_ptr 0
		.amdhsa_user_sgpr_kernarg_segment_ptr 1
		.amdhsa_user_sgpr_dispatch_id 0
		.amdhsa_user_sgpr_flat_scratch_init 0
		.amdhsa_user_sgpr_kernarg_preload_length 0
		.amdhsa_user_sgpr_kernarg_preload_offset 0
		.amdhsa_user_sgpr_private_segment_size 0
		.amdhsa_uses_dynamic_stack 0
		.amdhsa_system_sgpr_private_segment_wavefront_offset 0
		.amdhsa_system_sgpr_workgroup_id_x 1
		.amdhsa_system_sgpr_workgroup_id_y 0
		.amdhsa_system_sgpr_workgroup_id_z 0
		.amdhsa_system_sgpr_workgroup_info 0
		.amdhsa_system_vgpr_workitem_id 0
		.amdhsa_next_free_vgpr 1
		.amdhsa_next_free_sgpr 0
		.amdhsa_accum_offset 4
		.amdhsa_reserve_vcc 0
		.amdhsa_reserve_flat_scratch 0
		.amdhsa_float_round_mode_32 0
		.amdhsa_float_round_mode_16_64 0
		.amdhsa_float_denorm_mode_32 3
		.amdhsa_float_denorm_mode_16_64 3
		.amdhsa_dx10_clamp 1
		.amdhsa_ieee_mode 1
		.amdhsa_fp16_overflow 0
		.amdhsa_tg_split 0
		.amdhsa_exception_fp_ieee_invalid_op 0
		.amdhsa_exception_fp_denorm_src 0
		.amdhsa_exception_fp_ieee_div_zero 0
		.amdhsa_exception_fp_ieee_overflow 0
		.amdhsa_exception_fp_ieee_underflow 0
		.amdhsa_exception_fp_ieee_inexact 0
		.amdhsa_exception_int_div_zero 0
	.end_amdhsa_kernel
	.section	.text._ZN7rocprim17ROCPRIM_400000_NS6detail17trampoline_kernelINS0_14default_configENS1_20scan_config_selectorIsEEZZNS1_9scan_implILNS1_25lookback_scan_determinismE0ELb0ELb0ES3_N6thrust23THRUST_200600_302600_NS6detail15normal_iteratorINS9_10device_ptrIsEEEESE_sNS9_4plusIsEEsEEDaPvRmT3_T4_T5_mT6_P12ihipStream_tbENKUlT_T0_E_clISt17integral_constantIbLb1EESU_EEDaSP_SQ_EUlSP_E0_NS1_11comp_targetILNS1_3genE3ELNS1_11target_archE908ELNS1_3gpuE7ELNS1_3repE0EEENS1_30default_config_static_selectorELNS0_4arch9wavefront6targetE1EEEvT1_,"axG",@progbits,_ZN7rocprim17ROCPRIM_400000_NS6detail17trampoline_kernelINS0_14default_configENS1_20scan_config_selectorIsEEZZNS1_9scan_implILNS1_25lookback_scan_determinismE0ELb0ELb0ES3_N6thrust23THRUST_200600_302600_NS6detail15normal_iteratorINS9_10device_ptrIsEEEESE_sNS9_4plusIsEEsEEDaPvRmT3_T4_T5_mT6_P12ihipStream_tbENKUlT_T0_E_clISt17integral_constantIbLb1EESU_EEDaSP_SQ_EUlSP_E0_NS1_11comp_targetILNS1_3genE3ELNS1_11target_archE908ELNS1_3gpuE7ELNS1_3repE0EEENS1_30default_config_static_selectorELNS0_4arch9wavefront6targetE1EEEvT1_,comdat
.Lfunc_end1081:
	.size	_ZN7rocprim17ROCPRIM_400000_NS6detail17trampoline_kernelINS0_14default_configENS1_20scan_config_selectorIsEEZZNS1_9scan_implILNS1_25lookback_scan_determinismE0ELb0ELb0ES3_N6thrust23THRUST_200600_302600_NS6detail15normal_iteratorINS9_10device_ptrIsEEEESE_sNS9_4plusIsEEsEEDaPvRmT3_T4_T5_mT6_P12ihipStream_tbENKUlT_T0_E_clISt17integral_constantIbLb1EESU_EEDaSP_SQ_EUlSP_E0_NS1_11comp_targetILNS1_3genE3ELNS1_11target_archE908ELNS1_3gpuE7ELNS1_3repE0EEENS1_30default_config_static_selectorELNS0_4arch9wavefront6targetE1EEEvT1_, .Lfunc_end1081-_ZN7rocprim17ROCPRIM_400000_NS6detail17trampoline_kernelINS0_14default_configENS1_20scan_config_selectorIsEEZZNS1_9scan_implILNS1_25lookback_scan_determinismE0ELb0ELb0ES3_N6thrust23THRUST_200600_302600_NS6detail15normal_iteratorINS9_10device_ptrIsEEEESE_sNS9_4plusIsEEsEEDaPvRmT3_T4_T5_mT6_P12ihipStream_tbENKUlT_T0_E_clISt17integral_constantIbLb1EESU_EEDaSP_SQ_EUlSP_E0_NS1_11comp_targetILNS1_3genE3ELNS1_11target_archE908ELNS1_3gpuE7ELNS1_3repE0EEENS1_30default_config_static_selectorELNS0_4arch9wavefront6targetE1EEEvT1_
                                        ; -- End function
	.section	.AMDGPU.csdata,"",@progbits
; Kernel info:
; codeLenInByte = 0
; NumSgprs: 4
; NumVgprs: 0
; NumAgprs: 0
; TotalNumVgprs: 0
; ScratchSize: 0
; MemoryBound: 0
; FloatMode: 240
; IeeeMode: 1
; LDSByteSize: 0 bytes/workgroup (compile time only)
; SGPRBlocks: 0
; VGPRBlocks: 0
; NumSGPRsForWavesPerEU: 4
; NumVGPRsForWavesPerEU: 1
; AccumOffset: 4
; Occupancy: 8
; WaveLimiterHint : 0
; COMPUTE_PGM_RSRC2:SCRATCH_EN: 0
; COMPUTE_PGM_RSRC2:USER_SGPR: 6
; COMPUTE_PGM_RSRC2:TRAP_HANDLER: 0
; COMPUTE_PGM_RSRC2:TGID_X_EN: 1
; COMPUTE_PGM_RSRC2:TGID_Y_EN: 0
; COMPUTE_PGM_RSRC2:TGID_Z_EN: 0
; COMPUTE_PGM_RSRC2:TIDIG_COMP_CNT: 0
; COMPUTE_PGM_RSRC3_GFX90A:ACCUM_OFFSET: 0
; COMPUTE_PGM_RSRC3_GFX90A:TG_SPLIT: 0
	.section	.text._ZN7rocprim17ROCPRIM_400000_NS6detail17trampoline_kernelINS0_14default_configENS1_20scan_config_selectorIsEEZZNS1_9scan_implILNS1_25lookback_scan_determinismE0ELb0ELb0ES3_N6thrust23THRUST_200600_302600_NS6detail15normal_iteratorINS9_10device_ptrIsEEEESE_sNS9_4plusIsEEsEEDaPvRmT3_T4_T5_mT6_P12ihipStream_tbENKUlT_T0_E_clISt17integral_constantIbLb1EESU_EEDaSP_SQ_EUlSP_E0_NS1_11comp_targetILNS1_3genE2ELNS1_11target_archE906ELNS1_3gpuE6ELNS1_3repE0EEENS1_30default_config_static_selectorELNS0_4arch9wavefront6targetE1EEEvT1_,"axG",@progbits,_ZN7rocprim17ROCPRIM_400000_NS6detail17trampoline_kernelINS0_14default_configENS1_20scan_config_selectorIsEEZZNS1_9scan_implILNS1_25lookback_scan_determinismE0ELb0ELb0ES3_N6thrust23THRUST_200600_302600_NS6detail15normal_iteratorINS9_10device_ptrIsEEEESE_sNS9_4plusIsEEsEEDaPvRmT3_T4_T5_mT6_P12ihipStream_tbENKUlT_T0_E_clISt17integral_constantIbLb1EESU_EEDaSP_SQ_EUlSP_E0_NS1_11comp_targetILNS1_3genE2ELNS1_11target_archE906ELNS1_3gpuE6ELNS1_3repE0EEENS1_30default_config_static_selectorELNS0_4arch9wavefront6targetE1EEEvT1_,comdat
	.protected	_ZN7rocprim17ROCPRIM_400000_NS6detail17trampoline_kernelINS0_14default_configENS1_20scan_config_selectorIsEEZZNS1_9scan_implILNS1_25lookback_scan_determinismE0ELb0ELb0ES3_N6thrust23THRUST_200600_302600_NS6detail15normal_iteratorINS9_10device_ptrIsEEEESE_sNS9_4plusIsEEsEEDaPvRmT3_T4_T5_mT6_P12ihipStream_tbENKUlT_T0_E_clISt17integral_constantIbLb1EESU_EEDaSP_SQ_EUlSP_E0_NS1_11comp_targetILNS1_3genE2ELNS1_11target_archE906ELNS1_3gpuE6ELNS1_3repE0EEENS1_30default_config_static_selectorELNS0_4arch9wavefront6targetE1EEEvT1_ ; -- Begin function _ZN7rocprim17ROCPRIM_400000_NS6detail17trampoline_kernelINS0_14default_configENS1_20scan_config_selectorIsEEZZNS1_9scan_implILNS1_25lookback_scan_determinismE0ELb0ELb0ES3_N6thrust23THRUST_200600_302600_NS6detail15normal_iteratorINS9_10device_ptrIsEEEESE_sNS9_4plusIsEEsEEDaPvRmT3_T4_T5_mT6_P12ihipStream_tbENKUlT_T0_E_clISt17integral_constantIbLb1EESU_EEDaSP_SQ_EUlSP_E0_NS1_11comp_targetILNS1_3genE2ELNS1_11target_archE906ELNS1_3gpuE6ELNS1_3repE0EEENS1_30default_config_static_selectorELNS0_4arch9wavefront6targetE1EEEvT1_
	.globl	_ZN7rocprim17ROCPRIM_400000_NS6detail17trampoline_kernelINS0_14default_configENS1_20scan_config_selectorIsEEZZNS1_9scan_implILNS1_25lookback_scan_determinismE0ELb0ELb0ES3_N6thrust23THRUST_200600_302600_NS6detail15normal_iteratorINS9_10device_ptrIsEEEESE_sNS9_4plusIsEEsEEDaPvRmT3_T4_T5_mT6_P12ihipStream_tbENKUlT_T0_E_clISt17integral_constantIbLb1EESU_EEDaSP_SQ_EUlSP_E0_NS1_11comp_targetILNS1_3genE2ELNS1_11target_archE906ELNS1_3gpuE6ELNS1_3repE0EEENS1_30default_config_static_selectorELNS0_4arch9wavefront6targetE1EEEvT1_
	.p2align	8
	.type	_ZN7rocprim17ROCPRIM_400000_NS6detail17trampoline_kernelINS0_14default_configENS1_20scan_config_selectorIsEEZZNS1_9scan_implILNS1_25lookback_scan_determinismE0ELb0ELb0ES3_N6thrust23THRUST_200600_302600_NS6detail15normal_iteratorINS9_10device_ptrIsEEEESE_sNS9_4plusIsEEsEEDaPvRmT3_T4_T5_mT6_P12ihipStream_tbENKUlT_T0_E_clISt17integral_constantIbLb1EESU_EEDaSP_SQ_EUlSP_E0_NS1_11comp_targetILNS1_3genE2ELNS1_11target_archE906ELNS1_3gpuE6ELNS1_3repE0EEENS1_30default_config_static_selectorELNS0_4arch9wavefront6targetE1EEEvT1_,@function
_ZN7rocprim17ROCPRIM_400000_NS6detail17trampoline_kernelINS0_14default_configENS1_20scan_config_selectorIsEEZZNS1_9scan_implILNS1_25lookback_scan_determinismE0ELb0ELb0ES3_N6thrust23THRUST_200600_302600_NS6detail15normal_iteratorINS9_10device_ptrIsEEEESE_sNS9_4plusIsEEsEEDaPvRmT3_T4_T5_mT6_P12ihipStream_tbENKUlT_T0_E_clISt17integral_constantIbLb1EESU_EEDaSP_SQ_EUlSP_E0_NS1_11comp_targetILNS1_3genE2ELNS1_11target_archE906ELNS1_3gpuE6ELNS1_3repE0EEENS1_30default_config_static_selectorELNS0_4arch9wavefront6targetE1EEEvT1_: ; @_ZN7rocprim17ROCPRIM_400000_NS6detail17trampoline_kernelINS0_14default_configENS1_20scan_config_selectorIsEEZZNS1_9scan_implILNS1_25lookback_scan_determinismE0ELb0ELb0ES3_N6thrust23THRUST_200600_302600_NS6detail15normal_iteratorINS9_10device_ptrIsEEEESE_sNS9_4plusIsEEsEEDaPvRmT3_T4_T5_mT6_P12ihipStream_tbENKUlT_T0_E_clISt17integral_constantIbLb1EESU_EEDaSP_SQ_EUlSP_E0_NS1_11comp_targetILNS1_3genE2ELNS1_11target_archE906ELNS1_3gpuE6ELNS1_3repE0EEENS1_30default_config_static_selectorELNS0_4arch9wavefront6targetE1EEEvT1_
; %bb.0:
	.section	.rodata,"a",@progbits
	.p2align	6, 0x0
	.amdhsa_kernel _ZN7rocprim17ROCPRIM_400000_NS6detail17trampoline_kernelINS0_14default_configENS1_20scan_config_selectorIsEEZZNS1_9scan_implILNS1_25lookback_scan_determinismE0ELb0ELb0ES3_N6thrust23THRUST_200600_302600_NS6detail15normal_iteratorINS9_10device_ptrIsEEEESE_sNS9_4plusIsEEsEEDaPvRmT3_T4_T5_mT6_P12ihipStream_tbENKUlT_T0_E_clISt17integral_constantIbLb1EESU_EEDaSP_SQ_EUlSP_E0_NS1_11comp_targetILNS1_3genE2ELNS1_11target_archE906ELNS1_3gpuE6ELNS1_3repE0EEENS1_30default_config_static_selectorELNS0_4arch9wavefront6targetE1EEEvT1_
		.amdhsa_group_segment_fixed_size 0
		.amdhsa_private_segment_fixed_size 0
		.amdhsa_kernarg_size 32
		.amdhsa_user_sgpr_count 6
		.amdhsa_user_sgpr_private_segment_buffer 1
		.amdhsa_user_sgpr_dispatch_ptr 0
		.amdhsa_user_sgpr_queue_ptr 0
		.amdhsa_user_sgpr_kernarg_segment_ptr 1
		.amdhsa_user_sgpr_dispatch_id 0
		.amdhsa_user_sgpr_flat_scratch_init 0
		.amdhsa_user_sgpr_kernarg_preload_length 0
		.amdhsa_user_sgpr_kernarg_preload_offset 0
		.amdhsa_user_sgpr_private_segment_size 0
		.amdhsa_uses_dynamic_stack 0
		.amdhsa_system_sgpr_private_segment_wavefront_offset 0
		.amdhsa_system_sgpr_workgroup_id_x 1
		.amdhsa_system_sgpr_workgroup_id_y 0
		.amdhsa_system_sgpr_workgroup_id_z 0
		.amdhsa_system_sgpr_workgroup_info 0
		.amdhsa_system_vgpr_workitem_id 0
		.amdhsa_next_free_vgpr 1
		.amdhsa_next_free_sgpr 0
		.amdhsa_accum_offset 4
		.amdhsa_reserve_vcc 0
		.amdhsa_reserve_flat_scratch 0
		.amdhsa_float_round_mode_32 0
		.amdhsa_float_round_mode_16_64 0
		.amdhsa_float_denorm_mode_32 3
		.amdhsa_float_denorm_mode_16_64 3
		.amdhsa_dx10_clamp 1
		.amdhsa_ieee_mode 1
		.amdhsa_fp16_overflow 0
		.amdhsa_tg_split 0
		.amdhsa_exception_fp_ieee_invalid_op 0
		.amdhsa_exception_fp_denorm_src 0
		.amdhsa_exception_fp_ieee_div_zero 0
		.amdhsa_exception_fp_ieee_overflow 0
		.amdhsa_exception_fp_ieee_underflow 0
		.amdhsa_exception_fp_ieee_inexact 0
		.amdhsa_exception_int_div_zero 0
	.end_amdhsa_kernel
	.section	.text._ZN7rocprim17ROCPRIM_400000_NS6detail17trampoline_kernelINS0_14default_configENS1_20scan_config_selectorIsEEZZNS1_9scan_implILNS1_25lookback_scan_determinismE0ELb0ELb0ES3_N6thrust23THRUST_200600_302600_NS6detail15normal_iteratorINS9_10device_ptrIsEEEESE_sNS9_4plusIsEEsEEDaPvRmT3_T4_T5_mT6_P12ihipStream_tbENKUlT_T0_E_clISt17integral_constantIbLb1EESU_EEDaSP_SQ_EUlSP_E0_NS1_11comp_targetILNS1_3genE2ELNS1_11target_archE906ELNS1_3gpuE6ELNS1_3repE0EEENS1_30default_config_static_selectorELNS0_4arch9wavefront6targetE1EEEvT1_,"axG",@progbits,_ZN7rocprim17ROCPRIM_400000_NS6detail17trampoline_kernelINS0_14default_configENS1_20scan_config_selectorIsEEZZNS1_9scan_implILNS1_25lookback_scan_determinismE0ELb0ELb0ES3_N6thrust23THRUST_200600_302600_NS6detail15normal_iteratorINS9_10device_ptrIsEEEESE_sNS9_4plusIsEEsEEDaPvRmT3_T4_T5_mT6_P12ihipStream_tbENKUlT_T0_E_clISt17integral_constantIbLb1EESU_EEDaSP_SQ_EUlSP_E0_NS1_11comp_targetILNS1_3genE2ELNS1_11target_archE906ELNS1_3gpuE6ELNS1_3repE0EEENS1_30default_config_static_selectorELNS0_4arch9wavefront6targetE1EEEvT1_,comdat
.Lfunc_end1082:
	.size	_ZN7rocprim17ROCPRIM_400000_NS6detail17trampoline_kernelINS0_14default_configENS1_20scan_config_selectorIsEEZZNS1_9scan_implILNS1_25lookback_scan_determinismE0ELb0ELb0ES3_N6thrust23THRUST_200600_302600_NS6detail15normal_iteratorINS9_10device_ptrIsEEEESE_sNS9_4plusIsEEsEEDaPvRmT3_T4_T5_mT6_P12ihipStream_tbENKUlT_T0_E_clISt17integral_constantIbLb1EESU_EEDaSP_SQ_EUlSP_E0_NS1_11comp_targetILNS1_3genE2ELNS1_11target_archE906ELNS1_3gpuE6ELNS1_3repE0EEENS1_30default_config_static_selectorELNS0_4arch9wavefront6targetE1EEEvT1_, .Lfunc_end1082-_ZN7rocprim17ROCPRIM_400000_NS6detail17trampoline_kernelINS0_14default_configENS1_20scan_config_selectorIsEEZZNS1_9scan_implILNS1_25lookback_scan_determinismE0ELb0ELb0ES3_N6thrust23THRUST_200600_302600_NS6detail15normal_iteratorINS9_10device_ptrIsEEEESE_sNS9_4plusIsEEsEEDaPvRmT3_T4_T5_mT6_P12ihipStream_tbENKUlT_T0_E_clISt17integral_constantIbLb1EESU_EEDaSP_SQ_EUlSP_E0_NS1_11comp_targetILNS1_3genE2ELNS1_11target_archE906ELNS1_3gpuE6ELNS1_3repE0EEENS1_30default_config_static_selectorELNS0_4arch9wavefront6targetE1EEEvT1_
                                        ; -- End function
	.section	.AMDGPU.csdata,"",@progbits
; Kernel info:
; codeLenInByte = 0
; NumSgprs: 4
; NumVgprs: 0
; NumAgprs: 0
; TotalNumVgprs: 0
; ScratchSize: 0
; MemoryBound: 0
; FloatMode: 240
; IeeeMode: 1
; LDSByteSize: 0 bytes/workgroup (compile time only)
; SGPRBlocks: 0
; VGPRBlocks: 0
; NumSGPRsForWavesPerEU: 4
; NumVGPRsForWavesPerEU: 1
; AccumOffset: 4
; Occupancy: 8
; WaveLimiterHint : 0
; COMPUTE_PGM_RSRC2:SCRATCH_EN: 0
; COMPUTE_PGM_RSRC2:USER_SGPR: 6
; COMPUTE_PGM_RSRC2:TRAP_HANDLER: 0
; COMPUTE_PGM_RSRC2:TGID_X_EN: 1
; COMPUTE_PGM_RSRC2:TGID_Y_EN: 0
; COMPUTE_PGM_RSRC2:TGID_Z_EN: 0
; COMPUTE_PGM_RSRC2:TIDIG_COMP_CNT: 0
; COMPUTE_PGM_RSRC3_GFX90A:ACCUM_OFFSET: 0
; COMPUTE_PGM_RSRC3_GFX90A:TG_SPLIT: 0
	.section	.text._ZN7rocprim17ROCPRIM_400000_NS6detail17trampoline_kernelINS0_14default_configENS1_20scan_config_selectorIsEEZZNS1_9scan_implILNS1_25lookback_scan_determinismE0ELb0ELb0ES3_N6thrust23THRUST_200600_302600_NS6detail15normal_iteratorINS9_10device_ptrIsEEEESE_sNS9_4plusIsEEsEEDaPvRmT3_T4_T5_mT6_P12ihipStream_tbENKUlT_T0_E_clISt17integral_constantIbLb1EESU_EEDaSP_SQ_EUlSP_E0_NS1_11comp_targetILNS1_3genE10ELNS1_11target_archE1201ELNS1_3gpuE5ELNS1_3repE0EEENS1_30default_config_static_selectorELNS0_4arch9wavefront6targetE1EEEvT1_,"axG",@progbits,_ZN7rocprim17ROCPRIM_400000_NS6detail17trampoline_kernelINS0_14default_configENS1_20scan_config_selectorIsEEZZNS1_9scan_implILNS1_25lookback_scan_determinismE0ELb0ELb0ES3_N6thrust23THRUST_200600_302600_NS6detail15normal_iteratorINS9_10device_ptrIsEEEESE_sNS9_4plusIsEEsEEDaPvRmT3_T4_T5_mT6_P12ihipStream_tbENKUlT_T0_E_clISt17integral_constantIbLb1EESU_EEDaSP_SQ_EUlSP_E0_NS1_11comp_targetILNS1_3genE10ELNS1_11target_archE1201ELNS1_3gpuE5ELNS1_3repE0EEENS1_30default_config_static_selectorELNS0_4arch9wavefront6targetE1EEEvT1_,comdat
	.protected	_ZN7rocprim17ROCPRIM_400000_NS6detail17trampoline_kernelINS0_14default_configENS1_20scan_config_selectorIsEEZZNS1_9scan_implILNS1_25lookback_scan_determinismE0ELb0ELb0ES3_N6thrust23THRUST_200600_302600_NS6detail15normal_iteratorINS9_10device_ptrIsEEEESE_sNS9_4plusIsEEsEEDaPvRmT3_T4_T5_mT6_P12ihipStream_tbENKUlT_T0_E_clISt17integral_constantIbLb1EESU_EEDaSP_SQ_EUlSP_E0_NS1_11comp_targetILNS1_3genE10ELNS1_11target_archE1201ELNS1_3gpuE5ELNS1_3repE0EEENS1_30default_config_static_selectorELNS0_4arch9wavefront6targetE1EEEvT1_ ; -- Begin function _ZN7rocprim17ROCPRIM_400000_NS6detail17trampoline_kernelINS0_14default_configENS1_20scan_config_selectorIsEEZZNS1_9scan_implILNS1_25lookback_scan_determinismE0ELb0ELb0ES3_N6thrust23THRUST_200600_302600_NS6detail15normal_iteratorINS9_10device_ptrIsEEEESE_sNS9_4plusIsEEsEEDaPvRmT3_T4_T5_mT6_P12ihipStream_tbENKUlT_T0_E_clISt17integral_constantIbLb1EESU_EEDaSP_SQ_EUlSP_E0_NS1_11comp_targetILNS1_3genE10ELNS1_11target_archE1201ELNS1_3gpuE5ELNS1_3repE0EEENS1_30default_config_static_selectorELNS0_4arch9wavefront6targetE1EEEvT1_
	.globl	_ZN7rocprim17ROCPRIM_400000_NS6detail17trampoline_kernelINS0_14default_configENS1_20scan_config_selectorIsEEZZNS1_9scan_implILNS1_25lookback_scan_determinismE0ELb0ELb0ES3_N6thrust23THRUST_200600_302600_NS6detail15normal_iteratorINS9_10device_ptrIsEEEESE_sNS9_4plusIsEEsEEDaPvRmT3_T4_T5_mT6_P12ihipStream_tbENKUlT_T0_E_clISt17integral_constantIbLb1EESU_EEDaSP_SQ_EUlSP_E0_NS1_11comp_targetILNS1_3genE10ELNS1_11target_archE1201ELNS1_3gpuE5ELNS1_3repE0EEENS1_30default_config_static_selectorELNS0_4arch9wavefront6targetE1EEEvT1_
	.p2align	8
	.type	_ZN7rocprim17ROCPRIM_400000_NS6detail17trampoline_kernelINS0_14default_configENS1_20scan_config_selectorIsEEZZNS1_9scan_implILNS1_25lookback_scan_determinismE0ELb0ELb0ES3_N6thrust23THRUST_200600_302600_NS6detail15normal_iteratorINS9_10device_ptrIsEEEESE_sNS9_4plusIsEEsEEDaPvRmT3_T4_T5_mT6_P12ihipStream_tbENKUlT_T0_E_clISt17integral_constantIbLb1EESU_EEDaSP_SQ_EUlSP_E0_NS1_11comp_targetILNS1_3genE10ELNS1_11target_archE1201ELNS1_3gpuE5ELNS1_3repE0EEENS1_30default_config_static_selectorELNS0_4arch9wavefront6targetE1EEEvT1_,@function
_ZN7rocprim17ROCPRIM_400000_NS6detail17trampoline_kernelINS0_14default_configENS1_20scan_config_selectorIsEEZZNS1_9scan_implILNS1_25lookback_scan_determinismE0ELb0ELb0ES3_N6thrust23THRUST_200600_302600_NS6detail15normal_iteratorINS9_10device_ptrIsEEEESE_sNS9_4plusIsEEsEEDaPvRmT3_T4_T5_mT6_P12ihipStream_tbENKUlT_T0_E_clISt17integral_constantIbLb1EESU_EEDaSP_SQ_EUlSP_E0_NS1_11comp_targetILNS1_3genE10ELNS1_11target_archE1201ELNS1_3gpuE5ELNS1_3repE0EEENS1_30default_config_static_selectorELNS0_4arch9wavefront6targetE1EEEvT1_: ; @_ZN7rocprim17ROCPRIM_400000_NS6detail17trampoline_kernelINS0_14default_configENS1_20scan_config_selectorIsEEZZNS1_9scan_implILNS1_25lookback_scan_determinismE0ELb0ELb0ES3_N6thrust23THRUST_200600_302600_NS6detail15normal_iteratorINS9_10device_ptrIsEEEESE_sNS9_4plusIsEEsEEDaPvRmT3_T4_T5_mT6_P12ihipStream_tbENKUlT_T0_E_clISt17integral_constantIbLb1EESU_EEDaSP_SQ_EUlSP_E0_NS1_11comp_targetILNS1_3genE10ELNS1_11target_archE1201ELNS1_3gpuE5ELNS1_3repE0EEENS1_30default_config_static_selectorELNS0_4arch9wavefront6targetE1EEEvT1_
; %bb.0:
	.section	.rodata,"a",@progbits
	.p2align	6, 0x0
	.amdhsa_kernel _ZN7rocprim17ROCPRIM_400000_NS6detail17trampoline_kernelINS0_14default_configENS1_20scan_config_selectorIsEEZZNS1_9scan_implILNS1_25lookback_scan_determinismE0ELb0ELb0ES3_N6thrust23THRUST_200600_302600_NS6detail15normal_iteratorINS9_10device_ptrIsEEEESE_sNS9_4plusIsEEsEEDaPvRmT3_T4_T5_mT6_P12ihipStream_tbENKUlT_T0_E_clISt17integral_constantIbLb1EESU_EEDaSP_SQ_EUlSP_E0_NS1_11comp_targetILNS1_3genE10ELNS1_11target_archE1201ELNS1_3gpuE5ELNS1_3repE0EEENS1_30default_config_static_selectorELNS0_4arch9wavefront6targetE1EEEvT1_
		.amdhsa_group_segment_fixed_size 0
		.amdhsa_private_segment_fixed_size 0
		.amdhsa_kernarg_size 32
		.amdhsa_user_sgpr_count 6
		.amdhsa_user_sgpr_private_segment_buffer 1
		.amdhsa_user_sgpr_dispatch_ptr 0
		.amdhsa_user_sgpr_queue_ptr 0
		.amdhsa_user_sgpr_kernarg_segment_ptr 1
		.amdhsa_user_sgpr_dispatch_id 0
		.amdhsa_user_sgpr_flat_scratch_init 0
		.amdhsa_user_sgpr_kernarg_preload_length 0
		.amdhsa_user_sgpr_kernarg_preload_offset 0
		.amdhsa_user_sgpr_private_segment_size 0
		.amdhsa_uses_dynamic_stack 0
		.amdhsa_system_sgpr_private_segment_wavefront_offset 0
		.amdhsa_system_sgpr_workgroup_id_x 1
		.amdhsa_system_sgpr_workgroup_id_y 0
		.amdhsa_system_sgpr_workgroup_id_z 0
		.amdhsa_system_sgpr_workgroup_info 0
		.amdhsa_system_vgpr_workitem_id 0
		.amdhsa_next_free_vgpr 1
		.amdhsa_next_free_sgpr 0
		.amdhsa_accum_offset 4
		.amdhsa_reserve_vcc 0
		.amdhsa_reserve_flat_scratch 0
		.amdhsa_float_round_mode_32 0
		.amdhsa_float_round_mode_16_64 0
		.amdhsa_float_denorm_mode_32 3
		.amdhsa_float_denorm_mode_16_64 3
		.amdhsa_dx10_clamp 1
		.amdhsa_ieee_mode 1
		.amdhsa_fp16_overflow 0
		.amdhsa_tg_split 0
		.amdhsa_exception_fp_ieee_invalid_op 0
		.amdhsa_exception_fp_denorm_src 0
		.amdhsa_exception_fp_ieee_div_zero 0
		.amdhsa_exception_fp_ieee_overflow 0
		.amdhsa_exception_fp_ieee_underflow 0
		.amdhsa_exception_fp_ieee_inexact 0
		.amdhsa_exception_int_div_zero 0
	.end_amdhsa_kernel
	.section	.text._ZN7rocprim17ROCPRIM_400000_NS6detail17trampoline_kernelINS0_14default_configENS1_20scan_config_selectorIsEEZZNS1_9scan_implILNS1_25lookback_scan_determinismE0ELb0ELb0ES3_N6thrust23THRUST_200600_302600_NS6detail15normal_iteratorINS9_10device_ptrIsEEEESE_sNS9_4plusIsEEsEEDaPvRmT3_T4_T5_mT6_P12ihipStream_tbENKUlT_T0_E_clISt17integral_constantIbLb1EESU_EEDaSP_SQ_EUlSP_E0_NS1_11comp_targetILNS1_3genE10ELNS1_11target_archE1201ELNS1_3gpuE5ELNS1_3repE0EEENS1_30default_config_static_selectorELNS0_4arch9wavefront6targetE1EEEvT1_,"axG",@progbits,_ZN7rocprim17ROCPRIM_400000_NS6detail17trampoline_kernelINS0_14default_configENS1_20scan_config_selectorIsEEZZNS1_9scan_implILNS1_25lookback_scan_determinismE0ELb0ELb0ES3_N6thrust23THRUST_200600_302600_NS6detail15normal_iteratorINS9_10device_ptrIsEEEESE_sNS9_4plusIsEEsEEDaPvRmT3_T4_T5_mT6_P12ihipStream_tbENKUlT_T0_E_clISt17integral_constantIbLb1EESU_EEDaSP_SQ_EUlSP_E0_NS1_11comp_targetILNS1_3genE10ELNS1_11target_archE1201ELNS1_3gpuE5ELNS1_3repE0EEENS1_30default_config_static_selectorELNS0_4arch9wavefront6targetE1EEEvT1_,comdat
.Lfunc_end1083:
	.size	_ZN7rocprim17ROCPRIM_400000_NS6detail17trampoline_kernelINS0_14default_configENS1_20scan_config_selectorIsEEZZNS1_9scan_implILNS1_25lookback_scan_determinismE0ELb0ELb0ES3_N6thrust23THRUST_200600_302600_NS6detail15normal_iteratorINS9_10device_ptrIsEEEESE_sNS9_4plusIsEEsEEDaPvRmT3_T4_T5_mT6_P12ihipStream_tbENKUlT_T0_E_clISt17integral_constantIbLb1EESU_EEDaSP_SQ_EUlSP_E0_NS1_11comp_targetILNS1_3genE10ELNS1_11target_archE1201ELNS1_3gpuE5ELNS1_3repE0EEENS1_30default_config_static_selectorELNS0_4arch9wavefront6targetE1EEEvT1_, .Lfunc_end1083-_ZN7rocprim17ROCPRIM_400000_NS6detail17trampoline_kernelINS0_14default_configENS1_20scan_config_selectorIsEEZZNS1_9scan_implILNS1_25lookback_scan_determinismE0ELb0ELb0ES3_N6thrust23THRUST_200600_302600_NS6detail15normal_iteratorINS9_10device_ptrIsEEEESE_sNS9_4plusIsEEsEEDaPvRmT3_T4_T5_mT6_P12ihipStream_tbENKUlT_T0_E_clISt17integral_constantIbLb1EESU_EEDaSP_SQ_EUlSP_E0_NS1_11comp_targetILNS1_3genE10ELNS1_11target_archE1201ELNS1_3gpuE5ELNS1_3repE0EEENS1_30default_config_static_selectorELNS0_4arch9wavefront6targetE1EEEvT1_
                                        ; -- End function
	.section	.AMDGPU.csdata,"",@progbits
; Kernel info:
; codeLenInByte = 0
; NumSgprs: 4
; NumVgprs: 0
; NumAgprs: 0
; TotalNumVgprs: 0
; ScratchSize: 0
; MemoryBound: 0
; FloatMode: 240
; IeeeMode: 1
; LDSByteSize: 0 bytes/workgroup (compile time only)
; SGPRBlocks: 0
; VGPRBlocks: 0
; NumSGPRsForWavesPerEU: 4
; NumVGPRsForWavesPerEU: 1
; AccumOffset: 4
; Occupancy: 8
; WaveLimiterHint : 0
; COMPUTE_PGM_RSRC2:SCRATCH_EN: 0
; COMPUTE_PGM_RSRC2:USER_SGPR: 6
; COMPUTE_PGM_RSRC2:TRAP_HANDLER: 0
; COMPUTE_PGM_RSRC2:TGID_X_EN: 1
; COMPUTE_PGM_RSRC2:TGID_Y_EN: 0
; COMPUTE_PGM_RSRC2:TGID_Z_EN: 0
; COMPUTE_PGM_RSRC2:TIDIG_COMP_CNT: 0
; COMPUTE_PGM_RSRC3_GFX90A:ACCUM_OFFSET: 0
; COMPUTE_PGM_RSRC3_GFX90A:TG_SPLIT: 0
	.section	.text._ZN7rocprim17ROCPRIM_400000_NS6detail17trampoline_kernelINS0_14default_configENS1_20scan_config_selectorIsEEZZNS1_9scan_implILNS1_25lookback_scan_determinismE0ELb0ELb0ES3_N6thrust23THRUST_200600_302600_NS6detail15normal_iteratorINS9_10device_ptrIsEEEESE_sNS9_4plusIsEEsEEDaPvRmT3_T4_T5_mT6_P12ihipStream_tbENKUlT_T0_E_clISt17integral_constantIbLb1EESU_EEDaSP_SQ_EUlSP_E0_NS1_11comp_targetILNS1_3genE10ELNS1_11target_archE1200ELNS1_3gpuE4ELNS1_3repE0EEENS1_30default_config_static_selectorELNS0_4arch9wavefront6targetE1EEEvT1_,"axG",@progbits,_ZN7rocprim17ROCPRIM_400000_NS6detail17trampoline_kernelINS0_14default_configENS1_20scan_config_selectorIsEEZZNS1_9scan_implILNS1_25lookback_scan_determinismE0ELb0ELb0ES3_N6thrust23THRUST_200600_302600_NS6detail15normal_iteratorINS9_10device_ptrIsEEEESE_sNS9_4plusIsEEsEEDaPvRmT3_T4_T5_mT6_P12ihipStream_tbENKUlT_T0_E_clISt17integral_constantIbLb1EESU_EEDaSP_SQ_EUlSP_E0_NS1_11comp_targetILNS1_3genE10ELNS1_11target_archE1200ELNS1_3gpuE4ELNS1_3repE0EEENS1_30default_config_static_selectorELNS0_4arch9wavefront6targetE1EEEvT1_,comdat
	.protected	_ZN7rocprim17ROCPRIM_400000_NS6detail17trampoline_kernelINS0_14default_configENS1_20scan_config_selectorIsEEZZNS1_9scan_implILNS1_25lookback_scan_determinismE0ELb0ELb0ES3_N6thrust23THRUST_200600_302600_NS6detail15normal_iteratorINS9_10device_ptrIsEEEESE_sNS9_4plusIsEEsEEDaPvRmT3_T4_T5_mT6_P12ihipStream_tbENKUlT_T0_E_clISt17integral_constantIbLb1EESU_EEDaSP_SQ_EUlSP_E0_NS1_11comp_targetILNS1_3genE10ELNS1_11target_archE1200ELNS1_3gpuE4ELNS1_3repE0EEENS1_30default_config_static_selectorELNS0_4arch9wavefront6targetE1EEEvT1_ ; -- Begin function _ZN7rocprim17ROCPRIM_400000_NS6detail17trampoline_kernelINS0_14default_configENS1_20scan_config_selectorIsEEZZNS1_9scan_implILNS1_25lookback_scan_determinismE0ELb0ELb0ES3_N6thrust23THRUST_200600_302600_NS6detail15normal_iteratorINS9_10device_ptrIsEEEESE_sNS9_4plusIsEEsEEDaPvRmT3_T4_T5_mT6_P12ihipStream_tbENKUlT_T0_E_clISt17integral_constantIbLb1EESU_EEDaSP_SQ_EUlSP_E0_NS1_11comp_targetILNS1_3genE10ELNS1_11target_archE1200ELNS1_3gpuE4ELNS1_3repE0EEENS1_30default_config_static_selectorELNS0_4arch9wavefront6targetE1EEEvT1_
	.globl	_ZN7rocprim17ROCPRIM_400000_NS6detail17trampoline_kernelINS0_14default_configENS1_20scan_config_selectorIsEEZZNS1_9scan_implILNS1_25lookback_scan_determinismE0ELb0ELb0ES3_N6thrust23THRUST_200600_302600_NS6detail15normal_iteratorINS9_10device_ptrIsEEEESE_sNS9_4plusIsEEsEEDaPvRmT3_T4_T5_mT6_P12ihipStream_tbENKUlT_T0_E_clISt17integral_constantIbLb1EESU_EEDaSP_SQ_EUlSP_E0_NS1_11comp_targetILNS1_3genE10ELNS1_11target_archE1200ELNS1_3gpuE4ELNS1_3repE0EEENS1_30default_config_static_selectorELNS0_4arch9wavefront6targetE1EEEvT1_
	.p2align	8
	.type	_ZN7rocprim17ROCPRIM_400000_NS6detail17trampoline_kernelINS0_14default_configENS1_20scan_config_selectorIsEEZZNS1_9scan_implILNS1_25lookback_scan_determinismE0ELb0ELb0ES3_N6thrust23THRUST_200600_302600_NS6detail15normal_iteratorINS9_10device_ptrIsEEEESE_sNS9_4plusIsEEsEEDaPvRmT3_T4_T5_mT6_P12ihipStream_tbENKUlT_T0_E_clISt17integral_constantIbLb1EESU_EEDaSP_SQ_EUlSP_E0_NS1_11comp_targetILNS1_3genE10ELNS1_11target_archE1200ELNS1_3gpuE4ELNS1_3repE0EEENS1_30default_config_static_selectorELNS0_4arch9wavefront6targetE1EEEvT1_,@function
_ZN7rocprim17ROCPRIM_400000_NS6detail17trampoline_kernelINS0_14default_configENS1_20scan_config_selectorIsEEZZNS1_9scan_implILNS1_25lookback_scan_determinismE0ELb0ELb0ES3_N6thrust23THRUST_200600_302600_NS6detail15normal_iteratorINS9_10device_ptrIsEEEESE_sNS9_4plusIsEEsEEDaPvRmT3_T4_T5_mT6_P12ihipStream_tbENKUlT_T0_E_clISt17integral_constantIbLb1EESU_EEDaSP_SQ_EUlSP_E0_NS1_11comp_targetILNS1_3genE10ELNS1_11target_archE1200ELNS1_3gpuE4ELNS1_3repE0EEENS1_30default_config_static_selectorELNS0_4arch9wavefront6targetE1EEEvT1_: ; @_ZN7rocprim17ROCPRIM_400000_NS6detail17trampoline_kernelINS0_14default_configENS1_20scan_config_selectorIsEEZZNS1_9scan_implILNS1_25lookback_scan_determinismE0ELb0ELb0ES3_N6thrust23THRUST_200600_302600_NS6detail15normal_iteratorINS9_10device_ptrIsEEEESE_sNS9_4plusIsEEsEEDaPvRmT3_T4_T5_mT6_P12ihipStream_tbENKUlT_T0_E_clISt17integral_constantIbLb1EESU_EEDaSP_SQ_EUlSP_E0_NS1_11comp_targetILNS1_3genE10ELNS1_11target_archE1200ELNS1_3gpuE4ELNS1_3repE0EEENS1_30default_config_static_selectorELNS0_4arch9wavefront6targetE1EEEvT1_
; %bb.0:
	.section	.rodata,"a",@progbits
	.p2align	6, 0x0
	.amdhsa_kernel _ZN7rocprim17ROCPRIM_400000_NS6detail17trampoline_kernelINS0_14default_configENS1_20scan_config_selectorIsEEZZNS1_9scan_implILNS1_25lookback_scan_determinismE0ELb0ELb0ES3_N6thrust23THRUST_200600_302600_NS6detail15normal_iteratorINS9_10device_ptrIsEEEESE_sNS9_4plusIsEEsEEDaPvRmT3_T4_T5_mT6_P12ihipStream_tbENKUlT_T0_E_clISt17integral_constantIbLb1EESU_EEDaSP_SQ_EUlSP_E0_NS1_11comp_targetILNS1_3genE10ELNS1_11target_archE1200ELNS1_3gpuE4ELNS1_3repE0EEENS1_30default_config_static_selectorELNS0_4arch9wavefront6targetE1EEEvT1_
		.amdhsa_group_segment_fixed_size 0
		.amdhsa_private_segment_fixed_size 0
		.amdhsa_kernarg_size 32
		.amdhsa_user_sgpr_count 6
		.amdhsa_user_sgpr_private_segment_buffer 1
		.amdhsa_user_sgpr_dispatch_ptr 0
		.amdhsa_user_sgpr_queue_ptr 0
		.amdhsa_user_sgpr_kernarg_segment_ptr 1
		.amdhsa_user_sgpr_dispatch_id 0
		.amdhsa_user_sgpr_flat_scratch_init 0
		.amdhsa_user_sgpr_kernarg_preload_length 0
		.amdhsa_user_sgpr_kernarg_preload_offset 0
		.amdhsa_user_sgpr_private_segment_size 0
		.amdhsa_uses_dynamic_stack 0
		.amdhsa_system_sgpr_private_segment_wavefront_offset 0
		.amdhsa_system_sgpr_workgroup_id_x 1
		.amdhsa_system_sgpr_workgroup_id_y 0
		.amdhsa_system_sgpr_workgroup_id_z 0
		.amdhsa_system_sgpr_workgroup_info 0
		.amdhsa_system_vgpr_workitem_id 0
		.amdhsa_next_free_vgpr 1
		.amdhsa_next_free_sgpr 0
		.amdhsa_accum_offset 4
		.amdhsa_reserve_vcc 0
		.amdhsa_reserve_flat_scratch 0
		.amdhsa_float_round_mode_32 0
		.amdhsa_float_round_mode_16_64 0
		.amdhsa_float_denorm_mode_32 3
		.amdhsa_float_denorm_mode_16_64 3
		.amdhsa_dx10_clamp 1
		.amdhsa_ieee_mode 1
		.amdhsa_fp16_overflow 0
		.amdhsa_tg_split 0
		.amdhsa_exception_fp_ieee_invalid_op 0
		.amdhsa_exception_fp_denorm_src 0
		.amdhsa_exception_fp_ieee_div_zero 0
		.amdhsa_exception_fp_ieee_overflow 0
		.amdhsa_exception_fp_ieee_underflow 0
		.amdhsa_exception_fp_ieee_inexact 0
		.amdhsa_exception_int_div_zero 0
	.end_amdhsa_kernel
	.section	.text._ZN7rocprim17ROCPRIM_400000_NS6detail17trampoline_kernelINS0_14default_configENS1_20scan_config_selectorIsEEZZNS1_9scan_implILNS1_25lookback_scan_determinismE0ELb0ELb0ES3_N6thrust23THRUST_200600_302600_NS6detail15normal_iteratorINS9_10device_ptrIsEEEESE_sNS9_4plusIsEEsEEDaPvRmT3_T4_T5_mT6_P12ihipStream_tbENKUlT_T0_E_clISt17integral_constantIbLb1EESU_EEDaSP_SQ_EUlSP_E0_NS1_11comp_targetILNS1_3genE10ELNS1_11target_archE1200ELNS1_3gpuE4ELNS1_3repE0EEENS1_30default_config_static_selectorELNS0_4arch9wavefront6targetE1EEEvT1_,"axG",@progbits,_ZN7rocprim17ROCPRIM_400000_NS6detail17trampoline_kernelINS0_14default_configENS1_20scan_config_selectorIsEEZZNS1_9scan_implILNS1_25lookback_scan_determinismE0ELb0ELb0ES3_N6thrust23THRUST_200600_302600_NS6detail15normal_iteratorINS9_10device_ptrIsEEEESE_sNS9_4plusIsEEsEEDaPvRmT3_T4_T5_mT6_P12ihipStream_tbENKUlT_T0_E_clISt17integral_constantIbLb1EESU_EEDaSP_SQ_EUlSP_E0_NS1_11comp_targetILNS1_3genE10ELNS1_11target_archE1200ELNS1_3gpuE4ELNS1_3repE0EEENS1_30default_config_static_selectorELNS0_4arch9wavefront6targetE1EEEvT1_,comdat
.Lfunc_end1084:
	.size	_ZN7rocprim17ROCPRIM_400000_NS6detail17trampoline_kernelINS0_14default_configENS1_20scan_config_selectorIsEEZZNS1_9scan_implILNS1_25lookback_scan_determinismE0ELb0ELb0ES3_N6thrust23THRUST_200600_302600_NS6detail15normal_iteratorINS9_10device_ptrIsEEEESE_sNS9_4plusIsEEsEEDaPvRmT3_T4_T5_mT6_P12ihipStream_tbENKUlT_T0_E_clISt17integral_constantIbLb1EESU_EEDaSP_SQ_EUlSP_E0_NS1_11comp_targetILNS1_3genE10ELNS1_11target_archE1200ELNS1_3gpuE4ELNS1_3repE0EEENS1_30default_config_static_selectorELNS0_4arch9wavefront6targetE1EEEvT1_, .Lfunc_end1084-_ZN7rocprim17ROCPRIM_400000_NS6detail17trampoline_kernelINS0_14default_configENS1_20scan_config_selectorIsEEZZNS1_9scan_implILNS1_25lookback_scan_determinismE0ELb0ELb0ES3_N6thrust23THRUST_200600_302600_NS6detail15normal_iteratorINS9_10device_ptrIsEEEESE_sNS9_4plusIsEEsEEDaPvRmT3_T4_T5_mT6_P12ihipStream_tbENKUlT_T0_E_clISt17integral_constantIbLb1EESU_EEDaSP_SQ_EUlSP_E0_NS1_11comp_targetILNS1_3genE10ELNS1_11target_archE1200ELNS1_3gpuE4ELNS1_3repE0EEENS1_30default_config_static_selectorELNS0_4arch9wavefront6targetE1EEEvT1_
                                        ; -- End function
	.section	.AMDGPU.csdata,"",@progbits
; Kernel info:
; codeLenInByte = 0
; NumSgprs: 4
; NumVgprs: 0
; NumAgprs: 0
; TotalNumVgprs: 0
; ScratchSize: 0
; MemoryBound: 0
; FloatMode: 240
; IeeeMode: 1
; LDSByteSize: 0 bytes/workgroup (compile time only)
; SGPRBlocks: 0
; VGPRBlocks: 0
; NumSGPRsForWavesPerEU: 4
; NumVGPRsForWavesPerEU: 1
; AccumOffset: 4
; Occupancy: 8
; WaveLimiterHint : 0
; COMPUTE_PGM_RSRC2:SCRATCH_EN: 0
; COMPUTE_PGM_RSRC2:USER_SGPR: 6
; COMPUTE_PGM_RSRC2:TRAP_HANDLER: 0
; COMPUTE_PGM_RSRC2:TGID_X_EN: 1
; COMPUTE_PGM_RSRC2:TGID_Y_EN: 0
; COMPUTE_PGM_RSRC2:TGID_Z_EN: 0
; COMPUTE_PGM_RSRC2:TIDIG_COMP_CNT: 0
; COMPUTE_PGM_RSRC3_GFX90A:ACCUM_OFFSET: 0
; COMPUTE_PGM_RSRC3_GFX90A:TG_SPLIT: 0
	.section	.text._ZN7rocprim17ROCPRIM_400000_NS6detail17trampoline_kernelINS0_14default_configENS1_20scan_config_selectorIsEEZZNS1_9scan_implILNS1_25lookback_scan_determinismE0ELb0ELb0ES3_N6thrust23THRUST_200600_302600_NS6detail15normal_iteratorINS9_10device_ptrIsEEEESE_sNS9_4plusIsEEsEEDaPvRmT3_T4_T5_mT6_P12ihipStream_tbENKUlT_T0_E_clISt17integral_constantIbLb1EESU_EEDaSP_SQ_EUlSP_E0_NS1_11comp_targetILNS1_3genE9ELNS1_11target_archE1100ELNS1_3gpuE3ELNS1_3repE0EEENS1_30default_config_static_selectorELNS0_4arch9wavefront6targetE1EEEvT1_,"axG",@progbits,_ZN7rocprim17ROCPRIM_400000_NS6detail17trampoline_kernelINS0_14default_configENS1_20scan_config_selectorIsEEZZNS1_9scan_implILNS1_25lookback_scan_determinismE0ELb0ELb0ES3_N6thrust23THRUST_200600_302600_NS6detail15normal_iteratorINS9_10device_ptrIsEEEESE_sNS9_4plusIsEEsEEDaPvRmT3_T4_T5_mT6_P12ihipStream_tbENKUlT_T0_E_clISt17integral_constantIbLb1EESU_EEDaSP_SQ_EUlSP_E0_NS1_11comp_targetILNS1_3genE9ELNS1_11target_archE1100ELNS1_3gpuE3ELNS1_3repE0EEENS1_30default_config_static_selectorELNS0_4arch9wavefront6targetE1EEEvT1_,comdat
	.protected	_ZN7rocprim17ROCPRIM_400000_NS6detail17trampoline_kernelINS0_14default_configENS1_20scan_config_selectorIsEEZZNS1_9scan_implILNS1_25lookback_scan_determinismE0ELb0ELb0ES3_N6thrust23THRUST_200600_302600_NS6detail15normal_iteratorINS9_10device_ptrIsEEEESE_sNS9_4plusIsEEsEEDaPvRmT3_T4_T5_mT6_P12ihipStream_tbENKUlT_T0_E_clISt17integral_constantIbLb1EESU_EEDaSP_SQ_EUlSP_E0_NS1_11comp_targetILNS1_3genE9ELNS1_11target_archE1100ELNS1_3gpuE3ELNS1_3repE0EEENS1_30default_config_static_selectorELNS0_4arch9wavefront6targetE1EEEvT1_ ; -- Begin function _ZN7rocprim17ROCPRIM_400000_NS6detail17trampoline_kernelINS0_14default_configENS1_20scan_config_selectorIsEEZZNS1_9scan_implILNS1_25lookback_scan_determinismE0ELb0ELb0ES3_N6thrust23THRUST_200600_302600_NS6detail15normal_iteratorINS9_10device_ptrIsEEEESE_sNS9_4plusIsEEsEEDaPvRmT3_T4_T5_mT6_P12ihipStream_tbENKUlT_T0_E_clISt17integral_constantIbLb1EESU_EEDaSP_SQ_EUlSP_E0_NS1_11comp_targetILNS1_3genE9ELNS1_11target_archE1100ELNS1_3gpuE3ELNS1_3repE0EEENS1_30default_config_static_selectorELNS0_4arch9wavefront6targetE1EEEvT1_
	.globl	_ZN7rocprim17ROCPRIM_400000_NS6detail17trampoline_kernelINS0_14default_configENS1_20scan_config_selectorIsEEZZNS1_9scan_implILNS1_25lookback_scan_determinismE0ELb0ELb0ES3_N6thrust23THRUST_200600_302600_NS6detail15normal_iteratorINS9_10device_ptrIsEEEESE_sNS9_4plusIsEEsEEDaPvRmT3_T4_T5_mT6_P12ihipStream_tbENKUlT_T0_E_clISt17integral_constantIbLb1EESU_EEDaSP_SQ_EUlSP_E0_NS1_11comp_targetILNS1_3genE9ELNS1_11target_archE1100ELNS1_3gpuE3ELNS1_3repE0EEENS1_30default_config_static_selectorELNS0_4arch9wavefront6targetE1EEEvT1_
	.p2align	8
	.type	_ZN7rocprim17ROCPRIM_400000_NS6detail17trampoline_kernelINS0_14default_configENS1_20scan_config_selectorIsEEZZNS1_9scan_implILNS1_25lookback_scan_determinismE0ELb0ELb0ES3_N6thrust23THRUST_200600_302600_NS6detail15normal_iteratorINS9_10device_ptrIsEEEESE_sNS9_4plusIsEEsEEDaPvRmT3_T4_T5_mT6_P12ihipStream_tbENKUlT_T0_E_clISt17integral_constantIbLb1EESU_EEDaSP_SQ_EUlSP_E0_NS1_11comp_targetILNS1_3genE9ELNS1_11target_archE1100ELNS1_3gpuE3ELNS1_3repE0EEENS1_30default_config_static_selectorELNS0_4arch9wavefront6targetE1EEEvT1_,@function
_ZN7rocprim17ROCPRIM_400000_NS6detail17trampoline_kernelINS0_14default_configENS1_20scan_config_selectorIsEEZZNS1_9scan_implILNS1_25lookback_scan_determinismE0ELb0ELb0ES3_N6thrust23THRUST_200600_302600_NS6detail15normal_iteratorINS9_10device_ptrIsEEEESE_sNS9_4plusIsEEsEEDaPvRmT3_T4_T5_mT6_P12ihipStream_tbENKUlT_T0_E_clISt17integral_constantIbLb1EESU_EEDaSP_SQ_EUlSP_E0_NS1_11comp_targetILNS1_3genE9ELNS1_11target_archE1100ELNS1_3gpuE3ELNS1_3repE0EEENS1_30default_config_static_selectorELNS0_4arch9wavefront6targetE1EEEvT1_: ; @_ZN7rocprim17ROCPRIM_400000_NS6detail17trampoline_kernelINS0_14default_configENS1_20scan_config_selectorIsEEZZNS1_9scan_implILNS1_25lookback_scan_determinismE0ELb0ELb0ES3_N6thrust23THRUST_200600_302600_NS6detail15normal_iteratorINS9_10device_ptrIsEEEESE_sNS9_4plusIsEEsEEDaPvRmT3_T4_T5_mT6_P12ihipStream_tbENKUlT_T0_E_clISt17integral_constantIbLb1EESU_EEDaSP_SQ_EUlSP_E0_NS1_11comp_targetILNS1_3genE9ELNS1_11target_archE1100ELNS1_3gpuE3ELNS1_3repE0EEENS1_30default_config_static_selectorELNS0_4arch9wavefront6targetE1EEEvT1_
; %bb.0:
	.section	.rodata,"a",@progbits
	.p2align	6, 0x0
	.amdhsa_kernel _ZN7rocprim17ROCPRIM_400000_NS6detail17trampoline_kernelINS0_14default_configENS1_20scan_config_selectorIsEEZZNS1_9scan_implILNS1_25lookback_scan_determinismE0ELb0ELb0ES3_N6thrust23THRUST_200600_302600_NS6detail15normal_iteratorINS9_10device_ptrIsEEEESE_sNS9_4plusIsEEsEEDaPvRmT3_T4_T5_mT6_P12ihipStream_tbENKUlT_T0_E_clISt17integral_constantIbLb1EESU_EEDaSP_SQ_EUlSP_E0_NS1_11comp_targetILNS1_3genE9ELNS1_11target_archE1100ELNS1_3gpuE3ELNS1_3repE0EEENS1_30default_config_static_selectorELNS0_4arch9wavefront6targetE1EEEvT1_
		.amdhsa_group_segment_fixed_size 0
		.amdhsa_private_segment_fixed_size 0
		.amdhsa_kernarg_size 32
		.amdhsa_user_sgpr_count 6
		.amdhsa_user_sgpr_private_segment_buffer 1
		.amdhsa_user_sgpr_dispatch_ptr 0
		.amdhsa_user_sgpr_queue_ptr 0
		.amdhsa_user_sgpr_kernarg_segment_ptr 1
		.amdhsa_user_sgpr_dispatch_id 0
		.amdhsa_user_sgpr_flat_scratch_init 0
		.amdhsa_user_sgpr_kernarg_preload_length 0
		.amdhsa_user_sgpr_kernarg_preload_offset 0
		.amdhsa_user_sgpr_private_segment_size 0
		.amdhsa_uses_dynamic_stack 0
		.amdhsa_system_sgpr_private_segment_wavefront_offset 0
		.amdhsa_system_sgpr_workgroup_id_x 1
		.amdhsa_system_sgpr_workgroup_id_y 0
		.amdhsa_system_sgpr_workgroup_id_z 0
		.amdhsa_system_sgpr_workgroup_info 0
		.amdhsa_system_vgpr_workitem_id 0
		.amdhsa_next_free_vgpr 1
		.amdhsa_next_free_sgpr 0
		.amdhsa_accum_offset 4
		.amdhsa_reserve_vcc 0
		.amdhsa_reserve_flat_scratch 0
		.amdhsa_float_round_mode_32 0
		.amdhsa_float_round_mode_16_64 0
		.amdhsa_float_denorm_mode_32 3
		.amdhsa_float_denorm_mode_16_64 3
		.amdhsa_dx10_clamp 1
		.amdhsa_ieee_mode 1
		.amdhsa_fp16_overflow 0
		.amdhsa_tg_split 0
		.amdhsa_exception_fp_ieee_invalid_op 0
		.amdhsa_exception_fp_denorm_src 0
		.amdhsa_exception_fp_ieee_div_zero 0
		.amdhsa_exception_fp_ieee_overflow 0
		.amdhsa_exception_fp_ieee_underflow 0
		.amdhsa_exception_fp_ieee_inexact 0
		.amdhsa_exception_int_div_zero 0
	.end_amdhsa_kernel
	.section	.text._ZN7rocprim17ROCPRIM_400000_NS6detail17trampoline_kernelINS0_14default_configENS1_20scan_config_selectorIsEEZZNS1_9scan_implILNS1_25lookback_scan_determinismE0ELb0ELb0ES3_N6thrust23THRUST_200600_302600_NS6detail15normal_iteratorINS9_10device_ptrIsEEEESE_sNS9_4plusIsEEsEEDaPvRmT3_T4_T5_mT6_P12ihipStream_tbENKUlT_T0_E_clISt17integral_constantIbLb1EESU_EEDaSP_SQ_EUlSP_E0_NS1_11comp_targetILNS1_3genE9ELNS1_11target_archE1100ELNS1_3gpuE3ELNS1_3repE0EEENS1_30default_config_static_selectorELNS0_4arch9wavefront6targetE1EEEvT1_,"axG",@progbits,_ZN7rocprim17ROCPRIM_400000_NS6detail17trampoline_kernelINS0_14default_configENS1_20scan_config_selectorIsEEZZNS1_9scan_implILNS1_25lookback_scan_determinismE0ELb0ELb0ES3_N6thrust23THRUST_200600_302600_NS6detail15normal_iteratorINS9_10device_ptrIsEEEESE_sNS9_4plusIsEEsEEDaPvRmT3_T4_T5_mT6_P12ihipStream_tbENKUlT_T0_E_clISt17integral_constantIbLb1EESU_EEDaSP_SQ_EUlSP_E0_NS1_11comp_targetILNS1_3genE9ELNS1_11target_archE1100ELNS1_3gpuE3ELNS1_3repE0EEENS1_30default_config_static_selectorELNS0_4arch9wavefront6targetE1EEEvT1_,comdat
.Lfunc_end1085:
	.size	_ZN7rocprim17ROCPRIM_400000_NS6detail17trampoline_kernelINS0_14default_configENS1_20scan_config_selectorIsEEZZNS1_9scan_implILNS1_25lookback_scan_determinismE0ELb0ELb0ES3_N6thrust23THRUST_200600_302600_NS6detail15normal_iteratorINS9_10device_ptrIsEEEESE_sNS9_4plusIsEEsEEDaPvRmT3_T4_T5_mT6_P12ihipStream_tbENKUlT_T0_E_clISt17integral_constantIbLb1EESU_EEDaSP_SQ_EUlSP_E0_NS1_11comp_targetILNS1_3genE9ELNS1_11target_archE1100ELNS1_3gpuE3ELNS1_3repE0EEENS1_30default_config_static_selectorELNS0_4arch9wavefront6targetE1EEEvT1_, .Lfunc_end1085-_ZN7rocprim17ROCPRIM_400000_NS6detail17trampoline_kernelINS0_14default_configENS1_20scan_config_selectorIsEEZZNS1_9scan_implILNS1_25lookback_scan_determinismE0ELb0ELb0ES3_N6thrust23THRUST_200600_302600_NS6detail15normal_iteratorINS9_10device_ptrIsEEEESE_sNS9_4plusIsEEsEEDaPvRmT3_T4_T5_mT6_P12ihipStream_tbENKUlT_T0_E_clISt17integral_constantIbLb1EESU_EEDaSP_SQ_EUlSP_E0_NS1_11comp_targetILNS1_3genE9ELNS1_11target_archE1100ELNS1_3gpuE3ELNS1_3repE0EEENS1_30default_config_static_selectorELNS0_4arch9wavefront6targetE1EEEvT1_
                                        ; -- End function
	.section	.AMDGPU.csdata,"",@progbits
; Kernel info:
; codeLenInByte = 0
; NumSgprs: 4
; NumVgprs: 0
; NumAgprs: 0
; TotalNumVgprs: 0
; ScratchSize: 0
; MemoryBound: 0
; FloatMode: 240
; IeeeMode: 1
; LDSByteSize: 0 bytes/workgroup (compile time only)
; SGPRBlocks: 0
; VGPRBlocks: 0
; NumSGPRsForWavesPerEU: 4
; NumVGPRsForWavesPerEU: 1
; AccumOffset: 4
; Occupancy: 8
; WaveLimiterHint : 0
; COMPUTE_PGM_RSRC2:SCRATCH_EN: 0
; COMPUTE_PGM_RSRC2:USER_SGPR: 6
; COMPUTE_PGM_RSRC2:TRAP_HANDLER: 0
; COMPUTE_PGM_RSRC2:TGID_X_EN: 1
; COMPUTE_PGM_RSRC2:TGID_Y_EN: 0
; COMPUTE_PGM_RSRC2:TGID_Z_EN: 0
; COMPUTE_PGM_RSRC2:TIDIG_COMP_CNT: 0
; COMPUTE_PGM_RSRC3_GFX90A:ACCUM_OFFSET: 0
; COMPUTE_PGM_RSRC3_GFX90A:TG_SPLIT: 0
	.section	.text._ZN7rocprim17ROCPRIM_400000_NS6detail17trampoline_kernelINS0_14default_configENS1_20scan_config_selectorIsEEZZNS1_9scan_implILNS1_25lookback_scan_determinismE0ELb0ELb0ES3_N6thrust23THRUST_200600_302600_NS6detail15normal_iteratorINS9_10device_ptrIsEEEESE_sNS9_4plusIsEEsEEDaPvRmT3_T4_T5_mT6_P12ihipStream_tbENKUlT_T0_E_clISt17integral_constantIbLb1EESU_EEDaSP_SQ_EUlSP_E0_NS1_11comp_targetILNS1_3genE8ELNS1_11target_archE1030ELNS1_3gpuE2ELNS1_3repE0EEENS1_30default_config_static_selectorELNS0_4arch9wavefront6targetE1EEEvT1_,"axG",@progbits,_ZN7rocprim17ROCPRIM_400000_NS6detail17trampoline_kernelINS0_14default_configENS1_20scan_config_selectorIsEEZZNS1_9scan_implILNS1_25lookback_scan_determinismE0ELb0ELb0ES3_N6thrust23THRUST_200600_302600_NS6detail15normal_iteratorINS9_10device_ptrIsEEEESE_sNS9_4plusIsEEsEEDaPvRmT3_T4_T5_mT6_P12ihipStream_tbENKUlT_T0_E_clISt17integral_constantIbLb1EESU_EEDaSP_SQ_EUlSP_E0_NS1_11comp_targetILNS1_3genE8ELNS1_11target_archE1030ELNS1_3gpuE2ELNS1_3repE0EEENS1_30default_config_static_selectorELNS0_4arch9wavefront6targetE1EEEvT1_,comdat
	.protected	_ZN7rocprim17ROCPRIM_400000_NS6detail17trampoline_kernelINS0_14default_configENS1_20scan_config_selectorIsEEZZNS1_9scan_implILNS1_25lookback_scan_determinismE0ELb0ELb0ES3_N6thrust23THRUST_200600_302600_NS6detail15normal_iteratorINS9_10device_ptrIsEEEESE_sNS9_4plusIsEEsEEDaPvRmT3_T4_T5_mT6_P12ihipStream_tbENKUlT_T0_E_clISt17integral_constantIbLb1EESU_EEDaSP_SQ_EUlSP_E0_NS1_11comp_targetILNS1_3genE8ELNS1_11target_archE1030ELNS1_3gpuE2ELNS1_3repE0EEENS1_30default_config_static_selectorELNS0_4arch9wavefront6targetE1EEEvT1_ ; -- Begin function _ZN7rocprim17ROCPRIM_400000_NS6detail17trampoline_kernelINS0_14default_configENS1_20scan_config_selectorIsEEZZNS1_9scan_implILNS1_25lookback_scan_determinismE0ELb0ELb0ES3_N6thrust23THRUST_200600_302600_NS6detail15normal_iteratorINS9_10device_ptrIsEEEESE_sNS9_4plusIsEEsEEDaPvRmT3_T4_T5_mT6_P12ihipStream_tbENKUlT_T0_E_clISt17integral_constantIbLb1EESU_EEDaSP_SQ_EUlSP_E0_NS1_11comp_targetILNS1_3genE8ELNS1_11target_archE1030ELNS1_3gpuE2ELNS1_3repE0EEENS1_30default_config_static_selectorELNS0_4arch9wavefront6targetE1EEEvT1_
	.globl	_ZN7rocprim17ROCPRIM_400000_NS6detail17trampoline_kernelINS0_14default_configENS1_20scan_config_selectorIsEEZZNS1_9scan_implILNS1_25lookback_scan_determinismE0ELb0ELb0ES3_N6thrust23THRUST_200600_302600_NS6detail15normal_iteratorINS9_10device_ptrIsEEEESE_sNS9_4plusIsEEsEEDaPvRmT3_T4_T5_mT6_P12ihipStream_tbENKUlT_T0_E_clISt17integral_constantIbLb1EESU_EEDaSP_SQ_EUlSP_E0_NS1_11comp_targetILNS1_3genE8ELNS1_11target_archE1030ELNS1_3gpuE2ELNS1_3repE0EEENS1_30default_config_static_selectorELNS0_4arch9wavefront6targetE1EEEvT1_
	.p2align	8
	.type	_ZN7rocprim17ROCPRIM_400000_NS6detail17trampoline_kernelINS0_14default_configENS1_20scan_config_selectorIsEEZZNS1_9scan_implILNS1_25lookback_scan_determinismE0ELb0ELb0ES3_N6thrust23THRUST_200600_302600_NS6detail15normal_iteratorINS9_10device_ptrIsEEEESE_sNS9_4plusIsEEsEEDaPvRmT3_T4_T5_mT6_P12ihipStream_tbENKUlT_T0_E_clISt17integral_constantIbLb1EESU_EEDaSP_SQ_EUlSP_E0_NS1_11comp_targetILNS1_3genE8ELNS1_11target_archE1030ELNS1_3gpuE2ELNS1_3repE0EEENS1_30default_config_static_selectorELNS0_4arch9wavefront6targetE1EEEvT1_,@function
_ZN7rocprim17ROCPRIM_400000_NS6detail17trampoline_kernelINS0_14default_configENS1_20scan_config_selectorIsEEZZNS1_9scan_implILNS1_25lookback_scan_determinismE0ELb0ELb0ES3_N6thrust23THRUST_200600_302600_NS6detail15normal_iteratorINS9_10device_ptrIsEEEESE_sNS9_4plusIsEEsEEDaPvRmT3_T4_T5_mT6_P12ihipStream_tbENKUlT_T0_E_clISt17integral_constantIbLb1EESU_EEDaSP_SQ_EUlSP_E0_NS1_11comp_targetILNS1_3genE8ELNS1_11target_archE1030ELNS1_3gpuE2ELNS1_3repE0EEENS1_30default_config_static_selectorELNS0_4arch9wavefront6targetE1EEEvT1_: ; @_ZN7rocprim17ROCPRIM_400000_NS6detail17trampoline_kernelINS0_14default_configENS1_20scan_config_selectorIsEEZZNS1_9scan_implILNS1_25lookback_scan_determinismE0ELb0ELb0ES3_N6thrust23THRUST_200600_302600_NS6detail15normal_iteratorINS9_10device_ptrIsEEEESE_sNS9_4plusIsEEsEEDaPvRmT3_T4_T5_mT6_P12ihipStream_tbENKUlT_T0_E_clISt17integral_constantIbLb1EESU_EEDaSP_SQ_EUlSP_E0_NS1_11comp_targetILNS1_3genE8ELNS1_11target_archE1030ELNS1_3gpuE2ELNS1_3repE0EEENS1_30default_config_static_selectorELNS0_4arch9wavefront6targetE1EEEvT1_
; %bb.0:
	.section	.rodata,"a",@progbits
	.p2align	6, 0x0
	.amdhsa_kernel _ZN7rocprim17ROCPRIM_400000_NS6detail17trampoline_kernelINS0_14default_configENS1_20scan_config_selectorIsEEZZNS1_9scan_implILNS1_25lookback_scan_determinismE0ELb0ELb0ES3_N6thrust23THRUST_200600_302600_NS6detail15normal_iteratorINS9_10device_ptrIsEEEESE_sNS9_4plusIsEEsEEDaPvRmT3_T4_T5_mT6_P12ihipStream_tbENKUlT_T0_E_clISt17integral_constantIbLb1EESU_EEDaSP_SQ_EUlSP_E0_NS1_11comp_targetILNS1_3genE8ELNS1_11target_archE1030ELNS1_3gpuE2ELNS1_3repE0EEENS1_30default_config_static_selectorELNS0_4arch9wavefront6targetE1EEEvT1_
		.amdhsa_group_segment_fixed_size 0
		.amdhsa_private_segment_fixed_size 0
		.amdhsa_kernarg_size 32
		.amdhsa_user_sgpr_count 6
		.amdhsa_user_sgpr_private_segment_buffer 1
		.amdhsa_user_sgpr_dispatch_ptr 0
		.amdhsa_user_sgpr_queue_ptr 0
		.amdhsa_user_sgpr_kernarg_segment_ptr 1
		.amdhsa_user_sgpr_dispatch_id 0
		.amdhsa_user_sgpr_flat_scratch_init 0
		.amdhsa_user_sgpr_kernarg_preload_length 0
		.amdhsa_user_sgpr_kernarg_preload_offset 0
		.amdhsa_user_sgpr_private_segment_size 0
		.amdhsa_uses_dynamic_stack 0
		.amdhsa_system_sgpr_private_segment_wavefront_offset 0
		.amdhsa_system_sgpr_workgroup_id_x 1
		.amdhsa_system_sgpr_workgroup_id_y 0
		.amdhsa_system_sgpr_workgroup_id_z 0
		.amdhsa_system_sgpr_workgroup_info 0
		.amdhsa_system_vgpr_workitem_id 0
		.amdhsa_next_free_vgpr 1
		.amdhsa_next_free_sgpr 0
		.amdhsa_accum_offset 4
		.amdhsa_reserve_vcc 0
		.amdhsa_reserve_flat_scratch 0
		.amdhsa_float_round_mode_32 0
		.amdhsa_float_round_mode_16_64 0
		.amdhsa_float_denorm_mode_32 3
		.amdhsa_float_denorm_mode_16_64 3
		.amdhsa_dx10_clamp 1
		.amdhsa_ieee_mode 1
		.amdhsa_fp16_overflow 0
		.amdhsa_tg_split 0
		.amdhsa_exception_fp_ieee_invalid_op 0
		.amdhsa_exception_fp_denorm_src 0
		.amdhsa_exception_fp_ieee_div_zero 0
		.amdhsa_exception_fp_ieee_overflow 0
		.amdhsa_exception_fp_ieee_underflow 0
		.amdhsa_exception_fp_ieee_inexact 0
		.amdhsa_exception_int_div_zero 0
	.end_amdhsa_kernel
	.section	.text._ZN7rocprim17ROCPRIM_400000_NS6detail17trampoline_kernelINS0_14default_configENS1_20scan_config_selectorIsEEZZNS1_9scan_implILNS1_25lookback_scan_determinismE0ELb0ELb0ES3_N6thrust23THRUST_200600_302600_NS6detail15normal_iteratorINS9_10device_ptrIsEEEESE_sNS9_4plusIsEEsEEDaPvRmT3_T4_T5_mT6_P12ihipStream_tbENKUlT_T0_E_clISt17integral_constantIbLb1EESU_EEDaSP_SQ_EUlSP_E0_NS1_11comp_targetILNS1_3genE8ELNS1_11target_archE1030ELNS1_3gpuE2ELNS1_3repE0EEENS1_30default_config_static_selectorELNS0_4arch9wavefront6targetE1EEEvT1_,"axG",@progbits,_ZN7rocprim17ROCPRIM_400000_NS6detail17trampoline_kernelINS0_14default_configENS1_20scan_config_selectorIsEEZZNS1_9scan_implILNS1_25lookback_scan_determinismE0ELb0ELb0ES3_N6thrust23THRUST_200600_302600_NS6detail15normal_iteratorINS9_10device_ptrIsEEEESE_sNS9_4plusIsEEsEEDaPvRmT3_T4_T5_mT6_P12ihipStream_tbENKUlT_T0_E_clISt17integral_constantIbLb1EESU_EEDaSP_SQ_EUlSP_E0_NS1_11comp_targetILNS1_3genE8ELNS1_11target_archE1030ELNS1_3gpuE2ELNS1_3repE0EEENS1_30default_config_static_selectorELNS0_4arch9wavefront6targetE1EEEvT1_,comdat
.Lfunc_end1086:
	.size	_ZN7rocprim17ROCPRIM_400000_NS6detail17trampoline_kernelINS0_14default_configENS1_20scan_config_selectorIsEEZZNS1_9scan_implILNS1_25lookback_scan_determinismE0ELb0ELb0ES3_N6thrust23THRUST_200600_302600_NS6detail15normal_iteratorINS9_10device_ptrIsEEEESE_sNS9_4plusIsEEsEEDaPvRmT3_T4_T5_mT6_P12ihipStream_tbENKUlT_T0_E_clISt17integral_constantIbLb1EESU_EEDaSP_SQ_EUlSP_E0_NS1_11comp_targetILNS1_3genE8ELNS1_11target_archE1030ELNS1_3gpuE2ELNS1_3repE0EEENS1_30default_config_static_selectorELNS0_4arch9wavefront6targetE1EEEvT1_, .Lfunc_end1086-_ZN7rocprim17ROCPRIM_400000_NS6detail17trampoline_kernelINS0_14default_configENS1_20scan_config_selectorIsEEZZNS1_9scan_implILNS1_25lookback_scan_determinismE0ELb0ELb0ES3_N6thrust23THRUST_200600_302600_NS6detail15normal_iteratorINS9_10device_ptrIsEEEESE_sNS9_4plusIsEEsEEDaPvRmT3_T4_T5_mT6_P12ihipStream_tbENKUlT_T0_E_clISt17integral_constantIbLb1EESU_EEDaSP_SQ_EUlSP_E0_NS1_11comp_targetILNS1_3genE8ELNS1_11target_archE1030ELNS1_3gpuE2ELNS1_3repE0EEENS1_30default_config_static_selectorELNS0_4arch9wavefront6targetE1EEEvT1_
                                        ; -- End function
	.section	.AMDGPU.csdata,"",@progbits
; Kernel info:
; codeLenInByte = 0
; NumSgprs: 4
; NumVgprs: 0
; NumAgprs: 0
; TotalNumVgprs: 0
; ScratchSize: 0
; MemoryBound: 0
; FloatMode: 240
; IeeeMode: 1
; LDSByteSize: 0 bytes/workgroup (compile time only)
; SGPRBlocks: 0
; VGPRBlocks: 0
; NumSGPRsForWavesPerEU: 4
; NumVGPRsForWavesPerEU: 1
; AccumOffset: 4
; Occupancy: 8
; WaveLimiterHint : 0
; COMPUTE_PGM_RSRC2:SCRATCH_EN: 0
; COMPUTE_PGM_RSRC2:USER_SGPR: 6
; COMPUTE_PGM_RSRC2:TRAP_HANDLER: 0
; COMPUTE_PGM_RSRC2:TGID_X_EN: 1
; COMPUTE_PGM_RSRC2:TGID_Y_EN: 0
; COMPUTE_PGM_RSRC2:TGID_Z_EN: 0
; COMPUTE_PGM_RSRC2:TIDIG_COMP_CNT: 0
; COMPUTE_PGM_RSRC3_GFX90A:ACCUM_OFFSET: 0
; COMPUTE_PGM_RSRC3_GFX90A:TG_SPLIT: 0
	.section	.text._ZN7rocprim17ROCPRIM_400000_NS6detail17trampoline_kernelINS0_14default_configENS1_20scan_config_selectorIsEEZZNS1_9scan_implILNS1_25lookback_scan_determinismE0ELb0ELb0ES3_N6thrust23THRUST_200600_302600_NS6detail15normal_iteratorINS9_10device_ptrIsEEEESE_sNS9_4plusIsEEsEEDaPvRmT3_T4_T5_mT6_P12ihipStream_tbENKUlT_T0_E_clISt17integral_constantIbLb1EEST_IbLb0EEEEDaSP_SQ_EUlSP_E_NS1_11comp_targetILNS1_3genE0ELNS1_11target_archE4294967295ELNS1_3gpuE0ELNS1_3repE0EEENS1_30default_config_static_selectorELNS0_4arch9wavefront6targetE1EEEvT1_,"axG",@progbits,_ZN7rocprim17ROCPRIM_400000_NS6detail17trampoline_kernelINS0_14default_configENS1_20scan_config_selectorIsEEZZNS1_9scan_implILNS1_25lookback_scan_determinismE0ELb0ELb0ES3_N6thrust23THRUST_200600_302600_NS6detail15normal_iteratorINS9_10device_ptrIsEEEESE_sNS9_4plusIsEEsEEDaPvRmT3_T4_T5_mT6_P12ihipStream_tbENKUlT_T0_E_clISt17integral_constantIbLb1EEST_IbLb0EEEEDaSP_SQ_EUlSP_E_NS1_11comp_targetILNS1_3genE0ELNS1_11target_archE4294967295ELNS1_3gpuE0ELNS1_3repE0EEENS1_30default_config_static_selectorELNS0_4arch9wavefront6targetE1EEEvT1_,comdat
	.protected	_ZN7rocprim17ROCPRIM_400000_NS6detail17trampoline_kernelINS0_14default_configENS1_20scan_config_selectorIsEEZZNS1_9scan_implILNS1_25lookback_scan_determinismE0ELb0ELb0ES3_N6thrust23THRUST_200600_302600_NS6detail15normal_iteratorINS9_10device_ptrIsEEEESE_sNS9_4plusIsEEsEEDaPvRmT3_T4_T5_mT6_P12ihipStream_tbENKUlT_T0_E_clISt17integral_constantIbLb1EEST_IbLb0EEEEDaSP_SQ_EUlSP_E_NS1_11comp_targetILNS1_3genE0ELNS1_11target_archE4294967295ELNS1_3gpuE0ELNS1_3repE0EEENS1_30default_config_static_selectorELNS0_4arch9wavefront6targetE1EEEvT1_ ; -- Begin function _ZN7rocprim17ROCPRIM_400000_NS6detail17trampoline_kernelINS0_14default_configENS1_20scan_config_selectorIsEEZZNS1_9scan_implILNS1_25lookback_scan_determinismE0ELb0ELb0ES3_N6thrust23THRUST_200600_302600_NS6detail15normal_iteratorINS9_10device_ptrIsEEEESE_sNS9_4plusIsEEsEEDaPvRmT3_T4_T5_mT6_P12ihipStream_tbENKUlT_T0_E_clISt17integral_constantIbLb1EEST_IbLb0EEEEDaSP_SQ_EUlSP_E_NS1_11comp_targetILNS1_3genE0ELNS1_11target_archE4294967295ELNS1_3gpuE0ELNS1_3repE0EEENS1_30default_config_static_selectorELNS0_4arch9wavefront6targetE1EEEvT1_
	.globl	_ZN7rocprim17ROCPRIM_400000_NS6detail17trampoline_kernelINS0_14default_configENS1_20scan_config_selectorIsEEZZNS1_9scan_implILNS1_25lookback_scan_determinismE0ELb0ELb0ES3_N6thrust23THRUST_200600_302600_NS6detail15normal_iteratorINS9_10device_ptrIsEEEESE_sNS9_4plusIsEEsEEDaPvRmT3_T4_T5_mT6_P12ihipStream_tbENKUlT_T0_E_clISt17integral_constantIbLb1EEST_IbLb0EEEEDaSP_SQ_EUlSP_E_NS1_11comp_targetILNS1_3genE0ELNS1_11target_archE4294967295ELNS1_3gpuE0ELNS1_3repE0EEENS1_30default_config_static_selectorELNS0_4arch9wavefront6targetE1EEEvT1_
	.p2align	8
	.type	_ZN7rocprim17ROCPRIM_400000_NS6detail17trampoline_kernelINS0_14default_configENS1_20scan_config_selectorIsEEZZNS1_9scan_implILNS1_25lookback_scan_determinismE0ELb0ELb0ES3_N6thrust23THRUST_200600_302600_NS6detail15normal_iteratorINS9_10device_ptrIsEEEESE_sNS9_4plusIsEEsEEDaPvRmT3_T4_T5_mT6_P12ihipStream_tbENKUlT_T0_E_clISt17integral_constantIbLb1EEST_IbLb0EEEEDaSP_SQ_EUlSP_E_NS1_11comp_targetILNS1_3genE0ELNS1_11target_archE4294967295ELNS1_3gpuE0ELNS1_3repE0EEENS1_30default_config_static_selectorELNS0_4arch9wavefront6targetE1EEEvT1_,@function
_ZN7rocprim17ROCPRIM_400000_NS6detail17trampoline_kernelINS0_14default_configENS1_20scan_config_selectorIsEEZZNS1_9scan_implILNS1_25lookback_scan_determinismE0ELb0ELb0ES3_N6thrust23THRUST_200600_302600_NS6detail15normal_iteratorINS9_10device_ptrIsEEEESE_sNS9_4plusIsEEsEEDaPvRmT3_T4_T5_mT6_P12ihipStream_tbENKUlT_T0_E_clISt17integral_constantIbLb1EEST_IbLb0EEEEDaSP_SQ_EUlSP_E_NS1_11comp_targetILNS1_3genE0ELNS1_11target_archE4294967295ELNS1_3gpuE0ELNS1_3repE0EEENS1_30default_config_static_selectorELNS0_4arch9wavefront6targetE1EEEvT1_: ; @_ZN7rocprim17ROCPRIM_400000_NS6detail17trampoline_kernelINS0_14default_configENS1_20scan_config_selectorIsEEZZNS1_9scan_implILNS1_25lookback_scan_determinismE0ELb0ELb0ES3_N6thrust23THRUST_200600_302600_NS6detail15normal_iteratorINS9_10device_ptrIsEEEESE_sNS9_4plusIsEEsEEDaPvRmT3_T4_T5_mT6_P12ihipStream_tbENKUlT_T0_E_clISt17integral_constantIbLb1EEST_IbLb0EEEEDaSP_SQ_EUlSP_E_NS1_11comp_targetILNS1_3genE0ELNS1_11target_archE4294967295ELNS1_3gpuE0ELNS1_3repE0EEENS1_30default_config_static_selectorELNS0_4arch9wavefront6targetE1EEEvT1_
; %bb.0:
	.section	.rodata,"a",@progbits
	.p2align	6, 0x0
	.amdhsa_kernel _ZN7rocprim17ROCPRIM_400000_NS6detail17trampoline_kernelINS0_14default_configENS1_20scan_config_selectorIsEEZZNS1_9scan_implILNS1_25lookback_scan_determinismE0ELb0ELb0ES3_N6thrust23THRUST_200600_302600_NS6detail15normal_iteratorINS9_10device_ptrIsEEEESE_sNS9_4plusIsEEsEEDaPvRmT3_T4_T5_mT6_P12ihipStream_tbENKUlT_T0_E_clISt17integral_constantIbLb1EEST_IbLb0EEEEDaSP_SQ_EUlSP_E_NS1_11comp_targetILNS1_3genE0ELNS1_11target_archE4294967295ELNS1_3gpuE0ELNS1_3repE0EEENS1_30default_config_static_selectorELNS0_4arch9wavefront6targetE1EEEvT1_
		.amdhsa_group_segment_fixed_size 0
		.amdhsa_private_segment_fixed_size 0
		.amdhsa_kernarg_size 96
		.amdhsa_user_sgpr_count 6
		.amdhsa_user_sgpr_private_segment_buffer 1
		.amdhsa_user_sgpr_dispatch_ptr 0
		.amdhsa_user_sgpr_queue_ptr 0
		.amdhsa_user_sgpr_kernarg_segment_ptr 1
		.amdhsa_user_sgpr_dispatch_id 0
		.amdhsa_user_sgpr_flat_scratch_init 0
		.amdhsa_user_sgpr_kernarg_preload_length 0
		.amdhsa_user_sgpr_kernarg_preload_offset 0
		.amdhsa_user_sgpr_private_segment_size 0
		.amdhsa_uses_dynamic_stack 0
		.amdhsa_system_sgpr_private_segment_wavefront_offset 0
		.amdhsa_system_sgpr_workgroup_id_x 1
		.amdhsa_system_sgpr_workgroup_id_y 0
		.amdhsa_system_sgpr_workgroup_id_z 0
		.amdhsa_system_sgpr_workgroup_info 0
		.amdhsa_system_vgpr_workitem_id 0
		.amdhsa_next_free_vgpr 1
		.amdhsa_next_free_sgpr 0
		.amdhsa_accum_offset 4
		.amdhsa_reserve_vcc 0
		.amdhsa_reserve_flat_scratch 0
		.amdhsa_float_round_mode_32 0
		.amdhsa_float_round_mode_16_64 0
		.amdhsa_float_denorm_mode_32 3
		.amdhsa_float_denorm_mode_16_64 3
		.amdhsa_dx10_clamp 1
		.amdhsa_ieee_mode 1
		.amdhsa_fp16_overflow 0
		.amdhsa_tg_split 0
		.amdhsa_exception_fp_ieee_invalid_op 0
		.amdhsa_exception_fp_denorm_src 0
		.amdhsa_exception_fp_ieee_div_zero 0
		.amdhsa_exception_fp_ieee_overflow 0
		.amdhsa_exception_fp_ieee_underflow 0
		.amdhsa_exception_fp_ieee_inexact 0
		.amdhsa_exception_int_div_zero 0
	.end_amdhsa_kernel
	.section	.text._ZN7rocprim17ROCPRIM_400000_NS6detail17trampoline_kernelINS0_14default_configENS1_20scan_config_selectorIsEEZZNS1_9scan_implILNS1_25lookback_scan_determinismE0ELb0ELb0ES3_N6thrust23THRUST_200600_302600_NS6detail15normal_iteratorINS9_10device_ptrIsEEEESE_sNS9_4plusIsEEsEEDaPvRmT3_T4_T5_mT6_P12ihipStream_tbENKUlT_T0_E_clISt17integral_constantIbLb1EEST_IbLb0EEEEDaSP_SQ_EUlSP_E_NS1_11comp_targetILNS1_3genE0ELNS1_11target_archE4294967295ELNS1_3gpuE0ELNS1_3repE0EEENS1_30default_config_static_selectorELNS0_4arch9wavefront6targetE1EEEvT1_,"axG",@progbits,_ZN7rocprim17ROCPRIM_400000_NS6detail17trampoline_kernelINS0_14default_configENS1_20scan_config_selectorIsEEZZNS1_9scan_implILNS1_25lookback_scan_determinismE0ELb0ELb0ES3_N6thrust23THRUST_200600_302600_NS6detail15normal_iteratorINS9_10device_ptrIsEEEESE_sNS9_4plusIsEEsEEDaPvRmT3_T4_T5_mT6_P12ihipStream_tbENKUlT_T0_E_clISt17integral_constantIbLb1EEST_IbLb0EEEEDaSP_SQ_EUlSP_E_NS1_11comp_targetILNS1_3genE0ELNS1_11target_archE4294967295ELNS1_3gpuE0ELNS1_3repE0EEENS1_30default_config_static_selectorELNS0_4arch9wavefront6targetE1EEEvT1_,comdat
.Lfunc_end1087:
	.size	_ZN7rocprim17ROCPRIM_400000_NS6detail17trampoline_kernelINS0_14default_configENS1_20scan_config_selectorIsEEZZNS1_9scan_implILNS1_25lookback_scan_determinismE0ELb0ELb0ES3_N6thrust23THRUST_200600_302600_NS6detail15normal_iteratorINS9_10device_ptrIsEEEESE_sNS9_4plusIsEEsEEDaPvRmT3_T4_T5_mT6_P12ihipStream_tbENKUlT_T0_E_clISt17integral_constantIbLb1EEST_IbLb0EEEEDaSP_SQ_EUlSP_E_NS1_11comp_targetILNS1_3genE0ELNS1_11target_archE4294967295ELNS1_3gpuE0ELNS1_3repE0EEENS1_30default_config_static_selectorELNS0_4arch9wavefront6targetE1EEEvT1_, .Lfunc_end1087-_ZN7rocprim17ROCPRIM_400000_NS6detail17trampoline_kernelINS0_14default_configENS1_20scan_config_selectorIsEEZZNS1_9scan_implILNS1_25lookback_scan_determinismE0ELb0ELb0ES3_N6thrust23THRUST_200600_302600_NS6detail15normal_iteratorINS9_10device_ptrIsEEEESE_sNS9_4plusIsEEsEEDaPvRmT3_T4_T5_mT6_P12ihipStream_tbENKUlT_T0_E_clISt17integral_constantIbLb1EEST_IbLb0EEEEDaSP_SQ_EUlSP_E_NS1_11comp_targetILNS1_3genE0ELNS1_11target_archE4294967295ELNS1_3gpuE0ELNS1_3repE0EEENS1_30default_config_static_selectorELNS0_4arch9wavefront6targetE1EEEvT1_
                                        ; -- End function
	.section	.AMDGPU.csdata,"",@progbits
; Kernel info:
; codeLenInByte = 0
; NumSgprs: 4
; NumVgprs: 0
; NumAgprs: 0
; TotalNumVgprs: 0
; ScratchSize: 0
; MemoryBound: 0
; FloatMode: 240
; IeeeMode: 1
; LDSByteSize: 0 bytes/workgroup (compile time only)
; SGPRBlocks: 0
; VGPRBlocks: 0
; NumSGPRsForWavesPerEU: 4
; NumVGPRsForWavesPerEU: 1
; AccumOffset: 4
; Occupancy: 8
; WaveLimiterHint : 0
; COMPUTE_PGM_RSRC2:SCRATCH_EN: 0
; COMPUTE_PGM_RSRC2:USER_SGPR: 6
; COMPUTE_PGM_RSRC2:TRAP_HANDLER: 0
; COMPUTE_PGM_RSRC2:TGID_X_EN: 1
; COMPUTE_PGM_RSRC2:TGID_Y_EN: 0
; COMPUTE_PGM_RSRC2:TGID_Z_EN: 0
; COMPUTE_PGM_RSRC2:TIDIG_COMP_CNT: 0
; COMPUTE_PGM_RSRC3_GFX90A:ACCUM_OFFSET: 0
; COMPUTE_PGM_RSRC3_GFX90A:TG_SPLIT: 0
	.section	.text._ZN7rocprim17ROCPRIM_400000_NS6detail17trampoline_kernelINS0_14default_configENS1_20scan_config_selectorIsEEZZNS1_9scan_implILNS1_25lookback_scan_determinismE0ELb0ELb0ES3_N6thrust23THRUST_200600_302600_NS6detail15normal_iteratorINS9_10device_ptrIsEEEESE_sNS9_4plusIsEEsEEDaPvRmT3_T4_T5_mT6_P12ihipStream_tbENKUlT_T0_E_clISt17integral_constantIbLb1EEST_IbLb0EEEEDaSP_SQ_EUlSP_E_NS1_11comp_targetILNS1_3genE5ELNS1_11target_archE942ELNS1_3gpuE9ELNS1_3repE0EEENS1_30default_config_static_selectorELNS0_4arch9wavefront6targetE1EEEvT1_,"axG",@progbits,_ZN7rocprim17ROCPRIM_400000_NS6detail17trampoline_kernelINS0_14default_configENS1_20scan_config_selectorIsEEZZNS1_9scan_implILNS1_25lookback_scan_determinismE0ELb0ELb0ES3_N6thrust23THRUST_200600_302600_NS6detail15normal_iteratorINS9_10device_ptrIsEEEESE_sNS9_4plusIsEEsEEDaPvRmT3_T4_T5_mT6_P12ihipStream_tbENKUlT_T0_E_clISt17integral_constantIbLb1EEST_IbLb0EEEEDaSP_SQ_EUlSP_E_NS1_11comp_targetILNS1_3genE5ELNS1_11target_archE942ELNS1_3gpuE9ELNS1_3repE0EEENS1_30default_config_static_selectorELNS0_4arch9wavefront6targetE1EEEvT1_,comdat
	.protected	_ZN7rocprim17ROCPRIM_400000_NS6detail17trampoline_kernelINS0_14default_configENS1_20scan_config_selectorIsEEZZNS1_9scan_implILNS1_25lookback_scan_determinismE0ELb0ELb0ES3_N6thrust23THRUST_200600_302600_NS6detail15normal_iteratorINS9_10device_ptrIsEEEESE_sNS9_4plusIsEEsEEDaPvRmT3_T4_T5_mT6_P12ihipStream_tbENKUlT_T0_E_clISt17integral_constantIbLb1EEST_IbLb0EEEEDaSP_SQ_EUlSP_E_NS1_11comp_targetILNS1_3genE5ELNS1_11target_archE942ELNS1_3gpuE9ELNS1_3repE0EEENS1_30default_config_static_selectorELNS0_4arch9wavefront6targetE1EEEvT1_ ; -- Begin function _ZN7rocprim17ROCPRIM_400000_NS6detail17trampoline_kernelINS0_14default_configENS1_20scan_config_selectorIsEEZZNS1_9scan_implILNS1_25lookback_scan_determinismE0ELb0ELb0ES3_N6thrust23THRUST_200600_302600_NS6detail15normal_iteratorINS9_10device_ptrIsEEEESE_sNS9_4plusIsEEsEEDaPvRmT3_T4_T5_mT6_P12ihipStream_tbENKUlT_T0_E_clISt17integral_constantIbLb1EEST_IbLb0EEEEDaSP_SQ_EUlSP_E_NS1_11comp_targetILNS1_3genE5ELNS1_11target_archE942ELNS1_3gpuE9ELNS1_3repE0EEENS1_30default_config_static_selectorELNS0_4arch9wavefront6targetE1EEEvT1_
	.globl	_ZN7rocprim17ROCPRIM_400000_NS6detail17trampoline_kernelINS0_14default_configENS1_20scan_config_selectorIsEEZZNS1_9scan_implILNS1_25lookback_scan_determinismE0ELb0ELb0ES3_N6thrust23THRUST_200600_302600_NS6detail15normal_iteratorINS9_10device_ptrIsEEEESE_sNS9_4plusIsEEsEEDaPvRmT3_T4_T5_mT6_P12ihipStream_tbENKUlT_T0_E_clISt17integral_constantIbLb1EEST_IbLb0EEEEDaSP_SQ_EUlSP_E_NS1_11comp_targetILNS1_3genE5ELNS1_11target_archE942ELNS1_3gpuE9ELNS1_3repE0EEENS1_30default_config_static_selectorELNS0_4arch9wavefront6targetE1EEEvT1_
	.p2align	8
	.type	_ZN7rocprim17ROCPRIM_400000_NS6detail17trampoline_kernelINS0_14default_configENS1_20scan_config_selectorIsEEZZNS1_9scan_implILNS1_25lookback_scan_determinismE0ELb0ELb0ES3_N6thrust23THRUST_200600_302600_NS6detail15normal_iteratorINS9_10device_ptrIsEEEESE_sNS9_4plusIsEEsEEDaPvRmT3_T4_T5_mT6_P12ihipStream_tbENKUlT_T0_E_clISt17integral_constantIbLb1EEST_IbLb0EEEEDaSP_SQ_EUlSP_E_NS1_11comp_targetILNS1_3genE5ELNS1_11target_archE942ELNS1_3gpuE9ELNS1_3repE0EEENS1_30default_config_static_selectorELNS0_4arch9wavefront6targetE1EEEvT1_,@function
_ZN7rocprim17ROCPRIM_400000_NS6detail17trampoline_kernelINS0_14default_configENS1_20scan_config_selectorIsEEZZNS1_9scan_implILNS1_25lookback_scan_determinismE0ELb0ELb0ES3_N6thrust23THRUST_200600_302600_NS6detail15normal_iteratorINS9_10device_ptrIsEEEESE_sNS9_4plusIsEEsEEDaPvRmT3_T4_T5_mT6_P12ihipStream_tbENKUlT_T0_E_clISt17integral_constantIbLb1EEST_IbLb0EEEEDaSP_SQ_EUlSP_E_NS1_11comp_targetILNS1_3genE5ELNS1_11target_archE942ELNS1_3gpuE9ELNS1_3repE0EEENS1_30default_config_static_selectorELNS0_4arch9wavefront6targetE1EEEvT1_: ; @_ZN7rocprim17ROCPRIM_400000_NS6detail17trampoline_kernelINS0_14default_configENS1_20scan_config_selectorIsEEZZNS1_9scan_implILNS1_25lookback_scan_determinismE0ELb0ELb0ES3_N6thrust23THRUST_200600_302600_NS6detail15normal_iteratorINS9_10device_ptrIsEEEESE_sNS9_4plusIsEEsEEDaPvRmT3_T4_T5_mT6_P12ihipStream_tbENKUlT_T0_E_clISt17integral_constantIbLb1EEST_IbLb0EEEEDaSP_SQ_EUlSP_E_NS1_11comp_targetILNS1_3genE5ELNS1_11target_archE942ELNS1_3gpuE9ELNS1_3repE0EEENS1_30default_config_static_selectorELNS0_4arch9wavefront6targetE1EEEvT1_
; %bb.0:
	.section	.rodata,"a",@progbits
	.p2align	6, 0x0
	.amdhsa_kernel _ZN7rocprim17ROCPRIM_400000_NS6detail17trampoline_kernelINS0_14default_configENS1_20scan_config_selectorIsEEZZNS1_9scan_implILNS1_25lookback_scan_determinismE0ELb0ELb0ES3_N6thrust23THRUST_200600_302600_NS6detail15normal_iteratorINS9_10device_ptrIsEEEESE_sNS9_4plusIsEEsEEDaPvRmT3_T4_T5_mT6_P12ihipStream_tbENKUlT_T0_E_clISt17integral_constantIbLb1EEST_IbLb0EEEEDaSP_SQ_EUlSP_E_NS1_11comp_targetILNS1_3genE5ELNS1_11target_archE942ELNS1_3gpuE9ELNS1_3repE0EEENS1_30default_config_static_selectorELNS0_4arch9wavefront6targetE1EEEvT1_
		.amdhsa_group_segment_fixed_size 0
		.amdhsa_private_segment_fixed_size 0
		.amdhsa_kernarg_size 96
		.amdhsa_user_sgpr_count 6
		.amdhsa_user_sgpr_private_segment_buffer 1
		.amdhsa_user_sgpr_dispatch_ptr 0
		.amdhsa_user_sgpr_queue_ptr 0
		.amdhsa_user_sgpr_kernarg_segment_ptr 1
		.amdhsa_user_sgpr_dispatch_id 0
		.amdhsa_user_sgpr_flat_scratch_init 0
		.amdhsa_user_sgpr_kernarg_preload_length 0
		.amdhsa_user_sgpr_kernarg_preload_offset 0
		.amdhsa_user_sgpr_private_segment_size 0
		.amdhsa_uses_dynamic_stack 0
		.amdhsa_system_sgpr_private_segment_wavefront_offset 0
		.amdhsa_system_sgpr_workgroup_id_x 1
		.amdhsa_system_sgpr_workgroup_id_y 0
		.amdhsa_system_sgpr_workgroup_id_z 0
		.amdhsa_system_sgpr_workgroup_info 0
		.amdhsa_system_vgpr_workitem_id 0
		.amdhsa_next_free_vgpr 1
		.amdhsa_next_free_sgpr 0
		.amdhsa_accum_offset 4
		.amdhsa_reserve_vcc 0
		.amdhsa_reserve_flat_scratch 0
		.amdhsa_float_round_mode_32 0
		.amdhsa_float_round_mode_16_64 0
		.amdhsa_float_denorm_mode_32 3
		.amdhsa_float_denorm_mode_16_64 3
		.amdhsa_dx10_clamp 1
		.amdhsa_ieee_mode 1
		.amdhsa_fp16_overflow 0
		.amdhsa_tg_split 0
		.amdhsa_exception_fp_ieee_invalid_op 0
		.amdhsa_exception_fp_denorm_src 0
		.amdhsa_exception_fp_ieee_div_zero 0
		.amdhsa_exception_fp_ieee_overflow 0
		.amdhsa_exception_fp_ieee_underflow 0
		.amdhsa_exception_fp_ieee_inexact 0
		.amdhsa_exception_int_div_zero 0
	.end_amdhsa_kernel
	.section	.text._ZN7rocprim17ROCPRIM_400000_NS6detail17trampoline_kernelINS0_14default_configENS1_20scan_config_selectorIsEEZZNS1_9scan_implILNS1_25lookback_scan_determinismE0ELb0ELb0ES3_N6thrust23THRUST_200600_302600_NS6detail15normal_iteratorINS9_10device_ptrIsEEEESE_sNS9_4plusIsEEsEEDaPvRmT3_T4_T5_mT6_P12ihipStream_tbENKUlT_T0_E_clISt17integral_constantIbLb1EEST_IbLb0EEEEDaSP_SQ_EUlSP_E_NS1_11comp_targetILNS1_3genE5ELNS1_11target_archE942ELNS1_3gpuE9ELNS1_3repE0EEENS1_30default_config_static_selectorELNS0_4arch9wavefront6targetE1EEEvT1_,"axG",@progbits,_ZN7rocprim17ROCPRIM_400000_NS6detail17trampoline_kernelINS0_14default_configENS1_20scan_config_selectorIsEEZZNS1_9scan_implILNS1_25lookback_scan_determinismE0ELb0ELb0ES3_N6thrust23THRUST_200600_302600_NS6detail15normal_iteratorINS9_10device_ptrIsEEEESE_sNS9_4plusIsEEsEEDaPvRmT3_T4_T5_mT6_P12ihipStream_tbENKUlT_T0_E_clISt17integral_constantIbLb1EEST_IbLb0EEEEDaSP_SQ_EUlSP_E_NS1_11comp_targetILNS1_3genE5ELNS1_11target_archE942ELNS1_3gpuE9ELNS1_3repE0EEENS1_30default_config_static_selectorELNS0_4arch9wavefront6targetE1EEEvT1_,comdat
.Lfunc_end1088:
	.size	_ZN7rocprim17ROCPRIM_400000_NS6detail17trampoline_kernelINS0_14default_configENS1_20scan_config_selectorIsEEZZNS1_9scan_implILNS1_25lookback_scan_determinismE0ELb0ELb0ES3_N6thrust23THRUST_200600_302600_NS6detail15normal_iteratorINS9_10device_ptrIsEEEESE_sNS9_4plusIsEEsEEDaPvRmT3_T4_T5_mT6_P12ihipStream_tbENKUlT_T0_E_clISt17integral_constantIbLb1EEST_IbLb0EEEEDaSP_SQ_EUlSP_E_NS1_11comp_targetILNS1_3genE5ELNS1_11target_archE942ELNS1_3gpuE9ELNS1_3repE0EEENS1_30default_config_static_selectorELNS0_4arch9wavefront6targetE1EEEvT1_, .Lfunc_end1088-_ZN7rocprim17ROCPRIM_400000_NS6detail17trampoline_kernelINS0_14default_configENS1_20scan_config_selectorIsEEZZNS1_9scan_implILNS1_25lookback_scan_determinismE0ELb0ELb0ES3_N6thrust23THRUST_200600_302600_NS6detail15normal_iteratorINS9_10device_ptrIsEEEESE_sNS9_4plusIsEEsEEDaPvRmT3_T4_T5_mT6_P12ihipStream_tbENKUlT_T0_E_clISt17integral_constantIbLb1EEST_IbLb0EEEEDaSP_SQ_EUlSP_E_NS1_11comp_targetILNS1_3genE5ELNS1_11target_archE942ELNS1_3gpuE9ELNS1_3repE0EEENS1_30default_config_static_selectorELNS0_4arch9wavefront6targetE1EEEvT1_
                                        ; -- End function
	.section	.AMDGPU.csdata,"",@progbits
; Kernel info:
; codeLenInByte = 0
; NumSgprs: 4
; NumVgprs: 0
; NumAgprs: 0
; TotalNumVgprs: 0
; ScratchSize: 0
; MemoryBound: 0
; FloatMode: 240
; IeeeMode: 1
; LDSByteSize: 0 bytes/workgroup (compile time only)
; SGPRBlocks: 0
; VGPRBlocks: 0
; NumSGPRsForWavesPerEU: 4
; NumVGPRsForWavesPerEU: 1
; AccumOffset: 4
; Occupancy: 8
; WaveLimiterHint : 0
; COMPUTE_PGM_RSRC2:SCRATCH_EN: 0
; COMPUTE_PGM_RSRC2:USER_SGPR: 6
; COMPUTE_PGM_RSRC2:TRAP_HANDLER: 0
; COMPUTE_PGM_RSRC2:TGID_X_EN: 1
; COMPUTE_PGM_RSRC2:TGID_Y_EN: 0
; COMPUTE_PGM_RSRC2:TGID_Z_EN: 0
; COMPUTE_PGM_RSRC2:TIDIG_COMP_CNT: 0
; COMPUTE_PGM_RSRC3_GFX90A:ACCUM_OFFSET: 0
; COMPUTE_PGM_RSRC3_GFX90A:TG_SPLIT: 0
	.section	.text._ZN7rocprim17ROCPRIM_400000_NS6detail17trampoline_kernelINS0_14default_configENS1_20scan_config_selectorIsEEZZNS1_9scan_implILNS1_25lookback_scan_determinismE0ELb0ELb0ES3_N6thrust23THRUST_200600_302600_NS6detail15normal_iteratorINS9_10device_ptrIsEEEESE_sNS9_4plusIsEEsEEDaPvRmT3_T4_T5_mT6_P12ihipStream_tbENKUlT_T0_E_clISt17integral_constantIbLb1EEST_IbLb0EEEEDaSP_SQ_EUlSP_E_NS1_11comp_targetILNS1_3genE4ELNS1_11target_archE910ELNS1_3gpuE8ELNS1_3repE0EEENS1_30default_config_static_selectorELNS0_4arch9wavefront6targetE1EEEvT1_,"axG",@progbits,_ZN7rocprim17ROCPRIM_400000_NS6detail17trampoline_kernelINS0_14default_configENS1_20scan_config_selectorIsEEZZNS1_9scan_implILNS1_25lookback_scan_determinismE0ELb0ELb0ES3_N6thrust23THRUST_200600_302600_NS6detail15normal_iteratorINS9_10device_ptrIsEEEESE_sNS9_4plusIsEEsEEDaPvRmT3_T4_T5_mT6_P12ihipStream_tbENKUlT_T0_E_clISt17integral_constantIbLb1EEST_IbLb0EEEEDaSP_SQ_EUlSP_E_NS1_11comp_targetILNS1_3genE4ELNS1_11target_archE910ELNS1_3gpuE8ELNS1_3repE0EEENS1_30default_config_static_selectorELNS0_4arch9wavefront6targetE1EEEvT1_,comdat
	.protected	_ZN7rocprim17ROCPRIM_400000_NS6detail17trampoline_kernelINS0_14default_configENS1_20scan_config_selectorIsEEZZNS1_9scan_implILNS1_25lookback_scan_determinismE0ELb0ELb0ES3_N6thrust23THRUST_200600_302600_NS6detail15normal_iteratorINS9_10device_ptrIsEEEESE_sNS9_4plusIsEEsEEDaPvRmT3_T4_T5_mT6_P12ihipStream_tbENKUlT_T0_E_clISt17integral_constantIbLb1EEST_IbLb0EEEEDaSP_SQ_EUlSP_E_NS1_11comp_targetILNS1_3genE4ELNS1_11target_archE910ELNS1_3gpuE8ELNS1_3repE0EEENS1_30default_config_static_selectorELNS0_4arch9wavefront6targetE1EEEvT1_ ; -- Begin function _ZN7rocprim17ROCPRIM_400000_NS6detail17trampoline_kernelINS0_14default_configENS1_20scan_config_selectorIsEEZZNS1_9scan_implILNS1_25lookback_scan_determinismE0ELb0ELb0ES3_N6thrust23THRUST_200600_302600_NS6detail15normal_iteratorINS9_10device_ptrIsEEEESE_sNS9_4plusIsEEsEEDaPvRmT3_T4_T5_mT6_P12ihipStream_tbENKUlT_T0_E_clISt17integral_constantIbLb1EEST_IbLb0EEEEDaSP_SQ_EUlSP_E_NS1_11comp_targetILNS1_3genE4ELNS1_11target_archE910ELNS1_3gpuE8ELNS1_3repE0EEENS1_30default_config_static_selectorELNS0_4arch9wavefront6targetE1EEEvT1_
	.globl	_ZN7rocprim17ROCPRIM_400000_NS6detail17trampoline_kernelINS0_14default_configENS1_20scan_config_selectorIsEEZZNS1_9scan_implILNS1_25lookback_scan_determinismE0ELb0ELb0ES3_N6thrust23THRUST_200600_302600_NS6detail15normal_iteratorINS9_10device_ptrIsEEEESE_sNS9_4plusIsEEsEEDaPvRmT3_T4_T5_mT6_P12ihipStream_tbENKUlT_T0_E_clISt17integral_constantIbLb1EEST_IbLb0EEEEDaSP_SQ_EUlSP_E_NS1_11comp_targetILNS1_3genE4ELNS1_11target_archE910ELNS1_3gpuE8ELNS1_3repE0EEENS1_30default_config_static_selectorELNS0_4arch9wavefront6targetE1EEEvT1_
	.p2align	8
	.type	_ZN7rocprim17ROCPRIM_400000_NS6detail17trampoline_kernelINS0_14default_configENS1_20scan_config_selectorIsEEZZNS1_9scan_implILNS1_25lookback_scan_determinismE0ELb0ELb0ES3_N6thrust23THRUST_200600_302600_NS6detail15normal_iteratorINS9_10device_ptrIsEEEESE_sNS9_4plusIsEEsEEDaPvRmT3_T4_T5_mT6_P12ihipStream_tbENKUlT_T0_E_clISt17integral_constantIbLb1EEST_IbLb0EEEEDaSP_SQ_EUlSP_E_NS1_11comp_targetILNS1_3genE4ELNS1_11target_archE910ELNS1_3gpuE8ELNS1_3repE0EEENS1_30default_config_static_selectorELNS0_4arch9wavefront6targetE1EEEvT1_,@function
_ZN7rocprim17ROCPRIM_400000_NS6detail17trampoline_kernelINS0_14default_configENS1_20scan_config_selectorIsEEZZNS1_9scan_implILNS1_25lookback_scan_determinismE0ELb0ELb0ES3_N6thrust23THRUST_200600_302600_NS6detail15normal_iteratorINS9_10device_ptrIsEEEESE_sNS9_4plusIsEEsEEDaPvRmT3_T4_T5_mT6_P12ihipStream_tbENKUlT_T0_E_clISt17integral_constantIbLb1EEST_IbLb0EEEEDaSP_SQ_EUlSP_E_NS1_11comp_targetILNS1_3genE4ELNS1_11target_archE910ELNS1_3gpuE8ELNS1_3repE0EEENS1_30default_config_static_selectorELNS0_4arch9wavefront6targetE1EEEvT1_: ; @_ZN7rocprim17ROCPRIM_400000_NS6detail17trampoline_kernelINS0_14default_configENS1_20scan_config_selectorIsEEZZNS1_9scan_implILNS1_25lookback_scan_determinismE0ELb0ELb0ES3_N6thrust23THRUST_200600_302600_NS6detail15normal_iteratorINS9_10device_ptrIsEEEESE_sNS9_4plusIsEEsEEDaPvRmT3_T4_T5_mT6_P12ihipStream_tbENKUlT_T0_E_clISt17integral_constantIbLb1EEST_IbLb0EEEEDaSP_SQ_EUlSP_E_NS1_11comp_targetILNS1_3genE4ELNS1_11target_archE910ELNS1_3gpuE8ELNS1_3repE0EEENS1_30default_config_static_selectorELNS0_4arch9wavefront6targetE1EEEvT1_
; %bb.0:
	s_load_dwordx8 s[8:15], s[4:5], 0x0
	s_load_dword s1, s[4:5], 0x30
	s_mul_i32 s0, s6, 0x600
	v_lshlrev_b32_e32 v20, 1, v0
	s_waitcnt lgkmcnt(0)
	s_lshl_b64 s[16:17], s[10:11], 1
	s_add_u32 s2, s8, s16
	s_addc_u32 s3, s9, s17
	s_add_i32 s7, s1, -1
	s_mul_i32 s8, s7, 0x600
	s_sub_u32 s22, s14, s8
	s_subb_u32 s23, s15, 0
	s_mov_b32 s1, 0
	s_cmp_lg_u32 s6, s7
	s_cselect_b64 s[14:15], -1, 0
	s_lshl_b64 s[18:19], s[0:1], 1
	s_add_u32 s2, s2, s18
	s_addc_u32 s3, s3, s19
	s_mov_b64 s[0:1], -1
	s_and_b64 vcc, exec, s[14:15]
	s_cbranch_vccz .LBB1089_2
; %bb.1:
	v_mov_b32_e32 v1, s3
	v_add_co_u32_e32 v2, vcc, s2, v20
	v_addc_co_u32_e32 v3, vcc, 0, v1, vcc
	flat_load_ushort v1, v[2:3]
	flat_load_ushort v4, v[2:3] offset:128
	flat_load_ushort v5, v[2:3] offset:256
	;; [unrolled: 1-line block ×23, first 2 shown]
	s_mov_b64 s[0:1], 0
	s_waitcnt vmcnt(0) lgkmcnt(0)
	ds_write_b16 v20, v1
	ds_write_b16 v20, v4 offset:128
	ds_write_b16 v20, v5 offset:256
	;; [unrolled: 1-line block ×23, first 2 shown]
	s_waitcnt lgkmcnt(0)
	; wave barrier
.LBB1089_2:
	s_load_dwordx2 s[20:21], s[4:5], 0x28
	s_andn2_b64 vcc, exec, s[0:1]
	v_cmp_gt_u32_e64 s[0:1], s22, v0
	s_cbranch_vccnz .LBB1089_52
; %bb.3:
	v_pk_mov_b32 v[2:3], s[2:3], s[2:3] op_sel:[0,1]
	flat_load_ushort v1, v[2:3]
	s_waitcnt vmcnt(0) lgkmcnt(0)
	v_mov_b32_e32 v2, v1
	s_and_saveexec_b64 s[8:9], s[0:1]
	s_cbranch_execz .LBB1089_5
; %bb.4:
	v_mov_b32_e32 v3, s3
	v_add_co_u32_e32 v2, vcc, s2, v20
	v_addc_co_u32_e32 v3, vcc, 0, v3, vcc
	flat_load_ushort v2, v[2:3]
.LBB1089_5:
	s_or_b64 exec, exec, s[8:9]
	v_or_b32_e32 v3, 64, v0
	v_cmp_gt_u32_e32 vcc, s22, v3
	v_mov_b32_e32 v3, v1
	s_and_saveexec_b64 s[0:1], vcc
	s_cbranch_execz .LBB1089_7
; %bb.6:
	v_mov_b32_e32 v3, s3
	v_add_co_u32_e32 v4, vcc, s2, v20
	v_addc_co_u32_e32 v5, vcc, 0, v3, vcc
	flat_load_ushort v3, v[4:5] offset:128
.LBB1089_7:
	s_or_b64 exec, exec, s[0:1]
	v_or_b32_e32 v4, 0x80, v0
	v_cmp_gt_u32_e32 vcc, s22, v4
	v_mov_b32_e32 v4, v1
	s_and_saveexec_b64 s[0:1], vcc
	s_cbranch_execz .LBB1089_9
; %bb.8:
	v_mov_b32_e32 v5, s3
	v_add_co_u32_e32 v4, vcc, s2, v20
	v_addc_co_u32_e32 v5, vcc, 0, v5, vcc
	flat_load_ushort v4, v[4:5] offset:256
.LBB1089_9:
	;; [unrolled: 12-line block ×22, first 2 shown]
	s_or_b64 exec, exec, s[0:1]
	v_or_b32_e32 v26, 0x5c0, v0
	v_cmp_gt_u32_e32 vcc, s22, v26
	s_and_saveexec_b64 s[0:1], vcc
	s_cbranch_execz .LBB1089_51
; %bb.50:
	v_mov_b32_e32 v1, s3
	v_add_co_u32_e32 v26, vcc, s2, v20
	v_addc_co_u32_e32 v27, vcc, 0, v1, vcc
	flat_load_ushort v1, v[26:27] offset:2944
.LBB1089_51:
	s_or_b64 exec, exec, s[0:1]
	s_waitcnt vmcnt(0) lgkmcnt(0)
	ds_write_b16 v20, v2
	ds_write_b16 v20, v3 offset:128
	ds_write_b16 v20, v4 offset:256
	;; [unrolled: 1-line block ×23, first 2 shown]
	s_waitcnt lgkmcnt(0)
	; wave barrier
.LBB1089_52:
	v_mul_u32_u24_e32 v21, 24, v0
	v_lshlrev_b32_e32 v1, 1, v21
	s_waitcnt lgkmcnt(0)
	ds_read_b128 v[10:13], v1
	ds_read_b128 v[6:9], v1 offset:16
	ds_read_b128 v[2:5], v1 offset:32
	s_cmp_lg_u32 s6, 0
	v_mbcnt_lo_u32_b32 v22, -1, 0
	v_cmp_eq_u32_e32 vcc, 63, v0
	s_waitcnt lgkmcnt(0)
	; wave barrier
	s_waitcnt lgkmcnt(0)
	s_cbranch_scc0 .LBB1089_79
; %bb.53:
	v_add_u16_sdwa v14, v10, v10 dst_sel:DWORD dst_unused:UNUSED_PAD src0_sel:WORD_1 src1_sel:DWORD
	v_add_u16_e32 v14, v14, v11
	v_add_u16_sdwa v14, v14, v11 dst_sel:DWORD dst_unused:UNUSED_PAD src0_sel:DWORD src1_sel:WORD_1
	v_add_u16_e32 v14, v14, v12
	v_add_u16_sdwa v14, v14, v12 dst_sel:DWORD dst_unused:UNUSED_PAD src0_sel:DWORD src1_sel:WORD_1
	;; [unrolled: 2-line block ×10, first 2 shown]
	v_add_u16_e32 v14, v14, v5
	v_mbcnt_hi_u32_b32 v15, -1, v22
	v_add_u16_sdwa v14, v14, v5 dst_sel:DWORD dst_unused:UNUSED_PAD src0_sel:DWORD src1_sel:WORD_1
	v_and_b32_e32 v16, 15, v15
	v_cmp_ne_u32_e64 s[0:1], 0, v16
	v_mov_b32_dpp v17, v14 row_shr:1 row_mask:0xf bank_mask:0xf
	v_cndmask_b32_e64 v17, 0, v17, s[0:1]
	v_add_u16_e32 v14, v17, v14
	v_cmp_lt_u32_e64 s[0:1], 1, v16
	s_nop 0
	v_mov_b32_dpp v17, v14 row_shr:2 row_mask:0xf bank_mask:0xf
	v_cndmask_b32_e64 v17, 0, v17, s[0:1]
	v_add_u16_e32 v14, v14, v17
	v_cmp_lt_u32_e64 s[0:1], 3, v16
	s_nop 0
	v_mov_b32_dpp v17, v14 row_shr:4 row_mask:0xf bank_mask:0xf
	v_cndmask_b32_e64 v17, 0, v17, s[0:1]
	v_add_u16_e32 v14, v14, v17
	v_cmp_lt_u32_e64 s[0:1], 7, v16
	s_nop 0
	v_mov_b32_dpp v17, v14 row_shr:8 row_mask:0xf bank_mask:0xf
	v_cndmask_b32_e64 v16, 0, v17, s[0:1]
	v_add_u16_e32 v14, v14, v16
	v_and_b32_e32 v17, 16, v15
	v_cmp_ne_u32_e64 s[0:1], 0, v17
	v_mov_b32_dpp v16, v14 row_bcast:15 row_mask:0xf bank_mask:0xf
	v_cndmask_b32_e64 v16, 0, v16, s[0:1]
	v_add_u16_e32 v14, v14, v16
	v_cmp_lt_u32_e64 s[0:1], 31, v15
	s_nop 0
	v_mov_b32_dpp v16, v14 row_bcast:31 row_mask:0xf bank_mask:0xf
	v_cndmask_b32_e64 v16, 0, v16, s[0:1]
	v_add_u16_e32 v14, v14, v16
	s_and_saveexec_b64 s[0:1], vcc
	s_cbranch_execz .LBB1089_55
; %bb.54:
	v_mov_b32_e32 v16, 0
	ds_write_b16 v16, v14
.LBB1089_55:
	s_or_b64 exec, exec, s[0:1]
	v_add_u32_e32 v16, -1, v15
	v_and_b32_e32 v17, 64, v15
	v_cmp_lt_i32_e32 vcc, v16, v17
	v_cndmask_b32_e32 v16, v16, v15, vcc
	v_lshlrev_b32_e32 v16, 2, v16
	ds_bpermute_b32 v23, v16, v14
	v_cmp_gt_u32_e32 vcc, 64, v0
	s_waitcnt lgkmcnt(0)
	; wave barrier
	s_waitcnt lgkmcnt(0)
	s_and_saveexec_b64 s[10:11], vcc
	s_cbranch_execz .LBB1089_78
; %bb.56:
	v_mov_b32_e32 v19, 0
	ds_read_u16 v24, v19
	s_mov_b32 s9, 0
	v_cmp_eq_u32_e64 s[0:1], 0, v15
	s_and_saveexec_b64 s[2:3], s[0:1]
	s_cbranch_execz .LBB1089_58
; %bb.57:
	s_add_i32 s8, s6, 64
	s_lshl_b64 s[8:9], s[8:9], 2
	s_add_u32 s8, s20, s8
	s_waitcnt lgkmcnt(0)
	v_or_b32_e32 v14, 0x10000, v24
	s_addc_u32 s9, s21, s9
	global_store_dword v19, v14, s[8:9]
.LBB1089_58:
	s_or_b64 exec, exec, s[2:3]
	v_xad_u32 v14, v15, -1, s6
	v_add_u32_e32 v18, 64, v14
	v_lshlrev_b64 v[16:17], 2, v[18:19]
	v_mov_b32_e32 v18, s21
	v_add_co_u32_e32 v16, vcc, s20, v16
	v_addc_co_u32_e32 v17, vcc, v18, v17, vcc
	global_load_dword v18, v[16:17], off glc
	s_waitcnt vmcnt(0)
	v_lshrrev_b32_e32 v28, 16, v18
	v_cmp_eq_u16_sdwa s[8:9], v28, v19 src0_sel:BYTE_0 src1_sel:DWORD
	s_and_saveexec_b64 s[2:3], s[8:9]
	s_cbranch_execz .LBB1089_64
; %bb.59:
	s_mov_b32 s7, 1
	s_mov_b64 s[8:9], 0
	v_mov_b32_e32 v19, 0
.LBB1089_60:                            ; =>This Loop Header: Depth=1
                                        ;     Child Loop BB1089_61 Depth 2
	s_max_u32 s24, s7, 1
.LBB1089_61:                            ;   Parent Loop BB1089_60 Depth=1
                                        ; =>  This Inner Loop Header: Depth=2
	s_add_i32 s24, s24, -1
	s_cmp_eq_u32 s24, 0
	s_sleep 1
	s_cbranch_scc0 .LBB1089_61
; %bb.62:                               ;   in Loop: Header=BB1089_60 Depth=1
	global_load_dword v18, v[16:17], off glc
	s_cmp_lt_u32 s7, 32
	s_cselect_b64 s[24:25], -1, 0
	s_cmp_lg_u64 s[24:25], 0
	s_addc_u32 s7, s7, 0
	s_waitcnt vmcnt(0)
	v_lshrrev_b32_e32 v28, 16, v18
	v_cmp_ne_u16_sdwa s[24:25], v28, v19 src0_sel:BYTE_0 src1_sel:DWORD
	s_or_b64 s[8:9], s[24:25], s[8:9]
	s_andn2_b64 exec, exec, s[8:9]
	s_cbranch_execnz .LBB1089_60
; %bb.63:
	s_or_b64 exec, exec, s[8:9]
.LBB1089_64:
	s_or_b64 exec, exec, s[2:3]
	v_and_b32_e32 v26, 63, v15
	v_cmp_ne_u32_e32 vcc, 63, v26
	v_mov_b32_e32 v25, 2
	v_addc_co_u32_e32 v27, vcc, 0, v15, vcc
	v_cmp_eq_u16_sdwa s[2:3], v28, v25 src0_sel:BYTE_0 src1_sel:DWORD
	v_lshlrev_b64 v[16:17], v15, -1
	v_and_b32_e32 v30, 0xffff, v18
	v_lshlrev_b32_e32 v27, 2, v27
	v_and_b32_e32 v19, s3, v17
	ds_bpermute_b32 v31, v27, v30
	v_or_b32_e32 v19, 0x80000000, v19
	v_and_b32_e32 v29, s2, v16
	v_ffbl_b32_e32 v19, v19
	v_add_u32_e32 v19, 32, v19
	v_ffbl_b32_e32 v29, v29
	v_cmp_gt_u32_e64 s[2:3], 62, v26
	v_min_u32_e32 v19, v29, v19
	v_cndmask_b32_e64 v29, 0, 1, s[2:3]
	s_waitcnt lgkmcnt(0)
	v_add_u16_e32 v31, v31, v18
	v_cmp_lt_u32_e32 vcc, v26, v19
	v_lshlrev_b32_e32 v29, 1, v29
	v_cndmask_b32_e32 v32, v30, v31, vcc
	v_add_lshl_u32 v29, v29, v15, 2
	ds_bpermute_b32 v33, v29, v32
	v_cmp_gt_u32_e64 s[8:9], 60, v26
	v_cndmask_b32_e32 v34, v18, v31, vcc
	v_add_u32_e32 v30, 2, v26
	v_cndmask_b32_e64 v31, 0, 1, s[8:9]
	s_waitcnt lgkmcnt(0)
	v_add_u16_e32 v33, v34, v33
	v_cmp_gt_u32_e64 s[2:3], v30, v19
	v_lshlrev_b32_e32 v31, 2, v31
	v_cndmask_b32_e64 v35, v33, v32, s[2:3]
	v_add_lshl_u32 v31, v31, v15, 2
	ds_bpermute_b32 v36, v31, v35
	v_cmp_gt_u32_e64 s[8:9], 56, v26
	v_cndmask_b32_e64 v34, v33, v34, s[2:3]
	v_add_u32_e32 v32, 4, v26
	v_cndmask_b32_e64 v33, 0, 1, s[8:9]
	s_waitcnt lgkmcnt(0)
	v_add_u16_e32 v36, v34, v36
	v_cmp_gt_u32_e64 s[2:3], v32, v19
	v_lshlrev_b32_e32 v33, 3, v33
	v_cndmask_b32_e64 v35, v36, v35, s[2:3]
	v_add_lshl_u32 v33, v33, v15, 2
	ds_bpermute_b32 v37, v33, v35
	v_cndmask_b32_e64 v36, v36, v34, s[2:3]
	v_add_u32_e32 v34, 8, v26
	v_cmp_gt_u32_e64 s[2:3], v34, v19
	v_cmp_gt_u32_e64 s[8:9], 48, v26
	s_waitcnt lgkmcnt(0)
	v_add_u16_e32 v37, v36, v37
	v_cndmask_b32_e64 v38, v37, v35, s[2:3]
	v_cndmask_b32_e64 v35, 0, 1, s[8:9]
	v_lshlrev_b32_e32 v35, 4, v35
	v_add_lshl_u32 v35, v35, v15, 2
	ds_bpermute_b32 v39, v35, v38
	v_cndmask_b32_e64 v37, v37, v36, s[2:3]
	v_add_u32_e32 v36, 16, v26
	v_cmp_gt_u32_e64 s[2:3], v36, v19
	v_cmp_gt_u32_e64 s[8:9], 32, v26
	s_waitcnt lgkmcnt(0)
	v_add_u16_e32 v40, v37, v39
	v_cndmask_b32_e64 v39, v40, v38, s[2:3]
	v_cndmask_b32_e64 v38, 0, 1, s[8:9]
	v_lshlrev_b32_e32 v38, 5, v38
	v_add_lshl_u32 v38, v38, v15, 2
	ds_bpermute_b32 v15, v38, v39
	v_add_u32_e32 v39, 32, v26
	v_cndmask_b32_e64 v37, v40, v37, s[2:3]
	v_cmp_le_u32_e64 s[2:3], v39, v19
	s_waitcnt lgkmcnt(0)
	v_cndmask_b32_e64 v15, 0, v15, s[2:3]
	v_add_u16_e32 v15, v37, v15
	v_cndmask_b32_e32 v18, v18, v15, vcc
	v_mov_b32_e32 v15, 0
	s_branch .LBB1089_66
.LBB1089_65:                            ;   in Loop: Header=BB1089_66 Depth=1
	s_or_b64 exec, exec, s[2:3]
	v_cmp_eq_u16_sdwa s[2:3], v28, v25 src0_sel:BYTE_0 src1_sel:DWORD
	v_and_b32_e32 v41, 0xffff, v40
	v_and_b32_e32 v18, s3, v17
	ds_bpermute_b32 v42, v27, v41
	v_or_b32_e32 v18, 0x80000000, v18
	v_and_b32_e32 v19, s2, v16
	v_ffbl_b32_e32 v18, v18
	v_add_u32_e32 v18, 32, v18
	v_ffbl_b32_e32 v19, v19
	v_min_u32_e32 v18, v19, v18
	s_waitcnt lgkmcnt(0)
	v_add_u16_e32 v19, v42, v40
	v_cmp_lt_u32_e32 vcc, v26, v18
	v_cndmask_b32_e32 v41, v41, v19, vcc
	ds_bpermute_b32 v42, v29, v41
	v_cndmask_b32_e32 v19, v40, v19, vcc
	v_cmp_gt_u32_e64 s[2:3], v30, v18
	v_subrev_u32_e32 v14, 64, v14
	s_waitcnt lgkmcnt(0)
	v_add_u16_e32 v42, v19, v42
	v_cndmask_b32_e64 v41, v42, v41, s[2:3]
	ds_bpermute_b32 v43, v31, v41
	v_cndmask_b32_e64 v19, v42, v19, s[2:3]
	v_cmp_gt_u32_e64 s[2:3], v32, v18
	s_waitcnt lgkmcnt(0)
	v_add_u16_e32 v42, v19, v43
	v_cndmask_b32_e64 v41, v42, v41, s[2:3]
	ds_bpermute_b32 v43, v33, v41
	v_cndmask_b32_e64 v19, v42, v19, s[2:3]
	v_cmp_gt_u32_e64 s[2:3], v34, v18
	;; [unrolled: 6-line block ×3, first 2 shown]
	s_waitcnt lgkmcnt(0)
	v_add_u16_e32 v42, v19, v43
	v_cndmask_b32_e64 v41, v42, v41, s[2:3]
	ds_bpermute_b32 v41, v38, v41
	v_cndmask_b32_e64 v19, v42, v19, s[2:3]
	v_cmp_le_u32_e64 s[2:3], v39, v18
	s_waitcnt lgkmcnt(0)
	v_cndmask_b32_e64 v18, 0, v41, s[2:3]
	v_add_u16_e32 v18, v19, v18
	v_cndmask_b32_e32 v18, v40, v18, vcc
	v_add_u16_e32 v18, v18, v37
.LBB1089_66:                            ; =>This Loop Header: Depth=1
                                        ;     Child Loop BB1089_69 Depth 2
                                        ;       Child Loop BB1089_70 Depth 3
	v_cmp_ne_u16_sdwa s[2:3], v28, v25 src0_sel:BYTE_0 src1_sel:DWORD
	v_cndmask_b32_e64 v19, 0, 1, s[2:3]
	;;#ASMSTART
	;;#ASMEND
	v_cmp_ne_u32_e32 vcc, 0, v19
	s_cmp_lg_u64 vcc, exec
	v_mov_b32_e32 v37, v18
	s_cbranch_scc1 .LBB1089_73
; %bb.67:                               ;   in Loop: Header=BB1089_66 Depth=1
	v_lshlrev_b64 v[18:19], 2, v[14:15]
	v_mov_b32_e32 v28, s21
	v_add_co_u32_e32 v18, vcc, s20, v18
	v_addc_co_u32_e32 v19, vcc, v28, v19, vcc
	global_load_dword v40, v[18:19], off glc
	s_waitcnt vmcnt(0)
	v_lshrrev_b32_e32 v28, 16, v40
	v_cmp_eq_u16_sdwa s[8:9], v28, v15 src0_sel:BYTE_0 src1_sel:DWORD
	s_and_saveexec_b64 s[2:3], s[8:9]
	s_cbranch_execz .LBB1089_65
; %bb.68:                               ;   in Loop: Header=BB1089_66 Depth=1
	s_mov_b32 s7, 1
	s_mov_b64 s[8:9], 0
.LBB1089_69:                            ;   Parent Loop BB1089_66 Depth=1
                                        ; =>  This Loop Header: Depth=2
                                        ;       Child Loop BB1089_70 Depth 3
	s_max_u32 s24, s7, 1
.LBB1089_70:                            ;   Parent Loop BB1089_66 Depth=1
                                        ;     Parent Loop BB1089_69 Depth=2
                                        ; =>    This Inner Loop Header: Depth=3
	s_add_i32 s24, s24, -1
	s_cmp_eq_u32 s24, 0
	s_sleep 1
	s_cbranch_scc0 .LBB1089_70
; %bb.71:                               ;   in Loop: Header=BB1089_69 Depth=2
	global_load_dword v40, v[18:19], off glc
	s_cmp_lt_u32 s7, 32
	s_cselect_b64 s[24:25], -1, 0
	s_cmp_lg_u64 s[24:25], 0
	s_addc_u32 s7, s7, 0
	s_waitcnt vmcnt(0)
	v_lshrrev_b32_e32 v28, 16, v40
	v_cmp_ne_u16_sdwa s[24:25], v28, v15 src0_sel:BYTE_0 src1_sel:DWORD
	s_or_b64 s[8:9], s[24:25], s[8:9]
	s_andn2_b64 exec, exec, s[8:9]
	s_cbranch_execnz .LBB1089_69
; %bb.72:                               ;   in Loop: Header=BB1089_66 Depth=1
	s_or_b64 exec, exec, s[8:9]
	s_branch .LBB1089_65
.LBB1089_73:                            ;   in Loop: Header=BB1089_66 Depth=1
                                        ; implicit-def: $vgpr18
                                        ; implicit-def: $vgpr28
	s_cbranch_execz .LBB1089_66
; %bb.74:
	s_and_saveexec_b64 s[2:3], s[0:1]
	s_cbranch_execz .LBB1089_76
; %bb.75:
	s_add_i32 s0, s6, 64
	s_mov_b32 s1, 0
	s_lshl_b64 s[0:1], s[0:1], 2
	v_add_u16_e32 v14, v37, v24
	s_add_u32 s0, s20, s0
	v_or_b32_e32 v14, 0x20000, v14
	s_addc_u32 s1, s21, s1
	v_mov_b32_e32 v15, 0
	global_store_dword v15, v14, s[0:1]
.LBB1089_76:
	s_or_b64 exec, exec, s[2:3]
	v_cmp_eq_u32_e32 vcc, 0, v0
	s_and_b64 exec, exec, vcc
	s_cbranch_execz .LBB1089_78
; %bb.77:
	v_mov_b32_e32 v14, 0
	ds_write_b16 v14, v37
.LBB1089_78:
	s_or_b64 exec, exec, s[10:11]
	v_mov_b32_e32 v14, 0
	s_waitcnt lgkmcnt(0)
	; wave barrier
	s_waitcnt lgkmcnt(0)
	ds_read_u16 v14, v14
	v_cmp_ne_u32_e32 vcc, 0, v0
	v_cndmask_b32_e32 v15, 0, v23, vcc
	v_add_u16_e32 v15, v15, v10
	s_waitcnt lgkmcnt(0)
	v_add_u16_e32 v14, v15, v14
	v_add_u16_sdwa v15, v14, v10 dst_sel:DWORD dst_unused:UNUSED_PAD src0_sel:DWORD src1_sel:WORD_1
	v_add_u16_e32 v16, v15, v11
	v_add_u16_sdwa v17, v16, v11 dst_sel:DWORD dst_unused:UNUSED_PAD src0_sel:DWORD src1_sel:WORD_1
	v_add_u16_e32 v18, v17, v12
	v_add_u16_sdwa v19, v18, v12 dst_sel:DWORD dst_unused:UNUSED_PAD src0_sel:DWORD src1_sel:WORD_1
	v_add_u16_e32 v24, v19, v13
	v_add_u16_sdwa v26, v24, v13 dst_sel:DWORD dst_unused:UNUSED_PAD src0_sel:DWORD src1_sel:WORD_1
	v_add_u16_e32 v23, v26, v6
	v_add_u16_sdwa v25, v23, v6 dst_sel:DWORD dst_unused:UNUSED_PAD src0_sel:DWORD src1_sel:WORD_1
	v_add_u16_e32 v27, v25, v7
	v_add_u16_sdwa v28, v27, v7 dst_sel:DWORD dst_unused:UNUSED_PAD src0_sel:DWORD src1_sel:WORD_1
	v_add_u16_e32 v29, v28, v8
	v_add_u16_sdwa v30, v29, v8 dst_sel:DWORD dst_unused:UNUSED_PAD src0_sel:DWORD src1_sel:WORD_1
	v_add_u16_e32 v32, v30, v9
	v_add_u16_sdwa v34, v32, v9 dst_sel:DWORD dst_unused:UNUSED_PAD src0_sel:DWORD src1_sel:WORD_1
	v_add_u16_e32 v31, v34, v2
	v_add_u16_sdwa v33, v31, v2 dst_sel:DWORD dst_unused:UNUSED_PAD src0_sel:DWORD src1_sel:WORD_1
	v_add_u16_e32 v35, v33, v3
	v_add_u16_sdwa v36, v35, v3 dst_sel:DWORD dst_unused:UNUSED_PAD src0_sel:DWORD src1_sel:WORD_1
	v_add_u16_e32 v37, v36, v4
	v_add_u16_sdwa v38, v37, v4 dst_sel:DWORD dst_unused:UNUSED_PAD src0_sel:DWORD src1_sel:WORD_1
	v_add_u16_e32 v39, v38, v5
	v_add_u16_sdwa v40, v39, v5 dst_sel:DWORD dst_unused:UNUSED_PAD src0_sel:DWORD src1_sel:WORD_1
	s_load_dwordx8 s[4:11], s[4:5], 0x38
	s_branch .LBB1089_89
.LBB1089_79:
                                        ; implicit-def: $vgpr14
                                        ; implicit-def: $vgpr15
                                        ; implicit-def: $vgpr16
                                        ; implicit-def: $vgpr17
                                        ; implicit-def: $vgpr18
                                        ; implicit-def: $vgpr19
                                        ; implicit-def: $vgpr24
                                        ; implicit-def: $vgpr26
                                        ; implicit-def: $vgpr23
                                        ; implicit-def: $vgpr25
                                        ; implicit-def: $vgpr27
                                        ; implicit-def: $vgpr28
                                        ; implicit-def: $vgpr29
                                        ; implicit-def: $vgpr30
                                        ; implicit-def: $vgpr32
                                        ; implicit-def: $vgpr34
                                        ; implicit-def: $vgpr31
                                        ; implicit-def: $vgpr33
                                        ; implicit-def: $vgpr35
                                        ; implicit-def: $vgpr36
                                        ; implicit-def: $vgpr37
                                        ; implicit-def: $vgpr38
                                        ; implicit-def: $vgpr39
                                        ; implicit-def: $vgpr40
	s_load_dwordx8 s[4:11], s[4:5], 0x38
	s_cbranch_execz .LBB1089_89
; %bb.80:
	s_waitcnt lgkmcnt(0)
	s_cmp_lg_u64 s[8:9], 0
	s_cselect_b64 s[2:3], -1, 0
	v_cmp_eq_u32_e32 vcc, 0, v0
	v_cmp_ne_u32_e64 s[0:1], 0, v0
	s_and_b64 s[8:9], vcc, s[2:3]
	v_mov_b32_e32 v14, v10
	s_and_saveexec_b64 s[2:3], s[8:9]
	s_cbranch_execz .LBB1089_82
; %bb.81:
	v_mov_b32_e32 v14, 0
	global_load_ushort v14, v14, s[4:5]
	s_waitcnt vmcnt(0)
	v_add_u16_e32 v14, v14, v10
.LBB1089_82:
	s_or_b64 exec, exec, s[2:3]
	v_add_u16_sdwa v15, v14, v10 dst_sel:DWORD dst_unused:UNUSED_PAD src0_sel:DWORD src1_sel:WORD_1
	v_add_u16_e32 v16, v15, v11
	v_add_u16_sdwa v17, v16, v11 dst_sel:DWORD dst_unused:UNUSED_PAD src0_sel:DWORD src1_sel:WORD_1
	v_add_u16_e32 v18, v17, v12
	;; [unrolled: 2-line block ×11, first 2 shown]
	v_mbcnt_hi_u32_b32 v22, -1, v22
	v_add_u16_sdwa v40, v39, v5 dst_sel:DWORD dst_unused:UNUSED_PAD src0_sel:DWORD src1_sel:WORD_1
	v_and_b32_e32 v41, 15, v22
	v_cmp_ne_u32_e32 vcc, 0, v41
	v_mov_b32_dpp v42, v40 row_shr:1 row_mask:0xf bank_mask:0xf
	v_cndmask_b32_e32 v42, 0, v42, vcc
	v_add_u16_e32 v42, v40, v42
	v_cmp_lt_u32_e32 vcc, 1, v41
	s_nop 0
	v_mov_b32_dpp v43, v42 row_shr:2 row_mask:0xf bank_mask:0xf
	v_cndmask_b32_e32 v43, 0, v43, vcc
	v_add_u16_e32 v42, v42, v43
	v_cmp_lt_u32_e32 vcc, 3, v41
	s_nop 0
	;; [unrolled: 5-line block ×3, first 2 shown]
	v_mov_b32_dpp v43, v42 row_shr:8 row_mask:0xf bank_mask:0xf
	v_cndmask_b32_e32 v41, 0, v43, vcc
	v_add_u16_e32 v41, v42, v41
	v_and_b32_e32 v43, 16, v22
	v_cmp_ne_u32_e32 vcc, 0, v43
	v_mov_b32_dpp v42, v41 row_bcast:15 row_mask:0xf bank_mask:0xf
	v_cndmask_b32_e32 v42, 0, v42, vcc
	v_add_u16_e32 v41, v41, v42
	v_cmp_lt_u32_e32 vcc, 31, v22
	s_nop 0
	v_mov_b32_dpp v42, v41 row_bcast:31 row_mask:0xf bank_mask:0xf
	v_cndmask_b32_e32 v42, 0, v42, vcc
	v_add_u16_e32 v41, v41, v42
	v_cmp_eq_u32_e32 vcc, 63, v0
	s_and_saveexec_b64 s[2:3], vcc
	s_cbranch_execz .LBB1089_84
; %bb.83:
	v_mov_b32_e32 v42, 0
	ds_write_b16 v42, v41
.LBB1089_84:
	s_or_b64 exec, exec, s[2:3]
	v_add_u32_e32 v42, -1, v22
	v_and_b32_e32 v43, 64, v22
	v_cmp_lt_i32_e64 s[2:3], v42, v43
	v_cndmask_b32_e64 v22, v42, v22, s[2:3]
	v_lshlrev_b32_e32 v22, 2, v22
	ds_bpermute_b32 v22, v22, v41
	s_waitcnt lgkmcnt(0)
	; wave barrier
	s_waitcnt lgkmcnt(0)
	s_and_saveexec_b64 s[2:3], s[0:1]
	s_cbranch_execz .LBB1089_86
; %bb.85:
	v_add_u16_e32 v14, v14, v22
	v_add_u16_sdwa v15, v14, v10 dst_sel:DWORD dst_unused:UNUSED_PAD src0_sel:DWORD src1_sel:WORD_1
	v_add_u16_e32 v16, v15, v11
	v_add_u16_sdwa v17, v16, v11 dst_sel:DWORD dst_unused:UNUSED_PAD src0_sel:DWORD src1_sel:WORD_1
	;; [unrolled: 2-line block ×12, first 2 shown]
	;;#ASMSTART
	;;#ASMEND
.LBB1089_86:
	s_or_b64 exec, exec, s[2:3]
	s_and_saveexec_b64 s[0:1], vcc
	s_cbranch_execz .LBB1089_88
; %bb.87:
	s_mov_b32 s2, 0x20000
	v_mov_b32_e32 v2, 0
	v_or_b32_sdwa v3, v40, s2 dst_sel:DWORD dst_unused:UNUSED_PAD src0_sel:WORD_0 src1_sel:DWORD
	global_store_dword v2, v3, s[20:21] offset:256
.LBB1089_88:
	s_or_b64 exec, exec, s[0:1]
.LBB1089_89:
	s_add_u32 s0, s12, s16
	s_addc_u32 s1, s13, s17
	s_add_u32 s2, s0, s18
	s_addc_u32 s3, s1, s19
	s_mov_b64 s[0:1], -1
	s_and_b64 vcc, exec, s[14:15]
	s_waitcnt lgkmcnt(0)
	; wave barrier
	s_waitcnt lgkmcnt(0)
	s_cbranch_vccz .LBB1089_91
; %bb.90:
	s_mov_b32 s0, 0x5040100
	v_perm_b32 v5, v26, v24, s0
	v_perm_b32 v4, v19, v18, s0
	;; [unrolled: 1-line block ×4, first 2 shown]
	ds_write_b128 v1, v[2:5]
	v_perm_b32 v5, v34, v32, s0
	v_perm_b32 v4, v30, v29, s0
	;; [unrolled: 1-line block ×4, first 2 shown]
	ds_write_b128 v1, v[2:5] offset:16
	v_perm_b32 v5, v40, v39, s0
	v_perm_b32 v4, v38, v37, s0
	;; [unrolled: 1-line block ×4, first 2 shown]
	ds_write_b128 v1, v[2:5] offset:32
	s_waitcnt lgkmcnt(0)
	; wave barrier
	s_waitcnt lgkmcnt(0)
	ds_read_u16 v4, v20
	ds_read_u16 v5, v20 offset:128
	ds_read_u16 v6, v20 offset:256
	;; [unrolled: 1-line block ×23, first 2 shown]
	v_mov_b32_e32 v3, s3
	v_add_co_u32_e32 v2, vcc, s2, v20
	v_addc_co_u32_e32 v3, vcc, 0, v3, vcc
	s_waitcnt lgkmcnt(14)
	flat_store_short v[2:3], v4
	flat_store_short v[2:3], v5 offset:128
	flat_store_short v[2:3], v6 offset:256
	;; [unrolled: 1-line block ×9, first 2 shown]
	s_waitcnt lgkmcnt(0)
	flat_store_short v[2:3], v22 offset:1280
	flat_store_short v[2:3], v41 offset:1408
	;; [unrolled: 1-line block ×14, first 2 shown]
	s_mov_b64 s[0:1], 0
.LBB1089_91:
	s_andn2_b64 vcc, exec, s[0:1]
	s_cbranch_vccnz .LBB1089_148
; %bb.92:
	s_mov_b32 s0, 0x5040100
	v_perm_b32 v5, v26, v24, s0
	v_perm_b32 v4, v19, v18, s0
	;; [unrolled: 1-line block ×4, first 2 shown]
	ds_write_b128 v1, v[2:5]
	v_perm_b32 v5, v34, v32, s0
	v_perm_b32 v4, v30, v29, s0
	;; [unrolled: 1-line block ×4, first 2 shown]
	ds_write_b128 v1, v[2:5] offset:16
	v_perm_b32 v5, v40, v39, s0
	v_perm_b32 v4, v38, v37, s0
	;; [unrolled: 1-line block ×4, first 2 shown]
	ds_write_b128 v1, v[2:5] offset:32
	s_waitcnt lgkmcnt(0)
	; wave barrier
	s_waitcnt lgkmcnt(0)
	ds_read_u16 v5, v20
	ds_read_u16 v4, v20 offset:128
	ds_read_u16 v7, v20 offset:256
	;; [unrolled: 1-line block ×23, first 2 shown]
	v_mov_b32_e32 v3, s3
	v_add_co_u32_e32 v2, vcc, s2, v20
	v_addc_co_u32_e32 v3, vcc, 0, v3, vcc
	v_mov_b32_e32 v1, 0
	v_cmp_gt_u32_e32 vcc, s22, v0
	s_and_saveexec_b64 s[0:1], vcc
	s_cbranch_execz .LBB1089_94
; %bb.93:
	s_waitcnt lgkmcnt(0)
	flat_store_short v[2:3], v5
.LBB1089_94:
	s_or_b64 exec, exec, s[0:1]
	v_or_b32_e32 v20, 64, v0
	v_cmp_gt_u32_e32 vcc, s22, v20
	s_and_saveexec_b64 s[0:1], vcc
	s_cbranch_execz .LBB1089_96
; %bb.95:
	s_waitcnt lgkmcnt(0)
	flat_store_short v[2:3], v4 offset:128
.LBB1089_96:
	s_or_b64 exec, exec, s[0:1]
	v_or_b32_e32 v20, 0x80, v0
	v_cmp_gt_u32_e32 vcc, s22, v20
	s_and_saveexec_b64 s[0:1], vcc
	s_cbranch_execz .LBB1089_98
; %bb.97:
	s_waitcnt lgkmcnt(0)
	flat_store_short v[2:3], v7 offset:256
.LBB1089_98:
	;; [unrolled: 9-line block ×23, first 2 shown]
	s_or_b64 exec, exec, s[0:1]
	v_cmp_lt_u64_e64 s[0:1], s[10:11], 2
	s_and_b64 vcc, exec, s[0:1]
	s_cbranch_vccnz .LBB1089_148
; %bb.141:
	s_add_u32 s0, s22, -1
	s_addc_u32 s1, s23, -1
	s_add_u32 s2, 0, 0xaaaa0000
	s_addc_u32 s3, 0, 42
	s_add_i32 s3, s3, 0xaaaaa80
	s_mul_hi_u32 s9, s2, 0xffffffe8
	s_sub_i32 s9, s9, s2
	s_mul_i32 s10, s3, 0xffffffe8
	s_mul_i32 s4, s2, 0xffffffe8
	s_add_i32 s9, s9, s10
	s_mul_hi_u32 s5, s3, s4
	s_mul_i32 s8, s3, s4
	s_mul_i32 s11, s2, s9
	s_mul_hi_u32 s4, s2, s4
	s_mul_hi_u32 s10, s2, s9
	s_add_u32 s4, s4, s11
	s_addc_u32 s10, 0, s10
	s_add_u32 s4, s4, s8
	s_mul_hi_u32 s11, s3, s9
	s_addc_u32 s4, s10, s5
	s_addc_u32 s5, s11, 0
	s_mul_i32 s8, s3, s9
	s_add_u32 s4, s4, s8
	v_mov_b32_e32 v2, s4
	s_addc_u32 s5, 0, s5
	v_add_co_u32_e32 v2, vcc, s2, v2
	s_cmp_lg_u64 vcc, 0
	s_addc_u32 s2, s3, s5
	v_readfirstlane_b32 s5, v2
	s_mul_i32 s4, s0, s2
	s_mul_hi_u32 s8, s0, s5
	s_mul_hi_u32 s3, s0, s2
	s_add_u32 s4, s8, s4
	s_addc_u32 s3, 0, s3
	s_mul_hi_u32 s9, s1, s5
	s_mul_i32 s5, s1, s5
	s_add_u32 s4, s4, s5
	s_mul_hi_u32 s8, s1, s2
	s_addc_u32 s3, s3, s9
	s_addc_u32 s4, s8, 0
	s_mul_i32 s2, s1, s2
	s_add_u32 s2, s3, s2
	s_addc_u32 s3, 0, s4
	s_add_u32 s4, s2, 1
	s_addc_u32 s5, s3, 0
	s_add_u32 s8, s2, 2
	s_mul_i32 s10, s3, 24
	s_mul_hi_u32 s11, s2, 24
	s_addc_u32 s9, s3, 0
	s_add_i32 s11, s11, s10
	s_mul_i32 s10, s2, 24
	v_mov_b32_e32 v2, s10
	v_sub_co_u32_e32 v2, vcc, s0, v2
	s_cmp_lg_u64 vcc, 0
	s_subb_u32 s10, s1, s11
	v_subrev_co_u32_e32 v3, vcc, 24, v2
	s_cmp_lg_u64 vcc, 0
	s_subb_u32 s11, s10, 0
	v_readfirstlane_b32 s12, v3
	s_cmp_gt_u32 s12, 23
	s_cselect_b32 s12, -1, 0
	s_cmp_eq_u32 s11, 0
	s_cselect_b32 s11, s12, -1
	s_cmp_lg_u32 s11, 0
	s_cselect_b32 s4, s8, s4
	v_readfirstlane_b32 s8, v2
	s_cselect_b32 s5, s9, s5
	s_cmp_gt_u32 s8, 23
	s_cselect_b32 s8, -1, 0
	s_cmp_eq_u32 s10, 0
	s_cselect_b32 s8, s8, -1
	s_cmp_lg_u32 s8, 0
	s_cselect_b32 s3, s5, s3
	s_cselect_b32 s2, s4, s2
	v_cmp_eq_u64_e32 vcc, s[2:3], v[0:1]
	s_and_saveexec_b64 s[2:3], vcc
	s_cbranch_execz .LBB1089_148
; %bb.142:
	v_mul_hi_u32_u24_e32 v1, 24, v0
	v_mov_b32_e32 v2, s1
	v_sub_co_u32_e32 v0, vcc, s0, v21
	v_subb_co_u32_e32 v1, vcc, v2, v1, vcc
	v_cmp_lt_i64_e32 vcc, 11, v[0:1]
	s_mov_b64 s[0:1], 0
	s_mov_b64 s[10:11], 0
	;; [unrolled: 1-line block ×4, first 2 shown]
	s_and_saveexec_b64 s[2:3], vcc
	s_xor_b64 s[2:3], exec, s[2:3]
	s_cbranch_execnz .LBB1089_149
; %bb.143:
	s_andn2_saveexec_b64 s[2:3], s[2:3]
	s_cbranch_execnz .LBB1089_194
.LBB1089_144:
	s_or_b64 exec, exec, s[2:3]
	s_and_saveexec_b64 s[2:3], s[10:11]
	s_cbranch_execnz .LBB1089_211
.LBB1089_145:
	s_or_b64 exec, exec, s[2:3]
	s_and_saveexec_b64 s[2:3], s[8:9]
	s_cbranch_execnz .LBB1089_212
.LBB1089_146:
	s_or_b64 exec, exec, s[2:3]
	s_and_saveexec_b64 s[2:3], s[4:5]
	s_xor_b64 s[2:3], exec, s[2:3]
	s_cbranch_execnz .LBB1089_213
.LBB1089_147:
	s_or_b64 exec, exec, s[2:3]
	s_and_b64 exec, exec, s[0:1]
	s_cbranch_execnz .LBB1089_214
.LBB1089_148:
	s_endpgm
.LBB1089_149:
	v_cmp_lt_i64_e32 vcc, 17, v[0:1]
	s_and_saveexec_b64 s[12:13], vcc
	s_xor_b64 s[12:13], exec, s[12:13]
	s_cbranch_execz .LBB1089_171
; %bb.150:
	v_cmp_lt_i64_e32 vcc, 20, v[0:1]
                                        ; implicit-def: $vgpr10
	s_and_saveexec_b64 s[14:15], vcc
	s_xor_b64 s[14:15], exec, s[14:15]
	s_cbranch_execz .LBB1089_160
; %bb.151:
	v_cmp_lt_i64_e32 vcc, 21, v[0:1]
	s_mov_b64 s[16:17], 0
                                        ; implicit-def: $vgpr10
	s_and_saveexec_b64 s[4:5], vcc
	s_xor_b64 s[4:5], exec, s[4:5]
	s_cbranch_execz .LBB1089_157
; %bb.152:
	v_cmp_lt_i64_e32 vcc, 22, v[0:1]
	s_and_saveexec_b64 s[16:17], vcc
	s_xor_b64 s[16:17], exec, s[16:17]
	s_cbranch_execz .LBB1089_154
; %bb.153:
	v_mov_b32_e32 v2, 0
	s_waitcnt lgkmcnt(0)
	global_store_short v2, v29, s[6:7]
                                        ; implicit-def: $vgpr28
.LBB1089_154:
	s_or_saveexec_b64 s[16:17], s[16:17]
	s_mov_b64 s[18:19], 0
	s_xor_b64 exec, exec, s[16:17]
; %bb.155:
	s_mov_b64 s[18:19], exec
; %bb.156:
	s_or_b64 exec, exec, s[16:17]
	s_and_b64 s[16:17], s[18:19], exec
	s_waitcnt lgkmcnt(0)
	v_mov_b32_e32 v10, v28
                                        ; implicit-def: $vgpr11
.LBB1089_157:
	s_andn2_saveexec_b64 s[4:5], s[4:5]
; %bb.158:
	s_mov_b64 s[8:9], exec
                                        ; implicit-def: $vgpr10
; %bb.159:
	s_or_b64 exec, exec, s[4:5]
	s_and_b64 s[4:5], s[16:17], exec
	s_and_b64 s[8:9], s[8:9], exec
                                        ; implicit-def: $vgpr26
                                        ; implicit-def: $vgpr12
                                        ; implicit-def: $vgpr23
.LBB1089_160:
	s_andn2_saveexec_b64 s[14:15], s[14:15]
	s_cbranch_execz .LBB1089_170
; %bb.161:
	v_cmp_lt_i64_e32 vcc, 18, v[0:1]
	s_mov_b64 s[16:17], 0
	s_and_saveexec_b64 s[10:11], vcc
	s_xor_b64 s[10:11], exec, s[10:11]
	s_cbranch_execz .LBB1089_167
; %bb.162:
	v_cmp_lt_i64_e32 vcc, 19, v[0:1]
	s_and_saveexec_b64 s[18:19], vcc
	s_xor_b64 s[18:19], exec, s[18:19]
; %bb.163:
	s_mov_b64 s[16:17], exec
                                        ; implicit-def: $vgpr23
; %bb.164:
	s_andn2_saveexec_b64 s[18:19], s[18:19]
	s_cbranch_execz .LBB1089_166
; %bb.165:
	v_mov_b32_e32 v2, 0
	s_waitcnt lgkmcnt(0)
	global_store_short v2, v23, s[6:7]
                                        ; implicit-def: $vgpr12
.LBB1089_166:
	s_or_b64 exec, exec, s[18:19]
	s_and_b64 s[16:17], s[16:17], exec
                                        ; implicit-def: $vgpr26
.LBB1089_167:
	s_andn2_saveexec_b64 s[10:11], s[10:11]
	s_cbranch_execz .LBB1089_169
; %bb.168:
	v_mov_b32_e32 v2, 0
	s_waitcnt lgkmcnt(0)
	global_store_short v2, v26, s[6:7]
                                        ; implicit-def: $vgpr12
.LBB1089_169:
	s_or_b64 exec, exec, s[10:11]
	s_and_b64 s[10:11], s[16:17], exec
                                        ; implicit-def: $vgpr10
                                        ; implicit-def: $vgpr11
.LBB1089_170:
	s_or_b64 exec, exec, s[14:15]
	s_and_b64 s[4:5], s[4:5], exec
	s_and_b64 s[8:9], s[8:9], exec
	;; [unrolled: 1-line block ×3, first 2 shown]
                                        ; implicit-def: $vgpr18
                                        ; implicit-def: $vgpr13
                                        ; implicit-def: $vgpr14
                                        ; implicit-def: $vgpr24
                                        ; implicit-def: $vgpr27
.LBB1089_171:
	s_andn2_saveexec_b64 s[12:13], s[12:13]
	s_cbranch_execz .LBB1089_193
; %bb.172:
	v_cmp_lt_i64_e32 vcc, 14, v[0:1]
	s_mov_b64 s[14:15], s[4:5]
	s_and_saveexec_b64 s[16:17], vcc
	s_xor_b64 s[16:17], exec, s[16:17]
	s_cbranch_execz .LBB1089_182
; %bb.173:
	v_cmp_lt_i64_e32 vcc, 15, v[0:1]
	s_and_saveexec_b64 s[14:15], vcc
	s_xor_b64 s[14:15], exec, s[14:15]
	s_cbranch_execz .LBB1089_179
; %bb.174:
	v_cmp_lt_i64_e32 vcc, 16, v[0:1]
	s_and_saveexec_b64 s[18:19], vcc
	s_xor_b64 s[18:19], exec, s[18:19]
	s_cbranch_execz .LBB1089_176
; %bb.175:
	v_mov_b32_e32 v2, 0
	s_waitcnt lgkmcnt(0)
	global_store_short v2, v27, s[6:7]
                                        ; implicit-def: $vgpr24
.LBB1089_176:
	s_andn2_saveexec_b64 s[18:19], s[18:19]
	s_cbranch_execz .LBB1089_178
; %bb.177:
	v_mov_b32_e32 v2, 0
	s_waitcnt lgkmcnt(0)
	global_store_short v2, v24, s[6:7]
.LBB1089_178:
	s_or_b64 exec, exec, s[18:19]
                                        ; implicit-def: $vgpr10
.LBB1089_179:
	s_or_saveexec_b64 s[14:15], s[14:15]
	s_mov_b64 s[18:19], s[4:5]
	s_xor_b64 exec, exec, s[14:15]
; %bb.180:
	s_or_b64 s[18:19], s[4:5], exec
; %bb.181:
	s_or_b64 exec, exec, s[14:15]
	s_andn2_b64 s[14:15], s[4:5], exec
	s_and_b64 s[18:19], s[18:19], exec
	s_or_b64 s[14:15], s[14:15], s[18:19]
                                        ; implicit-def: $vgpr18
                                        ; implicit-def: $vgpr13
                                        ; implicit-def: $vgpr14
.LBB1089_182:
	s_or_saveexec_b64 s[16:17], s[16:17]
	s_mov_b64 s[18:19], s[8:9]
                                        ; implicit-def: $vgpr11
	s_xor_b64 exec, exec, s[16:17]
	s_cbranch_execz .LBB1089_192
; %bb.183:
	v_cmp_lt_i64_e32 vcc, 12, v[0:1]
	s_mov_b64 s[20:21], s[8:9]
	s_mov_b64 s[22:23], s[14:15]
                                        ; implicit-def: $vgpr10
                                        ; implicit-def: $vgpr11
	s_and_saveexec_b64 s[18:19], vcc
	s_xor_b64 s[18:19], exec, s[18:19]
	s_cbranch_execz .LBB1089_189
; %bb.184:
	v_cmp_lt_i64_e32 vcc, 13, v[0:1]
	s_mov_b64 s[20:21], s[14:15]
	s_and_saveexec_b64 s[22:23], vcc
	s_xor_b64 s[22:23], exec, s[22:23]
; %bb.185:
	s_or_b64 s[20:21], s[14:15], exec
                                        ; implicit-def: $vgpr13
; %bb.186:
	s_or_saveexec_b64 s[22:23], s[22:23]
	s_mov_b64 s[24:25], s[8:9]
	s_xor_b64 exec, exec, s[22:23]
; %bb.187:
	s_or_b64 s[24:25], s[8:9], exec
                                        ; implicit-def: $vgpr14
; %bb.188:
	s_or_b64 exec, exec, s[22:23]
	s_andn2_b64 s[22:23], s[14:15], exec
	s_and_b64 s[20:21], s[20:21], exec
	s_or_b64 s[22:23], s[22:23], s[20:21]
	s_andn2_b64 s[20:21], s[8:9], exec
	s_and_b64 s[24:25], s[24:25], exec
	s_or_b64 s[20:21], s[20:21], s[24:25]
	s_waitcnt lgkmcnt(0)
	v_mov_b32_e32 v10, v14
	v_mov_b32_e32 v11, v13
                                        ; implicit-def: $vgpr18
.LBB1089_189:
	s_andn2_saveexec_b64 s[18:19], s[18:19]
	s_cbranch_execz .LBB1089_191
; %bb.190:
	s_or_b64 s[20:21], s[20:21], exec
                                        ; implicit-def: $vgpr10
	s_waitcnt lgkmcnt(0)
	v_mov_b32_e32 v11, v18
.LBB1089_191:
	s_or_b64 exec, exec, s[18:19]
	s_andn2_b64 s[14:15], s[14:15], exec
	s_and_b64 s[18:19], s[22:23], exec
	s_or_b64 s[14:15], s[14:15], s[18:19]
	s_andn2_b64 s[18:19], s[8:9], exec
	s_and_b64 s[20:21], s[20:21], exec
	s_or_b64 s[18:19], s[18:19], s[20:21]
.LBB1089_192:
	s_or_b64 exec, exec, s[16:17]
	s_andn2_b64 s[4:5], s[4:5], exec
	s_and_b64 s[14:15], s[14:15], exec
	s_or_b64 s[4:5], s[4:5], s[14:15]
	s_andn2_b64 s[8:9], s[8:9], exec
	s_and_b64 s[14:15], s[18:19], exec
	s_or_b64 s[8:9], s[8:9], s[14:15]
                                        ; implicit-def: $vgpr12
.LBB1089_193:
	s_or_b64 exec, exec, s[12:13]
	s_and_b64 s[4:5], s[4:5], exec
	s_and_b64 s[8:9], s[8:9], exec
	s_and_b64 s[10:11], s[10:11], exec
                                        ; implicit-def: $vgpr17
                                        ; implicit-def: $vgpr15
                                        ; implicit-def: $vgpr16
                                        ; implicit-def: $vgpr25
                                        ; implicit-def: $vgpr22
                                        ; implicit-def: $vgpr19
	s_andn2_saveexec_b64 s[2:3], s[2:3]
	s_cbranch_execz .LBB1089_144
.LBB1089_194:
	v_cmp_lt_i64_e32 vcc, 5, v[0:1]
	s_mov_b64 s[14:15], -1
	s_mov_b64 s[12:13], s[10:11]
	s_mov_b64 s[16:17], s[8:9]
	;; [unrolled: 1-line block ×3, first 2 shown]
                                        ; implicit-def: $vgpr10
                                        ; implicit-def: $vgpr11
                                        ; implicit-def: $vgpr12
	s_and_saveexec_b64 s[0:1], vcc
	s_cbranch_execz .LBB1089_210
; %bb.195:
	v_cmp_lt_i64_e32 vcc, 8, v[0:1]
	s_mov_b64 s[12:13], s[10:11]
                                        ; implicit-def: $vgpr12
	s_and_saveexec_b64 s[14:15], vcc
	s_xor_b64 s[14:15], exec, s[14:15]
	s_cbranch_execz .LBB1089_205
; %bb.196:
	v_cmp_lt_i64_e32 vcc, 9, v[0:1]
	s_and_saveexec_b64 s[12:13], vcc
	s_xor_b64 s[12:13], exec, s[12:13]
	s_cbranch_execz .LBB1089_202
; %bb.197:
	v_cmp_lt_i64_e32 vcc, 10, v[0:1]
	s_and_saveexec_b64 s[16:17], vcc
	s_xor_b64 s[16:17], exec, s[16:17]
; %bb.198:
                                        ; implicit-def: $vgpr22
; %bb.199:
	s_andn2_saveexec_b64 s[16:17], s[16:17]
	s_cbranch_execz .LBB1089_201
; %bb.200:
	s_waitcnt lgkmcnt(0)
	v_mov_b32_e32 v19, v22
.LBB1089_201:
	s_or_b64 exec, exec, s[16:17]
                                        ; implicit-def: $vgpr25
.LBB1089_202:
	s_andn2_saveexec_b64 s[12:13], s[12:13]
	s_cbranch_execz .LBB1089_204
; %bb.203:
	s_waitcnt lgkmcnt(0)
	v_mov_b32_e32 v19, v25
.LBB1089_204:
	s_or_b64 exec, exec, s[12:13]
	s_or_b64 s[12:13], s[10:11], exec
	s_waitcnt lgkmcnt(0)
	v_mov_b32_e32 v12, v19
                                        ; implicit-def: $vgpr17
                                        ; implicit-def: $vgpr15
                                        ; implicit-def: $vgpr16
.LBB1089_205:
	s_or_saveexec_b64 s[14:15], s[14:15]
	s_mov_b64 s[16:17], s[8:9]
	s_mov_b64 s[20:21], s[4:5]
                                        ; implicit-def: $vgpr10
                                        ; implicit-def: $vgpr11
	s_xor_b64 exec, exec, s[14:15]
	s_cbranch_execz .LBB1089_209
; %bb.206:
	v_cmp_lt_i64_e32 vcc, 6, v[0:1]
	s_mov_b64 s[20:21], -1
	s_mov_b64 s[18:19], s[12:13]
	s_mov_b64 s[16:17], s[8:9]
	s_and_saveexec_b64 s[22:23], vcc
; %bb.207:
	v_cmp_lt_i64_e32 vcc, 7, v[0:1]
	s_andn2_b64 s[18:19], s[12:13], exec
	s_and_b64 s[24:25], vcc, exec
	s_xor_b64 s[20:21], exec, -1
	s_or_b64 s[16:17], s[8:9], exec
	s_or_b64 s[18:19], s[18:19], s[24:25]
                                        ; implicit-def: $vgpr17
; %bb.208:
	s_or_b64 exec, exec, s[22:23]
	s_andn2_b64 s[22:23], s[4:5], exec
	s_and_b64 s[20:21], s[20:21], exec
	s_or_b64 s[20:21], s[22:23], s[20:21]
	s_andn2_b64 s[22:23], s[8:9], exec
	s_and_b64 s[16:17], s[16:17], exec
	s_andn2_b64 s[12:13], s[12:13], exec
	s_and_b64 s[18:19], s[18:19], exec
	s_or_b64 s[16:17], s[22:23], s[16:17]
	s_or_b64 s[12:13], s[12:13], s[18:19]
	s_waitcnt lgkmcnt(0)
	v_mov_b32_e32 v10, v17
	v_mov_b32_e32 v11, v15
	;; [unrolled: 1-line block ×3, first 2 shown]
.LBB1089_209:
	s_or_b64 exec, exec, s[14:15]
	s_andn2_b64 s[18:19], s[4:5], exec
	s_and_b64 s[20:21], s[20:21], exec
	s_or_b64 s[18:19], s[18:19], s[20:21]
	s_andn2_b64 s[20:21], s[8:9], exec
	s_and_b64 s[16:17], s[16:17], exec
	s_or_b64 s[16:17], s[20:21], s[16:17]
	s_andn2_b64 s[20:21], s[10:11], exec
	s_and_b64 s[12:13], s[12:13], exec
	s_xor_b64 s[14:15], exec, -1
	s_or_b64 s[12:13], s[20:21], s[12:13]
.LBB1089_210:
	s_or_b64 exec, exec, s[0:1]
	s_and_b64 s[0:1], s[14:15], exec
	s_andn2_b64 s[4:5], s[4:5], exec
	s_and_b64 s[14:15], s[18:19], exec
	s_or_b64 s[4:5], s[4:5], s[14:15]
	s_andn2_b64 s[8:9], s[8:9], exec
	s_and_b64 s[14:15], s[16:17], exec
	s_andn2_b64 s[10:11], s[10:11], exec
	s_and_b64 s[12:13], s[12:13], exec
	s_or_b64 s[8:9], s[8:9], s[14:15]
	s_or_b64 s[10:11], s[10:11], s[12:13]
	s_or_b64 exec, exec, s[2:3]
	s_and_saveexec_b64 s[2:3], s[10:11]
	s_cbranch_execz .LBB1089_145
.LBB1089_211:
	v_mov_b32_e32 v2, 0
	s_andn2_b64 s[8:9], s[8:9], exec
	s_waitcnt lgkmcnt(0)
	global_store_short v2, v12, s[6:7]
                                        ; implicit-def: $vgpr10
                                        ; implicit-def: $vgpr11
	s_or_b64 exec, exec, s[2:3]
	s_and_saveexec_b64 s[2:3], s[8:9]
	s_cbranch_execz .LBB1089_146
.LBB1089_212:
	v_mov_b32_e32 v2, 0
	s_waitcnt lgkmcnt(0)
	global_store_short v2, v11, s[6:7]
                                        ; implicit-def: $vgpr10
	s_or_b64 exec, exec, s[2:3]
	s_and_saveexec_b64 s[2:3], s[4:5]
	s_xor_b64 s[2:3], exec, s[2:3]
	s_cbranch_execz .LBB1089_147
.LBB1089_213:
	v_mov_b32_e32 v2, 0
	s_waitcnt lgkmcnt(0)
	global_store_short v2, v10, s[6:7]
	s_or_b64 exec, exec, s[2:3]
	s_and_b64 exec, exec, s[0:1]
	s_cbranch_execz .LBB1089_148
.LBB1089_214:
	v_cmp_lt_i64_e32 vcc, 2, v[0:1]
	s_and_saveexec_b64 s[0:1], vcc
	s_xor_b64 s[0:1], exec, s[0:1]
	s_cbranch_execz .LBB1089_224
; %bb.215:
	v_cmp_lt_i64_e32 vcc, 3, v[0:1]
	s_and_saveexec_b64 s[2:3], vcc
	s_xor_b64 s[2:3], exec, s[2:3]
	s_cbranch_execz .LBB1089_221
; %bb.216:
	;; [unrolled: 5-line block ×3, first 2 shown]
	v_mov_b32_e32 v0, 0
	s_waitcnt lgkmcnt(0)
	global_store_short v0, v9, s[6:7]
                                        ; implicit-def: $vgpr6
.LBB1089_218:
	s_andn2_saveexec_b64 s[4:5], s[4:5]
	s_cbranch_execz .LBB1089_220
; %bb.219:
	v_mov_b32_e32 v0, 0
	s_waitcnt lgkmcnt(0)
	global_store_short v0, v6, s[6:7]
.LBB1089_220:
	s_or_b64 exec, exec, s[4:5]
                                        ; implicit-def: $vgpr8
.LBB1089_221:
	s_andn2_saveexec_b64 s[2:3], s[2:3]
	s_cbranch_execz .LBB1089_223
; %bb.222:
	v_mov_b32_e32 v0, 0
	s_waitcnt lgkmcnt(0)
	global_store_short v0, v8, s[6:7]
.LBB1089_223:
	s_or_b64 exec, exec, s[2:3]
                                        ; implicit-def: $vgpr0_vgpr1
                                        ; implicit-def: $vgpr7
                                        ; implicit-def: $vgpr4
                                        ; implicit-def: $vgpr5
.LBB1089_224:
	s_andn2_saveexec_b64 s[0:1], s[0:1]
	s_cbranch_execz .LBB1089_148
; %bb.225:
	v_cmp_lt_i64_e32 vcc, 1, v[0:1]
	s_and_saveexec_b64 s[0:1], vcc
	s_xor_b64 s[0:1], exec, s[0:1]
	s_cbranch_execz .LBB1089_227
; %bb.226:
	v_mov_b32_e32 v0, 0
	s_waitcnt lgkmcnt(0)
	global_store_short v0, v7, s[6:7]
                                        ; implicit-def: $vgpr4
                                        ; implicit-def: $vgpr0_vgpr1
                                        ; implicit-def: $vgpr5
.LBB1089_227:
	s_andn2_saveexec_b64 s[0:1], s[0:1]
	s_cbranch_execz .LBB1089_148
; %bb.228:
	v_cmp_ne_u64_e32 vcc, 1, v[0:1]
	s_and_saveexec_b64 s[0:1], vcc
	s_xor_b64 s[0:1], exec, s[0:1]
	s_cbranch_execz .LBB1089_230
; %bb.229:
	v_mov_b32_e32 v0, 0
	s_waitcnt lgkmcnt(0)
	global_store_short v0, v5, s[6:7]
                                        ; implicit-def: $vgpr4
.LBB1089_230:
	s_andn2_saveexec_b64 s[0:1], s[0:1]
	s_cbranch_execz .LBB1089_148
; %bb.231:
	v_mov_b32_e32 v0, 0
	s_waitcnt lgkmcnt(0)
	global_store_short v0, v4, s[6:7]
	s_endpgm
	.section	.rodata,"a",@progbits
	.p2align	6, 0x0
	.amdhsa_kernel _ZN7rocprim17ROCPRIM_400000_NS6detail17trampoline_kernelINS0_14default_configENS1_20scan_config_selectorIsEEZZNS1_9scan_implILNS1_25lookback_scan_determinismE0ELb0ELb0ES3_N6thrust23THRUST_200600_302600_NS6detail15normal_iteratorINS9_10device_ptrIsEEEESE_sNS9_4plusIsEEsEEDaPvRmT3_T4_T5_mT6_P12ihipStream_tbENKUlT_T0_E_clISt17integral_constantIbLb1EEST_IbLb0EEEEDaSP_SQ_EUlSP_E_NS1_11comp_targetILNS1_3genE4ELNS1_11target_archE910ELNS1_3gpuE8ELNS1_3repE0EEENS1_30default_config_static_selectorELNS0_4arch9wavefront6targetE1EEEvT1_
		.amdhsa_group_segment_fixed_size 3072
		.amdhsa_private_segment_fixed_size 0
		.amdhsa_kernarg_size 96
		.amdhsa_user_sgpr_count 6
		.amdhsa_user_sgpr_private_segment_buffer 1
		.amdhsa_user_sgpr_dispatch_ptr 0
		.amdhsa_user_sgpr_queue_ptr 0
		.amdhsa_user_sgpr_kernarg_segment_ptr 1
		.amdhsa_user_sgpr_dispatch_id 0
		.amdhsa_user_sgpr_flat_scratch_init 0
		.amdhsa_user_sgpr_kernarg_preload_length 0
		.amdhsa_user_sgpr_kernarg_preload_offset 0
		.amdhsa_user_sgpr_private_segment_size 0
		.amdhsa_uses_dynamic_stack 0
		.amdhsa_system_sgpr_private_segment_wavefront_offset 0
		.amdhsa_system_sgpr_workgroup_id_x 1
		.amdhsa_system_sgpr_workgroup_id_y 0
		.amdhsa_system_sgpr_workgroup_id_z 0
		.amdhsa_system_sgpr_workgroup_info 0
		.amdhsa_system_vgpr_workitem_id 0
		.amdhsa_next_free_vgpr 54
		.amdhsa_next_free_sgpr 26
		.amdhsa_accum_offset 56
		.amdhsa_reserve_vcc 1
		.amdhsa_reserve_flat_scratch 0
		.amdhsa_float_round_mode_32 0
		.amdhsa_float_round_mode_16_64 0
		.amdhsa_float_denorm_mode_32 3
		.amdhsa_float_denorm_mode_16_64 3
		.amdhsa_dx10_clamp 1
		.amdhsa_ieee_mode 1
		.amdhsa_fp16_overflow 0
		.amdhsa_tg_split 0
		.amdhsa_exception_fp_ieee_invalid_op 0
		.amdhsa_exception_fp_denorm_src 0
		.amdhsa_exception_fp_ieee_div_zero 0
		.amdhsa_exception_fp_ieee_overflow 0
		.amdhsa_exception_fp_ieee_underflow 0
		.amdhsa_exception_fp_ieee_inexact 0
		.amdhsa_exception_int_div_zero 0
	.end_amdhsa_kernel
	.section	.text._ZN7rocprim17ROCPRIM_400000_NS6detail17trampoline_kernelINS0_14default_configENS1_20scan_config_selectorIsEEZZNS1_9scan_implILNS1_25lookback_scan_determinismE0ELb0ELb0ES3_N6thrust23THRUST_200600_302600_NS6detail15normal_iteratorINS9_10device_ptrIsEEEESE_sNS9_4plusIsEEsEEDaPvRmT3_T4_T5_mT6_P12ihipStream_tbENKUlT_T0_E_clISt17integral_constantIbLb1EEST_IbLb0EEEEDaSP_SQ_EUlSP_E_NS1_11comp_targetILNS1_3genE4ELNS1_11target_archE910ELNS1_3gpuE8ELNS1_3repE0EEENS1_30default_config_static_selectorELNS0_4arch9wavefront6targetE1EEEvT1_,"axG",@progbits,_ZN7rocprim17ROCPRIM_400000_NS6detail17trampoline_kernelINS0_14default_configENS1_20scan_config_selectorIsEEZZNS1_9scan_implILNS1_25lookback_scan_determinismE0ELb0ELb0ES3_N6thrust23THRUST_200600_302600_NS6detail15normal_iteratorINS9_10device_ptrIsEEEESE_sNS9_4plusIsEEsEEDaPvRmT3_T4_T5_mT6_P12ihipStream_tbENKUlT_T0_E_clISt17integral_constantIbLb1EEST_IbLb0EEEEDaSP_SQ_EUlSP_E_NS1_11comp_targetILNS1_3genE4ELNS1_11target_archE910ELNS1_3gpuE8ELNS1_3repE0EEENS1_30default_config_static_selectorELNS0_4arch9wavefront6targetE1EEEvT1_,comdat
.Lfunc_end1089:
	.size	_ZN7rocprim17ROCPRIM_400000_NS6detail17trampoline_kernelINS0_14default_configENS1_20scan_config_selectorIsEEZZNS1_9scan_implILNS1_25lookback_scan_determinismE0ELb0ELb0ES3_N6thrust23THRUST_200600_302600_NS6detail15normal_iteratorINS9_10device_ptrIsEEEESE_sNS9_4plusIsEEsEEDaPvRmT3_T4_T5_mT6_P12ihipStream_tbENKUlT_T0_E_clISt17integral_constantIbLb1EEST_IbLb0EEEEDaSP_SQ_EUlSP_E_NS1_11comp_targetILNS1_3genE4ELNS1_11target_archE910ELNS1_3gpuE8ELNS1_3repE0EEENS1_30default_config_static_selectorELNS0_4arch9wavefront6targetE1EEEvT1_, .Lfunc_end1089-_ZN7rocprim17ROCPRIM_400000_NS6detail17trampoline_kernelINS0_14default_configENS1_20scan_config_selectorIsEEZZNS1_9scan_implILNS1_25lookback_scan_determinismE0ELb0ELb0ES3_N6thrust23THRUST_200600_302600_NS6detail15normal_iteratorINS9_10device_ptrIsEEEESE_sNS9_4plusIsEEsEEDaPvRmT3_T4_T5_mT6_P12ihipStream_tbENKUlT_T0_E_clISt17integral_constantIbLb1EEST_IbLb0EEEEDaSP_SQ_EUlSP_E_NS1_11comp_targetILNS1_3genE4ELNS1_11target_archE910ELNS1_3gpuE8ELNS1_3repE0EEENS1_30default_config_static_selectorELNS0_4arch9wavefront6targetE1EEEvT1_
                                        ; -- End function
	.section	.AMDGPU.csdata,"",@progbits
; Kernel info:
; codeLenInByte = 7948
; NumSgprs: 30
; NumVgprs: 54
; NumAgprs: 0
; TotalNumVgprs: 54
; ScratchSize: 0
; MemoryBound: 0
; FloatMode: 240
; IeeeMode: 1
; LDSByteSize: 3072 bytes/workgroup (compile time only)
; SGPRBlocks: 3
; VGPRBlocks: 6
; NumSGPRsForWavesPerEU: 30
; NumVGPRsForWavesPerEU: 54
; AccumOffset: 56
; Occupancy: 6
; WaveLimiterHint : 1
; COMPUTE_PGM_RSRC2:SCRATCH_EN: 0
; COMPUTE_PGM_RSRC2:USER_SGPR: 6
; COMPUTE_PGM_RSRC2:TRAP_HANDLER: 0
; COMPUTE_PGM_RSRC2:TGID_X_EN: 1
; COMPUTE_PGM_RSRC2:TGID_Y_EN: 0
; COMPUTE_PGM_RSRC2:TGID_Z_EN: 0
; COMPUTE_PGM_RSRC2:TIDIG_COMP_CNT: 0
; COMPUTE_PGM_RSRC3_GFX90A:ACCUM_OFFSET: 13
; COMPUTE_PGM_RSRC3_GFX90A:TG_SPLIT: 0
	.section	.text._ZN7rocprim17ROCPRIM_400000_NS6detail17trampoline_kernelINS0_14default_configENS1_20scan_config_selectorIsEEZZNS1_9scan_implILNS1_25lookback_scan_determinismE0ELb0ELb0ES3_N6thrust23THRUST_200600_302600_NS6detail15normal_iteratorINS9_10device_ptrIsEEEESE_sNS9_4plusIsEEsEEDaPvRmT3_T4_T5_mT6_P12ihipStream_tbENKUlT_T0_E_clISt17integral_constantIbLb1EEST_IbLb0EEEEDaSP_SQ_EUlSP_E_NS1_11comp_targetILNS1_3genE3ELNS1_11target_archE908ELNS1_3gpuE7ELNS1_3repE0EEENS1_30default_config_static_selectorELNS0_4arch9wavefront6targetE1EEEvT1_,"axG",@progbits,_ZN7rocprim17ROCPRIM_400000_NS6detail17trampoline_kernelINS0_14default_configENS1_20scan_config_selectorIsEEZZNS1_9scan_implILNS1_25lookback_scan_determinismE0ELb0ELb0ES3_N6thrust23THRUST_200600_302600_NS6detail15normal_iteratorINS9_10device_ptrIsEEEESE_sNS9_4plusIsEEsEEDaPvRmT3_T4_T5_mT6_P12ihipStream_tbENKUlT_T0_E_clISt17integral_constantIbLb1EEST_IbLb0EEEEDaSP_SQ_EUlSP_E_NS1_11comp_targetILNS1_3genE3ELNS1_11target_archE908ELNS1_3gpuE7ELNS1_3repE0EEENS1_30default_config_static_selectorELNS0_4arch9wavefront6targetE1EEEvT1_,comdat
	.protected	_ZN7rocprim17ROCPRIM_400000_NS6detail17trampoline_kernelINS0_14default_configENS1_20scan_config_selectorIsEEZZNS1_9scan_implILNS1_25lookback_scan_determinismE0ELb0ELb0ES3_N6thrust23THRUST_200600_302600_NS6detail15normal_iteratorINS9_10device_ptrIsEEEESE_sNS9_4plusIsEEsEEDaPvRmT3_T4_T5_mT6_P12ihipStream_tbENKUlT_T0_E_clISt17integral_constantIbLb1EEST_IbLb0EEEEDaSP_SQ_EUlSP_E_NS1_11comp_targetILNS1_3genE3ELNS1_11target_archE908ELNS1_3gpuE7ELNS1_3repE0EEENS1_30default_config_static_selectorELNS0_4arch9wavefront6targetE1EEEvT1_ ; -- Begin function _ZN7rocprim17ROCPRIM_400000_NS6detail17trampoline_kernelINS0_14default_configENS1_20scan_config_selectorIsEEZZNS1_9scan_implILNS1_25lookback_scan_determinismE0ELb0ELb0ES3_N6thrust23THRUST_200600_302600_NS6detail15normal_iteratorINS9_10device_ptrIsEEEESE_sNS9_4plusIsEEsEEDaPvRmT3_T4_T5_mT6_P12ihipStream_tbENKUlT_T0_E_clISt17integral_constantIbLb1EEST_IbLb0EEEEDaSP_SQ_EUlSP_E_NS1_11comp_targetILNS1_3genE3ELNS1_11target_archE908ELNS1_3gpuE7ELNS1_3repE0EEENS1_30default_config_static_selectorELNS0_4arch9wavefront6targetE1EEEvT1_
	.globl	_ZN7rocprim17ROCPRIM_400000_NS6detail17trampoline_kernelINS0_14default_configENS1_20scan_config_selectorIsEEZZNS1_9scan_implILNS1_25lookback_scan_determinismE0ELb0ELb0ES3_N6thrust23THRUST_200600_302600_NS6detail15normal_iteratorINS9_10device_ptrIsEEEESE_sNS9_4plusIsEEsEEDaPvRmT3_T4_T5_mT6_P12ihipStream_tbENKUlT_T0_E_clISt17integral_constantIbLb1EEST_IbLb0EEEEDaSP_SQ_EUlSP_E_NS1_11comp_targetILNS1_3genE3ELNS1_11target_archE908ELNS1_3gpuE7ELNS1_3repE0EEENS1_30default_config_static_selectorELNS0_4arch9wavefront6targetE1EEEvT1_
	.p2align	8
	.type	_ZN7rocprim17ROCPRIM_400000_NS6detail17trampoline_kernelINS0_14default_configENS1_20scan_config_selectorIsEEZZNS1_9scan_implILNS1_25lookback_scan_determinismE0ELb0ELb0ES3_N6thrust23THRUST_200600_302600_NS6detail15normal_iteratorINS9_10device_ptrIsEEEESE_sNS9_4plusIsEEsEEDaPvRmT3_T4_T5_mT6_P12ihipStream_tbENKUlT_T0_E_clISt17integral_constantIbLb1EEST_IbLb0EEEEDaSP_SQ_EUlSP_E_NS1_11comp_targetILNS1_3genE3ELNS1_11target_archE908ELNS1_3gpuE7ELNS1_3repE0EEENS1_30default_config_static_selectorELNS0_4arch9wavefront6targetE1EEEvT1_,@function
_ZN7rocprim17ROCPRIM_400000_NS6detail17trampoline_kernelINS0_14default_configENS1_20scan_config_selectorIsEEZZNS1_9scan_implILNS1_25lookback_scan_determinismE0ELb0ELb0ES3_N6thrust23THRUST_200600_302600_NS6detail15normal_iteratorINS9_10device_ptrIsEEEESE_sNS9_4plusIsEEsEEDaPvRmT3_T4_T5_mT6_P12ihipStream_tbENKUlT_T0_E_clISt17integral_constantIbLb1EEST_IbLb0EEEEDaSP_SQ_EUlSP_E_NS1_11comp_targetILNS1_3genE3ELNS1_11target_archE908ELNS1_3gpuE7ELNS1_3repE0EEENS1_30default_config_static_selectorELNS0_4arch9wavefront6targetE1EEEvT1_: ; @_ZN7rocprim17ROCPRIM_400000_NS6detail17trampoline_kernelINS0_14default_configENS1_20scan_config_selectorIsEEZZNS1_9scan_implILNS1_25lookback_scan_determinismE0ELb0ELb0ES3_N6thrust23THRUST_200600_302600_NS6detail15normal_iteratorINS9_10device_ptrIsEEEESE_sNS9_4plusIsEEsEEDaPvRmT3_T4_T5_mT6_P12ihipStream_tbENKUlT_T0_E_clISt17integral_constantIbLb1EEST_IbLb0EEEEDaSP_SQ_EUlSP_E_NS1_11comp_targetILNS1_3genE3ELNS1_11target_archE908ELNS1_3gpuE7ELNS1_3repE0EEENS1_30default_config_static_selectorELNS0_4arch9wavefront6targetE1EEEvT1_
; %bb.0:
	.section	.rodata,"a",@progbits
	.p2align	6, 0x0
	.amdhsa_kernel _ZN7rocprim17ROCPRIM_400000_NS6detail17trampoline_kernelINS0_14default_configENS1_20scan_config_selectorIsEEZZNS1_9scan_implILNS1_25lookback_scan_determinismE0ELb0ELb0ES3_N6thrust23THRUST_200600_302600_NS6detail15normal_iteratorINS9_10device_ptrIsEEEESE_sNS9_4plusIsEEsEEDaPvRmT3_T4_T5_mT6_P12ihipStream_tbENKUlT_T0_E_clISt17integral_constantIbLb1EEST_IbLb0EEEEDaSP_SQ_EUlSP_E_NS1_11comp_targetILNS1_3genE3ELNS1_11target_archE908ELNS1_3gpuE7ELNS1_3repE0EEENS1_30default_config_static_selectorELNS0_4arch9wavefront6targetE1EEEvT1_
		.amdhsa_group_segment_fixed_size 0
		.amdhsa_private_segment_fixed_size 0
		.amdhsa_kernarg_size 96
		.amdhsa_user_sgpr_count 6
		.amdhsa_user_sgpr_private_segment_buffer 1
		.amdhsa_user_sgpr_dispatch_ptr 0
		.amdhsa_user_sgpr_queue_ptr 0
		.amdhsa_user_sgpr_kernarg_segment_ptr 1
		.amdhsa_user_sgpr_dispatch_id 0
		.amdhsa_user_sgpr_flat_scratch_init 0
		.amdhsa_user_sgpr_kernarg_preload_length 0
		.amdhsa_user_sgpr_kernarg_preload_offset 0
		.amdhsa_user_sgpr_private_segment_size 0
		.amdhsa_uses_dynamic_stack 0
		.amdhsa_system_sgpr_private_segment_wavefront_offset 0
		.amdhsa_system_sgpr_workgroup_id_x 1
		.amdhsa_system_sgpr_workgroup_id_y 0
		.amdhsa_system_sgpr_workgroup_id_z 0
		.amdhsa_system_sgpr_workgroup_info 0
		.amdhsa_system_vgpr_workitem_id 0
		.amdhsa_next_free_vgpr 1
		.amdhsa_next_free_sgpr 0
		.amdhsa_accum_offset 4
		.amdhsa_reserve_vcc 0
		.amdhsa_reserve_flat_scratch 0
		.amdhsa_float_round_mode_32 0
		.amdhsa_float_round_mode_16_64 0
		.amdhsa_float_denorm_mode_32 3
		.amdhsa_float_denorm_mode_16_64 3
		.amdhsa_dx10_clamp 1
		.amdhsa_ieee_mode 1
		.amdhsa_fp16_overflow 0
		.amdhsa_tg_split 0
		.amdhsa_exception_fp_ieee_invalid_op 0
		.amdhsa_exception_fp_denorm_src 0
		.amdhsa_exception_fp_ieee_div_zero 0
		.amdhsa_exception_fp_ieee_overflow 0
		.amdhsa_exception_fp_ieee_underflow 0
		.amdhsa_exception_fp_ieee_inexact 0
		.amdhsa_exception_int_div_zero 0
	.end_amdhsa_kernel
	.section	.text._ZN7rocprim17ROCPRIM_400000_NS6detail17trampoline_kernelINS0_14default_configENS1_20scan_config_selectorIsEEZZNS1_9scan_implILNS1_25lookback_scan_determinismE0ELb0ELb0ES3_N6thrust23THRUST_200600_302600_NS6detail15normal_iteratorINS9_10device_ptrIsEEEESE_sNS9_4plusIsEEsEEDaPvRmT3_T4_T5_mT6_P12ihipStream_tbENKUlT_T0_E_clISt17integral_constantIbLb1EEST_IbLb0EEEEDaSP_SQ_EUlSP_E_NS1_11comp_targetILNS1_3genE3ELNS1_11target_archE908ELNS1_3gpuE7ELNS1_3repE0EEENS1_30default_config_static_selectorELNS0_4arch9wavefront6targetE1EEEvT1_,"axG",@progbits,_ZN7rocprim17ROCPRIM_400000_NS6detail17trampoline_kernelINS0_14default_configENS1_20scan_config_selectorIsEEZZNS1_9scan_implILNS1_25lookback_scan_determinismE0ELb0ELb0ES3_N6thrust23THRUST_200600_302600_NS6detail15normal_iteratorINS9_10device_ptrIsEEEESE_sNS9_4plusIsEEsEEDaPvRmT3_T4_T5_mT6_P12ihipStream_tbENKUlT_T0_E_clISt17integral_constantIbLb1EEST_IbLb0EEEEDaSP_SQ_EUlSP_E_NS1_11comp_targetILNS1_3genE3ELNS1_11target_archE908ELNS1_3gpuE7ELNS1_3repE0EEENS1_30default_config_static_selectorELNS0_4arch9wavefront6targetE1EEEvT1_,comdat
.Lfunc_end1090:
	.size	_ZN7rocprim17ROCPRIM_400000_NS6detail17trampoline_kernelINS0_14default_configENS1_20scan_config_selectorIsEEZZNS1_9scan_implILNS1_25lookback_scan_determinismE0ELb0ELb0ES3_N6thrust23THRUST_200600_302600_NS6detail15normal_iteratorINS9_10device_ptrIsEEEESE_sNS9_4plusIsEEsEEDaPvRmT3_T4_T5_mT6_P12ihipStream_tbENKUlT_T0_E_clISt17integral_constantIbLb1EEST_IbLb0EEEEDaSP_SQ_EUlSP_E_NS1_11comp_targetILNS1_3genE3ELNS1_11target_archE908ELNS1_3gpuE7ELNS1_3repE0EEENS1_30default_config_static_selectorELNS0_4arch9wavefront6targetE1EEEvT1_, .Lfunc_end1090-_ZN7rocprim17ROCPRIM_400000_NS6detail17trampoline_kernelINS0_14default_configENS1_20scan_config_selectorIsEEZZNS1_9scan_implILNS1_25lookback_scan_determinismE0ELb0ELb0ES3_N6thrust23THRUST_200600_302600_NS6detail15normal_iteratorINS9_10device_ptrIsEEEESE_sNS9_4plusIsEEsEEDaPvRmT3_T4_T5_mT6_P12ihipStream_tbENKUlT_T0_E_clISt17integral_constantIbLb1EEST_IbLb0EEEEDaSP_SQ_EUlSP_E_NS1_11comp_targetILNS1_3genE3ELNS1_11target_archE908ELNS1_3gpuE7ELNS1_3repE0EEENS1_30default_config_static_selectorELNS0_4arch9wavefront6targetE1EEEvT1_
                                        ; -- End function
	.section	.AMDGPU.csdata,"",@progbits
; Kernel info:
; codeLenInByte = 0
; NumSgprs: 4
; NumVgprs: 0
; NumAgprs: 0
; TotalNumVgprs: 0
; ScratchSize: 0
; MemoryBound: 0
; FloatMode: 240
; IeeeMode: 1
; LDSByteSize: 0 bytes/workgroup (compile time only)
; SGPRBlocks: 0
; VGPRBlocks: 0
; NumSGPRsForWavesPerEU: 4
; NumVGPRsForWavesPerEU: 1
; AccumOffset: 4
; Occupancy: 8
; WaveLimiterHint : 0
; COMPUTE_PGM_RSRC2:SCRATCH_EN: 0
; COMPUTE_PGM_RSRC2:USER_SGPR: 6
; COMPUTE_PGM_RSRC2:TRAP_HANDLER: 0
; COMPUTE_PGM_RSRC2:TGID_X_EN: 1
; COMPUTE_PGM_RSRC2:TGID_Y_EN: 0
; COMPUTE_PGM_RSRC2:TGID_Z_EN: 0
; COMPUTE_PGM_RSRC2:TIDIG_COMP_CNT: 0
; COMPUTE_PGM_RSRC3_GFX90A:ACCUM_OFFSET: 0
; COMPUTE_PGM_RSRC3_GFX90A:TG_SPLIT: 0
	.section	.text._ZN7rocprim17ROCPRIM_400000_NS6detail17trampoline_kernelINS0_14default_configENS1_20scan_config_selectorIsEEZZNS1_9scan_implILNS1_25lookback_scan_determinismE0ELb0ELb0ES3_N6thrust23THRUST_200600_302600_NS6detail15normal_iteratorINS9_10device_ptrIsEEEESE_sNS9_4plusIsEEsEEDaPvRmT3_T4_T5_mT6_P12ihipStream_tbENKUlT_T0_E_clISt17integral_constantIbLb1EEST_IbLb0EEEEDaSP_SQ_EUlSP_E_NS1_11comp_targetILNS1_3genE2ELNS1_11target_archE906ELNS1_3gpuE6ELNS1_3repE0EEENS1_30default_config_static_selectorELNS0_4arch9wavefront6targetE1EEEvT1_,"axG",@progbits,_ZN7rocprim17ROCPRIM_400000_NS6detail17trampoline_kernelINS0_14default_configENS1_20scan_config_selectorIsEEZZNS1_9scan_implILNS1_25lookback_scan_determinismE0ELb0ELb0ES3_N6thrust23THRUST_200600_302600_NS6detail15normal_iteratorINS9_10device_ptrIsEEEESE_sNS9_4plusIsEEsEEDaPvRmT3_T4_T5_mT6_P12ihipStream_tbENKUlT_T0_E_clISt17integral_constantIbLb1EEST_IbLb0EEEEDaSP_SQ_EUlSP_E_NS1_11comp_targetILNS1_3genE2ELNS1_11target_archE906ELNS1_3gpuE6ELNS1_3repE0EEENS1_30default_config_static_selectorELNS0_4arch9wavefront6targetE1EEEvT1_,comdat
	.protected	_ZN7rocprim17ROCPRIM_400000_NS6detail17trampoline_kernelINS0_14default_configENS1_20scan_config_selectorIsEEZZNS1_9scan_implILNS1_25lookback_scan_determinismE0ELb0ELb0ES3_N6thrust23THRUST_200600_302600_NS6detail15normal_iteratorINS9_10device_ptrIsEEEESE_sNS9_4plusIsEEsEEDaPvRmT3_T4_T5_mT6_P12ihipStream_tbENKUlT_T0_E_clISt17integral_constantIbLb1EEST_IbLb0EEEEDaSP_SQ_EUlSP_E_NS1_11comp_targetILNS1_3genE2ELNS1_11target_archE906ELNS1_3gpuE6ELNS1_3repE0EEENS1_30default_config_static_selectorELNS0_4arch9wavefront6targetE1EEEvT1_ ; -- Begin function _ZN7rocprim17ROCPRIM_400000_NS6detail17trampoline_kernelINS0_14default_configENS1_20scan_config_selectorIsEEZZNS1_9scan_implILNS1_25lookback_scan_determinismE0ELb0ELb0ES3_N6thrust23THRUST_200600_302600_NS6detail15normal_iteratorINS9_10device_ptrIsEEEESE_sNS9_4plusIsEEsEEDaPvRmT3_T4_T5_mT6_P12ihipStream_tbENKUlT_T0_E_clISt17integral_constantIbLb1EEST_IbLb0EEEEDaSP_SQ_EUlSP_E_NS1_11comp_targetILNS1_3genE2ELNS1_11target_archE906ELNS1_3gpuE6ELNS1_3repE0EEENS1_30default_config_static_selectorELNS0_4arch9wavefront6targetE1EEEvT1_
	.globl	_ZN7rocprim17ROCPRIM_400000_NS6detail17trampoline_kernelINS0_14default_configENS1_20scan_config_selectorIsEEZZNS1_9scan_implILNS1_25lookback_scan_determinismE0ELb0ELb0ES3_N6thrust23THRUST_200600_302600_NS6detail15normal_iteratorINS9_10device_ptrIsEEEESE_sNS9_4plusIsEEsEEDaPvRmT3_T4_T5_mT6_P12ihipStream_tbENKUlT_T0_E_clISt17integral_constantIbLb1EEST_IbLb0EEEEDaSP_SQ_EUlSP_E_NS1_11comp_targetILNS1_3genE2ELNS1_11target_archE906ELNS1_3gpuE6ELNS1_3repE0EEENS1_30default_config_static_selectorELNS0_4arch9wavefront6targetE1EEEvT1_
	.p2align	8
	.type	_ZN7rocprim17ROCPRIM_400000_NS6detail17trampoline_kernelINS0_14default_configENS1_20scan_config_selectorIsEEZZNS1_9scan_implILNS1_25lookback_scan_determinismE0ELb0ELb0ES3_N6thrust23THRUST_200600_302600_NS6detail15normal_iteratorINS9_10device_ptrIsEEEESE_sNS9_4plusIsEEsEEDaPvRmT3_T4_T5_mT6_P12ihipStream_tbENKUlT_T0_E_clISt17integral_constantIbLb1EEST_IbLb0EEEEDaSP_SQ_EUlSP_E_NS1_11comp_targetILNS1_3genE2ELNS1_11target_archE906ELNS1_3gpuE6ELNS1_3repE0EEENS1_30default_config_static_selectorELNS0_4arch9wavefront6targetE1EEEvT1_,@function
_ZN7rocprim17ROCPRIM_400000_NS6detail17trampoline_kernelINS0_14default_configENS1_20scan_config_selectorIsEEZZNS1_9scan_implILNS1_25lookback_scan_determinismE0ELb0ELb0ES3_N6thrust23THRUST_200600_302600_NS6detail15normal_iteratorINS9_10device_ptrIsEEEESE_sNS9_4plusIsEEsEEDaPvRmT3_T4_T5_mT6_P12ihipStream_tbENKUlT_T0_E_clISt17integral_constantIbLb1EEST_IbLb0EEEEDaSP_SQ_EUlSP_E_NS1_11comp_targetILNS1_3genE2ELNS1_11target_archE906ELNS1_3gpuE6ELNS1_3repE0EEENS1_30default_config_static_selectorELNS0_4arch9wavefront6targetE1EEEvT1_: ; @_ZN7rocprim17ROCPRIM_400000_NS6detail17trampoline_kernelINS0_14default_configENS1_20scan_config_selectorIsEEZZNS1_9scan_implILNS1_25lookback_scan_determinismE0ELb0ELb0ES3_N6thrust23THRUST_200600_302600_NS6detail15normal_iteratorINS9_10device_ptrIsEEEESE_sNS9_4plusIsEEsEEDaPvRmT3_T4_T5_mT6_P12ihipStream_tbENKUlT_T0_E_clISt17integral_constantIbLb1EEST_IbLb0EEEEDaSP_SQ_EUlSP_E_NS1_11comp_targetILNS1_3genE2ELNS1_11target_archE906ELNS1_3gpuE6ELNS1_3repE0EEENS1_30default_config_static_selectorELNS0_4arch9wavefront6targetE1EEEvT1_
; %bb.0:
	.section	.rodata,"a",@progbits
	.p2align	6, 0x0
	.amdhsa_kernel _ZN7rocprim17ROCPRIM_400000_NS6detail17trampoline_kernelINS0_14default_configENS1_20scan_config_selectorIsEEZZNS1_9scan_implILNS1_25lookback_scan_determinismE0ELb0ELb0ES3_N6thrust23THRUST_200600_302600_NS6detail15normal_iteratorINS9_10device_ptrIsEEEESE_sNS9_4plusIsEEsEEDaPvRmT3_T4_T5_mT6_P12ihipStream_tbENKUlT_T0_E_clISt17integral_constantIbLb1EEST_IbLb0EEEEDaSP_SQ_EUlSP_E_NS1_11comp_targetILNS1_3genE2ELNS1_11target_archE906ELNS1_3gpuE6ELNS1_3repE0EEENS1_30default_config_static_selectorELNS0_4arch9wavefront6targetE1EEEvT1_
		.amdhsa_group_segment_fixed_size 0
		.amdhsa_private_segment_fixed_size 0
		.amdhsa_kernarg_size 96
		.amdhsa_user_sgpr_count 6
		.amdhsa_user_sgpr_private_segment_buffer 1
		.amdhsa_user_sgpr_dispatch_ptr 0
		.amdhsa_user_sgpr_queue_ptr 0
		.amdhsa_user_sgpr_kernarg_segment_ptr 1
		.amdhsa_user_sgpr_dispatch_id 0
		.amdhsa_user_sgpr_flat_scratch_init 0
		.amdhsa_user_sgpr_kernarg_preload_length 0
		.amdhsa_user_sgpr_kernarg_preload_offset 0
		.amdhsa_user_sgpr_private_segment_size 0
		.amdhsa_uses_dynamic_stack 0
		.amdhsa_system_sgpr_private_segment_wavefront_offset 0
		.amdhsa_system_sgpr_workgroup_id_x 1
		.amdhsa_system_sgpr_workgroup_id_y 0
		.amdhsa_system_sgpr_workgroup_id_z 0
		.amdhsa_system_sgpr_workgroup_info 0
		.amdhsa_system_vgpr_workitem_id 0
		.amdhsa_next_free_vgpr 1
		.amdhsa_next_free_sgpr 0
		.amdhsa_accum_offset 4
		.amdhsa_reserve_vcc 0
		.amdhsa_reserve_flat_scratch 0
		.amdhsa_float_round_mode_32 0
		.amdhsa_float_round_mode_16_64 0
		.amdhsa_float_denorm_mode_32 3
		.amdhsa_float_denorm_mode_16_64 3
		.amdhsa_dx10_clamp 1
		.amdhsa_ieee_mode 1
		.amdhsa_fp16_overflow 0
		.amdhsa_tg_split 0
		.amdhsa_exception_fp_ieee_invalid_op 0
		.amdhsa_exception_fp_denorm_src 0
		.amdhsa_exception_fp_ieee_div_zero 0
		.amdhsa_exception_fp_ieee_overflow 0
		.amdhsa_exception_fp_ieee_underflow 0
		.amdhsa_exception_fp_ieee_inexact 0
		.amdhsa_exception_int_div_zero 0
	.end_amdhsa_kernel
	.section	.text._ZN7rocprim17ROCPRIM_400000_NS6detail17trampoline_kernelINS0_14default_configENS1_20scan_config_selectorIsEEZZNS1_9scan_implILNS1_25lookback_scan_determinismE0ELb0ELb0ES3_N6thrust23THRUST_200600_302600_NS6detail15normal_iteratorINS9_10device_ptrIsEEEESE_sNS9_4plusIsEEsEEDaPvRmT3_T4_T5_mT6_P12ihipStream_tbENKUlT_T0_E_clISt17integral_constantIbLb1EEST_IbLb0EEEEDaSP_SQ_EUlSP_E_NS1_11comp_targetILNS1_3genE2ELNS1_11target_archE906ELNS1_3gpuE6ELNS1_3repE0EEENS1_30default_config_static_selectorELNS0_4arch9wavefront6targetE1EEEvT1_,"axG",@progbits,_ZN7rocprim17ROCPRIM_400000_NS6detail17trampoline_kernelINS0_14default_configENS1_20scan_config_selectorIsEEZZNS1_9scan_implILNS1_25lookback_scan_determinismE0ELb0ELb0ES3_N6thrust23THRUST_200600_302600_NS6detail15normal_iteratorINS9_10device_ptrIsEEEESE_sNS9_4plusIsEEsEEDaPvRmT3_T4_T5_mT6_P12ihipStream_tbENKUlT_T0_E_clISt17integral_constantIbLb1EEST_IbLb0EEEEDaSP_SQ_EUlSP_E_NS1_11comp_targetILNS1_3genE2ELNS1_11target_archE906ELNS1_3gpuE6ELNS1_3repE0EEENS1_30default_config_static_selectorELNS0_4arch9wavefront6targetE1EEEvT1_,comdat
.Lfunc_end1091:
	.size	_ZN7rocprim17ROCPRIM_400000_NS6detail17trampoline_kernelINS0_14default_configENS1_20scan_config_selectorIsEEZZNS1_9scan_implILNS1_25lookback_scan_determinismE0ELb0ELb0ES3_N6thrust23THRUST_200600_302600_NS6detail15normal_iteratorINS9_10device_ptrIsEEEESE_sNS9_4plusIsEEsEEDaPvRmT3_T4_T5_mT6_P12ihipStream_tbENKUlT_T0_E_clISt17integral_constantIbLb1EEST_IbLb0EEEEDaSP_SQ_EUlSP_E_NS1_11comp_targetILNS1_3genE2ELNS1_11target_archE906ELNS1_3gpuE6ELNS1_3repE0EEENS1_30default_config_static_selectorELNS0_4arch9wavefront6targetE1EEEvT1_, .Lfunc_end1091-_ZN7rocprim17ROCPRIM_400000_NS6detail17trampoline_kernelINS0_14default_configENS1_20scan_config_selectorIsEEZZNS1_9scan_implILNS1_25lookback_scan_determinismE0ELb0ELb0ES3_N6thrust23THRUST_200600_302600_NS6detail15normal_iteratorINS9_10device_ptrIsEEEESE_sNS9_4plusIsEEsEEDaPvRmT3_T4_T5_mT6_P12ihipStream_tbENKUlT_T0_E_clISt17integral_constantIbLb1EEST_IbLb0EEEEDaSP_SQ_EUlSP_E_NS1_11comp_targetILNS1_3genE2ELNS1_11target_archE906ELNS1_3gpuE6ELNS1_3repE0EEENS1_30default_config_static_selectorELNS0_4arch9wavefront6targetE1EEEvT1_
                                        ; -- End function
	.section	.AMDGPU.csdata,"",@progbits
; Kernel info:
; codeLenInByte = 0
; NumSgprs: 4
; NumVgprs: 0
; NumAgprs: 0
; TotalNumVgprs: 0
; ScratchSize: 0
; MemoryBound: 0
; FloatMode: 240
; IeeeMode: 1
; LDSByteSize: 0 bytes/workgroup (compile time only)
; SGPRBlocks: 0
; VGPRBlocks: 0
; NumSGPRsForWavesPerEU: 4
; NumVGPRsForWavesPerEU: 1
; AccumOffset: 4
; Occupancy: 8
; WaveLimiterHint : 0
; COMPUTE_PGM_RSRC2:SCRATCH_EN: 0
; COMPUTE_PGM_RSRC2:USER_SGPR: 6
; COMPUTE_PGM_RSRC2:TRAP_HANDLER: 0
; COMPUTE_PGM_RSRC2:TGID_X_EN: 1
; COMPUTE_PGM_RSRC2:TGID_Y_EN: 0
; COMPUTE_PGM_RSRC2:TGID_Z_EN: 0
; COMPUTE_PGM_RSRC2:TIDIG_COMP_CNT: 0
; COMPUTE_PGM_RSRC3_GFX90A:ACCUM_OFFSET: 0
; COMPUTE_PGM_RSRC3_GFX90A:TG_SPLIT: 0
	.section	.text._ZN7rocprim17ROCPRIM_400000_NS6detail17trampoline_kernelINS0_14default_configENS1_20scan_config_selectorIsEEZZNS1_9scan_implILNS1_25lookback_scan_determinismE0ELb0ELb0ES3_N6thrust23THRUST_200600_302600_NS6detail15normal_iteratorINS9_10device_ptrIsEEEESE_sNS9_4plusIsEEsEEDaPvRmT3_T4_T5_mT6_P12ihipStream_tbENKUlT_T0_E_clISt17integral_constantIbLb1EEST_IbLb0EEEEDaSP_SQ_EUlSP_E_NS1_11comp_targetILNS1_3genE10ELNS1_11target_archE1201ELNS1_3gpuE5ELNS1_3repE0EEENS1_30default_config_static_selectorELNS0_4arch9wavefront6targetE1EEEvT1_,"axG",@progbits,_ZN7rocprim17ROCPRIM_400000_NS6detail17trampoline_kernelINS0_14default_configENS1_20scan_config_selectorIsEEZZNS1_9scan_implILNS1_25lookback_scan_determinismE0ELb0ELb0ES3_N6thrust23THRUST_200600_302600_NS6detail15normal_iteratorINS9_10device_ptrIsEEEESE_sNS9_4plusIsEEsEEDaPvRmT3_T4_T5_mT6_P12ihipStream_tbENKUlT_T0_E_clISt17integral_constantIbLb1EEST_IbLb0EEEEDaSP_SQ_EUlSP_E_NS1_11comp_targetILNS1_3genE10ELNS1_11target_archE1201ELNS1_3gpuE5ELNS1_3repE0EEENS1_30default_config_static_selectorELNS0_4arch9wavefront6targetE1EEEvT1_,comdat
	.protected	_ZN7rocprim17ROCPRIM_400000_NS6detail17trampoline_kernelINS0_14default_configENS1_20scan_config_selectorIsEEZZNS1_9scan_implILNS1_25lookback_scan_determinismE0ELb0ELb0ES3_N6thrust23THRUST_200600_302600_NS6detail15normal_iteratorINS9_10device_ptrIsEEEESE_sNS9_4plusIsEEsEEDaPvRmT3_T4_T5_mT6_P12ihipStream_tbENKUlT_T0_E_clISt17integral_constantIbLb1EEST_IbLb0EEEEDaSP_SQ_EUlSP_E_NS1_11comp_targetILNS1_3genE10ELNS1_11target_archE1201ELNS1_3gpuE5ELNS1_3repE0EEENS1_30default_config_static_selectorELNS0_4arch9wavefront6targetE1EEEvT1_ ; -- Begin function _ZN7rocprim17ROCPRIM_400000_NS6detail17trampoline_kernelINS0_14default_configENS1_20scan_config_selectorIsEEZZNS1_9scan_implILNS1_25lookback_scan_determinismE0ELb0ELb0ES3_N6thrust23THRUST_200600_302600_NS6detail15normal_iteratorINS9_10device_ptrIsEEEESE_sNS9_4plusIsEEsEEDaPvRmT3_T4_T5_mT6_P12ihipStream_tbENKUlT_T0_E_clISt17integral_constantIbLb1EEST_IbLb0EEEEDaSP_SQ_EUlSP_E_NS1_11comp_targetILNS1_3genE10ELNS1_11target_archE1201ELNS1_3gpuE5ELNS1_3repE0EEENS1_30default_config_static_selectorELNS0_4arch9wavefront6targetE1EEEvT1_
	.globl	_ZN7rocprim17ROCPRIM_400000_NS6detail17trampoline_kernelINS0_14default_configENS1_20scan_config_selectorIsEEZZNS1_9scan_implILNS1_25lookback_scan_determinismE0ELb0ELb0ES3_N6thrust23THRUST_200600_302600_NS6detail15normal_iteratorINS9_10device_ptrIsEEEESE_sNS9_4plusIsEEsEEDaPvRmT3_T4_T5_mT6_P12ihipStream_tbENKUlT_T0_E_clISt17integral_constantIbLb1EEST_IbLb0EEEEDaSP_SQ_EUlSP_E_NS1_11comp_targetILNS1_3genE10ELNS1_11target_archE1201ELNS1_3gpuE5ELNS1_3repE0EEENS1_30default_config_static_selectorELNS0_4arch9wavefront6targetE1EEEvT1_
	.p2align	8
	.type	_ZN7rocprim17ROCPRIM_400000_NS6detail17trampoline_kernelINS0_14default_configENS1_20scan_config_selectorIsEEZZNS1_9scan_implILNS1_25lookback_scan_determinismE0ELb0ELb0ES3_N6thrust23THRUST_200600_302600_NS6detail15normal_iteratorINS9_10device_ptrIsEEEESE_sNS9_4plusIsEEsEEDaPvRmT3_T4_T5_mT6_P12ihipStream_tbENKUlT_T0_E_clISt17integral_constantIbLb1EEST_IbLb0EEEEDaSP_SQ_EUlSP_E_NS1_11comp_targetILNS1_3genE10ELNS1_11target_archE1201ELNS1_3gpuE5ELNS1_3repE0EEENS1_30default_config_static_selectorELNS0_4arch9wavefront6targetE1EEEvT1_,@function
_ZN7rocprim17ROCPRIM_400000_NS6detail17trampoline_kernelINS0_14default_configENS1_20scan_config_selectorIsEEZZNS1_9scan_implILNS1_25lookback_scan_determinismE0ELb0ELb0ES3_N6thrust23THRUST_200600_302600_NS6detail15normal_iteratorINS9_10device_ptrIsEEEESE_sNS9_4plusIsEEsEEDaPvRmT3_T4_T5_mT6_P12ihipStream_tbENKUlT_T0_E_clISt17integral_constantIbLb1EEST_IbLb0EEEEDaSP_SQ_EUlSP_E_NS1_11comp_targetILNS1_3genE10ELNS1_11target_archE1201ELNS1_3gpuE5ELNS1_3repE0EEENS1_30default_config_static_selectorELNS0_4arch9wavefront6targetE1EEEvT1_: ; @_ZN7rocprim17ROCPRIM_400000_NS6detail17trampoline_kernelINS0_14default_configENS1_20scan_config_selectorIsEEZZNS1_9scan_implILNS1_25lookback_scan_determinismE0ELb0ELb0ES3_N6thrust23THRUST_200600_302600_NS6detail15normal_iteratorINS9_10device_ptrIsEEEESE_sNS9_4plusIsEEsEEDaPvRmT3_T4_T5_mT6_P12ihipStream_tbENKUlT_T0_E_clISt17integral_constantIbLb1EEST_IbLb0EEEEDaSP_SQ_EUlSP_E_NS1_11comp_targetILNS1_3genE10ELNS1_11target_archE1201ELNS1_3gpuE5ELNS1_3repE0EEENS1_30default_config_static_selectorELNS0_4arch9wavefront6targetE1EEEvT1_
; %bb.0:
	.section	.rodata,"a",@progbits
	.p2align	6, 0x0
	.amdhsa_kernel _ZN7rocprim17ROCPRIM_400000_NS6detail17trampoline_kernelINS0_14default_configENS1_20scan_config_selectorIsEEZZNS1_9scan_implILNS1_25lookback_scan_determinismE0ELb0ELb0ES3_N6thrust23THRUST_200600_302600_NS6detail15normal_iteratorINS9_10device_ptrIsEEEESE_sNS9_4plusIsEEsEEDaPvRmT3_T4_T5_mT6_P12ihipStream_tbENKUlT_T0_E_clISt17integral_constantIbLb1EEST_IbLb0EEEEDaSP_SQ_EUlSP_E_NS1_11comp_targetILNS1_3genE10ELNS1_11target_archE1201ELNS1_3gpuE5ELNS1_3repE0EEENS1_30default_config_static_selectorELNS0_4arch9wavefront6targetE1EEEvT1_
		.amdhsa_group_segment_fixed_size 0
		.amdhsa_private_segment_fixed_size 0
		.amdhsa_kernarg_size 96
		.amdhsa_user_sgpr_count 6
		.amdhsa_user_sgpr_private_segment_buffer 1
		.amdhsa_user_sgpr_dispatch_ptr 0
		.amdhsa_user_sgpr_queue_ptr 0
		.amdhsa_user_sgpr_kernarg_segment_ptr 1
		.amdhsa_user_sgpr_dispatch_id 0
		.amdhsa_user_sgpr_flat_scratch_init 0
		.amdhsa_user_sgpr_kernarg_preload_length 0
		.amdhsa_user_sgpr_kernarg_preload_offset 0
		.amdhsa_user_sgpr_private_segment_size 0
		.amdhsa_uses_dynamic_stack 0
		.amdhsa_system_sgpr_private_segment_wavefront_offset 0
		.amdhsa_system_sgpr_workgroup_id_x 1
		.amdhsa_system_sgpr_workgroup_id_y 0
		.amdhsa_system_sgpr_workgroup_id_z 0
		.amdhsa_system_sgpr_workgroup_info 0
		.amdhsa_system_vgpr_workitem_id 0
		.amdhsa_next_free_vgpr 1
		.amdhsa_next_free_sgpr 0
		.amdhsa_accum_offset 4
		.amdhsa_reserve_vcc 0
		.amdhsa_reserve_flat_scratch 0
		.amdhsa_float_round_mode_32 0
		.amdhsa_float_round_mode_16_64 0
		.amdhsa_float_denorm_mode_32 3
		.amdhsa_float_denorm_mode_16_64 3
		.amdhsa_dx10_clamp 1
		.amdhsa_ieee_mode 1
		.amdhsa_fp16_overflow 0
		.amdhsa_tg_split 0
		.amdhsa_exception_fp_ieee_invalid_op 0
		.amdhsa_exception_fp_denorm_src 0
		.amdhsa_exception_fp_ieee_div_zero 0
		.amdhsa_exception_fp_ieee_overflow 0
		.amdhsa_exception_fp_ieee_underflow 0
		.amdhsa_exception_fp_ieee_inexact 0
		.amdhsa_exception_int_div_zero 0
	.end_amdhsa_kernel
	.section	.text._ZN7rocprim17ROCPRIM_400000_NS6detail17trampoline_kernelINS0_14default_configENS1_20scan_config_selectorIsEEZZNS1_9scan_implILNS1_25lookback_scan_determinismE0ELb0ELb0ES3_N6thrust23THRUST_200600_302600_NS6detail15normal_iteratorINS9_10device_ptrIsEEEESE_sNS9_4plusIsEEsEEDaPvRmT3_T4_T5_mT6_P12ihipStream_tbENKUlT_T0_E_clISt17integral_constantIbLb1EEST_IbLb0EEEEDaSP_SQ_EUlSP_E_NS1_11comp_targetILNS1_3genE10ELNS1_11target_archE1201ELNS1_3gpuE5ELNS1_3repE0EEENS1_30default_config_static_selectorELNS0_4arch9wavefront6targetE1EEEvT1_,"axG",@progbits,_ZN7rocprim17ROCPRIM_400000_NS6detail17trampoline_kernelINS0_14default_configENS1_20scan_config_selectorIsEEZZNS1_9scan_implILNS1_25lookback_scan_determinismE0ELb0ELb0ES3_N6thrust23THRUST_200600_302600_NS6detail15normal_iteratorINS9_10device_ptrIsEEEESE_sNS9_4plusIsEEsEEDaPvRmT3_T4_T5_mT6_P12ihipStream_tbENKUlT_T0_E_clISt17integral_constantIbLb1EEST_IbLb0EEEEDaSP_SQ_EUlSP_E_NS1_11comp_targetILNS1_3genE10ELNS1_11target_archE1201ELNS1_3gpuE5ELNS1_3repE0EEENS1_30default_config_static_selectorELNS0_4arch9wavefront6targetE1EEEvT1_,comdat
.Lfunc_end1092:
	.size	_ZN7rocprim17ROCPRIM_400000_NS6detail17trampoline_kernelINS0_14default_configENS1_20scan_config_selectorIsEEZZNS1_9scan_implILNS1_25lookback_scan_determinismE0ELb0ELb0ES3_N6thrust23THRUST_200600_302600_NS6detail15normal_iteratorINS9_10device_ptrIsEEEESE_sNS9_4plusIsEEsEEDaPvRmT3_T4_T5_mT6_P12ihipStream_tbENKUlT_T0_E_clISt17integral_constantIbLb1EEST_IbLb0EEEEDaSP_SQ_EUlSP_E_NS1_11comp_targetILNS1_3genE10ELNS1_11target_archE1201ELNS1_3gpuE5ELNS1_3repE0EEENS1_30default_config_static_selectorELNS0_4arch9wavefront6targetE1EEEvT1_, .Lfunc_end1092-_ZN7rocprim17ROCPRIM_400000_NS6detail17trampoline_kernelINS0_14default_configENS1_20scan_config_selectorIsEEZZNS1_9scan_implILNS1_25lookback_scan_determinismE0ELb0ELb0ES3_N6thrust23THRUST_200600_302600_NS6detail15normal_iteratorINS9_10device_ptrIsEEEESE_sNS9_4plusIsEEsEEDaPvRmT3_T4_T5_mT6_P12ihipStream_tbENKUlT_T0_E_clISt17integral_constantIbLb1EEST_IbLb0EEEEDaSP_SQ_EUlSP_E_NS1_11comp_targetILNS1_3genE10ELNS1_11target_archE1201ELNS1_3gpuE5ELNS1_3repE0EEENS1_30default_config_static_selectorELNS0_4arch9wavefront6targetE1EEEvT1_
                                        ; -- End function
	.section	.AMDGPU.csdata,"",@progbits
; Kernel info:
; codeLenInByte = 0
; NumSgprs: 4
; NumVgprs: 0
; NumAgprs: 0
; TotalNumVgprs: 0
; ScratchSize: 0
; MemoryBound: 0
; FloatMode: 240
; IeeeMode: 1
; LDSByteSize: 0 bytes/workgroup (compile time only)
; SGPRBlocks: 0
; VGPRBlocks: 0
; NumSGPRsForWavesPerEU: 4
; NumVGPRsForWavesPerEU: 1
; AccumOffset: 4
; Occupancy: 8
; WaveLimiterHint : 0
; COMPUTE_PGM_RSRC2:SCRATCH_EN: 0
; COMPUTE_PGM_RSRC2:USER_SGPR: 6
; COMPUTE_PGM_RSRC2:TRAP_HANDLER: 0
; COMPUTE_PGM_RSRC2:TGID_X_EN: 1
; COMPUTE_PGM_RSRC2:TGID_Y_EN: 0
; COMPUTE_PGM_RSRC2:TGID_Z_EN: 0
; COMPUTE_PGM_RSRC2:TIDIG_COMP_CNT: 0
; COMPUTE_PGM_RSRC3_GFX90A:ACCUM_OFFSET: 0
; COMPUTE_PGM_RSRC3_GFX90A:TG_SPLIT: 0
	.section	.text._ZN7rocprim17ROCPRIM_400000_NS6detail17trampoline_kernelINS0_14default_configENS1_20scan_config_selectorIsEEZZNS1_9scan_implILNS1_25lookback_scan_determinismE0ELb0ELb0ES3_N6thrust23THRUST_200600_302600_NS6detail15normal_iteratorINS9_10device_ptrIsEEEESE_sNS9_4plusIsEEsEEDaPvRmT3_T4_T5_mT6_P12ihipStream_tbENKUlT_T0_E_clISt17integral_constantIbLb1EEST_IbLb0EEEEDaSP_SQ_EUlSP_E_NS1_11comp_targetILNS1_3genE10ELNS1_11target_archE1200ELNS1_3gpuE4ELNS1_3repE0EEENS1_30default_config_static_selectorELNS0_4arch9wavefront6targetE1EEEvT1_,"axG",@progbits,_ZN7rocprim17ROCPRIM_400000_NS6detail17trampoline_kernelINS0_14default_configENS1_20scan_config_selectorIsEEZZNS1_9scan_implILNS1_25lookback_scan_determinismE0ELb0ELb0ES3_N6thrust23THRUST_200600_302600_NS6detail15normal_iteratorINS9_10device_ptrIsEEEESE_sNS9_4plusIsEEsEEDaPvRmT3_T4_T5_mT6_P12ihipStream_tbENKUlT_T0_E_clISt17integral_constantIbLb1EEST_IbLb0EEEEDaSP_SQ_EUlSP_E_NS1_11comp_targetILNS1_3genE10ELNS1_11target_archE1200ELNS1_3gpuE4ELNS1_3repE0EEENS1_30default_config_static_selectorELNS0_4arch9wavefront6targetE1EEEvT1_,comdat
	.protected	_ZN7rocprim17ROCPRIM_400000_NS6detail17trampoline_kernelINS0_14default_configENS1_20scan_config_selectorIsEEZZNS1_9scan_implILNS1_25lookback_scan_determinismE0ELb0ELb0ES3_N6thrust23THRUST_200600_302600_NS6detail15normal_iteratorINS9_10device_ptrIsEEEESE_sNS9_4plusIsEEsEEDaPvRmT3_T4_T5_mT6_P12ihipStream_tbENKUlT_T0_E_clISt17integral_constantIbLb1EEST_IbLb0EEEEDaSP_SQ_EUlSP_E_NS1_11comp_targetILNS1_3genE10ELNS1_11target_archE1200ELNS1_3gpuE4ELNS1_3repE0EEENS1_30default_config_static_selectorELNS0_4arch9wavefront6targetE1EEEvT1_ ; -- Begin function _ZN7rocprim17ROCPRIM_400000_NS6detail17trampoline_kernelINS0_14default_configENS1_20scan_config_selectorIsEEZZNS1_9scan_implILNS1_25lookback_scan_determinismE0ELb0ELb0ES3_N6thrust23THRUST_200600_302600_NS6detail15normal_iteratorINS9_10device_ptrIsEEEESE_sNS9_4plusIsEEsEEDaPvRmT3_T4_T5_mT6_P12ihipStream_tbENKUlT_T0_E_clISt17integral_constantIbLb1EEST_IbLb0EEEEDaSP_SQ_EUlSP_E_NS1_11comp_targetILNS1_3genE10ELNS1_11target_archE1200ELNS1_3gpuE4ELNS1_3repE0EEENS1_30default_config_static_selectorELNS0_4arch9wavefront6targetE1EEEvT1_
	.globl	_ZN7rocprim17ROCPRIM_400000_NS6detail17trampoline_kernelINS0_14default_configENS1_20scan_config_selectorIsEEZZNS1_9scan_implILNS1_25lookback_scan_determinismE0ELb0ELb0ES3_N6thrust23THRUST_200600_302600_NS6detail15normal_iteratorINS9_10device_ptrIsEEEESE_sNS9_4plusIsEEsEEDaPvRmT3_T4_T5_mT6_P12ihipStream_tbENKUlT_T0_E_clISt17integral_constantIbLb1EEST_IbLb0EEEEDaSP_SQ_EUlSP_E_NS1_11comp_targetILNS1_3genE10ELNS1_11target_archE1200ELNS1_3gpuE4ELNS1_3repE0EEENS1_30default_config_static_selectorELNS0_4arch9wavefront6targetE1EEEvT1_
	.p2align	8
	.type	_ZN7rocprim17ROCPRIM_400000_NS6detail17trampoline_kernelINS0_14default_configENS1_20scan_config_selectorIsEEZZNS1_9scan_implILNS1_25lookback_scan_determinismE0ELb0ELb0ES3_N6thrust23THRUST_200600_302600_NS6detail15normal_iteratorINS9_10device_ptrIsEEEESE_sNS9_4plusIsEEsEEDaPvRmT3_T4_T5_mT6_P12ihipStream_tbENKUlT_T0_E_clISt17integral_constantIbLb1EEST_IbLb0EEEEDaSP_SQ_EUlSP_E_NS1_11comp_targetILNS1_3genE10ELNS1_11target_archE1200ELNS1_3gpuE4ELNS1_3repE0EEENS1_30default_config_static_selectorELNS0_4arch9wavefront6targetE1EEEvT1_,@function
_ZN7rocprim17ROCPRIM_400000_NS6detail17trampoline_kernelINS0_14default_configENS1_20scan_config_selectorIsEEZZNS1_9scan_implILNS1_25lookback_scan_determinismE0ELb0ELb0ES3_N6thrust23THRUST_200600_302600_NS6detail15normal_iteratorINS9_10device_ptrIsEEEESE_sNS9_4plusIsEEsEEDaPvRmT3_T4_T5_mT6_P12ihipStream_tbENKUlT_T0_E_clISt17integral_constantIbLb1EEST_IbLb0EEEEDaSP_SQ_EUlSP_E_NS1_11comp_targetILNS1_3genE10ELNS1_11target_archE1200ELNS1_3gpuE4ELNS1_3repE0EEENS1_30default_config_static_selectorELNS0_4arch9wavefront6targetE1EEEvT1_: ; @_ZN7rocprim17ROCPRIM_400000_NS6detail17trampoline_kernelINS0_14default_configENS1_20scan_config_selectorIsEEZZNS1_9scan_implILNS1_25lookback_scan_determinismE0ELb0ELb0ES3_N6thrust23THRUST_200600_302600_NS6detail15normal_iteratorINS9_10device_ptrIsEEEESE_sNS9_4plusIsEEsEEDaPvRmT3_T4_T5_mT6_P12ihipStream_tbENKUlT_T0_E_clISt17integral_constantIbLb1EEST_IbLb0EEEEDaSP_SQ_EUlSP_E_NS1_11comp_targetILNS1_3genE10ELNS1_11target_archE1200ELNS1_3gpuE4ELNS1_3repE0EEENS1_30default_config_static_selectorELNS0_4arch9wavefront6targetE1EEEvT1_
; %bb.0:
	.section	.rodata,"a",@progbits
	.p2align	6, 0x0
	.amdhsa_kernel _ZN7rocprim17ROCPRIM_400000_NS6detail17trampoline_kernelINS0_14default_configENS1_20scan_config_selectorIsEEZZNS1_9scan_implILNS1_25lookback_scan_determinismE0ELb0ELb0ES3_N6thrust23THRUST_200600_302600_NS6detail15normal_iteratorINS9_10device_ptrIsEEEESE_sNS9_4plusIsEEsEEDaPvRmT3_T4_T5_mT6_P12ihipStream_tbENKUlT_T0_E_clISt17integral_constantIbLb1EEST_IbLb0EEEEDaSP_SQ_EUlSP_E_NS1_11comp_targetILNS1_3genE10ELNS1_11target_archE1200ELNS1_3gpuE4ELNS1_3repE0EEENS1_30default_config_static_selectorELNS0_4arch9wavefront6targetE1EEEvT1_
		.amdhsa_group_segment_fixed_size 0
		.amdhsa_private_segment_fixed_size 0
		.amdhsa_kernarg_size 96
		.amdhsa_user_sgpr_count 6
		.amdhsa_user_sgpr_private_segment_buffer 1
		.amdhsa_user_sgpr_dispatch_ptr 0
		.amdhsa_user_sgpr_queue_ptr 0
		.amdhsa_user_sgpr_kernarg_segment_ptr 1
		.amdhsa_user_sgpr_dispatch_id 0
		.amdhsa_user_sgpr_flat_scratch_init 0
		.amdhsa_user_sgpr_kernarg_preload_length 0
		.amdhsa_user_sgpr_kernarg_preload_offset 0
		.amdhsa_user_sgpr_private_segment_size 0
		.amdhsa_uses_dynamic_stack 0
		.amdhsa_system_sgpr_private_segment_wavefront_offset 0
		.amdhsa_system_sgpr_workgroup_id_x 1
		.amdhsa_system_sgpr_workgroup_id_y 0
		.amdhsa_system_sgpr_workgroup_id_z 0
		.amdhsa_system_sgpr_workgroup_info 0
		.amdhsa_system_vgpr_workitem_id 0
		.amdhsa_next_free_vgpr 1
		.amdhsa_next_free_sgpr 0
		.amdhsa_accum_offset 4
		.amdhsa_reserve_vcc 0
		.amdhsa_reserve_flat_scratch 0
		.amdhsa_float_round_mode_32 0
		.amdhsa_float_round_mode_16_64 0
		.amdhsa_float_denorm_mode_32 3
		.amdhsa_float_denorm_mode_16_64 3
		.amdhsa_dx10_clamp 1
		.amdhsa_ieee_mode 1
		.amdhsa_fp16_overflow 0
		.amdhsa_tg_split 0
		.amdhsa_exception_fp_ieee_invalid_op 0
		.amdhsa_exception_fp_denorm_src 0
		.amdhsa_exception_fp_ieee_div_zero 0
		.amdhsa_exception_fp_ieee_overflow 0
		.amdhsa_exception_fp_ieee_underflow 0
		.amdhsa_exception_fp_ieee_inexact 0
		.amdhsa_exception_int_div_zero 0
	.end_amdhsa_kernel
	.section	.text._ZN7rocprim17ROCPRIM_400000_NS6detail17trampoline_kernelINS0_14default_configENS1_20scan_config_selectorIsEEZZNS1_9scan_implILNS1_25lookback_scan_determinismE0ELb0ELb0ES3_N6thrust23THRUST_200600_302600_NS6detail15normal_iteratorINS9_10device_ptrIsEEEESE_sNS9_4plusIsEEsEEDaPvRmT3_T4_T5_mT6_P12ihipStream_tbENKUlT_T0_E_clISt17integral_constantIbLb1EEST_IbLb0EEEEDaSP_SQ_EUlSP_E_NS1_11comp_targetILNS1_3genE10ELNS1_11target_archE1200ELNS1_3gpuE4ELNS1_3repE0EEENS1_30default_config_static_selectorELNS0_4arch9wavefront6targetE1EEEvT1_,"axG",@progbits,_ZN7rocprim17ROCPRIM_400000_NS6detail17trampoline_kernelINS0_14default_configENS1_20scan_config_selectorIsEEZZNS1_9scan_implILNS1_25lookback_scan_determinismE0ELb0ELb0ES3_N6thrust23THRUST_200600_302600_NS6detail15normal_iteratorINS9_10device_ptrIsEEEESE_sNS9_4plusIsEEsEEDaPvRmT3_T4_T5_mT6_P12ihipStream_tbENKUlT_T0_E_clISt17integral_constantIbLb1EEST_IbLb0EEEEDaSP_SQ_EUlSP_E_NS1_11comp_targetILNS1_3genE10ELNS1_11target_archE1200ELNS1_3gpuE4ELNS1_3repE0EEENS1_30default_config_static_selectorELNS0_4arch9wavefront6targetE1EEEvT1_,comdat
.Lfunc_end1093:
	.size	_ZN7rocprim17ROCPRIM_400000_NS6detail17trampoline_kernelINS0_14default_configENS1_20scan_config_selectorIsEEZZNS1_9scan_implILNS1_25lookback_scan_determinismE0ELb0ELb0ES3_N6thrust23THRUST_200600_302600_NS6detail15normal_iteratorINS9_10device_ptrIsEEEESE_sNS9_4plusIsEEsEEDaPvRmT3_T4_T5_mT6_P12ihipStream_tbENKUlT_T0_E_clISt17integral_constantIbLb1EEST_IbLb0EEEEDaSP_SQ_EUlSP_E_NS1_11comp_targetILNS1_3genE10ELNS1_11target_archE1200ELNS1_3gpuE4ELNS1_3repE0EEENS1_30default_config_static_selectorELNS0_4arch9wavefront6targetE1EEEvT1_, .Lfunc_end1093-_ZN7rocprim17ROCPRIM_400000_NS6detail17trampoline_kernelINS0_14default_configENS1_20scan_config_selectorIsEEZZNS1_9scan_implILNS1_25lookback_scan_determinismE0ELb0ELb0ES3_N6thrust23THRUST_200600_302600_NS6detail15normal_iteratorINS9_10device_ptrIsEEEESE_sNS9_4plusIsEEsEEDaPvRmT3_T4_T5_mT6_P12ihipStream_tbENKUlT_T0_E_clISt17integral_constantIbLb1EEST_IbLb0EEEEDaSP_SQ_EUlSP_E_NS1_11comp_targetILNS1_3genE10ELNS1_11target_archE1200ELNS1_3gpuE4ELNS1_3repE0EEENS1_30default_config_static_selectorELNS0_4arch9wavefront6targetE1EEEvT1_
                                        ; -- End function
	.section	.AMDGPU.csdata,"",@progbits
; Kernel info:
; codeLenInByte = 0
; NumSgprs: 4
; NumVgprs: 0
; NumAgprs: 0
; TotalNumVgprs: 0
; ScratchSize: 0
; MemoryBound: 0
; FloatMode: 240
; IeeeMode: 1
; LDSByteSize: 0 bytes/workgroup (compile time only)
; SGPRBlocks: 0
; VGPRBlocks: 0
; NumSGPRsForWavesPerEU: 4
; NumVGPRsForWavesPerEU: 1
; AccumOffset: 4
; Occupancy: 8
; WaveLimiterHint : 0
; COMPUTE_PGM_RSRC2:SCRATCH_EN: 0
; COMPUTE_PGM_RSRC2:USER_SGPR: 6
; COMPUTE_PGM_RSRC2:TRAP_HANDLER: 0
; COMPUTE_PGM_RSRC2:TGID_X_EN: 1
; COMPUTE_PGM_RSRC2:TGID_Y_EN: 0
; COMPUTE_PGM_RSRC2:TGID_Z_EN: 0
; COMPUTE_PGM_RSRC2:TIDIG_COMP_CNT: 0
; COMPUTE_PGM_RSRC3_GFX90A:ACCUM_OFFSET: 0
; COMPUTE_PGM_RSRC3_GFX90A:TG_SPLIT: 0
	.section	.text._ZN7rocprim17ROCPRIM_400000_NS6detail17trampoline_kernelINS0_14default_configENS1_20scan_config_selectorIsEEZZNS1_9scan_implILNS1_25lookback_scan_determinismE0ELb0ELb0ES3_N6thrust23THRUST_200600_302600_NS6detail15normal_iteratorINS9_10device_ptrIsEEEESE_sNS9_4plusIsEEsEEDaPvRmT3_T4_T5_mT6_P12ihipStream_tbENKUlT_T0_E_clISt17integral_constantIbLb1EEST_IbLb0EEEEDaSP_SQ_EUlSP_E_NS1_11comp_targetILNS1_3genE9ELNS1_11target_archE1100ELNS1_3gpuE3ELNS1_3repE0EEENS1_30default_config_static_selectorELNS0_4arch9wavefront6targetE1EEEvT1_,"axG",@progbits,_ZN7rocprim17ROCPRIM_400000_NS6detail17trampoline_kernelINS0_14default_configENS1_20scan_config_selectorIsEEZZNS1_9scan_implILNS1_25lookback_scan_determinismE0ELb0ELb0ES3_N6thrust23THRUST_200600_302600_NS6detail15normal_iteratorINS9_10device_ptrIsEEEESE_sNS9_4plusIsEEsEEDaPvRmT3_T4_T5_mT6_P12ihipStream_tbENKUlT_T0_E_clISt17integral_constantIbLb1EEST_IbLb0EEEEDaSP_SQ_EUlSP_E_NS1_11comp_targetILNS1_3genE9ELNS1_11target_archE1100ELNS1_3gpuE3ELNS1_3repE0EEENS1_30default_config_static_selectorELNS0_4arch9wavefront6targetE1EEEvT1_,comdat
	.protected	_ZN7rocprim17ROCPRIM_400000_NS6detail17trampoline_kernelINS0_14default_configENS1_20scan_config_selectorIsEEZZNS1_9scan_implILNS1_25lookback_scan_determinismE0ELb0ELb0ES3_N6thrust23THRUST_200600_302600_NS6detail15normal_iteratorINS9_10device_ptrIsEEEESE_sNS9_4plusIsEEsEEDaPvRmT3_T4_T5_mT6_P12ihipStream_tbENKUlT_T0_E_clISt17integral_constantIbLb1EEST_IbLb0EEEEDaSP_SQ_EUlSP_E_NS1_11comp_targetILNS1_3genE9ELNS1_11target_archE1100ELNS1_3gpuE3ELNS1_3repE0EEENS1_30default_config_static_selectorELNS0_4arch9wavefront6targetE1EEEvT1_ ; -- Begin function _ZN7rocprim17ROCPRIM_400000_NS6detail17trampoline_kernelINS0_14default_configENS1_20scan_config_selectorIsEEZZNS1_9scan_implILNS1_25lookback_scan_determinismE0ELb0ELb0ES3_N6thrust23THRUST_200600_302600_NS6detail15normal_iteratorINS9_10device_ptrIsEEEESE_sNS9_4plusIsEEsEEDaPvRmT3_T4_T5_mT6_P12ihipStream_tbENKUlT_T0_E_clISt17integral_constantIbLb1EEST_IbLb0EEEEDaSP_SQ_EUlSP_E_NS1_11comp_targetILNS1_3genE9ELNS1_11target_archE1100ELNS1_3gpuE3ELNS1_3repE0EEENS1_30default_config_static_selectorELNS0_4arch9wavefront6targetE1EEEvT1_
	.globl	_ZN7rocprim17ROCPRIM_400000_NS6detail17trampoline_kernelINS0_14default_configENS1_20scan_config_selectorIsEEZZNS1_9scan_implILNS1_25lookback_scan_determinismE0ELb0ELb0ES3_N6thrust23THRUST_200600_302600_NS6detail15normal_iteratorINS9_10device_ptrIsEEEESE_sNS9_4plusIsEEsEEDaPvRmT3_T4_T5_mT6_P12ihipStream_tbENKUlT_T0_E_clISt17integral_constantIbLb1EEST_IbLb0EEEEDaSP_SQ_EUlSP_E_NS1_11comp_targetILNS1_3genE9ELNS1_11target_archE1100ELNS1_3gpuE3ELNS1_3repE0EEENS1_30default_config_static_selectorELNS0_4arch9wavefront6targetE1EEEvT1_
	.p2align	8
	.type	_ZN7rocprim17ROCPRIM_400000_NS6detail17trampoline_kernelINS0_14default_configENS1_20scan_config_selectorIsEEZZNS1_9scan_implILNS1_25lookback_scan_determinismE0ELb0ELb0ES3_N6thrust23THRUST_200600_302600_NS6detail15normal_iteratorINS9_10device_ptrIsEEEESE_sNS9_4plusIsEEsEEDaPvRmT3_T4_T5_mT6_P12ihipStream_tbENKUlT_T0_E_clISt17integral_constantIbLb1EEST_IbLb0EEEEDaSP_SQ_EUlSP_E_NS1_11comp_targetILNS1_3genE9ELNS1_11target_archE1100ELNS1_3gpuE3ELNS1_3repE0EEENS1_30default_config_static_selectorELNS0_4arch9wavefront6targetE1EEEvT1_,@function
_ZN7rocprim17ROCPRIM_400000_NS6detail17trampoline_kernelINS0_14default_configENS1_20scan_config_selectorIsEEZZNS1_9scan_implILNS1_25lookback_scan_determinismE0ELb0ELb0ES3_N6thrust23THRUST_200600_302600_NS6detail15normal_iteratorINS9_10device_ptrIsEEEESE_sNS9_4plusIsEEsEEDaPvRmT3_T4_T5_mT6_P12ihipStream_tbENKUlT_T0_E_clISt17integral_constantIbLb1EEST_IbLb0EEEEDaSP_SQ_EUlSP_E_NS1_11comp_targetILNS1_3genE9ELNS1_11target_archE1100ELNS1_3gpuE3ELNS1_3repE0EEENS1_30default_config_static_selectorELNS0_4arch9wavefront6targetE1EEEvT1_: ; @_ZN7rocprim17ROCPRIM_400000_NS6detail17trampoline_kernelINS0_14default_configENS1_20scan_config_selectorIsEEZZNS1_9scan_implILNS1_25lookback_scan_determinismE0ELb0ELb0ES3_N6thrust23THRUST_200600_302600_NS6detail15normal_iteratorINS9_10device_ptrIsEEEESE_sNS9_4plusIsEEsEEDaPvRmT3_T4_T5_mT6_P12ihipStream_tbENKUlT_T0_E_clISt17integral_constantIbLb1EEST_IbLb0EEEEDaSP_SQ_EUlSP_E_NS1_11comp_targetILNS1_3genE9ELNS1_11target_archE1100ELNS1_3gpuE3ELNS1_3repE0EEENS1_30default_config_static_selectorELNS0_4arch9wavefront6targetE1EEEvT1_
; %bb.0:
	.section	.rodata,"a",@progbits
	.p2align	6, 0x0
	.amdhsa_kernel _ZN7rocprim17ROCPRIM_400000_NS6detail17trampoline_kernelINS0_14default_configENS1_20scan_config_selectorIsEEZZNS1_9scan_implILNS1_25lookback_scan_determinismE0ELb0ELb0ES3_N6thrust23THRUST_200600_302600_NS6detail15normal_iteratorINS9_10device_ptrIsEEEESE_sNS9_4plusIsEEsEEDaPvRmT3_T4_T5_mT6_P12ihipStream_tbENKUlT_T0_E_clISt17integral_constantIbLb1EEST_IbLb0EEEEDaSP_SQ_EUlSP_E_NS1_11comp_targetILNS1_3genE9ELNS1_11target_archE1100ELNS1_3gpuE3ELNS1_3repE0EEENS1_30default_config_static_selectorELNS0_4arch9wavefront6targetE1EEEvT1_
		.amdhsa_group_segment_fixed_size 0
		.amdhsa_private_segment_fixed_size 0
		.amdhsa_kernarg_size 96
		.amdhsa_user_sgpr_count 6
		.amdhsa_user_sgpr_private_segment_buffer 1
		.amdhsa_user_sgpr_dispatch_ptr 0
		.amdhsa_user_sgpr_queue_ptr 0
		.amdhsa_user_sgpr_kernarg_segment_ptr 1
		.amdhsa_user_sgpr_dispatch_id 0
		.amdhsa_user_sgpr_flat_scratch_init 0
		.amdhsa_user_sgpr_kernarg_preload_length 0
		.amdhsa_user_sgpr_kernarg_preload_offset 0
		.amdhsa_user_sgpr_private_segment_size 0
		.amdhsa_uses_dynamic_stack 0
		.amdhsa_system_sgpr_private_segment_wavefront_offset 0
		.amdhsa_system_sgpr_workgroup_id_x 1
		.amdhsa_system_sgpr_workgroup_id_y 0
		.amdhsa_system_sgpr_workgroup_id_z 0
		.amdhsa_system_sgpr_workgroup_info 0
		.amdhsa_system_vgpr_workitem_id 0
		.amdhsa_next_free_vgpr 1
		.amdhsa_next_free_sgpr 0
		.amdhsa_accum_offset 4
		.amdhsa_reserve_vcc 0
		.amdhsa_reserve_flat_scratch 0
		.amdhsa_float_round_mode_32 0
		.amdhsa_float_round_mode_16_64 0
		.amdhsa_float_denorm_mode_32 3
		.amdhsa_float_denorm_mode_16_64 3
		.amdhsa_dx10_clamp 1
		.amdhsa_ieee_mode 1
		.amdhsa_fp16_overflow 0
		.amdhsa_tg_split 0
		.amdhsa_exception_fp_ieee_invalid_op 0
		.amdhsa_exception_fp_denorm_src 0
		.amdhsa_exception_fp_ieee_div_zero 0
		.amdhsa_exception_fp_ieee_overflow 0
		.amdhsa_exception_fp_ieee_underflow 0
		.amdhsa_exception_fp_ieee_inexact 0
		.amdhsa_exception_int_div_zero 0
	.end_amdhsa_kernel
	.section	.text._ZN7rocprim17ROCPRIM_400000_NS6detail17trampoline_kernelINS0_14default_configENS1_20scan_config_selectorIsEEZZNS1_9scan_implILNS1_25lookback_scan_determinismE0ELb0ELb0ES3_N6thrust23THRUST_200600_302600_NS6detail15normal_iteratorINS9_10device_ptrIsEEEESE_sNS9_4plusIsEEsEEDaPvRmT3_T4_T5_mT6_P12ihipStream_tbENKUlT_T0_E_clISt17integral_constantIbLb1EEST_IbLb0EEEEDaSP_SQ_EUlSP_E_NS1_11comp_targetILNS1_3genE9ELNS1_11target_archE1100ELNS1_3gpuE3ELNS1_3repE0EEENS1_30default_config_static_selectorELNS0_4arch9wavefront6targetE1EEEvT1_,"axG",@progbits,_ZN7rocprim17ROCPRIM_400000_NS6detail17trampoline_kernelINS0_14default_configENS1_20scan_config_selectorIsEEZZNS1_9scan_implILNS1_25lookback_scan_determinismE0ELb0ELb0ES3_N6thrust23THRUST_200600_302600_NS6detail15normal_iteratorINS9_10device_ptrIsEEEESE_sNS9_4plusIsEEsEEDaPvRmT3_T4_T5_mT6_P12ihipStream_tbENKUlT_T0_E_clISt17integral_constantIbLb1EEST_IbLb0EEEEDaSP_SQ_EUlSP_E_NS1_11comp_targetILNS1_3genE9ELNS1_11target_archE1100ELNS1_3gpuE3ELNS1_3repE0EEENS1_30default_config_static_selectorELNS0_4arch9wavefront6targetE1EEEvT1_,comdat
.Lfunc_end1094:
	.size	_ZN7rocprim17ROCPRIM_400000_NS6detail17trampoline_kernelINS0_14default_configENS1_20scan_config_selectorIsEEZZNS1_9scan_implILNS1_25lookback_scan_determinismE0ELb0ELb0ES3_N6thrust23THRUST_200600_302600_NS6detail15normal_iteratorINS9_10device_ptrIsEEEESE_sNS9_4plusIsEEsEEDaPvRmT3_T4_T5_mT6_P12ihipStream_tbENKUlT_T0_E_clISt17integral_constantIbLb1EEST_IbLb0EEEEDaSP_SQ_EUlSP_E_NS1_11comp_targetILNS1_3genE9ELNS1_11target_archE1100ELNS1_3gpuE3ELNS1_3repE0EEENS1_30default_config_static_selectorELNS0_4arch9wavefront6targetE1EEEvT1_, .Lfunc_end1094-_ZN7rocprim17ROCPRIM_400000_NS6detail17trampoline_kernelINS0_14default_configENS1_20scan_config_selectorIsEEZZNS1_9scan_implILNS1_25lookback_scan_determinismE0ELb0ELb0ES3_N6thrust23THRUST_200600_302600_NS6detail15normal_iteratorINS9_10device_ptrIsEEEESE_sNS9_4plusIsEEsEEDaPvRmT3_T4_T5_mT6_P12ihipStream_tbENKUlT_T0_E_clISt17integral_constantIbLb1EEST_IbLb0EEEEDaSP_SQ_EUlSP_E_NS1_11comp_targetILNS1_3genE9ELNS1_11target_archE1100ELNS1_3gpuE3ELNS1_3repE0EEENS1_30default_config_static_selectorELNS0_4arch9wavefront6targetE1EEEvT1_
                                        ; -- End function
	.section	.AMDGPU.csdata,"",@progbits
; Kernel info:
; codeLenInByte = 0
; NumSgprs: 4
; NumVgprs: 0
; NumAgprs: 0
; TotalNumVgprs: 0
; ScratchSize: 0
; MemoryBound: 0
; FloatMode: 240
; IeeeMode: 1
; LDSByteSize: 0 bytes/workgroup (compile time only)
; SGPRBlocks: 0
; VGPRBlocks: 0
; NumSGPRsForWavesPerEU: 4
; NumVGPRsForWavesPerEU: 1
; AccumOffset: 4
; Occupancy: 8
; WaveLimiterHint : 0
; COMPUTE_PGM_RSRC2:SCRATCH_EN: 0
; COMPUTE_PGM_RSRC2:USER_SGPR: 6
; COMPUTE_PGM_RSRC2:TRAP_HANDLER: 0
; COMPUTE_PGM_RSRC2:TGID_X_EN: 1
; COMPUTE_PGM_RSRC2:TGID_Y_EN: 0
; COMPUTE_PGM_RSRC2:TGID_Z_EN: 0
; COMPUTE_PGM_RSRC2:TIDIG_COMP_CNT: 0
; COMPUTE_PGM_RSRC3_GFX90A:ACCUM_OFFSET: 0
; COMPUTE_PGM_RSRC3_GFX90A:TG_SPLIT: 0
	.section	.text._ZN7rocprim17ROCPRIM_400000_NS6detail17trampoline_kernelINS0_14default_configENS1_20scan_config_selectorIsEEZZNS1_9scan_implILNS1_25lookback_scan_determinismE0ELb0ELb0ES3_N6thrust23THRUST_200600_302600_NS6detail15normal_iteratorINS9_10device_ptrIsEEEESE_sNS9_4plusIsEEsEEDaPvRmT3_T4_T5_mT6_P12ihipStream_tbENKUlT_T0_E_clISt17integral_constantIbLb1EEST_IbLb0EEEEDaSP_SQ_EUlSP_E_NS1_11comp_targetILNS1_3genE8ELNS1_11target_archE1030ELNS1_3gpuE2ELNS1_3repE0EEENS1_30default_config_static_selectorELNS0_4arch9wavefront6targetE1EEEvT1_,"axG",@progbits,_ZN7rocprim17ROCPRIM_400000_NS6detail17trampoline_kernelINS0_14default_configENS1_20scan_config_selectorIsEEZZNS1_9scan_implILNS1_25lookback_scan_determinismE0ELb0ELb0ES3_N6thrust23THRUST_200600_302600_NS6detail15normal_iteratorINS9_10device_ptrIsEEEESE_sNS9_4plusIsEEsEEDaPvRmT3_T4_T5_mT6_P12ihipStream_tbENKUlT_T0_E_clISt17integral_constantIbLb1EEST_IbLb0EEEEDaSP_SQ_EUlSP_E_NS1_11comp_targetILNS1_3genE8ELNS1_11target_archE1030ELNS1_3gpuE2ELNS1_3repE0EEENS1_30default_config_static_selectorELNS0_4arch9wavefront6targetE1EEEvT1_,comdat
	.protected	_ZN7rocprim17ROCPRIM_400000_NS6detail17trampoline_kernelINS0_14default_configENS1_20scan_config_selectorIsEEZZNS1_9scan_implILNS1_25lookback_scan_determinismE0ELb0ELb0ES3_N6thrust23THRUST_200600_302600_NS6detail15normal_iteratorINS9_10device_ptrIsEEEESE_sNS9_4plusIsEEsEEDaPvRmT3_T4_T5_mT6_P12ihipStream_tbENKUlT_T0_E_clISt17integral_constantIbLb1EEST_IbLb0EEEEDaSP_SQ_EUlSP_E_NS1_11comp_targetILNS1_3genE8ELNS1_11target_archE1030ELNS1_3gpuE2ELNS1_3repE0EEENS1_30default_config_static_selectorELNS0_4arch9wavefront6targetE1EEEvT1_ ; -- Begin function _ZN7rocprim17ROCPRIM_400000_NS6detail17trampoline_kernelINS0_14default_configENS1_20scan_config_selectorIsEEZZNS1_9scan_implILNS1_25lookback_scan_determinismE0ELb0ELb0ES3_N6thrust23THRUST_200600_302600_NS6detail15normal_iteratorINS9_10device_ptrIsEEEESE_sNS9_4plusIsEEsEEDaPvRmT3_T4_T5_mT6_P12ihipStream_tbENKUlT_T0_E_clISt17integral_constantIbLb1EEST_IbLb0EEEEDaSP_SQ_EUlSP_E_NS1_11comp_targetILNS1_3genE8ELNS1_11target_archE1030ELNS1_3gpuE2ELNS1_3repE0EEENS1_30default_config_static_selectorELNS0_4arch9wavefront6targetE1EEEvT1_
	.globl	_ZN7rocprim17ROCPRIM_400000_NS6detail17trampoline_kernelINS0_14default_configENS1_20scan_config_selectorIsEEZZNS1_9scan_implILNS1_25lookback_scan_determinismE0ELb0ELb0ES3_N6thrust23THRUST_200600_302600_NS6detail15normal_iteratorINS9_10device_ptrIsEEEESE_sNS9_4plusIsEEsEEDaPvRmT3_T4_T5_mT6_P12ihipStream_tbENKUlT_T0_E_clISt17integral_constantIbLb1EEST_IbLb0EEEEDaSP_SQ_EUlSP_E_NS1_11comp_targetILNS1_3genE8ELNS1_11target_archE1030ELNS1_3gpuE2ELNS1_3repE0EEENS1_30default_config_static_selectorELNS0_4arch9wavefront6targetE1EEEvT1_
	.p2align	8
	.type	_ZN7rocprim17ROCPRIM_400000_NS6detail17trampoline_kernelINS0_14default_configENS1_20scan_config_selectorIsEEZZNS1_9scan_implILNS1_25lookback_scan_determinismE0ELb0ELb0ES3_N6thrust23THRUST_200600_302600_NS6detail15normal_iteratorINS9_10device_ptrIsEEEESE_sNS9_4plusIsEEsEEDaPvRmT3_T4_T5_mT6_P12ihipStream_tbENKUlT_T0_E_clISt17integral_constantIbLb1EEST_IbLb0EEEEDaSP_SQ_EUlSP_E_NS1_11comp_targetILNS1_3genE8ELNS1_11target_archE1030ELNS1_3gpuE2ELNS1_3repE0EEENS1_30default_config_static_selectorELNS0_4arch9wavefront6targetE1EEEvT1_,@function
_ZN7rocprim17ROCPRIM_400000_NS6detail17trampoline_kernelINS0_14default_configENS1_20scan_config_selectorIsEEZZNS1_9scan_implILNS1_25lookback_scan_determinismE0ELb0ELb0ES3_N6thrust23THRUST_200600_302600_NS6detail15normal_iteratorINS9_10device_ptrIsEEEESE_sNS9_4plusIsEEsEEDaPvRmT3_T4_T5_mT6_P12ihipStream_tbENKUlT_T0_E_clISt17integral_constantIbLb1EEST_IbLb0EEEEDaSP_SQ_EUlSP_E_NS1_11comp_targetILNS1_3genE8ELNS1_11target_archE1030ELNS1_3gpuE2ELNS1_3repE0EEENS1_30default_config_static_selectorELNS0_4arch9wavefront6targetE1EEEvT1_: ; @_ZN7rocprim17ROCPRIM_400000_NS6detail17trampoline_kernelINS0_14default_configENS1_20scan_config_selectorIsEEZZNS1_9scan_implILNS1_25lookback_scan_determinismE0ELb0ELb0ES3_N6thrust23THRUST_200600_302600_NS6detail15normal_iteratorINS9_10device_ptrIsEEEESE_sNS9_4plusIsEEsEEDaPvRmT3_T4_T5_mT6_P12ihipStream_tbENKUlT_T0_E_clISt17integral_constantIbLb1EEST_IbLb0EEEEDaSP_SQ_EUlSP_E_NS1_11comp_targetILNS1_3genE8ELNS1_11target_archE1030ELNS1_3gpuE2ELNS1_3repE0EEENS1_30default_config_static_selectorELNS0_4arch9wavefront6targetE1EEEvT1_
; %bb.0:
	.section	.rodata,"a",@progbits
	.p2align	6, 0x0
	.amdhsa_kernel _ZN7rocprim17ROCPRIM_400000_NS6detail17trampoline_kernelINS0_14default_configENS1_20scan_config_selectorIsEEZZNS1_9scan_implILNS1_25lookback_scan_determinismE0ELb0ELb0ES3_N6thrust23THRUST_200600_302600_NS6detail15normal_iteratorINS9_10device_ptrIsEEEESE_sNS9_4plusIsEEsEEDaPvRmT3_T4_T5_mT6_P12ihipStream_tbENKUlT_T0_E_clISt17integral_constantIbLb1EEST_IbLb0EEEEDaSP_SQ_EUlSP_E_NS1_11comp_targetILNS1_3genE8ELNS1_11target_archE1030ELNS1_3gpuE2ELNS1_3repE0EEENS1_30default_config_static_selectorELNS0_4arch9wavefront6targetE1EEEvT1_
		.amdhsa_group_segment_fixed_size 0
		.amdhsa_private_segment_fixed_size 0
		.amdhsa_kernarg_size 96
		.amdhsa_user_sgpr_count 6
		.amdhsa_user_sgpr_private_segment_buffer 1
		.amdhsa_user_sgpr_dispatch_ptr 0
		.amdhsa_user_sgpr_queue_ptr 0
		.amdhsa_user_sgpr_kernarg_segment_ptr 1
		.amdhsa_user_sgpr_dispatch_id 0
		.amdhsa_user_sgpr_flat_scratch_init 0
		.amdhsa_user_sgpr_kernarg_preload_length 0
		.amdhsa_user_sgpr_kernarg_preload_offset 0
		.amdhsa_user_sgpr_private_segment_size 0
		.amdhsa_uses_dynamic_stack 0
		.amdhsa_system_sgpr_private_segment_wavefront_offset 0
		.amdhsa_system_sgpr_workgroup_id_x 1
		.amdhsa_system_sgpr_workgroup_id_y 0
		.amdhsa_system_sgpr_workgroup_id_z 0
		.amdhsa_system_sgpr_workgroup_info 0
		.amdhsa_system_vgpr_workitem_id 0
		.amdhsa_next_free_vgpr 1
		.amdhsa_next_free_sgpr 0
		.amdhsa_accum_offset 4
		.amdhsa_reserve_vcc 0
		.amdhsa_reserve_flat_scratch 0
		.amdhsa_float_round_mode_32 0
		.amdhsa_float_round_mode_16_64 0
		.amdhsa_float_denorm_mode_32 3
		.amdhsa_float_denorm_mode_16_64 3
		.amdhsa_dx10_clamp 1
		.amdhsa_ieee_mode 1
		.amdhsa_fp16_overflow 0
		.amdhsa_tg_split 0
		.amdhsa_exception_fp_ieee_invalid_op 0
		.amdhsa_exception_fp_denorm_src 0
		.amdhsa_exception_fp_ieee_div_zero 0
		.amdhsa_exception_fp_ieee_overflow 0
		.amdhsa_exception_fp_ieee_underflow 0
		.amdhsa_exception_fp_ieee_inexact 0
		.amdhsa_exception_int_div_zero 0
	.end_amdhsa_kernel
	.section	.text._ZN7rocprim17ROCPRIM_400000_NS6detail17trampoline_kernelINS0_14default_configENS1_20scan_config_selectorIsEEZZNS1_9scan_implILNS1_25lookback_scan_determinismE0ELb0ELb0ES3_N6thrust23THRUST_200600_302600_NS6detail15normal_iteratorINS9_10device_ptrIsEEEESE_sNS9_4plusIsEEsEEDaPvRmT3_T4_T5_mT6_P12ihipStream_tbENKUlT_T0_E_clISt17integral_constantIbLb1EEST_IbLb0EEEEDaSP_SQ_EUlSP_E_NS1_11comp_targetILNS1_3genE8ELNS1_11target_archE1030ELNS1_3gpuE2ELNS1_3repE0EEENS1_30default_config_static_selectorELNS0_4arch9wavefront6targetE1EEEvT1_,"axG",@progbits,_ZN7rocprim17ROCPRIM_400000_NS6detail17trampoline_kernelINS0_14default_configENS1_20scan_config_selectorIsEEZZNS1_9scan_implILNS1_25lookback_scan_determinismE0ELb0ELb0ES3_N6thrust23THRUST_200600_302600_NS6detail15normal_iteratorINS9_10device_ptrIsEEEESE_sNS9_4plusIsEEsEEDaPvRmT3_T4_T5_mT6_P12ihipStream_tbENKUlT_T0_E_clISt17integral_constantIbLb1EEST_IbLb0EEEEDaSP_SQ_EUlSP_E_NS1_11comp_targetILNS1_3genE8ELNS1_11target_archE1030ELNS1_3gpuE2ELNS1_3repE0EEENS1_30default_config_static_selectorELNS0_4arch9wavefront6targetE1EEEvT1_,comdat
.Lfunc_end1095:
	.size	_ZN7rocprim17ROCPRIM_400000_NS6detail17trampoline_kernelINS0_14default_configENS1_20scan_config_selectorIsEEZZNS1_9scan_implILNS1_25lookback_scan_determinismE0ELb0ELb0ES3_N6thrust23THRUST_200600_302600_NS6detail15normal_iteratorINS9_10device_ptrIsEEEESE_sNS9_4plusIsEEsEEDaPvRmT3_T4_T5_mT6_P12ihipStream_tbENKUlT_T0_E_clISt17integral_constantIbLb1EEST_IbLb0EEEEDaSP_SQ_EUlSP_E_NS1_11comp_targetILNS1_3genE8ELNS1_11target_archE1030ELNS1_3gpuE2ELNS1_3repE0EEENS1_30default_config_static_selectorELNS0_4arch9wavefront6targetE1EEEvT1_, .Lfunc_end1095-_ZN7rocprim17ROCPRIM_400000_NS6detail17trampoline_kernelINS0_14default_configENS1_20scan_config_selectorIsEEZZNS1_9scan_implILNS1_25lookback_scan_determinismE0ELb0ELb0ES3_N6thrust23THRUST_200600_302600_NS6detail15normal_iteratorINS9_10device_ptrIsEEEESE_sNS9_4plusIsEEsEEDaPvRmT3_T4_T5_mT6_P12ihipStream_tbENKUlT_T0_E_clISt17integral_constantIbLb1EEST_IbLb0EEEEDaSP_SQ_EUlSP_E_NS1_11comp_targetILNS1_3genE8ELNS1_11target_archE1030ELNS1_3gpuE2ELNS1_3repE0EEENS1_30default_config_static_selectorELNS0_4arch9wavefront6targetE1EEEvT1_
                                        ; -- End function
	.section	.AMDGPU.csdata,"",@progbits
; Kernel info:
; codeLenInByte = 0
; NumSgprs: 4
; NumVgprs: 0
; NumAgprs: 0
; TotalNumVgprs: 0
; ScratchSize: 0
; MemoryBound: 0
; FloatMode: 240
; IeeeMode: 1
; LDSByteSize: 0 bytes/workgroup (compile time only)
; SGPRBlocks: 0
; VGPRBlocks: 0
; NumSGPRsForWavesPerEU: 4
; NumVGPRsForWavesPerEU: 1
; AccumOffset: 4
; Occupancy: 8
; WaveLimiterHint : 0
; COMPUTE_PGM_RSRC2:SCRATCH_EN: 0
; COMPUTE_PGM_RSRC2:USER_SGPR: 6
; COMPUTE_PGM_RSRC2:TRAP_HANDLER: 0
; COMPUTE_PGM_RSRC2:TGID_X_EN: 1
; COMPUTE_PGM_RSRC2:TGID_Y_EN: 0
; COMPUTE_PGM_RSRC2:TGID_Z_EN: 0
; COMPUTE_PGM_RSRC2:TIDIG_COMP_CNT: 0
; COMPUTE_PGM_RSRC3_GFX90A:ACCUM_OFFSET: 0
; COMPUTE_PGM_RSRC3_GFX90A:TG_SPLIT: 0
	.section	.text._ZN7rocprim17ROCPRIM_400000_NS6detail17trampoline_kernelINS0_14default_configENS1_20scan_config_selectorIsEEZZNS1_9scan_implILNS1_25lookback_scan_determinismE0ELb0ELb0ES3_N6thrust23THRUST_200600_302600_NS6detail15normal_iteratorINS9_10device_ptrIsEEEESE_sNS9_4plusIsEEsEEDaPvRmT3_T4_T5_mT6_P12ihipStream_tbENKUlT_T0_E_clISt17integral_constantIbLb1EEST_IbLb0EEEEDaSP_SQ_EUlSP_E0_NS1_11comp_targetILNS1_3genE0ELNS1_11target_archE4294967295ELNS1_3gpuE0ELNS1_3repE0EEENS1_30default_config_static_selectorELNS0_4arch9wavefront6targetE1EEEvT1_,"axG",@progbits,_ZN7rocprim17ROCPRIM_400000_NS6detail17trampoline_kernelINS0_14default_configENS1_20scan_config_selectorIsEEZZNS1_9scan_implILNS1_25lookback_scan_determinismE0ELb0ELb0ES3_N6thrust23THRUST_200600_302600_NS6detail15normal_iteratorINS9_10device_ptrIsEEEESE_sNS9_4plusIsEEsEEDaPvRmT3_T4_T5_mT6_P12ihipStream_tbENKUlT_T0_E_clISt17integral_constantIbLb1EEST_IbLb0EEEEDaSP_SQ_EUlSP_E0_NS1_11comp_targetILNS1_3genE0ELNS1_11target_archE4294967295ELNS1_3gpuE0ELNS1_3repE0EEENS1_30default_config_static_selectorELNS0_4arch9wavefront6targetE1EEEvT1_,comdat
	.protected	_ZN7rocprim17ROCPRIM_400000_NS6detail17trampoline_kernelINS0_14default_configENS1_20scan_config_selectorIsEEZZNS1_9scan_implILNS1_25lookback_scan_determinismE0ELb0ELb0ES3_N6thrust23THRUST_200600_302600_NS6detail15normal_iteratorINS9_10device_ptrIsEEEESE_sNS9_4plusIsEEsEEDaPvRmT3_T4_T5_mT6_P12ihipStream_tbENKUlT_T0_E_clISt17integral_constantIbLb1EEST_IbLb0EEEEDaSP_SQ_EUlSP_E0_NS1_11comp_targetILNS1_3genE0ELNS1_11target_archE4294967295ELNS1_3gpuE0ELNS1_3repE0EEENS1_30default_config_static_selectorELNS0_4arch9wavefront6targetE1EEEvT1_ ; -- Begin function _ZN7rocprim17ROCPRIM_400000_NS6detail17trampoline_kernelINS0_14default_configENS1_20scan_config_selectorIsEEZZNS1_9scan_implILNS1_25lookback_scan_determinismE0ELb0ELb0ES3_N6thrust23THRUST_200600_302600_NS6detail15normal_iteratorINS9_10device_ptrIsEEEESE_sNS9_4plusIsEEsEEDaPvRmT3_T4_T5_mT6_P12ihipStream_tbENKUlT_T0_E_clISt17integral_constantIbLb1EEST_IbLb0EEEEDaSP_SQ_EUlSP_E0_NS1_11comp_targetILNS1_3genE0ELNS1_11target_archE4294967295ELNS1_3gpuE0ELNS1_3repE0EEENS1_30default_config_static_selectorELNS0_4arch9wavefront6targetE1EEEvT1_
	.globl	_ZN7rocprim17ROCPRIM_400000_NS6detail17trampoline_kernelINS0_14default_configENS1_20scan_config_selectorIsEEZZNS1_9scan_implILNS1_25lookback_scan_determinismE0ELb0ELb0ES3_N6thrust23THRUST_200600_302600_NS6detail15normal_iteratorINS9_10device_ptrIsEEEESE_sNS9_4plusIsEEsEEDaPvRmT3_T4_T5_mT6_P12ihipStream_tbENKUlT_T0_E_clISt17integral_constantIbLb1EEST_IbLb0EEEEDaSP_SQ_EUlSP_E0_NS1_11comp_targetILNS1_3genE0ELNS1_11target_archE4294967295ELNS1_3gpuE0ELNS1_3repE0EEENS1_30default_config_static_selectorELNS0_4arch9wavefront6targetE1EEEvT1_
	.p2align	8
	.type	_ZN7rocprim17ROCPRIM_400000_NS6detail17trampoline_kernelINS0_14default_configENS1_20scan_config_selectorIsEEZZNS1_9scan_implILNS1_25lookback_scan_determinismE0ELb0ELb0ES3_N6thrust23THRUST_200600_302600_NS6detail15normal_iteratorINS9_10device_ptrIsEEEESE_sNS9_4plusIsEEsEEDaPvRmT3_T4_T5_mT6_P12ihipStream_tbENKUlT_T0_E_clISt17integral_constantIbLb1EEST_IbLb0EEEEDaSP_SQ_EUlSP_E0_NS1_11comp_targetILNS1_3genE0ELNS1_11target_archE4294967295ELNS1_3gpuE0ELNS1_3repE0EEENS1_30default_config_static_selectorELNS0_4arch9wavefront6targetE1EEEvT1_,@function
_ZN7rocprim17ROCPRIM_400000_NS6detail17trampoline_kernelINS0_14default_configENS1_20scan_config_selectorIsEEZZNS1_9scan_implILNS1_25lookback_scan_determinismE0ELb0ELb0ES3_N6thrust23THRUST_200600_302600_NS6detail15normal_iteratorINS9_10device_ptrIsEEEESE_sNS9_4plusIsEEsEEDaPvRmT3_T4_T5_mT6_P12ihipStream_tbENKUlT_T0_E_clISt17integral_constantIbLb1EEST_IbLb0EEEEDaSP_SQ_EUlSP_E0_NS1_11comp_targetILNS1_3genE0ELNS1_11target_archE4294967295ELNS1_3gpuE0ELNS1_3repE0EEENS1_30default_config_static_selectorELNS0_4arch9wavefront6targetE1EEEvT1_: ; @_ZN7rocprim17ROCPRIM_400000_NS6detail17trampoline_kernelINS0_14default_configENS1_20scan_config_selectorIsEEZZNS1_9scan_implILNS1_25lookback_scan_determinismE0ELb0ELb0ES3_N6thrust23THRUST_200600_302600_NS6detail15normal_iteratorINS9_10device_ptrIsEEEESE_sNS9_4plusIsEEsEEDaPvRmT3_T4_T5_mT6_P12ihipStream_tbENKUlT_T0_E_clISt17integral_constantIbLb1EEST_IbLb0EEEEDaSP_SQ_EUlSP_E0_NS1_11comp_targetILNS1_3genE0ELNS1_11target_archE4294967295ELNS1_3gpuE0ELNS1_3repE0EEENS1_30default_config_static_selectorELNS0_4arch9wavefront6targetE1EEEvT1_
; %bb.0:
	.section	.rodata,"a",@progbits
	.p2align	6, 0x0
	.amdhsa_kernel _ZN7rocprim17ROCPRIM_400000_NS6detail17trampoline_kernelINS0_14default_configENS1_20scan_config_selectorIsEEZZNS1_9scan_implILNS1_25lookback_scan_determinismE0ELb0ELb0ES3_N6thrust23THRUST_200600_302600_NS6detail15normal_iteratorINS9_10device_ptrIsEEEESE_sNS9_4plusIsEEsEEDaPvRmT3_T4_T5_mT6_P12ihipStream_tbENKUlT_T0_E_clISt17integral_constantIbLb1EEST_IbLb0EEEEDaSP_SQ_EUlSP_E0_NS1_11comp_targetILNS1_3genE0ELNS1_11target_archE4294967295ELNS1_3gpuE0ELNS1_3repE0EEENS1_30default_config_static_selectorELNS0_4arch9wavefront6targetE1EEEvT1_
		.amdhsa_group_segment_fixed_size 0
		.amdhsa_private_segment_fixed_size 0
		.amdhsa_kernarg_size 32
		.amdhsa_user_sgpr_count 6
		.amdhsa_user_sgpr_private_segment_buffer 1
		.amdhsa_user_sgpr_dispatch_ptr 0
		.amdhsa_user_sgpr_queue_ptr 0
		.amdhsa_user_sgpr_kernarg_segment_ptr 1
		.amdhsa_user_sgpr_dispatch_id 0
		.amdhsa_user_sgpr_flat_scratch_init 0
		.amdhsa_user_sgpr_kernarg_preload_length 0
		.amdhsa_user_sgpr_kernarg_preload_offset 0
		.amdhsa_user_sgpr_private_segment_size 0
		.amdhsa_uses_dynamic_stack 0
		.amdhsa_system_sgpr_private_segment_wavefront_offset 0
		.amdhsa_system_sgpr_workgroup_id_x 1
		.amdhsa_system_sgpr_workgroup_id_y 0
		.amdhsa_system_sgpr_workgroup_id_z 0
		.amdhsa_system_sgpr_workgroup_info 0
		.amdhsa_system_vgpr_workitem_id 0
		.amdhsa_next_free_vgpr 1
		.amdhsa_next_free_sgpr 0
		.amdhsa_accum_offset 4
		.amdhsa_reserve_vcc 0
		.amdhsa_reserve_flat_scratch 0
		.amdhsa_float_round_mode_32 0
		.amdhsa_float_round_mode_16_64 0
		.amdhsa_float_denorm_mode_32 3
		.amdhsa_float_denorm_mode_16_64 3
		.amdhsa_dx10_clamp 1
		.amdhsa_ieee_mode 1
		.amdhsa_fp16_overflow 0
		.amdhsa_tg_split 0
		.amdhsa_exception_fp_ieee_invalid_op 0
		.amdhsa_exception_fp_denorm_src 0
		.amdhsa_exception_fp_ieee_div_zero 0
		.amdhsa_exception_fp_ieee_overflow 0
		.amdhsa_exception_fp_ieee_underflow 0
		.amdhsa_exception_fp_ieee_inexact 0
		.amdhsa_exception_int_div_zero 0
	.end_amdhsa_kernel
	.section	.text._ZN7rocprim17ROCPRIM_400000_NS6detail17trampoline_kernelINS0_14default_configENS1_20scan_config_selectorIsEEZZNS1_9scan_implILNS1_25lookback_scan_determinismE0ELb0ELb0ES3_N6thrust23THRUST_200600_302600_NS6detail15normal_iteratorINS9_10device_ptrIsEEEESE_sNS9_4plusIsEEsEEDaPvRmT3_T4_T5_mT6_P12ihipStream_tbENKUlT_T0_E_clISt17integral_constantIbLb1EEST_IbLb0EEEEDaSP_SQ_EUlSP_E0_NS1_11comp_targetILNS1_3genE0ELNS1_11target_archE4294967295ELNS1_3gpuE0ELNS1_3repE0EEENS1_30default_config_static_selectorELNS0_4arch9wavefront6targetE1EEEvT1_,"axG",@progbits,_ZN7rocprim17ROCPRIM_400000_NS6detail17trampoline_kernelINS0_14default_configENS1_20scan_config_selectorIsEEZZNS1_9scan_implILNS1_25lookback_scan_determinismE0ELb0ELb0ES3_N6thrust23THRUST_200600_302600_NS6detail15normal_iteratorINS9_10device_ptrIsEEEESE_sNS9_4plusIsEEsEEDaPvRmT3_T4_T5_mT6_P12ihipStream_tbENKUlT_T0_E_clISt17integral_constantIbLb1EEST_IbLb0EEEEDaSP_SQ_EUlSP_E0_NS1_11comp_targetILNS1_3genE0ELNS1_11target_archE4294967295ELNS1_3gpuE0ELNS1_3repE0EEENS1_30default_config_static_selectorELNS0_4arch9wavefront6targetE1EEEvT1_,comdat
.Lfunc_end1096:
	.size	_ZN7rocprim17ROCPRIM_400000_NS6detail17trampoline_kernelINS0_14default_configENS1_20scan_config_selectorIsEEZZNS1_9scan_implILNS1_25lookback_scan_determinismE0ELb0ELb0ES3_N6thrust23THRUST_200600_302600_NS6detail15normal_iteratorINS9_10device_ptrIsEEEESE_sNS9_4plusIsEEsEEDaPvRmT3_T4_T5_mT6_P12ihipStream_tbENKUlT_T0_E_clISt17integral_constantIbLb1EEST_IbLb0EEEEDaSP_SQ_EUlSP_E0_NS1_11comp_targetILNS1_3genE0ELNS1_11target_archE4294967295ELNS1_3gpuE0ELNS1_3repE0EEENS1_30default_config_static_selectorELNS0_4arch9wavefront6targetE1EEEvT1_, .Lfunc_end1096-_ZN7rocprim17ROCPRIM_400000_NS6detail17trampoline_kernelINS0_14default_configENS1_20scan_config_selectorIsEEZZNS1_9scan_implILNS1_25lookback_scan_determinismE0ELb0ELb0ES3_N6thrust23THRUST_200600_302600_NS6detail15normal_iteratorINS9_10device_ptrIsEEEESE_sNS9_4plusIsEEsEEDaPvRmT3_T4_T5_mT6_P12ihipStream_tbENKUlT_T0_E_clISt17integral_constantIbLb1EEST_IbLb0EEEEDaSP_SQ_EUlSP_E0_NS1_11comp_targetILNS1_3genE0ELNS1_11target_archE4294967295ELNS1_3gpuE0ELNS1_3repE0EEENS1_30default_config_static_selectorELNS0_4arch9wavefront6targetE1EEEvT1_
                                        ; -- End function
	.section	.AMDGPU.csdata,"",@progbits
; Kernel info:
; codeLenInByte = 0
; NumSgprs: 4
; NumVgprs: 0
; NumAgprs: 0
; TotalNumVgprs: 0
; ScratchSize: 0
; MemoryBound: 0
; FloatMode: 240
; IeeeMode: 1
; LDSByteSize: 0 bytes/workgroup (compile time only)
; SGPRBlocks: 0
; VGPRBlocks: 0
; NumSGPRsForWavesPerEU: 4
; NumVGPRsForWavesPerEU: 1
; AccumOffset: 4
; Occupancy: 8
; WaveLimiterHint : 0
; COMPUTE_PGM_RSRC2:SCRATCH_EN: 0
; COMPUTE_PGM_RSRC2:USER_SGPR: 6
; COMPUTE_PGM_RSRC2:TRAP_HANDLER: 0
; COMPUTE_PGM_RSRC2:TGID_X_EN: 1
; COMPUTE_PGM_RSRC2:TGID_Y_EN: 0
; COMPUTE_PGM_RSRC2:TGID_Z_EN: 0
; COMPUTE_PGM_RSRC2:TIDIG_COMP_CNT: 0
; COMPUTE_PGM_RSRC3_GFX90A:ACCUM_OFFSET: 0
; COMPUTE_PGM_RSRC3_GFX90A:TG_SPLIT: 0
	.section	.text._ZN7rocprim17ROCPRIM_400000_NS6detail17trampoline_kernelINS0_14default_configENS1_20scan_config_selectorIsEEZZNS1_9scan_implILNS1_25lookback_scan_determinismE0ELb0ELb0ES3_N6thrust23THRUST_200600_302600_NS6detail15normal_iteratorINS9_10device_ptrIsEEEESE_sNS9_4plusIsEEsEEDaPvRmT3_T4_T5_mT6_P12ihipStream_tbENKUlT_T0_E_clISt17integral_constantIbLb1EEST_IbLb0EEEEDaSP_SQ_EUlSP_E0_NS1_11comp_targetILNS1_3genE5ELNS1_11target_archE942ELNS1_3gpuE9ELNS1_3repE0EEENS1_30default_config_static_selectorELNS0_4arch9wavefront6targetE1EEEvT1_,"axG",@progbits,_ZN7rocprim17ROCPRIM_400000_NS6detail17trampoline_kernelINS0_14default_configENS1_20scan_config_selectorIsEEZZNS1_9scan_implILNS1_25lookback_scan_determinismE0ELb0ELb0ES3_N6thrust23THRUST_200600_302600_NS6detail15normal_iteratorINS9_10device_ptrIsEEEESE_sNS9_4plusIsEEsEEDaPvRmT3_T4_T5_mT6_P12ihipStream_tbENKUlT_T0_E_clISt17integral_constantIbLb1EEST_IbLb0EEEEDaSP_SQ_EUlSP_E0_NS1_11comp_targetILNS1_3genE5ELNS1_11target_archE942ELNS1_3gpuE9ELNS1_3repE0EEENS1_30default_config_static_selectorELNS0_4arch9wavefront6targetE1EEEvT1_,comdat
	.protected	_ZN7rocprim17ROCPRIM_400000_NS6detail17trampoline_kernelINS0_14default_configENS1_20scan_config_selectorIsEEZZNS1_9scan_implILNS1_25lookback_scan_determinismE0ELb0ELb0ES3_N6thrust23THRUST_200600_302600_NS6detail15normal_iteratorINS9_10device_ptrIsEEEESE_sNS9_4plusIsEEsEEDaPvRmT3_T4_T5_mT6_P12ihipStream_tbENKUlT_T0_E_clISt17integral_constantIbLb1EEST_IbLb0EEEEDaSP_SQ_EUlSP_E0_NS1_11comp_targetILNS1_3genE5ELNS1_11target_archE942ELNS1_3gpuE9ELNS1_3repE0EEENS1_30default_config_static_selectorELNS0_4arch9wavefront6targetE1EEEvT1_ ; -- Begin function _ZN7rocprim17ROCPRIM_400000_NS6detail17trampoline_kernelINS0_14default_configENS1_20scan_config_selectorIsEEZZNS1_9scan_implILNS1_25lookback_scan_determinismE0ELb0ELb0ES3_N6thrust23THRUST_200600_302600_NS6detail15normal_iteratorINS9_10device_ptrIsEEEESE_sNS9_4plusIsEEsEEDaPvRmT3_T4_T5_mT6_P12ihipStream_tbENKUlT_T0_E_clISt17integral_constantIbLb1EEST_IbLb0EEEEDaSP_SQ_EUlSP_E0_NS1_11comp_targetILNS1_3genE5ELNS1_11target_archE942ELNS1_3gpuE9ELNS1_3repE0EEENS1_30default_config_static_selectorELNS0_4arch9wavefront6targetE1EEEvT1_
	.globl	_ZN7rocprim17ROCPRIM_400000_NS6detail17trampoline_kernelINS0_14default_configENS1_20scan_config_selectorIsEEZZNS1_9scan_implILNS1_25lookback_scan_determinismE0ELb0ELb0ES3_N6thrust23THRUST_200600_302600_NS6detail15normal_iteratorINS9_10device_ptrIsEEEESE_sNS9_4plusIsEEsEEDaPvRmT3_T4_T5_mT6_P12ihipStream_tbENKUlT_T0_E_clISt17integral_constantIbLb1EEST_IbLb0EEEEDaSP_SQ_EUlSP_E0_NS1_11comp_targetILNS1_3genE5ELNS1_11target_archE942ELNS1_3gpuE9ELNS1_3repE0EEENS1_30default_config_static_selectorELNS0_4arch9wavefront6targetE1EEEvT1_
	.p2align	8
	.type	_ZN7rocprim17ROCPRIM_400000_NS6detail17trampoline_kernelINS0_14default_configENS1_20scan_config_selectorIsEEZZNS1_9scan_implILNS1_25lookback_scan_determinismE0ELb0ELb0ES3_N6thrust23THRUST_200600_302600_NS6detail15normal_iteratorINS9_10device_ptrIsEEEESE_sNS9_4plusIsEEsEEDaPvRmT3_T4_T5_mT6_P12ihipStream_tbENKUlT_T0_E_clISt17integral_constantIbLb1EEST_IbLb0EEEEDaSP_SQ_EUlSP_E0_NS1_11comp_targetILNS1_3genE5ELNS1_11target_archE942ELNS1_3gpuE9ELNS1_3repE0EEENS1_30default_config_static_selectorELNS0_4arch9wavefront6targetE1EEEvT1_,@function
_ZN7rocprim17ROCPRIM_400000_NS6detail17trampoline_kernelINS0_14default_configENS1_20scan_config_selectorIsEEZZNS1_9scan_implILNS1_25lookback_scan_determinismE0ELb0ELb0ES3_N6thrust23THRUST_200600_302600_NS6detail15normal_iteratorINS9_10device_ptrIsEEEESE_sNS9_4plusIsEEsEEDaPvRmT3_T4_T5_mT6_P12ihipStream_tbENKUlT_T0_E_clISt17integral_constantIbLb1EEST_IbLb0EEEEDaSP_SQ_EUlSP_E0_NS1_11comp_targetILNS1_3genE5ELNS1_11target_archE942ELNS1_3gpuE9ELNS1_3repE0EEENS1_30default_config_static_selectorELNS0_4arch9wavefront6targetE1EEEvT1_: ; @_ZN7rocprim17ROCPRIM_400000_NS6detail17trampoline_kernelINS0_14default_configENS1_20scan_config_selectorIsEEZZNS1_9scan_implILNS1_25lookback_scan_determinismE0ELb0ELb0ES3_N6thrust23THRUST_200600_302600_NS6detail15normal_iteratorINS9_10device_ptrIsEEEESE_sNS9_4plusIsEEsEEDaPvRmT3_T4_T5_mT6_P12ihipStream_tbENKUlT_T0_E_clISt17integral_constantIbLb1EEST_IbLb0EEEEDaSP_SQ_EUlSP_E0_NS1_11comp_targetILNS1_3genE5ELNS1_11target_archE942ELNS1_3gpuE9ELNS1_3repE0EEENS1_30default_config_static_selectorELNS0_4arch9wavefront6targetE1EEEvT1_
; %bb.0:
	.section	.rodata,"a",@progbits
	.p2align	6, 0x0
	.amdhsa_kernel _ZN7rocprim17ROCPRIM_400000_NS6detail17trampoline_kernelINS0_14default_configENS1_20scan_config_selectorIsEEZZNS1_9scan_implILNS1_25lookback_scan_determinismE0ELb0ELb0ES3_N6thrust23THRUST_200600_302600_NS6detail15normal_iteratorINS9_10device_ptrIsEEEESE_sNS9_4plusIsEEsEEDaPvRmT3_T4_T5_mT6_P12ihipStream_tbENKUlT_T0_E_clISt17integral_constantIbLb1EEST_IbLb0EEEEDaSP_SQ_EUlSP_E0_NS1_11comp_targetILNS1_3genE5ELNS1_11target_archE942ELNS1_3gpuE9ELNS1_3repE0EEENS1_30default_config_static_selectorELNS0_4arch9wavefront6targetE1EEEvT1_
		.amdhsa_group_segment_fixed_size 0
		.amdhsa_private_segment_fixed_size 0
		.amdhsa_kernarg_size 32
		.amdhsa_user_sgpr_count 6
		.amdhsa_user_sgpr_private_segment_buffer 1
		.amdhsa_user_sgpr_dispatch_ptr 0
		.amdhsa_user_sgpr_queue_ptr 0
		.amdhsa_user_sgpr_kernarg_segment_ptr 1
		.amdhsa_user_sgpr_dispatch_id 0
		.amdhsa_user_sgpr_flat_scratch_init 0
		.amdhsa_user_sgpr_kernarg_preload_length 0
		.amdhsa_user_sgpr_kernarg_preload_offset 0
		.amdhsa_user_sgpr_private_segment_size 0
		.amdhsa_uses_dynamic_stack 0
		.amdhsa_system_sgpr_private_segment_wavefront_offset 0
		.amdhsa_system_sgpr_workgroup_id_x 1
		.amdhsa_system_sgpr_workgroup_id_y 0
		.amdhsa_system_sgpr_workgroup_id_z 0
		.amdhsa_system_sgpr_workgroup_info 0
		.amdhsa_system_vgpr_workitem_id 0
		.amdhsa_next_free_vgpr 1
		.amdhsa_next_free_sgpr 0
		.amdhsa_accum_offset 4
		.amdhsa_reserve_vcc 0
		.amdhsa_reserve_flat_scratch 0
		.amdhsa_float_round_mode_32 0
		.amdhsa_float_round_mode_16_64 0
		.amdhsa_float_denorm_mode_32 3
		.amdhsa_float_denorm_mode_16_64 3
		.amdhsa_dx10_clamp 1
		.amdhsa_ieee_mode 1
		.amdhsa_fp16_overflow 0
		.amdhsa_tg_split 0
		.amdhsa_exception_fp_ieee_invalid_op 0
		.amdhsa_exception_fp_denorm_src 0
		.amdhsa_exception_fp_ieee_div_zero 0
		.amdhsa_exception_fp_ieee_overflow 0
		.amdhsa_exception_fp_ieee_underflow 0
		.amdhsa_exception_fp_ieee_inexact 0
		.amdhsa_exception_int_div_zero 0
	.end_amdhsa_kernel
	.section	.text._ZN7rocprim17ROCPRIM_400000_NS6detail17trampoline_kernelINS0_14default_configENS1_20scan_config_selectorIsEEZZNS1_9scan_implILNS1_25lookback_scan_determinismE0ELb0ELb0ES3_N6thrust23THRUST_200600_302600_NS6detail15normal_iteratorINS9_10device_ptrIsEEEESE_sNS9_4plusIsEEsEEDaPvRmT3_T4_T5_mT6_P12ihipStream_tbENKUlT_T0_E_clISt17integral_constantIbLb1EEST_IbLb0EEEEDaSP_SQ_EUlSP_E0_NS1_11comp_targetILNS1_3genE5ELNS1_11target_archE942ELNS1_3gpuE9ELNS1_3repE0EEENS1_30default_config_static_selectorELNS0_4arch9wavefront6targetE1EEEvT1_,"axG",@progbits,_ZN7rocprim17ROCPRIM_400000_NS6detail17trampoline_kernelINS0_14default_configENS1_20scan_config_selectorIsEEZZNS1_9scan_implILNS1_25lookback_scan_determinismE0ELb0ELb0ES3_N6thrust23THRUST_200600_302600_NS6detail15normal_iteratorINS9_10device_ptrIsEEEESE_sNS9_4plusIsEEsEEDaPvRmT3_T4_T5_mT6_P12ihipStream_tbENKUlT_T0_E_clISt17integral_constantIbLb1EEST_IbLb0EEEEDaSP_SQ_EUlSP_E0_NS1_11comp_targetILNS1_3genE5ELNS1_11target_archE942ELNS1_3gpuE9ELNS1_3repE0EEENS1_30default_config_static_selectorELNS0_4arch9wavefront6targetE1EEEvT1_,comdat
.Lfunc_end1097:
	.size	_ZN7rocprim17ROCPRIM_400000_NS6detail17trampoline_kernelINS0_14default_configENS1_20scan_config_selectorIsEEZZNS1_9scan_implILNS1_25lookback_scan_determinismE0ELb0ELb0ES3_N6thrust23THRUST_200600_302600_NS6detail15normal_iteratorINS9_10device_ptrIsEEEESE_sNS9_4plusIsEEsEEDaPvRmT3_T4_T5_mT6_P12ihipStream_tbENKUlT_T0_E_clISt17integral_constantIbLb1EEST_IbLb0EEEEDaSP_SQ_EUlSP_E0_NS1_11comp_targetILNS1_3genE5ELNS1_11target_archE942ELNS1_3gpuE9ELNS1_3repE0EEENS1_30default_config_static_selectorELNS0_4arch9wavefront6targetE1EEEvT1_, .Lfunc_end1097-_ZN7rocprim17ROCPRIM_400000_NS6detail17trampoline_kernelINS0_14default_configENS1_20scan_config_selectorIsEEZZNS1_9scan_implILNS1_25lookback_scan_determinismE0ELb0ELb0ES3_N6thrust23THRUST_200600_302600_NS6detail15normal_iteratorINS9_10device_ptrIsEEEESE_sNS9_4plusIsEEsEEDaPvRmT3_T4_T5_mT6_P12ihipStream_tbENKUlT_T0_E_clISt17integral_constantIbLb1EEST_IbLb0EEEEDaSP_SQ_EUlSP_E0_NS1_11comp_targetILNS1_3genE5ELNS1_11target_archE942ELNS1_3gpuE9ELNS1_3repE0EEENS1_30default_config_static_selectorELNS0_4arch9wavefront6targetE1EEEvT1_
                                        ; -- End function
	.section	.AMDGPU.csdata,"",@progbits
; Kernel info:
; codeLenInByte = 0
; NumSgprs: 4
; NumVgprs: 0
; NumAgprs: 0
; TotalNumVgprs: 0
; ScratchSize: 0
; MemoryBound: 0
; FloatMode: 240
; IeeeMode: 1
; LDSByteSize: 0 bytes/workgroup (compile time only)
; SGPRBlocks: 0
; VGPRBlocks: 0
; NumSGPRsForWavesPerEU: 4
; NumVGPRsForWavesPerEU: 1
; AccumOffset: 4
; Occupancy: 8
; WaveLimiterHint : 0
; COMPUTE_PGM_RSRC2:SCRATCH_EN: 0
; COMPUTE_PGM_RSRC2:USER_SGPR: 6
; COMPUTE_PGM_RSRC2:TRAP_HANDLER: 0
; COMPUTE_PGM_RSRC2:TGID_X_EN: 1
; COMPUTE_PGM_RSRC2:TGID_Y_EN: 0
; COMPUTE_PGM_RSRC2:TGID_Z_EN: 0
; COMPUTE_PGM_RSRC2:TIDIG_COMP_CNT: 0
; COMPUTE_PGM_RSRC3_GFX90A:ACCUM_OFFSET: 0
; COMPUTE_PGM_RSRC3_GFX90A:TG_SPLIT: 0
	.section	.text._ZN7rocprim17ROCPRIM_400000_NS6detail17trampoline_kernelINS0_14default_configENS1_20scan_config_selectorIsEEZZNS1_9scan_implILNS1_25lookback_scan_determinismE0ELb0ELb0ES3_N6thrust23THRUST_200600_302600_NS6detail15normal_iteratorINS9_10device_ptrIsEEEESE_sNS9_4plusIsEEsEEDaPvRmT3_T4_T5_mT6_P12ihipStream_tbENKUlT_T0_E_clISt17integral_constantIbLb1EEST_IbLb0EEEEDaSP_SQ_EUlSP_E0_NS1_11comp_targetILNS1_3genE4ELNS1_11target_archE910ELNS1_3gpuE8ELNS1_3repE0EEENS1_30default_config_static_selectorELNS0_4arch9wavefront6targetE1EEEvT1_,"axG",@progbits,_ZN7rocprim17ROCPRIM_400000_NS6detail17trampoline_kernelINS0_14default_configENS1_20scan_config_selectorIsEEZZNS1_9scan_implILNS1_25lookback_scan_determinismE0ELb0ELb0ES3_N6thrust23THRUST_200600_302600_NS6detail15normal_iteratorINS9_10device_ptrIsEEEESE_sNS9_4plusIsEEsEEDaPvRmT3_T4_T5_mT6_P12ihipStream_tbENKUlT_T0_E_clISt17integral_constantIbLb1EEST_IbLb0EEEEDaSP_SQ_EUlSP_E0_NS1_11comp_targetILNS1_3genE4ELNS1_11target_archE910ELNS1_3gpuE8ELNS1_3repE0EEENS1_30default_config_static_selectorELNS0_4arch9wavefront6targetE1EEEvT1_,comdat
	.protected	_ZN7rocprim17ROCPRIM_400000_NS6detail17trampoline_kernelINS0_14default_configENS1_20scan_config_selectorIsEEZZNS1_9scan_implILNS1_25lookback_scan_determinismE0ELb0ELb0ES3_N6thrust23THRUST_200600_302600_NS6detail15normal_iteratorINS9_10device_ptrIsEEEESE_sNS9_4plusIsEEsEEDaPvRmT3_T4_T5_mT6_P12ihipStream_tbENKUlT_T0_E_clISt17integral_constantIbLb1EEST_IbLb0EEEEDaSP_SQ_EUlSP_E0_NS1_11comp_targetILNS1_3genE4ELNS1_11target_archE910ELNS1_3gpuE8ELNS1_3repE0EEENS1_30default_config_static_selectorELNS0_4arch9wavefront6targetE1EEEvT1_ ; -- Begin function _ZN7rocprim17ROCPRIM_400000_NS6detail17trampoline_kernelINS0_14default_configENS1_20scan_config_selectorIsEEZZNS1_9scan_implILNS1_25lookback_scan_determinismE0ELb0ELb0ES3_N6thrust23THRUST_200600_302600_NS6detail15normal_iteratorINS9_10device_ptrIsEEEESE_sNS9_4plusIsEEsEEDaPvRmT3_T4_T5_mT6_P12ihipStream_tbENKUlT_T0_E_clISt17integral_constantIbLb1EEST_IbLb0EEEEDaSP_SQ_EUlSP_E0_NS1_11comp_targetILNS1_3genE4ELNS1_11target_archE910ELNS1_3gpuE8ELNS1_3repE0EEENS1_30default_config_static_selectorELNS0_4arch9wavefront6targetE1EEEvT1_
	.globl	_ZN7rocprim17ROCPRIM_400000_NS6detail17trampoline_kernelINS0_14default_configENS1_20scan_config_selectorIsEEZZNS1_9scan_implILNS1_25lookback_scan_determinismE0ELb0ELb0ES3_N6thrust23THRUST_200600_302600_NS6detail15normal_iteratorINS9_10device_ptrIsEEEESE_sNS9_4plusIsEEsEEDaPvRmT3_T4_T5_mT6_P12ihipStream_tbENKUlT_T0_E_clISt17integral_constantIbLb1EEST_IbLb0EEEEDaSP_SQ_EUlSP_E0_NS1_11comp_targetILNS1_3genE4ELNS1_11target_archE910ELNS1_3gpuE8ELNS1_3repE0EEENS1_30default_config_static_selectorELNS0_4arch9wavefront6targetE1EEEvT1_
	.p2align	8
	.type	_ZN7rocprim17ROCPRIM_400000_NS6detail17trampoline_kernelINS0_14default_configENS1_20scan_config_selectorIsEEZZNS1_9scan_implILNS1_25lookback_scan_determinismE0ELb0ELb0ES3_N6thrust23THRUST_200600_302600_NS6detail15normal_iteratorINS9_10device_ptrIsEEEESE_sNS9_4plusIsEEsEEDaPvRmT3_T4_T5_mT6_P12ihipStream_tbENKUlT_T0_E_clISt17integral_constantIbLb1EEST_IbLb0EEEEDaSP_SQ_EUlSP_E0_NS1_11comp_targetILNS1_3genE4ELNS1_11target_archE910ELNS1_3gpuE8ELNS1_3repE0EEENS1_30default_config_static_selectorELNS0_4arch9wavefront6targetE1EEEvT1_,@function
_ZN7rocprim17ROCPRIM_400000_NS6detail17trampoline_kernelINS0_14default_configENS1_20scan_config_selectorIsEEZZNS1_9scan_implILNS1_25lookback_scan_determinismE0ELb0ELb0ES3_N6thrust23THRUST_200600_302600_NS6detail15normal_iteratorINS9_10device_ptrIsEEEESE_sNS9_4plusIsEEsEEDaPvRmT3_T4_T5_mT6_P12ihipStream_tbENKUlT_T0_E_clISt17integral_constantIbLb1EEST_IbLb0EEEEDaSP_SQ_EUlSP_E0_NS1_11comp_targetILNS1_3genE4ELNS1_11target_archE910ELNS1_3gpuE8ELNS1_3repE0EEENS1_30default_config_static_selectorELNS0_4arch9wavefront6targetE1EEEvT1_: ; @_ZN7rocprim17ROCPRIM_400000_NS6detail17trampoline_kernelINS0_14default_configENS1_20scan_config_selectorIsEEZZNS1_9scan_implILNS1_25lookback_scan_determinismE0ELb0ELb0ES3_N6thrust23THRUST_200600_302600_NS6detail15normal_iteratorINS9_10device_ptrIsEEEESE_sNS9_4plusIsEEsEEDaPvRmT3_T4_T5_mT6_P12ihipStream_tbENKUlT_T0_E_clISt17integral_constantIbLb1EEST_IbLb0EEEEDaSP_SQ_EUlSP_E0_NS1_11comp_targetILNS1_3genE4ELNS1_11target_archE910ELNS1_3gpuE8ELNS1_3repE0EEENS1_30default_config_static_selectorELNS0_4arch9wavefront6targetE1EEEvT1_
; %bb.0:
	s_load_dwordx4 s[52:55], s[4:5], 0x0
	v_mov_b32_e32 v1, 0
	v_lshlrev_b32_e32 v14, 1, v0
	s_waitcnt lgkmcnt(0)
	global_load_ushort v2, v1, s[52:53]
	v_cmp_gt_u32_e32 vcc, s54, v0
	s_waitcnt vmcnt(0)
	v_mov_b32_e32 v3, v2
	s_and_saveexec_b64 s[0:1], vcc
	s_cbranch_execz .LBB1098_2
; %bb.1:
	global_load_ushort v3, v14, s[52:53]
.LBB1098_2:
	s_or_b64 exec, exec, s[0:1]
	v_or_b32_e32 v1, 64, v0
	v_cmp_gt_u32_e64 s[0:1], s54, v1
	v_mov_b32_e32 v4, v2
	s_and_saveexec_b64 s[2:3], s[0:1]
	s_cbranch_execz .LBB1098_4
; %bb.3:
	global_load_ushort v4, v14, s[52:53] offset:128
.LBB1098_4:
	s_or_b64 exec, exec, s[2:3]
	v_or_b32_e32 v1, 0x80, v0
	v_cmp_gt_u32_e64 s[2:3], s54, v1
	v_mov_b32_e32 v5, v2
	s_and_saveexec_b64 s[6:7], s[2:3]
	s_cbranch_execz .LBB1098_6
; %bb.5:
	global_load_ushort v5, v14, s[52:53] offset:256
.LBB1098_6:
	;; [unrolled: 9-line block ×22, first 2 shown]
	s_or_b64 exec, exec, s[46:47]
	v_or_b32_e32 v1, 0x5c0, v0
	v_cmp_gt_u32_e64 s[46:47], s54, v1
	v_cmp_le_u32_e64 s[50:51], s54, v1
	s_and_saveexec_b64 s[54:55], s[50:51]
	s_xor_b64 s[50:51], exec, s[54:55]
; %bb.47:
	v_mov_b32_e32 v1, 0
; %bb.48:
	s_andn2_saveexec_b64 s[50:51], s[50:51]
	s_cbranch_execz .LBB1098_50
; %bb.49:
	global_load_ushort v2, v14, s[52:53] offset:2944
	v_mov_b32_e32 v1, 0
.LBB1098_50:
	s_or_b64 exec, exec, s[50:51]
	s_waitcnt vmcnt(0)
	ds_write_b16 v14, v3
	ds_write_b16 v14, v4 offset:128
	ds_write_b16 v14, v5 offset:256
	;; [unrolled: 1-line block ×23, first 2 shown]
	v_mad_u32_u24 v6, v0, 46, v14
	s_waitcnt lgkmcnt(0)
	; wave barrier
	s_waitcnt lgkmcnt(0)
	ds_read_b128 v[2:5], v6
	ds_read_b128 v[10:13], v6 offset:16
	ds_read_b128 v[6:9], v6 offset:32
	v_mbcnt_lo_u32_b32 v38, -1, 0
	v_mbcnt_hi_u32_b32 v38, -1, v38
	s_waitcnt lgkmcnt(2)
	v_add_u16_sdwa v15, v2, v2 dst_sel:DWORD dst_unused:UNUSED_PAD src0_sel:WORD_1 src1_sel:DWORD
	v_add_u16_e32 v16, v15, v3
	v_add_u16_sdwa v18, v16, v3 dst_sel:DWORD dst_unused:UNUSED_PAD src0_sel:DWORD src1_sel:WORD_1
	v_add_u16_e32 v20, v18, v4
	v_add_u16_sdwa v22, v20, v4 dst_sel:DWORD dst_unused:UNUSED_PAD src0_sel:DWORD src1_sel:WORD_1
	v_add_u16_e32 v25, v22, v5
	v_add_u16_sdwa v28, v25, v5 dst_sel:DWORD dst_unused:UNUSED_PAD src0_sel:DWORD src1_sel:WORD_1
	s_waitcnt lgkmcnt(1)
	v_add_u16_e32 v17, v28, v10
	v_add_u16_sdwa v19, v17, v10 dst_sel:DWORD dst_unused:UNUSED_PAD src0_sel:DWORD src1_sel:WORD_1
	v_add_u16_e32 v21, v19, v11
	v_add_u16_sdwa v24, v21, v11 dst_sel:DWORD dst_unused:UNUSED_PAD src0_sel:DWORD src1_sel:WORD_1
	v_add_u16_e32 v27, v24, v12
	v_add_u16_sdwa v30, v27, v12 dst_sel:DWORD dst_unused:UNUSED_PAD src0_sel:DWORD src1_sel:WORD_1
	v_add_u16_e32 v32, v30, v13
	v_add_u16_sdwa v34, v32, v13 dst_sel:DWORD dst_unused:UNUSED_PAD src0_sel:DWORD src1_sel:WORD_1
	s_waitcnt lgkmcnt(0)
	v_add_u16_e32 v23, v34, v6
	v_add_u16_sdwa v26, v23, v6 dst_sel:DWORD dst_unused:UNUSED_PAD src0_sel:DWORD src1_sel:WORD_1
	v_add_u16_e32 v29, v26, v7
	v_add_u16_sdwa v31, v29, v7 dst_sel:DWORD dst_unused:UNUSED_PAD src0_sel:DWORD src1_sel:WORD_1
	;; [unrolled: 2-line block ×4, first 2 shown]
	v_and_b32_e32 v39, 15, v38
	s_load_dwordx2 s[50:51], s[4:5], 0x18
	v_mov_b32_dpp v40, v37 row_shr:1 row_mask:0xf bank_mask:0xf
	v_cmp_ne_u32_e64 s[4:5], 0, v39
	v_cndmask_b32_e64 v40, 0, v40, s[4:5]
	v_add_u16_e32 v40, v40, v37
	v_cmp_lt_u32_e64 s[4:5], 1, v39
	s_waitcnt lgkmcnt(0)
	v_mov_b32_dpp v41, v40 row_shr:2 row_mask:0xf bank_mask:0xf
	v_cndmask_b32_e64 v41, 0, v41, s[4:5]
	v_add_u16_e32 v40, v40, v41
	v_cmp_lt_u32_e64 s[4:5], 3, v39
	; wave barrier
	s_nop 0
	v_mov_b32_dpp v41, v40 row_shr:4 row_mask:0xf bank_mask:0xf
	v_cndmask_b32_e64 v41, 0, v41, s[4:5]
	v_add_u16_e32 v40, v40, v41
	v_cmp_lt_u32_e64 s[4:5], 7, v39
	s_nop 0
	v_mov_b32_dpp v41, v40 row_shr:8 row_mask:0xf bank_mask:0xf
	v_cndmask_b32_e64 v39, 0, v41, s[4:5]
	v_add_u16_e32 v39, v40, v39
	v_and_b32_e32 v41, 16, v38
	v_cmp_ne_u32_e64 s[4:5], 0, v41
	v_mov_b32_dpp v40, v39 row_bcast:15 row_mask:0xf bank_mask:0xf
	v_cndmask_b32_e64 v40, 0, v40, s[4:5]
	v_add_u16_e32 v39, v39, v40
	v_cmp_lt_u32_e64 s[4:5], 31, v38
	s_nop 0
	v_mov_b32_dpp v40, v39 row_bcast:31 row_mask:0xf bank_mask:0xf
	v_cndmask_b32_e64 v40, 0, v40, s[4:5]
	v_add_u16_e32 v39, v39, v40
	v_cmp_eq_u32_e64 s[4:5], 63, v0
	s_and_saveexec_b64 s[52:53], s[4:5]
	s_cbranch_execz .LBB1098_52
; %bb.51:
	v_mov_b32_e32 v40, 0
	ds_write_b16 v40, v39
.LBB1098_52:
	s_or_b64 exec, exec, s[52:53]
	v_add_u32_e32 v40, -1, v38
	v_and_b32_e32 v41, 64, v38
	v_cmp_lt_i32_e64 s[4:5], v40, v41
	v_cndmask_b32_e64 v38, v40, v38, s[4:5]
	v_lshlrev_b32_e32 v38, 2, v38
	ds_bpermute_b32 v39, v38, v39
	v_mul_u32_u24_e32 v38, 46, v0
	v_cmp_ne_u32_e64 s[4:5], 0, v0
	s_waitcnt lgkmcnt(0)
	; wave barrier
	s_waitcnt lgkmcnt(0)
	s_and_saveexec_b64 s[52:53], s[4:5]
	s_cbranch_execz .LBB1098_54
; %bb.53:
	v_add_u16_e32 v39, v2, v39
	v_add_u16_sdwa v15, v39, v2 dst_sel:DWORD dst_unused:UNUSED_PAD src0_sel:DWORD src1_sel:WORD_1
	v_add_u16_e32 v16, v15, v3
	v_add_u16_sdwa v18, v16, v3 dst_sel:DWORD dst_unused:UNUSED_PAD src0_sel:DWORD src1_sel:WORD_1
	;; [unrolled: 2-line block ×12, first 2 shown]
	v_mov_b32_e32 v2, v39
	;;#ASMSTART
	;;#ASMEND
.LBB1098_54:
	s_or_b64 exec, exec, s[52:53]
	s_mov_b32 s4, 0x5040100
	v_add_u32_e32 v6, v14, v38
	v_perm_b32 v5, v28, v25, s4
	v_perm_b32 v4, v22, v20, s4
	;; [unrolled: 1-line block ×4, first 2 shown]
	s_waitcnt lgkmcnt(0)
	; wave barrier
	ds_write_b128 v6, v[2:5]
	v_perm_b32 v5, v34, v32, s4
	v_perm_b32 v4, v30, v27, s4
	;; [unrolled: 1-line block ×4, first 2 shown]
	ds_write_b128 v6, v[2:5] offset:16
	v_perm_b32 v5, v37, v36, s4
	v_perm_b32 v4, v35, v33, s4
	;; [unrolled: 1-line block ×4, first 2 shown]
	ds_write_b128 v6, v[2:5] offset:32
	s_waitcnt lgkmcnt(0)
	; wave barrier
	s_waitcnt lgkmcnt(0)
	ds_read_u16 v25, v14 offset:128
	ds_read_u16 v24, v14 offset:256
	ds_read_u16 v23, v14 offset:384
	ds_read_u16 v22, v14 offset:512
	ds_read_u16 v21, v14 offset:640
	ds_read_u16 v20, v14 offset:768
	ds_read_u16 v19, v14 offset:896
	ds_read_u16 v18, v14 offset:1024
	ds_read_u16 v17, v14 offset:1152
	ds_read_u16 v16, v14 offset:1280
	ds_read_u16 v15, v14 offset:1408
	ds_read_u16 v13, v14 offset:1536
	ds_read_u16 v12, v14 offset:1664
	ds_read_u16 v11, v14 offset:1792
	ds_read_u16 v10, v14 offset:1920
	ds_read_u16 v9, v14 offset:2048
	ds_read_u16 v8, v14 offset:2176
	ds_read_u16 v7, v14 offset:2304
	ds_read_u16 v6, v14 offset:2432
	ds_read_u16 v5, v14 offset:2560
	ds_read_u16 v4, v14 offset:2688
	ds_read_u16 v3, v14 offset:2816
	ds_read_u16 v2, v14 offset:2944
	v_lshlrev_b64 v[0:1], 1, v[0:1]
	v_mov_b32_e32 v26, s51
	v_add_co_u32_e64 v0, s[4:5], s50, v0
	v_addc_co_u32_e64 v1, s[4:5], v26, v1, s[4:5]
	s_and_saveexec_b64 s[4:5], vcc
	s_cbranch_execnz .LBB1098_79
; %bb.55:
	s_or_b64 exec, exec, s[4:5]
	s_and_saveexec_b64 s[4:5], s[0:1]
	s_cbranch_execnz .LBB1098_80
.LBB1098_56:
	s_or_b64 exec, exec, s[4:5]
	s_and_saveexec_b64 s[0:1], s[2:3]
	s_cbranch_execnz .LBB1098_81
.LBB1098_57:
	s_or_b64 exec, exec, s[0:1]
	s_and_saveexec_b64 s[0:1], s[48:49]
	s_cbranch_execnz .LBB1098_82
.LBB1098_58:
	s_or_b64 exec, exec, s[0:1]
	s_and_saveexec_b64 s[0:1], s[6:7]
	s_cbranch_execnz .LBB1098_83
.LBB1098_59:
	s_or_b64 exec, exec, s[0:1]
	s_and_saveexec_b64 s[0:1], s[8:9]
	s_cbranch_execnz .LBB1098_84
.LBB1098_60:
	s_or_b64 exec, exec, s[0:1]
	s_and_saveexec_b64 s[0:1], s[10:11]
	s_cbranch_execnz .LBB1098_85
.LBB1098_61:
	s_or_b64 exec, exec, s[0:1]
	s_and_saveexec_b64 s[0:1], s[12:13]
	s_cbranch_execnz .LBB1098_86
.LBB1098_62:
	s_or_b64 exec, exec, s[0:1]
	s_and_saveexec_b64 s[0:1], s[14:15]
	s_cbranch_execnz .LBB1098_87
.LBB1098_63:
	s_or_b64 exec, exec, s[0:1]
	s_and_saveexec_b64 s[0:1], s[16:17]
	s_cbranch_execnz .LBB1098_88
.LBB1098_64:
	s_or_b64 exec, exec, s[0:1]
	s_and_saveexec_b64 s[0:1], s[18:19]
	s_cbranch_execnz .LBB1098_89
.LBB1098_65:
	s_or_b64 exec, exec, s[0:1]
	s_and_saveexec_b64 s[0:1], s[20:21]
	s_cbranch_execnz .LBB1098_90
.LBB1098_66:
	s_or_b64 exec, exec, s[0:1]
	s_and_saveexec_b64 s[0:1], s[22:23]
	s_cbranch_execnz .LBB1098_91
.LBB1098_67:
	s_or_b64 exec, exec, s[0:1]
	s_and_saveexec_b64 s[0:1], s[24:25]
	s_cbranch_execnz .LBB1098_92
.LBB1098_68:
	s_or_b64 exec, exec, s[0:1]
	s_and_saveexec_b64 s[0:1], s[26:27]
	s_cbranch_execnz .LBB1098_93
.LBB1098_69:
	s_or_b64 exec, exec, s[0:1]
	s_and_saveexec_b64 s[0:1], s[28:29]
	s_cbranch_execnz .LBB1098_94
.LBB1098_70:
	s_or_b64 exec, exec, s[0:1]
	s_and_saveexec_b64 s[0:1], s[30:31]
	s_cbranch_execnz .LBB1098_95
.LBB1098_71:
	s_or_b64 exec, exec, s[0:1]
	s_and_saveexec_b64 s[0:1], s[34:35]
	s_cbranch_execnz .LBB1098_96
.LBB1098_72:
	s_or_b64 exec, exec, s[0:1]
	s_and_saveexec_b64 s[0:1], s[36:37]
	s_cbranch_execnz .LBB1098_97
.LBB1098_73:
	s_or_b64 exec, exec, s[0:1]
	s_and_saveexec_b64 s[0:1], s[38:39]
	s_cbranch_execnz .LBB1098_98
.LBB1098_74:
	s_or_b64 exec, exec, s[0:1]
	s_and_saveexec_b64 s[0:1], s[40:41]
	s_cbranch_execnz .LBB1098_99
.LBB1098_75:
	s_or_b64 exec, exec, s[0:1]
	s_and_saveexec_b64 s[0:1], s[42:43]
	s_cbranch_execnz .LBB1098_100
.LBB1098_76:
	s_or_b64 exec, exec, s[0:1]
	s_and_saveexec_b64 s[0:1], s[44:45]
	s_cbranch_execnz .LBB1098_101
.LBB1098_77:
	s_or_b64 exec, exec, s[0:1]
	s_and_saveexec_b64 s[0:1], s[46:47]
	s_cbranch_execnz .LBB1098_102
.LBB1098_78:
	s_endpgm
.LBB1098_79:
	ds_read_u16 v14, v14
	s_waitcnt lgkmcnt(0)
	global_store_short v[0:1], v14, off
	s_or_b64 exec, exec, s[4:5]
	s_and_saveexec_b64 s[4:5], s[0:1]
	s_cbranch_execz .LBB1098_56
.LBB1098_80:
	s_waitcnt lgkmcnt(14)
	global_store_short v[0:1], v25, off offset:128
	s_or_b64 exec, exec, s[4:5]
	s_and_saveexec_b64 s[0:1], s[2:3]
	s_cbranch_execz .LBB1098_57
.LBB1098_81:
	s_waitcnt lgkmcnt(14)
	global_store_short v[0:1], v24, off offset:256
	s_or_b64 exec, exec, s[0:1]
	s_and_saveexec_b64 s[0:1], s[48:49]
	s_cbranch_execz .LBB1098_58
.LBB1098_82:
	s_waitcnt lgkmcnt(14)
	global_store_short v[0:1], v23, off offset:384
	s_or_b64 exec, exec, s[0:1]
	s_and_saveexec_b64 s[0:1], s[6:7]
	s_cbranch_execz .LBB1098_59
.LBB1098_83:
	s_waitcnt lgkmcnt(14)
	global_store_short v[0:1], v22, off offset:512
	s_or_b64 exec, exec, s[0:1]
	s_and_saveexec_b64 s[0:1], s[8:9]
	s_cbranch_execz .LBB1098_60
.LBB1098_84:
	s_waitcnt lgkmcnt(14)
	global_store_short v[0:1], v21, off offset:640
	s_or_b64 exec, exec, s[0:1]
	s_and_saveexec_b64 s[0:1], s[10:11]
	s_cbranch_execz .LBB1098_61
.LBB1098_85:
	s_waitcnt lgkmcnt(14)
	global_store_short v[0:1], v20, off offset:768
	s_or_b64 exec, exec, s[0:1]
	s_and_saveexec_b64 s[0:1], s[12:13]
	s_cbranch_execz .LBB1098_62
.LBB1098_86:
	s_waitcnt lgkmcnt(14)
	global_store_short v[0:1], v19, off offset:896
	s_or_b64 exec, exec, s[0:1]
	s_and_saveexec_b64 s[0:1], s[14:15]
	s_cbranch_execz .LBB1098_63
.LBB1098_87:
	s_waitcnt lgkmcnt(14)
	global_store_short v[0:1], v18, off offset:1024
	s_or_b64 exec, exec, s[0:1]
	s_and_saveexec_b64 s[0:1], s[16:17]
	s_cbranch_execz .LBB1098_64
.LBB1098_88:
	s_waitcnt lgkmcnt(14)
	global_store_short v[0:1], v17, off offset:1152
	s_or_b64 exec, exec, s[0:1]
	s_and_saveexec_b64 s[0:1], s[18:19]
	s_cbranch_execz .LBB1098_65
.LBB1098_89:
	s_waitcnt lgkmcnt(13)
	global_store_short v[0:1], v16, off offset:1280
	s_or_b64 exec, exec, s[0:1]
	s_and_saveexec_b64 s[0:1], s[20:21]
	s_cbranch_execz .LBB1098_66
.LBB1098_90:
	s_waitcnt lgkmcnt(12)
	global_store_short v[0:1], v15, off offset:1408
	s_or_b64 exec, exec, s[0:1]
	s_and_saveexec_b64 s[0:1], s[22:23]
	s_cbranch_execz .LBB1098_67
.LBB1098_91:
	s_waitcnt lgkmcnt(11)
	global_store_short v[0:1], v13, off offset:1536
	s_or_b64 exec, exec, s[0:1]
	s_and_saveexec_b64 s[0:1], s[24:25]
	s_cbranch_execz .LBB1098_68
.LBB1098_92:
	s_waitcnt lgkmcnt(10)
	global_store_short v[0:1], v12, off offset:1664
	s_or_b64 exec, exec, s[0:1]
	s_and_saveexec_b64 s[0:1], s[26:27]
	s_cbranch_execz .LBB1098_69
.LBB1098_93:
	s_waitcnt lgkmcnt(9)
	global_store_short v[0:1], v11, off offset:1792
	s_or_b64 exec, exec, s[0:1]
	s_and_saveexec_b64 s[0:1], s[28:29]
	s_cbranch_execz .LBB1098_70
.LBB1098_94:
	s_waitcnt lgkmcnt(8)
	global_store_short v[0:1], v10, off offset:1920
	s_or_b64 exec, exec, s[0:1]
	s_and_saveexec_b64 s[0:1], s[30:31]
	s_cbranch_execz .LBB1098_71
.LBB1098_95:
	s_waitcnt lgkmcnt(7)
	global_store_short v[0:1], v9, off offset:2048
	s_or_b64 exec, exec, s[0:1]
	s_and_saveexec_b64 s[0:1], s[34:35]
	s_cbranch_execz .LBB1098_72
.LBB1098_96:
	s_waitcnt lgkmcnt(6)
	global_store_short v[0:1], v8, off offset:2176
	s_or_b64 exec, exec, s[0:1]
	s_and_saveexec_b64 s[0:1], s[36:37]
	s_cbranch_execz .LBB1098_73
.LBB1098_97:
	s_waitcnt lgkmcnt(5)
	global_store_short v[0:1], v7, off offset:2304
	s_or_b64 exec, exec, s[0:1]
	s_and_saveexec_b64 s[0:1], s[38:39]
	s_cbranch_execz .LBB1098_74
.LBB1098_98:
	s_waitcnt lgkmcnt(4)
	global_store_short v[0:1], v6, off offset:2432
	s_or_b64 exec, exec, s[0:1]
	s_and_saveexec_b64 s[0:1], s[40:41]
	s_cbranch_execz .LBB1098_75
.LBB1098_99:
	s_waitcnt lgkmcnt(3)
	global_store_short v[0:1], v5, off offset:2560
	s_or_b64 exec, exec, s[0:1]
	s_and_saveexec_b64 s[0:1], s[42:43]
	s_cbranch_execz .LBB1098_76
.LBB1098_100:
	s_waitcnt lgkmcnt(2)
	global_store_short v[0:1], v4, off offset:2688
	s_or_b64 exec, exec, s[0:1]
	s_and_saveexec_b64 s[0:1], s[44:45]
	s_cbranch_execz .LBB1098_77
.LBB1098_101:
	s_waitcnt lgkmcnt(1)
	global_store_short v[0:1], v3, off offset:2816
	s_or_b64 exec, exec, s[0:1]
	s_and_saveexec_b64 s[0:1], s[46:47]
	s_cbranch_execz .LBB1098_78
.LBB1098_102:
	s_waitcnt lgkmcnt(0)
	global_store_short v[0:1], v2, off offset:2944
	s_endpgm
	.section	.rodata,"a",@progbits
	.p2align	6, 0x0
	.amdhsa_kernel _ZN7rocprim17ROCPRIM_400000_NS6detail17trampoline_kernelINS0_14default_configENS1_20scan_config_selectorIsEEZZNS1_9scan_implILNS1_25lookback_scan_determinismE0ELb0ELb0ES3_N6thrust23THRUST_200600_302600_NS6detail15normal_iteratorINS9_10device_ptrIsEEEESE_sNS9_4plusIsEEsEEDaPvRmT3_T4_T5_mT6_P12ihipStream_tbENKUlT_T0_E_clISt17integral_constantIbLb1EEST_IbLb0EEEEDaSP_SQ_EUlSP_E0_NS1_11comp_targetILNS1_3genE4ELNS1_11target_archE910ELNS1_3gpuE8ELNS1_3repE0EEENS1_30default_config_static_selectorELNS0_4arch9wavefront6targetE1EEEvT1_
		.amdhsa_group_segment_fixed_size 3072
		.amdhsa_private_segment_fixed_size 0
		.amdhsa_kernarg_size 32
		.amdhsa_user_sgpr_count 6
		.amdhsa_user_sgpr_private_segment_buffer 1
		.amdhsa_user_sgpr_dispatch_ptr 0
		.amdhsa_user_sgpr_queue_ptr 0
		.amdhsa_user_sgpr_kernarg_segment_ptr 1
		.amdhsa_user_sgpr_dispatch_id 0
		.amdhsa_user_sgpr_flat_scratch_init 0
		.amdhsa_user_sgpr_kernarg_preload_length 0
		.amdhsa_user_sgpr_kernarg_preload_offset 0
		.amdhsa_user_sgpr_private_segment_size 0
		.amdhsa_uses_dynamic_stack 0
		.amdhsa_system_sgpr_private_segment_wavefront_offset 0
		.amdhsa_system_sgpr_workgroup_id_x 1
		.amdhsa_system_sgpr_workgroup_id_y 0
		.amdhsa_system_sgpr_workgroup_id_z 0
		.amdhsa_system_sgpr_workgroup_info 0
		.amdhsa_system_vgpr_workitem_id 0
		.amdhsa_next_free_vgpr 42
		.amdhsa_next_free_sgpr 56
		.amdhsa_accum_offset 44
		.amdhsa_reserve_vcc 1
		.amdhsa_reserve_flat_scratch 0
		.amdhsa_float_round_mode_32 0
		.amdhsa_float_round_mode_16_64 0
		.amdhsa_float_denorm_mode_32 3
		.amdhsa_float_denorm_mode_16_64 3
		.amdhsa_dx10_clamp 1
		.amdhsa_ieee_mode 1
		.amdhsa_fp16_overflow 0
		.amdhsa_tg_split 0
		.amdhsa_exception_fp_ieee_invalid_op 0
		.amdhsa_exception_fp_denorm_src 0
		.amdhsa_exception_fp_ieee_div_zero 0
		.amdhsa_exception_fp_ieee_overflow 0
		.amdhsa_exception_fp_ieee_underflow 0
		.amdhsa_exception_fp_ieee_inexact 0
		.amdhsa_exception_int_div_zero 0
	.end_amdhsa_kernel
	.section	.text._ZN7rocprim17ROCPRIM_400000_NS6detail17trampoline_kernelINS0_14default_configENS1_20scan_config_selectorIsEEZZNS1_9scan_implILNS1_25lookback_scan_determinismE0ELb0ELb0ES3_N6thrust23THRUST_200600_302600_NS6detail15normal_iteratorINS9_10device_ptrIsEEEESE_sNS9_4plusIsEEsEEDaPvRmT3_T4_T5_mT6_P12ihipStream_tbENKUlT_T0_E_clISt17integral_constantIbLb1EEST_IbLb0EEEEDaSP_SQ_EUlSP_E0_NS1_11comp_targetILNS1_3genE4ELNS1_11target_archE910ELNS1_3gpuE8ELNS1_3repE0EEENS1_30default_config_static_selectorELNS0_4arch9wavefront6targetE1EEEvT1_,"axG",@progbits,_ZN7rocprim17ROCPRIM_400000_NS6detail17trampoline_kernelINS0_14default_configENS1_20scan_config_selectorIsEEZZNS1_9scan_implILNS1_25lookback_scan_determinismE0ELb0ELb0ES3_N6thrust23THRUST_200600_302600_NS6detail15normal_iteratorINS9_10device_ptrIsEEEESE_sNS9_4plusIsEEsEEDaPvRmT3_T4_T5_mT6_P12ihipStream_tbENKUlT_T0_E_clISt17integral_constantIbLb1EEST_IbLb0EEEEDaSP_SQ_EUlSP_E0_NS1_11comp_targetILNS1_3genE4ELNS1_11target_archE910ELNS1_3gpuE8ELNS1_3repE0EEENS1_30default_config_static_selectorELNS0_4arch9wavefront6targetE1EEEvT1_,comdat
.Lfunc_end1098:
	.size	_ZN7rocprim17ROCPRIM_400000_NS6detail17trampoline_kernelINS0_14default_configENS1_20scan_config_selectorIsEEZZNS1_9scan_implILNS1_25lookback_scan_determinismE0ELb0ELb0ES3_N6thrust23THRUST_200600_302600_NS6detail15normal_iteratorINS9_10device_ptrIsEEEESE_sNS9_4plusIsEEsEEDaPvRmT3_T4_T5_mT6_P12ihipStream_tbENKUlT_T0_E_clISt17integral_constantIbLb1EEST_IbLb0EEEEDaSP_SQ_EUlSP_E0_NS1_11comp_targetILNS1_3genE4ELNS1_11target_archE910ELNS1_3gpuE8ELNS1_3repE0EEENS1_30default_config_static_selectorELNS0_4arch9wavefront6targetE1EEEvT1_, .Lfunc_end1098-_ZN7rocprim17ROCPRIM_400000_NS6detail17trampoline_kernelINS0_14default_configENS1_20scan_config_selectorIsEEZZNS1_9scan_implILNS1_25lookback_scan_determinismE0ELb0ELb0ES3_N6thrust23THRUST_200600_302600_NS6detail15normal_iteratorINS9_10device_ptrIsEEEESE_sNS9_4plusIsEEsEEDaPvRmT3_T4_T5_mT6_P12ihipStream_tbENKUlT_T0_E_clISt17integral_constantIbLb1EEST_IbLb0EEEEDaSP_SQ_EUlSP_E0_NS1_11comp_targetILNS1_3genE4ELNS1_11target_archE910ELNS1_3gpuE8ELNS1_3repE0EEENS1_30default_config_static_selectorELNS0_4arch9wavefront6targetE1EEEvT1_
                                        ; -- End function
	.section	.AMDGPU.csdata,"",@progbits
; Kernel info:
; codeLenInByte = 3068
; NumSgprs: 60
; NumVgprs: 42
; NumAgprs: 0
; TotalNumVgprs: 42
; ScratchSize: 0
; MemoryBound: 0
; FloatMode: 240
; IeeeMode: 1
; LDSByteSize: 3072 bytes/workgroup (compile time only)
; SGPRBlocks: 7
; VGPRBlocks: 5
; NumSGPRsForWavesPerEU: 60
; NumVGPRsForWavesPerEU: 42
; AccumOffset: 44
; Occupancy: 6
; WaveLimiterHint : 0
; COMPUTE_PGM_RSRC2:SCRATCH_EN: 0
; COMPUTE_PGM_RSRC2:USER_SGPR: 6
; COMPUTE_PGM_RSRC2:TRAP_HANDLER: 0
; COMPUTE_PGM_RSRC2:TGID_X_EN: 1
; COMPUTE_PGM_RSRC2:TGID_Y_EN: 0
; COMPUTE_PGM_RSRC2:TGID_Z_EN: 0
; COMPUTE_PGM_RSRC2:TIDIG_COMP_CNT: 0
; COMPUTE_PGM_RSRC3_GFX90A:ACCUM_OFFSET: 10
; COMPUTE_PGM_RSRC3_GFX90A:TG_SPLIT: 0
	.section	.text._ZN7rocprim17ROCPRIM_400000_NS6detail17trampoline_kernelINS0_14default_configENS1_20scan_config_selectorIsEEZZNS1_9scan_implILNS1_25lookback_scan_determinismE0ELb0ELb0ES3_N6thrust23THRUST_200600_302600_NS6detail15normal_iteratorINS9_10device_ptrIsEEEESE_sNS9_4plusIsEEsEEDaPvRmT3_T4_T5_mT6_P12ihipStream_tbENKUlT_T0_E_clISt17integral_constantIbLb1EEST_IbLb0EEEEDaSP_SQ_EUlSP_E0_NS1_11comp_targetILNS1_3genE3ELNS1_11target_archE908ELNS1_3gpuE7ELNS1_3repE0EEENS1_30default_config_static_selectorELNS0_4arch9wavefront6targetE1EEEvT1_,"axG",@progbits,_ZN7rocprim17ROCPRIM_400000_NS6detail17trampoline_kernelINS0_14default_configENS1_20scan_config_selectorIsEEZZNS1_9scan_implILNS1_25lookback_scan_determinismE0ELb0ELb0ES3_N6thrust23THRUST_200600_302600_NS6detail15normal_iteratorINS9_10device_ptrIsEEEESE_sNS9_4plusIsEEsEEDaPvRmT3_T4_T5_mT6_P12ihipStream_tbENKUlT_T0_E_clISt17integral_constantIbLb1EEST_IbLb0EEEEDaSP_SQ_EUlSP_E0_NS1_11comp_targetILNS1_3genE3ELNS1_11target_archE908ELNS1_3gpuE7ELNS1_3repE0EEENS1_30default_config_static_selectorELNS0_4arch9wavefront6targetE1EEEvT1_,comdat
	.protected	_ZN7rocprim17ROCPRIM_400000_NS6detail17trampoline_kernelINS0_14default_configENS1_20scan_config_selectorIsEEZZNS1_9scan_implILNS1_25lookback_scan_determinismE0ELb0ELb0ES3_N6thrust23THRUST_200600_302600_NS6detail15normal_iteratorINS9_10device_ptrIsEEEESE_sNS9_4plusIsEEsEEDaPvRmT3_T4_T5_mT6_P12ihipStream_tbENKUlT_T0_E_clISt17integral_constantIbLb1EEST_IbLb0EEEEDaSP_SQ_EUlSP_E0_NS1_11comp_targetILNS1_3genE3ELNS1_11target_archE908ELNS1_3gpuE7ELNS1_3repE0EEENS1_30default_config_static_selectorELNS0_4arch9wavefront6targetE1EEEvT1_ ; -- Begin function _ZN7rocprim17ROCPRIM_400000_NS6detail17trampoline_kernelINS0_14default_configENS1_20scan_config_selectorIsEEZZNS1_9scan_implILNS1_25lookback_scan_determinismE0ELb0ELb0ES3_N6thrust23THRUST_200600_302600_NS6detail15normal_iteratorINS9_10device_ptrIsEEEESE_sNS9_4plusIsEEsEEDaPvRmT3_T4_T5_mT6_P12ihipStream_tbENKUlT_T0_E_clISt17integral_constantIbLb1EEST_IbLb0EEEEDaSP_SQ_EUlSP_E0_NS1_11comp_targetILNS1_3genE3ELNS1_11target_archE908ELNS1_3gpuE7ELNS1_3repE0EEENS1_30default_config_static_selectorELNS0_4arch9wavefront6targetE1EEEvT1_
	.globl	_ZN7rocprim17ROCPRIM_400000_NS6detail17trampoline_kernelINS0_14default_configENS1_20scan_config_selectorIsEEZZNS1_9scan_implILNS1_25lookback_scan_determinismE0ELb0ELb0ES3_N6thrust23THRUST_200600_302600_NS6detail15normal_iteratorINS9_10device_ptrIsEEEESE_sNS9_4plusIsEEsEEDaPvRmT3_T4_T5_mT6_P12ihipStream_tbENKUlT_T0_E_clISt17integral_constantIbLb1EEST_IbLb0EEEEDaSP_SQ_EUlSP_E0_NS1_11comp_targetILNS1_3genE3ELNS1_11target_archE908ELNS1_3gpuE7ELNS1_3repE0EEENS1_30default_config_static_selectorELNS0_4arch9wavefront6targetE1EEEvT1_
	.p2align	8
	.type	_ZN7rocprim17ROCPRIM_400000_NS6detail17trampoline_kernelINS0_14default_configENS1_20scan_config_selectorIsEEZZNS1_9scan_implILNS1_25lookback_scan_determinismE0ELb0ELb0ES3_N6thrust23THRUST_200600_302600_NS6detail15normal_iteratorINS9_10device_ptrIsEEEESE_sNS9_4plusIsEEsEEDaPvRmT3_T4_T5_mT6_P12ihipStream_tbENKUlT_T0_E_clISt17integral_constantIbLb1EEST_IbLb0EEEEDaSP_SQ_EUlSP_E0_NS1_11comp_targetILNS1_3genE3ELNS1_11target_archE908ELNS1_3gpuE7ELNS1_3repE0EEENS1_30default_config_static_selectorELNS0_4arch9wavefront6targetE1EEEvT1_,@function
_ZN7rocprim17ROCPRIM_400000_NS6detail17trampoline_kernelINS0_14default_configENS1_20scan_config_selectorIsEEZZNS1_9scan_implILNS1_25lookback_scan_determinismE0ELb0ELb0ES3_N6thrust23THRUST_200600_302600_NS6detail15normal_iteratorINS9_10device_ptrIsEEEESE_sNS9_4plusIsEEsEEDaPvRmT3_T4_T5_mT6_P12ihipStream_tbENKUlT_T0_E_clISt17integral_constantIbLb1EEST_IbLb0EEEEDaSP_SQ_EUlSP_E0_NS1_11comp_targetILNS1_3genE3ELNS1_11target_archE908ELNS1_3gpuE7ELNS1_3repE0EEENS1_30default_config_static_selectorELNS0_4arch9wavefront6targetE1EEEvT1_: ; @_ZN7rocprim17ROCPRIM_400000_NS6detail17trampoline_kernelINS0_14default_configENS1_20scan_config_selectorIsEEZZNS1_9scan_implILNS1_25lookback_scan_determinismE0ELb0ELb0ES3_N6thrust23THRUST_200600_302600_NS6detail15normal_iteratorINS9_10device_ptrIsEEEESE_sNS9_4plusIsEEsEEDaPvRmT3_T4_T5_mT6_P12ihipStream_tbENKUlT_T0_E_clISt17integral_constantIbLb1EEST_IbLb0EEEEDaSP_SQ_EUlSP_E0_NS1_11comp_targetILNS1_3genE3ELNS1_11target_archE908ELNS1_3gpuE7ELNS1_3repE0EEENS1_30default_config_static_selectorELNS0_4arch9wavefront6targetE1EEEvT1_
; %bb.0:
	.section	.rodata,"a",@progbits
	.p2align	6, 0x0
	.amdhsa_kernel _ZN7rocprim17ROCPRIM_400000_NS6detail17trampoline_kernelINS0_14default_configENS1_20scan_config_selectorIsEEZZNS1_9scan_implILNS1_25lookback_scan_determinismE0ELb0ELb0ES3_N6thrust23THRUST_200600_302600_NS6detail15normal_iteratorINS9_10device_ptrIsEEEESE_sNS9_4plusIsEEsEEDaPvRmT3_T4_T5_mT6_P12ihipStream_tbENKUlT_T0_E_clISt17integral_constantIbLb1EEST_IbLb0EEEEDaSP_SQ_EUlSP_E0_NS1_11comp_targetILNS1_3genE3ELNS1_11target_archE908ELNS1_3gpuE7ELNS1_3repE0EEENS1_30default_config_static_selectorELNS0_4arch9wavefront6targetE1EEEvT1_
		.amdhsa_group_segment_fixed_size 0
		.amdhsa_private_segment_fixed_size 0
		.amdhsa_kernarg_size 32
		.amdhsa_user_sgpr_count 6
		.amdhsa_user_sgpr_private_segment_buffer 1
		.amdhsa_user_sgpr_dispatch_ptr 0
		.amdhsa_user_sgpr_queue_ptr 0
		.amdhsa_user_sgpr_kernarg_segment_ptr 1
		.amdhsa_user_sgpr_dispatch_id 0
		.amdhsa_user_sgpr_flat_scratch_init 0
		.amdhsa_user_sgpr_kernarg_preload_length 0
		.amdhsa_user_sgpr_kernarg_preload_offset 0
		.amdhsa_user_sgpr_private_segment_size 0
		.amdhsa_uses_dynamic_stack 0
		.amdhsa_system_sgpr_private_segment_wavefront_offset 0
		.amdhsa_system_sgpr_workgroup_id_x 1
		.amdhsa_system_sgpr_workgroup_id_y 0
		.amdhsa_system_sgpr_workgroup_id_z 0
		.amdhsa_system_sgpr_workgroup_info 0
		.amdhsa_system_vgpr_workitem_id 0
		.amdhsa_next_free_vgpr 1
		.amdhsa_next_free_sgpr 0
		.amdhsa_accum_offset 4
		.amdhsa_reserve_vcc 0
		.amdhsa_reserve_flat_scratch 0
		.amdhsa_float_round_mode_32 0
		.amdhsa_float_round_mode_16_64 0
		.amdhsa_float_denorm_mode_32 3
		.amdhsa_float_denorm_mode_16_64 3
		.amdhsa_dx10_clamp 1
		.amdhsa_ieee_mode 1
		.amdhsa_fp16_overflow 0
		.amdhsa_tg_split 0
		.amdhsa_exception_fp_ieee_invalid_op 0
		.amdhsa_exception_fp_denorm_src 0
		.amdhsa_exception_fp_ieee_div_zero 0
		.amdhsa_exception_fp_ieee_overflow 0
		.amdhsa_exception_fp_ieee_underflow 0
		.amdhsa_exception_fp_ieee_inexact 0
		.amdhsa_exception_int_div_zero 0
	.end_amdhsa_kernel
	.section	.text._ZN7rocprim17ROCPRIM_400000_NS6detail17trampoline_kernelINS0_14default_configENS1_20scan_config_selectorIsEEZZNS1_9scan_implILNS1_25lookback_scan_determinismE0ELb0ELb0ES3_N6thrust23THRUST_200600_302600_NS6detail15normal_iteratorINS9_10device_ptrIsEEEESE_sNS9_4plusIsEEsEEDaPvRmT3_T4_T5_mT6_P12ihipStream_tbENKUlT_T0_E_clISt17integral_constantIbLb1EEST_IbLb0EEEEDaSP_SQ_EUlSP_E0_NS1_11comp_targetILNS1_3genE3ELNS1_11target_archE908ELNS1_3gpuE7ELNS1_3repE0EEENS1_30default_config_static_selectorELNS0_4arch9wavefront6targetE1EEEvT1_,"axG",@progbits,_ZN7rocprim17ROCPRIM_400000_NS6detail17trampoline_kernelINS0_14default_configENS1_20scan_config_selectorIsEEZZNS1_9scan_implILNS1_25lookback_scan_determinismE0ELb0ELb0ES3_N6thrust23THRUST_200600_302600_NS6detail15normal_iteratorINS9_10device_ptrIsEEEESE_sNS9_4plusIsEEsEEDaPvRmT3_T4_T5_mT6_P12ihipStream_tbENKUlT_T0_E_clISt17integral_constantIbLb1EEST_IbLb0EEEEDaSP_SQ_EUlSP_E0_NS1_11comp_targetILNS1_3genE3ELNS1_11target_archE908ELNS1_3gpuE7ELNS1_3repE0EEENS1_30default_config_static_selectorELNS0_4arch9wavefront6targetE1EEEvT1_,comdat
.Lfunc_end1099:
	.size	_ZN7rocprim17ROCPRIM_400000_NS6detail17trampoline_kernelINS0_14default_configENS1_20scan_config_selectorIsEEZZNS1_9scan_implILNS1_25lookback_scan_determinismE0ELb0ELb0ES3_N6thrust23THRUST_200600_302600_NS6detail15normal_iteratorINS9_10device_ptrIsEEEESE_sNS9_4plusIsEEsEEDaPvRmT3_T4_T5_mT6_P12ihipStream_tbENKUlT_T0_E_clISt17integral_constantIbLb1EEST_IbLb0EEEEDaSP_SQ_EUlSP_E0_NS1_11comp_targetILNS1_3genE3ELNS1_11target_archE908ELNS1_3gpuE7ELNS1_3repE0EEENS1_30default_config_static_selectorELNS0_4arch9wavefront6targetE1EEEvT1_, .Lfunc_end1099-_ZN7rocprim17ROCPRIM_400000_NS6detail17trampoline_kernelINS0_14default_configENS1_20scan_config_selectorIsEEZZNS1_9scan_implILNS1_25lookback_scan_determinismE0ELb0ELb0ES3_N6thrust23THRUST_200600_302600_NS6detail15normal_iteratorINS9_10device_ptrIsEEEESE_sNS9_4plusIsEEsEEDaPvRmT3_T4_T5_mT6_P12ihipStream_tbENKUlT_T0_E_clISt17integral_constantIbLb1EEST_IbLb0EEEEDaSP_SQ_EUlSP_E0_NS1_11comp_targetILNS1_3genE3ELNS1_11target_archE908ELNS1_3gpuE7ELNS1_3repE0EEENS1_30default_config_static_selectorELNS0_4arch9wavefront6targetE1EEEvT1_
                                        ; -- End function
	.section	.AMDGPU.csdata,"",@progbits
; Kernel info:
; codeLenInByte = 0
; NumSgprs: 4
; NumVgprs: 0
; NumAgprs: 0
; TotalNumVgprs: 0
; ScratchSize: 0
; MemoryBound: 0
; FloatMode: 240
; IeeeMode: 1
; LDSByteSize: 0 bytes/workgroup (compile time only)
; SGPRBlocks: 0
; VGPRBlocks: 0
; NumSGPRsForWavesPerEU: 4
; NumVGPRsForWavesPerEU: 1
; AccumOffset: 4
; Occupancy: 8
; WaveLimiterHint : 0
; COMPUTE_PGM_RSRC2:SCRATCH_EN: 0
; COMPUTE_PGM_RSRC2:USER_SGPR: 6
; COMPUTE_PGM_RSRC2:TRAP_HANDLER: 0
; COMPUTE_PGM_RSRC2:TGID_X_EN: 1
; COMPUTE_PGM_RSRC2:TGID_Y_EN: 0
; COMPUTE_PGM_RSRC2:TGID_Z_EN: 0
; COMPUTE_PGM_RSRC2:TIDIG_COMP_CNT: 0
; COMPUTE_PGM_RSRC3_GFX90A:ACCUM_OFFSET: 0
; COMPUTE_PGM_RSRC3_GFX90A:TG_SPLIT: 0
	.section	.text._ZN7rocprim17ROCPRIM_400000_NS6detail17trampoline_kernelINS0_14default_configENS1_20scan_config_selectorIsEEZZNS1_9scan_implILNS1_25lookback_scan_determinismE0ELb0ELb0ES3_N6thrust23THRUST_200600_302600_NS6detail15normal_iteratorINS9_10device_ptrIsEEEESE_sNS9_4plusIsEEsEEDaPvRmT3_T4_T5_mT6_P12ihipStream_tbENKUlT_T0_E_clISt17integral_constantIbLb1EEST_IbLb0EEEEDaSP_SQ_EUlSP_E0_NS1_11comp_targetILNS1_3genE2ELNS1_11target_archE906ELNS1_3gpuE6ELNS1_3repE0EEENS1_30default_config_static_selectorELNS0_4arch9wavefront6targetE1EEEvT1_,"axG",@progbits,_ZN7rocprim17ROCPRIM_400000_NS6detail17trampoline_kernelINS0_14default_configENS1_20scan_config_selectorIsEEZZNS1_9scan_implILNS1_25lookback_scan_determinismE0ELb0ELb0ES3_N6thrust23THRUST_200600_302600_NS6detail15normal_iteratorINS9_10device_ptrIsEEEESE_sNS9_4plusIsEEsEEDaPvRmT3_T4_T5_mT6_P12ihipStream_tbENKUlT_T0_E_clISt17integral_constantIbLb1EEST_IbLb0EEEEDaSP_SQ_EUlSP_E0_NS1_11comp_targetILNS1_3genE2ELNS1_11target_archE906ELNS1_3gpuE6ELNS1_3repE0EEENS1_30default_config_static_selectorELNS0_4arch9wavefront6targetE1EEEvT1_,comdat
	.protected	_ZN7rocprim17ROCPRIM_400000_NS6detail17trampoline_kernelINS0_14default_configENS1_20scan_config_selectorIsEEZZNS1_9scan_implILNS1_25lookback_scan_determinismE0ELb0ELb0ES3_N6thrust23THRUST_200600_302600_NS6detail15normal_iteratorINS9_10device_ptrIsEEEESE_sNS9_4plusIsEEsEEDaPvRmT3_T4_T5_mT6_P12ihipStream_tbENKUlT_T0_E_clISt17integral_constantIbLb1EEST_IbLb0EEEEDaSP_SQ_EUlSP_E0_NS1_11comp_targetILNS1_3genE2ELNS1_11target_archE906ELNS1_3gpuE6ELNS1_3repE0EEENS1_30default_config_static_selectorELNS0_4arch9wavefront6targetE1EEEvT1_ ; -- Begin function _ZN7rocprim17ROCPRIM_400000_NS6detail17trampoline_kernelINS0_14default_configENS1_20scan_config_selectorIsEEZZNS1_9scan_implILNS1_25lookback_scan_determinismE0ELb0ELb0ES3_N6thrust23THRUST_200600_302600_NS6detail15normal_iteratorINS9_10device_ptrIsEEEESE_sNS9_4plusIsEEsEEDaPvRmT3_T4_T5_mT6_P12ihipStream_tbENKUlT_T0_E_clISt17integral_constantIbLb1EEST_IbLb0EEEEDaSP_SQ_EUlSP_E0_NS1_11comp_targetILNS1_3genE2ELNS1_11target_archE906ELNS1_3gpuE6ELNS1_3repE0EEENS1_30default_config_static_selectorELNS0_4arch9wavefront6targetE1EEEvT1_
	.globl	_ZN7rocprim17ROCPRIM_400000_NS6detail17trampoline_kernelINS0_14default_configENS1_20scan_config_selectorIsEEZZNS1_9scan_implILNS1_25lookback_scan_determinismE0ELb0ELb0ES3_N6thrust23THRUST_200600_302600_NS6detail15normal_iteratorINS9_10device_ptrIsEEEESE_sNS9_4plusIsEEsEEDaPvRmT3_T4_T5_mT6_P12ihipStream_tbENKUlT_T0_E_clISt17integral_constantIbLb1EEST_IbLb0EEEEDaSP_SQ_EUlSP_E0_NS1_11comp_targetILNS1_3genE2ELNS1_11target_archE906ELNS1_3gpuE6ELNS1_3repE0EEENS1_30default_config_static_selectorELNS0_4arch9wavefront6targetE1EEEvT1_
	.p2align	8
	.type	_ZN7rocprim17ROCPRIM_400000_NS6detail17trampoline_kernelINS0_14default_configENS1_20scan_config_selectorIsEEZZNS1_9scan_implILNS1_25lookback_scan_determinismE0ELb0ELb0ES3_N6thrust23THRUST_200600_302600_NS6detail15normal_iteratorINS9_10device_ptrIsEEEESE_sNS9_4plusIsEEsEEDaPvRmT3_T4_T5_mT6_P12ihipStream_tbENKUlT_T0_E_clISt17integral_constantIbLb1EEST_IbLb0EEEEDaSP_SQ_EUlSP_E0_NS1_11comp_targetILNS1_3genE2ELNS1_11target_archE906ELNS1_3gpuE6ELNS1_3repE0EEENS1_30default_config_static_selectorELNS0_4arch9wavefront6targetE1EEEvT1_,@function
_ZN7rocprim17ROCPRIM_400000_NS6detail17trampoline_kernelINS0_14default_configENS1_20scan_config_selectorIsEEZZNS1_9scan_implILNS1_25lookback_scan_determinismE0ELb0ELb0ES3_N6thrust23THRUST_200600_302600_NS6detail15normal_iteratorINS9_10device_ptrIsEEEESE_sNS9_4plusIsEEsEEDaPvRmT3_T4_T5_mT6_P12ihipStream_tbENKUlT_T0_E_clISt17integral_constantIbLb1EEST_IbLb0EEEEDaSP_SQ_EUlSP_E0_NS1_11comp_targetILNS1_3genE2ELNS1_11target_archE906ELNS1_3gpuE6ELNS1_3repE0EEENS1_30default_config_static_selectorELNS0_4arch9wavefront6targetE1EEEvT1_: ; @_ZN7rocprim17ROCPRIM_400000_NS6detail17trampoline_kernelINS0_14default_configENS1_20scan_config_selectorIsEEZZNS1_9scan_implILNS1_25lookback_scan_determinismE0ELb0ELb0ES3_N6thrust23THRUST_200600_302600_NS6detail15normal_iteratorINS9_10device_ptrIsEEEESE_sNS9_4plusIsEEsEEDaPvRmT3_T4_T5_mT6_P12ihipStream_tbENKUlT_T0_E_clISt17integral_constantIbLb1EEST_IbLb0EEEEDaSP_SQ_EUlSP_E0_NS1_11comp_targetILNS1_3genE2ELNS1_11target_archE906ELNS1_3gpuE6ELNS1_3repE0EEENS1_30default_config_static_selectorELNS0_4arch9wavefront6targetE1EEEvT1_
; %bb.0:
	.section	.rodata,"a",@progbits
	.p2align	6, 0x0
	.amdhsa_kernel _ZN7rocprim17ROCPRIM_400000_NS6detail17trampoline_kernelINS0_14default_configENS1_20scan_config_selectorIsEEZZNS1_9scan_implILNS1_25lookback_scan_determinismE0ELb0ELb0ES3_N6thrust23THRUST_200600_302600_NS6detail15normal_iteratorINS9_10device_ptrIsEEEESE_sNS9_4plusIsEEsEEDaPvRmT3_T4_T5_mT6_P12ihipStream_tbENKUlT_T0_E_clISt17integral_constantIbLb1EEST_IbLb0EEEEDaSP_SQ_EUlSP_E0_NS1_11comp_targetILNS1_3genE2ELNS1_11target_archE906ELNS1_3gpuE6ELNS1_3repE0EEENS1_30default_config_static_selectorELNS0_4arch9wavefront6targetE1EEEvT1_
		.amdhsa_group_segment_fixed_size 0
		.amdhsa_private_segment_fixed_size 0
		.amdhsa_kernarg_size 32
		.amdhsa_user_sgpr_count 6
		.amdhsa_user_sgpr_private_segment_buffer 1
		.amdhsa_user_sgpr_dispatch_ptr 0
		.amdhsa_user_sgpr_queue_ptr 0
		.amdhsa_user_sgpr_kernarg_segment_ptr 1
		.amdhsa_user_sgpr_dispatch_id 0
		.amdhsa_user_sgpr_flat_scratch_init 0
		.amdhsa_user_sgpr_kernarg_preload_length 0
		.amdhsa_user_sgpr_kernarg_preload_offset 0
		.amdhsa_user_sgpr_private_segment_size 0
		.amdhsa_uses_dynamic_stack 0
		.amdhsa_system_sgpr_private_segment_wavefront_offset 0
		.amdhsa_system_sgpr_workgroup_id_x 1
		.amdhsa_system_sgpr_workgroup_id_y 0
		.amdhsa_system_sgpr_workgroup_id_z 0
		.amdhsa_system_sgpr_workgroup_info 0
		.amdhsa_system_vgpr_workitem_id 0
		.amdhsa_next_free_vgpr 1
		.amdhsa_next_free_sgpr 0
		.amdhsa_accum_offset 4
		.amdhsa_reserve_vcc 0
		.amdhsa_reserve_flat_scratch 0
		.amdhsa_float_round_mode_32 0
		.amdhsa_float_round_mode_16_64 0
		.amdhsa_float_denorm_mode_32 3
		.amdhsa_float_denorm_mode_16_64 3
		.amdhsa_dx10_clamp 1
		.amdhsa_ieee_mode 1
		.amdhsa_fp16_overflow 0
		.amdhsa_tg_split 0
		.amdhsa_exception_fp_ieee_invalid_op 0
		.amdhsa_exception_fp_denorm_src 0
		.amdhsa_exception_fp_ieee_div_zero 0
		.amdhsa_exception_fp_ieee_overflow 0
		.amdhsa_exception_fp_ieee_underflow 0
		.amdhsa_exception_fp_ieee_inexact 0
		.amdhsa_exception_int_div_zero 0
	.end_amdhsa_kernel
	.section	.text._ZN7rocprim17ROCPRIM_400000_NS6detail17trampoline_kernelINS0_14default_configENS1_20scan_config_selectorIsEEZZNS1_9scan_implILNS1_25lookback_scan_determinismE0ELb0ELb0ES3_N6thrust23THRUST_200600_302600_NS6detail15normal_iteratorINS9_10device_ptrIsEEEESE_sNS9_4plusIsEEsEEDaPvRmT3_T4_T5_mT6_P12ihipStream_tbENKUlT_T0_E_clISt17integral_constantIbLb1EEST_IbLb0EEEEDaSP_SQ_EUlSP_E0_NS1_11comp_targetILNS1_3genE2ELNS1_11target_archE906ELNS1_3gpuE6ELNS1_3repE0EEENS1_30default_config_static_selectorELNS0_4arch9wavefront6targetE1EEEvT1_,"axG",@progbits,_ZN7rocprim17ROCPRIM_400000_NS6detail17trampoline_kernelINS0_14default_configENS1_20scan_config_selectorIsEEZZNS1_9scan_implILNS1_25lookback_scan_determinismE0ELb0ELb0ES3_N6thrust23THRUST_200600_302600_NS6detail15normal_iteratorINS9_10device_ptrIsEEEESE_sNS9_4plusIsEEsEEDaPvRmT3_T4_T5_mT6_P12ihipStream_tbENKUlT_T0_E_clISt17integral_constantIbLb1EEST_IbLb0EEEEDaSP_SQ_EUlSP_E0_NS1_11comp_targetILNS1_3genE2ELNS1_11target_archE906ELNS1_3gpuE6ELNS1_3repE0EEENS1_30default_config_static_selectorELNS0_4arch9wavefront6targetE1EEEvT1_,comdat
.Lfunc_end1100:
	.size	_ZN7rocprim17ROCPRIM_400000_NS6detail17trampoline_kernelINS0_14default_configENS1_20scan_config_selectorIsEEZZNS1_9scan_implILNS1_25lookback_scan_determinismE0ELb0ELb0ES3_N6thrust23THRUST_200600_302600_NS6detail15normal_iteratorINS9_10device_ptrIsEEEESE_sNS9_4plusIsEEsEEDaPvRmT3_T4_T5_mT6_P12ihipStream_tbENKUlT_T0_E_clISt17integral_constantIbLb1EEST_IbLb0EEEEDaSP_SQ_EUlSP_E0_NS1_11comp_targetILNS1_3genE2ELNS1_11target_archE906ELNS1_3gpuE6ELNS1_3repE0EEENS1_30default_config_static_selectorELNS0_4arch9wavefront6targetE1EEEvT1_, .Lfunc_end1100-_ZN7rocprim17ROCPRIM_400000_NS6detail17trampoline_kernelINS0_14default_configENS1_20scan_config_selectorIsEEZZNS1_9scan_implILNS1_25lookback_scan_determinismE0ELb0ELb0ES3_N6thrust23THRUST_200600_302600_NS6detail15normal_iteratorINS9_10device_ptrIsEEEESE_sNS9_4plusIsEEsEEDaPvRmT3_T4_T5_mT6_P12ihipStream_tbENKUlT_T0_E_clISt17integral_constantIbLb1EEST_IbLb0EEEEDaSP_SQ_EUlSP_E0_NS1_11comp_targetILNS1_3genE2ELNS1_11target_archE906ELNS1_3gpuE6ELNS1_3repE0EEENS1_30default_config_static_selectorELNS0_4arch9wavefront6targetE1EEEvT1_
                                        ; -- End function
	.section	.AMDGPU.csdata,"",@progbits
; Kernel info:
; codeLenInByte = 0
; NumSgprs: 4
; NumVgprs: 0
; NumAgprs: 0
; TotalNumVgprs: 0
; ScratchSize: 0
; MemoryBound: 0
; FloatMode: 240
; IeeeMode: 1
; LDSByteSize: 0 bytes/workgroup (compile time only)
; SGPRBlocks: 0
; VGPRBlocks: 0
; NumSGPRsForWavesPerEU: 4
; NumVGPRsForWavesPerEU: 1
; AccumOffset: 4
; Occupancy: 8
; WaveLimiterHint : 0
; COMPUTE_PGM_RSRC2:SCRATCH_EN: 0
; COMPUTE_PGM_RSRC2:USER_SGPR: 6
; COMPUTE_PGM_RSRC2:TRAP_HANDLER: 0
; COMPUTE_PGM_RSRC2:TGID_X_EN: 1
; COMPUTE_PGM_RSRC2:TGID_Y_EN: 0
; COMPUTE_PGM_RSRC2:TGID_Z_EN: 0
; COMPUTE_PGM_RSRC2:TIDIG_COMP_CNT: 0
; COMPUTE_PGM_RSRC3_GFX90A:ACCUM_OFFSET: 0
; COMPUTE_PGM_RSRC3_GFX90A:TG_SPLIT: 0
	.section	.text._ZN7rocprim17ROCPRIM_400000_NS6detail17trampoline_kernelINS0_14default_configENS1_20scan_config_selectorIsEEZZNS1_9scan_implILNS1_25lookback_scan_determinismE0ELb0ELb0ES3_N6thrust23THRUST_200600_302600_NS6detail15normal_iteratorINS9_10device_ptrIsEEEESE_sNS9_4plusIsEEsEEDaPvRmT3_T4_T5_mT6_P12ihipStream_tbENKUlT_T0_E_clISt17integral_constantIbLb1EEST_IbLb0EEEEDaSP_SQ_EUlSP_E0_NS1_11comp_targetILNS1_3genE10ELNS1_11target_archE1201ELNS1_3gpuE5ELNS1_3repE0EEENS1_30default_config_static_selectorELNS0_4arch9wavefront6targetE1EEEvT1_,"axG",@progbits,_ZN7rocprim17ROCPRIM_400000_NS6detail17trampoline_kernelINS0_14default_configENS1_20scan_config_selectorIsEEZZNS1_9scan_implILNS1_25lookback_scan_determinismE0ELb0ELb0ES3_N6thrust23THRUST_200600_302600_NS6detail15normal_iteratorINS9_10device_ptrIsEEEESE_sNS9_4plusIsEEsEEDaPvRmT3_T4_T5_mT6_P12ihipStream_tbENKUlT_T0_E_clISt17integral_constantIbLb1EEST_IbLb0EEEEDaSP_SQ_EUlSP_E0_NS1_11comp_targetILNS1_3genE10ELNS1_11target_archE1201ELNS1_3gpuE5ELNS1_3repE0EEENS1_30default_config_static_selectorELNS0_4arch9wavefront6targetE1EEEvT1_,comdat
	.protected	_ZN7rocprim17ROCPRIM_400000_NS6detail17trampoline_kernelINS0_14default_configENS1_20scan_config_selectorIsEEZZNS1_9scan_implILNS1_25lookback_scan_determinismE0ELb0ELb0ES3_N6thrust23THRUST_200600_302600_NS6detail15normal_iteratorINS9_10device_ptrIsEEEESE_sNS9_4plusIsEEsEEDaPvRmT3_T4_T5_mT6_P12ihipStream_tbENKUlT_T0_E_clISt17integral_constantIbLb1EEST_IbLb0EEEEDaSP_SQ_EUlSP_E0_NS1_11comp_targetILNS1_3genE10ELNS1_11target_archE1201ELNS1_3gpuE5ELNS1_3repE0EEENS1_30default_config_static_selectorELNS0_4arch9wavefront6targetE1EEEvT1_ ; -- Begin function _ZN7rocprim17ROCPRIM_400000_NS6detail17trampoline_kernelINS0_14default_configENS1_20scan_config_selectorIsEEZZNS1_9scan_implILNS1_25lookback_scan_determinismE0ELb0ELb0ES3_N6thrust23THRUST_200600_302600_NS6detail15normal_iteratorINS9_10device_ptrIsEEEESE_sNS9_4plusIsEEsEEDaPvRmT3_T4_T5_mT6_P12ihipStream_tbENKUlT_T0_E_clISt17integral_constantIbLb1EEST_IbLb0EEEEDaSP_SQ_EUlSP_E0_NS1_11comp_targetILNS1_3genE10ELNS1_11target_archE1201ELNS1_3gpuE5ELNS1_3repE0EEENS1_30default_config_static_selectorELNS0_4arch9wavefront6targetE1EEEvT1_
	.globl	_ZN7rocprim17ROCPRIM_400000_NS6detail17trampoline_kernelINS0_14default_configENS1_20scan_config_selectorIsEEZZNS1_9scan_implILNS1_25lookback_scan_determinismE0ELb0ELb0ES3_N6thrust23THRUST_200600_302600_NS6detail15normal_iteratorINS9_10device_ptrIsEEEESE_sNS9_4plusIsEEsEEDaPvRmT3_T4_T5_mT6_P12ihipStream_tbENKUlT_T0_E_clISt17integral_constantIbLb1EEST_IbLb0EEEEDaSP_SQ_EUlSP_E0_NS1_11comp_targetILNS1_3genE10ELNS1_11target_archE1201ELNS1_3gpuE5ELNS1_3repE0EEENS1_30default_config_static_selectorELNS0_4arch9wavefront6targetE1EEEvT1_
	.p2align	8
	.type	_ZN7rocprim17ROCPRIM_400000_NS6detail17trampoline_kernelINS0_14default_configENS1_20scan_config_selectorIsEEZZNS1_9scan_implILNS1_25lookback_scan_determinismE0ELb0ELb0ES3_N6thrust23THRUST_200600_302600_NS6detail15normal_iteratorINS9_10device_ptrIsEEEESE_sNS9_4plusIsEEsEEDaPvRmT3_T4_T5_mT6_P12ihipStream_tbENKUlT_T0_E_clISt17integral_constantIbLb1EEST_IbLb0EEEEDaSP_SQ_EUlSP_E0_NS1_11comp_targetILNS1_3genE10ELNS1_11target_archE1201ELNS1_3gpuE5ELNS1_3repE0EEENS1_30default_config_static_selectorELNS0_4arch9wavefront6targetE1EEEvT1_,@function
_ZN7rocprim17ROCPRIM_400000_NS6detail17trampoline_kernelINS0_14default_configENS1_20scan_config_selectorIsEEZZNS1_9scan_implILNS1_25lookback_scan_determinismE0ELb0ELb0ES3_N6thrust23THRUST_200600_302600_NS6detail15normal_iteratorINS9_10device_ptrIsEEEESE_sNS9_4plusIsEEsEEDaPvRmT3_T4_T5_mT6_P12ihipStream_tbENKUlT_T0_E_clISt17integral_constantIbLb1EEST_IbLb0EEEEDaSP_SQ_EUlSP_E0_NS1_11comp_targetILNS1_3genE10ELNS1_11target_archE1201ELNS1_3gpuE5ELNS1_3repE0EEENS1_30default_config_static_selectorELNS0_4arch9wavefront6targetE1EEEvT1_: ; @_ZN7rocprim17ROCPRIM_400000_NS6detail17trampoline_kernelINS0_14default_configENS1_20scan_config_selectorIsEEZZNS1_9scan_implILNS1_25lookback_scan_determinismE0ELb0ELb0ES3_N6thrust23THRUST_200600_302600_NS6detail15normal_iteratorINS9_10device_ptrIsEEEESE_sNS9_4plusIsEEsEEDaPvRmT3_T4_T5_mT6_P12ihipStream_tbENKUlT_T0_E_clISt17integral_constantIbLb1EEST_IbLb0EEEEDaSP_SQ_EUlSP_E0_NS1_11comp_targetILNS1_3genE10ELNS1_11target_archE1201ELNS1_3gpuE5ELNS1_3repE0EEENS1_30default_config_static_selectorELNS0_4arch9wavefront6targetE1EEEvT1_
; %bb.0:
	.section	.rodata,"a",@progbits
	.p2align	6, 0x0
	.amdhsa_kernel _ZN7rocprim17ROCPRIM_400000_NS6detail17trampoline_kernelINS0_14default_configENS1_20scan_config_selectorIsEEZZNS1_9scan_implILNS1_25lookback_scan_determinismE0ELb0ELb0ES3_N6thrust23THRUST_200600_302600_NS6detail15normal_iteratorINS9_10device_ptrIsEEEESE_sNS9_4plusIsEEsEEDaPvRmT3_T4_T5_mT6_P12ihipStream_tbENKUlT_T0_E_clISt17integral_constantIbLb1EEST_IbLb0EEEEDaSP_SQ_EUlSP_E0_NS1_11comp_targetILNS1_3genE10ELNS1_11target_archE1201ELNS1_3gpuE5ELNS1_3repE0EEENS1_30default_config_static_selectorELNS0_4arch9wavefront6targetE1EEEvT1_
		.amdhsa_group_segment_fixed_size 0
		.amdhsa_private_segment_fixed_size 0
		.amdhsa_kernarg_size 32
		.amdhsa_user_sgpr_count 6
		.amdhsa_user_sgpr_private_segment_buffer 1
		.amdhsa_user_sgpr_dispatch_ptr 0
		.amdhsa_user_sgpr_queue_ptr 0
		.amdhsa_user_sgpr_kernarg_segment_ptr 1
		.amdhsa_user_sgpr_dispatch_id 0
		.amdhsa_user_sgpr_flat_scratch_init 0
		.amdhsa_user_sgpr_kernarg_preload_length 0
		.amdhsa_user_sgpr_kernarg_preload_offset 0
		.amdhsa_user_sgpr_private_segment_size 0
		.amdhsa_uses_dynamic_stack 0
		.amdhsa_system_sgpr_private_segment_wavefront_offset 0
		.amdhsa_system_sgpr_workgroup_id_x 1
		.amdhsa_system_sgpr_workgroup_id_y 0
		.amdhsa_system_sgpr_workgroup_id_z 0
		.amdhsa_system_sgpr_workgroup_info 0
		.amdhsa_system_vgpr_workitem_id 0
		.amdhsa_next_free_vgpr 1
		.amdhsa_next_free_sgpr 0
		.amdhsa_accum_offset 4
		.amdhsa_reserve_vcc 0
		.amdhsa_reserve_flat_scratch 0
		.amdhsa_float_round_mode_32 0
		.amdhsa_float_round_mode_16_64 0
		.amdhsa_float_denorm_mode_32 3
		.amdhsa_float_denorm_mode_16_64 3
		.amdhsa_dx10_clamp 1
		.amdhsa_ieee_mode 1
		.amdhsa_fp16_overflow 0
		.amdhsa_tg_split 0
		.amdhsa_exception_fp_ieee_invalid_op 0
		.amdhsa_exception_fp_denorm_src 0
		.amdhsa_exception_fp_ieee_div_zero 0
		.amdhsa_exception_fp_ieee_overflow 0
		.amdhsa_exception_fp_ieee_underflow 0
		.amdhsa_exception_fp_ieee_inexact 0
		.amdhsa_exception_int_div_zero 0
	.end_amdhsa_kernel
	.section	.text._ZN7rocprim17ROCPRIM_400000_NS6detail17trampoline_kernelINS0_14default_configENS1_20scan_config_selectorIsEEZZNS1_9scan_implILNS1_25lookback_scan_determinismE0ELb0ELb0ES3_N6thrust23THRUST_200600_302600_NS6detail15normal_iteratorINS9_10device_ptrIsEEEESE_sNS9_4plusIsEEsEEDaPvRmT3_T4_T5_mT6_P12ihipStream_tbENKUlT_T0_E_clISt17integral_constantIbLb1EEST_IbLb0EEEEDaSP_SQ_EUlSP_E0_NS1_11comp_targetILNS1_3genE10ELNS1_11target_archE1201ELNS1_3gpuE5ELNS1_3repE0EEENS1_30default_config_static_selectorELNS0_4arch9wavefront6targetE1EEEvT1_,"axG",@progbits,_ZN7rocprim17ROCPRIM_400000_NS6detail17trampoline_kernelINS0_14default_configENS1_20scan_config_selectorIsEEZZNS1_9scan_implILNS1_25lookback_scan_determinismE0ELb0ELb0ES3_N6thrust23THRUST_200600_302600_NS6detail15normal_iteratorINS9_10device_ptrIsEEEESE_sNS9_4plusIsEEsEEDaPvRmT3_T4_T5_mT6_P12ihipStream_tbENKUlT_T0_E_clISt17integral_constantIbLb1EEST_IbLb0EEEEDaSP_SQ_EUlSP_E0_NS1_11comp_targetILNS1_3genE10ELNS1_11target_archE1201ELNS1_3gpuE5ELNS1_3repE0EEENS1_30default_config_static_selectorELNS0_4arch9wavefront6targetE1EEEvT1_,comdat
.Lfunc_end1101:
	.size	_ZN7rocprim17ROCPRIM_400000_NS6detail17trampoline_kernelINS0_14default_configENS1_20scan_config_selectorIsEEZZNS1_9scan_implILNS1_25lookback_scan_determinismE0ELb0ELb0ES3_N6thrust23THRUST_200600_302600_NS6detail15normal_iteratorINS9_10device_ptrIsEEEESE_sNS9_4plusIsEEsEEDaPvRmT3_T4_T5_mT6_P12ihipStream_tbENKUlT_T0_E_clISt17integral_constantIbLb1EEST_IbLb0EEEEDaSP_SQ_EUlSP_E0_NS1_11comp_targetILNS1_3genE10ELNS1_11target_archE1201ELNS1_3gpuE5ELNS1_3repE0EEENS1_30default_config_static_selectorELNS0_4arch9wavefront6targetE1EEEvT1_, .Lfunc_end1101-_ZN7rocprim17ROCPRIM_400000_NS6detail17trampoline_kernelINS0_14default_configENS1_20scan_config_selectorIsEEZZNS1_9scan_implILNS1_25lookback_scan_determinismE0ELb0ELb0ES3_N6thrust23THRUST_200600_302600_NS6detail15normal_iteratorINS9_10device_ptrIsEEEESE_sNS9_4plusIsEEsEEDaPvRmT3_T4_T5_mT6_P12ihipStream_tbENKUlT_T0_E_clISt17integral_constantIbLb1EEST_IbLb0EEEEDaSP_SQ_EUlSP_E0_NS1_11comp_targetILNS1_3genE10ELNS1_11target_archE1201ELNS1_3gpuE5ELNS1_3repE0EEENS1_30default_config_static_selectorELNS0_4arch9wavefront6targetE1EEEvT1_
                                        ; -- End function
	.section	.AMDGPU.csdata,"",@progbits
; Kernel info:
; codeLenInByte = 0
; NumSgprs: 4
; NumVgprs: 0
; NumAgprs: 0
; TotalNumVgprs: 0
; ScratchSize: 0
; MemoryBound: 0
; FloatMode: 240
; IeeeMode: 1
; LDSByteSize: 0 bytes/workgroup (compile time only)
; SGPRBlocks: 0
; VGPRBlocks: 0
; NumSGPRsForWavesPerEU: 4
; NumVGPRsForWavesPerEU: 1
; AccumOffset: 4
; Occupancy: 8
; WaveLimiterHint : 0
; COMPUTE_PGM_RSRC2:SCRATCH_EN: 0
; COMPUTE_PGM_RSRC2:USER_SGPR: 6
; COMPUTE_PGM_RSRC2:TRAP_HANDLER: 0
; COMPUTE_PGM_RSRC2:TGID_X_EN: 1
; COMPUTE_PGM_RSRC2:TGID_Y_EN: 0
; COMPUTE_PGM_RSRC2:TGID_Z_EN: 0
; COMPUTE_PGM_RSRC2:TIDIG_COMP_CNT: 0
; COMPUTE_PGM_RSRC3_GFX90A:ACCUM_OFFSET: 0
; COMPUTE_PGM_RSRC3_GFX90A:TG_SPLIT: 0
	.section	.text._ZN7rocprim17ROCPRIM_400000_NS6detail17trampoline_kernelINS0_14default_configENS1_20scan_config_selectorIsEEZZNS1_9scan_implILNS1_25lookback_scan_determinismE0ELb0ELb0ES3_N6thrust23THRUST_200600_302600_NS6detail15normal_iteratorINS9_10device_ptrIsEEEESE_sNS9_4plusIsEEsEEDaPvRmT3_T4_T5_mT6_P12ihipStream_tbENKUlT_T0_E_clISt17integral_constantIbLb1EEST_IbLb0EEEEDaSP_SQ_EUlSP_E0_NS1_11comp_targetILNS1_3genE10ELNS1_11target_archE1200ELNS1_3gpuE4ELNS1_3repE0EEENS1_30default_config_static_selectorELNS0_4arch9wavefront6targetE1EEEvT1_,"axG",@progbits,_ZN7rocprim17ROCPRIM_400000_NS6detail17trampoline_kernelINS0_14default_configENS1_20scan_config_selectorIsEEZZNS1_9scan_implILNS1_25lookback_scan_determinismE0ELb0ELb0ES3_N6thrust23THRUST_200600_302600_NS6detail15normal_iteratorINS9_10device_ptrIsEEEESE_sNS9_4plusIsEEsEEDaPvRmT3_T4_T5_mT6_P12ihipStream_tbENKUlT_T0_E_clISt17integral_constantIbLb1EEST_IbLb0EEEEDaSP_SQ_EUlSP_E0_NS1_11comp_targetILNS1_3genE10ELNS1_11target_archE1200ELNS1_3gpuE4ELNS1_3repE0EEENS1_30default_config_static_selectorELNS0_4arch9wavefront6targetE1EEEvT1_,comdat
	.protected	_ZN7rocprim17ROCPRIM_400000_NS6detail17trampoline_kernelINS0_14default_configENS1_20scan_config_selectorIsEEZZNS1_9scan_implILNS1_25lookback_scan_determinismE0ELb0ELb0ES3_N6thrust23THRUST_200600_302600_NS6detail15normal_iteratorINS9_10device_ptrIsEEEESE_sNS9_4plusIsEEsEEDaPvRmT3_T4_T5_mT6_P12ihipStream_tbENKUlT_T0_E_clISt17integral_constantIbLb1EEST_IbLb0EEEEDaSP_SQ_EUlSP_E0_NS1_11comp_targetILNS1_3genE10ELNS1_11target_archE1200ELNS1_3gpuE4ELNS1_3repE0EEENS1_30default_config_static_selectorELNS0_4arch9wavefront6targetE1EEEvT1_ ; -- Begin function _ZN7rocprim17ROCPRIM_400000_NS6detail17trampoline_kernelINS0_14default_configENS1_20scan_config_selectorIsEEZZNS1_9scan_implILNS1_25lookback_scan_determinismE0ELb0ELb0ES3_N6thrust23THRUST_200600_302600_NS6detail15normal_iteratorINS9_10device_ptrIsEEEESE_sNS9_4plusIsEEsEEDaPvRmT3_T4_T5_mT6_P12ihipStream_tbENKUlT_T0_E_clISt17integral_constantIbLb1EEST_IbLb0EEEEDaSP_SQ_EUlSP_E0_NS1_11comp_targetILNS1_3genE10ELNS1_11target_archE1200ELNS1_3gpuE4ELNS1_3repE0EEENS1_30default_config_static_selectorELNS0_4arch9wavefront6targetE1EEEvT1_
	.globl	_ZN7rocprim17ROCPRIM_400000_NS6detail17trampoline_kernelINS0_14default_configENS1_20scan_config_selectorIsEEZZNS1_9scan_implILNS1_25lookback_scan_determinismE0ELb0ELb0ES3_N6thrust23THRUST_200600_302600_NS6detail15normal_iteratorINS9_10device_ptrIsEEEESE_sNS9_4plusIsEEsEEDaPvRmT3_T4_T5_mT6_P12ihipStream_tbENKUlT_T0_E_clISt17integral_constantIbLb1EEST_IbLb0EEEEDaSP_SQ_EUlSP_E0_NS1_11comp_targetILNS1_3genE10ELNS1_11target_archE1200ELNS1_3gpuE4ELNS1_3repE0EEENS1_30default_config_static_selectorELNS0_4arch9wavefront6targetE1EEEvT1_
	.p2align	8
	.type	_ZN7rocprim17ROCPRIM_400000_NS6detail17trampoline_kernelINS0_14default_configENS1_20scan_config_selectorIsEEZZNS1_9scan_implILNS1_25lookback_scan_determinismE0ELb0ELb0ES3_N6thrust23THRUST_200600_302600_NS6detail15normal_iteratorINS9_10device_ptrIsEEEESE_sNS9_4plusIsEEsEEDaPvRmT3_T4_T5_mT6_P12ihipStream_tbENKUlT_T0_E_clISt17integral_constantIbLb1EEST_IbLb0EEEEDaSP_SQ_EUlSP_E0_NS1_11comp_targetILNS1_3genE10ELNS1_11target_archE1200ELNS1_3gpuE4ELNS1_3repE0EEENS1_30default_config_static_selectorELNS0_4arch9wavefront6targetE1EEEvT1_,@function
_ZN7rocprim17ROCPRIM_400000_NS6detail17trampoline_kernelINS0_14default_configENS1_20scan_config_selectorIsEEZZNS1_9scan_implILNS1_25lookback_scan_determinismE0ELb0ELb0ES3_N6thrust23THRUST_200600_302600_NS6detail15normal_iteratorINS9_10device_ptrIsEEEESE_sNS9_4plusIsEEsEEDaPvRmT3_T4_T5_mT6_P12ihipStream_tbENKUlT_T0_E_clISt17integral_constantIbLb1EEST_IbLb0EEEEDaSP_SQ_EUlSP_E0_NS1_11comp_targetILNS1_3genE10ELNS1_11target_archE1200ELNS1_3gpuE4ELNS1_3repE0EEENS1_30default_config_static_selectorELNS0_4arch9wavefront6targetE1EEEvT1_: ; @_ZN7rocprim17ROCPRIM_400000_NS6detail17trampoline_kernelINS0_14default_configENS1_20scan_config_selectorIsEEZZNS1_9scan_implILNS1_25lookback_scan_determinismE0ELb0ELb0ES3_N6thrust23THRUST_200600_302600_NS6detail15normal_iteratorINS9_10device_ptrIsEEEESE_sNS9_4plusIsEEsEEDaPvRmT3_T4_T5_mT6_P12ihipStream_tbENKUlT_T0_E_clISt17integral_constantIbLb1EEST_IbLb0EEEEDaSP_SQ_EUlSP_E0_NS1_11comp_targetILNS1_3genE10ELNS1_11target_archE1200ELNS1_3gpuE4ELNS1_3repE0EEENS1_30default_config_static_selectorELNS0_4arch9wavefront6targetE1EEEvT1_
; %bb.0:
	.section	.rodata,"a",@progbits
	.p2align	6, 0x0
	.amdhsa_kernel _ZN7rocprim17ROCPRIM_400000_NS6detail17trampoline_kernelINS0_14default_configENS1_20scan_config_selectorIsEEZZNS1_9scan_implILNS1_25lookback_scan_determinismE0ELb0ELb0ES3_N6thrust23THRUST_200600_302600_NS6detail15normal_iteratorINS9_10device_ptrIsEEEESE_sNS9_4plusIsEEsEEDaPvRmT3_T4_T5_mT6_P12ihipStream_tbENKUlT_T0_E_clISt17integral_constantIbLb1EEST_IbLb0EEEEDaSP_SQ_EUlSP_E0_NS1_11comp_targetILNS1_3genE10ELNS1_11target_archE1200ELNS1_3gpuE4ELNS1_3repE0EEENS1_30default_config_static_selectorELNS0_4arch9wavefront6targetE1EEEvT1_
		.amdhsa_group_segment_fixed_size 0
		.amdhsa_private_segment_fixed_size 0
		.amdhsa_kernarg_size 32
		.amdhsa_user_sgpr_count 6
		.amdhsa_user_sgpr_private_segment_buffer 1
		.amdhsa_user_sgpr_dispatch_ptr 0
		.amdhsa_user_sgpr_queue_ptr 0
		.amdhsa_user_sgpr_kernarg_segment_ptr 1
		.amdhsa_user_sgpr_dispatch_id 0
		.amdhsa_user_sgpr_flat_scratch_init 0
		.amdhsa_user_sgpr_kernarg_preload_length 0
		.amdhsa_user_sgpr_kernarg_preload_offset 0
		.amdhsa_user_sgpr_private_segment_size 0
		.amdhsa_uses_dynamic_stack 0
		.amdhsa_system_sgpr_private_segment_wavefront_offset 0
		.amdhsa_system_sgpr_workgroup_id_x 1
		.amdhsa_system_sgpr_workgroup_id_y 0
		.amdhsa_system_sgpr_workgroup_id_z 0
		.amdhsa_system_sgpr_workgroup_info 0
		.amdhsa_system_vgpr_workitem_id 0
		.amdhsa_next_free_vgpr 1
		.amdhsa_next_free_sgpr 0
		.amdhsa_accum_offset 4
		.amdhsa_reserve_vcc 0
		.amdhsa_reserve_flat_scratch 0
		.amdhsa_float_round_mode_32 0
		.amdhsa_float_round_mode_16_64 0
		.amdhsa_float_denorm_mode_32 3
		.amdhsa_float_denorm_mode_16_64 3
		.amdhsa_dx10_clamp 1
		.amdhsa_ieee_mode 1
		.amdhsa_fp16_overflow 0
		.amdhsa_tg_split 0
		.amdhsa_exception_fp_ieee_invalid_op 0
		.amdhsa_exception_fp_denorm_src 0
		.amdhsa_exception_fp_ieee_div_zero 0
		.amdhsa_exception_fp_ieee_overflow 0
		.amdhsa_exception_fp_ieee_underflow 0
		.amdhsa_exception_fp_ieee_inexact 0
		.amdhsa_exception_int_div_zero 0
	.end_amdhsa_kernel
	.section	.text._ZN7rocprim17ROCPRIM_400000_NS6detail17trampoline_kernelINS0_14default_configENS1_20scan_config_selectorIsEEZZNS1_9scan_implILNS1_25lookback_scan_determinismE0ELb0ELb0ES3_N6thrust23THRUST_200600_302600_NS6detail15normal_iteratorINS9_10device_ptrIsEEEESE_sNS9_4plusIsEEsEEDaPvRmT3_T4_T5_mT6_P12ihipStream_tbENKUlT_T0_E_clISt17integral_constantIbLb1EEST_IbLb0EEEEDaSP_SQ_EUlSP_E0_NS1_11comp_targetILNS1_3genE10ELNS1_11target_archE1200ELNS1_3gpuE4ELNS1_3repE0EEENS1_30default_config_static_selectorELNS0_4arch9wavefront6targetE1EEEvT1_,"axG",@progbits,_ZN7rocprim17ROCPRIM_400000_NS6detail17trampoline_kernelINS0_14default_configENS1_20scan_config_selectorIsEEZZNS1_9scan_implILNS1_25lookback_scan_determinismE0ELb0ELb0ES3_N6thrust23THRUST_200600_302600_NS6detail15normal_iteratorINS9_10device_ptrIsEEEESE_sNS9_4plusIsEEsEEDaPvRmT3_T4_T5_mT6_P12ihipStream_tbENKUlT_T0_E_clISt17integral_constantIbLb1EEST_IbLb0EEEEDaSP_SQ_EUlSP_E0_NS1_11comp_targetILNS1_3genE10ELNS1_11target_archE1200ELNS1_3gpuE4ELNS1_3repE0EEENS1_30default_config_static_selectorELNS0_4arch9wavefront6targetE1EEEvT1_,comdat
.Lfunc_end1102:
	.size	_ZN7rocprim17ROCPRIM_400000_NS6detail17trampoline_kernelINS0_14default_configENS1_20scan_config_selectorIsEEZZNS1_9scan_implILNS1_25lookback_scan_determinismE0ELb0ELb0ES3_N6thrust23THRUST_200600_302600_NS6detail15normal_iteratorINS9_10device_ptrIsEEEESE_sNS9_4plusIsEEsEEDaPvRmT3_T4_T5_mT6_P12ihipStream_tbENKUlT_T0_E_clISt17integral_constantIbLb1EEST_IbLb0EEEEDaSP_SQ_EUlSP_E0_NS1_11comp_targetILNS1_3genE10ELNS1_11target_archE1200ELNS1_3gpuE4ELNS1_3repE0EEENS1_30default_config_static_selectorELNS0_4arch9wavefront6targetE1EEEvT1_, .Lfunc_end1102-_ZN7rocprim17ROCPRIM_400000_NS6detail17trampoline_kernelINS0_14default_configENS1_20scan_config_selectorIsEEZZNS1_9scan_implILNS1_25lookback_scan_determinismE0ELb0ELb0ES3_N6thrust23THRUST_200600_302600_NS6detail15normal_iteratorINS9_10device_ptrIsEEEESE_sNS9_4plusIsEEsEEDaPvRmT3_T4_T5_mT6_P12ihipStream_tbENKUlT_T0_E_clISt17integral_constantIbLb1EEST_IbLb0EEEEDaSP_SQ_EUlSP_E0_NS1_11comp_targetILNS1_3genE10ELNS1_11target_archE1200ELNS1_3gpuE4ELNS1_3repE0EEENS1_30default_config_static_selectorELNS0_4arch9wavefront6targetE1EEEvT1_
                                        ; -- End function
	.section	.AMDGPU.csdata,"",@progbits
; Kernel info:
; codeLenInByte = 0
; NumSgprs: 4
; NumVgprs: 0
; NumAgprs: 0
; TotalNumVgprs: 0
; ScratchSize: 0
; MemoryBound: 0
; FloatMode: 240
; IeeeMode: 1
; LDSByteSize: 0 bytes/workgroup (compile time only)
; SGPRBlocks: 0
; VGPRBlocks: 0
; NumSGPRsForWavesPerEU: 4
; NumVGPRsForWavesPerEU: 1
; AccumOffset: 4
; Occupancy: 8
; WaveLimiterHint : 0
; COMPUTE_PGM_RSRC2:SCRATCH_EN: 0
; COMPUTE_PGM_RSRC2:USER_SGPR: 6
; COMPUTE_PGM_RSRC2:TRAP_HANDLER: 0
; COMPUTE_PGM_RSRC2:TGID_X_EN: 1
; COMPUTE_PGM_RSRC2:TGID_Y_EN: 0
; COMPUTE_PGM_RSRC2:TGID_Z_EN: 0
; COMPUTE_PGM_RSRC2:TIDIG_COMP_CNT: 0
; COMPUTE_PGM_RSRC3_GFX90A:ACCUM_OFFSET: 0
; COMPUTE_PGM_RSRC3_GFX90A:TG_SPLIT: 0
	.section	.text._ZN7rocprim17ROCPRIM_400000_NS6detail17trampoline_kernelINS0_14default_configENS1_20scan_config_selectorIsEEZZNS1_9scan_implILNS1_25lookback_scan_determinismE0ELb0ELb0ES3_N6thrust23THRUST_200600_302600_NS6detail15normal_iteratorINS9_10device_ptrIsEEEESE_sNS9_4plusIsEEsEEDaPvRmT3_T4_T5_mT6_P12ihipStream_tbENKUlT_T0_E_clISt17integral_constantIbLb1EEST_IbLb0EEEEDaSP_SQ_EUlSP_E0_NS1_11comp_targetILNS1_3genE9ELNS1_11target_archE1100ELNS1_3gpuE3ELNS1_3repE0EEENS1_30default_config_static_selectorELNS0_4arch9wavefront6targetE1EEEvT1_,"axG",@progbits,_ZN7rocprim17ROCPRIM_400000_NS6detail17trampoline_kernelINS0_14default_configENS1_20scan_config_selectorIsEEZZNS1_9scan_implILNS1_25lookback_scan_determinismE0ELb0ELb0ES3_N6thrust23THRUST_200600_302600_NS6detail15normal_iteratorINS9_10device_ptrIsEEEESE_sNS9_4plusIsEEsEEDaPvRmT3_T4_T5_mT6_P12ihipStream_tbENKUlT_T0_E_clISt17integral_constantIbLb1EEST_IbLb0EEEEDaSP_SQ_EUlSP_E0_NS1_11comp_targetILNS1_3genE9ELNS1_11target_archE1100ELNS1_3gpuE3ELNS1_3repE0EEENS1_30default_config_static_selectorELNS0_4arch9wavefront6targetE1EEEvT1_,comdat
	.protected	_ZN7rocprim17ROCPRIM_400000_NS6detail17trampoline_kernelINS0_14default_configENS1_20scan_config_selectorIsEEZZNS1_9scan_implILNS1_25lookback_scan_determinismE0ELb0ELb0ES3_N6thrust23THRUST_200600_302600_NS6detail15normal_iteratorINS9_10device_ptrIsEEEESE_sNS9_4plusIsEEsEEDaPvRmT3_T4_T5_mT6_P12ihipStream_tbENKUlT_T0_E_clISt17integral_constantIbLb1EEST_IbLb0EEEEDaSP_SQ_EUlSP_E0_NS1_11comp_targetILNS1_3genE9ELNS1_11target_archE1100ELNS1_3gpuE3ELNS1_3repE0EEENS1_30default_config_static_selectorELNS0_4arch9wavefront6targetE1EEEvT1_ ; -- Begin function _ZN7rocprim17ROCPRIM_400000_NS6detail17trampoline_kernelINS0_14default_configENS1_20scan_config_selectorIsEEZZNS1_9scan_implILNS1_25lookback_scan_determinismE0ELb0ELb0ES3_N6thrust23THRUST_200600_302600_NS6detail15normal_iteratorINS9_10device_ptrIsEEEESE_sNS9_4plusIsEEsEEDaPvRmT3_T4_T5_mT6_P12ihipStream_tbENKUlT_T0_E_clISt17integral_constantIbLb1EEST_IbLb0EEEEDaSP_SQ_EUlSP_E0_NS1_11comp_targetILNS1_3genE9ELNS1_11target_archE1100ELNS1_3gpuE3ELNS1_3repE0EEENS1_30default_config_static_selectorELNS0_4arch9wavefront6targetE1EEEvT1_
	.globl	_ZN7rocprim17ROCPRIM_400000_NS6detail17trampoline_kernelINS0_14default_configENS1_20scan_config_selectorIsEEZZNS1_9scan_implILNS1_25lookback_scan_determinismE0ELb0ELb0ES3_N6thrust23THRUST_200600_302600_NS6detail15normal_iteratorINS9_10device_ptrIsEEEESE_sNS9_4plusIsEEsEEDaPvRmT3_T4_T5_mT6_P12ihipStream_tbENKUlT_T0_E_clISt17integral_constantIbLb1EEST_IbLb0EEEEDaSP_SQ_EUlSP_E0_NS1_11comp_targetILNS1_3genE9ELNS1_11target_archE1100ELNS1_3gpuE3ELNS1_3repE0EEENS1_30default_config_static_selectorELNS0_4arch9wavefront6targetE1EEEvT1_
	.p2align	8
	.type	_ZN7rocprim17ROCPRIM_400000_NS6detail17trampoline_kernelINS0_14default_configENS1_20scan_config_selectorIsEEZZNS1_9scan_implILNS1_25lookback_scan_determinismE0ELb0ELb0ES3_N6thrust23THRUST_200600_302600_NS6detail15normal_iteratorINS9_10device_ptrIsEEEESE_sNS9_4plusIsEEsEEDaPvRmT3_T4_T5_mT6_P12ihipStream_tbENKUlT_T0_E_clISt17integral_constantIbLb1EEST_IbLb0EEEEDaSP_SQ_EUlSP_E0_NS1_11comp_targetILNS1_3genE9ELNS1_11target_archE1100ELNS1_3gpuE3ELNS1_3repE0EEENS1_30default_config_static_selectorELNS0_4arch9wavefront6targetE1EEEvT1_,@function
_ZN7rocprim17ROCPRIM_400000_NS6detail17trampoline_kernelINS0_14default_configENS1_20scan_config_selectorIsEEZZNS1_9scan_implILNS1_25lookback_scan_determinismE0ELb0ELb0ES3_N6thrust23THRUST_200600_302600_NS6detail15normal_iteratorINS9_10device_ptrIsEEEESE_sNS9_4plusIsEEsEEDaPvRmT3_T4_T5_mT6_P12ihipStream_tbENKUlT_T0_E_clISt17integral_constantIbLb1EEST_IbLb0EEEEDaSP_SQ_EUlSP_E0_NS1_11comp_targetILNS1_3genE9ELNS1_11target_archE1100ELNS1_3gpuE3ELNS1_3repE0EEENS1_30default_config_static_selectorELNS0_4arch9wavefront6targetE1EEEvT1_: ; @_ZN7rocprim17ROCPRIM_400000_NS6detail17trampoline_kernelINS0_14default_configENS1_20scan_config_selectorIsEEZZNS1_9scan_implILNS1_25lookback_scan_determinismE0ELb0ELb0ES3_N6thrust23THRUST_200600_302600_NS6detail15normal_iteratorINS9_10device_ptrIsEEEESE_sNS9_4plusIsEEsEEDaPvRmT3_T4_T5_mT6_P12ihipStream_tbENKUlT_T0_E_clISt17integral_constantIbLb1EEST_IbLb0EEEEDaSP_SQ_EUlSP_E0_NS1_11comp_targetILNS1_3genE9ELNS1_11target_archE1100ELNS1_3gpuE3ELNS1_3repE0EEENS1_30default_config_static_selectorELNS0_4arch9wavefront6targetE1EEEvT1_
; %bb.0:
	.section	.rodata,"a",@progbits
	.p2align	6, 0x0
	.amdhsa_kernel _ZN7rocprim17ROCPRIM_400000_NS6detail17trampoline_kernelINS0_14default_configENS1_20scan_config_selectorIsEEZZNS1_9scan_implILNS1_25lookback_scan_determinismE0ELb0ELb0ES3_N6thrust23THRUST_200600_302600_NS6detail15normal_iteratorINS9_10device_ptrIsEEEESE_sNS9_4plusIsEEsEEDaPvRmT3_T4_T5_mT6_P12ihipStream_tbENKUlT_T0_E_clISt17integral_constantIbLb1EEST_IbLb0EEEEDaSP_SQ_EUlSP_E0_NS1_11comp_targetILNS1_3genE9ELNS1_11target_archE1100ELNS1_3gpuE3ELNS1_3repE0EEENS1_30default_config_static_selectorELNS0_4arch9wavefront6targetE1EEEvT1_
		.amdhsa_group_segment_fixed_size 0
		.amdhsa_private_segment_fixed_size 0
		.amdhsa_kernarg_size 32
		.amdhsa_user_sgpr_count 6
		.amdhsa_user_sgpr_private_segment_buffer 1
		.amdhsa_user_sgpr_dispatch_ptr 0
		.amdhsa_user_sgpr_queue_ptr 0
		.amdhsa_user_sgpr_kernarg_segment_ptr 1
		.amdhsa_user_sgpr_dispatch_id 0
		.amdhsa_user_sgpr_flat_scratch_init 0
		.amdhsa_user_sgpr_kernarg_preload_length 0
		.amdhsa_user_sgpr_kernarg_preload_offset 0
		.amdhsa_user_sgpr_private_segment_size 0
		.amdhsa_uses_dynamic_stack 0
		.amdhsa_system_sgpr_private_segment_wavefront_offset 0
		.amdhsa_system_sgpr_workgroup_id_x 1
		.amdhsa_system_sgpr_workgroup_id_y 0
		.amdhsa_system_sgpr_workgroup_id_z 0
		.amdhsa_system_sgpr_workgroup_info 0
		.amdhsa_system_vgpr_workitem_id 0
		.amdhsa_next_free_vgpr 1
		.amdhsa_next_free_sgpr 0
		.amdhsa_accum_offset 4
		.amdhsa_reserve_vcc 0
		.amdhsa_reserve_flat_scratch 0
		.amdhsa_float_round_mode_32 0
		.amdhsa_float_round_mode_16_64 0
		.amdhsa_float_denorm_mode_32 3
		.amdhsa_float_denorm_mode_16_64 3
		.amdhsa_dx10_clamp 1
		.amdhsa_ieee_mode 1
		.amdhsa_fp16_overflow 0
		.amdhsa_tg_split 0
		.amdhsa_exception_fp_ieee_invalid_op 0
		.amdhsa_exception_fp_denorm_src 0
		.amdhsa_exception_fp_ieee_div_zero 0
		.amdhsa_exception_fp_ieee_overflow 0
		.amdhsa_exception_fp_ieee_underflow 0
		.amdhsa_exception_fp_ieee_inexact 0
		.amdhsa_exception_int_div_zero 0
	.end_amdhsa_kernel
	.section	.text._ZN7rocprim17ROCPRIM_400000_NS6detail17trampoline_kernelINS0_14default_configENS1_20scan_config_selectorIsEEZZNS1_9scan_implILNS1_25lookback_scan_determinismE0ELb0ELb0ES3_N6thrust23THRUST_200600_302600_NS6detail15normal_iteratorINS9_10device_ptrIsEEEESE_sNS9_4plusIsEEsEEDaPvRmT3_T4_T5_mT6_P12ihipStream_tbENKUlT_T0_E_clISt17integral_constantIbLb1EEST_IbLb0EEEEDaSP_SQ_EUlSP_E0_NS1_11comp_targetILNS1_3genE9ELNS1_11target_archE1100ELNS1_3gpuE3ELNS1_3repE0EEENS1_30default_config_static_selectorELNS0_4arch9wavefront6targetE1EEEvT1_,"axG",@progbits,_ZN7rocprim17ROCPRIM_400000_NS6detail17trampoline_kernelINS0_14default_configENS1_20scan_config_selectorIsEEZZNS1_9scan_implILNS1_25lookback_scan_determinismE0ELb0ELb0ES3_N6thrust23THRUST_200600_302600_NS6detail15normal_iteratorINS9_10device_ptrIsEEEESE_sNS9_4plusIsEEsEEDaPvRmT3_T4_T5_mT6_P12ihipStream_tbENKUlT_T0_E_clISt17integral_constantIbLb1EEST_IbLb0EEEEDaSP_SQ_EUlSP_E0_NS1_11comp_targetILNS1_3genE9ELNS1_11target_archE1100ELNS1_3gpuE3ELNS1_3repE0EEENS1_30default_config_static_selectorELNS0_4arch9wavefront6targetE1EEEvT1_,comdat
.Lfunc_end1103:
	.size	_ZN7rocprim17ROCPRIM_400000_NS6detail17trampoline_kernelINS0_14default_configENS1_20scan_config_selectorIsEEZZNS1_9scan_implILNS1_25lookback_scan_determinismE0ELb0ELb0ES3_N6thrust23THRUST_200600_302600_NS6detail15normal_iteratorINS9_10device_ptrIsEEEESE_sNS9_4plusIsEEsEEDaPvRmT3_T4_T5_mT6_P12ihipStream_tbENKUlT_T0_E_clISt17integral_constantIbLb1EEST_IbLb0EEEEDaSP_SQ_EUlSP_E0_NS1_11comp_targetILNS1_3genE9ELNS1_11target_archE1100ELNS1_3gpuE3ELNS1_3repE0EEENS1_30default_config_static_selectorELNS0_4arch9wavefront6targetE1EEEvT1_, .Lfunc_end1103-_ZN7rocprim17ROCPRIM_400000_NS6detail17trampoline_kernelINS0_14default_configENS1_20scan_config_selectorIsEEZZNS1_9scan_implILNS1_25lookback_scan_determinismE0ELb0ELb0ES3_N6thrust23THRUST_200600_302600_NS6detail15normal_iteratorINS9_10device_ptrIsEEEESE_sNS9_4plusIsEEsEEDaPvRmT3_T4_T5_mT6_P12ihipStream_tbENKUlT_T0_E_clISt17integral_constantIbLb1EEST_IbLb0EEEEDaSP_SQ_EUlSP_E0_NS1_11comp_targetILNS1_3genE9ELNS1_11target_archE1100ELNS1_3gpuE3ELNS1_3repE0EEENS1_30default_config_static_selectorELNS0_4arch9wavefront6targetE1EEEvT1_
                                        ; -- End function
	.section	.AMDGPU.csdata,"",@progbits
; Kernel info:
; codeLenInByte = 0
; NumSgprs: 4
; NumVgprs: 0
; NumAgprs: 0
; TotalNumVgprs: 0
; ScratchSize: 0
; MemoryBound: 0
; FloatMode: 240
; IeeeMode: 1
; LDSByteSize: 0 bytes/workgroup (compile time only)
; SGPRBlocks: 0
; VGPRBlocks: 0
; NumSGPRsForWavesPerEU: 4
; NumVGPRsForWavesPerEU: 1
; AccumOffset: 4
; Occupancy: 8
; WaveLimiterHint : 0
; COMPUTE_PGM_RSRC2:SCRATCH_EN: 0
; COMPUTE_PGM_RSRC2:USER_SGPR: 6
; COMPUTE_PGM_RSRC2:TRAP_HANDLER: 0
; COMPUTE_PGM_RSRC2:TGID_X_EN: 1
; COMPUTE_PGM_RSRC2:TGID_Y_EN: 0
; COMPUTE_PGM_RSRC2:TGID_Z_EN: 0
; COMPUTE_PGM_RSRC2:TIDIG_COMP_CNT: 0
; COMPUTE_PGM_RSRC3_GFX90A:ACCUM_OFFSET: 0
; COMPUTE_PGM_RSRC3_GFX90A:TG_SPLIT: 0
	.section	.text._ZN7rocprim17ROCPRIM_400000_NS6detail17trampoline_kernelINS0_14default_configENS1_20scan_config_selectorIsEEZZNS1_9scan_implILNS1_25lookback_scan_determinismE0ELb0ELb0ES3_N6thrust23THRUST_200600_302600_NS6detail15normal_iteratorINS9_10device_ptrIsEEEESE_sNS9_4plusIsEEsEEDaPvRmT3_T4_T5_mT6_P12ihipStream_tbENKUlT_T0_E_clISt17integral_constantIbLb1EEST_IbLb0EEEEDaSP_SQ_EUlSP_E0_NS1_11comp_targetILNS1_3genE8ELNS1_11target_archE1030ELNS1_3gpuE2ELNS1_3repE0EEENS1_30default_config_static_selectorELNS0_4arch9wavefront6targetE1EEEvT1_,"axG",@progbits,_ZN7rocprim17ROCPRIM_400000_NS6detail17trampoline_kernelINS0_14default_configENS1_20scan_config_selectorIsEEZZNS1_9scan_implILNS1_25lookback_scan_determinismE0ELb0ELb0ES3_N6thrust23THRUST_200600_302600_NS6detail15normal_iteratorINS9_10device_ptrIsEEEESE_sNS9_4plusIsEEsEEDaPvRmT3_T4_T5_mT6_P12ihipStream_tbENKUlT_T0_E_clISt17integral_constantIbLb1EEST_IbLb0EEEEDaSP_SQ_EUlSP_E0_NS1_11comp_targetILNS1_3genE8ELNS1_11target_archE1030ELNS1_3gpuE2ELNS1_3repE0EEENS1_30default_config_static_selectorELNS0_4arch9wavefront6targetE1EEEvT1_,comdat
	.protected	_ZN7rocprim17ROCPRIM_400000_NS6detail17trampoline_kernelINS0_14default_configENS1_20scan_config_selectorIsEEZZNS1_9scan_implILNS1_25lookback_scan_determinismE0ELb0ELb0ES3_N6thrust23THRUST_200600_302600_NS6detail15normal_iteratorINS9_10device_ptrIsEEEESE_sNS9_4plusIsEEsEEDaPvRmT3_T4_T5_mT6_P12ihipStream_tbENKUlT_T0_E_clISt17integral_constantIbLb1EEST_IbLb0EEEEDaSP_SQ_EUlSP_E0_NS1_11comp_targetILNS1_3genE8ELNS1_11target_archE1030ELNS1_3gpuE2ELNS1_3repE0EEENS1_30default_config_static_selectorELNS0_4arch9wavefront6targetE1EEEvT1_ ; -- Begin function _ZN7rocprim17ROCPRIM_400000_NS6detail17trampoline_kernelINS0_14default_configENS1_20scan_config_selectorIsEEZZNS1_9scan_implILNS1_25lookback_scan_determinismE0ELb0ELb0ES3_N6thrust23THRUST_200600_302600_NS6detail15normal_iteratorINS9_10device_ptrIsEEEESE_sNS9_4plusIsEEsEEDaPvRmT3_T4_T5_mT6_P12ihipStream_tbENKUlT_T0_E_clISt17integral_constantIbLb1EEST_IbLb0EEEEDaSP_SQ_EUlSP_E0_NS1_11comp_targetILNS1_3genE8ELNS1_11target_archE1030ELNS1_3gpuE2ELNS1_3repE0EEENS1_30default_config_static_selectorELNS0_4arch9wavefront6targetE1EEEvT1_
	.globl	_ZN7rocprim17ROCPRIM_400000_NS6detail17trampoline_kernelINS0_14default_configENS1_20scan_config_selectorIsEEZZNS1_9scan_implILNS1_25lookback_scan_determinismE0ELb0ELb0ES3_N6thrust23THRUST_200600_302600_NS6detail15normal_iteratorINS9_10device_ptrIsEEEESE_sNS9_4plusIsEEsEEDaPvRmT3_T4_T5_mT6_P12ihipStream_tbENKUlT_T0_E_clISt17integral_constantIbLb1EEST_IbLb0EEEEDaSP_SQ_EUlSP_E0_NS1_11comp_targetILNS1_3genE8ELNS1_11target_archE1030ELNS1_3gpuE2ELNS1_3repE0EEENS1_30default_config_static_selectorELNS0_4arch9wavefront6targetE1EEEvT1_
	.p2align	8
	.type	_ZN7rocprim17ROCPRIM_400000_NS6detail17trampoline_kernelINS0_14default_configENS1_20scan_config_selectorIsEEZZNS1_9scan_implILNS1_25lookback_scan_determinismE0ELb0ELb0ES3_N6thrust23THRUST_200600_302600_NS6detail15normal_iteratorINS9_10device_ptrIsEEEESE_sNS9_4plusIsEEsEEDaPvRmT3_T4_T5_mT6_P12ihipStream_tbENKUlT_T0_E_clISt17integral_constantIbLb1EEST_IbLb0EEEEDaSP_SQ_EUlSP_E0_NS1_11comp_targetILNS1_3genE8ELNS1_11target_archE1030ELNS1_3gpuE2ELNS1_3repE0EEENS1_30default_config_static_selectorELNS0_4arch9wavefront6targetE1EEEvT1_,@function
_ZN7rocprim17ROCPRIM_400000_NS6detail17trampoline_kernelINS0_14default_configENS1_20scan_config_selectorIsEEZZNS1_9scan_implILNS1_25lookback_scan_determinismE0ELb0ELb0ES3_N6thrust23THRUST_200600_302600_NS6detail15normal_iteratorINS9_10device_ptrIsEEEESE_sNS9_4plusIsEEsEEDaPvRmT3_T4_T5_mT6_P12ihipStream_tbENKUlT_T0_E_clISt17integral_constantIbLb1EEST_IbLb0EEEEDaSP_SQ_EUlSP_E0_NS1_11comp_targetILNS1_3genE8ELNS1_11target_archE1030ELNS1_3gpuE2ELNS1_3repE0EEENS1_30default_config_static_selectorELNS0_4arch9wavefront6targetE1EEEvT1_: ; @_ZN7rocprim17ROCPRIM_400000_NS6detail17trampoline_kernelINS0_14default_configENS1_20scan_config_selectorIsEEZZNS1_9scan_implILNS1_25lookback_scan_determinismE0ELb0ELb0ES3_N6thrust23THRUST_200600_302600_NS6detail15normal_iteratorINS9_10device_ptrIsEEEESE_sNS9_4plusIsEEsEEDaPvRmT3_T4_T5_mT6_P12ihipStream_tbENKUlT_T0_E_clISt17integral_constantIbLb1EEST_IbLb0EEEEDaSP_SQ_EUlSP_E0_NS1_11comp_targetILNS1_3genE8ELNS1_11target_archE1030ELNS1_3gpuE2ELNS1_3repE0EEENS1_30default_config_static_selectorELNS0_4arch9wavefront6targetE1EEEvT1_
; %bb.0:
	.section	.rodata,"a",@progbits
	.p2align	6, 0x0
	.amdhsa_kernel _ZN7rocprim17ROCPRIM_400000_NS6detail17trampoline_kernelINS0_14default_configENS1_20scan_config_selectorIsEEZZNS1_9scan_implILNS1_25lookback_scan_determinismE0ELb0ELb0ES3_N6thrust23THRUST_200600_302600_NS6detail15normal_iteratorINS9_10device_ptrIsEEEESE_sNS9_4plusIsEEsEEDaPvRmT3_T4_T5_mT6_P12ihipStream_tbENKUlT_T0_E_clISt17integral_constantIbLb1EEST_IbLb0EEEEDaSP_SQ_EUlSP_E0_NS1_11comp_targetILNS1_3genE8ELNS1_11target_archE1030ELNS1_3gpuE2ELNS1_3repE0EEENS1_30default_config_static_selectorELNS0_4arch9wavefront6targetE1EEEvT1_
		.amdhsa_group_segment_fixed_size 0
		.amdhsa_private_segment_fixed_size 0
		.amdhsa_kernarg_size 32
		.amdhsa_user_sgpr_count 6
		.amdhsa_user_sgpr_private_segment_buffer 1
		.amdhsa_user_sgpr_dispatch_ptr 0
		.amdhsa_user_sgpr_queue_ptr 0
		.amdhsa_user_sgpr_kernarg_segment_ptr 1
		.amdhsa_user_sgpr_dispatch_id 0
		.amdhsa_user_sgpr_flat_scratch_init 0
		.amdhsa_user_sgpr_kernarg_preload_length 0
		.amdhsa_user_sgpr_kernarg_preload_offset 0
		.amdhsa_user_sgpr_private_segment_size 0
		.amdhsa_uses_dynamic_stack 0
		.amdhsa_system_sgpr_private_segment_wavefront_offset 0
		.amdhsa_system_sgpr_workgroup_id_x 1
		.amdhsa_system_sgpr_workgroup_id_y 0
		.amdhsa_system_sgpr_workgroup_id_z 0
		.amdhsa_system_sgpr_workgroup_info 0
		.amdhsa_system_vgpr_workitem_id 0
		.amdhsa_next_free_vgpr 1
		.amdhsa_next_free_sgpr 0
		.amdhsa_accum_offset 4
		.amdhsa_reserve_vcc 0
		.amdhsa_reserve_flat_scratch 0
		.amdhsa_float_round_mode_32 0
		.amdhsa_float_round_mode_16_64 0
		.amdhsa_float_denorm_mode_32 3
		.amdhsa_float_denorm_mode_16_64 3
		.amdhsa_dx10_clamp 1
		.amdhsa_ieee_mode 1
		.amdhsa_fp16_overflow 0
		.amdhsa_tg_split 0
		.amdhsa_exception_fp_ieee_invalid_op 0
		.amdhsa_exception_fp_denorm_src 0
		.amdhsa_exception_fp_ieee_div_zero 0
		.amdhsa_exception_fp_ieee_overflow 0
		.amdhsa_exception_fp_ieee_underflow 0
		.amdhsa_exception_fp_ieee_inexact 0
		.amdhsa_exception_int_div_zero 0
	.end_amdhsa_kernel
	.section	.text._ZN7rocprim17ROCPRIM_400000_NS6detail17trampoline_kernelINS0_14default_configENS1_20scan_config_selectorIsEEZZNS1_9scan_implILNS1_25lookback_scan_determinismE0ELb0ELb0ES3_N6thrust23THRUST_200600_302600_NS6detail15normal_iteratorINS9_10device_ptrIsEEEESE_sNS9_4plusIsEEsEEDaPvRmT3_T4_T5_mT6_P12ihipStream_tbENKUlT_T0_E_clISt17integral_constantIbLb1EEST_IbLb0EEEEDaSP_SQ_EUlSP_E0_NS1_11comp_targetILNS1_3genE8ELNS1_11target_archE1030ELNS1_3gpuE2ELNS1_3repE0EEENS1_30default_config_static_selectorELNS0_4arch9wavefront6targetE1EEEvT1_,"axG",@progbits,_ZN7rocprim17ROCPRIM_400000_NS6detail17trampoline_kernelINS0_14default_configENS1_20scan_config_selectorIsEEZZNS1_9scan_implILNS1_25lookback_scan_determinismE0ELb0ELb0ES3_N6thrust23THRUST_200600_302600_NS6detail15normal_iteratorINS9_10device_ptrIsEEEESE_sNS9_4plusIsEEsEEDaPvRmT3_T4_T5_mT6_P12ihipStream_tbENKUlT_T0_E_clISt17integral_constantIbLb1EEST_IbLb0EEEEDaSP_SQ_EUlSP_E0_NS1_11comp_targetILNS1_3genE8ELNS1_11target_archE1030ELNS1_3gpuE2ELNS1_3repE0EEENS1_30default_config_static_selectorELNS0_4arch9wavefront6targetE1EEEvT1_,comdat
.Lfunc_end1104:
	.size	_ZN7rocprim17ROCPRIM_400000_NS6detail17trampoline_kernelINS0_14default_configENS1_20scan_config_selectorIsEEZZNS1_9scan_implILNS1_25lookback_scan_determinismE0ELb0ELb0ES3_N6thrust23THRUST_200600_302600_NS6detail15normal_iteratorINS9_10device_ptrIsEEEESE_sNS9_4plusIsEEsEEDaPvRmT3_T4_T5_mT6_P12ihipStream_tbENKUlT_T0_E_clISt17integral_constantIbLb1EEST_IbLb0EEEEDaSP_SQ_EUlSP_E0_NS1_11comp_targetILNS1_3genE8ELNS1_11target_archE1030ELNS1_3gpuE2ELNS1_3repE0EEENS1_30default_config_static_selectorELNS0_4arch9wavefront6targetE1EEEvT1_, .Lfunc_end1104-_ZN7rocprim17ROCPRIM_400000_NS6detail17trampoline_kernelINS0_14default_configENS1_20scan_config_selectorIsEEZZNS1_9scan_implILNS1_25lookback_scan_determinismE0ELb0ELb0ES3_N6thrust23THRUST_200600_302600_NS6detail15normal_iteratorINS9_10device_ptrIsEEEESE_sNS9_4plusIsEEsEEDaPvRmT3_T4_T5_mT6_P12ihipStream_tbENKUlT_T0_E_clISt17integral_constantIbLb1EEST_IbLb0EEEEDaSP_SQ_EUlSP_E0_NS1_11comp_targetILNS1_3genE8ELNS1_11target_archE1030ELNS1_3gpuE2ELNS1_3repE0EEENS1_30default_config_static_selectorELNS0_4arch9wavefront6targetE1EEEvT1_
                                        ; -- End function
	.section	.AMDGPU.csdata,"",@progbits
; Kernel info:
; codeLenInByte = 0
; NumSgprs: 4
; NumVgprs: 0
; NumAgprs: 0
; TotalNumVgprs: 0
; ScratchSize: 0
; MemoryBound: 0
; FloatMode: 240
; IeeeMode: 1
; LDSByteSize: 0 bytes/workgroup (compile time only)
; SGPRBlocks: 0
; VGPRBlocks: 0
; NumSGPRsForWavesPerEU: 4
; NumVGPRsForWavesPerEU: 1
; AccumOffset: 4
; Occupancy: 8
; WaveLimiterHint : 0
; COMPUTE_PGM_RSRC2:SCRATCH_EN: 0
; COMPUTE_PGM_RSRC2:USER_SGPR: 6
; COMPUTE_PGM_RSRC2:TRAP_HANDLER: 0
; COMPUTE_PGM_RSRC2:TGID_X_EN: 1
; COMPUTE_PGM_RSRC2:TGID_Y_EN: 0
; COMPUTE_PGM_RSRC2:TGID_Z_EN: 0
; COMPUTE_PGM_RSRC2:TIDIG_COMP_CNT: 0
; COMPUTE_PGM_RSRC3_GFX90A:ACCUM_OFFSET: 0
; COMPUTE_PGM_RSRC3_GFX90A:TG_SPLIT: 0
	.section	.text._ZN7rocprim17ROCPRIM_400000_NS6detail17trampoline_kernelINS0_14default_configENS1_20scan_config_selectorIsEEZZNS1_9scan_implILNS1_25lookback_scan_determinismE0ELb0ELb0ES3_N6thrust23THRUST_200600_302600_NS6detail15normal_iteratorINS9_10device_ptrIsEEEESE_sNS9_4plusIsEEsEEDaPvRmT3_T4_T5_mT6_P12ihipStream_tbENKUlT_T0_E_clISt17integral_constantIbLb0EEST_IbLb1EEEEDaSP_SQ_EUlSP_E_NS1_11comp_targetILNS1_3genE0ELNS1_11target_archE4294967295ELNS1_3gpuE0ELNS1_3repE0EEENS1_30default_config_static_selectorELNS0_4arch9wavefront6targetE1EEEvT1_,"axG",@progbits,_ZN7rocprim17ROCPRIM_400000_NS6detail17trampoline_kernelINS0_14default_configENS1_20scan_config_selectorIsEEZZNS1_9scan_implILNS1_25lookback_scan_determinismE0ELb0ELb0ES3_N6thrust23THRUST_200600_302600_NS6detail15normal_iteratorINS9_10device_ptrIsEEEESE_sNS9_4plusIsEEsEEDaPvRmT3_T4_T5_mT6_P12ihipStream_tbENKUlT_T0_E_clISt17integral_constantIbLb0EEST_IbLb1EEEEDaSP_SQ_EUlSP_E_NS1_11comp_targetILNS1_3genE0ELNS1_11target_archE4294967295ELNS1_3gpuE0ELNS1_3repE0EEENS1_30default_config_static_selectorELNS0_4arch9wavefront6targetE1EEEvT1_,comdat
	.protected	_ZN7rocprim17ROCPRIM_400000_NS6detail17trampoline_kernelINS0_14default_configENS1_20scan_config_selectorIsEEZZNS1_9scan_implILNS1_25lookback_scan_determinismE0ELb0ELb0ES3_N6thrust23THRUST_200600_302600_NS6detail15normal_iteratorINS9_10device_ptrIsEEEESE_sNS9_4plusIsEEsEEDaPvRmT3_T4_T5_mT6_P12ihipStream_tbENKUlT_T0_E_clISt17integral_constantIbLb0EEST_IbLb1EEEEDaSP_SQ_EUlSP_E_NS1_11comp_targetILNS1_3genE0ELNS1_11target_archE4294967295ELNS1_3gpuE0ELNS1_3repE0EEENS1_30default_config_static_selectorELNS0_4arch9wavefront6targetE1EEEvT1_ ; -- Begin function _ZN7rocprim17ROCPRIM_400000_NS6detail17trampoline_kernelINS0_14default_configENS1_20scan_config_selectorIsEEZZNS1_9scan_implILNS1_25lookback_scan_determinismE0ELb0ELb0ES3_N6thrust23THRUST_200600_302600_NS6detail15normal_iteratorINS9_10device_ptrIsEEEESE_sNS9_4plusIsEEsEEDaPvRmT3_T4_T5_mT6_P12ihipStream_tbENKUlT_T0_E_clISt17integral_constantIbLb0EEST_IbLb1EEEEDaSP_SQ_EUlSP_E_NS1_11comp_targetILNS1_3genE0ELNS1_11target_archE4294967295ELNS1_3gpuE0ELNS1_3repE0EEENS1_30default_config_static_selectorELNS0_4arch9wavefront6targetE1EEEvT1_
	.globl	_ZN7rocprim17ROCPRIM_400000_NS6detail17trampoline_kernelINS0_14default_configENS1_20scan_config_selectorIsEEZZNS1_9scan_implILNS1_25lookback_scan_determinismE0ELb0ELb0ES3_N6thrust23THRUST_200600_302600_NS6detail15normal_iteratorINS9_10device_ptrIsEEEESE_sNS9_4plusIsEEsEEDaPvRmT3_T4_T5_mT6_P12ihipStream_tbENKUlT_T0_E_clISt17integral_constantIbLb0EEST_IbLb1EEEEDaSP_SQ_EUlSP_E_NS1_11comp_targetILNS1_3genE0ELNS1_11target_archE4294967295ELNS1_3gpuE0ELNS1_3repE0EEENS1_30default_config_static_selectorELNS0_4arch9wavefront6targetE1EEEvT1_
	.p2align	8
	.type	_ZN7rocprim17ROCPRIM_400000_NS6detail17trampoline_kernelINS0_14default_configENS1_20scan_config_selectorIsEEZZNS1_9scan_implILNS1_25lookback_scan_determinismE0ELb0ELb0ES3_N6thrust23THRUST_200600_302600_NS6detail15normal_iteratorINS9_10device_ptrIsEEEESE_sNS9_4plusIsEEsEEDaPvRmT3_T4_T5_mT6_P12ihipStream_tbENKUlT_T0_E_clISt17integral_constantIbLb0EEST_IbLb1EEEEDaSP_SQ_EUlSP_E_NS1_11comp_targetILNS1_3genE0ELNS1_11target_archE4294967295ELNS1_3gpuE0ELNS1_3repE0EEENS1_30default_config_static_selectorELNS0_4arch9wavefront6targetE1EEEvT1_,@function
_ZN7rocprim17ROCPRIM_400000_NS6detail17trampoline_kernelINS0_14default_configENS1_20scan_config_selectorIsEEZZNS1_9scan_implILNS1_25lookback_scan_determinismE0ELb0ELb0ES3_N6thrust23THRUST_200600_302600_NS6detail15normal_iteratorINS9_10device_ptrIsEEEESE_sNS9_4plusIsEEsEEDaPvRmT3_T4_T5_mT6_P12ihipStream_tbENKUlT_T0_E_clISt17integral_constantIbLb0EEST_IbLb1EEEEDaSP_SQ_EUlSP_E_NS1_11comp_targetILNS1_3genE0ELNS1_11target_archE4294967295ELNS1_3gpuE0ELNS1_3repE0EEENS1_30default_config_static_selectorELNS0_4arch9wavefront6targetE1EEEvT1_: ; @_ZN7rocprim17ROCPRIM_400000_NS6detail17trampoline_kernelINS0_14default_configENS1_20scan_config_selectorIsEEZZNS1_9scan_implILNS1_25lookback_scan_determinismE0ELb0ELb0ES3_N6thrust23THRUST_200600_302600_NS6detail15normal_iteratorINS9_10device_ptrIsEEEESE_sNS9_4plusIsEEsEEDaPvRmT3_T4_T5_mT6_P12ihipStream_tbENKUlT_T0_E_clISt17integral_constantIbLb0EEST_IbLb1EEEEDaSP_SQ_EUlSP_E_NS1_11comp_targetILNS1_3genE0ELNS1_11target_archE4294967295ELNS1_3gpuE0ELNS1_3repE0EEENS1_30default_config_static_selectorELNS0_4arch9wavefront6targetE1EEEvT1_
; %bb.0:
	.section	.rodata,"a",@progbits
	.p2align	6, 0x0
	.amdhsa_kernel _ZN7rocprim17ROCPRIM_400000_NS6detail17trampoline_kernelINS0_14default_configENS1_20scan_config_selectorIsEEZZNS1_9scan_implILNS1_25lookback_scan_determinismE0ELb0ELb0ES3_N6thrust23THRUST_200600_302600_NS6detail15normal_iteratorINS9_10device_ptrIsEEEESE_sNS9_4plusIsEEsEEDaPvRmT3_T4_T5_mT6_P12ihipStream_tbENKUlT_T0_E_clISt17integral_constantIbLb0EEST_IbLb1EEEEDaSP_SQ_EUlSP_E_NS1_11comp_targetILNS1_3genE0ELNS1_11target_archE4294967295ELNS1_3gpuE0ELNS1_3repE0EEENS1_30default_config_static_selectorELNS0_4arch9wavefront6targetE1EEEvT1_
		.amdhsa_group_segment_fixed_size 0
		.amdhsa_private_segment_fixed_size 0
		.amdhsa_kernarg_size 96
		.amdhsa_user_sgpr_count 6
		.amdhsa_user_sgpr_private_segment_buffer 1
		.amdhsa_user_sgpr_dispatch_ptr 0
		.amdhsa_user_sgpr_queue_ptr 0
		.amdhsa_user_sgpr_kernarg_segment_ptr 1
		.amdhsa_user_sgpr_dispatch_id 0
		.amdhsa_user_sgpr_flat_scratch_init 0
		.amdhsa_user_sgpr_kernarg_preload_length 0
		.amdhsa_user_sgpr_kernarg_preload_offset 0
		.amdhsa_user_sgpr_private_segment_size 0
		.amdhsa_uses_dynamic_stack 0
		.amdhsa_system_sgpr_private_segment_wavefront_offset 0
		.amdhsa_system_sgpr_workgroup_id_x 1
		.amdhsa_system_sgpr_workgroup_id_y 0
		.amdhsa_system_sgpr_workgroup_id_z 0
		.amdhsa_system_sgpr_workgroup_info 0
		.amdhsa_system_vgpr_workitem_id 0
		.amdhsa_next_free_vgpr 1
		.amdhsa_next_free_sgpr 0
		.amdhsa_accum_offset 4
		.amdhsa_reserve_vcc 0
		.amdhsa_reserve_flat_scratch 0
		.amdhsa_float_round_mode_32 0
		.amdhsa_float_round_mode_16_64 0
		.amdhsa_float_denorm_mode_32 3
		.amdhsa_float_denorm_mode_16_64 3
		.amdhsa_dx10_clamp 1
		.amdhsa_ieee_mode 1
		.amdhsa_fp16_overflow 0
		.amdhsa_tg_split 0
		.amdhsa_exception_fp_ieee_invalid_op 0
		.amdhsa_exception_fp_denorm_src 0
		.amdhsa_exception_fp_ieee_div_zero 0
		.amdhsa_exception_fp_ieee_overflow 0
		.amdhsa_exception_fp_ieee_underflow 0
		.amdhsa_exception_fp_ieee_inexact 0
		.amdhsa_exception_int_div_zero 0
	.end_amdhsa_kernel
	.section	.text._ZN7rocprim17ROCPRIM_400000_NS6detail17trampoline_kernelINS0_14default_configENS1_20scan_config_selectorIsEEZZNS1_9scan_implILNS1_25lookback_scan_determinismE0ELb0ELb0ES3_N6thrust23THRUST_200600_302600_NS6detail15normal_iteratorINS9_10device_ptrIsEEEESE_sNS9_4plusIsEEsEEDaPvRmT3_T4_T5_mT6_P12ihipStream_tbENKUlT_T0_E_clISt17integral_constantIbLb0EEST_IbLb1EEEEDaSP_SQ_EUlSP_E_NS1_11comp_targetILNS1_3genE0ELNS1_11target_archE4294967295ELNS1_3gpuE0ELNS1_3repE0EEENS1_30default_config_static_selectorELNS0_4arch9wavefront6targetE1EEEvT1_,"axG",@progbits,_ZN7rocprim17ROCPRIM_400000_NS6detail17trampoline_kernelINS0_14default_configENS1_20scan_config_selectorIsEEZZNS1_9scan_implILNS1_25lookback_scan_determinismE0ELb0ELb0ES3_N6thrust23THRUST_200600_302600_NS6detail15normal_iteratorINS9_10device_ptrIsEEEESE_sNS9_4plusIsEEsEEDaPvRmT3_T4_T5_mT6_P12ihipStream_tbENKUlT_T0_E_clISt17integral_constantIbLb0EEST_IbLb1EEEEDaSP_SQ_EUlSP_E_NS1_11comp_targetILNS1_3genE0ELNS1_11target_archE4294967295ELNS1_3gpuE0ELNS1_3repE0EEENS1_30default_config_static_selectorELNS0_4arch9wavefront6targetE1EEEvT1_,comdat
.Lfunc_end1105:
	.size	_ZN7rocprim17ROCPRIM_400000_NS6detail17trampoline_kernelINS0_14default_configENS1_20scan_config_selectorIsEEZZNS1_9scan_implILNS1_25lookback_scan_determinismE0ELb0ELb0ES3_N6thrust23THRUST_200600_302600_NS6detail15normal_iteratorINS9_10device_ptrIsEEEESE_sNS9_4plusIsEEsEEDaPvRmT3_T4_T5_mT6_P12ihipStream_tbENKUlT_T0_E_clISt17integral_constantIbLb0EEST_IbLb1EEEEDaSP_SQ_EUlSP_E_NS1_11comp_targetILNS1_3genE0ELNS1_11target_archE4294967295ELNS1_3gpuE0ELNS1_3repE0EEENS1_30default_config_static_selectorELNS0_4arch9wavefront6targetE1EEEvT1_, .Lfunc_end1105-_ZN7rocprim17ROCPRIM_400000_NS6detail17trampoline_kernelINS0_14default_configENS1_20scan_config_selectorIsEEZZNS1_9scan_implILNS1_25lookback_scan_determinismE0ELb0ELb0ES3_N6thrust23THRUST_200600_302600_NS6detail15normal_iteratorINS9_10device_ptrIsEEEESE_sNS9_4plusIsEEsEEDaPvRmT3_T4_T5_mT6_P12ihipStream_tbENKUlT_T0_E_clISt17integral_constantIbLb0EEST_IbLb1EEEEDaSP_SQ_EUlSP_E_NS1_11comp_targetILNS1_3genE0ELNS1_11target_archE4294967295ELNS1_3gpuE0ELNS1_3repE0EEENS1_30default_config_static_selectorELNS0_4arch9wavefront6targetE1EEEvT1_
                                        ; -- End function
	.section	.AMDGPU.csdata,"",@progbits
; Kernel info:
; codeLenInByte = 0
; NumSgprs: 4
; NumVgprs: 0
; NumAgprs: 0
; TotalNumVgprs: 0
; ScratchSize: 0
; MemoryBound: 0
; FloatMode: 240
; IeeeMode: 1
; LDSByteSize: 0 bytes/workgroup (compile time only)
; SGPRBlocks: 0
; VGPRBlocks: 0
; NumSGPRsForWavesPerEU: 4
; NumVGPRsForWavesPerEU: 1
; AccumOffset: 4
; Occupancy: 8
; WaveLimiterHint : 0
; COMPUTE_PGM_RSRC2:SCRATCH_EN: 0
; COMPUTE_PGM_RSRC2:USER_SGPR: 6
; COMPUTE_PGM_RSRC2:TRAP_HANDLER: 0
; COMPUTE_PGM_RSRC2:TGID_X_EN: 1
; COMPUTE_PGM_RSRC2:TGID_Y_EN: 0
; COMPUTE_PGM_RSRC2:TGID_Z_EN: 0
; COMPUTE_PGM_RSRC2:TIDIG_COMP_CNT: 0
; COMPUTE_PGM_RSRC3_GFX90A:ACCUM_OFFSET: 0
; COMPUTE_PGM_RSRC3_GFX90A:TG_SPLIT: 0
	.section	.text._ZN7rocprim17ROCPRIM_400000_NS6detail17trampoline_kernelINS0_14default_configENS1_20scan_config_selectorIsEEZZNS1_9scan_implILNS1_25lookback_scan_determinismE0ELb0ELb0ES3_N6thrust23THRUST_200600_302600_NS6detail15normal_iteratorINS9_10device_ptrIsEEEESE_sNS9_4plusIsEEsEEDaPvRmT3_T4_T5_mT6_P12ihipStream_tbENKUlT_T0_E_clISt17integral_constantIbLb0EEST_IbLb1EEEEDaSP_SQ_EUlSP_E_NS1_11comp_targetILNS1_3genE5ELNS1_11target_archE942ELNS1_3gpuE9ELNS1_3repE0EEENS1_30default_config_static_selectorELNS0_4arch9wavefront6targetE1EEEvT1_,"axG",@progbits,_ZN7rocprim17ROCPRIM_400000_NS6detail17trampoline_kernelINS0_14default_configENS1_20scan_config_selectorIsEEZZNS1_9scan_implILNS1_25lookback_scan_determinismE0ELb0ELb0ES3_N6thrust23THRUST_200600_302600_NS6detail15normal_iteratorINS9_10device_ptrIsEEEESE_sNS9_4plusIsEEsEEDaPvRmT3_T4_T5_mT6_P12ihipStream_tbENKUlT_T0_E_clISt17integral_constantIbLb0EEST_IbLb1EEEEDaSP_SQ_EUlSP_E_NS1_11comp_targetILNS1_3genE5ELNS1_11target_archE942ELNS1_3gpuE9ELNS1_3repE0EEENS1_30default_config_static_selectorELNS0_4arch9wavefront6targetE1EEEvT1_,comdat
	.protected	_ZN7rocprim17ROCPRIM_400000_NS6detail17trampoline_kernelINS0_14default_configENS1_20scan_config_selectorIsEEZZNS1_9scan_implILNS1_25lookback_scan_determinismE0ELb0ELb0ES3_N6thrust23THRUST_200600_302600_NS6detail15normal_iteratorINS9_10device_ptrIsEEEESE_sNS9_4plusIsEEsEEDaPvRmT3_T4_T5_mT6_P12ihipStream_tbENKUlT_T0_E_clISt17integral_constantIbLb0EEST_IbLb1EEEEDaSP_SQ_EUlSP_E_NS1_11comp_targetILNS1_3genE5ELNS1_11target_archE942ELNS1_3gpuE9ELNS1_3repE0EEENS1_30default_config_static_selectorELNS0_4arch9wavefront6targetE1EEEvT1_ ; -- Begin function _ZN7rocprim17ROCPRIM_400000_NS6detail17trampoline_kernelINS0_14default_configENS1_20scan_config_selectorIsEEZZNS1_9scan_implILNS1_25lookback_scan_determinismE0ELb0ELb0ES3_N6thrust23THRUST_200600_302600_NS6detail15normal_iteratorINS9_10device_ptrIsEEEESE_sNS9_4plusIsEEsEEDaPvRmT3_T4_T5_mT6_P12ihipStream_tbENKUlT_T0_E_clISt17integral_constantIbLb0EEST_IbLb1EEEEDaSP_SQ_EUlSP_E_NS1_11comp_targetILNS1_3genE5ELNS1_11target_archE942ELNS1_3gpuE9ELNS1_3repE0EEENS1_30default_config_static_selectorELNS0_4arch9wavefront6targetE1EEEvT1_
	.globl	_ZN7rocprim17ROCPRIM_400000_NS6detail17trampoline_kernelINS0_14default_configENS1_20scan_config_selectorIsEEZZNS1_9scan_implILNS1_25lookback_scan_determinismE0ELb0ELb0ES3_N6thrust23THRUST_200600_302600_NS6detail15normal_iteratorINS9_10device_ptrIsEEEESE_sNS9_4plusIsEEsEEDaPvRmT3_T4_T5_mT6_P12ihipStream_tbENKUlT_T0_E_clISt17integral_constantIbLb0EEST_IbLb1EEEEDaSP_SQ_EUlSP_E_NS1_11comp_targetILNS1_3genE5ELNS1_11target_archE942ELNS1_3gpuE9ELNS1_3repE0EEENS1_30default_config_static_selectorELNS0_4arch9wavefront6targetE1EEEvT1_
	.p2align	8
	.type	_ZN7rocprim17ROCPRIM_400000_NS6detail17trampoline_kernelINS0_14default_configENS1_20scan_config_selectorIsEEZZNS1_9scan_implILNS1_25lookback_scan_determinismE0ELb0ELb0ES3_N6thrust23THRUST_200600_302600_NS6detail15normal_iteratorINS9_10device_ptrIsEEEESE_sNS9_4plusIsEEsEEDaPvRmT3_T4_T5_mT6_P12ihipStream_tbENKUlT_T0_E_clISt17integral_constantIbLb0EEST_IbLb1EEEEDaSP_SQ_EUlSP_E_NS1_11comp_targetILNS1_3genE5ELNS1_11target_archE942ELNS1_3gpuE9ELNS1_3repE0EEENS1_30default_config_static_selectorELNS0_4arch9wavefront6targetE1EEEvT1_,@function
_ZN7rocprim17ROCPRIM_400000_NS6detail17trampoline_kernelINS0_14default_configENS1_20scan_config_selectorIsEEZZNS1_9scan_implILNS1_25lookback_scan_determinismE0ELb0ELb0ES3_N6thrust23THRUST_200600_302600_NS6detail15normal_iteratorINS9_10device_ptrIsEEEESE_sNS9_4plusIsEEsEEDaPvRmT3_T4_T5_mT6_P12ihipStream_tbENKUlT_T0_E_clISt17integral_constantIbLb0EEST_IbLb1EEEEDaSP_SQ_EUlSP_E_NS1_11comp_targetILNS1_3genE5ELNS1_11target_archE942ELNS1_3gpuE9ELNS1_3repE0EEENS1_30default_config_static_selectorELNS0_4arch9wavefront6targetE1EEEvT1_: ; @_ZN7rocprim17ROCPRIM_400000_NS6detail17trampoline_kernelINS0_14default_configENS1_20scan_config_selectorIsEEZZNS1_9scan_implILNS1_25lookback_scan_determinismE0ELb0ELb0ES3_N6thrust23THRUST_200600_302600_NS6detail15normal_iteratorINS9_10device_ptrIsEEEESE_sNS9_4plusIsEEsEEDaPvRmT3_T4_T5_mT6_P12ihipStream_tbENKUlT_T0_E_clISt17integral_constantIbLb0EEST_IbLb1EEEEDaSP_SQ_EUlSP_E_NS1_11comp_targetILNS1_3genE5ELNS1_11target_archE942ELNS1_3gpuE9ELNS1_3repE0EEENS1_30default_config_static_selectorELNS0_4arch9wavefront6targetE1EEEvT1_
; %bb.0:
	.section	.rodata,"a",@progbits
	.p2align	6, 0x0
	.amdhsa_kernel _ZN7rocprim17ROCPRIM_400000_NS6detail17trampoline_kernelINS0_14default_configENS1_20scan_config_selectorIsEEZZNS1_9scan_implILNS1_25lookback_scan_determinismE0ELb0ELb0ES3_N6thrust23THRUST_200600_302600_NS6detail15normal_iteratorINS9_10device_ptrIsEEEESE_sNS9_4plusIsEEsEEDaPvRmT3_T4_T5_mT6_P12ihipStream_tbENKUlT_T0_E_clISt17integral_constantIbLb0EEST_IbLb1EEEEDaSP_SQ_EUlSP_E_NS1_11comp_targetILNS1_3genE5ELNS1_11target_archE942ELNS1_3gpuE9ELNS1_3repE0EEENS1_30default_config_static_selectorELNS0_4arch9wavefront6targetE1EEEvT1_
		.amdhsa_group_segment_fixed_size 0
		.amdhsa_private_segment_fixed_size 0
		.amdhsa_kernarg_size 96
		.amdhsa_user_sgpr_count 6
		.amdhsa_user_sgpr_private_segment_buffer 1
		.amdhsa_user_sgpr_dispatch_ptr 0
		.amdhsa_user_sgpr_queue_ptr 0
		.amdhsa_user_sgpr_kernarg_segment_ptr 1
		.amdhsa_user_sgpr_dispatch_id 0
		.amdhsa_user_sgpr_flat_scratch_init 0
		.amdhsa_user_sgpr_kernarg_preload_length 0
		.amdhsa_user_sgpr_kernarg_preload_offset 0
		.amdhsa_user_sgpr_private_segment_size 0
		.amdhsa_uses_dynamic_stack 0
		.amdhsa_system_sgpr_private_segment_wavefront_offset 0
		.amdhsa_system_sgpr_workgroup_id_x 1
		.amdhsa_system_sgpr_workgroup_id_y 0
		.amdhsa_system_sgpr_workgroup_id_z 0
		.amdhsa_system_sgpr_workgroup_info 0
		.amdhsa_system_vgpr_workitem_id 0
		.amdhsa_next_free_vgpr 1
		.amdhsa_next_free_sgpr 0
		.amdhsa_accum_offset 4
		.amdhsa_reserve_vcc 0
		.amdhsa_reserve_flat_scratch 0
		.amdhsa_float_round_mode_32 0
		.amdhsa_float_round_mode_16_64 0
		.amdhsa_float_denorm_mode_32 3
		.amdhsa_float_denorm_mode_16_64 3
		.amdhsa_dx10_clamp 1
		.amdhsa_ieee_mode 1
		.amdhsa_fp16_overflow 0
		.amdhsa_tg_split 0
		.amdhsa_exception_fp_ieee_invalid_op 0
		.amdhsa_exception_fp_denorm_src 0
		.amdhsa_exception_fp_ieee_div_zero 0
		.amdhsa_exception_fp_ieee_overflow 0
		.amdhsa_exception_fp_ieee_underflow 0
		.amdhsa_exception_fp_ieee_inexact 0
		.amdhsa_exception_int_div_zero 0
	.end_amdhsa_kernel
	.section	.text._ZN7rocprim17ROCPRIM_400000_NS6detail17trampoline_kernelINS0_14default_configENS1_20scan_config_selectorIsEEZZNS1_9scan_implILNS1_25lookback_scan_determinismE0ELb0ELb0ES3_N6thrust23THRUST_200600_302600_NS6detail15normal_iteratorINS9_10device_ptrIsEEEESE_sNS9_4plusIsEEsEEDaPvRmT3_T4_T5_mT6_P12ihipStream_tbENKUlT_T0_E_clISt17integral_constantIbLb0EEST_IbLb1EEEEDaSP_SQ_EUlSP_E_NS1_11comp_targetILNS1_3genE5ELNS1_11target_archE942ELNS1_3gpuE9ELNS1_3repE0EEENS1_30default_config_static_selectorELNS0_4arch9wavefront6targetE1EEEvT1_,"axG",@progbits,_ZN7rocprim17ROCPRIM_400000_NS6detail17trampoline_kernelINS0_14default_configENS1_20scan_config_selectorIsEEZZNS1_9scan_implILNS1_25lookback_scan_determinismE0ELb0ELb0ES3_N6thrust23THRUST_200600_302600_NS6detail15normal_iteratorINS9_10device_ptrIsEEEESE_sNS9_4plusIsEEsEEDaPvRmT3_T4_T5_mT6_P12ihipStream_tbENKUlT_T0_E_clISt17integral_constantIbLb0EEST_IbLb1EEEEDaSP_SQ_EUlSP_E_NS1_11comp_targetILNS1_3genE5ELNS1_11target_archE942ELNS1_3gpuE9ELNS1_3repE0EEENS1_30default_config_static_selectorELNS0_4arch9wavefront6targetE1EEEvT1_,comdat
.Lfunc_end1106:
	.size	_ZN7rocprim17ROCPRIM_400000_NS6detail17trampoline_kernelINS0_14default_configENS1_20scan_config_selectorIsEEZZNS1_9scan_implILNS1_25lookback_scan_determinismE0ELb0ELb0ES3_N6thrust23THRUST_200600_302600_NS6detail15normal_iteratorINS9_10device_ptrIsEEEESE_sNS9_4plusIsEEsEEDaPvRmT3_T4_T5_mT6_P12ihipStream_tbENKUlT_T0_E_clISt17integral_constantIbLb0EEST_IbLb1EEEEDaSP_SQ_EUlSP_E_NS1_11comp_targetILNS1_3genE5ELNS1_11target_archE942ELNS1_3gpuE9ELNS1_3repE0EEENS1_30default_config_static_selectorELNS0_4arch9wavefront6targetE1EEEvT1_, .Lfunc_end1106-_ZN7rocprim17ROCPRIM_400000_NS6detail17trampoline_kernelINS0_14default_configENS1_20scan_config_selectorIsEEZZNS1_9scan_implILNS1_25lookback_scan_determinismE0ELb0ELb0ES3_N6thrust23THRUST_200600_302600_NS6detail15normal_iteratorINS9_10device_ptrIsEEEESE_sNS9_4plusIsEEsEEDaPvRmT3_T4_T5_mT6_P12ihipStream_tbENKUlT_T0_E_clISt17integral_constantIbLb0EEST_IbLb1EEEEDaSP_SQ_EUlSP_E_NS1_11comp_targetILNS1_3genE5ELNS1_11target_archE942ELNS1_3gpuE9ELNS1_3repE0EEENS1_30default_config_static_selectorELNS0_4arch9wavefront6targetE1EEEvT1_
                                        ; -- End function
	.section	.AMDGPU.csdata,"",@progbits
; Kernel info:
; codeLenInByte = 0
; NumSgprs: 4
; NumVgprs: 0
; NumAgprs: 0
; TotalNumVgprs: 0
; ScratchSize: 0
; MemoryBound: 0
; FloatMode: 240
; IeeeMode: 1
; LDSByteSize: 0 bytes/workgroup (compile time only)
; SGPRBlocks: 0
; VGPRBlocks: 0
; NumSGPRsForWavesPerEU: 4
; NumVGPRsForWavesPerEU: 1
; AccumOffset: 4
; Occupancy: 8
; WaveLimiterHint : 0
; COMPUTE_PGM_RSRC2:SCRATCH_EN: 0
; COMPUTE_PGM_RSRC2:USER_SGPR: 6
; COMPUTE_PGM_RSRC2:TRAP_HANDLER: 0
; COMPUTE_PGM_RSRC2:TGID_X_EN: 1
; COMPUTE_PGM_RSRC2:TGID_Y_EN: 0
; COMPUTE_PGM_RSRC2:TGID_Z_EN: 0
; COMPUTE_PGM_RSRC2:TIDIG_COMP_CNT: 0
; COMPUTE_PGM_RSRC3_GFX90A:ACCUM_OFFSET: 0
; COMPUTE_PGM_RSRC3_GFX90A:TG_SPLIT: 0
	.section	.text._ZN7rocprim17ROCPRIM_400000_NS6detail17trampoline_kernelINS0_14default_configENS1_20scan_config_selectorIsEEZZNS1_9scan_implILNS1_25lookback_scan_determinismE0ELb0ELb0ES3_N6thrust23THRUST_200600_302600_NS6detail15normal_iteratorINS9_10device_ptrIsEEEESE_sNS9_4plusIsEEsEEDaPvRmT3_T4_T5_mT6_P12ihipStream_tbENKUlT_T0_E_clISt17integral_constantIbLb0EEST_IbLb1EEEEDaSP_SQ_EUlSP_E_NS1_11comp_targetILNS1_3genE4ELNS1_11target_archE910ELNS1_3gpuE8ELNS1_3repE0EEENS1_30default_config_static_selectorELNS0_4arch9wavefront6targetE1EEEvT1_,"axG",@progbits,_ZN7rocprim17ROCPRIM_400000_NS6detail17trampoline_kernelINS0_14default_configENS1_20scan_config_selectorIsEEZZNS1_9scan_implILNS1_25lookback_scan_determinismE0ELb0ELb0ES3_N6thrust23THRUST_200600_302600_NS6detail15normal_iteratorINS9_10device_ptrIsEEEESE_sNS9_4plusIsEEsEEDaPvRmT3_T4_T5_mT6_P12ihipStream_tbENKUlT_T0_E_clISt17integral_constantIbLb0EEST_IbLb1EEEEDaSP_SQ_EUlSP_E_NS1_11comp_targetILNS1_3genE4ELNS1_11target_archE910ELNS1_3gpuE8ELNS1_3repE0EEENS1_30default_config_static_selectorELNS0_4arch9wavefront6targetE1EEEvT1_,comdat
	.protected	_ZN7rocprim17ROCPRIM_400000_NS6detail17trampoline_kernelINS0_14default_configENS1_20scan_config_selectorIsEEZZNS1_9scan_implILNS1_25lookback_scan_determinismE0ELb0ELb0ES3_N6thrust23THRUST_200600_302600_NS6detail15normal_iteratorINS9_10device_ptrIsEEEESE_sNS9_4plusIsEEsEEDaPvRmT3_T4_T5_mT6_P12ihipStream_tbENKUlT_T0_E_clISt17integral_constantIbLb0EEST_IbLb1EEEEDaSP_SQ_EUlSP_E_NS1_11comp_targetILNS1_3genE4ELNS1_11target_archE910ELNS1_3gpuE8ELNS1_3repE0EEENS1_30default_config_static_selectorELNS0_4arch9wavefront6targetE1EEEvT1_ ; -- Begin function _ZN7rocprim17ROCPRIM_400000_NS6detail17trampoline_kernelINS0_14default_configENS1_20scan_config_selectorIsEEZZNS1_9scan_implILNS1_25lookback_scan_determinismE0ELb0ELb0ES3_N6thrust23THRUST_200600_302600_NS6detail15normal_iteratorINS9_10device_ptrIsEEEESE_sNS9_4plusIsEEsEEDaPvRmT3_T4_T5_mT6_P12ihipStream_tbENKUlT_T0_E_clISt17integral_constantIbLb0EEST_IbLb1EEEEDaSP_SQ_EUlSP_E_NS1_11comp_targetILNS1_3genE4ELNS1_11target_archE910ELNS1_3gpuE8ELNS1_3repE0EEENS1_30default_config_static_selectorELNS0_4arch9wavefront6targetE1EEEvT1_
	.globl	_ZN7rocprim17ROCPRIM_400000_NS6detail17trampoline_kernelINS0_14default_configENS1_20scan_config_selectorIsEEZZNS1_9scan_implILNS1_25lookback_scan_determinismE0ELb0ELb0ES3_N6thrust23THRUST_200600_302600_NS6detail15normal_iteratorINS9_10device_ptrIsEEEESE_sNS9_4plusIsEEsEEDaPvRmT3_T4_T5_mT6_P12ihipStream_tbENKUlT_T0_E_clISt17integral_constantIbLb0EEST_IbLb1EEEEDaSP_SQ_EUlSP_E_NS1_11comp_targetILNS1_3genE4ELNS1_11target_archE910ELNS1_3gpuE8ELNS1_3repE0EEENS1_30default_config_static_selectorELNS0_4arch9wavefront6targetE1EEEvT1_
	.p2align	8
	.type	_ZN7rocprim17ROCPRIM_400000_NS6detail17trampoline_kernelINS0_14default_configENS1_20scan_config_selectorIsEEZZNS1_9scan_implILNS1_25lookback_scan_determinismE0ELb0ELb0ES3_N6thrust23THRUST_200600_302600_NS6detail15normal_iteratorINS9_10device_ptrIsEEEESE_sNS9_4plusIsEEsEEDaPvRmT3_T4_T5_mT6_P12ihipStream_tbENKUlT_T0_E_clISt17integral_constantIbLb0EEST_IbLb1EEEEDaSP_SQ_EUlSP_E_NS1_11comp_targetILNS1_3genE4ELNS1_11target_archE910ELNS1_3gpuE8ELNS1_3repE0EEENS1_30default_config_static_selectorELNS0_4arch9wavefront6targetE1EEEvT1_,@function
_ZN7rocprim17ROCPRIM_400000_NS6detail17trampoline_kernelINS0_14default_configENS1_20scan_config_selectorIsEEZZNS1_9scan_implILNS1_25lookback_scan_determinismE0ELb0ELb0ES3_N6thrust23THRUST_200600_302600_NS6detail15normal_iteratorINS9_10device_ptrIsEEEESE_sNS9_4plusIsEEsEEDaPvRmT3_T4_T5_mT6_P12ihipStream_tbENKUlT_T0_E_clISt17integral_constantIbLb0EEST_IbLb1EEEEDaSP_SQ_EUlSP_E_NS1_11comp_targetILNS1_3genE4ELNS1_11target_archE910ELNS1_3gpuE8ELNS1_3repE0EEENS1_30default_config_static_selectorELNS0_4arch9wavefront6targetE1EEEvT1_: ; @_ZN7rocprim17ROCPRIM_400000_NS6detail17trampoline_kernelINS0_14default_configENS1_20scan_config_selectorIsEEZZNS1_9scan_implILNS1_25lookback_scan_determinismE0ELb0ELb0ES3_N6thrust23THRUST_200600_302600_NS6detail15normal_iteratorINS9_10device_ptrIsEEEESE_sNS9_4plusIsEEsEEDaPvRmT3_T4_T5_mT6_P12ihipStream_tbENKUlT_T0_E_clISt17integral_constantIbLb0EEST_IbLb1EEEEDaSP_SQ_EUlSP_E_NS1_11comp_targetILNS1_3genE4ELNS1_11target_archE910ELNS1_3gpuE8ELNS1_3repE0EEENS1_30default_config_static_selectorELNS0_4arch9wavefront6targetE1EEEvT1_
; %bb.0:
	s_load_dwordx2 s[28:29], s[4:5], 0x28
	v_cmp_ne_u32_e64 s[0:1], 0, v0
	v_cmp_eq_u32_e64 s[2:3], 0, v0
	s_and_saveexec_b64 s[6:7], s[2:3]
	s_cbranch_execz .LBB1107_4
; %bb.1:
	s_mov_b64 s[10:11], exec
	v_mbcnt_lo_u32_b32 v1, s10, 0
	v_mbcnt_hi_u32_b32 v1, s11, v1
	v_cmp_eq_u32_e32 vcc, 0, v1
                                        ; implicit-def: $vgpr2
	s_and_saveexec_b64 s[8:9], vcc
	s_cbranch_execz .LBB1107_3
; %bb.2:
	s_load_dwordx2 s[12:13], s[4:5], 0x58
	s_bcnt1_i32_b64 s10, s[10:11]
	v_mov_b32_e32 v2, 0
	v_mov_b32_e32 v3, s10
	s_waitcnt lgkmcnt(0)
	global_atomic_add v2, v2, v3, s[12:13] glc
.LBB1107_3:
	s_or_b64 exec, exec, s[8:9]
	s_waitcnt vmcnt(0)
	v_readfirstlane_b32 s8, v2
	v_add_u32_e32 v1, s8, v1
	v_mov_b32_e32 v2, 0
	ds_write_b32 v2, v1
.LBB1107_4:
	s_or_b64 exec, exec, s[6:7]
	s_load_dwordx8 s[20:27], s[4:5], 0x0
	s_load_dword s6, s[4:5], 0x30
	s_load_dwordx8 s[12:19], s[4:5], 0x38
	v_mov_b32_e32 v1, 0
	s_waitcnt lgkmcnt(0)
	; wave barrier
	s_waitcnt lgkmcnt(0)
	ds_read_b32 v1, v1
	s_lshl_b64 s[10:11], s[22:23], 1
	s_add_u32 s7, s20, s10
	s_addc_u32 s8, s21, s11
	s_add_i32 s6, s6, -1
	s_mul_i32 s9, s6, 0x600
	s_sub_u32 s30, s26, s9
	s_waitcnt lgkmcnt(0)
	v_readfirstlane_b32 s33, v1
	s_subb_u32 s31, s27, 0
	s_mul_i32 s4, s33, 0x600
	s_mov_b32 s5, 0
	s_cmp_lg_u32 s33, s6
	s_cselect_b64 s[20:21], -1, 0
	s_lshl_b64 s[22:23], s[4:5], 1
	s_add_u32 s6, s7, s22
	s_addc_u32 s7, s8, s23
	s_mov_b64 s[4:5], -1
	s_and_b64 vcc, exec, s[20:21]
	v_lshlrev_b32_e32 v20, 1, v0
	s_waitcnt lgkmcnt(0)
	; wave barrier
	s_cbranch_vccz .LBB1107_6
; %bb.5:
	v_mov_b32_e32 v1, s7
	v_add_co_u32_e32 v2, vcc, s6, v20
	v_addc_co_u32_e32 v3, vcc, 0, v1, vcc
	flat_load_ushort v1, v[2:3]
	flat_load_ushort v4, v[2:3] offset:128
	flat_load_ushort v5, v[2:3] offset:256
	;; [unrolled: 1-line block ×23, first 2 shown]
	s_mov_b64 s[4:5], 0
	s_waitcnt vmcnt(0) lgkmcnt(0)
	ds_write_b16 v20, v1
	ds_write_b16 v20, v4 offset:128
	ds_write_b16 v20, v5 offset:256
	;; [unrolled: 1-line block ×23, first 2 shown]
	s_waitcnt lgkmcnt(0)
	; wave barrier
.LBB1107_6:
	s_andn2_b64 vcc, exec, s[4:5]
	v_cmp_gt_u32_e64 s[4:5], s30, v0
	s_cbranch_vccnz .LBB1107_56
; %bb.7:
	v_pk_mov_b32 v[2:3], s[6:7], s[6:7] op_sel:[0,1]
	flat_load_ushort v1, v[2:3]
	s_waitcnt vmcnt(0) lgkmcnt(0)
	v_mov_b32_e32 v2, v1
	s_and_saveexec_b64 s[8:9], s[4:5]
	s_cbranch_execz .LBB1107_9
; %bb.8:
	v_mov_b32_e32 v3, s7
	v_add_co_u32_e32 v2, vcc, s6, v20
	v_addc_co_u32_e32 v3, vcc, 0, v3, vcc
	flat_load_ushort v2, v[2:3]
.LBB1107_9:
	s_or_b64 exec, exec, s[8:9]
	v_or_b32_e32 v3, 64, v0
	v_cmp_gt_u32_e32 vcc, s30, v3
	v_mov_b32_e32 v3, v1
	s_and_saveexec_b64 s[4:5], vcc
	s_cbranch_execz .LBB1107_11
; %bb.10:
	v_mov_b32_e32 v3, s7
	v_add_co_u32_e32 v4, vcc, s6, v20
	v_addc_co_u32_e32 v5, vcc, 0, v3, vcc
	flat_load_ushort v3, v[4:5] offset:128
.LBB1107_11:
	s_or_b64 exec, exec, s[4:5]
	v_or_b32_e32 v4, 0x80, v0
	v_cmp_gt_u32_e32 vcc, s30, v4
	v_mov_b32_e32 v4, v1
	s_and_saveexec_b64 s[4:5], vcc
	s_cbranch_execz .LBB1107_13
; %bb.12:
	v_mov_b32_e32 v5, s7
	v_add_co_u32_e32 v4, vcc, s6, v20
	v_addc_co_u32_e32 v5, vcc, 0, v5, vcc
	flat_load_ushort v4, v[4:5] offset:256
.LBB1107_13:
	;; [unrolled: 12-line block ×22, first 2 shown]
	s_or_b64 exec, exec, s[4:5]
	v_or_b32_e32 v26, 0x5c0, v0
	v_cmp_gt_u32_e32 vcc, s30, v26
	s_and_saveexec_b64 s[4:5], vcc
	s_cbranch_execz .LBB1107_55
; %bb.54:
	v_mov_b32_e32 v1, s7
	v_add_co_u32_e32 v26, vcc, s6, v20
	v_addc_co_u32_e32 v27, vcc, 0, v1, vcc
	flat_load_ushort v1, v[26:27] offset:2944
.LBB1107_55:
	s_or_b64 exec, exec, s[4:5]
	s_waitcnt vmcnt(0) lgkmcnt(0)
	ds_write_b16 v20, v2
	ds_write_b16 v20, v3 offset:128
	ds_write_b16 v20, v4 offset:256
	;; [unrolled: 1-line block ×23, first 2 shown]
	s_waitcnt lgkmcnt(0)
	; wave barrier
.LBB1107_56:
	v_mul_u32_u24_e32 v21, 24, v0
	v_lshlrev_b32_e32 v1, 1, v21
	s_waitcnt lgkmcnt(0)
	ds_read_b128 v[10:13], v1
	ds_read_b128 v[6:9], v1 offset:16
	ds_read_b128 v[2:5], v1 offset:32
	s_cmp_lg_u32 s33, 0
	v_mbcnt_lo_u32_b32 v22, -1, 0
	v_cmp_eq_u32_e32 vcc, 63, v0
	s_waitcnt lgkmcnt(0)
	; wave barrier
	s_waitcnt lgkmcnt(0)
	s_cbranch_scc0 .LBB1107_79
; %bb.57:
	v_add_u16_sdwa v14, v10, v10 dst_sel:DWORD dst_unused:UNUSED_PAD src0_sel:WORD_1 src1_sel:DWORD
	v_add_u16_e32 v14, v14, v11
	v_add_u16_sdwa v14, v14, v11 dst_sel:DWORD dst_unused:UNUSED_PAD src0_sel:DWORD src1_sel:WORD_1
	v_add_u16_e32 v14, v14, v12
	v_add_u16_sdwa v14, v14, v12 dst_sel:DWORD dst_unused:UNUSED_PAD src0_sel:DWORD src1_sel:WORD_1
	;; [unrolled: 2-line block ×10, first 2 shown]
	v_add_u16_e32 v14, v14, v5
	v_mbcnt_hi_u32_b32 v15, -1, v22
	v_add_u16_sdwa v14, v14, v5 dst_sel:DWORD dst_unused:UNUSED_PAD src0_sel:DWORD src1_sel:WORD_1
	v_and_b32_e32 v16, 15, v15
	v_cmp_ne_u32_e64 s[4:5], 0, v16
	v_mov_b32_dpp v17, v14 row_shr:1 row_mask:0xf bank_mask:0xf
	v_cndmask_b32_e64 v17, 0, v17, s[4:5]
	v_add_u16_e32 v14, v17, v14
	v_cmp_lt_u32_e64 s[4:5], 1, v16
	s_nop 0
	v_mov_b32_dpp v17, v14 row_shr:2 row_mask:0xf bank_mask:0xf
	v_cndmask_b32_e64 v17, 0, v17, s[4:5]
	v_add_u16_e32 v14, v14, v17
	v_cmp_lt_u32_e64 s[4:5], 3, v16
	s_nop 0
	;; [unrolled: 5-line block ×3, first 2 shown]
	v_mov_b32_dpp v17, v14 row_shr:8 row_mask:0xf bank_mask:0xf
	v_cndmask_b32_e64 v16, 0, v17, s[4:5]
	v_add_u16_e32 v14, v14, v16
	v_and_b32_e32 v17, 16, v15
	v_cmp_ne_u32_e64 s[4:5], 0, v17
	v_mov_b32_dpp v16, v14 row_bcast:15 row_mask:0xf bank_mask:0xf
	v_cndmask_b32_e64 v16, 0, v16, s[4:5]
	v_add_u16_e32 v14, v14, v16
	v_cmp_lt_u32_e64 s[4:5], 31, v15
	s_nop 0
	v_mov_b32_dpp v16, v14 row_bcast:31 row_mask:0xf bank_mask:0xf
	v_cndmask_b32_e64 v16, 0, v16, s[4:5]
	v_add_u16_e32 v14, v14, v16
	s_and_saveexec_b64 s[4:5], vcc
	s_cbranch_execz .LBB1107_59
; %bb.58:
	v_mov_b32_e32 v16, 0
	ds_write_b16 v16, v14
.LBB1107_59:
	s_or_b64 exec, exec, s[4:5]
	v_add_u32_e32 v16, -1, v15
	v_and_b32_e32 v17, 64, v15
	v_cmp_lt_i32_e32 vcc, v16, v17
	v_cndmask_b32_e32 v16, v16, v15, vcc
	v_lshlrev_b32_e32 v16, 2, v16
	ds_bpermute_b32 v23, v16, v14
	v_cmp_gt_u32_e32 vcc, 64, v0
	s_waitcnt lgkmcnt(0)
	; wave barrier
	s_waitcnt lgkmcnt(0)
	s_and_saveexec_b64 s[26:27], vcc
	s_cbranch_execz .LBB1107_78
; %bb.60:
	v_mov_b32_e32 v17, 0
	ds_read_u16 v24, v17
	s_mov_b32 s9, 0
	v_cmp_eq_u32_e64 s[4:5], 0, v15
	s_and_saveexec_b64 s[6:7], s[4:5]
	s_cbranch_execz .LBB1107_62
; %bb.61:
	s_add_i32 s8, s33, 64
	s_lshl_b64 s[8:9], s[8:9], 2
	s_add_u32 s8, s28, s8
	s_waitcnt lgkmcnt(0)
	v_or_b32_e32 v14, 0x10000, v24
	s_addc_u32 s9, s29, s9
	global_store_dword v17, v14, s[8:9]
.LBB1107_62:
	s_or_b64 exec, exec, s[6:7]
	v_xad_u32 v14, v15, -1, s33
	v_add_u32_e32 v16, 64, v14
	v_lshlrev_b64 v[18:19], 2, v[16:17]
	v_mov_b32_e32 v16, s29
	v_add_co_u32_e32 v18, vcc, s28, v18
	v_addc_co_u32_e32 v19, vcc, v16, v19, vcc
	global_load_dword v37, v[18:19], off glc
	s_waitcnt vmcnt(0)
	v_lshrrev_b32_e32 v26, 16, v37
	v_cmp_eq_u16_sdwa s[8:9], v26, v17 src0_sel:BYTE_0 src1_sel:DWORD
	s_and_saveexec_b64 s[6:7], s[8:9]
	s_cbranch_execz .LBB1107_66
; %bb.63:
	s_mov_b64 s[8:9], 0
	v_mov_b32_e32 v16, 0
.LBB1107_64:                            ; =>This Inner Loop Header: Depth=1
	global_load_dword v37, v[18:19], off glc
	s_waitcnt vmcnt(0)
	v_lshrrev_b32_e32 v26, 16, v37
	v_cmp_ne_u16_sdwa s[34:35], v26, v16 src0_sel:BYTE_0 src1_sel:DWORD
	s_or_b64 s[8:9], s[34:35], s[8:9]
	s_andn2_b64 exec, exec, s[8:9]
	s_cbranch_execnz .LBB1107_64
; %bb.65:
	s_or_b64 exec, exec, s[8:9]
.LBB1107_66:
	s_or_b64 exec, exec, s[6:7]
	v_and_b32_e32 v27, 63, v15
	v_cmp_ne_u32_e32 vcc, 63, v27
	v_mov_b32_e32 v25, 2
	v_addc_co_u32_e32 v28, vcc, 0, v15, vcc
	v_cmp_eq_u16_sdwa s[6:7], v26, v25 src0_sel:BYTE_0 src1_sel:DWORD
	v_lshlrev_b64 v[16:17], v15, -1
	v_and_b32_e32 v29, 0xffff, v37
	v_lshlrev_b32_e32 v28, 2, v28
	v_and_b32_e32 v18, s7, v17
	ds_bpermute_b32 v30, v28, v29
	v_or_b32_e32 v18, 0x80000000, v18
	v_and_b32_e32 v19, s6, v16
	v_ffbl_b32_e32 v18, v18
	v_add_u32_e32 v18, 32, v18
	v_ffbl_b32_e32 v19, v19
	v_min_u32_e32 v18, v19, v18
	s_waitcnt lgkmcnt(0)
	v_add_u16_e32 v19, v30, v37
	v_cmp_lt_u32_e32 vcc, v27, v18
	v_cmp_gt_u32_e64 s[6:7], 62, v27
	v_cndmask_b32_e32 v31, v29, v19, vcc
	v_cndmask_b32_e64 v29, 0, 1, s[6:7]
	v_lshlrev_b32_e32 v29, 1, v29
	v_add_lshl_u32 v29, v29, v15, 2
	ds_bpermute_b32 v32, v29, v31
	v_cndmask_b32_e32 v19, v37, v19, vcc
	v_add_u32_e32 v30, 2, v27
	v_cmp_gt_u32_e64 s[6:7], v30, v18
	v_cmp_gt_u32_e64 s[8:9], 60, v27
	s_waitcnt lgkmcnt(0)
	v_add_u16_e32 v32, v19, v32
	v_cndmask_b32_e64 v33, v32, v31, s[6:7]
	v_cndmask_b32_e64 v31, 0, 1, s[8:9]
	v_lshlrev_b32_e32 v31, 2, v31
	v_add_lshl_u32 v31, v31, v15, 2
	ds_bpermute_b32 v34, v31, v33
	v_cndmask_b32_e64 v19, v32, v19, s[6:7]
	v_add_u32_e32 v32, 4, v27
	v_cmp_gt_u32_e64 s[6:7], v32, v18
	v_cmp_gt_u32_e64 s[8:9], 56, v27
	s_waitcnt lgkmcnt(0)
	v_add_u16_e32 v34, v19, v34
	v_cndmask_b32_e64 v35, v34, v33, s[6:7]
	v_cndmask_b32_e64 v33, 0, 1, s[8:9]
	v_lshlrev_b32_e32 v33, 3, v33
	v_add_lshl_u32 v33, v33, v15, 2
	ds_bpermute_b32 v36, v33, v35
	v_cndmask_b32_e64 v19, v34, v19, s[6:7]
	;; [unrolled: 11-line block ×3, first 2 shown]
	v_add_u32_e32 v36, 16, v27
	v_cmp_gt_u32_e64 s[6:7], v36, v18
	v_cmp_gt_u32_e64 s[8:9], 32, v27
	s_waitcnt lgkmcnt(0)
	v_add_u16_e32 v40, v19, v39
	v_cndmask_b32_e64 v39, v40, v38, s[6:7]
	v_cndmask_b32_e64 v38, 0, 1, s[8:9]
	v_lshlrev_b32_e32 v38, 5, v38
	v_add_lshl_u32 v38, v38, v15, 2
	ds_bpermute_b32 v15, v38, v39
	v_add_u32_e32 v39, 32, v27
	v_cndmask_b32_e64 v19, v40, v19, s[6:7]
	v_cmp_le_u32_e64 s[6:7], v39, v18
	s_waitcnt lgkmcnt(0)
	v_cndmask_b32_e64 v15, 0, v15, s[6:7]
	v_add_u16_e32 v15, v19, v15
	v_cndmask_b32_e32 v18, v37, v15, vcc
	v_mov_b32_e32 v15, 0
	s_branch .LBB1107_68
.LBB1107_67:                            ;   in Loop: Header=BB1107_68 Depth=1
	s_or_b64 exec, exec, s[6:7]
	v_cmp_eq_u16_sdwa s[6:7], v26, v25 src0_sel:BYTE_0 src1_sel:DWORD
	v_and_b32_e32 v41, 0xffff, v40
	v_and_b32_e32 v18, s7, v17
	ds_bpermute_b32 v42, v28, v41
	v_or_b32_e32 v18, 0x80000000, v18
	v_and_b32_e32 v19, s6, v16
	v_ffbl_b32_e32 v18, v18
	v_add_u32_e32 v18, 32, v18
	v_ffbl_b32_e32 v19, v19
	v_min_u32_e32 v18, v19, v18
	s_waitcnt lgkmcnt(0)
	v_add_u16_e32 v19, v42, v40
	v_cmp_lt_u32_e32 vcc, v27, v18
	v_cndmask_b32_e32 v41, v41, v19, vcc
	ds_bpermute_b32 v42, v29, v41
	v_cndmask_b32_e32 v19, v40, v19, vcc
	v_cmp_gt_u32_e64 s[6:7], v30, v18
	v_subrev_u32_e32 v14, 64, v14
	s_waitcnt lgkmcnt(0)
	v_add_u16_e32 v42, v19, v42
	v_cndmask_b32_e64 v41, v42, v41, s[6:7]
	ds_bpermute_b32 v43, v31, v41
	v_cndmask_b32_e64 v19, v42, v19, s[6:7]
	v_cmp_gt_u32_e64 s[6:7], v32, v18
	s_waitcnt lgkmcnt(0)
	v_add_u16_e32 v42, v19, v43
	v_cndmask_b32_e64 v41, v42, v41, s[6:7]
	ds_bpermute_b32 v43, v33, v41
	v_cndmask_b32_e64 v19, v42, v19, s[6:7]
	v_cmp_gt_u32_e64 s[6:7], v34, v18
	;; [unrolled: 6-line block ×3, first 2 shown]
	s_waitcnt lgkmcnt(0)
	v_add_u16_e32 v42, v19, v43
	v_cndmask_b32_e64 v41, v42, v41, s[6:7]
	ds_bpermute_b32 v41, v38, v41
	v_cndmask_b32_e64 v19, v42, v19, s[6:7]
	v_cmp_le_u32_e64 s[6:7], v39, v18
	s_waitcnt lgkmcnt(0)
	v_cndmask_b32_e64 v18, 0, v41, s[6:7]
	v_add_u16_e32 v18, v19, v18
	v_cndmask_b32_e32 v18, v40, v18, vcc
	v_add_u16_e32 v18, v18, v37
.LBB1107_68:                            ; =>This Loop Header: Depth=1
                                        ;     Child Loop BB1107_71 Depth 2
	v_cmp_ne_u16_sdwa s[6:7], v26, v25 src0_sel:BYTE_0 src1_sel:DWORD
	v_cndmask_b32_e64 v19, 0, 1, s[6:7]
	;;#ASMSTART
	;;#ASMEND
	v_cmp_ne_u32_e32 vcc, 0, v19
	s_cmp_lg_u64 vcc, exec
	v_mov_b32_e32 v37, v18
	s_cbranch_scc1 .LBB1107_73
; %bb.69:                               ;   in Loop: Header=BB1107_68 Depth=1
	v_lshlrev_b64 v[18:19], 2, v[14:15]
	v_mov_b32_e32 v26, s29
	v_add_co_u32_e32 v18, vcc, s28, v18
	v_addc_co_u32_e32 v19, vcc, v26, v19, vcc
	global_load_dword v40, v[18:19], off glc
	s_waitcnt vmcnt(0)
	v_lshrrev_b32_e32 v26, 16, v40
	v_cmp_eq_u16_sdwa s[8:9], v26, v15 src0_sel:BYTE_0 src1_sel:DWORD
	s_and_saveexec_b64 s[6:7], s[8:9]
	s_cbranch_execz .LBB1107_67
; %bb.70:                               ;   in Loop: Header=BB1107_68 Depth=1
	s_mov_b64 s[8:9], 0
.LBB1107_71:                            ;   Parent Loop BB1107_68 Depth=1
                                        ; =>  This Inner Loop Header: Depth=2
	global_load_dword v40, v[18:19], off glc
	s_waitcnt vmcnt(0)
	v_lshrrev_b32_e32 v26, 16, v40
	v_cmp_ne_u16_sdwa s[34:35], v26, v15 src0_sel:BYTE_0 src1_sel:DWORD
	s_or_b64 s[8:9], s[34:35], s[8:9]
	s_andn2_b64 exec, exec, s[8:9]
	s_cbranch_execnz .LBB1107_71
; %bb.72:                               ;   in Loop: Header=BB1107_68 Depth=1
	s_or_b64 exec, exec, s[8:9]
	s_branch .LBB1107_67
.LBB1107_73:                            ;   in Loop: Header=BB1107_68 Depth=1
                                        ; implicit-def: $vgpr18
                                        ; implicit-def: $vgpr26
	s_cbranch_execz .LBB1107_68
; %bb.74:
	s_and_saveexec_b64 s[6:7], s[4:5]
	s_cbranch_execz .LBB1107_76
; %bb.75:
	s_add_i32 s4, s33, 64
	s_mov_b32 s5, 0
	s_lshl_b64 s[4:5], s[4:5], 2
	v_add_u16_e32 v14, v37, v24
	s_add_u32 s4, s28, s4
	v_or_b32_e32 v14, 0x20000, v14
	s_addc_u32 s5, s29, s5
	v_mov_b32_e32 v15, 0
	global_store_dword v15, v14, s[4:5]
.LBB1107_76:
	s_or_b64 exec, exec, s[6:7]
	s_and_b64 exec, exec, s[2:3]
	s_cbranch_execz .LBB1107_78
; %bb.77:
	v_mov_b32_e32 v14, 0
	ds_write_b16 v14, v37
.LBB1107_78:
	s_or_b64 exec, exec, s[26:27]
	v_mov_b32_e32 v14, 0
	s_waitcnt lgkmcnt(0)
	; wave barrier
	s_waitcnt lgkmcnt(0)
	ds_read_u16 v14, v14
	v_cndmask_b32_e64 v15, v23, 0, s[2:3]
	v_add_u16_e32 v15, v15, v10
	s_waitcnt lgkmcnt(0)
	v_add_u16_e32 v14, v15, v14
	v_add_u16_sdwa v15, v14, v10 dst_sel:DWORD dst_unused:UNUSED_PAD src0_sel:DWORD src1_sel:WORD_1
	v_add_u16_e32 v16, v15, v11
	v_add_u16_sdwa v17, v16, v11 dst_sel:DWORD dst_unused:UNUSED_PAD src0_sel:DWORD src1_sel:WORD_1
	;; [unrolled: 2-line block ×12, first 2 shown]
	s_branch .LBB1107_89
.LBB1107_79:
                                        ; implicit-def: $vgpr14
                                        ; implicit-def: $vgpr15
                                        ; implicit-def: $vgpr16
                                        ; implicit-def: $vgpr17
                                        ; implicit-def: $vgpr18
                                        ; implicit-def: $vgpr19
                                        ; implicit-def: $vgpr24
                                        ; implicit-def: $vgpr26
                                        ; implicit-def: $vgpr23
                                        ; implicit-def: $vgpr25
                                        ; implicit-def: $vgpr27
                                        ; implicit-def: $vgpr28
                                        ; implicit-def: $vgpr29
                                        ; implicit-def: $vgpr30
                                        ; implicit-def: $vgpr32
                                        ; implicit-def: $vgpr34
                                        ; implicit-def: $vgpr31
                                        ; implicit-def: $vgpr33
                                        ; implicit-def: $vgpr35
                                        ; implicit-def: $vgpr36
                                        ; implicit-def: $vgpr37
                                        ; implicit-def: $vgpr38
                                        ; implicit-def: $vgpr39
                                        ; implicit-def: $vgpr40
	s_cbranch_execz .LBB1107_89
; %bb.80:
	s_cmp_lg_u64 s[16:17], 0
	s_cselect_b64 s[4:5], -1, 0
	s_and_b64 s[4:5], s[2:3], s[4:5]
	v_mov_b32_e32 v14, v10
	s_and_saveexec_b64 s[2:3], s[4:5]
	s_cbranch_execz .LBB1107_82
; %bb.81:
	v_mov_b32_e32 v14, 0
	global_load_ushort v14, v14, s[12:13]
	s_waitcnt vmcnt(0)
	v_add_u16_e32 v14, v14, v10
.LBB1107_82:
	s_or_b64 exec, exec, s[2:3]
	v_add_u16_sdwa v15, v14, v10 dst_sel:DWORD dst_unused:UNUSED_PAD src0_sel:DWORD src1_sel:WORD_1
	v_add_u16_e32 v16, v15, v11
	v_add_u16_sdwa v17, v16, v11 dst_sel:DWORD dst_unused:UNUSED_PAD src0_sel:DWORD src1_sel:WORD_1
	v_add_u16_e32 v18, v17, v12
	;; [unrolled: 2-line block ×11, first 2 shown]
	v_mbcnt_hi_u32_b32 v22, -1, v22
	v_add_u16_sdwa v40, v39, v5 dst_sel:DWORD dst_unused:UNUSED_PAD src0_sel:DWORD src1_sel:WORD_1
	v_and_b32_e32 v41, 15, v22
	v_cmp_ne_u32_e32 vcc, 0, v41
	v_mov_b32_dpp v42, v40 row_shr:1 row_mask:0xf bank_mask:0xf
	v_cndmask_b32_e32 v42, 0, v42, vcc
	v_add_u16_e32 v42, v40, v42
	v_cmp_lt_u32_e32 vcc, 1, v41
	s_nop 0
	v_mov_b32_dpp v43, v42 row_shr:2 row_mask:0xf bank_mask:0xf
	v_cndmask_b32_e32 v43, 0, v43, vcc
	v_add_u16_e32 v42, v42, v43
	v_cmp_lt_u32_e32 vcc, 3, v41
	s_nop 0
	;; [unrolled: 5-line block ×3, first 2 shown]
	v_mov_b32_dpp v43, v42 row_shr:8 row_mask:0xf bank_mask:0xf
	v_cndmask_b32_e32 v41, 0, v43, vcc
	v_add_u16_e32 v41, v42, v41
	v_and_b32_e32 v43, 16, v22
	v_cmp_ne_u32_e32 vcc, 0, v43
	v_mov_b32_dpp v42, v41 row_bcast:15 row_mask:0xf bank_mask:0xf
	v_cndmask_b32_e32 v42, 0, v42, vcc
	v_add_u16_e32 v41, v41, v42
	v_cmp_lt_u32_e32 vcc, 31, v22
	s_nop 0
	v_mov_b32_dpp v42, v41 row_bcast:31 row_mask:0xf bank_mask:0xf
	v_cndmask_b32_e32 v42, 0, v42, vcc
	v_add_u16_e32 v41, v41, v42
	v_cmp_eq_u32_e32 vcc, 63, v0
	s_and_saveexec_b64 s[2:3], vcc
	s_cbranch_execz .LBB1107_84
; %bb.83:
	v_mov_b32_e32 v42, 0
	ds_write_b16 v42, v41
.LBB1107_84:
	s_or_b64 exec, exec, s[2:3]
	v_add_u32_e32 v42, -1, v22
	v_and_b32_e32 v43, 64, v22
	v_cmp_lt_i32_e64 s[2:3], v42, v43
	v_cndmask_b32_e64 v22, v42, v22, s[2:3]
	v_lshlrev_b32_e32 v22, 2, v22
	ds_bpermute_b32 v22, v22, v41
	s_waitcnt lgkmcnt(0)
	; wave barrier
	s_waitcnt lgkmcnt(0)
	s_and_saveexec_b64 s[2:3], s[0:1]
	s_cbranch_execz .LBB1107_86
; %bb.85:
	v_add_u16_e32 v14, v14, v22
	v_add_u16_sdwa v15, v14, v10 dst_sel:DWORD dst_unused:UNUSED_PAD src0_sel:DWORD src1_sel:WORD_1
	v_add_u16_e32 v16, v15, v11
	v_add_u16_sdwa v17, v16, v11 dst_sel:DWORD dst_unused:UNUSED_PAD src0_sel:DWORD src1_sel:WORD_1
	;; [unrolled: 2-line block ×12, first 2 shown]
	;;#ASMSTART
	;;#ASMEND
.LBB1107_86:
	s_or_b64 exec, exec, s[2:3]
	s_and_saveexec_b64 s[0:1], vcc
	s_cbranch_execz .LBB1107_88
; %bb.87:
	s_mov_b32 s2, 0x20000
	v_mov_b32_e32 v2, 0
	v_or_b32_sdwa v3, v40, s2 dst_sel:DWORD dst_unused:UNUSED_PAD src0_sel:WORD_0 src1_sel:DWORD
	global_store_dword v2, v3, s[28:29] offset:256
.LBB1107_88:
	s_or_b64 exec, exec, s[0:1]
.LBB1107_89:
	s_add_u32 s0, s24, s10
	s_addc_u32 s1, s25, s11
	s_add_u32 s2, s0, s22
	s_addc_u32 s3, s1, s23
	s_mov_b64 s[0:1], -1
	s_and_b64 vcc, exec, s[20:21]
	s_waitcnt lgkmcnt(0)
	; wave barrier
	s_cbranch_vccz .LBB1107_91
; %bb.90:
	s_mov_b32 s0, 0x5040100
	v_perm_b32 v5, v26, v24, s0
	v_perm_b32 v4, v19, v18, s0
	;; [unrolled: 1-line block ×4, first 2 shown]
	ds_write_b128 v1, v[2:5]
	v_perm_b32 v5, v34, v32, s0
	v_perm_b32 v4, v30, v29, s0
	;; [unrolled: 1-line block ×4, first 2 shown]
	ds_write_b128 v1, v[2:5] offset:16
	v_perm_b32 v5, v40, v39, s0
	v_perm_b32 v4, v38, v37, s0
	;; [unrolled: 1-line block ×4, first 2 shown]
	ds_write_b128 v1, v[2:5] offset:32
	s_waitcnt lgkmcnt(0)
	; wave barrier
	s_waitcnt lgkmcnt(0)
	ds_read_u16 v4, v20
	ds_read_u16 v5, v20 offset:128
	ds_read_u16 v6, v20 offset:256
	;; [unrolled: 1-line block ×23, first 2 shown]
	v_mov_b32_e32 v3, s3
	v_add_co_u32_e32 v2, vcc, s2, v20
	v_addc_co_u32_e32 v3, vcc, 0, v3, vcc
	s_waitcnt lgkmcnt(14)
	flat_store_short v[2:3], v4
	flat_store_short v[2:3], v5 offset:128
	flat_store_short v[2:3], v6 offset:256
	;; [unrolled: 1-line block ×9, first 2 shown]
	s_waitcnt lgkmcnt(0)
	flat_store_short v[2:3], v22 offset:1280
	flat_store_short v[2:3], v41 offset:1408
	;; [unrolled: 1-line block ×14, first 2 shown]
	s_mov_b64 s[0:1], 0
.LBB1107_91:
	s_andn2_b64 vcc, exec, s[0:1]
	s_cbranch_vccnz .LBB1107_148
; %bb.92:
	s_mov_b32 s0, 0x5040100
	v_perm_b32 v5, v26, v24, s0
	v_perm_b32 v4, v19, v18, s0
	;; [unrolled: 1-line block ×4, first 2 shown]
	ds_write_b128 v1, v[2:5]
	v_perm_b32 v5, v34, v32, s0
	v_perm_b32 v4, v30, v29, s0
	;; [unrolled: 1-line block ×4, first 2 shown]
	ds_write_b128 v1, v[2:5] offset:16
	v_perm_b32 v5, v40, v39, s0
	v_perm_b32 v4, v38, v37, s0
	;; [unrolled: 1-line block ×4, first 2 shown]
	ds_write_b128 v1, v[2:5] offset:32
	s_waitcnt lgkmcnt(0)
	; wave barrier
	s_waitcnt lgkmcnt(0)
	ds_read_u16 v5, v20
	ds_read_u16 v4, v20 offset:128
	ds_read_u16 v7, v20 offset:256
	;; [unrolled: 1-line block ×23, first 2 shown]
	v_mov_b32_e32 v3, s3
	v_add_co_u32_e32 v2, vcc, s2, v20
	v_addc_co_u32_e32 v3, vcc, 0, v3, vcc
	v_mov_b32_e32 v1, 0
	v_cmp_gt_u32_e32 vcc, s30, v0
	s_and_saveexec_b64 s[0:1], vcc
	s_cbranch_execz .LBB1107_94
; %bb.93:
	s_waitcnt lgkmcnt(0)
	flat_store_short v[2:3], v5
.LBB1107_94:
	s_or_b64 exec, exec, s[0:1]
	v_or_b32_e32 v20, 64, v0
	v_cmp_gt_u32_e32 vcc, s30, v20
	s_and_saveexec_b64 s[0:1], vcc
	s_cbranch_execz .LBB1107_96
; %bb.95:
	s_waitcnt lgkmcnt(0)
	flat_store_short v[2:3], v4 offset:128
.LBB1107_96:
	s_or_b64 exec, exec, s[0:1]
	v_or_b32_e32 v20, 0x80, v0
	v_cmp_gt_u32_e32 vcc, s30, v20
	s_and_saveexec_b64 s[0:1], vcc
	s_cbranch_execz .LBB1107_98
; %bb.97:
	s_waitcnt lgkmcnt(0)
	flat_store_short v[2:3], v7 offset:256
.LBB1107_98:
	;; [unrolled: 9-line block ×23, first 2 shown]
	s_or_b64 exec, exec, s[0:1]
	v_cmp_lt_u64_e64 s[0:1], s[18:19], 2
	s_and_b64 vcc, exec, s[0:1]
	s_cbranch_vccnz .LBB1107_148
; %bb.141:
	s_add_u32 s0, s30, -1
	s_addc_u32 s1, s31, -1
	s_add_u32 s2, 0, 0xaaaa0000
	s_addc_u32 s3, 0, 42
	s_add_i32 s3, s3, 0xaaaaa80
	s_mul_hi_u32 s7, s2, 0xffffffe8
	s_sub_i32 s7, s7, s2
	s_mul_i32 s8, s3, 0xffffffe8
	s_mul_i32 s4, s2, 0xffffffe8
	s_add_i32 s7, s7, s8
	s_mul_hi_u32 s5, s3, s4
	s_mul_i32 s6, s3, s4
	s_mul_i32 s9, s2, s7
	s_mul_hi_u32 s4, s2, s4
	s_mul_hi_u32 s8, s2, s7
	s_add_u32 s4, s4, s9
	s_addc_u32 s8, 0, s8
	s_add_u32 s4, s4, s6
	s_mul_hi_u32 s9, s3, s7
	s_addc_u32 s4, s8, s5
	s_addc_u32 s5, s9, 0
	s_mul_i32 s6, s3, s7
	s_add_u32 s4, s4, s6
	v_mov_b32_e32 v2, s4
	s_addc_u32 s5, 0, s5
	v_add_co_u32_e32 v2, vcc, s2, v2
	s_cmp_lg_u64 vcc, 0
	s_addc_u32 s2, s3, s5
	v_readfirstlane_b32 s5, v2
	s_mul_i32 s4, s0, s2
	s_mul_hi_u32 s6, s0, s5
	s_mul_hi_u32 s3, s0, s2
	s_add_u32 s4, s6, s4
	s_addc_u32 s3, 0, s3
	s_mul_hi_u32 s7, s1, s5
	s_mul_i32 s5, s1, s5
	s_add_u32 s4, s4, s5
	s_mul_hi_u32 s6, s1, s2
	s_addc_u32 s3, s3, s7
	s_addc_u32 s4, s6, 0
	s_mul_i32 s2, s1, s2
	s_add_u32 s2, s3, s2
	s_addc_u32 s3, 0, s4
	s_add_u32 s4, s2, 1
	s_addc_u32 s5, s3, 0
	s_add_u32 s6, s2, 2
	s_mul_i32 s8, s3, 24
	s_mul_hi_u32 s9, s2, 24
	s_addc_u32 s7, s3, 0
	s_add_i32 s9, s9, s8
	s_mul_i32 s8, s2, 24
	v_mov_b32_e32 v2, s8
	v_sub_co_u32_e32 v2, vcc, s0, v2
	s_cmp_lg_u64 vcc, 0
	s_subb_u32 s8, s1, s9
	v_subrev_co_u32_e32 v3, vcc, 24, v2
	s_cmp_lg_u64 vcc, 0
	s_subb_u32 s9, s8, 0
	v_readfirstlane_b32 s10, v3
	s_cmp_gt_u32 s10, 23
	s_cselect_b32 s10, -1, 0
	s_cmp_eq_u32 s9, 0
	s_cselect_b32 s9, s10, -1
	s_cmp_lg_u32 s9, 0
	s_cselect_b32 s4, s6, s4
	v_readfirstlane_b32 s6, v2
	s_cselect_b32 s5, s7, s5
	s_cmp_gt_u32 s6, 23
	s_cselect_b32 s6, -1, 0
	s_cmp_eq_u32 s8, 0
	s_cselect_b32 s6, s6, -1
	s_cmp_lg_u32 s6, 0
	s_cselect_b32 s3, s5, s3
	s_cselect_b32 s2, s4, s2
	v_cmp_eq_u64_e32 vcc, s[2:3], v[0:1]
	s_and_saveexec_b64 s[2:3], vcc
	s_cbranch_execz .LBB1107_148
; %bb.142:
	v_mul_hi_u32_u24_e32 v1, 24, v0
	v_mov_b32_e32 v2, s1
	v_sub_co_u32_e32 v0, vcc, s0, v21
	v_subb_co_u32_e32 v1, vcc, v2, v1, vcc
	v_cmp_lt_i64_e32 vcc, 11, v[0:1]
	s_mov_b64 s[0:1], 0
	s_mov_b64 s[8:9], 0
	;; [unrolled: 1-line block ×4, first 2 shown]
	s_and_saveexec_b64 s[2:3], vcc
	s_xor_b64 s[2:3], exec, s[2:3]
	s_cbranch_execnz .LBB1107_149
; %bb.143:
	s_andn2_saveexec_b64 s[2:3], s[2:3]
	s_cbranch_execnz .LBB1107_194
.LBB1107_144:
	s_or_b64 exec, exec, s[2:3]
	s_and_saveexec_b64 s[2:3], s[8:9]
	s_cbranch_execnz .LBB1107_211
.LBB1107_145:
	s_or_b64 exec, exec, s[2:3]
	s_and_saveexec_b64 s[2:3], s[6:7]
	s_cbranch_execnz .LBB1107_212
.LBB1107_146:
	s_or_b64 exec, exec, s[2:3]
	s_and_saveexec_b64 s[2:3], s[4:5]
	s_xor_b64 s[2:3], exec, s[2:3]
	s_cbranch_execnz .LBB1107_213
.LBB1107_147:
	s_or_b64 exec, exec, s[2:3]
	s_and_b64 exec, exec, s[0:1]
	s_cbranch_execnz .LBB1107_214
.LBB1107_148:
	s_endpgm
.LBB1107_149:
	v_cmp_lt_i64_e32 vcc, 17, v[0:1]
	s_and_saveexec_b64 s[10:11], vcc
	s_xor_b64 s[10:11], exec, s[10:11]
	s_cbranch_execz .LBB1107_171
; %bb.150:
	v_cmp_lt_i64_e32 vcc, 20, v[0:1]
                                        ; implicit-def: $vgpr10
	s_and_saveexec_b64 s[12:13], vcc
	s_xor_b64 s[12:13], exec, s[12:13]
	s_cbranch_execz .LBB1107_160
; %bb.151:
	v_cmp_lt_i64_e32 vcc, 21, v[0:1]
	s_mov_b64 s[16:17], 0
                                        ; implicit-def: $vgpr10
	s_and_saveexec_b64 s[4:5], vcc
	s_xor_b64 s[4:5], exec, s[4:5]
	s_cbranch_execz .LBB1107_157
; %bb.152:
	v_cmp_lt_i64_e32 vcc, 22, v[0:1]
	s_and_saveexec_b64 s[16:17], vcc
	s_xor_b64 s[16:17], exec, s[16:17]
	s_cbranch_execz .LBB1107_154
; %bb.153:
	v_mov_b32_e32 v2, 0
	s_waitcnt lgkmcnt(0)
	global_store_short v2, v29, s[14:15]
                                        ; implicit-def: $vgpr28
.LBB1107_154:
	s_or_saveexec_b64 s[16:17], s[16:17]
	s_mov_b64 s[18:19], 0
	s_xor_b64 exec, exec, s[16:17]
; %bb.155:
	s_mov_b64 s[18:19], exec
; %bb.156:
	s_or_b64 exec, exec, s[16:17]
	s_and_b64 s[16:17], s[18:19], exec
	s_waitcnt lgkmcnt(0)
	v_mov_b32_e32 v10, v28
                                        ; implicit-def: $vgpr11
.LBB1107_157:
	s_andn2_saveexec_b64 s[4:5], s[4:5]
; %bb.158:
	s_mov_b64 s[6:7], exec
                                        ; implicit-def: $vgpr10
; %bb.159:
	s_or_b64 exec, exec, s[4:5]
	s_and_b64 s[4:5], s[16:17], exec
	s_and_b64 s[6:7], s[6:7], exec
                                        ; implicit-def: $vgpr26
                                        ; implicit-def: $vgpr12
                                        ; implicit-def: $vgpr23
.LBB1107_160:
	s_andn2_saveexec_b64 s[12:13], s[12:13]
	s_cbranch_execz .LBB1107_170
; %bb.161:
	v_cmp_lt_i64_e32 vcc, 18, v[0:1]
	s_mov_b64 s[16:17], 0
	s_and_saveexec_b64 s[8:9], vcc
	s_xor_b64 s[8:9], exec, s[8:9]
	s_cbranch_execz .LBB1107_167
; %bb.162:
	v_cmp_lt_i64_e32 vcc, 19, v[0:1]
	s_and_saveexec_b64 s[18:19], vcc
	s_xor_b64 s[18:19], exec, s[18:19]
; %bb.163:
	s_mov_b64 s[16:17], exec
                                        ; implicit-def: $vgpr23
; %bb.164:
	s_andn2_saveexec_b64 s[18:19], s[18:19]
	s_cbranch_execz .LBB1107_166
; %bb.165:
	v_mov_b32_e32 v2, 0
	s_waitcnt lgkmcnt(0)
	global_store_short v2, v23, s[14:15]
                                        ; implicit-def: $vgpr12
.LBB1107_166:
	s_or_b64 exec, exec, s[18:19]
	s_and_b64 s[16:17], s[16:17], exec
                                        ; implicit-def: $vgpr26
.LBB1107_167:
	s_andn2_saveexec_b64 s[8:9], s[8:9]
	s_cbranch_execz .LBB1107_169
; %bb.168:
	v_mov_b32_e32 v2, 0
	s_waitcnt lgkmcnt(0)
	global_store_short v2, v26, s[14:15]
                                        ; implicit-def: $vgpr12
.LBB1107_169:
	s_or_b64 exec, exec, s[8:9]
	s_and_b64 s[8:9], s[16:17], exec
                                        ; implicit-def: $vgpr10
                                        ; implicit-def: $vgpr11
.LBB1107_170:
	s_or_b64 exec, exec, s[12:13]
	s_and_b64 s[4:5], s[4:5], exec
	s_and_b64 s[6:7], s[6:7], exec
	;; [unrolled: 1-line block ×3, first 2 shown]
                                        ; implicit-def: $vgpr18
                                        ; implicit-def: $vgpr13
                                        ; implicit-def: $vgpr14
                                        ; implicit-def: $vgpr24
                                        ; implicit-def: $vgpr27
.LBB1107_171:
	s_andn2_saveexec_b64 s[10:11], s[10:11]
	s_cbranch_execz .LBB1107_193
; %bb.172:
	v_cmp_lt_i64_e32 vcc, 14, v[0:1]
	s_mov_b64 s[12:13], s[4:5]
	s_and_saveexec_b64 s[16:17], vcc
	s_xor_b64 s[16:17], exec, s[16:17]
	s_cbranch_execz .LBB1107_182
; %bb.173:
	v_cmp_lt_i64_e32 vcc, 15, v[0:1]
	s_and_saveexec_b64 s[12:13], vcc
	s_xor_b64 s[12:13], exec, s[12:13]
	s_cbranch_execz .LBB1107_179
; %bb.174:
	v_cmp_lt_i64_e32 vcc, 16, v[0:1]
	s_and_saveexec_b64 s[18:19], vcc
	s_xor_b64 s[18:19], exec, s[18:19]
	s_cbranch_execz .LBB1107_176
; %bb.175:
	v_mov_b32_e32 v2, 0
	s_waitcnt lgkmcnt(0)
	global_store_short v2, v27, s[14:15]
                                        ; implicit-def: $vgpr24
.LBB1107_176:
	s_andn2_saveexec_b64 s[18:19], s[18:19]
	s_cbranch_execz .LBB1107_178
; %bb.177:
	v_mov_b32_e32 v2, 0
	s_waitcnt lgkmcnt(0)
	global_store_short v2, v24, s[14:15]
.LBB1107_178:
	s_or_b64 exec, exec, s[18:19]
                                        ; implicit-def: $vgpr10
.LBB1107_179:
	s_or_saveexec_b64 s[12:13], s[12:13]
	s_mov_b64 s[18:19], s[4:5]
	s_xor_b64 exec, exec, s[12:13]
; %bb.180:
	s_or_b64 s[18:19], s[4:5], exec
; %bb.181:
	s_or_b64 exec, exec, s[12:13]
	s_andn2_b64 s[12:13], s[4:5], exec
	s_and_b64 s[18:19], s[18:19], exec
	s_or_b64 s[12:13], s[12:13], s[18:19]
                                        ; implicit-def: $vgpr18
                                        ; implicit-def: $vgpr13
                                        ; implicit-def: $vgpr14
.LBB1107_182:
	s_or_saveexec_b64 s[16:17], s[16:17]
	s_mov_b64 s[18:19], s[6:7]
                                        ; implicit-def: $vgpr11
	s_xor_b64 exec, exec, s[16:17]
	s_cbranch_execz .LBB1107_192
; %bb.183:
	v_cmp_lt_i64_e32 vcc, 12, v[0:1]
	s_mov_b64 s[20:21], s[6:7]
	s_mov_b64 s[22:23], s[12:13]
                                        ; implicit-def: $vgpr10
                                        ; implicit-def: $vgpr11
	s_and_saveexec_b64 s[18:19], vcc
	s_xor_b64 s[18:19], exec, s[18:19]
	s_cbranch_execz .LBB1107_189
; %bb.184:
	v_cmp_lt_i64_e32 vcc, 13, v[0:1]
	s_mov_b64 s[20:21], s[12:13]
	s_and_saveexec_b64 s[22:23], vcc
	s_xor_b64 s[22:23], exec, s[22:23]
; %bb.185:
	s_or_b64 s[20:21], s[12:13], exec
                                        ; implicit-def: $vgpr13
; %bb.186:
	s_or_saveexec_b64 s[22:23], s[22:23]
	s_mov_b64 s[24:25], s[6:7]
	s_xor_b64 exec, exec, s[22:23]
; %bb.187:
	s_or_b64 s[24:25], s[6:7], exec
                                        ; implicit-def: $vgpr14
; %bb.188:
	s_or_b64 exec, exec, s[22:23]
	s_andn2_b64 s[22:23], s[12:13], exec
	s_and_b64 s[20:21], s[20:21], exec
	s_or_b64 s[22:23], s[22:23], s[20:21]
	s_andn2_b64 s[20:21], s[6:7], exec
	s_and_b64 s[24:25], s[24:25], exec
	s_or_b64 s[20:21], s[20:21], s[24:25]
	s_waitcnt lgkmcnt(0)
	v_mov_b32_e32 v10, v14
	v_mov_b32_e32 v11, v13
                                        ; implicit-def: $vgpr18
.LBB1107_189:
	s_andn2_saveexec_b64 s[18:19], s[18:19]
	s_cbranch_execz .LBB1107_191
; %bb.190:
	s_or_b64 s[20:21], s[20:21], exec
                                        ; implicit-def: $vgpr10
	s_waitcnt lgkmcnt(0)
	v_mov_b32_e32 v11, v18
.LBB1107_191:
	s_or_b64 exec, exec, s[18:19]
	s_andn2_b64 s[12:13], s[12:13], exec
	s_and_b64 s[18:19], s[22:23], exec
	s_or_b64 s[12:13], s[12:13], s[18:19]
	s_andn2_b64 s[18:19], s[6:7], exec
	s_and_b64 s[20:21], s[20:21], exec
	s_or_b64 s[18:19], s[18:19], s[20:21]
.LBB1107_192:
	s_or_b64 exec, exec, s[16:17]
	s_andn2_b64 s[4:5], s[4:5], exec
	s_and_b64 s[12:13], s[12:13], exec
	s_or_b64 s[4:5], s[4:5], s[12:13]
	s_andn2_b64 s[6:7], s[6:7], exec
	s_and_b64 s[12:13], s[18:19], exec
	s_or_b64 s[6:7], s[6:7], s[12:13]
                                        ; implicit-def: $vgpr12
.LBB1107_193:
	s_or_b64 exec, exec, s[10:11]
	s_and_b64 s[4:5], s[4:5], exec
	s_and_b64 s[6:7], s[6:7], exec
	;; [unrolled: 1-line block ×3, first 2 shown]
                                        ; implicit-def: $vgpr17
                                        ; implicit-def: $vgpr15
                                        ; implicit-def: $vgpr16
                                        ; implicit-def: $vgpr25
                                        ; implicit-def: $vgpr22
                                        ; implicit-def: $vgpr19
	s_andn2_saveexec_b64 s[2:3], s[2:3]
	s_cbranch_execz .LBB1107_144
.LBB1107_194:
	v_cmp_lt_i64_e32 vcc, 5, v[0:1]
	s_mov_b64 s[12:13], -1
	s_mov_b64 s[10:11], s[8:9]
	s_mov_b64 s[16:17], s[6:7]
	;; [unrolled: 1-line block ×3, first 2 shown]
                                        ; implicit-def: $vgpr10
                                        ; implicit-def: $vgpr11
                                        ; implicit-def: $vgpr12
	s_and_saveexec_b64 s[0:1], vcc
	s_cbranch_execz .LBB1107_210
; %bb.195:
	v_cmp_lt_i64_e32 vcc, 8, v[0:1]
	s_mov_b64 s[10:11], s[8:9]
                                        ; implicit-def: $vgpr12
	s_and_saveexec_b64 s[12:13], vcc
	s_xor_b64 s[12:13], exec, s[12:13]
	s_cbranch_execz .LBB1107_205
; %bb.196:
	v_cmp_lt_i64_e32 vcc, 9, v[0:1]
	s_and_saveexec_b64 s[10:11], vcc
	s_xor_b64 s[10:11], exec, s[10:11]
	s_cbranch_execz .LBB1107_202
; %bb.197:
	v_cmp_lt_i64_e32 vcc, 10, v[0:1]
	s_and_saveexec_b64 s[16:17], vcc
	s_xor_b64 s[16:17], exec, s[16:17]
; %bb.198:
                                        ; implicit-def: $vgpr22
; %bb.199:
	s_andn2_saveexec_b64 s[16:17], s[16:17]
	s_cbranch_execz .LBB1107_201
; %bb.200:
	s_waitcnt lgkmcnt(0)
	v_mov_b32_e32 v19, v22
.LBB1107_201:
	s_or_b64 exec, exec, s[16:17]
                                        ; implicit-def: $vgpr25
.LBB1107_202:
	s_andn2_saveexec_b64 s[10:11], s[10:11]
	s_cbranch_execz .LBB1107_204
; %bb.203:
	s_waitcnt lgkmcnt(0)
	v_mov_b32_e32 v19, v25
.LBB1107_204:
	s_or_b64 exec, exec, s[10:11]
	s_or_b64 s[10:11], s[8:9], exec
	s_waitcnt lgkmcnt(0)
	v_mov_b32_e32 v12, v19
                                        ; implicit-def: $vgpr17
                                        ; implicit-def: $vgpr15
                                        ; implicit-def: $vgpr16
.LBB1107_205:
	s_or_saveexec_b64 s[12:13], s[12:13]
	s_mov_b64 s[16:17], s[6:7]
	s_mov_b64 s[20:21], s[4:5]
                                        ; implicit-def: $vgpr10
                                        ; implicit-def: $vgpr11
	s_xor_b64 exec, exec, s[12:13]
	s_cbranch_execz .LBB1107_209
; %bb.206:
	v_cmp_lt_i64_e32 vcc, 6, v[0:1]
	s_mov_b64 s[20:21], -1
	s_mov_b64 s[18:19], s[10:11]
	s_mov_b64 s[16:17], s[6:7]
	s_and_saveexec_b64 s[22:23], vcc
; %bb.207:
	v_cmp_lt_i64_e32 vcc, 7, v[0:1]
	s_andn2_b64 s[18:19], s[10:11], exec
	s_and_b64 s[24:25], vcc, exec
	s_xor_b64 s[20:21], exec, -1
	s_or_b64 s[16:17], s[6:7], exec
	s_or_b64 s[18:19], s[18:19], s[24:25]
                                        ; implicit-def: $vgpr17
; %bb.208:
	s_or_b64 exec, exec, s[22:23]
	s_andn2_b64 s[22:23], s[4:5], exec
	s_and_b64 s[20:21], s[20:21], exec
	s_or_b64 s[20:21], s[22:23], s[20:21]
	s_andn2_b64 s[22:23], s[6:7], exec
	s_and_b64 s[16:17], s[16:17], exec
	s_andn2_b64 s[10:11], s[10:11], exec
	s_and_b64 s[18:19], s[18:19], exec
	s_or_b64 s[16:17], s[22:23], s[16:17]
	s_or_b64 s[10:11], s[10:11], s[18:19]
	s_waitcnt lgkmcnt(0)
	v_mov_b32_e32 v10, v17
	v_mov_b32_e32 v11, v15
	;; [unrolled: 1-line block ×3, first 2 shown]
.LBB1107_209:
	s_or_b64 exec, exec, s[12:13]
	s_andn2_b64 s[18:19], s[4:5], exec
	s_and_b64 s[20:21], s[20:21], exec
	s_or_b64 s[18:19], s[18:19], s[20:21]
	s_andn2_b64 s[20:21], s[6:7], exec
	s_and_b64 s[16:17], s[16:17], exec
	s_or_b64 s[16:17], s[20:21], s[16:17]
	s_andn2_b64 s[20:21], s[8:9], exec
	s_and_b64 s[10:11], s[10:11], exec
	s_xor_b64 s[12:13], exec, -1
	s_or_b64 s[10:11], s[20:21], s[10:11]
.LBB1107_210:
	s_or_b64 exec, exec, s[0:1]
	s_and_b64 s[0:1], s[12:13], exec
	s_andn2_b64 s[4:5], s[4:5], exec
	s_and_b64 s[12:13], s[18:19], exec
	s_or_b64 s[4:5], s[4:5], s[12:13]
	s_andn2_b64 s[6:7], s[6:7], exec
	s_and_b64 s[12:13], s[16:17], exec
	s_andn2_b64 s[8:9], s[8:9], exec
	s_and_b64 s[10:11], s[10:11], exec
	s_or_b64 s[6:7], s[6:7], s[12:13]
	s_or_b64 s[8:9], s[8:9], s[10:11]
	s_or_b64 exec, exec, s[2:3]
	s_and_saveexec_b64 s[2:3], s[8:9]
	s_cbranch_execz .LBB1107_145
.LBB1107_211:
	v_mov_b32_e32 v2, 0
	s_andn2_b64 s[6:7], s[6:7], exec
	s_waitcnt lgkmcnt(0)
	global_store_short v2, v12, s[14:15]
                                        ; implicit-def: $vgpr10
                                        ; implicit-def: $vgpr11
	s_or_b64 exec, exec, s[2:3]
	s_and_saveexec_b64 s[2:3], s[6:7]
	s_cbranch_execz .LBB1107_146
.LBB1107_212:
	v_mov_b32_e32 v2, 0
	s_waitcnt lgkmcnt(0)
	global_store_short v2, v11, s[14:15]
                                        ; implicit-def: $vgpr10
	s_or_b64 exec, exec, s[2:3]
	s_and_saveexec_b64 s[2:3], s[4:5]
	s_xor_b64 s[2:3], exec, s[2:3]
	s_cbranch_execz .LBB1107_147
.LBB1107_213:
	v_mov_b32_e32 v2, 0
	s_waitcnt lgkmcnt(0)
	global_store_short v2, v10, s[14:15]
	s_or_b64 exec, exec, s[2:3]
	s_and_b64 exec, exec, s[0:1]
	s_cbranch_execz .LBB1107_148
.LBB1107_214:
	v_cmp_lt_i64_e32 vcc, 2, v[0:1]
	s_and_saveexec_b64 s[0:1], vcc
	s_xor_b64 s[0:1], exec, s[0:1]
	s_cbranch_execz .LBB1107_224
; %bb.215:
	v_cmp_lt_i64_e32 vcc, 3, v[0:1]
	s_and_saveexec_b64 s[2:3], vcc
	s_xor_b64 s[2:3], exec, s[2:3]
	s_cbranch_execz .LBB1107_221
; %bb.216:
	;; [unrolled: 5-line block ×3, first 2 shown]
	v_mov_b32_e32 v0, 0
	s_waitcnt lgkmcnt(0)
	global_store_short v0, v9, s[14:15]
                                        ; implicit-def: $vgpr6
.LBB1107_218:
	s_andn2_saveexec_b64 s[4:5], s[4:5]
	s_cbranch_execz .LBB1107_220
; %bb.219:
	v_mov_b32_e32 v0, 0
	s_waitcnt lgkmcnt(0)
	global_store_short v0, v6, s[14:15]
.LBB1107_220:
	s_or_b64 exec, exec, s[4:5]
                                        ; implicit-def: $vgpr8
.LBB1107_221:
	s_andn2_saveexec_b64 s[2:3], s[2:3]
	s_cbranch_execz .LBB1107_223
; %bb.222:
	v_mov_b32_e32 v0, 0
	s_waitcnt lgkmcnt(0)
	global_store_short v0, v8, s[14:15]
.LBB1107_223:
	s_or_b64 exec, exec, s[2:3]
                                        ; implicit-def: $vgpr0_vgpr1
                                        ; implicit-def: $vgpr7
                                        ; implicit-def: $vgpr4
                                        ; implicit-def: $vgpr5
.LBB1107_224:
	s_andn2_saveexec_b64 s[0:1], s[0:1]
	s_cbranch_execz .LBB1107_148
; %bb.225:
	v_cmp_lt_i64_e32 vcc, 1, v[0:1]
	s_and_saveexec_b64 s[0:1], vcc
	s_xor_b64 s[0:1], exec, s[0:1]
	s_cbranch_execz .LBB1107_227
; %bb.226:
	v_mov_b32_e32 v0, 0
	s_waitcnt lgkmcnt(0)
	global_store_short v0, v7, s[14:15]
                                        ; implicit-def: $vgpr4
                                        ; implicit-def: $vgpr0_vgpr1
                                        ; implicit-def: $vgpr5
.LBB1107_227:
	s_andn2_saveexec_b64 s[0:1], s[0:1]
	s_cbranch_execz .LBB1107_148
; %bb.228:
	v_cmp_ne_u64_e32 vcc, 1, v[0:1]
	s_and_saveexec_b64 s[0:1], vcc
	s_xor_b64 s[0:1], exec, s[0:1]
	s_cbranch_execz .LBB1107_230
; %bb.229:
	v_mov_b32_e32 v0, 0
	s_waitcnt lgkmcnt(0)
	global_store_short v0, v5, s[14:15]
                                        ; implicit-def: $vgpr4
.LBB1107_230:
	s_andn2_saveexec_b64 s[0:1], s[0:1]
	s_cbranch_execz .LBB1107_148
; %bb.231:
	v_mov_b32_e32 v0, 0
	s_waitcnt lgkmcnt(0)
	global_store_short v0, v4, s[14:15]
	s_endpgm
	.section	.rodata,"a",@progbits
	.p2align	6, 0x0
	.amdhsa_kernel _ZN7rocprim17ROCPRIM_400000_NS6detail17trampoline_kernelINS0_14default_configENS1_20scan_config_selectorIsEEZZNS1_9scan_implILNS1_25lookback_scan_determinismE0ELb0ELb0ES3_N6thrust23THRUST_200600_302600_NS6detail15normal_iteratorINS9_10device_ptrIsEEEESE_sNS9_4plusIsEEsEEDaPvRmT3_T4_T5_mT6_P12ihipStream_tbENKUlT_T0_E_clISt17integral_constantIbLb0EEST_IbLb1EEEEDaSP_SQ_EUlSP_E_NS1_11comp_targetILNS1_3genE4ELNS1_11target_archE910ELNS1_3gpuE8ELNS1_3repE0EEENS1_30default_config_static_selectorELNS0_4arch9wavefront6targetE1EEEvT1_
		.amdhsa_group_segment_fixed_size 3072
		.amdhsa_private_segment_fixed_size 0
		.amdhsa_kernarg_size 96
		.amdhsa_user_sgpr_count 6
		.amdhsa_user_sgpr_private_segment_buffer 1
		.amdhsa_user_sgpr_dispatch_ptr 0
		.amdhsa_user_sgpr_queue_ptr 0
		.amdhsa_user_sgpr_kernarg_segment_ptr 1
		.amdhsa_user_sgpr_dispatch_id 0
		.amdhsa_user_sgpr_flat_scratch_init 0
		.amdhsa_user_sgpr_kernarg_preload_length 0
		.amdhsa_user_sgpr_kernarg_preload_offset 0
		.amdhsa_user_sgpr_private_segment_size 0
		.amdhsa_uses_dynamic_stack 0
		.amdhsa_system_sgpr_private_segment_wavefront_offset 0
		.amdhsa_system_sgpr_workgroup_id_x 1
		.amdhsa_system_sgpr_workgroup_id_y 0
		.amdhsa_system_sgpr_workgroup_id_z 0
		.amdhsa_system_sgpr_workgroup_info 0
		.amdhsa_system_vgpr_workitem_id 0
		.amdhsa_next_free_vgpr 54
		.amdhsa_next_free_sgpr 36
		.amdhsa_accum_offset 56
		.amdhsa_reserve_vcc 1
		.amdhsa_reserve_flat_scratch 0
		.amdhsa_float_round_mode_32 0
		.amdhsa_float_round_mode_16_64 0
		.amdhsa_float_denorm_mode_32 3
		.amdhsa_float_denorm_mode_16_64 3
		.amdhsa_dx10_clamp 1
		.amdhsa_ieee_mode 1
		.amdhsa_fp16_overflow 0
		.amdhsa_tg_split 0
		.amdhsa_exception_fp_ieee_invalid_op 0
		.amdhsa_exception_fp_denorm_src 0
		.amdhsa_exception_fp_ieee_div_zero 0
		.amdhsa_exception_fp_ieee_overflow 0
		.amdhsa_exception_fp_ieee_underflow 0
		.amdhsa_exception_fp_ieee_inexact 0
		.amdhsa_exception_int_div_zero 0
	.end_amdhsa_kernel
	.section	.text._ZN7rocprim17ROCPRIM_400000_NS6detail17trampoline_kernelINS0_14default_configENS1_20scan_config_selectorIsEEZZNS1_9scan_implILNS1_25lookback_scan_determinismE0ELb0ELb0ES3_N6thrust23THRUST_200600_302600_NS6detail15normal_iteratorINS9_10device_ptrIsEEEESE_sNS9_4plusIsEEsEEDaPvRmT3_T4_T5_mT6_P12ihipStream_tbENKUlT_T0_E_clISt17integral_constantIbLb0EEST_IbLb1EEEEDaSP_SQ_EUlSP_E_NS1_11comp_targetILNS1_3genE4ELNS1_11target_archE910ELNS1_3gpuE8ELNS1_3repE0EEENS1_30default_config_static_selectorELNS0_4arch9wavefront6targetE1EEEvT1_,"axG",@progbits,_ZN7rocprim17ROCPRIM_400000_NS6detail17trampoline_kernelINS0_14default_configENS1_20scan_config_selectorIsEEZZNS1_9scan_implILNS1_25lookback_scan_determinismE0ELb0ELb0ES3_N6thrust23THRUST_200600_302600_NS6detail15normal_iteratorINS9_10device_ptrIsEEEESE_sNS9_4plusIsEEsEEDaPvRmT3_T4_T5_mT6_P12ihipStream_tbENKUlT_T0_E_clISt17integral_constantIbLb0EEST_IbLb1EEEEDaSP_SQ_EUlSP_E_NS1_11comp_targetILNS1_3genE4ELNS1_11target_archE910ELNS1_3gpuE8ELNS1_3repE0EEENS1_30default_config_static_selectorELNS0_4arch9wavefront6targetE1EEEvT1_,comdat
.Lfunc_end1107:
	.size	_ZN7rocprim17ROCPRIM_400000_NS6detail17trampoline_kernelINS0_14default_configENS1_20scan_config_selectorIsEEZZNS1_9scan_implILNS1_25lookback_scan_determinismE0ELb0ELb0ES3_N6thrust23THRUST_200600_302600_NS6detail15normal_iteratorINS9_10device_ptrIsEEEESE_sNS9_4plusIsEEsEEDaPvRmT3_T4_T5_mT6_P12ihipStream_tbENKUlT_T0_E_clISt17integral_constantIbLb0EEST_IbLb1EEEEDaSP_SQ_EUlSP_E_NS1_11comp_targetILNS1_3genE4ELNS1_11target_archE910ELNS1_3gpuE8ELNS1_3repE0EEENS1_30default_config_static_selectorELNS0_4arch9wavefront6targetE1EEEvT1_, .Lfunc_end1107-_ZN7rocprim17ROCPRIM_400000_NS6detail17trampoline_kernelINS0_14default_configENS1_20scan_config_selectorIsEEZZNS1_9scan_implILNS1_25lookback_scan_determinismE0ELb0ELb0ES3_N6thrust23THRUST_200600_302600_NS6detail15normal_iteratorINS9_10device_ptrIsEEEESE_sNS9_4plusIsEEsEEDaPvRmT3_T4_T5_mT6_P12ihipStream_tbENKUlT_T0_E_clISt17integral_constantIbLb0EEST_IbLb1EEEEDaSP_SQ_EUlSP_E_NS1_11comp_targetILNS1_3genE4ELNS1_11target_archE910ELNS1_3gpuE8ELNS1_3repE0EEENS1_30default_config_static_selectorELNS0_4arch9wavefront6targetE1EEEvT1_
                                        ; -- End function
	.section	.AMDGPU.csdata,"",@progbits
; Kernel info:
; codeLenInByte = 7984
; NumSgprs: 40
; NumVgprs: 54
; NumAgprs: 0
; TotalNumVgprs: 54
; ScratchSize: 0
; MemoryBound: 0
; FloatMode: 240
; IeeeMode: 1
; LDSByteSize: 3072 bytes/workgroup (compile time only)
; SGPRBlocks: 4
; VGPRBlocks: 6
; NumSGPRsForWavesPerEU: 40
; NumVGPRsForWavesPerEU: 54
; AccumOffset: 56
; Occupancy: 6
; WaveLimiterHint : 1
; COMPUTE_PGM_RSRC2:SCRATCH_EN: 0
; COMPUTE_PGM_RSRC2:USER_SGPR: 6
; COMPUTE_PGM_RSRC2:TRAP_HANDLER: 0
; COMPUTE_PGM_RSRC2:TGID_X_EN: 1
; COMPUTE_PGM_RSRC2:TGID_Y_EN: 0
; COMPUTE_PGM_RSRC2:TGID_Z_EN: 0
; COMPUTE_PGM_RSRC2:TIDIG_COMP_CNT: 0
; COMPUTE_PGM_RSRC3_GFX90A:ACCUM_OFFSET: 13
; COMPUTE_PGM_RSRC3_GFX90A:TG_SPLIT: 0
	.section	.text._ZN7rocprim17ROCPRIM_400000_NS6detail17trampoline_kernelINS0_14default_configENS1_20scan_config_selectorIsEEZZNS1_9scan_implILNS1_25lookback_scan_determinismE0ELb0ELb0ES3_N6thrust23THRUST_200600_302600_NS6detail15normal_iteratorINS9_10device_ptrIsEEEESE_sNS9_4plusIsEEsEEDaPvRmT3_T4_T5_mT6_P12ihipStream_tbENKUlT_T0_E_clISt17integral_constantIbLb0EEST_IbLb1EEEEDaSP_SQ_EUlSP_E_NS1_11comp_targetILNS1_3genE3ELNS1_11target_archE908ELNS1_3gpuE7ELNS1_3repE0EEENS1_30default_config_static_selectorELNS0_4arch9wavefront6targetE1EEEvT1_,"axG",@progbits,_ZN7rocprim17ROCPRIM_400000_NS6detail17trampoline_kernelINS0_14default_configENS1_20scan_config_selectorIsEEZZNS1_9scan_implILNS1_25lookback_scan_determinismE0ELb0ELb0ES3_N6thrust23THRUST_200600_302600_NS6detail15normal_iteratorINS9_10device_ptrIsEEEESE_sNS9_4plusIsEEsEEDaPvRmT3_T4_T5_mT6_P12ihipStream_tbENKUlT_T0_E_clISt17integral_constantIbLb0EEST_IbLb1EEEEDaSP_SQ_EUlSP_E_NS1_11comp_targetILNS1_3genE3ELNS1_11target_archE908ELNS1_3gpuE7ELNS1_3repE0EEENS1_30default_config_static_selectorELNS0_4arch9wavefront6targetE1EEEvT1_,comdat
	.protected	_ZN7rocprim17ROCPRIM_400000_NS6detail17trampoline_kernelINS0_14default_configENS1_20scan_config_selectorIsEEZZNS1_9scan_implILNS1_25lookback_scan_determinismE0ELb0ELb0ES3_N6thrust23THRUST_200600_302600_NS6detail15normal_iteratorINS9_10device_ptrIsEEEESE_sNS9_4plusIsEEsEEDaPvRmT3_T4_T5_mT6_P12ihipStream_tbENKUlT_T0_E_clISt17integral_constantIbLb0EEST_IbLb1EEEEDaSP_SQ_EUlSP_E_NS1_11comp_targetILNS1_3genE3ELNS1_11target_archE908ELNS1_3gpuE7ELNS1_3repE0EEENS1_30default_config_static_selectorELNS0_4arch9wavefront6targetE1EEEvT1_ ; -- Begin function _ZN7rocprim17ROCPRIM_400000_NS6detail17trampoline_kernelINS0_14default_configENS1_20scan_config_selectorIsEEZZNS1_9scan_implILNS1_25lookback_scan_determinismE0ELb0ELb0ES3_N6thrust23THRUST_200600_302600_NS6detail15normal_iteratorINS9_10device_ptrIsEEEESE_sNS9_4plusIsEEsEEDaPvRmT3_T4_T5_mT6_P12ihipStream_tbENKUlT_T0_E_clISt17integral_constantIbLb0EEST_IbLb1EEEEDaSP_SQ_EUlSP_E_NS1_11comp_targetILNS1_3genE3ELNS1_11target_archE908ELNS1_3gpuE7ELNS1_3repE0EEENS1_30default_config_static_selectorELNS0_4arch9wavefront6targetE1EEEvT1_
	.globl	_ZN7rocprim17ROCPRIM_400000_NS6detail17trampoline_kernelINS0_14default_configENS1_20scan_config_selectorIsEEZZNS1_9scan_implILNS1_25lookback_scan_determinismE0ELb0ELb0ES3_N6thrust23THRUST_200600_302600_NS6detail15normal_iteratorINS9_10device_ptrIsEEEESE_sNS9_4plusIsEEsEEDaPvRmT3_T4_T5_mT6_P12ihipStream_tbENKUlT_T0_E_clISt17integral_constantIbLb0EEST_IbLb1EEEEDaSP_SQ_EUlSP_E_NS1_11comp_targetILNS1_3genE3ELNS1_11target_archE908ELNS1_3gpuE7ELNS1_3repE0EEENS1_30default_config_static_selectorELNS0_4arch9wavefront6targetE1EEEvT1_
	.p2align	8
	.type	_ZN7rocprim17ROCPRIM_400000_NS6detail17trampoline_kernelINS0_14default_configENS1_20scan_config_selectorIsEEZZNS1_9scan_implILNS1_25lookback_scan_determinismE0ELb0ELb0ES3_N6thrust23THRUST_200600_302600_NS6detail15normal_iteratorINS9_10device_ptrIsEEEESE_sNS9_4plusIsEEsEEDaPvRmT3_T4_T5_mT6_P12ihipStream_tbENKUlT_T0_E_clISt17integral_constantIbLb0EEST_IbLb1EEEEDaSP_SQ_EUlSP_E_NS1_11comp_targetILNS1_3genE3ELNS1_11target_archE908ELNS1_3gpuE7ELNS1_3repE0EEENS1_30default_config_static_selectorELNS0_4arch9wavefront6targetE1EEEvT1_,@function
_ZN7rocprim17ROCPRIM_400000_NS6detail17trampoline_kernelINS0_14default_configENS1_20scan_config_selectorIsEEZZNS1_9scan_implILNS1_25lookback_scan_determinismE0ELb0ELb0ES3_N6thrust23THRUST_200600_302600_NS6detail15normal_iteratorINS9_10device_ptrIsEEEESE_sNS9_4plusIsEEsEEDaPvRmT3_T4_T5_mT6_P12ihipStream_tbENKUlT_T0_E_clISt17integral_constantIbLb0EEST_IbLb1EEEEDaSP_SQ_EUlSP_E_NS1_11comp_targetILNS1_3genE3ELNS1_11target_archE908ELNS1_3gpuE7ELNS1_3repE0EEENS1_30default_config_static_selectorELNS0_4arch9wavefront6targetE1EEEvT1_: ; @_ZN7rocprim17ROCPRIM_400000_NS6detail17trampoline_kernelINS0_14default_configENS1_20scan_config_selectorIsEEZZNS1_9scan_implILNS1_25lookback_scan_determinismE0ELb0ELb0ES3_N6thrust23THRUST_200600_302600_NS6detail15normal_iteratorINS9_10device_ptrIsEEEESE_sNS9_4plusIsEEsEEDaPvRmT3_T4_T5_mT6_P12ihipStream_tbENKUlT_T0_E_clISt17integral_constantIbLb0EEST_IbLb1EEEEDaSP_SQ_EUlSP_E_NS1_11comp_targetILNS1_3genE3ELNS1_11target_archE908ELNS1_3gpuE7ELNS1_3repE0EEENS1_30default_config_static_selectorELNS0_4arch9wavefront6targetE1EEEvT1_
; %bb.0:
	.section	.rodata,"a",@progbits
	.p2align	6, 0x0
	.amdhsa_kernel _ZN7rocprim17ROCPRIM_400000_NS6detail17trampoline_kernelINS0_14default_configENS1_20scan_config_selectorIsEEZZNS1_9scan_implILNS1_25lookback_scan_determinismE0ELb0ELb0ES3_N6thrust23THRUST_200600_302600_NS6detail15normal_iteratorINS9_10device_ptrIsEEEESE_sNS9_4plusIsEEsEEDaPvRmT3_T4_T5_mT6_P12ihipStream_tbENKUlT_T0_E_clISt17integral_constantIbLb0EEST_IbLb1EEEEDaSP_SQ_EUlSP_E_NS1_11comp_targetILNS1_3genE3ELNS1_11target_archE908ELNS1_3gpuE7ELNS1_3repE0EEENS1_30default_config_static_selectorELNS0_4arch9wavefront6targetE1EEEvT1_
		.amdhsa_group_segment_fixed_size 0
		.amdhsa_private_segment_fixed_size 0
		.amdhsa_kernarg_size 96
		.amdhsa_user_sgpr_count 6
		.amdhsa_user_sgpr_private_segment_buffer 1
		.amdhsa_user_sgpr_dispatch_ptr 0
		.amdhsa_user_sgpr_queue_ptr 0
		.amdhsa_user_sgpr_kernarg_segment_ptr 1
		.amdhsa_user_sgpr_dispatch_id 0
		.amdhsa_user_sgpr_flat_scratch_init 0
		.amdhsa_user_sgpr_kernarg_preload_length 0
		.amdhsa_user_sgpr_kernarg_preload_offset 0
		.amdhsa_user_sgpr_private_segment_size 0
		.amdhsa_uses_dynamic_stack 0
		.amdhsa_system_sgpr_private_segment_wavefront_offset 0
		.amdhsa_system_sgpr_workgroup_id_x 1
		.amdhsa_system_sgpr_workgroup_id_y 0
		.amdhsa_system_sgpr_workgroup_id_z 0
		.amdhsa_system_sgpr_workgroup_info 0
		.amdhsa_system_vgpr_workitem_id 0
		.amdhsa_next_free_vgpr 1
		.amdhsa_next_free_sgpr 0
		.amdhsa_accum_offset 4
		.amdhsa_reserve_vcc 0
		.amdhsa_reserve_flat_scratch 0
		.amdhsa_float_round_mode_32 0
		.amdhsa_float_round_mode_16_64 0
		.amdhsa_float_denorm_mode_32 3
		.amdhsa_float_denorm_mode_16_64 3
		.amdhsa_dx10_clamp 1
		.amdhsa_ieee_mode 1
		.amdhsa_fp16_overflow 0
		.amdhsa_tg_split 0
		.amdhsa_exception_fp_ieee_invalid_op 0
		.amdhsa_exception_fp_denorm_src 0
		.amdhsa_exception_fp_ieee_div_zero 0
		.amdhsa_exception_fp_ieee_overflow 0
		.amdhsa_exception_fp_ieee_underflow 0
		.amdhsa_exception_fp_ieee_inexact 0
		.amdhsa_exception_int_div_zero 0
	.end_amdhsa_kernel
	.section	.text._ZN7rocprim17ROCPRIM_400000_NS6detail17trampoline_kernelINS0_14default_configENS1_20scan_config_selectorIsEEZZNS1_9scan_implILNS1_25lookback_scan_determinismE0ELb0ELb0ES3_N6thrust23THRUST_200600_302600_NS6detail15normal_iteratorINS9_10device_ptrIsEEEESE_sNS9_4plusIsEEsEEDaPvRmT3_T4_T5_mT6_P12ihipStream_tbENKUlT_T0_E_clISt17integral_constantIbLb0EEST_IbLb1EEEEDaSP_SQ_EUlSP_E_NS1_11comp_targetILNS1_3genE3ELNS1_11target_archE908ELNS1_3gpuE7ELNS1_3repE0EEENS1_30default_config_static_selectorELNS0_4arch9wavefront6targetE1EEEvT1_,"axG",@progbits,_ZN7rocprim17ROCPRIM_400000_NS6detail17trampoline_kernelINS0_14default_configENS1_20scan_config_selectorIsEEZZNS1_9scan_implILNS1_25lookback_scan_determinismE0ELb0ELb0ES3_N6thrust23THRUST_200600_302600_NS6detail15normal_iteratorINS9_10device_ptrIsEEEESE_sNS9_4plusIsEEsEEDaPvRmT3_T4_T5_mT6_P12ihipStream_tbENKUlT_T0_E_clISt17integral_constantIbLb0EEST_IbLb1EEEEDaSP_SQ_EUlSP_E_NS1_11comp_targetILNS1_3genE3ELNS1_11target_archE908ELNS1_3gpuE7ELNS1_3repE0EEENS1_30default_config_static_selectorELNS0_4arch9wavefront6targetE1EEEvT1_,comdat
.Lfunc_end1108:
	.size	_ZN7rocprim17ROCPRIM_400000_NS6detail17trampoline_kernelINS0_14default_configENS1_20scan_config_selectorIsEEZZNS1_9scan_implILNS1_25lookback_scan_determinismE0ELb0ELb0ES3_N6thrust23THRUST_200600_302600_NS6detail15normal_iteratorINS9_10device_ptrIsEEEESE_sNS9_4plusIsEEsEEDaPvRmT3_T4_T5_mT6_P12ihipStream_tbENKUlT_T0_E_clISt17integral_constantIbLb0EEST_IbLb1EEEEDaSP_SQ_EUlSP_E_NS1_11comp_targetILNS1_3genE3ELNS1_11target_archE908ELNS1_3gpuE7ELNS1_3repE0EEENS1_30default_config_static_selectorELNS0_4arch9wavefront6targetE1EEEvT1_, .Lfunc_end1108-_ZN7rocprim17ROCPRIM_400000_NS6detail17trampoline_kernelINS0_14default_configENS1_20scan_config_selectorIsEEZZNS1_9scan_implILNS1_25lookback_scan_determinismE0ELb0ELb0ES3_N6thrust23THRUST_200600_302600_NS6detail15normal_iteratorINS9_10device_ptrIsEEEESE_sNS9_4plusIsEEsEEDaPvRmT3_T4_T5_mT6_P12ihipStream_tbENKUlT_T0_E_clISt17integral_constantIbLb0EEST_IbLb1EEEEDaSP_SQ_EUlSP_E_NS1_11comp_targetILNS1_3genE3ELNS1_11target_archE908ELNS1_3gpuE7ELNS1_3repE0EEENS1_30default_config_static_selectorELNS0_4arch9wavefront6targetE1EEEvT1_
                                        ; -- End function
	.section	.AMDGPU.csdata,"",@progbits
; Kernel info:
; codeLenInByte = 0
; NumSgprs: 4
; NumVgprs: 0
; NumAgprs: 0
; TotalNumVgprs: 0
; ScratchSize: 0
; MemoryBound: 0
; FloatMode: 240
; IeeeMode: 1
; LDSByteSize: 0 bytes/workgroup (compile time only)
; SGPRBlocks: 0
; VGPRBlocks: 0
; NumSGPRsForWavesPerEU: 4
; NumVGPRsForWavesPerEU: 1
; AccumOffset: 4
; Occupancy: 8
; WaveLimiterHint : 0
; COMPUTE_PGM_RSRC2:SCRATCH_EN: 0
; COMPUTE_PGM_RSRC2:USER_SGPR: 6
; COMPUTE_PGM_RSRC2:TRAP_HANDLER: 0
; COMPUTE_PGM_RSRC2:TGID_X_EN: 1
; COMPUTE_PGM_RSRC2:TGID_Y_EN: 0
; COMPUTE_PGM_RSRC2:TGID_Z_EN: 0
; COMPUTE_PGM_RSRC2:TIDIG_COMP_CNT: 0
; COMPUTE_PGM_RSRC3_GFX90A:ACCUM_OFFSET: 0
; COMPUTE_PGM_RSRC3_GFX90A:TG_SPLIT: 0
	.section	.text._ZN7rocprim17ROCPRIM_400000_NS6detail17trampoline_kernelINS0_14default_configENS1_20scan_config_selectorIsEEZZNS1_9scan_implILNS1_25lookback_scan_determinismE0ELb0ELb0ES3_N6thrust23THRUST_200600_302600_NS6detail15normal_iteratorINS9_10device_ptrIsEEEESE_sNS9_4plusIsEEsEEDaPvRmT3_T4_T5_mT6_P12ihipStream_tbENKUlT_T0_E_clISt17integral_constantIbLb0EEST_IbLb1EEEEDaSP_SQ_EUlSP_E_NS1_11comp_targetILNS1_3genE2ELNS1_11target_archE906ELNS1_3gpuE6ELNS1_3repE0EEENS1_30default_config_static_selectorELNS0_4arch9wavefront6targetE1EEEvT1_,"axG",@progbits,_ZN7rocprim17ROCPRIM_400000_NS6detail17trampoline_kernelINS0_14default_configENS1_20scan_config_selectorIsEEZZNS1_9scan_implILNS1_25lookback_scan_determinismE0ELb0ELb0ES3_N6thrust23THRUST_200600_302600_NS6detail15normal_iteratorINS9_10device_ptrIsEEEESE_sNS9_4plusIsEEsEEDaPvRmT3_T4_T5_mT6_P12ihipStream_tbENKUlT_T0_E_clISt17integral_constantIbLb0EEST_IbLb1EEEEDaSP_SQ_EUlSP_E_NS1_11comp_targetILNS1_3genE2ELNS1_11target_archE906ELNS1_3gpuE6ELNS1_3repE0EEENS1_30default_config_static_selectorELNS0_4arch9wavefront6targetE1EEEvT1_,comdat
	.protected	_ZN7rocprim17ROCPRIM_400000_NS6detail17trampoline_kernelINS0_14default_configENS1_20scan_config_selectorIsEEZZNS1_9scan_implILNS1_25lookback_scan_determinismE0ELb0ELb0ES3_N6thrust23THRUST_200600_302600_NS6detail15normal_iteratorINS9_10device_ptrIsEEEESE_sNS9_4plusIsEEsEEDaPvRmT3_T4_T5_mT6_P12ihipStream_tbENKUlT_T0_E_clISt17integral_constantIbLb0EEST_IbLb1EEEEDaSP_SQ_EUlSP_E_NS1_11comp_targetILNS1_3genE2ELNS1_11target_archE906ELNS1_3gpuE6ELNS1_3repE0EEENS1_30default_config_static_selectorELNS0_4arch9wavefront6targetE1EEEvT1_ ; -- Begin function _ZN7rocprim17ROCPRIM_400000_NS6detail17trampoline_kernelINS0_14default_configENS1_20scan_config_selectorIsEEZZNS1_9scan_implILNS1_25lookback_scan_determinismE0ELb0ELb0ES3_N6thrust23THRUST_200600_302600_NS6detail15normal_iteratorINS9_10device_ptrIsEEEESE_sNS9_4plusIsEEsEEDaPvRmT3_T4_T5_mT6_P12ihipStream_tbENKUlT_T0_E_clISt17integral_constantIbLb0EEST_IbLb1EEEEDaSP_SQ_EUlSP_E_NS1_11comp_targetILNS1_3genE2ELNS1_11target_archE906ELNS1_3gpuE6ELNS1_3repE0EEENS1_30default_config_static_selectorELNS0_4arch9wavefront6targetE1EEEvT1_
	.globl	_ZN7rocprim17ROCPRIM_400000_NS6detail17trampoline_kernelINS0_14default_configENS1_20scan_config_selectorIsEEZZNS1_9scan_implILNS1_25lookback_scan_determinismE0ELb0ELb0ES3_N6thrust23THRUST_200600_302600_NS6detail15normal_iteratorINS9_10device_ptrIsEEEESE_sNS9_4plusIsEEsEEDaPvRmT3_T4_T5_mT6_P12ihipStream_tbENKUlT_T0_E_clISt17integral_constantIbLb0EEST_IbLb1EEEEDaSP_SQ_EUlSP_E_NS1_11comp_targetILNS1_3genE2ELNS1_11target_archE906ELNS1_3gpuE6ELNS1_3repE0EEENS1_30default_config_static_selectorELNS0_4arch9wavefront6targetE1EEEvT1_
	.p2align	8
	.type	_ZN7rocprim17ROCPRIM_400000_NS6detail17trampoline_kernelINS0_14default_configENS1_20scan_config_selectorIsEEZZNS1_9scan_implILNS1_25lookback_scan_determinismE0ELb0ELb0ES3_N6thrust23THRUST_200600_302600_NS6detail15normal_iteratorINS9_10device_ptrIsEEEESE_sNS9_4plusIsEEsEEDaPvRmT3_T4_T5_mT6_P12ihipStream_tbENKUlT_T0_E_clISt17integral_constantIbLb0EEST_IbLb1EEEEDaSP_SQ_EUlSP_E_NS1_11comp_targetILNS1_3genE2ELNS1_11target_archE906ELNS1_3gpuE6ELNS1_3repE0EEENS1_30default_config_static_selectorELNS0_4arch9wavefront6targetE1EEEvT1_,@function
_ZN7rocprim17ROCPRIM_400000_NS6detail17trampoline_kernelINS0_14default_configENS1_20scan_config_selectorIsEEZZNS1_9scan_implILNS1_25lookback_scan_determinismE0ELb0ELb0ES3_N6thrust23THRUST_200600_302600_NS6detail15normal_iteratorINS9_10device_ptrIsEEEESE_sNS9_4plusIsEEsEEDaPvRmT3_T4_T5_mT6_P12ihipStream_tbENKUlT_T0_E_clISt17integral_constantIbLb0EEST_IbLb1EEEEDaSP_SQ_EUlSP_E_NS1_11comp_targetILNS1_3genE2ELNS1_11target_archE906ELNS1_3gpuE6ELNS1_3repE0EEENS1_30default_config_static_selectorELNS0_4arch9wavefront6targetE1EEEvT1_: ; @_ZN7rocprim17ROCPRIM_400000_NS6detail17trampoline_kernelINS0_14default_configENS1_20scan_config_selectorIsEEZZNS1_9scan_implILNS1_25lookback_scan_determinismE0ELb0ELb0ES3_N6thrust23THRUST_200600_302600_NS6detail15normal_iteratorINS9_10device_ptrIsEEEESE_sNS9_4plusIsEEsEEDaPvRmT3_T4_T5_mT6_P12ihipStream_tbENKUlT_T0_E_clISt17integral_constantIbLb0EEST_IbLb1EEEEDaSP_SQ_EUlSP_E_NS1_11comp_targetILNS1_3genE2ELNS1_11target_archE906ELNS1_3gpuE6ELNS1_3repE0EEENS1_30default_config_static_selectorELNS0_4arch9wavefront6targetE1EEEvT1_
; %bb.0:
	.section	.rodata,"a",@progbits
	.p2align	6, 0x0
	.amdhsa_kernel _ZN7rocprim17ROCPRIM_400000_NS6detail17trampoline_kernelINS0_14default_configENS1_20scan_config_selectorIsEEZZNS1_9scan_implILNS1_25lookback_scan_determinismE0ELb0ELb0ES3_N6thrust23THRUST_200600_302600_NS6detail15normal_iteratorINS9_10device_ptrIsEEEESE_sNS9_4plusIsEEsEEDaPvRmT3_T4_T5_mT6_P12ihipStream_tbENKUlT_T0_E_clISt17integral_constantIbLb0EEST_IbLb1EEEEDaSP_SQ_EUlSP_E_NS1_11comp_targetILNS1_3genE2ELNS1_11target_archE906ELNS1_3gpuE6ELNS1_3repE0EEENS1_30default_config_static_selectorELNS0_4arch9wavefront6targetE1EEEvT1_
		.amdhsa_group_segment_fixed_size 0
		.amdhsa_private_segment_fixed_size 0
		.amdhsa_kernarg_size 96
		.amdhsa_user_sgpr_count 6
		.amdhsa_user_sgpr_private_segment_buffer 1
		.amdhsa_user_sgpr_dispatch_ptr 0
		.amdhsa_user_sgpr_queue_ptr 0
		.amdhsa_user_sgpr_kernarg_segment_ptr 1
		.amdhsa_user_sgpr_dispatch_id 0
		.amdhsa_user_sgpr_flat_scratch_init 0
		.amdhsa_user_sgpr_kernarg_preload_length 0
		.amdhsa_user_sgpr_kernarg_preload_offset 0
		.amdhsa_user_sgpr_private_segment_size 0
		.amdhsa_uses_dynamic_stack 0
		.amdhsa_system_sgpr_private_segment_wavefront_offset 0
		.amdhsa_system_sgpr_workgroup_id_x 1
		.amdhsa_system_sgpr_workgroup_id_y 0
		.amdhsa_system_sgpr_workgroup_id_z 0
		.amdhsa_system_sgpr_workgroup_info 0
		.amdhsa_system_vgpr_workitem_id 0
		.amdhsa_next_free_vgpr 1
		.amdhsa_next_free_sgpr 0
		.amdhsa_accum_offset 4
		.amdhsa_reserve_vcc 0
		.amdhsa_reserve_flat_scratch 0
		.amdhsa_float_round_mode_32 0
		.amdhsa_float_round_mode_16_64 0
		.amdhsa_float_denorm_mode_32 3
		.amdhsa_float_denorm_mode_16_64 3
		.amdhsa_dx10_clamp 1
		.amdhsa_ieee_mode 1
		.amdhsa_fp16_overflow 0
		.amdhsa_tg_split 0
		.amdhsa_exception_fp_ieee_invalid_op 0
		.amdhsa_exception_fp_denorm_src 0
		.amdhsa_exception_fp_ieee_div_zero 0
		.amdhsa_exception_fp_ieee_overflow 0
		.amdhsa_exception_fp_ieee_underflow 0
		.amdhsa_exception_fp_ieee_inexact 0
		.amdhsa_exception_int_div_zero 0
	.end_amdhsa_kernel
	.section	.text._ZN7rocprim17ROCPRIM_400000_NS6detail17trampoline_kernelINS0_14default_configENS1_20scan_config_selectorIsEEZZNS1_9scan_implILNS1_25lookback_scan_determinismE0ELb0ELb0ES3_N6thrust23THRUST_200600_302600_NS6detail15normal_iteratorINS9_10device_ptrIsEEEESE_sNS9_4plusIsEEsEEDaPvRmT3_T4_T5_mT6_P12ihipStream_tbENKUlT_T0_E_clISt17integral_constantIbLb0EEST_IbLb1EEEEDaSP_SQ_EUlSP_E_NS1_11comp_targetILNS1_3genE2ELNS1_11target_archE906ELNS1_3gpuE6ELNS1_3repE0EEENS1_30default_config_static_selectorELNS0_4arch9wavefront6targetE1EEEvT1_,"axG",@progbits,_ZN7rocprim17ROCPRIM_400000_NS6detail17trampoline_kernelINS0_14default_configENS1_20scan_config_selectorIsEEZZNS1_9scan_implILNS1_25lookback_scan_determinismE0ELb0ELb0ES3_N6thrust23THRUST_200600_302600_NS6detail15normal_iteratorINS9_10device_ptrIsEEEESE_sNS9_4plusIsEEsEEDaPvRmT3_T4_T5_mT6_P12ihipStream_tbENKUlT_T0_E_clISt17integral_constantIbLb0EEST_IbLb1EEEEDaSP_SQ_EUlSP_E_NS1_11comp_targetILNS1_3genE2ELNS1_11target_archE906ELNS1_3gpuE6ELNS1_3repE0EEENS1_30default_config_static_selectorELNS0_4arch9wavefront6targetE1EEEvT1_,comdat
.Lfunc_end1109:
	.size	_ZN7rocprim17ROCPRIM_400000_NS6detail17trampoline_kernelINS0_14default_configENS1_20scan_config_selectorIsEEZZNS1_9scan_implILNS1_25lookback_scan_determinismE0ELb0ELb0ES3_N6thrust23THRUST_200600_302600_NS6detail15normal_iteratorINS9_10device_ptrIsEEEESE_sNS9_4plusIsEEsEEDaPvRmT3_T4_T5_mT6_P12ihipStream_tbENKUlT_T0_E_clISt17integral_constantIbLb0EEST_IbLb1EEEEDaSP_SQ_EUlSP_E_NS1_11comp_targetILNS1_3genE2ELNS1_11target_archE906ELNS1_3gpuE6ELNS1_3repE0EEENS1_30default_config_static_selectorELNS0_4arch9wavefront6targetE1EEEvT1_, .Lfunc_end1109-_ZN7rocprim17ROCPRIM_400000_NS6detail17trampoline_kernelINS0_14default_configENS1_20scan_config_selectorIsEEZZNS1_9scan_implILNS1_25lookback_scan_determinismE0ELb0ELb0ES3_N6thrust23THRUST_200600_302600_NS6detail15normal_iteratorINS9_10device_ptrIsEEEESE_sNS9_4plusIsEEsEEDaPvRmT3_T4_T5_mT6_P12ihipStream_tbENKUlT_T0_E_clISt17integral_constantIbLb0EEST_IbLb1EEEEDaSP_SQ_EUlSP_E_NS1_11comp_targetILNS1_3genE2ELNS1_11target_archE906ELNS1_3gpuE6ELNS1_3repE0EEENS1_30default_config_static_selectorELNS0_4arch9wavefront6targetE1EEEvT1_
                                        ; -- End function
	.section	.AMDGPU.csdata,"",@progbits
; Kernel info:
; codeLenInByte = 0
; NumSgprs: 4
; NumVgprs: 0
; NumAgprs: 0
; TotalNumVgprs: 0
; ScratchSize: 0
; MemoryBound: 0
; FloatMode: 240
; IeeeMode: 1
; LDSByteSize: 0 bytes/workgroup (compile time only)
; SGPRBlocks: 0
; VGPRBlocks: 0
; NumSGPRsForWavesPerEU: 4
; NumVGPRsForWavesPerEU: 1
; AccumOffset: 4
; Occupancy: 8
; WaveLimiterHint : 0
; COMPUTE_PGM_RSRC2:SCRATCH_EN: 0
; COMPUTE_PGM_RSRC2:USER_SGPR: 6
; COMPUTE_PGM_RSRC2:TRAP_HANDLER: 0
; COMPUTE_PGM_RSRC2:TGID_X_EN: 1
; COMPUTE_PGM_RSRC2:TGID_Y_EN: 0
; COMPUTE_PGM_RSRC2:TGID_Z_EN: 0
; COMPUTE_PGM_RSRC2:TIDIG_COMP_CNT: 0
; COMPUTE_PGM_RSRC3_GFX90A:ACCUM_OFFSET: 0
; COMPUTE_PGM_RSRC3_GFX90A:TG_SPLIT: 0
	.section	.text._ZN7rocprim17ROCPRIM_400000_NS6detail17trampoline_kernelINS0_14default_configENS1_20scan_config_selectorIsEEZZNS1_9scan_implILNS1_25lookback_scan_determinismE0ELb0ELb0ES3_N6thrust23THRUST_200600_302600_NS6detail15normal_iteratorINS9_10device_ptrIsEEEESE_sNS9_4plusIsEEsEEDaPvRmT3_T4_T5_mT6_P12ihipStream_tbENKUlT_T0_E_clISt17integral_constantIbLb0EEST_IbLb1EEEEDaSP_SQ_EUlSP_E_NS1_11comp_targetILNS1_3genE10ELNS1_11target_archE1201ELNS1_3gpuE5ELNS1_3repE0EEENS1_30default_config_static_selectorELNS0_4arch9wavefront6targetE1EEEvT1_,"axG",@progbits,_ZN7rocprim17ROCPRIM_400000_NS6detail17trampoline_kernelINS0_14default_configENS1_20scan_config_selectorIsEEZZNS1_9scan_implILNS1_25lookback_scan_determinismE0ELb0ELb0ES3_N6thrust23THRUST_200600_302600_NS6detail15normal_iteratorINS9_10device_ptrIsEEEESE_sNS9_4plusIsEEsEEDaPvRmT3_T4_T5_mT6_P12ihipStream_tbENKUlT_T0_E_clISt17integral_constantIbLb0EEST_IbLb1EEEEDaSP_SQ_EUlSP_E_NS1_11comp_targetILNS1_3genE10ELNS1_11target_archE1201ELNS1_3gpuE5ELNS1_3repE0EEENS1_30default_config_static_selectorELNS0_4arch9wavefront6targetE1EEEvT1_,comdat
	.protected	_ZN7rocprim17ROCPRIM_400000_NS6detail17trampoline_kernelINS0_14default_configENS1_20scan_config_selectorIsEEZZNS1_9scan_implILNS1_25lookback_scan_determinismE0ELb0ELb0ES3_N6thrust23THRUST_200600_302600_NS6detail15normal_iteratorINS9_10device_ptrIsEEEESE_sNS9_4plusIsEEsEEDaPvRmT3_T4_T5_mT6_P12ihipStream_tbENKUlT_T0_E_clISt17integral_constantIbLb0EEST_IbLb1EEEEDaSP_SQ_EUlSP_E_NS1_11comp_targetILNS1_3genE10ELNS1_11target_archE1201ELNS1_3gpuE5ELNS1_3repE0EEENS1_30default_config_static_selectorELNS0_4arch9wavefront6targetE1EEEvT1_ ; -- Begin function _ZN7rocprim17ROCPRIM_400000_NS6detail17trampoline_kernelINS0_14default_configENS1_20scan_config_selectorIsEEZZNS1_9scan_implILNS1_25lookback_scan_determinismE0ELb0ELb0ES3_N6thrust23THRUST_200600_302600_NS6detail15normal_iteratorINS9_10device_ptrIsEEEESE_sNS9_4plusIsEEsEEDaPvRmT3_T4_T5_mT6_P12ihipStream_tbENKUlT_T0_E_clISt17integral_constantIbLb0EEST_IbLb1EEEEDaSP_SQ_EUlSP_E_NS1_11comp_targetILNS1_3genE10ELNS1_11target_archE1201ELNS1_3gpuE5ELNS1_3repE0EEENS1_30default_config_static_selectorELNS0_4arch9wavefront6targetE1EEEvT1_
	.globl	_ZN7rocprim17ROCPRIM_400000_NS6detail17trampoline_kernelINS0_14default_configENS1_20scan_config_selectorIsEEZZNS1_9scan_implILNS1_25lookback_scan_determinismE0ELb0ELb0ES3_N6thrust23THRUST_200600_302600_NS6detail15normal_iteratorINS9_10device_ptrIsEEEESE_sNS9_4plusIsEEsEEDaPvRmT3_T4_T5_mT6_P12ihipStream_tbENKUlT_T0_E_clISt17integral_constantIbLb0EEST_IbLb1EEEEDaSP_SQ_EUlSP_E_NS1_11comp_targetILNS1_3genE10ELNS1_11target_archE1201ELNS1_3gpuE5ELNS1_3repE0EEENS1_30default_config_static_selectorELNS0_4arch9wavefront6targetE1EEEvT1_
	.p2align	8
	.type	_ZN7rocprim17ROCPRIM_400000_NS6detail17trampoline_kernelINS0_14default_configENS1_20scan_config_selectorIsEEZZNS1_9scan_implILNS1_25lookback_scan_determinismE0ELb0ELb0ES3_N6thrust23THRUST_200600_302600_NS6detail15normal_iteratorINS9_10device_ptrIsEEEESE_sNS9_4plusIsEEsEEDaPvRmT3_T4_T5_mT6_P12ihipStream_tbENKUlT_T0_E_clISt17integral_constantIbLb0EEST_IbLb1EEEEDaSP_SQ_EUlSP_E_NS1_11comp_targetILNS1_3genE10ELNS1_11target_archE1201ELNS1_3gpuE5ELNS1_3repE0EEENS1_30default_config_static_selectorELNS0_4arch9wavefront6targetE1EEEvT1_,@function
_ZN7rocprim17ROCPRIM_400000_NS6detail17trampoline_kernelINS0_14default_configENS1_20scan_config_selectorIsEEZZNS1_9scan_implILNS1_25lookback_scan_determinismE0ELb0ELb0ES3_N6thrust23THRUST_200600_302600_NS6detail15normal_iteratorINS9_10device_ptrIsEEEESE_sNS9_4plusIsEEsEEDaPvRmT3_T4_T5_mT6_P12ihipStream_tbENKUlT_T0_E_clISt17integral_constantIbLb0EEST_IbLb1EEEEDaSP_SQ_EUlSP_E_NS1_11comp_targetILNS1_3genE10ELNS1_11target_archE1201ELNS1_3gpuE5ELNS1_3repE0EEENS1_30default_config_static_selectorELNS0_4arch9wavefront6targetE1EEEvT1_: ; @_ZN7rocprim17ROCPRIM_400000_NS6detail17trampoline_kernelINS0_14default_configENS1_20scan_config_selectorIsEEZZNS1_9scan_implILNS1_25lookback_scan_determinismE0ELb0ELb0ES3_N6thrust23THRUST_200600_302600_NS6detail15normal_iteratorINS9_10device_ptrIsEEEESE_sNS9_4plusIsEEsEEDaPvRmT3_T4_T5_mT6_P12ihipStream_tbENKUlT_T0_E_clISt17integral_constantIbLb0EEST_IbLb1EEEEDaSP_SQ_EUlSP_E_NS1_11comp_targetILNS1_3genE10ELNS1_11target_archE1201ELNS1_3gpuE5ELNS1_3repE0EEENS1_30default_config_static_selectorELNS0_4arch9wavefront6targetE1EEEvT1_
; %bb.0:
	.section	.rodata,"a",@progbits
	.p2align	6, 0x0
	.amdhsa_kernel _ZN7rocprim17ROCPRIM_400000_NS6detail17trampoline_kernelINS0_14default_configENS1_20scan_config_selectorIsEEZZNS1_9scan_implILNS1_25lookback_scan_determinismE0ELb0ELb0ES3_N6thrust23THRUST_200600_302600_NS6detail15normal_iteratorINS9_10device_ptrIsEEEESE_sNS9_4plusIsEEsEEDaPvRmT3_T4_T5_mT6_P12ihipStream_tbENKUlT_T0_E_clISt17integral_constantIbLb0EEST_IbLb1EEEEDaSP_SQ_EUlSP_E_NS1_11comp_targetILNS1_3genE10ELNS1_11target_archE1201ELNS1_3gpuE5ELNS1_3repE0EEENS1_30default_config_static_selectorELNS0_4arch9wavefront6targetE1EEEvT1_
		.amdhsa_group_segment_fixed_size 0
		.amdhsa_private_segment_fixed_size 0
		.amdhsa_kernarg_size 96
		.amdhsa_user_sgpr_count 6
		.amdhsa_user_sgpr_private_segment_buffer 1
		.amdhsa_user_sgpr_dispatch_ptr 0
		.amdhsa_user_sgpr_queue_ptr 0
		.amdhsa_user_sgpr_kernarg_segment_ptr 1
		.amdhsa_user_sgpr_dispatch_id 0
		.amdhsa_user_sgpr_flat_scratch_init 0
		.amdhsa_user_sgpr_kernarg_preload_length 0
		.amdhsa_user_sgpr_kernarg_preload_offset 0
		.amdhsa_user_sgpr_private_segment_size 0
		.amdhsa_uses_dynamic_stack 0
		.amdhsa_system_sgpr_private_segment_wavefront_offset 0
		.amdhsa_system_sgpr_workgroup_id_x 1
		.amdhsa_system_sgpr_workgroup_id_y 0
		.amdhsa_system_sgpr_workgroup_id_z 0
		.amdhsa_system_sgpr_workgroup_info 0
		.amdhsa_system_vgpr_workitem_id 0
		.amdhsa_next_free_vgpr 1
		.amdhsa_next_free_sgpr 0
		.amdhsa_accum_offset 4
		.amdhsa_reserve_vcc 0
		.amdhsa_reserve_flat_scratch 0
		.amdhsa_float_round_mode_32 0
		.amdhsa_float_round_mode_16_64 0
		.amdhsa_float_denorm_mode_32 3
		.amdhsa_float_denorm_mode_16_64 3
		.amdhsa_dx10_clamp 1
		.amdhsa_ieee_mode 1
		.amdhsa_fp16_overflow 0
		.amdhsa_tg_split 0
		.amdhsa_exception_fp_ieee_invalid_op 0
		.amdhsa_exception_fp_denorm_src 0
		.amdhsa_exception_fp_ieee_div_zero 0
		.amdhsa_exception_fp_ieee_overflow 0
		.amdhsa_exception_fp_ieee_underflow 0
		.amdhsa_exception_fp_ieee_inexact 0
		.amdhsa_exception_int_div_zero 0
	.end_amdhsa_kernel
	.section	.text._ZN7rocprim17ROCPRIM_400000_NS6detail17trampoline_kernelINS0_14default_configENS1_20scan_config_selectorIsEEZZNS1_9scan_implILNS1_25lookback_scan_determinismE0ELb0ELb0ES3_N6thrust23THRUST_200600_302600_NS6detail15normal_iteratorINS9_10device_ptrIsEEEESE_sNS9_4plusIsEEsEEDaPvRmT3_T4_T5_mT6_P12ihipStream_tbENKUlT_T0_E_clISt17integral_constantIbLb0EEST_IbLb1EEEEDaSP_SQ_EUlSP_E_NS1_11comp_targetILNS1_3genE10ELNS1_11target_archE1201ELNS1_3gpuE5ELNS1_3repE0EEENS1_30default_config_static_selectorELNS0_4arch9wavefront6targetE1EEEvT1_,"axG",@progbits,_ZN7rocprim17ROCPRIM_400000_NS6detail17trampoline_kernelINS0_14default_configENS1_20scan_config_selectorIsEEZZNS1_9scan_implILNS1_25lookback_scan_determinismE0ELb0ELb0ES3_N6thrust23THRUST_200600_302600_NS6detail15normal_iteratorINS9_10device_ptrIsEEEESE_sNS9_4plusIsEEsEEDaPvRmT3_T4_T5_mT6_P12ihipStream_tbENKUlT_T0_E_clISt17integral_constantIbLb0EEST_IbLb1EEEEDaSP_SQ_EUlSP_E_NS1_11comp_targetILNS1_3genE10ELNS1_11target_archE1201ELNS1_3gpuE5ELNS1_3repE0EEENS1_30default_config_static_selectorELNS0_4arch9wavefront6targetE1EEEvT1_,comdat
.Lfunc_end1110:
	.size	_ZN7rocprim17ROCPRIM_400000_NS6detail17trampoline_kernelINS0_14default_configENS1_20scan_config_selectorIsEEZZNS1_9scan_implILNS1_25lookback_scan_determinismE0ELb0ELb0ES3_N6thrust23THRUST_200600_302600_NS6detail15normal_iteratorINS9_10device_ptrIsEEEESE_sNS9_4plusIsEEsEEDaPvRmT3_T4_T5_mT6_P12ihipStream_tbENKUlT_T0_E_clISt17integral_constantIbLb0EEST_IbLb1EEEEDaSP_SQ_EUlSP_E_NS1_11comp_targetILNS1_3genE10ELNS1_11target_archE1201ELNS1_3gpuE5ELNS1_3repE0EEENS1_30default_config_static_selectorELNS0_4arch9wavefront6targetE1EEEvT1_, .Lfunc_end1110-_ZN7rocprim17ROCPRIM_400000_NS6detail17trampoline_kernelINS0_14default_configENS1_20scan_config_selectorIsEEZZNS1_9scan_implILNS1_25lookback_scan_determinismE0ELb0ELb0ES3_N6thrust23THRUST_200600_302600_NS6detail15normal_iteratorINS9_10device_ptrIsEEEESE_sNS9_4plusIsEEsEEDaPvRmT3_T4_T5_mT6_P12ihipStream_tbENKUlT_T0_E_clISt17integral_constantIbLb0EEST_IbLb1EEEEDaSP_SQ_EUlSP_E_NS1_11comp_targetILNS1_3genE10ELNS1_11target_archE1201ELNS1_3gpuE5ELNS1_3repE0EEENS1_30default_config_static_selectorELNS0_4arch9wavefront6targetE1EEEvT1_
                                        ; -- End function
	.section	.AMDGPU.csdata,"",@progbits
; Kernel info:
; codeLenInByte = 0
; NumSgprs: 4
; NumVgprs: 0
; NumAgprs: 0
; TotalNumVgprs: 0
; ScratchSize: 0
; MemoryBound: 0
; FloatMode: 240
; IeeeMode: 1
; LDSByteSize: 0 bytes/workgroup (compile time only)
; SGPRBlocks: 0
; VGPRBlocks: 0
; NumSGPRsForWavesPerEU: 4
; NumVGPRsForWavesPerEU: 1
; AccumOffset: 4
; Occupancy: 8
; WaveLimiterHint : 0
; COMPUTE_PGM_RSRC2:SCRATCH_EN: 0
; COMPUTE_PGM_RSRC2:USER_SGPR: 6
; COMPUTE_PGM_RSRC2:TRAP_HANDLER: 0
; COMPUTE_PGM_RSRC2:TGID_X_EN: 1
; COMPUTE_PGM_RSRC2:TGID_Y_EN: 0
; COMPUTE_PGM_RSRC2:TGID_Z_EN: 0
; COMPUTE_PGM_RSRC2:TIDIG_COMP_CNT: 0
; COMPUTE_PGM_RSRC3_GFX90A:ACCUM_OFFSET: 0
; COMPUTE_PGM_RSRC3_GFX90A:TG_SPLIT: 0
	.section	.text._ZN7rocprim17ROCPRIM_400000_NS6detail17trampoline_kernelINS0_14default_configENS1_20scan_config_selectorIsEEZZNS1_9scan_implILNS1_25lookback_scan_determinismE0ELb0ELb0ES3_N6thrust23THRUST_200600_302600_NS6detail15normal_iteratorINS9_10device_ptrIsEEEESE_sNS9_4plusIsEEsEEDaPvRmT3_T4_T5_mT6_P12ihipStream_tbENKUlT_T0_E_clISt17integral_constantIbLb0EEST_IbLb1EEEEDaSP_SQ_EUlSP_E_NS1_11comp_targetILNS1_3genE10ELNS1_11target_archE1200ELNS1_3gpuE4ELNS1_3repE0EEENS1_30default_config_static_selectorELNS0_4arch9wavefront6targetE1EEEvT1_,"axG",@progbits,_ZN7rocprim17ROCPRIM_400000_NS6detail17trampoline_kernelINS0_14default_configENS1_20scan_config_selectorIsEEZZNS1_9scan_implILNS1_25lookback_scan_determinismE0ELb0ELb0ES3_N6thrust23THRUST_200600_302600_NS6detail15normal_iteratorINS9_10device_ptrIsEEEESE_sNS9_4plusIsEEsEEDaPvRmT3_T4_T5_mT6_P12ihipStream_tbENKUlT_T0_E_clISt17integral_constantIbLb0EEST_IbLb1EEEEDaSP_SQ_EUlSP_E_NS1_11comp_targetILNS1_3genE10ELNS1_11target_archE1200ELNS1_3gpuE4ELNS1_3repE0EEENS1_30default_config_static_selectorELNS0_4arch9wavefront6targetE1EEEvT1_,comdat
	.protected	_ZN7rocprim17ROCPRIM_400000_NS6detail17trampoline_kernelINS0_14default_configENS1_20scan_config_selectorIsEEZZNS1_9scan_implILNS1_25lookback_scan_determinismE0ELb0ELb0ES3_N6thrust23THRUST_200600_302600_NS6detail15normal_iteratorINS9_10device_ptrIsEEEESE_sNS9_4plusIsEEsEEDaPvRmT3_T4_T5_mT6_P12ihipStream_tbENKUlT_T0_E_clISt17integral_constantIbLb0EEST_IbLb1EEEEDaSP_SQ_EUlSP_E_NS1_11comp_targetILNS1_3genE10ELNS1_11target_archE1200ELNS1_3gpuE4ELNS1_3repE0EEENS1_30default_config_static_selectorELNS0_4arch9wavefront6targetE1EEEvT1_ ; -- Begin function _ZN7rocprim17ROCPRIM_400000_NS6detail17trampoline_kernelINS0_14default_configENS1_20scan_config_selectorIsEEZZNS1_9scan_implILNS1_25lookback_scan_determinismE0ELb0ELb0ES3_N6thrust23THRUST_200600_302600_NS6detail15normal_iteratorINS9_10device_ptrIsEEEESE_sNS9_4plusIsEEsEEDaPvRmT3_T4_T5_mT6_P12ihipStream_tbENKUlT_T0_E_clISt17integral_constantIbLb0EEST_IbLb1EEEEDaSP_SQ_EUlSP_E_NS1_11comp_targetILNS1_3genE10ELNS1_11target_archE1200ELNS1_3gpuE4ELNS1_3repE0EEENS1_30default_config_static_selectorELNS0_4arch9wavefront6targetE1EEEvT1_
	.globl	_ZN7rocprim17ROCPRIM_400000_NS6detail17trampoline_kernelINS0_14default_configENS1_20scan_config_selectorIsEEZZNS1_9scan_implILNS1_25lookback_scan_determinismE0ELb0ELb0ES3_N6thrust23THRUST_200600_302600_NS6detail15normal_iteratorINS9_10device_ptrIsEEEESE_sNS9_4plusIsEEsEEDaPvRmT3_T4_T5_mT6_P12ihipStream_tbENKUlT_T0_E_clISt17integral_constantIbLb0EEST_IbLb1EEEEDaSP_SQ_EUlSP_E_NS1_11comp_targetILNS1_3genE10ELNS1_11target_archE1200ELNS1_3gpuE4ELNS1_3repE0EEENS1_30default_config_static_selectorELNS0_4arch9wavefront6targetE1EEEvT1_
	.p2align	8
	.type	_ZN7rocprim17ROCPRIM_400000_NS6detail17trampoline_kernelINS0_14default_configENS1_20scan_config_selectorIsEEZZNS1_9scan_implILNS1_25lookback_scan_determinismE0ELb0ELb0ES3_N6thrust23THRUST_200600_302600_NS6detail15normal_iteratorINS9_10device_ptrIsEEEESE_sNS9_4plusIsEEsEEDaPvRmT3_T4_T5_mT6_P12ihipStream_tbENKUlT_T0_E_clISt17integral_constantIbLb0EEST_IbLb1EEEEDaSP_SQ_EUlSP_E_NS1_11comp_targetILNS1_3genE10ELNS1_11target_archE1200ELNS1_3gpuE4ELNS1_3repE0EEENS1_30default_config_static_selectorELNS0_4arch9wavefront6targetE1EEEvT1_,@function
_ZN7rocprim17ROCPRIM_400000_NS6detail17trampoline_kernelINS0_14default_configENS1_20scan_config_selectorIsEEZZNS1_9scan_implILNS1_25lookback_scan_determinismE0ELb0ELb0ES3_N6thrust23THRUST_200600_302600_NS6detail15normal_iteratorINS9_10device_ptrIsEEEESE_sNS9_4plusIsEEsEEDaPvRmT3_T4_T5_mT6_P12ihipStream_tbENKUlT_T0_E_clISt17integral_constantIbLb0EEST_IbLb1EEEEDaSP_SQ_EUlSP_E_NS1_11comp_targetILNS1_3genE10ELNS1_11target_archE1200ELNS1_3gpuE4ELNS1_3repE0EEENS1_30default_config_static_selectorELNS0_4arch9wavefront6targetE1EEEvT1_: ; @_ZN7rocprim17ROCPRIM_400000_NS6detail17trampoline_kernelINS0_14default_configENS1_20scan_config_selectorIsEEZZNS1_9scan_implILNS1_25lookback_scan_determinismE0ELb0ELb0ES3_N6thrust23THRUST_200600_302600_NS6detail15normal_iteratorINS9_10device_ptrIsEEEESE_sNS9_4plusIsEEsEEDaPvRmT3_T4_T5_mT6_P12ihipStream_tbENKUlT_T0_E_clISt17integral_constantIbLb0EEST_IbLb1EEEEDaSP_SQ_EUlSP_E_NS1_11comp_targetILNS1_3genE10ELNS1_11target_archE1200ELNS1_3gpuE4ELNS1_3repE0EEENS1_30default_config_static_selectorELNS0_4arch9wavefront6targetE1EEEvT1_
; %bb.0:
	.section	.rodata,"a",@progbits
	.p2align	6, 0x0
	.amdhsa_kernel _ZN7rocprim17ROCPRIM_400000_NS6detail17trampoline_kernelINS0_14default_configENS1_20scan_config_selectorIsEEZZNS1_9scan_implILNS1_25lookback_scan_determinismE0ELb0ELb0ES3_N6thrust23THRUST_200600_302600_NS6detail15normal_iteratorINS9_10device_ptrIsEEEESE_sNS9_4plusIsEEsEEDaPvRmT3_T4_T5_mT6_P12ihipStream_tbENKUlT_T0_E_clISt17integral_constantIbLb0EEST_IbLb1EEEEDaSP_SQ_EUlSP_E_NS1_11comp_targetILNS1_3genE10ELNS1_11target_archE1200ELNS1_3gpuE4ELNS1_3repE0EEENS1_30default_config_static_selectorELNS0_4arch9wavefront6targetE1EEEvT1_
		.amdhsa_group_segment_fixed_size 0
		.amdhsa_private_segment_fixed_size 0
		.amdhsa_kernarg_size 96
		.amdhsa_user_sgpr_count 6
		.amdhsa_user_sgpr_private_segment_buffer 1
		.amdhsa_user_sgpr_dispatch_ptr 0
		.amdhsa_user_sgpr_queue_ptr 0
		.amdhsa_user_sgpr_kernarg_segment_ptr 1
		.amdhsa_user_sgpr_dispatch_id 0
		.amdhsa_user_sgpr_flat_scratch_init 0
		.amdhsa_user_sgpr_kernarg_preload_length 0
		.amdhsa_user_sgpr_kernarg_preload_offset 0
		.amdhsa_user_sgpr_private_segment_size 0
		.amdhsa_uses_dynamic_stack 0
		.amdhsa_system_sgpr_private_segment_wavefront_offset 0
		.amdhsa_system_sgpr_workgroup_id_x 1
		.amdhsa_system_sgpr_workgroup_id_y 0
		.amdhsa_system_sgpr_workgroup_id_z 0
		.amdhsa_system_sgpr_workgroup_info 0
		.amdhsa_system_vgpr_workitem_id 0
		.amdhsa_next_free_vgpr 1
		.amdhsa_next_free_sgpr 0
		.amdhsa_accum_offset 4
		.amdhsa_reserve_vcc 0
		.amdhsa_reserve_flat_scratch 0
		.amdhsa_float_round_mode_32 0
		.amdhsa_float_round_mode_16_64 0
		.amdhsa_float_denorm_mode_32 3
		.amdhsa_float_denorm_mode_16_64 3
		.amdhsa_dx10_clamp 1
		.amdhsa_ieee_mode 1
		.amdhsa_fp16_overflow 0
		.amdhsa_tg_split 0
		.amdhsa_exception_fp_ieee_invalid_op 0
		.amdhsa_exception_fp_denorm_src 0
		.amdhsa_exception_fp_ieee_div_zero 0
		.amdhsa_exception_fp_ieee_overflow 0
		.amdhsa_exception_fp_ieee_underflow 0
		.amdhsa_exception_fp_ieee_inexact 0
		.amdhsa_exception_int_div_zero 0
	.end_amdhsa_kernel
	.section	.text._ZN7rocprim17ROCPRIM_400000_NS6detail17trampoline_kernelINS0_14default_configENS1_20scan_config_selectorIsEEZZNS1_9scan_implILNS1_25lookback_scan_determinismE0ELb0ELb0ES3_N6thrust23THRUST_200600_302600_NS6detail15normal_iteratorINS9_10device_ptrIsEEEESE_sNS9_4plusIsEEsEEDaPvRmT3_T4_T5_mT6_P12ihipStream_tbENKUlT_T0_E_clISt17integral_constantIbLb0EEST_IbLb1EEEEDaSP_SQ_EUlSP_E_NS1_11comp_targetILNS1_3genE10ELNS1_11target_archE1200ELNS1_3gpuE4ELNS1_3repE0EEENS1_30default_config_static_selectorELNS0_4arch9wavefront6targetE1EEEvT1_,"axG",@progbits,_ZN7rocprim17ROCPRIM_400000_NS6detail17trampoline_kernelINS0_14default_configENS1_20scan_config_selectorIsEEZZNS1_9scan_implILNS1_25lookback_scan_determinismE0ELb0ELb0ES3_N6thrust23THRUST_200600_302600_NS6detail15normal_iteratorINS9_10device_ptrIsEEEESE_sNS9_4plusIsEEsEEDaPvRmT3_T4_T5_mT6_P12ihipStream_tbENKUlT_T0_E_clISt17integral_constantIbLb0EEST_IbLb1EEEEDaSP_SQ_EUlSP_E_NS1_11comp_targetILNS1_3genE10ELNS1_11target_archE1200ELNS1_3gpuE4ELNS1_3repE0EEENS1_30default_config_static_selectorELNS0_4arch9wavefront6targetE1EEEvT1_,comdat
.Lfunc_end1111:
	.size	_ZN7rocprim17ROCPRIM_400000_NS6detail17trampoline_kernelINS0_14default_configENS1_20scan_config_selectorIsEEZZNS1_9scan_implILNS1_25lookback_scan_determinismE0ELb0ELb0ES3_N6thrust23THRUST_200600_302600_NS6detail15normal_iteratorINS9_10device_ptrIsEEEESE_sNS9_4plusIsEEsEEDaPvRmT3_T4_T5_mT6_P12ihipStream_tbENKUlT_T0_E_clISt17integral_constantIbLb0EEST_IbLb1EEEEDaSP_SQ_EUlSP_E_NS1_11comp_targetILNS1_3genE10ELNS1_11target_archE1200ELNS1_3gpuE4ELNS1_3repE0EEENS1_30default_config_static_selectorELNS0_4arch9wavefront6targetE1EEEvT1_, .Lfunc_end1111-_ZN7rocprim17ROCPRIM_400000_NS6detail17trampoline_kernelINS0_14default_configENS1_20scan_config_selectorIsEEZZNS1_9scan_implILNS1_25lookback_scan_determinismE0ELb0ELb0ES3_N6thrust23THRUST_200600_302600_NS6detail15normal_iteratorINS9_10device_ptrIsEEEESE_sNS9_4plusIsEEsEEDaPvRmT3_T4_T5_mT6_P12ihipStream_tbENKUlT_T0_E_clISt17integral_constantIbLb0EEST_IbLb1EEEEDaSP_SQ_EUlSP_E_NS1_11comp_targetILNS1_3genE10ELNS1_11target_archE1200ELNS1_3gpuE4ELNS1_3repE0EEENS1_30default_config_static_selectorELNS0_4arch9wavefront6targetE1EEEvT1_
                                        ; -- End function
	.section	.AMDGPU.csdata,"",@progbits
; Kernel info:
; codeLenInByte = 0
; NumSgprs: 4
; NumVgprs: 0
; NumAgprs: 0
; TotalNumVgprs: 0
; ScratchSize: 0
; MemoryBound: 0
; FloatMode: 240
; IeeeMode: 1
; LDSByteSize: 0 bytes/workgroup (compile time only)
; SGPRBlocks: 0
; VGPRBlocks: 0
; NumSGPRsForWavesPerEU: 4
; NumVGPRsForWavesPerEU: 1
; AccumOffset: 4
; Occupancy: 8
; WaveLimiterHint : 0
; COMPUTE_PGM_RSRC2:SCRATCH_EN: 0
; COMPUTE_PGM_RSRC2:USER_SGPR: 6
; COMPUTE_PGM_RSRC2:TRAP_HANDLER: 0
; COMPUTE_PGM_RSRC2:TGID_X_EN: 1
; COMPUTE_PGM_RSRC2:TGID_Y_EN: 0
; COMPUTE_PGM_RSRC2:TGID_Z_EN: 0
; COMPUTE_PGM_RSRC2:TIDIG_COMP_CNT: 0
; COMPUTE_PGM_RSRC3_GFX90A:ACCUM_OFFSET: 0
; COMPUTE_PGM_RSRC3_GFX90A:TG_SPLIT: 0
	.section	.text._ZN7rocprim17ROCPRIM_400000_NS6detail17trampoline_kernelINS0_14default_configENS1_20scan_config_selectorIsEEZZNS1_9scan_implILNS1_25lookback_scan_determinismE0ELb0ELb0ES3_N6thrust23THRUST_200600_302600_NS6detail15normal_iteratorINS9_10device_ptrIsEEEESE_sNS9_4plusIsEEsEEDaPvRmT3_T4_T5_mT6_P12ihipStream_tbENKUlT_T0_E_clISt17integral_constantIbLb0EEST_IbLb1EEEEDaSP_SQ_EUlSP_E_NS1_11comp_targetILNS1_3genE9ELNS1_11target_archE1100ELNS1_3gpuE3ELNS1_3repE0EEENS1_30default_config_static_selectorELNS0_4arch9wavefront6targetE1EEEvT1_,"axG",@progbits,_ZN7rocprim17ROCPRIM_400000_NS6detail17trampoline_kernelINS0_14default_configENS1_20scan_config_selectorIsEEZZNS1_9scan_implILNS1_25lookback_scan_determinismE0ELb0ELb0ES3_N6thrust23THRUST_200600_302600_NS6detail15normal_iteratorINS9_10device_ptrIsEEEESE_sNS9_4plusIsEEsEEDaPvRmT3_T4_T5_mT6_P12ihipStream_tbENKUlT_T0_E_clISt17integral_constantIbLb0EEST_IbLb1EEEEDaSP_SQ_EUlSP_E_NS1_11comp_targetILNS1_3genE9ELNS1_11target_archE1100ELNS1_3gpuE3ELNS1_3repE0EEENS1_30default_config_static_selectorELNS0_4arch9wavefront6targetE1EEEvT1_,comdat
	.protected	_ZN7rocprim17ROCPRIM_400000_NS6detail17trampoline_kernelINS0_14default_configENS1_20scan_config_selectorIsEEZZNS1_9scan_implILNS1_25lookback_scan_determinismE0ELb0ELb0ES3_N6thrust23THRUST_200600_302600_NS6detail15normal_iteratorINS9_10device_ptrIsEEEESE_sNS9_4plusIsEEsEEDaPvRmT3_T4_T5_mT6_P12ihipStream_tbENKUlT_T0_E_clISt17integral_constantIbLb0EEST_IbLb1EEEEDaSP_SQ_EUlSP_E_NS1_11comp_targetILNS1_3genE9ELNS1_11target_archE1100ELNS1_3gpuE3ELNS1_3repE0EEENS1_30default_config_static_selectorELNS0_4arch9wavefront6targetE1EEEvT1_ ; -- Begin function _ZN7rocprim17ROCPRIM_400000_NS6detail17trampoline_kernelINS0_14default_configENS1_20scan_config_selectorIsEEZZNS1_9scan_implILNS1_25lookback_scan_determinismE0ELb0ELb0ES3_N6thrust23THRUST_200600_302600_NS6detail15normal_iteratorINS9_10device_ptrIsEEEESE_sNS9_4plusIsEEsEEDaPvRmT3_T4_T5_mT6_P12ihipStream_tbENKUlT_T0_E_clISt17integral_constantIbLb0EEST_IbLb1EEEEDaSP_SQ_EUlSP_E_NS1_11comp_targetILNS1_3genE9ELNS1_11target_archE1100ELNS1_3gpuE3ELNS1_3repE0EEENS1_30default_config_static_selectorELNS0_4arch9wavefront6targetE1EEEvT1_
	.globl	_ZN7rocprim17ROCPRIM_400000_NS6detail17trampoline_kernelINS0_14default_configENS1_20scan_config_selectorIsEEZZNS1_9scan_implILNS1_25lookback_scan_determinismE0ELb0ELb0ES3_N6thrust23THRUST_200600_302600_NS6detail15normal_iteratorINS9_10device_ptrIsEEEESE_sNS9_4plusIsEEsEEDaPvRmT3_T4_T5_mT6_P12ihipStream_tbENKUlT_T0_E_clISt17integral_constantIbLb0EEST_IbLb1EEEEDaSP_SQ_EUlSP_E_NS1_11comp_targetILNS1_3genE9ELNS1_11target_archE1100ELNS1_3gpuE3ELNS1_3repE0EEENS1_30default_config_static_selectorELNS0_4arch9wavefront6targetE1EEEvT1_
	.p2align	8
	.type	_ZN7rocprim17ROCPRIM_400000_NS6detail17trampoline_kernelINS0_14default_configENS1_20scan_config_selectorIsEEZZNS1_9scan_implILNS1_25lookback_scan_determinismE0ELb0ELb0ES3_N6thrust23THRUST_200600_302600_NS6detail15normal_iteratorINS9_10device_ptrIsEEEESE_sNS9_4plusIsEEsEEDaPvRmT3_T4_T5_mT6_P12ihipStream_tbENKUlT_T0_E_clISt17integral_constantIbLb0EEST_IbLb1EEEEDaSP_SQ_EUlSP_E_NS1_11comp_targetILNS1_3genE9ELNS1_11target_archE1100ELNS1_3gpuE3ELNS1_3repE0EEENS1_30default_config_static_selectorELNS0_4arch9wavefront6targetE1EEEvT1_,@function
_ZN7rocprim17ROCPRIM_400000_NS6detail17trampoline_kernelINS0_14default_configENS1_20scan_config_selectorIsEEZZNS1_9scan_implILNS1_25lookback_scan_determinismE0ELb0ELb0ES3_N6thrust23THRUST_200600_302600_NS6detail15normal_iteratorINS9_10device_ptrIsEEEESE_sNS9_4plusIsEEsEEDaPvRmT3_T4_T5_mT6_P12ihipStream_tbENKUlT_T0_E_clISt17integral_constantIbLb0EEST_IbLb1EEEEDaSP_SQ_EUlSP_E_NS1_11comp_targetILNS1_3genE9ELNS1_11target_archE1100ELNS1_3gpuE3ELNS1_3repE0EEENS1_30default_config_static_selectorELNS0_4arch9wavefront6targetE1EEEvT1_: ; @_ZN7rocprim17ROCPRIM_400000_NS6detail17trampoline_kernelINS0_14default_configENS1_20scan_config_selectorIsEEZZNS1_9scan_implILNS1_25lookback_scan_determinismE0ELb0ELb0ES3_N6thrust23THRUST_200600_302600_NS6detail15normal_iteratorINS9_10device_ptrIsEEEESE_sNS9_4plusIsEEsEEDaPvRmT3_T4_T5_mT6_P12ihipStream_tbENKUlT_T0_E_clISt17integral_constantIbLb0EEST_IbLb1EEEEDaSP_SQ_EUlSP_E_NS1_11comp_targetILNS1_3genE9ELNS1_11target_archE1100ELNS1_3gpuE3ELNS1_3repE0EEENS1_30default_config_static_selectorELNS0_4arch9wavefront6targetE1EEEvT1_
; %bb.0:
	.section	.rodata,"a",@progbits
	.p2align	6, 0x0
	.amdhsa_kernel _ZN7rocprim17ROCPRIM_400000_NS6detail17trampoline_kernelINS0_14default_configENS1_20scan_config_selectorIsEEZZNS1_9scan_implILNS1_25lookback_scan_determinismE0ELb0ELb0ES3_N6thrust23THRUST_200600_302600_NS6detail15normal_iteratorINS9_10device_ptrIsEEEESE_sNS9_4plusIsEEsEEDaPvRmT3_T4_T5_mT6_P12ihipStream_tbENKUlT_T0_E_clISt17integral_constantIbLb0EEST_IbLb1EEEEDaSP_SQ_EUlSP_E_NS1_11comp_targetILNS1_3genE9ELNS1_11target_archE1100ELNS1_3gpuE3ELNS1_3repE0EEENS1_30default_config_static_selectorELNS0_4arch9wavefront6targetE1EEEvT1_
		.amdhsa_group_segment_fixed_size 0
		.amdhsa_private_segment_fixed_size 0
		.amdhsa_kernarg_size 96
		.amdhsa_user_sgpr_count 6
		.amdhsa_user_sgpr_private_segment_buffer 1
		.amdhsa_user_sgpr_dispatch_ptr 0
		.amdhsa_user_sgpr_queue_ptr 0
		.amdhsa_user_sgpr_kernarg_segment_ptr 1
		.amdhsa_user_sgpr_dispatch_id 0
		.amdhsa_user_sgpr_flat_scratch_init 0
		.amdhsa_user_sgpr_kernarg_preload_length 0
		.amdhsa_user_sgpr_kernarg_preload_offset 0
		.amdhsa_user_sgpr_private_segment_size 0
		.amdhsa_uses_dynamic_stack 0
		.amdhsa_system_sgpr_private_segment_wavefront_offset 0
		.amdhsa_system_sgpr_workgroup_id_x 1
		.amdhsa_system_sgpr_workgroup_id_y 0
		.amdhsa_system_sgpr_workgroup_id_z 0
		.amdhsa_system_sgpr_workgroup_info 0
		.amdhsa_system_vgpr_workitem_id 0
		.amdhsa_next_free_vgpr 1
		.amdhsa_next_free_sgpr 0
		.amdhsa_accum_offset 4
		.amdhsa_reserve_vcc 0
		.amdhsa_reserve_flat_scratch 0
		.amdhsa_float_round_mode_32 0
		.amdhsa_float_round_mode_16_64 0
		.amdhsa_float_denorm_mode_32 3
		.amdhsa_float_denorm_mode_16_64 3
		.amdhsa_dx10_clamp 1
		.amdhsa_ieee_mode 1
		.amdhsa_fp16_overflow 0
		.amdhsa_tg_split 0
		.amdhsa_exception_fp_ieee_invalid_op 0
		.amdhsa_exception_fp_denorm_src 0
		.amdhsa_exception_fp_ieee_div_zero 0
		.amdhsa_exception_fp_ieee_overflow 0
		.amdhsa_exception_fp_ieee_underflow 0
		.amdhsa_exception_fp_ieee_inexact 0
		.amdhsa_exception_int_div_zero 0
	.end_amdhsa_kernel
	.section	.text._ZN7rocprim17ROCPRIM_400000_NS6detail17trampoline_kernelINS0_14default_configENS1_20scan_config_selectorIsEEZZNS1_9scan_implILNS1_25lookback_scan_determinismE0ELb0ELb0ES3_N6thrust23THRUST_200600_302600_NS6detail15normal_iteratorINS9_10device_ptrIsEEEESE_sNS9_4plusIsEEsEEDaPvRmT3_T4_T5_mT6_P12ihipStream_tbENKUlT_T0_E_clISt17integral_constantIbLb0EEST_IbLb1EEEEDaSP_SQ_EUlSP_E_NS1_11comp_targetILNS1_3genE9ELNS1_11target_archE1100ELNS1_3gpuE3ELNS1_3repE0EEENS1_30default_config_static_selectorELNS0_4arch9wavefront6targetE1EEEvT1_,"axG",@progbits,_ZN7rocprim17ROCPRIM_400000_NS6detail17trampoline_kernelINS0_14default_configENS1_20scan_config_selectorIsEEZZNS1_9scan_implILNS1_25lookback_scan_determinismE0ELb0ELb0ES3_N6thrust23THRUST_200600_302600_NS6detail15normal_iteratorINS9_10device_ptrIsEEEESE_sNS9_4plusIsEEsEEDaPvRmT3_T4_T5_mT6_P12ihipStream_tbENKUlT_T0_E_clISt17integral_constantIbLb0EEST_IbLb1EEEEDaSP_SQ_EUlSP_E_NS1_11comp_targetILNS1_3genE9ELNS1_11target_archE1100ELNS1_3gpuE3ELNS1_3repE0EEENS1_30default_config_static_selectorELNS0_4arch9wavefront6targetE1EEEvT1_,comdat
.Lfunc_end1112:
	.size	_ZN7rocprim17ROCPRIM_400000_NS6detail17trampoline_kernelINS0_14default_configENS1_20scan_config_selectorIsEEZZNS1_9scan_implILNS1_25lookback_scan_determinismE0ELb0ELb0ES3_N6thrust23THRUST_200600_302600_NS6detail15normal_iteratorINS9_10device_ptrIsEEEESE_sNS9_4plusIsEEsEEDaPvRmT3_T4_T5_mT6_P12ihipStream_tbENKUlT_T0_E_clISt17integral_constantIbLb0EEST_IbLb1EEEEDaSP_SQ_EUlSP_E_NS1_11comp_targetILNS1_3genE9ELNS1_11target_archE1100ELNS1_3gpuE3ELNS1_3repE0EEENS1_30default_config_static_selectorELNS0_4arch9wavefront6targetE1EEEvT1_, .Lfunc_end1112-_ZN7rocprim17ROCPRIM_400000_NS6detail17trampoline_kernelINS0_14default_configENS1_20scan_config_selectorIsEEZZNS1_9scan_implILNS1_25lookback_scan_determinismE0ELb0ELb0ES3_N6thrust23THRUST_200600_302600_NS6detail15normal_iteratorINS9_10device_ptrIsEEEESE_sNS9_4plusIsEEsEEDaPvRmT3_T4_T5_mT6_P12ihipStream_tbENKUlT_T0_E_clISt17integral_constantIbLb0EEST_IbLb1EEEEDaSP_SQ_EUlSP_E_NS1_11comp_targetILNS1_3genE9ELNS1_11target_archE1100ELNS1_3gpuE3ELNS1_3repE0EEENS1_30default_config_static_selectorELNS0_4arch9wavefront6targetE1EEEvT1_
                                        ; -- End function
	.section	.AMDGPU.csdata,"",@progbits
; Kernel info:
; codeLenInByte = 0
; NumSgprs: 4
; NumVgprs: 0
; NumAgprs: 0
; TotalNumVgprs: 0
; ScratchSize: 0
; MemoryBound: 0
; FloatMode: 240
; IeeeMode: 1
; LDSByteSize: 0 bytes/workgroup (compile time only)
; SGPRBlocks: 0
; VGPRBlocks: 0
; NumSGPRsForWavesPerEU: 4
; NumVGPRsForWavesPerEU: 1
; AccumOffset: 4
; Occupancy: 8
; WaveLimiterHint : 0
; COMPUTE_PGM_RSRC2:SCRATCH_EN: 0
; COMPUTE_PGM_RSRC2:USER_SGPR: 6
; COMPUTE_PGM_RSRC2:TRAP_HANDLER: 0
; COMPUTE_PGM_RSRC2:TGID_X_EN: 1
; COMPUTE_PGM_RSRC2:TGID_Y_EN: 0
; COMPUTE_PGM_RSRC2:TGID_Z_EN: 0
; COMPUTE_PGM_RSRC2:TIDIG_COMP_CNT: 0
; COMPUTE_PGM_RSRC3_GFX90A:ACCUM_OFFSET: 0
; COMPUTE_PGM_RSRC3_GFX90A:TG_SPLIT: 0
	.section	.text._ZN7rocprim17ROCPRIM_400000_NS6detail17trampoline_kernelINS0_14default_configENS1_20scan_config_selectorIsEEZZNS1_9scan_implILNS1_25lookback_scan_determinismE0ELb0ELb0ES3_N6thrust23THRUST_200600_302600_NS6detail15normal_iteratorINS9_10device_ptrIsEEEESE_sNS9_4plusIsEEsEEDaPvRmT3_T4_T5_mT6_P12ihipStream_tbENKUlT_T0_E_clISt17integral_constantIbLb0EEST_IbLb1EEEEDaSP_SQ_EUlSP_E_NS1_11comp_targetILNS1_3genE8ELNS1_11target_archE1030ELNS1_3gpuE2ELNS1_3repE0EEENS1_30default_config_static_selectorELNS0_4arch9wavefront6targetE1EEEvT1_,"axG",@progbits,_ZN7rocprim17ROCPRIM_400000_NS6detail17trampoline_kernelINS0_14default_configENS1_20scan_config_selectorIsEEZZNS1_9scan_implILNS1_25lookback_scan_determinismE0ELb0ELb0ES3_N6thrust23THRUST_200600_302600_NS6detail15normal_iteratorINS9_10device_ptrIsEEEESE_sNS9_4plusIsEEsEEDaPvRmT3_T4_T5_mT6_P12ihipStream_tbENKUlT_T0_E_clISt17integral_constantIbLb0EEST_IbLb1EEEEDaSP_SQ_EUlSP_E_NS1_11comp_targetILNS1_3genE8ELNS1_11target_archE1030ELNS1_3gpuE2ELNS1_3repE0EEENS1_30default_config_static_selectorELNS0_4arch9wavefront6targetE1EEEvT1_,comdat
	.protected	_ZN7rocprim17ROCPRIM_400000_NS6detail17trampoline_kernelINS0_14default_configENS1_20scan_config_selectorIsEEZZNS1_9scan_implILNS1_25lookback_scan_determinismE0ELb0ELb0ES3_N6thrust23THRUST_200600_302600_NS6detail15normal_iteratorINS9_10device_ptrIsEEEESE_sNS9_4plusIsEEsEEDaPvRmT3_T4_T5_mT6_P12ihipStream_tbENKUlT_T0_E_clISt17integral_constantIbLb0EEST_IbLb1EEEEDaSP_SQ_EUlSP_E_NS1_11comp_targetILNS1_3genE8ELNS1_11target_archE1030ELNS1_3gpuE2ELNS1_3repE0EEENS1_30default_config_static_selectorELNS0_4arch9wavefront6targetE1EEEvT1_ ; -- Begin function _ZN7rocprim17ROCPRIM_400000_NS6detail17trampoline_kernelINS0_14default_configENS1_20scan_config_selectorIsEEZZNS1_9scan_implILNS1_25lookback_scan_determinismE0ELb0ELb0ES3_N6thrust23THRUST_200600_302600_NS6detail15normal_iteratorINS9_10device_ptrIsEEEESE_sNS9_4plusIsEEsEEDaPvRmT3_T4_T5_mT6_P12ihipStream_tbENKUlT_T0_E_clISt17integral_constantIbLb0EEST_IbLb1EEEEDaSP_SQ_EUlSP_E_NS1_11comp_targetILNS1_3genE8ELNS1_11target_archE1030ELNS1_3gpuE2ELNS1_3repE0EEENS1_30default_config_static_selectorELNS0_4arch9wavefront6targetE1EEEvT1_
	.globl	_ZN7rocprim17ROCPRIM_400000_NS6detail17trampoline_kernelINS0_14default_configENS1_20scan_config_selectorIsEEZZNS1_9scan_implILNS1_25lookback_scan_determinismE0ELb0ELb0ES3_N6thrust23THRUST_200600_302600_NS6detail15normal_iteratorINS9_10device_ptrIsEEEESE_sNS9_4plusIsEEsEEDaPvRmT3_T4_T5_mT6_P12ihipStream_tbENKUlT_T0_E_clISt17integral_constantIbLb0EEST_IbLb1EEEEDaSP_SQ_EUlSP_E_NS1_11comp_targetILNS1_3genE8ELNS1_11target_archE1030ELNS1_3gpuE2ELNS1_3repE0EEENS1_30default_config_static_selectorELNS0_4arch9wavefront6targetE1EEEvT1_
	.p2align	8
	.type	_ZN7rocprim17ROCPRIM_400000_NS6detail17trampoline_kernelINS0_14default_configENS1_20scan_config_selectorIsEEZZNS1_9scan_implILNS1_25lookback_scan_determinismE0ELb0ELb0ES3_N6thrust23THRUST_200600_302600_NS6detail15normal_iteratorINS9_10device_ptrIsEEEESE_sNS9_4plusIsEEsEEDaPvRmT3_T4_T5_mT6_P12ihipStream_tbENKUlT_T0_E_clISt17integral_constantIbLb0EEST_IbLb1EEEEDaSP_SQ_EUlSP_E_NS1_11comp_targetILNS1_3genE8ELNS1_11target_archE1030ELNS1_3gpuE2ELNS1_3repE0EEENS1_30default_config_static_selectorELNS0_4arch9wavefront6targetE1EEEvT1_,@function
_ZN7rocprim17ROCPRIM_400000_NS6detail17trampoline_kernelINS0_14default_configENS1_20scan_config_selectorIsEEZZNS1_9scan_implILNS1_25lookback_scan_determinismE0ELb0ELb0ES3_N6thrust23THRUST_200600_302600_NS6detail15normal_iteratorINS9_10device_ptrIsEEEESE_sNS9_4plusIsEEsEEDaPvRmT3_T4_T5_mT6_P12ihipStream_tbENKUlT_T0_E_clISt17integral_constantIbLb0EEST_IbLb1EEEEDaSP_SQ_EUlSP_E_NS1_11comp_targetILNS1_3genE8ELNS1_11target_archE1030ELNS1_3gpuE2ELNS1_3repE0EEENS1_30default_config_static_selectorELNS0_4arch9wavefront6targetE1EEEvT1_: ; @_ZN7rocprim17ROCPRIM_400000_NS6detail17trampoline_kernelINS0_14default_configENS1_20scan_config_selectorIsEEZZNS1_9scan_implILNS1_25lookback_scan_determinismE0ELb0ELb0ES3_N6thrust23THRUST_200600_302600_NS6detail15normal_iteratorINS9_10device_ptrIsEEEESE_sNS9_4plusIsEEsEEDaPvRmT3_T4_T5_mT6_P12ihipStream_tbENKUlT_T0_E_clISt17integral_constantIbLb0EEST_IbLb1EEEEDaSP_SQ_EUlSP_E_NS1_11comp_targetILNS1_3genE8ELNS1_11target_archE1030ELNS1_3gpuE2ELNS1_3repE0EEENS1_30default_config_static_selectorELNS0_4arch9wavefront6targetE1EEEvT1_
; %bb.0:
	.section	.rodata,"a",@progbits
	.p2align	6, 0x0
	.amdhsa_kernel _ZN7rocprim17ROCPRIM_400000_NS6detail17trampoline_kernelINS0_14default_configENS1_20scan_config_selectorIsEEZZNS1_9scan_implILNS1_25lookback_scan_determinismE0ELb0ELb0ES3_N6thrust23THRUST_200600_302600_NS6detail15normal_iteratorINS9_10device_ptrIsEEEESE_sNS9_4plusIsEEsEEDaPvRmT3_T4_T5_mT6_P12ihipStream_tbENKUlT_T0_E_clISt17integral_constantIbLb0EEST_IbLb1EEEEDaSP_SQ_EUlSP_E_NS1_11comp_targetILNS1_3genE8ELNS1_11target_archE1030ELNS1_3gpuE2ELNS1_3repE0EEENS1_30default_config_static_selectorELNS0_4arch9wavefront6targetE1EEEvT1_
		.amdhsa_group_segment_fixed_size 0
		.amdhsa_private_segment_fixed_size 0
		.amdhsa_kernarg_size 96
		.amdhsa_user_sgpr_count 6
		.amdhsa_user_sgpr_private_segment_buffer 1
		.amdhsa_user_sgpr_dispatch_ptr 0
		.amdhsa_user_sgpr_queue_ptr 0
		.amdhsa_user_sgpr_kernarg_segment_ptr 1
		.amdhsa_user_sgpr_dispatch_id 0
		.amdhsa_user_sgpr_flat_scratch_init 0
		.amdhsa_user_sgpr_kernarg_preload_length 0
		.amdhsa_user_sgpr_kernarg_preload_offset 0
		.amdhsa_user_sgpr_private_segment_size 0
		.amdhsa_uses_dynamic_stack 0
		.amdhsa_system_sgpr_private_segment_wavefront_offset 0
		.amdhsa_system_sgpr_workgroup_id_x 1
		.amdhsa_system_sgpr_workgroup_id_y 0
		.amdhsa_system_sgpr_workgroup_id_z 0
		.amdhsa_system_sgpr_workgroup_info 0
		.amdhsa_system_vgpr_workitem_id 0
		.amdhsa_next_free_vgpr 1
		.amdhsa_next_free_sgpr 0
		.amdhsa_accum_offset 4
		.amdhsa_reserve_vcc 0
		.amdhsa_reserve_flat_scratch 0
		.amdhsa_float_round_mode_32 0
		.amdhsa_float_round_mode_16_64 0
		.amdhsa_float_denorm_mode_32 3
		.amdhsa_float_denorm_mode_16_64 3
		.amdhsa_dx10_clamp 1
		.amdhsa_ieee_mode 1
		.amdhsa_fp16_overflow 0
		.amdhsa_tg_split 0
		.amdhsa_exception_fp_ieee_invalid_op 0
		.amdhsa_exception_fp_denorm_src 0
		.amdhsa_exception_fp_ieee_div_zero 0
		.amdhsa_exception_fp_ieee_overflow 0
		.amdhsa_exception_fp_ieee_underflow 0
		.amdhsa_exception_fp_ieee_inexact 0
		.amdhsa_exception_int_div_zero 0
	.end_amdhsa_kernel
	.section	.text._ZN7rocprim17ROCPRIM_400000_NS6detail17trampoline_kernelINS0_14default_configENS1_20scan_config_selectorIsEEZZNS1_9scan_implILNS1_25lookback_scan_determinismE0ELb0ELb0ES3_N6thrust23THRUST_200600_302600_NS6detail15normal_iteratorINS9_10device_ptrIsEEEESE_sNS9_4plusIsEEsEEDaPvRmT3_T4_T5_mT6_P12ihipStream_tbENKUlT_T0_E_clISt17integral_constantIbLb0EEST_IbLb1EEEEDaSP_SQ_EUlSP_E_NS1_11comp_targetILNS1_3genE8ELNS1_11target_archE1030ELNS1_3gpuE2ELNS1_3repE0EEENS1_30default_config_static_selectorELNS0_4arch9wavefront6targetE1EEEvT1_,"axG",@progbits,_ZN7rocprim17ROCPRIM_400000_NS6detail17trampoline_kernelINS0_14default_configENS1_20scan_config_selectorIsEEZZNS1_9scan_implILNS1_25lookback_scan_determinismE0ELb0ELb0ES3_N6thrust23THRUST_200600_302600_NS6detail15normal_iteratorINS9_10device_ptrIsEEEESE_sNS9_4plusIsEEsEEDaPvRmT3_T4_T5_mT6_P12ihipStream_tbENKUlT_T0_E_clISt17integral_constantIbLb0EEST_IbLb1EEEEDaSP_SQ_EUlSP_E_NS1_11comp_targetILNS1_3genE8ELNS1_11target_archE1030ELNS1_3gpuE2ELNS1_3repE0EEENS1_30default_config_static_selectorELNS0_4arch9wavefront6targetE1EEEvT1_,comdat
.Lfunc_end1113:
	.size	_ZN7rocprim17ROCPRIM_400000_NS6detail17trampoline_kernelINS0_14default_configENS1_20scan_config_selectorIsEEZZNS1_9scan_implILNS1_25lookback_scan_determinismE0ELb0ELb0ES3_N6thrust23THRUST_200600_302600_NS6detail15normal_iteratorINS9_10device_ptrIsEEEESE_sNS9_4plusIsEEsEEDaPvRmT3_T4_T5_mT6_P12ihipStream_tbENKUlT_T0_E_clISt17integral_constantIbLb0EEST_IbLb1EEEEDaSP_SQ_EUlSP_E_NS1_11comp_targetILNS1_3genE8ELNS1_11target_archE1030ELNS1_3gpuE2ELNS1_3repE0EEENS1_30default_config_static_selectorELNS0_4arch9wavefront6targetE1EEEvT1_, .Lfunc_end1113-_ZN7rocprim17ROCPRIM_400000_NS6detail17trampoline_kernelINS0_14default_configENS1_20scan_config_selectorIsEEZZNS1_9scan_implILNS1_25lookback_scan_determinismE0ELb0ELb0ES3_N6thrust23THRUST_200600_302600_NS6detail15normal_iteratorINS9_10device_ptrIsEEEESE_sNS9_4plusIsEEsEEDaPvRmT3_T4_T5_mT6_P12ihipStream_tbENKUlT_T0_E_clISt17integral_constantIbLb0EEST_IbLb1EEEEDaSP_SQ_EUlSP_E_NS1_11comp_targetILNS1_3genE8ELNS1_11target_archE1030ELNS1_3gpuE2ELNS1_3repE0EEENS1_30default_config_static_selectorELNS0_4arch9wavefront6targetE1EEEvT1_
                                        ; -- End function
	.section	.AMDGPU.csdata,"",@progbits
; Kernel info:
; codeLenInByte = 0
; NumSgprs: 4
; NumVgprs: 0
; NumAgprs: 0
; TotalNumVgprs: 0
; ScratchSize: 0
; MemoryBound: 0
; FloatMode: 240
; IeeeMode: 1
; LDSByteSize: 0 bytes/workgroup (compile time only)
; SGPRBlocks: 0
; VGPRBlocks: 0
; NumSGPRsForWavesPerEU: 4
; NumVGPRsForWavesPerEU: 1
; AccumOffset: 4
; Occupancy: 8
; WaveLimiterHint : 0
; COMPUTE_PGM_RSRC2:SCRATCH_EN: 0
; COMPUTE_PGM_RSRC2:USER_SGPR: 6
; COMPUTE_PGM_RSRC2:TRAP_HANDLER: 0
; COMPUTE_PGM_RSRC2:TGID_X_EN: 1
; COMPUTE_PGM_RSRC2:TGID_Y_EN: 0
; COMPUTE_PGM_RSRC2:TGID_Z_EN: 0
; COMPUTE_PGM_RSRC2:TIDIG_COMP_CNT: 0
; COMPUTE_PGM_RSRC3_GFX90A:ACCUM_OFFSET: 0
; COMPUTE_PGM_RSRC3_GFX90A:TG_SPLIT: 0
	.section	.text._ZN7rocprim17ROCPRIM_400000_NS6detail17trampoline_kernelINS0_14default_configENS1_20scan_config_selectorIsEEZZNS1_9scan_implILNS1_25lookback_scan_determinismE0ELb0ELb0ES3_N6thrust23THRUST_200600_302600_NS6detail15normal_iteratorINS9_10device_ptrIsEEEESE_sNS9_4plusIsEEsEEDaPvRmT3_T4_T5_mT6_P12ihipStream_tbENKUlT_T0_E_clISt17integral_constantIbLb0EEST_IbLb1EEEEDaSP_SQ_EUlSP_E0_NS1_11comp_targetILNS1_3genE0ELNS1_11target_archE4294967295ELNS1_3gpuE0ELNS1_3repE0EEENS1_30default_config_static_selectorELNS0_4arch9wavefront6targetE1EEEvT1_,"axG",@progbits,_ZN7rocprim17ROCPRIM_400000_NS6detail17trampoline_kernelINS0_14default_configENS1_20scan_config_selectorIsEEZZNS1_9scan_implILNS1_25lookback_scan_determinismE0ELb0ELb0ES3_N6thrust23THRUST_200600_302600_NS6detail15normal_iteratorINS9_10device_ptrIsEEEESE_sNS9_4plusIsEEsEEDaPvRmT3_T4_T5_mT6_P12ihipStream_tbENKUlT_T0_E_clISt17integral_constantIbLb0EEST_IbLb1EEEEDaSP_SQ_EUlSP_E0_NS1_11comp_targetILNS1_3genE0ELNS1_11target_archE4294967295ELNS1_3gpuE0ELNS1_3repE0EEENS1_30default_config_static_selectorELNS0_4arch9wavefront6targetE1EEEvT1_,comdat
	.protected	_ZN7rocprim17ROCPRIM_400000_NS6detail17trampoline_kernelINS0_14default_configENS1_20scan_config_selectorIsEEZZNS1_9scan_implILNS1_25lookback_scan_determinismE0ELb0ELb0ES3_N6thrust23THRUST_200600_302600_NS6detail15normal_iteratorINS9_10device_ptrIsEEEESE_sNS9_4plusIsEEsEEDaPvRmT3_T4_T5_mT6_P12ihipStream_tbENKUlT_T0_E_clISt17integral_constantIbLb0EEST_IbLb1EEEEDaSP_SQ_EUlSP_E0_NS1_11comp_targetILNS1_3genE0ELNS1_11target_archE4294967295ELNS1_3gpuE0ELNS1_3repE0EEENS1_30default_config_static_selectorELNS0_4arch9wavefront6targetE1EEEvT1_ ; -- Begin function _ZN7rocprim17ROCPRIM_400000_NS6detail17trampoline_kernelINS0_14default_configENS1_20scan_config_selectorIsEEZZNS1_9scan_implILNS1_25lookback_scan_determinismE0ELb0ELb0ES3_N6thrust23THRUST_200600_302600_NS6detail15normal_iteratorINS9_10device_ptrIsEEEESE_sNS9_4plusIsEEsEEDaPvRmT3_T4_T5_mT6_P12ihipStream_tbENKUlT_T0_E_clISt17integral_constantIbLb0EEST_IbLb1EEEEDaSP_SQ_EUlSP_E0_NS1_11comp_targetILNS1_3genE0ELNS1_11target_archE4294967295ELNS1_3gpuE0ELNS1_3repE0EEENS1_30default_config_static_selectorELNS0_4arch9wavefront6targetE1EEEvT1_
	.globl	_ZN7rocprim17ROCPRIM_400000_NS6detail17trampoline_kernelINS0_14default_configENS1_20scan_config_selectorIsEEZZNS1_9scan_implILNS1_25lookback_scan_determinismE0ELb0ELb0ES3_N6thrust23THRUST_200600_302600_NS6detail15normal_iteratorINS9_10device_ptrIsEEEESE_sNS9_4plusIsEEsEEDaPvRmT3_T4_T5_mT6_P12ihipStream_tbENKUlT_T0_E_clISt17integral_constantIbLb0EEST_IbLb1EEEEDaSP_SQ_EUlSP_E0_NS1_11comp_targetILNS1_3genE0ELNS1_11target_archE4294967295ELNS1_3gpuE0ELNS1_3repE0EEENS1_30default_config_static_selectorELNS0_4arch9wavefront6targetE1EEEvT1_
	.p2align	8
	.type	_ZN7rocprim17ROCPRIM_400000_NS6detail17trampoline_kernelINS0_14default_configENS1_20scan_config_selectorIsEEZZNS1_9scan_implILNS1_25lookback_scan_determinismE0ELb0ELb0ES3_N6thrust23THRUST_200600_302600_NS6detail15normal_iteratorINS9_10device_ptrIsEEEESE_sNS9_4plusIsEEsEEDaPvRmT3_T4_T5_mT6_P12ihipStream_tbENKUlT_T0_E_clISt17integral_constantIbLb0EEST_IbLb1EEEEDaSP_SQ_EUlSP_E0_NS1_11comp_targetILNS1_3genE0ELNS1_11target_archE4294967295ELNS1_3gpuE0ELNS1_3repE0EEENS1_30default_config_static_selectorELNS0_4arch9wavefront6targetE1EEEvT1_,@function
_ZN7rocprim17ROCPRIM_400000_NS6detail17trampoline_kernelINS0_14default_configENS1_20scan_config_selectorIsEEZZNS1_9scan_implILNS1_25lookback_scan_determinismE0ELb0ELb0ES3_N6thrust23THRUST_200600_302600_NS6detail15normal_iteratorINS9_10device_ptrIsEEEESE_sNS9_4plusIsEEsEEDaPvRmT3_T4_T5_mT6_P12ihipStream_tbENKUlT_T0_E_clISt17integral_constantIbLb0EEST_IbLb1EEEEDaSP_SQ_EUlSP_E0_NS1_11comp_targetILNS1_3genE0ELNS1_11target_archE4294967295ELNS1_3gpuE0ELNS1_3repE0EEENS1_30default_config_static_selectorELNS0_4arch9wavefront6targetE1EEEvT1_: ; @_ZN7rocprim17ROCPRIM_400000_NS6detail17trampoline_kernelINS0_14default_configENS1_20scan_config_selectorIsEEZZNS1_9scan_implILNS1_25lookback_scan_determinismE0ELb0ELb0ES3_N6thrust23THRUST_200600_302600_NS6detail15normal_iteratorINS9_10device_ptrIsEEEESE_sNS9_4plusIsEEsEEDaPvRmT3_T4_T5_mT6_P12ihipStream_tbENKUlT_T0_E_clISt17integral_constantIbLb0EEST_IbLb1EEEEDaSP_SQ_EUlSP_E0_NS1_11comp_targetILNS1_3genE0ELNS1_11target_archE4294967295ELNS1_3gpuE0ELNS1_3repE0EEENS1_30default_config_static_selectorELNS0_4arch9wavefront6targetE1EEEvT1_
; %bb.0:
	.section	.rodata,"a",@progbits
	.p2align	6, 0x0
	.amdhsa_kernel _ZN7rocprim17ROCPRIM_400000_NS6detail17trampoline_kernelINS0_14default_configENS1_20scan_config_selectorIsEEZZNS1_9scan_implILNS1_25lookback_scan_determinismE0ELb0ELb0ES3_N6thrust23THRUST_200600_302600_NS6detail15normal_iteratorINS9_10device_ptrIsEEEESE_sNS9_4plusIsEEsEEDaPvRmT3_T4_T5_mT6_P12ihipStream_tbENKUlT_T0_E_clISt17integral_constantIbLb0EEST_IbLb1EEEEDaSP_SQ_EUlSP_E0_NS1_11comp_targetILNS1_3genE0ELNS1_11target_archE4294967295ELNS1_3gpuE0ELNS1_3repE0EEENS1_30default_config_static_selectorELNS0_4arch9wavefront6targetE1EEEvT1_
		.amdhsa_group_segment_fixed_size 0
		.amdhsa_private_segment_fixed_size 0
		.amdhsa_kernarg_size 32
		.amdhsa_user_sgpr_count 6
		.amdhsa_user_sgpr_private_segment_buffer 1
		.amdhsa_user_sgpr_dispatch_ptr 0
		.amdhsa_user_sgpr_queue_ptr 0
		.amdhsa_user_sgpr_kernarg_segment_ptr 1
		.amdhsa_user_sgpr_dispatch_id 0
		.amdhsa_user_sgpr_flat_scratch_init 0
		.amdhsa_user_sgpr_kernarg_preload_length 0
		.amdhsa_user_sgpr_kernarg_preload_offset 0
		.amdhsa_user_sgpr_private_segment_size 0
		.amdhsa_uses_dynamic_stack 0
		.amdhsa_system_sgpr_private_segment_wavefront_offset 0
		.amdhsa_system_sgpr_workgroup_id_x 1
		.amdhsa_system_sgpr_workgroup_id_y 0
		.amdhsa_system_sgpr_workgroup_id_z 0
		.amdhsa_system_sgpr_workgroup_info 0
		.amdhsa_system_vgpr_workitem_id 0
		.amdhsa_next_free_vgpr 1
		.amdhsa_next_free_sgpr 0
		.amdhsa_accum_offset 4
		.amdhsa_reserve_vcc 0
		.amdhsa_reserve_flat_scratch 0
		.amdhsa_float_round_mode_32 0
		.amdhsa_float_round_mode_16_64 0
		.amdhsa_float_denorm_mode_32 3
		.amdhsa_float_denorm_mode_16_64 3
		.amdhsa_dx10_clamp 1
		.amdhsa_ieee_mode 1
		.amdhsa_fp16_overflow 0
		.amdhsa_tg_split 0
		.amdhsa_exception_fp_ieee_invalid_op 0
		.amdhsa_exception_fp_denorm_src 0
		.amdhsa_exception_fp_ieee_div_zero 0
		.amdhsa_exception_fp_ieee_overflow 0
		.amdhsa_exception_fp_ieee_underflow 0
		.amdhsa_exception_fp_ieee_inexact 0
		.amdhsa_exception_int_div_zero 0
	.end_amdhsa_kernel
	.section	.text._ZN7rocprim17ROCPRIM_400000_NS6detail17trampoline_kernelINS0_14default_configENS1_20scan_config_selectorIsEEZZNS1_9scan_implILNS1_25lookback_scan_determinismE0ELb0ELb0ES3_N6thrust23THRUST_200600_302600_NS6detail15normal_iteratorINS9_10device_ptrIsEEEESE_sNS9_4plusIsEEsEEDaPvRmT3_T4_T5_mT6_P12ihipStream_tbENKUlT_T0_E_clISt17integral_constantIbLb0EEST_IbLb1EEEEDaSP_SQ_EUlSP_E0_NS1_11comp_targetILNS1_3genE0ELNS1_11target_archE4294967295ELNS1_3gpuE0ELNS1_3repE0EEENS1_30default_config_static_selectorELNS0_4arch9wavefront6targetE1EEEvT1_,"axG",@progbits,_ZN7rocprim17ROCPRIM_400000_NS6detail17trampoline_kernelINS0_14default_configENS1_20scan_config_selectorIsEEZZNS1_9scan_implILNS1_25lookback_scan_determinismE0ELb0ELb0ES3_N6thrust23THRUST_200600_302600_NS6detail15normal_iteratorINS9_10device_ptrIsEEEESE_sNS9_4plusIsEEsEEDaPvRmT3_T4_T5_mT6_P12ihipStream_tbENKUlT_T0_E_clISt17integral_constantIbLb0EEST_IbLb1EEEEDaSP_SQ_EUlSP_E0_NS1_11comp_targetILNS1_3genE0ELNS1_11target_archE4294967295ELNS1_3gpuE0ELNS1_3repE0EEENS1_30default_config_static_selectorELNS0_4arch9wavefront6targetE1EEEvT1_,comdat
.Lfunc_end1114:
	.size	_ZN7rocprim17ROCPRIM_400000_NS6detail17trampoline_kernelINS0_14default_configENS1_20scan_config_selectorIsEEZZNS1_9scan_implILNS1_25lookback_scan_determinismE0ELb0ELb0ES3_N6thrust23THRUST_200600_302600_NS6detail15normal_iteratorINS9_10device_ptrIsEEEESE_sNS9_4plusIsEEsEEDaPvRmT3_T4_T5_mT6_P12ihipStream_tbENKUlT_T0_E_clISt17integral_constantIbLb0EEST_IbLb1EEEEDaSP_SQ_EUlSP_E0_NS1_11comp_targetILNS1_3genE0ELNS1_11target_archE4294967295ELNS1_3gpuE0ELNS1_3repE0EEENS1_30default_config_static_selectorELNS0_4arch9wavefront6targetE1EEEvT1_, .Lfunc_end1114-_ZN7rocprim17ROCPRIM_400000_NS6detail17trampoline_kernelINS0_14default_configENS1_20scan_config_selectorIsEEZZNS1_9scan_implILNS1_25lookback_scan_determinismE0ELb0ELb0ES3_N6thrust23THRUST_200600_302600_NS6detail15normal_iteratorINS9_10device_ptrIsEEEESE_sNS9_4plusIsEEsEEDaPvRmT3_T4_T5_mT6_P12ihipStream_tbENKUlT_T0_E_clISt17integral_constantIbLb0EEST_IbLb1EEEEDaSP_SQ_EUlSP_E0_NS1_11comp_targetILNS1_3genE0ELNS1_11target_archE4294967295ELNS1_3gpuE0ELNS1_3repE0EEENS1_30default_config_static_selectorELNS0_4arch9wavefront6targetE1EEEvT1_
                                        ; -- End function
	.section	.AMDGPU.csdata,"",@progbits
; Kernel info:
; codeLenInByte = 0
; NumSgprs: 4
; NumVgprs: 0
; NumAgprs: 0
; TotalNumVgprs: 0
; ScratchSize: 0
; MemoryBound: 0
; FloatMode: 240
; IeeeMode: 1
; LDSByteSize: 0 bytes/workgroup (compile time only)
; SGPRBlocks: 0
; VGPRBlocks: 0
; NumSGPRsForWavesPerEU: 4
; NumVGPRsForWavesPerEU: 1
; AccumOffset: 4
; Occupancy: 8
; WaveLimiterHint : 0
; COMPUTE_PGM_RSRC2:SCRATCH_EN: 0
; COMPUTE_PGM_RSRC2:USER_SGPR: 6
; COMPUTE_PGM_RSRC2:TRAP_HANDLER: 0
; COMPUTE_PGM_RSRC2:TGID_X_EN: 1
; COMPUTE_PGM_RSRC2:TGID_Y_EN: 0
; COMPUTE_PGM_RSRC2:TGID_Z_EN: 0
; COMPUTE_PGM_RSRC2:TIDIG_COMP_CNT: 0
; COMPUTE_PGM_RSRC3_GFX90A:ACCUM_OFFSET: 0
; COMPUTE_PGM_RSRC3_GFX90A:TG_SPLIT: 0
	.section	.text._ZN7rocprim17ROCPRIM_400000_NS6detail17trampoline_kernelINS0_14default_configENS1_20scan_config_selectorIsEEZZNS1_9scan_implILNS1_25lookback_scan_determinismE0ELb0ELb0ES3_N6thrust23THRUST_200600_302600_NS6detail15normal_iteratorINS9_10device_ptrIsEEEESE_sNS9_4plusIsEEsEEDaPvRmT3_T4_T5_mT6_P12ihipStream_tbENKUlT_T0_E_clISt17integral_constantIbLb0EEST_IbLb1EEEEDaSP_SQ_EUlSP_E0_NS1_11comp_targetILNS1_3genE5ELNS1_11target_archE942ELNS1_3gpuE9ELNS1_3repE0EEENS1_30default_config_static_selectorELNS0_4arch9wavefront6targetE1EEEvT1_,"axG",@progbits,_ZN7rocprim17ROCPRIM_400000_NS6detail17trampoline_kernelINS0_14default_configENS1_20scan_config_selectorIsEEZZNS1_9scan_implILNS1_25lookback_scan_determinismE0ELb0ELb0ES3_N6thrust23THRUST_200600_302600_NS6detail15normal_iteratorINS9_10device_ptrIsEEEESE_sNS9_4plusIsEEsEEDaPvRmT3_T4_T5_mT6_P12ihipStream_tbENKUlT_T0_E_clISt17integral_constantIbLb0EEST_IbLb1EEEEDaSP_SQ_EUlSP_E0_NS1_11comp_targetILNS1_3genE5ELNS1_11target_archE942ELNS1_3gpuE9ELNS1_3repE0EEENS1_30default_config_static_selectorELNS0_4arch9wavefront6targetE1EEEvT1_,comdat
	.protected	_ZN7rocprim17ROCPRIM_400000_NS6detail17trampoline_kernelINS0_14default_configENS1_20scan_config_selectorIsEEZZNS1_9scan_implILNS1_25lookback_scan_determinismE0ELb0ELb0ES3_N6thrust23THRUST_200600_302600_NS6detail15normal_iteratorINS9_10device_ptrIsEEEESE_sNS9_4plusIsEEsEEDaPvRmT3_T4_T5_mT6_P12ihipStream_tbENKUlT_T0_E_clISt17integral_constantIbLb0EEST_IbLb1EEEEDaSP_SQ_EUlSP_E0_NS1_11comp_targetILNS1_3genE5ELNS1_11target_archE942ELNS1_3gpuE9ELNS1_3repE0EEENS1_30default_config_static_selectorELNS0_4arch9wavefront6targetE1EEEvT1_ ; -- Begin function _ZN7rocprim17ROCPRIM_400000_NS6detail17trampoline_kernelINS0_14default_configENS1_20scan_config_selectorIsEEZZNS1_9scan_implILNS1_25lookback_scan_determinismE0ELb0ELb0ES3_N6thrust23THRUST_200600_302600_NS6detail15normal_iteratorINS9_10device_ptrIsEEEESE_sNS9_4plusIsEEsEEDaPvRmT3_T4_T5_mT6_P12ihipStream_tbENKUlT_T0_E_clISt17integral_constantIbLb0EEST_IbLb1EEEEDaSP_SQ_EUlSP_E0_NS1_11comp_targetILNS1_3genE5ELNS1_11target_archE942ELNS1_3gpuE9ELNS1_3repE0EEENS1_30default_config_static_selectorELNS0_4arch9wavefront6targetE1EEEvT1_
	.globl	_ZN7rocprim17ROCPRIM_400000_NS6detail17trampoline_kernelINS0_14default_configENS1_20scan_config_selectorIsEEZZNS1_9scan_implILNS1_25lookback_scan_determinismE0ELb0ELb0ES3_N6thrust23THRUST_200600_302600_NS6detail15normal_iteratorINS9_10device_ptrIsEEEESE_sNS9_4plusIsEEsEEDaPvRmT3_T4_T5_mT6_P12ihipStream_tbENKUlT_T0_E_clISt17integral_constantIbLb0EEST_IbLb1EEEEDaSP_SQ_EUlSP_E0_NS1_11comp_targetILNS1_3genE5ELNS1_11target_archE942ELNS1_3gpuE9ELNS1_3repE0EEENS1_30default_config_static_selectorELNS0_4arch9wavefront6targetE1EEEvT1_
	.p2align	8
	.type	_ZN7rocprim17ROCPRIM_400000_NS6detail17trampoline_kernelINS0_14default_configENS1_20scan_config_selectorIsEEZZNS1_9scan_implILNS1_25lookback_scan_determinismE0ELb0ELb0ES3_N6thrust23THRUST_200600_302600_NS6detail15normal_iteratorINS9_10device_ptrIsEEEESE_sNS9_4plusIsEEsEEDaPvRmT3_T4_T5_mT6_P12ihipStream_tbENKUlT_T0_E_clISt17integral_constantIbLb0EEST_IbLb1EEEEDaSP_SQ_EUlSP_E0_NS1_11comp_targetILNS1_3genE5ELNS1_11target_archE942ELNS1_3gpuE9ELNS1_3repE0EEENS1_30default_config_static_selectorELNS0_4arch9wavefront6targetE1EEEvT1_,@function
_ZN7rocprim17ROCPRIM_400000_NS6detail17trampoline_kernelINS0_14default_configENS1_20scan_config_selectorIsEEZZNS1_9scan_implILNS1_25lookback_scan_determinismE0ELb0ELb0ES3_N6thrust23THRUST_200600_302600_NS6detail15normal_iteratorINS9_10device_ptrIsEEEESE_sNS9_4plusIsEEsEEDaPvRmT3_T4_T5_mT6_P12ihipStream_tbENKUlT_T0_E_clISt17integral_constantIbLb0EEST_IbLb1EEEEDaSP_SQ_EUlSP_E0_NS1_11comp_targetILNS1_3genE5ELNS1_11target_archE942ELNS1_3gpuE9ELNS1_3repE0EEENS1_30default_config_static_selectorELNS0_4arch9wavefront6targetE1EEEvT1_: ; @_ZN7rocprim17ROCPRIM_400000_NS6detail17trampoline_kernelINS0_14default_configENS1_20scan_config_selectorIsEEZZNS1_9scan_implILNS1_25lookback_scan_determinismE0ELb0ELb0ES3_N6thrust23THRUST_200600_302600_NS6detail15normal_iteratorINS9_10device_ptrIsEEEESE_sNS9_4plusIsEEsEEDaPvRmT3_T4_T5_mT6_P12ihipStream_tbENKUlT_T0_E_clISt17integral_constantIbLb0EEST_IbLb1EEEEDaSP_SQ_EUlSP_E0_NS1_11comp_targetILNS1_3genE5ELNS1_11target_archE942ELNS1_3gpuE9ELNS1_3repE0EEENS1_30default_config_static_selectorELNS0_4arch9wavefront6targetE1EEEvT1_
; %bb.0:
	.section	.rodata,"a",@progbits
	.p2align	6, 0x0
	.amdhsa_kernel _ZN7rocprim17ROCPRIM_400000_NS6detail17trampoline_kernelINS0_14default_configENS1_20scan_config_selectorIsEEZZNS1_9scan_implILNS1_25lookback_scan_determinismE0ELb0ELb0ES3_N6thrust23THRUST_200600_302600_NS6detail15normal_iteratorINS9_10device_ptrIsEEEESE_sNS9_4plusIsEEsEEDaPvRmT3_T4_T5_mT6_P12ihipStream_tbENKUlT_T0_E_clISt17integral_constantIbLb0EEST_IbLb1EEEEDaSP_SQ_EUlSP_E0_NS1_11comp_targetILNS1_3genE5ELNS1_11target_archE942ELNS1_3gpuE9ELNS1_3repE0EEENS1_30default_config_static_selectorELNS0_4arch9wavefront6targetE1EEEvT1_
		.amdhsa_group_segment_fixed_size 0
		.amdhsa_private_segment_fixed_size 0
		.amdhsa_kernarg_size 32
		.amdhsa_user_sgpr_count 6
		.amdhsa_user_sgpr_private_segment_buffer 1
		.amdhsa_user_sgpr_dispatch_ptr 0
		.amdhsa_user_sgpr_queue_ptr 0
		.amdhsa_user_sgpr_kernarg_segment_ptr 1
		.amdhsa_user_sgpr_dispatch_id 0
		.amdhsa_user_sgpr_flat_scratch_init 0
		.amdhsa_user_sgpr_kernarg_preload_length 0
		.amdhsa_user_sgpr_kernarg_preload_offset 0
		.amdhsa_user_sgpr_private_segment_size 0
		.amdhsa_uses_dynamic_stack 0
		.amdhsa_system_sgpr_private_segment_wavefront_offset 0
		.amdhsa_system_sgpr_workgroup_id_x 1
		.amdhsa_system_sgpr_workgroup_id_y 0
		.amdhsa_system_sgpr_workgroup_id_z 0
		.amdhsa_system_sgpr_workgroup_info 0
		.amdhsa_system_vgpr_workitem_id 0
		.amdhsa_next_free_vgpr 1
		.amdhsa_next_free_sgpr 0
		.amdhsa_accum_offset 4
		.amdhsa_reserve_vcc 0
		.amdhsa_reserve_flat_scratch 0
		.amdhsa_float_round_mode_32 0
		.amdhsa_float_round_mode_16_64 0
		.amdhsa_float_denorm_mode_32 3
		.amdhsa_float_denorm_mode_16_64 3
		.amdhsa_dx10_clamp 1
		.amdhsa_ieee_mode 1
		.amdhsa_fp16_overflow 0
		.amdhsa_tg_split 0
		.amdhsa_exception_fp_ieee_invalid_op 0
		.amdhsa_exception_fp_denorm_src 0
		.amdhsa_exception_fp_ieee_div_zero 0
		.amdhsa_exception_fp_ieee_overflow 0
		.amdhsa_exception_fp_ieee_underflow 0
		.amdhsa_exception_fp_ieee_inexact 0
		.amdhsa_exception_int_div_zero 0
	.end_amdhsa_kernel
	.section	.text._ZN7rocprim17ROCPRIM_400000_NS6detail17trampoline_kernelINS0_14default_configENS1_20scan_config_selectorIsEEZZNS1_9scan_implILNS1_25lookback_scan_determinismE0ELb0ELb0ES3_N6thrust23THRUST_200600_302600_NS6detail15normal_iteratorINS9_10device_ptrIsEEEESE_sNS9_4plusIsEEsEEDaPvRmT3_T4_T5_mT6_P12ihipStream_tbENKUlT_T0_E_clISt17integral_constantIbLb0EEST_IbLb1EEEEDaSP_SQ_EUlSP_E0_NS1_11comp_targetILNS1_3genE5ELNS1_11target_archE942ELNS1_3gpuE9ELNS1_3repE0EEENS1_30default_config_static_selectorELNS0_4arch9wavefront6targetE1EEEvT1_,"axG",@progbits,_ZN7rocprim17ROCPRIM_400000_NS6detail17trampoline_kernelINS0_14default_configENS1_20scan_config_selectorIsEEZZNS1_9scan_implILNS1_25lookback_scan_determinismE0ELb0ELb0ES3_N6thrust23THRUST_200600_302600_NS6detail15normal_iteratorINS9_10device_ptrIsEEEESE_sNS9_4plusIsEEsEEDaPvRmT3_T4_T5_mT6_P12ihipStream_tbENKUlT_T0_E_clISt17integral_constantIbLb0EEST_IbLb1EEEEDaSP_SQ_EUlSP_E0_NS1_11comp_targetILNS1_3genE5ELNS1_11target_archE942ELNS1_3gpuE9ELNS1_3repE0EEENS1_30default_config_static_selectorELNS0_4arch9wavefront6targetE1EEEvT1_,comdat
.Lfunc_end1115:
	.size	_ZN7rocprim17ROCPRIM_400000_NS6detail17trampoline_kernelINS0_14default_configENS1_20scan_config_selectorIsEEZZNS1_9scan_implILNS1_25lookback_scan_determinismE0ELb0ELb0ES3_N6thrust23THRUST_200600_302600_NS6detail15normal_iteratorINS9_10device_ptrIsEEEESE_sNS9_4plusIsEEsEEDaPvRmT3_T4_T5_mT6_P12ihipStream_tbENKUlT_T0_E_clISt17integral_constantIbLb0EEST_IbLb1EEEEDaSP_SQ_EUlSP_E0_NS1_11comp_targetILNS1_3genE5ELNS1_11target_archE942ELNS1_3gpuE9ELNS1_3repE0EEENS1_30default_config_static_selectorELNS0_4arch9wavefront6targetE1EEEvT1_, .Lfunc_end1115-_ZN7rocprim17ROCPRIM_400000_NS6detail17trampoline_kernelINS0_14default_configENS1_20scan_config_selectorIsEEZZNS1_9scan_implILNS1_25lookback_scan_determinismE0ELb0ELb0ES3_N6thrust23THRUST_200600_302600_NS6detail15normal_iteratorINS9_10device_ptrIsEEEESE_sNS9_4plusIsEEsEEDaPvRmT3_T4_T5_mT6_P12ihipStream_tbENKUlT_T0_E_clISt17integral_constantIbLb0EEST_IbLb1EEEEDaSP_SQ_EUlSP_E0_NS1_11comp_targetILNS1_3genE5ELNS1_11target_archE942ELNS1_3gpuE9ELNS1_3repE0EEENS1_30default_config_static_selectorELNS0_4arch9wavefront6targetE1EEEvT1_
                                        ; -- End function
	.section	.AMDGPU.csdata,"",@progbits
; Kernel info:
; codeLenInByte = 0
; NumSgprs: 4
; NumVgprs: 0
; NumAgprs: 0
; TotalNumVgprs: 0
; ScratchSize: 0
; MemoryBound: 0
; FloatMode: 240
; IeeeMode: 1
; LDSByteSize: 0 bytes/workgroup (compile time only)
; SGPRBlocks: 0
; VGPRBlocks: 0
; NumSGPRsForWavesPerEU: 4
; NumVGPRsForWavesPerEU: 1
; AccumOffset: 4
; Occupancy: 8
; WaveLimiterHint : 0
; COMPUTE_PGM_RSRC2:SCRATCH_EN: 0
; COMPUTE_PGM_RSRC2:USER_SGPR: 6
; COMPUTE_PGM_RSRC2:TRAP_HANDLER: 0
; COMPUTE_PGM_RSRC2:TGID_X_EN: 1
; COMPUTE_PGM_RSRC2:TGID_Y_EN: 0
; COMPUTE_PGM_RSRC2:TGID_Z_EN: 0
; COMPUTE_PGM_RSRC2:TIDIG_COMP_CNT: 0
; COMPUTE_PGM_RSRC3_GFX90A:ACCUM_OFFSET: 0
; COMPUTE_PGM_RSRC3_GFX90A:TG_SPLIT: 0
	.section	.text._ZN7rocprim17ROCPRIM_400000_NS6detail17trampoline_kernelINS0_14default_configENS1_20scan_config_selectorIsEEZZNS1_9scan_implILNS1_25lookback_scan_determinismE0ELb0ELb0ES3_N6thrust23THRUST_200600_302600_NS6detail15normal_iteratorINS9_10device_ptrIsEEEESE_sNS9_4plusIsEEsEEDaPvRmT3_T4_T5_mT6_P12ihipStream_tbENKUlT_T0_E_clISt17integral_constantIbLb0EEST_IbLb1EEEEDaSP_SQ_EUlSP_E0_NS1_11comp_targetILNS1_3genE4ELNS1_11target_archE910ELNS1_3gpuE8ELNS1_3repE0EEENS1_30default_config_static_selectorELNS0_4arch9wavefront6targetE1EEEvT1_,"axG",@progbits,_ZN7rocprim17ROCPRIM_400000_NS6detail17trampoline_kernelINS0_14default_configENS1_20scan_config_selectorIsEEZZNS1_9scan_implILNS1_25lookback_scan_determinismE0ELb0ELb0ES3_N6thrust23THRUST_200600_302600_NS6detail15normal_iteratorINS9_10device_ptrIsEEEESE_sNS9_4plusIsEEsEEDaPvRmT3_T4_T5_mT6_P12ihipStream_tbENKUlT_T0_E_clISt17integral_constantIbLb0EEST_IbLb1EEEEDaSP_SQ_EUlSP_E0_NS1_11comp_targetILNS1_3genE4ELNS1_11target_archE910ELNS1_3gpuE8ELNS1_3repE0EEENS1_30default_config_static_selectorELNS0_4arch9wavefront6targetE1EEEvT1_,comdat
	.protected	_ZN7rocprim17ROCPRIM_400000_NS6detail17trampoline_kernelINS0_14default_configENS1_20scan_config_selectorIsEEZZNS1_9scan_implILNS1_25lookback_scan_determinismE0ELb0ELb0ES3_N6thrust23THRUST_200600_302600_NS6detail15normal_iteratorINS9_10device_ptrIsEEEESE_sNS9_4plusIsEEsEEDaPvRmT3_T4_T5_mT6_P12ihipStream_tbENKUlT_T0_E_clISt17integral_constantIbLb0EEST_IbLb1EEEEDaSP_SQ_EUlSP_E0_NS1_11comp_targetILNS1_3genE4ELNS1_11target_archE910ELNS1_3gpuE8ELNS1_3repE0EEENS1_30default_config_static_selectorELNS0_4arch9wavefront6targetE1EEEvT1_ ; -- Begin function _ZN7rocprim17ROCPRIM_400000_NS6detail17trampoline_kernelINS0_14default_configENS1_20scan_config_selectorIsEEZZNS1_9scan_implILNS1_25lookback_scan_determinismE0ELb0ELb0ES3_N6thrust23THRUST_200600_302600_NS6detail15normal_iteratorINS9_10device_ptrIsEEEESE_sNS9_4plusIsEEsEEDaPvRmT3_T4_T5_mT6_P12ihipStream_tbENKUlT_T0_E_clISt17integral_constantIbLb0EEST_IbLb1EEEEDaSP_SQ_EUlSP_E0_NS1_11comp_targetILNS1_3genE4ELNS1_11target_archE910ELNS1_3gpuE8ELNS1_3repE0EEENS1_30default_config_static_selectorELNS0_4arch9wavefront6targetE1EEEvT1_
	.globl	_ZN7rocprim17ROCPRIM_400000_NS6detail17trampoline_kernelINS0_14default_configENS1_20scan_config_selectorIsEEZZNS1_9scan_implILNS1_25lookback_scan_determinismE0ELb0ELb0ES3_N6thrust23THRUST_200600_302600_NS6detail15normal_iteratorINS9_10device_ptrIsEEEESE_sNS9_4plusIsEEsEEDaPvRmT3_T4_T5_mT6_P12ihipStream_tbENKUlT_T0_E_clISt17integral_constantIbLb0EEST_IbLb1EEEEDaSP_SQ_EUlSP_E0_NS1_11comp_targetILNS1_3genE4ELNS1_11target_archE910ELNS1_3gpuE8ELNS1_3repE0EEENS1_30default_config_static_selectorELNS0_4arch9wavefront6targetE1EEEvT1_
	.p2align	8
	.type	_ZN7rocprim17ROCPRIM_400000_NS6detail17trampoline_kernelINS0_14default_configENS1_20scan_config_selectorIsEEZZNS1_9scan_implILNS1_25lookback_scan_determinismE0ELb0ELb0ES3_N6thrust23THRUST_200600_302600_NS6detail15normal_iteratorINS9_10device_ptrIsEEEESE_sNS9_4plusIsEEsEEDaPvRmT3_T4_T5_mT6_P12ihipStream_tbENKUlT_T0_E_clISt17integral_constantIbLb0EEST_IbLb1EEEEDaSP_SQ_EUlSP_E0_NS1_11comp_targetILNS1_3genE4ELNS1_11target_archE910ELNS1_3gpuE8ELNS1_3repE0EEENS1_30default_config_static_selectorELNS0_4arch9wavefront6targetE1EEEvT1_,@function
_ZN7rocprim17ROCPRIM_400000_NS6detail17trampoline_kernelINS0_14default_configENS1_20scan_config_selectorIsEEZZNS1_9scan_implILNS1_25lookback_scan_determinismE0ELb0ELb0ES3_N6thrust23THRUST_200600_302600_NS6detail15normal_iteratorINS9_10device_ptrIsEEEESE_sNS9_4plusIsEEsEEDaPvRmT3_T4_T5_mT6_P12ihipStream_tbENKUlT_T0_E_clISt17integral_constantIbLb0EEST_IbLb1EEEEDaSP_SQ_EUlSP_E0_NS1_11comp_targetILNS1_3genE4ELNS1_11target_archE910ELNS1_3gpuE8ELNS1_3repE0EEENS1_30default_config_static_selectorELNS0_4arch9wavefront6targetE1EEEvT1_: ; @_ZN7rocprim17ROCPRIM_400000_NS6detail17trampoline_kernelINS0_14default_configENS1_20scan_config_selectorIsEEZZNS1_9scan_implILNS1_25lookback_scan_determinismE0ELb0ELb0ES3_N6thrust23THRUST_200600_302600_NS6detail15normal_iteratorINS9_10device_ptrIsEEEESE_sNS9_4plusIsEEsEEDaPvRmT3_T4_T5_mT6_P12ihipStream_tbENKUlT_T0_E_clISt17integral_constantIbLb0EEST_IbLb1EEEEDaSP_SQ_EUlSP_E0_NS1_11comp_targetILNS1_3genE4ELNS1_11target_archE910ELNS1_3gpuE8ELNS1_3repE0EEENS1_30default_config_static_selectorELNS0_4arch9wavefront6targetE1EEEvT1_
; %bb.0:
	s_load_dwordx4 s[52:55], s[4:5], 0x0
	v_mov_b32_e32 v1, 0
	v_lshlrev_b32_e32 v14, 1, v0
	s_waitcnt lgkmcnt(0)
	global_load_ushort v2, v1, s[52:53]
	v_cmp_gt_u32_e32 vcc, s54, v0
	s_waitcnt vmcnt(0)
	v_mov_b32_e32 v3, v2
	s_and_saveexec_b64 s[0:1], vcc
	s_cbranch_execz .LBB1116_2
; %bb.1:
	global_load_ushort v3, v14, s[52:53]
.LBB1116_2:
	s_or_b64 exec, exec, s[0:1]
	v_or_b32_e32 v1, 64, v0
	v_cmp_gt_u32_e64 s[0:1], s54, v1
	v_mov_b32_e32 v4, v2
	s_and_saveexec_b64 s[2:3], s[0:1]
	s_cbranch_execz .LBB1116_4
; %bb.3:
	global_load_ushort v4, v14, s[52:53] offset:128
.LBB1116_4:
	s_or_b64 exec, exec, s[2:3]
	v_or_b32_e32 v1, 0x80, v0
	v_cmp_gt_u32_e64 s[2:3], s54, v1
	v_mov_b32_e32 v5, v2
	s_and_saveexec_b64 s[6:7], s[2:3]
	s_cbranch_execz .LBB1116_6
; %bb.5:
	global_load_ushort v5, v14, s[52:53] offset:256
.LBB1116_6:
	;; [unrolled: 9-line block ×22, first 2 shown]
	s_or_b64 exec, exec, s[46:47]
	v_or_b32_e32 v1, 0x5c0, v0
	v_cmp_gt_u32_e64 s[46:47], s54, v1
	v_cmp_le_u32_e64 s[50:51], s54, v1
	s_and_saveexec_b64 s[54:55], s[50:51]
	s_xor_b64 s[50:51], exec, s[54:55]
; %bb.47:
	v_mov_b32_e32 v1, 0
; %bb.48:
	s_andn2_saveexec_b64 s[50:51], s[50:51]
	s_cbranch_execz .LBB1116_50
; %bb.49:
	global_load_ushort v2, v14, s[52:53] offset:2944
	v_mov_b32_e32 v1, 0
.LBB1116_50:
	s_or_b64 exec, exec, s[50:51]
	s_waitcnt vmcnt(0)
	ds_write_b16 v14, v3
	ds_write_b16 v14, v4 offset:128
	ds_write_b16 v14, v5 offset:256
	;; [unrolled: 1-line block ×23, first 2 shown]
	v_mad_u32_u24 v6, v0, 46, v14
	s_waitcnt lgkmcnt(0)
	; wave barrier
	s_waitcnt lgkmcnt(0)
	ds_read_b128 v[2:5], v6
	ds_read_b128 v[10:13], v6 offset:16
	ds_read_b128 v[6:9], v6 offset:32
	v_mbcnt_lo_u32_b32 v38, -1, 0
	v_mbcnt_hi_u32_b32 v38, -1, v38
	s_waitcnt lgkmcnt(2)
	v_add_u16_sdwa v15, v2, v2 dst_sel:DWORD dst_unused:UNUSED_PAD src0_sel:WORD_1 src1_sel:DWORD
	v_add_u16_e32 v16, v15, v3
	v_add_u16_sdwa v18, v16, v3 dst_sel:DWORD dst_unused:UNUSED_PAD src0_sel:DWORD src1_sel:WORD_1
	v_add_u16_e32 v20, v18, v4
	v_add_u16_sdwa v22, v20, v4 dst_sel:DWORD dst_unused:UNUSED_PAD src0_sel:DWORD src1_sel:WORD_1
	v_add_u16_e32 v25, v22, v5
	v_add_u16_sdwa v28, v25, v5 dst_sel:DWORD dst_unused:UNUSED_PAD src0_sel:DWORD src1_sel:WORD_1
	s_waitcnt lgkmcnt(1)
	v_add_u16_e32 v17, v28, v10
	v_add_u16_sdwa v19, v17, v10 dst_sel:DWORD dst_unused:UNUSED_PAD src0_sel:DWORD src1_sel:WORD_1
	v_add_u16_e32 v21, v19, v11
	v_add_u16_sdwa v24, v21, v11 dst_sel:DWORD dst_unused:UNUSED_PAD src0_sel:DWORD src1_sel:WORD_1
	;; [unrolled: 2-line block ×4, first 2 shown]
	s_waitcnt lgkmcnt(0)
	v_add_u16_e32 v23, v34, v6
	v_add_u16_sdwa v26, v23, v6 dst_sel:DWORD dst_unused:UNUSED_PAD src0_sel:DWORD src1_sel:WORD_1
	v_add_u16_e32 v29, v26, v7
	v_add_u16_sdwa v31, v29, v7 dst_sel:DWORD dst_unused:UNUSED_PAD src0_sel:DWORD src1_sel:WORD_1
	;; [unrolled: 2-line block ×4, first 2 shown]
	v_and_b32_e32 v39, 15, v38
	s_load_dwordx2 s[50:51], s[4:5], 0x18
	v_mov_b32_dpp v40, v37 row_shr:1 row_mask:0xf bank_mask:0xf
	v_cmp_ne_u32_e64 s[4:5], 0, v39
	v_cndmask_b32_e64 v40, 0, v40, s[4:5]
	v_add_u16_e32 v40, v40, v37
	v_cmp_lt_u32_e64 s[4:5], 1, v39
	s_waitcnt lgkmcnt(0)
	v_mov_b32_dpp v41, v40 row_shr:2 row_mask:0xf bank_mask:0xf
	v_cndmask_b32_e64 v41, 0, v41, s[4:5]
	v_add_u16_e32 v40, v40, v41
	v_cmp_lt_u32_e64 s[4:5], 3, v39
	; wave barrier
	s_nop 0
	v_mov_b32_dpp v41, v40 row_shr:4 row_mask:0xf bank_mask:0xf
	v_cndmask_b32_e64 v41, 0, v41, s[4:5]
	v_add_u16_e32 v40, v40, v41
	v_cmp_lt_u32_e64 s[4:5], 7, v39
	s_nop 0
	v_mov_b32_dpp v41, v40 row_shr:8 row_mask:0xf bank_mask:0xf
	v_cndmask_b32_e64 v39, 0, v41, s[4:5]
	v_add_u16_e32 v39, v40, v39
	v_and_b32_e32 v41, 16, v38
	v_cmp_ne_u32_e64 s[4:5], 0, v41
	v_mov_b32_dpp v40, v39 row_bcast:15 row_mask:0xf bank_mask:0xf
	v_cndmask_b32_e64 v40, 0, v40, s[4:5]
	v_add_u16_e32 v39, v39, v40
	v_cmp_lt_u32_e64 s[4:5], 31, v38
	s_nop 0
	v_mov_b32_dpp v40, v39 row_bcast:31 row_mask:0xf bank_mask:0xf
	v_cndmask_b32_e64 v40, 0, v40, s[4:5]
	v_add_u16_e32 v39, v39, v40
	v_cmp_eq_u32_e64 s[4:5], 63, v0
	s_and_saveexec_b64 s[52:53], s[4:5]
	s_cbranch_execz .LBB1116_52
; %bb.51:
	v_mov_b32_e32 v40, 0
	ds_write_b16 v40, v39
.LBB1116_52:
	s_or_b64 exec, exec, s[52:53]
	v_add_u32_e32 v40, -1, v38
	v_and_b32_e32 v41, 64, v38
	v_cmp_lt_i32_e64 s[4:5], v40, v41
	v_cndmask_b32_e64 v38, v40, v38, s[4:5]
	v_lshlrev_b32_e32 v38, 2, v38
	ds_bpermute_b32 v39, v38, v39
	v_mul_u32_u24_e32 v38, 46, v0
	v_cmp_ne_u32_e64 s[4:5], 0, v0
	s_waitcnt lgkmcnt(0)
	; wave barrier
	s_waitcnt lgkmcnt(0)
	s_and_saveexec_b64 s[52:53], s[4:5]
	s_cbranch_execz .LBB1116_54
; %bb.53:
	v_add_u16_e32 v39, v2, v39
	v_add_u16_sdwa v15, v39, v2 dst_sel:DWORD dst_unused:UNUSED_PAD src0_sel:DWORD src1_sel:WORD_1
	v_add_u16_e32 v16, v15, v3
	v_add_u16_sdwa v18, v16, v3 dst_sel:DWORD dst_unused:UNUSED_PAD src0_sel:DWORD src1_sel:WORD_1
	;; [unrolled: 2-line block ×12, first 2 shown]
	v_mov_b32_e32 v2, v39
	;;#ASMSTART
	;;#ASMEND
.LBB1116_54:
	s_or_b64 exec, exec, s[52:53]
	s_mov_b32 s4, 0x5040100
	v_add_u32_e32 v6, v14, v38
	v_perm_b32 v5, v28, v25, s4
	v_perm_b32 v4, v22, v20, s4
	;; [unrolled: 1-line block ×4, first 2 shown]
	s_waitcnt lgkmcnt(0)
	; wave barrier
	ds_write_b128 v6, v[2:5]
	v_perm_b32 v5, v34, v32, s4
	v_perm_b32 v4, v30, v27, s4
	;; [unrolled: 1-line block ×4, first 2 shown]
	ds_write_b128 v6, v[2:5] offset:16
	v_perm_b32 v5, v37, v36, s4
	v_perm_b32 v4, v35, v33, s4
	;; [unrolled: 1-line block ×4, first 2 shown]
	ds_write_b128 v6, v[2:5] offset:32
	s_waitcnt lgkmcnt(0)
	; wave barrier
	s_waitcnt lgkmcnt(0)
	ds_read_u16 v25, v14 offset:128
	ds_read_u16 v24, v14 offset:256
	;; [unrolled: 1-line block ×23, first 2 shown]
	v_lshlrev_b64 v[0:1], 1, v[0:1]
	v_mov_b32_e32 v26, s51
	v_add_co_u32_e64 v0, s[4:5], s50, v0
	v_addc_co_u32_e64 v1, s[4:5], v26, v1, s[4:5]
	s_and_saveexec_b64 s[4:5], vcc
	s_cbranch_execnz .LBB1116_79
; %bb.55:
	s_or_b64 exec, exec, s[4:5]
	s_and_saveexec_b64 s[4:5], s[0:1]
	s_cbranch_execnz .LBB1116_80
.LBB1116_56:
	s_or_b64 exec, exec, s[4:5]
	s_and_saveexec_b64 s[0:1], s[2:3]
	s_cbranch_execnz .LBB1116_81
.LBB1116_57:
	s_or_b64 exec, exec, s[0:1]
	s_and_saveexec_b64 s[0:1], s[48:49]
	s_cbranch_execnz .LBB1116_82
.LBB1116_58:
	s_or_b64 exec, exec, s[0:1]
	s_and_saveexec_b64 s[0:1], s[6:7]
	s_cbranch_execnz .LBB1116_83
.LBB1116_59:
	s_or_b64 exec, exec, s[0:1]
	s_and_saveexec_b64 s[0:1], s[8:9]
	s_cbranch_execnz .LBB1116_84
.LBB1116_60:
	s_or_b64 exec, exec, s[0:1]
	s_and_saveexec_b64 s[0:1], s[10:11]
	s_cbranch_execnz .LBB1116_85
.LBB1116_61:
	s_or_b64 exec, exec, s[0:1]
	s_and_saveexec_b64 s[0:1], s[12:13]
	s_cbranch_execnz .LBB1116_86
.LBB1116_62:
	s_or_b64 exec, exec, s[0:1]
	s_and_saveexec_b64 s[0:1], s[14:15]
	s_cbranch_execnz .LBB1116_87
.LBB1116_63:
	s_or_b64 exec, exec, s[0:1]
	s_and_saveexec_b64 s[0:1], s[16:17]
	s_cbranch_execnz .LBB1116_88
.LBB1116_64:
	s_or_b64 exec, exec, s[0:1]
	s_and_saveexec_b64 s[0:1], s[18:19]
	s_cbranch_execnz .LBB1116_89
.LBB1116_65:
	s_or_b64 exec, exec, s[0:1]
	s_and_saveexec_b64 s[0:1], s[20:21]
	s_cbranch_execnz .LBB1116_90
.LBB1116_66:
	s_or_b64 exec, exec, s[0:1]
	s_and_saveexec_b64 s[0:1], s[22:23]
	s_cbranch_execnz .LBB1116_91
.LBB1116_67:
	s_or_b64 exec, exec, s[0:1]
	s_and_saveexec_b64 s[0:1], s[24:25]
	s_cbranch_execnz .LBB1116_92
.LBB1116_68:
	s_or_b64 exec, exec, s[0:1]
	s_and_saveexec_b64 s[0:1], s[26:27]
	s_cbranch_execnz .LBB1116_93
.LBB1116_69:
	s_or_b64 exec, exec, s[0:1]
	s_and_saveexec_b64 s[0:1], s[28:29]
	s_cbranch_execnz .LBB1116_94
.LBB1116_70:
	s_or_b64 exec, exec, s[0:1]
	s_and_saveexec_b64 s[0:1], s[30:31]
	s_cbranch_execnz .LBB1116_95
.LBB1116_71:
	s_or_b64 exec, exec, s[0:1]
	s_and_saveexec_b64 s[0:1], s[34:35]
	s_cbranch_execnz .LBB1116_96
.LBB1116_72:
	s_or_b64 exec, exec, s[0:1]
	s_and_saveexec_b64 s[0:1], s[36:37]
	s_cbranch_execnz .LBB1116_97
.LBB1116_73:
	s_or_b64 exec, exec, s[0:1]
	s_and_saveexec_b64 s[0:1], s[38:39]
	s_cbranch_execnz .LBB1116_98
.LBB1116_74:
	s_or_b64 exec, exec, s[0:1]
	s_and_saveexec_b64 s[0:1], s[40:41]
	s_cbranch_execnz .LBB1116_99
.LBB1116_75:
	s_or_b64 exec, exec, s[0:1]
	s_and_saveexec_b64 s[0:1], s[42:43]
	s_cbranch_execnz .LBB1116_100
.LBB1116_76:
	s_or_b64 exec, exec, s[0:1]
	s_and_saveexec_b64 s[0:1], s[44:45]
	s_cbranch_execnz .LBB1116_101
.LBB1116_77:
	s_or_b64 exec, exec, s[0:1]
	s_and_saveexec_b64 s[0:1], s[46:47]
	s_cbranch_execnz .LBB1116_102
.LBB1116_78:
	s_endpgm
.LBB1116_79:
	ds_read_u16 v14, v14
	s_waitcnt lgkmcnt(0)
	global_store_short v[0:1], v14, off
	s_or_b64 exec, exec, s[4:5]
	s_and_saveexec_b64 s[4:5], s[0:1]
	s_cbranch_execz .LBB1116_56
.LBB1116_80:
	s_waitcnt lgkmcnt(14)
	global_store_short v[0:1], v25, off offset:128
	s_or_b64 exec, exec, s[4:5]
	s_and_saveexec_b64 s[0:1], s[2:3]
	s_cbranch_execz .LBB1116_57
.LBB1116_81:
	s_waitcnt lgkmcnt(14)
	global_store_short v[0:1], v24, off offset:256
	s_or_b64 exec, exec, s[0:1]
	s_and_saveexec_b64 s[0:1], s[48:49]
	s_cbranch_execz .LBB1116_58
.LBB1116_82:
	s_waitcnt lgkmcnt(14)
	global_store_short v[0:1], v23, off offset:384
	s_or_b64 exec, exec, s[0:1]
	s_and_saveexec_b64 s[0:1], s[6:7]
	s_cbranch_execz .LBB1116_59
.LBB1116_83:
	s_waitcnt lgkmcnt(14)
	global_store_short v[0:1], v22, off offset:512
	s_or_b64 exec, exec, s[0:1]
	s_and_saveexec_b64 s[0:1], s[8:9]
	s_cbranch_execz .LBB1116_60
.LBB1116_84:
	s_waitcnt lgkmcnt(14)
	global_store_short v[0:1], v21, off offset:640
	s_or_b64 exec, exec, s[0:1]
	s_and_saveexec_b64 s[0:1], s[10:11]
	s_cbranch_execz .LBB1116_61
.LBB1116_85:
	s_waitcnt lgkmcnt(14)
	global_store_short v[0:1], v20, off offset:768
	s_or_b64 exec, exec, s[0:1]
	s_and_saveexec_b64 s[0:1], s[12:13]
	s_cbranch_execz .LBB1116_62
.LBB1116_86:
	s_waitcnt lgkmcnt(14)
	global_store_short v[0:1], v19, off offset:896
	s_or_b64 exec, exec, s[0:1]
	s_and_saveexec_b64 s[0:1], s[14:15]
	s_cbranch_execz .LBB1116_63
.LBB1116_87:
	s_waitcnt lgkmcnt(14)
	global_store_short v[0:1], v18, off offset:1024
	s_or_b64 exec, exec, s[0:1]
	s_and_saveexec_b64 s[0:1], s[16:17]
	s_cbranch_execz .LBB1116_64
.LBB1116_88:
	s_waitcnt lgkmcnt(14)
	global_store_short v[0:1], v17, off offset:1152
	s_or_b64 exec, exec, s[0:1]
	s_and_saveexec_b64 s[0:1], s[18:19]
	s_cbranch_execz .LBB1116_65
.LBB1116_89:
	s_waitcnt lgkmcnt(13)
	global_store_short v[0:1], v16, off offset:1280
	s_or_b64 exec, exec, s[0:1]
	s_and_saveexec_b64 s[0:1], s[20:21]
	s_cbranch_execz .LBB1116_66
.LBB1116_90:
	s_waitcnt lgkmcnt(12)
	global_store_short v[0:1], v15, off offset:1408
	s_or_b64 exec, exec, s[0:1]
	s_and_saveexec_b64 s[0:1], s[22:23]
	s_cbranch_execz .LBB1116_67
.LBB1116_91:
	s_waitcnt lgkmcnt(11)
	global_store_short v[0:1], v13, off offset:1536
	s_or_b64 exec, exec, s[0:1]
	s_and_saveexec_b64 s[0:1], s[24:25]
	s_cbranch_execz .LBB1116_68
.LBB1116_92:
	s_waitcnt lgkmcnt(10)
	global_store_short v[0:1], v12, off offset:1664
	s_or_b64 exec, exec, s[0:1]
	s_and_saveexec_b64 s[0:1], s[26:27]
	s_cbranch_execz .LBB1116_69
.LBB1116_93:
	s_waitcnt lgkmcnt(9)
	global_store_short v[0:1], v11, off offset:1792
	s_or_b64 exec, exec, s[0:1]
	s_and_saveexec_b64 s[0:1], s[28:29]
	s_cbranch_execz .LBB1116_70
.LBB1116_94:
	s_waitcnt lgkmcnt(8)
	global_store_short v[0:1], v10, off offset:1920
	s_or_b64 exec, exec, s[0:1]
	s_and_saveexec_b64 s[0:1], s[30:31]
	s_cbranch_execz .LBB1116_71
.LBB1116_95:
	s_waitcnt lgkmcnt(7)
	global_store_short v[0:1], v9, off offset:2048
	s_or_b64 exec, exec, s[0:1]
	s_and_saveexec_b64 s[0:1], s[34:35]
	s_cbranch_execz .LBB1116_72
.LBB1116_96:
	s_waitcnt lgkmcnt(6)
	global_store_short v[0:1], v8, off offset:2176
	s_or_b64 exec, exec, s[0:1]
	s_and_saveexec_b64 s[0:1], s[36:37]
	s_cbranch_execz .LBB1116_73
.LBB1116_97:
	s_waitcnt lgkmcnt(5)
	global_store_short v[0:1], v7, off offset:2304
	s_or_b64 exec, exec, s[0:1]
	s_and_saveexec_b64 s[0:1], s[38:39]
	s_cbranch_execz .LBB1116_74
.LBB1116_98:
	s_waitcnt lgkmcnt(4)
	global_store_short v[0:1], v6, off offset:2432
	s_or_b64 exec, exec, s[0:1]
	s_and_saveexec_b64 s[0:1], s[40:41]
	s_cbranch_execz .LBB1116_75
.LBB1116_99:
	s_waitcnt lgkmcnt(3)
	global_store_short v[0:1], v5, off offset:2560
	s_or_b64 exec, exec, s[0:1]
	s_and_saveexec_b64 s[0:1], s[42:43]
	s_cbranch_execz .LBB1116_76
.LBB1116_100:
	s_waitcnt lgkmcnt(2)
	global_store_short v[0:1], v4, off offset:2688
	s_or_b64 exec, exec, s[0:1]
	s_and_saveexec_b64 s[0:1], s[44:45]
	s_cbranch_execz .LBB1116_77
.LBB1116_101:
	s_waitcnt lgkmcnt(1)
	global_store_short v[0:1], v3, off offset:2816
	s_or_b64 exec, exec, s[0:1]
	s_and_saveexec_b64 s[0:1], s[46:47]
	s_cbranch_execz .LBB1116_78
.LBB1116_102:
	s_waitcnt lgkmcnt(0)
	global_store_short v[0:1], v2, off offset:2944
	s_endpgm
	.section	.rodata,"a",@progbits
	.p2align	6, 0x0
	.amdhsa_kernel _ZN7rocprim17ROCPRIM_400000_NS6detail17trampoline_kernelINS0_14default_configENS1_20scan_config_selectorIsEEZZNS1_9scan_implILNS1_25lookback_scan_determinismE0ELb0ELb0ES3_N6thrust23THRUST_200600_302600_NS6detail15normal_iteratorINS9_10device_ptrIsEEEESE_sNS9_4plusIsEEsEEDaPvRmT3_T4_T5_mT6_P12ihipStream_tbENKUlT_T0_E_clISt17integral_constantIbLb0EEST_IbLb1EEEEDaSP_SQ_EUlSP_E0_NS1_11comp_targetILNS1_3genE4ELNS1_11target_archE910ELNS1_3gpuE8ELNS1_3repE0EEENS1_30default_config_static_selectorELNS0_4arch9wavefront6targetE1EEEvT1_
		.amdhsa_group_segment_fixed_size 3072
		.amdhsa_private_segment_fixed_size 0
		.amdhsa_kernarg_size 32
		.amdhsa_user_sgpr_count 6
		.amdhsa_user_sgpr_private_segment_buffer 1
		.amdhsa_user_sgpr_dispatch_ptr 0
		.amdhsa_user_sgpr_queue_ptr 0
		.amdhsa_user_sgpr_kernarg_segment_ptr 1
		.amdhsa_user_sgpr_dispatch_id 0
		.amdhsa_user_sgpr_flat_scratch_init 0
		.amdhsa_user_sgpr_kernarg_preload_length 0
		.amdhsa_user_sgpr_kernarg_preload_offset 0
		.amdhsa_user_sgpr_private_segment_size 0
		.amdhsa_uses_dynamic_stack 0
		.amdhsa_system_sgpr_private_segment_wavefront_offset 0
		.amdhsa_system_sgpr_workgroup_id_x 1
		.amdhsa_system_sgpr_workgroup_id_y 0
		.amdhsa_system_sgpr_workgroup_id_z 0
		.amdhsa_system_sgpr_workgroup_info 0
		.amdhsa_system_vgpr_workitem_id 0
		.amdhsa_next_free_vgpr 42
		.amdhsa_next_free_sgpr 56
		.amdhsa_accum_offset 44
		.amdhsa_reserve_vcc 1
		.amdhsa_reserve_flat_scratch 0
		.amdhsa_float_round_mode_32 0
		.amdhsa_float_round_mode_16_64 0
		.amdhsa_float_denorm_mode_32 3
		.amdhsa_float_denorm_mode_16_64 3
		.amdhsa_dx10_clamp 1
		.amdhsa_ieee_mode 1
		.amdhsa_fp16_overflow 0
		.amdhsa_tg_split 0
		.amdhsa_exception_fp_ieee_invalid_op 0
		.amdhsa_exception_fp_denorm_src 0
		.amdhsa_exception_fp_ieee_div_zero 0
		.amdhsa_exception_fp_ieee_overflow 0
		.amdhsa_exception_fp_ieee_underflow 0
		.amdhsa_exception_fp_ieee_inexact 0
		.amdhsa_exception_int_div_zero 0
	.end_amdhsa_kernel
	.section	.text._ZN7rocprim17ROCPRIM_400000_NS6detail17trampoline_kernelINS0_14default_configENS1_20scan_config_selectorIsEEZZNS1_9scan_implILNS1_25lookback_scan_determinismE0ELb0ELb0ES3_N6thrust23THRUST_200600_302600_NS6detail15normal_iteratorINS9_10device_ptrIsEEEESE_sNS9_4plusIsEEsEEDaPvRmT3_T4_T5_mT6_P12ihipStream_tbENKUlT_T0_E_clISt17integral_constantIbLb0EEST_IbLb1EEEEDaSP_SQ_EUlSP_E0_NS1_11comp_targetILNS1_3genE4ELNS1_11target_archE910ELNS1_3gpuE8ELNS1_3repE0EEENS1_30default_config_static_selectorELNS0_4arch9wavefront6targetE1EEEvT1_,"axG",@progbits,_ZN7rocprim17ROCPRIM_400000_NS6detail17trampoline_kernelINS0_14default_configENS1_20scan_config_selectorIsEEZZNS1_9scan_implILNS1_25lookback_scan_determinismE0ELb0ELb0ES3_N6thrust23THRUST_200600_302600_NS6detail15normal_iteratorINS9_10device_ptrIsEEEESE_sNS9_4plusIsEEsEEDaPvRmT3_T4_T5_mT6_P12ihipStream_tbENKUlT_T0_E_clISt17integral_constantIbLb0EEST_IbLb1EEEEDaSP_SQ_EUlSP_E0_NS1_11comp_targetILNS1_3genE4ELNS1_11target_archE910ELNS1_3gpuE8ELNS1_3repE0EEENS1_30default_config_static_selectorELNS0_4arch9wavefront6targetE1EEEvT1_,comdat
.Lfunc_end1116:
	.size	_ZN7rocprim17ROCPRIM_400000_NS6detail17trampoline_kernelINS0_14default_configENS1_20scan_config_selectorIsEEZZNS1_9scan_implILNS1_25lookback_scan_determinismE0ELb0ELb0ES3_N6thrust23THRUST_200600_302600_NS6detail15normal_iteratorINS9_10device_ptrIsEEEESE_sNS9_4plusIsEEsEEDaPvRmT3_T4_T5_mT6_P12ihipStream_tbENKUlT_T0_E_clISt17integral_constantIbLb0EEST_IbLb1EEEEDaSP_SQ_EUlSP_E0_NS1_11comp_targetILNS1_3genE4ELNS1_11target_archE910ELNS1_3gpuE8ELNS1_3repE0EEENS1_30default_config_static_selectorELNS0_4arch9wavefront6targetE1EEEvT1_, .Lfunc_end1116-_ZN7rocprim17ROCPRIM_400000_NS6detail17trampoline_kernelINS0_14default_configENS1_20scan_config_selectorIsEEZZNS1_9scan_implILNS1_25lookback_scan_determinismE0ELb0ELb0ES3_N6thrust23THRUST_200600_302600_NS6detail15normal_iteratorINS9_10device_ptrIsEEEESE_sNS9_4plusIsEEsEEDaPvRmT3_T4_T5_mT6_P12ihipStream_tbENKUlT_T0_E_clISt17integral_constantIbLb0EEST_IbLb1EEEEDaSP_SQ_EUlSP_E0_NS1_11comp_targetILNS1_3genE4ELNS1_11target_archE910ELNS1_3gpuE8ELNS1_3repE0EEENS1_30default_config_static_selectorELNS0_4arch9wavefront6targetE1EEEvT1_
                                        ; -- End function
	.section	.AMDGPU.csdata,"",@progbits
; Kernel info:
; codeLenInByte = 3068
; NumSgprs: 60
; NumVgprs: 42
; NumAgprs: 0
; TotalNumVgprs: 42
; ScratchSize: 0
; MemoryBound: 0
; FloatMode: 240
; IeeeMode: 1
; LDSByteSize: 3072 bytes/workgroup (compile time only)
; SGPRBlocks: 7
; VGPRBlocks: 5
; NumSGPRsForWavesPerEU: 60
; NumVGPRsForWavesPerEU: 42
; AccumOffset: 44
; Occupancy: 6
; WaveLimiterHint : 0
; COMPUTE_PGM_RSRC2:SCRATCH_EN: 0
; COMPUTE_PGM_RSRC2:USER_SGPR: 6
; COMPUTE_PGM_RSRC2:TRAP_HANDLER: 0
; COMPUTE_PGM_RSRC2:TGID_X_EN: 1
; COMPUTE_PGM_RSRC2:TGID_Y_EN: 0
; COMPUTE_PGM_RSRC2:TGID_Z_EN: 0
; COMPUTE_PGM_RSRC2:TIDIG_COMP_CNT: 0
; COMPUTE_PGM_RSRC3_GFX90A:ACCUM_OFFSET: 10
; COMPUTE_PGM_RSRC3_GFX90A:TG_SPLIT: 0
	.section	.text._ZN7rocprim17ROCPRIM_400000_NS6detail17trampoline_kernelINS0_14default_configENS1_20scan_config_selectorIsEEZZNS1_9scan_implILNS1_25lookback_scan_determinismE0ELb0ELb0ES3_N6thrust23THRUST_200600_302600_NS6detail15normal_iteratorINS9_10device_ptrIsEEEESE_sNS9_4plusIsEEsEEDaPvRmT3_T4_T5_mT6_P12ihipStream_tbENKUlT_T0_E_clISt17integral_constantIbLb0EEST_IbLb1EEEEDaSP_SQ_EUlSP_E0_NS1_11comp_targetILNS1_3genE3ELNS1_11target_archE908ELNS1_3gpuE7ELNS1_3repE0EEENS1_30default_config_static_selectorELNS0_4arch9wavefront6targetE1EEEvT1_,"axG",@progbits,_ZN7rocprim17ROCPRIM_400000_NS6detail17trampoline_kernelINS0_14default_configENS1_20scan_config_selectorIsEEZZNS1_9scan_implILNS1_25lookback_scan_determinismE0ELb0ELb0ES3_N6thrust23THRUST_200600_302600_NS6detail15normal_iteratorINS9_10device_ptrIsEEEESE_sNS9_4plusIsEEsEEDaPvRmT3_T4_T5_mT6_P12ihipStream_tbENKUlT_T0_E_clISt17integral_constantIbLb0EEST_IbLb1EEEEDaSP_SQ_EUlSP_E0_NS1_11comp_targetILNS1_3genE3ELNS1_11target_archE908ELNS1_3gpuE7ELNS1_3repE0EEENS1_30default_config_static_selectorELNS0_4arch9wavefront6targetE1EEEvT1_,comdat
	.protected	_ZN7rocprim17ROCPRIM_400000_NS6detail17trampoline_kernelINS0_14default_configENS1_20scan_config_selectorIsEEZZNS1_9scan_implILNS1_25lookback_scan_determinismE0ELb0ELb0ES3_N6thrust23THRUST_200600_302600_NS6detail15normal_iteratorINS9_10device_ptrIsEEEESE_sNS9_4plusIsEEsEEDaPvRmT3_T4_T5_mT6_P12ihipStream_tbENKUlT_T0_E_clISt17integral_constantIbLb0EEST_IbLb1EEEEDaSP_SQ_EUlSP_E0_NS1_11comp_targetILNS1_3genE3ELNS1_11target_archE908ELNS1_3gpuE7ELNS1_3repE0EEENS1_30default_config_static_selectorELNS0_4arch9wavefront6targetE1EEEvT1_ ; -- Begin function _ZN7rocprim17ROCPRIM_400000_NS6detail17trampoline_kernelINS0_14default_configENS1_20scan_config_selectorIsEEZZNS1_9scan_implILNS1_25lookback_scan_determinismE0ELb0ELb0ES3_N6thrust23THRUST_200600_302600_NS6detail15normal_iteratorINS9_10device_ptrIsEEEESE_sNS9_4plusIsEEsEEDaPvRmT3_T4_T5_mT6_P12ihipStream_tbENKUlT_T0_E_clISt17integral_constantIbLb0EEST_IbLb1EEEEDaSP_SQ_EUlSP_E0_NS1_11comp_targetILNS1_3genE3ELNS1_11target_archE908ELNS1_3gpuE7ELNS1_3repE0EEENS1_30default_config_static_selectorELNS0_4arch9wavefront6targetE1EEEvT1_
	.globl	_ZN7rocprim17ROCPRIM_400000_NS6detail17trampoline_kernelINS0_14default_configENS1_20scan_config_selectorIsEEZZNS1_9scan_implILNS1_25lookback_scan_determinismE0ELb0ELb0ES3_N6thrust23THRUST_200600_302600_NS6detail15normal_iteratorINS9_10device_ptrIsEEEESE_sNS9_4plusIsEEsEEDaPvRmT3_T4_T5_mT6_P12ihipStream_tbENKUlT_T0_E_clISt17integral_constantIbLb0EEST_IbLb1EEEEDaSP_SQ_EUlSP_E0_NS1_11comp_targetILNS1_3genE3ELNS1_11target_archE908ELNS1_3gpuE7ELNS1_3repE0EEENS1_30default_config_static_selectorELNS0_4arch9wavefront6targetE1EEEvT1_
	.p2align	8
	.type	_ZN7rocprim17ROCPRIM_400000_NS6detail17trampoline_kernelINS0_14default_configENS1_20scan_config_selectorIsEEZZNS1_9scan_implILNS1_25lookback_scan_determinismE0ELb0ELb0ES3_N6thrust23THRUST_200600_302600_NS6detail15normal_iteratorINS9_10device_ptrIsEEEESE_sNS9_4plusIsEEsEEDaPvRmT3_T4_T5_mT6_P12ihipStream_tbENKUlT_T0_E_clISt17integral_constantIbLb0EEST_IbLb1EEEEDaSP_SQ_EUlSP_E0_NS1_11comp_targetILNS1_3genE3ELNS1_11target_archE908ELNS1_3gpuE7ELNS1_3repE0EEENS1_30default_config_static_selectorELNS0_4arch9wavefront6targetE1EEEvT1_,@function
_ZN7rocprim17ROCPRIM_400000_NS6detail17trampoline_kernelINS0_14default_configENS1_20scan_config_selectorIsEEZZNS1_9scan_implILNS1_25lookback_scan_determinismE0ELb0ELb0ES3_N6thrust23THRUST_200600_302600_NS6detail15normal_iteratorINS9_10device_ptrIsEEEESE_sNS9_4plusIsEEsEEDaPvRmT3_T4_T5_mT6_P12ihipStream_tbENKUlT_T0_E_clISt17integral_constantIbLb0EEST_IbLb1EEEEDaSP_SQ_EUlSP_E0_NS1_11comp_targetILNS1_3genE3ELNS1_11target_archE908ELNS1_3gpuE7ELNS1_3repE0EEENS1_30default_config_static_selectorELNS0_4arch9wavefront6targetE1EEEvT1_: ; @_ZN7rocprim17ROCPRIM_400000_NS6detail17trampoline_kernelINS0_14default_configENS1_20scan_config_selectorIsEEZZNS1_9scan_implILNS1_25lookback_scan_determinismE0ELb0ELb0ES3_N6thrust23THRUST_200600_302600_NS6detail15normal_iteratorINS9_10device_ptrIsEEEESE_sNS9_4plusIsEEsEEDaPvRmT3_T4_T5_mT6_P12ihipStream_tbENKUlT_T0_E_clISt17integral_constantIbLb0EEST_IbLb1EEEEDaSP_SQ_EUlSP_E0_NS1_11comp_targetILNS1_3genE3ELNS1_11target_archE908ELNS1_3gpuE7ELNS1_3repE0EEENS1_30default_config_static_selectorELNS0_4arch9wavefront6targetE1EEEvT1_
; %bb.0:
	.section	.rodata,"a",@progbits
	.p2align	6, 0x0
	.amdhsa_kernel _ZN7rocprim17ROCPRIM_400000_NS6detail17trampoline_kernelINS0_14default_configENS1_20scan_config_selectorIsEEZZNS1_9scan_implILNS1_25lookback_scan_determinismE0ELb0ELb0ES3_N6thrust23THRUST_200600_302600_NS6detail15normal_iteratorINS9_10device_ptrIsEEEESE_sNS9_4plusIsEEsEEDaPvRmT3_T4_T5_mT6_P12ihipStream_tbENKUlT_T0_E_clISt17integral_constantIbLb0EEST_IbLb1EEEEDaSP_SQ_EUlSP_E0_NS1_11comp_targetILNS1_3genE3ELNS1_11target_archE908ELNS1_3gpuE7ELNS1_3repE0EEENS1_30default_config_static_selectorELNS0_4arch9wavefront6targetE1EEEvT1_
		.amdhsa_group_segment_fixed_size 0
		.amdhsa_private_segment_fixed_size 0
		.amdhsa_kernarg_size 32
		.amdhsa_user_sgpr_count 6
		.amdhsa_user_sgpr_private_segment_buffer 1
		.amdhsa_user_sgpr_dispatch_ptr 0
		.amdhsa_user_sgpr_queue_ptr 0
		.amdhsa_user_sgpr_kernarg_segment_ptr 1
		.amdhsa_user_sgpr_dispatch_id 0
		.amdhsa_user_sgpr_flat_scratch_init 0
		.amdhsa_user_sgpr_kernarg_preload_length 0
		.amdhsa_user_sgpr_kernarg_preload_offset 0
		.amdhsa_user_sgpr_private_segment_size 0
		.amdhsa_uses_dynamic_stack 0
		.amdhsa_system_sgpr_private_segment_wavefront_offset 0
		.amdhsa_system_sgpr_workgroup_id_x 1
		.amdhsa_system_sgpr_workgroup_id_y 0
		.amdhsa_system_sgpr_workgroup_id_z 0
		.amdhsa_system_sgpr_workgroup_info 0
		.amdhsa_system_vgpr_workitem_id 0
		.amdhsa_next_free_vgpr 1
		.amdhsa_next_free_sgpr 0
		.amdhsa_accum_offset 4
		.amdhsa_reserve_vcc 0
		.amdhsa_reserve_flat_scratch 0
		.amdhsa_float_round_mode_32 0
		.amdhsa_float_round_mode_16_64 0
		.amdhsa_float_denorm_mode_32 3
		.amdhsa_float_denorm_mode_16_64 3
		.amdhsa_dx10_clamp 1
		.amdhsa_ieee_mode 1
		.amdhsa_fp16_overflow 0
		.amdhsa_tg_split 0
		.amdhsa_exception_fp_ieee_invalid_op 0
		.amdhsa_exception_fp_denorm_src 0
		.amdhsa_exception_fp_ieee_div_zero 0
		.amdhsa_exception_fp_ieee_overflow 0
		.amdhsa_exception_fp_ieee_underflow 0
		.amdhsa_exception_fp_ieee_inexact 0
		.amdhsa_exception_int_div_zero 0
	.end_amdhsa_kernel
	.section	.text._ZN7rocprim17ROCPRIM_400000_NS6detail17trampoline_kernelINS0_14default_configENS1_20scan_config_selectorIsEEZZNS1_9scan_implILNS1_25lookback_scan_determinismE0ELb0ELb0ES3_N6thrust23THRUST_200600_302600_NS6detail15normal_iteratorINS9_10device_ptrIsEEEESE_sNS9_4plusIsEEsEEDaPvRmT3_T4_T5_mT6_P12ihipStream_tbENKUlT_T0_E_clISt17integral_constantIbLb0EEST_IbLb1EEEEDaSP_SQ_EUlSP_E0_NS1_11comp_targetILNS1_3genE3ELNS1_11target_archE908ELNS1_3gpuE7ELNS1_3repE0EEENS1_30default_config_static_selectorELNS0_4arch9wavefront6targetE1EEEvT1_,"axG",@progbits,_ZN7rocprim17ROCPRIM_400000_NS6detail17trampoline_kernelINS0_14default_configENS1_20scan_config_selectorIsEEZZNS1_9scan_implILNS1_25lookback_scan_determinismE0ELb0ELb0ES3_N6thrust23THRUST_200600_302600_NS6detail15normal_iteratorINS9_10device_ptrIsEEEESE_sNS9_4plusIsEEsEEDaPvRmT3_T4_T5_mT6_P12ihipStream_tbENKUlT_T0_E_clISt17integral_constantIbLb0EEST_IbLb1EEEEDaSP_SQ_EUlSP_E0_NS1_11comp_targetILNS1_3genE3ELNS1_11target_archE908ELNS1_3gpuE7ELNS1_3repE0EEENS1_30default_config_static_selectorELNS0_4arch9wavefront6targetE1EEEvT1_,comdat
.Lfunc_end1117:
	.size	_ZN7rocprim17ROCPRIM_400000_NS6detail17trampoline_kernelINS0_14default_configENS1_20scan_config_selectorIsEEZZNS1_9scan_implILNS1_25lookback_scan_determinismE0ELb0ELb0ES3_N6thrust23THRUST_200600_302600_NS6detail15normal_iteratorINS9_10device_ptrIsEEEESE_sNS9_4plusIsEEsEEDaPvRmT3_T4_T5_mT6_P12ihipStream_tbENKUlT_T0_E_clISt17integral_constantIbLb0EEST_IbLb1EEEEDaSP_SQ_EUlSP_E0_NS1_11comp_targetILNS1_3genE3ELNS1_11target_archE908ELNS1_3gpuE7ELNS1_3repE0EEENS1_30default_config_static_selectorELNS0_4arch9wavefront6targetE1EEEvT1_, .Lfunc_end1117-_ZN7rocprim17ROCPRIM_400000_NS6detail17trampoline_kernelINS0_14default_configENS1_20scan_config_selectorIsEEZZNS1_9scan_implILNS1_25lookback_scan_determinismE0ELb0ELb0ES3_N6thrust23THRUST_200600_302600_NS6detail15normal_iteratorINS9_10device_ptrIsEEEESE_sNS9_4plusIsEEsEEDaPvRmT3_T4_T5_mT6_P12ihipStream_tbENKUlT_T0_E_clISt17integral_constantIbLb0EEST_IbLb1EEEEDaSP_SQ_EUlSP_E0_NS1_11comp_targetILNS1_3genE3ELNS1_11target_archE908ELNS1_3gpuE7ELNS1_3repE0EEENS1_30default_config_static_selectorELNS0_4arch9wavefront6targetE1EEEvT1_
                                        ; -- End function
	.section	.AMDGPU.csdata,"",@progbits
; Kernel info:
; codeLenInByte = 0
; NumSgprs: 4
; NumVgprs: 0
; NumAgprs: 0
; TotalNumVgprs: 0
; ScratchSize: 0
; MemoryBound: 0
; FloatMode: 240
; IeeeMode: 1
; LDSByteSize: 0 bytes/workgroup (compile time only)
; SGPRBlocks: 0
; VGPRBlocks: 0
; NumSGPRsForWavesPerEU: 4
; NumVGPRsForWavesPerEU: 1
; AccumOffset: 4
; Occupancy: 8
; WaveLimiterHint : 0
; COMPUTE_PGM_RSRC2:SCRATCH_EN: 0
; COMPUTE_PGM_RSRC2:USER_SGPR: 6
; COMPUTE_PGM_RSRC2:TRAP_HANDLER: 0
; COMPUTE_PGM_RSRC2:TGID_X_EN: 1
; COMPUTE_PGM_RSRC2:TGID_Y_EN: 0
; COMPUTE_PGM_RSRC2:TGID_Z_EN: 0
; COMPUTE_PGM_RSRC2:TIDIG_COMP_CNT: 0
; COMPUTE_PGM_RSRC3_GFX90A:ACCUM_OFFSET: 0
; COMPUTE_PGM_RSRC3_GFX90A:TG_SPLIT: 0
	.section	.text._ZN7rocprim17ROCPRIM_400000_NS6detail17trampoline_kernelINS0_14default_configENS1_20scan_config_selectorIsEEZZNS1_9scan_implILNS1_25lookback_scan_determinismE0ELb0ELb0ES3_N6thrust23THRUST_200600_302600_NS6detail15normal_iteratorINS9_10device_ptrIsEEEESE_sNS9_4plusIsEEsEEDaPvRmT3_T4_T5_mT6_P12ihipStream_tbENKUlT_T0_E_clISt17integral_constantIbLb0EEST_IbLb1EEEEDaSP_SQ_EUlSP_E0_NS1_11comp_targetILNS1_3genE2ELNS1_11target_archE906ELNS1_3gpuE6ELNS1_3repE0EEENS1_30default_config_static_selectorELNS0_4arch9wavefront6targetE1EEEvT1_,"axG",@progbits,_ZN7rocprim17ROCPRIM_400000_NS6detail17trampoline_kernelINS0_14default_configENS1_20scan_config_selectorIsEEZZNS1_9scan_implILNS1_25lookback_scan_determinismE0ELb0ELb0ES3_N6thrust23THRUST_200600_302600_NS6detail15normal_iteratorINS9_10device_ptrIsEEEESE_sNS9_4plusIsEEsEEDaPvRmT3_T4_T5_mT6_P12ihipStream_tbENKUlT_T0_E_clISt17integral_constantIbLb0EEST_IbLb1EEEEDaSP_SQ_EUlSP_E0_NS1_11comp_targetILNS1_3genE2ELNS1_11target_archE906ELNS1_3gpuE6ELNS1_3repE0EEENS1_30default_config_static_selectorELNS0_4arch9wavefront6targetE1EEEvT1_,comdat
	.protected	_ZN7rocprim17ROCPRIM_400000_NS6detail17trampoline_kernelINS0_14default_configENS1_20scan_config_selectorIsEEZZNS1_9scan_implILNS1_25lookback_scan_determinismE0ELb0ELb0ES3_N6thrust23THRUST_200600_302600_NS6detail15normal_iteratorINS9_10device_ptrIsEEEESE_sNS9_4plusIsEEsEEDaPvRmT3_T4_T5_mT6_P12ihipStream_tbENKUlT_T0_E_clISt17integral_constantIbLb0EEST_IbLb1EEEEDaSP_SQ_EUlSP_E0_NS1_11comp_targetILNS1_3genE2ELNS1_11target_archE906ELNS1_3gpuE6ELNS1_3repE0EEENS1_30default_config_static_selectorELNS0_4arch9wavefront6targetE1EEEvT1_ ; -- Begin function _ZN7rocprim17ROCPRIM_400000_NS6detail17trampoline_kernelINS0_14default_configENS1_20scan_config_selectorIsEEZZNS1_9scan_implILNS1_25lookback_scan_determinismE0ELb0ELb0ES3_N6thrust23THRUST_200600_302600_NS6detail15normal_iteratorINS9_10device_ptrIsEEEESE_sNS9_4plusIsEEsEEDaPvRmT3_T4_T5_mT6_P12ihipStream_tbENKUlT_T0_E_clISt17integral_constantIbLb0EEST_IbLb1EEEEDaSP_SQ_EUlSP_E0_NS1_11comp_targetILNS1_3genE2ELNS1_11target_archE906ELNS1_3gpuE6ELNS1_3repE0EEENS1_30default_config_static_selectorELNS0_4arch9wavefront6targetE1EEEvT1_
	.globl	_ZN7rocprim17ROCPRIM_400000_NS6detail17trampoline_kernelINS0_14default_configENS1_20scan_config_selectorIsEEZZNS1_9scan_implILNS1_25lookback_scan_determinismE0ELb0ELb0ES3_N6thrust23THRUST_200600_302600_NS6detail15normal_iteratorINS9_10device_ptrIsEEEESE_sNS9_4plusIsEEsEEDaPvRmT3_T4_T5_mT6_P12ihipStream_tbENKUlT_T0_E_clISt17integral_constantIbLb0EEST_IbLb1EEEEDaSP_SQ_EUlSP_E0_NS1_11comp_targetILNS1_3genE2ELNS1_11target_archE906ELNS1_3gpuE6ELNS1_3repE0EEENS1_30default_config_static_selectorELNS0_4arch9wavefront6targetE1EEEvT1_
	.p2align	8
	.type	_ZN7rocprim17ROCPRIM_400000_NS6detail17trampoline_kernelINS0_14default_configENS1_20scan_config_selectorIsEEZZNS1_9scan_implILNS1_25lookback_scan_determinismE0ELb0ELb0ES3_N6thrust23THRUST_200600_302600_NS6detail15normal_iteratorINS9_10device_ptrIsEEEESE_sNS9_4plusIsEEsEEDaPvRmT3_T4_T5_mT6_P12ihipStream_tbENKUlT_T0_E_clISt17integral_constantIbLb0EEST_IbLb1EEEEDaSP_SQ_EUlSP_E0_NS1_11comp_targetILNS1_3genE2ELNS1_11target_archE906ELNS1_3gpuE6ELNS1_3repE0EEENS1_30default_config_static_selectorELNS0_4arch9wavefront6targetE1EEEvT1_,@function
_ZN7rocprim17ROCPRIM_400000_NS6detail17trampoline_kernelINS0_14default_configENS1_20scan_config_selectorIsEEZZNS1_9scan_implILNS1_25lookback_scan_determinismE0ELb0ELb0ES3_N6thrust23THRUST_200600_302600_NS6detail15normal_iteratorINS9_10device_ptrIsEEEESE_sNS9_4plusIsEEsEEDaPvRmT3_T4_T5_mT6_P12ihipStream_tbENKUlT_T0_E_clISt17integral_constantIbLb0EEST_IbLb1EEEEDaSP_SQ_EUlSP_E0_NS1_11comp_targetILNS1_3genE2ELNS1_11target_archE906ELNS1_3gpuE6ELNS1_3repE0EEENS1_30default_config_static_selectorELNS0_4arch9wavefront6targetE1EEEvT1_: ; @_ZN7rocprim17ROCPRIM_400000_NS6detail17trampoline_kernelINS0_14default_configENS1_20scan_config_selectorIsEEZZNS1_9scan_implILNS1_25lookback_scan_determinismE0ELb0ELb0ES3_N6thrust23THRUST_200600_302600_NS6detail15normal_iteratorINS9_10device_ptrIsEEEESE_sNS9_4plusIsEEsEEDaPvRmT3_T4_T5_mT6_P12ihipStream_tbENKUlT_T0_E_clISt17integral_constantIbLb0EEST_IbLb1EEEEDaSP_SQ_EUlSP_E0_NS1_11comp_targetILNS1_3genE2ELNS1_11target_archE906ELNS1_3gpuE6ELNS1_3repE0EEENS1_30default_config_static_selectorELNS0_4arch9wavefront6targetE1EEEvT1_
; %bb.0:
	.section	.rodata,"a",@progbits
	.p2align	6, 0x0
	.amdhsa_kernel _ZN7rocprim17ROCPRIM_400000_NS6detail17trampoline_kernelINS0_14default_configENS1_20scan_config_selectorIsEEZZNS1_9scan_implILNS1_25lookback_scan_determinismE0ELb0ELb0ES3_N6thrust23THRUST_200600_302600_NS6detail15normal_iteratorINS9_10device_ptrIsEEEESE_sNS9_4plusIsEEsEEDaPvRmT3_T4_T5_mT6_P12ihipStream_tbENKUlT_T0_E_clISt17integral_constantIbLb0EEST_IbLb1EEEEDaSP_SQ_EUlSP_E0_NS1_11comp_targetILNS1_3genE2ELNS1_11target_archE906ELNS1_3gpuE6ELNS1_3repE0EEENS1_30default_config_static_selectorELNS0_4arch9wavefront6targetE1EEEvT1_
		.amdhsa_group_segment_fixed_size 0
		.amdhsa_private_segment_fixed_size 0
		.amdhsa_kernarg_size 32
		.amdhsa_user_sgpr_count 6
		.amdhsa_user_sgpr_private_segment_buffer 1
		.amdhsa_user_sgpr_dispatch_ptr 0
		.amdhsa_user_sgpr_queue_ptr 0
		.amdhsa_user_sgpr_kernarg_segment_ptr 1
		.amdhsa_user_sgpr_dispatch_id 0
		.amdhsa_user_sgpr_flat_scratch_init 0
		.amdhsa_user_sgpr_kernarg_preload_length 0
		.amdhsa_user_sgpr_kernarg_preload_offset 0
		.amdhsa_user_sgpr_private_segment_size 0
		.amdhsa_uses_dynamic_stack 0
		.amdhsa_system_sgpr_private_segment_wavefront_offset 0
		.amdhsa_system_sgpr_workgroup_id_x 1
		.amdhsa_system_sgpr_workgroup_id_y 0
		.amdhsa_system_sgpr_workgroup_id_z 0
		.amdhsa_system_sgpr_workgroup_info 0
		.amdhsa_system_vgpr_workitem_id 0
		.amdhsa_next_free_vgpr 1
		.amdhsa_next_free_sgpr 0
		.amdhsa_accum_offset 4
		.amdhsa_reserve_vcc 0
		.amdhsa_reserve_flat_scratch 0
		.amdhsa_float_round_mode_32 0
		.amdhsa_float_round_mode_16_64 0
		.amdhsa_float_denorm_mode_32 3
		.amdhsa_float_denorm_mode_16_64 3
		.amdhsa_dx10_clamp 1
		.amdhsa_ieee_mode 1
		.amdhsa_fp16_overflow 0
		.amdhsa_tg_split 0
		.amdhsa_exception_fp_ieee_invalid_op 0
		.amdhsa_exception_fp_denorm_src 0
		.amdhsa_exception_fp_ieee_div_zero 0
		.amdhsa_exception_fp_ieee_overflow 0
		.amdhsa_exception_fp_ieee_underflow 0
		.amdhsa_exception_fp_ieee_inexact 0
		.amdhsa_exception_int_div_zero 0
	.end_amdhsa_kernel
	.section	.text._ZN7rocprim17ROCPRIM_400000_NS6detail17trampoline_kernelINS0_14default_configENS1_20scan_config_selectorIsEEZZNS1_9scan_implILNS1_25lookback_scan_determinismE0ELb0ELb0ES3_N6thrust23THRUST_200600_302600_NS6detail15normal_iteratorINS9_10device_ptrIsEEEESE_sNS9_4plusIsEEsEEDaPvRmT3_T4_T5_mT6_P12ihipStream_tbENKUlT_T0_E_clISt17integral_constantIbLb0EEST_IbLb1EEEEDaSP_SQ_EUlSP_E0_NS1_11comp_targetILNS1_3genE2ELNS1_11target_archE906ELNS1_3gpuE6ELNS1_3repE0EEENS1_30default_config_static_selectorELNS0_4arch9wavefront6targetE1EEEvT1_,"axG",@progbits,_ZN7rocprim17ROCPRIM_400000_NS6detail17trampoline_kernelINS0_14default_configENS1_20scan_config_selectorIsEEZZNS1_9scan_implILNS1_25lookback_scan_determinismE0ELb0ELb0ES3_N6thrust23THRUST_200600_302600_NS6detail15normal_iteratorINS9_10device_ptrIsEEEESE_sNS9_4plusIsEEsEEDaPvRmT3_T4_T5_mT6_P12ihipStream_tbENKUlT_T0_E_clISt17integral_constantIbLb0EEST_IbLb1EEEEDaSP_SQ_EUlSP_E0_NS1_11comp_targetILNS1_3genE2ELNS1_11target_archE906ELNS1_3gpuE6ELNS1_3repE0EEENS1_30default_config_static_selectorELNS0_4arch9wavefront6targetE1EEEvT1_,comdat
.Lfunc_end1118:
	.size	_ZN7rocprim17ROCPRIM_400000_NS6detail17trampoline_kernelINS0_14default_configENS1_20scan_config_selectorIsEEZZNS1_9scan_implILNS1_25lookback_scan_determinismE0ELb0ELb0ES3_N6thrust23THRUST_200600_302600_NS6detail15normal_iteratorINS9_10device_ptrIsEEEESE_sNS9_4plusIsEEsEEDaPvRmT3_T4_T5_mT6_P12ihipStream_tbENKUlT_T0_E_clISt17integral_constantIbLb0EEST_IbLb1EEEEDaSP_SQ_EUlSP_E0_NS1_11comp_targetILNS1_3genE2ELNS1_11target_archE906ELNS1_3gpuE6ELNS1_3repE0EEENS1_30default_config_static_selectorELNS0_4arch9wavefront6targetE1EEEvT1_, .Lfunc_end1118-_ZN7rocprim17ROCPRIM_400000_NS6detail17trampoline_kernelINS0_14default_configENS1_20scan_config_selectorIsEEZZNS1_9scan_implILNS1_25lookback_scan_determinismE0ELb0ELb0ES3_N6thrust23THRUST_200600_302600_NS6detail15normal_iteratorINS9_10device_ptrIsEEEESE_sNS9_4plusIsEEsEEDaPvRmT3_T4_T5_mT6_P12ihipStream_tbENKUlT_T0_E_clISt17integral_constantIbLb0EEST_IbLb1EEEEDaSP_SQ_EUlSP_E0_NS1_11comp_targetILNS1_3genE2ELNS1_11target_archE906ELNS1_3gpuE6ELNS1_3repE0EEENS1_30default_config_static_selectorELNS0_4arch9wavefront6targetE1EEEvT1_
                                        ; -- End function
	.section	.AMDGPU.csdata,"",@progbits
; Kernel info:
; codeLenInByte = 0
; NumSgprs: 4
; NumVgprs: 0
; NumAgprs: 0
; TotalNumVgprs: 0
; ScratchSize: 0
; MemoryBound: 0
; FloatMode: 240
; IeeeMode: 1
; LDSByteSize: 0 bytes/workgroup (compile time only)
; SGPRBlocks: 0
; VGPRBlocks: 0
; NumSGPRsForWavesPerEU: 4
; NumVGPRsForWavesPerEU: 1
; AccumOffset: 4
; Occupancy: 8
; WaveLimiterHint : 0
; COMPUTE_PGM_RSRC2:SCRATCH_EN: 0
; COMPUTE_PGM_RSRC2:USER_SGPR: 6
; COMPUTE_PGM_RSRC2:TRAP_HANDLER: 0
; COMPUTE_PGM_RSRC2:TGID_X_EN: 1
; COMPUTE_PGM_RSRC2:TGID_Y_EN: 0
; COMPUTE_PGM_RSRC2:TGID_Z_EN: 0
; COMPUTE_PGM_RSRC2:TIDIG_COMP_CNT: 0
; COMPUTE_PGM_RSRC3_GFX90A:ACCUM_OFFSET: 0
; COMPUTE_PGM_RSRC3_GFX90A:TG_SPLIT: 0
	.section	.text._ZN7rocprim17ROCPRIM_400000_NS6detail17trampoline_kernelINS0_14default_configENS1_20scan_config_selectorIsEEZZNS1_9scan_implILNS1_25lookback_scan_determinismE0ELb0ELb0ES3_N6thrust23THRUST_200600_302600_NS6detail15normal_iteratorINS9_10device_ptrIsEEEESE_sNS9_4plusIsEEsEEDaPvRmT3_T4_T5_mT6_P12ihipStream_tbENKUlT_T0_E_clISt17integral_constantIbLb0EEST_IbLb1EEEEDaSP_SQ_EUlSP_E0_NS1_11comp_targetILNS1_3genE10ELNS1_11target_archE1201ELNS1_3gpuE5ELNS1_3repE0EEENS1_30default_config_static_selectorELNS0_4arch9wavefront6targetE1EEEvT1_,"axG",@progbits,_ZN7rocprim17ROCPRIM_400000_NS6detail17trampoline_kernelINS0_14default_configENS1_20scan_config_selectorIsEEZZNS1_9scan_implILNS1_25lookback_scan_determinismE0ELb0ELb0ES3_N6thrust23THRUST_200600_302600_NS6detail15normal_iteratorINS9_10device_ptrIsEEEESE_sNS9_4plusIsEEsEEDaPvRmT3_T4_T5_mT6_P12ihipStream_tbENKUlT_T0_E_clISt17integral_constantIbLb0EEST_IbLb1EEEEDaSP_SQ_EUlSP_E0_NS1_11comp_targetILNS1_3genE10ELNS1_11target_archE1201ELNS1_3gpuE5ELNS1_3repE0EEENS1_30default_config_static_selectorELNS0_4arch9wavefront6targetE1EEEvT1_,comdat
	.protected	_ZN7rocprim17ROCPRIM_400000_NS6detail17trampoline_kernelINS0_14default_configENS1_20scan_config_selectorIsEEZZNS1_9scan_implILNS1_25lookback_scan_determinismE0ELb0ELb0ES3_N6thrust23THRUST_200600_302600_NS6detail15normal_iteratorINS9_10device_ptrIsEEEESE_sNS9_4plusIsEEsEEDaPvRmT3_T4_T5_mT6_P12ihipStream_tbENKUlT_T0_E_clISt17integral_constantIbLb0EEST_IbLb1EEEEDaSP_SQ_EUlSP_E0_NS1_11comp_targetILNS1_3genE10ELNS1_11target_archE1201ELNS1_3gpuE5ELNS1_3repE0EEENS1_30default_config_static_selectorELNS0_4arch9wavefront6targetE1EEEvT1_ ; -- Begin function _ZN7rocprim17ROCPRIM_400000_NS6detail17trampoline_kernelINS0_14default_configENS1_20scan_config_selectorIsEEZZNS1_9scan_implILNS1_25lookback_scan_determinismE0ELb0ELb0ES3_N6thrust23THRUST_200600_302600_NS6detail15normal_iteratorINS9_10device_ptrIsEEEESE_sNS9_4plusIsEEsEEDaPvRmT3_T4_T5_mT6_P12ihipStream_tbENKUlT_T0_E_clISt17integral_constantIbLb0EEST_IbLb1EEEEDaSP_SQ_EUlSP_E0_NS1_11comp_targetILNS1_3genE10ELNS1_11target_archE1201ELNS1_3gpuE5ELNS1_3repE0EEENS1_30default_config_static_selectorELNS0_4arch9wavefront6targetE1EEEvT1_
	.globl	_ZN7rocprim17ROCPRIM_400000_NS6detail17trampoline_kernelINS0_14default_configENS1_20scan_config_selectorIsEEZZNS1_9scan_implILNS1_25lookback_scan_determinismE0ELb0ELb0ES3_N6thrust23THRUST_200600_302600_NS6detail15normal_iteratorINS9_10device_ptrIsEEEESE_sNS9_4plusIsEEsEEDaPvRmT3_T4_T5_mT6_P12ihipStream_tbENKUlT_T0_E_clISt17integral_constantIbLb0EEST_IbLb1EEEEDaSP_SQ_EUlSP_E0_NS1_11comp_targetILNS1_3genE10ELNS1_11target_archE1201ELNS1_3gpuE5ELNS1_3repE0EEENS1_30default_config_static_selectorELNS0_4arch9wavefront6targetE1EEEvT1_
	.p2align	8
	.type	_ZN7rocprim17ROCPRIM_400000_NS6detail17trampoline_kernelINS0_14default_configENS1_20scan_config_selectorIsEEZZNS1_9scan_implILNS1_25lookback_scan_determinismE0ELb0ELb0ES3_N6thrust23THRUST_200600_302600_NS6detail15normal_iteratorINS9_10device_ptrIsEEEESE_sNS9_4plusIsEEsEEDaPvRmT3_T4_T5_mT6_P12ihipStream_tbENKUlT_T0_E_clISt17integral_constantIbLb0EEST_IbLb1EEEEDaSP_SQ_EUlSP_E0_NS1_11comp_targetILNS1_3genE10ELNS1_11target_archE1201ELNS1_3gpuE5ELNS1_3repE0EEENS1_30default_config_static_selectorELNS0_4arch9wavefront6targetE1EEEvT1_,@function
_ZN7rocprim17ROCPRIM_400000_NS6detail17trampoline_kernelINS0_14default_configENS1_20scan_config_selectorIsEEZZNS1_9scan_implILNS1_25lookback_scan_determinismE0ELb0ELb0ES3_N6thrust23THRUST_200600_302600_NS6detail15normal_iteratorINS9_10device_ptrIsEEEESE_sNS9_4plusIsEEsEEDaPvRmT3_T4_T5_mT6_P12ihipStream_tbENKUlT_T0_E_clISt17integral_constantIbLb0EEST_IbLb1EEEEDaSP_SQ_EUlSP_E0_NS1_11comp_targetILNS1_3genE10ELNS1_11target_archE1201ELNS1_3gpuE5ELNS1_3repE0EEENS1_30default_config_static_selectorELNS0_4arch9wavefront6targetE1EEEvT1_: ; @_ZN7rocprim17ROCPRIM_400000_NS6detail17trampoline_kernelINS0_14default_configENS1_20scan_config_selectorIsEEZZNS1_9scan_implILNS1_25lookback_scan_determinismE0ELb0ELb0ES3_N6thrust23THRUST_200600_302600_NS6detail15normal_iteratorINS9_10device_ptrIsEEEESE_sNS9_4plusIsEEsEEDaPvRmT3_T4_T5_mT6_P12ihipStream_tbENKUlT_T0_E_clISt17integral_constantIbLb0EEST_IbLb1EEEEDaSP_SQ_EUlSP_E0_NS1_11comp_targetILNS1_3genE10ELNS1_11target_archE1201ELNS1_3gpuE5ELNS1_3repE0EEENS1_30default_config_static_selectorELNS0_4arch9wavefront6targetE1EEEvT1_
; %bb.0:
	.section	.rodata,"a",@progbits
	.p2align	6, 0x0
	.amdhsa_kernel _ZN7rocprim17ROCPRIM_400000_NS6detail17trampoline_kernelINS0_14default_configENS1_20scan_config_selectorIsEEZZNS1_9scan_implILNS1_25lookback_scan_determinismE0ELb0ELb0ES3_N6thrust23THRUST_200600_302600_NS6detail15normal_iteratorINS9_10device_ptrIsEEEESE_sNS9_4plusIsEEsEEDaPvRmT3_T4_T5_mT6_P12ihipStream_tbENKUlT_T0_E_clISt17integral_constantIbLb0EEST_IbLb1EEEEDaSP_SQ_EUlSP_E0_NS1_11comp_targetILNS1_3genE10ELNS1_11target_archE1201ELNS1_3gpuE5ELNS1_3repE0EEENS1_30default_config_static_selectorELNS0_4arch9wavefront6targetE1EEEvT1_
		.amdhsa_group_segment_fixed_size 0
		.amdhsa_private_segment_fixed_size 0
		.amdhsa_kernarg_size 32
		.amdhsa_user_sgpr_count 6
		.amdhsa_user_sgpr_private_segment_buffer 1
		.amdhsa_user_sgpr_dispatch_ptr 0
		.amdhsa_user_sgpr_queue_ptr 0
		.amdhsa_user_sgpr_kernarg_segment_ptr 1
		.amdhsa_user_sgpr_dispatch_id 0
		.amdhsa_user_sgpr_flat_scratch_init 0
		.amdhsa_user_sgpr_kernarg_preload_length 0
		.amdhsa_user_sgpr_kernarg_preload_offset 0
		.amdhsa_user_sgpr_private_segment_size 0
		.amdhsa_uses_dynamic_stack 0
		.amdhsa_system_sgpr_private_segment_wavefront_offset 0
		.amdhsa_system_sgpr_workgroup_id_x 1
		.amdhsa_system_sgpr_workgroup_id_y 0
		.amdhsa_system_sgpr_workgroup_id_z 0
		.amdhsa_system_sgpr_workgroup_info 0
		.amdhsa_system_vgpr_workitem_id 0
		.amdhsa_next_free_vgpr 1
		.amdhsa_next_free_sgpr 0
		.amdhsa_accum_offset 4
		.amdhsa_reserve_vcc 0
		.amdhsa_reserve_flat_scratch 0
		.amdhsa_float_round_mode_32 0
		.amdhsa_float_round_mode_16_64 0
		.amdhsa_float_denorm_mode_32 3
		.amdhsa_float_denorm_mode_16_64 3
		.amdhsa_dx10_clamp 1
		.amdhsa_ieee_mode 1
		.amdhsa_fp16_overflow 0
		.amdhsa_tg_split 0
		.amdhsa_exception_fp_ieee_invalid_op 0
		.amdhsa_exception_fp_denorm_src 0
		.amdhsa_exception_fp_ieee_div_zero 0
		.amdhsa_exception_fp_ieee_overflow 0
		.amdhsa_exception_fp_ieee_underflow 0
		.amdhsa_exception_fp_ieee_inexact 0
		.amdhsa_exception_int_div_zero 0
	.end_amdhsa_kernel
	.section	.text._ZN7rocprim17ROCPRIM_400000_NS6detail17trampoline_kernelINS0_14default_configENS1_20scan_config_selectorIsEEZZNS1_9scan_implILNS1_25lookback_scan_determinismE0ELb0ELb0ES3_N6thrust23THRUST_200600_302600_NS6detail15normal_iteratorINS9_10device_ptrIsEEEESE_sNS9_4plusIsEEsEEDaPvRmT3_T4_T5_mT6_P12ihipStream_tbENKUlT_T0_E_clISt17integral_constantIbLb0EEST_IbLb1EEEEDaSP_SQ_EUlSP_E0_NS1_11comp_targetILNS1_3genE10ELNS1_11target_archE1201ELNS1_3gpuE5ELNS1_3repE0EEENS1_30default_config_static_selectorELNS0_4arch9wavefront6targetE1EEEvT1_,"axG",@progbits,_ZN7rocprim17ROCPRIM_400000_NS6detail17trampoline_kernelINS0_14default_configENS1_20scan_config_selectorIsEEZZNS1_9scan_implILNS1_25lookback_scan_determinismE0ELb0ELb0ES3_N6thrust23THRUST_200600_302600_NS6detail15normal_iteratorINS9_10device_ptrIsEEEESE_sNS9_4plusIsEEsEEDaPvRmT3_T4_T5_mT6_P12ihipStream_tbENKUlT_T0_E_clISt17integral_constantIbLb0EEST_IbLb1EEEEDaSP_SQ_EUlSP_E0_NS1_11comp_targetILNS1_3genE10ELNS1_11target_archE1201ELNS1_3gpuE5ELNS1_3repE0EEENS1_30default_config_static_selectorELNS0_4arch9wavefront6targetE1EEEvT1_,comdat
.Lfunc_end1119:
	.size	_ZN7rocprim17ROCPRIM_400000_NS6detail17trampoline_kernelINS0_14default_configENS1_20scan_config_selectorIsEEZZNS1_9scan_implILNS1_25lookback_scan_determinismE0ELb0ELb0ES3_N6thrust23THRUST_200600_302600_NS6detail15normal_iteratorINS9_10device_ptrIsEEEESE_sNS9_4plusIsEEsEEDaPvRmT3_T4_T5_mT6_P12ihipStream_tbENKUlT_T0_E_clISt17integral_constantIbLb0EEST_IbLb1EEEEDaSP_SQ_EUlSP_E0_NS1_11comp_targetILNS1_3genE10ELNS1_11target_archE1201ELNS1_3gpuE5ELNS1_3repE0EEENS1_30default_config_static_selectorELNS0_4arch9wavefront6targetE1EEEvT1_, .Lfunc_end1119-_ZN7rocprim17ROCPRIM_400000_NS6detail17trampoline_kernelINS0_14default_configENS1_20scan_config_selectorIsEEZZNS1_9scan_implILNS1_25lookback_scan_determinismE0ELb0ELb0ES3_N6thrust23THRUST_200600_302600_NS6detail15normal_iteratorINS9_10device_ptrIsEEEESE_sNS9_4plusIsEEsEEDaPvRmT3_T4_T5_mT6_P12ihipStream_tbENKUlT_T0_E_clISt17integral_constantIbLb0EEST_IbLb1EEEEDaSP_SQ_EUlSP_E0_NS1_11comp_targetILNS1_3genE10ELNS1_11target_archE1201ELNS1_3gpuE5ELNS1_3repE0EEENS1_30default_config_static_selectorELNS0_4arch9wavefront6targetE1EEEvT1_
                                        ; -- End function
	.section	.AMDGPU.csdata,"",@progbits
; Kernel info:
; codeLenInByte = 0
; NumSgprs: 4
; NumVgprs: 0
; NumAgprs: 0
; TotalNumVgprs: 0
; ScratchSize: 0
; MemoryBound: 0
; FloatMode: 240
; IeeeMode: 1
; LDSByteSize: 0 bytes/workgroup (compile time only)
; SGPRBlocks: 0
; VGPRBlocks: 0
; NumSGPRsForWavesPerEU: 4
; NumVGPRsForWavesPerEU: 1
; AccumOffset: 4
; Occupancy: 8
; WaveLimiterHint : 0
; COMPUTE_PGM_RSRC2:SCRATCH_EN: 0
; COMPUTE_PGM_RSRC2:USER_SGPR: 6
; COMPUTE_PGM_RSRC2:TRAP_HANDLER: 0
; COMPUTE_PGM_RSRC2:TGID_X_EN: 1
; COMPUTE_PGM_RSRC2:TGID_Y_EN: 0
; COMPUTE_PGM_RSRC2:TGID_Z_EN: 0
; COMPUTE_PGM_RSRC2:TIDIG_COMP_CNT: 0
; COMPUTE_PGM_RSRC3_GFX90A:ACCUM_OFFSET: 0
; COMPUTE_PGM_RSRC3_GFX90A:TG_SPLIT: 0
	.section	.text._ZN7rocprim17ROCPRIM_400000_NS6detail17trampoline_kernelINS0_14default_configENS1_20scan_config_selectorIsEEZZNS1_9scan_implILNS1_25lookback_scan_determinismE0ELb0ELb0ES3_N6thrust23THRUST_200600_302600_NS6detail15normal_iteratorINS9_10device_ptrIsEEEESE_sNS9_4plusIsEEsEEDaPvRmT3_T4_T5_mT6_P12ihipStream_tbENKUlT_T0_E_clISt17integral_constantIbLb0EEST_IbLb1EEEEDaSP_SQ_EUlSP_E0_NS1_11comp_targetILNS1_3genE10ELNS1_11target_archE1200ELNS1_3gpuE4ELNS1_3repE0EEENS1_30default_config_static_selectorELNS0_4arch9wavefront6targetE1EEEvT1_,"axG",@progbits,_ZN7rocprim17ROCPRIM_400000_NS6detail17trampoline_kernelINS0_14default_configENS1_20scan_config_selectorIsEEZZNS1_9scan_implILNS1_25lookback_scan_determinismE0ELb0ELb0ES3_N6thrust23THRUST_200600_302600_NS6detail15normal_iteratorINS9_10device_ptrIsEEEESE_sNS9_4plusIsEEsEEDaPvRmT3_T4_T5_mT6_P12ihipStream_tbENKUlT_T0_E_clISt17integral_constantIbLb0EEST_IbLb1EEEEDaSP_SQ_EUlSP_E0_NS1_11comp_targetILNS1_3genE10ELNS1_11target_archE1200ELNS1_3gpuE4ELNS1_3repE0EEENS1_30default_config_static_selectorELNS0_4arch9wavefront6targetE1EEEvT1_,comdat
	.protected	_ZN7rocprim17ROCPRIM_400000_NS6detail17trampoline_kernelINS0_14default_configENS1_20scan_config_selectorIsEEZZNS1_9scan_implILNS1_25lookback_scan_determinismE0ELb0ELb0ES3_N6thrust23THRUST_200600_302600_NS6detail15normal_iteratorINS9_10device_ptrIsEEEESE_sNS9_4plusIsEEsEEDaPvRmT3_T4_T5_mT6_P12ihipStream_tbENKUlT_T0_E_clISt17integral_constantIbLb0EEST_IbLb1EEEEDaSP_SQ_EUlSP_E0_NS1_11comp_targetILNS1_3genE10ELNS1_11target_archE1200ELNS1_3gpuE4ELNS1_3repE0EEENS1_30default_config_static_selectorELNS0_4arch9wavefront6targetE1EEEvT1_ ; -- Begin function _ZN7rocprim17ROCPRIM_400000_NS6detail17trampoline_kernelINS0_14default_configENS1_20scan_config_selectorIsEEZZNS1_9scan_implILNS1_25lookback_scan_determinismE0ELb0ELb0ES3_N6thrust23THRUST_200600_302600_NS6detail15normal_iteratorINS9_10device_ptrIsEEEESE_sNS9_4plusIsEEsEEDaPvRmT3_T4_T5_mT6_P12ihipStream_tbENKUlT_T0_E_clISt17integral_constantIbLb0EEST_IbLb1EEEEDaSP_SQ_EUlSP_E0_NS1_11comp_targetILNS1_3genE10ELNS1_11target_archE1200ELNS1_3gpuE4ELNS1_3repE0EEENS1_30default_config_static_selectorELNS0_4arch9wavefront6targetE1EEEvT1_
	.globl	_ZN7rocprim17ROCPRIM_400000_NS6detail17trampoline_kernelINS0_14default_configENS1_20scan_config_selectorIsEEZZNS1_9scan_implILNS1_25lookback_scan_determinismE0ELb0ELb0ES3_N6thrust23THRUST_200600_302600_NS6detail15normal_iteratorINS9_10device_ptrIsEEEESE_sNS9_4plusIsEEsEEDaPvRmT3_T4_T5_mT6_P12ihipStream_tbENKUlT_T0_E_clISt17integral_constantIbLb0EEST_IbLb1EEEEDaSP_SQ_EUlSP_E0_NS1_11comp_targetILNS1_3genE10ELNS1_11target_archE1200ELNS1_3gpuE4ELNS1_3repE0EEENS1_30default_config_static_selectorELNS0_4arch9wavefront6targetE1EEEvT1_
	.p2align	8
	.type	_ZN7rocprim17ROCPRIM_400000_NS6detail17trampoline_kernelINS0_14default_configENS1_20scan_config_selectorIsEEZZNS1_9scan_implILNS1_25lookback_scan_determinismE0ELb0ELb0ES3_N6thrust23THRUST_200600_302600_NS6detail15normal_iteratorINS9_10device_ptrIsEEEESE_sNS9_4plusIsEEsEEDaPvRmT3_T4_T5_mT6_P12ihipStream_tbENKUlT_T0_E_clISt17integral_constantIbLb0EEST_IbLb1EEEEDaSP_SQ_EUlSP_E0_NS1_11comp_targetILNS1_3genE10ELNS1_11target_archE1200ELNS1_3gpuE4ELNS1_3repE0EEENS1_30default_config_static_selectorELNS0_4arch9wavefront6targetE1EEEvT1_,@function
_ZN7rocprim17ROCPRIM_400000_NS6detail17trampoline_kernelINS0_14default_configENS1_20scan_config_selectorIsEEZZNS1_9scan_implILNS1_25lookback_scan_determinismE0ELb0ELb0ES3_N6thrust23THRUST_200600_302600_NS6detail15normal_iteratorINS9_10device_ptrIsEEEESE_sNS9_4plusIsEEsEEDaPvRmT3_T4_T5_mT6_P12ihipStream_tbENKUlT_T0_E_clISt17integral_constantIbLb0EEST_IbLb1EEEEDaSP_SQ_EUlSP_E0_NS1_11comp_targetILNS1_3genE10ELNS1_11target_archE1200ELNS1_3gpuE4ELNS1_3repE0EEENS1_30default_config_static_selectorELNS0_4arch9wavefront6targetE1EEEvT1_: ; @_ZN7rocprim17ROCPRIM_400000_NS6detail17trampoline_kernelINS0_14default_configENS1_20scan_config_selectorIsEEZZNS1_9scan_implILNS1_25lookback_scan_determinismE0ELb0ELb0ES3_N6thrust23THRUST_200600_302600_NS6detail15normal_iteratorINS9_10device_ptrIsEEEESE_sNS9_4plusIsEEsEEDaPvRmT3_T4_T5_mT6_P12ihipStream_tbENKUlT_T0_E_clISt17integral_constantIbLb0EEST_IbLb1EEEEDaSP_SQ_EUlSP_E0_NS1_11comp_targetILNS1_3genE10ELNS1_11target_archE1200ELNS1_3gpuE4ELNS1_3repE0EEENS1_30default_config_static_selectorELNS0_4arch9wavefront6targetE1EEEvT1_
; %bb.0:
	.section	.rodata,"a",@progbits
	.p2align	6, 0x0
	.amdhsa_kernel _ZN7rocprim17ROCPRIM_400000_NS6detail17trampoline_kernelINS0_14default_configENS1_20scan_config_selectorIsEEZZNS1_9scan_implILNS1_25lookback_scan_determinismE0ELb0ELb0ES3_N6thrust23THRUST_200600_302600_NS6detail15normal_iteratorINS9_10device_ptrIsEEEESE_sNS9_4plusIsEEsEEDaPvRmT3_T4_T5_mT6_P12ihipStream_tbENKUlT_T0_E_clISt17integral_constantIbLb0EEST_IbLb1EEEEDaSP_SQ_EUlSP_E0_NS1_11comp_targetILNS1_3genE10ELNS1_11target_archE1200ELNS1_3gpuE4ELNS1_3repE0EEENS1_30default_config_static_selectorELNS0_4arch9wavefront6targetE1EEEvT1_
		.amdhsa_group_segment_fixed_size 0
		.amdhsa_private_segment_fixed_size 0
		.amdhsa_kernarg_size 32
		.amdhsa_user_sgpr_count 6
		.amdhsa_user_sgpr_private_segment_buffer 1
		.amdhsa_user_sgpr_dispatch_ptr 0
		.amdhsa_user_sgpr_queue_ptr 0
		.amdhsa_user_sgpr_kernarg_segment_ptr 1
		.amdhsa_user_sgpr_dispatch_id 0
		.amdhsa_user_sgpr_flat_scratch_init 0
		.amdhsa_user_sgpr_kernarg_preload_length 0
		.amdhsa_user_sgpr_kernarg_preload_offset 0
		.amdhsa_user_sgpr_private_segment_size 0
		.amdhsa_uses_dynamic_stack 0
		.amdhsa_system_sgpr_private_segment_wavefront_offset 0
		.amdhsa_system_sgpr_workgroup_id_x 1
		.amdhsa_system_sgpr_workgroup_id_y 0
		.amdhsa_system_sgpr_workgroup_id_z 0
		.amdhsa_system_sgpr_workgroup_info 0
		.amdhsa_system_vgpr_workitem_id 0
		.amdhsa_next_free_vgpr 1
		.amdhsa_next_free_sgpr 0
		.amdhsa_accum_offset 4
		.amdhsa_reserve_vcc 0
		.amdhsa_reserve_flat_scratch 0
		.amdhsa_float_round_mode_32 0
		.amdhsa_float_round_mode_16_64 0
		.amdhsa_float_denorm_mode_32 3
		.amdhsa_float_denorm_mode_16_64 3
		.amdhsa_dx10_clamp 1
		.amdhsa_ieee_mode 1
		.amdhsa_fp16_overflow 0
		.amdhsa_tg_split 0
		.amdhsa_exception_fp_ieee_invalid_op 0
		.amdhsa_exception_fp_denorm_src 0
		.amdhsa_exception_fp_ieee_div_zero 0
		.amdhsa_exception_fp_ieee_overflow 0
		.amdhsa_exception_fp_ieee_underflow 0
		.amdhsa_exception_fp_ieee_inexact 0
		.amdhsa_exception_int_div_zero 0
	.end_amdhsa_kernel
	.section	.text._ZN7rocprim17ROCPRIM_400000_NS6detail17trampoline_kernelINS0_14default_configENS1_20scan_config_selectorIsEEZZNS1_9scan_implILNS1_25lookback_scan_determinismE0ELb0ELb0ES3_N6thrust23THRUST_200600_302600_NS6detail15normal_iteratorINS9_10device_ptrIsEEEESE_sNS9_4plusIsEEsEEDaPvRmT3_T4_T5_mT6_P12ihipStream_tbENKUlT_T0_E_clISt17integral_constantIbLb0EEST_IbLb1EEEEDaSP_SQ_EUlSP_E0_NS1_11comp_targetILNS1_3genE10ELNS1_11target_archE1200ELNS1_3gpuE4ELNS1_3repE0EEENS1_30default_config_static_selectorELNS0_4arch9wavefront6targetE1EEEvT1_,"axG",@progbits,_ZN7rocprim17ROCPRIM_400000_NS6detail17trampoline_kernelINS0_14default_configENS1_20scan_config_selectorIsEEZZNS1_9scan_implILNS1_25lookback_scan_determinismE0ELb0ELb0ES3_N6thrust23THRUST_200600_302600_NS6detail15normal_iteratorINS9_10device_ptrIsEEEESE_sNS9_4plusIsEEsEEDaPvRmT3_T4_T5_mT6_P12ihipStream_tbENKUlT_T0_E_clISt17integral_constantIbLb0EEST_IbLb1EEEEDaSP_SQ_EUlSP_E0_NS1_11comp_targetILNS1_3genE10ELNS1_11target_archE1200ELNS1_3gpuE4ELNS1_3repE0EEENS1_30default_config_static_selectorELNS0_4arch9wavefront6targetE1EEEvT1_,comdat
.Lfunc_end1120:
	.size	_ZN7rocprim17ROCPRIM_400000_NS6detail17trampoline_kernelINS0_14default_configENS1_20scan_config_selectorIsEEZZNS1_9scan_implILNS1_25lookback_scan_determinismE0ELb0ELb0ES3_N6thrust23THRUST_200600_302600_NS6detail15normal_iteratorINS9_10device_ptrIsEEEESE_sNS9_4plusIsEEsEEDaPvRmT3_T4_T5_mT6_P12ihipStream_tbENKUlT_T0_E_clISt17integral_constantIbLb0EEST_IbLb1EEEEDaSP_SQ_EUlSP_E0_NS1_11comp_targetILNS1_3genE10ELNS1_11target_archE1200ELNS1_3gpuE4ELNS1_3repE0EEENS1_30default_config_static_selectorELNS0_4arch9wavefront6targetE1EEEvT1_, .Lfunc_end1120-_ZN7rocprim17ROCPRIM_400000_NS6detail17trampoline_kernelINS0_14default_configENS1_20scan_config_selectorIsEEZZNS1_9scan_implILNS1_25lookback_scan_determinismE0ELb0ELb0ES3_N6thrust23THRUST_200600_302600_NS6detail15normal_iteratorINS9_10device_ptrIsEEEESE_sNS9_4plusIsEEsEEDaPvRmT3_T4_T5_mT6_P12ihipStream_tbENKUlT_T0_E_clISt17integral_constantIbLb0EEST_IbLb1EEEEDaSP_SQ_EUlSP_E0_NS1_11comp_targetILNS1_3genE10ELNS1_11target_archE1200ELNS1_3gpuE4ELNS1_3repE0EEENS1_30default_config_static_selectorELNS0_4arch9wavefront6targetE1EEEvT1_
                                        ; -- End function
	.section	.AMDGPU.csdata,"",@progbits
; Kernel info:
; codeLenInByte = 0
; NumSgprs: 4
; NumVgprs: 0
; NumAgprs: 0
; TotalNumVgprs: 0
; ScratchSize: 0
; MemoryBound: 0
; FloatMode: 240
; IeeeMode: 1
; LDSByteSize: 0 bytes/workgroup (compile time only)
; SGPRBlocks: 0
; VGPRBlocks: 0
; NumSGPRsForWavesPerEU: 4
; NumVGPRsForWavesPerEU: 1
; AccumOffset: 4
; Occupancy: 8
; WaveLimiterHint : 0
; COMPUTE_PGM_RSRC2:SCRATCH_EN: 0
; COMPUTE_PGM_RSRC2:USER_SGPR: 6
; COMPUTE_PGM_RSRC2:TRAP_HANDLER: 0
; COMPUTE_PGM_RSRC2:TGID_X_EN: 1
; COMPUTE_PGM_RSRC2:TGID_Y_EN: 0
; COMPUTE_PGM_RSRC2:TGID_Z_EN: 0
; COMPUTE_PGM_RSRC2:TIDIG_COMP_CNT: 0
; COMPUTE_PGM_RSRC3_GFX90A:ACCUM_OFFSET: 0
; COMPUTE_PGM_RSRC3_GFX90A:TG_SPLIT: 0
	.section	.text._ZN7rocprim17ROCPRIM_400000_NS6detail17trampoline_kernelINS0_14default_configENS1_20scan_config_selectorIsEEZZNS1_9scan_implILNS1_25lookback_scan_determinismE0ELb0ELb0ES3_N6thrust23THRUST_200600_302600_NS6detail15normal_iteratorINS9_10device_ptrIsEEEESE_sNS9_4plusIsEEsEEDaPvRmT3_T4_T5_mT6_P12ihipStream_tbENKUlT_T0_E_clISt17integral_constantIbLb0EEST_IbLb1EEEEDaSP_SQ_EUlSP_E0_NS1_11comp_targetILNS1_3genE9ELNS1_11target_archE1100ELNS1_3gpuE3ELNS1_3repE0EEENS1_30default_config_static_selectorELNS0_4arch9wavefront6targetE1EEEvT1_,"axG",@progbits,_ZN7rocprim17ROCPRIM_400000_NS6detail17trampoline_kernelINS0_14default_configENS1_20scan_config_selectorIsEEZZNS1_9scan_implILNS1_25lookback_scan_determinismE0ELb0ELb0ES3_N6thrust23THRUST_200600_302600_NS6detail15normal_iteratorINS9_10device_ptrIsEEEESE_sNS9_4plusIsEEsEEDaPvRmT3_T4_T5_mT6_P12ihipStream_tbENKUlT_T0_E_clISt17integral_constantIbLb0EEST_IbLb1EEEEDaSP_SQ_EUlSP_E0_NS1_11comp_targetILNS1_3genE9ELNS1_11target_archE1100ELNS1_3gpuE3ELNS1_3repE0EEENS1_30default_config_static_selectorELNS0_4arch9wavefront6targetE1EEEvT1_,comdat
	.protected	_ZN7rocprim17ROCPRIM_400000_NS6detail17trampoline_kernelINS0_14default_configENS1_20scan_config_selectorIsEEZZNS1_9scan_implILNS1_25lookback_scan_determinismE0ELb0ELb0ES3_N6thrust23THRUST_200600_302600_NS6detail15normal_iteratorINS9_10device_ptrIsEEEESE_sNS9_4plusIsEEsEEDaPvRmT3_T4_T5_mT6_P12ihipStream_tbENKUlT_T0_E_clISt17integral_constantIbLb0EEST_IbLb1EEEEDaSP_SQ_EUlSP_E0_NS1_11comp_targetILNS1_3genE9ELNS1_11target_archE1100ELNS1_3gpuE3ELNS1_3repE0EEENS1_30default_config_static_selectorELNS0_4arch9wavefront6targetE1EEEvT1_ ; -- Begin function _ZN7rocprim17ROCPRIM_400000_NS6detail17trampoline_kernelINS0_14default_configENS1_20scan_config_selectorIsEEZZNS1_9scan_implILNS1_25lookback_scan_determinismE0ELb0ELb0ES3_N6thrust23THRUST_200600_302600_NS6detail15normal_iteratorINS9_10device_ptrIsEEEESE_sNS9_4plusIsEEsEEDaPvRmT3_T4_T5_mT6_P12ihipStream_tbENKUlT_T0_E_clISt17integral_constantIbLb0EEST_IbLb1EEEEDaSP_SQ_EUlSP_E0_NS1_11comp_targetILNS1_3genE9ELNS1_11target_archE1100ELNS1_3gpuE3ELNS1_3repE0EEENS1_30default_config_static_selectorELNS0_4arch9wavefront6targetE1EEEvT1_
	.globl	_ZN7rocprim17ROCPRIM_400000_NS6detail17trampoline_kernelINS0_14default_configENS1_20scan_config_selectorIsEEZZNS1_9scan_implILNS1_25lookback_scan_determinismE0ELb0ELb0ES3_N6thrust23THRUST_200600_302600_NS6detail15normal_iteratorINS9_10device_ptrIsEEEESE_sNS9_4plusIsEEsEEDaPvRmT3_T4_T5_mT6_P12ihipStream_tbENKUlT_T0_E_clISt17integral_constantIbLb0EEST_IbLb1EEEEDaSP_SQ_EUlSP_E0_NS1_11comp_targetILNS1_3genE9ELNS1_11target_archE1100ELNS1_3gpuE3ELNS1_3repE0EEENS1_30default_config_static_selectorELNS0_4arch9wavefront6targetE1EEEvT1_
	.p2align	8
	.type	_ZN7rocprim17ROCPRIM_400000_NS6detail17trampoline_kernelINS0_14default_configENS1_20scan_config_selectorIsEEZZNS1_9scan_implILNS1_25lookback_scan_determinismE0ELb0ELb0ES3_N6thrust23THRUST_200600_302600_NS6detail15normal_iteratorINS9_10device_ptrIsEEEESE_sNS9_4plusIsEEsEEDaPvRmT3_T4_T5_mT6_P12ihipStream_tbENKUlT_T0_E_clISt17integral_constantIbLb0EEST_IbLb1EEEEDaSP_SQ_EUlSP_E0_NS1_11comp_targetILNS1_3genE9ELNS1_11target_archE1100ELNS1_3gpuE3ELNS1_3repE0EEENS1_30default_config_static_selectorELNS0_4arch9wavefront6targetE1EEEvT1_,@function
_ZN7rocprim17ROCPRIM_400000_NS6detail17trampoline_kernelINS0_14default_configENS1_20scan_config_selectorIsEEZZNS1_9scan_implILNS1_25lookback_scan_determinismE0ELb0ELb0ES3_N6thrust23THRUST_200600_302600_NS6detail15normal_iteratorINS9_10device_ptrIsEEEESE_sNS9_4plusIsEEsEEDaPvRmT3_T4_T5_mT6_P12ihipStream_tbENKUlT_T0_E_clISt17integral_constantIbLb0EEST_IbLb1EEEEDaSP_SQ_EUlSP_E0_NS1_11comp_targetILNS1_3genE9ELNS1_11target_archE1100ELNS1_3gpuE3ELNS1_3repE0EEENS1_30default_config_static_selectorELNS0_4arch9wavefront6targetE1EEEvT1_: ; @_ZN7rocprim17ROCPRIM_400000_NS6detail17trampoline_kernelINS0_14default_configENS1_20scan_config_selectorIsEEZZNS1_9scan_implILNS1_25lookback_scan_determinismE0ELb0ELb0ES3_N6thrust23THRUST_200600_302600_NS6detail15normal_iteratorINS9_10device_ptrIsEEEESE_sNS9_4plusIsEEsEEDaPvRmT3_T4_T5_mT6_P12ihipStream_tbENKUlT_T0_E_clISt17integral_constantIbLb0EEST_IbLb1EEEEDaSP_SQ_EUlSP_E0_NS1_11comp_targetILNS1_3genE9ELNS1_11target_archE1100ELNS1_3gpuE3ELNS1_3repE0EEENS1_30default_config_static_selectorELNS0_4arch9wavefront6targetE1EEEvT1_
; %bb.0:
	.section	.rodata,"a",@progbits
	.p2align	6, 0x0
	.amdhsa_kernel _ZN7rocprim17ROCPRIM_400000_NS6detail17trampoline_kernelINS0_14default_configENS1_20scan_config_selectorIsEEZZNS1_9scan_implILNS1_25lookback_scan_determinismE0ELb0ELb0ES3_N6thrust23THRUST_200600_302600_NS6detail15normal_iteratorINS9_10device_ptrIsEEEESE_sNS9_4plusIsEEsEEDaPvRmT3_T4_T5_mT6_P12ihipStream_tbENKUlT_T0_E_clISt17integral_constantIbLb0EEST_IbLb1EEEEDaSP_SQ_EUlSP_E0_NS1_11comp_targetILNS1_3genE9ELNS1_11target_archE1100ELNS1_3gpuE3ELNS1_3repE0EEENS1_30default_config_static_selectorELNS0_4arch9wavefront6targetE1EEEvT1_
		.amdhsa_group_segment_fixed_size 0
		.amdhsa_private_segment_fixed_size 0
		.amdhsa_kernarg_size 32
		.amdhsa_user_sgpr_count 6
		.amdhsa_user_sgpr_private_segment_buffer 1
		.amdhsa_user_sgpr_dispatch_ptr 0
		.amdhsa_user_sgpr_queue_ptr 0
		.amdhsa_user_sgpr_kernarg_segment_ptr 1
		.amdhsa_user_sgpr_dispatch_id 0
		.amdhsa_user_sgpr_flat_scratch_init 0
		.amdhsa_user_sgpr_kernarg_preload_length 0
		.amdhsa_user_sgpr_kernarg_preload_offset 0
		.amdhsa_user_sgpr_private_segment_size 0
		.amdhsa_uses_dynamic_stack 0
		.amdhsa_system_sgpr_private_segment_wavefront_offset 0
		.amdhsa_system_sgpr_workgroup_id_x 1
		.amdhsa_system_sgpr_workgroup_id_y 0
		.amdhsa_system_sgpr_workgroup_id_z 0
		.amdhsa_system_sgpr_workgroup_info 0
		.amdhsa_system_vgpr_workitem_id 0
		.amdhsa_next_free_vgpr 1
		.amdhsa_next_free_sgpr 0
		.amdhsa_accum_offset 4
		.amdhsa_reserve_vcc 0
		.amdhsa_reserve_flat_scratch 0
		.amdhsa_float_round_mode_32 0
		.amdhsa_float_round_mode_16_64 0
		.amdhsa_float_denorm_mode_32 3
		.amdhsa_float_denorm_mode_16_64 3
		.amdhsa_dx10_clamp 1
		.amdhsa_ieee_mode 1
		.amdhsa_fp16_overflow 0
		.amdhsa_tg_split 0
		.amdhsa_exception_fp_ieee_invalid_op 0
		.amdhsa_exception_fp_denorm_src 0
		.amdhsa_exception_fp_ieee_div_zero 0
		.amdhsa_exception_fp_ieee_overflow 0
		.amdhsa_exception_fp_ieee_underflow 0
		.amdhsa_exception_fp_ieee_inexact 0
		.amdhsa_exception_int_div_zero 0
	.end_amdhsa_kernel
	.section	.text._ZN7rocprim17ROCPRIM_400000_NS6detail17trampoline_kernelINS0_14default_configENS1_20scan_config_selectorIsEEZZNS1_9scan_implILNS1_25lookback_scan_determinismE0ELb0ELb0ES3_N6thrust23THRUST_200600_302600_NS6detail15normal_iteratorINS9_10device_ptrIsEEEESE_sNS9_4plusIsEEsEEDaPvRmT3_T4_T5_mT6_P12ihipStream_tbENKUlT_T0_E_clISt17integral_constantIbLb0EEST_IbLb1EEEEDaSP_SQ_EUlSP_E0_NS1_11comp_targetILNS1_3genE9ELNS1_11target_archE1100ELNS1_3gpuE3ELNS1_3repE0EEENS1_30default_config_static_selectorELNS0_4arch9wavefront6targetE1EEEvT1_,"axG",@progbits,_ZN7rocprim17ROCPRIM_400000_NS6detail17trampoline_kernelINS0_14default_configENS1_20scan_config_selectorIsEEZZNS1_9scan_implILNS1_25lookback_scan_determinismE0ELb0ELb0ES3_N6thrust23THRUST_200600_302600_NS6detail15normal_iteratorINS9_10device_ptrIsEEEESE_sNS9_4plusIsEEsEEDaPvRmT3_T4_T5_mT6_P12ihipStream_tbENKUlT_T0_E_clISt17integral_constantIbLb0EEST_IbLb1EEEEDaSP_SQ_EUlSP_E0_NS1_11comp_targetILNS1_3genE9ELNS1_11target_archE1100ELNS1_3gpuE3ELNS1_3repE0EEENS1_30default_config_static_selectorELNS0_4arch9wavefront6targetE1EEEvT1_,comdat
.Lfunc_end1121:
	.size	_ZN7rocprim17ROCPRIM_400000_NS6detail17trampoline_kernelINS0_14default_configENS1_20scan_config_selectorIsEEZZNS1_9scan_implILNS1_25lookback_scan_determinismE0ELb0ELb0ES3_N6thrust23THRUST_200600_302600_NS6detail15normal_iteratorINS9_10device_ptrIsEEEESE_sNS9_4plusIsEEsEEDaPvRmT3_T4_T5_mT6_P12ihipStream_tbENKUlT_T0_E_clISt17integral_constantIbLb0EEST_IbLb1EEEEDaSP_SQ_EUlSP_E0_NS1_11comp_targetILNS1_3genE9ELNS1_11target_archE1100ELNS1_3gpuE3ELNS1_3repE0EEENS1_30default_config_static_selectorELNS0_4arch9wavefront6targetE1EEEvT1_, .Lfunc_end1121-_ZN7rocprim17ROCPRIM_400000_NS6detail17trampoline_kernelINS0_14default_configENS1_20scan_config_selectorIsEEZZNS1_9scan_implILNS1_25lookback_scan_determinismE0ELb0ELb0ES3_N6thrust23THRUST_200600_302600_NS6detail15normal_iteratorINS9_10device_ptrIsEEEESE_sNS9_4plusIsEEsEEDaPvRmT3_T4_T5_mT6_P12ihipStream_tbENKUlT_T0_E_clISt17integral_constantIbLb0EEST_IbLb1EEEEDaSP_SQ_EUlSP_E0_NS1_11comp_targetILNS1_3genE9ELNS1_11target_archE1100ELNS1_3gpuE3ELNS1_3repE0EEENS1_30default_config_static_selectorELNS0_4arch9wavefront6targetE1EEEvT1_
                                        ; -- End function
	.section	.AMDGPU.csdata,"",@progbits
; Kernel info:
; codeLenInByte = 0
; NumSgprs: 4
; NumVgprs: 0
; NumAgprs: 0
; TotalNumVgprs: 0
; ScratchSize: 0
; MemoryBound: 0
; FloatMode: 240
; IeeeMode: 1
; LDSByteSize: 0 bytes/workgroup (compile time only)
; SGPRBlocks: 0
; VGPRBlocks: 0
; NumSGPRsForWavesPerEU: 4
; NumVGPRsForWavesPerEU: 1
; AccumOffset: 4
; Occupancy: 8
; WaveLimiterHint : 0
; COMPUTE_PGM_RSRC2:SCRATCH_EN: 0
; COMPUTE_PGM_RSRC2:USER_SGPR: 6
; COMPUTE_PGM_RSRC2:TRAP_HANDLER: 0
; COMPUTE_PGM_RSRC2:TGID_X_EN: 1
; COMPUTE_PGM_RSRC2:TGID_Y_EN: 0
; COMPUTE_PGM_RSRC2:TGID_Z_EN: 0
; COMPUTE_PGM_RSRC2:TIDIG_COMP_CNT: 0
; COMPUTE_PGM_RSRC3_GFX90A:ACCUM_OFFSET: 0
; COMPUTE_PGM_RSRC3_GFX90A:TG_SPLIT: 0
	.section	.text._ZN7rocprim17ROCPRIM_400000_NS6detail17trampoline_kernelINS0_14default_configENS1_20scan_config_selectorIsEEZZNS1_9scan_implILNS1_25lookback_scan_determinismE0ELb0ELb0ES3_N6thrust23THRUST_200600_302600_NS6detail15normal_iteratorINS9_10device_ptrIsEEEESE_sNS9_4plusIsEEsEEDaPvRmT3_T4_T5_mT6_P12ihipStream_tbENKUlT_T0_E_clISt17integral_constantIbLb0EEST_IbLb1EEEEDaSP_SQ_EUlSP_E0_NS1_11comp_targetILNS1_3genE8ELNS1_11target_archE1030ELNS1_3gpuE2ELNS1_3repE0EEENS1_30default_config_static_selectorELNS0_4arch9wavefront6targetE1EEEvT1_,"axG",@progbits,_ZN7rocprim17ROCPRIM_400000_NS6detail17trampoline_kernelINS0_14default_configENS1_20scan_config_selectorIsEEZZNS1_9scan_implILNS1_25lookback_scan_determinismE0ELb0ELb0ES3_N6thrust23THRUST_200600_302600_NS6detail15normal_iteratorINS9_10device_ptrIsEEEESE_sNS9_4plusIsEEsEEDaPvRmT3_T4_T5_mT6_P12ihipStream_tbENKUlT_T0_E_clISt17integral_constantIbLb0EEST_IbLb1EEEEDaSP_SQ_EUlSP_E0_NS1_11comp_targetILNS1_3genE8ELNS1_11target_archE1030ELNS1_3gpuE2ELNS1_3repE0EEENS1_30default_config_static_selectorELNS0_4arch9wavefront6targetE1EEEvT1_,comdat
	.protected	_ZN7rocprim17ROCPRIM_400000_NS6detail17trampoline_kernelINS0_14default_configENS1_20scan_config_selectorIsEEZZNS1_9scan_implILNS1_25lookback_scan_determinismE0ELb0ELb0ES3_N6thrust23THRUST_200600_302600_NS6detail15normal_iteratorINS9_10device_ptrIsEEEESE_sNS9_4plusIsEEsEEDaPvRmT3_T4_T5_mT6_P12ihipStream_tbENKUlT_T0_E_clISt17integral_constantIbLb0EEST_IbLb1EEEEDaSP_SQ_EUlSP_E0_NS1_11comp_targetILNS1_3genE8ELNS1_11target_archE1030ELNS1_3gpuE2ELNS1_3repE0EEENS1_30default_config_static_selectorELNS0_4arch9wavefront6targetE1EEEvT1_ ; -- Begin function _ZN7rocprim17ROCPRIM_400000_NS6detail17trampoline_kernelINS0_14default_configENS1_20scan_config_selectorIsEEZZNS1_9scan_implILNS1_25lookback_scan_determinismE0ELb0ELb0ES3_N6thrust23THRUST_200600_302600_NS6detail15normal_iteratorINS9_10device_ptrIsEEEESE_sNS9_4plusIsEEsEEDaPvRmT3_T4_T5_mT6_P12ihipStream_tbENKUlT_T0_E_clISt17integral_constantIbLb0EEST_IbLb1EEEEDaSP_SQ_EUlSP_E0_NS1_11comp_targetILNS1_3genE8ELNS1_11target_archE1030ELNS1_3gpuE2ELNS1_3repE0EEENS1_30default_config_static_selectorELNS0_4arch9wavefront6targetE1EEEvT1_
	.globl	_ZN7rocprim17ROCPRIM_400000_NS6detail17trampoline_kernelINS0_14default_configENS1_20scan_config_selectorIsEEZZNS1_9scan_implILNS1_25lookback_scan_determinismE0ELb0ELb0ES3_N6thrust23THRUST_200600_302600_NS6detail15normal_iteratorINS9_10device_ptrIsEEEESE_sNS9_4plusIsEEsEEDaPvRmT3_T4_T5_mT6_P12ihipStream_tbENKUlT_T0_E_clISt17integral_constantIbLb0EEST_IbLb1EEEEDaSP_SQ_EUlSP_E0_NS1_11comp_targetILNS1_3genE8ELNS1_11target_archE1030ELNS1_3gpuE2ELNS1_3repE0EEENS1_30default_config_static_selectorELNS0_4arch9wavefront6targetE1EEEvT1_
	.p2align	8
	.type	_ZN7rocprim17ROCPRIM_400000_NS6detail17trampoline_kernelINS0_14default_configENS1_20scan_config_selectorIsEEZZNS1_9scan_implILNS1_25lookback_scan_determinismE0ELb0ELb0ES3_N6thrust23THRUST_200600_302600_NS6detail15normal_iteratorINS9_10device_ptrIsEEEESE_sNS9_4plusIsEEsEEDaPvRmT3_T4_T5_mT6_P12ihipStream_tbENKUlT_T0_E_clISt17integral_constantIbLb0EEST_IbLb1EEEEDaSP_SQ_EUlSP_E0_NS1_11comp_targetILNS1_3genE8ELNS1_11target_archE1030ELNS1_3gpuE2ELNS1_3repE0EEENS1_30default_config_static_selectorELNS0_4arch9wavefront6targetE1EEEvT1_,@function
_ZN7rocprim17ROCPRIM_400000_NS6detail17trampoline_kernelINS0_14default_configENS1_20scan_config_selectorIsEEZZNS1_9scan_implILNS1_25lookback_scan_determinismE0ELb0ELb0ES3_N6thrust23THRUST_200600_302600_NS6detail15normal_iteratorINS9_10device_ptrIsEEEESE_sNS9_4plusIsEEsEEDaPvRmT3_T4_T5_mT6_P12ihipStream_tbENKUlT_T0_E_clISt17integral_constantIbLb0EEST_IbLb1EEEEDaSP_SQ_EUlSP_E0_NS1_11comp_targetILNS1_3genE8ELNS1_11target_archE1030ELNS1_3gpuE2ELNS1_3repE0EEENS1_30default_config_static_selectorELNS0_4arch9wavefront6targetE1EEEvT1_: ; @_ZN7rocprim17ROCPRIM_400000_NS6detail17trampoline_kernelINS0_14default_configENS1_20scan_config_selectorIsEEZZNS1_9scan_implILNS1_25lookback_scan_determinismE0ELb0ELb0ES3_N6thrust23THRUST_200600_302600_NS6detail15normal_iteratorINS9_10device_ptrIsEEEESE_sNS9_4plusIsEEsEEDaPvRmT3_T4_T5_mT6_P12ihipStream_tbENKUlT_T0_E_clISt17integral_constantIbLb0EEST_IbLb1EEEEDaSP_SQ_EUlSP_E0_NS1_11comp_targetILNS1_3genE8ELNS1_11target_archE1030ELNS1_3gpuE2ELNS1_3repE0EEENS1_30default_config_static_selectorELNS0_4arch9wavefront6targetE1EEEvT1_
; %bb.0:
	.section	.rodata,"a",@progbits
	.p2align	6, 0x0
	.amdhsa_kernel _ZN7rocprim17ROCPRIM_400000_NS6detail17trampoline_kernelINS0_14default_configENS1_20scan_config_selectorIsEEZZNS1_9scan_implILNS1_25lookback_scan_determinismE0ELb0ELb0ES3_N6thrust23THRUST_200600_302600_NS6detail15normal_iteratorINS9_10device_ptrIsEEEESE_sNS9_4plusIsEEsEEDaPvRmT3_T4_T5_mT6_P12ihipStream_tbENKUlT_T0_E_clISt17integral_constantIbLb0EEST_IbLb1EEEEDaSP_SQ_EUlSP_E0_NS1_11comp_targetILNS1_3genE8ELNS1_11target_archE1030ELNS1_3gpuE2ELNS1_3repE0EEENS1_30default_config_static_selectorELNS0_4arch9wavefront6targetE1EEEvT1_
		.amdhsa_group_segment_fixed_size 0
		.amdhsa_private_segment_fixed_size 0
		.amdhsa_kernarg_size 32
		.amdhsa_user_sgpr_count 6
		.amdhsa_user_sgpr_private_segment_buffer 1
		.amdhsa_user_sgpr_dispatch_ptr 0
		.amdhsa_user_sgpr_queue_ptr 0
		.amdhsa_user_sgpr_kernarg_segment_ptr 1
		.amdhsa_user_sgpr_dispatch_id 0
		.amdhsa_user_sgpr_flat_scratch_init 0
		.amdhsa_user_sgpr_kernarg_preload_length 0
		.amdhsa_user_sgpr_kernarg_preload_offset 0
		.amdhsa_user_sgpr_private_segment_size 0
		.amdhsa_uses_dynamic_stack 0
		.amdhsa_system_sgpr_private_segment_wavefront_offset 0
		.amdhsa_system_sgpr_workgroup_id_x 1
		.amdhsa_system_sgpr_workgroup_id_y 0
		.amdhsa_system_sgpr_workgroup_id_z 0
		.amdhsa_system_sgpr_workgroup_info 0
		.amdhsa_system_vgpr_workitem_id 0
		.amdhsa_next_free_vgpr 1
		.amdhsa_next_free_sgpr 0
		.amdhsa_accum_offset 4
		.amdhsa_reserve_vcc 0
		.amdhsa_reserve_flat_scratch 0
		.amdhsa_float_round_mode_32 0
		.amdhsa_float_round_mode_16_64 0
		.amdhsa_float_denorm_mode_32 3
		.amdhsa_float_denorm_mode_16_64 3
		.amdhsa_dx10_clamp 1
		.amdhsa_ieee_mode 1
		.amdhsa_fp16_overflow 0
		.amdhsa_tg_split 0
		.amdhsa_exception_fp_ieee_invalid_op 0
		.amdhsa_exception_fp_denorm_src 0
		.amdhsa_exception_fp_ieee_div_zero 0
		.amdhsa_exception_fp_ieee_overflow 0
		.amdhsa_exception_fp_ieee_underflow 0
		.amdhsa_exception_fp_ieee_inexact 0
		.amdhsa_exception_int_div_zero 0
	.end_amdhsa_kernel
	.section	.text._ZN7rocprim17ROCPRIM_400000_NS6detail17trampoline_kernelINS0_14default_configENS1_20scan_config_selectorIsEEZZNS1_9scan_implILNS1_25lookback_scan_determinismE0ELb0ELb0ES3_N6thrust23THRUST_200600_302600_NS6detail15normal_iteratorINS9_10device_ptrIsEEEESE_sNS9_4plusIsEEsEEDaPvRmT3_T4_T5_mT6_P12ihipStream_tbENKUlT_T0_E_clISt17integral_constantIbLb0EEST_IbLb1EEEEDaSP_SQ_EUlSP_E0_NS1_11comp_targetILNS1_3genE8ELNS1_11target_archE1030ELNS1_3gpuE2ELNS1_3repE0EEENS1_30default_config_static_selectorELNS0_4arch9wavefront6targetE1EEEvT1_,"axG",@progbits,_ZN7rocprim17ROCPRIM_400000_NS6detail17trampoline_kernelINS0_14default_configENS1_20scan_config_selectorIsEEZZNS1_9scan_implILNS1_25lookback_scan_determinismE0ELb0ELb0ES3_N6thrust23THRUST_200600_302600_NS6detail15normal_iteratorINS9_10device_ptrIsEEEESE_sNS9_4plusIsEEsEEDaPvRmT3_T4_T5_mT6_P12ihipStream_tbENKUlT_T0_E_clISt17integral_constantIbLb0EEST_IbLb1EEEEDaSP_SQ_EUlSP_E0_NS1_11comp_targetILNS1_3genE8ELNS1_11target_archE1030ELNS1_3gpuE2ELNS1_3repE0EEENS1_30default_config_static_selectorELNS0_4arch9wavefront6targetE1EEEvT1_,comdat
.Lfunc_end1122:
	.size	_ZN7rocprim17ROCPRIM_400000_NS6detail17trampoline_kernelINS0_14default_configENS1_20scan_config_selectorIsEEZZNS1_9scan_implILNS1_25lookback_scan_determinismE0ELb0ELb0ES3_N6thrust23THRUST_200600_302600_NS6detail15normal_iteratorINS9_10device_ptrIsEEEESE_sNS9_4plusIsEEsEEDaPvRmT3_T4_T5_mT6_P12ihipStream_tbENKUlT_T0_E_clISt17integral_constantIbLb0EEST_IbLb1EEEEDaSP_SQ_EUlSP_E0_NS1_11comp_targetILNS1_3genE8ELNS1_11target_archE1030ELNS1_3gpuE2ELNS1_3repE0EEENS1_30default_config_static_selectorELNS0_4arch9wavefront6targetE1EEEvT1_, .Lfunc_end1122-_ZN7rocprim17ROCPRIM_400000_NS6detail17trampoline_kernelINS0_14default_configENS1_20scan_config_selectorIsEEZZNS1_9scan_implILNS1_25lookback_scan_determinismE0ELb0ELb0ES3_N6thrust23THRUST_200600_302600_NS6detail15normal_iteratorINS9_10device_ptrIsEEEESE_sNS9_4plusIsEEsEEDaPvRmT3_T4_T5_mT6_P12ihipStream_tbENKUlT_T0_E_clISt17integral_constantIbLb0EEST_IbLb1EEEEDaSP_SQ_EUlSP_E0_NS1_11comp_targetILNS1_3genE8ELNS1_11target_archE1030ELNS1_3gpuE2ELNS1_3repE0EEENS1_30default_config_static_selectorELNS0_4arch9wavefront6targetE1EEEvT1_
                                        ; -- End function
	.section	.AMDGPU.csdata,"",@progbits
; Kernel info:
; codeLenInByte = 0
; NumSgprs: 4
; NumVgprs: 0
; NumAgprs: 0
; TotalNumVgprs: 0
; ScratchSize: 0
; MemoryBound: 0
; FloatMode: 240
; IeeeMode: 1
; LDSByteSize: 0 bytes/workgroup (compile time only)
; SGPRBlocks: 0
; VGPRBlocks: 0
; NumSGPRsForWavesPerEU: 4
; NumVGPRsForWavesPerEU: 1
; AccumOffset: 4
; Occupancy: 8
; WaveLimiterHint : 0
; COMPUTE_PGM_RSRC2:SCRATCH_EN: 0
; COMPUTE_PGM_RSRC2:USER_SGPR: 6
; COMPUTE_PGM_RSRC2:TRAP_HANDLER: 0
; COMPUTE_PGM_RSRC2:TGID_X_EN: 1
; COMPUTE_PGM_RSRC2:TGID_Y_EN: 0
; COMPUTE_PGM_RSRC2:TGID_Z_EN: 0
; COMPUTE_PGM_RSRC2:TIDIG_COMP_CNT: 0
; COMPUTE_PGM_RSRC3_GFX90A:ACCUM_OFFSET: 0
; COMPUTE_PGM_RSRC3_GFX90A:TG_SPLIT: 0
	.section	.text._ZN7rocprim17ROCPRIM_400000_NS6detail17trampoline_kernelINS0_14default_configENS1_20scan_config_selectorIsEEZZNS1_9scan_implILNS1_25lookback_scan_determinismE0ELb0ELb1ES3_N6thrust23THRUST_200600_302600_NS6detail15normal_iteratorINS9_10device_ptrIsEEEESE_sNS9_10multipliesIsEEsEEDaPvRmT3_T4_T5_mT6_P12ihipStream_tbENKUlT_T0_E_clISt17integral_constantIbLb0EESU_EEDaSP_SQ_EUlSP_E_NS1_11comp_targetILNS1_3genE0ELNS1_11target_archE4294967295ELNS1_3gpuE0ELNS1_3repE0EEENS1_30default_config_static_selectorELNS0_4arch9wavefront6targetE1EEEvT1_,"axG",@progbits,_ZN7rocprim17ROCPRIM_400000_NS6detail17trampoline_kernelINS0_14default_configENS1_20scan_config_selectorIsEEZZNS1_9scan_implILNS1_25lookback_scan_determinismE0ELb0ELb1ES3_N6thrust23THRUST_200600_302600_NS6detail15normal_iteratorINS9_10device_ptrIsEEEESE_sNS9_10multipliesIsEEsEEDaPvRmT3_T4_T5_mT6_P12ihipStream_tbENKUlT_T0_E_clISt17integral_constantIbLb0EESU_EEDaSP_SQ_EUlSP_E_NS1_11comp_targetILNS1_3genE0ELNS1_11target_archE4294967295ELNS1_3gpuE0ELNS1_3repE0EEENS1_30default_config_static_selectorELNS0_4arch9wavefront6targetE1EEEvT1_,comdat
	.protected	_ZN7rocprim17ROCPRIM_400000_NS6detail17trampoline_kernelINS0_14default_configENS1_20scan_config_selectorIsEEZZNS1_9scan_implILNS1_25lookback_scan_determinismE0ELb0ELb1ES3_N6thrust23THRUST_200600_302600_NS6detail15normal_iteratorINS9_10device_ptrIsEEEESE_sNS9_10multipliesIsEEsEEDaPvRmT3_T4_T5_mT6_P12ihipStream_tbENKUlT_T0_E_clISt17integral_constantIbLb0EESU_EEDaSP_SQ_EUlSP_E_NS1_11comp_targetILNS1_3genE0ELNS1_11target_archE4294967295ELNS1_3gpuE0ELNS1_3repE0EEENS1_30default_config_static_selectorELNS0_4arch9wavefront6targetE1EEEvT1_ ; -- Begin function _ZN7rocprim17ROCPRIM_400000_NS6detail17trampoline_kernelINS0_14default_configENS1_20scan_config_selectorIsEEZZNS1_9scan_implILNS1_25lookback_scan_determinismE0ELb0ELb1ES3_N6thrust23THRUST_200600_302600_NS6detail15normal_iteratorINS9_10device_ptrIsEEEESE_sNS9_10multipliesIsEEsEEDaPvRmT3_T4_T5_mT6_P12ihipStream_tbENKUlT_T0_E_clISt17integral_constantIbLb0EESU_EEDaSP_SQ_EUlSP_E_NS1_11comp_targetILNS1_3genE0ELNS1_11target_archE4294967295ELNS1_3gpuE0ELNS1_3repE0EEENS1_30default_config_static_selectorELNS0_4arch9wavefront6targetE1EEEvT1_
	.globl	_ZN7rocprim17ROCPRIM_400000_NS6detail17trampoline_kernelINS0_14default_configENS1_20scan_config_selectorIsEEZZNS1_9scan_implILNS1_25lookback_scan_determinismE0ELb0ELb1ES3_N6thrust23THRUST_200600_302600_NS6detail15normal_iteratorINS9_10device_ptrIsEEEESE_sNS9_10multipliesIsEEsEEDaPvRmT3_T4_T5_mT6_P12ihipStream_tbENKUlT_T0_E_clISt17integral_constantIbLb0EESU_EEDaSP_SQ_EUlSP_E_NS1_11comp_targetILNS1_3genE0ELNS1_11target_archE4294967295ELNS1_3gpuE0ELNS1_3repE0EEENS1_30default_config_static_selectorELNS0_4arch9wavefront6targetE1EEEvT1_
	.p2align	8
	.type	_ZN7rocprim17ROCPRIM_400000_NS6detail17trampoline_kernelINS0_14default_configENS1_20scan_config_selectorIsEEZZNS1_9scan_implILNS1_25lookback_scan_determinismE0ELb0ELb1ES3_N6thrust23THRUST_200600_302600_NS6detail15normal_iteratorINS9_10device_ptrIsEEEESE_sNS9_10multipliesIsEEsEEDaPvRmT3_T4_T5_mT6_P12ihipStream_tbENKUlT_T0_E_clISt17integral_constantIbLb0EESU_EEDaSP_SQ_EUlSP_E_NS1_11comp_targetILNS1_3genE0ELNS1_11target_archE4294967295ELNS1_3gpuE0ELNS1_3repE0EEENS1_30default_config_static_selectorELNS0_4arch9wavefront6targetE1EEEvT1_,@function
_ZN7rocprim17ROCPRIM_400000_NS6detail17trampoline_kernelINS0_14default_configENS1_20scan_config_selectorIsEEZZNS1_9scan_implILNS1_25lookback_scan_determinismE0ELb0ELb1ES3_N6thrust23THRUST_200600_302600_NS6detail15normal_iteratorINS9_10device_ptrIsEEEESE_sNS9_10multipliesIsEEsEEDaPvRmT3_T4_T5_mT6_P12ihipStream_tbENKUlT_T0_E_clISt17integral_constantIbLb0EESU_EEDaSP_SQ_EUlSP_E_NS1_11comp_targetILNS1_3genE0ELNS1_11target_archE4294967295ELNS1_3gpuE0ELNS1_3repE0EEENS1_30default_config_static_selectorELNS0_4arch9wavefront6targetE1EEEvT1_: ; @_ZN7rocprim17ROCPRIM_400000_NS6detail17trampoline_kernelINS0_14default_configENS1_20scan_config_selectorIsEEZZNS1_9scan_implILNS1_25lookback_scan_determinismE0ELb0ELb1ES3_N6thrust23THRUST_200600_302600_NS6detail15normal_iteratorINS9_10device_ptrIsEEEESE_sNS9_10multipliesIsEEsEEDaPvRmT3_T4_T5_mT6_P12ihipStream_tbENKUlT_T0_E_clISt17integral_constantIbLb0EESU_EEDaSP_SQ_EUlSP_E_NS1_11comp_targetILNS1_3genE0ELNS1_11target_archE4294967295ELNS1_3gpuE0ELNS1_3repE0EEENS1_30default_config_static_selectorELNS0_4arch9wavefront6targetE1EEEvT1_
; %bb.0:
	.section	.rodata,"a",@progbits
	.p2align	6, 0x0
	.amdhsa_kernel _ZN7rocprim17ROCPRIM_400000_NS6detail17trampoline_kernelINS0_14default_configENS1_20scan_config_selectorIsEEZZNS1_9scan_implILNS1_25lookback_scan_determinismE0ELb0ELb1ES3_N6thrust23THRUST_200600_302600_NS6detail15normal_iteratorINS9_10device_ptrIsEEEESE_sNS9_10multipliesIsEEsEEDaPvRmT3_T4_T5_mT6_P12ihipStream_tbENKUlT_T0_E_clISt17integral_constantIbLb0EESU_EEDaSP_SQ_EUlSP_E_NS1_11comp_targetILNS1_3genE0ELNS1_11target_archE4294967295ELNS1_3gpuE0ELNS1_3repE0EEENS1_30default_config_static_selectorELNS0_4arch9wavefront6targetE1EEEvT1_
		.amdhsa_group_segment_fixed_size 0
		.amdhsa_private_segment_fixed_size 0
		.amdhsa_kernarg_size 96
		.amdhsa_user_sgpr_count 6
		.amdhsa_user_sgpr_private_segment_buffer 1
		.amdhsa_user_sgpr_dispatch_ptr 0
		.amdhsa_user_sgpr_queue_ptr 0
		.amdhsa_user_sgpr_kernarg_segment_ptr 1
		.amdhsa_user_sgpr_dispatch_id 0
		.amdhsa_user_sgpr_flat_scratch_init 0
		.amdhsa_user_sgpr_kernarg_preload_length 0
		.amdhsa_user_sgpr_kernarg_preload_offset 0
		.amdhsa_user_sgpr_private_segment_size 0
		.amdhsa_uses_dynamic_stack 0
		.amdhsa_system_sgpr_private_segment_wavefront_offset 0
		.amdhsa_system_sgpr_workgroup_id_x 1
		.amdhsa_system_sgpr_workgroup_id_y 0
		.amdhsa_system_sgpr_workgroup_id_z 0
		.amdhsa_system_sgpr_workgroup_info 0
		.amdhsa_system_vgpr_workitem_id 0
		.amdhsa_next_free_vgpr 1
		.amdhsa_next_free_sgpr 0
		.amdhsa_accum_offset 4
		.amdhsa_reserve_vcc 0
		.amdhsa_reserve_flat_scratch 0
		.amdhsa_float_round_mode_32 0
		.amdhsa_float_round_mode_16_64 0
		.amdhsa_float_denorm_mode_32 3
		.amdhsa_float_denorm_mode_16_64 3
		.amdhsa_dx10_clamp 1
		.amdhsa_ieee_mode 1
		.amdhsa_fp16_overflow 0
		.amdhsa_tg_split 0
		.amdhsa_exception_fp_ieee_invalid_op 0
		.amdhsa_exception_fp_denorm_src 0
		.amdhsa_exception_fp_ieee_div_zero 0
		.amdhsa_exception_fp_ieee_overflow 0
		.amdhsa_exception_fp_ieee_underflow 0
		.amdhsa_exception_fp_ieee_inexact 0
		.amdhsa_exception_int_div_zero 0
	.end_amdhsa_kernel
	.section	.text._ZN7rocprim17ROCPRIM_400000_NS6detail17trampoline_kernelINS0_14default_configENS1_20scan_config_selectorIsEEZZNS1_9scan_implILNS1_25lookback_scan_determinismE0ELb0ELb1ES3_N6thrust23THRUST_200600_302600_NS6detail15normal_iteratorINS9_10device_ptrIsEEEESE_sNS9_10multipliesIsEEsEEDaPvRmT3_T4_T5_mT6_P12ihipStream_tbENKUlT_T0_E_clISt17integral_constantIbLb0EESU_EEDaSP_SQ_EUlSP_E_NS1_11comp_targetILNS1_3genE0ELNS1_11target_archE4294967295ELNS1_3gpuE0ELNS1_3repE0EEENS1_30default_config_static_selectorELNS0_4arch9wavefront6targetE1EEEvT1_,"axG",@progbits,_ZN7rocprim17ROCPRIM_400000_NS6detail17trampoline_kernelINS0_14default_configENS1_20scan_config_selectorIsEEZZNS1_9scan_implILNS1_25lookback_scan_determinismE0ELb0ELb1ES3_N6thrust23THRUST_200600_302600_NS6detail15normal_iteratorINS9_10device_ptrIsEEEESE_sNS9_10multipliesIsEEsEEDaPvRmT3_T4_T5_mT6_P12ihipStream_tbENKUlT_T0_E_clISt17integral_constantIbLb0EESU_EEDaSP_SQ_EUlSP_E_NS1_11comp_targetILNS1_3genE0ELNS1_11target_archE4294967295ELNS1_3gpuE0ELNS1_3repE0EEENS1_30default_config_static_selectorELNS0_4arch9wavefront6targetE1EEEvT1_,comdat
.Lfunc_end1123:
	.size	_ZN7rocprim17ROCPRIM_400000_NS6detail17trampoline_kernelINS0_14default_configENS1_20scan_config_selectorIsEEZZNS1_9scan_implILNS1_25lookback_scan_determinismE0ELb0ELb1ES3_N6thrust23THRUST_200600_302600_NS6detail15normal_iteratorINS9_10device_ptrIsEEEESE_sNS9_10multipliesIsEEsEEDaPvRmT3_T4_T5_mT6_P12ihipStream_tbENKUlT_T0_E_clISt17integral_constantIbLb0EESU_EEDaSP_SQ_EUlSP_E_NS1_11comp_targetILNS1_3genE0ELNS1_11target_archE4294967295ELNS1_3gpuE0ELNS1_3repE0EEENS1_30default_config_static_selectorELNS0_4arch9wavefront6targetE1EEEvT1_, .Lfunc_end1123-_ZN7rocprim17ROCPRIM_400000_NS6detail17trampoline_kernelINS0_14default_configENS1_20scan_config_selectorIsEEZZNS1_9scan_implILNS1_25lookback_scan_determinismE0ELb0ELb1ES3_N6thrust23THRUST_200600_302600_NS6detail15normal_iteratorINS9_10device_ptrIsEEEESE_sNS9_10multipliesIsEEsEEDaPvRmT3_T4_T5_mT6_P12ihipStream_tbENKUlT_T0_E_clISt17integral_constantIbLb0EESU_EEDaSP_SQ_EUlSP_E_NS1_11comp_targetILNS1_3genE0ELNS1_11target_archE4294967295ELNS1_3gpuE0ELNS1_3repE0EEENS1_30default_config_static_selectorELNS0_4arch9wavefront6targetE1EEEvT1_
                                        ; -- End function
	.section	.AMDGPU.csdata,"",@progbits
; Kernel info:
; codeLenInByte = 0
; NumSgprs: 4
; NumVgprs: 0
; NumAgprs: 0
; TotalNumVgprs: 0
; ScratchSize: 0
; MemoryBound: 0
; FloatMode: 240
; IeeeMode: 1
; LDSByteSize: 0 bytes/workgroup (compile time only)
; SGPRBlocks: 0
; VGPRBlocks: 0
; NumSGPRsForWavesPerEU: 4
; NumVGPRsForWavesPerEU: 1
; AccumOffset: 4
; Occupancy: 8
; WaveLimiterHint : 0
; COMPUTE_PGM_RSRC2:SCRATCH_EN: 0
; COMPUTE_PGM_RSRC2:USER_SGPR: 6
; COMPUTE_PGM_RSRC2:TRAP_HANDLER: 0
; COMPUTE_PGM_RSRC2:TGID_X_EN: 1
; COMPUTE_PGM_RSRC2:TGID_Y_EN: 0
; COMPUTE_PGM_RSRC2:TGID_Z_EN: 0
; COMPUTE_PGM_RSRC2:TIDIG_COMP_CNT: 0
; COMPUTE_PGM_RSRC3_GFX90A:ACCUM_OFFSET: 0
; COMPUTE_PGM_RSRC3_GFX90A:TG_SPLIT: 0
	.section	.text._ZN7rocprim17ROCPRIM_400000_NS6detail17trampoline_kernelINS0_14default_configENS1_20scan_config_selectorIsEEZZNS1_9scan_implILNS1_25lookback_scan_determinismE0ELb0ELb1ES3_N6thrust23THRUST_200600_302600_NS6detail15normal_iteratorINS9_10device_ptrIsEEEESE_sNS9_10multipliesIsEEsEEDaPvRmT3_T4_T5_mT6_P12ihipStream_tbENKUlT_T0_E_clISt17integral_constantIbLb0EESU_EEDaSP_SQ_EUlSP_E_NS1_11comp_targetILNS1_3genE5ELNS1_11target_archE942ELNS1_3gpuE9ELNS1_3repE0EEENS1_30default_config_static_selectorELNS0_4arch9wavefront6targetE1EEEvT1_,"axG",@progbits,_ZN7rocprim17ROCPRIM_400000_NS6detail17trampoline_kernelINS0_14default_configENS1_20scan_config_selectorIsEEZZNS1_9scan_implILNS1_25lookback_scan_determinismE0ELb0ELb1ES3_N6thrust23THRUST_200600_302600_NS6detail15normal_iteratorINS9_10device_ptrIsEEEESE_sNS9_10multipliesIsEEsEEDaPvRmT3_T4_T5_mT6_P12ihipStream_tbENKUlT_T0_E_clISt17integral_constantIbLb0EESU_EEDaSP_SQ_EUlSP_E_NS1_11comp_targetILNS1_3genE5ELNS1_11target_archE942ELNS1_3gpuE9ELNS1_3repE0EEENS1_30default_config_static_selectorELNS0_4arch9wavefront6targetE1EEEvT1_,comdat
	.protected	_ZN7rocprim17ROCPRIM_400000_NS6detail17trampoline_kernelINS0_14default_configENS1_20scan_config_selectorIsEEZZNS1_9scan_implILNS1_25lookback_scan_determinismE0ELb0ELb1ES3_N6thrust23THRUST_200600_302600_NS6detail15normal_iteratorINS9_10device_ptrIsEEEESE_sNS9_10multipliesIsEEsEEDaPvRmT3_T4_T5_mT6_P12ihipStream_tbENKUlT_T0_E_clISt17integral_constantIbLb0EESU_EEDaSP_SQ_EUlSP_E_NS1_11comp_targetILNS1_3genE5ELNS1_11target_archE942ELNS1_3gpuE9ELNS1_3repE0EEENS1_30default_config_static_selectorELNS0_4arch9wavefront6targetE1EEEvT1_ ; -- Begin function _ZN7rocprim17ROCPRIM_400000_NS6detail17trampoline_kernelINS0_14default_configENS1_20scan_config_selectorIsEEZZNS1_9scan_implILNS1_25lookback_scan_determinismE0ELb0ELb1ES3_N6thrust23THRUST_200600_302600_NS6detail15normal_iteratorINS9_10device_ptrIsEEEESE_sNS9_10multipliesIsEEsEEDaPvRmT3_T4_T5_mT6_P12ihipStream_tbENKUlT_T0_E_clISt17integral_constantIbLb0EESU_EEDaSP_SQ_EUlSP_E_NS1_11comp_targetILNS1_3genE5ELNS1_11target_archE942ELNS1_3gpuE9ELNS1_3repE0EEENS1_30default_config_static_selectorELNS0_4arch9wavefront6targetE1EEEvT1_
	.globl	_ZN7rocprim17ROCPRIM_400000_NS6detail17trampoline_kernelINS0_14default_configENS1_20scan_config_selectorIsEEZZNS1_9scan_implILNS1_25lookback_scan_determinismE0ELb0ELb1ES3_N6thrust23THRUST_200600_302600_NS6detail15normal_iteratorINS9_10device_ptrIsEEEESE_sNS9_10multipliesIsEEsEEDaPvRmT3_T4_T5_mT6_P12ihipStream_tbENKUlT_T0_E_clISt17integral_constantIbLb0EESU_EEDaSP_SQ_EUlSP_E_NS1_11comp_targetILNS1_3genE5ELNS1_11target_archE942ELNS1_3gpuE9ELNS1_3repE0EEENS1_30default_config_static_selectorELNS0_4arch9wavefront6targetE1EEEvT1_
	.p2align	8
	.type	_ZN7rocprim17ROCPRIM_400000_NS6detail17trampoline_kernelINS0_14default_configENS1_20scan_config_selectorIsEEZZNS1_9scan_implILNS1_25lookback_scan_determinismE0ELb0ELb1ES3_N6thrust23THRUST_200600_302600_NS6detail15normal_iteratorINS9_10device_ptrIsEEEESE_sNS9_10multipliesIsEEsEEDaPvRmT3_T4_T5_mT6_P12ihipStream_tbENKUlT_T0_E_clISt17integral_constantIbLb0EESU_EEDaSP_SQ_EUlSP_E_NS1_11comp_targetILNS1_3genE5ELNS1_11target_archE942ELNS1_3gpuE9ELNS1_3repE0EEENS1_30default_config_static_selectorELNS0_4arch9wavefront6targetE1EEEvT1_,@function
_ZN7rocprim17ROCPRIM_400000_NS6detail17trampoline_kernelINS0_14default_configENS1_20scan_config_selectorIsEEZZNS1_9scan_implILNS1_25lookback_scan_determinismE0ELb0ELb1ES3_N6thrust23THRUST_200600_302600_NS6detail15normal_iteratorINS9_10device_ptrIsEEEESE_sNS9_10multipliesIsEEsEEDaPvRmT3_T4_T5_mT6_P12ihipStream_tbENKUlT_T0_E_clISt17integral_constantIbLb0EESU_EEDaSP_SQ_EUlSP_E_NS1_11comp_targetILNS1_3genE5ELNS1_11target_archE942ELNS1_3gpuE9ELNS1_3repE0EEENS1_30default_config_static_selectorELNS0_4arch9wavefront6targetE1EEEvT1_: ; @_ZN7rocprim17ROCPRIM_400000_NS6detail17trampoline_kernelINS0_14default_configENS1_20scan_config_selectorIsEEZZNS1_9scan_implILNS1_25lookback_scan_determinismE0ELb0ELb1ES3_N6thrust23THRUST_200600_302600_NS6detail15normal_iteratorINS9_10device_ptrIsEEEESE_sNS9_10multipliesIsEEsEEDaPvRmT3_T4_T5_mT6_P12ihipStream_tbENKUlT_T0_E_clISt17integral_constantIbLb0EESU_EEDaSP_SQ_EUlSP_E_NS1_11comp_targetILNS1_3genE5ELNS1_11target_archE942ELNS1_3gpuE9ELNS1_3repE0EEENS1_30default_config_static_selectorELNS0_4arch9wavefront6targetE1EEEvT1_
; %bb.0:
	.section	.rodata,"a",@progbits
	.p2align	6, 0x0
	.amdhsa_kernel _ZN7rocprim17ROCPRIM_400000_NS6detail17trampoline_kernelINS0_14default_configENS1_20scan_config_selectorIsEEZZNS1_9scan_implILNS1_25lookback_scan_determinismE0ELb0ELb1ES3_N6thrust23THRUST_200600_302600_NS6detail15normal_iteratorINS9_10device_ptrIsEEEESE_sNS9_10multipliesIsEEsEEDaPvRmT3_T4_T5_mT6_P12ihipStream_tbENKUlT_T0_E_clISt17integral_constantIbLb0EESU_EEDaSP_SQ_EUlSP_E_NS1_11comp_targetILNS1_3genE5ELNS1_11target_archE942ELNS1_3gpuE9ELNS1_3repE0EEENS1_30default_config_static_selectorELNS0_4arch9wavefront6targetE1EEEvT1_
		.amdhsa_group_segment_fixed_size 0
		.amdhsa_private_segment_fixed_size 0
		.amdhsa_kernarg_size 96
		.amdhsa_user_sgpr_count 6
		.amdhsa_user_sgpr_private_segment_buffer 1
		.amdhsa_user_sgpr_dispatch_ptr 0
		.amdhsa_user_sgpr_queue_ptr 0
		.amdhsa_user_sgpr_kernarg_segment_ptr 1
		.amdhsa_user_sgpr_dispatch_id 0
		.amdhsa_user_sgpr_flat_scratch_init 0
		.amdhsa_user_sgpr_kernarg_preload_length 0
		.amdhsa_user_sgpr_kernarg_preload_offset 0
		.amdhsa_user_sgpr_private_segment_size 0
		.amdhsa_uses_dynamic_stack 0
		.amdhsa_system_sgpr_private_segment_wavefront_offset 0
		.amdhsa_system_sgpr_workgroup_id_x 1
		.amdhsa_system_sgpr_workgroup_id_y 0
		.amdhsa_system_sgpr_workgroup_id_z 0
		.amdhsa_system_sgpr_workgroup_info 0
		.amdhsa_system_vgpr_workitem_id 0
		.amdhsa_next_free_vgpr 1
		.amdhsa_next_free_sgpr 0
		.amdhsa_accum_offset 4
		.amdhsa_reserve_vcc 0
		.amdhsa_reserve_flat_scratch 0
		.amdhsa_float_round_mode_32 0
		.amdhsa_float_round_mode_16_64 0
		.amdhsa_float_denorm_mode_32 3
		.amdhsa_float_denorm_mode_16_64 3
		.amdhsa_dx10_clamp 1
		.amdhsa_ieee_mode 1
		.amdhsa_fp16_overflow 0
		.amdhsa_tg_split 0
		.amdhsa_exception_fp_ieee_invalid_op 0
		.amdhsa_exception_fp_denorm_src 0
		.amdhsa_exception_fp_ieee_div_zero 0
		.amdhsa_exception_fp_ieee_overflow 0
		.amdhsa_exception_fp_ieee_underflow 0
		.amdhsa_exception_fp_ieee_inexact 0
		.amdhsa_exception_int_div_zero 0
	.end_amdhsa_kernel
	.section	.text._ZN7rocprim17ROCPRIM_400000_NS6detail17trampoline_kernelINS0_14default_configENS1_20scan_config_selectorIsEEZZNS1_9scan_implILNS1_25lookback_scan_determinismE0ELb0ELb1ES3_N6thrust23THRUST_200600_302600_NS6detail15normal_iteratorINS9_10device_ptrIsEEEESE_sNS9_10multipliesIsEEsEEDaPvRmT3_T4_T5_mT6_P12ihipStream_tbENKUlT_T0_E_clISt17integral_constantIbLb0EESU_EEDaSP_SQ_EUlSP_E_NS1_11comp_targetILNS1_3genE5ELNS1_11target_archE942ELNS1_3gpuE9ELNS1_3repE0EEENS1_30default_config_static_selectorELNS0_4arch9wavefront6targetE1EEEvT1_,"axG",@progbits,_ZN7rocprim17ROCPRIM_400000_NS6detail17trampoline_kernelINS0_14default_configENS1_20scan_config_selectorIsEEZZNS1_9scan_implILNS1_25lookback_scan_determinismE0ELb0ELb1ES3_N6thrust23THRUST_200600_302600_NS6detail15normal_iteratorINS9_10device_ptrIsEEEESE_sNS9_10multipliesIsEEsEEDaPvRmT3_T4_T5_mT6_P12ihipStream_tbENKUlT_T0_E_clISt17integral_constantIbLb0EESU_EEDaSP_SQ_EUlSP_E_NS1_11comp_targetILNS1_3genE5ELNS1_11target_archE942ELNS1_3gpuE9ELNS1_3repE0EEENS1_30default_config_static_selectorELNS0_4arch9wavefront6targetE1EEEvT1_,comdat
.Lfunc_end1124:
	.size	_ZN7rocprim17ROCPRIM_400000_NS6detail17trampoline_kernelINS0_14default_configENS1_20scan_config_selectorIsEEZZNS1_9scan_implILNS1_25lookback_scan_determinismE0ELb0ELb1ES3_N6thrust23THRUST_200600_302600_NS6detail15normal_iteratorINS9_10device_ptrIsEEEESE_sNS9_10multipliesIsEEsEEDaPvRmT3_T4_T5_mT6_P12ihipStream_tbENKUlT_T0_E_clISt17integral_constantIbLb0EESU_EEDaSP_SQ_EUlSP_E_NS1_11comp_targetILNS1_3genE5ELNS1_11target_archE942ELNS1_3gpuE9ELNS1_3repE0EEENS1_30default_config_static_selectorELNS0_4arch9wavefront6targetE1EEEvT1_, .Lfunc_end1124-_ZN7rocprim17ROCPRIM_400000_NS6detail17trampoline_kernelINS0_14default_configENS1_20scan_config_selectorIsEEZZNS1_9scan_implILNS1_25lookback_scan_determinismE0ELb0ELb1ES3_N6thrust23THRUST_200600_302600_NS6detail15normal_iteratorINS9_10device_ptrIsEEEESE_sNS9_10multipliesIsEEsEEDaPvRmT3_T4_T5_mT6_P12ihipStream_tbENKUlT_T0_E_clISt17integral_constantIbLb0EESU_EEDaSP_SQ_EUlSP_E_NS1_11comp_targetILNS1_3genE5ELNS1_11target_archE942ELNS1_3gpuE9ELNS1_3repE0EEENS1_30default_config_static_selectorELNS0_4arch9wavefront6targetE1EEEvT1_
                                        ; -- End function
	.section	.AMDGPU.csdata,"",@progbits
; Kernel info:
; codeLenInByte = 0
; NumSgprs: 4
; NumVgprs: 0
; NumAgprs: 0
; TotalNumVgprs: 0
; ScratchSize: 0
; MemoryBound: 0
; FloatMode: 240
; IeeeMode: 1
; LDSByteSize: 0 bytes/workgroup (compile time only)
; SGPRBlocks: 0
; VGPRBlocks: 0
; NumSGPRsForWavesPerEU: 4
; NumVGPRsForWavesPerEU: 1
; AccumOffset: 4
; Occupancy: 8
; WaveLimiterHint : 0
; COMPUTE_PGM_RSRC2:SCRATCH_EN: 0
; COMPUTE_PGM_RSRC2:USER_SGPR: 6
; COMPUTE_PGM_RSRC2:TRAP_HANDLER: 0
; COMPUTE_PGM_RSRC2:TGID_X_EN: 1
; COMPUTE_PGM_RSRC2:TGID_Y_EN: 0
; COMPUTE_PGM_RSRC2:TGID_Z_EN: 0
; COMPUTE_PGM_RSRC2:TIDIG_COMP_CNT: 0
; COMPUTE_PGM_RSRC3_GFX90A:ACCUM_OFFSET: 0
; COMPUTE_PGM_RSRC3_GFX90A:TG_SPLIT: 0
	.section	.text._ZN7rocprim17ROCPRIM_400000_NS6detail17trampoline_kernelINS0_14default_configENS1_20scan_config_selectorIsEEZZNS1_9scan_implILNS1_25lookback_scan_determinismE0ELb0ELb1ES3_N6thrust23THRUST_200600_302600_NS6detail15normal_iteratorINS9_10device_ptrIsEEEESE_sNS9_10multipliesIsEEsEEDaPvRmT3_T4_T5_mT6_P12ihipStream_tbENKUlT_T0_E_clISt17integral_constantIbLb0EESU_EEDaSP_SQ_EUlSP_E_NS1_11comp_targetILNS1_3genE4ELNS1_11target_archE910ELNS1_3gpuE8ELNS1_3repE0EEENS1_30default_config_static_selectorELNS0_4arch9wavefront6targetE1EEEvT1_,"axG",@progbits,_ZN7rocprim17ROCPRIM_400000_NS6detail17trampoline_kernelINS0_14default_configENS1_20scan_config_selectorIsEEZZNS1_9scan_implILNS1_25lookback_scan_determinismE0ELb0ELb1ES3_N6thrust23THRUST_200600_302600_NS6detail15normal_iteratorINS9_10device_ptrIsEEEESE_sNS9_10multipliesIsEEsEEDaPvRmT3_T4_T5_mT6_P12ihipStream_tbENKUlT_T0_E_clISt17integral_constantIbLb0EESU_EEDaSP_SQ_EUlSP_E_NS1_11comp_targetILNS1_3genE4ELNS1_11target_archE910ELNS1_3gpuE8ELNS1_3repE0EEENS1_30default_config_static_selectorELNS0_4arch9wavefront6targetE1EEEvT1_,comdat
	.protected	_ZN7rocprim17ROCPRIM_400000_NS6detail17trampoline_kernelINS0_14default_configENS1_20scan_config_selectorIsEEZZNS1_9scan_implILNS1_25lookback_scan_determinismE0ELb0ELb1ES3_N6thrust23THRUST_200600_302600_NS6detail15normal_iteratorINS9_10device_ptrIsEEEESE_sNS9_10multipliesIsEEsEEDaPvRmT3_T4_T5_mT6_P12ihipStream_tbENKUlT_T0_E_clISt17integral_constantIbLb0EESU_EEDaSP_SQ_EUlSP_E_NS1_11comp_targetILNS1_3genE4ELNS1_11target_archE910ELNS1_3gpuE8ELNS1_3repE0EEENS1_30default_config_static_selectorELNS0_4arch9wavefront6targetE1EEEvT1_ ; -- Begin function _ZN7rocprim17ROCPRIM_400000_NS6detail17trampoline_kernelINS0_14default_configENS1_20scan_config_selectorIsEEZZNS1_9scan_implILNS1_25lookback_scan_determinismE0ELb0ELb1ES3_N6thrust23THRUST_200600_302600_NS6detail15normal_iteratorINS9_10device_ptrIsEEEESE_sNS9_10multipliesIsEEsEEDaPvRmT3_T4_T5_mT6_P12ihipStream_tbENKUlT_T0_E_clISt17integral_constantIbLb0EESU_EEDaSP_SQ_EUlSP_E_NS1_11comp_targetILNS1_3genE4ELNS1_11target_archE910ELNS1_3gpuE8ELNS1_3repE0EEENS1_30default_config_static_selectorELNS0_4arch9wavefront6targetE1EEEvT1_
	.globl	_ZN7rocprim17ROCPRIM_400000_NS6detail17trampoline_kernelINS0_14default_configENS1_20scan_config_selectorIsEEZZNS1_9scan_implILNS1_25lookback_scan_determinismE0ELb0ELb1ES3_N6thrust23THRUST_200600_302600_NS6detail15normal_iteratorINS9_10device_ptrIsEEEESE_sNS9_10multipliesIsEEsEEDaPvRmT3_T4_T5_mT6_P12ihipStream_tbENKUlT_T0_E_clISt17integral_constantIbLb0EESU_EEDaSP_SQ_EUlSP_E_NS1_11comp_targetILNS1_3genE4ELNS1_11target_archE910ELNS1_3gpuE8ELNS1_3repE0EEENS1_30default_config_static_selectorELNS0_4arch9wavefront6targetE1EEEvT1_
	.p2align	8
	.type	_ZN7rocprim17ROCPRIM_400000_NS6detail17trampoline_kernelINS0_14default_configENS1_20scan_config_selectorIsEEZZNS1_9scan_implILNS1_25lookback_scan_determinismE0ELb0ELb1ES3_N6thrust23THRUST_200600_302600_NS6detail15normal_iteratorINS9_10device_ptrIsEEEESE_sNS9_10multipliesIsEEsEEDaPvRmT3_T4_T5_mT6_P12ihipStream_tbENKUlT_T0_E_clISt17integral_constantIbLb0EESU_EEDaSP_SQ_EUlSP_E_NS1_11comp_targetILNS1_3genE4ELNS1_11target_archE910ELNS1_3gpuE8ELNS1_3repE0EEENS1_30default_config_static_selectorELNS0_4arch9wavefront6targetE1EEEvT1_,@function
_ZN7rocprim17ROCPRIM_400000_NS6detail17trampoline_kernelINS0_14default_configENS1_20scan_config_selectorIsEEZZNS1_9scan_implILNS1_25lookback_scan_determinismE0ELb0ELb1ES3_N6thrust23THRUST_200600_302600_NS6detail15normal_iteratorINS9_10device_ptrIsEEEESE_sNS9_10multipliesIsEEsEEDaPvRmT3_T4_T5_mT6_P12ihipStream_tbENKUlT_T0_E_clISt17integral_constantIbLb0EESU_EEDaSP_SQ_EUlSP_E_NS1_11comp_targetILNS1_3genE4ELNS1_11target_archE910ELNS1_3gpuE8ELNS1_3repE0EEENS1_30default_config_static_selectorELNS0_4arch9wavefront6targetE1EEEvT1_: ; @_ZN7rocprim17ROCPRIM_400000_NS6detail17trampoline_kernelINS0_14default_configENS1_20scan_config_selectorIsEEZZNS1_9scan_implILNS1_25lookback_scan_determinismE0ELb0ELb1ES3_N6thrust23THRUST_200600_302600_NS6detail15normal_iteratorINS9_10device_ptrIsEEEESE_sNS9_10multipliesIsEEsEEDaPvRmT3_T4_T5_mT6_P12ihipStream_tbENKUlT_T0_E_clISt17integral_constantIbLb0EESU_EEDaSP_SQ_EUlSP_E_NS1_11comp_targetILNS1_3genE4ELNS1_11target_archE910ELNS1_3gpuE8ELNS1_3repE0EEENS1_30default_config_static_selectorELNS0_4arch9wavefront6targetE1EEEvT1_
; %bb.0:
	s_load_dwordx8 s[16:23], s[4:5], 0x0
	s_load_dword s1, s[4:5], 0x30
	s_mul_i32 s0, s6, 0x600
	v_lshlrev_b32_e32 v20, 1, v0
	s_waitcnt lgkmcnt(0)
	s_lshl_b64 s[24:25], s[18:19], 1
	s_add_u32 s2, s16, s24
	s_addc_u32 s3, s17, s25
	s_add_i32 s7, s1, -1
	s_mul_i32 s8, s7, 0x600
	s_sub_u32 s30, s22, s8
	s_subb_u32 s31, s23, 0
	s_mov_b32 s1, 0
	s_cmp_lg_u32 s6, s7
	s_cselect_b64 s[22:23], -1, 0
	s_lshl_b64 s[26:27], s[0:1], 1
	s_add_u32 s2, s2, s26
	s_addc_u32 s3, s3, s27
	s_mov_b64 s[0:1], -1
	s_and_b64 vcc, exec, s[22:23]
	s_cbranch_vccz .LBB1125_2
; %bb.1:
	v_mov_b32_e32 v1, s3
	v_add_co_u32_e32 v2, vcc, s2, v20
	v_addc_co_u32_e32 v3, vcc, 0, v1, vcc
	flat_load_ushort v1, v[2:3]
	flat_load_ushort v4, v[2:3] offset:128
	flat_load_ushort v5, v[2:3] offset:256
	;; [unrolled: 1-line block ×23, first 2 shown]
	s_mov_b64 s[0:1], 0
	s_waitcnt vmcnt(0) lgkmcnt(0)
	ds_write_b16 v20, v1
	ds_write_b16 v20, v4 offset:128
	ds_write_b16 v20, v5 offset:256
	;; [unrolled: 1-line block ×23, first 2 shown]
	s_waitcnt lgkmcnt(0)
	; wave barrier
.LBB1125_2:
	s_load_dwordx2 s[28:29], s[4:5], 0x28
	s_andn2_b64 vcc, exec, s[0:1]
	v_cmp_gt_u32_e64 s[0:1], s30, v0
	s_cbranch_vccnz .LBB1125_52
; %bb.3:
	v_pk_mov_b32 v[2:3], s[2:3], s[2:3] op_sel:[0,1]
	flat_load_ushort v1, v[2:3]
	s_waitcnt vmcnt(0) lgkmcnt(0)
	v_mov_b32_e32 v2, v1
	s_and_saveexec_b64 s[8:9], s[0:1]
	s_cbranch_execz .LBB1125_5
; %bb.4:
	v_mov_b32_e32 v3, s3
	v_add_co_u32_e32 v2, vcc, s2, v20
	v_addc_co_u32_e32 v3, vcc, 0, v3, vcc
	flat_load_ushort v2, v[2:3]
.LBB1125_5:
	s_or_b64 exec, exec, s[8:9]
	v_or_b32_e32 v3, 64, v0
	v_cmp_gt_u32_e32 vcc, s30, v3
	v_mov_b32_e32 v3, v1
	s_and_saveexec_b64 s[0:1], vcc
	s_cbranch_execz .LBB1125_7
; %bb.6:
	v_mov_b32_e32 v3, s3
	v_add_co_u32_e32 v4, vcc, s2, v20
	v_addc_co_u32_e32 v5, vcc, 0, v3, vcc
	flat_load_ushort v3, v[4:5] offset:128
.LBB1125_7:
	s_or_b64 exec, exec, s[0:1]
	v_or_b32_e32 v4, 0x80, v0
	v_cmp_gt_u32_e32 vcc, s30, v4
	v_mov_b32_e32 v4, v1
	s_and_saveexec_b64 s[0:1], vcc
	s_cbranch_execz .LBB1125_9
; %bb.8:
	v_mov_b32_e32 v5, s3
	v_add_co_u32_e32 v4, vcc, s2, v20
	v_addc_co_u32_e32 v5, vcc, 0, v5, vcc
	flat_load_ushort v4, v[4:5] offset:256
.LBB1125_9:
	;; [unrolled: 12-line block ×22, first 2 shown]
	s_or_b64 exec, exec, s[0:1]
	v_or_b32_e32 v26, 0x5c0, v0
	v_cmp_gt_u32_e32 vcc, s30, v26
	s_and_saveexec_b64 s[0:1], vcc
	s_cbranch_execz .LBB1125_51
; %bb.50:
	v_mov_b32_e32 v1, s3
	v_add_co_u32_e32 v26, vcc, s2, v20
	v_addc_co_u32_e32 v27, vcc, 0, v1, vcc
	flat_load_ushort v1, v[26:27] offset:2944
.LBB1125_51:
	s_or_b64 exec, exec, s[0:1]
	s_waitcnt vmcnt(0) lgkmcnt(0)
	ds_write_b16 v20, v2
	ds_write_b16 v20, v3 offset:128
	ds_write_b16 v20, v4 offset:256
	;; [unrolled: 1-line block ×23, first 2 shown]
	s_waitcnt lgkmcnt(0)
	; wave barrier
.LBB1125_52:
	v_mul_u32_u24_e32 v21, 24, v0
	v_lshlrev_b32_e32 v1, 1, v21
	s_waitcnt lgkmcnt(0)
	ds_read_b128 v[10:13], v1
	ds_read_b128 v[6:9], v1 offset:16
	ds_read_b128 v[2:5], v1 offset:32
	s_cmp_lg_u32 s6, 0
	v_mbcnt_lo_u32_b32 v22, -1, 0
	v_cmp_eq_u32_e32 vcc, 63, v0
	s_waitcnt lgkmcnt(0)
	; wave barrier
	s_waitcnt lgkmcnt(0)
	s_cbranch_scc0 .LBB1125_75
; %bb.53:
	v_mul_lo_u16_sdwa v14, v10, v10 dst_sel:DWORD dst_unused:UNUSED_PAD src0_sel:WORD_1 src1_sel:DWORD
	v_mul_lo_u16_e32 v14, v14, v11
	v_mul_lo_u16_sdwa v14, v14, v11 dst_sel:DWORD dst_unused:UNUSED_PAD src0_sel:DWORD src1_sel:WORD_1
	v_mul_lo_u16_e32 v14, v14, v12
	v_mul_lo_u16_sdwa v14, v14, v12 dst_sel:DWORD dst_unused:UNUSED_PAD src0_sel:DWORD src1_sel:WORD_1
	;; [unrolled: 2-line block ×11, first 2 shown]
	v_mbcnt_hi_u32_b32 v15, -1, v22
	v_and_b32_e32 v16, 15, v15
	v_mov_b32_dpp v17, v14 row_shr:1 row_mask:0xf bank_mask:0xf
	v_mul_lo_u16_e32 v17, v14, v17
	v_cmp_eq_u32_e64 s[0:1], 0, v16
	v_cndmask_b32_e64 v14, v17, v14, s[0:1]
	v_cmp_lt_u32_e64 s[0:1], 1, v16
	s_nop 0
	v_mov_b32_dpp v17, v14 row_shr:2 row_mask:0xf bank_mask:0xf
	v_mul_lo_u16_e32 v17, v14, v17
	v_cndmask_b32_e64 v14, v14, v17, s[0:1]
	v_cmp_lt_u32_e64 s[0:1], 3, v16
	s_nop 0
	v_mov_b32_dpp v17, v14 row_shr:4 row_mask:0xf bank_mask:0xf
	v_mul_lo_u16_e32 v17, v14, v17
	v_cndmask_b32_e64 v14, v14, v17, s[0:1]
	v_cmp_lt_u32_e64 s[0:1], 7, v16
	s_nop 0
	v_mov_b32_dpp v17, v14 row_shr:8 row_mask:0xf bank_mask:0xf
	v_mul_lo_u16_e32 v17, v14, v17
	v_cndmask_b32_e64 v14, v14, v17, s[0:1]
	v_and_b32_e32 v17, 16, v15
	v_cmp_eq_u32_e64 s[0:1], 0, v17
	v_mov_b32_dpp v16, v14 row_bcast:15 row_mask:0xf bank_mask:0xf
	v_mul_lo_u16_e32 v16, v14, v16
	v_cndmask_b32_e64 v14, v16, v14, s[0:1]
	v_cmp_lt_u32_e64 s[0:1], 31, v15
	s_nop 0
	v_mov_b32_dpp v16, v14 row_bcast:31 row_mask:0xf bank_mask:0xf
	v_cndmask_b32_e64 v16, 1, v16, s[0:1]
	v_mul_lo_u16_e32 v14, v14, v16
	s_and_saveexec_b64 s[0:1], vcc
	s_cbranch_execz .LBB1125_55
; %bb.54:
	v_mov_b32_e32 v16, 0
	ds_write_b16 v16, v14
.LBB1125_55:
	s_or_b64 exec, exec, s[0:1]
	v_add_u32_e32 v16, -1, v15
	v_and_b32_e32 v17, 64, v15
	v_cmp_lt_i32_e32 vcc, v16, v17
	v_cndmask_b32_e32 v16, v16, v15, vcc
	v_lshlrev_b32_e32 v16, 2, v16
	ds_bpermute_b32 v23, v16, v14
	v_cmp_gt_u32_e32 vcc, 64, v0
	s_waitcnt lgkmcnt(0)
	; wave barrier
	s_waitcnt lgkmcnt(0)
	s_and_saveexec_b64 s[10:11], vcc
	s_cbranch_execz .LBB1125_74
; %bb.56:
	v_mov_b32_e32 v17, 0
	ds_read_u16 v24, v17
	s_mov_b32 s9, 0
	v_cmp_eq_u32_e64 s[0:1], 0, v15
	s_and_saveexec_b64 s[2:3], s[0:1]
	s_cbranch_execz .LBB1125_58
; %bb.57:
	s_add_i32 s8, s6, 64
	s_lshl_b64 s[8:9], s[8:9], 2
	s_add_u32 s8, s28, s8
	s_waitcnt lgkmcnt(0)
	v_or_b32_e32 v14, 0x10000, v24
	s_addc_u32 s9, s29, s9
	global_store_dword v17, v14, s[8:9]
.LBB1125_58:
	s_or_b64 exec, exec, s[2:3]
	v_xad_u32 v14, v15, -1, s6
	v_add_u32_e32 v16, 64, v14
	v_lshlrev_b64 v[18:19], 2, v[16:17]
	v_mov_b32_e32 v16, s29
	v_add_co_u32_e32 v18, vcc, s28, v18
	v_addc_co_u32_e32 v19, vcc, v16, v19, vcc
	global_load_dword v37, v[18:19], off glc
	s_waitcnt vmcnt(0)
	v_lshrrev_b32_e32 v26, 16, v37
	v_cmp_eq_u16_sdwa s[8:9], v26, v17 src0_sel:BYTE_0 src1_sel:DWORD
	s_and_saveexec_b64 s[2:3], s[8:9]
	s_cbranch_execz .LBB1125_62
; %bb.59:
	s_mov_b64 s[8:9], 0
	v_mov_b32_e32 v16, 0
.LBB1125_60:                            ; =>This Inner Loop Header: Depth=1
	global_load_dword v37, v[18:19], off glc
	s_waitcnt vmcnt(0)
	v_lshrrev_b32_e32 v26, 16, v37
	v_cmp_ne_u16_sdwa s[12:13], v26, v16 src0_sel:BYTE_0 src1_sel:DWORD
	s_or_b64 s[8:9], s[12:13], s[8:9]
	s_andn2_b64 exec, exec, s[8:9]
	s_cbranch_execnz .LBB1125_60
; %bb.61:
	s_or_b64 exec, exec, s[8:9]
.LBB1125_62:
	s_or_b64 exec, exec, s[2:3]
	v_and_b32_e32 v27, 63, v15
	v_cmp_ne_u32_e32 vcc, 63, v27
	v_mov_b32_e32 v25, 2
	v_addc_co_u32_e32 v28, vcc, 0, v15, vcc
	v_cmp_eq_u16_sdwa s[2:3], v26, v25 src0_sel:BYTE_0 src1_sel:DWORD
	v_lshlrev_b64 v[16:17], v15, -1
	v_and_b32_e32 v29, 0xffff, v37
	v_lshlrev_b32_e32 v28, 2, v28
	v_and_b32_e32 v18, s3, v17
	ds_bpermute_b32 v30, v28, v29
	v_or_b32_e32 v18, 0x80000000, v18
	v_and_b32_e32 v19, s2, v16
	v_ffbl_b32_e32 v18, v18
	v_add_u32_e32 v18, 32, v18
	v_ffbl_b32_e32 v19, v19
	v_min_u32_e32 v18, v19, v18
	s_waitcnt lgkmcnt(0)
	v_mul_lo_u16_e32 v19, v30, v37
	v_cmp_lt_u32_e32 vcc, v27, v18
	v_cmp_gt_u32_e64 s[2:3], 62, v27
	v_cndmask_b32_e32 v31, v29, v19, vcc
	v_cndmask_b32_e64 v29, 0, 1, s[2:3]
	v_lshlrev_b32_e32 v29, 1, v29
	v_add_lshl_u32 v29, v29, v15, 2
	ds_bpermute_b32 v32, v29, v31
	v_cndmask_b32_e32 v19, v37, v19, vcc
	v_add_u32_e32 v30, 2, v27
	v_cmp_gt_u32_e64 s[2:3], v30, v18
	v_cmp_gt_u32_e64 s[8:9], 60, v27
	s_waitcnt lgkmcnt(0)
	v_mul_lo_u16_e32 v32, v19, v32
	v_cndmask_b32_e64 v33, v32, v31, s[2:3]
	v_cndmask_b32_e64 v31, 0, 1, s[8:9]
	v_lshlrev_b32_e32 v31, 2, v31
	v_add_lshl_u32 v31, v31, v15, 2
	ds_bpermute_b32 v34, v31, v33
	v_cndmask_b32_e64 v19, v32, v19, s[2:3]
	v_add_u32_e32 v32, 4, v27
	v_cmp_gt_u32_e64 s[2:3], v32, v18
	v_cmp_gt_u32_e64 s[8:9], 56, v27
	s_waitcnt lgkmcnt(0)
	v_mul_lo_u16_e32 v34, v19, v34
	v_cndmask_b32_e64 v35, v34, v33, s[2:3]
	v_cndmask_b32_e64 v33, 0, 1, s[8:9]
	v_lshlrev_b32_e32 v33, 3, v33
	v_add_lshl_u32 v33, v33, v15, 2
	ds_bpermute_b32 v36, v33, v35
	v_cndmask_b32_e64 v19, v34, v19, s[2:3]
	;; [unrolled: 11-line block ×3, first 2 shown]
	v_add_u32_e32 v36, 16, v27
	v_cmp_gt_u32_e64 s[2:3], v36, v18
	v_cmp_gt_u32_e64 s[8:9], 32, v27
	s_waitcnt lgkmcnt(0)
	v_mul_lo_u16_e32 v40, v19, v39
	v_cndmask_b32_e64 v39, v40, v38, s[2:3]
	v_cndmask_b32_e64 v38, 0, 1, s[8:9]
	v_lshlrev_b32_e32 v38, 5, v38
	v_add_lshl_u32 v38, v38, v15, 2
	ds_bpermute_b32 v15, v38, v39
	v_add_u32_e32 v39, 32, v27
	v_cndmask_b32_e64 v19, v40, v19, s[2:3]
	v_cmp_le_u32_e64 s[2:3], v39, v18
	s_waitcnt lgkmcnt(0)
	v_cndmask_b32_e64 v15, 1, v15, s[2:3]
	v_mul_lo_u16_e32 v15, v19, v15
	v_cndmask_b32_e32 v18, v37, v15, vcc
	v_mov_b32_e32 v15, 0
	s_branch .LBB1125_64
.LBB1125_63:                            ;   in Loop: Header=BB1125_64 Depth=1
	s_or_b64 exec, exec, s[2:3]
	v_cmp_eq_u16_sdwa s[2:3], v26, v25 src0_sel:BYTE_0 src1_sel:DWORD
	v_and_b32_e32 v41, 0xffff, v40
	v_and_b32_e32 v18, s3, v17
	ds_bpermute_b32 v42, v28, v41
	v_or_b32_e32 v18, 0x80000000, v18
	v_and_b32_e32 v19, s2, v16
	v_ffbl_b32_e32 v18, v18
	v_add_u32_e32 v18, 32, v18
	v_ffbl_b32_e32 v19, v19
	v_min_u32_e32 v18, v19, v18
	s_waitcnt lgkmcnt(0)
	v_mul_lo_u16_e32 v19, v42, v40
	v_cmp_lt_u32_e32 vcc, v27, v18
	v_cndmask_b32_e32 v41, v41, v19, vcc
	ds_bpermute_b32 v42, v29, v41
	v_cndmask_b32_e32 v19, v40, v19, vcc
	v_cmp_gt_u32_e64 s[2:3], v30, v18
	v_subrev_u32_e32 v14, 64, v14
	s_waitcnt lgkmcnt(0)
	v_mul_lo_u16_e32 v42, v19, v42
	v_cndmask_b32_e64 v41, v42, v41, s[2:3]
	ds_bpermute_b32 v43, v31, v41
	v_cndmask_b32_e64 v19, v42, v19, s[2:3]
	v_cmp_gt_u32_e64 s[2:3], v32, v18
	s_waitcnt lgkmcnt(0)
	v_mul_lo_u16_e32 v42, v19, v43
	v_cndmask_b32_e64 v41, v42, v41, s[2:3]
	ds_bpermute_b32 v43, v33, v41
	v_cndmask_b32_e64 v19, v42, v19, s[2:3]
	v_cmp_gt_u32_e64 s[2:3], v34, v18
	;; [unrolled: 6-line block ×3, first 2 shown]
	s_waitcnt lgkmcnt(0)
	v_mul_lo_u16_e32 v42, v19, v43
	v_cndmask_b32_e64 v41, v42, v41, s[2:3]
	ds_bpermute_b32 v41, v38, v41
	v_cndmask_b32_e64 v19, v42, v19, s[2:3]
	v_cmp_le_u32_e64 s[2:3], v39, v18
	s_waitcnt lgkmcnt(0)
	v_cndmask_b32_e64 v18, 1, v41, s[2:3]
	v_mul_lo_u16_e32 v18, v19, v18
	v_cndmask_b32_e32 v18, v40, v18, vcc
	v_mul_lo_u16_e32 v18, v18, v37
.LBB1125_64:                            ; =>This Loop Header: Depth=1
                                        ;     Child Loop BB1125_67 Depth 2
	v_cmp_ne_u16_sdwa s[2:3], v26, v25 src0_sel:BYTE_0 src1_sel:DWORD
	v_cndmask_b32_e64 v19, 0, 1, s[2:3]
	;;#ASMSTART
	;;#ASMEND
	v_cmp_ne_u32_e32 vcc, 0, v19
	s_cmp_lg_u64 vcc, exec
	v_mov_b32_e32 v37, v18
	s_cbranch_scc1 .LBB1125_69
; %bb.65:                               ;   in Loop: Header=BB1125_64 Depth=1
	v_lshlrev_b64 v[18:19], 2, v[14:15]
	v_mov_b32_e32 v26, s29
	v_add_co_u32_e32 v18, vcc, s28, v18
	v_addc_co_u32_e32 v19, vcc, v26, v19, vcc
	global_load_dword v40, v[18:19], off glc
	s_waitcnt vmcnt(0)
	v_lshrrev_b32_e32 v26, 16, v40
	v_cmp_eq_u16_sdwa s[8:9], v26, v15 src0_sel:BYTE_0 src1_sel:DWORD
	s_and_saveexec_b64 s[2:3], s[8:9]
	s_cbranch_execz .LBB1125_63
; %bb.66:                               ;   in Loop: Header=BB1125_64 Depth=1
	s_mov_b64 s[8:9], 0
.LBB1125_67:                            ;   Parent Loop BB1125_64 Depth=1
                                        ; =>  This Inner Loop Header: Depth=2
	global_load_dword v40, v[18:19], off glc
	s_waitcnt vmcnt(0)
	v_lshrrev_b32_e32 v26, 16, v40
	v_cmp_ne_u16_sdwa s[12:13], v26, v15 src0_sel:BYTE_0 src1_sel:DWORD
	s_or_b64 s[8:9], s[12:13], s[8:9]
	s_andn2_b64 exec, exec, s[8:9]
	s_cbranch_execnz .LBB1125_67
; %bb.68:                               ;   in Loop: Header=BB1125_64 Depth=1
	s_or_b64 exec, exec, s[8:9]
	s_branch .LBB1125_63
.LBB1125_69:                            ;   in Loop: Header=BB1125_64 Depth=1
                                        ; implicit-def: $vgpr18
                                        ; implicit-def: $vgpr26
	s_cbranch_execz .LBB1125_64
; %bb.70:
	s_and_saveexec_b64 s[2:3], s[0:1]
	s_cbranch_execz .LBB1125_72
; %bb.71:
	s_add_i32 s0, s6, 64
	s_mov_b32 s1, 0
	s_lshl_b64 s[0:1], s[0:1], 2
	v_mul_lo_u16_e32 v14, v37, v24
	s_add_u32 s0, s28, s0
	v_or_b32_e32 v14, 0x20000, v14
	s_addc_u32 s1, s29, s1
	v_mov_b32_e32 v15, 0
	global_store_dword v15, v14, s[0:1]
.LBB1125_72:
	s_or_b64 exec, exec, s[2:3]
	v_cmp_eq_u32_e32 vcc, 0, v0
	s_and_b64 exec, exec, vcc
	s_cbranch_execz .LBB1125_74
; %bb.73:
	v_mov_b32_e32 v14, 0
	ds_write_b16 v14, v37
.LBB1125_74:
	s_or_b64 exec, exec, s[10:11]
	v_mov_b32_e32 v14, 0
	s_waitcnt lgkmcnt(0)
	; wave barrier
	s_waitcnt lgkmcnt(0)
	ds_read_u16 v14, v14
	v_cmp_ne_u32_e32 vcc, 0, v0
	v_cndmask_b32_e32 v15, 1, v23, vcc
	v_mul_lo_u16_e32 v15, v15, v10
	s_waitcnt lgkmcnt(0)
	v_mul_lo_u16_e32 v14, v15, v14
	v_mul_lo_u16_sdwa v16, v14, v10 dst_sel:DWORD dst_unused:UNUSED_PAD src0_sel:DWORD src1_sel:WORD_1
	v_mul_lo_u16_e32 v17, v16, v11
	v_mul_lo_u16_sdwa v18, v17, v11 dst_sel:DWORD dst_unused:UNUSED_PAD src0_sel:DWORD src1_sel:WORD_1
	;; [unrolled: 2-line block ×12, first 2 shown]
	s_load_dwordx8 s[12:19], s[4:5], 0x38
	s_branch .LBB1125_93
.LBB1125_75:
                                        ; implicit-def: $vgpr14
                                        ; implicit-def: $vgpr16
                                        ; implicit-def: $vgpr17
                                        ; implicit-def: $vgpr18
                                        ; implicit-def: $vgpr27
                                        ; implicit-def: $vgpr33
                                        ; implicit-def: $vgpr41
                                        ; implicit-def: $vgpr48
                                        ; implicit-def: $vgpr38
                                        ; implicit-def: $vgpr45
                                        ; implicit-def: $vgpr51
                                        ; implicit-def: $vgpr52
                                        ; implicit-def: $vgpr53
                                        ; implicit-def: $vgpr54
                                        ; implicit-def: $vgpr56
                                        ; implicit-def: $vgpr58
                                        ; implicit-def: $vgpr55
                                        ; implicit-def: $vgpr57
                                        ; implicit-def: $vgpr59
                                        ; implicit-def: $vgpr60
                                        ; implicit-def: $vgpr61
                                        ; implicit-def: $vgpr62
                                        ; implicit-def: $vgpr63
                                        ; implicit-def: $vgpr64
	s_load_dwordx8 s[12:19], s[4:5], 0x38
	s_cbranch_execz .LBB1125_93
; %bb.76:
	s_waitcnt lgkmcnt(0)
	s_cmp_lg_u64 s[16:17], 0
	s_cselect_b64 s[2:3], -1, 0
	s_cmp_eq_u64 s[16:17], 0
	v_cmp_eq_u32_e32 vcc, 0, v0
	s_cselect_b64 s[16:17], -1, 0
	v_cmp_ne_u32_e64 s[0:1], 0, v0
	s_and_b64 s[6:7], vcc, s[2:3]
	v_mov_b32_e32 v15, v10
	s_and_saveexec_b64 s[2:3], s[6:7]
	s_cbranch_execz .LBB1125_78
; %bb.77:
	v_mov_b32_e32 v14, 0
	global_load_ushort v14, v14, s[12:13]
	s_waitcnt vmcnt(0)
	v_mul_lo_u16_e32 v15, v14, v10
.LBB1125_78:
	s_or_b64 exec, exec, s[2:3]
	v_mul_lo_u16_sdwa v19, v15, v10 dst_sel:DWORD dst_unused:UNUSED_PAD src0_sel:DWORD src1_sel:WORD_1
	v_mul_lo_u16_e32 v23, v19, v11
	v_mul_lo_u16_sdwa v24, v23, v11 dst_sel:DWORD dst_unused:UNUSED_PAD src0_sel:DWORD src1_sel:WORD_1
	v_mul_lo_u16_e32 v25, v24, v12
	v_mul_lo_u16_sdwa v26, v25, v12 dst_sel:DWORD dst_unused:UNUSED_PAD src0_sel:DWORD src1_sel:WORD_1
	v_mul_lo_u16_e32 v28, v26, v13
	v_mul_lo_u16_sdwa v29, v28, v13 dst_sel:DWORD dst_unused:UNUSED_PAD src0_sel:DWORD src1_sel:WORD_1
	v_mul_lo_u16_e32 v30, v29, v6
	v_mul_lo_u16_sdwa v31, v30, v6 dst_sel:DWORD dst_unused:UNUSED_PAD src0_sel:DWORD src1_sel:WORD_1
	v_mul_lo_u16_e32 v32, v31, v7
	v_mul_lo_u16_sdwa v34, v32, v7 dst_sel:DWORD dst_unused:UNUSED_PAD src0_sel:DWORD src1_sel:WORD_1
	v_mul_lo_u16_e32 v35, v34, v8
	v_mul_lo_u16_sdwa v36, v35, v8 dst_sel:DWORD dst_unused:UNUSED_PAD src0_sel:DWORD src1_sel:WORD_1
	v_mul_lo_u16_e32 v37, v36, v9
	v_mul_lo_u16_sdwa v39, v37, v9 dst_sel:DWORD dst_unused:UNUSED_PAD src0_sel:DWORD src1_sel:WORD_1
	v_mul_lo_u16_e32 v40, v39, v2
	v_mul_lo_u16_sdwa v42, v40, v2 dst_sel:DWORD dst_unused:UNUSED_PAD src0_sel:DWORD src1_sel:WORD_1
	v_mul_lo_u16_e32 v43, v42, v3
	v_mul_lo_u16_sdwa v44, v43, v3 dst_sel:DWORD dst_unused:UNUSED_PAD src0_sel:DWORD src1_sel:WORD_1
	v_mul_lo_u16_e32 v46, v44, v4
	v_mul_lo_u16_sdwa v47, v46, v4 dst_sel:DWORD dst_unused:UNUSED_PAD src0_sel:DWORD src1_sel:WORD_1
	v_mbcnt_hi_u32_b32 v22, -1, v22
	v_mul_lo_u16_e32 v49, v47, v5
	v_and_b32_e32 v14, 15, v22
	v_mul_lo_u16_sdwa v50, v49, v5 dst_sel:DWORD dst_unused:UNUSED_PAD src0_sel:DWORD src1_sel:WORD_1
	v_mul_lo_u16_sdwa v66, v49, v5 dst_sel:DWORD dst_unused:UNUSED_PAD src0_sel:DWORD src1_sel:WORD_1
	v_cmp_eq_u32_e64 s[10:11], 0, v14
	v_cmp_lt_u32_e64 s[8:9], 1, v14
	v_cmp_lt_u32_e64 s[6:7], 3, v14
	;; [unrolled: 1-line block ×3, first 2 shown]
	s_andn2_b64 vcc, exec, s[16:17]
	v_and_b32_e32 v65, 16, v22
	v_cmp_lt_u32_e64 s[12:13], 31, v22
	s_cbranch_vccnz .LBB1125_84
; %bb.79:
	v_mov_b32_dpp v14, v66 row_shr:1 row_mask:0xf bank_mask:0xf
	v_mul_lo_u16_e32 v14, v50, v14
	v_cndmask_b32_e64 v16, v14, v66, s[10:11]
	v_cndmask_b32_e64 v14, v14, v50, s[10:11]
	v_cmp_eq_u32_e32 vcc, 0, v65
	v_mov_b32_dpp v17, v16 row_shr:2 row_mask:0xf bank_mask:0xf
	v_mul_lo_u16_e32 v17, v14, v17
	v_cndmask_b32_e64 v16, v16, v17, s[8:9]
	v_cndmask_b32_e64 v14, v14, v17, s[8:9]
	s_nop 0
	v_mov_b32_dpp v17, v16 row_shr:4 row_mask:0xf bank_mask:0xf
	v_mul_lo_u16_e32 v17, v14, v17
	v_cndmask_b32_e64 v16, v16, v17, s[6:7]
	v_cndmask_b32_e64 v14, v14, v17, s[6:7]
	s_nop 0
	;; [unrolled: 5-line block ×3, first 2 shown]
	v_mov_b32_dpp v17, v16 row_bcast:15 row_mask:0xf bank_mask:0xf
	v_mul_lo_u16_e32 v17, v14, v17
	v_cndmask_b32_e32 v16, v17, v16, vcc
	v_cndmask_b32_e32 v14, v17, v14, vcc
	v_cmp_eq_u32_e32 vcc, 63, v0
	v_mov_b32_dpp v16, v16 row_bcast:31 row_mask:0xf bank_mask:0xf
	v_cndmask_b32_e64 v16, 1, v16, s[12:13]
	v_mul_lo_u16_e32 v14, v14, v16
	s_and_saveexec_b64 s[12:13], vcc
	s_cbranch_execz .LBB1125_81
; %bb.80:
	v_mov_b32_e32 v16, 0
	ds_write_b16 v16, v14
.LBB1125_81:
	s_or_b64 exec, exec, s[12:13]
	v_add_u32_e32 v16, -1, v22
	v_and_b32_e32 v17, 64, v22
	v_cmp_lt_i32_e32 vcc, v16, v17
	v_cndmask_b32_e32 v16, v16, v22, vcc
	v_lshlrev_b32_e32 v16, 2, v16
	s_load_dword s12, s[4:5], 0x20
	ds_bpermute_b32 v67, v16, v14
	v_mov_b32_e32 v64, v50
	v_mov_b32_e32 v63, v49
	;; [unrolled: 1-line block ×24, first 2 shown]
	s_waitcnt lgkmcnt(0)
	; wave barrier
	s_waitcnt lgkmcnt(0)
	s_and_saveexec_b64 s[4:5], s[0:1]
	s_cbranch_execz .LBB1125_83
; %bb.82:
	v_mul_lo_u16_e32 v14, v15, v67
	v_mul_lo_u16_sdwa v16, v14, v10 dst_sel:DWORD dst_unused:UNUSED_PAD src0_sel:DWORD src1_sel:WORD_1
	v_mul_lo_u16_e32 v17, v16, v11
	v_mul_lo_u16_sdwa v18, v17, v11 dst_sel:DWORD dst_unused:UNUSED_PAD src0_sel:DWORD src1_sel:WORD_1
	;; [unrolled: 2-line block ×12, first 2 shown]
	;;#ASMSTART
	;;#ASMEND
.LBB1125_83:
	s_or_b64 exec, exec, s[4:5]
	v_mul_lo_u16_e32 v14, s12, v14
	v_mul_lo_u16_e32 v16, s12, v16
	;; [unrolled: 1-line block ×24, first 2 shown]
	s_branch .LBB1125_90
.LBB1125_84:
                                        ; implicit-def: $vgpr14
                                        ; implicit-def: $vgpr16
                                        ; implicit-def: $vgpr17
                                        ; implicit-def: $vgpr18
                                        ; implicit-def: $vgpr27
                                        ; implicit-def: $vgpr33
                                        ; implicit-def: $vgpr41
                                        ; implicit-def: $vgpr48
                                        ; implicit-def: $vgpr38
                                        ; implicit-def: $vgpr45
                                        ; implicit-def: $vgpr51
                                        ; implicit-def: $vgpr52
                                        ; implicit-def: $vgpr53
                                        ; implicit-def: $vgpr54
                                        ; implicit-def: $vgpr56
                                        ; implicit-def: $vgpr58
                                        ; implicit-def: $vgpr55
                                        ; implicit-def: $vgpr57
                                        ; implicit-def: $vgpr59
                                        ; implicit-def: $vgpr60
                                        ; implicit-def: $vgpr61
                                        ; implicit-def: $vgpr62
                                        ; implicit-def: $vgpr63
                                        ; implicit-def: $vgpr64
	s_cbranch_execz .LBB1125_90
; %bb.85:
	s_nop 0
	v_mov_b32_dpp v14, v66 row_shr:1 row_mask:0xf bank_mask:0xf
	v_mul_lo_u16_e32 v14, v50, v14
	v_cndmask_b32_e64 v16, v14, v66, s[10:11]
	v_cndmask_b32_e64 v14, v14, v50, s[10:11]
	v_cmp_eq_u32_e32 vcc, 0, v65
	v_mov_b32_dpp v17, v16 row_shr:2 row_mask:0xf bank_mask:0xf
	v_mul_lo_u16_e32 v17, v14, v17
	v_cndmask_b32_e64 v16, v16, v17, s[8:9]
	v_cndmask_b32_e64 v14, v14, v17, s[8:9]
	s_nop 0
	v_mov_b32_dpp v17, v16 row_shr:4 row_mask:0xf bank_mask:0xf
	v_mul_lo_u16_e32 v17, v14, v17
	v_cndmask_b32_e64 v16, v16, v17, s[6:7]
	v_cndmask_b32_e64 v14, v14, v17, s[6:7]
	s_nop 0
	;; [unrolled: 5-line block ×3, first 2 shown]
	v_mov_b32_dpp v17, v16 row_bcast:15 row_mask:0xf bank_mask:0xf
	v_mul_lo_u16_e32 v17, v14, v17
	v_cndmask_b32_e32 v16, v17, v16, vcc
	v_cndmask_b32_e32 v14, v17, v14, vcc
	v_cmp_lt_u32_e32 vcc, 31, v22
	v_mov_b32_dpp v16, v16 row_bcast:31 row_mask:0xf bank_mask:0xf
	v_cndmask_b32_e32 v16, 1, v16, vcc
	v_mul_lo_u16_e32 v14, v14, v16
	v_cmp_eq_u32_e32 vcc, 63, v0
	s_and_saveexec_b64 s[2:3], vcc
	s_cbranch_execz .LBB1125_87
; %bb.86:
	v_mov_b32_e32 v16, 0
	ds_write_b16 v16, v14
.LBB1125_87:
	s_or_b64 exec, exec, s[2:3]
	v_add_u32_e32 v16, -1, v22
	v_and_b32_e32 v17, 64, v22
	v_cmp_lt_i32_e32 vcc, v16, v17
	v_cndmask_b32_e32 v16, v16, v22, vcc
	v_lshlrev_b32_e32 v16, 2, v16
	ds_bpermute_b32 v14, v16, v14
	s_waitcnt lgkmcnt(0)
	; wave barrier
	s_waitcnt lgkmcnt(0)
	s_and_saveexec_b64 s[2:3], s[0:1]
	s_cbranch_execz .LBB1125_89
; %bb.88:
	v_mul_lo_u16_e32 v15, v15, v14
	v_mul_lo_u16_sdwa v19, v15, v10 dst_sel:DWORD dst_unused:UNUSED_PAD src0_sel:DWORD src1_sel:WORD_1
	v_mul_lo_u16_e32 v23, v19, v11
	v_mul_lo_u16_sdwa v24, v23, v11 dst_sel:DWORD dst_unused:UNUSED_PAD src0_sel:DWORD src1_sel:WORD_1
	;; [unrolled: 2-line block ×12, first 2 shown]
	;;#ASMSTART
	;;#ASMEND
.LBB1125_89:
	s_or_b64 exec, exec, s[2:3]
	v_mov_b32_e32 v14, v15
	v_mov_b32_e32 v16, v19
	;; [unrolled: 1-line block ×24, first 2 shown]
.LBB1125_90:
	v_cmp_eq_u32_e32 vcc, 63, v0
	s_and_saveexec_b64 s[0:1], vcc
	s_cbranch_execz .LBB1125_92
; %bb.91:
	s_mov_b32 s2, 0x20000
	v_mov_b32_e32 v2, 0
	v_or_b32_sdwa v3, v64, s2 dst_sel:DWORD dst_unused:UNUSED_PAD src0_sel:WORD_0 src1_sel:DWORD
	global_store_dword v2, v3, s[28:29] offset:256
.LBB1125_92:
	s_or_b64 exec, exec, s[0:1]
.LBB1125_93:
	s_add_u32 s0, s20, s24
	s_addc_u32 s1, s21, s25
	s_add_u32 s2, s0, s26
	s_addc_u32 s3, s1, s27
	s_mov_b64 s[0:1], -1
	s_and_b64 vcc, exec, s[22:23]
	s_waitcnt lgkmcnt(0)
	; wave barrier
	s_waitcnt lgkmcnt(0)
	s_cbranch_vccz .LBB1125_95
; %bb.94:
	s_mov_b32 s0, 0x5040100
	v_perm_b32 v5, v48, v41, s0
	v_perm_b32 v4, v33, v27, s0
	;; [unrolled: 1-line block ×4, first 2 shown]
	ds_write_b128 v1, v[2:5]
	v_perm_b32 v5, v58, v56, s0
	v_perm_b32 v4, v54, v53, s0
	;; [unrolled: 1-line block ×4, first 2 shown]
	ds_write_b128 v1, v[2:5] offset:16
	v_perm_b32 v5, v64, v63, s0
	v_perm_b32 v4, v62, v61, s0
	;; [unrolled: 1-line block ×4, first 2 shown]
	ds_write_b128 v1, v[2:5] offset:32
	s_waitcnt lgkmcnt(0)
	; wave barrier
	s_waitcnt lgkmcnt(0)
	ds_read_u16 v4, v20
	ds_read_u16 v5, v20 offset:128
	ds_read_u16 v6, v20 offset:256
	;; [unrolled: 1-line block ×23, first 2 shown]
	v_mov_b32_e32 v3, s3
	v_add_co_u32_e32 v2, vcc, s2, v20
	v_addc_co_u32_e32 v3, vcc, 0, v3, vcc
	s_waitcnt lgkmcnt(14)
	flat_store_short v[2:3], v4
	flat_store_short v[2:3], v5 offset:128
	flat_store_short v[2:3], v6 offset:256
	;; [unrolled: 1-line block ×9, first 2 shown]
	s_waitcnt lgkmcnt(0)
	flat_store_short v[2:3], v15 offset:1280
	flat_store_short v[2:3], v19 offset:1408
	;; [unrolled: 1-line block ×14, first 2 shown]
	s_mov_b64 s[0:1], 0
.LBB1125_95:
	s_andn2_b64 vcc, exec, s[0:1]
	s_cbranch_vccnz .LBB1125_152
; %bb.96:
	s_mov_b32 s0, 0x5040100
	v_perm_b32 v5, v48, v41, s0
	v_perm_b32 v4, v33, v27, s0
	;; [unrolled: 1-line block ×4, first 2 shown]
	ds_write_b128 v1, v[2:5]
	v_perm_b32 v5, v58, v56, s0
	v_perm_b32 v4, v54, v53, s0
	;; [unrolled: 1-line block ×4, first 2 shown]
	ds_write_b128 v1, v[2:5] offset:16
	v_perm_b32 v5, v64, v63, s0
	v_perm_b32 v4, v62, v61, s0
	;; [unrolled: 1-line block ×4, first 2 shown]
	ds_write_b128 v1, v[2:5] offset:32
	s_waitcnt lgkmcnt(0)
	; wave barrier
	s_waitcnt lgkmcnt(0)
	ds_read_u16 v5, v20
	ds_read_u16 v4, v20 offset:128
	ds_read_u16 v7, v20 offset:256
	;; [unrolled: 1-line block ×23, first 2 shown]
	v_mov_b32_e32 v3, s3
	v_add_co_u32_e32 v2, vcc, s2, v20
	v_addc_co_u32_e32 v3, vcc, 0, v3, vcc
	v_mov_b32_e32 v1, 0
	v_cmp_gt_u32_e32 vcc, s30, v0
	s_and_saveexec_b64 s[0:1], vcc
	s_cbranch_execz .LBB1125_98
; %bb.97:
	s_waitcnt lgkmcnt(0)
	flat_store_short v[2:3], v5
.LBB1125_98:
	s_or_b64 exec, exec, s[0:1]
	v_or_b32_e32 v20, 64, v0
	v_cmp_gt_u32_e32 vcc, s30, v20
	s_and_saveexec_b64 s[0:1], vcc
	s_cbranch_execz .LBB1125_100
; %bb.99:
	s_waitcnt lgkmcnt(0)
	flat_store_short v[2:3], v4 offset:128
.LBB1125_100:
	s_or_b64 exec, exec, s[0:1]
	v_or_b32_e32 v20, 0x80, v0
	v_cmp_gt_u32_e32 vcc, s30, v20
	s_and_saveexec_b64 s[0:1], vcc
	s_cbranch_execz .LBB1125_102
; %bb.101:
	s_waitcnt lgkmcnt(0)
	flat_store_short v[2:3], v7 offset:256
.LBB1125_102:
	;; [unrolled: 9-line block ×23, first 2 shown]
	s_or_b64 exec, exec, s[0:1]
	v_cmp_lt_u64_e64 s[0:1], s[18:19], 2
	s_and_b64 vcc, exec, s[0:1]
	s_cbranch_vccnz .LBB1125_152
; %bb.145:
	s_add_u32 s0, s30, -1
	s_addc_u32 s1, s31, -1
	s_add_u32 s2, 0, 0xaaaa0000
	s_addc_u32 s3, 0, 42
	s_add_i32 s3, s3, 0xaaaaa80
	s_mul_hi_u32 s7, s2, 0xffffffe8
	s_sub_i32 s7, s7, s2
	s_mul_i32 s8, s3, 0xffffffe8
	s_mul_i32 s4, s2, 0xffffffe8
	s_add_i32 s7, s7, s8
	s_mul_hi_u32 s5, s3, s4
	s_mul_i32 s6, s3, s4
	s_mul_i32 s9, s2, s7
	s_mul_hi_u32 s4, s2, s4
	s_mul_hi_u32 s8, s2, s7
	s_add_u32 s4, s4, s9
	s_addc_u32 s8, 0, s8
	s_add_u32 s4, s4, s6
	s_mul_hi_u32 s9, s3, s7
	s_addc_u32 s4, s8, s5
	s_addc_u32 s5, s9, 0
	s_mul_i32 s6, s3, s7
	s_add_u32 s4, s4, s6
	v_mov_b32_e32 v2, s4
	s_addc_u32 s5, 0, s5
	v_add_co_u32_e32 v2, vcc, s2, v2
	s_cmp_lg_u64 vcc, 0
	s_addc_u32 s2, s3, s5
	v_readfirstlane_b32 s5, v2
	s_mul_i32 s4, s0, s2
	s_mul_hi_u32 s6, s0, s5
	s_mul_hi_u32 s3, s0, s2
	s_add_u32 s4, s6, s4
	s_addc_u32 s3, 0, s3
	s_mul_hi_u32 s7, s1, s5
	s_mul_i32 s5, s1, s5
	s_add_u32 s4, s4, s5
	s_mul_hi_u32 s6, s1, s2
	s_addc_u32 s3, s3, s7
	s_addc_u32 s4, s6, 0
	s_mul_i32 s2, s1, s2
	s_add_u32 s2, s3, s2
	s_addc_u32 s3, 0, s4
	s_add_u32 s4, s2, 1
	s_addc_u32 s5, s3, 0
	s_add_u32 s6, s2, 2
	s_mul_i32 s8, s3, 24
	s_mul_hi_u32 s9, s2, 24
	s_addc_u32 s7, s3, 0
	s_add_i32 s9, s9, s8
	s_mul_i32 s8, s2, 24
	v_mov_b32_e32 v2, s8
	v_sub_co_u32_e32 v2, vcc, s0, v2
	s_cmp_lg_u64 vcc, 0
	s_subb_u32 s8, s1, s9
	v_subrev_co_u32_e32 v3, vcc, 24, v2
	s_cmp_lg_u64 vcc, 0
	s_subb_u32 s9, s8, 0
	v_readfirstlane_b32 s10, v3
	s_cmp_gt_u32 s10, 23
	s_cselect_b32 s10, -1, 0
	s_cmp_eq_u32 s9, 0
	s_cselect_b32 s9, s10, -1
	s_cmp_lg_u32 s9, 0
	s_cselect_b32 s4, s6, s4
	v_readfirstlane_b32 s6, v2
	s_cselect_b32 s5, s7, s5
	s_cmp_gt_u32 s6, 23
	s_cselect_b32 s6, -1, 0
	s_cmp_eq_u32 s8, 0
	s_cselect_b32 s6, s6, -1
	s_cmp_lg_u32 s6, 0
	s_cselect_b32 s3, s5, s3
	s_cselect_b32 s2, s4, s2
	v_cmp_eq_u64_e32 vcc, s[2:3], v[0:1]
	s_and_saveexec_b64 s[2:3], vcc
	s_cbranch_execz .LBB1125_152
; %bb.146:
	v_mul_hi_u32_u24_e32 v1, 24, v0
	v_mov_b32_e32 v2, s1
	v_sub_co_u32_e32 v0, vcc, s0, v21
	v_subb_co_u32_e32 v1, vcc, v2, v1, vcc
	v_cmp_lt_i64_e32 vcc, 11, v[0:1]
	s_mov_b64 s[0:1], 0
	s_mov_b64 s[8:9], 0
	;; [unrolled: 1-line block ×4, first 2 shown]
	s_and_saveexec_b64 s[2:3], vcc
	s_xor_b64 s[2:3], exec, s[2:3]
	s_cbranch_execnz .LBB1125_153
; %bb.147:
	s_andn2_saveexec_b64 s[2:3], s[2:3]
	s_cbranch_execnz .LBB1125_198
.LBB1125_148:
	s_or_b64 exec, exec, s[2:3]
	s_and_saveexec_b64 s[2:3], s[8:9]
	s_cbranch_execnz .LBB1125_215
.LBB1125_149:
	s_or_b64 exec, exec, s[2:3]
	s_and_saveexec_b64 s[2:3], s[6:7]
	s_cbranch_execnz .LBB1125_216
.LBB1125_150:
	s_or_b64 exec, exec, s[2:3]
	s_and_saveexec_b64 s[2:3], s[4:5]
	s_xor_b64 s[2:3], exec, s[2:3]
	s_cbranch_execnz .LBB1125_217
.LBB1125_151:
	s_or_b64 exec, exec, s[2:3]
	s_and_b64 exec, exec, s[0:1]
	s_cbranch_execnz .LBB1125_218
.LBB1125_152:
	s_endpgm
.LBB1125_153:
	v_cmp_lt_i64_e32 vcc, 17, v[0:1]
	s_and_saveexec_b64 s[10:11], vcc
	s_xor_b64 s[10:11], exec, s[10:11]
	s_cbranch_execz .LBB1125_175
; %bb.154:
	v_cmp_lt_i64_e32 vcc, 20, v[0:1]
                                        ; implicit-def: $vgpr10
	s_and_saveexec_b64 s[12:13], vcc
	s_xor_b64 s[12:13], exec, s[12:13]
	s_cbranch_execz .LBB1125_164
; %bb.155:
	v_cmp_lt_i64_e32 vcc, 21, v[0:1]
	s_mov_b64 s[16:17], 0
                                        ; implicit-def: $vgpr10
	s_and_saveexec_b64 s[4:5], vcc
	s_xor_b64 s[4:5], exec, s[4:5]
	s_cbranch_execz .LBB1125_161
; %bb.156:
	v_cmp_lt_i64_e32 vcc, 22, v[0:1]
	s_and_saveexec_b64 s[16:17], vcc
	s_xor_b64 s[16:17], exec, s[16:17]
	s_cbranch_execz .LBB1125_158
; %bb.157:
	v_mov_b32_e32 v2, 0
	s_waitcnt lgkmcnt(0)
	global_store_short v2, v29, s[14:15]
                                        ; implicit-def: $vgpr28
.LBB1125_158:
	s_or_saveexec_b64 s[16:17], s[16:17]
	s_mov_b64 s[18:19], 0
	s_xor_b64 exec, exec, s[16:17]
; %bb.159:
	s_mov_b64 s[18:19], exec
; %bb.160:
	s_or_b64 exec, exec, s[16:17]
	s_and_b64 s[16:17], s[18:19], exec
	s_waitcnt lgkmcnt(0)
	v_mov_b32_e32 v10, v28
                                        ; implicit-def: $vgpr11
.LBB1125_161:
	s_andn2_saveexec_b64 s[4:5], s[4:5]
; %bb.162:
	s_mov_b64 s[6:7], exec
                                        ; implicit-def: $vgpr10
; %bb.163:
	s_or_b64 exec, exec, s[4:5]
	s_and_b64 s[4:5], s[16:17], exec
	s_and_b64 s[6:7], s[6:7], exec
                                        ; implicit-def: $vgpr26
                                        ; implicit-def: $vgpr12
                                        ; implicit-def: $vgpr23
.LBB1125_164:
	s_andn2_saveexec_b64 s[12:13], s[12:13]
	s_cbranch_execz .LBB1125_174
; %bb.165:
	v_cmp_lt_i64_e32 vcc, 18, v[0:1]
	s_mov_b64 s[16:17], 0
	s_and_saveexec_b64 s[8:9], vcc
	s_xor_b64 s[8:9], exec, s[8:9]
	s_cbranch_execz .LBB1125_171
; %bb.166:
	v_cmp_lt_i64_e32 vcc, 19, v[0:1]
	s_and_saveexec_b64 s[18:19], vcc
	s_xor_b64 s[18:19], exec, s[18:19]
; %bb.167:
	s_mov_b64 s[16:17], exec
                                        ; implicit-def: $vgpr23
; %bb.168:
	s_andn2_saveexec_b64 s[18:19], s[18:19]
	s_cbranch_execz .LBB1125_170
; %bb.169:
	v_mov_b32_e32 v2, 0
	s_waitcnt lgkmcnt(0)
	global_store_short v2, v23, s[14:15]
                                        ; implicit-def: $vgpr12
.LBB1125_170:
	s_or_b64 exec, exec, s[18:19]
	s_and_b64 s[16:17], s[16:17], exec
                                        ; implicit-def: $vgpr26
.LBB1125_171:
	s_andn2_saveexec_b64 s[8:9], s[8:9]
	s_cbranch_execz .LBB1125_173
; %bb.172:
	v_mov_b32_e32 v2, 0
	s_waitcnt lgkmcnt(0)
	global_store_short v2, v26, s[14:15]
                                        ; implicit-def: $vgpr12
.LBB1125_173:
	s_or_b64 exec, exec, s[8:9]
	s_and_b64 s[8:9], s[16:17], exec
                                        ; implicit-def: $vgpr10
                                        ; implicit-def: $vgpr11
.LBB1125_174:
	s_or_b64 exec, exec, s[12:13]
	s_and_b64 s[4:5], s[4:5], exec
	s_and_b64 s[6:7], s[6:7], exec
	;; [unrolled: 1-line block ×3, first 2 shown]
                                        ; implicit-def: $vgpr18
                                        ; implicit-def: $vgpr13
                                        ; implicit-def: $vgpr14
                                        ; implicit-def: $vgpr24
                                        ; implicit-def: $vgpr27
.LBB1125_175:
	s_andn2_saveexec_b64 s[10:11], s[10:11]
	s_cbranch_execz .LBB1125_197
; %bb.176:
	v_cmp_lt_i64_e32 vcc, 14, v[0:1]
	s_mov_b64 s[12:13], s[4:5]
	s_and_saveexec_b64 s[16:17], vcc
	s_xor_b64 s[16:17], exec, s[16:17]
	s_cbranch_execz .LBB1125_186
; %bb.177:
	v_cmp_lt_i64_e32 vcc, 15, v[0:1]
	s_and_saveexec_b64 s[12:13], vcc
	s_xor_b64 s[12:13], exec, s[12:13]
	s_cbranch_execz .LBB1125_183
; %bb.178:
	v_cmp_lt_i64_e32 vcc, 16, v[0:1]
	s_and_saveexec_b64 s[18:19], vcc
	s_xor_b64 s[18:19], exec, s[18:19]
	s_cbranch_execz .LBB1125_180
; %bb.179:
	v_mov_b32_e32 v2, 0
	s_waitcnt lgkmcnt(0)
	global_store_short v2, v27, s[14:15]
                                        ; implicit-def: $vgpr24
.LBB1125_180:
	s_andn2_saveexec_b64 s[18:19], s[18:19]
	s_cbranch_execz .LBB1125_182
; %bb.181:
	v_mov_b32_e32 v2, 0
	s_waitcnt lgkmcnt(0)
	global_store_short v2, v24, s[14:15]
.LBB1125_182:
	s_or_b64 exec, exec, s[18:19]
                                        ; implicit-def: $vgpr10
.LBB1125_183:
	s_or_saveexec_b64 s[12:13], s[12:13]
	s_mov_b64 s[18:19], s[4:5]
	s_xor_b64 exec, exec, s[12:13]
; %bb.184:
	s_or_b64 s[18:19], s[4:5], exec
; %bb.185:
	s_or_b64 exec, exec, s[12:13]
	s_andn2_b64 s[12:13], s[4:5], exec
	s_and_b64 s[18:19], s[18:19], exec
	s_or_b64 s[12:13], s[12:13], s[18:19]
                                        ; implicit-def: $vgpr18
                                        ; implicit-def: $vgpr13
                                        ; implicit-def: $vgpr14
.LBB1125_186:
	s_or_saveexec_b64 s[16:17], s[16:17]
	s_mov_b64 s[18:19], s[6:7]
                                        ; implicit-def: $vgpr11
	s_xor_b64 exec, exec, s[16:17]
	s_cbranch_execz .LBB1125_196
; %bb.187:
	v_cmp_lt_i64_e32 vcc, 12, v[0:1]
	s_mov_b64 s[20:21], s[6:7]
	s_mov_b64 s[22:23], s[12:13]
                                        ; implicit-def: $vgpr10
                                        ; implicit-def: $vgpr11
	s_and_saveexec_b64 s[18:19], vcc
	s_xor_b64 s[18:19], exec, s[18:19]
	s_cbranch_execz .LBB1125_193
; %bb.188:
	v_cmp_lt_i64_e32 vcc, 13, v[0:1]
	s_mov_b64 s[20:21], s[12:13]
	s_and_saveexec_b64 s[22:23], vcc
	s_xor_b64 s[22:23], exec, s[22:23]
; %bb.189:
	s_or_b64 s[20:21], s[12:13], exec
                                        ; implicit-def: $vgpr13
; %bb.190:
	s_or_saveexec_b64 s[22:23], s[22:23]
	s_mov_b64 s[24:25], s[6:7]
	s_xor_b64 exec, exec, s[22:23]
; %bb.191:
	s_or_b64 s[24:25], s[6:7], exec
                                        ; implicit-def: $vgpr14
; %bb.192:
	s_or_b64 exec, exec, s[22:23]
	s_andn2_b64 s[22:23], s[12:13], exec
	s_and_b64 s[20:21], s[20:21], exec
	s_or_b64 s[22:23], s[22:23], s[20:21]
	s_andn2_b64 s[20:21], s[6:7], exec
	s_and_b64 s[24:25], s[24:25], exec
	s_or_b64 s[20:21], s[20:21], s[24:25]
	s_waitcnt lgkmcnt(0)
	v_mov_b32_e32 v10, v14
	v_mov_b32_e32 v11, v13
                                        ; implicit-def: $vgpr18
.LBB1125_193:
	s_andn2_saveexec_b64 s[18:19], s[18:19]
	s_cbranch_execz .LBB1125_195
; %bb.194:
	s_or_b64 s[20:21], s[20:21], exec
                                        ; implicit-def: $vgpr10
	s_waitcnt lgkmcnt(0)
	v_mov_b32_e32 v11, v18
.LBB1125_195:
	s_or_b64 exec, exec, s[18:19]
	s_andn2_b64 s[12:13], s[12:13], exec
	s_and_b64 s[18:19], s[22:23], exec
	s_or_b64 s[12:13], s[12:13], s[18:19]
	s_andn2_b64 s[18:19], s[6:7], exec
	s_and_b64 s[20:21], s[20:21], exec
	s_or_b64 s[18:19], s[18:19], s[20:21]
.LBB1125_196:
	s_or_b64 exec, exec, s[16:17]
	s_andn2_b64 s[4:5], s[4:5], exec
	s_and_b64 s[12:13], s[12:13], exec
	s_or_b64 s[4:5], s[4:5], s[12:13]
	s_andn2_b64 s[6:7], s[6:7], exec
	s_and_b64 s[12:13], s[18:19], exec
	s_or_b64 s[6:7], s[6:7], s[12:13]
                                        ; implicit-def: $vgpr12
.LBB1125_197:
	s_or_b64 exec, exec, s[10:11]
	s_and_b64 s[4:5], s[4:5], exec
	s_and_b64 s[6:7], s[6:7], exec
	;; [unrolled: 1-line block ×3, first 2 shown]
                                        ; implicit-def: $vgpr17
                                        ; implicit-def: $vgpr15
                                        ; implicit-def: $vgpr16
                                        ; implicit-def: $vgpr25
                                        ; implicit-def: $vgpr22
                                        ; implicit-def: $vgpr19
	s_andn2_saveexec_b64 s[2:3], s[2:3]
	s_cbranch_execz .LBB1125_148
.LBB1125_198:
	v_cmp_lt_i64_e32 vcc, 5, v[0:1]
	s_mov_b64 s[12:13], -1
	s_mov_b64 s[10:11], s[8:9]
	s_mov_b64 s[16:17], s[6:7]
	;; [unrolled: 1-line block ×3, first 2 shown]
                                        ; implicit-def: $vgpr10
                                        ; implicit-def: $vgpr11
                                        ; implicit-def: $vgpr12
	s_and_saveexec_b64 s[0:1], vcc
	s_cbranch_execz .LBB1125_214
; %bb.199:
	v_cmp_lt_i64_e32 vcc, 8, v[0:1]
	s_mov_b64 s[10:11], s[8:9]
                                        ; implicit-def: $vgpr12
	s_and_saveexec_b64 s[12:13], vcc
	s_xor_b64 s[12:13], exec, s[12:13]
	s_cbranch_execz .LBB1125_209
; %bb.200:
	v_cmp_lt_i64_e32 vcc, 9, v[0:1]
	s_and_saveexec_b64 s[10:11], vcc
	s_xor_b64 s[10:11], exec, s[10:11]
	s_cbranch_execz .LBB1125_206
; %bb.201:
	v_cmp_lt_i64_e32 vcc, 10, v[0:1]
	s_and_saveexec_b64 s[16:17], vcc
	s_xor_b64 s[16:17], exec, s[16:17]
; %bb.202:
                                        ; implicit-def: $vgpr22
; %bb.203:
	s_andn2_saveexec_b64 s[16:17], s[16:17]
	s_cbranch_execz .LBB1125_205
; %bb.204:
	s_waitcnt lgkmcnt(0)
	v_mov_b32_e32 v19, v22
.LBB1125_205:
	s_or_b64 exec, exec, s[16:17]
                                        ; implicit-def: $vgpr25
.LBB1125_206:
	s_andn2_saveexec_b64 s[10:11], s[10:11]
	s_cbranch_execz .LBB1125_208
; %bb.207:
	s_waitcnt lgkmcnt(0)
	v_mov_b32_e32 v19, v25
.LBB1125_208:
	s_or_b64 exec, exec, s[10:11]
	s_or_b64 s[10:11], s[8:9], exec
	s_waitcnt lgkmcnt(0)
	v_mov_b32_e32 v12, v19
                                        ; implicit-def: $vgpr17
                                        ; implicit-def: $vgpr15
                                        ; implicit-def: $vgpr16
.LBB1125_209:
	s_or_saveexec_b64 s[12:13], s[12:13]
	s_mov_b64 s[16:17], s[6:7]
	s_mov_b64 s[20:21], s[4:5]
                                        ; implicit-def: $vgpr10
                                        ; implicit-def: $vgpr11
	s_xor_b64 exec, exec, s[12:13]
	s_cbranch_execz .LBB1125_213
; %bb.210:
	v_cmp_lt_i64_e32 vcc, 6, v[0:1]
	s_mov_b64 s[20:21], -1
	s_mov_b64 s[18:19], s[10:11]
	s_mov_b64 s[16:17], s[6:7]
	s_and_saveexec_b64 s[22:23], vcc
; %bb.211:
	v_cmp_lt_i64_e32 vcc, 7, v[0:1]
	s_andn2_b64 s[18:19], s[10:11], exec
	s_and_b64 s[24:25], vcc, exec
	s_xor_b64 s[20:21], exec, -1
	s_or_b64 s[16:17], s[6:7], exec
	s_or_b64 s[18:19], s[18:19], s[24:25]
                                        ; implicit-def: $vgpr17
; %bb.212:
	s_or_b64 exec, exec, s[22:23]
	s_andn2_b64 s[22:23], s[4:5], exec
	s_and_b64 s[20:21], s[20:21], exec
	s_or_b64 s[20:21], s[22:23], s[20:21]
	s_andn2_b64 s[22:23], s[6:7], exec
	s_and_b64 s[16:17], s[16:17], exec
	s_andn2_b64 s[10:11], s[10:11], exec
	s_and_b64 s[18:19], s[18:19], exec
	s_or_b64 s[16:17], s[22:23], s[16:17]
	s_or_b64 s[10:11], s[10:11], s[18:19]
	s_waitcnt lgkmcnt(0)
	v_mov_b32_e32 v10, v17
	v_mov_b32_e32 v11, v15
	;; [unrolled: 1-line block ×3, first 2 shown]
.LBB1125_213:
	s_or_b64 exec, exec, s[12:13]
	s_andn2_b64 s[18:19], s[4:5], exec
	s_and_b64 s[20:21], s[20:21], exec
	s_or_b64 s[18:19], s[18:19], s[20:21]
	s_andn2_b64 s[20:21], s[6:7], exec
	s_and_b64 s[16:17], s[16:17], exec
	s_or_b64 s[16:17], s[20:21], s[16:17]
	s_andn2_b64 s[20:21], s[8:9], exec
	s_and_b64 s[10:11], s[10:11], exec
	s_xor_b64 s[12:13], exec, -1
	s_or_b64 s[10:11], s[20:21], s[10:11]
.LBB1125_214:
	s_or_b64 exec, exec, s[0:1]
	s_and_b64 s[0:1], s[12:13], exec
	s_andn2_b64 s[4:5], s[4:5], exec
	s_and_b64 s[12:13], s[18:19], exec
	s_or_b64 s[4:5], s[4:5], s[12:13]
	s_andn2_b64 s[6:7], s[6:7], exec
	s_and_b64 s[12:13], s[16:17], exec
	s_andn2_b64 s[8:9], s[8:9], exec
	s_and_b64 s[10:11], s[10:11], exec
	s_or_b64 s[6:7], s[6:7], s[12:13]
	s_or_b64 s[8:9], s[8:9], s[10:11]
	s_or_b64 exec, exec, s[2:3]
	s_and_saveexec_b64 s[2:3], s[8:9]
	s_cbranch_execz .LBB1125_149
.LBB1125_215:
	v_mov_b32_e32 v2, 0
	s_andn2_b64 s[6:7], s[6:7], exec
	s_waitcnt lgkmcnt(0)
	global_store_short v2, v12, s[14:15]
                                        ; implicit-def: $vgpr10
                                        ; implicit-def: $vgpr11
	s_or_b64 exec, exec, s[2:3]
	s_and_saveexec_b64 s[2:3], s[6:7]
	s_cbranch_execz .LBB1125_150
.LBB1125_216:
	v_mov_b32_e32 v2, 0
	s_waitcnt lgkmcnt(0)
	global_store_short v2, v11, s[14:15]
                                        ; implicit-def: $vgpr10
	s_or_b64 exec, exec, s[2:3]
	s_and_saveexec_b64 s[2:3], s[4:5]
	s_xor_b64 s[2:3], exec, s[2:3]
	s_cbranch_execz .LBB1125_151
.LBB1125_217:
	v_mov_b32_e32 v2, 0
	s_waitcnt lgkmcnt(0)
	global_store_short v2, v10, s[14:15]
	s_or_b64 exec, exec, s[2:3]
	s_and_b64 exec, exec, s[0:1]
	s_cbranch_execz .LBB1125_152
.LBB1125_218:
	v_cmp_lt_i64_e32 vcc, 2, v[0:1]
	s_and_saveexec_b64 s[0:1], vcc
	s_xor_b64 s[0:1], exec, s[0:1]
	s_cbranch_execz .LBB1125_228
; %bb.219:
	v_cmp_lt_i64_e32 vcc, 3, v[0:1]
	s_and_saveexec_b64 s[2:3], vcc
	s_xor_b64 s[2:3], exec, s[2:3]
	s_cbranch_execz .LBB1125_225
; %bb.220:
	;; [unrolled: 5-line block ×3, first 2 shown]
	v_mov_b32_e32 v0, 0
	s_waitcnt lgkmcnt(0)
	global_store_short v0, v9, s[14:15]
                                        ; implicit-def: $vgpr6
.LBB1125_222:
	s_andn2_saveexec_b64 s[4:5], s[4:5]
	s_cbranch_execz .LBB1125_224
; %bb.223:
	v_mov_b32_e32 v0, 0
	s_waitcnt lgkmcnt(0)
	global_store_short v0, v6, s[14:15]
.LBB1125_224:
	s_or_b64 exec, exec, s[4:5]
                                        ; implicit-def: $vgpr8
.LBB1125_225:
	s_andn2_saveexec_b64 s[2:3], s[2:3]
	s_cbranch_execz .LBB1125_227
; %bb.226:
	v_mov_b32_e32 v0, 0
	s_waitcnt lgkmcnt(0)
	global_store_short v0, v8, s[14:15]
.LBB1125_227:
	s_or_b64 exec, exec, s[2:3]
                                        ; implicit-def: $vgpr0_vgpr1
                                        ; implicit-def: $vgpr7
                                        ; implicit-def: $vgpr4
                                        ; implicit-def: $vgpr5
.LBB1125_228:
	s_andn2_saveexec_b64 s[0:1], s[0:1]
	s_cbranch_execz .LBB1125_152
; %bb.229:
	v_cmp_lt_i64_e32 vcc, 1, v[0:1]
	s_and_saveexec_b64 s[0:1], vcc
	s_xor_b64 s[0:1], exec, s[0:1]
	s_cbranch_execz .LBB1125_231
; %bb.230:
	v_mov_b32_e32 v0, 0
	s_waitcnt lgkmcnt(0)
	global_store_short v0, v7, s[14:15]
                                        ; implicit-def: $vgpr4
                                        ; implicit-def: $vgpr0_vgpr1
                                        ; implicit-def: $vgpr5
.LBB1125_231:
	s_andn2_saveexec_b64 s[0:1], s[0:1]
	s_cbranch_execz .LBB1125_152
; %bb.232:
	v_cmp_ne_u64_e32 vcc, 1, v[0:1]
	s_and_saveexec_b64 s[0:1], vcc
	s_xor_b64 s[0:1], exec, s[0:1]
	s_cbranch_execz .LBB1125_234
; %bb.233:
	v_mov_b32_e32 v0, 0
	s_waitcnt lgkmcnt(0)
	global_store_short v0, v5, s[14:15]
                                        ; implicit-def: $vgpr4
.LBB1125_234:
	s_andn2_saveexec_b64 s[0:1], s[0:1]
	s_cbranch_execz .LBB1125_152
; %bb.235:
	v_mov_b32_e32 v0, 0
	s_waitcnt lgkmcnt(0)
	global_store_short v0, v4, s[14:15]
	s_endpgm
	.section	.rodata,"a",@progbits
	.p2align	6, 0x0
	.amdhsa_kernel _ZN7rocprim17ROCPRIM_400000_NS6detail17trampoline_kernelINS0_14default_configENS1_20scan_config_selectorIsEEZZNS1_9scan_implILNS1_25lookback_scan_determinismE0ELb0ELb1ES3_N6thrust23THRUST_200600_302600_NS6detail15normal_iteratorINS9_10device_ptrIsEEEESE_sNS9_10multipliesIsEEsEEDaPvRmT3_T4_T5_mT6_P12ihipStream_tbENKUlT_T0_E_clISt17integral_constantIbLb0EESU_EEDaSP_SQ_EUlSP_E_NS1_11comp_targetILNS1_3genE4ELNS1_11target_archE910ELNS1_3gpuE8ELNS1_3repE0EEENS1_30default_config_static_selectorELNS0_4arch9wavefront6targetE1EEEvT1_
		.amdhsa_group_segment_fixed_size 3072
		.amdhsa_private_segment_fixed_size 0
		.amdhsa_kernarg_size 96
		.amdhsa_user_sgpr_count 6
		.amdhsa_user_sgpr_private_segment_buffer 1
		.amdhsa_user_sgpr_dispatch_ptr 0
		.amdhsa_user_sgpr_queue_ptr 0
		.amdhsa_user_sgpr_kernarg_segment_ptr 1
		.amdhsa_user_sgpr_dispatch_id 0
		.amdhsa_user_sgpr_flat_scratch_init 0
		.amdhsa_user_sgpr_kernarg_preload_length 0
		.amdhsa_user_sgpr_kernarg_preload_offset 0
		.amdhsa_user_sgpr_private_segment_size 0
		.amdhsa_uses_dynamic_stack 0
		.amdhsa_system_sgpr_private_segment_wavefront_offset 0
		.amdhsa_system_sgpr_workgroup_id_x 1
		.amdhsa_system_sgpr_workgroup_id_y 0
		.amdhsa_system_sgpr_workgroup_id_z 0
		.amdhsa_system_sgpr_workgroup_info 0
		.amdhsa_system_vgpr_workitem_id 0
		.amdhsa_next_free_vgpr 68
		.amdhsa_next_free_sgpr 32
		.amdhsa_accum_offset 68
		.amdhsa_reserve_vcc 1
		.amdhsa_reserve_flat_scratch 0
		.amdhsa_float_round_mode_32 0
		.amdhsa_float_round_mode_16_64 0
		.amdhsa_float_denorm_mode_32 3
		.amdhsa_float_denorm_mode_16_64 3
		.amdhsa_dx10_clamp 1
		.amdhsa_ieee_mode 1
		.amdhsa_fp16_overflow 0
		.amdhsa_tg_split 0
		.amdhsa_exception_fp_ieee_invalid_op 0
		.amdhsa_exception_fp_denorm_src 0
		.amdhsa_exception_fp_ieee_div_zero 0
		.amdhsa_exception_fp_ieee_overflow 0
		.amdhsa_exception_fp_ieee_underflow 0
		.amdhsa_exception_fp_ieee_inexact 0
		.amdhsa_exception_int_div_zero 0
	.end_amdhsa_kernel
	.section	.text._ZN7rocprim17ROCPRIM_400000_NS6detail17trampoline_kernelINS0_14default_configENS1_20scan_config_selectorIsEEZZNS1_9scan_implILNS1_25lookback_scan_determinismE0ELb0ELb1ES3_N6thrust23THRUST_200600_302600_NS6detail15normal_iteratorINS9_10device_ptrIsEEEESE_sNS9_10multipliesIsEEsEEDaPvRmT3_T4_T5_mT6_P12ihipStream_tbENKUlT_T0_E_clISt17integral_constantIbLb0EESU_EEDaSP_SQ_EUlSP_E_NS1_11comp_targetILNS1_3genE4ELNS1_11target_archE910ELNS1_3gpuE8ELNS1_3repE0EEENS1_30default_config_static_selectorELNS0_4arch9wavefront6targetE1EEEvT1_,"axG",@progbits,_ZN7rocprim17ROCPRIM_400000_NS6detail17trampoline_kernelINS0_14default_configENS1_20scan_config_selectorIsEEZZNS1_9scan_implILNS1_25lookback_scan_determinismE0ELb0ELb1ES3_N6thrust23THRUST_200600_302600_NS6detail15normal_iteratorINS9_10device_ptrIsEEEESE_sNS9_10multipliesIsEEsEEDaPvRmT3_T4_T5_mT6_P12ihipStream_tbENKUlT_T0_E_clISt17integral_constantIbLb0EESU_EEDaSP_SQ_EUlSP_E_NS1_11comp_targetILNS1_3genE4ELNS1_11target_archE910ELNS1_3gpuE8ELNS1_3repE0EEENS1_30default_config_static_selectorELNS0_4arch9wavefront6targetE1EEEvT1_,comdat
.Lfunc_end1125:
	.size	_ZN7rocprim17ROCPRIM_400000_NS6detail17trampoline_kernelINS0_14default_configENS1_20scan_config_selectorIsEEZZNS1_9scan_implILNS1_25lookback_scan_determinismE0ELb0ELb1ES3_N6thrust23THRUST_200600_302600_NS6detail15normal_iteratorINS9_10device_ptrIsEEEESE_sNS9_10multipliesIsEEsEEDaPvRmT3_T4_T5_mT6_P12ihipStream_tbENKUlT_T0_E_clISt17integral_constantIbLb0EESU_EEDaSP_SQ_EUlSP_E_NS1_11comp_targetILNS1_3genE4ELNS1_11target_archE910ELNS1_3gpuE8ELNS1_3repE0EEENS1_30default_config_static_selectorELNS0_4arch9wavefront6targetE1EEEvT1_, .Lfunc_end1125-_ZN7rocprim17ROCPRIM_400000_NS6detail17trampoline_kernelINS0_14default_configENS1_20scan_config_selectorIsEEZZNS1_9scan_implILNS1_25lookback_scan_determinismE0ELb0ELb1ES3_N6thrust23THRUST_200600_302600_NS6detail15normal_iteratorINS9_10device_ptrIsEEEESE_sNS9_10multipliesIsEEsEEDaPvRmT3_T4_T5_mT6_P12ihipStream_tbENKUlT_T0_E_clISt17integral_constantIbLb0EESU_EEDaSP_SQ_EUlSP_E_NS1_11comp_targetILNS1_3genE4ELNS1_11target_archE910ELNS1_3gpuE8ELNS1_3repE0EEENS1_30default_config_static_selectorELNS0_4arch9wavefront6targetE1EEEvT1_
                                        ; -- End function
	.section	.AMDGPU.csdata,"",@progbits
; Kernel info:
; codeLenInByte = 8656
; NumSgprs: 36
; NumVgprs: 68
; NumAgprs: 0
; TotalNumVgprs: 68
; ScratchSize: 0
; MemoryBound: 0
; FloatMode: 240
; IeeeMode: 1
; LDSByteSize: 3072 bytes/workgroup (compile time only)
; SGPRBlocks: 4
; VGPRBlocks: 8
; NumSGPRsForWavesPerEU: 36
; NumVGPRsForWavesPerEU: 68
; AccumOffset: 68
; Occupancy: 6
; WaveLimiterHint : 1
; COMPUTE_PGM_RSRC2:SCRATCH_EN: 0
; COMPUTE_PGM_RSRC2:USER_SGPR: 6
; COMPUTE_PGM_RSRC2:TRAP_HANDLER: 0
; COMPUTE_PGM_RSRC2:TGID_X_EN: 1
; COMPUTE_PGM_RSRC2:TGID_Y_EN: 0
; COMPUTE_PGM_RSRC2:TGID_Z_EN: 0
; COMPUTE_PGM_RSRC2:TIDIG_COMP_CNT: 0
; COMPUTE_PGM_RSRC3_GFX90A:ACCUM_OFFSET: 16
; COMPUTE_PGM_RSRC3_GFX90A:TG_SPLIT: 0
	.section	.text._ZN7rocprim17ROCPRIM_400000_NS6detail17trampoline_kernelINS0_14default_configENS1_20scan_config_selectorIsEEZZNS1_9scan_implILNS1_25lookback_scan_determinismE0ELb0ELb1ES3_N6thrust23THRUST_200600_302600_NS6detail15normal_iteratorINS9_10device_ptrIsEEEESE_sNS9_10multipliesIsEEsEEDaPvRmT3_T4_T5_mT6_P12ihipStream_tbENKUlT_T0_E_clISt17integral_constantIbLb0EESU_EEDaSP_SQ_EUlSP_E_NS1_11comp_targetILNS1_3genE3ELNS1_11target_archE908ELNS1_3gpuE7ELNS1_3repE0EEENS1_30default_config_static_selectorELNS0_4arch9wavefront6targetE1EEEvT1_,"axG",@progbits,_ZN7rocprim17ROCPRIM_400000_NS6detail17trampoline_kernelINS0_14default_configENS1_20scan_config_selectorIsEEZZNS1_9scan_implILNS1_25lookback_scan_determinismE0ELb0ELb1ES3_N6thrust23THRUST_200600_302600_NS6detail15normal_iteratorINS9_10device_ptrIsEEEESE_sNS9_10multipliesIsEEsEEDaPvRmT3_T4_T5_mT6_P12ihipStream_tbENKUlT_T0_E_clISt17integral_constantIbLb0EESU_EEDaSP_SQ_EUlSP_E_NS1_11comp_targetILNS1_3genE3ELNS1_11target_archE908ELNS1_3gpuE7ELNS1_3repE0EEENS1_30default_config_static_selectorELNS0_4arch9wavefront6targetE1EEEvT1_,comdat
	.protected	_ZN7rocprim17ROCPRIM_400000_NS6detail17trampoline_kernelINS0_14default_configENS1_20scan_config_selectorIsEEZZNS1_9scan_implILNS1_25lookback_scan_determinismE0ELb0ELb1ES3_N6thrust23THRUST_200600_302600_NS6detail15normal_iteratorINS9_10device_ptrIsEEEESE_sNS9_10multipliesIsEEsEEDaPvRmT3_T4_T5_mT6_P12ihipStream_tbENKUlT_T0_E_clISt17integral_constantIbLb0EESU_EEDaSP_SQ_EUlSP_E_NS1_11comp_targetILNS1_3genE3ELNS1_11target_archE908ELNS1_3gpuE7ELNS1_3repE0EEENS1_30default_config_static_selectorELNS0_4arch9wavefront6targetE1EEEvT1_ ; -- Begin function _ZN7rocprim17ROCPRIM_400000_NS6detail17trampoline_kernelINS0_14default_configENS1_20scan_config_selectorIsEEZZNS1_9scan_implILNS1_25lookback_scan_determinismE0ELb0ELb1ES3_N6thrust23THRUST_200600_302600_NS6detail15normal_iteratorINS9_10device_ptrIsEEEESE_sNS9_10multipliesIsEEsEEDaPvRmT3_T4_T5_mT6_P12ihipStream_tbENKUlT_T0_E_clISt17integral_constantIbLb0EESU_EEDaSP_SQ_EUlSP_E_NS1_11comp_targetILNS1_3genE3ELNS1_11target_archE908ELNS1_3gpuE7ELNS1_3repE0EEENS1_30default_config_static_selectorELNS0_4arch9wavefront6targetE1EEEvT1_
	.globl	_ZN7rocprim17ROCPRIM_400000_NS6detail17trampoline_kernelINS0_14default_configENS1_20scan_config_selectorIsEEZZNS1_9scan_implILNS1_25lookback_scan_determinismE0ELb0ELb1ES3_N6thrust23THRUST_200600_302600_NS6detail15normal_iteratorINS9_10device_ptrIsEEEESE_sNS9_10multipliesIsEEsEEDaPvRmT3_T4_T5_mT6_P12ihipStream_tbENKUlT_T0_E_clISt17integral_constantIbLb0EESU_EEDaSP_SQ_EUlSP_E_NS1_11comp_targetILNS1_3genE3ELNS1_11target_archE908ELNS1_3gpuE7ELNS1_3repE0EEENS1_30default_config_static_selectorELNS0_4arch9wavefront6targetE1EEEvT1_
	.p2align	8
	.type	_ZN7rocprim17ROCPRIM_400000_NS6detail17trampoline_kernelINS0_14default_configENS1_20scan_config_selectorIsEEZZNS1_9scan_implILNS1_25lookback_scan_determinismE0ELb0ELb1ES3_N6thrust23THRUST_200600_302600_NS6detail15normal_iteratorINS9_10device_ptrIsEEEESE_sNS9_10multipliesIsEEsEEDaPvRmT3_T4_T5_mT6_P12ihipStream_tbENKUlT_T0_E_clISt17integral_constantIbLb0EESU_EEDaSP_SQ_EUlSP_E_NS1_11comp_targetILNS1_3genE3ELNS1_11target_archE908ELNS1_3gpuE7ELNS1_3repE0EEENS1_30default_config_static_selectorELNS0_4arch9wavefront6targetE1EEEvT1_,@function
_ZN7rocprim17ROCPRIM_400000_NS6detail17trampoline_kernelINS0_14default_configENS1_20scan_config_selectorIsEEZZNS1_9scan_implILNS1_25lookback_scan_determinismE0ELb0ELb1ES3_N6thrust23THRUST_200600_302600_NS6detail15normal_iteratorINS9_10device_ptrIsEEEESE_sNS9_10multipliesIsEEsEEDaPvRmT3_T4_T5_mT6_P12ihipStream_tbENKUlT_T0_E_clISt17integral_constantIbLb0EESU_EEDaSP_SQ_EUlSP_E_NS1_11comp_targetILNS1_3genE3ELNS1_11target_archE908ELNS1_3gpuE7ELNS1_3repE0EEENS1_30default_config_static_selectorELNS0_4arch9wavefront6targetE1EEEvT1_: ; @_ZN7rocprim17ROCPRIM_400000_NS6detail17trampoline_kernelINS0_14default_configENS1_20scan_config_selectorIsEEZZNS1_9scan_implILNS1_25lookback_scan_determinismE0ELb0ELb1ES3_N6thrust23THRUST_200600_302600_NS6detail15normal_iteratorINS9_10device_ptrIsEEEESE_sNS9_10multipliesIsEEsEEDaPvRmT3_T4_T5_mT6_P12ihipStream_tbENKUlT_T0_E_clISt17integral_constantIbLb0EESU_EEDaSP_SQ_EUlSP_E_NS1_11comp_targetILNS1_3genE3ELNS1_11target_archE908ELNS1_3gpuE7ELNS1_3repE0EEENS1_30default_config_static_selectorELNS0_4arch9wavefront6targetE1EEEvT1_
; %bb.0:
	.section	.rodata,"a",@progbits
	.p2align	6, 0x0
	.amdhsa_kernel _ZN7rocprim17ROCPRIM_400000_NS6detail17trampoline_kernelINS0_14default_configENS1_20scan_config_selectorIsEEZZNS1_9scan_implILNS1_25lookback_scan_determinismE0ELb0ELb1ES3_N6thrust23THRUST_200600_302600_NS6detail15normal_iteratorINS9_10device_ptrIsEEEESE_sNS9_10multipliesIsEEsEEDaPvRmT3_T4_T5_mT6_P12ihipStream_tbENKUlT_T0_E_clISt17integral_constantIbLb0EESU_EEDaSP_SQ_EUlSP_E_NS1_11comp_targetILNS1_3genE3ELNS1_11target_archE908ELNS1_3gpuE7ELNS1_3repE0EEENS1_30default_config_static_selectorELNS0_4arch9wavefront6targetE1EEEvT1_
		.amdhsa_group_segment_fixed_size 0
		.amdhsa_private_segment_fixed_size 0
		.amdhsa_kernarg_size 96
		.amdhsa_user_sgpr_count 6
		.amdhsa_user_sgpr_private_segment_buffer 1
		.amdhsa_user_sgpr_dispatch_ptr 0
		.amdhsa_user_sgpr_queue_ptr 0
		.amdhsa_user_sgpr_kernarg_segment_ptr 1
		.amdhsa_user_sgpr_dispatch_id 0
		.amdhsa_user_sgpr_flat_scratch_init 0
		.amdhsa_user_sgpr_kernarg_preload_length 0
		.amdhsa_user_sgpr_kernarg_preload_offset 0
		.amdhsa_user_sgpr_private_segment_size 0
		.amdhsa_uses_dynamic_stack 0
		.amdhsa_system_sgpr_private_segment_wavefront_offset 0
		.amdhsa_system_sgpr_workgroup_id_x 1
		.amdhsa_system_sgpr_workgroup_id_y 0
		.amdhsa_system_sgpr_workgroup_id_z 0
		.amdhsa_system_sgpr_workgroup_info 0
		.amdhsa_system_vgpr_workitem_id 0
		.amdhsa_next_free_vgpr 1
		.amdhsa_next_free_sgpr 0
		.amdhsa_accum_offset 4
		.amdhsa_reserve_vcc 0
		.amdhsa_reserve_flat_scratch 0
		.amdhsa_float_round_mode_32 0
		.amdhsa_float_round_mode_16_64 0
		.amdhsa_float_denorm_mode_32 3
		.amdhsa_float_denorm_mode_16_64 3
		.amdhsa_dx10_clamp 1
		.amdhsa_ieee_mode 1
		.amdhsa_fp16_overflow 0
		.amdhsa_tg_split 0
		.amdhsa_exception_fp_ieee_invalid_op 0
		.amdhsa_exception_fp_denorm_src 0
		.amdhsa_exception_fp_ieee_div_zero 0
		.amdhsa_exception_fp_ieee_overflow 0
		.amdhsa_exception_fp_ieee_underflow 0
		.amdhsa_exception_fp_ieee_inexact 0
		.amdhsa_exception_int_div_zero 0
	.end_amdhsa_kernel
	.section	.text._ZN7rocprim17ROCPRIM_400000_NS6detail17trampoline_kernelINS0_14default_configENS1_20scan_config_selectorIsEEZZNS1_9scan_implILNS1_25lookback_scan_determinismE0ELb0ELb1ES3_N6thrust23THRUST_200600_302600_NS6detail15normal_iteratorINS9_10device_ptrIsEEEESE_sNS9_10multipliesIsEEsEEDaPvRmT3_T4_T5_mT6_P12ihipStream_tbENKUlT_T0_E_clISt17integral_constantIbLb0EESU_EEDaSP_SQ_EUlSP_E_NS1_11comp_targetILNS1_3genE3ELNS1_11target_archE908ELNS1_3gpuE7ELNS1_3repE0EEENS1_30default_config_static_selectorELNS0_4arch9wavefront6targetE1EEEvT1_,"axG",@progbits,_ZN7rocprim17ROCPRIM_400000_NS6detail17trampoline_kernelINS0_14default_configENS1_20scan_config_selectorIsEEZZNS1_9scan_implILNS1_25lookback_scan_determinismE0ELb0ELb1ES3_N6thrust23THRUST_200600_302600_NS6detail15normal_iteratorINS9_10device_ptrIsEEEESE_sNS9_10multipliesIsEEsEEDaPvRmT3_T4_T5_mT6_P12ihipStream_tbENKUlT_T0_E_clISt17integral_constantIbLb0EESU_EEDaSP_SQ_EUlSP_E_NS1_11comp_targetILNS1_3genE3ELNS1_11target_archE908ELNS1_3gpuE7ELNS1_3repE0EEENS1_30default_config_static_selectorELNS0_4arch9wavefront6targetE1EEEvT1_,comdat
.Lfunc_end1126:
	.size	_ZN7rocprim17ROCPRIM_400000_NS6detail17trampoline_kernelINS0_14default_configENS1_20scan_config_selectorIsEEZZNS1_9scan_implILNS1_25lookback_scan_determinismE0ELb0ELb1ES3_N6thrust23THRUST_200600_302600_NS6detail15normal_iteratorINS9_10device_ptrIsEEEESE_sNS9_10multipliesIsEEsEEDaPvRmT3_T4_T5_mT6_P12ihipStream_tbENKUlT_T0_E_clISt17integral_constantIbLb0EESU_EEDaSP_SQ_EUlSP_E_NS1_11comp_targetILNS1_3genE3ELNS1_11target_archE908ELNS1_3gpuE7ELNS1_3repE0EEENS1_30default_config_static_selectorELNS0_4arch9wavefront6targetE1EEEvT1_, .Lfunc_end1126-_ZN7rocprim17ROCPRIM_400000_NS6detail17trampoline_kernelINS0_14default_configENS1_20scan_config_selectorIsEEZZNS1_9scan_implILNS1_25lookback_scan_determinismE0ELb0ELb1ES3_N6thrust23THRUST_200600_302600_NS6detail15normal_iteratorINS9_10device_ptrIsEEEESE_sNS9_10multipliesIsEEsEEDaPvRmT3_T4_T5_mT6_P12ihipStream_tbENKUlT_T0_E_clISt17integral_constantIbLb0EESU_EEDaSP_SQ_EUlSP_E_NS1_11comp_targetILNS1_3genE3ELNS1_11target_archE908ELNS1_3gpuE7ELNS1_3repE0EEENS1_30default_config_static_selectorELNS0_4arch9wavefront6targetE1EEEvT1_
                                        ; -- End function
	.section	.AMDGPU.csdata,"",@progbits
; Kernel info:
; codeLenInByte = 0
; NumSgprs: 4
; NumVgprs: 0
; NumAgprs: 0
; TotalNumVgprs: 0
; ScratchSize: 0
; MemoryBound: 0
; FloatMode: 240
; IeeeMode: 1
; LDSByteSize: 0 bytes/workgroup (compile time only)
; SGPRBlocks: 0
; VGPRBlocks: 0
; NumSGPRsForWavesPerEU: 4
; NumVGPRsForWavesPerEU: 1
; AccumOffset: 4
; Occupancy: 8
; WaveLimiterHint : 0
; COMPUTE_PGM_RSRC2:SCRATCH_EN: 0
; COMPUTE_PGM_RSRC2:USER_SGPR: 6
; COMPUTE_PGM_RSRC2:TRAP_HANDLER: 0
; COMPUTE_PGM_RSRC2:TGID_X_EN: 1
; COMPUTE_PGM_RSRC2:TGID_Y_EN: 0
; COMPUTE_PGM_RSRC2:TGID_Z_EN: 0
; COMPUTE_PGM_RSRC2:TIDIG_COMP_CNT: 0
; COMPUTE_PGM_RSRC3_GFX90A:ACCUM_OFFSET: 0
; COMPUTE_PGM_RSRC3_GFX90A:TG_SPLIT: 0
	.section	.text._ZN7rocprim17ROCPRIM_400000_NS6detail17trampoline_kernelINS0_14default_configENS1_20scan_config_selectorIsEEZZNS1_9scan_implILNS1_25lookback_scan_determinismE0ELb0ELb1ES3_N6thrust23THRUST_200600_302600_NS6detail15normal_iteratorINS9_10device_ptrIsEEEESE_sNS9_10multipliesIsEEsEEDaPvRmT3_T4_T5_mT6_P12ihipStream_tbENKUlT_T0_E_clISt17integral_constantIbLb0EESU_EEDaSP_SQ_EUlSP_E_NS1_11comp_targetILNS1_3genE2ELNS1_11target_archE906ELNS1_3gpuE6ELNS1_3repE0EEENS1_30default_config_static_selectorELNS0_4arch9wavefront6targetE1EEEvT1_,"axG",@progbits,_ZN7rocprim17ROCPRIM_400000_NS6detail17trampoline_kernelINS0_14default_configENS1_20scan_config_selectorIsEEZZNS1_9scan_implILNS1_25lookback_scan_determinismE0ELb0ELb1ES3_N6thrust23THRUST_200600_302600_NS6detail15normal_iteratorINS9_10device_ptrIsEEEESE_sNS9_10multipliesIsEEsEEDaPvRmT3_T4_T5_mT6_P12ihipStream_tbENKUlT_T0_E_clISt17integral_constantIbLb0EESU_EEDaSP_SQ_EUlSP_E_NS1_11comp_targetILNS1_3genE2ELNS1_11target_archE906ELNS1_3gpuE6ELNS1_3repE0EEENS1_30default_config_static_selectorELNS0_4arch9wavefront6targetE1EEEvT1_,comdat
	.protected	_ZN7rocprim17ROCPRIM_400000_NS6detail17trampoline_kernelINS0_14default_configENS1_20scan_config_selectorIsEEZZNS1_9scan_implILNS1_25lookback_scan_determinismE0ELb0ELb1ES3_N6thrust23THRUST_200600_302600_NS6detail15normal_iteratorINS9_10device_ptrIsEEEESE_sNS9_10multipliesIsEEsEEDaPvRmT3_T4_T5_mT6_P12ihipStream_tbENKUlT_T0_E_clISt17integral_constantIbLb0EESU_EEDaSP_SQ_EUlSP_E_NS1_11comp_targetILNS1_3genE2ELNS1_11target_archE906ELNS1_3gpuE6ELNS1_3repE0EEENS1_30default_config_static_selectorELNS0_4arch9wavefront6targetE1EEEvT1_ ; -- Begin function _ZN7rocprim17ROCPRIM_400000_NS6detail17trampoline_kernelINS0_14default_configENS1_20scan_config_selectorIsEEZZNS1_9scan_implILNS1_25lookback_scan_determinismE0ELb0ELb1ES3_N6thrust23THRUST_200600_302600_NS6detail15normal_iteratorINS9_10device_ptrIsEEEESE_sNS9_10multipliesIsEEsEEDaPvRmT3_T4_T5_mT6_P12ihipStream_tbENKUlT_T0_E_clISt17integral_constantIbLb0EESU_EEDaSP_SQ_EUlSP_E_NS1_11comp_targetILNS1_3genE2ELNS1_11target_archE906ELNS1_3gpuE6ELNS1_3repE0EEENS1_30default_config_static_selectorELNS0_4arch9wavefront6targetE1EEEvT1_
	.globl	_ZN7rocprim17ROCPRIM_400000_NS6detail17trampoline_kernelINS0_14default_configENS1_20scan_config_selectorIsEEZZNS1_9scan_implILNS1_25lookback_scan_determinismE0ELb0ELb1ES3_N6thrust23THRUST_200600_302600_NS6detail15normal_iteratorINS9_10device_ptrIsEEEESE_sNS9_10multipliesIsEEsEEDaPvRmT3_T4_T5_mT6_P12ihipStream_tbENKUlT_T0_E_clISt17integral_constantIbLb0EESU_EEDaSP_SQ_EUlSP_E_NS1_11comp_targetILNS1_3genE2ELNS1_11target_archE906ELNS1_3gpuE6ELNS1_3repE0EEENS1_30default_config_static_selectorELNS0_4arch9wavefront6targetE1EEEvT1_
	.p2align	8
	.type	_ZN7rocprim17ROCPRIM_400000_NS6detail17trampoline_kernelINS0_14default_configENS1_20scan_config_selectorIsEEZZNS1_9scan_implILNS1_25lookback_scan_determinismE0ELb0ELb1ES3_N6thrust23THRUST_200600_302600_NS6detail15normal_iteratorINS9_10device_ptrIsEEEESE_sNS9_10multipliesIsEEsEEDaPvRmT3_T4_T5_mT6_P12ihipStream_tbENKUlT_T0_E_clISt17integral_constantIbLb0EESU_EEDaSP_SQ_EUlSP_E_NS1_11comp_targetILNS1_3genE2ELNS1_11target_archE906ELNS1_3gpuE6ELNS1_3repE0EEENS1_30default_config_static_selectorELNS0_4arch9wavefront6targetE1EEEvT1_,@function
_ZN7rocprim17ROCPRIM_400000_NS6detail17trampoline_kernelINS0_14default_configENS1_20scan_config_selectorIsEEZZNS1_9scan_implILNS1_25lookback_scan_determinismE0ELb0ELb1ES3_N6thrust23THRUST_200600_302600_NS6detail15normal_iteratorINS9_10device_ptrIsEEEESE_sNS9_10multipliesIsEEsEEDaPvRmT3_T4_T5_mT6_P12ihipStream_tbENKUlT_T0_E_clISt17integral_constantIbLb0EESU_EEDaSP_SQ_EUlSP_E_NS1_11comp_targetILNS1_3genE2ELNS1_11target_archE906ELNS1_3gpuE6ELNS1_3repE0EEENS1_30default_config_static_selectorELNS0_4arch9wavefront6targetE1EEEvT1_: ; @_ZN7rocprim17ROCPRIM_400000_NS6detail17trampoline_kernelINS0_14default_configENS1_20scan_config_selectorIsEEZZNS1_9scan_implILNS1_25lookback_scan_determinismE0ELb0ELb1ES3_N6thrust23THRUST_200600_302600_NS6detail15normal_iteratorINS9_10device_ptrIsEEEESE_sNS9_10multipliesIsEEsEEDaPvRmT3_T4_T5_mT6_P12ihipStream_tbENKUlT_T0_E_clISt17integral_constantIbLb0EESU_EEDaSP_SQ_EUlSP_E_NS1_11comp_targetILNS1_3genE2ELNS1_11target_archE906ELNS1_3gpuE6ELNS1_3repE0EEENS1_30default_config_static_selectorELNS0_4arch9wavefront6targetE1EEEvT1_
; %bb.0:
	.section	.rodata,"a",@progbits
	.p2align	6, 0x0
	.amdhsa_kernel _ZN7rocprim17ROCPRIM_400000_NS6detail17trampoline_kernelINS0_14default_configENS1_20scan_config_selectorIsEEZZNS1_9scan_implILNS1_25lookback_scan_determinismE0ELb0ELb1ES3_N6thrust23THRUST_200600_302600_NS6detail15normal_iteratorINS9_10device_ptrIsEEEESE_sNS9_10multipliesIsEEsEEDaPvRmT3_T4_T5_mT6_P12ihipStream_tbENKUlT_T0_E_clISt17integral_constantIbLb0EESU_EEDaSP_SQ_EUlSP_E_NS1_11comp_targetILNS1_3genE2ELNS1_11target_archE906ELNS1_3gpuE6ELNS1_3repE0EEENS1_30default_config_static_selectorELNS0_4arch9wavefront6targetE1EEEvT1_
		.amdhsa_group_segment_fixed_size 0
		.amdhsa_private_segment_fixed_size 0
		.amdhsa_kernarg_size 96
		.amdhsa_user_sgpr_count 6
		.amdhsa_user_sgpr_private_segment_buffer 1
		.amdhsa_user_sgpr_dispatch_ptr 0
		.amdhsa_user_sgpr_queue_ptr 0
		.amdhsa_user_sgpr_kernarg_segment_ptr 1
		.amdhsa_user_sgpr_dispatch_id 0
		.amdhsa_user_sgpr_flat_scratch_init 0
		.amdhsa_user_sgpr_kernarg_preload_length 0
		.amdhsa_user_sgpr_kernarg_preload_offset 0
		.amdhsa_user_sgpr_private_segment_size 0
		.amdhsa_uses_dynamic_stack 0
		.amdhsa_system_sgpr_private_segment_wavefront_offset 0
		.amdhsa_system_sgpr_workgroup_id_x 1
		.amdhsa_system_sgpr_workgroup_id_y 0
		.amdhsa_system_sgpr_workgroup_id_z 0
		.amdhsa_system_sgpr_workgroup_info 0
		.amdhsa_system_vgpr_workitem_id 0
		.amdhsa_next_free_vgpr 1
		.amdhsa_next_free_sgpr 0
		.amdhsa_accum_offset 4
		.amdhsa_reserve_vcc 0
		.amdhsa_reserve_flat_scratch 0
		.amdhsa_float_round_mode_32 0
		.amdhsa_float_round_mode_16_64 0
		.amdhsa_float_denorm_mode_32 3
		.amdhsa_float_denorm_mode_16_64 3
		.amdhsa_dx10_clamp 1
		.amdhsa_ieee_mode 1
		.amdhsa_fp16_overflow 0
		.amdhsa_tg_split 0
		.amdhsa_exception_fp_ieee_invalid_op 0
		.amdhsa_exception_fp_denorm_src 0
		.amdhsa_exception_fp_ieee_div_zero 0
		.amdhsa_exception_fp_ieee_overflow 0
		.amdhsa_exception_fp_ieee_underflow 0
		.amdhsa_exception_fp_ieee_inexact 0
		.amdhsa_exception_int_div_zero 0
	.end_amdhsa_kernel
	.section	.text._ZN7rocprim17ROCPRIM_400000_NS6detail17trampoline_kernelINS0_14default_configENS1_20scan_config_selectorIsEEZZNS1_9scan_implILNS1_25lookback_scan_determinismE0ELb0ELb1ES3_N6thrust23THRUST_200600_302600_NS6detail15normal_iteratorINS9_10device_ptrIsEEEESE_sNS9_10multipliesIsEEsEEDaPvRmT3_T4_T5_mT6_P12ihipStream_tbENKUlT_T0_E_clISt17integral_constantIbLb0EESU_EEDaSP_SQ_EUlSP_E_NS1_11comp_targetILNS1_3genE2ELNS1_11target_archE906ELNS1_3gpuE6ELNS1_3repE0EEENS1_30default_config_static_selectorELNS0_4arch9wavefront6targetE1EEEvT1_,"axG",@progbits,_ZN7rocprim17ROCPRIM_400000_NS6detail17trampoline_kernelINS0_14default_configENS1_20scan_config_selectorIsEEZZNS1_9scan_implILNS1_25lookback_scan_determinismE0ELb0ELb1ES3_N6thrust23THRUST_200600_302600_NS6detail15normal_iteratorINS9_10device_ptrIsEEEESE_sNS9_10multipliesIsEEsEEDaPvRmT3_T4_T5_mT6_P12ihipStream_tbENKUlT_T0_E_clISt17integral_constantIbLb0EESU_EEDaSP_SQ_EUlSP_E_NS1_11comp_targetILNS1_3genE2ELNS1_11target_archE906ELNS1_3gpuE6ELNS1_3repE0EEENS1_30default_config_static_selectorELNS0_4arch9wavefront6targetE1EEEvT1_,comdat
.Lfunc_end1127:
	.size	_ZN7rocprim17ROCPRIM_400000_NS6detail17trampoline_kernelINS0_14default_configENS1_20scan_config_selectorIsEEZZNS1_9scan_implILNS1_25lookback_scan_determinismE0ELb0ELb1ES3_N6thrust23THRUST_200600_302600_NS6detail15normal_iteratorINS9_10device_ptrIsEEEESE_sNS9_10multipliesIsEEsEEDaPvRmT3_T4_T5_mT6_P12ihipStream_tbENKUlT_T0_E_clISt17integral_constantIbLb0EESU_EEDaSP_SQ_EUlSP_E_NS1_11comp_targetILNS1_3genE2ELNS1_11target_archE906ELNS1_3gpuE6ELNS1_3repE0EEENS1_30default_config_static_selectorELNS0_4arch9wavefront6targetE1EEEvT1_, .Lfunc_end1127-_ZN7rocprim17ROCPRIM_400000_NS6detail17trampoline_kernelINS0_14default_configENS1_20scan_config_selectorIsEEZZNS1_9scan_implILNS1_25lookback_scan_determinismE0ELb0ELb1ES3_N6thrust23THRUST_200600_302600_NS6detail15normal_iteratorINS9_10device_ptrIsEEEESE_sNS9_10multipliesIsEEsEEDaPvRmT3_T4_T5_mT6_P12ihipStream_tbENKUlT_T0_E_clISt17integral_constantIbLb0EESU_EEDaSP_SQ_EUlSP_E_NS1_11comp_targetILNS1_3genE2ELNS1_11target_archE906ELNS1_3gpuE6ELNS1_3repE0EEENS1_30default_config_static_selectorELNS0_4arch9wavefront6targetE1EEEvT1_
                                        ; -- End function
	.section	.AMDGPU.csdata,"",@progbits
; Kernel info:
; codeLenInByte = 0
; NumSgprs: 4
; NumVgprs: 0
; NumAgprs: 0
; TotalNumVgprs: 0
; ScratchSize: 0
; MemoryBound: 0
; FloatMode: 240
; IeeeMode: 1
; LDSByteSize: 0 bytes/workgroup (compile time only)
; SGPRBlocks: 0
; VGPRBlocks: 0
; NumSGPRsForWavesPerEU: 4
; NumVGPRsForWavesPerEU: 1
; AccumOffset: 4
; Occupancy: 8
; WaveLimiterHint : 0
; COMPUTE_PGM_RSRC2:SCRATCH_EN: 0
; COMPUTE_PGM_RSRC2:USER_SGPR: 6
; COMPUTE_PGM_RSRC2:TRAP_HANDLER: 0
; COMPUTE_PGM_RSRC2:TGID_X_EN: 1
; COMPUTE_PGM_RSRC2:TGID_Y_EN: 0
; COMPUTE_PGM_RSRC2:TGID_Z_EN: 0
; COMPUTE_PGM_RSRC2:TIDIG_COMP_CNT: 0
; COMPUTE_PGM_RSRC3_GFX90A:ACCUM_OFFSET: 0
; COMPUTE_PGM_RSRC3_GFX90A:TG_SPLIT: 0
	.section	.text._ZN7rocprim17ROCPRIM_400000_NS6detail17trampoline_kernelINS0_14default_configENS1_20scan_config_selectorIsEEZZNS1_9scan_implILNS1_25lookback_scan_determinismE0ELb0ELb1ES3_N6thrust23THRUST_200600_302600_NS6detail15normal_iteratorINS9_10device_ptrIsEEEESE_sNS9_10multipliesIsEEsEEDaPvRmT3_T4_T5_mT6_P12ihipStream_tbENKUlT_T0_E_clISt17integral_constantIbLb0EESU_EEDaSP_SQ_EUlSP_E_NS1_11comp_targetILNS1_3genE10ELNS1_11target_archE1201ELNS1_3gpuE5ELNS1_3repE0EEENS1_30default_config_static_selectorELNS0_4arch9wavefront6targetE1EEEvT1_,"axG",@progbits,_ZN7rocprim17ROCPRIM_400000_NS6detail17trampoline_kernelINS0_14default_configENS1_20scan_config_selectorIsEEZZNS1_9scan_implILNS1_25lookback_scan_determinismE0ELb0ELb1ES3_N6thrust23THRUST_200600_302600_NS6detail15normal_iteratorINS9_10device_ptrIsEEEESE_sNS9_10multipliesIsEEsEEDaPvRmT3_T4_T5_mT6_P12ihipStream_tbENKUlT_T0_E_clISt17integral_constantIbLb0EESU_EEDaSP_SQ_EUlSP_E_NS1_11comp_targetILNS1_3genE10ELNS1_11target_archE1201ELNS1_3gpuE5ELNS1_3repE0EEENS1_30default_config_static_selectorELNS0_4arch9wavefront6targetE1EEEvT1_,comdat
	.protected	_ZN7rocprim17ROCPRIM_400000_NS6detail17trampoline_kernelINS0_14default_configENS1_20scan_config_selectorIsEEZZNS1_9scan_implILNS1_25lookback_scan_determinismE0ELb0ELb1ES3_N6thrust23THRUST_200600_302600_NS6detail15normal_iteratorINS9_10device_ptrIsEEEESE_sNS9_10multipliesIsEEsEEDaPvRmT3_T4_T5_mT6_P12ihipStream_tbENKUlT_T0_E_clISt17integral_constantIbLb0EESU_EEDaSP_SQ_EUlSP_E_NS1_11comp_targetILNS1_3genE10ELNS1_11target_archE1201ELNS1_3gpuE5ELNS1_3repE0EEENS1_30default_config_static_selectorELNS0_4arch9wavefront6targetE1EEEvT1_ ; -- Begin function _ZN7rocprim17ROCPRIM_400000_NS6detail17trampoline_kernelINS0_14default_configENS1_20scan_config_selectorIsEEZZNS1_9scan_implILNS1_25lookback_scan_determinismE0ELb0ELb1ES3_N6thrust23THRUST_200600_302600_NS6detail15normal_iteratorINS9_10device_ptrIsEEEESE_sNS9_10multipliesIsEEsEEDaPvRmT3_T4_T5_mT6_P12ihipStream_tbENKUlT_T0_E_clISt17integral_constantIbLb0EESU_EEDaSP_SQ_EUlSP_E_NS1_11comp_targetILNS1_3genE10ELNS1_11target_archE1201ELNS1_3gpuE5ELNS1_3repE0EEENS1_30default_config_static_selectorELNS0_4arch9wavefront6targetE1EEEvT1_
	.globl	_ZN7rocprim17ROCPRIM_400000_NS6detail17trampoline_kernelINS0_14default_configENS1_20scan_config_selectorIsEEZZNS1_9scan_implILNS1_25lookback_scan_determinismE0ELb0ELb1ES3_N6thrust23THRUST_200600_302600_NS6detail15normal_iteratorINS9_10device_ptrIsEEEESE_sNS9_10multipliesIsEEsEEDaPvRmT3_T4_T5_mT6_P12ihipStream_tbENKUlT_T0_E_clISt17integral_constantIbLb0EESU_EEDaSP_SQ_EUlSP_E_NS1_11comp_targetILNS1_3genE10ELNS1_11target_archE1201ELNS1_3gpuE5ELNS1_3repE0EEENS1_30default_config_static_selectorELNS0_4arch9wavefront6targetE1EEEvT1_
	.p2align	8
	.type	_ZN7rocprim17ROCPRIM_400000_NS6detail17trampoline_kernelINS0_14default_configENS1_20scan_config_selectorIsEEZZNS1_9scan_implILNS1_25lookback_scan_determinismE0ELb0ELb1ES3_N6thrust23THRUST_200600_302600_NS6detail15normal_iteratorINS9_10device_ptrIsEEEESE_sNS9_10multipliesIsEEsEEDaPvRmT3_T4_T5_mT6_P12ihipStream_tbENKUlT_T0_E_clISt17integral_constantIbLb0EESU_EEDaSP_SQ_EUlSP_E_NS1_11comp_targetILNS1_3genE10ELNS1_11target_archE1201ELNS1_3gpuE5ELNS1_3repE0EEENS1_30default_config_static_selectorELNS0_4arch9wavefront6targetE1EEEvT1_,@function
_ZN7rocprim17ROCPRIM_400000_NS6detail17trampoline_kernelINS0_14default_configENS1_20scan_config_selectorIsEEZZNS1_9scan_implILNS1_25lookback_scan_determinismE0ELb0ELb1ES3_N6thrust23THRUST_200600_302600_NS6detail15normal_iteratorINS9_10device_ptrIsEEEESE_sNS9_10multipliesIsEEsEEDaPvRmT3_T4_T5_mT6_P12ihipStream_tbENKUlT_T0_E_clISt17integral_constantIbLb0EESU_EEDaSP_SQ_EUlSP_E_NS1_11comp_targetILNS1_3genE10ELNS1_11target_archE1201ELNS1_3gpuE5ELNS1_3repE0EEENS1_30default_config_static_selectorELNS0_4arch9wavefront6targetE1EEEvT1_: ; @_ZN7rocprim17ROCPRIM_400000_NS6detail17trampoline_kernelINS0_14default_configENS1_20scan_config_selectorIsEEZZNS1_9scan_implILNS1_25lookback_scan_determinismE0ELb0ELb1ES3_N6thrust23THRUST_200600_302600_NS6detail15normal_iteratorINS9_10device_ptrIsEEEESE_sNS9_10multipliesIsEEsEEDaPvRmT3_T4_T5_mT6_P12ihipStream_tbENKUlT_T0_E_clISt17integral_constantIbLb0EESU_EEDaSP_SQ_EUlSP_E_NS1_11comp_targetILNS1_3genE10ELNS1_11target_archE1201ELNS1_3gpuE5ELNS1_3repE0EEENS1_30default_config_static_selectorELNS0_4arch9wavefront6targetE1EEEvT1_
; %bb.0:
	.section	.rodata,"a",@progbits
	.p2align	6, 0x0
	.amdhsa_kernel _ZN7rocprim17ROCPRIM_400000_NS6detail17trampoline_kernelINS0_14default_configENS1_20scan_config_selectorIsEEZZNS1_9scan_implILNS1_25lookback_scan_determinismE0ELb0ELb1ES3_N6thrust23THRUST_200600_302600_NS6detail15normal_iteratorINS9_10device_ptrIsEEEESE_sNS9_10multipliesIsEEsEEDaPvRmT3_T4_T5_mT6_P12ihipStream_tbENKUlT_T0_E_clISt17integral_constantIbLb0EESU_EEDaSP_SQ_EUlSP_E_NS1_11comp_targetILNS1_3genE10ELNS1_11target_archE1201ELNS1_3gpuE5ELNS1_3repE0EEENS1_30default_config_static_selectorELNS0_4arch9wavefront6targetE1EEEvT1_
		.amdhsa_group_segment_fixed_size 0
		.amdhsa_private_segment_fixed_size 0
		.amdhsa_kernarg_size 96
		.amdhsa_user_sgpr_count 6
		.amdhsa_user_sgpr_private_segment_buffer 1
		.amdhsa_user_sgpr_dispatch_ptr 0
		.amdhsa_user_sgpr_queue_ptr 0
		.amdhsa_user_sgpr_kernarg_segment_ptr 1
		.amdhsa_user_sgpr_dispatch_id 0
		.amdhsa_user_sgpr_flat_scratch_init 0
		.amdhsa_user_sgpr_kernarg_preload_length 0
		.amdhsa_user_sgpr_kernarg_preload_offset 0
		.amdhsa_user_sgpr_private_segment_size 0
		.amdhsa_uses_dynamic_stack 0
		.amdhsa_system_sgpr_private_segment_wavefront_offset 0
		.amdhsa_system_sgpr_workgroup_id_x 1
		.amdhsa_system_sgpr_workgroup_id_y 0
		.amdhsa_system_sgpr_workgroup_id_z 0
		.amdhsa_system_sgpr_workgroup_info 0
		.amdhsa_system_vgpr_workitem_id 0
		.amdhsa_next_free_vgpr 1
		.amdhsa_next_free_sgpr 0
		.amdhsa_accum_offset 4
		.amdhsa_reserve_vcc 0
		.amdhsa_reserve_flat_scratch 0
		.amdhsa_float_round_mode_32 0
		.amdhsa_float_round_mode_16_64 0
		.amdhsa_float_denorm_mode_32 3
		.amdhsa_float_denorm_mode_16_64 3
		.amdhsa_dx10_clamp 1
		.amdhsa_ieee_mode 1
		.amdhsa_fp16_overflow 0
		.amdhsa_tg_split 0
		.amdhsa_exception_fp_ieee_invalid_op 0
		.amdhsa_exception_fp_denorm_src 0
		.amdhsa_exception_fp_ieee_div_zero 0
		.amdhsa_exception_fp_ieee_overflow 0
		.amdhsa_exception_fp_ieee_underflow 0
		.amdhsa_exception_fp_ieee_inexact 0
		.amdhsa_exception_int_div_zero 0
	.end_amdhsa_kernel
	.section	.text._ZN7rocprim17ROCPRIM_400000_NS6detail17trampoline_kernelINS0_14default_configENS1_20scan_config_selectorIsEEZZNS1_9scan_implILNS1_25lookback_scan_determinismE0ELb0ELb1ES3_N6thrust23THRUST_200600_302600_NS6detail15normal_iteratorINS9_10device_ptrIsEEEESE_sNS9_10multipliesIsEEsEEDaPvRmT3_T4_T5_mT6_P12ihipStream_tbENKUlT_T0_E_clISt17integral_constantIbLb0EESU_EEDaSP_SQ_EUlSP_E_NS1_11comp_targetILNS1_3genE10ELNS1_11target_archE1201ELNS1_3gpuE5ELNS1_3repE0EEENS1_30default_config_static_selectorELNS0_4arch9wavefront6targetE1EEEvT1_,"axG",@progbits,_ZN7rocprim17ROCPRIM_400000_NS6detail17trampoline_kernelINS0_14default_configENS1_20scan_config_selectorIsEEZZNS1_9scan_implILNS1_25lookback_scan_determinismE0ELb0ELb1ES3_N6thrust23THRUST_200600_302600_NS6detail15normal_iteratorINS9_10device_ptrIsEEEESE_sNS9_10multipliesIsEEsEEDaPvRmT3_T4_T5_mT6_P12ihipStream_tbENKUlT_T0_E_clISt17integral_constantIbLb0EESU_EEDaSP_SQ_EUlSP_E_NS1_11comp_targetILNS1_3genE10ELNS1_11target_archE1201ELNS1_3gpuE5ELNS1_3repE0EEENS1_30default_config_static_selectorELNS0_4arch9wavefront6targetE1EEEvT1_,comdat
.Lfunc_end1128:
	.size	_ZN7rocprim17ROCPRIM_400000_NS6detail17trampoline_kernelINS0_14default_configENS1_20scan_config_selectorIsEEZZNS1_9scan_implILNS1_25lookback_scan_determinismE0ELb0ELb1ES3_N6thrust23THRUST_200600_302600_NS6detail15normal_iteratorINS9_10device_ptrIsEEEESE_sNS9_10multipliesIsEEsEEDaPvRmT3_T4_T5_mT6_P12ihipStream_tbENKUlT_T0_E_clISt17integral_constantIbLb0EESU_EEDaSP_SQ_EUlSP_E_NS1_11comp_targetILNS1_3genE10ELNS1_11target_archE1201ELNS1_3gpuE5ELNS1_3repE0EEENS1_30default_config_static_selectorELNS0_4arch9wavefront6targetE1EEEvT1_, .Lfunc_end1128-_ZN7rocprim17ROCPRIM_400000_NS6detail17trampoline_kernelINS0_14default_configENS1_20scan_config_selectorIsEEZZNS1_9scan_implILNS1_25lookback_scan_determinismE0ELb0ELb1ES3_N6thrust23THRUST_200600_302600_NS6detail15normal_iteratorINS9_10device_ptrIsEEEESE_sNS9_10multipliesIsEEsEEDaPvRmT3_T4_T5_mT6_P12ihipStream_tbENKUlT_T0_E_clISt17integral_constantIbLb0EESU_EEDaSP_SQ_EUlSP_E_NS1_11comp_targetILNS1_3genE10ELNS1_11target_archE1201ELNS1_3gpuE5ELNS1_3repE0EEENS1_30default_config_static_selectorELNS0_4arch9wavefront6targetE1EEEvT1_
                                        ; -- End function
	.section	.AMDGPU.csdata,"",@progbits
; Kernel info:
; codeLenInByte = 0
; NumSgprs: 4
; NumVgprs: 0
; NumAgprs: 0
; TotalNumVgprs: 0
; ScratchSize: 0
; MemoryBound: 0
; FloatMode: 240
; IeeeMode: 1
; LDSByteSize: 0 bytes/workgroup (compile time only)
; SGPRBlocks: 0
; VGPRBlocks: 0
; NumSGPRsForWavesPerEU: 4
; NumVGPRsForWavesPerEU: 1
; AccumOffset: 4
; Occupancy: 8
; WaveLimiterHint : 0
; COMPUTE_PGM_RSRC2:SCRATCH_EN: 0
; COMPUTE_PGM_RSRC2:USER_SGPR: 6
; COMPUTE_PGM_RSRC2:TRAP_HANDLER: 0
; COMPUTE_PGM_RSRC2:TGID_X_EN: 1
; COMPUTE_PGM_RSRC2:TGID_Y_EN: 0
; COMPUTE_PGM_RSRC2:TGID_Z_EN: 0
; COMPUTE_PGM_RSRC2:TIDIG_COMP_CNT: 0
; COMPUTE_PGM_RSRC3_GFX90A:ACCUM_OFFSET: 0
; COMPUTE_PGM_RSRC3_GFX90A:TG_SPLIT: 0
	.section	.text._ZN7rocprim17ROCPRIM_400000_NS6detail17trampoline_kernelINS0_14default_configENS1_20scan_config_selectorIsEEZZNS1_9scan_implILNS1_25lookback_scan_determinismE0ELb0ELb1ES3_N6thrust23THRUST_200600_302600_NS6detail15normal_iteratorINS9_10device_ptrIsEEEESE_sNS9_10multipliesIsEEsEEDaPvRmT3_T4_T5_mT6_P12ihipStream_tbENKUlT_T0_E_clISt17integral_constantIbLb0EESU_EEDaSP_SQ_EUlSP_E_NS1_11comp_targetILNS1_3genE10ELNS1_11target_archE1200ELNS1_3gpuE4ELNS1_3repE0EEENS1_30default_config_static_selectorELNS0_4arch9wavefront6targetE1EEEvT1_,"axG",@progbits,_ZN7rocprim17ROCPRIM_400000_NS6detail17trampoline_kernelINS0_14default_configENS1_20scan_config_selectorIsEEZZNS1_9scan_implILNS1_25lookback_scan_determinismE0ELb0ELb1ES3_N6thrust23THRUST_200600_302600_NS6detail15normal_iteratorINS9_10device_ptrIsEEEESE_sNS9_10multipliesIsEEsEEDaPvRmT3_T4_T5_mT6_P12ihipStream_tbENKUlT_T0_E_clISt17integral_constantIbLb0EESU_EEDaSP_SQ_EUlSP_E_NS1_11comp_targetILNS1_3genE10ELNS1_11target_archE1200ELNS1_3gpuE4ELNS1_3repE0EEENS1_30default_config_static_selectorELNS0_4arch9wavefront6targetE1EEEvT1_,comdat
	.protected	_ZN7rocprim17ROCPRIM_400000_NS6detail17trampoline_kernelINS0_14default_configENS1_20scan_config_selectorIsEEZZNS1_9scan_implILNS1_25lookback_scan_determinismE0ELb0ELb1ES3_N6thrust23THRUST_200600_302600_NS6detail15normal_iteratorINS9_10device_ptrIsEEEESE_sNS9_10multipliesIsEEsEEDaPvRmT3_T4_T5_mT6_P12ihipStream_tbENKUlT_T0_E_clISt17integral_constantIbLb0EESU_EEDaSP_SQ_EUlSP_E_NS1_11comp_targetILNS1_3genE10ELNS1_11target_archE1200ELNS1_3gpuE4ELNS1_3repE0EEENS1_30default_config_static_selectorELNS0_4arch9wavefront6targetE1EEEvT1_ ; -- Begin function _ZN7rocprim17ROCPRIM_400000_NS6detail17trampoline_kernelINS0_14default_configENS1_20scan_config_selectorIsEEZZNS1_9scan_implILNS1_25lookback_scan_determinismE0ELb0ELb1ES3_N6thrust23THRUST_200600_302600_NS6detail15normal_iteratorINS9_10device_ptrIsEEEESE_sNS9_10multipliesIsEEsEEDaPvRmT3_T4_T5_mT6_P12ihipStream_tbENKUlT_T0_E_clISt17integral_constantIbLb0EESU_EEDaSP_SQ_EUlSP_E_NS1_11comp_targetILNS1_3genE10ELNS1_11target_archE1200ELNS1_3gpuE4ELNS1_3repE0EEENS1_30default_config_static_selectorELNS0_4arch9wavefront6targetE1EEEvT1_
	.globl	_ZN7rocprim17ROCPRIM_400000_NS6detail17trampoline_kernelINS0_14default_configENS1_20scan_config_selectorIsEEZZNS1_9scan_implILNS1_25lookback_scan_determinismE0ELb0ELb1ES3_N6thrust23THRUST_200600_302600_NS6detail15normal_iteratorINS9_10device_ptrIsEEEESE_sNS9_10multipliesIsEEsEEDaPvRmT3_T4_T5_mT6_P12ihipStream_tbENKUlT_T0_E_clISt17integral_constantIbLb0EESU_EEDaSP_SQ_EUlSP_E_NS1_11comp_targetILNS1_3genE10ELNS1_11target_archE1200ELNS1_3gpuE4ELNS1_3repE0EEENS1_30default_config_static_selectorELNS0_4arch9wavefront6targetE1EEEvT1_
	.p2align	8
	.type	_ZN7rocprim17ROCPRIM_400000_NS6detail17trampoline_kernelINS0_14default_configENS1_20scan_config_selectorIsEEZZNS1_9scan_implILNS1_25lookback_scan_determinismE0ELb0ELb1ES3_N6thrust23THRUST_200600_302600_NS6detail15normal_iteratorINS9_10device_ptrIsEEEESE_sNS9_10multipliesIsEEsEEDaPvRmT3_T4_T5_mT6_P12ihipStream_tbENKUlT_T0_E_clISt17integral_constantIbLb0EESU_EEDaSP_SQ_EUlSP_E_NS1_11comp_targetILNS1_3genE10ELNS1_11target_archE1200ELNS1_3gpuE4ELNS1_3repE0EEENS1_30default_config_static_selectorELNS0_4arch9wavefront6targetE1EEEvT1_,@function
_ZN7rocprim17ROCPRIM_400000_NS6detail17trampoline_kernelINS0_14default_configENS1_20scan_config_selectorIsEEZZNS1_9scan_implILNS1_25lookback_scan_determinismE0ELb0ELb1ES3_N6thrust23THRUST_200600_302600_NS6detail15normal_iteratorINS9_10device_ptrIsEEEESE_sNS9_10multipliesIsEEsEEDaPvRmT3_T4_T5_mT6_P12ihipStream_tbENKUlT_T0_E_clISt17integral_constantIbLb0EESU_EEDaSP_SQ_EUlSP_E_NS1_11comp_targetILNS1_3genE10ELNS1_11target_archE1200ELNS1_3gpuE4ELNS1_3repE0EEENS1_30default_config_static_selectorELNS0_4arch9wavefront6targetE1EEEvT1_: ; @_ZN7rocprim17ROCPRIM_400000_NS6detail17trampoline_kernelINS0_14default_configENS1_20scan_config_selectorIsEEZZNS1_9scan_implILNS1_25lookback_scan_determinismE0ELb0ELb1ES3_N6thrust23THRUST_200600_302600_NS6detail15normal_iteratorINS9_10device_ptrIsEEEESE_sNS9_10multipliesIsEEsEEDaPvRmT3_T4_T5_mT6_P12ihipStream_tbENKUlT_T0_E_clISt17integral_constantIbLb0EESU_EEDaSP_SQ_EUlSP_E_NS1_11comp_targetILNS1_3genE10ELNS1_11target_archE1200ELNS1_3gpuE4ELNS1_3repE0EEENS1_30default_config_static_selectorELNS0_4arch9wavefront6targetE1EEEvT1_
; %bb.0:
	.section	.rodata,"a",@progbits
	.p2align	6, 0x0
	.amdhsa_kernel _ZN7rocprim17ROCPRIM_400000_NS6detail17trampoline_kernelINS0_14default_configENS1_20scan_config_selectorIsEEZZNS1_9scan_implILNS1_25lookback_scan_determinismE0ELb0ELb1ES3_N6thrust23THRUST_200600_302600_NS6detail15normal_iteratorINS9_10device_ptrIsEEEESE_sNS9_10multipliesIsEEsEEDaPvRmT3_T4_T5_mT6_P12ihipStream_tbENKUlT_T0_E_clISt17integral_constantIbLb0EESU_EEDaSP_SQ_EUlSP_E_NS1_11comp_targetILNS1_3genE10ELNS1_11target_archE1200ELNS1_3gpuE4ELNS1_3repE0EEENS1_30default_config_static_selectorELNS0_4arch9wavefront6targetE1EEEvT1_
		.amdhsa_group_segment_fixed_size 0
		.amdhsa_private_segment_fixed_size 0
		.amdhsa_kernarg_size 96
		.amdhsa_user_sgpr_count 6
		.amdhsa_user_sgpr_private_segment_buffer 1
		.amdhsa_user_sgpr_dispatch_ptr 0
		.amdhsa_user_sgpr_queue_ptr 0
		.amdhsa_user_sgpr_kernarg_segment_ptr 1
		.amdhsa_user_sgpr_dispatch_id 0
		.amdhsa_user_sgpr_flat_scratch_init 0
		.amdhsa_user_sgpr_kernarg_preload_length 0
		.amdhsa_user_sgpr_kernarg_preload_offset 0
		.amdhsa_user_sgpr_private_segment_size 0
		.amdhsa_uses_dynamic_stack 0
		.amdhsa_system_sgpr_private_segment_wavefront_offset 0
		.amdhsa_system_sgpr_workgroup_id_x 1
		.amdhsa_system_sgpr_workgroup_id_y 0
		.amdhsa_system_sgpr_workgroup_id_z 0
		.amdhsa_system_sgpr_workgroup_info 0
		.amdhsa_system_vgpr_workitem_id 0
		.amdhsa_next_free_vgpr 1
		.amdhsa_next_free_sgpr 0
		.amdhsa_accum_offset 4
		.amdhsa_reserve_vcc 0
		.amdhsa_reserve_flat_scratch 0
		.amdhsa_float_round_mode_32 0
		.amdhsa_float_round_mode_16_64 0
		.amdhsa_float_denorm_mode_32 3
		.amdhsa_float_denorm_mode_16_64 3
		.amdhsa_dx10_clamp 1
		.amdhsa_ieee_mode 1
		.amdhsa_fp16_overflow 0
		.amdhsa_tg_split 0
		.amdhsa_exception_fp_ieee_invalid_op 0
		.amdhsa_exception_fp_denorm_src 0
		.amdhsa_exception_fp_ieee_div_zero 0
		.amdhsa_exception_fp_ieee_overflow 0
		.amdhsa_exception_fp_ieee_underflow 0
		.amdhsa_exception_fp_ieee_inexact 0
		.amdhsa_exception_int_div_zero 0
	.end_amdhsa_kernel
	.section	.text._ZN7rocprim17ROCPRIM_400000_NS6detail17trampoline_kernelINS0_14default_configENS1_20scan_config_selectorIsEEZZNS1_9scan_implILNS1_25lookback_scan_determinismE0ELb0ELb1ES3_N6thrust23THRUST_200600_302600_NS6detail15normal_iteratorINS9_10device_ptrIsEEEESE_sNS9_10multipliesIsEEsEEDaPvRmT3_T4_T5_mT6_P12ihipStream_tbENKUlT_T0_E_clISt17integral_constantIbLb0EESU_EEDaSP_SQ_EUlSP_E_NS1_11comp_targetILNS1_3genE10ELNS1_11target_archE1200ELNS1_3gpuE4ELNS1_3repE0EEENS1_30default_config_static_selectorELNS0_4arch9wavefront6targetE1EEEvT1_,"axG",@progbits,_ZN7rocprim17ROCPRIM_400000_NS6detail17trampoline_kernelINS0_14default_configENS1_20scan_config_selectorIsEEZZNS1_9scan_implILNS1_25lookback_scan_determinismE0ELb0ELb1ES3_N6thrust23THRUST_200600_302600_NS6detail15normal_iteratorINS9_10device_ptrIsEEEESE_sNS9_10multipliesIsEEsEEDaPvRmT3_T4_T5_mT6_P12ihipStream_tbENKUlT_T0_E_clISt17integral_constantIbLb0EESU_EEDaSP_SQ_EUlSP_E_NS1_11comp_targetILNS1_3genE10ELNS1_11target_archE1200ELNS1_3gpuE4ELNS1_3repE0EEENS1_30default_config_static_selectorELNS0_4arch9wavefront6targetE1EEEvT1_,comdat
.Lfunc_end1129:
	.size	_ZN7rocprim17ROCPRIM_400000_NS6detail17trampoline_kernelINS0_14default_configENS1_20scan_config_selectorIsEEZZNS1_9scan_implILNS1_25lookback_scan_determinismE0ELb0ELb1ES3_N6thrust23THRUST_200600_302600_NS6detail15normal_iteratorINS9_10device_ptrIsEEEESE_sNS9_10multipliesIsEEsEEDaPvRmT3_T4_T5_mT6_P12ihipStream_tbENKUlT_T0_E_clISt17integral_constantIbLb0EESU_EEDaSP_SQ_EUlSP_E_NS1_11comp_targetILNS1_3genE10ELNS1_11target_archE1200ELNS1_3gpuE4ELNS1_3repE0EEENS1_30default_config_static_selectorELNS0_4arch9wavefront6targetE1EEEvT1_, .Lfunc_end1129-_ZN7rocprim17ROCPRIM_400000_NS6detail17trampoline_kernelINS0_14default_configENS1_20scan_config_selectorIsEEZZNS1_9scan_implILNS1_25lookback_scan_determinismE0ELb0ELb1ES3_N6thrust23THRUST_200600_302600_NS6detail15normal_iteratorINS9_10device_ptrIsEEEESE_sNS9_10multipliesIsEEsEEDaPvRmT3_T4_T5_mT6_P12ihipStream_tbENKUlT_T0_E_clISt17integral_constantIbLb0EESU_EEDaSP_SQ_EUlSP_E_NS1_11comp_targetILNS1_3genE10ELNS1_11target_archE1200ELNS1_3gpuE4ELNS1_3repE0EEENS1_30default_config_static_selectorELNS0_4arch9wavefront6targetE1EEEvT1_
                                        ; -- End function
	.section	.AMDGPU.csdata,"",@progbits
; Kernel info:
; codeLenInByte = 0
; NumSgprs: 4
; NumVgprs: 0
; NumAgprs: 0
; TotalNumVgprs: 0
; ScratchSize: 0
; MemoryBound: 0
; FloatMode: 240
; IeeeMode: 1
; LDSByteSize: 0 bytes/workgroup (compile time only)
; SGPRBlocks: 0
; VGPRBlocks: 0
; NumSGPRsForWavesPerEU: 4
; NumVGPRsForWavesPerEU: 1
; AccumOffset: 4
; Occupancy: 8
; WaveLimiterHint : 0
; COMPUTE_PGM_RSRC2:SCRATCH_EN: 0
; COMPUTE_PGM_RSRC2:USER_SGPR: 6
; COMPUTE_PGM_RSRC2:TRAP_HANDLER: 0
; COMPUTE_PGM_RSRC2:TGID_X_EN: 1
; COMPUTE_PGM_RSRC2:TGID_Y_EN: 0
; COMPUTE_PGM_RSRC2:TGID_Z_EN: 0
; COMPUTE_PGM_RSRC2:TIDIG_COMP_CNT: 0
; COMPUTE_PGM_RSRC3_GFX90A:ACCUM_OFFSET: 0
; COMPUTE_PGM_RSRC3_GFX90A:TG_SPLIT: 0
	.section	.text._ZN7rocprim17ROCPRIM_400000_NS6detail17trampoline_kernelINS0_14default_configENS1_20scan_config_selectorIsEEZZNS1_9scan_implILNS1_25lookback_scan_determinismE0ELb0ELb1ES3_N6thrust23THRUST_200600_302600_NS6detail15normal_iteratorINS9_10device_ptrIsEEEESE_sNS9_10multipliesIsEEsEEDaPvRmT3_T4_T5_mT6_P12ihipStream_tbENKUlT_T0_E_clISt17integral_constantIbLb0EESU_EEDaSP_SQ_EUlSP_E_NS1_11comp_targetILNS1_3genE9ELNS1_11target_archE1100ELNS1_3gpuE3ELNS1_3repE0EEENS1_30default_config_static_selectorELNS0_4arch9wavefront6targetE1EEEvT1_,"axG",@progbits,_ZN7rocprim17ROCPRIM_400000_NS6detail17trampoline_kernelINS0_14default_configENS1_20scan_config_selectorIsEEZZNS1_9scan_implILNS1_25lookback_scan_determinismE0ELb0ELb1ES3_N6thrust23THRUST_200600_302600_NS6detail15normal_iteratorINS9_10device_ptrIsEEEESE_sNS9_10multipliesIsEEsEEDaPvRmT3_T4_T5_mT6_P12ihipStream_tbENKUlT_T0_E_clISt17integral_constantIbLb0EESU_EEDaSP_SQ_EUlSP_E_NS1_11comp_targetILNS1_3genE9ELNS1_11target_archE1100ELNS1_3gpuE3ELNS1_3repE0EEENS1_30default_config_static_selectorELNS0_4arch9wavefront6targetE1EEEvT1_,comdat
	.protected	_ZN7rocprim17ROCPRIM_400000_NS6detail17trampoline_kernelINS0_14default_configENS1_20scan_config_selectorIsEEZZNS1_9scan_implILNS1_25lookback_scan_determinismE0ELb0ELb1ES3_N6thrust23THRUST_200600_302600_NS6detail15normal_iteratorINS9_10device_ptrIsEEEESE_sNS9_10multipliesIsEEsEEDaPvRmT3_T4_T5_mT6_P12ihipStream_tbENKUlT_T0_E_clISt17integral_constantIbLb0EESU_EEDaSP_SQ_EUlSP_E_NS1_11comp_targetILNS1_3genE9ELNS1_11target_archE1100ELNS1_3gpuE3ELNS1_3repE0EEENS1_30default_config_static_selectorELNS0_4arch9wavefront6targetE1EEEvT1_ ; -- Begin function _ZN7rocprim17ROCPRIM_400000_NS6detail17trampoline_kernelINS0_14default_configENS1_20scan_config_selectorIsEEZZNS1_9scan_implILNS1_25lookback_scan_determinismE0ELb0ELb1ES3_N6thrust23THRUST_200600_302600_NS6detail15normal_iteratorINS9_10device_ptrIsEEEESE_sNS9_10multipliesIsEEsEEDaPvRmT3_T4_T5_mT6_P12ihipStream_tbENKUlT_T0_E_clISt17integral_constantIbLb0EESU_EEDaSP_SQ_EUlSP_E_NS1_11comp_targetILNS1_3genE9ELNS1_11target_archE1100ELNS1_3gpuE3ELNS1_3repE0EEENS1_30default_config_static_selectorELNS0_4arch9wavefront6targetE1EEEvT1_
	.globl	_ZN7rocprim17ROCPRIM_400000_NS6detail17trampoline_kernelINS0_14default_configENS1_20scan_config_selectorIsEEZZNS1_9scan_implILNS1_25lookback_scan_determinismE0ELb0ELb1ES3_N6thrust23THRUST_200600_302600_NS6detail15normal_iteratorINS9_10device_ptrIsEEEESE_sNS9_10multipliesIsEEsEEDaPvRmT3_T4_T5_mT6_P12ihipStream_tbENKUlT_T0_E_clISt17integral_constantIbLb0EESU_EEDaSP_SQ_EUlSP_E_NS1_11comp_targetILNS1_3genE9ELNS1_11target_archE1100ELNS1_3gpuE3ELNS1_3repE0EEENS1_30default_config_static_selectorELNS0_4arch9wavefront6targetE1EEEvT1_
	.p2align	8
	.type	_ZN7rocprim17ROCPRIM_400000_NS6detail17trampoline_kernelINS0_14default_configENS1_20scan_config_selectorIsEEZZNS1_9scan_implILNS1_25lookback_scan_determinismE0ELb0ELb1ES3_N6thrust23THRUST_200600_302600_NS6detail15normal_iteratorINS9_10device_ptrIsEEEESE_sNS9_10multipliesIsEEsEEDaPvRmT3_T4_T5_mT6_P12ihipStream_tbENKUlT_T0_E_clISt17integral_constantIbLb0EESU_EEDaSP_SQ_EUlSP_E_NS1_11comp_targetILNS1_3genE9ELNS1_11target_archE1100ELNS1_3gpuE3ELNS1_3repE0EEENS1_30default_config_static_selectorELNS0_4arch9wavefront6targetE1EEEvT1_,@function
_ZN7rocprim17ROCPRIM_400000_NS6detail17trampoline_kernelINS0_14default_configENS1_20scan_config_selectorIsEEZZNS1_9scan_implILNS1_25lookback_scan_determinismE0ELb0ELb1ES3_N6thrust23THRUST_200600_302600_NS6detail15normal_iteratorINS9_10device_ptrIsEEEESE_sNS9_10multipliesIsEEsEEDaPvRmT3_T4_T5_mT6_P12ihipStream_tbENKUlT_T0_E_clISt17integral_constantIbLb0EESU_EEDaSP_SQ_EUlSP_E_NS1_11comp_targetILNS1_3genE9ELNS1_11target_archE1100ELNS1_3gpuE3ELNS1_3repE0EEENS1_30default_config_static_selectorELNS0_4arch9wavefront6targetE1EEEvT1_: ; @_ZN7rocprim17ROCPRIM_400000_NS6detail17trampoline_kernelINS0_14default_configENS1_20scan_config_selectorIsEEZZNS1_9scan_implILNS1_25lookback_scan_determinismE0ELb0ELb1ES3_N6thrust23THRUST_200600_302600_NS6detail15normal_iteratorINS9_10device_ptrIsEEEESE_sNS9_10multipliesIsEEsEEDaPvRmT3_T4_T5_mT6_P12ihipStream_tbENKUlT_T0_E_clISt17integral_constantIbLb0EESU_EEDaSP_SQ_EUlSP_E_NS1_11comp_targetILNS1_3genE9ELNS1_11target_archE1100ELNS1_3gpuE3ELNS1_3repE0EEENS1_30default_config_static_selectorELNS0_4arch9wavefront6targetE1EEEvT1_
; %bb.0:
	.section	.rodata,"a",@progbits
	.p2align	6, 0x0
	.amdhsa_kernel _ZN7rocprim17ROCPRIM_400000_NS6detail17trampoline_kernelINS0_14default_configENS1_20scan_config_selectorIsEEZZNS1_9scan_implILNS1_25lookback_scan_determinismE0ELb0ELb1ES3_N6thrust23THRUST_200600_302600_NS6detail15normal_iteratorINS9_10device_ptrIsEEEESE_sNS9_10multipliesIsEEsEEDaPvRmT3_T4_T5_mT6_P12ihipStream_tbENKUlT_T0_E_clISt17integral_constantIbLb0EESU_EEDaSP_SQ_EUlSP_E_NS1_11comp_targetILNS1_3genE9ELNS1_11target_archE1100ELNS1_3gpuE3ELNS1_3repE0EEENS1_30default_config_static_selectorELNS0_4arch9wavefront6targetE1EEEvT1_
		.amdhsa_group_segment_fixed_size 0
		.amdhsa_private_segment_fixed_size 0
		.amdhsa_kernarg_size 96
		.amdhsa_user_sgpr_count 6
		.amdhsa_user_sgpr_private_segment_buffer 1
		.amdhsa_user_sgpr_dispatch_ptr 0
		.amdhsa_user_sgpr_queue_ptr 0
		.amdhsa_user_sgpr_kernarg_segment_ptr 1
		.amdhsa_user_sgpr_dispatch_id 0
		.amdhsa_user_sgpr_flat_scratch_init 0
		.amdhsa_user_sgpr_kernarg_preload_length 0
		.amdhsa_user_sgpr_kernarg_preload_offset 0
		.amdhsa_user_sgpr_private_segment_size 0
		.amdhsa_uses_dynamic_stack 0
		.amdhsa_system_sgpr_private_segment_wavefront_offset 0
		.amdhsa_system_sgpr_workgroup_id_x 1
		.amdhsa_system_sgpr_workgroup_id_y 0
		.amdhsa_system_sgpr_workgroup_id_z 0
		.amdhsa_system_sgpr_workgroup_info 0
		.amdhsa_system_vgpr_workitem_id 0
		.amdhsa_next_free_vgpr 1
		.amdhsa_next_free_sgpr 0
		.amdhsa_accum_offset 4
		.amdhsa_reserve_vcc 0
		.amdhsa_reserve_flat_scratch 0
		.amdhsa_float_round_mode_32 0
		.amdhsa_float_round_mode_16_64 0
		.amdhsa_float_denorm_mode_32 3
		.amdhsa_float_denorm_mode_16_64 3
		.amdhsa_dx10_clamp 1
		.amdhsa_ieee_mode 1
		.amdhsa_fp16_overflow 0
		.amdhsa_tg_split 0
		.amdhsa_exception_fp_ieee_invalid_op 0
		.amdhsa_exception_fp_denorm_src 0
		.amdhsa_exception_fp_ieee_div_zero 0
		.amdhsa_exception_fp_ieee_overflow 0
		.amdhsa_exception_fp_ieee_underflow 0
		.amdhsa_exception_fp_ieee_inexact 0
		.amdhsa_exception_int_div_zero 0
	.end_amdhsa_kernel
	.section	.text._ZN7rocprim17ROCPRIM_400000_NS6detail17trampoline_kernelINS0_14default_configENS1_20scan_config_selectorIsEEZZNS1_9scan_implILNS1_25lookback_scan_determinismE0ELb0ELb1ES3_N6thrust23THRUST_200600_302600_NS6detail15normal_iteratorINS9_10device_ptrIsEEEESE_sNS9_10multipliesIsEEsEEDaPvRmT3_T4_T5_mT6_P12ihipStream_tbENKUlT_T0_E_clISt17integral_constantIbLb0EESU_EEDaSP_SQ_EUlSP_E_NS1_11comp_targetILNS1_3genE9ELNS1_11target_archE1100ELNS1_3gpuE3ELNS1_3repE0EEENS1_30default_config_static_selectorELNS0_4arch9wavefront6targetE1EEEvT1_,"axG",@progbits,_ZN7rocprim17ROCPRIM_400000_NS6detail17trampoline_kernelINS0_14default_configENS1_20scan_config_selectorIsEEZZNS1_9scan_implILNS1_25lookback_scan_determinismE0ELb0ELb1ES3_N6thrust23THRUST_200600_302600_NS6detail15normal_iteratorINS9_10device_ptrIsEEEESE_sNS9_10multipliesIsEEsEEDaPvRmT3_T4_T5_mT6_P12ihipStream_tbENKUlT_T0_E_clISt17integral_constantIbLb0EESU_EEDaSP_SQ_EUlSP_E_NS1_11comp_targetILNS1_3genE9ELNS1_11target_archE1100ELNS1_3gpuE3ELNS1_3repE0EEENS1_30default_config_static_selectorELNS0_4arch9wavefront6targetE1EEEvT1_,comdat
.Lfunc_end1130:
	.size	_ZN7rocprim17ROCPRIM_400000_NS6detail17trampoline_kernelINS0_14default_configENS1_20scan_config_selectorIsEEZZNS1_9scan_implILNS1_25lookback_scan_determinismE0ELb0ELb1ES3_N6thrust23THRUST_200600_302600_NS6detail15normal_iteratorINS9_10device_ptrIsEEEESE_sNS9_10multipliesIsEEsEEDaPvRmT3_T4_T5_mT6_P12ihipStream_tbENKUlT_T0_E_clISt17integral_constantIbLb0EESU_EEDaSP_SQ_EUlSP_E_NS1_11comp_targetILNS1_3genE9ELNS1_11target_archE1100ELNS1_3gpuE3ELNS1_3repE0EEENS1_30default_config_static_selectorELNS0_4arch9wavefront6targetE1EEEvT1_, .Lfunc_end1130-_ZN7rocprim17ROCPRIM_400000_NS6detail17trampoline_kernelINS0_14default_configENS1_20scan_config_selectorIsEEZZNS1_9scan_implILNS1_25lookback_scan_determinismE0ELb0ELb1ES3_N6thrust23THRUST_200600_302600_NS6detail15normal_iteratorINS9_10device_ptrIsEEEESE_sNS9_10multipliesIsEEsEEDaPvRmT3_T4_T5_mT6_P12ihipStream_tbENKUlT_T0_E_clISt17integral_constantIbLb0EESU_EEDaSP_SQ_EUlSP_E_NS1_11comp_targetILNS1_3genE9ELNS1_11target_archE1100ELNS1_3gpuE3ELNS1_3repE0EEENS1_30default_config_static_selectorELNS0_4arch9wavefront6targetE1EEEvT1_
                                        ; -- End function
	.section	.AMDGPU.csdata,"",@progbits
; Kernel info:
; codeLenInByte = 0
; NumSgprs: 4
; NumVgprs: 0
; NumAgprs: 0
; TotalNumVgprs: 0
; ScratchSize: 0
; MemoryBound: 0
; FloatMode: 240
; IeeeMode: 1
; LDSByteSize: 0 bytes/workgroup (compile time only)
; SGPRBlocks: 0
; VGPRBlocks: 0
; NumSGPRsForWavesPerEU: 4
; NumVGPRsForWavesPerEU: 1
; AccumOffset: 4
; Occupancy: 8
; WaveLimiterHint : 0
; COMPUTE_PGM_RSRC2:SCRATCH_EN: 0
; COMPUTE_PGM_RSRC2:USER_SGPR: 6
; COMPUTE_PGM_RSRC2:TRAP_HANDLER: 0
; COMPUTE_PGM_RSRC2:TGID_X_EN: 1
; COMPUTE_PGM_RSRC2:TGID_Y_EN: 0
; COMPUTE_PGM_RSRC2:TGID_Z_EN: 0
; COMPUTE_PGM_RSRC2:TIDIG_COMP_CNT: 0
; COMPUTE_PGM_RSRC3_GFX90A:ACCUM_OFFSET: 0
; COMPUTE_PGM_RSRC3_GFX90A:TG_SPLIT: 0
	.section	.text._ZN7rocprim17ROCPRIM_400000_NS6detail17trampoline_kernelINS0_14default_configENS1_20scan_config_selectorIsEEZZNS1_9scan_implILNS1_25lookback_scan_determinismE0ELb0ELb1ES3_N6thrust23THRUST_200600_302600_NS6detail15normal_iteratorINS9_10device_ptrIsEEEESE_sNS9_10multipliesIsEEsEEDaPvRmT3_T4_T5_mT6_P12ihipStream_tbENKUlT_T0_E_clISt17integral_constantIbLb0EESU_EEDaSP_SQ_EUlSP_E_NS1_11comp_targetILNS1_3genE8ELNS1_11target_archE1030ELNS1_3gpuE2ELNS1_3repE0EEENS1_30default_config_static_selectorELNS0_4arch9wavefront6targetE1EEEvT1_,"axG",@progbits,_ZN7rocprim17ROCPRIM_400000_NS6detail17trampoline_kernelINS0_14default_configENS1_20scan_config_selectorIsEEZZNS1_9scan_implILNS1_25lookback_scan_determinismE0ELb0ELb1ES3_N6thrust23THRUST_200600_302600_NS6detail15normal_iteratorINS9_10device_ptrIsEEEESE_sNS9_10multipliesIsEEsEEDaPvRmT3_T4_T5_mT6_P12ihipStream_tbENKUlT_T0_E_clISt17integral_constantIbLb0EESU_EEDaSP_SQ_EUlSP_E_NS1_11comp_targetILNS1_3genE8ELNS1_11target_archE1030ELNS1_3gpuE2ELNS1_3repE0EEENS1_30default_config_static_selectorELNS0_4arch9wavefront6targetE1EEEvT1_,comdat
	.protected	_ZN7rocprim17ROCPRIM_400000_NS6detail17trampoline_kernelINS0_14default_configENS1_20scan_config_selectorIsEEZZNS1_9scan_implILNS1_25lookback_scan_determinismE0ELb0ELb1ES3_N6thrust23THRUST_200600_302600_NS6detail15normal_iteratorINS9_10device_ptrIsEEEESE_sNS9_10multipliesIsEEsEEDaPvRmT3_T4_T5_mT6_P12ihipStream_tbENKUlT_T0_E_clISt17integral_constantIbLb0EESU_EEDaSP_SQ_EUlSP_E_NS1_11comp_targetILNS1_3genE8ELNS1_11target_archE1030ELNS1_3gpuE2ELNS1_3repE0EEENS1_30default_config_static_selectorELNS0_4arch9wavefront6targetE1EEEvT1_ ; -- Begin function _ZN7rocprim17ROCPRIM_400000_NS6detail17trampoline_kernelINS0_14default_configENS1_20scan_config_selectorIsEEZZNS1_9scan_implILNS1_25lookback_scan_determinismE0ELb0ELb1ES3_N6thrust23THRUST_200600_302600_NS6detail15normal_iteratorINS9_10device_ptrIsEEEESE_sNS9_10multipliesIsEEsEEDaPvRmT3_T4_T5_mT6_P12ihipStream_tbENKUlT_T0_E_clISt17integral_constantIbLb0EESU_EEDaSP_SQ_EUlSP_E_NS1_11comp_targetILNS1_3genE8ELNS1_11target_archE1030ELNS1_3gpuE2ELNS1_3repE0EEENS1_30default_config_static_selectorELNS0_4arch9wavefront6targetE1EEEvT1_
	.globl	_ZN7rocprim17ROCPRIM_400000_NS6detail17trampoline_kernelINS0_14default_configENS1_20scan_config_selectorIsEEZZNS1_9scan_implILNS1_25lookback_scan_determinismE0ELb0ELb1ES3_N6thrust23THRUST_200600_302600_NS6detail15normal_iteratorINS9_10device_ptrIsEEEESE_sNS9_10multipliesIsEEsEEDaPvRmT3_T4_T5_mT6_P12ihipStream_tbENKUlT_T0_E_clISt17integral_constantIbLb0EESU_EEDaSP_SQ_EUlSP_E_NS1_11comp_targetILNS1_3genE8ELNS1_11target_archE1030ELNS1_3gpuE2ELNS1_3repE0EEENS1_30default_config_static_selectorELNS0_4arch9wavefront6targetE1EEEvT1_
	.p2align	8
	.type	_ZN7rocprim17ROCPRIM_400000_NS6detail17trampoline_kernelINS0_14default_configENS1_20scan_config_selectorIsEEZZNS1_9scan_implILNS1_25lookback_scan_determinismE0ELb0ELb1ES3_N6thrust23THRUST_200600_302600_NS6detail15normal_iteratorINS9_10device_ptrIsEEEESE_sNS9_10multipliesIsEEsEEDaPvRmT3_T4_T5_mT6_P12ihipStream_tbENKUlT_T0_E_clISt17integral_constantIbLb0EESU_EEDaSP_SQ_EUlSP_E_NS1_11comp_targetILNS1_3genE8ELNS1_11target_archE1030ELNS1_3gpuE2ELNS1_3repE0EEENS1_30default_config_static_selectorELNS0_4arch9wavefront6targetE1EEEvT1_,@function
_ZN7rocprim17ROCPRIM_400000_NS6detail17trampoline_kernelINS0_14default_configENS1_20scan_config_selectorIsEEZZNS1_9scan_implILNS1_25lookback_scan_determinismE0ELb0ELb1ES3_N6thrust23THRUST_200600_302600_NS6detail15normal_iteratorINS9_10device_ptrIsEEEESE_sNS9_10multipliesIsEEsEEDaPvRmT3_T4_T5_mT6_P12ihipStream_tbENKUlT_T0_E_clISt17integral_constantIbLb0EESU_EEDaSP_SQ_EUlSP_E_NS1_11comp_targetILNS1_3genE8ELNS1_11target_archE1030ELNS1_3gpuE2ELNS1_3repE0EEENS1_30default_config_static_selectorELNS0_4arch9wavefront6targetE1EEEvT1_: ; @_ZN7rocprim17ROCPRIM_400000_NS6detail17trampoline_kernelINS0_14default_configENS1_20scan_config_selectorIsEEZZNS1_9scan_implILNS1_25lookback_scan_determinismE0ELb0ELb1ES3_N6thrust23THRUST_200600_302600_NS6detail15normal_iteratorINS9_10device_ptrIsEEEESE_sNS9_10multipliesIsEEsEEDaPvRmT3_T4_T5_mT6_P12ihipStream_tbENKUlT_T0_E_clISt17integral_constantIbLb0EESU_EEDaSP_SQ_EUlSP_E_NS1_11comp_targetILNS1_3genE8ELNS1_11target_archE1030ELNS1_3gpuE2ELNS1_3repE0EEENS1_30default_config_static_selectorELNS0_4arch9wavefront6targetE1EEEvT1_
; %bb.0:
	.section	.rodata,"a",@progbits
	.p2align	6, 0x0
	.amdhsa_kernel _ZN7rocprim17ROCPRIM_400000_NS6detail17trampoline_kernelINS0_14default_configENS1_20scan_config_selectorIsEEZZNS1_9scan_implILNS1_25lookback_scan_determinismE0ELb0ELb1ES3_N6thrust23THRUST_200600_302600_NS6detail15normal_iteratorINS9_10device_ptrIsEEEESE_sNS9_10multipliesIsEEsEEDaPvRmT3_T4_T5_mT6_P12ihipStream_tbENKUlT_T0_E_clISt17integral_constantIbLb0EESU_EEDaSP_SQ_EUlSP_E_NS1_11comp_targetILNS1_3genE8ELNS1_11target_archE1030ELNS1_3gpuE2ELNS1_3repE0EEENS1_30default_config_static_selectorELNS0_4arch9wavefront6targetE1EEEvT1_
		.amdhsa_group_segment_fixed_size 0
		.amdhsa_private_segment_fixed_size 0
		.amdhsa_kernarg_size 96
		.amdhsa_user_sgpr_count 6
		.amdhsa_user_sgpr_private_segment_buffer 1
		.amdhsa_user_sgpr_dispatch_ptr 0
		.amdhsa_user_sgpr_queue_ptr 0
		.amdhsa_user_sgpr_kernarg_segment_ptr 1
		.amdhsa_user_sgpr_dispatch_id 0
		.amdhsa_user_sgpr_flat_scratch_init 0
		.amdhsa_user_sgpr_kernarg_preload_length 0
		.amdhsa_user_sgpr_kernarg_preload_offset 0
		.amdhsa_user_sgpr_private_segment_size 0
		.amdhsa_uses_dynamic_stack 0
		.amdhsa_system_sgpr_private_segment_wavefront_offset 0
		.amdhsa_system_sgpr_workgroup_id_x 1
		.amdhsa_system_sgpr_workgroup_id_y 0
		.amdhsa_system_sgpr_workgroup_id_z 0
		.amdhsa_system_sgpr_workgroup_info 0
		.amdhsa_system_vgpr_workitem_id 0
		.amdhsa_next_free_vgpr 1
		.amdhsa_next_free_sgpr 0
		.amdhsa_accum_offset 4
		.amdhsa_reserve_vcc 0
		.amdhsa_reserve_flat_scratch 0
		.amdhsa_float_round_mode_32 0
		.amdhsa_float_round_mode_16_64 0
		.amdhsa_float_denorm_mode_32 3
		.amdhsa_float_denorm_mode_16_64 3
		.amdhsa_dx10_clamp 1
		.amdhsa_ieee_mode 1
		.amdhsa_fp16_overflow 0
		.amdhsa_tg_split 0
		.amdhsa_exception_fp_ieee_invalid_op 0
		.amdhsa_exception_fp_denorm_src 0
		.amdhsa_exception_fp_ieee_div_zero 0
		.amdhsa_exception_fp_ieee_overflow 0
		.amdhsa_exception_fp_ieee_underflow 0
		.amdhsa_exception_fp_ieee_inexact 0
		.amdhsa_exception_int_div_zero 0
	.end_amdhsa_kernel
	.section	.text._ZN7rocprim17ROCPRIM_400000_NS6detail17trampoline_kernelINS0_14default_configENS1_20scan_config_selectorIsEEZZNS1_9scan_implILNS1_25lookback_scan_determinismE0ELb0ELb1ES3_N6thrust23THRUST_200600_302600_NS6detail15normal_iteratorINS9_10device_ptrIsEEEESE_sNS9_10multipliesIsEEsEEDaPvRmT3_T4_T5_mT6_P12ihipStream_tbENKUlT_T0_E_clISt17integral_constantIbLb0EESU_EEDaSP_SQ_EUlSP_E_NS1_11comp_targetILNS1_3genE8ELNS1_11target_archE1030ELNS1_3gpuE2ELNS1_3repE0EEENS1_30default_config_static_selectorELNS0_4arch9wavefront6targetE1EEEvT1_,"axG",@progbits,_ZN7rocprim17ROCPRIM_400000_NS6detail17trampoline_kernelINS0_14default_configENS1_20scan_config_selectorIsEEZZNS1_9scan_implILNS1_25lookback_scan_determinismE0ELb0ELb1ES3_N6thrust23THRUST_200600_302600_NS6detail15normal_iteratorINS9_10device_ptrIsEEEESE_sNS9_10multipliesIsEEsEEDaPvRmT3_T4_T5_mT6_P12ihipStream_tbENKUlT_T0_E_clISt17integral_constantIbLb0EESU_EEDaSP_SQ_EUlSP_E_NS1_11comp_targetILNS1_3genE8ELNS1_11target_archE1030ELNS1_3gpuE2ELNS1_3repE0EEENS1_30default_config_static_selectorELNS0_4arch9wavefront6targetE1EEEvT1_,comdat
.Lfunc_end1131:
	.size	_ZN7rocprim17ROCPRIM_400000_NS6detail17trampoline_kernelINS0_14default_configENS1_20scan_config_selectorIsEEZZNS1_9scan_implILNS1_25lookback_scan_determinismE0ELb0ELb1ES3_N6thrust23THRUST_200600_302600_NS6detail15normal_iteratorINS9_10device_ptrIsEEEESE_sNS9_10multipliesIsEEsEEDaPvRmT3_T4_T5_mT6_P12ihipStream_tbENKUlT_T0_E_clISt17integral_constantIbLb0EESU_EEDaSP_SQ_EUlSP_E_NS1_11comp_targetILNS1_3genE8ELNS1_11target_archE1030ELNS1_3gpuE2ELNS1_3repE0EEENS1_30default_config_static_selectorELNS0_4arch9wavefront6targetE1EEEvT1_, .Lfunc_end1131-_ZN7rocprim17ROCPRIM_400000_NS6detail17trampoline_kernelINS0_14default_configENS1_20scan_config_selectorIsEEZZNS1_9scan_implILNS1_25lookback_scan_determinismE0ELb0ELb1ES3_N6thrust23THRUST_200600_302600_NS6detail15normal_iteratorINS9_10device_ptrIsEEEESE_sNS9_10multipliesIsEEsEEDaPvRmT3_T4_T5_mT6_P12ihipStream_tbENKUlT_T0_E_clISt17integral_constantIbLb0EESU_EEDaSP_SQ_EUlSP_E_NS1_11comp_targetILNS1_3genE8ELNS1_11target_archE1030ELNS1_3gpuE2ELNS1_3repE0EEENS1_30default_config_static_selectorELNS0_4arch9wavefront6targetE1EEEvT1_
                                        ; -- End function
	.section	.AMDGPU.csdata,"",@progbits
; Kernel info:
; codeLenInByte = 0
; NumSgprs: 4
; NumVgprs: 0
; NumAgprs: 0
; TotalNumVgprs: 0
; ScratchSize: 0
; MemoryBound: 0
; FloatMode: 240
; IeeeMode: 1
; LDSByteSize: 0 bytes/workgroup (compile time only)
; SGPRBlocks: 0
; VGPRBlocks: 0
; NumSGPRsForWavesPerEU: 4
; NumVGPRsForWavesPerEU: 1
; AccumOffset: 4
; Occupancy: 8
; WaveLimiterHint : 0
; COMPUTE_PGM_RSRC2:SCRATCH_EN: 0
; COMPUTE_PGM_RSRC2:USER_SGPR: 6
; COMPUTE_PGM_RSRC2:TRAP_HANDLER: 0
; COMPUTE_PGM_RSRC2:TGID_X_EN: 1
; COMPUTE_PGM_RSRC2:TGID_Y_EN: 0
; COMPUTE_PGM_RSRC2:TGID_Z_EN: 0
; COMPUTE_PGM_RSRC2:TIDIG_COMP_CNT: 0
; COMPUTE_PGM_RSRC3_GFX90A:ACCUM_OFFSET: 0
; COMPUTE_PGM_RSRC3_GFX90A:TG_SPLIT: 0
	.section	.text._ZN7rocprim17ROCPRIM_400000_NS6detail17trampoline_kernelINS0_14default_configENS1_20scan_config_selectorIsEEZZNS1_9scan_implILNS1_25lookback_scan_determinismE0ELb0ELb1ES3_N6thrust23THRUST_200600_302600_NS6detail15normal_iteratorINS9_10device_ptrIsEEEESE_sNS9_10multipliesIsEEsEEDaPvRmT3_T4_T5_mT6_P12ihipStream_tbENKUlT_T0_E_clISt17integral_constantIbLb0EESU_EEDaSP_SQ_EUlSP_E0_NS1_11comp_targetILNS1_3genE0ELNS1_11target_archE4294967295ELNS1_3gpuE0ELNS1_3repE0EEENS1_30default_config_static_selectorELNS0_4arch9wavefront6targetE1EEEvT1_,"axG",@progbits,_ZN7rocprim17ROCPRIM_400000_NS6detail17trampoline_kernelINS0_14default_configENS1_20scan_config_selectorIsEEZZNS1_9scan_implILNS1_25lookback_scan_determinismE0ELb0ELb1ES3_N6thrust23THRUST_200600_302600_NS6detail15normal_iteratorINS9_10device_ptrIsEEEESE_sNS9_10multipliesIsEEsEEDaPvRmT3_T4_T5_mT6_P12ihipStream_tbENKUlT_T0_E_clISt17integral_constantIbLb0EESU_EEDaSP_SQ_EUlSP_E0_NS1_11comp_targetILNS1_3genE0ELNS1_11target_archE4294967295ELNS1_3gpuE0ELNS1_3repE0EEENS1_30default_config_static_selectorELNS0_4arch9wavefront6targetE1EEEvT1_,comdat
	.protected	_ZN7rocprim17ROCPRIM_400000_NS6detail17trampoline_kernelINS0_14default_configENS1_20scan_config_selectorIsEEZZNS1_9scan_implILNS1_25lookback_scan_determinismE0ELb0ELb1ES3_N6thrust23THRUST_200600_302600_NS6detail15normal_iteratorINS9_10device_ptrIsEEEESE_sNS9_10multipliesIsEEsEEDaPvRmT3_T4_T5_mT6_P12ihipStream_tbENKUlT_T0_E_clISt17integral_constantIbLb0EESU_EEDaSP_SQ_EUlSP_E0_NS1_11comp_targetILNS1_3genE0ELNS1_11target_archE4294967295ELNS1_3gpuE0ELNS1_3repE0EEENS1_30default_config_static_selectorELNS0_4arch9wavefront6targetE1EEEvT1_ ; -- Begin function _ZN7rocprim17ROCPRIM_400000_NS6detail17trampoline_kernelINS0_14default_configENS1_20scan_config_selectorIsEEZZNS1_9scan_implILNS1_25lookback_scan_determinismE0ELb0ELb1ES3_N6thrust23THRUST_200600_302600_NS6detail15normal_iteratorINS9_10device_ptrIsEEEESE_sNS9_10multipliesIsEEsEEDaPvRmT3_T4_T5_mT6_P12ihipStream_tbENKUlT_T0_E_clISt17integral_constantIbLb0EESU_EEDaSP_SQ_EUlSP_E0_NS1_11comp_targetILNS1_3genE0ELNS1_11target_archE4294967295ELNS1_3gpuE0ELNS1_3repE0EEENS1_30default_config_static_selectorELNS0_4arch9wavefront6targetE1EEEvT1_
	.globl	_ZN7rocprim17ROCPRIM_400000_NS6detail17trampoline_kernelINS0_14default_configENS1_20scan_config_selectorIsEEZZNS1_9scan_implILNS1_25lookback_scan_determinismE0ELb0ELb1ES3_N6thrust23THRUST_200600_302600_NS6detail15normal_iteratorINS9_10device_ptrIsEEEESE_sNS9_10multipliesIsEEsEEDaPvRmT3_T4_T5_mT6_P12ihipStream_tbENKUlT_T0_E_clISt17integral_constantIbLb0EESU_EEDaSP_SQ_EUlSP_E0_NS1_11comp_targetILNS1_3genE0ELNS1_11target_archE4294967295ELNS1_3gpuE0ELNS1_3repE0EEENS1_30default_config_static_selectorELNS0_4arch9wavefront6targetE1EEEvT1_
	.p2align	8
	.type	_ZN7rocprim17ROCPRIM_400000_NS6detail17trampoline_kernelINS0_14default_configENS1_20scan_config_selectorIsEEZZNS1_9scan_implILNS1_25lookback_scan_determinismE0ELb0ELb1ES3_N6thrust23THRUST_200600_302600_NS6detail15normal_iteratorINS9_10device_ptrIsEEEESE_sNS9_10multipliesIsEEsEEDaPvRmT3_T4_T5_mT6_P12ihipStream_tbENKUlT_T0_E_clISt17integral_constantIbLb0EESU_EEDaSP_SQ_EUlSP_E0_NS1_11comp_targetILNS1_3genE0ELNS1_11target_archE4294967295ELNS1_3gpuE0ELNS1_3repE0EEENS1_30default_config_static_selectorELNS0_4arch9wavefront6targetE1EEEvT1_,@function
_ZN7rocprim17ROCPRIM_400000_NS6detail17trampoline_kernelINS0_14default_configENS1_20scan_config_selectorIsEEZZNS1_9scan_implILNS1_25lookback_scan_determinismE0ELb0ELb1ES3_N6thrust23THRUST_200600_302600_NS6detail15normal_iteratorINS9_10device_ptrIsEEEESE_sNS9_10multipliesIsEEsEEDaPvRmT3_T4_T5_mT6_P12ihipStream_tbENKUlT_T0_E_clISt17integral_constantIbLb0EESU_EEDaSP_SQ_EUlSP_E0_NS1_11comp_targetILNS1_3genE0ELNS1_11target_archE4294967295ELNS1_3gpuE0ELNS1_3repE0EEENS1_30default_config_static_selectorELNS0_4arch9wavefront6targetE1EEEvT1_: ; @_ZN7rocprim17ROCPRIM_400000_NS6detail17trampoline_kernelINS0_14default_configENS1_20scan_config_selectorIsEEZZNS1_9scan_implILNS1_25lookback_scan_determinismE0ELb0ELb1ES3_N6thrust23THRUST_200600_302600_NS6detail15normal_iteratorINS9_10device_ptrIsEEEESE_sNS9_10multipliesIsEEsEEDaPvRmT3_T4_T5_mT6_P12ihipStream_tbENKUlT_T0_E_clISt17integral_constantIbLb0EESU_EEDaSP_SQ_EUlSP_E0_NS1_11comp_targetILNS1_3genE0ELNS1_11target_archE4294967295ELNS1_3gpuE0ELNS1_3repE0EEENS1_30default_config_static_selectorELNS0_4arch9wavefront6targetE1EEEvT1_
; %bb.0:
	.section	.rodata,"a",@progbits
	.p2align	6, 0x0
	.amdhsa_kernel _ZN7rocprim17ROCPRIM_400000_NS6detail17trampoline_kernelINS0_14default_configENS1_20scan_config_selectorIsEEZZNS1_9scan_implILNS1_25lookback_scan_determinismE0ELb0ELb1ES3_N6thrust23THRUST_200600_302600_NS6detail15normal_iteratorINS9_10device_ptrIsEEEESE_sNS9_10multipliesIsEEsEEDaPvRmT3_T4_T5_mT6_P12ihipStream_tbENKUlT_T0_E_clISt17integral_constantIbLb0EESU_EEDaSP_SQ_EUlSP_E0_NS1_11comp_targetILNS1_3genE0ELNS1_11target_archE4294967295ELNS1_3gpuE0ELNS1_3repE0EEENS1_30default_config_static_selectorELNS0_4arch9wavefront6targetE1EEEvT1_
		.amdhsa_group_segment_fixed_size 0
		.amdhsa_private_segment_fixed_size 0
		.amdhsa_kernarg_size 32
		.amdhsa_user_sgpr_count 6
		.amdhsa_user_sgpr_private_segment_buffer 1
		.amdhsa_user_sgpr_dispatch_ptr 0
		.amdhsa_user_sgpr_queue_ptr 0
		.amdhsa_user_sgpr_kernarg_segment_ptr 1
		.amdhsa_user_sgpr_dispatch_id 0
		.amdhsa_user_sgpr_flat_scratch_init 0
		.amdhsa_user_sgpr_kernarg_preload_length 0
		.amdhsa_user_sgpr_kernarg_preload_offset 0
		.amdhsa_user_sgpr_private_segment_size 0
		.amdhsa_uses_dynamic_stack 0
		.amdhsa_system_sgpr_private_segment_wavefront_offset 0
		.amdhsa_system_sgpr_workgroup_id_x 1
		.amdhsa_system_sgpr_workgroup_id_y 0
		.amdhsa_system_sgpr_workgroup_id_z 0
		.amdhsa_system_sgpr_workgroup_info 0
		.amdhsa_system_vgpr_workitem_id 0
		.amdhsa_next_free_vgpr 1
		.amdhsa_next_free_sgpr 0
		.amdhsa_accum_offset 4
		.amdhsa_reserve_vcc 0
		.amdhsa_reserve_flat_scratch 0
		.amdhsa_float_round_mode_32 0
		.amdhsa_float_round_mode_16_64 0
		.amdhsa_float_denorm_mode_32 3
		.amdhsa_float_denorm_mode_16_64 3
		.amdhsa_dx10_clamp 1
		.amdhsa_ieee_mode 1
		.amdhsa_fp16_overflow 0
		.amdhsa_tg_split 0
		.amdhsa_exception_fp_ieee_invalid_op 0
		.amdhsa_exception_fp_denorm_src 0
		.amdhsa_exception_fp_ieee_div_zero 0
		.amdhsa_exception_fp_ieee_overflow 0
		.amdhsa_exception_fp_ieee_underflow 0
		.amdhsa_exception_fp_ieee_inexact 0
		.amdhsa_exception_int_div_zero 0
	.end_amdhsa_kernel
	.section	.text._ZN7rocprim17ROCPRIM_400000_NS6detail17trampoline_kernelINS0_14default_configENS1_20scan_config_selectorIsEEZZNS1_9scan_implILNS1_25lookback_scan_determinismE0ELb0ELb1ES3_N6thrust23THRUST_200600_302600_NS6detail15normal_iteratorINS9_10device_ptrIsEEEESE_sNS9_10multipliesIsEEsEEDaPvRmT3_T4_T5_mT6_P12ihipStream_tbENKUlT_T0_E_clISt17integral_constantIbLb0EESU_EEDaSP_SQ_EUlSP_E0_NS1_11comp_targetILNS1_3genE0ELNS1_11target_archE4294967295ELNS1_3gpuE0ELNS1_3repE0EEENS1_30default_config_static_selectorELNS0_4arch9wavefront6targetE1EEEvT1_,"axG",@progbits,_ZN7rocprim17ROCPRIM_400000_NS6detail17trampoline_kernelINS0_14default_configENS1_20scan_config_selectorIsEEZZNS1_9scan_implILNS1_25lookback_scan_determinismE0ELb0ELb1ES3_N6thrust23THRUST_200600_302600_NS6detail15normal_iteratorINS9_10device_ptrIsEEEESE_sNS9_10multipliesIsEEsEEDaPvRmT3_T4_T5_mT6_P12ihipStream_tbENKUlT_T0_E_clISt17integral_constantIbLb0EESU_EEDaSP_SQ_EUlSP_E0_NS1_11comp_targetILNS1_3genE0ELNS1_11target_archE4294967295ELNS1_3gpuE0ELNS1_3repE0EEENS1_30default_config_static_selectorELNS0_4arch9wavefront6targetE1EEEvT1_,comdat
.Lfunc_end1132:
	.size	_ZN7rocprim17ROCPRIM_400000_NS6detail17trampoline_kernelINS0_14default_configENS1_20scan_config_selectorIsEEZZNS1_9scan_implILNS1_25lookback_scan_determinismE0ELb0ELb1ES3_N6thrust23THRUST_200600_302600_NS6detail15normal_iteratorINS9_10device_ptrIsEEEESE_sNS9_10multipliesIsEEsEEDaPvRmT3_T4_T5_mT6_P12ihipStream_tbENKUlT_T0_E_clISt17integral_constantIbLb0EESU_EEDaSP_SQ_EUlSP_E0_NS1_11comp_targetILNS1_3genE0ELNS1_11target_archE4294967295ELNS1_3gpuE0ELNS1_3repE0EEENS1_30default_config_static_selectorELNS0_4arch9wavefront6targetE1EEEvT1_, .Lfunc_end1132-_ZN7rocprim17ROCPRIM_400000_NS6detail17trampoline_kernelINS0_14default_configENS1_20scan_config_selectorIsEEZZNS1_9scan_implILNS1_25lookback_scan_determinismE0ELb0ELb1ES3_N6thrust23THRUST_200600_302600_NS6detail15normal_iteratorINS9_10device_ptrIsEEEESE_sNS9_10multipliesIsEEsEEDaPvRmT3_T4_T5_mT6_P12ihipStream_tbENKUlT_T0_E_clISt17integral_constantIbLb0EESU_EEDaSP_SQ_EUlSP_E0_NS1_11comp_targetILNS1_3genE0ELNS1_11target_archE4294967295ELNS1_3gpuE0ELNS1_3repE0EEENS1_30default_config_static_selectorELNS0_4arch9wavefront6targetE1EEEvT1_
                                        ; -- End function
	.section	.AMDGPU.csdata,"",@progbits
; Kernel info:
; codeLenInByte = 0
; NumSgprs: 4
; NumVgprs: 0
; NumAgprs: 0
; TotalNumVgprs: 0
; ScratchSize: 0
; MemoryBound: 0
; FloatMode: 240
; IeeeMode: 1
; LDSByteSize: 0 bytes/workgroup (compile time only)
; SGPRBlocks: 0
; VGPRBlocks: 0
; NumSGPRsForWavesPerEU: 4
; NumVGPRsForWavesPerEU: 1
; AccumOffset: 4
; Occupancy: 8
; WaveLimiterHint : 0
; COMPUTE_PGM_RSRC2:SCRATCH_EN: 0
; COMPUTE_PGM_RSRC2:USER_SGPR: 6
; COMPUTE_PGM_RSRC2:TRAP_HANDLER: 0
; COMPUTE_PGM_RSRC2:TGID_X_EN: 1
; COMPUTE_PGM_RSRC2:TGID_Y_EN: 0
; COMPUTE_PGM_RSRC2:TGID_Z_EN: 0
; COMPUTE_PGM_RSRC2:TIDIG_COMP_CNT: 0
; COMPUTE_PGM_RSRC3_GFX90A:ACCUM_OFFSET: 0
; COMPUTE_PGM_RSRC3_GFX90A:TG_SPLIT: 0
	.section	.text._ZN7rocprim17ROCPRIM_400000_NS6detail17trampoline_kernelINS0_14default_configENS1_20scan_config_selectorIsEEZZNS1_9scan_implILNS1_25lookback_scan_determinismE0ELb0ELb1ES3_N6thrust23THRUST_200600_302600_NS6detail15normal_iteratorINS9_10device_ptrIsEEEESE_sNS9_10multipliesIsEEsEEDaPvRmT3_T4_T5_mT6_P12ihipStream_tbENKUlT_T0_E_clISt17integral_constantIbLb0EESU_EEDaSP_SQ_EUlSP_E0_NS1_11comp_targetILNS1_3genE5ELNS1_11target_archE942ELNS1_3gpuE9ELNS1_3repE0EEENS1_30default_config_static_selectorELNS0_4arch9wavefront6targetE1EEEvT1_,"axG",@progbits,_ZN7rocprim17ROCPRIM_400000_NS6detail17trampoline_kernelINS0_14default_configENS1_20scan_config_selectorIsEEZZNS1_9scan_implILNS1_25lookback_scan_determinismE0ELb0ELb1ES3_N6thrust23THRUST_200600_302600_NS6detail15normal_iteratorINS9_10device_ptrIsEEEESE_sNS9_10multipliesIsEEsEEDaPvRmT3_T4_T5_mT6_P12ihipStream_tbENKUlT_T0_E_clISt17integral_constantIbLb0EESU_EEDaSP_SQ_EUlSP_E0_NS1_11comp_targetILNS1_3genE5ELNS1_11target_archE942ELNS1_3gpuE9ELNS1_3repE0EEENS1_30default_config_static_selectorELNS0_4arch9wavefront6targetE1EEEvT1_,comdat
	.protected	_ZN7rocprim17ROCPRIM_400000_NS6detail17trampoline_kernelINS0_14default_configENS1_20scan_config_selectorIsEEZZNS1_9scan_implILNS1_25lookback_scan_determinismE0ELb0ELb1ES3_N6thrust23THRUST_200600_302600_NS6detail15normal_iteratorINS9_10device_ptrIsEEEESE_sNS9_10multipliesIsEEsEEDaPvRmT3_T4_T5_mT6_P12ihipStream_tbENKUlT_T0_E_clISt17integral_constantIbLb0EESU_EEDaSP_SQ_EUlSP_E0_NS1_11comp_targetILNS1_3genE5ELNS1_11target_archE942ELNS1_3gpuE9ELNS1_3repE0EEENS1_30default_config_static_selectorELNS0_4arch9wavefront6targetE1EEEvT1_ ; -- Begin function _ZN7rocprim17ROCPRIM_400000_NS6detail17trampoline_kernelINS0_14default_configENS1_20scan_config_selectorIsEEZZNS1_9scan_implILNS1_25lookback_scan_determinismE0ELb0ELb1ES3_N6thrust23THRUST_200600_302600_NS6detail15normal_iteratorINS9_10device_ptrIsEEEESE_sNS9_10multipliesIsEEsEEDaPvRmT3_T4_T5_mT6_P12ihipStream_tbENKUlT_T0_E_clISt17integral_constantIbLb0EESU_EEDaSP_SQ_EUlSP_E0_NS1_11comp_targetILNS1_3genE5ELNS1_11target_archE942ELNS1_3gpuE9ELNS1_3repE0EEENS1_30default_config_static_selectorELNS0_4arch9wavefront6targetE1EEEvT1_
	.globl	_ZN7rocprim17ROCPRIM_400000_NS6detail17trampoline_kernelINS0_14default_configENS1_20scan_config_selectorIsEEZZNS1_9scan_implILNS1_25lookback_scan_determinismE0ELb0ELb1ES3_N6thrust23THRUST_200600_302600_NS6detail15normal_iteratorINS9_10device_ptrIsEEEESE_sNS9_10multipliesIsEEsEEDaPvRmT3_T4_T5_mT6_P12ihipStream_tbENKUlT_T0_E_clISt17integral_constantIbLb0EESU_EEDaSP_SQ_EUlSP_E0_NS1_11comp_targetILNS1_3genE5ELNS1_11target_archE942ELNS1_3gpuE9ELNS1_3repE0EEENS1_30default_config_static_selectorELNS0_4arch9wavefront6targetE1EEEvT1_
	.p2align	8
	.type	_ZN7rocprim17ROCPRIM_400000_NS6detail17trampoline_kernelINS0_14default_configENS1_20scan_config_selectorIsEEZZNS1_9scan_implILNS1_25lookback_scan_determinismE0ELb0ELb1ES3_N6thrust23THRUST_200600_302600_NS6detail15normal_iteratorINS9_10device_ptrIsEEEESE_sNS9_10multipliesIsEEsEEDaPvRmT3_T4_T5_mT6_P12ihipStream_tbENKUlT_T0_E_clISt17integral_constantIbLb0EESU_EEDaSP_SQ_EUlSP_E0_NS1_11comp_targetILNS1_3genE5ELNS1_11target_archE942ELNS1_3gpuE9ELNS1_3repE0EEENS1_30default_config_static_selectorELNS0_4arch9wavefront6targetE1EEEvT1_,@function
_ZN7rocprim17ROCPRIM_400000_NS6detail17trampoline_kernelINS0_14default_configENS1_20scan_config_selectorIsEEZZNS1_9scan_implILNS1_25lookback_scan_determinismE0ELb0ELb1ES3_N6thrust23THRUST_200600_302600_NS6detail15normal_iteratorINS9_10device_ptrIsEEEESE_sNS9_10multipliesIsEEsEEDaPvRmT3_T4_T5_mT6_P12ihipStream_tbENKUlT_T0_E_clISt17integral_constantIbLb0EESU_EEDaSP_SQ_EUlSP_E0_NS1_11comp_targetILNS1_3genE5ELNS1_11target_archE942ELNS1_3gpuE9ELNS1_3repE0EEENS1_30default_config_static_selectorELNS0_4arch9wavefront6targetE1EEEvT1_: ; @_ZN7rocprim17ROCPRIM_400000_NS6detail17trampoline_kernelINS0_14default_configENS1_20scan_config_selectorIsEEZZNS1_9scan_implILNS1_25lookback_scan_determinismE0ELb0ELb1ES3_N6thrust23THRUST_200600_302600_NS6detail15normal_iteratorINS9_10device_ptrIsEEEESE_sNS9_10multipliesIsEEsEEDaPvRmT3_T4_T5_mT6_P12ihipStream_tbENKUlT_T0_E_clISt17integral_constantIbLb0EESU_EEDaSP_SQ_EUlSP_E0_NS1_11comp_targetILNS1_3genE5ELNS1_11target_archE942ELNS1_3gpuE9ELNS1_3repE0EEENS1_30default_config_static_selectorELNS0_4arch9wavefront6targetE1EEEvT1_
; %bb.0:
	.section	.rodata,"a",@progbits
	.p2align	6, 0x0
	.amdhsa_kernel _ZN7rocprim17ROCPRIM_400000_NS6detail17trampoline_kernelINS0_14default_configENS1_20scan_config_selectorIsEEZZNS1_9scan_implILNS1_25lookback_scan_determinismE0ELb0ELb1ES3_N6thrust23THRUST_200600_302600_NS6detail15normal_iteratorINS9_10device_ptrIsEEEESE_sNS9_10multipliesIsEEsEEDaPvRmT3_T4_T5_mT6_P12ihipStream_tbENKUlT_T0_E_clISt17integral_constantIbLb0EESU_EEDaSP_SQ_EUlSP_E0_NS1_11comp_targetILNS1_3genE5ELNS1_11target_archE942ELNS1_3gpuE9ELNS1_3repE0EEENS1_30default_config_static_selectorELNS0_4arch9wavefront6targetE1EEEvT1_
		.amdhsa_group_segment_fixed_size 0
		.amdhsa_private_segment_fixed_size 0
		.amdhsa_kernarg_size 32
		.amdhsa_user_sgpr_count 6
		.amdhsa_user_sgpr_private_segment_buffer 1
		.amdhsa_user_sgpr_dispatch_ptr 0
		.amdhsa_user_sgpr_queue_ptr 0
		.amdhsa_user_sgpr_kernarg_segment_ptr 1
		.amdhsa_user_sgpr_dispatch_id 0
		.amdhsa_user_sgpr_flat_scratch_init 0
		.amdhsa_user_sgpr_kernarg_preload_length 0
		.amdhsa_user_sgpr_kernarg_preload_offset 0
		.amdhsa_user_sgpr_private_segment_size 0
		.amdhsa_uses_dynamic_stack 0
		.amdhsa_system_sgpr_private_segment_wavefront_offset 0
		.amdhsa_system_sgpr_workgroup_id_x 1
		.amdhsa_system_sgpr_workgroup_id_y 0
		.amdhsa_system_sgpr_workgroup_id_z 0
		.amdhsa_system_sgpr_workgroup_info 0
		.amdhsa_system_vgpr_workitem_id 0
		.amdhsa_next_free_vgpr 1
		.amdhsa_next_free_sgpr 0
		.amdhsa_accum_offset 4
		.amdhsa_reserve_vcc 0
		.amdhsa_reserve_flat_scratch 0
		.amdhsa_float_round_mode_32 0
		.amdhsa_float_round_mode_16_64 0
		.amdhsa_float_denorm_mode_32 3
		.amdhsa_float_denorm_mode_16_64 3
		.amdhsa_dx10_clamp 1
		.amdhsa_ieee_mode 1
		.amdhsa_fp16_overflow 0
		.amdhsa_tg_split 0
		.amdhsa_exception_fp_ieee_invalid_op 0
		.amdhsa_exception_fp_denorm_src 0
		.amdhsa_exception_fp_ieee_div_zero 0
		.amdhsa_exception_fp_ieee_overflow 0
		.amdhsa_exception_fp_ieee_underflow 0
		.amdhsa_exception_fp_ieee_inexact 0
		.amdhsa_exception_int_div_zero 0
	.end_amdhsa_kernel
	.section	.text._ZN7rocprim17ROCPRIM_400000_NS6detail17trampoline_kernelINS0_14default_configENS1_20scan_config_selectorIsEEZZNS1_9scan_implILNS1_25lookback_scan_determinismE0ELb0ELb1ES3_N6thrust23THRUST_200600_302600_NS6detail15normal_iteratorINS9_10device_ptrIsEEEESE_sNS9_10multipliesIsEEsEEDaPvRmT3_T4_T5_mT6_P12ihipStream_tbENKUlT_T0_E_clISt17integral_constantIbLb0EESU_EEDaSP_SQ_EUlSP_E0_NS1_11comp_targetILNS1_3genE5ELNS1_11target_archE942ELNS1_3gpuE9ELNS1_3repE0EEENS1_30default_config_static_selectorELNS0_4arch9wavefront6targetE1EEEvT1_,"axG",@progbits,_ZN7rocprim17ROCPRIM_400000_NS6detail17trampoline_kernelINS0_14default_configENS1_20scan_config_selectorIsEEZZNS1_9scan_implILNS1_25lookback_scan_determinismE0ELb0ELb1ES3_N6thrust23THRUST_200600_302600_NS6detail15normal_iteratorINS9_10device_ptrIsEEEESE_sNS9_10multipliesIsEEsEEDaPvRmT3_T4_T5_mT6_P12ihipStream_tbENKUlT_T0_E_clISt17integral_constantIbLb0EESU_EEDaSP_SQ_EUlSP_E0_NS1_11comp_targetILNS1_3genE5ELNS1_11target_archE942ELNS1_3gpuE9ELNS1_3repE0EEENS1_30default_config_static_selectorELNS0_4arch9wavefront6targetE1EEEvT1_,comdat
.Lfunc_end1133:
	.size	_ZN7rocprim17ROCPRIM_400000_NS6detail17trampoline_kernelINS0_14default_configENS1_20scan_config_selectorIsEEZZNS1_9scan_implILNS1_25lookback_scan_determinismE0ELb0ELb1ES3_N6thrust23THRUST_200600_302600_NS6detail15normal_iteratorINS9_10device_ptrIsEEEESE_sNS9_10multipliesIsEEsEEDaPvRmT3_T4_T5_mT6_P12ihipStream_tbENKUlT_T0_E_clISt17integral_constantIbLb0EESU_EEDaSP_SQ_EUlSP_E0_NS1_11comp_targetILNS1_3genE5ELNS1_11target_archE942ELNS1_3gpuE9ELNS1_3repE0EEENS1_30default_config_static_selectorELNS0_4arch9wavefront6targetE1EEEvT1_, .Lfunc_end1133-_ZN7rocprim17ROCPRIM_400000_NS6detail17trampoline_kernelINS0_14default_configENS1_20scan_config_selectorIsEEZZNS1_9scan_implILNS1_25lookback_scan_determinismE0ELb0ELb1ES3_N6thrust23THRUST_200600_302600_NS6detail15normal_iteratorINS9_10device_ptrIsEEEESE_sNS9_10multipliesIsEEsEEDaPvRmT3_T4_T5_mT6_P12ihipStream_tbENKUlT_T0_E_clISt17integral_constantIbLb0EESU_EEDaSP_SQ_EUlSP_E0_NS1_11comp_targetILNS1_3genE5ELNS1_11target_archE942ELNS1_3gpuE9ELNS1_3repE0EEENS1_30default_config_static_selectorELNS0_4arch9wavefront6targetE1EEEvT1_
                                        ; -- End function
	.section	.AMDGPU.csdata,"",@progbits
; Kernel info:
; codeLenInByte = 0
; NumSgprs: 4
; NumVgprs: 0
; NumAgprs: 0
; TotalNumVgprs: 0
; ScratchSize: 0
; MemoryBound: 0
; FloatMode: 240
; IeeeMode: 1
; LDSByteSize: 0 bytes/workgroup (compile time only)
; SGPRBlocks: 0
; VGPRBlocks: 0
; NumSGPRsForWavesPerEU: 4
; NumVGPRsForWavesPerEU: 1
; AccumOffset: 4
; Occupancy: 8
; WaveLimiterHint : 0
; COMPUTE_PGM_RSRC2:SCRATCH_EN: 0
; COMPUTE_PGM_RSRC2:USER_SGPR: 6
; COMPUTE_PGM_RSRC2:TRAP_HANDLER: 0
; COMPUTE_PGM_RSRC2:TGID_X_EN: 1
; COMPUTE_PGM_RSRC2:TGID_Y_EN: 0
; COMPUTE_PGM_RSRC2:TGID_Z_EN: 0
; COMPUTE_PGM_RSRC2:TIDIG_COMP_CNT: 0
; COMPUTE_PGM_RSRC3_GFX90A:ACCUM_OFFSET: 0
; COMPUTE_PGM_RSRC3_GFX90A:TG_SPLIT: 0
	.section	.text._ZN7rocprim17ROCPRIM_400000_NS6detail17trampoline_kernelINS0_14default_configENS1_20scan_config_selectorIsEEZZNS1_9scan_implILNS1_25lookback_scan_determinismE0ELb0ELb1ES3_N6thrust23THRUST_200600_302600_NS6detail15normal_iteratorINS9_10device_ptrIsEEEESE_sNS9_10multipliesIsEEsEEDaPvRmT3_T4_T5_mT6_P12ihipStream_tbENKUlT_T0_E_clISt17integral_constantIbLb0EESU_EEDaSP_SQ_EUlSP_E0_NS1_11comp_targetILNS1_3genE4ELNS1_11target_archE910ELNS1_3gpuE8ELNS1_3repE0EEENS1_30default_config_static_selectorELNS0_4arch9wavefront6targetE1EEEvT1_,"axG",@progbits,_ZN7rocprim17ROCPRIM_400000_NS6detail17trampoline_kernelINS0_14default_configENS1_20scan_config_selectorIsEEZZNS1_9scan_implILNS1_25lookback_scan_determinismE0ELb0ELb1ES3_N6thrust23THRUST_200600_302600_NS6detail15normal_iteratorINS9_10device_ptrIsEEEESE_sNS9_10multipliesIsEEsEEDaPvRmT3_T4_T5_mT6_P12ihipStream_tbENKUlT_T0_E_clISt17integral_constantIbLb0EESU_EEDaSP_SQ_EUlSP_E0_NS1_11comp_targetILNS1_3genE4ELNS1_11target_archE910ELNS1_3gpuE8ELNS1_3repE0EEENS1_30default_config_static_selectorELNS0_4arch9wavefront6targetE1EEEvT1_,comdat
	.protected	_ZN7rocprim17ROCPRIM_400000_NS6detail17trampoline_kernelINS0_14default_configENS1_20scan_config_selectorIsEEZZNS1_9scan_implILNS1_25lookback_scan_determinismE0ELb0ELb1ES3_N6thrust23THRUST_200600_302600_NS6detail15normal_iteratorINS9_10device_ptrIsEEEESE_sNS9_10multipliesIsEEsEEDaPvRmT3_T4_T5_mT6_P12ihipStream_tbENKUlT_T0_E_clISt17integral_constantIbLb0EESU_EEDaSP_SQ_EUlSP_E0_NS1_11comp_targetILNS1_3genE4ELNS1_11target_archE910ELNS1_3gpuE8ELNS1_3repE0EEENS1_30default_config_static_selectorELNS0_4arch9wavefront6targetE1EEEvT1_ ; -- Begin function _ZN7rocprim17ROCPRIM_400000_NS6detail17trampoline_kernelINS0_14default_configENS1_20scan_config_selectorIsEEZZNS1_9scan_implILNS1_25lookback_scan_determinismE0ELb0ELb1ES3_N6thrust23THRUST_200600_302600_NS6detail15normal_iteratorINS9_10device_ptrIsEEEESE_sNS9_10multipliesIsEEsEEDaPvRmT3_T4_T5_mT6_P12ihipStream_tbENKUlT_T0_E_clISt17integral_constantIbLb0EESU_EEDaSP_SQ_EUlSP_E0_NS1_11comp_targetILNS1_3genE4ELNS1_11target_archE910ELNS1_3gpuE8ELNS1_3repE0EEENS1_30default_config_static_selectorELNS0_4arch9wavefront6targetE1EEEvT1_
	.globl	_ZN7rocprim17ROCPRIM_400000_NS6detail17trampoline_kernelINS0_14default_configENS1_20scan_config_selectorIsEEZZNS1_9scan_implILNS1_25lookback_scan_determinismE0ELb0ELb1ES3_N6thrust23THRUST_200600_302600_NS6detail15normal_iteratorINS9_10device_ptrIsEEEESE_sNS9_10multipliesIsEEsEEDaPvRmT3_T4_T5_mT6_P12ihipStream_tbENKUlT_T0_E_clISt17integral_constantIbLb0EESU_EEDaSP_SQ_EUlSP_E0_NS1_11comp_targetILNS1_3genE4ELNS1_11target_archE910ELNS1_3gpuE8ELNS1_3repE0EEENS1_30default_config_static_selectorELNS0_4arch9wavefront6targetE1EEEvT1_
	.p2align	8
	.type	_ZN7rocprim17ROCPRIM_400000_NS6detail17trampoline_kernelINS0_14default_configENS1_20scan_config_selectorIsEEZZNS1_9scan_implILNS1_25lookback_scan_determinismE0ELb0ELb1ES3_N6thrust23THRUST_200600_302600_NS6detail15normal_iteratorINS9_10device_ptrIsEEEESE_sNS9_10multipliesIsEEsEEDaPvRmT3_T4_T5_mT6_P12ihipStream_tbENKUlT_T0_E_clISt17integral_constantIbLb0EESU_EEDaSP_SQ_EUlSP_E0_NS1_11comp_targetILNS1_3genE4ELNS1_11target_archE910ELNS1_3gpuE8ELNS1_3repE0EEENS1_30default_config_static_selectorELNS0_4arch9wavefront6targetE1EEEvT1_,@function
_ZN7rocprim17ROCPRIM_400000_NS6detail17trampoline_kernelINS0_14default_configENS1_20scan_config_selectorIsEEZZNS1_9scan_implILNS1_25lookback_scan_determinismE0ELb0ELb1ES3_N6thrust23THRUST_200600_302600_NS6detail15normal_iteratorINS9_10device_ptrIsEEEESE_sNS9_10multipliesIsEEsEEDaPvRmT3_T4_T5_mT6_P12ihipStream_tbENKUlT_T0_E_clISt17integral_constantIbLb0EESU_EEDaSP_SQ_EUlSP_E0_NS1_11comp_targetILNS1_3genE4ELNS1_11target_archE910ELNS1_3gpuE8ELNS1_3repE0EEENS1_30default_config_static_selectorELNS0_4arch9wavefront6targetE1EEEvT1_: ; @_ZN7rocprim17ROCPRIM_400000_NS6detail17trampoline_kernelINS0_14default_configENS1_20scan_config_selectorIsEEZZNS1_9scan_implILNS1_25lookback_scan_determinismE0ELb0ELb1ES3_N6thrust23THRUST_200600_302600_NS6detail15normal_iteratorINS9_10device_ptrIsEEEESE_sNS9_10multipliesIsEEsEEDaPvRmT3_T4_T5_mT6_P12ihipStream_tbENKUlT_T0_E_clISt17integral_constantIbLb0EESU_EEDaSP_SQ_EUlSP_E0_NS1_11comp_targetILNS1_3genE4ELNS1_11target_archE910ELNS1_3gpuE8ELNS1_3repE0EEENS1_30default_config_static_selectorELNS0_4arch9wavefront6targetE1EEEvT1_
; %bb.0:
	s_load_dwordx4 s[52:55], s[4:5], 0x0
	v_mov_b32_e32 v1, 0
	v_lshlrev_b32_e32 v14, 1, v0
	s_waitcnt lgkmcnt(0)
	global_load_ushort v2, v1, s[52:53]
	v_cmp_gt_u32_e32 vcc, s54, v0
	s_waitcnt vmcnt(0)
	v_mov_b32_e32 v3, v2
	s_and_saveexec_b64 s[0:1], vcc
	s_cbranch_execz .LBB1134_2
; %bb.1:
	global_load_ushort v3, v14, s[52:53]
.LBB1134_2:
	s_or_b64 exec, exec, s[0:1]
	v_or_b32_e32 v1, 64, v0
	v_cmp_gt_u32_e64 s[0:1], s54, v1
	v_mov_b32_e32 v4, v2
	s_and_saveexec_b64 s[2:3], s[0:1]
	s_cbranch_execz .LBB1134_4
; %bb.3:
	global_load_ushort v4, v14, s[52:53] offset:128
.LBB1134_4:
	s_or_b64 exec, exec, s[2:3]
	v_or_b32_e32 v1, 0x80, v0
	v_cmp_gt_u32_e64 s[2:3], s54, v1
	v_mov_b32_e32 v5, v2
	s_and_saveexec_b64 s[6:7], s[2:3]
	s_cbranch_execz .LBB1134_6
; %bb.5:
	global_load_ushort v5, v14, s[52:53] offset:256
.LBB1134_6:
	;; [unrolled: 9-line block ×22, first 2 shown]
	s_or_b64 exec, exec, s[46:47]
	v_or_b32_e32 v1, 0x5c0, v0
	v_cmp_gt_u32_e64 s[46:47], s54, v1
	v_cmp_le_u32_e64 s[50:51], s54, v1
	s_and_saveexec_b64 s[54:55], s[50:51]
	s_xor_b64 s[50:51], exec, s[54:55]
; %bb.47:
	v_mov_b32_e32 v1, 0
; %bb.48:
	s_andn2_saveexec_b64 s[50:51], s[50:51]
	s_cbranch_execz .LBB1134_50
; %bb.49:
	global_load_ushort v2, v14, s[52:53] offset:2944
	v_mov_b32_e32 v1, 0
.LBB1134_50:
	s_or_b64 exec, exec, s[50:51]
	s_waitcnt vmcnt(0)
	ds_write_b16 v14, v3
	ds_write_b16 v14, v4 offset:128
	ds_write_b16 v14, v5 offset:256
	;; [unrolled: 1-line block ×23, first 2 shown]
	v_mad_u32_u24 v2, v0, 46, v14
	s_waitcnt lgkmcnt(0)
	; wave barrier
	s_waitcnt lgkmcnt(0)
	ds_read_b128 v[10:13], v2
	ds_read_b128 v[6:9], v2 offset:16
	ds_read_b128 v[2:5], v2 offset:32
	v_mbcnt_lo_u32_b32 v37, -1, 0
	v_mbcnt_hi_u32_b32 v37, -1, v37
	s_waitcnt lgkmcnt(2)
	v_mul_lo_u16_sdwa v16, v10, v10 dst_sel:DWORD dst_unused:UNUSED_PAD src0_sel:WORD_1 src1_sel:DWORD
	v_mul_lo_u16_e32 v17, v16, v11
	v_mul_lo_u16_sdwa v18, v17, v11 dst_sel:DWORD dst_unused:UNUSED_PAD src0_sel:DWORD src1_sel:WORD_1
	v_mul_lo_u16_e32 v19, v18, v12
	v_mul_lo_u16_sdwa v20, v19, v12 dst_sel:DWORD dst_unused:UNUSED_PAD src0_sel:DWORD src1_sel:WORD_1
	;; [unrolled: 2-line block ×3, first 2 shown]
	s_waitcnt lgkmcnt(1)
	v_mul_lo_u16_e32 v23, v22, v6
	v_mul_lo_u16_sdwa v24, v23, v6 dst_sel:DWORD dst_unused:UNUSED_PAD src0_sel:DWORD src1_sel:WORD_1
	v_mul_lo_u16_e32 v25, v24, v7
	v_mul_lo_u16_sdwa v26, v25, v7 dst_sel:DWORD dst_unused:UNUSED_PAD src0_sel:DWORD src1_sel:WORD_1
	v_mul_lo_u16_e32 v27, v26, v8
	v_mul_lo_u16_sdwa v28, v27, v8 dst_sel:DWORD dst_unused:UNUSED_PAD src0_sel:DWORD src1_sel:WORD_1
	v_mul_lo_u16_e32 v29, v28, v9
	v_mul_lo_u16_sdwa v30, v29, v9 dst_sel:DWORD dst_unused:UNUSED_PAD src0_sel:DWORD src1_sel:WORD_1
	s_waitcnt lgkmcnt(0)
	v_mul_lo_u16_e32 v31, v30, v2
	v_mul_lo_u16_sdwa v32, v31, v2 dst_sel:DWORD dst_unused:UNUSED_PAD src0_sel:DWORD src1_sel:WORD_1
	v_mul_lo_u16_e32 v33, v32, v3
	v_mul_lo_u16_sdwa v35, v33, v3 dst_sel:DWORD dst_unused:UNUSED_PAD src0_sel:DWORD src1_sel:WORD_1
	;; [unrolled: 2-line block ×4, first 2 shown]
	v_and_b32_e32 v38, 15, v37
	v_cmp_eq_u32_e64 s[50:51], 0, v38
	v_mov_b32_dpp v39, v15 row_shr:1 row_mask:0xf bank_mask:0xf
	v_mul_lo_u16_e32 v39, v15, v39
	v_cndmask_b32_e64 v15, v39, v15, s[50:51]
	v_cmp_lt_u32_e64 s[50:51], 1, v38
	s_load_dwordx2 s[52:53], s[4:5], 0x18
	v_mov_b32_dpp v39, v15 row_shr:2 row_mask:0xf bank_mask:0xf
	v_mul_lo_u16_e32 v39, v15, v39
	v_cndmask_b32_e64 v15, v15, v39, s[50:51]
	v_cmp_lt_u32_e64 s[50:51], 3, v38
	s_waitcnt lgkmcnt(0)
	v_mov_b32_dpp v39, v15 row_shr:4 row_mask:0xf bank_mask:0xf
	v_mul_lo_u16_e32 v39, v15, v39
	v_cndmask_b32_e64 v15, v15, v39, s[50:51]
	v_cmp_lt_u32_e64 s[50:51], 7, v38
	; wave barrier
	s_nop 0
	v_mov_b32_dpp v39, v15 row_shr:8 row_mask:0xf bank_mask:0xf
	v_mul_lo_u16_e32 v39, v15, v39
	v_cndmask_b32_e64 v15, v15, v39, s[50:51]
	v_and_b32_e32 v39, 16, v37
	v_cmp_eq_u32_e64 s[50:51], 0, v39
	v_mov_b32_dpp v38, v15 row_bcast:15 row_mask:0xf bank_mask:0xf
	v_mul_lo_u16_e32 v38, v15, v38
	v_cndmask_b32_e64 v15, v38, v15, s[50:51]
	v_cmp_lt_u32_e64 s[50:51], 31, v37
	s_nop 0
	v_mov_b32_dpp v38, v15 row_bcast:31 row_mask:0xf bank_mask:0xf
	v_cndmask_b32_e64 v38, 1, v38, s[50:51]
	v_mul_lo_u16_e32 v38, v15, v38
	v_cmp_eq_u32_e64 s[50:51], 63, v0
	s_and_saveexec_b64 s[54:55], s[50:51]
	s_cbranch_execz .LBB1134_52
; %bb.51:
	v_mov_b32_e32 v15, 0
	ds_write_b16 v15, v38
.LBB1134_52:
	s_or_b64 exec, exec, s[54:55]
	v_add_u32_e32 v39, -1, v37
	v_and_b32_e32 v40, 64, v37
	s_load_dword s54, s[4:5], 0x10
	v_cmp_lt_i32_e64 s[4:5], v39, v40
	v_cndmask_b32_e64 v37, v39, v37, s[4:5]
	v_lshlrev_b32_e32 v37, 2, v37
	ds_bpermute_b32 v37, v37, v38
	s_mov_b32 s33, 0x5040100
	v_mul_u32_u24_e32 v15, 46, v0
	v_cmp_ne_u32_e64 s[4:5], 0, v0
	v_perm_b32 v34, v36, v34, s33
	v_perm_b32 v16, v16, v10, s33
	v_perm_b32 v18, v18, v17, s33
	v_perm_b32 v17, v20, v19, s33
	v_perm_b32 v20, v22, v21, s33
	v_perm_b32 v19, v24, v23, s33
	v_perm_b32 v22, v26, v25, s33
	v_perm_b32 v21, v28, v27, s33
	v_perm_b32 v24, v30, v29, s33
	v_perm_b32 v23, v32, v31, s33
	v_perm_b32 v25, v35, v33, s33
	s_waitcnt lgkmcnt(0)
	; wave barrier
	s_waitcnt lgkmcnt(0)
	s_and_saveexec_b64 s[50:51], s[4:5]
	s_cbranch_execz .LBB1134_54
; %bb.53:
	v_mul_lo_u16_e32 v16, v10, v37
	v_mul_lo_u16_sdwa v10, v16, v10 dst_sel:DWORD dst_unused:UNUSED_PAD src0_sel:DWORD src1_sel:WORD_1
	v_mul_lo_u16_e32 v17, v10, v11
	v_mul_lo_u16_sdwa v11, v17, v11 dst_sel:DWORD dst_unused:UNUSED_PAD src0_sel:DWORD src1_sel:WORD_1
	;; [unrolled: 2-line block ×11, first 2 shown]
	v_perm_b32 v34, v4, v18, s33
	v_perm_b32 v16, v10, v16, s33
	v_perm_b32 v18, v11, v17, s33
	v_perm_b32 v17, v12, v19, s33
	v_perm_b32 v20, v13, v20, s33
	v_perm_b32 v19, v6, v21, s33
	v_perm_b32 v22, v7, v22, s33
	v_perm_b32 v21, v8, v23, s33
	v_perm_b32 v24, v9, v24, s33
	v_perm_b32 v23, v2, v25, s33
	v_perm_b32 v25, v3, v26, s33
	;;#ASMSTART
	;;#ASMEND
.LBB1134_54:
	s_or_b64 exec, exec, s[50:51]
	v_pk_mul_lo_u16 v6, v16, s54 op_sel_hi:[1,0]
	v_mul_lo_u16_e32 v16, s54, v5
	v_mul_lo_u16_sdwa v16, v16, v34 dst_sel:DWORD dst_unused:UNUSED_PAD src0_sel:DWORD src1_sel:WORD_1
	v_mul_lo_u16_sdwa v5, v16, v5 dst_sel:DWORD dst_unused:UNUSED_PAD src0_sel:DWORD src1_sel:WORD_1
	v_pk_mul_lo_u16 v7, v18, s54 op_sel_hi:[1,0]
	v_pk_mul_lo_u16 v9, v20, s54 op_sel_hi:[1,0]
	;; [unrolled: 1-line block ×10, first 2 shown]
	v_add_u32_e32 v15, v14, v15
	v_perm_b32 v5, v5, v16, s33
	s_waitcnt lgkmcnt(0)
	; wave barrier
	ds_write_b128 v15, v[6:9]
	ds_write_b128 v15, v[10:13] offset:16
	ds_write_b128 v15, v[2:5] offset:32
	s_waitcnt lgkmcnt(0)
	; wave barrier
	s_waitcnt lgkmcnt(0)
	ds_read_u16 v25, v14 offset:128
	ds_read_u16 v24, v14 offset:256
	;; [unrolled: 1-line block ×23, first 2 shown]
	v_lshlrev_b64 v[0:1], 1, v[0:1]
	v_mov_b32_e32 v26, s53
	v_add_co_u32_e64 v0, s[4:5], s52, v0
	v_addc_co_u32_e64 v1, s[4:5], v26, v1, s[4:5]
	s_and_saveexec_b64 s[4:5], vcc
	s_cbranch_execnz .LBB1134_79
; %bb.55:
	s_or_b64 exec, exec, s[4:5]
	s_and_saveexec_b64 s[4:5], s[0:1]
	s_cbranch_execnz .LBB1134_80
.LBB1134_56:
	s_or_b64 exec, exec, s[4:5]
	s_and_saveexec_b64 s[0:1], s[2:3]
	s_cbranch_execnz .LBB1134_81
.LBB1134_57:
	s_or_b64 exec, exec, s[0:1]
	s_and_saveexec_b64 s[0:1], s[48:49]
	s_cbranch_execnz .LBB1134_82
.LBB1134_58:
	s_or_b64 exec, exec, s[0:1]
	s_and_saveexec_b64 s[0:1], s[6:7]
	s_cbranch_execnz .LBB1134_83
.LBB1134_59:
	s_or_b64 exec, exec, s[0:1]
	s_and_saveexec_b64 s[0:1], s[8:9]
	s_cbranch_execnz .LBB1134_84
.LBB1134_60:
	s_or_b64 exec, exec, s[0:1]
	s_and_saveexec_b64 s[0:1], s[10:11]
	s_cbranch_execnz .LBB1134_85
.LBB1134_61:
	s_or_b64 exec, exec, s[0:1]
	s_and_saveexec_b64 s[0:1], s[12:13]
	s_cbranch_execnz .LBB1134_86
.LBB1134_62:
	s_or_b64 exec, exec, s[0:1]
	s_and_saveexec_b64 s[0:1], s[14:15]
	s_cbranch_execnz .LBB1134_87
.LBB1134_63:
	s_or_b64 exec, exec, s[0:1]
	s_and_saveexec_b64 s[0:1], s[16:17]
	s_cbranch_execnz .LBB1134_88
.LBB1134_64:
	s_or_b64 exec, exec, s[0:1]
	s_and_saveexec_b64 s[0:1], s[18:19]
	s_cbranch_execnz .LBB1134_89
.LBB1134_65:
	s_or_b64 exec, exec, s[0:1]
	s_and_saveexec_b64 s[0:1], s[20:21]
	s_cbranch_execnz .LBB1134_90
.LBB1134_66:
	s_or_b64 exec, exec, s[0:1]
	s_and_saveexec_b64 s[0:1], s[22:23]
	s_cbranch_execnz .LBB1134_91
.LBB1134_67:
	s_or_b64 exec, exec, s[0:1]
	s_and_saveexec_b64 s[0:1], s[24:25]
	s_cbranch_execnz .LBB1134_92
.LBB1134_68:
	s_or_b64 exec, exec, s[0:1]
	s_and_saveexec_b64 s[0:1], s[26:27]
	s_cbranch_execnz .LBB1134_93
.LBB1134_69:
	s_or_b64 exec, exec, s[0:1]
	s_and_saveexec_b64 s[0:1], s[28:29]
	s_cbranch_execnz .LBB1134_94
.LBB1134_70:
	s_or_b64 exec, exec, s[0:1]
	s_and_saveexec_b64 s[0:1], s[30:31]
	s_cbranch_execnz .LBB1134_95
.LBB1134_71:
	s_or_b64 exec, exec, s[0:1]
	s_and_saveexec_b64 s[0:1], s[34:35]
	s_cbranch_execnz .LBB1134_96
.LBB1134_72:
	s_or_b64 exec, exec, s[0:1]
	s_and_saveexec_b64 s[0:1], s[36:37]
	s_cbranch_execnz .LBB1134_97
.LBB1134_73:
	s_or_b64 exec, exec, s[0:1]
	s_and_saveexec_b64 s[0:1], s[38:39]
	s_cbranch_execnz .LBB1134_98
.LBB1134_74:
	s_or_b64 exec, exec, s[0:1]
	s_and_saveexec_b64 s[0:1], s[40:41]
	s_cbranch_execnz .LBB1134_99
.LBB1134_75:
	s_or_b64 exec, exec, s[0:1]
	s_and_saveexec_b64 s[0:1], s[42:43]
	s_cbranch_execnz .LBB1134_100
.LBB1134_76:
	s_or_b64 exec, exec, s[0:1]
	s_and_saveexec_b64 s[0:1], s[44:45]
	s_cbranch_execnz .LBB1134_101
.LBB1134_77:
	s_or_b64 exec, exec, s[0:1]
	s_and_saveexec_b64 s[0:1], s[46:47]
	s_cbranch_execnz .LBB1134_102
.LBB1134_78:
	s_endpgm
.LBB1134_79:
	ds_read_u16 v14, v14
	s_waitcnt lgkmcnt(0)
	global_store_short v[0:1], v14, off
	s_or_b64 exec, exec, s[4:5]
	s_and_saveexec_b64 s[4:5], s[0:1]
	s_cbranch_execz .LBB1134_56
.LBB1134_80:
	s_waitcnt lgkmcnt(14)
	global_store_short v[0:1], v25, off offset:128
	s_or_b64 exec, exec, s[4:5]
	s_and_saveexec_b64 s[0:1], s[2:3]
	s_cbranch_execz .LBB1134_57
.LBB1134_81:
	s_waitcnt lgkmcnt(14)
	global_store_short v[0:1], v24, off offset:256
	s_or_b64 exec, exec, s[0:1]
	s_and_saveexec_b64 s[0:1], s[48:49]
	s_cbranch_execz .LBB1134_58
.LBB1134_82:
	s_waitcnt lgkmcnt(14)
	global_store_short v[0:1], v23, off offset:384
	s_or_b64 exec, exec, s[0:1]
	s_and_saveexec_b64 s[0:1], s[6:7]
	s_cbranch_execz .LBB1134_59
.LBB1134_83:
	s_waitcnt lgkmcnt(14)
	global_store_short v[0:1], v22, off offset:512
	s_or_b64 exec, exec, s[0:1]
	s_and_saveexec_b64 s[0:1], s[8:9]
	s_cbranch_execz .LBB1134_60
.LBB1134_84:
	s_waitcnt lgkmcnt(14)
	global_store_short v[0:1], v21, off offset:640
	s_or_b64 exec, exec, s[0:1]
	s_and_saveexec_b64 s[0:1], s[10:11]
	s_cbranch_execz .LBB1134_61
.LBB1134_85:
	s_waitcnt lgkmcnt(14)
	global_store_short v[0:1], v20, off offset:768
	s_or_b64 exec, exec, s[0:1]
	s_and_saveexec_b64 s[0:1], s[12:13]
	s_cbranch_execz .LBB1134_62
.LBB1134_86:
	s_waitcnt lgkmcnt(14)
	global_store_short v[0:1], v19, off offset:896
	s_or_b64 exec, exec, s[0:1]
	s_and_saveexec_b64 s[0:1], s[14:15]
	s_cbranch_execz .LBB1134_63
.LBB1134_87:
	s_waitcnt lgkmcnt(14)
	global_store_short v[0:1], v18, off offset:1024
	s_or_b64 exec, exec, s[0:1]
	s_and_saveexec_b64 s[0:1], s[16:17]
	s_cbranch_execz .LBB1134_64
.LBB1134_88:
	s_waitcnt lgkmcnt(14)
	global_store_short v[0:1], v17, off offset:1152
	s_or_b64 exec, exec, s[0:1]
	s_and_saveexec_b64 s[0:1], s[18:19]
	s_cbranch_execz .LBB1134_65
.LBB1134_89:
	s_waitcnt lgkmcnt(13)
	global_store_short v[0:1], v16, off offset:1280
	s_or_b64 exec, exec, s[0:1]
	s_and_saveexec_b64 s[0:1], s[20:21]
	s_cbranch_execz .LBB1134_66
.LBB1134_90:
	s_waitcnt lgkmcnt(12)
	global_store_short v[0:1], v15, off offset:1408
	s_or_b64 exec, exec, s[0:1]
	s_and_saveexec_b64 s[0:1], s[22:23]
	s_cbranch_execz .LBB1134_67
.LBB1134_91:
	s_waitcnt lgkmcnt(11)
	global_store_short v[0:1], v13, off offset:1536
	s_or_b64 exec, exec, s[0:1]
	s_and_saveexec_b64 s[0:1], s[24:25]
	s_cbranch_execz .LBB1134_68
.LBB1134_92:
	s_waitcnt lgkmcnt(10)
	global_store_short v[0:1], v12, off offset:1664
	s_or_b64 exec, exec, s[0:1]
	s_and_saveexec_b64 s[0:1], s[26:27]
	s_cbranch_execz .LBB1134_69
.LBB1134_93:
	s_waitcnt lgkmcnt(9)
	global_store_short v[0:1], v11, off offset:1792
	s_or_b64 exec, exec, s[0:1]
	s_and_saveexec_b64 s[0:1], s[28:29]
	s_cbranch_execz .LBB1134_70
.LBB1134_94:
	s_waitcnt lgkmcnt(8)
	global_store_short v[0:1], v10, off offset:1920
	s_or_b64 exec, exec, s[0:1]
	s_and_saveexec_b64 s[0:1], s[30:31]
	s_cbranch_execz .LBB1134_71
.LBB1134_95:
	s_waitcnt lgkmcnt(7)
	global_store_short v[0:1], v9, off offset:2048
	s_or_b64 exec, exec, s[0:1]
	s_and_saveexec_b64 s[0:1], s[34:35]
	s_cbranch_execz .LBB1134_72
.LBB1134_96:
	s_waitcnt lgkmcnt(6)
	global_store_short v[0:1], v8, off offset:2176
	s_or_b64 exec, exec, s[0:1]
	s_and_saveexec_b64 s[0:1], s[36:37]
	s_cbranch_execz .LBB1134_73
.LBB1134_97:
	s_waitcnt lgkmcnt(5)
	global_store_short v[0:1], v7, off offset:2304
	s_or_b64 exec, exec, s[0:1]
	s_and_saveexec_b64 s[0:1], s[38:39]
	s_cbranch_execz .LBB1134_74
.LBB1134_98:
	s_waitcnt lgkmcnt(4)
	global_store_short v[0:1], v6, off offset:2432
	s_or_b64 exec, exec, s[0:1]
	s_and_saveexec_b64 s[0:1], s[40:41]
	s_cbranch_execz .LBB1134_75
.LBB1134_99:
	s_waitcnt lgkmcnt(3)
	global_store_short v[0:1], v5, off offset:2560
	s_or_b64 exec, exec, s[0:1]
	s_and_saveexec_b64 s[0:1], s[42:43]
	s_cbranch_execz .LBB1134_76
.LBB1134_100:
	s_waitcnt lgkmcnt(2)
	global_store_short v[0:1], v4, off offset:2688
	s_or_b64 exec, exec, s[0:1]
	s_and_saveexec_b64 s[0:1], s[44:45]
	s_cbranch_execz .LBB1134_77
.LBB1134_101:
	s_waitcnt lgkmcnt(1)
	global_store_short v[0:1], v3, off offset:2816
	s_or_b64 exec, exec, s[0:1]
	s_and_saveexec_b64 s[0:1], s[46:47]
	s_cbranch_execz .LBB1134_78
.LBB1134_102:
	s_waitcnt lgkmcnt(0)
	global_store_short v[0:1], v2, off offset:2944
	s_endpgm
	.section	.rodata,"a",@progbits
	.p2align	6, 0x0
	.amdhsa_kernel _ZN7rocprim17ROCPRIM_400000_NS6detail17trampoline_kernelINS0_14default_configENS1_20scan_config_selectorIsEEZZNS1_9scan_implILNS1_25lookback_scan_determinismE0ELb0ELb1ES3_N6thrust23THRUST_200600_302600_NS6detail15normal_iteratorINS9_10device_ptrIsEEEESE_sNS9_10multipliesIsEEsEEDaPvRmT3_T4_T5_mT6_P12ihipStream_tbENKUlT_T0_E_clISt17integral_constantIbLb0EESU_EEDaSP_SQ_EUlSP_E0_NS1_11comp_targetILNS1_3genE4ELNS1_11target_archE910ELNS1_3gpuE8ELNS1_3repE0EEENS1_30default_config_static_selectorELNS0_4arch9wavefront6targetE1EEEvT1_
		.amdhsa_group_segment_fixed_size 3072
		.amdhsa_private_segment_fixed_size 0
		.amdhsa_kernarg_size 32
		.amdhsa_user_sgpr_count 6
		.amdhsa_user_sgpr_private_segment_buffer 1
		.amdhsa_user_sgpr_dispatch_ptr 0
		.amdhsa_user_sgpr_queue_ptr 0
		.amdhsa_user_sgpr_kernarg_segment_ptr 1
		.amdhsa_user_sgpr_dispatch_id 0
		.amdhsa_user_sgpr_flat_scratch_init 0
		.amdhsa_user_sgpr_kernarg_preload_length 0
		.amdhsa_user_sgpr_kernarg_preload_offset 0
		.amdhsa_user_sgpr_private_segment_size 0
		.amdhsa_uses_dynamic_stack 0
		.amdhsa_system_sgpr_private_segment_wavefront_offset 0
		.amdhsa_system_sgpr_workgroup_id_x 1
		.amdhsa_system_sgpr_workgroup_id_y 0
		.amdhsa_system_sgpr_workgroup_id_z 0
		.amdhsa_system_sgpr_workgroup_info 0
		.amdhsa_system_vgpr_workitem_id 0
		.amdhsa_next_free_vgpr 41
		.amdhsa_next_free_sgpr 56
		.amdhsa_accum_offset 44
		.amdhsa_reserve_vcc 1
		.amdhsa_reserve_flat_scratch 0
		.amdhsa_float_round_mode_32 0
		.amdhsa_float_round_mode_16_64 0
		.amdhsa_float_denorm_mode_32 3
		.amdhsa_float_denorm_mode_16_64 3
		.amdhsa_dx10_clamp 1
		.amdhsa_ieee_mode 1
		.amdhsa_fp16_overflow 0
		.amdhsa_tg_split 0
		.amdhsa_exception_fp_ieee_invalid_op 0
		.amdhsa_exception_fp_denorm_src 0
		.amdhsa_exception_fp_ieee_div_zero 0
		.amdhsa_exception_fp_ieee_overflow 0
		.amdhsa_exception_fp_ieee_underflow 0
		.amdhsa_exception_fp_ieee_inexact 0
		.amdhsa_exception_int_div_zero 0
	.end_amdhsa_kernel
	.section	.text._ZN7rocprim17ROCPRIM_400000_NS6detail17trampoline_kernelINS0_14default_configENS1_20scan_config_selectorIsEEZZNS1_9scan_implILNS1_25lookback_scan_determinismE0ELb0ELb1ES3_N6thrust23THRUST_200600_302600_NS6detail15normal_iteratorINS9_10device_ptrIsEEEESE_sNS9_10multipliesIsEEsEEDaPvRmT3_T4_T5_mT6_P12ihipStream_tbENKUlT_T0_E_clISt17integral_constantIbLb0EESU_EEDaSP_SQ_EUlSP_E0_NS1_11comp_targetILNS1_3genE4ELNS1_11target_archE910ELNS1_3gpuE8ELNS1_3repE0EEENS1_30default_config_static_selectorELNS0_4arch9wavefront6targetE1EEEvT1_,"axG",@progbits,_ZN7rocprim17ROCPRIM_400000_NS6detail17trampoline_kernelINS0_14default_configENS1_20scan_config_selectorIsEEZZNS1_9scan_implILNS1_25lookback_scan_determinismE0ELb0ELb1ES3_N6thrust23THRUST_200600_302600_NS6detail15normal_iteratorINS9_10device_ptrIsEEEESE_sNS9_10multipliesIsEEsEEDaPvRmT3_T4_T5_mT6_P12ihipStream_tbENKUlT_T0_E_clISt17integral_constantIbLb0EESU_EEDaSP_SQ_EUlSP_E0_NS1_11comp_targetILNS1_3genE4ELNS1_11target_archE910ELNS1_3gpuE8ELNS1_3repE0EEENS1_30default_config_static_selectorELNS0_4arch9wavefront6targetE1EEEvT1_,comdat
.Lfunc_end1134:
	.size	_ZN7rocprim17ROCPRIM_400000_NS6detail17trampoline_kernelINS0_14default_configENS1_20scan_config_selectorIsEEZZNS1_9scan_implILNS1_25lookback_scan_determinismE0ELb0ELb1ES3_N6thrust23THRUST_200600_302600_NS6detail15normal_iteratorINS9_10device_ptrIsEEEESE_sNS9_10multipliesIsEEsEEDaPvRmT3_T4_T5_mT6_P12ihipStream_tbENKUlT_T0_E_clISt17integral_constantIbLb0EESU_EEDaSP_SQ_EUlSP_E0_NS1_11comp_targetILNS1_3genE4ELNS1_11target_archE910ELNS1_3gpuE8ELNS1_3repE0EEENS1_30default_config_static_selectorELNS0_4arch9wavefront6targetE1EEEvT1_, .Lfunc_end1134-_ZN7rocprim17ROCPRIM_400000_NS6detail17trampoline_kernelINS0_14default_configENS1_20scan_config_selectorIsEEZZNS1_9scan_implILNS1_25lookback_scan_determinismE0ELb0ELb1ES3_N6thrust23THRUST_200600_302600_NS6detail15normal_iteratorINS9_10device_ptrIsEEEESE_sNS9_10multipliesIsEEsEEDaPvRmT3_T4_T5_mT6_P12ihipStream_tbENKUlT_T0_E_clISt17integral_constantIbLb0EESU_EEDaSP_SQ_EUlSP_E0_NS1_11comp_targetILNS1_3genE4ELNS1_11target_archE910ELNS1_3gpuE8ELNS1_3repE0EEENS1_30default_config_static_selectorELNS0_4arch9wavefront6targetE1EEEvT1_
                                        ; -- End function
	.section	.AMDGPU.csdata,"",@progbits
; Kernel info:
; codeLenInByte = 3252
; NumSgprs: 60
; NumVgprs: 41
; NumAgprs: 0
; TotalNumVgprs: 41
; ScratchSize: 0
; MemoryBound: 0
; FloatMode: 240
; IeeeMode: 1
; LDSByteSize: 3072 bytes/workgroup (compile time only)
; SGPRBlocks: 7
; VGPRBlocks: 5
; NumSGPRsForWavesPerEU: 60
; NumVGPRsForWavesPerEU: 41
; AccumOffset: 44
; Occupancy: 6
; WaveLimiterHint : 0
; COMPUTE_PGM_RSRC2:SCRATCH_EN: 0
; COMPUTE_PGM_RSRC2:USER_SGPR: 6
; COMPUTE_PGM_RSRC2:TRAP_HANDLER: 0
; COMPUTE_PGM_RSRC2:TGID_X_EN: 1
; COMPUTE_PGM_RSRC2:TGID_Y_EN: 0
; COMPUTE_PGM_RSRC2:TGID_Z_EN: 0
; COMPUTE_PGM_RSRC2:TIDIG_COMP_CNT: 0
; COMPUTE_PGM_RSRC3_GFX90A:ACCUM_OFFSET: 10
; COMPUTE_PGM_RSRC3_GFX90A:TG_SPLIT: 0
	.section	.text._ZN7rocprim17ROCPRIM_400000_NS6detail17trampoline_kernelINS0_14default_configENS1_20scan_config_selectorIsEEZZNS1_9scan_implILNS1_25lookback_scan_determinismE0ELb0ELb1ES3_N6thrust23THRUST_200600_302600_NS6detail15normal_iteratorINS9_10device_ptrIsEEEESE_sNS9_10multipliesIsEEsEEDaPvRmT3_T4_T5_mT6_P12ihipStream_tbENKUlT_T0_E_clISt17integral_constantIbLb0EESU_EEDaSP_SQ_EUlSP_E0_NS1_11comp_targetILNS1_3genE3ELNS1_11target_archE908ELNS1_3gpuE7ELNS1_3repE0EEENS1_30default_config_static_selectorELNS0_4arch9wavefront6targetE1EEEvT1_,"axG",@progbits,_ZN7rocprim17ROCPRIM_400000_NS6detail17trampoline_kernelINS0_14default_configENS1_20scan_config_selectorIsEEZZNS1_9scan_implILNS1_25lookback_scan_determinismE0ELb0ELb1ES3_N6thrust23THRUST_200600_302600_NS6detail15normal_iteratorINS9_10device_ptrIsEEEESE_sNS9_10multipliesIsEEsEEDaPvRmT3_T4_T5_mT6_P12ihipStream_tbENKUlT_T0_E_clISt17integral_constantIbLb0EESU_EEDaSP_SQ_EUlSP_E0_NS1_11comp_targetILNS1_3genE3ELNS1_11target_archE908ELNS1_3gpuE7ELNS1_3repE0EEENS1_30default_config_static_selectorELNS0_4arch9wavefront6targetE1EEEvT1_,comdat
	.protected	_ZN7rocprim17ROCPRIM_400000_NS6detail17trampoline_kernelINS0_14default_configENS1_20scan_config_selectorIsEEZZNS1_9scan_implILNS1_25lookback_scan_determinismE0ELb0ELb1ES3_N6thrust23THRUST_200600_302600_NS6detail15normal_iteratorINS9_10device_ptrIsEEEESE_sNS9_10multipliesIsEEsEEDaPvRmT3_T4_T5_mT6_P12ihipStream_tbENKUlT_T0_E_clISt17integral_constantIbLb0EESU_EEDaSP_SQ_EUlSP_E0_NS1_11comp_targetILNS1_3genE3ELNS1_11target_archE908ELNS1_3gpuE7ELNS1_3repE0EEENS1_30default_config_static_selectorELNS0_4arch9wavefront6targetE1EEEvT1_ ; -- Begin function _ZN7rocprim17ROCPRIM_400000_NS6detail17trampoline_kernelINS0_14default_configENS1_20scan_config_selectorIsEEZZNS1_9scan_implILNS1_25lookback_scan_determinismE0ELb0ELb1ES3_N6thrust23THRUST_200600_302600_NS6detail15normal_iteratorINS9_10device_ptrIsEEEESE_sNS9_10multipliesIsEEsEEDaPvRmT3_T4_T5_mT6_P12ihipStream_tbENKUlT_T0_E_clISt17integral_constantIbLb0EESU_EEDaSP_SQ_EUlSP_E0_NS1_11comp_targetILNS1_3genE3ELNS1_11target_archE908ELNS1_3gpuE7ELNS1_3repE0EEENS1_30default_config_static_selectorELNS0_4arch9wavefront6targetE1EEEvT1_
	.globl	_ZN7rocprim17ROCPRIM_400000_NS6detail17trampoline_kernelINS0_14default_configENS1_20scan_config_selectorIsEEZZNS1_9scan_implILNS1_25lookback_scan_determinismE0ELb0ELb1ES3_N6thrust23THRUST_200600_302600_NS6detail15normal_iteratorINS9_10device_ptrIsEEEESE_sNS9_10multipliesIsEEsEEDaPvRmT3_T4_T5_mT6_P12ihipStream_tbENKUlT_T0_E_clISt17integral_constantIbLb0EESU_EEDaSP_SQ_EUlSP_E0_NS1_11comp_targetILNS1_3genE3ELNS1_11target_archE908ELNS1_3gpuE7ELNS1_3repE0EEENS1_30default_config_static_selectorELNS0_4arch9wavefront6targetE1EEEvT1_
	.p2align	8
	.type	_ZN7rocprim17ROCPRIM_400000_NS6detail17trampoline_kernelINS0_14default_configENS1_20scan_config_selectorIsEEZZNS1_9scan_implILNS1_25lookback_scan_determinismE0ELb0ELb1ES3_N6thrust23THRUST_200600_302600_NS6detail15normal_iteratorINS9_10device_ptrIsEEEESE_sNS9_10multipliesIsEEsEEDaPvRmT3_T4_T5_mT6_P12ihipStream_tbENKUlT_T0_E_clISt17integral_constantIbLb0EESU_EEDaSP_SQ_EUlSP_E0_NS1_11comp_targetILNS1_3genE3ELNS1_11target_archE908ELNS1_3gpuE7ELNS1_3repE0EEENS1_30default_config_static_selectorELNS0_4arch9wavefront6targetE1EEEvT1_,@function
_ZN7rocprim17ROCPRIM_400000_NS6detail17trampoline_kernelINS0_14default_configENS1_20scan_config_selectorIsEEZZNS1_9scan_implILNS1_25lookback_scan_determinismE0ELb0ELb1ES3_N6thrust23THRUST_200600_302600_NS6detail15normal_iteratorINS9_10device_ptrIsEEEESE_sNS9_10multipliesIsEEsEEDaPvRmT3_T4_T5_mT6_P12ihipStream_tbENKUlT_T0_E_clISt17integral_constantIbLb0EESU_EEDaSP_SQ_EUlSP_E0_NS1_11comp_targetILNS1_3genE3ELNS1_11target_archE908ELNS1_3gpuE7ELNS1_3repE0EEENS1_30default_config_static_selectorELNS0_4arch9wavefront6targetE1EEEvT1_: ; @_ZN7rocprim17ROCPRIM_400000_NS6detail17trampoline_kernelINS0_14default_configENS1_20scan_config_selectorIsEEZZNS1_9scan_implILNS1_25lookback_scan_determinismE0ELb0ELb1ES3_N6thrust23THRUST_200600_302600_NS6detail15normal_iteratorINS9_10device_ptrIsEEEESE_sNS9_10multipliesIsEEsEEDaPvRmT3_T4_T5_mT6_P12ihipStream_tbENKUlT_T0_E_clISt17integral_constantIbLb0EESU_EEDaSP_SQ_EUlSP_E0_NS1_11comp_targetILNS1_3genE3ELNS1_11target_archE908ELNS1_3gpuE7ELNS1_3repE0EEENS1_30default_config_static_selectorELNS0_4arch9wavefront6targetE1EEEvT1_
; %bb.0:
	.section	.rodata,"a",@progbits
	.p2align	6, 0x0
	.amdhsa_kernel _ZN7rocprim17ROCPRIM_400000_NS6detail17trampoline_kernelINS0_14default_configENS1_20scan_config_selectorIsEEZZNS1_9scan_implILNS1_25lookback_scan_determinismE0ELb0ELb1ES3_N6thrust23THRUST_200600_302600_NS6detail15normal_iteratorINS9_10device_ptrIsEEEESE_sNS9_10multipliesIsEEsEEDaPvRmT3_T4_T5_mT6_P12ihipStream_tbENKUlT_T0_E_clISt17integral_constantIbLb0EESU_EEDaSP_SQ_EUlSP_E0_NS1_11comp_targetILNS1_3genE3ELNS1_11target_archE908ELNS1_3gpuE7ELNS1_3repE0EEENS1_30default_config_static_selectorELNS0_4arch9wavefront6targetE1EEEvT1_
		.amdhsa_group_segment_fixed_size 0
		.amdhsa_private_segment_fixed_size 0
		.amdhsa_kernarg_size 32
		.amdhsa_user_sgpr_count 6
		.amdhsa_user_sgpr_private_segment_buffer 1
		.amdhsa_user_sgpr_dispatch_ptr 0
		.amdhsa_user_sgpr_queue_ptr 0
		.amdhsa_user_sgpr_kernarg_segment_ptr 1
		.amdhsa_user_sgpr_dispatch_id 0
		.amdhsa_user_sgpr_flat_scratch_init 0
		.amdhsa_user_sgpr_kernarg_preload_length 0
		.amdhsa_user_sgpr_kernarg_preload_offset 0
		.amdhsa_user_sgpr_private_segment_size 0
		.amdhsa_uses_dynamic_stack 0
		.amdhsa_system_sgpr_private_segment_wavefront_offset 0
		.amdhsa_system_sgpr_workgroup_id_x 1
		.amdhsa_system_sgpr_workgroup_id_y 0
		.amdhsa_system_sgpr_workgroup_id_z 0
		.amdhsa_system_sgpr_workgroup_info 0
		.amdhsa_system_vgpr_workitem_id 0
		.amdhsa_next_free_vgpr 1
		.amdhsa_next_free_sgpr 0
		.amdhsa_accum_offset 4
		.amdhsa_reserve_vcc 0
		.amdhsa_reserve_flat_scratch 0
		.amdhsa_float_round_mode_32 0
		.amdhsa_float_round_mode_16_64 0
		.amdhsa_float_denorm_mode_32 3
		.amdhsa_float_denorm_mode_16_64 3
		.amdhsa_dx10_clamp 1
		.amdhsa_ieee_mode 1
		.amdhsa_fp16_overflow 0
		.amdhsa_tg_split 0
		.amdhsa_exception_fp_ieee_invalid_op 0
		.amdhsa_exception_fp_denorm_src 0
		.amdhsa_exception_fp_ieee_div_zero 0
		.amdhsa_exception_fp_ieee_overflow 0
		.amdhsa_exception_fp_ieee_underflow 0
		.amdhsa_exception_fp_ieee_inexact 0
		.amdhsa_exception_int_div_zero 0
	.end_amdhsa_kernel
	.section	.text._ZN7rocprim17ROCPRIM_400000_NS6detail17trampoline_kernelINS0_14default_configENS1_20scan_config_selectorIsEEZZNS1_9scan_implILNS1_25lookback_scan_determinismE0ELb0ELb1ES3_N6thrust23THRUST_200600_302600_NS6detail15normal_iteratorINS9_10device_ptrIsEEEESE_sNS9_10multipliesIsEEsEEDaPvRmT3_T4_T5_mT6_P12ihipStream_tbENKUlT_T0_E_clISt17integral_constantIbLb0EESU_EEDaSP_SQ_EUlSP_E0_NS1_11comp_targetILNS1_3genE3ELNS1_11target_archE908ELNS1_3gpuE7ELNS1_3repE0EEENS1_30default_config_static_selectorELNS0_4arch9wavefront6targetE1EEEvT1_,"axG",@progbits,_ZN7rocprim17ROCPRIM_400000_NS6detail17trampoline_kernelINS0_14default_configENS1_20scan_config_selectorIsEEZZNS1_9scan_implILNS1_25lookback_scan_determinismE0ELb0ELb1ES3_N6thrust23THRUST_200600_302600_NS6detail15normal_iteratorINS9_10device_ptrIsEEEESE_sNS9_10multipliesIsEEsEEDaPvRmT3_T4_T5_mT6_P12ihipStream_tbENKUlT_T0_E_clISt17integral_constantIbLb0EESU_EEDaSP_SQ_EUlSP_E0_NS1_11comp_targetILNS1_3genE3ELNS1_11target_archE908ELNS1_3gpuE7ELNS1_3repE0EEENS1_30default_config_static_selectorELNS0_4arch9wavefront6targetE1EEEvT1_,comdat
.Lfunc_end1135:
	.size	_ZN7rocprim17ROCPRIM_400000_NS6detail17trampoline_kernelINS0_14default_configENS1_20scan_config_selectorIsEEZZNS1_9scan_implILNS1_25lookback_scan_determinismE0ELb0ELb1ES3_N6thrust23THRUST_200600_302600_NS6detail15normal_iteratorINS9_10device_ptrIsEEEESE_sNS9_10multipliesIsEEsEEDaPvRmT3_T4_T5_mT6_P12ihipStream_tbENKUlT_T0_E_clISt17integral_constantIbLb0EESU_EEDaSP_SQ_EUlSP_E0_NS1_11comp_targetILNS1_3genE3ELNS1_11target_archE908ELNS1_3gpuE7ELNS1_3repE0EEENS1_30default_config_static_selectorELNS0_4arch9wavefront6targetE1EEEvT1_, .Lfunc_end1135-_ZN7rocprim17ROCPRIM_400000_NS6detail17trampoline_kernelINS0_14default_configENS1_20scan_config_selectorIsEEZZNS1_9scan_implILNS1_25lookback_scan_determinismE0ELb0ELb1ES3_N6thrust23THRUST_200600_302600_NS6detail15normal_iteratorINS9_10device_ptrIsEEEESE_sNS9_10multipliesIsEEsEEDaPvRmT3_T4_T5_mT6_P12ihipStream_tbENKUlT_T0_E_clISt17integral_constantIbLb0EESU_EEDaSP_SQ_EUlSP_E0_NS1_11comp_targetILNS1_3genE3ELNS1_11target_archE908ELNS1_3gpuE7ELNS1_3repE0EEENS1_30default_config_static_selectorELNS0_4arch9wavefront6targetE1EEEvT1_
                                        ; -- End function
	.section	.AMDGPU.csdata,"",@progbits
; Kernel info:
; codeLenInByte = 0
; NumSgprs: 4
; NumVgprs: 0
; NumAgprs: 0
; TotalNumVgprs: 0
; ScratchSize: 0
; MemoryBound: 0
; FloatMode: 240
; IeeeMode: 1
; LDSByteSize: 0 bytes/workgroup (compile time only)
; SGPRBlocks: 0
; VGPRBlocks: 0
; NumSGPRsForWavesPerEU: 4
; NumVGPRsForWavesPerEU: 1
; AccumOffset: 4
; Occupancy: 8
; WaveLimiterHint : 0
; COMPUTE_PGM_RSRC2:SCRATCH_EN: 0
; COMPUTE_PGM_RSRC2:USER_SGPR: 6
; COMPUTE_PGM_RSRC2:TRAP_HANDLER: 0
; COMPUTE_PGM_RSRC2:TGID_X_EN: 1
; COMPUTE_PGM_RSRC2:TGID_Y_EN: 0
; COMPUTE_PGM_RSRC2:TGID_Z_EN: 0
; COMPUTE_PGM_RSRC2:TIDIG_COMP_CNT: 0
; COMPUTE_PGM_RSRC3_GFX90A:ACCUM_OFFSET: 0
; COMPUTE_PGM_RSRC3_GFX90A:TG_SPLIT: 0
	.section	.text._ZN7rocprim17ROCPRIM_400000_NS6detail17trampoline_kernelINS0_14default_configENS1_20scan_config_selectorIsEEZZNS1_9scan_implILNS1_25lookback_scan_determinismE0ELb0ELb1ES3_N6thrust23THRUST_200600_302600_NS6detail15normal_iteratorINS9_10device_ptrIsEEEESE_sNS9_10multipliesIsEEsEEDaPvRmT3_T4_T5_mT6_P12ihipStream_tbENKUlT_T0_E_clISt17integral_constantIbLb0EESU_EEDaSP_SQ_EUlSP_E0_NS1_11comp_targetILNS1_3genE2ELNS1_11target_archE906ELNS1_3gpuE6ELNS1_3repE0EEENS1_30default_config_static_selectorELNS0_4arch9wavefront6targetE1EEEvT1_,"axG",@progbits,_ZN7rocprim17ROCPRIM_400000_NS6detail17trampoline_kernelINS0_14default_configENS1_20scan_config_selectorIsEEZZNS1_9scan_implILNS1_25lookback_scan_determinismE0ELb0ELb1ES3_N6thrust23THRUST_200600_302600_NS6detail15normal_iteratorINS9_10device_ptrIsEEEESE_sNS9_10multipliesIsEEsEEDaPvRmT3_T4_T5_mT6_P12ihipStream_tbENKUlT_T0_E_clISt17integral_constantIbLb0EESU_EEDaSP_SQ_EUlSP_E0_NS1_11comp_targetILNS1_3genE2ELNS1_11target_archE906ELNS1_3gpuE6ELNS1_3repE0EEENS1_30default_config_static_selectorELNS0_4arch9wavefront6targetE1EEEvT1_,comdat
	.protected	_ZN7rocprim17ROCPRIM_400000_NS6detail17trampoline_kernelINS0_14default_configENS1_20scan_config_selectorIsEEZZNS1_9scan_implILNS1_25lookback_scan_determinismE0ELb0ELb1ES3_N6thrust23THRUST_200600_302600_NS6detail15normal_iteratorINS9_10device_ptrIsEEEESE_sNS9_10multipliesIsEEsEEDaPvRmT3_T4_T5_mT6_P12ihipStream_tbENKUlT_T0_E_clISt17integral_constantIbLb0EESU_EEDaSP_SQ_EUlSP_E0_NS1_11comp_targetILNS1_3genE2ELNS1_11target_archE906ELNS1_3gpuE6ELNS1_3repE0EEENS1_30default_config_static_selectorELNS0_4arch9wavefront6targetE1EEEvT1_ ; -- Begin function _ZN7rocprim17ROCPRIM_400000_NS6detail17trampoline_kernelINS0_14default_configENS1_20scan_config_selectorIsEEZZNS1_9scan_implILNS1_25lookback_scan_determinismE0ELb0ELb1ES3_N6thrust23THRUST_200600_302600_NS6detail15normal_iteratorINS9_10device_ptrIsEEEESE_sNS9_10multipliesIsEEsEEDaPvRmT3_T4_T5_mT6_P12ihipStream_tbENKUlT_T0_E_clISt17integral_constantIbLb0EESU_EEDaSP_SQ_EUlSP_E0_NS1_11comp_targetILNS1_3genE2ELNS1_11target_archE906ELNS1_3gpuE6ELNS1_3repE0EEENS1_30default_config_static_selectorELNS0_4arch9wavefront6targetE1EEEvT1_
	.globl	_ZN7rocprim17ROCPRIM_400000_NS6detail17trampoline_kernelINS0_14default_configENS1_20scan_config_selectorIsEEZZNS1_9scan_implILNS1_25lookback_scan_determinismE0ELb0ELb1ES3_N6thrust23THRUST_200600_302600_NS6detail15normal_iteratorINS9_10device_ptrIsEEEESE_sNS9_10multipliesIsEEsEEDaPvRmT3_T4_T5_mT6_P12ihipStream_tbENKUlT_T0_E_clISt17integral_constantIbLb0EESU_EEDaSP_SQ_EUlSP_E0_NS1_11comp_targetILNS1_3genE2ELNS1_11target_archE906ELNS1_3gpuE6ELNS1_3repE0EEENS1_30default_config_static_selectorELNS0_4arch9wavefront6targetE1EEEvT1_
	.p2align	8
	.type	_ZN7rocprim17ROCPRIM_400000_NS6detail17trampoline_kernelINS0_14default_configENS1_20scan_config_selectorIsEEZZNS1_9scan_implILNS1_25lookback_scan_determinismE0ELb0ELb1ES3_N6thrust23THRUST_200600_302600_NS6detail15normal_iteratorINS9_10device_ptrIsEEEESE_sNS9_10multipliesIsEEsEEDaPvRmT3_T4_T5_mT6_P12ihipStream_tbENKUlT_T0_E_clISt17integral_constantIbLb0EESU_EEDaSP_SQ_EUlSP_E0_NS1_11comp_targetILNS1_3genE2ELNS1_11target_archE906ELNS1_3gpuE6ELNS1_3repE0EEENS1_30default_config_static_selectorELNS0_4arch9wavefront6targetE1EEEvT1_,@function
_ZN7rocprim17ROCPRIM_400000_NS6detail17trampoline_kernelINS0_14default_configENS1_20scan_config_selectorIsEEZZNS1_9scan_implILNS1_25lookback_scan_determinismE0ELb0ELb1ES3_N6thrust23THRUST_200600_302600_NS6detail15normal_iteratorINS9_10device_ptrIsEEEESE_sNS9_10multipliesIsEEsEEDaPvRmT3_T4_T5_mT6_P12ihipStream_tbENKUlT_T0_E_clISt17integral_constantIbLb0EESU_EEDaSP_SQ_EUlSP_E0_NS1_11comp_targetILNS1_3genE2ELNS1_11target_archE906ELNS1_3gpuE6ELNS1_3repE0EEENS1_30default_config_static_selectorELNS0_4arch9wavefront6targetE1EEEvT1_: ; @_ZN7rocprim17ROCPRIM_400000_NS6detail17trampoline_kernelINS0_14default_configENS1_20scan_config_selectorIsEEZZNS1_9scan_implILNS1_25lookback_scan_determinismE0ELb0ELb1ES3_N6thrust23THRUST_200600_302600_NS6detail15normal_iteratorINS9_10device_ptrIsEEEESE_sNS9_10multipliesIsEEsEEDaPvRmT3_T4_T5_mT6_P12ihipStream_tbENKUlT_T0_E_clISt17integral_constantIbLb0EESU_EEDaSP_SQ_EUlSP_E0_NS1_11comp_targetILNS1_3genE2ELNS1_11target_archE906ELNS1_3gpuE6ELNS1_3repE0EEENS1_30default_config_static_selectorELNS0_4arch9wavefront6targetE1EEEvT1_
; %bb.0:
	.section	.rodata,"a",@progbits
	.p2align	6, 0x0
	.amdhsa_kernel _ZN7rocprim17ROCPRIM_400000_NS6detail17trampoline_kernelINS0_14default_configENS1_20scan_config_selectorIsEEZZNS1_9scan_implILNS1_25lookback_scan_determinismE0ELb0ELb1ES3_N6thrust23THRUST_200600_302600_NS6detail15normal_iteratorINS9_10device_ptrIsEEEESE_sNS9_10multipliesIsEEsEEDaPvRmT3_T4_T5_mT6_P12ihipStream_tbENKUlT_T0_E_clISt17integral_constantIbLb0EESU_EEDaSP_SQ_EUlSP_E0_NS1_11comp_targetILNS1_3genE2ELNS1_11target_archE906ELNS1_3gpuE6ELNS1_3repE0EEENS1_30default_config_static_selectorELNS0_4arch9wavefront6targetE1EEEvT1_
		.amdhsa_group_segment_fixed_size 0
		.amdhsa_private_segment_fixed_size 0
		.amdhsa_kernarg_size 32
		.amdhsa_user_sgpr_count 6
		.amdhsa_user_sgpr_private_segment_buffer 1
		.amdhsa_user_sgpr_dispatch_ptr 0
		.amdhsa_user_sgpr_queue_ptr 0
		.amdhsa_user_sgpr_kernarg_segment_ptr 1
		.amdhsa_user_sgpr_dispatch_id 0
		.amdhsa_user_sgpr_flat_scratch_init 0
		.amdhsa_user_sgpr_kernarg_preload_length 0
		.amdhsa_user_sgpr_kernarg_preload_offset 0
		.amdhsa_user_sgpr_private_segment_size 0
		.amdhsa_uses_dynamic_stack 0
		.amdhsa_system_sgpr_private_segment_wavefront_offset 0
		.amdhsa_system_sgpr_workgroup_id_x 1
		.amdhsa_system_sgpr_workgroup_id_y 0
		.amdhsa_system_sgpr_workgroup_id_z 0
		.amdhsa_system_sgpr_workgroup_info 0
		.amdhsa_system_vgpr_workitem_id 0
		.amdhsa_next_free_vgpr 1
		.amdhsa_next_free_sgpr 0
		.amdhsa_accum_offset 4
		.amdhsa_reserve_vcc 0
		.amdhsa_reserve_flat_scratch 0
		.amdhsa_float_round_mode_32 0
		.amdhsa_float_round_mode_16_64 0
		.amdhsa_float_denorm_mode_32 3
		.amdhsa_float_denorm_mode_16_64 3
		.amdhsa_dx10_clamp 1
		.amdhsa_ieee_mode 1
		.amdhsa_fp16_overflow 0
		.amdhsa_tg_split 0
		.amdhsa_exception_fp_ieee_invalid_op 0
		.amdhsa_exception_fp_denorm_src 0
		.amdhsa_exception_fp_ieee_div_zero 0
		.amdhsa_exception_fp_ieee_overflow 0
		.amdhsa_exception_fp_ieee_underflow 0
		.amdhsa_exception_fp_ieee_inexact 0
		.amdhsa_exception_int_div_zero 0
	.end_amdhsa_kernel
	.section	.text._ZN7rocprim17ROCPRIM_400000_NS6detail17trampoline_kernelINS0_14default_configENS1_20scan_config_selectorIsEEZZNS1_9scan_implILNS1_25lookback_scan_determinismE0ELb0ELb1ES3_N6thrust23THRUST_200600_302600_NS6detail15normal_iteratorINS9_10device_ptrIsEEEESE_sNS9_10multipliesIsEEsEEDaPvRmT3_T4_T5_mT6_P12ihipStream_tbENKUlT_T0_E_clISt17integral_constantIbLb0EESU_EEDaSP_SQ_EUlSP_E0_NS1_11comp_targetILNS1_3genE2ELNS1_11target_archE906ELNS1_3gpuE6ELNS1_3repE0EEENS1_30default_config_static_selectorELNS0_4arch9wavefront6targetE1EEEvT1_,"axG",@progbits,_ZN7rocprim17ROCPRIM_400000_NS6detail17trampoline_kernelINS0_14default_configENS1_20scan_config_selectorIsEEZZNS1_9scan_implILNS1_25lookback_scan_determinismE0ELb0ELb1ES3_N6thrust23THRUST_200600_302600_NS6detail15normal_iteratorINS9_10device_ptrIsEEEESE_sNS9_10multipliesIsEEsEEDaPvRmT3_T4_T5_mT6_P12ihipStream_tbENKUlT_T0_E_clISt17integral_constantIbLb0EESU_EEDaSP_SQ_EUlSP_E0_NS1_11comp_targetILNS1_3genE2ELNS1_11target_archE906ELNS1_3gpuE6ELNS1_3repE0EEENS1_30default_config_static_selectorELNS0_4arch9wavefront6targetE1EEEvT1_,comdat
.Lfunc_end1136:
	.size	_ZN7rocprim17ROCPRIM_400000_NS6detail17trampoline_kernelINS0_14default_configENS1_20scan_config_selectorIsEEZZNS1_9scan_implILNS1_25lookback_scan_determinismE0ELb0ELb1ES3_N6thrust23THRUST_200600_302600_NS6detail15normal_iteratorINS9_10device_ptrIsEEEESE_sNS9_10multipliesIsEEsEEDaPvRmT3_T4_T5_mT6_P12ihipStream_tbENKUlT_T0_E_clISt17integral_constantIbLb0EESU_EEDaSP_SQ_EUlSP_E0_NS1_11comp_targetILNS1_3genE2ELNS1_11target_archE906ELNS1_3gpuE6ELNS1_3repE0EEENS1_30default_config_static_selectorELNS0_4arch9wavefront6targetE1EEEvT1_, .Lfunc_end1136-_ZN7rocprim17ROCPRIM_400000_NS6detail17trampoline_kernelINS0_14default_configENS1_20scan_config_selectorIsEEZZNS1_9scan_implILNS1_25lookback_scan_determinismE0ELb0ELb1ES3_N6thrust23THRUST_200600_302600_NS6detail15normal_iteratorINS9_10device_ptrIsEEEESE_sNS9_10multipliesIsEEsEEDaPvRmT3_T4_T5_mT6_P12ihipStream_tbENKUlT_T0_E_clISt17integral_constantIbLb0EESU_EEDaSP_SQ_EUlSP_E0_NS1_11comp_targetILNS1_3genE2ELNS1_11target_archE906ELNS1_3gpuE6ELNS1_3repE0EEENS1_30default_config_static_selectorELNS0_4arch9wavefront6targetE1EEEvT1_
                                        ; -- End function
	.section	.AMDGPU.csdata,"",@progbits
; Kernel info:
; codeLenInByte = 0
; NumSgprs: 4
; NumVgprs: 0
; NumAgprs: 0
; TotalNumVgprs: 0
; ScratchSize: 0
; MemoryBound: 0
; FloatMode: 240
; IeeeMode: 1
; LDSByteSize: 0 bytes/workgroup (compile time only)
; SGPRBlocks: 0
; VGPRBlocks: 0
; NumSGPRsForWavesPerEU: 4
; NumVGPRsForWavesPerEU: 1
; AccumOffset: 4
; Occupancy: 8
; WaveLimiterHint : 0
; COMPUTE_PGM_RSRC2:SCRATCH_EN: 0
; COMPUTE_PGM_RSRC2:USER_SGPR: 6
; COMPUTE_PGM_RSRC2:TRAP_HANDLER: 0
; COMPUTE_PGM_RSRC2:TGID_X_EN: 1
; COMPUTE_PGM_RSRC2:TGID_Y_EN: 0
; COMPUTE_PGM_RSRC2:TGID_Z_EN: 0
; COMPUTE_PGM_RSRC2:TIDIG_COMP_CNT: 0
; COMPUTE_PGM_RSRC3_GFX90A:ACCUM_OFFSET: 0
; COMPUTE_PGM_RSRC3_GFX90A:TG_SPLIT: 0
	.section	.text._ZN7rocprim17ROCPRIM_400000_NS6detail17trampoline_kernelINS0_14default_configENS1_20scan_config_selectorIsEEZZNS1_9scan_implILNS1_25lookback_scan_determinismE0ELb0ELb1ES3_N6thrust23THRUST_200600_302600_NS6detail15normal_iteratorINS9_10device_ptrIsEEEESE_sNS9_10multipliesIsEEsEEDaPvRmT3_T4_T5_mT6_P12ihipStream_tbENKUlT_T0_E_clISt17integral_constantIbLb0EESU_EEDaSP_SQ_EUlSP_E0_NS1_11comp_targetILNS1_3genE10ELNS1_11target_archE1201ELNS1_3gpuE5ELNS1_3repE0EEENS1_30default_config_static_selectorELNS0_4arch9wavefront6targetE1EEEvT1_,"axG",@progbits,_ZN7rocprim17ROCPRIM_400000_NS6detail17trampoline_kernelINS0_14default_configENS1_20scan_config_selectorIsEEZZNS1_9scan_implILNS1_25lookback_scan_determinismE0ELb0ELb1ES3_N6thrust23THRUST_200600_302600_NS6detail15normal_iteratorINS9_10device_ptrIsEEEESE_sNS9_10multipliesIsEEsEEDaPvRmT3_T4_T5_mT6_P12ihipStream_tbENKUlT_T0_E_clISt17integral_constantIbLb0EESU_EEDaSP_SQ_EUlSP_E0_NS1_11comp_targetILNS1_3genE10ELNS1_11target_archE1201ELNS1_3gpuE5ELNS1_3repE0EEENS1_30default_config_static_selectorELNS0_4arch9wavefront6targetE1EEEvT1_,comdat
	.protected	_ZN7rocprim17ROCPRIM_400000_NS6detail17trampoline_kernelINS0_14default_configENS1_20scan_config_selectorIsEEZZNS1_9scan_implILNS1_25lookback_scan_determinismE0ELb0ELb1ES3_N6thrust23THRUST_200600_302600_NS6detail15normal_iteratorINS9_10device_ptrIsEEEESE_sNS9_10multipliesIsEEsEEDaPvRmT3_T4_T5_mT6_P12ihipStream_tbENKUlT_T0_E_clISt17integral_constantIbLb0EESU_EEDaSP_SQ_EUlSP_E0_NS1_11comp_targetILNS1_3genE10ELNS1_11target_archE1201ELNS1_3gpuE5ELNS1_3repE0EEENS1_30default_config_static_selectorELNS0_4arch9wavefront6targetE1EEEvT1_ ; -- Begin function _ZN7rocprim17ROCPRIM_400000_NS6detail17trampoline_kernelINS0_14default_configENS1_20scan_config_selectorIsEEZZNS1_9scan_implILNS1_25lookback_scan_determinismE0ELb0ELb1ES3_N6thrust23THRUST_200600_302600_NS6detail15normal_iteratorINS9_10device_ptrIsEEEESE_sNS9_10multipliesIsEEsEEDaPvRmT3_T4_T5_mT6_P12ihipStream_tbENKUlT_T0_E_clISt17integral_constantIbLb0EESU_EEDaSP_SQ_EUlSP_E0_NS1_11comp_targetILNS1_3genE10ELNS1_11target_archE1201ELNS1_3gpuE5ELNS1_3repE0EEENS1_30default_config_static_selectorELNS0_4arch9wavefront6targetE1EEEvT1_
	.globl	_ZN7rocprim17ROCPRIM_400000_NS6detail17trampoline_kernelINS0_14default_configENS1_20scan_config_selectorIsEEZZNS1_9scan_implILNS1_25lookback_scan_determinismE0ELb0ELb1ES3_N6thrust23THRUST_200600_302600_NS6detail15normal_iteratorINS9_10device_ptrIsEEEESE_sNS9_10multipliesIsEEsEEDaPvRmT3_T4_T5_mT6_P12ihipStream_tbENKUlT_T0_E_clISt17integral_constantIbLb0EESU_EEDaSP_SQ_EUlSP_E0_NS1_11comp_targetILNS1_3genE10ELNS1_11target_archE1201ELNS1_3gpuE5ELNS1_3repE0EEENS1_30default_config_static_selectorELNS0_4arch9wavefront6targetE1EEEvT1_
	.p2align	8
	.type	_ZN7rocprim17ROCPRIM_400000_NS6detail17trampoline_kernelINS0_14default_configENS1_20scan_config_selectorIsEEZZNS1_9scan_implILNS1_25lookback_scan_determinismE0ELb0ELb1ES3_N6thrust23THRUST_200600_302600_NS6detail15normal_iteratorINS9_10device_ptrIsEEEESE_sNS9_10multipliesIsEEsEEDaPvRmT3_T4_T5_mT6_P12ihipStream_tbENKUlT_T0_E_clISt17integral_constantIbLb0EESU_EEDaSP_SQ_EUlSP_E0_NS1_11comp_targetILNS1_3genE10ELNS1_11target_archE1201ELNS1_3gpuE5ELNS1_3repE0EEENS1_30default_config_static_selectorELNS0_4arch9wavefront6targetE1EEEvT1_,@function
_ZN7rocprim17ROCPRIM_400000_NS6detail17trampoline_kernelINS0_14default_configENS1_20scan_config_selectorIsEEZZNS1_9scan_implILNS1_25lookback_scan_determinismE0ELb0ELb1ES3_N6thrust23THRUST_200600_302600_NS6detail15normal_iteratorINS9_10device_ptrIsEEEESE_sNS9_10multipliesIsEEsEEDaPvRmT3_T4_T5_mT6_P12ihipStream_tbENKUlT_T0_E_clISt17integral_constantIbLb0EESU_EEDaSP_SQ_EUlSP_E0_NS1_11comp_targetILNS1_3genE10ELNS1_11target_archE1201ELNS1_3gpuE5ELNS1_3repE0EEENS1_30default_config_static_selectorELNS0_4arch9wavefront6targetE1EEEvT1_: ; @_ZN7rocprim17ROCPRIM_400000_NS6detail17trampoline_kernelINS0_14default_configENS1_20scan_config_selectorIsEEZZNS1_9scan_implILNS1_25lookback_scan_determinismE0ELb0ELb1ES3_N6thrust23THRUST_200600_302600_NS6detail15normal_iteratorINS9_10device_ptrIsEEEESE_sNS9_10multipliesIsEEsEEDaPvRmT3_T4_T5_mT6_P12ihipStream_tbENKUlT_T0_E_clISt17integral_constantIbLb0EESU_EEDaSP_SQ_EUlSP_E0_NS1_11comp_targetILNS1_3genE10ELNS1_11target_archE1201ELNS1_3gpuE5ELNS1_3repE0EEENS1_30default_config_static_selectorELNS0_4arch9wavefront6targetE1EEEvT1_
; %bb.0:
	.section	.rodata,"a",@progbits
	.p2align	6, 0x0
	.amdhsa_kernel _ZN7rocprim17ROCPRIM_400000_NS6detail17trampoline_kernelINS0_14default_configENS1_20scan_config_selectorIsEEZZNS1_9scan_implILNS1_25lookback_scan_determinismE0ELb0ELb1ES3_N6thrust23THRUST_200600_302600_NS6detail15normal_iteratorINS9_10device_ptrIsEEEESE_sNS9_10multipliesIsEEsEEDaPvRmT3_T4_T5_mT6_P12ihipStream_tbENKUlT_T0_E_clISt17integral_constantIbLb0EESU_EEDaSP_SQ_EUlSP_E0_NS1_11comp_targetILNS1_3genE10ELNS1_11target_archE1201ELNS1_3gpuE5ELNS1_3repE0EEENS1_30default_config_static_selectorELNS0_4arch9wavefront6targetE1EEEvT1_
		.amdhsa_group_segment_fixed_size 0
		.amdhsa_private_segment_fixed_size 0
		.amdhsa_kernarg_size 32
		.amdhsa_user_sgpr_count 6
		.amdhsa_user_sgpr_private_segment_buffer 1
		.amdhsa_user_sgpr_dispatch_ptr 0
		.amdhsa_user_sgpr_queue_ptr 0
		.amdhsa_user_sgpr_kernarg_segment_ptr 1
		.amdhsa_user_sgpr_dispatch_id 0
		.amdhsa_user_sgpr_flat_scratch_init 0
		.amdhsa_user_sgpr_kernarg_preload_length 0
		.amdhsa_user_sgpr_kernarg_preload_offset 0
		.amdhsa_user_sgpr_private_segment_size 0
		.amdhsa_uses_dynamic_stack 0
		.amdhsa_system_sgpr_private_segment_wavefront_offset 0
		.amdhsa_system_sgpr_workgroup_id_x 1
		.amdhsa_system_sgpr_workgroup_id_y 0
		.amdhsa_system_sgpr_workgroup_id_z 0
		.amdhsa_system_sgpr_workgroup_info 0
		.amdhsa_system_vgpr_workitem_id 0
		.amdhsa_next_free_vgpr 1
		.amdhsa_next_free_sgpr 0
		.amdhsa_accum_offset 4
		.amdhsa_reserve_vcc 0
		.amdhsa_reserve_flat_scratch 0
		.amdhsa_float_round_mode_32 0
		.amdhsa_float_round_mode_16_64 0
		.amdhsa_float_denorm_mode_32 3
		.amdhsa_float_denorm_mode_16_64 3
		.amdhsa_dx10_clamp 1
		.amdhsa_ieee_mode 1
		.amdhsa_fp16_overflow 0
		.amdhsa_tg_split 0
		.amdhsa_exception_fp_ieee_invalid_op 0
		.amdhsa_exception_fp_denorm_src 0
		.amdhsa_exception_fp_ieee_div_zero 0
		.amdhsa_exception_fp_ieee_overflow 0
		.amdhsa_exception_fp_ieee_underflow 0
		.amdhsa_exception_fp_ieee_inexact 0
		.amdhsa_exception_int_div_zero 0
	.end_amdhsa_kernel
	.section	.text._ZN7rocprim17ROCPRIM_400000_NS6detail17trampoline_kernelINS0_14default_configENS1_20scan_config_selectorIsEEZZNS1_9scan_implILNS1_25lookback_scan_determinismE0ELb0ELb1ES3_N6thrust23THRUST_200600_302600_NS6detail15normal_iteratorINS9_10device_ptrIsEEEESE_sNS9_10multipliesIsEEsEEDaPvRmT3_T4_T5_mT6_P12ihipStream_tbENKUlT_T0_E_clISt17integral_constantIbLb0EESU_EEDaSP_SQ_EUlSP_E0_NS1_11comp_targetILNS1_3genE10ELNS1_11target_archE1201ELNS1_3gpuE5ELNS1_3repE0EEENS1_30default_config_static_selectorELNS0_4arch9wavefront6targetE1EEEvT1_,"axG",@progbits,_ZN7rocprim17ROCPRIM_400000_NS6detail17trampoline_kernelINS0_14default_configENS1_20scan_config_selectorIsEEZZNS1_9scan_implILNS1_25lookback_scan_determinismE0ELb0ELb1ES3_N6thrust23THRUST_200600_302600_NS6detail15normal_iteratorINS9_10device_ptrIsEEEESE_sNS9_10multipliesIsEEsEEDaPvRmT3_T4_T5_mT6_P12ihipStream_tbENKUlT_T0_E_clISt17integral_constantIbLb0EESU_EEDaSP_SQ_EUlSP_E0_NS1_11comp_targetILNS1_3genE10ELNS1_11target_archE1201ELNS1_3gpuE5ELNS1_3repE0EEENS1_30default_config_static_selectorELNS0_4arch9wavefront6targetE1EEEvT1_,comdat
.Lfunc_end1137:
	.size	_ZN7rocprim17ROCPRIM_400000_NS6detail17trampoline_kernelINS0_14default_configENS1_20scan_config_selectorIsEEZZNS1_9scan_implILNS1_25lookback_scan_determinismE0ELb0ELb1ES3_N6thrust23THRUST_200600_302600_NS6detail15normal_iteratorINS9_10device_ptrIsEEEESE_sNS9_10multipliesIsEEsEEDaPvRmT3_T4_T5_mT6_P12ihipStream_tbENKUlT_T0_E_clISt17integral_constantIbLb0EESU_EEDaSP_SQ_EUlSP_E0_NS1_11comp_targetILNS1_3genE10ELNS1_11target_archE1201ELNS1_3gpuE5ELNS1_3repE0EEENS1_30default_config_static_selectorELNS0_4arch9wavefront6targetE1EEEvT1_, .Lfunc_end1137-_ZN7rocprim17ROCPRIM_400000_NS6detail17trampoline_kernelINS0_14default_configENS1_20scan_config_selectorIsEEZZNS1_9scan_implILNS1_25lookback_scan_determinismE0ELb0ELb1ES3_N6thrust23THRUST_200600_302600_NS6detail15normal_iteratorINS9_10device_ptrIsEEEESE_sNS9_10multipliesIsEEsEEDaPvRmT3_T4_T5_mT6_P12ihipStream_tbENKUlT_T0_E_clISt17integral_constantIbLb0EESU_EEDaSP_SQ_EUlSP_E0_NS1_11comp_targetILNS1_3genE10ELNS1_11target_archE1201ELNS1_3gpuE5ELNS1_3repE0EEENS1_30default_config_static_selectorELNS0_4arch9wavefront6targetE1EEEvT1_
                                        ; -- End function
	.section	.AMDGPU.csdata,"",@progbits
; Kernel info:
; codeLenInByte = 0
; NumSgprs: 4
; NumVgprs: 0
; NumAgprs: 0
; TotalNumVgprs: 0
; ScratchSize: 0
; MemoryBound: 0
; FloatMode: 240
; IeeeMode: 1
; LDSByteSize: 0 bytes/workgroup (compile time only)
; SGPRBlocks: 0
; VGPRBlocks: 0
; NumSGPRsForWavesPerEU: 4
; NumVGPRsForWavesPerEU: 1
; AccumOffset: 4
; Occupancy: 8
; WaveLimiterHint : 0
; COMPUTE_PGM_RSRC2:SCRATCH_EN: 0
; COMPUTE_PGM_RSRC2:USER_SGPR: 6
; COMPUTE_PGM_RSRC2:TRAP_HANDLER: 0
; COMPUTE_PGM_RSRC2:TGID_X_EN: 1
; COMPUTE_PGM_RSRC2:TGID_Y_EN: 0
; COMPUTE_PGM_RSRC2:TGID_Z_EN: 0
; COMPUTE_PGM_RSRC2:TIDIG_COMP_CNT: 0
; COMPUTE_PGM_RSRC3_GFX90A:ACCUM_OFFSET: 0
; COMPUTE_PGM_RSRC3_GFX90A:TG_SPLIT: 0
	.section	.text._ZN7rocprim17ROCPRIM_400000_NS6detail17trampoline_kernelINS0_14default_configENS1_20scan_config_selectorIsEEZZNS1_9scan_implILNS1_25lookback_scan_determinismE0ELb0ELb1ES3_N6thrust23THRUST_200600_302600_NS6detail15normal_iteratorINS9_10device_ptrIsEEEESE_sNS9_10multipliesIsEEsEEDaPvRmT3_T4_T5_mT6_P12ihipStream_tbENKUlT_T0_E_clISt17integral_constantIbLb0EESU_EEDaSP_SQ_EUlSP_E0_NS1_11comp_targetILNS1_3genE10ELNS1_11target_archE1200ELNS1_3gpuE4ELNS1_3repE0EEENS1_30default_config_static_selectorELNS0_4arch9wavefront6targetE1EEEvT1_,"axG",@progbits,_ZN7rocprim17ROCPRIM_400000_NS6detail17trampoline_kernelINS0_14default_configENS1_20scan_config_selectorIsEEZZNS1_9scan_implILNS1_25lookback_scan_determinismE0ELb0ELb1ES3_N6thrust23THRUST_200600_302600_NS6detail15normal_iteratorINS9_10device_ptrIsEEEESE_sNS9_10multipliesIsEEsEEDaPvRmT3_T4_T5_mT6_P12ihipStream_tbENKUlT_T0_E_clISt17integral_constantIbLb0EESU_EEDaSP_SQ_EUlSP_E0_NS1_11comp_targetILNS1_3genE10ELNS1_11target_archE1200ELNS1_3gpuE4ELNS1_3repE0EEENS1_30default_config_static_selectorELNS0_4arch9wavefront6targetE1EEEvT1_,comdat
	.protected	_ZN7rocprim17ROCPRIM_400000_NS6detail17trampoline_kernelINS0_14default_configENS1_20scan_config_selectorIsEEZZNS1_9scan_implILNS1_25lookback_scan_determinismE0ELb0ELb1ES3_N6thrust23THRUST_200600_302600_NS6detail15normal_iteratorINS9_10device_ptrIsEEEESE_sNS9_10multipliesIsEEsEEDaPvRmT3_T4_T5_mT6_P12ihipStream_tbENKUlT_T0_E_clISt17integral_constantIbLb0EESU_EEDaSP_SQ_EUlSP_E0_NS1_11comp_targetILNS1_3genE10ELNS1_11target_archE1200ELNS1_3gpuE4ELNS1_3repE0EEENS1_30default_config_static_selectorELNS0_4arch9wavefront6targetE1EEEvT1_ ; -- Begin function _ZN7rocprim17ROCPRIM_400000_NS6detail17trampoline_kernelINS0_14default_configENS1_20scan_config_selectorIsEEZZNS1_9scan_implILNS1_25lookback_scan_determinismE0ELb0ELb1ES3_N6thrust23THRUST_200600_302600_NS6detail15normal_iteratorINS9_10device_ptrIsEEEESE_sNS9_10multipliesIsEEsEEDaPvRmT3_T4_T5_mT6_P12ihipStream_tbENKUlT_T0_E_clISt17integral_constantIbLb0EESU_EEDaSP_SQ_EUlSP_E0_NS1_11comp_targetILNS1_3genE10ELNS1_11target_archE1200ELNS1_3gpuE4ELNS1_3repE0EEENS1_30default_config_static_selectorELNS0_4arch9wavefront6targetE1EEEvT1_
	.globl	_ZN7rocprim17ROCPRIM_400000_NS6detail17trampoline_kernelINS0_14default_configENS1_20scan_config_selectorIsEEZZNS1_9scan_implILNS1_25lookback_scan_determinismE0ELb0ELb1ES3_N6thrust23THRUST_200600_302600_NS6detail15normal_iteratorINS9_10device_ptrIsEEEESE_sNS9_10multipliesIsEEsEEDaPvRmT3_T4_T5_mT6_P12ihipStream_tbENKUlT_T0_E_clISt17integral_constantIbLb0EESU_EEDaSP_SQ_EUlSP_E0_NS1_11comp_targetILNS1_3genE10ELNS1_11target_archE1200ELNS1_3gpuE4ELNS1_3repE0EEENS1_30default_config_static_selectorELNS0_4arch9wavefront6targetE1EEEvT1_
	.p2align	8
	.type	_ZN7rocprim17ROCPRIM_400000_NS6detail17trampoline_kernelINS0_14default_configENS1_20scan_config_selectorIsEEZZNS1_9scan_implILNS1_25lookback_scan_determinismE0ELb0ELb1ES3_N6thrust23THRUST_200600_302600_NS6detail15normal_iteratorINS9_10device_ptrIsEEEESE_sNS9_10multipliesIsEEsEEDaPvRmT3_T4_T5_mT6_P12ihipStream_tbENKUlT_T0_E_clISt17integral_constantIbLb0EESU_EEDaSP_SQ_EUlSP_E0_NS1_11comp_targetILNS1_3genE10ELNS1_11target_archE1200ELNS1_3gpuE4ELNS1_3repE0EEENS1_30default_config_static_selectorELNS0_4arch9wavefront6targetE1EEEvT1_,@function
_ZN7rocprim17ROCPRIM_400000_NS6detail17trampoline_kernelINS0_14default_configENS1_20scan_config_selectorIsEEZZNS1_9scan_implILNS1_25lookback_scan_determinismE0ELb0ELb1ES3_N6thrust23THRUST_200600_302600_NS6detail15normal_iteratorINS9_10device_ptrIsEEEESE_sNS9_10multipliesIsEEsEEDaPvRmT3_T4_T5_mT6_P12ihipStream_tbENKUlT_T0_E_clISt17integral_constantIbLb0EESU_EEDaSP_SQ_EUlSP_E0_NS1_11comp_targetILNS1_3genE10ELNS1_11target_archE1200ELNS1_3gpuE4ELNS1_3repE0EEENS1_30default_config_static_selectorELNS0_4arch9wavefront6targetE1EEEvT1_: ; @_ZN7rocprim17ROCPRIM_400000_NS6detail17trampoline_kernelINS0_14default_configENS1_20scan_config_selectorIsEEZZNS1_9scan_implILNS1_25lookback_scan_determinismE0ELb0ELb1ES3_N6thrust23THRUST_200600_302600_NS6detail15normal_iteratorINS9_10device_ptrIsEEEESE_sNS9_10multipliesIsEEsEEDaPvRmT3_T4_T5_mT6_P12ihipStream_tbENKUlT_T0_E_clISt17integral_constantIbLb0EESU_EEDaSP_SQ_EUlSP_E0_NS1_11comp_targetILNS1_3genE10ELNS1_11target_archE1200ELNS1_3gpuE4ELNS1_3repE0EEENS1_30default_config_static_selectorELNS0_4arch9wavefront6targetE1EEEvT1_
; %bb.0:
	.section	.rodata,"a",@progbits
	.p2align	6, 0x0
	.amdhsa_kernel _ZN7rocprim17ROCPRIM_400000_NS6detail17trampoline_kernelINS0_14default_configENS1_20scan_config_selectorIsEEZZNS1_9scan_implILNS1_25lookback_scan_determinismE0ELb0ELb1ES3_N6thrust23THRUST_200600_302600_NS6detail15normal_iteratorINS9_10device_ptrIsEEEESE_sNS9_10multipliesIsEEsEEDaPvRmT3_T4_T5_mT6_P12ihipStream_tbENKUlT_T0_E_clISt17integral_constantIbLb0EESU_EEDaSP_SQ_EUlSP_E0_NS1_11comp_targetILNS1_3genE10ELNS1_11target_archE1200ELNS1_3gpuE4ELNS1_3repE0EEENS1_30default_config_static_selectorELNS0_4arch9wavefront6targetE1EEEvT1_
		.amdhsa_group_segment_fixed_size 0
		.amdhsa_private_segment_fixed_size 0
		.amdhsa_kernarg_size 32
		.amdhsa_user_sgpr_count 6
		.amdhsa_user_sgpr_private_segment_buffer 1
		.amdhsa_user_sgpr_dispatch_ptr 0
		.amdhsa_user_sgpr_queue_ptr 0
		.amdhsa_user_sgpr_kernarg_segment_ptr 1
		.amdhsa_user_sgpr_dispatch_id 0
		.amdhsa_user_sgpr_flat_scratch_init 0
		.amdhsa_user_sgpr_kernarg_preload_length 0
		.amdhsa_user_sgpr_kernarg_preload_offset 0
		.amdhsa_user_sgpr_private_segment_size 0
		.amdhsa_uses_dynamic_stack 0
		.amdhsa_system_sgpr_private_segment_wavefront_offset 0
		.amdhsa_system_sgpr_workgroup_id_x 1
		.amdhsa_system_sgpr_workgroup_id_y 0
		.amdhsa_system_sgpr_workgroup_id_z 0
		.amdhsa_system_sgpr_workgroup_info 0
		.amdhsa_system_vgpr_workitem_id 0
		.amdhsa_next_free_vgpr 1
		.amdhsa_next_free_sgpr 0
		.amdhsa_accum_offset 4
		.amdhsa_reserve_vcc 0
		.amdhsa_reserve_flat_scratch 0
		.amdhsa_float_round_mode_32 0
		.amdhsa_float_round_mode_16_64 0
		.amdhsa_float_denorm_mode_32 3
		.amdhsa_float_denorm_mode_16_64 3
		.amdhsa_dx10_clamp 1
		.amdhsa_ieee_mode 1
		.amdhsa_fp16_overflow 0
		.amdhsa_tg_split 0
		.amdhsa_exception_fp_ieee_invalid_op 0
		.amdhsa_exception_fp_denorm_src 0
		.amdhsa_exception_fp_ieee_div_zero 0
		.amdhsa_exception_fp_ieee_overflow 0
		.amdhsa_exception_fp_ieee_underflow 0
		.amdhsa_exception_fp_ieee_inexact 0
		.amdhsa_exception_int_div_zero 0
	.end_amdhsa_kernel
	.section	.text._ZN7rocprim17ROCPRIM_400000_NS6detail17trampoline_kernelINS0_14default_configENS1_20scan_config_selectorIsEEZZNS1_9scan_implILNS1_25lookback_scan_determinismE0ELb0ELb1ES3_N6thrust23THRUST_200600_302600_NS6detail15normal_iteratorINS9_10device_ptrIsEEEESE_sNS9_10multipliesIsEEsEEDaPvRmT3_T4_T5_mT6_P12ihipStream_tbENKUlT_T0_E_clISt17integral_constantIbLb0EESU_EEDaSP_SQ_EUlSP_E0_NS1_11comp_targetILNS1_3genE10ELNS1_11target_archE1200ELNS1_3gpuE4ELNS1_3repE0EEENS1_30default_config_static_selectorELNS0_4arch9wavefront6targetE1EEEvT1_,"axG",@progbits,_ZN7rocprim17ROCPRIM_400000_NS6detail17trampoline_kernelINS0_14default_configENS1_20scan_config_selectorIsEEZZNS1_9scan_implILNS1_25lookback_scan_determinismE0ELb0ELb1ES3_N6thrust23THRUST_200600_302600_NS6detail15normal_iteratorINS9_10device_ptrIsEEEESE_sNS9_10multipliesIsEEsEEDaPvRmT3_T4_T5_mT6_P12ihipStream_tbENKUlT_T0_E_clISt17integral_constantIbLb0EESU_EEDaSP_SQ_EUlSP_E0_NS1_11comp_targetILNS1_3genE10ELNS1_11target_archE1200ELNS1_3gpuE4ELNS1_3repE0EEENS1_30default_config_static_selectorELNS0_4arch9wavefront6targetE1EEEvT1_,comdat
.Lfunc_end1138:
	.size	_ZN7rocprim17ROCPRIM_400000_NS6detail17trampoline_kernelINS0_14default_configENS1_20scan_config_selectorIsEEZZNS1_9scan_implILNS1_25lookback_scan_determinismE0ELb0ELb1ES3_N6thrust23THRUST_200600_302600_NS6detail15normal_iteratorINS9_10device_ptrIsEEEESE_sNS9_10multipliesIsEEsEEDaPvRmT3_T4_T5_mT6_P12ihipStream_tbENKUlT_T0_E_clISt17integral_constantIbLb0EESU_EEDaSP_SQ_EUlSP_E0_NS1_11comp_targetILNS1_3genE10ELNS1_11target_archE1200ELNS1_3gpuE4ELNS1_3repE0EEENS1_30default_config_static_selectorELNS0_4arch9wavefront6targetE1EEEvT1_, .Lfunc_end1138-_ZN7rocprim17ROCPRIM_400000_NS6detail17trampoline_kernelINS0_14default_configENS1_20scan_config_selectorIsEEZZNS1_9scan_implILNS1_25lookback_scan_determinismE0ELb0ELb1ES3_N6thrust23THRUST_200600_302600_NS6detail15normal_iteratorINS9_10device_ptrIsEEEESE_sNS9_10multipliesIsEEsEEDaPvRmT3_T4_T5_mT6_P12ihipStream_tbENKUlT_T0_E_clISt17integral_constantIbLb0EESU_EEDaSP_SQ_EUlSP_E0_NS1_11comp_targetILNS1_3genE10ELNS1_11target_archE1200ELNS1_3gpuE4ELNS1_3repE0EEENS1_30default_config_static_selectorELNS0_4arch9wavefront6targetE1EEEvT1_
                                        ; -- End function
	.section	.AMDGPU.csdata,"",@progbits
; Kernel info:
; codeLenInByte = 0
; NumSgprs: 4
; NumVgprs: 0
; NumAgprs: 0
; TotalNumVgprs: 0
; ScratchSize: 0
; MemoryBound: 0
; FloatMode: 240
; IeeeMode: 1
; LDSByteSize: 0 bytes/workgroup (compile time only)
; SGPRBlocks: 0
; VGPRBlocks: 0
; NumSGPRsForWavesPerEU: 4
; NumVGPRsForWavesPerEU: 1
; AccumOffset: 4
; Occupancy: 8
; WaveLimiterHint : 0
; COMPUTE_PGM_RSRC2:SCRATCH_EN: 0
; COMPUTE_PGM_RSRC2:USER_SGPR: 6
; COMPUTE_PGM_RSRC2:TRAP_HANDLER: 0
; COMPUTE_PGM_RSRC2:TGID_X_EN: 1
; COMPUTE_PGM_RSRC2:TGID_Y_EN: 0
; COMPUTE_PGM_RSRC2:TGID_Z_EN: 0
; COMPUTE_PGM_RSRC2:TIDIG_COMP_CNT: 0
; COMPUTE_PGM_RSRC3_GFX90A:ACCUM_OFFSET: 0
; COMPUTE_PGM_RSRC3_GFX90A:TG_SPLIT: 0
	.section	.text._ZN7rocprim17ROCPRIM_400000_NS6detail17trampoline_kernelINS0_14default_configENS1_20scan_config_selectorIsEEZZNS1_9scan_implILNS1_25lookback_scan_determinismE0ELb0ELb1ES3_N6thrust23THRUST_200600_302600_NS6detail15normal_iteratorINS9_10device_ptrIsEEEESE_sNS9_10multipliesIsEEsEEDaPvRmT3_T4_T5_mT6_P12ihipStream_tbENKUlT_T0_E_clISt17integral_constantIbLb0EESU_EEDaSP_SQ_EUlSP_E0_NS1_11comp_targetILNS1_3genE9ELNS1_11target_archE1100ELNS1_3gpuE3ELNS1_3repE0EEENS1_30default_config_static_selectorELNS0_4arch9wavefront6targetE1EEEvT1_,"axG",@progbits,_ZN7rocprim17ROCPRIM_400000_NS6detail17trampoline_kernelINS0_14default_configENS1_20scan_config_selectorIsEEZZNS1_9scan_implILNS1_25lookback_scan_determinismE0ELb0ELb1ES3_N6thrust23THRUST_200600_302600_NS6detail15normal_iteratorINS9_10device_ptrIsEEEESE_sNS9_10multipliesIsEEsEEDaPvRmT3_T4_T5_mT6_P12ihipStream_tbENKUlT_T0_E_clISt17integral_constantIbLb0EESU_EEDaSP_SQ_EUlSP_E0_NS1_11comp_targetILNS1_3genE9ELNS1_11target_archE1100ELNS1_3gpuE3ELNS1_3repE0EEENS1_30default_config_static_selectorELNS0_4arch9wavefront6targetE1EEEvT1_,comdat
	.protected	_ZN7rocprim17ROCPRIM_400000_NS6detail17trampoline_kernelINS0_14default_configENS1_20scan_config_selectorIsEEZZNS1_9scan_implILNS1_25lookback_scan_determinismE0ELb0ELb1ES3_N6thrust23THRUST_200600_302600_NS6detail15normal_iteratorINS9_10device_ptrIsEEEESE_sNS9_10multipliesIsEEsEEDaPvRmT3_T4_T5_mT6_P12ihipStream_tbENKUlT_T0_E_clISt17integral_constantIbLb0EESU_EEDaSP_SQ_EUlSP_E0_NS1_11comp_targetILNS1_3genE9ELNS1_11target_archE1100ELNS1_3gpuE3ELNS1_3repE0EEENS1_30default_config_static_selectorELNS0_4arch9wavefront6targetE1EEEvT1_ ; -- Begin function _ZN7rocprim17ROCPRIM_400000_NS6detail17trampoline_kernelINS0_14default_configENS1_20scan_config_selectorIsEEZZNS1_9scan_implILNS1_25lookback_scan_determinismE0ELb0ELb1ES3_N6thrust23THRUST_200600_302600_NS6detail15normal_iteratorINS9_10device_ptrIsEEEESE_sNS9_10multipliesIsEEsEEDaPvRmT3_T4_T5_mT6_P12ihipStream_tbENKUlT_T0_E_clISt17integral_constantIbLb0EESU_EEDaSP_SQ_EUlSP_E0_NS1_11comp_targetILNS1_3genE9ELNS1_11target_archE1100ELNS1_3gpuE3ELNS1_3repE0EEENS1_30default_config_static_selectorELNS0_4arch9wavefront6targetE1EEEvT1_
	.globl	_ZN7rocprim17ROCPRIM_400000_NS6detail17trampoline_kernelINS0_14default_configENS1_20scan_config_selectorIsEEZZNS1_9scan_implILNS1_25lookback_scan_determinismE0ELb0ELb1ES3_N6thrust23THRUST_200600_302600_NS6detail15normal_iteratorINS9_10device_ptrIsEEEESE_sNS9_10multipliesIsEEsEEDaPvRmT3_T4_T5_mT6_P12ihipStream_tbENKUlT_T0_E_clISt17integral_constantIbLb0EESU_EEDaSP_SQ_EUlSP_E0_NS1_11comp_targetILNS1_3genE9ELNS1_11target_archE1100ELNS1_3gpuE3ELNS1_3repE0EEENS1_30default_config_static_selectorELNS0_4arch9wavefront6targetE1EEEvT1_
	.p2align	8
	.type	_ZN7rocprim17ROCPRIM_400000_NS6detail17trampoline_kernelINS0_14default_configENS1_20scan_config_selectorIsEEZZNS1_9scan_implILNS1_25lookback_scan_determinismE0ELb0ELb1ES3_N6thrust23THRUST_200600_302600_NS6detail15normal_iteratorINS9_10device_ptrIsEEEESE_sNS9_10multipliesIsEEsEEDaPvRmT3_T4_T5_mT6_P12ihipStream_tbENKUlT_T0_E_clISt17integral_constantIbLb0EESU_EEDaSP_SQ_EUlSP_E0_NS1_11comp_targetILNS1_3genE9ELNS1_11target_archE1100ELNS1_3gpuE3ELNS1_3repE0EEENS1_30default_config_static_selectorELNS0_4arch9wavefront6targetE1EEEvT1_,@function
_ZN7rocprim17ROCPRIM_400000_NS6detail17trampoline_kernelINS0_14default_configENS1_20scan_config_selectorIsEEZZNS1_9scan_implILNS1_25lookback_scan_determinismE0ELb0ELb1ES3_N6thrust23THRUST_200600_302600_NS6detail15normal_iteratorINS9_10device_ptrIsEEEESE_sNS9_10multipliesIsEEsEEDaPvRmT3_T4_T5_mT6_P12ihipStream_tbENKUlT_T0_E_clISt17integral_constantIbLb0EESU_EEDaSP_SQ_EUlSP_E0_NS1_11comp_targetILNS1_3genE9ELNS1_11target_archE1100ELNS1_3gpuE3ELNS1_3repE0EEENS1_30default_config_static_selectorELNS0_4arch9wavefront6targetE1EEEvT1_: ; @_ZN7rocprim17ROCPRIM_400000_NS6detail17trampoline_kernelINS0_14default_configENS1_20scan_config_selectorIsEEZZNS1_9scan_implILNS1_25lookback_scan_determinismE0ELb0ELb1ES3_N6thrust23THRUST_200600_302600_NS6detail15normal_iteratorINS9_10device_ptrIsEEEESE_sNS9_10multipliesIsEEsEEDaPvRmT3_T4_T5_mT6_P12ihipStream_tbENKUlT_T0_E_clISt17integral_constantIbLb0EESU_EEDaSP_SQ_EUlSP_E0_NS1_11comp_targetILNS1_3genE9ELNS1_11target_archE1100ELNS1_3gpuE3ELNS1_3repE0EEENS1_30default_config_static_selectorELNS0_4arch9wavefront6targetE1EEEvT1_
; %bb.0:
	.section	.rodata,"a",@progbits
	.p2align	6, 0x0
	.amdhsa_kernel _ZN7rocprim17ROCPRIM_400000_NS6detail17trampoline_kernelINS0_14default_configENS1_20scan_config_selectorIsEEZZNS1_9scan_implILNS1_25lookback_scan_determinismE0ELb0ELb1ES3_N6thrust23THRUST_200600_302600_NS6detail15normal_iteratorINS9_10device_ptrIsEEEESE_sNS9_10multipliesIsEEsEEDaPvRmT3_T4_T5_mT6_P12ihipStream_tbENKUlT_T0_E_clISt17integral_constantIbLb0EESU_EEDaSP_SQ_EUlSP_E0_NS1_11comp_targetILNS1_3genE9ELNS1_11target_archE1100ELNS1_3gpuE3ELNS1_3repE0EEENS1_30default_config_static_selectorELNS0_4arch9wavefront6targetE1EEEvT1_
		.amdhsa_group_segment_fixed_size 0
		.amdhsa_private_segment_fixed_size 0
		.amdhsa_kernarg_size 32
		.amdhsa_user_sgpr_count 6
		.amdhsa_user_sgpr_private_segment_buffer 1
		.amdhsa_user_sgpr_dispatch_ptr 0
		.amdhsa_user_sgpr_queue_ptr 0
		.amdhsa_user_sgpr_kernarg_segment_ptr 1
		.amdhsa_user_sgpr_dispatch_id 0
		.amdhsa_user_sgpr_flat_scratch_init 0
		.amdhsa_user_sgpr_kernarg_preload_length 0
		.amdhsa_user_sgpr_kernarg_preload_offset 0
		.amdhsa_user_sgpr_private_segment_size 0
		.amdhsa_uses_dynamic_stack 0
		.amdhsa_system_sgpr_private_segment_wavefront_offset 0
		.amdhsa_system_sgpr_workgroup_id_x 1
		.amdhsa_system_sgpr_workgroup_id_y 0
		.amdhsa_system_sgpr_workgroup_id_z 0
		.amdhsa_system_sgpr_workgroup_info 0
		.amdhsa_system_vgpr_workitem_id 0
		.amdhsa_next_free_vgpr 1
		.amdhsa_next_free_sgpr 0
		.amdhsa_accum_offset 4
		.amdhsa_reserve_vcc 0
		.amdhsa_reserve_flat_scratch 0
		.amdhsa_float_round_mode_32 0
		.amdhsa_float_round_mode_16_64 0
		.amdhsa_float_denorm_mode_32 3
		.amdhsa_float_denorm_mode_16_64 3
		.amdhsa_dx10_clamp 1
		.amdhsa_ieee_mode 1
		.amdhsa_fp16_overflow 0
		.amdhsa_tg_split 0
		.amdhsa_exception_fp_ieee_invalid_op 0
		.amdhsa_exception_fp_denorm_src 0
		.amdhsa_exception_fp_ieee_div_zero 0
		.amdhsa_exception_fp_ieee_overflow 0
		.amdhsa_exception_fp_ieee_underflow 0
		.amdhsa_exception_fp_ieee_inexact 0
		.amdhsa_exception_int_div_zero 0
	.end_amdhsa_kernel
	.section	.text._ZN7rocprim17ROCPRIM_400000_NS6detail17trampoline_kernelINS0_14default_configENS1_20scan_config_selectorIsEEZZNS1_9scan_implILNS1_25lookback_scan_determinismE0ELb0ELb1ES3_N6thrust23THRUST_200600_302600_NS6detail15normal_iteratorINS9_10device_ptrIsEEEESE_sNS9_10multipliesIsEEsEEDaPvRmT3_T4_T5_mT6_P12ihipStream_tbENKUlT_T0_E_clISt17integral_constantIbLb0EESU_EEDaSP_SQ_EUlSP_E0_NS1_11comp_targetILNS1_3genE9ELNS1_11target_archE1100ELNS1_3gpuE3ELNS1_3repE0EEENS1_30default_config_static_selectorELNS0_4arch9wavefront6targetE1EEEvT1_,"axG",@progbits,_ZN7rocprim17ROCPRIM_400000_NS6detail17trampoline_kernelINS0_14default_configENS1_20scan_config_selectorIsEEZZNS1_9scan_implILNS1_25lookback_scan_determinismE0ELb0ELb1ES3_N6thrust23THRUST_200600_302600_NS6detail15normal_iteratorINS9_10device_ptrIsEEEESE_sNS9_10multipliesIsEEsEEDaPvRmT3_T4_T5_mT6_P12ihipStream_tbENKUlT_T0_E_clISt17integral_constantIbLb0EESU_EEDaSP_SQ_EUlSP_E0_NS1_11comp_targetILNS1_3genE9ELNS1_11target_archE1100ELNS1_3gpuE3ELNS1_3repE0EEENS1_30default_config_static_selectorELNS0_4arch9wavefront6targetE1EEEvT1_,comdat
.Lfunc_end1139:
	.size	_ZN7rocprim17ROCPRIM_400000_NS6detail17trampoline_kernelINS0_14default_configENS1_20scan_config_selectorIsEEZZNS1_9scan_implILNS1_25lookback_scan_determinismE0ELb0ELb1ES3_N6thrust23THRUST_200600_302600_NS6detail15normal_iteratorINS9_10device_ptrIsEEEESE_sNS9_10multipliesIsEEsEEDaPvRmT3_T4_T5_mT6_P12ihipStream_tbENKUlT_T0_E_clISt17integral_constantIbLb0EESU_EEDaSP_SQ_EUlSP_E0_NS1_11comp_targetILNS1_3genE9ELNS1_11target_archE1100ELNS1_3gpuE3ELNS1_3repE0EEENS1_30default_config_static_selectorELNS0_4arch9wavefront6targetE1EEEvT1_, .Lfunc_end1139-_ZN7rocprim17ROCPRIM_400000_NS6detail17trampoline_kernelINS0_14default_configENS1_20scan_config_selectorIsEEZZNS1_9scan_implILNS1_25lookback_scan_determinismE0ELb0ELb1ES3_N6thrust23THRUST_200600_302600_NS6detail15normal_iteratorINS9_10device_ptrIsEEEESE_sNS9_10multipliesIsEEsEEDaPvRmT3_T4_T5_mT6_P12ihipStream_tbENKUlT_T0_E_clISt17integral_constantIbLb0EESU_EEDaSP_SQ_EUlSP_E0_NS1_11comp_targetILNS1_3genE9ELNS1_11target_archE1100ELNS1_3gpuE3ELNS1_3repE0EEENS1_30default_config_static_selectorELNS0_4arch9wavefront6targetE1EEEvT1_
                                        ; -- End function
	.section	.AMDGPU.csdata,"",@progbits
; Kernel info:
; codeLenInByte = 0
; NumSgprs: 4
; NumVgprs: 0
; NumAgprs: 0
; TotalNumVgprs: 0
; ScratchSize: 0
; MemoryBound: 0
; FloatMode: 240
; IeeeMode: 1
; LDSByteSize: 0 bytes/workgroup (compile time only)
; SGPRBlocks: 0
; VGPRBlocks: 0
; NumSGPRsForWavesPerEU: 4
; NumVGPRsForWavesPerEU: 1
; AccumOffset: 4
; Occupancy: 8
; WaveLimiterHint : 0
; COMPUTE_PGM_RSRC2:SCRATCH_EN: 0
; COMPUTE_PGM_RSRC2:USER_SGPR: 6
; COMPUTE_PGM_RSRC2:TRAP_HANDLER: 0
; COMPUTE_PGM_RSRC2:TGID_X_EN: 1
; COMPUTE_PGM_RSRC2:TGID_Y_EN: 0
; COMPUTE_PGM_RSRC2:TGID_Z_EN: 0
; COMPUTE_PGM_RSRC2:TIDIG_COMP_CNT: 0
; COMPUTE_PGM_RSRC3_GFX90A:ACCUM_OFFSET: 0
; COMPUTE_PGM_RSRC3_GFX90A:TG_SPLIT: 0
	.section	.text._ZN7rocprim17ROCPRIM_400000_NS6detail17trampoline_kernelINS0_14default_configENS1_20scan_config_selectorIsEEZZNS1_9scan_implILNS1_25lookback_scan_determinismE0ELb0ELb1ES3_N6thrust23THRUST_200600_302600_NS6detail15normal_iteratorINS9_10device_ptrIsEEEESE_sNS9_10multipliesIsEEsEEDaPvRmT3_T4_T5_mT6_P12ihipStream_tbENKUlT_T0_E_clISt17integral_constantIbLb0EESU_EEDaSP_SQ_EUlSP_E0_NS1_11comp_targetILNS1_3genE8ELNS1_11target_archE1030ELNS1_3gpuE2ELNS1_3repE0EEENS1_30default_config_static_selectorELNS0_4arch9wavefront6targetE1EEEvT1_,"axG",@progbits,_ZN7rocprim17ROCPRIM_400000_NS6detail17trampoline_kernelINS0_14default_configENS1_20scan_config_selectorIsEEZZNS1_9scan_implILNS1_25lookback_scan_determinismE0ELb0ELb1ES3_N6thrust23THRUST_200600_302600_NS6detail15normal_iteratorINS9_10device_ptrIsEEEESE_sNS9_10multipliesIsEEsEEDaPvRmT3_T4_T5_mT6_P12ihipStream_tbENKUlT_T0_E_clISt17integral_constantIbLb0EESU_EEDaSP_SQ_EUlSP_E0_NS1_11comp_targetILNS1_3genE8ELNS1_11target_archE1030ELNS1_3gpuE2ELNS1_3repE0EEENS1_30default_config_static_selectorELNS0_4arch9wavefront6targetE1EEEvT1_,comdat
	.protected	_ZN7rocprim17ROCPRIM_400000_NS6detail17trampoline_kernelINS0_14default_configENS1_20scan_config_selectorIsEEZZNS1_9scan_implILNS1_25lookback_scan_determinismE0ELb0ELb1ES3_N6thrust23THRUST_200600_302600_NS6detail15normal_iteratorINS9_10device_ptrIsEEEESE_sNS9_10multipliesIsEEsEEDaPvRmT3_T4_T5_mT6_P12ihipStream_tbENKUlT_T0_E_clISt17integral_constantIbLb0EESU_EEDaSP_SQ_EUlSP_E0_NS1_11comp_targetILNS1_3genE8ELNS1_11target_archE1030ELNS1_3gpuE2ELNS1_3repE0EEENS1_30default_config_static_selectorELNS0_4arch9wavefront6targetE1EEEvT1_ ; -- Begin function _ZN7rocprim17ROCPRIM_400000_NS6detail17trampoline_kernelINS0_14default_configENS1_20scan_config_selectorIsEEZZNS1_9scan_implILNS1_25lookback_scan_determinismE0ELb0ELb1ES3_N6thrust23THRUST_200600_302600_NS6detail15normal_iteratorINS9_10device_ptrIsEEEESE_sNS9_10multipliesIsEEsEEDaPvRmT3_T4_T5_mT6_P12ihipStream_tbENKUlT_T0_E_clISt17integral_constantIbLb0EESU_EEDaSP_SQ_EUlSP_E0_NS1_11comp_targetILNS1_3genE8ELNS1_11target_archE1030ELNS1_3gpuE2ELNS1_3repE0EEENS1_30default_config_static_selectorELNS0_4arch9wavefront6targetE1EEEvT1_
	.globl	_ZN7rocprim17ROCPRIM_400000_NS6detail17trampoline_kernelINS0_14default_configENS1_20scan_config_selectorIsEEZZNS1_9scan_implILNS1_25lookback_scan_determinismE0ELb0ELb1ES3_N6thrust23THRUST_200600_302600_NS6detail15normal_iteratorINS9_10device_ptrIsEEEESE_sNS9_10multipliesIsEEsEEDaPvRmT3_T4_T5_mT6_P12ihipStream_tbENKUlT_T0_E_clISt17integral_constantIbLb0EESU_EEDaSP_SQ_EUlSP_E0_NS1_11comp_targetILNS1_3genE8ELNS1_11target_archE1030ELNS1_3gpuE2ELNS1_3repE0EEENS1_30default_config_static_selectorELNS0_4arch9wavefront6targetE1EEEvT1_
	.p2align	8
	.type	_ZN7rocprim17ROCPRIM_400000_NS6detail17trampoline_kernelINS0_14default_configENS1_20scan_config_selectorIsEEZZNS1_9scan_implILNS1_25lookback_scan_determinismE0ELb0ELb1ES3_N6thrust23THRUST_200600_302600_NS6detail15normal_iteratorINS9_10device_ptrIsEEEESE_sNS9_10multipliesIsEEsEEDaPvRmT3_T4_T5_mT6_P12ihipStream_tbENKUlT_T0_E_clISt17integral_constantIbLb0EESU_EEDaSP_SQ_EUlSP_E0_NS1_11comp_targetILNS1_3genE8ELNS1_11target_archE1030ELNS1_3gpuE2ELNS1_3repE0EEENS1_30default_config_static_selectorELNS0_4arch9wavefront6targetE1EEEvT1_,@function
_ZN7rocprim17ROCPRIM_400000_NS6detail17trampoline_kernelINS0_14default_configENS1_20scan_config_selectorIsEEZZNS1_9scan_implILNS1_25lookback_scan_determinismE0ELb0ELb1ES3_N6thrust23THRUST_200600_302600_NS6detail15normal_iteratorINS9_10device_ptrIsEEEESE_sNS9_10multipliesIsEEsEEDaPvRmT3_T4_T5_mT6_P12ihipStream_tbENKUlT_T0_E_clISt17integral_constantIbLb0EESU_EEDaSP_SQ_EUlSP_E0_NS1_11comp_targetILNS1_3genE8ELNS1_11target_archE1030ELNS1_3gpuE2ELNS1_3repE0EEENS1_30default_config_static_selectorELNS0_4arch9wavefront6targetE1EEEvT1_: ; @_ZN7rocprim17ROCPRIM_400000_NS6detail17trampoline_kernelINS0_14default_configENS1_20scan_config_selectorIsEEZZNS1_9scan_implILNS1_25lookback_scan_determinismE0ELb0ELb1ES3_N6thrust23THRUST_200600_302600_NS6detail15normal_iteratorINS9_10device_ptrIsEEEESE_sNS9_10multipliesIsEEsEEDaPvRmT3_T4_T5_mT6_P12ihipStream_tbENKUlT_T0_E_clISt17integral_constantIbLb0EESU_EEDaSP_SQ_EUlSP_E0_NS1_11comp_targetILNS1_3genE8ELNS1_11target_archE1030ELNS1_3gpuE2ELNS1_3repE0EEENS1_30default_config_static_selectorELNS0_4arch9wavefront6targetE1EEEvT1_
; %bb.0:
	.section	.rodata,"a",@progbits
	.p2align	6, 0x0
	.amdhsa_kernel _ZN7rocprim17ROCPRIM_400000_NS6detail17trampoline_kernelINS0_14default_configENS1_20scan_config_selectorIsEEZZNS1_9scan_implILNS1_25lookback_scan_determinismE0ELb0ELb1ES3_N6thrust23THRUST_200600_302600_NS6detail15normal_iteratorINS9_10device_ptrIsEEEESE_sNS9_10multipliesIsEEsEEDaPvRmT3_T4_T5_mT6_P12ihipStream_tbENKUlT_T0_E_clISt17integral_constantIbLb0EESU_EEDaSP_SQ_EUlSP_E0_NS1_11comp_targetILNS1_3genE8ELNS1_11target_archE1030ELNS1_3gpuE2ELNS1_3repE0EEENS1_30default_config_static_selectorELNS0_4arch9wavefront6targetE1EEEvT1_
		.amdhsa_group_segment_fixed_size 0
		.amdhsa_private_segment_fixed_size 0
		.amdhsa_kernarg_size 32
		.amdhsa_user_sgpr_count 6
		.amdhsa_user_sgpr_private_segment_buffer 1
		.amdhsa_user_sgpr_dispatch_ptr 0
		.amdhsa_user_sgpr_queue_ptr 0
		.amdhsa_user_sgpr_kernarg_segment_ptr 1
		.amdhsa_user_sgpr_dispatch_id 0
		.amdhsa_user_sgpr_flat_scratch_init 0
		.amdhsa_user_sgpr_kernarg_preload_length 0
		.amdhsa_user_sgpr_kernarg_preload_offset 0
		.amdhsa_user_sgpr_private_segment_size 0
		.amdhsa_uses_dynamic_stack 0
		.amdhsa_system_sgpr_private_segment_wavefront_offset 0
		.amdhsa_system_sgpr_workgroup_id_x 1
		.amdhsa_system_sgpr_workgroup_id_y 0
		.amdhsa_system_sgpr_workgroup_id_z 0
		.amdhsa_system_sgpr_workgroup_info 0
		.amdhsa_system_vgpr_workitem_id 0
		.amdhsa_next_free_vgpr 1
		.amdhsa_next_free_sgpr 0
		.amdhsa_accum_offset 4
		.amdhsa_reserve_vcc 0
		.amdhsa_reserve_flat_scratch 0
		.amdhsa_float_round_mode_32 0
		.amdhsa_float_round_mode_16_64 0
		.amdhsa_float_denorm_mode_32 3
		.amdhsa_float_denorm_mode_16_64 3
		.amdhsa_dx10_clamp 1
		.amdhsa_ieee_mode 1
		.amdhsa_fp16_overflow 0
		.amdhsa_tg_split 0
		.amdhsa_exception_fp_ieee_invalid_op 0
		.amdhsa_exception_fp_denorm_src 0
		.amdhsa_exception_fp_ieee_div_zero 0
		.amdhsa_exception_fp_ieee_overflow 0
		.amdhsa_exception_fp_ieee_underflow 0
		.amdhsa_exception_fp_ieee_inexact 0
		.amdhsa_exception_int_div_zero 0
	.end_amdhsa_kernel
	.section	.text._ZN7rocprim17ROCPRIM_400000_NS6detail17trampoline_kernelINS0_14default_configENS1_20scan_config_selectorIsEEZZNS1_9scan_implILNS1_25lookback_scan_determinismE0ELb0ELb1ES3_N6thrust23THRUST_200600_302600_NS6detail15normal_iteratorINS9_10device_ptrIsEEEESE_sNS9_10multipliesIsEEsEEDaPvRmT3_T4_T5_mT6_P12ihipStream_tbENKUlT_T0_E_clISt17integral_constantIbLb0EESU_EEDaSP_SQ_EUlSP_E0_NS1_11comp_targetILNS1_3genE8ELNS1_11target_archE1030ELNS1_3gpuE2ELNS1_3repE0EEENS1_30default_config_static_selectorELNS0_4arch9wavefront6targetE1EEEvT1_,"axG",@progbits,_ZN7rocprim17ROCPRIM_400000_NS6detail17trampoline_kernelINS0_14default_configENS1_20scan_config_selectorIsEEZZNS1_9scan_implILNS1_25lookback_scan_determinismE0ELb0ELb1ES3_N6thrust23THRUST_200600_302600_NS6detail15normal_iteratorINS9_10device_ptrIsEEEESE_sNS9_10multipliesIsEEsEEDaPvRmT3_T4_T5_mT6_P12ihipStream_tbENKUlT_T0_E_clISt17integral_constantIbLb0EESU_EEDaSP_SQ_EUlSP_E0_NS1_11comp_targetILNS1_3genE8ELNS1_11target_archE1030ELNS1_3gpuE2ELNS1_3repE0EEENS1_30default_config_static_selectorELNS0_4arch9wavefront6targetE1EEEvT1_,comdat
.Lfunc_end1140:
	.size	_ZN7rocprim17ROCPRIM_400000_NS6detail17trampoline_kernelINS0_14default_configENS1_20scan_config_selectorIsEEZZNS1_9scan_implILNS1_25lookback_scan_determinismE0ELb0ELb1ES3_N6thrust23THRUST_200600_302600_NS6detail15normal_iteratorINS9_10device_ptrIsEEEESE_sNS9_10multipliesIsEEsEEDaPvRmT3_T4_T5_mT6_P12ihipStream_tbENKUlT_T0_E_clISt17integral_constantIbLb0EESU_EEDaSP_SQ_EUlSP_E0_NS1_11comp_targetILNS1_3genE8ELNS1_11target_archE1030ELNS1_3gpuE2ELNS1_3repE0EEENS1_30default_config_static_selectorELNS0_4arch9wavefront6targetE1EEEvT1_, .Lfunc_end1140-_ZN7rocprim17ROCPRIM_400000_NS6detail17trampoline_kernelINS0_14default_configENS1_20scan_config_selectorIsEEZZNS1_9scan_implILNS1_25lookback_scan_determinismE0ELb0ELb1ES3_N6thrust23THRUST_200600_302600_NS6detail15normal_iteratorINS9_10device_ptrIsEEEESE_sNS9_10multipliesIsEEsEEDaPvRmT3_T4_T5_mT6_P12ihipStream_tbENKUlT_T0_E_clISt17integral_constantIbLb0EESU_EEDaSP_SQ_EUlSP_E0_NS1_11comp_targetILNS1_3genE8ELNS1_11target_archE1030ELNS1_3gpuE2ELNS1_3repE0EEENS1_30default_config_static_selectorELNS0_4arch9wavefront6targetE1EEEvT1_
                                        ; -- End function
	.section	.AMDGPU.csdata,"",@progbits
; Kernel info:
; codeLenInByte = 0
; NumSgprs: 4
; NumVgprs: 0
; NumAgprs: 0
; TotalNumVgprs: 0
; ScratchSize: 0
; MemoryBound: 0
; FloatMode: 240
; IeeeMode: 1
; LDSByteSize: 0 bytes/workgroup (compile time only)
; SGPRBlocks: 0
; VGPRBlocks: 0
; NumSGPRsForWavesPerEU: 4
; NumVGPRsForWavesPerEU: 1
; AccumOffset: 4
; Occupancy: 8
; WaveLimiterHint : 0
; COMPUTE_PGM_RSRC2:SCRATCH_EN: 0
; COMPUTE_PGM_RSRC2:USER_SGPR: 6
; COMPUTE_PGM_RSRC2:TRAP_HANDLER: 0
; COMPUTE_PGM_RSRC2:TGID_X_EN: 1
; COMPUTE_PGM_RSRC2:TGID_Y_EN: 0
; COMPUTE_PGM_RSRC2:TGID_Z_EN: 0
; COMPUTE_PGM_RSRC2:TIDIG_COMP_CNT: 0
; COMPUTE_PGM_RSRC3_GFX90A:ACCUM_OFFSET: 0
; COMPUTE_PGM_RSRC3_GFX90A:TG_SPLIT: 0
	.section	.text._ZN7rocprim17ROCPRIM_400000_NS6detail17trampoline_kernelINS0_14default_configENS1_20scan_config_selectorIsEEZZNS1_9scan_implILNS1_25lookback_scan_determinismE0ELb0ELb1ES3_N6thrust23THRUST_200600_302600_NS6detail15normal_iteratorINS9_10device_ptrIsEEEESE_sNS9_10multipliesIsEEsEEDaPvRmT3_T4_T5_mT6_P12ihipStream_tbENKUlT_T0_E_clISt17integral_constantIbLb1EESU_EEDaSP_SQ_EUlSP_E_NS1_11comp_targetILNS1_3genE0ELNS1_11target_archE4294967295ELNS1_3gpuE0ELNS1_3repE0EEENS1_30default_config_static_selectorELNS0_4arch9wavefront6targetE1EEEvT1_,"axG",@progbits,_ZN7rocprim17ROCPRIM_400000_NS6detail17trampoline_kernelINS0_14default_configENS1_20scan_config_selectorIsEEZZNS1_9scan_implILNS1_25lookback_scan_determinismE0ELb0ELb1ES3_N6thrust23THRUST_200600_302600_NS6detail15normal_iteratorINS9_10device_ptrIsEEEESE_sNS9_10multipliesIsEEsEEDaPvRmT3_T4_T5_mT6_P12ihipStream_tbENKUlT_T0_E_clISt17integral_constantIbLb1EESU_EEDaSP_SQ_EUlSP_E_NS1_11comp_targetILNS1_3genE0ELNS1_11target_archE4294967295ELNS1_3gpuE0ELNS1_3repE0EEENS1_30default_config_static_selectorELNS0_4arch9wavefront6targetE1EEEvT1_,comdat
	.protected	_ZN7rocprim17ROCPRIM_400000_NS6detail17trampoline_kernelINS0_14default_configENS1_20scan_config_selectorIsEEZZNS1_9scan_implILNS1_25lookback_scan_determinismE0ELb0ELb1ES3_N6thrust23THRUST_200600_302600_NS6detail15normal_iteratorINS9_10device_ptrIsEEEESE_sNS9_10multipliesIsEEsEEDaPvRmT3_T4_T5_mT6_P12ihipStream_tbENKUlT_T0_E_clISt17integral_constantIbLb1EESU_EEDaSP_SQ_EUlSP_E_NS1_11comp_targetILNS1_3genE0ELNS1_11target_archE4294967295ELNS1_3gpuE0ELNS1_3repE0EEENS1_30default_config_static_selectorELNS0_4arch9wavefront6targetE1EEEvT1_ ; -- Begin function _ZN7rocprim17ROCPRIM_400000_NS6detail17trampoline_kernelINS0_14default_configENS1_20scan_config_selectorIsEEZZNS1_9scan_implILNS1_25lookback_scan_determinismE0ELb0ELb1ES3_N6thrust23THRUST_200600_302600_NS6detail15normal_iteratorINS9_10device_ptrIsEEEESE_sNS9_10multipliesIsEEsEEDaPvRmT3_T4_T5_mT6_P12ihipStream_tbENKUlT_T0_E_clISt17integral_constantIbLb1EESU_EEDaSP_SQ_EUlSP_E_NS1_11comp_targetILNS1_3genE0ELNS1_11target_archE4294967295ELNS1_3gpuE0ELNS1_3repE0EEENS1_30default_config_static_selectorELNS0_4arch9wavefront6targetE1EEEvT1_
	.globl	_ZN7rocprim17ROCPRIM_400000_NS6detail17trampoline_kernelINS0_14default_configENS1_20scan_config_selectorIsEEZZNS1_9scan_implILNS1_25lookback_scan_determinismE0ELb0ELb1ES3_N6thrust23THRUST_200600_302600_NS6detail15normal_iteratorINS9_10device_ptrIsEEEESE_sNS9_10multipliesIsEEsEEDaPvRmT3_T4_T5_mT6_P12ihipStream_tbENKUlT_T0_E_clISt17integral_constantIbLb1EESU_EEDaSP_SQ_EUlSP_E_NS1_11comp_targetILNS1_3genE0ELNS1_11target_archE4294967295ELNS1_3gpuE0ELNS1_3repE0EEENS1_30default_config_static_selectorELNS0_4arch9wavefront6targetE1EEEvT1_
	.p2align	8
	.type	_ZN7rocprim17ROCPRIM_400000_NS6detail17trampoline_kernelINS0_14default_configENS1_20scan_config_selectorIsEEZZNS1_9scan_implILNS1_25lookback_scan_determinismE0ELb0ELb1ES3_N6thrust23THRUST_200600_302600_NS6detail15normal_iteratorINS9_10device_ptrIsEEEESE_sNS9_10multipliesIsEEsEEDaPvRmT3_T4_T5_mT6_P12ihipStream_tbENKUlT_T0_E_clISt17integral_constantIbLb1EESU_EEDaSP_SQ_EUlSP_E_NS1_11comp_targetILNS1_3genE0ELNS1_11target_archE4294967295ELNS1_3gpuE0ELNS1_3repE0EEENS1_30default_config_static_selectorELNS0_4arch9wavefront6targetE1EEEvT1_,@function
_ZN7rocprim17ROCPRIM_400000_NS6detail17trampoline_kernelINS0_14default_configENS1_20scan_config_selectorIsEEZZNS1_9scan_implILNS1_25lookback_scan_determinismE0ELb0ELb1ES3_N6thrust23THRUST_200600_302600_NS6detail15normal_iteratorINS9_10device_ptrIsEEEESE_sNS9_10multipliesIsEEsEEDaPvRmT3_T4_T5_mT6_P12ihipStream_tbENKUlT_T0_E_clISt17integral_constantIbLb1EESU_EEDaSP_SQ_EUlSP_E_NS1_11comp_targetILNS1_3genE0ELNS1_11target_archE4294967295ELNS1_3gpuE0ELNS1_3repE0EEENS1_30default_config_static_selectorELNS0_4arch9wavefront6targetE1EEEvT1_: ; @_ZN7rocprim17ROCPRIM_400000_NS6detail17trampoline_kernelINS0_14default_configENS1_20scan_config_selectorIsEEZZNS1_9scan_implILNS1_25lookback_scan_determinismE0ELb0ELb1ES3_N6thrust23THRUST_200600_302600_NS6detail15normal_iteratorINS9_10device_ptrIsEEEESE_sNS9_10multipliesIsEEsEEDaPvRmT3_T4_T5_mT6_P12ihipStream_tbENKUlT_T0_E_clISt17integral_constantIbLb1EESU_EEDaSP_SQ_EUlSP_E_NS1_11comp_targetILNS1_3genE0ELNS1_11target_archE4294967295ELNS1_3gpuE0ELNS1_3repE0EEENS1_30default_config_static_selectorELNS0_4arch9wavefront6targetE1EEEvT1_
; %bb.0:
	.section	.rodata,"a",@progbits
	.p2align	6, 0x0
	.amdhsa_kernel _ZN7rocprim17ROCPRIM_400000_NS6detail17trampoline_kernelINS0_14default_configENS1_20scan_config_selectorIsEEZZNS1_9scan_implILNS1_25lookback_scan_determinismE0ELb0ELb1ES3_N6thrust23THRUST_200600_302600_NS6detail15normal_iteratorINS9_10device_ptrIsEEEESE_sNS9_10multipliesIsEEsEEDaPvRmT3_T4_T5_mT6_P12ihipStream_tbENKUlT_T0_E_clISt17integral_constantIbLb1EESU_EEDaSP_SQ_EUlSP_E_NS1_11comp_targetILNS1_3genE0ELNS1_11target_archE4294967295ELNS1_3gpuE0ELNS1_3repE0EEENS1_30default_config_static_selectorELNS0_4arch9wavefront6targetE1EEEvT1_
		.amdhsa_group_segment_fixed_size 0
		.amdhsa_private_segment_fixed_size 0
		.amdhsa_kernarg_size 96
		.amdhsa_user_sgpr_count 6
		.amdhsa_user_sgpr_private_segment_buffer 1
		.amdhsa_user_sgpr_dispatch_ptr 0
		.amdhsa_user_sgpr_queue_ptr 0
		.amdhsa_user_sgpr_kernarg_segment_ptr 1
		.amdhsa_user_sgpr_dispatch_id 0
		.amdhsa_user_sgpr_flat_scratch_init 0
		.amdhsa_user_sgpr_kernarg_preload_length 0
		.amdhsa_user_sgpr_kernarg_preload_offset 0
		.amdhsa_user_sgpr_private_segment_size 0
		.amdhsa_uses_dynamic_stack 0
		.amdhsa_system_sgpr_private_segment_wavefront_offset 0
		.amdhsa_system_sgpr_workgroup_id_x 1
		.amdhsa_system_sgpr_workgroup_id_y 0
		.amdhsa_system_sgpr_workgroup_id_z 0
		.amdhsa_system_sgpr_workgroup_info 0
		.amdhsa_system_vgpr_workitem_id 0
		.amdhsa_next_free_vgpr 1
		.amdhsa_next_free_sgpr 0
		.amdhsa_accum_offset 4
		.amdhsa_reserve_vcc 0
		.amdhsa_reserve_flat_scratch 0
		.amdhsa_float_round_mode_32 0
		.amdhsa_float_round_mode_16_64 0
		.amdhsa_float_denorm_mode_32 3
		.amdhsa_float_denorm_mode_16_64 3
		.amdhsa_dx10_clamp 1
		.amdhsa_ieee_mode 1
		.amdhsa_fp16_overflow 0
		.amdhsa_tg_split 0
		.amdhsa_exception_fp_ieee_invalid_op 0
		.amdhsa_exception_fp_denorm_src 0
		.amdhsa_exception_fp_ieee_div_zero 0
		.amdhsa_exception_fp_ieee_overflow 0
		.amdhsa_exception_fp_ieee_underflow 0
		.amdhsa_exception_fp_ieee_inexact 0
		.amdhsa_exception_int_div_zero 0
	.end_amdhsa_kernel
	.section	.text._ZN7rocprim17ROCPRIM_400000_NS6detail17trampoline_kernelINS0_14default_configENS1_20scan_config_selectorIsEEZZNS1_9scan_implILNS1_25lookback_scan_determinismE0ELb0ELb1ES3_N6thrust23THRUST_200600_302600_NS6detail15normal_iteratorINS9_10device_ptrIsEEEESE_sNS9_10multipliesIsEEsEEDaPvRmT3_T4_T5_mT6_P12ihipStream_tbENKUlT_T0_E_clISt17integral_constantIbLb1EESU_EEDaSP_SQ_EUlSP_E_NS1_11comp_targetILNS1_3genE0ELNS1_11target_archE4294967295ELNS1_3gpuE0ELNS1_3repE0EEENS1_30default_config_static_selectorELNS0_4arch9wavefront6targetE1EEEvT1_,"axG",@progbits,_ZN7rocprim17ROCPRIM_400000_NS6detail17trampoline_kernelINS0_14default_configENS1_20scan_config_selectorIsEEZZNS1_9scan_implILNS1_25lookback_scan_determinismE0ELb0ELb1ES3_N6thrust23THRUST_200600_302600_NS6detail15normal_iteratorINS9_10device_ptrIsEEEESE_sNS9_10multipliesIsEEsEEDaPvRmT3_T4_T5_mT6_P12ihipStream_tbENKUlT_T0_E_clISt17integral_constantIbLb1EESU_EEDaSP_SQ_EUlSP_E_NS1_11comp_targetILNS1_3genE0ELNS1_11target_archE4294967295ELNS1_3gpuE0ELNS1_3repE0EEENS1_30default_config_static_selectorELNS0_4arch9wavefront6targetE1EEEvT1_,comdat
.Lfunc_end1141:
	.size	_ZN7rocprim17ROCPRIM_400000_NS6detail17trampoline_kernelINS0_14default_configENS1_20scan_config_selectorIsEEZZNS1_9scan_implILNS1_25lookback_scan_determinismE0ELb0ELb1ES3_N6thrust23THRUST_200600_302600_NS6detail15normal_iteratorINS9_10device_ptrIsEEEESE_sNS9_10multipliesIsEEsEEDaPvRmT3_T4_T5_mT6_P12ihipStream_tbENKUlT_T0_E_clISt17integral_constantIbLb1EESU_EEDaSP_SQ_EUlSP_E_NS1_11comp_targetILNS1_3genE0ELNS1_11target_archE4294967295ELNS1_3gpuE0ELNS1_3repE0EEENS1_30default_config_static_selectorELNS0_4arch9wavefront6targetE1EEEvT1_, .Lfunc_end1141-_ZN7rocprim17ROCPRIM_400000_NS6detail17trampoline_kernelINS0_14default_configENS1_20scan_config_selectorIsEEZZNS1_9scan_implILNS1_25lookback_scan_determinismE0ELb0ELb1ES3_N6thrust23THRUST_200600_302600_NS6detail15normal_iteratorINS9_10device_ptrIsEEEESE_sNS9_10multipliesIsEEsEEDaPvRmT3_T4_T5_mT6_P12ihipStream_tbENKUlT_T0_E_clISt17integral_constantIbLb1EESU_EEDaSP_SQ_EUlSP_E_NS1_11comp_targetILNS1_3genE0ELNS1_11target_archE4294967295ELNS1_3gpuE0ELNS1_3repE0EEENS1_30default_config_static_selectorELNS0_4arch9wavefront6targetE1EEEvT1_
                                        ; -- End function
	.section	.AMDGPU.csdata,"",@progbits
; Kernel info:
; codeLenInByte = 0
; NumSgprs: 4
; NumVgprs: 0
; NumAgprs: 0
; TotalNumVgprs: 0
; ScratchSize: 0
; MemoryBound: 0
; FloatMode: 240
; IeeeMode: 1
; LDSByteSize: 0 bytes/workgroup (compile time only)
; SGPRBlocks: 0
; VGPRBlocks: 0
; NumSGPRsForWavesPerEU: 4
; NumVGPRsForWavesPerEU: 1
; AccumOffset: 4
; Occupancy: 8
; WaveLimiterHint : 0
; COMPUTE_PGM_RSRC2:SCRATCH_EN: 0
; COMPUTE_PGM_RSRC2:USER_SGPR: 6
; COMPUTE_PGM_RSRC2:TRAP_HANDLER: 0
; COMPUTE_PGM_RSRC2:TGID_X_EN: 1
; COMPUTE_PGM_RSRC2:TGID_Y_EN: 0
; COMPUTE_PGM_RSRC2:TGID_Z_EN: 0
; COMPUTE_PGM_RSRC2:TIDIG_COMP_CNT: 0
; COMPUTE_PGM_RSRC3_GFX90A:ACCUM_OFFSET: 0
; COMPUTE_PGM_RSRC3_GFX90A:TG_SPLIT: 0
	.section	.text._ZN7rocprim17ROCPRIM_400000_NS6detail17trampoline_kernelINS0_14default_configENS1_20scan_config_selectorIsEEZZNS1_9scan_implILNS1_25lookback_scan_determinismE0ELb0ELb1ES3_N6thrust23THRUST_200600_302600_NS6detail15normal_iteratorINS9_10device_ptrIsEEEESE_sNS9_10multipliesIsEEsEEDaPvRmT3_T4_T5_mT6_P12ihipStream_tbENKUlT_T0_E_clISt17integral_constantIbLb1EESU_EEDaSP_SQ_EUlSP_E_NS1_11comp_targetILNS1_3genE5ELNS1_11target_archE942ELNS1_3gpuE9ELNS1_3repE0EEENS1_30default_config_static_selectorELNS0_4arch9wavefront6targetE1EEEvT1_,"axG",@progbits,_ZN7rocprim17ROCPRIM_400000_NS6detail17trampoline_kernelINS0_14default_configENS1_20scan_config_selectorIsEEZZNS1_9scan_implILNS1_25lookback_scan_determinismE0ELb0ELb1ES3_N6thrust23THRUST_200600_302600_NS6detail15normal_iteratorINS9_10device_ptrIsEEEESE_sNS9_10multipliesIsEEsEEDaPvRmT3_T4_T5_mT6_P12ihipStream_tbENKUlT_T0_E_clISt17integral_constantIbLb1EESU_EEDaSP_SQ_EUlSP_E_NS1_11comp_targetILNS1_3genE5ELNS1_11target_archE942ELNS1_3gpuE9ELNS1_3repE0EEENS1_30default_config_static_selectorELNS0_4arch9wavefront6targetE1EEEvT1_,comdat
	.protected	_ZN7rocprim17ROCPRIM_400000_NS6detail17trampoline_kernelINS0_14default_configENS1_20scan_config_selectorIsEEZZNS1_9scan_implILNS1_25lookback_scan_determinismE0ELb0ELb1ES3_N6thrust23THRUST_200600_302600_NS6detail15normal_iteratorINS9_10device_ptrIsEEEESE_sNS9_10multipliesIsEEsEEDaPvRmT3_T4_T5_mT6_P12ihipStream_tbENKUlT_T0_E_clISt17integral_constantIbLb1EESU_EEDaSP_SQ_EUlSP_E_NS1_11comp_targetILNS1_3genE5ELNS1_11target_archE942ELNS1_3gpuE9ELNS1_3repE0EEENS1_30default_config_static_selectorELNS0_4arch9wavefront6targetE1EEEvT1_ ; -- Begin function _ZN7rocprim17ROCPRIM_400000_NS6detail17trampoline_kernelINS0_14default_configENS1_20scan_config_selectorIsEEZZNS1_9scan_implILNS1_25lookback_scan_determinismE0ELb0ELb1ES3_N6thrust23THRUST_200600_302600_NS6detail15normal_iteratorINS9_10device_ptrIsEEEESE_sNS9_10multipliesIsEEsEEDaPvRmT3_T4_T5_mT6_P12ihipStream_tbENKUlT_T0_E_clISt17integral_constantIbLb1EESU_EEDaSP_SQ_EUlSP_E_NS1_11comp_targetILNS1_3genE5ELNS1_11target_archE942ELNS1_3gpuE9ELNS1_3repE0EEENS1_30default_config_static_selectorELNS0_4arch9wavefront6targetE1EEEvT1_
	.globl	_ZN7rocprim17ROCPRIM_400000_NS6detail17trampoline_kernelINS0_14default_configENS1_20scan_config_selectorIsEEZZNS1_9scan_implILNS1_25lookback_scan_determinismE0ELb0ELb1ES3_N6thrust23THRUST_200600_302600_NS6detail15normal_iteratorINS9_10device_ptrIsEEEESE_sNS9_10multipliesIsEEsEEDaPvRmT3_T4_T5_mT6_P12ihipStream_tbENKUlT_T0_E_clISt17integral_constantIbLb1EESU_EEDaSP_SQ_EUlSP_E_NS1_11comp_targetILNS1_3genE5ELNS1_11target_archE942ELNS1_3gpuE9ELNS1_3repE0EEENS1_30default_config_static_selectorELNS0_4arch9wavefront6targetE1EEEvT1_
	.p2align	8
	.type	_ZN7rocprim17ROCPRIM_400000_NS6detail17trampoline_kernelINS0_14default_configENS1_20scan_config_selectorIsEEZZNS1_9scan_implILNS1_25lookback_scan_determinismE0ELb0ELb1ES3_N6thrust23THRUST_200600_302600_NS6detail15normal_iteratorINS9_10device_ptrIsEEEESE_sNS9_10multipliesIsEEsEEDaPvRmT3_T4_T5_mT6_P12ihipStream_tbENKUlT_T0_E_clISt17integral_constantIbLb1EESU_EEDaSP_SQ_EUlSP_E_NS1_11comp_targetILNS1_3genE5ELNS1_11target_archE942ELNS1_3gpuE9ELNS1_3repE0EEENS1_30default_config_static_selectorELNS0_4arch9wavefront6targetE1EEEvT1_,@function
_ZN7rocprim17ROCPRIM_400000_NS6detail17trampoline_kernelINS0_14default_configENS1_20scan_config_selectorIsEEZZNS1_9scan_implILNS1_25lookback_scan_determinismE0ELb0ELb1ES3_N6thrust23THRUST_200600_302600_NS6detail15normal_iteratorINS9_10device_ptrIsEEEESE_sNS9_10multipliesIsEEsEEDaPvRmT3_T4_T5_mT6_P12ihipStream_tbENKUlT_T0_E_clISt17integral_constantIbLb1EESU_EEDaSP_SQ_EUlSP_E_NS1_11comp_targetILNS1_3genE5ELNS1_11target_archE942ELNS1_3gpuE9ELNS1_3repE0EEENS1_30default_config_static_selectorELNS0_4arch9wavefront6targetE1EEEvT1_: ; @_ZN7rocprim17ROCPRIM_400000_NS6detail17trampoline_kernelINS0_14default_configENS1_20scan_config_selectorIsEEZZNS1_9scan_implILNS1_25lookback_scan_determinismE0ELb0ELb1ES3_N6thrust23THRUST_200600_302600_NS6detail15normal_iteratorINS9_10device_ptrIsEEEESE_sNS9_10multipliesIsEEsEEDaPvRmT3_T4_T5_mT6_P12ihipStream_tbENKUlT_T0_E_clISt17integral_constantIbLb1EESU_EEDaSP_SQ_EUlSP_E_NS1_11comp_targetILNS1_3genE5ELNS1_11target_archE942ELNS1_3gpuE9ELNS1_3repE0EEENS1_30default_config_static_selectorELNS0_4arch9wavefront6targetE1EEEvT1_
; %bb.0:
	.section	.rodata,"a",@progbits
	.p2align	6, 0x0
	.amdhsa_kernel _ZN7rocprim17ROCPRIM_400000_NS6detail17trampoline_kernelINS0_14default_configENS1_20scan_config_selectorIsEEZZNS1_9scan_implILNS1_25lookback_scan_determinismE0ELb0ELb1ES3_N6thrust23THRUST_200600_302600_NS6detail15normal_iteratorINS9_10device_ptrIsEEEESE_sNS9_10multipliesIsEEsEEDaPvRmT3_T4_T5_mT6_P12ihipStream_tbENKUlT_T0_E_clISt17integral_constantIbLb1EESU_EEDaSP_SQ_EUlSP_E_NS1_11comp_targetILNS1_3genE5ELNS1_11target_archE942ELNS1_3gpuE9ELNS1_3repE0EEENS1_30default_config_static_selectorELNS0_4arch9wavefront6targetE1EEEvT1_
		.amdhsa_group_segment_fixed_size 0
		.amdhsa_private_segment_fixed_size 0
		.amdhsa_kernarg_size 96
		.amdhsa_user_sgpr_count 6
		.amdhsa_user_sgpr_private_segment_buffer 1
		.amdhsa_user_sgpr_dispatch_ptr 0
		.amdhsa_user_sgpr_queue_ptr 0
		.amdhsa_user_sgpr_kernarg_segment_ptr 1
		.amdhsa_user_sgpr_dispatch_id 0
		.amdhsa_user_sgpr_flat_scratch_init 0
		.amdhsa_user_sgpr_kernarg_preload_length 0
		.amdhsa_user_sgpr_kernarg_preload_offset 0
		.amdhsa_user_sgpr_private_segment_size 0
		.amdhsa_uses_dynamic_stack 0
		.amdhsa_system_sgpr_private_segment_wavefront_offset 0
		.amdhsa_system_sgpr_workgroup_id_x 1
		.amdhsa_system_sgpr_workgroup_id_y 0
		.amdhsa_system_sgpr_workgroup_id_z 0
		.amdhsa_system_sgpr_workgroup_info 0
		.amdhsa_system_vgpr_workitem_id 0
		.amdhsa_next_free_vgpr 1
		.amdhsa_next_free_sgpr 0
		.amdhsa_accum_offset 4
		.amdhsa_reserve_vcc 0
		.amdhsa_reserve_flat_scratch 0
		.amdhsa_float_round_mode_32 0
		.amdhsa_float_round_mode_16_64 0
		.amdhsa_float_denorm_mode_32 3
		.amdhsa_float_denorm_mode_16_64 3
		.amdhsa_dx10_clamp 1
		.amdhsa_ieee_mode 1
		.amdhsa_fp16_overflow 0
		.amdhsa_tg_split 0
		.amdhsa_exception_fp_ieee_invalid_op 0
		.amdhsa_exception_fp_denorm_src 0
		.amdhsa_exception_fp_ieee_div_zero 0
		.amdhsa_exception_fp_ieee_overflow 0
		.amdhsa_exception_fp_ieee_underflow 0
		.amdhsa_exception_fp_ieee_inexact 0
		.amdhsa_exception_int_div_zero 0
	.end_amdhsa_kernel
	.section	.text._ZN7rocprim17ROCPRIM_400000_NS6detail17trampoline_kernelINS0_14default_configENS1_20scan_config_selectorIsEEZZNS1_9scan_implILNS1_25lookback_scan_determinismE0ELb0ELb1ES3_N6thrust23THRUST_200600_302600_NS6detail15normal_iteratorINS9_10device_ptrIsEEEESE_sNS9_10multipliesIsEEsEEDaPvRmT3_T4_T5_mT6_P12ihipStream_tbENKUlT_T0_E_clISt17integral_constantIbLb1EESU_EEDaSP_SQ_EUlSP_E_NS1_11comp_targetILNS1_3genE5ELNS1_11target_archE942ELNS1_3gpuE9ELNS1_3repE0EEENS1_30default_config_static_selectorELNS0_4arch9wavefront6targetE1EEEvT1_,"axG",@progbits,_ZN7rocprim17ROCPRIM_400000_NS6detail17trampoline_kernelINS0_14default_configENS1_20scan_config_selectorIsEEZZNS1_9scan_implILNS1_25lookback_scan_determinismE0ELb0ELb1ES3_N6thrust23THRUST_200600_302600_NS6detail15normal_iteratorINS9_10device_ptrIsEEEESE_sNS9_10multipliesIsEEsEEDaPvRmT3_T4_T5_mT6_P12ihipStream_tbENKUlT_T0_E_clISt17integral_constantIbLb1EESU_EEDaSP_SQ_EUlSP_E_NS1_11comp_targetILNS1_3genE5ELNS1_11target_archE942ELNS1_3gpuE9ELNS1_3repE0EEENS1_30default_config_static_selectorELNS0_4arch9wavefront6targetE1EEEvT1_,comdat
.Lfunc_end1142:
	.size	_ZN7rocprim17ROCPRIM_400000_NS6detail17trampoline_kernelINS0_14default_configENS1_20scan_config_selectorIsEEZZNS1_9scan_implILNS1_25lookback_scan_determinismE0ELb0ELb1ES3_N6thrust23THRUST_200600_302600_NS6detail15normal_iteratorINS9_10device_ptrIsEEEESE_sNS9_10multipliesIsEEsEEDaPvRmT3_T4_T5_mT6_P12ihipStream_tbENKUlT_T0_E_clISt17integral_constantIbLb1EESU_EEDaSP_SQ_EUlSP_E_NS1_11comp_targetILNS1_3genE5ELNS1_11target_archE942ELNS1_3gpuE9ELNS1_3repE0EEENS1_30default_config_static_selectorELNS0_4arch9wavefront6targetE1EEEvT1_, .Lfunc_end1142-_ZN7rocprim17ROCPRIM_400000_NS6detail17trampoline_kernelINS0_14default_configENS1_20scan_config_selectorIsEEZZNS1_9scan_implILNS1_25lookback_scan_determinismE0ELb0ELb1ES3_N6thrust23THRUST_200600_302600_NS6detail15normal_iteratorINS9_10device_ptrIsEEEESE_sNS9_10multipliesIsEEsEEDaPvRmT3_T4_T5_mT6_P12ihipStream_tbENKUlT_T0_E_clISt17integral_constantIbLb1EESU_EEDaSP_SQ_EUlSP_E_NS1_11comp_targetILNS1_3genE5ELNS1_11target_archE942ELNS1_3gpuE9ELNS1_3repE0EEENS1_30default_config_static_selectorELNS0_4arch9wavefront6targetE1EEEvT1_
                                        ; -- End function
	.section	.AMDGPU.csdata,"",@progbits
; Kernel info:
; codeLenInByte = 0
; NumSgprs: 4
; NumVgprs: 0
; NumAgprs: 0
; TotalNumVgprs: 0
; ScratchSize: 0
; MemoryBound: 0
; FloatMode: 240
; IeeeMode: 1
; LDSByteSize: 0 bytes/workgroup (compile time only)
; SGPRBlocks: 0
; VGPRBlocks: 0
; NumSGPRsForWavesPerEU: 4
; NumVGPRsForWavesPerEU: 1
; AccumOffset: 4
; Occupancy: 8
; WaveLimiterHint : 0
; COMPUTE_PGM_RSRC2:SCRATCH_EN: 0
; COMPUTE_PGM_RSRC2:USER_SGPR: 6
; COMPUTE_PGM_RSRC2:TRAP_HANDLER: 0
; COMPUTE_PGM_RSRC2:TGID_X_EN: 1
; COMPUTE_PGM_RSRC2:TGID_Y_EN: 0
; COMPUTE_PGM_RSRC2:TGID_Z_EN: 0
; COMPUTE_PGM_RSRC2:TIDIG_COMP_CNT: 0
; COMPUTE_PGM_RSRC3_GFX90A:ACCUM_OFFSET: 0
; COMPUTE_PGM_RSRC3_GFX90A:TG_SPLIT: 0
	.section	.text._ZN7rocprim17ROCPRIM_400000_NS6detail17trampoline_kernelINS0_14default_configENS1_20scan_config_selectorIsEEZZNS1_9scan_implILNS1_25lookback_scan_determinismE0ELb0ELb1ES3_N6thrust23THRUST_200600_302600_NS6detail15normal_iteratorINS9_10device_ptrIsEEEESE_sNS9_10multipliesIsEEsEEDaPvRmT3_T4_T5_mT6_P12ihipStream_tbENKUlT_T0_E_clISt17integral_constantIbLb1EESU_EEDaSP_SQ_EUlSP_E_NS1_11comp_targetILNS1_3genE4ELNS1_11target_archE910ELNS1_3gpuE8ELNS1_3repE0EEENS1_30default_config_static_selectorELNS0_4arch9wavefront6targetE1EEEvT1_,"axG",@progbits,_ZN7rocprim17ROCPRIM_400000_NS6detail17trampoline_kernelINS0_14default_configENS1_20scan_config_selectorIsEEZZNS1_9scan_implILNS1_25lookback_scan_determinismE0ELb0ELb1ES3_N6thrust23THRUST_200600_302600_NS6detail15normal_iteratorINS9_10device_ptrIsEEEESE_sNS9_10multipliesIsEEsEEDaPvRmT3_T4_T5_mT6_P12ihipStream_tbENKUlT_T0_E_clISt17integral_constantIbLb1EESU_EEDaSP_SQ_EUlSP_E_NS1_11comp_targetILNS1_3genE4ELNS1_11target_archE910ELNS1_3gpuE8ELNS1_3repE0EEENS1_30default_config_static_selectorELNS0_4arch9wavefront6targetE1EEEvT1_,comdat
	.protected	_ZN7rocprim17ROCPRIM_400000_NS6detail17trampoline_kernelINS0_14default_configENS1_20scan_config_selectorIsEEZZNS1_9scan_implILNS1_25lookback_scan_determinismE0ELb0ELb1ES3_N6thrust23THRUST_200600_302600_NS6detail15normal_iteratorINS9_10device_ptrIsEEEESE_sNS9_10multipliesIsEEsEEDaPvRmT3_T4_T5_mT6_P12ihipStream_tbENKUlT_T0_E_clISt17integral_constantIbLb1EESU_EEDaSP_SQ_EUlSP_E_NS1_11comp_targetILNS1_3genE4ELNS1_11target_archE910ELNS1_3gpuE8ELNS1_3repE0EEENS1_30default_config_static_selectorELNS0_4arch9wavefront6targetE1EEEvT1_ ; -- Begin function _ZN7rocprim17ROCPRIM_400000_NS6detail17trampoline_kernelINS0_14default_configENS1_20scan_config_selectorIsEEZZNS1_9scan_implILNS1_25lookback_scan_determinismE0ELb0ELb1ES3_N6thrust23THRUST_200600_302600_NS6detail15normal_iteratorINS9_10device_ptrIsEEEESE_sNS9_10multipliesIsEEsEEDaPvRmT3_T4_T5_mT6_P12ihipStream_tbENKUlT_T0_E_clISt17integral_constantIbLb1EESU_EEDaSP_SQ_EUlSP_E_NS1_11comp_targetILNS1_3genE4ELNS1_11target_archE910ELNS1_3gpuE8ELNS1_3repE0EEENS1_30default_config_static_selectorELNS0_4arch9wavefront6targetE1EEEvT1_
	.globl	_ZN7rocprim17ROCPRIM_400000_NS6detail17trampoline_kernelINS0_14default_configENS1_20scan_config_selectorIsEEZZNS1_9scan_implILNS1_25lookback_scan_determinismE0ELb0ELb1ES3_N6thrust23THRUST_200600_302600_NS6detail15normal_iteratorINS9_10device_ptrIsEEEESE_sNS9_10multipliesIsEEsEEDaPvRmT3_T4_T5_mT6_P12ihipStream_tbENKUlT_T0_E_clISt17integral_constantIbLb1EESU_EEDaSP_SQ_EUlSP_E_NS1_11comp_targetILNS1_3genE4ELNS1_11target_archE910ELNS1_3gpuE8ELNS1_3repE0EEENS1_30default_config_static_selectorELNS0_4arch9wavefront6targetE1EEEvT1_
	.p2align	8
	.type	_ZN7rocprim17ROCPRIM_400000_NS6detail17trampoline_kernelINS0_14default_configENS1_20scan_config_selectorIsEEZZNS1_9scan_implILNS1_25lookback_scan_determinismE0ELb0ELb1ES3_N6thrust23THRUST_200600_302600_NS6detail15normal_iteratorINS9_10device_ptrIsEEEESE_sNS9_10multipliesIsEEsEEDaPvRmT3_T4_T5_mT6_P12ihipStream_tbENKUlT_T0_E_clISt17integral_constantIbLb1EESU_EEDaSP_SQ_EUlSP_E_NS1_11comp_targetILNS1_3genE4ELNS1_11target_archE910ELNS1_3gpuE8ELNS1_3repE0EEENS1_30default_config_static_selectorELNS0_4arch9wavefront6targetE1EEEvT1_,@function
_ZN7rocprim17ROCPRIM_400000_NS6detail17trampoline_kernelINS0_14default_configENS1_20scan_config_selectorIsEEZZNS1_9scan_implILNS1_25lookback_scan_determinismE0ELb0ELb1ES3_N6thrust23THRUST_200600_302600_NS6detail15normal_iteratorINS9_10device_ptrIsEEEESE_sNS9_10multipliesIsEEsEEDaPvRmT3_T4_T5_mT6_P12ihipStream_tbENKUlT_T0_E_clISt17integral_constantIbLb1EESU_EEDaSP_SQ_EUlSP_E_NS1_11comp_targetILNS1_3genE4ELNS1_11target_archE910ELNS1_3gpuE8ELNS1_3repE0EEENS1_30default_config_static_selectorELNS0_4arch9wavefront6targetE1EEEvT1_: ; @_ZN7rocprim17ROCPRIM_400000_NS6detail17trampoline_kernelINS0_14default_configENS1_20scan_config_selectorIsEEZZNS1_9scan_implILNS1_25lookback_scan_determinismE0ELb0ELb1ES3_N6thrust23THRUST_200600_302600_NS6detail15normal_iteratorINS9_10device_ptrIsEEEESE_sNS9_10multipliesIsEEsEEDaPvRmT3_T4_T5_mT6_P12ihipStream_tbENKUlT_T0_E_clISt17integral_constantIbLb1EESU_EEDaSP_SQ_EUlSP_E_NS1_11comp_targetILNS1_3genE4ELNS1_11target_archE910ELNS1_3gpuE8ELNS1_3repE0EEENS1_30default_config_static_selectorELNS0_4arch9wavefront6targetE1EEEvT1_
; %bb.0:
	s_load_dwordx2 s[10:11], s[4:5], 0x28
	v_cmp_ne_u32_e64 s[0:1], 0, v0
	v_cmp_eq_u32_e64 s[2:3], 0, v0
	s_and_saveexec_b64 s[6:7], s[2:3]
	s_cbranch_execz .LBB1143_4
; %bb.1:
	s_mov_b64 s[12:13], exec
	v_mbcnt_lo_u32_b32 v1, s12, 0
	v_mbcnt_hi_u32_b32 v1, s13, v1
	v_cmp_eq_u32_e32 vcc, 0, v1
                                        ; implicit-def: $vgpr2
	s_and_saveexec_b64 s[8:9], vcc
	s_cbranch_execz .LBB1143_3
; %bb.2:
	s_load_dwordx2 s[14:15], s[4:5], 0x58
	s_bcnt1_i32_b64 s12, s[12:13]
	v_mov_b32_e32 v2, 0
	v_mov_b32_e32 v3, s12
	s_waitcnt lgkmcnt(0)
	global_atomic_add v2, v2, v3, s[14:15] glc
.LBB1143_3:
	s_or_b64 exec, exec, s[8:9]
	s_waitcnt vmcnt(0)
	v_readfirstlane_b32 s8, v2
	v_add_u32_e32 v1, s8, v1
	v_mov_b32_e32 v2, 0
	ds_write_b32 v2, v1
.LBB1143_4:
	s_or_b64 exec, exec, s[6:7]
	s_load_dwordx8 s[20:27], s[4:5], 0x0
	s_load_dword s33, s[4:5], 0x20
	s_load_dword s6, s[4:5], 0x30
	s_load_dwordx8 s[12:19], s[4:5], 0x38
	v_mov_b32_e32 v1, 0
	s_waitcnt lgkmcnt(0)
	; wave barrier
	s_waitcnt lgkmcnt(0)
	ds_read_b32 v1, v1
	s_lshl_b64 s[22:23], s[22:23], 1
	s_add_u32 s7, s20, s22
	s_addc_u32 s8, s21, s23
	s_add_i32 s6, s6, -1
	s_mul_i32 s9, s6, 0x600
	s_sub_u32 s30, s26, s9
	s_waitcnt lgkmcnt(0)
	v_readfirstlane_b32 s34, v1
	s_subb_u32 s31, s27, 0
	s_mul_i32 s4, s34, 0x600
	s_mov_b32 s5, 0
	s_cmp_lg_u32 s34, s6
	s_cselect_b64 s[20:21], -1, 0
	s_lshl_b64 s[26:27], s[4:5], 1
	s_add_u32 s6, s7, s26
	s_addc_u32 s7, s8, s27
	s_mov_b64 s[4:5], -1
	s_and_b64 vcc, exec, s[20:21]
	v_lshlrev_b32_e32 v20, 1, v0
	s_waitcnt lgkmcnt(0)
	; wave barrier
	s_cbranch_vccz .LBB1143_6
; %bb.5:
	v_mov_b32_e32 v1, s7
	v_add_co_u32_e32 v2, vcc, s6, v20
	v_addc_co_u32_e32 v3, vcc, 0, v1, vcc
	flat_load_ushort v1, v[2:3]
	flat_load_ushort v4, v[2:3] offset:128
	flat_load_ushort v5, v[2:3] offset:256
	;; [unrolled: 1-line block ×23, first 2 shown]
	s_mov_b64 s[4:5], 0
	s_waitcnt vmcnt(0) lgkmcnt(0)
	ds_write_b16 v20, v1
	ds_write_b16 v20, v4 offset:128
	ds_write_b16 v20, v5 offset:256
	ds_write_b16 v20, v6 offset:384
	ds_write_b16 v20, v7 offset:512
	ds_write_b16 v20, v8 offset:640
	ds_write_b16 v20, v9 offset:768
	ds_write_b16 v20, v10 offset:896
	ds_write_b16 v20, v11 offset:1024
	ds_write_b16 v20, v12 offset:1152
	ds_write_b16 v20, v13 offset:1280
	ds_write_b16 v20, v14 offset:1408
	ds_write_b16 v20, v15 offset:1536
	ds_write_b16 v20, v16 offset:1664
	ds_write_b16 v20, v17 offset:1792
	ds_write_b16 v20, v18 offset:1920
	ds_write_b16 v20, v19 offset:2048
	ds_write_b16 v20, v21 offset:2176
	ds_write_b16 v20, v22 offset:2304
	ds_write_b16 v20, v23 offset:2432
	ds_write_b16 v20, v24 offset:2560
	ds_write_b16 v20, v25 offset:2688
	ds_write_b16 v20, v26 offset:2816
	ds_write_b16 v20, v27 offset:2944
	s_waitcnt lgkmcnt(0)
	; wave barrier
.LBB1143_6:
	s_andn2_b64 vcc, exec, s[4:5]
	v_cmp_gt_u32_e64 s[4:5], s30, v0
	s_cbranch_vccnz .LBB1143_56
; %bb.7:
	v_pk_mov_b32 v[2:3], s[6:7], s[6:7] op_sel:[0,1]
	flat_load_ushort v1, v[2:3]
	s_waitcnt vmcnt(0) lgkmcnt(0)
	v_mov_b32_e32 v2, v1
	s_and_saveexec_b64 s[8:9], s[4:5]
	s_cbranch_execz .LBB1143_9
; %bb.8:
	v_mov_b32_e32 v3, s7
	v_add_co_u32_e32 v2, vcc, s6, v20
	v_addc_co_u32_e32 v3, vcc, 0, v3, vcc
	flat_load_ushort v2, v[2:3]
.LBB1143_9:
	s_or_b64 exec, exec, s[8:9]
	v_or_b32_e32 v3, 64, v0
	v_cmp_gt_u32_e32 vcc, s30, v3
	v_mov_b32_e32 v3, v1
	s_and_saveexec_b64 s[4:5], vcc
	s_cbranch_execz .LBB1143_11
; %bb.10:
	v_mov_b32_e32 v3, s7
	v_add_co_u32_e32 v4, vcc, s6, v20
	v_addc_co_u32_e32 v5, vcc, 0, v3, vcc
	flat_load_ushort v3, v[4:5] offset:128
.LBB1143_11:
	s_or_b64 exec, exec, s[4:5]
	v_or_b32_e32 v4, 0x80, v0
	v_cmp_gt_u32_e32 vcc, s30, v4
	v_mov_b32_e32 v4, v1
	s_and_saveexec_b64 s[4:5], vcc
	s_cbranch_execz .LBB1143_13
; %bb.12:
	v_mov_b32_e32 v5, s7
	v_add_co_u32_e32 v4, vcc, s6, v20
	v_addc_co_u32_e32 v5, vcc, 0, v5, vcc
	flat_load_ushort v4, v[4:5] offset:256
.LBB1143_13:
	;; [unrolled: 12-line block ×22, first 2 shown]
	s_or_b64 exec, exec, s[4:5]
	v_or_b32_e32 v26, 0x5c0, v0
	v_cmp_gt_u32_e32 vcc, s30, v26
	s_and_saveexec_b64 s[4:5], vcc
	s_cbranch_execz .LBB1143_55
; %bb.54:
	v_mov_b32_e32 v1, s7
	v_add_co_u32_e32 v26, vcc, s6, v20
	v_addc_co_u32_e32 v27, vcc, 0, v1, vcc
	flat_load_ushort v1, v[26:27] offset:2944
.LBB1143_55:
	s_or_b64 exec, exec, s[4:5]
	s_waitcnt vmcnt(0) lgkmcnt(0)
	ds_write_b16 v20, v2
	ds_write_b16 v20, v3 offset:128
	ds_write_b16 v20, v4 offset:256
	;; [unrolled: 1-line block ×23, first 2 shown]
	s_waitcnt lgkmcnt(0)
	; wave barrier
.LBB1143_56:
	v_mul_u32_u24_e32 v21, 24, v0
	v_lshlrev_b32_e32 v1, 1, v21
	s_waitcnt lgkmcnt(0)
	ds_read_b128 v[10:13], v1
	ds_read_b128 v[6:9], v1 offset:16
	ds_read_b128 v[2:5], v1 offset:32
	s_cmp_lg_u32 s34, 0
	v_mbcnt_lo_u32_b32 v22, -1, 0
	v_cmp_eq_u32_e32 vcc, 63, v0
	s_waitcnt lgkmcnt(0)
	; wave barrier
	s_waitcnt lgkmcnt(0)
	s_cbranch_scc0 .LBB1143_83
; %bb.57:
	v_mul_lo_u16_sdwa v14, v10, v10 dst_sel:DWORD dst_unused:UNUSED_PAD src0_sel:WORD_1 src1_sel:DWORD
	v_mul_lo_u16_e32 v14, v14, v11
	v_mul_lo_u16_sdwa v14, v14, v11 dst_sel:DWORD dst_unused:UNUSED_PAD src0_sel:DWORD src1_sel:WORD_1
	v_mul_lo_u16_e32 v14, v14, v12
	v_mul_lo_u16_sdwa v14, v14, v12 dst_sel:DWORD dst_unused:UNUSED_PAD src0_sel:DWORD src1_sel:WORD_1
	;; [unrolled: 2-line block ×11, first 2 shown]
	v_mbcnt_hi_u32_b32 v15, -1, v22
	v_and_b32_e32 v16, 15, v15
	v_mov_b32_dpp v17, v14 row_shr:1 row_mask:0xf bank_mask:0xf
	v_mul_lo_u16_e32 v17, v14, v17
	v_cmp_eq_u32_e64 s[4:5], 0, v16
	v_cndmask_b32_e64 v14, v17, v14, s[4:5]
	v_cmp_lt_u32_e64 s[4:5], 1, v16
	s_nop 0
	v_mov_b32_dpp v17, v14 row_shr:2 row_mask:0xf bank_mask:0xf
	v_mul_lo_u16_e32 v17, v14, v17
	v_cndmask_b32_e64 v14, v14, v17, s[4:5]
	v_cmp_lt_u32_e64 s[4:5], 3, v16
	s_nop 0
	v_mov_b32_dpp v17, v14 row_shr:4 row_mask:0xf bank_mask:0xf
	v_mul_lo_u16_e32 v17, v14, v17
	;; [unrolled: 5-line block ×3, first 2 shown]
	v_cndmask_b32_e64 v14, v14, v17, s[4:5]
	v_and_b32_e32 v17, 16, v15
	v_cmp_eq_u32_e64 s[4:5], 0, v17
	v_mov_b32_dpp v16, v14 row_bcast:15 row_mask:0xf bank_mask:0xf
	v_mul_lo_u16_e32 v16, v14, v16
	v_cndmask_b32_e64 v14, v16, v14, s[4:5]
	v_cmp_lt_u32_e64 s[4:5], 31, v15
	s_nop 0
	v_mov_b32_dpp v16, v14 row_bcast:31 row_mask:0xf bank_mask:0xf
	v_cndmask_b32_e64 v16, 1, v16, s[4:5]
	v_mul_lo_u16_e32 v14, v14, v16
	s_and_saveexec_b64 s[4:5], vcc
	s_cbranch_execz .LBB1143_59
; %bb.58:
	v_mov_b32_e32 v16, 0
	ds_write_b16 v16, v14
.LBB1143_59:
	s_or_b64 exec, exec, s[4:5]
	v_add_u32_e32 v16, -1, v15
	v_and_b32_e32 v17, 64, v15
	v_cmp_lt_i32_e32 vcc, v16, v17
	v_cndmask_b32_e32 v16, v16, v15, vcc
	v_lshlrev_b32_e32 v16, 2, v16
	ds_bpermute_b32 v23, v16, v14
	v_cmp_gt_u32_e32 vcc, 64, v0
	s_waitcnt lgkmcnt(0)
	; wave barrier
	s_waitcnt lgkmcnt(0)
	s_and_saveexec_b64 s[28:29], vcc
	s_cbranch_execz .LBB1143_82
; %bb.60:
	v_mov_b32_e32 v19, 0
	ds_read_u16 v24, v19
	s_mov_b32 s9, 0
	v_cmp_eq_u32_e64 s[4:5], 0, v15
	s_and_saveexec_b64 s[6:7], s[4:5]
	s_cbranch_execz .LBB1143_62
; %bb.61:
	s_add_i32 s8, s34, 64
	s_lshl_b64 s[8:9], s[8:9], 2
	s_add_u32 s8, s10, s8
	s_waitcnt lgkmcnt(0)
	v_or_b32_e32 v14, 0x10000, v24
	s_addc_u32 s9, s11, s9
	global_store_dword v19, v14, s[8:9]
.LBB1143_62:
	s_or_b64 exec, exec, s[6:7]
	v_xad_u32 v14, v15, -1, s34
	v_add_u32_e32 v18, 64, v14
	v_lshlrev_b64 v[16:17], 2, v[18:19]
	v_mov_b32_e32 v18, s11
	v_add_co_u32_e32 v16, vcc, s10, v16
	v_addc_co_u32_e32 v17, vcc, v18, v17, vcc
	global_load_dword v18, v[16:17], off glc
	s_waitcnt vmcnt(0)
	v_lshrrev_b32_e32 v28, 16, v18
	v_cmp_eq_u16_sdwa s[8:9], v28, v19 src0_sel:BYTE_0 src1_sel:DWORD
	s_and_saveexec_b64 s[6:7], s[8:9]
	s_cbranch_execz .LBB1143_68
; %bb.63:
	s_mov_b32 s35, 1
	s_mov_b64 s[8:9], 0
	v_mov_b32_e32 v19, 0
.LBB1143_64:                            ; =>This Loop Header: Depth=1
                                        ;     Child Loop BB1143_65 Depth 2
	s_max_u32 s36, s35, 1
.LBB1143_65:                            ;   Parent Loop BB1143_64 Depth=1
                                        ; =>  This Inner Loop Header: Depth=2
	s_add_i32 s36, s36, -1
	s_cmp_eq_u32 s36, 0
	s_sleep 1
	s_cbranch_scc0 .LBB1143_65
; %bb.66:                               ;   in Loop: Header=BB1143_64 Depth=1
	global_load_dword v18, v[16:17], off glc
	s_cmp_lt_u32 s35, 32
	s_cselect_b64 s[36:37], -1, 0
	s_cmp_lg_u64 s[36:37], 0
	s_addc_u32 s35, s35, 0
	s_waitcnt vmcnt(0)
	v_lshrrev_b32_e32 v28, 16, v18
	v_cmp_ne_u16_sdwa s[36:37], v28, v19 src0_sel:BYTE_0 src1_sel:DWORD
	s_or_b64 s[8:9], s[36:37], s[8:9]
	s_andn2_b64 exec, exec, s[8:9]
	s_cbranch_execnz .LBB1143_64
; %bb.67:
	s_or_b64 exec, exec, s[8:9]
.LBB1143_68:
	s_or_b64 exec, exec, s[6:7]
	v_and_b32_e32 v26, 63, v15
	v_cmp_ne_u32_e32 vcc, 63, v26
	v_mov_b32_e32 v25, 2
	v_addc_co_u32_e32 v27, vcc, 0, v15, vcc
	v_cmp_eq_u16_sdwa s[6:7], v28, v25 src0_sel:BYTE_0 src1_sel:DWORD
	v_lshlrev_b64 v[16:17], v15, -1
	v_and_b32_e32 v30, 0xffff, v18
	v_lshlrev_b32_e32 v27, 2, v27
	v_and_b32_e32 v19, s7, v17
	ds_bpermute_b32 v31, v27, v30
	v_or_b32_e32 v19, 0x80000000, v19
	v_and_b32_e32 v29, s6, v16
	v_ffbl_b32_e32 v19, v19
	v_add_u32_e32 v19, 32, v19
	v_ffbl_b32_e32 v29, v29
	v_cmp_gt_u32_e64 s[6:7], 62, v26
	v_min_u32_e32 v19, v29, v19
	v_cndmask_b32_e64 v29, 0, 1, s[6:7]
	s_waitcnt lgkmcnt(0)
	v_mul_lo_u16_e32 v31, v31, v18
	v_cmp_lt_u32_e32 vcc, v26, v19
	v_lshlrev_b32_e32 v29, 1, v29
	v_cndmask_b32_e32 v32, v30, v31, vcc
	v_add_lshl_u32 v29, v29, v15, 2
	ds_bpermute_b32 v33, v29, v32
	v_cmp_gt_u32_e64 s[8:9], 60, v26
	v_cndmask_b32_e32 v34, v18, v31, vcc
	v_add_u32_e32 v30, 2, v26
	v_cndmask_b32_e64 v31, 0, 1, s[8:9]
	s_waitcnt lgkmcnt(0)
	v_mul_lo_u16_e32 v33, v34, v33
	v_cmp_gt_u32_e64 s[6:7], v30, v19
	v_lshlrev_b32_e32 v31, 2, v31
	v_cndmask_b32_e64 v35, v33, v32, s[6:7]
	v_add_lshl_u32 v31, v31, v15, 2
	ds_bpermute_b32 v36, v31, v35
	v_cmp_gt_u32_e64 s[8:9], 56, v26
	v_cndmask_b32_e64 v34, v33, v34, s[6:7]
	v_add_u32_e32 v32, 4, v26
	v_cndmask_b32_e64 v33, 0, 1, s[8:9]
	s_waitcnt lgkmcnt(0)
	v_mul_lo_u16_e32 v36, v34, v36
	v_cmp_gt_u32_e64 s[6:7], v32, v19
	v_lshlrev_b32_e32 v33, 3, v33
	v_cndmask_b32_e64 v35, v36, v35, s[6:7]
	v_add_lshl_u32 v33, v33, v15, 2
	ds_bpermute_b32 v37, v33, v35
	v_cndmask_b32_e64 v36, v36, v34, s[6:7]
	v_add_u32_e32 v34, 8, v26
	v_cmp_gt_u32_e64 s[6:7], v34, v19
	v_cmp_gt_u32_e64 s[8:9], 48, v26
	s_waitcnt lgkmcnt(0)
	v_mul_lo_u16_e32 v37, v36, v37
	v_cndmask_b32_e64 v38, v37, v35, s[6:7]
	v_cndmask_b32_e64 v35, 0, 1, s[8:9]
	v_lshlrev_b32_e32 v35, 4, v35
	v_add_lshl_u32 v35, v35, v15, 2
	ds_bpermute_b32 v39, v35, v38
	v_cndmask_b32_e64 v37, v37, v36, s[6:7]
	v_add_u32_e32 v36, 16, v26
	v_cmp_gt_u32_e64 s[6:7], v36, v19
	v_cmp_gt_u32_e64 s[8:9], 32, v26
	s_waitcnt lgkmcnt(0)
	v_mul_lo_u16_e32 v40, v37, v39
	v_cndmask_b32_e64 v39, v40, v38, s[6:7]
	v_cndmask_b32_e64 v38, 0, 1, s[8:9]
	v_lshlrev_b32_e32 v38, 5, v38
	v_add_lshl_u32 v38, v38, v15, 2
	ds_bpermute_b32 v15, v38, v39
	v_add_u32_e32 v39, 32, v26
	v_cndmask_b32_e64 v37, v40, v37, s[6:7]
	v_cmp_le_u32_e64 s[6:7], v39, v19
	s_waitcnt lgkmcnt(0)
	v_cndmask_b32_e64 v15, 1, v15, s[6:7]
	v_mul_lo_u16_e32 v15, v37, v15
	v_cndmask_b32_e32 v18, v18, v15, vcc
	v_mov_b32_e32 v15, 0
	s_branch .LBB1143_70
.LBB1143_69:                            ;   in Loop: Header=BB1143_70 Depth=1
	s_or_b64 exec, exec, s[6:7]
	v_cmp_eq_u16_sdwa s[6:7], v28, v25 src0_sel:BYTE_0 src1_sel:DWORD
	v_and_b32_e32 v41, 0xffff, v40
	v_and_b32_e32 v18, s7, v17
	ds_bpermute_b32 v42, v27, v41
	v_or_b32_e32 v18, 0x80000000, v18
	v_and_b32_e32 v19, s6, v16
	v_ffbl_b32_e32 v18, v18
	v_add_u32_e32 v18, 32, v18
	v_ffbl_b32_e32 v19, v19
	v_min_u32_e32 v18, v19, v18
	s_waitcnt lgkmcnt(0)
	v_mul_lo_u16_e32 v19, v42, v40
	v_cmp_lt_u32_e32 vcc, v26, v18
	v_cndmask_b32_e32 v41, v41, v19, vcc
	ds_bpermute_b32 v42, v29, v41
	v_cndmask_b32_e32 v19, v40, v19, vcc
	v_cmp_gt_u32_e64 s[6:7], v30, v18
	v_subrev_u32_e32 v14, 64, v14
	s_waitcnt lgkmcnt(0)
	v_mul_lo_u16_e32 v42, v19, v42
	v_cndmask_b32_e64 v41, v42, v41, s[6:7]
	ds_bpermute_b32 v43, v31, v41
	v_cndmask_b32_e64 v19, v42, v19, s[6:7]
	v_cmp_gt_u32_e64 s[6:7], v32, v18
	s_waitcnt lgkmcnt(0)
	v_mul_lo_u16_e32 v42, v19, v43
	v_cndmask_b32_e64 v41, v42, v41, s[6:7]
	ds_bpermute_b32 v43, v33, v41
	v_cndmask_b32_e64 v19, v42, v19, s[6:7]
	v_cmp_gt_u32_e64 s[6:7], v34, v18
	;; [unrolled: 6-line block ×3, first 2 shown]
	s_waitcnt lgkmcnt(0)
	v_mul_lo_u16_e32 v42, v19, v43
	v_cndmask_b32_e64 v41, v42, v41, s[6:7]
	ds_bpermute_b32 v41, v38, v41
	v_cndmask_b32_e64 v19, v42, v19, s[6:7]
	v_cmp_le_u32_e64 s[6:7], v39, v18
	s_waitcnt lgkmcnt(0)
	v_cndmask_b32_e64 v18, 1, v41, s[6:7]
	v_mul_lo_u16_e32 v18, v19, v18
	v_cndmask_b32_e32 v18, v40, v18, vcc
	v_mul_lo_u16_e32 v18, v18, v37
.LBB1143_70:                            ; =>This Loop Header: Depth=1
                                        ;     Child Loop BB1143_73 Depth 2
                                        ;       Child Loop BB1143_74 Depth 3
	v_cmp_ne_u16_sdwa s[6:7], v28, v25 src0_sel:BYTE_0 src1_sel:DWORD
	v_cndmask_b32_e64 v19, 0, 1, s[6:7]
	;;#ASMSTART
	;;#ASMEND
	v_cmp_ne_u32_e32 vcc, 0, v19
	s_cmp_lg_u64 vcc, exec
	v_mov_b32_e32 v37, v18
	s_cbranch_scc1 .LBB1143_77
; %bb.71:                               ;   in Loop: Header=BB1143_70 Depth=1
	v_lshlrev_b64 v[18:19], 2, v[14:15]
	v_mov_b32_e32 v28, s11
	v_add_co_u32_e32 v18, vcc, s10, v18
	v_addc_co_u32_e32 v19, vcc, v28, v19, vcc
	global_load_dword v40, v[18:19], off glc
	s_waitcnt vmcnt(0)
	v_lshrrev_b32_e32 v28, 16, v40
	v_cmp_eq_u16_sdwa s[8:9], v28, v15 src0_sel:BYTE_0 src1_sel:DWORD
	s_and_saveexec_b64 s[6:7], s[8:9]
	s_cbranch_execz .LBB1143_69
; %bb.72:                               ;   in Loop: Header=BB1143_70 Depth=1
	s_mov_b32 s35, 1
	s_mov_b64 s[8:9], 0
.LBB1143_73:                            ;   Parent Loop BB1143_70 Depth=1
                                        ; =>  This Loop Header: Depth=2
                                        ;       Child Loop BB1143_74 Depth 3
	s_max_u32 s36, s35, 1
.LBB1143_74:                            ;   Parent Loop BB1143_70 Depth=1
                                        ;     Parent Loop BB1143_73 Depth=2
                                        ; =>    This Inner Loop Header: Depth=3
	s_add_i32 s36, s36, -1
	s_cmp_eq_u32 s36, 0
	s_sleep 1
	s_cbranch_scc0 .LBB1143_74
; %bb.75:                               ;   in Loop: Header=BB1143_73 Depth=2
	global_load_dword v40, v[18:19], off glc
	s_cmp_lt_u32 s35, 32
	s_cselect_b64 s[36:37], -1, 0
	s_cmp_lg_u64 s[36:37], 0
	s_addc_u32 s35, s35, 0
	s_waitcnt vmcnt(0)
	v_lshrrev_b32_e32 v28, 16, v40
	v_cmp_ne_u16_sdwa s[36:37], v28, v15 src0_sel:BYTE_0 src1_sel:DWORD
	s_or_b64 s[8:9], s[36:37], s[8:9]
	s_andn2_b64 exec, exec, s[8:9]
	s_cbranch_execnz .LBB1143_73
; %bb.76:                               ;   in Loop: Header=BB1143_70 Depth=1
	s_or_b64 exec, exec, s[8:9]
	s_branch .LBB1143_69
.LBB1143_77:                            ;   in Loop: Header=BB1143_70 Depth=1
                                        ; implicit-def: $vgpr18
                                        ; implicit-def: $vgpr28
	s_cbranch_execz .LBB1143_70
; %bb.78:
	s_and_saveexec_b64 s[6:7], s[4:5]
	s_cbranch_execz .LBB1143_80
; %bb.79:
	s_add_i32 s4, s34, 64
	s_mov_b32 s5, 0
	s_lshl_b64 s[4:5], s[4:5], 2
	v_mul_lo_u16_e32 v14, v37, v24
	s_add_u32 s4, s10, s4
	v_or_b32_e32 v14, 0x20000, v14
	s_addc_u32 s5, s11, s5
	v_mov_b32_e32 v15, 0
	global_store_dword v15, v14, s[4:5]
.LBB1143_80:
	s_or_b64 exec, exec, s[6:7]
	s_and_b64 exec, exec, s[2:3]
	s_cbranch_execz .LBB1143_82
; %bb.81:
	v_mov_b32_e32 v14, 0
	ds_write_b16 v14, v37
.LBB1143_82:
	s_or_b64 exec, exec, s[28:29]
	v_mov_b32_e32 v14, 0
	s_waitcnt lgkmcnt(0)
	; wave barrier
	s_waitcnt lgkmcnt(0)
	ds_read_u16 v14, v14
	v_cndmask_b32_e64 v15, v23, 1, s[2:3]
	v_mul_lo_u16_e32 v15, v15, v10
	s_waitcnt lgkmcnt(0)
	v_mul_lo_u16_e32 v14, v15, v14
	v_mul_lo_u16_sdwa v16, v14, v10 dst_sel:DWORD dst_unused:UNUSED_PAD src0_sel:DWORD src1_sel:WORD_1
	v_mul_lo_u16_e32 v17, v16, v11
	v_mul_lo_u16_sdwa v19, v17, v11 dst_sel:DWORD dst_unused:UNUSED_PAD src0_sel:DWORD src1_sel:WORD_1
	v_mul_lo_u16_e32 v29, v19, v12
	v_mul_lo_u16_sdwa v35, v29, v12 dst_sel:DWORD dst_unused:UNUSED_PAD src0_sel:DWORD src1_sel:WORD_1
	v_mul_lo_u16_e32 v43, v35, v13
	v_mul_lo_u16_sdwa v50, v43, v13 dst_sel:DWORD dst_unused:UNUSED_PAD src0_sel:DWORD src1_sel:WORD_1
	v_mul_lo_u16_e32 v40, v50, v6
	v_mul_lo_u16_sdwa v47, v40, v6 dst_sel:DWORD dst_unused:UNUSED_PAD src0_sel:DWORD src1_sel:WORD_1
	v_mul_lo_u16_e32 v51, v47, v7
	v_mul_lo_u16_sdwa v52, v51, v7 dst_sel:DWORD dst_unused:UNUSED_PAD src0_sel:DWORD src1_sel:WORD_1
	v_mul_lo_u16_e32 v53, v52, v8
	v_mul_lo_u16_sdwa v54, v53, v8 dst_sel:DWORD dst_unused:UNUSED_PAD src0_sel:DWORD src1_sel:WORD_1
	v_mul_lo_u16_e32 v56, v54, v9
	v_mul_lo_u16_sdwa v58, v56, v9 dst_sel:DWORD dst_unused:UNUSED_PAD src0_sel:DWORD src1_sel:WORD_1
	v_mul_lo_u16_e32 v55, v58, v2
	v_mul_lo_u16_sdwa v57, v55, v2 dst_sel:DWORD dst_unused:UNUSED_PAD src0_sel:DWORD src1_sel:WORD_1
	v_mul_lo_u16_e32 v59, v57, v3
	v_mul_lo_u16_sdwa v60, v59, v3 dst_sel:DWORD dst_unused:UNUSED_PAD src0_sel:DWORD src1_sel:WORD_1
	v_mul_lo_u16_e32 v61, v60, v4
	v_mul_lo_u16_sdwa v62, v61, v4 dst_sel:DWORD dst_unused:UNUSED_PAD src0_sel:DWORD src1_sel:WORD_1
	v_mul_lo_u16_e32 v63, v62, v5
	v_mul_lo_u16_sdwa v64, v63, v5 dst_sel:DWORD dst_unused:UNUSED_PAD src0_sel:DWORD src1_sel:WORD_1
	s_branch .LBB1143_101
.LBB1143_83:
                                        ; implicit-def: $vgpr14
                                        ; implicit-def: $vgpr16
                                        ; implicit-def: $vgpr17
                                        ; implicit-def: $vgpr19
                                        ; implicit-def: $vgpr29
                                        ; implicit-def: $vgpr35
                                        ; implicit-def: $vgpr43
                                        ; implicit-def: $vgpr50
                                        ; implicit-def: $vgpr40
                                        ; implicit-def: $vgpr47
                                        ; implicit-def: $vgpr51
                                        ; implicit-def: $vgpr52
                                        ; implicit-def: $vgpr53
                                        ; implicit-def: $vgpr54
                                        ; implicit-def: $vgpr56
                                        ; implicit-def: $vgpr58
                                        ; implicit-def: $vgpr55
                                        ; implicit-def: $vgpr57
                                        ; implicit-def: $vgpr59
                                        ; implicit-def: $vgpr60
                                        ; implicit-def: $vgpr61
                                        ; implicit-def: $vgpr62
                                        ; implicit-def: $vgpr63
                                        ; implicit-def: $vgpr64
	s_cbranch_execz .LBB1143_101
; %bb.84:
	s_cmp_lg_u64 s[16:17], 0
	s_cselect_b64 s[6:7], -1, 0
	s_cmp_eq_u64 s[16:17], 0
	s_cselect_b64 s[4:5], -1, 0
	s_and_b64 s[6:7], s[2:3], s[6:7]
	v_mov_b32_e32 v15, v10
	s_and_saveexec_b64 s[2:3], s[6:7]
	s_cbranch_execz .LBB1143_86
; %bb.85:
	v_mov_b32_e32 v14, 0
	global_load_ushort v14, v14, s[12:13]
	s_waitcnt vmcnt(0)
	v_mul_lo_u16_e32 v15, v14, v10
.LBB1143_86:
	s_or_b64 exec, exec, s[2:3]
	v_mul_lo_u16_sdwa v18, v15, v10 dst_sel:DWORD dst_unused:UNUSED_PAD src0_sel:DWORD src1_sel:WORD_1
	v_mul_lo_u16_e32 v23, v18, v11
	v_mul_lo_u16_sdwa v24, v23, v11 dst_sel:DWORD dst_unused:UNUSED_PAD src0_sel:DWORD src1_sel:WORD_1
	v_mul_lo_u16_e32 v25, v24, v12
	;; [unrolled: 2-line block ×10, first 2 shown]
	v_mul_lo_u16_sdwa v46, v45, v4 dst_sel:DWORD dst_unused:UNUSED_PAD src0_sel:DWORD src1_sel:WORD_1
	v_mbcnt_hi_u32_b32 v22, -1, v22
	v_mul_lo_u16_e32 v48, v46, v5
	v_and_b32_e32 v14, 15, v22
	v_mul_lo_u16_sdwa v49, v48, v5 dst_sel:DWORD dst_unused:UNUSED_PAD src0_sel:DWORD src1_sel:WORD_1
	v_mul_lo_u16_sdwa v65, v48, v5 dst_sel:DWORD dst_unused:UNUSED_PAD src0_sel:DWORD src1_sel:WORD_1
	v_cmp_eq_u32_e64 s[8:9], 0, v14
	v_cmp_lt_u32_e64 s[6:7], 1, v14
	v_cmp_lt_u32_e64 s[2:3], 3, v14
	s_andn2_b64 vcc, exec, s[4:5]
	v_cmp_lt_u32_e64 s[4:5], 7, v14
	s_cbranch_vccnz .LBB1143_92
; %bb.87:
	v_mov_b32_dpp v14, v65 row_shr:1 row_mask:0xf bank_mask:0xf
	v_mul_lo_u16_e32 v14, v49, v14
	v_cndmask_b32_e64 v16, v14, v65, s[8:9]
	v_cndmask_b32_e64 v14, v14, v49, s[8:9]
	v_and_b32_e32 v19, 16, v22
	v_mov_b32_dpp v17, v16 row_shr:2 row_mask:0xf bank_mask:0xf
	v_mul_lo_u16_e32 v17, v14, v17
	v_cndmask_b32_e64 v16, v16, v17, s[6:7]
	v_cndmask_b32_e64 v14, v14, v17, s[6:7]
	v_cmp_eq_u32_e32 vcc, 0, v19
	v_mov_b32_dpp v17, v16 row_shr:4 row_mask:0xf bank_mask:0xf
	v_mul_lo_u16_e32 v17, v14, v17
	v_cndmask_b32_e64 v16, v16, v17, s[2:3]
	v_cndmask_b32_e64 v14, v14, v17, s[2:3]
	s_nop 0
	v_mov_b32_dpp v17, v16 row_shr:8 row_mask:0xf bank_mask:0xf
	v_mul_lo_u16_e32 v17, v14, v17
	v_cndmask_b32_e64 v16, v16, v17, s[4:5]
	v_cndmask_b32_e64 v14, v14, v17, s[4:5]
	s_nop 0
	v_mov_b32_dpp v17, v16 row_bcast:15 row_mask:0xf bank_mask:0xf
	v_mul_lo_u16_e32 v17, v14, v17
	v_cndmask_b32_e32 v16, v17, v16, vcc
	v_cndmask_b32_e32 v14, v17, v14, vcc
	v_cmp_lt_u32_e32 vcc, 31, v22
	v_mov_b32_dpp v16, v16 row_bcast:31 row_mask:0xf bank_mask:0xf
	v_cndmask_b32_e32 v16, 1, v16, vcc
	v_mul_lo_u16_e32 v14, v14, v16
	v_cmp_eq_u32_e32 vcc, 63, v0
	s_and_saveexec_b64 s[12:13], vcc
	s_cbranch_execz .LBB1143_89
; %bb.88:
	v_mov_b32_e32 v16, 0
	ds_write_b16 v16, v14
.LBB1143_89:
	s_or_b64 exec, exec, s[12:13]
	v_add_u32_e32 v16, -1, v22
	v_and_b32_e32 v17, 64, v22
	v_cmp_lt_i32_e32 vcc, v16, v17
	v_cndmask_b32_e32 v16, v16, v22, vcc
	v_lshlrev_b32_e32 v16, 2, v16
	ds_bpermute_b32 v66, v16, v14
	v_mov_b32_e32 v64, v49
	v_mov_b32_e32 v63, v48
	;; [unrolled: 1-line block ×24, first 2 shown]
	s_waitcnt lgkmcnt(0)
	; wave barrier
	s_waitcnt lgkmcnt(0)
	s_and_saveexec_b64 s[12:13], s[0:1]
	s_cbranch_execz .LBB1143_91
; %bb.90:
	v_mul_lo_u16_e32 v14, v15, v66
	v_mul_lo_u16_sdwa v16, v14, v10 dst_sel:DWORD dst_unused:UNUSED_PAD src0_sel:DWORD src1_sel:WORD_1
	v_mul_lo_u16_e32 v17, v16, v11
	v_mul_lo_u16_sdwa v19, v17, v11 dst_sel:DWORD dst_unused:UNUSED_PAD src0_sel:DWORD src1_sel:WORD_1
	;; [unrolled: 2-line block ×12, first 2 shown]
	;;#ASMSTART
	;;#ASMEND
.LBB1143_91:
	s_or_b64 exec, exec, s[12:13]
	v_mul_lo_u16_e32 v14, s33, v14
	v_mul_lo_u16_e32 v16, s33, v16
	;; [unrolled: 1-line block ×24, first 2 shown]
	s_branch .LBB1143_98
.LBB1143_92:
                                        ; implicit-def: $vgpr14
                                        ; implicit-def: $vgpr16
                                        ; implicit-def: $vgpr17
                                        ; implicit-def: $vgpr19
                                        ; implicit-def: $vgpr29
                                        ; implicit-def: $vgpr35
                                        ; implicit-def: $vgpr43
                                        ; implicit-def: $vgpr50
                                        ; implicit-def: $vgpr40
                                        ; implicit-def: $vgpr47
                                        ; implicit-def: $vgpr51
                                        ; implicit-def: $vgpr52
                                        ; implicit-def: $vgpr53
                                        ; implicit-def: $vgpr54
                                        ; implicit-def: $vgpr56
                                        ; implicit-def: $vgpr58
                                        ; implicit-def: $vgpr55
                                        ; implicit-def: $vgpr57
                                        ; implicit-def: $vgpr59
                                        ; implicit-def: $vgpr60
                                        ; implicit-def: $vgpr61
                                        ; implicit-def: $vgpr62
                                        ; implicit-def: $vgpr63
                                        ; implicit-def: $vgpr64
	s_cbranch_execz .LBB1143_98
; %bb.93:
	s_nop 0
	v_mov_b32_dpp v14, v65 row_shr:1 row_mask:0xf bank_mask:0xf
	v_mul_lo_u16_e32 v14, v49, v14
	v_cndmask_b32_e64 v16, v14, v65, s[8:9]
	v_cndmask_b32_e64 v14, v14, v49, s[8:9]
	v_and_b32_e32 v19, 16, v22
	v_mov_b32_dpp v17, v16 row_shr:2 row_mask:0xf bank_mask:0xf
	v_mul_lo_u16_e32 v17, v14, v17
	v_cndmask_b32_e64 v16, v16, v17, s[6:7]
	v_cndmask_b32_e64 v14, v14, v17, s[6:7]
	v_cmp_eq_u32_e32 vcc, 0, v19
	v_mov_b32_dpp v17, v16 row_shr:4 row_mask:0xf bank_mask:0xf
	v_mul_lo_u16_e32 v17, v14, v17
	v_cndmask_b32_e64 v16, v16, v17, s[2:3]
	v_cndmask_b32_e64 v14, v14, v17, s[2:3]
	s_nop 0
	v_mov_b32_dpp v17, v16 row_shr:8 row_mask:0xf bank_mask:0xf
	v_mul_lo_u16_e32 v17, v14, v17
	v_cndmask_b32_e64 v16, v16, v17, s[4:5]
	v_cndmask_b32_e64 v14, v14, v17, s[4:5]
	s_nop 0
	v_mov_b32_dpp v17, v16 row_bcast:15 row_mask:0xf bank_mask:0xf
	v_mul_lo_u16_e32 v17, v14, v17
	v_cndmask_b32_e32 v16, v17, v16, vcc
	v_cndmask_b32_e32 v14, v17, v14, vcc
	v_cmp_lt_u32_e32 vcc, 31, v22
	v_mov_b32_dpp v16, v16 row_bcast:31 row_mask:0xf bank_mask:0xf
	v_cndmask_b32_e32 v16, 1, v16, vcc
	v_mul_lo_u16_e32 v14, v14, v16
	v_cmp_eq_u32_e32 vcc, 63, v0
	s_and_saveexec_b64 s[2:3], vcc
	s_cbranch_execz .LBB1143_95
; %bb.94:
	v_mov_b32_e32 v16, 0
	ds_write_b16 v16, v14
.LBB1143_95:
	s_or_b64 exec, exec, s[2:3]
	v_add_u32_e32 v16, -1, v22
	v_and_b32_e32 v17, 64, v22
	v_cmp_lt_i32_e32 vcc, v16, v17
	v_cndmask_b32_e32 v16, v16, v22, vcc
	v_lshlrev_b32_e32 v16, 2, v16
	ds_bpermute_b32 v14, v16, v14
	s_waitcnt lgkmcnt(0)
	; wave barrier
	s_waitcnt lgkmcnt(0)
	s_and_saveexec_b64 s[2:3], s[0:1]
	s_cbranch_execz .LBB1143_97
; %bb.96:
	v_mul_lo_u16_e32 v15, v15, v14
	v_mul_lo_u16_sdwa v18, v15, v10 dst_sel:DWORD dst_unused:UNUSED_PAD src0_sel:DWORD src1_sel:WORD_1
	v_mul_lo_u16_e32 v23, v18, v11
	v_mul_lo_u16_sdwa v24, v23, v11 dst_sel:DWORD dst_unused:UNUSED_PAD src0_sel:DWORD src1_sel:WORD_1
	;; [unrolled: 2-line block ×12, first 2 shown]
	;;#ASMSTART
	;;#ASMEND
.LBB1143_97:
	s_or_b64 exec, exec, s[2:3]
	v_mov_b32_e32 v14, v15
	v_mov_b32_e32 v16, v18
	;; [unrolled: 1-line block ×24, first 2 shown]
.LBB1143_98:
	v_cmp_eq_u32_e32 vcc, 63, v0
	s_and_saveexec_b64 s[0:1], vcc
	s_cbranch_execz .LBB1143_100
; %bb.99:
	s_mov_b32 s2, 0x20000
	v_mov_b32_e32 v2, 0
	v_or_b32_sdwa v3, v64, s2 dst_sel:DWORD dst_unused:UNUSED_PAD src0_sel:WORD_0 src1_sel:DWORD
	global_store_dword v2, v3, s[10:11] offset:256
.LBB1143_100:
	s_or_b64 exec, exec, s[0:1]
.LBB1143_101:
	s_add_u32 s0, s24, s22
	s_addc_u32 s1, s25, s23
	s_add_u32 s2, s0, s26
	s_addc_u32 s3, s1, s27
	s_mov_b64 s[0:1], -1
	s_and_b64 vcc, exec, s[20:21]
	s_waitcnt lgkmcnt(0)
	; wave barrier
	s_cbranch_vccz .LBB1143_103
; %bb.102:
	s_mov_b32 s0, 0x5040100
	v_perm_b32 v5, v50, v43, s0
	v_perm_b32 v4, v35, v29, s0
	;; [unrolled: 1-line block ×4, first 2 shown]
	ds_write_b128 v1, v[2:5]
	v_perm_b32 v5, v58, v56, s0
	v_perm_b32 v4, v54, v53, s0
	v_perm_b32 v3, v52, v51, s0
	v_perm_b32 v2, v47, v40, s0
	ds_write_b128 v1, v[2:5] offset:16
	v_perm_b32 v5, v64, v63, s0
	v_perm_b32 v4, v62, v61, s0
	;; [unrolled: 1-line block ×4, first 2 shown]
	ds_write_b128 v1, v[2:5] offset:32
	s_waitcnt lgkmcnt(0)
	; wave barrier
	s_waitcnt lgkmcnt(0)
	ds_read_u16 v4, v20
	ds_read_u16 v5, v20 offset:128
	ds_read_u16 v6, v20 offset:256
	ds_read_u16 v7, v20 offset:384
	ds_read_u16 v8, v20 offset:512
	ds_read_u16 v9, v20 offset:640
	ds_read_u16 v10, v20 offset:768
	ds_read_u16 v11, v20 offset:896
	ds_read_u16 v12, v20 offset:1024
	ds_read_u16 v13, v20 offset:1152
	ds_read_u16 v15, v20 offset:1280
	ds_read_u16 v18, v20 offset:1408
	ds_read_u16 v22, v20 offset:1536
	ds_read_u16 v23, v20 offset:1664
	ds_read_u16 v24, v20 offset:1792
	ds_read_u16 v25, v20 offset:1920
	ds_read_u16 v26, v20 offset:2048
	ds_read_u16 v27, v20 offset:2176
	ds_read_u16 v28, v20 offset:2304
	ds_read_u16 v30, v20 offset:2432
	ds_read_u16 v31, v20 offset:2560
	ds_read_u16 v32, v20 offset:2688
	ds_read_u16 v33, v20 offset:2816
	ds_read_u16 v34, v20 offset:2944
	v_mov_b32_e32 v3, s3
	v_add_co_u32_e32 v2, vcc, s2, v20
	v_addc_co_u32_e32 v3, vcc, 0, v3, vcc
	s_waitcnt lgkmcnt(14)
	flat_store_short v[2:3], v4
	flat_store_short v[2:3], v5 offset:128
	flat_store_short v[2:3], v6 offset:256
	;; [unrolled: 1-line block ×9, first 2 shown]
	s_waitcnt lgkmcnt(0)
	flat_store_short v[2:3], v15 offset:1280
	flat_store_short v[2:3], v18 offset:1408
	;; [unrolled: 1-line block ×14, first 2 shown]
	s_mov_b64 s[0:1], 0
.LBB1143_103:
	s_andn2_b64 vcc, exec, s[0:1]
	s_cbranch_vccnz .LBB1143_160
; %bb.104:
	s_mov_b32 s0, 0x5040100
	v_perm_b32 v5, v50, v43, s0
	v_perm_b32 v4, v35, v29, s0
	;; [unrolled: 1-line block ×4, first 2 shown]
	ds_write_b128 v1, v[2:5]
	v_perm_b32 v5, v58, v56, s0
	v_perm_b32 v4, v54, v53, s0
	;; [unrolled: 1-line block ×4, first 2 shown]
	ds_write_b128 v1, v[2:5] offset:16
	v_perm_b32 v5, v64, v63, s0
	v_perm_b32 v4, v62, v61, s0
	;; [unrolled: 1-line block ×4, first 2 shown]
	ds_write_b128 v1, v[2:5] offset:32
	s_waitcnt lgkmcnt(0)
	; wave barrier
	s_waitcnt lgkmcnt(0)
	ds_read_u16 v5, v20
	ds_read_u16 v4, v20 offset:128
	ds_read_u16 v7, v20 offset:256
	;; [unrolled: 1-line block ×23, first 2 shown]
	v_mov_b32_e32 v3, s3
	v_add_co_u32_e32 v2, vcc, s2, v20
	v_addc_co_u32_e32 v3, vcc, 0, v3, vcc
	v_mov_b32_e32 v1, 0
	v_cmp_gt_u32_e32 vcc, s30, v0
	s_and_saveexec_b64 s[0:1], vcc
	s_cbranch_execz .LBB1143_106
; %bb.105:
	s_waitcnt lgkmcnt(0)
	flat_store_short v[2:3], v5
.LBB1143_106:
	s_or_b64 exec, exec, s[0:1]
	v_or_b32_e32 v20, 64, v0
	v_cmp_gt_u32_e32 vcc, s30, v20
	s_and_saveexec_b64 s[0:1], vcc
	s_cbranch_execz .LBB1143_108
; %bb.107:
	s_waitcnt lgkmcnt(0)
	flat_store_short v[2:3], v4 offset:128
.LBB1143_108:
	s_or_b64 exec, exec, s[0:1]
	v_or_b32_e32 v20, 0x80, v0
	v_cmp_gt_u32_e32 vcc, s30, v20
	s_and_saveexec_b64 s[0:1], vcc
	s_cbranch_execz .LBB1143_110
; %bb.109:
	s_waitcnt lgkmcnt(0)
	flat_store_short v[2:3], v7 offset:256
.LBB1143_110:
	;; [unrolled: 9-line block ×23, first 2 shown]
	s_or_b64 exec, exec, s[0:1]
	v_cmp_lt_u64_e64 s[0:1], s[18:19], 2
	s_and_b64 vcc, exec, s[0:1]
	s_cbranch_vccnz .LBB1143_160
; %bb.153:
	s_add_u32 s0, s30, -1
	s_addc_u32 s1, s31, -1
	s_add_u32 s2, 0, 0xaaaa0000
	s_addc_u32 s3, 0, 42
	s_add_i32 s3, s3, 0xaaaaa80
	s_mul_hi_u32 s7, s2, 0xffffffe8
	s_sub_i32 s7, s7, s2
	s_mul_i32 s8, s3, 0xffffffe8
	s_mul_i32 s4, s2, 0xffffffe8
	s_add_i32 s7, s7, s8
	s_mul_hi_u32 s5, s3, s4
	s_mul_i32 s6, s3, s4
	s_mul_i32 s9, s2, s7
	s_mul_hi_u32 s4, s2, s4
	s_mul_hi_u32 s8, s2, s7
	s_add_u32 s4, s4, s9
	s_addc_u32 s8, 0, s8
	s_add_u32 s4, s4, s6
	s_mul_hi_u32 s9, s3, s7
	s_addc_u32 s4, s8, s5
	s_addc_u32 s5, s9, 0
	s_mul_i32 s6, s3, s7
	s_add_u32 s4, s4, s6
	v_mov_b32_e32 v2, s4
	s_addc_u32 s5, 0, s5
	v_add_co_u32_e32 v2, vcc, s2, v2
	s_cmp_lg_u64 vcc, 0
	s_addc_u32 s2, s3, s5
	v_readfirstlane_b32 s5, v2
	s_mul_i32 s4, s0, s2
	s_mul_hi_u32 s6, s0, s5
	s_mul_hi_u32 s3, s0, s2
	s_add_u32 s4, s6, s4
	s_addc_u32 s3, 0, s3
	s_mul_hi_u32 s7, s1, s5
	s_mul_i32 s5, s1, s5
	s_add_u32 s4, s4, s5
	s_mul_hi_u32 s6, s1, s2
	s_addc_u32 s3, s3, s7
	s_addc_u32 s4, s6, 0
	s_mul_i32 s2, s1, s2
	s_add_u32 s2, s3, s2
	s_addc_u32 s3, 0, s4
	s_add_u32 s4, s2, 1
	s_addc_u32 s5, s3, 0
	s_add_u32 s6, s2, 2
	s_mul_i32 s8, s3, 24
	s_mul_hi_u32 s9, s2, 24
	s_addc_u32 s7, s3, 0
	s_add_i32 s9, s9, s8
	s_mul_i32 s8, s2, 24
	v_mov_b32_e32 v2, s8
	v_sub_co_u32_e32 v2, vcc, s0, v2
	s_cmp_lg_u64 vcc, 0
	s_subb_u32 s8, s1, s9
	v_subrev_co_u32_e32 v3, vcc, 24, v2
	s_cmp_lg_u64 vcc, 0
	s_subb_u32 s9, s8, 0
	v_readfirstlane_b32 s10, v3
	s_cmp_gt_u32 s10, 23
	s_cselect_b32 s10, -1, 0
	s_cmp_eq_u32 s9, 0
	s_cselect_b32 s9, s10, -1
	s_cmp_lg_u32 s9, 0
	s_cselect_b32 s4, s6, s4
	v_readfirstlane_b32 s6, v2
	s_cselect_b32 s5, s7, s5
	s_cmp_gt_u32 s6, 23
	s_cselect_b32 s6, -1, 0
	s_cmp_eq_u32 s8, 0
	s_cselect_b32 s6, s6, -1
	s_cmp_lg_u32 s6, 0
	s_cselect_b32 s3, s5, s3
	s_cselect_b32 s2, s4, s2
	v_cmp_eq_u64_e32 vcc, s[2:3], v[0:1]
	s_and_saveexec_b64 s[2:3], vcc
	s_cbranch_execz .LBB1143_160
; %bb.154:
	v_mul_hi_u32_u24_e32 v1, 24, v0
	v_mov_b32_e32 v2, s1
	v_sub_co_u32_e32 v0, vcc, s0, v21
	v_subb_co_u32_e32 v1, vcc, v2, v1, vcc
	v_cmp_lt_i64_e32 vcc, 11, v[0:1]
	s_mov_b64 s[0:1], 0
	s_mov_b64 s[8:9], 0
	;; [unrolled: 1-line block ×4, first 2 shown]
	s_and_saveexec_b64 s[2:3], vcc
	s_xor_b64 s[2:3], exec, s[2:3]
	s_cbranch_execnz .LBB1143_161
; %bb.155:
	s_andn2_saveexec_b64 s[2:3], s[2:3]
	s_cbranch_execnz .LBB1143_206
.LBB1143_156:
	s_or_b64 exec, exec, s[2:3]
	s_and_saveexec_b64 s[2:3], s[8:9]
	s_cbranch_execnz .LBB1143_223
.LBB1143_157:
	s_or_b64 exec, exec, s[2:3]
	s_and_saveexec_b64 s[2:3], s[6:7]
	s_cbranch_execnz .LBB1143_224
.LBB1143_158:
	s_or_b64 exec, exec, s[2:3]
	s_and_saveexec_b64 s[2:3], s[4:5]
	s_xor_b64 s[2:3], exec, s[2:3]
	s_cbranch_execnz .LBB1143_225
.LBB1143_159:
	s_or_b64 exec, exec, s[2:3]
	s_and_b64 exec, exec, s[0:1]
	s_cbranch_execnz .LBB1143_226
.LBB1143_160:
	s_endpgm
.LBB1143_161:
	v_cmp_lt_i64_e32 vcc, 17, v[0:1]
	s_and_saveexec_b64 s[10:11], vcc
	s_xor_b64 s[10:11], exec, s[10:11]
	s_cbranch_execz .LBB1143_183
; %bb.162:
	v_cmp_lt_i64_e32 vcc, 20, v[0:1]
                                        ; implicit-def: $vgpr10
	s_and_saveexec_b64 s[12:13], vcc
	s_xor_b64 s[12:13], exec, s[12:13]
	s_cbranch_execz .LBB1143_172
; %bb.163:
	v_cmp_lt_i64_e32 vcc, 21, v[0:1]
	s_mov_b64 s[16:17], 0
                                        ; implicit-def: $vgpr10
	s_and_saveexec_b64 s[4:5], vcc
	s_xor_b64 s[4:5], exec, s[4:5]
	s_cbranch_execz .LBB1143_169
; %bb.164:
	v_cmp_lt_i64_e32 vcc, 22, v[0:1]
	s_and_saveexec_b64 s[16:17], vcc
	s_xor_b64 s[16:17], exec, s[16:17]
	s_cbranch_execz .LBB1143_166
; %bb.165:
	v_mov_b32_e32 v2, 0
	s_waitcnt lgkmcnt(0)
	global_store_short v2, v29, s[14:15]
                                        ; implicit-def: $vgpr28
.LBB1143_166:
	s_or_saveexec_b64 s[16:17], s[16:17]
	s_mov_b64 s[18:19], 0
	s_xor_b64 exec, exec, s[16:17]
; %bb.167:
	s_mov_b64 s[18:19], exec
; %bb.168:
	s_or_b64 exec, exec, s[16:17]
	s_and_b64 s[16:17], s[18:19], exec
	s_waitcnt lgkmcnt(0)
	v_mov_b32_e32 v10, v28
                                        ; implicit-def: $vgpr11
.LBB1143_169:
	s_andn2_saveexec_b64 s[4:5], s[4:5]
; %bb.170:
	s_mov_b64 s[6:7], exec
                                        ; implicit-def: $vgpr10
; %bb.171:
	s_or_b64 exec, exec, s[4:5]
	s_and_b64 s[4:5], s[16:17], exec
	s_and_b64 s[6:7], s[6:7], exec
                                        ; implicit-def: $vgpr26
                                        ; implicit-def: $vgpr12
                                        ; implicit-def: $vgpr23
.LBB1143_172:
	s_andn2_saveexec_b64 s[12:13], s[12:13]
	s_cbranch_execz .LBB1143_182
; %bb.173:
	v_cmp_lt_i64_e32 vcc, 18, v[0:1]
	s_mov_b64 s[16:17], 0
	s_and_saveexec_b64 s[8:9], vcc
	s_xor_b64 s[8:9], exec, s[8:9]
	s_cbranch_execz .LBB1143_179
; %bb.174:
	v_cmp_lt_i64_e32 vcc, 19, v[0:1]
	s_and_saveexec_b64 s[18:19], vcc
	s_xor_b64 s[18:19], exec, s[18:19]
; %bb.175:
	s_mov_b64 s[16:17], exec
                                        ; implicit-def: $vgpr23
; %bb.176:
	s_andn2_saveexec_b64 s[18:19], s[18:19]
	s_cbranch_execz .LBB1143_178
; %bb.177:
	v_mov_b32_e32 v2, 0
	s_waitcnt lgkmcnt(0)
	global_store_short v2, v23, s[14:15]
                                        ; implicit-def: $vgpr12
.LBB1143_178:
	s_or_b64 exec, exec, s[18:19]
	s_and_b64 s[16:17], s[16:17], exec
                                        ; implicit-def: $vgpr26
.LBB1143_179:
	s_andn2_saveexec_b64 s[8:9], s[8:9]
	s_cbranch_execz .LBB1143_181
; %bb.180:
	v_mov_b32_e32 v2, 0
	s_waitcnt lgkmcnt(0)
	global_store_short v2, v26, s[14:15]
                                        ; implicit-def: $vgpr12
.LBB1143_181:
	s_or_b64 exec, exec, s[8:9]
	s_and_b64 s[8:9], s[16:17], exec
                                        ; implicit-def: $vgpr10
                                        ; implicit-def: $vgpr11
.LBB1143_182:
	s_or_b64 exec, exec, s[12:13]
	s_and_b64 s[4:5], s[4:5], exec
	s_and_b64 s[6:7], s[6:7], exec
	;; [unrolled: 1-line block ×3, first 2 shown]
                                        ; implicit-def: $vgpr18
                                        ; implicit-def: $vgpr13
                                        ; implicit-def: $vgpr14
                                        ; implicit-def: $vgpr24
                                        ; implicit-def: $vgpr27
.LBB1143_183:
	s_andn2_saveexec_b64 s[10:11], s[10:11]
	s_cbranch_execz .LBB1143_205
; %bb.184:
	v_cmp_lt_i64_e32 vcc, 14, v[0:1]
	s_mov_b64 s[12:13], s[4:5]
	s_and_saveexec_b64 s[16:17], vcc
	s_xor_b64 s[16:17], exec, s[16:17]
	s_cbranch_execz .LBB1143_194
; %bb.185:
	v_cmp_lt_i64_e32 vcc, 15, v[0:1]
	s_and_saveexec_b64 s[12:13], vcc
	s_xor_b64 s[12:13], exec, s[12:13]
	s_cbranch_execz .LBB1143_191
; %bb.186:
	v_cmp_lt_i64_e32 vcc, 16, v[0:1]
	s_and_saveexec_b64 s[18:19], vcc
	s_xor_b64 s[18:19], exec, s[18:19]
	s_cbranch_execz .LBB1143_188
; %bb.187:
	v_mov_b32_e32 v2, 0
	s_waitcnt lgkmcnt(0)
	global_store_short v2, v27, s[14:15]
                                        ; implicit-def: $vgpr24
.LBB1143_188:
	s_andn2_saveexec_b64 s[18:19], s[18:19]
	s_cbranch_execz .LBB1143_190
; %bb.189:
	v_mov_b32_e32 v2, 0
	s_waitcnt lgkmcnt(0)
	global_store_short v2, v24, s[14:15]
.LBB1143_190:
	s_or_b64 exec, exec, s[18:19]
                                        ; implicit-def: $vgpr10
.LBB1143_191:
	s_or_saveexec_b64 s[12:13], s[12:13]
	s_mov_b64 s[18:19], s[4:5]
	s_xor_b64 exec, exec, s[12:13]
; %bb.192:
	s_or_b64 s[18:19], s[4:5], exec
; %bb.193:
	s_or_b64 exec, exec, s[12:13]
	s_andn2_b64 s[12:13], s[4:5], exec
	s_and_b64 s[18:19], s[18:19], exec
	s_or_b64 s[12:13], s[12:13], s[18:19]
                                        ; implicit-def: $vgpr18
                                        ; implicit-def: $vgpr13
                                        ; implicit-def: $vgpr14
.LBB1143_194:
	s_or_saveexec_b64 s[16:17], s[16:17]
	s_mov_b64 s[18:19], s[6:7]
                                        ; implicit-def: $vgpr11
	s_xor_b64 exec, exec, s[16:17]
	s_cbranch_execz .LBB1143_204
; %bb.195:
	v_cmp_lt_i64_e32 vcc, 12, v[0:1]
	s_mov_b64 s[20:21], s[6:7]
	s_mov_b64 s[22:23], s[12:13]
                                        ; implicit-def: $vgpr10
                                        ; implicit-def: $vgpr11
	s_and_saveexec_b64 s[18:19], vcc
	s_xor_b64 s[18:19], exec, s[18:19]
	s_cbranch_execz .LBB1143_201
; %bb.196:
	v_cmp_lt_i64_e32 vcc, 13, v[0:1]
	s_mov_b64 s[20:21], s[12:13]
	s_and_saveexec_b64 s[22:23], vcc
	s_xor_b64 s[22:23], exec, s[22:23]
; %bb.197:
	s_or_b64 s[20:21], s[12:13], exec
                                        ; implicit-def: $vgpr13
; %bb.198:
	s_or_saveexec_b64 s[22:23], s[22:23]
	s_mov_b64 s[24:25], s[6:7]
	s_xor_b64 exec, exec, s[22:23]
; %bb.199:
	s_or_b64 s[24:25], s[6:7], exec
                                        ; implicit-def: $vgpr14
; %bb.200:
	s_or_b64 exec, exec, s[22:23]
	s_andn2_b64 s[22:23], s[12:13], exec
	s_and_b64 s[20:21], s[20:21], exec
	s_or_b64 s[22:23], s[22:23], s[20:21]
	s_andn2_b64 s[20:21], s[6:7], exec
	s_and_b64 s[24:25], s[24:25], exec
	s_or_b64 s[20:21], s[20:21], s[24:25]
	s_waitcnt lgkmcnt(0)
	v_mov_b32_e32 v10, v14
	v_mov_b32_e32 v11, v13
                                        ; implicit-def: $vgpr18
.LBB1143_201:
	s_andn2_saveexec_b64 s[18:19], s[18:19]
	s_cbranch_execz .LBB1143_203
; %bb.202:
	s_or_b64 s[20:21], s[20:21], exec
                                        ; implicit-def: $vgpr10
	s_waitcnt lgkmcnt(0)
	v_mov_b32_e32 v11, v18
.LBB1143_203:
	s_or_b64 exec, exec, s[18:19]
	s_andn2_b64 s[12:13], s[12:13], exec
	s_and_b64 s[18:19], s[22:23], exec
	s_or_b64 s[12:13], s[12:13], s[18:19]
	s_andn2_b64 s[18:19], s[6:7], exec
	s_and_b64 s[20:21], s[20:21], exec
	s_or_b64 s[18:19], s[18:19], s[20:21]
.LBB1143_204:
	s_or_b64 exec, exec, s[16:17]
	s_andn2_b64 s[4:5], s[4:5], exec
	s_and_b64 s[12:13], s[12:13], exec
	s_or_b64 s[4:5], s[4:5], s[12:13]
	s_andn2_b64 s[6:7], s[6:7], exec
	s_and_b64 s[12:13], s[18:19], exec
	s_or_b64 s[6:7], s[6:7], s[12:13]
                                        ; implicit-def: $vgpr12
.LBB1143_205:
	s_or_b64 exec, exec, s[10:11]
	s_and_b64 s[4:5], s[4:5], exec
	s_and_b64 s[6:7], s[6:7], exec
	;; [unrolled: 1-line block ×3, first 2 shown]
                                        ; implicit-def: $vgpr17
                                        ; implicit-def: $vgpr15
                                        ; implicit-def: $vgpr16
                                        ; implicit-def: $vgpr25
                                        ; implicit-def: $vgpr22
                                        ; implicit-def: $vgpr19
	s_andn2_saveexec_b64 s[2:3], s[2:3]
	s_cbranch_execz .LBB1143_156
.LBB1143_206:
	v_cmp_lt_i64_e32 vcc, 5, v[0:1]
	s_mov_b64 s[12:13], -1
	s_mov_b64 s[10:11], s[8:9]
	s_mov_b64 s[16:17], s[6:7]
	s_mov_b64 s[18:19], s[4:5]
                                        ; implicit-def: $vgpr10
                                        ; implicit-def: $vgpr11
                                        ; implicit-def: $vgpr12
	s_and_saveexec_b64 s[0:1], vcc
	s_cbranch_execz .LBB1143_222
; %bb.207:
	v_cmp_lt_i64_e32 vcc, 8, v[0:1]
	s_mov_b64 s[10:11], s[8:9]
                                        ; implicit-def: $vgpr12
	s_and_saveexec_b64 s[12:13], vcc
	s_xor_b64 s[12:13], exec, s[12:13]
	s_cbranch_execz .LBB1143_217
; %bb.208:
	v_cmp_lt_i64_e32 vcc, 9, v[0:1]
	s_and_saveexec_b64 s[10:11], vcc
	s_xor_b64 s[10:11], exec, s[10:11]
	s_cbranch_execz .LBB1143_214
; %bb.209:
	v_cmp_lt_i64_e32 vcc, 10, v[0:1]
	s_and_saveexec_b64 s[16:17], vcc
	s_xor_b64 s[16:17], exec, s[16:17]
; %bb.210:
                                        ; implicit-def: $vgpr22
; %bb.211:
	s_andn2_saveexec_b64 s[16:17], s[16:17]
	s_cbranch_execz .LBB1143_213
; %bb.212:
	s_waitcnt lgkmcnt(0)
	v_mov_b32_e32 v19, v22
.LBB1143_213:
	s_or_b64 exec, exec, s[16:17]
                                        ; implicit-def: $vgpr25
.LBB1143_214:
	s_andn2_saveexec_b64 s[10:11], s[10:11]
	s_cbranch_execz .LBB1143_216
; %bb.215:
	s_waitcnt lgkmcnt(0)
	v_mov_b32_e32 v19, v25
.LBB1143_216:
	s_or_b64 exec, exec, s[10:11]
	s_or_b64 s[10:11], s[8:9], exec
	s_waitcnt lgkmcnt(0)
	v_mov_b32_e32 v12, v19
                                        ; implicit-def: $vgpr17
                                        ; implicit-def: $vgpr15
                                        ; implicit-def: $vgpr16
.LBB1143_217:
	s_or_saveexec_b64 s[12:13], s[12:13]
	s_mov_b64 s[16:17], s[6:7]
	s_mov_b64 s[20:21], s[4:5]
                                        ; implicit-def: $vgpr10
                                        ; implicit-def: $vgpr11
	s_xor_b64 exec, exec, s[12:13]
	s_cbranch_execz .LBB1143_221
; %bb.218:
	v_cmp_lt_i64_e32 vcc, 6, v[0:1]
	s_mov_b64 s[20:21], -1
	s_mov_b64 s[18:19], s[10:11]
	s_mov_b64 s[16:17], s[6:7]
	s_and_saveexec_b64 s[22:23], vcc
; %bb.219:
	v_cmp_lt_i64_e32 vcc, 7, v[0:1]
	s_andn2_b64 s[18:19], s[10:11], exec
	s_and_b64 s[24:25], vcc, exec
	s_xor_b64 s[20:21], exec, -1
	s_or_b64 s[16:17], s[6:7], exec
	s_or_b64 s[18:19], s[18:19], s[24:25]
                                        ; implicit-def: $vgpr17
; %bb.220:
	s_or_b64 exec, exec, s[22:23]
	s_andn2_b64 s[22:23], s[4:5], exec
	s_and_b64 s[20:21], s[20:21], exec
	s_or_b64 s[20:21], s[22:23], s[20:21]
	s_andn2_b64 s[22:23], s[6:7], exec
	s_and_b64 s[16:17], s[16:17], exec
	s_andn2_b64 s[10:11], s[10:11], exec
	s_and_b64 s[18:19], s[18:19], exec
	s_or_b64 s[16:17], s[22:23], s[16:17]
	s_or_b64 s[10:11], s[10:11], s[18:19]
	s_waitcnt lgkmcnt(0)
	v_mov_b32_e32 v10, v17
	v_mov_b32_e32 v11, v15
	;; [unrolled: 1-line block ×3, first 2 shown]
.LBB1143_221:
	s_or_b64 exec, exec, s[12:13]
	s_andn2_b64 s[18:19], s[4:5], exec
	s_and_b64 s[20:21], s[20:21], exec
	s_or_b64 s[18:19], s[18:19], s[20:21]
	s_andn2_b64 s[20:21], s[6:7], exec
	s_and_b64 s[16:17], s[16:17], exec
	s_or_b64 s[16:17], s[20:21], s[16:17]
	s_andn2_b64 s[20:21], s[8:9], exec
	s_and_b64 s[10:11], s[10:11], exec
	s_xor_b64 s[12:13], exec, -1
	s_or_b64 s[10:11], s[20:21], s[10:11]
.LBB1143_222:
	s_or_b64 exec, exec, s[0:1]
	s_and_b64 s[0:1], s[12:13], exec
	s_andn2_b64 s[4:5], s[4:5], exec
	s_and_b64 s[12:13], s[18:19], exec
	s_or_b64 s[4:5], s[4:5], s[12:13]
	s_andn2_b64 s[6:7], s[6:7], exec
	s_and_b64 s[12:13], s[16:17], exec
	s_andn2_b64 s[8:9], s[8:9], exec
	s_and_b64 s[10:11], s[10:11], exec
	s_or_b64 s[6:7], s[6:7], s[12:13]
	s_or_b64 s[8:9], s[8:9], s[10:11]
	s_or_b64 exec, exec, s[2:3]
	s_and_saveexec_b64 s[2:3], s[8:9]
	s_cbranch_execz .LBB1143_157
.LBB1143_223:
	v_mov_b32_e32 v2, 0
	s_andn2_b64 s[6:7], s[6:7], exec
	s_waitcnt lgkmcnt(0)
	global_store_short v2, v12, s[14:15]
                                        ; implicit-def: $vgpr10
                                        ; implicit-def: $vgpr11
	s_or_b64 exec, exec, s[2:3]
	s_and_saveexec_b64 s[2:3], s[6:7]
	s_cbranch_execz .LBB1143_158
.LBB1143_224:
	v_mov_b32_e32 v2, 0
	s_waitcnt lgkmcnt(0)
	global_store_short v2, v11, s[14:15]
                                        ; implicit-def: $vgpr10
	s_or_b64 exec, exec, s[2:3]
	s_and_saveexec_b64 s[2:3], s[4:5]
	s_xor_b64 s[2:3], exec, s[2:3]
	s_cbranch_execz .LBB1143_159
.LBB1143_225:
	v_mov_b32_e32 v2, 0
	s_waitcnt lgkmcnt(0)
	global_store_short v2, v10, s[14:15]
	s_or_b64 exec, exec, s[2:3]
	s_and_b64 exec, exec, s[0:1]
	s_cbranch_execz .LBB1143_160
.LBB1143_226:
	v_cmp_lt_i64_e32 vcc, 2, v[0:1]
	s_and_saveexec_b64 s[0:1], vcc
	s_xor_b64 s[0:1], exec, s[0:1]
	s_cbranch_execz .LBB1143_236
; %bb.227:
	v_cmp_lt_i64_e32 vcc, 3, v[0:1]
	s_and_saveexec_b64 s[2:3], vcc
	s_xor_b64 s[2:3], exec, s[2:3]
	s_cbranch_execz .LBB1143_233
; %bb.228:
	;; [unrolled: 5-line block ×3, first 2 shown]
	v_mov_b32_e32 v0, 0
	s_waitcnt lgkmcnt(0)
	global_store_short v0, v9, s[14:15]
                                        ; implicit-def: $vgpr6
.LBB1143_230:
	s_andn2_saveexec_b64 s[4:5], s[4:5]
	s_cbranch_execz .LBB1143_232
; %bb.231:
	v_mov_b32_e32 v0, 0
	s_waitcnt lgkmcnt(0)
	global_store_short v0, v6, s[14:15]
.LBB1143_232:
	s_or_b64 exec, exec, s[4:5]
                                        ; implicit-def: $vgpr8
.LBB1143_233:
	s_andn2_saveexec_b64 s[2:3], s[2:3]
	s_cbranch_execz .LBB1143_235
; %bb.234:
	v_mov_b32_e32 v0, 0
	s_waitcnt lgkmcnt(0)
	global_store_short v0, v8, s[14:15]
.LBB1143_235:
	s_or_b64 exec, exec, s[2:3]
                                        ; implicit-def: $vgpr0_vgpr1
                                        ; implicit-def: $vgpr7
                                        ; implicit-def: $vgpr4
                                        ; implicit-def: $vgpr5
.LBB1143_236:
	s_andn2_saveexec_b64 s[0:1], s[0:1]
	s_cbranch_execz .LBB1143_160
; %bb.237:
	v_cmp_lt_i64_e32 vcc, 1, v[0:1]
	s_and_saveexec_b64 s[0:1], vcc
	s_xor_b64 s[0:1], exec, s[0:1]
	s_cbranch_execz .LBB1143_239
; %bb.238:
	v_mov_b32_e32 v0, 0
	s_waitcnt lgkmcnt(0)
	global_store_short v0, v7, s[14:15]
                                        ; implicit-def: $vgpr4
                                        ; implicit-def: $vgpr0_vgpr1
                                        ; implicit-def: $vgpr5
.LBB1143_239:
	s_andn2_saveexec_b64 s[0:1], s[0:1]
	s_cbranch_execz .LBB1143_160
; %bb.240:
	v_cmp_ne_u64_e32 vcc, 1, v[0:1]
	s_and_saveexec_b64 s[0:1], vcc
	s_xor_b64 s[0:1], exec, s[0:1]
	s_cbranch_execz .LBB1143_242
; %bb.241:
	v_mov_b32_e32 v0, 0
	s_waitcnt lgkmcnt(0)
	global_store_short v0, v5, s[14:15]
                                        ; implicit-def: $vgpr4
.LBB1143_242:
	s_andn2_saveexec_b64 s[0:1], s[0:1]
	s_cbranch_execz .LBB1143_160
; %bb.243:
	v_mov_b32_e32 v0, 0
	s_waitcnt lgkmcnt(0)
	global_store_short v0, v4, s[14:15]
	s_endpgm
	.section	.rodata,"a",@progbits
	.p2align	6, 0x0
	.amdhsa_kernel _ZN7rocprim17ROCPRIM_400000_NS6detail17trampoline_kernelINS0_14default_configENS1_20scan_config_selectorIsEEZZNS1_9scan_implILNS1_25lookback_scan_determinismE0ELb0ELb1ES3_N6thrust23THRUST_200600_302600_NS6detail15normal_iteratorINS9_10device_ptrIsEEEESE_sNS9_10multipliesIsEEsEEDaPvRmT3_T4_T5_mT6_P12ihipStream_tbENKUlT_T0_E_clISt17integral_constantIbLb1EESU_EEDaSP_SQ_EUlSP_E_NS1_11comp_targetILNS1_3genE4ELNS1_11target_archE910ELNS1_3gpuE8ELNS1_3repE0EEENS1_30default_config_static_selectorELNS0_4arch9wavefront6targetE1EEEvT1_
		.amdhsa_group_segment_fixed_size 3072
		.amdhsa_private_segment_fixed_size 0
		.amdhsa_kernarg_size 96
		.amdhsa_user_sgpr_count 6
		.amdhsa_user_sgpr_private_segment_buffer 1
		.amdhsa_user_sgpr_dispatch_ptr 0
		.amdhsa_user_sgpr_queue_ptr 0
		.amdhsa_user_sgpr_kernarg_segment_ptr 1
		.amdhsa_user_sgpr_dispatch_id 0
		.amdhsa_user_sgpr_flat_scratch_init 0
		.amdhsa_user_sgpr_kernarg_preload_length 0
		.amdhsa_user_sgpr_kernarg_preload_offset 0
		.amdhsa_user_sgpr_private_segment_size 0
		.amdhsa_uses_dynamic_stack 0
		.amdhsa_system_sgpr_private_segment_wavefront_offset 0
		.amdhsa_system_sgpr_workgroup_id_x 1
		.amdhsa_system_sgpr_workgroup_id_y 0
		.amdhsa_system_sgpr_workgroup_id_z 0
		.amdhsa_system_sgpr_workgroup_info 0
		.amdhsa_system_vgpr_workitem_id 0
		.amdhsa_next_free_vgpr 67
		.amdhsa_next_free_sgpr 38
		.amdhsa_accum_offset 68
		.amdhsa_reserve_vcc 1
		.amdhsa_reserve_flat_scratch 0
		.amdhsa_float_round_mode_32 0
		.amdhsa_float_round_mode_16_64 0
		.amdhsa_float_denorm_mode_32 3
		.amdhsa_float_denorm_mode_16_64 3
		.amdhsa_dx10_clamp 1
		.amdhsa_ieee_mode 1
		.amdhsa_fp16_overflow 0
		.amdhsa_tg_split 0
		.amdhsa_exception_fp_ieee_invalid_op 0
		.amdhsa_exception_fp_denorm_src 0
		.amdhsa_exception_fp_ieee_div_zero 0
		.amdhsa_exception_fp_ieee_overflow 0
		.amdhsa_exception_fp_ieee_underflow 0
		.amdhsa_exception_fp_ieee_inexact 0
		.amdhsa_exception_int_div_zero 0
	.end_amdhsa_kernel
	.section	.text._ZN7rocprim17ROCPRIM_400000_NS6detail17trampoline_kernelINS0_14default_configENS1_20scan_config_selectorIsEEZZNS1_9scan_implILNS1_25lookback_scan_determinismE0ELb0ELb1ES3_N6thrust23THRUST_200600_302600_NS6detail15normal_iteratorINS9_10device_ptrIsEEEESE_sNS9_10multipliesIsEEsEEDaPvRmT3_T4_T5_mT6_P12ihipStream_tbENKUlT_T0_E_clISt17integral_constantIbLb1EESU_EEDaSP_SQ_EUlSP_E_NS1_11comp_targetILNS1_3genE4ELNS1_11target_archE910ELNS1_3gpuE8ELNS1_3repE0EEENS1_30default_config_static_selectorELNS0_4arch9wavefront6targetE1EEEvT1_,"axG",@progbits,_ZN7rocprim17ROCPRIM_400000_NS6detail17trampoline_kernelINS0_14default_configENS1_20scan_config_selectorIsEEZZNS1_9scan_implILNS1_25lookback_scan_determinismE0ELb0ELb1ES3_N6thrust23THRUST_200600_302600_NS6detail15normal_iteratorINS9_10device_ptrIsEEEESE_sNS9_10multipliesIsEEsEEDaPvRmT3_T4_T5_mT6_P12ihipStream_tbENKUlT_T0_E_clISt17integral_constantIbLb1EESU_EEDaSP_SQ_EUlSP_E_NS1_11comp_targetILNS1_3genE4ELNS1_11target_archE910ELNS1_3gpuE8ELNS1_3repE0EEENS1_30default_config_static_selectorELNS0_4arch9wavefront6targetE1EEEvT1_,comdat
.Lfunc_end1143:
	.size	_ZN7rocprim17ROCPRIM_400000_NS6detail17trampoline_kernelINS0_14default_configENS1_20scan_config_selectorIsEEZZNS1_9scan_implILNS1_25lookback_scan_determinismE0ELb0ELb1ES3_N6thrust23THRUST_200600_302600_NS6detail15normal_iteratorINS9_10device_ptrIsEEEESE_sNS9_10multipliesIsEEsEEDaPvRmT3_T4_T5_mT6_P12ihipStream_tbENKUlT_T0_E_clISt17integral_constantIbLb1EESU_EEDaSP_SQ_EUlSP_E_NS1_11comp_targetILNS1_3genE4ELNS1_11target_archE910ELNS1_3gpuE8ELNS1_3repE0EEENS1_30default_config_static_selectorELNS0_4arch9wavefront6targetE1EEEvT1_, .Lfunc_end1143-_ZN7rocprim17ROCPRIM_400000_NS6detail17trampoline_kernelINS0_14default_configENS1_20scan_config_selectorIsEEZZNS1_9scan_implILNS1_25lookback_scan_determinismE0ELb0ELb1ES3_N6thrust23THRUST_200600_302600_NS6detail15normal_iteratorINS9_10device_ptrIsEEEESE_sNS9_10multipliesIsEEsEEDaPvRmT3_T4_T5_mT6_P12ihipStream_tbENKUlT_T0_E_clISt17integral_constantIbLb1EESU_EEDaSP_SQ_EUlSP_E_NS1_11comp_targetILNS1_3genE4ELNS1_11target_archE910ELNS1_3gpuE8ELNS1_3repE0EEENS1_30default_config_static_selectorELNS0_4arch9wavefront6targetE1EEEvT1_
                                        ; -- End function
	.section	.AMDGPU.csdata,"",@progbits
; Kernel info:
; codeLenInByte = 8840
; NumSgprs: 42
; NumVgprs: 67
; NumAgprs: 0
; TotalNumVgprs: 67
; ScratchSize: 0
; MemoryBound: 0
; FloatMode: 240
; IeeeMode: 1
; LDSByteSize: 3072 bytes/workgroup (compile time only)
; SGPRBlocks: 5
; VGPRBlocks: 8
; NumSGPRsForWavesPerEU: 42
; NumVGPRsForWavesPerEU: 67
; AccumOffset: 68
; Occupancy: 6
; WaveLimiterHint : 1
; COMPUTE_PGM_RSRC2:SCRATCH_EN: 0
; COMPUTE_PGM_RSRC2:USER_SGPR: 6
; COMPUTE_PGM_RSRC2:TRAP_HANDLER: 0
; COMPUTE_PGM_RSRC2:TGID_X_EN: 1
; COMPUTE_PGM_RSRC2:TGID_Y_EN: 0
; COMPUTE_PGM_RSRC2:TGID_Z_EN: 0
; COMPUTE_PGM_RSRC2:TIDIG_COMP_CNT: 0
; COMPUTE_PGM_RSRC3_GFX90A:ACCUM_OFFSET: 16
; COMPUTE_PGM_RSRC3_GFX90A:TG_SPLIT: 0
	.section	.text._ZN7rocprim17ROCPRIM_400000_NS6detail17trampoline_kernelINS0_14default_configENS1_20scan_config_selectorIsEEZZNS1_9scan_implILNS1_25lookback_scan_determinismE0ELb0ELb1ES3_N6thrust23THRUST_200600_302600_NS6detail15normal_iteratorINS9_10device_ptrIsEEEESE_sNS9_10multipliesIsEEsEEDaPvRmT3_T4_T5_mT6_P12ihipStream_tbENKUlT_T0_E_clISt17integral_constantIbLb1EESU_EEDaSP_SQ_EUlSP_E_NS1_11comp_targetILNS1_3genE3ELNS1_11target_archE908ELNS1_3gpuE7ELNS1_3repE0EEENS1_30default_config_static_selectorELNS0_4arch9wavefront6targetE1EEEvT1_,"axG",@progbits,_ZN7rocprim17ROCPRIM_400000_NS6detail17trampoline_kernelINS0_14default_configENS1_20scan_config_selectorIsEEZZNS1_9scan_implILNS1_25lookback_scan_determinismE0ELb0ELb1ES3_N6thrust23THRUST_200600_302600_NS6detail15normal_iteratorINS9_10device_ptrIsEEEESE_sNS9_10multipliesIsEEsEEDaPvRmT3_T4_T5_mT6_P12ihipStream_tbENKUlT_T0_E_clISt17integral_constantIbLb1EESU_EEDaSP_SQ_EUlSP_E_NS1_11comp_targetILNS1_3genE3ELNS1_11target_archE908ELNS1_3gpuE7ELNS1_3repE0EEENS1_30default_config_static_selectorELNS0_4arch9wavefront6targetE1EEEvT1_,comdat
	.protected	_ZN7rocprim17ROCPRIM_400000_NS6detail17trampoline_kernelINS0_14default_configENS1_20scan_config_selectorIsEEZZNS1_9scan_implILNS1_25lookback_scan_determinismE0ELb0ELb1ES3_N6thrust23THRUST_200600_302600_NS6detail15normal_iteratorINS9_10device_ptrIsEEEESE_sNS9_10multipliesIsEEsEEDaPvRmT3_T4_T5_mT6_P12ihipStream_tbENKUlT_T0_E_clISt17integral_constantIbLb1EESU_EEDaSP_SQ_EUlSP_E_NS1_11comp_targetILNS1_3genE3ELNS1_11target_archE908ELNS1_3gpuE7ELNS1_3repE0EEENS1_30default_config_static_selectorELNS0_4arch9wavefront6targetE1EEEvT1_ ; -- Begin function _ZN7rocprim17ROCPRIM_400000_NS6detail17trampoline_kernelINS0_14default_configENS1_20scan_config_selectorIsEEZZNS1_9scan_implILNS1_25lookback_scan_determinismE0ELb0ELb1ES3_N6thrust23THRUST_200600_302600_NS6detail15normal_iteratorINS9_10device_ptrIsEEEESE_sNS9_10multipliesIsEEsEEDaPvRmT3_T4_T5_mT6_P12ihipStream_tbENKUlT_T0_E_clISt17integral_constantIbLb1EESU_EEDaSP_SQ_EUlSP_E_NS1_11comp_targetILNS1_3genE3ELNS1_11target_archE908ELNS1_3gpuE7ELNS1_3repE0EEENS1_30default_config_static_selectorELNS0_4arch9wavefront6targetE1EEEvT1_
	.globl	_ZN7rocprim17ROCPRIM_400000_NS6detail17trampoline_kernelINS0_14default_configENS1_20scan_config_selectorIsEEZZNS1_9scan_implILNS1_25lookback_scan_determinismE0ELb0ELb1ES3_N6thrust23THRUST_200600_302600_NS6detail15normal_iteratorINS9_10device_ptrIsEEEESE_sNS9_10multipliesIsEEsEEDaPvRmT3_T4_T5_mT6_P12ihipStream_tbENKUlT_T0_E_clISt17integral_constantIbLb1EESU_EEDaSP_SQ_EUlSP_E_NS1_11comp_targetILNS1_3genE3ELNS1_11target_archE908ELNS1_3gpuE7ELNS1_3repE0EEENS1_30default_config_static_selectorELNS0_4arch9wavefront6targetE1EEEvT1_
	.p2align	8
	.type	_ZN7rocprim17ROCPRIM_400000_NS6detail17trampoline_kernelINS0_14default_configENS1_20scan_config_selectorIsEEZZNS1_9scan_implILNS1_25lookback_scan_determinismE0ELb0ELb1ES3_N6thrust23THRUST_200600_302600_NS6detail15normal_iteratorINS9_10device_ptrIsEEEESE_sNS9_10multipliesIsEEsEEDaPvRmT3_T4_T5_mT6_P12ihipStream_tbENKUlT_T0_E_clISt17integral_constantIbLb1EESU_EEDaSP_SQ_EUlSP_E_NS1_11comp_targetILNS1_3genE3ELNS1_11target_archE908ELNS1_3gpuE7ELNS1_3repE0EEENS1_30default_config_static_selectorELNS0_4arch9wavefront6targetE1EEEvT1_,@function
_ZN7rocprim17ROCPRIM_400000_NS6detail17trampoline_kernelINS0_14default_configENS1_20scan_config_selectorIsEEZZNS1_9scan_implILNS1_25lookback_scan_determinismE0ELb0ELb1ES3_N6thrust23THRUST_200600_302600_NS6detail15normal_iteratorINS9_10device_ptrIsEEEESE_sNS9_10multipliesIsEEsEEDaPvRmT3_T4_T5_mT6_P12ihipStream_tbENKUlT_T0_E_clISt17integral_constantIbLb1EESU_EEDaSP_SQ_EUlSP_E_NS1_11comp_targetILNS1_3genE3ELNS1_11target_archE908ELNS1_3gpuE7ELNS1_3repE0EEENS1_30default_config_static_selectorELNS0_4arch9wavefront6targetE1EEEvT1_: ; @_ZN7rocprim17ROCPRIM_400000_NS6detail17trampoline_kernelINS0_14default_configENS1_20scan_config_selectorIsEEZZNS1_9scan_implILNS1_25lookback_scan_determinismE0ELb0ELb1ES3_N6thrust23THRUST_200600_302600_NS6detail15normal_iteratorINS9_10device_ptrIsEEEESE_sNS9_10multipliesIsEEsEEDaPvRmT3_T4_T5_mT6_P12ihipStream_tbENKUlT_T0_E_clISt17integral_constantIbLb1EESU_EEDaSP_SQ_EUlSP_E_NS1_11comp_targetILNS1_3genE3ELNS1_11target_archE908ELNS1_3gpuE7ELNS1_3repE0EEENS1_30default_config_static_selectorELNS0_4arch9wavefront6targetE1EEEvT1_
; %bb.0:
	.section	.rodata,"a",@progbits
	.p2align	6, 0x0
	.amdhsa_kernel _ZN7rocprim17ROCPRIM_400000_NS6detail17trampoline_kernelINS0_14default_configENS1_20scan_config_selectorIsEEZZNS1_9scan_implILNS1_25lookback_scan_determinismE0ELb0ELb1ES3_N6thrust23THRUST_200600_302600_NS6detail15normal_iteratorINS9_10device_ptrIsEEEESE_sNS9_10multipliesIsEEsEEDaPvRmT3_T4_T5_mT6_P12ihipStream_tbENKUlT_T0_E_clISt17integral_constantIbLb1EESU_EEDaSP_SQ_EUlSP_E_NS1_11comp_targetILNS1_3genE3ELNS1_11target_archE908ELNS1_3gpuE7ELNS1_3repE0EEENS1_30default_config_static_selectorELNS0_4arch9wavefront6targetE1EEEvT1_
		.amdhsa_group_segment_fixed_size 0
		.amdhsa_private_segment_fixed_size 0
		.amdhsa_kernarg_size 96
		.amdhsa_user_sgpr_count 6
		.amdhsa_user_sgpr_private_segment_buffer 1
		.amdhsa_user_sgpr_dispatch_ptr 0
		.amdhsa_user_sgpr_queue_ptr 0
		.amdhsa_user_sgpr_kernarg_segment_ptr 1
		.amdhsa_user_sgpr_dispatch_id 0
		.amdhsa_user_sgpr_flat_scratch_init 0
		.amdhsa_user_sgpr_kernarg_preload_length 0
		.amdhsa_user_sgpr_kernarg_preload_offset 0
		.amdhsa_user_sgpr_private_segment_size 0
		.amdhsa_uses_dynamic_stack 0
		.amdhsa_system_sgpr_private_segment_wavefront_offset 0
		.amdhsa_system_sgpr_workgroup_id_x 1
		.amdhsa_system_sgpr_workgroup_id_y 0
		.amdhsa_system_sgpr_workgroup_id_z 0
		.amdhsa_system_sgpr_workgroup_info 0
		.amdhsa_system_vgpr_workitem_id 0
		.amdhsa_next_free_vgpr 1
		.amdhsa_next_free_sgpr 0
		.amdhsa_accum_offset 4
		.amdhsa_reserve_vcc 0
		.amdhsa_reserve_flat_scratch 0
		.amdhsa_float_round_mode_32 0
		.amdhsa_float_round_mode_16_64 0
		.amdhsa_float_denorm_mode_32 3
		.amdhsa_float_denorm_mode_16_64 3
		.amdhsa_dx10_clamp 1
		.amdhsa_ieee_mode 1
		.amdhsa_fp16_overflow 0
		.amdhsa_tg_split 0
		.amdhsa_exception_fp_ieee_invalid_op 0
		.amdhsa_exception_fp_denorm_src 0
		.amdhsa_exception_fp_ieee_div_zero 0
		.amdhsa_exception_fp_ieee_overflow 0
		.amdhsa_exception_fp_ieee_underflow 0
		.amdhsa_exception_fp_ieee_inexact 0
		.amdhsa_exception_int_div_zero 0
	.end_amdhsa_kernel
	.section	.text._ZN7rocprim17ROCPRIM_400000_NS6detail17trampoline_kernelINS0_14default_configENS1_20scan_config_selectorIsEEZZNS1_9scan_implILNS1_25lookback_scan_determinismE0ELb0ELb1ES3_N6thrust23THRUST_200600_302600_NS6detail15normal_iteratorINS9_10device_ptrIsEEEESE_sNS9_10multipliesIsEEsEEDaPvRmT3_T4_T5_mT6_P12ihipStream_tbENKUlT_T0_E_clISt17integral_constantIbLb1EESU_EEDaSP_SQ_EUlSP_E_NS1_11comp_targetILNS1_3genE3ELNS1_11target_archE908ELNS1_3gpuE7ELNS1_3repE0EEENS1_30default_config_static_selectorELNS0_4arch9wavefront6targetE1EEEvT1_,"axG",@progbits,_ZN7rocprim17ROCPRIM_400000_NS6detail17trampoline_kernelINS0_14default_configENS1_20scan_config_selectorIsEEZZNS1_9scan_implILNS1_25lookback_scan_determinismE0ELb0ELb1ES3_N6thrust23THRUST_200600_302600_NS6detail15normal_iteratorINS9_10device_ptrIsEEEESE_sNS9_10multipliesIsEEsEEDaPvRmT3_T4_T5_mT6_P12ihipStream_tbENKUlT_T0_E_clISt17integral_constantIbLb1EESU_EEDaSP_SQ_EUlSP_E_NS1_11comp_targetILNS1_3genE3ELNS1_11target_archE908ELNS1_3gpuE7ELNS1_3repE0EEENS1_30default_config_static_selectorELNS0_4arch9wavefront6targetE1EEEvT1_,comdat
.Lfunc_end1144:
	.size	_ZN7rocprim17ROCPRIM_400000_NS6detail17trampoline_kernelINS0_14default_configENS1_20scan_config_selectorIsEEZZNS1_9scan_implILNS1_25lookback_scan_determinismE0ELb0ELb1ES3_N6thrust23THRUST_200600_302600_NS6detail15normal_iteratorINS9_10device_ptrIsEEEESE_sNS9_10multipliesIsEEsEEDaPvRmT3_T4_T5_mT6_P12ihipStream_tbENKUlT_T0_E_clISt17integral_constantIbLb1EESU_EEDaSP_SQ_EUlSP_E_NS1_11comp_targetILNS1_3genE3ELNS1_11target_archE908ELNS1_3gpuE7ELNS1_3repE0EEENS1_30default_config_static_selectorELNS0_4arch9wavefront6targetE1EEEvT1_, .Lfunc_end1144-_ZN7rocprim17ROCPRIM_400000_NS6detail17trampoline_kernelINS0_14default_configENS1_20scan_config_selectorIsEEZZNS1_9scan_implILNS1_25lookback_scan_determinismE0ELb0ELb1ES3_N6thrust23THRUST_200600_302600_NS6detail15normal_iteratorINS9_10device_ptrIsEEEESE_sNS9_10multipliesIsEEsEEDaPvRmT3_T4_T5_mT6_P12ihipStream_tbENKUlT_T0_E_clISt17integral_constantIbLb1EESU_EEDaSP_SQ_EUlSP_E_NS1_11comp_targetILNS1_3genE3ELNS1_11target_archE908ELNS1_3gpuE7ELNS1_3repE0EEENS1_30default_config_static_selectorELNS0_4arch9wavefront6targetE1EEEvT1_
                                        ; -- End function
	.section	.AMDGPU.csdata,"",@progbits
; Kernel info:
; codeLenInByte = 0
; NumSgprs: 4
; NumVgprs: 0
; NumAgprs: 0
; TotalNumVgprs: 0
; ScratchSize: 0
; MemoryBound: 0
; FloatMode: 240
; IeeeMode: 1
; LDSByteSize: 0 bytes/workgroup (compile time only)
; SGPRBlocks: 0
; VGPRBlocks: 0
; NumSGPRsForWavesPerEU: 4
; NumVGPRsForWavesPerEU: 1
; AccumOffset: 4
; Occupancy: 8
; WaveLimiterHint : 0
; COMPUTE_PGM_RSRC2:SCRATCH_EN: 0
; COMPUTE_PGM_RSRC2:USER_SGPR: 6
; COMPUTE_PGM_RSRC2:TRAP_HANDLER: 0
; COMPUTE_PGM_RSRC2:TGID_X_EN: 1
; COMPUTE_PGM_RSRC2:TGID_Y_EN: 0
; COMPUTE_PGM_RSRC2:TGID_Z_EN: 0
; COMPUTE_PGM_RSRC2:TIDIG_COMP_CNT: 0
; COMPUTE_PGM_RSRC3_GFX90A:ACCUM_OFFSET: 0
; COMPUTE_PGM_RSRC3_GFX90A:TG_SPLIT: 0
	.section	.text._ZN7rocprim17ROCPRIM_400000_NS6detail17trampoline_kernelINS0_14default_configENS1_20scan_config_selectorIsEEZZNS1_9scan_implILNS1_25lookback_scan_determinismE0ELb0ELb1ES3_N6thrust23THRUST_200600_302600_NS6detail15normal_iteratorINS9_10device_ptrIsEEEESE_sNS9_10multipliesIsEEsEEDaPvRmT3_T4_T5_mT6_P12ihipStream_tbENKUlT_T0_E_clISt17integral_constantIbLb1EESU_EEDaSP_SQ_EUlSP_E_NS1_11comp_targetILNS1_3genE2ELNS1_11target_archE906ELNS1_3gpuE6ELNS1_3repE0EEENS1_30default_config_static_selectorELNS0_4arch9wavefront6targetE1EEEvT1_,"axG",@progbits,_ZN7rocprim17ROCPRIM_400000_NS6detail17trampoline_kernelINS0_14default_configENS1_20scan_config_selectorIsEEZZNS1_9scan_implILNS1_25lookback_scan_determinismE0ELb0ELb1ES3_N6thrust23THRUST_200600_302600_NS6detail15normal_iteratorINS9_10device_ptrIsEEEESE_sNS9_10multipliesIsEEsEEDaPvRmT3_T4_T5_mT6_P12ihipStream_tbENKUlT_T0_E_clISt17integral_constantIbLb1EESU_EEDaSP_SQ_EUlSP_E_NS1_11comp_targetILNS1_3genE2ELNS1_11target_archE906ELNS1_3gpuE6ELNS1_3repE0EEENS1_30default_config_static_selectorELNS0_4arch9wavefront6targetE1EEEvT1_,comdat
	.protected	_ZN7rocprim17ROCPRIM_400000_NS6detail17trampoline_kernelINS0_14default_configENS1_20scan_config_selectorIsEEZZNS1_9scan_implILNS1_25lookback_scan_determinismE0ELb0ELb1ES3_N6thrust23THRUST_200600_302600_NS6detail15normal_iteratorINS9_10device_ptrIsEEEESE_sNS9_10multipliesIsEEsEEDaPvRmT3_T4_T5_mT6_P12ihipStream_tbENKUlT_T0_E_clISt17integral_constantIbLb1EESU_EEDaSP_SQ_EUlSP_E_NS1_11comp_targetILNS1_3genE2ELNS1_11target_archE906ELNS1_3gpuE6ELNS1_3repE0EEENS1_30default_config_static_selectorELNS0_4arch9wavefront6targetE1EEEvT1_ ; -- Begin function _ZN7rocprim17ROCPRIM_400000_NS6detail17trampoline_kernelINS0_14default_configENS1_20scan_config_selectorIsEEZZNS1_9scan_implILNS1_25lookback_scan_determinismE0ELb0ELb1ES3_N6thrust23THRUST_200600_302600_NS6detail15normal_iteratorINS9_10device_ptrIsEEEESE_sNS9_10multipliesIsEEsEEDaPvRmT3_T4_T5_mT6_P12ihipStream_tbENKUlT_T0_E_clISt17integral_constantIbLb1EESU_EEDaSP_SQ_EUlSP_E_NS1_11comp_targetILNS1_3genE2ELNS1_11target_archE906ELNS1_3gpuE6ELNS1_3repE0EEENS1_30default_config_static_selectorELNS0_4arch9wavefront6targetE1EEEvT1_
	.globl	_ZN7rocprim17ROCPRIM_400000_NS6detail17trampoline_kernelINS0_14default_configENS1_20scan_config_selectorIsEEZZNS1_9scan_implILNS1_25lookback_scan_determinismE0ELb0ELb1ES3_N6thrust23THRUST_200600_302600_NS6detail15normal_iteratorINS9_10device_ptrIsEEEESE_sNS9_10multipliesIsEEsEEDaPvRmT3_T4_T5_mT6_P12ihipStream_tbENKUlT_T0_E_clISt17integral_constantIbLb1EESU_EEDaSP_SQ_EUlSP_E_NS1_11comp_targetILNS1_3genE2ELNS1_11target_archE906ELNS1_3gpuE6ELNS1_3repE0EEENS1_30default_config_static_selectorELNS0_4arch9wavefront6targetE1EEEvT1_
	.p2align	8
	.type	_ZN7rocprim17ROCPRIM_400000_NS6detail17trampoline_kernelINS0_14default_configENS1_20scan_config_selectorIsEEZZNS1_9scan_implILNS1_25lookback_scan_determinismE0ELb0ELb1ES3_N6thrust23THRUST_200600_302600_NS6detail15normal_iteratorINS9_10device_ptrIsEEEESE_sNS9_10multipliesIsEEsEEDaPvRmT3_T4_T5_mT6_P12ihipStream_tbENKUlT_T0_E_clISt17integral_constantIbLb1EESU_EEDaSP_SQ_EUlSP_E_NS1_11comp_targetILNS1_3genE2ELNS1_11target_archE906ELNS1_3gpuE6ELNS1_3repE0EEENS1_30default_config_static_selectorELNS0_4arch9wavefront6targetE1EEEvT1_,@function
_ZN7rocprim17ROCPRIM_400000_NS6detail17trampoline_kernelINS0_14default_configENS1_20scan_config_selectorIsEEZZNS1_9scan_implILNS1_25lookback_scan_determinismE0ELb0ELb1ES3_N6thrust23THRUST_200600_302600_NS6detail15normal_iteratorINS9_10device_ptrIsEEEESE_sNS9_10multipliesIsEEsEEDaPvRmT3_T4_T5_mT6_P12ihipStream_tbENKUlT_T0_E_clISt17integral_constantIbLb1EESU_EEDaSP_SQ_EUlSP_E_NS1_11comp_targetILNS1_3genE2ELNS1_11target_archE906ELNS1_3gpuE6ELNS1_3repE0EEENS1_30default_config_static_selectorELNS0_4arch9wavefront6targetE1EEEvT1_: ; @_ZN7rocprim17ROCPRIM_400000_NS6detail17trampoline_kernelINS0_14default_configENS1_20scan_config_selectorIsEEZZNS1_9scan_implILNS1_25lookback_scan_determinismE0ELb0ELb1ES3_N6thrust23THRUST_200600_302600_NS6detail15normal_iteratorINS9_10device_ptrIsEEEESE_sNS9_10multipliesIsEEsEEDaPvRmT3_T4_T5_mT6_P12ihipStream_tbENKUlT_T0_E_clISt17integral_constantIbLb1EESU_EEDaSP_SQ_EUlSP_E_NS1_11comp_targetILNS1_3genE2ELNS1_11target_archE906ELNS1_3gpuE6ELNS1_3repE0EEENS1_30default_config_static_selectorELNS0_4arch9wavefront6targetE1EEEvT1_
; %bb.0:
	.section	.rodata,"a",@progbits
	.p2align	6, 0x0
	.amdhsa_kernel _ZN7rocprim17ROCPRIM_400000_NS6detail17trampoline_kernelINS0_14default_configENS1_20scan_config_selectorIsEEZZNS1_9scan_implILNS1_25lookback_scan_determinismE0ELb0ELb1ES3_N6thrust23THRUST_200600_302600_NS6detail15normal_iteratorINS9_10device_ptrIsEEEESE_sNS9_10multipliesIsEEsEEDaPvRmT3_T4_T5_mT6_P12ihipStream_tbENKUlT_T0_E_clISt17integral_constantIbLb1EESU_EEDaSP_SQ_EUlSP_E_NS1_11comp_targetILNS1_3genE2ELNS1_11target_archE906ELNS1_3gpuE6ELNS1_3repE0EEENS1_30default_config_static_selectorELNS0_4arch9wavefront6targetE1EEEvT1_
		.amdhsa_group_segment_fixed_size 0
		.amdhsa_private_segment_fixed_size 0
		.amdhsa_kernarg_size 96
		.amdhsa_user_sgpr_count 6
		.amdhsa_user_sgpr_private_segment_buffer 1
		.amdhsa_user_sgpr_dispatch_ptr 0
		.amdhsa_user_sgpr_queue_ptr 0
		.amdhsa_user_sgpr_kernarg_segment_ptr 1
		.amdhsa_user_sgpr_dispatch_id 0
		.amdhsa_user_sgpr_flat_scratch_init 0
		.amdhsa_user_sgpr_kernarg_preload_length 0
		.amdhsa_user_sgpr_kernarg_preload_offset 0
		.amdhsa_user_sgpr_private_segment_size 0
		.amdhsa_uses_dynamic_stack 0
		.amdhsa_system_sgpr_private_segment_wavefront_offset 0
		.amdhsa_system_sgpr_workgroup_id_x 1
		.amdhsa_system_sgpr_workgroup_id_y 0
		.amdhsa_system_sgpr_workgroup_id_z 0
		.amdhsa_system_sgpr_workgroup_info 0
		.amdhsa_system_vgpr_workitem_id 0
		.amdhsa_next_free_vgpr 1
		.amdhsa_next_free_sgpr 0
		.amdhsa_accum_offset 4
		.amdhsa_reserve_vcc 0
		.amdhsa_reserve_flat_scratch 0
		.amdhsa_float_round_mode_32 0
		.amdhsa_float_round_mode_16_64 0
		.amdhsa_float_denorm_mode_32 3
		.amdhsa_float_denorm_mode_16_64 3
		.amdhsa_dx10_clamp 1
		.amdhsa_ieee_mode 1
		.amdhsa_fp16_overflow 0
		.amdhsa_tg_split 0
		.amdhsa_exception_fp_ieee_invalid_op 0
		.amdhsa_exception_fp_denorm_src 0
		.amdhsa_exception_fp_ieee_div_zero 0
		.amdhsa_exception_fp_ieee_overflow 0
		.amdhsa_exception_fp_ieee_underflow 0
		.amdhsa_exception_fp_ieee_inexact 0
		.amdhsa_exception_int_div_zero 0
	.end_amdhsa_kernel
	.section	.text._ZN7rocprim17ROCPRIM_400000_NS6detail17trampoline_kernelINS0_14default_configENS1_20scan_config_selectorIsEEZZNS1_9scan_implILNS1_25lookback_scan_determinismE0ELb0ELb1ES3_N6thrust23THRUST_200600_302600_NS6detail15normal_iteratorINS9_10device_ptrIsEEEESE_sNS9_10multipliesIsEEsEEDaPvRmT3_T4_T5_mT6_P12ihipStream_tbENKUlT_T0_E_clISt17integral_constantIbLb1EESU_EEDaSP_SQ_EUlSP_E_NS1_11comp_targetILNS1_3genE2ELNS1_11target_archE906ELNS1_3gpuE6ELNS1_3repE0EEENS1_30default_config_static_selectorELNS0_4arch9wavefront6targetE1EEEvT1_,"axG",@progbits,_ZN7rocprim17ROCPRIM_400000_NS6detail17trampoline_kernelINS0_14default_configENS1_20scan_config_selectorIsEEZZNS1_9scan_implILNS1_25lookback_scan_determinismE0ELb0ELb1ES3_N6thrust23THRUST_200600_302600_NS6detail15normal_iteratorINS9_10device_ptrIsEEEESE_sNS9_10multipliesIsEEsEEDaPvRmT3_T4_T5_mT6_P12ihipStream_tbENKUlT_T0_E_clISt17integral_constantIbLb1EESU_EEDaSP_SQ_EUlSP_E_NS1_11comp_targetILNS1_3genE2ELNS1_11target_archE906ELNS1_3gpuE6ELNS1_3repE0EEENS1_30default_config_static_selectorELNS0_4arch9wavefront6targetE1EEEvT1_,comdat
.Lfunc_end1145:
	.size	_ZN7rocprim17ROCPRIM_400000_NS6detail17trampoline_kernelINS0_14default_configENS1_20scan_config_selectorIsEEZZNS1_9scan_implILNS1_25lookback_scan_determinismE0ELb0ELb1ES3_N6thrust23THRUST_200600_302600_NS6detail15normal_iteratorINS9_10device_ptrIsEEEESE_sNS9_10multipliesIsEEsEEDaPvRmT3_T4_T5_mT6_P12ihipStream_tbENKUlT_T0_E_clISt17integral_constantIbLb1EESU_EEDaSP_SQ_EUlSP_E_NS1_11comp_targetILNS1_3genE2ELNS1_11target_archE906ELNS1_3gpuE6ELNS1_3repE0EEENS1_30default_config_static_selectorELNS0_4arch9wavefront6targetE1EEEvT1_, .Lfunc_end1145-_ZN7rocprim17ROCPRIM_400000_NS6detail17trampoline_kernelINS0_14default_configENS1_20scan_config_selectorIsEEZZNS1_9scan_implILNS1_25lookback_scan_determinismE0ELb0ELb1ES3_N6thrust23THRUST_200600_302600_NS6detail15normal_iteratorINS9_10device_ptrIsEEEESE_sNS9_10multipliesIsEEsEEDaPvRmT3_T4_T5_mT6_P12ihipStream_tbENKUlT_T0_E_clISt17integral_constantIbLb1EESU_EEDaSP_SQ_EUlSP_E_NS1_11comp_targetILNS1_3genE2ELNS1_11target_archE906ELNS1_3gpuE6ELNS1_3repE0EEENS1_30default_config_static_selectorELNS0_4arch9wavefront6targetE1EEEvT1_
                                        ; -- End function
	.section	.AMDGPU.csdata,"",@progbits
; Kernel info:
; codeLenInByte = 0
; NumSgprs: 4
; NumVgprs: 0
; NumAgprs: 0
; TotalNumVgprs: 0
; ScratchSize: 0
; MemoryBound: 0
; FloatMode: 240
; IeeeMode: 1
; LDSByteSize: 0 bytes/workgroup (compile time only)
; SGPRBlocks: 0
; VGPRBlocks: 0
; NumSGPRsForWavesPerEU: 4
; NumVGPRsForWavesPerEU: 1
; AccumOffset: 4
; Occupancy: 8
; WaveLimiterHint : 0
; COMPUTE_PGM_RSRC2:SCRATCH_EN: 0
; COMPUTE_PGM_RSRC2:USER_SGPR: 6
; COMPUTE_PGM_RSRC2:TRAP_HANDLER: 0
; COMPUTE_PGM_RSRC2:TGID_X_EN: 1
; COMPUTE_PGM_RSRC2:TGID_Y_EN: 0
; COMPUTE_PGM_RSRC2:TGID_Z_EN: 0
; COMPUTE_PGM_RSRC2:TIDIG_COMP_CNT: 0
; COMPUTE_PGM_RSRC3_GFX90A:ACCUM_OFFSET: 0
; COMPUTE_PGM_RSRC3_GFX90A:TG_SPLIT: 0
	.section	.text._ZN7rocprim17ROCPRIM_400000_NS6detail17trampoline_kernelINS0_14default_configENS1_20scan_config_selectorIsEEZZNS1_9scan_implILNS1_25lookback_scan_determinismE0ELb0ELb1ES3_N6thrust23THRUST_200600_302600_NS6detail15normal_iteratorINS9_10device_ptrIsEEEESE_sNS9_10multipliesIsEEsEEDaPvRmT3_T4_T5_mT6_P12ihipStream_tbENKUlT_T0_E_clISt17integral_constantIbLb1EESU_EEDaSP_SQ_EUlSP_E_NS1_11comp_targetILNS1_3genE10ELNS1_11target_archE1201ELNS1_3gpuE5ELNS1_3repE0EEENS1_30default_config_static_selectorELNS0_4arch9wavefront6targetE1EEEvT1_,"axG",@progbits,_ZN7rocprim17ROCPRIM_400000_NS6detail17trampoline_kernelINS0_14default_configENS1_20scan_config_selectorIsEEZZNS1_9scan_implILNS1_25lookback_scan_determinismE0ELb0ELb1ES3_N6thrust23THRUST_200600_302600_NS6detail15normal_iteratorINS9_10device_ptrIsEEEESE_sNS9_10multipliesIsEEsEEDaPvRmT3_T4_T5_mT6_P12ihipStream_tbENKUlT_T0_E_clISt17integral_constantIbLb1EESU_EEDaSP_SQ_EUlSP_E_NS1_11comp_targetILNS1_3genE10ELNS1_11target_archE1201ELNS1_3gpuE5ELNS1_3repE0EEENS1_30default_config_static_selectorELNS0_4arch9wavefront6targetE1EEEvT1_,comdat
	.protected	_ZN7rocprim17ROCPRIM_400000_NS6detail17trampoline_kernelINS0_14default_configENS1_20scan_config_selectorIsEEZZNS1_9scan_implILNS1_25lookback_scan_determinismE0ELb0ELb1ES3_N6thrust23THRUST_200600_302600_NS6detail15normal_iteratorINS9_10device_ptrIsEEEESE_sNS9_10multipliesIsEEsEEDaPvRmT3_T4_T5_mT6_P12ihipStream_tbENKUlT_T0_E_clISt17integral_constantIbLb1EESU_EEDaSP_SQ_EUlSP_E_NS1_11comp_targetILNS1_3genE10ELNS1_11target_archE1201ELNS1_3gpuE5ELNS1_3repE0EEENS1_30default_config_static_selectorELNS0_4arch9wavefront6targetE1EEEvT1_ ; -- Begin function _ZN7rocprim17ROCPRIM_400000_NS6detail17trampoline_kernelINS0_14default_configENS1_20scan_config_selectorIsEEZZNS1_9scan_implILNS1_25lookback_scan_determinismE0ELb0ELb1ES3_N6thrust23THRUST_200600_302600_NS6detail15normal_iteratorINS9_10device_ptrIsEEEESE_sNS9_10multipliesIsEEsEEDaPvRmT3_T4_T5_mT6_P12ihipStream_tbENKUlT_T0_E_clISt17integral_constantIbLb1EESU_EEDaSP_SQ_EUlSP_E_NS1_11comp_targetILNS1_3genE10ELNS1_11target_archE1201ELNS1_3gpuE5ELNS1_3repE0EEENS1_30default_config_static_selectorELNS0_4arch9wavefront6targetE1EEEvT1_
	.globl	_ZN7rocprim17ROCPRIM_400000_NS6detail17trampoline_kernelINS0_14default_configENS1_20scan_config_selectorIsEEZZNS1_9scan_implILNS1_25lookback_scan_determinismE0ELb0ELb1ES3_N6thrust23THRUST_200600_302600_NS6detail15normal_iteratorINS9_10device_ptrIsEEEESE_sNS9_10multipliesIsEEsEEDaPvRmT3_T4_T5_mT6_P12ihipStream_tbENKUlT_T0_E_clISt17integral_constantIbLb1EESU_EEDaSP_SQ_EUlSP_E_NS1_11comp_targetILNS1_3genE10ELNS1_11target_archE1201ELNS1_3gpuE5ELNS1_3repE0EEENS1_30default_config_static_selectorELNS0_4arch9wavefront6targetE1EEEvT1_
	.p2align	8
	.type	_ZN7rocprim17ROCPRIM_400000_NS6detail17trampoline_kernelINS0_14default_configENS1_20scan_config_selectorIsEEZZNS1_9scan_implILNS1_25lookback_scan_determinismE0ELb0ELb1ES3_N6thrust23THRUST_200600_302600_NS6detail15normal_iteratorINS9_10device_ptrIsEEEESE_sNS9_10multipliesIsEEsEEDaPvRmT3_T4_T5_mT6_P12ihipStream_tbENKUlT_T0_E_clISt17integral_constantIbLb1EESU_EEDaSP_SQ_EUlSP_E_NS1_11comp_targetILNS1_3genE10ELNS1_11target_archE1201ELNS1_3gpuE5ELNS1_3repE0EEENS1_30default_config_static_selectorELNS0_4arch9wavefront6targetE1EEEvT1_,@function
_ZN7rocprim17ROCPRIM_400000_NS6detail17trampoline_kernelINS0_14default_configENS1_20scan_config_selectorIsEEZZNS1_9scan_implILNS1_25lookback_scan_determinismE0ELb0ELb1ES3_N6thrust23THRUST_200600_302600_NS6detail15normal_iteratorINS9_10device_ptrIsEEEESE_sNS9_10multipliesIsEEsEEDaPvRmT3_T4_T5_mT6_P12ihipStream_tbENKUlT_T0_E_clISt17integral_constantIbLb1EESU_EEDaSP_SQ_EUlSP_E_NS1_11comp_targetILNS1_3genE10ELNS1_11target_archE1201ELNS1_3gpuE5ELNS1_3repE0EEENS1_30default_config_static_selectorELNS0_4arch9wavefront6targetE1EEEvT1_: ; @_ZN7rocprim17ROCPRIM_400000_NS6detail17trampoline_kernelINS0_14default_configENS1_20scan_config_selectorIsEEZZNS1_9scan_implILNS1_25lookback_scan_determinismE0ELb0ELb1ES3_N6thrust23THRUST_200600_302600_NS6detail15normal_iteratorINS9_10device_ptrIsEEEESE_sNS9_10multipliesIsEEsEEDaPvRmT3_T4_T5_mT6_P12ihipStream_tbENKUlT_T0_E_clISt17integral_constantIbLb1EESU_EEDaSP_SQ_EUlSP_E_NS1_11comp_targetILNS1_3genE10ELNS1_11target_archE1201ELNS1_3gpuE5ELNS1_3repE0EEENS1_30default_config_static_selectorELNS0_4arch9wavefront6targetE1EEEvT1_
; %bb.0:
	.section	.rodata,"a",@progbits
	.p2align	6, 0x0
	.amdhsa_kernel _ZN7rocprim17ROCPRIM_400000_NS6detail17trampoline_kernelINS0_14default_configENS1_20scan_config_selectorIsEEZZNS1_9scan_implILNS1_25lookback_scan_determinismE0ELb0ELb1ES3_N6thrust23THRUST_200600_302600_NS6detail15normal_iteratorINS9_10device_ptrIsEEEESE_sNS9_10multipliesIsEEsEEDaPvRmT3_T4_T5_mT6_P12ihipStream_tbENKUlT_T0_E_clISt17integral_constantIbLb1EESU_EEDaSP_SQ_EUlSP_E_NS1_11comp_targetILNS1_3genE10ELNS1_11target_archE1201ELNS1_3gpuE5ELNS1_3repE0EEENS1_30default_config_static_selectorELNS0_4arch9wavefront6targetE1EEEvT1_
		.amdhsa_group_segment_fixed_size 0
		.amdhsa_private_segment_fixed_size 0
		.amdhsa_kernarg_size 96
		.amdhsa_user_sgpr_count 6
		.amdhsa_user_sgpr_private_segment_buffer 1
		.amdhsa_user_sgpr_dispatch_ptr 0
		.amdhsa_user_sgpr_queue_ptr 0
		.amdhsa_user_sgpr_kernarg_segment_ptr 1
		.amdhsa_user_sgpr_dispatch_id 0
		.amdhsa_user_sgpr_flat_scratch_init 0
		.amdhsa_user_sgpr_kernarg_preload_length 0
		.amdhsa_user_sgpr_kernarg_preload_offset 0
		.amdhsa_user_sgpr_private_segment_size 0
		.amdhsa_uses_dynamic_stack 0
		.amdhsa_system_sgpr_private_segment_wavefront_offset 0
		.amdhsa_system_sgpr_workgroup_id_x 1
		.amdhsa_system_sgpr_workgroup_id_y 0
		.amdhsa_system_sgpr_workgroup_id_z 0
		.amdhsa_system_sgpr_workgroup_info 0
		.amdhsa_system_vgpr_workitem_id 0
		.amdhsa_next_free_vgpr 1
		.amdhsa_next_free_sgpr 0
		.amdhsa_accum_offset 4
		.amdhsa_reserve_vcc 0
		.amdhsa_reserve_flat_scratch 0
		.amdhsa_float_round_mode_32 0
		.amdhsa_float_round_mode_16_64 0
		.amdhsa_float_denorm_mode_32 3
		.amdhsa_float_denorm_mode_16_64 3
		.amdhsa_dx10_clamp 1
		.amdhsa_ieee_mode 1
		.amdhsa_fp16_overflow 0
		.amdhsa_tg_split 0
		.amdhsa_exception_fp_ieee_invalid_op 0
		.amdhsa_exception_fp_denorm_src 0
		.amdhsa_exception_fp_ieee_div_zero 0
		.amdhsa_exception_fp_ieee_overflow 0
		.amdhsa_exception_fp_ieee_underflow 0
		.amdhsa_exception_fp_ieee_inexact 0
		.amdhsa_exception_int_div_zero 0
	.end_amdhsa_kernel
	.section	.text._ZN7rocprim17ROCPRIM_400000_NS6detail17trampoline_kernelINS0_14default_configENS1_20scan_config_selectorIsEEZZNS1_9scan_implILNS1_25lookback_scan_determinismE0ELb0ELb1ES3_N6thrust23THRUST_200600_302600_NS6detail15normal_iteratorINS9_10device_ptrIsEEEESE_sNS9_10multipliesIsEEsEEDaPvRmT3_T4_T5_mT6_P12ihipStream_tbENKUlT_T0_E_clISt17integral_constantIbLb1EESU_EEDaSP_SQ_EUlSP_E_NS1_11comp_targetILNS1_3genE10ELNS1_11target_archE1201ELNS1_3gpuE5ELNS1_3repE0EEENS1_30default_config_static_selectorELNS0_4arch9wavefront6targetE1EEEvT1_,"axG",@progbits,_ZN7rocprim17ROCPRIM_400000_NS6detail17trampoline_kernelINS0_14default_configENS1_20scan_config_selectorIsEEZZNS1_9scan_implILNS1_25lookback_scan_determinismE0ELb0ELb1ES3_N6thrust23THRUST_200600_302600_NS6detail15normal_iteratorINS9_10device_ptrIsEEEESE_sNS9_10multipliesIsEEsEEDaPvRmT3_T4_T5_mT6_P12ihipStream_tbENKUlT_T0_E_clISt17integral_constantIbLb1EESU_EEDaSP_SQ_EUlSP_E_NS1_11comp_targetILNS1_3genE10ELNS1_11target_archE1201ELNS1_3gpuE5ELNS1_3repE0EEENS1_30default_config_static_selectorELNS0_4arch9wavefront6targetE1EEEvT1_,comdat
.Lfunc_end1146:
	.size	_ZN7rocprim17ROCPRIM_400000_NS6detail17trampoline_kernelINS0_14default_configENS1_20scan_config_selectorIsEEZZNS1_9scan_implILNS1_25lookback_scan_determinismE0ELb0ELb1ES3_N6thrust23THRUST_200600_302600_NS6detail15normal_iteratorINS9_10device_ptrIsEEEESE_sNS9_10multipliesIsEEsEEDaPvRmT3_T4_T5_mT6_P12ihipStream_tbENKUlT_T0_E_clISt17integral_constantIbLb1EESU_EEDaSP_SQ_EUlSP_E_NS1_11comp_targetILNS1_3genE10ELNS1_11target_archE1201ELNS1_3gpuE5ELNS1_3repE0EEENS1_30default_config_static_selectorELNS0_4arch9wavefront6targetE1EEEvT1_, .Lfunc_end1146-_ZN7rocprim17ROCPRIM_400000_NS6detail17trampoline_kernelINS0_14default_configENS1_20scan_config_selectorIsEEZZNS1_9scan_implILNS1_25lookback_scan_determinismE0ELb0ELb1ES3_N6thrust23THRUST_200600_302600_NS6detail15normal_iteratorINS9_10device_ptrIsEEEESE_sNS9_10multipliesIsEEsEEDaPvRmT3_T4_T5_mT6_P12ihipStream_tbENKUlT_T0_E_clISt17integral_constantIbLb1EESU_EEDaSP_SQ_EUlSP_E_NS1_11comp_targetILNS1_3genE10ELNS1_11target_archE1201ELNS1_3gpuE5ELNS1_3repE0EEENS1_30default_config_static_selectorELNS0_4arch9wavefront6targetE1EEEvT1_
                                        ; -- End function
	.section	.AMDGPU.csdata,"",@progbits
; Kernel info:
; codeLenInByte = 0
; NumSgprs: 4
; NumVgprs: 0
; NumAgprs: 0
; TotalNumVgprs: 0
; ScratchSize: 0
; MemoryBound: 0
; FloatMode: 240
; IeeeMode: 1
; LDSByteSize: 0 bytes/workgroup (compile time only)
; SGPRBlocks: 0
; VGPRBlocks: 0
; NumSGPRsForWavesPerEU: 4
; NumVGPRsForWavesPerEU: 1
; AccumOffset: 4
; Occupancy: 8
; WaveLimiterHint : 0
; COMPUTE_PGM_RSRC2:SCRATCH_EN: 0
; COMPUTE_PGM_RSRC2:USER_SGPR: 6
; COMPUTE_PGM_RSRC2:TRAP_HANDLER: 0
; COMPUTE_PGM_RSRC2:TGID_X_EN: 1
; COMPUTE_PGM_RSRC2:TGID_Y_EN: 0
; COMPUTE_PGM_RSRC2:TGID_Z_EN: 0
; COMPUTE_PGM_RSRC2:TIDIG_COMP_CNT: 0
; COMPUTE_PGM_RSRC3_GFX90A:ACCUM_OFFSET: 0
; COMPUTE_PGM_RSRC3_GFX90A:TG_SPLIT: 0
	.section	.text._ZN7rocprim17ROCPRIM_400000_NS6detail17trampoline_kernelINS0_14default_configENS1_20scan_config_selectorIsEEZZNS1_9scan_implILNS1_25lookback_scan_determinismE0ELb0ELb1ES3_N6thrust23THRUST_200600_302600_NS6detail15normal_iteratorINS9_10device_ptrIsEEEESE_sNS9_10multipliesIsEEsEEDaPvRmT3_T4_T5_mT6_P12ihipStream_tbENKUlT_T0_E_clISt17integral_constantIbLb1EESU_EEDaSP_SQ_EUlSP_E_NS1_11comp_targetILNS1_3genE10ELNS1_11target_archE1200ELNS1_3gpuE4ELNS1_3repE0EEENS1_30default_config_static_selectorELNS0_4arch9wavefront6targetE1EEEvT1_,"axG",@progbits,_ZN7rocprim17ROCPRIM_400000_NS6detail17trampoline_kernelINS0_14default_configENS1_20scan_config_selectorIsEEZZNS1_9scan_implILNS1_25lookback_scan_determinismE0ELb0ELb1ES3_N6thrust23THRUST_200600_302600_NS6detail15normal_iteratorINS9_10device_ptrIsEEEESE_sNS9_10multipliesIsEEsEEDaPvRmT3_T4_T5_mT6_P12ihipStream_tbENKUlT_T0_E_clISt17integral_constantIbLb1EESU_EEDaSP_SQ_EUlSP_E_NS1_11comp_targetILNS1_3genE10ELNS1_11target_archE1200ELNS1_3gpuE4ELNS1_3repE0EEENS1_30default_config_static_selectorELNS0_4arch9wavefront6targetE1EEEvT1_,comdat
	.protected	_ZN7rocprim17ROCPRIM_400000_NS6detail17trampoline_kernelINS0_14default_configENS1_20scan_config_selectorIsEEZZNS1_9scan_implILNS1_25lookback_scan_determinismE0ELb0ELb1ES3_N6thrust23THRUST_200600_302600_NS6detail15normal_iteratorINS9_10device_ptrIsEEEESE_sNS9_10multipliesIsEEsEEDaPvRmT3_T4_T5_mT6_P12ihipStream_tbENKUlT_T0_E_clISt17integral_constantIbLb1EESU_EEDaSP_SQ_EUlSP_E_NS1_11comp_targetILNS1_3genE10ELNS1_11target_archE1200ELNS1_3gpuE4ELNS1_3repE0EEENS1_30default_config_static_selectorELNS0_4arch9wavefront6targetE1EEEvT1_ ; -- Begin function _ZN7rocprim17ROCPRIM_400000_NS6detail17trampoline_kernelINS0_14default_configENS1_20scan_config_selectorIsEEZZNS1_9scan_implILNS1_25lookback_scan_determinismE0ELb0ELb1ES3_N6thrust23THRUST_200600_302600_NS6detail15normal_iteratorINS9_10device_ptrIsEEEESE_sNS9_10multipliesIsEEsEEDaPvRmT3_T4_T5_mT6_P12ihipStream_tbENKUlT_T0_E_clISt17integral_constantIbLb1EESU_EEDaSP_SQ_EUlSP_E_NS1_11comp_targetILNS1_3genE10ELNS1_11target_archE1200ELNS1_3gpuE4ELNS1_3repE0EEENS1_30default_config_static_selectorELNS0_4arch9wavefront6targetE1EEEvT1_
	.globl	_ZN7rocprim17ROCPRIM_400000_NS6detail17trampoline_kernelINS0_14default_configENS1_20scan_config_selectorIsEEZZNS1_9scan_implILNS1_25lookback_scan_determinismE0ELb0ELb1ES3_N6thrust23THRUST_200600_302600_NS6detail15normal_iteratorINS9_10device_ptrIsEEEESE_sNS9_10multipliesIsEEsEEDaPvRmT3_T4_T5_mT6_P12ihipStream_tbENKUlT_T0_E_clISt17integral_constantIbLb1EESU_EEDaSP_SQ_EUlSP_E_NS1_11comp_targetILNS1_3genE10ELNS1_11target_archE1200ELNS1_3gpuE4ELNS1_3repE0EEENS1_30default_config_static_selectorELNS0_4arch9wavefront6targetE1EEEvT1_
	.p2align	8
	.type	_ZN7rocprim17ROCPRIM_400000_NS6detail17trampoline_kernelINS0_14default_configENS1_20scan_config_selectorIsEEZZNS1_9scan_implILNS1_25lookback_scan_determinismE0ELb0ELb1ES3_N6thrust23THRUST_200600_302600_NS6detail15normal_iteratorINS9_10device_ptrIsEEEESE_sNS9_10multipliesIsEEsEEDaPvRmT3_T4_T5_mT6_P12ihipStream_tbENKUlT_T0_E_clISt17integral_constantIbLb1EESU_EEDaSP_SQ_EUlSP_E_NS1_11comp_targetILNS1_3genE10ELNS1_11target_archE1200ELNS1_3gpuE4ELNS1_3repE0EEENS1_30default_config_static_selectorELNS0_4arch9wavefront6targetE1EEEvT1_,@function
_ZN7rocprim17ROCPRIM_400000_NS6detail17trampoline_kernelINS0_14default_configENS1_20scan_config_selectorIsEEZZNS1_9scan_implILNS1_25lookback_scan_determinismE0ELb0ELb1ES3_N6thrust23THRUST_200600_302600_NS6detail15normal_iteratorINS9_10device_ptrIsEEEESE_sNS9_10multipliesIsEEsEEDaPvRmT3_T4_T5_mT6_P12ihipStream_tbENKUlT_T0_E_clISt17integral_constantIbLb1EESU_EEDaSP_SQ_EUlSP_E_NS1_11comp_targetILNS1_3genE10ELNS1_11target_archE1200ELNS1_3gpuE4ELNS1_3repE0EEENS1_30default_config_static_selectorELNS0_4arch9wavefront6targetE1EEEvT1_: ; @_ZN7rocprim17ROCPRIM_400000_NS6detail17trampoline_kernelINS0_14default_configENS1_20scan_config_selectorIsEEZZNS1_9scan_implILNS1_25lookback_scan_determinismE0ELb0ELb1ES3_N6thrust23THRUST_200600_302600_NS6detail15normal_iteratorINS9_10device_ptrIsEEEESE_sNS9_10multipliesIsEEsEEDaPvRmT3_T4_T5_mT6_P12ihipStream_tbENKUlT_T0_E_clISt17integral_constantIbLb1EESU_EEDaSP_SQ_EUlSP_E_NS1_11comp_targetILNS1_3genE10ELNS1_11target_archE1200ELNS1_3gpuE4ELNS1_3repE0EEENS1_30default_config_static_selectorELNS0_4arch9wavefront6targetE1EEEvT1_
; %bb.0:
	.section	.rodata,"a",@progbits
	.p2align	6, 0x0
	.amdhsa_kernel _ZN7rocprim17ROCPRIM_400000_NS6detail17trampoline_kernelINS0_14default_configENS1_20scan_config_selectorIsEEZZNS1_9scan_implILNS1_25lookback_scan_determinismE0ELb0ELb1ES3_N6thrust23THRUST_200600_302600_NS6detail15normal_iteratorINS9_10device_ptrIsEEEESE_sNS9_10multipliesIsEEsEEDaPvRmT3_T4_T5_mT6_P12ihipStream_tbENKUlT_T0_E_clISt17integral_constantIbLb1EESU_EEDaSP_SQ_EUlSP_E_NS1_11comp_targetILNS1_3genE10ELNS1_11target_archE1200ELNS1_3gpuE4ELNS1_3repE0EEENS1_30default_config_static_selectorELNS0_4arch9wavefront6targetE1EEEvT1_
		.amdhsa_group_segment_fixed_size 0
		.amdhsa_private_segment_fixed_size 0
		.amdhsa_kernarg_size 96
		.amdhsa_user_sgpr_count 6
		.amdhsa_user_sgpr_private_segment_buffer 1
		.amdhsa_user_sgpr_dispatch_ptr 0
		.amdhsa_user_sgpr_queue_ptr 0
		.amdhsa_user_sgpr_kernarg_segment_ptr 1
		.amdhsa_user_sgpr_dispatch_id 0
		.amdhsa_user_sgpr_flat_scratch_init 0
		.amdhsa_user_sgpr_kernarg_preload_length 0
		.amdhsa_user_sgpr_kernarg_preload_offset 0
		.amdhsa_user_sgpr_private_segment_size 0
		.amdhsa_uses_dynamic_stack 0
		.amdhsa_system_sgpr_private_segment_wavefront_offset 0
		.amdhsa_system_sgpr_workgroup_id_x 1
		.amdhsa_system_sgpr_workgroup_id_y 0
		.amdhsa_system_sgpr_workgroup_id_z 0
		.amdhsa_system_sgpr_workgroup_info 0
		.amdhsa_system_vgpr_workitem_id 0
		.amdhsa_next_free_vgpr 1
		.amdhsa_next_free_sgpr 0
		.amdhsa_accum_offset 4
		.amdhsa_reserve_vcc 0
		.amdhsa_reserve_flat_scratch 0
		.amdhsa_float_round_mode_32 0
		.amdhsa_float_round_mode_16_64 0
		.amdhsa_float_denorm_mode_32 3
		.amdhsa_float_denorm_mode_16_64 3
		.amdhsa_dx10_clamp 1
		.amdhsa_ieee_mode 1
		.amdhsa_fp16_overflow 0
		.amdhsa_tg_split 0
		.amdhsa_exception_fp_ieee_invalid_op 0
		.amdhsa_exception_fp_denorm_src 0
		.amdhsa_exception_fp_ieee_div_zero 0
		.amdhsa_exception_fp_ieee_overflow 0
		.amdhsa_exception_fp_ieee_underflow 0
		.amdhsa_exception_fp_ieee_inexact 0
		.amdhsa_exception_int_div_zero 0
	.end_amdhsa_kernel
	.section	.text._ZN7rocprim17ROCPRIM_400000_NS6detail17trampoline_kernelINS0_14default_configENS1_20scan_config_selectorIsEEZZNS1_9scan_implILNS1_25lookback_scan_determinismE0ELb0ELb1ES3_N6thrust23THRUST_200600_302600_NS6detail15normal_iteratorINS9_10device_ptrIsEEEESE_sNS9_10multipliesIsEEsEEDaPvRmT3_T4_T5_mT6_P12ihipStream_tbENKUlT_T0_E_clISt17integral_constantIbLb1EESU_EEDaSP_SQ_EUlSP_E_NS1_11comp_targetILNS1_3genE10ELNS1_11target_archE1200ELNS1_3gpuE4ELNS1_3repE0EEENS1_30default_config_static_selectorELNS0_4arch9wavefront6targetE1EEEvT1_,"axG",@progbits,_ZN7rocprim17ROCPRIM_400000_NS6detail17trampoline_kernelINS0_14default_configENS1_20scan_config_selectorIsEEZZNS1_9scan_implILNS1_25lookback_scan_determinismE0ELb0ELb1ES3_N6thrust23THRUST_200600_302600_NS6detail15normal_iteratorINS9_10device_ptrIsEEEESE_sNS9_10multipliesIsEEsEEDaPvRmT3_T4_T5_mT6_P12ihipStream_tbENKUlT_T0_E_clISt17integral_constantIbLb1EESU_EEDaSP_SQ_EUlSP_E_NS1_11comp_targetILNS1_3genE10ELNS1_11target_archE1200ELNS1_3gpuE4ELNS1_3repE0EEENS1_30default_config_static_selectorELNS0_4arch9wavefront6targetE1EEEvT1_,comdat
.Lfunc_end1147:
	.size	_ZN7rocprim17ROCPRIM_400000_NS6detail17trampoline_kernelINS0_14default_configENS1_20scan_config_selectorIsEEZZNS1_9scan_implILNS1_25lookback_scan_determinismE0ELb0ELb1ES3_N6thrust23THRUST_200600_302600_NS6detail15normal_iteratorINS9_10device_ptrIsEEEESE_sNS9_10multipliesIsEEsEEDaPvRmT3_T4_T5_mT6_P12ihipStream_tbENKUlT_T0_E_clISt17integral_constantIbLb1EESU_EEDaSP_SQ_EUlSP_E_NS1_11comp_targetILNS1_3genE10ELNS1_11target_archE1200ELNS1_3gpuE4ELNS1_3repE0EEENS1_30default_config_static_selectorELNS0_4arch9wavefront6targetE1EEEvT1_, .Lfunc_end1147-_ZN7rocprim17ROCPRIM_400000_NS6detail17trampoline_kernelINS0_14default_configENS1_20scan_config_selectorIsEEZZNS1_9scan_implILNS1_25lookback_scan_determinismE0ELb0ELb1ES3_N6thrust23THRUST_200600_302600_NS6detail15normal_iteratorINS9_10device_ptrIsEEEESE_sNS9_10multipliesIsEEsEEDaPvRmT3_T4_T5_mT6_P12ihipStream_tbENKUlT_T0_E_clISt17integral_constantIbLb1EESU_EEDaSP_SQ_EUlSP_E_NS1_11comp_targetILNS1_3genE10ELNS1_11target_archE1200ELNS1_3gpuE4ELNS1_3repE0EEENS1_30default_config_static_selectorELNS0_4arch9wavefront6targetE1EEEvT1_
                                        ; -- End function
	.section	.AMDGPU.csdata,"",@progbits
; Kernel info:
; codeLenInByte = 0
; NumSgprs: 4
; NumVgprs: 0
; NumAgprs: 0
; TotalNumVgprs: 0
; ScratchSize: 0
; MemoryBound: 0
; FloatMode: 240
; IeeeMode: 1
; LDSByteSize: 0 bytes/workgroup (compile time only)
; SGPRBlocks: 0
; VGPRBlocks: 0
; NumSGPRsForWavesPerEU: 4
; NumVGPRsForWavesPerEU: 1
; AccumOffset: 4
; Occupancy: 8
; WaveLimiterHint : 0
; COMPUTE_PGM_RSRC2:SCRATCH_EN: 0
; COMPUTE_PGM_RSRC2:USER_SGPR: 6
; COMPUTE_PGM_RSRC2:TRAP_HANDLER: 0
; COMPUTE_PGM_RSRC2:TGID_X_EN: 1
; COMPUTE_PGM_RSRC2:TGID_Y_EN: 0
; COMPUTE_PGM_RSRC2:TGID_Z_EN: 0
; COMPUTE_PGM_RSRC2:TIDIG_COMP_CNT: 0
; COMPUTE_PGM_RSRC3_GFX90A:ACCUM_OFFSET: 0
; COMPUTE_PGM_RSRC3_GFX90A:TG_SPLIT: 0
	.section	.text._ZN7rocprim17ROCPRIM_400000_NS6detail17trampoline_kernelINS0_14default_configENS1_20scan_config_selectorIsEEZZNS1_9scan_implILNS1_25lookback_scan_determinismE0ELb0ELb1ES3_N6thrust23THRUST_200600_302600_NS6detail15normal_iteratorINS9_10device_ptrIsEEEESE_sNS9_10multipliesIsEEsEEDaPvRmT3_T4_T5_mT6_P12ihipStream_tbENKUlT_T0_E_clISt17integral_constantIbLb1EESU_EEDaSP_SQ_EUlSP_E_NS1_11comp_targetILNS1_3genE9ELNS1_11target_archE1100ELNS1_3gpuE3ELNS1_3repE0EEENS1_30default_config_static_selectorELNS0_4arch9wavefront6targetE1EEEvT1_,"axG",@progbits,_ZN7rocprim17ROCPRIM_400000_NS6detail17trampoline_kernelINS0_14default_configENS1_20scan_config_selectorIsEEZZNS1_9scan_implILNS1_25lookback_scan_determinismE0ELb0ELb1ES3_N6thrust23THRUST_200600_302600_NS6detail15normal_iteratorINS9_10device_ptrIsEEEESE_sNS9_10multipliesIsEEsEEDaPvRmT3_T4_T5_mT6_P12ihipStream_tbENKUlT_T0_E_clISt17integral_constantIbLb1EESU_EEDaSP_SQ_EUlSP_E_NS1_11comp_targetILNS1_3genE9ELNS1_11target_archE1100ELNS1_3gpuE3ELNS1_3repE0EEENS1_30default_config_static_selectorELNS0_4arch9wavefront6targetE1EEEvT1_,comdat
	.protected	_ZN7rocprim17ROCPRIM_400000_NS6detail17trampoline_kernelINS0_14default_configENS1_20scan_config_selectorIsEEZZNS1_9scan_implILNS1_25lookback_scan_determinismE0ELb0ELb1ES3_N6thrust23THRUST_200600_302600_NS6detail15normal_iteratorINS9_10device_ptrIsEEEESE_sNS9_10multipliesIsEEsEEDaPvRmT3_T4_T5_mT6_P12ihipStream_tbENKUlT_T0_E_clISt17integral_constantIbLb1EESU_EEDaSP_SQ_EUlSP_E_NS1_11comp_targetILNS1_3genE9ELNS1_11target_archE1100ELNS1_3gpuE3ELNS1_3repE0EEENS1_30default_config_static_selectorELNS0_4arch9wavefront6targetE1EEEvT1_ ; -- Begin function _ZN7rocprim17ROCPRIM_400000_NS6detail17trampoline_kernelINS0_14default_configENS1_20scan_config_selectorIsEEZZNS1_9scan_implILNS1_25lookback_scan_determinismE0ELb0ELb1ES3_N6thrust23THRUST_200600_302600_NS6detail15normal_iteratorINS9_10device_ptrIsEEEESE_sNS9_10multipliesIsEEsEEDaPvRmT3_T4_T5_mT6_P12ihipStream_tbENKUlT_T0_E_clISt17integral_constantIbLb1EESU_EEDaSP_SQ_EUlSP_E_NS1_11comp_targetILNS1_3genE9ELNS1_11target_archE1100ELNS1_3gpuE3ELNS1_3repE0EEENS1_30default_config_static_selectorELNS0_4arch9wavefront6targetE1EEEvT1_
	.globl	_ZN7rocprim17ROCPRIM_400000_NS6detail17trampoline_kernelINS0_14default_configENS1_20scan_config_selectorIsEEZZNS1_9scan_implILNS1_25lookback_scan_determinismE0ELb0ELb1ES3_N6thrust23THRUST_200600_302600_NS6detail15normal_iteratorINS9_10device_ptrIsEEEESE_sNS9_10multipliesIsEEsEEDaPvRmT3_T4_T5_mT6_P12ihipStream_tbENKUlT_T0_E_clISt17integral_constantIbLb1EESU_EEDaSP_SQ_EUlSP_E_NS1_11comp_targetILNS1_3genE9ELNS1_11target_archE1100ELNS1_3gpuE3ELNS1_3repE0EEENS1_30default_config_static_selectorELNS0_4arch9wavefront6targetE1EEEvT1_
	.p2align	8
	.type	_ZN7rocprim17ROCPRIM_400000_NS6detail17trampoline_kernelINS0_14default_configENS1_20scan_config_selectorIsEEZZNS1_9scan_implILNS1_25lookback_scan_determinismE0ELb0ELb1ES3_N6thrust23THRUST_200600_302600_NS6detail15normal_iteratorINS9_10device_ptrIsEEEESE_sNS9_10multipliesIsEEsEEDaPvRmT3_T4_T5_mT6_P12ihipStream_tbENKUlT_T0_E_clISt17integral_constantIbLb1EESU_EEDaSP_SQ_EUlSP_E_NS1_11comp_targetILNS1_3genE9ELNS1_11target_archE1100ELNS1_3gpuE3ELNS1_3repE0EEENS1_30default_config_static_selectorELNS0_4arch9wavefront6targetE1EEEvT1_,@function
_ZN7rocprim17ROCPRIM_400000_NS6detail17trampoline_kernelINS0_14default_configENS1_20scan_config_selectorIsEEZZNS1_9scan_implILNS1_25lookback_scan_determinismE0ELb0ELb1ES3_N6thrust23THRUST_200600_302600_NS6detail15normal_iteratorINS9_10device_ptrIsEEEESE_sNS9_10multipliesIsEEsEEDaPvRmT3_T4_T5_mT6_P12ihipStream_tbENKUlT_T0_E_clISt17integral_constantIbLb1EESU_EEDaSP_SQ_EUlSP_E_NS1_11comp_targetILNS1_3genE9ELNS1_11target_archE1100ELNS1_3gpuE3ELNS1_3repE0EEENS1_30default_config_static_selectorELNS0_4arch9wavefront6targetE1EEEvT1_: ; @_ZN7rocprim17ROCPRIM_400000_NS6detail17trampoline_kernelINS0_14default_configENS1_20scan_config_selectorIsEEZZNS1_9scan_implILNS1_25lookback_scan_determinismE0ELb0ELb1ES3_N6thrust23THRUST_200600_302600_NS6detail15normal_iteratorINS9_10device_ptrIsEEEESE_sNS9_10multipliesIsEEsEEDaPvRmT3_T4_T5_mT6_P12ihipStream_tbENKUlT_T0_E_clISt17integral_constantIbLb1EESU_EEDaSP_SQ_EUlSP_E_NS1_11comp_targetILNS1_3genE9ELNS1_11target_archE1100ELNS1_3gpuE3ELNS1_3repE0EEENS1_30default_config_static_selectorELNS0_4arch9wavefront6targetE1EEEvT1_
; %bb.0:
	.section	.rodata,"a",@progbits
	.p2align	6, 0x0
	.amdhsa_kernel _ZN7rocprim17ROCPRIM_400000_NS6detail17trampoline_kernelINS0_14default_configENS1_20scan_config_selectorIsEEZZNS1_9scan_implILNS1_25lookback_scan_determinismE0ELb0ELb1ES3_N6thrust23THRUST_200600_302600_NS6detail15normal_iteratorINS9_10device_ptrIsEEEESE_sNS9_10multipliesIsEEsEEDaPvRmT3_T4_T5_mT6_P12ihipStream_tbENKUlT_T0_E_clISt17integral_constantIbLb1EESU_EEDaSP_SQ_EUlSP_E_NS1_11comp_targetILNS1_3genE9ELNS1_11target_archE1100ELNS1_3gpuE3ELNS1_3repE0EEENS1_30default_config_static_selectorELNS0_4arch9wavefront6targetE1EEEvT1_
		.amdhsa_group_segment_fixed_size 0
		.amdhsa_private_segment_fixed_size 0
		.amdhsa_kernarg_size 96
		.amdhsa_user_sgpr_count 6
		.amdhsa_user_sgpr_private_segment_buffer 1
		.amdhsa_user_sgpr_dispatch_ptr 0
		.amdhsa_user_sgpr_queue_ptr 0
		.amdhsa_user_sgpr_kernarg_segment_ptr 1
		.amdhsa_user_sgpr_dispatch_id 0
		.amdhsa_user_sgpr_flat_scratch_init 0
		.amdhsa_user_sgpr_kernarg_preload_length 0
		.amdhsa_user_sgpr_kernarg_preload_offset 0
		.amdhsa_user_sgpr_private_segment_size 0
		.amdhsa_uses_dynamic_stack 0
		.amdhsa_system_sgpr_private_segment_wavefront_offset 0
		.amdhsa_system_sgpr_workgroup_id_x 1
		.amdhsa_system_sgpr_workgroup_id_y 0
		.amdhsa_system_sgpr_workgroup_id_z 0
		.amdhsa_system_sgpr_workgroup_info 0
		.amdhsa_system_vgpr_workitem_id 0
		.amdhsa_next_free_vgpr 1
		.amdhsa_next_free_sgpr 0
		.amdhsa_accum_offset 4
		.amdhsa_reserve_vcc 0
		.amdhsa_reserve_flat_scratch 0
		.amdhsa_float_round_mode_32 0
		.amdhsa_float_round_mode_16_64 0
		.amdhsa_float_denorm_mode_32 3
		.amdhsa_float_denorm_mode_16_64 3
		.amdhsa_dx10_clamp 1
		.amdhsa_ieee_mode 1
		.amdhsa_fp16_overflow 0
		.amdhsa_tg_split 0
		.amdhsa_exception_fp_ieee_invalid_op 0
		.amdhsa_exception_fp_denorm_src 0
		.amdhsa_exception_fp_ieee_div_zero 0
		.amdhsa_exception_fp_ieee_overflow 0
		.amdhsa_exception_fp_ieee_underflow 0
		.amdhsa_exception_fp_ieee_inexact 0
		.amdhsa_exception_int_div_zero 0
	.end_amdhsa_kernel
	.section	.text._ZN7rocprim17ROCPRIM_400000_NS6detail17trampoline_kernelINS0_14default_configENS1_20scan_config_selectorIsEEZZNS1_9scan_implILNS1_25lookback_scan_determinismE0ELb0ELb1ES3_N6thrust23THRUST_200600_302600_NS6detail15normal_iteratorINS9_10device_ptrIsEEEESE_sNS9_10multipliesIsEEsEEDaPvRmT3_T4_T5_mT6_P12ihipStream_tbENKUlT_T0_E_clISt17integral_constantIbLb1EESU_EEDaSP_SQ_EUlSP_E_NS1_11comp_targetILNS1_3genE9ELNS1_11target_archE1100ELNS1_3gpuE3ELNS1_3repE0EEENS1_30default_config_static_selectorELNS0_4arch9wavefront6targetE1EEEvT1_,"axG",@progbits,_ZN7rocprim17ROCPRIM_400000_NS6detail17trampoline_kernelINS0_14default_configENS1_20scan_config_selectorIsEEZZNS1_9scan_implILNS1_25lookback_scan_determinismE0ELb0ELb1ES3_N6thrust23THRUST_200600_302600_NS6detail15normal_iteratorINS9_10device_ptrIsEEEESE_sNS9_10multipliesIsEEsEEDaPvRmT3_T4_T5_mT6_P12ihipStream_tbENKUlT_T0_E_clISt17integral_constantIbLb1EESU_EEDaSP_SQ_EUlSP_E_NS1_11comp_targetILNS1_3genE9ELNS1_11target_archE1100ELNS1_3gpuE3ELNS1_3repE0EEENS1_30default_config_static_selectorELNS0_4arch9wavefront6targetE1EEEvT1_,comdat
.Lfunc_end1148:
	.size	_ZN7rocprim17ROCPRIM_400000_NS6detail17trampoline_kernelINS0_14default_configENS1_20scan_config_selectorIsEEZZNS1_9scan_implILNS1_25lookback_scan_determinismE0ELb0ELb1ES3_N6thrust23THRUST_200600_302600_NS6detail15normal_iteratorINS9_10device_ptrIsEEEESE_sNS9_10multipliesIsEEsEEDaPvRmT3_T4_T5_mT6_P12ihipStream_tbENKUlT_T0_E_clISt17integral_constantIbLb1EESU_EEDaSP_SQ_EUlSP_E_NS1_11comp_targetILNS1_3genE9ELNS1_11target_archE1100ELNS1_3gpuE3ELNS1_3repE0EEENS1_30default_config_static_selectorELNS0_4arch9wavefront6targetE1EEEvT1_, .Lfunc_end1148-_ZN7rocprim17ROCPRIM_400000_NS6detail17trampoline_kernelINS0_14default_configENS1_20scan_config_selectorIsEEZZNS1_9scan_implILNS1_25lookback_scan_determinismE0ELb0ELb1ES3_N6thrust23THRUST_200600_302600_NS6detail15normal_iteratorINS9_10device_ptrIsEEEESE_sNS9_10multipliesIsEEsEEDaPvRmT3_T4_T5_mT6_P12ihipStream_tbENKUlT_T0_E_clISt17integral_constantIbLb1EESU_EEDaSP_SQ_EUlSP_E_NS1_11comp_targetILNS1_3genE9ELNS1_11target_archE1100ELNS1_3gpuE3ELNS1_3repE0EEENS1_30default_config_static_selectorELNS0_4arch9wavefront6targetE1EEEvT1_
                                        ; -- End function
	.section	.AMDGPU.csdata,"",@progbits
; Kernel info:
; codeLenInByte = 0
; NumSgprs: 4
; NumVgprs: 0
; NumAgprs: 0
; TotalNumVgprs: 0
; ScratchSize: 0
; MemoryBound: 0
; FloatMode: 240
; IeeeMode: 1
; LDSByteSize: 0 bytes/workgroup (compile time only)
; SGPRBlocks: 0
; VGPRBlocks: 0
; NumSGPRsForWavesPerEU: 4
; NumVGPRsForWavesPerEU: 1
; AccumOffset: 4
; Occupancy: 8
; WaveLimiterHint : 0
; COMPUTE_PGM_RSRC2:SCRATCH_EN: 0
; COMPUTE_PGM_RSRC2:USER_SGPR: 6
; COMPUTE_PGM_RSRC2:TRAP_HANDLER: 0
; COMPUTE_PGM_RSRC2:TGID_X_EN: 1
; COMPUTE_PGM_RSRC2:TGID_Y_EN: 0
; COMPUTE_PGM_RSRC2:TGID_Z_EN: 0
; COMPUTE_PGM_RSRC2:TIDIG_COMP_CNT: 0
; COMPUTE_PGM_RSRC3_GFX90A:ACCUM_OFFSET: 0
; COMPUTE_PGM_RSRC3_GFX90A:TG_SPLIT: 0
	.section	.text._ZN7rocprim17ROCPRIM_400000_NS6detail17trampoline_kernelINS0_14default_configENS1_20scan_config_selectorIsEEZZNS1_9scan_implILNS1_25lookback_scan_determinismE0ELb0ELb1ES3_N6thrust23THRUST_200600_302600_NS6detail15normal_iteratorINS9_10device_ptrIsEEEESE_sNS9_10multipliesIsEEsEEDaPvRmT3_T4_T5_mT6_P12ihipStream_tbENKUlT_T0_E_clISt17integral_constantIbLb1EESU_EEDaSP_SQ_EUlSP_E_NS1_11comp_targetILNS1_3genE8ELNS1_11target_archE1030ELNS1_3gpuE2ELNS1_3repE0EEENS1_30default_config_static_selectorELNS0_4arch9wavefront6targetE1EEEvT1_,"axG",@progbits,_ZN7rocprim17ROCPRIM_400000_NS6detail17trampoline_kernelINS0_14default_configENS1_20scan_config_selectorIsEEZZNS1_9scan_implILNS1_25lookback_scan_determinismE0ELb0ELb1ES3_N6thrust23THRUST_200600_302600_NS6detail15normal_iteratorINS9_10device_ptrIsEEEESE_sNS9_10multipliesIsEEsEEDaPvRmT3_T4_T5_mT6_P12ihipStream_tbENKUlT_T0_E_clISt17integral_constantIbLb1EESU_EEDaSP_SQ_EUlSP_E_NS1_11comp_targetILNS1_3genE8ELNS1_11target_archE1030ELNS1_3gpuE2ELNS1_3repE0EEENS1_30default_config_static_selectorELNS0_4arch9wavefront6targetE1EEEvT1_,comdat
	.protected	_ZN7rocprim17ROCPRIM_400000_NS6detail17trampoline_kernelINS0_14default_configENS1_20scan_config_selectorIsEEZZNS1_9scan_implILNS1_25lookback_scan_determinismE0ELb0ELb1ES3_N6thrust23THRUST_200600_302600_NS6detail15normal_iteratorINS9_10device_ptrIsEEEESE_sNS9_10multipliesIsEEsEEDaPvRmT3_T4_T5_mT6_P12ihipStream_tbENKUlT_T0_E_clISt17integral_constantIbLb1EESU_EEDaSP_SQ_EUlSP_E_NS1_11comp_targetILNS1_3genE8ELNS1_11target_archE1030ELNS1_3gpuE2ELNS1_3repE0EEENS1_30default_config_static_selectorELNS0_4arch9wavefront6targetE1EEEvT1_ ; -- Begin function _ZN7rocprim17ROCPRIM_400000_NS6detail17trampoline_kernelINS0_14default_configENS1_20scan_config_selectorIsEEZZNS1_9scan_implILNS1_25lookback_scan_determinismE0ELb0ELb1ES3_N6thrust23THRUST_200600_302600_NS6detail15normal_iteratorINS9_10device_ptrIsEEEESE_sNS9_10multipliesIsEEsEEDaPvRmT3_T4_T5_mT6_P12ihipStream_tbENKUlT_T0_E_clISt17integral_constantIbLb1EESU_EEDaSP_SQ_EUlSP_E_NS1_11comp_targetILNS1_3genE8ELNS1_11target_archE1030ELNS1_3gpuE2ELNS1_3repE0EEENS1_30default_config_static_selectorELNS0_4arch9wavefront6targetE1EEEvT1_
	.globl	_ZN7rocprim17ROCPRIM_400000_NS6detail17trampoline_kernelINS0_14default_configENS1_20scan_config_selectorIsEEZZNS1_9scan_implILNS1_25lookback_scan_determinismE0ELb0ELb1ES3_N6thrust23THRUST_200600_302600_NS6detail15normal_iteratorINS9_10device_ptrIsEEEESE_sNS9_10multipliesIsEEsEEDaPvRmT3_T4_T5_mT6_P12ihipStream_tbENKUlT_T0_E_clISt17integral_constantIbLb1EESU_EEDaSP_SQ_EUlSP_E_NS1_11comp_targetILNS1_3genE8ELNS1_11target_archE1030ELNS1_3gpuE2ELNS1_3repE0EEENS1_30default_config_static_selectorELNS0_4arch9wavefront6targetE1EEEvT1_
	.p2align	8
	.type	_ZN7rocprim17ROCPRIM_400000_NS6detail17trampoline_kernelINS0_14default_configENS1_20scan_config_selectorIsEEZZNS1_9scan_implILNS1_25lookback_scan_determinismE0ELb0ELb1ES3_N6thrust23THRUST_200600_302600_NS6detail15normal_iteratorINS9_10device_ptrIsEEEESE_sNS9_10multipliesIsEEsEEDaPvRmT3_T4_T5_mT6_P12ihipStream_tbENKUlT_T0_E_clISt17integral_constantIbLb1EESU_EEDaSP_SQ_EUlSP_E_NS1_11comp_targetILNS1_3genE8ELNS1_11target_archE1030ELNS1_3gpuE2ELNS1_3repE0EEENS1_30default_config_static_selectorELNS0_4arch9wavefront6targetE1EEEvT1_,@function
_ZN7rocprim17ROCPRIM_400000_NS6detail17trampoline_kernelINS0_14default_configENS1_20scan_config_selectorIsEEZZNS1_9scan_implILNS1_25lookback_scan_determinismE0ELb0ELb1ES3_N6thrust23THRUST_200600_302600_NS6detail15normal_iteratorINS9_10device_ptrIsEEEESE_sNS9_10multipliesIsEEsEEDaPvRmT3_T4_T5_mT6_P12ihipStream_tbENKUlT_T0_E_clISt17integral_constantIbLb1EESU_EEDaSP_SQ_EUlSP_E_NS1_11comp_targetILNS1_3genE8ELNS1_11target_archE1030ELNS1_3gpuE2ELNS1_3repE0EEENS1_30default_config_static_selectorELNS0_4arch9wavefront6targetE1EEEvT1_: ; @_ZN7rocprim17ROCPRIM_400000_NS6detail17trampoline_kernelINS0_14default_configENS1_20scan_config_selectorIsEEZZNS1_9scan_implILNS1_25lookback_scan_determinismE0ELb0ELb1ES3_N6thrust23THRUST_200600_302600_NS6detail15normal_iteratorINS9_10device_ptrIsEEEESE_sNS9_10multipliesIsEEsEEDaPvRmT3_T4_T5_mT6_P12ihipStream_tbENKUlT_T0_E_clISt17integral_constantIbLb1EESU_EEDaSP_SQ_EUlSP_E_NS1_11comp_targetILNS1_3genE8ELNS1_11target_archE1030ELNS1_3gpuE2ELNS1_3repE0EEENS1_30default_config_static_selectorELNS0_4arch9wavefront6targetE1EEEvT1_
; %bb.0:
	.section	.rodata,"a",@progbits
	.p2align	6, 0x0
	.amdhsa_kernel _ZN7rocprim17ROCPRIM_400000_NS6detail17trampoline_kernelINS0_14default_configENS1_20scan_config_selectorIsEEZZNS1_9scan_implILNS1_25lookback_scan_determinismE0ELb0ELb1ES3_N6thrust23THRUST_200600_302600_NS6detail15normal_iteratorINS9_10device_ptrIsEEEESE_sNS9_10multipliesIsEEsEEDaPvRmT3_T4_T5_mT6_P12ihipStream_tbENKUlT_T0_E_clISt17integral_constantIbLb1EESU_EEDaSP_SQ_EUlSP_E_NS1_11comp_targetILNS1_3genE8ELNS1_11target_archE1030ELNS1_3gpuE2ELNS1_3repE0EEENS1_30default_config_static_selectorELNS0_4arch9wavefront6targetE1EEEvT1_
		.amdhsa_group_segment_fixed_size 0
		.amdhsa_private_segment_fixed_size 0
		.amdhsa_kernarg_size 96
		.amdhsa_user_sgpr_count 6
		.amdhsa_user_sgpr_private_segment_buffer 1
		.amdhsa_user_sgpr_dispatch_ptr 0
		.amdhsa_user_sgpr_queue_ptr 0
		.amdhsa_user_sgpr_kernarg_segment_ptr 1
		.amdhsa_user_sgpr_dispatch_id 0
		.amdhsa_user_sgpr_flat_scratch_init 0
		.amdhsa_user_sgpr_kernarg_preload_length 0
		.amdhsa_user_sgpr_kernarg_preload_offset 0
		.amdhsa_user_sgpr_private_segment_size 0
		.amdhsa_uses_dynamic_stack 0
		.amdhsa_system_sgpr_private_segment_wavefront_offset 0
		.amdhsa_system_sgpr_workgroup_id_x 1
		.amdhsa_system_sgpr_workgroup_id_y 0
		.amdhsa_system_sgpr_workgroup_id_z 0
		.amdhsa_system_sgpr_workgroup_info 0
		.amdhsa_system_vgpr_workitem_id 0
		.amdhsa_next_free_vgpr 1
		.amdhsa_next_free_sgpr 0
		.amdhsa_accum_offset 4
		.amdhsa_reserve_vcc 0
		.amdhsa_reserve_flat_scratch 0
		.amdhsa_float_round_mode_32 0
		.amdhsa_float_round_mode_16_64 0
		.amdhsa_float_denorm_mode_32 3
		.amdhsa_float_denorm_mode_16_64 3
		.amdhsa_dx10_clamp 1
		.amdhsa_ieee_mode 1
		.amdhsa_fp16_overflow 0
		.amdhsa_tg_split 0
		.amdhsa_exception_fp_ieee_invalid_op 0
		.amdhsa_exception_fp_denorm_src 0
		.amdhsa_exception_fp_ieee_div_zero 0
		.amdhsa_exception_fp_ieee_overflow 0
		.amdhsa_exception_fp_ieee_underflow 0
		.amdhsa_exception_fp_ieee_inexact 0
		.amdhsa_exception_int_div_zero 0
	.end_amdhsa_kernel
	.section	.text._ZN7rocprim17ROCPRIM_400000_NS6detail17trampoline_kernelINS0_14default_configENS1_20scan_config_selectorIsEEZZNS1_9scan_implILNS1_25lookback_scan_determinismE0ELb0ELb1ES3_N6thrust23THRUST_200600_302600_NS6detail15normal_iteratorINS9_10device_ptrIsEEEESE_sNS9_10multipliesIsEEsEEDaPvRmT3_T4_T5_mT6_P12ihipStream_tbENKUlT_T0_E_clISt17integral_constantIbLb1EESU_EEDaSP_SQ_EUlSP_E_NS1_11comp_targetILNS1_3genE8ELNS1_11target_archE1030ELNS1_3gpuE2ELNS1_3repE0EEENS1_30default_config_static_selectorELNS0_4arch9wavefront6targetE1EEEvT1_,"axG",@progbits,_ZN7rocprim17ROCPRIM_400000_NS6detail17trampoline_kernelINS0_14default_configENS1_20scan_config_selectorIsEEZZNS1_9scan_implILNS1_25lookback_scan_determinismE0ELb0ELb1ES3_N6thrust23THRUST_200600_302600_NS6detail15normal_iteratorINS9_10device_ptrIsEEEESE_sNS9_10multipliesIsEEsEEDaPvRmT3_T4_T5_mT6_P12ihipStream_tbENKUlT_T0_E_clISt17integral_constantIbLb1EESU_EEDaSP_SQ_EUlSP_E_NS1_11comp_targetILNS1_3genE8ELNS1_11target_archE1030ELNS1_3gpuE2ELNS1_3repE0EEENS1_30default_config_static_selectorELNS0_4arch9wavefront6targetE1EEEvT1_,comdat
.Lfunc_end1149:
	.size	_ZN7rocprim17ROCPRIM_400000_NS6detail17trampoline_kernelINS0_14default_configENS1_20scan_config_selectorIsEEZZNS1_9scan_implILNS1_25lookback_scan_determinismE0ELb0ELb1ES3_N6thrust23THRUST_200600_302600_NS6detail15normal_iteratorINS9_10device_ptrIsEEEESE_sNS9_10multipliesIsEEsEEDaPvRmT3_T4_T5_mT6_P12ihipStream_tbENKUlT_T0_E_clISt17integral_constantIbLb1EESU_EEDaSP_SQ_EUlSP_E_NS1_11comp_targetILNS1_3genE8ELNS1_11target_archE1030ELNS1_3gpuE2ELNS1_3repE0EEENS1_30default_config_static_selectorELNS0_4arch9wavefront6targetE1EEEvT1_, .Lfunc_end1149-_ZN7rocprim17ROCPRIM_400000_NS6detail17trampoline_kernelINS0_14default_configENS1_20scan_config_selectorIsEEZZNS1_9scan_implILNS1_25lookback_scan_determinismE0ELb0ELb1ES3_N6thrust23THRUST_200600_302600_NS6detail15normal_iteratorINS9_10device_ptrIsEEEESE_sNS9_10multipliesIsEEsEEDaPvRmT3_T4_T5_mT6_P12ihipStream_tbENKUlT_T0_E_clISt17integral_constantIbLb1EESU_EEDaSP_SQ_EUlSP_E_NS1_11comp_targetILNS1_3genE8ELNS1_11target_archE1030ELNS1_3gpuE2ELNS1_3repE0EEENS1_30default_config_static_selectorELNS0_4arch9wavefront6targetE1EEEvT1_
                                        ; -- End function
	.section	.AMDGPU.csdata,"",@progbits
; Kernel info:
; codeLenInByte = 0
; NumSgprs: 4
; NumVgprs: 0
; NumAgprs: 0
; TotalNumVgprs: 0
; ScratchSize: 0
; MemoryBound: 0
; FloatMode: 240
; IeeeMode: 1
; LDSByteSize: 0 bytes/workgroup (compile time only)
; SGPRBlocks: 0
; VGPRBlocks: 0
; NumSGPRsForWavesPerEU: 4
; NumVGPRsForWavesPerEU: 1
; AccumOffset: 4
; Occupancy: 8
; WaveLimiterHint : 0
; COMPUTE_PGM_RSRC2:SCRATCH_EN: 0
; COMPUTE_PGM_RSRC2:USER_SGPR: 6
; COMPUTE_PGM_RSRC2:TRAP_HANDLER: 0
; COMPUTE_PGM_RSRC2:TGID_X_EN: 1
; COMPUTE_PGM_RSRC2:TGID_Y_EN: 0
; COMPUTE_PGM_RSRC2:TGID_Z_EN: 0
; COMPUTE_PGM_RSRC2:TIDIG_COMP_CNT: 0
; COMPUTE_PGM_RSRC3_GFX90A:ACCUM_OFFSET: 0
; COMPUTE_PGM_RSRC3_GFX90A:TG_SPLIT: 0
	.section	.text._ZN7rocprim17ROCPRIM_400000_NS6detail17trampoline_kernelINS0_14default_configENS1_20scan_config_selectorIsEEZZNS1_9scan_implILNS1_25lookback_scan_determinismE0ELb0ELb1ES3_N6thrust23THRUST_200600_302600_NS6detail15normal_iteratorINS9_10device_ptrIsEEEESE_sNS9_10multipliesIsEEsEEDaPvRmT3_T4_T5_mT6_P12ihipStream_tbENKUlT_T0_E_clISt17integral_constantIbLb1EESU_EEDaSP_SQ_EUlSP_E0_NS1_11comp_targetILNS1_3genE0ELNS1_11target_archE4294967295ELNS1_3gpuE0ELNS1_3repE0EEENS1_30default_config_static_selectorELNS0_4arch9wavefront6targetE1EEEvT1_,"axG",@progbits,_ZN7rocprim17ROCPRIM_400000_NS6detail17trampoline_kernelINS0_14default_configENS1_20scan_config_selectorIsEEZZNS1_9scan_implILNS1_25lookback_scan_determinismE0ELb0ELb1ES3_N6thrust23THRUST_200600_302600_NS6detail15normal_iteratorINS9_10device_ptrIsEEEESE_sNS9_10multipliesIsEEsEEDaPvRmT3_T4_T5_mT6_P12ihipStream_tbENKUlT_T0_E_clISt17integral_constantIbLb1EESU_EEDaSP_SQ_EUlSP_E0_NS1_11comp_targetILNS1_3genE0ELNS1_11target_archE4294967295ELNS1_3gpuE0ELNS1_3repE0EEENS1_30default_config_static_selectorELNS0_4arch9wavefront6targetE1EEEvT1_,comdat
	.protected	_ZN7rocprim17ROCPRIM_400000_NS6detail17trampoline_kernelINS0_14default_configENS1_20scan_config_selectorIsEEZZNS1_9scan_implILNS1_25lookback_scan_determinismE0ELb0ELb1ES3_N6thrust23THRUST_200600_302600_NS6detail15normal_iteratorINS9_10device_ptrIsEEEESE_sNS9_10multipliesIsEEsEEDaPvRmT3_T4_T5_mT6_P12ihipStream_tbENKUlT_T0_E_clISt17integral_constantIbLb1EESU_EEDaSP_SQ_EUlSP_E0_NS1_11comp_targetILNS1_3genE0ELNS1_11target_archE4294967295ELNS1_3gpuE0ELNS1_3repE0EEENS1_30default_config_static_selectorELNS0_4arch9wavefront6targetE1EEEvT1_ ; -- Begin function _ZN7rocprim17ROCPRIM_400000_NS6detail17trampoline_kernelINS0_14default_configENS1_20scan_config_selectorIsEEZZNS1_9scan_implILNS1_25lookback_scan_determinismE0ELb0ELb1ES3_N6thrust23THRUST_200600_302600_NS6detail15normal_iteratorINS9_10device_ptrIsEEEESE_sNS9_10multipliesIsEEsEEDaPvRmT3_T4_T5_mT6_P12ihipStream_tbENKUlT_T0_E_clISt17integral_constantIbLb1EESU_EEDaSP_SQ_EUlSP_E0_NS1_11comp_targetILNS1_3genE0ELNS1_11target_archE4294967295ELNS1_3gpuE0ELNS1_3repE0EEENS1_30default_config_static_selectorELNS0_4arch9wavefront6targetE1EEEvT1_
	.globl	_ZN7rocprim17ROCPRIM_400000_NS6detail17trampoline_kernelINS0_14default_configENS1_20scan_config_selectorIsEEZZNS1_9scan_implILNS1_25lookback_scan_determinismE0ELb0ELb1ES3_N6thrust23THRUST_200600_302600_NS6detail15normal_iteratorINS9_10device_ptrIsEEEESE_sNS9_10multipliesIsEEsEEDaPvRmT3_T4_T5_mT6_P12ihipStream_tbENKUlT_T0_E_clISt17integral_constantIbLb1EESU_EEDaSP_SQ_EUlSP_E0_NS1_11comp_targetILNS1_3genE0ELNS1_11target_archE4294967295ELNS1_3gpuE0ELNS1_3repE0EEENS1_30default_config_static_selectorELNS0_4arch9wavefront6targetE1EEEvT1_
	.p2align	8
	.type	_ZN7rocprim17ROCPRIM_400000_NS6detail17trampoline_kernelINS0_14default_configENS1_20scan_config_selectorIsEEZZNS1_9scan_implILNS1_25lookback_scan_determinismE0ELb0ELb1ES3_N6thrust23THRUST_200600_302600_NS6detail15normal_iteratorINS9_10device_ptrIsEEEESE_sNS9_10multipliesIsEEsEEDaPvRmT3_T4_T5_mT6_P12ihipStream_tbENKUlT_T0_E_clISt17integral_constantIbLb1EESU_EEDaSP_SQ_EUlSP_E0_NS1_11comp_targetILNS1_3genE0ELNS1_11target_archE4294967295ELNS1_3gpuE0ELNS1_3repE0EEENS1_30default_config_static_selectorELNS0_4arch9wavefront6targetE1EEEvT1_,@function
_ZN7rocprim17ROCPRIM_400000_NS6detail17trampoline_kernelINS0_14default_configENS1_20scan_config_selectorIsEEZZNS1_9scan_implILNS1_25lookback_scan_determinismE0ELb0ELb1ES3_N6thrust23THRUST_200600_302600_NS6detail15normal_iteratorINS9_10device_ptrIsEEEESE_sNS9_10multipliesIsEEsEEDaPvRmT3_T4_T5_mT6_P12ihipStream_tbENKUlT_T0_E_clISt17integral_constantIbLb1EESU_EEDaSP_SQ_EUlSP_E0_NS1_11comp_targetILNS1_3genE0ELNS1_11target_archE4294967295ELNS1_3gpuE0ELNS1_3repE0EEENS1_30default_config_static_selectorELNS0_4arch9wavefront6targetE1EEEvT1_: ; @_ZN7rocprim17ROCPRIM_400000_NS6detail17trampoline_kernelINS0_14default_configENS1_20scan_config_selectorIsEEZZNS1_9scan_implILNS1_25lookback_scan_determinismE0ELb0ELb1ES3_N6thrust23THRUST_200600_302600_NS6detail15normal_iteratorINS9_10device_ptrIsEEEESE_sNS9_10multipliesIsEEsEEDaPvRmT3_T4_T5_mT6_P12ihipStream_tbENKUlT_T0_E_clISt17integral_constantIbLb1EESU_EEDaSP_SQ_EUlSP_E0_NS1_11comp_targetILNS1_3genE0ELNS1_11target_archE4294967295ELNS1_3gpuE0ELNS1_3repE0EEENS1_30default_config_static_selectorELNS0_4arch9wavefront6targetE1EEEvT1_
; %bb.0:
	.section	.rodata,"a",@progbits
	.p2align	6, 0x0
	.amdhsa_kernel _ZN7rocprim17ROCPRIM_400000_NS6detail17trampoline_kernelINS0_14default_configENS1_20scan_config_selectorIsEEZZNS1_9scan_implILNS1_25lookback_scan_determinismE0ELb0ELb1ES3_N6thrust23THRUST_200600_302600_NS6detail15normal_iteratorINS9_10device_ptrIsEEEESE_sNS9_10multipliesIsEEsEEDaPvRmT3_T4_T5_mT6_P12ihipStream_tbENKUlT_T0_E_clISt17integral_constantIbLb1EESU_EEDaSP_SQ_EUlSP_E0_NS1_11comp_targetILNS1_3genE0ELNS1_11target_archE4294967295ELNS1_3gpuE0ELNS1_3repE0EEENS1_30default_config_static_selectorELNS0_4arch9wavefront6targetE1EEEvT1_
		.amdhsa_group_segment_fixed_size 0
		.amdhsa_private_segment_fixed_size 0
		.amdhsa_kernarg_size 32
		.amdhsa_user_sgpr_count 6
		.amdhsa_user_sgpr_private_segment_buffer 1
		.amdhsa_user_sgpr_dispatch_ptr 0
		.amdhsa_user_sgpr_queue_ptr 0
		.amdhsa_user_sgpr_kernarg_segment_ptr 1
		.amdhsa_user_sgpr_dispatch_id 0
		.amdhsa_user_sgpr_flat_scratch_init 0
		.amdhsa_user_sgpr_kernarg_preload_length 0
		.amdhsa_user_sgpr_kernarg_preload_offset 0
		.amdhsa_user_sgpr_private_segment_size 0
		.amdhsa_uses_dynamic_stack 0
		.amdhsa_system_sgpr_private_segment_wavefront_offset 0
		.amdhsa_system_sgpr_workgroup_id_x 1
		.amdhsa_system_sgpr_workgroup_id_y 0
		.amdhsa_system_sgpr_workgroup_id_z 0
		.amdhsa_system_sgpr_workgroup_info 0
		.amdhsa_system_vgpr_workitem_id 0
		.amdhsa_next_free_vgpr 1
		.amdhsa_next_free_sgpr 0
		.amdhsa_accum_offset 4
		.amdhsa_reserve_vcc 0
		.amdhsa_reserve_flat_scratch 0
		.amdhsa_float_round_mode_32 0
		.amdhsa_float_round_mode_16_64 0
		.amdhsa_float_denorm_mode_32 3
		.amdhsa_float_denorm_mode_16_64 3
		.amdhsa_dx10_clamp 1
		.amdhsa_ieee_mode 1
		.amdhsa_fp16_overflow 0
		.amdhsa_tg_split 0
		.amdhsa_exception_fp_ieee_invalid_op 0
		.amdhsa_exception_fp_denorm_src 0
		.amdhsa_exception_fp_ieee_div_zero 0
		.amdhsa_exception_fp_ieee_overflow 0
		.amdhsa_exception_fp_ieee_underflow 0
		.amdhsa_exception_fp_ieee_inexact 0
		.amdhsa_exception_int_div_zero 0
	.end_amdhsa_kernel
	.section	.text._ZN7rocprim17ROCPRIM_400000_NS6detail17trampoline_kernelINS0_14default_configENS1_20scan_config_selectorIsEEZZNS1_9scan_implILNS1_25lookback_scan_determinismE0ELb0ELb1ES3_N6thrust23THRUST_200600_302600_NS6detail15normal_iteratorINS9_10device_ptrIsEEEESE_sNS9_10multipliesIsEEsEEDaPvRmT3_T4_T5_mT6_P12ihipStream_tbENKUlT_T0_E_clISt17integral_constantIbLb1EESU_EEDaSP_SQ_EUlSP_E0_NS1_11comp_targetILNS1_3genE0ELNS1_11target_archE4294967295ELNS1_3gpuE0ELNS1_3repE0EEENS1_30default_config_static_selectorELNS0_4arch9wavefront6targetE1EEEvT1_,"axG",@progbits,_ZN7rocprim17ROCPRIM_400000_NS6detail17trampoline_kernelINS0_14default_configENS1_20scan_config_selectorIsEEZZNS1_9scan_implILNS1_25lookback_scan_determinismE0ELb0ELb1ES3_N6thrust23THRUST_200600_302600_NS6detail15normal_iteratorINS9_10device_ptrIsEEEESE_sNS9_10multipliesIsEEsEEDaPvRmT3_T4_T5_mT6_P12ihipStream_tbENKUlT_T0_E_clISt17integral_constantIbLb1EESU_EEDaSP_SQ_EUlSP_E0_NS1_11comp_targetILNS1_3genE0ELNS1_11target_archE4294967295ELNS1_3gpuE0ELNS1_3repE0EEENS1_30default_config_static_selectorELNS0_4arch9wavefront6targetE1EEEvT1_,comdat
.Lfunc_end1150:
	.size	_ZN7rocprim17ROCPRIM_400000_NS6detail17trampoline_kernelINS0_14default_configENS1_20scan_config_selectorIsEEZZNS1_9scan_implILNS1_25lookback_scan_determinismE0ELb0ELb1ES3_N6thrust23THRUST_200600_302600_NS6detail15normal_iteratorINS9_10device_ptrIsEEEESE_sNS9_10multipliesIsEEsEEDaPvRmT3_T4_T5_mT6_P12ihipStream_tbENKUlT_T0_E_clISt17integral_constantIbLb1EESU_EEDaSP_SQ_EUlSP_E0_NS1_11comp_targetILNS1_3genE0ELNS1_11target_archE4294967295ELNS1_3gpuE0ELNS1_3repE0EEENS1_30default_config_static_selectorELNS0_4arch9wavefront6targetE1EEEvT1_, .Lfunc_end1150-_ZN7rocprim17ROCPRIM_400000_NS6detail17trampoline_kernelINS0_14default_configENS1_20scan_config_selectorIsEEZZNS1_9scan_implILNS1_25lookback_scan_determinismE0ELb0ELb1ES3_N6thrust23THRUST_200600_302600_NS6detail15normal_iteratorINS9_10device_ptrIsEEEESE_sNS9_10multipliesIsEEsEEDaPvRmT3_T4_T5_mT6_P12ihipStream_tbENKUlT_T0_E_clISt17integral_constantIbLb1EESU_EEDaSP_SQ_EUlSP_E0_NS1_11comp_targetILNS1_3genE0ELNS1_11target_archE4294967295ELNS1_3gpuE0ELNS1_3repE0EEENS1_30default_config_static_selectorELNS0_4arch9wavefront6targetE1EEEvT1_
                                        ; -- End function
	.section	.AMDGPU.csdata,"",@progbits
; Kernel info:
; codeLenInByte = 0
; NumSgprs: 4
; NumVgprs: 0
; NumAgprs: 0
; TotalNumVgprs: 0
; ScratchSize: 0
; MemoryBound: 0
; FloatMode: 240
; IeeeMode: 1
; LDSByteSize: 0 bytes/workgroup (compile time only)
; SGPRBlocks: 0
; VGPRBlocks: 0
; NumSGPRsForWavesPerEU: 4
; NumVGPRsForWavesPerEU: 1
; AccumOffset: 4
; Occupancy: 8
; WaveLimiterHint : 0
; COMPUTE_PGM_RSRC2:SCRATCH_EN: 0
; COMPUTE_PGM_RSRC2:USER_SGPR: 6
; COMPUTE_PGM_RSRC2:TRAP_HANDLER: 0
; COMPUTE_PGM_RSRC2:TGID_X_EN: 1
; COMPUTE_PGM_RSRC2:TGID_Y_EN: 0
; COMPUTE_PGM_RSRC2:TGID_Z_EN: 0
; COMPUTE_PGM_RSRC2:TIDIG_COMP_CNT: 0
; COMPUTE_PGM_RSRC3_GFX90A:ACCUM_OFFSET: 0
; COMPUTE_PGM_RSRC3_GFX90A:TG_SPLIT: 0
	.section	.text._ZN7rocprim17ROCPRIM_400000_NS6detail17trampoline_kernelINS0_14default_configENS1_20scan_config_selectorIsEEZZNS1_9scan_implILNS1_25lookback_scan_determinismE0ELb0ELb1ES3_N6thrust23THRUST_200600_302600_NS6detail15normal_iteratorINS9_10device_ptrIsEEEESE_sNS9_10multipliesIsEEsEEDaPvRmT3_T4_T5_mT6_P12ihipStream_tbENKUlT_T0_E_clISt17integral_constantIbLb1EESU_EEDaSP_SQ_EUlSP_E0_NS1_11comp_targetILNS1_3genE5ELNS1_11target_archE942ELNS1_3gpuE9ELNS1_3repE0EEENS1_30default_config_static_selectorELNS0_4arch9wavefront6targetE1EEEvT1_,"axG",@progbits,_ZN7rocprim17ROCPRIM_400000_NS6detail17trampoline_kernelINS0_14default_configENS1_20scan_config_selectorIsEEZZNS1_9scan_implILNS1_25lookback_scan_determinismE0ELb0ELb1ES3_N6thrust23THRUST_200600_302600_NS6detail15normal_iteratorINS9_10device_ptrIsEEEESE_sNS9_10multipliesIsEEsEEDaPvRmT3_T4_T5_mT6_P12ihipStream_tbENKUlT_T0_E_clISt17integral_constantIbLb1EESU_EEDaSP_SQ_EUlSP_E0_NS1_11comp_targetILNS1_3genE5ELNS1_11target_archE942ELNS1_3gpuE9ELNS1_3repE0EEENS1_30default_config_static_selectorELNS0_4arch9wavefront6targetE1EEEvT1_,comdat
	.protected	_ZN7rocprim17ROCPRIM_400000_NS6detail17trampoline_kernelINS0_14default_configENS1_20scan_config_selectorIsEEZZNS1_9scan_implILNS1_25lookback_scan_determinismE0ELb0ELb1ES3_N6thrust23THRUST_200600_302600_NS6detail15normal_iteratorINS9_10device_ptrIsEEEESE_sNS9_10multipliesIsEEsEEDaPvRmT3_T4_T5_mT6_P12ihipStream_tbENKUlT_T0_E_clISt17integral_constantIbLb1EESU_EEDaSP_SQ_EUlSP_E0_NS1_11comp_targetILNS1_3genE5ELNS1_11target_archE942ELNS1_3gpuE9ELNS1_3repE0EEENS1_30default_config_static_selectorELNS0_4arch9wavefront6targetE1EEEvT1_ ; -- Begin function _ZN7rocprim17ROCPRIM_400000_NS6detail17trampoline_kernelINS0_14default_configENS1_20scan_config_selectorIsEEZZNS1_9scan_implILNS1_25lookback_scan_determinismE0ELb0ELb1ES3_N6thrust23THRUST_200600_302600_NS6detail15normal_iteratorINS9_10device_ptrIsEEEESE_sNS9_10multipliesIsEEsEEDaPvRmT3_T4_T5_mT6_P12ihipStream_tbENKUlT_T0_E_clISt17integral_constantIbLb1EESU_EEDaSP_SQ_EUlSP_E0_NS1_11comp_targetILNS1_3genE5ELNS1_11target_archE942ELNS1_3gpuE9ELNS1_3repE0EEENS1_30default_config_static_selectorELNS0_4arch9wavefront6targetE1EEEvT1_
	.globl	_ZN7rocprim17ROCPRIM_400000_NS6detail17trampoline_kernelINS0_14default_configENS1_20scan_config_selectorIsEEZZNS1_9scan_implILNS1_25lookback_scan_determinismE0ELb0ELb1ES3_N6thrust23THRUST_200600_302600_NS6detail15normal_iteratorINS9_10device_ptrIsEEEESE_sNS9_10multipliesIsEEsEEDaPvRmT3_T4_T5_mT6_P12ihipStream_tbENKUlT_T0_E_clISt17integral_constantIbLb1EESU_EEDaSP_SQ_EUlSP_E0_NS1_11comp_targetILNS1_3genE5ELNS1_11target_archE942ELNS1_3gpuE9ELNS1_3repE0EEENS1_30default_config_static_selectorELNS0_4arch9wavefront6targetE1EEEvT1_
	.p2align	8
	.type	_ZN7rocprim17ROCPRIM_400000_NS6detail17trampoline_kernelINS0_14default_configENS1_20scan_config_selectorIsEEZZNS1_9scan_implILNS1_25lookback_scan_determinismE0ELb0ELb1ES3_N6thrust23THRUST_200600_302600_NS6detail15normal_iteratorINS9_10device_ptrIsEEEESE_sNS9_10multipliesIsEEsEEDaPvRmT3_T4_T5_mT6_P12ihipStream_tbENKUlT_T0_E_clISt17integral_constantIbLb1EESU_EEDaSP_SQ_EUlSP_E0_NS1_11comp_targetILNS1_3genE5ELNS1_11target_archE942ELNS1_3gpuE9ELNS1_3repE0EEENS1_30default_config_static_selectorELNS0_4arch9wavefront6targetE1EEEvT1_,@function
_ZN7rocprim17ROCPRIM_400000_NS6detail17trampoline_kernelINS0_14default_configENS1_20scan_config_selectorIsEEZZNS1_9scan_implILNS1_25lookback_scan_determinismE0ELb0ELb1ES3_N6thrust23THRUST_200600_302600_NS6detail15normal_iteratorINS9_10device_ptrIsEEEESE_sNS9_10multipliesIsEEsEEDaPvRmT3_T4_T5_mT6_P12ihipStream_tbENKUlT_T0_E_clISt17integral_constantIbLb1EESU_EEDaSP_SQ_EUlSP_E0_NS1_11comp_targetILNS1_3genE5ELNS1_11target_archE942ELNS1_3gpuE9ELNS1_3repE0EEENS1_30default_config_static_selectorELNS0_4arch9wavefront6targetE1EEEvT1_: ; @_ZN7rocprim17ROCPRIM_400000_NS6detail17trampoline_kernelINS0_14default_configENS1_20scan_config_selectorIsEEZZNS1_9scan_implILNS1_25lookback_scan_determinismE0ELb0ELb1ES3_N6thrust23THRUST_200600_302600_NS6detail15normal_iteratorINS9_10device_ptrIsEEEESE_sNS9_10multipliesIsEEsEEDaPvRmT3_T4_T5_mT6_P12ihipStream_tbENKUlT_T0_E_clISt17integral_constantIbLb1EESU_EEDaSP_SQ_EUlSP_E0_NS1_11comp_targetILNS1_3genE5ELNS1_11target_archE942ELNS1_3gpuE9ELNS1_3repE0EEENS1_30default_config_static_selectorELNS0_4arch9wavefront6targetE1EEEvT1_
; %bb.0:
	.section	.rodata,"a",@progbits
	.p2align	6, 0x0
	.amdhsa_kernel _ZN7rocprim17ROCPRIM_400000_NS6detail17trampoline_kernelINS0_14default_configENS1_20scan_config_selectorIsEEZZNS1_9scan_implILNS1_25lookback_scan_determinismE0ELb0ELb1ES3_N6thrust23THRUST_200600_302600_NS6detail15normal_iteratorINS9_10device_ptrIsEEEESE_sNS9_10multipliesIsEEsEEDaPvRmT3_T4_T5_mT6_P12ihipStream_tbENKUlT_T0_E_clISt17integral_constantIbLb1EESU_EEDaSP_SQ_EUlSP_E0_NS1_11comp_targetILNS1_3genE5ELNS1_11target_archE942ELNS1_3gpuE9ELNS1_3repE0EEENS1_30default_config_static_selectorELNS0_4arch9wavefront6targetE1EEEvT1_
		.amdhsa_group_segment_fixed_size 0
		.amdhsa_private_segment_fixed_size 0
		.amdhsa_kernarg_size 32
		.amdhsa_user_sgpr_count 6
		.amdhsa_user_sgpr_private_segment_buffer 1
		.amdhsa_user_sgpr_dispatch_ptr 0
		.amdhsa_user_sgpr_queue_ptr 0
		.amdhsa_user_sgpr_kernarg_segment_ptr 1
		.amdhsa_user_sgpr_dispatch_id 0
		.amdhsa_user_sgpr_flat_scratch_init 0
		.amdhsa_user_sgpr_kernarg_preload_length 0
		.amdhsa_user_sgpr_kernarg_preload_offset 0
		.amdhsa_user_sgpr_private_segment_size 0
		.amdhsa_uses_dynamic_stack 0
		.amdhsa_system_sgpr_private_segment_wavefront_offset 0
		.amdhsa_system_sgpr_workgroup_id_x 1
		.amdhsa_system_sgpr_workgroup_id_y 0
		.amdhsa_system_sgpr_workgroup_id_z 0
		.amdhsa_system_sgpr_workgroup_info 0
		.amdhsa_system_vgpr_workitem_id 0
		.amdhsa_next_free_vgpr 1
		.amdhsa_next_free_sgpr 0
		.amdhsa_accum_offset 4
		.amdhsa_reserve_vcc 0
		.amdhsa_reserve_flat_scratch 0
		.amdhsa_float_round_mode_32 0
		.amdhsa_float_round_mode_16_64 0
		.amdhsa_float_denorm_mode_32 3
		.amdhsa_float_denorm_mode_16_64 3
		.amdhsa_dx10_clamp 1
		.amdhsa_ieee_mode 1
		.amdhsa_fp16_overflow 0
		.amdhsa_tg_split 0
		.amdhsa_exception_fp_ieee_invalid_op 0
		.amdhsa_exception_fp_denorm_src 0
		.amdhsa_exception_fp_ieee_div_zero 0
		.amdhsa_exception_fp_ieee_overflow 0
		.amdhsa_exception_fp_ieee_underflow 0
		.amdhsa_exception_fp_ieee_inexact 0
		.amdhsa_exception_int_div_zero 0
	.end_amdhsa_kernel
	.section	.text._ZN7rocprim17ROCPRIM_400000_NS6detail17trampoline_kernelINS0_14default_configENS1_20scan_config_selectorIsEEZZNS1_9scan_implILNS1_25lookback_scan_determinismE0ELb0ELb1ES3_N6thrust23THRUST_200600_302600_NS6detail15normal_iteratorINS9_10device_ptrIsEEEESE_sNS9_10multipliesIsEEsEEDaPvRmT3_T4_T5_mT6_P12ihipStream_tbENKUlT_T0_E_clISt17integral_constantIbLb1EESU_EEDaSP_SQ_EUlSP_E0_NS1_11comp_targetILNS1_3genE5ELNS1_11target_archE942ELNS1_3gpuE9ELNS1_3repE0EEENS1_30default_config_static_selectorELNS0_4arch9wavefront6targetE1EEEvT1_,"axG",@progbits,_ZN7rocprim17ROCPRIM_400000_NS6detail17trampoline_kernelINS0_14default_configENS1_20scan_config_selectorIsEEZZNS1_9scan_implILNS1_25lookback_scan_determinismE0ELb0ELb1ES3_N6thrust23THRUST_200600_302600_NS6detail15normal_iteratorINS9_10device_ptrIsEEEESE_sNS9_10multipliesIsEEsEEDaPvRmT3_T4_T5_mT6_P12ihipStream_tbENKUlT_T0_E_clISt17integral_constantIbLb1EESU_EEDaSP_SQ_EUlSP_E0_NS1_11comp_targetILNS1_3genE5ELNS1_11target_archE942ELNS1_3gpuE9ELNS1_3repE0EEENS1_30default_config_static_selectorELNS0_4arch9wavefront6targetE1EEEvT1_,comdat
.Lfunc_end1151:
	.size	_ZN7rocprim17ROCPRIM_400000_NS6detail17trampoline_kernelINS0_14default_configENS1_20scan_config_selectorIsEEZZNS1_9scan_implILNS1_25lookback_scan_determinismE0ELb0ELb1ES3_N6thrust23THRUST_200600_302600_NS6detail15normal_iteratorINS9_10device_ptrIsEEEESE_sNS9_10multipliesIsEEsEEDaPvRmT3_T4_T5_mT6_P12ihipStream_tbENKUlT_T0_E_clISt17integral_constantIbLb1EESU_EEDaSP_SQ_EUlSP_E0_NS1_11comp_targetILNS1_3genE5ELNS1_11target_archE942ELNS1_3gpuE9ELNS1_3repE0EEENS1_30default_config_static_selectorELNS0_4arch9wavefront6targetE1EEEvT1_, .Lfunc_end1151-_ZN7rocprim17ROCPRIM_400000_NS6detail17trampoline_kernelINS0_14default_configENS1_20scan_config_selectorIsEEZZNS1_9scan_implILNS1_25lookback_scan_determinismE0ELb0ELb1ES3_N6thrust23THRUST_200600_302600_NS6detail15normal_iteratorINS9_10device_ptrIsEEEESE_sNS9_10multipliesIsEEsEEDaPvRmT3_T4_T5_mT6_P12ihipStream_tbENKUlT_T0_E_clISt17integral_constantIbLb1EESU_EEDaSP_SQ_EUlSP_E0_NS1_11comp_targetILNS1_3genE5ELNS1_11target_archE942ELNS1_3gpuE9ELNS1_3repE0EEENS1_30default_config_static_selectorELNS0_4arch9wavefront6targetE1EEEvT1_
                                        ; -- End function
	.section	.AMDGPU.csdata,"",@progbits
; Kernel info:
; codeLenInByte = 0
; NumSgprs: 4
; NumVgprs: 0
; NumAgprs: 0
; TotalNumVgprs: 0
; ScratchSize: 0
; MemoryBound: 0
; FloatMode: 240
; IeeeMode: 1
; LDSByteSize: 0 bytes/workgroup (compile time only)
; SGPRBlocks: 0
; VGPRBlocks: 0
; NumSGPRsForWavesPerEU: 4
; NumVGPRsForWavesPerEU: 1
; AccumOffset: 4
; Occupancy: 8
; WaveLimiterHint : 0
; COMPUTE_PGM_RSRC2:SCRATCH_EN: 0
; COMPUTE_PGM_RSRC2:USER_SGPR: 6
; COMPUTE_PGM_RSRC2:TRAP_HANDLER: 0
; COMPUTE_PGM_RSRC2:TGID_X_EN: 1
; COMPUTE_PGM_RSRC2:TGID_Y_EN: 0
; COMPUTE_PGM_RSRC2:TGID_Z_EN: 0
; COMPUTE_PGM_RSRC2:TIDIG_COMP_CNT: 0
; COMPUTE_PGM_RSRC3_GFX90A:ACCUM_OFFSET: 0
; COMPUTE_PGM_RSRC3_GFX90A:TG_SPLIT: 0
	.section	.text._ZN7rocprim17ROCPRIM_400000_NS6detail17trampoline_kernelINS0_14default_configENS1_20scan_config_selectorIsEEZZNS1_9scan_implILNS1_25lookback_scan_determinismE0ELb0ELb1ES3_N6thrust23THRUST_200600_302600_NS6detail15normal_iteratorINS9_10device_ptrIsEEEESE_sNS9_10multipliesIsEEsEEDaPvRmT3_T4_T5_mT6_P12ihipStream_tbENKUlT_T0_E_clISt17integral_constantIbLb1EESU_EEDaSP_SQ_EUlSP_E0_NS1_11comp_targetILNS1_3genE4ELNS1_11target_archE910ELNS1_3gpuE8ELNS1_3repE0EEENS1_30default_config_static_selectorELNS0_4arch9wavefront6targetE1EEEvT1_,"axG",@progbits,_ZN7rocprim17ROCPRIM_400000_NS6detail17trampoline_kernelINS0_14default_configENS1_20scan_config_selectorIsEEZZNS1_9scan_implILNS1_25lookback_scan_determinismE0ELb0ELb1ES3_N6thrust23THRUST_200600_302600_NS6detail15normal_iteratorINS9_10device_ptrIsEEEESE_sNS9_10multipliesIsEEsEEDaPvRmT3_T4_T5_mT6_P12ihipStream_tbENKUlT_T0_E_clISt17integral_constantIbLb1EESU_EEDaSP_SQ_EUlSP_E0_NS1_11comp_targetILNS1_3genE4ELNS1_11target_archE910ELNS1_3gpuE8ELNS1_3repE0EEENS1_30default_config_static_selectorELNS0_4arch9wavefront6targetE1EEEvT1_,comdat
	.protected	_ZN7rocprim17ROCPRIM_400000_NS6detail17trampoline_kernelINS0_14default_configENS1_20scan_config_selectorIsEEZZNS1_9scan_implILNS1_25lookback_scan_determinismE0ELb0ELb1ES3_N6thrust23THRUST_200600_302600_NS6detail15normal_iteratorINS9_10device_ptrIsEEEESE_sNS9_10multipliesIsEEsEEDaPvRmT3_T4_T5_mT6_P12ihipStream_tbENKUlT_T0_E_clISt17integral_constantIbLb1EESU_EEDaSP_SQ_EUlSP_E0_NS1_11comp_targetILNS1_3genE4ELNS1_11target_archE910ELNS1_3gpuE8ELNS1_3repE0EEENS1_30default_config_static_selectorELNS0_4arch9wavefront6targetE1EEEvT1_ ; -- Begin function _ZN7rocprim17ROCPRIM_400000_NS6detail17trampoline_kernelINS0_14default_configENS1_20scan_config_selectorIsEEZZNS1_9scan_implILNS1_25lookback_scan_determinismE0ELb0ELb1ES3_N6thrust23THRUST_200600_302600_NS6detail15normal_iteratorINS9_10device_ptrIsEEEESE_sNS9_10multipliesIsEEsEEDaPvRmT3_T4_T5_mT6_P12ihipStream_tbENKUlT_T0_E_clISt17integral_constantIbLb1EESU_EEDaSP_SQ_EUlSP_E0_NS1_11comp_targetILNS1_3genE4ELNS1_11target_archE910ELNS1_3gpuE8ELNS1_3repE0EEENS1_30default_config_static_selectorELNS0_4arch9wavefront6targetE1EEEvT1_
	.globl	_ZN7rocprim17ROCPRIM_400000_NS6detail17trampoline_kernelINS0_14default_configENS1_20scan_config_selectorIsEEZZNS1_9scan_implILNS1_25lookback_scan_determinismE0ELb0ELb1ES3_N6thrust23THRUST_200600_302600_NS6detail15normal_iteratorINS9_10device_ptrIsEEEESE_sNS9_10multipliesIsEEsEEDaPvRmT3_T4_T5_mT6_P12ihipStream_tbENKUlT_T0_E_clISt17integral_constantIbLb1EESU_EEDaSP_SQ_EUlSP_E0_NS1_11comp_targetILNS1_3genE4ELNS1_11target_archE910ELNS1_3gpuE8ELNS1_3repE0EEENS1_30default_config_static_selectorELNS0_4arch9wavefront6targetE1EEEvT1_
	.p2align	8
	.type	_ZN7rocprim17ROCPRIM_400000_NS6detail17trampoline_kernelINS0_14default_configENS1_20scan_config_selectorIsEEZZNS1_9scan_implILNS1_25lookback_scan_determinismE0ELb0ELb1ES3_N6thrust23THRUST_200600_302600_NS6detail15normal_iteratorINS9_10device_ptrIsEEEESE_sNS9_10multipliesIsEEsEEDaPvRmT3_T4_T5_mT6_P12ihipStream_tbENKUlT_T0_E_clISt17integral_constantIbLb1EESU_EEDaSP_SQ_EUlSP_E0_NS1_11comp_targetILNS1_3genE4ELNS1_11target_archE910ELNS1_3gpuE8ELNS1_3repE0EEENS1_30default_config_static_selectorELNS0_4arch9wavefront6targetE1EEEvT1_,@function
_ZN7rocprim17ROCPRIM_400000_NS6detail17trampoline_kernelINS0_14default_configENS1_20scan_config_selectorIsEEZZNS1_9scan_implILNS1_25lookback_scan_determinismE0ELb0ELb1ES3_N6thrust23THRUST_200600_302600_NS6detail15normal_iteratorINS9_10device_ptrIsEEEESE_sNS9_10multipliesIsEEsEEDaPvRmT3_T4_T5_mT6_P12ihipStream_tbENKUlT_T0_E_clISt17integral_constantIbLb1EESU_EEDaSP_SQ_EUlSP_E0_NS1_11comp_targetILNS1_3genE4ELNS1_11target_archE910ELNS1_3gpuE8ELNS1_3repE0EEENS1_30default_config_static_selectorELNS0_4arch9wavefront6targetE1EEEvT1_: ; @_ZN7rocprim17ROCPRIM_400000_NS6detail17trampoline_kernelINS0_14default_configENS1_20scan_config_selectorIsEEZZNS1_9scan_implILNS1_25lookback_scan_determinismE0ELb0ELb1ES3_N6thrust23THRUST_200600_302600_NS6detail15normal_iteratorINS9_10device_ptrIsEEEESE_sNS9_10multipliesIsEEsEEDaPvRmT3_T4_T5_mT6_P12ihipStream_tbENKUlT_T0_E_clISt17integral_constantIbLb1EESU_EEDaSP_SQ_EUlSP_E0_NS1_11comp_targetILNS1_3genE4ELNS1_11target_archE910ELNS1_3gpuE8ELNS1_3repE0EEENS1_30default_config_static_selectorELNS0_4arch9wavefront6targetE1EEEvT1_
; %bb.0:
	s_load_dwordx4 s[52:55], s[4:5], 0x0
	v_mov_b32_e32 v1, 0
	v_lshlrev_b32_e32 v14, 1, v0
	s_waitcnt lgkmcnt(0)
	global_load_ushort v2, v1, s[52:53]
	v_cmp_gt_u32_e32 vcc, s54, v0
	s_waitcnt vmcnt(0)
	v_mov_b32_e32 v3, v2
	s_and_saveexec_b64 s[0:1], vcc
	s_cbranch_execz .LBB1152_2
; %bb.1:
	global_load_ushort v3, v14, s[52:53]
.LBB1152_2:
	s_or_b64 exec, exec, s[0:1]
	v_or_b32_e32 v1, 64, v0
	v_cmp_gt_u32_e64 s[0:1], s54, v1
	v_mov_b32_e32 v4, v2
	s_and_saveexec_b64 s[2:3], s[0:1]
	s_cbranch_execz .LBB1152_4
; %bb.3:
	global_load_ushort v4, v14, s[52:53] offset:128
.LBB1152_4:
	s_or_b64 exec, exec, s[2:3]
	v_or_b32_e32 v1, 0x80, v0
	v_cmp_gt_u32_e64 s[2:3], s54, v1
	v_mov_b32_e32 v5, v2
	s_and_saveexec_b64 s[6:7], s[2:3]
	s_cbranch_execz .LBB1152_6
; %bb.5:
	global_load_ushort v5, v14, s[52:53] offset:256
.LBB1152_6:
	;; [unrolled: 9-line block ×22, first 2 shown]
	s_or_b64 exec, exec, s[46:47]
	v_or_b32_e32 v1, 0x5c0, v0
	v_cmp_gt_u32_e64 s[46:47], s54, v1
	v_cmp_le_u32_e64 s[50:51], s54, v1
	s_and_saveexec_b64 s[54:55], s[50:51]
	s_xor_b64 s[50:51], exec, s[54:55]
; %bb.47:
	v_mov_b32_e32 v1, 0
; %bb.48:
	s_andn2_saveexec_b64 s[50:51], s[50:51]
	s_cbranch_execz .LBB1152_50
; %bb.49:
	global_load_ushort v2, v14, s[52:53] offset:2944
	v_mov_b32_e32 v1, 0
.LBB1152_50:
	s_or_b64 exec, exec, s[50:51]
	s_waitcnt vmcnt(0)
	ds_write_b16 v14, v3
	ds_write_b16 v14, v4 offset:128
	ds_write_b16 v14, v5 offset:256
	;; [unrolled: 1-line block ×23, first 2 shown]
	v_mad_u32_u24 v2, v0, 46, v14
	s_waitcnt lgkmcnt(0)
	; wave barrier
	s_waitcnt lgkmcnt(0)
	ds_read_b128 v[10:13], v2
	ds_read_b128 v[6:9], v2 offset:16
	ds_read_b128 v[2:5], v2 offset:32
	v_mbcnt_lo_u32_b32 v37, -1, 0
	v_mbcnt_hi_u32_b32 v37, -1, v37
	s_waitcnt lgkmcnt(2)
	v_mul_lo_u16_sdwa v16, v10, v10 dst_sel:DWORD dst_unused:UNUSED_PAD src0_sel:WORD_1 src1_sel:DWORD
	v_mul_lo_u16_e32 v17, v16, v11
	v_mul_lo_u16_sdwa v18, v17, v11 dst_sel:DWORD dst_unused:UNUSED_PAD src0_sel:DWORD src1_sel:WORD_1
	v_mul_lo_u16_e32 v19, v18, v12
	v_mul_lo_u16_sdwa v20, v19, v12 dst_sel:DWORD dst_unused:UNUSED_PAD src0_sel:DWORD src1_sel:WORD_1
	;; [unrolled: 2-line block ×3, first 2 shown]
	s_waitcnt lgkmcnt(1)
	v_mul_lo_u16_e32 v23, v22, v6
	v_mul_lo_u16_sdwa v24, v23, v6 dst_sel:DWORD dst_unused:UNUSED_PAD src0_sel:DWORD src1_sel:WORD_1
	v_mul_lo_u16_e32 v25, v24, v7
	v_mul_lo_u16_sdwa v26, v25, v7 dst_sel:DWORD dst_unused:UNUSED_PAD src0_sel:DWORD src1_sel:WORD_1
	;; [unrolled: 2-line block ×4, first 2 shown]
	s_waitcnt lgkmcnt(0)
	v_mul_lo_u16_e32 v31, v30, v2
	v_mul_lo_u16_sdwa v32, v31, v2 dst_sel:DWORD dst_unused:UNUSED_PAD src0_sel:DWORD src1_sel:WORD_1
	v_mul_lo_u16_e32 v33, v32, v3
	v_mul_lo_u16_sdwa v35, v33, v3 dst_sel:DWORD dst_unused:UNUSED_PAD src0_sel:DWORD src1_sel:WORD_1
	;; [unrolled: 2-line block ×4, first 2 shown]
	v_and_b32_e32 v38, 15, v37
	v_cmp_eq_u32_e64 s[50:51], 0, v38
	v_mov_b32_dpp v39, v15 row_shr:1 row_mask:0xf bank_mask:0xf
	v_mul_lo_u16_e32 v39, v15, v39
	v_cndmask_b32_e64 v15, v39, v15, s[50:51]
	v_cmp_lt_u32_e64 s[50:51], 1, v38
	s_load_dwordx2 s[52:53], s[4:5], 0x18
	v_mov_b32_dpp v39, v15 row_shr:2 row_mask:0xf bank_mask:0xf
	v_mul_lo_u16_e32 v39, v15, v39
	v_cndmask_b32_e64 v15, v15, v39, s[50:51]
	v_cmp_lt_u32_e64 s[50:51], 3, v38
	s_waitcnt lgkmcnt(0)
	v_mov_b32_dpp v39, v15 row_shr:4 row_mask:0xf bank_mask:0xf
	v_mul_lo_u16_e32 v39, v15, v39
	v_cndmask_b32_e64 v15, v15, v39, s[50:51]
	v_cmp_lt_u32_e64 s[50:51], 7, v38
	; wave barrier
	s_nop 0
	v_mov_b32_dpp v39, v15 row_shr:8 row_mask:0xf bank_mask:0xf
	v_mul_lo_u16_e32 v39, v15, v39
	v_cndmask_b32_e64 v15, v15, v39, s[50:51]
	v_and_b32_e32 v39, 16, v37
	v_cmp_eq_u32_e64 s[50:51], 0, v39
	v_mov_b32_dpp v38, v15 row_bcast:15 row_mask:0xf bank_mask:0xf
	v_mul_lo_u16_e32 v38, v15, v38
	v_cndmask_b32_e64 v15, v38, v15, s[50:51]
	v_cmp_lt_u32_e64 s[50:51], 31, v37
	s_nop 0
	v_mov_b32_dpp v38, v15 row_bcast:31 row_mask:0xf bank_mask:0xf
	v_cndmask_b32_e64 v38, 1, v38, s[50:51]
	v_mul_lo_u16_e32 v38, v15, v38
	v_cmp_eq_u32_e64 s[50:51], 63, v0
	s_and_saveexec_b64 s[54:55], s[50:51]
	s_cbranch_execz .LBB1152_52
; %bb.51:
	v_mov_b32_e32 v15, 0
	ds_write_b16 v15, v38
.LBB1152_52:
	s_or_b64 exec, exec, s[54:55]
	v_add_u32_e32 v39, -1, v37
	v_and_b32_e32 v40, 64, v37
	s_load_dword s54, s[4:5], 0x10
	v_cmp_lt_i32_e64 s[4:5], v39, v40
	v_cndmask_b32_e64 v37, v39, v37, s[4:5]
	v_lshlrev_b32_e32 v37, 2, v37
	ds_bpermute_b32 v37, v37, v38
	s_mov_b32 s33, 0x5040100
	v_mul_u32_u24_e32 v15, 46, v0
	v_cmp_ne_u32_e64 s[4:5], 0, v0
	v_perm_b32 v34, v36, v34, s33
	v_perm_b32 v16, v16, v10, s33
	;; [unrolled: 1-line block ×11, first 2 shown]
	s_waitcnt lgkmcnt(0)
	; wave barrier
	s_waitcnt lgkmcnt(0)
	s_and_saveexec_b64 s[50:51], s[4:5]
	s_cbranch_execz .LBB1152_54
; %bb.53:
	v_mul_lo_u16_e32 v16, v10, v37
	v_mul_lo_u16_sdwa v10, v16, v10 dst_sel:DWORD dst_unused:UNUSED_PAD src0_sel:DWORD src1_sel:WORD_1
	v_mul_lo_u16_e32 v17, v10, v11
	v_mul_lo_u16_sdwa v11, v17, v11 dst_sel:DWORD dst_unused:UNUSED_PAD src0_sel:DWORD src1_sel:WORD_1
	;; [unrolled: 2-line block ×11, first 2 shown]
	v_perm_b32 v34, v4, v18, s33
	v_perm_b32 v16, v10, v16, s33
	;; [unrolled: 1-line block ×11, first 2 shown]
	;;#ASMSTART
	;;#ASMEND
.LBB1152_54:
	s_or_b64 exec, exec, s[50:51]
	v_pk_mul_lo_u16 v6, v16, s54 op_sel_hi:[1,0]
	v_mul_lo_u16_e32 v16, s54, v5
	v_mul_lo_u16_sdwa v16, v16, v34 dst_sel:DWORD dst_unused:UNUSED_PAD src0_sel:DWORD src1_sel:WORD_1
	v_mul_lo_u16_sdwa v5, v16, v5 dst_sel:DWORD dst_unused:UNUSED_PAD src0_sel:DWORD src1_sel:WORD_1
	v_pk_mul_lo_u16 v7, v18, s54 op_sel_hi:[1,0]
	v_pk_mul_lo_u16 v9, v20, s54 op_sel_hi:[1,0]
	;; [unrolled: 1-line block ×10, first 2 shown]
	v_add_u32_e32 v15, v14, v15
	v_perm_b32 v5, v5, v16, s33
	s_waitcnt lgkmcnt(0)
	; wave barrier
	ds_write_b128 v15, v[6:9]
	ds_write_b128 v15, v[10:13] offset:16
	ds_write_b128 v15, v[2:5] offset:32
	s_waitcnt lgkmcnt(0)
	; wave barrier
	s_waitcnt lgkmcnt(0)
	ds_read_u16 v25, v14 offset:128
	ds_read_u16 v24, v14 offset:256
	;; [unrolled: 1-line block ×23, first 2 shown]
	v_lshlrev_b64 v[0:1], 1, v[0:1]
	v_mov_b32_e32 v26, s53
	v_add_co_u32_e64 v0, s[4:5], s52, v0
	v_addc_co_u32_e64 v1, s[4:5], v26, v1, s[4:5]
	s_and_saveexec_b64 s[4:5], vcc
	s_cbranch_execnz .LBB1152_79
; %bb.55:
	s_or_b64 exec, exec, s[4:5]
	s_and_saveexec_b64 s[4:5], s[0:1]
	s_cbranch_execnz .LBB1152_80
.LBB1152_56:
	s_or_b64 exec, exec, s[4:5]
	s_and_saveexec_b64 s[0:1], s[2:3]
	s_cbranch_execnz .LBB1152_81
.LBB1152_57:
	s_or_b64 exec, exec, s[0:1]
	s_and_saveexec_b64 s[0:1], s[48:49]
	s_cbranch_execnz .LBB1152_82
.LBB1152_58:
	s_or_b64 exec, exec, s[0:1]
	s_and_saveexec_b64 s[0:1], s[6:7]
	s_cbranch_execnz .LBB1152_83
.LBB1152_59:
	s_or_b64 exec, exec, s[0:1]
	s_and_saveexec_b64 s[0:1], s[8:9]
	s_cbranch_execnz .LBB1152_84
.LBB1152_60:
	s_or_b64 exec, exec, s[0:1]
	s_and_saveexec_b64 s[0:1], s[10:11]
	s_cbranch_execnz .LBB1152_85
.LBB1152_61:
	s_or_b64 exec, exec, s[0:1]
	s_and_saveexec_b64 s[0:1], s[12:13]
	s_cbranch_execnz .LBB1152_86
.LBB1152_62:
	s_or_b64 exec, exec, s[0:1]
	s_and_saveexec_b64 s[0:1], s[14:15]
	s_cbranch_execnz .LBB1152_87
.LBB1152_63:
	s_or_b64 exec, exec, s[0:1]
	s_and_saveexec_b64 s[0:1], s[16:17]
	s_cbranch_execnz .LBB1152_88
.LBB1152_64:
	s_or_b64 exec, exec, s[0:1]
	s_and_saveexec_b64 s[0:1], s[18:19]
	s_cbranch_execnz .LBB1152_89
.LBB1152_65:
	s_or_b64 exec, exec, s[0:1]
	s_and_saveexec_b64 s[0:1], s[20:21]
	s_cbranch_execnz .LBB1152_90
.LBB1152_66:
	s_or_b64 exec, exec, s[0:1]
	s_and_saveexec_b64 s[0:1], s[22:23]
	s_cbranch_execnz .LBB1152_91
.LBB1152_67:
	s_or_b64 exec, exec, s[0:1]
	s_and_saveexec_b64 s[0:1], s[24:25]
	s_cbranch_execnz .LBB1152_92
.LBB1152_68:
	s_or_b64 exec, exec, s[0:1]
	s_and_saveexec_b64 s[0:1], s[26:27]
	s_cbranch_execnz .LBB1152_93
.LBB1152_69:
	s_or_b64 exec, exec, s[0:1]
	s_and_saveexec_b64 s[0:1], s[28:29]
	s_cbranch_execnz .LBB1152_94
.LBB1152_70:
	s_or_b64 exec, exec, s[0:1]
	s_and_saveexec_b64 s[0:1], s[30:31]
	s_cbranch_execnz .LBB1152_95
.LBB1152_71:
	s_or_b64 exec, exec, s[0:1]
	s_and_saveexec_b64 s[0:1], s[34:35]
	s_cbranch_execnz .LBB1152_96
.LBB1152_72:
	s_or_b64 exec, exec, s[0:1]
	s_and_saveexec_b64 s[0:1], s[36:37]
	s_cbranch_execnz .LBB1152_97
.LBB1152_73:
	s_or_b64 exec, exec, s[0:1]
	s_and_saveexec_b64 s[0:1], s[38:39]
	s_cbranch_execnz .LBB1152_98
.LBB1152_74:
	s_or_b64 exec, exec, s[0:1]
	s_and_saveexec_b64 s[0:1], s[40:41]
	s_cbranch_execnz .LBB1152_99
.LBB1152_75:
	s_or_b64 exec, exec, s[0:1]
	s_and_saveexec_b64 s[0:1], s[42:43]
	s_cbranch_execnz .LBB1152_100
.LBB1152_76:
	s_or_b64 exec, exec, s[0:1]
	s_and_saveexec_b64 s[0:1], s[44:45]
	s_cbranch_execnz .LBB1152_101
.LBB1152_77:
	s_or_b64 exec, exec, s[0:1]
	s_and_saveexec_b64 s[0:1], s[46:47]
	s_cbranch_execnz .LBB1152_102
.LBB1152_78:
	s_endpgm
.LBB1152_79:
	ds_read_u16 v14, v14
	s_waitcnt lgkmcnt(0)
	global_store_short v[0:1], v14, off
	s_or_b64 exec, exec, s[4:5]
	s_and_saveexec_b64 s[4:5], s[0:1]
	s_cbranch_execz .LBB1152_56
.LBB1152_80:
	s_waitcnt lgkmcnt(14)
	global_store_short v[0:1], v25, off offset:128
	s_or_b64 exec, exec, s[4:5]
	s_and_saveexec_b64 s[0:1], s[2:3]
	s_cbranch_execz .LBB1152_57
.LBB1152_81:
	s_waitcnt lgkmcnt(14)
	global_store_short v[0:1], v24, off offset:256
	s_or_b64 exec, exec, s[0:1]
	s_and_saveexec_b64 s[0:1], s[48:49]
	s_cbranch_execz .LBB1152_58
.LBB1152_82:
	s_waitcnt lgkmcnt(14)
	global_store_short v[0:1], v23, off offset:384
	s_or_b64 exec, exec, s[0:1]
	s_and_saveexec_b64 s[0:1], s[6:7]
	s_cbranch_execz .LBB1152_59
.LBB1152_83:
	s_waitcnt lgkmcnt(14)
	global_store_short v[0:1], v22, off offset:512
	s_or_b64 exec, exec, s[0:1]
	s_and_saveexec_b64 s[0:1], s[8:9]
	s_cbranch_execz .LBB1152_60
.LBB1152_84:
	s_waitcnt lgkmcnt(14)
	global_store_short v[0:1], v21, off offset:640
	s_or_b64 exec, exec, s[0:1]
	s_and_saveexec_b64 s[0:1], s[10:11]
	s_cbranch_execz .LBB1152_61
.LBB1152_85:
	s_waitcnt lgkmcnt(14)
	global_store_short v[0:1], v20, off offset:768
	s_or_b64 exec, exec, s[0:1]
	s_and_saveexec_b64 s[0:1], s[12:13]
	s_cbranch_execz .LBB1152_62
.LBB1152_86:
	s_waitcnt lgkmcnt(14)
	global_store_short v[0:1], v19, off offset:896
	s_or_b64 exec, exec, s[0:1]
	s_and_saveexec_b64 s[0:1], s[14:15]
	s_cbranch_execz .LBB1152_63
.LBB1152_87:
	s_waitcnt lgkmcnt(14)
	global_store_short v[0:1], v18, off offset:1024
	s_or_b64 exec, exec, s[0:1]
	s_and_saveexec_b64 s[0:1], s[16:17]
	s_cbranch_execz .LBB1152_64
.LBB1152_88:
	s_waitcnt lgkmcnt(14)
	global_store_short v[0:1], v17, off offset:1152
	s_or_b64 exec, exec, s[0:1]
	s_and_saveexec_b64 s[0:1], s[18:19]
	s_cbranch_execz .LBB1152_65
.LBB1152_89:
	s_waitcnt lgkmcnt(13)
	global_store_short v[0:1], v16, off offset:1280
	s_or_b64 exec, exec, s[0:1]
	s_and_saveexec_b64 s[0:1], s[20:21]
	s_cbranch_execz .LBB1152_66
.LBB1152_90:
	s_waitcnt lgkmcnt(12)
	global_store_short v[0:1], v15, off offset:1408
	s_or_b64 exec, exec, s[0:1]
	s_and_saveexec_b64 s[0:1], s[22:23]
	s_cbranch_execz .LBB1152_67
.LBB1152_91:
	s_waitcnt lgkmcnt(11)
	global_store_short v[0:1], v13, off offset:1536
	s_or_b64 exec, exec, s[0:1]
	s_and_saveexec_b64 s[0:1], s[24:25]
	s_cbranch_execz .LBB1152_68
.LBB1152_92:
	s_waitcnt lgkmcnt(10)
	global_store_short v[0:1], v12, off offset:1664
	s_or_b64 exec, exec, s[0:1]
	s_and_saveexec_b64 s[0:1], s[26:27]
	s_cbranch_execz .LBB1152_69
.LBB1152_93:
	s_waitcnt lgkmcnt(9)
	global_store_short v[0:1], v11, off offset:1792
	s_or_b64 exec, exec, s[0:1]
	s_and_saveexec_b64 s[0:1], s[28:29]
	s_cbranch_execz .LBB1152_70
.LBB1152_94:
	s_waitcnt lgkmcnt(8)
	global_store_short v[0:1], v10, off offset:1920
	s_or_b64 exec, exec, s[0:1]
	s_and_saveexec_b64 s[0:1], s[30:31]
	s_cbranch_execz .LBB1152_71
.LBB1152_95:
	s_waitcnt lgkmcnt(7)
	global_store_short v[0:1], v9, off offset:2048
	s_or_b64 exec, exec, s[0:1]
	s_and_saveexec_b64 s[0:1], s[34:35]
	s_cbranch_execz .LBB1152_72
.LBB1152_96:
	s_waitcnt lgkmcnt(6)
	global_store_short v[0:1], v8, off offset:2176
	s_or_b64 exec, exec, s[0:1]
	s_and_saveexec_b64 s[0:1], s[36:37]
	s_cbranch_execz .LBB1152_73
.LBB1152_97:
	s_waitcnt lgkmcnt(5)
	global_store_short v[0:1], v7, off offset:2304
	s_or_b64 exec, exec, s[0:1]
	s_and_saveexec_b64 s[0:1], s[38:39]
	s_cbranch_execz .LBB1152_74
.LBB1152_98:
	s_waitcnt lgkmcnt(4)
	global_store_short v[0:1], v6, off offset:2432
	s_or_b64 exec, exec, s[0:1]
	s_and_saveexec_b64 s[0:1], s[40:41]
	s_cbranch_execz .LBB1152_75
.LBB1152_99:
	s_waitcnt lgkmcnt(3)
	global_store_short v[0:1], v5, off offset:2560
	s_or_b64 exec, exec, s[0:1]
	s_and_saveexec_b64 s[0:1], s[42:43]
	s_cbranch_execz .LBB1152_76
.LBB1152_100:
	s_waitcnt lgkmcnt(2)
	global_store_short v[0:1], v4, off offset:2688
	s_or_b64 exec, exec, s[0:1]
	s_and_saveexec_b64 s[0:1], s[44:45]
	s_cbranch_execz .LBB1152_77
.LBB1152_101:
	s_waitcnt lgkmcnt(1)
	global_store_short v[0:1], v3, off offset:2816
	s_or_b64 exec, exec, s[0:1]
	s_and_saveexec_b64 s[0:1], s[46:47]
	s_cbranch_execz .LBB1152_78
.LBB1152_102:
	s_waitcnt lgkmcnt(0)
	global_store_short v[0:1], v2, off offset:2944
	s_endpgm
	.section	.rodata,"a",@progbits
	.p2align	6, 0x0
	.amdhsa_kernel _ZN7rocprim17ROCPRIM_400000_NS6detail17trampoline_kernelINS0_14default_configENS1_20scan_config_selectorIsEEZZNS1_9scan_implILNS1_25lookback_scan_determinismE0ELb0ELb1ES3_N6thrust23THRUST_200600_302600_NS6detail15normal_iteratorINS9_10device_ptrIsEEEESE_sNS9_10multipliesIsEEsEEDaPvRmT3_T4_T5_mT6_P12ihipStream_tbENKUlT_T0_E_clISt17integral_constantIbLb1EESU_EEDaSP_SQ_EUlSP_E0_NS1_11comp_targetILNS1_3genE4ELNS1_11target_archE910ELNS1_3gpuE8ELNS1_3repE0EEENS1_30default_config_static_selectorELNS0_4arch9wavefront6targetE1EEEvT1_
		.amdhsa_group_segment_fixed_size 3072
		.amdhsa_private_segment_fixed_size 0
		.amdhsa_kernarg_size 32
		.amdhsa_user_sgpr_count 6
		.amdhsa_user_sgpr_private_segment_buffer 1
		.amdhsa_user_sgpr_dispatch_ptr 0
		.amdhsa_user_sgpr_queue_ptr 0
		.amdhsa_user_sgpr_kernarg_segment_ptr 1
		.amdhsa_user_sgpr_dispatch_id 0
		.amdhsa_user_sgpr_flat_scratch_init 0
		.amdhsa_user_sgpr_kernarg_preload_length 0
		.amdhsa_user_sgpr_kernarg_preload_offset 0
		.amdhsa_user_sgpr_private_segment_size 0
		.amdhsa_uses_dynamic_stack 0
		.amdhsa_system_sgpr_private_segment_wavefront_offset 0
		.amdhsa_system_sgpr_workgroup_id_x 1
		.amdhsa_system_sgpr_workgroup_id_y 0
		.amdhsa_system_sgpr_workgroup_id_z 0
		.amdhsa_system_sgpr_workgroup_info 0
		.amdhsa_system_vgpr_workitem_id 0
		.amdhsa_next_free_vgpr 41
		.amdhsa_next_free_sgpr 56
		.amdhsa_accum_offset 44
		.amdhsa_reserve_vcc 1
		.amdhsa_reserve_flat_scratch 0
		.amdhsa_float_round_mode_32 0
		.amdhsa_float_round_mode_16_64 0
		.amdhsa_float_denorm_mode_32 3
		.amdhsa_float_denorm_mode_16_64 3
		.amdhsa_dx10_clamp 1
		.amdhsa_ieee_mode 1
		.amdhsa_fp16_overflow 0
		.amdhsa_tg_split 0
		.amdhsa_exception_fp_ieee_invalid_op 0
		.amdhsa_exception_fp_denorm_src 0
		.amdhsa_exception_fp_ieee_div_zero 0
		.amdhsa_exception_fp_ieee_overflow 0
		.amdhsa_exception_fp_ieee_underflow 0
		.amdhsa_exception_fp_ieee_inexact 0
		.amdhsa_exception_int_div_zero 0
	.end_amdhsa_kernel
	.section	.text._ZN7rocprim17ROCPRIM_400000_NS6detail17trampoline_kernelINS0_14default_configENS1_20scan_config_selectorIsEEZZNS1_9scan_implILNS1_25lookback_scan_determinismE0ELb0ELb1ES3_N6thrust23THRUST_200600_302600_NS6detail15normal_iteratorINS9_10device_ptrIsEEEESE_sNS9_10multipliesIsEEsEEDaPvRmT3_T4_T5_mT6_P12ihipStream_tbENKUlT_T0_E_clISt17integral_constantIbLb1EESU_EEDaSP_SQ_EUlSP_E0_NS1_11comp_targetILNS1_3genE4ELNS1_11target_archE910ELNS1_3gpuE8ELNS1_3repE0EEENS1_30default_config_static_selectorELNS0_4arch9wavefront6targetE1EEEvT1_,"axG",@progbits,_ZN7rocprim17ROCPRIM_400000_NS6detail17trampoline_kernelINS0_14default_configENS1_20scan_config_selectorIsEEZZNS1_9scan_implILNS1_25lookback_scan_determinismE0ELb0ELb1ES3_N6thrust23THRUST_200600_302600_NS6detail15normal_iteratorINS9_10device_ptrIsEEEESE_sNS9_10multipliesIsEEsEEDaPvRmT3_T4_T5_mT6_P12ihipStream_tbENKUlT_T0_E_clISt17integral_constantIbLb1EESU_EEDaSP_SQ_EUlSP_E0_NS1_11comp_targetILNS1_3genE4ELNS1_11target_archE910ELNS1_3gpuE8ELNS1_3repE0EEENS1_30default_config_static_selectorELNS0_4arch9wavefront6targetE1EEEvT1_,comdat
.Lfunc_end1152:
	.size	_ZN7rocprim17ROCPRIM_400000_NS6detail17trampoline_kernelINS0_14default_configENS1_20scan_config_selectorIsEEZZNS1_9scan_implILNS1_25lookback_scan_determinismE0ELb0ELb1ES3_N6thrust23THRUST_200600_302600_NS6detail15normal_iteratorINS9_10device_ptrIsEEEESE_sNS9_10multipliesIsEEsEEDaPvRmT3_T4_T5_mT6_P12ihipStream_tbENKUlT_T0_E_clISt17integral_constantIbLb1EESU_EEDaSP_SQ_EUlSP_E0_NS1_11comp_targetILNS1_3genE4ELNS1_11target_archE910ELNS1_3gpuE8ELNS1_3repE0EEENS1_30default_config_static_selectorELNS0_4arch9wavefront6targetE1EEEvT1_, .Lfunc_end1152-_ZN7rocprim17ROCPRIM_400000_NS6detail17trampoline_kernelINS0_14default_configENS1_20scan_config_selectorIsEEZZNS1_9scan_implILNS1_25lookback_scan_determinismE0ELb0ELb1ES3_N6thrust23THRUST_200600_302600_NS6detail15normal_iteratorINS9_10device_ptrIsEEEESE_sNS9_10multipliesIsEEsEEDaPvRmT3_T4_T5_mT6_P12ihipStream_tbENKUlT_T0_E_clISt17integral_constantIbLb1EESU_EEDaSP_SQ_EUlSP_E0_NS1_11comp_targetILNS1_3genE4ELNS1_11target_archE910ELNS1_3gpuE8ELNS1_3repE0EEENS1_30default_config_static_selectorELNS0_4arch9wavefront6targetE1EEEvT1_
                                        ; -- End function
	.section	.AMDGPU.csdata,"",@progbits
; Kernel info:
; codeLenInByte = 3252
; NumSgprs: 60
; NumVgprs: 41
; NumAgprs: 0
; TotalNumVgprs: 41
; ScratchSize: 0
; MemoryBound: 0
; FloatMode: 240
; IeeeMode: 1
; LDSByteSize: 3072 bytes/workgroup (compile time only)
; SGPRBlocks: 7
; VGPRBlocks: 5
; NumSGPRsForWavesPerEU: 60
; NumVGPRsForWavesPerEU: 41
; AccumOffset: 44
; Occupancy: 6
; WaveLimiterHint : 0
; COMPUTE_PGM_RSRC2:SCRATCH_EN: 0
; COMPUTE_PGM_RSRC2:USER_SGPR: 6
; COMPUTE_PGM_RSRC2:TRAP_HANDLER: 0
; COMPUTE_PGM_RSRC2:TGID_X_EN: 1
; COMPUTE_PGM_RSRC2:TGID_Y_EN: 0
; COMPUTE_PGM_RSRC2:TGID_Z_EN: 0
; COMPUTE_PGM_RSRC2:TIDIG_COMP_CNT: 0
; COMPUTE_PGM_RSRC3_GFX90A:ACCUM_OFFSET: 10
; COMPUTE_PGM_RSRC3_GFX90A:TG_SPLIT: 0
	.section	.text._ZN7rocprim17ROCPRIM_400000_NS6detail17trampoline_kernelINS0_14default_configENS1_20scan_config_selectorIsEEZZNS1_9scan_implILNS1_25lookback_scan_determinismE0ELb0ELb1ES3_N6thrust23THRUST_200600_302600_NS6detail15normal_iteratorINS9_10device_ptrIsEEEESE_sNS9_10multipliesIsEEsEEDaPvRmT3_T4_T5_mT6_P12ihipStream_tbENKUlT_T0_E_clISt17integral_constantIbLb1EESU_EEDaSP_SQ_EUlSP_E0_NS1_11comp_targetILNS1_3genE3ELNS1_11target_archE908ELNS1_3gpuE7ELNS1_3repE0EEENS1_30default_config_static_selectorELNS0_4arch9wavefront6targetE1EEEvT1_,"axG",@progbits,_ZN7rocprim17ROCPRIM_400000_NS6detail17trampoline_kernelINS0_14default_configENS1_20scan_config_selectorIsEEZZNS1_9scan_implILNS1_25lookback_scan_determinismE0ELb0ELb1ES3_N6thrust23THRUST_200600_302600_NS6detail15normal_iteratorINS9_10device_ptrIsEEEESE_sNS9_10multipliesIsEEsEEDaPvRmT3_T4_T5_mT6_P12ihipStream_tbENKUlT_T0_E_clISt17integral_constantIbLb1EESU_EEDaSP_SQ_EUlSP_E0_NS1_11comp_targetILNS1_3genE3ELNS1_11target_archE908ELNS1_3gpuE7ELNS1_3repE0EEENS1_30default_config_static_selectorELNS0_4arch9wavefront6targetE1EEEvT1_,comdat
	.protected	_ZN7rocprim17ROCPRIM_400000_NS6detail17trampoline_kernelINS0_14default_configENS1_20scan_config_selectorIsEEZZNS1_9scan_implILNS1_25lookback_scan_determinismE0ELb0ELb1ES3_N6thrust23THRUST_200600_302600_NS6detail15normal_iteratorINS9_10device_ptrIsEEEESE_sNS9_10multipliesIsEEsEEDaPvRmT3_T4_T5_mT6_P12ihipStream_tbENKUlT_T0_E_clISt17integral_constantIbLb1EESU_EEDaSP_SQ_EUlSP_E0_NS1_11comp_targetILNS1_3genE3ELNS1_11target_archE908ELNS1_3gpuE7ELNS1_3repE0EEENS1_30default_config_static_selectorELNS0_4arch9wavefront6targetE1EEEvT1_ ; -- Begin function _ZN7rocprim17ROCPRIM_400000_NS6detail17trampoline_kernelINS0_14default_configENS1_20scan_config_selectorIsEEZZNS1_9scan_implILNS1_25lookback_scan_determinismE0ELb0ELb1ES3_N6thrust23THRUST_200600_302600_NS6detail15normal_iteratorINS9_10device_ptrIsEEEESE_sNS9_10multipliesIsEEsEEDaPvRmT3_T4_T5_mT6_P12ihipStream_tbENKUlT_T0_E_clISt17integral_constantIbLb1EESU_EEDaSP_SQ_EUlSP_E0_NS1_11comp_targetILNS1_3genE3ELNS1_11target_archE908ELNS1_3gpuE7ELNS1_3repE0EEENS1_30default_config_static_selectorELNS0_4arch9wavefront6targetE1EEEvT1_
	.globl	_ZN7rocprim17ROCPRIM_400000_NS6detail17trampoline_kernelINS0_14default_configENS1_20scan_config_selectorIsEEZZNS1_9scan_implILNS1_25lookback_scan_determinismE0ELb0ELb1ES3_N6thrust23THRUST_200600_302600_NS6detail15normal_iteratorINS9_10device_ptrIsEEEESE_sNS9_10multipliesIsEEsEEDaPvRmT3_T4_T5_mT6_P12ihipStream_tbENKUlT_T0_E_clISt17integral_constantIbLb1EESU_EEDaSP_SQ_EUlSP_E0_NS1_11comp_targetILNS1_3genE3ELNS1_11target_archE908ELNS1_3gpuE7ELNS1_3repE0EEENS1_30default_config_static_selectorELNS0_4arch9wavefront6targetE1EEEvT1_
	.p2align	8
	.type	_ZN7rocprim17ROCPRIM_400000_NS6detail17trampoline_kernelINS0_14default_configENS1_20scan_config_selectorIsEEZZNS1_9scan_implILNS1_25lookback_scan_determinismE0ELb0ELb1ES3_N6thrust23THRUST_200600_302600_NS6detail15normal_iteratorINS9_10device_ptrIsEEEESE_sNS9_10multipliesIsEEsEEDaPvRmT3_T4_T5_mT6_P12ihipStream_tbENKUlT_T0_E_clISt17integral_constantIbLb1EESU_EEDaSP_SQ_EUlSP_E0_NS1_11comp_targetILNS1_3genE3ELNS1_11target_archE908ELNS1_3gpuE7ELNS1_3repE0EEENS1_30default_config_static_selectorELNS0_4arch9wavefront6targetE1EEEvT1_,@function
_ZN7rocprim17ROCPRIM_400000_NS6detail17trampoline_kernelINS0_14default_configENS1_20scan_config_selectorIsEEZZNS1_9scan_implILNS1_25lookback_scan_determinismE0ELb0ELb1ES3_N6thrust23THRUST_200600_302600_NS6detail15normal_iteratorINS9_10device_ptrIsEEEESE_sNS9_10multipliesIsEEsEEDaPvRmT3_T4_T5_mT6_P12ihipStream_tbENKUlT_T0_E_clISt17integral_constantIbLb1EESU_EEDaSP_SQ_EUlSP_E0_NS1_11comp_targetILNS1_3genE3ELNS1_11target_archE908ELNS1_3gpuE7ELNS1_3repE0EEENS1_30default_config_static_selectorELNS0_4arch9wavefront6targetE1EEEvT1_: ; @_ZN7rocprim17ROCPRIM_400000_NS6detail17trampoline_kernelINS0_14default_configENS1_20scan_config_selectorIsEEZZNS1_9scan_implILNS1_25lookback_scan_determinismE0ELb0ELb1ES3_N6thrust23THRUST_200600_302600_NS6detail15normal_iteratorINS9_10device_ptrIsEEEESE_sNS9_10multipliesIsEEsEEDaPvRmT3_T4_T5_mT6_P12ihipStream_tbENKUlT_T0_E_clISt17integral_constantIbLb1EESU_EEDaSP_SQ_EUlSP_E0_NS1_11comp_targetILNS1_3genE3ELNS1_11target_archE908ELNS1_3gpuE7ELNS1_3repE0EEENS1_30default_config_static_selectorELNS0_4arch9wavefront6targetE1EEEvT1_
; %bb.0:
	.section	.rodata,"a",@progbits
	.p2align	6, 0x0
	.amdhsa_kernel _ZN7rocprim17ROCPRIM_400000_NS6detail17trampoline_kernelINS0_14default_configENS1_20scan_config_selectorIsEEZZNS1_9scan_implILNS1_25lookback_scan_determinismE0ELb0ELb1ES3_N6thrust23THRUST_200600_302600_NS6detail15normal_iteratorINS9_10device_ptrIsEEEESE_sNS9_10multipliesIsEEsEEDaPvRmT3_T4_T5_mT6_P12ihipStream_tbENKUlT_T0_E_clISt17integral_constantIbLb1EESU_EEDaSP_SQ_EUlSP_E0_NS1_11comp_targetILNS1_3genE3ELNS1_11target_archE908ELNS1_3gpuE7ELNS1_3repE0EEENS1_30default_config_static_selectorELNS0_4arch9wavefront6targetE1EEEvT1_
		.amdhsa_group_segment_fixed_size 0
		.amdhsa_private_segment_fixed_size 0
		.amdhsa_kernarg_size 32
		.amdhsa_user_sgpr_count 6
		.amdhsa_user_sgpr_private_segment_buffer 1
		.amdhsa_user_sgpr_dispatch_ptr 0
		.amdhsa_user_sgpr_queue_ptr 0
		.amdhsa_user_sgpr_kernarg_segment_ptr 1
		.amdhsa_user_sgpr_dispatch_id 0
		.amdhsa_user_sgpr_flat_scratch_init 0
		.amdhsa_user_sgpr_kernarg_preload_length 0
		.amdhsa_user_sgpr_kernarg_preload_offset 0
		.amdhsa_user_sgpr_private_segment_size 0
		.amdhsa_uses_dynamic_stack 0
		.amdhsa_system_sgpr_private_segment_wavefront_offset 0
		.amdhsa_system_sgpr_workgroup_id_x 1
		.amdhsa_system_sgpr_workgroup_id_y 0
		.amdhsa_system_sgpr_workgroup_id_z 0
		.amdhsa_system_sgpr_workgroup_info 0
		.amdhsa_system_vgpr_workitem_id 0
		.amdhsa_next_free_vgpr 1
		.amdhsa_next_free_sgpr 0
		.amdhsa_accum_offset 4
		.amdhsa_reserve_vcc 0
		.amdhsa_reserve_flat_scratch 0
		.amdhsa_float_round_mode_32 0
		.amdhsa_float_round_mode_16_64 0
		.amdhsa_float_denorm_mode_32 3
		.amdhsa_float_denorm_mode_16_64 3
		.amdhsa_dx10_clamp 1
		.amdhsa_ieee_mode 1
		.amdhsa_fp16_overflow 0
		.amdhsa_tg_split 0
		.amdhsa_exception_fp_ieee_invalid_op 0
		.amdhsa_exception_fp_denorm_src 0
		.amdhsa_exception_fp_ieee_div_zero 0
		.amdhsa_exception_fp_ieee_overflow 0
		.amdhsa_exception_fp_ieee_underflow 0
		.amdhsa_exception_fp_ieee_inexact 0
		.amdhsa_exception_int_div_zero 0
	.end_amdhsa_kernel
	.section	.text._ZN7rocprim17ROCPRIM_400000_NS6detail17trampoline_kernelINS0_14default_configENS1_20scan_config_selectorIsEEZZNS1_9scan_implILNS1_25lookback_scan_determinismE0ELb0ELb1ES3_N6thrust23THRUST_200600_302600_NS6detail15normal_iteratorINS9_10device_ptrIsEEEESE_sNS9_10multipliesIsEEsEEDaPvRmT3_T4_T5_mT6_P12ihipStream_tbENKUlT_T0_E_clISt17integral_constantIbLb1EESU_EEDaSP_SQ_EUlSP_E0_NS1_11comp_targetILNS1_3genE3ELNS1_11target_archE908ELNS1_3gpuE7ELNS1_3repE0EEENS1_30default_config_static_selectorELNS0_4arch9wavefront6targetE1EEEvT1_,"axG",@progbits,_ZN7rocprim17ROCPRIM_400000_NS6detail17trampoline_kernelINS0_14default_configENS1_20scan_config_selectorIsEEZZNS1_9scan_implILNS1_25lookback_scan_determinismE0ELb0ELb1ES3_N6thrust23THRUST_200600_302600_NS6detail15normal_iteratorINS9_10device_ptrIsEEEESE_sNS9_10multipliesIsEEsEEDaPvRmT3_T4_T5_mT6_P12ihipStream_tbENKUlT_T0_E_clISt17integral_constantIbLb1EESU_EEDaSP_SQ_EUlSP_E0_NS1_11comp_targetILNS1_3genE3ELNS1_11target_archE908ELNS1_3gpuE7ELNS1_3repE0EEENS1_30default_config_static_selectorELNS0_4arch9wavefront6targetE1EEEvT1_,comdat
.Lfunc_end1153:
	.size	_ZN7rocprim17ROCPRIM_400000_NS6detail17trampoline_kernelINS0_14default_configENS1_20scan_config_selectorIsEEZZNS1_9scan_implILNS1_25lookback_scan_determinismE0ELb0ELb1ES3_N6thrust23THRUST_200600_302600_NS6detail15normal_iteratorINS9_10device_ptrIsEEEESE_sNS9_10multipliesIsEEsEEDaPvRmT3_T4_T5_mT6_P12ihipStream_tbENKUlT_T0_E_clISt17integral_constantIbLb1EESU_EEDaSP_SQ_EUlSP_E0_NS1_11comp_targetILNS1_3genE3ELNS1_11target_archE908ELNS1_3gpuE7ELNS1_3repE0EEENS1_30default_config_static_selectorELNS0_4arch9wavefront6targetE1EEEvT1_, .Lfunc_end1153-_ZN7rocprim17ROCPRIM_400000_NS6detail17trampoline_kernelINS0_14default_configENS1_20scan_config_selectorIsEEZZNS1_9scan_implILNS1_25lookback_scan_determinismE0ELb0ELb1ES3_N6thrust23THRUST_200600_302600_NS6detail15normal_iteratorINS9_10device_ptrIsEEEESE_sNS9_10multipliesIsEEsEEDaPvRmT3_T4_T5_mT6_P12ihipStream_tbENKUlT_T0_E_clISt17integral_constantIbLb1EESU_EEDaSP_SQ_EUlSP_E0_NS1_11comp_targetILNS1_3genE3ELNS1_11target_archE908ELNS1_3gpuE7ELNS1_3repE0EEENS1_30default_config_static_selectorELNS0_4arch9wavefront6targetE1EEEvT1_
                                        ; -- End function
	.section	.AMDGPU.csdata,"",@progbits
; Kernel info:
; codeLenInByte = 0
; NumSgprs: 4
; NumVgprs: 0
; NumAgprs: 0
; TotalNumVgprs: 0
; ScratchSize: 0
; MemoryBound: 0
; FloatMode: 240
; IeeeMode: 1
; LDSByteSize: 0 bytes/workgroup (compile time only)
; SGPRBlocks: 0
; VGPRBlocks: 0
; NumSGPRsForWavesPerEU: 4
; NumVGPRsForWavesPerEU: 1
; AccumOffset: 4
; Occupancy: 8
; WaveLimiterHint : 0
; COMPUTE_PGM_RSRC2:SCRATCH_EN: 0
; COMPUTE_PGM_RSRC2:USER_SGPR: 6
; COMPUTE_PGM_RSRC2:TRAP_HANDLER: 0
; COMPUTE_PGM_RSRC2:TGID_X_EN: 1
; COMPUTE_PGM_RSRC2:TGID_Y_EN: 0
; COMPUTE_PGM_RSRC2:TGID_Z_EN: 0
; COMPUTE_PGM_RSRC2:TIDIG_COMP_CNT: 0
; COMPUTE_PGM_RSRC3_GFX90A:ACCUM_OFFSET: 0
; COMPUTE_PGM_RSRC3_GFX90A:TG_SPLIT: 0
	.section	.text._ZN7rocprim17ROCPRIM_400000_NS6detail17trampoline_kernelINS0_14default_configENS1_20scan_config_selectorIsEEZZNS1_9scan_implILNS1_25lookback_scan_determinismE0ELb0ELb1ES3_N6thrust23THRUST_200600_302600_NS6detail15normal_iteratorINS9_10device_ptrIsEEEESE_sNS9_10multipliesIsEEsEEDaPvRmT3_T4_T5_mT6_P12ihipStream_tbENKUlT_T0_E_clISt17integral_constantIbLb1EESU_EEDaSP_SQ_EUlSP_E0_NS1_11comp_targetILNS1_3genE2ELNS1_11target_archE906ELNS1_3gpuE6ELNS1_3repE0EEENS1_30default_config_static_selectorELNS0_4arch9wavefront6targetE1EEEvT1_,"axG",@progbits,_ZN7rocprim17ROCPRIM_400000_NS6detail17trampoline_kernelINS0_14default_configENS1_20scan_config_selectorIsEEZZNS1_9scan_implILNS1_25lookback_scan_determinismE0ELb0ELb1ES3_N6thrust23THRUST_200600_302600_NS6detail15normal_iteratorINS9_10device_ptrIsEEEESE_sNS9_10multipliesIsEEsEEDaPvRmT3_T4_T5_mT6_P12ihipStream_tbENKUlT_T0_E_clISt17integral_constantIbLb1EESU_EEDaSP_SQ_EUlSP_E0_NS1_11comp_targetILNS1_3genE2ELNS1_11target_archE906ELNS1_3gpuE6ELNS1_3repE0EEENS1_30default_config_static_selectorELNS0_4arch9wavefront6targetE1EEEvT1_,comdat
	.protected	_ZN7rocprim17ROCPRIM_400000_NS6detail17trampoline_kernelINS0_14default_configENS1_20scan_config_selectorIsEEZZNS1_9scan_implILNS1_25lookback_scan_determinismE0ELb0ELb1ES3_N6thrust23THRUST_200600_302600_NS6detail15normal_iteratorINS9_10device_ptrIsEEEESE_sNS9_10multipliesIsEEsEEDaPvRmT3_T4_T5_mT6_P12ihipStream_tbENKUlT_T0_E_clISt17integral_constantIbLb1EESU_EEDaSP_SQ_EUlSP_E0_NS1_11comp_targetILNS1_3genE2ELNS1_11target_archE906ELNS1_3gpuE6ELNS1_3repE0EEENS1_30default_config_static_selectorELNS0_4arch9wavefront6targetE1EEEvT1_ ; -- Begin function _ZN7rocprim17ROCPRIM_400000_NS6detail17trampoline_kernelINS0_14default_configENS1_20scan_config_selectorIsEEZZNS1_9scan_implILNS1_25lookback_scan_determinismE0ELb0ELb1ES3_N6thrust23THRUST_200600_302600_NS6detail15normal_iteratorINS9_10device_ptrIsEEEESE_sNS9_10multipliesIsEEsEEDaPvRmT3_T4_T5_mT6_P12ihipStream_tbENKUlT_T0_E_clISt17integral_constantIbLb1EESU_EEDaSP_SQ_EUlSP_E0_NS1_11comp_targetILNS1_3genE2ELNS1_11target_archE906ELNS1_3gpuE6ELNS1_3repE0EEENS1_30default_config_static_selectorELNS0_4arch9wavefront6targetE1EEEvT1_
	.globl	_ZN7rocprim17ROCPRIM_400000_NS6detail17trampoline_kernelINS0_14default_configENS1_20scan_config_selectorIsEEZZNS1_9scan_implILNS1_25lookback_scan_determinismE0ELb0ELb1ES3_N6thrust23THRUST_200600_302600_NS6detail15normal_iteratorINS9_10device_ptrIsEEEESE_sNS9_10multipliesIsEEsEEDaPvRmT3_T4_T5_mT6_P12ihipStream_tbENKUlT_T0_E_clISt17integral_constantIbLb1EESU_EEDaSP_SQ_EUlSP_E0_NS1_11comp_targetILNS1_3genE2ELNS1_11target_archE906ELNS1_3gpuE6ELNS1_3repE0EEENS1_30default_config_static_selectorELNS0_4arch9wavefront6targetE1EEEvT1_
	.p2align	8
	.type	_ZN7rocprim17ROCPRIM_400000_NS6detail17trampoline_kernelINS0_14default_configENS1_20scan_config_selectorIsEEZZNS1_9scan_implILNS1_25lookback_scan_determinismE0ELb0ELb1ES3_N6thrust23THRUST_200600_302600_NS6detail15normal_iteratorINS9_10device_ptrIsEEEESE_sNS9_10multipliesIsEEsEEDaPvRmT3_T4_T5_mT6_P12ihipStream_tbENKUlT_T0_E_clISt17integral_constantIbLb1EESU_EEDaSP_SQ_EUlSP_E0_NS1_11comp_targetILNS1_3genE2ELNS1_11target_archE906ELNS1_3gpuE6ELNS1_3repE0EEENS1_30default_config_static_selectorELNS0_4arch9wavefront6targetE1EEEvT1_,@function
_ZN7rocprim17ROCPRIM_400000_NS6detail17trampoline_kernelINS0_14default_configENS1_20scan_config_selectorIsEEZZNS1_9scan_implILNS1_25lookback_scan_determinismE0ELb0ELb1ES3_N6thrust23THRUST_200600_302600_NS6detail15normal_iteratorINS9_10device_ptrIsEEEESE_sNS9_10multipliesIsEEsEEDaPvRmT3_T4_T5_mT6_P12ihipStream_tbENKUlT_T0_E_clISt17integral_constantIbLb1EESU_EEDaSP_SQ_EUlSP_E0_NS1_11comp_targetILNS1_3genE2ELNS1_11target_archE906ELNS1_3gpuE6ELNS1_3repE0EEENS1_30default_config_static_selectorELNS0_4arch9wavefront6targetE1EEEvT1_: ; @_ZN7rocprim17ROCPRIM_400000_NS6detail17trampoline_kernelINS0_14default_configENS1_20scan_config_selectorIsEEZZNS1_9scan_implILNS1_25lookback_scan_determinismE0ELb0ELb1ES3_N6thrust23THRUST_200600_302600_NS6detail15normal_iteratorINS9_10device_ptrIsEEEESE_sNS9_10multipliesIsEEsEEDaPvRmT3_T4_T5_mT6_P12ihipStream_tbENKUlT_T0_E_clISt17integral_constantIbLb1EESU_EEDaSP_SQ_EUlSP_E0_NS1_11comp_targetILNS1_3genE2ELNS1_11target_archE906ELNS1_3gpuE6ELNS1_3repE0EEENS1_30default_config_static_selectorELNS0_4arch9wavefront6targetE1EEEvT1_
; %bb.0:
	.section	.rodata,"a",@progbits
	.p2align	6, 0x0
	.amdhsa_kernel _ZN7rocprim17ROCPRIM_400000_NS6detail17trampoline_kernelINS0_14default_configENS1_20scan_config_selectorIsEEZZNS1_9scan_implILNS1_25lookback_scan_determinismE0ELb0ELb1ES3_N6thrust23THRUST_200600_302600_NS6detail15normal_iteratorINS9_10device_ptrIsEEEESE_sNS9_10multipliesIsEEsEEDaPvRmT3_T4_T5_mT6_P12ihipStream_tbENKUlT_T0_E_clISt17integral_constantIbLb1EESU_EEDaSP_SQ_EUlSP_E0_NS1_11comp_targetILNS1_3genE2ELNS1_11target_archE906ELNS1_3gpuE6ELNS1_3repE0EEENS1_30default_config_static_selectorELNS0_4arch9wavefront6targetE1EEEvT1_
		.amdhsa_group_segment_fixed_size 0
		.amdhsa_private_segment_fixed_size 0
		.amdhsa_kernarg_size 32
		.amdhsa_user_sgpr_count 6
		.amdhsa_user_sgpr_private_segment_buffer 1
		.amdhsa_user_sgpr_dispatch_ptr 0
		.amdhsa_user_sgpr_queue_ptr 0
		.amdhsa_user_sgpr_kernarg_segment_ptr 1
		.amdhsa_user_sgpr_dispatch_id 0
		.amdhsa_user_sgpr_flat_scratch_init 0
		.amdhsa_user_sgpr_kernarg_preload_length 0
		.amdhsa_user_sgpr_kernarg_preload_offset 0
		.amdhsa_user_sgpr_private_segment_size 0
		.amdhsa_uses_dynamic_stack 0
		.amdhsa_system_sgpr_private_segment_wavefront_offset 0
		.amdhsa_system_sgpr_workgroup_id_x 1
		.amdhsa_system_sgpr_workgroup_id_y 0
		.amdhsa_system_sgpr_workgroup_id_z 0
		.amdhsa_system_sgpr_workgroup_info 0
		.amdhsa_system_vgpr_workitem_id 0
		.amdhsa_next_free_vgpr 1
		.amdhsa_next_free_sgpr 0
		.amdhsa_accum_offset 4
		.amdhsa_reserve_vcc 0
		.amdhsa_reserve_flat_scratch 0
		.amdhsa_float_round_mode_32 0
		.amdhsa_float_round_mode_16_64 0
		.amdhsa_float_denorm_mode_32 3
		.amdhsa_float_denorm_mode_16_64 3
		.amdhsa_dx10_clamp 1
		.amdhsa_ieee_mode 1
		.amdhsa_fp16_overflow 0
		.amdhsa_tg_split 0
		.amdhsa_exception_fp_ieee_invalid_op 0
		.amdhsa_exception_fp_denorm_src 0
		.amdhsa_exception_fp_ieee_div_zero 0
		.amdhsa_exception_fp_ieee_overflow 0
		.amdhsa_exception_fp_ieee_underflow 0
		.amdhsa_exception_fp_ieee_inexact 0
		.amdhsa_exception_int_div_zero 0
	.end_amdhsa_kernel
	.section	.text._ZN7rocprim17ROCPRIM_400000_NS6detail17trampoline_kernelINS0_14default_configENS1_20scan_config_selectorIsEEZZNS1_9scan_implILNS1_25lookback_scan_determinismE0ELb0ELb1ES3_N6thrust23THRUST_200600_302600_NS6detail15normal_iteratorINS9_10device_ptrIsEEEESE_sNS9_10multipliesIsEEsEEDaPvRmT3_T4_T5_mT6_P12ihipStream_tbENKUlT_T0_E_clISt17integral_constantIbLb1EESU_EEDaSP_SQ_EUlSP_E0_NS1_11comp_targetILNS1_3genE2ELNS1_11target_archE906ELNS1_3gpuE6ELNS1_3repE0EEENS1_30default_config_static_selectorELNS0_4arch9wavefront6targetE1EEEvT1_,"axG",@progbits,_ZN7rocprim17ROCPRIM_400000_NS6detail17trampoline_kernelINS0_14default_configENS1_20scan_config_selectorIsEEZZNS1_9scan_implILNS1_25lookback_scan_determinismE0ELb0ELb1ES3_N6thrust23THRUST_200600_302600_NS6detail15normal_iteratorINS9_10device_ptrIsEEEESE_sNS9_10multipliesIsEEsEEDaPvRmT3_T4_T5_mT6_P12ihipStream_tbENKUlT_T0_E_clISt17integral_constantIbLb1EESU_EEDaSP_SQ_EUlSP_E0_NS1_11comp_targetILNS1_3genE2ELNS1_11target_archE906ELNS1_3gpuE6ELNS1_3repE0EEENS1_30default_config_static_selectorELNS0_4arch9wavefront6targetE1EEEvT1_,comdat
.Lfunc_end1154:
	.size	_ZN7rocprim17ROCPRIM_400000_NS6detail17trampoline_kernelINS0_14default_configENS1_20scan_config_selectorIsEEZZNS1_9scan_implILNS1_25lookback_scan_determinismE0ELb0ELb1ES3_N6thrust23THRUST_200600_302600_NS6detail15normal_iteratorINS9_10device_ptrIsEEEESE_sNS9_10multipliesIsEEsEEDaPvRmT3_T4_T5_mT6_P12ihipStream_tbENKUlT_T0_E_clISt17integral_constantIbLb1EESU_EEDaSP_SQ_EUlSP_E0_NS1_11comp_targetILNS1_3genE2ELNS1_11target_archE906ELNS1_3gpuE6ELNS1_3repE0EEENS1_30default_config_static_selectorELNS0_4arch9wavefront6targetE1EEEvT1_, .Lfunc_end1154-_ZN7rocprim17ROCPRIM_400000_NS6detail17trampoline_kernelINS0_14default_configENS1_20scan_config_selectorIsEEZZNS1_9scan_implILNS1_25lookback_scan_determinismE0ELb0ELb1ES3_N6thrust23THRUST_200600_302600_NS6detail15normal_iteratorINS9_10device_ptrIsEEEESE_sNS9_10multipliesIsEEsEEDaPvRmT3_T4_T5_mT6_P12ihipStream_tbENKUlT_T0_E_clISt17integral_constantIbLb1EESU_EEDaSP_SQ_EUlSP_E0_NS1_11comp_targetILNS1_3genE2ELNS1_11target_archE906ELNS1_3gpuE6ELNS1_3repE0EEENS1_30default_config_static_selectorELNS0_4arch9wavefront6targetE1EEEvT1_
                                        ; -- End function
	.section	.AMDGPU.csdata,"",@progbits
; Kernel info:
; codeLenInByte = 0
; NumSgprs: 4
; NumVgprs: 0
; NumAgprs: 0
; TotalNumVgprs: 0
; ScratchSize: 0
; MemoryBound: 0
; FloatMode: 240
; IeeeMode: 1
; LDSByteSize: 0 bytes/workgroup (compile time only)
; SGPRBlocks: 0
; VGPRBlocks: 0
; NumSGPRsForWavesPerEU: 4
; NumVGPRsForWavesPerEU: 1
; AccumOffset: 4
; Occupancy: 8
; WaveLimiterHint : 0
; COMPUTE_PGM_RSRC2:SCRATCH_EN: 0
; COMPUTE_PGM_RSRC2:USER_SGPR: 6
; COMPUTE_PGM_RSRC2:TRAP_HANDLER: 0
; COMPUTE_PGM_RSRC2:TGID_X_EN: 1
; COMPUTE_PGM_RSRC2:TGID_Y_EN: 0
; COMPUTE_PGM_RSRC2:TGID_Z_EN: 0
; COMPUTE_PGM_RSRC2:TIDIG_COMP_CNT: 0
; COMPUTE_PGM_RSRC3_GFX90A:ACCUM_OFFSET: 0
; COMPUTE_PGM_RSRC3_GFX90A:TG_SPLIT: 0
	.section	.text._ZN7rocprim17ROCPRIM_400000_NS6detail17trampoline_kernelINS0_14default_configENS1_20scan_config_selectorIsEEZZNS1_9scan_implILNS1_25lookback_scan_determinismE0ELb0ELb1ES3_N6thrust23THRUST_200600_302600_NS6detail15normal_iteratorINS9_10device_ptrIsEEEESE_sNS9_10multipliesIsEEsEEDaPvRmT3_T4_T5_mT6_P12ihipStream_tbENKUlT_T0_E_clISt17integral_constantIbLb1EESU_EEDaSP_SQ_EUlSP_E0_NS1_11comp_targetILNS1_3genE10ELNS1_11target_archE1201ELNS1_3gpuE5ELNS1_3repE0EEENS1_30default_config_static_selectorELNS0_4arch9wavefront6targetE1EEEvT1_,"axG",@progbits,_ZN7rocprim17ROCPRIM_400000_NS6detail17trampoline_kernelINS0_14default_configENS1_20scan_config_selectorIsEEZZNS1_9scan_implILNS1_25lookback_scan_determinismE0ELb0ELb1ES3_N6thrust23THRUST_200600_302600_NS6detail15normal_iteratorINS9_10device_ptrIsEEEESE_sNS9_10multipliesIsEEsEEDaPvRmT3_T4_T5_mT6_P12ihipStream_tbENKUlT_T0_E_clISt17integral_constantIbLb1EESU_EEDaSP_SQ_EUlSP_E0_NS1_11comp_targetILNS1_3genE10ELNS1_11target_archE1201ELNS1_3gpuE5ELNS1_3repE0EEENS1_30default_config_static_selectorELNS0_4arch9wavefront6targetE1EEEvT1_,comdat
	.protected	_ZN7rocprim17ROCPRIM_400000_NS6detail17trampoline_kernelINS0_14default_configENS1_20scan_config_selectorIsEEZZNS1_9scan_implILNS1_25lookback_scan_determinismE0ELb0ELb1ES3_N6thrust23THRUST_200600_302600_NS6detail15normal_iteratorINS9_10device_ptrIsEEEESE_sNS9_10multipliesIsEEsEEDaPvRmT3_T4_T5_mT6_P12ihipStream_tbENKUlT_T0_E_clISt17integral_constantIbLb1EESU_EEDaSP_SQ_EUlSP_E0_NS1_11comp_targetILNS1_3genE10ELNS1_11target_archE1201ELNS1_3gpuE5ELNS1_3repE0EEENS1_30default_config_static_selectorELNS0_4arch9wavefront6targetE1EEEvT1_ ; -- Begin function _ZN7rocprim17ROCPRIM_400000_NS6detail17trampoline_kernelINS0_14default_configENS1_20scan_config_selectorIsEEZZNS1_9scan_implILNS1_25lookback_scan_determinismE0ELb0ELb1ES3_N6thrust23THRUST_200600_302600_NS6detail15normal_iteratorINS9_10device_ptrIsEEEESE_sNS9_10multipliesIsEEsEEDaPvRmT3_T4_T5_mT6_P12ihipStream_tbENKUlT_T0_E_clISt17integral_constantIbLb1EESU_EEDaSP_SQ_EUlSP_E0_NS1_11comp_targetILNS1_3genE10ELNS1_11target_archE1201ELNS1_3gpuE5ELNS1_3repE0EEENS1_30default_config_static_selectorELNS0_4arch9wavefront6targetE1EEEvT1_
	.globl	_ZN7rocprim17ROCPRIM_400000_NS6detail17trampoline_kernelINS0_14default_configENS1_20scan_config_selectorIsEEZZNS1_9scan_implILNS1_25lookback_scan_determinismE0ELb0ELb1ES3_N6thrust23THRUST_200600_302600_NS6detail15normal_iteratorINS9_10device_ptrIsEEEESE_sNS9_10multipliesIsEEsEEDaPvRmT3_T4_T5_mT6_P12ihipStream_tbENKUlT_T0_E_clISt17integral_constantIbLb1EESU_EEDaSP_SQ_EUlSP_E0_NS1_11comp_targetILNS1_3genE10ELNS1_11target_archE1201ELNS1_3gpuE5ELNS1_3repE0EEENS1_30default_config_static_selectorELNS0_4arch9wavefront6targetE1EEEvT1_
	.p2align	8
	.type	_ZN7rocprim17ROCPRIM_400000_NS6detail17trampoline_kernelINS0_14default_configENS1_20scan_config_selectorIsEEZZNS1_9scan_implILNS1_25lookback_scan_determinismE0ELb0ELb1ES3_N6thrust23THRUST_200600_302600_NS6detail15normal_iteratorINS9_10device_ptrIsEEEESE_sNS9_10multipliesIsEEsEEDaPvRmT3_T4_T5_mT6_P12ihipStream_tbENKUlT_T0_E_clISt17integral_constantIbLb1EESU_EEDaSP_SQ_EUlSP_E0_NS1_11comp_targetILNS1_3genE10ELNS1_11target_archE1201ELNS1_3gpuE5ELNS1_3repE0EEENS1_30default_config_static_selectorELNS0_4arch9wavefront6targetE1EEEvT1_,@function
_ZN7rocprim17ROCPRIM_400000_NS6detail17trampoline_kernelINS0_14default_configENS1_20scan_config_selectorIsEEZZNS1_9scan_implILNS1_25lookback_scan_determinismE0ELb0ELb1ES3_N6thrust23THRUST_200600_302600_NS6detail15normal_iteratorINS9_10device_ptrIsEEEESE_sNS9_10multipliesIsEEsEEDaPvRmT3_T4_T5_mT6_P12ihipStream_tbENKUlT_T0_E_clISt17integral_constantIbLb1EESU_EEDaSP_SQ_EUlSP_E0_NS1_11comp_targetILNS1_3genE10ELNS1_11target_archE1201ELNS1_3gpuE5ELNS1_3repE0EEENS1_30default_config_static_selectorELNS0_4arch9wavefront6targetE1EEEvT1_: ; @_ZN7rocprim17ROCPRIM_400000_NS6detail17trampoline_kernelINS0_14default_configENS1_20scan_config_selectorIsEEZZNS1_9scan_implILNS1_25lookback_scan_determinismE0ELb0ELb1ES3_N6thrust23THRUST_200600_302600_NS6detail15normal_iteratorINS9_10device_ptrIsEEEESE_sNS9_10multipliesIsEEsEEDaPvRmT3_T4_T5_mT6_P12ihipStream_tbENKUlT_T0_E_clISt17integral_constantIbLb1EESU_EEDaSP_SQ_EUlSP_E0_NS1_11comp_targetILNS1_3genE10ELNS1_11target_archE1201ELNS1_3gpuE5ELNS1_3repE0EEENS1_30default_config_static_selectorELNS0_4arch9wavefront6targetE1EEEvT1_
; %bb.0:
	.section	.rodata,"a",@progbits
	.p2align	6, 0x0
	.amdhsa_kernel _ZN7rocprim17ROCPRIM_400000_NS6detail17trampoline_kernelINS0_14default_configENS1_20scan_config_selectorIsEEZZNS1_9scan_implILNS1_25lookback_scan_determinismE0ELb0ELb1ES3_N6thrust23THRUST_200600_302600_NS6detail15normal_iteratorINS9_10device_ptrIsEEEESE_sNS9_10multipliesIsEEsEEDaPvRmT3_T4_T5_mT6_P12ihipStream_tbENKUlT_T0_E_clISt17integral_constantIbLb1EESU_EEDaSP_SQ_EUlSP_E0_NS1_11comp_targetILNS1_3genE10ELNS1_11target_archE1201ELNS1_3gpuE5ELNS1_3repE0EEENS1_30default_config_static_selectorELNS0_4arch9wavefront6targetE1EEEvT1_
		.amdhsa_group_segment_fixed_size 0
		.amdhsa_private_segment_fixed_size 0
		.amdhsa_kernarg_size 32
		.amdhsa_user_sgpr_count 6
		.amdhsa_user_sgpr_private_segment_buffer 1
		.amdhsa_user_sgpr_dispatch_ptr 0
		.amdhsa_user_sgpr_queue_ptr 0
		.amdhsa_user_sgpr_kernarg_segment_ptr 1
		.amdhsa_user_sgpr_dispatch_id 0
		.amdhsa_user_sgpr_flat_scratch_init 0
		.amdhsa_user_sgpr_kernarg_preload_length 0
		.amdhsa_user_sgpr_kernarg_preload_offset 0
		.amdhsa_user_sgpr_private_segment_size 0
		.amdhsa_uses_dynamic_stack 0
		.amdhsa_system_sgpr_private_segment_wavefront_offset 0
		.amdhsa_system_sgpr_workgroup_id_x 1
		.amdhsa_system_sgpr_workgroup_id_y 0
		.amdhsa_system_sgpr_workgroup_id_z 0
		.amdhsa_system_sgpr_workgroup_info 0
		.amdhsa_system_vgpr_workitem_id 0
		.amdhsa_next_free_vgpr 1
		.amdhsa_next_free_sgpr 0
		.amdhsa_accum_offset 4
		.amdhsa_reserve_vcc 0
		.amdhsa_reserve_flat_scratch 0
		.amdhsa_float_round_mode_32 0
		.amdhsa_float_round_mode_16_64 0
		.amdhsa_float_denorm_mode_32 3
		.amdhsa_float_denorm_mode_16_64 3
		.amdhsa_dx10_clamp 1
		.amdhsa_ieee_mode 1
		.amdhsa_fp16_overflow 0
		.amdhsa_tg_split 0
		.amdhsa_exception_fp_ieee_invalid_op 0
		.amdhsa_exception_fp_denorm_src 0
		.amdhsa_exception_fp_ieee_div_zero 0
		.amdhsa_exception_fp_ieee_overflow 0
		.amdhsa_exception_fp_ieee_underflow 0
		.amdhsa_exception_fp_ieee_inexact 0
		.amdhsa_exception_int_div_zero 0
	.end_amdhsa_kernel
	.section	.text._ZN7rocprim17ROCPRIM_400000_NS6detail17trampoline_kernelINS0_14default_configENS1_20scan_config_selectorIsEEZZNS1_9scan_implILNS1_25lookback_scan_determinismE0ELb0ELb1ES3_N6thrust23THRUST_200600_302600_NS6detail15normal_iteratorINS9_10device_ptrIsEEEESE_sNS9_10multipliesIsEEsEEDaPvRmT3_T4_T5_mT6_P12ihipStream_tbENKUlT_T0_E_clISt17integral_constantIbLb1EESU_EEDaSP_SQ_EUlSP_E0_NS1_11comp_targetILNS1_3genE10ELNS1_11target_archE1201ELNS1_3gpuE5ELNS1_3repE0EEENS1_30default_config_static_selectorELNS0_4arch9wavefront6targetE1EEEvT1_,"axG",@progbits,_ZN7rocprim17ROCPRIM_400000_NS6detail17trampoline_kernelINS0_14default_configENS1_20scan_config_selectorIsEEZZNS1_9scan_implILNS1_25lookback_scan_determinismE0ELb0ELb1ES3_N6thrust23THRUST_200600_302600_NS6detail15normal_iteratorINS9_10device_ptrIsEEEESE_sNS9_10multipliesIsEEsEEDaPvRmT3_T4_T5_mT6_P12ihipStream_tbENKUlT_T0_E_clISt17integral_constantIbLb1EESU_EEDaSP_SQ_EUlSP_E0_NS1_11comp_targetILNS1_3genE10ELNS1_11target_archE1201ELNS1_3gpuE5ELNS1_3repE0EEENS1_30default_config_static_selectorELNS0_4arch9wavefront6targetE1EEEvT1_,comdat
.Lfunc_end1155:
	.size	_ZN7rocprim17ROCPRIM_400000_NS6detail17trampoline_kernelINS0_14default_configENS1_20scan_config_selectorIsEEZZNS1_9scan_implILNS1_25lookback_scan_determinismE0ELb0ELb1ES3_N6thrust23THRUST_200600_302600_NS6detail15normal_iteratorINS9_10device_ptrIsEEEESE_sNS9_10multipliesIsEEsEEDaPvRmT3_T4_T5_mT6_P12ihipStream_tbENKUlT_T0_E_clISt17integral_constantIbLb1EESU_EEDaSP_SQ_EUlSP_E0_NS1_11comp_targetILNS1_3genE10ELNS1_11target_archE1201ELNS1_3gpuE5ELNS1_3repE0EEENS1_30default_config_static_selectorELNS0_4arch9wavefront6targetE1EEEvT1_, .Lfunc_end1155-_ZN7rocprim17ROCPRIM_400000_NS6detail17trampoline_kernelINS0_14default_configENS1_20scan_config_selectorIsEEZZNS1_9scan_implILNS1_25lookback_scan_determinismE0ELb0ELb1ES3_N6thrust23THRUST_200600_302600_NS6detail15normal_iteratorINS9_10device_ptrIsEEEESE_sNS9_10multipliesIsEEsEEDaPvRmT3_T4_T5_mT6_P12ihipStream_tbENKUlT_T0_E_clISt17integral_constantIbLb1EESU_EEDaSP_SQ_EUlSP_E0_NS1_11comp_targetILNS1_3genE10ELNS1_11target_archE1201ELNS1_3gpuE5ELNS1_3repE0EEENS1_30default_config_static_selectorELNS0_4arch9wavefront6targetE1EEEvT1_
                                        ; -- End function
	.section	.AMDGPU.csdata,"",@progbits
; Kernel info:
; codeLenInByte = 0
; NumSgprs: 4
; NumVgprs: 0
; NumAgprs: 0
; TotalNumVgprs: 0
; ScratchSize: 0
; MemoryBound: 0
; FloatMode: 240
; IeeeMode: 1
; LDSByteSize: 0 bytes/workgroup (compile time only)
; SGPRBlocks: 0
; VGPRBlocks: 0
; NumSGPRsForWavesPerEU: 4
; NumVGPRsForWavesPerEU: 1
; AccumOffset: 4
; Occupancy: 8
; WaveLimiterHint : 0
; COMPUTE_PGM_RSRC2:SCRATCH_EN: 0
; COMPUTE_PGM_RSRC2:USER_SGPR: 6
; COMPUTE_PGM_RSRC2:TRAP_HANDLER: 0
; COMPUTE_PGM_RSRC2:TGID_X_EN: 1
; COMPUTE_PGM_RSRC2:TGID_Y_EN: 0
; COMPUTE_PGM_RSRC2:TGID_Z_EN: 0
; COMPUTE_PGM_RSRC2:TIDIG_COMP_CNT: 0
; COMPUTE_PGM_RSRC3_GFX90A:ACCUM_OFFSET: 0
; COMPUTE_PGM_RSRC3_GFX90A:TG_SPLIT: 0
	.section	.text._ZN7rocprim17ROCPRIM_400000_NS6detail17trampoline_kernelINS0_14default_configENS1_20scan_config_selectorIsEEZZNS1_9scan_implILNS1_25lookback_scan_determinismE0ELb0ELb1ES3_N6thrust23THRUST_200600_302600_NS6detail15normal_iteratorINS9_10device_ptrIsEEEESE_sNS9_10multipliesIsEEsEEDaPvRmT3_T4_T5_mT6_P12ihipStream_tbENKUlT_T0_E_clISt17integral_constantIbLb1EESU_EEDaSP_SQ_EUlSP_E0_NS1_11comp_targetILNS1_3genE10ELNS1_11target_archE1200ELNS1_3gpuE4ELNS1_3repE0EEENS1_30default_config_static_selectorELNS0_4arch9wavefront6targetE1EEEvT1_,"axG",@progbits,_ZN7rocprim17ROCPRIM_400000_NS6detail17trampoline_kernelINS0_14default_configENS1_20scan_config_selectorIsEEZZNS1_9scan_implILNS1_25lookback_scan_determinismE0ELb0ELb1ES3_N6thrust23THRUST_200600_302600_NS6detail15normal_iteratorINS9_10device_ptrIsEEEESE_sNS9_10multipliesIsEEsEEDaPvRmT3_T4_T5_mT6_P12ihipStream_tbENKUlT_T0_E_clISt17integral_constantIbLb1EESU_EEDaSP_SQ_EUlSP_E0_NS1_11comp_targetILNS1_3genE10ELNS1_11target_archE1200ELNS1_3gpuE4ELNS1_3repE0EEENS1_30default_config_static_selectorELNS0_4arch9wavefront6targetE1EEEvT1_,comdat
	.protected	_ZN7rocprim17ROCPRIM_400000_NS6detail17trampoline_kernelINS0_14default_configENS1_20scan_config_selectorIsEEZZNS1_9scan_implILNS1_25lookback_scan_determinismE0ELb0ELb1ES3_N6thrust23THRUST_200600_302600_NS6detail15normal_iteratorINS9_10device_ptrIsEEEESE_sNS9_10multipliesIsEEsEEDaPvRmT3_T4_T5_mT6_P12ihipStream_tbENKUlT_T0_E_clISt17integral_constantIbLb1EESU_EEDaSP_SQ_EUlSP_E0_NS1_11comp_targetILNS1_3genE10ELNS1_11target_archE1200ELNS1_3gpuE4ELNS1_3repE0EEENS1_30default_config_static_selectorELNS0_4arch9wavefront6targetE1EEEvT1_ ; -- Begin function _ZN7rocprim17ROCPRIM_400000_NS6detail17trampoline_kernelINS0_14default_configENS1_20scan_config_selectorIsEEZZNS1_9scan_implILNS1_25lookback_scan_determinismE0ELb0ELb1ES3_N6thrust23THRUST_200600_302600_NS6detail15normal_iteratorINS9_10device_ptrIsEEEESE_sNS9_10multipliesIsEEsEEDaPvRmT3_T4_T5_mT6_P12ihipStream_tbENKUlT_T0_E_clISt17integral_constantIbLb1EESU_EEDaSP_SQ_EUlSP_E0_NS1_11comp_targetILNS1_3genE10ELNS1_11target_archE1200ELNS1_3gpuE4ELNS1_3repE0EEENS1_30default_config_static_selectorELNS0_4arch9wavefront6targetE1EEEvT1_
	.globl	_ZN7rocprim17ROCPRIM_400000_NS6detail17trampoline_kernelINS0_14default_configENS1_20scan_config_selectorIsEEZZNS1_9scan_implILNS1_25lookback_scan_determinismE0ELb0ELb1ES3_N6thrust23THRUST_200600_302600_NS6detail15normal_iteratorINS9_10device_ptrIsEEEESE_sNS9_10multipliesIsEEsEEDaPvRmT3_T4_T5_mT6_P12ihipStream_tbENKUlT_T0_E_clISt17integral_constantIbLb1EESU_EEDaSP_SQ_EUlSP_E0_NS1_11comp_targetILNS1_3genE10ELNS1_11target_archE1200ELNS1_3gpuE4ELNS1_3repE0EEENS1_30default_config_static_selectorELNS0_4arch9wavefront6targetE1EEEvT1_
	.p2align	8
	.type	_ZN7rocprim17ROCPRIM_400000_NS6detail17trampoline_kernelINS0_14default_configENS1_20scan_config_selectorIsEEZZNS1_9scan_implILNS1_25lookback_scan_determinismE0ELb0ELb1ES3_N6thrust23THRUST_200600_302600_NS6detail15normal_iteratorINS9_10device_ptrIsEEEESE_sNS9_10multipliesIsEEsEEDaPvRmT3_T4_T5_mT6_P12ihipStream_tbENKUlT_T0_E_clISt17integral_constantIbLb1EESU_EEDaSP_SQ_EUlSP_E0_NS1_11comp_targetILNS1_3genE10ELNS1_11target_archE1200ELNS1_3gpuE4ELNS1_3repE0EEENS1_30default_config_static_selectorELNS0_4arch9wavefront6targetE1EEEvT1_,@function
_ZN7rocprim17ROCPRIM_400000_NS6detail17trampoline_kernelINS0_14default_configENS1_20scan_config_selectorIsEEZZNS1_9scan_implILNS1_25lookback_scan_determinismE0ELb0ELb1ES3_N6thrust23THRUST_200600_302600_NS6detail15normal_iteratorINS9_10device_ptrIsEEEESE_sNS9_10multipliesIsEEsEEDaPvRmT3_T4_T5_mT6_P12ihipStream_tbENKUlT_T0_E_clISt17integral_constantIbLb1EESU_EEDaSP_SQ_EUlSP_E0_NS1_11comp_targetILNS1_3genE10ELNS1_11target_archE1200ELNS1_3gpuE4ELNS1_3repE0EEENS1_30default_config_static_selectorELNS0_4arch9wavefront6targetE1EEEvT1_: ; @_ZN7rocprim17ROCPRIM_400000_NS6detail17trampoline_kernelINS0_14default_configENS1_20scan_config_selectorIsEEZZNS1_9scan_implILNS1_25lookback_scan_determinismE0ELb0ELb1ES3_N6thrust23THRUST_200600_302600_NS6detail15normal_iteratorINS9_10device_ptrIsEEEESE_sNS9_10multipliesIsEEsEEDaPvRmT3_T4_T5_mT6_P12ihipStream_tbENKUlT_T0_E_clISt17integral_constantIbLb1EESU_EEDaSP_SQ_EUlSP_E0_NS1_11comp_targetILNS1_3genE10ELNS1_11target_archE1200ELNS1_3gpuE4ELNS1_3repE0EEENS1_30default_config_static_selectorELNS0_4arch9wavefront6targetE1EEEvT1_
; %bb.0:
	.section	.rodata,"a",@progbits
	.p2align	6, 0x0
	.amdhsa_kernel _ZN7rocprim17ROCPRIM_400000_NS6detail17trampoline_kernelINS0_14default_configENS1_20scan_config_selectorIsEEZZNS1_9scan_implILNS1_25lookback_scan_determinismE0ELb0ELb1ES3_N6thrust23THRUST_200600_302600_NS6detail15normal_iteratorINS9_10device_ptrIsEEEESE_sNS9_10multipliesIsEEsEEDaPvRmT3_T4_T5_mT6_P12ihipStream_tbENKUlT_T0_E_clISt17integral_constantIbLb1EESU_EEDaSP_SQ_EUlSP_E0_NS1_11comp_targetILNS1_3genE10ELNS1_11target_archE1200ELNS1_3gpuE4ELNS1_3repE0EEENS1_30default_config_static_selectorELNS0_4arch9wavefront6targetE1EEEvT1_
		.amdhsa_group_segment_fixed_size 0
		.amdhsa_private_segment_fixed_size 0
		.amdhsa_kernarg_size 32
		.amdhsa_user_sgpr_count 6
		.amdhsa_user_sgpr_private_segment_buffer 1
		.amdhsa_user_sgpr_dispatch_ptr 0
		.amdhsa_user_sgpr_queue_ptr 0
		.amdhsa_user_sgpr_kernarg_segment_ptr 1
		.amdhsa_user_sgpr_dispatch_id 0
		.amdhsa_user_sgpr_flat_scratch_init 0
		.amdhsa_user_sgpr_kernarg_preload_length 0
		.amdhsa_user_sgpr_kernarg_preload_offset 0
		.amdhsa_user_sgpr_private_segment_size 0
		.amdhsa_uses_dynamic_stack 0
		.amdhsa_system_sgpr_private_segment_wavefront_offset 0
		.amdhsa_system_sgpr_workgroup_id_x 1
		.amdhsa_system_sgpr_workgroup_id_y 0
		.amdhsa_system_sgpr_workgroup_id_z 0
		.amdhsa_system_sgpr_workgroup_info 0
		.amdhsa_system_vgpr_workitem_id 0
		.amdhsa_next_free_vgpr 1
		.amdhsa_next_free_sgpr 0
		.amdhsa_accum_offset 4
		.amdhsa_reserve_vcc 0
		.amdhsa_reserve_flat_scratch 0
		.amdhsa_float_round_mode_32 0
		.amdhsa_float_round_mode_16_64 0
		.amdhsa_float_denorm_mode_32 3
		.amdhsa_float_denorm_mode_16_64 3
		.amdhsa_dx10_clamp 1
		.amdhsa_ieee_mode 1
		.amdhsa_fp16_overflow 0
		.amdhsa_tg_split 0
		.amdhsa_exception_fp_ieee_invalid_op 0
		.amdhsa_exception_fp_denorm_src 0
		.amdhsa_exception_fp_ieee_div_zero 0
		.amdhsa_exception_fp_ieee_overflow 0
		.amdhsa_exception_fp_ieee_underflow 0
		.amdhsa_exception_fp_ieee_inexact 0
		.amdhsa_exception_int_div_zero 0
	.end_amdhsa_kernel
	.section	.text._ZN7rocprim17ROCPRIM_400000_NS6detail17trampoline_kernelINS0_14default_configENS1_20scan_config_selectorIsEEZZNS1_9scan_implILNS1_25lookback_scan_determinismE0ELb0ELb1ES3_N6thrust23THRUST_200600_302600_NS6detail15normal_iteratorINS9_10device_ptrIsEEEESE_sNS9_10multipliesIsEEsEEDaPvRmT3_T4_T5_mT6_P12ihipStream_tbENKUlT_T0_E_clISt17integral_constantIbLb1EESU_EEDaSP_SQ_EUlSP_E0_NS1_11comp_targetILNS1_3genE10ELNS1_11target_archE1200ELNS1_3gpuE4ELNS1_3repE0EEENS1_30default_config_static_selectorELNS0_4arch9wavefront6targetE1EEEvT1_,"axG",@progbits,_ZN7rocprim17ROCPRIM_400000_NS6detail17trampoline_kernelINS0_14default_configENS1_20scan_config_selectorIsEEZZNS1_9scan_implILNS1_25lookback_scan_determinismE0ELb0ELb1ES3_N6thrust23THRUST_200600_302600_NS6detail15normal_iteratorINS9_10device_ptrIsEEEESE_sNS9_10multipliesIsEEsEEDaPvRmT3_T4_T5_mT6_P12ihipStream_tbENKUlT_T0_E_clISt17integral_constantIbLb1EESU_EEDaSP_SQ_EUlSP_E0_NS1_11comp_targetILNS1_3genE10ELNS1_11target_archE1200ELNS1_3gpuE4ELNS1_3repE0EEENS1_30default_config_static_selectorELNS0_4arch9wavefront6targetE1EEEvT1_,comdat
.Lfunc_end1156:
	.size	_ZN7rocprim17ROCPRIM_400000_NS6detail17trampoline_kernelINS0_14default_configENS1_20scan_config_selectorIsEEZZNS1_9scan_implILNS1_25lookback_scan_determinismE0ELb0ELb1ES3_N6thrust23THRUST_200600_302600_NS6detail15normal_iteratorINS9_10device_ptrIsEEEESE_sNS9_10multipliesIsEEsEEDaPvRmT3_T4_T5_mT6_P12ihipStream_tbENKUlT_T0_E_clISt17integral_constantIbLb1EESU_EEDaSP_SQ_EUlSP_E0_NS1_11comp_targetILNS1_3genE10ELNS1_11target_archE1200ELNS1_3gpuE4ELNS1_3repE0EEENS1_30default_config_static_selectorELNS0_4arch9wavefront6targetE1EEEvT1_, .Lfunc_end1156-_ZN7rocprim17ROCPRIM_400000_NS6detail17trampoline_kernelINS0_14default_configENS1_20scan_config_selectorIsEEZZNS1_9scan_implILNS1_25lookback_scan_determinismE0ELb0ELb1ES3_N6thrust23THRUST_200600_302600_NS6detail15normal_iteratorINS9_10device_ptrIsEEEESE_sNS9_10multipliesIsEEsEEDaPvRmT3_T4_T5_mT6_P12ihipStream_tbENKUlT_T0_E_clISt17integral_constantIbLb1EESU_EEDaSP_SQ_EUlSP_E0_NS1_11comp_targetILNS1_3genE10ELNS1_11target_archE1200ELNS1_3gpuE4ELNS1_3repE0EEENS1_30default_config_static_selectorELNS0_4arch9wavefront6targetE1EEEvT1_
                                        ; -- End function
	.section	.AMDGPU.csdata,"",@progbits
; Kernel info:
; codeLenInByte = 0
; NumSgprs: 4
; NumVgprs: 0
; NumAgprs: 0
; TotalNumVgprs: 0
; ScratchSize: 0
; MemoryBound: 0
; FloatMode: 240
; IeeeMode: 1
; LDSByteSize: 0 bytes/workgroup (compile time only)
; SGPRBlocks: 0
; VGPRBlocks: 0
; NumSGPRsForWavesPerEU: 4
; NumVGPRsForWavesPerEU: 1
; AccumOffset: 4
; Occupancy: 8
; WaveLimiterHint : 0
; COMPUTE_PGM_RSRC2:SCRATCH_EN: 0
; COMPUTE_PGM_RSRC2:USER_SGPR: 6
; COMPUTE_PGM_RSRC2:TRAP_HANDLER: 0
; COMPUTE_PGM_RSRC2:TGID_X_EN: 1
; COMPUTE_PGM_RSRC2:TGID_Y_EN: 0
; COMPUTE_PGM_RSRC2:TGID_Z_EN: 0
; COMPUTE_PGM_RSRC2:TIDIG_COMP_CNT: 0
; COMPUTE_PGM_RSRC3_GFX90A:ACCUM_OFFSET: 0
; COMPUTE_PGM_RSRC3_GFX90A:TG_SPLIT: 0
	.section	.text._ZN7rocprim17ROCPRIM_400000_NS6detail17trampoline_kernelINS0_14default_configENS1_20scan_config_selectorIsEEZZNS1_9scan_implILNS1_25lookback_scan_determinismE0ELb0ELb1ES3_N6thrust23THRUST_200600_302600_NS6detail15normal_iteratorINS9_10device_ptrIsEEEESE_sNS9_10multipliesIsEEsEEDaPvRmT3_T4_T5_mT6_P12ihipStream_tbENKUlT_T0_E_clISt17integral_constantIbLb1EESU_EEDaSP_SQ_EUlSP_E0_NS1_11comp_targetILNS1_3genE9ELNS1_11target_archE1100ELNS1_3gpuE3ELNS1_3repE0EEENS1_30default_config_static_selectorELNS0_4arch9wavefront6targetE1EEEvT1_,"axG",@progbits,_ZN7rocprim17ROCPRIM_400000_NS6detail17trampoline_kernelINS0_14default_configENS1_20scan_config_selectorIsEEZZNS1_9scan_implILNS1_25lookback_scan_determinismE0ELb0ELb1ES3_N6thrust23THRUST_200600_302600_NS6detail15normal_iteratorINS9_10device_ptrIsEEEESE_sNS9_10multipliesIsEEsEEDaPvRmT3_T4_T5_mT6_P12ihipStream_tbENKUlT_T0_E_clISt17integral_constantIbLb1EESU_EEDaSP_SQ_EUlSP_E0_NS1_11comp_targetILNS1_3genE9ELNS1_11target_archE1100ELNS1_3gpuE3ELNS1_3repE0EEENS1_30default_config_static_selectorELNS0_4arch9wavefront6targetE1EEEvT1_,comdat
	.protected	_ZN7rocprim17ROCPRIM_400000_NS6detail17trampoline_kernelINS0_14default_configENS1_20scan_config_selectorIsEEZZNS1_9scan_implILNS1_25lookback_scan_determinismE0ELb0ELb1ES3_N6thrust23THRUST_200600_302600_NS6detail15normal_iteratorINS9_10device_ptrIsEEEESE_sNS9_10multipliesIsEEsEEDaPvRmT3_T4_T5_mT6_P12ihipStream_tbENKUlT_T0_E_clISt17integral_constantIbLb1EESU_EEDaSP_SQ_EUlSP_E0_NS1_11comp_targetILNS1_3genE9ELNS1_11target_archE1100ELNS1_3gpuE3ELNS1_3repE0EEENS1_30default_config_static_selectorELNS0_4arch9wavefront6targetE1EEEvT1_ ; -- Begin function _ZN7rocprim17ROCPRIM_400000_NS6detail17trampoline_kernelINS0_14default_configENS1_20scan_config_selectorIsEEZZNS1_9scan_implILNS1_25lookback_scan_determinismE0ELb0ELb1ES3_N6thrust23THRUST_200600_302600_NS6detail15normal_iteratorINS9_10device_ptrIsEEEESE_sNS9_10multipliesIsEEsEEDaPvRmT3_T4_T5_mT6_P12ihipStream_tbENKUlT_T0_E_clISt17integral_constantIbLb1EESU_EEDaSP_SQ_EUlSP_E0_NS1_11comp_targetILNS1_3genE9ELNS1_11target_archE1100ELNS1_3gpuE3ELNS1_3repE0EEENS1_30default_config_static_selectorELNS0_4arch9wavefront6targetE1EEEvT1_
	.globl	_ZN7rocprim17ROCPRIM_400000_NS6detail17trampoline_kernelINS0_14default_configENS1_20scan_config_selectorIsEEZZNS1_9scan_implILNS1_25lookback_scan_determinismE0ELb0ELb1ES3_N6thrust23THRUST_200600_302600_NS6detail15normal_iteratorINS9_10device_ptrIsEEEESE_sNS9_10multipliesIsEEsEEDaPvRmT3_T4_T5_mT6_P12ihipStream_tbENKUlT_T0_E_clISt17integral_constantIbLb1EESU_EEDaSP_SQ_EUlSP_E0_NS1_11comp_targetILNS1_3genE9ELNS1_11target_archE1100ELNS1_3gpuE3ELNS1_3repE0EEENS1_30default_config_static_selectorELNS0_4arch9wavefront6targetE1EEEvT1_
	.p2align	8
	.type	_ZN7rocprim17ROCPRIM_400000_NS6detail17trampoline_kernelINS0_14default_configENS1_20scan_config_selectorIsEEZZNS1_9scan_implILNS1_25lookback_scan_determinismE0ELb0ELb1ES3_N6thrust23THRUST_200600_302600_NS6detail15normal_iteratorINS9_10device_ptrIsEEEESE_sNS9_10multipliesIsEEsEEDaPvRmT3_T4_T5_mT6_P12ihipStream_tbENKUlT_T0_E_clISt17integral_constantIbLb1EESU_EEDaSP_SQ_EUlSP_E0_NS1_11comp_targetILNS1_3genE9ELNS1_11target_archE1100ELNS1_3gpuE3ELNS1_3repE0EEENS1_30default_config_static_selectorELNS0_4arch9wavefront6targetE1EEEvT1_,@function
_ZN7rocprim17ROCPRIM_400000_NS6detail17trampoline_kernelINS0_14default_configENS1_20scan_config_selectorIsEEZZNS1_9scan_implILNS1_25lookback_scan_determinismE0ELb0ELb1ES3_N6thrust23THRUST_200600_302600_NS6detail15normal_iteratorINS9_10device_ptrIsEEEESE_sNS9_10multipliesIsEEsEEDaPvRmT3_T4_T5_mT6_P12ihipStream_tbENKUlT_T0_E_clISt17integral_constantIbLb1EESU_EEDaSP_SQ_EUlSP_E0_NS1_11comp_targetILNS1_3genE9ELNS1_11target_archE1100ELNS1_3gpuE3ELNS1_3repE0EEENS1_30default_config_static_selectorELNS0_4arch9wavefront6targetE1EEEvT1_: ; @_ZN7rocprim17ROCPRIM_400000_NS6detail17trampoline_kernelINS0_14default_configENS1_20scan_config_selectorIsEEZZNS1_9scan_implILNS1_25lookback_scan_determinismE0ELb0ELb1ES3_N6thrust23THRUST_200600_302600_NS6detail15normal_iteratorINS9_10device_ptrIsEEEESE_sNS9_10multipliesIsEEsEEDaPvRmT3_T4_T5_mT6_P12ihipStream_tbENKUlT_T0_E_clISt17integral_constantIbLb1EESU_EEDaSP_SQ_EUlSP_E0_NS1_11comp_targetILNS1_3genE9ELNS1_11target_archE1100ELNS1_3gpuE3ELNS1_3repE0EEENS1_30default_config_static_selectorELNS0_4arch9wavefront6targetE1EEEvT1_
; %bb.0:
	.section	.rodata,"a",@progbits
	.p2align	6, 0x0
	.amdhsa_kernel _ZN7rocprim17ROCPRIM_400000_NS6detail17trampoline_kernelINS0_14default_configENS1_20scan_config_selectorIsEEZZNS1_9scan_implILNS1_25lookback_scan_determinismE0ELb0ELb1ES3_N6thrust23THRUST_200600_302600_NS6detail15normal_iteratorINS9_10device_ptrIsEEEESE_sNS9_10multipliesIsEEsEEDaPvRmT3_T4_T5_mT6_P12ihipStream_tbENKUlT_T0_E_clISt17integral_constantIbLb1EESU_EEDaSP_SQ_EUlSP_E0_NS1_11comp_targetILNS1_3genE9ELNS1_11target_archE1100ELNS1_3gpuE3ELNS1_3repE0EEENS1_30default_config_static_selectorELNS0_4arch9wavefront6targetE1EEEvT1_
		.amdhsa_group_segment_fixed_size 0
		.amdhsa_private_segment_fixed_size 0
		.amdhsa_kernarg_size 32
		.amdhsa_user_sgpr_count 6
		.amdhsa_user_sgpr_private_segment_buffer 1
		.amdhsa_user_sgpr_dispatch_ptr 0
		.amdhsa_user_sgpr_queue_ptr 0
		.amdhsa_user_sgpr_kernarg_segment_ptr 1
		.amdhsa_user_sgpr_dispatch_id 0
		.amdhsa_user_sgpr_flat_scratch_init 0
		.amdhsa_user_sgpr_kernarg_preload_length 0
		.amdhsa_user_sgpr_kernarg_preload_offset 0
		.amdhsa_user_sgpr_private_segment_size 0
		.amdhsa_uses_dynamic_stack 0
		.amdhsa_system_sgpr_private_segment_wavefront_offset 0
		.amdhsa_system_sgpr_workgroup_id_x 1
		.amdhsa_system_sgpr_workgroup_id_y 0
		.amdhsa_system_sgpr_workgroup_id_z 0
		.amdhsa_system_sgpr_workgroup_info 0
		.amdhsa_system_vgpr_workitem_id 0
		.amdhsa_next_free_vgpr 1
		.amdhsa_next_free_sgpr 0
		.amdhsa_accum_offset 4
		.amdhsa_reserve_vcc 0
		.amdhsa_reserve_flat_scratch 0
		.amdhsa_float_round_mode_32 0
		.amdhsa_float_round_mode_16_64 0
		.amdhsa_float_denorm_mode_32 3
		.amdhsa_float_denorm_mode_16_64 3
		.amdhsa_dx10_clamp 1
		.amdhsa_ieee_mode 1
		.amdhsa_fp16_overflow 0
		.amdhsa_tg_split 0
		.amdhsa_exception_fp_ieee_invalid_op 0
		.amdhsa_exception_fp_denorm_src 0
		.amdhsa_exception_fp_ieee_div_zero 0
		.amdhsa_exception_fp_ieee_overflow 0
		.amdhsa_exception_fp_ieee_underflow 0
		.amdhsa_exception_fp_ieee_inexact 0
		.amdhsa_exception_int_div_zero 0
	.end_amdhsa_kernel
	.section	.text._ZN7rocprim17ROCPRIM_400000_NS6detail17trampoline_kernelINS0_14default_configENS1_20scan_config_selectorIsEEZZNS1_9scan_implILNS1_25lookback_scan_determinismE0ELb0ELb1ES3_N6thrust23THRUST_200600_302600_NS6detail15normal_iteratorINS9_10device_ptrIsEEEESE_sNS9_10multipliesIsEEsEEDaPvRmT3_T4_T5_mT6_P12ihipStream_tbENKUlT_T0_E_clISt17integral_constantIbLb1EESU_EEDaSP_SQ_EUlSP_E0_NS1_11comp_targetILNS1_3genE9ELNS1_11target_archE1100ELNS1_3gpuE3ELNS1_3repE0EEENS1_30default_config_static_selectorELNS0_4arch9wavefront6targetE1EEEvT1_,"axG",@progbits,_ZN7rocprim17ROCPRIM_400000_NS6detail17trampoline_kernelINS0_14default_configENS1_20scan_config_selectorIsEEZZNS1_9scan_implILNS1_25lookback_scan_determinismE0ELb0ELb1ES3_N6thrust23THRUST_200600_302600_NS6detail15normal_iteratorINS9_10device_ptrIsEEEESE_sNS9_10multipliesIsEEsEEDaPvRmT3_T4_T5_mT6_P12ihipStream_tbENKUlT_T0_E_clISt17integral_constantIbLb1EESU_EEDaSP_SQ_EUlSP_E0_NS1_11comp_targetILNS1_3genE9ELNS1_11target_archE1100ELNS1_3gpuE3ELNS1_3repE0EEENS1_30default_config_static_selectorELNS0_4arch9wavefront6targetE1EEEvT1_,comdat
.Lfunc_end1157:
	.size	_ZN7rocprim17ROCPRIM_400000_NS6detail17trampoline_kernelINS0_14default_configENS1_20scan_config_selectorIsEEZZNS1_9scan_implILNS1_25lookback_scan_determinismE0ELb0ELb1ES3_N6thrust23THRUST_200600_302600_NS6detail15normal_iteratorINS9_10device_ptrIsEEEESE_sNS9_10multipliesIsEEsEEDaPvRmT3_T4_T5_mT6_P12ihipStream_tbENKUlT_T0_E_clISt17integral_constantIbLb1EESU_EEDaSP_SQ_EUlSP_E0_NS1_11comp_targetILNS1_3genE9ELNS1_11target_archE1100ELNS1_3gpuE3ELNS1_3repE0EEENS1_30default_config_static_selectorELNS0_4arch9wavefront6targetE1EEEvT1_, .Lfunc_end1157-_ZN7rocprim17ROCPRIM_400000_NS6detail17trampoline_kernelINS0_14default_configENS1_20scan_config_selectorIsEEZZNS1_9scan_implILNS1_25lookback_scan_determinismE0ELb0ELb1ES3_N6thrust23THRUST_200600_302600_NS6detail15normal_iteratorINS9_10device_ptrIsEEEESE_sNS9_10multipliesIsEEsEEDaPvRmT3_T4_T5_mT6_P12ihipStream_tbENKUlT_T0_E_clISt17integral_constantIbLb1EESU_EEDaSP_SQ_EUlSP_E0_NS1_11comp_targetILNS1_3genE9ELNS1_11target_archE1100ELNS1_3gpuE3ELNS1_3repE0EEENS1_30default_config_static_selectorELNS0_4arch9wavefront6targetE1EEEvT1_
                                        ; -- End function
	.section	.AMDGPU.csdata,"",@progbits
; Kernel info:
; codeLenInByte = 0
; NumSgprs: 4
; NumVgprs: 0
; NumAgprs: 0
; TotalNumVgprs: 0
; ScratchSize: 0
; MemoryBound: 0
; FloatMode: 240
; IeeeMode: 1
; LDSByteSize: 0 bytes/workgroup (compile time only)
; SGPRBlocks: 0
; VGPRBlocks: 0
; NumSGPRsForWavesPerEU: 4
; NumVGPRsForWavesPerEU: 1
; AccumOffset: 4
; Occupancy: 8
; WaveLimiterHint : 0
; COMPUTE_PGM_RSRC2:SCRATCH_EN: 0
; COMPUTE_PGM_RSRC2:USER_SGPR: 6
; COMPUTE_PGM_RSRC2:TRAP_HANDLER: 0
; COMPUTE_PGM_RSRC2:TGID_X_EN: 1
; COMPUTE_PGM_RSRC2:TGID_Y_EN: 0
; COMPUTE_PGM_RSRC2:TGID_Z_EN: 0
; COMPUTE_PGM_RSRC2:TIDIG_COMP_CNT: 0
; COMPUTE_PGM_RSRC3_GFX90A:ACCUM_OFFSET: 0
; COMPUTE_PGM_RSRC3_GFX90A:TG_SPLIT: 0
	.section	.text._ZN7rocprim17ROCPRIM_400000_NS6detail17trampoline_kernelINS0_14default_configENS1_20scan_config_selectorIsEEZZNS1_9scan_implILNS1_25lookback_scan_determinismE0ELb0ELb1ES3_N6thrust23THRUST_200600_302600_NS6detail15normal_iteratorINS9_10device_ptrIsEEEESE_sNS9_10multipliesIsEEsEEDaPvRmT3_T4_T5_mT6_P12ihipStream_tbENKUlT_T0_E_clISt17integral_constantIbLb1EESU_EEDaSP_SQ_EUlSP_E0_NS1_11comp_targetILNS1_3genE8ELNS1_11target_archE1030ELNS1_3gpuE2ELNS1_3repE0EEENS1_30default_config_static_selectorELNS0_4arch9wavefront6targetE1EEEvT1_,"axG",@progbits,_ZN7rocprim17ROCPRIM_400000_NS6detail17trampoline_kernelINS0_14default_configENS1_20scan_config_selectorIsEEZZNS1_9scan_implILNS1_25lookback_scan_determinismE0ELb0ELb1ES3_N6thrust23THRUST_200600_302600_NS6detail15normal_iteratorINS9_10device_ptrIsEEEESE_sNS9_10multipliesIsEEsEEDaPvRmT3_T4_T5_mT6_P12ihipStream_tbENKUlT_T0_E_clISt17integral_constantIbLb1EESU_EEDaSP_SQ_EUlSP_E0_NS1_11comp_targetILNS1_3genE8ELNS1_11target_archE1030ELNS1_3gpuE2ELNS1_3repE0EEENS1_30default_config_static_selectorELNS0_4arch9wavefront6targetE1EEEvT1_,comdat
	.protected	_ZN7rocprim17ROCPRIM_400000_NS6detail17trampoline_kernelINS0_14default_configENS1_20scan_config_selectorIsEEZZNS1_9scan_implILNS1_25lookback_scan_determinismE0ELb0ELb1ES3_N6thrust23THRUST_200600_302600_NS6detail15normal_iteratorINS9_10device_ptrIsEEEESE_sNS9_10multipliesIsEEsEEDaPvRmT3_T4_T5_mT6_P12ihipStream_tbENKUlT_T0_E_clISt17integral_constantIbLb1EESU_EEDaSP_SQ_EUlSP_E0_NS1_11comp_targetILNS1_3genE8ELNS1_11target_archE1030ELNS1_3gpuE2ELNS1_3repE0EEENS1_30default_config_static_selectorELNS0_4arch9wavefront6targetE1EEEvT1_ ; -- Begin function _ZN7rocprim17ROCPRIM_400000_NS6detail17trampoline_kernelINS0_14default_configENS1_20scan_config_selectorIsEEZZNS1_9scan_implILNS1_25lookback_scan_determinismE0ELb0ELb1ES3_N6thrust23THRUST_200600_302600_NS6detail15normal_iteratorINS9_10device_ptrIsEEEESE_sNS9_10multipliesIsEEsEEDaPvRmT3_T4_T5_mT6_P12ihipStream_tbENKUlT_T0_E_clISt17integral_constantIbLb1EESU_EEDaSP_SQ_EUlSP_E0_NS1_11comp_targetILNS1_3genE8ELNS1_11target_archE1030ELNS1_3gpuE2ELNS1_3repE0EEENS1_30default_config_static_selectorELNS0_4arch9wavefront6targetE1EEEvT1_
	.globl	_ZN7rocprim17ROCPRIM_400000_NS6detail17trampoline_kernelINS0_14default_configENS1_20scan_config_selectorIsEEZZNS1_9scan_implILNS1_25lookback_scan_determinismE0ELb0ELb1ES3_N6thrust23THRUST_200600_302600_NS6detail15normal_iteratorINS9_10device_ptrIsEEEESE_sNS9_10multipliesIsEEsEEDaPvRmT3_T4_T5_mT6_P12ihipStream_tbENKUlT_T0_E_clISt17integral_constantIbLb1EESU_EEDaSP_SQ_EUlSP_E0_NS1_11comp_targetILNS1_3genE8ELNS1_11target_archE1030ELNS1_3gpuE2ELNS1_3repE0EEENS1_30default_config_static_selectorELNS0_4arch9wavefront6targetE1EEEvT1_
	.p2align	8
	.type	_ZN7rocprim17ROCPRIM_400000_NS6detail17trampoline_kernelINS0_14default_configENS1_20scan_config_selectorIsEEZZNS1_9scan_implILNS1_25lookback_scan_determinismE0ELb0ELb1ES3_N6thrust23THRUST_200600_302600_NS6detail15normal_iteratorINS9_10device_ptrIsEEEESE_sNS9_10multipliesIsEEsEEDaPvRmT3_T4_T5_mT6_P12ihipStream_tbENKUlT_T0_E_clISt17integral_constantIbLb1EESU_EEDaSP_SQ_EUlSP_E0_NS1_11comp_targetILNS1_3genE8ELNS1_11target_archE1030ELNS1_3gpuE2ELNS1_3repE0EEENS1_30default_config_static_selectorELNS0_4arch9wavefront6targetE1EEEvT1_,@function
_ZN7rocprim17ROCPRIM_400000_NS6detail17trampoline_kernelINS0_14default_configENS1_20scan_config_selectorIsEEZZNS1_9scan_implILNS1_25lookback_scan_determinismE0ELb0ELb1ES3_N6thrust23THRUST_200600_302600_NS6detail15normal_iteratorINS9_10device_ptrIsEEEESE_sNS9_10multipliesIsEEsEEDaPvRmT3_T4_T5_mT6_P12ihipStream_tbENKUlT_T0_E_clISt17integral_constantIbLb1EESU_EEDaSP_SQ_EUlSP_E0_NS1_11comp_targetILNS1_3genE8ELNS1_11target_archE1030ELNS1_3gpuE2ELNS1_3repE0EEENS1_30default_config_static_selectorELNS0_4arch9wavefront6targetE1EEEvT1_: ; @_ZN7rocprim17ROCPRIM_400000_NS6detail17trampoline_kernelINS0_14default_configENS1_20scan_config_selectorIsEEZZNS1_9scan_implILNS1_25lookback_scan_determinismE0ELb0ELb1ES3_N6thrust23THRUST_200600_302600_NS6detail15normal_iteratorINS9_10device_ptrIsEEEESE_sNS9_10multipliesIsEEsEEDaPvRmT3_T4_T5_mT6_P12ihipStream_tbENKUlT_T0_E_clISt17integral_constantIbLb1EESU_EEDaSP_SQ_EUlSP_E0_NS1_11comp_targetILNS1_3genE8ELNS1_11target_archE1030ELNS1_3gpuE2ELNS1_3repE0EEENS1_30default_config_static_selectorELNS0_4arch9wavefront6targetE1EEEvT1_
; %bb.0:
	.section	.rodata,"a",@progbits
	.p2align	6, 0x0
	.amdhsa_kernel _ZN7rocprim17ROCPRIM_400000_NS6detail17trampoline_kernelINS0_14default_configENS1_20scan_config_selectorIsEEZZNS1_9scan_implILNS1_25lookback_scan_determinismE0ELb0ELb1ES3_N6thrust23THRUST_200600_302600_NS6detail15normal_iteratorINS9_10device_ptrIsEEEESE_sNS9_10multipliesIsEEsEEDaPvRmT3_T4_T5_mT6_P12ihipStream_tbENKUlT_T0_E_clISt17integral_constantIbLb1EESU_EEDaSP_SQ_EUlSP_E0_NS1_11comp_targetILNS1_3genE8ELNS1_11target_archE1030ELNS1_3gpuE2ELNS1_3repE0EEENS1_30default_config_static_selectorELNS0_4arch9wavefront6targetE1EEEvT1_
		.amdhsa_group_segment_fixed_size 0
		.amdhsa_private_segment_fixed_size 0
		.amdhsa_kernarg_size 32
		.amdhsa_user_sgpr_count 6
		.amdhsa_user_sgpr_private_segment_buffer 1
		.amdhsa_user_sgpr_dispatch_ptr 0
		.amdhsa_user_sgpr_queue_ptr 0
		.amdhsa_user_sgpr_kernarg_segment_ptr 1
		.amdhsa_user_sgpr_dispatch_id 0
		.amdhsa_user_sgpr_flat_scratch_init 0
		.amdhsa_user_sgpr_kernarg_preload_length 0
		.amdhsa_user_sgpr_kernarg_preload_offset 0
		.amdhsa_user_sgpr_private_segment_size 0
		.amdhsa_uses_dynamic_stack 0
		.amdhsa_system_sgpr_private_segment_wavefront_offset 0
		.amdhsa_system_sgpr_workgroup_id_x 1
		.amdhsa_system_sgpr_workgroup_id_y 0
		.amdhsa_system_sgpr_workgroup_id_z 0
		.amdhsa_system_sgpr_workgroup_info 0
		.amdhsa_system_vgpr_workitem_id 0
		.amdhsa_next_free_vgpr 1
		.amdhsa_next_free_sgpr 0
		.amdhsa_accum_offset 4
		.amdhsa_reserve_vcc 0
		.amdhsa_reserve_flat_scratch 0
		.amdhsa_float_round_mode_32 0
		.amdhsa_float_round_mode_16_64 0
		.amdhsa_float_denorm_mode_32 3
		.amdhsa_float_denorm_mode_16_64 3
		.amdhsa_dx10_clamp 1
		.amdhsa_ieee_mode 1
		.amdhsa_fp16_overflow 0
		.amdhsa_tg_split 0
		.amdhsa_exception_fp_ieee_invalid_op 0
		.amdhsa_exception_fp_denorm_src 0
		.amdhsa_exception_fp_ieee_div_zero 0
		.amdhsa_exception_fp_ieee_overflow 0
		.amdhsa_exception_fp_ieee_underflow 0
		.amdhsa_exception_fp_ieee_inexact 0
		.amdhsa_exception_int_div_zero 0
	.end_amdhsa_kernel
	.section	.text._ZN7rocprim17ROCPRIM_400000_NS6detail17trampoline_kernelINS0_14default_configENS1_20scan_config_selectorIsEEZZNS1_9scan_implILNS1_25lookback_scan_determinismE0ELb0ELb1ES3_N6thrust23THRUST_200600_302600_NS6detail15normal_iteratorINS9_10device_ptrIsEEEESE_sNS9_10multipliesIsEEsEEDaPvRmT3_T4_T5_mT6_P12ihipStream_tbENKUlT_T0_E_clISt17integral_constantIbLb1EESU_EEDaSP_SQ_EUlSP_E0_NS1_11comp_targetILNS1_3genE8ELNS1_11target_archE1030ELNS1_3gpuE2ELNS1_3repE0EEENS1_30default_config_static_selectorELNS0_4arch9wavefront6targetE1EEEvT1_,"axG",@progbits,_ZN7rocprim17ROCPRIM_400000_NS6detail17trampoline_kernelINS0_14default_configENS1_20scan_config_selectorIsEEZZNS1_9scan_implILNS1_25lookback_scan_determinismE0ELb0ELb1ES3_N6thrust23THRUST_200600_302600_NS6detail15normal_iteratorINS9_10device_ptrIsEEEESE_sNS9_10multipliesIsEEsEEDaPvRmT3_T4_T5_mT6_P12ihipStream_tbENKUlT_T0_E_clISt17integral_constantIbLb1EESU_EEDaSP_SQ_EUlSP_E0_NS1_11comp_targetILNS1_3genE8ELNS1_11target_archE1030ELNS1_3gpuE2ELNS1_3repE0EEENS1_30default_config_static_selectorELNS0_4arch9wavefront6targetE1EEEvT1_,comdat
.Lfunc_end1158:
	.size	_ZN7rocprim17ROCPRIM_400000_NS6detail17trampoline_kernelINS0_14default_configENS1_20scan_config_selectorIsEEZZNS1_9scan_implILNS1_25lookback_scan_determinismE0ELb0ELb1ES3_N6thrust23THRUST_200600_302600_NS6detail15normal_iteratorINS9_10device_ptrIsEEEESE_sNS9_10multipliesIsEEsEEDaPvRmT3_T4_T5_mT6_P12ihipStream_tbENKUlT_T0_E_clISt17integral_constantIbLb1EESU_EEDaSP_SQ_EUlSP_E0_NS1_11comp_targetILNS1_3genE8ELNS1_11target_archE1030ELNS1_3gpuE2ELNS1_3repE0EEENS1_30default_config_static_selectorELNS0_4arch9wavefront6targetE1EEEvT1_, .Lfunc_end1158-_ZN7rocprim17ROCPRIM_400000_NS6detail17trampoline_kernelINS0_14default_configENS1_20scan_config_selectorIsEEZZNS1_9scan_implILNS1_25lookback_scan_determinismE0ELb0ELb1ES3_N6thrust23THRUST_200600_302600_NS6detail15normal_iteratorINS9_10device_ptrIsEEEESE_sNS9_10multipliesIsEEsEEDaPvRmT3_T4_T5_mT6_P12ihipStream_tbENKUlT_T0_E_clISt17integral_constantIbLb1EESU_EEDaSP_SQ_EUlSP_E0_NS1_11comp_targetILNS1_3genE8ELNS1_11target_archE1030ELNS1_3gpuE2ELNS1_3repE0EEENS1_30default_config_static_selectorELNS0_4arch9wavefront6targetE1EEEvT1_
                                        ; -- End function
	.section	.AMDGPU.csdata,"",@progbits
; Kernel info:
; codeLenInByte = 0
; NumSgprs: 4
; NumVgprs: 0
; NumAgprs: 0
; TotalNumVgprs: 0
; ScratchSize: 0
; MemoryBound: 0
; FloatMode: 240
; IeeeMode: 1
; LDSByteSize: 0 bytes/workgroup (compile time only)
; SGPRBlocks: 0
; VGPRBlocks: 0
; NumSGPRsForWavesPerEU: 4
; NumVGPRsForWavesPerEU: 1
; AccumOffset: 4
; Occupancy: 8
; WaveLimiterHint : 0
; COMPUTE_PGM_RSRC2:SCRATCH_EN: 0
; COMPUTE_PGM_RSRC2:USER_SGPR: 6
; COMPUTE_PGM_RSRC2:TRAP_HANDLER: 0
; COMPUTE_PGM_RSRC2:TGID_X_EN: 1
; COMPUTE_PGM_RSRC2:TGID_Y_EN: 0
; COMPUTE_PGM_RSRC2:TGID_Z_EN: 0
; COMPUTE_PGM_RSRC2:TIDIG_COMP_CNT: 0
; COMPUTE_PGM_RSRC3_GFX90A:ACCUM_OFFSET: 0
; COMPUTE_PGM_RSRC3_GFX90A:TG_SPLIT: 0
	.section	.text._ZN7rocprim17ROCPRIM_400000_NS6detail17trampoline_kernelINS0_14default_configENS1_20scan_config_selectorIsEEZZNS1_9scan_implILNS1_25lookback_scan_determinismE0ELb0ELb1ES3_N6thrust23THRUST_200600_302600_NS6detail15normal_iteratorINS9_10device_ptrIsEEEESE_sNS9_10multipliesIsEEsEEDaPvRmT3_T4_T5_mT6_P12ihipStream_tbENKUlT_T0_E_clISt17integral_constantIbLb1EEST_IbLb0EEEEDaSP_SQ_EUlSP_E_NS1_11comp_targetILNS1_3genE0ELNS1_11target_archE4294967295ELNS1_3gpuE0ELNS1_3repE0EEENS1_30default_config_static_selectorELNS0_4arch9wavefront6targetE1EEEvT1_,"axG",@progbits,_ZN7rocprim17ROCPRIM_400000_NS6detail17trampoline_kernelINS0_14default_configENS1_20scan_config_selectorIsEEZZNS1_9scan_implILNS1_25lookback_scan_determinismE0ELb0ELb1ES3_N6thrust23THRUST_200600_302600_NS6detail15normal_iteratorINS9_10device_ptrIsEEEESE_sNS9_10multipliesIsEEsEEDaPvRmT3_T4_T5_mT6_P12ihipStream_tbENKUlT_T0_E_clISt17integral_constantIbLb1EEST_IbLb0EEEEDaSP_SQ_EUlSP_E_NS1_11comp_targetILNS1_3genE0ELNS1_11target_archE4294967295ELNS1_3gpuE0ELNS1_3repE0EEENS1_30default_config_static_selectorELNS0_4arch9wavefront6targetE1EEEvT1_,comdat
	.protected	_ZN7rocprim17ROCPRIM_400000_NS6detail17trampoline_kernelINS0_14default_configENS1_20scan_config_selectorIsEEZZNS1_9scan_implILNS1_25lookback_scan_determinismE0ELb0ELb1ES3_N6thrust23THRUST_200600_302600_NS6detail15normal_iteratorINS9_10device_ptrIsEEEESE_sNS9_10multipliesIsEEsEEDaPvRmT3_T4_T5_mT6_P12ihipStream_tbENKUlT_T0_E_clISt17integral_constantIbLb1EEST_IbLb0EEEEDaSP_SQ_EUlSP_E_NS1_11comp_targetILNS1_3genE0ELNS1_11target_archE4294967295ELNS1_3gpuE0ELNS1_3repE0EEENS1_30default_config_static_selectorELNS0_4arch9wavefront6targetE1EEEvT1_ ; -- Begin function _ZN7rocprim17ROCPRIM_400000_NS6detail17trampoline_kernelINS0_14default_configENS1_20scan_config_selectorIsEEZZNS1_9scan_implILNS1_25lookback_scan_determinismE0ELb0ELb1ES3_N6thrust23THRUST_200600_302600_NS6detail15normal_iteratorINS9_10device_ptrIsEEEESE_sNS9_10multipliesIsEEsEEDaPvRmT3_T4_T5_mT6_P12ihipStream_tbENKUlT_T0_E_clISt17integral_constantIbLb1EEST_IbLb0EEEEDaSP_SQ_EUlSP_E_NS1_11comp_targetILNS1_3genE0ELNS1_11target_archE4294967295ELNS1_3gpuE0ELNS1_3repE0EEENS1_30default_config_static_selectorELNS0_4arch9wavefront6targetE1EEEvT1_
	.globl	_ZN7rocprim17ROCPRIM_400000_NS6detail17trampoline_kernelINS0_14default_configENS1_20scan_config_selectorIsEEZZNS1_9scan_implILNS1_25lookback_scan_determinismE0ELb0ELb1ES3_N6thrust23THRUST_200600_302600_NS6detail15normal_iteratorINS9_10device_ptrIsEEEESE_sNS9_10multipliesIsEEsEEDaPvRmT3_T4_T5_mT6_P12ihipStream_tbENKUlT_T0_E_clISt17integral_constantIbLb1EEST_IbLb0EEEEDaSP_SQ_EUlSP_E_NS1_11comp_targetILNS1_3genE0ELNS1_11target_archE4294967295ELNS1_3gpuE0ELNS1_3repE0EEENS1_30default_config_static_selectorELNS0_4arch9wavefront6targetE1EEEvT1_
	.p2align	8
	.type	_ZN7rocprim17ROCPRIM_400000_NS6detail17trampoline_kernelINS0_14default_configENS1_20scan_config_selectorIsEEZZNS1_9scan_implILNS1_25lookback_scan_determinismE0ELb0ELb1ES3_N6thrust23THRUST_200600_302600_NS6detail15normal_iteratorINS9_10device_ptrIsEEEESE_sNS9_10multipliesIsEEsEEDaPvRmT3_T4_T5_mT6_P12ihipStream_tbENKUlT_T0_E_clISt17integral_constantIbLb1EEST_IbLb0EEEEDaSP_SQ_EUlSP_E_NS1_11comp_targetILNS1_3genE0ELNS1_11target_archE4294967295ELNS1_3gpuE0ELNS1_3repE0EEENS1_30default_config_static_selectorELNS0_4arch9wavefront6targetE1EEEvT1_,@function
_ZN7rocprim17ROCPRIM_400000_NS6detail17trampoline_kernelINS0_14default_configENS1_20scan_config_selectorIsEEZZNS1_9scan_implILNS1_25lookback_scan_determinismE0ELb0ELb1ES3_N6thrust23THRUST_200600_302600_NS6detail15normal_iteratorINS9_10device_ptrIsEEEESE_sNS9_10multipliesIsEEsEEDaPvRmT3_T4_T5_mT6_P12ihipStream_tbENKUlT_T0_E_clISt17integral_constantIbLb1EEST_IbLb0EEEEDaSP_SQ_EUlSP_E_NS1_11comp_targetILNS1_3genE0ELNS1_11target_archE4294967295ELNS1_3gpuE0ELNS1_3repE0EEENS1_30default_config_static_selectorELNS0_4arch9wavefront6targetE1EEEvT1_: ; @_ZN7rocprim17ROCPRIM_400000_NS6detail17trampoline_kernelINS0_14default_configENS1_20scan_config_selectorIsEEZZNS1_9scan_implILNS1_25lookback_scan_determinismE0ELb0ELb1ES3_N6thrust23THRUST_200600_302600_NS6detail15normal_iteratorINS9_10device_ptrIsEEEESE_sNS9_10multipliesIsEEsEEDaPvRmT3_T4_T5_mT6_P12ihipStream_tbENKUlT_T0_E_clISt17integral_constantIbLb1EEST_IbLb0EEEEDaSP_SQ_EUlSP_E_NS1_11comp_targetILNS1_3genE0ELNS1_11target_archE4294967295ELNS1_3gpuE0ELNS1_3repE0EEENS1_30default_config_static_selectorELNS0_4arch9wavefront6targetE1EEEvT1_
; %bb.0:
	.section	.rodata,"a",@progbits
	.p2align	6, 0x0
	.amdhsa_kernel _ZN7rocprim17ROCPRIM_400000_NS6detail17trampoline_kernelINS0_14default_configENS1_20scan_config_selectorIsEEZZNS1_9scan_implILNS1_25lookback_scan_determinismE0ELb0ELb1ES3_N6thrust23THRUST_200600_302600_NS6detail15normal_iteratorINS9_10device_ptrIsEEEESE_sNS9_10multipliesIsEEsEEDaPvRmT3_T4_T5_mT6_P12ihipStream_tbENKUlT_T0_E_clISt17integral_constantIbLb1EEST_IbLb0EEEEDaSP_SQ_EUlSP_E_NS1_11comp_targetILNS1_3genE0ELNS1_11target_archE4294967295ELNS1_3gpuE0ELNS1_3repE0EEENS1_30default_config_static_selectorELNS0_4arch9wavefront6targetE1EEEvT1_
		.amdhsa_group_segment_fixed_size 0
		.amdhsa_private_segment_fixed_size 0
		.amdhsa_kernarg_size 96
		.amdhsa_user_sgpr_count 6
		.amdhsa_user_sgpr_private_segment_buffer 1
		.amdhsa_user_sgpr_dispatch_ptr 0
		.amdhsa_user_sgpr_queue_ptr 0
		.amdhsa_user_sgpr_kernarg_segment_ptr 1
		.amdhsa_user_sgpr_dispatch_id 0
		.amdhsa_user_sgpr_flat_scratch_init 0
		.amdhsa_user_sgpr_kernarg_preload_length 0
		.amdhsa_user_sgpr_kernarg_preload_offset 0
		.amdhsa_user_sgpr_private_segment_size 0
		.amdhsa_uses_dynamic_stack 0
		.amdhsa_system_sgpr_private_segment_wavefront_offset 0
		.amdhsa_system_sgpr_workgroup_id_x 1
		.amdhsa_system_sgpr_workgroup_id_y 0
		.amdhsa_system_sgpr_workgroup_id_z 0
		.amdhsa_system_sgpr_workgroup_info 0
		.amdhsa_system_vgpr_workitem_id 0
		.amdhsa_next_free_vgpr 1
		.amdhsa_next_free_sgpr 0
		.amdhsa_accum_offset 4
		.amdhsa_reserve_vcc 0
		.amdhsa_reserve_flat_scratch 0
		.amdhsa_float_round_mode_32 0
		.amdhsa_float_round_mode_16_64 0
		.amdhsa_float_denorm_mode_32 3
		.amdhsa_float_denorm_mode_16_64 3
		.amdhsa_dx10_clamp 1
		.amdhsa_ieee_mode 1
		.amdhsa_fp16_overflow 0
		.amdhsa_tg_split 0
		.amdhsa_exception_fp_ieee_invalid_op 0
		.amdhsa_exception_fp_denorm_src 0
		.amdhsa_exception_fp_ieee_div_zero 0
		.amdhsa_exception_fp_ieee_overflow 0
		.amdhsa_exception_fp_ieee_underflow 0
		.amdhsa_exception_fp_ieee_inexact 0
		.amdhsa_exception_int_div_zero 0
	.end_amdhsa_kernel
	.section	.text._ZN7rocprim17ROCPRIM_400000_NS6detail17trampoline_kernelINS0_14default_configENS1_20scan_config_selectorIsEEZZNS1_9scan_implILNS1_25lookback_scan_determinismE0ELb0ELb1ES3_N6thrust23THRUST_200600_302600_NS6detail15normal_iteratorINS9_10device_ptrIsEEEESE_sNS9_10multipliesIsEEsEEDaPvRmT3_T4_T5_mT6_P12ihipStream_tbENKUlT_T0_E_clISt17integral_constantIbLb1EEST_IbLb0EEEEDaSP_SQ_EUlSP_E_NS1_11comp_targetILNS1_3genE0ELNS1_11target_archE4294967295ELNS1_3gpuE0ELNS1_3repE0EEENS1_30default_config_static_selectorELNS0_4arch9wavefront6targetE1EEEvT1_,"axG",@progbits,_ZN7rocprim17ROCPRIM_400000_NS6detail17trampoline_kernelINS0_14default_configENS1_20scan_config_selectorIsEEZZNS1_9scan_implILNS1_25lookback_scan_determinismE0ELb0ELb1ES3_N6thrust23THRUST_200600_302600_NS6detail15normal_iteratorINS9_10device_ptrIsEEEESE_sNS9_10multipliesIsEEsEEDaPvRmT3_T4_T5_mT6_P12ihipStream_tbENKUlT_T0_E_clISt17integral_constantIbLb1EEST_IbLb0EEEEDaSP_SQ_EUlSP_E_NS1_11comp_targetILNS1_3genE0ELNS1_11target_archE4294967295ELNS1_3gpuE0ELNS1_3repE0EEENS1_30default_config_static_selectorELNS0_4arch9wavefront6targetE1EEEvT1_,comdat
.Lfunc_end1159:
	.size	_ZN7rocprim17ROCPRIM_400000_NS6detail17trampoline_kernelINS0_14default_configENS1_20scan_config_selectorIsEEZZNS1_9scan_implILNS1_25lookback_scan_determinismE0ELb0ELb1ES3_N6thrust23THRUST_200600_302600_NS6detail15normal_iteratorINS9_10device_ptrIsEEEESE_sNS9_10multipliesIsEEsEEDaPvRmT3_T4_T5_mT6_P12ihipStream_tbENKUlT_T0_E_clISt17integral_constantIbLb1EEST_IbLb0EEEEDaSP_SQ_EUlSP_E_NS1_11comp_targetILNS1_3genE0ELNS1_11target_archE4294967295ELNS1_3gpuE0ELNS1_3repE0EEENS1_30default_config_static_selectorELNS0_4arch9wavefront6targetE1EEEvT1_, .Lfunc_end1159-_ZN7rocprim17ROCPRIM_400000_NS6detail17trampoline_kernelINS0_14default_configENS1_20scan_config_selectorIsEEZZNS1_9scan_implILNS1_25lookback_scan_determinismE0ELb0ELb1ES3_N6thrust23THRUST_200600_302600_NS6detail15normal_iteratorINS9_10device_ptrIsEEEESE_sNS9_10multipliesIsEEsEEDaPvRmT3_T4_T5_mT6_P12ihipStream_tbENKUlT_T0_E_clISt17integral_constantIbLb1EEST_IbLb0EEEEDaSP_SQ_EUlSP_E_NS1_11comp_targetILNS1_3genE0ELNS1_11target_archE4294967295ELNS1_3gpuE0ELNS1_3repE0EEENS1_30default_config_static_selectorELNS0_4arch9wavefront6targetE1EEEvT1_
                                        ; -- End function
	.section	.AMDGPU.csdata,"",@progbits
; Kernel info:
; codeLenInByte = 0
; NumSgprs: 4
; NumVgprs: 0
; NumAgprs: 0
; TotalNumVgprs: 0
; ScratchSize: 0
; MemoryBound: 0
; FloatMode: 240
; IeeeMode: 1
; LDSByteSize: 0 bytes/workgroup (compile time only)
; SGPRBlocks: 0
; VGPRBlocks: 0
; NumSGPRsForWavesPerEU: 4
; NumVGPRsForWavesPerEU: 1
; AccumOffset: 4
; Occupancy: 8
; WaveLimiterHint : 0
; COMPUTE_PGM_RSRC2:SCRATCH_EN: 0
; COMPUTE_PGM_RSRC2:USER_SGPR: 6
; COMPUTE_PGM_RSRC2:TRAP_HANDLER: 0
; COMPUTE_PGM_RSRC2:TGID_X_EN: 1
; COMPUTE_PGM_RSRC2:TGID_Y_EN: 0
; COMPUTE_PGM_RSRC2:TGID_Z_EN: 0
; COMPUTE_PGM_RSRC2:TIDIG_COMP_CNT: 0
; COMPUTE_PGM_RSRC3_GFX90A:ACCUM_OFFSET: 0
; COMPUTE_PGM_RSRC3_GFX90A:TG_SPLIT: 0
	.section	.text._ZN7rocprim17ROCPRIM_400000_NS6detail17trampoline_kernelINS0_14default_configENS1_20scan_config_selectorIsEEZZNS1_9scan_implILNS1_25lookback_scan_determinismE0ELb0ELb1ES3_N6thrust23THRUST_200600_302600_NS6detail15normal_iteratorINS9_10device_ptrIsEEEESE_sNS9_10multipliesIsEEsEEDaPvRmT3_T4_T5_mT6_P12ihipStream_tbENKUlT_T0_E_clISt17integral_constantIbLb1EEST_IbLb0EEEEDaSP_SQ_EUlSP_E_NS1_11comp_targetILNS1_3genE5ELNS1_11target_archE942ELNS1_3gpuE9ELNS1_3repE0EEENS1_30default_config_static_selectorELNS0_4arch9wavefront6targetE1EEEvT1_,"axG",@progbits,_ZN7rocprim17ROCPRIM_400000_NS6detail17trampoline_kernelINS0_14default_configENS1_20scan_config_selectorIsEEZZNS1_9scan_implILNS1_25lookback_scan_determinismE0ELb0ELb1ES3_N6thrust23THRUST_200600_302600_NS6detail15normal_iteratorINS9_10device_ptrIsEEEESE_sNS9_10multipliesIsEEsEEDaPvRmT3_T4_T5_mT6_P12ihipStream_tbENKUlT_T0_E_clISt17integral_constantIbLb1EEST_IbLb0EEEEDaSP_SQ_EUlSP_E_NS1_11comp_targetILNS1_3genE5ELNS1_11target_archE942ELNS1_3gpuE9ELNS1_3repE0EEENS1_30default_config_static_selectorELNS0_4arch9wavefront6targetE1EEEvT1_,comdat
	.protected	_ZN7rocprim17ROCPRIM_400000_NS6detail17trampoline_kernelINS0_14default_configENS1_20scan_config_selectorIsEEZZNS1_9scan_implILNS1_25lookback_scan_determinismE0ELb0ELb1ES3_N6thrust23THRUST_200600_302600_NS6detail15normal_iteratorINS9_10device_ptrIsEEEESE_sNS9_10multipliesIsEEsEEDaPvRmT3_T4_T5_mT6_P12ihipStream_tbENKUlT_T0_E_clISt17integral_constantIbLb1EEST_IbLb0EEEEDaSP_SQ_EUlSP_E_NS1_11comp_targetILNS1_3genE5ELNS1_11target_archE942ELNS1_3gpuE9ELNS1_3repE0EEENS1_30default_config_static_selectorELNS0_4arch9wavefront6targetE1EEEvT1_ ; -- Begin function _ZN7rocprim17ROCPRIM_400000_NS6detail17trampoline_kernelINS0_14default_configENS1_20scan_config_selectorIsEEZZNS1_9scan_implILNS1_25lookback_scan_determinismE0ELb0ELb1ES3_N6thrust23THRUST_200600_302600_NS6detail15normal_iteratorINS9_10device_ptrIsEEEESE_sNS9_10multipliesIsEEsEEDaPvRmT3_T4_T5_mT6_P12ihipStream_tbENKUlT_T0_E_clISt17integral_constantIbLb1EEST_IbLb0EEEEDaSP_SQ_EUlSP_E_NS1_11comp_targetILNS1_3genE5ELNS1_11target_archE942ELNS1_3gpuE9ELNS1_3repE0EEENS1_30default_config_static_selectorELNS0_4arch9wavefront6targetE1EEEvT1_
	.globl	_ZN7rocprim17ROCPRIM_400000_NS6detail17trampoline_kernelINS0_14default_configENS1_20scan_config_selectorIsEEZZNS1_9scan_implILNS1_25lookback_scan_determinismE0ELb0ELb1ES3_N6thrust23THRUST_200600_302600_NS6detail15normal_iteratorINS9_10device_ptrIsEEEESE_sNS9_10multipliesIsEEsEEDaPvRmT3_T4_T5_mT6_P12ihipStream_tbENKUlT_T0_E_clISt17integral_constantIbLb1EEST_IbLb0EEEEDaSP_SQ_EUlSP_E_NS1_11comp_targetILNS1_3genE5ELNS1_11target_archE942ELNS1_3gpuE9ELNS1_3repE0EEENS1_30default_config_static_selectorELNS0_4arch9wavefront6targetE1EEEvT1_
	.p2align	8
	.type	_ZN7rocprim17ROCPRIM_400000_NS6detail17trampoline_kernelINS0_14default_configENS1_20scan_config_selectorIsEEZZNS1_9scan_implILNS1_25lookback_scan_determinismE0ELb0ELb1ES3_N6thrust23THRUST_200600_302600_NS6detail15normal_iteratorINS9_10device_ptrIsEEEESE_sNS9_10multipliesIsEEsEEDaPvRmT3_T4_T5_mT6_P12ihipStream_tbENKUlT_T0_E_clISt17integral_constantIbLb1EEST_IbLb0EEEEDaSP_SQ_EUlSP_E_NS1_11comp_targetILNS1_3genE5ELNS1_11target_archE942ELNS1_3gpuE9ELNS1_3repE0EEENS1_30default_config_static_selectorELNS0_4arch9wavefront6targetE1EEEvT1_,@function
_ZN7rocprim17ROCPRIM_400000_NS6detail17trampoline_kernelINS0_14default_configENS1_20scan_config_selectorIsEEZZNS1_9scan_implILNS1_25lookback_scan_determinismE0ELb0ELb1ES3_N6thrust23THRUST_200600_302600_NS6detail15normal_iteratorINS9_10device_ptrIsEEEESE_sNS9_10multipliesIsEEsEEDaPvRmT3_T4_T5_mT6_P12ihipStream_tbENKUlT_T0_E_clISt17integral_constantIbLb1EEST_IbLb0EEEEDaSP_SQ_EUlSP_E_NS1_11comp_targetILNS1_3genE5ELNS1_11target_archE942ELNS1_3gpuE9ELNS1_3repE0EEENS1_30default_config_static_selectorELNS0_4arch9wavefront6targetE1EEEvT1_: ; @_ZN7rocprim17ROCPRIM_400000_NS6detail17trampoline_kernelINS0_14default_configENS1_20scan_config_selectorIsEEZZNS1_9scan_implILNS1_25lookback_scan_determinismE0ELb0ELb1ES3_N6thrust23THRUST_200600_302600_NS6detail15normal_iteratorINS9_10device_ptrIsEEEESE_sNS9_10multipliesIsEEsEEDaPvRmT3_T4_T5_mT6_P12ihipStream_tbENKUlT_T0_E_clISt17integral_constantIbLb1EEST_IbLb0EEEEDaSP_SQ_EUlSP_E_NS1_11comp_targetILNS1_3genE5ELNS1_11target_archE942ELNS1_3gpuE9ELNS1_3repE0EEENS1_30default_config_static_selectorELNS0_4arch9wavefront6targetE1EEEvT1_
; %bb.0:
	.section	.rodata,"a",@progbits
	.p2align	6, 0x0
	.amdhsa_kernel _ZN7rocprim17ROCPRIM_400000_NS6detail17trampoline_kernelINS0_14default_configENS1_20scan_config_selectorIsEEZZNS1_9scan_implILNS1_25lookback_scan_determinismE0ELb0ELb1ES3_N6thrust23THRUST_200600_302600_NS6detail15normal_iteratorINS9_10device_ptrIsEEEESE_sNS9_10multipliesIsEEsEEDaPvRmT3_T4_T5_mT6_P12ihipStream_tbENKUlT_T0_E_clISt17integral_constantIbLb1EEST_IbLb0EEEEDaSP_SQ_EUlSP_E_NS1_11comp_targetILNS1_3genE5ELNS1_11target_archE942ELNS1_3gpuE9ELNS1_3repE0EEENS1_30default_config_static_selectorELNS0_4arch9wavefront6targetE1EEEvT1_
		.amdhsa_group_segment_fixed_size 0
		.amdhsa_private_segment_fixed_size 0
		.amdhsa_kernarg_size 96
		.amdhsa_user_sgpr_count 6
		.amdhsa_user_sgpr_private_segment_buffer 1
		.amdhsa_user_sgpr_dispatch_ptr 0
		.amdhsa_user_sgpr_queue_ptr 0
		.amdhsa_user_sgpr_kernarg_segment_ptr 1
		.amdhsa_user_sgpr_dispatch_id 0
		.amdhsa_user_sgpr_flat_scratch_init 0
		.amdhsa_user_sgpr_kernarg_preload_length 0
		.amdhsa_user_sgpr_kernarg_preload_offset 0
		.amdhsa_user_sgpr_private_segment_size 0
		.amdhsa_uses_dynamic_stack 0
		.amdhsa_system_sgpr_private_segment_wavefront_offset 0
		.amdhsa_system_sgpr_workgroup_id_x 1
		.amdhsa_system_sgpr_workgroup_id_y 0
		.amdhsa_system_sgpr_workgroup_id_z 0
		.amdhsa_system_sgpr_workgroup_info 0
		.amdhsa_system_vgpr_workitem_id 0
		.amdhsa_next_free_vgpr 1
		.amdhsa_next_free_sgpr 0
		.amdhsa_accum_offset 4
		.amdhsa_reserve_vcc 0
		.amdhsa_reserve_flat_scratch 0
		.amdhsa_float_round_mode_32 0
		.amdhsa_float_round_mode_16_64 0
		.amdhsa_float_denorm_mode_32 3
		.amdhsa_float_denorm_mode_16_64 3
		.amdhsa_dx10_clamp 1
		.amdhsa_ieee_mode 1
		.amdhsa_fp16_overflow 0
		.amdhsa_tg_split 0
		.amdhsa_exception_fp_ieee_invalid_op 0
		.amdhsa_exception_fp_denorm_src 0
		.amdhsa_exception_fp_ieee_div_zero 0
		.amdhsa_exception_fp_ieee_overflow 0
		.amdhsa_exception_fp_ieee_underflow 0
		.amdhsa_exception_fp_ieee_inexact 0
		.amdhsa_exception_int_div_zero 0
	.end_amdhsa_kernel
	.section	.text._ZN7rocprim17ROCPRIM_400000_NS6detail17trampoline_kernelINS0_14default_configENS1_20scan_config_selectorIsEEZZNS1_9scan_implILNS1_25lookback_scan_determinismE0ELb0ELb1ES3_N6thrust23THRUST_200600_302600_NS6detail15normal_iteratorINS9_10device_ptrIsEEEESE_sNS9_10multipliesIsEEsEEDaPvRmT3_T4_T5_mT6_P12ihipStream_tbENKUlT_T0_E_clISt17integral_constantIbLb1EEST_IbLb0EEEEDaSP_SQ_EUlSP_E_NS1_11comp_targetILNS1_3genE5ELNS1_11target_archE942ELNS1_3gpuE9ELNS1_3repE0EEENS1_30default_config_static_selectorELNS0_4arch9wavefront6targetE1EEEvT1_,"axG",@progbits,_ZN7rocprim17ROCPRIM_400000_NS6detail17trampoline_kernelINS0_14default_configENS1_20scan_config_selectorIsEEZZNS1_9scan_implILNS1_25lookback_scan_determinismE0ELb0ELb1ES3_N6thrust23THRUST_200600_302600_NS6detail15normal_iteratorINS9_10device_ptrIsEEEESE_sNS9_10multipliesIsEEsEEDaPvRmT3_T4_T5_mT6_P12ihipStream_tbENKUlT_T0_E_clISt17integral_constantIbLb1EEST_IbLb0EEEEDaSP_SQ_EUlSP_E_NS1_11comp_targetILNS1_3genE5ELNS1_11target_archE942ELNS1_3gpuE9ELNS1_3repE0EEENS1_30default_config_static_selectorELNS0_4arch9wavefront6targetE1EEEvT1_,comdat
.Lfunc_end1160:
	.size	_ZN7rocprim17ROCPRIM_400000_NS6detail17trampoline_kernelINS0_14default_configENS1_20scan_config_selectorIsEEZZNS1_9scan_implILNS1_25lookback_scan_determinismE0ELb0ELb1ES3_N6thrust23THRUST_200600_302600_NS6detail15normal_iteratorINS9_10device_ptrIsEEEESE_sNS9_10multipliesIsEEsEEDaPvRmT3_T4_T5_mT6_P12ihipStream_tbENKUlT_T0_E_clISt17integral_constantIbLb1EEST_IbLb0EEEEDaSP_SQ_EUlSP_E_NS1_11comp_targetILNS1_3genE5ELNS1_11target_archE942ELNS1_3gpuE9ELNS1_3repE0EEENS1_30default_config_static_selectorELNS0_4arch9wavefront6targetE1EEEvT1_, .Lfunc_end1160-_ZN7rocprim17ROCPRIM_400000_NS6detail17trampoline_kernelINS0_14default_configENS1_20scan_config_selectorIsEEZZNS1_9scan_implILNS1_25lookback_scan_determinismE0ELb0ELb1ES3_N6thrust23THRUST_200600_302600_NS6detail15normal_iteratorINS9_10device_ptrIsEEEESE_sNS9_10multipliesIsEEsEEDaPvRmT3_T4_T5_mT6_P12ihipStream_tbENKUlT_T0_E_clISt17integral_constantIbLb1EEST_IbLb0EEEEDaSP_SQ_EUlSP_E_NS1_11comp_targetILNS1_3genE5ELNS1_11target_archE942ELNS1_3gpuE9ELNS1_3repE0EEENS1_30default_config_static_selectorELNS0_4arch9wavefront6targetE1EEEvT1_
                                        ; -- End function
	.section	.AMDGPU.csdata,"",@progbits
; Kernel info:
; codeLenInByte = 0
; NumSgprs: 4
; NumVgprs: 0
; NumAgprs: 0
; TotalNumVgprs: 0
; ScratchSize: 0
; MemoryBound: 0
; FloatMode: 240
; IeeeMode: 1
; LDSByteSize: 0 bytes/workgroup (compile time only)
; SGPRBlocks: 0
; VGPRBlocks: 0
; NumSGPRsForWavesPerEU: 4
; NumVGPRsForWavesPerEU: 1
; AccumOffset: 4
; Occupancy: 8
; WaveLimiterHint : 0
; COMPUTE_PGM_RSRC2:SCRATCH_EN: 0
; COMPUTE_PGM_RSRC2:USER_SGPR: 6
; COMPUTE_PGM_RSRC2:TRAP_HANDLER: 0
; COMPUTE_PGM_RSRC2:TGID_X_EN: 1
; COMPUTE_PGM_RSRC2:TGID_Y_EN: 0
; COMPUTE_PGM_RSRC2:TGID_Z_EN: 0
; COMPUTE_PGM_RSRC2:TIDIG_COMP_CNT: 0
; COMPUTE_PGM_RSRC3_GFX90A:ACCUM_OFFSET: 0
; COMPUTE_PGM_RSRC3_GFX90A:TG_SPLIT: 0
	.section	.text._ZN7rocprim17ROCPRIM_400000_NS6detail17trampoline_kernelINS0_14default_configENS1_20scan_config_selectorIsEEZZNS1_9scan_implILNS1_25lookback_scan_determinismE0ELb0ELb1ES3_N6thrust23THRUST_200600_302600_NS6detail15normal_iteratorINS9_10device_ptrIsEEEESE_sNS9_10multipliesIsEEsEEDaPvRmT3_T4_T5_mT6_P12ihipStream_tbENKUlT_T0_E_clISt17integral_constantIbLb1EEST_IbLb0EEEEDaSP_SQ_EUlSP_E_NS1_11comp_targetILNS1_3genE4ELNS1_11target_archE910ELNS1_3gpuE8ELNS1_3repE0EEENS1_30default_config_static_selectorELNS0_4arch9wavefront6targetE1EEEvT1_,"axG",@progbits,_ZN7rocprim17ROCPRIM_400000_NS6detail17trampoline_kernelINS0_14default_configENS1_20scan_config_selectorIsEEZZNS1_9scan_implILNS1_25lookback_scan_determinismE0ELb0ELb1ES3_N6thrust23THRUST_200600_302600_NS6detail15normal_iteratorINS9_10device_ptrIsEEEESE_sNS9_10multipliesIsEEsEEDaPvRmT3_T4_T5_mT6_P12ihipStream_tbENKUlT_T0_E_clISt17integral_constantIbLb1EEST_IbLb0EEEEDaSP_SQ_EUlSP_E_NS1_11comp_targetILNS1_3genE4ELNS1_11target_archE910ELNS1_3gpuE8ELNS1_3repE0EEENS1_30default_config_static_selectorELNS0_4arch9wavefront6targetE1EEEvT1_,comdat
	.protected	_ZN7rocprim17ROCPRIM_400000_NS6detail17trampoline_kernelINS0_14default_configENS1_20scan_config_selectorIsEEZZNS1_9scan_implILNS1_25lookback_scan_determinismE0ELb0ELb1ES3_N6thrust23THRUST_200600_302600_NS6detail15normal_iteratorINS9_10device_ptrIsEEEESE_sNS9_10multipliesIsEEsEEDaPvRmT3_T4_T5_mT6_P12ihipStream_tbENKUlT_T0_E_clISt17integral_constantIbLb1EEST_IbLb0EEEEDaSP_SQ_EUlSP_E_NS1_11comp_targetILNS1_3genE4ELNS1_11target_archE910ELNS1_3gpuE8ELNS1_3repE0EEENS1_30default_config_static_selectorELNS0_4arch9wavefront6targetE1EEEvT1_ ; -- Begin function _ZN7rocprim17ROCPRIM_400000_NS6detail17trampoline_kernelINS0_14default_configENS1_20scan_config_selectorIsEEZZNS1_9scan_implILNS1_25lookback_scan_determinismE0ELb0ELb1ES3_N6thrust23THRUST_200600_302600_NS6detail15normal_iteratorINS9_10device_ptrIsEEEESE_sNS9_10multipliesIsEEsEEDaPvRmT3_T4_T5_mT6_P12ihipStream_tbENKUlT_T0_E_clISt17integral_constantIbLb1EEST_IbLb0EEEEDaSP_SQ_EUlSP_E_NS1_11comp_targetILNS1_3genE4ELNS1_11target_archE910ELNS1_3gpuE8ELNS1_3repE0EEENS1_30default_config_static_selectorELNS0_4arch9wavefront6targetE1EEEvT1_
	.globl	_ZN7rocprim17ROCPRIM_400000_NS6detail17trampoline_kernelINS0_14default_configENS1_20scan_config_selectorIsEEZZNS1_9scan_implILNS1_25lookback_scan_determinismE0ELb0ELb1ES3_N6thrust23THRUST_200600_302600_NS6detail15normal_iteratorINS9_10device_ptrIsEEEESE_sNS9_10multipliesIsEEsEEDaPvRmT3_T4_T5_mT6_P12ihipStream_tbENKUlT_T0_E_clISt17integral_constantIbLb1EEST_IbLb0EEEEDaSP_SQ_EUlSP_E_NS1_11comp_targetILNS1_3genE4ELNS1_11target_archE910ELNS1_3gpuE8ELNS1_3repE0EEENS1_30default_config_static_selectorELNS0_4arch9wavefront6targetE1EEEvT1_
	.p2align	8
	.type	_ZN7rocprim17ROCPRIM_400000_NS6detail17trampoline_kernelINS0_14default_configENS1_20scan_config_selectorIsEEZZNS1_9scan_implILNS1_25lookback_scan_determinismE0ELb0ELb1ES3_N6thrust23THRUST_200600_302600_NS6detail15normal_iteratorINS9_10device_ptrIsEEEESE_sNS9_10multipliesIsEEsEEDaPvRmT3_T4_T5_mT6_P12ihipStream_tbENKUlT_T0_E_clISt17integral_constantIbLb1EEST_IbLb0EEEEDaSP_SQ_EUlSP_E_NS1_11comp_targetILNS1_3genE4ELNS1_11target_archE910ELNS1_3gpuE8ELNS1_3repE0EEENS1_30default_config_static_selectorELNS0_4arch9wavefront6targetE1EEEvT1_,@function
_ZN7rocprim17ROCPRIM_400000_NS6detail17trampoline_kernelINS0_14default_configENS1_20scan_config_selectorIsEEZZNS1_9scan_implILNS1_25lookback_scan_determinismE0ELb0ELb1ES3_N6thrust23THRUST_200600_302600_NS6detail15normal_iteratorINS9_10device_ptrIsEEEESE_sNS9_10multipliesIsEEsEEDaPvRmT3_T4_T5_mT6_P12ihipStream_tbENKUlT_T0_E_clISt17integral_constantIbLb1EEST_IbLb0EEEEDaSP_SQ_EUlSP_E_NS1_11comp_targetILNS1_3genE4ELNS1_11target_archE910ELNS1_3gpuE8ELNS1_3repE0EEENS1_30default_config_static_selectorELNS0_4arch9wavefront6targetE1EEEvT1_: ; @_ZN7rocprim17ROCPRIM_400000_NS6detail17trampoline_kernelINS0_14default_configENS1_20scan_config_selectorIsEEZZNS1_9scan_implILNS1_25lookback_scan_determinismE0ELb0ELb1ES3_N6thrust23THRUST_200600_302600_NS6detail15normal_iteratorINS9_10device_ptrIsEEEESE_sNS9_10multipliesIsEEsEEDaPvRmT3_T4_T5_mT6_P12ihipStream_tbENKUlT_T0_E_clISt17integral_constantIbLb1EEST_IbLb0EEEEDaSP_SQ_EUlSP_E_NS1_11comp_targetILNS1_3genE4ELNS1_11target_archE910ELNS1_3gpuE8ELNS1_3repE0EEENS1_30default_config_static_selectorELNS0_4arch9wavefront6targetE1EEEvT1_
; %bb.0:
	s_load_dwordx8 s[16:23], s[4:5], 0x0
	s_load_dword s1, s[4:5], 0x30
	s_mul_i32 s0, s6, 0x600
	v_lshlrev_b32_e32 v20, 1, v0
	s_waitcnt lgkmcnt(0)
	s_lshl_b64 s[24:25], s[18:19], 1
	s_add_u32 s2, s16, s24
	s_addc_u32 s3, s17, s25
	s_add_i32 s7, s1, -1
	s_mul_i32 s8, s7, 0x600
	s_sub_u32 s30, s22, s8
	s_subb_u32 s31, s23, 0
	s_mov_b32 s1, 0
	s_cmp_lg_u32 s6, s7
	s_cselect_b64 s[22:23], -1, 0
	s_lshl_b64 s[26:27], s[0:1], 1
	s_add_u32 s2, s2, s26
	s_addc_u32 s3, s3, s27
	s_mov_b64 s[0:1], -1
	s_and_b64 vcc, exec, s[22:23]
	s_cbranch_vccz .LBB1161_2
; %bb.1:
	v_mov_b32_e32 v1, s3
	v_add_co_u32_e32 v2, vcc, s2, v20
	v_addc_co_u32_e32 v3, vcc, 0, v1, vcc
	flat_load_ushort v1, v[2:3]
	flat_load_ushort v4, v[2:3] offset:128
	flat_load_ushort v5, v[2:3] offset:256
	;; [unrolled: 1-line block ×23, first 2 shown]
	s_mov_b64 s[0:1], 0
	s_waitcnt vmcnt(0) lgkmcnt(0)
	ds_write_b16 v20, v1
	ds_write_b16 v20, v4 offset:128
	ds_write_b16 v20, v5 offset:256
	;; [unrolled: 1-line block ×23, first 2 shown]
	s_waitcnt lgkmcnt(0)
	; wave barrier
.LBB1161_2:
	s_load_dwordx2 s[28:29], s[4:5], 0x28
	s_andn2_b64 vcc, exec, s[0:1]
	v_cmp_gt_u32_e64 s[0:1], s30, v0
	s_cbranch_vccnz .LBB1161_52
; %bb.3:
	v_pk_mov_b32 v[2:3], s[2:3], s[2:3] op_sel:[0,1]
	flat_load_ushort v1, v[2:3]
	s_waitcnt vmcnt(0) lgkmcnt(0)
	v_mov_b32_e32 v2, v1
	s_and_saveexec_b64 s[8:9], s[0:1]
	s_cbranch_execz .LBB1161_5
; %bb.4:
	v_mov_b32_e32 v3, s3
	v_add_co_u32_e32 v2, vcc, s2, v20
	v_addc_co_u32_e32 v3, vcc, 0, v3, vcc
	flat_load_ushort v2, v[2:3]
.LBB1161_5:
	s_or_b64 exec, exec, s[8:9]
	v_or_b32_e32 v3, 64, v0
	v_cmp_gt_u32_e32 vcc, s30, v3
	v_mov_b32_e32 v3, v1
	s_and_saveexec_b64 s[0:1], vcc
	s_cbranch_execz .LBB1161_7
; %bb.6:
	v_mov_b32_e32 v3, s3
	v_add_co_u32_e32 v4, vcc, s2, v20
	v_addc_co_u32_e32 v5, vcc, 0, v3, vcc
	flat_load_ushort v3, v[4:5] offset:128
.LBB1161_7:
	s_or_b64 exec, exec, s[0:1]
	v_or_b32_e32 v4, 0x80, v0
	v_cmp_gt_u32_e32 vcc, s30, v4
	v_mov_b32_e32 v4, v1
	s_and_saveexec_b64 s[0:1], vcc
	s_cbranch_execz .LBB1161_9
; %bb.8:
	v_mov_b32_e32 v5, s3
	v_add_co_u32_e32 v4, vcc, s2, v20
	v_addc_co_u32_e32 v5, vcc, 0, v5, vcc
	flat_load_ushort v4, v[4:5] offset:256
.LBB1161_9:
	;; [unrolled: 12-line block ×22, first 2 shown]
	s_or_b64 exec, exec, s[0:1]
	v_or_b32_e32 v26, 0x5c0, v0
	v_cmp_gt_u32_e32 vcc, s30, v26
	s_and_saveexec_b64 s[0:1], vcc
	s_cbranch_execz .LBB1161_51
; %bb.50:
	v_mov_b32_e32 v1, s3
	v_add_co_u32_e32 v26, vcc, s2, v20
	v_addc_co_u32_e32 v27, vcc, 0, v1, vcc
	flat_load_ushort v1, v[26:27] offset:2944
.LBB1161_51:
	s_or_b64 exec, exec, s[0:1]
	s_waitcnt vmcnt(0) lgkmcnt(0)
	ds_write_b16 v20, v2
	ds_write_b16 v20, v3 offset:128
	ds_write_b16 v20, v4 offset:256
	;; [unrolled: 1-line block ×23, first 2 shown]
	s_waitcnt lgkmcnt(0)
	; wave barrier
.LBB1161_52:
	v_mul_u32_u24_e32 v21, 24, v0
	v_lshlrev_b32_e32 v1, 1, v21
	s_waitcnt lgkmcnt(0)
	ds_read_b128 v[10:13], v1
	ds_read_b128 v[6:9], v1 offset:16
	ds_read_b128 v[2:5], v1 offset:32
	s_cmp_lg_u32 s6, 0
	v_mbcnt_lo_u32_b32 v22, -1, 0
	v_cmp_eq_u32_e32 vcc, 63, v0
	s_waitcnt lgkmcnt(0)
	; wave barrier
	s_waitcnt lgkmcnt(0)
	s_cbranch_scc0 .LBB1161_79
; %bb.53:
	v_mul_lo_u16_sdwa v14, v10, v10 dst_sel:DWORD dst_unused:UNUSED_PAD src0_sel:WORD_1 src1_sel:DWORD
	v_mul_lo_u16_e32 v14, v14, v11
	v_mul_lo_u16_sdwa v14, v14, v11 dst_sel:DWORD dst_unused:UNUSED_PAD src0_sel:DWORD src1_sel:WORD_1
	v_mul_lo_u16_e32 v14, v14, v12
	v_mul_lo_u16_sdwa v14, v14, v12 dst_sel:DWORD dst_unused:UNUSED_PAD src0_sel:DWORD src1_sel:WORD_1
	;; [unrolled: 2-line block ×11, first 2 shown]
	v_mbcnt_hi_u32_b32 v15, -1, v22
	v_and_b32_e32 v16, 15, v15
	v_mov_b32_dpp v17, v14 row_shr:1 row_mask:0xf bank_mask:0xf
	v_mul_lo_u16_e32 v17, v14, v17
	v_cmp_eq_u32_e64 s[0:1], 0, v16
	v_cndmask_b32_e64 v14, v17, v14, s[0:1]
	v_cmp_lt_u32_e64 s[0:1], 1, v16
	s_nop 0
	v_mov_b32_dpp v17, v14 row_shr:2 row_mask:0xf bank_mask:0xf
	v_mul_lo_u16_e32 v17, v14, v17
	v_cndmask_b32_e64 v14, v14, v17, s[0:1]
	v_cmp_lt_u32_e64 s[0:1], 3, v16
	s_nop 0
	v_mov_b32_dpp v17, v14 row_shr:4 row_mask:0xf bank_mask:0xf
	v_mul_lo_u16_e32 v17, v14, v17
	v_cndmask_b32_e64 v14, v14, v17, s[0:1]
	v_cmp_lt_u32_e64 s[0:1], 7, v16
	s_nop 0
	v_mov_b32_dpp v17, v14 row_shr:8 row_mask:0xf bank_mask:0xf
	v_mul_lo_u16_e32 v17, v14, v17
	v_cndmask_b32_e64 v14, v14, v17, s[0:1]
	v_and_b32_e32 v17, 16, v15
	v_cmp_eq_u32_e64 s[0:1], 0, v17
	v_mov_b32_dpp v16, v14 row_bcast:15 row_mask:0xf bank_mask:0xf
	v_mul_lo_u16_e32 v16, v14, v16
	v_cndmask_b32_e64 v14, v16, v14, s[0:1]
	v_cmp_lt_u32_e64 s[0:1], 31, v15
	s_nop 0
	v_mov_b32_dpp v16, v14 row_bcast:31 row_mask:0xf bank_mask:0xf
	v_cndmask_b32_e64 v16, 1, v16, s[0:1]
	v_mul_lo_u16_e32 v14, v14, v16
	s_and_saveexec_b64 s[0:1], vcc
	s_cbranch_execz .LBB1161_55
; %bb.54:
	v_mov_b32_e32 v16, 0
	ds_write_b16 v16, v14
.LBB1161_55:
	s_or_b64 exec, exec, s[0:1]
	v_add_u32_e32 v16, -1, v15
	v_and_b32_e32 v17, 64, v15
	v_cmp_lt_i32_e32 vcc, v16, v17
	v_cndmask_b32_e32 v16, v16, v15, vcc
	v_lshlrev_b32_e32 v16, 2, v16
	ds_bpermute_b32 v23, v16, v14
	v_cmp_gt_u32_e32 vcc, 64, v0
	s_waitcnt lgkmcnt(0)
	; wave barrier
	s_waitcnt lgkmcnt(0)
	s_and_saveexec_b64 s[10:11], vcc
	s_cbranch_execz .LBB1161_78
; %bb.56:
	v_mov_b32_e32 v19, 0
	ds_read_u16 v24, v19
	s_mov_b32 s9, 0
	v_cmp_eq_u32_e64 s[0:1], 0, v15
	s_and_saveexec_b64 s[2:3], s[0:1]
	s_cbranch_execz .LBB1161_58
; %bb.57:
	s_add_i32 s8, s6, 64
	s_lshl_b64 s[8:9], s[8:9], 2
	s_add_u32 s8, s28, s8
	s_waitcnt lgkmcnt(0)
	v_or_b32_e32 v14, 0x10000, v24
	s_addc_u32 s9, s29, s9
	global_store_dword v19, v14, s[8:9]
.LBB1161_58:
	s_or_b64 exec, exec, s[2:3]
	v_xad_u32 v14, v15, -1, s6
	v_add_u32_e32 v18, 64, v14
	v_lshlrev_b64 v[16:17], 2, v[18:19]
	v_mov_b32_e32 v18, s29
	v_add_co_u32_e32 v16, vcc, s28, v16
	v_addc_co_u32_e32 v17, vcc, v18, v17, vcc
	global_load_dword v18, v[16:17], off glc
	s_waitcnt vmcnt(0)
	v_lshrrev_b32_e32 v28, 16, v18
	v_cmp_eq_u16_sdwa s[8:9], v28, v19 src0_sel:BYTE_0 src1_sel:DWORD
	s_and_saveexec_b64 s[2:3], s[8:9]
	s_cbranch_execz .LBB1161_64
; %bb.59:
	s_mov_b32 s7, 1
	s_mov_b64 s[8:9], 0
	v_mov_b32_e32 v19, 0
.LBB1161_60:                            ; =>This Loop Header: Depth=1
                                        ;     Child Loop BB1161_61 Depth 2
	s_max_u32 s12, s7, 1
.LBB1161_61:                            ;   Parent Loop BB1161_60 Depth=1
                                        ; =>  This Inner Loop Header: Depth=2
	s_add_i32 s12, s12, -1
	s_cmp_eq_u32 s12, 0
	s_sleep 1
	s_cbranch_scc0 .LBB1161_61
; %bb.62:                               ;   in Loop: Header=BB1161_60 Depth=1
	global_load_dword v18, v[16:17], off glc
	s_cmp_lt_u32 s7, 32
	s_cselect_b64 s[12:13], -1, 0
	s_cmp_lg_u64 s[12:13], 0
	s_addc_u32 s7, s7, 0
	s_waitcnt vmcnt(0)
	v_lshrrev_b32_e32 v28, 16, v18
	v_cmp_ne_u16_sdwa s[12:13], v28, v19 src0_sel:BYTE_0 src1_sel:DWORD
	s_or_b64 s[8:9], s[12:13], s[8:9]
	s_andn2_b64 exec, exec, s[8:9]
	s_cbranch_execnz .LBB1161_60
; %bb.63:
	s_or_b64 exec, exec, s[8:9]
.LBB1161_64:
	s_or_b64 exec, exec, s[2:3]
	v_and_b32_e32 v26, 63, v15
	v_cmp_ne_u32_e32 vcc, 63, v26
	v_mov_b32_e32 v25, 2
	v_addc_co_u32_e32 v27, vcc, 0, v15, vcc
	v_cmp_eq_u16_sdwa s[2:3], v28, v25 src0_sel:BYTE_0 src1_sel:DWORD
	v_lshlrev_b64 v[16:17], v15, -1
	v_and_b32_e32 v30, 0xffff, v18
	v_lshlrev_b32_e32 v27, 2, v27
	v_and_b32_e32 v19, s3, v17
	ds_bpermute_b32 v31, v27, v30
	v_or_b32_e32 v19, 0x80000000, v19
	v_and_b32_e32 v29, s2, v16
	v_ffbl_b32_e32 v19, v19
	v_add_u32_e32 v19, 32, v19
	v_ffbl_b32_e32 v29, v29
	v_cmp_gt_u32_e64 s[2:3], 62, v26
	v_min_u32_e32 v19, v29, v19
	v_cndmask_b32_e64 v29, 0, 1, s[2:3]
	s_waitcnt lgkmcnt(0)
	v_mul_lo_u16_e32 v31, v31, v18
	v_cmp_lt_u32_e32 vcc, v26, v19
	v_lshlrev_b32_e32 v29, 1, v29
	v_cndmask_b32_e32 v32, v30, v31, vcc
	v_add_lshl_u32 v29, v29, v15, 2
	ds_bpermute_b32 v33, v29, v32
	v_cmp_gt_u32_e64 s[8:9], 60, v26
	v_cndmask_b32_e32 v34, v18, v31, vcc
	v_add_u32_e32 v30, 2, v26
	v_cndmask_b32_e64 v31, 0, 1, s[8:9]
	s_waitcnt lgkmcnt(0)
	v_mul_lo_u16_e32 v33, v34, v33
	v_cmp_gt_u32_e64 s[2:3], v30, v19
	v_lshlrev_b32_e32 v31, 2, v31
	v_cndmask_b32_e64 v35, v33, v32, s[2:3]
	v_add_lshl_u32 v31, v31, v15, 2
	ds_bpermute_b32 v36, v31, v35
	v_cmp_gt_u32_e64 s[8:9], 56, v26
	v_cndmask_b32_e64 v34, v33, v34, s[2:3]
	v_add_u32_e32 v32, 4, v26
	v_cndmask_b32_e64 v33, 0, 1, s[8:9]
	s_waitcnt lgkmcnt(0)
	v_mul_lo_u16_e32 v36, v34, v36
	v_cmp_gt_u32_e64 s[2:3], v32, v19
	v_lshlrev_b32_e32 v33, 3, v33
	v_cndmask_b32_e64 v35, v36, v35, s[2:3]
	v_add_lshl_u32 v33, v33, v15, 2
	ds_bpermute_b32 v37, v33, v35
	v_cndmask_b32_e64 v36, v36, v34, s[2:3]
	v_add_u32_e32 v34, 8, v26
	v_cmp_gt_u32_e64 s[2:3], v34, v19
	v_cmp_gt_u32_e64 s[8:9], 48, v26
	s_waitcnt lgkmcnt(0)
	v_mul_lo_u16_e32 v37, v36, v37
	v_cndmask_b32_e64 v38, v37, v35, s[2:3]
	v_cndmask_b32_e64 v35, 0, 1, s[8:9]
	v_lshlrev_b32_e32 v35, 4, v35
	v_add_lshl_u32 v35, v35, v15, 2
	ds_bpermute_b32 v39, v35, v38
	v_cndmask_b32_e64 v37, v37, v36, s[2:3]
	v_add_u32_e32 v36, 16, v26
	v_cmp_gt_u32_e64 s[2:3], v36, v19
	v_cmp_gt_u32_e64 s[8:9], 32, v26
	s_waitcnt lgkmcnt(0)
	v_mul_lo_u16_e32 v40, v37, v39
	v_cndmask_b32_e64 v39, v40, v38, s[2:3]
	v_cndmask_b32_e64 v38, 0, 1, s[8:9]
	v_lshlrev_b32_e32 v38, 5, v38
	v_add_lshl_u32 v38, v38, v15, 2
	ds_bpermute_b32 v15, v38, v39
	v_add_u32_e32 v39, 32, v26
	v_cndmask_b32_e64 v37, v40, v37, s[2:3]
	v_cmp_le_u32_e64 s[2:3], v39, v19
	s_waitcnt lgkmcnt(0)
	v_cndmask_b32_e64 v15, 1, v15, s[2:3]
	v_mul_lo_u16_e32 v15, v37, v15
	v_cndmask_b32_e32 v18, v18, v15, vcc
	v_mov_b32_e32 v15, 0
	s_branch .LBB1161_66
.LBB1161_65:                            ;   in Loop: Header=BB1161_66 Depth=1
	s_or_b64 exec, exec, s[2:3]
	v_cmp_eq_u16_sdwa s[2:3], v28, v25 src0_sel:BYTE_0 src1_sel:DWORD
	v_and_b32_e32 v41, 0xffff, v40
	v_and_b32_e32 v18, s3, v17
	ds_bpermute_b32 v42, v27, v41
	v_or_b32_e32 v18, 0x80000000, v18
	v_and_b32_e32 v19, s2, v16
	v_ffbl_b32_e32 v18, v18
	v_add_u32_e32 v18, 32, v18
	v_ffbl_b32_e32 v19, v19
	v_min_u32_e32 v18, v19, v18
	s_waitcnt lgkmcnt(0)
	v_mul_lo_u16_e32 v19, v42, v40
	v_cmp_lt_u32_e32 vcc, v26, v18
	v_cndmask_b32_e32 v41, v41, v19, vcc
	ds_bpermute_b32 v42, v29, v41
	v_cndmask_b32_e32 v19, v40, v19, vcc
	v_cmp_gt_u32_e64 s[2:3], v30, v18
	v_subrev_u32_e32 v14, 64, v14
	s_waitcnt lgkmcnt(0)
	v_mul_lo_u16_e32 v42, v19, v42
	v_cndmask_b32_e64 v41, v42, v41, s[2:3]
	ds_bpermute_b32 v43, v31, v41
	v_cndmask_b32_e64 v19, v42, v19, s[2:3]
	v_cmp_gt_u32_e64 s[2:3], v32, v18
	s_waitcnt lgkmcnt(0)
	v_mul_lo_u16_e32 v42, v19, v43
	v_cndmask_b32_e64 v41, v42, v41, s[2:3]
	ds_bpermute_b32 v43, v33, v41
	v_cndmask_b32_e64 v19, v42, v19, s[2:3]
	v_cmp_gt_u32_e64 s[2:3], v34, v18
	;; [unrolled: 6-line block ×3, first 2 shown]
	s_waitcnt lgkmcnt(0)
	v_mul_lo_u16_e32 v42, v19, v43
	v_cndmask_b32_e64 v41, v42, v41, s[2:3]
	ds_bpermute_b32 v41, v38, v41
	v_cndmask_b32_e64 v19, v42, v19, s[2:3]
	v_cmp_le_u32_e64 s[2:3], v39, v18
	s_waitcnt lgkmcnt(0)
	v_cndmask_b32_e64 v18, 1, v41, s[2:3]
	v_mul_lo_u16_e32 v18, v19, v18
	v_cndmask_b32_e32 v18, v40, v18, vcc
	v_mul_lo_u16_e32 v18, v18, v37
.LBB1161_66:                            ; =>This Loop Header: Depth=1
                                        ;     Child Loop BB1161_69 Depth 2
                                        ;       Child Loop BB1161_70 Depth 3
	v_cmp_ne_u16_sdwa s[2:3], v28, v25 src0_sel:BYTE_0 src1_sel:DWORD
	v_cndmask_b32_e64 v19, 0, 1, s[2:3]
	;;#ASMSTART
	;;#ASMEND
	v_cmp_ne_u32_e32 vcc, 0, v19
	s_cmp_lg_u64 vcc, exec
	v_mov_b32_e32 v37, v18
	s_cbranch_scc1 .LBB1161_73
; %bb.67:                               ;   in Loop: Header=BB1161_66 Depth=1
	v_lshlrev_b64 v[18:19], 2, v[14:15]
	v_mov_b32_e32 v28, s29
	v_add_co_u32_e32 v18, vcc, s28, v18
	v_addc_co_u32_e32 v19, vcc, v28, v19, vcc
	global_load_dword v40, v[18:19], off glc
	s_waitcnt vmcnt(0)
	v_lshrrev_b32_e32 v28, 16, v40
	v_cmp_eq_u16_sdwa s[8:9], v28, v15 src0_sel:BYTE_0 src1_sel:DWORD
	s_and_saveexec_b64 s[2:3], s[8:9]
	s_cbranch_execz .LBB1161_65
; %bb.68:                               ;   in Loop: Header=BB1161_66 Depth=1
	s_mov_b32 s7, 1
	s_mov_b64 s[8:9], 0
.LBB1161_69:                            ;   Parent Loop BB1161_66 Depth=1
                                        ; =>  This Loop Header: Depth=2
                                        ;       Child Loop BB1161_70 Depth 3
	s_max_u32 s12, s7, 1
.LBB1161_70:                            ;   Parent Loop BB1161_66 Depth=1
                                        ;     Parent Loop BB1161_69 Depth=2
                                        ; =>    This Inner Loop Header: Depth=3
	s_add_i32 s12, s12, -1
	s_cmp_eq_u32 s12, 0
	s_sleep 1
	s_cbranch_scc0 .LBB1161_70
; %bb.71:                               ;   in Loop: Header=BB1161_69 Depth=2
	global_load_dword v40, v[18:19], off glc
	s_cmp_lt_u32 s7, 32
	s_cselect_b64 s[12:13], -1, 0
	s_cmp_lg_u64 s[12:13], 0
	s_addc_u32 s7, s7, 0
	s_waitcnt vmcnt(0)
	v_lshrrev_b32_e32 v28, 16, v40
	v_cmp_ne_u16_sdwa s[12:13], v28, v15 src0_sel:BYTE_0 src1_sel:DWORD
	s_or_b64 s[8:9], s[12:13], s[8:9]
	s_andn2_b64 exec, exec, s[8:9]
	s_cbranch_execnz .LBB1161_69
; %bb.72:                               ;   in Loop: Header=BB1161_66 Depth=1
	s_or_b64 exec, exec, s[8:9]
	s_branch .LBB1161_65
.LBB1161_73:                            ;   in Loop: Header=BB1161_66 Depth=1
                                        ; implicit-def: $vgpr18
                                        ; implicit-def: $vgpr28
	s_cbranch_execz .LBB1161_66
; %bb.74:
	s_and_saveexec_b64 s[2:3], s[0:1]
	s_cbranch_execz .LBB1161_76
; %bb.75:
	s_add_i32 s0, s6, 64
	s_mov_b32 s1, 0
	s_lshl_b64 s[0:1], s[0:1], 2
	v_mul_lo_u16_e32 v14, v37, v24
	s_add_u32 s0, s28, s0
	v_or_b32_e32 v14, 0x20000, v14
	s_addc_u32 s1, s29, s1
	v_mov_b32_e32 v15, 0
	global_store_dword v15, v14, s[0:1]
.LBB1161_76:
	s_or_b64 exec, exec, s[2:3]
	v_cmp_eq_u32_e32 vcc, 0, v0
	s_and_b64 exec, exec, vcc
	s_cbranch_execz .LBB1161_78
; %bb.77:
	v_mov_b32_e32 v14, 0
	ds_write_b16 v14, v37
.LBB1161_78:
	s_or_b64 exec, exec, s[10:11]
	v_mov_b32_e32 v14, 0
	s_waitcnt lgkmcnt(0)
	; wave barrier
	s_waitcnt lgkmcnt(0)
	ds_read_u16 v14, v14
	v_cmp_ne_u32_e32 vcc, 0, v0
	v_cndmask_b32_e32 v15, 1, v23, vcc
	v_mul_lo_u16_e32 v15, v15, v10
	s_waitcnt lgkmcnt(0)
	v_mul_lo_u16_e32 v14, v15, v14
	v_mul_lo_u16_sdwa v16, v14, v10 dst_sel:DWORD dst_unused:UNUSED_PAD src0_sel:DWORD src1_sel:WORD_1
	v_mul_lo_u16_e32 v17, v16, v11
	v_mul_lo_u16_sdwa v19, v17, v11 dst_sel:DWORD dst_unused:UNUSED_PAD src0_sel:DWORD src1_sel:WORD_1
	;; [unrolled: 2-line block ×12, first 2 shown]
	s_load_dwordx8 s[12:19], s[4:5], 0x38
	s_branch .LBB1161_97
.LBB1161_79:
                                        ; implicit-def: $vgpr14
                                        ; implicit-def: $vgpr16
                                        ; implicit-def: $vgpr17
                                        ; implicit-def: $vgpr19
                                        ; implicit-def: $vgpr29
                                        ; implicit-def: $vgpr35
                                        ; implicit-def: $vgpr43
                                        ; implicit-def: $vgpr50
                                        ; implicit-def: $vgpr40
                                        ; implicit-def: $vgpr47
                                        ; implicit-def: $vgpr51
                                        ; implicit-def: $vgpr52
                                        ; implicit-def: $vgpr53
                                        ; implicit-def: $vgpr54
                                        ; implicit-def: $vgpr56
                                        ; implicit-def: $vgpr58
                                        ; implicit-def: $vgpr55
                                        ; implicit-def: $vgpr57
                                        ; implicit-def: $vgpr59
                                        ; implicit-def: $vgpr60
                                        ; implicit-def: $vgpr61
                                        ; implicit-def: $vgpr62
                                        ; implicit-def: $vgpr63
                                        ; implicit-def: $vgpr64
	s_load_dwordx8 s[12:19], s[4:5], 0x38
	s_cbranch_execz .LBB1161_97
; %bb.80:
	s_waitcnt lgkmcnt(0)
	s_cmp_lg_u64 s[16:17], 0
	s_cselect_b64 s[2:3], -1, 0
	s_cmp_eq_u64 s[16:17], 0
	v_cmp_eq_u32_e32 vcc, 0, v0
	s_cselect_b64 s[6:7], -1, 0
	v_cmp_ne_u32_e64 s[0:1], 0, v0
	s_and_b64 s[8:9], vcc, s[2:3]
	v_mov_b32_e32 v15, v10
	s_and_saveexec_b64 s[2:3], s[8:9]
	s_cbranch_execz .LBB1161_82
; %bb.81:
	v_mov_b32_e32 v14, 0
	global_load_ushort v14, v14, s[12:13]
	s_waitcnt vmcnt(0)
	v_mul_lo_u16_e32 v15, v14, v10
.LBB1161_82:
	s_or_b64 exec, exec, s[2:3]
	v_mul_lo_u16_sdwa v18, v15, v10 dst_sel:DWORD dst_unused:UNUSED_PAD src0_sel:DWORD src1_sel:WORD_1
	v_mul_lo_u16_e32 v23, v18, v11
	v_mul_lo_u16_sdwa v24, v23, v11 dst_sel:DWORD dst_unused:UNUSED_PAD src0_sel:DWORD src1_sel:WORD_1
	v_mul_lo_u16_e32 v25, v24, v12
	;; [unrolled: 2-line block ×10, first 2 shown]
	v_mul_lo_u16_sdwa v46, v45, v4 dst_sel:DWORD dst_unused:UNUSED_PAD src0_sel:DWORD src1_sel:WORD_1
	v_mbcnt_hi_u32_b32 v22, -1, v22
	v_mul_lo_u16_e32 v48, v46, v5
	v_and_b32_e32 v14, 15, v22
	v_mul_lo_u16_sdwa v49, v48, v5 dst_sel:DWORD dst_unused:UNUSED_PAD src0_sel:DWORD src1_sel:WORD_1
	v_mul_lo_u16_sdwa v65, v48, v5 dst_sel:DWORD dst_unused:UNUSED_PAD src0_sel:DWORD src1_sel:WORD_1
	v_cmp_eq_u32_e64 s[10:11], 0, v14
	v_cmp_lt_u32_e64 s[8:9], 1, v14
	v_cmp_lt_u32_e64 s[2:3], 3, v14
	s_andn2_b64 vcc, exec, s[6:7]
	v_cmp_lt_u32_e64 s[6:7], 7, v14
	s_cbranch_vccnz .LBB1161_88
; %bb.83:
	v_mov_b32_dpp v14, v65 row_shr:1 row_mask:0xf bank_mask:0xf
	v_mul_lo_u16_e32 v14, v49, v14
	v_cndmask_b32_e64 v16, v14, v65, s[10:11]
	v_cndmask_b32_e64 v14, v14, v49, s[10:11]
	v_and_b32_e32 v19, 16, v22
	v_mov_b32_dpp v17, v16 row_shr:2 row_mask:0xf bank_mask:0xf
	v_mul_lo_u16_e32 v17, v14, v17
	v_cndmask_b32_e64 v16, v16, v17, s[8:9]
	v_cndmask_b32_e64 v14, v14, v17, s[8:9]
	v_cmp_eq_u32_e32 vcc, 0, v19
	v_mov_b32_dpp v17, v16 row_shr:4 row_mask:0xf bank_mask:0xf
	v_mul_lo_u16_e32 v17, v14, v17
	v_cndmask_b32_e64 v16, v16, v17, s[2:3]
	v_cndmask_b32_e64 v14, v14, v17, s[2:3]
	s_nop 0
	v_mov_b32_dpp v17, v16 row_shr:8 row_mask:0xf bank_mask:0xf
	v_mul_lo_u16_e32 v17, v14, v17
	v_cndmask_b32_e64 v16, v16, v17, s[6:7]
	v_cndmask_b32_e64 v14, v14, v17, s[6:7]
	s_nop 0
	v_mov_b32_dpp v17, v16 row_bcast:15 row_mask:0xf bank_mask:0xf
	v_mul_lo_u16_e32 v17, v14, v17
	v_cndmask_b32_e32 v16, v17, v16, vcc
	v_cndmask_b32_e32 v14, v17, v14, vcc
	v_cmp_lt_u32_e32 vcc, 31, v22
	v_mov_b32_dpp v16, v16 row_bcast:31 row_mask:0xf bank_mask:0xf
	v_cndmask_b32_e32 v16, 1, v16, vcc
	v_mul_lo_u16_e32 v14, v14, v16
	v_cmp_eq_u32_e32 vcc, 63, v0
	s_and_saveexec_b64 s[12:13], vcc
	s_cbranch_execz .LBB1161_85
; %bb.84:
	v_mov_b32_e32 v16, 0
	ds_write_b16 v16, v14
.LBB1161_85:
	s_or_b64 exec, exec, s[12:13]
	v_add_u32_e32 v16, -1, v22
	v_and_b32_e32 v17, 64, v22
	v_cmp_lt_i32_e32 vcc, v16, v17
	v_cndmask_b32_e32 v16, v16, v22, vcc
	v_lshlrev_b32_e32 v16, 2, v16
	s_load_dword s12, s[4:5], 0x20
	ds_bpermute_b32 v66, v16, v14
	v_mov_b32_e32 v64, v49
	v_mov_b32_e32 v63, v48
	;; [unrolled: 1-line block ×24, first 2 shown]
	s_waitcnt lgkmcnt(0)
	; wave barrier
	s_waitcnt lgkmcnt(0)
	s_and_saveexec_b64 s[4:5], s[0:1]
	s_cbranch_execz .LBB1161_87
; %bb.86:
	v_mul_lo_u16_e32 v14, v15, v66
	v_mul_lo_u16_sdwa v16, v14, v10 dst_sel:DWORD dst_unused:UNUSED_PAD src0_sel:DWORD src1_sel:WORD_1
	v_mul_lo_u16_e32 v17, v16, v11
	v_mul_lo_u16_sdwa v19, v17, v11 dst_sel:DWORD dst_unused:UNUSED_PAD src0_sel:DWORD src1_sel:WORD_1
	;; [unrolled: 2-line block ×12, first 2 shown]
	;;#ASMSTART
	;;#ASMEND
.LBB1161_87:
	s_or_b64 exec, exec, s[4:5]
	v_mul_lo_u16_e32 v14, s12, v14
	v_mul_lo_u16_e32 v16, s12, v16
	;; [unrolled: 1-line block ×24, first 2 shown]
	s_branch .LBB1161_94
.LBB1161_88:
                                        ; implicit-def: $vgpr14
                                        ; implicit-def: $vgpr16
                                        ; implicit-def: $vgpr17
                                        ; implicit-def: $vgpr19
                                        ; implicit-def: $vgpr29
                                        ; implicit-def: $vgpr35
                                        ; implicit-def: $vgpr43
                                        ; implicit-def: $vgpr50
                                        ; implicit-def: $vgpr40
                                        ; implicit-def: $vgpr47
                                        ; implicit-def: $vgpr51
                                        ; implicit-def: $vgpr52
                                        ; implicit-def: $vgpr53
                                        ; implicit-def: $vgpr54
                                        ; implicit-def: $vgpr56
                                        ; implicit-def: $vgpr58
                                        ; implicit-def: $vgpr55
                                        ; implicit-def: $vgpr57
                                        ; implicit-def: $vgpr59
                                        ; implicit-def: $vgpr60
                                        ; implicit-def: $vgpr61
                                        ; implicit-def: $vgpr62
                                        ; implicit-def: $vgpr63
                                        ; implicit-def: $vgpr64
	s_cbranch_execz .LBB1161_94
; %bb.89:
	s_nop 0
	v_mov_b32_dpp v14, v65 row_shr:1 row_mask:0xf bank_mask:0xf
	v_mul_lo_u16_e32 v14, v49, v14
	v_cndmask_b32_e64 v16, v14, v65, s[10:11]
	v_cndmask_b32_e64 v14, v14, v49, s[10:11]
	v_and_b32_e32 v19, 16, v22
	v_mov_b32_dpp v17, v16 row_shr:2 row_mask:0xf bank_mask:0xf
	v_mul_lo_u16_e32 v17, v14, v17
	v_cndmask_b32_e64 v16, v16, v17, s[8:9]
	v_cndmask_b32_e64 v14, v14, v17, s[8:9]
	v_cmp_eq_u32_e32 vcc, 0, v19
	v_mov_b32_dpp v17, v16 row_shr:4 row_mask:0xf bank_mask:0xf
	v_mul_lo_u16_e32 v17, v14, v17
	v_cndmask_b32_e64 v16, v16, v17, s[2:3]
	v_cndmask_b32_e64 v14, v14, v17, s[2:3]
	s_nop 0
	v_mov_b32_dpp v17, v16 row_shr:8 row_mask:0xf bank_mask:0xf
	v_mul_lo_u16_e32 v17, v14, v17
	v_cndmask_b32_e64 v16, v16, v17, s[6:7]
	v_cndmask_b32_e64 v14, v14, v17, s[6:7]
	s_nop 0
	v_mov_b32_dpp v17, v16 row_bcast:15 row_mask:0xf bank_mask:0xf
	v_mul_lo_u16_e32 v17, v14, v17
	v_cndmask_b32_e32 v16, v17, v16, vcc
	v_cndmask_b32_e32 v14, v17, v14, vcc
	v_cmp_lt_u32_e32 vcc, 31, v22
	v_mov_b32_dpp v16, v16 row_bcast:31 row_mask:0xf bank_mask:0xf
	v_cndmask_b32_e32 v16, 1, v16, vcc
	v_mul_lo_u16_e32 v14, v14, v16
	v_cmp_eq_u32_e32 vcc, 63, v0
	s_and_saveexec_b64 s[2:3], vcc
	s_cbranch_execz .LBB1161_91
; %bb.90:
	v_mov_b32_e32 v16, 0
	ds_write_b16 v16, v14
.LBB1161_91:
	s_or_b64 exec, exec, s[2:3]
	v_add_u32_e32 v16, -1, v22
	v_and_b32_e32 v17, 64, v22
	v_cmp_lt_i32_e32 vcc, v16, v17
	v_cndmask_b32_e32 v16, v16, v22, vcc
	v_lshlrev_b32_e32 v16, 2, v16
	ds_bpermute_b32 v14, v16, v14
	s_waitcnt lgkmcnt(0)
	; wave barrier
	s_waitcnt lgkmcnt(0)
	s_and_saveexec_b64 s[2:3], s[0:1]
	s_cbranch_execz .LBB1161_93
; %bb.92:
	v_mul_lo_u16_e32 v15, v15, v14
	v_mul_lo_u16_sdwa v18, v15, v10 dst_sel:DWORD dst_unused:UNUSED_PAD src0_sel:DWORD src1_sel:WORD_1
	v_mul_lo_u16_e32 v23, v18, v11
	v_mul_lo_u16_sdwa v24, v23, v11 dst_sel:DWORD dst_unused:UNUSED_PAD src0_sel:DWORD src1_sel:WORD_1
	;; [unrolled: 2-line block ×12, first 2 shown]
	;;#ASMSTART
	;;#ASMEND
.LBB1161_93:
	s_or_b64 exec, exec, s[2:3]
	v_mov_b32_e32 v14, v15
	v_mov_b32_e32 v16, v18
	;; [unrolled: 1-line block ×24, first 2 shown]
.LBB1161_94:
	v_cmp_eq_u32_e32 vcc, 63, v0
	s_and_saveexec_b64 s[0:1], vcc
	s_cbranch_execz .LBB1161_96
; %bb.95:
	s_mov_b32 s2, 0x20000
	v_mov_b32_e32 v2, 0
	v_or_b32_sdwa v3, v64, s2 dst_sel:DWORD dst_unused:UNUSED_PAD src0_sel:WORD_0 src1_sel:DWORD
	global_store_dword v2, v3, s[28:29] offset:256
.LBB1161_96:
	s_or_b64 exec, exec, s[0:1]
.LBB1161_97:
	s_add_u32 s0, s20, s24
	s_addc_u32 s1, s21, s25
	s_add_u32 s2, s0, s26
	s_addc_u32 s3, s1, s27
	s_mov_b64 s[0:1], -1
	s_and_b64 vcc, exec, s[22:23]
	s_waitcnt lgkmcnt(0)
	; wave barrier
	s_waitcnt lgkmcnt(0)
	s_cbranch_vccz .LBB1161_99
; %bb.98:
	s_mov_b32 s0, 0x5040100
	v_perm_b32 v5, v50, v43, s0
	v_perm_b32 v4, v35, v29, s0
	;; [unrolled: 1-line block ×4, first 2 shown]
	ds_write_b128 v1, v[2:5]
	v_perm_b32 v5, v58, v56, s0
	v_perm_b32 v4, v54, v53, s0
	v_perm_b32 v3, v52, v51, s0
	v_perm_b32 v2, v47, v40, s0
	ds_write_b128 v1, v[2:5] offset:16
	v_perm_b32 v5, v64, v63, s0
	v_perm_b32 v4, v62, v61, s0
	;; [unrolled: 1-line block ×4, first 2 shown]
	ds_write_b128 v1, v[2:5] offset:32
	s_waitcnt lgkmcnt(0)
	; wave barrier
	s_waitcnt lgkmcnt(0)
	ds_read_u16 v4, v20
	ds_read_u16 v5, v20 offset:128
	ds_read_u16 v6, v20 offset:256
	;; [unrolled: 1-line block ×23, first 2 shown]
	v_mov_b32_e32 v3, s3
	v_add_co_u32_e32 v2, vcc, s2, v20
	v_addc_co_u32_e32 v3, vcc, 0, v3, vcc
	s_waitcnt lgkmcnt(14)
	flat_store_short v[2:3], v4
	flat_store_short v[2:3], v5 offset:128
	flat_store_short v[2:3], v6 offset:256
	;; [unrolled: 1-line block ×9, first 2 shown]
	s_waitcnt lgkmcnt(0)
	flat_store_short v[2:3], v15 offset:1280
	flat_store_short v[2:3], v18 offset:1408
	;; [unrolled: 1-line block ×14, first 2 shown]
	s_mov_b64 s[0:1], 0
.LBB1161_99:
	s_andn2_b64 vcc, exec, s[0:1]
	s_cbranch_vccnz .LBB1161_156
; %bb.100:
	s_mov_b32 s0, 0x5040100
	v_perm_b32 v5, v50, v43, s0
	v_perm_b32 v4, v35, v29, s0
	;; [unrolled: 1-line block ×4, first 2 shown]
	ds_write_b128 v1, v[2:5]
	v_perm_b32 v5, v58, v56, s0
	v_perm_b32 v4, v54, v53, s0
	;; [unrolled: 1-line block ×4, first 2 shown]
	ds_write_b128 v1, v[2:5] offset:16
	v_perm_b32 v5, v64, v63, s0
	v_perm_b32 v4, v62, v61, s0
	;; [unrolled: 1-line block ×4, first 2 shown]
	ds_write_b128 v1, v[2:5] offset:32
	s_waitcnt lgkmcnt(0)
	; wave barrier
	s_waitcnt lgkmcnt(0)
	ds_read_u16 v5, v20
	ds_read_u16 v4, v20 offset:128
	ds_read_u16 v7, v20 offset:256
	;; [unrolled: 1-line block ×23, first 2 shown]
	v_mov_b32_e32 v3, s3
	v_add_co_u32_e32 v2, vcc, s2, v20
	v_addc_co_u32_e32 v3, vcc, 0, v3, vcc
	v_mov_b32_e32 v1, 0
	v_cmp_gt_u32_e32 vcc, s30, v0
	s_and_saveexec_b64 s[0:1], vcc
	s_cbranch_execz .LBB1161_102
; %bb.101:
	s_waitcnt lgkmcnt(0)
	flat_store_short v[2:3], v5
.LBB1161_102:
	s_or_b64 exec, exec, s[0:1]
	v_or_b32_e32 v20, 64, v0
	v_cmp_gt_u32_e32 vcc, s30, v20
	s_and_saveexec_b64 s[0:1], vcc
	s_cbranch_execz .LBB1161_104
; %bb.103:
	s_waitcnt lgkmcnt(0)
	flat_store_short v[2:3], v4 offset:128
.LBB1161_104:
	s_or_b64 exec, exec, s[0:1]
	v_or_b32_e32 v20, 0x80, v0
	v_cmp_gt_u32_e32 vcc, s30, v20
	s_and_saveexec_b64 s[0:1], vcc
	s_cbranch_execz .LBB1161_106
; %bb.105:
	s_waitcnt lgkmcnt(0)
	flat_store_short v[2:3], v7 offset:256
.LBB1161_106:
	;; [unrolled: 9-line block ×23, first 2 shown]
	s_or_b64 exec, exec, s[0:1]
	v_cmp_lt_u64_e64 s[0:1], s[18:19], 2
	s_and_b64 vcc, exec, s[0:1]
	s_cbranch_vccnz .LBB1161_156
; %bb.149:
	s_add_u32 s0, s30, -1
	s_addc_u32 s1, s31, -1
	s_add_u32 s2, 0, 0xaaaa0000
	s_addc_u32 s3, 0, 42
	s_add_i32 s3, s3, 0xaaaaa80
	s_mul_hi_u32 s7, s2, 0xffffffe8
	s_sub_i32 s7, s7, s2
	s_mul_i32 s8, s3, 0xffffffe8
	s_mul_i32 s4, s2, 0xffffffe8
	s_add_i32 s7, s7, s8
	s_mul_hi_u32 s5, s3, s4
	s_mul_i32 s6, s3, s4
	s_mul_i32 s9, s2, s7
	s_mul_hi_u32 s4, s2, s4
	s_mul_hi_u32 s8, s2, s7
	s_add_u32 s4, s4, s9
	s_addc_u32 s8, 0, s8
	s_add_u32 s4, s4, s6
	s_mul_hi_u32 s9, s3, s7
	s_addc_u32 s4, s8, s5
	s_addc_u32 s5, s9, 0
	s_mul_i32 s6, s3, s7
	s_add_u32 s4, s4, s6
	v_mov_b32_e32 v2, s4
	s_addc_u32 s5, 0, s5
	v_add_co_u32_e32 v2, vcc, s2, v2
	s_cmp_lg_u64 vcc, 0
	s_addc_u32 s2, s3, s5
	v_readfirstlane_b32 s5, v2
	s_mul_i32 s4, s0, s2
	s_mul_hi_u32 s6, s0, s5
	s_mul_hi_u32 s3, s0, s2
	s_add_u32 s4, s6, s4
	s_addc_u32 s3, 0, s3
	s_mul_hi_u32 s7, s1, s5
	s_mul_i32 s5, s1, s5
	s_add_u32 s4, s4, s5
	s_mul_hi_u32 s6, s1, s2
	s_addc_u32 s3, s3, s7
	s_addc_u32 s4, s6, 0
	s_mul_i32 s2, s1, s2
	s_add_u32 s2, s3, s2
	s_addc_u32 s3, 0, s4
	s_add_u32 s4, s2, 1
	s_addc_u32 s5, s3, 0
	s_add_u32 s6, s2, 2
	s_mul_i32 s8, s3, 24
	s_mul_hi_u32 s9, s2, 24
	s_addc_u32 s7, s3, 0
	s_add_i32 s9, s9, s8
	s_mul_i32 s8, s2, 24
	v_mov_b32_e32 v2, s8
	v_sub_co_u32_e32 v2, vcc, s0, v2
	s_cmp_lg_u64 vcc, 0
	s_subb_u32 s8, s1, s9
	v_subrev_co_u32_e32 v3, vcc, 24, v2
	s_cmp_lg_u64 vcc, 0
	s_subb_u32 s9, s8, 0
	v_readfirstlane_b32 s10, v3
	s_cmp_gt_u32 s10, 23
	s_cselect_b32 s10, -1, 0
	s_cmp_eq_u32 s9, 0
	s_cselect_b32 s9, s10, -1
	s_cmp_lg_u32 s9, 0
	s_cselect_b32 s4, s6, s4
	v_readfirstlane_b32 s6, v2
	s_cselect_b32 s5, s7, s5
	s_cmp_gt_u32 s6, 23
	s_cselect_b32 s6, -1, 0
	s_cmp_eq_u32 s8, 0
	s_cselect_b32 s6, s6, -1
	s_cmp_lg_u32 s6, 0
	s_cselect_b32 s3, s5, s3
	s_cselect_b32 s2, s4, s2
	v_cmp_eq_u64_e32 vcc, s[2:3], v[0:1]
	s_and_saveexec_b64 s[2:3], vcc
	s_cbranch_execz .LBB1161_156
; %bb.150:
	v_mul_hi_u32_u24_e32 v1, 24, v0
	v_mov_b32_e32 v2, s1
	v_sub_co_u32_e32 v0, vcc, s0, v21
	v_subb_co_u32_e32 v1, vcc, v2, v1, vcc
	v_cmp_lt_i64_e32 vcc, 11, v[0:1]
	s_mov_b64 s[0:1], 0
	s_mov_b64 s[8:9], 0
	;; [unrolled: 1-line block ×4, first 2 shown]
	s_and_saveexec_b64 s[2:3], vcc
	s_xor_b64 s[2:3], exec, s[2:3]
	s_cbranch_execnz .LBB1161_157
; %bb.151:
	s_andn2_saveexec_b64 s[2:3], s[2:3]
	s_cbranch_execnz .LBB1161_202
.LBB1161_152:
	s_or_b64 exec, exec, s[2:3]
	s_and_saveexec_b64 s[2:3], s[8:9]
	s_cbranch_execnz .LBB1161_219
.LBB1161_153:
	s_or_b64 exec, exec, s[2:3]
	s_and_saveexec_b64 s[2:3], s[6:7]
	s_cbranch_execnz .LBB1161_220
.LBB1161_154:
	s_or_b64 exec, exec, s[2:3]
	s_and_saveexec_b64 s[2:3], s[4:5]
	s_xor_b64 s[2:3], exec, s[2:3]
	s_cbranch_execnz .LBB1161_221
.LBB1161_155:
	s_or_b64 exec, exec, s[2:3]
	s_and_b64 exec, exec, s[0:1]
	s_cbranch_execnz .LBB1161_222
.LBB1161_156:
	s_endpgm
.LBB1161_157:
	v_cmp_lt_i64_e32 vcc, 17, v[0:1]
	s_and_saveexec_b64 s[10:11], vcc
	s_xor_b64 s[10:11], exec, s[10:11]
	s_cbranch_execz .LBB1161_179
; %bb.158:
	v_cmp_lt_i64_e32 vcc, 20, v[0:1]
                                        ; implicit-def: $vgpr10
	s_and_saveexec_b64 s[12:13], vcc
	s_xor_b64 s[12:13], exec, s[12:13]
	s_cbranch_execz .LBB1161_168
; %bb.159:
	v_cmp_lt_i64_e32 vcc, 21, v[0:1]
	s_mov_b64 s[16:17], 0
                                        ; implicit-def: $vgpr10
	s_and_saveexec_b64 s[4:5], vcc
	s_xor_b64 s[4:5], exec, s[4:5]
	s_cbranch_execz .LBB1161_165
; %bb.160:
	v_cmp_lt_i64_e32 vcc, 22, v[0:1]
	s_and_saveexec_b64 s[16:17], vcc
	s_xor_b64 s[16:17], exec, s[16:17]
	s_cbranch_execz .LBB1161_162
; %bb.161:
	v_mov_b32_e32 v2, 0
	s_waitcnt lgkmcnt(0)
	global_store_short v2, v29, s[14:15]
                                        ; implicit-def: $vgpr28
.LBB1161_162:
	s_or_saveexec_b64 s[16:17], s[16:17]
	s_mov_b64 s[18:19], 0
	s_xor_b64 exec, exec, s[16:17]
; %bb.163:
	s_mov_b64 s[18:19], exec
; %bb.164:
	s_or_b64 exec, exec, s[16:17]
	s_and_b64 s[16:17], s[18:19], exec
	s_waitcnt lgkmcnt(0)
	v_mov_b32_e32 v10, v28
                                        ; implicit-def: $vgpr11
.LBB1161_165:
	s_andn2_saveexec_b64 s[4:5], s[4:5]
; %bb.166:
	s_mov_b64 s[6:7], exec
                                        ; implicit-def: $vgpr10
; %bb.167:
	s_or_b64 exec, exec, s[4:5]
	s_and_b64 s[4:5], s[16:17], exec
	s_and_b64 s[6:7], s[6:7], exec
                                        ; implicit-def: $vgpr26
                                        ; implicit-def: $vgpr12
                                        ; implicit-def: $vgpr23
.LBB1161_168:
	s_andn2_saveexec_b64 s[12:13], s[12:13]
	s_cbranch_execz .LBB1161_178
; %bb.169:
	v_cmp_lt_i64_e32 vcc, 18, v[0:1]
	s_mov_b64 s[16:17], 0
	s_and_saveexec_b64 s[8:9], vcc
	s_xor_b64 s[8:9], exec, s[8:9]
	s_cbranch_execz .LBB1161_175
; %bb.170:
	v_cmp_lt_i64_e32 vcc, 19, v[0:1]
	s_and_saveexec_b64 s[18:19], vcc
	s_xor_b64 s[18:19], exec, s[18:19]
; %bb.171:
	s_mov_b64 s[16:17], exec
                                        ; implicit-def: $vgpr23
; %bb.172:
	s_andn2_saveexec_b64 s[18:19], s[18:19]
	s_cbranch_execz .LBB1161_174
; %bb.173:
	v_mov_b32_e32 v2, 0
	s_waitcnt lgkmcnt(0)
	global_store_short v2, v23, s[14:15]
                                        ; implicit-def: $vgpr12
.LBB1161_174:
	s_or_b64 exec, exec, s[18:19]
	s_and_b64 s[16:17], s[16:17], exec
                                        ; implicit-def: $vgpr26
.LBB1161_175:
	s_andn2_saveexec_b64 s[8:9], s[8:9]
	s_cbranch_execz .LBB1161_177
; %bb.176:
	v_mov_b32_e32 v2, 0
	s_waitcnt lgkmcnt(0)
	global_store_short v2, v26, s[14:15]
                                        ; implicit-def: $vgpr12
.LBB1161_177:
	s_or_b64 exec, exec, s[8:9]
	s_and_b64 s[8:9], s[16:17], exec
                                        ; implicit-def: $vgpr10
                                        ; implicit-def: $vgpr11
.LBB1161_178:
	s_or_b64 exec, exec, s[12:13]
	s_and_b64 s[4:5], s[4:5], exec
	s_and_b64 s[6:7], s[6:7], exec
	;; [unrolled: 1-line block ×3, first 2 shown]
                                        ; implicit-def: $vgpr18
                                        ; implicit-def: $vgpr13
                                        ; implicit-def: $vgpr14
                                        ; implicit-def: $vgpr24
                                        ; implicit-def: $vgpr27
.LBB1161_179:
	s_andn2_saveexec_b64 s[10:11], s[10:11]
	s_cbranch_execz .LBB1161_201
; %bb.180:
	v_cmp_lt_i64_e32 vcc, 14, v[0:1]
	s_mov_b64 s[12:13], s[4:5]
	s_and_saveexec_b64 s[16:17], vcc
	s_xor_b64 s[16:17], exec, s[16:17]
	s_cbranch_execz .LBB1161_190
; %bb.181:
	v_cmp_lt_i64_e32 vcc, 15, v[0:1]
	s_and_saveexec_b64 s[12:13], vcc
	s_xor_b64 s[12:13], exec, s[12:13]
	s_cbranch_execz .LBB1161_187
; %bb.182:
	v_cmp_lt_i64_e32 vcc, 16, v[0:1]
	s_and_saveexec_b64 s[18:19], vcc
	s_xor_b64 s[18:19], exec, s[18:19]
	s_cbranch_execz .LBB1161_184
; %bb.183:
	v_mov_b32_e32 v2, 0
	s_waitcnt lgkmcnt(0)
	global_store_short v2, v27, s[14:15]
                                        ; implicit-def: $vgpr24
.LBB1161_184:
	s_andn2_saveexec_b64 s[18:19], s[18:19]
	s_cbranch_execz .LBB1161_186
; %bb.185:
	v_mov_b32_e32 v2, 0
	s_waitcnt lgkmcnt(0)
	global_store_short v2, v24, s[14:15]
.LBB1161_186:
	s_or_b64 exec, exec, s[18:19]
                                        ; implicit-def: $vgpr10
.LBB1161_187:
	s_or_saveexec_b64 s[12:13], s[12:13]
	s_mov_b64 s[18:19], s[4:5]
	s_xor_b64 exec, exec, s[12:13]
; %bb.188:
	s_or_b64 s[18:19], s[4:5], exec
; %bb.189:
	s_or_b64 exec, exec, s[12:13]
	s_andn2_b64 s[12:13], s[4:5], exec
	s_and_b64 s[18:19], s[18:19], exec
	s_or_b64 s[12:13], s[12:13], s[18:19]
                                        ; implicit-def: $vgpr18
                                        ; implicit-def: $vgpr13
                                        ; implicit-def: $vgpr14
.LBB1161_190:
	s_or_saveexec_b64 s[16:17], s[16:17]
	s_mov_b64 s[18:19], s[6:7]
                                        ; implicit-def: $vgpr11
	s_xor_b64 exec, exec, s[16:17]
	s_cbranch_execz .LBB1161_200
; %bb.191:
	v_cmp_lt_i64_e32 vcc, 12, v[0:1]
	s_mov_b64 s[20:21], s[6:7]
	s_mov_b64 s[22:23], s[12:13]
                                        ; implicit-def: $vgpr10
                                        ; implicit-def: $vgpr11
	s_and_saveexec_b64 s[18:19], vcc
	s_xor_b64 s[18:19], exec, s[18:19]
	s_cbranch_execz .LBB1161_197
; %bb.192:
	v_cmp_lt_i64_e32 vcc, 13, v[0:1]
	s_mov_b64 s[20:21], s[12:13]
	s_and_saveexec_b64 s[22:23], vcc
	s_xor_b64 s[22:23], exec, s[22:23]
; %bb.193:
	s_or_b64 s[20:21], s[12:13], exec
                                        ; implicit-def: $vgpr13
; %bb.194:
	s_or_saveexec_b64 s[22:23], s[22:23]
	s_mov_b64 s[24:25], s[6:7]
	s_xor_b64 exec, exec, s[22:23]
; %bb.195:
	s_or_b64 s[24:25], s[6:7], exec
                                        ; implicit-def: $vgpr14
; %bb.196:
	s_or_b64 exec, exec, s[22:23]
	s_andn2_b64 s[22:23], s[12:13], exec
	s_and_b64 s[20:21], s[20:21], exec
	s_or_b64 s[22:23], s[22:23], s[20:21]
	s_andn2_b64 s[20:21], s[6:7], exec
	s_and_b64 s[24:25], s[24:25], exec
	s_or_b64 s[20:21], s[20:21], s[24:25]
	s_waitcnt lgkmcnt(0)
	v_mov_b32_e32 v10, v14
	v_mov_b32_e32 v11, v13
                                        ; implicit-def: $vgpr18
.LBB1161_197:
	s_andn2_saveexec_b64 s[18:19], s[18:19]
	s_cbranch_execz .LBB1161_199
; %bb.198:
	s_or_b64 s[20:21], s[20:21], exec
                                        ; implicit-def: $vgpr10
	s_waitcnt lgkmcnt(0)
	v_mov_b32_e32 v11, v18
.LBB1161_199:
	s_or_b64 exec, exec, s[18:19]
	s_andn2_b64 s[12:13], s[12:13], exec
	s_and_b64 s[18:19], s[22:23], exec
	s_or_b64 s[12:13], s[12:13], s[18:19]
	s_andn2_b64 s[18:19], s[6:7], exec
	s_and_b64 s[20:21], s[20:21], exec
	s_or_b64 s[18:19], s[18:19], s[20:21]
.LBB1161_200:
	s_or_b64 exec, exec, s[16:17]
	s_andn2_b64 s[4:5], s[4:5], exec
	s_and_b64 s[12:13], s[12:13], exec
	s_or_b64 s[4:5], s[4:5], s[12:13]
	s_andn2_b64 s[6:7], s[6:7], exec
	s_and_b64 s[12:13], s[18:19], exec
	s_or_b64 s[6:7], s[6:7], s[12:13]
                                        ; implicit-def: $vgpr12
.LBB1161_201:
	s_or_b64 exec, exec, s[10:11]
	s_and_b64 s[4:5], s[4:5], exec
	s_and_b64 s[6:7], s[6:7], exec
	;; [unrolled: 1-line block ×3, first 2 shown]
                                        ; implicit-def: $vgpr17
                                        ; implicit-def: $vgpr15
                                        ; implicit-def: $vgpr16
                                        ; implicit-def: $vgpr25
                                        ; implicit-def: $vgpr22
                                        ; implicit-def: $vgpr19
	s_andn2_saveexec_b64 s[2:3], s[2:3]
	s_cbranch_execz .LBB1161_152
.LBB1161_202:
	v_cmp_lt_i64_e32 vcc, 5, v[0:1]
	s_mov_b64 s[12:13], -1
	s_mov_b64 s[10:11], s[8:9]
	s_mov_b64 s[16:17], s[6:7]
	;; [unrolled: 1-line block ×3, first 2 shown]
                                        ; implicit-def: $vgpr10
                                        ; implicit-def: $vgpr11
                                        ; implicit-def: $vgpr12
	s_and_saveexec_b64 s[0:1], vcc
	s_cbranch_execz .LBB1161_218
; %bb.203:
	v_cmp_lt_i64_e32 vcc, 8, v[0:1]
	s_mov_b64 s[10:11], s[8:9]
                                        ; implicit-def: $vgpr12
	s_and_saveexec_b64 s[12:13], vcc
	s_xor_b64 s[12:13], exec, s[12:13]
	s_cbranch_execz .LBB1161_213
; %bb.204:
	v_cmp_lt_i64_e32 vcc, 9, v[0:1]
	s_and_saveexec_b64 s[10:11], vcc
	s_xor_b64 s[10:11], exec, s[10:11]
	s_cbranch_execz .LBB1161_210
; %bb.205:
	v_cmp_lt_i64_e32 vcc, 10, v[0:1]
	s_and_saveexec_b64 s[16:17], vcc
	s_xor_b64 s[16:17], exec, s[16:17]
; %bb.206:
                                        ; implicit-def: $vgpr22
; %bb.207:
	s_andn2_saveexec_b64 s[16:17], s[16:17]
	s_cbranch_execz .LBB1161_209
; %bb.208:
	s_waitcnt lgkmcnt(0)
	v_mov_b32_e32 v19, v22
.LBB1161_209:
	s_or_b64 exec, exec, s[16:17]
                                        ; implicit-def: $vgpr25
.LBB1161_210:
	s_andn2_saveexec_b64 s[10:11], s[10:11]
	s_cbranch_execz .LBB1161_212
; %bb.211:
	s_waitcnt lgkmcnt(0)
	v_mov_b32_e32 v19, v25
.LBB1161_212:
	s_or_b64 exec, exec, s[10:11]
	s_or_b64 s[10:11], s[8:9], exec
	s_waitcnt lgkmcnt(0)
	v_mov_b32_e32 v12, v19
                                        ; implicit-def: $vgpr17
                                        ; implicit-def: $vgpr15
                                        ; implicit-def: $vgpr16
.LBB1161_213:
	s_or_saveexec_b64 s[12:13], s[12:13]
	s_mov_b64 s[16:17], s[6:7]
	s_mov_b64 s[20:21], s[4:5]
                                        ; implicit-def: $vgpr10
                                        ; implicit-def: $vgpr11
	s_xor_b64 exec, exec, s[12:13]
	s_cbranch_execz .LBB1161_217
; %bb.214:
	v_cmp_lt_i64_e32 vcc, 6, v[0:1]
	s_mov_b64 s[20:21], -1
	s_mov_b64 s[18:19], s[10:11]
	s_mov_b64 s[16:17], s[6:7]
	s_and_saveexec_b64 s[22:23], vcc
; %bb.215:
	v_cmp_lt_i64_e32 vcc, 7, v[0:1]
	s_andn2_b64 s[18:19], s[10:11], exec
	s_and_b64 s[24:25], vcc, exec
	s_xor_b64 s[20:21], exec, -1
	s_or_b64 s[16:17], s[6:7], exec
	s_or_b64 s[18:19], s[18:19], s[24:25]
                                        ; implicit-def: $vgpr17
; %bb.216:
	s_or_b64 exec, exec, s[22:23]
	s_andn2_b64 s[22:23], s[4:5], exec
	s_and_b64 s[20:21], s[20:21], exec
	s_or_b64 s[20:21], s[22:23], s[20:21]
	s_andn2_b64 s[22:23], s[6:7], exec
	s_and_b64 s[16:17], s[16:17], exec
	s_andn2_b64 s[10:11], s[10:11], exec
	s_and_b64 s[18:19], s[18:19], exec
	s_or_b64 s[16:17], s[22:23], s[16:17]
	s_or_b64 s[10:11], s[10:11], s[18:19]
	s_waitcnt lgkmcnt(0)
	v_mov_b32_e32 v10, v17
	v_mov_b32_e32 v11, v15
	v_mov_b32_e32 v12, v16
.LBB1161_217:
	s_or_b64 exec, exec, s[12:13]
	s_andn2_b64 s[18:19], s[4:5], exec
	s_and_b64 s[20:21], s[20:21], exec
	s_or_b64 s[18:19], s[18:19], s[20:21]
	s_andn2_b64 s[20:21], s[6:7], exec
	s_and_b64 s[16:17], s[16:17], exec
	s_or_b64 s[16:17], s[20:21], s[16:17]
	s_andn2_b64 s[20:21], s[8:9], exec
	s_and_b64 s[10:11], s[10:11], exec
	s_xor_b64 s[12:13], exec, -1
	s_or_b64 s[10:11], s[20:21], s[10:11]
.LBB1161_218:
	s_or_b64 exec, exec, s[0:1]
	s_and_b64 s[0:1], s[12:13], exec
	s_andn2_b64 s[4:5], s[4:5], exec
	s_and_b64 s[12:13], s[18:19], exec
	s_or_b64 s[4:5], s[4:5], s[12:13]
	s_andn2_b64 s[6:7], s[6:7], exec
	s_and_b64 s[12:13], s[16:17], exec
	s_andn2_b64 s[8:9], s[8:9], exec
	s_and_b64 s[10:11], s[10:11], exec
	s_or_b64 s[6:7], s[6:7], s[12:13]
	s_or_b64 s[8:9], s[8:9], s[10:11]
	s_or_b64 exec, exec, s[2:3]
	s_and_saveexec_b64 s[2:3], s[8:9]
	s_cbranch_execz .LBB1161_153
.LBB1161_219:
	v_mov_b32_e32 v2, 0
	s_andn2_b64 s[6:7], s[6:7], exec
	s_waitcnt lgkmcnt(0)
	global_store_short v2, v12, s[14:15]
                                        ; implicit-def: $vgpr10
                                        ; implicit-def: $vgpr11
	s_or_b64 exec, exec, s[2:3]
	s_and_saveexec_b64 s[2:3], s[6:7]
	s_cbranch_execz .LBB1161_154
.LBB1161_220:
	v_mov_b32_e32 v2, 0
	s_waitcnt lgkmcnt(0)
	global_store_short v2, v11, s[14:15]
                                        ; implicit-def: $vgpr10
	s_or_b64 exec, exec, s[2:3]
	s_and_saveexec_b64 s[2:3], s[4:5]
	s_xor_b64 s[2:3], exec, s[2:3]
	s_cbranch_execz .LBB1161_155
.LBB1161_221:
	v_mov_b32_e32 v2, 0
	s_waitcnt lgkmcnt(0)
	global_store_short v2, v10, s[14:15]
	s_or_b64 exec, exec, s[2:3]
	s_and_b64 exec, exec, s[0:1]
	s_cbranch_execz .LBB1161_156
.LBB1161_222:
	v_cmp_lt_i64_e32 vcc, 2, v[0:1]
	s_and_saveexec_b64 s[0:1], vcc
	s_xor_b64 s[0:1], exec, s[0:1]
	s_cbranch_execz .LBB1161_232
; %bb.223:
	v_cmp_lt_i64_e32 vcc, 3, v[0:1]
	s_and_saveexec_b64 s[2:3], vcc
	s_xor_b64 s[2:3], exec, s[2:3]
	s_cbranch_execz .LBB1161_229
; %bb.224:
	;; [unrolled: 5-line block ×3, first 2 shown]
	v_mov_b32_e32 v0, 0
	s_waitcnt lgkmcnt(0)
	global_store_short v0, v9, s[14:15]
                                        ; implicit-def: $vgpr6
.LBB1161_226:
	s_andn2_saveexec_b64 s[4:5], s[4:5]
	s_cbranch_execz .LBB1161_228
; %bb.227:
	v_mov_b32_e32 v0, 0
	s_waitcnt lgkmcnt(0)
	global_store_short v0, v6, s[14:15]
.LBB1161_228:
	s_or_b64 exec, exec, s[4:5]
                                        ; implicit-def: $vgpr8
.LBB1161_229:
	s_andn2_saveexec_b64 s[2:3], s[2:3]
	s_cbranch_execz .LBB1161_231
; %bb.230:
	v_mov_b32_e32 v0, 0
	s_waitcnt lgkmcnt(0)
	global_store_short v0, v8, s[14:15]
.LBB1161_231:
	s_or_b64 exec, exec, s[2:3]
                                        ; implicit-def: $vgpr0_vgpr1
                                        ; implicit-def: $vgpr7
                                        ; implicit-def: $vgpr4
                                        ; implicit-def: $vgpr5
.LBB1161_232:
	s_andn2_saveexec_b64 s[0:1], s[0:1]
	s_cbranch_execz .LBB1161_156
; %bb.233:
	v_cmp_lt_i64_e32 vcc, 1, v[0:1]
	s_and_saveexec_b64 s[0:1], vcc
	s_xor_b64 s[0:1], exec, s[0:1]
	s_cbranch_execz .LBB1161_235
; %bb.234:
	v_mov_b32_e32 v0, 0
	s_waitcnt lgkmcnt(0)
	global_store_short v0, v7, s[14:15]
                                        ; implicit-def: $vgpr4
                                        ; implicit-def: $vgpr0_vgpr1
                                        ; implicit-def: $vgpr5
.LBB1161_235:
	s_andn2_saveexec_b64 s[0:1], s[0:1]
	s_cbranch_execz .LBB1161_156
; %bb.236:
	v_cmp_ne_u64_e32 vcc, 1, v[0:1]
	s_and_saveexec_b64 s[0:1], vcc
	s_xor_b64 s[0:1], exec, s[0:1]
	s_cbranch_execz .LBB1161_238
; %bb.237:
	v_mov_b32_e32 v0, 0
	s_waitcnt lgkmcnt(0)
	global_store_short v0, v5, s[14:15]
                                        ; implicit-def: $vgpr4
.LBB1161_238:
	s_andn2_saveexec_b64 s[0:1], s[0:1]
	s_cbranch_execz .LBB1161_156
; %bb.239:
	v_mov_b32_e32 v0, 0
	s_waitcnt lgkmcnt(0)
	global_store_short v0, v4, s[14:15]
	s_endpgm
	.section	.rodata,"a",@progbits
	.p2align	6, 0x0
	.amdhsa_kernel _ZN7rocprim17ROCPRIM_400000_NS6detail17trampoline_kernelINS0_14default_configENS1_20scan_config_selectorIsEEZZNS1_9scan_implILNS1_25lookback_scan_determinismE0ELb0ELb1ES3_N6thrust23THRUST_200600_302600_NS6detail15normal_iteratorINS9_10device_ptrIsEEEESE_sNS9_10multipliesIsEEsEEDaPvRmT3_T4_T5_mT6_P12ihipStream_tbENKUlT_T0_E_clISt17integral_constantIbLb1EEST_IbLb0EEEEDaSP_SQ_EUlSP_E_NS1_11comp_targetILNS1_3genE4ELNS1_11target_archE910ELNS1_3gpuE8ELNS1_3repE0EEENS1_30default_config_static_selectorELNS0_4arch9wavefront6targetE1EEEvT1_
		.amdhsa_group_segment_fixed_size 3072
		.amdhsa_private_segment_fixed_size 0
		.amdhsa_kernarg_size 96
		.amdhsa_user_sgpr_count 6
		.amdhsa_user_sgpr_private_segment_buffer 1
		.amdhsa_user_sgpr_dispatch_ptr 0
		.amdhsa_user_sgpr_queue_ptr 0
		.amdhsa_user_sgpr_kernarg_segment_ptr 1
		.amdhsa_user_sgpr_dispatch_id 0
		.amdhsa_user_sgpr_flat_scratch_init 0
		.amdhsa_user_sgpr_kernarg_preload_length 0
		.amdhsa_user_sgpr_kernarg_preload_offset 0
		.amdhsa_user_sgpr_private_segment_size 0
		.amdhsa_uses_dynamic_stack 0
		.amdhsa_system_sgpr_private_segment_wavefront_offset 0
		.amdhsa_system_sgpr_workgroup_id_x 1
		.amdhsa_system_sgpr_workgroup_id_y 0
		.amdhsa_system_sgpr_workgroup_id_z 0
		.amdhsa_system_sgpr_workgroup_info 0
		.amdhsa_system_vgpr_workitem_id 0
		.amdhsa_next_free_vgpr 67
		.amdhsa_next_free_sgpr 32
		.amdhsa_accum_offset 68
		.amdhsa_reserve_vcc 1
		.amdhsa_reserve_flat_scratch 0
		.amdhsa_float_round_mode_32 0
		.amdhsa_float_round_mode_16_64 0
		.amdhsa_float_denorm_mode_32 3
		.amdhsa_float_denorm_mode_16_64 3
		.amdhsa_dx10_clamp 1
		.amdhsa_ieee_mode 1
		.amdhsa_fp16_overflow 0
		.amdhsa_tg_split 0
		.amdhsa_exception_fp_ieee_invalid_op 0
		.amdhsa_exception_fp_denorm_src 0
		.amdhsa_exception_fp_ieee_div_zero 0
		.amdhsa_exception_fp_ieee_overflow 0
		.amdhsa_exception_fp_ieee_underflow 0
		.amdhsa_exception_fp_ieee_inexact 0
		.amdhsa_exception_int_div_zero 0
	.end_amdhsa_kernel
	.section	.text._ZN7rocprim17ROCPRIM_400000_NS6detail17trampoline_kernelINS0_14default_configENS1_20scan_config_selectorIsEEZZNS1_9scan_implILNS1_25lookback_scan_determinismE0ELb0ELb1ES3_N6thrust23THRUST_200600_302600_NS6detail15normal_iteratorINS9_10device_ptrIsEEEESE_sNS9_10multipliesIsEEsEEDaPvRmT3_T4_T5_mT6_P12ihipStream_tbENKUlT_T0_E_clISt17integral_constantIbLb1EEST_IbLb0EEEEDaSP_SQ_EUlSP_E_NS1_11comp_targetILNS1_3genE4ELNS1_11target_archE910ELNS1_3gpuE8ELNS1_3repE0EEENS1_30default_config_static_selectorELNS0_4arch9wavefront6targetE1EEEvT1_,"axG",@progbits,_ZN7rocprim17ROCPRIM_400000_NS6detail17trampoline_kernelINS0_14default_configENS1_20scan_config_selectorIsEEZZNS1_9scan_implILNS1_25lookback_scan_determinismE0ELb0ELb1ES3_N6thrust23THRUST_200600_302600_NS6detail15normal_iteratorINS9_10device_ptrIsEEEESE_sNS9_10multipliesIsEEsEEDaPvRmT3_T4_T5_mT6_P12ihipStream_tbENKUlT_T0_E_clISt17integral_constantIbLb1EEST_IbLb0EEEEDaSP_SQ_EUlSP_E_NS1_11comp_targetILNS1_3genE4ELNS1_11target_archE910ELNS1_3gpuE8ELNS1_3repE0EEENS1_30default_config_static_selectorELNS0_4arch9wavefront6targetE1EEEvT1_,comdat
.Lfunc_end1161:
	.size	_ZN7rocprim17ROCPRIM_400000_NS6detail17trampoline_kernelINS0_14default_configENS1_20scan_config_selectorIsEEZZNS1_9scan_implILNS1_25lookback_scan_determinismE0ELb0ELb1ES3_N6thrust23THRUST_200600_302600_NS6detail15normal_iteratorINS9_10device_ptrIsEEEESE_sNS9_10multipliesIsEEsEEDaPvRmT3_T4_T5_mT6_P12ihipStream_tbENKUlT_T0_E_clISt17integral_constantIbLb1EEST_IbLb0EEEEDaSP_SQ_EUlSP_E_NS1_11comp_targetILNS1_3genE4ELNS1_11target_archE910ELNS1_3gpuE8ELNS1_3repE0EEENS1_30default_config_static_selectorELNS0_4arch9wavefront6targetE1EEEvT1_, .Lfunc_end1161-_ZN7rocprim17ROCPRIM_400000_NS6detail17trampoline_kernelINS0_14default_configENS1_20scan_config_selectorIsEEZZNS1_9scan_implILNS1_25lookback_scan_determinismE0ELb0ELb1ES3_N6thrust23THRUST_200600_302600_NS6detail15normal_iteratorINS9_10device_ptrIsEEEESE_sNS9_10multipliesIsEEsEEDaPvRmT3_T4_T5_mT6_P12ihipStream_tbENKUlT_T0_E_clISt17integral_constantIbLb1EEST_IbLb0EEEEDaSP_SQ_EUlSP_E_NS1_11comp_targetILNS1_3genE4ELNS1_11target_archE910ELNS1_3gpuE8ELNS1_3repE0EEENS1_30default_config_static_selectorELNS0_4arch9wavefront6targetE1EEEvT1_
                                        ; -- End function
	.section	.AMDGPU.csdata,"",@progbits
; Kernel info:
; codeLenInByte = 8724
; NumSgprs: 36
; NumVgprs: 67
; NumAgprs: 0
; TotalNumVgprs: 67
; ScratchSize: 0
; MemoryBound: 0
; FloatMode: 240
; IeeeMode: 1
; LDSByteSize: 3072 bytes/workgroup (compile time only)
; SGPRBlocks: 4
; VGPRBlocks: 8
; NumSGPRsForWavesPerEU: 36
; NumVGPRsForWavesPerEU: 67
; AccumOffset: 68
; Occupancy: 6
; WaveLimiterHint : 1
; COMPUTE_PGM_RSRC2:SCRATCH_EN: 0
; COMPUTE_PGM_RSRC2:USER_SGPR: 6
; COMPUTE_PGM_RSRC2:TRAP_HANDLER: 0
; COMPUTE_PGM_RSRC2:TGID_X_EN: 1
; COMPUTE_PGM_RSRC2:TGID_Y_EN: 0
; COMPUTE_PGM_RSRC2:TGID_Z_EN: 0
; COMPUTE_PGM_RSRC2:TIDIG_COMP_CNT: 0
; COMPUTE_PGM_RSRC3_GFX90A:ACCUM_OFFSET: 16
; COMPUTE_PGM_RSRC3_GFX90A:TG_SPLIT: 0
	.section	.text._ZN7rocprim17ROCPRIM_400000_NS6detail17trampoline_kernelINS0_14default_configENS1_20scan_config_selectorIsEEZZNS1_9scan_implILNS1_25lookback_scan_determinismE0ELb0ELb1ES3_N6thrust23THRUST_200600_302600_NS6detail15normal_iteratorINS9_10device_ptrIsEEEESE_sNS9_10multipliesIsEEsEEDaPvRmT3_T4_T5_mT6_P12ihipStream_tbENKUlT_T0_E_clISt17integral_constantIbLb1EEST_IbLb0EEEEDaSP_SQ_EUlSP_E_NS1_11comp_targetILNS1_3genE3ELNS1_11target_archE908ELNS1_3gpuE7ELNS1_3repE0EEENS1_30default_config_static_selectorELNS0_4arch9wavefront6targetE1EEEvT1_,"axG",@progbits,_ZN7rocprim17ROCPRIM_400000_NS6detail17trampoline_kernelINS0_14default_configENS1_20scan_config_selectorIsEEZZNS1_9scan_implILNS1_25lookback_scan_determinismE0ELb0ELb1ES3_N6thrust23THRUST_200600_302600_NS6detail15normal_iteratorINS9_10device_ptrIsEEEESE_sNS9_10multipliesIsEEsEEDaPvRmT3_T4_T5_mT6_P12ihipStream_tbENKUlT_T0_E_clISt17integral_constantIbLb1EEST_IbLb0EEEEDaSP_SQ_EUlSP_E_NS1_11comp_targetILNS1_3genE3ELNS1_11target_archE908ELNS1_3gpuE7ELNS1_3repE0EEENS1_30default_config_static_selectorELNS0_4arch9wavefront6targetE1EEEvT1_,comdat
	.protected	_ZN7rocprim17ROCPRIM_400000_NS6detail17trampoline_kernelINS0_14default_configENS1_20scan_config_selectorIsEEZZNS1_9scan_implILNS1_25lookback_scan_determinismE0ELb0ELb1ES3_N6thrust23THRUST_200600_302600_NS6detail15normal_iteratorINS9_10device_ptrIsEEEESE_sNS9_10multipliesIsEEsEEDaPvRmT3_T4_T5_mT6_P12ihipStream_tbENKUlT_T0_E_clISt17integral_constantIbLb1EEST_IbLb0EEEEDaSP_SQ_EUlSP_E_NS1_11comp_targetILNS1_3genE3ELNS1_11target_archE908ELNS1_3gpuE7ELNS1_3repE0EEENS1_30default_config_static_selectorELNS0_4arch9wavefront6targetE1EEEvT1_ ; -- Begin function _ZN7rocprim17ROCPRIM_400000_NS6detail17trampoline_kernelINS0_14default_configENS1_20scan_config_selectorIsEEZZNS1_9scan_implILNS1_25lookback_scan_determinismE0ELb0ELb1ES3_N6thrust23THRUST_200600_302600_NS6detail15normal_iteratorINS9_10device_ptrIsEEEESE_sNS9_10multipliesIsEEsEEDaPvRmT3_T4_T5_mT6_P12ihipStream_tbENKUlT_T0_E_clISt17integral_constantIbLb1EEST_IbLb0EEEEDaSP_SQ_EUlSP_E_NS1_11comp_targetILNS1_3genE3ELNS1_11target_archE908ELNS1_3gpuE7ELNS1_3repE0EEENS1_30default_config_static_selectorELNS0_4arch9wavefront6targetE1EEEvT1_
	.globl	_ZN7rocprim17ROCPRIM_400000_NS6detail17trampoline_kernelINS0_14default_configENS1_20scan_config_selectorIsEEZZNS1_9scan_implILNS1_25lookback_scan_determinismE0ELb0ELb1ES3_N6thrust23THRUST_200600_302600_NS6detail15normal_iteratorINS9_10device_ptrIsEEEESE_sNS9_10multipliesIsEEsEEDaPvRmT3_T4_T5_mT6_P12ihipStream_tbENKUlT_T0_E_clISt17integral_constantIbLb1EEST_IbLb0EEEEDaSP_SQ_EUlSP_E_NS1_11comp_targetILNS1_3genE3ELNS1_11target_archE908ELNS1_3gpuE7ELNS1_3repE0EEENS1_30default_config_static_selectorELNS0_4arch9wavefront6targetE1EEEvT1_
	.p2align	8
	.type	_ZN7rocprim17ROCPRIM_400000_NS6detail17trampoline_kernelINS0_14default_configENS1_20scan_config_selectorIsEEZZNS1_9scan_implILNS1_25lookback_scan_determinismE0ELb0ELb1ES3_N6thrust23THRUST_200600_302600_NS6detail15normal_iteratorINS9_10device_ptrIsEEEESE_sNS9_10multipliesIsEEsEEDaPvRmT3_T4_T5_mT6_P12ihipStream_tbENKUlT_T0_E_clISt17integral_constantIbLb1EEST_IbLb0EEEEDaSP_SQ_EUlSP_E_NS1_11comp_targetILNS1_3genE3ELNS1_11target_archE908ELNS1_3gpuE7ELNS1_3repE0EEENS1_30default_config_static_selectorELNS0_4arch9wavefront6targetE1EEEvT1_,@function
_ZN7rocprim17ROCPRIM_400000_NS6detail17trampoline_kernelINS0_14default_configENS1_20scan_config_selectorIsEEZZNS1_9scan_implILNS1_25lookback_scan_determinismE0ELb0ELb1ES3_N6thrust23THRUST_200600_302600_NS6detail15normal_iteratorINS9_10device_ptrIsEEEESE_sNS9_10multipliesIsEEsEEDaPvRmT3_T4_T5_mT6_P12ihipStream_tbENKUlT_T0_E_clISt17integral_constantIbLb1EEST_IbLb0EEEEDaSP_SQ_EUlSP_E_NS1_11comp_targetILNS1_3genE3ELNS1_11target_archE908ELNS1_3gpuE7ELNS1_3repE0EEENS1_30default_config_static_selectorELNS0_4arch9wavefront6targetE1EEEvT1_: ; @_ZN7rocprim17ROCPRIM_400000_NS6detail17trampoline_kernelINS0_14default_configENS1_20scan_config_selectorIsEEZZNS1_9scan_implILNS1_25lookback_scan_determinismE0ELb0ELb1ES3_N6thrust23THRUST_200600_302600_NS6detail15normal_iteratorINS9_10device_ptrIsEEEESE_sNS9_10multipliesIsEEsEEDaPvRmT3_T4_T5_mT6_P12ihipStream_tbENKUlT_T0_E_clISt17integral_constantIbLb1EEST_IbLb0EEEEDaSP_SQ_EUlSP_E_NS1_11comp_targetILNS1_3genE3ELNS1_11target_archE908ELNS1_3gpuE7ELNS1_3repE0EEENS1_30default_config_static_selectorELNS0_4arch9wavefront6targetE1EEEvT1_
; %bb.0:
	.section	.rodata,"a",@progbits
	.p2align	6, 0x0
	.amdhsa_kernel _ZN7rocprim17ROCPRIM_400000_NS6detail17trampoline_kernelINS0_14default_configENS1_20scan_config_selectorIsEEZZNS1_9scan_implILNS1_25lookback_scan_determinismE0ELb0ELb1ES3_N6thrust23THRUST_200600_302600_NS6detail15normal_iteratorINS9_10device_ptrIsEEEESE_sNS9_10multipliesIsEEsEEDaPvRmT3_T4_T5_mT6_P12ihipStream_tbENKUlT_T0_E_clISt17integral_constantIbLb1EEST_IbLb0EEEEDaSP_SQ_EUlSP_E_NS1_11comp_targetILNS1_3genE3ELNS1_11target_archE908ELNS1_3gpuE7ELNS1_3repE0EEENS1_30default_config_static_selectorELNS0_4arch9wavefront6targetE1EEEvT1_
		.amdhsa_group_segment_fixed_size 0
		.amdhsa_private_segment_fixed_size 0
		.amdhsa_kernarg_size 96
		.amdhsa_user_sgpr_count 6
		.amdhsa_user_sgpr_private_segment_buffer 1
		.amdhsa_user_sgpr_dispatch_ptr 0
		.amdhsa_user_sgpr_queue_ptr 0
		.amdhsa_user_sgpr_kernarg_segment_ptr 1
		.amdhsa_user_sgpr_dispatch_id 0
		.amdhsa_user_sgpr_flat_scratch_init 0
		.amdhsa_user_sgpr_kernarg_preload_length 0
		.amdhsa_user_sgpr_kernarg_preload_offset 0
		.amdhsa_user_sgpr_private_segment_size 0
		.amdhsa_uses_dynamic_stack 0
		.amdhsa_system_sgpr_private_segment_wavefront_offset 0
		.amdhsa_system_sgpr_workgroup_id_x 1
		.amdhsa_system_sgpr_workgroup_id_y 0
		.amdhsa_system_sgpr_workgroup_id_z 0
		.amdhsa_system_sgpr_workgroup_info 0
		.amdhsa_system_vgpr_workitem_id 0
		.amdhsa_next_free_vgpr 1
		.amdhsa_next_free_sgpr 0
		.amdhsa_accum_offset 4
		.amdhsa_reserve_vcc 0
		.amdhsa_reserve_flat_scratch 0
		.amdhsa_float_round_mode_32 0
		.amdhsa_float_round_mode_16_64 0
		.amdhsa_float_denorm_mode_32 3
		.amdhsa_float_denorm_mode_16_64 3
		.amdhsa_dx10_clamp 1
		.amdhsa_ieee_mode 1
		.amdhsa_fp16_overflow 0
		.amdhsa_tg_split 0
		.amdhsa_exception_fp_ieee_invalid_op 0
		.amdhsa_exception_fp_denorm_src 0
		.amdhsa_exception_fp_ieee_div_zero 0
		.amdhsa_exception_fp_ieee_overflow 0
		.amdhsa_exception_fp_ieee_underflow 0
		.amdhsa_exception_fp_ieee_inexact 0
		.amdhsa_exception_int_div_zero 0
	.end_amdhsa_kernel
	.section	.text._ZN7rocprim17ROCPRIM_400000_NS6detail17trampoline_kernelINS0_14default_configENS1_20scan_config_selectorIsEEZZNS1_9scan_implILNS1_25lookback_scan_determinismE0ELb0ELb1ES3_N6thrust23THRUST_200600_302600_NS6detail15normal_iteratorINS9_10device_ptrIsEEEESE_sNS9_10multipliesIsEEsEEDaPvRmT3_T4_T5_mT6_P12ihipStream_tbENKUlT_T0_E_clISt17integral_constantIbLb1EEST_IbLb0EEEEDaSP_SQ_EUlSP_E_NS1_11comp_targetILNS1_3genE3ELNS1_11target_archE908ELNS1_3gpuE7ELNS1_3repE0EEENS1_30default_config_static_selectorELNS0_4arch9wavefront6targetE1EEEvT1_,"axG",@progbits,_ZN7rocprim17ROCPRIM_400000_NS6detail17trampoline_kernelINS0_14default_configENS1_20scan_config_selectorIsEEZZNS1_9scan_implILNS1_25lookback_scan_determinismE0ELb0ELb1ES3_N6thrust23THRUST_200600_302600_NS6detail15normal_iteratorINS9_10device_ptrIsEEEESE_sNS9_10multipliesIsEEsEEDaPvRmT3_T4_T5_mT6_P12ihipStream_tbENKUlT_T0_E_clISt17integral_constantIbLb1EEST_IbLb0EEEEDaSP_SQ_EUlSP_E_NS1_11comp_targetILNS1_3genE3ELNS1_11target_archE908ELNS1_3gpuE7ELNS1_3repE0EEENS1_30default_config_static_selectorELNS0_4arch9wavefront6targetE1EEEvT1_,comdat
.Lfunc_end1162:
	.size	_ZN7rocprim17ROCPRIM_400000_NS6detail17trampoline_kernelINS0_14default_configENS1_20scan_config_selectorIsEEZZNS1_9scan_implILNS1_25lookback_scan_determinismE0ELb0ELb1ES3_N6thrust23THRUST_200600_302600_NS6detail15normal_iteratorINS9_10device_ptrIsEEEESE_sNS9_10multipliesIsEEsEEDaPvRmT3_T4_T5_mT6_P12ihipStream_tbENKUlT_T0_E_clISt17integral_constantIbLb1EEST_IbLb0EEEEDaSP_SQ_EUlSP_E_NS1_11comp_targetILNS1_3genE3ELNS1_11target_archE908ELNS1_3gpuE7ELNS1_3repE0EEENS1_30default_config_static_selectorELNS0_4arch9wavefront6targetE1EEEvT1_, .Lfunc_end1162-_ZN7rocprim17ROCPRIM_400000_NS6detail17trampoline_kernelINS0_14default_configENS1_20scan_config_selectorIsEEZZNS1_9scan_implILNS1_25lookback_scan_determinismE0ELb0ELb1ES3_N6thrust23THRUST_200600_302600_NS6detail15normal_iteratorINS9_10device_ptrIsEEEESE_sNS9_10multipliesIsEEsEEDaPvRmT3_T4_T5_mT6_P12ihipStream_tbENKUlT_T0_E_clISt17integral_constantIbLb1EEST_IbLb0EEEEDaSP_SQ_EUlSP_E_NS1_11comp_targetILNS1_3genE3ELNS1_11target_archE908ELNS1_3gpuE7ELNS1_3repE0EEENS1_30default_config_static_selectorELNS0_4arch9wavefront6targetE1EEEvT1_
                                        ; -- End function
	.section	.AMDGPU.csdata,"",@progbits
; Kernel info:
; codeLenInByte = 0
; NumSgprs: 4
; NumVgprs: 0
; NumAgprs: 0
; TotalNumVgprs: 0
; ScratchSize: 0
; MemoryBound: 0
; FloatMode: 240
; IeeeMode: 1
; LDSByteSize: 0 bytes/workgroup (compile time only)
; SGPRBlocks: 0
; VGPRBlocks: 0
; NumSGPRsForWavesPerEU: 4
; NumVGPRsForWavesPerEU: 1
; AccumOffset: 4
; Occupancy: 8
; WaveLimiterHint : 0
; COMPUTE_PGM_RSRC2:SCRATCH_EN: 0
; COMPUTE_PGM_RSRC2:USER_SGPR: 6
; COMPUTE_PGM_RSRC2:TRAP_HANDLER: 0
; COMPUTE_PGM_RSRC2:TGID_X_EN: 1
; COMPUTE_PGM_RSRC2:TGID_Y_EN: 0
; COMPUTE_PGM_RSRC2:TGID_Z_EN: 0
; COMPUTE_PGM_RSRC2:TIDIG_COMP_CNT: 0
; COMPUTE_PGM_RSRC3_GFX90A:ACCUM_OFFSET: 0
; COMPUTE_PGM_RSRC3_GFX90A:TG_SPLIT: 0
	.section	.text._ZN7rocprim17ROCPRIM_400000_NS6detail17trampoline_kernelINS0_14default_configENS1_20scan_config_selectorIsEEZZNS1_9scan_implILNS1_25lookback_scan_determinismE0ELb0ELb1ES3_N6thrust23THRUST_200600_302600_NS6detail15normal_iteratorINS9_10device_ptrIsEEEESE_sNS9_10multipliesIsEEsEEDaPvRmT3_T4_T5_mT6_P12ihipStream_tbENKUlT_T0_E_clISt17integral_constantIbLb1EEST_IbLb0EEEEDaSP_SQ_EUlSP_E_NS1_11comp_targetILNS1_3genE2ELNS1_11target_archE906ELNS1_3gpuE6ELNS1_3repE0EEENS1_30default_config_static_selectorELNS0_4arch9wavefront6targetE1EEEvT1_,"axG",@progbits,_ZN7rocprim17ROCPRIM_400000_NS6detail17trampoline_kernelINS0_14default_configENS1_20scan_config_selectorIsEEZZNS1_9scan_implILNS1_25lookback_scan_determinismE0ELb0ELb1ES3_N6thrust23THRUST_200600_302600_NS6detail15normal_iteratorINS9_10device_ptrIsEEEESE_sNS9_10multipliesIsEEsEEDaPvRmT3_T4_T5_mT6_P12ihipStream_tbENKUlT_T0_E_clISt17integral_constantIbLb1EEST_IbLb0EEEEDaSP_SQ_EUlSP_E_NS1_11comp_targetILNS1_3genE2ELNS1_11target_archE906ELNS1_3gpuE6ELNS1_3repE0EEENS1_30default_config_static_selectorELNS0_4arch9wavefront6targetE1EEEvT1_,comdat
	.protected	_ZN7rocprim17ROCPRIM_400000_NS6detail17trampoline_kernelINS0_14default_configENS1_20scan_config_selectorIsEEZZNS1_9scan_implILNS1_25lookback_scan_determinismE0ELb0ELb1ES3_N6thrust23THRUST_200600_302600_NS6detail15normal_iteratorINS9_10device_ptrIsEEEESE_sNS9_10multipliesIsEEsEEDaPvRmT3_T4_T5_mT6_P12ihipStream_tbENKUlT_T0_E_clISt17integral_constantIbLb1EEST_IbLb0EEEEDaSP_SQ_EUlSP_E_NS1_11comp_targetILNS1_3genE2ELNS1_11target_archE906ELNS1_3gpuE6ELNS1_3repE0EEENS1_30default_config_static_selectorELNS0_4arch9wavefront6targetE1EEEvT1_ ; -- Begin function _ZN7rocprim17ROCPRIM_400000_NS6detail17trampoline_kernelINS0_14default_configENS1_20scan_config_selectorIsEEZZNS1_9scan_implILNS1_25lookback_scan_determinismE0ELb0ELb1ES3_N6thrust23THRUST_200600_302600_NS6detail15normal_iteratorINS9_10device_ptrIsEEEESE_sNS9_10multipliesIsEEsEEDaPvRmT3_T4_T5_mT6_P12ihipStream_tbENKUlT_T0_E_clISt17integral_constantIbLb1EEST_IbLb0EEEEDaSP_SQ_EUlSP_E_NS1_11comp_targetILNS1_3genE2ELNS1_11target_archE906ELNS1_3gpuE6ELNS1_3repE0EEENS1_30default_config_static_selectorELNS0_4arch9wavefront6targetE1EEEvT1_
	.globl	_ZN7rocprim17ROCPRIM_400000_NS6detail17trampoline_kernelINS0_14default_configENS1_20scan_config_selectorIsEEZZNS1_9scan_implILNS1_25lookback_scan_determinismE0ELb0ELb1ES3_N6thrust23THRUST_200600_302600_NS6detail15normal_iteratorINS9_10device_ptrIsEEEESE_sNS9_10multipliesIsEEsEEDaPvRmT3_T4_T5_mT6_P12ihipStream_tbENKUlT_T0_E_clISt17integral_constantIbLb1EEST_IbLb0EEEEDaSP_SQ_EUlSP_E_NS1_11comp_targetILNS1_3genE2ELNS1_11target_archE906ELNS1_3gpuE6ELNS1_3repE0EEENS1_30default_config_static_selectorELNS0_4arch9wavefront6targetE1EEEvT1_
	.p2align	8
	.type	_ZN7rocprim17ROCPRIM_400000_NS6detail17trampoline_kernelINS0_14default_configENS1_20scan_config_selectorIsEEZZNS1_9scan_implILNS1_25lookback_scan_determinismE0ELb0ELb1ES3_N6thrust23THRUST_200600_302600_NS6detail15normal_iteratorINS9_10device_ptrIsEEEESE_sNS9_10multipliesIsEEsEEDaPvRmT3_T4_T5_mT6_P12ihipStream_tbENKUlT_T0_E_clISt17integral_constantIbLb1EEST_IbLb0EEEEDaSP_SQ_EUlSP_E_NS1_11comp_targetILNS1_3genE2ELNS1_11target_archE906ELNS1_3gpuE6ELNS1_3repE0EEENS1_30default_config_static_selectorELNS0_4arch9wavefront6targetE1EEEvT1_,@function
_ZN7rocprim17ROCPRIM_400000_NS6detail17trampoline_kernelINS0_14default_configENS1_20scan_config_selectorIsEEZZNS1_9scan_implILNS1_25lookback_scan_determinismE0ELb0ELb1ES3_N6thrust23THRUST_200600_302600_NS6detail15normal_iteratorINS9_10device_ptrIsEEEESE_sNS9_10multipliesIsEEsEEDaPvRmT3_T4_T5_mT6_P12ihipStream_tbENKUlT_T0_E_clISt17integral_constantIbLb1EEST_IbLb0EEEEDaSP_SQ_EUlSP_E_NS1_11comp_targetILNS1_3genE2ELNS1_11target_archE906ELNS1_3gpuE6ELNS1_3repE0EEENS1_30default_config_static_selectorELNS0_4arch9wavefront6targetE1EEEvT1_: ; @_ZN7rocprim17ROCPRIM_400000_NS6detail17trampoline_kernelINS0_14default_configENS1_20scan_config_selectorIsEEZZNS1_9scan_implILNS1_25lookback_scan_determinismE0ELb0ELb1ES3_N6thrust23THRUST_200600_302600_NS6detail15normal_iteratorINS9_10device_ptrIsEEEESE_sNS9_10multipliesIsEEsEEDaPvRmT3_T4_T5_mT6_P12ihipStream_tbENKUlT_T0_E_clISt17integral_constantIbLb1EEST_IbLb0EEEEDaSP_SQ_EUlSP_E_NS1_11comp_targetILNS1_3genE2ELNS1_11target_archE906ELNS1_3gpuE6ELNS1_3repE0EEENS1_30default_config_static_selectorELNS0_4arch9wavefront6targetE1EEEvT1_
; %bb.0:
	.section	.rodata,"a",@progbits
	.p2align	6, 0x0
	.amdhsa_kernel _ZN7rocprim17ROCPRIM_400000_NS6detail17trampoline_kernelINS0_14default_configENS1_20scan_config_selectorIsEEZZNS1_9scan_implILNS1_25lookback_scan_determinismE0ELb0ELb1ES3_N6thrust23THRUST_200600_302600_NS6detail15normal_iteratorINS9_10device_ptrIsEEEESE_sNS9_10multipliesIsEEsEEDaPvRmT3_T4_T5_mT6_P12ihipStream_tbENKUlT_T0_E_clISt17integral_constantIbLb1EEST_IbLb0EEEEDaSP_SQ_EUlSP_E_NS1_11comp_targetILNS1_3genE2ELNS1_11target_archE906ELNS1_3gpuE6ELNS1_3repE0EEENS1_30default_config_static_selectorELNS0_4arch9wavefront6targetE1EEEvT1_
		.amdhsa_group_segment_fixed_size 0
		.amdhsa_private_segment_fixed_size 0
		.amdhsa_kernarg_size 96
		.amdhsa_user_sgpr_count 6
		.amdhsa_user_sgpr_private_segment_buffer 1
		.amdhsa_user_sgpr_dispatch_ptr 0
		.amdhsa_user_sgpr_queue_ptr 0
		.amdhsa_user_sgpr_kernarg_segment_ptr 1
		.amdhsa_user_sgpr_dispatch_id 0
		.amdhsa_user_sgpr_flat_scratch_init 0
		.amdhsa_user_sgpr_kernarg_preload_length 0
		.amdhsa_user_sgpr_kernarg_preload_offset 0
		.amdhsa_user_sgpr_private_segment_size 0
		.amdhsa_uses_dynamic_stack 0
		.amdhsa_system_sgpr_private_segment_wavefront_offset 0
		.amdhsa_system_sgpr_workgroup_id_x 1
		.amdhsa_system_sgpr_workgroup_id_y 0
		.amdhsa_system_sgpr_workgroup_id_z 0
		.amdhsa_system_sgpr_workgroup_info 0
		.amdhsa_system_vgpr_workitem_id 0
		.amdhsa_next_free_vgpr 1
		.amdhsa_next_free_sgpr 0
		.amdhsa_accum_offset 4
		.amdhsa_reserve_vcc 0
		.amdhsa_reserve_flat_scratch 0
		.amdhsa_float_round_mode_32 0
		.amdhsa_float_round_mode_16_64 0
		.amdhsa_float_denorm_mode_32 3
		.amdhsa_float_denorm_mode_16_64 3
		.amdhsa_dx10_clamp 1
		.amdhsa_ieee_mode 1
		.amdhsa_fp16_overflow 0
		.amdhsa_tg_split 0
		.amdhsa_exception_fp_ieee_invalid_op 0
		.amdhsa_exception_fp_denorm_src 0
		.amdhsa_exception_fp_ieee_div_zero 0
		.amdhsa_exception_fp_ieee_overflow 0
		.amdhsa_exception_fp_ieee_underflow 0
		.amdhsa_exception_fp_ieee_inexact 0
		.amdhsa_exception_int_div_zero 0
	.end_amdhsa_kernel
	.section	.text._ZN7rocprim17ROCPRIM_400000_NS6detail17trampoline_kernelINS0_14default_configENS1_20scan_config_selectorIsEEZZNS1_9scan_implILNS1_25lookback_scan_determinismE0ELb0ELb1ES3_N6thrust23THRUST_200600_302600_NS6detail15normal_iteratorINS9_10device_ptrIsEEEESE_sNS9_10multipliesIsEEsEEDaPvRmT3_T4_T5_mT6_P12ihipStream_tbENKUlT_T0_E_clISt17integral_constantIbLb1EEST_IbLb0EEEEDaSP_SQ_EUlSP_E_NS1_11comp_targetILNS1_3genE2ELNS1_11target_archE906ELNS1_3gpuE6ELNS1_3repE0EEENS1_30default_config_static_selectorELNS0_4arch9wavefront6targetE1EEEvT1_,"axG",@progbits,_ZN7rocprim17ROCPRIM_400000_NS6detail17trampoline_kernelINS0_14default_configENS1_20scan_config_selectorIsEEZZNS1_9scan_implILNS1_25lookback_scan_determinismE0ELb0ELb1ES3_N6thrust23THRUST_200600_302600_NS6detail15normal_iteratorINS9_10device_ptrIsEEEESE_sNS9_10multipliesIsEEsEEDaPvRmT3_T4_T5_mT6_P12ihipStream_tbENKUlT_T0_E_clISt17integral_constantIbLb1EEST_IbLb0EEEEDaSP_SQ_EUlSP_E_NS1_11comp_targetILNS1_3genE2ELNS1_11target_archE906ELNS1_3gpuE6ELNS1_3repE0EEENS1_30default_config_static_selectorELNS0_4arch9wavefront6targetE1EEEvT1_,comdat
.Lfunc_end1163:
	.size	_ZN7rocprim17ROCPRIM_400000_NS6detail17trampoline_kernelINS0_14default_configENS1_20scan_config_selectorIsEEZZNS1_9scan_implILNS1_25lookback_scan_determinismE0ELb0ELb1ES3_N6thrust23THRUST_200600_302600_NS6detail15normal_iteratorINS9_10device_ptrIsEEEESE_sNS9_10multipliesIsEEsEEDaPvRmT3_T4_T5_mT6_P12ihipStream_tbENKUlT_T0_E_clISt17integral_constantIbLb1EEST_IbLb0EEEEDaSP_SQ_EUlSP_E_NS1_11comp_targetILNS1_3genE2ELNS1_11target_archE906ELNS1_3gpuE6ELNS1_3repE0EEENS1_30default_config_static_selectorELNS0_4arch9wavefront6targetE1EEEvT1_, .Lfunc_end1163-_ZN7rocprim17ROCPRIM_400000_NS6detail17trampoline_kernelINS0_14default_configENS1_20scan_config_selectorIsEEZZNS1_9scan_implILNS1_25lookback_scan_determinismE0ELb0ELb1ES3_N6thrust23THRUST_200600_302600_NS6detail15normal_iteratorINS9_10device_ptrIsEEEESE_sNS9_10multipliesIsEEsEEDaPvRmT3_T4_T5_mT6_P12ihipStream_tbENKUlT_T0_E_clISt17integral_constantIbLb1EEST_IbLb0EEEEDaSP_SQ_EUlSP_E_NS1_11comp_targetILNS1_3genE2ELNS1_11target_archE906ELNS1_3gpuE6ELNS1_3repE0EEENS1_30default_config_static_selectorELNS0_4arch9wavefront6targetE1EEEvT1_
                                        ; -- End function
	.section	.AMDGPU.csdata,"",@progbits
; Kernel info:
; codeLenInByte = 0
; NumSgprs: 4
; NumVgprs: 0
; NumAgprs: 0
; TotalNumVgprs: 0
; ScratchSize: 0
; MemoryBound: 0
; FloatMode: 240
; IeeeMode: 1
; LDSByteSize: 0 bytes/workgroup (compile time only)
; SGPRBlocks: 0
; VGPRBlocks: 0
; NumSGPRsForWavesPerEU: 4
; NumVGPRsForWavesPerEU: 1
; AccumOffset: 4
; Occupancy: 8
; WaveLimiterHint : 0
; COMPUTE_PGM_RSRC2:SCRATCH_EN: 0
; COMPUTE_PGM_RSRC2:USER_SGPR: 6
; COMPUTE_PGM_RSRC2:TRAP_HANDLER: 0
; COMPUTE_PGM_RSRC2:TGID_X_EN: 1
; COMPUTE_PGM_RSRC2:TGID_Y_EN: 0
; COMPUTE_PGM_RSRC2:TGID_Z_EN: 0
; COMPUTE_PGM_RSRC2:TIDIG_COMP_CNT: 0
; COMPUTE_PGM_RSRC3_GFX90A:ACCUM_OFFSET: 0
; COMPUTE_PGM_RSRC3_GFX90A:TG_SPLIT: 0
	.section	.text._ZN7rocprim17ROCPRIM_400000_NS6detail17trampoline_kernelINS0_14default_configENS1_20scan_config_selectorIsEEZZNS1_9scan_implILNS1_25lookback_scan_determinismE0ELb0ELb1ES3_N6thrust23THRUST_200600_302600_NS6detail15normal_iteratorINS9_10device_ptrIsEEEESE_sNS9_10multipliesIsEEsEEDaPvRmT3_T4_T5_mT6_P12ihipStream_tbENKUlT_T0_E_clISt17integral_constantIbLb1EEST_IbLb0EEEEDaSP_SQ_EUlSP_E_NS1_11comp_targetILNS1_3genE10ELNS1_11target_archE1201ELNS1_3gpuE5ELNS1_3repE0EEENS1_30default_config_static_selectorELNS0_4arch9wavefront6targetE1EEEvT1_,"axG",@progbits,_ZN7rocprim17ROCPRIM_400000_NS6detail17trampoline_kernelINS0_14default_configENS1_20scan_config_selectorIsEEZZNS1_9scan_implILNS1_25lookback_scan_determinismE0ELb0ELb1ES3_N6thrust23THRUST_200600_302600_NS6detail15normal_iteratorINS9_10device_ptrIsEEEESE_sNS9_10multipliesIsEEsEEDaPvRmT3_T4_T5_mT6_P12ihipStream_tbENKUlT_T0_E_clISt17integral_constantIbLb1EEST_IbLb0EEEEDaSP_SQ_EUlSP_E_NS1_11comp_targetILNS1_3genE10ELNS1_11target_archE1201ELNS1_3gpuE5ELNS1_3repE0EEENS1_30default_config_static_selectorELNS0_4arch9wavefront6targetE1EEEvT1_,comdat
	.protected	_ZN7rocprim17ROCPRIM_400000_NS6detail17trampoline_kernelINS0_14default_configENS1_20scan_config_selectorIsEEZZNS1_9scan_implILNS1_25lookback_scan_determinismE0ELb0ELb1ES3_N6thrust23THRUST_200600_302600_NS6detail15normal_iteratorINS9_10device_ptrIsEEEESE_sNS9_10multipliesIsEEsEEDaPvRmT3_T4_T5_mT6_P12ihipStream_tbENKUlT_T0_E_clISt17integral_constantIbLb1EEST_IbLb0EEEEDaSP_SQ_EUlSP_E_NS1_11comp_targetILNS1_3genE10ELNS1_11target_archE1201ELNS1_3gpuE5ELNS1_3repE0EEENS1_30default_config_static_selectorELNS0_4arch9wavefront6targetE1EEEvT1_ ; -- Begin function _ZN7rocprim17ROCPRIM_400000_NS6detail17trampoline_kernelINS0_14default_configENS1_20scan_config_selectorIsEEZZNS1_9scan_implILNS1_25lookback_scan_determinismE0ELb0ELb1ES3_N6thrust23THRUST_200600_302600_NS6detail15normal_iteratorINS9_10device_ptrIsEEEESE_sNS9_10multipliesIsEEsEEDaPvRmT3_T4_T5_mT6_P12ihipStream_tbENKUlT_T0_E_clISt17integral_constantIbLb1EEST_IbLb0EEEEDaSP_SQ_EUlSP_E_NS1_11comp_targetILNS1_3genE10ELNS1_11target_archE1201ELNS1_3gpuE5ELNS1_3repE0EEENS1_30default_config_static_selectorELNS0_4arch9wavefront6targetE1EEEvT1_
	.globl	_ZN7rocprim17ROCPRIM_400000_NS6detail17trampoline_kernelINS0_14default_configENS1_20scan_config_selectorIsEEZZNS1_9scan_implILNS1_25lookback_scan_determinismE0ELb0ELb1ES3_N6thrust23THRUST_200600_302600_NS6detail15normal_iteratorINS9_10device_ptrIsEEEESE_sNS9_10multipliesIsEEsEEDaPvRmT3_T4_T5_mT6_P12ihipStream_tbENKUlT_T0_E_clISt17integral_constantIbLb1EEST_IbLb0EEEEDaSP_SQ_EUlSP_E_NS1_11comp_targetILNS1_3genE10ELNS1_11target_archE1201ELNS1_3gpuE5ELNS1_3repE0EEENS1_30default_config_static_selectorELNS0_4arch9wavefront6targetE1EEEvT1_
	.p2align	8
	.type	_ZN7rocprim17ROCPRIM_400000_NS6detail17trampoline_kernelINS0_14default_configENS1_20scan_config_selectorIsEEZZNS1_9scan_implILNS1_25lookback_scan_determinismE0ELb0ELb1ES3_N6thrust23THRUST_200600_302600_NS6detail15normal_iteratorINS9_10device_ptrIsEEEESE_sNS9_10multipliesIsEEsEEDaPvRmT3_T4_T5_mT6_P12ihipStream_tbENKUlT_T0_E_clISt17integral_constantIbLb1EEST_IbLb0EEEEDaSP_SQ_EUlSP_E_NS1_11comp_targetILNS1_3genE10ELNS1_11target_archE1201ELNS1_3gpuE5ELNS1_3repE0EEENS1_30default_config_static_selectorELNS0_4arch9wavefront6targetE1EEEvT1_,@function
_ZN7rocprim17ROCPRIM_400000_NS6detail17trampoline_kernelINS0_14default_configENS1_20scan_config_selectorIsEEZZNS1_9scan_implILNS1_25lookback_scan_determinismE0ELb0ELb1ES3_N6thrust23THRUST_200600_302600_NS6detail15normal_iteratorINS9_10device_ptrIsEEEESE_sNS9_10multipliesIsEEsEEDaPvRmT3_T4_T5_mT6_P12ihipStream_tbENKUlT_T0_E_clISt17integral_constantIbLb1EEST_IbLb0EEEEDaSP_SQ_EUlSP_E_NS1_11comp_targetILNS1_3genE10ELNS1_11target_archE1201ELNS1_3gpuE5ELNS1_3repE0EEENS1_30default_config_static_selectorELNS0_4arch9wavefront6targetE1EEEvT1_: ; @_ZN7rocprim17ROCPRIM_400000_NS6detail17trampoline_kernelINS0_14default_configENS1_20scan_config_selectorIsEEZZNS1_9scan_implILNS1_25lookback_scan_determinismE0ELb0ELb1ES3_N6thrust23THRUST_200600_302600_NS6detail15normal_iteratorINS9_10device_ptrIsEEEESE_sNS9_10multipliesIsEEsEEDaPvRmT3_T4_T5_mT6_P12ihipStream_tbENKUlT_T0_E_clISt17integral_constantIbLb1EEST_IbLb0EEEEDaSP_SQ_EUlSP_E_NS1_11comp_targetILNS1_3genE10ELNS1_11target_archE1201ELNS1_3gpuE5ELNS1_3repE0EEENS1_30default_config_static_selectorELNS0_4arch9wavefront6targetE1EEEvT1_
; %bb.0:
	.section	.rodata,"a",@progbits
	.p2align	6, 0x0
	.amdhsa_kernel _ZN7rocprim17ROCPRIM_400000_NS6detail17trampoline_kernelINS0_14default_configENS1_20scan_config_selectorIsEEZZNS1_9scan_implILNS1_25lookback_scan_determinismE0ELb0ELb1ES3_N6thrust23THRUST_200600_302600_NS6detail15normal_iteratorINS9_10device_ptrIsEEEESE_sNS9_10multipliesIsEEsEEDaPvRmT3_T4_T5_mT6_P12ihipStream_tbENKUlT_T0_E_clISt17integral_constantIbLb1EEST_IbLb0EEEEDaSP_SQ_EUlSP_E_NS1_11comp_targetILNS1_3genE10ELNS1_11target_archE1201ELNS1_3gpuE5ELNS1_3repE0EEENS1_30default_config_static_selectorELNS0_4arch9wavefront6targetE1EEEvT1_
		.amdhsa_group_segment_fixed_size 0
		.amdhsa_private_segment_fixed_size 0
		.amdhsa_kernarg_size 96
		.amdhsa_user_sgpr_count 6
		.amdhsa_user_sgpr_private_segment_buffer 1
		.amdhsa_user_sgpr_dispatch_ptr 0
		.amdhsa_user_sgpr_queue_ptr 0
		.amdhsa_user_sgpr_kernarg_segment_ptr 1
		.amdhsa_user_sgpr_dispatch_id 0
		.amdhsa_user_sgpr_flat_scratch_init 0
		.amdhsa_user_sgpr_kernarg_preload_length 0
		.amdhsa_user_sgpr_kernarg_preload_offset 0
		.amdhsa_user_sgpr_private_segment_size 0
		.amdhsa_uses_dynamic_stack 0
		.amdhsa_system_sgpr_private_segment_wavefront_offset 0
		.amdhsa_system_sgpr_workgroup_id_x 1
		.amdhsa_system_sgpr_workgroup_id_y 0
		.amdhsa_system_sgpr_workgroup_id_z 0
		.amdhsa_system_sgpr_workgroup_info 0
		.amdhsa_system_vgpr_workitem_id 0
		.amdhsa_next_free_vgpr 1
		.amdhsa_next_free_sgpr 0
		.amdhsa_accum_offset 4
		.amdhsa_reserve_vcc 0
		.amdhsa_reserve_flat_scratch 0
		.amdhsa_float_round_mode_32 0
		.amdhsa_float_round_mode_16_64 0
		.amdhsa_float_denorm_mode_32 3
		.amdhsa_float_denorm_mode_16_64 3
		.amdhsa_dx10_clamp 1
		.amdhsa_ieee_mode 1
		.amdhsa_fp16_overflow 0
		.amdhsa_tg_split 0
		.amdhsa_exception_fp_ieee_invalid_op 0
		.amdhsa_exception_fp_denorm_src 0
		.amdhsa_exception_fp_ieee_div_zero 0
		.amdhsa_exception_fp_ieee_overflow 0
		.amdhsa_exception_fp_ieee_underflow 0
		.amdhsa_exception_fp_ieee_inexact 0
		.amdhsa_exception_int_div_zero 0
	.end_amdhsa_kernel
	.section	.text._ZN7rocprim17ROCPRIM_400000_NS6detail17trampoline_kernelINS0_14default_configENS1_20scan_config_selectorIsEEZZNS1_9scan_implILNS1_25lookback_scan_determinismE0ELb0ELb1ES3_N6thrust23THRUST_200600_302600_NS6detail15normal_iteratorINS9_10device_ptrIsEEEESE_sNS9_10multipliesIsEEsEEDaPvRmT3_T4_T5_mT6_P12ihipStream_tbENKUlT_T0_E_clISt17integral_constantIbLb1EEST_IbLb0EEEEDaSP_SQ_EUlSP_E_NS1_11comp_targetILNS1_3genE10ELNS1_11target_archE1201ELNS1_3gpuE5ELNS1_3repE0EEENS1_30default_config_static_selectorELNS0_4arch9wavefront6targetE1EEEvT1_,"axG",@progbits,_ZN7rocprim17ROCPRIM_400000_NS6detail17trampoline_kernelINS0_14default_configENS1_20scan_config_selectorIsEEZZNS1_9scan_implILNS1_25lookback_scan_determinismE0ELb0ELb1ES3_N6thrust23THRUST_200600_302600_NS6detail15normal_iteratorINS9_10device_ptrIsEEEESE_sNS9_10multipliesIsEEsEEDaPvRmT3_T4_T5_mT6_P12ihipStream_tbENKUlT_T0_E_clISt17integral_constantIbLb1EEST_IbLb0EEEEDaSP_SQ_EUlSP_E_NS1_11comp_targetILNS1_3genE10ELNS1_11target_archE1201ELNS1_3gpuE5ELNS1_3repE0EEENS1_30default_config_static_selectorELNS0_4arch9wavefront6targetE1EEEvT1_,comdat
.Lfunc_end1164:
	.size	_ZN7rocprim17ROCPRIM_400000_NS6detail17trampoline_kernelINS0_14default_configENS1_20scan_config_selectorIsEEZZNS1_9scan_implILNS1_25lookback_scan_determinismE0ELb0ELb1ES3_N6thrust23THRUST_200600_302600_NS6detail15normal_iteratorINS9_10device_ptrIsEEEESE_sNS9_10multipliesIsEEsEEDaPvRmT3_T4_T5_mT6_P12ihipStream_tbENKUlT_T0_E_clISt17integral_constantIbLb1EEST_IbLb0EEEEDaSP_SQ_EUlSP_E_NS1_11comp_targetILNS1_3genE10ELNS1_11target_archE1201ELNS1_3gpuE5ELNS1_3repE0EEENS1_30default_config_static_selectorELNS0_4arch9wavefront6targetE1EEEvT1_, .Lfunc_end1164-_ZN7rocprim17ROCPRIM_400000_NS6detail17trampoline_kernelINS0_14default_configENS1_20scan_config_selectorIsEEZZNS1_9scan_implILNS1_25lookback_scan_determinismE0ELb0ELb1ES3_N6thrust23THRUST_200600_302600_NS6detail15normal_iteratorINS9_10device_ptrIsEEEESE_sNS9_10multipliesIsEEsEEDaPvRmT3_T4_T5_mT6_P12ihipStream_tbENKUlT_T0_E_clISt17integral_constantIbLb1EEST_IbLb0EEEEDaSP_SQ_EUlSP_E_NS1_11comp_targetILNS1_3genE10ELNS1_11target_archE1201ELNS1_3gpuE5ELNS1_3repE0EEENS1_30default_config_static_selectorELNS0_4arch9wavefront6targetE1EEEvT1_
                                        ; -- End function
	.section	.AMDGPU.csdata,"",@progbits
; Kernel info:
; codeLenInByte = 0
; NumSgprs: 4
; NumVgprs: 0
; NumAgprs: 0
; TotalNumVgprs: 0
; ScratchSize: 0
; MemoryBound: 0
; FloatMode: 240
; IeeeMode: 1
; LDSByteSize: 0 bytes/workgroup (compile time only)
; SGPRBlocks: 0
; VGPRBlocks: 0
; NumSGPRsForWavesPerEU: 4
; NumVGPRsForWavesPerEU: 1
; AccumOffset: 4
; Occupancy: 8
; WaveLimiterHint : 0
; COMPUTE_PGM_RSRC2:SCRATCH_EN: 0
; COMPUTE_PGM_RSRC2:USER_SGPR: 6
; COMPUTE_PGM_RSRC2:TRAP_HANDLER: 0
; COMPUTE_PGM_RSRC2:TGID_X_EN: 1
; COMPUTE_PGM_RSRC2:TGID_Y_EN: 0
; COMPUTE_PGM_RSRC2:TGID_Z_EN: 0
; COMPUTE_PGM_RSRC2:TIDIG_COMP_CNT: 0
; COMPUTE_PGM_RSRC3_GFX90A:ACCUM_OFFSET: 0
; COMPUTE_PGM_RSRC3_GFX90A:TG_SPLIT: 0
	.section	.text._ZN7rocprim17ROCPRIM_400000_NS6detail17trampoline_kernelINS0_14default_configENS1_20scan_config_selectorIsEEZZNS1_9scan_implILNS1_25lookback_scan_determinismE0ELb0ELb1ES3_N6thrust23THRUST_200600_302600_NS6detail15normal_iteratorINS9_10device_ptrIsEEEESE_sNS9_10multipliesIsEEsEEDaPvRmT3_T4_T5_mT6_P12ihipStream_tbENKUlT_T0_E_clISt17integral_constantIbLb1EEST_IbLb0EEEEDaSP_SQ_EUlSP_E_NS1_11comp_targetILNS1_3genE10ELNS1_11target_archE1200ELNS1_3gpuE4ELNS1_3repE0EEENS1_30default_config_static_selectorELNS0_4arch9wavefront6targetE1EEEvT1_,"axG",@progbits,_ZN7rocprim17ROCPRIM_400000_NS6detail17trampoline_kernelINS0_14default_configENS1_20scan_config_selectorIsEEZZNS1_9scan_implILNS1_25lookback_scan_determinismE0ELb0ELb1ES3_N6thrust23THRUST_200600_302600_NS6detail15normal_iteratorINS9_10device_ptrIsEEEESE_sNS9_10multipliesIsEEsEEDaPvRmT3_T4_T5_mT6_P12ihipStream_tbENKUlT_T0_E_clISt17integral_constantIbLb1EEST_IbLb0EEEEDaSP_SQ_EUlSP_E_NS1_11comp_targetILNS1_3genE10ELNS1_11target_archE1200ELNS1_3gpuE4ELNS1_3repE0EEENS1_30default_config_static_selectorELNS0_4arch9wavefront6targetE1EEEvT1_,comdat
	.protected	_ZN7rocprim17ROCPRIM_400000_NS6detail17trampoline_kernelINS0_14default_configENS1_20scan_config_selectorIsEEZZNS1_9scan_implILNS1_25lookback_scan_determinismE0ELb0ELb1ES3_N6thrust23THRUST_200600_302600_NS6detail15normal_iteratorINS9_10device_ptrIsEEEESE_sNS9_10multipliesIsEEsEEDaPvRmT3_T4_T5_mT6_P12ihipStream_tbENKUlT_T0_E_clISt17integral_constantIbLb1EEST_IbLb0EEEEDaSP_SQ_EUlSP_E_NS1_11comp_targetILNS1_3genE10ELNS1_11target_archE1200ELNS1_3gpuE4ELNS1_3repE0EEENS1_30default_config_static_selectorELNS0_4arch9wavefront6targetE1EEEvT1_ ; -- Begin function _ZN7rocprim17ROCPRIM_400000_NS6detail17trampoline_kernelINS0_14default_configENS1_20scan_config_selectorIsEEZZNS1_9scan_implILNS1_25lookback_scan_determinismE0ELb0ELb1ES3_N6thrust23THRUST_200600_302600_NS6detail15normal_iteratorINS9_10device_ptrIsEEEESE_sNS9_10multipliesIsEEsEEDaPvRmT3_T4_T5_mT6_P12ihipStream_tbENKUlT_T0_E_clISt17integral_constantIbLb1EEST_IbLb0EEEEDaSP_SQ_EUlSP_E_NS1_11comp_targetILNS1_3genE10ELNS1_11target_archE1200ELNS1_3gpuE4ELNS1_3repE0EEENS1_30default_config_static_selectorELNS0_4arch9wavefront6targetE1EEEvT1_
	.globl	_ZN7rocprim17ROCPRIM_400000_NS6detail17trampoline_kernelINS0_14default_configENS1_20scan_config_selectorIsEEZZNS1_9scan_implILNS1_25lookback_scan_determinismE0ELb0ELb1ES3_N6thrust23THRUST_200600_302600_NS6detail15normal_iteratorINS9_10device_ptrIsEEEESE_sNS9_10multipliesIsEEsEEDaPvRmT3_T4_T5_mT6_P12ihipStream_tbENKUlT_T0_E_clISt17integral_constantIbLb1EEST_IbLb0EEEEDaSP_SQ_EUlSP_E_NS1_11comp_targetILNS1_3genE10ELNS1_11target_archE1200ELNS1_3gpuE4ELNS1_3repE0EEENS1_30default_config_static_selectorELNS0_4arch9wavefront6targetE1EEEvT1_
	.p2align	8
	.type	_ZN7rocprim17ROCPRIM_400000_NS6detail17trampoline_kernelINS0_14default_configENS1_20scan_config_selectorIsEEZZNS1_9scan_implILNS1_25lookback_scan_determinismE0ELb0ELb1ES3_N6thrust23THRUST_200600_302600_NS6detail15normal_iteratorINS9_10device_ptrIsEEEESE_sNS9_10multipliesIsEEsEEDaPvRmT3_T4_T5_mT6_P12ihipStream_tbENKUlT_T0_E_clISt17integral_constantIbLb1EEST_IbLb0EEEEDaSP_SQ_EUlSP_E_NS1_11comp_targetILNS1_3genE10ELNS1_11target_archE1200ELNS1_3gpuE4ELNS1_3repE0EEENS1_30default_config_static_selectorELNS0_4arch9wavefront6targetE1EEEvT1_,@function
_ZN7rocprim17ROCPRIM_400000_NS6detail17trampoline_kernelINS0_14default_configENS1_20scan_config_selectorIsEEZZNS1_9scan_implILNS1_25lookback_scan_determinismE0ELb0ELb1ES3_N6thrust23THRUST_200600_302600_NS6detail15normal_iteratorINS9_10device_ptrIsEEEESE_sNS9_10multipliesIsEEsEEDaPvRmT3_T4_T5_mT6_P12ihipStream_tbENKUlT_T0_E_clISt17integral_constantIbLb1EEST_IbLb0EEEEDaSP_SQ_EUlSP_E_NS1_11comp_targetILNS1_3genE10ELNS1_11target_archE1200ELNS1_3gpuE4ELNS1_3repE0EEENS1_30default_config_static_selectorELNS0_4arch9wavefront6targetE1EEEvT1_: ; @_ZN7rocprim17ROCPRIM_400000_NS6detail17trampoline_kernelINS0_14default_configENS1_20scan_config_selectorIsEEZZNS1_9scan_implILNS1_25lookback_scan_determinismE0ELb0ELb1ES3_N6thrust23THRUST_200600_302600_NS6detail15normal_iteratorINS9_10device_ptrIsEEEESE_sNS9_10multipliesIsEEsEEDaPvRmT3_T4_T5_mT6_P12ihipStream_tbENKUlT_T0_E_clISt17integral_constantIbLb1EEST_IbLb0EEEEDaSP_SQ_EUlSP_E_NS1_11comp_targetILNS1_3genE10ELNS1_11target_archE1200ELNS1_3gpuE4ELNS1_3repE0EEENS1_30default_config_static_selectorELNS0_4arch9wavefront6targetE1EEEvT1_
; %bb.0:
	.section	.rodata,"a",@progbits
	.p2align	6, 0x0
	.amdhsa_kernel _ZN7rocprim17ROCPRIM_400000_NS6detail17trampoline_kernelINS0_14default_configENS1_20scan_config_selectorIsEEZZNS1_9scan_implILNS1_25lookback_scan_determinismE0ELb0ELb1ES3_N6thrust23THRUST_200600_302600_NS6detail15normal_iteratorINS9_10device_ptrIsEEEESE_sNS9_10multipliesIsEEsEEDaPvRmT3_T4_T5_mT6_P12ihipStream_tbENKUlT_T0_E_clISt17integral_constantIbLb1EEST_IbLb0EEEEDaSP_SQ_EUlSP_E_NS1_11comp_targetILNS1_3genE10ELNS1_11target_archE1200ELNS1_3gpuE4ELNS1_3repE0EEENS1_30default_config_static_selectorELNS0_4arch9wavefront6targetE1EEEvT1_
		.amdhsa_group_segment_fixed_size 0
		.amdhsa_private_segment_fixed_size 0
		.amdhsa_kernarg_size 96
		.amdhsa_user_sgpr_count 6
		.amdhsa_user_sgpr_private_segment_buffer 1
		.amdhsa_user_sgpr_dispatch_ptr 0
		.amdhsa_user_sgpr_queue_ptr 0
		.amdhsa_user_sgpr_kernarg_segment_ptr 1
		.amdhsa_user_sgpr_dispatch_id 0
		.amdhsa_user_sgpr_flat_scratch_init 0
		.amdhsa_user_sgpr_kernarg_preload_length 0
		.amdhsa_user_sgpr_kernarg_preload_offset 0
		.amdhsa_user_sgpr_private_segment_size 0
		.amdhsa_uses_dynamic_stack 0
		.amdhsa_system_sgpr_private_segment_wavefront_offset 0
		.amdhsa_system_sgpr_workgroup_id_x 1
		.amdhsa_system_sgpr_workgroup_id_y 0
		.amdhsa_system_sgpr_workgroup_id_z 0
		.amdhsa_system_sgpr_workgroup_info 0
		.amdhsa_system_vgpr_workitem_id 0
		.amdhsa_next_free_vgpr 1
		.amdhsa_next_free_sgpr 0
		.amdhsa_accum_offset 4
		.amdhsa_reserve_vcc 0
		.amdhsa_reserve_flat_scratch 0
		.amdhsa_float_round_mode_32 0
		.amdhsa_float_round_mode_16_64 0
		.amdhsa_float_denorm_mode_32 3
		.amdhsa_float_denorm_mode_16_64 3
		.amdhsa_dx10_clamp 1
		.amdhsa_ieee_mode 1
		.amdhsa_fp16_overflow 0
		.amdhsa_tg_split 0
		.amdhsa_exception_fp_ieee_invalid_op 0
		.amdhsa_exception_fp_denorm_src 0
		.amdhsa_exception_fp_ieee_div_zero 0
		.amdhsa_exception_fp_ieee_overflow 0
		.amdhsa_exception_fp_ieee_underflow 0
		.amdhsa_exception_fp_ieee_inexact 0
		.amdhsa_exception_int_div_zero 0
	.end_amdhsa_kernel
	.section	.text._ZN7rocprim17ROCPRIM_400000_NS6detail17trampoline_kernelINS0_14default_configENS1_20scan_config_selectorIsEEZZNS1_9scan_implILNS1_25lookback_scan_determinismE0ELb0ELb1ES3_N6thrust23THRUST_200600_302600_NS6detail15normal_iteratorINS9_10device_ptrIsEEEESE_sNS9_10multipliesIsEEsEEDaPvRmT3_T4_T5_mT6_P12ihipStream_tbENKUlT_T0_E_clISt17integral_constantIbLb1EEST_IbLb0EEEEDaSP_SQ_EUlSP_E_NS1_11comp_targetILNS1_3genE10ELNS1_11target_archE1200ELNS1_3gpuE4ELNS1_3repE0EEENS1_30default_config_static_selectorELNS0_4arch9wavefront6targetE1EEEvT1_,"axG",@progbits,_ZN7rocprim17ROCPRIM_400000_NS6detail17trampoline_kernelINS0_14default_configENS1_20scan_config_selectorIsEEZZNS1_9scan_implILNS1_25lookback_scan_determinismE0ELb0ELb1ES3_N6thrust23THRUST_200600_302600_NS6detail15normal_iteratorINS9_10device_ptrIsEEEESE_sNS9_10multipliesIsEEsEEDaPvRmT3_T4_T5_mT6_P12ihipStream_tbENKUlT_T0_E_clISt17integral_constantIbLb1EEST_IbLb0EEEEDaSP_SQ_EUlSP_E_NS1_11comp_targetILNS1_3genE10ELNS1_11target_archE1200ELNS1_3gpuE4ELNS1_3repE0EEENS1_30default_config_static_selectorELNS0_4arch9wavefront6targetE1EEEvT1_,comdat
.Lfunc_end1165:
	.size	_ZN7rocprim17ROCPRIM_400000_NS6detail17trampoline_kernelINS0_14default_configENS1_20scan_config_selectorIsEEZZNS1_9scan_implILNS1_25lookback_scan_determinismE0ELb0ELb1ES3_N6thrust23THRUST_200600_302600_NS6detail15normal_iteratorINS9_10device_ptrIsEEEESE_sNS9_10multipliesIsEEsEEDaPvRmT3_T4_T5_mT6_P12ihipStream_tbENKUlT_T0_E_clISt17integral_constantIbLb1EEST_IbLb0EEEEDaSP_SQ_EUlSP_E_NS1_11comp_targetILNS1_3genE10ELNS1_11target_archE1200ELNS1_3gpuE4ELNS1_3repE0EEENS1_30default_config_static_selectorELNS0_4arch9wavefront6targetE1EEEvT1_, .Lfunc_end1165-_ZN7rocprim17ROCPRIM_400000_NS6detail17trampoline_kernelINS0_14default_configENS1_20scan_config_selectorIsEEZZNS1_9scan_implILNS1_25lookback_scan_determinismE0ELb0ELb1ES3_N6thrust23THRUST_200600_302600_NS6detail15normal_iteratorINS9_10device_ptrIsEEEESE_sNS9_10multipliesIsEEsEEDaPvRmT3_T4_T5_mT6_P12ihipStream_tbENKUlT_T0_E_clISt17integral_constantIbLb1EEST_IbLb0EEEEDaSP_SQ_EUlSP_E_NS1_11comp_targetILNS1_3genE10ELNS1_11target_archE1200ELNS1_3gpuE4ELNS1_3repE0EEENS1_30default_config_static_selectorELNS0_4arch9wavefront6targetE1EEEvT1_
                                        ; -- End function
	.section	.AMDGPU.csdata,"",@progbits
; Kernel info:
; codeLenInByte = 0
; NumSgprs: 4
; NumVgprs: 0
; NumAgprs: 0
; TotalNumVgprs: 0
; ScratchSize: 0
; MemoryBound: 0
; FloatMode: 240
; IeeeMode: 1
; LDSByteSize: 0 bytes/workgroup (compile time only)
; SGPRBlocks: 0
; VGPRBlocks: 0
; NumSGPRsForWavesPerEU: 4
; NumVGPRsForWavesPerEU: 1
; AccumOffset: 4
; Occupancy: 8
; WaveLimiterHint : 0
; COMPUTE_PGM_RSRC2:SCRATCH_EN: 0
; COMPUTE_PGM_RSRC2:USER_SGPR: 6
; COMPUTE_PGM_RSRC2:TRAP_HANDLER: 0
; COMPUTE_PGM_RSRC2:TGID_X_EN: 1
; COMPUTE_PGM_RSRC2:TGID_Y_EN: 0
; COMPUTE_PGM_RSRC2:TGID_Z_EN: 0
; COMPUTE_PGM_RSRC2:TIDIG_COMP_CNT: 0
; COMPUTE_PGM_RSRC3_GFX90A:ACCUM_OFFSET: 0
; COMPUTE_PGM_RSRC3_GFX90A:TG_SPLIT: 0
	.section	.text._ZN7rocprim17ROCPRIM_400000_NS6detail17trampoline_kernelINS0_14default_configENS1_20scan_config_selectorIsEEZZNS1_9scan_implILNS1_25lookback_scan_determinismE0ELb0ELb1ES3_N6thrust23THRUST_200600_302600_NS6detail15normal_iteratorINS9_10device_ptrIsEEEESE_sNS9_10multipliesIsEEsEEDaPvRmT3_T4_T5_mT6_P12ihipStream_tbENKUlT_T0_E_clISt17integral_constantIbLb1EEST_IbLb0EEEEDaSP_SQ_EUlSP_E_NS1_11comp_targetILNS1_3genE9ELNS1_11target_archE1100ELNS1_3gpuE3ELNS1_3repE0EEENS1_30default_config_static_selectorELNS0_4arch9wavefront6targetE1EEEvT1_,"axG",@progbits,_ZN7rocprim17ROCPRIM_400000_NS6detail17trampoline_kernelINS0_14default_configENS1_20scan_config_selectorIsEEZZNS1_9scan_implILNS1_25lookback_scan_determinismE0ELb0ELb1ES3_N6thrust23THRUST_200600_302600_NS6detail15normal_iteratorINS9_10device_ptrIsEEEESE_sNS9_10multipliesIsEEsEEDaPvRmT3_T4_T5_mT6_P12ihipStream_tbENKUlT_T0_E_clISt17integral_constantIbLb1EEST_IbLb0EEEEDaSP_SQ_EUlSP_E_NS1_11comp_targetILNS1_3genE9ELNS1_11target_archE1100ELNS1_3gpuE3ELNS1_3repE0EEENS1_30default_config_static_selectorELNS0_4arch9wavefront6targetE1EEEvT1_,comdat
	.protected	_ZN7rocprim17ROCPRIM_400000_NS6detail17trampoline_kernelINS0_14default_configENS1_20scan_config_selectorIsEEZZNS1_9scan_implILNS1_25lookback_scan_determinismE0ELb0ELb1ES3_N6thrust23THRUST_200600_302600_NS6detail15normal_iteratorINS9_10device_ptrIsEEEESE_sNS9_10multipliesIsEEsEEDaPvRmT3_T4_T5_mT6_P12ihipStream_tbENKUlT_T0_E_clISt17integral_constantIbLb1EEST_IbLb0EEEEDaSP_SQ_EUlSP_E_NS1_11comp_targetILNS1_3genE9ELNS1_11target_archE1100ELNS1_3gpuE3ELNS1_3repE0EEENS1_30default_config_static_selectorELNS0_4arch9wavefront6targetE1EEEvT1_ ; -- Begin function _ZN7rocprim17ROCPRIM_400000_NS6detail17trampoline_kernelINS0_14default_configENS1_20scan_config_selectorIsEEZZNS1_9scan_implILNS1_25lookback_scan_determinismE0ELb0ELb1ES3_N6thrust23THRUST_200600_302600_NS6detail15normal_iteratorINS9_10device_ptrIsEEEESE_sNS9_10multipliesIsEEsEEDaPvRmT3_T4_T5_mT6_P12ihipStream_tbENKUlT_T0_E_clISt17integral_constantIbLb1EEST_IbLb0EEEEDaSP_SQ_EUlSP_E_NS1_11comp_targetILNS1_3genE9ELNS1_11target_archE1100ELNS1_3gpuE3ELNS1_3repE0EEENS1_30default_config_static_selectorELNS0_4arch9wavefront6targetE1EEEvT1_
	.globl	_ZN7rocprim17ROCPRIM_400000_NS6detail17trampoline_kernelINS0_14default_configENS1_20scan_config_selectorIsEEZZNS1_9scan_implILNS1_25lookback_scan_determinismE0ELb0ELb1ES3_N6thrust23THRUST_200600_302600_NS6detail15normal_iteratorINS9_10device_ptrIsEEEESE_sNS9_10multipliesIsEEsEEDaPvRmT3_T4_T5_mT6_P12ihipStream_tbENKUlT_T0_E_clISt17integral_constantIbLb1EEST_IbLb0EEEEDaSP_SQ_EUlSP_E_NS1_11comp_targetILNS1_3genE9ELNS1_11target_archE1100ELNS1_3gpuE3ELNS1_3repE0EEENS1_30default_config_static_selectorELNS0_4arch9wavefront6targetE1EEEvT1_
	.p2align	8
	.type	_ZN7rocprim17ROCPRIM_400000_NS6detail17trampoline_kernelINS0_14default_configENS1_20scan_config_selectorIsEEZZNS1_9scan_implILNS1_25lookback_scan_determinismE0ELb0ELb1ES3_N6thrust23THRUST_200600_302600_NS6detail15normal_iteratorINS9_10device_ptrIsEEEESE_sNS9_10multipliesIsEEsEEDaPvRmT3_T4_T5_mT6_P12ihipStream_tbENKUlT_T0_E_clISt17integral_constantIbLb1EEST_IbLb0EEEEDaSP_SQ_EUlSP_E_NS1_11comp_targetILNS1_3genE9ELNS1_11target_archE1100ELNS1_3gpuE3ELNS1_3repE0EEENS1_30default_config_static_selectorELNS0_4arch9wavefront6targetE1EEEvT1_,@function
_ZN7rocprim17ROCPRIM_400000_NS6detail17trampoline_kernelINS0_14default_configENS1_20scan_config_selectorIsEEZZNS1_9scan_implILNS1_25lookback_scan_determinismE0ELb0ELb1ES3_N6thrust23THRUST_200600_302600_NS6detail15normal_iteratorINS9_10device_ptrIsEEEESE_sNS9_10multipliesIsEEsEEDaPvRmT3_T4_T5_mT6_P12ihipStream_tbENKUlT_T0_E_clISt17integral_constantIbLb1EEST_IbLb0EEEEDaSP_SQ_EUlSP_E_NS1_11comp_targetILNS1_3genE9ELNS1_11target_archE1100ELNS1_3gpuE3ELNS1_3repE0EEENS1_30default_config_static_selectorELNS0_4arch9wavefront6targetE1EEEvT1_: ; @_ZN7rocprim17ROCPRIM_400000_NS6detail17trampoline_kernelINS0_14default_configENS1_20scan_config_selectorIsEEZZNS1_9scan_implILNS1_25lookback_scan_determinismE0ELb0ELb1ES3_N6thrust23THRUST_200600_302600_NS6detail15normal_iteratorINS9_10device_ptrIsEEEESE_sNS9_10multipliesIsEEsEEDaPvRmT3_T4_T5_mT6_P12ihipStream_tbENKUlT_T0_E_clISt17integral_constantIbLb1EEST_IbLb0EEEEDaSP_SQ_EUlSP_E_NS1_11comp_targetILNS1_3genE9ELNS1_11target_archE1100ELNS1_3gpuE3ELNS1_3repE0EEENS1_30default_config_static_selectorELNS0_4arch9wavefront6targetE1EEEvT1_
; %bb.0:
	.section	.rodata,"a",@progbits
	.p2align	6, 0x0
	.amdhsa_kernel _ZN7rocprim17ROCPRIM_400000_NS6detail17trampoline_kernelINS0_14default_configENS1_20scan_config_selectorIsEEZZNS1_9scan_implILNS1_25lookback_scan_determinismE0ELb0ELb1ES3_N6thrust23THRUST_200600_302600_NS6detail15normal_iteratorINS9_10device_ptrIsEEEESE_sNS9_10multipliesIsEEsEEDaPvRmT3_T4_T5_mT6_P12ihipStream_tbENKUlT_T0_E_clISt17integral_constantIbLb1EEST_IbLb0EEEEDaSP_SQ_EUlSP_E_NS1_11comp_targetILNS1_3genE9ELNS1_11target_archE1100ELNS1_3gpuE3ELNS1_3repE0EEENS1_30default_config_static_selectorELNS0_4arch9wavefront6targetE1EEEvT1_
		.amdhsa_group_segment_fixed_size 0
		.amdhsa_private_segment_fixed_size 0
		.amdhsa_kernarg_size 96
		.amdhsa_user_sgpr_count 6
		.amdhsa_user_sgpr_private_segment_buffer 1
		.amdhsa_user_sgpr_dispatch_ptr 0
		.amdhsa_user_sgpr_queue_ptr 0
		.amdhsa_user_sgpr_kernarg_segment_ptr 1
		.amdhsa_user_sgpr_dispatch_id 0
		.amdhsa_user_sgpr_flat_scratch_init 0
		.amdhsa_user_sgpr_kernarg_preload_length 0
		.amdhsa_user_sgpr_kernarg_preload_offset 0
		.amdhsa_user_sgpr_private_segment_size 0
		.amdhsa_uses_dynamic_stack 0
		.amdhsa_system_sgpr_private_segment_wavefront_offset 0
		.amdhsa_system_sgpr_workgroup_id_x 1
		.amdhsa_system_sgpr_workgroup_id_y 0
		.amdhsa_system_sgpr_workgroup_id_z 0
		.amdhsa_system_sgpr_workgroup_info 0
		.amdhsa_system_vgpr_workitem_id 0
		.amdhsa_next_free_vgpr 1
		.amdhsa_next_free_sgpr 0
		.amdhsa_accum_offset 4
		.amdhsa_reserve_vcc 0
		.amdhsa_reserve_flat_scratch 0
		.amdhsa_float_round_mode_32 0
		.amdhsa_float_round_mode_16_64 0
		.amdhsa_float_denorm_mode_32 3
		.amdhsa_float_denorm_mode_16_64 3
		.amdhsa_dx10_clamp 1
		.amdhsa_ieee_mode 1
		.amdhsa_fp16_overflow 0
		.amdhsa_tg_split 0
		.amdhsa_exception_fp_ieee_invalid_op 0
		.amdhsa_exception_fp_denorm_src 0
		.amdhsa_exception_fp_ieee_div_zero 0
		.amdhsa_exception_fp_ieee_overflow 0
		.amdhsa_exception_fp_ieee_underflow 0
		.amdhsa_exception_fp_ieee_inexact 0
		.amdhsa_exception_int_div_zero 0
	.end_amdhsa_kernel
	.section	.text._ZN7rocprim17ROCPRIM_400000_NS6detail17trampoline_kernelINS0_14default_configENS1_20scan_config_selectorIsEEZZNS1_9scan_implILNS1_25lookback_scan_determinismE0ELb0ELb1ES3_N6thrust23THRUST_200600_302600_NS6detail15normal_iteratorINS9_10device_ptrIsEEEESE_sNS9_10multipliesIsEEsEEDaPvRmT3_T4_T5_mT6_P12ihipStream_tbENKUlT_T0_E_clISt17integral_constantIbLb1EEST_IbLb0EEEEDaSP_SQ_EUlSP_E_NS1_11comp_targetILNS1_3genE9ELNS1_11target_archE1100ELNS1_3gpuE3ELNS1_3repE0EEENS1_30default_config_static_selectorELNS0_4arch9wavefront6targetE1EEEvT1_,"axG",@progbits,_ZN7rocprim17ROCPRIM_400000_NS6detail17trampoline_kernelINS0_14default_configENS1_20scan_config_selectorIsEEZZNS1_9scan_implILNS1_25lookback_scan_determinismE0ELb0ELb1ES3_N6thrust23THRUST_200600_302600_NS6detail15normal_iteratorINS9_10device_ptrIsEEEESE_sNS9_10multipliesIsEEsEEDaPvRmT3_T4_T5_mT6_P12ihipStream_tbENKUlT_T0_E_clISt17integral_constantIbLb1EEST_IbLb0EEEEDaSP_SQ_EUlSP_E_NS1_11comp_targetILNS1_3genE9ELNS1_11target_archE1100ELNS1_3gpuE3ELNS1_3repE0EEENS1_30default_config_static_selectorELNS0_4arch9wavefront6targetE1EEEvT1_,comdat
.Lfunc_end1166:
	.size	_ZN7rocprim17ROCPRIM_400000_NS6detail17trampoline_kernelINS0_14default_configENS1_20scan_config_selectorIsEEZZNS1_9scan_implILNS1_25lookback_scan_determinismE0ELb0ELb1ES3_N6thrust23THRUST_200600_302600_NS6detail15normal_iteratorINS9_10device_ptrIsEEEESE_sNS9_10multipliesIsEEsEEDaPvRmT3_T4_T5_mT6_P12ihipStream_tbENKUlT_T0_E_clISt17integral_constantIbLb1EEST_IbLb0EEEEDaSP_SQ_EUlSP_E_NS1_11comp_targetILNS1_3genE9ELNS1_11target_archE1100ELNS1_3gpuE3ELNS1_3repE0EEENS1_30default_config_static_selectorELNS0_4arch9wavefront6targetE1EEEvT1_, .Lfunc_end1166-_ZN7rocprim17ROCPRIM_400000_NS6detail17trampoline_kernelINS0_14default_configENS1_20scan_config_selectorIsEEZZNS1_9scan_implILNS1_25lookback_scan_determinismE0ELb0ELb1ES3_N6thrust23THRUST_200600_302600_NS6detail15normal_iteratorINS9_10device_ptrIsEEEESE_sNS9_10multipliesIsEEsEEDaPvRmT3_T4_T5_mT6_P12ihipStream_tbENKUlT_T0_E_clISt17integral_constantIbLb1EEST_IbLb0EEEEDaSP_SQ_EUlSP_E_NS1_11comp_targetILNS1_3genE9ELNS1_11target_archE1100ELNS1_3gpuE3ELNS1_3repE0EEENS1_30default_config_static_selectorELNS0_4arch9wavefront6targetE1EEEvT1_
                                        ; -- End function
	.section	.AMDGPU.csdata,"",@progbits
; Kernel info:
; codeLenInByte = 0
; NumSgprs: 4
; NumVgprs: 0
; NumAgprs: 0
; TotalNumVgprs: 0
; ScratchSize: 0
; MemoryBound: 0
; FloatMode: 240
; IeeeMode: 1
; LDSByteSize: 0 bytes/workgroup (compile time only)
; SGPRBlocks: 0
; VGPRBlocks: 0
; NumSGPRsForWavesPerEU: 4
; NumVGPRsForWavesPerEU: 1
; AccumOffset: 4
; Occupancy: 8
; WaveLimiterHint : 0
; COMPUTE_PGM_RSRC2:SCRATCH_EN: 0
; COMPUTE_PGM_RSRC2:USER_SGPR: 6
; COMPUTE_PGM_RSRC2:TRAP_HANDLER: 0
; COMPUTE_PGM_RSRC2:TGID_X_EN: 1
; COMPUTE_PGM_RSRC2:TGID_Y_EN: 0
; COMPUTE_PGM_RSRC2:TGID_Z_EN: 0
; COMPUTE_PGM_RSRC2:TIDIG_COMP_CNT: 0
; COMPUTE_PGM_RSRC3_GFX90A:ACCUM_OFFSET: 0
; COMPUTE_PGM_RSRC3_GFX90A:TG_SPLIT: 0
	.section	.text._ZN7rocprim17ROCPRIM_400000_NS6detail17trampoline_kernelINS0_14default_configENS1_20scan_config_selectorIsEEZZNS1_9scan_implILNS1_25lookback_scan_determinismE0ELb0ELb1ES3_N6thrust23THRUST_200600_302600_NS6detail15normal_iteratorINS9_10device_ptrIsEEEESE_sNS9_10multipliesIsEEsEEDaPvRmT3_T4_T5_mT6_P12ihipStream_tbENKUlT_T0_E_clISt17integral_constantIbLb1EEST_IbLb0EEEEDaSP_SQ_EUlSP_E_NS1_11comp_targetILNS1_3genE8ELNS1_11target_archE1030ELNS1_3gpuE2ELNS1_3repE0EEENS1_30default_config_static_selectorELNS0_4arch9wavefront6targetE1EEEvT1_,"axG",@progbits,_ZN7rocprim17ROCPRIM_400000_NS6detail17trampoline_kernelINS0_14default_configENS1_20scan_config_selectorIsEEZZNS1_9scan_implILNS1_25lookback_scan_determinismE0ELb0ELb1ES3_N6thrust23THRUST_200600_302600_NS6detail15normal_iteratorINS9_10device_ptrIsEEEESE_sNS9_10multipliesIsEEsEEDaPvRmT3_T4_T5_mT6_P12ihipStream_tbENKUlT_T0_E_clISt17integral_constantIbLb1EEST_IbLb0EEEEDaSP_SQ_EUlSP_E_NS1_11comp_targetILNS1_3genE8ELNS1_11target_archE1030ELNS1_3gpuE2ELNS1_3repE0EEENS1_30default_config_static_selectorELNS0_4arch9wavefront6targetE1EEEvT1_,comdat
	.protected	_ZN7rocprim17ROCPRIM_400000_NS6detail17trampoline_kernelINS0_14default_configENS1_20scan_config_selectorIsEEZZNS1_9scan_implILNS1_25lookback_scan_determinismE0ELb0ELb1ES3_N6thrust23THRUST_200600_302600_NS6detail15normal_iteratorINS9_10device_ptrIsEEEESE_sNS9_10multipliesIsEEsEEDaPvRmT3_T4_T5_mT6_P12ihipStream_tbENKUlT_T0_E_clISt17integral_constantIbLb1EEST_IbLb0EEEEDaSP_SQ_EUlSP_E_NS1_11comp_targetILNS1_3genE8ELNS1_11target_archE1030ELNS1_3gpuE2ELNS1_3repE0EEENS1_30default_config_static_selectorELNS0_4arch9wavefront6targetE1EEEvT1_ ; -- Begin function _ZN7rocprim17ROCPRIM_400000_NS6detail17trampoline_kernelINS0_14default_configENS1_20scan_config_selectorIsEEZZNS1_9scan_implILNS1_25lookback_scan_determinismE0ELb0ELb1ES3_N6thrust23THRUST_200600_302600_NS6detail15normal_iteratorINS9_10device_ptrIsEEEESE_sNS9_10multipliesIsEEsEEDaPvRmT3_T4_T5_mT6_P12ihipStream_tbENKUlT_T0_E_clISt17integral_constantIbLb1EEST_IbLb0EEEEDaSP_SQ_EUlSP_E_NS1_11comp_targetILNS1_3genE8ELNS1_11target_archE1030ELNS1_3gpuE2ELNS1_3repE0EEENS1_30default_config_static_selectorELNS0_4arch9wavefront6targetE1EEEvT1_
	.globl	_ZN7rocprim17ROCPRIM_400000_NS6detail17trampoline_kernelINS0_14default_configENS1_20scan_config_selectorIsEEZZNS1_9scan_implILNS1_25lookback_scan_determinismE0ELb0ELb1ES3_N6thrust23THRUST_200600_302600_NS6detail15normal_iteratorINS9_10device_ptrIsEEEESE_sNS9_10multipliesIsEEsEEDaPvRmT3_T4_T5_mT6_P12ihipStream_tbENKUlT_T0_E_clISt17integral_constantIbLb1EEST_IbLb0EEEEDaSP_SQ_EUlSP_E_NS1_11comp_targetILNS1_3genE8ELNS1_11target_archE1030ELNS1_3gpuE2ELNS1_3repE0EEENS1_30default_config_static_selectorELNS0_4arch9wavefront6targetE1EEEvT1_
	.p2align	8
	.type	_ZN7rocprim17ROCPRIM_400000_NS6detail17trampoline_kernelINS0_14default_configENS1_20scan_config_selectorIsEEZZNS1_9scan_implILNS1_25lookback_scan_determinismE0ELb0ELb1ES3_N6thrust23THRUST_200600_302600_NS6detail15normal_iteratorINS9_10device_ptrIsEEEESE_sNS9_10multipliesIsEEsEEDaPvRmT3_T4_T5_mT6_P12ihipStream_tbENKUlT_T0_E_clISt17integral_constantIbLb1EEST_IbLb0EEEEDaSP_SQ_EUlSP_E_NS1_11comp_targetILNS1_3genE8ELNS1_11target_archE1030ELNS1_3gpuE2ELNS1_3repE0EEENS1_30default_config_static_selectorELNS0_4arch9wavefront6targetE1EEEvT1_,@function
_ZN7rocprim17ROCPRIM_400000_NS6detail17trampoline_kernelINS0_14default_configENS1_20scan_config_selectorIsEEZZNS1_9scan_implILNS1_25lookback_scan_determinismE0ELb0ELb1ES3_N6thrust23THRUST_200600_302600_NS6detail15normal_iteratorINS9_10device_ptrIsEEEESE_sNS9_10multipliesIsEEsEEDaPvRmT3_T4_T5_mT6_P12ihipStream_tbENKUlT_T0_E_clISt17integral_constantIbLb1EEST_IbLb0EEEEDaSP_SQ_EUlSP_E_NS1_11comp_targetILNS1_3genE8ELNS1_11target_archE1030ELNS1_3gpuE2ELNS1_3repE0EEENS1_30default_config_static_selectorELNS0_4arch9wavefront6targetE1EEEvT1_: ; @_ZN7rocprim17ROCPRIM_400000_NS6detail17trampoline_kernelINS0_14default_configENS1_20scan_config_selectorIsEEZZNS1_9scan_implILNS1_25lookback_scan_determinismE0ELb0ELb1ES3_N6thrust23THRUST_200600_302600_NS6detail15normal_iteratorINS9_10device_ptrIsEEEESE_sNS9_10multipliesIsEEsEEDaPvRmT3_T4_T5_mT6_P12ihipStream_tbENKUlT_T0_E_clISt17integral_constantIbLb1EEST_IbLb0EEEEDaSP_SQ_EUlSP_E_NS1_11comp_targetILNS1_3genE8ELNS1_11target_archE1030ELNS1_3gpuE2ELNS1_3repE0EEENS1_30default_config_static_selectorELNS0_4arch9wavefront6targetE1EEEvT1_
; %bb.0:
	.section	.rodata,"a",@progbits
	.p2align	6, 0x0
	.amdhsa_kernel _ZN7rocprim17ROCPRIM_400000_NS6detail17trampoline_kernelINS0_14default_configENS1_20scan_config_selectorIsEEZZNS1_9scan_implILNS1_25lookback_scan_determinismE0ELb0ELb1ES3_N6thrust23THRUST_200600_302600_NS6detail15normal_iteratorINS9_10device_ptrIsEEEESE_sNS9_10multipliesIsEEsEEDaPvRmT3_T4_T5_mT6_P12ihipStream_tbENKUlT_T0_E_clISt17integral_constantIbLb1EEST_IbLb0EEEEDaSP_SQ_EUlSP_E_NS1_11comp_targetILNS1_3genE8ELNS1_11target_archE1030ELNS1_3gpuE2ELNS1_3repE0EEENS1_30default_config_static_selectorELNS0_4arch9wavefront6targetE1EEEvT1_
		.amdhsa_group_segment_fixed_size 0
		.amdhsa_private_segment_fixed_size 0
		.amdhsa_kernarg_size 96
		.amdhsa_user_sgpr_count 6
		.amdhsa_user_sgpr_private_segment_buffer 1
		.amdhsa_user_sgpr_dispatch_ptr 0
		.amdhsa_user_sgpr_queue_ptr 0
		.amdhsa_user_sgpr_kernarg_segment_ptr 1
		.amdhsa_user_sgpr_dispatch_id 0
		.amdhsa_user_sgpr_flat_scratch_init 0
		.amdhsa_user_sgpr_kernarg_preload_length 0
		.amdhsa_user_sgpr_kernarg_preload_offset 0
		.amdhsa_user_sgpr_private_segment_size 0
		.amdhsa_uses_dynamic_stack 0
		.amdhsa_system_sgpr_private_segment_wavefront_offset 0
		.amdhsa_system_sgpr_workgroup_id_x 1
		.amdhsa_system_sgpr_workgroup_id_y 0
		.amdhsa_system_sgpr_workgroup_id_z 0
		.amdhsa_system_sgpr_workgroup_info 0
		.amdhsa_system_vgpr_workitem_id 0
		.amdhsa_next_free_vgpr 1
		.amdhsa_next_free_sgpr 0
		.amdhsa_accum_offset 4
		.amdhsa_reserve_vcc 0
		.amdhsa_reserve_flat_scratch 0
		.amdhsa_float_round_mode_32 0
		.amdhsa_float_round_mode_16_64 0
		.amdhsa_float_denorm_mode_32 3
		.amdhsa_float_denorm_mode_16_64 3
		.amdhsa_dx10_clamp 1
		.amdhsa_ieee_mode 1
		.amdhsa_fp16_overflow 0
		.amdhsa_tg_split 0
		.amdhsa_exception_fp_ieee_invalid_op 0
		.amdhsa_exception_fp_denorm_src 0
		.amdhsa_exception_fp_ieee_div_zero 0
		.amdhsa_exception_fp_ieee_overflow 0
		.amdhsa_exception_fp_ieee_underflow 0
		.amdhsa_exception_fp_ieee_inexact 0
		.amdhsa_exception_int_div_zero 0
	.end_amdhsa_kernel
	.section	.text._ZN7rocprim17ROCPRIM_400000_NS6detail17trampoline_kernelINS0_14default_configENS1_20scan_config_selectorIsEEZZNS1_9scan_implILNS1_25lookback_scan_determinismE0ELb0ELb1ES3_N6thrust23THRUST_200600_302600_NS6detail15normal_iteratorINS9_10device_ptrIsEEEESE_sNS9_10multipliesIsEEsEEDaPvRmT3_T4_T5_mT6_P12ihipStream_tbENKUlT_T0_E_clISt17integral_constantIbLb1EEST_IbLb0EEEEDaSP_SQ_EUlSP_E_NS1_11comp_targetILNS1_3genE8ELNS1_11target_archE1030ELNS1_3gpuE2ELNS1_3repE0EEENS1_30default_config_static_selectorELNS0_4arch9wavefront6targetE1EEEvT1_,"axG",@progbits,_ZN7rocprim17ROCPRIM_400000_NS6detail17trampoline_kernelINS0_14default_configENS1_20scan_config_selectorIsEEZZNS1_9scan_implILNS1_25lookback_scan_determinismE0ELb0ELb1ES3_N6thrust23THRUST_200600_302600_NS6detail15normal_iteratorINS9_10device_ptrIsEEEESE_sNS9_10multipliesIsEEsEEDaPvRmT3_T4_T5_mT6_P12ihipStream_tbENKUlT_T0_E_clISt17integral_constantIbLb1EEST_IbLb0EEEEDaSP_SQ_EUlSP_E_NS1_11comp_targetILNS1_3genE8ELNS1_11target_archE1030ELNS1_3gpuE2ELNS1_3repE0EEENS1_30default_config_static_selectorELNS0_4arch9wavefront6targetE1EEEvT1_,comdat
.Lfunc_end1167:
	.size	_ZN7rocprim17ROCPRIM_400000_NS6detail17trampoline_kernelINS0_14default_configENS1_20scan_config_selectorIsEEZZNS1_9scan_implILNS1_25lookback_scan_determinismE0ELb0ELb1ES3_N6thrust23THRUST_200600_302600_NS6detail15normal_iteratorINS9_10device_ptrIsEEEESE_sNS9_10multipliesIsEEsEEDaPvRmT3_T4_T5_mT6_P12ihipStream_tbENKUlT_T0_E_clISt17integral_constantIbLb1EEST_IbLb0EEEEDaSP_SQ_EUlSP_E_NS1_11comp_targetILNS1_3genE8ELNS1_11target_archE1030ELNS1_3gpuE2ELNS1_3repE0EEENS1_30default_config_static_selectorELNS0_4arch9wavefront6targetE1EEEvT1_, .Lfunc_end1167-_ZN7rocprim17ROCPRIM_400000_NS6detail17trampoline_kernelINS0_14default_configENS1_20scan_config_selectorIsEEZZNS1_9scan_implILNS1_25lookback_scan_determinismE0ELb0ELb1ES3_N6thrust23THRUST_200600_302600_NS6detail15normal_iteratorINS9_10device_ptrIsEEEESE_sNS9_10multipliesIsEEsEEDaPvRmT3_T4_T5_mT6_P12ihipStream_tbENKUlT_T0_E_clISt17integral_constantIbLb1EEST_IbLb0EEEEDaSP_SQ_EUlSP_E_NS1_11comp_targetILNS1_3genE8ELNS1_11target_archE1030ELNS1_3gpuE2ELNS1_3repE0EEENS1_30default_config_static_selectorELNS0_4arch9wavefront6targetE1EEEvT1_
                                        ; -- End function
	.section	.AMDGPU.csdata,"",@progbits
; Kernel info:
; codeLenInByte = 0
; NumSgprs: 4
; NumVgprs: 0
; NumAgprs: 0
; TotalNumVgprs: 0
; ScratchSize: 0
; MemoryBound: 0
; FloatMode: 240
; IeeeMode: 1
; LDSByteSize: 0 bytes/workgroup (compile time only)
; SGPRBlocks: 0
; VGPRBlocks: 0
; NumSGPRsForWavesPerEU: 4
; NumVGPRsForWavesPerEU: 1
; AccumOffset: 4
; Occupancy: 8
; WaveLimiterHint : 0
; COMPUTE_PGM_RSRC2:SCRATCH_EN: 0
; COMPUTE_PGM_RSRC2:USER_SGPR: 6
; COMPUTE_PGM_RSRC2:TRAP_HANDLER: 0
; COMPUTE_PGM_RSRC2:TGID_X_EN: 1
; COMPUTE_PGM_RSRC2:TGID_Y_EN: 0
; COMPUTE_PGM_RSRC2:TGID_Z_EN: 0
; COMPUTE_PGM_RSRC2:TIDIG_COMP_CNT: 0
; COMPUTE_PGM_RSRC3_GFX90A:ACCUM_OFFSET: 0
; COMPUTE_PGM_RSRC3_GFX90A:TG_SPLIT: 0
	.section	.text._ZN7rocprim17ROCPRIM_400000_NS6detail17trampoline_kernelINS0_14default_configENS1_20scan_config_selectorIsEEZZNS1_9scan_implILNS1_25lookback_scan_determinismE0ELb0ELb1ES3_N6thrust23THRUST_200600_302600_NS6detail15normal_iteratorINS9_10device_ptrIsEEEESE_sNS9_10multipliesIsEEsEEDaPvRmT3_T4_T5_mT6_P12ihipStream_tbENKUlT_T0_E_clISt17integral_constantIbLb1EEST_IbLb0EEEEDaSP_SQ_EUlSP_E0_NS1_11comp_targetILNS1_3genE0ELNS1_11target_archE4294967295ELNS1_3gpuE0ELNS1_3repE0EEENS1_30default_config_static_selectorELNS0_4arch9wavefront6targetE1EEEvT1_,"axG",@progbits,_ZN7rocprim17ROCPRIM_400000_NS6detail17trampoline_kernelINS0_14default_configENS1_20scan_config_selectorIsEEZZNS1_9scan_implILNS1_25lookback_scan_determinismE0ELb0ELb1ES3_N6thrust23THRUST_200600_302600_NS6detail15normal_iteratorINS9_10device_ptrIsEEEESE_sNS9_10multipliesIsEEsEEDaPvRmT3_T4_T5_mT6_P12ihipStream_tbENKUlT_T0_E_clISt17integral_constantIbLb1EEST_IbLb0EEEEDaSP_SQ_EUlSP_E0_NS1_11comp_targetILNS1_3genE0ELNS1_11target_archE4294967295ELNS1_3gpuE0ELNS1_3repE0EEENS1_30default_config_static_selectorELNS0_4arch9wavefront6targetE1EEEvT1_,comdat
	.protected	_ZN7rocprim17ROCPRIM_400000_NS6detail17trampoline_kernelINS0_14default_configENS1_20scan_config_selectorIsEEZZNS1_9scan_implILNS1_25lookback_scan_determinismE0ELb0ELb1ES3_N6thrust23THRUST_200600_302600_NS6detail15normal_iteratorINS9_10device_ptrIsEEEESE_sNS9_10multipliesIsEEsEEDaPvRmT3_T4_T5_mT6_P12ihipStream_tbENKUlT_T0_E_clISt17integral_constantIbLb1EEST_IbLb0EEEEDaSP_SQ_EUlSP_E0_NS1_11comp_targetILNS1_3genE0ELNS1_11target_archE4294967295ELNS1_3gpuE0ELNS1_3repE0EEENS1_30default_config_static_selectorELNS0_4arch9wavefront6targetE1EEEvT1_ ; -- Begin function _ZN7rocprim17ROCPRIM_400000_NS6detail17trampoline_kernelINS0_14default_configENS1_20scan_config_selectorIsEEZZNS1_9scan_implILNS1_25lookback_scan_determinismE0ELb0ELb1ES3_N6thrust23THRUST_200600_302600_NS6detail15normal_iteratorINS9_10device_ptrIsEEEESE_sNS9_10multipliesIsEEsEEDaPvRmT3_T4_T5_mT6_P12ihipStream_tbENKUlT_T0_E_clISt17integral_constantIbLb1EEST_IbLb0EEEEDaSP_SQ_EUlSP_E0_NS1_11comp_targetILNS1_3genE0ELNS1_11target_archE4294967295ELNS1_3gpuE0ELNS1_3repE0EEENS1_30default_config_static_selectorELNS0_4arch9wavefront6targetE1EEEvT1_
	.globl	_ZN7rocprim17ROCPRIM_400000_NS6detail17trampoline_kernelINS0_14default_configENS1_20scan_config_selectorIsEEZZNS1_9scan_implILNS1_25lookback_scan_determinismE0ELb0ELb1ES3_N6thrust23THRUST_200600_302600_NS6detail15normal_iteratorINS9_10device_ptrIsEEEESE_sNS9_10multipliesIsEEsEEDaPvRmT3_T4_T5_mT6_P12ihipStream_tbENKUlT_T0_E_clISt17integral_constantIbLb1EEST_IbLb0EEEEDaSP_SQ_EUlSP_E0_NS1_11comp_targetILNS1_3genE0ELNS1_11target_archE4294967295ELNS1_3gpuE0ELNS1_3repE0EEENS1_30default_config_static_selectorELNS0_4arch9wavefront6targetE1EEEvT1_
	.p2align	8
	.type	_ZN7rocprim17ROCPRIM_400000_NS6detail17trampoline_kernelINS0_14default_configENS1_20scan_config_selectorIsEEZZNS1_9scan_implILNS1_25lookback_scan_determinismE0ELb0ELb1ES3_N6thrust23THRUST_200600_302600_NS6detail15normal_iteratorINS9_10device_ptrIsEEEESE_sNS9_10multipliesIsEEsEEDaPvRmT3_T4_T5_mT6_P12ihipStream_tbENKUlT_T0_E_clISt17integral_constantIbLb1EEST_IbLb0EEEEDaSP_SQ_EUlSP_E0_NS1_11comp_targetILNS1_3genE0ELNS1_11target_archE4294967295ELNS1_3gpuE0ELNS1_3repE0EEENS1_30default_config_static_selectorELNS0_4arch9wavefront6targetE1EEEvT1_,@function
_ZN7rocprim17ROCPRIM_400000_NS6detail17trampoline_kernelINS0_14default_configENS1_20scan_config_selectorIsEEZZNS1_9scan_implILNS1_25lookback_scan_determinismE0ELb0ELb1ES3_N6thrust23THRUST_200600_302600_NS6detail15normal_iteratorINS9_10device_ptrIsEEEESE_sNS9_10multipliesIsEEsEEDaPvRmT3_T4_T5_mT6_P12ihipStream_tbENKUlT_T0_E_clISt17integral_constantIbLb1EEST_IbLb0EEEEDaSP_SQ_EUlSP_E0_NS1_11comp_targetILNS1_3genE0ELNS1_11target_archE4294967295ELNS1_3gpuE0ELNS1_3repE0EEENS1_30default_config_static_selectorELNS0_4arch9wavefront6targetE1EEEvT1_: ; @_ZN7rocprim17ROCPRIM_400000_NS6detail17trampoline_kernelINS0_14default_configENS1_20scan_config_selectorIsEEZZNS1_9scan_implILNS1_25lookback_scan_determinismE0ELb0ELb1ES3_N6thrust23THRUST_200600_302600_NS6detail15normal_iteratorINS9_10device_ptrIsEEEESE_sNS9_10multipliesIsEEsEEDaPvRmT3_T4_T5_mT6_P12ihipStream_tbENKUlT_T0_E_clISt17integral_constantIbLb1EEST_IbLb0EEEEDaSP_SQ_EUlSP_E0_NS1_11comp_targetILNS1_3genE0ELNS1_11target_archE4294967295ELNS1_3gpuE0ELNS1_3repE0EEENS1_30default_config_static_selectorELNS0_4arch9wavefront6targetE1EEEvT1_
; %bb.0:
	.section	.rodata,"a",@progbits
	.p2align	6, 0x0
	.amdhsa_kernel _ZN7rocprim17ROCPRIM_400000_NS6detail17trampoline_kernelINS0_14default_configENS1_20scan_config_selectorIsEEZZNS1_9scan_implILNS1_25lookback_scan_determinismE0ELb0ELb1ES3_N6thrust23THRUST_200600_302600_NS6detail15normal_iteratorINS9_10device_ptrIsEEEESE_sNS9_10multipliesIsEEsEEDaPvRmT3_T4_T5_mT6_P12ihipStream_tbENKUlT_T0_E_clISt17integral_constantIbLb1EEST_IbLb0EEEEDaSP_SQ_EUlSP_E0_NS1_11comp_targetILNS1_3genE0ELNS1_11target_archE4294967295ELNS1_3gpuE0ELNS1_3repE0EEENS1_30default_config_static_selectorELNS0_4arch9wavefront6targetE1EEEvT1_
		.amdhsa_group_segment_fixed_size 0
		.amdhsa_private_segment_fixed_size 0
		.amdhsa_kernarg_size 32
		.amdhsa_user_sgpr_count 6
		.amdhsa_user_sgpr_private_segment_buffer 1
		.amdhsa_user_sgpr_dispatch_ptr 0
		.amdhsa_user_sgpr_queue_ptr 0
		.amdhsa_user_sgpr_kernarg_segment_ptr 1
		.amdhsa_user_sgpr_dispatch_id 0
		.amdhsa_user_sgpr_flat_scratch_init 0
		.amdhsa_user_sgpr_kernarg_preload_length 0
		.amdhsa_user_sgpr_kernarg_preload_offset 0
		.amdhsa_user_sgpr_private_segment_size 0
		.amdhsa_uses_dynamic_stack 0
		.amdhsa_system_sgpr_private_segment_wavefront_offset 0
		.amdhsa_system_sgpr_workgroup_id_x 1
		.amdhsa_system_sgpr_workgroup_id_y 0
		.amdhsa_system_sgpr_workgroup_id_z 0
		.amdhsa_system_sgpr_workgroup_info 0
		.amdhsa_system_vgpr_workitem_id 0
		.amdhsa_next_free_vgpr 1
		.amdhsa_next_free_sgpr 0
		.amdhsa_accum_offset 4
		.amdhsa_reserve_vcc 0
		.amdhsa_reserve_flat_scratch 0
		.amdhsa_float_round_mode_32 0
		.amdhsa_float_round_mode_16_64 0
		.amdhsa_float_denorm_mode_32 3
		.amdhsa_float_denorm_mode_16_64 3
		.amdhsa_dx10_clamp 1
		.amdhsa_ieee_mode 1
		.amdhsa_fp16_overflow 0
		.amdhsa_tg_split 0
		.amdhsa_exception_fp_ieee_invalid_op 0
		.amdhsa_exception_fp_denorm_src 0
		.amdhsa_exception_fp_ieee_div_zero 0
		.amdhsa_exception_fp_ieee_overflow 0
		.amdhsa_exception_fp_ieee_underflow 0
		.amdhsa_exception_fp_ieee_inexact 0
		.amdhsa_exception_int_div_zero 0
	.end_amdhsa_kernel
	.section	.text._ZN7rocprim17ROCPRIM_400000_NS6detail17trampoline_kernelINS0_14default_configENS1_20scan_config_selectorIsEEZZNS1_9scan_implILNS1_25lookback_scan_determinismE0ELb0ELb1ES3_N6thrust23THRUST_200600_302600_NS6detail15normal_iteratorINS9_10device_ptrIsEEEESE_sNS9_10multipliesIsEEsEEDaPvRmT3_T4_T5_mT6_P12ihipStream_tbENKUlT_T0_E_clISt17integral_constantIbLb1EEST_IbLb0EEEEDaSP_SQ_EUlSP_E0_NS1_11comp_targetILNS1_3genE0ELNS1_11target_archE4294967295ELNS1_3gpuE0ELNS1_3repE0EEENS1_30default_config_static_selectorELNS0_4arch9wavefront6targetE1EEEvT1_,"axG",@progbits,_ZN7rocprim17ROCPRIM_400000_NS6detail17trampoline_kernelINS0_14default_configENS1_20scan_config_selectorIsEEZZNS1_9scan_implILNS1_25lookback_scan_determinismE0ELb0ELb1ES3_N6thrust23THRUST_200600_302600_NS6detail15normal_iteratorINS9_10device_ptrIsEEEESE_sNS9_10multipliesIsEEsEEDaPvRmT3_T4_T5_mT6_P12ihipStream_tbENKUlT_T0_E_clISt17integral_constantIbLb1EEST_IbLb0EEEEDaSP_SQ_EUlSP_E0_NS1_11comp_targetILNS1_3genE0ELNS1_11target_archE4294967295ELNS1_3gpuE0ELNS1_3repE0EEENS1_30default_config_static_selectorELNS0_4arch9wavefront6targetE1EEEvT1_,comdat
.Lfunc_end1168:
	.size	_ZN7rocprim17ROCPRIM_400000_NS6detail17trampoline_kernelINS0_14default_configENS1_20scan_config_selectorIsEEZZNS1_9scan_implILNS1_25lookback_scan_determinismE0ELb0ELb1ES3_N6thrust23THRUST_200600_302600_NS6detail15normal_iteratorINS9_10device_ptrIsEEEESE_sNS9_10multipliesIsEEsEEDaPvRmT3_T4_T5_mT6_P12ihipStream_tbENKUlT_T0_E_clISt17integral_constantIbLb1EEST_IbLb0EEEEDaSP_SQ_EUlSP_E0_NS1_11comp_targetILNS1_3genE0ELNS1_11target_archE4294967295ELNS1_3gpuE0ELNS1_3repE0EEENS1_30default_config_static_selectorELNS0_4arch9wavefront6targetE1EEEvT1_, .Lfunc_end1168-_ZN7rocprim17ROCPRIM_400000_NS6detail17trampoline_kernelINS0_14default_configENS1_20scan_config_selectorIsEEZZNS1_9scan_implILNS1_25lookback_scan_determinismE0ELb0ELb1ES3_N6thrust23THRUST_200600_302600_NS6detail15normal_iteratorINS9_10device_ptrIsEEEESE_sNS9_10multipliesIsEEsEEDaPvRmT3_T4_T5_mT6_P12ihipStream_tbENKUlT_T0_E_clISt17integral_constantIbLb1EEST_IbLb0EEEEDaSP_SQ_EUlSP_E0_NS1_11comp_targetILNS1_3genE0ELNS1_11target_archE4294967295ELNS1_3gpuE0ELNS1_3repE0EEENS1_30default_config_static_selectorELNS0_4arch9wavefront6targetE1EEEvT1_
                                        ; -- End function
	.section	.AMDGPU.csdata,"",@progbits
; Kernel info:
; codeLenInByte = 0
; NumSgprs: 4
; NumVgprs: 0
; NumAgprs: 0
; TotalNumVgprs: 0
; ScratchSize: 0
; MemoryBound: 0
; FloatMode: 240
; IeeeMode: 1
; LDSByteSize: 0 bytes/workgroup (compile time only)
; SGPRBlocks: 0
; VGPRBlocks: 0
; NumSGPRsForWavesPerEU: 4
; NumVGPRsForWavesPerEU: 1
; AccumOffset: 4
; Occupancy: 8
; WaveLimiterHint : 0
; COMPUTE_PGM_RSRC2:SCRATCH_EN: 0
; COMPUTE_PGM_RSRC2:USER_SGPR: 6
; COMPUTE_PGM_RSRC2:TRAP_HANDLER: 0
; COMPUTE_PGM_RSRC2:TGID_X_EN: 1
; COMPUTE_PGM_RSRC2:TGID_Y_EN: 0
; COMPUTE_PGM_RSRC2:TGID_Z_EN: 0
; COMPUTE_PGM_RSRC2:TIDIG_COMP_CNT: 0
; COMPUTE_PGM_RSRC3_GFX90A:ACCUM_OFFSET: 0
; COMPUTE_PGM_RSRC3_GFX90A:TG_SPLIT: 0
	.section	.text._ZN7rocprim17ROCPRIM_400000_NS6detail17trampoline_kernelINS0_14default_configENS1_20scan_config_selectorIsEEZZNS1_9scan_implILNS1_25lookback_scan_determinismE0ELb0ELb1ES3_N6thrust23THRUST_200600_302600_NS6detail15normal_iteratorINS9_10device_ptrIsEEEESE_sNS9_10multipliesIsEEsEEDaPvRmT3_T4_T5_mT6_P12ihipStream_tbENKUlT_T0_E_clISt17integral_constantIbLb1EEST_IbLb0EEEEDaSP_SQ_EUlSP_E0_NS1_11comp_targetILNS1_3genE5ELNS1_11target_archE942ELNS1_3gpuE9ELNS1_3repE0EEENS1_30default_config_static_selectorELNS0_4arch9wavefront6targetE1EEEvT1_,"axG",@progbits,_ZN7rocprim17ROCPRIM_400000_NS6detail17trampoline_kernelINS0_14default_configENS1_20scan_config_selectorIsEEZZNS1_9scan_implILNS1_25lookback_scan_determinismE0ELb0ELb1ES3_N6thrust23THRUST_200600_302600_NS6detail15normal_iteratorINS9_10device_ptrIsEEEESE_sNS9_10multipliesIsEEsEEDaPvRmT3_T4_T5_mT6_P12ihipStream_tbENKUlT_T0_E_clISt17integral_constantIbLb1EEST_IbLb0EEEEDaSP_SQ_EUlSP_E0_NS1_11comp_targetILNS1_3genE5ELNS1_11target_archE942ELNS1_3gpuE9ELNS1_3repE0EEENS1_30default_config_static_selectorELNS0_4arch9wavefront6targetE1EEEvT1_,comdat
	.protected	_ZN7rocprim17ROCPRIM_400000_NS6detail17trampoline_kernelINS0_14default_configENS1_20scan_config_selectorIsEEZZNS1_9scan_implILNS1_25lookback_scan_determinismE0ELb0ELb1ES3_N6thrust23THRUST_200600_302600_NS6detail15normal_iteratorINS9_10device_ptrIsEEEESE_sNS9_10multipliesIsEEsEEDaPvRmT3_T4_T5_mT6_P12ihipStream_tbENKUlT_T0_E_clISt17integral_constantIbLb1EEST_IbLb0EEEEDaSP_SQ_EUlSP_E0_NS1_11comp_targetILNS1_3genE5ELNS1_11target_archE942ELNS1_3gpuE9ELNS1_3repE0EEENS1_30default_config_static_selectorELNS0_4arch9wavefront6targetE1EEEvT1_ ; -- Begin function _ZN7rocprim17ROCPRIM_400000_NS6detail17trampoline_kernelINS0_14default_configENS1_20scan_config_selectorIsEEZZNS1_9scan_implILNS1_25lookback_scan_determinismE0ELb0ELb1ES3_N6thrust23THRUST_200600_302600_NS6detail15normal_iteratorINS9_10device_ptrIsEEEESE_sNS9_10multipliesIsEEsEEDaPvRmT3_T4_T5_mT6_P12ihipStream_tbENKUlT_T0_E_clISt17integral_constantIbLb1EEST_IbLb0EEEEDaSP_SQ_EUlSP_E0_NS1_11comp_targetILNS1_3genE5ELNS1_11target_archE942ELNS1_3gpuE9ELNS1_3repE0EEENS1_30default_config_static_selectorELNS0_4arch9wavefront6targetE1EEEvT1_
	.globl	_ZN7rocprim17ROCPRIM_400000_NS6detail17trampoline_kernelINS0_14default_configENS1_20scan_config_selectorIsEEZZNS1_9scan_implILNS1_25lookback_scan_determinismE0ELb0ELb1ES3_N6thrust23THRUST_200600_302600_NS6detail15normal_iteratorINS9_10device_ptrIsEEEESE_sNS9_10multipliesIsEEsEEDaPvRmT3_T4_T5_mT6_P12ihipStream_tbENKUlT_T0_E_clISt17integral_constantIbLb1EEST_IbLb0EEEEDaSP_SQ_EUlSP_E0_NS1_11comp_targetILNS1_3genE5ELNS1_11target_archE942ELNS1_3gpuE9ELNS1_3repE0EEENS1_30default_config_static_selectorELNS0_4arch9wavefront6targetE1EEEvT1_
	.p2align	8
	.type	_ZN7rocprim17ROCPRIM_400000_NS6detail17trampoline_kernelINS0_14default_configENS1_20scan_config_selectorIsEEZZNS1_9scan_implILNS1_25lookback_scan_determinismE0ELb0ELb1ES3_N6thrust23THRUST_200600_302600_NS6detail15normal_iteratorINS9_10device_ptrIsEEEESE_sNS9_10multipliesIsEEsEEDaPvRmT3_T4_T5_mT6_P12ihipStream_tbENKUlT_T0_E_clISt17integral_constantIbLb1EEST_IbLb0EEEEDaSP_SQ_EUlSP_E0_NS1_11comp_targetILNS1_3genE5ELNS1_11target_archE942ELNS1_3gpuE9ELNS1_3repE0EEENS1_30default_config_static_selectorELNS0_4arch9wavefront6targetE1EEEvT1_,@function
_ZN7rocprim17ROCPRIM_400000_NS6detail17trampoline_kernelINS0_14default_configENS1_20scan_config_selectorIsEEZZNS1_9scan_implILNS1_25lookback_scan_determinismE0ELb0ELb1ES3_N6thrust23THRUST_200600_302600_NS6detail15normal_iteratorINS9_10device_ptrIsEEEESE_sNS9_10multipliesIsEEsEEDaPvRmT3_T4_T5_mT6_P12ihipStream_tbENKUlT_T0_E_clISt17integral_constantIbLb1EEST_IbLb0EEEEDaSP_SQ_EUlSP_E0_NS1_11comp_targetILNS1_3genE5ELNS1_11target_archE942ELNS1_3gpuE9ELNS1_3repE0EEENS1_30default_config_static_selectorELNS0_4arch9wavefront6targetE1EEEvT1_: ; @_ZN7rocprim17ROCPRIM_400000_NS6detail17trampoline_kernelINS0_14default_configENS1_20scan_config_selectorIsEEZZNS1_9scan_implILNS1_25lookback_scan_determinismE0ELb0ELb1ES3_N6thrust23THRUST_200600_302600_NS6detail15normal_iteratorINS9_10device_ptrIsEEEESE_sNS9_10multipliesIsEEsEEDaPvRmT3_T4_T5_mT6_P12ihipStream_tbENKUlT_T0_E_clISt17integral_constantIbLb1EEST_IbLb0EEEEDaSP_SQ_EUlSP_E0_NS1_11comp_targetILNS1_3genE5ELNS1_11target_archE942ELNS1_3gpuE9ELNS1_3repE0EEENS1_30default_config_static_selectorELNS0_4arch9wavefront6targetE1EEEvT1_
; %bb.0:
	.section	.rodata,"a",@progbits
	.p2align	6, 0x0
	.amdhsa_kernel _ZN7rocprim17ROCPRIM_400000_NS6detail17trampoline_kernelINS0_14default_configENS1_20scan_config_selectorIsEEZZNS1_9scan_implILNS1_25lookback_scan_determinismE0ELb0ELb1ES3_N6thrust23THRUST_200600_302600_NS6detail15normal_iteratorINS9_10device_ptrIsEEEESE_sNS9_10multipliesIsEEsEEDaPvRmT3_T4_T5_mT6_P12ihipStream_tbENKUlT_T0_E_clISt17integral_constantIbLb1EEST_IbLb0EEEEDaSP_SQ_EUlSP_E0_NS1_11comp_targetILNS1_3genE5ELNS1_11target_archE942ELNS1_3gpuE9ELNS1_3repE0EEENS1_30default_config_static_selectorELNS0_4arch9wavefront6targetE1EEEvT1_
		.amdhsa_group_segment_fixed_size 0
		.amdhsa_private_segment_fixed_size 0
		.amdhsa_kernarg_size 32
		.amdhsa_user_sgpr_count 6
		.amdhsa_user_sgpr_private_segment_buffer 1
		.amdhsa_user_sgpr_dispatch_ptr 0
		.amdhsa_user_sgpr_queue_ptr 0
		.amdhsa_user_sgpr_kernarg_segment_ptr 1
		.amdhsa_user_sgpr_dispatch_id 0
		.amdhsa_user_sgpr_flat_scratch_init 0
		.amdhsa_user_sgpr_kernarg_preload_length 0
		.amdhsa_user_sgpr_kernarg_preload_offset 0
		.amdhsa_user_sgpr_private_segment_size 0
		.amdhsa_uses_dynamic_stack 0
		.amdhsa_system_sgpr_private_segment_wavefront_offset 0
		.amdhsa_system_sgpr_workgroup_id_x 1
		.amdhsa_system_sgpr_workgroup_id_y 0
		.amdhsa_system_sgpr_workgroup_id_z 0
		.amdhsa_system_sgpr_workgroup_info 0
		.amdhsa_system_vgpr_workitem_id 0
		.amdhsa_next_free_vgpr 1
		.amdhsa_next_free_sgpr 0
		.amdhsa_accum_offset 4
		.amdhsa_reserve_vcc 0
		.amdhsa_reserve_flat_scratch 0
		.amdhsa_float_round_mode_32 0
		.amdhsa_float_round_mode_16_64 0
		.amdhsa_float_denorm_mode_32 3
		.amdhsa_float_denorm_mode_16_64 3
		.amdhsa_dx10_clamp 1
		.amdhsa_ieee_mode 1
		.amdhsa_fp16_overflow 0
		.amdhsa_tg_split 0
		.amdhsa_exception_fp_ieee_invalid_op 0
		.amdhsa_exception_fp_denorm_src 0
		.amdhsa_exception_fp_ieee_div_zero 0
		.amdhsa_exception_fp_ieee_overflow 0
		.amdhsa_exception_fp_ieee_underflow 0
		.amdhsa_exception_fp_ieee_inexact 0
		.amdhsa_exception_int_div_zero 0
	.end_amdhsa_kernel
	.section	.text._ZN7rocprim17ROCPRIM_400000_NS6detail17trampoline_kernelINS0_14default_configENS1_20scan_config_selectorIsEEZZNS1_9scan_implILNS1_25lookback_scan_determinismE0ELb0ELb1ES3_N6thrust23THRUST_200600_302600_NS6detail15normal_iteratorINS9_10device_ptrIsEEEESE_sNS9_10multipliesIsEEsEEDaPvRmT3_T4_T5_mT6_P12ihipStream_tbENKUlT_T0_E_clISt17integral_constantIbLb1EEST_IbLb0EEEEDaSP_SQ_EUlSP_E0_NS1_11comp_targetILNS1_3genE5ELNS1_11target_archE942ELNS1_3gpuE9ELNS1_3repE0EEENS1_30default_config_static_selectorELNS0_4arch9wavefront6targetE1EEEvT1_,"axG",@progbits,_ZN7rocprim17ROCPRIM_400000_NS6detail17trampoline_kernelINS0_14default_configENS1_20scan_config_selectorIsEEZZNS1_9scan_implILNS1_25lookback_scan_determinismE0ELb0ELb1ES3_N6thrust23THRUST_200600_302600_NS6detail15normal_iteratorINS9_10device_ptrIsEEEESE_sNS9_10multipliesIsEEsEEDaPvRmT3_T4_T5_mT6_P12ihipStream_tbENKUlT_T0_E_clISt17integral_constantIbLb1EEST_IbLb0EEEEDaSP_SQ_EUlSP_E0_NS1_11comp_targetILNS1_3genE5ELNS1_11target_archE942ELNS1_3gpuE9ELNS1_3repE0EEENS1_30default_config_static_selectorELNS0_4arch9wavefront6targetE1EEEvT1_,comdat
.Lfunc_end1169:
	.size	_ZN7rocprim17ROCPRIM_400000_NS6detail17trampoline_kernelINS0_14default_configENS1_20scan_config_selectorIsEEZZNS1_9scan_implILNS1_25lookback_scan_determinismE0ELb0ELb1ES3_N6thrust23THRUST_200600_302600_NS6detail15normal_iteratorINS9_10device_ptrIsEEEESE_sNS9_10multipliesIsEEsEEDaPvRmT3_T4_T5_mT6_P12ihipStream_tbENKUlT_T0_E_clISt17integral_constantIbLb1EEST_IbLb0EEEEDaSP_SQ_EUlSP_E0_NS1_11comp_targetILNS1_3genE5ELNS1_11target_archE942ELNS1_3gpuE9ELNS1_3repE0EEENS1_30default_config_static_selectorELNS0_4arch9wavefront6targetE1EEEvT1_, .Lfunc_end1169-_ZN7rocprim17ROCPRIM_400000_NS6detail17trampoline_kernelINS0_14default_configENS1_20scan_config_selectorIsEEZZNS1_9scan_implILNS1_25lookback_scan_determinismE0ELb0ELb1ES3_N6thrust23THRUST_200600_302600_NS6detail15normal_iteratorINS9_10device_ptrIsEEEESE_sNS9_10multipliesIsEEsEEDaPvRmT3_T4_T5_mT6_P12ihipStream_tbENKUlT_T0_E_clISt17integral_constantIbLb1EEST_IbLb0EEEEDaSP_SQ_EUlSP_E0_NS1_11comp_targetILNS1_3genE5ELNS1_11target_archE942ELNS1_3gpuE9ELNS1_3repE0EEENS1_30default_config_static_selectorELNS0_4arch9wavefront6targetE1EEEvT1_
                                        ; -- End function
	.section	.AMDGPU.csdata,"",@progbits
; Kernel info:
; codeLenInByte = 0
; NumSgprs: 4
; NumVgprs: 0
; NumAgprs: 0
; TotalNumVgprs: 0
; ScratchSize: 0
; MemoryBound: 0
; FloatMode: 240
; IeeeMode: 1
; LDSByteSize: 0 bytes/workgroup (compile time only)
; SGPRBlocks: 0
; VGPRBlocks: 0
; NumSGPRsForWavesPerEU: 4
; NumVGPRsForWavesPerEU: 1
; AccumOffset: 4
; Occupancy: 8
; WaveLimiterHint : 0
; COMPUTE_PGM_RSRC2:SCRATCH_EN: 0
; COMPUTE_PGM_RSRC2:USER_SGPR: 6
; COMPUTE_PGM_RSRC2:TRAP_HANDLER: 0
; COMPUTE_PGM_RSRC2:TGID_X_EN: 1
; COMPUTE_PGM_RSRC2:TGID_Y_EN: 0
; COMPUTE_PGM_RSRC2:TGID_Z_EN: 0
; COMPUTE_PGM_RSRC2:TIDIG_COMP_CNT: 0
; COMPUTE_PGM_RSRC3_GFX90A:ACCUM_OFFSET: 0
; COMPUTE_PGM_RSRC3_GFX90A:TG_SPLIT: 0
	.section	.text._ZN7rocprim17ROCPRIM_400000_NS6detail17trampoline_kernelINS0_14default_configENS1_20scan_config_selectorIsEEZZNS1_9scan_implILNS1_25lookback_scan_determinismE0ELb0ELb1ES3_N6thrust23THRUST_200600_302600_NS6detail15normal_iteratorINS9_10device_ptrIsEEEESE_sNS9_10multipliesIsEEsEEDaPvRmT3_T4_T5_mT6_P12ihipStream_tbENKUlT_T0_E_clISt17integral_constantIbLb1EEST_IbLb0EEEEDaSP_SQ_EUlSP_E0_NS1_11comp_targetILNS1_3genE4ELNS1_11target_archE910ELNS1_3gpuE8ELNS1_3repE0EEENS1_30default_config_static_selectorELNS0_4arch9wavefront6targetE1EEEvT1_,"axG",@progbits,_ZN7rocprim17ROCPRIM_400000_NS6detail17trampoline_kernelINS0_14default_configENS1_20scan_config_selectorIsEEZZNS1_9scan_implILNS1_25lookback_scan_determinismE0ELb0ELb1ES3_N6thrust23THRUST_200600_302600_NS6detail15normal_iteratorINS9_10device_ptrIsEEEESE_sNS9_10multipliesIsEEsEEDaPvRmT3_T4_T5_mT6_P12ihipStream_tbENKUlT_T0_E_clISt17integral_constantIbLb1EEST_IbLb0EEEEDaSP_SQ_EUlSP_E0_NS1_11comp_targetILNS1_3genE4ELNS1_11target_archE910ELNS1_3gpuE8ELNS1_3repE0EEENS1_30default_config_static_selectorELNS0_4arch9wavefront6targetE1EEEvT1_,comdat
	.protected	_ZN7rocprim17ROCPRIM_400000_NS6detail17trampoline_kernelINS0_14default_configENS1_20scan_config_selectorIsEEZZNS1_9scan_implILNS1_25lookback_scan_determinismE0ELb0ELb1ES3_N6thrust23THRUST_200600_302600_NS6detail15normal_iteratorINS9_10device_ptrIsEEEESE_sNS9_10multipliesIsEEsEEDaPvRmT3_T4_T5_mT6_P12ihipStream_tbENKUlT_T0_E_clISt17integral_constantIbLb1EEST_IbLb0EEEEDaSP_SQ_EUlSP_E0_NS1_11comp_targetILNS1_3genE4ELNS1_11target_archE910ELNS1_3gpuE8ELNS1_3repE0EEENS1_30default_config_static_selectorELNS0_4arch9wavefront6targetE1EEEvT1_ ; -- Begin function _ZN7rocprim17ROCPRIM_400000_NS6detail17trampoline_kernelINS0_14default_configENS1_20scan_config_selectorIsEEZZNS1_9scan_implILNS1_25lookback_scan_determinismE0ELb0ELb1ES3_N6thrust23THRUST_200600_302600_NS6detail15normal_iteratorINS9_10device_ptrIsEEEESE_sNS9_10multipliesIsEEsEEDaPvRmT3_T4_T5_mT6_P12ihipStream_tbENKUlT_T0_E_clISt17integral_constantIbLb1EEST_IbLb0EEEEDaSP_SQ_EUlSP_E0_NS1_11comp_targetILNS1_3genE4ELNS1_11target_archE910ELNS1_3gpuE8ELNS1_3repE0EEENS1_30default_config_static_selectorELNS0_4arch9wavefront6targetE1EEEvT1_
	.globl	_ZN7rocprim17ROCPRIM_400000_NS6detail17trampoline_kernelINS0_14default_configENS1_20scan_config_selectorIsEEZZNS1_9scan_implILNS1_25lookback_scan_determinismE0ELb0ELb1ES3_N6thrust23THRUST_200600_302600_NS6detail15normal_iteratorINS9_10device_ptrIsEEEESE_sNS9_10multipliesIsEEsEEDaPvRmT3_T4_T5_mT6_P12ihipStream_tbENKUlT_T0_E_clISt17integral_constantIbLb1EEST_IbLb0EEEEDaSP_SQ_EUlSP_E0_NS1_11comp_targetILNS1_3genE4ELNS1_11target_archE910ELNS1_3gpuE8ELNS1_3repE0EEENS1_30default_config_static_selectorELNS0_4arch9wavefront6targetE1EEEvT1_
	.p2align	8
	.type	_ZN7rocprim17ROCPRIM_400000_NS6detail17trampoline_kernelINS0_14default_configENS1_20scan_config_selectorIsEEZZNS1_9scan_implILNS1_25lookback_scan_determinismE0ELb0ELb1ES3_N6thrust23THRUST_200600_302600_NS6detail15normal_iteratorINS9_10device_ptrIsEEEESE_sNS9_10multipliesIsEEsEEDaPvRmT3_T4_T5_mT6_P12ihipStream_tbENKUlT_T0_E_clISt17integral_constantIbLb1EEST_IbLb0EEEEDaSP_SQ_EUlSP_E0_NS1_11comp_targetILNS1_3genE4ELNS1_11target_archE910ELNS1_3gpuE8ELNS1_3repE0EEENS1_30default_config_static_selectorELNS0_4arch9wavefront6targetE1EEEvT1_,@function
_ZN7rocprim17ROCPRIM_400000_NS6detail17trampoline_kernelINS0_14default_configENS1_20scan_config_selectorIsEEZZNS1_9scan_implILNS1_25lookback_scan_determinismE0ELb0ELb1ES3_N6thrust23THRUST_200600_302600_NS6detail15normal_iteratorINS9_10device_ptrIsEEEESE_sNS9_10multipliesIsEEsEEDaPvRmT3_T4_T5_mT6_P12ihipStream_tbENKUlT_T0_E_clISt17integral_constantIbLb1EEST_IbLb0EEEEDaSP_SQ_EUlSP_E0_NS1_11comp_targetILNS1_3genE4ELNS1_11target_archE910ELNS1_3gpuE8ELNS1_3repE0EEENS1_30default_config_static_selectorELNS0_4arch9wavefront6targetE1EEEvT1_: ; @_ZN7rocprim17ROCPRIM_400000_NS6detail17trampoline_kernelINS0_14default_configENS1_20scan_config_selectorIsEEZZNS1_9scan_implILNS1_25lookback_scan_determinismE0ELb0ELb1ES3_N6thrust23THRUST_200600_302600_NS6detail15normal_iteratorINS9_10device_ptrIsEEEESE_sNS9_10multipliesIsEEsEEDaPvRmT3_T4_T5_mT6_P12ihipStream_tbENKUlT_T0_E_clISt17integral_constantIbLb1EEST_IbLb0EEEEDaSP_SQ_EUlSP_E0_NS1_11comp_targetILNS1_3genE4ELNS1_11target_archE910ELNS1_3gpuE8ELNS1_3repE0EEENS1_30default_config_static_selectorELNS0_4arch9wavefront6targetE1EEEvT1_
; %bb.0:
	s_load_dwordx4 s[52:55], s[4:5], 0x0
	v_mov_b32_e32 v1, 0
	v_lshlrev_b32_e32 v14, 1, v0
	s_waitcnt lgkmcnt(0)
	global_load_ushort v2, v1, s[52:53]
	v_cmp_gt_u32_e32 vcc, s54, v0
	s_waitcnt vmcnt(0)
	v_mov_b32_e32 v3, v2
	s_and_saveexec_b64 s[0:1], vcc
	s_cbranch_execz .LBB1170_2
; %bb.1:
	global_load_ushort v3, v14, s[52:53]
.LBB1170_2:
	s_or_b64 exec, exec, s[0:1]
	v_or_b32_e32 v1, 64, v0
	v_cmp_gt_u32_e64 s[0:1], s54, v1
	v_mov_b32_e32 v4, v2
	s_and_saveexec_b64 s[2:3], s[0:1]
	s_cbranch_execz .LBB1170_4
; %bb.3:
	global_load_ushort v4, v14, s[52:53] offset:128
.LBB1170_4:
	s_or_b64 exec, exec, s[2:3]
	v_or_b32_e32 v1, 0x80, v0
	v_cmp_gt_u32_e64 s[2:3], s54, v1
	v_mov_b32_e32 v5, v2
	s_and_saveexec_b64 s[6:7], s[2:3]
	s_cbranch_execz .LBB1170_6
; %bb.5:
	global_load_ushort v5, v14, s[52:53] offset:256
.LBB1170_6:
	;; [unrolled: 9-line block ×22, first 2 shown]
	s_or_b64 exec, exec, s[46:47]
	v_or_b32_e32 v1, 0x5c0, v0
	v_cmp_gt_u32_e64 s[46:47], s54, v1
	v_cmp_le_u32_e64 s[50:51], s54, v1
	s_and_saveexec_b64 s[54:55], s[50:51]
	s_xor_b64 s[50:51], exec, s[54:55]
; %bb.47:
	v_mov_b32_e32 v1, 0
; %bb.48:
	s_andn2_saveexec_b64 s[50:51], s[50:51]
	s_cbranch_execz .LBB1170_50
; %bb.49:
	global_load_ushort v2, v14, s[52:53] offset:2944
	v_mov_b32_e32 v1, 0
.LBB1170_50:
	s_or_b64 exec, exec, s[50:51]
	s_waitcnt vmcnt(0)
	ds_write_b16 v14, v3
	ds_write_b16 v14, v4 offset:128
	ds_write_b16 v14, v5 offset:256
	;; [unrolled: 1-line block ×23, first 2 shown]
	v_mad_u32_u24 v2, v0, 46, v14
	s_waitcnt lgkmcnt(0)
	; wave barrier
	s_waitcnt lgkmcnt(0)
	ds_read_b128 v[10:13], v2
	ds_read_b128 v[6:9], v2 offset:16
	ds_read_b128 v[2:5], v2 offset:32
	v_mbcnt_lo_u32_b32 v37, -1, 0
	v_mbcnt_hi_u32_b32 v37, -1, v37
	s_waitcnt lgkmcnt(2)
	v_mul_lo_u16_sdwa v16, v10, v10 dst_sel:DWORD dst_unused:UNUSED_PAD src0_sel:WORD_1 src1_sel:DWORD
	v_mul_lo_u16_e32 v17, v16, v11
	v_mul_lo_u16_sdwa v18, v17, v11 dst_sel:DWORD dst_unused:UNUSED_PAD src0_sel:DWORD src1_sel:WORD_1
	v_mul_lo_u16_e32 v19, v18, v12
	v_mul_lo_u16_sdwa v20, v19, v12 dst_sel:DWORD dst_unused:UNUSED_PAD src0_sel:DWORD src1_sel:WORD_1
	;; [unrolled: 2-line block ×3, first 2 shown]
	s_waitcnt lgkmcnt(1)
	v_mul_lo_u16_e32 v23, v22, v6
	v_mul_lo_u16_sdwa v24, v23, v6 dst_sel:DWORD dst_unused:UNUSED_PAD src0_sel:DWORD src1_sel:WORD_1
	v_mul_lo_u16_e32 v25, v24, v7
	v_mul_lo_u16_sdwa v26, v25, v7 dst_sel:DWORD dst_unused:UNUSED_PAD src0_sel:DWORD src1_sel:WORD_1
	;; [unrolled: 2-line block ×4, first 2 shown]
	s_waitcnt lgkmcnt(0)
	v_mul_lo_u16_e32 v31, v30, v2
	v_mul_lo_u16_sdwa v32, v31, v2 dst_sel:DWORD dst_unused:UNUSED_PAD src0_sel:DWORD src1_sel:WORD_1
	v_mul_lo_u16_e32 v33, v32, v3
	v_mul_lo_u16_sdwa v35, v33, v3 dst_sel:DWORD dst_unused:UNUSED_PAD src0_sel:DWORD src1_sel:WORD_1
	;; [unrolled: 2-line block ×4, first 2 shown]
	v_and_b32_e32 v38, 15, v37
	v_cmp_eq_u32_e64 s[50:51], 0, v38
	v_mov_b32_dpp v39, v15 row_shr:1 row_mask:0xf bank_mask:0xf
	v_mul_lo_u16_e32 v39, v15, v39
	v_cndmask_b32_e64 v15, v39, v15, s[50:51]
	v_cmp_lt_u32_e64 s[50:51], 1, v38
	s_load_dwordx2 s[52:53], s[4:5], 0x18
	v_mov_b32_dpp v39, v15 row_shr:2 row_mask:0xf bank_mask:0xf
	v_mul_lo_u16_e32 v39, v15, v39
	v_cndmask_b32_e64 v15, v15, v39, s[50:51]
	v_cmp_lt_u32_e64 s[50:51], 3, v38
	s_waitcnt lgkmcnt(0)
	v_mov_b32_dpp v39, v15 row_shr:4 row_mask:0xf bank_mask:0xf
	v_mul_lo_u16_e32 v39, v15, v39
	v_cndmask_b32_e64 v15, v15, v39, s[50:51]
	v_cmp_lt_u32_e64 s[50:51], 7, v38
	; wave barrier
	s_nop 0
	v_mov_b32_dpp v39, v15 row_shr:8 row_mask:0xf bank_mask:0xf
	v_mul_lo_u16_e32 v39, v15, v39
	v_cndmask_b32_e64 v15, v15, v39, s[50:51]
	v_and_b32_e32 v39, 16, v37
	v_cmp_eq_u32_e64 s[50:51], 0, v39
	v_mov_b32_dpp v38, v15 row_bcast:15 row_mask:0xf bank_mask:0xf
	v_mul_lo_u16_e32 v38, v15, v38
	v_cndmask_b32_e64 v15, v38, v15, s[50:51]
	v_cmp_lt_u32_e64 s[50:51], 31, v37
	s_nop 0
	v_mov_b32_dpp v38, v15 row_bcast:31 row_mask:0xf bank_mask:0xf
	v_cndmask_b32_e64 v38, 1, v38, s[50:51]
	v_mul_lo_u16_e32 v38, v15, v38
	v_cmp_eq_u32_e64 s[50:51], 63, v0
	s_and_saveexec_b64 s[54:55], s[50:51]
	s_cbranch_execz .LBB1170_52
; %bb.51:
	v_mov_b32_e32 v15, 0
	ds_write_b16 v15, v38
.LBB1170_52:
	s_or_b64 exec, exec, s[54:55]
	v_add_u32_e32 v39, -1, v37
	v_and_b32_e32 v40, 64, v37
	s_load_dword s54, s[4:5], 0x10
	v_cmp_lt_i32_e64 s[4:5], v39, v40
	v_cndmask_b32_e64 v37, v39, v37, s[4:5]
	v_lshlrev_b32_e32 v37, 2, v37
	ds_bpermute_b32 v37, v37, v38
	s_mov_b32 s33, 0x5040100
	v_mul_u32_u24_e32 v15, 46, v0
	v_cmp_ne_u32_e64 s[4:5], 0, v0
	v_perm_b32 v34, v36, v34, s33
	v_perm_b32 v16, v16, v10, s33
	;; [unrolled: 1-line block ×11, first 2 shown]
	s_waitcnt lgkmcnt(0)
	; wave barrier
	s_waitcnt lgkmcnt(0)
	s_and_saveexec_b64 s[50:51], s[4:5]
	s_cbranch_execz .LBB1170_54
; %bb.53:
	v_mul_lo_u16_e32 v16, v10, v37
	v_mul_lo_u16_sdwa v10, v16, v10 dst_sel:DWORD dst_unused:UNUSED_PAD src0_sel:DWORD src1_sel:WORD_1
	v_mul_lo_u16_e32 v17, v10, v11
	v_mul_lo_u16_sdwa v11, v17, v11 dst_sel:DWORD dst_unused:UNUSED_PAD src0_sel:DWORD src1_sel:WORD_1
	;; [unrolled: 2-line block ×11, first 2 shown]
	v_perm_b32 v34, v4, v18, s33
	v_perm_b32 v16, v10, v16, s33
	;; [unrolled: 1-line block ×11, first 2 shown]
	;;#ASMSTART
	;;#ASMEND
.LBB1170_54:
	s_or_b64 exec, exec, s[50:51]
	v_pk_mul_lo_u16 v6, v16, s54 op_sel_hi:[1,0]
	v_mul_lo_u16_e32 v16, s54, v5
	v_mul_lo_u16_sdwa v16, v16, v34 dst_sel:DWORD dst_unused:UNUSED_PAD src0_sel:DWORD src1_sel:WORD_1
	v_mul_lo_u16_sdwa v5, v16, v5 dst_sel:DWORD dst_unused:UNUSED_PAD src0_sel:DWORD src1_sel:WORD_1
	v_pk_mul_lo_u16 v7, v18, s54 op_sel_hi:[1,0]
	v_pk_mul_lo_u16 v9, v20, s54 op_sel_hi:[1,0]
	;; [unrolled: 1-line block ×10, first 2 shown]
	v_add_u32_e32 v15, v14, v15
	v_perm_b32 v5, v5, v16, s33
	s_waitcnt lgkmcnt(0)
	; wave barrier
	ds_write_b128 v15, v[6:9]
	ds_write_b128 v15, v[10:13] offset:16
	ds_write_b128 v15, v[2:5] offset:32
	s_waitcnt lgkmcnt(0)
	; wave barrier
	s_waitcnt lgkmcnt(0)
	ds_read_u16 v25, v14 offset:128
	ds_read_u16 v24, v14 offset:256
	;; [unrolled: 1-line block ×23, first 2 shown]
	v_lshlrev_b64 v[0:1], 1, v[0:1]
	v_mov_b32_e32 v26, s53
	v_add_co_u32_e64 v0, s[4:5], s52, v0
	v_addc_co_u32_e64 v1, s[4:5], v26, v1, s[4:5]
	s_and_saveexec_b64 s[4:5], vcc
	s_cbranch_execnz .LBB1170_79
; %bb.55:
	s_or_b64 exec, exec, s[4:5]
	s_and_saveexec_b64 s[4:5], s[0:1]
	s_cbranch_execnz .LBB1170_80
.LBB1170_56:
	s_or_b64 exec, exec, s[4:5]
	s_and_saveexec_b64 s[0:1], s[2:3]
	s_cbranch_execnz .LBB1170_81
.LBB1170_57:
	s_or_b64 exec, exec, s[0:1]
	s_and_saveexec_b64 s[0:1], s[48:49]
	s_cbranch_execnz .LBB1170_82
.LBB1170_58:
	s_or_b64 exec, exec, s[0:1]
	s_and_saveexec_b64 s[0:1], s[6:7]
	s_cbranch_execnz .LBB1170_83
.LBB1170_59:
	s_or_b64 exec, exec, s[0:1]
	s_and_saveexec_b64 s[0:1], s[8:9]
	s_cbranch_execnz .LBB1170_84
.LBB1170_60:
	s_or_b64 exec, exec, s[0:1]
	s_and_saveexec_b64 s[0:1], s[10:11]
	s_cbranch_execnz .LBB1170_85
.LBB1170_61:
	s_or_b64 exec, exec, s[0:1]
	s_and_saveexec_b64 s[0:1], s[12:13]
	s_cbranch_execnz .LBB1170_86
.LBB1170_62:
	s_or_b64 exec, exec, s[0:1]
	s_and_saveexec_b64 s[0:1], s[14:15]
	s_cbranch_execnz .LBB1170_87
.LBB1170_63:
	s_or_b64 exec, exec, s[0:1]
	s_and_saveexec_b64 s[0:1], s[16:17]
	s_cbranch_execnz .LBB1170_88
.LBB1170_64:
	s_or_b64 exec, exec, s[0:1]
	s_and_saveexec_b64 s[0:1], s[18:19]
	s_cbranch_execnz .LBB1170_89
.LBB1170_65:
	s_or_b64 exec, exec, s[0:1]
	s_and_saveexec_b64 s[0:1], s[20:21]
	s_cbranch_execnz .LBB1170_90
.LBB1170_66:
	s_or_b64 exec, exec, s[0:1]
	s_and_saveexec_b64 s[0:1], s[22:23]
	s_cbranch_execnz .LBB1170_91
.LBB1170_67:
	s_or_b64 exec, exec, s[0:1]
	s_and_saveexec_b64 s[0:1], s[24:25]
	s_cbranch_execnz .LBB1170_92
.LBB1170_68:
	s_or_b64 exec, exec, s[0:1]
	s_and_saveexec_b64 s[0:1], s[26:27]
	s_cbranch_execnz .LBB1170_93
.LBB1170_69:
	s_or_b64 exec, exec, s[0:1]
	s_and_saveexec_b64 s[0:1], s[28:29]
	s_cbranch_execnz .LBB1170_94
.LBB1170_70:
	s_or_b64 exec, exec, s[0:1]
	s_and_saveexec_b64 s[0:1], s[30:31]
	s_cbranch_execnz .LBB1170_95
.LBB1170_71:
	s_or_b64 exec, exec, s[0:1]
	s_and_saveexec_b64 s[0:1], s[34:35]
	s_cbranch_execnz .LBB1170_96
.LBB1170_72:
	s_or_b64 exec, exec, s[0:1]
	s_and_saveexec_b64 s[0:1], s[36:37]
	s_cbranch_execnz .LBB1170_97
.LBB1170_73:
	s_or_b64 exec, exec, s[0:1]
	s_and_saveexec_b64 s[0:1], s[38:39]
	s_cbranch_execnz .LBB1170_98
.LBB1170_74:
	s_or_b64 exec, exec, s[0:1]
	s_and_saveexec_b64 s[0:1], s[40:41]
	s_cbranch_execnz .LBB1170_99
.LBB1170_75:
	s_or_b64 exec, exec, s[0:1]
	s_and_saveexec_b64 s[0:1], s[42:43]
	s_cbranch_execnz .LBB1170_100
.LBB1170_76:
	s_or_b64 exec, exec, s[0:1]
	s_and_saveexec_b64 s[0:1], s[44:45]
	s_cbranch_execnz .LBB1170_101
.LBB1170_77:
	s_or_b64 exec, exec, s[0:1]
	s_and_saveexec_b64 s[0:1], s[46:47]
	s_cbranch_execnz .LBB1170_102
.LBB1170_78:
	s_endpgm
.LBB1170_79:
	ds_read_u16 v14, v14
	s_waitcnt lgkmcnt(0)
	global_store_short v[0:1], v14, off
	s_or_b64 exec, exec, s[4:5]
	s_and_saveexec_b64 s[4:5], s[0:1]
	s_cbranch_execz .LBB1170_56
.LBB1170_80:
	s_waitcnt lgkmcnt(14)
	global_store_short v[0:1], v25, off offset:128
	s_or_b64 exec, exec, s[4:5]
	s_and_saveexec_b64 s[0:1], s[2:3]
	s_cbranch_execz .LBB1170_57
.LBB1170_81:
	s_waitcnt lgkmcnt(14)
	global_store_short v[0:1], v24, off offset:256
	s_or_b64 exec, exec, s[0:1]
	s_and_saveexec_b64 s[0:1], s[48:49]
	s_cbranch_execz .LBB1170_58
.LBB1170_82:
	s_waitcnt lgkmcnt(14)
	global_store_short v[0:1], v23, off offset:384
	s_or_b64 exec, exec, s[0:1]
	s_and_saveexec_b64 s[0:1], s[6:7]
	s_cbranch_execz .LBB1170_59
.LBB1170_83:
	s_waitcnt lgkmcnt(14)
	global_store_short v[0:1], v22, off offset:512
	s_or_b64 exec, exec, s[0:1]
	s_and_saveexec_b64 s[0:1], s[8:9]
	s_cbranch_execz .LBB1170_60
.LBB1170_84:
	s_waitcnt lgkmcnt(14)
	global_store_short v[0:1], v21, off offset:640
	s_or_b64 exec, exec, s[0:1]
	s_and_saveexec_b64 s[0:1], s[10:11]
	s_cbranch_execz .LBB1170_61
.LBB1170_85:
	s_waitcnt lgkmcnt(14)
	global_store_short v[0:1], v20, off offset:768
	s_or_b64 exec, exec, s[0:1]
	s_and_saveexec_b64 s[0:1], s[12:13]
	s_cbranch_execz .LBB1170_62
.LBB1170_86:
	s_waitcnt lgkmcnt(14)
	global_store_short v[0:1], v19, off offset:896
	s_or_b64 exec, exec, s[0:1]
	s_and_saveexec_b64 s[0:1], s[14:15]
	s_cbranch_execz .LBB1170_63
.LBB1170_87:
	s_waitcnt lgkmcnt(14)
	global_store_short v[0:1], v18, off offset:1024
	s_or_b64 exec, exec, s[0:1]
	s_and_saveexec_b64 s[0:1], s[16:17]
	s_cbranch_execz .LBB1170_64
.LBB1170_88:
	s_waitcnt lgkmcnt(14)
	global_store_short v[0:1], v17, off offset:1152
	s_or_b64 exec, exec, s[0:1]
	s_and_saveexec_b64 s[0:1], s[18:19]
	s_cbranch_execz .LBB1170_65
.LBB1170_89:
	s_waitcnt lgkmcnt(13)
	global_store_short v[0:1], v16, off offset:1280
	s_or_b64 exec, exec, s[0:1]
	s_and_saveexec_b64 s[0:1], s[20:21]
	s_cbranch_execz .LBB1170_66
.LBB1170_90:
	s_waitcnt lgkmcnt(12)
	global_store_short v[0:1], v15, off offset:1408
	s_or_b64 exec, exec, s[0:1]
	s_and_saveexec_b64 s[0:1], s[22:23]
	s_cbranch_execz .LBB1170_67
.LBB1170_91:
	s_waitcnt lgkmcnt(11)
	global_store_short v[0:1], v13, off offset:1536
	s_or_b64 exec, exec, s[0:1]
	s_and_saveexec_b64 s[0:1], s[24:25]
	s_cbranch_execz .LBB1170_68
.LBB1170_92:
	s_waitcnt lgkmcnt(10)
	global_store_short v[0:1], v12, off offset:1664
	s_or_b64 exec, exec, s[0:1]
	s_and_saveexec_b64 s[0:1], s[26:27]
	s_cbranch_execz .LBB1170_69
.LBB1170_93:
	s_waitcnt lgkmcnt(9)
	global_store_short v[0:1], v11, off offset:1792
	s_or_b64 exec, exec, s[0:1]
	s_and_saveexec_b64 s[0:1], s[28:29]
	s_cbranch_execz .LBB1170_70
.LBB1170_94:
	s_waitcnt lgkmcnt(8)
	global_store_short v[0:1], v10, off offset:1920
	s_or_b64 exec, exec, s[0:1]
	s_and_saveexec_b64 s[0:1], s[30:31]
	s_cbranch_execz .LBB1170_71
.LBB1170_95:
	s_waitcnt lgkmcnt(7)
	global_store_short v[0:1], v9, off offset:2048
	s_or_b64 exec, exec, s[0:1]
	s_and_saveexec_b64 s[0:1], s[34:35]
	s_cbranch_execz .LBB1170_72
.LBB1170_96:
	s_waitcnt lgkmcnt(6)
	global_store_short v[0:1], v8, off offset:2176
	s_or_b64 exec, exec, s[0:1]
	s_and_saveexec_b64 s[0:1], s[36:37]
	s_cbranch_execz .LBB1170_73
.LBB1170_97:
	s_waitcnt lgkmcnt(5)
	global_store_short v[0:1], v7, off offset:2304
	s_or_b64 exec, exec, s[0:1]
	s_and_saveexec_b64 s[0:1], s[38:39]
	s_cbranch_execz .LBB1170_74
.LBB1170_98:
	s_waitcnt lgkmcnt(4)
	global_store_short v[0:1], v6, off offset:2432
	s_or_b64 exec, exec, s[0:1]
	s_and_saveexec_b64 s[0:1], s[40:41]
	s_cbranch_execz .LBB1170_75
.LBB1170_99:
	s_waitcnt lgkmcnt(3)
	global_store_short v[0:1], v5, off offset:2560
	s_or_b64 exec, exec, s[0:1]
	s_and_saveexec_b64 s[0:1], s[42:43]
	s_cbranch_execz .LBB1170_76
.LBB1170_100:
	s_waitcnt lgkmcnt(2)
	global_store_short v[0:1], v4, off offset:2688
	s_or_b64 exec, exec, s[0:1]
	s_and_saveexec_b64 s[0:1], s[44:45]
	s_cbranch_execz .LBB1170_77
.LBB1170_101:
	s_waitcnt lgkmcnt(1)
	global_store_short v[0:1], v3, off offset:2816
	s_or_b64 exec, exec, s[0:1]
	s_and_saveexec_b64 s[0:1], s[46:47]
	s_cbranch_execz .LBB1170_78
.LBB1170_102:
	s_waitcnt lgkmcnt(0)
	global_store_short v[0:1], v2, off offset:2944
	s_endpgm
	.section	.rodata,"a",@progbits
	.p2align	6, 0x0
	.amdhsa_kernel _ZN7rocprim17ROCPRIM_400000_NS6detail17trampoline_kernelINS0_14default_configENS1_20scan_config_selectorIsEEZZNS1_9scan_implILNS1_25lookback_scan_determinismE0ELb0ELb1ES3_N6thrust23THRUST_200600_302600_NS6detail15normal_iteratorINS9_10device_ptrIsEEEESE_sNS9_10multipliesIsEEsEEDaPvRmT3_T4_T5_mT6_P12ihipStream_tbENKUlT_T0_E_clISt17integral_constantIbLb1EEST_IbLb0EEEEDaSP_SQ_EUlSP_E0_NS1_11comp_targetILNS1_3genE4ELNS1_11target_archE910ELNS1_3gpuE8ELNS1_3repE0EEENS1_30default_config_static_selectorELNS0_4arch9wavefront6targetE1EEEvT1_
		.amdhsa_group_segment_fixed_size 3072
		.amdhsa_private_segment_fixed_size 0
		.amdhsa_kernarg_size 32
		.amdhsa_user_sgpr_count 6
		.amdhsa_user_sgpr_private_segment_buffer 1
		.amdhsa_user_sgpr_dispatch_ptr 0
		.amdhsa_user_sgpr_queue_ptr 0
		.amdhsa_user_sgpr_kernarg_segment_ptr 1
		.amdhsa_user_sgpr_dispatch_id 0
		.amdhsa_user_sgpr_flat_scratch_init 0
		.amdhsa_user_sgpr_kernarg_preload_length 0
		.amdhsa_user_sgpr_kernarg_preload_offset 0
		.amdhsa_user_sgpr_private_segment_size 0
		.amdhsa_uses_dynamic_stack 0
		.amdhsa_system_sgpr_private_segment_wavefront_offset 0
		.amdhsa_system_sgpr_workgroup_id_x 1
		.amdhsa_system_sgpr_workgroup_id_y 0
		.amdhsa_system_sgpr_workgroup_id_z 0
		.amdhsa_system_sgpr_workgroup_info 0
		.amdhsa_system_vgpr_workitem_id 0
		.amdhsa_next_free_vgpr 41
		.amdhsa_next_free_sgpr 56
		.amdhsa_accum_offset 44
		.amdhsa_reserve_vcc 1
		.amdhsa_reserve_flat_scratch 0
		.amdhsa_float_round_mode_32 0
		.amdhsa_float_round_mode_16_64 0
		.amdhsa_float_denorm_mode_32 3
		.amdhsa_float_denorm_mode_16_64 3
		.amdhsa_dx10_clamp 1
		.amdhsa_ieee_mode 1
		.amdhsa_fp16_overflow 0
		.amdhsa_tg_split 0
		.amdhsa_exception_fp_ieee_invalid_op 0
		.amdhsa_exception_fp_denorm_src 0
		.amdhsa_exception_fp_ieee_div_zero 0
		.amdhsa_exception_fp_ieee_overflow 0
		.amdhsa_exception_fp_ieee_underflow 0
		.amdhsa_exception_fp_ieee_inexact 0
		.amdhsa_exception_int_div_zero 0
	.end_amdhsa_kernel
	.section	.text._ZN7rocprim17ROCPRIM_400000_NS6detail17trampoline_kernelINS0_14default_configENS1_20scan_config_selectorIsEEZZNS1_9scan_implILNS1_25lookback_scan_determinismE0ELb0ELb1ES3_N6thrust23THRUST_200600_302600_NS6detail15normal_iteratorINS9_10device_ptrIsEEEESE_sNS9_10multipliesIsEEsEEDaPvRmT3_T4_T5_mT6_P12ihipStream_tbENKUlT_T0_E_clISt17integral_constantIbLb1EEST_IbLb0EEEEDaSP_SQ_EUlSP_E0_NS1_11comp_targetILNS1_3genE4ELNS1_11target_archE910ELNS1_3gpuE8ELNS1_3repE0EEENS1_30default_config_static_selectorELNS0_4arch9wavefront6targetE1EEEvT1_,"axG",@progbits,_ZN7rocprim17ROCPRIM_400000_NS6detail17trampoline_kernelINS0_14default_configENS1_20scan_config_selectorIsEEZZNS1_9scan_implILNS1_25lookback_scan_determinismE0ELb0ELb1ES3_N6thrust23THRUST_200600_302600_NS6detail15normal_iteratorINS9_10device_ptrIsEEEESE_sNS9_10multipliesIsEEsEEDaPvRmT3_T4_T5_mT6_P12ihipStream_tbENKUlT_T0_E_clISt17integral_constantIbLb1EEST_IbLb0EEEEDaSP_SQ_EUlSP_E0_NS1_11comp_targetILNS1_3genE4ELNS1_11target_archE910ELNS1_3gpuE8ELNS1_3repE0EEENS1_30default_config_static_selectorELNS0_4arch9wavefront6targetE1EEEvT1_,comdat
.Lfunc_end1170:
	.size	_ZN7rocprim17ROCPRIM_400000_NS6detail17trampoline_kernelINS0_14default_configENS1_20scan_config_selectorIsEEZZNS1_9scan_implILNS1_25lookback_scan_determinismE0ELb0ELb1ES3_N6thrust23THRUST_200600_302600_NS6detail15normal_iteratorINS9_10device_ptrIsEEEESE_sNS9_10multipliesIsEEsEEDaPvRmT3_T4_T5_mT6_P12ihipStream_tbENKUlT_T0_E_clISt17integral_constantIbLb1EEST_IbLb0EEEEDaSP_SQ_EUlSP_E0_NS1_11comp_targetILNS1_3genE4ELNS1_11target_archE910ELNS1_3gpuE8ELNS1_3repE0EEENS1_30default_config_static_selectorELNS0_4arch9wavefront6targetE1EEEvT1_, .Lfunc_end1170-_ZN7rocprim17ROCPRIM_400000_NS6detail17trampoline_kernelINS0_14default_configENS1_20scan_config_selectorIsEEZZNS1_9scan_implILNS1_25lookback_scan_determinismE0ELb0ELb1ES3_N6thrust23THRUST_200600_302600_NS6detail15normal_iteratorINS9_10device_ptrIsEEEESE_sNS9_10multipliesIsEEsEEDaPvRmT3_T4_T5_mT6_P12ihipStream_tbENKUlT_T0_E_clISt17integral_constantIbLb1EEST_IbLb0EEEEDaSP_SQ_EUlSP_E0_NS1_11comp_targetILNS1_3genE4ELNS1_11target_archE910ELNS1_3gpuE8ELNS1_3repE0EEENS1_30default_config_static_selectorELNS0_4arch9wavefront6targetE1EEEvT1_
                                        ; -- End function
	.section	.AMDGPU.csdata,"",@progbits
; Kernel info:
; codeLenInByte = 3252
; NumSgprs: 60
; NumVgprs: 41
; NumAgprs: 0
; TotalNumVgprs: 41
; ScratchSize: 0
; MemoryBound: 0
; FloatMode: 240
; IeeeMode: 1
; LDSByteSize: 3072 bytes/workgroup (compile time only)
; SGPRBlocks: 7
; VGPRBlocks: 5
; NumSGPRsForWavesPerEU: 60
; NumVGPRsForWavesPerEU: 41
; AccumOffset: 44
; Occupancy: 6
; WaveLimiterHint : 0
; COMPUTE_PGM_RSRC2:SCRATCH_EN: 0
; COMPUTE_PGM_RSRC2:USER_SGPR: 6
; COMPUTE_PGM_RSRC2:TRAP_HANDLER: 0
; COMPUTE_PGM_RSRC2:TGID_X_EN: 1
; COMPUTE_PGM_RSRC2:TGID_Y_EN: 0
; COMPUTE_PGM_RSRC2:TGID_Z_EN: 0
; COMPUTE_PGM_RSRC2:TIDIG_COMP_CNT: 0
; COMPUTE_PGM_RSRC3_GFX90A:ACCUM_OFFSET: 10
; COMPUTE_PGM_RSRC3_GFX90A:TG_SPLIT: 0
	.section	.text._ZN7rocprim17ROCPRIM_400000_NS6detail17trampoline_kernelINS0_14default_configENS1_20scan_config_selectorIsEEZZNS1_9scan_implILNS1_25lookback_scan_determinismE0ELb0ELb1ES3_N6thrust23THRUST_200600_302600_NS6detail15normal_iteratorINS9_10device_ptrIsEEEESE_sNS9_10multipliesIsEEsEEDaPvRmT3_T4_T5_mT6_P12ihipStream_tbENKUlT_T0_E_clISt17integral_constantIbLb1EEST_IbLb0EEEEDaSP_SQ_EUlSP_E0_NS1_11comp_targetILNS1_3genE3ELNS1_11target_archE908ELNS1_3gpuE7ELNS1_3repE0EEENS1_30default_config_static_selectorELNS0_4arch9wavefront6targetE1EEEvT1_,"axG",@progbits,_ZN7rocprim17ROCPRIM_400000_NS6detail17trampoline_kernelINS0_14default_configENS1_20scan_config_selectorIsEEZZNS1_9scan_implILNS1_25lookback_scan_determinismE0ELb0ELb1ES3_N6thrust23THRUST_200600_302600_NS6detail15normal_iteratorINS9_10device_ptrIsEEEESE_sNS9_10multipliesIsEEsEEDaPvRmT3_T4_T5_mT6_P12ihipStream_tbENKUlT_T0_E_clISt17integral_constantIbLb1EEST_IbLb0EEEEDaSP_SQ_EUlSP_E0_NS1_11comp_targetILNS1_3genE3ELNS1_11target_archE908ELNS1_3gpuE7ELNS1_3repE0EEENS1_30default_config_static_selectorELNS0_4arch9wavefront6targetE1EEEvT1_,comdat
	.protected	_ZN7rocprim17ROCPRIM_400000_NS6detail17trampoline_kernelINS0_14default_configENS1_20scan_config_selectorIsEEZZNS1_9scan_implILNS1_25lookback_scan_determinismE0ELb0ELb1ES3_N6thrust23THRUST_200600_302600_NS6detail15normal_iteratorINS9_10device_ptrIsEEEESE_sNS9_10multipliesIsEEsEEDaPvRmT3_T4_T5_mT6_P12ihipStream_tbENKUlT_T0_E_clISt17integral_constantIbLb1EEST_IbLb0EEEEDaSP_SQ_EUlSP_E0_NS1_11comp_targetILNS1_3genE3ELNS1_11target_archE908ELNS1_3gpuE7ELNS1_3repE0EEENS1_30default_config_static_selectorELNS0_4arch9wavefront6targetE1EEEvT1_ ; -- Begin function _ZN7rocprim17ROCPRIM_400000_NS6detail17trampoline_kernelINS0_14default_configENS1_20scan_config_selectorIsEEZZNS1_9scan_implILNS1_25lookback_scan_determinismE0ELb0ELb1ES3_N6thrust23THRUST_200600_302600_NS6detail15normal_iteratorINS9_10device_ptrIsEEEESE_sNS9_10multipliesIsEEsEEDaPvRmT3_T4_T5_mT6_P12ihipStream_tbENKUlT_T0_E_clISt17integral_constantIbLb1EEST_IbLb0EEEEDaSP_SQ_EUlSP_E0_NS1_11comp_targetILNS1_3genE3ELNS1_11target_archE908ELNS1_3gpuE7ELNS1_3repE0EEENS1_30default_config_static_selectorELNS0_4arch9wavefront6targetE1EEEvT1_
	.globl	_ZN7rocprim17ROCPRIM_400000_NS6detail17trampoline_kernelINS0_14default_configENS1_20scan_config_selectorIsEEZZNS1_9scan_implILNS1_25lookback_scan_determinismE0ELb0ELb1ES3_N6thrust23THRUST_200600_302600_NS6detail15normal_iteratorINS9_10device_ptrIsEEEESE_sNS9_10multipliesIsEEsEEDaPvRmT3_T4_T5_mT6_P12ihipStream_tbENKUlT_T0_E_clISt17integral_constantIbLb1EEST_IbLb0EEEEDaSP_SQ_EUlSP_E0_NS1_11comp_targetILNS1_3genE3ELNS1_11target_archE908ELNS1_3gpuE7ELNS1_3repE0EEENS1_30default_config_static_selectorELNS0_4arch9wavefront6targetE1EEEvT1_
	.p2align	8
	.type	_ZN7rocprim17ROCPRIM_400000_NS6detail17trampoline_kernelINS0_14default_configENS1_20scan_config_selectorIsEEZZNS1_9scan_implILNS1_25lookback_scan_determinismE0ELb0ELb1ES3_N6thrust23THRUST_200600_302600_NS6detail15normal_iteratorINS9_10device_ptrIsEEEESE_sNS9_10multipliesIsEEsEEDaPvRmT3_T4_T5_mT6_P12ihipStream_tbENKUlT_T0_E_clISt17integral_constantIbLb1EEST_IbLb0EEEEDaSP_SQ_EUlSP_E0_NS1_11comp_targetILNS1_3genE3ELNS1_11target_archE908ELNS1_3gpuE7ELNS1_3repE0EEENS1_30default_config_static_selectorELNS0_4arch9wavefront6targetE1EEEvT1_,@function
_ZN7rocprim17ROCPRIM_400000_NS6detail17trampoline_kernelINS0_14default_configENS1_20scan_config_selectorIsEEZZNS1_9scan_implILNS1_25lookback_scan_determinismE0ELb0ELb1ES3_N6thrust23THRUST_200600_302600_NS6detail15normal_iteratorINS9_10device_ptrIsEEEESE_sNS9_10multipliesIsEEsEEDaPvRmT3_T4_T5_mT6_P12ihipStream_tbENKUlT_T0_E_clISt17integral_constantIbLb1EEST_IbLb0EEEEDaSP_SQ_EUlSP_E0_NS1_11comp_targetILNS1_3genE3ELNS1_11target_archE908ELNS1_3gpuE7ELNS1_3repE0EEENS1_30default_config_static_selectorELNS0_4arch9wavefront6targetE1EEEvT1_: ; @_ZN7rocprim17ROCPRIM_400000_NS6detail17trampoline_kernelINS0_14default_configENS1_20scan_config_selectorIsEEZZNS1_9scan_implILNS1_25lookback_scan_determinismE0ELb0ELb1ES3_N6thrust23THRUST_200600_302600_NS6detail15normal_iteratorINS9_10device_ptrIsEEEESE_sNS9_10multipliesIsEEsEEDaPvRmT3_T4_T5_mT6_P12ihipStream_tbENKUlT_T0_E_clISt17integral_constantIbLb1EEST_IbLb0EEEEDaSP_SQ_EUlSP_E0_NS1_11comp_targetILNS1_3genE3ELNS1_11target_archE908ELNS1_3gpuE7ELNS1_3repE0EEENS1_30default_config_static_selectorELNS0_4arch9wavefront6targetE1EEEvT1_
; %bb.0:
	.section	.rodata,"a",@progbits
	.p2align	6, 0x0
	.amdhsa_kernel _ZN7rocprim17ROCPRIM_400000_NS6detail17trampoline_kernelINS0_14default_configENS1_20scan_config_selectorIsEEZZNS1_9scan_implILNS1_25lookback_scan_determinismE0ELb0ELb1ES3_N6thrust23THRUST_200600_302600_NS6detail15normal_iteratorINS9_10device_ptrIsEEEESE_sNS9_10multipliesIsEEsEEDaPvRmT3_T4_T5_mT6_P12ihipStream_tbENKUlT_T0_E_clISt17integral_constantIbLb1EEST_IbLb0EEEEDaSP_SQ_EUlSP_E0_NS1_11comp_targetILNS1_3genE3ELNS1_11target_archE908ELNS1_3gpuE7ELNS1_3repE0EEENS1_30default_config_static_selectorELNS0_4arch9wavefront6targetE1EEEvT1_
		.amdhsa_group_segment_fixed_size 0
		.amdhsa_private_segment_fixed_size 0
		.amdhsa_kernarg_size 32
		.amdhsa_user_sgpr_count 6
		.amdhsa_user_sgpr_private_segment_buffer 1
		.amdhsa_user_sgpr_dispatch_ptr 0
		.amdhsa_user_sgpr_queue_ptr 0
		.amdhsa_user_sgpr_kernarg_segment_ptr 1
		.amdhsa_user_sgpr_dispatch_id 0
		.amdhsa_user_sgpr_flat_scratch_init 0
		.amdhsa_user_sgpr_kernarg_preload_length 0
		.amdhsa_user_sgpr_kernarg_preload_offset 0
		.amdhsa_user_sgpr_private_segment_size 0
		.amdhsa_uses_dynamic_stack 0
		.amdhsa_system_sgpr_private_segment_wavefront_offset 0
		.amdhsa_system_sgpr_workgroup_id_x 1
		.amdhsa_system_sgpr_workgroup_id_y 0
		.amdhsa_system_sgpr_workgroup_id_z 0
		.amdhsa_system_sgpr_workgroup_info 0
		.amdhsa_system_vgpr_workitem_id 0
		.amdhsa_next_free_vgpr 1
		.amdhsa_next_free_sgpr 0
		.amdhsa_accum_offset 4
		.amdhsa_reserve_vcc 0
		.amdhsa_reserve_flat_scratch 0
		.amdhsa_float_round_mode_32 0
		.amdhsa_float_round_mode_16_64 0
		.amdhsa_float_denorm_mode_32 3
		.amdhsa_float_denorm_mode_16_64 3
		.amdhsa_dx10_clamp 1
		.amdhsa_ieee_mode 1
		.amdhsa_fp16_overflow 0
		.amdhsa_tg_split 0
		.amdhsa_exception_fp_ieee_invalid_op 0
		.amdhsa_exception_fp_denorm_src 0
		.amdhsa_exception_fp_ieee_div_zero 0
		.amdhsa_exception_fp_ieee_overflow 0
		.amdhsa_exception_fp_ieee_underflow 0
		.amdhsa_exception_fp_ieee_inexact 0
		.amdhsa_exception_int_div_zero 0
	.end_amdhsa_kernel
	.section	.text._ZN7rocprim17ROCPRIM_400000_NS6detail17trampoline_kernelINS0_14default_configENS1_20scan_config_selectorIsEEZZNS1_9scan_implILNS1_25lookback_scan_determinismE0ELb0ELb1ES3_N6thrust23THRUST_200600_302600_NS6detail15normal_iteratorINS9_10device_ptrIsEEEESE_sNS9_10multipliesIsEEsEEDaPvRmT3_T4_T5_mT6_P12ihipStream_tbENKUlT_T0_E_clISt17integral_constantIbLb1EEST_IbLb0EEEEDaSP_SQ_EUlSP_E0_NS1_11comp_targetILNS1_3genE3ELNS1_11target_archE908ELNS1_3gpuE7ELNS1_3repE0EEENS1_30default_config_static_selectorELNS0_4arch9wavefront6targetE1EEEvT1_,"axG",@progbits,_ZN7rocprim17ROCPRIM_400000_NS6detail17trampoline_kernelINS0_14default_configENS1_20scan_config_selectorIsEEZZNS1_9scan_implILNS1_25lookback_scan_determinismE0ELb0ELb1ES3_N6thrust23THRUST_200600_302600_NS6detail15normal_iteratorINS9_10device_ptrIsEEEESE_sNS9_10multipliesIsEEsEEDaPvRmT3_T4_T5_mT6_P12ihipStream_tbENKUlT_T0_E_clISt17integral_constantIbLb1EEST_IbLb0EEEEDaSP_SQ_EUlSP_E0_NS1_11comp_targetILNS1_3genE3ELNS1_11target_archE908ELNS1_3gpuE7ELNS1_3repE0EEENS1_30default_config_static_selectorELNS0_4arch9wavefront6targetE1EEEvT1_,comdat
.Lfunc_end1171:
	.size	_ZN7rocprim17ROCPRIM_400000_NS6detail17trampoline_kernelINS0_14default_configENS1_20scan_config_selectorIsEEZZNS1_9scan_implILNS1_25lookback_scan_determinismE0ELb0ELb1ES3_N6thrust23THRUST_200600_302600_NS6detail15normal_iteratorINS9_10device_ptrIsEEEESE_sNS9_10multipliesIsEEsEEDaPvRmT3_T4_T5_mT6_P12ihipStream_tbENKUlT_T0_E_clISt17integral_constantIbLb1EEST_IbLb0EEEEDaSP_SQ_EUlSP_E0_NS1_11comp_targetILNS1_3genE3ELNS1_11target_archE908ELNS1_3gpuE7ELNS1_3repE0EEENS1_30default_config_static_selectorELNS0_4arch9wavefront6targetE1EEEvT1_, .Lfunc_end1171-_ZN7rocprim17ROCPRIM_400000_NS6detail17trampoline_kernelINS0_14default_configENS1_20scan_config_selectorIsEEZZNS1_9scan_implILNS1_25lookback_scan_determinismE0ELb0ELb1ES3_N6thrust23THRUST_200600_302600_NS6detail15normal_iteratorINS9_10device_ptrIsEEEESE_sNS9_10multipliesIsEEsEEDaPvRmT3_T4_T5_mT6_P12ihipStream_tbENKUlT_T0_E_clISt17integral_constantIbLb1EEST_IbLb0EEEEDaSP_SQ_EUlSP_E0_NS1_11comp_targetILNS1_3genE3ELNS1_11target_archE908ELNS1_3gpuE7ELNS1_3repE0EEENS1_30default_config_static_selectorELNS0_4arch9wavefront6targetE1EEEvT1_
                                        ; -- End function
	.section	.AMDGPU.csdata,"",@progbits
; Kernel info:
; codeLenInByte = 0
; NumSgprs: 4
; NumVgprs: 0
; NumAgprs: 0
; TotalNumVgprs: 0
; ScratchSize: 0
; MemoryBound: 0
; FloatMode: 240
; IeeeMode: 1
; LDSByteSize: 0 bytes/workgroup (compile time only)
; SGPRBlocks: 0
; VGPRBlocks: 0
; NumSGPRsForWavesPerEU: 4
; NumVGPRsForWavesPerEU: 1
; AccumOffset: 4
; Occupancy: 8
; WaveLimiterHint : 0
; COMPUTE_PGM_RSRC2:SCRATCH_EN: 0
; COMPUTE_PGM_RSRC2:USER_SGPR: 6
; COMPUTE_PGM_RSRC2:TRAP_HANDLER: 0
; COMPUTE_PGM_RSRC2:TGID_X_EN: 1
; COMPUTE_PGM_RSRC2:TGID_Y_EN: 0
; COMPUTE_PGM_RSRC2:TGID_Z_EN: 0
; COMPUTE_PGM_RSRC2:TIDIG_COMP_CNT: 0
; COMPUTE_PGM_RSRC3_GFX90A:ACCUM_OFFSET: 0
; COMPUTE_PGM_RSRC3_GFX90A:TG_SPLIT: 0
	.section	.text._ZN7rocprim17ROCPRIM_400000_NS6detail17trampoline_kernelINS0_14default_configENS1_20scan_config_selectorIsEEZZNS1_9scan_implILNS1_25lookback_scan_determinismE0ELb0ELb1ES3_N6thrust23THRUST_200600_302600_NS6detail15normal_iteratorINS9_10device_ptrIsEEEESE_sNS9_10multipliesIsEEsEEDaPvRmT3_T4_T5_mT6_P12ihipStream_tbENKUlT_T0_E_clISt17integral_constantIbLb1EEST_IbLb0EEEEDaSP_SQ_EUlSP_E0_NS1_11comp_targetILNS1_3genE2ELNS1_11target_archE906ELNS1_3gpuE6ELNS1_3repE0EEENS1_30default_config_static_selectorELNS0_4arch9wavefront6targetE1EEEvT1_,"axG",@progbits,_ZN7rocprim17ROCPRIM_400000_NS6detail17trampoline_kernelINS0_14default_configENS1_20scan_config_selectorIsEEZZNS1_9scan_implILNS1_25lookback_scan_determinismE0ELb0ELb1ES3_N6thrust23THRUST_200600_302600_NS6detail15normal_iteratorINS9_10device_ptrIsEEEESE_sNS9_10multipliesIsEEsEEDaPvRmT3_T4_T5_mT6_P12ihipStream_tbENKUlT_T0_E_clISt17integral_constantIbLb1EEST_IbLb0EEEEDaSP_SQ_EUlSP_E0_NS1_11comp_targetILNS1_3genE2ELNS1_11target_archE906ELNS1_3gpuE6ELNS1_3repE0EEENS1_30default_config_static_selectorELNS0_4arch9wavefront6targetE1EEEvT1_,comdat
	.protected	_ZN7rocprim17ROCPRIM_400000_NS6detail17trampoline_kernelINS0_14default_configENS1_20scan_config_selectorIsEEZZNS1_9scan_implILNS1_25lookback_scan_determinismE0ELb0ELb1ES3_N6thrust23THRUST_200600_302600_NS6detail15normal_iteratorINS9_10device_ptrIsEEEESE_sNS9_10multipliesIsEEsEEDaPvRmT3_T4_T5_mT6_P12ihipStream_tbENKUlT_T0_E_clISt17integral_constantIbLb1EEST_IbLb0EEEEDaSP_SQ_EUlSP_E0_NS1_11comp_targetILNS1_3genE2ELNS1_11target_archE906ELNS1_3gpuE6ELNS1_3repE0EEENS1_30default_config_static_selectorELNS0_4arch9wavefront6targetE1EEEvT1_ ; -- Begin function _ZN7rocprim17ROCPRIM_400000_NS6detail17trampoline_kernelINS0_14default_configENS1_20scan_config_selectorIsEEZZNS1_9scan_implILNS1_25lookback_scan_determinismE0ELb0ELb1ES3_N6thrust23THRUST_200600_302600_NS6detail15normal_iteratorINS9_10device_ptrIsEEEESE_sNS9_10multipliesIsEEsEEDaPvRmT3_T4_T5_mT6_P12ihipStream_tbENKUlT_T0_E_clISt17integral_constantIbLb1EEST_IbLb0EEEEDaSP_SQ_EUlSP_E0_NS1_11comp_targetILNS1_3genE2ELNS1_11target_archE906ELNS1_3gpuE6ELNS1_3repE0EEENS1_30default_config_static_selectorELNS0_4arch9wavefront6targetE1EEEvT1_
	.globl	_ZN7rocprim17ROCPRIM_400000_NS6detail17trampoline_kernelINS0_14default_configENS1_20scan_config_selectorIsEEZZNS1_9scan_implILNS1_25lookback_scan_determinismE0ELb0ELb1ES3_N6thrust23THRUST_200600_302600_NS6detail15normal_iteratorINS9_10device_ptrIsEEEESE_sNS9_10multipliesIsEEsEEDaPvRmT3_T4_T5_mT6_P12ihipStream_tbENKUlT_T0_E_clISt17integral_constantIbLb1EEST_IbLb0EEEEDaSP_SQ_EUlSP_E0_NS1_11comp_targetILNS1_3genE2ELNS1_11target_archE906ELNS1_3gpuE6ELNS1_3repE0EEENS1_30default_config_static_selectorELNS0_4arch9wavefront6targetE1EEEvT1_
	.p2align	8
	.type	_ZN7rocprim17ROCPRIM_400000_NS6detail17trampoline_kernelINS0_14default_configENS1_20scan_config_selectorIsEEZZNS1_9scan_implILNS1_25lookback_scan_determinismE0ELb0ELb1ES3_N6thrust23THRUST_200600_302600_NS6detail15normal_iteratorINS9_10device_ptrIsEEEESE_sNS9_10multipliesIsEEsEEDaPvRmT3_T4_T5_mT6_P12ihipStream_tbENKUlT_T0_E_clISt17integral_constantIbLb1EEST_IbLb0EEEEDaSP_SQ_EUlSP_E0_NS1_11comp_targetILNS1_3genE2ELNS1_11target_archE906ELNS1_3gpuE6ELNS1_3repE0EEENS1_30default_config_static_selectorELNS0_4arch9wavefront6targetE1EEEvT1_,@function
_ZN7rocprim17ROCPRIM_400000_NS6detail17trampoline_kernelINS0_14default_configENS1_20scan_config_selectorIsEEZZNS1_9scan_implILNS1_25lookback_scan_determinismE0ELb0ELb1ES3_N6thrust23THRUST_200600_302600_NS6detail15normal_iteratorINS9_10device_ptrIsEEEESE_sNS9_10multipliesIsEEsEEDaPvRmT3_T4_T5_mT6_P12ihipStream_tbENKUlT_T0_E_clISt17integral_constantIbLb1EEST_IbLb0EEEEDaSP_SQ_EUlSP_E0_NS1_11comp_targetILNS1_3genE2ELNS1_11target_archE906ELNS1_3gpuE6ELNS1_3repE0EEENS1_30default_config_static_selectorELNS0_4arch9wavefront6targetE1EEEvT1_: ; @_ZN7rocprim17ROCPRIM_400000_NS6detail17trampoline_kernelINS0_14default_configENS1_20scan_config_selectorIsEEZZNS1_9scan_implILNS1_25lookback_scan_determinismE0ELb0ELb1ES3_N6thrust23THRUST_200600_302600_NS6detail15normal_iteratorINS9_10device_ptrIsEEEESE_sNS9_10multipliesIsEEsEEDaPvRmT3_T4_T5_mT6_P12ihipStream_tbENKUlT_T0_E_clISt17integral_constantIbLb1EEST_IbLb0EEEEDaSP_SQ_EUlSP_E0_NS1_11comp_targetILNS1_3genE2ELNS1_11target_archE906ELNS1_3gpuE6ELNS1_3repE0EEENS1_30default_config_static_selectorELNS0_4arch9wavefront6targetE1EEEvT1_
; %bb.0:
	.section	.rodata,"a",@progbits
	.p2align	6, 0x0
	.amdhsa_kernel _ZN7rocprim17ROCPRIM_400000_NS6detail17trampoline_kernelINS0_14default_configENS1_20scan_config_selectorIsEEZZNS1_9scan_implILNS1_25lookback_scan_determinismE0ELb0ELb1ES3_N6thrust23THRUST_200600_302600_NS6detail15normal_iteratorINS9_10device_ptrIsEEEESE_sNS9_10multipliesIsEEsEEDaPvRmT3_T4_T5_mT6_P12ihipStream_tbENKUlT_T0_E_clISt17integral_constantIbLb1EEST_IbLb0EEEEDaSP_SQ_EUlSP_E0_NS1_11comp_targetILNS1_3genE2ELNS1_11target_archE906ELNS1_3gpuE6ELNS1_3repE0EEENS1_30default_config_static_selectorELNS0_4arch9wavefront6targetE1EEEvT1_
		.amdhsa_group_segment_fixed_size 0
		.amdhsa_private_segment_fixed_size 0
		.amdhsa_kernarg_size 32
		.amdhsa_user_sgpr_count 6
		.amdhsa_user_sgpr_private_segment_buffer 1
		.amdhsa_user_sgpr_dispatch_ptr 0
		.amdhsa_user_sgpr_queue_ptr 0
		.amdhsa_user_sgpr_kernarg_segment_ptr 1
		.amdhsa_user_sgpr_dispatch_id 0
		.amdhsa_user_sgpr_flat_scratch_init 0
		.amdhsa_user_sgpr_kernarg_preload_length 0
		.amdhsa_user_sgpr_kernarg_preload_offset 0
		.amdhsa_user_sgpr_private_segment_size 0
		.amdhsa_uses_dynamic_stack 0
		.amdhsa_system_sgpr_private_segment_wavefront_offset 0
		.amdhsa_system_sgpr_workgroup_id_x 1
		.amdhsa_system_sgpr_workgroup_id_y 0
		.amdhsa_system_sgpr_workgroup_id_z 0
		.amdhsa_system_sgpr_workgroup_info 0
		.amdhsa_system_vgpr_workitem_id 0
		.amdhsa_next_free_vgpr 1
		.amdhsa_next_free_sgpr 0
		.amdhsa_accum_offset 4
		.amdhsa_reserve_vcc 0
		.amdhsa_reserve_flat_scratch 0
		.amdhsa_float_round_mode_32 0
		.amdhsa_float_round_mode_16_64 0
		.amdhsa_float_denorm_mode_32 3
		.amdhsa_float_denorm_mode_16_64 3
		.amdhsa_dx10_clamp 1
		.amdhsa_ieee_mode 1
		.amdhsa_fp16_overflow 0
		.amdhsa_tg_split 0
		.amdhsa_exception_fp_ieee_invalid_op 0
		.amdhsa_exception_fp_denorm_src 0
		.amdhsa_exception_fp_ieee_div_zero 0
		.amdhsa_exception_fp_ieee_overflow 0
		.amdhsa_exception_fp_ieee_underflow 0
		.amdhsa_exception_fp_ieee_inexact 0
		.amdhsa_exception_int_div_zero 0
	.end_amdhsa_kernel
	.section	.text._ZN7rocprim17ROCPRIM_400000_NS6detail17trampoline_kernelINS0_14default_configENS1_20scan_config_selectorIsEEZZNS1_9scan_implILNS1_25lookback_scan_determinismE0ELb0ELb1ES3_N6thrust23THRUST_200600_302600_NS6detail15normal_iteratorINS9_10device_ptrIsEEEESE_sNS9_10multipliesIsEEsEEDaPvRmT3_T4_T5_mT6_P12ihipStream_tbENKUlT_T0_E_clISt17integral_constantIbLb1EEST_IbLb0EEEEDaSP_SQ_EUlSP_E0_NS1_11comp_targetILNS1_3genE2ELNS1_11target_archE906ELNS1_3gpuE6ELNS1_3repE0EEENS1_30default_config_static_selectorELNS0_4arch9wavefront6targetE1EEEvT1_,"axG",@progbits,_ZN7rocprim17ROCPRIM_400000_NS6detail17trampoline_kernelINS0_14default_configENS1_20scan_config_selectorIsEEZZNS1_9scan_implILNS1_25lookback_scan_determinismE0ELb0ELb1ES3_N6thrust23THRUST_200600_302600_NS6detail15normal_iteratorINS9_10device_ptrIsEEEESE_sNS9_10multipliesIsEEsEEDaPvRmT3_T4_T5_mT6_P12ihipStream_tbENKUlT_T0_E_clISt17integral_constantIbLb1EEST_IbLb0EEEEDaSP_SQ_EUlSP_E0_NS1_11comp_targetILNS1_3genE2ELNS1_11target_archE906ELNS1_3gpuE6ELNS1_3repE0EEENS1_30default_config_static_selectorELNS0_4arch9wavefront6targetE1EEEvT1_,comdat
.Lfunc_end1172:
	.size	_ZN7rocprim17ROCPRIM_400000_NS6detail17trampoline_kernelINS0_14default_configENS1_20scan_config_selectorIsEEZZNS1_9scan_implILNS1_25lookback_scan_determinismE0ELb0ELb1ES3_N6thrust23THRUST_200600_302600_NS6detail15normal_iteratorINS9_10device_ptrIsEEEESE_sNS9_10multipliesIsEEsEEDaPvRmT3_T4_T5_mT6_P12ihipStream_tbENKUlT_T0_E_clISt17integral_constantIbLb1EEST_IbLb0EEEEDaSP_SQ_EUlSP_E0_NS1_11comp_targetILNS1_3genE2ELNS1_11target_archE906ELNS1_3gpuE6ELNS1_3repE0EEENS1_30default_config_static_selectorELNS0_4arch9wavefront6targetE1EEEvT1_, .Lfunc_end1172-_ZN7rocprim17ROCPRIM_400000_NS6detail17trampoline_kernelINS0_14default_configENS1_20scan_config_selectorIsEEZZNS1_9scan_implILNS1_25lookback_scan_determinismE0ELb0ELb1ES3_N6thrust23THRUST_200600_302600_NS6detail15normal_iteratorINS9_10device_ptrIsEEEESE_sNS9_10multipliesIsEEsEEDaPvRmT3_T4_T5_mT6_P12ihipStream_tbENKUlT_T0_E_clISt17integral_constantIbLb1EEST_IbLb0EEEEDaSP_SQ_EUlSP_E0_NS1_11comp_targetILNS1_3genE2ELNS1_11target_archE906ELNS1_3gpuE6ELNS1_3repE0EEENS1_30default_config_static_selectorELNS0_4arch9wavefront6targetE1EEEvT1_
                                        ; -- End function
	.section	.AMDGPU.csdata,"",@progbits
; Kernel info:
; codeLenInByte = 0
; NumSgprs: 4
; NumVgprs: 0
; NumAgprs: 0
; TotalNumVgprs: 0
; ScratchSize: 0
; MemoryBound: 0
; FloatMode: 240
; IeeeMode: 1
; LDSByteSize: 0 bytes/workgroup (compile time only)
; SGPRBlocks: 0
; VGPRBlocks: 0
; NumSGPRsForWavesPerEU: 4
; NumVGPRsForWavesPerEU: 1
; AccumOffset: 4
; Occupancy: 8
; WaveLimiterHint : 0
; COMPUTE_PGM_RSRC2:SCRATCH_EN: 0
; COMPUTE_PGM_RSRC2:USER_SGPR: 6
; COMPUTE_PGM_RSRC2:TRAP_HANDLER: 0
; COMPUTE_PGM_RSRC2:TGID_X_EN: 1
; COMPUTE_PGM_RSRC2:TGID_Y_EN: 0
; COMPUTE_PGM_RSRC2:TGID_Z_EN: 0
; COMPUTE_PGM_RSRC2:TIDIG_COMP_CNT: 0
; COMPUTE_PGM_RSRC3_GFX90A:ACCUM_OFFSET: 0
; COMPUTE_PGM_RSRC3_GFX90A:TG_SPLIT: 0
	.section	.text._ZN7rocprim17ROCPRIM_400000_NS6detail17trampoline_kernelINS0_14default_configENS1_20scan_config_selectorIsEEZZNS1_9scan_implILNS1_25lookback_scan_determinismE0ELb0ELb1ES3_N6thrust23THRUST_200600_302600_NS6detail15normal_iteratorINS9_10device_ptrIsEEEESE_sNS9_10multipliesIsEEsEEDaPvRmT3_T4_T5_mT6_P12ihipStream_tbENKUlT_T0_E_clISt17integral_constantIbLb1EEST_IbLb0EEEEDaSP_SQ_EUlSP_E0_NS1_11comp_targetILNS1_3genE10ELNS1_11target_archE1201ELNS1_3gpuE5ELNS1_3repE0EEENS1_30default_config_static_selectorELNS0_4arch9wavefront6targetE1EEEvT1_,"axG",@progbits,_ZN7rocprim17ROCPRIM_400000_NS6detail17trampoline_kernelINS0_14default_configENS1_20scan_config_selectorIsEEZZNS1_9scan_implILNS1_25lookback_scan_determinismE0ELb0ELb1ES3_N6thrust23THRUST_200600_302600_NS6detail15normal_iteratorINS9_10device_ptrIsEEEESE_sNS9_10multipliesIsEEsEEDaPvRmT3_T4_T5_mT6_P12ihipStream_tbENKUlT_T0_E_clISt17integral_constantIbLb1EEST_IbLb0EEEEDaSP_SQ_EUlSP_E0_NS1_11comp_targetILNS1_3genE10ELNS1_11target_archE1201ELNS1_3gpuE5ELNS1_3repE0EEENS1_30default_config_static_selectorELNS0_4arch9wavefront6targetE1EEEvT1_,comdat
	.protected	_ZN7rocprim17ROCPRIM_400000_NS6detail17trampoline_kernelINS0_14default_configENS1_20scan_config_selectorIsEEZZNS1_9scan_implILNS1_25lookback_scan_determinismE0ELb0ELb1ES3_N6thrust23THRUST_200600_302600_NS6detail15normal_iteratorINS9_10device_ptrIsEEEESE_sNS9_10multipliesIsEEsEEDaPvRmT3_T4_T5_mT6_P12ihipStream_tbENKUlT_T0_E_clISt17integral_constantIbLb1EEST_IbLb0EEEEDaSP_SQ_EUlSP_E0_NS1_11comp_targetILNS1_3genE10ELNS1_11target_archE1201ELNS1_3gpuE5ELNS1_3repE0EEENS1_30default_config_static_selectorELNS0_4arch9wavefront6targetE1EEEvT1_ ; -- Begin function _ZN7rocprim17ROCPRIM_400000_NS6detail17trampoline_kernelINS0_14default_configENS1_20scan_config_selectorIsEEZZNS1_9scan_implILNS1_25lookback_scan_determinismE0ELb0ELb1ES3_N6thrust23THRUST_200600_302600_NS6detail15normal_iteratorINS9_10device_ptrIsEEEESE_sNS9_10multipliesIsEEsEEDaPvRmT3_T4_T5_mT6_P12ihipStream_tbENKUlT_T0_E_clISt17integral_constantIbLb1EEST_IbLb0EEEEDaSP_SQ_EUlSP_E0_NS1_11comp_targetILNS1_3genE10ELNS1_11target_archE1201ELNS1_3gpuE5ELNS1_3repE0EEENS1_30default_config_static_selectorELNS0_4arch9wavefront6targetE1EEEvT1_
	.globl	_ZN7rocprim17ROCPRIM_400000_NS6detail17trampoline_kernelINS0_14default_configENS1_20scan_config_selectorIsEEZZNS1_9scan_implILNS1_25lookback_scan_determinismE0ELb0ELb1ES3_N6thrust23THRUST_200600_302600_NS6detail15normal_iteratorINS9_10device_ptrIsEEEESE_sNS9_10multipliesIsEEsEEDaPvRmT3_T4_T5_mT6_P12ihipStream_tbENKUlT_T0_E_clISt17integral_constantIbLb1EEST_IbLb0EEEEDaSP_SQ_EUlSP_E0_NS1_11comp_targetILNS1_3genE10ELNS1_11target_archE1201ELNS1_3gpuE5ELNS1_3repE0EEENS1_30default_config_static_selectorELNS0_4arch9wavefront6targetE1EEEvT1_
	.p2align	8
	.type	_ZN7rocprim17ROCPRIM_400000_NS6detail17trampoline_kernelINS0_14default_configENS1_20scan_config_selectorIsEEZZNS1_9scan_implILNS1_25lookback_scan_determinismE0ELb0ELb1ES3_N6thrust23THRUST_200600_302600_NS6detail15normal_iteratorINS9_10device_ptrIsEEEESE_sNS9_10multipliesIsEEsEEDaPvRmT3_T4_T5_mT6_P12ihipStream_tbENKUlT_T0_E_clISt17integral_constantIbLb1EEST_IbLb0EEEEDaSP_SQ_EUlSP_E0_NS1_11comp_targetILNS1_3genE10ELNS1_11target_archE1201ELNS1_3gpuE5ELNS1_3repE0EEENS1_30default_config_static_selectorELNS0_4arch9wavefront6targetE1EEEvT1_,@function
_ZN7rocprim17ROCPRIM_400000_NS6detail17trampoline_kernelINS0_14default_configENS1_20scan_config_selectorIsEEZZNS1_9scan_implILNS1_25lookback_scan_determinismE0ELb0ELb1ES3_N6thrust23THRUST_200600_302600_NS6detail15normal_iteratorINS9_10device_ptrIsEEEESE_sNS9_10multipliesIsEEsEEDaPvRmT3_T4_T5_mT6_P12ihipStream_tbENKUlT_T0_E_clISt17integral_constantIbLb1EEST_IbLb0EEEEDaSP_SQ_EUlSP_E0_NS1_11comp_targetILNS1_3genE10ELNS1_11target_archE1201ELNS1_3gpuE5ELNS1_3repE0EEENS1_30default_config_static_selectorELNS0_4arch9wavefront6targetE1EEEvT1_: ; @_ZN7rocprim17ROCPRIM_400000_NS6detail17trampoline_kernelINS0_14default_configENS1_20scan_config_selectorIsEEZZNS1_9scan_implILNS1_25lookback_scan_determinismE0ELb0ELb1ES3_N6thrust23THRUST_200600_302600_NS6detail15normal_iteratorINS9_10device_ptrIsEEEESE_sNS9_10multipliesIsEEsEEDaPvRmT3_T4_T5_mT6_P12ihipStream_tbENKUlT_T0_E_clISt17integral_constantIbLb1EEST_IbLb0EEEEDaSP_SQ_EUlSP_E0_NS1_11comp_targetILNS1_3genE10ELNS1_11target_archE1201ELNS1_3gpuE5ELNS1_3repE0EEENS1_30default_config_static_selectorELNS0_4arch9wavefront6targetE1EEEvT1_
; %bb.0:
	.section	.rodata,"a",@progbits
	.p2align	6, 0x0
	.amdhsa_kernel _ZN7rocprim17ROCPRIM_400000_NS6detail17trampoline_kernelINS0_14default_configENS1_20scan_config_selectorIsEEZZNS1_9scan_implILNS1_25lookback_scan_determinismE0ELb0ELb1ES3_N6thrust23THRUST_200600_302600_NS6detail15normal_iteratorINS9_10device_ptrIsEEEESE_sNS9_10multipliesIsEEsEEDaPvRmT3_T4_T5_mT6_P12ihipStream_tbENKUlT_T0_E_clISt17integral_constantIbLb1EEST_IbLb0EEEEDaSP_SQ_EUlSP_E0_NS1_11comp_targetILNS1_3genE10ELNS1_11target_archE1201ELNS1_3gpuE5ELNS1_3repE0EEENS1_30default_config_static_selectorELNS0_4arch9wavefront6targetE1EEEvT1_
		.amdhsa_group_segment_fixed_size 0
		.amdhsa_private_segment_fixed_size 0
		.amdhsa_kernarg_size 32
		.amdhsa_user_sgpr_count 6
		.amdhsa_user_sgpr_private_segment_buffer 1
		.amdhsa_user_sgpr_dispatch_ptr 0
		.amdhsa_user_sgpr_queue_ptr 0
		.amdhsa_user_sgpr_kernarg_segment_ptr 1
		.amdhsa_user_sgpr_dispatch_id 0
		.amdhsa_user_sgpr_flat_scratch_init 0
		.amdhsa_user_sgpr_kernarg_preload_length 0
		.amdhsa_user_sgpr_kernarg_preload_offset 0
		.amdhsa_user_sgpr_private_segment_size 0
		.amdhsa_uses_dynamic_stack 0
		.amdhsa_system_sgpr_private_segment_wavefront_offset 0
		.amdhsa_system_sgpr_workgroup_id_x 1
		.amdhsa_system_sgpr_workgroup_id_y 0
		.amdhsa_system_sgpr_workgroup_id_z 0
		.amdhsa_system_sgpr_workgroup_info 0
		.amdhsa_system_vgpr_workitem_id 0
		.amdhsa_next_free_vgpr 1
		.amdhsa_next_free_sgpr 0
		.amdhsa_accum_offset 4
		.amdhsa_reserve_vcc 0
		.amdhsa_reserve_flat_scratch 0
		.amdhsa_float_round_mode_32 0
		.amdhsa_float_round_mode_16_64 0
		.amdhsa_float_denorm_mode_32 3
		.amdhsa_float_denorm_mode_16_64 3
		.amdhsa_dx10_clamp 1
		.amdhsa_ieee_mode 1
		.amdhsa_fp16_overflow 0
		.amdhsa_tg_split 0
		.amdhsa_exception_fp_ieee_invalid_op 0
		.amdhsa_exception_fp_denorm_src 0
		.amdhsa_exception_fp_ieee_div_zero 0
		.amdhsa_exception_fp_ieee_overflow 0
		.amdhsa_exception_fp_ieee_underflow 0
		.amdhsa_exception_fp_ieee_inexact 0
		.amdhsa_exception_int_div_zero 0
	.end_amdhsa_kernel
	.section	.text._ZN7rocprim17ROCPRIM_400000_NS6detail17trampoline_kernelINS0_14default_configENS1_20scan_config_selectorIsEEZZNS1_9scan_implILNS1_25lookback_scan_determinismE0ELb0ELb1ES3_N6thrust23THRUST_200600_302600_NS6detail15normal_iteratorINS9_10device_ptrIsEEEESE_sNS9_10multipliesIsEEsEEDaPvRmT3_T4_T5_mT6_P12ihipStream_tbENKUlT_T0_E_clISt17integral_constantIbLb1EEST_IbLb0EEEEDaSP_SQ_EUlSP_E0_NS1_11comp_targetILNS1_3genE10ELNS1_11target_archE1201ELNS1_3gpuE5ELNS1_3repE0EEENS1_30default_config_static_selectorELNS0_4arch9wavefront6targetE1EEEvT1_,"axG",@progbits,_ZN7rocprim17ROCPRIM_400000_NS6detail17trampoline_kernelINS0_14default_configENS1_20scan_config_selectorIsEEZZNS1_9scan_implILNS1_25lookback_scan_determinismE0ELb0ELb1ES3_N6thrust23THRUST_200600_302600_NS6detail15normal_iteratorINS9_10device_ptrIsEEEESE_sNS9_10multipliesIsEEsEEDaPvRmT3_T4_T5_mT6_P12ihipStream_tbENKUlT_T0_E_clISt17integral_constantIbLb1EEST_IbLb0EEEEDaSP_SQ_EUlSP_E0_NS1_11comp_targetILNS1_3genE10ELNS1_11target_archE1201ELNS1_3gpuE5ELNS1_3repE0EEENS1_30default_config_static_selectorELNS0_4arch9wavefront6targetE1EEEvT1_,comdat
.Lfunc_end1173:
	.size	_ZN7rocprim17ROCPRIM_400000_NS6detail17trampoline_kernelINS0_14default_configENS1_20scan_config_selectorIsEEZZNS1_9scan_implILNS1_25lookback_scan_determinismE0ELb0ELb1ES3_N6thrust23THRUST_200600_302600_NS6detail15normal_iteratorINS9_10device_ptrIsEEEESE_sNS9_10multipliesIsEEsEEDaPvRmT3_T4_T5_mT6_P12ihipStream_tbENKUlT_T0_E_clISt17integral_constantIbLb1EEST_IbLb0EEEEDaSP_SQ_EUlSP_E0_NS1_11comp_targetILNS1_3genE10ELNS1_11target_archE1201ELNS1_3gpuE5ELNS1_3repE0EEENS1_30default_config_static_selectorELNS0_4arch9wavefront6targetE1EEEvT1_, .Lfunc_end1173-_ZN7rocprim17ROCPRIM_400000_NS6detail17trampoline_kernelINS0_14default_configENS1_20scan_config_selectorIsEEZZNS1_9scan_implILNS1_25lookback_scan_determinismE0ELb0ELb1ES3_N6thrust23THRUST_200600_302600_NS6detail15normal_iteratorINS9_10device_ptrIsEEEESE_sNS9_10multipliesIsEEsEEDaPvRmT3_T4_T5_mT6_P12ihipStream_tbENKUlT_T0_E_clISt17integral_constantIbLb1EEST_IbLb0EEEEDaSP_SQ_EUlSP_E0_NS1_11comp_targetILNS1_3genE10ELNS1_11target_archE1201ELNS1_3gpuE5ELNS1_3repE0EEENS1_30default_config_static_selectorELNS0_4arch9wavefront6targetE1EEEvT1_
                                        ; -- End function
	.section	.AMDGPU.csdata,"",@progbits
; Kernel info:
; codeLenInByte = 0
; NumSgprs: 4
; NumVgprs: 0
; NumAgprs: 0
; TotalNumVgprs: 0
; ScratchSize: 0
; MemoryBound: 0
; FloatMode: 240
; IeeeMode: 1
; LDSByteSize: 0 bytes/workgroup (compile time only)
; SGPRBlocks: 0
; VGPRBlocks: 0
; NumSGPRsForWavesPerEU: 4
; NumVGPRsForWavesPerEU: 1
; AccumOffset: 4
; Occupancy: 8
; WaveLimiterHint : 0
; COMPUTE_PGM_RSRC2:SCRATCH_EN: 0
; COMPUTE_PGM_RSRC2:USER_SGPR: 6
; COMPUTE_PGM_RSRC2:TRAP_HANDLER: 0
; COMPUTE_PGM_RSRC2:TGID_X_EN: 1
; COMPUTE_PGM_RSRC2:TGID_Y_EN: 0
; COMPUTE_PGM_RSRC2:TGID_Z_EN: 0
; COMPUTE_PGM_RSRC2:TIDIG_COMP_CNT: 0
; COMPUTE_PGM_RSRC3_GFX90A:ACCUM_OFFSET: 0
; COMPUTE_PGM_RSRC3_GFX90A:TG_SPLIT: 0
	.section	.text._ZN7rocprim17ROCPRIM_400000_NS6detail17trampoline_kernelINS0_14default_configENS1_20scan_config_selectorIsEEZZNS1_9scan_implILNS1_25lookback_scan_determinismE0ELb0ELb1ES3_N6thrust23THRUST_200600_302600_NS6detail15normal_iteratorINS9_10device_ptrIsEEEESE_sNS9_10multipliesIsEEsEEDaPvRmT3_T4_T5_mT6_P12ihipStream_tbENKUlT_T0_E_clISt17integral_constantIbLb1EEST_IbLb0EEEEDaSP_SQ_EUlSP_E0_NS1_11comp_targetILNS1_3genE10ELNS1_11target_archE1200ELNS1_3gpuE4ELNS1_3repE0EEENS1_30default_config_static_selectorELNS0_4arch9wavefront6targetE1EEEvT1_,"axG",@progbits,_ZN7rocprim17ROCPRIM_400000_NS6detail17trampoline_kernelINS0_14default_configENS1_20scan_config_selectorIsEEZZNS1_9scan_implILNS1_25lookback_scan_determinismE0ELb0ELb1ES3_N6thrust23THRUST_200600_302600_NS6detail15normal_iteratorINS9_10device_ptrIsEEEESE_sNS9_10multipliesIsEEsEEDaPvRmT3_T4_T5_mT6_P12ihipStream_tbENKUlT_T0_E_clISt17integral_constantIbLb1EEST_IbLb0EEEEDaSP_SQ_EUlSP_E0_NS1_11comp_targetILNS1_3genE10ELNS1_11target_archE1200ELNS1_3gpuE4ELNS1_3repE0EEENS1_30default_config_static_selectorELNS0_4arch9wavefront6targetE1EEEvT1_,comdat
	.protected	_ZN7rocprim17ROCPRIM_400000_NS6detail17trampoline_kernelINS0_14default_configENS1_20scan_config_selectorIsEEZZNS1_9scan_implILNS1_25lookback_scan_determinismE0ELb0ELb1ES3_N6thrust23THRUST_200600_302600_NS6detail15normal_iteratorINS9_10device_ptrIsEEEESE_sNS9_10multipliesIsEEsEEDaPvRmT3_T4_T5_mT6_P12ihipStream_tbENKUlT_T0_E_clISt17integral_constantIbLb1EEST_IbLb0EEEEDaSP_SQ_EUlSP_E0_NS1_11comp_targetILNS1_3genE10ELNS1_11target_archE1200ELNS1_3gpuE4ELNS1_3repE0EEENS1_30default_config_static_selectorELNS0_4arch9wavefront6targetE1EEEvT1_ ; -- Begin function _ZN7rocprim17ROCPRIM_400000_NS6detail17trampoline_kernelINS0_14default_configENS1_20scan_config_selectorIsEEZZNS1_9scan_implILNS1_25lookback_scan_determinismE0ELb0ELb1ES3_N6thrust23THRUST_200600_302600_NS6detail15normal_iteratorINS9_10device_ptrIsEEEESE_sNS9_10multipliesIsEEsEEDaPvRmT3_T4_T5_mT6_P12ihipStream_tbENKUlT_T0_E_clISt17integral_constantIbLb1EEST_IbLb0EEEEDaSP_SQ_EUlSP_E0_NS1_11comp_targetILNS1_3genE10ELNS1_11target_archE1200ELNS1_3gpuE4ELNS1_3repE0EEENS1_30default_config_static_selectorELNS0_4arch9wavefront6targetE1EEEvT1_
	.globl	_ZN7rocprim17ROCPRIM_400000_NS6detail17trampoline_kernelINS0_14default_configENS1_20scan_config_selectorIsEEZZNS1_9scan_implILNS1_25lookback_scan_determinismE0ELb0ELb1ES3_N6thrust23THRUST_200600_302600_NS6detail15normal_iteratorINS9_10device_ptrIsEEEESE_sNS9_10multipliesIsEEsEEDaPvRmT3_T4_T5_mT6_P12ihipStream_tbENKUlT_T0_E_clISt17integral_constantIbLb1EEST_IbLb0EEEEDaSP_SQ_EUlSP_E0_NS1_11comp_targetILNS1_3genE10ELNS1_11target_archE1200ELNS1_3gpuE4ELNS1_3repE0EEENS1_30default_config_static_selectorELNS0_4arch9wavefront6targetE1EEEvT1_
	.p2align	8
	.type	_ZN7rocprim17ROCPRIM_400000_NS6detail17trampoline_kernelINS0_14default_configENS1_20scan_config_selectorIsEEZZNS1_9scan_implILNS1_25lookback_scan_determinismE0ELb0ELb1ES3_N6thrust23THRUST_200600_302600_NS6detail15normal_iteratorINS9_10device_ptrIsEEEESE_sNS9_10multipliesIsEEsEEDaPvRmT3_T4_T5_mT6_P12ihipStream_tbENKUlT_T0_E_clISt17integral_constantIbLb1EEST_IbLb0EEEEDaSP_SQ_EUlSP_E0_NS1_11comp_targetILNS1_3genE10ELNS1_11target_archE1200ELNS1_3gpuE4ELNS1_3repE0EEENS1_30default_config_static_selectorELNS0_4arch9wavefront6targetE1EEEvT1_,@function
_ZN7rocprim17ROCPRIM_400000_NS6detail17trampoline_kernelINS0_14default_configENS1_20scan_config_selectorIsEEZZNS1_9scan_implILNS1_25lookback_scan_determinismE0ELb0ELb1ES3_N6thrust23THRUST_200600_302600_NS6detail15normal_iteratorINS9_10device_ptrIsEEEESE_sNS9_10multipliesIsEEsEEDaPvRmT3_T4_T5_mT6_P12ihipStream_tbENKUlT_T0_E_clISt17integral_constantIbLb1EEST_IbLb0EEEEDaSP_SQ_EUlSP_E0_NS1_11comp_targetILNS1_3genE10ELNS1_11target_archE1200ELNS1_3gpuE4ELNS1_3repE0EEENS1_30default_config_static_selectorELNS0_4arch9wavefront6targetE1EEEvT1_: ; @_ZN7rocprim17ROCPRIM_400000_NS6detail17trampoline_kernelINS0_14default_configENS1_20scan_config_selectorIsEEZZNS1_9scan_implILNS1_25lookback_scan_determinismE0ELb0ELb1ES3_N6thrust23THRUST_200600_302600_NS6detail15normal_iteratorINS9_10device_ptrIsEEEESE_sNS9_10multipliesIsEEsEEDaPvRmT3_T4_T5_mT6_P12ihipStream_tbENKUlT_T0_E_clISt17integral_constantIbLb1EEST_IbLb0EEEEDaSP_SQ_EUlSP_E0_NS1_11comp_targetILNS1_3genE10ELNS1_11target_archE1200ELNS1_3gpuE4ELNS1_3repE0EEENS1_30default_config_static_selectorELNS0_4arch9wavefront6targetE1EEEvT1_
; %bb.0:
	.section	.rodata,"a",@progbits
	.p2align	6, 0x0
	.amdhsa_kernel _ZN7rocprim17ROCPRIM_400000_NS6detail17trampoline_kernelINS0_14default_configENS1_20scan_config_selectorIsEEZZNS1_9scan_implILNS1_25lookback_scan_determinismE0ELb0ELb1ES3_N6thrust23THRUST_200600_302600_NS6detail15normal_iteratorINS9_10device_ptrIsEEEESE_sNS9_10multipliesIsEEsEEDaPvRmT3_T4_T5_mT6_P12ihipStream_tbENKUlT_T0_E_clISt17integral_constantIbLb1EEST_IbLb0EEEEDaSP_SQ_EUlSP_E0_NS1_11comp_targetILNS1_3genE10ELNS1_11target_archE1200ELNS1_3gpuE4ELNS1_3repE0EEENS1_30default_config_static_selectorELNS0_4arch9wavefront6targetE1EEEvT1_
		.amdhsa_group_segment_fixed_size 0
		.amdhsa_private_segment_fixed_size 0
		.amdhsa_kernarg_size 32
		.amdhsa_user_sgpr_count 6
		.amdhsa_user_sgpr_private_segment_buffer 1
		.amdhsa_user_sgpr_dispatch_ptr 0
		.amdhsa_user_sgpr_queue_ptr 0
		.amdhsa_user_sgpr_kernarg_segment_ptr 1
		.amdhsa_user_sgpr_dispatch_id 0
		.amdhsa_user_sgpr_flat_scratch_init 0
		.amdhsa_user_sgpr_kernarg_preload_length 0
		.amdhsa_user_sgpr_kernarg_preload_offset 0
		.amdhsa_user_sgpr_private_segment_size 0
		.amdhsa_uses_dynamic_stack 0
		.amdhsa_system_sgpr_private_segment_wavefront_offset 0
		.amdhsa_system_sgpr_workgroup_id_x 1
		.amdhsa_system_sgpr_workgroup_id_y 0
		.amdhsa_system_sgpr_workgroup_id_z 0
		.amdhsa_system_sgpr_workgroup_info 0
		.amdhsa_system_vgpr_workitem_id 0
		.amdhsa_next_free_vgpr 1
		.amdhsa_next_free_sgpr 0
		.amdhsa_accum_offset 4
		.amdhsa_reserve_vcc 0
		.amdhsa_reserve_flat_scratch 0
		.amdhsa_float_round_mode_32 0
		.amdhsa_float_round_mode_16_64 0
		.amdhsa_float_denorm_mode_32 3
		.amdhsa_float_denorm_mode_16_64 3
		.amdhsa_dx10_clamp 1
		.amdhsa_ieee_mode 1
		.amdhsa_fp16_overflow 0
		.amdhsa_tg_split 0
		.amdhsa_exception_fp_ieee_invalid_op 0
		.amdhsa_exception_fp_denorm_src 0
		.amdhsa_exception_fp_ieee_div_zero 0
		.amdhsa_exception_fp_ieee_overflow 0
		.amdhsa_exception_fp_ieee_underflow 0
		.amdhsa_exception_fp_ieee_inexact 0
		.amdhsa_exception_int_div_zero 0
	.end_amdhsa_kernel
	.section	.text._ZN7rocprim17ROCPRIM_400000_NS6detail17trampoline_kernelINS0_14default_configENS1_20scan_config_selectorIsEEZZNS1_9scan_implILNS1_25lookback_scan_determinismE0ELb0ELb1ES3_N6thrust23THRUST_200600_302600_NS6detail15normal_iteratorINS9_10device_ptrIsEEEESE_sNS9_10multipliesIsEEsEEDaPvRmT3_T4_T5_mT6_P12ihipStream_tbENKUlT_T0_E_clISt17integral_constantIbLb1EEST_IbLb0EEEEDaSP_SQ_EUlSP_E0_NS1_11comp_targetILNS1_3genE10ELNS1_11target_archE1200ELNS1_3gpuE4ELNS1_3repE0EEENS1_30default_config_static_selectorELNS0_4arch9wavefront6targetE1EEEvT1_,"axG",@progbits,_ZN7rocprim17ROCPRIM_400000_NS6detail17trampoline_kernelINS0_14default_configENS1_20scan_config_selectorIsEEZZNS1_9scan_implILNS1_25lookback_scan_determinismE0ELb0ELb1ES3_N6thrust23THRUST_200600_302600_NS6detail15normal_iteratorINS9_10device_ptrIsEEEESE_sNS9_10multipliesIsEEsEEDaPvRmT3_T4_T5_mT6_P12ihipStream_tbENKUlT_T0_E_clISt17integral_constantIbLb1EEST_IbLb0EEEEDaSP_SQ_EUlSP_E0_NS1_11comp_targetILNS1_3genE10ELNS1_11target_archE1200ELNS1_3gpuE4ELNS1_3repE0EEENS1_30default_config_static_selectorELNS0_4arch9wavefront6targetE1EEEvT1_,comdat
.Lfunc_end1174:
	.size	_ZN7rocprim17ROCPRIM_400000_NS6detail17trampoline_kernelINS0_14default_configENS1_20scan_config_selectorIsEEZZNS1_9scan_implILNS1_25lookback_scan_determinismE0ELb0ELb1ES3_N6thrust23THRUST_200600_302600_NS6detail15normal_iteratorINS9_10device_ptrIsEEEESE_sNS9_10multipliesIsEEsEEDaPvRmT3_T4_T5_mT6_P12ihipStream_tbENKUlT_T0_E_clISt17integral_constantIbLb1EEST_IbLb0EEEEDaSP_SQ_EUlSP_E0_NS1_11comp_targetILNS1_3genE10ELNS1_11target_archE1200ELNS1_3gpuE4ELNS1_3repE0EEENS1_30default_config_static_selectorELNS0_4arch9wavefront6targetE1EEEvT1_, .Lfunc_end1174-_ZN7rocprim17ROCPRIM_400000_NS6detail17trampoline_kernelINS0_14default_configENS1_20scan_config_selectorIsEEZZNS1_9scan_implILNS1_25lookback_scan_determinismE0ELb0ELb1ES3_N6thrust23THRUST_200600_302600_NS6detail15normal_iteratorINS9_10device_ptrIsEEEESE_sNS9_10multipliesIsEEsEEDaPvRmT3_T4_T5_mT6_P12ihipStream_tbENKUlT_T0_E_clISt17integral_constantIbLb1EEST_IbLb0EEEEDaSP_SQ_EUlSP_E0_NS1_11comp_targetILNS1_3genE10ELNS1_11target_archE1200ELNS1_3gpuE4ELNS1_3repE0EEENS1_30default_config_static_selectorELNS0_4arch9wavefront6targetE1EEEvT1_
                                        ; -- End function
	.section	.AMDGPU.csdata,"",@progbits
; Kernel info:
; codeLenInByte = 0
; NumSgprs: 4
; NumVgprs: 0
; NumAgprs: 0
; TotalNumVgprs: 0
; ScratchSize: 0
; MemoryBound: 0
; FloatMode: 240
; IeeeMode: 1
; LDSByteSize: 0 bytes/workgroup (compile time only)
; SGPRBlocks: 0
; VGPRBlocks: 0
; NumSGPRsForWavesPerEU: 4
; NumVGPRsForWavesPerEU: 1
; AccumOffset: 4
; Occupancy: 8
; WaveLimiterHint : 0
; COMPUTE_PGM_RSRC2:SCRATCH_EN: 0
; COMPUTE_PGM_RSRC2:USER_SGPR: 6
; COMPUTE_PGM_RSRC2:TRAP_HANDLER: 0
; COMPUTE_PGM_RSRC2:TGID_X_EN: 1
; COMPUTE_PGM_RSRC2:TGID_Y_EN: 0
; COMPUTE_PGM_RSRC2:TGID_Z_EN: 0
; COMPUTE_PGM_RSRC2:TIDIG_COMP_CNT: 0
; COMPUTE_PGM_RSRC3_GFX90A:ACCUM_OFFSET: 0
; COMPUTE_PGM_RSRC3_GFX90A:TG_SPLIT: 0
	.section	.text._ZN7rocprim17ROCPRIM_400000_NS6detail17trampoline_kernelINS0_14default_configENS1_20scan_config_selectorIsEEZZNS1_9scan_implILNS1_25lookback_scan_determinismE0ELb0ELb1ES3_N6thrust23THRUST_200600_302600_NS6detail15normal_iteratorINS9_10device_ptrIsEEEESE_sNS9_10multipliesIsEEsEEDaPvRmT3_T4_T5_mT6_P12ihipStream_tbENKUlT_T0_E_clISt17integral_constantIbLb1EEST_IbLb0EEEEDaSP_SQ_EUlSP_E0_NS1_11comp_targetILNS1_3genE9ELNS1_11target_archE1100ELNS1_3gpuE3ELNS1_3repE0EEENS1_30default_config_static_selectorELNS0_4arch9wavefront6targetE1EEEvT1_,"axG",@progbits,_ZN7rocprim17ROCPRIM_400000_NS6detail17trampoline_kernelINS0_14default_configENS1_20scan_config_selectorIsEEZZNS1_9scan_implILNS1_25lookback_scan_determinismE0ELb0ELb1ES3_N6thrust23THRUST_200600_302600_NS6detail15normal_iteratorINS9_10device_ptrIsEEEESE_sNS9_10multipliesIsEEsEEDaPvRmT3_T4_T5_mT6_P12ihipStream_tbENKUlT_T0_E_clISt17integral_constantIbLb1EEST_IbLb0EEEEDaSP_SQ_EUlSP_E0_NS1_11comp_targetILNS1_3genE9ELNS1_11target_archE1100ELNS1_3gpuE3ELNS1_3repE0EEENS1_30default_config_static_selectorELNS0_4arch9wavefront6targetE1EEEvT1_,comdat
	.protected	_ZN7rocprim17ROCPRIM_400000_NS6detail17trampoline_kernelINS0_14default_configENS1_20scan_config_selectorIsEEZZNS1_9scan_implILNS1_25lookback_scan_determinismE0ELb0ELb1ES3_N6thrust23THRUST_200600_302600_NS6detail15normal_iteratorINS9_10device_ptrIsEEEESE_sNS9_10multipliesIsEEsEEDaPvRmT3_T4_T5_mT6_P12ihipStream_tbENKUlT_T0_E_clISt17integral_constantIbLb1EEST_IbLb0EEEEDaSP_SQ_EUlSP_E0_NS1_11comp_targetILNS1_3genE9ELNS1_11target_archE1100ELNS1_3gpuE3ELNS1_3repE0EEENS1_30default_config_static_selectorELNS0_4arch9wavefront6targetE1EEEvT1_ ; -- Begin function _ZN7rocprim17ROCPRIM_400000_NS6detail17trampoline_kernelINS0_14default_configENS1_20scan_config_selectorIsEEZZNS1_9scan_implILNS1_25lookback_scan_determinismE0ELb0ELb1ES3_N6thrust23THRUST_200600_302600_NS6detail15normal_iteratorINS9_10device_ptrIsEEEESE_sNS9_10multipliesIsEEsEEDaPvRmT3_T4_T5_mT6_P12ihipStream_tbENKUlT_T0_E_clISt17integral_constantIbLb1EEST_IbLb0EEEEDaSP_SQ_EUlSP_E0_NS1_11comp_targetILNS1_3genE9ELNS1_11target_archE1100ELNS1_3gpuE3ELNS1_3repE0EEENS1_30default_config_static_selectorELNS0_4arch9wavefront6targetE1EEEvT1_
	.globl	_ZN7rocprim17ROCPRIM_400000_NS6detail17trampoline_kernelINS0_14default_configENS1_20scan_config_selectorIsEEZZNS1_9scan_implILNS1_25lookback_scan_determinismE0ELb0ELb1ES3_N6thrust23THRUST_200600_302600_NS6detail15normal_iteratorINS9_10device_ptrIsEEEESE_sNS9_10multipliesIsEEsEEDaPvRmT3_T4_T5_mT6_P12ihipStream_tbENKUlT_T0_E_clISt17integral_constantIbLb1EEST_IbLb0EEEEDaSP_SQ_EUlSP_E0_NS1_11comp_targetILNS1_3genE9ELNS1_11target_archE1100ELNS1_3gpuE3ELNS1_3repE0EEENS1_30default_config_static_selectorELNS0_4arch9wavefront6targetE1EEEvT1_
	.p2align	8
	.type	_ZN7rocprim17ROCPRIM_400000_NS6detail17trampoline_kernelINS0_14default_configENS1_20scan_config_selectorIsEEZZNS1_9scan_implILNS1_25lookback_scan_determinismE0ELb0ELb1ES3_N6thrust23THRUST_200600_302600_NS6detail15normal_iteratorINS9_10device_ptrIsEEEESE_sNS9_10multipliesIsEEsEEDaPvRmT3_T4_T5_mT6_P12ihipStream_tbENKUlT_T0_E_clISt17integral_constantIbLb1EEST_IbLb0EEEEDaSP_SQ_EUlSP_E0_NS1_11comp_targetILNS1_3genE9ELNS1_11target_archE1100ELNS1_3gpuE3ELNS1_3repE0EEENS1_30default_config_static_selectorELNS0_4arch9wavefront6targetE1EEEvT1_,@function
_ZN7rocprim17ROCPRIM_400000_NS6detail17trampoline_kernelINS0_14default_configENS1_20scan_config_selectorIsEEZZNS1_9scan_implILNS1_25lookback_scan_determinismE0ELb0ELb1ES3_N6thrust23THRUST_200600_302600_NS6detail15normal_iteratorINS9_10device_ptrIsEEEESE_sNS9_10multipliesIsEEsEEDaPvRmT3_T4_T5_mT6_P12ihipStream_tbENKUlT_T0_E_clISt17integral_constantIbLb1EEST_IbLb0EEEEDaSP_SQ_EUlSP_E0_NS1_11comp_targetILNS1_3genE9ELNS1_11target_archE1100ELNS1_3gpuE3ELNS1_3repE0EEENS1_30default_config_static_selectorELNS0_4arch9wavefront6targetE1EEEvT1_: ; @_ZN7rocprim17ROCPRIM_400000_NS6detail17trampoline_kernelINS0_14default_configENS1_20scan_config_selectorIsEEZZNS1_9scan_implILNS1_25lookback_scan_determinismE0ELb0ELb1ES3_N6thrust23THRUST_200600_302600_NS6detail15normal_iteratorINS9_10device_ptrIsEEEESE_sNS9_10multipliesIsEEsEEDaPvRmT3_T4_T5_mT6_P12ihipStream_tbENKUlT_T0_E_clISt17integral_constantIbLb1EEST_IbLb0EEEEDaSP_SQ_EUlSP_E0_NS1_11comp_targetILNS1_3genE9ELNS1_11target_archE1100ELNS1_3gpuE3ELNS1_3repE0EEENS1_30default_config_static_selectorELNS0_4arch9wavefront6targetE1EEEvT1_
; %bb.0:
	.section	.rodata,"a",@progbits
	.p2align	6, 0x0
	.amdhsa_kernel _ZN7rocprim17ROCPRIM_400000_NS6detail17trampoline_kernelINS0_14default_configENS1_20scan_config_selectorIsEEZZNS1_9scan_implILNS1_25lookback_scan_determinismE0ELb0ELb1ES3_N6thrust23THRUST_200600_302600_NS6detail15normal_iteratorINS9_10device_ptrIsEEEESE_sNS9_10multipliesIsEEsEEDaPvRmT3_T4_T5_mT6_P12ihipStream_tbENKUlT_T0_E_clISt17integral_constantIbLb1EEST_IbLb0EEEEDaSP_SQ_EUlSP_E0_NS1_11comp_targetILNS1_3genE9ELNS1_11target_archE1100ELNS1_3gpuE3ELNS1_3repE0EEENS1_30default_config_static_selectorELNS0_4arch9wavefront6targetE1EEEvT1_
		.amdhsa_group_segment_fixed_size 0
		.amdhsa_private_segment_fixed_size 0
		.amdhsa_kernarg_size 32
		.amdhsa_user_sgpr_count 6
		.amdhsa_user_sgpr_private_segment_buffer 1
		.amdhsa_user_sgpr_dispatch_ptr 0
		.amdhsa_user_sgpr_queue_ptr 0
		.amdhsa_user_sgpr_kernarg_segment_ptr 1
		.amdhsa_user_sgpr_dispatch_id 0
		.amdhsa_user_sgpr_flat_scratch_init 0
		.amdhsa_user_sgpr_kernarg_preload_length 0
		.amdhsa_user_sgpr_kernarg_preload_offset 0
		.amdhsa_user_sgpr_private_segment_size 0
		.amdhsa_uses_dynamic_stack 0
		.amdhsa_system_sgpr_private_segment_wavefront_offset 0
		.amdhsa_system_sgpr_workgroup_id_x 1
		.amdhsa_system_sgpr_workgroup_id_y 0
		.amdhsa_system_sgpr_workgroup_id_z 0
		.amdhsa_system_sgpr_workgroup_info 0
		.amdhsa_system_vgpr_workitem_id 0
		.amdhsa_next_free_vgpr 1
		.amdhsa_next_free_sgpr 0
		.amdhsa_accum_offset 4
		.amdhsa_reserve_vcc 0
		.amdhsa_reserve_flat_scratch 0
		.amdhsa_float_round_mode_32 0
		.amdhsa_float_round_mode_16_64 0
		.amdhsa_float_denorm_mode_32 3
		.amdhsa_float_denorm_mode_16_64 3
		.amdhsa_dx10_clamp 1
		.amdhsa_ieee_mode 1
		.amdhsa_fp16_overflow 0
		.amdhsa_tg_split 0
		.amdhsa_exception_fp_ieee_invalid_op 0
		.amdhsa_exception_fp_denorm_src 0
		.amdhsa_exception_fp_ieee_div_zero 0
		.amdhsa_exception_fp_ieee_overflow 0
		.amdhsa_exception_fp_ieee_underflow 0
		.amdhsa_exception_fp_ieee_inexact 0
		.amdhsa_exception_int_div_zero 0
	.end_amdhsa_kernel
	.section	.text._ZN7rocprim17ROCPRIM_400000_NS6detail17trampoline_kernelINS0_14default_configENS1_20scan_config_selectorIsEEZZNS1_9scan_implILNS1_25lookback_scan_determinismE0ELb0ELb1ES3_N6thrust23THRUST_200600_302600_NS6detail15normal_iteratorINS9_10device_ptrIsEEEESE_sNS9_10multipliesIsEEsEEDaPvRmT3_T4_T5_mT6_P12ihipStream_tbENKUlT_T0_E_clISt17integral_constantIbLb1EEST_IbLb0EEEEDaSP_SQ_EUlSP_E0_NS1_11comp_targetILNS1_3genE9ELNS1_11target_archE1100ELNS1_3gpuE3ELNS1_3repE0EEENS1_30default_config_static_selectorELNS0_4arch9wavefront6targetE1EEEvT1_,"axG",@progbits,_ZN7rocprim17ROCPRIM_400000_NS6detail17trampoline_kernelINS0_14default_configENS1_20scan_config_selectorIsEEZZNS1_9scan_implILNS1_25lookback_scan_determinismE0ELb0ELb1ES3_N6thrust23THRUST_200600_302600_NS6detail15normal_iteratorINS9_10device_ptrIsEEEESE_sNS9_10multipliesIsEEsEEDaPvRmT3_T4_T5_mT6_P12ihipStream_tbENKUlT_T0_E_clISt17integral_constantIbLb1EEST_IbLb0EEEEDaSP_SQ_EUlSP_E0_NS1_11comp_targetILNS1_3genE9ELNS1_11target_archE1100ELNS1_3gpuE3ELNS1_3repE0EEENS1_30default_config_static_selectorELNS0_4arch9wavefront6targetE1EEEvT1_,comdat
.Lfunc_end1175:
	.size	_ZN7rocprim17ROCPRIM_400000_NS6detail17trampoline_kernelINS0_14default_configENS1_20scan_config_selectorIsEEZZNS1_9scan_implILNS1_25lookback_scan_determinismE0ELb0ELb1ES3_N6thrust23THRUST_200600_302600_NS6detail15normal_iteratorINS9_10device_ptrIsEEEESE_sNS9_10multipliesIsEEsEEDaPvRmT3_T4_T5_mT6_P12ihipStream_tbENKUlT_T0_E_clISt17integral_constantIbLb1EEST_IbLb0EEEEDaSP_SQ_EUlSP_E0_NS1_11comp_targetILNS1_3genE9ELNS1_11target_archE1100ELNS1_3gpuE3ELNS1_3repE0EEENS1_30default_config_static_selectorELNS0_4arch9wavefront6targetE1EEEvT1_, .Lfunc_end1175-_ZN7rocprim17ROCPRIM_400000_NS6detail17trampoline_kernelINS0_14default_configENS1_20scan_config_selectorIsEEZZNS1_9scan_implILNS1_25lookback_scan_determinismE0ELb0ELb1ES3_N6thrust23THRUST_200600_302600_NS6detail15normal_iteratorINS9_10device_ptrIsEEEESE_sNS9_10multipliesIsEEsEEDaPvRmT3_T4_T5_mT6_P12ihipStream_tbENKUlT_T0_E_clISt17integral_constantIbLb1EEST_IbLb0EEEEDaSP_SQ_EUlSP_E0_NS1_11comp_targetILNS1_3genE9ELNS1_11target_archE1100ELNS1_3gpuE3ELNS1_3repE0EEENS1_30default_config_static_selectorELNS0_4arch9wavefront6targetE1EEEvT1_
                                        ; -- End function
	.section	.AMDGPU.csdata,"",@progbits
; Kernel info:
; codeLenInByte = 0
; NumSgprs: 4
; NumVgprs: 0
; NumAgprs: 0
; TotalNumVgprs: 0
; ScratchSize: 0
; MemoryBound: 0
; FloatMode: 240
; IeeeMode: 1
; LDSByteSize: 0 bytes/workgroup (compile time only)
; SGPRBlocks: 0
; VGPRBlocks: 0
; NumSGPRsForWavesPerEU: 4
; NumVGPRsForWavesPerEU: 1
; AccumOffset: 4
; Occupancy: 8
; WaveLimiterHint : 0
; COMPUTE_PGM_RSRC2:SCRATCH_EN: 0
; COMPUTE_PGM_RSRC2:USER_SGPR: 6
; COMPUTE_PGM_RSRC2:TRAP_HANDLER: 0
; COMPUTE_PGM_RSRC2:TGID_X_EN: 1
; COMPUTE_PGM_RSRC2:TGID_Y_EN: 0
; COMPUTE_PGM_RSRC2:TGID_Z_EN: 0
; COMPUTE_PGM_RSRC2:TIDIG_COMP_CNT: 0
; COMPUTE_PGM_RSRC3_GFX90A:ACCUM_OFFSET: 0
; COMPUTE_PGM_RSRC3_GFX90A:TG_SPLIT: 0
	.section	.text._ZN7rocprim17ROCPRIM_400000_NS6detail17trampoline_kernelINS0_14default_configENS1_20scan_config_selectorIsEEZZNS1_9scan_implILNS1_25lookback_scan_determinismE0ELb0ELb1ES3_N6thrust23THRUST_200600_302600_NS6detail15normal_iteratorINS9_10device_ptrIsEEEESE_sNS9_10multipliesIsEEsEEDaPvRmT3_T4_T5_mT6_P12ihipStream_tbENKUlT_T0_E_clISt17integral_constantIbLb1EEST_IbLb0EEEEDaSP_SQ_EUlSP_E0_NS1_11comp_targetILNS1_3genE8ELNS1_11target_archE1030ELNS1_3gpuE2ELNS1_3repE0EEENS1_30default_config_static_selectorELNS0_4arch9wavefront6targetE1EEEvT1_,"axG",@progbits,_ZN7rocprim17ROCPRIM_400000_NS6detail17trampoline_kernelINS0_14default_configENS1_20scan_config_selectorIsEEZZNS1_9scan_implILNS1_25lookback_scan_determinismE0ELb0ELb1ES3_N6thrust23THRUST_200600_302600_NS6detail15normal_iteratorINS9_10device_ptrIsEEEESE_sNS9_10multipliesIsEEsEEDaPvRmT3_T4_T5_mT6_P12ihipStream_tbENKUlT_T0_E_clISt17integral_constantIbLb1EEST_IbLb0EEEEDaSP_SQ_EUlSP_E0_NS1_11comp_targetILNS1_3genE8ELNS1_11target_archE1030ELNS1_3gpuE2ELNS1_3repE0EEENS1_30default_config_static_selectorELNS0_4arch9wavefront6targetE1EEEvT1_,comdat
	.protected	_ZN7rocprim17ROCPRIM_400000_NS6detail17trampoline_kernelINS0_14default_configENS1_20scan_config_selectorIsEEZZNS1_9scan_implILNS1_25lookback_scan_determinismE0ELb0ELb1ES3_N6thrust23THRUST_200600_302600_NS6detail15normal_iteratorINS9_10device_ptrIsEEEESE_sNS9_10multipliesIsEEsEEDaPvRmT3_T4_T5_mT6_P12ihipStream_tbENKUlT_T0_E_clISt17integral_constantIbLb1EEST_IbLb0EEEEDaSP_SQ_EUlSP_E0_NS1_11comp_targetILNS1_3genE8ELNS1_11target_archE1030ELNS1_3gpuE2ELNS1_3repE0EEENS1_30default_config_static_selectorELNS0_4arch9wavefront6targetE1EEEvT1_ ; -- Begin function _ZN7rocprim17ROCPRIM_400000_NS6detail17trampoline_kernelINS0_14default_configENS1_20scan_config_selectorIsEEZZNS1_9scan_implILNS1_25lookback_scan_determinismE0ELb0ELb1ES3_N6thrust23THRUST_200600_302600_NS6detail15normal_iteratorINS9_10device_ptrIsEEEESE_sNS9_10multipliesIsEEsEEDaPvRmT3_T4_T5_mT6_P12ihipStream_tbENKUlT_T0_E_clISt17integral_constantIbLb1EEST_IbLb0EEEEDaSP_SQ_EUlSP_E0_NS1_11comp_targetILNS1_3genE8ELNS1_11target_archE1030ELNS1_3gpuE2ELNS1_3repE0EEENS1_30default_config_static_selectorELNS0_4arch9wavefront6targetE1EEEvT1_
	.globl	_ZN7rocprim17ROCPRIM_400000_NS6detail17trampoline_kernelINS0_14default_configENS1_20scan_config_selectorIsEEZZNS1_9scan_implILNS1_25lookback_scan_determinismE0ELb0ELb1ES3_N6thrust23THRUST_200600_302600_NS6detail15normal_iteratorINS9_10device_ptrIsEEEESE_sNS9_10multipliesIsEEsEEDaPvRmT3_T4_T5_mT6_P12ihipStream_tbENKUlT_T0_E_clISt17integral_constantIbLb1EEST_IbLb0EEEEDaSP_SQ_EUlSP_E0_NS1_11comp_targetILNS1_3genE8ELNS1_11target_archE1030ELNS1_3gpuE2ELNS1_3repE0EEENS1_30default_config_static_selectorELNS0_4arch9wavefront6targetE1EEEvT1_
	.p2align	8
	.type	_ZN7rocprim17ROCPRIM_400000_NS6detail17trampoline_kernelINS0_14default_configENS1_20scan_config_selectorIsEEZZNS1_9scan_implILNS1_25lookback_scan_determinismE0ELb0ELb1ES3_N6thrust23THRUST_200600_302600_NS6detail15normal_iteratorINS9_10device_ptrIsEEEESE_sNS9_10multipliesIsEEsEEDaPvRmT3_T4_T5_mT6_P12ihipStream_tbENKUlT_T0_E_clISt17integral_constantIbLb1EEST_IbLb0EEEEDaSP_SQ_EUlSP_E0_NS1_11comp_targetILNS1_3genE8ELNS1_11target_archE1030ELNS1_3gpuE2ELNS1_3repE0EEENS1_30default_config_static_selectorELNS0_4arch9wavefront6targetE1EEEvT1_,@function
_ZN7rocprim17ROCPRIM_400000_NS6detail17trampoline_kernelINS0_14default_configENS1_20scan_config_selectorIsEEZZNS1_9scan_implILNS1_25lookback_scan_determinismE0ELb0ELb1ES3_N6thrust23THRUST_200600_302600_NS6detail15normal_iteratorINS9_10device_ptrIsEEEESE_sNS9_10multipliesIsEEsEEDaPvRmT3_T4_T5_mT6_P12ihipStream_tbENKUlT_T0_E_clISt17integral_constantIbLb1EEST_IbLb0EEEEDaSP_SQ_EUlSP_E0_NS1_11comp_targetILNS1_3genE8ELNS1_11target_archE1030ELNS1_3gpuE2ELNS1_3repE0EEENS1_30default_config_static_selectorELNS0_4arch9wavefront6targetE1EEEvT1_: ; @_ZN7rocprim17ROCPRIM_400000_NS6detail17trampoline_kernelINS0_14default_configENS1_20scan_config_selectorIsEEZZNS1_9scan_implILNS1_25lookback_scan_determinismE0ELb0ELb1ES3_N6thrust23THRUST_200600_302600_NS6detail15normal_iteratorINS9_10device_ptrIsEEEESE_sNS9_10multipliesIsEEsEEDaPvRmT3_T4_T5_mT6_P12ihipStream_tbENKUlT_T0_E_clISt17integral_constantIbLb1EEST_IbLb0EEEEDaSP_SQ_EUlSP_E0_NS1_11comp_targetILNS1_3genE8ELNS1_11target_archE1030ELNS1_3gpuE2ELNS1_3repE0EEENS1_30default_config_static_selectorELNS0_4arch9wavefront6targetE1EEEvT1_
; %bb.0:
	.section	.rodata,"a",@progbits
	.p2align	6, 0x0
	.amdhsa_kernel _ZN7rocprim17ROCPRIM_400000_NS6detail17trampoline_kernelINS0_14default_configENS1_20scan_config_selectorIsEEZZNS1_9scan_implILNS1_25lookback_scan_determinismE0ELb0ELb1ES3_N6thrust23THRUST_200600_302600_NS6detail15normal_iteratorINS9_10device_ptrIsEEEESE_sNS9_10multipliesIsEEsEEDaPvRmT3_T4_T5_mT6_P12ihipStream_tbENKUlT_T0_E_clISt17integral_constantIbLb1EEST_IbLb0EEEEDaSP_SQ_EUlSP_E0_NS1_11comp_targetILNS1_3genE8ELNS1_11target_archE1030ELNS1_3gpuE2ELNS1_3repE0EEENS1_30default_config_static_selectorELNS0_4arch9wavefront6targetE1EEEvT1_
		.amdhsa_group_segment_fixed_size 0
		.amdhsa_private_segment_fixed_size 0
		.amdhsa_kernarg_size 32
		.amdhsa_user_sgpr_count 6
		.amdhsa_user_sgpr_private_segment_buffer 1
		.amdhsa_user_sgpr_dispatch_ptr 0
		.amdhsa_user_sgpr_queue_ptr 0
		.amdhsa_user_sgpr_kernarg_segment_ptr 1
		.amdhsa_user_sgpr_dispatch_id 0
		.amdhsa_user_sgpr_flat_scratch_init 0
		.amdhsa_user_sgpr_kernarg_preload_length 0
		.amdhsa_user_sgpr_kernarg_preload_offset 0
		.amdhsa_user_sgpr_private_segment_size 0
		.amdhsa_uses_dynamic_stack 0
		.amdhsa_system_sgpr_private_segment_wavefront_offset 0
		.amdhsa_system_sgpr_workgroup_id_x 1
		.amdhsa_system_sgpr_workgroup_id_y 0
		.amdhsa_system_sgpr_workgroup_id_z 0
		.amdhsa_system_sgpr_workgroup_info 0
		.amdhsa_system_vgpr_workitem_id 0
		.amdhsa_next_free_vgpr 1
		.amdhsa_next_free_sgpr 0
		.amdhsa_accum_offset 4
		.amdhsa_reserve_vcc 0
		.amdhsa_reserve_flat_scratch 0
		.amdhsa_float_round_mode_32 0
		.amdhsa_float_round_mode_16_64 0
		.amdhsa_float_denorm_mode_32 3
		.amdhsa_float_denorm_mode_16_64 3
		.amdhsa_dx10_clamp 1
		.amdhsa_ieee_mode 1
		.amdhsa_fp16_overflow 0
		.amdhsa_tg_split 0
		.amdhsa_exception_fp_ieee_invalid_op 0
		.amdhsa_exception_fp_denorm_src 0
		.amdhsa_exception_fp_ieee_div_zero 0
		.amdhsa_exception_fp_ieee_overflow 0
		.amdhsa_exception_fp_ieee_underflow 0
		.amdhsa_exception_fp_ieee_inexact 0
		.amdhsa_exception_int_div_zero 0
	.end_amdhsa_kernel
	.section	.text._ZN7rocprim17ROCPRIM_400000_NS6detail17trampoline_kernelINS0_14default_configENS1_20scan_config_selectorIsEEZZNS1_9scan_implILNS1_25lookback_scan_determinismE0ELb0ELb1ES3_N6thrust23THRUST_200600_302600_NS6detail15normal_iteratorINS9_10device_ptrIsEEEESE_sNS9_10multipliesIsEEsEEDaPvRmT3_T4_T5_mT6_P12ihipStream_tbENKUlT_T0_E_clISt17integral_constantIbLb1EEST_IbLb0EEEEDaSP_SQ_EUlSP_E0_NS1_11comp_targetILNS1_3genE8ELNS1_11target_archE1030ELNS1_3gpuE2ELNS1_3repE0EEENS1_30default_config_static_selectorELNS0_4arch9wavefront6targetE1EEEvT1_,"axG",@progbits,_ZN7rocprim17ROCPRIM_400000_NS6detail17trampoline_kernelINS0_14default_configENS1_20scan_config_selectorIsEEZZNS1_9scan_implILNS1_25lookback_scan_determinismE0ELb0ELb1ES3_N6thrust23THRUST_200600_302600_NS6detail15normal_iteratorINS9_10device_ptrIsEEEESE_sNS9_10multipliesIsEEsEEDaPvRmT3_T4_T5_mT6_P12ihipStream_tbENKUlT_T0_E_clISt17integral_constantIbLb1EEST_IbLb0EEEEDaSP_SQ_EUlSP_E0_NS1_11comp_targetILNS1_3genE8ELNS1_11target_archE1030ELNS1_3gpuE2ELNS1_3repE0EEENS1_30default_config_static_selectorELNS0_4arch9wavefront6targetE1EEEvT1_,comdat
.Lfunc_end1176:
	.size	_ZN7rocprim17ROCPRIM_400000_NS6detail17trampoline_kernelINS0_14default_configENS1_20scan_config_selectorIsEEZZNS1_9scan_implILNS1_25lookback_scan_determinismE0ELb0ELb1ES3_N6thrust23THRUST_200600_302600_NS6detail15normal_iteratorINS9_10device_ptrIsEEEESE_sNS9_10multipliesIsEEsEEDaPvRmT3_T4_T5_mT6_P12ihipStream_tbENKUlT_T0_E_clISt17integral_constantIbLb1EEST_IbLb0EEEEDaSP_SQ_EUlSP_E0_NS1_11comp_targetILNS1_3genE8ELNS1_11target_archE1030ELNS1_3gpuE2ELNS1_3repE0EEENS1_30default_config_static_selectorELNS0_4arch9wavefront6targetE1EEEvT1_, .Lfunc_end1176-_ZN7rocprim17ROCPRIM_400000_NS6detail17trampoline_kernelINS0_14default_configENS1_20scan_config_selectorIsEEZZNS1_9scan_implILNS1_25lookback_scan_determinismE0ELb0ELb1ES3_N6thrust23THRUST_200600_302600_NS6detail15normal_iteratorINS9_10device_ptrIsEEEESE_sNS9_10multipliesIsEEsEEDaPvRmT3_T4_T5_mT6_P12ihipStream_tbENKUlT_T0_E_clISt17integral_constantIbLb1EEST_IbLb0EEEEDaSP_SQ_EUlSP_E0_NS1_11comp_targetILNS1_3genE8ELNS1_11target_archE1030ELNS1_3gpuE2ELNS1_3repE0EEENS1_30default_config_static_selectorELNS0_4arch9wavefront6targetE1EEEvT1_
                                        ; -- End function
	.section	.AMDGPU.csdata,"",@progbits
; Kernel info:
; codeLenInByte = 0
; NumSgprs: 4
; NumVgprs: 0
; NumAgprs: 0
; TotalNumVgprs: 0
; ScratchSize: 0
; MemoryBound: 0
; FloatMode: 240
; IeeeMode: 1
; LDSByteSize: 0 bytes/workgroup (compile time only)
; SGPRBlocks: 0
; VGPRBlocks: 0
; NumSGPRsForWavesPerEU: 4
; NumVGPRsForWavesPerEU: 1
; AccumOffset: 4
; Occupancy: 8
; WaveLimiterHint : 0
; COMPUTE_PGM_RSRC2:SCRATCH_EN: 0
; COMPUTE_PGM_RSRC2:USER_SGPR: 6
; COMPUTE_PGM_RSRC2:TRAP_HANDLER: 0
; COMPUTE_PGM_RSRC2:TGID_X_EN: 1
; COMPUTE_PGM_RSRC2:TGID_Y_EN: 0
; COMPUTE_PGM_RSRC2:TGID_Z_EN: 0
; COMPUTE_PGM_RSRC2:TIDIG_COMP_CNT: 0
; COMPUTE_PGM_RSRC3_GFX90A:ACCUM_OFFSET: 0
; COMPUTE_PGM_RSRC3_GFX90A:TG_SPLIT: 0
	.section	.text._ZN7rocprim17ROCPRIM_400000_NS6detail17trampoline_kernelINS0_14default_configENS1_20scan_config_selectorIsEEZZNS1_9scan_implILNS1_25lookback_scan_determinismE0ELb0ELb1ES3_N6thrust23THRUST_200600_302600_NS6detail15normal_iteratorINS9_10device_ptrIsEEEESE_sNS9_10multipliesIsEEsEEDaPvRmT3_T4_T5_mT6_P12ihipStream_tbENKUlT_T0_E_clISt17integral_constantIbLb0EEST_IbLb1EEEEDaSP_SQ_EUlSP_E_NS1_11comp_targetILNS1_3genE0ELNS1_11target_archE4294967295ELNS1_3gpuE0ELNS1_3repE0EEENS1_30default_config_static_selectorELNS0_4arch9wavefront6targetE1EEEvT1_,"axG",@progbits,_ZN7rocprim17ROCPRIM_400000_NS6detail17trampoline_kernelINS0_14default_configENS1_20scan_config_selectorIsEEZZNS1_9scan_implILNS1_25lookback_scan_determinismE0ELb0ELb1ES3_N6thrust23THRUST_200600_302600_NS6detail15normal_iteratorINS9_10device_ptrIsEEEESE_sNS9_10multipliesIsEEsEEDaPvRmT3_T4_T5_mT6_P12ihipStream_tbENKUlT_T0_E_clISt17integral_constantIbLb0EEST_IbLb1EEEEDaSP_SQ_EUlSP_E_NS1_11comp_targetILNS1_3genE0ELNS1_11target_archE4294967295ELNS1_3gpuE0ELNS1_3repE0EEENS1_30default_config_static_selectorELNS0_4arch9wavefront6targetE1EEEvT1_,comdat
	.protected	_ZN7rocprim17ROCPRIM_400000_NS6detail17trampoline_kernelINS0_14default_configENS1_20scan_config_selectorIsEEZZNS1_9scan_implILNS1_25lookback_scan_determinismE0ELb0ELb1ES3_N6thrust23THRUST_200600_302600_NS6detail15normal_iteratorINS9_10device_ptrIsEEEESE_sNS9_10multipliesIsEEsEEDaPvRmT3_T4_T5_mT6_P12ihipStream_tbENKUlT_T0_E_clISt17integral_constantIbLb0EEST_IbLb1EEEEDaSP_SQ_EUlSP_E_NS1_11comp_targetILNS1_3genE0ELNS1_11target_archE4294967295ELNS1_3gpuE0ELNS1_3repE0EEENS1_30default_config_static_selectorELNS0_4arch9wavefront6targetE1EEEvT1_ ; -- Begin function _ZN7rocprim17ROCPRIM_400000_NS6detail17trampoline_kernelINS0_14default_configENS1_20scan_config_selectorIsEEZZNS1_9scan_implILNS1_25lookback_scan_determinismE0ELb0ELb1ES3_N6thrust23THRUST_200600_302600_NS6detail15normal_iteratorINS9_10device_ptrIsEEEESE_sNS9_10multipliesIsEEsEEDaPvRmT3_T4_T5_mT6_P12ihipStream_tbENKUlT_T0_E_clISt17integral_constantIbLb0EEST_IbLb1EEEEDaSP_SQ_EUlSP_E_NS1_11comp_targetILNS1_3genE0ELNS1_11target_archE4294967295ELNS1_3gpuE0ELNS1_3repE0EEENS1_30default_config_static_selectorELNS0_4arch9wavefront6targetE1EEEvT1_
	.globl	_ZN7rocprim17ROCPRIM_400000_NS6detail17trampoline_kernelINS0_14default_configENS1_20scan_config_selectorIsEEZZNS1_9scan_implILNS1_25lookback_scan_determinismE0ELb0ELb1ES3_N6thrust23THRUST_200600_302600_NS6detail15normal_iteratorINS9_10device_ptrIsEEEESE_sNS9_10multipliesIsEEsEEDaPvRmT3_T4_T5_mT6_P12ihipStream_tbENKUlT_T0_E_clISt17integral_constantIbLb0EEST_IbLb1EEEEDaSP_SQ_EUlSP_E_NS1_11comp_targetILNS1_3genE0ELNS1_11target_archE4294967295ELNS1_3gpuE0ELNS1_3repE0EEENS1_30default_config_static_selectorELNS0_4arch9wavefront6targetE1EEEvT1_
	.p2align	8
	.type	_ZN7rocprim17ROCPRIM_400000_NS6detail17trampoline_kernelINS0_14default_configENS1_20scan_config_selectorIsEEZZNS1_9scan_implILNS1_25lookback_scan_determinismE0ELb0ELb1ES3_N6thrust23THRUST_200600_302600_NS6detail15normal_iteratorINS9_10device_ptrIsEEEESE_sNS9_10multipliesIsEEsEEDaPvRmT3_T4_T5_mT6_P12ihipStream_tbENKUlT_T0_E_clISt17integral_constantIbLb0EEST_IbLb1EEEEDaSP_SQ_EUlSP_E_NS1_11comp_targetILNS1_3genE0ELNS1_11target_archE4294967295ELNS1_3gpuE0ELNS1_3repE0EEENS1_30default_config_static_selectorELNS0_4arch9wavefront6targetE1EEEvT1_,@function
_ZN7rocprim17ROCPRIM_400000_NS6detail17trampoline_kernelINS0_14default_configENS1_20scan_config_selectorIsEEZZNS1_9scan_implILNS1_25lookback_scan_determinismE0ELb0ELb1ES3_N6thrust23THRUST_200600_302600_NS6detail15normal_iteratorINS9_10device_ptrIsEEEESE_sNS9_10multipliesIsEEsEEDaPvRmT3_T4_T5_mT6_P12ihipStream_tbENKUlT_T0_E_clISt17integral_constantIbLb0EEST_IbLb1EEEEDaSP_SQ_EUlSP_E_NS1_11comp_targetILNS1_3genE0ELNS1_11target_archE4294967295ELNS1_3gpuE0ELNS1_3repE0EEENS1_30default_config_static_selectorELNS0_4arch9wavefront6targetE1EEEvT1_: ; @_ZN7rocprim17ROCPRIM_400000_NS6detail17trampoline_kernelINS0_14default_configENS1_20scan_config_selectorIsEEZZNS1_9scan_implILNS1_25lookback_scan_determinismE0ELb0ELb1ES3_N6thrust23THRUST_200600_302600_NS6detail15normal_iteratorINS9_10device_ptrIsEEEESE_sNS9_10multipliesIsEEsEEDaPvRmT3_T4_T5_mT6_P12ihipStream_tbENKUlT_T0_E_clISt17integral_constantIbLb0EEST_IbLb1EEEEDaSP_SQ_EUlSP_E_NS1_11comp_targetILNS1_3genE0ELNS1_11target_archE4294967295ELNS1_3gpuE0ELNS1_3repE0EEENS1_30default_config_static_selectorELNS0_4arch9wavefront6targetE1EEEvT1_
; %bb.0:
	.section	.rodata,"a",@progbits
	.p2align	6, 0x0
	.amdhsa_kernel _ZN7rocprim17ROCPRIM_400000_NS6detail17trampoline_kernelINS0_14default_configENS1_20scan_config_selectorIsEEZZNS1_9scan_implILNS1_25lookback_scan_determinismE0ELb0ELb1ES3_N6thrust23THRUST_200600_302600_NS6detail15normal_iteratorINS9_10device_ptrIsEEEESE_sNS9_10multipliesIsEEsEEDaPvRmT3_T4_T5_mT6_P12ihipStream_tbENKUlT_T0_E_clISt17integral_constantIbLb0EEST_IbLb1EEEEDaSP_SQ_EUlSP_E_NS1_11comp_targetILNS1_3genE0ELNS1_11target_archE4294967295ELNS1_3gpuE0ELNS1_3repE0EEENS1_30default_config_static_selectorELNS0_4arch9wavefront6targetE1EEEvT1_
		.amdhsa_group_segment_fixed_size 0
		.amdhsa_private_segment_fixed_size 0
		.amdhsa_kernarg_size 96
		.amdhsa_user_sgpr_count 6
		.amdhsa_user_sgpr_private_segment_buffer 1
		.amdhsa_user_sgpr_dispatch_ptr 0
		.amdhsa_user_sgpr_queue_ptr 0
		.amdhsa_user_sgpr_kernarg_segment_ptr 1
		.amdhsa_user_sgpr_dispatch_id 0
		.amdhsa_user_sgpr_flat_scratch_init 0
		.amdhsa_user_sgpr_kernarg_preload_length 0
		.amdhsa_user_sgpr_kernarg_preload_offset 0
		.amdhsa_user_sgpr_private_segment_size 0
		.amdhsa_uses_dynamic_stack 0
		.amdhsa_system_sgpr_private_segment_wavefront_offset 0
		.amdhsa_system_sgpr_workgroup_id_x 1
		.amdhsa_system_sgpr_workgroup_id_y 0
		.amdhsa_system_sgpr_workgroup_id_z 0
		.amdhsa_system_sgpr_workgroup_info 0
		.amdhsa_system_vgpr_workitem_id 0
		.amdhsa_next_free_vgpr 1
		.amdhsa_next_free_sgpr 0
		.amdhsa_accum_offset 4
		.amdhsa_reserve_vcc 0
		.amdhsa_reserve_flat_scratch 0
		.amdhsa_float_round_mode_32 0
		.amdhsa_float_round_mode_16_64 0
		.amdhsa_float_denorm_mode_32 3
		.amdhsa_float_denorm_mode_16_64 3
		.amdhsa_dx10_clamp 1
		.amdhsa_ieee_mode 1
		.amdhsa_fp16_overflow 0
		.amdhsa_tg_split 0
		.amdhsa_exception_fp_ieee_invalid_op 0
		.amdhsa_exception_fp_denorm_src 0
		.amdhsa_exception_fp_ieee_div_zero 0
		.amdhsa_exception_fp_ieee_overflow 0
		.amdhsa_exception_fp_ieee_underflow 0
		.amdhsa_exception_fp_ieee_inexact 0
		.amdhsa_exception_int_div_zero 0
	.end_amdhsa_kernel
	.section	.text._ZN7rocprim17ROCPRIM_400000_NS6detail17trampoline_kernelINS0_14default_configENS1_20scan_config_selectorIsEEZZNS1_9scan_implILNS1_25lookback_scan_determinismE0ELb0ELb1ES3_N6thrust23THRUST_200600_302600_NS6detail15normal_iteratorINS9_10device_ptrIsEEEESE_sNS9_10multipliesIsEEsEEDaPvRmT3_T4_T5_mT6_P12ihipStream_tbENKUlT_T0_E_clISt17integral_constantIbLb0EEST_IbLb1EEEEDaSP_SQ_EUlSP_E_NS1_11comp_targetILNS1_3genE0ELNS1_11target_archE4294967295ELNS1_3gpuE0ELNS1_3repE0EEENS1_30default_config_static_selectorELNS0_4arch9wavefront6targetE1EEEvT1_,"axG",@progbits,_ZN7rocprim17ROCPRIM_400000_NS6detail17trampoline_kernelINS0_14default_configENS1_20scan_config_selectorIsEEZZNS1_9scan_implILNS1_25lookback_scan_determinismE0ELb0ELb1ES3_N6thrust23THRUST_200600_302600_NS6detail15normal_iteratorINS9_10device_ptrIsEEEESE_sNS9_10multipliesIsEEsEEDaPvRmT3_T4_T5_mT6_P12ihipStream_tbENKUlT_T0_E_clISt17integral_constantIbLb0EEST_IbLb1EEEEDaSP_SQ_EUlSP_E_NS1_11comp_targetILNS1_3genE0ELNS1_11target_archE4294967295ELNS1_3gpuE0ELNS1_3repE0EEENS1_30default_config_static_selectorELNS0_4arch9wavefront6targetE1EEEvT1_,comdat
.Lfunc_end1177:
	.size	_ZN7rocprim17ROCPRIM_400000_NS6detail17trampoline_kernelINS0_14default_configENS1_20scan_config_selectorIsEEZZNS1_9scan_implILNS1_25lookback_scan_determinismE0ELb0ELb1ES3_N6thrust23THRUST_200600_302600_NS6detail15normal_iteratorINS9_10device_ptrIsEEEESE_sNS9_10multipliesIsEEsEEDaPvRmT3_T4_T5_mT6_P12ihipStream_tbENKUlT_T0_E_clISt17integral_constantIbLb0EEST_IbLb1EEEEDaSP_SQ_EUlSP_E_NS1_11comp_targetILNS1_3genE0ELNS1_11target_archE4294967295ELNS1_3gpuE0ELNS1_3repE0EEENS1_30default_config_static_selectorELNS0_4arch9wavefront6targetE1EEEvT1_, .Lfunc_end1177-_ZN7rocprim17ROCPRIM_400000_NS6detail17trampoline_kernelINS0_14default_configENS1_20scan_config_selectorIsEEZZNS1_9scan_implILNS1_25lookback_scan_determinismE0ELb0ELb1ES3_N6thrust23THRUST_200600_302600_NS6detail15normal_iteratorINS9_10device_ptrIsEEEESE_sNS9_10multipliesIsEEsEEDaPvRmT3_T4_T5_mT6_P12ihipStream_tbENKUlT_T0_E_clISt17integral_constantIbLb0EEST_IbLb1EEEEDaSP_SQ_EUlSP_E_NS1_11comp_targetILNS1_3genE0ELNS1_11target_archE4294967295ELNS1_3gpuE0ELNS1_3repE0EEENS1_30default_config_static_selectorELNS0_4arch9wavefront6targetE1EEEvT1_
                                        ; -- End function
	.section	.AMDGPU.csdata,"",@progbits
; Kernel info:
; codeLenInByte = 0
; NumSgprs: 4
; NumVgprs: 0
; NumAgprs: 0
; TotalNumVgprs: 0
; ScratchSize: 0
; MemoryBound: 0
; FloatMode: 240
; IeeeMode: 1
; LDSByteSize: 0 bytes/workgroup (compile time only)
; SGPRBlocks: 0
; VGPRBlocks: 0
; NumSGPRsForWavesPerEU: 4
; NumVGPRsForWavesPerEU: 1
; AccumOffset: 4
; Occupancy: 8
; WaveLimiterHint : 0
; COMPUTE_PGM_RSRC2:SCRATCH_EN: 0
; COMPUTE_PGM_RSRC2:USER_SGPR: 6
; COMPUTE_PGM_RSRC2:TRAP_HANDLER: 0
; COMPUTE_PGM_RSRC2:TGID_X_EN: 1
; COMPUTE_PGM_RSRC2:TGID_Y_EN: 0
; COMPUTE_PGM_RSRC2:TGID_Z_EN: 0
; COMPUTE_PGM_RSRC2:TIDIG_COMP_CNT: 0
; COMPUTE_PGM_RSRC3_GFX90A:ACCUM_OFFSET: 0
; COMPUTE_PGM_RSRC3_GFX90A:TG_SPLIT: 0
	.section	.text._ZN7rocprim17ROCPRIM_400000_NS6detail17trampoline_kernelINS0_14default_configENS1_20scan_config_selectorIsEEZZNS1_9scan_implILNS1_25lookback_scan_determinismE0ELb0ELb1ES3_N6thrust23THRUST_200600_302600_NS6detail15normal_iteratorINS9_10device_ptrIsEEEESE_sNS9_10multipliesIsEEsEEDaPvRmT3_T4_T5_mT6_P12ihipStream_tbENKUlT_T0_E_clISt17integral_constantIbLb0EEST_IbLb1EEEEDaSP_SQ_EUlSP_E_NS1_11comp_targetILNS1_3genE5ELNS1_11target_archE942ELNS1_3gpuE9ELNS1_3repE0EEENS1_30default_config_static_selectorELNS0_4arch9wavefront6targetE1EEEvT1_,"axG",@progbits,_ZN7rocprim17ROCPRIM_400000_NS6detail17trampoline_kernelINS0_14default_configENS1_20scan_config_selectorIsEEZZNS1_9scan_implILNS1_25lookback_scan_determinismE0ELb0ELb1ES3_N6thrust23THRUST_200600_302600_NS6detail15normal_iteratorINS9_10device_ptrIsEEEESE_sNS9_10multipliesIsEEsEEDaPvRmT3_T4_T5_mT6_P12ihipStream_tbENKUlT_T0_E_clISt17integral_constantIbLb0EEST_IbLb1EEEEDaSP_SQ_EUlSP_E_NS1_11comp_targetILNS1_3genE5ELNS1_11target_archE942ELNS1_3gpuE9ELNS1_3repE0EEENS1_30default_config_static_selectorELNS0_4arch9wavefront6targetE1EEEvT1_,comdat
	.protected	_ZN7rocprim17ROCPRIM_400000_NS6detail17trampoline_kernelINS0_14default_configENS1_20scan_config_selectorIsEEZZNS1_9scan_implILNS1_25lookback_scan_determinismE0ELb0ELb1ES3_N6thrust23THRUST_200600_302600_NS6detail15normal_iteratorINS9_10device_ptrIsEEEESE_sNS9_10multipliesIsEEsEEDaPvRmT3_T4_T5_mT6_P12ihipStream_tbENKUlT_T0_E_clISt17integral_constantIbLb0EEST_IbLb1EEEEDaSP_SQ_EUlSP_E_NS1_11comp_targetILNS1_3genE5ELNS1_11target_archE942ELNS1_3gpuE9ELNS1_3repE0EEENS1_30default_config_static_selectorELNS0_4arch9wavefront6targetE1EEEvT1_ ; -- Begin function _ZN7rocprim17ROCPRIM_400000_NS6detail17trampoline_kernelINS0_14default_configENS1_20scan_config_selectorIsEEZZNS1_9scan_implILNS1_25lookback_scan_determinismE0ELb0ELb1ES3_N6thrust23THRUST_200600_302600_NS6detail15normal_iteratorINS9_10device_ptrIsEEEESE_sNS9_10multipliesIsEEsEEDaPvRmT3_T4_T5_mT6_P12ihipStream_tbENKUlT_T0_E_clISt17integral_constantIbLb0EEST_IbLb1EEEEDaSP_SQ_EUlSP_E_NS1_11comp_targetILNS1_3genE5ELNS1_11target_archE942ELNS1_3gpuE9ELNS1_3repE0EEENS1_30default_config_static_selectorELNS0_4arch9wavefront6targetE1EEEvT1_
	.globl	_ZN7rocprim17ROCPRIM_400000_NS6detail17trampoline_kernelINS0_14default_configENS1_20scan_config_selectorIsEEZZNS1_9scan_implILNS1_25lookback_scan_determinismE0ELb0ELb1ES3_N6thrust23THRUST_200600_302600_NS6detail15normal_iteratorINS9_10device_ptrIsEEEESE_sNS9_10multipliesIsEEsEEDaPvRmT3_T4_T5_mT6_P12ihipStream_tbENKUlT_T0_E_clISt17integral_constantIbLb0EEST_IbLb1EEEEDaSP_SQ_EUlSP_E_NS1_11comp_targetILNS1_3genE5ELNS1_11target_archE942ELNS1_3gpuE9ELNS1_3repE0EEENS1_30default_config_static_selectorELNS0_4arch9wavefront6targetE1EEEvT1_
	.p2align	8
	.type	_ZN7rocprim17ROCPRIM_400000_NS6detail17trampoline_kernelINS0_14default_configENS1_20scan_config_selectorIsEEZZNS1_9scan_implILNS1_25lookback_scan_determinismE0ELb0ELb1ES3_N6thrust23THRUST_200600_302600_NS6detail15normal_iteratorINS9_10device_ptrIsEEEESE_sNS9_10multipliesIsEEsEEDaPvRmT3_T4_T5_mT6_P12ihipStream_tbENKUlT_T0_E_clISt17integral_constantIbLb0EEST_IbLb1EEEEDaSP_SQ_EUlSP_E_NS1_11comp_targetILNS1_3genE5ELNS1_11target_archE942ELNS1_3gpuE9ELNS1_3repE0EEENS1_30default_config_static_selectorELNS0_4arch9wavefront6targetE1EEEvT1_,@function
_ZN7rocprim17ROCPRIM_400000_NS6detail17trampoline_kernelINS0_14default_configENS1_20scan_config_selectorIsEEZZNS1_9scan_implILNS1_25lookback_scan_determinismE0ELb0ELb1ES3_N6thrust23THRUST_200600_302600_NS6detail15normal_iteratorINS9_10device_ptrIsEEEESE_sNS9_10multipliesIsEEsEEDaPvRmT3_T4_T5_mT6_P12ihipStream_tbENKUlT_T0_E_clISt17integral_constantIbLb0EEST_IbLb1EEEEDaSP_SQ_EUlSP_E_NS1_11comp_targetILNS1_3genE5ELNS1_11target_archE942ELNS1_3gpuE9ELNS1_3repE0EEENS1_30default_config_static_selectorELNS0_4arch9wavefront6targetE1EEEvT1_: ; @_ZN7rocprim17ROCPRIM_400000_NS6detail17trampoline_kernelINS0_14default_configENS1_20scan_config_selectorIsEEZZNS1_9scan_implILNS1_25lookback_scan_determinismE0ELb0ELb1ES3_N6thrust23THRUST_200600_302600_NS6detail15normal_iteratorINS9_10device_ptrIsEEEESE_sNS9_10multipliesIsEEsEEDaPvRmT3_T4_T5_mT6_P12ihipStream_tbENKUlT_T0_E_clISt17integral_constantIbLb0EEST_IbLb1EEEEDaSP_SQ_EUlSP_E_NS1_11comp_targetILNS1_3genE5ELNS1_11target_archE942ELNS1_3gpuE9ELNS1_3repE0EEENS1_30default_config_static_selectorELNS0_4arch9wavefront6targetE1EEEvT1_
; %bb.0:
	.section	.rodata,"a",@progbits
	.p2align	6, 0x0
	.amdhsa_kernel _ZN7rocprim17ROCPRIM_400000_NS6detail17trampoline_kernelINS0_14default_configENS1_20scan_config_selectorIsEEZZNS1_9scan_implILNS1_25lookback_scan_determinismE0ELb0ELb1ES3_N6thrust23THRUST_200600_302600_NS6detail15normal_iteratorINS9_10device_ptrIsEEEESE_sNS9_10multipliesIsEEsEEDaPvRmT3_T4_T5_mT6_P12ihipStream_tbENKUlT_T0_E_clISt17integral_constantIbLb0EEST_IbLb1EEEEDaSP_SQ_EUlSP_E_NS1_11comp_targetILNS1_3genE5ELNS1_11target_archE942ELNS1_3gpuE9ELNS1_3repE0EEENS1_30default_config_static_selectorELNS0_4arch9wavefront6targetE1EEEvT1_
		.amdhsa_group_segment_fixed_size 0
		.amdhsa_private_segment_fixed_size 0
		.amdhsa_kernarg_size 96
		.amdhsa_user_sgpr_count 6
		.amdhsa_user_sgpr_private_segment_buffer 1
		.amdhsa_user_sgpr_dispatch_ptr 0
		.amdhsa_user_sgpr_queue_ptr 0
		.amdhsa_user_sgpr_kernarg_segment_ptr 1
		.amdhsa_user_sgpr_dispatch_id 0
		.amdhsa_user_sgpr_flat_scratch_init 0
		.amdhsa_user_sgpr_kernarg_preload_length 0
		.amdhsa_user_sgpr_kernarg_preload_offset 0
		.amdhsa_user_sgpr_private_segment_size 0
		.amdhsa_uses_dynamic_stack 0
		.amdhsa_system_sgpr_private_segment_wavefront_offset 0
		.amdhsa_system_sgpr_workgroup_id_x 1
		.amdhsa_system_sgpr_workgroup_id_y 0
		.amdhsa_system_sgpr_workgroup_id_z 0
		.amdhsa_system_sgpr_workgroup_info 0
		.amdhsa_system_vgpr_workitem_id 0
		.amdhsa_next_free_vgpr 1
		.amdhsa_next_free_sgpr 0
		.amdhsa_accum_offset 4
		.amdhsa_reserve_vcc 0
		.amdhsa_reserve_flat_scratch 0
		.amdhsa_float_round_mode_32 0
		.amdhsa_float_round_mode_16_64 0
		.amdhsa_float_denorm_mode_32 3
		.amdhsa_float_denorm_mode_16_64 3
		.amdhsa_dx10_clamp 1
		.amdhsa_ieee_mode 1
		.amdhsa_fp16_overflow 0
		.amdhsa_tg_split 0
		.amdhsa_exception_fp_ieee_invalid_op 0
		.amdhsa_exception_fp_denorm_src 0
		.amdhsa_exception_fp_ieee_div_zero 0
		.amdhsa_exception_fp_ieee_overflow 0
		.amdhsa_exception_fp_ieee_underflow 0
		.amdhsa_exception_fp_ieee_inexact 0
		.amdhsa_exception_int_div_zero 0
	.end_amdhsa_kernel
	.section	.text._ZN7rocprim17ROCPRIM_400000_NS6detail17trampoline_kernelINS0_14default_configENS1_20scan_config_selectorIsEEZZNS1_9scan_implILNS1_25lookback_scan_determinismE0ELb0ELb1ES3_N6thrust23THRUST_200600_302600_NS6detail15normal_iteratorINS9_10device_ptrIsEEEESE_sNS9_10multipliesIsEEsEEDaPvRmT3_T4_T5_mT6_P12ihipStream_tbENKUlT_T0_E_clISt17integral_constantIbLb0EEST_IbLb1EEEEDaSP_SQ_EUlSP_E_NS1_11comp_targetILNS1_3genE5ELNS1_11target_archE942ELNS1_3gpuE9ELNS1_3repE0EEENS1_30default_config_static_selectorELNS0_4arch9wavefront6targetE1EEEvT1_,"axG",@progbits,_ZN7rocprim17ROCPRIM_400000_NS6detail17trampoline_kernelINS0_14default_configENS1_20scan_config_selectorIsEEZZNS1_9scan_implILNS1_25lookback_scan_determinismE0ELb0ELb1ES3_N6thrust23THRUST_200600_302600_NS6detail15normal_iteratorINS9_10device_ptrIsEEEESE_sNS9_10multipliesIsEEsEEDaPvRmT3_T4_T5_mT6_P12ihipStream_tbENKUlT_T0_E_clISt17integral_constantIbLb0EEST_IbLb1EEEEDaSP_SQ_EUlSP_E_NS1_11comp_targetILNS1_3genE5ELNS1_11target_archE942ELNS1_3gpuE9ELNS1_3repE0EEENS1_30default_config_static_selectorELNS0_4arch9wavefront6targetE1EEEvT1_,comdat
.Lfunc_end1178:
	.size	_ZN7rocprim17ROCPRIM_400000_NS6detail17trampoline_kernelINS0_14default_configENS1_20scan_config_selectorIsEEZZNS1_9scan_implILNS1_25lookback_scan_determinismE0ELb0ELb1ES3_N6thrust23THRUST_200600_302600_NS6detail15normal_iteratorINS9_10device_ptrIsEEEESE_sNS9_10multipliesIsEEsEEDaPvRmT3_T4_T5_mT6_P12ihipStream_tbENKUlT_T0_E_clISt17integral_constantIbLb0EEST_IbLb1EEEEDaSP_SQ_EUlSP_E_NS1_11comp_targetILNS1_3genE5ELNS1_11target_archE942ELNS1_3gpuE9ELNS1_3repE0EEENS1_30default_config_static_selectorELNS0_4arch9wavefront6targetE1EEEvT1_, .Lfunc_end1178-_ZN7rocprim17ROCPRIM_400000_NS6detail17trampoline_kernelINS0_14default_configENS1_20scan_config_selectorIsEEZZNS1_9scan_implILNS1_25lookback_scan_determinismE0ELb0ELb1ES3_N6thrust23THRUST_200600_302600_NS6detail15normal_iteratorINS9_10device_ptrIsEEEESE_sNS9_10multipliesIsEEsEEDaPvRmT3_T4_T5_mT6_P12ihipStream_tbENKUlT_T0_E_clISt17integral_constantIbLb0EEST_IbLb1EEEEDaSP_SQ_EUlSP_E_NS1_11comp_targetILNS1_3genE5ELNS1_11target_archE942ELNS1_3gpuE9ELNS1_3repE0EEENS1_30default_config_static_selectorELNS0_4arch9wavefront6targetE1EEEvT1_
                                        ; -- End function
	.section	.AMDGPU.csdata,"",@progbits
; Kernel info:
; codeLenInByte = 0
; NumSgprs: 4
; NumVgprs: 0
; NumAgprs: 0
; TotalNumVgprs: 0
; ScratchSize: 0
; MemoryBound: 0
; FloatMode: 240
; IeeeMode: 1
; LDSByteSize: 0 bytes/workgroup (compile time only)
; SGPRBlocks: 0
; VGPRBlocks: 0
; NumSGPRsForWavesPerEU: 4
; NumVGPRsForWavesPerEU: 1
; AccumOffset: 4
; Occupancy: 8
; WaveLimiterHint : 0
; COMPUTE_PGM_RSRC2:SCRATCH_EN: 0
; COMPUTE_PGM_RSRC2:USER_SGPR: 6
; COMPUTE_PGM_RSRC2:TRAP_HANDLER: 0
; COMPUTE_PGM_RSRC2:TGID_X_EN: 1
; COMPUTE_PGM_RSRC2:TGID_Y_EN: 0
; COMPUTE_PGM_RSRC2:TGID_Z_EN: 0
; COMPUTE_PGM_RSRC2:TIDIG_COMP_CNT: 0
; COMPUTE_PGM_RSRC3_GFX90A:ACCUM_OFFSET: 0
; COMPUTE_PGM_RSRC3_GFX90A:TG_SPLIT: 0
	.section	.text._ZN7rocprim17ROCPRIM_400000_NS6detail17trampoline_kernelINS0_14default_configENS1_20scan_config_selectorIsEEZZNS1_9scan_implILNS1_25lookback_scan_determinismE0ELb0ELb1ES3_N6thrust23THRUST_200600_302600_NS6detail15normal_iteratorINS9_10device_ptrIsEEEESE_sNS9_10multipliesIsEEsEEDaPvRmT3_T4_T5_mT6_P12ihipStream_tbENKUlT_T0_E_clISt17integral_constantIbLb0EEST_IbLb1EEEEDaSP_SQ_EUlSP_E_NS1_11comp_targetILNS1_3genE4ELNS1_11target_archE910ELNS1_3gpuE8ELNS1_3repE0EEENS1_30default_config_static_selectorELNS0_4arch9wavefront6targetE1EEEvT1_,"axG",@progbits,_ZN7rocprim17ROCPRIM_400000_NS6detail17trampoline_kernelINS0_14default_configENS1_20scan_config_selectorIsEEZZNS1_9scan_implILNS1_25lookback_scan_determinismE0ELb0ELb1ES3_N6thrust23THRUST_200600_302600_NS6detail15normal_iteratorINS9_10device_ptrIsEEEESE_sNS9_10multipliesIsEEsEEDaPvRmT3_T4_T5_mT6_P12ihipStream_tbENKUlT_T0_E_clISt17integral_constantIbLb0EEST_IbLb1EEEEDaSP_SQ_EUlSP_E_NS1_11comp_targetILNS1_3genE4ELNS1_11target_archE910ELNS1_3gpuE8ELNS1_3repE0EEENS1_30default_config_static_selectorELNS0_4arch9wavefront6targetE1EEEvT1_,comdat
	.protected	_ZN7rocprim17ROCPRIM_400000_NS6detail17trampoline_kernelINS0_14default_configENS1_20scan_config_selectorIsEEZZNS1_9scan_implILNS1_25lookback_scan_determinismE0ELb0ELb1ES3_N6thrust23THRUST_200600_302600_NS6detail15normal_iteratorINS9_10device_ptrIsEEEESE_sNS9_10multipliesIsEEsEEDaPvRmT3_T4_T5_mT6_P12ihipStream_tbENKUlT_T0_E_clISt17integral_constantIbLb0EEST_IbLb1EEEEDaSP_SQ_EUlSP_E_NS1_11comp_targetILNS1_3genE4ELNS1_11target_archE910ELNS1_3gpuE8ELNS1_3repE0EEENS1_30default_config_static_selectorELNS0_4arch9wavefront6targetE1EEEvT1_ ; -- Begin function _ZN7rocprim17ROCPRIM_400000_NS6detail17trampoline_kernelINS0_14default_configENS1_20scan_config_selectorIsEEZZNS1_9scan_implILNS1_25lookback_scan_determinismE0ELb0ELb1ES3_N6thrust23THRUST_200600_302600_NS6detail15normal_iteratorINS9_10device_ptrIsEEEESE_sNS9_10multipliesIsEEsEEDaPvRmT3_T4_T5_mT6_P12ihipStream_tbENKUlT_T0_E_clISt17integral_constantIbLb0EEST_IbLb1EEEEDaSP_SQ_EUlSP_E_NS1_11comp_targetILNS1_3genE4ELNS1_11target_archE910ELNS1_3gpuE8ELNS1_3repE0EEENS1_30default_config_static_selectorELNS0_4arch9wavefront6targetE1EEEvT1_
	.globl	_ZN7rocprim17ROCPRIM_400000_NS6detail17trampoline_kernelINS0_14default_configENS1_20scan_config_selectorIsEEZZNS1_9scan_implILNS1_25lookback_scan_determinismE0ELb0ELb1ES3_N6thrust23THRUST_200600_302600_NS6detail15normal_iteratorINS9_10device_ptrIsEEEESE_sNS9_10multipliesIsEEsEEDaPvRmT3_T4_T5_mT6_P12ihipStream_tbENKUlT_T0_E_clISt17integral_constantIbLb0EEST_IbLb1EEEEDaSP_SQ_EUlSP_E_NS1_11comp_targetILNS1_3genE4ELNS1_11target_archE910ELNS1_3gpuE8ELNS1_3repE0EEENS1_30default_config_static_selectorELNS0_4arch9wavefront6targetE1EEEvT1_
	.p2align	8
	.type	_ZN7rocprim17ROCPRIM_400000_NS6detail17trampoline_kernelINS0_14default_configENS1_20scan_config_selectorIsEEZZNS1_9scan_implILNS1_25lookback_scan_determinismE0ELb0ELb1ES3_N6thrust23THRUST_200600_302600_NS6detail15normal_iteratorINS9_10device_ptrIsEEEESE_sNS9_10multipliesIsEEsEEDaPvRmT3_T4_T5_mT6_P12ihipStream_tbENKUlT_T0_E_clISt17integral_constantIbLb0EEST_IbLb1EEEEDaSP_SQ_EUlSP_E_NS1_11comp_targetILNS1_3genE4ELNS1_11target_archE910ELNS1_3gpuE8ELNS1_3repE0EEENS1_30default_config_static_selectorELNS0_4arch9wavefront6targetE1EEEvT1_,@function
_ZN7rocprim17ROCPRIM_400000_NS6detail17trampoline_kernelINS0_14default_configENS1_20scan_config_selectorIsEEZZNS1_9scan_implILNS1_25lookback_scan_determinismE0ELb0ELb1ES3_N6thrust23THRUST_200600_302600_NS6detail15normal_iteratorINS9_10device_ptrIsEEEESE_sNS9_10multipliesIsEEsEEDaPvRmT3_T4_T5_mT6_P12ihipStream_tbENKUlT_T0_E_clISt17integral_constantIbLb0EEST_IbLb1EEEEDaSP_SQ_EUlSP_E_NS1_11comp_targetILNS1_3genE4ELNS1_11target_archE910ELNS1_3gpuE8ELNS1_3repE0EEENS1_30default_config_static_selectorELNS0_4arch9wavefront6targetE1EEEvT1_: ; @_ZN7rocprim17ROCPRIM_400000_NS6detail17trampoline_kernelINS0_14default_configENS1_20scan_config_selectorIsEEZZNS1_9scan_implILNS1_25lookback_scan_determinismE0ELb0ELb1ES3_N6thrust23THRUST_200600_302600_NS6detail15normal_iteratorINS9_10device_ptrIsEEEESE_sNS9_10multipliesIsEEsEEDaPvRmT3_T4_T5_mT6_P12ihipStream_tbENKUlT_T0_E_clISt17integral_constantIbLb0EEST_IbLb1EEEEDaSP_SQ_EUlSP_E_NS1_11comp_targetILNS1_3genE4ELNS1_11target_archE910ELNS1_3gpuE8ELNS1_3repE0EEENS1_30default_config_static_selectorELNS0_4arch9wavefront6targetE1EEEvT1_
; %bb.0:
	s_load_dwordx2 s[28:29], s[4:5], 0x28
	v_cmp_ne_u32_e64 s[0:1], 0, v0
	v_cmp_eq_u32_e64 s[2:3], 0, v0
	s_and_saveexec_b64 s[6:7], s[2:3]
	s_cbranch_execz .LBB1179_4
; %bb.1:
	s_mov_b64 s[10:11], exec
	v_mbcnt_lo_u32_b32 v1, s10, 0
	v_mbcnt_hi_u32_b32 v1, s11, v1
	v_cmp_eq_u32_e32 vcc, 0, v1
                                        ; implicit-def: $vgpr2
	s_and_saveexec_b64 s[8:9], vcc
	s_cbranch_execz .LBB1179_3
; %bb.2:
	s_load_dwordx2 s[12:13], s[4:5], 0x58
	s_bcnt1_i32_b64 s10, s[10:11]
	v_mov_b32_e32 v2, 0
	v_mov_b32_e32 v3, s10
	s_waitcnt lgkmcnt(0)
	global_atomic_add v2, v2, v3, s[12:13] glc
.LBB1179_3:
	s_or_b64 exec, exec, s[8:9]
	s_waitcnt vmcnt(0)
	v_readfirstlane_b32 s8, v2
	v_add_u32_e32 v1, s8, v1
	v_mov_b32_e32 v2, 0
	ds_write_b32 v2, v1
.LBB1179_4:
	s_or_b64 exec, exec, s[6:7]
	s_load_dwordx8 s[20:27], s[4:5], 0x0
	s_load_dword s33, s[4:5], 0x20
	s_load_dword s6, s[4:5], 0x30
	s_load_dwordx8 s[12:19], s[4:5], 0x38
	v_mov_b32_e32 v1, 0
	s_waitcnt lgkmcnt(0)
	; wave barrier
	s_waitcnt lgkmcnt(0)
	ds_read_b32 v1, v1
	s_lshl_b64 s[22:23], s[22:23], 1
	s_add_u32 s7, s20, s22
	s_addc_u32 s8, s21, s23
	s_add_i32 s6, s6, -1
	s_mul_i32 s9, s6, 0x600
	s_sub_u32 s30, s26, s9
	s_waitcnt lgkmcnt(0)
	v_readfirstlane_b32 s34, v1
	s_subb_u32 s31, s27, 0
	s_mul_i32 s4, s34, 0x600
	s_mov_b32 s5, 0
	s_cmp_lg_u32 s34, s6
	s_cselect_b64 s[20:21], -1, 0
	s_lshl_b64 s[26:27], s[4:5], 1
	s_add_u32 s6, s7, s26
	s_addc_u32 s7, s8, s27
	s_mov_b64 s[4:5], -1
	s_and_b64 vcc, exec, s[20:21]
	v_lshlrev_b32_e32 v20, 1, v0
	s_waitcnt lgkmcnt(0)
	; wave barrier
	s_cbranch_vccz .LBB1179_6
; %bb.5:
	v_mov_b32_e32 v1, s7
	v_add_co_u32_e32 v2, vcc, s6, v20
	v_addc_co_u32_e32 v3, vcc, 0, v1, vcc
	flat_load_ushort v1, v[2:3]
	flat_load_ushort v4, v[2:3] offset:128
	flat_load_ushort v5, v[2:3] offset:256
	;; [unrolled: 1-line block ×23, first 2 shown]
	s_mov_b64 s[4:5], 0
	s_waitcnt vmcnt(0) lgkmcnt(0)
	ds_write_b16 v20, v1
	ds_write_b16 v20, v4 offset:128
	ds_write_b16 v20, v5 offset:256
	;; [unrolled: 1-line block ×23, first 2 shown]
	s_waitcnt lgkmcnt(0)
	; wave barrier
.LBB1179_6:
	s_andn2_b64 vcc, exec, s[4:5]
	v_cmp_gt_u32_e64 s[4:5], s30, v0
	s_cbranch_vccnz .LBB1179_56
; %bb.7:
	v_pk_mov_b32 v[2:3], s[6:7], s[6:7] op_sel:[0,1]
	flat_load_ushort v1, v[2:3]
	s_waitcnt vmcnt(0) lgkmcnt(0)
	v_mov_b32_e32 v2, v1
	s_and_saveexec_b64 s[8:9], s[4:5]
	s_cbranch_execz .LBB1179_9
; %bb.8:
	v_mov_b32_e32 v3, s7
	v_add_co_u32_e32 v2, vcc, s6, v20
	v_addc_co_u32_e32 v3, vcc, 0, v3, vcc
	flat_load_ushort v2, v[2:3]
.LBB1179_9:
	s_or_b64 exec, exec, s[8:9]
	v_or_b32_e32 v3, 64, v0
	v_cmp_gt_u32_e32 vcc, s30, v3
	v_mov_b32_e32 v3, v1
	s_and_saveexec_b64 s[4:5], vcc
	s_cbranch_execz .LBB1179_11
; %bb.10:
	v_mov_b32_e32 v3, s7
	v_add_co_u32_e32 v4, vcc, s6, v20
	v_addc_co_u32_e32 v5, vcc, 0, v3, vcc
	flat_load_ushort v3, v[4:5] offset:128
.LBB1179_11:
	s_or_b64 exec, exec, s[4:5]
	v_or_b32_e32 v4, 0x80, v0
	v_cmp_gt_u32_e32 vcc, s30, v4
	v_mov_b32_e32 v4, v1
	s_and_saveexec_b64 s[4:5], vcc
	s_cbranch_execz .LBB1179_13
; %bb.12:
	v_mov_b32_e32 v5, s7
	v_add_co_u32_e32 v4, vcc, s6, v20
	v_addc_co_u32_e32 v5, vcc, 0, v5, vcc
	flat_load_ushort v4, v[4:5] offset:256
.LBB1179_13:
	;; [unrolled: 12-line block ×22, first 2 shown]
	s_or_b64 exec, exec, s[4:5]
	v_or_b32_e32 v26, 0x5c0, v0
	v_cmp_gt_u32_e32 vcc, s30, v26
	s_and_saveexec_b64 s[4:5], vcc
	s_cbranch_execz .LBB1179_55
; %bb.54:
	v_mov_b32_e32 v1, s7
	v_add_co_u32_e32 v26, vcc, s6, v20
	v_addc_co_u32_e32 v27, vcc, 0, v1, vcc
	flat_load_ushort v1, v[26:27] offset:2944
.LBB1179_55:
	s_or_b64 exec, exec, s[4:5]
	s_waitcnt vmcnt(0) lgkmcnt(0)
	ds_write_b16 v20, v2
	ds_write_b16 v20, v3 offset:128
	ds_write_b16 v20, v4 offset:256
	;; [unrolled: 1-line block ×23, first 2 shown]
	s_waitcnt lgkmcnt(0)
	; wave barrier
.LBB1179_56:
	v_mul_u32_u24_e32 v21, 24, v0
	v_lshlrev_b32_e32 v1, 1, v21
	s_waitcnt lgkmcnt(0)
	ds_read_b128 v[10:13], v1
	ds_read_b128 v[6:9], v1 offset:16
	ds_read_b128 v[2:5], v1 offset:32
	s_cmp_lg_u32 s34, 0
	v_mbcnt_lo_u32_b32 v22, -1, 0
	v_cmp_eq_u32_e32 vcc, 63, v0
	s_waitcnt lgkmcnt(0)
	; wave barrier
	s_waitcnt lgkmcnt(0)
	s_cbranch_scc0 .LBB1179_79
; %bb.57:
	v_mul_lo_u16_sdwa v14, v10, v10 dst_sel:DWORD dst_unused:UNUSED_PAD src0_sel:WORD_1 src1_sel:DWORD
	v_mul_lo_u16_e32 v14, v14, v11
	v_mul_lo_u16_sdwa v14, v14, v11 dst_sel:DWORD dst_unused:UNUSED_PAD src0_sel:DWORD src1_sel:WORD_1
	v_mul_lo_u16_e32 v14, v14, v12
	v_mul_lo_u16_sdwa v14, v14, v12 dst_sel:DWORD dst_unused:UNUSED_PAD src0_sel:DWORD src1_sel:WORD_1
	;; [unrolled: 2-line block ×11, first 2 shown]
	v_mbcnt_hi_u32_b32 v15, -1, v22
	v_and_b32_e32 v16, 15, v15
	v_mov_b32_dpp v17, v14 row_shr:1 row_mask:0xf bank_mask:0xf
	v_mul_lo_u16_e32 v17, v14, v17
	v_cmp_eq_u32_e64 s[4:5], 0, v16
	v_cndmask_b32_e64 v14, v17, v14, s[4:5]
	v_cmp_lt_u32_e64 s[4:5], 1, v16
	s_nop 0
	v_mov_b32_dpp v17, v14 row_shr:2 row_mask:0xf bank_mask:0xf
	v_mul_lo_u16_e32 v17, v14, v17
	v_cndmask_b32_e64 v14, v14, v17, s[4:5]
	v_cmp_lt_u32_e64 s[4:5], 3, v16
	s_nop 0
	v_mov_b32_dpp v17, v14 row_shr:4 row_mask:0xf bank_mask:0xf
	v_mul_lo_u16_e32 v17, v14, v17
	;; [unrolled: 5-line block ×3, first 2 shown]
	v_cndmask_b32_e64 v14, v14, v17, s[4:5]
	v_and_b32_e32 v17, 16, v15
	v_cmp_eq_u32_e64 s[4:5], 0, v17
	v_mov_b32_dpp v16, v14 row_bcast:15 row_mask:0xf bank_mask:0xf
	v_mul_lo_u16_e32 v16, v14, v16
	v_cndmask_b32_e64 v14, v16, v14, s[4:5]
	v_cmp_lt_u32_e64 s[4:5], 31, v15
	s_nop 0
	v_mov_b32_dpp v16, v14 row_bcast:31 row_mask:0xf bank_mask:0xf
	v_cndmask_b32_e64 v16, 1, v16, s[4:5]
	v_mul_lo_u16_e32 v14, v14, v16
	s_and_saveexec_b64 s[4:5], vcc
	s_cbranch_execz .LBB1179_59
; %bb.58:
	v_mov_b32_e32 v16, 0
	ds_write_b16 v16, v14
.LBB1179_59:
	s_or_b64 exec, exec, s[4:5]
	v_add_u32_e32 v16, -1, v15
	v_and_b32_e32 v17, 64, v15
	v_cmp_lt_i32_e32 vcc, v16, v17
	v_cndmask_b32_e32 v16, v16, v15, vcc
	v_lshlrev_b32_e32 v16, 2, v16
	ds_bpermute_b32 v23, v16, v14
	v_cmp_gt_u32_e32 vcc, 64, v0
	s_waitcnt lgkmcnt(0)
	; wave barrier
	s_waitcnt lgkmcnt(0)
	s_and_saveexec_b64 s[10:11], vcc
	s_cbranch_execz .LBB1179_78
; %bb.60:
	v_mov_b32_e32 v17, 0
	ds_read_u16 v24, v17
	s_mov_b32 s9, 0
	v_cmp_eq_u32_e64 s[4:5], 0, v15
	s_and_saveexec_b64 s[6:7], s[4:5]
	s_cbranch_execz .LBB1179_62
; %bb.61:
	s_add_i32 s8, s34, 64
	s_lshl_b64 s[8:9], s[8:9], 2
	s_add_u32 s8, s28, s8
	s_waitcnt lgkmcnt(0)
	v_or_b32_e32 v14, 0x10000, v24
	s_addc_u32 s9, s29, s9
	global_store_dword v17, v14, s[8:9]
.LBB1179_62:
	s_or_b64 exec, exec, s[6:7]
	v_xad_u32 v14, v15, -1, s34
	v_add_u32_e32 v16, 64, v14
	v_lshlrev_b64 v[18:19], 2, v[16:17]
	v_mov_b32_e32 v16, s29
	v_add_co_u32_e32 v18, vcc, s28, v18
	v_addc_co_u32_e32 v19, vcc, v16, v19, vcc
	global_load_dword v37, v[18:19], off glc
	s_waitcnt vmcnt(0)
	v_lshrrev_b32_e32 v26, 16, v37
	v_cmp_eq_u16_sdwa s[8:9], v26, v17 src0_sel:BYTE_0 src1_sel:DWORD
	s_and_saveexec_b64 s[6:7], s[8:9]
	s_cbranch_execz .LBB1179_66
; %bb.63:
	s_mov_b64 s[8:9], 0
	v_mov_b32_e32 v16, 0
.LBB1179_64:                            ; =>This Inner Loop Header: Depth=1
	global_load_dword v37, v[18:19], off glc
	s_waitcnt vmcnt(0)
	v_lshrrev_b32_e32 v26, 16, v37
	v_cmp_ne_u16_sdwa s[36:37], v26, v16 src0_sel:BYTE_0 src1_sel:DWORD
	s_or_b64 s[8:9], s[36:37], s[8:9]
	s_andn2_b64 exec, exec, s[8:9]
	s_cbranch_execnz .LBB1179_64
; %bb.65:
	s_or_b64 exec, exec, s[8:9]
.LBB1179_66:
	s_or_b64 exec, exec, s[6:7]
	v_and_b32_e32 v27, 63, v15
	v_cmp_ne_u32_e32 vcc, 63, v27
	v_mov_b32_e32 v25, 2
	v_addc_co_u32_e32 v28, vcc, 0, v15, vcc
	v_cmp_eq_u16_sdwa s[6:7], v26, v25 src0_sel:BYTE_0 src1_sel:DWORD
	v_lshlrev_b64 v[16:17], v15, -1
	v_and_b32_e32 v29, 0xffff, v37
	v_lshlrev_b32_e32 v28, 2, v28
	v_and_b32_e32 v18, s7, v17
	ds_bpermute_b32 v30, v28, v29
	v_or_b32_e32 v18, 0x80000000, v18
	v_and_b32_e32 v19, s6, v16
	v_ffbl_b32_e32 v18, v18
	v_add_u32_e32 v18, 32, v18
	v_ffbl_b32_e32 v19, v19
	v_min_u32_e32 v18, v19, v18
	s_waitcnt lgkmcnt(0)
	v_mul_lo_u16_e32 v19, v30, v37
	v_cmp_lt_u32_e32 vcc, v27, v18
	v_cmp_gt_u32_e64 s[6:7], 62, v27
	v_cndmask_b32_e32 v31, v29, v19, vcc
	v_cndmask_b32_e64 v29, 0, 1, s[6:7]
	v_lshlrev_b32_e32 v29, 1, v29
	v_add_lshl_u32 v29, v29, v15, 2
	ds_bpermute_b32 v32, v29, v31
	v_cndmask_b32_e32 v19, v37, v19, vcc
	v_add_u32_e32 v30, 2, v27
	v_cmp_gt_u32_e64 s[6:7], v30, v18
	v_cmp_gt_u32_e64 s[8:9], 60, v27
	s_waitcnt lgkmcnt(0)
	v_mul_lo_u16_e32 v32, v19, v32
	v_cndmask_b32_e64 v33, v32, v31, s[6:7]
	v_cndmask_b32_e64 v31, 0, 1, s[8:9]
	v_lshlrev_b32_e32 v31, 2, v31
	v_add_lshl_u32 v31, v31, v15, 2
	ds_bpermute_b32 v34, v31, v33
	v_cndmask_b32_e64 v19, v32, v19, s[6:7]
	v_add_u32_e32 v32, 4, v27
	v_cmp_gt_u32_e64 s[6:7], v32, v18
	v_cmp_gt_u32_e64 s[8:9], 56, v27
	s_waitcnt lgkmcnt(0)
	v_mul_lo_u16_e32 v34, v19, v34
	v_cndmask_b32_e64 v35, v34, v33, s[6:7]
	v_cndmask_b32_e64 v33, 0, 1, s[8:9]
	v_lshlrev_b32_e32 v33, 3, v33
	v_add_lshl_u32 v33, v33, v15, 2
	ds_bpermute_b32 v36, v33, v35
	v_cndmask_b32_e64 v19, v34, v19, s[6:7]
	;; [unrolled: 11-line block ×3, first 2 shown]
	v_add_u32_e32 v36, 16, v27
	v_cmp_gt_u32_e64 s[6:7], v36, v18
	v_cmp_gt_u32_e64 s[8:9], 32, v27
	s_waitcnt lgkmcnt(0)
	v_mul_lo_u16_e32 v40, v19, v39
	v_cndmask_b32_e64 v39, v40, v38, s[6:7]
	v_cndmask_b32_e64 v38, 0, 1, s[8:9]
	v_lshlrev_b32_e32 v38, 5, v38
	v_add_lshl_u32 v38, v38, v15, 2
	ds_bpermute_b32 v15, v38, v39
	v_add_u32_e32 v39, 32, v27
	v_cndmask_b32_e64 v19, v40, v19, s[6:7]
	v_cmp_le_u32_e64 s[6:7], v39, v18
	s_waitcnt lgkmcnt(0)
	v_cndmask_b32_e64 v15, 1, v15, s[6:7]
	v_mul_lo_u16_e32 v15, v19, v15
	v_cndmask_b32_e32 v18, v37, v15, vcc
	v_mov_b32_e32 v15, 0
	s_branch .LBB1179_68
.LBB1179_67:                            ;   in Loop: Header=BB1179_68 Depth=1
	s_or_b64 exec, exec, s[6:7]
	v_cmp_eq_u16_sdwa s[6:7], v26, v25 src0_sel:BYTE_0 src1_sel:DWORD
	v_and_b32_e32 v41, 0xffff, v40
	v_and_b32_e32 v18, s7, v17
	ds_bpermute_b32 v42, v28, v41
	v_or_b32_e32 v18, 0x80000000, v18
	v_and_b32_e32 v19, s6, v16
	v_ffbl_b32_e32 v18, v18
	v_add_u32_e32 v18, 32, v18
	v_ffbl_b32_e32 v19, v19
	v_min_u32_e32 v18, v19, v18
	s_waitcnt lgkmcnt(0)
	v_mul_lo_u16_e32 v19, v42, v40
	v_cmp_lt_u32_e32 vcc, v27, v18
	v_cndmask_b32_e32 v41, v41, v19, vcc
	ds_bpermute_b32 v42, v29, v41
	v_cndmask_b32_e32 v19, v40, v19, vcc
	v_cmp_gt_u32_e64 s[6:7], v30, v18
	v_subrev_u32_e32 v14, 64, v14
	s_waitcnt lgkmcnt(0)
	v_mul_lo_u16_e32 v42, v19, v42
	v_cndmask_b32_e64 v41, v42, v41, s[6:7]
	ds_bpermute_b32 v43, v31, v41
	v_cndmask_b32_e64 v19, v42, v19, s[6:7]
	v_cmp_gt_u32_e64 s[6:7], v32, v18
	s_waitcnt lgkmcnt(0)
	v_mul_lo_u16_e32 v42, v19, v43
	v_cndmask_b32_e64 v41, v42, v41, s[6:7]
	ds_bpermute_b32 v43, v33, v41
	v_cndmask_b32_e64 v19, v42, v19, s[6:7]
	v_cmp_gt_u32_e64 s[6:7], v34, v18
	;; [unrolled: 6-line block ×3, first 2 shown]
	s_waitcnt lgkmcnt(0)
	v_mul_lo_u16_e32 v42, v19, v43
	v_cndmask_b32_e64 v41, v42, v41, s[6:7]
	ds_bpermute_b32 v41, v38, v41
	v_cndmask_b32_e64 v19, v42, v19, s[6:7]
	v_cmp_le_u32_e64 s[6:7], v39, v18
	s_waitcnt lgkmcnt(0)
	v_cndmask_b32_e64 v18, 1, v41, s[6:7]
	v_mul_lo_u16_e32 v18, v19, v18
	v_cndmask_b32_e32 v18, v40, v18, vcc
	v_mul_lo_u16_e32 v18, v18, v37
.LBB1179_68:                            ; =>This Loop Header: Depth=1
                                        ;     Child Loop BB1179_71 Depth 2
	v_cmp_ne_u16_sdwa s[6:7], v26, v25 src0_sel:BYTE_0 src1_sel:DWORD
	v_cndmask_b32_e64 v19, 0, 1, s[6:7]
	;;#ASMSTART
	;;#ASMEND
	v_cmp_ne_u32_e32 vcc, 0, v19
	s_cmp_lg_u64 vcc, exec
	v_mov_b32_e32 v37, v18
	s_cbranch_scc1 .LBB1179_73
; %bb.69:                               ;   in Loop: Header=BB1179_68 Depth=1
	v_lshlrev_b64 v[18:19], 2, v[14:15]
	v_mov_b32_e32 v26, s29
	v_add_co_u32_e32 v18, vcc, s28, v18
	v_addc_co_u32_e32 v19, vcc, v26, v19, vcc
	global_load_dword v40, v[18:19], off glc
	s_waitcnt vmcnt(0)
	v_lshrrev_b32_e32 v26, 16, v40
	v_cmp_eq_u16_sdwa s[8:9], v26, v15 src0_sel:BYTE_0 src1_sel:DWORD
	s_and_saveexec_b64 s[6:7], s[8:9]
	s_cbranch_execz .LBB1179_67
; %bb.70:                               ;   in Loop: Header=BB1179_68 Depth=1
	s_mov_b64 s[8:9], 0
.LBB1179_71:                            ;   Parent Loop BB1179_68 Depth=1
                                        ; =>  This Inner Loop Header: Depth=2
	global_load_dword v40, v[18:19], off glc
	s_waitcnt vmcnt(0)
	v_lshrrev_b32_e32 v26, 16, v40
	v_cmp_ne_u16_sdwa s[36:37], v26, v15 src0_sel:BYTE_0 src1_sel:DWORD
	s_or_b64 s[8:9], s[36:37], s[8:9]
	s_andn2_b64 exec, exec, s[8:9]
	s_cbranch_execnz .LBB1179_71
; %bb.72:                               ;   in Loop: Header=BB1179_68 Depth=1
	s_or_b64 exec, exec, s[8:9]
	s_branch .LBB1179_67
.LBB1179_73:                            ;   in Loop: Header=BB1179_68 Depth=1
                                        ; implicit-def: $vgpr18
                                        ; implicit-def: $vgpr26
	s_cbranch_execz .LBB1179_68
; %bb.74:
	s_and_saveexec_b64 s[6:7], s[4:5]
	s_cbranch_execz .LBB1179_76
; %bb.75:
	s_add_i32 s4, s34, 64
	s_mov_b32 s5, 0
	s_lshl_b64 s[4:5], s[4:5], 2
	v_mul_lo_u16_e32 v14, v37, v24
	s_add_u32 s4, s28, s4
	v_or_b32_e32 v14, 0x20000, v14
	s_addc_u32 s5, s29, s5
	v_mov_b32_e32 v15, 0
	global_store_dword v15, v14, s[4:5]
.LBB1179_76:
	s_or_b64 exec, exec, s[6:7]
	s_and_b64 exec, exec, s[2:3]
	s_cbranch_execz .LBB1179_78
; %bb.77:
	v_mov_b32_e32 v14, 0
	ds_write_b16 v14, v37
.LBB1179_78:
	s_or_b64 exec, exec, s[10:11]
	v_mov_b32_e32 v14, 0
	s_waitcnt lgkmcnt(0)
	; wave barrier
	s_waitcnt lgkmcnt(0)
	ds_read_u16 v14, v14
	v_cndmask_b32_e64 v15, v23, 1, s[2:3]
	v_mul_lo_u16_e32 v15, v15, v10
	s_waitcnt lgkmcnt(0)
	v_mul_lo_u16_e32 v14, v15, v14
	v_mul_lo_u16_sdwa v16, v14, v10 dst_sel:DWORD dst_unused:UNUSED_PAD src0_sel:DWORD src1_sel:WORD_1
	v_mul_lo_u16_e32 v17, v16, v11
	v_mul_lo_u16_sdwa v18, v17, v11 dst_sel:DWORD dst_unused:UNUSED_PAD src0_sel:DWORD src1_sel:WORD_1
	;; [unrolled: 2-line block ×12, first 2 shown]
	s_branch .LBB1179_97
.LBB1179_79:
                                        ; implicit-def: $vgpr14
                                        ; implicit-def: $vgpr16
                                        ; implicit-def: $vgpr17
                                        ; implicit-def: $vgpr18
                                        ; implicit-def: $vgpr27
                                        ; implicit-def: $vgpr33
                                        ; implicit-def: $vgpr41
                                        ; implicit-def: $vgpr48
                                        ; implicit-def: $vgpr38
                                        ; implicit-def: $vgpr45
                                        ; implicit-def: $vgpr51
                                        ; implicit-def: $vgpr52
                                        ; implicit-def: $vgpr53
                                        ; implicit-def: $vgpr54
                                        ; implicit-def: $vgpr56
                                        ; implicit-def: $vgpr58
                                        ; implicit-def: $vgpr55
                                        ; implicit-def: $vgpr57
                                        ; implicit-def: $vgpr59
                                        ; implicit-def: $vgpr60
                                        ; implicit-def: $vgpr61
                                        ; implicit-def: $vgpr62
                                        ; implicit-def: $vgpr63
                                        ; implicit-def: $vgpr64
	s_cbranch_execz .LBB1179_97
; %bb.80:
	s_cmp_lg_u64 s[16:17], 0
	s_cselect_b64 s[4:5], -1, 0
	s_cmp_eq_u64 s[16:17], 0
	s_cselect_b64 s[10:11], -1, 0
	s_and_b64 s[4:5], s[2:3], s[4:5]
	v_mov_b32_e32 v15, v10
	s_and_saveexec_b64 s[2:3], s[4:5]
	s_cbranch_execz .LBB1179_82
; %bb.81:
	v_mov_b32_e32 v14, 0
	global_load_ushort v14, v14, s[12:13]
	s_waitcnt vmcnt(0)
	v_mul_lo_u16_e32 v15, v14, v10
.LBB1179_82:
	s_or_b64 exec, exec, s[2:3]
	v_mul_lo_u16_sdwa v19, v15, v10 dst_sel:DWORD dst_unused:UNUSED_PAD src0_sel:DWORD src1_sel:WORD_1
	v_mul_lo_u16_e32 v23, v19, v11
	v_mul_lo_u16_sdwa v24, v23, v11 dst_sel:DWORD dst_unused:UNUSED_PAD src0_sel:DWORD src1_sel:WORD_1
	v_mul_lo_u16_e32 v25, v24, v12
	;; [unrolled: 2-line block ×10, first 2 shown]
	v_mul_lo_u16_sdwa v47, v46, v4 dst_sel:DWORD dst_unused:UNUSED_PAD src0_sel:DWORD src1_sel:WORD_1
	v_mbcnt_hi_u32_b32 v22, -1, v22
	v_mul_lo_u16_e32 v49, v47, v5
	v_and_b32_e32 v14, 15, v22
	v_mul_lo_u16_sdwa v50, v49, v5 dst_sel:DWORD dst_unused:UNUSED_PAD src0_sel:DWORD src1_sel:WORD_1
	v_mul_lo_u16_sdwa v66, v49, v5 dst_sel:DWORD dst_unused:UNUSED_PAD src0_sel:DWORD src1_sel:WORD_1
	v_cmp_eq_u32_e64 s[8:9], 0, v14
	v_cmp_lt_u32_e64 s[6:7], 1, v14
	v_cmp_lt_u32_e64 s[4:5], 3, v14
	;; [unrolled: 1-line block ×3, first 2 shown]
	s_andn2_b64 vcc, exec, s[10:11]
	v_and_b32_e32 v65, 16, v22
	v_cmp_lt_u32_e64 s[10:11], 31, v22
	s_cbranch_vccnz .LBB1179_88
; %bb.83:
	v_mov_b32_dpp v14, v66 row_shr:1 row_mask:0xf bank_mask:0xf
	v_mul_lo_u16_e32 v14, v50, v14
	v_cndmask_b32_e64 v16, v14, v66, s[8:9]
	v_cndmask_b32_e64 v14, v14, v50, s[8:9]
	v_cmp_eq_u32_e32 vcc, 0, v65
	v_mov_b32_dpp v17, v16 row_shr:2 row_mask:0xf bank_mask:0xf
	v_mul_lo_u16_e32 v17, v14, v17
	v_cndmask_b32_e64 v16, v16, v17, s[6:7]
	v_cndmask_b32_e64 v14, v14, v17, s[6:7]
	s_nop 0
	v_mov_b32_dpp v17, v16 row_shr:4 row_mask:0xf bank_mask:0xf
	v_mul_lo_u16_e32 v17, v14, v17
	v_cndmask_b32_e64 v16, v16, v17, s[4:5]
	v_cndmask_b32_e64 v14, v14, v17, s[4:5]
	s_nop 0
	;; [unrolled: 5-line block ×3, first 2 shown]
	v_mov_b32_dpp v17, v16 row_bcast:15 row_mask:0xf bank_mask:0xf
	v_mul_lo_u16_e32 v17, v14, v17
	v_cndmask_b32_e32 v16, v17, v16, vcc
	v_cndmask_b32_e32 v14, v17, v14, vcc
	v_cmp_eq_u32_e32 vcc, 63, v0
	v_mov_b32_dpp v16, v16 row_bcast:31 row_mask:0xf bank_mask:0xf
	v_cndmask_b32_e64 v16, 1, v16, s[10:11]
	v_mul_lo_u16_e32 v14, v14, v16
	s_and_saveexec_b64 s[10:11], vcc
	s_cbranch_execz .LBB1179_85
; %bb.84:
	v_mov_b32_e32 v16, 0
	ds_write_b16 v16, v14
.LBB1179_85:
	s_or_b64 exec, exec, s[10:11]
	v_add_u32_e32 v16, -1, v22
	v_and_b32_e32 v17, 64, v22
	v_cmp_lt_i32_e32 vcc, v16, v17
	v_cndmask_b32_e32 v16, v16, v22, vcc
	v_lshlrev_b32_e32 v16, 2, v16
	ds_bpermute_b32 v67, v16, v14
	v_mov_b32_e32 v64, v50
	v_mov_b32_e32 v63, v49
	;; [unrolled: 1-line block ×24, first 2 shown]
	s_waitcnt lgkmcnt(0)
	; wave barrier
	s_waitcnt lgkmcnt(0)
	s_and_saveexec_b64 s[10:11], s[0:1]
	s_cbranch_execz .LBB1179_87
; %bb.86:
	v_mul_lo_u16_e32 v14, v15, v67
	v_mul_lo_u16_sdwa v16, v14, v10 dst_sel:DWORD dst_unused:UNUSED_PAD src0_sel:DWORD src1_sel:WORD_1
	v_mul_lo_u16_e32 v17, v16, v11
	v_mul_lo_u16_sdwa v18, v17, v11 dst_sel:DWORD dst_unused:UNUSED_PAD src0_sel:DWORD src1_sel:WORD_1
	;; [unrolled: 2-line block ×12, first 2 shown]
	;;#ASMSTART
	;;#ASMEND
.LBB1179_87:
	s_or_b64 exec, exec, s[10:11]
	v_mul_lo_u16_e32 v14, s33, v14
	v_mul_lo_u16_e32 v16, s33, v16
	;; [unrolled: 1-line block ×24, first 2 shown]
	s_branch .LBB1179_94
.LBB1179_88:
                                        ; implicit-def: $vgpr14
                                        ; implicit-def: $vgpr16
                                        ; implicit-def: $vgpr17
                                        ; implicit-def: $vgpr18
                                        ; implicit-def: $vgpr27
                                        ; implicit-def: $vgpr33
                                        ; implicit-def: $vgpr41
                                        ; implicit-def: $vgpr48
                                        ; implicit-def: $vgpr38
                                        ; implicit-def: $vgpr45
                                        ; implicit-def: $vgpr51
                                        ; implicit-def: $vgpr52
                                        ; implicit-def: $vgpr53
                                        ; implicit-def: $vgpr54
                                        ; implicit-def: $vgpr56
                                        ; implicit-def: $vgpr58
                                        ; implicit-def: $vgpr55
                                        ; implicit-def: $vgpr57
                                        ; implicit-def: $vgpr59
                                        ; implicit-def: $vgpr60
                                        ; implicit-def: $vgpr61
                                        ; implicit-def: $vgpr62
                                        ; implicit-def: $vgpr63
                                        ; implicit-def: $vgpr64
	s_cbranch_execz .LBB1179_94
; %bb.89:
	s_nop 0
	v_mov_b32_dpp v14, v66 row_shr:1 row_mask:0xf bank_mask:0xf
	v_mul_lo_u16_e32 v14, v50, v14
	v_cndmask_b32_e64 v16, v14, v66, s[8:9]
	v_cndmask_b32_e64 v14, v14, v50, s[8:9]
	v_cmp_eq_u32_e32 vcc, 0, v65
	v_mov_b32_dpp v17, v16 row_shr:2 row_mask:0xf bank_mask:0xf
	v_mul_lo_u16_e32 v17, v14, v17
	v_cndmask_b32_e64 v16, v16, v17, s[6:7]
	v_cndmask_b32_e64 v14, v14, v17, s[6:7]
	s_nop 0
	v_mov_b32_dpp v17, v16 row_shr:4 row_mask:0xf bank_mask:0xf
	v_mul_lo_u16_e32 v17, v14, v17
	v_cndmask_b32_e64 v16, v16, v17, s[4:5]
	v_cndmask_b32_e64 v14, v14, v17, s[4:5]
	s_nop 0
	;; [unrolled: 5-line block ×3, first 2 shown]
	v_mov_b32_dpp v17, v16 row_bcast:15 row_mask:0xf bank_mask:0xf
	v_mul_lo_u16_e32 v17, v14, v17
	v_cndmask_b32_e32 v16, v17, v16, vcc
	v_cndmask_b32_e32 v14, v17, v14, vcc
	v_cmp_lt_u32_e32 vcc, 31, v22
	v_mov_b32_dpp v16, v16 row_bcast:31 row_mask:0xf bank_mask:0xf
	v_cndmask_b32_e32 v16, 1, v16, vcc
	v_mul_lo_u16_e32 v14, v14, v16
	v_cmp_eq_u32_e32 vcc, 63, v0
	s_and_saveexec_b64 s[2:3], vcc
	s_cbranch_execz .LBB1179_91
; %bb.90:
	v_mov_b32_e32 v16, 0
	ds_write_b16 v16, v14
.LBB1179_91:
	s_or_b64 exec, exec, s[2:3]
	v_add_u32_e32 v16, -1, v22
	v_and_b32_e32 v17, 64, v22
	v_cmp_lt_i32_e32 vcc, v16, v17
	v_cndmask_b32_e32 v16, v16, v22, vcc
	v_lshlrev_b32_e32 v16, 2, v16
	ds_bpermute_b32 v14, v16, v14
	s_waitcnt lgkmcnt(0)
	; wave barrier
	s_waitcnt lgkmcnt(0)
	s_and_saveexec_b64 s[2:3], s[0:1]
	s_cbranch_execz .LBB1179_93
; %bb.92:
	v_mul_lo_u16_e32 v15, v15, v14
	v_mul_lo_u16_sdwa v19, v15, v10 dst_sel:DWORD dst_unused:UNUSED_PAD src0_sel:DWORD src1_sel:WORD_1
	v_mul_lo_u16_e32 v23, v19, v11
	v_mul_lo_u16_sdwa v24, v23, v11 dst_sel:DWORD dst_unused:UNUSED_PAD src0_sel:DWORD src1_sel:WORD_1
	;; [unrolled: 2-line block ×12, first 2 shown]
	;;#ASMSTART
	;;#ASMEND
.LBB1179_93:
	s_or_b64 exec, exec, s[2:3]
	v_mov_b32_e32 v14, v15
	v_mov_b32_e32 v16, v19
	;; [unrolled: 1-line block ×24, first 2 shown]
.LBB1179_94:
	v_cmp_eq_u32_e32 vcc, 63, v0
	s_and_saveexec_b64 s[0:1], vcc
	s_cbranch_execz .LBB1179_96
; %bb.95:
	s_mov_b32 s2, 0x20000
	v_mov_b32_e32 v2, 0
	v_or_b32_sdwa v3, v64, s2 dst_sel:DWORD dst_unused:UNUSED_PAD src0_sel:WORD_0 src1_sel:DWORD
	global_store_dword v2, v3, s[28:29] offset:256
.LBB1179_96:
	s_or_b64 exec, exec, s[0:1]
.LBB1179_97:
	s_add_u32 s0, s24, s22
	s_addc_u32 s1, s25, s23
	s_add_u32 s2, s0, s26
	s_addc_u32 s3, s1, s27
	s_mov_b64 s[0:1], -1
	s_and_b64 vcc, exec, s[20:21]
	s_waitcnt lgkmcnt(0)
	; wave barrier
	s_cbranch_vccz .LBB1179_99
; %bb.98:
	s_mov_b32 s0, 0x5040100
	v_perm_b32 v5, v48, v41, s0
	v_perm_b32 v4, v33, v27, s0
	;; [unrolled: 1-line block ×4, first 2 shown]
	ds_write_b128 v1, v[2:5]
	v_perm_b32 v5, v58, v56, s0
	v_perm_b32 v4, v54, v53, s0
	;; [unrolled: 1-line block ×4, first 2 shown]
	ds_write_b128 v1, v[2:5] offset:16
	v_perm_b32 v5, v64, v63, s0
	v_perm_b32 v4, v62, v61, s0
	;; [unrolled: 1-line block ×4, first 2 shown]
	ds_write_b128 v1, v[2:5] offset:32
	s_waitcnt lgkmcnt(0)
	; wave barrier
	s_waitcnt lgkmcnt(0)
	ds_read_u16 v4, v20
	ds_read_u16 v5, v20 offset:128
	ds_read_u16 v6, v20 offset:256
	;; [unrolled: 1-line block ×23, first 2 shown]
	v_mov_b32_e32 v3, s3
	v_add_co_u32_e32 v2, vcc, s2, v20
	v_addc_co_u32_e32 v3, vcc, 0, v3, vcc
	s_waitcnt lgkmcnt(14)
	flat_store_short v[2:3], v4
	flat_store_short v[2:3], v5 offset:128
	flat_store_short v[2:3], v6 offset:256
	;; [unrolled: 1-line block ×9, first 2 shown]
	s_waitcnt lgkmcnt(0)
	flat_store_short v[2:3], v15 offset:1280
	flat_store_short v[2:3], v19 offset:1408
	;; [unrolled: 1-line block ×14, first 2 shown]
	s_mov_b64 s[0:1], 0
.LBB1179_99:
	s_andn2_b64 vcc, exec, s[0:1]
	s_cbranch_vccnz .LBB1179_156
; %bb.100:
	s_mov_b32 s0, 0x5040100
	v_perm_b32 v5, v48, v41, s0
	v_perm_b32 v4, v33, v27, s0
	;; [unrolled: 1-line block ×4, first 2 shown]
	ds_write_b128 v1, v[2:5]
	v_perm_b32 v5, v58, v56, s0
	v_perm_b32 v4, v54, v53, s0
	v_perm_b32 v3, v52, v51, s0
	v_perm_b32 v2, v45, v38, s0
	ds_write_b128 v1, v[2:5] offset:16
	v_perm_b32 v5, v64, v63, s0
	v_perm_b32 v4, v62, v61, s0
	;; [unrolled: 1-line block ×4, first 2 shown]
	ds_write_b128 v1, v[2:5] offset:32
	s_waitcnt lgkmcnt(0)
	; wave barrier
	s_waitcnt lgkmcnt(0)
	ds_read_u16 v5, v20
	ds_read_u16 v4, v20 offset:128
	ds_read_u16 v7, v20 offset:256
	;; [unrolled: 1-line block ×23, first 2 shown]
	v_mov_b32_e32 v3, s3
	v_add_co_u32_e32 v2, vcc, s2, v20
	v_addc_co_u32_e32 v3, vcc, 0, v3, vcc
	v_mov_b32_e32 v1, 0
	v_cmp_gt_u32_e32 vcc, s30, v0
	s_and_saveexec_b64 s[0:1], vcc
	s_cbranch_execz .LBB1179_102
; %bb.101:
	s_waitcnt lgkmcnt(0)
	flat_store_short v[2:3], v5
.LBB1179_102:
	s_or_b64 exec, exec, s[0:1]
	v_or_b32_e32 v20, 64, v0
	v_cmp_gt_u32_e32 vcc, s30, v20
	s_and_saveexec_b64 s[0:1], vcc
	s_cbranch_execz .LBB1179_104
; %bb.103:
	s_waitcnt lgkmcnt(0)
	flat_store_short v[2:3], v4 offset:128
.LBB1179_104:
	s_or_b64 exec, exec, s[0:1]
	v_or_b32_e32 v20, 0x80, v0
	v_cmp_gt_u32_e32 vcc, s30, v20
	s_and_saveexec_b64 s[0:1], vcc
	s_cbranch_execz .LBB1179_106
; %bb.105:
	s_waitcnt lgkmcnt(0)
	flat_store_short v[2:3], v7 offset:256
.LBB1179_106:
	s_or_b64 exec, exec, s[0:1]
	v_or_b32_e32 v20, 0xc0, v0
	v_cmp_gt_u32_e32 vcc, s30, v20
	s_and_saveexec_b64 s[0:1], vcc
	s_cbranch_execz .LBB1179_108
; %bb.107:
	s_waitcnt lgkmcnt(0)
	flat_store_short v[2:3], v8 offset:384
.LBB1179_108:
	s_or_b64 exec, exec, s[0:1]
	v_or_b32_e32 v20, 0x100, v0
	v_cmp_gt_u32_e32 vcc, s30, v20
	s_and_saveexec_b64 s[0:1], vcc
	s_cbranch_execz .LBB1179_110
; %bb.109:
	s_waitcnt lgkmcnt(0)
	flat_store_short v[2:3], v6 offset:512
.LBB1179_110:
	s_or_b64 exec, exec, s[0:1]
	v_or_b32_e32 v20, 0x140, v0
	v_cmp_gt_u32_e32 vcc, s30, v20
	s_and_saveexec_b64 s[0:1], vcc
	s_cbranch_execz .LBB1179_112
; %bb.111:
	s_waitcnt lgkmcnt(0)
	flat_store_short v[2:3], v9 offset:640
.LBB1179_112:
	s_or_b64 exec, exec, s[0:1]
	v_or_b32_e32 v20, 0x180, v0
	v_cmp_gt_u32_e32 vcc, s30, v20
	s_and_saveexec_b64 s[0:1], vcc
	s_cbranch_execz .LBB1179_114
; %bb.113:
	s_waitcnt lgkmcnt(0)
	flat_store_short v[2:3], v17 offset:768
.LBB1179_114:
	s_or_b64 exec, exec, s[0:1]
	v_or_b32_e32 v20, 0x1c0, v0
	v_cmp_gt_u32_e32 vcc, s30, v20
	s_and_saveexec_b64 s[0:1], vcc
	s_cbranch_execz .LBB1179_116
; %bb.115:
	s_waitcnt lgkmcnt(0)
	flat_store_short v[2:3], v15 offset:896
.LBB1179_116:
	s_or_b64 exec, exec, s[0:1]
	v_or_b32_e32 v20, 0x200, v0
	v_cmp_gt_u32_e32 vcc, s30, v20
	s_and_saveexec_b64 s[0:1], vcc
	s_cbranch_execz .LBB1179_118
; %bb.117:
	s_waitcnt lgkmcnt(0)
	flat_store_short v[2:3], v16 offset:1024
.LBB1179_118:
	s_or_b64 exec, exec, s[0:1]
	v_or_b32_e32 v20, 0x240, v0
	v_cmp_gt_u32_e32 vcc, s30, v20
	s_and_saveexec_b64 s[0:1], vcc
	s_cbranch_execz .LBB1179_120
; %bb.119:
	s_waitcnt lgkmcnt(0)
	flat_store_short v[2:3], v25 offset:1152
.LBB1179_120:
	s_or_b64 exec, exec, s[0:1]
	v_or_b32_e32 v20, 0x280, v0
	v_cmp_gt_u32_e32 vcc, s30, v20
	s_and_saveexec_b64 s[0:1], vcc
	s_cbranch_execz .LBB1179_122
; %bb.121:
	s_waitcnt lgkmcnt(0)
	flat_store_short v[2:3], v22 offset:1280
.LBB1179_122:
	s_or_b64 exec, exec, s[0:1]
	v_or_b32_e32 v20, 0x2c0, v0
	v_cmp_gt_u32_e32 vcc, s30, v20
	s_and_saveexec_b64 s[0:1], vcc
	s_cbranch_execz .LBB1179_124
; %bb.123:
	s_waitcnt lgkmcnt(0)
	flat_store_short v[2:3], v19 offset:1408
.LBB1179_124:
	s_or_b64 exec, exec, s[0:1]
	v_or_b32_e32 v20, 0x300, v0
	v_cmp_gt_u32_e32 vcc, s30, v20
	s_and_saveexec_b64 s[0:1], vcc
	s_cbranch_execz .LBB1179_126
; %bb.125:
	s_waitcnt lgkmcnt(0)
	flat_store_short v[2:3], v18 offset:1536
.LBB1179_126:
	s_or_b64 exec, exec, s[0:1]
	v_or_b32_e32 v20, 0x340, v0
	v_cmp_gt_u32_e32 vcc, s30, v20
	s_and_saveexec_b64 s[0:1], vcc
	s_cbranch_execz .LBB1179_128
; %bb.127:
	s_waitcnt lgkmcnt(0)
	flat_store_short v[2:3], v13 offset:1664
.LBB1179_128:
	s_or_b64 exec, exec, s[0:1]
	v_or_b32_e32 v20, 0x380, v0
	v_cmp_gt_u32_e32 vcc, s30, v20
	s_and_saveexec_b64 s[0:1], vcc
	s_cbranch_execz .LBB1179_130
; %bb.129:
	s_waitcnt lgkmcnt(0)
	flat_store_short v[2:3], v14 offset:1792
.LBB1179_130:
	s_or_b64 exec, exec, s[0:1]
	v_or_b32_e32 v20, 0x3c0, v0
	v_cmp_gt_u32_e32 vcc, s30, v20
	s_and_saveexec_b64 s[0:1], vcc
	s_cbranch_execz .LBB1179_132
; %bb.131:
	s_waitcnt lgkmcnt(0)
	flat_store_short v[2:3], v10 offset:1920
.LBB1179_132:
	s_or_b64 exec, exec, s[0:1]
	v_or_b32_e32 v20, 0x400, v0
	v_cmp_gt_u32_e32 vcc, s30, v20
	s_and_saveexec_b64 s[0:1], vcc
	s_cbranch_execz .LBB1179_134
; %bb.133:
	s_waitcnt lgkmcnt(0)
	flat_store_short v[2:3], v24 offset:2048
.LBB1179_134:
	s_or_b64 exec, exec, s[0:1]
	v_or_b32_e32 v20, 0x440, v0
	v_cmp_gt_u32_e32 vcc, s30, v20
	s_and_saveexec_b64 s[0:1], vcc
	s_cbranch_execz .LBB1179_136
; %bb.135:
	s_waitcnt lgkmcnt(0)
	flat_store_short v[2:3], v27 offset:2176
.LBB1179_136:
	s_or_b64 exec, exec, s[0:1]
	v_or_b32_e32 v20, 0x480, v0
	v_cmp_gt_u32_e32 vcc, s30, v20
	s_and_saveexec_b64 s[0:1], vcc
	s_cbranch_execz .LBB1179_138
; %bb.137:
	s_waitcnt lgkmcnt(0)
	flat_store_short v[2:3], v26 offset:2304
.LBB1179_138:
	s_or_b64 exec, exec, s[0:1]
	v_or_b32_e32 v20, 0x4c0, v0
	v_cmp_gt_u32_e32 vcc, s30, v20
	s_and_saveexec_b64 s[0:1], vcc
	s_cbranch_execz .LBB1179_140
; %bb.139:
	s_waitcnt lgkmcnt(0)
	flat_store_short v[2:3], v23 offset:2432
.LBB1179_140:
	s_or_b64 exec, exec, s[0:1]
	v_or_b32_e32 v20, 0x500, v0
	v_cmp_gt_u32_e32 vcc, s30, v20
	s_and_saveexec_b64 s[0:1], vcc
	s_cbranch_execz .LBB1179_142
; %bb.141:
	s_waitcnt lgkmcnt(0)
	flat_store_short v[2:3], v12 offset:2560
.LBB1179_142:
	s_or_b64 exec, exec, s[0:1]
	v_or_b32_e32 v20, 0x540, v0
	v_cmp_gt_u32_e32 vcc, s30, v20
	s_and_saveexec_b64 s[0:1], vcc
	s_cbranch_execz .LBB1179_144
; %bb.143:
	s_waitcnt lgkmcnt(0)
	flat_store_short v[2:3], v11 offset:2688
.LBB1179_144:
	s_or_b64 exec, exec, s[0:1]
	v_or_b32_e32 v20, 0x580, v0
	v_cmp_gt_u32_e32 vcc, s30, v20
	s_and_saveexec_b64 s[0:1], vcc
	s_cbranch_execz .LBB1179_146
; %bb.145:
	s_waitcnt lgkmcnt(0)
	flat_store_short v[2:3], v28 offset:2816
.LBB1179_146:
	s_or_b64 exec, exec, s[0:1]
	v_or_b32_e32 v20, 0x5c0, v0
	v_cmp_gt_u32_e32 vcc, s30, v20
	s_and_saveexec_b64 s[0:1], vcc
	s_cbranch_execz .LBB1179_148
; %bb.147:
	s_waitcnt lgkmcnt(0)
	flat_store_short v[2:3], v29 offset:2944
.LBB1179_148:
	s_or_b64 exec, exec, s[0:1]
	v_cmp_lt_u64_e64 s[0:1], s[18:19], 2
	s_and_b64 vcc, exec, s[0:1]
	s_cbranch_vccnz .LBB1179_156
; %bb.149:
	s_add_u32 s0, s30, -1
	s_addc_u32 s1, s31, -1
	s_add_u32 s2, 0, 0xaaaa0000
	s_addc_u32 s3, 0, 42
	s_add_i32 s3, s3, 0xaaaaa80
	s_mul_hi_u32 s7, s2, 0xffffffe8
	s_sub_i32 s7, s7, s2
	s_mul_i32 s8, s3, 0xffffffe8
	s_mul_i32 s4, s2, 0xffffffe8
	s_add_i32 s7, s7, s8
	s_mul_hi_u32 s5, s3, s4
	s_mul_i32 s6, s3, s4
	s_mul_i32 s9, s2, s7
	s_mul_hi_u32 s4, s2, s4
	s_mul_hi_u32 s8, s2, s7
	s_add_u32 s4, s4, s9
	s_addc_u32 s8, 0, s8
	s_add_u32 s4, s4, s6
	s_mul_hi_u32 s9, s3, s7
	s_addc_u32 s4, s8, s5
	s_addc_u32 s5, s9, 0
	s_mul_i32 s6, s3, s7
	s_add_u32 s4, s4, s6
	v_mov_b32_e32 v2, s4
	s_addc_u32 s5, 0, s5
	v_add_co_u32_e32 v2, vcc, s2, v2
	s_cmp_lg_u64 vcc, 0
	s_addc_u32 s2, s3, s5
	v_readfirstlane_b32 s5, v2
	s_mul_i32 s4, s0, s2
	s_mul_hi_u32 s6, s0, s5
	s_mul_hi_u32 s3, s0, s2
	s_add_u32 s4, s6, s4
	s_addc_u32 s3, 0, s3
	s_mul_hi_u32 s7, s1, s5
	s_mul_i32 s5, s1, s5
	s_add_u32 s4, s4, s5
	s_mul_hi_u32 s6, s1, s2
	s_addc_u32 s3, s3, s7
	s_addc_u32 s4, s6, 0
	s_mul_i32 s2, s1, s2
	s_add_u32 s2, s3, s2
	s_addc_u32 s3, 0, s4
	s_add_u32 s4, s2, 1
	s_addc_u32 s5, s3, 0
	s_add_u32 s6, s2, 2
	s_mul_i32 s8, s3, 24
	s_mul_hi_u32 s9, s2, 24
	s_addc_u32 s7, s3, 0
	s_add_i32 s9, s9, s8
	s_mul_i32 s8, s2, 24
	v_mov_b32_e32 v2, s8
	v_sub_co_u32_e32 v2, vcc, s0, v2
	s_cmp_lg_u64 vcc, 0
	s_subb_u32 s8, s1, s9
	v_subrev_co_u32_e32 v3, vcc, 24, v2
	s_cmp_lg_u64 vcc, 0
	s_subb_u32 s9, s8, 0
	v_readfirstlane_b32 s10, v3
	s_cmp_gt_u32 s10, 23
	s_cselect_b32 s10, -1, 0
	s_cmp_eq_u32 s9, 0
	s_cselect_b32 s9, s10, -1
	s_cmp_lg_u32 s9, 0
	s_cselect_b32 s4, s6, s4
	v_readfirstlane_b32 s6, v2
	s_cselect_b32 s5, s7, s5
	s_cmp_gt_u32 s6, 23
	s_cselect_b32 s6, -1, 0
	s_cmp_eq_u32 s8, 0
	s_cselect_b32 s6, s6, -1
	s_cmp_lg_u32 s6, 0
	s_cselect_b32 s3, s5, s3
	s_cselect_b32 s2, s4, s2
	v_cmp_eq_u64_e32 vcc, s[2:3], v[0:1]
	s_and_saveexec_b64 s[2:3], vcc
	s_cbranch_execz .LBB1179_156
; %bb.150:
	v_mul_hi_u32_u24_e32 v1, 24, v0
	v_mov_b32_e32 v2, s1
	v_sub_co_u32_e32 v0, vcc, s0, v21
	v_subb_co_u32_e32 v1, vcc, v2, v1, vcc
	v_cmp_lt_i64_e32 vcc, 11, v[0:1]
	s_mov_b64 s[0:1], 0
	s_mov_b64 s[8:9], 0
	;; [unrolled: 1-line block ×4, first 2 shown]
	s_and_saveexec_b64 s[2:3], vcc
	s_xor_b64 s[2:3], exec, s[2:3]
	s_cbranch_execnz .LBB1179_157
; %bb.151:
	s_andn2_saveexec_b64 s[2:3], s[2:3]
	s_cbranch_execnz .LBB1179_202
.LBB1179_152:
	s_or_b64 exec, exec, s[2:3]
	s_and_saveexec_b64 s[2:3], s[8:9]
	s_cbranch_execnz .LBB1179_219
.LBB1179_153:
	s_or_b64 exec, exec, s[2:3]
	s_and_saveexec_b64 s[2:3], s[6:7]
	s_cbranch_execnz .LBB1179_220
.LBB1179_154:
	s_or_b64 exec, exec, s[2:3]
	s_and_saveexec_b64 s[2:3], s[4:5]
	s_xor_b64 s[2:3], exec, s[2:3]
	s_cbranch_execnz .LBB1179_221
.LBB1179_155:
	s_or_b64 exec, exec, s[2:3]
	s_and_b64 exec, exec, s[0:1]
	s_cbranch_execnz .LBB1179_222
.LBB1179_156:
	s_endpgm
.LBB1179_157:
	v_cmp_lt_i64_e32 vcc, 17, v[0:1]
	s_and_saveexec_b64 s[10:11], vcc
	s_xor_b64 s[10:11], exec, s[10:11]
	s_cbranch_execz .LBB1179_179
; %bb.158:
	v_cmp_lt_i64_e32 vcc, 20, v[0:1]
                                        ; implicit-def: $vgpr10
	s_and_saveexec_b64 s[12:13], vcc
	s_xor_b64 s[12:13], exec, s[12:13]
	s_cbranch_execz .LBB1179_168
; %bb.159:
	v_cmp_lt_i64_e32 vcc, 21, v[0:1]
	s_mov_b64 s[16:17], 0
                                        ; implicit-def: $vgpr10
	s_and_saveexec_b64 s[4:5], vcc
	s_xor_b64 s[4:5], exec, s[4:5]
	s_cbranch_execz .LBB1179_165
; %bb.160:
	v_cmp_lt_i64_e32 vcc, 22, v[0:1]
	s_and_saveexec_b64 s[16:17], vcc
	s_xor_b64 s[16:17], exec, s[16:17]
	s_cbranch_execz .LBB1179_162
; %bb.161:
	v_mov_b32_e32 v2, 0
	s_waitcnt lgkmcnt(0)
	global_store_short v2, v29, s[14:15]
                                        ; implicit-def: $vgpr28
.LBB1179_162:
	s_or_saveexec_b64 s[16:17], s[16:17]
	s_mov_b64 s[18:19], 0
	s_xor_b64 exec, exec, s[16:17]
; %bb.163:
	s_mov_b64 s[18:19], exec
; %bb.164:
	s_or_b64 exec, exec, s[16:17]
	s_and_b64 s[16:17], s[18:19], exec
	s_waitcnt lgkmcnt(0)
	v_mov_b32_e32 v10, v28
                                        ; implicit-def: $vgpr11
.LBB1179_165:
	s_andn2_saveexec_b64 s[4:5], s[4:5]
; %bb.166:
	s_mov_b64 s[6:7], exec
                                        ; implicit-def: $vgpr10
; %bb.167:
	s_or_b64 exec, exec, s[4:5]
	s_and_b64 s[4:5], s[16:17], exec
	s_and_b64 s[6:7], s[6:7], exec
                                        ; implicit-def: $vgpr26
                                        ; implicit-def: $vgpr12
                                        ; implicit-def: $vgpr23
.LBB1179_168:
	s_andn2_saveexec_b64 s[12:13], s[12:13]
	s_cbranch_execz .LBB1179_178
; %bb.169:
	v_cmp_lt_i64_e32 vcc, 18, v[0:1]
	s_mov_b64 s[16:17], 0
	s_and_saveexec_b64 s[8:9], vcc
	s_xor_b64 s[8:9], exec, s[8:9]
	s_cbranch_execz .LBB1179_175
; %bb.170:
	v_cmp_lt_i64_e32 vcc, 19, v[0:1]
	s_and_saveexec_b64 s[18:19], vcc
	s_xor_b64 s[18:19], exec, s[18:19]
; %bb.171:
	s_mov_b64 s[16:17], exec
                                        ; implicit-def: $vgpr23
; %bb.172:
	s_andn2_saveexec_b64 s[18:19], s[18:19]
	s_cbranch_execz .LBB1179_174
; %bb.173:
	v_mov_b32_e32 v2, 0
	s_waitcnt lgkmcnt(0)
	global_store_short v2, v23, s[14:15]
                                        ; implicit-def: $vgpr12
.LBB1179_174:
	s_or_b64 exec, exec, s[18:19]
	s_and_b64 s[16:17], s[16:17], exec
                                        ; implicit-def: $vgpr26
.LBB1179_175:
	s_andn2_saveexec_b64 s[8:9], s[8:9]
	s_cbranch_execz .LBB1179_177
; %bb.176:
	v_mov_b32_e32 v2, 0
	s_waitcnt lgkmcnt(0)
	global_store_short v2, v26, s[14:15]
                                        ; implicit-def: $vgpr12
.LBB1179_177:
	s_or_b64 exec, exec, s[8:9]
	s_and_b64 s[8:9], s[16:17], exec
                                        ; implicit-def: $vgpr10
                                        ; implicit-def: $vgpr11
.LBB1179_178:
	s_or_b64 exec, exec, s[12:13]
	s_and_b64 s[4:5], s[4:5], exec
	s_and_b64 s[6:7], s[6:7], exec
	;; [unrolled: 1-line block ×3, first 2 shown]
                                        ; implicit-def: $vgpr18
                                        ; implicit-def: $vgpr13
                                        ; implicit-def: $vgpr14
                                        ; implicit-def: $vgpr24
                                        ; implicit-def: $vgpr27
.LBB1179_179:
	s_andn2_saveexec_b64 s[10:11], s[10:11]
	s_cbranch_execz .LBB1179_201
; %bb.180:
	v_cmp_lt_i64_e32 vcc, 14, v[0:1]
	s_mov_b64 s[12:13], s[4:5]
	s_and_saveexec_b64 s[16:17], vcc
	s_xor_b64 s[16:17], exec, s[16:17]
	s_cbranch_execz .LBB1179_190
; %bb.181:
	v_cmp_lt_i64_e32 vcc, 15, v[0:1]
	s_and_saveexec_b64 s[12:13], vcc
	s_xor_b64 s[12:13], exec, s[12:13]
	s_cbranch_execz .LBB1179_187
; %bb.182:
	v_cmp_lt_i64_e32 vcc, 16, v[0:1]
	s_and_saveexec_b64 s[18:19], vcc
	s_xor_b64 s[18:19], exec, s[18:19]
	s_cbranch_execz .LBB1179_184
; %bb.183:
	v_mov_b32_e32 v2, 0
	s_waitcnt lgkmcnt(0)
	global_store_short v2, v27, s[14:15]
                                        ; implicit-def: $vgpr24
.LBB1179_184:
	s_andn2_saveexec_b64 s[18:19], s[18:19]
	s_cbranch_execz .LBB1179_186
; %bb.185:
	v_mov_b32_e32 v2, 0
	s_waitcnt lgkmcnt(0)
	global_store_short v2, v24, s[14:15]
.LBB1179_186:
	s_or_b64 exec, exec, s[18:19]
                                        ; implicit-def: $vgpr10
.LBB1179_187:
	s_or_saveexec_b64 s[12:13], s[12:13]
	s_mov_b64 s[18:19], s[4:5]
	s_xor_b64 exec, exec, s[12:13]
; %bb.188:
	s_or_b64 s[18:19], s[4:5], exec
; %bb.189:
	s_or_b64 exec, exec, s[12:13]
	s_andn2_b64 s[12:13], s[4:5], exec
	s_and_b64 s[18:19], s[18:19], exec
	s_or_b64 s[12:13], s[12:13], s[18:19]
                                        ; implicit-def: $vgpr18
                                        ; implicit-def: $vgpr13
                                        ; implicit-def: $vgpr14
.LBB1179_190:
	s_or_saveexec_b64 s[16:17], s[16:17]
	s_mov_b64 s[18:19], s[6:7]
                                        ; implicit-def: $vgpr11
	s_xor_b64 exec, exec, s[16:17]
	s_cbranch_execz .LBB1179_200
; %bb.191:
	v_cmp_lt_i64_e32 vcc, 12, v[0:1]
	s_mov_b64 s[20:21], s[6:7]
	s_mov_b64 s[22:23], s[12:13]
                                        ; implicit-def: $vgpr10
                                        ; implicit-def: $vgpr11
	s_and_saveexec_b64 s[18:19], vcc
	s_xor_b64 s[18:19], exec, s[18:19]
	s_cbranch_execz .LBB1179_197
; %bb.192:
	v_cmp_lt_i64_e32 vcc, 13, v[0:1]
	s_mov_b64 s[20:21], s[12:13]
	s_and_saveexec_b64 s[22:23], vcc
	s_xor_b64 s[22:23], exec, s[22:23]
; %bb.193:
	s_or_b64 s[20:21], s[12:13], exec
                                        ; implicit-def: $vgpr13
; %bb.194:
	s_or_saveexec_b64 s[22:23], s[22:23]
	s_mov_b64 s[24:25], s[6:7]
	s_xor_b64 exec, exec, s[22:23]
; %bb.195:
	s_or_b64 s[24:25], s[6:7], exec
                                        ; implicit-def: $vgpr14
; %bb.196:
	s_or_b64 exec, exec, s[22:23]
	s_andn2_b64 s[22:23], s[12:13], exec
	s_and_b64 s[20:21], s[20:21], exec
	s_or_b64 s[22:23], s[22:23], s[20:21]
	s_andn2_b64 s[20:21], s[6:7], exec
	s_and_b64 s[24:25], s[24:25], exec
	s_or_b64 s[20:21], s[20:21], s[24:25]
	s_waitcnt lgkmcnt(0)
	v_mov_b32_e32 v10, v14
	v_mov_b32_e32 v11, v13
                                        ; implicit-def: $vgpr18
.LBB1179_197:
	s_andn2_saveexec_b64 s[18:19], s[18:19]
	s_cbranch_execz .LBB1179_199
; %bb.198:
	s_or_b64 s[20:21], s[20:21], exec
                                        ; implicit-def: $vgpr10
	s_waitcnt lgkmcnt(0)
	v_mov_b32_e32 v11, v18
.LBB1179_199:
	s_or_b64 exec, exec, s[18:19]
	s_andn2_b64 s[12:13], s[12:13], exec
	s_and_b64 s[18:19], s[22:23], exec
	s_or_b64 s[12:13], s[12:13], s[18:19]
	s_andn2_b64 s[18:19], s[6:7], exec
	s_and_b64 s[20:21], s[20:21], exec
	s_or_b64 s[18:19], s[18:19], s[20:21]
.LBB1179_200:
	s_or_b64 exec, exec, s[16:17]
	s_andn2_b64 s[4:5], s[4:5], exec
	s_and_b64 s[12:13], s[12:13], exec
	s_or_b64 s[4:5], s[4:5], s[12:13]
	s_andn2_b64 s[6:7], s[6:7], exec
	s_and_b64 s[12:13], s[18:19], exec
	s_or_b64 s[6:7], s[6:7], s[12:13]
                                        ; implicit-def: $vgpr12
.LBB1179_201:
	s_or_b64 exec, exec, s[10:11]
	s_and_b64 s[4:5], s[4:5], exec
	s_and_b64 s[6:7], s[6:7], exec
	;; [unrolled: 1-line block ×3, first 2 shown]
                                        ; implicit-def: $vgpr17
                                        ; implicit-def: $vgpr15
                                        ; implicit-def: $vgpr16
                                        ; implicit-def: $vgpr25
                                        ; implicit-def: $vgpr22
                                        ; implicit-def: $vgpr19
	s_andn2_saveexec_b64 s[2:3], s[2:3]
	s_cbranch_execz .LBB1179_152
.LBB1179_202:
	v_cmp_lt_i64_e32 vcc, 5, v[0:1]
	s_mov_b64 s[12:13], -1
	s_mov_b64 s[10:11], s[8:9]
	s_mov_b64 s[16:17], s[6:7]
	;; [unrolled: 1-line block ×3, first 2 shown]
                                        ; implicit-def: $vgpr10
                                        ; implicit-def: $vgpr11
                                        ; implicit-def: $vgpr12
	s_and_saveexec_b64 s[0:1], vcc
	s_cbranch_execz .LBB1179_218
; %bb.203:
	v_cmp_lt_i64_e32 vcc, 8, v[0:1]
	s_mov_b64 s[10:11], s[8:9]
                                        ; implicit-def: $vgpr12
	s_and_saveexec_b64 s[12:13], vcc
	s_xor_b64 s[12:13], exec, s[12:13]
	s_cbranch_execz .LBB1179_213
; %bb.204:
	v_cmp_lt_i64_e32 vcc, 9, v[0:1]
	s_and_saveexec_b64 s[10:11], vcc
	s_xor_b64 s[10:11], exec, s[10:11]
	s_cbranch_execz .LBB1179_210
; %bb.205:
	v_cmp_lt_i64_e32 vcc, 10, v[0:1]
	s_and_saveexec_b64 s[16:17], vcc
	s_xor_b64 s[16:17], exec, s[16:17]
; %bb.206:
                                        ; implicit-def: $vgpr22
; %bb.207:
	s_andn2_saveexec_b64 s[16:17], s[16:17]
	s_cbranch_execz .LBB1179_209
; %bb.208:
	s_waitcnt lgkmcnt(0)
	v_mov_b32_e32 v19, v22
.LBB1179_209:
	s_or_b64 exec, exec, s[16:17]
                                        ; implicit-def: $vgpr25
.LBB1179_210:
	s_andn2_saveexec_b64 s[10:11], s[10:11]
	s_cbranch_execz .LBB1179_212
; %bb.211:
	s_waitcnt lgkmcnt(0)
	v_mov_b32_e32 v19, v25
.LBB1179_212:
	s_or_b64 exec, exec, s[10:11]
	s_or_b64 s[10:11], s[8:9], exec
	s_waitcnt lgkmcnt(0)
	v_mov_b32_e32 v12, v19
                                        ; implicit-def: $vgpr17
                                        ; implicit-def: $vgpr15
                                        ; implicit-def: $vgpr16
.LBB1179_213:
	s_or_saveexec_b64 s[12:13], s[12:13]
	s_mov_b64 s[16:17], s[6:7]
	s_mov_b64 s[20:21], s[4:5]
                                        ; implicit-def: $vgpr10
                                        ; implicit-def: $vgpr11
	s_xor_b64 exec, exec, s[12:13]
	s_cbranch_execz .LBB1179_217
; %bb.214:
	v_cmp_lt_i64_e32 vcc, 6, v[0:1]
	s_mov_b64 s[20:21], -1
	s_mov_b64 s[18:19], s[10:11]
	s_mov_b64 s[16:17], s[6:7]
	s_and_saveexec_b64 s[22:23], vcc
; %bb.215:
	v_cmp_lt_i64_e32 vcc, 7, v[0:1]
	s_andn2_b64 s[18:19], s[10:11], exec
	s_and_b64 s[24:25], vcc, exec
	s_xor_b64 s[20:21], exec, -1
	s_or_b64 s[16:17], s[6:7], exec
	s_or_b64 s[18:19], s[18:19], s[24:25]
                                        ; implicit-def: $vgpr17
; %bb.216:
	s_or_b64 exec, exec, s[22:23]
	s_andn2_b64 s[22:23], s[4:5], exec
	s_and_b64 s[20:21], s[20:21], exec
	s_or_b64 s[20:21], s[22:23], s[20:21]
	s_andn2_b64 s[22:23], s[6:7], exec
	s_and_b64 s[16:17], s[16:17], exec
	s_andn2_b64 s[10:11], s[10:11], exec
	s_and_b64 s[18:19], s[18:19], exec
	s_or_b64 s[16:17], s[22:23], s[16:17]
	s_or_b64 s[10:11], s[10:11], s[18:19]
	s_waitcnt lgkmcnt(0)
	v_mov_b32_e32 v10, v17
	v_mov_b32_e32 v11, v15
	;; [unrolled: 1-line block ×3, first 2 shown]
.LBB1179_217:
	s_or_b64 exec, exec, s[12:13]
	s_andn2_b64 s[18:19], s[4:5], exec
	s_and_b64 s[20:21], s[20:21], exec
	s_or_b64 s[18:19], s[18:19], s[20:21]
	s_andn2_b64 s[20:21], s[6:7], exec
	s_and_b64 s[16:17], s[16:17], exec
	s_or_b64 s[16:17], s[20:21], s[16:17]
	s_andn2_b64 s[20:21], s[8:9], exec
	s_and_b64 s[10:11], s[10:11], exec
	s_xor_b64 s[12:13], exec, -1
	s_or_b64 s[10:11], s[20:21], s[10:11]
.LBB1179_218:
	s_or_b64 exec, exec, s[0:1]
	s_and_b64 s[0:1], s[12:13], exec
	s_andn2_b64 s[4:5], s[4:5], exec
	s_and_b64 s[12:13], s[18:19], exec
	s_or_b64 s[4:5], s[4:5], s[12:13]
	s_andn2_b64 s[6:7], s[6:7], exec
	s_and_b64 s[12:13], s[16:17], exec
	s_andn2_b64 s[8:9], s[8:9], exec
	s_and_b64 s[10:11], s[10:11], exec
	s_or_b64 s[6:7], s[6:7], s[12:13]
	s_or_b64 s[8:9], s[8:9], s[10:11]
	s_or_b64 exec, exec, s[2:3]
	s_and_saveexec_b64 s[2:3], s[8:9]
	s_cbranch_execz .LBB1179_153
.LBB1179_219:
	v_mov_b32_e32 v2, 0
	s_andn2_b64 s[6:7], s[6:7], exec
	s_waitcnt lgkmcnt(0)
	global_store_short v2, v12, s[14:15]
                                        ; implicit-def: $vgpr10
                                        ; implicit-def: $vgpr11
	s_or_b64 exec, exec, s[2:3]
	s_and_saveexec_b64 s[2:3], s[6:7]
	s_cbranch_execz .LBB1179_154
.LBB1179_220:
	v_mov_b32_e32 v2, 0
	s_waitcnt lgkmcnt(0)
	global_store_short v2, v11, s[14:15]
                                        ; implicit-def: $vgpr10
	s_or_b64 exec, exec, s[2:3]
	s_and_saveexec_b64 s[2:3], s[4:5]
	s_xor_b64 s[2:3], exec, s[2:3]
	s_cbranch_execz .LBB1179_155
.LBB1179_221:
	v_mov_b32_e32 v2, 0
	s_waitcnt lgkmcnt(0)
	global_store_short v2, v10, s[14:15]
	s_or_b64 exec, exec, s[2:3]
	s_and_b64 exec, exec, s[0:1]
	s_cbranch_execz .LBB1179_156
.LBB1179_222:
	v_cmp_lt_i64_e32 vcc, 2, v[0:1]
	s_and_saveexec_b64 s[0:1], vcc
	s_xor_b64 s[0:1], exec, s[0:1]
	s_cbranch_execz .LBB1179_232
; %bb.223:
	v_cmp_lt_i64_e32 vcc, 3, v[0:1]
	s_and_saveexec_b64 s[2:3], vcc
	s_xor_b64 s[2:3], exec, s[2:3]
	s_cbranch_execz .LBB1179_229
; %bb.224:
	;; [unrolled: 5-line block ×3, first 2 shown]
	v_mov_b32_e32 v0, 0
	s_waitcnt lgkmcnt(0)
	global_store_short v0, v9, s[14:15]
                                        ; implicit-def: $vgpr6
.LBB1179_226:
	s_andn2_saveexec_b64 s[4:5], s[4:5]
	s_cbranch_execz .LBB1179_228
; %bb.227:
	v_mov_b32_e32 v0, 0
	s_waitcnt lgkmcnt(0)
	global_store_short v0, v6, s[14:15]
.LBB1179_228:
	s_or_b64 exec, exec, s[4:5]
                                        ; implicit-def: $vgpr8
.LBB1179_229:
	s_andn2_saveexec_b64 s[2:3], s[2:3]
	s_cbranch_execz .LBB1179_231
; %bb.230:
	v_mov_b32_e32 v0, 0
	s_waitcnt lgkmcnt(0)
	global_store_short v0, v8, s[14:15]
.LBB1179_231:
	s_or_b64 exec, exec, s[2:3]
                                        ; implicit-def: $vgpr0_vgpr1
                                        ; implicit-def: $vgpr7
                                        ; implicit-def: $vgpr4
                                        ; implicit-def: $vgpr5
.LBB1179_232:
	s_andn2_saveexec_b64 s[0:1], s[0:1]
	s_cbranch_execz .LBB1179_156
; %bb.233:
	v_cmp_lt_i64_e32 vcc, 1, v[0:1]
	s_and_saveexec_b64 s[0:1], vcc
	s_xor_b64 s[0:1], exec, s[0:1]
	s_cbranch_execz .LBB1179_235
; %bb.234:
	v_mov_b32_e32 v0, 0
	s_waitcnt lgkmcnt(0)
	global_store_short v0, v7, s[14:15]
                                        ; implicit-def: $vgpr4
                                        ; implicit-def: $vgpr0_vgpr1
                                        ; implicit-def: $vgpr5
.LBB1179_235:
	s_andn2_saveexec_b64 s[0:1], s[0:1]
	s_cbranch_execz .LBB1179_156
; %bb.236:
	v_cmp_ne_u64_e32 vcc, 1, v[0:1]
	s_and_saveexec_b64 s[0:1], vcc
	s_xor_b64 s[0:1], exec, s[0:1]
	s_cbranch_execz .LBB1179_238
; %bb.237:
	v_mov_b32_e32 v0, 0
	s_waitcnt lgkmcnt(0)
	global_store_short v0, v5, s[14:15]
                                        ; implicit-def: $vgpr4
.LBB1179_238:
	s_andn2_saveexec_b64 s[0:1], s[0:1]
	s_cbranch_execz .LBB1179_156
; %bb.239:
	v_mov_b32_e32 v0, 0
	s_waitcnt lgkmcnt(0)
	global_store_short v0, v4, s[14:15]
	s_endpgm
	.section	.rodata,"a",@progbits
	.p2align	6, 0x0
	.amdhsa_kernel _ZN7rocprim17ROCPRIM_400000_NS6detail17trampoline_kernelINS0_14default_configENS1_20scan_config_selectorIsEEZZNS1_9scan_implILNS1_25lookback_scan_determinismE0ELb0ELb1ES3_N6thrust23THRUST_200600_302600_NS6detail15normal_iteratorINS9_10device_ptrIsEEEESE_sNS9_10multipliesIsEEsEEDaPvRmT3_T4_T5_mT6_P12ihipStream_tbENKUlT_T0_E_clISt17integral_constantIbLb0EEST_IbLb1EEEEDaSP_SQ_EUlSP_E_NS1_11comp_targetILNS1_3genE4ELNS1_11target_archE910ELNS1_3gpuE8ELNS1_3repE0EEENS1_30default_config_static_selectorELNS0_4arch9wavefront6targetE1EEEvT1_
		.amdhsa_group_segment_fixed_size 3072
		.amdhsa_private_segment_fixed_size 0
		.amdhsa_kernarg_size 96
		.amdhsa_user_sgpr_count 6
		.amdhsa_user_sgpr_private_segment_buffer 1
		.amdhsa_user_sgpr_dispatch_ptr 0
		.amdhsa_user_sgpr_queue_ptr 0
		.amdhsa_user_sgpr_kernarg_segment_ptr 1
		.amdhsa_user_sgpr_dispatch_id 0
		.amdhsa_user_sgpr_flat_scratch_init 0
		.amdhsa_user_sgpr_kernarg_preload_length 0
		.amdhsa_user_sgpr_kernarg_preload_offset 0
		.amdhsa_user_sgpr_private_segment_size 0
		.amdhsa_uses_dynamic_stack 0
		.amdhsa_system_sgpr_private_segment_wavefront_offset 0
		.amdhsa_system_sgpr_workgroup_id_x 1
		.amdhsa_system_sgpr_workgroup_id_y 0
		.amdhsa_system_sgpr_workgroup_id_z 0
		.amdhsa_system_sgpr_workgroup_info 0
		.amdhsa_system_vgpr_workitem_id 0
		.amdhsa_next_free_vgpr 68
		.amdhsa_next_free_sgpr 38
		.amdhsa_accum_offset 68
		.amdhsa_reserve_vcc 1
		.amdhsa_reserve_flat_scratch 0
		.amdhsa_float_round_mode_32 0
		.amdhsa_float_round_mode_16_64 0
		.amdhsa_float_denorm_mode_32 3
		.amdhsa_float_denorm_mode_16_64 3
		.amdhsa_dx10_clamp 1
		.amdhsa_ieee_mode 1
		.amdhsa_fp16_overflow 0
		.amdhsa_tg_split 0
		.amdhsa_exception_fp_ieee_invalid_op 0
		.amdhsa_exception_fp_denorm_src 0
		.amdhsa_exception_fp_ieee_div_zero 0
		.amdhsa_exception_fp_ieee_overflow 0
		.amdhsa_exception_fp_ieee_underflow 0
		.amdhsa_exception_fp_ieee_inexact 0
		.amdhsa_exception_int_div_zero 0
	.end_amdhsa_kernel
	.section	.text._ZN7rocprim17ROCPRIM_400000_NS6detail17trampoline_kernelINS0_14default_configENS1_20scan_config_selectorIsEEZZNS1_9scan_implILNS1_25lookback_scan_determinismE0ELb0ELb1ES3_N6thrust23THRUST_200600_302600_NS6detail15normal_iteratorINS9_10device_ptrIsEEEESE_sNS9_10multipliesIsEEsEEDaPvRmT3_T4_T5_mT6_P12ihipStream_tbENKUlT_T0_E_clISt17integral_constantIbLb0EEST_IbLb1EEEEDaSP_SQ_EUlSP_E_NS1_11comp_targetILNS1_3genE4ELNS1_11target_archE910ELNS1_3gpuE8ELNS1_3repE0EEENS1_30default_config_static_selectorELNS0_4arch9wavefront6targetE1EEEvT1_,"axG",@progbits,_ZN7rocprim17ROCPRIM_400000_NS6detail17trampoline_kernelINS0_14default_configENS1_20scan_config_selectorIsEEZZNS1_9scan_implILNS1_25lookback_scan_determinismE0ELb0ELb1ES3_N6thrust23THRUST_200600_302600_NS6detail15normal_iteratorINS9_10device_ptrIsEEEESE_sNS9_10multipliesIsEEsEEDaPvRmT3_T4_T5_mT6_P12ihipStream_tbENKUlT_T0_E_clISt17integral_constantIbLb0EEST_IbLb1EEEEDaSP_SQ_EUlSP_E_NS1_11comp_targetILNS1_3genE4ELNS1_11target_archE910ELNS1_3gpuE8ELNS1_3repE0EEENS1_30default_config_static_selectorELNS0_4arch9wavefront6targetE1EEEvT1_,comdat
.Lfunc_end1179:
	.size	_ZN7rocprim17ROCPRIM_400000_NS6detail17trampoline_kernelINS0_14default_configENS1_20scan_config_selectorIsEEZZNS1_9scan_implILNS1_25lookback_scan_determinismE0ELb0ELb1ES3_N6thrust23THRUST_200600_302600_NS6detail15normal_iteratorINS9_10device_ptrIsEEEESE_sNS9_10multipliesIsEEsEEDaPvRmT3_T4_T5_mT6_P12ihipStream_tbENKUlT_T0_E_clISt17integral_constantIbLb0EEST_IbLb1EEEEDaSP_SQ_EUlSP_E_NS1_11comp_targetILNS1_3genE4ELNS1_11target_archE910ELNS1_3gpuE8ELNS1_3repE0EEENS1_30default_config_static_selectorELNS0_4arch9wavefront6targetE1EEEvT1_, .Lfunc_end1179-_ZN7rocprim17ROCPRIM_400000_NS6detail17trampoline_kernelINS0_14default_configENS1_20scan_config_selectorIsEEZZNS1_9scan_implILNS1_25lookback_scan_determinismE0ELb0ELb1ES3_N6thrust23THRUST_200600_302600_NS6detail15normal_iteratorINS9_10device_ptrIsEEEESE_sNS9_10multipliesIsEEsEEDaPvRmT3_T4_T5_mT6_P12ihipStream_tbENKUlT_T0_E_clISt17integral_constantIbLb0EEST_IbLb1EEEEDaSP_SQ_EUlSP_E_NS1_11comp_targetILNS1_3genE4ELNS1_11target_archE910ELNS1_3gpuE8ELNS1_3repE0EEENS1_30default_config_static_selectorELNS0_4arch9wavefront6targetE1EEEvT1_
                                        ; -- End function
	.section	.AMDGPU.csdata,"",@progbits
; Kernel info:
; codeLenInByte = 8772
; NumSgprs: 42
; NumVgprs: 68
; NumAgprs: 0
; TotalNumVgprs: 68
; ScratchSize: 0
; MemoryBound: 0
; FloatMode: 240
; IeeeMode: 1
; LDSByteSize: 3072 bytes/workgroup (compile time only)
; SGPRBlocks: 5
; VGPRBlocks: 8
; NumSGPRsForWavesPerEU: 42
; NumVGPRsForWavesPerEU: 68
; AccumOffset: 68
; Occupancy: 6
; WaveLimiterHint : 1
; COMPUTE_PGM_RSRC2:SCRATCH_EN: 0
; COMPUTE_PGM_RSRC2:USER_SGPR: 6
; COMPUTE_PGM_RSRC2:TRAP_HANDLER: 0
; COMPUTE_PGM_RSRC2:TGID_X_EN: 1
; COMPUTE_PGM_RSRC2:TGID_Y_EN: 0
; COMPUTE_PGM_RSRC2:TGID_Z_EN: 0
; COMPUTE_PGM_RSRC2:TIDIG_COMP_CNT: 0
; COMPUTE_PGM_RSRC3_GFX90A:ACCUM_OFFSET: 16
; COMPUTE_PGM_RSRC3_GFX90A:TG_SPLIT: 0
	.section	.text._ZN7rocprim17ROCPRIM_400000_NS6detail17trampoline_kernelINS0_14default_configENS1_20scan_config_selectorIsEEZZNS1_9scan_implILNS1_25lookback_scan_determinismE0ELb0ELb1ES3_N6thrust23THRUST_200600_302600_NS6detail15normal_iteratorINS9_10device_ptrIsEEEESE_sNS9_10multipliesIsEEsEEDaPvRmT3_T4_T5_mT6_P12ihipStream_tbENKUlT_T0_E_clISt17integral_constantIbLb0EEST_IbLb1EEEEDaSP_SQ_EUlSP_E_NS1_11comp_targetILNS1_3genE3ELNS1_11target_archE908ELNS1_3gpuE7ELNS1_3repE0EEENS1_30default_config_static_selectorELNS0_4arch9wavefront6targetE1EEEvT1_,"axG",@progbits,_ZN7rocprim17ROCPRIM_400000_NS6detail17trampoline_kernelINS0_14default_configENS1_20scan_config_selectorIsEEZZNS1_9scan_implILNS1_25lookback_scan_determinismE0ELb0ELb1ES3_N6thrust23THRUST_200600_302600_NS6detail15normal_iteratorINS9_10device_ptrIsEEEESE_sNS9_10multipliesIsEEsEEDaPvRmT3_T4_T5_mT6_P12ihipStream_tbENKUlT_T0_E_clISt17integral_constantIbLb0EEST_IbLb1EEEEDaSP_SQ_EUlSP_E_NS1_11comp_targetILNS1_3genE3ELNS1_11target_archE908ELNS1_3gpuE7ELNS1_3repE0EEENS1_30default_config_static_selectorELNS0_4arch9wavefront6targetE1EEEvT1_,comdat
	.protected	_ZN7rocprim17ROCPRIM_400000_NS6detail17trampoline_kernelINS0_14default_configENS1_20scan_config_selectorIsEEZZNS1_9scan_implILNS1_25lookback_scan_determinismE0ELb0ELb1ES3_N6thrust23THRUST_200600_302600_NS6detail15normal_iteratorINS9_10device_ptrIsEEEESE_sNS9_10multipliesIsEEsEEDaPvRmT3_T4_T5_mT6_P12ihipStream_tbENKUlT_T0_E_clISt17integral_constantIbLb0EEST_IbLb1EEEEDaSP_SQ_EUlSP_E_NS1_11comp_targetILNS1_3genE3ELNS1_11target_archE908ELNS1_3gpuE7ELNS1_3repE0EEENS1_30default_config_static_selectorELNS0_4arch9wavefront6targetE1EEEvT1_ ; -- Begin function _ZN7rocprim17ROCPRIM_400000_NS6detail17trampoline_kernelINS0_14default_configENS1_20scan_config_selectorIsEEZZNS1_9scan_implILNS1_25lookback_scan_determinismE0ELb0ELb1ES3_N6thrust23THRUST_200600_302600_NS6detail15normal_iteratorINS9_10device_ptrIsEEEESE_sNS9_10multipliesIsEEsEEDaPvRmT3_T4_T5_mT6_P12ihipStream_tbENKUlT_T0_E_clISt17integral_constantIbLb0EEST_IbLb1EEEEDaSP_SQ_EUlSP_E_NS1_11comp_targetILNS1_3genE3ELNS1_11target_archE908ELNS1_3gpuE7ELNS1_3repE0EEENS1_30default_config_static_selectorELNS0_4arch9wavefront6targetE1EEEvT1_
	.globl	_ZN7rocprim17ROCPRIM_400000_NS6detail17trampoline_kernelINS0_14default_configENS1_20scan_config_selectorIsEEZZNS1_9scan_implILNS1_25lookback_scan_determinismE0ELb0ELb1ES3_N6thrust23THRUST_200600_302600_NS6detail15normal_iteratorINS9_10device_ptrIsEEEESE_sNS9_10multipliesIsEEsEEDaPvRmT3_T4_T5_mT6_P12ihipStream_tbENKUlT_T0_E_clISt17integral_constantIbLb0EEST_IbLb1EEEEDaSP_SQ_EUlSP_E_NS1_11comp_targetILNS1_3genE3ELNS1_11target_archE908ELNS1_3gpuE7ELNS1_3repE0EEENS1_30default_config_static_selectorELNS0_4arch9wavefront6targetE1EEEvT1_
	.p2align	8
	.type	_ZN7rocprim17ROCPRIM_400000_NS6detail17trampoline_kernelINS0_14default_configENS1_20scan_config_selectorIsEEZZNS1_9scan_implILNS1_25lookback_scan_determinismE0ELb0ELb1ES3_N6thrust23THRUST_200600_302600_NS6detail15normal_iteratorINS9_10device_ptrIsEEEESE_sNS9_10multipliesIsEEsEEDaPvRmT3_T4_T5_mT6_P12ihipStream_tbENKUlT_T0_E_clISt17integral_constantIbLb0EEST_IbLb1EEEEDaSP_SQ_EUlSP_E_NS1_11comp_targetILNS1_3genE3ELNS1_11target_archE908ELNS1_3gpuE7ELNS1_3repE0EEENS1_30default_config_static_selectorELNS0_4arch9wavefront6targetE1EEEvT1_,@function
_ZN7rocprim17ROCPRIM_400000_NS6detail17trampoline_kernelINS0_14default_configENS1_20scan_config_selectorIsEEZZNS1_9scan_implILNS1_25lookback_scan_determinismE0ELb0ELb1ES3_N6thrust23THRUST_200600_302600_NS6detail15normal_iteratorINS9_10device_ptrIsEEEESE_sNS9_10multipliesIsEEsEEDaPvRmT3_T4_T5_mT6_P12ihipStream_tbENKUlT_T0_E_clISt17integral_constantIbLb0EEST_IbLb1EEEEDaSP_SQ_EUlSP_E_NS1_11comp_targetILNS1_3genE3ELNS1_11target_archE908ELNS1_3gpuE7ELNS1_3repE0EEENS1_30default_config_static_selectorELNS0_4arch9wavefront6targetE1EEEvT1_: ; @_ZN7rocprim17ROCPRIM_400000_NS6detail17trampoline_kernelINS0_14default_configENS1_20scan_config_selectorIsEEZZNS1_9scan_implILNS1_25lookback_scan_determinismE0ELb0ELb1ES3_N6thrust23THRUST_200600_302600_NS6detail15normal_iteratorINS9_10device_ptrIsEEEESE_sNS9_10multipliesIsEEsEEDaPvRmT3_T4_T5_mT6_P12ihipStream_tbENKUlT_T0_E_clISt17integral_constantIbLb0EEST_IbLb1EEEEDaSP_SQ_EUlSP_E_NS1_11comp_targetILNS1_3genE3ELNS1_11target_archE908ELNS1_3gpuE7ELNS1_3repE0EEENS1_30default_config_static_selectorELNS0_4arch9wavefront6targetE1EEEvT1_
; %bb.0:
	.section	.rodata,"a",@progbits
	.p2align	6, 0x0
	.amdhsa_kernel _ZN7rocprim17ROCPRIM_400000_NS6detail17trampoline_kernelINS0_14default_configENS1_20scan_config_selectorIsEEZZNS1_9scan_implILNS1_25lookback_scan_determinismE0ELb0ELb1ES3_N6thrust23THRUST_200600_302600_NS6detail15normal_iteratorINS9_10device_ptrIsEEEESE_sNS9_10multipliesIsEEsEEDaPvRmT3_T4_T5_mT6_P12ihipStream_tbENKUlT_T0_E_clISt17integral_constantIbLb0EEST_IbLb1EEEEDaSP_SQ_EUlSP_E_NS1_11comp_targetILNS1_3genE3ELNS1_11target_archE908ELNS1_3gpuE7ELNS1_3repE0EEENS1_30default_config_static_selectorELNS0_4arch9wavefront6targetE1EEEvT1_
		.amdhsa_group_segment_fixed_size 0
		.amdhsa_private_segment_fixed_size 0
		.amdhsa_kernarg_size 96
		.amdhsa_user_sgpr_count 6
		.amdhsa_user_sgpr_private_segment_buffer 1
		.amdhsa_user_sgpr_dispatch_ptr 0
		.amdhsa_user_sgpr_queue_ptr 0
		.amdhsa_user_sgpr_kernarg_segment_ptr 1
		.amdhsa_user_sgpr_dispatch_id 0
		.amdhsa_user_sgpr_flat_scratch_init 0
		.amdhsa_user_sgpr_kernarg_preload_length 0
		.amdhsa_user_sgpr_kernarg_preload_offset 0
		.amdhsa_user_sgpr_private_segment_size 0
		.amdhsa_uses_dynamic_stack 0
		.amdhsa_system_sgpr_private_segment_wavefront_offset 0
		.amdhsa_system_sgpr_workgroup_id_x 1
		.amdhsa_system_sgpr_workgroup_id_y 0
		.amdhsa_system_sgpr_workgroup_id_z 0
		.amdhsa_system_sgpr_workgroup_info 0
		.amdhsa_system_vgpr_workitem_id 0
		.amdhsa_next_free_vgpr 1
		.amdhsa_next_free_sgpr 0
		.amdhsa_accum_offset 4
		.amdhsa_reserve_vcc 0
		.amdhsa_reserve_flat_scratch 0
		.amdhsa_float_round_mode_32 0
		.amdhsa_float_round_mode_16_64 0
		.amdhsa_float_denorm_mode_32 3
		.amdhsa_float_denorm_mode_16_64 3
		.amdhsa_dx10_clamp 1
		.amdhsa_ieee_mode 1
		.amdhsa_fp16_overflow 0
		.amdhsa_tg_split 0
		.amdhsa_exception_fp_ieee_invalid_op 0
		.amdhsa_exception_fp_denorm_src 0
		.amdhsa_exception_fp_ieee_div_zero 0
		.amdhsa_exception_fp_ieee_overflow 0
		.amdhsa_exception_fp_ieee_underflow 0
		.amdhsa_exception_fp_ieee_inexact 0
		.amdhsa_exception_int_div_zero 0
	.end_amdhsa_kernel
	.section	.text._ZN7rocprim17ROCPRIM_400000_NS6detail17trampoline_kernelINS0_14default_configENS1_20scan_config_selectorIsEEZZNS1_9scan_implILNS1_25lookback_scan_determinismE0ELb0ELb1ES3_N6thrust23THRUST_200600_302600_NS6detail15normal_iteratorINS9_10device_ptrIsEEEESE_sNS9_10multipliesIsEEsEEDaPvRmT3_T4_T5_mT6_P12ihipStream_tbENKUlT_T0_E_clISt17integral_constantIbLb0EEST_IbLb1EEEEDaSP_SQ_EUlSP_E_NS1_11comp_targetILNS1_3genE3ELNS1_11target_archE908ELNS1_3gpuE7ELNS1_3repE0EEENS1_30default_config_static_selectorELNS0_4arch9wavefront6targetE1EEEvT1_,"axG",@progbits,_ZN7rocprim17ROCPRIM_400000_NS6detail17trampoline_kernelINS0_14default_configENS1_20scan_config_selectorIsEEZZNS1_9scan_implILNS1_25lookback_scan_determinismE0ELb0ELb1ES3_N6thrust23THRUST_200600_302600_NS6detail15normal_iteratorINS9_10device_ptrIsEEEESE_sNS9_10multipliesIsEEsEEDaPvRmT3_T4_T5_mT6_P12ihipStream_tbENKUlT_T0_E_clISt17integral_constantIbLb0EEST_IbLb1EEEEDaSP_SQ_EUlSP_E_NS1_11comp_targetILNS1_3genE3ELNS1_11target_archE908ELNS1_3gpuE7ELNS1_3repE0EEENS1_30default_config_static_selectorELNS0_4arch9wavefront6targetE1EEEvT1_,comdat
.Lfunc_end1180:
	.size	_ZN7rocprim17ROCPRIM_400000_NS6detail17trampoline_kernelINS0_14default_configENS1_20scan_config_selectorIsEEZZNS1_9scan_implILNS1_25lookback_scan_determinismE0ELb0ELb1ES3_N6thrust23THRUST_200600_302600_NS6detail15normal_iteratorINS9_10device_ptrIsEEEESE_sNS9_10multipliesIsEEsEEDaPvRmT3_T4_T5_mT6_P12ihipStream_tbENKUlT_T0_E_clISt17integral_constantIbLb0EEST_IbLb1EEEEDaSP_SQ_EUlSP_E_NS1_11comp_targetILNS1_3genE3ELNS1_11target_archE908ELNS1_3gpuE7ELNS1_3repE0EEENS1_30default_config_static_selectorELNS0_4arch9wavefront6targetE1EEEvT1_, .Lfunc_end1180-_ZN7rocprim17ROCPRIM_400000_NS6detail17trampoline_kernelINS0_14default_configENS1_20scan_config_selectorIsEEZZNS1_9scan_implILNS1_25lookback_scan_determinismE0ELb0ELb1ES3_N6thrust23THRUST_200600_302600_NS6detail15normal_iteratorINS9_10device_ptrIsEEEESE_sNS9_10multipliesIsEEsEEDaPvRmT3_T4_T5_mT6_P12ihipStream_tbENKUlT_T0_E_clISt17integral_constantIbLb0EEST_IbLb1EEEEDaSP_SQ_EUlSP_E_NS1_11comp_targetILNS1_3genE3ELNS1_11target_archE908ELNS1_3gpuE7ELNS1_3repE0EEENS1_30default_config_static_selectorELNS0_4arch9wavefront6targetE1EEEvT1_
                                        ; -- End function
	.section	.AMDGPU.csdata,"",@progbits
; Kernel info:
; codeLenInByte = 0
; NumSgprs: 4
; NumVgprs: 0
; NumAgprs: 0
; TotalNumVgprs: 0
; ScratchSize: 0
; MemoryBound: 0
; FloatMode: 240
; IeeeMode: 1
; LDSByteSize: 0 bytes/workgroup (compile time only)
; SGPRBlocks: 0
; VGPRBlocks: 0
; NumSGPRsForWavesPerEU: 4
; NumVGPRsForWavesPerEU: 1
; AccumOffset: 4
; Occupancy: 8
; WaveLimiterHint : 0
; COMPUTE_PGM_RSRC2:SCRATCH_EN: 0
; COMPUTE_PGM_RSRC2:USER_SGPR: 6
; COMPUTE_PGM_RSRC2:TRAP_HANDLER: 0
; COMPUTE_PGM_RSRC2:TGID_X_EN: 1
; COMPUTE_PGM_RSRC2:TGID_Y_EN: 0
; COMPUTE_PGM_RSRC2:TGID_Z_EN: 0
; COMPUTE_PGM_RSRC2:TIDIG_COMP_CNT: 0
; COMPUTE_PGM_RSRC3_GFX90A:ACCUM_OFFSET: 0
; COMPUTE_PGM_RSRC3_GFX90A:TG_SPLIT: 0
	.section	.text._ZN7rocprim17ROCPRIM_400000_NS6detail17trampoline_kernelINS0_14default_configENS1_20scan_config_selectorIsEEZZNS1_9scan_implILNS1_25lookback_scan_determinismE0ELb0ELb1ES3_N6thrust23THRUST_200600_302600_NS6detail15normal_iteratorINS9_10device_ptrIsEEEESE_sNS9_10multipliesIsEEsEEDaPvRmT3_T4_T5_mT6_P12ihipStream_tbENKUlT_T0_E_clISt17integral_constantIbLb0EEST_IbLb1EEEEDaSP_SQ_EUlSP_E_NS1_11comp_targetILNS1_3genE2ELNS1_11target_archE906ELNS1_3gpuE6ELNS1_3repE0EEENS1_30default_config_static_selectorELNS0_4arch9wavefront6targetE1EEEvT1_,"axG",@progbits,_ZN7rocprim17ROCPRIM_400000_NS6detail17trampoline_kernelINS0_14default_configENS1_20scan_config_selectorIsEEZZNS1_9scan_implILNS1_25lookback_scan_determinismE0ELb0ELb1ES3_N6thrust23THRUST_200600_302600_NS6detail15normal_iteratorINS9_10device_ptrIsEEEESE_sNS9_10multipliesIsEEsEEDaPvRmT3_T4_T5_mT6_P12ihipStream_tbENKUlT_T0_E_clISt17integral_constantIbLb0EEST_IbLb1EEEEDaSP_SQ_EUlSP_E_NS1_11comp_targetILNS1_3genE2ELNS1_11target_archE906ELNS1_3gpuE6ELNS1_3repE0EEENS1_30default_config_static_selectorELNS0_4arch9wavefront6targetE1EEEvT1_,comdat
	.protected	_ZN7rocprim17ROCPRIM_400000_NS6detail17trampoline_kernelINS0_14default_configENS1_20scan_config_selectorIsEEZZNS1_9scan_implILNS1_25lookback_scan_determinismE0ELb0ELb1ES3_N6thrust23THRUST_200600_302600_NS6detail15normal_iteratorINS9_10device_ptrIsEEEESE_sNS9_10multipliesIsEEsEEDaPvRmT3_T4_T5_mT6_P12ihipStream_tbENKUlT_T0_E_clISt17integral_constantIbLb0EEST_IbLb1EEEEDaSP_SQ_EUlSP_E_NS1_11comp_targetILNS1_3genE2ELNS1_11target_archE906ELNS1_3gpuE6ELNS1_3repE0EEENS1_30default_config_static_selectorELNS0_4arch9wavefront6targetE1EEEvT1_ ; -- Begin function _ZN7rocprim17ROCPRIM_400000_NS6detail17trampoline_kernelINS0_14default_configENS1_20scan_config_selectorIsEEZZNS1_9scan_implILNS1_25lookback_scan_determinismE0ELb0ELb1ES3_N6thrust23THRUST_200600_302600_NS6detail15normal_iteratorINS9_10device_ptrIsEEEESE_sNS9_10multipliesIsEEsEEDaPvRmT3_T4_T5_mT6_P12ihipStream_tbENKUlT_T0_E_clISt17integral_constantIbLb0EEST_IbLb1EEEEDaSP_SQ_EUlSP_E_NS1_11comp_targetILNS1_3genE2ELNS1_11target_archE906ELNS1_3gpuE6ELNS1_3repE0EEENS1_30default_config_static_selectorELNS0_4arch9wavefront6targetE1EEEvT1_
	.globl	_ZN7rocprim17ROCPRIM_400000_NS6detail17trampoline_kernelINS0_14default_configENS1_20scan_config_selectorIsEEZZNS1_9scan_implILNS1_25lookback_scan_determinismE0ELb0ELb1ES3_N6thrust23THRUST_200600_302600_NS6detail15normal_iteratorINS9_10device_ptrIsEEEESE_sNS9_10multipliesIsEEsEEDaPvRmT3_T4_T5_mT6_P12ihipStream_tbENKUlT_T0_E_clISt17integral_constantIbLb0EEST_IbLb1EEEEDaSP_SQ_EUlSP_E_NS1_11comp_targetILNS1_3genE2ELNS1_11target_archE906ELNS1_3gpuE6ELNS1_3repE0EEENS1_30default_config_static_selectorELNS0_4arch9wavefront6targetE1EEEvT1_
	.p2align	8
	.type	_ZN7rocprim17ROCPRIM_400000_NS6detail17trampoline_kernelINS0_14default_configENS1_20scan_config_selectorIsEEZZNS1_9scan_implILNS1_25lookback_scan_determinismE0ELb0ELb1ES3_N6thrust23THRUST_200600_302600_NS6detail15normal_iteratorINS9_10device_ptrIsEEEESE_sNS9_10multipliesIsEEsEEDaPvRmT3_T4_T5_mT6_P12ihipStream_tbENKUlT_T0_E_clISt17integral_constantIbLb0EEST_IbLb1EEEEDaSP_SQ_EUlSP_E_NS1_11comp_targetILNS1_3genE2ELNS1_11target_archE906ELNS1_3gpuE6ELNS1_3repE0EEENS1_30default_config_static_selectorELNS0_4arch9wavefront6targetE1EEEvT1_,@function
_ZN7rocprim17ROCPRIM_400000_NS6detail17trampoline_kernelINS0_14default_configENS1_20scan_config_selectorIsEEZZNS1_9scan_implILNS1_25lookback_scan_determinismE0ELb0ELb1ES3_N6thrust23THRUST_200600_302600_NS6detail15normal_iteratorINS9_10device_ptrIsEEEESE_sNS9_10multipliesIsEEsEEDaPvRmT3_T4_T5_mT6_P12ihipStream_tbENKUlT_T0_E_clISt17integral_constantIbLb0EEST_IbLb1EEEEDaSP_SQ_EUlSP_E_NS1_11comp_targetILNS1_3genE2ELNS1_11target_archE906ELNS1_3gpuE6ELNS1_3repE0EEENS1_30default_config_static_selectorELNS0_4arch9wavefront6targetE1EEEvT1_: ; @_ZN7rocprim17ROCPRIM_400000_NS6detail17trampoline_kernelINS0_14default_configENS1_20scan_config_selectorIsEEZZNS1_9scan_implILNS1_25lookback_scan_determinismE0ELb0ELb1ES3_N6thrust23THRUST_200600_302600_NS6detail15normal_iteratorINS9_10device_ptrIsEEEESE_sNS9_10multipliesIsEEsEEDaPvRmT3_T4_T5_mT6_P12ihipStream_tbENKUlT_T0_E_clISt17integral_constantIbLb0EEST_IbLb1EEEEDaSP_SQ_EUlSP_E_NS1_11comp_targetILNS1_3genE2ELNS1_11target_archE906ELNS1_3gpuE6ELNS1_3repE0EEENS1_30default_config_static_selectorELNS0_4arch9wavefront6targetE1EEEvT1_
; %bb.0:
	.section	.rodata,"a",@progbits
	.p2align	6, 0x0
	.amdhsa_kernel _ZN7rocprim17ROCPRIM_400000_NS6detail17trampoline_kernelINS0_14default_configENS1_20scan_config_selectorIsEEZZNS1_9scan_implILNS1_25lookback_scan_determinismE0ELb0ELb1ES3_N6thrust23THRUST_200600_302600_NS6detail15normal_iteratorINS9_10device_ptrIsEEEESE_sNS9_10multipliesIsEEsEEDaPvRmT3_T4_T5_mT6_P12ihipStream_tbENKUlT_T0_E_clISt17integral_constantIbLb0EEST_IbLb1EEEEDaSP_SQ_EUlSP_E_NS1_11comp_targetILNS1_3genE2ELNS1_11target_archE906ELNS1_3gpuE6ELNS1_3repE0EEENS1_30default_config_static_selectorELNS0_4arch9wavefront6targetE1EEEvT1_
		.amdhsa_group_segment_fixed_size 0
		.amdhsa_private_segment_fixed_size 0
		.amdhsa_kernarg_size 96
		.amdhsa_user_sgpr_count 6
		.amdhsa_user_sgpr_private_segment_buffer 1
		.amdhsa_user_sgpr_dispatch_ptr 0
		.amdhsa_user_sgpr_queue_ptr 0
		.amdhsa_user_sgpr_kernarg_segment_ptr 1
		.amdhsa_user_sgpr_dispatch_id 0
		.amdhsa_user_sgpr_flat_scratch_init 0
		.amdhsa_user_sgpr_kernarg_preload_length 0
		.amdhsa_user_sgpr_kernarg_preload_offset 0
		.amdhsa_user_sgpr_private_segment_size 0
		.amdhsa_uses_dynamic_stack 0
		.amdhsa_system_sgpr_private_segment_wavefront_offset 0
		.amdhsa_system_sgpr_workgroup_id_x 1
		.amdhsa_system_sgpr_workgroup_id_y 0
		.amdhsa_system_sgpr_workgroup_id_z 0
		.amdhsa_system_sgpr_workgroup_info 0
		.amdhsa_system_vgpr_workitem_id 0
		.amdhsa_next_free_vgpr 1
		.amdhsa_next_free_sgpr 0
		.amdhsa_accum_offset 4
		.amdhsa_reserve_vcc 0
		.amdhsa_reserve_flat_scratch 0
		.amdhsa_float_round_mode_32 0
		.amdhsa_float_round_mode_16_64 0
		.amdhsa_float_denorm_mode_32 3
		.amdhsa_float_denorm_mode_16_64 3
		.amdhsa_dx10_clamp 1
		.amdhsa_ieee_mode 1
		.amdhsa_fp16_overflow 0
		.amdhsa_tg_split 0
		.amdhsa_exception_fp_ieee_invalid_op 0
		.amdhsa_exception_fp_denorm_src 0
		.amdhsa_exception_fp_ieee_div_zero 0
		.amdhsa_exception_fp_ieee_overflow 0
		.amdhsa_exception_fp_ieee_underflow 0
		.amdhsa_exception_fp_ieee_inexact 0
		.amdhsa_exception_int_div_zero 0
	.end_amdhsa_kernel
	.section	.text._ZN7rocprim17ROCPRIM_400000_NS6detail17trampoline_kernelINS0_14default_configENS1_20scan_config_selectorIsEEZZNS1_9scan_implILNS1_25lookback_scan_determinismE0ELb0ELb1ES3_N6thrust23THRUST_200600_302600_NS6detail15normal_iteratorINS9_10device_ptrIsEEEESE_sNS9_10multipliesIsEEsEEDaPvRmT3_T4_T5_mT6_P12ihipStream_tbENKUlT_T0_E_clISt17integral_constantIbLb0EEST_IbLb1EEEEDaSP_SQ_EUlSP_E_NS1_11comp_targetILNS1_3genE2ELNS1_11target_archE906ELNS1_3gpuE6ELNS1_3repE0EEENS1_30default_config_static_selectorELNS0_4arch9wavefront6targetE1EEEvT1_,"axG",@progbits,_ZN7rocprim17ROCPRIM_400000_NS6detail17trampoline_kernelINS0_14default_configENS1_20scan_config_selectorIsEEZZNS1_9scan_implILNS1_25lookback_scan_determinismE0ELb0ELb1ES3_N6thrust23THRUST_200600_302600_NS6detail15normal_iteratorINS9_10device_ptrIsEEEESE_sNS9_10multipliesIsEEsEEDaPvRmT3_T4_T5_mT6_P12ihipStream_tbENKUlT_T0_E_clISt17integral_constantIbLb0EEST_IbLb1EEEEDaSP_SQ_EUlSP_E_NS1_11comp_targetILNS1_3genE2ELNS1_11target_archE906ELNS1_3gpuE6ELNS1_3repE0EEENS1_30default_config_static_selectorELNS0_4arch9wavefront6targetE1EEEvT1_,comdat
.Lfunc_end1181:
	.size	_ZN7rocprim17ROCPRIM_400000_NS6detail17trampoline_kernelINS0_14default_configENS1_20scan_config_selectorIsEEZZNS1_9scan_implILNS1_25lookback_scan_determinismE0ELb0ELb1ES3_N6thrust23THRUST_200600_302600_NS6detail15normal_iteratorINS9_10device_ptrIsEEEESE_sNS9_10multipliesIsEEsEEDaPvRmT3_T4_T5_mT6_P12ihipStream_tbENKUlT_T0_E_clISt17integral_constantIbLb0EEST_IbLb1EEEEDaSP_SQ_EUlSP_E_NS1_11comp_targetILNS1_3genE2ELNS1_11target_archE906ELNS1_3gpuE6ELNS1_3repE0EEENS1_30default_config_static_selectorELNS0_4arch9wavefront6targetE1EEEvT1_, .Lfunc_end1181-_ZN7rocprim17ROCPRIM_400000_NS6detail17trampoline_kernelINS0_14default_configENS1_20scan_config_selectorIsEEZZNS1_9scan_implILNS1_25lookback_scan_determinismE0ELb0ELb1ES3_N6thrust23THRUST_200600_302600_NS6detail15normal_iteratorINS9_10device_ptrIsEEEESE_sNS9_10multipliesIsEEsEEDaPvRmT3_T4_T5_mT6_P12ihipStream_tbENKUlT_T0_E_clISt17integral_constantIbLb0EEST_IbLb1EEEEDaSP_SQ_EUlSP_E_NS1_11comp_targetILNS1_3genE2ELNS1_11target_archE906ELNS1_3gpuE6ELNS1_3repE0EEENS1_30default_config_static_selectorELNS0_4arch9wavefront6targetE1EEEvT1_
                                        ; -- End function
	.section	.AMDGPU.csdata,"",@progbits
; Kernel info:
; codeLenInByte = 0
; NumSgprs: 4
; NumVgprs: 0
; NumAgprs: 0
; TotalNumVgprs: 0
; ScratchSize: 0
; MemoryBound: 0
; FloatMode: 240
; IeeeMode: 1
; LDSByteSize: 0 bytes/workgroup (compile time only)
; SGPRBlocks: 0
; VGPRBlocks: 0
; NumSGPRsForWavesPerEU: 4
; NumVGPRsForWavesPerEU: 1
; AccumOffset: 4
; Occupancy: 8
; WaveLimiterHint : 0
; COMPUTE_PGM_RSRC2:SCRATCH_EN: 0
; COMPUTE_PGM_RSRC2:USER_SGPR: 6
; COMPUTE_PGM_RSRC2:TRAP_HANDLER: 0
; COMPUTE_PGM_RSRC2:TGID_X_EN: 1
; COMPUTE_PGM_RSRC2:TGID_Y_EN: 0
; COMPUTE_PGM_RSRC2:TGID_Z_EN: 0
; COMPUTE_PGM_RSRC2:TIDIG_COMP_CNT: 0
; COMPUTE_PGM_RSRC3_GFX90A:ACCUM_OFFSET: 0
; COMPUTE_PGM_RSRC3_GFX90A:TG_SPLIT: 0
	.section	.text._ZN7rocprim17ROCPRIM_400000_NS6detail17trampoline_kernelINS0_14default_configENS1_20scan_config_selectorIsEEZZNS1_9scan_implILNS1_25lookback_scan_determinismE0ELb0ELb1ES3_N6thrust23THRUST_200600_302600_NS6detail15normal_iteratorINS9_10device_ptrIsEEEESE_sNS9_10multipliesIsEEsEEDaPvRmT3_T4_T5_mT6_P12ihipStream_tbENKUlT_T0_E_clISt17integral_constantIbLb0EEST_IbLb1EEEEDaSP_SQ_EUlSP_E_NS1_11comp_targetILNS1_3genE10ELNS1_11target_archE1201ELNS1_3gpuE5ELNS1_3repE0EEENS1_30default_config_static_selectorELNS0_4arch9wavefront6targetE1EEEvT1_,"axG",@progbits,_ZN7rocprim17ROCPRIM_400000_NS6detail17trampoline_kernelINS0_14default_configENS1_20scan_config_selectorIsEEZZNS1_9scan_implILNS1_25lookback_scan_determinismE0ELb0ELb1ES3_N6thrust23THRUST_200600_302600_NS6detail15normal_iteratorINS9_10device_ptrIsEEEESE_sNS9_10multipliesIsEEsEEDaPvRmT3_T4_T5_mT6_P12ihipStream_tbENKUlT_T0_E_clISt17integral_constantIbLb0EEST_IbLb1EEEEDaSP_SQ_EUlSP_E_NS1_11comp_targetILNS1_3genE10ELNS1_11target_archE1201ELNS1_3gpuE5ELNS1_3repE0EEENS1_30default_config_static_selectorELNS0_4arch9wavefront6targetE1EEEvT1_,comdat
	.protected	_ZN7rocprim17ROCPRIM_400000_NS6detail17trampoline_kernelINS0_14default_configENS1_20scan_config_selectorIsEEZZNS1_9scan_implILNS1_25lookback_scan_determinismE0ELb0ELb1ES3_N6thrust23THRUST_200600_302600_NS6detail15normal_iteratorINS9_10device_ptrIsEEEESE_sNS9_10multipliesIsEEsEEDaPvRmT3_T4_T5_mT6_P12ihipStream_tbENKUlT_T0_E_clISt17integral_constantIbLb0EEST_IbLb1EEEEDaSP_SQ_EUlSP_E_NS1_11comp_targetILNS1_3genE10ELNS1_11target_archE1201ELNS1_3gpuE5ELNS1_3repE0EEENS1_30default_config_static_selectorELNS0_4arch9wavefront6targetE1EEEvT1_ ; -- Begin function _ZN7rocprim17ROCPRIM_400000_NS6detail17trampoline_kernelINS0_14default_configENS1_20scan_config_selectorIsEEZZNS1_9scan_implILNS1_25lookback_scan_determinismE0ELb0ELb1ES3_N6thrust23THRUST_200600_302600_NS6detail15normal_iteratorINS9_10device_ptrIsEEEESE_sNS9_10multipliesIsEEsEEDaPvRmT3_T4_T5_mT6_P12ihipStream_tbENKUlT_T0_E_clISt17integral_constantIbLb0EEST_IbLb1EEEEDaSP_SQ_EUlSP_E_NS1_11comp_targetILNS1_3genE10ELNS1_11target_archE1201ELNS1_3gpuE5ELNS1_3repE0EEENS1_30default_config_static_selectorELNS0_4arch9wavefront6targetE1EEEvT1_
	.globl	_ZN7rocprim17ROCPRIM_400000_NS6detail17trampoline_kernelINS0_14default_configENS1_20scan_config_selectorIsEEZZNS1_9scan_implILNS1_25lookback_scan_determinismE0ELb0ELb1ES3_N6thrust23THRUST_200600_302600_NS6detail15normal_iteratorINS9_10device_ptrIsEEEESE_sNS9_10multipliesIsEEsEEDaPvRmT3_T4_T5_mT6_P12ihipStream_tbENKUlT_T0_E_clISt17integral_constantIbLb0EEST_IbLb1EEEEDaSP_SQ_EUlSP_E_NS1_11comp_targetILNS1_3genE10ELNS1_11target_archE1201ELNS1_3gpuE5ELNS1_3repE0EEENS1_30default_config_static_selectorELNS0_4arch9wavefront6targetE1EEEvT1_
	.p2align	8
	.type	_ZN7rocprim17ROCPRIM_400000_NS6detail17trampoline_kernelINS0_14default_configENS1_20scan_config_selectorIsEEZZNS1_9scan_implILNS1_25lookback_scan_determinismE0ELb0ELb1ES3_N6thrust23THRUST_200600_302600_NS6detail15normal_iteratorINS9_10device_ptrIsEEEESE_sNS9_10multipliesIsEEsEEDaPvRmT3_T4_T5_mT6_P12ihipStream_tbENKUlT_T0_E_clISt17integral_constantIbLb0EEST_IbLb1EEEEDaSP_SQ_EUlSP_E_NS1_11comp_targetILNS1_3genE10ELNS1_11target_archE1201ELNS1_3gpuE5ELNS1_3repE0EEENS1_30default_config_static_selectorELNS0_4arch9wavefront6targetE1EEEvT1_,@function
_ZN7rocprim17ROCPRIM_400000_NS6detail17trampoline_kernelINS0_14default_configENS1_20scan_config_selectorIsEEZZNS1_9scan_implILNS1_25lookback_scan_determinismE0ELb0ELb1ES3_N6thrust23THRUST_200600_302600_NS6detail15normal_iteratorINS9_10device_ptrIsEEEESE_sNS9_10multipliesIsEEsEEDaPvRmT3_T4_T5_mT6_P12ihipStream_tbENKUlT_T0_E_clISt17integral_constantIbLb0EEST_IbLb1EEEEDaSP_SQ_EUlSP_E_NS1_11comp_targetILNS1_3genE10ELNS1_11target_archE1201ELNS1_3gpuE5ELNS1_3repE0EEENS1_30default_config_static_selectorELNS0_4arch9wavefront6targetE1EEEvT1_: ; @_ZN7rocprim17ROCPRIM_400000_NS6detail17trampoline_kernelINS0_14default_configENS1_20scan_config_selectorIsEEZZNS1_9scan_implILNS1_25lookback_scan_determinismE0ELb0ELb1ES3_N6thrust23THRUST_200600_302600_NS6detail15normal_iteratorINS9_10device_ptrIsEEEESE_sNS9_10multipliesIsEEsEEDaPvRmT3_T4_T5_mT6_P12ihipStream_tbENKUlT_T0_E_clISt17integral_constantIbLb0EEST_IbLb1EEEEDaSP_SQ_EUlSP_E_NS1_11comp_targetILNS1_3genE10ELNS1_11target_archE1201ELNS1_3gpuE5ELNS1_3repE0EEENS1_30default_config_static_selectorELNS0_4arch9wavefront6targetE1EEEvT1_
; %bb.0:
	.section	.rodata,"a",@progbits
	.p2align	6, 0x0
	.amdhsa_kernel _ZN7rocprim17ROCPRIM_400000_NS6detail17trampoline_kernelINS0_14default_configENS1_20scan_config_selectorIsEEZZNS1_9scan_implILNS1_25lookback_scan_determinismE0ELb0ELb1ES3_N6thrust23THRUST_200600_302600_NS6detail15normal_iteratorINS9_10device_ptrIsEEEESE_sNS9_10multipliesIsEEsEEDaPvRmT3_T4_T5_mT6_P12ihipStream_tbENKUlT_T0_E_clISt17integral_constantIbLb0EEST_IbLb1EEEEDaSP_SQ_EUlSP_E_NS1_11comp_targetILNS1_3genE10ELNS1_11target_archE1201ELNS1_3gpuE5ELNS1_3repE0EEENS1_30default_config_static_selectorELNS0_4arch9wavefront6targetE1EEEvT1_
		.amdhsa_group_segment_fixed_size 0
		.amdhsa_private_segment_fixed_size 0
		.amdhsa_kernarg_size 96
		.amdhsa_user_sgpr_count 6
		.amdhsa_user_sgpr_private_segment_buffer 1
		.amdhsa_user_sgpr_dispatch_ptr 0
		.amdhsa_user_sgpr_queue_ptr 0
		.amdhsa_user_sgpr_kernarg_segment_ptr 1
		.amdhsa_user_sgpr_dispatch_id 0
		.amdhsa_user_sgpr_flat_scratch_init 0
		.amdhsa_user_sgpr_kernarg_preload_length 0
		.amdhsa_user_sgpr_kernarg_preload_offset 0
		.amdhsa_user_sgpr_private_segment_size 0
		.amdhsa_uses_dynamic_stack 0
		.amdhsa_system_sgpr_private_segment_wavefront_offset 0
		.amdhsa_system_sgpr_workgroup_id_x 1
		.amdhsa_system_sgpr_workgroup_id_y 0
		.amdhsa_system_sgpr_workgroup_id_z 0
		.amdhsa_system_sgpr_workgroup_info 0
		.amdhsa_system_vgpr_workitem_id 0
		.amdhsa_next_free_vgpr 1
		.amdhsa_next_free_sgpr 0
		.amdhsa_accum_offset 4
		.amdhsa_reserve_vcc 0
		.amdhsa_reserve_flat_scratch 0
		.amdhsa_float_round_mode_32 0
		.amdhsa_float_round_mode_16_64 0
		.amdhsa_float_denorm_mode_32 3
		.amdhsa_float_denorm_mode_16_64 3
		.amdhsa_dx10_clamp 1
		.amdhsa_ieee_mode 1
		.amdhsa_fp16_overflow 0
		.amdhsa_tg_split 0
		.amdhsa_exception_fp_ieee_invalid_op 0
		.amdhsa_exception_fp_denorm_src 0
		.amdhsa_exception_fp_ieee_div_zero 0
		.amdhsa_exception_fp_ieee_overflow 0
		.amdhsa_exception_fp_ieee_underflow 0
		.amdhsa_exception_fp_ieee_inexact 0
		.amdhsa_exception_int_div_zero 0
	.end_amdhsa_kernel
	.section	.text._ZN7rocprim17ROCPRIM_400000_NS6detail17trampoline_kernelINS0_14default_configENS1_20scan_config_selectorIsEEZZNS1_9scan_implILNS1_25lookback_scan_determinismE0ELb0ELb1ES3_N6thrust23THRUST_200600_302600_NS6detail15normal_iteratorINS9_10device_ptrIsEEEESE_sNS9_10multipliesIsEEsEEDaPvRmT3_T4_T5_mT6_P12ihipStream_tbENKUlT_T0_E_clISt17integral_constantIbLb0EEST_IbLb1EEEEDaSP_SQ_EUlSP_E_NS1_11comp_targetILNS1_3genE10ELNS1_11target_archE1201ELNS1_3gpuE5ELNS1_3repE0EEENS1_30default_config_static_selectorELNS0_4arch9wavefront6targetE1EEEvT1_,"axG",@progbits,_ZN7rocprim17ROCPRIM_400000_NS6detail17trampoline_kernelINS0_14default_configENS1_20scan_config_selectorIsEEZZNS1_9scan_implILNS1_25lookback_scan_determinismE0ELb0ELb1ES3_N6thrust23THRUST_200600_302600_NS6detail15normal_iteratorINS9_10device_ptrIsEEEESE_sNS9_10multipliesIsEEsEEDaPvRmT3_T4_T5_mT6_P12ihipStream_tbENKUlT_T0_E_clISt17integral_constantIbLb0EEST_IbLb1EEEEDaSP_SQ_EUlSP_E_NS1_11comp_targetILNS1_3genE10ELNS1_11target_archE1201ELNS1_3gpuE5ELNS1_3repE0EEENS1_30default_config_static_selectorELNS0_4arch9wavefront6targetE1EEEvT1_,comdat
.Lfunc_end1182:
	.size	_ZN7rocprim17ROCPRIM_400000_NS6detail17trampoline_kernelINS0_14default_configENS1_20scan_config_selectorIsEEZZNS1_9scan_implILNS1_25lookback_scan_determinismE0ELb0ELb1ES3_N6thrust23THRUST_200600_302600_NS6detail15normal_iteratorINS9_10device_ptrIsEEEESE_sNS9_10multipliesIsEEsEEDaPvRmT3_T4_T5_mT6_P12ihipStream_tbENKUlT_T0_E_clISt17integral_constantIbLb0EEST_IbLb1EEEEDaSP_SQ_EUlSP_E_NS1_11comp_targetILNS1_3genE10ELNS1_11target_archE1201ELNS1_3gpuE5ELNS1_3repE0EEENS1_30default_config_static_selectorELNS0_4arch9wavefront6targetE1EEEvT1_, .Lfunc_end1182-_ZN7rocprim17ROCPRIM_400000_NS6detail17trampoline_kernelINS0_14default_configENS1_20scan_config_selectorIsEEZZNS1_9scan_implILNS1_25lookback_scan_determinismE0ELb0ELb1ES3_N6thrust23THRUST_200600_302600_NS6detail15normal_iteratorINS9_10device_ptrIsEEEESE_sNS9_10multipliesIsEEsEEDaPvRmT3_T4_T5_mT6_P12ihipStream_tbENKUlT_T0_E_clISt17integral_constantIbLb0EEST_IbLb1EEEEDaSP_SQ_EUlSP_E_NS1_11comp_targetILNS1_3genE10ELNS1_11target_archE1201ELNS1_3gpuE5ELNS1_3repE0EEENS1_30default_config_static_selectorELNS0_4arch9wavefront6targetE1EEEvT1_
                                        ; -- End function
	.section	.AMDGPU.csdata,"",@progbits
; Kernel info:
; codeLenInByte = 0
; NumSgprs: 4
; NumVgprs: 0
; NumAgprs: 0
; TotalNumVgprs: 0
; ScratchSize: 0
; MemoryBound: 0
; FloatMode: 240
; IeeeMode: 1
; LDSByteSize: 0 bytes/workgroup (compile time only)
; SGPRBlocks: 0
; VGPRBlocks: 0
; NumSGPRsForWavesPerEU: 4
; NumVGPRsForWavesPerEU: 1
; AccumOffset: 4
; Occupancy: 8
; WaveLimiterHint : 0
; COMPUTE_PGM_RSRC2:SCRATCH_EN: 0
; COMPUTE_PGM_RSRC2:USER_SGPR: 6
; COMPUTE_PGM_RSRC2:TRAP_HANDLER: 0
; COMPUTE_PGM_RSRC2:TGID_X_EN: 1
; COMPUTE_PGM_RSRC2:TGID_Y_EN: 0
; COMPUTE_PGM_RSRC2:TGID_Z_EN: 0
; COMPUTE_PGM_RSRC2:TIDIG_COMP_CNT: 0
; COMPUTE_PGM_RSRC3_GFX90A:ACCUM_OFFSET: 0
; COMPUTE_PGM_RSRC3_GFX90A:TG_SPLIT: 0
	.section	.text._ZN7rocprim17ROCPRIM_400000_NS6detail17trampoline_kernelINS0_14default_configENS1_20scan_config_selectorIsEEZZNS1_9scan_implILNS1_25lookback_scan_determinismE0ELb0ELb1ES3_N6thrust23THRUST_200600_302600_NS6detail15normal_iteratorINS9_10device_ptrIsEEEESE_sNS9_10multipliesIsEEsEEDaPvRmT3_T4_T5_mT6_P12ihipStream_tbENKUlT_T0_E_clISt17integral_constantIbLb0EEST_IbLb1EEEEDaSP_SQ_EUlSP_E_NS1_11comp_targetILNS1_3genE10ELNS1_11target_archE1200ELNS1_3gpuE4ELNS1_3repE0EEENS1_30default_config_static_selectorELNS0_4arch9wavefront6targetE1EEEvT1_,"axG",@progbits,_ZN7rocprim17ROCPRIM_400000_NS6detail17trampoline_kernelINS0_14default_configENS1_20scan_config_selectorIsEEZZNS1_9scan_implILNS1_25lookback_scan_determinismE0ELb0ELb1ES3_N6thrust23THRUST_200600_302600_NS6detail15normal_iteratorINS9_10device_ptrIsEEEESE_sNS9_10multipliesIsEEsEEDaPvRmT3_T4_T5_mT6_P12ihipStream_tbENKUlT_T0_E_clISt17integral_constantIbLb0EEST_IbLb1EEEEDaSP_SQ_EUlSP_E_NS1_11comp_targetILNS1_3genE10ELNS1_11target_archE1200ELNS1_3gpuE4ELNS1_3repE0EEENS1_30default_config_static_selectorELNS0_4arch9wavefront6targetE1EEEvT1_,comdat
	.protected	_ZN7rocprim17ROCPRIM_400000_NS6detail17trampoline_kernelINS0_14default_configENS1_20scan_config_selectorIsEEZZNS1_9scan_implILNS1_25lookback_scan_determinismE0ELb0ELb1ES3_N6thrust23THRUST_200600_302600_NS6detail15normal_iteratorINS9_10device_ptrIsEEEESE_sNS9_10multipliesIsEEsEEDaPvRmT3_T4_T5_mT6_P12ihipStream_tbENKUlT_T0_E_clISt17integral_constantIbLb0EEST_IbLb1EEEEDaSP_SQ_EUlSP_E_NS1_11comp_targetILNS1_3genE10ELNS1_11target_archE1200ELNS1_3gpuE4ELNS1_3repE0EEENS1_30default_config_static_selectorELNS0_4arch9wavefront6targetE1EEEvT1_ ; -- Begin function _ZN7rocprim17ROCPRIM_400000_NS6detail17trampoline_kernelINS0_14default_configENS1_20scan_config_selectorIsEEZZNS1_9scan_implILNS1_25lookback_scan_determinismE0ELb0ELb1ES3_N6thrust23THRUST_200600_302600_NS6detail15normal_iteratorINS9_10device_ptrIsEEEESE_sNS9_10multipliesIsEEsEEDaPvRmT3_T4_T5_mT6_P12ihipStream_tbENKUlT_T0_E_clISt17integral_constantIbLb0EEST_IbLb1EEEEDaSP_SQ_EUlSP_E_NS1_11comp_targetILNS1_3genE10ELNS1_11target_archE1200ELNS1_3gpuE4ELNS1_3repE0EEENS1_30default_config_static_selectorELNS0_4arch9wavefront6targetE1EEEvT1_
	.globl	_ZN7rocprim17ROCPRIM_400000_NS6detail17trampoline_kernelINS0_14default_configENS1_20scan_config_selectorIsEEZZNS1_9scan_implILNS1_25lookback_scan_determinismE0ELb0ELb1ES3_N6thrust23THRUST_200600_302600_NS6detail15normal_iteratorINS9_10device_ptrIsEEEESE_sNS9_10multipliesIsEEsEEDaPvRmT3_T4_T5_mT6_P12ihipStream_tbENKUlT_T0_E_clISt17integral_constantIbLb0EEST_IbLb1EEEEDaSP_SQ_EUlSP_E_NS1_11comp_targetILNS1_3genE10ELNS1_11target_archE1200ELNS1_3gpuE4ELNS1_3repE0EEENS1_30default_config_static_selectorELNS0_4arch9wavefront6targetE1EEEvT1_
	.p2align	8
	.type	_ZN7rocprim17ROCPRIM_400000_NS6detail17trampoline_kernelINS0_14default_configENS1_20scan_config_selectorIsEEZZNS1_9scan_implILNS1_25lookback_scan_determinismE0ELb0ELb1ES3_N6thrust23THRUST_200600_302600_NS6detail15normal_iteratorINS9_10device_ptrIsEEEESE_sNS9_10multipliesIsEEsEEDaPvRmT3_T4_T5_mT6_P12ihipStream_tbENKUlT_T0_E_clISt17integral_constantIbLb0EEST_IbLb1EEEEDaSP_SQ_EUlSP_E_NS1_11comp_targetILNS1_3genE10ELNS1_11target_archE1200ELNS1_3gpuE4ELNS1_3repE0EEENS1_30default_config_static_selectorELNS0_4arch9wavefront6targetE1EEEvT1_,@function
_ZN7rocprim17ROCPRIM_400000_NS6detail17trampoline_kernelINS0_14default_configENS1_20scan_config_selectorIsEEZZNS1_9scan_implILNS1_25lookback_scan_determinismE0ELb0ELb1ES3_N6thrust23THRUST_200600_302600_NS6detail15normal_iteratorINS9_10device_ptrIsEEEESE_sNS9_10multipliesIsEEsEEDaPvRmT3_T4_T5_mT6_P12ihipStream_tbENKUlT_T0_E_clISt17integral_constantIbLb0EEST_IbLb1EEEEDaSP_SQ_EUlSP_E_NS1_11comp_targetILNS1_3genE10ELNS1_11target_archE1200ELNS1_3gpuE4ELNS1_3repE0EEENS1_30default_config_static_selectorELNS0_4arch9wavefront6targetE1EEEvT1_: ; @_ZN7rocprim17ROCPRIM_400000_NS6detail17trampoline_kernelINS0_14default_configENS1_20scan_config_selectorIsEEZZNS1_9scan_implILNS1_25lookback_scan_determinismE0ELb0ELb1ES3_N6thrust23THRUST_200600_302600_NS6detail15normal_iteratorINS9_10device_ptrIsEEEESE_sNS9_10multipliesIsEEsEEDaPvRmT3_T4_T5_mT6_P12ihipStream_tbENKUlT_T0_E_clISt17integral_constantIbLb0EEST_IbLb1EEEEDaSP_SQ_EUlSP_E_NS1_11comp_targetILNS1_3genE10ELNS1_11target_archE1200ELNS1_3gpuE4ELNS1_3repE0EEENS1_30default_config_static_selectorELNS0_4arch9wavefront6targetE1EEEvT1_
; %bb.0:
	.section	.rodata,"a",@progbits
	.p2align	6, 0x0
	.amdhsa_kernel _ZN7rocprim17ROCPRIM_400000_NS6detail17trampoline_kernelINS0_14default_configENS1_20scan_config_selectorIsEEZZNS1_9scan_implILNS1_25lookback_scan_determinismE0ELb0ELb1ES3_N6thrust23THRUST_200600_302600_NS6detail15normal_iteratorINS9_10device_ptrIsEEEESE_sNS9_10multipliesIsEEsEEDaPvRmT3_T4_T5_mT6_P12ihipStream_tbENKUlT_T0_E_clISt17integral_constantIbLb0EEST_IbLb1EEEEDaSP_SQ_EUlSP_E_NS1_11comp_targetILNS1_3genE10ELNS1_11target_archE1200ELNS1_3gpuE4ELNS1_3repE0EEENS1_30default_config_static_selectorELNS0_4arch9wavefront6targetE1EEEvT1_
		.amdhsa_group_segment_fixed_size 0
		.amdhsa_private_segment_fixed_size 0
		.amdhsa_kernarg_size 96
		.amdhsa_user_sgpr_count 6
		.amdhsa_user_sgpr_private_segment_buffer 1
		.amdhsa_user_sgpr_dispatch_ptr 0
		.amdhsa_user_sgpr_queue_ptr 0
		.amdhsa_user_sgpr_kernarg_segment_ptr 1
		.amdhsa_user_sgpr_dispatch_id 0
		.amdhsa_user_sgpr_flat_scratch_init 0
		.amdhsa_user_sgpr_kernarg_preload_length 0
		.amdhsa_user_sgpr_kernarg_preload_offset 0
		.amdhsa_user_sgpr_private_segment_size 0
		.amdhsa_uses_dynamic_stack 0
		.amdhsa_system_sgpr_private_segment_wavefront_offset 0
		.amdhsa_system_sgpr_workgroup_id_x 1
		.amdhsa_system_sgpr_workgroup_id_y 0
		.amdhsa_system_sgpr_workgroup_id_z 0
		.amdhsa_system_sgpr_workgroup_info 0
		.amdhsa_system_vgpr_workitem_id 0
		.amdhsa_next_free_vgpr 1
		.amdhsa_next_free_sgpr 0
		.amdhsa_accum_offset 4
		.amdhsa_reserve_vcc 0
		.amdhsa_reserve_flat_scratch 0
		.amdhsa_float_round_mode_32 0
		.amdhsa_float_round_mode_16_64 0
		.amdhsa_float_denorm_mode_32 3
		.amdhsa_float_denorm_mode_16_64 3
		.amdhsa_dx10_clamp 1
		.amdhsa_ieee_mode 1
		.amdhsa_fp16_overflow 0
		.amdhsa_tg_split 0
		.amdhsa_exception_fp_ieee_invalid_op 0
		.amdhsa_exception_fp_denorm_src 0
		.amdhsa_exception_fp_ieee_div_zero 0
		.amdhsa_exception_fp_ieee_overflow 0
		.amdhsa_exception_fp_ieee_underflow 0
		.amdhsa_exception_fp_ieee_inexact 0
		.amdhsa_exception_int_div_zero 0
	.end_amdhsa_kernel
	.section	.text._ZN7rocprim17ROCPRIM_400000_NS6detail17trampoline_kernelINS0_14default_configENS1_20scan_config_selectorIsEEZZNS1_9scan_implILNS1_25lookback_scan_determinismE0ELb0ELb1ES3_N6thrust23THRUST_200600_302600_NS6detail15normal_iteratorINS9_10device_ptrIsEEEESE_sNS9_10multipliesIsEEsEEDaPvRmT3_T4_T5_mT6_P12ihipStream_tbENKUlT_T0_E_clISt17integral_constantIbLb0EEST_IbLb1EEEEDaSP_SQ_EUlSP_E_NS1_11comp_targetILNS1_3genE10ELNS1_11target_archE1200ELNS1_3gpuE4ELNS1_3repE0EEENS1_30default_config_static_selectorELNS0_4arch9wavefront6targetE1EEEvT1_,"axG",@progbits,_ZN7rocprim17ROCPRIM_400000_NS6detail17trampoline_kernelINS0_14default_configENS1_20scan_config_selectorIsEEZZNS1_9scan_implILNS1_25lookback_scan_determinismE0ELb0ELb1ES3_N6thrust23THRUST_200600_302600_NS6detail15normal_iteratorINS9_10device_ptrIsEEEESE_sNS9_10multipliesIsEEsEEDaPvRmT3_T4_T5_mT6_P12ihipStream_tbENKUlT_T0_E_clISt17integral_constantIbLb0EEST_IbLb1EEEEDaSP_SQ_EUlSP_E_NS1_11comp_targetILNS1_3genE10ELNS1_11target_archE1200ELNS1_3gpuE4ELNS1_3repE0EEENS1_30default_config_static_selectorELNS0_4arch9wavefront6targetE1EEEvT1_,comdat
.Lfunc_end1183:
	.size	_ZN7rocprim17ROCPRIM_400000_NS6detail17trampoline_kernelINS0_14default_configENS1_20scan_config_selectorIsEEZZNS1_9scan_implILNS1_25lookback_scan_determinismE0ELb0ELb1ES3_N6thrust23THRUST_200600_302600_NS6detail15normal_iteratorINS9_10device_ptrIsEEEESE_sNS9_10multipliesIsEEsEEDaPvRmT3_T4_T5_mT6_P12ihipStream_tbENKUlT_T0_E_clISt17integral_constantIbLb0EEST_IbLb1EEEEDaSP_SQ_EUlSP_E_NS1_11comp_targetILNS1_3genE10ELNS1_11target_archE1200ELNS1_3gpuE4ELNS1_3repE0EEENS1_30default_config_static_selectorELNS0_4arch9wavefront6targetE1EEEvT1_, .Lfunc_end1183-_ZN7rocprim17ROCPRIM_400000_NS6detail17trampoline_kernelINS0_14default_configENS1_20scan_config_selectorIsEEZZNS1_9scan_implILNS1_25lookback_scan_determinismE0ELb0ELb1ES3_N6thrust23THRUST_200600_302600_NS6detail15normal_iteratorINS9_10device_ptrIsEEEESE_sNS9_10multipliesIsEEsEEDaPvRmT3_T4_T5_mT6_P12ihipStream_tbENKUlT_T0_E_clISt17integral_constantIbLb0EEST_IbLb1EEEEDaSP_SQ_EUlSP_E_NS1_11comp_targetILNS1_3genE10ELNS1_11target_archE1200ELNS1_3gpuE4ELNS1_3repE0EEENS1_30default_config_static_selectorELNS0_4arch9wavefront6targetE1EEEvT1_
                                        ; -- End function
	.section	.AMDGPU.csdata,"",@progbits
; Kernel info:
; codeLenInByte = 0
; NumSgprs: 4
; NumVgprs: 0
; NumAgprs: 0
; TotalNumVgprs: 0
; ScratchSize: 0
; MemoryBound: 0
; FloatMode: 240
; IeeeMode: 1
; LDSByteSize: 0 bytes/workgroup (compile time only)
; SGPRBlocks: 0
; VGPRBlocks: 0
; NumSGPRsForWavesPerEU: 4
; NumVGPRsForWavesPerEU: 1
; AccumOffset: 4
; Occupancy: 8
; WaveLimiterHint : 0
; COMPUTE_PGM_RSRC2:SCRATCH_EN: 0
; COMPUTE_PGM_RSRC2:USER_SGPR: 6
; COMPUTE_PGM_RSRC2:TRAP_HANDLER: 0
; COMPUTE_PGM_RSRC2:TGID_X_EN: 1
; COMPUTE_PGM_RSRC2:TGID_Y_EN: 0
; COMPUTE_PGM_RSRC2:TGID_Z_EN: 0
; COMPUTE_PGM_RSRC2:TIDIG_COMP_CNT: 0
; COMPUTE_PGM_RSRC3_GFX90A:ACCUM_OFFSET: 0
; COMPUTE_PGM_RSRC3_GFX90A:TG_SPLIT: 0
	.section	.text._ZN7rocprim17ROCPRIM_400000_NS6detail17trampoline_kernelINS0_14default_configENS1_20scan_config_selectorIsEEZZNS1_9scan_implILNS1_25lookback_scan_determinismE0ELb0ELb1ES3_N6thrust23THRUST_200600_302600_NS6detail15normal_iteratorINS9_10device_ptrIsEEEESE_sNS9_10multipliesIsEEsEEDaPvRmT3_T4_T5_mT6_P12ihipStream_tbENKUlT_T0_E_clISt17integral_constantIbLb0EEST_IbLb1EEEEDaSP_SQ_EUlSP_E_NS1_11comp_targetILNS1_3genE9ELNS1_11target_archE1100ELNS1_3gpuE3ELNS1_3repE0EEENS1_30default_config_static_selectorELNS0_4arch9wavefront6targetE1EEEvT1_,"axG",@progbits,_ZN7rocprim17ROCPRIM_400000_NS6detail17trampoline_kernelINS0_14default_configENS1_20scan_config_selectorIsEEZZNS1_9scan_implILNS1_25lookback_scan_determinismE0ELb0ELb1ES3_N6thrust23THRUST_200600_302600_NS6detail15normal_iteratorINS9_10device_ptrIsEEEESE_sNS9_10multipliesIsEEsEEDaPvRmT3_T4_T5_mT6_P12ihipStream_tbENKUlT_T0_E_clISt17integral_constantIbLb0EEST_IbLb1EEEEDaSP_SQ_EUlSP_E_NS1_11comp_targetILNS1_3genE9ELNS1_11target_archE1100ELNS1_3gpuE3ELNS1_3repE0EEENS1_30default_config_static_selectorELNS0_4arch9wavefront6targetE1EEEvT1_,comdat
	.protected	_ZN7rocprim17ROCPRIM_400000_NS6detail17trampoline_kernelINS0_14default_configENS1_20scan_config_selectorIsEEZZNS1_9scan_implILNS1_25lookback_scan_determinismE0ELb0ELb1ES3_N6thrust23THRUST_200600_302600_NS6detail15normal_iteratorINS9_10device_ptrIsEEEESE_sNS9_10multipliesIsEEsEEDaPvRmT3_T4_T5_mT6_P12ihipStream_tbENKUlT_T0_E_clISt17integral_constantIbLb0EEST_IbLb1EEEEDaSP_SQ_EUlSP_E_NS1_11comp_targetILNS1_3genE9ELNS1_11target_archE1100ELNS1_3gpuE3ELNS1_3repE0EEENS1_30default_config_static_selectorELNS0_4arch9wavefront6targetE1EEEvT1_ ; -- Begin function _ZN7rocprim17ROCPRIM_400000_NS6detail17trampoline_kernelINS0_14default_configENS1_20scan_config_selectorIsEEZZNS1_9scan_implILNS1_25lookback_scan_determinismE0ELb0ELb1ES3_N6thrust23THRUST_200600_302600_NS6detail15normal_iteratorINS9_10device_ptrIsEEEESE_sNS9_10multipliesIsEEsEEDaPvRmT3_T4_T5_mT6_P12ihipStream_tbENKUlT_T0_E_clISt17integral_constantIbLb0EEST_IbLb1EEEEDaSP_SQ_EUlSP_E_NS1_11comp_targetILNS1_3genE9ELNS1_11target_archE1100ELNS1_3gpuE3ELNS1_3repE0EEENS1_30default_config_static_selectorELNS0_4arch9wavefront6targetE1EEEvT1_
	.globl	_ZN7rocprim17ROCPRIM_400000_NS6detail17trampoline_kernelINS0_14default_configENS1_20scan_config_selectorIsEEZZNS1_9scan_implILNS1_25lookback_scan_determinismE0ELb0ELb1ES3_N6thrust23THRUST_200600_302600_NS6detail15normal_iteratorINS9_10device_ptrIsEEEESE_sNS9_10multipliesIsEEsEEDaPvRmT3_T4_T5_mT6_P12ihipStream_tbENKUlT_T0_E_clISt17integral_constantIbLb0EEST_IbLb1EEEEDaSP_SQ_EUlSP_E_NS1_11comp_targetILNS1_3genE9ELNS1_11target_archE1100ELNS1_3gpuE3ELNS1_3repE0EEENS1_30default_config_static_selectorELNS0_4arch9wavefront6targetE1EEEvT1_
	.p2align	8
	.type	_ZN7rocprim17ROCPRIM_400000_NS6detail17trampoline_kernelINS0_14default_configENS1_20scan_config_selectorIsEEZZNS1_9scan_implILNS1_25lookback_scan_determinismE0ELb0ELb1ES3_N6thrust23THRUST_200600_302600_NS6detail15normal_iteratorINS9_10device_ptrIsEEEESE_sNS9_10multipliesIsEEsEEDaPvRmT3_T4_T5_mT6_P12ihipStream_tbENKUlT_T0_E_clISt17integral_constantIbLb0EEST_IbLb1EEEEDaSP_SQ_EUlSP_E_NS1_11comp_targetILNS1_3genE9ELNS1_11target_archE1100ELNS1_3gpuE3ELNS1_3repE0EEENS1_30default_config_static_selectorELNS0_4arch9wavefront6targetE1EEEvT1_,@function
_ZN7rocprim17ROCPRIM_400000_NS6detail17trampoline_kernelINS0_14default_configENS1_20scan_config_selectorIsEEZZNS1_9scan_implILNS1_25lookback_scan_determinismE0ELb0ELb1ES3_N6thrust23THRUST_200600_302600_NS6detail15normal_iteratorINS9_10device_ptrIsEEEESE_sNS9_10multipliesIsEEsEEDaPvRmT3_T4_T5_mT6_P12ihipStream_tbENKUlT_T0_E_clISt17integral_constantIbLb0EEST_IbLb1EEEEDaSP_SQ_EUlSP_E_NS1_11comp_targetILNS1_3genE9ELNS1_11target_archE1100ELNS1_3gpuE3ELNS1_3repE0EEENS1_30default_config_static_selectorELNS0_4arch9wavefront6targetE1EEEvT1_: ; @_ZN7rocprim17ROCPRIM_400000_NS6detail17trampoline_kernelINS0_14default_configENS1_20scan_config_selectorIsEEZZNS1_9scan_implILNS1_25lookback_scan_determinismE0ELb0ELb1ES3_N6thrust23THRUST_200600_302600_NS6detail15normal_iteratorINS9_10device_ptrIsEEEESE_sNS9_10multipliesIsEEsEEDaPvRmT3_T4_T5_mT6_P12ihipStream_tbENKUlT_T0_E_clISt17integral_constantIbLb0EEST_IbLb1EEEEDaSP_SQ_EUlSP_E_NS1_11comp_targetILNS1_3genE9ELNS1_11target_archE1100ELNS1_3gpuE3ELNS1_3repE0EEENS1_30default_config_static_selectorELNS0_4arch9wavefront6targetE1EEEvT1_
; %bb.0:
	.section	.rodata,"a",@progbits
	.p2align	6, 0x0
	.amdhsa_kernel _ZN7rocprim17ROCPRIM_400000_NS6detail17trampoline_kernelINS0_14default_configENS1_20scan_config_selectorIsEEZZNS1_9scan_implILNS1_25lookback_scan_determinismE0ELb0ELb1ES3_N6thrust23THRUST_200600_302600_NS6detail15normal_iteratorINS9_10device_ptrIsEEEESE_sNS9_10multipliesIsEEsEEDaPvRmT3_T4_T5_mT6_P12ihipStream_tbENKUlT_T0_E_clISt17integral_constantIbLb0EEST_IbLb1EEEEDaSP_SQ_EUlSP_E_NS1_11comp_targetILNS1_3genE9ELNS1_11target_archE1100ELNS1_3gpuE3ELNS1_3repE0EEENS1_30default_config_static_selectorELNS0_4arch9wavefront6targetE1EEEvT1_
		.amdhsa_group_segment_fixed_size 0
		.amdhsa_private_segment_fixed_size 0
		.amdhsa_kernarg_size 96
		.amdhsa_user_sgpr_count 6
		.amdhsa_user_sgpr_private_segment_buffer 1
		.amdhsa_user_sgpr_dispatch_ptr 0
		.amdhsa_user_sgpr_queue_ptr 0
		.amdhsa_user_sgpr_kernarg_segment_ptr 1
		.amdhsa_user_sgpr_dispatch_id 0
		.amdhsa_user_sgpr_flat_scratch_init 0
		.amdhsa_user_sgpr_kernarg_preload_length 0
		.amdhsa_user_sgpr_kernarg_preload_offset 0
		.amdhsa_user_sgpr_private_segment_size 0
		.amdhsa_uses_dynamic_stack 0
		.amdhsa_system_sgpr_private_segment_wavefront_offset 0
		.amdhsa_system_sgpr_workgroup_id_x 1
		.amdhsa_system_sgpr_workgroup_id_y 0
		.amdhsa_system_sgpr_workgroup_id_z 0
		.amdhsa_system_sgpr_workgroup_info 0
		.amdhsa_system_vgpr_workitem_id 0
		.amdhsa_next_free_vgpr 1
		.amdhsa_next_free_sgpr 0
		.amdhsa_accum_offset 4
		.amdhsa_reserve_vcc 0
		.amdhsa_reserve_flat_scratch 0
		.amdhsa_float_round_mode_32 0
		.amdhsa_float_round_mode_16_64 0
		.amdhsa_float_denorm_mode_32 3
		.amdhsa_float_denorm_mode_16_64 3
		.amdhsa_dx10_clamp 1
		.amdhsa_ieee_mode 1
		.amdhsa_fp16_overflow 0
		.amdhsa_tg_split 0
		.amdhsa_exception_fp_ieee_invalid_op 0
		.amdhsa_exception_fp_denorm_src 0
		.amdhsa_exception_fp_ieee_div_zero 0
		.amdhsa_exception_fp_ieee_overflow 0
		.amdhsa_exception_fp_ieee_underflow 0
		.amdhsa_exception_fp_ieee_inexact 0
		.amdhsa_exception_int_div_zero 0
	.end_amdhsa_kernel
	.section	.text._ZN7rocprim17ROCPRIM_400000_NS6detail17trampoline_kernelINS0_14default_configENS1_20scan_config_selectorIsEEZZNS1_9scan_implILNS1_25lookback_scan_determinismE0ELb0ELb1ES3_N6thrust23THRUST_200600_302600_NS6detail15normal_iteratorINS9_10device_ptrIsEEEESE_sNS9_10multipliesIsEEsEEDaPvRmT3_T4_T5_mT6_P12ihipStream_tbENKUlT_T0_E_clISt17integral_constantIbLb0EEST_IbLb1EEEEDaSP_SQ_EUlSP_E_NS1_11comp_targetILNS1_3genE9ELNS1_11target_archE1100ELNS1_3gpuE3ELNS1_3repE0EEENS1_30default_config_static_selectorELNS0_4arch9wavefront6targetE1EEEvT1_,"axG",@progbits,_ZN7rocprim17ROCPRIM_400000_NS6detail17trampoline_kernelINS0_14default_configENS1_20scan_config_selectorIsEEZZNS1_9scan_implILNS1_25lookback_scan_determinismE0ELb0ELb1ES3_N6thrust23THRUST_200600_302600_NS6detail15normal_iteratorINS9_10device_ptrIsEEEESE_sNS9_10multipliesIsEEsEEDaPvRmT3_T4_T5_mT6_P12ihipStream_tbENKUlT_T0_E_clISt17integral_constantIbLb0EEST_IbLb1EEEEDaSP_SQ_EUlSP_E_NS1_11comp_targetILNS1_3genE9ELNS1_11target_archE1100ELNS1_3gpuE3ELNS1_3repE0EEENS1_30default_config_static_selectorELNS0_4arch9wavefront6targetE1EEEvT1_,comdat
.Lfunc_end1184:
	.size	_ZN7rocprim17ROCPRIM_400000_NS6detail17trampoline_kernelINS0_14default_configENS1_20scan_config_selectorIsEEZZNS1_9scan_implILNS1_25lookback_scan_determinismE0ELb0ELb1ES3_N6thrust23THRUST_200600_302600_NS6detail15normal_iteratorINS9_10device_ptrIsEEEESE_sNS9_10multipliesIsEEsEEDaPvRmT3_T4_T5_mT6_P12ihipStream_tbENKUlT_T0_E_clISt17integral_constantIbLb0EEST_IbLb1EEEEDaSP_SQ_EUlSP_E_NS1_11comp_targetILNS1_3genE9ELNS1_11target_archE1100ELNS1_3gpuE3ELNS1_3repE0EEENS1_30default_config_static_selectorELNS0_4arch9wavefront6targetE1EEEvT1_, .Lfunc_end1184-_ZN7rocprim17ROCPRIM_400000_NS6detail17trampoline_kernelINS0_14default_configENS1_20scan_config_selectorIsEEZZNS1_9scan_implILNS1_25lookback_scan_determinismE0ELb0ELb1ES3_N6thrust23THRUST_200600_302600_NS6detail15normal_iteratorINS9_10device_ptrIsEEEESE_sNS9_10multipliesIsEEsEEDaPvRmT3_T4_T5_mT6_P12ihipStream_tbENKUlT_T0_E_clISt17integral_constantIbLb0EEST_IbLb1EEEEDaSP_SQ_EUlSP_E_NS1_11comp_targetILNS1_3genE9ELNS1_11target_archE1100ELNS1_3gpuE3ELNS1_3repE0EEENS1_30default_config_static_selectorELNS0_4arch9wavefront6targetE1EEEvT1_
                                        ; -- End function
	.section	.AMDGPU.csdata,"",@progbits
; Kernel info:
; codeLenInByte = 0
; NumSgprs: 4
; NumVgprs: 0
; NumAgprs: 0
; TotalNumVgprs: 0
; ScratchSize: 0
; MemoryBound: 0
; FloatMode: 240
; IeeeMode: 1
; LDSByteSize: 0 bytes/workgroup (compile time only)
; SGPRBlocks: 0
; VGPRBlocks: 0
; NumSGPRsForWavesPerEU: 4
; NumVGPRsForWavesPerEU: 1
; AccumOffset: 4
; Occupancy: 8
; WaveLimiterHint : 0
; COMPUTE_PGM_RSRC2:SCRATCH_EN: 0
; COMPUTE_PGM_RSRC2:USER_SGPR: 6
; COMPUTE_PGM_RSRC2:TRAP_HANDLER: 0
; COMPUTE_PGM_RSRC2:TGID_X_EN: 1
; COMPUTE_PGM_RSRC2:TGID_Y_EN: 0
; COMPUTE_PGM_RSRC2:TGID_Z_EN: 0
; COMPUTE_PGM_RSRC2:TIDIG_COMP_CNT: 0
; COMPUTE_PGM_RSRC3_GFX90A:ACCUM_OFFSET: 0
; COMPUTE_PGM_RSRC3_GFX90A:TG_SPLIT: 0
	.section	.text._ZN7rocprim17ROCPRIM_400000_NS6detail17trampoline_kernelINS0_14default_configENS1_20scan_config_selectorIsEEZZNS1_9scan_implILNS1_25lookback_scan_determinismE0ELb0ELb1ES3_N6thrust23THRUST_200600_302600_NS6detail15normal_iteratorINS9_10device_ptrIsEEEESE_sNS9_10multipliesIsEEsEEDaPvRmT3_T4_T5_mT6_P12ihipStream_tbENKUlT_T0_E_clISt17integral_constantIbLb0EEST_IbLb1EEEEDaSP_SQ_EUlSP_E_NS1_11comp_targetILNS1_3genE8ELNS1_11target_archE1030ELNS1_3gpuE2ELNS1_3repE0EEENS1_30default_config_static_selectorELNS0_4arch9wavefront6targetE1EEEvT1_,"axG",@progbits,_ZN7rocprim17ROCPRIM_400000_NS6detail17trampoline_kernelINS0_14default_configENS1_20scan_config_selectorIsEEZZNS1_9scan_implILNS1_25lookback_scan_determinismE0ELb0ELb1ES3_N6thrust23THRUST_200600_302600_NS6detail15normal_iteratorINS9_10device_ptrIsEEEESE_sNS9_10multipliesIsEEsEEDaPvRmT3_T4_T5_mT6_P12ihipStream_tbENKUlT_T0_E_clISt17integral_constantIbLb0EEST_IbLb1EEEEDaSP_SQ_EUlSP_E_NS1_11comp_targetILNS1_3genE8ELNS1_11target_archE1030ELNS1_3gpuE2ELNS1_3repE0EEENS1_30default_config_static_selectorELNS0_4arch9wavefront6targetE1EEEvT1_,comdat
	.protected	_ZN7rocprim17ROCPRIM_400000_NS6detail17trampoline_kernelINS0_14default_configENS1_20scan_config_selectorIsEEZZNS1_9scan_implILNS1_25lookback_scan_determinismE0ELb0ELb1ES3_N6thrust23THRUST_200600_302600_NS6detail15normal_iteratorINS9_10device_ptrIsEEEESE_sNS9_10multipliesIsEEsEEDaPvRmT3_T4_T5_mT6_P12ihipStream_tbENKUlT_T0_E_clISt17integral_constantIbLb0EEST_IbLb1EEEEDaSP_SQ_EUlSP_E_NS1_11comp_targetILNS1_3genE8ELNS1_11target_archE1030ELNS1_3gpuE2ELNS1_3repE0EEENS1_30default_config_static_selectorELNS0_4arch9wavefront6targetE1EEEvT1_ ; -- Begin function _ZN7rocprim17ROCPRIM_400000_NS6detail17trampoline_kernelINS0_14default_configENS1_20scan_config_selectorIsEEZZNS1_9scan_implILNS1_25lookback_scan_determinismE0ELb0ELb1ES3_N6thrust23THRUST_200600_302600_NS6detail15normal_iteratorINS9_10device_ptrIsEEEESE_sNS9_10multipliesIsEEsEEDaPvRmT3_T4_T5_mT6_P12ihipStream_tbENKUlT_T0_E_clISt17integral_constantIbLb0EEST_IbLb1EEEEDaSP_SQ_EUlSP_E_NS1_11comp_targetILNS1_3genE8ELNS1_11target_archE1030ELNS1_3gpuE2ELNS1_3repE0EEENS1_30default_config_static_selectorELNS0_4arch9wavefront6targetE1EEEvT1_
	.globl	_ZN7rocprim17ROCPRIM_400000_NS6detail17trampoline_kernelINS0_14default_configENS1_20scan_config_selectorIsEEZZNS1_9scan_implILNS1_25lookback_scan_determinismE0ELb0ELb1ES3_N6thrust23THRUST_200600_302600_NS6detail15normal_iteratorINS9_10device_ptrIsEEEESE_sNS9_10multipliesIsEEsEEDaPvRmT3_T4_T5_mT6_P12ihipStream_tbENKUlT_T0_E_clISt17integral_constantIbLb0EEST_IbLb1EEEEDaSP_SQ_EUlSP_E_NS1_11comp_targetILNS1_3genE8ELNS1_11target_archE1030ELNS1_3gpuE2ELNS1_3repE0EEENS1_30default_config_static_selectorELNS0_4arch9wavefront6targetE1EEEvT1_
	.p2align	8
	.type	_ZN7rocprim17ROCPRIM_400000_NS6detail17trampoline_kernelINS0_14default_configENS1_20scan_config_selectorIsEEZZNS1_9scan_implILNS1_25lookback_scan_determinismE0ELb0ELb1ES3_N6thrust23THRUST_200600_302600_NS6detail15normal_iteratorINS9_10device_ptrIsEEEESE_sNS9_10multipliesIsEEsEEDaPvRmT3_T4_T5_mT6_P12ihipStream_tbENKUlT_T0_E_clISt17integral_constantIbLb0EEST_IbLb1EEEEDaSP_SQ_EUlSP_E_NS1_11comp_targetILNS1_3genE8ELNS1_11target_archE1030ELNS1_3gpuE2ELNS1_3repE0EEENS1_30default_config_static_selectorELNS0_4arch9wavefront6targetE1EEEvT1_,@function
_ZN7rocprim17ROCPRIM_400000_NS6detail17trampoline_kernelINS0_14default_configENS1_20scan_config_selectorIsEEZZNS1_9scan_implILNS1_25lookback_scan_determinismE0ELb0ELb1ES3_N6thrust23THRUST_200600_302600_NS6detail15normal_iteratorINS9_10device_ptrIsEEEESE_sNS9_10multipliesIsEEsEEDaPvRmT3_T4_T5_mT6_P12ihipStream_tbENKUlT_T0_E_clISt17integral_constantIbLb0EEST_IbLb1EEEEDaSP_SQ_EUlSP_E_NS1_11comp_targetILNS1_3genE8ELNS1_11target_archE1030ELNS1_3gpuE2ELNS1_3repE0EEENS1_30default_config_static_selectorELNS0_4arch9wavefront6targetE1EEEvT1_: ; @_ZN7rocprim17ROCPRIM_400000_NS6detail17trampoline_kernelINS0_14default_configENS1_20scan_config_selectorIsEEZZNS1_9scan_implILNS1_25lookback_scan_determinismE0ELb0ELb1ES3_N6thrust23THRUST_200600_302600_NS6detail15normal_iteratorINS9_10device_ptrIsEEEESE_sNS9_10multipliesIsEEsEEDaPvRmT3_T4_T5_mT6_P12ihipStream_tbENKUlT_T0_E_clISt17integral_constantIbLb0EEST_IbLb1EEEEDaSP_SQ_EUlSP_E_NS1_11comp_targetILNS1_3genE8ELNS1_11target_archE1030ELNS1_3gpuE2ELNS1_3repE0EEENS1_30default_config_static_selectorELNS0_4arch9wavefront6targetE1EEEvT1_
; %bb.0:
	.section	.rodata,"a",@progbits
	.p2align	6, 0x0
	.amdhsa_kernel _ZN7rocprim17ROCPRIM_400000_NS6detail17trampoline_kernelINS0_14default_configENS1_20scan_config_selectorIsEEZZNS1_9scan_implILNS1_25lookback_scan_determinismE0ELb0ELb1ES3_N6thrust23THRUST_200600_302600_NS6detail15normal_iteratorINS9_10device_ptrIsEEEESE_sNS9_10multipliesIsEEsEEDaPvRmT3_T4_T5_mT6_P12ihipStream_tbENKUlT_T0_E_clISt17integral_constantIbLb0EEST_IbLb1EEEEDaSP_SQ_EUlSP_E_NS1_11comp_targetILNS1_3genE8ELNS1_11target_archE1030ELNS1_3gpuE2ELNS1_3repE0EEENS1_30default_config_static_selectorELNS0_4arch9wavefront6targetE1EEEvT1_
		.amdhsa_group_segment_fixed_size 0
		.amdhsa_private_segment_fixed_size 0
		.amdhsa_kernarg_size 96
		.amdhsa_user_sgpr_count 6
		.amdhsa_user_sgpr_private_segment_buffer 1
		.amdhsa_user_sgpr_dispatch_ptr 0
		.amdhsa_user_sgpr_queue_ptr 0
		.amdhsa_user_sgpr_kernarg_segment_ptr 1
		.amdhsa_user_sgpr_dispatch_id 0
		.amdhsa_user_sgpr_flat_scratch_init 0
		.amdhsa_user_sgpr_kernarg_preload_length 0
		.amdhsa_user_sgpr_kernarg_preload_offset 0
		.amdhsa_user_sgpr_private_segment_size 0
		.amdhsa_uses_dynamic_stack 0
		.amdhsa_system_sgpr_private_segment_wavefront_offset 0
		.amdhsa_system_sgpr_workgroup_id_x 1
		.amdhsa_system_sgpr_workgroup_id_y 0
		.amdhsa_system_sgpr_workgroup_id_z 0
		.amdhsa_system_sgpr_workgroup_info 0
		.amdhsa_system_vgpr_workitem_id 0
		.amdhsa_next_free_vgpr 1
		.amdhsa_next_free_sgpr 0
		.amdhsa_accum_offset 4
		.amdhsa_reserve_vcc 0
		.amdhsa_reserve_flat_scratch 0
		.amdhsa_float_round_mode_32 0
		.amdhsa_float_round_mode_16_64 0
		.amdhsa_float_denorm_mode_32 3
		.amdhsa_float_denorm_mode_16_64 3
		.amdhsa_dx10_clamp 1
		.amdhsa_ieee_mode 1
		.amdhsa_fp16_overflow 0
		.amdhsa_tg_split 0
		.amdhsa_exception_fp_ieee_invalid_op 0
		.amdhsa_exception_fp_denorm_src 0
		.amdhsa_exception_fp_ieee_div_zero 0
		.amdhsa_exception_fp_ieee_overflow 0
		.amdhsa_exception_fp_ieee_underflow 0
		.amdhsa_exception_fp_ieee_inexact 0
		.amdhsa_exception_int_div_zero 0
	.end_amdhsa_kernel
	.section	.text._ZN7rocprim17ROCPRIM_400000_NS6detail17trampoline_kernelINS0_14default_configENS1_20scan_config_selectorIsEEZZNS1_9scan_implILNS1_25lookback_scan_determinismE0ELb0ELb1ES3_N6thrust23THRUST_200600_302600_NS6detail15normal_iteratorINS9_10device_ptrIsEEEESE_sNS9_10multipliesIsEEsEEDaPvRmT3_T4_T5_mT6_P12ihipStream_tbENKUlT_T0_E_clISt17integral_constantIbLb0EEST_IbLb1EEEEDaSP_SQ_EUlSP_E_NS1_11comp_targetILNS1_3genE8ELNS1_11target_archE1030ELNS1_3gpuE2ELNS1_3repE0EEENS1_30default_config_static_selectorELNS0_4arch9wavefront6targetE1EEEvT1_,"axG",@progbits,_ZN7rocprim17ROCPRIM_400000_NS6detail17trampoline_kernelINS0_14default_configENS1_20scan_config_selectorIsEEZZNS1_9scan_implILNS1_25lookback_scan_determinismE0ELb0ELb1ES3_N6thrust23THRUST_200600_302600_NS6detail15normal_iteratorINS9_10device_ptrIsEEEESE_sNS9_10multipliesIsEEsEEDaPvRmT3_T4_T5_mT6_P12ihipStream_tbENKUlT_T0_E_clISt17integral_constantIbLb0EEST_IbLb1EEEEDaSP_SQ_EUlSP_E_NS1_11comp_targetILNS1_3genE8ELNS1_11target_archE1030ELNS1_3gpuE2ELNS1_3repE0EEENS1_30default_config_static_selectorELNS0_4arch9wavefront6targetE1EEEvT1_,comdat
.Lfunc_end1185:
	.size	_ZN7rocprim17ROCPRIM_400000_NS6detail17trampoline_kernelINS0_14default_configENS1_20scan_config_selectorIsEEZZNS1_9scan_implILNS1_25lookback_scan_determinismE0ELb0ELb1ES3_N6thrust23THRUST_200600_302600_NS6detail15normal_iteratorINS9_10device_ptrIsEEEESE_sNS9_10multipliesIsEEsEEDaPvRmT3_T4_T5_mT6_P12ihipStream_tbENKUlT_T0_E_clISt17integral_constantIbLb0EEST_IbLb1EEEEDaSP_SQ_EUlSP_E_NS1_11comp_targetILNS1_3genE8ELNS1_11target_archE1030ELNS1_3gpuE2ELNS1_3repE0EEENS1_30default_config_static_selectorELNS0_4arch9wavefront6targetE1EEEvT1_, .Lfunc_end1185-_ZN7rocprim17ROCPRIM_400000_NS6detail17trampoline_kernelINS0_14default_configENS1_20scan_config_selectorIsEEZZNS1_9scan_implILNS1_25lookback_scan_determinismE0ELb0ELb1ES3_N6thrust23THRUST_200600_302600_NS6detail15normal_iteratorINS9_10device_ptrIsEEEESE_sNS9_10multipliesIsEEsEEDaPvRmT3_T4_T5_mT6_P12ihipStream_tbENKUlT_T0_E_clISt17integral_constantIbLb0EEST_IbLb1EEEEDaSP_SQ_EUlSP_E_NS1_11comp_targetILNS1_3genE8ELNS1_11target_archE1030ELNS1_3gpuE2ELNS1_3repE0EEENS1_30default_config_static_selectorELNS0_4arch9wavefront6targetE1EEEvT1_
                                        ; -- End function
	.section	.AMDGPU.csdata,"",@progbits
; Kernel info:
; codeLenInByte = 0
; NumSgprs: 4
; NumVgprs: 0
; NumAgprs: 0
; TotalNumVgprs: 0
; ScratchSize: 0
; MemoryBound: 0
; FloatMode: 240
; IeeeMode: 1
; LDSByteSize: 0 bytes/workgroup (compile time only)
; SGPRBlocks: 0
; VGPRBlocks: 0
; NumSGPRsForWavesPerEU: 4
; NumVGPRsForWavesPerEU: 1
; AccumOffset: 4
; Occupancy: 8
; WaveLimiterHint : 0
; COMPUTE_PGM_RSRC2:SCRATCH_EN: 0
; COMPUTE_PGM_RSRC2:USER_SGPR: 6
; COMPUTE_PGM_RSRC2:TRAP_HANDLER: 0
; COMPUTE_PGM_RSRC2:TGID_X_EN: 1
; COMPUTE_PGM_RSRC2:TGID_Y_EN: 0
; COMPUTE_PGM_RSRC2:TGID_Z_EN: 0
; COMPUTE_PGM_RSRC2:TIDIG_COMP_CNT: 0
; COMPUTE_PGM_RSRC3_GFX90A:ACCUM_OFFSET: 0
; COMPUTE_PGM_RSRC3_GFX90A:TG_SPLIT: 0
	.section	.text._ZN7rocprim17ROCPRIM_400000_NS6detail17trampoline_kernelINS0_14default_configENS1_20scan_config_selectorIsEEZZNS1_9scan_implILNS1_25lookback_scan_determinismE0ELb0ELb1ES3_N6thrust23THRUST_200600_302600_NS6detail15normal_iteratorINS9_10device_ptrIsEEEESE_sNS9_10multipliesIsEEsEEDaPvRmT3_T4_T5_mT6_P12ihipStream_tbENKUlT_T0_E_clISt17integral_constantIbLb0EEST_IbLb1EEEEDaSP_SQ_EUlSP_E0_NS1_11comp_targetILNS1_3genE0ELNS1_11target_archE4294967295ELNS1_3gpuE0ELNS1_3repE0EEENS1_30default_config_static_selectorELNS0_4arch9wavefront6targetE1EEEvT1_,"axG",@progbits,_ZN7rocprim17ROCPRIM_400000_NS6detail17trampoline_kernelINS0_14default_configENS1_20scan_config_selectorIsEEZZNS1_9scan_implILNS1_25lookback_scan_determinismE0ELb0ELb1ES3_N6thrust23THRUST_200600_302600_NS6detail15normal_iteratorINS9_10device_ptrIsEEEESE_sNS9_10multipliesIsEEsEEDaPvRmT3_T4_T5_mT6_P12ihipStream_tbENKUlT_T0_E_clISt17integral_constantIbLb0EEST_IbLb1EEEEDaSP_SQ_EUlSP_E0_NS1_11comp_targetILNS1_3genE0ELNS1_11target_archE4294967295ELNS1_3gpuE0ELNS1_3repE0EEENS1_30default_config_static_selectorELNS0_4arch9wavefront6targetE1EEEvT1_,comdat
	.protected	_ZN7rocprim17ROCPRIM_400000_NS6detail17trampoline_kernelINS0_14default_configENS1_20scan_config_selectorIsEEZZNS1_9scan_implILNS1_25lookback_scan_determinismE0ELb0ELb1ES3_N6thrust23THRUST_200600_302600_NS6detail15normal_iteratorINS9_10device_ptrIsEEEESE_sNS9_10multipliesIsEEsEEDaPvRmT3_T4_T5_mT6_P12ihipStream_tbENKUlT_T0_E_clISt17integral_constantIbLb0EEST_IbLb1EEEEDaSP_SQ_EUlSP_E0_NS1_11comp_targetILNS1_3genE0ELNS1_11target_archE4294967295ELNS1_3gpuE0ELNS1_3repE0EEENS1_30default_config_static_selectorELNS0_4arch9wavefront6targetE1EEEvT1_ ; -- Begin function _ZN7rocprim17ROCPRIM_400000_NS6detail17trampoline_kernelINS0_14default_configENS1_20scan_config_selectorIsEEZZNS1_9scan_implILNS1_25lookback_scan_determinismE0ELb0ELb1ES3_N6thrust23THRUST_200600_302600_NS6detail15normal_iteratorINS9_10device_ptrIsEEEESE_sNS9_10multipliesIsEEsEEDaPvRmT3_T4_T5_mT6_P12ihipStream_tbENKUlT_T0_E_clISt17integral_constantIbLb0EEST_IbLb1EEEEDaSP_SQ_EUlSP_E0_NS1_11comp_targetILNS1_3genE0ELNS1_11target_archE4294967295ELNS1_3gpuE0ELNS1_3repE0EEENS1_30default_config_static_selectorELNS0_4arch9wavefront6targetE1EEEvT1_
	.globl	_ZN7rocprim17ROCPRIM_400000_NS6detail17trampoline_kernelINS0_14default_configENS1_20scan_config_selectorIsEEZZNS1_9scan_implILNS1_25lookback_scan_determinismE0ELb0ELb1ES3_N6thrust23THRUST_200600_302600_NS6detail15normal_iteratorINS9_10device_ptrIsEEEESE_sNS9_10multipliesIsEEsEEDaPvRmT3_T4_T5_mT6_P12ihipStream_tbENKUlT_T0_E_clISt17integral_constantIbLb0EEST_IbLb1EEEEDaSP_SQ_EUlSP_E0_NS1_11comp_targetILNS1_3genE0ELNS1_11target_archE4294967295ELNS1_3gpuE0ELNS1_3repE0EEENS1_30default_config_static_selectorELNS0_4arch9wavefront6targetE1EEEvT1_
	.p2align	8
	.type	_ZN7rocprim17ROCPRIM_400000_NS6detail17trampoline_kernelINS0_14default_configENS1_20scan_config_selectorIsEEZZNS1_9scan_implILNS1_25lookback_scan_determinismE0ELb0ELb1ES3_N6thrust23THRUST_200600_302600_NS6detail15normal_iteratorINS9_10device_ptrIsEEEESE_sNS9_10multipliesIsEEsEEDaPvRmT3_T4_T5_mT6_P12ihipStream_tbENKUlT_T0_E_clISt17integral_constantIbLb0EEST_IbLb1EEEEDaSP_SQ_EUlSP_E0_NS1_11comp_targetILNS1_3genE0ELNS1_11target_archE4294967295ELNS1_3gpuE0ELNS1_3repE0EEENS1_30default_config_static_selectorELNS0_4arch9wavefront6targetE1EEEvT1_,@function
_ZN7rocprim17ROCPRIM_400000_NS6detail17trampoline_kernelINS0_14default_configENS1_20scan_config_selectorIsEEZZNS1_9scan_implILNS1_25lookback_scan_determinismE0ELb0ELb1ES3_N6thrust23THRUST_200600_302600_NS6detail15normal_iteratorINS9_10device_ptrIsEEEESE_sNS9_10multipliesIsEEsEEDaPvRmT3_T4_T5_mT6_P12ihipStream_tbENKUlT_T0_E_clISt17integral_constantIbLb0EEST_IbLb1EEEEDaSP_SQ_EUlSP_E0_NS1_11comp_targetILNS1_3genE0ELNS1_11target_archE4294967295ELNS1_3gpuE0ELNS1_3repE0EEENS1_30default_config_static_selectorELNS0_4arch9wavefront6targetE1EEEvT1_: ; @_ZN7rocprim17ROCPRIM_400000_NS6detail17trampoline_kernelINS0_14default_configENS1_20scan_config_selectorIsEEZZNS1_9scan_implILNS1_25lookback_scan_determinismE0ELb0ELb1ES3_N6thrust23THRUST_200600_302600_NS6detail15normal_iteratorINS9_10device_ptrIsEEEESE_sNS9_10multipliesIsEEsEEDaPvRmT3_T4_T5_mT6_P12ihipStream_tbENKUlT_T0_E_clISt17integral_constantIbLb0EEST_IbLb1EEEEDaSP_SQ_EUlSP_E0_NS1_11comp_targetILNS1_3genE0ELNS1_11target_archE4294967295ELNS1_3gpuE0ELNS1_3repE0EEENS1_30default_config_static_selectorELNS0_4arch9wavefront6targetE1EEEvT1_
; %bb.0:
	.section	.rodata,"a",@progbits
	.p2align	6, 0x0
	.amdhsa_kernel _ZN7rocprim17ROCPRIM_400000_NS6detail17trampoline_kernelINS0_14default_configENS1_20scan_config_selectorIsEEZZNS1_9scan_implILNS1_25lookback_scan_determinismE0ELb0ELb1ES3_N6thrust23THRUST_200600_302600_NS6detail15normal_iteratorINS9_10device_ptrIsEEEESE_sNS9_10multipliesIsEEsEEDaPvRmT3_T4_T5_mT6_P12ihipStream_tbENKUlT_T0_E_clISt17integral_constantIbLb0EEST_IbLb1EEEEDaSP_SQ_EUlSP_E0_NS1_11comp_targetILNS1_3genE0ELNS1_11target_archE4294967295ELNS1_3gpuE0ELNS1_3repE0EEENS1_30default_config_static_selectorELNS0_4arch9wavefront6targetE1EEEvT1_
		.amdhsa_group_segment_fixed_size 0
		.amdhsa_private_segment_fixed_size 0
		.amdhsa_kernarg_size 32
		.amdhsa_user_sgpr_count 6
		.amdhsa_user_sgpr_private_segment_buffer 1
		.amdhsa_user_sgpr_dispatch_ptr 0
		.amdhsa_user_sgpr_queue_ptr 0
		.amdhsa_user_sgpr_kernarg_segment_ptr 1
		.amdhsa_user_sgpr_dispatch_id 0
		.amdhsa_user_sgpr_flat_scratch_init 0
		.amdhsa_user_sgpr_kernarg_preload_length 0
		.amdhsa_user_sgpr_kernarg_preload_offset 0
		.amdhsa_user_sgpr_private_segment_size 0
		.amdhsa_uses_dynamic_stack 0
		.amdhsa_system_sgpr_private_segment_wavefront_offset 0
		.amdhsa_system_sgpr_workgroup_id_x 1
		.amdhsa_system_sgpr_workgroup_id_y 0
		.amdhsa_system_sgpr_workgroup_id_z 0
		.amdhsa_system_sgpr_workgroup_info 0
		.amdhsa_system_vgpr_workitem_id 0
		.amdhsa_next_free_vgpr 1
		.amdhsa_next_free_sgpr 0
		.amdhsa_accum_offset 4
		.amdhsa_reserve_vcc 0
		.amdhsa_reserve_flat_scratch 0
		.amdhsa_float_round_mode_32 0
		.amdhsa_float_round_mode_16_64 0
		.amdhsa_float_denorm_mode_32 3
		.amdhsa_float_denorm_mode_16_64 3
		.amdhsa_dx10_clamp 1
		.amdhsa_ieee_mode 1
		.amdhsa_fp16_overflow 0
		.amdhsa_tg_split 0
		.amdhsa_exception_fp_ieee_invalid_op 0
		.amdhsa_exception_fp_denorm_src 0
		.amdhsa_exception_fp_ieee_div_zero 0
		.amdhsa_exception_fp_ieee_overflow 0
		.amdhsa_exception_fp_ieee_underflow 0
		.amdhsa_exception_fp_ieee_inexact 0
		.amdhsa_exception_int_div_zero 0
	.end_amdhsa_kernel
	.section	.text._ZN7rocprim17ROCPRIM_400000_NS6detail17trampoline_kernelINS0_14default_configENS1_20scan_config_selectorIsEEZZNS1_9scan_implILNS1_25lookback_scan_determinismE0ELb0ELb1ES3_N6thrust23THRUST_200600_302600_NS6detail15normal_iteratorINS9_10device_ptrIsEEEESE_sNS9_10multipliesIsEEsEEDaPvRmT3_T4_T5_mT6_P12ihipStream_tbENKUlT_T0_E_clISt17integral_constantIbLb0EEST_IbLb1EEEEDaSP_SQ_EUlSP_E0_NS1_11comp_targetILNS1_3genE0ELNS1_11target_archE4294967295ELNS1_3gpuE0ELNS1_3repE0EEENS1_30default_config_static_selectorELNS0_4arch9wavefront6targetE1EEEvT1_,"axG",@progbits,_ZN7rocprim17ROCPRIM_400000_NS6detail17trampoline_kernelINS0_14default_configENS1_20scan_config_selectorIsEEZZNS1_9scan_implILNS1_25lookback_scan_determinismE0ELb0ELb1ES3_N6thrust23THRUST_200600_302600_NS6detail15normal_iteratorINS9_10device_ptrIsEEEESE_sNS9_10multipliesIsEEsEEDaPvRmT3_T4_T5_mT6_P12ihipStream_tbENKUlT_T0_E_clISt17integral_constantIbLb0EEST_IbLb1EEEEDaSP_SQ_EUlSP_E0_NS1_11comp_targetILNS1_3genE0ELNS1_11target_archE4294967295ELNS1_3gpuE0ELNS1_3repE0EEENS1_30default_config_static_selectorELNS0_4arch9wavefront6targetE1EEEvT1_,comdat
.Lfunc_end1186:
	.size	_ZN7rocprim17ROCPRIM_400000_NS6detail17trampoline_kernelINS0_14default_configENS1_20scan_config_selectorIsEEZZNS1_9scan_implILNS1_25lookback_scan_determinismE0ELb0ELb1ES3_N6thrust23THRUST_200600_302600_NS6detail15normal_iteratorINS9_10device_ptrIsEEEESE_sNS9_10multipliesIsEEsEEDaPvRmT3_T4_T5_mT6_P12ihipStream_tbENKUlT_T0_E_clISt17integral_constantIbLb0EEST_IbLb1EEEEDaSP_SQ_EUlSP_E0_NS1_11comp_targetILNS1_3genE0ELNS1_11target_archE4294967295ELNS1_3gpuE0ELNS1_3repE0EEENS1_30default_config_static_selectorELNS0_4arch9wavefront6targetE1EEEvT1_, .Lfunc_end1186-_ZN7rocprim17ROCPRIM_400000_NS6detail17trampoline_kernelINS0_14default_configENS1_20scan_config_selectorIsEEZZNS1_9scan_implILNS1_25lookback_scan_determinismE0ELb0ELb1ES3_N6thrust23THRUST_200600_302600_NS6detail15normal_iteratorINS9_10device_ptrIsEEEESE_sNS9_10multipliesIsEEsEEDaPvRmT3_T4_T5_mT6_P12ihipStream_tbENKUlT_T0_E_clISt17integral_constantIbLb0EEST_IbLb1EEEEDaSP_SQ_EUlSP_E0_NS1_11comp_targetILNS1_3genE0ELNS1_11target_archE4294967295ELNS1_3gpuE0ELNS1_3repE0EEENS1_30default_config_static_selectorELNS0_4arch9wavefront6targetE1EEEvT1_
                                        ; -- End function
	.section	.AMDGPU.csdata,"",@progbits
; Kernel info:
; codeLenInByte = 0
; NumSgprs: 4
; NumVgprs: 0
; NumAgprs: 0
; TotalNumVgprs: 0
; ScratchSize: 0
; MemoryBound: 0
; FloatMode: 240
; IeeeMode: 1
; LDSByteSize: 0 bytes/workgroup (compile time only)
; SGPRBlocks: 0
; VGPRBlocks: 0
; NumSGPRsForWavesPerEU: 4
; NumVGPRsForWavesPerEU: 1
; AccumOffset: 4
; Occupancy: 8
; WaveLimiterHint : 0
; COMPUTE_PGM_RSRC2:SCRATCH_EN: 0
; COMPUTE_PGM_RSRC2:USER_SGPR: 6
; COMPUTE_PGM_RSRC2:TRAP_HANDLER: 0
; COMPUTE_PGM_RSRC2:TGID_X_EN: 1
; COMPUTE_PGM_RSRC2:TGID_Y_EN: 0
; COMPUTE_PGM_RSRC2:TGID_Z_EN: 0
; COMPUTE_PGM_RSRC2:TIDIG_COMP_CNT: 0
; COMPUTE_PGM_RSRC3_GFX90A:ACCUM_OFFSET: 0
; COMPUTE_PGM_RSRC3_GFX90A:TG_SPLIT: 0
	.section	.text._ZN7rocprim17ROCPRIM_400000_NS6detail17trampoline_kernelINS0_14default_configENS1_20scan_config_selectorIsEEZZNS1_9scan_implILNS1_25lookback_scan_determinismE0ELb0ELb1ES3_N6thrust23THRUST_200600_302600_NS6detail15normal_iteratorINS9_10device_ptrIsEEEESE_sNS9_10multipliesIsEEsEEDaPvRmT3_T4_T5_mT6_P12ihipStream_tbENKUlT_T0_E_clISt17integral_constantIbLb0EEST_IbLb1EEEEDaSP_SQ_EUlSP_E0_NS1_11comp_targetILNS1_3genE5ELNS1_11target_archE942ELNS1_3gpuE9ELNS1_3repE0EEENS1_30default_config_static_selectorELNS0_4arch9wavefront6targetE1EEEvT1_,"axG",@progbits,_ZN7rocprim17ROCPRIM_400000_NS6detail17trampoline_kernelINS0_14default_configENS1_20scan_config_selectorIsEEZZNS1_9scan_implILNS1_25lookback_scan_determinismE0ELb0ELb1ES3_N6thrust23THRUST_200600_302600_NS6detail15normal_iteratorINS9_10device_ptrIsEEEESE_sNS9_10multipliesIsEEsEEDaPvRmT3_T4_T5_mT6_P12ihipStream_tbENKUlT_T0_E_clISt17integral_constantIbLb0EEST_IbLb1EEEEDaSP_SQ_EUlSP_E0_NS1_11comp_targetILNS1_3genE5ELNS1_11target_archE942ELNS1_3gpuE9ELNS1_3repE0EEENS1_30default_config_static_selectorELNS0_4arch9wavefront6targetE1EEEvT1_,comdat
	.protected	_ZN7rocprim17ROCPRIM_400000_NS6detail17trampoline_kernelINS0_14default_configENS1_20scan_config_selectorIsEEZZNS1_9scan_implILNS1_25lookback_scan_determinismE0ELb0ELb1ES3_N6thrust23THRUST_200600_302600_NS6detail15normal_iteratorINS9_10device_ptrIsEEEESE_sNS9_10multipliesIsEEsEEDaPvRmT3_T4_T5_mT6_P12ihipStream_tbENKUlT_T0_E_clISt17integral_constantIbLb0EEST_IbLb1EEEEDaSP_SQ_EUlSP_E0_NS1_11comp_targetILNS1_3genE5ELNS1_11target_archE942ELNS1_3gpuE9ELNS1_3repE0EEENS1_30default_config_static_selectorELNS0_4arch9wavefront6targetE1EEEvT1_ ; -- Begin function _ZN7rocprim17ROCPRIM_400000_NS6detail17trampoline_kernelINS0_14default_configENS1_20scan_config_selectorIsEEZZNS1_9scan_implILNS1_25lookback_scan_determinismE0ELb0ELb1ES3_N6thrust23THRUST_200600_302600_NS6detail15normal_iteratorINS9_10device_ptrIsEEEESE_sNS9_10multipliesIsEEsEEDaPvRmT3_T4_T5_mT6_P12ihipStream_tbENKUlT_T0_E_clISt17integral_constantIbLb0EEST_IbLb1EEEEDaSP_SQ_EUlSP_E0_NS1_11comp_targetILNS1_3genE5ELNS1_11target_archE942ELNS1_3gpuE9ELNS1_3repE0EEENS1_30default_config_static_selectorELNS0_4arch9wavefront6targetE1EEEvT1_
	.globl	_ZN7rocprim17ROCPRIM_400000_NS6detail17trampoline_kernelINS0_14default_configENS1_20scan_config_selectorIsEEZZNS1_9scan_implILNS1_25lookback_scan_determinismE0ELb0ELb1ES3_N6thrust23THRUST_200600_302600_NS6detail15normal_iteratorINS9_10device_ptrIsEEEESE_sNS9_10multipliesIsEEsEEDaPvRmT3_T4_T5_mT6_P12ihipStream_tbENKUlT_T0_E_clISt17integral_constantIbLb0EEST_IbLb1EEEEDaSP_SQ_EUlSP_E0_NS1_11comp_targetILNS1_3genE5ELNS1_11target_archE942ELNS1_3gpuE9ELNS1_3repE0EEENS1_30default_config_static_selectorELNS0_4arch9wavefront6targetE1EEEvT1_
	.p2align	8
	.type	_ZN7rocprim17ROCPRIM_400000_NS6detail17trampoline_kernelINS0_14default_configENS1_20scan_config_selectorIsEEZZNS1_9scan_implILNS1_25lookback_scan_determinismE0ELb0ELb1ES3_N6thrust23THRUST_200600_302600_NS6detail15normal_iteratorINS9_10device_ptrIsEEEESE_sNS9_10multipliesIsEEsEEDaPvRmT3_T4_T5_mT6_P12ihipStream_tbENKUlT_T0_E_clISt17integral_constantIbLb0EEST_IbLb1EEEEDaSP_SQ_EUlSP_E0_NS1_11comp_targetILNS1_3genE5ELNS1_11target_archE942ELNS1_3gpuE9ELNS1_3repE0EEENS1_30default_config_static_selectorELNS0_4arch9wavefront6targetE1EEEvT1_,@function
_ZN7rocprim17ROCPRIM_400000_NS6detail17trampoline_kernelINS0_14default_configENS1_20scan_config_selectorIsEEZZNS1_9scan_implILNS1_25lookback_scan_determinismE0ELb0ELb1ES3_N6thrust23THRUST_200600_302600_NS6detail15normal_iteratorINS9_10device_ptrIsEEEESE_sNS9_10multipliesIsEEsEEDaPvRmT3_T4_T5_mT6_P12ihipStream_tbENKUlT_T0_E_clISt17integral_constantIbLb0EEST_IbLb1EEEEDaSP_SQ_EUlSP_E0_NS1_11comp_targetILNS1_3genE5ELNS1_11target_archE942ELNS1_3gpuE9ELNS1_3repE0EEENS1_30default_config_static_selectorELNS0_4arch9wavefront6targetE1EEEvT1_: ; @_ZN7rocprim17ROCPRIM_400000_NS6detail17trampoline_kernelINS0_14default_configENS1_20scan_config_selectorIsEEZZNS1_9scan_implILNS1_25lookback_scan_determinismE0ELb0ELb1ES3_N6thrust23THRUST_200600_302600_NS6detail15normal_iteratorINS9_10device_ptrIsEEEESE_sNS9_10multipliesIsEEsEEDaPvRmT3_T4_T5_mT6_P12ihipStream_tbENKUlT_T0_E_clISt17integral_constantIbLb0EEST_IbLb1EEEEDaSP_SQ_EUlSP_E0_NS1_11comp_targetILNS1_3genE5ELNS1_11target_archE942ELNS1_3gpuE9ELNS1_3repE0EEENS1_30default_config_static_selectorELNS0_4arch9wavefront6targetE1EEEvT1_
; %bb.0:
	.section	.rodata,"a",@progbits
	.p2align	6, 0x0
	.amdhsa_kernel _ZN7rocprim17ROCPRIM_400000_NS6detail17trampoline_kernelINS0_14default_configENS1_20scan_config_selectorIsEEZZNS1_9scan_implILNS1_25lookback_scan_determinismE0ELb0ELb1ES3_N6thrust23THRUST_200600_302600_NS6detail15normal_iteratorINS9_10device_ptrIsEEEESE_sNS9_10multipliesIsEEsEEDaPvRmT3_T4_T5_mT6_P12ihipStream_tbENKUlT_T0_E_clISt17integral_constantIbLb0EEST_IbLb1EEEEDaSP_SQ_EUlSP_E0_NS1_11comp_targetILNS1_3genE5ELNS1_11target_archE942ELNS1_3gpuE9ELNS1_3repE0EEENS1_30default_config_static_selectorELNS0_4arch9wavefront6targetE1EEEvT1_
		.amdhsa_group_segment_fixed_size 0
		.amdhsa_private_segment_fixed_size 0
		.amdhsa_kernarg_size 32
		.amdhsa_user_sgpr_count 6
		.amdhsa_user_sgpr_private_segment_buffer 1
		.amdhsa_user_sgpr_dispatch_ptr 0
		.amdhsa_user_sgpr_queue_ptr 0
		.amdhsa_user_sgpr_kernarg_segment_ptr 1
		.amdhsa_user_sgpr_dispatch_id 0
		.amdhsa_user_sgpr_flat_scratch_init 0
		.amdhsa_user_sgpr_kernarg_preload_length 0
		.amdhsa_user_sgpr_kernarg_preload_offset 0
		.amdhsa_user_sgpr_private_segment_size 0
		.amdhsa_uses_dynamic_stack 0
		.amdhsa_system_sgpr_private_segment_wavefront_offset 0
		.amdhsa_system_sgpr_workgroup_id_x 1
		.amdhsa_system_sgpr_workgroup_id_y 0
		.amdhsa_system_sgpr_workgroup_id_z 0
		.amdhsa_system_sgpr_workgroup_info 0
		.amdhsa_system_vgpr_workitem_id 0
		.amdhsa_next_free_vgpr 1
		.amdhsa_next_free_sgpr 0
		.amdhsa_accum_offset 4
		.amdhsa_reserve_vcc 0
		.amdhsa_reserve_flat_scratch 0
		.amdhsa_float_round_mode_32 0
		.amdhsa_float_round_mode_16_64 0
		.amdhsa_float_denorm_mode_32 3
		.amdhsa_float_denorm_mode_16_64 3
		.amdhsa_dx10_clamp 1
		.amdhsa_ieee_mode 1
		.amdhsa_fp16_overflow 0
		.amdhsa_tg_split 0
		.amdhsa_exception_fp_ieee_invalid_op 0
		.amdhsa_exception_fp_denorm_src 0
		.amdhsa_exception_fp_ieee_div_zero 0
		.amdhsa_exception_fp_ieee_overflow 0
		.amdhsa_exception_fp_ieee_underflow 0
		.amdhsa_exception_fp_ieee_inexact 0
		.amdhsa_exception_int_div_zero 0
	.end_amdhsa_kernel
	.section	.text._ZN7rocprim17ROCPRIM_400000_NS6detail17trampoline_kernelINS0_14default_configENS1_20scan_config_selectorIsEEZZNS1_9scan_implILNS1_25lookback_scan_determinismE0ELb0ELb1ES3_N6thrust23THRUST_200600_302600_NS6detail15normal_iteratorINS9_10device_ptrIsEEEESE_sNS9_10multipliesIsEEsEEDaPvRmT3_T4_T5_mT6_P12ihipStream_tbENKUlT_T0_E_clISt17integral_constantIbLb0EEST_IbLb1EEEEDaSP_SQ_EUlSP_E0_NS1_11comp_targetILNS1_3genE5ELNS1_11target_archE942ELNS1_3gpuE9ELNS1_3repE0EEENS1_30default_config_static_selectorELNS0_4arch9wavefront6targetE1EEEvT1_,"axG",@progbits,_ZN7rocprim17ROCPRIM_400000_NS6detail17trampoline_kernelINS0_14default_configENS1_20scan_config_selectorIsEEZZNS1_9scan_implILNS1_25lookback_scan_determinismE0ELb0ELb1ES3_N6thrust23THRUST_200600_302600_NS6detail15normal_iteratorINS9_10device_ptrIsEEEESE_sNS9_10multipliesIsEEsEEDaPvRmT3_T4_T5_mT6_P12ihipStream_tbENKUlT_T0_E_clISt17integral_constantIbLb0EEST_IbLb1EEEEDaSP_SQ_EUlSP_E0_NS1_11comp_targetILNS1_3genE5ELNS1_11target_archE942ELNS1_3gpuE9ELNS1_3repE0EEENS1_30default_config_static_selectorELNS0_4arch9wavefront6targetE1EEEvT1_,comdat
.Lfunc_end1187:
	.size	_ZN7rocprim17ROCPRIM_400000_NS6detail17trampoline_kernelINS0_14default_configENS1_20scan_config_selectorIsEEZZNS1_9scan_implILNS1_25lookback_scan_determinismE0ELb0ELb1ES3_N6thrust23THRUST_200600_302600_NS6detail15normal_iteratorINS9_10device_ptrIsEEEESE_sNS9_10multipliesIsEEsEEDaPvRmT3_T4_T5_mT6_P12ihipStream_tbENKUlT_T0_E_clISt17integral_constantIbLb0EEST_IbLb1EEEEDaSP_SQ_EUlSP_E0_NS1_11comp_targetILNS1_3genE5ELNS1_11target_archE942ELNS1_3gpuE9ELNS1_3repE0EEENS1_30default_config_static_selectorELNS0_4arch9wavefront6targetE1EEEvT1_, .Lfunc_end1187-_ZN7rocprim17ROCPRIM_400000_NS6detail17trampoline_kernelINS0_14default_configENS1_20scan_config_selectorIsEEZZNS1_9scan_implILNS1_25lookback_scan_determinismE0ELb0ELb1ES3_N6thrust23THRUST_200600_302600_NS6detail15normal_iteratorINS9_10device_ptrIsEEEESE_sNS9_10multipliesIsEEsEEDaPvRmT3_T4_T5_mT6_P12ihipStream_tbENKUlT_T0_E_clISt17integral_constantIbLb0EEST_IbLb1EEEEDaSP_SQ_EUlSP_E0_NS1_11comp_targetILNS1_3genE5ELNS1_11target_archE942ELNS1_3gpuE9ELNS1_3repE0EEENS1_30default_config_static_selectorELNS0_4arch9wavefront6targetE1EEEvT1_
                                        ; -- End function
	.section	.AMDGPU.csdata,"",@progbits
; Kernel info:
; codeLenInByte = 0
; NumSgprs: 4
; NumVgprs: 0
; NumAgprs: 0
; TotalNumVgprs: 0
; ScratchSize: 0
; MemoryBound: 0
; FloatMode: 240
; IeeeMode: 1
; LDSByteSize: 0 bytes/workgroup (compile time only)
; SGPRBlocks: 0
; VGPRBlocks: 0
; NumSGPRsForWavesPerEU: 4
; NumVGPRsForWavesPerEU: 1
; AccumOffset: 4
; Occupancy: 8
; WaveLimiterHint : 0
; COMPUTE_PGM_RSRC2:SCRATCH_EN: 0
; COMPUTE_PGM_RSRC2:USER_SGPR: 6
; COMPUTE_PGM_RSRC2:TRAP_HANDLER: 0
; COMPUTE_PGM_RSRC2:TGID_X_EN: 1
; COMPUTE_PGM_RSRC2:TGID_Y_EN: 0
; COMPUTE_PGM_RSRC2:TGID_Z_EN: 0
; COMPUTE_PGM_RSRC2:TIDIG_COMP_CNT: 0
; COMPUTE_PGM_RSRC3_GFX90A:ACCUM_OFFSET: 0
; COMPUTE_PGM_RSRC3_GFX90A:TG_SPLIT: 0
	.section	.text._ZN7rocprim17ROCPRIM_400000_NS6detail17trampoline_kernelINS0_14default_configENS1_20scan_config_selectorIsEEZZNS1_9scan_implILNS1_25lookback_scan_determinismE0ELb0ELb1ES3_N6thrust23THRUST_200600_302600_NS6detail15normal_iteratorINS9_10device_ptrIsEEEESE_sNS9_10multipliesIsEEsEEDaPvRmT3_T4_T5_mT6_P12ihipStream_tbENKUlT_T0_E_clISt17integral_constantIbLb0EEST_IbLb1EEEEDaSP_SQ_EUlSP_E0_NS1_11comp_targetILNS1_3genE4ELNS1_11target_archE910ELNS1_3gpuE8ELNS1_3repE0EEENS1_30default_config_static_selectorELNS0_4arch9wavefront6targetE1EEEvT1_,"axG",@progbits,_ZN7rocprim17ROCPRIM_400000_NS6detail17trampoline_kernelINS0_14default_configENS1_20scan_config_selectorIsEEZZNS1_9scan_implILNS1_25lookback_scan_determinismE0ELb0ELb1ES3_N6thrust23THRUST_200600_302600_NS6detail15normal_iteratorINS9_10device_ptrIsEEEESE_sNS9_10multipliesIsEEsEEDaPvRmT3_T4_T5_mT6_P12ihipStream_tbENKUlT_T0_E_clISt17integral_constantIbLb0EEST_IbLb1EEEEDaSP_SQ_EUlSP_E0_NS1_11comp_targetILNS1_3genE4ELNS1_11target_archE910ELNS1_3gpuE8ELNS1_3repE0EEENS1_30default_config_static_selectorELNS0_4arch9wavefront6targetE1EEEvT1_,comdat
	.protected	_ZN7rocprim17ROCPRIM_400000_NS6detail17trampoline_kernelINS0_14default_configENS1_20scan_config_selectorIsEEZZNS1_9scan_implILNS1_25lookback_scan_determinismE0ELb0ELb1ES3_N6thrust23THRUST_200600_302600_NS6detail15normal_iteratorINS9_10device_ptrIsEEEESE_sNS9_10multipliesIsEEsEEDaPvRmT3_T4_T5_mT6_P12ihipStream_tbENKUlT_T0_E_clISt17integral_constantIbLb0EEST_IbLb1EEEEDaSP_SQ_EUlSP_E0_NS1_11comp_targetILNS1_3genE4ELNS1_11target_archE910ELNS1_3gpuE8ELNS1_3repE0EEENS1_30default_config_static_selectorELNS0_4arch9wavefront6targetE1EEEvT1_ ; -- Begin function _ZN7rocprim17ROCPRIM_400000_NS6detail17trampoline_kernelINS0_14default_configENS1_20scan_config_selectorIsEEZZNS1_9scan_implILNS1_25lookback_scan_determinismE0ELb0ELb1ES3_N6thrust23THRUST_200600_302600_NS6detail15normal_iteratorINS9_10device_ptrIsEEEESE_sNS9_10multipliesIsEEsEEDaPvRmT3_T4_T5_mT6_P12ihipStream_tbENKUlT_T0_E_clISt17integral_constantIbLb0EEST_IbLb1EEEEDaSP_SQ_EUlSP_E0_NS1_11comp_targetILNS1_3genE4ELNS1_11target_archE910ELNS1_3gpuE8ELNS1_3repE0EEENS1_30default_config_static_selectorELNS0_4arch9wavefront6targetE1EEEvT1_
	.globl	_ZN7rocprim17ROCPRIM_400000_NS6detail17trampoline_kernelINS0_14default_configENS1_20scan_config_selectorIsEEZZNS1_9scan_implILNS1_25lookback_scan_determinismE0ELb0ELb1ES3_N6thrust23THRUST_200600_302600_NS6detail15normal_iteratorINS9_10device_ptrIsEEEESE_sNS9_10multipliesIsEEsEEDaPvRmT3_T4_T5_mT6_P12ihipStream_tbENKUlT_T0_E_clISt17integral_constantIbLb0EEST_IbLb1EEEEDaSP_SQ_EUlSP_E0_NS1_11comp_targetILNS1_3genE4ELNS1_11target_archE910ELNS1_3gpuE8ELNS1_3repE0EEENS1_30default_config_static_selectorELNS0_4arch9wavefront6targetE1EEEvT1_
	.p2align	8
	.type	_ZN7rocprim17ROCPRIM_400000_NS6detail17trampoline_kernelINS0_14default_configENS1_20scan_config_selectorIsEEZZNS1_9scan_implILNS1_25lookback_scan_determinismE0ELb0ELb1ES3_N6thrust23THRUST_200600_302600_NS6detail15normal_iteratorINS9_10device_ptrIsEEEESE_sNS9_10multipliesIsEEsEEDaPvRmT3_T4_T5_mT6_P12ihipStream_tbENKUlT_T0_E_clISt17integral_constantIbLb0EEST_IbLb1EEEEDaSP_SQ_EUlSP_E0_NS1_11comp_targetILNS1_3genE4ELNS1_11target_archE910ELNS1_3gpuE8ELNS1_3repE0EEENS1_30default_config_static_selectorELNS0_4arch9wavefront6targetE1EEEvT1_,@function
_ZN7rocprim17ROCPRIM_400000_NS6detail17trampoline_kernelINS0_14default_configENS1_20scan_config_selectorIsEEZZNS1_9scan_implILNS1_25lookback_scan_determinismE0ELb0ELb1ES3_N6thrust23THRUST_200600_302600_NS6detail15normal_iteratorINS9_10device_ptrIsEEEESE_sNS9_10multipliesIsEEsEEDaPvRmT3_T4_T5_mT6_P12ihipStream_tbENKUlT_T0_E_clISt17integral_constantIbLb0EEST_IbLb1EEEEDaSP_SQ_EUlSP_E0_NS1_11comp_targetILNS1_3genE4ELNS1_11target_archE910ELNS1_3gpuE8ELNS1_3repE0EEENS1_30default_config_static_selectorELNS0_4arch9wavefront6targetE1EEEvT1_: ; @_ZN7rocprim17ROCPRIM_400000_NS6detail17trampoline_kernelINS0_14default_configENS1_20scan_config_selectorIsEEZZNS1_9scan_implILNS1_25lookback_scan_determinismE0ELb0ELb1ES3_N6thrust23THRUST_200600_302600_NS6detail15normal_iteratorINS9_10device_ptrIsEEEESE_sNS9_10multipliesIsEEsEEDaPvRmT3_T4_T5_mT6_P12ihipStream_tbENKUlT_T0_E_clISt17integral_constantIbLb0EEST_IbLb1EEEEDaSP_SQ_EUlSP_E0_NS1_11comp_targetILNS1_3genE4ELNS1_11target_archE910ELNS1_3gpuE8ELNS1_3repE0EEENS1_30default_config_static_selectorELNS0_4arch9wavefront6targetE1EEEvT1_
; %bb.0:
	s_load_dwordx4 s[52:55], s[4:5], 0x0
	v_mov_b32_e32 v1, 0
	v_lshlrev_b32_e32 v14, 1, v0
	s_waitcnt lgkmcnt(0)
	global_load_ushort v2, v1, s[52:53]
	v_cmp_gt_u32_e32 vcc, s54, v0
	s_waitcnt vmcnt(0)
	v_mov_b32_e32 v3, v2
	s_and_saveexec_b64 s[0:1], vcc
	s_cbranch_execz .LBB1188_2
; %bb.1:
	global_load_ushort v3, v14, s[52:53]
.LBB1188_2:
	s_or_b64 exec, exec, s[0:1]
	v_or_b32_e32 v1, 64, v0
	v_cmp_gt_u32_e64 s[0:1], s54, v1
	v_mov_b32_e32 v4, v2
	s_and_saveexec_b64 s[2:3], s[0:1]
	s_cbranch_execz .LBB1188_4
; %bb.3:
	global_load_ushort v4, v14, s[52:53] offset:128
.LBB1188_4:
	s_or_b64 exec, exec, s[2:3]
	v_or_b32_e32 v1, 0x80, v0
	v_cmp_gt_u32_e64 s[2:3], s54, v1
	v_mov_b32_e32 v5, v2
	s_and_saveexec_b64 s[6:7], s[2:3]
	s_cbranch_execz .LBB1188_6
; %bb.5:
	global_load_ushort v5, v14, s[52:53] offset:256
.LBB1188_6:
	s_or_b64 exec, exec, s[6:7]
	v_or_b32_e32 v1, 0xc0, v0
	v_cmp_gt_u32_e64 s[48:49], s54, v1
	v_mov_b32_e32 v6, v2
	s_and_saveexec_b64 s[6:7], s[48:49]
	s_cbranch_execz .LBB1188_8
; %bb.7:
	global_load_ushort v6, v14, s[52:53] offset:384
.LBB1188_8:
	s_or_b64 exec, exec, s[6:7]
	v_or_b32_e32 v1, 0x100, v0
	v_cmp_gt_u32_e64 s[6:7], s54, v1
	v_mov_b32_e32 v7, v2
	s_and_saveexec_b64 s[8:9], s[6:7]
	s_cbranch_execz .LBB1188_10
; %bb.9:
	global_load_ushort v7, v14, s[52:53] offset:512
.LBB1188_10:
	s_or_b64 exec, exec, s[8:9]
	v_or_b32_e32 v1, 0x140, v0
	v_cmp_gt_u32_e64 s[8:9], s54, v1
	v_mov_b32_e32 v8, v2
	s_and_saveexec_b64 s[10:11], s[8:9]
	s_cbranch_execz .LBB1188_12
; %bb.11:
	global_load_ushort v8, v14, s[52:53] offset:640
.LBB1188_12:
	s_or_b64 exec, exec, s[10:11]
	v_or_b32_e32 v1, 0x180, v0
	v_cmp_gt_u32_e64 s[10:11], s54, v1
	v_mov_b32_e32 v9, v2
	s_and_saveexec_b64 s[12:13], s[10:11]
	s_cbranch_execz .LBB1188_14
; %bb.13:
	global_load_ushort v9, v14, s[52:53] offset:768
.LBB1188_14:
	s_or_b64 exec, exec, s[12:13]
	v_or_b32_e32 v1, 0x1c0, v0
	v_cmp_gt_u32_e64 s[12:13], s54, v1
	v_mov_b32_e32 v10, v2
	s_and_saveexec_b64 s[14:15], s[12:13]
	s_cbranch_execz .LBB1188_16
; %bb.15:
	global_load_ushort v10, v14, s[52:53] offset:896
.LBB1188_16:
	s_or_b64 exec, exec, s[14:15]
	v_or_b32_e32 v1, 0x200, v0
	v_cmp_gt_u32_e64 s[14:15], s54, v1
	v_mov_b32_e32 v11, v2
	s_and_saveexec_b64 s[16:17], s[14:15]
	s_cbranch_execz .LBB1188_18
; %bb.17:
	global_load_ushort v11, v14, s[52:53] offset:1024
.LBB1188_18:
	s_or_b64 exec, exec, s[16:17]
	v_or_b32_e32 v1, 0x240, v0
	v_cmp_gt_u32_e64 s[16:17], s54, v1
	v_mov_b32_e32 v12, v2
	s_and_saveexec_b64 s[18:19], s[16:17]
	s_cbranch_execz .LBB1188_20
; %bb.19:
	global_load_ushort v12, v14, s[52:53] offset:1152
.LBB1188_20:
	s_or_b64 exec, exec, s[18:19]
	v_or_b32_e32 v1, 0x280, v0
	v_cmp_gt_u32_e64 s[18:19], s54, v1
	v_mov_b32_e32 v13, v2
	s_and_saveexec_b64 s[20:21], s[18:19]
	s_cbranch_execz .LBB1188_22
; %bb.21:
	global_load_ushort v13, v14, s[52:53] offset:1280
.LBB1188_22:
	s_or_b64 exec, exec, s[20:21]
	v_or_b32_e32 v1, 0x2c0, v0
	v_cmp_gt_u32_e64 s[20:21], s54, v1
	v_mov_b32_e32 v15, v2
	s_and_saveexec_b64 s[22:23], s[20:21]
	s_cbranch_execz .LBB1188_24
; %bb.23:
	global_load_ushort v15, v14, s[52:53] offset:1408
.LBB1188_24:
	s_or_b64 exec, exec, s[22:23]
	v_or_b32_e32 v1, 0x300, v0
	v_cmp_gt_u32_e64 s[22:23], s54, v1
	v_mov_b32_e32 v16, v2
	s_and_saveexec_b64 s[24:25], s[22:23]
	s_cbranch_execz .LBB1188_26
; %bb.25:
	global_load_ushort v16, v14, s[52:53] offset:1536
.LBB1188_26:
	s_or_b64 exec, exec, s[24:25]
	v_or_b32_e32 v1, 0x340, v0
	v_cmp_gt_u32_e64 s[24:25], s54, v1
	v_mov_b32_e32 v17, v2
	s_and_saveexec_b64 s[26:27], s[24:25]
	s_cbranch_execz .LBB1188_28
; %bb.27:
	global_load_ushort v17, v14, s[52:53] offset:1664
.LBB1188_28:
	s_or_b64 exec, exec, s[26:27]
	v_or_b32_e32 v1, 0x380, v0
	v_cmp_gt_u32_e64 s[26:27], s54, v1
	v_mov_b32_e32 v18, v2
	s_and_saveexec_b64 s[28:29], s[26:27]
	s_cbranch_execz .LBB1188_30
; %bb.29:
	global_load_ushort v18, v14, s[52:53] offset:1792
.LBB1188_30:
	s_or_b64 exec, exec, s[28:29]
	v_or_b32_e32 v1, 0x3c0, v0
	v_cmp_gt_u32_e64 s[28:29], s54, v1
	v_mov_b32_e32 v19, v2
	s_and_saveexec_b64 s[30:31], s[28:29]
	s_cbranch_execz .LBB1188_32
; %bb.31:
	global_load_ushort v19, v14, s[52:53] offset:1920
.LBB1188_32:
	s_or_b64 exec, exec, s[30:31]
	v_or_b32_e32 v1, 0x400, v0
	v_cmp_gt_u32_e64 s[30:31], s54, v1
	v_mov_b32_e32 v20, v2
	s_and_saveexec_b64 s[34:35], s[30:31]
	s_cbranch_execz .LBB1188_34
; %bb.33:
	global_load_ushort v20, v14, s[52:53] offset:2048
.LBB1188_34:
	s_or_b64 exec, exec, s[34:35]
	v_or_b32_e32 v1, 0x440, v0
	v_cmp_gt_u32_e64 s[34:35], s54, v1
	v_mov_b32_e32 v21, v2
	s_and_saveexec_b64 s[36:37], s[34:35]
	s_cbranch_execz .LBB1188_36
; %bb.35:
	global_load_ushort v21, v14, s[52:53] offset:2176
.LBB1188_36:
	s_or_b64 exec, exec, s[36:37]
	v_or_b32_e32 v1, 0x480, v0
	v_cmp_gt_u32_e64 s[36:37], s54, v1
	v_mov_b32_e32 v22, v2
	s_and_saveexec_b64 s[38:39], s[36:37]
	s_cbranch_execz .LBB1188_38
; %bb.37:
	global_load_ushort v22, v14, s[52:53] offset:2304
.LBB1188_38:
	s_or_b64 exec, exec, s[38:39]
	v_or_b32_e32 v1, 0x4c0, v0
	v_cmp_gt_u32_e64 s[38:39], s54, v1
	v_mov_b32_e32 v23, v2
	s_and_saveexec_b64 s[40:41], s[38:39]
	s_cbranch_execz .LBB1188_40
; %bb.39:
	global_load_ushort v23, v14, s[52:53] offset:2432
.LBB1188_40:
	s_or_b64 exec, exec, s[40:41]
	v_or_b32_e32 v1, 0x500, v0
	v_cmp_gt_u32_e64 s[40:41], s54, v1
	v_mov_b32_e32 v24, v2
	s_and_saveexec_b64 s[42:43], s[40:41]
	s_cbranch_execz .LBB1188_42
; %bb.41:
	global_load_ushort v24, v14, s[52:53] offset:2560
.LBB1188_42:
	s_or_b64 exec, exec, s[42:43]
	v_or_b32_e32 v1, 0x540, v0
	v_cmp_gt_u32_e64 s[42:43], s54, v1
	v_mov_b32_e32 v25, v2
	s_and_saveexec_b64 s[44:45], s[42:43]
	s_cbranch_execz .LBB1188_44
; %bb.43:
	global_load_ushort v25, v14, s[52:53] offset:2688
.LBB1188_44:
	s_or_b64 exec, exec, s[44:45]
	v_or_b32_e32 v1, 0x580, v0
	v_cmp_gt_u32_e64 s[44:45], s54, v1
	v_mov_b32_e32 v26, v2
	s_and_saveexec_b64 s[46:47], s[44:45]
	s_cbranch_execz .LBB1188_46
; %bb.45:
	global_load_ushort v26, v14, s[52:53] offset:2816
.LBB1188_46:
	s_or_b64 exec, exec, s[46:47]
	v_or_b32_e32 v1, 0x5c0, v0
	v_cmp_gt_u32_e64 s[46:47], s54, v1
	v_cmp_le_u32_e64 s[50:51], s54, v1
	s_and_saveexec_b64 s[54:55], s[50:51]
	s_xor_b64 s[50:51], exec, s[54:55]
; %bb.47:
	v_mov_b32_e32 v1, 0
; %bb.48:
	s_andn2_saveexec_b64 s[50:51], s[50:51]
	s_cbranch_execz .LBB1188_50
; %bb.49:
	global_load_ushort v2, v14, s[52:53] offset:2944
	v_mov_b32_e32 v1, 0
.LBB1188_50:
	s_or_b64 exec, exec, s[50:51]
	s_waitcnt vmcnt(0)
	ds_write_b16 v14, v3
	ds_write_b16 v14, v4 offset:128
	ds_write_b16 v14, v5 offset:256
	ds_write_b16 v14, v6 offset:384
	ds_write_b16 v14, v7 offset:512
	ds_write_b16 v14, v8 offset:640
	ds_write_b16 v14, v9 offset:768
	ds_write_b16 v14, v10 offset:896
	ds_write_b16 v14, v11 offset:1024
	ds_write_b16 v14, v12 offset:1152
	ds_write_b16 v14, v13 offset:1280
	ds_write_b16 v14, v15 offset:1408
	ds_write_b16 v14, v16 offset:1536
	ds_write_b16 v14, v17 offset:1664
	ds_write_b16 v14, v18 offset:1792
	ds_write_b16 v14, v19 offset:1920
	ds_write_b16 v14, v20 offset:2048
	ds_write_b16 v14, v21 offset:2176
	ds_write_b16 v14, v22 offset:2304
	ds_write_b16 v14, v23 offset:2432
	ds_write_b16 v14, v24 offset:2560
	ds_write_b16 v14, v25 offset:2688
	ds_write_b16 v14, v26 offset:2816
	ds_write_b16 v14, v2 offset:2944
	v_mad_u32_u24 v2, v0, 46, v14
	s_waitcnt lgkmcnt(0)
	; wave barrier
	s_waitcnt lgkmcnt(0)
	ds_read_b128 v[10:13], v2
	ds_read_b128 v[6:9], v2 offset:16
	ds_read_b128 v[2:5], v2 offset:32
	v_mbcnt_lo_u32_b32 v37, -1, 0
	v_mbcnt_hi_u32_b32 v37, -1, v37
	s_waitcnt lgkmcnt(2)
	v_mul_lo_u16_sdwa v16, v10, v10 dst_sel:DWORD dst_unused:UNUSED_PAD src0_sel:WORD_1 src1_sel:DWORD
	v_mul_lo_u16_e32 v17, v16, v11
	v_mul_lo_u16_sdwa v18, v17, v11 dst_sel:DWORD dst_unused:UNUSED_PAD src0_sel:DWORD src1_sel:WORD_1
	v_mul_lo_u16_e32 v19, v18, v12
	v_mul_lo_u16_sdwa v20, v19, v12 dst_sel:DWORD dst_unused:UNUSED_PAD src0_sel:DWORD src1_sel:WORD_1
	;; [unrolled: 2-line block ×3, first 2 shown]
	s_waitcnt lgkmcnt(1)
	v_mul_lo_u16_e32 v23, v22, v6
	v_mul_lo_u16_sdwa v24, v23, v6 dst_sel:DWORD dst_unused:UNUSED_PAD src0_sel:DWORD src1_sel:WORD_1
	v_mul_lo_u16_e32 v25, v24, v7
	v_mul_lo_u16_sdwa v26, v25, v7 dst_sel:DWORD dst_unused:UNUSED_PAD src0_sel:DWORD src1_sel:WORD_1
	;; [unrolled: 2-line block ×4, first 2 shown]
	s_waitcnt lgkmcnt(0)
	v_mul_lo_u16_e32 v31, v30, v2
	v_mul_lo_u16_sdwa v32, v31, v2 dst_sel:DWORD dst_unused:UNUSED_PAD src0_sel:DWORD src1_sel:WORD_1
	v_mul_lo_u16_e32 v33, v32, v3
	v_mul_lo_u16_sdwa v35, v33, v3 dst_sel:DWORD dst_unused:UNUSED_PAD src0_sel:DWORD src1_sel:WORD_1
	;; [unrolled: 2-line block ×4, first 2 shown]
	v_and_b32_e32 v38, 15, v37
	v_cmp_eq_u32_e64 s[50:51], 0, v38
	v_mov_b32_dpp v39, v15 row_shr:1 row_mask:0xf bank_mask:0xf
	v_mul_lo_u16_e32 v39, v15, v39
	v_cndmask_b32_e64 v15, v39, v15, s[50:51]
	v_cmp_lt_u32_e64 s[50:51], 1, v38
	s_load_dwordx2 s[52:53], s[4:5], 0x18
	v_mov_b32_dpp v39, v15 row_shr:2 row_mask:0xf bank_mask:0xf
	v_mul_lo_u16_e32 v39, v15, v39
	v_cndmask_b32_e64 v15, v15, v39, s[50:51]
	v_cmp_lt_u32_e64 s[50:51], 3, v38
	s_waitcnt lgkmcnt(0)
	v_mov_b32_dpp v39, v15 row_shr:4 row_mask:0xf bank_mask:0xf
	v_mul_lo_u16_e32 v39, v15, v39
	v_cndmask_b32_e64 v15, v15, v39, s[50:51]
	v_cmp_lt_u32_e64 s[50:51], 7, v38
	; wave barrier
	s_nop 0
	v_mov_b32_dpp v39, v15 row_shr:8 row_mask:0xf bank_mask:0xf
	v_mul_lo_u16_e32 v39, v15, v39
	v_cndmask_b32_e64 v15, v15, v39, s[50:51]
	v_and_b32_e32 v39, 16, v37
	v_cmp_eq_u32_e64 s[50:51], 0, v39
	v_mov_b32_dpp v38, v15 row_bcast:15 row_mask:0xf bank_mask:0xf
	v_mul_lo_u16_e32 v38, v15, v38
	v_cndmask_b32_e64 v15, v38, v15, s[50:51]
	v_cmp_lt_u32_e64 s[50:51], 31, v37
	s_nop 0
	v_mov_b32_dpp v38, v15 row_bcast:31 row_mask:0xf bank_mask:0xf
	v_cndmask_b32_e64 v38, 1, v38, s[50:51]
	v_mul_lo_u16_e32 v38, v15, v38
	v_cmp_eq_u32_e64 s[50:51], 63, v0
	s_and_saveexec_b64 s[54:55], s[50:51]
	s_cbranch_execz .LBB1188_52
; %bb.51:
	v_mov_b32_e32 v15, 0
	ds_write_b16 v15, v38
.LBB1188_52:
	s_or_b64 exec, exec, s[54:55]
	v_add_u32_e32 v39, -1, v37
	v_and_b32_e32 v40, 64, v37
	s_load_dword s54, s[4:5], 0x10
	v_cmp_lt_i32_e64 s[4:5], v39, v40
	v_cndmask_b32_e64 v37, v39, v37, s[4:5]
	v_lshlrev_b32_e32 v37, 2, v37
	ds_bpermute_b32 v37, v37, v38
	s_mov_b32 s33, 0x5040100
	v_mul_u32_u24_e32 v15, 46, v0
	v_cmp_ne_u32_e64 s[4:5], 0, v0
	v_perm_b32 v34, v36, v34, s33
	v_perm_b32 v16, v16, v10, s33
	;; [unrolled: 1-line block ×11, first 2 shown]
	s_waitcnt lgkmcnt(0)
	; wave barrier
	s_waitcnt lgkmcnt(0)
	s_and_saveexec_b64 s[50:51], s[4:5]
	s_cbranch_execz .LBB1188_54
; %bb.53:
	v_mul_lo_u16_e32 v16, v10, v37
	v_mul_lo_u16_sdwa v10, v16, v10 dst_sel:DWORD dst_unused:UNUSED_PAD src0_sel:DWORD src1_sel:WORD_1
	v_mul_lo_u16_e32 v17, v10, v11
	v_mul_lo_u16_sdwa v11, v17, v11 dst_sel:DWORD dst_unused:UNUSED_PAD src0_sel:DWORD src1_sel:WORD_1
	v_mul_lo_u16_e32 v19, v11, v12
	v_mul_lo_u16_sdwa v12, v19, v12 dst_sel:DWORD dst_unused:UNUSED_PAD src0_sel:DWORD src1_sel:WORD_1
	v_mul_lo_u16_e32 v20, v12, v13
	v_mul_lo_u16_sdwa v13, v20, v13 dst_sel:DWORD dst_unused:UNUSED_PAD src0_sel:DWORD src1_sel:WORD_1
	v_mul_lo_u16_e32 v21, v13, v6
	v_mul_lo_u16_sdwa v6, v21, v6 dst_sel:DWORD dst_unused:UNUSED_PAD src0_sel:DWORD src1_sel:WORD_1
	v_mul_lo_u16_e32 v22, v6, v7
	v_mul_lo_u16_sdwa v7, v22, v7 dst_sel:DWORD dst_unused:UNUSED_PAD src0_sel:DWORD src1_sel:WORD_1
	v_mul_lo_u16_e32 v23, v7, v8
	v_mul_lo_u16_sdwa v8, v23, v8 dst_sel:DWORD dst_unused:UNUSED_PAD src0_sel:DWORD src1_sel:WORD_1
	v_mul_lo_u16_e32 v24, v8, v9
	v_mul_lo_u16_sdwa v9, v24, v9 dst_sel:DWORD dst_unused:UNUSED_PAD src0_sel:DWORD src1_sel:WORD_1
	v_mul_lo_u16_e32 v25, v9, v2
	v_mul_lo_u16_sdwa v2, v25, v2 dst_sel:DWORD dst_unused:UNUSED_PAD src0_sel:DWORD src1_sel:WORD_1
	v_mul_lo_u16_e32 v26, v2, v3
	v_mul_lo_u16_sdwa v3, v26, v3 dst_sel:DWORD dst_unused:UNUSED_PAD src0_sel:DWORD src1_sel:WORD_1
	v_mul_lo_u16_e32 v18, v3, v4
	v_mul_lo_u16_sdwa v4, v18, v4 dst_sel:DWORD dst_unused:UNUSED_PAD src0_sel:DWORD src1_sel:WORD_1
	v_perm_b32 v34, v4, v18, s33
	v_perm_b32 v16, v10, v16, s33
	v_perm_b32 v18, v11, v17, s33
	v_perm_b32 v17, v12, v19, s33
	v_perm_b32 v20, v13, v20, s33
	v_perm_b32 v19, v6, v21, s33
	v_perm_b32 v22, v7, v22, s33
	v_perm_b32 v21, v8, v23, s33
	v_perm_b32 v24, v9, v24, s33
	v_perm_b32 v23, v2, v25, s33
	v_perm_b32 v25, v3, v26, s33
	;;#ASMSTART
	;;#ASMEND
.LBB1188_54:
	s_or_b64 exec, exec, s[50:51]
	v_pk_mul_lo_u16 v6, v16, s54 op_sel_hi:[1,0]
	v_mul_lo_u16_e32 v16, s54, v5
	v_mul_lo_u16_sdwa v16, v16, v34 dst_sel:DWORD dst_unused:UNUSED_PAD src0_sel:DWORD src1_sel:WORD_1
	v_mul_lo_u16_sdwa v5, v16, v5 dst_sel:DWORD dst_unused:UNUSED_PAD src0_sel:DWORD src1_sel:WORD_1
	v_pk_mul_lo_u16 v7, v18, s54 op_sel_hi:[1,0]
	v_pk_mul_lo_u16 v9, v20, s54 op_sel_hi:[1,0]
	;; [unrolled: 1-line block ×10, first 2 shown]
	v_add_u32_e32 v15, v14, v15
	v_perm_b32 v5, v5, v16, s33
	s_waitcnt lgkmcnt(0)
	; wave barrier
	ds_write_b128 v15, v[6:9]
	ds_write_b128 v15, v[10:13] offset:16
	ds_write_b128 v15, v[2:5] offset:32
	s_waitcnt lgkmcnt(0)
	; wave barrier
	s_waitcnt lgkmcnt(0)
	ds_read_u16 v25, v14 offset:128
	ds_read_u16 v24, v14 offset:256
	;; [unrolled: 1-line block ×23, first 2 shown]
	v_lshlrev_b64 v[0:1], 1, v[0:1]
	v_mov_b32_e32 v26, s53
	v_add_co_u32_e64 v0, s[4:5], s52, v0
	v_addc_co_u32_e64 v1, s[4:5], v26, v1, s[4:5]
	s_and_saveexec_b64 s[4:5], vcc
	s_cbranch_execnz .LBB1188_79
; %bb.55:
	s_or_b64 exec, exec, s[4:5]
	s_and_saveexec_b64 s[4:5], s[0:1]
	s_cbranch_execnz .LBB1188_80
.LBB1188_56:
	s_or_b64 exec, exec, s[4:5]
	s_and_saveexec_b64 s[0:1], s[2:3]
	s_cbranch_execnz .LBB1188_81
.LBB1188_57:
	s_or_b64 exec, exec, s[0:1]
	s_and_saveexec_b64 s[0:1], s[48:49]
	s_cbranch_execnz .LBB1188_82
.LBB1188_58:
	s_or_b64 exec, exec, s[0:1]
	s_and_saveexec_b64 s[0:1], s[6:7]
	s_cbranch_execnz .LBB1188_83
.LBB1188_59:
	s_or_b64 exec, exec, s[0:1]
	s_and_saveexec_b64 s[0:1], s[8:9]
	s_cbranch_execnz .LBB1188_84
.LBB1188_60:
	s_or_b64 exec, exec, s[0:1]
	s_and_saveexec_b64 s[0:1], s[10:11]
	s_cbranch_execnz .LBB1188_85
.LBB1188_61:
	s_or_b64 exec, exec, s[0:1]
	s_and_saveexec_b64 s[0:1], s[12:13]
	s_cbranch_execnz .LBB1188_86
.LBB1188_62:
	s_or_b64 exec, exec, s[0:1]
	s_and_saveexec_b64 s[0:1], s[14:15]
	s_cbranch_execnz .LBB1188_87
.LBB1188_63:
	s_or_b64 exec, exec, s[0:1]
	s_and_saveexec_b64 s[0:1], s[16:17]
	s_cbranch_execnz .LBB1188_88
.LBB1188_64:
	s_or_b64 exec, exec, s[0:1]
	s_and_saveexec_b64 s[0:1], s[18:19]
	s_cbranch_execnz .LBB1188_89
.LBB1188_65:
	s_or_b64 exec, exec, s[0:1]
	s_and_saveexec_b64 s[0:1], s[20:21]
	s_cbranch_execnz .LBB1188_90
.LBB1188_66:
	s_or_b64 exec, exec, s[0:1]
	s_and_saveexec_b64 s[0:1], s[22:23]
	s_cbranch_execnz .LBB1188_91
.LBB1188_67:
	s_or_b64 exec, exec, s[0:1]
	s_and_saveexec_b64 s[0:1], s[24:25]
	s_cbranch_execnz .LBB1188_92
.LBB1188_68:
	s_or_b64 exec, exec, s[0:1]
	s_and_saveexec_b64 s[0:1], s[26:27]
	s_cbranch_execnz .LBB1188_93
.LBB1188_69:
	s_or_b64 exec, exec, s[0:1]
	s_and_saveexec_b64 s[0:1], s[28:29]
	s_cbranch_execnz .LBB1188_94
.LBB1188_70:
	s_or_b64 exec, exec, s[0:1]
	s_and_saveexec_b64 s[0:1], s[30:31]
	s_cbranch_execnz .LBB1188_95
.LBB1188_71:
	s_or_b64 exec, exec, s[0:1]
	s_and_saveexec_b64 s[0:1], s[34:35]
	s_cbranch_execnz .LBB1188_96
.LBB1188_72:
	s_or_b64 exec, exec, s[0:1]
	s_and_saveexec_b64 s[0:1], s[36:37]
	s_cbranch_execnz .LBB1188_97
.LBB1188_73:
	s_or_b64 exec, exec, s[0:1]
	s_and_saveexec_b64 s[0:1], s[38:39]
	s_cbranch_execnz .LBB1188_98
.LBB1188_74:
	s_or_b64 exec, exec, s[0:1]
	s_and_saveexec_b64 s[0:1], s[40:41]
	s_cbranch_execnz .LBB1188_99
.LBB1188_75:
	s_or_b64 exec, exec, s[0:1]
	s_and_saveexec_b64 s[0:1], s[42:43]
	s_cbranch_execnz .LBB1188_100
.LBB1188_76:
	s_or_b64 exec, exec, s[0:1]
	s_and_saveexec_b64 s[0:1], s[44:45]
	s_cbranch_execnz .LBB1188_101
.LBB1188_77:
	s_or_b64 exec, exec, s[0:1]
	s_and_saveexec_b64 s[0:1], s[46:47]
	s_cbranch_execnz .LBB1188_102
.LBB1188_78:
	s_endpgm
.LBB1188_79:
	ds_read_u16 v14, v14
	s_waitcnt lgkmcnt(0)
	global_store_short v[0:1], v14, off
	s_or_b64 exec, exec, s[4:5]
	s_and_saveexec_b64 s[4:5], s[0:1]
	s_cbranch_execz .LBB1188_56
.LBB1188_80:
	s_waitcnt lgkmcnt(14)
	global_store_short v[0:1], v25, off offset:128
	s_or_b64 exec, exec, s[4:5]
	s_and_saveexec_b64 s[0:1], s[2:3]
	s_cbranch_execz .LBB1188_57
.LBB1188_81:
	s_waitcnt lgkmcnt(14)
	global_store_short v[0:1], v24, off offset:256
	s_or_b64 exec, exec, s[0:1]
	s_and_saveexec_b64 s[0:1], s[48:49]
	s_cbranch_execz .LBB1188_58
.LBB1188_82:
	s_waitcnt lgkmcnt(14)
	global_store_short v[0:1], v23, off offset:384
	s_or_b64 exec, exec, s[0:1]
	s_and_saveexec_b64 s[0:1], s[6:7]
	s_cbranch_execz .LBB1188_59
.LBB1188_83:
	s_waitcnt lgkmcnt(14)
	global_store_short v[0:1], v22, off offset:512
	s_or_b64 exec, exec, s[0:1]
	s_and_saveexec_b64 s[0:1], s[8:9]
	s_cbranch_execz .LBB1188_60
.LBB1188_84:
	s_waitcnt lgkmcnt(14)
	global_store_short v[0:1], v21, off offset:640
	s_or_b64 exec, exec, s[0:1]
	s_and_saveexec_b64 s[0:1], s[10:11]
	s_cbranch_execz .LBB1188_61
.LBB1188_85:
	s_waitcnt lgkmcnt(14)
	global_store_short v[0:1], v20, off offset:768
	s_or_b64 exec, exec, s[0:1]
	s_and_saveexec_b64 s[0:1], s[12:13]
	s_cbranch_execz .LBB1188_62
.LBB1188_86:
	s_waitcnt lgkmcnt(14)
	global_store_short v[0:1], v19, off offset:896
	s_or_b64 exec, exec, s[0:1]
	s_and_saveexec_b64 s[0:1], s[14:15]
	s_cbranch_execz .LBB1188_63
.LBB1188_87:
	s_waitcnt lgkmcnt(14)
	global_store_short v[0:1], v18, off offset:1024
	s_or_b64 exec, exec, s[0:1]
	s_and_saveexec_b64 s[0:1], s[16:17]
	s_cbranch_execz .LBB1188_64
.LBB1188_88:
	s_waitcnt lgkmcnt(14)
	global_store_short v[0:1], v17, off offset:1152
	s_or_b64 exec, exec, s[0:1]
	s_and_saveexec_b64 s[0:1], s[18:19]
	s_cbranch_execz .LBB1188_65
.LBB1188_89:
	s_waitcnt lgkmcnt(13)
	global_store_short v[0:1], v16, off offset:1280
	s_or_b64 exec, exec, s[0:1]
	s_and_saveexec_b64 s[0:1], s[20:21]
	s_cbranch_execz .LBB1188_66
.LBB1188_90:
	s_waitcnt lgkmcnt(12)
	global_store_short v[0:1], v15, off offset:1408
	s_or_b64 exec, exec, s[0:1]
	s_and_saveexec_b64 s[0:1], s[22:23]
	s_cbranch_execz .LBB1188_67
.LBB1188_91:
	s_waitcnt lgkmcnt(11)
	global_store_short v[0:1], v13, off offset:1536
	s_or_b64 exec, exec, s[0:1]
	s_and_saveexec_b64 s[0:1], s[24:25]
	s_cbranch_execz .LBB1188_68
.LBB1188_92:
	s_waitcnt lgkmcnt(10)
	global_store_short v[0:1], v12, off offset:1664
	s_or_b64 exec, exec, s[0:1]
	s_and_saveexec_b64 s[0:1], s[26:27]
	s_cbranch_execz .LBB1188_69
.LBB1188_93:
	s_waitcnt lgkmcnt(9)
	global_store_short v[0:1], v11, off offset:1792
	s_or_b64 exec, exec, s[0:1]
	s_and_saveexec_b64 s[0:1], s[28:29]
	s_cbranch_execz .LBB1188_70
.LBB1188_94:
	s_waitcnt lgkmcnt(8)
	global_store_short v[0:1], v10, off offset:1920
	s_or_b64 exec, exec, s[0:1]
	s_and_saveexec_b64 s[0:1], s[30:31]
	s_cbranch_execz .LBB1188_71
.LBB1188_95:
	s_waitcnt lgkmcnt(7)
	global_store_short v[0:1], v9, off offset:2048
	s_or_b64 exec, exec, s[0:1]
	s_and_saveexec_b64 s[0:1], s[34:35]
	s_cbranch_execz .LBB1188_72
.LBB1188_96:
	s_waitcnt lgkmcnt(6)
	global_store_short v[0:1], v8, off offset:2176
	s_or_b64 exec, exec, s[0:1]
	s_and_saveexec_b64 s[0:1], s[36:37]
	s_cbranch_execz .LBB1188_73
.LBB1188_97:
	s_waitcnt lgkmcnt(5)
	global_store_short v[0:1], v7, off offset:2304
	s_or_b64 exec, exec, s[0:1]
	s_and_saveexec_b64 s[0:1], s[38:39]
	s_cbranch_execz .LBB1188_74
.LBB1188_98:
	s_waitcnt lgkmcnt(4)
	global_store_short v[0:1], v6, off offset:2432
	s_or_b64 exec, exec, s[0:1]
	s_and_saveexec_b64 s[0:1], s[40:41]
	s_cbranch_execz .LBB1188_75
.LBB1188_99:
	s_waitcnt lgkmcnt(3)
	global_store_short v[0:1], v5, off offset:2560
	s_or_b64 exec, exec, s[0:1]
	s_and_saveexec_b64 s[0:1], s[42:43]
	s_cbranch_execz .LBB1188_76
.LBB1188_100:
	s_waitcnt lgkmcnt(2)
	global_store_short v[0:1], v4, off offset:2688
	s_or_b64 exec, exec, s[0:1]
	s_and_saveexec_b64 s[0:1], s[44:45]
	s_cbranch_execz .LBB1188_77
.LBB1188_101:
	s_waitcnt lgkmcnt(1)
	global_store_short v[0:1], v3, off offset:2816
	s_or_b64 exec, exec, s[0:1]
	s_and_saveexec_b64 s[0:1], s[46:47]
	s_cbranch_execz .LBB1188_78
.LBB1188_102:
	s_waitcnt lgkmcnt(0)
	global_store_short v[0:1], v2, off offset:2944
	s_endpgm
	.section	.rodata,"a",@progbits
	.p2align	6, 0x0
	.amdhsa_kernel _ZN7rocprim17ROCPRIM_400000_NS6detail17trampoline_kernelINS0_14default_configENS1_20scan_config_selectorIsEEZZNS1_9scan_implILNS1_25lookback_scan_determinismE0ELb0ELb1ES3_N6thrust23THRUST_200600_302600_NS6detail15normal_iteratorINS9_10device_ptrIsEEEESE_sNS9_10multipliesIsEEsEEDaPvRmT3_T4_T5_mT6_P12ihipStream_tbENKUlT_T0_E_clISt17integral_constantIbLb0EEST_IbLb1EEEEDaSP_SQ_EUlSP_E0_NS1_11comp_targetILNS1_3genE4ELNS1_11target_archE910ELNS1_3gpuE8ELNS1_3repE0EEENS1_30default_config_static_selectorELNS0_4arch9wavefront6targetE1EEEvT1_
		.amdhsa_group_segment_fixed_size 3072
		.amdhsa_private_segment_fixed_size 0
		.amdhsa_kernarg_size 32
		.amdhsa_user_sgpr_count 6
		.amdhsa_user_sgpr_private_segment_buffer 1
		.amdhsa_user_sgpr_dispatch_ptr 0
		.amdhsa_user_sgpr_queue_ptr 0
		.amdhsa_user_sgpr_kernarg_segment_ptr 1
		.amdhsa_user_sgpr_dispatch_id 0
		.amdhsa_user_sgpr_flat_scratch_init 0
		.amdhsa_user_sgpr_kernarg_preload_length 0
		.amdhsa_user_sgpr_kernarg_preload_offset 0
		.amdhsa_user_sgpr_private_segment_size 0
		.amdhsa_uses_dynamic_stack 0
		.amdhsa_system_sgpr_private_segment_wavefront_offset 0
		.amdhsa_system_sgpr_workgroup_id_x 1
		.amdhsa_system_sgpr_workgroup_id_y 0
		.amdhsa_system_sgpr_workgroup_id_z 0
		.amdhsa_system_sgpr_workgroup_info 0
		.amdhsa_system_vgpr_workitem_id 0
		.amdhsa_next_free_vgpr 41
		.amdhsa_next_free_sgpr 56
		.amdhsa_accum_offset 44
		.amdhsa_reserve_vcc 1
		.amdhsa_reserve_flat_scratch 0
		.amdhsa_float_round_mode_32 0
		.amdhsa_float_round_mode_16_64 0
		.amdhsa_float_denorm_mode_32 3
		.amdhsa_float_denorm_mode_16_64 3
		.amdhsa_dx10_clamp 1
		.amdhsa_ieee_mode 1
		.amdhsa_fp16_overflow 0
		.amdhsa_tg_split 0
		.amdhsa_exception_fp_ieee_invalid_op 0
		.amdhsa_exception_fp_denorm_src 0
		.amdhsa_exception_fp_ieee_div_zero 0
		.amdhsa_exception_fp_ieee_overflow 0
		.amdhsa_exception_fp_ieee_underflow 0
		.amdhsa_exception_fp_ieee_inexact 0
		.amdhsa_exception_int_div_zero 0
	.end_amdhsa_kernel
	.section	.text._ZN7rocprim17ROCPRIM_400000_NS6detail17trampoline_kernelINS0_14default_configENS1_20scan_config_selectorIsEEZZNS1_9scan_implILNS1_25lookback_scan_determinismE0ELb0ELb1ES3_N6thrust23THRUST_200600_302600_NS6detail15normal_iteratorINS9_10device_ptrIsEEEESE_sNS9_10multipliesIsEEsEEDaPvRmT3_T4_T5_mT6_P12ihipStream_tbENKUlT_T0_E_clISt17integral_constantIbLb0EEST_IbLb1EEEEDaSP_SQ_EUlSP_E0_NS1_11comp_targetILNS1_3genE4ELNS1_11target_archE910ELNS1_3gpuE8ELNS1_3repE0EEENS1_30default_config_static_selectorELNS0_4arch9wavefront6targetE1EEEvT1_,"axG",@progbits,_ZN7rocprim17ROCPRIM_400000_NS6detail17trampoline_kernelINS0_14default_configENS1_20scan_config_selectorIsEEZZNS1_9scan_implILNS1_25lookback_scan_determinismE0ELb0ELb1ES3_N6thrust23THRUST_200600_302600_NS6detail15normal_iteratorINS9_10device_ptrIsEEEESE_sNS9_10multipliesIsEEsEEDaPvRmT3_T4_T5_mT6_P12ihipStream_tbENKUlT_T0_E_clISt17integral_constantIbLb0EEST_IbLb1EEEEDaSP_SQ_EUlSP_E0_NS1_11comp_targetILNS1_3genE4ELNS1_11target_archE910ELNS1_3gpuE8ELNS1_3repE0EEENS1_30default_config_static_selectorELNS0_4arch9wavefront6targetE1EEEvT1_,comdat
.Lfunc_end1188:
	.size	_ZN7rocprim17ROCPRIM_400000_NS6detail17trampoline_kernelINS0_14default_configENS1_20scan_config_selectorIsEEZZNS1_9scan_implILNS1_25lookback_scan_determinismE0ELb0ELb1ES3_N6thrust23THRUST_200600_302600_NS6detail15normal_iteratorINS9_10device_ptrIsEEEESE_sNS9_10multipliesIsEEsEEDaPvRmT3_T4_T5_mT6_P12ihipStream_tbENKUlT_T0_E_clISt17integral_constantIbLb0EEST_IbLb1EEEEDaSP_SQ_EUlSP_E0_NS1_11comp_targetILNS1_3genE4ELNS1_11target_archE910ELNS1_3gpuE8ELNS1_3repE0EEENS1_30default_config_static_selectorELNS0_4arch9wavefront6targetE1EEEvT1_, .Lfunc_end1188-_ZN7rocprim17ROCPRIM_400000_NS6detail17trampoline_kernelINS0_14default_configENS1_20scan_config_selectorIsEEZZNS1_9scan_implILNS1_25lookback_scan_determinismE0ELb0ELb1ES3_N6thrust23THRUST_200600_302600_NS6detail15normal_iteratorINS9_10device_ptrIsEEEESE_sNS9_10multipliesIsEEsEEDaPvRmT3_T4_T5_mT6_P12ihipStream_tbENKUlT_T0_E_clISt17integral_constantIbLb0EEST_IbLb1EEEEDaSP_SQ_EUlSP_E0_NS1_11comp_targetILNS1_3genE4ELNS1_11target_archE910ELNS1_3gpuE8ELNS1_3repE0EEENS1_30default_config_static_selectorELNS0_4arch9wavefront6targetE1EEEvT1_
                                        ; -- End function
	.section	.AMDGPU.csdata,"",@progbits
; Kernel info:
; codeLenInByte = 3252
; NumSgprs: 60
; NumVgprs: 41
; NumAgprs: 0
; TotalNumVgprs: 41
; ScratchSize: 0
; MemoryBound: 0
; FloatMode: 240
; IeeeMode: 1
; LDSByteSize: 3072 bytes/workgroup (compile time only)
; SGPRBlocks: 7
; VGPRBlocks: 5
; NumSGPRsForWavesPerEU: 60
; NumVGPRsForWavesPerEU: 41
; AccumOffset: 44
; Occupancy: 6
; WaveLimiterHint : 0
; COMPUTE_PGM_RSRC2:SCRATCH_EN: 0
; COMPUTE_PGM_RSRC2:USER_SGPR: 6
; COMPUTE_PGM_RSRC2:TRAP_HANDLER: 0
; COMPUTE_PGM_RSRC2:TGID_X_EN: 1
; COMPUTE_PGM_RSRC2:TGID_Y_EN: 0
; COMPUTE_PGM_RSRC2:TGID_Z_EN: 0
; COMPUTE_PGM_RSRC2:TIDIG_COMP_CNT: 0
; COMPUTE_PGM_RSRC3_GFX90A:ACCUM_OFFSET: 10
; COMPUTE_PGM_RSRC3_GFX90A:TG_SPLIT: 0
	.section	.text._ZN7rocprim17ROCPRIM_400000_NS6detail17trampoline_kernelINS0_14default_configENS1_20scan_config_selectorIsEEZZNS1_9scan_implILNS1_25lookback_scan_determinismE0ELb0ELb1ES3_N6thrust23THRUST_200600_302600_NS6detail15normal_iteratorINS9_10device_ptrIsEEEESE_sNS9_10multipliesIsEEsEEDaPvRmT3_T4_T5_mT6_P12ihipStream_tbENKUlT_T0_E_clISt17integral_constantIbLb0EEST_IbLb1EEEEDaSP_SQ_EUlSP_E0_NS1_11comp_targetILNS1_3genE3ELNS1_11target_archE908ELNS1_3gpuE7ELNS1_3repE0EEENS1_30default_config_static_selectorELNS0_4arch9wavefront6targetE1EEEvT1_,"axG",@progbits,_ZN7rocprim17ROCPRIM_400000_NS6detail17trampoline_kernelINS0_14default_configENS1_20scan_config_selectorIsEEZZNS1_9scan_implILNS1_25lookback_scan_determinismE0ELb0ELb1ES3_N6thrust23THRUST_200600_302600_NS6detail15normal_iteratorINS9_10device_ptrIsEEEESE_sNS9_10multipliesIsEEsEEDaPvRmT3_T4_T5_mT6_P12ihipStream_tbENKUlT_T0_E_clISt17integral_constantIbLb0EEST_IbLb1EEEEDaSP_SQ_EUlSP_E0_NS1_11comp_targetILNS1_3genE3ELNS1_11target_archE908ELNS1_3gpuE7ELNS1_3repE0EEENS1_30default_config_static_selectorELNS0_4arch9wavefront6targetE1EEEvT1_,comdat
	.protected	_ZN7rocprim17ROCPRIM_400000_NS6detail17trampoline_kernelINS0_14default_configENS1_20scan_config_selectorIsEEZZNS1_9scan_implILNS1_25lookback_scan_determinismE0ELb0ELb1ES3_N6thrust23THRUST_200600_302600_NS6detail15normal_iteratorINS9_10device_ptrIsEEEESE_sNS9_10multipliesIsEEsEEDaPvRmT3_T4_T5_mT6_P12ihipStream_tbENKUlT_T0_E_clISt17integral_constantIbLb0EEST_IbLb1EEEEDaSP_SQ_EUlSP_E0_NS1_11comp_targetILNS1_3genE3ELNS1_11target_archE908ELNS1_3gpuE7ELNS1_3repE0EEENS1_30default_config_static_selectorELNS0_4arch9wavefront6targetE1EEEvT1_ ; -- Begin function _ZN7rocprim17ROCPRIM_400000_NS6detail17trampoline_kernelINS0_14default_configENS1_20scan_config_selectorIsEEZZNS1_9scan_implILNS1_25lookback_scan_determinismE0ELb0ELb1ES3_N6thrust23THRUST_200600_302600_NS6detail15normal_iteratorINS9_10device_ptrIsEEEESE_sNS9_10multipliesIsEEsEEDaPvRmT3_T4_T5_mT6_P12ihipStream_tbENKUlT_T0_E_clISt17integral_constantIbLb0EEST_IbLb1EEEEDaSP_SQ_EUlSP_E0_NS1_11comp_targetILNS1_3genE3ELNS1_11target_archE908ELNS1_3gpuE7ELNS1_3repE0EEENS1_30default_config_static_selectorELNS0_4arch9wavefront6targetE1EEEvT1_
	.globl	_ZN7rocprim17ROCPRIM_400000_NS6detail17trampoline_kernelINS0_14default_configENS1_20scan_config_selectorIsEEZZNS1_9scan_implILNS1_25lookback_scan_determinismE0ELb0ELb1ES3_N6thrust23THRUST_200600_302600_NS6detail15normal_iteratorINS9_10device_ptrIsEEEESE_sNS9_10multipliesIsEEsEEDaPvRmT3_T4_T5_mT6_P12ihipStream_tbENKUlT_T0_E_clISt17integral_constantIbLb0EEST_IbLb1EEEEDaSP_SQ_EUlSP_E0_NS1_11comp_targetILNS1_3genE3ELNS1_11target_archE908ELNS1_3gpuE7ELNS1_3repE0EEENS1_30default_config_static_selectorELNS0_4arch9wavefront6targetE1EEEvT1_
	.p2align	8
	.type	_ZN7rocprim17ROCPRIM_400000_NS6detail17trampoline_kernelINS0_14default_configENS1_20scan_config_selectorIsEEZZNS1_9scan_implILNS1_25lookback_scan_determinismE0ELb0ELb1ES3_N6thrust23THRUST_200600_302600_NS6detail15normal_iteratorINS9_10device_ptrIsEEEESE_sNS9_10multipliesIsEEsEEDaPvRmT3_T4_T5_mT6_P12ihipStream_tbENKUlT_T0_E_clISt17integral_constantIbLb0EEST_IbLb1EEEEDaSP_SQ_EUlSP_E0_NS1_11comp_targetILNS1_3genE3ELNS1_11target_archE908ELNS1_3gpuE7ELNS1_3repE0EEENS1_30default_config_static_selectorELNS0_4arch9wavefront6targetE1EEEvT1_,@function
_ZN7rocprim17ROCPRIM_400000_NS6detail17trampoline_kernelINS0_14default_configENS1_20scan_config_selectorIsEEZZNS1_9scan_implILNS1_25lookback_scan_determinismE0ELb0ELb1ES3_N6thrust23THRUST_200600_302600_NS6detail15normal_iteratorINS9_10device_ptrIsEEEESE_sNS9_10multipliesIsEEsEEDaPvRmT3_T4_T5_mT6_P12ihipStream_tbENKUlT_T0_E_clISt17integral_constantIbLb0EEST_IbLb1EEEEDaSP_SQ_EUlSP_E0_NS1_11comp_targetILNS1_3genE3ELNS1_11target_archE908ELNS1_3gpuE7ELNS1_3repE0EEENS1_30default_config_static_selectorELNS0_4arch9wavefront6targetE1EEEvT1_: ; @_ZN7rocprim17ROCPRIM_400000_NS6detail17trampoline_kernelINS0_14default_configENS1_20scan_config_selectorIsEEZZNS1_9scan_implILNS1_25lookback_scan_determinismE0ELb0ELb1ES3_N6thrust23THRUST_200600_302600_NS6detail15normal_iteratorINS9_10device_ptrIsEEEESE_sNS9_10multipliesIsEEsEEDaPvRmT3_T4_T5_mT6_P12ihipStream_tbENKUlT_T0_E_clISt17integral_constantIbLb0EEST_IbLb1EEEEDaSP_SQ_EUlSP_E0_NS1_11comp_targetILNS1_3genE3ELNS1_11target_archE908ELNS1_3gpuE7ELNS1_3repE0EEENS1_30default_config_static_selectorELNS0_4arch9wavefront6targetE1EEEvT1_
; %bb.0:
	.section	.rodata,"a",@progbits
	.p2align	6, 0x0
	.amdhsa_kernel _ZN7rocprim17ROCPRIM_400000_NS6detail17trampoline_kernelINS0_14default_configENS1_20scan_config_selectorIsEEZZNS1_9scan_implILNS1_25lookback_scan_determinismE0ELb0ELb1ES3_N6thrust23THRUST_200600_302600_NS6detail15normal_iteratorINS9_10device_ptrIsEEEESE_sNS9_10multipliesIsEEsEEDaPvRmT3_T4_T5_mT6_P12ihipStream_tbENKUlT_T0_E_clISt17integral_constantIbLb0EEST_IbLb1EEEEDaSP_SQ_EUlSP_E0_NS1_11comp_targetILNS1_3genE3ELNS1_11target_archE908ELNS1_3gpuE7ELNS1_3repE0EEENS1_30default_config_static_selectorELNS0_4arch9wavefront6targetE1EEEvT1_
		.amdhsa_group_segment_fixed_size 0
		.amdhsa_private_segment_fixed_size 0
		.amdhsa_kernarg_size 32
		.amdhsa_user_sgpr_count 6
		.amdhsa_user_sgpr_private_segment_buffer 1
		.amdhsa_user_sgpr_dispatch_ptr 0
		.amdhsa_user_sgpr_queue_ptr 0
		.amdhsa_user_sgpr_kernarg_segment_ptr 1
		.amdhsa_user_sgpr_dispatch_id 0
		.amdhsa_user_sgpr_flat_scratch_init 0
		.amdhsa_user_sgpr_kernarg_preload_length 0
		.amdhsa_user_sgpr_kernarg_preload_offset 0
		.amdhsa_user_sgpr_private_segment_size 0
		.amdhsa_uses_dynamic_stack 0
		.amdhsa_system_sgpr_private_segment_wavefront_offset 0
		.amdhsa_system_sgpr_workgroup_id_x 1
		.amdhsa_system_sgpr_workgroup_id_y 0
		.amdhsa_system_sgpr_workgroup_id_z 0
		.amdhsa_system_sgpr_workgroup_info 0
		.amdhsa_system_vgpr_workitem_id 0
		.amdhsa_next_free_vgpr 1
		.amdhsa_next_free_sgpr 0
		.amdhsa_accum_offset 4
		.amdhsa_reserve_vcc 0
		.amdhsa_reserve_flat_scratch 0
		.amdhsa_float_round_mode_32 0
		.amdhsa_float_round_mode_16_64 0
		.amdhsa_float_denorm_mode_32 3
		.amdhsa_float_denorm_mode_16_64 3
		.amdhsa_dx10_clamp 1
		.amdhsa_ieee_mode 1
		.amdhsa_fp16_overflow 0
		.amdhsa_tg_split 0
		.amdhsa_exception_fp_ieee_invalid_op 0
		.amdhsa_exception_fp_denorm_src 0
		.amdhsa_exception_fp_ieee_div_zero 0
		.amdhsa_exception_fp_ieee_overflow 0
		.amdhsa_exception_fp_ieee_underflow 0
		.amdhsa_exception_fp_ieee_inexact 0
		.amdhsa_exception_int_div_zero 0
	.end_amdhsa_kernel
	.section	.text._ZN7rocprim17ROCPRIM_400000_NS6detail17trampoline_kernelINS0_14default_configENS1_20scan_config_selectorIsEEZZNS1_9scan_implILNS1_25lookback_scan_determinismE0ELb0ELb1ES3_N6thrust23THRUST_200600_302600_NS6detail15normal_iteratorINS9_10device_ptrIsEEEESE_sNS9_10multipliesIsEEsEEDaPvRmT3_T4_T5_mT6_P12ihipStream_tbENKUlT_T0_E_clISt17integral_constantIbLb0EEST_IbLb1EEEEDaSP_SQ_EUlSP_E0_NS1_11comp_targetILNS1_3genE3ELNS1_11target_archE908ELNS1_3gpuE7ELNS1_3repE0EEENS1_30default_config_static_selectorELNS0_4arch9wavefront6targetE1EEEvT1_,"axG",@progbits,_ZN7rocprim17ROCPRIM_400000_NS6detail17trampoline_kernelINS0_14default_configENS1_20scan_config_selectorIsEEZZNS1_9scan_implILNS1_25lookback_scan_determinismE0ELb0ELb1ES3_N6thrust23THRUST_200600_302600_NS6detail15normal_iteratorINS9_10device_ptrIsEEEESE_sNS9_10multipliesIsEEsEEDaPvRmT3_T4_T5_mT6_P12ihipStream_tbENKUlT_T0_E_clISt17integral_constantIbLb0EEST_IbLb1EEEEDaSP_SQ_EUlSP_E0_NS1_11comp_targetILNS1_3genE3ELNS1_11target_archE908ELNS1_3gpuE7ELNS1_3repE0EEENS1_30default_config_static_selectorELNS0_4arch9wavefront6targetE1EEEvT1_,comdat
.Lfunc_end1189:
	.size	_ZN7rocprim17ROCPRIM_400000_NS6detail17trampoline_kernelINS0_14default_configENS1_20scan_config_selectorIsEEZZNS1_9scan_implILNS1_25lookback_scan_determinismE0ELb0ELb1ES3_N6thrust23THRUST_200600_302600_NS6detail15normal_iteratorINS9_10device_ptrIsEEEESE_sNS9_10multipliesIsEEsEEDaPvRmT3_T4_T5_mT6_P12ihipStream_tbENKUlT_T0_E_clISt17integral_constantIbLb0EEST_IbLb1EEEEDaSP_SQ_EUlSP_E0_NS1_11comp_targetILNS1_3genE3ELNS1_11target_archE908ELNS1_3gpuE7ELNS1_3repE0EEENS1_30default_config_static_selectorELNS0_4arch9wavefront6targetE1EEEvT1_, .Lfunc_end1189-_ZN7rocprim17ROCPRIM_400000_NS6detail17trampoline_kernelINS0_14default_configENS1_20scan_config_selectorIsEEZZNS1_9scan_implILNS1_25lookback_scan_determinismE0ELb0ELb1ES3_N6thrust23THRUST_200600_302600_NS6detail15normal_iteratorINS9_10device_ptrIsEEEESE_sNS9_10multipliesIsEEsEEDaPvRmT3_T4_T5_mT6_P12ihipStream_tbENKUlT_T0_E_clISt17integral_constantIbLb0EEST_IbLb1EEEEDaSP_SQ_EUlSP_E0_NS1_11comp_targetILNS1_3genE3ELNS1_11target_archE908ELNS1_3gpuE7ELNS1_3repE0EEENS1_30default_config_static_selectorELNS0_4arch9wavefront6targetE1EEEvT1_
                                        ; -- End function
	.section	.AMDGPU.csdata,"",@progbits
; Kernel info:
; codeLenInByte = 0
; NumSgprs: 4
; NumVgprs: 0
; NumAgprs: 0
; TotalNumVgprs: 0
; ScratchSize: 0
; MemoryBound: 0
; FloatMode: 240
; IeeeMode: 1
; LDSByteSize: 0 bytes/workgroup (compile time only)
; SGPRBlocks: 0
; VGPRBlocks: 0
; NumSGPRsForWavesPerEU: 4
; NumVGPRsForWavesPerEU: 1
; AccumOffset: 4
; Occupancy: 8
; WaveLimiterHint : 0
; COMPUTE_PGM_RSRC2:SCRATCH_EN: 0
; COMPUTE_PGM_RSRC2:USER_SGPR: 6
; COMPUTE_PGM_RSRC2:TRAP_HANDLER: 0
; COMPUTE_PGM_RSRC2:TGID_X_EN: 1
; COMPUTE_PGM_RSRC2:TGID_Y_EN: 0
; COMPUTE_PGM_RSRC2:TGID_Z_EN: 0
; COMPUTE_PGM_RSRC2:TIDIG_COMP_CNT: 0
; COMPUTE_PGM_RSRC3_GFX90A:ACCUM_OFFSET: 0
; COMPUTE_PGM_RSRC3_GFX90A:TG_SPLIT: 0
	.section	.text._ZN7rocprim17ROCPRIM_400000_NS6detail17trampoline_kernelINS0_14default_configENS1_20scan_config_selectorIsEEZZNS1_9scan_implILNS1_25lookback_scan_determinismE0ELb0ELb1ES3_N6thrust23THRUST_200600_302600_NS6detail15normal_iteratorINS9_10device_ptrIsEEEESE_sNS9_10multipliesIsEEsEEDaPvRmT3_T4_T5_mT6_P12ihipStream_tbENKUlT_T0_E_clISt17integral_constantIbLb0EEST_IbLb1EEEEDaSP_SQ_EUlSP_E0_NS1_11comp_targetILNS1_3genE2ELNS1_11target_archE906ELNS1_3gpuE6ELNS1_3repE0EEENS1_30default_config_static_selectorELNS0_4arch9wavefront6targetE1EEEvT1_,"axG",@progbits,_ZN7rocprim17ROCPRIM_400000_NS6detail17trampoline_kernelINS0_14default_configENS1_20scan_config_selectorIsEEZZNS1_9scan_implILNS1_25lookback_scan_determinismE0ELb0ELb1ES3_N6thrust23THRUST_200600_302600_NS6detail15normal_iteratorINS9_10device_ptrIsEEEESE_sNS9_10multipliesIsEEsEEDaPvRmT3_T4_T5_mT6_P12ihipStream_tbENKUlT_T0_E_clISt17integral_constantIbLb0EEST_IbLb1EEEEDaSP_SQ_EUlSP_E0_NS1_11comp_targetILNS1_3genE2ELNS1_11target_archE906ELNS1_3gpuE6ELNS1_3repE0EEENS1_30default_config_static_selectorELNS0_4arch9wavefront6targetE1EEEvT1_,comdat
	.protected	_ZN7rocprim17ROCPRIM_400000_NS6detail17trampoline_kernelINS0_14default_configENS1_20scan_config_selectorIsEEZZNS1_9scan_implILNS1_25lookback_scan_determinismE0ELb0ELb1ES3_N6thrust23THRUST_200600_302600_NS6detail15normal_iteratorINS9_10device_ptrIsEEEESE_sNS9_10multipliesIsEEsEEDaPvRmT3_T4_T5_mT6_P12ihipStream_tbENKUlT_T0_E_clISt17integral_constantIbLb0EEST_IbLb1EEEEDaSP_SQ_EUlSP_E0_NS1_11comp_targetILNS1_3genE2ELNS1_11target_archE906ELNS1_3gpuE6ELNS1_3repE0EEENS1_30default_config_static_selectorELNS0_4arch9wavefront6targetE1EEEvT1_ ; -- Begin function _ZN7rocprim17ROCPRIM_400000_NS6detail17trampoline_kernelINS0_14default_configENS1_20scan_config_selectorIsEEZZNS1_9scan_implILNS1_25lookback_scan_determinismE0ELb0ELb1ES3_N6thrust23THRUST_200600_302600_NS6detail15normal_iteratorINS9_10device_ptrIsEEEESE_sNS9_10multipliesIsEEsEEDaPvRmT3_T4_T5_mT6_P12ihipStream_tbENKUlT_T0_E_clISt17integral_constantIbLb0EEST_IbLb1EEEEDaSP_SQ_EUlSP_E0_NS1_11comp_targetILNS1_3genE2ELNS1_11target_archE906ELNS1_3gpuE6ELNS1_3repE0EEENS1_30default_config_static_selectorELNS0_4arch9wavefront6targetE1EEEvT1_
	.globl	_ZN7rocprim17ROCPRIM_400000_NS6detail17trampoline_kernelINS0_14default_configENS1_20scan_config_selectorIsEEZZNS1_9scan_implILNS1_25lookback_scan_determinismE0ELb0ELb1ES3_N6thrust23THRUST_200600_302600_NS6detail15normal_iteratorINS9_10device_ptrIsEEEESE_sNS9_10multipliesIsEEsEEDaPvRmT3_T4_T5_mT6_P12ihipStream_tbENKUlT_T0_E_clISt17integral_constantIbLb0EEST_IbLb1EEEEDaSP_SQ_EUlSP_E0_NS1_11comp_targetILNS1_3genE2ELNS1_11target_archE906ELNS1_3gpuE6ELNS1_3repE0EEENS1_30default_config_static_selectorELNS0_4arch9wavefront6targetE1EEEvT1_
	.p2align	8
	.type	_ZN7rocprim17ROCPRIM_400000_NS6detail17trampoline_kernelINS0_14default_configENS1_20scan_config_selectorIsEEZZNS1_9scan_implILNS1_25lookback_scan_determinismE0ELb0ELb1ES3_N6thrust23THRUST_200600_302600_NS6detail15normal_iteratorINS9_10device_ptrIsEEEESE_sNS9_10multipliesIsEEsEEDaPvRmT3_T4_T5_mT6_P12ihipStream_tbENKUlT_T0_E_clISt17integral_constantIbLb0EEST_IbLb1EEEEDaSP_SQ_EUlSP_E0_NS1_11comp_targetILNS1_3genE2ELNS1_11target_archE906ELNS1_3gpuE6ELNS1_3repE0EEENS1_30default_config_static_selectorELNS0_4arch9wavefront6targetE1EEEvT1_,@function
_ZN7rocprim17ROCPRIM_400000_NS6detail17trampoline_kernelINS0_14default_configENS1_20scan_config_selectorIsEEZZNS1_9scan_implILNS1_25lookback_scan_determinismE0ELb0ELb1ES3_N6thrust23THRUST_200600_302600_NS6detail15normal_iteratorINS9_10device_ptrIsEEEESE_sNS9_10multipliesIsEEsEEDaPvRmT3_T4_T5_mT6_P12ihipStream_tbENKUlT_T0_E_clISt17integral_constantIbLb0EEST_IbLb1EEEEDaSP_SQ_EUlSP_E0_NS1_11comp_targetILNS1_3genE2ELNS1_11target_archE906ELNS1_3gpuE6ELNS1_3repE0EEENS1_30default_config_static_selectorELNS0_4arch9wavefront6targetE1EEEvT1_: ; @_ZN7rocprim17ROCPRIM_400000_NS6detail17trampoline_kernelINS0_14default_configENS1_20scan_config_selectorIsEEZZNS1_9scan_implILNS1_25lookback_scan_determinismE0ELb0ELb1ES3_N6thrust23THRUST_200600_302600_NS6detail15normal_iteratorINS9_10device_ptrIsEEEESE_sNS9_10multipliesIsEEsEEDaPvRmT3_T4_T5_mT6_P12ihipStream_tbENKUlT_T0_E_clISt17integral_constantIbLb0EEST_IbLb1EEEEDaSP_SQ_EUlSP_E0_NS1_11comp_targetILNS1_3genE2ELNS1_11target_archE906ELNS1_3gpuE6ELNS1_3repE0EEENS1_30default_config_static_selectorELNS0_4arch9wavefront6targetE1EEEvT1_
; %bb.0:
	.section	.rodata,"a",@progbits
	.p2align	6, 0x0
	.amdhsa_kernel _ZN7rocprim17ROCPRIM_400000_NS6detail17trampoline_kernelINS0_14default_configENS1_20scan_config_selectorIsEEZZNS1_9scan_implILNS1_25lookback_scan_determinismE0ELb0ELb1ES3_N6thrust23THRUST_200600_302600_NS6detail15normal_iteratorINS9_10device_ptrIsEEEESE_sNS9_10multipliesIsEEsEEDaPvRmT3_T4_T5_mT6_P12ihipStream_tbENKUlT_T0_E_clISt17integral_constantIbLb0EEST_IbLb1EEEEDaSP_SQ_EUlSP_E0_NS1_11comp_targetILNS1_3genE2ELNS1_11target_archE906ELNS1_3gpuE6ELNS1_3repE0EEENS1_30default_config_static_selectorELNS0_4arch9wavefront6targetE1EEEvT1_
		.amdhsa_group_segment_fixed_size 0
		.amdhsa_private_segment_fixed_size 0
		.amdhsa_kernarg_size 32
		.amdhsa_user_sgpr_count 6
		.amdhsa_user_sgpr_private_segment_buffer 1
		.amdhsa_user_sgpr_dispatch_ptr 0
		.amdhsa_user_sgpr_queue_ptr 0
		.amdhsa_user_sgpr_kernarg_segment_ptr 1
		.amdhsa_user_sgpr_dispatch_id 0
		.amdhsa_user_sgpr_flat_scratch_init 0
		.amdhsa_user_sgpr_kernarg_preload_length 0
		.amdhsa_user_sgpr_kernarg_preload_offset 0
		.amdhsa_user_sgpr_private_segment_size 0
		.amdhsa_uses_dynamic_stack 0
		.amdhsa_system_sgpr_private_segment_wavefront_offset 0
		.amdhsa_system_sgpr_workgroup_id_x 1
		.amdhsa_system_sgpr_workgroup_id_y 0
		.amdhsa_system_sgpr_workgroup_id_z 0
		.amdhsa_system_sgpr_workgroup_info 0
		.amdhsa_system_vgpr_workitem_id 0
		.amdhsa_next_free_vgpr 1
		.amdhsa_next_free_sgpr 0
		.amdhsa_accum_offset 4
		.amdhsa_reserve_vcc 0
		.amdhsa_reserve_flat_scratch 0
		.amdhsa_float_round_mode_32 0
		.amdhsa_float_round_mode_16_64 0
		.amdhsa_float_denorm_mode_32 3
		.amdhsa_float_denorm_mode_16_64 3
		.amdhsa_dx10_clamp 1
		.amdhsa_ieee_mode 1
		.amdhsa_fp16_overflow 0
		.amdhsa_tg_split 0
		.amdhsa_exception_fp_ieee_invalid_op 0
		.amdhsa_exception_fp_denorm_src 0
		.amdhsa_exception_fp_ieee_div_zero 0
		.amdhsa_exception_fp_ieee_overflow 0
		.amdhsa_exception_fp_ieee_underflow 0
		.amdhsa_exception_fp_ieee_inexact 0
		.amdhsa_exception_int_div_zero 0
	.end_amdhsa_kernel
	.section	.text._ZN7rocprim17ROCPRIM_400000_NS6detail17trampoline_kernelINS0_14default_configENS1_20scan_config_selectorIsEEZZNS1_9scan_implILNS1_25lookback_scan_determinismE0ELb0ELb1ES3_N6thrust23THRUST_200600_302600_NS6detail15normal_iteratorINS9_10device_ptrIsEEEESE_sNS9_10multipliesIsEEsEEDaPvRmT3_T4_T5_mT6_P12ihipStream_tbENKUlT_T0_E_clISt17integral_constantIbLb0EEST_IbLb1EEEEDaSP_SQ_EUlSP_E0_NS1_11comp_targetILNS1_3genE2ELNS1_11target_archE906ELNS1_3gpuE6ELNS1_3repE0EEENS1_30default_config_static_selectorELNS0_4arch9wavefront6targetE1EEEvT1_,"axG",@progbits,_ZN7rocprim17ROCPRIM_400000_NS6detail17trampoline_kernelINS0_14default_configENS1_20scan_config_selectorIsEEZZNS1_9scan_implILNS1_25lookback_scan_determinismE0ELb0ELb1ES3_N6thrust23THRUST_200600_302600_NS6detail15normal_iteratorINS9_10device_ptrIsEEEESE_sNS9_10multipliesIsEEsEEDaPvRmT3_T4_T5_mT6_P12ihipStream_tbENKUlT_T0_E_clISt17integral_constantIbLb0EEST_IbLb1EEEEDaSP_SQ_EUlSP_E0_NS1_11comp_targetILNS1_3genE2ELNS1_11target_archE906ELNS1_3gpuE6ELNS1_3repE0EEENS1_30default_config_static_selectorELNS0_4arch9wavefront6targetE1EEEvT1_,comdat
.Lfunc_end1190:
	.size	_ZN7rocprim17ROCPRIM_400000_NS6detail17trampoline_kernelINS0_14default_configENS1_20scan_config_selectorIsEEZZNS1_9scan_implILNS1_25lookback_scan_determinismE0ELb0ELb1ES3_N6thrust23THRUST_200600_302600_NS6detail15normal_iteratorINS9_10device_ptrIsEEEESE_sNS9_10multipliesIsEEsEEDaPvRmT3_T4_T5_mT6_P12ihipStream_tbENKUlT_T0_E_clISt17integral_constantIbLb0EEST_IbLb1EEEEDaSP_SQ_EUlSP_E0_NS1_11comp_targetILNS1_3genE2ELNS1_11target_archE906ELNS1_3gpuE6ELNS1_3repE0EEENS1_30default_config_static_selectorELNS0_4arch9wavefront6targetE1EEEvT1_, .Lfunc_end1190-_ZN7rocprim17ROCPRIM_400000_NS6detail17trampoline_kernelINS0_14default_configENS1_20scan_config_selectorIsEEZZNS1_9scan_implILNS1_25lookback_scan_determinismE0ELb0ELb1ES3_N6thrust23THRUST_200600_302600_NS6detail15normal_iteratorINS9_10device_ptrIsEEEESE_sNS9_10multipliesIsEEsEEDaPvRmT3_T4_T5_mT6_P12ihipStream_tbENKUlT_T0_E_clISt17integral_constantIbLb0EEST_IbLb1EEEEDaSP_SQ_EUlSP_E0_NS1_11comp_targetILNS1_3genE2ELNS1_11target_archE906ELNS1_3gpuE6ELNS1_3repE0EEENS1_30default_config_static_selectorELNS0_4arch9wavefront6targetE1EEEvT1_
                                        ; -- End function
	.section	.AMDGPU.csdata,"",@progbits
; Kernel info:
; codeLenInByte = 0
; NumSgprs: 4
; NumVgprs: 0
; NumAgprs: 0
; TotalNumVgprs: 0
; ScratchSize: 0
; MemoryBound: 0
; FloatMode: 240
; IeeeMode: 1
; LDSByteSize: 0 bytes/workgroup (compile time only)
; SGPRBlocks: 0
; VGPRBlocks: 0
; NumSGPRsForWavesPerEU: 4
; NumVGPRsForWavesPerEU: 1
; AccumOffset: 4
; Occupancy: 8
; WaveLimiterHint : 0
; COMPUTE_PGM_RSRC2:SCRATCH_EN: 0
; COMPUTE_PGM_RSRC2:USER_SGPR: 6
; COMPUTE_PGM_RSRC2:TRAP_HANDLER: 0
; COMPUTE_PGM_RSRC2:TGID_X_EN: 1
; COMPUTE_PGM_RSRC2:TGID_Y_EN: 0
; COMPUTE_PGM_RSRC2:TGID_Z_EN: 0
; COMPUTE_PGM_RSRC2:TIDIG_COMP_CNT: 0
; COMPUTE_PGM_RSRC3_GFX90A:ACCUM_OFFSET: 0
; COMPUTE_PGM_RSRC3_GFX90A:TG_SPLIT: 0
	.section	.text._ZN7rocprim17ROCPRIM_400000_NS6detail17trampoline_kernelINS0_14default_configENS1_20scan_config_selectorIsEEZZNS1_9scan_implILNS1_25lookback_scan_determinismE0ELb0ELb1ES3_N6thrust23THRUST_200600_302600_NS6detail15normal_iteratorINS9_10device_ptrIsEEEESE_sNS9_10multipliesIsEEsEEDaPvRmT3_T4_T5_mT6_P12ihipStream_tbENKUlT_T0_E_clISt17integral_constantIbLb0EEST_IbLb1EEEEDaSP_SQ_EUlSP_E0_NS1_11comp_targetILNS1_3genE10ELNS1_11target_archE1201ELNS1_3gpuE5ELNS1_3repE0EEENS1_30default_config_static_selectorELNS0_4arch9wavefront6targetE1EEEvT1_,"axG",@progbits,_ZN7rocprim17ROCPRIM_400000_NS6detail17trampoline_kernelINS0_14default_configENS1_20scan_config_selectorIsEEZZNS1_9scan_implILNS1_25lookback_scan_determinismE0ELb0ELb1ES3_N6thrust23THRUST_200600_302600_NS6detail15normal_iteratorINS9_10device_ptrIsEEEESE_sNS9_10multipliesIsEEsEEDaPvRmT3_T4_T5_mT6_P12ihipStream_tbENKUlT_T0_E_clISt17integral_constantIbLb0EEST_IbLb1EEEEDaSP_SQ_EUlSP_E0_NS1_11comp_targetILNS1_3genE10ELNS1_11target_archE1201ELNS1_3gpuE5ELNS1_3repE0EEENS1_30default_config_static_selectorELNS0_4arch9wavefront6targetE1EEEvT1_,comdat
	.protected	_ZN7rocprim17ROCPRIM_400000_NS6detail17trampoline_kernelINS0_14default_configENS1_20scan_config_selectorIsEEZZNS1_9scan_implILNS1_25lookback_scan_determinismE0ELb0ELb1ES3_N6thrust23THRUST_200600_302600_NS6detail15normal_iteratorINS9_10device_ptrIsEEEESE_sNS9_10multipliesIsEEsEEDaPvRmT3_T4_T5_mT6_P12ihipStream_tbENKUlT_T0_E_clISt17integral_constantIbLb0EEST_IbLb1EEEEDaSP_SQ_EUlSP_E0_NS1_11comp_targetILNS1_3genE10ELNS1_11target_archE1201ELNS1_3gpuE5ELNS1_3repE0EEENS1_30default_config_static_selectorELNS0_4arch9wavefront6targetE1EEEvT1_ ; -- Begin function _ZN7rocprim17ROCPRIM_400000_NS6detail17trampoline_kernelINS0_14default_configENS1_20scan_config_selectorIsEEZZNS1_9scan_implILNS1_25lookback_scan_determinismE0ELb0ELb1ES3_N6thrust23THRUST_200600_302600_NS6detail15normal_iteratorINS9_10device_ptrIsEEEESE_sNS9_10multipliesIsEEsEEDaPvRmT3_T4_T5_mT6_P12ihipStream_tbENKUlT_T0_E_clISt17integral_constantIbLb0EEST_IbLb1EEEEDaSP_SQ_EUlSP_E0_NS1_11comp_targetILNS1_3genE10ELNS1_11target_archE1201ELNS1_3gpuE5ELNS1_3repE0EEENS1_30default_config_static_selectorELNS0_4arch9wavefront6targetE1EEEvT1_
	.globl	_ZN7rocprim17ROCPRIM_400000_NS6detail17trampoline_kernelINS0_14default_configENS1_20scan_config_selectorIsEEZZNS1_9scan_implILNS1_25lookback_scan_determinismE0ELb0ELb1ES3_N6thrust23THRUST_200600_302600_NS6detail15normal_iteratorINS9_10device_ptrIsEEEESE_sNS9_10multipliesIsEEsEEDaPvRmT3_T4_T5_mT6_P12ihipStream_tbENKUlT_T0_E_clISt17integral_constantIbLb0EEST_IbLb1EEEEDaSP_SQ_EUlSP_E0_NS1_11comp_targetILNS1_3genE10ELNS1_11target_archE1201ELNS1_3gpuE5ELNS1_3repE0EEENS1_30default_config_static_selectorELNS0_4arch9wavefront6targetE1EEEvT1_
	.p2align	8
	.type	_ZN7rocprim17ROCPRIM_400000_NS6detail17trampoline_kernelINS0_14default_configENS1_20scan_config_selectorIsEEZZNS1_9scan_implILNS1_25lookback_scan_determinismE0ELb0ELb1ES3_N6thrust23THRUST_200600_302600_NS6detail15normal_iteratorINS9_10device_ptrIsEEEESE_sNS9_10multipliesIsEEsEEDaPvRmT3_T4_T5_mT6_P12ihipStream_tbENKUlT_T0_E_clISt17integral_constantIbLb0EEST_IbLb1EEEEDaSP_SQ_EUlSP_E0_NS1_11comp_targetILNS1_3genE10ELNS1_11target_archE1201ELNS1_3gpuE5ELNS1_3repE0EEENS1_30default_config_static_selectorELNS0_4arch9wavefront6targetE1EEEvT1_,@function
_ZN7rocprim17ROCPRIM_400000_NS6detail17trampoline_kernelINS0_14default_configENS1_20scan_config_selectorIsEEZZNS1_9scan_implILNS1_25lookback_scan_determinismE0ELb0ELb1ES3_N6thrust23THRUST_200600_302600_NS6detail15normal_iteratorINS9_10device_ptrIsEEEESE_sNS9_10multipliesIsEEsEEDaPvRmT3_T4_T5_mT6_P12ihipStream_tbENKUlT_T0_E_clISt17integral_constantIbLb0EEST_IbLb1EEEEDaSP_SQ_EUlSP_E0_NS1_11comp_targetILNS1_3genE10ELNS1_11target_archE1201ELNS1_3gpuE5ELNS1_3repE0EEENS1_30default_config_static_selectorELNS0_4arch9wavefront6targetE1EEEvT1_: ; @_ZN7rocprim17ROCPRIM_400000_NS6detail17trampoline_kernelINS0_14default_configENS1_20scan_config_selectorIsEEZZNS1_9scan_implILNS1_25lookback_scan_determinismE0ELb0ELb1ES3_N6thrust23THRUST_200600_302600_NS6detail15normal_iteratorINS9_10device_ptrIsEEEESE_sNS9_10multipliesIsEEsEEDaPvRmT3_T4_T5_mT6_P12ihipStream_tbENKUlT_T0_E_clISt17integral_constantIbLb0EEST_IbLb1EEEEDaSP_SQ_EUlSP_E0_NS1_11comp_targetILNS1_3genE10ELNS1_11target_archE1201ELNS1_3gpuE5ELNS1_3repE0EEENS1_30default_config_static_selectorELNS0_4arch9wavefront6targetE1EEEvT1_
; %bb.0:
	.section	.rodata,"a",@progbits
	.p2align	6, 0x0
	.amdhsa_kernel _ZN7rocprim17ROCPRIM_400000_NS6detail17trampoline_kernelINS0_14default_configENS1_20scan_config_selectorIsEEZZNS1_9scan_implILNS1_25lookback_scan_determinismE0ELb0ELb1ES3_N6thrust23THRUST_200600_302600_NS6detail15normal_iteratorINS9_10device_ptrIsEEEESE_sNS9_10multipliesIsEEsEEDaPvRmT3_T4_T5_mT6_P12ihipStream_tbENKUlT_T0_E_clISt17integral_constantIbLb0EEST_IbLb1EEEEDaSP_SQ_EUlSP_E0_NS1_11comp_targetILNS1_3genE10ELNS1_11target_archE1201ELNS1_3gpuE5ELNS1_3repE0EEENS1_30default_config_static_selectorELNS0_4arch9wavefront6targetE1EEEvT1_
		.amdhsa_group_segment_fixed_size 0
		.amdhsa_private_segment_fixed_size 0
		.amdhsa_kernarg_size 32
		.amdhsa_user_sgpr_count 6
		.amdhsa_user_sgpr_private_segment_buffer 1
		.amdhsa_user_sgpr_dispatch_ptr 0
		.amdhsa_user_sgpr_queue_ptr 0
		.amdhsa_user_sgpr_kernarg_segment_ptr 1
		.amdhsa_user_sgpr_dispatch_id 0
		.amdhsa_user_sgpr_flat_scratch_init 0
		.amdhsa_user_sgpr_kernarg_preload_length 0
		.amdhsa_user_sgpr_kernarg_preload_offset 0
		.amdhsa_user_sgpr_private_segment_size 0
		.amdhsa_uses_dynamic_stack 0
		.amdhsa_system_sgpr_private_segment_wavefront_offset 0
		.amdhsa_system_sgpr_workgroup_id_x 1
		.amdhsa_system_sgpr_workgroup_id_y 0
		.amdhsa_system_sgpr_workgroup_id_z 0
		.amdhsa_system_sgpr_workgroup_info 0
		.amdhsa_system_vgpr_workitem_id 0
		.amdhsa_next_free_vgpr 1
		.amdhsa_next_free_sgpr 0
		.amdhsa_accum_offset 4
		.amdhsa_reserve_vcc 0
		.amdhsa_reserve_flat_scratch 0
		.amdhsa_float_round_mode_32 0
		.amdhsa_float_round_mode_16_64 0
		.amdhsa_float_denorm_mode_32 3
		.amdhsa_float_denorm_mode_16_64 3
		.amdhsa_dx10_clamp 1
		.amdhsa_ieee_mode 1
		.amdhsa_fp16_overflow 0
		.amdhsa_tg_split 0
		.amdhsa_exception_fp_ieee_invalid_op 0
		.amdhsa_exception_fp_denorm_src 0
		.amdhsa_exception_fp_ieee_div_zero 0
		.amdhsa_exception_fp_ieee_overflow 0
		.amdhsa_exception_fp_ieee_underflow 0
		.amdhsa_exception_fp_ieee_inexact 0
		.amdhsa_exception_int_div_zero 0
	.end_amdhsa_kernel
	.section	.text._ZN7rocprim17ROCPRIM_400000_NS6detail17trampoline_kernelINS0_14default_configENS1_20scan_config_selectorIsEEZZNS1_9scan_implILNS1_25lookback_scan_determinismE0ELb0ELb1ES3_N6thrust23THRUST_200600_302600_NS6detail15normal_iteratorINS9_10device_ptrIsEEEESE_sNS9_10multipliesIsEEsEEDaPvRmT3_T4_T5_mT6_P12ihipStream_tbENKUlT_T0_E_clISt17integral_constantIbLb0EEST_IbLb1EEEEDaSP_SQ_EUlSP_E0_NS1_11comp_targetILNS1_3genE10ELNS1_11target_archE1201ELNS1_3gpuE5ELNS1_3repE0EEENS1_30default_config_static_selectorELNS0_4arch9wavefront6targetE1EEEvT1_,"axG",@progbits,_ZN7rocprim17ROCPRIM_400000_NS6detail17trampoline_kernelINS0_14default_configENS1_20scan_config_selectorIsEEZZNS1_9scan_implILNS1_25lookback_scan_determinismE0ELb0ELb1ES3_N6thrust23THRUST_200600_302600_NS6detail15normal_iteratorINS9_10device_ptrIsEEEESE_sNS9_10multipliesIsEEsEEDaPvRmT3_T4_T5_mT6_P12ihipStream_tbENKUlT_T0_E_clISt17integral_constantIbLb0EEST_IbLb1EEEEDaSP_SQ_EUlSP_E0_NS1_11comp_targetILNS1_3genE10ELNS1_11target_archE1201ELNS1_3gpuE5ELNS1_3repE0EEENS1_30default_config_static_selectorELNS0_4arch9wavefront6targetE1EEEvT1_,comdat
.Lfunc_end1191:
	.size	_ZN7rocprim17ROCPRIM_400000_NS6detail17trampoline_kernelINS0_14default_configENS1_20scan_config_selectorIsEEZZNS1_9scan_implILNS1_25lookback_scan_determinismE0ELb0ELb1ES3_N6thrust23THRUST_200600_302600_NS6detail15normal_iteratorINS9_10device_ptrIsEEEESE_sNS9_10multipliesIsEEsEEDaPvRmT3_T4_T5_mT6_P12ihipStream_tbENKUlT_T0_E_clISt17integral_constantIbLb0EEST_IbLb1EEEEDaSP_SQ_EUlSP_E0_NS1_11comp_targetILNS1_3genE10ELNS1_11target_archE1201ELNS1_3gpuE5ELNS1_3repE0EEENS1_30default_config_static_selectorELNS0_4arch9wavefront6targetE1EEEvT1_, .Lfunc_end1191-_ZN7rocprim17ROCPRIM_400000_NS6detail17trampoline_kernelINS0_14default_configENS1_20scan_config_selectorIsEEZZNS1_9scan_implILNS1_25lookback_scan_determinismE0ELb0ELb1ES3_N6thrust23THRUST_200600_302600_NS6detail15normal_iteratorINS9_10device_ptrIsEEEESE_sNS9_10multipliesIsEEsEEDaPvRmT3_T4_T5_mT6_P12ihipStream_tbENKUlT_T0_E_clISt17integral_constantIbLb0EEST_IbLb1EEEEDaSP_SQ_EUlSP_E0_NS1_11comp_targetILNS1_3genE10ELNS1_11target_archE1201ELNS1_3gpuE5ELNS1_3repE0EEENS1_30default_config_static_selectorELNS0_4arch9wavefront6targetE1EEEvT1_
                                        ; -- End function
	.section	.AMDGPU.csdata,"",@progbits
; Kernel info:
; codeLenInByte = 0
; NumSgprs: 4
; NumVgprs: 0
; NumAgprs: 0
; TotalNumVgprs: 0
; ScratchSize: 0
; MemoryBound: 0
; FloatMode: 240
; IeeeMode: 1
; LDSByteSize: 0 bytes/workgroup (compile time only)
; SGPRBlocks: 0
; VGPRBlocks: 0
; NumSGPRsForWavesPerEU: 4
; NumVGPRsForWavesPerEU: 1
; AccumOffset: 4
; Occupancy: 8
; WaveLimiterHint : 0
; COMPUTE_PGM_RSRC2:SCRATCH_EN: 0
; COMPUTE_PGM_RSRC2:USER_SGPR: 6
; COMPUTE_PGM_RSRC2:TRAP_HANDLER: 0
; COMPUTE_PGM_RSRC2:TGID_X_EN: 1
; COMPUTE_PGM_RSRC2:TGID_Y_EN: 0
; COMPUTE_PGM_RSRC2:TGID_Z_EN: 0
; COMPUTE_PGM_RSRC2:TIDIG_COMP_CNT: 0
; COMPUTE_PGM_RSRC3_GFX90A:ACCUM_OFFSET: 0
; COMPUTE_PGM_RSRC3_GFX90A:TG_SPLIT: 0
	.section	.text._ZN7rocprim17ROCPRIM_400000_NS6detail17trampoline_kernelINS0_14default_configENS1_20scan_config_selectorIsEEZZNS1_9scan_implILNS1_25lookback_scan_determinismE0ELb0ELb1ES3_N6thrust23THRUST_200600_302600_NS6detail15normal_iteratorINS9_10device_ptrIsEEEESE_sNS9_10multipliesIsEEsEEDaPvRmT3_T4_T5_mT6_P12ihipStream_tbENKUlT_T0_E_clISt17integral_constantIbLb0EEST_IbLb1EEEEDaSP_SQ_EUlSP_E0_NS1_11comp_targetILNS1_3genE10ELNS1_11target_archE1200ELNS1_3gpuE4ELNS1_3repE0EEENS1_30default_config_static_selectorELNS0_4arch9wavefront6targetE1EEEvT1_,"axG",@progbits,_ZN7rocprim17ROCPRIM_400000_NS6detail17trampoline_kernelINS0_14default_configENS1_20scan_config_selectorIsEEZZNS1_9scan_implILNS1_25lookback_scan_determinismE0ELb0ELb1ES3_N6thrust23THRUST_200600_302600_NS6detail15normal_iteratorINS9_10device_ptrIsEEEESE_sNS9_10multipliesIsEEsEEDaPvRmT3_T4_T5_mT6_P12ihipStream_tbENKUlT_T0_E_clISt17integral_constantIbLb0EEST_IbLb1EEEEDaSP_SQ_EUlSP_E0_NS1_11comp_targetILNS1_3genE10ELNS1_11target_archE1200ELNS1_3gpuE4ELNS1_3repE0EEENS1_30default_config_static_selectorELNS0_4arch9wavefront6targetE1EEEvT1_,comdat
	.protected	_ZN7rocprim17ROCPRIM_400000_NS6detail17trampoline_kernelINS0_14default_configENS1_20scan_config_selectorIsEEZZNS1_9scan_implILNS1_25lookback_scan_determinismE0ELb0ELb1ES3_N6thrust23THRUST_200600_302600_NS6detail15normal_iteratorINS9_10device_ptrIsEEEESE_sNS9_10multipliesIsEEsEEDaPvRmT3_T4_T5_mT6_P12ihipStream_tbENKUlT_T0_E_clISt17integral_constantIbLb0EEST_IbLb1EEEEDaSP_SQ_EUlSP_E0_NS1_11comp_targetILNS1_3genE10ELNS1_11target_archE1200ELNS1_3gpuE4ELNS1_3repE0EEENS1_30default_config_static_selectorELNS0_4arch9wavefront6targetE1EEEvT1_ ; -- Begin function _ZN7rocprim17ROCPRIM_400000_NS6detail17trampoline_kernelINS0_14default_configENS1_20scan_config_selectorIsEEZZNS1_9scan_implILNS1_25lookback_scan_determinismE0ELb0ELb1ES3_N6thrust23THRUST_200600_302600_NS6detail15normal_iteratorINS9_10device_ptrIsEEEESE_sNS9_10multipliesIsEEsEEDaPvRmT3_T4_T5_mT6_P12ihipStream_tbENKUlT_T0_E_clISt17integral_constantIbLb0EEST_IbLb1EEEEDaSP_SQ_EUlSP_E0_NS1_11comp_targetILNS1_3genE10ELNS1_11target_archE1200ELNS1_3gpuE4ELNS1_3repE0EEENS1_30default_config_static_selectorELNS0_4arch9wavefront6targetE1EEEvT1_
	.globl	_ZN7rocprim17ROCPRIM_400000_NS6detail17trampoline_kernelINS0_14default_configENS1_20scan_config_selectorIsEEZZNS1_9scan_implILNS1_25lookback_scan_determinismE0ELb0ELb1ES3_N6thrust23THRUST_200600_302600_NS6detail15normal_iteratorINS9_10device_ptrIsEEEESE_sNS9_10multipliesIsEEsEEDaPvRmT3_T4_T5_mT6_P12ihipStream_tbENKUlT_T0_E_clISt17integral_constantIbLb0EEST_IbLb1EEEEDaSP_SQ_EUlSP_E0_NS1_11comp_targetILNS1_3genE10ELNS1_11target_archE1200ELNS1_3gpuE4ELNS1_3repE0EEENS1_30default_config_static_selectorELNS0_4arch9wavefront6targetE1EEEvT1_
	.p2align	8
	.type	_ZN7rocprim17ROCPRIM_400000_NS6detail17trampoline_kernelINS0_14default_configENS1_20scan_config_selectorIsEEZZNS1_9scan_implILNS1_25lookback_scan_determinismE0ELb0ELb1ES3_N6thrust23THRUST_200600_302600_NS6detail15normal_iteratorINS9_10device_ptrIsEEEESE_sNS9_10multipliesIsEEsEEDaPvRmT3_T4_T5_mT6_P12ihipStream_tbENKUlT_T0_E_clISt17integral_constantIbLb0EEST_IbLb1EEEEDaSP_SQ_EUlSP_E0_NS1_11comp_targetILNS1_3genE10ELNS1_11target_archE1200ELNS1_3gpuE4ELNS1_3repE0EEENS1_30default_config_static_selectorELNS0_4arch9wavefront6targetE1EEEvT1_,@function
_ZN7rocprim17ROCPRIM_400000_NS6detail17trampoline_kernelINS0_14default_configENS1_20scan_config_selectorIsEEZZNS1_9scan_implILNS1_25lookback_scan_determinismE0ELb0ELb1ES3_N6thrust23THRUST_200600_302600_NS6detail15normal_iteratorINS9_10device_ptrIsEEEESE_sNS9_10multipliesIsEEsEEDaPvRmT3_T4_T5_mT6_P12ihipStream_tbENKUlT_T0_E_clISt17integral_constantIbLb0EEST_IbLb1EEEEDaSP_SQ_EUlSP_E0_NS1_11comp_targetILNS1_3genE10ELNS1_11target_archE1200ELNS1_3gpuE4ELNS1_3repE0EEENS1_30default_config_static_selectorELNS0_4arch9wavefront6targetE1EEEvT1_: ; @_ZN7rocprim17ROCPRIM_400000_NS6detail17trampoline_kernelINS0_14default_configENS1_20scan_config_selectorIsEEZZNS1_9scan_implILNS1_25lookback_scan_determinismE0ELb0ELb1ES3_N6thrust23THRUST_200600_302600_NS6detail15normal_iteratorINS9_10device_ptrIsEEEESE_sNS9_10multipliesIsEEsEEDaPvRmT3_T4_T5_mT6_P12ihipStream_tbENKUlT_T0_E_clISt17integral_constantIbLb0EEST_IbLb1EEEEDaSP_SQ_EUlSP_E0_NS1_11comp_targetILNS1_3genE10ELNS1_11target_archE1200ELNS1_3gpuE4ELNS1_3repE0EEENS1_30default_config_static_selectorELNS0_4arch9wavefront6targetE1EEEvT1_
; %bb.0:
	.section	.rodata,"a",@progbits
	.p2align	6, 0x0
	.amdhsa_kernel _ZN7rocprim17ROCPRIM_400000_NS6detail17trampoline_kernelINS0_14default_configENS1_20scan_config_selectorIsEEZZNS1_9scan_implILNS1_25lookback_scan_determinismE0ELb0ELb1ES3_N6thrust23THRUST_200600_302600_NS6detail15normal_iteratorINS9_10device_ptrIsEEEESE_sNS9_10multipliesIsEEsEEDaPvRmT3_T4_T5_mT6_P12ihipStream_tbENKUlT_T0_E_clISt17integral_constantIbLb0EEST_IbLb1EEEEDaSP_SQ_EUlSP_E0_NS1_11comp_targetILNS1_3genE10ELNS1_11target_archE1200ELNS1_3gpuE4ELNS1_3repE0EEENS1_30default_config_static_selectorELNS0_4arch9wavefront6targetE1EEEvT1_
		.amdhsa_group_segment_fixed_size 0
		.amdhsa_private_segment_fixed_size 0
		.amdhsa_kernarg_size 32
		.amdhsa_user_sgpr_count 6
		.amdhsa_user_sgpr_private_segment_buffer 1
		.amdhsa_user_sgpr_dispatch_ptr 0
		.amdhsa_user_sgpr_queue_ptr 0
		.amdhsa_user_sgpr_kernarg_segment_ptr 1
		.amdhsa_user_sgpr_dispatch_id 0
		.amdhsa_user_sgpr_flat_scratch_init 0
		.amdhsa_user_sgpr_kernarg_preload_length 0
		.amdhsa_user_sgpr_kernarg_preload_offset 0
		.amdhsa_user_sgpr_private_segment_size 0
		.amdhsa_uses_dynamic_stack 0
		.amdhsa_system_sgpr_private_segment_wavefront_offset 0
		.amdhsa_system_sgpr_workgroup_id_x 1
		.amdhsa_system_sgpr_workgroup_id_y 0
		.amdhsa_system_sgpr_workgroup_id_z 0
		.amdhsa_system_sgpr_workgroup_info 0
		.amdhsa_system_vgpr_workitem_id 0
		.amdhsa_next_free_vgpr 1
		.amdhsa_next_free_sgpr 0
		.amdhsa_accum_offset 4
		.amdhsa_reserve_vcc 0
		.amdhsa_reserve_flat_scratch 0
		.amdhsa_float_round_mode_32 0
		.amdhsa_float_round_mode_16_64 0
		.amdhsa_float_denorm_mode_32 3
		.amdhsa_float_denorm_mode_16_64 3
		.amdhsa_dx10_clamp 1
		.amdhsa_ieee_mode 1
		.amdhsa_fp16_overflow 0
		.amdhsa_tg_split 0
		.amdhsa_exception_fp_ieee_invalid_op 0
		.amdhsa_exception_fp_denorm_src 0
		.amdhsa_exception_fp_ieee_div_zero 0
		.amdhsa_exception_fp_ieee_overflow 0
		.amdhsa_exception_fp_ieee_underflow 0
		.amdhsa_exception_fp_ieee_inexact 0
		.amdhsa_exception_int_div_zero 0
	.end_amdhsa_kernel
	.section	.text._ZN7rocprim17ROCPRIM_400000_NS6detail17trampoline_kernelINS0_14default_configENS1_20scan_config_selectorIsEEZZNS1_9scan_implILNS1_25lookback_scan_determinismE0ELb0ELb1ES3_N6thrust23THRUST_200600_302600_NS6detail15normal_iteratorINS9_10device_ptrIsEEEESE_sNS9_10multipliesIsEEsEEDaPvRmT3_T4_T5_mT6_P12ihipStream_tbENKUlT_T0_E_clISt17integral_constantIbLb0EEST_IbLb1EEEEDaSP_SQ_EUlSP_E0_NS1_11comp_targetILNS1_3genE10ELNS1_11target_archE1200ELNS1_3gpuE4ELNS1_3repE0EEENS1_30default_config_static_selectorELNS0_4arch9wavefront6targetE1EEEvT1_,"axG",@progbits,_ZN7rocprim17ROCPRIM_400000_NS6detail17trampoline_kernelINS0_14default_configENS1_20scan_config_selectorIsEEZZNS1_9scan_implILNS1_25lookback_scan_determinismE0ELb0ELb1ES3_N6thrust23THRUST_200600_302600_NS6detail15normal_iteratorINS9_10device_ptrIsEEEESE_sNS9_10multipliesIsEEsEEDaPvRmT3_T4_T5_mT6_P12ihipStream_tbENKUlT_T0_E_clISt17integral_constantIbLb0EEST_IbLb1EEEEDaSP_SQ_EUlSP_E0_NS1_11comp_targetILNS1_3genE10ELNS1_11target_archE1200ELNS1_3gpuE4ELNS1_3repE0EEENS1_30default_config_static_selectorELNS0_4arch9wavefront6targetE1EEEvT1_,comdat
.Lfunc_end1192:
	.size	_ZN7rocprim17ROCPRIM_400000_NS6detail17trampoline_kernelINS0_14default_configENS1_20scan_config_selectorIsEEZZNS1_9scan_implILNS1_25lookback_scan_determinismE0ELb0ELb1ES3_N6thrust23THRUST_200600_302600_NS6detail15normal_iteratorINS9_10device_ptrIsEEEESE_sNS9_10multipliesIsEEsEEDaPvRmT3_T4_T5_mT6_P12ihipStream_tbENKUlT_T0_E_clISt17integral_constantIbLb0EEST_IbLb1EEEEDaSP_SQ_EUlSP_E0_NS1_11comp_targetILNS1_3genE10ELNS1_11target_archE1200ELNS1_3gpuE4ELNS1_3repE0EEENS1_30default_config_static_selectorELNS0_4arch9wavefront6targetE1EEEvT1_, .Lfunc_end1192-_ZN7rocprim17ROCPRIM_400000_NS6detail17trampoline_kernelINS0_14default_configENS1_20scan_config_selectorIsEEZZNS1_9scan_implILNS1_25lookback_scan_determinismE0ELb0ELb1ES3_N6thrust23THRUST_200600_302600_NS6detail15normal_iteratorINS9_10device_ptrIsEEEESE_sNS9_10multipliesIsEEsEEDaPvRmT3_T4_T5_mT6_P12ihipStream_tbENKUlT_T0_E_clISt17integral_constantIbLb0EEST_IbLb1EEEEDaSP_SQ_EUlSP_E0_NS1_11comp_targetILNS1_3genE10ELNS1_11target_archE1200ELNS1_3gpuE4ELNS1_3repE0EEENS1_30default_config_static_selectorELNS0_4arch9wavefront6targetE1EEEvT1_
                                        ; -- End function
	.section	.AMDGPU.csdata,"",@progbits
; Kernel info:
; codeLenInByte = 0
; NumSgprs: 4
; NumVgprs: 0
; NumAgprs: 0
; TotalNumVgprs: 0
; ScratchSize: 0
; MemoryBound: 0
; FloatMode: 240
; IeeeMode: 1
; LDSByteSize: 0 bytes/workgroup (compile time only)
; SGPRBlocks: 0
; VGPRBlocks: 0
; NumSGPRsForWavesPerEU: 4
; NumVGPRsForWavesPerEU: 1
; AccumOffset: 4
; Occupancy: 8
; WaveLimiterHint : 0
; COMPUTE_PGM_RSRC2:SCRATCH_EN: 0
; COMPUTE_PGM_RSRC2:USER_SGPR: 6
; COMPUTE_PGM_RSRC2:TRAP_HANDLER: 0
; COMPUTE_PGM_RSRC2:TGID_X_EN: 1
; COMPUTE_PGM_RSRC2:TGID_Y_EN: 0
; COMPUTE_PGM_RSRC2:TGID_Z_EN: 0
; COMPUTE_PGM_RSRC2:TIDIG_COMP_CNT: 0
; COMPUTE_PGM_RSRC3_GFX90A:ACCUM_OFFSET: 0
; COMPUTE_PGM_RSRC3_GFX90A:TG_SPLIT: 0
	.section	.text._ZN7rocprim17ROCPRIM_400000_NS6detail17trampoline_kernelINS0_14default_configENS1_20scan_config_selectorIsEEZZNS1_9scan_implILNS1_25lookback_scan_determinismE0ELb0ELb1ES3_N6thrust23THRUST_200600_302600_NS6detail15normal_iteratorINS9_10device_ptrIsEEEESE_sNS9_10multipliesIsEEsEEDaPvRmT3_T4_T5_mT6_P12ihipStream_tbENKUlT_T0_E_clISt17integral_constantIbLb0EEST_IbLb1EEEEDaSP_SQ_EUlSP_E0_NS1_11comp_targetILNS1_3genE9ELNS1_11target_archE1100ELNS1_3gpuE3ELNS1_3repE0EEENS1_30default_config_static_selectorELNS0_4arch9wavefront6targetE1EEEvT1_,"axG",@progbits,_ZN7rocprim17ROCPRIM_400000_NS6detail17trampoline_kernelINS0_14default_configENS1_20scan_config_selectorIsEEZZNS1_9scan_implILNS1_25lookback_scan_determinismE0ELb0ELb1ES3_N6thrust23THRUST_200600_302600_NS6detail15normal_iteratorINS9_10device_ptrIsEEEESE_sNS9_10multipliesIsEEsEEDaPvRmT3_T4_T5_mT6_P12ihipStream_tbENKUlT_T0_E_clISt17integral_constantIbLb0EEST_IbLb1EEEEDaSP_SQ_EUlSP_E0_NS1_11comp_targetILNS1_3genE9ELNS1_11target_archE1100ELNS1_3gpuE3ELNS1_3repE0EEENS1_30default_config_static_selectorELNS0_4arch9wavefront6targetE1EEEvT1_,comdat
	.protected	_ZN7rocprim17ROCPRIM_400000_NS6detail17trampoline_kernelINS0_14default_configENS1_20scan_config_selectorIsEEZZNS1_9scan_implILNS1_25lookback_scan_determinismE0ELb0ELb1ES3_N6thrust23THRUST_200600_302600_NS6detail15normal_iteratorINS9_10device_ptrIsEEEESE_sNS9_10multipliesIsEEsEEDaPvRmT3_T4_T5_mT6_P12ihipStream_tbENKUlT_T0_E_clISt17integral_constantIbLb0EEST_IbLb1EEEEDaSP_SQ_EUlSP_E0_NS1_11comp_targetILNS1_3genE9ELNS1_11target_archE1100ELNS1_3gpuE3ELNS1_3repE0EEENS1_30default_config_static_selectorELNS0_4arch9wavefront6targetE1EEEvT1_ ; -- Begin function _ZN7rocprim17ROCPRIM_400000_NS6detail17trampoline_kernelINS0_14default_configENS1_20scan_config_selectorIsEEZZNS1_9scan_implILNS1_25lookback_scan_determinismE0ELb0ELb1ES3_N6thrust23THRUST_200600_302600_NS6detail15normal_iteratorINS9_10device_ptrIsEEEESE_sNS9_10multipliesIsEEsEEDaPvRmT3_T4_T5_mT6_P12ihipStream_tbENKUlT_T0_E_clISt17integral_constantIbLb0EEST_IbLb1EEEEDaSP_SQ_EUlSP_E0_NS1_11comp_targetILNS1_3genE9ELNS1_11target_archE1100ELNS1_3gpuE3ELNS1_3repE0EEENS1_30default_config_static_selectorELNS0_4arch9wavefront6targetE1EEEvT1_
	.globl	_ZN7rocprim17ROCPRIM_400000_NS6detail17trampoline_kernelINS0_14default_configENS1_20scan_config_selectorIsEEZZNS1_9scan_implILNS1_25lookback_scan_determinismE0ELb0ELb1ES3_N6thrust23THRUST_200600_302600_NS6detail15normal_iteratorINS9_10device_ptrIsEEEESE_sNS9_10multipliesIsEEsEEDaPvRmT3_T4_T5_mT6_P12ihipStream_tbENKUlT_T0_E_clISt17integral_constantIbLb0EEST_IbLb1EEEEDaSP_SQ_EUlSP_E0_NS1_11comp_targetILNS1_3genE9ELNS1_11target_archE1100ELNS1_3gpuE3ELNS1_3repE0EEENS1_30default_config_static_selectorELNS0_4arch9wavefront6targetE1EEEvT1_
	.p2align	8
	.type	_ZN7rocprim17ROCPRIM_400000_NS6detail17trampoline_kernelINS0_14default_configENS1_20scan_config_selectorIsEEZZNS1_9scan_implILNS1_25lookback_scan_determinismE0ELb0ELb1ES3_N6thrust23THRUST_200600_302600_NS6detail15normal_iteratorINS9_10device_ptrIsEEEESE_sNS9_10multipliesIsEEsEEDaPvRmT3_T4_T5_mT6_P12ihipStream_tbENKUlT_T0_E_clISt17integral_constantIbLb0EEST_IbLb1EEEEDaSP_SQ_EUlSP_E0_NS1_11comp_targetILNS1_3genE9ELNS1_11target_archE1100ELNS1_3gpuE3ELNS1_3repE0EEENS1_30default_config_static_selectorELNS0_4arch9wavefront6targetE1EEEvT1_,@function
_ZN7rocprim17ROCPRIM_400000_NS6detail17trampoline_kernelINS0_14default_configENS1_20scan_config_selectorIsEEZZNS1_9scan_implILNS1_25lookback_scan_determinismE0ELb0ELb1ES3_N6thrust23THRUST_200600_302600_NS6detail15normal_iteratorINS9_10device_ptrIsEEEESE_sNS9_10multipliesIsEEsEEDaPvRmT3_T4_T5_mT6_P12ihipStream_tbENKUlT_T0_E_clISt17integral_constantIbLb0EEST_IbLb1EEEEDaSP_SQ_EUlSP_E0_NS1_11comp_targetILNS1_3genE9ELNS1_11target_archE1100ELNS1_3gpuE3ELNS1_3repE0EEENS1_30default_config_static_selectorELNS0_4arch9wavefront6targetE1EEEvT1_: ; @_ZN7rocprim17ROCPRIM_400000_NS6detail17trampoline_kernelINS0_14default_configENS1_20scan_config_selectorIsEEZZNS1_9scan_implILNS1_25lookback_scan_determinismE0ELb0ELb1ES3_N6thrust23THRUST_200600_302600_NS6detail15normal_iteratorINS9_10device_ptrIsEEEESE_sNS9_10multipliesIsEEsEEDaPvRmT3_T4_T5_mT6_P12ihipStream_tbENKUlT_T0_E_clISt17integral_constantIbLb0EEST_IbLb1EEEEDaSP_SQ_EUlSP_E0_NS1_11comp_targetILNS1_3genE9ELNS1_11target_archE1100ELNS1_3gpuE3ELNS1_3repE0EEENS1_30default_config_static_selectorELNS0_4arch9wavefront6targetE1EEEvT1_
; %bb.0:
	.section	.rodata,"a",@progbits
	.p2align	6, 0x0
	.amdhsa_kernel _ZN7rocprim17ROCPRIM_400000_NS6detail17trampoline_kernelINS0_14default_configENS1_20scan_config_selectorIsEEZZNS1_9scan_implILNS1_25lookback_scan_determinismE0ELb0ELb1ES3_N6thrust23THRUST_200600_302600_NS6detail15normal_iteratorINS9_10device_ptrIsEEEESE_sNS9_10multipliesIsEEsEEDaPvRmT3_T4_T5_mT6_P12ihipStream_tbENKUlT_T0_E_clISt17integral_constantIbLb0EEST_IbLb1EEEEDaSP_SQ_EUlSP_E0_NS1_11comp_targetILNS1_3genE9ELNS1_11target_archE1100ELNS1_3gpuE3ELNS1_3repE0EEENS1_30default_config_static_selectorELNS0_4arch9wavefront6targetE1EEEvT1_
		.amdhsa_group_segment_fixed_size 0
		.amdhsa_private_segment_fixed_size 0
		.amdhsa_kernarg_size 32
		.amdhsa_user_sgpr_count 6
		.amdhsa_user_sgpr_private_segment_buffer 1
		.amdhsa_user_sgpr_dispatch_ptr 0
		.amdhsa_user_sgpr_queue_ptr 0
		.amdhsa_user_sgpr_kernarg_segment_ptr 1
		.amdhsa_user_sgpr_dispatch_id 0
		.amdhsa_user_sgpr_flat_scratch_init 0
		.amdhsa_user_sgpr_kernarg_preload_length 0
		.amdhsa_user_sgpr_kernarg_preload_offset 0
		.amdhsa_user_sgpr_private_segment_size 0
		.amdhsa_uses_dynamic_stack 0
		.amdhsa_system_sgpr_private_segment_wavefront_offset 0
		.amdhsa_system_sgpr_workgroup_id_x 1
		.amdhsa_system_sgpr_workgroup_id_y 0
		.amdhsa_system_sgpr_workgroup_id_z 0
		.amdhsa_system_sgpr_workgroup_info 0
		.amdhsa_system_vgpr_workitem_id 0
		.amdhsa_next_free_vgpr 1
		.amdhsa_next_free_sgpr 0
		.amdhsa_accum_offset 4
		.amdhsa_reserve_vcc 0
		.amdhsa_reserve_flat_scratch 0
		.amdhsa_float_round_mode_32 0
		.amdhsa_float_round_mode_16_64 0
		.amdhsa_float_denorm_mode_32 3
		.amdhsa_float_denorm_mode_16_64 3
		.amdhsa_dx10_clamp 1
		.amdhsa_ieee_mode 1
		.amdhsa_fp16_overflow 0
		.amdhsa_tg_split 0
		.amdhsa_exception_fp_ieee_invalid_op 0
		.amdhsa_exception_fp_denorm_src 0
		.amdhsa_exception_fp_ieee_div_zero 0
		.amdhsa_exception_fp_ieee_overflow 0
		.amdhsa_exception_fp_ieee_underflow 0
		.amdhsa_exception_fp_ieee_inexact 0
		.amdhsa_exception_int_div_zero 0
	.end_amdhsa_kernel
	.section	.text._ZN7rocprim17ROCPRIM_400000_NS6detail17trampoline_kernelINS0_14default_configENS1_20scan_config_selectorIsEEZZNS1_9scan_implILNS1_25lookback_scan_determinismE0ELb0ELb1ES3_N6thrust23THRUST_200600_302600_NS6detail15normal_iteratorINS9_10device_ptrIsEEEESE_sNS9_10multipliesIsEEsEEDaPvRmT3_T4_T5_mT6_P12ihipStream_tbENKUlT_T0_E_clISt17integral_constantIbLb0EEST_IbLb1EEEEDaSP_SQ_EUlSP_E0_NS1_11comp_targetILNS1_3genE9ELNS1_11target_archE1100ELNS1_3gpuE3ELNS1_3repE0EEENS1_30default_config_static_selectorELNS0_4arch9wavefront6targetE1EEEvT1_,"axG",@progbits,_ZN7rocprim17ROCPRIM_400000_NS6detail17trampoline_kernelINS0_14default_configENS1_20scan_config_selectorIsEEZZNS1_9scan_implILNS1_25lookback_scan_determinismE0ELb0ELb1ES3_N6thrust23THRUST_200600_302600_NS6detail15normal_iteratorINS9_10device_ptrIsEEEESE_sNS9_10multipliesIsEEsEEDaPvRmT3_T4_T5_mT6_P12ihipStream_tbENKUlT_T0_E_clISt17integral_constantIbLb0EEST_IbLb1EEEEDaSP_SQ_EUlSP_E0_NS1_11comp_targetILNS1_3genE9ELNS1_11target_archE1100ELNS1_3gpuE3ELNS1_3repE0EEENS1_30default_config_static_selectorELNS0_4arch9wavefront6targetE1EEEvT1_,comdat
.Lfunc_end1193:
	.size	_ZN7rocprim17ROCPRIM_400000_NS6detail17trampoline_kernelINS0_14default_configENS1_20scan_config_selectorIsEEZZNS1_9scan_implILNS1_25lookback_scan_determinismE0ELb0ELb1ES3_N6thrust23THRUST_200600_302600_NS6detail15normal_iteratorINS9_10device_ptrIsEEEESE_sNS9_10multipliesIsEEsEEDaPvRmT3_T4_T5_mT6_P12ihipStream_tbENKUlT_T0_E_clISt17integral_constantIbLb0EEST_IbLb1EEEEDaSP_SQ_EUlSP_E0_NS1_11comp_targetILNS1_3genE9ELNS1_11target_archE1100ELNS1_3gpuE3ELNS1_3repE0EEENS1_30default_config_static_selectorELNS0_4arch9wavefront6targetE1EEEvT1_, .Lfunc_end1193-_ZN7rocprim17ROCPRIM_400000_NS6detail17trampoline_kernelINS0_14default_configENS1_20scan_config_selectorIsEEZZNS1_9scan_implILNS1_25lookback_scan_determinismE0ELb0ELb1ES3_N6thrust23THRUST_200600_302600_NS6detail15normal_iteratorINS9_10device_ptrIsEEEESE_sNS9_10multipliesIsEEsEEDaPvRmT3_T4_T5_mT6_P12ihipStream_tbENKUlT_T0_E_clISt17integral_constantIbLb0EEST_IbLb1EEEEDaSP_SQ_EUlSP_E0_NS1_11comp_targetILNS1_3genE9ELNS1_11target_archE1100ELNS1_3gpuE3ELNS1_3repE0EEENS1_30default_config_static_selectorELNS0_4arch9wavefront6targetE1EEEvT1_
                                        ; -- End function
	.section	.AMDGPU.csdata,"",@progbits
; Kernel info:
; codeLenInByte = 0
; NumSgprs: 4
; NumVgprs: 0
; NumAgprs: 0
; TotalNumVgprs: 0
; ScratchSize: 0
; MemoryBound: 0
; FloatMode: 240
; IeeeMode: 1
; LDSByteSize: 0 bytes/workgroup (compile time only)
; SGPRBlocks: 0
; VGPRBlocks: 0
; NumSGPRsForWavesPerEU: 4
; NumVGPRsForWavesPerEU: 1
; AccumOffset: 4
; Occupancy: 8
; WaveLimiterHint : 0
; COMPUTE_PGM_RSRC2:SCRATCH_EN: 0
; COMPUTE_PGM_RSRC2:USER_SGPR: 6
; COMPUTE_PGM_RSRC2:TRAP_HANDLER: 0
; COMPUTE_PGM_RSRC2:TGID_X_EN: 1
; COMPUTE_PGM_RSRC2:TGID_Y_EN: 0
; COMPUTE_PGM_RSRC2:TGID_Z_EN: 0
; COMPUTE_PGM_RSRC2:TIDIG_COMP_CNT: 0
; COMPUTE_PGM_RSRC3_GFX90A:ACCUM_OFFSET: 0
; COMPUTE_PGM_RSRC3_GFX90A:TG_SPLIT: 0
	.section	.text._ZN7rocprim17ROCPRIM_400000_NS6detail17trampoline_kernelINS0_14default_configENS1_20scan_config_selectorIsEEZZNS1_9scan_implILNS1_25lookback_scan_determinismE0ELb0ELb1ES3_N6thrust23THRUST_200600_302600_NS6detail15normal_iteratorINS9_10device_ptrIsEEEESE_sNS9_10multipliesIsEEsEEDaPvRmT3_T4_T5_mT6_P12ihipStream_tbENKUlT_T0_E_clISt17integral_constantIbLb0EEST_IbLb1EEEEDaSP_SQ_EUlSP_E0_NS1_11comp_targetILNS1_3genE8ELNS1_11target_archE1030ELNS1_3gpuE2ELNS1_3repE0EEENS1_30default_config_static_selectorELNS0_4arch9wavefront6targetE1EEEvT1_,"axG",@progbits,_ZN7rocprim17ROCPRIM_400000_NS6detail17trampoline_kernelINS0_14default_configENS1_20scan_config_selectorIsEEZZNS1_9scan_implILNS1_25lookback_scan_determinismE0ELb0ELb1ES3_N6thrust23THRUST_200600_302600_NS6detail15normal_iteratorINS9_10device_ptrIsEEEESE_sNS9_10multipliesIsEEsEEDaPvRmT3_T4_T5_mT6_P12ihipStream_tbENKUlT_T0_E_clISt17integral_constantIbLb0EEST_IbLb1EEEEDaSP_SQ_EUlSP_E0_NS1_11comp_targetILNS1_3genE8ELNS1_11target_archE1030ELNS1_3gpuE2ELNS1_3repE0EEENS1_30default_config_static_selectorELNS0_4arch9wavefront6targetE1EEEvT1_,comdat
	.protected	_ZN7rocprim17ROCPRIM_400000_NS6detail17trampoline_kernelINS0_14default_configENS1_20scan_config_selectorIsEEZZNS1_9scan_implILNS1_25lookback_scan_determinismE0ELb0ELb1ES3_N6thrust23THRUST_200600_302600_NS6detail15normal_iteratorINS9_10device_ptrIsEEEESE_sNS9_10multipliesIsEEsEEDaPvRmT3_T4_T5_mT6_P12ihipStream_tbENKUlT_T0_E_clISt17integral_constantIbLb0EEST_IbLb1EEEEDaSP_SQ_EUlSP_E0_NS1_11comp_targetILNS1_3genE8ELNS1_11target_archE1030ELNS1_3gpuE2ELNS1_3repE0EEENS1_30default_config_static_selectorELNS0_4arch9wavefront6targetE1EEEvT1_ ; -- Begin function _ZN7rocprim17ROCPRIM_400000_NS6detail17trampoline_kernelINS0_14default_configENS1_20scan_config_selectorIsEEZZNS1_9scan_implILNS1_25lookback_scan_determinismE0ELb0ELb1ES3_N6thrust23THRUST_200600_302600_NS6detail15normal_iteratorINS9_10device_ptrIsEEEESE_sNS9_10multipliesIsEEsEEDaPvRmT3_T4_T5_mT6_P12ihipStream_tbENKUlT_T0_E_clISt17integral_constantIbLb0EEST_IbLb1EEEEDaSP_SQ_EUlSP_E0_NS1_11comp_targetILNS1_3genE8ELNS1_11target_archE1030ELNS1_3gpuE2ELNS1_3repE0EEENS1_30default_config_static_selectorELNS0_4arch9wavefront6targetE1EEEvT1_
	.globl	_ZN7rocprim17ROCPRIM_400000_NS6detail17trampoline_kernelINS0_14default_configENS1_20scan_config_selectorIsEEZZNS1_9scan_implILNS1_25lookback_scan_determinismE0ELb0ELb1ES3_N6thrust23THRUST_200600_302600_NS6detail15normal_iteratorINS9_10device_ptrIsEEEESE_sNS9_10multipliesIsEEsEEDaPvRmT3_T4_T5_mT6_P12ihipStream_tbENKUlT_T0_E_clISt17integral_constantIbLb0EEST_IbLb1EEEEDaSP_SQ_EUlSP_E0_NS1_11comp_targetILNS1_3genE8ELNS1_11target_archE1030ELNS1_3gpuE2ELNS1_3repE0EEENS1_30default_config_static_selectorELNS0_4arch9wavefront6targetE1EEEvT1_
	.p2align	8
	.type	_ZN7rocprim17ROCPRIM_400000_NS6detail17trampoline_kernelINS0_14default_configENS1_20scan_config_selectorIsEEZZNS1_9scan_implILNS1_25lookback_scan_determinismE0ELb0ELb1ES3_N6thrust23THRUST_200600_302600_NS6detail15normal_iteratorINS9_10device_ptrIsEEEESE_sNS9_10multipliesIsEEsEEDaPvRmT3_T4_T5_mT6_P12ihipStream_tbENKUlT_T0_E_clISt17integral_constantIbLb0EEST_IbLb1EEEEDaSP_SQ_EUlSP_E0_NS1_11comp_targetILNS1_3genE8ELNS1_11target_archE1030ELNS1_3gpuE2ELNS1_3repE0EEENS1_30default_config_static_selectorELNS0_4arch9wavefront6targetE1EEEvT1_,@function
_ZN7rocprim17ROCPRIM_400000_NS6detail17trampoline_kernelINS0_14default_configENS1_20scan_config_selectorIsEEZZNS1_9scan_implILNS1_25lookback_scan_determinismE0ELb0ELb1ES3_N6thrust23THRUST_200600_302600_NS6detail15normal_iteratorINS9_10device_ptrIsEEEESE_sNS9_10multipliesIsEEsEEDaPvRmT3_T4_T5_mT6_P12ihipStream_tbENKUlT_T0_E_clISt17integral_constantIbLb0EEST_IbLb1EEEEDaSP_SQ_EUlSP_E0_NS1_11comp_targetILNS1_3genE8ELNS1_11target_archE1030ELNS1_3gpuE2ELNS1_3repE0EEENS1_30default_config_static_selectorELNS0_4arch9wavefront6targetE1EEEvT1_: ; @_ZN7rocprim17ROCPRIM_400000_NS6detail17trampoline_kernelINS0_14default_configENS1_20scan_config_selectorIsEEZZNS1_9scan_implILNS1_25lookback_scan_determinismE0ELb0ELb1ES3_N6thrust23THRUST_200600_302600_NS6detail15normal_iteratorINS9_10device_ptrIsEEEESE_sNS9_10multipliesIsEEsEEDaPvRmT3_T4_T5_mT6_P12ihipStream_tbENKUlT_T0_E_clISt17integral_constantIbLb0EEST_IbLb1EEEEDaSP_SQ_EUlSP_E0_NS1_11comp_targetILNS1_3genE8ELNS1_11target_archE1030ELNS1_3gpuE2ELNS1_3repE0EEENS1_30default_config_static_selectorELNS0_4arch9wavefront6targetE1EEEvT1_
; %bb.0:
	.section	.rodata,"a",@progbits
	.p2align	6, 0x0
	.amdhsa_kernel _ZN7rocprim17ROCPRIM_400000_NS6detail17trampoline_kernelINS0_14default_configENS1_20scan_config_selectorIsEEZZNS1_9scan_implILNS1_25lookback_scan_determinismE0ELb0ELb1ES3_N6thrust23THRUST_200600_302600_NS6detail15normal_iteratorINS9_10device_ptrIsEEEESE_sNS9_10multipliesIsEEsEEDaPvRmT3_T4_T5_mT6_P12ihipStream_tbENKUlT_T0_E_clISt17integral_constantIbLb0EEST_IbLb1EEEEDaSP_SQ_EUlSP_E0_NS1_11comp_targetILNS1_3genE8ELNS1_11target_archE1030ELNS1_3gpuE2ELNS1_3repE0EEENS1_30default_config_static_selectorELNS0_4arch9wavefront6targetE1EEEvT1_
		.amdhsa_group_segment_fixed_size 0
		.amdhsa_private_segment_fixed_size 0
		.amdhsa_kernarg_size 32
		.amdhsa_user_sgpr_count 6
		.amdhsa_user_sgpr_private_segment_buffer 1
		.amdhsa_user_sgpr_dispatch_ptr 0
		.amdhsa_user_sgpr_queue_ptr 0
		.amdhsa_user_sgpr_kernarg_segment_ptr 1
		.amdhsa_user_sgpr_dispatch_id 0
		.amdhsa_user_sgpr_flat_scratch_init 0
		.amdhsa_user_sgpr_kernarg_preload_length 0
		.amdhsa_user_sgpr_kernarg_preload_offset 0
		.amdhsa_user_sgpr_private_segment_size 0
		.amdhsa_uses_dynamic_stack 0
		.amdhsa_system_sgpr_private_segment_wavefront_offset 0
		.amdhsa_system_sgpr_workgroup_id_x 1
		.amdhsa_system_sgpr_workgroup_id_y 0
		.amdhsa_system_sgpr_workgroup_id_z 0
		.amdhsa_system_sgpr_workgroup_info 0
		.amdhsa_system_vgpr_workitem_id 0
		.amdhsa_next_free_vgpr 1
		.amdhsa_next_free_sgpr 0
		.amdhsa_accum_offset 4
		.amdhsa_reserve_vcc 0
		.amdhsa_reserve_flat_scratch 0
		.amdhsa_float_round_mode_32 0
		.amdhsa_float_round_mode_16_64 0
		.amdhsa_float_denorm_mode_32 3
		.amdhsa_float_denorm_mode_16_64 3
		.amdhsa_dx10_clamp 1
		.amdhsa_ieee_mode 1
		.amdhsa_fp16_overflow 0
		.amdhsa_tg_split 0
		.amdhsa_exception_fp_ieee_invalid_op 0
		.amdhsa_exception_fp_denorm_src 0
		.amdhsa_exception_fp_ieee_div_zero 0
		.amdhsa_exception_fp_ieee_overflow 0
		.amdhsa_exception_fp_ieee_underflow 0
		.amdhsa_exception_fp_ieee_inexact 0
		.amdhsa_exception_int_div_zero 0
	.end_amdhsa_kernel
	.section	.text._ZN7rocprim17ROCPRIM_400000_NS6detail17trampoline_kernelINS0_14default_configENS1_20scan_config_selectorIsEEZZNS1_9scan_implILNS1_25lookback_scan_determinismE0ELb0ELb1ES3_N6thrust23THRUST_200600_302600_NS6detail15normal_iteratorINS9_10device_ptrIsEEEESE_sNS9_10multipliesIsEEsEEDaPvRmT3_T4_T5_mT6_P12ihipStream_tbENKUlT_T0_E_clISt17integral_constantIbLb0EEST_IbLb1EEEEDaSP_SQ_EUlSP_E0_NS1_11comp_targetILNS1_3genE8ELNS1_11target_archE1030ELNS1_3gpuE2ELNS1_3repE0EEENS1_30default_config_static_selectorELNS0_4arch9wavefront6targetE1EEEvT1_,"axG",@progbits,_ZN7rocprim17ROCPRIM_400000_NS6detail17trampoline_kernelINS0_14default_configENS1_20scan_config_selectorIsEEZZNS1_9scan_implILNS1_25lookback_scan_determinismE0ELb0ELb1ES3_N6thrust23THRUST_200600_302600_NS6detail15normal_iteratorINS9_10device_ptrIsEEEESE_sNS9_10multipliesIsEEsEEDaPvRmT3_T4_T5_mT6_P12ihipStream_tbENKUlT_T0_E_clISt17integral_constantIbLb0EEST_IbLb1EEEEDaSP_SQ_EUlSP_E0_NS1_11comp_targetILNS1_3genE8ELNS1_11target_archE1030ELNS1_3gpuE2ELNS1_3repE0EEENS1_30default_config_static_selectorELNS0_4arch9wavefront6targetE1EEEvT1_,comdat
.Lfunc_end1194:
	.size	_ZN7rocprim17ROCPRIM_400000_NS6detail17trampoline_kernelINS0_14default_configENS1_20scan_config_selectorIsEEZZNS1_9scan_implILNS1_25lookback_scan_determinismE0ELb0ELb1ES3_N6thrust23THRUST_200600_302600_NS6detail15normal_iteratorINS9_10device_ptrIsEEEESE_sNS9_10multipliesIsEEsEEDaPvRmT3_T4_T5_mT6_P12ihipStream_tbENKUlT_T0_E_clISt17integral_constantIbLb0EEST_IbLb1EEEEDaSP_SQ_EUlSP_E0_NS1_11comp_targetILNS1_3genE8ELNS1_11target_archE1030ELNS1_3gpuE2ELNS1_3repE0EEENS1_30default_config_static_selectorELNS0_4arch9wavefront6targetE1EEEvT1_, .Lfunc_end1194-_ZN7rocprim17ROCPRIM_400000_NS6detail17trampoline_kernelINS0_14default_configENS1_20scan_config_selectorIsEEZZNS1_9scan_implILNS1_25lookback_scan_determinismE0ELb0ELb1ES3_N6thrust23THRUST_200600_302600_NS6detail15normal_iteratorINS9_10device_ptrIsEEEESE_sNS9_10multipliesIsEEsEEDaPvRmT3_T4_T5_mT6_P12ihipStream_tbENKUlT_T0_E_clISt17integral_constantIbLb0EEST_IbLb1EEEEDaSP_SQ_EUlSP_E0_NS1_11comp_targetILNS1_3genE8ELNS1_11target_archE1030ELNS1_3gpuE2ELNS1_3repE0EEENS1_30default_config_static_selectorELNS0_4arch9wavefront6targetE1EEEvT1_
                                        ; -- End function
	.section	.AMDGPU.csdata,"",@progbits
; Kernel info:
; codeLenInByte = 0
; NumSgprs: 4
; NumVgprs: 0
; NumAgprs: 0
; TotalNumVgprs: 0
; ScratchSize: 0
; MemoryBound: 0
; FloatMode: 240
; IeeeMode: 1
; LDSByteSize: 0 bytes/workgroup (compile time only)
; SGPRBlocks: 0
; VGPRBlocks: 0
; NumSGPRsForWavesPerEU: 4
; NumVGPRsForWavesPerEU: 1
; AccumOffset: 4
; Occupancy: 8
; WaveLimiterHint : 0
; COMPUTE_PGM_RSRC2:SCRATCH_EN: 0
; COMPUTE_PGM_RSRC2:USER_SGPR: 6
; COMPUTE_PGM_RSRC2:TRAP_HANDLER: 0
; COMPUTE_PGM_RSRC2:TGID_X_EN: 1
; COMPUTE_PGM_RSRC2:TGID_Y_EN: 0
; COMPUTE_PGM_RSRC2:TGID_Z_EN: 0
; COMPUTE_PGM_RSRC2:TIDIG_COMP_CNT: 0
; COMPUTE_PGM_RSRC3_GFX90A:ACCUM_OFFSET: 0
; COMPUTE_PGM_RSRC3_GFX90A:TG_SPLIT: 0
	.section	.text._ZN7rocprim17ROCPRIM_400000_NS6detail17trampoline_kernelINS0_14default_configENS1_20scan_config_selectorIsEEZZNS1_9scan_implILNS1_25lookback_scan_determinismE0ELb1ELb1ES3_N6thrust23THRUST_200600_302600_NS6detail15normal_iteratorINS9_10device_ptrIsEEEESE_sNS9_4plusIsEEsEEDaPvRmT3_T4_T5_mT6_P12ihipStream_tbENKUlT_T0_E_clISt17integral_constantIbLb0EESU_EEDaSP_SQ_EUlSP_E_NS1_11comp_targetILNS1_3genE0ELNS1_11target_archE4294967295ELNS1_3gpuE0ELNS1_3repE0EEENS1_30default_config_static_selectorELNS0_4arch9wavefront6targetE1EEEvT1_,"axG",@progbits,_ZN7rocprim17ROCPRIM_400000_NS6detail17trampoline_kernelINS0_14default_configENS1_20scan_config_selectorIsEEZZNS1_9scan_implILNS1_25lookback_scan_determinismE0ELb1ELb1ES3_N6thrust23THRUST_200600_302600_NS6detail15normal_iteratorINS9_10device_ptrIsEEEESE_sNS9_4plusIsEEsEEDaPvRmT3_T4_T5_mT6_P12ihipStream_tbENKUlT_T0_E_clISt17integral_constantIbLb0EESU_EEDaSP_SQ_EUlSP_E_NS1_11comp_targetILNS1_3genE0ELNS1_11target_archE4294967295ELNS1_3gpuE0ELNS1_3repE0EEENS1_30default_config_static_selectorELNS0_4arch9wavefront6targetE1EEEvT1_,comdat
	.protected	_ZN7rocprim17ROCPRIM_400000_NS6detail17trampoline_kernelINS0_14default_configENS1_20scan_config_selectorIsEEZZNS1_9scan_implILNS1_25lookback_scan_determinismE0ELb1ELb1ES3_N6thrust23THRUST_200600_302600_NS6detail15normal_iteratorINS9_10device_ptrIsEEEESE_sNS9_4plusIsEEsEEDaPvRmT3_T4_T5_mT6_P12ihipStream_tbENKUlT_T0_E_clISt17integral_constantIbLb0EESU_EEDaSP_SQ_EUlSP_E_NS1_11comp_targetILNS1_3genE0ELNS1_11target_archE4294967295ELNS1_3gpuE0ELNS1_3repE0EEENS1_30default_config_static_selectorELNS0_4arch9wavefront6targetE1EEEvT1_ ; -- Begin function _ZN7rocprim17ROCPRIM_400000_NS6detail17trampoline_kernelINS0_14default_configENS1_20scan_config_selectorIsEEZZNS1_9scan_implILNS1_25lookback_scan_determinismE0ELb1ELb1ES3_N6thrust23THRUST_200600_302600_NS6detail15normal_iteratorINS9_10device_ptrIsEEEESE_sNS9_4plusIsEEsEEDaPvRmT3_T4_T5_mT6_P12ihipStream_tbENKUlT_T0_E_clISt17integral_constantIbLb0EESU_EEDaSP_SQ_EUlSP_E_NS1_11comp_targetILNS1_3genE0ELNS1_11target_archE4294967295ELNS1_3gpuE0ELNS1_3repE0EEENS1_30default_config_static_selectorELNS0_4arch9wavefront6targetE1EEEvT1_
	.globl	_ZN7rocprim17ROCPRIM_400000_NS6detail17trampoline_kernelINS0_14default_configENS1_20scan_config_selectorIsEEZZNS1_9scan_implILNS1_25lookback_scan_determinismE0ELb1ELb1ES3_N6thrust23THRUST_200600_302600_NS6detail15normal_iteratorINS9_10device_ptrIsEEEESE_sNS9_4plusIsEEsEEDaPvRmT3_T4_T5_mT6_P12ihipStream_tbENKUlT_T0_E_clISt17integral_constantIbLb0EESU_EEDaSP_SQ_EUlSP_E_NS1_11comp_targetILNS1_3genE0ELNS1_11target_archE4294967295ELNS1_3gpuE0ELNS1_3repE0EEENS1_30default_config_static_selectorELNS0_4arch9wavefront6targetE1EEEvT1_
	.p2align	8
	.type	_ZN7rocprim17ROCPRIM_400000_NS6detail17trampoline_kernelINS0_14default_configENS1_20scan_config_selectorIsEEZZNS1_9scan_implILNS1_25lookback_scan_determinismE0ELb1ELb1ES3_N6thrust23THRUST_200600_302600_NS6detail15normal_iteratorINS9_10device_ptrIsEEEESE_sNS9_4plusIsEEsEEDaPvRmT3_T4_T5_mT6_P12ihipStream_tbENKUlT_T0_E_clISt17integral_constantIbLb0EESU_EEDaSP_SQ_EUlSP_E_NS1_11comp_targetILNS1_3genE0ELNS1_11target_archE4294967295ELNS1_3gpuE0ELNS1_3repE0EEENS1_30default_config_static_selectorELNS0_4arch9wavefront6targetE1EEEvT1_,@function
_ZN7rocprim17ROCPRIM_400000_NS6detail17trampoline_kernelINS0_14default_configENS1_20scan_config_selectorIsEEZZNS1_9scan_implILNS1_25lookback_scan_determinismE0ELb1ELb1ES3_N6thrust23THRUST_200600_302600_NS6detail15normal_iteratorINS9_10device_ptrIsEEEESE_sNS9_4plusIsEEsEEDaPvRmT3_T4_T5_mT6_P12ihipStream_tbENKUlT_T0_E_clISt17integral_constantIbLb0EESU_EEDaSP_SQ_EUlSP_E_NS1_11comp_targetILNS1_3genE0ELNS1_11target_archE4294967295ELNS1_3gpuE0ELNS1_3repE0EEENS1_30default_config_static_selectorELNS0_4arch9wavefront6targetE1EEEvT1_: ; @_ZN7rocprim17ROCPRIM_400000_NS6detail17trampoline_kernelINS0_14default_configENS1_20scan_config_selectorIsEEZZNS1_9scan_implILNS1_25lookback_scan_determinismE0ELb1ELb1ES3_N6thrust23THRUST_200600_302600_NS6detail15normal_iteratorINS9_10device_ptrIsEEEESE_sNS9_4plusIsEEsEEDaPvRmT3_T4_T5_mT6_P12ihipStream_tbENKUlT_T0_E_clISt17integral_constantIbLb0EESU_EEDaSP_SQ_EUlSP_E_NS1_11comp_targetILNS1_3genE0ELNS1_11target_archE4294967295ELNS1_3gpuE0ELNS1_3repE0EEENS1_30default_config_static_selectorELNS0_4arch9wavefront6targetE1EEEvT1_
; %bb.0:
	.section	.rodata,"a",@progbits
	.p2align	6, 0x0
	.amdhsa_kernel _ZN7rocprim17ROCPRIM_400000_NS6detail17trampoline_kernelINS0_14default_configENS1_20scan_config_selectorIsEEZZNS1_9scan_implILNS1_25lookback_scan_determinismE0ELb1ELb1ES3_N6thrust23THRUST_200600_302600_NS6detail15normal_iteratorINS9_10device_ptrIsEEEESE_sNS9_4plusIsEEsEEDaPvRmT3_T4_T5_mT6_P12ihipStream_tbENKUlT_T0_E_clISt17integral_constantIbLb0EESU_EEDaSP_SQ_EUlSP_E_NS1_11comp_targetILNS1_3genE0ELNS1_11target_archE4294967295ELNS1_3gpuE0ELNS1_3repE0EEENS1_30default_config_static_selectorELNS0_4arch9wavefront6targetE1EEEvT1_
		.amdhsa_group_segment_fixed_size 0
		.amdhsa_private_segment_fixed_size 0
		.amdhsa_kernarg_size 96
		.amdhsa_user_sgpr_count 6
		.amdhsa_user_sgpr_private_segment_buffer 1
		.amdhsa_user_sgpr_dispatch_ptr 0
		.amdhsa_user_sgpr_queue_ptr 0
		.amdhsa_user_sgpr_kernarg_segment_ptr 1
		.amdhsa_user_sgpr_dispatch_id 0
		.amdhsa_user_sgpr_flat_scratch_init 0
		.amdhsa_user_sgpr_kernarg_preload_length 0
		.amdhsa_user_sgpr_kernarg_preload_offset 0
		.amdhsa_user_sgpr_private_segment_size 0
		.amdhsa_uses_dynamic_stack 0
		.amdhsa_system_sgpr_private_segment_wavefront_offset 0
		.amdhsa_system_sgpr_workgroup_id_x 1
		.amdhsa_system_sgpr_workgroup_id_y 0
		.amdhsa_system_sgpr_workgroup_id_z 0
		.amdhsa_system_sgpr_workgroup_info 0
		.amdhsa_system_vgpr_workitem_id 0
		.amdhsa_next_free_vgpr 1
		.amdhsa_next_free_sgpr 0
		.amdhsa_accum_offset 4
		.amdhsa_reserve_vcc 0
		.amdhsa_reserve_flat_scratch 0
		.amdhsa_float_round_mode_32 0
		.amdhsa_float_round_mode_16_64 0
		.amdhsa_float_denorm_mode_32 3
		.amdhsa_float_denorm_mode_16_64 3
		.amdhsa_dx10_clamp 1
		.amdhsa_ieee_mode 1
		.amdhsa_fp16_overflow 0
		.amdhsa_tg_split 0
		.amdhsa_exception_fp_ieee_invalid_op 0
		.amdhsa_exception_fp_denorm_src 0
		.amdhsa_exception_fp_ieee_div_zero 0
		.amdhsa_exception_fp_ieee_overflow 0
		.amdhsa_exception_fp_ieee_underflow 0
		.amdhsa_exception_fp_ieee_inexact 0
		.amdhsa_exception_int_div_zero 0
	.end_amdhsa_kernel
	.section	.text._ZN7rocprim17ROCPRIM_400000_NS6detail17trampoline_kernelINS0_14default_configENS1_20scan_config_selectorIsEEZZNS1_9scan_implILNS1_25lookback_scan_determinismE0ELb1ELb1ES3_N6thrust23THRUST_200600_302600_NS6detail15normal_iteratorINS9_10device_ptrIsEEEESE_sNS9_4plusIsEEsEEDaPvRmT3_T4_T5_mT6_P12ihipStream_tbENKUlT_T0_E_clISt17integral_constantIbLb0EESU_EEDaSP_SQ_EUlSP_E_NS1_11comp_targetILNS1_3genE0ELNS1_11target_archE4294967295ELNS1_3gpuE0ELNS1_3repE0EEENS1_30default_config_static_selectorELNS0_4arch9wavefront6targetE1EEEvT1_,"axG",@progbits,_ZN7rocprim17ROCPRIM_400000_NS6detail17trampoline_kernelINS0_14default_configENS1_20scan_config_selectorIsEEZZNS1_9scan_implILNS1_25lookback_scan_determinismE0ELb1ELb1ES3_N6thrust23THRUST_200600_302600_NS6detail15normal_iteratorINS9_10device_ptrIsEEEESE_sNS9_4plusIsEEsEEDaPvRmT3_T4_T5_mT6_P12ihipStream_tbENKUlT_T0_E_clISt17integral_constantIbLb0EESU_EEDaSP_SQ_EUlSP_E_NS1_11comp_targetILNS1_3genE0ELNS1_11target_archE4294967295ELNS1_3gpuE0ELNS1_3repE0EEENS1_30default_config_static_selectorELNS0_4arch9wavefront6targetE1EEEvT1_,comdat
.Lfunc_end1195:
	.size	_ZN7rocprim17ROCPRIM_400000_NS6detail17trampoline_kernelINS0_14default_configENS1_20scan_config_selectorIsEEZZNS1_9scan_implILNS1_25lookback_scan_determinismE0ELb1ELb1ES3_N6thrust23THRUST_200600_302600_NS6detail15normal_iteratorINS9_10device_ptrIsEEEESE_sNS9_4plusIsEEsEEDaPvRmT3_T4_T5_mT6_P12ihipStream_tbENKUlT_T0_E_clISt17integral_constantIbLb0EESU_EEDaSP_SQ_EUlSP_E_NS1_11comp_targetILNS1_3genE0ELNS1_11target_archE4294967295ELNS1_3gpuE0ELNS1_3repE0EEENS1_30default_config_static_selectorELNS0_4arch9wavefront6targetE1EEEvT1_, .Lfunc_end1195-_ZN7rocprim17ROCPRIM_400000_NS6detail17trampoline_kernelINS0_14default_configENS1_20scan_config_selectorIsEEZZNS1_9scan_implILNS1_25lookback_scan_determinismE0ELb1ELb1ES3_N6thrust23THRUST_200600_302600_NS6detail15normal_iteratorINS9_10device_ptrIsEEEESE_sNS9_4plusIsEEsEEDaPvRmT3_T4_T5_mT6_P12ihipStream_tbENKUlT_T0_E_clISt17integral_constantIbLb0EESU_EEDaSP_SQ_EUlSP_E_NS1_11comp_targetILNS1_3genE0ELNS1_11target_archE4294967295ELNS1_3gpuE0ELNS1_3repE0EEENS1_30default_config_static_selectorELNS0_4arch9wavefront6targetE1EEEvT1_
                                        ; -- End function
	.section	.AMDGPU.csdata,"",@progbits
; Kernel info:
; codeLenInByte = 0
; NumSgprs: 4
; NumVgprs: 0
; NumAgprs: 0
; TotalNumVgprs: 0
; ScratchSize: 0
; MemoryBound: 0
; FloatMode: 240
; IeeeMode: 1
; LDSByteSize: 0 bytes/workgroup (compile time only)
; SGPRBlocks: 0
; VGPRBlocks: 0
; NumSGPRsForWavesPerEU: 4
; NumVGPRsForWavesPerEU: 1
; AccumOffset: 4
; Occupancy: 8
; WaveLimiterHint : 0
; COMPUTE_PGM_RSRC2:SCRATCH_EN: 0
; COMPUTE_PGM_RSRC2:USER_SGPR: 6
; COMPUTE_PGM_RSRC2:TRAP_HANDLER: 0
; COMPUTE_PGM_RSRC2:TGID_X_EN: 1
; COMPUTE_PGM_RSRC2:TGID_Y_EN: 0
; COMPUTE_PGM_RSRC2:TGID_Z_EN: 0
; COMPUTE_PGM_RSRC2:TIDIG_COMP_CNT: 0
; COMPUTE_PGM_RSRC3_GFX90A:ACCUM_OFFSET: 0
; COMPUTE_PGM_RSRC3_GFX90A:TG_SPLIT: 0
	.section	.text._ZN7rocprim17ROCPRIM_400000_NS6detail17trampoline_kernelINS0_14default_configENS1_20scan_config_selectorIsEEZZNS1_9scan_implILNS1_25lookback_scan_determinismE0ELb1ELb1ES3_N6thrust23THRUST_200600_302600_NS6detail15normal_iteratorINS9_10device_ptrIsEEEESE_sNS9_4plusIsEEsEEDaPvRmT3_T4_T5_mT6_P12ihipStream_tbENKUlT_T0_E_clISt17integral_constantIbLb0EESU_EEDaSP_SQ_EUlSP_E_NS1_11comp_targetILNS1_3genE5ELNS1_11target_archE942ELNS1_3gpuE9ELNS1_3repE0EEENS1_30default_config_static_selectorELNS0_4arch9wavefront6targetE1EEEvT1_,"axG",@progbits,_ZN7rocprim17ROCPRIM_400000_NS6detail17trampoline_kernelINS0_14default_configENS1_20scan_config_selectorIsEEZZNS1_9scan_implILNS1_25lookback_scan_determinismE0ELb1ELb1ES3_N6thrust23THRUST_200600_302600_NS6detail15normal_iteratorINS9_10device_ptrIsEEEESE_sNS9_4plusIsEEsEEDaPvRmT3_T4_T5_mT6_P12ihipStream_tbENKUlT_T0_E_clISt17integral_constantIbLb0EESU_EEDaSP_SQ_EUlSP_E_NS1_11comp_targetILNS1_3genE5ELNS1_11target_archE942ELNS1_3gpuE9ELNS1_3repE0EEENS1_30default_config_static_selectorELNS0_4arch9wavefront6targetE1EEEvT1_,comdat
	.protected	_ZN7rocprim17ROCPRIM_400000_NS6detail17trampoline_kernelINS0_14default_configENS1_20scan_config_selectorIsEEZZNS1_9scan_implILNS1_25lookback_scan_determinismE0ELb1ELb1ES3_N6thrust23THRUST_200600_302600_NS6detail15normal_iteratorINS9_10device_ptrIsEEEESE_sNS9_4plusIsEEsEEDaPvRmT3_T4_T5_mT6_P12ihipStream_tbENKUlT_T0_E_clISt17integral_constantIbLb0EESU_EEDaSP_SQ_EUlSP_E_NS1_11comp_targetILNS1_3genE5ELNS1_11target_archE942ELNS1_3gpuE9ELNS1_3repE0EEENS1_30default_config_static_selectorELNS0_4arch9wavefront6targetE1EEEvT1_ ; -- Begin function _ZN7rocprim17ROCPRIM_400000_NS6detail17trampoline_kernelINS0_14default_configENS1_20scan_config_selectorIsEEZZNS1_9scan_implILNS1_25lookback_scan_determinismE0ELb1ELb1ES3_N6thrust23THRUST_200600_302600_NS6detail15normal_iteratorINS9_10device_ptrIsEEEESE_sNS9_4plusIsEEsEEDaPvRmT3_T4_T5_mT6_P12ihipStream_tbENKUlT_T0_E_clISt17integral_constantIbLb0EESU_EEDaSP_SQ_EUlSP_E_NS1_11comp_targetILNS1_3genE5ELNS1_11target_archE942ELNS1_3gpuE9ELNS1_3repE0EEENS1_30default_config_static_selectorELNS0_4arch9wavefront6targetE1EEEvT1_
	.globl	_ZN7rocprim17ROCPRIM_400000_NS6detail17trampoline_kernelINS0_14default_configENS1_20scan_config_selectorIsEEZZNS1_9scan_implILNS1_25lookback_scan_determinismE0ELb1ELb1ES3_N6thrust23THRUST_200600_302600_NS6detail15normal_iteratorINS9_10device_ptrIsEEEESE_sNS9_4plusIsEEsEEDaPvRmT3_T4_T5_mT6_P12ihipStream_tbENKUlT_T0_E_clISt17integral_constantIbLb0EESU_EEDaSP_SQ_EUlSP_E_NS1_11comp_targetILNS1_3genE5ELNS1_11target_archE942ELNS1_3gpuE9ELNS1_3repE0EEENS1_30default_config_static_selectorELNS0_4arch9wavefront6targetE1EEEvT1_
	.p2align	8
	.type	_ZN7rocprim17ROCPRIM_400000_NS6detail17trampoline_kernelINS0_14default_configENS1_20scan_config_selectorIsEEZZNS1_9scan_implILNS1_25lookback_scan_determinismE0ELb1ELb1ES3_N6thrust23THRUST_200600_302600_NS6detail15normal_iteratorINS9_10device_ptrIsEEEESE_sNS9_4plusIsEEsEEDaPvRmT3_T4_T5_mT6_P12ihipStream_tbENKUlT_T0_E_clISt17integral_constantIbLb0EESU_EEDaSP_SQ_EUlSP_E_NS1_11comp_targetILNS1_3genE5ELNS1_11target_archE942ELNS1_3gpuE9ELNS1_3repE0EEENS1_30default_config_static_selectorELNS0_4arch9wavefront6targetE1EEEvT1_,@function
_ZN7rocprim17ROCPRIM_400000_NS6detail17trampoline_kernelINS0_14default_configENS1_20scan_config_selectorIsEEZZNS1_9scan_implILNS1_25lookback_scan_determinismE0ELb1ELb1ES3_N6thrust23THRUST_200600_302600_NS6detail15normal_iteratorINS9_10device_ptrIsEEEESE_sNS9_4plusIsEEsEEDaPvRmT3_T4_T5_mT6_P12ihipStream_tbENKUlT_T0_E_clISt17integral_constantIbLb0EESU_EEDaSP_SQ_EUlSP_E_NS1_11comp_targetILNS1_3genE5ELNS1_11target_archE942ELNS1_3gpuE9ELNS1_3repE0EEENS1_30default_config_static_selectorELNS0_4arch9wavefront6targetE1EEEvT1_: ; @_ZN7rocprim17ROCPRIM_400000_NS6detail17trampoline_kernelINS0_14default_configENS1_20scan_config_selectorIsEEZZNS1_9scan_implILNS1_25lookback_scan_determinismE0ELb1ELb1ES3_N6thrust23THRUST_200600_302600_NS6detail15normal_iteratorINS9_10device_ptrIsEEEESE_sNS9_4plusIsEEsEEDaPvRmT3_T4_T5_mT6_P12ihipStream_tbENKUlT_T0_E_clISt17integral_constantIbLb0EESU_EEDaSP_SQ_EUlSP_E_NS1_11comp_targetILNS1_3genE5ELNS1_11target_archE942ELNS1_3gpuE9ELNS1_3repE0EEENS1_30default_config_static_selectorELNS0_4arch9wavefront6targetE1EEEvT1_
; %bb.0:
	.section	.rodata,"a",@progbits
	.p2align	6, 0x0
	.amdhsa_kernel _ZN7rocprim17ROCPRIM_400000_NS6detail17trampoline_kernelINS0_14default_configENS1_20scan_config_selectorIsEEZZNS1_9scan_implILNS1_25lookback_scan_determinismE0ELb1ELb1ES3_N6thrust23THRUST_200600_302600_NS6detail15normal_iteratorINS9_10device_ptrIsEEEESE_sNS9_4plusIsEEsEEDaPvRmT3_T4_T5_mT6_P12ihipStream_tbENKUlT_T0_E_clISt17integral_constantIbLb0EESU_EEDaSP_SQ_EUlSP_E_NS1_11comp_targetILNS1_3genE5ELNS1_11target_archE942ELNS1_3gpuE9ELNS1_3repE0EEENS1_30default_config_static_selectorELNS0_4arch9wavefront6targetE1EEEvT1_
		.amdhsa_group_segment_fixed_size 0
		.amdhsa_private_segment_fixed_size 0
		.amdhsa_kernarg_size 96
		.amdhsa_user_sgpr_count 6
		.amdhsa_user_sgpr_private_segment_buffer 1
		.amdhsa_user_sgpr_dispatch_ptr 0
		.amdhsa_user_sgpr_queue_ptr 0
		.amdhsa_user_sgpr_kernarg_segment_ptr 1
		.amdhsa_user_sgpr_dispatch_id 0
		.amdhsa_user_sgpr_flat_scratch_init 0
		.amdhsa_user_sgpr_kernarg_preload_length 0
		.amdhsa_user_sgpr_kernarg_preload_offset 0
		.amdhsa_user_sgpr_private_segment_size 0
		.amdhsa_uses_dynamic_stack 0
		.amdhsa_system_sgpr_private_segment_wavefront_offset 0
		.amdhsa_system_sgpr_workgroup_id_x 1
		.amdhsa_system_sgpr_workgroup_id_y 0
		.amdhsa_system_sgpr_workgroup_id_z 0
		.amdhsa_system_sgpr_workgroup_info 0
		.amdhsa_system_vgpr_workitem_id 0
		.amdhsa_next_free_vgpr 1
		.amdhsa_next_free_sgpr 0
		.amdhsa_accum_offset 4
		.amdhsa_reserve_vcc 0
		.amdhsa_reserve_flat_scratch 0
		.amdhsa_float_round_mode_32 0
		.amdhsa_float_round_mode_16_64 0
		.amdhsa_float_denorm_mode_32 3
		.amdhsa_float_denorm_mode_16_64 3
		.amdhsa_dx10_clamp 1
		.amdhsa_ieee_mode 1
		.amdhsa_fp16_overflow 0
		.amdhsa_tg_split 0
		.amdhsa_exception_fp_ieee_invalid_op 0
		.amdhsa_exception_fp_denorm_src 0
		.amdhsa_exception_fp_ieee_div_zero 0
		.amdhsa_exception_fp_ieee_overflow 0
		.amdhsa_exception_fp_ieee_underflow 0
		.amdhsa_exception_fp_ieee_inexact 0
		.amdhsa_exception_int_div_zero 0
	.end_amdhsa_kernel
	.section	.text._ZN7rocprim17ROCPRIM_400000_NS6detail17trampoline_kernelINS0_14default_configENS1_20scan_config_selectorIsEEZZNS1_9scan_implILNS1_25lookback_scan_determinismE0ELb1ELb1ES3_N6thrust23THRUST_200600_302600_NS6detail15normal_iteratorINS9_10device_ptrIsEEEESE_sNS9_4plusIsEEsEEDaPvRmT3_T4_T5_mT6_P12ihipStream_tbENKUlT_T0_E_clISt17integral_constantIbLb0EESU_EEDaSP_SQ_EUlSP_E_NS1_11comp_targetILNS1_3genE5ELNS1_11target_archE942ELNS1_3gpuE9ELNS1_3repE0EEENS1_30default_config_static_selectorELNS0_4arch9wavefront6targetE1EEEvT1_,"axG",@progbits,_ZN7rocprim17ROCPRIM_400000_NS6detail17trampoline_kernelINS0_14default_configENS1_20scan_config_selectorIsEEZZNS1_9scan_implILNS1_25lookback_scan_determinismE0ELb1ELb1ES3_N6thrust23THRUST_200600_302600_NS6detail15normal_iteratorINS9_10device_ptrIsEEEESE_sNS9_4plusIsEEsEEDaPvRmT3_T4_T5_mT6_P12ihipStream_tbENKUlT_T0_E_clISt17integral_constantIbLb0EESU_EEDaSP_SQ_EUlSP_E_NS1_11comp_targetILNS1_3genE5ELNS1_11target_archE942ELNS1_3gpuE9ELNS1_3repE0EEENS1_30default_config_static_selectorELNS0_4arch9wavefront6targetE1EEEvT1_,comdat
.Lfunc_end1196:
	.size	_ZN7rocprim17ROCPRIM_400000_NS6detail17trampoline_kernelINS0_14default_configENS1_20scan_config_selectorIsEEZZNS1_9scan_implILNS1_25lookback_scan_determinismE0ELb1ELb1ES3_N6thrust23THRUST_200600_302600_NS6detail15normal_iteratorINS9_10device_ptrIsEEEESE_sNS9_4plusIsEEsEEDaPvRmT3_T4_T5_mT6_P12ihipStream_tbENKUlT_T0_E_clISt17integral_constantIbLb0EESU_EEDaSP_SQ_EUlSP_E_NS1_11comp_targetILNS1_3genE5ELNS1_11target_archE942ELNS1_3gpuE9ELNS1_3repE0EEENS1_30default_config_static_selectorELNS0_4arch9wavefront6targetE1EEEvT1_, .Lfunc_end1196-_ZN7rocprim17ROCPRIM_400000_NS6detail17trampoline_kernelINS0_14default_configENS1_20scan_config_selectorIsEEZZNS1_9scan_implILNS1_25lookback_scan_determinismE0ELb1ELb1ES3_N6thrust23THRUST_200600_302600_NS6detail15normal_iteratorINS9_10device_ptrIsEEEESE_sNS9_4plusIsEEsEEDaPvRmT3_T4_T5_mT6_P12ihipStream_tbENKUlT_T0_E_clISt17integral_constantIbLb0EESU_EEDaSP_SQ_EUlSP_E_NS1_11comp_targetILNS1_3genE5ELNS1_11target_archE942ELNS1_3gpuE9ELNS1_3repE0EEENS1_30default_config_static_selectorELNS0_4arch9wavefront6targetE1EEEvT1_
                                        ; -- End function
	.section	.AMDGPU.csdata,"",@progbits
; Kernel info:
; codeLenInByte = 0
; NumSgprs: 4
; NumVgprs: 0
; NumAgprs: 0
; TotalNumVgprs: 0
; ScratchSize: 0
; MemoryBound: 0
; FloatMode: 240
; IeeeMode: 1
; LDSByteSize: 0 bytes/workgroup (compile time only)
; SGPRBlocks: 0
; VGPRBlocks: 0
; NumSGPRsForWavesPerEU: 4
; NumVGPRsForWavesPerEU: 1
; AccumOffset: 4
; Occupancy: 8
; WaveLimiterHint : 0
; COMPUTE_PGM_RSRC2:SCRATCH_EN: 0
; COMPUTE_PGM_RSRC2:USER_SGPR: 6
; COMPUTE_PGM_RSRC2:TRAP_HANDLER: 0
; COMPUTE_PGM_RSRC2:TGID_X_EN: 1
; COMPUTE_PGM_RSRC2:TGID_Y_EN: 0
; COMPUTE_PGM_RSRC2:TGID_Z_EN: 0
; COMPUTE_PGM_RSRC2:TIDIG_COMP_CNT: 0
; COMPUTE_PGM_RSRC3_GFX90A:ACCUM_OFFSET: 0
; COMPUTE_PGM_RSRC3_GFX90A:TG_SPLIT: 0
	.section	.text._ZN7rocprim17ROCPRIM_400000_NS6detail17trampoline_kernelINS0_14default_configENS1_20scan_config_selectorIsEEZZNS1_9scan_implILNS1_25lookback_scan_determinismE0ELb1ELb1ES3_N6thrust23THRUST_200600_302600_NS6detail15normal_iteratorINS9_10device_ptrIsEEEESE_sNS9_4plusIsEEsEEDaPvRmT3_T4_T5_mT6_P12ihipStream_tbENKUlT_T0_E_clISt17integral_constantIbLb0EESU_EEDaSP_SQ_EUlSP_E_NS1_11comp_targetILNS1_3genE4ELNS1_11target_archE910ELNS1_3gpuE8ELNS1_3repE0EEENS1_30default_config_static_selectorELNS0_4arch9wavefront6targetE1EEEvT1_,"axG",@progbits,_ZN7rocprim17ROCPRIM_400000_NS6detail17trampoline_kernelINS0_14default_configENS1_20scan_config_selectorIsEEZZNS1_9scan_implILNS1_25lookback_scan_determinismE0ELb1ELb1ES3_N6thrust23THRUST_200600_302600_NS6detail15normal_iteratorINS9_10device_ptrIsEEEESE_sNS9_4plusIsEEsEEDaPvRmT3_T4_T5_mT6_P12ihipStream_tbENKUlT_T0_E_clISt17integral_constantIbLb0EESU_EEDaSP_SQ_EUlSP_E_NS1_11comp_targetILNS1_3genE4ELNS1_11target_archE910ELNS1_3gpuE8ELNS1_3repE0EEENS1_30default_config_static_selectorELNS0_4arch9wavefront6targetE1EEEvT1_,comdat
	.protected	_ZN7rocprim17ROCPRIM_400000_NS6detail17trampoline_kernelINS0_14default_configENS1_20scan_config_selectorIsEEZZNS1_9scan_implILNS1_25lookback_scan_determinismE0ELb1ELb1ES3_N6thrust23THRUST_200600_302600_NS6detail15normal_iteratorINS9_10device_ptrIsEEEESE_sNS9_4plusIsEEsEEDaPvRmT3_T4_T5_mT6_P12ihipStream_tbENKUlT_T0_E_clISt17integral_constantIbLb0EESU_EEDaSP_SQ_EUlSP_E_NS1_11comp_targetILNS1_3genE4ELNS1_11target_archE910ELNS1_3gpuE8ELNS1_3repE0EEENS1_30default_config_static_selectorELNS0_4arch9wavefront6targetE1EEEvT1_ ; -- Begin function _ZN7rocprim17ROCPRIM_400000_NS6detail17trampoline_kernelINS0_14default_configENS1_20scan_config_selectorIsEEZZNS1_9scan_implILNS1_25lookback_scan_determinismE0ELb1ELb1ES3_N6thrust23THRUST_200600_302600_NS6detail15normal_iteratorINS9_10device_ptrIsEEEESE_sNS9_4plusIsEEsEEDaPvRmT3_T4_T5_mT6_P12ihipStream_tbENKUlT_T0_E_clISt17integral_constantIbLb0EESU_EEDaSP_SQ_EUlSP_E_NS1_11comp_targetILNS1_3genE4ELNS1_11target_archE910ELNS1_3gpuE8ELNS1_3repE0EEENS1_30default_config_static_selectorELNS0_4arch9wavefront6targetE1EEEvT1_
	.globl	_ZN7rocprim17ROCPRIM_400000_NS6detail17trampoline_kernelINS0_14default_configENS1_20scan_config_selectorIsEEZZNS1_9scan_implILNS1_25lookback_scan_determinismE0ELb1ELb1ES3_N6thrust23THRUST_200600_302600_NS6detail15normal_iteratorINS9_10device_ptrIsEEEESE_sNS9_4plusIsEEsEEDaPvRmT3_T4_T5_mT6_P12ihipStream_tbENKUlT_T0_E_clISt17integral_constantIbLb0EESU_EEDaSP_SQ_EUlSP_E_NS1_11comp_targetILNS1_3genE4ELNS1_11target_archE910ELNS1_3gpuE8ELNS1_3repE0EEENS1_30default_config_static_selectorELNS0_4arch9wavefront6targetE1EEEvT1_
	.p2align	8
	.type	_ZN7rocprim17ROCPRIM_400000_NS6detail17trampoline_kernelINS0_14default_configENS1_20scan_config_selectorIsEEZZNS1_9scan_implILNS1_25lookback_scan_determinismE0ELb1ELb1ES3_N6thrust23THRUST_200600_302600_NS6detail15normal_iteratorINS9_10device_ptrIsEEEESE_sNS9_4plusIsEEsEEDaPvRmT3_T4_T5_mT6_P12ihipStream_tbENKUlT_T0_E_clISt17integral_constantIbLb0EESU_EEDaSP_SQ_EUlSP_E_NS1_11comp_targetILNS1_3genE4ELNS1_11target_archE910ELNS1_3gpuE8ELNS1_3repE0EEENS1_30default_config_static_selectorELNS0_4arch9wavefront6targetE1EEEvT1_,@function
_ZN7rocprim17ROCPRIM_400000_NS6detail17trampoline_kernelINS0_14default_configENS1_20scan_config_selectorIsEEZZNS1_9scan_implILNS1_25lookback_scan_determinismE0ELb1ELb1ES3_N6thrust23THRUST_200600_302600_NS6detail15normal_iteratorINS9_10device_ptrIsEEEESE_sNS9_4plusIsEEsEEDaPvRmT3_T4_T5_mT6_P12ihipStream_tbENKUlT_T0_E_clISt17integral_constantIbLb0EESU_EEDaSP_SQ_EUlSP_E_NS1_11comp_targetILNS1_3genE4ELNS1_11target_archE910ELNS1_3gpuE8ELNS1_3repE0EEENS1_30default_config_static_selectorELNS0_4arch9wavefront6targetE1EEEvT1_: ; @_ZN7rocprim17ROCPRIM_400000_NS6detail17trampoline_kernelINS0_14default_configENS1_20scan_config_selectorIsEEZZNS1_9scan_implILNS1_25lookback_scan_determinismE0ELb1ELb1ES3_N6thrust23THRUST_200600_302600_NS6detail15normal_iteratorINS9_10device_ptrIsEEEESE_sNS9_4plusIsEEsEEDaPvRmT3_T4_T5_mT6_P12ihipStream_tbENKUlT_T0_E_clISt17integral_constantIbLb0EESU_EEDaSP_SQ_EUlSP_E_NS1_11comp_targetILNS1_3genE4ELNS1_11target_archE910ELNS1_3gpuE8ELNS1_3repE0EEENS1_30default_config_static_selectorELNS0_4arch9wavefront6targetE1EEEvT1_
; %bb.0:
	s_load_dwordx8 s[12:19], s[4:5], 0x0
	s_load_dword s1, s[4:5], 0x30
	s_mul_i32 s0, s6, 0x600
	v_lshlrev_b32_e32 v20, 1, v0
	s_waitcnt lgkmcnt(0)
	s_lshl_b64 s[22:23], s[14:15], 1
	s_add_u32 s27, s12, s22
	s_addc_u32 s28, s13, s23
	s_add_i32 s2, s1, -1
	s_mul_i32 s3, s2, 0x600
	s_sub_u32 s7, s18, s3
	s_subb_u32 s26, s19, 0
	s_mov_b32 s1, 0
	s_cmp_lg_u32 s6, s2
	s_cselect_b64 s[18:19], -1, 0
	s_lshl_b64 s[20:21], s[0:1], 1
	s_add_u32 s2, s27, s20
	s_addc_u32 s3, s28, s21
	s_mov_b64 s[0:1], -1
	s_and_b64 vcc, exec, s[18:19]
	s_cbranch_vccz .LBB1197_2
; %bb.1:
	v_mov_b32_e32 v1, s3
	v_add_co_u32_e32 v2, vcc, s2, v20
	v_addc_co_u32_e32 v3, vcc, 0, v1, vcc
	flat_load_ushort v1, v[2:3]
	flat_load_ushort v4, v[2:3] offset:128
	flat_load_ushort v5, v[2:3] offset:256
	;; [unrolled: 1-line block ×23, first 2 shown]
	s_mov_b64 s[0:1], 0
	s_waitcnt vmcnt(0) lgkmcnt(0)
	ds_write_b16 v20, v1
	ds_write_b16 v20, v4 offset:128
	ds_write_b16 v20, v5 offset:256
	;; [unrolled: 1-line block ×23, first 2 shown]
	s_waitcnt lgkmcnt(0)
	; wave barrier
.LBB1197_2:
	s_load_dwordx2 s[24:25], s[4:5], 0x28
	s_andn2_b64 vcc, exec, s[0:1]
	v_cmp_gt_u32_e64 s[0:1], s7, v0
	s_cbranch_vccnz .LBB1197_52
; %bb.3:
	v_pk_mov_b32 v[2:3], s[2:3], s[2:3] op_sel:[0,1]
	flat_load_ushort v1, v[2:3]
	s_waitcnt vmcnt(0) lgkmcnt(0)
	v_mov_b32_e32 v2, v1
	s_and_saveexec_b64 s[8:9], s[0:1]
	s_cbranch_execz .LBB1197_5
; %bb.4:
	v_mov_b32_e32 v3, s3
	v_add_co_u32_e32 v2, vcc, s2, v20
	v_addc_co_u32_e32 v3, vcc, 0, v3, vcc
	flat_load_ushort v2, v[2:3]
.LBB1197_5:
	s_or_b64 exec, exec, s[8:9]
	v_or_b32_e32 v3, 64, v0
	v_cmp_gt_u32_e32 vcc, s7, v3
	v_mov_b32_e32 v3, v1
	s_and_saveexec_b64 s[0:1], vcc
	s_cbranch_execz .LBB1197_7
; %bb.6:
	v_mov_b32_e32 v3, s3
	v_add_co_u32_e32 v4, vcc, s2, v20
	v_addc_co_u32_e32 v5, vcc, 0, v3, vcc
	flat_load_ushort v3, v[4:5] offset:128
.LBB1197_7:
	s_or_b64 exec, exec, s[0:1]
	v_or_b32_e32 v4, 0x80, v0
	v_cmp_gt_u32_e32 vcc, s7, v4
	v_mov_b32_e32 v4, v1
	s_and_saveexec_b64 s[0:1], vcc
	s_cbranch_execz .LBB1197_9
; %bb.8:
	v_mov_b32_e32 v5, s3
	v_add_co_u32_e32 v4, vcc, s2, v20
	v_addc_co_u32_e32 v5, vcc, 0, v5, vcc
	flat_load_ushort v4, v[4:5] offset:256
.LBB1197_9:
	;; [unrolled: 12-line block ×22, first 2 shown]
	s_or_b64 exec, exec, s[0:1]
	v_or_b32_e32 v26, 0x5c0, v0
	v_cmp_gt_u32_e32 vcc, s7, v26
	s_and_saveexec_b64 s[0:1], vcc
	s_cbranch_execz .LBB1197_51
; %bb.50:
	v_mov_b32_e32 v1, s3
	v_add_co_u32_e32 v26, vcc, s2, v20
	v_addc_co_u32_e32 v27, vcc, 0, v1, vcc
	flat_load_ushort v1, v[26:27] offset:2944
.LBB1197_51:
	s_or_b64 exec, exec, s[0:1]
	s_waitcnt vmcnt(0) lgkmcnt(0)
	ds_write_b16 v20, v2
	ds_write_b16 v20, v3 offset:128
	ds_write_b16 v20, v4 offset:256
	;; [unrolled: 1-line block ×23, first 2 shown]
	s_waitcnt lgkmcnt(0)
	; wave barrier
.LBB1197_52:
	v_mul_u32_u24_e32 v21, 24, v0
	v_lshlrev_b32_e32 v1, 1, v21
	s_waitcnt lgkmcnt(0)
	ds_read_b128 v[10:13], v1
	ds_read_b128 v[6:9], v1 offset:16
	ds_read_b128 v[2:5], v1 offset:32
	s_cmp_lg_u32 s6, 0
	v_mbcnt_lo_u32_b32 v22, -1, 0
	s_waitcnt lgkmcnt(2)
	v_add_u16_sdwa v14, v10, v10 dst_sel:DWORD dst_unused:UNUSED_PAD src0_sel:WORD_1 src1_sel:DWORD
	v_add_u16_e32 v23, v14, v11
	v_cmp_eq_u32_e32 vcc, 63, v0
	s_waitcnt lgkmcnt(0)
	; wave barrier
	s_waitcnt lgkmcnt(0)
	s_cbranch_scc0 .LBB1197_75
; %bb.53:
	v_add_u16_sdwa v14, v23, v11 dst_sel:DWORD dst_unused:UNUSED_PAD src0_sel:DWORD src1_sel:WORD_1
	v_add_u16_e32 v14, v14, v12
	v_add_u16_sdwa v14, v14, v12 dst_sel:DWORD dst_unused:UNUSED_PAD src0_sel:DWORD src1_sel:WORD_1
	v_add_u16_e32 v14, v14, v13
	;; [unrolled: 2-line block ×10, first 2 shown]
	v_mbcnt_hi_u32_b32 v15, -1, v22
	v_add_u16_sdwa v14, v14, v5 dst_sel:DWORD dst_unused:UNUSED_PAD src0_sel:DWORD src1_sel:WORD_1
	v_and_b32_e32 v16, 15, v15
	v_cmp_ne_u32_e64 s[0:1], 0, v16
	v_mov_b32_dpp v17, v14 row_shr:1 row_mask:0xf bank_mask:0xf
	v_cndmask_b32_e64 v17, 0, v17, s[0:1]
	v_add_u16_e32 v14, v17, v14
	v_cmp_lt_u32_e64 s[0:1], 1, v16
	s_nop 0
	v_mov_b32_dpp v17, v14 row_shr:2 row_mask:0xf bank_mask:0xf
	v_cndmask_b32_e64 v17, 0, v17, s[0:1]
	v_add_u16_e32 v14, v14, v17
	v_cmp_lt_u32_e64 s[0:1], 3, v16
	s_nop 0
	;; [unrolled: 5-line block ×3, first 2 shown]
	v_mov_b32_dpp v17, v14 row_shr:8 row_mask:0xf bank_mask:0xf
	v_cndmask_b32_e64 v16, 0, v17, s[0:1]
	v_add_u16_e32 v14, v14, v16
	v_and_b32_e32 v17, 16, v15
	v_cmp_ne_u32_e64 s[0:1], 0, v17
	v_mov_b32_dpp v16, v14 row_bcast:15 row_mask:0xf bank_mask:0xf
	v_cndmask_b32_e64 v16, 0, v16, s[0:1]
	v_add_u16_e32 v14, v14, v16
	v_cmp_lt_u32_e64 s[0:1], 31, v15
	s_nop 0
	v_mov_b32_dpp v16, v14 row_bcast:31 row_mask:0xf bank_mask:0xf
	v_cndmask_b32_e64 v16, 0, v16, s[0:1]
	v_add_u16_e32 v14, v14, v16
	s_and_saveexec_b64 s[0:1], vcc
	s_cbranch_execz .LBB1197_55
; %bb.54:
	v_mov_b32_e32 v16, 0
	ds_write_b16 v16, v14
.LBB1197_55:
	s_or_b64 exec, exec, s[0:1]
	v_add_u32_e32 v16, -1, v15
	v_and_b32_e32 v17, 64, v15
	v_cmp_lt_i32_e32 vcc, v16, v17
	v_cndmask_b32_e32 v16, v16, v15, vcc
	v_lshlrev_b32_e32 v16, 2, v16
	ds_bpermute_b32 v24, v16, v14
	v_cmp_gt_u32_e32 vcc, 64, v0
	s_waitcnt lgkmcnt(0)
	; wave barrier
	s_waitcnt lgkmcnt(0)
	s_and_saveexec_b64 s[10:11], vcc
	s_cbranch_execz .LBB1197_74
; %bb.56:
	v_mov_b32_e32 v17, 0
	ds_read_u16 v25, v17
	s_mov_b32 s9, 0
	v_cmp_eq_u32_e64 s[0:1], 0, v15
	s_and_saveexec_b64 s[2:3], s[0:1]
	s_cbranch_execz .LBB1197_58
; %bb.57:
	s_add_i32 s8, s6, 64
	s_lshl_b64 s[8:9], s[8:9], 2
	s_add_u32 s8, s24, s8
	s_waitcnt lgkmcnt(0)
	v_or_b32_e32 v14, 0x10000, v25
	s_addc_u32 s9, s25, s9
	global_store_dword v17, v14, s[8:9]
.LBB1197_58:
	s_or_b64 exec, exec, s[2:3]
	v_xad_u32 v14, v15, -1, s6
	v_add_u32_e32 v16, 64, v14
	v_lshlrev_b64 v[18:19], 2, v[16:17]
	v_mov_b32_e32 v16, s25
	v_add_co_u32_e32 v18, vcc, s24, v18
	v_addc_co_u32_e32 v19, vcc, v16, v19, vcc
	global_load_dword v38, v[18:19], off glc
	s_waitcnt vmcnt(0)
	v_lshrrev_b32_e32 v27, 16, v38
	v_cmp_eq_u16_sdwa s[8:9], v27, v17 src0_sel:BYTE_0 src1_sel:DWORD
	s_and_saveexec_b64 s[2:3], s[8:9]
	s_cbranch_execz .LBB1197_62
; %bb.59:
	s_mov_b64 s[8:9], 0
	v_mov_b32_e32 v16, 0
.LBB1197_60:                            ; =>This Inner Loop Header: Depth=1
	global_load_dword v38, v[18:19], off glc
	s_waitcnt vmcnt(0)
	v_lshrrev_b32_e32 v27, 16, v38
	v_cmp_ne_u16_sdwa s[12:13], v27, v16 src0_sel:BYTE_0 src1_sel:DWORD
	s_or_b64 s[8:9], s[12:13], s[8:9]
	s_andn2_b64 exec, exec, s[8:9]
	s_cbranch_execnz .LBB1197_60
; %bb.61:
	s_or_b64 exec, exec, s[8:9]
.LBB1197_62:
	s_or_b64 exec, exec, s[2:3]
	v_and_b32_e32 v28, 63, v15
	v_cmp_ne_u32_e32 vcc, 63, v28
	v_mov_b32_e32 v26, 2
	v_addc_co_u32_e32 v29, vcc, 0, v15, vcc
	v_cmp_eq_u16_sdwa s[2:3], v27, v26 src0_sel:BYTE_0 src1_sel:DWORD
	v_lshlrev_b64 v[16:17], v15, -1
	v_and_b32_e32 v30, 0xffff, v38
	v_lshlrev_b32_e32 v29, 2, v29
	v_and_b32_e32 v18, s3, v17
	ds_bpermute_b32 v31, v29, v30
	v_or_b32_e32 v18, 0x80000000, v18
	v_and_b32_e32 v19, s2, v16
	v_ffbl_b32_e32 v18, v18
	v_add_u32_e32 v18, 32, v18
	v_ffbl_b32_e32 v19, v19
	v_min_u32_e32 v18, v19, v18
	s_waitcnt lgkmcnt(0)
	v_add_u16_e32 v19, v31, v38
	v_cmp_lt_u32_e32 vcc, v28, v18
	v_cmp_gt_u32_e64 s[2:3], 62, v28
	v_cndmask_b32_e32 v32, v30, v19, vcc
	v_cndmask_b32_e64 v30, 0, 1, s[2:3]
	v_lshlrev_b32_e32 v30, 1, v30
	v_add_lshl_u32 v30, v30, v15, 2
	ds_bpermute_b32 v33, v30, v32
	v_cndmask_b32_e32 v19, v38, v19, vcc
	v_add_u32_e32 v31, 2, v28
	v_cmp_gt_u32_e64 s[2:3], v31, v18
	v_cmp_gt_u32_e64 s[8:9], 60, v28
	s_waitcnt lgkmcnt(0)
	v_add_u16_e32 v33, v19, v33
	v_cndmask_b32_e64 v34, v33, v32, s[2:3]
	v_cndmask_b32_e64 v32, 0, 1, s[8:9]
	v_lshlrev_b32_e32 v32, 2, v32
	v_add_lshl_u32 v32, v32, v15, 2
	ds_bpermute_b32 v35, v32, v34
	v_cndmask_b32_e64 v19, v33, v19, s[2:3]
	v_add_u32_e32 v33, 4, v28
	v_cmp_gt_u32_e64 s[2:3], v33, v18
	v_cmp_gt_u32_e64 s[8:9], 56, v28
	s_waitcnt lgkmcnt(0)
	v_add_u16_e32 v35, v19, v35
	v_cndmask_b32_e64 v36, v35, v34, s[2:3]
	v_cndmask_b32_e64 v34, 0, 1, s[8:9]
	v_lshlrev_b32_e32 v34, 3, v34
	v_add_lshl_u32 v34, v34, v15, 2
	ds_bpermute_b32 v37, v34, v36
	v_cndmask_b32_e64 v19, v35, v19, s[2:3]
	;; [unrolled: 11-line block ×3, first 2 shown]
	v_add_u32_e32 v37, 16, v28
	v_cmp_gt_u32_e64 s[2:3], v37, v18
	v_cmp_gt_u32_e64 s[8:9], 32, v28
	s_waitcnt lgkmcnt(0)
	v_add_u16_e32 v41, v19, v40
	v_cndmask_b32_e64 v40, v41, v39, s[2:3]
	v_cndmask_b32_e64 v39, 0, 1, s[8:9]
	v_lshlrev_b32_e32 v39, 5, v39
	v_add_lshl_u32 v39, v39, v15, 2
	ds_bpermute_b32 v15, v39, v40
	v_add_u32_e32 v40, 32, v28
	v_cndmask_b32_e64 v19, v41, v19, s[2:3]
	v_cmp_le_u32_e64 s[2:3], v40, v18
	s_waitcnt lgkmcnt(0)
	v_cndmask_b32_e64 v15, 0, v15, s[2:3]
	v_add_u16_e32 v15, v19, v15
	v_cndmask_b32_e32 v18, v38, v15, vcc
	v_mov_b32_e32 v15, 0
	s_branch .LBB1197_64
.LBB1197_63:                            ;   in Loop: Header=BB1197_64 Depth=1
	s_or_b64 exec, exec, s[2:3]
	v_cmp_eq_u16_sdwa s[2:3], v27, v26 src0_sel:BYTE_0 src1_sel:DWORD
	v_and_b32_e32 v42, 0xffff, v41
	v_and_b32_e32 v18, s3, v17
	ds_bpermute_b32 v43, v29, v42
	v_or_b32_e32 v18, 0x80000000, v18
	v_and_b32_e32 v19, s2, v16
	v_ffbl_b32_e32 v18, v18
	v_add_u32_e32 v18, 32, v18
	v_ffbl_b32_e32 v19, v19
	v_min_u32_e32 v18, v19, v18
	s_waitcnt lgkmcnt(0)
	v_add_u16_e32 v19, v43, v41
	v_cmp_lt_u32_e32 vcc, v28, v18
	v_cndmask_b32_e32 v42, v42, v19, vcc
	ds_bpermute_b32 v43, v30, v42
	v_cndmask_b32_e32 v19, v41, v19, vcc
	v_cmp_gt_u32_e64 s[2:3], v31, v18
	v_subrev_u32_e32 v14, 64, v14
	s_waitcnt lgkmcnt(0)
	v_add_u16_e32 v43, v19, v43
	v_cndmask_b32_e64 v42, v43, v42, s[2:3]
	ds_bpermute_b32 v44, v32, v42
	v_cndmask_b32_e64 v19, v43, v19, s[2:3]
	v_cmp_gt_u32_e64 s[2:3], v33, v18
	s_waitcnt lgkmcnt(0)
	v_add_u16_e32 v43, v19, v44
	v_cndmask_b32_e64 v42, v43, v42, s[2:3]
	ds_bpermute_b32 v44, v34, v42
	v_cndmask_b32_e64 v19, v43, v19, s[2:3]
	v_cmp_gt_u32_e64 s[2:3], v35, v18
	;; [unrolled: 6-line block ×3, first 2 shown]
	s_waitcnt lgkmcnt(0)
	v_add_u16_e32 v43, v19, v44
	v_cndmask_b32_e64 v42, v43, v42, s[2:3]
	ds_bpermute_b32 v42, v39, v42
	v_cndmask_b32_e64 v19, v43, v19, s[2:3]
	v_cmp_le_u32_e64 s[2:3], v40, v18
	s_waitcnt lgkmcnt(0)
	v_cndmask_b32_e64 v18, 0, v42, s[2:3]
	v_add_u16_e32 v18, v19, v18
	v_cndmask_b32_e32 v18, v41, v18, vcc
	v_add_u16_e32 v18, v18, v38
.LBB1197_64:                            ; =>This Loop Header: Depth=1
                                        ;     Child Loop BB1197_67 Depth 2
	v_cmp_ne_u16_sdwa s[2:3], v27, v26 src0_sel:BYTE_0 src1_sel:DWORD
	v_cndmask_b32_e64 v19, 0, 1, s[2:3]
	;;#ASMSTART
	;;#ASMEND
	v_cmp_ne_u32_e32 vcc, 0, v19
	s_cmp_lg_u64 vcc, exec
	v_mov_b32_e32 v38, v18
	s_cbranch_scc1 .LBB1197_69
; %bb.65:                               ;   in Loop: Header=BB1197_64 Depth=1
	v_lshlrev_b64 v[18:19], 2, v[14:15]
	v_mov_b32_e32 v27, s25
	v_add_co_u32_e32 v18, vcc, s24, v18
	v_addc_co_u32_e32 v19, vcc, v27, v19, vcc
	global_load_dword v41, v[18:19], off glc
	s_waitcnt vmcnt(0)
	v_lshrrev_b32_e32 v27, 16, v41
	v_cmp_eq_u16_sdwa s[8:9], v27, v15 src0_sel:BYTE_0 src1_sel:DWORD
	s_and_saveexec_b64 s[2:3], s[8:9]
	s_cbranch_execz .LBB1197_63
; %bb.66:                               ;   in Loop: Header=BB1197_64 Depth=1
	s_mov_b64 s[8:9], 0
.LBB1197_67:                            ;   Parent Loop BB1197_64 Depth=1
                                        ; =>  This Inner Loop Header: Depth=2
	global_load_dword v41, v[18:19], off glc
	s_waitcnt vmcnt(0)
	v_lshrrev_b32_e32 v27, 16, v41
	v_cmp_ne_u16_sdwa s[12:13], v27, v15 src0_sel:BYTE_0 src1_sel:DWORD
	s_or_b64 s[8:9], s[12:13], s[8:9]
	s_andn2_b64 exec, exec, s[8:9]
	s_cbranch_execnz .LBB1197_67
; %bb.68:                               ;   in Loop: Header=BB1197_64 Depth=1
	s_or_b64 exec, exec, s[8:9]
	s_branch .LBB1197_63
.LBB1197_69:                            ;   in Loop: Header=BB1197_64 Depth=1
                                        ; implicit-def: $vgpr18
                                        ; implicit-def: $vgpr27
	s_cbranch_execz .LBB1197_64
; %bb.70:
	s_and_saveexec_b64 s[2:3], s[0:1]
	s_cbranch_execz .LBB1197_72
; %bb.71:
	s_add_i32 s0, s6, 64
	s_mov_b32 s1, 0
	s_lshl_b64 s[0:1], s[0:1], 2
	v_add_u16_e32 v14, v38, v25
	s_add_u32 s0, s24, s0
	v_or_b32_e32 v14, 0x20000, v14
	s_addc_u32 s1, s25, s1
	v_mov_b32_e32 v15, 0
	global_store_dword v15, v14, s[0:1]
.LBB1197_72:
	s_or_b64 exec, exec, s[2:3]
	v_cmp_eq_u32_e32 vcc, 0, v0
	s_and_b64 exec, exec, vcc
	s_cbranch_execz .LBB1197_74
; %bb.73:
	v_mov_b32_e32 v14, 0
	ds_write_b16 v14, v38
.LBB1197_74:
	s_or_b64 exec, exec, s[10:11]
	v_mov_b32_e32 v14, 0
	s_waitcnt lgkmcnt(0)
	; wave barrier
	s_waitcnt lgkmcnt(0)
	ds_read_u16 v14, v14
	v_cmp_ne_u32_e32 vcc, 0, v0
	v_cndmask_b32_e32 v15, 0, v24, vcc
	s_waitcnt lgkmcnt(0)
	v_add_u16_e32 v14, v14, v15
	s_load_dwordx8 s[8:15], s[4:5], 0x38
	s_branch .LBB1197_83
.LBB1197_75:
                                        ; implicit-def: $vgpr14
	s_load_dwordx8 s[8:15], s[4:5], 0x38
	s_cbranch_execz .LBB1197_83
; %bb.76:
	s_load_dword s0, s[4:5], 0x20
	s_waitcnt lgkmcnt(0)
	s_cmp_eq_u64 s[12:13], 0
	v_mov_b32_e32 v15, s0
	s_cbranch_scc1 .LBB1197_78
; %bb.77:
	v_mov_b32_e32 v15, s28
	v_add_co_u32_e64 v14, vcc, -2, s27
	v_addc_co_u32_e32 v15, vcc, -1, v15, vcc
	v_mov_b32_e32 v16, 0
	flat_load_ushort v17, v[14:15]
	global_load_ushort v18, v16, s[8:9]
	s_waitcnt vmcnt(0) lgkmcnt(0)
	v_add_u16_e32 v15, v18, v17
.LBB1197_78:
	v_add_u16_sdwa v14, v23, v11 dst_sel:DWORD dst_unused:UNUSED_PAD src0_sel:DWORD src1_sel:WORD_1
	v_add_u16_e32 v14, v14, v12
	v_add_u16_sdwa v14, v14, v12 dst_sel:DWORD dst_unused:UNUSED_PAD src0_sel:DWORD src1_sel:WORD_1
	v_add_u16_e32 v14, v14, v13
	;; [unrolled: 2-line block ×10, first 2 shown]
	v_add_u16_sdwa v16, v14, v5 dst_sel:DWORD dst_unused:UNUSED_PAD src0_sel:DWORD src1_sel:WORD_1
	v_mbcnt_hi_u32_b32 v14, -1, v22
	v_and_b32_e32 v17, 15, v14
	v_mov_b32_dpp v18, v16 row_shr:1 row_mask:0xf bank_mask:0xf
	v_cmp_ne_u32_e32 vcc, 0, v17
	v_cndmask_b32_e32 v18, 0, v18, vcc
	v_add_u16_e32 v16, v18, v16
	v_cmp_lt_u32_e32 vcc, 1, v17
	s_nop 0
	v_mov_b32_dpp v18, v16 row_shr:2 row_mask:0xf bank_mask:0xf
	v_cndmask_b32_e32 v18, 0, v18, vcc
	v_add_u16_e32 v16, v16, v18
	v_cmp_lt_u32_e32 vcc, 3, v17
	s_nop 0
	v_mov_b32_dpp v18, v16 row_shr:4 row_mask:0xf bank_mask:0xf
	v_cndmask_b32_e32 v18, 0, v18, vcc
	v_add_u16_e32 v16, v16, v18
	v_cmp_lt_u32_e32 vcc, 7, v17
	s_nop 0
	v_mov_b32_dpp v18, v16 row_shr:8 row_mask:0xf bank_mask:0xf
	v_cndmask_b32_e32 v17, 0, v18, vcc
	v_add_u16_e32 v16, v16, v17
	v_and_b32_e32 v18, 16, v14
	v_cmp_ne_u32_e32 vcc, 0, v18
	v_mov_b32_dpp v17, v16 row_bcast:15 row_mask:0xf bank_mask:0xf
	v_cndmask_b32_e32 v17, 0, v17, vcc
	v_add_u16_e32 v16, v16, v17
	v_cmp_lt_u32_e32 vcc, 31, v14
	s_nop 0
	v_mov_b32_dpp v17, v16 row_bcast:31 row_mask:0xf bank_mask:0xf
	v_cndmask_b32_e32 v17, 0, v17, vcc
	v_add_u16_e32 v16, v16, v17
	v_cmp_eq_u32_e32 vcc, 63, v0
	s_and_saveexec_b64 s[0:1], vcc
	s_cbranch_execz .LBB1197_80
; %bb.79:
	v_mov_b32_e32 v17, 0
	ds_write_b16 v17, v16
.LBB1197_80:
	s_or_b64 exec, exec, s[0:1]
	v_add_u32_e32 v17, -1, v14
	v_and_b32_e32 v18, 64, v14
	v_cmp_lt_i32_e32 vcc, v17, v18
	v_cndmask_b32_e32 v17, v17, v14, vcc
	v_add_u16_e32 v16, v16, v15
	v_lshlrev_b32_e32 v17, 2, v17
	ds_bpermute_b32 v16, v17, v16
	v_cmp_eq_u32_e32 vcc, 0, v14
	v_cmp_eq_u32_e64 s[0:1], 0, v0
	s_or_b64 vcc, s[0:1], vcc
	s_waitcnt lgkmcnt(0)
	v_cndmask_b32_e32 v14, v16, v15, vcc
	; wave barrier
	s_and_saveexec_b64 s[2:3], s[0:1]
	s_cbranch_execz .LBB1197_82
; %bb.81:
	v_mov_b32_e32 v14, 0
	ds_read_u16 v16, v14
	s_waitcnt lgkmcnt(0)
	v_add_u16_e32 v16, v16, v15
	v_or_b32_e32 v16, 0x20000, v16
	global_store_dword v14, v16, s[24:25] offset:256
	v_mov_b32_e32 v14, v15
.LBB1197_82:
	s_or_b64 exec, exec, s[2:3]
.LBB1197_83:
	v_add_u16_e32 v15, v14, v10
	v_add_u16_sdwa v16, v15, v10 dst_sel:DWORD dst_unused:UNUSED_PAD src0_sel:DWORD src1_sel:WORD_1
	v_add_u16_e32 v17, v16, v11
	v_add_u16_sdwa v19, v17, v11 dst_sel:DWORD dst_unused:UNUSED_PAD src0_sel:DWORD src1_sel:WORD_1
	;; [unrolled: 2-line block ×9, first 2 shown]
	v_add_u16_e32 v8, v2, v3
	s_add_u32 s0, s16, s22
	v_add_u16_sdwa v3, v8, v3 dst_sel:DWORD dst_unused:UNUSED_PAD src0_sel:DWORD src1_sel:WORD_1
	s_addc_u32 s1, s17, s23
	v_add_u16_e32 v9, v3, v4
	v_add_u16_sdwa v4, v9, v4 dst_sel:DWORD dst_unused:UNUSED_PAD src0_sel:DWORD src1_sel:WORD_1
	s_add_u32 s2, s0, s20
	v_add_u16_e32 v5, v4, v5
	s_addc_u32 s3, s1, s21
	s_mov_b64 s[0:1], -1
	s_and_b64 vcc, exec, s[18:19]
	s_waitcnt lgkmcnt(0)
	; wave barrier
	s_waitcnt lgkmcnt(0)
	s_cbranch_vccz .LBB1197_85
; %bb.84:
	s_mov_b32 s0, 0x5040100
	v_perm_b32 v31, v27, v25, s0
	v_perm_b32 v30, v23, v19, s0
	;; [unrolled: 1-line block ×4, first 2 shown]
	ds_write_b128 v1, v[28:31]
	v_perm_b32 v31, v26, v24, s0
	v_perm_b32 v30, v22, v18, s0
	;; [unrolled: 1-line block ×4, first 2 shown]
	ds_write_b128 v1, v[28:31] offset:16
	v_perm_b32 v31, v5, v4, s0
	v_perm_b32 v30, v9, v3, s0
	v_perm_b32 v29, v8, v2, s0
	v_perm_b32 v28, v7, v6, s0
	ds_write_b128 v1, v[28:31] offset:32
	s_waitcnt lgkmcnt(0)
	; wave barrier
	s_waitcnt lgkmcnt(0)
	ds_read_u16 v30, v20
	ds_read_u16 v31, v20 offset:128
	ds_read_u16 v32, v20 offset:256
	ds_read_u16 v33, v20 offset:384
	ds_read_u16 v34, v20 offset:512
	ds_read_u16 v35, v20 offset:640
	ds_read_u16 v36, v20 offset:768
	ds_read_u16 v37, v20 offset:896
	ds_read_u16 v38, v20 offset:1024
	ds_read_u16 v39, v20 offset:1152
	ds_read_u16 v40, v20 offset:1280
	ds_read_u16 v41, v20 offset:1408
	ds_read_u16 v42, v20 offset:1536
	ds_read_u16 v43, v20 offset:1664
	ds_read_u16 v44, v20 offset:1792
	ds_read_u16 v45, v20 offset:1920
	ds_read_u16 v46, v20 offset:2048
	ds_read_u16 v47, v20 offset:2176
	ds_read_u16 v48, v20 offset:2304
	ds_read_u16 v49, v20 offset:2432
	ds_read_u16 v50, v20 offset:2560
	ds_read_u16 v51, v20 offset:2688
	ds_read_u16 v52, v20 offset:2816
	ds_read_u16 v53, v20 offset:2944
	v_mov_b32_e32 v29, s3
	v_add_co_u32_e32 v28, vcc, s2, v20
	v_addc_co_u32_e32 v29, vcc, 0, v29, vcc
	s_waitcnt lgkmcnt(14)
	flat_store_short v[28:29], v30
	flat_store_short v[28:29], v31 offset:128
	flat_store_short v[28:29], v32 offset:256
	flat_store_short v[28:29], v33 offset:384
	flat_store_short v[28:29], v34 offset:512
	flat_store_short v[28:29], v35 offset:640
	flat_store_short v[28:29], v36 offset:768
	flat_store_short v[28:29], v37 offset:896
	flat_store_short v[28:29], v38 offset:1024
	flat_store_short v[28:29], v39 offset:1152
	s_waitcnt lgkmcnt(0)
	flat_store_short v[28:29], v40 offset:1280
	flat_store_short v[28:29], v41 offset:1408
	;; [unrolled: 1-line block ×14, first 2 shown]
	s_mov_b64 s[0:1], 0
.LBB1197_85:
	s_andn2_b64 vcc, exec, s[0:1]
	s_cbranch_vccnz .LBB1197_142
; %bb.86:
	s_mov_b32 s0, 0x5040100
	v_perm_b32 v31, v27, v25, s0
	v_perm_b32 v30, v23, v19, s0
	;; [unrolled: 1-line block ×12, first 2 shown]
	ds_write_b128 v1, v[28:31]
	ds_write_b128 v1, v[12:15] offset:16
	ds_write_b128 v1, v[2:5] offset:32
	s_waitcnt lgkmcnt(0)
	; wave barrier
	s_waitcnt lgkmcnt(0)
	ds_read_u16 v5, v20
	ds_read_u16 v4, v20 offset:128
	ds_read_u16 v7, v20 offset:256
	;; [unrolled: 1-line block ×23, first 2 shown]
	v_mov_b32_e32 v3, s3
	v_add_co_u32_e32 v2, vcc, s2, v20
	v_addc_co_u32_e32 v3, vcc, 0, v3, vcc
	v_mov_b32_e32 v1, 0
	v_cmp_gt_u32_e32 vcc, s7, v0
	s_and_saveexec_b64 s[0:1], vcc
	s_cbranch_execz .LBB1197_88
; %bb.87:
	s_waitcnt lgkmcnt(0)
	flat_store_short v[2:3], v5
.LBB1197_88:
	s_or_b64 exec, exec, s[0:1]
	v_or_b32_e32 v20, 64, v0
	v_cmp_gt_u32_e32 vcc, s7, v20
	s_and_saveexec_b64 s[0:1], vcc
	s_cbranch_execz .LBB1197_90
; %bb.89:
	s_waitcnt lgkmcnt(0)
	flat_store_short v[2:3], v4 offset:128
.LBB1197_90:
	s_or_b64 exec, exec, s[0:1]
	v_or_b32_e32 v20, 0x80, v0
	v_cmp_gt_u32_e32 vcc, s7, v20
	s_and_saveexec_b64 s[0:1], vcc
	s_cbranch_execz .LBB1197_92
; %bb.91:
	s_waitcnt lgkmcnt(0)
	flat_store_short v[2:3], v7 offset:256
.LBB1197_92:
	;; [unrolled: 9-line block ×23, first 2 shown]
	s_or_b64 exec, exec, s[0:1]
	v_cmp_lt_u64_e64 s[0:1], s[14:15], 2
	s_and_b64 vcc, exec, s[0:1]
	s_cbranch_vccnz .LBB1197_142
; %bb.135:
	s_add_u32 s0, s7, -1
	s_addc_u32 s1, s26, -1
	s_add_u32 s2, 0, 0xaaaa0000
	s_addc_u32 s3, 0, 42
	s_add_i32 s3, s3, 0xaaaaa80
	s_mul_hi_u32 s7, s2, 0xffffffe8
	s_sub_i32 s7, s7, s2
	s_mul_i32 s8, s3, 0xffffffe8
	s_mul_i32 s4, s2, 0xffffffe8
	s_add_i32 s7, s7, s8
	s_mul_hi_u32 s5, s3, s4
	s_mul_i32 s6, s3, s4
	s_mul_i32 s9, s2, s7
	s_mul_hi_u32 s4, s2, s4
	s_mul_hi_u32 s8, s2, s7
	s_add_u32 s4, s4, s9
	s_addc_u32 s8, 0, s8
	s_add_u32 s4, s4, s6
	s_mul_hi_u32 s9, s3, s7
	s_addc_u32 s4, s8, s5
	s_addc_u32 s5, s9, 0
	s_mul_i32 s6, s3, s7
	s_add_u32 s4, s4, s6
	v_mov_b32_e32 v2, s4
	s_addc_u32 s5, 0, s5
	v_add_co_u32_e32 v2, vcc, s2, v2
	s_cmp_lg_u64 vcc, 0
	s_addc_u32 s2, s3, s5
	v_readfirstlane_b32 s5, v2
	s_mul_i32 s4, s0, s2
	s_mul_hi_u32 s6, s0, s5
	s_mul_hi_u32 s3, s0, s2
	s_add_u32 s4, s6, s4
	s_addc_u32 s3, 0, s3
	s_mul_hi_u32 s7, s1, s5
	s_mul_i32 s5, s1, s5
	s_add_u32 s4, s4, s5
	s_mul_hi_u32 s6, s1, s2
	s_addc_u32 s3, s3, s7
	s_addc_u32 s4, s6, 0
	s_mul_i32 s2, s1, s2
	s_add_u32 s2, s3, s2
	s_addc_u32 s3, 0, s4
	s_add_u32 s4, s2, 1
	s_addc_u32 s5, s3, 0
	s_add_u32 s6, s2, 2
	s_mul_i32 s8, s3, 24
	s_mul_hi_u32 s9, s2, 24
	s_addc_u32 s7, s3, 0
	s_add_i32 s9, s9, s8
	s_mul_i32 s8, s2, 24
	v_mov_b32_e32 v2, s8
	v_sub_co_u32_e32 v2, vcc, s0, v2
	s_cmp_lg_u64 vcc, 0
	s_subb_u32 s8, s1, s9
	v_subrev_co_u32_e32 v3, vcc, 24, v2
	s_cmp_lg_u64 vcc, 0
	s_subb_u32 s9, s8, 0
	v_readfirstlane_b32 s12, v3
	s_cmp_gt_u32 s12, 23
	s_cselect_b32 s12, -1, 0
	s_cmp_eq_u32 s9, 0
	s_cselect_b32 s9, s12, -1
	s_cmp_lg_u32 s9, 0
	s_cselect_b32 s4, s6, s4
	v_readfirstlane_b32 s6, v2
	s_cselect_b32 s5, s7, s5
	s_cmp_gt_u32 s6, 23
	s_cselect_b32 s6, -1, 0
	s_cmp_eq_u32 s8, 0
	s_cselect_b32 s6, s6, -1
	s_cmp_lg_u32 s6, 0
	s_cselect_b32 s3, s5, s3
	s_cselect_b32 s2, s4, s2
	v_cmp_eq_u64_e32 vcc, s[2:3], v[0:1]
	s_and_saveexec_b64 s[2:3], vcc
	s_cbranch_execz .LBB1197_142
; %bb.136:
	v_mul_hi_u32_u24_e32 v1, 24, v0
	v_mov_b32_e32 v2, s1
	v_sub_co_u32_e32 v0, vcc, s0, v21
	v_subb_co_u32_e32 v1, vcc, v2, v1, vcc
	v_cmp_lt_i64_e32 vcc, 11, v[0:1]
	s_mov_b64 s[0:1], 0
	s_mov_b64 s[8:9], 0
	;; [unrolled: 1-line block ×4, first 2 shown]
	s_and_saveexec_b64 s[2:3], vcc
	s_xor_b64 s[2:3], exec, s[2:3]
	s_cbranch_execnz .LBB1197_143
; %bb.137:
	s_andn2_saveexec_b64 s[2:3], s[2:3]
	s_cbranch_execnz .LBB1197_188
.LBB1197_138:
	s_or_b64 exec, exec, s[2:3]
	s_and_saveexec_b64 s[2:3], s[8:9]
	s_cbranch_execnz .LBB1197_205
.LBB1197_139:
	s_or_b64 exec, exec, s[2:3]
	s_and_saveexec_b64 s[2:3], s[6:7]
	s_cbranch_execnz .LBB1197_206
.LBB1197_140:
	s_or_b64 exec, exec, s[2:3]
	s_and_saveexec_b64 s[2:3], s[4:5]
	s_xor_b64 s[2:3], exec, s[2:3]
	s_cbranch_execnz .LBB1197_207
.LBB1197_141:
	s_or_b64 exec, exec, s[2:3]
	s_and_b64 exec, exec, s[0:1]
	s_cbranch_execnz .LBB1197_208
.LBB1197_142:
	s_endpgm
.LBB1197_143:
	v_cmp_lt_i64_e32 vcc, 17, v[0:1]
	s_and_saveexec_b64 s[12:13], vcc
	s_xor_b64 s[12:13], exec, s[12:13]
	s_cbranch_execz .LBB1197_165
; %bb.144:
	v_cmp_lt_i64_e32 vcc, 20, v[0:1]
                                        ; implicit-def: $vgpr10
	s_and_saveexec_b64 s[14:15], vcc
	s_xor_b64 s[14:15], exec, s[14:15]
	s_cbranch_execz .LBB1197_154
; %bb.145:
	v_cmp_lt_i64_e32 vcc, 21, v[0:1]
	s_mov_b64 s[16:17], 0
                                        ; implicit-def: $vgpr10
	s_and_saveexec_b64 s[4:5], vcc
	s_xor_b64 s[4:5], exec, s[4:5]
	s_cbranch_execz .LBB1197_151
; %bb.146:
	v_cmp_lt_i64_e32 vcc, 22, v[0:1]
	s_and_saveexec_b64 s[16:17], vcc
	s_xor_b64 s[16:17], exec, s[16:17]
	s_cbranch_execz .LBB1197_148
; %bb.147:
	v_mov_b32_e32 v2, 0
	s_waitcnt lgkmcnt(0)
	global_store_short v2, v29, s[10:11]
                                        ; implicit-def: $vgpr28
.LBB1197_148:
	s_or_saveexec_b64 s[16:17], s[16:17]
	s_mov_b64 s[18:19], 0
	s_xor_b64 exec, exec, s[16:17]
; %bb.149:
	s_mov_b64 s[18:19], exec
; %bb.150:
	s_or_b64 exec, exec, s[16:17]
	s_and_b64 s[16:17], s[18:19], exec
	s_waitcnt lgkmcnt(0)
	v_mov_b32_e32 v10, v28
                                        ; implicit-def: $vgpr11
.LBB1197_151:
	s_andn2_saveexec_b64 s[4:5], s[4:5]
; %bb.152:
	s_mov_b64 s[6:7], exec
                                        ; implicit-def: $vgpr10
; %bb.153:
	s_or_b64 exec, exec, s[4:5]
	s_and_b64 s[4:5], s[16:17], exec
	s_and_b64 s[6:7], s[6:7], exec
                                        ; implicit-def: $vgpr26
                                        ; implicit-def: $vgpr12
                                        ; implicit-def: $vgpr23
.LBB1197_154:
	s_andn2_saveexec_b64 s[14:15], s[14:15]
	s_cbranch_execz .LBB1197_164
; %bb.155:
	v_cmp_lt_i64_e32 vcc, 18, v[0:1]
	s_mov_b64 s[16:17], 0
	s_and_saveexec_b64 s[8:9], vcc
	s_xor_b64 s[8:9], exec, s[8:9]
	s_cbranch_execz .LBB1197_161
; %bb.156:
	v_cmp_lt_i64_e32 vcc, 19, v[0:1]
	s_and_saveexec_b64 s[18:19], vcc
	s_xor_b64 s[18:19], exec, s[18:19]
; %bb.157:
	s_mov_b64 s[16:17], exec
                                        ; implicit-def: $vgpr23
; %bb.158:
	s_andn2_saveexec_b64 s[18:19], s[18:19]
	s_cbranch_execz .LBB1197_160
; %bb.159:
	v_mov_b32_e32 v2, 0
	s_waitcnt lgkmcnt(0)
	global_store_short v2, v23, s[10:11]
                                        ; implicit-def: $vgpr12
.LBB1197_160:
	s_or_b64 exec, exec, s[18:19]
	s_and_b64 s[16:17], s[16:17], exec
                                        ; implicit-def: $vgpr26
.LBB1197_161:
	s_andn2_saveexec_b64 s[8:9], s[8:9]
	s_cbranch_execz .LBB1197_163
; %bb.162:
	v_mov_b32_e32 v2, 0
	s_waitcnt lgkmcnt(0)
	global_store_short v2, v26, s[10:11]
                                        ; implicit-def: $vgpr12
.LBB1197_163:
	s_or_b64 exec, exec, s[8:9]
	s_and_b64 s[8:9], s[16:17], exec
                                        ; implicit-def: $vgpr10
                                        ; implicit-def: $vgpr11
.LBB1197_164:
	s_or_b64 exec, exec, s[14:15]
	s_and_b64 s[4:5], s[4:5], exec
	s_and_b64 s[6:7], s[6:7], exec
	;; [unrolled: 1-line block ×3, first 2 shown]
                                        ; implicit-def: $vgpr18
                                        ; implicit-def: $vgpr13
                                        ; implicit-def: $vgpr14
                                        ; implicit-def: $vgpr24
                                        ; implicit-def: $vgpr27
.LBB1197_165:
	s_andn2_saveexec_b64 s[12:13], s[12:13]
	s_cbranch_execz .LBB1197_187
; %bb.166:
	v_cmp_lt_i64_e32 vcc, 14, v[0:1]
	s_mov_b64 s[14:15], s[4:5]
	s_and_saveexec_b64 s[16:17], vcc
	s_xor_b64 s[16:17], exec, s[16:17]
	s_cbranch_execz .LBB1197_176
; %bb.167:
	v_cmp_lt_i64_e32 vcc, 15, v[0:1]
	s_and_saveexec_b64 s[14:15], vcc
	s_xor_b64 s[14:15], exec, s[14:15]
	s_cbranch_execz .LBB1197_173
; %bb.168:
	v_cmp_lt_i64_e32 vcc, 16, v[0:1]
	s_and_saveexec_b64 s[18:19], vcc
	s_xor_b64 s[18:19], exec, s[18:19]
	s_cbranch_execz .LBB1197_170
; %bb.169:
	v_mov_b32_e32 v2, 0
	s_waitcnt lgkmcnt(0)
	global_store_short v2, v27, s[10:11]
                                        ; implicit-def: $vgpr24
.LBB1197_170:
	s_andn2_saveexec_b64 s[18:19], s[18:19]
	s_cbranch_execz .LBB1197_172
; %bb.171:
	v_mov_b32_e32 v2, 0
	s_waitcnt lgkmcnt(0)
	global_store_short v2, v24, s[10:11]
.LBB1197_172:
	s_or_b64 exec, exec, s[18:19]
                                        ; implicit-def: $vgpr10
.LBB1197_173:
	s_or_saveexec_b64 s[14:15], s[14:15]
	s_mov_b64 s[18:19], s[4:5]
	s_xor_b64 exec, exec, s[14:15]
; %bb.174:
	s_or_b64 s[18:19], s[4:5], exec
; %bb.175:
	s_or_b64 exec, exec, s[14:15]
	s_andn2_b64 s[14:15], s[4:5], exec
	s_and_b64 s[18:19], s[18:19], exec
	s_or_b64 s[14:15], s[14:15], s[18:19]
                                        ; implicit-def: $vgpr18
                                        ; implicit-def: $vgpr13
                                        ; implicit-def: $vgpr14
.LBB1197_176:
	s_or_saveexec_b64 s[16:17], s[16:17]
	s_mov_b64 s[18:19], s[6:7]
                                        ; implicit-def: $vgpr11
	s_xor_b64 exec, exec, s[16:17]
	s_cbranch_execz .LBB1197_186
; %bb.177:
	v_cmp_lt_i64_e32 vcc, 12, v[0:1]
	s_mov_b64 s[20:21], s[6:7]
	s_mov_b64 s[22:23], s[14:15]
                                        ; implicit-def: $vgpr10
                                        ; implicit-def: $vgpr11
	s_and_saveexec_b64 s[18:19], vcc
	s_xor_b64 s[18:19], exec, s[18:19]
	s_cbranch_execz .LBB1197_183
; %bb.178:
	v_cmp_lt_i64_e32 vcc, 13, v[0:1]
	s_mov_b64 s[20:21], s[14:15]
	s_and_saveexec_b64 s[22:23], vcc
	s_xor_b64 s[22:23], exec, s[22:23]
; %bb.179:
	s_or_b64 s[20:21], s[14:15], exec
                                        ; implicit-def: $vgpr13
; %bb.180:
	s_or_saveexec_b64 s[22:23], s[22:23]
	s_mov_b64 s[24:25], s[6:7]
	s_xor_b64 exec, exec, s[22:23]
; %bb.181:
	s_or_b64 s[24:25], s[6:7], exec
                                        ; implicit-def: $vgpr14
; %bb.182:
	s_or_b64 exec, exec, s[22:23]
	s_andn2_b64 s[22:23], s[14:15], exec
	s_and_b64 s[20:21], s[20:21], exec
	s_or_b64 s[22:23], s[22:23], s[20:21]
	s_andn2_b64 s[20:21], s[6:7], exec
	s_and_b64 s[24:25], s[24:25], exec
	s_or_b64 s[20:21], s[20:21], s[24:25]
	s_waitcnt lgkmcnt(0)
	v_mov_b32_e32 v10, v14
	v_mov_b32_e32 v11, v13
                                        ; implicit-def: $vgpr18
.LBB1197_183:
	s_andn2_saveexec_b64 s[18:19], s[18:19]
	s_cbranch_execz .LBB1197_185
; %bb.184:
	s_or_b64 s[20:21], s[20:21], exec
                                        ; implicit-def: $vgpr10
	s_waitcnt lgkmcnt(0)
	v_mov_b32_e32 v11, v18
.LBB1197_185:
	s_or_b64 exec, exec, s[18:19]
	s_andn2_b64 s[14:15], s[14:15], exec
	s_and_b64 s[18:19], s[22:23], exec
	s_or_b64 s[14:15], s[14:15], s[18:19]
	s_andn2_b64 s[18:19], s[6:7], exec
	s_and_b64 s[20:21], s[20:21], exec
	s_or_b64 s[18:19], s[18:19], s[20:21]
.LBB1197_186:
	s_or_b64 exec, exec, s[16:17]
	s_andn2_b64 s[4:5], s[4:5], exec
	s_and_b64 s[14:15], s[14:15], exec
	s_or_b64 s[4:5], s[4:5], s[14:15]
	s_andn2_b64 s[6:7], s[6:7], exec
	s_and_b64 s[14:15], s[18:19], exec
	s_or_b64 s[6:7], s[6:7], s[14:15]
                                        ; implicit-def: $vgpr12
.LBB1197_187:
	s_or_b64 exec, exec, s[12:13]
	s_and_b64 s[4:5], s[4:5], exec
	s_and_b64 s[6:7], s[6:7], exec
	;; [unrolled: 1-line block ×3, first 2 shown]
                                        ; implicit-def: $vgpr17
                                        ; implicit-def: $vgpr15
                                        ; implicit-def: $vgpr16
                                        ; implicit-def: $vgpr25
                                        ; implicit-def: $vgpr22
                                        ; implicit-def: $vgpr19
	s_andn2_saveexec_b64 s[2:3], s[2:3]
	s_cbranch_execz .LBB1197_138
.LBB1197_188:
	v_cmp_lt_i64_e32 vcc, 5, v[0:1]
	s_mov_b64 s[14:15], -1
	s_mov_b64 s[12:13], s[8:9]
	s_mov_b64 s[16:17], s[6:7]
	;; [unrolled: 1-line block ×3, first 2 shown]
                                        ; implicit-def: $vgpr10
                                        ; implicit-def: $vgpr11
                                        ; implicit-def: $vgpr12
	s_and_saveexec_b64 s[0:1], vcc
	s_cbranch_execz .LBB1197_204
; %bb.189:
	v_cmp_lt_i64_e32 vcc, 8, v[0:1]
	s_mov_b64 s[12:13], s[8:9]
                                        ; implicit-def: $vgpr12
	s_and_saveexec_b64 s[14:15], vcc
	s_xor_b64 s[14:15], exec, s[14:15]
	s_cbranch_execz .LBB1197_199
; %bb.190:
	v_cmp_lt_i64_e32 vcc, 9, v[0:1]
	s_and_saveexec_b64 s[12:13], vcc
	s_xor_b64 s[12:13], exec, s[12:13]
	s_cbranch_execz .LBB1197_196
; %bb.191:
	v_cmp_lt_i64_e32 vcc, 10, v[0:1]
	s_and_saveexec_b64 s[16:17], vcc
	s_xor_b64 s[16:17], exec, s[16:17]
; %bb.192:
                                        ; implicit-def: $vgpr22
; %bb.193:
	s_andn2_saveexec_b64 s[16:17], s[16:17]
	s_cbranch_execz .LBB1197_195
; %bb.194:
	s_waitcnt lgkmcnt(0)
	v_mov_b32_e32 v19, v22
.LBB1197_195:
	s_or_b64 exec, exec, s[16:17]
                                        ; implicit-def: $vgpr25
.LBB1197_196:
	s_andn2_saveexec_b64 s[12:13], s[12:13]
	s_cbranch_execz .LBB1197_198
; %bb.197:
	s_waitcnt lgkmcnt(0)
	v_mov_b32_e32 v19, v25
.LBB1197_198:
	s_or_b64 exec, exec, s[12:13]
	s_or_b64 s[12:13], s[8:9], exec
	s_waitcnt lgkmcnt(0)
	v_mov_b32_e32 v12, v19
                                        ; implicit-def: $vgpr17
                                        ; implicit-def: $vgpr15
                                        ; implicit-def: $vgpr16
.LBB1197_199:
	s_or_saveexec_b64 s[14:15], s[14:15]
	s_mov_b64 s[16:17], s[6:7]
	s_mov_b64 s[20:21], s[4:5]
                                        ; implicit-def: $vgpr10
                                        ; implicit-def: $vgpr11
	s_xor_b64 exec, exec, s[14:15]
	s_cbranch_execz .LBB1197_203
; %bb.200:
	v_cmp_lt_i64_e32 vcc, 6, v[0:1]
	s_mov_b64 s[20:21], -1
	s_mov_b64 s[18:19], s[12:13]
	s_mov_b64 s[16:17], s[6:7]
	s_and_saveexec_b64 s[22:23], vcc
; %bb.201:
	v_cmp_lt_i64_e32 vcc, 7, v[0:1]
	s_andn2_b64 s[18:19], s[12:13], exec
	s_and_b64 s[24:25], vcc, exec
	s_xor_b64 s[20:21], exec, -1
	s_or_b64 s[16:17], s[6:7], exec
	s_or_b64 s[18:19], s[18:19], s[24:25]
                                        ; implicit-def: $vgpr17
; %bb.202:
	s_or_b64 exec, exec, s[22:23]
	s_andn2_b64 s[22:23], s[4:5], exec
	s_and_b64 s[20:21], s[20:21], exec
	s_or_b64 s[20:21], s[22:23], s[20:21]
	s_andn2_b64 s[22:23], s[6:7], exec
	s_and_b64 s[16:17], s[16:17], exec
	s_andn2_b64 s[12:13], s[12:13], exec
	s_and_b64 s[18:19], s[18:19], exec
	s_or_b64 s[16:17], s[22:23], s[16:17]
	s_or_b64 s[12:13], s[12:13], s[18:19]
	s_waitcnt lgkmcnt(0)
	v_mov_b32_e32 v10, v17
	v_mov_b32_e32 v11, v15
	;; [unrolled: 1-line block ×3, first 2 shown]
.LBB1197_203:
	s_or_b64 exec, exec, s[14:15]
	s_andn2_b64 s[18:19], s[4:5], exec
	s_and_b64 s[20:21], s[20:21], exec
	s_or_b64 s[18:19], s[18:19], s[20:21]
	s_andn2_b64 s[20:21], s[6:7], exec
	s_and_b64 s[16:17], s[16:17], exec
	s_or_b64 s[16:17], s[20:21], s[16:17]
	s_andn2_b64 s[20:21], s[8:9], exec
	s_and_b64 s[12:13], s[12:13], exec
	s_xor_b64 s[14:15], exec, -1
	s_or_b64 s[12:13], s[20:21], s[12:13]
.LBB1197_204:
	s_or_b64 exec, exec, s[0:1]
	s_and_b64 s[0:1], s[14:15], exec
	s_andn2_b64 s[4:5], s[4:5], exec
	s_and_b64 s[14:15], s[18:19], exec
	s_or_b64 s[4:5], s[4:5], s[14:15]
	s_andn2_b64 s[6:7], s[6:7], exec
	s_and_b64 s[14:15], s[16:17], exec
	s_andn2_b64 s[8:9], s[8:9], exec
	s_and_b64 s[12:13], s[12:13], exec
	s_or_b64 s[6:7], s[6:7], s[14:15]
	s_or_b64 s[8:9], s[8:9], s[12:13]
	s_or_b64 exec, exec, s[2:3]
	s_and_saveexec_b64 s[2:3], s[8:9]
	s_cbranch_execz .LBB1197_139
.LBB1197_205:
	v_mov_b32_e32 v2, 0
	s_andn2_b64 s[6:7], s[6:7], exec
	s_waitcnt lgkmcnt(0)
	global_store_short v2, v12, s[10:11]
                                        ; implicit-def: $vgpr10
                                        ; implicit-def: $vgpr11
	s_or_b64 exec, exec, s[2:3]
	s_and_saveexec_b64 s[2:3], s[6:7]
	s_cbranch_execz .LBB1197_140
.LBB1197_206:
	v_mov_b32_e32 v2, 0
	s_waitcnt lgkmcnt(0)
	global_store_short v2, v11, s[10:11]
                                        ; implicit-def: $vgpr10
	s_or_b64 exec, exec, s[2:3]
	s_and_saveexec_b64 s[2:3], s[4:5]
	s_xor_b64 s[2:3], exec, s[2:3]
	s_cbranch_execz .LBB1197_141
.LBB1197_207:
	v_mov_b32_e32 v2, 0
	s_waitcnt lgkmcnt(0)
	global_store_short v2, v10, s[10:11]
	s_or_b64 exec, exec, s[2:3]
	s_and_b64 exec, exec, s[0:1]
	s_cbranch_execz .LBB1197_142
.LBB1197_208:
	v_cmp_lt_i64_e32 vcc, 2, v[0:1]
	s_and_saveexec_b64 s[0:1], vcc
	s_xor_b64 s[0:1], exec, s[0:1]
	s_cbranch_execz .LBB1197_218
; %bb.209:
	v_cmp_lt_i64_e32 vcc, 3, v[0:1]
	s_and_saveexec_b64 s[2:3], vcc
	s_xor_b64 s[2:3], exec, s[2:3]
	s_cbranch_execz .LBB1197_215
; %bb.210:
	;; [unrolled: 5-line block ×3, first 2 shown]
	v_mov_b32_e32 v0, 0
	s_waitcnt lgkmcnt(0)
	global_store_short v0, v9, s[10:11]
                                        ; implicit-def: $vgpr6
.LBB1197_212:
	s_andn2_saveexec_b64 s[4:5], s[4:5]
	s_cbranch_execz .LBB1197_214
; %bb.213:
	v_mov_b32_e32 v0, 0
	s_waitcnt lgkmcnt(0)
	global_store_short v0, v6, s[10:11]
.LBB1197_214:
	s_or_b64 exec, exec, s[4:5]
                                        ; implicit-def: $vgpr8
.LBB1197_215:
	s_andn2_saveexec_b64 s[2:3], s[2:3]
	s_cbranch_execz .LBB1197_217
; %bb.216:
	v_mov_b32_e32 v0, 0
	s_waitcnt lgkmcnt(0)
	global_store_short v0, v8, s[10:11]
.LBB1197_217:
	s_or_b64 exec, exec, s[2:3]
                                        ; implicit-def: $vgpr0_vgpr1
                                        ; implicit-def: $vgpr7
                                        ; implicit-def: $vgpr4
                                        ; implicit-def: $vgpr5
.LBB1197_218:
	s_andn2_saveexec_b64 s[0:1], s[0:1]
	s_cbranch_execz .LBB1197_142
; %bb.219:
	v_cmp_lt_i64_e32 vcc, 1, v[0:1]
	s_and_saveexec_b64 s[0:1], vcc
	s_xor_b64 s[0:1], exec, s[0:1]
	s_cbranch_execz .LBB1197_221
; %bb.220:
	v_mov_b32_e32 v0, 0
	s_waitcnt lgkmcnt(0)
	global_store_short v0, v7, s[10:11]
                                        ; implicit-def: $vgpr4
                                        ; implicit-def: $vgpr0_vgpr1
                                        ; implicit-def: $vgpr5
.LBB1197_221:
	s_andn2_saveexec_b64 s[0:1], s[0:1]
	s_cbranch_execz .LBB1197_142
; %bb.222:
	v_cmp_ne_u64_e32 vcc, 1, v[0:1]
	s_and_saveexec_b64 s[0:1], vcc
	s_xor_b64 s[0:1], exec, s[0:1]
	s_cbranch_execz .LBB1197_224
; %bb.223:
	v_mov_b32_e32 v0, 0
	s_waitcnt lgkmcnt(0)
	global_store_short v0, v5, s[10:11]
                                        ; implicit-def: $vgpr4
.LBB1197_224:
	s_andn2_saveexec_b64 s[0:1], s[0:1]
	s_cbranch_execz .LBB1197_142
; %bb.225:
	v_mov_b32_e32 v0, 0
	s_waitcnt lgkmcnt(0)
	global_store_short v0, v4, s[10:11]
	s_endpgm
	.section	.rodata,"a",@progbits
	.p2align	6, 0x0
	.amdhsa_kernel _ZN7rocprim17ROCPRIM_400000_NS6detail17trampoline_kernelINS0_14default_configENS1_20scan_config_selectorIsEEZZNS1_9scan_implILNS1_25lookback_scan_determinismE0ELb1ELb1ES3_N6thrust23THRUST_200600_302600_NS6detail15normal_iteratorINS9_10device_ptrIsEEEESE_sNS9_4plusIsEEsEEDaPvRmT3_T4_T5_mT6_P12ihipStream_tbENKUlT_T0_E_clISt17integral_constantIbLb0EESU_EEDaSP_SQ_EUlSP_E_NS1_11comp_targetILNS1_3genE4ELNS1_11target_archE910ELNS1_3gpuE8ELNS1_3repE0EEENS1_30default_config_static_selectorELNS0_4arch9wavefront6targetE1EEEvT1_
		.amdhsa_group_segment_fixed_size 3072
		.amdhsa_private_segment_fixed_size 0
		.amdhsa_kernarg_size 96
		.amdhsa_user_sgpr_count 6
		.amdhsa_user_sgpr_private_segment_buffer 1
		.amdhsa_user_sgpr_dispatch_ptr 0
		.amdhsa_user_sgpr_queue_ptr 0
		.amdhsa_user_sgpr_kernarg_segment_ptr 1
		.amdhsa_user_sgpr_dispatch_id 0
		.amdhsa_user_sgpr_flat_scratch_init 0
		.amdhsa_user_sgpr_kernarg_preload_length 0
		.amdhsa_user_sgpr_kernarg_preload_offset 0
		.amdhsa_user_sgpr_private_segment_size 0
		.amdhsa_uses_dynamic_stack 0
		.amdhsa_system_sgpr_private_segment_wavefront_offset 0
		.amdhsa_system_sgpr_workgroup_id_x 1
		.amdhsa_system_sgpr_workgroup_id_y 0
		.amdhsa_system_sgpr_workgroup_id_z 0
		.amdhsa_system_sgpr_workgroup_info 0
		.amdhsa_system_vgpr_workitem_id 0
		.amdhsa_next_free_vgpr 54
		.amdhsa_next_free_sgpr 29
		.amdhsa_accum_offset 56
		.amdhsa_reserve_vcc 1
		.amdhsa_reserve_flat_scratch 0
		.amdhsa_float_round_mode_32 0
		.amdhsa_float_round_mode_16_64 0
		.amdhsa_float_denorm_mode_32 3
		.amdhsa_float_denorm_mode_16_64 3
		.amdhsa_dx10_clamp 1
		.amdhsa_ieee_mode 1
		.amdhsa_fp16_overflow 0
		.amdhsa_tg_split 0
		.amdhsa_exception_fp_ieee_invalid_op 0
		.amdhsa_exception_fp_denorm_src 0
		.amdhsa_exception_fp_ieee_div_zero 0
		.amdhsa_exception_fp_ieee_overflow 0
		.amdhsa_exception_fp_ieee_underflow 0
		.amdhsa_exception_fp_ieee_inexact 0
		.amdhsa_exception_int_div_zero 0
	.end_amdhsa_kernel
	.section	.text._ZN7rocprim17ROCPRIM_400000_NS6detail17trampoline_kernelINS0_14default_configENS1_20scan_config_selectorIsEEZZNS1_9scan_implILNS1_25lookback_scan_determinismE0ELb1ELb1ES3_N6thrust23THRUST_200600_302600_NS6detail15normal_iteratorINS9_10device_ptrIsEEEESE_sNS9_4plusIsEEsEEDaPvRmT3_T4_T5_mT6_P12ihipStream_tbENKUlT_T0_E_clISt17integral_constantIbLb0EESU_EEDaSP_SQ_EUlSP_E_NS1_11comp_targetILNS1_3genE4ELNS1_11target_archE910ELNS1_3gpuE8ELNS1_3repE0EEENS1_30default_config_static_selectorELNS0_4arch9wavefront6targetE1EEEvT1_,"axG",@progbits,_ZN7rocprim17ROCPRIM_400000_NS6detail17trampoline_kernelINS0_14default_configENS1_20scan_config_selectorIsEEZZNS1_9scan_implILNS1_25lookback_scan_determinismE0ELb1ELb1ES3_N6thrust23THRUST_200600_302600_NS6detail15normal_iteratorINS9_10device_ptrIsEEEESE_sNS9_4plusIsEEsEEDaPvRmT3_T4_T5_mT6_P12ihipStream_tbENKUlT_T0_E_clISt17integral_constantIbLb0EESU_EEDaSP_SQ_EUlSP_E_NS1_11comp_targetILNS1_3genE4ELNS1_11target_archE910ELNS1_3gpuE8ELNS1_3repE0EEENS1_30default_config_static_selectorELNS0_4arch9wavefront6targetE1EEEvT1_,comdat
.Lfunc_end1197:
	.size	_ZN7rocprim17ROCPRIM_400000_NS6detail17trampoline_kernelINS0_14default_configENS1_20scan_config_selectorIsEEZZNS1_9scan_implILNS1_25lookback_scan_determinismE0ELb1ELb1ES3_N6thrust23THRUST_200600_302600_NS6detail15normal_iteratorINS9_10device_ptrIsEEEESE_sNS9_4plusIsEEsEEDaPvRmT3_T4_T5_mT6_P12ihipStream_tbENKUlT_T0_E_clISt17integral_constantIbLb0EESU_EEDaSP_SQ_EUlSP_E_NS1_11comp_targetILNS1_3genE4ELNS1_11target_archE910ELNS1_3gpuE8ELNS1_3repE0EEENS1_30default_config_static_selectorELNS0_4arch9wavefront6targetE1EEEvT1_, .Lfunc_end1197-_ZN7rocprim17ROCPRIM_400000_NS6detail17trampoline_kernelINS0_14default_configENS1_20scan_config_selectorIsEEZZNS1_9scan_implILNS1_25lookback_scan_determinismE0ELb1ELb1ES3_N6thrust23THRUST_200600_302600_NS6detail15normal_iteratorINS9_10device_ptrIsEEEESE_sNS9_4plusIsEEsEEDaPvRmT3_T4_T5_mT6_P12ihipStream_tbENKUlT_T0_E_clISt17integral_constantIbLb0EESU_EEDaSP_SQ_EUlSP_E_NS1_11comp_targetILNS1_3genE4ELNS1_11target_archE910ELNS1_3gpuE8ELNS1_3repE0EEENS1_30default_config_static_selectorELNS0_4arch9wavefront6targetE1EEEvT1_
                                        ; -- End function
	.section	.AMDGPU.csdata,"",@progbits
; Kernel info:
; codeLenInByte = 7724
; NumSgprs: 33
; NumVgprs: 54
; NumAgprs: 0
; TotalNumVgprs: 54
; ScratchSize: 0
; MemoryBound: 0
; FloatMode: 240
; IeeeMode: 1
; LDSByteSize: 3072 bytes/workgroup (compile time only)
; SGPRBlocks: 4
; VGPRBlocks: 6
; NumSGPRsForWavesPerEU: 33
; NumVGPRsForWavesPerEU: 54
; AccumOffset: 56
; Occupancy: 6
; WaveLimiterHint : 1
; COMPUTE_PGM_RSRC2:SCRATCH_EN: 0
; COMPUTE_PGM_RSRC2:USER_SGPR: 6
; COMPUTE_PGM_RSRC2:TRAP_HANDLER: 0
; COMPUTE_PGM_RSRC2:TGID_X_EN: 1
; COMPUTE_PGM_RSRC2:TGID_Y_EN: 0
; COMPUTE_PGM_RSRC2:TGID_Z_EN: 0
; COMPUTE_PGM_RSRC2:TIDIG_COMP_CNT: 0
; COMPUTE_PGM_RSRC3_GFX90A:ACCUM_OFFSET: 13
; COMPUTE_PGM_RSRC3_GFX90A:TG_SPLIT: 0
	.section	.text._ZN7rocprim17ROCPRIM_400000_NS6detail17trampoline_kernelINS0_14default_configENS1_20scan_config_selectorIsEEZZNS1_9scan_implILNS1_25lookback_scan_determinismE0ELb1ELb1ES3_N6thrust23THRUST_200600_302600_NS6detail15normal_iteratorINS9_10device_ptrIsEEEESE_sNS9_4plusIsEEsEEDaPvRmT3_T4_T5_mT6_P12ihipStream_tbENKUlT_T0_E_clISt17integral_constantIbLb0EESU_EEDaSP_SQ_EUlSP_E_NS1_11comp_targetILNS1_3genE3ELNS1_11target_archE908ELNS1_3gpuE7ELNS1_3repE0EEENS1_30default_config_static_selectorELNS0_4arch9wavefront6targetE1EEEvT1_,"axG",@progbits,_ZN7rocprim17ROCPRIM_400000_NS6detail17trampoline_kernelINS0_14default_configENS1_20scan_config_selectorIsEEZZNS1_9scan_implILNS1_25lookback_scan_determinismE0ELb1ELb1ES3_N6thrust23THRUST_200600_302600_NS6detail15normal_iteratorINS9_10device_ptrIsEEEESE_sNS9_4plusIsEEsEEDaPvRmT3_T4_T5_mT6_P12ihipStream_tbENKUlT_T0_E_clISt17integral_constantIbLb0EESU_EEDaSP_SQ_EUlSP_E_NS1_11comp_targetILNS1_3genE3ELNS1_11target_archE908ELNS1_3gpuE7ELNS1_3repE0EEENS1_30default_config_static_selectorELNS0_4arch9wavefront6targetE1EEEvT1_,comdat
	.protected	_ZN7rocprim17ROCPRIM_400000_NS6detail17trampoline_kernelINS0_14default_configENS1_20scan_config_selectorIsEEZZNS1_9scan_implILNS1_25lookback_scan_determinismE0ELb1ELb1ES3_N6thrust23THRUST_200600_302600_NS6detail15normal_iteratorINS9_10device_ptrIsEEEESE_sNS9_4plusIsEEsEEDaPvRmT3_T4_T5_mT6_P12ihipStream_tbENKUlT_T0_E_clISt17integral_constantIbLb0EESU_EEDaSP_SQ_EUlSP_E_NS1_11comp_targetILNS1_3genE3ELNS1_11target_archE908ELNS1_3gpuE7ELNS1_3repE0EEENS1_30default_config_static_selectorELNS0_4arch9wavefront6targetE1EEEvT1_ ; -- Begin function _ZN7rocprim17ROCPRIM_400000_NS6detail17trampoline_kernelINS0_14default_configENS1_20scan_config_selectorIsEEZZNS1_9scan_implILNS1_25lookback_scan_determinismE0ELb1ELb1ES3_N6thrust23THRUST_200600_302600_NS6detail15normal_iteratorINS9_10device_ptrIsEEEESE_sNS9_4plusIsEEsEEDaPvRmT3_T4_T5_mT6_P12ihipStream_tbENKUlT_T0_E_clISt17integral_constantIbLb0EESU_EEDaSP_SQ_EUlSP_E_NS1_11comp_targetILNS1_3genE3ELNS1_11target_archE908ELNS1_3gpuE7ELNS1_3repE0EEENS1_30default_config_static_selectorELNS0_4arch9wavefront6targetE1EEEvT1_
	.globl	_ZN7rocprim17ROCPRIM_400000_NS6detail17trampoline_kernelINS0_14default_configENS1_20scan_config_selectorIsEEZZNS1_9scan_implILNS1_25lookback_scan_determinismE0ELb1ELb1ES3_N6thrust23THRUST_200600_302600_NS6detail15normal_iteratorINS9_10device_ptrIsEEEESE_sNS9_4plusIsEEsEEDaPvRmT3_T4_T5_mT6_P12ihipStream_tbENKUlT_T0_E_clISt17integral_constantIbLb0EESU_EEDaSP_SQ_EUlSP_E_NS1_11comp_targetILNS1_3genE3ELNS1_11target_archE908ELNS1_3gpuE7ELNS1_3repE0EEENS1_30default_config_static_selectorELNS0_4arch9wavefront6targetE1EEEvT1_
	.p2align	8
	.type	_ZN7rocprim17ROCPRIM_400000_NS6detail17trampoline_kernelINS0_14default_configENS1_20scan_config_selectorIsEEZZNS1_9scan_implILNS1_25lookback_scan_determinismE0ELb1ELb1ES3_N6thrust23THRUST_200600_302600_NS6detail15normal_iteratorINS9_10device_ptrIsEEEESE_sNS9_4plusIsEEsEEDaPvRmT3_T4_T5_mT6_P12ihipStream_tbENKUlT_T0_E_clISt17integral_constantIbLb0EESU_EEDaSP_SQ_EUlSP_E_NS1_11comp_targetILNS1_3genE3ELNS1_11target_archE908ELNS1_3gpuE7ELNS1_3repE0EEENS1_30default_config_static_selectorELNS0_4arch9wavefront6targetE1EEEvT1_,@function
_ZN7rocprim17ROCPRIM_400000_NS6detail17trampoline_kernelINS0_14default_configENS1_20scan_config_selectorIsEEZZNS1_9scan_implILNS1_25lookback_scan_determinismE0ELb1ELb1ES3_N6thrust23THRUST_200600_302600_NS6detail15normal_iteratorINS9_10device_ptrIsEEEESE_sNS9_4plusIsEEsEEDaPvRmT3_T4_T5_mT6_P12ihipStream_tbENKUlT_T0_E_clISt17integral_constantIbLb0EESU_EEDaSP_SQ_EUlSP_E_NS1_11comp_targetILNS1_3genE3ELNS1_11target_archE908ELNS1_3gpuE7ELNS1_3repE0EEENS1_30default_config_static_selectorELNS0_4arch9wavefront6targetE1EEEvT1_: ; @_ZN7rocprim17ROCPRIM_400000_NS6detail17trampoline_kernelINS0_14default_configENS1_20scan_config_selectorIsEEZZNS1_9scan_implILNS1_25lookback_scan_determinismE0ELb1ELb1ES3_N6thrust23THRUST_200600_302600_NS6detail15normal_iteratorINS9_10device_ptrIsEEEESE_sNS9_4plusIsEEsEEDaPvRmT3_T4_T5_mT6_P12ihipStream_tbENKUlT_T0_E_clISt17integral_constantIbLb0EESU_EEDaSP_SQ_EUlSP_E_NS1_11comp_targetILNS1_3genE3ELNS1_11target_archE908ELNS1_3gpuE7ELNS1_3repE0EEENS1_30default_config_static_selectorELNS0_4arch9wavefront6targetE1EEEvT1_
; %bb.0:
	.section	.rodata,"a",@progbits
	.p2align	6, 0x0
	.amdhsa_kernel _ZN7rocprim17ROCPRIM_400000_NS6detail17trampoline_kernelINS0_14default_configENS1_20scan_config_selectorIsEEZZNS1_9scan_implILNS1_25lookback_scan_determinismE0ELb1ELb1ES3_N6thrust23THRUST_200600_302600_NS6detail15normal_iteratorINS9_10device_ptrIsEEEESE_sNS9_4plusIsEEsEEDaPvRmT3_T4_T5_mT6_P12ihipStream_tbENKUlT_T0_E_clISt17integral_constantIbLb0EESU_EEDaSP_SQ_EUlSP_E_NS1_11comp_targetILNS1_3genE3ELNS1_11target_archE908ELNS1_3gpuE7ELNS1_3repE0EEENS1_30default_config_static_selectorELNS0_4arch9wavefront6targetE1EEEvT1_
		.amdhsa_group_segment_fixed_size 0
		.amdhsa_private_segment_fixed_size 0
		.amdhsa_kernarg_size 96
		.amdhsa_user_sgpr_count 6
		.amdhsa_user_sgpr_private_segment_buffer 1
		.amdhsa_user_sgpr_dispatch_ptr 0
		.amdhsa_user_sgpr_queue_ptr 0
		.amdhsa_user_sgpr_kernarg_segment_ptr 1
		.amdhsa_user_sgpr_dispatch_id 0
		.amdhsa_user_sgpr_flat_scratch_init 0
		.amdhsa_user_sgpr_kernarg_preload_length 0
		.amdhsa_user_sgpr_kernarg_preload_offset 0
		.amdhsa_user_sgpr_private_segment_size 0
		.amdhsa_uses_dynamic_stack 0
		.amdhsa_system_sgpr_private_segment_wavefront_offset 0
		.amdhsa_system_sgpr_workgroup_id_x 1
		.amdhsa_system_sgpr_workgroup_id_y 0
		.amdhsa_system_sgpr_workgroup_id_z 0
		.amdhsa_system_sgpr_workgroup_info 0
		.amdhsa_system_vgpr_workitem_id 0
		.amdhsa_next_free_vgpr 1
		.amdhsa_next_free_sgpr 0
		.amdhsa_accum_offset 4
		.amdhsa_reserve_vcc 0
		.amdhsa_reserve_flat_scratch 0
		.amdhsa_float_round_mode_32 0
		.amdhsa_float_round_mode_16_64 0
		.amdhsa_float_denorm_mode_32 3
		.amdhsa_float_denorm_mode_16_64 3
		.amdhsa_dx10_clamp 1
		.amdhsa_ieee_mode 1
		.amdhsa_fp16_overflow 0
		.amdhsa_tg_split 0
		.amdhsa_exception_fp_ieee_invalid_op 0
		.amdhsa_exception_fp_denorm_src 0
		.amdhsa_exception_fp_ieee_div_zero 0
		.amdhsa_exception_fp_ieee_overflow 0
		.amdhsa_exception_fp_ieee_underflow 0
		.amdhsa_exception_fp_ieee_inexact 0
		.amdhsa_exception_int_div_zero 0
	.end_amdhsa_kernel
	.section	.text._ZN7rocprim17ROCPRIM_400000_NS6detail17trampoline_kernelINS0_14default_configENS1_20scan_config_selectorIsEEZZNS1_9scan_implILNS1_25lookback_scan_determinismE0ELb1ELb1ES3_N6thrust23THRUST_200600_302600_NS6detail15normal_iteratorINS9_10device_ptrIsEEEESE_sNS9_4plusIsEEsEEDaPvRmT3_T4_T5_mT6_P12ihipStream_tbENKUlT_T0_E_clISt17integral_constantIbLb0EESU_EEDaSP_SQ_EUlSP_E_NS1_11comp_targetILNS1_3genE3ELNS1_11target_archE908ELNS1_3gpuE7ELNS1_3repE0EEENS1_30default_config_static_selectorELNS0_4arch9wavefront6targetE1EEEvT1_,"axG",@progbits,_ZN7rocprim17ROCPRIM_400000_NS6detail17trampoline_kernelINS0_14default_configENS1_20scan_config_selectorIsEEZZNS1_9scan_implILNS1_25lookback_scan_determinismE0ELb1ELb1ES3_N6thrust23THRUST_200600_302600_NS6detail15normal_iteratorINS9_10device_ptrIsEEEESE_sNS9_4plusIsEEsEEDaPvRmT3_T4_T5_mT6_P12ihipStream_tbENKUlT_T0_E_clISt17integral_constantIbLb0EESU_EEDaSP_SQ_EUlSP_E_NS1_11comp_targetILNS1_3genE3ELNS1_11target_archE908ELNS1_3gpuE7ELNS1_3repE0EEENS1_30default_config_static_selectorELNS0_4arch9wavefront6targetE1EEEvT1_,comdat
.Lfunc_end1198:
	.size	_ZN7rocprim17ROCPRIM_400000_NS6detail17trampoline_kernelINS0_14default_configENS1_20scan_config_selectorIsEEZZNS1_9scan_implILNS1_25lookback_scan_determinismE0ELb1ELb1ES3_N6thrust23THRUST_200600_302600_NS6detail15normal_iteratorINS9_10device_ptrIsEEEESE_sNS9_4plusIsEEsEEDaPvRmT3_T4_T5_mT6_P12ihipStream_tbENKUlT_T0_E_clISt17integral_constantIbLb0EESU_EEDaSP_SQ_EUlSP_E_NS1_11comp_targetILNS1_3genE3ELNS1_11target_archE908ELNS1_3gpuE7ELNS1_3repE0EEENS1_30default_config_static_selectorELNS0_4arch9wavefront6targetE1EEEvT1_, .Lfunc_end1198-_ZN7rocprim17ROCPRIM_400000_NS6detail17trampoline_kernelINS0_14default_configENS1_20scan_config_selectorIsEEZZNS1_9scan_implILNS1_25lookback_scan_determinismE0ELb1ELb1ES3_N6thrust23THRUST_200600_302600_NS6detail15normal_iteratorINS9_10device_ptrIsEEEESE_sNS9_4plusIsEEsEEDaPvRmT3_T4_T5_mT6_P12ihipStream_tbENKUlT_T0_E_clISt17integral_constantIbLb0EESU_EEDaSP_SQ_EUlSP_E_NS1_11comp_targetILNS1_3genE3ELNS1_11target_archE908ELNS1_3gpuE7ELNS1_3repE0EEENS1_30default_config_static_selectorELNS0_4arch9wavefront6targetE1EEEvT1_
                                        ; -- End function
	.section	.AMDGPU.csdata,"",@progbits
; Kernel info:
; codeLenInByte = 0
; NumSgprs: 4
; NumVgprs: 0
; NumAgprs: 0
; TotalNumVgprs: 0
; ScratchSize: 0
; MemoryBound: 0
; FloatMode: 240
; IeeeMode: 1
; LDSByteSize: 0 bytes/workgroup (compile time only)
; SGPRBlocks: 0
; VGPRBlocks: 0
; NumSGPRsForWavesPerEU: 4
; NumVGPRsForWavesPerEU: 1
; AccumOffset: 4
; Occupancy: 8
; WaveLimiterHint : 0
; COMPUTE_PGM_RSRC2:SCRATCH_EN: 0
; COMPUTE_PGM_RSRC2:USER_SGPR: 6
; COMPUTE_PGM_RSRC2:TRAP_HANDLER: 0
; COMPUTE_PGM_RSRC2:TGID_X_EN: 1
; COMPUTE_PGM_RSRC2:TGID_Y_EN: 0
; COMPUTE_PGM_RSRC2:TGID_Z_EN: 0
; COMPUTE_PGM_RSRC2:TIDIG_COMP_CNT: 0
; COMPUTE_PGM_RSRC3_GFX90A:ACCUM_OFFSET: 0
; COMPUTE_PGM_RSRC3_GFX90A:TG_SPLIT: 0
	.section	.text._ZN7rocprim17ROCPRIM_400000_NS6detail17trampoline_kernelINS0_14default_configENS1_20scan_config_selectorIsEEZZNS1_9scan_implILNS1_25lookback_scan_determinismE0ELb1ELb1ES3_N6thrust23THRUST_200600_302600_NS6detail15normal_iteratorINS9_10device_ptrIsEEEESE_sNS9_4plusIsEEsEEDaPvRmT3_T4_T5_mT6_P12ihipStream_tbENKUlT_T0_E_clISt17integral_constantIbLb0EESU_EEDaSP_SQ_EUlSP_E_NS1_11comp_targetILNS1_3genE2ELNS1_11target_archE906ELNS1_3gpuE6ELNS1_3repE0EEENS1_30default_config_static_selectorELNS0_4arch9wavefront6targetE1EEEvT1_,"axG",@progbits,_ZN7rocprim17ROCPRIM_400000_NS6detail17trampoline_kernelINS0_14default_configENS1_20scan_config_selectorIsEEZZNS1_9scan_implILNS1_25lookback_scan_determinismE0ELb1ELb1ES3_N6thrust23THRUST_200600_302600_NS6detail15normal_iteratorINS9_10device_ptrIsEEEESE_sNS9_4plusIsEEsEEDaPvRmT3_T4_T5_mT6_P12ihipStream_tbENKUlT_T0_E_clISt17integral_constantIbLb0EESU_EEDaSP_SQ_EUlSP_E_NS1_11comp_targetILNS1_3genE2ELNS1_11target_archE906ELNS1_3gpuE6ELNS1_3repE0EEENS1_30default_config_static_selectorELNS0_4arch9wavefront6targetE1EEEvT1_,comdat
	.protected	_ZN7rocprim17ROCPRIM_400000_NS6detail17trampoline_kernelINS0_14default_configENS1_20scan_config_selectorIsEEZZNS1_9scan_implILNS1_25lookback_scan_determinismE0ELb1ELb1ES3_N6thrust23THRUST_200600_302600_NS6detail15normal_iteratorINS9_10device_ptrIsEEEESE_sNS9_4plusIsEEsEEDaPvRmT3_T4_T5_mT6_P12ihipStream_tbENKUlT_T0_E_clISt17integral_constantIbLb0EESU_EEDaSP_SQ_EUlSP_E_NS1_11comp_targetILNS1_3genE2ELNS1_11target_archE906ELNS1_3gpuE6ELNS1_3repE0EEENS1_30default_config_static_selectorELNS0_4arch9wavefront6targetE1EEEvT1_ ; -- Begin function _ZN7rocprim17ROCPRIM_400000_NS6detail17trampoline_kernelINS0_14default_configENS1_20scan_config_selectorIsEEZZNS1_9scan_implILNS1_25lookback_scan_determinismE0ELb1ELb1ES3_N6thrust23THRUST_200600_302600_NS6detail15normal_iteratorINS9_10device_ptrIsEEEESE_sNS9_4plusIsEEsEEDaPvRmT3_T4_T5_mT6_P12ihipStream_tbENKUlT_T0_E_clISt17integral_constantIbLb0EESU_EEDaSP_SQ_EUlSP_E_NS1_11comp_targetILNS1_3genE2ELNS1_11target_archE906ELNS1_3gpuE6ELNS1_3repE0EEENS1_30default_config_static_selectorELNS0_4arch9wavefront6targetE1EEEvT1_
	.globl	_ZN7rocprim17ROCPRIM_400000_NS6detail17trampoline_kernelINS0_14default_configENS1_20scan_config_selectorIsEEZZNS1_9scan_implILNS1_25lookback_scan_determinismE0ELb1ELb1ES3_N6thrust23THRUST_200600_302600_NS6detail15normal_iteratorINS9_10device_ptrIsEEEESE_sNS9_4plusIsEEsEEDaPvRmT3_T4_T5_mT6_P12ihipStream_tbENKUlT_T0_E_clISt17integral_constantIbLb0EESU_EEDaSP_SQ_EUlSP_E_NS1_11comp_targetILNS1_3genE2ELNS1_11target_archE906ELNS1_3gpuE6ELNS1_3repE0EEENS1_30default_config_static_selectorELNS0_4arch9wavefront6targetE1EEEvT1_
	.p2align	8
	.type	_ZN7rocprim17ROCPRIM_400000_NS6detail17trampoline_kernelINS0_14default_configENS1_20scan_config_selectorIsEEZZNS1_9scan_implILNS1_25lookback_scan_determinismE0ELb1ELb1ES3_N6thrust23THRUST_200600_302600_NS6detail15normal_iteratorINS9_10device_ptrIsEEEESE_sNS9_4plusIsEEsEEDaPvRmT3_T4_T5_mT6_P12ihipStream_tbENKUlT_T0_E_clISt17integral_constantIbLb0EESU_EEDaSP_SQ_EUlSP_E_NS1_11comp_targetILNS1_3genE2ELNS1_11target_archE906ELNS1_3gpuE6ELNS1_3repE0EEENS1_30default_config_static_selectorELNS0_4arch9wavefront6targetE1EEEvT1_,@function
_ZN7rocprim17ROCPRIM_400000_NS6detail17trampoline_kernelINS0_14default_configENS1_20scan_config_selectorIsEEZZNS1_9scan_implILNS1_25lookback_scan_determinismE0ELb1ELb1ES3_N6thrust23THRUST_200600_302600_NS6detail15normal_iteratorINS9_10device_ptrIsEEEESE_sNS9_4plusIsEEsEEDaPvRmT3_T4_T5_mT6_P12ihipStream_tbENKUlT_T0_E_clISt17integral_constantIbLb0EESU_EEDaSP_SQ_EUlSP_E_NS1_11comp_targetILNS1_3genE2ELNS1_11target_archE906ELNS1_3gpuE6ELNS1_3repE0EEENS1_30default_config_static_selectorELNS0_4arch9wavefront6targetE1EEEvT1_: ; @_ZN7rocprim17ROCPRIM_400000_NS6detail17trampoline_kernelINS0_14default_configENS1_20scan_config_selectorIsEEZZNS1_9scan_implILNS1_25lookback_scan_determinismE0ELb1ELb1ES3_N6thrust23THRUST_200600_302600_NS6detail15normal_iteratorINS9_10device_ptrIsEEEESE_sNS9_4plusIsEEsEEDaPvRmT3_T4_T5_mT6_P12ihipStream_tbENKUlT_T0_E_clISt17integral_constantIbLb0EESU_EEDaSP_SQ_EUlSP_E_NS1_11comp_targetILNS1_3genE2ELNS1_11target_archE906ELNS1_3gpuE6ELNS1_3repE0EEENS1_30default_config_static_selectorELNS0_4arch9wavefront6targetE1EEEvT1_
; %bb.0:
	.section	.rodata,"a",@progbits
	.p2align	6, 0x0
	.amdhsa_kernel _ZN7rocprim17ROCPRIM_400000_NS6detail17trampoline_kernelINS0_14default_configENS1_20scan_config_selectorIsEEZZNS1_9scan_implILNS1_25lookback_scan_determinismE0ELb1ELb1ES3_N6thrust23THRUST_200600_302600_NS6detail15normal_iteratorINS9_10device_ptrIsEEEESE_sNS9_4plusIsEEsEEDaPvRmT3_T4_T5_mT6_P12ihipStream_tbENKUlT_T0_E_clISt17integral_constantIbLb0EESU_EEDaSP_SQ_EUlSP_E_NS1_11comp_targetILNS1_3genE2ELNS1_11target_archE906ELNS1_3gpuE6ELNS1_3repE0EEENS1_30default_config_static_selectorELNS0_4arch9wavefront6targetE1EEEvT1_
		.amdhsa_group_segment_fixed_size 0
		.amdhsa_private_segment_fixed_size 0
		.amdhsa_kernarg_size 96
		.amdhsa_user_sgpr_count 6
		.amdhsa_user_sgpr_private_segment_buffer 1
		.amdhsa_user_sgpr_dispatch_ptr 0
		.amdhsa_user_sgpr_queue_ptr 0
		.amdhsa_user_sgpr_kernarg_segment_ptr 1
		.amdhsa_user_sgpr_dispatch_id 0
		.amdhsa_user_sgpr_flat_scratch_init 0
		.amdhsa_user_sgpr_kernarg_preload_length 0
		.amdhsa_user_sgpr_kernarg_preload_offset 0
		.amdhsa_user_sgpr_private_segment_size 0
		.amdhsa_uses_dynamic_stack 0
		.amdhsa_system_sgpr_private_segment_wavefront_offset 0
		.amdhsa_system_sgpr_workgroup_id_x 1
		.amdhsa_system_sgpr_workgroup_id_y 0
		.amdhsa_system_sgpr_workgroup_id_z 0
		.amdhsa_system_sgpr_workgroup_info 0
		.amdhsa_system_vgpr_workitem_id 0
		.amdhsa_next_free_vgpr 1
		.amdhsa_next_free_sgpr 0
		.amdhsa_accum_offset 4
		.amdhsa_reserve_vcc 0
		.amdhsa_reserve_flat_scratch 0
		.amdhsa_float_round_mode_32 0
		.amdhsa_float_round_mode_16_64 0
		.amdhsa_float_denorm_mode_32 3
		.amdhsa_float_denorm_mode_16_64 3
		.amdhsa_dx10_clamp 1
		.amdhsa_ieee_mode 1
		.amdhsa_fp16_overflow 0
		.amdhsa_tg_split 0
		.amdhsa_exception_fp_ieee_invalid_op 0
		.amdhsa_exception_fp_denorm_src 0
		.amdhsa_exception_fp_ieee_div_zero 0
		.amdhsa_exception_fp_ieee_overflow 0
		.amdhsa_exception_fp_ieee_underflow 0
		.amdhsa_exception_fp_ieee_inexact 0
		.amdhsa_exception_int_div_zero 0
	.end_amdhsa_kernel
	.section	.text._ZN7rocprim17ROCPRIM_400000_NS6detail17trampoline_kernelINS0_14default_configENS1_20scan_config_selectorIsEEZZNS1_9scan_implILNS1_25lookback_scan_determinismE0ELb1ELb1ES3_N6thrust23THRUST_200600_302600_NS6detail15normal_iteratorINS9_10device_ptrIsEEEESE_sNS9_4plusIsEEsEEDaPvRmT3_T4_T5_mT6_P12ihipStream_tbENKUlT_T0_E_clISt17integral_constantIbLb0EESU_EEDaSP_SQ_EUlSP_E_NS1_11comp_targetILNS1_3genE2ELNS1_11target_archE906ELNS1_3gpuE6ELNS1_3repE0EEENS1_30default_config_static_selectorELNS0_4arch9wavefront6targetE1EEEvT1_,"axG",@progbits,_ZN7rocprim17ROCPRIM_400000_NS6detail17trampoline_kernelINS0_14default_configENS1_20scan_config_selectorIsEEZZNS1_9scan_implILNS1_25lookback_scan_determinismE0ELb1ELb1ES3_N6thrust23THRUST_200600_302600_NS6detail15normal_iteratorINS9_10device_ptrIsEEEESE_sNS9_4plusIsEEsEEDaPvRmT3_T4_T5_mT6_P12ihipStream_tbENKUlT_T0_E_clISt17integral_constantIbLb0EESU_EEDaSP_SQ_EUlSP_E_NS1_11comp_targetILNS1_3genE2ELNS1_11target_archE906ELNS1_3gpuE6ELNS1_3repE0EEENS1_30default_config_static_selectorELNS0_4arch9wavefront6targetE1EEEvT1_,comdat
.Lfunc_end1199:
	.size	_ZN7rocprim17ROCPRIM_400000_NS6detail17trampoline_kernelINS0_14default_configENS1_20scan_config_selectorIsEEZZNS1_9scan_implILNS1_25lookback_scan_determinismE0ELb1ELb1ES3_N6thrust23THRUST_200600_302600_NS6detail15normal_iteratorINS9_10device_ptrIsEEEESE_sNS9_4plusIsEEsEEDaPvRmT3_T4_T5_mT6_P12ihipStream_tbENKUlT_T0_E_clISt17integral_constantIbLb0EESU_EEDaSP_SQ_EUlSP_E_NS1_11comp_targetILNS1_3genE2ELNS1_11target_archE906ELNS1_3gpuE6ELNS1_3repE0EEENS1_30default_config_static_selectorELNS0_4arch9wavefront6targetE1EEEvT1_, .Lfunc_end1199-_ZN7rocprim17ROCPRIM_400000_NS6detail17trampoline_kernelINS0_14default_configENS1_20scan_config_selectorIsEEZZNS1_9scan_implILNS1_25lookback_scan_determinismE0ELb1ELb1ES3_N6thrust23THRUST_200600_302600_NS6detail15normal_iteratorINS9_10device_ptrIsEEEESE_sNS9_4plusIsEEsEEDaPvRmT3_T4_T5_mT6_P12ihipStream_tbENKUlT_T0_E_clISt17integral_constantIbLb0EESU_EEDaSP_SQ_EUlSP_E_NS1_11comp_targetILNS1_3genE2ELNS1_11target_archE906ELNS1_3gpuE6ELNS1_3repE0EEENS1_30default_config_static_selectorELNS0_4arch9wavefront6targetE1EEEvT1_
                                        ; -- End function
	.section	.AMDGPU.csdata,"",@progbits
; Kernel info:
; codeLenInByte = 0
; NumSgprs: 4
; NumVgprs: 0
; NumAgprs: 0
; TotalNumVgprs: 0
; ScratchSize: 0
; MemoryBound: 0
; FloatMode: 240
; IeeeMode: 1
; LDSByteSize: 0 bytes/workgroup (compile time only)
; SGPRBlocks: 0
; VGPRBlocks: 0
; NumSGPRsForWavesPerEU: 4
; NumVGPRsForWavesPerEU: 1
; AccumOffset: 4
; Occupancy: 8
; WaveLimiterHint : 0
; COMPUTE_PGM_RSRC2:SCRATCH_EN: 0
; COMPUTE_PGM_RSRC2:USER_SGPR: 6
; COMPUTE_PGM_RSRC2:TRAP_HANDLER: 0
; COMPUTE_PGM_RSRC2:TGID_X_EN: 1
; COMPUTE_PGM_RSRC2:TGID_Y_EN: 0
; COMPUTE_PGM_RSRC2:TGID_Z_EN: 0
; COMPUTE_PGM_RSRC2:TIDIG_COMP_CNT: 0
; COMPUTE_PGM_RSRC3_GFX90A:ACCUM_OFFSET: 0
; COMPUTE_PGM_RSRC3_GFX90A:TG_SPLIT: 0
	.section	.text._ZN7rocprim17ROCPRIM_400000_NS6detail17trampoline_kernelINS0_14default_configENS1_20scan_config_selectorIsEEZZNS1_9scan_implILNS1_25lookback_scan_determinismE0ELb1ELb1ES3_N6thrust23THRUST_200600_302600_NS6detail15normal_iteratorINS9_10device_ptrIsEEEESE_sNS9_4plusIsEEsEEDaPvRmT3_T4_T5_mT6_P12ihipStream_tbENKUlT_T0_E_clISt17integral_constantIbLb0EESU_EEDaSP_SQ_EUlSP_E_NS1_11comp_targetILNS1_3genE10ELNS1_11target_archE1201ELNS1_3gpuE5ELNS1_3repE0EEENS1_30default_config_static_selectorELNS0_4arch9wavefront6targetE1EEEvT1_,"axG",@progbits,_ZN7rocprim17ROCPRIM_400000_NS6detail17trampoline_kernelINS0_14default_configENS1_20scan_config_selectorIsEEZZNS1_9scan_implILNS1_25lookback_scan_determinismE0ELb1ELb1ES3_N6thrust23THRUST_200600_302600_NS6detail15normal_iteratorINS9_10device_ptrIsEEEESE_sNS9_4plusIsEEsEEDaPvRmT3_T4_T5_mT6_P12ihipStream_tbENKUlT_T0_E_clISt17integral_constantIbLb0EESU_EEDaSP_SQ_EUlSP_E_NS1_11comp_targetILNS1_3genE10ELNS1_11target_archE1201ELNS1_3gpuE5ELNS1_3repE0EEENS1_30default_config_static_selectorELNS0_4arch9wavefront6targetE1EEEvT1_,comdat
	.protected	_ZN7rocprim17ROCPRIM_400000_NS6detail17trampoline_kernelINS0_14default_configENS1_20scan_config_selectorIsEEZZNS1_9scan_implILNS1_25lookback_scan_determinismE0ELb1ELb1ES3_N6thrust23THRUST_200600_302600_NS6detail15normal_iteratorINS9_10device_ptrIsEEEESE_sNS9_4plusIsEEsEEDaPvRmT3_T4_T5_mT6_P12ihipStream_tbENKUlT_T0_E_clISt17integral_constantIbLb0EESU_EEDaSP_SQ_EUlSP_E_NS1_11comp_targetILNS1_3genE10ELNS1_11target_archE1201ELNS1_3gpuE5ELNS1_3repE0EEENS1_30default_config_static_selectorELNS0_4arch9wavefront6targetE1EEEvT1_ ; -- Begin function _ZN7rocprim17ROCPRIM_400000_NS6detail17trampoline_kernelINS0_14default_configENS1_20scan_config_selectorIsEEZZNS1_9scan_implILNS1_25lookback_scan_determinismE0ELb1ELb1ES3_N6thrust23THRUST_200600_302600_NS6detail15normal_iteratorINS9_10device_ptrIsEEEESE_sNS9_4plusIsEEsEEDaPvRmT3_T4_T5_mT6_P12ihipStream_tbENKUlT_T0_E_clISt17integral_constantIbLb0EESU_EEDaSP_SQ_EUlSP_E_NS1_11comp_targetILNS1_3genE10ELNS1_11target_archE1201ELNS1_3gpuE5ELNS1_3repE0EEENS1_30default_config_static_selectorELNS0_4arch9wavefront6targetE1EEEvT1_
	.globl	_ZN7rocprim17ROCPRIM_400000_NS6detail17trampoline_kernelINS0_14default_configENS1_20scan_config_selectorIsEEZZNS1_9scan_implILNS1_25lookback_scan_determinismE0ELb1ELb1ES3_N6thrust23THRUST_200600_302600_NS6detail15normal_iteratorINS9_10device_ptrIsEEEESE_sNS9_4plusIsEEsEEDaPvRmT3_T4_T5_mT6_P12ihipStream_tbENKUlT_T0_E_clISt17integral_constantIbLb0EESU_EEDaSP_SQ_EUlSP_E_NS1_11comp_targetILNS1_3genE10ELNS1_11target_archE1201ELNS1_3gpuE5ELNS1_3repE0EEENS1_30default_config_static_selectorELNS0_4arch9wavefront6targetE1EEEvT1_
	.p2align	8
	.type	_ZN7rocprim17ROCPRIM_400000_NS6detail17trampoline_kernelINS0_14default_configENS1_20scan_config_selectorIsEEZZNS1_9scan_implILNS1_25lookback_scan_determinismE0ELb1ELb1ES3_N6thrust23THRUST_200600_302600_NS6detail15normal_iteratorINS9_10device_ptrIsEEEESE_sNS9_4plusIsEEsEEDaPvRmT3_T4_T5_mT6_P12ihipStream_tbENKUlT_T0_E_clISt17integral_constantIbLb0EESU_EEDaSP_SQ_EUlSP_E_NS1_11comp_targetILNS1_3genE10ELNS1_11target_archE1201ELNS1_3gpuE5ELNS1_3repE0EEENS1_30default_config_static_selectorELNS0_4arch9wavefront6targetE1EEEvT1_,@function
_ZN7rocprim17ROCPRIM_400000_NS6detail17trampoline_kernelINS0_14default_configENS1_20scan_config_selectorIsEEZZNS1_9scan_implILNS1_25lookback_scan_determinismE0ELb1ELb1ES3_N6thrust23THRUST_200600_302600_NS6detail15normal_iteratorINS9_10device_ptrIsEEEESE_sNS9_4plusIsEEsEEDaPvRmT3_T4_T5_mT6_P12ihipStream_tbENKUlT_T0_E_clISt17integral_constantIbLb0EESU_EEDaSP_SQ_EUlSP_E_NS1_11comp_targetILNS1_3genE10ELNS1_11target_archE1201ELNS1_3gpuE5ELNS1_3repE0EEENS1_30default_config_static_selectorELNS0_4arch9wavefront6targetE1EEEvT1_: ; @_ZN7rocprim17ROCPRIM_400000_NS6detail17trampoline_kernelINS0_14default_configENS1_20scan_config_selectorIsEEZZNS1_9scan_implILNS1_25lookback_scan_determinismE0ELb1ELb1ES3_N6thrust23THRUST_200600_302600_NS6detail15normal_iteratorINS9_10device_ptrIsEEEESE_sNS9_4plusIsEEsEEDaPvRmT3_T4_T5_mT6_P12ihipStream_tbENKUlT_T0_E_clISt17integral_constantIbLb0EESU_EEDaSP_SQ_EUlSP_E_NS1_11comp_targetILNS1_3genE10ELNS1_11target_archE1201ELNS1_3gpuE5ELNS1_3repE0EEENS1_30default_config_static_selectorELNS0_4arch9wavefront6targetE1EEEvT1_
; %bb.0:
	.section	.rodata,"a",@progbits
	.p2align	6, 0x0
	.amdhsa_kernel _ZN7rocprim17ROCPRIM_400000_NS6detail17trampoline_kernelINS0_14default_configENS1_20scan_config_selectorIsEEZZNS1_9scan_implILNS1_25lookback_scan_determinismE0ELb1ELb1ES3_N6thrust23THRUST_200600_302600_NS6detail15normal_iteratorINS9_10device_ptrIsEEEESE_sNS9_4plusIsEEsEEDaPvRmT3_T4_T5_mT6_P12ihipStream_tbENKUlT_T0_E_clISt17integral_constantIbLb0EESU_EEDaSP_SQ_EUlSP_E_NS1_11comp_targetILNS1_3genE10ELNS1_11target_archE1201ELNS1_3gpuE5ELNS1_3repE0EEENS1_30default_config_static_selectorELNS0_4arch9wavefront6targetE1EEEvT1_
		.amdhsa_group_segment_fixed_size 0
		.amdhsa_private_segment_fixed_size 0
		.amdhsa_kernarg_size 96
		.amdhsa_user_sgpr_count 6
		.amdhsa_user_sgpr_private_segment_buffer 1
		.amdhsa_user_sgpr_dispatch_ptr 0
		.amdhsa_user_sgpr_queue_ptr 0
		.amdhsa_user_sgpr_kernarg_segment_ptr 1
		.amdhsa_user_sgpr_dispatch_id 0
		.amdhsa_user_sgpr_flat_scratch_init 0
		.amdhsa_user_sgpr_kernarg_preload_length 0
		.amdhsa_user_sgpr_kernarg_preload_offset 0
		.amdhsa_user_sgpr_private_segment_size 0
		.amdhsa_uses_dynamic_stack 0
		.amdhsa_system_sgpr_private_segment_wavefront_offset 0
		.amdhsa_system_sgpr_workgroup_id_x 1
		.amdhsa_system_sgpr_workgroup_id_y 0
		.amdhsa_system_sgpr_workgroup_id_z 0
		.amdhsa_system_sgpr_workgroup_info 0
		.amdhsa_system_vgpr_workitem_id 0
		.amdhsa_next_free_vgpr 1
		.amdhsa_next_free_sgpr 0
		.amdhsa_accum_offset 4
		.amdhsa_reserve_vcc 0
		.amdhsa_reserve_flat_scratch 0
		.amdhsa_float_round_mode_32 0
		.amdhsa_float_round_mode_16_64 0
		.amdhsa_float_denorm_mode_32 3
		.amdhsa_float_denorm_mode_16_64 3
		.amdhsa_dx10_clamp 1
		.amdhsa_ieee_mode 1
		.amdhsa_fp16_overflow 0
		.amdhsa_tg_split 0
		.amdhsa_exception_fp_ieee_invalid_op 0
		.amdhsa_exception_fp_denorm_src 0
		.amdhsa_exception_fp_ieee_div_zero 0
		.amdhsa_exception_fp_ieee_overflow 0
		.amdhsa_exception_fp_ieee_underflow 0
		.amdhsa_exception_fp_ieee_inexact 0
		.amdhsa_exception_int_div_zero 0
	.end_amdhsa_kernel
	.section	.text._ZN7rocprim17ROCPRIM_400000_NS6detail17trampoline_kernelINS0_14default_configENS1_20scan_config_selectorIsEEZZNS1_9scan_implILNS1_25lookback_scan_determinismE0ELb1ELb1ES3_N6thrust23THRUST_200600_302600_NS6detail15normal_iteratorINS9_10device_ptrIsEEEESE_sNS9_4plusIsEEsEEDaPvRmT3_T4_T5_mT6_P12ihipStream_tbENKUlT_T0_E_clISt17integral_constantIbLb0EESU_EEDaSP_SQ_EUlSP_E_NS1_11comp_targetILNS1_3genE10ELNS1_11target_archE1201ELNS1_3gpuE5ELNS1_3repE0EEENS1_30default_config_static_selectorELNS0_4arch9wavefront6targetE1EEEvT1_,"axG",@progbits,_ZN7rocprim17ROCPRIM_400000_NS6detail17trampoline_kernelINS0_14default_configENS1_20scan_config_selectorIsEEZZNS1_9scan_implILNS1_25lookback_scan_determinismE0ELb1ELb1ES3_N6thrust23THRUST_200600_302600_NS6detail15normal_iteratorINS9_10device_ptrIsEEEESE_sNS9_4plusIsEEsEEDaPvRmT3_T4_T5_mT6_P12ihipStream_tbENKUlT_T0_E_clISt17integral_constantIbLb0EESU_EEDaSP_SQ_EUlSP_E_NS1_11comp_targetILNS1_3genE10ELNS1_11target_archE1201ELNS1_3gpuE5ELNS1_3repE0EEENS1_30default_config_static_selectorELNS0_4arch9wavefront6targetE1EEEvT1_,comdat
.Lfunc_end1200:
	.size	_ZN7rocprim17ROCPRIM_400000_NS6detail17trampoline_kernelINS0_14default_configENS1_20scan_config_selectorIsEEZZNS1_9scan_implILNS1_25lookback_scan_determinismE0ELb1ELb1ES3_N6thrust23THRUST_200600_302600_NS6detail15normal_iteratorINS9_10device_ptrIsEEEESE_sNS9_4plusIsEEsEEDaPvRmT3_T4_T5_mT6_P12ihipStream_tbENKUlT_T0_E_clISt17integral_constantIbLb0EESU_EEDaSP_SQ_EUlSP_E_NS1_11comp_targetILNS1_3genE10ELNS1_11target_archE1201ELNS1_3gpuE5ELNS1_3repE0EEENS1_30default_config_static_selectorELNS0_4arch9wavefront6targetE1EEEvT1_, .Lfunc_end1200-_ZN7rocprim17ROCPRIM_400000_NS6detail17trampoline_kernelINS0_14default_configENS1_20scan_config_selectorIsEEZZNS1_9scan_implILNS1_25lookback_scan_determinismE0ELb1ELb1ES3_N6thrust23THRUST_200600_302600_NS6detail15normal_iteratorINS9_10device_ptrIsEEEESE_sNS9_4plusIsEEsEEDaPvRmT3_T4_T5_mT6_P12ihipStream_tbENKUlT_T0_E_clISt17integral_constantIbLb0EESU_EEDaSP_SQ_EUlSP_E_NS1_11comp_targetILNS1_3genE10ELNS1_11target_archE1201ELNS1_3gpuE5ELNS1_3repE0EEENS1_30default_config_static_selectorELNS0_4arch9wavefront6targetE1EEEvT1_
                                        ; -- End function
	.section	.AMDGPU.csdata,"",@progbits
; Kernel info:
; codeLenInByte = 0
; NumSgprs: 4
; NumVgprs: 0
; NumAgprs: 0
; TotalNumVgprs: 0
; ScratchSize: 0
; MemoryBound: 0
; FloatMode: 240
; IeeeMode: 1
; LDSByteSize: 0 bytes/workgroup (compile time only)
; SGPRBlocks: 0
; VGPRBlocks: 0
; NumSGPRsForWavesPerEU: 4
; NumVGPRsForWavesPerEU: 1
; AccumOffset: 4
; Occupancy: 8
; WaveLimiterHint : 0
; COMPUTE_PGM_RSRC2:SCRATCH_EN: 0
; COMPUTE_PGM_RSRC2:USER_SGPR: 6
; COMPUTE_PGM_RSRC2:TRAP_HANDLER: 0
; COMPUTE_PGM_RSRC2:TGID_X_EN: 1
; COMPUTE_PGM_RSRC2:TGID_Y_EN: 0
; COMPUTE_PGM_RSRC2:TGID_Z_EN: 0
; COMPUTE_PGM_RSRC2:TIDIG_COMP_CNT: 0
; COMPUTE_PGM_RSRC3_GFX90A:ACCUM_OFFSET: 0
; COMPUTE_PGM_RSRC3_GFX90A:TG_SPLIT: 0
	.section	.text._ZN7rocprim17ROCPRIM_400000_NS6detail17trampoline_kernelINS0_14default_configENS1_20scan_config_selectorIsEEZZNS1_9scan_implILNS1_25lookback_scan_determinismE0ELb1ELb1ES3_N6thrust23THRUST_200600_302600_NS6detail15normal_iteratorINS9_10device_ptrIsEEEESE_sNS9_4plusIsEEsEEDaPvRmT3_T4_T5_mT6_P12ihipStream_tbENKUlT_T0_E_clISt17integral_constantIbLb0EESU_EEDaSP_SQ_EUlSP_E_NS1_11comp_targetILNS1_3genE10ELNS1_11target_archE1200ELNS1_3gpuE4ELNS1_3repE0EEENS1_30default_config_static_selectorELNS0_4arch9wavefront6targetE1EEEvT1_,"axG",@progbits,_ZN7rocprim17ROCPRIM_400000_NS6detail17trampoline_kernelINS0_14default_configENS1_20scan_config_selectorIsEEZZNS1_9scan_implILNS1_25lookback_scan_determinismE0ELb1ELb1ES3_N6thrust23THRUST_200600_302600_NS6detail15normal_iteratorINS9_10device_ptrIsEEEESE_sNS9_4plusIsEEsEEDaPvRmT3_T4_T5_mT6_P12ihipStream_tbENKUlT_T0_E_clISt17integral_constantIbLb0EESU_EEDaSP_SQ_EUlSP_E_NS1_11comp_targetILNS1_3genE10ELNS1_11target_archE1200ELNS1_3gpuE4ELNS1_3repE0EEENS1_30default_config_static_selectorELNS0_4arch9wavefront6targetE1EEEvT1_,comdat
	.protected	_ZN7rocprim17ROCPRIM_400000_NS6detail17trampoline_kernelINS0_14default_configENS1_20scan_config_selectorIsEEZZNS1_9scan_implILNS1_25lookback_scan_determinismE0ELb1ELb1ES3_N6thrust23THRUST_200600_302600_NS6detail15normal_iteratorINS9_10device_ptrIsEEEESE_sNS9_4plusIsEEsEEDaPvRmT3_T4_T5_mT6_P12ihipStream_tbENKUlT_T0_E_clISt17integral_constantIbLb0EESU_EEDaSP_SQ_EUlSP_E_NS1_11comp_targetILNS1_3genE10ELNS1_11target_archE1200ELNS1_3gpuE4ELNS1_3repE0EEENS1_30default_config_static_selectorELNS0_4arch9wavefront6targetE1EEEvT1_ ; -- Begin function _ZN7rocprim17ROCPRIM_400000_NS6detail17trampoline_kernelINS0_14default_configENS1_20scan_config_selectorIsEEZZNS1_9scan_implILNS1_25lookback_scan_determinismE0ELb1ELb1ES3_N6thrust23THRUST_200600_302600_NS6detail15normal_iteratorINS9_10device_ptrIsEEEESE_sNS9_4plusIsEEsEEDaPvRmT3_T4_T5_mT6_P12ihipStream_tbENKUlT_T0_E_clISt17integral_constantIbLb0EESU_EEDaSP_SQ_EUlSP_E_NS1_11comp_targetILNS1_3genE10ELNS1_11target_archE1200ELNS1_3gpuE4ELNS1_3repE0EEENS1_30default_config_static_selectorELNS0_4arch9wavefront6targetE1EEEvT1_
	.globl	_ZN7rocprim17ROCPRIM_400000_NS6detail17trampoline_kernelINS0_14default_configENS1_20scan_config_selectorIsEEZZNS1_9scan_implILNS1_25lookback_scan_determinismE0ELb1ELb1ES3_N6thrust23THRUST_200600_302600_NS6detail15normal_iteratorINS9_10device_ptrIsEEEESE_sNS9_4plusIsEEsEEDaPvRmT3_T4_T5_mT6_P12ihipStream_tbENKUlT_T0_E_clISt17integral_constantIbLb0EESU_EEDaSP_SQ_EUlSP_E_NS1_11comp_targetILNS1_3genE10ELNS1_11target_archE1200ELNS1_3gpuE4ELNS1_3repE0EEENS1_30default_config_static_selectorELNS0_4arch9wavefront6targetE1EEEvT1_
	.p2align	8
	.type	_ZN7rocprim17ROCPRIM_400000_NS6detail17trampoline_kernelINS0_14default_configENS1_20scan_config_selectorIsEEZZNS1_9scan_implILNS1_25lookback_scan_determinismE0ELb1ELb1ES3_N6thrust23THRUST_200600_302600_NS6detail15normal_iteratorINS9_10device_ptrIsEEEESE_sNS9_4plusIsEEsEEDaPvRmT3_T4_T5_mT6_P12ihipStream_tbENKUlT_T0_E_clISt17integral_constantIbLb0EESU_EEDaSP_SQ_EUlSP_E_NS1_11comp_targetILNS1_3genE10ELNS1_11target_archE1200ELNS1_3gpuE4ELNS1_3repE0EEENS1_30default_config_static_selectorELNS0_4arch9wavefront6targetE1EEEvT1_,@function
_ZN7rocprim17ROCPRIM_400000_NS6detail17trampoline_kernelINS0_14default_configENS1_20scan_config_selectorIsEEZZNS1_9scan_implILNS1_25lookback_scan_determinismE0ELb1ELb1ES3_N6thrust23THRUST_200600_302600_NS6detail15normal_iteratorINS9_10device_ptrIsEEEESE_sNS9_4plusIsEEsEEDaPvRmT3_T4_T5_mT6_P12ihipStream_tbENKUlT_T0_E_clISt17integral_constantIbLb0EESU_EEDaSP_SQ_EUlSP_E_NS1_11comp_targetILNS1_3genE10ELNS1_11target_archE1200ELNS1_3gpuE4ELNS1_3repE0EEENS1_30default_config_static_selectorELNS0_4arch9wavefront6targetE1EEEvT1_: ; @_ZN7rocprim17ROCPRIM_400000_NS6detail17trampoline_kernelINS0_14default_configENS1_20scan_config_selectorIsEEZZNS1_9scan_implILNS1_25lookback_scan_determinismE0ELb1ELb1ES3_N6thrust23THRUST_200600_302600_NS6detail15normal_iteratorINS9_10device_ptrIsEEEESE_sNS9_4plusIsEEsEEDaPvRmT3_T4_T5_mT6_P12ihipStream_tbENKUlT_T0_E_clISt17integral_constantIbLb0EESU_EEDaSP_SQ_EUlSP_E_NS1_11comp_targetILNS1_3genE10ELNS1_11target_archE1200ELNS1_3gpuE4ELNS1_3repE0EEENS1_30default_config_static_selectorELNS0_4arch9wavefront6targetE1EEEvT1_
; %bb.0:
	.section	.rodata,"a",@progbits
	.p2align	6, 0x0
	.amdhsa_kernel _ZN7rocprim17ROCPRIM_400000_NS6detail17trampoline_kernelINS0_14default_configENS1_20scan_config_selectorIsEEZZNS1_9scan_implILNS1_25lookback_scan_determinismE0ELb1ELb1ES3_N6thrust23THRUST_200600_302600_NS6detail15normal_iteratorINS9_10device_ptrIsEEEESE_sNS9_4plusIsEEsEEDaPvRmT3_T4_T5_mT6_P12ihipStream_tbENKUlT_T0_E_clISt17integral_constantIbLb0EESU_EEDaSP_SQ_EUlSP_E_NS1_11comp_targetILNS1_3genE10ELNS1_11target_archE1200ELNS1_3gpuE4ELNS1_3repE0EEENS1_30default_config_static_selectorELNS0_4arch9wavefront6targetE1EEEvT1_
		.amdhsa_group_segment_fixed_size 0
		.amdhsa_private_segment_fixed_size 0
		.amdhsa_kernarg_size 96
		.amdhsa_user_sgpr_count 6
		.amdhsa_user_sgpr_private_segment_buffer 1
		.amdhsa_user_sgpr_dispatch_ptr 0
		.amdhsa_user_sgpr_queue_ptr 0
		.amdhsa_user_sgpr_kernarg_segment_ptr 1
		.amdhsa_user_sgpr_dispatch_id 0
		.amdhsa_user_sgpr_flat_scratch_init 0
		.amdhsa_user_sgpr_kernarg_preload_length 0
		.amdhsa_user_sgpr_kernarg_preload_offset 0
		.amdhsa_user_sgpr_private_segment_size 0
		.amdhsa_uses_dynamic_stack 0
		.amdhsa_system_sgpr_private_segment_wavefront_offset 0
		.amdhsa_system_sgpr_workgroup_id_x 1
		.amdhsa_system_sgpr_workgroup_id_y 0
		.amdhsa_system_sgpr_workgroup_id_z 0
		.amdhsa_system_sgpr_workgroup_info 0
		.amdhsa_system_vgpr_workitem_id 0
		.amdhsa_next_free_vgpr 1
		.amdhsa_next_free_sgpr 0
		.amdhsa_accum_offset 4
		.amdhsa_reserve_vcc 0
		.amdhsa_reserve_flat_scratch 0
		.amdhsa_float_round_mode_32 0
		.amdhsa_float_round_mode_16_64 0
		.amdhsa_float_denorm_mode_32 3
		.amdhsa_float_denorm_mode_16_64 3
		.amdhsa_dx10_clamp 1
		.amdhsa_ieee_mode 1
		.amdhsa_fp16_overflow 0
		.amdhsa_tg_split 0
		.amdhsa_exception_fp_ieee_invalid_op 0
		.amdhsa_exception_fp_denorm_src 0
		.amdhsa_exception_fp_ieee_div_zero 0
		.amdhsa_exception_fp_ieee_overflow 0
		.amdhsa_exception_fp_ieee_underflow 0
		.amdhsa_exception_fp_ieee_inexact 0
		.amdhsa_exception_int_div_zero 0
	.end_amdhsa_kernel
	.section	.text._ZN7rocprim17ROCPRIM_400000_NS6detail17trampoline_kernelINS0_14default_configENS1_20scan_config_selectorIsEEZZNS1_9scan_implILNS1_25lookback_scan_determinismE0ELb1ELb1ES3_N6thrust23THRUST_200600_302600_NS6detail15normal_iteratorINS9_10device_ptrIsEEEESE_sNS9_4plusIsEEsEEDaPvRmT3_T4_T5_mT6_P12ihipStream_tbENKUlT_T0_E_clISt17integral_constantIbLb0EESU_EEDaSP_SQ_EUlSP_E_NS1_11comp_targetILNS1_3genE10ELNS1_11target_archE1200ELNS1_3gpuE4ELNS1_3repE0EEENS1_30default_config_static_selectorELNS0_4arch9wavefront6targetE1EEEvT1_,"axG",@progbits,_ZN7rocprim17ROCPRIM_400000_NS6detail17trampoline_kernelINS0_14default_configENS1_20scan_config_selectorIsEEZZNS1_9scan_implILNS1_25lookback_scan_determinismE0ELb1ELb1ES3_N6thrust23THRUST_200600_302600_NS6detail15normal_iteratorINS9_10device_ptrIsEEEESE_sNS9_4plusIsEEsEEDaPvRmT3_T4_T5_mT6_P12ihipStream_tbENKUlT_T0_E_clISt17integral_constantIbLb0EESU_EEDaSP_SQ_EUlSP_E_NS1_11comp_targetILNS1_3genE10ELNS1_11target_archE1200ELNS1_3gpuE4ELNS1_3repE0EEENS1_30default_config_static_selectorELNS0_4arch9wavefront6targetE1EEEvT1_,comdat
.Lfunc_end1201:
	.size	_ZN7rocprim17ROCPRIM_400000_NS6detail17trampoline_kernelINS0_14default_configENS1_20scan_config_selectorIsEEZZNS1_9scan_implILNS1_25lookback_scan_determinismE0ELb1ELb1ES3_N6thrust23THRUST_200600_302600_NS6detail15normal_iteratorINS9_10device_ptrIsEEEESE_sNS9_4plusIsEEsEEDaPvRmT3_T4_T5_mT6_P12ihipStream_tbENKUlT_T0_E_clISt17integral_constantIbLb0EESU_EEDaSP_SQ_EUlSP_E_NS1_11comp_targetILNS1_3genE10ELNS1_11target_archE1200ELNS1_3gpuE4ELNS1_3repE0EEENS1_30default_config_static_selectorELNS0_4arch9wavefront6targetE1EEEvT1_, .Lfunc_end1201-_ZN7rocprim17ROCPRIM_400000_NS6detail17trampoline_kernelINS0_14default_configENS1_20scan_config_selectorIsEEZZNS1_9scan_implILNS1_25lookback_scan_determinismE0ELb1ELb1ES3_N6thrust23THRUST_200600_302600_NS6detail15normal_iteratorINS9_10device_ptrIsEEEESE_sNS9_4plusIsEEsEEDaPvRmT3_T4_T5_mT6_P12ihipStream_tbENKUlT_T0_E_clISt17integral_constantIbLb0EESU_EEDaSP_SQ_EUlSP_E_NS1_11comp_targetILNS1_3genE10ELNS1_11target_archE1200ELNS1_3gpuE4ELNS1_3repE0EEENS1_30default_config_static_selectorELNS0_4arch9wavefront6targetE1EEEvT1_
                                        ; -- End function
	.section	.AMDGPU.csdata,"",@progbits
; Kernel info:
; codeLenInByte = 0
; NumSgprs: 4
; NumVgprs: 0
; NumAgprs: 0
; TotalNumVgprs: 0
; ScratchSize: 0
; MemoryBound: 0
; FloatMode: 240
; IeeeMode: 1
; LDSByteSize: 0 bytes/workgroup (compile time only)
; SGPRBlocks: 0
; VGPRBlocks: 0
; NumSGPRsForWavesPerEU: 4
; NumVGPRsForWavesPerEU: 1
; AccumOffset: 4
; Occupancy: 8
; WaveLimiterHint : 0
; COMPUTE_PGM_RSRC2:SCRATCH_EN: 0
; COMPUTE_PGM_RSRC2:USER_SGPR: 6
; COMPUTE_PGM_RSRC2:TRAP_HANDLER: 0
; COMPUTE_PGM_RSRC2:TGID_X_EN: 1
; COMPUTE_PGM_RSRC2:TGID_Y_EN: 0
; COMPUTE_PGM_RSRC2:TGID_Z_EN: 0
; COMPUTE_PGM_RSRC2:TIDIG_COMP_CNT: 0
; COMPUTE_PGM_RSRC3_GFX90A:ACCUM_OFFSET: 0
; COMPUTE_PGM_RSRC3_GFX90A:TG_SPLIT: 0
	.section	.text._ZN7rocprim17ROCPRIM_400000_NS6detail17trampoline_kernelINS0_14default_configENS1_20scan_config_selectorIsEEZZNS1_9scan_implILNS1_25lookback_scan_determinismE0ELb1ELb1ES3_N6thrust23THRUST_200600_302600_NS6detail15normal_iteratorINS9_10device_ptrIsEEEESE_sNS9_4plusIsEEsEEDaPvRmT3_T4_T5_mT6_P12ihipStream_tbENKUlT_T0_E_clISt17integral_constantIbLb0EESU_EEDaSP_SQ_EUlSP_E_NS1_11comp_targetILNS1_3genE9ELNS1_11target_archE1100ELNS1_3gpuE3ELNS1_3repE0EEENS1_30default_config_static_selectorELNS0_4arch9wavefront6targetE1EEEvT1_,"axG",@progbits,_ZN7rocprim17ROCPRIM_400000_NS6detail17trampoline_kernelINS0_14default_configENS1_20scan_config_selectorIsEEZZNS1_9scan_implILNS1_25lookback_scan_determinismE0ELb1ELb1ES3_N6thrust23THRUST_200600_302600_NS6detail15normal_iteratorINS9_10device_ptrIsEEEESE_sNS9_4plusIsEEsEEDaPvRmT3_T4_T5_mT6_P12ihipStream_tbENKUlT_T0_E_clISt17integral_constantIbLb0EESU_EEDaSP_SQ_EUlSP_E_NS1_11comp_targetILNS1_3genE9ELNS1_11target_archE1100ELNS1_3gpuE3ELNS1_3repE0EEENS1_30default_config_static_selectorELNS0_4arch9wavefront6targetE1EEEvT1_,comdat
	.protected	_ZN7rocprim17ROCPRIM_400000_NS6detail17trampoline_kernelINS0_14default_configENS1_20scan_config_selectorIsEEZZNS1_9scan_implILNS1_25lookback_scan_determinismE0ELb1ELb1ES3_N6thrust23THRUST_200600_302600_NS6detail15normal_iteratorINS9_10device_ptrIsEEEESE_sNS9_4plusIsEEsEEDaPvRmT3_T4_T5_mT6_P12ihipStream_tbENKUlT_T0_E_clISt17integral_constantIbLb0EESU_EEDaSP_SQ_EUlSP_E_NS1_11comp_targetILNS1_3genE9ELNS1_11target_archE1100ELNS1_3gpuE3ELNS1_3repE0EEENS1_30default_config_static_selectorELNS0_4arch9wavefront6targetE1EEEvT1_ ; -- Begin function _ZN7rocprim17ROCPRIM_400000_NS6detail17trampoline_kernelINS0_14default_configENS1_20scan_config_selectorIsEEZZNS1_9scan_implILNS1_25lookback_scan_determinismE0ELb1ELb1ES3_N6thrust23THRUST_200600_302600_NS6detail15normal_iteratorINS9_10device_ptrIsEEEESE_sNS9_4plusIsEEsEEDaPvRmT3_T4_T5_mT6_P12ihipStream_tbENKUlT_T0_E_clISt17integral_constantIbLb0EESU_EEDaSP_SQ_EUlSP_E_NS1_11comp_targetILNS1_3genE9ELNS1_11target_archE1100ELNS1_3gpuE3ELNS1_3repE0EEENS1_30default_config_static_selectorELNS0_4arch9wavefront6targetE1EEEvT1_
	.globl	_ZN7rocprim17ROCPRIM_400000_NS6detail17trampoline_kernelINS0_14default_configENS1_20scan_config_selectorIsEEZZNS1_9scan_implILNS1_25lookback_scan_determinismE0ELb1ELb1ES3_N6thrust23THRUST_200600_302600_NS6detail15normal_iteratorINS9_10device_ptrIsEEEESE_sNS9_4plusIsEEsEEDaPvRmT3_T4_T5_mT6_P12ihipStream_tbENKUlT_T0_E_clISt17integral_constantIbLb0EESU_EEDaSP_SQ_EUlSP_E_NS1_11comp_targetILNS1_3genE9ELNS1_11target_archE1100ELNS1_3gpuE3ELNS1_3repE0EEENS1_30default_config_static_selectorELNS0_4arch9wavefront6targetE1EEEvT1_
	.p2align	8
	.type	_ZN7rocprim17ROCPRIM_400000_NS6detail17trampoline_kernelINS0_14default_configENS1_20scan_config_selectorIsEEZZNS1_9scan_implILNS1_25lookback_scan_determinismE0ELb1ELb1ES3_N6thrust23THRUST_200600_302600_NS6detail15normal_iteratorINS9_10device_ptrIsEEEESE_sNS9_4plusIsEEsEEDaPvRmT3_T4_T5_mT6_P12ihipStream_tbENKUlT_T0_E_clISt17integral_constantIbLb0EESU_EEDaSP_SQ_EUlSP_E_NS1_11comp_targetILNS1_3genE9ELNS1_11target_archE1100ELNS1_3gpuE3ELNS1_3repE0EEENS1_30default_config_static_selectorELNS0_4arch9wavefront6targetE1EEEvT1_,@function
_ZN7rocprim17ROCPRIM_400000_NS6detail17trampoline_kernelINS0_14default_configENS1_20scan_config_selectorIsEEZZNS1_9scan_implILNS1_25lookback_scan_determinismE0ELb1ELb1ES3_N6thrust23THRUST_200600_302600_NS6detail15normal_iteratorINS9_10device_ptrIsEEEESE_sNS9_4plusIsEEsEEDaPvRmT3_T4_T5_mT6_P12ihipStream_tbENKUlT_T0_E_clISt17integral_constantIbLb0EESU_EEDaSP_SQ_EUlSP_E_NS1_11comp_targetILNS1_3genE9ELNS1_11target_archE1100ELNS1_3gpuE3ELNS1_3repE0EEENS1_30default_config_static_selectorELNS0_4arch9wavefront6targetE1EEEvT1_: ; @_ZN7rocprim17ROCPRIM_400000_NS6detail17trampoline_kernelINS0_14default_configENS1_20scan_config_selectorIsEEZZNS1_9scan_implILNS1_25lookback_scan_determinismE0ELb1ELb1ES3_N6thrust23THRUST_200600_302600_NS6detail15normal_iteratorINS9_10device_ptrIsEEEESE_sNS9_4plusIsEEsEEDaPvRmT3_T4_T5_mT6_P12ihipStream_tbENKUlT_T0_E_clISt17integral_constantIbLb0EESU_EEDaSP_SQ_EUlSP_E_NS1_11comp_targetILNS1_3genE9ELNS1_11target_archE1100ELNS1_3gpuE3ELNS1_3repE0EEENS1_30default_config_static_selectorELNS0_4arch9wavefront6targetE1EEEvT1_
; %bb.0:
	.section	.rodata,"a",@progbits
	.p2align	6, 0x0
	.amdhsa_kernel _ZN7rocprim17ROCPRIM_400000_NS6detail17trampoline_kernelINS0_14default_configENS1_20scan_config_selectorIsEEZZNS1_9scan_implILNS1_25lookback_scan_determinismE0ELb1ELb1ES3_N6thrust23THRUST_200600_302600_NS6detail15normal_iteratorINS9_10device_ptrIsEEEESE_sNS9_4plusIsEEsEEDaPvRmT3_T4_T5_mT6_P12ihipStream_tbENKUlT_T0_E_clISt17integral_constantIbLb0EESU_EEDaSP_SQ_EUlSP_E_NS1_11comp_targetILNS1_3genE9ELNS1_11target_archE1100ELNS1_3gpuE3ELNS1_3repE0EEENS1_30default_config_static_selectorELNS0_4arch9wavefront6targetE1EEEvT1_
		.amdhsa_group_segment_fixed_size 0
		.amdhsa_private_segment_fixed_size 0
		.amdhsa_kernarg_size 96
		.amdhsa_user_sgpr_count 6
		.amdhsa_user_sgpr_private_segment_buffer 1
		.amdhsa_user_sgpr_dispatch_ptr 0
		.amdhsa_user_sgpr_queue_ptr 0
		.amdhsa_user_sgpr_kernarg_segment_ptr 1
		.amdhsa_user_sgpr_dispatch_id 0
		.amdhsa_user_sgpr_flat_scratch_init 0
		.amdhsa_user_sgpr_kernarg_preload_length 0
		.amdhsa_user_sgpr_kernarg_preload_offset 0
		.amdhsa_user_sgpr_private_segment_size 0
		.amdhsa_uses_dynamic_stack 0
		.amdhsa_system_sgpr_private_segment_wavefront_offset 0
		.amdhsa_system_sgpr_workgroup_id_x 1
		.amdhsa_system_sgpr_workgroup_id_y 0
		.amdhsa_system_sgpr_workgroup_id_z 0
		.amdhsa_system_sgpr_workgroup_info 0
		.amdhsa_system_vgpr_workitem_id 0
		.amdhsa_next_free_vgpr 1
		.amdhsa_next_free_sgpr 0
		.amdhsa_accum_offset 4
		.amdhsa_reserve_vcc 0
		.amdhsa_reserve_flat_scratch 0
		.amdhsa_float_round_mode_32 0
		.amdhsa_float_round_mode_16_64 0
		.amdhsa_float_denorm_mode_32 3
		.amdhsa_float_denorm_mode_16_64 3
		.amdhsa_dx10_clamp 1
		.amdhsa_ieee_mode 1
		.amdhsa_fp16_overflow 0
		.amdhsa_tg_split 0
		.amdhsa_exception_fp_ieee_invalid_op 0
		.amdhsa_exception_fp_denorm_src 0
		.amdhsa_exception_fp_ieee_div_zero 0
		.amdhsa_exception_fp_ieee_overflow 0
		.amdhsa_exception_fp_ieee_underflow 0
		.amdhsa_exception_fp_ieee_inexact 0
		.amdhsa_exception_int_div_zero 0
	.end_amdhsa_kernel
	.section	.text._ZN7rocprim17ROCPRIM_400000_NS6detail17trampoline_kernelINS0_14default_configENS1_20scan_config_selectorIsEEZZNS1_9scan_implILNS1_25lookback_scan_determinismE0ELb1ELb1ES3_N6thrust23THRUST_200600_302600_NS6detail15normal_iteratorINS9_10device_ptrIsEEEESE_sNS9_4plusIsEEsEEDaPvRmT3_T4_T5_mT6_P12ihipStream_tbENKUlT_T0_E_clISt17integral_constantIbLb0EESU_EEDaSP_SQ_EUlSP_E_NS1_11comp_targetILNS1_3genE9ELNS1_11target_archE1100ELNS1_3gpuE3ELNS1_3repE0EEENS1_30default_config_static_selectorELNS0_4arch9wavefront6targetE1EEEvT1_,"axG",@progbits,_ZN7rocprim17ROCPRIM_400000_NS6detail17trampoline_kernelINS0_14default_configENS1_20scan_config_selectorIsEEZZNS1_9scan_implILNS1_25lookback_scan_determinismE0ELb1ELb1ES3_N6thrust23THRUST_200600_302600_NS6detail15normal_iteratorINS9_10device_ptrIsEEEESE_sNS9_4plusIsEEsEEDaPvRmT3_T4_T5_mT6_P12ihipStream_tbENKUlT_T0_E_clISt17integral_constantIbLb0EESU_EEDaSP_SQ_EUlSP_E_NS1_11comp_targetILNS1_3genE9ELNS1_11target_archE1100ELNS1_3gpuE3ELNS1_3repE0EEENS1_30default_config_static_selectorELNS0_4arch9wavefront6targetE1EEEvT1_,comdat
.Lfunc_end1202:
	.size	_ZN7rocprim17ROCPRIM_400000_NS6detail17trampoline_kernelINS0_14default_configENS1_20scan_config_selectorIsEEZZNS1_9scan_implILNS1_25lookback_scan_determinismE0ELb1ELb1ES3_N6thrust23THRUST_200600_302600_NS6detail15normal_iteratorINS9_10device_ptrIsEEEESE_sNS9_4plusIsEEsEEDaPvRmT3_T4_T5_mT6_P12ihipStream_tbENKUlT_T0_E_clISt17integral_constantIbLb0EESU_EEDaSP_SQ_EUlSP_E_NS1_11comp_targetILNS1_3genE9ELNS1_11target_archE1100ELNS1_3gpuE3ELNS1_3repE0EEENS1_30default_config_static_selectorELNS0_4arch9wavefront6targetE1EEEvT1_, .Lfunc_end1202-_ZN7rocprim17ROCPRIM_400000_NS6detail17trampoline_kernelINS0_14default_configENS1_20scan_config_selectorIsEEZZNS1_9scan_implILNS1_25lookback_scan_determinismE0ELb1ELb1ES3_N6thrust23THRUST_200600_302600_NS6detail15normal_iteratorINS9_10device_ptrIsEEEESE_sNS9_4plusIsEEsEEDaPvRmT3_T4_T5_mT6_P12ihipStream_tbENKUlT_T0_E_clISt17integral_constantIbLb0EESU_EEDaSP_SQ_EUlSP_E_NS1_11comp_targetILNS1_3genE9ELNS1_11target_archE1100ELNS1_3gpuE3ELNS1_3repE0EEENS1_30default_config_static_selectorELNS0_4arch9wavefront6targetE1EEEvT1_
                                        ; -- End function
	.section	.AMDGPU.csdata,"",@progbits
; Kernel info:
; codeLenInByte = 0
; NumSgprs: 4
; NumVgprs: 0
; NumAgprs: 0
; TotalNumVgprs: 0
; ScratchSize: 0
; MemoryBound: 0
; FloatMode: 240
; IeeeMode: 1
; LDSByteSize: 0 bytes/workgroup (compile time only)
; SGPRBlocks: 0
; VGPRBlocks: 0
; NumSGPRsForWavesPerEU: 4
; NumVGPRsForWavesPerEU: 1
; AccumOffset: 4
; Occupancy: 8
; WaveLimiterHint : 0
; COMPUTE_PGM_RSRC2:SCRATCH_EN: 0
; COMPUTE_PGM_RSRC2:USER_SGPR: 6
; COMPUTE_PGM_RSRC2:TRAP_HANDLER: 0
; COMPUTE_PGM_RSRC2:TGID_X_EN: 1
; COMPUTE_PGM_RSRC2:TGID_Y_EN: 0
; COMPUTE_PGM_RSRC2:TGID_Z_EN: 0
; COMPUTE_PGM_RSRC2:TIDIG_COMP_CNT: 0
; COMPUTE_PGM_RSRC3_GFX90A:ACCUM_OFFSET: 0
; COMPUTE_PGM_RSRC3_GFX90A:TG_SPLIT: 0
	.section	.text._ZN7rocprim17ROCPRIM_400000_NS6detail17trampoline_kernelINS0_14default_configENS1_20scan_config_selectorIsEEZZNS1_9scan_implILNS1_25lookback_scan_determinismE0ELb1ELb1ES3_N6thrust23THRUST_200600_302600_NS6detail15normal_iteratorINS9_10device_ptrIsEEEESE_sNS9_4plusIsEEsEEDaPvRmT3_T4_T5_mT6_P12ihipStream_tbENKUlT_T0_E_clISt17integral_constantIbLb0EESU_EEDaSP_SQ_EUlSP_E_NS1_11comp_targetILNS1_3genE8ELNS1_11target_archE1030ELNS1_3gpuE2ELNS1_3repE0EEENS1_30default_config_static_selectorELNS0_4arch9wavefront6targetE1EEEvT1_,"axG",@progbits,_ZN7rocprim17ROCPRIM_400000_NS6detail17trampoline_kernelINS0_14default_configENS1_20scan_config_selectorIsEEZZNS1_9scan_implILNS1_25lookback_scan_determinismE0ELb1ELb1ES3_N6thrust23THRUST_200600_302600_NS6detail15normal_iteratorINS9_10device_ptrIsEEEESE_sNS9_4plusIsEEsEEDaPvRmT3_T4_T5_mT6_P12ihipStream_tbENKUlT_T0_E_clISt17integral_constantIbLb0EESU_EEDaSP_SQ_EUlSP_E_NS1_11comp_targetILNS1_3genE8ELNS1_11target_archE1030ELNS1_3gpuE2ELNS1_3repE0EEENS1_30default_config_static_selectorELNS0_4arch9wavefront6targetE1EEEvT1_,comdat
	.protected	_ZN7rocprim17ROCPRIM_400000_NS6detail17trampoline_kernelINS0_14default_configENS1_20scan_config_selectorIsEEZZNS1_9scan_implILNS1_25lookback_scan_determinismE0ELb1ELb1ES3_N6thrust23THRUST_200600_302600_NS6detail15normal_iteratorINS9_10device_ptrIsEEEESE_sNS9_4plusIsEEsEEDaPvRmT3_T4_T5_mT6_P12ihipStream_tbENKUlT_T0_E_clISt17integral_constantIbLb0EESU_EEDaSP_SQ_EUlSP_E_NS1_11comp_targetILNS1_3genE8ELNS1_11target_archE1030ELNS1_3gpuE2ELNS1_3repE0EEENS1_30default_config_static_selectorELNS0_4arch9wavefront6targetE1EEEvT1_ ; -- Begin function _ZN7rocprim17ROCPRIM_400000_NS6detail17trampoline_kernelINS0_14default_configENS1_20scan_config_selectorIsEEZZNS1_9scan_implILNS1_25lookback_scan_determinismE0ELb1ELb1ES3_N6thrust23THRUST_200600_302600_NS6detail15normal_iteratorINS9_10device_ptrIsEEEESE_sNS9_4plusIsEEsEEDaPvRmT3_T4_T5_mT6_P12ihipStream_tbENKUlT_T0_E_clISt17integral_constantIbLb0EESU_EEDaSP_SQ_EUlSP_E_NS1_11comp_targetILNS1_3genE8ELNS1_11target_archE1030ELNS1_3gpuE2ELNS1_3repE0EEENS1_30default_config_static_selectorELNS0_4arch9wavefront6targetE1EEEvT1_
	.globl	_ZN7rocprim17ROCPRIM_400000_NS6detail17trampoline_kernelINS0_14default_configENS1_20scan_config_selectorIsEEZZNS1_9scan_implILNS1_25lookback_scan_determinismE0ELb1ELb1ES3_N6thrust23THRUST_200600_302600_NS6detail15normal_iteratorINS9_10device_ptrIsEEEESE_sNS9_4plusIsEEsEEDaPvRmT3_T4_T5_mT6_P12ihipStream_tbENKUlT_T0_E_clISt17integral_constantIbLb0EESU_EEDaSP_SQ_EUlSP_E_NS1_11comp_targetILNS1_3genE8ELNS1_11target_archE1030ELNS1_3gpuE2ELNS1_3repE0EEENS1_30default_config_static_selectorELNS0_4arch9wavefront6targetE1EEEvT1_
	.p2align	8
	.type	_ZN7rocprim17ROCPRIM_400000_NS6detail17trampoline_kernelINS0_14default_configENS1_20scan_config_selectorIsEEZZNS1_9scan_implILNS1_25lookback_scan_determinismE0ELb1ELb1ES3_N6thrust23THRUST_200600_302600_NS6detail15normal_iteratorINS9_10device_ptrIsEEEESE_sNS9_4plusIsEEsEEDaPvRmT3_T4_T5_mT6_P12ihipStream_tbENKUlT_T0_E_clISt17integral_constantIbLb0EESU_EEDaSP_SQ_EUlSP_E_NS1_11comp_targetILNS1_3genE8ELNS1_11target_archE1030ELNS1_3gpuE2ELNS1_3repE0EEENS1_30default_config_static_selectorELNS0_4arch9wavefront6targetE1EEEvT1_,@function
_ZN7rocprim17ROCPRIM_400000_NS6detail17trampoline_kernelINS0_14default_configENS1_20scan_config_selectorIsEEZZNS1_9scan_implILNS1_25lookback_scan_determinismE0ELb1ELb1ES3_N6thrust23THRUST_200600_302600_NS6detail15normal_iteratorINS9_10device_ptrIsEEEESE_sNS9_4plusIsEEsEEDaPvRmT3_T4_T5_mT6_P12ihipStream_tbENKUlT_T0_E_clISt17integral_constantIbLb0EESU_EEDaSP_SQ_EUlSP_E_NS1_11comp_targetILNS1_3genE8ELNS1_11target_archE1030ELNS1_3gpuE2ELNS1_3repE0EEENS1_30default_config_static_selectorELNS0_4arch9wavefront6targetE1EEEvT1_: ; @_ZN7rocprim17ROCPRIM_400000_NS6detail17trampoline_kernelINS0_14default_configENS1_20scan_config_selectorIsEEZZNS1_9scan_implILNS1_25lookback_scan_determinismE0ELb1ELb1ES3_N6thrust23THRUST_200600_302600_NS6detail15normal_iteratorINS9_10device_ptrIsEEEESE_sNS9_4plusIsEEsEEDaPvRmT3_T4_T5_mT6_P12ihipStream_tbENKUlT_T0_E_clISt17integral_constantIbLb0EESU_EEDaSP_SQ_EUlSP_E_NS1_11comp_targetILNS1_3genE8ELNS1_11target_archE1030ELNS1_3gpuE2ELNS1_3repE0EEENS1_30default_config_static_selectorELNS0_4arch9wavefront6targetE1EEEvT1_
; %bb.0:
	.section	.rodata,"a",@progbits
	.p2align	6, 0x0
	.amdhsa_kernel _ZN7rocprim17ROCPRIM_400000_NS6detail17trampoline_kernelINS0_14default_configENS1_20scan_config_selectorIsEEZZNS1_9scan_implILNS1_25lookback_scan_determinismE0ELb1ELb1ES3_N6thrust23THRUST_200600_302600_NS6detail15normal_iteratorINS9_10device_ptrIsEEEESE_sNS9_4plusIsEEsEEDaPvRmT3_T4_T5_mT6_P12ihipStream_tbENKUlT_T0_E_clISt17integral_constantIbLb0EESU_EEDaSP_SQ_EUlSP_E_NS1_11comp_targetILNS1_3genE8ELNS1_11target_archE1030ELNS1_3gpuE2ELNS1_3repE0EEENS1_30default_config_static_selectorELNS0_4arch9wavefront6targetE1EEEvT1_
		.amdhsa_group_segment_fixed_size 0
		.amdhsa_private_segment_fixed_size 0
		.amdhsa_kernarg_size 96
		.amdhsa_user_sgpr_count 6
		.amdhsa_user_sgpr_private_segment_buffer 1
		.amdhsa_user_sgpr_dispatch_ptr 0
		.amdhsa_user_sgpr_queue_ptr 0
		.amdhsa_user_sgpr_kernarg_segment_ptr 1
		.amdhsa_user_sgpr_dispatch_id 0
		.amdhsa_user_sgpr_flat_scratch_init 0
		.amdhsa_user_sgpr_kernarg_preload_length 0
		.amdhsa_user_sgpr_kernarg_preload_offset 0
		.amdhsa_user_sgpr_private_segment_size 0
		.amdhsa_uses_dynamic_stack 0
		.amdhsa_system_sgpr_private_segment_wavefront_offset 0
		.amdhsa_system_sgpr_workgroup_id_x 1
		.amdhsa_system_sgpr_workgroup_id_y 0
		.amdhsa_system_sgpr_workgroup_id_z 0
		.amdhsa_system_sgpr_workgroup_info 0
		.amdhsa_system_vgpr_workitem_id 0
		.amdhsa_next_free_vgpr 1
		.amdhsa_next_free_sgpr 0
		.amdhsa_accum_offset 4
		.amdhsa_reserve_vcc 0
		.amdhsa_reserve_flat_scratch 0
		.amdhsa_float_round_mode_32 0
		.amdhsa_float_round_mode_16_64 0
		.amdhsa_float_denorm_mode_32 3
		.amdhsa_float_denorm_mode_16_64 3
		.amdhsa_dx10_clamp 1
		.amdhsa_ieee_mode 1
		.amdhsa_fp16_overflow 0
		.amdhsa_tg_split 0
		.amdhsa_exception_fp_ieee_invalid_op 0
		.amdhsa_exception_fp_denorm_src 0
		.amdhsa_exception_fp_ieee_div_zero 0
		.amdhsa_exception_fp_ieee_overflow 0
		.amdhsa_exception_fp_ieee_underflow 0
		.amdhsa_exception_fp_ieee_inexact 0
		.amdhsa_exception_int_div_zero 0
	.end_amdhsa_kernel
	.section	.text._ZN7rocprim17ROCPRIM_400000_NS6detail17trampoline_kernelINS0_14default_configENS1_20scan_config_selectorIsEEZZNS1_9scan_implILNS1_25lookback_scan_determinismE0ELb1ELb1ES3_N6thrust23THRUST_200600_302600_NS6detail15normal_iteratorINS9_10device_ptrIsEEEESE_sNS9_4plusIsEEsEEDaPvRmT3_T4_T5_mT6_P12ihipStream_tbENKUlT_T0_E_clISt17integral_constantIbLb0EESU_EEDaSP_SQ_EUlSP_E_NS1_11comp_targetILNS1_3genE8ELNS1_11target_archE1030ELNS1_3gpuE2ELNS1_3repE0EEENS1_30default_config_static_selectorELNS0_4arch9wavefront6targetE1EEEvT1_,"axG",@progbits,_ZN7rocprim17ROCPRIM_400000_NS6detail17trampoline_kernelINS0_14default_configENS1_20scan_config_selectorIsEEZZNS1_9scan_implILNS1_25lookback_scan_determinismE0ELb1ELb1ES3_N6thrust23THRUST_200600_302600_NS6detail15normal_iteratorINS9_10device_ptrIsEEEESE_sNS9_4plusIsEEsEEDaPvRmT3_T4_T5_mT6_P12ihipStream_tbENKUlT_T0_E_clISt17integral_constantIbLb0EESU_EEDaSP_SQ_EUlSP_E_NS1_11comp_targetILNS1_3genE8ELNS1_11target_archE1030ELNS1_3gpuE2ELNS1_3repE0EEENS1_30default_config_static_selectorELNS0_4arch9wavefront6targetE1EEEvT1_,comdat
.Lfunc_end1203:
	.size	_ZN7rocprim17ROCPRIM_400000_NS6detail17trampoline_kernelINS0_14default_configENS1_20scan_config_selectorIsEEZZNS1_9scan_implILNS1_25lookback_scan_determinismE0ELb1ELb1ES3_N6thrust23THRUST_200600_302600_NS6detail15normal_iteratorINS9_10device_ptrIsEEEESE_sNS9_4plusIsEEsEEDaPvRmT3_T4_T5_mT6_P12ihipStream_tbENKUlT_T0_E_clISt17integral_constantIbLb0EESU_EEDaSP_SQ_EUlSP_E_NS1_11comp_targetILNS1_3genE8ELNS1_11target_archE1030ELNS1_3gpuE2ELNS1_3repE0EEENS1_30default_config_static_selectorELNS0_4arch9wavefront6targetE1EEEvT1_, .Lfunc_end1203-_ZN7rocprim17ROCPRIM_400000_NS6detail17trampoline_kernelINS0_14default_configENS1_20scan_config_selectorIsEEZZNS1_9scan_implILNS1_25lookback_scan_determinismE0ELb1ELb1ES3_N6thrust23THRUST_200600_302600_NS6detail15normal_iteratorINS9_10device_ptrIsEEEESE_sNS9_4plusIsEEsEEDaPvRmT3_T4_T5_mT6_P12ihipStream_tbENKUlT_T0_E_clISt17integral_constantIbLb0EESU_EEDaSP_SQ_EUlSP_E_NS1_11comp_targetILNS1_3genE8ELNS1_11target_archE1030ELNS1_3gpuE2ELNS1_3repE0EEENS1_30default_config_static_selectorELNS0_4arch9wavefront6targetE1EEEvT1_
                                        ; -- End function
	.section	.AMDGPU.csdata,"",@progbits
; Kernel info:
; codeLenInByte = 0
; NumSgprs: 4
; NumVgprs: 0
; NumAgprs: 0
; TotalNumVgprs: 0
; ScratchSize: 0
; MemoryBound: 0
; FloatMode: 240
; IeeeMode: 1
; LDSByteSize: 0 bytes/workgroup (compile time only)
; SGPRBlocks: 0
; VGPRBlocks: 0
; NumSGPRsForWavesPerEU: 4
; NumVGPRsForWavesPerEU: 1
; AccumOffset: 4
; Occupancy: 8
; WaveLimiterHint : 0
; COMPUTE_PGM_RSRC2:SCRATCH_EN: 0
; COMPUTE_PGM_RSRC2:USER_SGPR: 6
; COMPUTE_PGM_RSRC2:TRAP_HANDLER: 0
; COMPUTE_PGM_RSRC2:TGID_X_EN: 1
; COMPUTE_PGM_RSRC2:TGID_Y_EN: 0
; COMPUTE_PGM_RSRC2:TGID_Z_EN: 0
; COMPUTE_PGM_RSRC2:TIDIG_COMP_CNT: 0
; COMPUTE_PGM_RSRC3_GFX90A:ACCUM_OFFSET: 0
; COMPUTE_PGM_RSRC3_GFX90A:TG_SPLIT: 0
	.section	.text._ZN7rocprim17ROCPRIM_400000_NS6detail17trampoline_kernelINS0_14default_configENS1_20scan_config_selectorIsEEZZNS1_9scan_implILNS1_25lookback_scan_determinismE0ELb1ELb1ES3_N6thrust23THRUST_200600_302600_NS6detail15normal_iteratorINS9_10device_ptrIsEEEESE_sNS9_4plusIsEEsEEDaPvRmT3_T4_T5_mT6_P12ihipStream_tbENKUlT_T0_E_clISt17integral_constantIbLb0EESU_EEDaSP_SQ_EUlSP_E0_NS1_11comp_targetILNS1_3genE0ELNS1_11target_archE4294967295ELNS1_3gpuE0ELNS1_3repE0EEENS1_30default_config_static_selectorELNS0_4arch9wavefront6targetE1EEEvT1_,"axG",@progbits,_ZN7rocprim17ROCPRIM_400000_NS6detail17trampoline_kernelINS0_14default_configENS1_20scan_config_selectorIsEEZZNS1_9scan_implILNS1_25lookback_scan_determinismE0ELb1ELb1ES3_N6thrust23THRUST_200600_302600_NS6detail15normal_iteratorINS9_10device_ptrIsEEEESE_sNS9_4plusIsEEsEEDaPvRmT3_T4_T5_mT6_P12ihipStream_tbENKUlT_T0_E_clISt17integral_constantIbLb0EESU_EEDaSP_SQ_EUlSP_E0_NS1_11comp_targetILNS1_3genE0ELNS1_11target_archE4294967295ELNS1_3gpuE0ELNS1_3repE0EEENS1_30default_config_static_selectorELNS0_4arch9wavefront6targetE1EEEvT1_,comdat
	.protected	_ZN7rocprim17ROCPRIM_400000_NS6detail17trampoline_kernelINS0_14default_configENS1_20scan_config_selectorIsEEZZNS1_9scan_implILNS1_25lookback_scan_determinismE0ELb1ELb1ES3_N6thrust23THRUST_200600_302600_NS6detail15normal_iteratorINS9_10device_ptrIsEEEESE_sNS9_4plusIsEEsEEDaPvRmT3_T4_T5_mT6_P12ihipStream_tbENKUlT_T0_E_clISt17integral_constantIbLb0EESU_EEDaSP_SQ_EUlSP_E0_NS1_11comp_targetILNS1_3genE0ELNS1_11target_archE4294967295ELNS1_3gpuE0ELNS1_3repE0EEENS1_30default_config_static_selectorELNS0_4arch9wavefront6targetE1EEEvT1_ ; -- Begin function _ZN7rocprim17ROCPRIM_400000_NS6detail17trampoline_kernelINS0_14default_configENS1_20scan_config_selectorIsEEZZNS1_9scan_implILNS1_25lookback_scan_determinismE0ELb1ELb1ES3_N6thrust23THRUST_200600_302600_NS6detail15normal_iteratorINS9_10device_ptrIsEEEESE_sNS9_4plusIsEEsEEDaPvRmT3_T4_T5_mT6_P12ihipStream_tbENKUlT_T0_E_clISt17integral_constantIbLb0EESU_EEDaSP_SQ_EUlSP_E0_NS1_11comp_targetILNS1_3genE0ELNS1_11target_archE4294967295ELNS1_3gpuE0ELNS1_3repE0EEENS1_30default_config_static_selectorELNS0_4arch9wavefront6targetE1EEEvT1_
	.globl	_ZN7rocprim17ROCPRIM_400000_NS6detail17trampoline_kernelINS0_14default_configENS1_20scan_config_selectorIsEEZZNS1_9scan_implILNS1_25lookback_scan_determinismE0ELb1ELb1ES3_N6thrust23THRUST_200600_302600_NS6detail15normal_iteratorINS9_10device_ptrIsEEEESE_sNS9_4plusIsEEsEEDaPvRmT3_T4_T5_mT6_P12ihipStream_tbENKUlT_T0_E_clISt17integral_constantIbLb0EESU_EEDaSP_SQ_EUlSP_E0_NS1_11comp_targetILNS1_3genE0ELNS1_11target_archE4294967295ELNS1_3gpuE0ELNS1_3repE0EEENS1_30default_config_static_selectorELNS0_4arch9wavefront6targetE1EEEvT1_
	.p2align	8
	.type	_ZN7rocprim17ROCPRIM_400000_NS6detail17trampoline_kernelINS0_14default_configENS1_20scan_config_selectorIsEEZZNS1_9scan_implILNS1_25lookback_scan_determinismE0ELb1ELb1ES3_N6thrust23THRUST_200600_302600_NS6detail15normal_iteratorINS9_10device_ptrIsEEEESE_sNS9_4plusIsEEsEEDaPvRmT3_T4_T5_mT6_P12ihipStream_tbENKUlT_T0_E_clISt17integral_constantIbLb0EESU_EEDaSP_SQ_EUlSP_E0_NS1_11comp_targetILNS1_3genE0ELNS1_11target_archE4294967295ELNS1_3gpuE0ELNS1_3repE0EEENS1_30default_config_static_selectorELNS0_4arch9wavefront6targetE1EEEvT1_,@function
_ZN7rocprim17ROCPRIM_400000_NS6detail17trampoline_kernelINS0_14default_configENS1_20scan_config_selectorIsEEZZNS1_9scan_implILNS1_25lookback_scan_determinismE0ELb1ELb1ES3_N6thrust23THRUST_200600_302600_NS6detail15normal_iteratorINS9_10device_ptrIsEEEESE_sNS9_4plusIsEEsEEDaPvRmT3_T4_T5_mT6_P12ihipStream_tbENKUlT_T0_E_clISt17integral_constantIbLb0EESU_EEDaSP_SQ_EUlSP_E0_NS1_11comp_targetILNS1_3genE0ELNS1_11target_archE4294967295ELNS1_3gpuE0ELNS1_3repE0EEENS1_30default_config_static_selectorELNS0_4arch9wavefront6targetE1EEEvT1_: ; @_ZN7rocprim17ROCPRIM_400000_NS6detail17trampoline_kernelINS0_14default_configENS1_20scan_config_selectorIsEEZZNS1_9scan_implILNS1_25lookback_scan_determinismE0ELb1ELb1ES3_N6thrust23THRUST_200600_302600_NS6detail15normal_iteratorINS9_10device_ptrIsEEEESE_sNS9_4plusIsEEsEEDaPvRmT3_T4_T5_mT6_P12ihipStream_tbENKUlT_T0_E_clISt17integral_constantIbLb0EESU_EEDaSP_SQ_EUlSP_E0_NS1_11comp_targetILNS1_3genE0ELNS1_11target_archE4294967295ELNS1_3gpuE0ELNS1_3repE0EEENS1_30default_config_static_selectorELNS0_4arch9wavefront6targetE1EEEvT1_
; %bb.0:
	.section	.rodata,"a",@progbits
	.p2align	6, 0x0
	.amdhsa_kernel _ZN7rocprim17ROCPRIM_400000_NS6detail17trampoline_kernelINS0_14default_configENS1_20scan_config_selectorIsEEZZNS1_9scan_implILNS1_25lookback_scan_determinismE0ELb1ELb1ES3_N6thrust23THRUST_200600_302600_NS6detail15normal_iteratorINS9_10device_ptrIsEEEESE_sNS9_4plusIsEEsEEDaPvRmT3_T4_T5_mT6_P12ihipStream_tbENKUlT_T0_E_clISt17integral_constantIbLb0EESU_EEDaSP_SQ_EUlSP_E0_NS1_11comp_targetILNS1_3genE0ELNS1_11target_archE4294967295ELNS1_3gpuE0ELNS1_3repE0EEENS1_30default_config_static_selectorELNS0_4arch9wavefront6targetE1EEEvT1_
		.amdhsa_group_segment_fixed_size 0
		.amdhsa_private_segment_fixed_size 0
		.amdhsa_kernarg_size 32
		.amdhsa_user_sgpr_count 6
		.amdhsa_user_sgpr_private_segment_buffer 1
		.amdhsa_user_sgpr_dispatch_ptr 0
		.amdhsa_user_sgpr_queue_ptr 0
		.amdhsa_user_sgpr_kernarg_segment_ptr 1
		.amdhsa_user_sgpr_dispatch_id 0
		.amdhsa_user_sgpr_flat_scratch_init 0
		.amdhsa_user_sgpr_kernarg_preload_length 0
		.amdhsa_user_sgpr_kernarg_preload_offset 0
		.amdhsa_user_sgpr_private_segment_size 0
		.amdhsa_uses_dynamic_stack 0
		.amdhsa_system_sgpr_private_segment_wavefront_offset 0
		.amdhsa_system_sgpr_workgroup_id_x 1
		.amdhsa_system_sgpr_workgroup_id_y 0
		.amdhsa_system_sgpr_workgroup_id_z 0
		.amdhsa_system_sgpr_workgroup_info 0
		.amdhsa_system_vgpr_workitem_id 0
		.amdhsa_next_free_vgpr 1
		.amdhsa_next_free_sgpr 0
		.amdhsa_accum_offset 4
		.amdhsa_reserve_vcc 0
		.amdhsa_reserve_flat_scratch 0
		.amdhsa_float_round_mode_32 0
		.amdhsa_float_round_mode_16_64 0
		.amdhsa_float_denorm_mode_32 3
		.amdhsa_float_denorm_mode_16_64 3
		.amdhsa_dx10_clamp 1
		.amdhsa_ieee_mode 1
		.amdhsa_fp16_overflow 0
		.amdhsa_tg_split 0
		.amdhsa_exception_fp_ieee_invalid_op 0
		.amdhsa_exception_fp_denorm_src 0
		.amdhsa_exception_fp_ieee_div_zero 0
		.amdhsa_exception_fp_ieee_overflow 0
		.amdhsa_exception_fp_ieee_underflow 0
		.amdhsa_exception_fp_ieee_inexact 0
		.amdhsa_exception_int_div_zero 0
	.end_amdhsa_kernel
	.section	.text._ZN7rocprim17ROCPRIM_400000_NS6detail17trampoline_kernelINS0_14default_configENS1_20scan_config_selectorIsEEZZNS1_9scan_implILNS1_25lookback_scan_determinismE0ELb1ELb1ES3_N6thrust23THRUST_200600_302600_NS6detail15normal_iteratorINS9_10device_ptrIsEEEESE_sNS9_4plusIsEEsEEDaPvRmT3_T4_T5_mT6_P12ihipStream_tbENKUlT_T0_E_clISt17integral_constantIbLb0EESU_EEDaSP_SQ_EUlSP_E0_NS1_11comp_targetILNS1_3genE0ELNS1_11target_archE4294967295ELNS1_3gpuE0ELNS1_3repE0EEENS1_30default_config_static_selectorELNS0_4arch9wavefront6targetE1EEEvT1_,"axG",@progbits,_ZN7rocprim17ROCPRIM_400000_NS6detail17trampoline_kernelINS0_14default_configENS1_20scan_config_selectorIsEEZZNS1_9scan_implILNS1_25lookback_scan_determinismE0ELb1ELb1ES3_N6thrust23THRUST_200600_302600_NS6detail15normal_iteratorINS9_10device_ptrIsEEEESE_sNS9_4plusIsEEsEEDaPvRmT3_T4_T5_mT6_P12ihipStream_tbENKUlT_T0_E_clISt17integral_constantIbLb0EESU_EEDaSP_SQ_EUlSP_E0_NS1_11comp_targetILNS1_3genE0ELNS1_11target_archE4294967295ELNS1_3gpuE0ELNS1_3repE0EEENS1_30default_config_static_selectorELNS0_4arch9wavefront6targetE1EEEvT1_,comdat
.Lfunc_end1204:
	.size	_ZN7rocprim17ROCPRIM_400000_NS6detail17trampoline_kernelINS0_14default_configENS1_20scan_config_selectorIsEEZZNS1_9scan_implILNS1_25lookback_scan_determinismE0ELb1ELb1ES3_N6thrust23THRUST_200600_302600_NS6detail15normal_iteratorINS9_10device_ptrIsEEEESE_sNS9_4plusIsEEsEEDaPvRmT3_T4_T5_mT6_P12ihipStream_tbENKUlT_T0_E_clISt17integral_constantIbLb0EESU_EEDaSP_SQ_EUlSP_E0_NS1_11comp_targetILNS1_3genE0ELNS1_11target_archE4294967295ELNS1_3gpuE0ELNS1_3repE0EEENS1_30default_config_static_selectorELNS0_4arch9wavefront6targetE1EEEvT1_, .Lfunc_end1204-_ZN7rocprim17ROCPRIM_400000_NS6detail17trampoline_kernelINS0_14default_configENS1_20scan_config_selectorIsEEZZNS1_9scan_implILNS1_25lookback_scan_determinismE0ELb1ELb1ES3_N6thrust23THRUST_200600_302600_NS6detail15normal_iteratorINS9_10device_ptrIsEEEESE_sNS9_4plusIsEEsEEDaPvRmT3_T4_T5_mT6_P12ihipStream_tbENKUlT_T0_E_clISt17integral_constantIbLb0EESU_EEDaSP_SQ_EUlSP_E0_NS1_11comp_targetILNS1_3genE0ELNS1_11target_archE4294967295ELNS1_3gpuE0ELNS1_3repE0EEENS1_30default_config_static_selectorELNS0_4arch9wavefront6targetE1EEEvT1_
                                        ; -- End function
	.section	.AMDGPU.csdata,"",@progbits
; Kernel info:
; codeLenInByte = 0
; NumSgprs: 4
; NumVgprs: 0
; NumAgprs: 0
; TotalNumVgprs: 0
; ScratchSize: 0
; MemoryBound: 0
; FloatMode: 240
; IeeeMode: 1
; LDSByteSize: 0 bytes/workgroup (compile time only)
; SGPRBlocks: 0
; VGPRBlocks: 0
; NumSGPRsForWavesPerEU: 4
; NumVGPRsForWavesPerEU: 1
; AccumOffset: 4
; Occupancy: 8
; WaveLimiterHint : 0
; COMPUTE_PGM_RSRC2:SCRATCH_EN: 0
; COMPUTE_PGM_RSRC2:USER_SGPR: 6
; COMPUTE_PGM_RSRC2:TRAP_HANDLER: 0
; COMPUTE_PGM_RSRC2:TGID_X_EN: 1
; COMPUTE_PGM_RSRC2:TGID_Y_EN: 0
; COMPUTE_PGM_RSRC2:TGID_Z_EN: 0
; COMPUTE_PGM_RSRC2:TIDIG_COMP_CNT: 0
; COMPUTE_PGM_RSRC3_GFX90A:ACCUM_OFFSET: 0
; COMPUTE_PGM_RSRC3_GFX90A:TG_SPLIT: 0
	.section	.text._ZN7rocprim17ROCPRIM_400000_NS6detail17trampoline_kernelINS0_14default_configENS1_20scan_config_selectorIsEEZZNS1_9scan_implILNS1_25lookback_scan_determinismE0ELb1ELb1ES3_N6thrust23THRUST_200600_302600_NS6detail15normal_iteratorINS9_10device_ptrIsEEEESE_sNS9_4plusIsEEsEEDaPvRmT3_T4_T5_mT6_P12ihipStream_tbENKUlT_T0_E_clISt17integral_constantIbLb0EESU_EEDaSP_SQ_EUlSP_E0_NS1_11comp_targetILNS1_3genE5ELNS1_11target_archE942ELNS1_3gpuE9ELNS1_3repE0EEENS1_30default_config_static_selectorELNS0_4arch9wavefront6targetE1EEEvT1_,"axG",@progbits,_ZN7rocprim17ROCPRIM_400000_NS6detail17trampoline_kernelINS0_14default_configENS1_20scan_config_selectorIsEEZZNS1_9scan_implILNS1_25lookback_scan_determinismE0ELb1ELb1ES3_N6thrust23THRUST_200600_302600_NS6detail15normal_iteratorINS9_10device_ptrIsEEEESE_sNS9_4plusIsEEsEEDaPvRmT3_T4_T5_mT6_P12ihipStream_tbENKUlT_T0_E_clISt17integral_constantIbLb0EESU_EEDaSP_SQ_EUlSP_E0_NS1_11comp_targetILNS1_3genE5ELNS1_11target_archE942ELNS1_3gpuE9ELNS1_3repE0EEENS1_30default_config_static_selectorELNS0_4arch9wavefront6targetE1EEEvT1_,comdat
	.protected	_ZN7rocprim17ROCPRIM_400000_NS6detail17trampoline_kernelINS0_14default_configENS1_20scan_config_selectorIsEEZZNS1_9scan_implILNS1_25lookback_scan_determinismE0ELb1ELb1ES3_N6thrust23THRUST_200600_302600_NS6detail15normal_iteratorINS9_10device_ptrIsEEEESE_sNS9_4plusIsEEsEEDaPvRmT3_T4_T5_mT6_P12ihipStream_tbENKUlT_T0_E_clISt17integral_constantIbLb0EESU_EEDaSP_SQ_EUlSP_E0_NS1_11comp_targetILNS1_3genE5ELNS1_11target_archE942ELNS1_3gpuE9ELNS1_3repE0EEENS1_30default_config_static_selectorELNS0_4arch9wavefront6targetE1EEEvT1_ ; -- Begin function _ZN7rocprim17ROCPRIM_400000_NS6detail17trampoline_kernelINS0_14default_configENS1_20scan_config_selectorIsEEZZNS1_9scan_implILNS1_25lookback_scan_determinismE0ELb1ELb1ES3_N6thrust23THRUST_200600_302600_NS6detail15normal_iteratorINS9_10device_ptrIsEEEESE_sNS9_4plusIsEEsEEDaPvRmT3_T4_T5_mT6_P12ihipStream_tbENKUlT_T0_E_clISt17integral_constantIbLb0EESU_EEDaSP_SQ_EUlSP_E0_NS1_11comp_targetILNS1_3genE5ELNS1_11target_archE942ELNS1_3gpuE9ELNS1_3repE0EEENS1_30default_config_static_selectorELNS0_4arch9wavefront6targetE1EEEvT1_
	.globl	_ZN7rocprim17ROCPRIM_400000_NS6detail17trampoline_kernelINS0_14default_configENS1_20scan_config_selectorIsEEZZNS1_9scan_implILNS1_25lookback_scan_determinismE0ELb1ELb1ES3_N6thrust23THRUST_200600_302600_NS6detail15normal_iteratorINS9_10device_ptrIsEEEESE_sNS9_4plusIsEEsEEDaPvRmT3_T4_T5_mT6_P12ihipStream_tbENKUlT_T0_E_clISt17integral_constantIbLb0EESU_EEDaSP_SQ_EUlSP_E0_NS1_11comp_targetILNS1_3genE5ELNS1_11target_archE942ELNS1_3gpuE9ELNS1_3repE0EEENS1_30default_config_static_selectorELNS0_4arch9wavefront6targetE1EEEvT1_
	.p2align	8
	.type	_ZN7rocprim17ROCPRIM_400000_NS6detail17trampoline_kernelINS0_14default_configENS1_20scan_config_selectorIsEEZZNS1_9scan_implILNS1_25lookback_scan_determinismE0ELb1ELb1ES3_N6thrust23THRUST_200600_302600_NS6detail15normal_iteratorINS9_10device_ptrIsEEEESE_sNS9_4plusIsEEsEEDaPvRmT3_T4_T5_mT6_P12ihipStream_tbENKUlT_T0_E_clISt17integral_constantIbLb0EESU_EEDaSP_SQ_EUlSP_E0_NS1_11comp_targetILNS1_3genE5ELNS1_11target_archE942ELNS1_3gpuE9ELNS1_3repE0EEENS1_30default_config_static_selectorELNS0_4arch9wavefront6targetE1EEEvT1_,@function
_ZN7rocprim17ROCPRIM_400000_NS6detail17trampoline_kernelINS0_14default_configENS1_20scan_config_selectorIsEEZZNS1_9scan_implILNS1_25lookback_scan_determinismE0ELb1ELb1ES3_N6thrust23THRUST_200600_302600_NS6detail15normal_iteratorINS9_10device_ptrIsEEEESE_sNS9_4plusIsEEsEEDaPvRmT3_T4_T5_mT6_P12ihipStream_tbENKUlT_T0_E_clISt17integral_constantIbLb0EESU_EEDaSP_SQ_EUlSP_E0_NS1_11comp_targetILNS1_3genE5ELNS1_11target_archE942ELNS1_3gpuE9ELNS1_3repE0EEENS1_30default_config_static_selectorELNS0_4arch9wavefront6targetE1EEEvT1_: ; @_ZN7rocprim17ROCPRIM_400000_NS6detail17trampoline_kernelINS0_14default_configENS1_20scan_config_selectorIsEEZZNS1_9scan_implILNS1_25lookback_scan_determinismE0ELb1ELb1ES3_N6thrust23THRUST_200600_302600_NS6detail15normal_iteratorINS9_10device_ptrIsEEEESE_sNS9_4plusIsEEsEEDaPvRmT3_T4_T5_mT6_P12ihipStream_tbENKUlT_T0_E_clISt17integral_constantIbLb0EESU_EEDaSP_SQ_EUlSP_E0_NS1_11comp_targetILNS1_3genE5ELNS1_11target_archE942ELNS1_3gpuE9ELNS1_3repE0EEENS1_30default_config_static_selectorELNS0_4arch9wavefront6targetE1EEEvT1_
; %bb.0:
	.section	.rodata,"a",@progbits
	.p2align	6, 0x0
	.amdhsa_kernel _ZN7rocprim17ROCPRIM_400000_NS6detail17trampoline_kernelINS0_14default_configENS1_20scan_config_selectorIsEEZZNS1_9scan_implILNS1_25lookback_scan_determinismE0ELb1ELb1ES3_N6thrust23THRUST_200600_302600_NS6detail15normal_iteratorINS9_10device_ptrIsEEEESE_sNS9_4plusIsEEsEEDaPvRmT3_T4_T5_mT6_P12ihipStream_tbENKUlT_T0_E_clISt17integral_constantIbLb0EESU_EEDaSP_SQ_EUlSP_E0_NS1_11comp_targetILNS1_3genE5ELNS1_11target_archE942ELNS1_3gpuE9ELNS1_3repE0EEENS1_30default_config_static_selectorELNS0_4arch9wavefront6targetE1EEEvT1_
		.amdhsa_group_segment_fixed_size 0
		.amdhsa_private_segment_fixed_size 0
		.amdhsa_kernarg_size 32
		.amdhsa_user_sgpr_count 6
		.amdhsa_user_sgpr_private_segment_buffer 1
		.amdhsa_user_sgpr_dispatch_ptr 0
		.amdhsa_user_sgpr_queue_ptr 0
		.amdhsa_user_sgpr_kernarg_segment_ptr 1
		.amdhsa_user_sgpr_dispatch_id 0
		.amdhsa_user_sgpr_flat_scratch_init 0
		.amdhsa_user_sgpr_kernarg_preload_length 0
		.amdhsa_user_sgpr_kernarg_preload_offset 0
		.amdhsa_user_sgpr_private_segment_size 0
		.amdhsa_uses_dynamic_stack 0
		.amdhsa_system_sgpr_private_segment_wavefront_offset 0
		.amdhsa_system_sgpr_workgroup_id_x 1
		.amdhsa_system_sgpr_workgroup_id_y 0
		.amdhsa_system_sgpr_workgroup_id_z 0
		.amdhsa_system_sgpr_workgroup_info 0
		.amdhsa_system_vgpr_workitem_id 0
		.amdhsa_next_free_vgpr 1
		.amdhsa_next_free_sgpr 0
		.amdhsa_accum_offset 4
		.amdhsa_reserve_vcc 0
		.amdhsa_reserve_flat_scratch 0
		.amdhsa_float_round_mode_32 0
		.amdhsa_float_round_mode_16_64 0
		.amdhsa_float_denorm_mode_32 3
		.amdhsa_float_denorm_mode_16_64 3
		.amdhsa_dx10_clamp 1
		.amdhsa_ieee_mode 1
		.amdhsa_fp16_overflow 0
		.amdhsa_tg_split 0
		.amdhsa_exception_fp_ieee_invalid_op 0
		.amdhsa_exception_fp_denorm_src 0
		.amdhsa_exception_fp_ieee_div_zero 0
		.amdhsa_exception_fp_ieee_overflow 0
		.amdhsa_exception_fp_ieee_underflow 0
		.amdhsa_exception_fp_ieee_inexact 0
		.amdhsa_exception_int_div_zero 0
	.end_amdhsa_kernel
	.section	.text._ZN7rocprim17ROCPRIM_400000_NS6detail17trampoline_kernelINS0_14default_configENS1_20scan_config_selectorIsEEZZNS1_9scan_implILNS1_25lookback_scan_determinismE0ELb1ELb1ES3_N6thrust23THRUST_200600_302600_NS6detail15normal_iteratorINS9_10device_ptrIsEEEESE_sNS9_4plusIsEEsEEDaPvRmT3_T4_T5_mT6_P12ihipStream_tbENKUlT_T0_E_clISt17integral_constantIbLb0EESU_EEDaSP_SQ_EUlSP_E0_NS1_11comp_targetILNS1_3genE5ELNS1_11target_archE942ELNS1_3gpuE9ELNS1_3repE0EEENS1_30default_config_static_selectorELNS0_4arch9wavefront6targetE1EEEvT1_,"axG",@progbits,_ZN7rocprim17ROCPRIM_400000_NS6detail17trampoline_kernelINS0_14default_configENS1_20scan_config_selectorIsEEZZNS1_9scan_implILNS1_25lookback_scan_determinismE0ELb1ELb1ES3_N6thrust23THRUST_200600_302600_NS6detail15normal_iteratorINS9_10device_ptrIsEEEESE_sNS9_4plusIsEEsEEDaPvRmT3_T4_T5_mT6_P12ihipStream_tbENKUlT_T0_E_clISt17integral_constantIbLb0EESU_EEDaSP_SQ_EUlSP_E0_NS1_11comp_targetILNS1_3genE5ELNS1_11target_archE942ELNS1_3gpuE9ELNS1_3repE0EEENS1_30default_config_static_selectorELNS0_4arch9wavefront6targetE1EEEvT1_,comdat
.Lfunc_end1205:
	.size	_ZN7rocprim17ROCPRIM_400000_NS6detail17trampoline_kernelINS0_14default_configENS1_20scan_config_selectorIsEEZZNS1_9scan_implILNS1_25lookback_scan_determinismE0ELb1ELb1ES3_N6thrust23THRUST_200600_302600_NS6detail15normal_iteratorINS9_10device_ptrIsEEEESE_sNS9_4plusIsEEsEEDaPvRmT3_T4_T5_mT6_P12ihipStream_tbENKUlT_T0_E_clISt17integral_constantIbLb0EESU_EEDaSP_SQ_EUlSP_E0_NS1_11comp_targetILNS1_3genE5ELNS1_11target_archE942ELNS1_3gpuE9ELNS1_3repE0EEENS1_30default_config_static_selectorELNS0_4arch9wavefront6targetE1EEEvT1_, .Lfunc_end1205-_ZN7rocprim17ROCPRIM_400000_NS6detail17trampoline_kernelINS0_14default_configENS1_20scan_config_selectorIsEEZZNS1_9scan_implILNS1_25lookback_scan_determinismE0ELb1ELb1ES3_N6thrust23THRUST_200600_302600_NS6detail15normal_iteratorINS9_10device_ptrIsEEEESE_sNS9_4plusIsEEsEEDaPvRmT3_T4_T5_mT6_P12ihipStream_tbENKUlT_T0_E_clISt17integral_constantIbLb0EESU_EEDaSP_SQ_EUlSP_E0_NS1_11comp_targetILNS1_3genE5ELNS1_11target_archE942ELNS1_3gpuE9ELNS1_3repE0EEENS1_30default_config_static_selectorELNS0_4arch9wavefront6targetE1EEEvT1_
                                        ; -- End function
	.section	.AMDGPU.csdata,"",@progbits
; Kernel info:
; codeLenInByte = 0
; NumSgprs: 4
; NumVgprs: 0
; NumAgprs: 0
; TotalNumVgprs: 0
; ScratchSize: 0
; MemoryBound: 0
; FloatMode: 240
; IeeeMode: 1
; LDSByteSize: 0 bytes/workgroup (compile time only)
; SGPRBlocks: 0
; VGPRBlocks: 0
; NumSGPRsForWavesPerEU: 4
; NumVGPRsForWavesPerEU: 1
; AccumOffset: 4
; Occupancy: 8
; WaveLimiterHint : 0
; COMPUTE_PGM_RSRC2:SCRATCH_EN: 0
; COMPUTE_PGM_RSRC2:USER_SGPR: 6
; COMPUTE_PGM_RSRC2:TRAP_HANDLER: 0
; COMPUTE_PGM_RSRC2:TGID_X_EN: 1
; COMPUTE_PGM_RSRC2:TGID_Y_EN: 0
; COMPUTE_PGM_RSRC2:TGID_Z_EN: 0
; COMPUTE_PGM_RSRC2:TIDIG_COMP_CNT: 0
; COMPUTE_PGM_RSRC3_GFX90A:ACCUM_OFFSET: 0
; COMPUTE_PGM_RSRC3_GFX90A:TG_SPLIT: 0
	.section	.text._ZN7rocprim17ROCPRIM_400000_NS6detail17trampoline_kernelINS0_14default_configENS1_20scan_config_selectorIsEEZZNS1_9scan_implILNS1_25lookback_scan_determinismE0ELb1ELb1ES3_N6thrust23THRUST_200600_302600_NS6detail15normal_iteratorINS9_10device_ptrIsEEEESE_sNS9_4plusIsEEsEEDaPvRmT3_T4_T5_mT6_P12ihipStream_tbENKUlT_T0_E_clISt17integral_constantIbLb0EESU_EEDaSP_SQ_EUlSP_E0_NS1_11comp_targetILNS1_3genE4ELNS1_11target_archE910ELNS1_3gpuE8ELNS1_3repE0EEENS1_30default_config_static_selectorELNS0_4arch9wavefront6targetE1EEEvT1_,"axG",@progbits,_ZN7rocprim17ROCPRIM_400000_NS6detail17trampoline_kernelINS0_14default_configENS1_20scan_config_selectorIsEEZZNS1_9scan_implILNS1_25lookback_scan_determinismE0ELb1ELb1ES3_N6thrust23THRUST_200600_302600_NS6detail15normal_iteratorINS9_10device_ptrIsEEEESE_sNS9_4plusIsEEsEEDaPvRmT3_T4_T5_mT6_P12ihipStream_tbENKUlT_T0_E_clISt17integral_constantIbLb0EESU_EEDaSP_SQ_EUlSP_E0_NS1_11comp_targetILNS1_3genE4ELNS1_11target_archE910ELNS1_3gpuE8ELNS1_3repE0EEENS1_30default_config_static_selectorELNS0_4arch9wavefront6targetE1EEEvT1_,comdat
	.protected	_ZN7rocprim17ROCPRIM_400000_NS6detail17trampoline_kernelINS0_14default_configENS1_20scan_config_selectorIsEEZZNS1_9scan_implILNS1_25lookback_scan_determinismE0ELb1ELb1ES3_N6thrust23THRUST_200600_302600_NS6detail15normal_iteratorINS9_10device_ptrIsEEEESE_sNS9_4plusIsEEsEEDaPvRmT3_T4_T5_mT6_P12ihipStream_tbENKUlT_T0_E_clISt17integral_constantIbLb0EESU_EEDaSP_SQ_EUlSP_E0_NS1_11comp_targetILNS1_3genE4ELNS1_11target_archE910ELNS1_3gpuE8ELNS1_3repE0EEENS1_30default_config_static_selectorELNS0_4arch9wavefront6targetE1EEEvT1_ ; -- Begin function _ZN7rocprim17ROCPRIM_400000_NS6detail17trampoline_kernelINS0_14default_configENS1_20scan_config_selectorIsEEZZNS1_9scan_implILNS1_25lookback_scan_determinismE0ELb1ELb1ES3_N6thrust23THRUST_200600_302600_NS6detail15normal_iteratorINS9_10device_ptrIsEEEESE_sNS9_4plusIsEEsEEDaPvRmT3_T4_T5_mT6_P12ihipStream_tbENKUlT_T0_E_clISt17integral_constantIbLb0EESU_EEDaSP_SQ_EUlSP_E0_NS1_11comp_targetILNS1_3genE4ELNS1_11target_archE910ELNS1_3gpuE8ELNS1_3repE0EEENS1_30default_config_static_selectorELNS0_4arch9wavefront6targetE1EEEvT1_
	.globl	_ZN7rocprim17ROCPRIM_400000_NS6detail17trampoline_kernelINS0_14default_configENS1_20scan_config_selectorIsEEZZNS1_9scan_implILNS1_25lookback_scan_determinismE0ELb1ELb1ES3_N6thrust23THRUST_200600_302600_NS6detail15normal_iteratorINS9_10device_ptrIsEEEESE_sNS9_4plusIsEEsEEDaPvRmT3_T4_T5_mT6_P12ihipStream_tbENKUlT_T0_E_clISt17integral_constantIbLb0EESU_EEDaSP_SQ_EUlSP_E0_NS1_11comp_targetILNS1_3genE4ELNS1_11target_archE910ELNS1_3gpuE8ELNS1_3repE0EEENS1_30default_config_static_selectorELNS0_4arch9wavefront6targetE1EEEvT1_
	.p2align	8
	.type	_ZN7rocprim17ROCPRIM_400000_NS6detail17trampoline_kernelINS0_14default_configENS1_20scan_config_selectorIsEEZZNS1_9scan_implILNS1_25lookback_scan_determinismE0ELb1ELb1ES3_N6thrust23THRUST_200600_302600_NS6detail15normal_iteratorINS9_10device_ptrIsEEEESE_sNS9_4plusIsEEsEEDaPvRmT3_T4_T5_mT6_P12ihipStream_tbENKUlT_T0_E_clISt17integral_constantIbLb0EESU_EEDaSP_SQ_EUlSP_E0_NS1_11comp_targetILNS1_3genE4ELNS1_11target_archE910ELNS1_3gpuE8ELNS1_3repE0EEENS1_30default_config_static_selectorELNS0_4arch9wavefront6targetE1EEEvT1_,@function
_ZN7rocprim17ROCPRIM_400000_NS6detail17trampoline_kernelINS0_14default_configENS1_20scan_config_selectorIsEEZZNS1_9scan_implILNS1_25lookback_scan_determinismE0ELb1ELb1ES3_N6thrust23THRUST_200600_302600_NS6detail15normal_iteratorINS9_10device_ptrIsEEEESE_sNS9_4plusIsEEsEEDaPvRmT3_T4_T5_mT6_P12ihipStream_tbENKUlT_T0_E_clISt17integral_constantIbLb0EESU_EEDaSP_SQ_EUlSP_E0_NS1_11comp_targetILNS1_3genE4ELNS1_11target_archE910ELNS1_3gpuE8ELNS1_3repE0EEENS1_30default_config_static_selectorELNS0_4arch9wavefront6targetE1EEEvT1_: ; @_ZN7rocprim17ROCPRIM_400000_NS6detail17trampoline_kernelINS0_14default_configENS1_20scan_config_selectorIsEEZZNS1_9scan_implILNS1_25lookback_scan_determinismE0ELb1ELb1ES3_N6thrust23THRUST_200600_302600_NS6detail15normal_iteratorINS9_10device_ptrIsEEEESE_sNS9_4plusIsEEsEEDaPvRmT3_T4_T5_mT6_P12ihipStream_tbENKUlT_T0_E_clISt17integral_constantIbLb0EESU_EEDaSP_SQ_EUlSP_E0_NS1_11comp_targetILNS1_3genE4ELNS1_11target_archE910ELNS1_3gpuE8ELNS1_3repE0EEENS1_30default_config_static_selectorELNS0_4arch9wavefront6targetE1EEEvT1_
; %bb.0:
	s_load_dwordx4 s[52:55], s[4:5], 0x0
	v_mov_b32_e32 v1, 0
	v_lshlrev_b32_e32 v14, 1, v0
	s_waitcnt lgkmcnt(0)
	global_load_ushort v2, v1, s[52:53]
	v_cmp_gt_u32_e32 vcc, s54, v0
	s_waitcnt vmcnt(0)
	v_mov_b32_e32 v3, v2
	s_and_saveexec_b64 s[0:1], vcc
	s_cbranch_execz .LBB1206_2
; %bb.1:
	global_load_ushort v3, v14, s[52:53]
.LBB1206_2:
	s_or_b64 exec, exec, s[0:1]
	v_or_b32_e32 v1, 64, v0
	v_cmp_gt_u32_e64 s[0:1], s54, v1
	v_mov_b32_e32 v4, v2
	s_and_saveexec_b64 s[2:3], s[0:1]
	s_cbranch_execz .LBB1206_4
; %bb.3:
	global_load_ushort v4, v14, s[52:53] offset:128
.LBB1206_4:
	s_or_b64 exec, exec, s[2:3]
	v_or_b32_e32 v1, 0x80, v0
	v_cmp_gt_u32_e64 s[2:3], s54, v1
	v_mov_b32_e32 v5, v2
	s_and_saveexec_b64 s[6:7], s[2:3]
	s_cbranch_execz .LBB1206_6
; %bb.5:
	global_load_ushort v5, v14, s[52:53] offset:256
.LBB1206_6:
	;; [unrolled: 9-line block ×22, first 2 shown]
	s_or_b64 exec, exec, s[46:47]
	v_or_b32_e32 v1, 0x5c0, v0
	v_cmp_gt_u32_e64 s[46:47], s54, v1
	v_cmp_le_u32_e64 s[50:51], s54, v1
	s_and_saveexec_b64 s[54:55], s[50:51]
	s_xor_b64 s[50:51], exec, s[54:55]
; %bb.47:
	v_mov_b32_e32 v1, 0
; %bb.48:
	s_or_saveexec_b64 s[50:51], s[50:51]
	s_load_dword s33, s[4:5], 0x10
	s_load_dwordx2 s[54:55], s[4:5], 0x18
	s_xor_b64 exec, exec, s[50:51]
	s_cbranch_execz .LBB1206_50
; %bb.49:
	global_load_ushort v2, v14, s[52:53] offset:2944
	v_mov_b32_e32 v1, 0
.LBB1206_50:
	s_or_b64 exec, exec, s[50:51]
	s_waitcnt vmcnt(0)
	ds_write_b16 v14, v3
	ds_write_b16 v14, v4 offset:128
	ds_write_b16 v14, v5 offset:256
	;; [unrolled: 1-line block ×23, first 2 shown]
	v_mad_u32_u24 v2, v0, 46, v14
	s_waitcnt lgkmcnt(0)
	; wave barrier
	s_waitcnt lgkmcnt(0)
	ds_read_b128 v[10:13], v2
	ds_read_b128 v[6:9], v2 offset:16
	ds_read_b128 v[2:5], v2 offset:32
	v_mul_u32_u24_e32 v15, 46, v0
	s_waitcnt lgkmcnt(0)
	v_add_u16_sdwa v16, v10, v10 dst_sel:DWORD dst_unused:UNUSED_PAD src0_sel:WORD_1 src1_sel:DWORD
	v_add_u16_e32 v16, v16, v11
	v_add_u16_sdwa v16, v16, v11 dst_sel:DWORD dst_unused:UNUSED_PAD src0_sel:DWORD src1_sel:WORD_1
	v_add_u16_e32 v16, v16, v12
	v_add_u16_sdwa v16, v16, v12 dst_sel:DWORD dst_unused:UNUSED_PAD src0_sel:DWORD src1_sel:WORD_1
	v_add_u16_e32 v16, v16, v13
	v_add_u16_sdwa v16, v16, v13 dst_sel:DWORD dst_unused:UNUSED_PAD src0_sel:DWORD src1_sel:WORD_1
	v_add_u16_e32 v16, v16, v6
	v_add_u16_sdwa v16, v16, v6 dst_sel:DWORD dst_unused:UNUSED_PAD src0_sel:DWORD src1_sel:WORD_1
	v_add_u16_e32 v16, v16, v7
	v_add_u16_sdwa v16, v16, v7 dst_sel:DWORD dst_unused:UNUSED_PAD src0_sel:DWORD src1_sel:WORD_1
	v_add_u16_e32 v16, v16, v8
	v_add_u16_sdwa v16, v16, v8 dst_sel:DWORD dst_unused:UNUSED_PAD src0_sel:DWORD src1_sel:WORD_1
	v_add_u16_e32 v16, v16, v9
	v_add_u16_sdwa v16, v16, v9 dst_sel:DWORD dst_unused:UNUSED_PAD src0_sel:DWORD src1_sel:WORD_1
	v_add_u16_e32 v16, v16, v2
	v_add_u16_sdwa v16, v16, v2 dst_sel:DWORD dst_unused:UNUSED_PAD src0_sel:DWORD src1_sel:WORD_1
	v_add_u16_e32 v16, v16, v3
	v_add_u16_sdwa v16, v16, v3 dst_sel:DWORD dst_unused:UNUSED_PAD src0_sel:DWORD src1_sel:WORD_1
	v_add_u16_e32 v16, v16, v4
	v_add_u16_sdwa v16, v16, v4 dst_sel:DWORD dst_unused:UNUSED_PAD src0_sel:DWORD src1_sel:WORD_1
	v_add_u16_e32 v16, v16, v5
	v_add_u16_sdwa v17, v16, v5 dst_sel:DWORD dst_unused:UNUSED_PAD src0_sel:DWORD src1_sel:WORD_1
	v_mbcnt_lo_u32_b32 v16, -1, 0
	v_mbcnt_hi_u32_b32 v16, -1, v16
	v_and_b32_e32 v18, 15, v16
	v_mov_b32_dpp v19, v17 row_shr:1 row_mask:0xf bank_mask:0xf
	v_cmp_ne_u32_e64 s[4:5], 0, v18
	v_cndmask_b32_e64 v19, 0, v19, s[4:5]
	v_add_u16_e32 v17, v19, v17
	v_cmp_lt_u32_e64 s[4:5], 1, v18
	; wave barrier
	s_nop 0
	v_mov_b32_dpp v19, v17 row_shr:2 row_mask:0xf bank_mask:0xf
	v_cndmask_b32_e64 v19, 0, v19, s[4:5]
	v_add_u16_e32 v17, v17, v19
	v_cmp_lt_u32_e64 s[4:5], 3, v18
	s_nop 0
	v_mov_b32_dpp v19, v17 row_shr:4 row_mask:0xf bank_mask:0xf
	v_cndmask_b32_e64 v19, 0, v19, s[4:5]
	v_add_u16_e32 v17, v17, v19
	v_cmp_lt_u32_e64 s[4:5], 7, v18
	s_nop 0
	v_mov_b32_dpp v19, v17 row_shr:8 row_mask:0xf bank_mask:0xf
	v_cndmask_b32_e64 v18, 0, v19, s[4:5]
	v_add_u16_e32 v17, v17, v18
	v_and_b32_e32 v19, 16, v16
	v_cmp_ne_u32_e64 s[4:5], 0, v19
	v_mov_b32_dpp v18, v17 row_bcast:15 row_mask:0xf bank_mask:0xf
	v_cndmask_b32_e64 v18, 0, v18, s[4:5]
	v_add_u16_e32 v17, v17, v18
	v_cmp_lt_u32_e64 s[4:5], 31, v16
	s_nop 0
	v_mov_b32_dpp v18, v17 row_bcast:31 row_mask:0xf bank_mask:0xf
	v_cndmask_b32_e64 v18, 0, v18, s[4:5]
	v_add_u16_e32 v17, v17, v18
	v_cmp_eq_u32_e64 s[4:5], 63, v0
	s_and_saveexec_b64 s[50:51], s[4:5]
	s_cbranch_execz .LBB1206_52
; %bb.51:
	v_mov_b32_e32 v18, 0
	ds_write_b16 v18, v17
.LBB1206_52:
	s_or_b64 exec, exec, s[50:51]
	v_add_u32_e32 v18, -1, v16
	v_and_b32_e32 v19, 64, v16
	v_cmp_lt_i32_e64 s[4:5], v18, v19
	v_cndmask_b32_e64 v18, v18, v16, s[4:5]
	v_add_u16_e32 v17, s33, v17
	v_lshlrev_b32_e32 v18, 2, v18
	ds_bpermute_b32 v17, v18, v17
	v_cmp_eq_u32_e64 s[4:5], 0, v16
	v_cmp_eq_u32_e64 s[50:51], 0, v0
	v_mov_b32_e32 v16, s33
	s_or_b64 s[4:5], s[50:51], s[4:5]
	s_waitcnt lgkmcnt(0)
	v_cndmask_b32_e64 v16, v17, v16, s[4:5]
	v_add_u16_e32 v17, v16, v10
	v_add_u16_sdwa v10, v17, v10 dst_sel:DWORD dst_unused:UNUSED_PAD src0_sel:DWORD src1_sel:WORD_1
	v_add_u16_e32 v18, v10, v11
	v_add_u16_sdwa v11, v18, v11 dst_sel:DWORD dst_unused:UNUSED_PAD src0_sel:DWORD src1_sel:WORD_1
	;; [unrolled: 2-line block ×11, first 2 shown]
	s_mov_b32 s4, 0x5040100
	v_add_u16_e32 v31, v30, v5
	v_add_u32_e32 v15, v14, v15
	v_perm_b32 v2, v17, v16, s4
	v_perm_b32 v3, v18, v10, s4
	;; [unrolled: 1-line block ×4, first 2 shown]
	s_waitcnt lgkmcnt(0)
	; wave barrier
	s_waitcnt lgkmcnt(0)
	s_waitcnt lgkmcnt(0)
	; wave barrier
	ds_write_b128 v15, v[2:5]
	v_perm_b32 v2, v21, v13, s4
	v_perm_b32 v3, v22, v6, s4
	;; [unrolled: 1-line block ×4, first 2 shown]
	ds_write_b128 v15, v[2:5] offset:16
	v_perm_b32 v2, v25, v9, s4
	v_perm_b32 v3, v27, v26, s4
	;; [unrolled: 1-line block ×4, first 2 shown]
	ds_write_b128 v15, v[2:5] offset:32
	s_waitcnt lgkmcnt(0)
	; wave barrier
	s_waitcnt lgkmcnt(0)
	ds_read_u16 v25, v14 offset:128
	ds_read_u16 v24, v14 offset:256
	;; [unrolled: 1-line block ×23, first 2 shown]
	v_lshlrev_b64 v[0:1], 1, v[0:1]
	v_mov_b32_e32 v26, s55
	v_add_co_u32_e64 v0, s[4:5], s54, v0
	v_addc_co_u32_e64 v1, s[4:5], v26, v1, s[4:5]
	s_and_saveexec_b64 s[4:5], vcc
	s_cbranch_execnz .LBB1206_77
; %bb.53:
	s_or_b64 exec, exec, s[4:5]
	s_and_saveexec_b64 s[4:5], s[0:1]
	s_cbranch_execnz .LBB1206_78
.LBB1206_54:
	s_or_b64 exec, exec, s[4:5]
	s_and_saveexec_b64 s[0:1], s[2:3]
	s_cbranch_execnz .LBB1206_79
.LBB1206_55:
	s_or_b64 exec, exec, s[0:1]
	s_and_saveexec_b64 s[0:1], s[48:49]
	s_cbranch_execnz .LBB1206_80
.LBB1206_56:
	s_or_b64 exec, exec, s[0:1]
	s_and_saveexec_b64 s[0:1], s[6:7]
	s_cbranch_execnz .LBB1206_81
.LBB1206_57:
	s_or_b64 exec, exec, s[0:1]
	s_and_saveexec_b64 s[0:1], s[8:9]
	s_cbranch_execnz .LBB1206_82
.LBB1206_58:
	s_or_b64 exec, exec, s[0:1]
	s_and_saveexec_b64 s[0:1], s[10:11]
	s_cbranch_execnz .LBB1206_83
.LBB1206_59:
	s_or_b64 exec, exec, s[0:1]
	s_and_saveexec_b64 s[0:1], s[12:13]
	s_cbranch_execnz .LBB1206_84
.LBB1206_60:
	s_or_b64 exec, exec, s[0:1]
	s_and_saveexec_b64 s[0:1], s[14:15]
	s_cbranch_execnz .LBB1206_85
.LBB1206_61:
	s_or_b64 exec, exec, s[0:1]
	s_and_saveexec_b64 s[0:1], s[16:17]
	s_cbranch_execnz .LBB1206_86
.LBB1206_62:
	s_or_b64 exec, exec, s[0:1]
	s_and_saveexec_b64 s[0:1], s[18:19]
	s_cbranch_execnz .LBB1206_87
.LBB1206_63:
	s_or_b64 exec, exec, s[0:1]
	s_and_saveexec_b64 s[0:1], s[20:21]
	s_cbranch_execnz .LBB1206_88
.LBB1206_64:
	s_or_b64 exec, exec, s[0:1]
	s_and_saveexec_b64 s[0:1], s[22:23]
	s_cbranch_execnz .LBB1206_89
.LBB1206_65:
	s_or_b64 exec, exec, s[0:1]
	s_and_saveexec_b64 s[0:1], s[24:25]
	s_cbranch_execnz .LBB1206_90
.LBB1206_66:
	s_or_b64 exec, exec, s[0:1]
	s_and_saveexec_b64 s[0:1], s[26:27]
	s_cbranch_execnz .LBB1206_91
.LBB1206_67:
	s_or_b64 exec, exec, s[0:1]
	s_and_saveexec_b64 s[0:1], s[28:29]
	s_cbranch_execnz .LBB1206_92
.LBB1206_68:
	s_or_b64 exec, exec, s[0:1]
	s_and_saveexec_b64 s[0:1], s[30:31]
	s_cbranch_execnz .LBB1206_93
.LBB1206_69:
	s_or_b64 exec, exec, s[0:1]
	s_and_saveexec_b64 s[0:1], s[34:35]
	s_cbranch_execnz .LBB1206_94
.LBB1206_70:
	s_or_b64 exec, exec, s[0:1]
	s_and_saveexec_b64 s[0:1], s[36:37]
	s_cbranch_execnz .LBB1206_95
.LBB1206_71:
	s_or_b64 exec, exec, s[0:1]
	s_and_saveexec_b64 s[0:1], s[38:39]
	s_cbranch_execnz .LBB1206_96
.LBB1206_72:
	s_or_b64 exec, exec, s[0:1]
	s_and_saveexec_b64 s[0:1], s[40:41]
	s_cbranch_execnz .LBB1206_97
.LBB1206_73:
	s_or_b64 exec, exec, s[0:1]
	s_and_saveexec_b64 s[0:1], s[42:43]
	s_cbranch_execnz .LBB1206_98
.LBB1206_74:
	s_or_b64 exec, exec, s[0:1]
	s_and_saveexec_b64 s[0:1], s[44:45]
	s_cbranch_execnz .LBB1206_99
.LBB1206_75:
	s_or_b64 exec, exec, s[0:1]
	s_and_saveexec_b64 s[0:1], s[46:47]
	s_cbranch_execnz .LBB1206_100
.LBB1206_76:
	s_endpgm
.LBB1206_77:
	ds_read_u16 v14, v14
	s_waitcnt lgkmcnt(0)
	global_store_short v[0:1], v14, off
	s_or_b64 exec, exec, s[4:5]
	s_and_saveexec_b64 s[4:5], s[0:1]
	s_cbranch_execz .LBB1206_54
.LBB1206_78:
	s_waitcnt lgkmcnt(14)
	global_store_short v[0:1], v25, off offset:128
	s_or_b64 exec, exec, s[4:5]
	s_and_saveexec_b64 s[0:1], s[2:3]
	s_cbranch_execz .LBB1206_55
.LBB1206_79:
	s_waitcnt lgkmcnt(14)
	global_store_short v[0:1], v24, off offset:256
	s_or_b64 exec, exec, s[0:1]
	s_and_saveexec_b64 s[0:1], s[48:49]
	s_cbranch_execz .LBB1206_56
.LBB1206_80:
	s_waitcnt lgkmcnt(14)
	global_store_short v[0:1], v23, off offset:384
	s_or_b64 exec, exec, s[0:1]
	s_and_saveexec_b64 s[0:1], s[6:7]
	s_cbranch_execz .LBB1206_57
.LBB1206_81:
	s_waitcnt lgkmcnt(14)
	global_store_short v[0:1], v22, off offset:512
	s_or_b64 exec, exec, s[0:1]
	s_and_saveexec_b64 s[0:1], s[8:9]
	s_cbranch_execz .LBB1206_58
.LBB1206_82:
	s_waitcnt lgkmcnt(14)
	global_store_short v[0:1], v21, off offset:640
	s_or_b64 exec, exec, s[0:1]
	s_and_saveexec_b64 s[0:1], s[10:11]
	s_cbranch_execz .LBB1206_59
.LBB1206_83:
	s_waitcnt lgkmcnt(14)
	global_store_short v[0:1], v20, off offset:768
	s_or_b64 exec, exec, s[0:1]
	s_and_saveexec_b64 s[0:1], s[12:13]
	s_cbranch_execz .LBB1206_60
.LBB1206_84:
	s_waitcnt lgkmcnt(14)
	global_store_short v[0:1], v19, off offset:896
	s_or_b64 exec, exec, s[0:1]
	s_and_saveexec_b64 s[0:1], s[14:15]
	s_cbranch_execz .LBB1206_61
.LBB1206_85:
	s_waitcnt lgkmcnt(14)
	global_store_short v[0:1], v18, off offset:1024
	s_or_b64 exec, exec, s[0:1]
	s_and_saveexec_b64 s[0:1], s[16:17]
	s_cbranch_execz .LBB1206_62
.LBB1206_86:
	s_waitcnt lgkmcnt(14)
	global_store_short v[0:1], v17, off offset:1152
	s_or_b64 exec, exec, s[0:1]
	s_and_saveexec_b64 s[0:1], s[18:19]
	s_cbranch_execz .LBB1206_63
.LBB1206_87:
	s_waitcnt lgkmcnt(13)
	global_store_short v[0:1], v16, off offset:1280
	s_or_b64 exec, exec, s[0:1]
	s_and_saveexec_b64 s[0:1], s[20:21]
	s_cbranch_execz .LBB1206_64
.LBB1206_88:
	s_waitcnt lgkmcnt(12)
	global_store_short v[0:1], v15, off offset:1408
	s_or_b64 exec, exec, s[0:1]
	s_and_saveexec_b64 s[0:1], s[22:23]
	s_cbranch_execz .LBB1206_65
.LBB1206_89:
	s_waitcnt lgkmcnt(11)
	global_store_short v[0:1], v13, off offset:1536
	s_or_b64 exec, exec, s[0:1]
	s_and_saveexec_b64 s[0:1], s[24:25]
	s_cbranch_execz .LBB1206_66
.LBB1206_90:
	s_waitcnt lgkmcnt(10)
	global_store_short v[0:1], v12, off offset:1664
	s_or_b64 exec, exec, s[0:1]
	s_and_saveexec_b64 s[0:1], s[26:27]
	s_cbranch_execz .LBB1206_67
.LBB1206_91:
	s_waitcnt lgkmcnt(9)
	global_store_short v[0:1], v11, off offset:1792
	s_or_b64 exec, exec, s[0:1]
	s_and_saveexec_b64 s[0:1], s[28:29]
	s_cbranch_execz .LBB1206_68
.LBB1206_92:
	s_waitcnt lgkmcnt(8)
	global_store_short v[0:1], v10, off offset:1920
	s_or_b64 exec, exec, s[0:1]
	s_and_saveexec_b64 s[0:1], s[30:31]
	s_cbranch_execz .LBB1206_69
.LBB1206_93:
	s_waitcnt lgkmcnt(7)
	global_store_short v[0:1], v9, off offset:2048
	s_or_b64 exec, exec, s[0:1]
	s_and_saveexec_b64 s[0:1], s[34:35]
	s_cbranch_execz .LBB1206_70
.LBB1206_94:
	s_waitcnt lgkmcnt(6)
	global_store_short v[0:1], v8, off offset:2176
	s_or_b64 exec, exec, s[0:1]
	s_and_saveexec_b64 s[0:1], s[36:37]
	s_cbranch_execz .LBB1206_71
.LBB1206_95:
	s_waitcnt lgkmcnt(5)
	global_store_short v[0:1], v7, off offset:2304
	s_or_b64 exec, exec, s[0:1]
	s_and_saveexec_b64 s[0:1], s[38:39]
	s_cbranch_execz .LBB1206_72
.LBB1206_96:
	s_waitcnt lgkmcnt(4)
	global_store_short v[0:1], v6, off offset:2432
	s_or_b64 exec, exec, s[0:1]
	s_and_saveexec_b64 s[0:1], s[40:41]
	s_cbranch_execz .LBB1206_73
.LBB1206_97:
	s_waitcnt lgkmcnt(3)
	global_store_short v[0:1], v5, off offset:2560
	s_or_b64 exec, exec, s[0:1]
	s_and_saveexec_b64 s[0:1], s[42:43]
	s_cbranch_execz .LBB1206_74
.LBB1206_98:
	s_waitcnt lgkmcnt(2)
	global_store_short v[0:1], v4, off offset:2688
	s_or_b64 exec, exec, s[0:1]
	s_and_saveexec_b64 s[0:1], s[44:45]
	s_cbranch_execz .LBB1206_75
.LBB1206_99:
	s_waitcnt lgkmcnt(1)
	global_store_short v[0:1], v3, off offset:2816
	s_or_b64 exec, exec, s[0:1]
	s_and_saveexec_b64 s[0:1], s[46:47]
	s_cbranch_execz .LBB1206_76
.LBB1206_100:
	s_waitcnt lgkmcnt(0)
	global_store_short v[0:1], v2, off offset:2944
	s_endpgm
	.section	.rodata,"a",@progbits
	.p2align	6, 0x0
	.amdhsa_kernel _ZN7rocprim17ROCPRIM_400000_NS6detail17trampoline_kernelINS0_14default_configENS1_20scan_config_selectorIsEEZZNS1_9scan_implILNS1_25lookback_scan_determinismE0ELb1ELb1ES3_N6thrust23THRUST_200600_302600_NS6detail15normal_iteratorINS9_10device_ptrIsEEEESE_sNS9_4plusIsEEsEEDaPvRmT3_T4_T5_mT6_P12ihipStream_tbENKUlT_T0_E_clISt17integral_constantIbLb0EESU_EEDaSP_SQ_EUlSP_E0_NS1_11comp_targetILNS1_3genE4ELNS1_11target_archE910ELNS1_3gpuE8ELNS1_3repE0EEENS1_30default_config_static_selectorELNS0_4arch9wavefront6targetE1EEEvT1_
		.amdhsa_group_segment_fixed_size 3072
		.amdhsa_private_segment_fixed_size 0
		.amdhsa_kernarg_size 32
		.amdhsa_user_sgpr_count 6
		.amdhsa_user_sgpr_private_segment_buffer 1
		.amdhsa_user_sgpr_dispatch_ptr 0
		.amdhsa_user_sgpr_queue_ptr 0
		.amdhsa_user_sgpr_kernarg_segment_ptr 1
		.amdhsa_user_sgpr_dispatch_id 0
		.amdhsa_user_sgpr_flat_scratch_init 0
		.amdhsa_user_sgpr_kernarg_preload_length 0
		.amdhsa_user_sgpr_kernarg_preload_offset 0
		.amdhsa_user_sgpr_private_segment_size 0
		.amdhsa_uses_dynamic_stack 0
		.amdhsa_system_sgpr_private_segment_wavefront_offset 0
		.amdhsa_system_sgpr_workgroup_id_x 1
		.amdhsa_system_sgpr_workgroup_id_y 0
		.amdhsa_system_sgpr_workgroup_id_z 0
		.amdhsa_system_sgpr_workgroup_info 0
		.amdhsa_system_vgpr_workitem_id 0
		.amdhsa_next_free_vgpr 32
		.amdhsa_next_free_sgpr 56
		.amdhsa_accum_offset 32
		.amdhsa_reserve_vcc 1
		.amdhsa_reserve_flat_scratch 0
		.amdhsa_float_round_mode_32 0
		.amdhsa_float_round_mode_16_64 0
		.amdhsa_float_denorm_mode_32 3
		.amdhsa_float_denorm_mode_16_64 3
		.amdhsa_dx10_clamp 1
		.amdhsa_ieee_mode 1
		.amdhsa_fp16_overflow 0
		.amdhsa_tg_split 0
		.amdhsa_exception_fp_ieee_invalid_op 0
		.amdhsa_exception_fp_denorm_src 0
		.amdhsa_exception_fp_ieee_div_zero 0
		.amdhsa_exception_fp_ieee_overflow 0
		.amdhsa_exception_fp_ieee_underflow 0
		.amdhsa_exception_fp_ieee_inexact 0
		.amdhsa_exception_int_div_zero 0
	.end_amdhsa_kernel
	.section	.text._ZN7rocprim17ROCPRIM_400000_NS6detail17trampoline_kernelINS0_14default_configENS1_20scan_config_selectorIsEEZZNS1_9scan_implILNS1_25lookback_scan_determinismE0ELb1ELb1ES3_N6thrust23THRUST_200600_302600_NS6detail15normal_iteratorINS9_10device_ptrIsEEEESE_sNS9_4plusIsEEsEEDaPvRmT3_T4_T5_mT6_P12ihipStream_tbENKUlT_T0_E_clISt17integral_constantIbLb0EESU_EEDaSP_SQ_EUlSP_E0_NS1_11comp_targetILNS1_3genE4ELNS1_11target_archE910ELNS1_3gpuE8ELNS1_3repE0EEENS1_30default_config_static_selectorELNS0_4arch9wavefront6targetE1EEEvT1_,"axG",@progbits,_ZN7rocprim17ROCPRIM_400000_NS6detail17trampoline_kernelINS0_14default_configENS1_20scan_config_selectorIsEEZZNS1_9scan_implILNS1_25lookback_scan_determinismE0ELb1ELb1ES3_N6thrust23THRUST_200600_302600_NS6detail15normal_iteratorINS9_10device_ptrIsEEEESE_sNS9_4plusIsEEsEEDaPvRmT3_T4_T5_mT6_P12ihipStream_tbENKUlT_T0_E_clISt17integral_constantIbLb0EESU_EEDaSP_SQ_EUlSP_E0_NS1_11comp_targetILNS1_3genE4ELNS1_11target_archE910ELNS1_3gpuE8ELNS1_3repE0EEENS1_30default_config_static_selectorELNS0_4arch9wavefront6targetE1EEEvT1_,comdat
.Lfunc_end1206:
	.size	_ZN7rocprim17ROCPRIM_400000_NS6detail17trampoline_kernelINS0_14default_configENS1_20scan_config_selectorIsEEZZNS1_9scan_implILNS1_25lookback_scan_determinismE0ELb1ELb1ES3_N6thrust23THRUST_200600_302600_NS6detail15normal_iteratorINS9_10device_ptrIsEEEESE_sNS9_4plusIsEEsEEDaPvRmT3_T4_T5_mT6_P12ihipStream_tbENKUlT_T0_E_clISt17integral_constantIbLb0EESU_EEDaSP_SQ_EUlSP_E0_NS1_11comp_targetILNS1_3genE4ELNS1_11target_archE910ELNS1_3gpuE8ELNS1_3repE0EEENS1_30default_config_static_selectorELNS0_4arch9wavefront6targetE1EEEvT1_, .Lfunc_end1206-_ZN7rocprim17ROCPRIM_400000_NS6detail17trampoline_kernelINS0_14default_configENS1_20scan_config_selectorIsEEZZNS1_9scan_implILNS1_25lookback_scan_determinismE0ELb1ELb1ES3_N6thrust23THRUST_200600_302600_NS6detail15normal_iteratorINS9_10device_ptrIsEEEESE_sNS9_4plusIsEEsEEDaPvRmT3_T4_T5_mT6_P12ihipStream_tbENKUlT_T0_E_clISt17integral_constantIbLb0EESU_EEDaSP_SQ_EUlSP_E0_NS1_11comp_targetILNS1_3genE4ELNS1_11target_archE910ELNS1_3gpuE8ELNS1_3repE0EEENS1_30default_config_static_selectorELNS0_4arch9wavefront6targetE1EEEvT1_
                                        ; -- End function
	.section	.AMDGPU.csdata,"",@progbits
; Kernel info:
; codeLenInByte = 3080
; NumSgprs: 60
; NumVgprs: 32
; NumAgprs: 0
; TotalNumVgprs: 32
; ScratchSize: 0
; MemoryBound: 0
; FloatMode: 240
; IeeeMode: 1
; LDSByteSize: 3072 bytes/workgroup (compile time only)
; SGPRBlocks: 7
; VGPRBlocks: 3
; NumSGPRsForWavesPerEU: 60
; NumVGPRsForWavesPerEU: 32
; AccumOffset: 32
; Occupancy: 6
; WaveLimiterHint : 0
; COMPUTE_PGM_RSRC2:SCRATCH_EN: 0
; COMPUTE_PGM_RSRC2:USER_SGPR: 6
; COMPUTE_PGM_RSRC2:TRAP_HANDLER: 0
; COMPUTE_PGM_RSRC2:TGID_X_EN: 1
; COMPUTE_PGM_RSRC2:TGID_Y_EN: 0
; COMPUTE_PGM_RSRC2:TGID_Z_EN: 0
; COMPUTE_PGM_RSRC2:TIDIG_COMP_CNT: 0
; COMPUTE_PGM_RSRC3_GFX90A:ACCUM_OFFSET: 7
; COMPUTE_PGM_RSRC3_GFX90A:TG_SPLIT: 0
	.section	.text._ZN7rocprim17ROCPRIM_400000_NS6detail17trampoline_kernelINS0_14default_configENS1_20scan_config_selectorIsEEZZNS1_9scan_implILNS1_25lookback_scan_determinismE0ELb1ELb1ES3_N6thrust23THRUST_200600_302600_NS6detail15normal_iteratorINS9_10device_ptrIsEEEESE_sNS9_4plusIsEEsEEDaPvRmT3_T4_T5_mT6_P12ihipStream_tbENKUlT_T0_E_clISt17integral_constantIbLb0EESU_EEDaSP_SQ_EUlSP_E0_NS1_11comp_targetILNS1_3genE3ELNS1_11target_archE908ELNS1_3gpuE7ELNS1_3repE0EEENS1_30default_config_static_selectorELNS0_4arch9wavefront6targetE1EEEvT1_,"axG",@progbits,_ZN7rocprim17ROCPRIM_400000_NS6detail17trampoline_kernelINS0_14default_configENS1_20scan_config_selectorIsEEZZNS1_9scan_implILNS1_25lookback_scan_determinismE0ELb1ELb1ES3_N6thrust23THRUST_200600_302600_NS6detail15normal_iteratorINS9_10device_ptrIsEEEESE_sNS9_4plusIsEEsEEDaPvRmT3_T4_T5_mT6_P12ihipStream_tbENKUlT_T0_E_clISt17integral_constantIbLb0EESU_EEDaSP_SQ_EUlSP_E0_NS1_11comp_targetILNS1_3genE3ELNS1_11target_archE908ELNS1_3gpuE7ELNS1_3repE0EEENS1_30default_config_static_selectorELNS0_4arch9wavefront6targetE1EEEvT1_,comdat
	.protected	_ZN7rocprim17ROCPRIM_400000_NS6detail17trampoline_kernelINS0_14default_configENS1_20scan_config_selectorIsEEZZNS1_9scan_implILNS1_25lookback_scan_determinismE0ELb1ELb1ES3_N6thrust23THRUST_200600_302600_NS6detail15normal_iteratorINS9_10device_ptrIsEEEESE_sNS9_4plusIsEEsEEDaPvRmT3_T4_T5_mT6_P12ihipStream_tbENKUlT_T0_E_clISt17integral_constantIbLb0EESU_EEDaSP_SQ_EUlSP_E0_NS1_11comp_targetILNS1_3genE3ELNS1_11target_archE908ELNS1_3gpuE7ELNS1_3repE0EEENS1_30default_config_static_selectorELNS0_4arch9wavefront6targetE1EEEvT1_ ; -- Begin function _ZN7rocprim17ROCPRIM_400000_NS6detail17trampoline_kernelINS0_14default_configENS1_20scan_config_selectorIsEEZZNS1_9scan_implILNS1_25lookback_scan_determinismE0ELb1ELb1ES3_N6thrust23THRUST_200600_302600_NS6detail15normal_iteratorINS9_10device_ptrIsEEEESE_sNS9_4plusIsEEsEEDaPvRmT3_T4_T5_mT6_P12ihipStream_tbENKUlT_T0_E_clISt17integral_constantIbLb0EESU_EEDaSP_SQ_EUlSP_E0_NS1_11comp_targetILNS1_3genE3ELNS1_11target_archE908ELNS1_3gpuE7ELNS1_3repE0EEENS1_30default_config_static_selectorELNS0_4arch9wavefront6targetE1EEEvT1_
	.globl	_ZN7rocprim17ROCPRIM_400000_NS6detail17trampoline_kernelINS0_14default_configENS1_20scan_config_selectorIsEEZZNS1_9scan_implILNS1_25lookback_scan_determinismE0ELb1ELb1ES3_N6thrust23THRUST_200600_302600_NS6detail15normal_iteratorINS9_10device_ptrIsEEEESE_sNS9_4plusIsEEsEEDaPvRmT3_T4_T5_mT6_P12ihipStream_tbENKUlT_T0_E_clISt17integral_constantIbLb0EESU_EEDaSP_SQ_EUlSP_E0_NS1_11comp_targetILNS1_3genE3ELNS1_11target_archE908ELNS1_3gpuE7ELNS1_3repE0EEENS1_30default_config_static_selectorELNS0_4arch9wavefront6targetE1EEEvT1_
	.p2align	8
	.type	_ZN7rocprim17ROCPRIM_400000_NS6detail17trampoline_kernelINS0_14default_configENS1_20scan_config_selectorIsEEZZNS1_9scan_implILNS1_25lookback_scan_determinismE0ELb1ELb1ES3_N6thrust23THRUST_200600_302600_NS6detail15normal_iteratorINS9_10device_ptrIsEEEESE_sNS9_4plusIsEEsEEDaPvRmT3_T4_T5_mT6_P12ihipStream_tbENKUlT_T0_E_clISt17integral_constantIbLb0EESU_EEDaSP_SQ_EUlSP_E0_NS1_11comp_targetILNS1_3genE3ELNS1_11target_archE908ELNS1_3gpuE7ELNS1_3repE0EEENS1_30default_config_static_selectorELNS0_4arch9wavefront6targetE1EEEvT1_,@function
_ZN7rocprim17ROCPRIM_400000_NS6detail17trampoline_kernelINS0_14default_configENS1_20scan_config_selectorIsEEZZNS1_9scan_implILNS1_25lookback_scan_determinismE0ELb1ELb1ES3_N6thrust23THRUST_200600_302600_NS6detail15normal_iteratorINS9_10device_ptrIsEEEESE_sNS9_4plusIsEEsEEDaPvRmT3_T4_T5_mT6_P12ihipStream_tbENKUlT_T0_E_clISt17integral_constantIbLb0EESU_EEDaSP_SQ_EUlSP_E0_NS1_11comp_targetILNS1_3genE3ELNS1_11target_archE908ELNS1_3gpuE7ELNS1_3repE0EEENS1_30default_config_static_selectorELNS0_4arch9wavefront6targetE1EEEvT1_: ; @_ZN7rocprim17ROCPRIM_400000_NS6detail17trampoline_kernelINS0_14default_configENS1_20scan_config_selectorIsEEZZNS1_9scan_implILNS1_25lookback_scan_determinismE0ELb1ELb1ES3_N6thrust23THRUST_200600_302600_NS6detail15normal_iteratorINS9_10device_ptrIsEEEESE_sNS9_4plusIsEEsEEDaPvRmT3_T4_T5_mT6_P12ihipStream_tbENKUlT_T0_E_clISt17integral_constantIbLb0EESU_EEDaSP_SQ_EUlSP_E0_NS1_11comp_targetILNS1_3genE3ELNS1_11target_archE908ELNS1_3gpuE7ELNS1_3repE0EEENS1_30default_config_static_selectorELNS0_4arch9wavefront6targetE1EEEvT1_
; %bb.0:
	.section	.rodata,"a",@progbits
	.p2align	6, 0x0
	.amdhsa_kernel _ZN7rocprim17ROCPRIM_400000_NS6detail17trampoline_kernelINS0_14default_configENS1_20scan_config_selectorIsEEZZNS1_9scan_implILNS1_25lookback_scan_determinismE0ELb1ELb1ES3_N6thrust23THRUST_200600_302600_NS6detail15normal_iteratorINS9_10device_ptrIsEEEESE_sNS9_4plusIsEEsEEDaPvRmT3_T4_T5_mT6_P12ihipStream_tbENKUlT_T0_E_clISt17integral_constantIbLb0EESU_EEDaSP_SQ_EUlSP_E0_NS1_11comp_targetILNS1_3genE3ELNS1_11target_archE908ELNS1_3gpuE7ELNS1_3repE0EEENS1_30default_config_static_selectorELNS0_4arch9wavefront6targetE1EEEvT1_
		.amdhsa_group_segment_fixed_size 0
		.amdhsa_private_segment_fixed_size 0
		.amdhsa_kernarg_size 32
		.amdhsa_user_sgpr_count 6
		.amdhsa_user_sgpr_private_segment_buffer 1
		.amdhsa_user_sgpr_dispatch_ptr 0
		.amdhsa_user_sgpr_queue_ptr 0
		.amdhsa_user_sgpr_kernarg_segment_ptr 1
		.amdhsa_user_sgpr_dispatch_id 0
		.amdhsa_user_sgpr_flat_scratch_init 0
		.amdhsa_user_sgpr_kernarg_preload_length 0
		.amdhsa_user_sgpr_kernarg_preload_offset 0
		.amdhsa_user_sgpr_private_segment_size 0
		.amdhsa_uses_dynamic_stack 0
		.amdhsa_system_sgpr_private_segment_wavefront_offset 0
		.amdhsa_system_sgpr_workgroup_id_x 1
		.amdhsa_system_sgpr_workgroup_id_y 0
		.amdhsa_system_sgpr_workgroup_id_z 0
		.amdhsa_system_sgpr_workgroup_info 0
		.amdhsa_system_vgpr_workitem_id 0
		.amdhsa_next_free_vgpr 1
		.amdhsa_next_free_sgpr 0
		.amdhsa_accum_offset 4
		.amdhsa_reserve_vcc 0
		.amdhsa_reserve_flat_scratch 0
		.amdhsa_float_round_mode_32 0
		.amdhsa_float_round_mode_16_64 0
		.amdhsa_float_denorm_mode_32 3
		.amdhsa_float_denorm_mode_16_64 3
		.amdhsa_dx10_clamp 1
		.amdhsa_ieee_mode 1
		.amdhsa_fp16_overflow 0
		.amdhsa_tg_split 0
		.amdhsa_exception_fp_ieee_invalid_op 0
		.amdhsa_exception_fp_denorm_src 0
		.amdhsa_exception_fp_ieee_div_zero 0
		.amdhsa_exception_fp_ieee_overflow 0
		.amdhsa_exception_fp_ieee_underflow 0
		.amdhsa_exception_fp_ieee_inexact 0
		.amdhsa_exception_int_div_zero 0
	.end_amdhsa_kernel
	.section	.text._ZN7rocprim17ROCPRIM_400000_NS6detail17trampoline_kernelINS0_14default_configENS1_20scan_config_selectorIsEEZZNS1_9scan_implILNS1_25lookback_scan_determinismE0ELb1ELb1ES3_N6thrust23THRUST_200600_302600_NS6detail15normal_iteratorINS9_10device_ptrIsEEEESE_sNS9_4plusIsEEsEEDaPvRmT3_T4_T5_mT6_P12ihipStream_tbENKUlT_T0_E_clISt17integral_constantIbLb0EESU_EEDaSP_SQ_EUlSP_E0_NS1_11comp_targetILNS1_3genE3ELNS1_11target_archE908ELNS1_3gpuE7ELNS1_3repE0EEENS1_30default_config_static_selectorELNS0_4arch9wavefront6targetE1EEEvT1_,"axG",@progbits,_ZN7rocprim17ROCPRIM_400000_NS6detail17trampoline_kernelINS0_14default_configENS1_20scan_config_selectorIsEEZZNS1_9scan_implILNS1_25lookback_scan_determinismE0ELb1ELb1ES3_N6thrust23THRUST_200600_302600_NS6detail15normal_iteratorINS9_10device_ptrIsEEEESE_sNS9_4plusIsEEsEEDaPvRmT3_T4_T5_mT6_P12ihipStream_tbENKUlT_T0_E_clISt17integral_constantIbLb0EESU_EEDaSP_SQ_EUlSP_E0_NS1_11comp_targetILNS1_3genE3ELNS1_11target_archE908ELNS1_3gpuE7ELNS1_3repE0EEENS1_30default_config_static_selectorELNS0_4arch9wavefront6targetE1EEEvT1_,comdat
.Lfunc_end1207:
	.size	_ZN7rocprim17ROCPRIM_400000_NS6detail17trampoline_kernelINS0_14default_configENS1_20scan_config_selectorIsEEZZNS1_9scan_implILNS1_25lookback_scan_determinismE0ELb1ELb1ES3_N6thrust23THRUST_200600_302600_NS6detail15normal_iteratorINS9_10device_ptrIsEEEESE_sNS9_4plusIsEEsEEDaPvRmT3_T4_T5_mT6_P12ihipStream_tbENKUlT_T0_E_clISt17integral_constantIbLb0EESU_EEDaSP_SQ_EUlSP_E0_NS1_11comp_targetILNS1_3genE3ELNS1_11target_archE908ELNS1_3gpuE7ELNS1_3repE0EEENS1_30default_config_static_selectorELNS0_4arch9wavefront6targetE1EEEvT1_, .Lfunc_end1207-_ZN7rocprim17ROCPRIM_400000_NS6detail17trampoline_kernelINS0_14default_configENS1_20scan_config_selectorIsEEZZNS1_9scan_implILNS1_25lookback_scan_determinismE0ELb1ELb1ES3_N6thrust23THRUST_200600_302600_NS6detail15normal_iteratorINS9_10device_ptrIsEEEESE_sNS9_4plusIsEEsEEDaPvRmT3_T4_T5_mT6_P12ihipStream_tbENKUlT_T0_E_clISt17integral_constantIbLb0EESU_EEDaSP_SQ_EUlSP_E0_NS1_11comp_targetILNS1_3genE3ELNS1_11target_archE908ELNS1_3gpuE7ELNS1_3repE0EEENS1_30default_config_static_selectorELNS0_4arch9wavefront6targetE1EEEvT1_
                                        ; -- End function
	.section	.AMDGPU.csdata,"",@progbits
; Kernel info:
; codeLenInByte = 0
; NumSgprs: 4
; NumVgprs: 0
; NumAgprs: 0
; TotalNumVgprs: 0
; ScratchSize: 0
; MemoryBound: 0
; FloatMode: 240
; IeeeMode: 1
; LDSByteSize: 0 bytes/workgroup (compile time only)
; SGPRBlocks: 0
; VGPRBlocks: 0
; NumSGPRsForWavesPerEU: 4
; NumVGPRsForWavesPerEU: 1
; AccumOffset: 4
; Occupancy: 8
; WaveLimiterHint : 0
; COMPUTE_PGM_RSRC2:SCRATCH_EN: 0
; COMPUTE_PGM_RSRC2:USER_SGPR: 6
; COMPUTE_PGM_RSRC2:TRAP_HANDLER: 0
; COMPUTE_PGM_RSRC2:TGID_X_EN: 1
; COMPUTE_PGM_RSRC2:TGID_Y_EN: 0
; COMPUTE_PGM_RSRC2:TGID_Z_EN: 0
; COMPUTE_PGM_RSRC2:TIDIG_COMP_CNT: 0
; COMPUTE_PGM_RSRC3_GFX90A:ACCUM_OFFSET: 0
; COMPUTE_PGM_RSRC3_GFX90A:TG_SPLIT: 0
	.section	.text._ZN7rocprim17ROCPRIM_400000_NS6detail17trampoline_kernelINS0_14default_configENS1_20scan_config_selectorIsEEZZNS1_9scan_implILNS1_25lookback_scan_determinismE0ELb1ELb1ES3_N6thrust23THRUST_200600_302600_NS6detail15normal_iteratorINS9_10device_ptrIsEEEESE_sNS9_4plusIsEEsEEDaPvRmT3_T4_T5_mT6_P12ihipStream_tbENKUlT_T0_E_clISt17integral_constantIbLb0EESU_EEDaSP_SQ_EUlSP_E0_NS1_11comp_targetILNS1_3genE2ELNS1_11target_archE906ELNS1_3gpuE6ELNS1_3repE0EEENS1_30default_config_static_selectorELNS0_4arch9wavefront6targetE1EEEvT1_,"axG",@progbits,_ZN7rocprim17ROCPRIM_400000_NS6detail17trampoline_kernelINS0_14default_configENS1_20scan_config_selectorIsEEZZNS1_9scan_implILNS1_25lookback_scan_determinismE0ELb1ELb1ES3_N6thrust23THRUST_200600_302600_NS6detail15normal_iteratorINS9_10device_ptrIsEEEESE_sNS9_4plusIsEEsEEDaPvRmT3_T4_T5_mT6_P12ihipStream_tbENKUlT_T0_E_clISt17integral_constantIbLb0EESU_EEDaSP_SQ_EUlSP_E0_NS1_11comp_targetILNS1_3genE2ELNS1_11target_archE906ELNS1_3gpuE6ELNS1_3repE0EEENS1_30default_config_static_selectorELNS0_4arch9wavefront6targetE1EEEvT1_,comdat
	.protected	_ZN7rocprim17ROCPRIM_400000_NS6detail17trampoline_kernelINS0_14default_configENS1_20scan_config_selectorIsEEZZNS1_9scan_implILNS1_25lookback_scan_determinismE0ELb1ELb1ES3_N6thrust23THRUST_200600_302600_NS6detail15normal_iteratorINS9_10device_ptrIsEEEESE_sNS9_4plusIsEEsEEDaPvRmT3_T4_T5_mT6_P12ihipStream_tbENKUlT_T0_E_clISt17integral_constantIbLb0EESU_EEDaSP_SQ_EUlSP_E0_NS1_11comp_targetILNS1_3genE2ELNS1_11target_archE906ELNS1_3gpuE6ELNS1_3repE0EEENS1_30default_config_static_selectorELNS0_4arch9wavefront6targetE1EEEvT1_ ; -- Begin function _ZN7rocprim17ROCPRIM_400000_NS6detail17trampoline_kernelINS0_14default_configENS1_20scan_config_selectorIsEEZZNS1_9scan_implILNS1_25lookback_scan_determinismE0ELb1ELb1ES3_N6thrust23THRUST_200600_302600_NS6detail15normal_iteratorINS9_10device_ptrIsEEEESE_sNS9_4plusIsEEsEEDaPvRmT3_T4_T5_mT6_P12ihipStream_tbENKUlT_T0_E_clISt17integral_constantIbLb0EESU_EEDaSP_SQ_EUlSP_E0_NS1_11comp_targetILNS1_3genE2ELNS1_11target_archE906ELNS1_3gpuE6ELNS1_3repE0EEENS1_30default_config_static_selectorELNS0_4arch9wavefront6targetE1EEEvT1_
	.globl	_ZN7rocprim17ROCPRIM_400000_NS6detail17trampoline_kernelINS0_14default_configENS1_20scan_config_selectorIsEEZZNS1_9scan_implILNS1_25lookback_scan_determinismE0ELb1ELb1ES3_N6thrust23THRUST_200600_302600_NS6detail15normal_iteratorINS9_10device_ptrIsEEEESE_sNS9_4plusIsEEsEEDaPvRmT3_T4_T5_mT6_P12ihipStream_tbENKUlT_T0_E_clISt17integral_constantIbLb0EESU_EEDaSP_SQ_EUlSP_E0_NS1_11comp_targetILNS1_3genE2ELNS1_11target_archE906ELNS1_3gpuE6ELNS1_3repE0EEENS1_30default_config_static_selectorELNS0_4arch9wavefront6targetE1EEEvT1_
	.p2align	8
	.type	_ZN7rocprim17ROCPRIM_400000_NS6detail17trampoline_kernelINS0_14default_configENS1_20scan_config_selectorIsEEZZNS1_9scan_implILNS1_25lookback_scan_determinismE0ELb1ELb1ES3_N6thrust23THRUST_200600_302600_NS6detail15normal_iteratorINS9_10device_ptrIsEEEESE_sNS9_4plusIsEEsEEDaPvRmT3_T4_T5_mT6_P12ihipStream_tbENKUlT_T0_E_clISt17integral_constantIbLb0EESU_EEDaSP_SQ_EUlSP_E0_NS1_11comp_targetILNS1_3genE2ELNS1_11target_archE906ELNS1_3gpuE6ELNS1_3repE0EEENS1_30default_config_static_selectorELNS0_4arch9wavefront6targetE1EEEvT1_,@function
_ZN7rocprim17ROCPRIM_400000_NS6detail17trampoline_kernelINS0_14default_configENS1_20scan_config_selectorIsEEZZNS1_9scan_implILNS1_25lookback_scan_determinismE0ELb1ELb1ES3_N6thrust23THRUST_200600_302600_NS6detail15normal_iteratorINS9_10device_ptrIsEEEESE_sNS9_4plusIsEEsEEDaPvRmT3_T4_T5_mT6_P12ihipStream_tbENKUlT_T0_E_clISt17integral_constantIbLb0EESU_EEDaSP_SQ_EUlSP_E0_NS1_11comp_targetILNS1_3genE2ELNS1_11target_archE906ELNS1_3gpuE6ELNS1_3repE0EEENS1_30default_config_static_selectorELNS0_4arch9wavefront6targetE1EEEvT1_: ; @_ZN7rocprim17ROCPRIM_400000_NS6detail17trampoline_kernelINS0_14default_configENS1_20scan_config_selectorIsEEZZNS1_9scan_implILNS1_25lookback_scan_determinismE0ELb1ELb1ES3_N6thrust23THRUST_200600_302600_NS6detail15normal_iteratorINS9_10device_ptrIsEEEESE_sNS9_4plusIsEEsEEDaPvRmT3_T4_T5_mT6_P12ihipStream_tbENKUlT_T0_E_clISt17integral_constantIbLb0EESU_EEDaSP_SQ_EUlSP_E0_NS1_11comp_targetILNS1_3genE2ELNS1_11target_archE906ELNS1_3gpuE6ELNS1_3repE0EEENS1_30default_config_static_selectorELNS0_4arch9wavefront6targetE1EEEvT1_
; %bb.0:
	.section	.rodata,"a",@progbits
	.p2align	6, 0x0
	.amdhsa_kernel _ZN7rocprim17ROCPRIM_400000_NS6detail17trampoline_kernelINS0_14default_configENS1_20scan_config_selectorIsEEZZNS1_9scan_implILNS1_25lookback_scan_determinismE0ELb1ELb1ES3_N6thrust23THRUST_200600_302600_NS6detail15normal_iteratorINS9_10device_ptrIsEEEESE_sNS9_4plusIsEEsEEDaPvRmT3_T4_T5_mT6_P12ihipStream_tbENKUlT_T0_E_clISt17integral_constantIbLb0EESU_EEDaSP_SQ_EUlSP_E0_NS1_11comp_targetILNS1_3genE2ELNS1_11target_archE906ELNS1_3gpuE6ELNS1_3repE0EEENS1_30default_config_static_selectorELNS0_4arch9wavefront6targetE1EEEvT1_
		.amdhsa_group_segment_fixed_size 0
		.amdhsa_private_segment_fixed_size 0
		.amdhsa_kernarg_size 32
		.amdhsa_user_sgpr_count 6
		.amdhsa_user_sgpr_private_segment_buffer 1
		.amdhsa_user_sgpr_dispatch_ptr 0
		.amdhsa_user_sgpr_queue_ptr 0
		.amdhsa_user_sgpr_kernarg_segment_ptr 1
		.amdhsa_user_sgpr_dispatch_id 0
		.amdhsa_user_sgpr_flat_scratch_init 0
		.amdhsa_user_sgpr_kernarg_preload_length 0
		.amdhsa_user_sgpr_kernarg_preload_offset 0
		.amdhsa_user_sgpr_private_segment_size 0
		.amdhsa_uses_dynamic_stack 0
		.amdhsa_system_sgpr_private_segment_wavefront_offset 0
		.amdhsa_system_sgpr_workgroup_id_x 1
		.amdhsa_system_sgpr_workgroup_id_y 0
		.amdhsa_system_sgpr_workgroup_id_z 0
		.amdhsa_system_sgpr_workgroup_info 0
		.amdhsa_system_vgpr_workitem_id 0
		.amdhsa_next_free_vgpr 1
		.amdhsa_next_free_sgpr 0
		.amdhsa_accum_offset 4
		.amdhsa_reserve_vcc 0
		.amdhsa_reserve_flat_scratch 0
		.amdhsa_float_round_mode_32 0
		.amdhsa_float_round_mode_16_64 0
		.amdhsa_float_denorm_mode_32 3
		.amdhsa_float_denorm_mode_16_64 3
		.amdhsa_dx10_clamp 1
		.amdhsa_ieee_mode 1
		.amdhsa_fp16_overflow 0
		.amdhsa_tg_split 0
		.amdhsa_exception_fp_ieee_invalid_op 0
		.amdhsa_exception_fp_denorm_src 0
		.amdhsa_exception_fp_ieee_div_zero 0
		.amdhsa_exception_fp_ieee_overflow 0
		.amdhsa_exception_fp_ieee_underflow 0
		.amdhsa_exception_fp_ieee_inexact 0
		.amdhsa_exception_int_div_zero 0
	.end_amdhsa_kernel
	.section	.text._ZN7rocprim17ROCPRIM_400000_NS6detail17trampoline_kernelINS0_14default_configENS1_20scan_config_selectorIsEEZZNS1_9scan_implILNS1_25lookback_scan_determinismE0ELb1ELb1ES3_N6thrust23THRUST_200600_302600_NS6detail15normal_iteratorINS9_10device_ptrIsEEEESE_sNS9_4plusIsEEsEEDaPvRmT3_T4_T5_mT6_P12ihipStream_tbENKUlT_T0_E_clISt17integral_constantIbLb0EESU_EEDaSP_SQ_EUlSP_E0_NS1_11comp_targetILNS1_3genE2ELNS1_11target_archE906ELNS1_3gpuE6ELNS1_3repE0EEENS1_30default_config_static_selectorELNS0_4arch9wavefront6targetE1EEEvT1_,"axG",@progbits,_ZN7rocprim17ROCPRIM_400000_NS6detail17trampoline_kernelINS0_14default_configENS1_20scan_config_selectorIsEEZZNS1_9scan_implILNS1_25lookback_scan_determinismE0ELb1ELb1ES3_N6thrust23THRUST_200600_302600_NS6detail15normal_iteratorINS9_10device_ptrIsEEEESE_sNS9_4plusIsEEsEEDaPvRmT3_T4_T5_mT6_P12ihipStream_tbENKUlT_T0_E_clISt17integral_constantIbLb0EESU_EEDaSP_SQ_EUlSP_E0_NS1_11comp_targetILNS1_3genE2ELNS1_11target_archE906ELNS1_3gpuE6ELNS1_3repE0EEENS1_30default_config_static_selectorELNS0_4arch9wavefront6targetE1EEEvT1_,comdat
.Lfunc_end1208:
	.size	_ZN7rocprim17ROCPRIM_400000_NS6detail17trampoline_kernelINS0_14default_configENS1_20scan_config_selectorIsEEZZNS1_9scan_implILNS1_25lookback_scan_determinismE0ELb1ELb1ES3_N6thrust23THRUST_200600_302600_NS6detail15normal_iteratorINS9_10device_ptrIsEEEESE_sNS9_4plusIsEEsEEDaPvRmT3_T4_T5_mT6_P12ihipStream_tbENKUlT_T0_E_clISt17integral_constantIbLb0EESU_EEDaSP_SQ_EUlSP_E0_NS1_11comp_targetILNS1_3genE2ELNS1_11target_archE906ELNS1_3gpuE6ELNS1_3repE0EEENS1_30default_config_static_selectorELNS0_4arch9wavefront6targetE1EEEvT1_, .Lfunc_end1208-_ZN7rocprim17ROCPRIM_400000_NS6detail17trampoline_kernelINS0_14default_configENS1_20scan_config_selectorIsEEZZNS1_9scan_implILNS1_25lookback_scan_determinismE0ELb1ELb1ES3_N6thrust23THRUST_200600_302600_NS6detail15normal_iteratorINS9_10device_ptrIsEEEESE_sNS9_4plusIsEEsEEDaPvRmT3_T4_T5_mT6_P12ihipStream_tbENKUlT_T0_E_clISt17integral_constantIbLb0EESU_EEDaSP_SQ_EUlSP_E0_NS1_11comp_targetILNS1_3genE2ELNS1_11target_archE906ELNS1_3gpuE6ELNS1_3repE0EEENS1_30default_config_static_selectorELNS0_4arch9wavefront6targetE1EEEvT1_
                                        ; -- End function
	.section	.AMDGPU.csdata,"",@progbits
; Kernel info:
; codeLenInByte = 0
; NumSgprs: 4
; NumVgprs: 0
; NumAgprs: 0
; TotalNumVgprs: 0
; ScratchSize: 0
; MemoryBound: 0
; FloatMode: 240
; IeeeMode: 1
; LDSByteSize: 0 bytes/workgroup (compile time only)
; SGPRBlocks: 0
; VGPRBlocks: 0
; NumSGPRsForWavesPerEU: 4
; NumVGPRsForWavesPerEU: 1
; AccumOffset: 4
; Occupancy: 8
; WaveLimiterHint : 0
; COMPUTE_PGM_RSRC2:SCRATCH_EN: 0
; COMPUTE_PGM_RSRC2:USER_SGPR: 6
; COMPUTE_PGM_RSRC2:TRAP_HANDLER: 0
; COMPUTE_PGM_RSRC2:TGID_X_EN: 1
; COMPUTE_PGM_RSRC2:TGID_Y_EN: 0
; COMPUTE_PGM_RSRC2:TGID_Z_EN: 0
; COMPUTE_PGM_RSRC2:TIDIG_COMP_CNT: 0
; COMPUTE_PGM_RSRC3_GFX90A:ACCUM_OFFSET: 0
; COMPUTE_PGM_RSRC3_GFX90A:TG_SPLIT: 0
	.section	.text._ZN7rocprim17ROCPRIM_400000_NS6detail17trampoline_kernelINS0_14default_configENS1_20scan_config_selectorIsEEZZNS1_9scan_implILNS1_25lookback_scan_determinismE0ELb1ELb1ES3_N6thrust23THRUST_200600_302600_NS6detail15normal_iteratorINS9_10device_ptrIsEEEESE_sNS9_4plusIsEEsEEDaPvRmT3_T4_T5_mT6_P12ihipStream_tbENKUlT_T0_E_clISt17integral_constantIbLb0EESU_EEDaSP_SQ_EUlSP_E0_NS1_11comp_targetILNS1_3genE10ELNS1_11target_archE1201ELNS1_3gpuE5ELNS1_3repE0EEENS1_30default_config_static_selectorELNS0_4arch9wavefront6targetE1EEEvT1_,"axG",@progbits,_ZN7rocprim17ROCPRIM_400000_NS6detail17trampoline_kernelINS0_14default_configENS1_20scan_config_selectorIsEEZZNS1_9scan_implILNS1_25lookback_scan_determinismE0ELb1ELb1ES3_N6thrust23THRUST_200600_302600_NS6detail15normal_iteratorINS9_10device_ptrIsEEEESE_sNS9_4plusIsEEsEEDaPvRmT3_T4_T5_mT6_P12ihipStream_tbENKUlT_T0_E_clISt17integral_constantIbLb0EESU_EEDaSP_SQ_EUlSP_E0_NS1_11comp_targetILNS1_3genE10ELNS1_11target_archE1201ELNS1_3gpuE5ELNS1_3repE0EEENS1_30default_config_static_selectorELNS0_4arch9wavefront6targetE1EEEvT1_,comdat
	.protected	_ZN7rocprim17ROCPRIM_400000_NS6detail17trampoline_kernelINS0_14default_configENS1_20scan_config_selectorIsEEZZNS1_9scan_implILNS1_25lookback_scan_determinismE0ELb1ELb1ES3_N6thrust23THRUST_200600_302600_NS6detail15normal_iteratorINS9_10device_ptrIsEEEESE_sNS9_4plusIsEEsEEDaPvRmT3_T4_T5_mT6_P12ihipStream_tbENKUlT_T0_E_clISt17integral_constantIbLb0EESU_EEDaSP_SQ_EUlSP_E0_NS1_11comp_targetILNS1_3genE10ELNS1_11target_archE1201ELNS1_3gpuE5ELNS1_3repE0EEENS1_30default_config_static_selectorELNS0_4arch9wavefront6targetE1EEEvT1_ ; -- Begin function _ZN7rocprim17ROCPRIM_400000_NS6detail17trampoline_kernelINS0_14default_configENS1_20scan_config_selectorIsEEZZNS1_9scan_implILNS1_25lookback_scan_determinismE0ELb1ELb1ES3_N6thrust23THRUST_200600_302600_NS6detail15normal_iteratorINS9_10device_ptrIsEEEESE_sNS9_4plusIsEEsEEDaPvRmT3_T4_T5_mT6_P12ihipStream_tbENKUlT_T0_E_clISt17integral_constantIbLb0EESU_EEDaSP_SQ_EUlSP_E0_NS1_11comp_targetILNS1_3genE10ELNS1_11target_archE1201ELNS1_3gpuE5ELNS1_3repE0EEENS1_30default_config_static_selectorELNS0_4arch9wavefront6targetE1EEEvT1_
	.globl	_ZN7rocprim17ROCPRIM_400000_NS6detail17trampoline_kernelINS0_14default_configENS1_20scan_config_selectorIsEEZZNS1_9scan_implILNS1_25lookback_scan_determinismE0ELb1ELb1ES3_N6thrust23THRUST_200600_302600_NS6detail15normal_iteratorINS9_10device_ptrIsEEEESE_sNS9_4plusIsEEsEEDaPvRmT3_T4_T5_mT6_P12ihipStream_tbENKUlT_T0_E_clISt17integral_constantIbLb0EESU_EEDaSP_SQ_EUlSP_E0_NS1_11comp_targetILNS1_3genE10ELNS1_11target_archE1201ELNS1_3gpuE5ELNS1_3repE0EEENS1_30default_config_static_selectorELNS0_4arch9wavefront6targetE1EEEvT1_
	.p2align	8
	.type	_ZN7rocprim17ROCPRIM_400000_NS6detail17trampoline_kernelINS0_14default_configENS1_20scan_config_selectorIsEEZZNS1_9scan_implILNS1_25lookback_scan_determinismE0ELb1ELb1ES3_N6thrust23THRUST_200600_302600_NS6detail15normal_iteratorINS9_10device_ptrIsEEEESE_sNS9_4plusIsEEsEEDaPvRmT3_T4_T5_mT6_P12ihipStream_tbENKUlT_T0_E_clISt17integral_constantIbLb0EESU_EEDaSP_SQ_EUlSP_E0_NS1_11comp_targetILNS1_3genE10ELNS1_11target_archE1201ELNS1_3gpuE5ELNS1_3repE0EEENS1_30default_config_static_selectorELNS0_4arch9wavefront6targetE1EEEvT1_,@function
_ZN7rocprim17ROCPRIM_400000_NS6detail17trampoline_kernelINS0_14default_configENS1_20scan_config_selectorIsEEZZNS1_9scan_implILNS1_25lookback_scan_determinismE0ELb1ELb1ES3_N6thrust23THRUST_200600_302600_NS6detail15normal_iteratorINS9_10device_ptrIsEEEESE_sNS9_4plusIsEEsEEDaPvRmT3_T4_T5_mT6_P12ihipStream_tbENKUlT_T0_E_clISt17integral_constantIbLb0EESU_EEDaSP_SQ_EUlSP_E0_NS1_11comp_targetILNS1_3genE10ELNS1_11target_archE1201ELNS1_3gpuE5ELNS1_3repE0EEENS1_30default_config_static_selectorELNS0_4arch9wavefront6targetE1EEEvT1_: ; @_ZN7rocprim17ROCPRIM_400000_NS6detail17trampoline_kernelINS0_14default_configENS1_20scan_config_selectorIsEEZZNS1_9scan_implILNS1_25lookback_scan_determinismE0ELb1ELb1ES3_N6thrust23THRUST_200600_302600_NS6detail15normal_iteratorINS9_10device_ptrIsEEEESE_sNS9_4plusIsEEsEEDaPvRmT3_T4_T5_mT6_P12ihipStream_tbENKUlT_T0_E_clISt17integral_constantIbLb0EESU_EEDaSP_SQ_EUlSP_E0_NS1_11comp_targetILNS1_3genE10ELNS1_11target_archE1201ELNS1_3gpuE5ELNS1_3repE0EEENS1_30default_config_static_selectorELNS0_4arch9wavefront6targetE1EEEvT1_
; %bb.0:
	.section	.rodata,"a",@progbits
	.p2align	6, 0x0
	.amdhsa_kernel _ZN7rocprim17ROCPRIM_400000_NS6detail17trampoline_kernelINS0_14default_configENS1_20scan_config_selectorIsEEZZNS1_9scan_implILNS1_25lookback_scan_determinismE0ELb1ELb1ES3_N6thrust23THRUST_200600_302600_NS6detail15normal_iteratorINS9_10device_ptrIsEEEESE_sNS9_4plusIsEEsEEDaPvRmT3_T4_T5_mT6_P12ihipStream_tbENKUlT_T0_E_clISt17integral_constantIbLb0EESU_EEDaSP_SQ_EUlSP_E0_NS1_11comp_targetILNS1_3genE10ELNS1_11target_archE1201ELNS1_3gpuE5ELNS1_3repE0EEENS1_30default_config_static_selectorELNS0_4arch9wavefront6targetE1EEEvT1_
		.amdhsa_group_segment_fixed_size 0
		.amdhsa_private_segment_fixed_size 0
		.amdhsa_kernarg_size 32
		.amdhsa_user_sgpr_count 6
		.amdhsa_user_sgpr_private_segment_buffer 1
		.amdhsa_user_sgpr_dispatch_ptr 0
		.amdhsa_user_sgpr_queue_ptr 0
		.amdhsa_user_sgpr_kernarg_segment_ptr 1
		.amdhsa_user_sgpr_dispatch_id 0
		.amdhsa_user_sgpr_flat_scratch_init 0
		.amdhsa_user_sgpr_kernarg_preload_length 0
		.amdhsa_user_sgpr_kernarg_preload_offset 0
		.amdhsa_user_sgpr_private_segment_size 0
		.amdhsa_uses_dynamic_stack 0
		.amdhsa_system_sgpr_private_segment_wavefront_offset 0
		.amdhsa_system_sgpr_workgroup_id_x 1
		.amdhsa_system_sgpr_workgroup_id_y 0
		.amdhsa_system_sgpr_workgroup_id_z 0
		.amdhsa_system_sgpr_workgroup_info 0
		.amdhsa_system_vgpr_workitem_id 0
		.amdhsa_next_free_vgpr 1
		.amdhsa_next_free_sgpr 0
		.amdhsa_accum_offset 4
		.amdhsa_reserve_vcc 0
		.amdhsa_reserve_flat_scratch 0
		.amdhsa_float_round_mode_32 0
		.amdhsa_float_round_mode_16_64 0
		.amdhsa_float_denorm_mode_32 3
		.amdhsa_float_denorm_mode_16_64 3
		.amdhsa_dx10_clamp 1
		.amdhsa_ieee_mode 1
		.amdhsa_fp16_overflow 0
		.amdhsa_tg_split 0
		.amdhsa_exception_fp_ieee_invalid_op 0
		.amdhsa_exception_fp_denorm_src 0
		.amdhsa_exception_fp_ieee_div_zero 0
		.amdhsa_exception_fp_ieee_overflow 0
		.amdhsa_exception_fp_ieee_underflow 0
		.amdhsa_exception_fp_ieee_inexact 0
		.amdhsa_exception_int_div_zero 0
	.end_amdhsa_kernel
	.section	.text._ZN7rocprim17ROCPRIM_400000_NS6detail17trampoline_kernelINS0_14default_configENS1_20scan_config_selectorIsEEZZNS1_9scan_implILNS1_25lookback_scan_determinismE0ELb1ELb1ES3_N6thrust23THRUST_200600_302600_NS6detail15normal_iteratorINS9_10device_ptrIsEEEESE_sNS9_4plusIsEEsEEDaPvRmT3_T4_T5_mT6_P12ihipStream_tbENKUlT_T0_E_clISt17integral_constantIbLb0EESU_EEDaSP_SQ_EUlSP_E0_NS1_11comp_targetILNS1_3genE10ELNS1_11target_archE1201ELNS1_3gpuE5ELNS1_3repE0EEENS1_30default_config_static_selectorELNS0_4arch9wavefront6targetE1EEEvT1_,"axG",@progbits,_ZN7rocprim17ROCPRIM_400000_NS6detail17trampoline_kernelINS0_14default_configENS1_20scan_config_selectorIsEEZZNS1_9scan_implILNS1_25lookback_scan_determinismE0ELb1ELb1ES3_N6thrust23THRUST_200600_302600_NS6detail15normal_iteratorINS9_10device_ptrIsEEEESE_sNS9_4plusIsEEsEEDaPvRmT3_T4_T5_mT6_P12ihipStream_tbENKUlT_T0_E_clISt17integral_constantIbLb0EESU_EEDaSP_SQ_EUlSP_E0_NS1_11comp_targetILNS1_3genE10ELNS1_11target_archE1201ELNS1_3gpuE5ELNS1_3repE0EEENS1_30default_config_static_selectorELNS0_4arch9wavefront6targetE1EEEvT1_,comdat
.Lfunc_end1209:
	.size	_ZN7rocprim17ROCPRIM_400000_NS6detail17trampoline_kernelINS0_14default_configENS1_20scan_config_selectorIsEEZZNS1_9scan_implILNS1_25lookback_scan_determinismE0ELb1ELb1ES3_N6thrust23THRUST_200600_302600_NS6detail15normal_iteratorINS9_10device_ptrIsEEEESE_sNS9_4plusIsEEsEEDaPvRmT3_T4_T5_mT6_P12ihipStream_tbENKUlT_T0_E_clISt17integral_constantIbLb0EESU_EEDaSP_SQ_EUlSP_E0_NS1_11comp_targetILNS1_3genE10ELNS1_11target_archE1201ELNS1_3gpuE5ELNS1_3repE0EEENS1_30default_config_static_selectorELNS0_4arch9wavefront6targetE1EEEvT1_, .Lfunc_end1209-_ZN7rocprim17ROCPRIM_400000_NS6detail17trampoline_kernelINS0_14default_configENS1_20scan_config_selectorIsEEZZNS1_9scan_implILNS1_25lookback_scan_determinismE0ELb1ELb1ES3_N6thrust23THRUST_200600_302600_NS6detail15normal_iteratorINS9_10device_ptrIsEEEESE_sNS9_4plusIsEEsEEDaPvRmT3_T4_T5_mT6_P12ihipStream_tbENKUlT_T0_E_clISt17integral_constantIbLb0EESU_EEDaSP_SQ_EUlSP_E0_NS1_11comp_targetILNS1_3genE10ELNS1_11target_archE1201ELNS1_3gpuE5ELNS1_3repE0EEENS1_30default_config_static_selectorELNS0_4arch9wavefront6targetE1EEEvT1_
                                        ; -- End function
	.section	.AMDGPU.csdata,"",@progbits
; Kernel info:
; codeLenInByte = 0
; NumSgprs: 4
; NumVgprs: 0
; NumAgprs: 0
; TotalNumVgprs: 0
; ScratchSize: 0
; MemoryBound: 0
; FloatMode: 240
; IeeeMode: 1
; LDSByteSize: 0 bytes/workgroup (compile time only)
; SGPRBlocks: 0
; VGPRBlocks: 0
; NumSGPRsForWavesPerEU: 4
; NumVGPRsForWavesPerEU: 1
; AccumOffset: 4
; Occupancy: 8
; WaveLimiterHint : 0
; COMPUTE_PGM_RSRC2:SCRATCH_EN: 0
; COMPUTE_PGM_RSRC2:USER_SGPR: 6
; COMPUTE_PGM_RSRC2:TRAP_HANDLER: 0
; COMPUTE_PGM_RSRC2:TGID_X_EN: 1
; COMPUTE_PGM_RSRC2:TGID_Y_EN: 0
; COMPUTE_PGM_RSRC2:TGID_Z_EN: 0
; COMPUTE_PGM_RSRC2:TIDIG_COMP_CNT: 0
; COMPUTE_PGM_RSRC3_GFX90A:ACCUM_OFFSET: 0
; COMPUTE_PGM_RSRC3_GFX90A:TG_SPLIT: 0
	.section	.text._ZN7rocprim17ROCPRIM_400000_NS6detail17trampoline_kernelINS0_14default_configENS1_20scan_config_selectorIsEEZZNS1_9scan_implILNS1_25lookback_scan_determinismE0ELb1ELb1ES3_N6thrust23THRUST_200600_302600_NS6detail15normal_iteratorINS9_10device_ptrIsEEEESE_sNS9_4plusIsEEsEEDaPvRmT3_T4_T5_mT6_P12ihipStream_tbENKUlT_T0_E_clISt17integral_constantIbLb0EESU_EEDaSP_SQ_EUlSP_E0_NS1_11comp_targetILNS1_3genE10ELNS1_11target_archE1200ELNS1_3gpuE4ELNS1_3repE0EEENS1_30default_config_static_selectorELNS0_4arch9wavefront6targetE1EEEvT1_,"axG",@progbits,_ZN7rocprim17ROCPRIM_400000_NS6detail17trampoline_kernelINS0_14default_configENS1_20scan_config_selectorIsEEZZNS1_9scan_implILNS1_25lookback_scan_determinismE0ELb1ELb1ES3_N6thrust23THRUST_200600_302600_NS6detail15normal_iteratorINS9_10device_ptrIsEEEESE_sNS9_4plusIsEEsEEDaPvRmT3_T4_T5_mT6_P12ihipStream_tbENKUlT_T0_E_clISt17integral_constantIbLb0EESU_EEDaSP_SQ_EUlSP_E0_NS1_11comp_targetILNS1_3genE10ELNS1_11target_archE1200ELNS1_3gpuE4ELNS1_3repE0EEENS1_30default_config_static_selectorELNS0_4arch9wavefront6targetE1EEEvT1_,comdat
	.protected	_ZN7rocprim17ROCPRIM_400000_NS6detail17trampoline_kernelINS0_14default_configENS1_20scan_config_selectorIsEEZZNS1_9scan_implILNS1_25lookback_scan_determinismE0ELb1ELb1ES3_N6thrust23THRUST_200600_302600_NS6detail15normal_iteratorINS9_10device_ptrIsEEEESE_sNS9_4plusIsEEsEEDaPvRmT3_T4_T5_mT6_P12ihipStream_tbENKUlT_T0_E_clISt17integral_constantIbLb0EESU_EEDaSP_SQ_EUlSP_E0_NS1_11comp_targetILNS1_3genE10ELNS1_11target_archE1200ELNS1_3gpuE4ELNS1_3repE0EEENS1_30default_config_static_selectorELNS0_4arch9wavefront6targetE1EEEvT1_ ; -- Begin function _ZN7rocprim17ROCPRIM_400000_NS6detail17trampoline_kernelINS0_14default_configENS1_20scan_config_selectorIsEEZZNS1_9scan_implILNS1_25lookback_scan_determinismE0ELb1ELb1ES3_N6thrust23THRUST_200600_302600_NS6detail15normal_iteratorINS9_10device_ptrIsEEEESE_sNS9_4plusIsEEsEEDaPvRmT3_T4_T5_mT6_P12ihipStream_tbENKUlT_T0_E_clISt17integral_constantIbLb0EESU_EEDaSP_SQ_EUlSP_E0_NS1_11comp_targetILNS1_3genE10ELNS1_11target_archE1200ELNS1_3gpuE4ELNS1_3repE0EEENS1_30default_config_static_selectorELNS0_4arch9wavefront6targetE1EEEvT1_
	.globl	_ZN7rocprim17ROCPRIM_400000_NS6detail17trampoline_kernelINS0_14default_configENS1_20scan_config_selectorIsEEZZNS1_9scan_implILNS1_25lookback_scan_determinismE0ELb1ELb1ES3_N6thrust23THRUST_200600_302600_NS6detail15normal_iteratorINS9_10device_ptrIsEEEESE_sNS9_4plusIsEEsEEDaPvRmT3_T4_T5_mT6_P12ihipStream_tbENKUlT_T0_E_clISt17integral_constantIbLb0EESU_EEDaSP_SQ_EUlSP_E0_NS1_11comp_targetILNS1_3genE10ELNS1_11target_archE1200ELNS1_3gpuE4ELNS1_3repE0EEENS1_30default_config_static_selectorELNS0_4arch9wavefront6targetE1EEEvT1_
	.p2align	8
	.type	_ZN7rocprim17ROCPRIM_400000_NS6detail17trampoline_kernelINS0_14default_configENS1_20scan_config_selectorIsEEZZNS1_9scan_implILNS1_25lookback_scan_determinismE0ELb1ELb1ES3_N6thrust23THRUST_200600_302600_NS6detail15normal_iteratorINS9_10device_ptrIsEEEESE_sNS9_4plusIsEEsEEDaPvRmT3_T4_T5_mT6_P12ihipStream_tbENKUlT_T0_E_clISt17integral_constantIbLb0EESU_EEDaSP_SQ_EUlSP_E0_NS1_11comp_targetILNS1_3genE10ELNS1_11target_archE1200ELNS1_3gpuE4ELNS1_3repE0EEENS1_30default_config_static_selectorELNS0_4arch9wavefront6targetE1EEEvT1_,@function
_ZN7rocprim17ROCPRIM_400000_NS6detail17trampoline_kernelINS0_14default_configENS1_20scan_config_selectorIsEEZZNS1_9scan_implILNS1_25lookback_scan_determinismE0ELb1ELb1ES3_N6thrust23THRUST_200600_302600_NS6detail15normal_iteratorINS9_10device_ptrIsEEEESE_sNS9_4plusIsEEsEEDaPvRmT3_T4_T5_mT6_P12ihipStream_tbENKUlT_T0_E_clISt17integral_constantIbLb0EESU_EEDaSP_SQ_EUlSP_E0_NS1_11comp_targetILNS1_3genE10ELNS1_11target_archE1200ELNS1_3gpuE4ELNS1_3repE0EEENS1_30default_config_static_selectorELNS0_4arch9wavefront6targetE1EEEvT1_: ; @_ZN7rocprim17ROCPRIM_400000_NS6detail17trampoline_kernelINS0_14default_configENS1_20scan_config_selectorIsEEZZNS1_9scan_implILNS1_25lookback_scan_determinismE0ELb1ELb1ES3_N6thrust23THRUST_200600_302600_NS6detail15normal_iteratorINS9_10device_ptrIsEEEESE_sNS9_4plusIsEEsEEDaPvRmT3_T4_T5_mT6_P12ihipStream_tbENKUlT_T0_E_clISt17integral_constantIbLb0EESU_EEDaSP_SQ_EUlSP_E0_NS1_11comp_targetILNS1_3genE10ELNS1_11target_archE1200ELNS1_3gpuE4ELNS1_3repE0EEENS1_30default_config_static_selectorELNS0_4arch9wavefront6targetE1EEEvT1_
; %bb.0:
	.section	.rodata,"a",@progbits
	.p2align	6, 0x0
	.amdhsa_kernel _ZN7rocprim17ROCPRIM_400000_NS6detail17trampoline_kernelINS0_14default_configENS1_20scan_config_selectorIsEEZZNS1_9scan_implILNS1_25lookback_scan_determinismE0ELb1ELb1ES3_N6thrust23THRUST_200600_302600_NS6detail15normal_iteratorINS9_10device_ptrIsEEEESE_sNS9_4plusIsEEsEEDaPvRmT3_T4_T5_mT6_P12ihipStream_tbENKUlT_T0_E_clISt17integral_constantIbLb0EESU_EEDaSP_SQ_EUlSP_E0_NS1_11comp_targetILNS1_3genE10ELNS1_11target_archE1200ELNS1_3gpuE4ELNS1_3repE0EEENS1_30default_config_static_selectorELNS0_4arch9wavefront6targetE1EEEvT1_
		.amdhsa_group_segment_fixed_size 0
		.amdhsa_private_segment_fixed_size 0
		.amdhsa_kernarg_size 32
		.amdhsa_user_sgpr_count 6
		.amdhsa_user_sgpr_private_segment_buffer 1
		.amdhsa_user_sgpr_dispatch_ptr 0
		.amdhsa_user_sgpr_queue_ptr 0
		.amdhsa_user_sgpr_kernarg_segment_ptr 1
		.amdhsa_user_sgpr_dispatch_id 0
		.amdhsa_user_sgpr_flat_scratch_init 0
		.amdhsa_user_sgpr_kernarg_preload_length 0
		.amdhsa_user_sgpr_kernarg_preload_offset 0
		.amdhsa_user_sgpr_private_segment_size 0
		.amdhsa_uses_dynamic_stack 0
		.amdhsa_system_sgpr_private_segment_wavefront_offset 0
		.amdhsa_system_sgpr_workgroup_id_x 1
		.amdhsa_system_sgpr_workgroup_id_y 0
		.amdhsa_system_sgpr_workgroup_id_z 0
		.amdhsa_system_sgpr_workgroup_info 0
		.amdhsa_system_vgpr_workitem_id 0
		.amdhsa_next_free_vgpr 1
		.amdhsa_next_free_sgpr 0
		.amdhsa_accum_offset 4
		.amdhsa_reserve_vcc 0
		.amdhsa_reserve_flat_scratch 0
		.amdhsa_float_round_mode_32 0
		.amdhsa_float_round_mode_16_64 0
		.amdhsa_float_denorm_mode_32 3
		.amdhsa_float_denorm_mode_16_64 3
		.amdhsa_dx10_clamp 1
		.amdhsa_ieee_mode 1
		.amdhsa_fp16_overflow 0
		.amdhsa_tg_split 0
		.amdhsa_exception_fp_ieee_invalid_op 0
		.amdhsa_exception_fp_denorm_src 0
		.amdhsa_exception_fp_ieee_div_zero 0
		.amdhsa_exception_fp_ieee_overflow 0
		.amdhsa_exception_fp_ieee_underflow 0
		.amdhsa_exception_fp_ieee_inexact 0
		.amdhsa_exception_int_div_zero 0
	.end_amdhsa_kernel
	.section	.text._ZN7rocprim17ROCPRIM_400000_NS6detail17trampoline_kernelINS0_14default_configENS1_20scan_config_selectorIsEEZZNS1_9scan_implILNS1_25lookback_scan_determinismE0ELb1ELb1ES3_N6thrust23THRUST_200600_302600_NS6detail15normal_iteratorINS9_10device_ptrIsEEEESE_sNS9_4plusIsEEsEEDaPvRmT3_T4_T5_mT6_P12ihipStream_tbENKUlT_T0_E_clISt17integral_constantIbLb0EESU_EEDaSP_SQ_EUlSP_E0_NS1_11comp_targetILNS1_3genE10ELNS1_11target_archE1200ELNS1_3gpuE4ELNS1_3repE0EEENS1_30default_config_static_selectorELNS0_4arch9wavefront6targetE1EEEvT1_,"axG",@progbits,_ZN7rocprim17ROCPRIM_400000_NS6detail17trampoline_kernelINS0_14default_configENS1_20scan_config_selectorIsEEZZNS1_9scan_implILNS1_25lookback_scan_determinismE0ELb1ELb1ES3_N6thrust23THRUST_200600_302600_NS6detail15normal_iteratorINS9_10device_ptrIsEEEESE_sNS9_4plusIsEEsEEDaPvRmT3_T4_T5_mT6_P12ihipStream_tbENKUlT_T0_E_clISt17integral_constantIbLb0EESU_EEDaSP_SQ_EUlSP_E0_NS1_11comp_targetILNS1_3genE10ELNS1_11target_archE1200ELNS1_3gpuE4ELNS1_3repE0EEENS1_30default_config_static_selectorELNS0_4arch9wavefront6targetE1EEEvT1_,comdat
.Lfunc_end1210:
	.size	_ZN7rocprim17ROCPRIM_400000_NS6detail17trampoline_kernelINS0_14default_configENS1_20scan_config_selectorIsEEZZNS1_9scan_implILNS1_25lookback_scan_determinismE0ELb1ELb1ES3_N6thrust23THRUST_200600_302600_NS6detail15normal_iteratorINS9_10device_ptrIsEEEESE_sNS9_4plusIsEEsEEDaPvRmT3_T4_T5_mT6_P12ihipStream_tbENKUlT_T0_E_clISt17integral_constantIbLb0EESU_EEDaSP_SQ_EUlSP_E0_NS1_11comp_targetILNS1_3genE10ELNS1_11target_archE1200ELNS1_3gpuE4ELNS1_3repE0EEENS1_30default_config_static_selectorELNS0_4arch9wavefront6targetE1EEEvT1_, .Lfunc_end1210-_ZN7rocprim17ROCPRIM_400000_NS6detail17trampoline_kernelINS0_14default_configENS1_20scan_config_selectorIsEEZZNS1_9scan_implILNS1_25lookback_scan_determinismE0ELb1ELb1ES3_N6thrust23THRUST_200600_302600_NS6detail15normal_iteratorINS9_10device_ptrIsEEEESE_sNS9_4plusIsEEsEEDaPvRmT3_T4_T5_mT6_P12ihipStream_tbENKUlT_T0_E_clISt17integral_constantIbLb0EESU_EEDaSP_SQ_EUlSP_E0_NS1_11comp_targetILNS1_3genE10ELNS1_11target_archE1200ELNS1_3gpuE4ELNS1_3repE0EEENS1_30default_config_static_selectorELNS0_4arch9wavefront6targetE1EEEvT1_
                                        ; -- End function
	.section	.AMDGPU.csdata,"",@progbits
; Kernel info:
; codeLenInByte = 0
; NumSgprs: 4
; NumVgprs: 0
; NumAgprs: 0
; TotalNumVgprs: 0
; ScratchSize: 0
; MemoryBound: 0
; FloatMode: 240
; IeeeMode: 1
; LDSByteSize: 0 bytes/workgroup (compile time only)
; SGPRBlocks: 0
; VGPRBlocks: 0
; NumSGPRsForWavesPerEU: 4
; NumVGPRsForWavesPerEU: 1
; AccumOffset: 4
; Occupancy: 8
; WaveLimiterHint : 0
; COMPUTE_PGM_RSRC2:SCRATCH_EN: 0
; COMPUTE_PGM_RSRC2:USER_SGPR: 6
; COMPUTE_PGM_RSRC2:TRAP_HANDLER: 0
; COMPUTE_PGM_RSRC2:TGID_X_EN: 1
; COMPUTE_PGM_RSRC2:TGID_Y_EN: 0
; COMPUTE_PGM_RSRC2:TGID_Z_EN: 0
; COMPUTE_PGM_RSRC2:TIDIG_COMP_CNT: 0
; COMPUTE_PGM_RSRC3_GFX90A:ACCUM_OFFSET: 0
; COMPUTE_PGM_RSRC3_GFX90A:TG_SPLIT: 0
	.section	.text._ZN7rocprim17ROCPRIM_400000_NS6detail17trampoline_kernelINS0_14default_configENS1_20scan_config_selectorIsEEZZNS1_9scan_implILNS1_25lookback_scan_determinismE0ELb1ELb1ES3_N6thrust23THRUST_200600_302600_NS6detail15normal_iteratorINS9_10device_ptrIsEEEESE_sNS9_4plusIsEEsEEDaPvRmT3_T4_T5_mT6_P12ihipStream_tbENKUlT_T0_E_clISt17integral_constantIbLb0EESU_EEDaSP_SQ_EUlSP_E0_NS1_11comp_targetILNS1_3genE9ELNS1_11target_archE1100ELNS1_3gpuE3ELNS1_3repE0EEENS1_30default_config_static_selectorELNS0_4arch9wavefront6targetE1EEEvT1_,"axG",@progbits,_ZN7rocprim17ROCPRIM_400000_NS6detail17trampoline_kernelINS0_14default_configENS1_20scan_config_selectorIsEEZZNS1_9scan_implILNS1_25lookback_scan_determinismE0ELb1ELb1ES3_N6thrust23THRUST_200600_302600_NS6detail15normal_iteratorINS9_10device_ptrIsEEEESE_sNS9_4plusIsEEsEEDaPvRmT3_T4_T5_mT6_P12ihipStream_tbENKUlT_T0_E_clISt17integral_constantIbLb0EESU_EEDaSP_SQ_EUlSP_E0_NS1_11comp_targetILNS1_3genE9ELNS1_11target_archE1100ELNS1_3gpuE3ELNS1_3repE0EEENS1_30default_config_static_selectorELNS0_4arch9wavefront6targetE1EEEvT1_,comdat
	.protected	_ZN7rocprim17ROCPRIM_400000_NS6detail17trampoline_kernelINS0_14default_configENS1_20scan_config_selectorIsEEZZNS1_9scan_implILNS1_25lookback_scan_determinismE0ELb1ELb1ES3_N6thrust23THRUST_200600_302600_NS6detail15normal_iteratorINS9_10device_ptrIsEEEESE_sNS9_4plusIsEEsEEDaPvRmT3_T4_T5_mT6_P12ihipStream_tbENKUlT_T0_E_clISt17integral_constantIbLb0EESU_EEDaSP_SQ_EUlSP_E0_NS1_11comp_targetILNS1_3genE9ELNS1_11target_archE1100ELNS1_3gpuE3ELNS1_3repE0EEENS1_30default_config_static_selectorELNS0_4arch9wavefront6targetE1EEEvT1_ ; -- Begin function _ZN7rocprim17ROCPRIM_400000_NS6detail17trampoline_kernelINS0_14default_configENS1_20scan_config_selectorIsEEZZNS1_9scan_implILNS1_25lookback_scan_determinismE0ELb1ELb1ES3_N6thrust23THRUST_200600_302600_NS6detail15normal_iteratorINS9_10device_ptrIsEEEESE_sNS9_4plusIsEEsEEDaPvRmT3_T4_T5_mT6_P12ihipStream_tbENKUlT_T0_E_clISt17integral_constantIbLb0EESU_EEDaSP_SQ_EUlSP_E0_NS1_11comp_targetILNS1_3genE9ELNS1_11target_archE1100ELNS1_3gpuE3ELNS1_3repE0EEENS1_30default_config_static_selectorELNS0_4arch9wavefront6targetE1EEEvT1_
	.globl	_ZN7rocprim17ROCPRIM_400000_NS6detail17trampoline_kernelINS0_14default_configENS1_20scan_config_selectorIsEEZZNS1_9scan_implILNS1_25lookback_scan_determinismE0ELb1ELb1ES3_N6thrust23THRUST_200600_302600_NS6detail15normal_iteratorINS9_10device_ptrIsEEEESE_sNS9_4plusIsEEsEEDaPvRmT3_T4_T5_mT6_P12ihipStream_tbENKUlT_T0_E_clISt17integral_constantIbLb0EESU_EEDaSP_SQ_EUlSP_E0_NS1_11comp_targetILNS1_3genE9ELNS1_11target_archE1100ELNS1_3gpuE3ELNS1_3repE0EEENS1_30default_config_static_selectorELNS0_4arch9wavefront6targetE1EEEvT1_
	.p2align	8
	.type	_ZN7rocprim17ROCPRIM_400000_NS6detail17trampoline_kernelINS0_14default_configENS1_20scan_config_selectorIsEEZZNS1_9scan_implILNS1_25lookback_scan_determinismE0ELb1ELb1ES3_N6thrust23THRUST_200600_302600_NS6detail15normal_iteratorINS9_10device_ptrIsEEEESE_sNS9_4plusIsEEsEEDaPvRmT3_T4_T5_mT6_P12ihipStream_tbENKUlT_T0_E_clISt17integral_constantIbLb0EESU_EEDaSP_SQ_EUlSP_E0_NS1_11comp_targetILNS1_3genE9ELNS1_11target_archE1100ELNS1_3gpuE3ELNS1_3repE0EEENS1_30default_config_static_selectorELNS0_4arch9wavefront6targetE1EEEvT1_,@function
_ZN7rocprim17ROCPRIM_400000_NS6detail17trampoline_kernelINS0_14default_configENS1_20scan_config_selectorIsEEZZNS1_9scan_implILNS1_25lookback_scan_determinismE0ELb1ELb1ES3_N6thrust23THRUST_200600_302600_NS6detail15normal_iteratorINS9_10device_ptrIsEEEESE_sNS9_4plusIsEEsEEDaPvRmT3_T4_T5_mT6_P12ihipStream_tbENKUlT_T0_E_clISt17integral_constantIbLb0EESU_EEDaSP_SQ_EUlSP_E0_NS1_11comp_targetILNS1_3genE9ELNS1_11target_archE1100ELNS1_3gpuE3ELNS1_3repE0EEENS1_30default_config_static_selectorELNS0_4arch9wavefront6targetE1EEEvT1_: ; @_ZN7rocprim17ROCPRIM_400000_NS6detail17trampoline_kernelINS0_14default_configENS1_20scan_config_selectorIsEEZZNS1_9scan_implILNS1_25lookback_scan_determinismE0ELb1ELb1ES3_N6thrust23THRUST_200600_302600_NS6detail15normal_iteratorINS9_10device_ptrIsEEEESE_sNS9_4plusIsEEsEEDaPvRmT3_T4_T5_mT6_P12ihipStream_tbENKUlT_T0_E_clISt17integral_constantIbLb0EESU_EEDaSP_SQ_EUlSP_E0_NS1_11comp_targetILNS1_3genE9ELNS1_11target_archE1100ELNS1_3gpuE3ELNS1_3repE0EEENS1_30default_config_static_selectorELNS0_4arch9wavefront6targetE1EEEvT1_
; %bb.0:
	.section	.rodata,"a",@progbits
	.p2align	6, 0x0
	.amdhsa_kernel _ZN7rocprim17ROCPRIM_400000_NS6detail17trampoline_kernelINS0_14default_configENS1_20scan_config_selectorIsEEZZNS1_9scan_implILNS1_25lookback_scan_determinismE0ELb1ELb1ES3_N6thrust23THRUST_200600_302600_NS6detail15normal_iteratorINS9_10device_ptrIsEEEESE_sNS9_4plusIsEEsEEDaPvRmT3_T4_T5_mT6_P12ihipStream_tbENKUlT_T0_E_clISt17integral_constantIbLb0EESU_EEDaSP_SQ_EUlSP_E0_NS1_11comp_targetILNS1_3genE9ELNS1_11target_archE1100ELNS1_3gpuE3ELNS1_3repE0EEENS1_30default_config_static_selectorELNS0_4arch9wavefront6targetE1EEEvT1_
		.amdhsa_group_segment_fixed_size 0
		.amdhsa_private_segment_fixed_size 0
		.amdhsa_kernarg_size 32
		.amdhsa_user_sgpr_count 6
		.amdhsa_user_sgpr_private_segment_buffer 1
		.amdhsa_user_sgpr_dispatch_ptr 0
		.amdhsa_user_sgpr_queue_ptr 0
		.amdhsa_user_sgpr_kernarg_segment_ptr 1
		.amdhsa_user_sgpr_dispatch_id 0
		.amdhsa_user_sgpr_flat_scratch_init 0
		.amdhsa_user_sgpr_kernarg_preload_length 0
		.amdhsa_user_sgpr_kernarg_preload_offset 0
		.amdhsa_user_sgpr_private_segment_size 0
		.amdhsa_uses_dynamic_stack 0
		.amdhsa_system_sgpr_private_segment_wavefront_offset 0
		.amdhsa_system_sgpr_workgroup_id_x 1
		.amdhsa_system_sgpr_workgroup_id_y 0
		.amdhsa_system_sgpr_workgroup_id_z 0
		.amdhsa_system_sgpr_workgroup_info 0
		.amdhsa_system_vgpr_workitem_id 0
		.amdhsa_next_free_vgpr 1
		.amdhsa_next_free_sgpr 0
		.amdhsa_accum_offset 4
		.amdhsa_reserve_vcc 0
		.amdhsa_reserve_flat_scratch 0
		.amdhsa_float_round_mode_32 0
		.amdhsa_float_round_mode_16_64 0
		.amdhsa_float_denorm_mode_32 3
		.amdhsa_float_denorm_mode_16_64 3
		.amdhsa_dx10_clamp 1
		.amdhsa_ieee_mode 1
		.amdhsa_fp16_overflow 0
		.amdhsa_tg_split 0
		.amdhsa_exception_fp_ieee_invalid_op 0
		.amdhsa_exception_fp_denorm_src 0
		.amdhsa_exception_fp_ieee_div_zero 0
		.amdhsa_exception_fp_ieee_overflow 0
		.amdhsa_exception_fp_ieee_underflow 0
		.amdhsa_exception_fp_ieee_inexact 0
		.amdhsa_exception_int_div_zero 0
	.end_amdhsa_kernel
	.section	.text._ZN7rocprim17ROCPRIM_400000_NS6detail17trampoline_kernelINS0_14default_configENS1_20scan_config_selectorIsEEZZNS1_9scan_implILNS1_25lookback_scan_determinismE0ELb1ELb1ES3_N6thrust23THRUST_200600_302600_NS6detail15normal_iteratorINS9_10device_ptrIsEEEESE_sNS9_4plusIsEEsEEDaPvRmT3_T4_T5_mT6_P12ihipStream_tbENKUlT_T0_E_clISt17integral_constantIbLb0EESU_EEDaSP_SQ_EUlSP_E0_NS1_11comp_targetILNS1_3genE9ELNS1_11target_archE1100ELNS1_3gpuE3ELNS1_3repE0EEENS1_30default_config_static_selectorELNS0_4arch9wavefront6targetE1EEEvT1_,"axG",@progbits,_ZN7rocprim17ROCPRIM_400000_NS6detail17trampoline_kernelINS0_14default_configENS1_20scan_config_selectorIsEEZZNS1_9scan_implILNS1_25lookback_scan_determinismE0ELb1ELb1ES3_N6thrust23THRUST_200600_302600_NS6detail15normal_iteratorINS9_10device_ptrIsEEEESE_sNS9_4plusIsEEsEEDaPvRmT3_T4_T5_mT6_P12ihipStream_tbENKUlT_T0_E_clISt17integral_constantIbLb0EESU_EEDaSP_SQ_EUlSP_E0_NS1_11comp_targetILNS1_3genE9ELNS1_11target_archE1100ELNS1_3gpuE3ELNS1_3repE0EEENS1_30default_config_static_selectorELNS0_4arch9wavefront6targetE1EEEvT1_,comdat
.Lfunc_end1211:
	.size	_ZN7rocprim17ROCPRIM_400000_NS6detail17trampoline_kernelINS0_14default_configENS1_20scan_config_selectorIsEEZZNS1_9scan_implILNS1_25lookback_scan_determinismE0ELb1ELb1ES3_N6thrust23THRUST_200600_302600_NS6detail15normal_iteratorINS9_10device_ptrIsEEEESE_sNS9_4plusIsEEsEEDaPvRmT3_T4_T5_mT6_P12ihipStream_tbENKUlT_T0_E_clISt17integral_constantIbLb0EESU_EEDaSP_SQ_EUlSP_E0_NS1_11comp_targetILNS1_3genE9ELNS1_11target_archE1100ELNS1_3gpuE3ELNS1_3repE0EEENS1_30default_config_static_selectorELNS0_4arch9wavefront6targetE1EEEvT1_, .Lfunc_end1211-_ZN7rocprim17ROCPRIM_400000_NS6detail17trampoline_kernelINS0_14default_configENS1_20scan_config_selectorIsEEZZNS1_9scan_implILNS1_25lookback_scan_determinismE0ELb1ELb1ES3_N6thrust23THRUST_200600_302600_NS6detail15normal_iteratorINS9_10device_ptrIsEEEESE_sNS9_4plusIsEEsEEDaPvRmT3_T4_T5_mT6_P12ihipStream_tbENKUlT_T0_E_clISt17integral_constantIbLb0EESU_EEDaSP_SQ_EUlSP_E0_NS1_11comp_targetILNS1_3genE9ELNS1_11target_archE1100ELNS1_3gpuE3ELNS1_3repE0EEENS1_30default_config_static_selectorELNS0_4arch9wavefront6targetE1EEEvT1_
                                        ; -- End function
	.section	.AMDGPU.csdata,"",@progbits
; Kernel info:
; codeLenInByte = 0
; NumSgprs: 4
; NumVgprs: 0
; NumAgprs: 0
; TotalNumVgprs: 0
; ScratchSize: 0
; MemoryBound: 0
; FloatMode: 240
; IeeeMode: 1
; LDSByteSize: 0 bytes/workgroup (compile time only)
; SGPRBlocks: 0
; VGPRBlocks: 0
; NumSGPRsForWavesPerEU: 4
; NumVGPRsForWavesPerEU: 1
; AccumOffset: 4
; Occupancy: 8
; WaveLimiterHint : 0
; COMPUTE_PGM_RSRC2:SCRATCH_EN: 0
; COMPUTE_PGM_RSRC2:USER_SGPR: 6
; COMPUTE_PGM_RSRC2:TRAP_HANDLER: 0
; COMPUTE_PGM_RSRC2:TGID_X_EN: 1
; COMPUTE_PGM_RSRC2:TGID_Y_EN: 0
; COMPUTE_PGM_RSRC2:TGID_Z_EN: 0
; COMPUTE_PGM_RSRC2:TIDIG_COMP_CNT: 0
; COMPUTE_PGM_RSRC3_GFX90A:ACCUM_OFFSET: 0
; COMPUTE_PGM_RSRC3_GFX90A:TG_SPLIT: 0
	.section	.text._ZN7rocprim17ROCPRIM_400000_NS6detail17trampoline_kernelINS0_14default_configENS1_20scan_config_selectorIsEEZZNS1_9scan_implILNS1_25lookback_scan_determinismE0ELb1ELb1ES3_N6thrust23THRUST_200600_302600_NS6detail15normal_iteratorINS9_10device_ptrIsEEEESE_sNS9_4plusIsEEsEEDaPvRmT3_T4_T5_mT6_P12ihipStream_tbENKUlT_T0_E_clISt17integral_constantIbLb0EESU_EEDaSP_SQ_EUlSP_E0_NS1_11comp_targetILNS1_3genE8ELNS1_11target_archE1030ELNS1_3gpuE2ELNS1_3repE0EEENS1_30default_config_static_selectorELNS0_4arch9wavefront6targetE1EEEvT1_,"axG",@progbits,_ZN7rocprim17ROCPRIM_400000_NS6detail17trampoline_kernelINS0_14default_configENS1_20scan_config_selectorIsEEZZNS1_9scan_implILNS1_25lookback_scan_determinismE0ELb1ELb1ES3_N6thrust23THRUST_200600_302600_NS6detail15normal_iteratorINS9_10device_ptrIsEEEESE_sNS9_4plusIsEEsEEDaPvRmT3_T4_T5_mT6_P12ihipStream_tbENKUlT_T0_E_clISt17integral_constantIbLb0EESU_EEDaSP_SQ_EUlSP_E0_NS1_11comp_targetILNS1_3genE8ELNS1_11target_archE1030ELNS1_3gpuE2ELNS1_3repE0EEENS1_30default_config_static_selectorELNS0_4arch9wavefront6targetE1EEEvT1_,comdat
	.protected	_ZN7rocprim17ROCPRIM_400000_NS6detail17trampoline_kernelINS0_14default_configENS1_20scan_config_selectorIsEEZZNS1_9scan_implILNS1_25lookback_scan_determinismE0ELb1ELb1ES3_N6thrust23THRUST_200600_302600_NS6detail15normal_iteratorINS9_10device_ptrIsEEEESE_sNS9_4plusIsEEsEEDaPvRmT3_T4_T5_mT6_P12ihipStream_tbENKUlT_T0_E_clISt17integral_constantIbLb0EESU_EEDaSP_SQ_EUlSP_E0_NS1_11comp_targetILNS1_3genE8ELNS1_11target_archE1030ELNS1_3gpuE2ELNS1_3repE0EEENS1_30default_config_static_selectorELNS0_4arch9wavefront6targetE1EEEvT1_ ; -- Begin function _ZN7rocprim17ROCPRIM_400000_NS6detail17trampoline_kernelINS0_14default_configENS1_20scan_config_selectorIsEEZZNS1_9scan_implILNS1_25lookback_scan_determinismE0ELb1ELb1ES3_N6thrust23THRUST_200600_302600_NS6detail15normal_iteratorINS9_10device_ptrIsEEEESE_sNS9_4plusIsEEsEEDaPvRmT3_T4_T5_mT6_P12ihipStream_tbENKUlT_T0_E_clISt17integral_constantIbLb0EESU_EEDaSP_SQ_EUlSP_E0_NS1_11comp_targetILNS1_3genE8ELNS1_11target_archE1030ELNS1_3gpuE2ELNS1_3repE0EEENS1_30default_config_static_selectorELNS0_4arch9wavefront6targetE1EEEvT1_
	.globl	_ZN7rocprim17ROCPRIM_400000_NS6detail17trampoline_kernelINS0_14default_configENS1_20scan_config_selectorIsEEZZNS1_9scan_implILNS1_25lookback_scan_determinismE0ELb1ELb1ES3_N6thrust23THRUST_200600_302600_NS6detail15normal_iteratorINS9_10device_ptrIsEEEESE_sNS9_4plusIsEEsEEDaPvRmT3_T4_T5_mT6_P12ihipStream_tbENKUlT_T0_E_clISt17integral_constantIbLb0EESU_EEDaSP_SQ_EUlSP_E0_NS1_11comp_targetILNS1_3genE8ELNS1_11target_archE1030ELNS1_3gpuE2ELNS1_3repE0EEENS1_30default_config_static_selectorELNS0_4arch9wavefront6targetE1EEEvT1_
	.p2align	8
	.type	_ZN7rocprim17ROCPRIM_400000_NS6detail17trampoline_kernelINS0_14default_configENS1_20scan_config_selectorIsEEZZNS1_9scan_implILNS1_25lookback_scan_determinismE0ELb1ELb1ES3_N6thrust23THRUST_200600_302600_NS6detail15normal_iteratorINS9_10device_ptrIsEEEESE_sNS9_4plusIsEEsEEDaPvRmT3_T4_T5_mT6_P12ihipStream_tbENKUlT_T0_E_clISt17integral_constantIbLb0EESU_EEDaSP_SQ_EUlSP_E0_NS1_11comp_targetILNS1_3genE8ELNS1_11target_archE1030ELNS1_3gpuE2ELNS1_3repE0EEENS1_30default_config_static_selectorELNS0_4arch9wavefront6targetE1EEEvT1_,@function
_ZN7rocprim17ROCPRIM_400000_NS6detail17trampoline_kernelINS0_14default_configENS1_20scan_config_selectorIsEEZZNS1_9scan_implILNS1_25lookback_scan_determinismE0ELb1ELb1ES3_N6thrust23THRUST_200600_302600_NS6detail15normal_iteratorINS9_10device_ptrIsEEEESE_sNS9_4plusIsEEsEEDaPvRmT3_T4_T5_mT6_P12ihipStream_tbENKUlT_T0_E_clISt17integral_constantIbLb0EESU_EEDaSP_SQ_EUlSP_E0_NS1_11comp_targetILNS1_3genE8ELNS1_11target_archE1030ELNS1_3gpuE2ELNS1_3repE0EEENS1_30default_config_static_selectorELNS0_4arch9wavefront6targetE1EEEvT1_: ; @_ZN7rocprim17ROCPRIM_400000_NS6detail17trampoline_kernelINS0_14default_configENS1_20scan_config_selectorIsEEZZNS1_9scan_implILNS1_25lookback_scan_determinismE0ELb1ELb1ES3_N6thrust23THRUST_200600_302600_NS6detail15normal_iteratorINS9_10device_ptrIsEEEESE_sNS9_4plusIsEEsEEDaPvRmT3_T4_T5_mT6_P12ihipStream_tbENKUlT_T0_E_clISt17integral_constantIbLb0EESU_EEDaSP_SQ_EUlSP_E0_NS1_11comp_targetILNS1_3genE8ELNS1_11target_archE1030ELNS1_3gpuE2ELNS1_3repE0EEENS1_30default_config_static_selectorELNS0_4arch9wavefront6targetE1EEEvT1_
; %bb.0:
	.section	.rodata,"a",@progbits
	.p2align	6, 0x0
	.amdhsa_kernel _ZN7rocprim17ROCPRIM_400000_NS6detail17trampoline_kernelINS0_14default_configENS1_20scan_config_selectorIsEEZZNS1_9scan_implILNS1_25lookback_scan_determinismE0ELb1ELb1ES3_N6thrust23THRUST_200600_302600_NS6detail15normal_iteratorINS9_10device_ptrIsEEEESE_sNS9_4plusIsEEsEEDaPvRmT3_T4_T5_mT6_P12ihipStream_tbENKUlT_T0_E_clISt17integral_constantIbLb0EESU_EEDaSP_SQ_EUlSP_E0_NS1_11comp_targetILNS1_3genE8ELNS1_11target_archE1030ELNS1_3gpuE2ELNS1_3repE0EEENS1_30default_config_static_selectorELNS0_4arch9wavefront6targetE1EEEvT1_
		.amdhsa_group_segment_fixed_size 0
		.amdhsa_private_segment_fixed_size 0
		.amdhsa_kernarg_size 32
		.amdhsa_user_sgpr_count 6
		.amdhsa_user_sgpr_private_segment_buffer 1
		.amdhsa_user_sgpr_dispatch_ptr 0
		.amdhsa_user_sgpr_queue_ptr 0
		.amdhsa_user_sgpr_kernarg_segment_ptr 1
		.amdhsa_user_sgpr_dispatch_id 0
		.amdhsa_user_sgpr_flat_scratch_init 0
		.amdhsa_user_sgpr_kernarg_preload_length 0
		.amdhsa_user_sgpr_kernarg_preload_offset 0
		.amdhsa_user_sgpr_private_segment_size 0
		.amdhsa_uses_dynamic_stack 0
		.amdhsa_system_sgpr_private_segment_wavefront_offset 0
		.amdhsa_system_sgpr_workgroup_id_x 1
		.amdhsa_system_sgpr_workgroup_id_y 0
		.amdhsa_system_sgpr_workgroup_id_z 0
		.amdhsa_system_sgpr_workgroup_info 0
		.amdhsa_system_vgpr_workitem_id 0
		.amdhsa_next_free_vgpr 1
		.amdhsa_next_free_sgpr 0
		.amdhsa_accum_offset 4
		.amdhsa_reserve_vcc 0
		.amdhsa_reserve_flat_scratch 0
		.amdhsa_float_round_mode_32 0
		.amdhsa_float_round_mode_16_64 0
		.amdhsa_float_denorm_mode_32 3
		.amdhsa_float_denorm_mode_16_64 3
		.amdhsa_dx10_clamp 1
		.amdhsa_ieee_mode 1
		.amdhsa_fp16_overflow 0
		.amdhsa_tg_split 0
		.amdhsa_exception_fp_ieee_invalid_op 0
		.amdhsa_exception_fp_denorm_src 0
		.amdhsa_exception_fp_ieee_div_zero 0
		.amdhsa_exception_fp_ieee_overflow 0
		.amdhsa_exception_fp_ieee_underflow 0
		.amdhsa_exception_fp_ieee_inexact 0
		.amdhsa_exception_int_div_zero 0
	.end_amdhsa_kernel
	.section	.text._ZN7rocprim17ROCPRIM_400000_NS6detail17trampoline_kernelINS0_14default_configENS1_20scan_config_selectorIsEEZZNS1_9scan_implILNS1_25lookback_scan_determinismE0ELb1ELb1ES3_N6thrust23THRUST_200600_302600_NS6detail15normal_iteratorINS9_10device_ptrIsEEEESE_sNS9_4plusIsEEsEEDaPvRmT3_T4_T5_mT6_P12ihipStream_tbENKUlT_T0_E_clISt17integral_constantIbLb0EESU_EEDaSP_SQ_EUlSP_E0_NS1_11comp_targetILNS1_3genE8ELNS1_11target_archE1030ELNS1_3gpuE2ELNS1_3repE0EEENS1_30default_config_static_selectorELNS0_4arch9wavefront6targetE1EEEvT1_,"axG",@progbits,_ZN7rocprim17ROCPRIM_400000_NS6detail17trampoline_kernelINS0_14default_configENS1_20scan_config_selectorIsEEZZNS1_9scan_implILNS1_25lookback_scan_determinismE0ELb1ELb1ES3_N6thrust23THRUST_200600_302600_NS6detail15normal_iteratorINS9_10device_ptrIsEEEESE_sNS9_4plusIsEEsEEDaPvRmT3_T4_T5_mT6_P12ihipStream_tbENKUlT_T0_E_clISt17integral_constantIbLb0EESU_EEDaSP_SQ_EUlSP_E0_NS1_11comp_targetILNS1_3genE8ELNS1_11target_archE1030ELNS1_3gpuE2ELNS1_3repE0EEENS1_30default_config_static_selectorELNS0_4arch9wavefront6targetE1EEEvT1_,comdat
.Lfunc_end1212:
	.size	_ZN7rocprim17ROCPRIM_400000_NS6detail17trampoline_kernelINS0_14default_configENS1_20scan_config_selectorIsEEZZNS1_9scan_implILNS1_25lookback_scan_determinismE0ELb1ELb1ES3_N6thrust23THRUST_200600_302600_NS6detail15normal_iteratorINS9_10device_ptrIsEEEESE_sNS9_4plusIsEEsEEDaPvRmT3_T4_T5_mT6_P12ihipStream_tbENKUlT_T0_E_clISt17integral_constantIbLb0EESU_EEDaSP_SQ_EUlSP_E0_NS1_11comp_targetILNS1_3genE8ELNS1_11target_archE1030ELNS1_3gpuE2ELNS1_3repE0EEENS1_30default_config_static_selectorELNS0_4arch9wavefront6targetE1EEEvT1_, .Lfunc_end1212-_ZN7rocprim17ROCPRIM_400000_NS6detail17trampoline_kernelINS0_14default_configENS1_20scan_config_selectorIsEEZZNS1_9scan_implILNS1_25lookback_scan_determinismE0ELb1ELb1ES3_N6thrust23THRUST_200600_302600_NS6detail15normal_iteratorINS9_10device_ptrIsEEEESE_sNS9_4plusIsEEsEEDaPvRmT3_T4_T5_mT6_P12ihipStream_tbENKUlT_T0_E_clISt17integral_constantIbLb0EESU_EEDaSP_SQ_EUlSP_E0_NS1_11comp_targetILNS1_3genE8ELNS1_11target_archE1030ELNS1_3gpuE2ELNS1_3repE0EEENS1_30default_config_static_selectorELNS0_4arch9wavefront6targetE1EEEvT1_
                                        ; -- End function
	.section	.AMDGPU.csdata,"",@progbits
; Kernel info:
; codeLenInByte = 0
; NumSgprs: 4
; NumVgprs: 0
; NumAgprs: 0
; TotalNumVgprs: 0
; ScratchSize: 0
; MemoryBound: 0
; FloatMode: 240
; IeeeMode: 1
; LDSByteSize: 0 bytes/workgroup (compile time only)
; SGPRBlocks: 0
; VGPRBlocks: 0
; NumSGPRsForWavesPerEU: 4
; NumVGPRsForWavesPerEU: 1
; AccumOffset: 4
; Occupancy: 8
; WaveLimiterHint : 0
; COMPUTE_PGM_RSRC2:SCRATCH_EN: 0
; COMPUTE_PGM_RSRC2:USER_SGPR: 6
; COMPUTE_PGM_RSRC2:TRAP_HANDLER: 0
; COMPUTE_PGM_RSRC2:TGID_X_EN: 1
; COMPUTE_PGM_RSRC2:TGID_Y_EN: 0
; COMPUTE_PGM_RSRC2:TGID_Z_EN: 0
; COMPUTE_PGM_RSRC2:TIDIG_COMP_CNT: 0
; COMPUTE_PGM_RSRC3_GFX90A:ACCUM_OFFSET: 0
; COMPUTE_PGM_RSRC3_GFX90A:TG_SPLIT: 0
	.section	.text._ZN7rocprim17ROCPRIM_400000_NS6detail17trampoline_kernelINS0_14default_configENS1_20scan_config_selectorIsEEZZNS1_9scan_implILNS1_25lookback_scan_determinismE0ELb1ELb1ES3_N6thrust23THRUST_200600_302600_NS6detail15normal_iteratorINS9_10device_ptrIsEEEESE_sNS9_4plusIsEEsEEDaPvRmT3_T4_T5_mT6_P12ihipStream_tbENKUlT_T0_E_clISt17integral_constantIbLb1EESU_EEDaSP_SQ_EUlSP_E_NS1_11comp_targetILNS1_3genE0ELNS1_11target_archE4294967295ELNS1_3gpuE0ELNS1_3repE0EEENS1_30default_config_static_selectorELNS0_4arch9wavefront6targetE1EEEvT1_,"axG",@progbits,_ZN7rocprim17ROCPRIM_400000_NS6detail17trampoline_kernelINS0_14default_configENS1_20scan_config_selectorIsEEZZNS1_9scan_implILNS1_25lookback_scan_determinismE0ELb1ELb1ES3_N6thrust23THRUST_200600_302600_NS6detail15normal_iteratorINS9_10device_ptrIsEEEESE_sNS9_4plusIsEEsEEDaPvRmT3_T4_T5_mT6_P12ihipStream_tbENKUlT_T0_E_clISt17integral_constantIbLb1EESU_EEDaSP_SQ_EUlSP_E_NS1_11comp_targetILNS1_3genE0ELNS1_11target_archE4294967295ELNS1_3gpuE0ELNS1_3repE0EEENS1_30default_config_static_selectorELNS0_4arch9wavefront6targetE1EEEvT1_,comdat
	.protected	_ZN7rocprim17ROCPRIM_400000_NS6detail17trampoline_kernelINS0_14default_configENS1_20scan_config_selectorIsEEZZNS1_9scan_implILNS1_25lookback_scan_determinismE0ELb1ELb1ES3_N6thrust23THRUST_200600_302600_NS6detail15normal_iteratorINS9_10device_ptrIsEEEESE_sNS9_4plusIsEEsEEDaPvRmT3_T4_T5_mT6_P12ihipStream_tbENKUlT_T0_E_clISt17integral_constantIbLb1EESU_EEDaSP_SQ_EUlSP_E_NS1_11comp_targetILNS1_3genE0ELNS1_11target_archE4294967295ELNS1_3gpuE0ELNS1_3repE0EEENS1_30default_config_static_selectorELNS0_4arch9wavefront6targetE1EEEvT1_ ; -- Begin function _ZN7rocprim17ROCPRIM_400000_NS6detail17trampoline_kernelINS0_14default_configENS1_20scan_config_selectorIsEEZZNS1_9scan_implILNS1_25lookback_scan_determinismE0ELb1ELb1ES3_N6thrust23THRUST_200600_302600_NS6detail15normal_iteratorINS9_10device_ptrIsEEEESE_sNS9_4plusIsEEsEEDaPvRmT3_T4_T5_mT6_P12ihipStream_tbENKUlT_T0_E_clISt17integral_constantIbLb1EESU_EEDaSP_SQ_EUlSP_E_NS1_11comp_targetILNS1_3genE0ELNS1_11target_archE4294967295ELNS1_3gpuE0ELNS1_3repE0EEENS1_30default_config_static_selectorELNS0_4arch9wavefront6targetE1EEEvT1_
	.globl	_ZN7rocprim17ROCPRIM_400000_NS6detail17trampoline_kernelINS0_14default_configENS1_20scan_config_selectorIsEEZZNS1_9scan_implILNS1_25lookback_scan_determinismE0ELb1ELb1ES3_N6thrust23THRUST_200600_302600_NS6detail15normal_iteratorINS9_10device_ptrIsEEEESE_sNS9_4plusIsEEsEEDaPvRmT3_T4_T5_mT6_P12ihipStream_tbENKUlT_T0_E_clISt17integral_constantIbLb1EESU_EEDaSP_SQ_EUlSP_E_NS1_11comp_targetILNS1_3genE0ELNS1_11target_archE4294967295ELNS1_3gpuE0ELNS1_3repE0EEENS1_30default_config_static_selectorELNS0_4arch9wavefront6targetE1EEEvT1_
	.p2align	8
	.type	_ZN7rocprim17ROCPRIM_400000_NS6detail17trampoline_kernelINS0_14default_configENS1_20scan_config_selectorIsEEZZNS1_9scan_implILNS1_25lookback_scan_determinismE0ELb1ELb1ES3_N6thrust23THRUST_200600_302600_NS6detail15normal_iteratorINS9_10device_ptrIsEEEESE_sNS9_4plusIsEEsEEDaPvRmT3_T4_T5_mT6_P12ihipStream_tbENKUlT_T0_E_clISt17integral_constantIbLb1EESU_EEDaSP_SQ_EUlSP_E_NS1_11comp_targetILNS1_3genE0ELNS1_11target_archE4294967295ELNS1_3gpuE0ELNS1_3repE0EEENS1_30default_config_static_selectorELNS0_4arch9wavefront6targetE1EEEvT1_,@function
_ZN7rocprim17ROCPRIM_400000_NS6detail17trampoline_kernelINS0_14default_configENS1_20scan_config_selectorIsEEZZNS1_9scan_implILNS1_25lookback_scan_determinismE0ELb1ELb1ES3_N6thrust23THRUST_200600_302600_NS6detail15normal_iteratorINS9_10device_ptrIsEEEESE_sNS9_4plusIsEEsEEDaPvRmT3_T4_T5_mT6_P12ihipStream_tbENKUlT_T0_E_clISt17integral_constantIbLb1EESU_EEDaSP_SQ_EUlSP_E_NS1_11comp_targetILNS1_3genE0ELNS1_11target_archE4294967295ELNS1_3gpuE0ELNS1_3repE0EEENS1_30default_config_static_selectorELNS0_4arch9wavefront6targetE1EEEvT1_: ; @_ZN7rocprim17ROCPRIM_400000_NS6detail17trampoline_kernelINS0_14default_configENS1_20scan_config_selectorIsEEZZNS1_9scan_implILNS1_25lookback_scan_determinismE0ELb1ELb1ES3_N6thrust23THRUST_200600_302600_NS6detail15normal_iteratorINS9_10device_ptrIsEEEESE_sNS9_4plusIsEEsEEDaPvRmT3_T4_T5_mT6_P12ihipStream_tbENKUlT_T0_E_clISt17integral_constantIbLb1EESU_EEDaSP_SQ_EUlSP_E_NS1_11comp_targetILNS1_3genE0ELNS1_11target_archE4294967295ELNS1_3gpuE0ELNS1_3repE0EEENS1_30default_config_static_selectorELNS0_4arch9wavefront6targetE1EEEvT1_
; %bb.0:
	.section	.rodata,"a",@progbits
	.p2align	6, 0x0
	.amdhsa_kernel _ZN7rocprim17ROCPRIM_400000_NS6detail17trampoline_kernelINS0_14default_configENS1_20scan_config_selectorIsEEZZNS1_9scan_implILNS1_25lookback_scan_determinismE0ELb1ELb1ES3_N6thrust23THRUST_200600_302600_NS6detail15normal_iteratorINS9_10device_ptrIsEEEESE_sNS9_4plusIsEEsEEDaPvRmT3_T4_T5_mT6_P12ihipStream_tbENKUlT_T0_E_clISt17integral_constantIbLb1EESU_EEDaSP_SQ_EUlSP_E_NS1_11comp_targetILNS1_3genE0ELNS1_11target_archE4294967295ELNS1_3gpuE0ELNS1_3repE0EEENS1_30default_config_static_selectorELNS0_4arch9wavefront6targetE1EEEvT1_
		.amdhsa_group_segment_fixed_size 0
		.amdhsa_private_segment_fixed_size 0
		.amdhsa_kernarg_size 96
		.amdhsa_user_sgpr_count 6
		.amdhsa_user_sgpr_private_segment_buffer 1
		.amdhsa_user_sgpr_dispatch_ptr 0
		.amdhsa_user_sgpr_queue_ptr 0
		.amdhsa_user_sgpr_kernarg_segment_ptr 1
		.amdhsa_user_sgpr_dispatch_id 0
		.amdhsa_user_sgpr_flat_scratch_init 0
		.amdhsa_user_sgpr_kernarg_preload_length 0
		.amdhsa_user_sgpr_kernarg_preload_offset 0
		.amdhsa_user_sgpr_private_segment_size 0
		.amdhsa_uses_dynamic_stack 0
		.amdhsa_system_sgpr_private_segment_wavefront_offset 0
		.amdhsa_system_sgpr_workgroup_id_x 1
		.amdhsa_system_sgpr_workgroup_id_y 0
		.amdhsa_system_sgpr_workgroup_id_z 0
		.amdhsa_system_sgpr_workgroup_info 0
		.amdhsa_system_vgpr_workitem_id 0
		.amdhsa_next_free_vgpr 1
		.amdhsa_next_free_sgpr 0
		.amdhsa_accum_offset 4
		.amdhsa_reserve_vcc 0
		.amdhsa_reserve_flat_scratch 0
		.amdhsa_float_round_mode_32 0
		.amdhsa_float_round_mode_16_64 0
		.amdhsa_float_denorm_mode_32 3
		.amdhsa_float_denorm_mode_16_64 3
		.amdhsa_dx10_clamp 1
		.amdhsa_ieee_mode 1
		.amdhsa_fp16_overflow 0
		.amdhsa_tg_split 0
		.amdhsa_exception_fp_ieee_invalid_op 0
		.amdhsa_exception_fp_denorm_src 0
		.amdhsa_exception_fp_ieee_div_zero 0
		.amdhsa_exception_fp_ieee_overflow 0
		.amdhsa_exception_fp_ieee_underflow 0
		.amdhsa_exception_fp_ieee_inexact 0
		.amdhsa_exception_int_div_zero 0
	.end_amdhsa_kernel
	.section	.text._ZN7rocprim17ROCPRIM_400000_NS6detail17trampoline_kernelINS0_14default_configENS1_20scan_config_selectorIsEEZZNS1_9scan_implILNS1_25lookback_scan_determinismE0ELb1ELb1ES3_N6thrust23THRUST_200600_302600_NS6detail15normal_iteratorINS9_10device_ptrIsEEEESE_sNS9_4plusIsEEsEEDaPvRmT3_T4_T5_mT6_P12ihipStream_tbENKUlT_T0_E_clISt17integral_constantIbLb1EESU_EEDaSP_SQ_EUlSP_E_NS1_11comp_targetILNS1_3genE0ELNS1_11target_archE4294967295ELNS1_3gpuE0ELNS1_3repE0EEENS1_30default_config_static_selectorELNS0_4arch9wavefront6targetE1EEEvT1_,"axG",@progbits,_ZN7rocprim17ROCPRIM_400000_NS6detail17trampoline_kernelINS0_14default_configENS1_20scan_config_selectorIsEEZZNS1_9scan_implILNS1_25lookback_scan_determinismE0ELb1ELb1ES3_N6thrust23THRUST_200600_302600_NS6detail15normal_iteratorINS9_10device_ptrIsEEEESE_sNS9_4plusIsEEsEEDaPvRmT3_T4_T5_mT6_P12ihipStream_tbENKUlT_T0_E_clISt17integral_constantIbLb1EESU_EEDaSP_SQ_EUlSP_E_NS1_11comp_targetILNS1_3genE0ELNS1_11target_archE4294967295ELNS1_3gpuE0ELNS1_3repE0EEENS1_30default_config_static_selectorELNS0_4arch9wavefront6targetE1EEEvT1_,comdat
.Lfunc_end1213:
	.size	_ZN7rocprim17ROCPRIM_400000_NS6detail17trampoline_kernelINS0_14default_configENS1_20scan_config_selectorIsEEZZNS1_9scan_implILNS1_25lookback_scan_determinismE0ELb1ELb1ES3_N6thrust23THRUST_200600_302600_NS6detail15normal_iteratorINS9_10device_ptrIsEEEESE_sNS9_4plusIsEEsEEDaPvRmT3_T4_T5_mT6_P12ihipStream_tbENKUlT_T0_E_clISt17integral_constantIbLb1EESU_EEDaSP_SQ_EUlSP_E_NS1_11comp_targetILNS1_3genE0ELNS1_11target_archE4294967295ELNS1_3gpuE0ELNS1_3repE0EEENS1_30default_config_static_selectorELNS0_4arch9wavefront6targetE1EEEvT1_, .Lfunc_end1213-_ZN7rocprim17ROCPRIM_400000_NS6detail17trampoline_kernelINS0_14default_configENS1_20scan_config_selectorIsEEZZNS1_9scan_implILNS1_25lookback_scan_determinismE0ELb1ELb1ES3_N6thrust23THRUST_200600_302600_NS6detail15normal_iteratorINS9_10device_ptrIsEEEESE_sNS9_4plusIsEEsEEDaPvRmT3_T4_T5_mT6_P12ihipStream_tbENKUlT_T0_E_clISt17integral_constantIbLb1EESU_EEDaSP_SQ_EUlSP_E_NS1_11comp_targetILNS1_3genE0ELNS1_11target_archE4294967295ELNS1_3gpuE0ELNS1_3repE0EEENS1_30default_config_static_selectorELNS0_4arch9wavefront6targetE1EEEvT1_
                                        ; -- End function
	.section	.AMDGPU.csdata,"",@progbits
; Kernel info:
; codeLenInByte = 0
; NumSgprs: 4
; NumVgprs: 0
; NumAgprs: 0
; TotalNumVgprs: 0
; ScratchSize: 0
; MemoryBound: 0
; FloatMode: 240
; IeeeMode: 1
; LDSByteSize: 0 bytes/workgroup (compile time only)
; SGPRBlocks: 0
; VGPRBlocks: 0
; NumSGPRsForWavesPerEU: 4
; NumVGPRsForWavesPerEU: 1
; AccumOffset: 4
; Occupancy: 8
; WaveLimiterHint : 0
; COMPUTE_PGM_RSRC2:SCRATCH_EN: 0
; COMPUTE_PGM_RSRC2:USER_SGPR: 6
; COMPUTE_PGM_RSRC2:TRAP_HANDLER: 0
; COMPUTE_PGM_RSRC2:TGID_X_EN: 1
; COMPUTE_PGM_RSRC2:TGID_Y_EN: 0
; COMPUTE_PGM_RSRC2:TGID_Z_EN: 0
; COMPUTE_PGM_RSRC2:TIDIG_COMP_CNT: 0
; COMPUTE_PGM_RSRC3_GFX90A:ACCUM_OFFSET: 0
; COMPUTE_PGM_RSRC3_GFX90A:TG_SPLIT: 0
	.section	.text._ZN7rocprim17ROCPRIM_400000_NS6detail17trampoline_kernelINS0_14default_configENS1_20scan_config_selectorIsEEZZNS1_9scan_implILNS1_25lookback_scan_determinismE0ELb1ELb1ES3_N6thrust23THRUST_200600_302600_NS6detail15normal_iteratorINS9_10device_ptrIsEEEESE_sNS9_4plusIsEEsEEDaPvRmT3_T4_T5_mT6_P12ihipStream_tbENKUlT_T0_E_clISt17integral_constantIbLb1EESU_EEDaSP_SQ_EUlSP_E_NS1_11comp_targetILNS1_3genE5ELNS1_11target_archE942ELNS1_3gpuE9ELNS1_3repE0EEENS1_30default_config_static_selectorELNS0_4arch9wavefront6targetE1EEEvT1_,"axG",@progbits,_ZN7rocprim17ROCPRIM_400000_NS6detail17trampoline_kernelINS0_14default_configENS1_20scan_config_selectorIsEEZZNS1_9scan_implILNS1_25lookback_scan_determinismE0ELb1ELb1ES3_N6thrust23THRUST_200600_302600_NS6detail15normal_iteratorINS9_10device_ptrIsEEEESE_sNS9_4plusIsEEsEEDaPvRmT3_T4_T5_mT6_P12ihipStream_tbENKUlT_T0_E_clISt17integral_constantIbLb1EESU_EEDaSP_SQ_EUlSP_E_NS1_11comp_targetILNS1_3genE5ELNS1_11target_archE942ELNS1_3gpuE9ELNS1_3repE0EEENS1_30default_config_static_selectorELNS0_4arch9wavefront6targetE1EEEvT1_,comdat
	.protected	_ZN7rocprim17ROCPRIM_400000_NS6detail17trampoline_kernelINS0_14default_configENS1_20scan_config_selectorIsEEZZNS1_9scan_implILNS1_25lookback_scan_determinismE0ELb1ELb1ES3_N6thrust23THRUST_200600_302600_NS6detail15normal_iteratorINS9_10device_ptrIsEEEESE_sNS9_4plusIsEEsEEDaPvRmT3_T4_T5_mT6_P12ihipStream_tbENKUlT_T0_E_clISt17integral_constantIbLb1EESU_EEDaSP_SQ_EUlSP_E_NS1_11comp_targetILNS1_3genE5ELNS1_11target_archE942ELNS1_3gpuE9ELNS1_3repE0EEENS1_30default_config_static_selectorELNS0_4arch9wavefront6targetE1EEEvT1_ ; -- Begin function _ZN7rocprim17ROCPRIM_400000_NS6detail17trampoline_kernelINS0_14default_configENS1_20scan_config_selectorIsEEZZNS1_9scan_implILNS1_25lookback_scan_determinismE0ELb1ELb1ES3_N6thrust23THRUST_200600_302600_NS6detail15normal_iteratorINS9_10device_ptrIsEEEESE_sNS9_4plusIsEEsEEDaPvRmT3_T4_T5_mT6_P12ihipStream_tbENKUlT_T0_E_clISt17integral_constantIbLb1EESU_EEDaSP_SQ_EUlSP_E_NS1_11comp_targetILNS1_3genE5ELNS1_11target_archE942ELNS1_3gpuE9ELNS1_3repE0EEENS1_30default_config_static_selectorELNS0_4arch9wavefront6targetE1EEEvT1_
	.globl	_ZN7rocprim17ROCPRIM_400000_NS6detail17trampoline_kernelINS0_14default_configENS1_20scan_config_selectorIsEEZZNS1_9scan_implILNS1_25lookback_scan_determinismE0ELb1ELb1ES3_N6thrust23THRUST_200600_302600_NS6detail15normal_iteratorINS9_10device_ptrIsEEEESE_sNS9_4plusIsEEsEEDaPvRmT3_T4_T5_mT6_P12ihipStream_tbENKUlT_T0_E_clISt17integral_constantIbLb1EESU_EEDaSP_SQ_EUlSP_E_NS1_11comp_targetILNS1_3genE5ELNS1_11target_archE942ELNS1_3gpuE9ELNS1_3repE0EEENS1_30default_config_static_selectorELNS0_4arch9wavefront6targetE1EEEvT1_
	.p2align	8
	.type	_ZN7rocprim17ROCPRIM_400000_NS6detail17trampoline_kernelINS0_14default_configENS1_20scan_config_selectorIsEEZZNS1_9scan_implILNS1_25lookback_scan_determinismE0ELb1ELb1ES3_N6thrust23THRUST_200600_302600_NS6detail15normal_iteratorINS9_10device_ptrIsEEEESE_sNS9_4plusIsEEsEEDaPvRmT3_T4_T5_mT6_P12ihipStream_tbENKUlT_T0_E_clISt17integral_constantIbLb1EESU_EEDaSP_SQ_EUlSP_E_NS1_11comp_targetILNS1_3genE5ELNS1_11target_archE942ELNS1_3gpuE9ELNS1_3repE0EEENS1_30default_config_static_selectorELNS0_4arch9wavefront6targetE1EEEvT1_,@function
_ZN7rocprim17ROCPRIM_400000_NS6detail17trampoline_kernelINS0_14default_configENS1_20scan_config_selectorIsEEZZNS1_9scan_implILNS1_25lookback_scan_determinismE0ELb1ELb1ES3_N6thrust23THRUST_200600_302600_NS6detail15normal_iteratorINS9_10device_ptrIsEEEESE_sNS9_4plusIsEEsEEDaPvRmT3_T4_T5_mT6_P12ihipStream_tbENKUlT_T0_E_clISt17integral_constantIbLb1EESU_EEDaSP_SQ_EUlSP_E_NS1_11comp_targetILNS1_3genE5ELNS1_11target_archE942ELNS1_3gpuE9ELNS1_3repE0EEENS1_30default_config_static_selectorELNS0_4arch9wavefront6targetE1EEEvT1_: ; @_ZN7rocprim17ROCPRIM_400000_NS6detail17trampoline_kernelINS0_14default_configENS1_20scan_config_selectorIsEEZZNS1_9scan_implILNS1_25lookback_scan_determinismE0ELb1ELb1ES3_N6thrust23THRUST_200600_302600_NS6detail15normal_iteratorINS9_10device_ptrIsEEEESE_sNS9_4plusIsEEsEEDaPvRmT3_T4_T5_mT6_P12ihipStream_tbENKUlT_T0_E_clISt17integral_constantIbLb1EESU_EEDaSP_SQ_EUlSP_E_NS1_11comp_targetILNS1_3genE5ELNS1_11target_archE942ELNS1_3gpuE9ELNS1_3repE0EEENS1_30default_config_static_selectorELNS0_4arch9wavefront6targetE1EEEvT1_
; %bb.0:
	.section	.rodata,"a",@progbits
	.p2align	6, 0x0
	.amdhsa_kernel _ZN7rocprim17ROCPRIM_400000_NS6detail17trampoline_kernelINS0_14default_configENS1_20scan_config_selectorIsEEZZNS1_9scan_implILNS1_25lookback_scan_determinismE0ELb1ELb1ES3_N6thrust23THRUST_200600_302600_NS6detail15normal_iteratorINS9_10device_ptrIsEEEESE_sNS9_4plusIsEEsEEDaPvRmT3_T4_T5_mT6_P12ihipStream_tbENKUlT_T0_E_clISt17integral_constantIbLb1EESU_EEDaSP_SQ_EUlSP_E_NS1_11comp_targetILNS1_3genE5ELNS1_11target_archE942ELNS1_3gpuE9ELNS1_3repE0EEENS1_30default_config_static_selectorELNS0_4arch9wavefront6targetE1EEEvT1_
		.amdhsa_group_segment_fixed_size 0
		.amdhsa_private_segment_fixed_size 0
		.amdhsa_kernarg_size 96
		.amdhsa_user_sgpr_count 6
		.amdhsa_user_sgpr_private_segment_buffer 1
		.amdhsa_user_sgpr_dispatch_ptr 0
		.amdhsa_user_sgpr_queue_ptr 0
		.amdhsa_user_sgpr_kernarg_segment_ptr 1
		.amdhsa_user_sgpr_dispatch_id 0
		.amdhsa_user_sgpr_flat_scratch_init 0
		.amdhsa_user_sgpr_kernarg_preload_length 0
		.amdhsa_user_sgpr_kernarg_preload_offset 0
		.amdhsa_user_sgpr_private_segment_size 0
		.amdhsa_uses_dynamic_stack 0
		.amdhsa_system_sgpr_private_segment_wavefront_offset 0
		.amdhsa_system_sgpr_workgroup_id_x 1
		.amdhsa_system_sgpr_workgroup_id_y 0
		.amdhsa_system_sgpr_workgroup_id_z 0
		.amdhsa_system_sgpr_workgroup_info 0
		.amdhsa_system_vgpr_workitem_id 0
		.amdhsa_next_free_vgpr 1
		.amdhsa_next_free_sgpr 0
		.amdhsa_accum_offset 4
		.amdhsa_reserve_vcc 0
		.amdhsa_reserve_flat_scratch 0
		.amdhsa_float_round_mode_32 0
		.amdhsa_float_round_mode_16_64 0
		.amdhsa_float_denorm_mode_32 3
		.amdhsa_float_denorm_mode_16_64 3
		.amdhsa_dx10_clamp 1
		.amdhsa_ieee_mode 1
		.amdhsa_fp16_overflow 0
		.amdhsa_tg_split 0
		.amdhsa_exception_fp_ieee_invalid_op 0
		.amdhsa_exception_fp_denorm_src 0
		.amdhsa_exception_fp_ieee_div_zero 0
		.amdhsa_exception_fp_ieee_overflow 0
		.amdhsa_exception_fp_ieee_underflow 0
		.amdhsa_exception_fp_ieee_inexact 0
		.amdhsa_exception_int_div_zero 0
	.end_amdhsa_kernel
	.section	.text._ZN7rocprim17ROCPRIM_400000_NS6detail17trampoline_kernelINS0_14default_configENS1_20scan_config_selectorIsEEZZNS1_9scan_implILNS1_25lookback_scan_determinismE0ELb1ELb1ES3_N6thrust23THRUST_200600_302600_NS6detail15normal_iteratorINS9_10device_ptrIsEEEESE_sNS9_4plusIsEEsEEDaPvRmT3_T4_T5_mT6_P12ihipStream_tbENKUlT_T0_E_clISt17integral_constantIbLb1EESU_EEDaSP_SQ_EUlSP_E_NS1_11comp_targetILNS1_3genE5ELNS1_11target_archE942ELNS1_3gpuE9ELNS1_3repE0EEENS1_30default_config_static_selectorELNS0_4arch9wavefront6targetE1EEEvT1_,"axG",@progbits,_ZN7rocprim17ROCPRIM_400000_NS6detail17trampoline_kernelINS0_14default_configENS1_20scan_config_selectorIsEEZZNS1_9scan_implILNS1_25lookback_scan_determinismE0ELb1ELb1ES3_N6thrust23THRUST_200600_302600_NS6detail15normal_iteratorINS9_10device_ptrIsEEEESE_sNS9_4plusIsEEsEEDaPvRmT3_T4_T5_mT6_P12ihipStream_tbENKUlT_T0_E_clISt17integral_constantIbLb1EESU_EEDaSP_SQ_EUlSP_E_NS1_11comp_targetILNS1_3genE5ELNS1_11target_archE942ELNS1_3gpuE9ELNS1_3repE0EEENS1_30default_config_static_selectorELNS0_4arch9wavefront6targetE1EEEvT1_,comdat
.Lfunc_end1214:
	.size	_ZN7rocprim17ROCPRIM_400000_NS6detail17trampoline_kernelINS0_14default_configENS1_20scan_config_selectorIsEEZZNS1_9scan_implILNS1_25lookback_scan_determinismE0ELb1ELb1ES3_N6thrust23THRUST_200600_302600_NS6detail15normal_iteratorINS9_10device_ptrIsEEEESE_sNS9_4plusIsEEsEEDaPvRmT3_T4_T5_mT6_P12ihipStream_tbENKUlT_T0_E_clISt17integral_constantIbLb1EESU_EEDaSP_SQ_EUlSP_E_NS1_11comp_targetILNS1_3genE5ELNS1_11target_archE942ELNS1_3gpuE9ELNS1_3repE0EEENS1_30default_config_static_selectorELNS0_4arch9wavefront6targetE1EEEvT1_, .Lfunc_end1214-_ZN7rocprim17ROCPRIM_400000_NS6detail17trampoline_kernelINS0_14default_configENS1_20scan_config_selectorIsEEZZNS1_9scan_implILNS1_25lookback_scan_determinismE0ELb1ELb1ES3_N6thrust23THRUST_200600_302600_NS6detail15normal_iteratorINS9_10device_ptrIsEEEESE_sNS9_4plusIsEEsEEDaPvRmT3_T4_T5_mT6_P12ihipStream_tbENKUlT_T0_E_clISt17integral_constantIbLb1EESU_EEDaSP_SQ_EUlSP_E_NS1_11comp_targetILNS1_3genE5ELNS1_11target_archE942ELNS1_3gpuE9ELNS1_3repE0EEENS1_30default_config_static_selectorELNS0_4arch9wavefront6targetE1EEEvT1_
                                        ; -- End function
	.section	.AMDGPU.csdata,"",@progbits
; Kernel info:
; codeLenInByte = 0
; NumSgprs: 4
; NumVgprs: 0
; NumAgprs: 0
; TotalNumVgprs: 0
; ScratchSize: 0
; MemoryBound: 0
; FloatMode: 240
; IeeeMode: 1
; LDSByteSize: 0 bytes/workgroup (compile time only)
; SGPRBlocks: 0
; VGPRBlocks: 0
; NumSGPRsForWavesPerEU: 4
; NumVGPRsForWavesPerEU: 1
; AccumOffset: 4
; Occupancy: 8
; WaveLimiterHint : 0
; COMPUTE_PGM_RSRC2:SCRATCH_EN: 0
; COMPUTE_PGM_RSRC2:USER_SGPR: 6
; COMPUTE_PGM_RSRC2:TRAP_HANDLER: 0
; COMPUTE_PGM_RSRC2:TGID_X_EN: 1
; COMPUTE_PGM_RSRC2:TGID_Y_EN: 0
; COMPUTE_PGM_RSRC2:TGID_Z_EN: 0
; COMPUTE_PGM_RSRC2:TIDIG_COMP_CNT: 0
; COMPUTE_PGM_RSRC3_GFX90A:ACCUM_OFFSET: 0
; COMPUTE_PGM_RSRC3_GFX90A:TG_SPLIT: 0
	.section	.text._ZN7rocprim17ROCPRIM_400000_NS6detail17trampoline_kernelINS0_14default_configENS1_20scan_config_selectorIsEEZZNS1_9scan_implILNS1_25lookback_scan_determinismE0ELb1ELb1ES3_N6thrust23THRUST_200600_302600_NS6detail15normal_iteratorINS9_10device_ptrIsEEEESE_sNS9_4plusIsEEsEEDaPvRmT3_T4_T5_mT6_P12ihipStream_tbENKUlT_T0_E_clISt17integral_constantIbLb1EESU_EEDaSP_SQ_EUlSP_E_NS1_11comp_targetILNS1_3genE4ELNS1_11target_archE910ELNS1_3gpuE8ELNS1_3repE0EEENS1_30default_config_static_selectorELNS0_4arch9wavefront6targetE1EEEvT1_,"axG",@progbits,_ZN7rocprim17ROCPRIM_400000_NS6detail17trampoline_kernelINS0_14default_configENS1_20scan_config_selectorIsEEZZNS1_9scan_implILNS1_25lookback_scan_determinismE0ELb1ELb1ES3_N6thrust23THRUST_200600_302600_NS6detail15normal_iteratorINS9_10device_ptrIsEEEESE_sNS9_4plusIsEEsEEDaPvRmT3_T4_T5_mT6_P12ihipStream_tbENKUlT_T0_E_clISt17integral_constantIbLb1EESU_EEDaSP_SQ_EUlSP_E_NS1_11comp_targetILNS1_3genE4ELNS1_11target_archE910ELNS1_3gpuE8ELNS1_3repE0EEENS1_30default_config_static_selectorELNS0_4arch9wavefront6targetE1EEEvT1_,comdat
	.protected	_ZN7rocprim17ROCPRIM_400000_NS6detail17trampoline_kernelINS0_14default_configENS1_20scan_config_selectorIsEEZZNS1_9scan_implILNS1_25lookback_scan_determinismE0ELb1ELb1ES3_N6thrust23THRUST_200600_302600_NS6detail15normal_iteratorINS9_10device_ptrIsEEEESE_sNS9_4plusIsEEsEEDaPvRmT3_T4_T5_mT6_P12ihipStream_tbENKUlT_T0_E_clISt17integral_constantIbLb1EESU_EEDaSP_SQ_EUlSP_E_NS1_11comp_targetILNS1_3genE4ELNS1_11target_archE910ELNS1_3gpuE8ELNS1_3repE0EEENS1_30default_config_static_selectorELNS0_4arch9wavefront6targetE1EEEvT1_ ; -- Begin function _ZN7rocprim17ROCPRIM_400000_NS6detail17trampoline_kernelINS0_14default_configENS1_20scan_config_selectorIsEEZZNS1_9scan_implILNS1_25lookback_scan_determinismE0ELb1ELb1ES3_N6thrust23THRUST_200600_302600_NS6detail15normal_iteratorINS9_10device_ptrIsEEEESE_sNS9_4plusIsEEsEEDaPvRmT3_T4_T5_mT6_P12ihipStream_tbENKUlT_T0_E_clISt17integral_constantIbLb1EESU_EEDaSP_SQ_EUlSP_E_NS1_11comp_targetILNS1_3genE4ELNS1_11target_archE910ELNS1_3gpuE8ELNS1_3repE0EEENS1_30default_config_static_selectorELNS0_4arch9wavefront6targetE1EEEvT1_
	.globl	_ZN7rocprim17ROCPRIM_400000_NS6detail17trampoline_kernelINS0_14default_configENS1_20scan_config_selectorIsEEZZNS1_9scan_implILNS1_25lookback_scan_determinismE0ELb1ELb1ES3_N6thrust23THRUST_200600_302600_NS6detail15normal_iteratorINS9_10device_ptrIsEEEESE_sNS9_4plusIsEEsEEDaPvRmT3_T4_T5_mT6_P12ihipStream_tbENKUlT_T0_E_clISt17integral_constantIbLb1EESU_EEDaSP_SQ_EUlSP_E_NS1_11comp_targetILNS1_3genE4ELNS1_11target_archE910ELNS1_3gpuE8ELNS1_3repE0EEENS1_30default_config_static_selectorELNS0_4arch9wavefront6targetE1EEEvT1_
	.p2align	8
	.type	_ZN7rocprim17ROCPRIM_400000_NS6detail17trampoline_kernelINS0_14default_configENS1_20scan_config_selectorIsEEZZNS1_9scan_implILNS1_25lookback_scan_determinismE0ELb1ELb1ES3_N6thrust23THRUST_200600_302600_NS6detail15normal_iteratorINS9_10device_ptrIsEEEESE_sNS9_4plusIsEEsEEDaPvRmT3_T4_T5_mT6_P12ihipStream_tbENKUlT_T0_E_clISt17integral_constantIbLb1EESU_EEDaSP_SQ_EUlSP_E_NS1_11comp_targetILNS1_3genE4ELNS1_11target_archE910ELNS1_3gpuE8ELNS1_3repE0EEENS1_30default_config_static_selectorELNS0_4arch9wavefront6targetE1EEEvT1_,@function
_ZN7rocprim17ROCPRIM_400000_NS6detail17trampoline_kernelINS0_14default_configENS1_20scan_config_selectorIsEEZZNS1_9scan_implILNS1_25lookback_scan_determinismE0ELb1ELb1ES3_N6thrust23THRUST_200600_302600_NS6detail15normal_iteratorINS9_10device_ptrIsEEEESE_sNS9_4plusIsEEsEEDaPvRmT3_T4_T5_mT6_P12ihipStream_tbENKUlT_T0_E_clISt17integral_constantIbLb1EESU_EEDaSP_SQ_EUlSP_E_NS1_11comp_targetILNS1_3genE4ELNS1_11target_archE910ELNS1_3gpuE8ELNS1_3repE0EEENS1_30default_config_static_selectorELNS0_4arch9wavefront6targetE1EEEvT1_: ; @_ZN7rocprim17ROCPRIM_400000_NS6detail17trampoline_kernelINS0_14default_configENS1_20scan_config_selectorIsEEZZNS1_9scan_implILNS1_25lookback_scan_determinismE0ELb1ELb1ES3_N6thrust23THRUST_200600_302600_NS6detail15normal_iteratorINS9_10device_ptrIsEEEESE_sNS9_4plusIsEEsEEDaPvRmT3_T4_T5_mT6_P12ihipStream_tbENKUlT_T0_E_clISt17integral_constantIbLb1EESU_EEDaSP_SQ_EUlSP_E_NS1_11comp_targetILNS1_3genE4ELNS1_11target_archE910ELNS1_3gpuE8ELNS1_3repE0EEENS1_30default_config_static_selectorELNS0_4arch9wavefront6targetE1EEEvT1_
; %bb.0:
	s_load_dword s30, s[4:5], 0x20
	s_load_dwordx2 s[24:25], s[4:5], 0x28
	v_cmp_eq_u32_e64 s[0:1], 0, v0
	s_and_saveexec_b64 s[2:3], s[0:1]
	s_cbranch_execz .LBB1215_4
; %bb.1:
	s_mov_b64 s[8:9], exec
	v_mbcnt_lo_u32_b32 v1, s8, 0
	v_mbcnt_hi_u32_b32 v1, s9, v1
	v_cmp_eq_u32_e32 vcc, 0, v1
                                        ; implicit-def: $vgpr2
	s_and_saveexec_b64 s[6:7], vcc
	s_cbranch_execz .LBB1215_3
; %bb.2:
	s_load_dwordx2 s[10:11], s[4:5], 0x58
	s_bcnt1_i32_b64 s8, s[8:9]
	v_mov_b32_e32 v2, 0
	v_mov_b32_e32 v3, s8
	s_waitcnt lgkmcnt(0)
	global_atomic_add v2, v2, v3, s[10:11] glc
.LBB1215_3:
	s_or_b64 exec, exec, s[6:7]
	s_waitcnt vmcnt(0)
	v_readfirstlane_b32 s6, v2
	v_add_u32_e32 v1, s6, v1
	v_mov_b32_e32 v2, 0
	ds_write_b32 v2, v1
.LBB1215_4:
	s_or_b64 exec, exec, s[2:3]
	s_load_dwordx8 s[16:23], s[4:5], 0x0
	s_load_dword s2, s[4:5], 0x30
	s_load_dwordx8 s[8:15], s[4:5], 0x38
	v_mov_b32_e32 v1, 0
	s_waitcnt lgkmcnt(0)
	; wave barrier
	s_waitcnt lgkmcnt(0)
	ds_read_b32 v1, v1
	s_lshl_b64 s[26:27], s[18:19], 1
	s_add_u32 s31, s16, s26
	s_addc_u32 s33, s17, s27
	s_add_i32 s2, s2, -1
	s_mul_i32 s3, s2, 0x600
	s_sub_u32 s28, s22, s3
	s_waitcnt lgkmcnt(0)
	v_readfirstlane_b32 s34, v1
	s_subb_u32 s29, s23, 0
	s_mul_i32 s4, s34, 0x600
	s_mov_b32 s5, 0
	s_cmp_lg_u32 s34, s2
	s_cselect_b64 s[16:17], -1, 0
	s_lshl_b64 s[18:19], s[4:5], 1
	s_add_u32 s4, s31, s18
	s_addc_u32 s5, s33, s19
	s_mov_b64 s[2:3], -1
	s_and_b64 vcc, exec, s[16:17]
	v_lshlrev_b32_e32 v20, 1, v0
	s_waitcnt lgkmcnt(0)
	; wave barrier
	s_cbranch_vccz .LBB1215_6
; %bb.5:
	v_mov_b32_e32 v1, s5
	v_add_co_u32_e32 v2, vcc, s4, v20
	v_addc_co_u32_e32 v3, vcc, 0, v1, vcc
	flat_load_ushort v1, v[2:3]
	flat_load_ushort v4, v[2:3] offset:128
	flat_load_ushort v5, v[2:3] offset:256
	;; [unrolled: 1-line block ×23, first 2 shown]
	s_mov_b64 s[2:3], 0
	s_waitcnt vmcnt(0) lgkmcnt(0)
	ds_write_b16 v20, v1
	ds_write_b16 v20, v4 offset:128
	ds_write_b16 v20, v5 offset:256
	;; [unrolled: 1-line block ×23, first 2 shown]
	s_waitcnt lgkmcnt(0)
	; wave barrier
.LBB1215_6:
	s_andn2_b64 vcc, exec, s[2:3]
	v_cmp_gt_u32_e64 s[2:3], s28, v0
	s_cbranch_vccnz .LBB1215_56
; %bb.7:
	v_pk_mov_b32 v[2:3], s[4:5], s[4:5] op_sel:[0,1]
	flat_load_ushort v1, v[2:3]
	s_waitcnt vmcnt(0) lgkmcnt(0)
	v_mov_b32_e32 v2, v1
	s_and_saveexec_b64 s[6:7], s[2:3]
	s_cbranch_execz .LBB1215_9
; %bb.8:
	v_mov_b32_e32 v3, s5
	v_add_co_u32_e32 v2, vcc, s4, v20
	v_addc_co_u32_e32 v3, vcc, 0, v3, vcc
	flat_load_ushort v2, v[2:3]
.LBB1215_9:
	s_or_b64 exec, exec, s[6:7]
	v_or_b32_e32 v3, 64, v0
	v_cmp_gt_u32_e32 vcc, s28, v3
	v_mov_b32_e32 v3, v1
	s_and_saveexec_b64 s[2:3], vcc
	s_cbranch_execz .LBB1215_11
; %bb.10:
	v_mov_b32_e32 v3, s5
	v_add_co_u32_e32 v4, vcc, s4, v20
	v_addc_co_u32_e32 v5, vcc, 0, v3, vcc
	flat_load_ushort v3, v[4:5] offset:128
.LBB1215_11:
	s_or_b64 exec, exec, s[2:3]
	v_or_b32_e32 v4, 0x80, v0
	v_cmp_gt_u32_e32 vcc, s28, v4
	v_mov_b32_e32 v4, v1
	s_and_saveexec_b64 s[2:3], vcc
	s_cbranch_execz .LBB1215_13
; %bb.12:
	v_mov_b32_e32 v5, s5
	v_add_co_u32_e32 v4, vcc, s4, v20
	v_addc_co_u32_e32 v5, vcc, 0, v5, vcc
	flat_load_ushort v4, v[4:5] offset:256
.LBB1215_13:
	;; [unrolled: 12-line block ×22, first 2 shown]
	s_or_b64 exec, exec, s[2:3]
	v_or_b32_e32 v26, 0x5c0, v0
	v_cmp_gt_u32_e32 vcc, s28, v26
	s_and_saveexec_b64 s[2:3], vcc
	s_cbranch_execz .LBB1215_55
; %bb.54:
	v_mov_b32_e32 v1, s5
	v_add_co_u32_e32 v26, vcc, s4, v20
	v_addc_co_u32_e32 v27, vcc, 0, v1, vcc
	flat_load_ushort v1, v[26:27] offset:2944
.LBB1215_55:
	s_or_b64 exec, exec, s[2:3]
	s_waitcnt vmcnt(0) lgkmcnt(0)
	ds_write_b16 v20, v2
	ds_write_b16 v20, v3 offset:128
	ds_write_b16 v20, v4 offset:256
	;; [unrolled: 1-line block ×23, first 2 shown]
	s_waitcnt lgkmcnt(0)
	; wave barrier
.LBB1215_56:
	v_mul_u32_u24_e32 v21, 24, v0
	v_lshlrev_b32_e32 v1, 1, v21
	s_waitcnt lgkmcnt(0)
	ds_read_b128 v[10:13], v1
	ds_read_b128 v[6:9], v1 offset:16
	ds_read_b128 v[2:5], v1 offset:32
	s_cmp_lg_u32 s34, 0
	v_mbcnt_lo_u32_b32 v22, -1, 0
	s_waitcnt lgkmcnt(2)
	v_add_u16_sdwa v14, v10, v10 dst_sel:DWORD dst_unused:UNUSED_PAD src0_sel:WORD_1 src1_sel:DWORD
	v_add_u16_e32 v23, v14, v11
	v_cmp_eq_u32_e32 vcc, 63, v0
	s_waitcnt lgkmcnt(0)
	; wave barrier
	s_waitcnt lgkmcnt(0)
	s_cbranch_scc0 .LBB1215_83
; %bb.57:
	v_add_u16_sdwa v14, v23, v11 dst_sel:DWORD dst_unused:UNUSED_PAD src0_sel:DWORD src1_sel:WORD_1
	v_add_u16_e32 v14, v14, v12
	v_add_u16_sdwa v14, v14, v12 dst_sel:DWORD dst_unused:UNUSED_PAD src0_sel:DWORD src1_sel:WORD_1
	v_add_u16_e32 v14, v14, v13
	;; [unrolled: 2-line block ×10, first 2 shown]
	v_mbcnt_hi_u32_b32 v15, -1, v22
	v_add_u16_sdwa v14, v14, v5 dst_sel:DWORD dst_unused:UNUSED_PAD src0_sel:DWORD src1_sel:WORD_1
	v_and_b32_e32 v16, 15, v15
	v_cmp_ne_u32_e64 s[2:3], 0, v16
	v_mov_b32_dpp v17, v14 row_shr:1 row_mask:0xf bank_mask:0xf
	v_cndmask_b32_e64 v17, 0, v17, s[2:3]
	v_add_u16_e32 v14, v17, v14
	v_cmp_lt_u32_e64 s[2:3], 1, v16
	s_nop 0
	v_mov_b32_dpp v17, v14 row_shr:2 row_mask:0xf bank_mask:0xf
	v_cndmask_b32_e64 v17, 0, v17, s[2:3]
	v_add_u16_e32 v14, v14, v17
	v_cmp_lt_u32_e64 s[2:3], 3, v16
	s_nop 0
	;; [unrolled: 5-line block ×3, first 2 shown]
	v_mov_b32_dpp v17, v14 row_shr:8 row_mask:0xf bank_mask:0xf
	v_cndmask_b32_e64 v16, 0, v17, s[2:3]
	v_add_u16_e32 v14, v14, v16
	v_and_b32_e32 v17, 16, v15
	v_cmp_ne_u32_e64 s[2:3], 0, v17
	v_mov_b32_dpp v16, v14 row_bcast:15 row_mask:0xf bank_mask:0xf
	v_cndmask_b32_e64 v16, 0, v16, s[2:3]
	v_add_u16_e32 v14, v14, v16
	v_cmp_lt_u32_e64 s[2:3], 31, v15
	s_nop 0
	v_mov_b32_dpp v16, v14 row_bcast:31 row_mask:0xf bank_mask:0xf
	v_cndmask_b32_e64 v16, 0, v16, s[2:3]
	v_add_u16_e32 v14, v14, v16
	s_and_saveexec_b64 s[2:3], vcc
	s_cbranch_execz .LBB1215_59
; %bb.58:
	v_mov_b32_e32 v16, 0
	ds_write_b16 v16, v14
.LBB1215_59:
	s_or_b64 exec, exec, s[2:3]
	v_add_u32_e32 v16, -1, v15
	v_and_b32_e32 v17, 64, v15
	v_cmp_lt_i32_e32 vcc, v16, v17
	v_cndmask_b32_e32 v16, v16, v15, vcc
	v_lshlrev_b32_e32 v16, 2, v16
	ds_bpermute_b32 v24, v16, v14
	v_cmp_gt_u32_e32 vcc, 64, v0
	s_waitcnt lgkmcnt(0)
	; wave barrier
	s_waitcnt lgkmcnt(0)
	s_and_saveexec_b64 s[22:23], vcc
	s_cbranch_execz .LBB1215_82
; %bb.60:
	v_mov_b32_e32 v19, 0
	ds_read_u16 v25, v19
	s_mov_b32 s7, 0
	v_cmp_eq_u32_e64 s[2:3], 0, v15
	s_and_saveexec_b64 s[4:5], s[2:3]
	s_cbranch_execz .LBB1215_62
; %bb.61:
	s_add_i32 s6, s34, 64
	s_lshl_b64 s[6:7], s[6:7], 2
	s_add_u32 s6, s24, s6
	s_waitcnt lgkmcnt(0)
	v_or_b32_e32 v14, 0x10000, v25
	s_addc_u32 s7, s25, s7
	global_store_dword v19, v14, s[6:7]
.LBB1215_62:
	s_or_b64 exec, exec, s[4:5]
	v_xad_u32 v14, v15, -1, s34
	v_add_u32_e32 v18, 64, v14
	v_lshlrev_b64 v[16:17], 2, v[18:19]
	v_mov_b32_e32 v18, s25
	v_add_co_u32_e32 v16, vcc, s24, v16
	v_addc_co_u32_e32 v17, vcc, v18, v17, vcc
	global_load_dword v18, v[16:17], off glc
	s_waitcnt vmcnt(0)
	v_lshrrev_b32_e32 v29, 16, v18
	v_cmp_eq_u16_sdwa s[6:7], v29, v19 src0_sel:BYTE_0 src1_sel:DWORD
	s_and_saveexec_b64 s[4:5], s[6:7]
	s_cbranch_execz .LBB1215_68
; %bb.63:
	s_mov_b32 s35, 1
	s_mov_b64 s[6:7], 0
	v_mov_b32_e32 v19, 0
.LBB1215_64:                            ; =>This Loop Header: Depth=1
                                        ;     Child Loop BB1215_65 Depth 2
	s_max_u32 s36, s35, 1
.LBB1215_65:                            ;   Parent Loop BB1215_64 Depth=1
                                        ; =>  This Inner Loop Header: Depth=2
	s_add_i32 s36, s36, -1
	s_cmp_eq_u32 s36, 0
	s_sleep 1
	s_cbranch_scc0 .LBB1215_65
; %bb.66:                               ;   in Loop: Header=BB1215_64 Depth=1
	global_load_dword v18, v[16:17], off glc
	s_cmp_lt_u32 s35, 32
	s_cselect_b64 s[36:37], -1, 0
	s_cmp_lg_u64 s[36:37], 0
	s_addc_u32 s35, s35, 0
	s_waitcnt vmcnt(0)
	v_lshrrev_b32_e32 v29, 16, v18
	v_cmp_ne_u16_sdwa s[36:37], v29, v19 src0_sel:BYTE_0 src1_sel:DWORD
	s_or_b64 s[6:7], s[36:37], s[6:7]
	s_andn2_b64 exec, exec, s[6:7]
	s_cbranch_execnz .LBB1215_64
; %bb.67:
	s_or_b64 exec, exec, s[6:7]
.LBB1215_68:
	s_or_b64 exec, exec, s[4:5]
	v_and_b32_e32 v27, 63, v15
	v_cmp_ne_u32_e32 vcc, 63, v27
	v_mov_b32_e32 v26, 2
	v_addc_co_u32_e32 v28, vcc, 0, v15, vcc
	v_cmp_eq_u16_sdwa s[4:5], v29, v26 src0_sel:BYTE_0 src1_sel:DWORD
	v_lshlrev_b64 v[16:17], v15, -1
	v_and_b32_e32 v31, 0xffff, v18
	v_lshlrev_b32_e32 v28, 2, v28
	v_and_b32_e32 v19, s5, v17
	ds_bpermute_b32 v32, v28, v31
	v_or_b32_e32 v19, 0x80000000, v19
	v_and_b32_e32 v30, s4, v16
	v_ffbl_b32_e32 v19, v19
	v_add_u32_e32 v19, 32, v19
	v_ffbl_b32_e32 v30, v30
	v_cmp_gt_u32_e64 s[4:5], 62, v27
	v_min_u32_e32 v19, v30, v19
	v_cndmask_b32_e64 v30, 0, 1, s[4:5]
	s_waitcnt lgkmcnt(0)
	v_add_u16_e32 v32, v32, v18
	v_cmp_lt_u32_e32 vcc, v27, v19
	v_lshlrev_b32_e32 v30, 1, v30
	v_cndmask_b32_e32 v33, v31, v32, vcc
	v_add_lshl_u32 v30, v30, v15, 2
	ds_bpermute_b32 v34, v30, v33
	v_cmp_gt_u32_e64 s[6:7], 60, v27
	v_cndmask_b32_e32 v35, v18, v32, vcc
	v_add_u32_e32 v31, 2, v27
	v_cndmask_b32_e64 v32, 0, 1, s[6:7]
	s_waitcnt lgkmcnt(0)
	v_add_u16_e32 v34, v35, v34
	v_cmp_gt_u32_e64 s[4:5], v31, v19
	v_lshlrev_b32_e32 v32, 2, v32
	v_cndmask_b32_e64 v36, v34, v33, s[4:5]
	v_add_lshl_u32 v32, v32, v15, 2
	ds_bpermute_b32 v37, v32, v36
	v_cmp_gt_u32_e64 s[6:7], 56, v27
	v_cndmask_b32_e64 v35, v34, v35, s[4:5]
	v_add_u32_e32 v33, 4, v27
	v_cndmask_b32_e64 v34, 0, 1, s[6:7]
	s_waitcnt lgkmcnt(0)
	v_add_u16_e32 v37, v35, v37
	v_cmp_gt_u32_e64 s[4:5], v33, v19
	v_lshlrev_b32_e32 v34, 3, v34
	v_cndmask_b32_e64 v36, v37, v36, s[4:5]
	v_add_lshl_u32 v34, v34, v15, 2
	ds_bpermute_b32 v38, v34, v36
	v_cndmask_b32_e64 v37, v37, v35, s[4:5]
	v_add_u32_e32 v35, 8, v27
	v_cmp_gt_u32_e64 s[4:5], v35, v19
	v_cmp_gt_u32_e64 s[6:7], 48, v27
	s_waitcnt lgkmcnt(0)
	v_add_u16_e32 v38, v37, v38
	v_cndmask_b32_e64 v39, v38, v36, s[4:5]
	v_cndmask_b32_e64 v36, 0, 1, s[6:7]
	v_lshlrev_b32_e32 v36, 4, v36
	v_add_lshl_u32 v36, v36, v15, 2
	ds_bpermute_b32 v40, v36, v39
	v_cndmask_b32_e64 v38, v38, v37, s[4:5]
	v_add_u32_e32 v37, 16, v27
	v_cmp_gt_u32_e64 s[4:5], v37, v19
	v_cmp_gt_u32_e64 s[6:7], 32, v27
	s_waitcnt lgkmcnt(0)
	v_add_u16_e32 v41, v38, v40
	v_cndmask_b32_e64 v40, v41, v39, s[4:5]
	v_cndmask_b32_e64 v39, 0, 1, s[6:7]
	v_lshlrev_b32_e32 v39, 5, v39
	v_add_lshl_u32 v39, v39, v15, 2
	ds_bpermute_b32 v15, v39, v40
	v_add_u32_e32 v40, 32, v27
	v_cndmask_b32_e64 v38, v41, v38, s[4:5]
	v_cmp_le_u32_e64 s[4:5], v40, v19
	s_waitcnt lgkmcnt(0)
	v_cndmask_b32_e64 v15, 0, v15, s[4:5]
	v_add_u16_e32 v15, v38, v15
	v_cndmask_b32_e32 v18, v18, v15, vcc
	v_mov_b32_e32 v15, 0
	s_branch .LBB1215_70
.LBB1215_69:                            ;   in Loop: Header=BB1215_70 Depth=1
	s_or_b64 exec, exec, s[4:5]
	v_cmp_eq_u16_sdwa s[4:5], v29, v26 src0_sel:BYTE_0 src1_sel:DWORD
	v_and_b32_e32 v42, 0xffff, v41
	v_and_b32_e32 v18, s5, v17
	ds_bpermute_b32 v43, v28, v42
	v_or_b32_e32 v18, 0x80000000, v18
	v_and_b32_e32 v19, s4, v16
	v_ffbl_b32_e32 v18, v18
	v_add_u32_e32 v18, 32, v18
	v_ffbl_b32_e32 v19, v19
	v_min_u32_e32 v18, v19, v18
	s_waitcnt lgkmcnt(0)
	v_add_u16_e32 v19, v43, v41
	v_cmp_lt_u32_e32 vcc, v27, v18
	v_cndmask_b32_e32 v42, v42, v19, vcc
	ds_bpermute_b32 v43, v30, v42
	v_cndmask_b32_e32 v19, v41, v19, vcc
	v_cmp_gt_u32_e64 s[4:5], v31, v18
	v_subrev_u32_e32 v14, 64, v14
	s_waitcnt lgkmcnt(0)
	v_add_u16_e32 v43, v19, v43
	v_cndmask_b32_e64 v42, v43, v42, s[4:5]
	ds_bpermute_b32 v44, v32, v42
	v_cndmask_b32_e64 v19, v43, v19, s[4:5]
	v_cmp_gt_u32_e64 s[4:5], v33, v18
	s_waitcnt lgkmcnt(0)
	v_add_u16_e32 v43, v19, v44
	v_cndmask_b32_e64 v42, v43, v42, s[4:5]
	ds_bpermute_b32 v44, v34, v42
	v_cndmask_b32_e64 v19, v43, v19, s[4:5]
	v_cmp_gt_u32_e64 s[4:5], v35, v18
	;; [unrolled: 6-line block ×3, first 2 shown]
	s_waitcnt lgkmcnt(0)
	v_add_u16_e32 v43, v19, v44
	v_cndmask_b32_e64 v42, v43, v42, s[4:5]
	ds_bpermute_b32 v42, v39, v42
	v_cndmask_b32_e64 v19, v43, v19, s[4:5]
	v_cmp_le_u32_e64 s[4:5], v40, v18
	s_waitcnt lgkmcnt(0)
	v_cndmask_b32_e64 v18, 0, v42, s[4:5]
	v_add_u16_e32 v18, v19, v18
	v_cndmask_b32_e32 v18, v41, v18, vcc
	v_add_u16_e32 v18, v18, v38
.LBB1215_70:                            ; =>This Loop Header: Depth=1
                                        ;     Child Loop BB1215_73 Depth 2
                                        ;       Child Loop BB1215_74 Depth 3
	v_cmp_ne_u16_sdwa s[4:5], v29, v26 src0_sel:BYTE_0 src1_sel:DWORD
	v_cndmask_b32_e64 v19, 0, 1, s[4:5]
	;;#ASMSTART
	;;#ASMEND
	v_cmp_ne_u32_e32 vcc, 0, v19
	s_cmp_lg_u64 vcc, exec
	v_mov_b32_e32 v38, v18
	s_cbranch_scc1 .LBB1215_77
; %bb.71:                               ;   in Loop: Header=BB1215_70 Depth=1
	v_lshlrev_b64 v[18:19], 2, v[14:15]
	v_mov_b32_e32 v29, s25
	v_add_co_u32_e32 v18, vcc, s24, v18
	v_addc_co_u32_e32 v19, vcc, v29, v19, vcc
	global_load_dword v41, v[18:19], off glc
	s_waitcnt vmcnt(0)
	v_lshrrev_b32_e32 v29, 16, v41
	v_cmp_eq_u16_sdwa s[6:7], v29, v15 src0_sel:BYTE_0 src1_sel:DWORD
	s_and_saveexec_b64 s[4:5], s[6:7]
	s_cbranch_execz .LBB1215_69
; %bb.72:                               ;   in Loop: Header=BB1215_70 Depth=1
	s_mov_b32 s35, 1
	s_mov_b64 s[6:7], 0
.LBB1215_73:                            ;   Parent Loop BB1215_70 Depth=1
                                        ; =>  This Loop Header: Depth=2
                                        ;       Child Loop BB1215_74 Depth 3
	s_max_u32 s36, s35, 1
.LBB1215_74:                            ;   Parent Loop BB1215_70 Depth=1
                                        ;     Parent Loop BB1215_73 Depth=2
                                        ; =>    This Inner Loop Header: Depth=3
	s_add_i32 s36, s36, -1
	s_cmp_eq_u32 s36, 0
	s_sleep 1
	s_cbranch_scc0 .LBB1215_74
; %bb.75:                               ;   in Loop: Header=BB1215_73 Depth=2
	global_load_dword v41, v[18:19], off glc
	s_cmp_lt_u32 s35, 32
	s_cselect_b64 s[36:37], -1, 0
	s_cmp_lg_u64 s[36:37], 0
	s_addc_u32 s35, s35, 0
	s_waitcnt vmcnt(0)
	v_lshrrev_b32_e32 v29, 16, v41
	v_cmp_ne_u16_sdwa s[36:37], v29, v15 src0_sel:BYTE_0 src1_sel:DWORD
	s_or_b64 s[6:7], s[36:37], s[6:7]
	s_andn2_b64 exec, exec, s[6:7]
	s_cbranch_execnz .LBB1215_73
; %bb.76:                               ;   in Loop: Header=BB1215_70 Depth=1
	s_or_b64 exec, exec, s[6:7]
	s_branch .LBB1215_69
.LBB1215_77:                            ;   in Loop: Header=BB1215_70 Depth=1
                                        ; implicit-def: $vgpr18
                                        ; implicit-def: $vgpr29
	s_cbranch_execz .LBB1215_70
; %bb.78:
	s_and_saveexec_b64 s[4:5], s[2:3]
	s_cbranch_execz .LBB1215_80
; %bb.79:
	s_add_i32 s2, s34, 64
	s_mov_b32 s3, 0
	s_lshl_b64 s[2:3], s[2:3], 2
	v_add_u16_e32 v14, v38, v25
	s_add_u32 s2, s24, s2
	v_or_b32_e32 v14, 0x20000, v14
	s_addc_u32 s3, s25, s3
	v_mov_b32_e32 v15, 0
	global_store_dword v15, v14, s[2:3]
.LBB1215_80:
	s_or_b64 exec, exec, s[4:5]
	s_and_b64 exec, exec, s[0:1]
	s_cbranch_execz .LBB1215_82
; %bb.81:
	v_mov_b32_e32 v14, 0
	ds_write_b16 v14, v38
.LBB1215_82:
	s_or_b64 exec, exec, s[22:23]
	v_mov_b32_e32 v14, 0
	s_waitcnt lgkmcnt(0)
	; wave barrier
	s_waitcnt lgkmcnt(0)
	ds_read_u16 v14, v14
	v_cndmask_b32_e64 v15, v24, 0, s[0:1]
	s_waitcnt lgkmcnt(0)
	v_add_u16_e32 v14, v14, v15
	s_branch .LBB1215_91
.LBB1215_83:
                                        ; implicit-def: $vgpr14
	s_cbranch_execz .LBB1215_91
; %bb.84:
	s_cmp_eq_u64 s[12:13], 0
	v_mov_b32_e32 v15, s30
	s_cbranch_scc1 .LBB1215_86
; %bb.85:
	v_mov_b32_e32 v15, s33
	v_add_co_u32_e64 v14, vcc, -2, s31
	v_addc_co_u32_e32 v15, vcc, -1, v15, vcc
	v_mov_b32_e32 v16, 0
	flat_load_ushort v17, v[14:15]
	global_load_ushort v18, v16, s[8:9]
	s_waitcnt vmcnt(0) lgkmcnt(0)
	v_add_u16_e32 v15, v18, v17
.LBB1215_86:
	v_add_u16_sdwa v14, v23, v11 dst_sel:DWORD dst_unused:UNUSED_PAD src0_sel:DWORD src1_sel:WORD_1
	v_add_u16_e32 v14, v14, v12
	v_add_u16_sdwa v14, v14, v12 dst_sel:DWORD dst_unused:UNUSED_PAD src0_sel:DWORD src1_sel:WORD_1
	v_add_u16_e32 v14, v14, v13
	;; [unrolled: 2-line block ×10, first 2 shown]
	v_add_u16_sdwa v16, v14, v5 dst_sel:DWORD dst_unused:UNUSED_PAD src0_sel:DWORD src1_sel:WORD_1
	v_mbcnt_hi_u32_b32 v14, -1, v22
	v_and_b32_e32 v17, 15, v14
	v_mov_b32_dpp v18, v16 row_shr:1 row_mask:0xf bank_mask:0xf
	v_cmp_ne_u32_e32 vcc, 0, v17
	v_cndmask_b32_e32 v18, 0, v18, vcc
	v_add_u16_e32 v16, v18, v16
	v_cmp_lt_u32_e32 vcc, 1, v17
	s_nop 0
	v_mov_b32_dpp v18, v16 row_shr:2 row_mask:0xf bank_mask:0xf
	v_cndmask_b32_e32 v18, 0, v18, vcc
	v_add_u16_e32 v16, v16, v18
	v_cmp_lt_u32_e32 vcc, 3, v17
	s_nop 0
	v_mov_b32_dpp v18, v16 row_shr:4 row_mask:0xf bank_mask:0xf
	;; [unrolled: 5-line block ×3, first 2 shown]
	v_cndmask_b32_e32 v17, 0, v18, vcc
	v_add_u16_e32 v16, v16, v17
	v_and_b32_e32 v18, 16, v14
	v_cmp_ne_u32_e32 vcc, 0, v18
	v_mov_b32_dpp v17, v16 row_bcast:15 row_mask:0xf bank_mask:0xf
	v_cndmask_b32_e32 v17, 0, v17, vcc
	v_add_u16_e32 v16, v16, v17
	v_cmp_lt_u32_e32 vcc, 31, v14
	s_nop 0
	v_mov_b32_dpp v17, v16 row_bcast:31 row_mask:0xf bank_mask:0xf
	v_cndmask_b32_e32 v17, 0, v17, vcc
	v_add_u16_e32 v16, v16, v17
	v_cmp_eq_u32_e32 vcc, 63, v0
	s_and_saveexec_b64 s[2:3], vcc
	s_cbranch_execz .LBB1215_88
; %bb.87:
	v_mov_b32_e32 v17, 0
	ds_write_b16 v17, v16
.LBB1215_88:
	s_or_b64 exec, exec, s[2:3]
	v_add_u32_e32 v17, -1, v14
	v_and_b32_e32 v18, 64, v14
	v_cmp_lt_i32_e32 vcc, v17, v18
	v_cndmask_b32_e32 v17, v17, v14, vcc
	v_add_u16_e32 v16, v16, v15
	v_lshlrev_b32_e32 v17, 2, v17
	ds_bpermute_b32 v16, v17, v16
	v_cmp_eq_u32_e32 vcc, 0, v14
	s_or_b64 vcc, s[0:1], vcc
	s_waitcnt lgkmcnt(0)
	; wave barrier
	s_waitcnt lgkmcnt(0)
	v_cndmask_b32_e32 v14, v16, v15, vcc
	s_and_saveexec_b64 s[2:3], s[0:1]
	s_cbranch_execz .LBB1215_90
; %bb.89:
	v_mov_b32_e32 v14, 0
	ds_read_u16 v16, v14
	s_waitcnt lgkmcnt(0)
	v_add_u16_e32 v16, v16, v15
	v_or_b32_e32 v16, 0x20000, v16
	global_store_dword v14, v16, s[24:25] offset:256
	v_mov_b32_e32 v14, v15
.LBB1215_90:
	s_or_b64 exec, exec, s[2:3]
.LBB1215_91:
	v_add_u16_e32 v15, v14, v10
	v_add_u16_sdwa v16, v15, v10 dst_sel:DWORD dst_unused:UNUSED_PAD src0_sel:DWORD src1_sel:WORD_1
	v_add_u16_e32 v17, v16, v11
	v_add_u16_sdwa v19, v17, v11 dst_sel:DWORD dst_unused:UNUSED_PAD src0_sel:DWORD src1_sel:WORD_1
	;; [unrolled: 2-line block ×9, first 2 shown]
	v_add_u16_e32 v8, v2, v3
	s_add_u32 s0, s20, s26
	v_add_u16_sdwa v3, v8, v3 dst_sel:DWORD dst_unused:UNUSED_PAD src0_sel:DWORD src1_sel:WORD_1
	s_addc_u32 s1, s21, s27
	v_add_u16_e32 v9, v3, v4
	v_add_u16_sdwa v4, v9, v4 dst_sel:DWORD dst_unused:UNUSED_PAD src0_sel:DWORD src1_sel:WORD_1
	s_add_u32 s2, s0, s18
	v_add_u16_e32 v5, v4, v5
	s_addc_u32 s3, s1, s19
	s_mov_b64 s[0:1], -1
	s_and_b64 vcc, exec, s[16:17]
	s_waitcnt lgkmcnt(0)
	; wave barrier
	s_cbranch_vccz .LBB1215_93
; %bb.92:
	s_mov_b32 s0, 0x5040100
	v_perm_b32 v31, v27, v25, s0
	v_perm_b32 v30, v23, v19, s0
	v_perm_b32 v29, v17, v16, s0
	v_perm_b32 v28, v15, v14, s0
	ds_write_b128 v1, v[28:31]
	v_perm_b32 v31, v26, v24, s0
	v_perm_b32 v30, v22, v18, s0
	v_perm_b32 v29, v13, v12, s0
	v_perm_b32 v28, v11, v10, s0
	ds_write_b128 v1, v[28:31] offset:16
	v_perm_b32 v31, v5, v4, s0
	v_perm_b32 v30, v9, v3, s0
	v_perm_b32 v29, v8, v2, s0
	v_perm_b32 v28, v7, v6, s0
	ds_write_b128 v1, v[28:31] offset:32
	s_waitcnt lgkmcnt(0)
	; wave barrier
	s_waitcnt lgkmcnt(0)
	ds_read_u16 v30, v20
	ds_read_u16 v31, v20 offset:128
	ds_read_u16 v32, v20 offset:256
	;; [unrolled: 1-line block ×23, first 2 shown]
	v_mov_b32_e32 v29, s3
	v_add_co_u32_e32 v28, vcc, s2, v20
	v_addc_co_u32_e32 v29, vcc, 0, v29, vcc
	s_waitcnt lgkmcnt(14)
	flat_store_short v[28:29], v30
	flat_store_short v[28:29], v31 offset:128
	flat_store_short v[28:29], v32 offset:256
	;; [unrolled: 1-line block ×9, first 2 shown]
	s_waitcnt lgkmcnt(0)
	flat_store_short v[28:29], v40 offset:1280
	flat_store_short v[28:29], v41 offset:1408
	flat_store_short v[28:29], v42 offset:1536
	flat_store_short v[28:29], v43 offset:1664
	flat_store_short v[28:29], v44 offset:1792
	flat_store_short v[28:29], v45 offset:1920
	flat_store_short v[28:29], v46 offset:2048
	flat_store_short v[28:29], v47 offset:2176
	flat_store_short v[28:29], v48 offset:2304
	flat_store_short v[28:29], v49 offset:2432
	flat_store_short v[28:29], v50 offset:2560
	flat_store_short v[28:29], v51 offset:2688
	flat_store_short v[28:29], v52 offset:2816
	flat_store_short v[28:29], v53 offset:2944
	s_mov_b64 s[0:1], 0
.LBB1215_93:
	s_andn2_b64 vcc, exec, s[0:1]
	s_cbranch_vccnz .LBB1215_150
; %bb.94:
	s_mov_b32 s0, 0x5040100
	v_perm_b32 v31, v27, v25, s0
	v_perm_b32 v30, v23, v19, s0
	;; [unrolled: 1-line block ×12, first 2 shown]
	ds_write_b128 v1, v[28:31]
	ds_write_b128 v1, v[12:15] offset:16
	ds_write_b128 v1, v[2:5] offset:32
	s_waitcnt lgkmcnt(0)
	; wave barrier
	s_waitcnt lgkmcnt(0)
	ds_read_u16 v5, v20
	ds_read_u16 v4, v20 offset:128
	ds_read_u16 v7, v20 offset:256
	;; [unrolled: 1-line block ×23, first 2 shown]
	v_mov_b32_e32 v3, s3
	v_add_co_u32_e32 v2, vcc, s2, v20
	v_addc_co_u32_e32 v3, vcc, 0, v3, vcc
	v_mov_b32_e32 v1, 0
	v_cmp_gt_u32_e32 vcc, s28, v0
	s_and_saveexec_b64 s[0:1], vcc
	s_cbranch_execz .LBB1215_96
; %bb.95:
	s_waitcnt lgkmcnt(0)
	flat_store_short v[2:3], v5
.LBB1215_96:
	s_or_b64 exec, exec, s[0:1]
	v_or_b32_e32 v20, 64, v0
	v_cmp_gt_u32_e32 vcc, s28, v20
	s_and_saveexec_b64 s[0:1], vcc
	s_cbranch_execz .LBB1215_98
; %bb.97:
	s_waitcnt lgkmcnt(0)
	flat_store_short v[2:3], v4 offset:128
.LBB1215_98:
	s_or_b64 exec, exec, s[0:1]
	v_or_b32_e32 v20, 0x80, v0
	v_cmp_gt_u32_e32 vcc, s28, v20
	s_and_saveexec_b64 s[0:1], vcc
	s_cbranch_execz .LBB1215_100
; %bb.99:
	s_waitcnt lgkmcnt(0)
	flat_store_short v[2:3], v7 offset:256
.LBB1215_100:
	;; [unrolled: 9-line block ×23, first 2 shown]
	s_or_b64 exec, exec, s[0:1]
	v_cmp_lt_u64_e64 s[0:1], s[14:15], 2
	s_and_b64 vcc, exec, s[0:1]
	s_cbranch_vccnz .LBB1215_150
; %bb.143:
	s_add_u32 s0, s28, -1
	s_addc_u32 s1, s29, -1
	s_add_u32 s2, 0, 0xaaaa0000
	s_addc_u32 s3, 0, 42
	s_add_i32 s3, s3, 0xaaaaa80
	s_mul_hi_u32 s7, s2, 0xffffffe8
	s_sub_i32 s7, s7, s2
	s_mul_i32 s8, s3, 0xffffffe8
	s_mul_i32 s4, s2, 0xffffffe8
	s_add_i32 s7, s7, s8
	s_mul_hi_u32 s5, s3, s4
	s_mul_i32 s6, s3, s4
	s_mul_i32 s9, s2, s7
	s_mul_hi_u32 s4, s2, s4
	s_mul_hi_u32 s8, s2, s7
	s_add_u32 s4, s4, s9
	s_addc_u32 s8, 0, s8
	s_add_u32 s4, s4, s6
	s_mul_hi_u32 s9, s3, s7
	s_addc_u32 s4, s8, s5
	s_addc_u32 s5, s9, 0
	s_mul_i32 s6, s3, s7
	s_add_u32 s4, s4, s6
	v_mov_b32_e32 v2, s4
	s_addc_u32 s5, 0, s5
	v_add_co_u32_e32 v2, vcc, s2, v2
	s_cmp_lg_u64 vcc, 0
	s_addc_u32 s2, s3, s5
	v_readfirstlane_b32 s5, v2
	s_mul_i32 s4, s0, s2
	s_mul_hi_u32 s6, s0, s5
	s_mul_hi_u32 s3, s0, s2
	s_add_u32 s4, s6, s4
	s_addc_u32 s3, 0, s3
	s_mul_hi_u32 s7, s1, s5
	s_mul_i32 s5, s1, s5
	s_add_u32 s4, s4, s5
	s_mul_hi_u32 s6, s1, s2
	s_addc_u32 s3, s3, s7
	s_addc_u32 s4, s6, 0
	s_mul_i32 s2, s1, s2
	s_add_u32 s2, s3, s2
	s_addc_u32 s3, 0, s4
	s_add_u32 s4, s2, 1
	s_addc_u32 s5, s3, 0
	s_add_u32 s6, s2, 2
	s_mul_i32 s8, s3, 24
	s_mul_hi_u32 s9, s2, 24
	s_addc_u32 s7, s3, 0
	s_add_i32 s9, s9, s8
	s_mul_i32 s8, s2, 24
	v_mov_b32_e32 v2, s8
	v_sub_co_u32_e32 v2, vcc, s0, v2
	s_cmp_lg_u64 vcc, 0
	s_subb_u32 s8, s1, s9
	v_subrev_co_u32_e32 v3, vcc, 24, v2
	s_cmp_lg_u64 vcc, 0
	s_subb_u32 s9, s8, 0
	v_readfirstlane_b32 s12, v3
	s_cmp_gt_u32 s12, 23
	s_cselect_b32 s12, -1, 0
	s_cmp_eq_u32 s9, 0
	s_cselect_b32 s9, s12, -1
	s_cmp_lg_u32 s9, 0
	s_cselect_b32 s4, s6, s4
	v_readfirstlane_b32 s6, v2
	s_cselect_b32 s5, s7, s5
	s_cmp_gt_u32 s6, 23
	s_cselect_b32 s6, -1, 0
	s_cmp_eq_u32 s8, 0
	s_cselect_b32 s6, s6, -1
	s_cmp_lg_u32 s6, 0
	s_cselect_b32 s3, s5, s3
	s_cselect_b32 s2, s4, s2
	v_cmp_eq_u64_e32 vcc, s[2:3], v[0:1]
	s_and_saveexec_b64 s[2:3], vcc
	s_cbranch_execz .LBB1215_150
; %bb.144:
	v_mul_hi_u32_u24_e32 v1, 24, v0
	v_mov_b32_e32 v2, s1
	v_sub_co_u32_e32 v0, vcc, s0, v21
	v_subb_co_u32_e32 v1, vcc, v2, v1, vcc
	v_cmp_lt_i64_e32 vcc, 11, v[0:1]
	s_mov_b64 s[0:1], 0
	s_mov_b64 s[8:9], 0
	;; [unrolled: 1-line block ×4, first 2 shown]
	s_and_saveexec_b64 s[2:3], vcc
	s_xor_b64 s[2:3], exec, s[2:3]
	s_cbranch_execnz .LBB1215_151
; %bb.145:
	s_andn2_saveexec_b64 s[2:3], s[2:3]
	s_cbranch_execnz .LBB1215_196
.LBB1215_146:
	s_or_b64 exec, exec, s[2:3]
	s_and_saveexec_b64 s[2:3], s[8:9]
	s_cbranch_execnz .LBB1215_213
.LBB1215_147:
	s_or_b64 exec, exec, s[2:3]
	s_and_saveexec_b64 s[2:3], s[6:7]
	s_cbranch_execnz .LBB1215_214
.LBB1215_148:
	s_or_b64 exec, exec, s[2:3]
	s_and_saveexec_b64 s[2:3], s[4:5]
	s_xor_b64 s[2:3], exec, s[2:3]
	s_cbranch_execnz .LBB1215_215
.LBB1215_149:
	s_or_b64 exec, exec, s[2:3]
	s_and_b64 exec, exec, s[0:1]
	s_cbranch_execnz .LBB1215_216
.LBB1215_150:
	s_endpgm
.LBB1215_151:
	v_cmp_lt_i64_e32 vcc, 17, v[0:1]
	s_and_saveexec_b64 s[12:13], vcc
	s_xor_b64 s[12:13], exec, s[12:13]
	s_cbranch_execz .LBB1215_173
; %bb.152:
	v_cmp_lt_i64_e32 vcc, 20, v[0:1]
                                        ; implicit-def: $vgpr10
	s_and_saveexec_b64 s[14:15], vcc
	s_xor_b64 s[14:15], exec, s[14:15]
	s_cbranch_execz .LBB1215_162
; %bb.153:
	v_cmp_lt_i64_e32 vcc, 21, v[0:1]
	s_mov_b64 s[16:17], 0
                                        ; implicit-def: $vgpr10
	s_and_saveexec_b64 s[4:5], vcc
	s_xor_b64 s[4:5], exec, s[4:5]
	s_cbranch_execz .LBB1215_159
; %bb.154:
	v_cmp_lt_i64_e32 vcc, 22, v[0:1]
	s_and_saveexec_b64 s[16:17], vcc
	s_xor_b64 s[16:17], exec, s[16:17]
	s_cbranch_execz .LBB1215_156
; %bb.155:
	v_mov_b32_e32 v2, 0
	s_waitcnt lgkmcnt(0)
	global_store_short v2, v29, s[10:11]
                                        ; implicit-def: $vgpr28
.LBB1215_156:
	s_or_saveexec_b64 s[16:17], s[16:17]
	s_mov_b64 s[18:19], 0
	s_xor_b64 exec, exec, s[16:17]
; %bb.157:
	s_mov_b64 s[18:19], exec
; %bb.158:
	s_or_b64 exec, exec, s[16:17]
	s_and_b64 s[16:17], s[18:19], exec
	s_waitcnt lgkmcnt(0)
	v_mov_b32_e32 v10, v28
                                        ; implicit-def: $vgpr11
.LBB1215_159:
	s_andn2_saveexec_b64 s[4:5], s[4:5]
; %bb.160:
	s_mov_b64 s[6:7], exec
                                        ; implicit-def: $vgpr10
; %bb.161:
	s_or_b64 exec, exec, s[4:5]
	s_and_b64 s[4:5], s[16:17], exec
	s_and_b64 s[6:7], s[6:7], exec
                                        ; implicit-def: $vgpr26
                                        ; implicit-def: $vgpr12
                                        ; implicit-def: $vgpr23
.LBB1215_162:
	s_andn2_saveexec_b64 s[14:15], s[14:15]
	s_cbranch_execz .LBB1215_172
; %bb.163:
	v_cmp_lt_i64_e32 vcc, 18, v[0:1]
	s_mov_b64 s[16:17], 0
	s_and_saveexec_b64 s[8:9], vcc
	s_xor_b64 s[8:9], exec, s[8:9]
	s_cbranch_execz .LBB1215_169
; %bb.164:
	v_cmp_lt_i64_e32 vcc, 19, v[0:1]
	s_and_saveexec_b64 s[18:19], vcc
	s_xor_b64 s[18:19], exec, s[18:19]
; %bb.165:
	s_mov_b64 s[16:17], exec
                                        ; implicit-def: $vgpr23
; %bb.166:
	s_andn2_saveexec_b64 s[18:19], s[18:19]
	s_cbranch_execz .LBB1215_168
; %bb.167:
	v_mov_b32_e32 v2, 0
	s_waitcnt lgkmcnt(0)
	global_store_short v2, v23, s[10:11]
                                        ; implicit-def: $vgpr12
.LBB1215_168:
	s_or_b64 exec, exec, s[18:19]
	s_and_b64 s[16:17], s[16:17], exec
                                        ; implicit-def: $vgpr26
.LBB1215_169:
	s_andn2_saveexec_b64 s[8:9], s[8:9]
	s_cbranch_execz .LBB1215_171
; %bb.170:
	v_mov_b32_e32 v2, 0
	s_waitcnt lgkmcnt(0)
	global_store_short v2, v26, s[10:11]
                                        ; implicit-def: $vgpr12
.LBB1215_171:
	s_or_b64 exec, exec, s[8:9]
	s_and_b64 s[8:9], s[16:17], exec
                                        ; implicit-def: $vgpr10
                                        ; implicit-def: $vgpr11
.LBB1215_172:
	s_or_b64 exec, exec, s[14:15]
	s_and_b64 s[4:5], s[4:5], exec
	s_and_b64 s[6:7], s[6:7], exec
	;; [unrolled: 1-line block ×3, first 2 shown]
                                        ; implicit-def: $vgpr18
                                        ; implicit-def: $vgpr13
                                        ; implicit-def: $vgpr14
                                        ; implicit-def: $vgpr24
                                        ; implicit-def: $vgpr27
.LBB1215_173:
	s_andn2_saveexec_b64 s[12:13], s[12:13]
	s_cbranch_execz .LBB1215_195
; %bb.174:
	v_cmp_lt_i64_e32 vcc, 14, v[0:1]
	s_mov_b64 s[14:15], s[4:5]
	s_and_saveexec_b64 s[16:17], vcc
	s_xor_b64 s[16:17], exec, s[16:17]
	s_cbranch_execz .LBB1215_184
; %bb.175:
	v_cmp_lt_i64_e32 vcc, 15, v[0:1]
	s_and_saveexec_b64 s[14:15], vcc
	s_xor_b64 s[14:15], exec, s[14:15]
	s_cbranch_execz .LBB1215_181
; %bb.176:
	v_cmp_lt_i64_e32 vcc, 16, v[0:1]
	s_and_saveexec_b64 s[18:19], vcc
	s_xor_b64 s[18:19], exec, s[18:19]
	s_cbranch_execz .LBB1215_178
; %bb.177:
	v_mov_b32_e32 v2, 0
	s_waitcnt lgkmcnt(0)
	global_store_short v2, v27, s[10:11]
                                        ; implicit-def: $vgpr24
.LBB1215_178:
	s_andn2_saveexec_b64 s[18:19], s[18:19]
	s_cbranch_execz .LBB1215_180
; %bb.179:
	v_mov_b32_e32 v2, 0
	s_waitcnt lgkmcnt(0)
	global_store_short v2, v24, s[10:11]
.LBB1215_180:
	s_or_b64 exec, exec, s[18:19]
                                        ; implicit-def: $vgpr10
.LBB1215_181:
	s_or_saveexec_b64 s[14:15], s[14:15]
	s_mov_b64 s[18:19], s[4:5]
	s_xor_b64 exec, exec, s[14:15]
; %bb.182:
	s_or_b64 s[18:19], s[4:5], exec
; %bb.183:
	s_or_b64 exec, exec, s[14:15]
	s_andn2_b64 s[14:15], s[4:5], exec
	s_and_b64 s[18:19], s[18:19], exec
	s_or_b64 s[14:15], s[14:15], s[18:19]
                                        ; implicit-def: $vgpr18
                                        ; implicit-def: $vgpr13
                                        ; implicit-def: $vgpr14
.LBB1215_184:
	s_or_saveexec_b64 s[16:17], s[16:17]
	s_mov_b64 s[18:19], s[6:7]
                                        ; implicit-def: $vgpr11
	s_xor_b64 exec, exec, s[16:17]
	s_cbranch_execz .LBB1215_194
; %bb.185:
	v_cmp_lt_i64_e32 vcc, 12, v[0:1]
	s_mov_b64 s[20:21], s[6:7]
	s_mov_b64 s[22:23], s[14:15]
                                        ; implicit-def: $vgpr10
                                        ; implicit-def: $vgpr11
	s_and_saveexec_b64 s[18:19], vcc
	s_xor_b64 s[18:19], exec, s[18:19]
	s_cbranch_execz .LBB1215_191
; %bb.186:
	v_cmp_lt_i64_e32 vcc, 13, v[0:1]
	s_mov_b64 s[20:21], s[14:15]
	s_and_saveexec_b64 s[22:23], vcc
	s_xor_b64 s[22:23], exec, s[22:23]
; %bb.187:
	s_or_b64 s[20:21], s[14:15], exec
                                        ; implicit-def: $vgpr13
; %bb.188:
	s_or_saveexec_b64 s[22:23], s[22:23]
	s_mov_b64 s[24:25], s[6:7]
	s_xor_b64 exec, exec, s[22:23]
; %bb.189:
	s_or_b64 s[24:25], s[6:7], exec
                                        ; implicit-def: $vgpr14
; %bb.190:
	s_or_b64 exec, exec, s[22:23]
	s_andn2_b64 s[22:23], s[14:15], exec
	s_and_b64 s[20:21], s[20:21], exec
	s_or_b64 s[22:23], s[22:23], s[20:21]
	s_andn2_b64 s[20:21], s[6:7], exec
	s_and_b64 s[24:25], s[24:25], exec
	s_or_b64 s[20:21], s[20:21], s[24:25]
	s_waitcnt lgkmcnt(0)
	v_mov_b32_e32 v10, v14
	v_mov_b32_e32 v11, v13
                                        ; implicit-def: $vgpr18
.LBB1215_191:
	s_andn2_saveexec_b64 s[18:19], s[18:19]
	s_cbranch_execz .LBB1215_193
; %bb.192:
	s_or_b64 s[20:21], s[20:21], exec
                                        ; implicit-def: $vgpr10
	s_waitcnt lgkmcnt(0)
	v_mov_b32_e32 v11, v18
.LBB1215_193:
	s_or_b64 exec, exec, s[18:19]
	s_andn2_b64 s[14:15], s[14:15], exec
	s_and_b64 s[18:19], s[22:23], exec
	s_or_b64 s[14:15], s[14:15], s[18:19]
	s_andn2_b64 s[18:19], s[6:7], exec
	s_and_b64 s[20:21], s[20:21], exec
	s_or_b64 s[18:19], s[18:19], s[20:21]
.LBB1215_194:
	s_or_b64 exec, exec, s[16:17]
	s_andn2_b64 s[4:5], s[4:5], exec
	s_and_b64 s[14:15], s[14:15], exec
	s_or_b64 s[4:5], s[4:5], s[14:15]
	s_andn2_b64 s[6:7], s[6:7], exec
	s_and_b64 s[14:15], s[18:19], exec
	s_or_b64 s[6:7], s[6:7], s[14:15]
                                        ; implicit-def: $vgpr12
.LBB1215_195:
	s_or_b64 exec, exec, s[12:13]
	s_and_b64 s[4:5], s[4:5], exec
	s_and_b64 s[6:7], s[6:7], exec
	s_and_b64 s[8:9], s[8:9], exec
                                        ; implicit-def: $vgpr17
                                        ; implicit-def: $vgpr15
                                        ; implicit-def: $vgpr16
                                        ; implicit-def: $vgpr25
                                        ; implicit-def: $vgpr22
                                        ; implicit-def: $vgpr19
	s_andn2_saveexec_b64 s[2:3], s[2:3]
	s_cbranch_execz .LBB1215_146
.LBB1215_196:
	v_cmp_lt_i64_e32 vcc, 5, v[0:1]
	s_mov_b64 s[14:15], -1
	s_mov_b64 s[12:13], s[8:9]
	s_mov_b64 s[16:17], s[6:7]
	;; [unrolled: 1-line block ×3, first 2 shown]
                                        ; implicit-def: $vgpr10
                                        ; implicit-def: $vgpr11
                                        ; implicit-def: $vgpr12
	s_and_saveexec_b64 s[0:1], vcc
	s_cbranch_execz .LBB1215_212
; %bb.197:
	v_cmp_lt_i64_e32 vcc, 8, v[0:1]
	s_mov_b64 s[12:13], s[8:9]
                                        ; implicit-def: $vgpr12
	s_and_saveexec_b64 s[14:15], vcc
	s_xor_b64 s[14:15], exec, s[14:15]
	s_cbranch_execz .LBB1215_207
; %bb.198:
	v_cmp_lt_i64_e32 vcc, 9, v[0:1]
	s_and_saveexec_b64 s[12:13], vcc
	s_xor_b64 s[12:13], exec, s[12:13]
	s_cbranch_execz .LBB1215_204
; %bb.199:
	v_cmp_lt_i64_e32 vcc, 10, v[0:1]
	s_and_saveexec_b64 s[16:17], vcc
	s_xor_b64 s[16:17], exec, s[16:17]
; %bb.200:
                                        ; implicit-def: $vgpr22
; %bb.201:
	s_andn2_saveexec_b64 s[16:17], s[16:17]
	s_cbranch_execz .LBB1215_203
; %bb.202:
	s_waitcnt lgkmcnt(0)
	v_mov_b32_e32 v19, v22
.LBB1215_203:
	s_or_b64 exec, exec, s[16:17]
                                        ; implicit-def: $vgpr25
.LBB1215_204:
	s_andn2_saveexec_b64 s[12:13], s[12:13]
	s_cbranch_execz .LBB1215_206
; %bb.205:
	s_waitcnt lgkmcnt(0)
	v_mov_b32_e32 v19, v25
.LBB1215_206:
	s_or_b64 exec, exec, s[12:13]
	s_or_b64 s[12:13], s[8:9], exec
	s_waitcnt lgkmcnt(0)
	v_mov_b32_e32 v12, v19
                                        ; implicit-def: $vgpr17
                                        ; implicit-def: $vgpr15
                                        ; implicit-def: $vgpr16
.LBB1215_207:
	s_or_saveexec_b64 s[14:15], s[14:15]
	s_mov_b64 s[16:17], s[6:7]
	s_mov_b64 s[20:21], s[4:5]
                                        ; implicit-def: $vgpr10
                                        ; implicit-def: $vgpr11
	s_xor_b64 exec, exec, s[14:15]
	s_cbranch_execz .LBB1215_211
; %bb.208:
	v_cmp_lt_i64_e32 vcc, 6, v[0:1]
	s_mov_b64 s[20:21], -1
	s_mov_b64 s[18:19], s[12:13]
	s_mov_b64 s[16:17], s[6:7]
	s_and_saveexec_b64 s[22:23], vcc
; %bb.209:
	v_cmp_lt_i64_e32 vcc, 7, v[0:1]
	s_andn2_b64 s[18:19], s[12:13], exec
	s_and_b64 s[24:25], vcc, exec
	s_xor_b64 s[20:21], exec, -1
	s_or_b64 s[16:17], s[6:7], exec
	s_or_b64 s[18:19], s[18:19], s[24:25]
                                        ; implicit-def: $vgpr17
; %bb.210:
	s_or_b64 exec, exec, s[22:23]
	s_andn2_b64 s[22:23], s[4:5], exec
	s_and_b64 s[20:21], s[20:21], exec
	s_or_b64 s[20:21], s[22:23], s[20:21]
	s_andn2_b64 s[22:23], s[6:7], exec
	s_and_b64 s[16:17], s[16:17], exec
	s_andn2_b64 s[12:13], s[12:13], exec
	s_and_b64 s[18:19], s[18:19], exec
	s_or_b64 s[16:17], s[22:23], s[16:17]
	s_or_b64 s[12:13], s[12:13], s[18:19]
	s_waitcnt lgkmcnt(0)
	v_mov_b32_e32 v10, v17
	v_mov_b32_e32 v11, v15
	v_mov_b32_e32 v12, v16
.LBB1215_211:
	s_or_b64 exec, exec, s[14:15]
	s_andn2_b64 s[18:19], s[4:5], exec
	s_and_b64 s[20:21], s[20:21], exec
	s_or_b64 s[18:19], s[18:19], s[20:21]
	s_andn2_b64 s[20:21], s[6:7], exec
	s_and_b64 s[16:17], s[16:17], exec
	s_or_b64 s[16:17], s[20:21], s[16:17]
	s_andn2_b64 s[20:21], s[8:9], exec
	s_and_b64 s[12:13], s[12:13], exec
	s_xor_b64 s[14:15], exec, -1
	s_or_b64 s[12:13], s[20:21], s[12:13]
.LBB1215_212:
	s_or_b64 exec, exec, s[0:1]
	s_and_b64 s[0:1], s[14:15], exec
	s_andn2_b64 s[4:5], s[4:5], exec
	s_and_b64 s[14:15], s[18:19], exec
	s_or_b64 s[4:5], s[4:5], s[14:15]
	s_andn2_b64 s[6:7], s[6:7], exec
	s_and_b64 s[14:15], s[16:17], exec
	s_andn2_b64 s[8:9], s[8:9], exec
	s_and_b64 s[12:13], s[12:13], exec
	s_or_b64 s[6:7], s[6:7], s[14:15]
	s_or_b64 s[8:9], s[8:9], s[12:13]
	s_or_b64 exec, exec, s[2:3]
	s_and_saveexec_b64 s[2:3], s[8:9]
	s_cbranch_execz .LBB1215_147
.LBB1215_213:
	v_mov_b32_e32 v2, 0
	s_andn2_b64 s[6:7], s[6:7], exec
	s_waitcnt lgkmcnt(0)
	global_store_short v2, v12, s[10:11]
                                        ; implicit-def: $vgpr10
                                        ; implicit-def: $vgpr11
	s_or_b64 exec, exec, s[2:3]
	s_and_saveexec_b64 s[2:3], s[6:7]
	s_cbranch_execz .LBB1215_148
.LBB1215_214:
	v_mov_b32_e32 v2, 0
	s_waitcnt lgkmcnt(0)
	global_store_short v2, v11, s[10:11]
                                        ; implicit-def: $vgpr10
	s_or_b64 exec, exec, s[2:3]
	s_and_saveexec_b64 s[2:3], s[4:5]
	s_xor_b64 s[2:3], exec, s[2:3]
	s_cbranch_execz .LBB1215_149
.LBB1215_215:
	v_mov_b32_e32 v2, 0
	s_waitcnt lgkmcnt(0)
	global_store_short v2, v10, s[10:11]
	s_or_b64 exec, exec, s[2:3]
	s_and_b64 exec, exec, s[0:1]
	s_cbranch_execz .LBB1215_150
.LBB1215_216:
	v_cmp_lt_i64_e32 vcc, 2, v[0:1]
	s_and_saveexec_b64 s[0:1], vcc
	s_xor_b64 s[0:1], exec, s[0:1]
	s_cbranch_execz .LBB1215_226
; %bb.217:
	v_cmp_lt_i64_e32 vcc, 3, v[0:1]
	s_and_saveexec_b64 s[2:3], vcc
	s_xor_b64 s[2:3], exec, s[2:3]
	s_cbranch_execz .LBB1215_223
; %bb.218:
	v_cmp_lt_i64_e32 vcc, 4, v[0:1]
	s_and_saveexec_b64 s[4:5], vcc
	s_xor_b64 s[4:5], exec, s[4:5]
	s_cbranch_execz .LBB1215_220
; %bb.219:
	v_mov_b32_e32 v0, 0
	s_waitcnt lgkmcnt(0)
	global_store_short v0, v9, s[10:11]
                                        ; implicit-def: $vgpr6
.LBB1215_220:
	s_andn2_saveexec_b64 s[4:5], s[4:5]
	s_cbranch_execz .LBB1215_222
; %bb.221:
	v_mov_b32_e32 v0, 0
	s_waitcnt lgkmcnt(0)
	global_store_short v0, v6, s[10:11]
.LBB1215_222:
	s_or_b64 exec, exec, s[4:5]
                                        ; implicit-def: $vgpr8
.LBB1215_223:
	s_andn2_saveexec_b64 s[2:3], s[2:3]
	s_cbranch_execz .LBB1215_225
; %bb.224:
	v_mov_b32_e32 v0, 0
	s_waitcnt lgkmcnt(0)
	global_store_short v0, v8, s[10:11]
.LBB1215_225:
	s_or_b64 exec, exec, s[2:3]
                                        ; implicit-def: $vgpr0_vgpr1
                                        ; implicit-def: $vgpr7
                                        ; implicit-def: $vgpr4
                                        ; implicit-def: $vgpr5
.LBB1215_226:
	s_andn2_saveexec_b64 s[0:1], s[0:1]
	s_cbranch_execz .LBB1215_150
; %bb.227:
	v_cmp_lt_i64_e32 vcc, 1, v[0:1]
	s_and_saveexec_b64 s[0:1], vcc
	s_xor_b64 s[0:1], exec, s[0:1]
	s_cbranch_execz .LBB1215_229
; %bb.228:
	v_mov_b32_e32 v0, 0
	s_waitcnt lgkmcnt(0)
	global_store_short v0, v7, s[10:11]
                                        ; implicit-def: $vgpr4
                                        ; implicit-def: $vgpr0_vgpr1
                                        ; implicit-def: $vgpr5
.LBB1215_229:
	s_andn2_saveexec_b64 s[0:1], s[0:1]
	s_cbranch_execz .LBB1215_150
; %bb.230:
	v_cmp_ne_u64_e32 vcc, 1, v[0:1]
	s_and_saveexec_b64 s[0:1], vcc
	s_xor_b64 s[0:1], exec, s[0:1]
	s_cbranch_execz .LBB1215_232
; %bb.231:
	v_mov_b32_e32 v0, 0
	s_waitcnt lgkmcnt(0)
	global_store_short v0, v5, s[10:11]
                                        ; implicit-def: $vgpr4
.LBB1215_232:
	s_andn2_saveexec_b64 s[0:1], s[0:1]
	s_cbranch_execz .LBB1215_150
; %bb.233:
	v_mov_b32_e32 v0, 0
	s_waitcnt lgkmcnt(0)
	global_store_short v0, v4, s[10:11]
	s_endpgm
	.section	.rodata,"a",@progbits
	.p2align	6, 0x0
	.amdhsa_kernel _ZN7rocprim17ROCPRIM_400000_NS6detail17trampoline_kernelINS0_14default_configENS1_20scan_config_selectorIsEEZZNS1_9scan_implILNS1_25lookback_scan_determinismE0ELb1ELb1ES3_N6thrust23THRUST_200600_302600_NS6detail15normal_iteratorINS9_10device_ptrIsEEEESE_sNS9_4plusIsEEsEEDaPvRmT3_T4_T5_mT6_P12ihipStream_tbENKUlT_T0_E_clISt17integral_constantIbLb1EESU_EEDaSP_SQ_EUlSP_E_NS1_11comp_targetILNS1_3genE4ELNS1_11target_archE910ELNS1_3gpuE8ELNS1_3repE0EEENS1_30default_config_static_selectorELNS0_4arch9wavefront6targetE1EEEvT1_
		.amdhsa_group_segment_fixed_size 3072
		.amdhsa_private_segment_fixed_size 0
		.amdhsa_kernarg_size 96
		.amdhsa_user_sgpr_count 6
		.amdhsa_user_sgpr_private_segment_buffer 1
		.amdhsa_user_sgpr_dispatch_ptr 0
		.amdhsa_user_sgpr_queue_ptr 0
		.amdhsa_user_sgpr_kernarg_segment_ptr 1
		.amdhsa_user_sgpr_dispatch_id 0
		.amdhsa_user_sgpr_flat_scratch_init 0
		.amdhsa_user_sgpr_kernarg_preload_length 0
		.amdhsa_user_sgpr_kernarg_preload_offset 0
		.amdhsa_user_sgpr_private_segment_size 0
		.amdhsa_uses_dynamic_stack 0
		.amdhsa_system_sgpr_private_segment_wavefront_offset 0
		.amdhsa_system_sgpr_workgroup_id_x 1
		.amdhsa_system_sgpr_workgroup_id_y 0
		.amdhsa_system_sgpr_workgroup_id_z 0
		.amdhsa_system_sgpr_workgroup_info 0
		.amdhsa_system_vgpr_workitem_id 0
		.amdhsa_next_free_vgpr 54
		.amdhsa_next_free_sgpr 38
		.amdhsa_accum_offset 56
		.amdhsa_reserve_vcc 1
		.amdhsa_reserve_flat_scratch 0
		.amdhsa_float_round_mode_32 0
		.amdhsa_float_round_mode_16_64 0
		.amdhsa_float_denorm_mode_32 3
		.amdhsa_float_denorm_mode_16_64 3
		.amdhsa_dx10_clamp 1
		.amdhsa_ieee_mode 1
		.amdhsa_fp16_overflow 0
		.amdhsa_tg_split 0
		.amdhsa_exception_fp_ieee_invalid_op 0
		.amdhsa_exception_fp_denorm_src 0
		.amdhsa_exception_fp_ieee_div_zero 0
		.amdhsa_exception_fp_ieee_overflow 0
		.amdhsa_exception_fp_ieee_underflow 0
		.amdhsa_exception_fp_ieee_inexact 0
		.amdhsa_exception_int_div_zero 0
	.end_amdhsa_kernel
	.section	.text._ZN7rocprim17ROCPRIM_400000_NS6detail17trampoline_kernelINS0_14default_configENS1_20scan_config_selectorIsEEZZNS1_9scan_implILNS1_25lookback_scan_determinismE0ELb1ELb1ES3_N6thrust23THRUST_200600_302600_NS6detail15normal_iteratorINS9_10device_ptrIsEEEESE_sNS9_4plusIsEEsEEDaPvRmT3_T4_T5_mT6_P12ihipStream_tbENKUlT_T0_E_clISt17integral_constantIbLb1EESU_EEDaSP_SQ_EUlSP_E_NS1_11comp_targetILNS1_3genE4ELNS1_11target_archE910ELNS1_3gpuE8ELNS1_3repE0EEENS1_30default_config_static_selectorELNS0_4arch9wavefront6targetE1EEEvT1_,"axG",@progbits,_ZN7rocprim17ROCPRIM_400000_NS6detail17trampoline_kernelINS0_14default_configENS1_20scan_config_selectorIsEEZZNS1_9scan_implILNS1_25lookback_scan_determinismE0ELb1ELb1ES3_N6thrust23THRUST_200600_302600_NS6detail15normal_iteratorINS9_10device_ptrIsEEEESE_sNS9_4plusIsEEsEEDaPvRmT3_T4_T5_mT6_P12ihipStream_tbENKUlT_T0_E_clISt17integral_constantIbLb1EESU_EEDaSP_SQ_EUlSP_E_NS1_11comp_targetILNS1_3genE4ELNS1_11target_archE910ELNS1_3gpuE8ELNS1_3repE0EEENS1_30default_config_static_selectorELNS0_4arch9wavefront6targetE1EEEvT1_,comdat
.Lfunc_end1215:
	.size	_ZN7rocprim17ROCPRIM_400000_NS6detail17trampoline_kernelINS0_14default_configENS1_20scan_config_selectorIsEEZZNS1_9scan_implILNS1_25lookback_scan_determinismE0ELb1ELb1ES3_N6thrust23THRUST_200600_302600_NS6detail15normal_iteratorINS9_10device_ptrIsEEEESE_sNS9_4plusIsEEsEEDaPvRmT3_T4_T5_mT6_P12ihipStream_tbENKUlT_T0_E_clISt17integral_constantIbLb1EESU_EEDaSP_SQ_EUlSP_E_NS1_11comp_targetILNS1_3genE4ELNS1_11target_archE910ELNS1_3gpuE8ELNS1_3repE0EEENS1_30default_config_static_selectorELNS0_4arch9wavefront6targetE1EEEvT1_, .Lfunc_end1215-_ZN7rocprim17ROCPRIM_400000_NS6detail17trampoline_kernelINS0_14default_configENS1_20scan_config_selectorIsEEZZNS1_9scan_implILNS1_25lookback_scan_determinismE0ELb1ELb1ES3_N6thrust23THRUST_200600_302600_NS6detail15normal_iteratorINS9_10device_ptrIsEEEESE_sNS9_4plusIsEEsEEDaPvRmT3_T4_T5_mT6_P12ihipStream_tbENKUlT_T0_E_clISt17integral_constantIbLb1EESU_EEDaSP_SQ_EUlSP_E_NS1_11comp_targetILNS1_3genE4ELNS1_11target_archE910ELNS1_3gpuE8ELNS1_3repE0EEENS1_30default_config_static_selectorELNS0_4arch9wavefront6targetE1EEEvT1_
                                        ; -- End function
	.section	.AMDGPU.csdata,"",@progbits
; Kernel info:
; codeLenInByte = 7920
; NumSgprs: 42
; NumVgprs: 54
; NumAgprs: 0
; TotalNumVgprs: 54
; ScratchSize: 0
; MemoryBound: 0
; FloatMode: 240
; IeeeMode: 1
; LDSByteSize: 3072 bytes/workgroup (compile time only)
; SGPRBlocks: 5
; VGPRBlocks: 6
; NumSGPRsForWavesPerEU: 42
; NumVGPRsForWavesPerEU: 54
; AccumOffset: 56
; Occupancy: 6
; WaveLimiterHint : 1
; COMPUTE_PGM_RSRC2:SCRATCH_EN: 0
; COMPUTE_PGM_RSRC2:USER_SGPR: 6
; COMPUTE_PGM_RSRC2:TRAP_HANDLER: 0
; COMPUTE_PGM_RSRC2:TGID_X_EN: 1
; COMPUTE_PGM_RSRC2:TGID_Y_EN: 0
; COMPUTE_PGM_RSRC2:TGID_Z_EN: 0
; COMPUTE_PGM_RSRC2:TIDIG_COMP_CNT: 0
; COMPUTE_PGM_RSRC3_GFX90A:ACCUM_OFFSET: 13
; COMPUTE_PGM_RSRC3_GFX90A:TG_SPLIT: 0
	.section	.text._ZN7rocprim17ROCPRIM_400000_NS6detail17trampoline_kernelINS0_14default_configENS1_20scan_config_selectorIsEEZZNS1_9scan_implILNS1_25lookback_scan_determinismE0ELb1ELb1ES3_N6thrust23THRUST_200600_302600_NS6detail15normal_iteratorINS9_10device_ptrIsEEEESE_sNS9_4plusIsEEsEEDaPvRmT3_T4_T5_mT6_P12ihipStream_tbENKUlT_T0_E_clISt17integral_constantIbLb1EESU_EEDaSP_SQ_EUlSP_E_NS1_11comp_targetILNS1_3genE3ELNS1_11target_archE908ELNS1_3gpuE7ELNS1_3repE0EEENS1_30default_config_static_selectorELNS0_4arch9wavefront6targetE1EEEvT1_,"axG",@progbits,_ZN7rocprim17ROCPRIM_400000_NS6detail17trampoline_kernelINS0_14default_configENS1_20scan_config_selectorIsEEZZNS1_9scan_implILNS1_25lookback_scan_determinismE0ELb1ELb1ES3_N6thrust23THRUST_200600_302600_NS6detail15normal_iteratorINS9_10device_ptrIsEEEESE_sNS9_4plusIsEEsEEDaPvRmT3_T4_T5_mT6_P12ihipStream_tbENKUlT_T0_E_clISt17integral_constantIbLb1EESU_EEDaSP_SQ_EUlSP_E_NS1_11comp_targetILNS1_3genE3ELNS1_11target_archE908ELNS1_3gpuE7ELNS1_3repE0EEENS1_30default_config_static_selectorELNS0_4arch9wavefront6targetE1EEEvT1_,comdat
	.protected	_ZN7rocprim17ROCPRIM_400000_NS6detail17trampoline_kernelINS0_14default_configENS1_20scan_config_selectorIsEEZZNS1_9scan_implILNS1_25lookback_scan_determinismE0ELb1ELb1ES3_N6thrust23THRUST_200600_302600_NS6detail15normal_iteratorINS9_10device_ptrIsEEEESE_sNS9_4plusIsEEsEEDaPvRmT3_T4_T5_mT6_P12ihipStream_tbENKUlT_T0_E_clISt17integral_constantIbLb1EESU_EEDaSP_SQ_EUlSP_E_NS1_11comp_targetILNS1_3genE3ELNS1_11target_archE908ELNS1_3gpuE7ELNS1_3repE0EEENS1_30default_config_static_selectorELNS0_4arch9wavefront6targetE1EEEvT1_ ; -- Begin function _ZN7rocprim17ROCPRIM_400000_NS6detail17trampoline_kernelINS0_14default_configENS1_20scan_config_selectorIsEEZZNS1_9scan_implILNS1_25lookback_scan_determinismE0ELb1ELb1ES3_N6thrust23THRUST_200600_302600_NS6detail15normal_iteratorINS9_10device_ptrIsEEEESE_sNS9_4plusIsEEsEEDaPvRmT3_T4_T5_mT6_P12ihipStream_tbENKUlT_T0_E_clISt17integral_constantIbLb1EESU_EEDaSP_SQ_EUlSP_E_NS1_11comp_targetILNS1_3genE3ELNS1_11target_archE908ELNS1_3gpuE7ELNS1_3repE0EEENS1_30default_config_static_selectorELNS0_4arch9wavefront6targetE1EEEvT1_
	.globl	_ZN7rocprim17ROCPRIM_400000_NS6detail17trampoline_kernelINS0_14default_configENS1_20scan_config_selectorIsEEZZNS1_9scan_implILNS1_25lookback_scan_determinismE0ELb1ELb1ES3_N6thrust23THRUST_200600_302600_NS6detail15normal_iteratorINS9_10device_ptrIsEEEESE_sNS9_4plusIsEEsEEDaPvRmT3_T4_T5_mT6_P12ihipStream_tbENKUlT_T0_E_clISt17integral_constantIbLb1EESU_EEDaSP_SQ_EUlSP_E_NS1_11comp_targetILNS1_3genE3ELNS1_11target_archE908ELNS1_3gpuE7ELNS1_3repE0EEENS1_30default_config_static_selectorELNS0_4arch9wavefront6targetE1EEEvT1_
	.p2align	8
	.type	_ZN7rocprim17ROCPRIM_400000_NS6detail17trampoline_kernelINS0_14default_configENS1_20scan_config_selectorIsEEZZNS1_9scan_implILNS1_25lookback_scan_determinismE0ELb1ELb1ES3_N6thrust23THRUST_200600_302600_NS6detail15normal_iteratorINS9_10device_ptrIsEEEESE_sNS9_4plusIsEEsEEDaPvRmT3_T4_T5_mT6_P12ihipStream_tbENKUlT_T0_E_clISt17integral_constantIbLb1EESU_EEDaSP_SQ_EUlSP_E_NS1_11comp_targetILNS1_3genE3ELNS1_11target_archE908ELNS1_3gpuE7ELNS1_3repE0EEENS1_30default_config_static_selectorELNS0_4arch9wavefront6targetE1EEEvT1_,@function
_ZN7rocprim17ROCPRIM_400000_NS6detail17trampoline_kernelINS0_14default_configENS1_20scan_config_selectorIsEEZZNS1_9scan_implILNS1_25lookback_scan_determinismE0ELb1ELb1ES3_N6thrust23THRUST_200600_302600_NS6detail15normal_iteratorINS9_10device_ptrIsEEEESE_sNS9_4plusIsEEsEEDaPvRmT3_T4_T5_mT6_P12ihipStream_tbENKUlT_T0_E_clISt17integral_constantIbLb1EESU_EEDaSP_SQ_EUlSP_E_NS1_11comp_targetILNS1_3genE3ELNS1_11target_archE908ELNS1_3gpuE7ELNS1_3repE0EEENS1_30default_config_static_selectorELNS0_4arch9wavefront6targetE1EEEvT1_: ; @_ZN7rocprim17ROCPRIM_400000_NS6detail17trampoline_kernelINS0_14default_configENS1_20scan_config_selectorIsEEZZNS1_9scan_implILNS1_25lookback_scan_determinismE0ELb1ELb1ES3_N6thrust23THRUST_200600_302600_NS6detail15normal_iteratorINS9_10device_ptrIsEEEESE_sNS9_4plusIsEEsEEDaPvRmT3_T4_T5_mT6_P12ihipStream_tbENKUlT_T0_E_clISt17integral_constantIbLb1EESU_EEDaSP_SQ_EUlSP_E_NS1_11comp_targetILNS1_3genE3ELNS1_11target_archE908ELNS1_3gpuE7ELNS1_3repE0EEENS1_30default_config_static_selectorELNS0_4arch9wavefront6targetE1EEEvT1_
; %bb.0:
	.section	.rodata,"a",@progbits
	.p2align	6, 0x0
	.amdhsa_kernel _ZN7rocprim17ROCPRIM_400000_NS6detail17trampoline_kernelINS0_14default_configENS1_20scan_config_selectorIsEEZZNS1_9scan_implILNS1_25lookback_scan_determinismE0ELb1ELb1ES3_N6thrust23THRUST_200600_302600_NS6detail15normal_iteratorINS9_10device_ptrIsEEEESE_sNS9_4plusIsEEsEEDaPvRmT3_T4_T5_mT6_P12ihipStream_tbENKUlT_T0_E_clISt17integral_constantIbLb1EESU_EEDaSP_SQ_EUlSP_E_NS1_11comp_targetILNS1_3genE3ELNS1_11target_archE908ELNS1_3gpuE7ELNS1_3repE0EEENS1_30default_config_static_selectorELNS0_4arch9wavefront6targetE1EEEvT1_
		.amdhsa_group_segment_fixed_size 0
		.amdhsa_private_segment_fixed_size 0
		.amdhsa_kernarg_size 96
		.amdhsa_user_sgpr_count 6
		.amdhsa_user_sgpr_private_segment_buffer 1
		.amdhsa_user_sgpr_dispatch_ptr 0
		.amdhsa_user_sgpr_queue_ptr 0
		.amdhsa_user_sgpr_kernarg_segment_ptr 1
		.amdhsa_user_sgpr_dispatch_id 0
		.amdhsa_user_sgpr_flat_scratch_init 0
		.amdhsa_user_sgpr_kernarg_preload_length 0
		.amdhsa_user_sgpr_kernarg_preload_offset 0
		.amdhsa_user_sgpr_private_segment_size 0
		.amdhsa_uses_dynamic_stack 0
		.amdhsa_system_sgpr_private_segment_wavefront_offset 0
		.amdhsa_system_sgpr_workgroup_id_x 1
		.amdhsa_system_sgpr_workgroup_id_y 0
		.amdhsa_system_sgpr_workgroup_id_z 0
		.amdhsa_system_sgpr_workgroup_info 0
		.amdhsa_system_vgpr_workitem_id 0
		.amdhsa_next_free_vgpr 1
		.amdhsa_next_free_sgpr 0
		.amdhsa_accum_offset 4
		.amdhsa_reserve_vcc 0
		.amdhsa_reserve_flat_scratch 0
		.amdhsa_float_round_mode_32 0
		.amdhsa_float_round_mode_16_64 0
		.amdhsa_float_denorm_mode_32 3
		.amdhsa_float_denorm_mode_16_64 3
		.amdhsa_dx10_clamp 1
		.amdhsa_ieee_mode 1
		.amdhsa_fp16_overflow 0
		.amdhsa_tg_split 0
		.amdhsa_exception_fp_ieee_invalid_op 0
		.amdhsa_exception_fp_denorm_src 0
		.amdhsa_exception_fp_ieee_div_zero 0
		.amdhsa_exception_fp_ieee_overflow 0
		.amdhsa_exception_fp_ieee_underflow 0
		.amdhsa_exception_fp_ieee_inexact 0
		.amdhsa_exception_int_div_zero 0
	.end_amdhsa_kernel
	.section	.text._ZN7rocprim17ROCPRIM_400000_NS6detail17trampoline_kernelINS0_14default_configENS1_20scan_config_selectorIsEEZZNS1_9scan_implILNS1_25lookback_scan_determinismE0ELb1ELb1ES3_N6thrust23THRUST_200600_302600_NS6detail15normal_iteratorINS9_10device_ptrIsEEEESE_sNS9_4plusIsEEsEEDaPvRmT3_T4_T5_mT6_P12ihipStream_tbENKUlT_T0_E_clISt17integral_constantIbLb1EESU_EEDaSP_SQ_EUlSP_E_NS1_11comp_targetILNS1_3genE3ELNS1_11target_archE908ELNS1_3gpuE7ELNS1_3repE0EEENS1_30default_config_static_selectorELNS0_4arch9wavefront6targetE1EEEvT1_,"axG",@progbits,_ZN7rocprim17ROCPRIM_400000_NS6detail17trampoline_kernelINS0_14default_configENS1_20scan_config_selectorIsEEZZNS1_9scan_implILNS1_25lookback_scan_determinismE0ELb1ELb1ES3_N6thrust23THRUST_200600_302600_NS6detail15normal_iteratorINS9_10device_ptrIsEEEESE_sNS9_4plusIsEEsEEDaPvRmT3_T4_T5_mT6_P12ihipStream_tbENKUlT_T0_E_clISt17integral_constantIbLb1EESU_EEDaSP_SQ_EUlSP_E_NS1_11comp_targetILNS1_3genE3ELNS1_11target_archE908ELNS1_3gpuE7ELNS1_3repE0EEENS1_30default_config_static_selectorELNS0_4arch9wavefront6targetE1EEEvT1_,comdat
.Lfunc_end1216:
	.size	_ZN7rocprim17ROCPRIM_400000_NS6detail17trampoline_kernelINS0_14default_configENS1_20scan_config_selectorIsEEZZNS1_9scan_implILNS1_25lookback_scan_determinismE0ELb1ELb1ES3_N6thrust23THRUST_200600_302600_NS6detail15normal_iteratorINS9_10device_ptrIsEEEESE_sNS9_4plusIsEEsEEDaPvRmT3_T4_T5_mT6_P12ihipStream_tbENKUlT_T0_E_clISt17integral_constantIbLb1EESU_EEDaSP_SQ_EUlSP_E_NS1_11comp_targetILNS1_3genE3ELNS1_11target_archE908ELNS1_3gpuE7ELNS1_3repE0EEENS1_30default_config_static_selectorELNS0_4arch9wavefront6targetE1EEEvT1_, .Lfunc_end1216-_ZN7rocprim17ROCPRIM_400000_NS6detail17trampoline_kernelINS0_14default_configENS1_20scan_config_selectorIsEEZZNS1_9scan_implILNS1_25lookback_scan_determinismE0ELb1ELb1ES3_N6thrust23THRUST_200600_302600_NS6detail15normal_iteratorINS9_10device_ptrIsEEEESE_sNS9_4plusIsEEsEEDaPvRmT3_T4_T5_mT6_P12ihipStream_tbENKUlT_T0_E_clISt17integral_constantIbLb1EESU_EEDaSP_SQ_EUlSP_E_NS1_11comp_targetILNS1_3genE3ELNS1_11target_archE908ELNS1_3gpuE7ELNS1_3repE0EEENS1_30default_config_static_selectorELNS0_4arch9wavefront6targetE1EEEvT1_
                                        ; -- End function
	.section	.AMDGPU.csdata,"",@progbits
; Kernel info:
; codeLenInByte = 0
; NumSgprs: 4
; NumVgprs: 0
; NumAgprs: 0
; TotalNumVgprs: 0
; ScratchSize: 0
; MemoryBound: 0
; FloatMode: 240
; IeeeMode: 1
; LDSByteSize: 0 bytes/workgroup (compile time only)
; SGPRBlocks: 0
; VGPRBlocks: 0
; NumSGPRsForWavesPerEU: 4
; NumVGPRsForWavesPerEU: 1
; AccumOffset: 4
; Occupancy: 8
; WaveLimiterHint : 0
; COMPUTE_PGM_RSRC2:SCRATCH_EN: 0
; COMPUTE_PGM_RSRC2:USER_SGPR: 6
; COMPUTE_PGM_RSRC2:TRAP_HANDLER: 0
; COMPUTE_PGM_RSRC2:TGID_X_EN: 1
; COMPUTE_PGM_RSRC2:TGID_Y_EN: 0
; COMPUTE_PGM_RSRC2:TGID_Z_EN: 0
; COMPUTE_PGM_RSRC2:TIDIG_COMP_CNT: 0
; COMPUTE_PGM_RSRC3_GFX90A:ACCUM_OFFSET: 0
; COMPUTE_PGM_RSRC3_GFX90A:TG_SPLIT: 0
	.section	.text._ZN7rocprim17ROCPRIM_400000_NS6detail17trampoline_kernelINS0_14default_configENS1_20scan_config_selectorIsEEZZNS1_9scan_implILNS1_25lookback_scan_determinismE0ELb1ELb1ES3_N6thrust23THRUST_200600_302600_NS6detail15normal_iteratorINS9_10device_ptrIsEEEESE_sNS9_4plusIsEEsEEDaPvRmT3_T4_T5_mT6_P12ihipStream_tbENKUlT_T0_E_clISt17integral_constantIbLb1EESU_EEDaSP_SQ_EUlSP_E_NS1_11comp_targetILNS1_3genE2ELNS1_11target_archE906ELNS1_3gpuE6ELNS1_3repE0EEENS1_30default_config_static_selectorELNS0_4arch9wavefront6targetE1EEEvT1_,"axG",@progbits,_ZN7rocprim17ROCPRIM_400000_NS6detail17trampoline_kernelINS0_14default_configENS1_20scan_config_selectorIsEEZZNS1_9scan_implILNS1_25lookback_scan_determinismE0ELb1ELb1ES3_N6thrust23THRUST_200600_302600_NS6detail15normal_iteratorINS9_10device_ptrIsEEEESE_sNS9_4plusIsEEsEEDaPvRmT3_T4_T5_mT6_P12ihipStream_tbENKUlT_T0_E_clISt17integral_constantIbLb1EESU_EEDaSP_SQ_EUlSP_E_NS1_11comp_targetILNS1_3genE2ELNS1_11target_archE906ELNS1_3gpuE6ELNS1_3repE0EEENS1_30default_config_static_selectorELNS0_4arch9wavefront6targetE1EEEvT1_,comdat
	.protected	_ZN7rocprim17ROCPRIM_400000_NS6detail17trampoline_kernelINS0_14default_configENS1_20scan_config_selectorIsEEZZNS1_9scan_implILNS1_25lookback_scan_determinismE0ELb1ELb1ES3_N6thrust23THRUST_200600_302600_NS6detail15normal_iteratorINS9_10device_ptrIsEEEESE_sNS9_4plusIsEEsEEDaPvRmT3_T4_T5_mT6_P12ihipStream_tbENKUlT_T0_E_clISt17integral_constantIbLb1EESU_EEDaSP_SQ_EUlSP_E_NS1_11comp_targetILNS1_3genE2ELNS1_11target_archE906ELNS1_3gpuE6ELNS1_3repE0EEENS1_30default_config_static_selectorELNS0_4arch9wavefront6targetE1EEEvT1_ ; -- Begin function _ZN7rocprim17ROCPRIM_400000_NS6detail17trampoline_kernelINS0_14default_configENS1_20scan_config_selectorIsEEZZNS1_9scan_implILNS1_25lookback_scan_determinismE0ELb1ELb1ES3_N6thrust23THRUST_200600_302600_NS6detail15normal_iteratorINS9_10device_ptrIsEEEESE_sNS9_4plusIsEEsEEDaPvRmT3_T4_T5_mT6_P12ihipStream_tbENKUlT_T0_E_clISt17integral_constantIbLb1EESU_EEDaSP_SQ_EUlSP_E_NS1_11comp_targetILNS1_3genE2ELNS1_11target_archE906ELNS1_3gpuE6ELNS1_3repE0EEENS1_30default_config_static_selectorELNS0_4arch9wavefront6targetE1EEEvT1_
	.globl	_ZN7rocprim17ROCPRIM_400000_NS6detail17trampoline_kernelINS0_14default_configENS1_20scan_config_selectorIsEEZZNS1_9scan_implILNS1_25lookback_scan_determinismE0ELb1ELb1ES3_N6thrust23THRUST_200600_302600_NS6detail15normal_iteratorINS9_10device_ptrIsEEEESE_sNS9_4plusIsEEsEEDaPvRmT3_T4_T5_mT6_P12ihipStream_tbENKUlT_T0_E_clISt17integral_constantIbLb1EESU_EEDaSP_SQ_EUlSP_E_NS1_11comp_targetILNS1_3genE2ELNS1_11target_archE906ELNS1_3gpuE6ELNS1_3repE0EEENS1_30default_config_static_selectorELNS0_4arch9wavefront6targetE1EEEvT1_
	.p2align	8
	.type	_ZN7rocprim17ROCPRIM_400000_NS6detail17trampoline_kernelINS0_14default_configENS1_20scan_config_selectorIsEEZZNS1_9scan_implILNS1_25lookback_scan_determinismE0ELb1ELb1ES3_N6thrust23THRUST_200600_302600_NS6detail15normal_iteratorINS9_10device_ptrIsEEEESE_sNS9_4plusIsEEsEEDaPvRmT3_T4_T5_mT6_P12ihipStream_tbENKUlT_T0_E_clISt17integral_constantIbLb1EESU_EEDaSP_SQ_EUlSP_E_NS1_11comp_targetILNS1_3genE2ELNS1_11target_archE906ELNS1_3gpuE6ELNS1_3repE0EEENS1_30default_config_static_selectorELNS0_4arch9wavefront6targetE1EEEvT1_,@function
_ZN7rocprim17ROCPRIM_400000_NS6detail17trampoline_kernelINS0_14default_configENS1_20scan_config_selectorIsEEZZNS1_9scan_implILNS1_25lookback_scan_determinismE0ELb1ELb1ES3_N6thrust23THRUST_200600_302600_NS6detail15normal_iteratorINS9_10device_ptrIsEEEESE_sNS9_4plusIsEEsEEDaPvRmT3_T4_T5_mT6_P12ihipStream_tbENKUlT_T0_E_clISt17integral_constantIbLb1EESU_EEDaSP_SQ_EUlSP_E_NS1_11comp_targetILNS1_3genE2ELNS1_11target_archE906ELNS1_3gpuE6ELNS1_3repE0EEENS1_30default_config_static_selectorELNS0_4arch9wavefront6targetE1EEEvT1_: ; @_ZN7rocprim17ROCPRIM_400000_NS6detail17trampoline_kernelINS0_14default_configENS1_20scan_config_selectorIsEEZZNS1_9scan_implILNS1_25lookback_scan_determinismE0ELb1ELb1ES3_N6thrust23THRUST_200600_302600_NS6detail15normal_iteratorINS9_10device_ptrIsEEEESE_sNS9_4plusIsEEsEEDaPvRmT3_T4_T5_mT6_P12ihipStream_tbENKUlT_T0_E_clISt17integral_constantIbLb1EESU_EEDaSP_SQ_EUlSP_E_NS1_11comp_targetILNS1_3genE2ELNS1_11target_archE906ELNS1_3gpuE6ELNS1_3repE0EEENS1_30default_config_static_selectorELNS0_4arch9wavefront6targetE1EEEvT1_
; %bb.0:
	.section	.rodata,"a",@progbits
	.p2align	6, 0x0
	.amdhsa_kernel _ZN7rocprim17ROCPRIM_400000_NS6detail17trampoline_kernelINS0_14default_configENS1_20scan_config_selectorIsEEZZNS1_9scan_implILNS1_25lookback_scan_determinismE0ELb1ELb1ES3_N6thrust23THRUST_200600_302600_NS6detail15normal_iteratorINS9_10device_ptrIsEEEESE_sNS9_4plusIsEEsEEDaPvRmT3_T4_T5_mT6_P12ihipStream_tbENKUlT_T0_E_clISt17integral_constantIbLb1EESU_EEDaSP_SQ_EUlSP_E_NS1_11comp_targetILNS1_3genE2ELNS1_11target_archE906ELNS1_3gpuE6ELNS1_3repE0EEENS1_30default_config_static_selectorELNS0_4arch9wavefront6targetE1EEEvT1_
		.amdhsa_group_segment_fixed_size 0
		.amdhsa_private_segment_fixed_size 0
		.amdhsa_kernarg_size 96
		.amdhsa_user_sgpr_count 6
		.amdhsa_user_sgpr_private_segment_buffer 1
		.amdhsa_user_sgpr_dispatch_ptr 0
		.amdhsa_user_sgpr_queue_ptr 0
		.amdhsa_user_sgpr_kernarg_segment_ptr 1
		.amdhsa_user_sgpr_dispatch_id 0
		.amdhsa_user_sgpr_flat_scratch_init 0
		.amdhsa_user_sgpr_kernarg_preload_length 0
		.amdhsa_user_sgpr_kernarg_preload_offset 0
		.amdhsa_user_sgpr_private_segment_size 0
		.amdhsa_uses_dynamic_stack 0
		.amdhsa_system_sgpr_private_segment_wavefront_offset 0
		.amdhsa_system_sgpr_workgroup_id_x 1
		.amdhsa_system_sgpr_workgroup_id_y 0
		.amdhsa_system_sgpr_workgroup_id_z 0
		.amdhsa_system_sgpr_workgroup_info 0
		.amdhsa_system_vgpr_workitem_id 0
		.amdhsa_next_free_vgpr 1
		.amdhsa_next_free_sgpr 0
		.amdhsa_accum_offset 4
		.amdhsa_reserve_vcc 0
		.amdhsa_reserve_flat_scratch 0
		.amdhsa_float_round_mode_32 0
		.amdhsa_float_round_mode_16_64 0
		.amdhsa_float_denorm_mode_32 3
		.amdhsa_float_denorm_mode_16_64 3
		.amdhsa_dx10_clamp 1
		.amdhsa_ieee_mode 1
		.amdhsa_fp16_overflow 0
		.amdhsa_tg_split 0
		.amdhsa_exception_fp_ieee_invalid_op 0
		.amdhsa_exception_fp_denorm_src 0
		.amdhsa_exception_fp_ieee_div_zero 0
		.amdhsa_exception_fp_ieee_overflow 0
		.amdhsa_exception_fp_ieee_underflow 0
		.amdhsa_exception_fp_ieee_inexact 0
		.amdhsa_exception_int_div_zero 0
	.end_amdhsa_kernel
	.section	.text._ZN7rocprim17ROCPRIM_400000_NS6detail17trampoline_kernelINS0_14default_configENS1_20scan_config_selectorIsEEZZNS1_9scan_implILNS1_25lookback_scan_determinismE0ELb1ELb1ES3_N6thrust23THRUST_200600_302600_NS6detail15normal_iteratorINS9_10device_ptrIsEEEESE_sNS9_4plusIsEEsEEDaPvRmT3_T4_T5_mT6_P12ihipStream_tbENKUlT_T0_E_clISt17integral_constantIbLb1EESU_EEDaSP_SQ_EUlSP_E_NS1_11comp_targetILNS1_3genE2ELNS1_11target_archE906ELNS1_3gpuE6ELNS1_3repE0EEENS1_30default_config_static_selectorELNS0_4arch9wavefront6targetE1EEEvT1_,"axG",@progbits,_ZN7rocprim17ROCPRIM_400000_NS6detail17trampoline_kernelINS0_14default_configENS1_20scan_config_selectorIsEEZZNS1_9scan_implILNS1_25lookback_scan_determinismE0ELb1ELb1ES3_N6thrust23THRUST_200600_302600_NS6detail15normal_iteratorINS9_10device_ptrIsEEEESE_sNS9_4plusIsEEsEEDaPvRmT3_T4_T5_mT6_P12ihipStream_tbENKUlT_T0_E_clISt17integral_constantIbLb1EESU_EEDaSP_SQ_EUlSP_E_NS1_11comp_targetILNS1_3genE2ELNS1_11target_archE906ELNS1_3gpuE6ELNS1_3repE0EEENS1_30default_config_static_selectorELNS0_4arch9wavefront6targetE1EEEvT1_,comdat
.Lfunc_end1217:
	.size	_ZN7rocprim17ROCPRIM_400000_NS6detail17trampoline_kernelINS0_14default_configENS1_20scan_config_selectorIsEEZZNS1_9scan_implILNS1_25lookback_scan_determinismE0ELb1ELb1ES3_N6thrust23THRUST_200600_302600_NS6detail15normal_iteratorINS9_10device_ptrIsEEEESE_sNS9_4plusIsEEsEEDaPvRmT3_T4_T5_mT6_P12ihipStream_tbENKUlT_T0_E_clISt17integral_constantIbLb1EESU_EEDaSP_SQ_EUlSP_E_NS1_11comp_targetILNS1_3genE2ELNS1_11target_archE906ELNS1_3gpuE6ELNS1_3repE0EEENS1_30default_config_static_selectorELNS0_4arch9wavefront6targetE1EEEvT1_, .Lfunc_end1217-_ZN7rocprim17ROCPRIM_400000_NS6detail17trampoline_kernelINS0_14default_configENS1_20scan_config_selectorIsEEZZNS1_9scan_implILNS1_25lookback_scan_determinismE0ELb1ELb1ES3_N6thrust23THRUST_200600_302600_NS6detail15normal_iteratorINS9_10device_ptrIsEEEESE_sNS9_4plusIsEEsEEDaPvRmT3_T4_T5_mT6_P12ihipStream_tbENKUlT_T0_E_clISt17integral_constantIbLb1EESU_EEDaSP_SQ_EUlSP_E_NS1_11comp_targetILNS1_3genE2ELNS1_11target_archE906ELNS1_3gpuE6ELNS1_3repE0EEENS1_30default_config_static_selectorELNS0_4arch9wavefront6targetE1EEEvT1_
                                        ; -- End function
	.section	.AMDGPU.csdata,"",@progbits
; Kernel info:
; codeLenInByte = 0
; NumSgprs: 4
; NumVgprs: 0
; NumAgprs: 0
; TotalNumVgprs: 0
; ScratchSize: 0
; MemoryBound: 0
; FloatMode: 240
; IeeeMode: 1
; LDSByteSize: 0 bytes/workgroup (compile time only)
; SGPRBlocks: 0
; VGPRBlocks: 0
; NumSGPRsForWavesPerEU: 4
; NumVGPRsForWavesPerEU: 1
; AccumOffset: 4
; Occupancy: 8
; WaveLimiterHint : 0
; COMPUTE_PGM_RSRC2:SCRATCH_EN: 0
; COMPUTE_PGM_RSRC2:USER_SGPR: 6
; COMPUTE_PGM_RSRC2:TRAP_HANDLER: 0
; COMPUTE_PGM_RSRC2:TGID_X_EN: 1
; COMPUTE_PGM_RSRC2:TGID_Y_EN: 0
; COMPUTE_PGM_RSRC2:TGID_Z_EN: 0
; COMPUTE_PGM_RSRC2:TIDIG_COMP_CNT: 0
; COMPUTE_PGM_RSRC3_GFX90A:ACCUM_OFFSET: 0
; COMPUTE_PGM_RSRC3_GFX90A:TG_SPLIT: 0
	.section	.text._ZN7rocprim17ROCPRIM_400000_NS6detail17trampoline_kernelINS0_14default_configENS1_20scan_config_selectorIsEEZZNS1_9scan_implILNS1_25lookback_scan_determinismE0ELb1ELb1ES3_N6thrust23THRUST_200600_302600_NS6detail15normal_iteratorINS9_10device_ptrIsEEEESE_sNS9_4plusIsEEsEEDaPvRmT3_T4_T5_mT6_P12ihipStream_tbENKUlT_T0_E_clISt17integral_constantIbLb1EESU_EEDaSP_SQ_EUlSP_E_NS1_11comp_targetILNS1_3genE10ELNS1_11target_archE1201ELNS1_3gpuE5ELNS1_3repE0EEENS1_30default_config_static_selectorELNS0_4arch9wavefront6targetE1EEEvT1_,"axG",@progbits,_ZN7rocprim17ROCPRIM_400000_NS6detail17trampoline_kernelINS0_14default_configENS1_20scan_config_selectorIsEEZZNS1_9scan_implILNS1_25lookback_scan_determinismE0ELb1ELb1ES3_N6thrust23THRUST_200600_302600_NS6detail15normal_iteratorINS9_10device_ptrIsEEEESE_sNS9_4plusIsEEsEEDaPvRmT3_T4_T5_mT6_P12ihipStream_tbENKUlT_T0_E_clISt17integral_constantIbLb1EESU_EEDaSP_SQ_EUlSP_E_NS1_11comp_targetILNS1_3genE10ELNS1_11target_archE1201ELNS1_3gpuE5ELNS1_3repE0EEENS1_30default_config_static_selectorELNS0_4arch9wavefront6targetE1EEEvT1_,comdat
	.protected	_ZN7rocprim17ROCPRIM_400000_NS6detail17trampoline_kernelINS0_14default_configENS1_20scan_config_selectorIsEEZZNS1_9scan_implILNS1_25lookback_scan_determinismE0ELb1ELb1ES3_N6thrust23THRUST_200600_302600_NS6detail15normal_iteratorINS9_10device_ptrIsEEEESE_sNS9_4plusIsEEsEEDaPvRmT3_T4_T5_mT6_P12ihipStream_tbENKUlT_T0_E_clISt17integral_constantIbLb1EESU_EEDaSP_SQ_EUlSP_E_NS1_11comp_targetILNS1_3genE10ELNS1_11target_archE1201ELNS1_3gpuE5ELNS1_3repE0EEENS1_30default_config_static_selectorELNS0_4arch9wavefront6targetE1EEEvT1_ ; -- Begin function _ZN7rocprim17ROCPRIM_400000_NS6detail17trampoline_kernelINS0_14default_configENS1_20scan_config_selectorIsEEZZNS1_9scan_implILNS1_25lookback_scan_determinismE0ELb1ELb1ES3_N6thrust23THRUST_200600_302600_NS6detail15normal_iteratorINS9_10device_ptrIsEEEESE_sNS9_4plusIsEEsEEDaPvRmT3_T4_T5_mT6_P12ihipStream_tbENKUlT_T0_E_clISt17integral_constantIbLb1EESU_EEDaSP_SQ_EUlSP_E_NS1_11comp_targetILNS1_3genE10ELNS1_11target_archE1201ELNS1_3gpuE5ELNS1_3repE0EEENS1_30default_config_static_selectorELNS0_4arch9wavefront6targetE1EEEvT1_
	.globl	_ZN7rocprim17ROCPRIM_400000_NS6detail17trampoline_kernelINS0_14default_configENS1_20scan_config_selectorIsEEZZNS1_9scan_implILNS1_25lookback_scan_determinismE0ELb1ELb1ES3_N6thrust23THRUST_200600_302600_NS6detail15normal_iteratorINS9_10device_ptrIsEEEESE_sNS9_4plusIsEEsEEDaPvRmT3_T4_T5_mT6_P12ihipStream_tbENKUlT_T0_E_clISt17integral_constantIbLb1EESU_EEDaSP_SQ_EUlSP_E_NS1_11comp_targetILNS1_3genE10ELNS1_11target_archE1201ELNS1_3gpuE5ELNS1_3repE0EEENS1_30default_config_static_selectorELNS0_4arch9wavefront6targetE1EEEvT1_
	.p2align	8
	.type	_ZN7rocprim17ROCPRIM_400000_NS6detail17trampoline_kernelINS0_14default_configENS1_20scan_config_selectorIsEEZZNS1_9scan_implILNS1_25lookback_scan_determinismE0ELb1ELb1ES3_N6thrust23THRUST_200600_302600_NS6detail15normal_iteratorINS9_10device_ptrIsEEEESE_sNS9_4plusIsEEsEEDaPvRmT3_T4_T5_mT6_P12ihipStream_tbENKUlT_T0_E_clISt17integral_constantIbLb1EESU_EEDaSP_SQ_EUlSP_E_NS1_11comp_targetILNS1_3genE10ELNS1_11target_archE1201ELNS1_3gpuE5ELNS1_3repE0EEENS1_30default_config_static_selectorELNS0_4arch9wavefront6targetE1EEEvT1_,@function
_ZN7rocprim17ROCPRIM_400000_NS6detail17trampoline_kernelINS0_14default_configENS1_20scan_config_selectorIsEEZZNS1_9scan_implILNS1_25lookback_scan_determinismE0ELb1ELb1ES3_N6thrust23THRUST_200600_302600_NS6detail15normal_iteratorINS9_10device_ptrIsEEEESE_sNS9_4plusIsEEsEEDaPvRmT3_T4_T5_mT6_P12ihipStream_tbENKUlT_T0_E_clISt17integral_constantIbLb1EESU_EEDaSP_SQ_EUlSP_E_NS1_11comp_targetILNS1_3genE10ELNS1_11target_archE1201ELNS1_3gpuE5ELNS1_3repE0EEENS1_30default_config_static_selectorELNS0_4arch9wavefront6targetE1EEEvT1_: ; @_ZN7rocprim17ROCPRIM_400000_NS6detail17trampoline_kernelINS0_14default_configENS1_20scan_config_selectorIsEEZZNS1_9scan_implILNS1_25lookback_scan_determinismE0ELb1ELb1ES3_N6thrust23THRUST_200600_302600_NS6detail15normal_iteratorINS9_10device_ptrIsEEEESE_sNS9_4plusIsEEsEEDaPvRmT3_T4_T5_mT6_P12ihipStream_tbENKUlT_T0_E_clISt17integral_constantIbLb1EESU_EEDaSP_SQ_EUlSP_E_NS1_11comp_targetILNS1_3genE10ELNS1_11target_archE1201ELNS1_3gpuE5ELNS1_3repE0EEENS1_30default_config_static_selectorELNS0_4arch9wavefront6targetE1EEEvT1_
; %bb.0:
	.section	.rodata,"a",@progbits
	.p2align	6, 0x0
	.amdhsa_kernel _ZN7rocprim17ROCPRIM_400000_NS6detail17trampoline_kernelINS0_14default_configENS1_20scan_config_selectorIsEEZZNS1_9scan_implILNS1_25lookback_scan_determinismE0ELb1ELb1ES3_N6thrust23THRUST_200600_302600_NS6detail15normal_iteratorINS9_10device_ptrIsEEEESE_sNS9_4plusIsEEsEEDaPvRmT3_T4_T5_mT6_P12ihipStream_tbENKUlT_T0_E_clISt17integral_constantIbLb1EESU_EEDaSP_SQ_EUlSP_E_NS1_11comp_targetILNS1_3genE10ELNS1_11target_archE1201ELNS1_3gpuE5ELNS1_3repE0EEENS1_30default_config_static_selectorELNS0_4arch9wavefront6targetE1EEEvT1_
		.amdhsa_group_segment_fixed_size 0
		.amdhsa_private_segment_fixed_size 0
		.amdhsa_kernarg_size 96
		.amdhsa_user_sgpr_count 6
		.amdhsa_user_sgpr_private_segment_buffer 1
		.amdhsa_user_sgpr_dispatch_ptr 0
		.amdhsa_user_sgpr_queue_ptr 0
		.amdhsa_user_sgpr_kernarg_segment_ptr 1
		.amdhsa_user_sgpr_dispatch_id 0
		.amdhsa_user_sgpr_flat_scratch_init 0
		.amdhsa_user_sgpr_kernarg_preload_length 0
		.amdhsa_user_sgpr_kernarg_preload_offset 0
		.amdhsa_user_sgpr_private_segment_size 0
		.amdhsa_uses_dynamic_stack 0
		.amdhsa_system_sgpr_private_segment_wavefront_offset 0
		.amdhsa_system_sgpr_workgroup_id_x 1
		.amdhsa_system_sgpr_workgroup_id_y 0
		.amdhsa_system_sgpr_workgroup_id_z 0
		.amdhsa_system_sgpr_workgroup_info 0
		.amdhsa_system_vgpr_workitem_id 0
		.amdhsa_next_free_vgpr 1
		.amdhsa_next_free_sgpr 0
		.amdhsa_accum_offset 4
		.amdhsa_reserve_vcc 0
		.amdhsa_reserve_flat_scratch 0
		.amdhsa_float_round_mode_32 0
		.amdhsa_float_round_mode_16_64 0
		.amdhsa_float_denorm_mode_32 3
		.amdhsa_float_denorm_mode_16_64 3
		.amdhsa_dx10_clamp 1
		.amdhsa_ieee_mode 1
		.amdhsa_fp16_overflow 0
		.amdhsa_tg_split 0
		.amdhsa_exception_fp_ieee_invalid_op 0
		.amdhsa_exception_fp_denorm_src 0
		.amdhsa_exception_fp_ieee_div_zero 0
		.amdhsa_exception_fp_ieee_overflow 0
		.amdhsa_exception_fp_ieee_underflow 0
		.amdhsa_exception_fp_ieee_inexact 0
		.amdhsa_exception_int_div_zero 0
	.end_amdhsa_kernel
	.section	.text._ZN7rocprim17ROCPRIM_400000_NS6detail17trampoline_kernelINS0_14default_configENS1_20scan_config_selectorIsEEZZNS1_9scan_implILNS1_25lookback_scan_determinismE0ELb1ELb1ES3_N6thrust23THRUST_200600_302600_NS6detail15normal_iteratorINS9_10device_ptrIsEEEESE_sNS9_4plusIsEEsEEDaPvRmT3_T4_T5_mT6_P12ihipStream_tbENKUlT_T0_E_clISt17integral_constantIbLb1EESU_EEDaSP_SQ_EUlSP_E_NS1_11comp_targetILNS1_3genE10ELNS1_11target_archE1201ELNS1_3gpuE5ELNS1_3repE0EEENS1_30default_config_static_selectorELNS0_4arch9wavefront6targetE1EEEvT1_,"axG",@progbits,_ZN7rocprim17ROCPRIM_400000_NS6detail17trampoline_kernelINS0_14default_configENS1_20scan_config_selectorIsEEZZNS1_9scan_implILNS1_25lookback_scan_determinismE0ELb1ELb1ES3_N6thrust23THRUST_200600_302600_NS6detail15normal_iteratorINS9_10device_ptrIsEEEESE_sNS9_4plusIsEEsEEDaPvRmT3_T4_T5_mT6_P12ihipStream_tbENKUlT_T0_E_clISt17integral_constantIbLb1EESU_EEDaSP_SQ_EUlSP_E_NS1_11comp_targetILNS1_3genE10ELNS1_11target_archE1201ELNS1_3gpuE5ELNS1_3repE0EEENS1_30default_config_static_selectorELNS0_4arch9wavefront6targetE1EEEvT1_,comdat
.Lfunc_end1218:
	.size	_ZN7rocprim17ROCPRIM_400000_NS6detail17trampoline_kernelINS0_14default_configENS1_20scan_config_selectorIsEEZZNS1_9scan_implILNS1_25lookback_scan_determinismE0ELb1ELb1ES3_N6thrust23THRUST_200600_302600_NS6detail15normal_iteratorINS9_10device_ptrIsEEEESE_sNS9_4plusIsEEsEEDaPvRmT3_T4_T5_mT6_P12ihipStream_tbENKUlT_T0_E_clISt17integral_constantIbLb1EESU_EEDaSP_SQ_EUlSP_E_NS1_11comp_targetILNS1_3genE10ELNS1_11target_archE1201ELNS1_3gpuE5ELNS1_3repE0EEENS1_30default_config_static_selectorELNS0_4arch9wavefront6targetE1EEEvT1_, .Lfunc_end1218-_ZN7rocprim17ROCPRIM_400000_NS6detail17trampoline_kernelINS0_14default_configENS1_20scan_config_selectorIsEEZZNS1_9scan_implILNS1_25lookback_scan_determinismE0ELb1ELb1ES3_N6thrust23THRUST_200600_302600_NS6detail15normal_iteratorINS9_10device_ptrIsEEEESE_sNS9_4plusIsEEsEEDaPvRmT3_T4_T5_mT6_P12ihipStream_tbENKUlT_T0_E_clISt17integral_constantIbLb1EESU_EEDaSP_SQ_EUlSP_E_NS1_11comp_targetILNS1_3genE10ELNS1_11target_archE1201ELNS1_3gpuE5ELNS1_3repE0EEENS1_30default_config_static_selectorELNS0_4arch9wavefront6targetE1EEEvT1_
                                        ; -- End function
	.section	.AMDGPU.csdata,"",@progbits
; Kernel info:
; codeLenInByte = 0
; NumSgprs: 4
; NumVgprs: 0
; NumAgprs: 0
; TotalNumVgprs: 0
; ScratchSize: 0
; MemoryBound: 0
; FloatMode: 240
; IeeeMode: 1
; LDSByteSize: 0 bytes/workgroup (compile time only)
; SGPRBlocks: 0
; VGPRBlocks: 0
; NumSGPRsForWavesPerEU: 4
; NumVGPRsForWavesPerEU: 1
; AccumOffset: 4
; Occupancy: 8
; WaveLimiterHint : 0
; COMPUTE_PGM_RSRC2:SCRATCH_EN: 0
; COMPUTE_PGM_RSRC2:USER_SGPR: 6
; COMPUTE_PGM_RSRC2:TRAP_HANDLER: 0
; COMPUTE_PGM_RSRC2:TGID_X_EN: 1
; COMPUTE_PGM_RSRC2:TGID_Y_EN: 0
; COMPUTE_PGM_RSRC2:TGID_Z_EN: 0
; COMPUTE_PGM_RSRC2:TIDIG_COMP_CNT: 0
; COMPUTE_PGM_RSRC3_GFX90A:ACCUM_OFFSET: 0
; COMPUTE_PGM_RSRC3_GFX90A:TG_SPLIT: 0
	.section	.text._ZN7rocprim17ROCPRIM_400000_NS6detail17trampoline_kernelINS0_14default_configENS1_20scan_config_selectorIsEEZZNS1_9scan_implILNS1_25lookback_scan_determinismE0ELb1ELb1ES3_N6thrust23THRUST_200600_302600_NS6detail15normal_iteratorINS9_10device_ptrIsEEEESE_sNS9_4plusIsEEsEEDaPvRmT3_T4_T5_mT6_P12ihipStream_tbENKUlT_T0_E_clISt17integral_constantIbLb1EESU_EEDaSP_SQ_EUlSP_E_NS1_11comp_targetILNS1_3genE10ELNS1_11target_archE1200ELNS1_3gpuE4ELNS1_3repE0EEENS1_30default_config_static_selectorELNS0_4arch9wavefront6targetE1EEEvT1_,"axG",@progbits,_ZN7rocprim17ROCPRIM_400000_NS6detail17trampoline_kernelINS0_14default_configENS1_20scan_config_selectorIsEEZZNS1_9scan_implILNS1_25lookback_scan_determinismE0ELb1ELb1ES3_N6thrust23THRUST_200600_302600_NS6detail15normal_iteratorINS9_10device_ptrIsEEEESE_sNS9_4plusIsEEsEEDaPvRmT3_T4_T5_mT6_P12ihipStream_tbENKUlT_T0_E_clISt17integral_constantIbLb1EESU_EEDaSP_SQ_EUlSP_E_NS1_11comp_targetILNS1_3genE10ELNS1_11target_archE1200ELNS1_3gpuE4ELNS1_3repE0EEENS1_30default_config_static_selectorELNS0_4arch9wavefront6targetE1EEEvT1_,comdat
	.protected	_ZN7rocprim17ROCPRIM_400000_NS6detail17trampoline_kernelINS0_14default_configENS1_20scan_config_selectorIsEEZZNS1_9scan_implILNS1_25lookback_scan_determinismE0ELb1ELb1ES3_N6thrust23THRUST_200600_302600_NS6detail15normal_iteratorINS9_10device_ptrIsEEEESE_sNS9_4plusIsEEsEEDaPvRmT3_T4_T5_mT6_P12ihipStream_tbENKUlT_T0_E_clISt17integral_constantIbLb1EESU_EEDaSP_SQ_EUlSP_E_NS1_11comp_targetILNS1_3genE10ELNS1_11target_archE1200ELNS1_3gpuE4ELNS1_3repE0EEENS1_30default_config_static_selectorELNS0_4arch9wavefront6targetE1EEEvT1_ ; -- Begin function _ZN7rocprim17ROCPRIM_400000_NS6detail17trampoline_kernelINS0_14default_configENS1_20scan_config_selectorIsEEZZNS1_9scan_implILNS1_25lookback_scan_determinismE0ELb1ELb1ES3_N6thrust23THRUST_200600_302600_NS6detail15normal_iteratorINS9_10device_ptrIsEEEESE_sNS9_4plusIsEEsEEDaPvRmT3_T4_T5_mT6_P12ihipStream_tbENKUlT_T0_E_clISt17integral_constantIbLb1EESU_EEDaSP_SQ_EUlSP_E_NS1_11comp_targetILNS1_3genE10ELNS1_11target_archE1200ELNS1_3gpuE4ELNS1_3repE0EEENS1_30default_config_static_selectorELNS0_4arch9wavefront6targetE1EEEvT1_
	.globl	_ZN7rocprim17ROCPRIM_400000_NS6detail17trampoline_kernelINS0_14default_configENS1_20scan_config_selectorIsEEZZNS1_9scan_implILNS1_25lookback_scan_determinismE0ELb1ELb1ES3_N6thrust23THRUST_200600_302600_NS6detail15normal_iteratorINS9_10device_ptrIsEEEESE_sNS9_4plusIsEEsEEDaPvRmT3_T4_T5_mT6_P12ihipStream_tbENKUlT_T0_E_clISt17integral_constantIbLb1EESU_EEDaSP_SQ_EUlSP_E_NS1_11comp_targetILNS1_3genE10ELNS1_11target_archE1200ELNS1_3gpuE4ELNS1_3repE0EEENS1_30default_config_static_selectorELNS0_4arch9wavefront6targetE1EEEvT1_
	.p2align	8
	.type	_ZN7rocprim17ROCPRIM_400000_NS6detail17trampoline_kernelINS0_14default_configENS1_20scan_config_selectorIsEEZZNS1_9scan_implILNS1_25lookback_scan_determinismE0ELb1ELb1ES3_N6thrust23THRUST_200600_302600_NS6detail15normal_iteratorINS9_10device_ptrIsEEEESE_sNS9_4plusIsEEsEEDaPvRmT3_T4_T5_mT6_P12ihipStream_tbENKUlT_T0_E_clISt17integral_constantIbLb1EESU_EEDaSP_SQ_EUlSP_E_NS1_11comp_targetILNS1_3genE10ELNS1_11target_archE1200ELNS1_3gpuE4ELNS1_3repE0EEENS1_30default_config_static_selectorELNS0_4arch9wavefront6targetE1EEEvT1_,@function
_ZN7rocprim17ROCPRIM_400000_NS6detail17trampoline_kernelINS0_14default_configENS1_20scan_config_selectorIsEEZZNS1_9scan_implILNS1_25lookback_scan_determinismE0ELb1ELb1ES3_N6thrust23THRUST_200600_302600_NS6detail15normal_iteratorINS9_10device_ptrIsEEEESE_sNS9_4plusIsEEsEEDaPvRmT3_T4_T5_mT6_P12ihipStream_tbENKUlT_T0_E_clISt17integral_constantIbLb1EESU_EEDaSP_SQ_EUlSP_E_NS1_11comp_targetILNS1_3genE10ELNS1_11target_archE1200ELNS1_3gpuE4ELNS1_3repE0EEENS1_30default_config_static_selectorELNS0_4arch9wavefront6targetE1EEEvT1_: ; @_ZN7rocprim17ROCPRIM_400000_NS6detail17trampoline_kernelINS0_14default_configENS1_20scan_config_selectorIsEEZZNS1_9scan_implILNS1_25lookback_scan_determinismE0ELb1ELb1ES3_N6thrust23THRUST_200600_302600_NS6detail15normal_iteratorINS9_10device_ptrIsEEEESE_sNS9_4plusIsEEsEEDaPvRmT3_T4_T5_mT6_P12ihipStream_tbENKUlT_T0_E_clISt17integral_constantIbLb1EESU_EEDaSP_SQ_EUlSP_E_NS1_11comp_targetILNS1_3genE10ELNS1_11target_archE1200ELNS1_3gpuE4ELNS1_3repE0EEENS1_30default_config_static_selectorELNS0_4arch9wavefront6targetE1EEEvT1_
; %bb.0:
	.section	.rodata,"a",@progbits
	.p2align	6, 0x0
	.amdhsa_kernel _ZN7rocprim17ROCPRIM_400000_NS6detail17trampoline_kernelINS0_14default_configENS1_20scan_config_selectorIsEEZZNS1_9scan_implILNS1_25lookback_scan_determinismE0ELb1ELb1ES3_N6thrust23THRUST_200600_302600_NS6detail15normal_iteratorINS9_10device_ptrIsEEEESE_sNS9_4plusIsEEsEEDaPvRmT3_T4_T5_mT6_P12ihipStream_tbENKUlT_T0_E_clISt17integral_constantIbLb1EESU_EEDaSP_SQ_EUlSP_E_NS1_11comp_targetILNS1_3genE10ELNS1_11target_archE1200ELNS1_3gpuE4ELNS1_3repE0EEENS1_30default_config_static_selectorELNS0_4arch9wavefront6targetE1EEEvT1_
		.amdhsa_group_segment_fixed_size 0
		.amdhsa_private_segment_fixed_size 0
		.amdhsa_kernarg_size 96
		.amdhsa_user_sgpr_count 6
		.amdhsa_user_sgpr_private_segment_buffer 1
		.amdhsa_user_sgpr_dispatch_ptr 0
		.amdhsa_user_sgpr_queue_ptr 0
		.amdhsa_user_sgpr_kernarg_segment_ptr 1
		.amdhsa_user_sgpr_dispatch_id 0
		.amdhsa_user_sgpr_flat_scratch_init 0
		.amdhsa_user_sgpr_kernarg_preload_length 0
		.amdhsa_user_sgpr_kernarg_preload_offset 0
		.amdhsa_user_sgpr_private_segment_size 0
		.amdhsa_uses_dynamic_stack 0
		.amdhsa_system_sgpr_private_segment_wavefront_offset 0
		.amdhsa_system_sgpr_workgroup_id_x 1
		.amdhsa_system_sgpr_workgroup_id_y 0
		.amdhsa_system_sgpr_workgroup_id_z 0
		.amdhsa_system_sgpr_workgroup_info 0
		.amdhsa_system_vgpr_workitem_id 0
		.amdhsa_next_free_vgpr 1
		.amdhsa_next_free_sgpr 0
		.amdhsa_accum_offset 4
		.amdhsa_reserve_vcc 0
		.amdhsa_reserve_flat_scratch 0
		.amdhsa_float_round_mode_32 0
		.amdhsa_float_round_mode_16_64 0
		.amdhsa_float_denorm_mode_32 3
		.amdhsa_float_denorm_mode_16_64 3
		.amdhsa_dx10_clamp 1
		.amdhsa_ieee_mode 1
		.amdhsa_fp16_overflow 0
		.amdhsa_tg_split 0
		.amdhsa_exception_fp_ieee_invalid_op 0
		.amdhsa_exception_fp_denorm_src 0
		.amdhsa_exception_fp_ieee_div_zero 0
		.amdhsa_exception_fp_ieee_overflow 0
		.amdhsa_exception_fp_ieee_underflow 0
		.amdhsa_exception_fp_ieee_inexact 0
		.amdhsa_exception_int_div_zero 0
	.end_amdhsa_kernel
	.section	.text._ZN7rocprim17ROCPRIM_400000_NS6detail17trampoline_kernelINS0_14default_configENS1_20scan_config_selectorIsEEZZNS1_9scan_implILNS1_25lookback_scan_determinismE0ELb1ELb1ES3_N6thrust23THRUST_200600_302600_NS6detail15normal_iteratorINS9_10device_ptrIsEEEESE_sNS9_4plusIsEEsEEDaPvRmT3_T4_T5_mT6_P12ihipStream_tbENKUlT_T0_E_clISt17integral_constantIbLb1EESU_EEDaSP_SQ_EUlSP_E_NS1_11comp_targetILNS1_3genE10ELNS1_11target_archE1200ELNS1_3gpuE4ELNS1_3repE0EEENS1_30default_config_static_selectorELNS0_4arch9wavefront6targetE1EEEvT1_,"axG",@progbits,_ZN7rocprim17ROCPRIM_400000_NS6detail17trampoline_kernelINS0_14default_configENS1_20scan_config_selectorIsEEZZNS1_9scan_implILNS1_25lookback_scan_determinismE0ELb1ELb1ES3_N6thrust23THRUST_200600_302600_NS6detail15normal_iteratorINS9_10device_ptrIsEEEESE_sNS9_4plusIsEEsEEDaPvRmT3_T4_T5_mT6_P12ihipStream_tbENKUlT_T0_E_clISt17integral_constantIbLb1EESU_EEDaSP_SQ_EUlSP_E_NS1_11comp_targetILNS1_3genE10ELNS1_11target_archE1200ELNS1_3gpuE4ELNS1_3repE0EEENS1_30default_config_static_selectorELNS0_4arch9wavefront6targetE1EEEvT1_,comdat
.Lfunc_end1219:
	.size	_ZN7rocprim17ROCPRIM_400000_NS6detail17trampoline_kernelINS0_14default_configENS1_20scan_config_selectorIsEEZZNS1_9scan_implILNS1_25lookback_scan_determinismE0ELb1ELb1ES3_N6thrust23THRUST_200600_302600_NS6detail15normal_iteratorINS9_10device_ptrIsEEEESE_sNS9_4plusIsEEsEEDaPvRmT3_T4_T5_mT6_P12ihipStream_tbENKUlT_T0_E_clISt17integral_constantIbLb1EESU_EEDaSP_SQ_EUlSP_E_NS1_11comp_targetILNS1_3genE10ELNS1_11target_archE1200ELNS1_3gpuE4ELNS1_3repE0EEENS1_30default_config_static_selectorELNS0_4arch9wavefront6targetE1EEEvT1_, .Lfunc_end1219-_ZN7rocprim17ROCPRIM_400000_NS6detail17trampoline_kernelINS0_14default_configENS1_20scan_config_selectorIsEEZZNS1_9scan_implILNS1_25lookback_scan_determinismE0ELb1ELb1ES3_N6thrust23THRUST_200600_302600_NS6detail15normal_iteratorINS9_10device_ptrIsEEEESE_sNS9_4plusIsEEsEEDaPvRmT3_T4_T5_mT6_P12ihipStream_tbENKUlT_T0_E_clISt17integral_constantIbLb1EESU_EEDaSP_SQ_EUlSP_E_NS1_11comp_targetILNS1_3genE10ELNS1_11target_archE1200ELNS1_3gpuE4ELNS1_3repE0EEENS1_30default_config_static_selectorELNS0_4arch9wavefront6targetE1EEEvT1_
                                        ; -- End function
	.section	.AMDGPU.csdata,"",@progbits
; Kernel info:
; codeLenInByte = 0
; NumSgprs: 4
; NumVgprs: 0
; NumAgprs: 0
; TotalNumVgprs: 0
; ScratchSize: 0
; MemoryBound: 0
; FloatMode: 240
; IeeeMode: 1
; LDSByteSize: 0 bytes/workgroup (compile time only)
; SGPRBlocks: 0
; VGPRBlocks: 0
; NumSGPRsForWavesPerEU: 4
; NumVGPRsForWavesPerEU: 1
; AccumOffset: 4
; Occupancy: 8
; WaveLimiterHint : 0
; COMPUTE_PGM_RSRC2:SCRATCH_EN: 0
; COMPUTE_PGM_RSRC2:USER_SGPR: 6
; COMPUTE_PGM_RSRC2:TRAP_HANDLER: 0
; COMPUTE_PGM_RSRC2:TGID_X_EN: 1
; COMPUTE_PGM_RSRC2:TGID_Y_EN: 0
; COMPUTE_PGM_RSRC2:TGID_Z_EN: 0
; COMPUTE_PGM_RSRC2:TIDIG_COMP_CNT: 0
; COMPUTE_PGM_RSRC3_GFX90A:ACCUM_OFFSET: 0
; COMPUTE_PGM_RSRC3_GFX90A:TG_SPLIT: 0
	.section	.text._ZN7rocprim17ROCPRIM_400000_NS6detail17trampoline_kernelINS0_14default_configENS1_20scan_config_selectorIsEEZZNS1_9scan_implILNS1_25lookback_scan_determinismE0ELb1ELb1ES3_N6thrust23THRUST_200600_302600_NS6detail15normal_iteratorINS9_10device_ptrIsEEEESE_sNS9_4plusIsEEsEEDaPvRmT3_T4_T5_mT6_P12ihipStream_tbENKUlT_T0_E_clISt17integral_constantIbLb1EESU_EEDaSP_SQ_EUlSP_E_NS1_11comp_targetILNS1_3genE9ELNS1_11target_archE1100ELNS1_3gpuE3ELNS1_3repE0EEENS1_30default_config_static_selectorELNS0_4arch9wavefront6targetE1EEEvT1_,"axG",@progbits,_ZN7rocprim17ROCPRIM_400000_NS6detail17trampoline_kernelINS0_14default_configENS1_20scan_config_selectorIsEEZZNS1_9scan_implILNS1_25lookback_scan_determinismE0ELb1ELb1ES3_N6thrust23THRUST_200600_302600_NS6detail15normal_iteratorINS9_10device_ptrIsEEEESE_sNS9_4plusIsEEsEEDaPvRmT3_T4_T5_mT6_P12ihipStream_tbENKUlT_T0_E_clISt17integral_constantIbLb1EESU_EEDaSP_SQ_EUlSP_E_NS1_11comp_targetILNS1_3genE9ELNS1_11target_archE1100ELNS1_3gpuE3ELNS1_3repE0EEENS1_30default_config_static_selectorELNS0_4arch9wavefront6targetE1EEEvT1_,comdat
	.protected	_ZN7rocprim17ROCPRIM_400000_NS6detail17trampoline_kernelINS0_14default_configENS1_20scan_config_selectorIsEEZZNS1_9scan_implILNS1_25lookback_scan_determinismE0ELb1ELb1ES3_N6thrust23THRUST_200600_302600_NS6detail15normal_iteratorINS9_10device_ptrIsEEEESE_sNS9_4plusIsEEsEEDaPvRmT3_T4_T5_mT6_P12ihipStream_tbENKUlT_T0_E_clISt17integral_constantIbLb1EESU_EEDaSP_SQ_EUlSP_E_NS1_11comp_targetILNS1_3genE9ELNS1_11target_archE1100ELNS1_3gpuE3ELNS1_3repE0EEENS1_30default_config_static_selectorELNS0_4arch9wavefront6targetE1EEEvT1_ ; -- Begin function _ZN7rocprim17ROCPRIM_400000_NS6detail17trampoline_kernelINS0_14default_configENS1_20scan_config_selectorIsEEZZNS1_9scan_implILNS1_25lookback_scan_determinismE0ELb1ELb1ES3_N6thrust23THRUST_200600_302600_NS6detail15normal_iteratorINS9_10device_ptrIsEEEESE_sNS9_4plusIsEEsEEDaPvRmT3_T4_T5_mT6_P12ihipStream_tbENKUlT_T0_E_clISt17integral_constantIbLb1EESU_EEDaSP_SQ_EUlSP_E_NS1_11comp_targetILNS1_3genE9ELNS1_11target_archE1100ELNS1_3gpuE3ELNS1_3repE0EEENS1_30default_config_static_selectorELNS0_4arch9wavefront6targetE1EEEvT1_
	.globl	_ZN7rocprim17ROCPRIM_400000_NS6detail17trampoline_kernelINS0_14default_configENS1_20scan_config_selectorIsEEZZNS1_9scan_implILNS1_25lookback_scan_determinismE0ELb1ELb1ES3_N6thrust23THRUST_200600_302600_NS6detail15normal_iteratorINS9_10device_ptrIsEEEESE_sNS9_4plusIsEEsEEDaPvRmT3_T4_T5_mT6_P12ihipStream_tbENKUlT_T0_E_clISt17integral_constantIbLb1EESU_EEDaSP_SQ_EUlSP_E_NS1_11comp_targetILNS1_3genE9ELNS1_11target_archE1100ELNS1_3gpuE3ELNS1_3repE0EEENS1_30default_config_static_selectorELNS0_4arch9wavefront6targetE1EEEvT1_
	.p2align	8
	.type	_ZN7rocprim17ROCPRIM_400000_NS6detail17trampoline_kernelINS0_14default_configENS1_20scan_config_selectorIsEEZZNS1_9scan_implILNS1_25lookback_scan_determinismE0ELb1ELb1ES3_N6thrust23THRUST_200600_302600_NS6detail15normal_iteratorINS9_10device_ptrIsEEEESE_sNS9_4plusIsEEsEEDaPvRmT3_T4_T5_mT6_P12ihipStream_tbENKUlT_T0_E_clISt17integral_constantIbLb1EESU_EEDaSP_SQ_EUlSP_E_NS1_11comp_targetILNS1_3genE9ELNS1_11target_archE1100ELNS1_3gpuE3ELNS1_3repE0EEENS1_30default_config_static_selectorELNS0_4arch9wavefront6targetE1EEEvT1_,@function
_ZN7rocprim17ROCPRIM_400000_NS6detail17trampoline_kernelINS0_14default_configENS1_20scan_config_selectorIsEEZZNS1_9scan_implILNS1_25lookback_scan_determinismE0ELb1ELb1ES3_N6thrust23THRUST_200600_302600_NS6detail15normal_iteratorINS9_10device_ptrIsEEEESE_sNS9_4plusIsEEsEEDaPvRmT3_T4_T5_mT6_P12ihipStream_tbENKUlT_T0_E_clISt17integral_constantIbLb1EESU_EEDaSP_SQ_EUlSP_E_NS1_11comp_targetILNS1_3genE9ELNS1_11target_archE1100ELNS1_3gpuE3ELNS1_3repE0EEENS1_30default_config_static_selectorELNS0_4arch9wavefront6targetE1EEEvT1_: ; @_ZN7rocprim17ROCPRIM_400000_NS6detail17trampoline_kernelINS0_14default_configENS1_20scan_config_selectorIsEEZZNS1_9scan_implILNS1_25lookback_scan_determinismE0ELb1ELb1ES3_N6thrust23THRUST_200600_302600_NS6detail15normal_iteratorINS9_10device_ptrIsEEEESE_sNS9_4plusIsEEsEEDaPvRmT3_T4_T5_mT6_P12ihipStream_tbENKUlT_T0_E_clISt17integral_constantIbLb1EESU_EEDaSP_SQ_EUlSP_E_NS1_11comp_targetILNS1_3genE9ELNS1_11target_archE1100ELNS1_3gpuE3ELNS1_3repE0EEENS1_30default_config_static_selectorELNS0_4arch9wavefront6targetE1EEEvT1_
; %bb.0:
	.section	.rodata,"a",@progbits
	.p2align	6, 0x0
	.amdhsa_kernel _ZN7rocprim17ROCPRIM_400000_NS6detail17trampoline_kernelINS0_14default_configENS1_20scan_config_selectorIsEEZZNS1_9scan_implILNS1_25lookback_scan_determinismE0ELb1ELb1ES3_N6thrust23THRUST_200600_302600_NS6detail15normal_iteratorINS9_10device_ptrIsEEEESE_sNS9_4plusIsEEsEEDaPvRmT3_T4_T5_mT6_P12ihipStream_tbENKUlT_T0_E_clISt17integral_constantIbLb1EESU_EEDaSP_SQ_EUlSP_E_NS1_11comp_targetILNS1_3genE9ELNS1_11target_archE1100ELNS1_3gpuE3ELNS1_3repE0EEENS1_30default_config_static_selectorELNS0_4arch9wavefront6targetE1EEEvT1_
		.amdhsa_group_segment_fixed_size 0
		.amdhsa_private_segment_fixed_size 0
		.amdhsa_kernarg_size 96
		.amdhsa_user_sgpr_count 6
		.amdhsa_user_sgpr_private_segment_buffer 1
		.amdhsa_user_sgpr_dispatch_ptr 0
		.amdhsa_user_sgpr_queue_ptr 0
		.amdhsa_user_sgpr_kernarg_segment_ptr 1
		.amdhsa_user_sgpr_dispatch_id 0
		.amdhsa_user_sgpr_flat_scratch_init 0
		.amdhsa_user_sgpr_kernarg_preload_length 0
		.amdhsa_user_sgpr_kernarg_preload_offset 0
		.amdhsa_user_sgpr_private_segment_size 0
		.amdhsa_uses_dynamic_stack 0
		.amdhsa_system_sgpr_private_segment_wavefront_offset 0
		.amdhsa_system_sgpr_workgroup_id_x 1
		.amdhsa_system_sgpr_workgroup_id_y 0
		.amdhsa_system_sgpr_workgroup_id_z 0
		.amdhsa_system_sgpr_workgroup_info 0
		.amdhsa_system_vgpr_workitem_id 0
		.amdhsa_next_free_vgpr 1
		.amdhsa_next_free_sgpr 0
		.amdhsa_accum_offset 4
		.amdhsa_reserve_vcc 0
		.amdhsa_reserve_flat_scratch 0
		.amdhsa_float_round_mode_32 0
		.amdhsa_float_round_mode_16_64 0
		.amdhsa_float_denorm_mode_32 3
		.amdhsa_float_denorm_mode_16_64 3
		.amdhsa_dx10_clamp 1
		.amdhsa_ieee_mode 1
		.amdhsa_fp16_overflow 0
		.amdhsa_tg_split 0
		.amdhsa_exception_fp_ieee_invalid_op 0
		.amdhsa_exception_fp_denorm_src 0
		.amdhsa_exception_fp_ieee_div_zero 0
		.amdhsa_exception_fp_ieee_overflow 0
		.amdhsa_exception_fp_ieee_underflow 0
		.amdhsa_exception_fp_ieee_inexact 0
		.amdhsa_exception_int_div_zero 0
	.end_amdhsa_kernel
	.section	.text._ZN7rocprim17ROCPRIM_400000_NS6detail17trampoline_kernelINS0_14default_configENS1_20scan_config_selectorIsEEZZNS1_9scan_implILNS1_25lookback_scan_determinismE0ELb1ELb1ES3_N6thrust23THRUST_200600_302600_NS6detail15normal_iteratorINS9_10device_ptrIsEEEESE_sNS9_4plusIsEEsEEDaPvRmT3_T4_T5_mT6_P12ihipStream_tbENKUlT_T0_E_clISt17integral_constantIbLb1EESU_EEDaSP_SQ_EUlSP_E_NS1_11comp_targetILNS1_3genE9ELNS1_11target_archE1100ELNS1_3gpuE3ELNS1_3repE0EEENS1_30default_config_static_selectorELNS0_4arch9wavefront6targetE1EEEvT1_,"axG",@progbits,_ZN7rocprim17ROCPRIM_400000_NS6detail17trampoline_kernelINS0_14default_configENS1_20scan_config_selectorIsEEZZNS1_9scan_implILNS1_25lookback_scan_determinismE0ELb1ELb1ES3_N6thrust23THRUST_200600_302600_NS6detail15normal_iteratorINS9_10device_ptrIsEEEESE_sNS9_4plusIsEEsEEDaPvRmT3_T4_T5_mT6_P12ihipStream_tbENKUlT_T0_E_clISt17integral_constantIbLb1EESU_EEDaSP_SQ_EUlSP_E_NS1_11comp_targetILNS1_3genE9ELNS1_11target_archE1100ELNS1_3gpuE3ELNS1_3repE0EEENS1_30default_config_static_selectorELNS0_4arch9wavefront6targetE1EEEvT1_,comdat
.Lfunc_end1220:
	.size	_ZN7rocprim17ROCPRIM_400000_NS6detail17trampoline_kernelINS0_14default_configENS1_20scan_config_selectorIsEEZZNS1_9scan_implILNS1_25lookback_scan_determinismE0ELb1ELb1ES3_N6thrust23THRUST_200600_302600_NS6detail15normal_iteratorINS9_10device_ptrIsEEEESE_sNS9_4plusIsEEsEEDaPvRmT3_T4_T5_mT6_P12ihipStream_tbENKUlT_T0_E_clISt17integral_constantIbLb1EESU_EEDaSP_SQ_EUlSP_E_NS1_11comp_targetILNS1_3genE9ELNS1_11target_archE1100ELNS1_3gpuE3ELNS1_3repE0EEENS1_30default_config_static_selectorELNS0_4arch9wavefront6targetE1EEEvT1_, .Lfunc_end1220-_ZN7rocprim17ROCPRIM_400000_NS6detail17trampoline_kernelINS0_14default_configENS1_20scan_config_selectorIsEEZZNS1_9scan_implILNS1_25lookback_scan_determinismE0ELb1ELb1ES3_N6thrust23THRUST_200600_302600_NS6detail15normal_iteratorINS9_10device_ptrIsEEEESE_sNS9_4plusIsEEsEEDaPvRmT3_T4_T5_mT6_P12ihipStream_tbENKUlT_T0_E_clISt17integral_constantIbLb1EESU_EEDaSP_SQ_EUlSP_E_NS1_11comp_targetILNS1_3genE9ELNS1_11target_archE1100ELNS1_3gpuE3ELNS1_3repE0EEENS1_30default_config_static_selectorELNS0_4arch9wavefront6targetE1EEEvT1_
                                        ; -- End function
	.section	.AMDGPU.csdata,"",@progbits
; Kernel info:
; codeLenInByte = 0
; NumSgprs: 4
; NumVgprs: 0
; NumAgprs: 0
; TotalNumVgprs: 0
; ScratchSize: 0
; MemoryBound: 0
; FloatMode: 240
; IeeeMode: 1
; LDSByteSize: 0 bytes/workgroup (compile time only)
; SGPRBlocks: 0
; VGPRBlocks: 0
; NumSGPRsForWavesPerEU: 4
; NumVGPRsForWavesPerEU: 1
; AccumOffset: 4
; Occupancy: 8
; WaveLimiterHint : 0
; COMPUTE_PGM_RSRC2:SCRATCH_EN: 0
; COMPUTE_PGM_RSRC2:USER_SGPR: 6
; COMPUTE_PGM_RSRC2:TRAP_HANDLER: 0
; COMPUTE_PGM_RSRC2:TGID_X_EN: 1
; COMPUTE_PGM_RSRC2:TGID_Y_EN: 0
; COMPUTE_PGM_RSRC2:TGID_Z_EN: 0
; COMPUTE_PGM_RSRC2:TIDIG_COMP_CNT: 0
; COMPUTE_PGM_RSRC3_GFX90A:ACCUM_OFFSET: 0
; COMPUTE_PGM_RSRC3_GFX90A:TG_SPLIT: 0
	.section	.text._ZN7rocprim17ROCPRIM_400000_NS6detail17trampoline_kernelINS0_14default_configENS1_20scan_config_selectorIsEEZZNS1_9scan_implILNS1_25lookback_scan_determinismE0ELb1ELb1ES3_N6thrust23THRUST_200600_302600_NS6detail15normal_iteratorINS9_10device_ptrIsEEEESE_sNS9_4plusIsEEsEEDaPvRmT3_T4_T5_mT6_P12ihipStream_tbENKUlT_T0_E_clISt17integral_constantIbLb1EESU_EEDaSP_SQ_EUlSP_E_NS1_11comp_targetILNS1_3genE8ELNS1_11target_archE1030ELNS1_3gpuE2ELNS1_3repE0EEENS1_30default_config_static_selectorELNS0_4arch9wavefront6targetE1EEEvT1_,"axG",@progbits,_ZN7rocprim17ROCPRIM_400000_NS6detail17trampoline_kernelINS0_14default_configENS1_20scan_config_selectorIsEEZZNS1_9scan_implILNS1_25lookback_scan_determinismE0ELb1ELb1ES3_N6thrust23THRUST_200600_302600_NS6detail15normal_iteratorINS9_10device_ptrIsEEEESE_sNS9_4plusIsEEsEEDaPvRmT3_T4_T5_mT6_P12ihipStream_tbENKUlT_T0_E_clISt17integral_constantIbLb1EESU_EEDaSP_SQ_EUlSP_E_NS1_11comp_targetILNS1_3genE8ELNS1_11target_archE1030ELNS1_3gpuE2ELNS1_3repE0EEENS1_30default_config_static_selectorELNS0_4arch9wavefront6targetE1EEEvT1_,comdat
	.protected	_ZN7rocprim17ROCPRIM_400000_NS6detail17trampoline_kernelINS0_14default_configENS1_20scan_config_selectorIsEEZZNS1_9scan_implILNS1_25lookback_scan_determinismE0ELb1ELb1ES3_N6thrust23THRUST_200600_302600_NS6detail15normal_iteratorINS9_10device_ptrIsEEEESE_sNS9_4plusIsEEsEEDaPvRmT3_T4_T5_mT6_P12ihipStream_tbENKUlT_T0_E_clISt17integral_constantIbLb1EESU_EEDaSP_SQ_EUlSP_E_NS1_11comp_targetILNS1_3genE8ELNS1_11target_archE1030ELNS1_3gpuE2ELNS1_3repE0EEENS1_30default_config_static_selectorELNS0_4arch9wavefront6targetE1EEEvT1_ ; -- Begin function _ZN7rocprim17ROCPRIM_400000_NS6detail17trampoline_kernelINS0_14default_configENS1_20scan_config_selectorIsEEZZNS1_9scan_implILNS1_25lookback_scan_determinismE0ELb1ELb1ES3_N6thrust23THRUST_200600_302600_NS6detail15normal_iteratorINS9_10device_ptrIsEEEESE_sNS9_4plusIsEEsEEDaPvRmT3_T4_T5_mT6_P12ihipStream_tbENKUlT_T0_E_clISt17integral_constantIbLb1EESU_EEDaSP_SQ_EUlSP_E_NS1_11comp_targetILNS1_3genE8ELNS1_11target_archE1030ELNS1_3gpuE2ELNS1_3repE0EEENS1_30default_config_static_selectorELNS0_4arch9wavefront6targetE1EEEvT1_
	.globl	_ZN7rocprim17ROCPRIM_400000_NS6detail17trampoline_kernelINS0_14default_configENS1_20scan_config_selectorIsEEZZNS1_9scan_implILNS1_25lookback_scan_determinismE0ELb1ELb1ES3_N6thrust23THRUST_200600_302600_NS6detail15normal_iteratorINS9_10device_ptrIsEEEESE_sNS9_4plusIsEEsEEDaPvRmT3_T4_T5_mT6_P12ihipStream_tbENKUlT_T0_E_clISt17integral_constantIbLb1EESU_EEDaSP_SQ_EUlSP_E_NS1_11comp_targetILNS1_3genE8ELNS1_11target_archE1030ELNS1_3gpuE2ELNS1_3repE0EEENS1_30default_config_static_selectorELNS0_4arch9wavefront6targetE1EEEvT1_
	.p2align	8
	.type	_ZN7rocprim17ROCPRIM_400000_NS6detail17trampoline_kernelINS0_14default_configENS1_20scan_config_selectorIsEEZZNS1_9scan_implILNS1_25lookback_scan_determinismE0ELb1ELb1ES3_N6thrust23THRUST_200600_302600_NS6detail15normal_iteratorINS9_10device_ptrIsEEEESE_sNS9_4plusIsEEsEEDaPvRmT3_T4_T5_mT6_P12ihipStream_tbENKUlT_T0_E_clISt17integral_constantIbLb1EESU_EEDaSP_SQ_EUlSP_E_NS1_11comp_targetILNS1_3genE8ELNS1_11target_archE1030ELNS1_3gpuE2ELNS1_3repE0EEENS1_30default_config_static_selectorELNS0_4arch9wavefront6targetE1EEEvT1_,@function
_ZN7rocprim17ROCPRIM_400000_NS6detail17trampoline_kernelINS0_14default_configENS1_20scan_config_selectorIsEEZZNS1_9scan_implILNS1_25lookback_scan_determinismE0ELb1ELb1ES3_N6thrust23THRUST_200600_302600_NS6detail15normal_iteratorINS9_10device_ptrIsEEEESE_sNS9_4plusIsEEsEEDaPvRmT3_T4_T5_mT6_P12ihipStream_tbENKUlT_T0_E_clISt17integral_constantIbLb1EESU_EEDaSP_SQ_EUlSP_E_NS1_11comp_targetILNS1_3genE8ELNS1_11target_archE1030ELNS1_3gpuE2ELNS1_3repE0EEENS1_30default_config_static_selectorELNS0_4arch9wavefront6targetE1EEEvT1_: ; @_ZN7rocprim17ROCPRIM_400000_NS6detail17trampoline_kernelINS0_14default_configENS1_20scan_config_selectorIsEEZZNS1_9scan_implILNS1_25lookback_scan_determinismE0ELb1ELb1ES3_N6thrust23THRUST_200600_302600_NS6detail15normal_iteratorINS9_10device_ptrIsEEEESE_sNS9_4plusIsEEsEEDaPvRmT3_T4_T5_mT6_P12ihipStream_tbENKUlT_T0_E_clISt17integral_constantIbLb1EESU_EEDaSP_SQ_EUlSP_E_NS1_11comp_targetILNS1_3genE8ELNS1_11target_archE1030ELNS1_3gpuE2ELNS1_3repE0EEENS1_30default_config_static_selectorELNS0_4arch9wavefront6targetE1EEEvT1_
; %bb.0:
	.section	.rodata,"a",@progbits
	.p2align	6, 0x0
	.amdhsa_kernel _ZN7rocprim17ROCPRIM_400000_NS6detail17trampoline_kernelINS0_14default_configENS1_20scan_config_selectorIsEEZZNS1_9scan_implILNS1_25lookback_scan_determinismE0ELb1ELb1ES3_N6thrust23THRUST_200600_302600_NS6detail15normal_iteratorINS9_10device_ptrIsEEEESE_sNS9_4plusIsEEsEEDaPvRmT3_T4_T5_mT6_P12ihipStream_tbENKUlT_T0_E_clISt17integral_constantIbLb1EESU_EEDaSP_SQ_EUlSP_E_NS1_11comp_targetILNS1_3genE8ELNS1_11target_archE1030ELNS1_3gpuE2ELNS1_3repE0EEENS1_30default_config_static_selectorELNS0_4arch9wavefront6targetE1EEEvT1_
		.amdhsa_group_segment_fixed_size 0
		.amdhsa_private_segment_fixed_size 0
		.amdhsa_kernarg_size 96
		.amdhsa_user_sgpr_count 6
		.amdhsa_user_sgpr_private_segment_buffer 1
		.amdhsa_user_sgpr_dispatch_ptr 0
		.amdhsa_user_sgpr_queue_ptr 0
		.amdhsa_user_sgpr_kernarg_segment_ptr 1
		.amdhsa_user_sgpr_dispatch_id 0
		.amdhsa_user_sgpr_flat_scratch_init 0
		.amdhsa_user_sgpr_kernarg_preload_length 0
		.amdhsa_user_sgpr_kernarg_preload_offset 0
		.amdhsa_user_sgpr_private_segment_size 0
		.amdhsa_uses_dynamic_stack 0
		.amdhsa_system_sgpr_private_segment_wavefront_offset 0
		.amdhsa_system_sgpr_workgroup_id_x 1
		.amdhsa_system_sgpr_workgroup_id_y 0
		.amdhsa_system_sgpr_workgroup_id_z 0
		.amdhsa_system_sgpr_workgroup_info 0
		.amdhsa_system_vgpr_workitem_id 0
		.amdhsa_next_free_vgpr 1
		.amdhsa_next_free_sgpr 0
		.amdhsa_accum_offset 4
		.amdhsa_reserve_vcc 0
		.amdhsa_reserve_flat_scratch 0
		.amdhsa_float_round_mode_32 0
		.amdhsa_float_round_mode_16_64 0
		.amdhsa_float_denorm_mode_32 3
		.amdhsa_float_denorm_mode_16_64 3
		.amdhsa_dx10_clamp 1
		.amdhsa_ieee_mode 1
		.amdhsa_fp16_overflow 0
		.amdhsa_tg_split 0
		.amdhsa_exception_fp_ieee_invalid_op 0
		.amdhsa_exception_fp_denorm_src 0
		.amdhsa_exception_fp_ieee_div_zero 0
		.amdhsa_exception_fp_ieee_overflow 0
		.amdhsa_exception_fp_ieee_underflow 0
		.amdhsa_exception_fp_ieee_inexact 0
		.amdhsa_exception_int_div_zero 0
	.end_amdhsa_kernel
	.section	.text._ZN7rocprim17ROCPRIM_400000_NS6detail17trampoline_kernelINS0_14default_configENS1_20scan_config_selectorIsEEZZNS1_9scan_implILNS1_25lookback_scan_determinismE0ELb1ELb1ES3_N6thrust23THRUST_200600_302600_NS6detail15normal_iteratorINS9_10device_ptrIsEEEESE_sNS9_4plusIsEEsEEDaPvRmT3_T4_T5_mT6_P12ihipStream_tbENKUlT_T0_E_clISt17integral_constantIbLb1EESU_EEDaSP_SQ_EUlSP_E_NS1_11comp_targetILNS1_3genE8ELNS1_11target_archE1030ELNS1_3gpuE2ELNS1_3repE0EEENS1_30default_config_static_selectorELNS0_4arch9wavefront6targetE1EEEvT1_,"axG",@progbits,_ZN7rocprim17ROCPRIM_400000_NS6detail17trampoline_kernelINS0_14default_configENS1_20scan_config_selectorIsEEZZNS1_9scan_implILNS1_25lookback_scan_determinismE0ELb1ELb1ES3_N6thrust23THRUST_200600_302600_NS6detail15normal_iteratorINS9_10device_ptrIsEEEESE_sNS9_4plusIsEEsEEDaPvRmT3_T4_T5_mT6_P12ihipStream_tbENKUlT_T0_E_clISt17integral_constantIbLb1EESU_EEDaSP_SQ_EUlSP_E_NS1_11comp_targetILNS1_3genE8ELNS1_11target_archE1030ELNS1_3gpuE2ELNS1_3repE0EEENS1_30default_config_static_selectorELNS0_4arch9wavefront6targetE1EEEvT1_,comdat
.Lfunc_end1221:
	.size	_ZN7rocprim17ROCPRIM_400000_NS6detail17trampoline_kernelINS0_14default_configENS1_20scan_config_selectorIsEEZZNS1_9scan_implILNS1_25lookback_scan_determinismE0ELb1ELb1ES3_N6thrust23THRUST_200600_302600_NS6detail15normal_iteratorINS9_10device_ptrIsEEEESE_sNS9_4plusIsEEsEEDaPvRmT3_T4_T5_mT6_P12ihipStream_tbENKUlT_T0_E_clISt17integral_constantIbLb1EESU_EEDaSP_SQ_EUlSP_E_NS1_11comp_targetILNS1_3genE8ELNS1_11target_archE1030ELNS1_3gpuE2ELNS1_3repE0EEENS1_30default_config_static_selectorELNS0_4arch9wavefront6targetE1EEEvT1_, .Lfunc_end1221-_ZN7rocprim17ROCPRIM_400000_NS6detail17trampoline_kernelINS0_14default_configENS1_20scan_config_selectorIsEEZZNS1_9scan_implILNS1_25lookback_scan_determinismE0ELb1ELb1ES3_N6thrust23THRUST_200600_302600_NS6detail15normal_iteratorINS9_10device_ptrIsEEEESE_sNS9_4plusIsEEsEEDaPvRmT3_T4_T5_mT6_P12ihipStream_tbENKUlT_T0_E_clISt17integral_constantIbLb1EESU_EEDaSP_SQ_EUlSP_E_NS1_11comp_targetILNS1_3genE8ELNS1_11target_archE1030ELNS1_3gpuE2ELNS1_3repE0EEENS1_30default_config_static_selectorELNS0_4arch9wavefront6targetE1EEEvT1_
                                        ; -- End function
	.section	.AMDGPU.csdata,"",@progbits
; Kernel info:
; codeLenInByte = 0
; NumSgprs: 4
; NumVgprs: 0
; NumAgprs: 0
; TotalNumVgprs: 0
; ScratchSize: 0
; MemoryBound: 0
; FloatMode: 240
; IeeeMode: 1
; LDSByteSize: 0 bytes/workgroup (compile time only)
; SGPRBlocks: 0
; VGPRBlocks: 0
; NumSGPRsForWavesPerEU: 4
; NumVGPRsForWavesPerEU: 1
; AccumOffset: 4
; Occupancy: 8
; WaveLimiterHint : 0
; COMPUTE_PGM_RSRC2:SCRATCH_EN: 0
; COMPUTE_PGM_RSRC2:USER_SGPR: 6
; COMPUTE_PGM_RSRC2:TRAP_HANDLER: 0
; COMPUTE_PGM_RSRC2:TGID_X_EN: 1
; COMPUTE_PGM_RSRC2:TGID_Y_EN: 0
; COMPUTE_PGM_RSRC2:TGID_Z_EN: 0
; COMPUTE_PGM_RSRC2:TIDIG_COMP_CNT: 0
; COMPUTE_PGM_RSRC3_GFX90A:ACCUM_OFFSET: 0
; COMPUTE_PGM_RSRC3_GFX90A:TG_SPLIT: 0
	.section	.text._ZN7rocprim17ROCPRIM_400000_NS6detail17trampoline_kernelINS0_14default_configENS1_20scan_config_selectorIsEEZZNS1_9scan_implILNS1_25lookback_scan_determinismE0ELb1ELb1ES3_N6thrust23THRUST_200600_302600_NS6detail15normal_iteratorINS9_10device_ptrIsEEEESE_sNS9_4plusIsEEsEEDaPvRmT3_T4_T5_mT6_P12ihipStream_tbENKUlT_T0_E_clISt17integral_constantIbLb1EESU_EEDaSP_SQ_EUlSP_E0_NS1_11comp_targetILNS1_3genE0ELNS1_11target_archE4294967295ELNS1_3gpuE0ELNS1_3repE0EEENS1_30default_config_static_selectorELNS0_4arch9wavefront6targetE1EEEvT1_,"axG",@progbits,_ZN7rocprim17ROCPRIM_400000_NS6detail17trampoline_kernelINS0_14default_configENS1_20scan_config_selectorIsEEZZNS1_9scan_implILNS1_25lookback_scan_determinismE0ELb1ELb1ES3_N6thrust23THRUST_200600_302600_NS6detail15normal_iteratorINS9_10device_ptrIsEEEESE_sNS9_4plusIsEEsEEDaPvRmT3_T4_T5_mT6_P12ihipStream_tbENKUlT_T0_E_clISt17integral_constantIbLb1EESU_EEDaSP_SQ_EUlSP_E0_NS1_11comp_targetILNS1_3genE0ELNS1_11target_archE4294967295ELNS1_3gpuE0ELNS1_3repE0EEENS1_30default_config_static_selectorELNS0_4arch9wavefront6targetE1EEEvT1_,comdat
	.protected	_ZN7rocprim17ROCPRIM_400000_NS6detail17trampoline_kernelINS0_14default_configENS1_20scan_config_selectorIsEEZZNS1_9scan_implILNS1_25lookback_scan_determinismE0ELb1ELb1ES3_N6thrust23THRUST_200600_302600_NS6detail15normal_iteratorINS9_10device_ptrIsEEEESE_sNS9_4plusIsEEsEEDaPvRmT3_T4_T5_mT6_P12ihipStream_tbENKUlT_T0_E_clISt17integral_constantIbLb1EESU_EEDaSP_SQ_EUlSP_E0_NS1_11comp_targetILNS1_3genE0ELNS1_11target_archE4294967295ELNS1_3gpuE0ELNS1_3repE0EEENS1_30default_config_static_selectorELNS0_4arch9wavefront6targetE1EEEvT1_ ; -- Begin function _ZN7rocprim17ROCPRIM_400000_NS6detail17trampoline_kernelINS0_14default_configENS1_20scan_config_selectorIsEEZZNS1_9scan_implILNS1_25lookback_scan_determinismE0ELb1ELb1ES3_N6thrust23THRUST_200600_302600_NS6detail15normal_iteratorINS9_10device_ptrIsEEEESE_sNS9_4plusIsEEsEEDaPvRmT3_T4_T5_mT6_P12ihipStream_tbENKUlT_T0_E_clISt17integral_constantIbLb1EESU_EEDaSP_SQ_EUlSP_E0_NS1_11comp_targetILNS1_3genE0ELNS1_11target_archE4294967295ELNS1_3gpuE0ELNS1_3repE0EEENS1_30default_config_static_selectorELNS0_4arch9wavefront6targetE1EEEvT1_
	.globl	_ZN7rocprim17ROCPRIM_400000_NS6detail17trampoline_kernelINS0_14default_configENS1_20scan_config_selectorIsEEZZNS1_9scan_implILNS1_25lookback_scan_determinismE0ELb1ELb1ES3_N6thrust23THRUST_200600_302600_NS6detail15normal_iteratorINS9_10device_ptrIsEEEESE_sNS9_4plusIsEEsEEDaPvRmT3_T4_T5_mT6_P12ihipStream_tbENKUlT_T0_E_clISt17integral_constantIbLb1EESU_EEDaSP_SQ_EUlSP_E0_NS1_11comp_targetILNS1_3genE0ELNS1_11target_archE4294967295ELNS1_3gpuE0ELNS1_3repE0EEENS1_30default_config_static_selectorELNS0_4arch9wavefront6targetE1EEEvT1_
	.p2align	8
	.type	_ZN7rocprim17ROCPRIM_400000_NS6detail17trampoline_kernelINS0_14default_configENS1_20scan_config_selectorIsEEZZNS1_9scan_implILNS1_25lookback_scan_determinismE0ELb1ELb1ES3_N6thrust23THRUST_200600_302600_NS6detail15normal_iteratorINS9_10device_ptrIsEEEESE_sNS9_4plusIsEEsEEDaPvRmT3_T4_T5_mT6_P12ihipStream_tbENKUlT_T0_E_clISt17integral_constantIbLb1EESU_EEDaSP_SQ_EUlSP_E0_NS1_11comp_targetILNS1_3genE0ELNS1_11target_archE4294967295ELNS1_3gpuE0ELNS1_3repE0EEENS1_30default_config_static_selectorELNS0_4arch9wavefront6targetE1EEEvT1_,@function
_ZN7rocprim17ROCPRIM_400000_NS6detail17trampoline_kernelINS0_14default_configENS1_20scan_config_selectorIsEEZZNS1_9scan_implILNS1_25lookback_scan_determinismE0ELb1ELb1ES3_N6thrust23THRUST_200600_302600_NS6detail15normal_iteratorINS9_10device_ptrIsEEEESE_sNS9_4plusIsEEsEEDaPvRmT3_T4_T5_mT6_P12ihipStream_tbENKUlT_T0_E_clISt17integral_constantIbLb1EESU_EEDaSP_SQ_EUlSP_E0_NS1_11comp_targetILNS1_3genE0ELNS1_11target_archE4294967295ELNS1_3gpuE0ELNS1_3repE0EEENS1_30default_config_static_selectorELNS0_4arch9wavefront6targetE1EEEvT1_: ; @_ZN7rocprim17ROCPRIM_400000_NS6detail17trampoline_kernelINS0_14default_configENS1_20scan_config_selectorIsEEZZNS1_9scan_implILNS1_25lookback_scan_determinismE0ELb1ELb1ES3_N6thrust23THRUST_200600_302600_NS6detail15normal_iteratorINS9_10device_ptrIsEEEESE_sNS9_4plusIsEEsEEDaPvRmT3_T4_T5_mT6_P12ihipStream_tbENKUlT_T0_E_clISt17integral_constantIbLb1EESU_EEDaSP_SQ_EUlSP_E0_NS1_11comp_targetILNS1_3genE0ELNS1_11target_archE4294967295ELNS1_3gpuE0ELNS1_3repE0EEENS1_30default_config_static_selectorELNS0_4arch9wavefront6targetE1EEEvT1_
; %bb.0:
	.section	.rodata,"a",@progbits
	.p2align	6, 0x0
	.amdhsa_kernel _ZN7rocprim17ROCPRIM_400000_NS6detail17trampoline_kernelINS0_14default_configENS1_20scan_config_selectorIsEEZZNS1_9scan_implILNS1_25lookback_scan_determinismE0ELb1ELb1ES3_N6thrust23THRUST_200600_302600_NS6detail15normal_iteratorINS9_10device_ptrIsEEEESE_sNS9_4plusIsEEsEEDaPvRmT3_T4_T5_mT6_P12ihipStream_tbENKUlT_T0_E_clISt17integral_constantIbLb1EESU_EEDaSP_SQ_EUlSP_E0_NS1_11comp_targetILNS1_3genE0ELNS1_11target_archE4294967295ELNS1_3gpuE0ELNS1_3repE0EEENS1_30default_config_static_selectorELNS0_4arch9wavefront6targetE1EEEvT1_
		.amdhsa_group_segment_fixed_size 0
		.amdhsa_private_segment_fixed_size 0
		.amdhsa_kernarg_size 32
		.amdhsa_user_sgpr_count 6
		.amdhsa_user_sgpr_private_segment_buffer 1
		.amdhsa_user_sgpr_dispatch_ptr 0
		.amdhsa_user_sgpr_queue_ptr 0
		.amdhsa_user_sgpr_kernarg_segment_ptr 1
		.amdhsa_user_sgpr_dispatch_id 0
		.amdhsa_user_sgpr_flat_scratch_init 0
		.amdhsa_user_sgpr_kernarg_preload_length 0
		.amdhsa_user_sgpr_kernarg_preload_offset 0
		.amdhsa_user_sgpr_private_segment_size 0
		.amdhsa_uses_dynamic_stack 0
		.amdhsa_system_sgpr_private_segment_wavefront_offset 0
		.amdhsa_system_sgpr_workgroup_id_x 1
		.amdhsa_system_sgpr_workgroup_id_y 0
		.amdhsa_system_sgpr_workgroup_id_z 0
		.amdhsa_system_sgpr_workgroup_info 0
		.amdhsa_system_vgpr_workitem_id 0
		.amdhsa_next_free_vgpr 1
		.amdhsa_next_free_sgpr 0
		.amdhsa_accum_offset 4
		.amdhsa_reserve_vcc 0
		.amdhsa_reserve_flat_scratch 0
		.amdhsa_float_round_mode_32 0
		.amdhsa_float_round_mode_16_64 0
		.amdhsa_float_denorm_mode_32 3
		.amdhsa_float_denorm_mode_16_64 3
		.amdhsa_dx10_clamp 1
		.amdhsa_ieee_mode 1
		.amdhsa_fp16_overflow 0
		.amdhsa_tg_split 0
		.amdhsa_exception_fp_ieee_invalid_op 0
		.amdhsa_exception_fp_denorm_src 0
		.amdhsa_exception_fp_ieee_div_zero 0
		.amdhsa_exception_fp_ieee_overflow 0
		.amdhsa_exception_fp_ieee_underflow 0
		.amdhsa_exception_fp_ieee_inexact 0
		.amdhsa_exception_int_div_zero 0
	.end_amdhsa_kernel
	.section	.text._ZN7rocprim17ROCPRIM_400000_NS6detail17trampoline_kernelINS0_14default_configENS1_20scan_config_selectorIsEEZZNS1_9scan_implILNS1_25lookback_scan_determinismE0ELb1ELb1ES3_N6thrust23THRUST_200600_302600_NS6detail15normal_iteratorINS9_10device_ptrIsEEEESE_sNS9_4plusIsEEsEEDaPvRmT3_T4_T5_mT6_P12ihipStream_tbENKUlT_T0_E_clISt17integral_constantIbLb1EESU_EEDaSP_SQ_EUlSP_E0_NS1_11comp_targetILNS1_3genE0ELNS1_11target_archE4294967295ELNS1_3gpuE0ELNS1_3repE0EEENS1_30default_config_static_selectorELNS0_4arch9wavefront6targetE1EEEvT1_,"axG",@progbits,_ZN7rocprim17ROCPRIM_400000_NS6detail17trampoline_kernelINS0_14default_configENS1_20scan_config_selectorIsEEZZNS1_9scan_implILNS1_25lookback_scan_determinismE0ELb1ELb1ES3_N6thrust23THRUST_200600_302600_NS6detail15normal_iteratorINS9_10device_ptrIsEEEESE_sNS9_4plusIsEEsEEDaPvRmT3_T4_T5_mT6_P12ihipStream_tbENKUlT_T0_E_clISt17integral_constantIbLb1EESU_EEDaSP_SQ_EUlSP_E0_NS1_11comp_targetILNS1_3genE0ELNS1_11target_archE4294967295ELNS1_3gpuE0ELNS1_3repE0EEENS1_30default_config_static_selectorELNS0_4arch9wavefront6targetE1EEEvT1_,comdat
.Lfunc_end1222:
	.size	_ZN7rocprim17ROCPRIM_400000_NS6detail17trampoline_kernelINS0_14default_configENS1_20scan_config_selectorIsEEZZNS1_9scan_implILNS1_25lookback_scan_determinismE0ELb1ELb1ES3_N6thrust23THRUST_200600_302600_NS6detail15normal_iteratorINS9_10device_ptrIsEEEESE_sNS9_4plusIsEEsEEDaPvRmT3_T4_T5_mT6_P12ihipStream_tbENKUlT_T0_E_clISt17integral_constantIbLb1EESU_EEDaSP_SQ_EUlSP_E0_NS1_11comp_targetILNS1_3genE0ELNS1_11target_archE4294967295ELNS1_3gpuE0ELNS1_3repE0EEENS1_30default_config_static_selectorELNS0_4arch9wavefront6targetE1EEEvT1_, .Lfunc_end1222-_ZN7rocprim17ROCPRIM_400000_NS6detail17trampoline_kernelINS0_14default_configENS1_20scan_config_selectorIsEEZZNS1_9scan_implILNS1_25lookback_scan_determinismE0ELb1ELb1ES3_N6thrust23THRUST_200600_302600_NS6detail15normal_iteratorINS9_10device_ptrIsEEEESE_sNS9_4plusIsEEsEEDaPvRmT3_T4_T5_mT6_P12ihipStream_tbENKUlT_T0_E_clISt17integral_constantIbLb1EESU_EEDaSP_SQ_EUlSP_E0_NS1_11comp_targetILNS1_3genE0ELNS1_11target_archE4294967295ELNS1_3gpuE0ELNS1_3repE0EEENS1_30default_config_static_selectorELNS0_4arch9wavefront6targetE1EEEvT1_
                                        ; -- End function
	.section	.AMDGPU.csdata,"",@progbits
; Kernel info:
; codeLenInByte = 0
; NumSgprs: 4
; NumVgprs: 0
; NumAgprs: 0
; TotalNumVgprs: 0
; ScratchSize: 0
; MemoryBound: 0
; FloatMode: 240
; IeeeMode: 1
; LDSByteSize: 0 bytes/workgroup (compile time only)
; SGPRBlocks: 0
; VGPRBlocks: 0
; NumSGPRsForWavesPerEU: 4
; NumVGPRsForWavesPerEU: 1
; AccumOffset: 4
; Occupancy: 8
; WaveLimiterHint : 0
; COMPUTE_PGM_RSRC2:SCRATCH_EN: 0
; COMPUTE_PGM_RSRC2:USER_SGPR: 6
; COMPUTE_PGM_RSRC2:TRAP_HANDLER: 0
; COMPUTE_PGM_RSRC2:TGID_X_EN: 1
; COMPUTE_PGM_RSRC2:TGID_Y_EN: 0
; COMPUTE_PGM_RSRC2:TGID_Z_EN: 0
; COMPUTE_PGM_RSRC2:TIDIG_COMP_CNT: 0
; COMPUTE_PGM_RSRC3_GFX90A:ACCUM_OFFSET: 0
; COMPUTE_PGM_RSRC3_GFX90A:TG_SPLIT: 0
	.section	.text._ZN7rocprim17ROCPRIM_400000_NS6detail17trampoline_kernelINS0_14default_configENS1_20scan_config_selectorIsEEZZNS1_9scan_implILNS1_25lookback_scan_determinismE0ELb1ELb1ES3_N6thrust23THRUST_200600_302600_NS6detail15normal_iteratorINS9_10device_ptrIsEEEESE_sNS9_4plusIsEEsEEDaPvRmT3_T4_T5_mT6_P12ihipStream_tbENKUlT_T0_E_clISt17integral_constantIbLb1EESU_EEDaSP_SQ_EUlSP_E0_NS1_11comp_targetILNS1_3genE5ELNS1_11target_archE942ELNS1_3gpuE9ELNS1_3repE0EEENS1_30default_config_static_selectorELNS0_4arch9wavefront6targetE1EEEvT1_,"axG",@progbits,_ZN7rocprim17ROCPRIM_400000_NS6detail17trampoline_kernelINS0_14default_configENS1_20scan_config_selectorIsEEZZNS1_9scan_implILNS1_25lookback_scan_determinismE0ELb1ELb1ES3_N6thrust23THRUST_200600_302600_NS6detail15normal_iteratorINS9_10device_ptrIsEEEESE_sNS9_4plusIsEEsEEDaPvRmT3_T4_T5_mT6_P12ihipStream_tbENKUlT_T0_E_clISt17integral_constantIbLb1EESU_EEDaSP_SQ_EUlSP_E0_NS1_11comp_targetILNS1_3genE5ELNS1_11target_archE942ELNS1_3gpuE9ELNS1_3repE0EEENS1_30default_config_static_selectorELNS0_4arch9wavefront6targetE1EEEvT1_,comdat
	.protected	_ZN7rocprim17ROCPRIM_400000_NS6detail17trampoline_kernelINS0_14default_configENS1_20scan_config_selectorIsEEZZNS1_9scan_implILNS1_25lookback_scan_determinismE0ELb1ELb1ES3_N6thrust23THRUST_200600_302600_NS6detail15normal_iteratorINS9_10device_ptrIsEEEESE_sNS9_4plusIsEEsEEDaPvRmT3_T4_T5_mT6_P12ihipStream_tbENKUlT_T0_E_clISt17integral_constantIbLb1EESU_EEDaSP_SQ_EUlSP_E0_NS1_11comp_targetILNS1_3genE5ELNS1_11target_archE942ELNS1_3gpuE9ELNS1_3repE0EEENS1_30default_config_static_selectorELNS0_4arch9wavefront6targetE1EEEvT1_ ; -- Begin function _ZN7rocprim17ROCPRIM_400000_NS6detail17trampoline_kernelINS0_14default_configENS1_20scan_config_selectorIsEEZZNS1_9scan_implILNS1_25lookback_scan_determinismE0ELb1ELb1ES3_N6thrust23THRUST_200600_302600_NS6detail15normal_iteratorINS9_10device_ptrIsEEEESE_sNS9_4plusIsEEsEEDaPvRmT3_T4_T5_mT6_P12ihipStream_tbENKUlT_T0_E_clISt17integral_constantIbLb1EESU_EEDaSP_SQ_EUlSP_E0_NS1_11comp_targetILNS1_3genE5ELNS1_11target_archE942ELNS1_3gpuE9ELNS1_3repE0EEENS1_30default_config_static_selectorELNS0_4arch9wavefront6targetE1EEEvT1_
	.globl	_ZN7rocprim17ROCPRIM_400000_NS6detail17trampoline_kernelINS0_14default_configENS1_20scan_config_selectorIsEEZZNS1_9scan_implILNS1_25lookback_scan_determinismE0ELb1ELb1ES3_N6thrust23THRUST_200600_302600_NS6detail15normal_iteratorINS9_10device_ptrIsEEEESE_sNS9_4plusIsEEsEEDaPvRmT3_T4_T5_mT6_P12ihipStream_tbENKUlT_T0_E_clISt17integral_constantIbLb1EESU_EEDaSP_SQ_EUlSP_E0_NS1_11comp_targetILNS1_3genE5ELNS1_11target_archE942ELNS1_3gpuE9ELNS1_3repE0EEENS1_30default_config_static_selectorELNS0_4arch9wavefront6targetE1EEEvT1_
	.p2align	8
	.type	_ZN7rocprim17ROCPRIM_400000_NS6detail17trampoline_kernelINS0_14default_configENS1_20scan_config_selectorIsEEZZNS1_9scan_implILNS1_25lookback_scan_determinismE0ELb1ELb1ES3_N6thrust23THRUST_200600_302600_NS6detail15normal_iteratorINS9_10device_ptrIsEEEESE_sNS9_4plusIsEEsEEDaPvRmT3_T4_T5_mT6_P12ihipStream_tbENKUlT_T0_E_clISt17integral_constantIbLb1EESU_EEDaSP_SQ_EUlSP_E0_NS1_11comp_targetILNS1_3genE5ELNS1_11target_archE942ELNS1_3gpuE9ELNS1_3repE0EEENS1_30default_config_static_selectorELNS0_4arch9wavefront6targetE1EEEvT1_,@function
_ZN7rocprim17ROCPRIM_400000_NS6detail17trampoline_kernelINS0_14default_configENS1_20scan_config_selectorIsEEZZNS1_9scan_implILNS1_25lookback_scan_determinismE0ELb1ELb1ES3_N6thrust23THRUST_200600_302600_NS6detail15normal_iteratorINS9_10device_ptrIsEEEESE_sNS9_4plusIsEEsEEDaPvRmT3_T4_T5_mT6_P12ihipStream_tbENKUlT_T0_E_clISt17integral_constantIbLb1EESU_EEDaSP_SQ_EUlSP_E0_NS1_11comp_targetILNS1_3genE5ELNS1_11target_archE942ELNS1_3gpuE9ELNS1_3repE0EEENS1_30default_config_static_selectorELNS0_4arch9wavefront6targetE1EEEvT1_: ; @_ZN7rocprim17ROCPRIM_400000_NS6detail17trampoline_kernelINS0_14default_configENS1_20scan_config_selectorIsEEZZNS1_9scan_implILNS1_25lookback_scan_determinismE0ELb1ELb1ES3_N6thrust23THRUST_200600_302600_NS6detail15normal_iteratorINS9_10device_ptrIsEEEESE_sNS9_4plusIsEEsEEDaPvRmT3_T4_T5_mT6_P12ihipStream_tbENKUlT_T0_E_clISt17integral_constantIbLb1EESU_EEDaSP_SQ_EUlSP_E0_NS1_11comp_targetILNS1_3genE5ELNS1_11target_archE942ELNS1_3gpuE9ELNS1_3repE0EEENS1_30default_config_static_selectorELNS0_4arch9wavefront6targetE1EEEvT1_
; %bb.0:
	.section	.rodata,"a",@progbits
	.p2align	6, 0x0
	.amdhsa_kernel _ZN7rocprim17ROCPRIM_400000_NS6detail17trampoline_kernelINS0_14default_configENS1_20scan_config_selectorIsEEZZNS1_9scan_implILNS1_25lookback_scan_determinismE0ELb1ELb1ES3_N6thrust23THRUST_200600_302600_NS6detail15normal_iteratorINS9_10device_ptrIsEEEESE_sNS9_4plusIsEEsEEDaPvRmT3_T4_T5_mT6_P12ihipStream_tbENKUlT_T0_E_clISt17integral_constantIbLb1EESU_EEDaSP_SQ_EUlSP_E0_NS1_11comp_targetILNS1_3genE5ELNS1_11target_archE942ELNS1_3gpuE9ELNS1_3repE0EEENS1_30default_config_static_selectorELNS0_4arch9wavefront6targetE1EEEvT1_
		.amdhsa_group_segment_fixed_size 0
		.amdhsa_private_segment_fixed_size 0
		.amdhsa_kernarg_size 32
		.amdhsa_user_sgpr_count 6
		.amdhsa_user_sgpr_private_segment_buffer 1
		.amdhsa_user_sgpr_dispatch_ptr 0
		.amdhsa_user_sgpr_queue_ptr 0
		.amdhsa_user_sgpr_kernarg_segment_ptr 1
		.amdhsa_user_sgpr_dispatch_id 0
		.amdhsa_user_sgpr_flat_scratch_init 0
		.amdhsa_user_sgpr_kernarg_preload_length 0
		.amdhsa_user_sgpr_kernarg_preload_offset 0
		.amdhsa_user_sgpr_private_segment_size 0
		.amdhsa_uses_dynamic_stack 0
		.amdhsa_system_sgpr_private_segment_wavefront_offset 0
		.amdhsa_system_sgpr_workgroup_id_x 1
		.amdhsa_system_sgpr_workgroup_id_y 0
		.amdhsa_system_sgpr_workgroup_id_z 0
		.amdhsa_system_sgpr_workgroup_info 0
		.amdhsa_system_vgpr_workitem_id 0
		.amdhsa_next_free_vgpr 1
		.amdhsa_next_free_sgpr 0
		.amdhsa_accum_offset 4
		.amdhsa_reserve_vcc 0
		.amdhsa_reserve_flat_scratch 0
		.amdhsa_float_round_mode_32 0
		.amdhsa_float_round_mode_16_64 0
		.amdhsa_float_denorm_mode_32 3
		.amdhsa_float_denorm_mode_16_64 3
		.amdhsa_dx10_clamp 1
		.amdhsa_ieee_mode 1
		.amdhsa_fp16_overflow 0
		.amdhsa_tg_split 0
		.amdhsa_exception_fp_ieee_invalid_op 0
		.amdhsa_exception_fp_denorm_src 0
		.amdhsa_exception_fp_ieee_div_zero 0
		.amdhsa_exception_fp_ieee_overflow 0
		.amdhsa_exception_fp_ieee_underflow 0
		.amdhsa_exception_fp_ieee_inexact 0
		.amdhsa_exception_int_div_zero 0
	.end_amdhsa_kernel
	.section	.text._ZN7rocprim17ROCPRIM_400000_NS6detail17trampoline_kernelINS0_14default_configENS1_20scan_config_selectorIsEEZZNS1_9scan_implILNS1_25lookback_scan_determinismE0ELb1ELb1ES3_N6thrust23THRUST_200600_302600_NS6detail15normal_iteratorINS9_10device_ptrIsEEEESE_sNS9_4plusIsEEsEEDaPvRmT3_T4_T5_mT6_P12ihipStream_tbENKUlT_T0_E_clISt17integral_constantIbLb1EESU_EEDaSP_SQ_EUlSP_E0_NS1_11comp_targetILNS1_3genE5ELNS1_11target_archE942ELNS1_3gpuE9ELNS1_3repE0EEENS1_30default_config_static_selectorELNS0_4arch9wavefront6targetE1EEEvT1_,"axG",@progbits,_ZN7rocprim17ROCPRIM_400000_NS6detail17trampoline_kernelINS0_14default_configENS1_20scan_config_selectorIsEEZZNS1_9scan_implILNS1_25lookback_scan_determinismE0ELb1ELb1ES3_N6thrust23THRUST_200600_302600_NS6detail15normal_iteratorINS9_10device_ptrIsEEEESE_sNS9_4plusIsEEsEEDaPvRmT3_T4_T5_mT6_P12ihipStream_tbENKUlT_T0_E_clISt17integral_constantIbLb1EESU_EEDaSP_SQ_EUlSP_E0_NS1_11comp_targetILNS1_3genE5ELNS1_11target_archE942ELNS1_3gpuE9ELNS1_3repE0EEENS1_30default_config_static_selectorELNS0_4arch9wavefront6targetE1EEEvT1_,comdat
.Lfunc_end1223:
	.size	_ZN7rocprim17ROCPRIM_400000_NS6detail17trampoline_kernelINS0_14default_configENS1_20scan_config_selectorIsEEZZNS1_9scan_implILNS1_25lookback_scan_determinismE0ELb1ELb1ES3_N6thrust23THRUST_200600_302600_NS6detail15normal_iteratorINS9_10device_ptrIsEEEESE_sNS9_4plusIsEEsEEDaPvRmT3_T4_T5_mT6_P12ihipStream_tbENKUlT_T0_E_clISt17integral_constantIbLb1EESU_EEDaSP_SQ_EUlSP_E0_NS1_11comp_targetILNS1_3genE5ELNS1_11target_archE942ELNS1_3gpuE9ELNS1_3repE0EEENS1_30default_config_static_selectorELNS0_4arch9wavefront6targetE1EEEvT1_, .Lfunc_end1223-_ZN7rocprim17ROCPRIM_400000_NS6detail17trampoline_kernelINS0_14default_configENS1_20scan_config_selectorIsEEZZNS1_9scan_implILNS1_25lookback_scan_determinismE0ELb1ELb1ES3_N6thrust23THRUST_200600_302600_NS6detail15normal_iteratorINS9_10device_ptrIsEEEESE_sNS9_4plusIsEEsEEDaPvRmT3_T4_T5_mT6_P12ihipStream_tbENKUlT_T0_E_clISt17integral_constantIbLb1EESU_EEDaSP_SQ_EUlSP_E0_NS1_11comp_targetILNS1_3genE5ELNS1_11target_archE942ELNS1_3gpuE9ELNS1_3repE0EEENS1_30default_config_static_selectorELNS0_4arch9wavefront6targetE1EEEvT1_
                                        ; -- End function
	.section	.AMDGPU.csdata,"",@progbits
; Kernel info:
; codeLenInByte = 0
; NumSgprs: 4
; NumVgprs: 0
; NumAgprs: 0
; TotalNumVgprs: 0
; ScratchSize: 0
; MemoryBound: 0
; FloatMode: 240
; IeeeMode: 1
; LDSByteSize: 0 bytes/workgroup (compile time only)
; SGPRBlocks: 0
; VGPRBlocks: 0
; NumSGPRsForWavesPerEU: 4
; NumVGPRsForWavesPerEU: 1
; AccumOffset: 4
; Occupancy: 8
; WaveLimiterHint : 0
; COMPUTE_PGM_RSRC2:SCRATCH_EN: 0
; COMPUTE_PGM_RSRC2:USER_SGPR: 6
; COMPUTE_PGM_RSRC2:TRAP_HANDLER: 0
; COMPUTE_PGM_RSRC2:TGID_X_EN: 1
; COMPUTE_PGM_RSRC2:TGID_Y_EN: 0
; COMPUTE_PGM_RSRC2:TGID_Z_EN: 0
; COMPUTE_PGM_RSRC2:TIDIG_COMP_CNT: 0
; COMPUTE_PGM_RSRC3_GFX90A:ACCUM_OFFSET: 0
; COMPUTE_PGM_RSRC3_GFX90A:TG_SPLIT: 0
	.section	.text._ZN7rocprim17ROCPRIM_400000_NS6detail17trampoline_kernelINS0_14default_configENS1_20scan_config_selectorIsEEZZNS1_9scan_implILNS1_25lookback_scan_determinismE0ELb1ELb1ES3_N6thrust23THRUST_200600_302600_NS6detail15normal_iteratorINS9_10device_ptrIsEEEESE_sNS9_4plusIsEEsEEDaPvRmT3_T4_T5_mT6_P12ihipStream_tbENKUlT_T0_E_clISt17integral_constantIbLb1EESU_EEDaSP_SQ_EUlSP_E0_NS1_11comp_targetILNS1_3genE4ELNS1_11target_archE910ELNS1_3gpuE8ELNS1_3repE0EEENS1_30default_config_static_selectorELNS0_4arch9wavefront6targetE1EEEvT1_,"axG",@progbits,_ZN7rocprim17ROCPRIM_400000_NS6detail17trampoline_kernelINS0_14default_configENS1_20scan_config_selectorIsEEZZNS1_9scan_implILNS1_25lookback_scan_determinismE0ELb1ELb1ES3_N6thrust23THRUST_200600_302600_NS6detail15normal_iteratorINS9_10device_ptrIsEEEESE_sNS9_4plusIsEEsEEDaPvRmT3_T4_T5_mT6_P12ihipStream_tbENKUlT_T0_E_clISt17integral_constantIbLb1EESU_EEDaSP_SQ_EUlSP_E0_NS1_11comp_targetILNS1_3genE4ELNS1_11target_archE910ELNS1_3gpuE8ELNS1_3repE0EEENS1_30default_config_static_selectorELNS0_4arch9wavefront6targetE1EEEvT1_,comdat
	.protected	_ZN7rocprim17ROCPRIM_400000_NS6detail17trampoline_kernelINS0_14default_configENS1_20scan_config_selectorIsEEZZNS1_9scan_implILNS1_25lookback_scan_determinismE0ELb1ELb1ES3_N6thrust23THRUST_200600_302600_NS6detail15normal_iteratorINS9_10device_ptrIsEEEESE_sNS9_4plusIsEEsEEDaPvRmT3_T4_T5_mT6_P12ihipStream_tbENKUlT_T0_E_clISt17integral_constantIbLb1EESU_EEDaSP_SQ_EUlSP_E0_NS1_11comp_targetILNS1_3genE4ELNS1_11target_archE910ELNS1_3gpuE8ELNS1_3repE0EEENS1_30default_config_static_selectorELNS0_4arch9wavefront6targetE1EEEvT1_ ; -- Begin function _ZN7rocprim17ROCPRIM_400000_NS6detail17trampoline_kernelINS0_14default_configENS1_20scan_config_selectorIsEEZZNS1_9scan_implILNS1_25lookback_scan_determinismE0ELb1ELb1ES3_N6thrust23THRUST_200600_302600_NS6detail15normal_iteratorINS9_10device_ptrIsEEEESE_sNS9_4plusIsEEsEEDaPvRmT3_T4_T5_mT6_P12ihipStream_tbENKUlT_T0_E_clISt17integral_constantIbLb1EESU_EEDaSP_SQ_EUlSP_E0_NS1_11comp_targetILNS1_3genE4ELNS1_11target_archE910ELNS1_3gpuE8ELNS1_3repE0EEENS1_30default_config_static_selectorELNS0_4arch9wavefront6targetE1EEEvT1_
	.globl	_ZN7rocprim17ROCPRIM_400000_NS6detail17trampoline_kernelINS0_14default_configENS1_20scan_config_selectorIsEEZZNS1_9scan_implILNS1_25lookback_scan_determinismE0ELb1ELb1ES3_N6thrust23THRUST_200600_302600_NS6detail15normal_iteratorINS9_10device_ptrIsEEEESE_sNS9_4plusIsEEsEEDaPvRmT3_T4_T5_mT6_P12ihipStream_tbENKUlT_T0_E_clISt17integral_constantIbLb1EESU_EEDaSP_SQ_EUlSP_E0_NS1_11comp_targetILNS1_3genE4ELNS1_11target_archE910ELNS1_3gpuE8ELNS1_3repE0EEENS1_30default_config_static_selectorELNS0_4arch9wavefront6targetE1EEEvT1_
	.p2align	8
	.type	_ZN7rocprim17ROCPRIM_400000_NS6detail17trampoline_kernelINS0_14default_configENS1_20scan_config_selectorIsEEZZNS1_9scan_implILNS1_25lookback_scan_determinismE0ELb1ELb1ES3_N6thrust23THRUST_200600_302600_NS6detail15normal_iteratorINS9_10device_ptrIsEEEESE_sNS9_4plusIsEEsEEDaPvRmT3_T4_T5_mT6_P12ihipStream_tbENKUlT_T0_E_clISt17integral_constantIbLb1EESU_EEDaSP_SQ_EUlSP_E0_NS1_11comp_targetILNS1_3genE4ELNS1_11target_archE910ELNS1_3gpuE8ELNS1_3repE0EEENS1_30default_config_static_selectorELNS0_4arch9wavefront6targetE1EEEvT1_,@function
_ZN7rocprim17ROCPRIM_400000_NS6detail17trampoline_kernelINS0_14default_configENS1_20scan_config_selectorIsEEZZNS1_9scan_implILNS1_25lookback_scan_determinismE0ELb1ELb1ES3_N6thrust23THRUST_200600_302600_NS6detail15normal_iteratorINS9_10device_ptrIsEEEESE_sNS9_4plusIsEEsEEDaPvRmT3_T4_T5_mT6_P12ihipStream_tbENKUlT_T0_E_clISt17integral_constantIbLb1EESU_EEDaSP_SQ_EUlSP_E0_NS1_11comp_targetILNS1_3genE4ELNS1_11target_archE910ELNS1_3gpuE8ELNS1_3repE0EEENS1_30default_config_static_selectorELNS0_4arch9wavefront6targetE1EEEvT1_: ; @_ZN7rocprim17ROCPRIM_400000_NS6detail17trampoline_kernelINS0_14default_configENS1_20scan_config_selectorIsEEZZNS1_9scan_implILNS1_25lookback_scan_determinismE0ELb1ELb1ES3_N6thrust23THRUST_200600_302600_NS6detail15normal_iteratorINS9_10device_ptrIsEEEESE_sNS9_4plusIsEEsEEDaPvRmT3_T4_T5_mT6_P12ihipStream_tbENKUlT_T0_E_clISt17integral_constantIbLb1EESU_EEDaSP_SQ_EUlSP_E0_NS1_11comp_targetILNS1_3genE4ELNS1_11target_archE910ELNS1_3gpuE8ELNS1_3repE0EEENS1_30default_config_static_selectorELNS0_4arch9wavefront6targetE1EEEvT1_
; %bb.0:
	s_load_dwordx4 s[52:55], s[4:5], 0x0
	v_mov_b32_e32 v1, 0
	v_lshlrev_b32_e32 v14, 1, v0
	s_waitcnt lgkmcnt(0)
	global_load_ushort v2, v1, s[52:53]
	v_cmp_gt_u32_e32 vcc, s54, v0
	s_waitcnt vmcnt(0)
	v_mov_b32_e32 v3, v2
	s_and_saveexec_b64 s[0:1], vcc
	s_cbranch_execz .LBB1224_2
; %bb.1:
	global_load_ushort v3, v14, s[52:53]
.LBB1224_2:
	s_or_b64 exec, exec, s[0:1]
	v_or_b32_e32 v1, 64, v0
	v_cmp_gt_u32_e64 s[0:1], s54, v1
	v_mov_b32_e32 v4, v2
	s_and_saveexec_b64 s[2:3], s[0:1]
	s_cbranch_execz .LBB1224_4
; %bb.3:
	global_load_ushort v4, v14, s[52:53] offset:128
.LBB1224_4:
	s_or_b64 exec, exec, s[2:3]
	v_or_b32_e32 v1, 0x80, v0
	v_cmp_gt_u32_e64 s[2:3], s54, v1
	v_mov_b32_e32 v5, v2
	s_and_saveexec_b64 s[6:7], s[2:3]
	s_cbranch_execz .LBB1224_6
; %bb.5:
	global_load_ushort v5, v14, s[52:53] offset:256
.LBB1224_6:
	;; [unrolled: 9-line block ×22, first 2 shown]
	s_or_b64 exec, exec, s[46:47]
	v_or_b32_e32 v1, 0x5c0, v0
	v_cmp_gt_u32_e64 s[46:47], s54, v1
	v_cmp_le_u32_e64 s[50:51], s54, v1
	s_and_saveexec_b64 s[54:55], s[50:51]
	s_xor_b64 s[50:51], exec, s[54:55]
; %bb.47:
	v_mov_b32_e32 v1, 0
; %bb.48:
	s_or_saveexec_b64 s[50:51], s[50:51]
	s_load_dword s33, s[4:5], 0x10
	s_load_dwordx2 s[54:55], s[4:5], 0x18
	s_xor_b64 exec, exec, s[50:51]
	s_cbranch_execz .LBB1224_50
; %bb.49:
	global_load_ushort v2, v14, s[52:53] offset:2944
	v_mov_b32_e32 v1, 0
.LBB1224_50:
	s_or_b64 exec, exec, s[50:51]
	s_waitcnt vmcnt(0)
	ds_write_b16 v14, v3
	ds_write_b16 v14, v4 offset:128
	ds_write_b16 v14, v5 offset:256
	;; [unrolled: 1-line block ×23, first 2 shown]
	v_mad_u32_u24 v2, v0, 46, v14
	s_waitcnt lgkmcnt(0)
	; wave barrier
	s_waitcnt lgkmcnt(0)
	ds_read_b128 v[10:13], v2
	ds_read_b128 v[6:9], v2 offset:16
	ds_read_b128 v[2:5], v2 offset:32
	v_mul_u32_u24_e32 v15, 46, v0
	s_waitcnt lgkmcnt(0)
	v_add_u16_sdwa v16, v10, v10 dst_sel:DWORD dst_unused:UNUSED_PAD src0_sel:WORD_1 src1_sel:DWORD
	v_add_u16_e32 v16, v16, v11
	v_add_u16_sdwa v16, v16, v11 dst_sel:DWORD dst_unused:UNUSED_PAD src0_sel:DWORD src1_sel:WORD_1
	v_add_u16_e32 v16, v16, v12
	v_add_u16_sdwa v16, v16, v12 dst_sel:DWORD dst_unused:UNUSED_PAD src0_sel:DWORD src1_sel:WORD_1
	;; [unrolled: 2-line block ×11, first 2 shown]
	v_mbcnt_lo_u32_b32 v16, -1, 0
	v_mbcnt_hi_u32_b32 v16, -1, v16
	v_and_b32_e32 v18, 15, v16
	v_mov_b32_dpp v19, v17 row_shr:1 row_mask:0xf bank_mask:0xf
	v_cmp_ne_u32_e64 s[4:5], 0, v18
	v_cndmask_b32_e64 v19, 0, v19, s[4:5]
	v_add_u16_e32 v17, v19, v17
	v_cmp_lt_u32_e64 s[4:5], 1, v18
	; wave barrier
	s_nop 0
	v_mov_b32_dpp v19, v17 row_shr:2 row_mask:0xf bank_mask:0xf
	v_cndmask_b32_e64 v19, 0, v19, s[4:5]
	v_add_u16_e32 v17, v17, v19
	v_cmp_lt_u32_e64 s[4:5], 3, v18
	s_nop 0
	v_mov_b32_dpp v19, v17 row_shr:4 row_mask:0xf bank_mask:0xf
	v_cndmask_b32_e64 v19, 0, v19, s[4:5]
	v_add_u16_e32 v17, v17, v19
	v_cmp_lt_u32_e64 s[4:5], 7, v18
	s_nop 0
	v_mov_b32_dpp v19, v17 row_shr:8 row_mask:0xf bank_mask:0xf
	v_cndmask_b32_e64 v18, 0, v19, s[4:5]
	v_add_u16_e32 v17, v17, v18
	v_and_b32_e32 v19, 16, v16
	v_cmp_ne_u32_e64 s[4:5], 0, v19
	v_mov_b32_dpp v18, v17 row_bcast:15 row_mask:0xf bank_mask:0xf
	v_cndmask_b32_e64 v18, 0, v18, s[4:5]
	v_add_u16_e32 v17, v17, v18
	v_cmp_lt_u32_e64 s[4:5], 31, v16
	s_nop 0
	v_mov_b32_dpp v18, v17 row_bcast:31 row_mask:0xf bank_mask:0xf
	v_cndmask_b32_e64 v18, 0, v18, s[4:5]
	v_add_u16_e32 v17, v17, v18
	v_cmp_eq_u32_e64 s[4:5], 63, v0
	s_and_saveexec_b64 s[50:51], s[4:5]
	s_cbranch_execz .LBB1224_52
; %bb.51:
	v_mov_b32_e32 v18, 0
	ds_write_b16 v18, v17
.LBB1224_52:
	s_or_b64 exec, exec, s[50:51]
	v_add_u32_e32 v18, -1, v16
	v_and_b32_e32 v19, 64, v16
	v_cmp_lt_i32_e64 s[4:5], v18, v19
	v_cndmask_b32_e64 v18, v18, v16, s[4:5]
	v_add_u16_e32 v17, s33, v17
	v_lshlrev_b32_e32 v18, 2, v18
	ds_bpermute_b32 v17, v18, v17
	v_cmp_eq_u32_e64 s[4:5], 0, v16
	v_cmp_eq_u32_e64 s[50:51], 0, v0
	v_mov_b32_e32 v16, s33
	s_or_b64 s[4:5], s[50:51], s[4:5]
	s_waitcnt lgkmcnt(0)
	v_cndmask_b32_e64 v16, v17, v16, s[4:5]
	v_add_u16_e32 v17, v16, v10
	v_add_u16_sdwa v10, v17, v10 dst_sel:DWORD dst_unused:UNUSED_PAD src0_sel:DWORD src1_sel:WORD_1
	v_add_u16_e32 v18, v10, v11
	v_add_u16_sdwa v11, v18, v11 dst_sel:DWORD dst_unused:UNUSED_PAD src0_sel:DWORD src1_sel:WORD_1
	v_add_u16_e32 v19, v11, v12
	v_add_u16_sdwa v12, v19, v12 dst_sel:DWORD dst_unused:UNUSED_PAD src0_sel:DWORD src1_sel:WORD_1
	v_add_u16_e32 v20, v12, v13
	v_add_u16_sdwa v13, v20, v13 dst_sel:DWORD dst_unused:UNUSED_PAD src0_sel:DWORD src1_sel:WORD_1
	v_add_u16_e32 v21, v13, v6
	v_add_u16_sdwa v6, v21, v6 dst_sel:DWORD dst_unused:UNUSED_PAD src0_sel:DWORD src1_sel:WORD_1
	v_add_u16_e32 v22, v6, v7
	v_add_u16_sdwa v7, v22, v7 dst_sel:DWORD dst_unused:UNUSED_PAD src0_sel:DWORD src1_sel:WORD_1
	v_add_u16_e32 v23, v7, v8
	v_add_u16_sdwa v8, v23, v8 dst_sel:DWORD dst_unused:UNUSED_PAD src0_sel:DWORD src1_sel:WORD_1
	v_add_u16_e32 v24, v8, v9
	v_add_u16_sdwa v9, v24, v9 dst_sel:DWORD dst_unused:UNUSED_PAD src0_sel:DWORD src1_sel:WORD_1
	v_add_u16_e32 v25, v9, v2
	v_add_u16_sdwa v26, v25, v2 dst_sel:DWORD dst_unused:UNUSED_PAD src0_sel:DWORD src1_sel:WORD_1
	v_add_u16_e32 v27, v26, v3
	v_add_u16_sdwa v28, v27, v3 dst_sel:DWORD dst_unused:UNUSED_PAD src0_sel:DWORD src1_sel:WORD_1
	v_add_u16_e32 v29, v28, v4
	v_add_u16_sdwa v30, v29, v4 dst_sel:DWORD dst_unused:UNUSED_PAD src0_sel:DWORD src1_sel:WORD_1
	s_mov_b32 s4, 0x5040100
	v_add_u16_e32 v31, v30, v5
	v_add_u32_e32 v15, v14, v15
	v_perm_b32 v2, v17, v16, s4
	v_perm_b32 v3, v18, v10, s4
	v_perm_b32 v4, v19, v11, s4
	v_perm_b32 v5, v20, v12, s4
	s_waitcnt lgkmcnt(0)
	; wave barrier
	s_waitcnt lgkmcnt(0)
	s_waitcnt lgkmcnt(0)
	; wave barrier
	ds_write_b128 v15, v[2:5]
	v_perm_b32 v2, v21, v13, s4
	v_perm_b32 v3, v22, v6, s4
	;; [unrolled: 1-line block ×4, first 2 shown]
	ds_write_b128 v15, v[2:5] offset:16
	v_perm_b32 v2, v25, v9, s4
	v_perm_b32 v3, v27, v26, s4
	;; [unrolled: 1-line block ×4, first 2 shown]
	ds_write_b128 v15, v[2:5] offset:32
	s_waitcnt lgkmcnt(0)
	; wave barrier
	s_waitcnt lgkmcnt(0)
	ds_read_u16 v25, v14 offset:128
	ds_read_u16 v24, v14 offset:256
	;; [unrolled: 1-line block ×23, first 2 shown]
	v_lshlrev_b64 v[0:1], 1, v[0:1]
	v_mov_b32_e32 v26, s55
	v_add_co_u32_e64 v0, s[4:5], s54, v0
	v_addc_co_u32_e64 v1, s[4:5], v26, v1, s[4:5]
	s_and_saveexec_b64 s[4:5], vcc
	s_cbranch_execnz .LBB1224_77
; %bb.53:
	s_or_b64 exec, exec, s[4:5]
	s_and_saveexec_b64 s[4:5], s[0:1]
	s_cbranch_execnz .LBB1224_78
.LBB1224_54:
	s_or_b64 exec, exec, s[4:5]
	s_and_saveexec_b64 s[0:1], s[2:3]
	s_cbranch_execnz .LBB1224_79
.LBB1224_55:
	s_or_b64 exec, exec, s[0:1]
	s_and_saveexec_b64 s[0:1], s[48:49]
	s_cbranch_execnz .LBB1224_80
.LBB1224_56:
	s_or_b64 exec, exec, s[0:1]
	s_and_saveexec_b64 s[0:1], s[6:7]
	s_cbranch_execnz .LBB1224_81
.LBB1224_57:
	s_or_b64 exec, exec, s[0:1]
	s_and_saveexec_b64 s[0:1], s[8:9]
	s_cbranch_execnz .LBB1224_82
.LBB1224_58:
	s_or_b64 exec, exec, s[0:1]
	s_and_saveexec_b64 s[0:1], s[10:11]
	s_cbranch_execnz .LBB1224_83
.LBB1224_59:
	s_or_b64 exec, exec, s[0:1]
	s_and_saveexec_b64 s[0:1], s[12:13]
	s_cbranch_execnz .LBB1224_84
.LBB1224_60:
	s_or_b64 exec, exec, s[0:1]
	s_and_saveexec_b64 s[0:1], s[14:15]
	s_cbranch_execnz .LBB1224_85
.LBB1224_61:
	s_or_b64 exec, exec, s[0:1]
	s_and_saveexec_b64 s[0:1], s[16:17]
	s_cbranch_execnz .LBB1224_86
.LBB1224_62:
	s_or_b64 exec, exec, s[0:1]
	s_and_saveexec_b64 s[0:1], s[18:19]
	s_cbranch_execnz .LBB1224_87
.LBB1224_63:
	s_or_b64 exec, exec, s[0:1]
	s_and_saveexec_b64 s[0:1], s[20:21]
	s_cbranch_execnz .LBB1224_88
.LBB1224_64:
	s_or_b64 exec, exec, s[0:1]
	s_and_saveexec_b64 s[0:1], s[22:23]
	s_cbranch_execnz .LBB1224_89
.LBB1224_65:
	s_or_b64 exec, exec, s[0:1]
	s_and_saveexec_b64 s[0:1], s[24:25]
	s_cbranch_execnz .LBB1224_90
.LBB1224_66:
	s_or_b64 exec, exec, s[0:1]
	s_and_saveexec_b64 s[0:1], s[26:27]
	s_cbranch_execnz .LBB1224_91
.LBB1224_67:
	s_or_b64 exec, exec, s[0:1]
	s_and_saveexec_b64 s[0:1], s[28:29]
	s_cbranch_execnz .LBB1224_92
.LBB1224_68:
	s_or_b64 exec, exec, s[0:1]
	s_and_saveexec_b64 s[0:1], s[30:31]
	s_cbranch_execnz .LBB1224_93
.LBB1224_69:
	s_or_b64 exec, exec, s[0:1]
	s_and_saveexec_b64 s[0:1], s[34:35]
	s_cbranch_execnz .LBB1224_94
.LBB1224_70:
	s_or_b64 exec, exec, s[0:1]
	s_and_saveexec_b64 s[0:1], s[36:37]
	s_cbranch_execnz .LBB1224_95
.LBB1224_71:
	s_or_b64 exec, exec, s[0:1]
	s_and_saveexec_b64 s[0:1], s[38:39]
	s_cbranch_execnz .LBB1224_96
.LBB1224_72:
	s_or_b64 exec, exec, s[0:1]
	s_and_saveexec_b64 s[0:1], s[40:41]
	s_cbranch_execnz .LBB1224_97
.LBB1224_73:
	s_or_b64 exec, exec, s[0:1]
	s_and_saveexec_b64 s[0:1], s[42:43]
	s_cbranch_execnz .LBB1224_98
.LBB1224_74:
	s_or_b64 exec, exec, s[0:1]
	s_and_saveexec_b64 s[0:1], s[44:45]
	s_cbranch_execnz .LBB1224_99
.LBB1224_75:
	s_or_b64 exec, exec, s[0:1]
	s_and_saveexec_b64 s[0:1], s[46:47]
	s_cbranch_execnz .LBB1224_100
.LBB1224_76:
	s_endpgm
.LBB1224_77:
	ds_read_u16 v14, v14
	s_waitcnt lgkmcnt(0)
	global_store_short v[0:1], v14, off
	s_or_b64 exec, exec, s[4:5]
	s_and_saveexec_b64 s[4:5], s[0:1]
	s_cbranch_execz .LBB1224_54
.LBB1224_78:
	s_waitcnt lgkmcnt(14)
	global_store_short v[0:1], v25, off offset:128
	s_or_b64 exec, exec, s[4:5]
	s_and_saveexec_b64 s[0:1], s[2:3]
	s_cbranch_execz .LBB1224_55
.LBB1224_79:
	s_waitcnt lgkmcnt(14)
	global_store_short v[0:1], v24, off offset:256
	s_or_b64 exec, exec, s[0:1]
	s_and_saveexec_b64 s[0:1], s[48:49]
	s_cbranch_execz .LBB1224_56
.LBB1224_80:
	s_waitcnt lgkmcnt(14)
	global_store_short v[0:1], v23, off offset:384
	s_or_b64 exec, exec, s[0:1]
	s_and_saveexec_b64 s[0:1], s[6:7]
	s_cbranch_execz .LBB1224_57
.LBB1224_81:
	s_waitcnt lgkmcnt(14)
	global_store_short v[0:1], v22, off offset:512
	s_or_b64 exec, exec, s[0:1]
	s_and_saveexec_b64 s[0:1], s[8:9]
	s_cbranch_execz .LBB1224_58
.LBB1224_82:
	s_waitcnt lgkmcnt(14)
	global_store_short v[0:1], v21, off offset:640
	s_or_b64 exec, exec, s[0:1]
	s_and_saveexec_b64 s[0:1], s[10:11]
	s_cbranch_execz .LBB1224_59
.LBB1224_83:
	s_waitcnt lgkmcnt(14)
	global_store_short v[0:1], v20, off offset:768
	s_or_b64 exec, exec, s[0:1]
	s_and_saveexec_b64 s[0:1], s[12:13]
	s_cbranch_execz .LBB1224_60
.LBB1224_84:
	s_waitcnt lgkmcnt(14)
	global_store_short v[0:1], v19, off offset:896
	s_or_b64 exec, exec, s[0:1]
	s_and_saveexec_b64 s[0:1], s[14:15]
	s_cbranch_execz .LBB1224_61
.LBB1224_85:
	s_waitcnt lgkmcnt(14)
	global_store_short v[0:1], v18, off offset:1024
	s_or_b64 exec, exec, s[0:1]
	s_and_saveexec_b64 s[0:1], s[16:17]
	s_cbranch_execz .LBB1224_62
.LBB1224_86:
	s_waitcnt lgkmcnt(14)
	global_store_short v[0:1], v17, off offset:1152
	s_or_b64 exec, exec, s[0:1]
	s_and_saveexec_b64 s[0:1], s[18:19]
	s_cbranch_execz .LBB1224_63
.LBB1224_87:
	s_waitcnt lgkmcnt(13)
	global_store_short v[0:1], v16, off offset:1280
	s_or_b64 exec, exec, s[0:1]
	s_and_saveexec_b64 s[0:1], s[20:21]
	s_cbranch_execz .LBB1224_64
.LBB1224_88:
	s_waitcnt lgkmcnt(12)
	global_store_short v[0:1], v15, off offset:1408
	s_or_b64 exec, exec, s[0:1]
	s_and_saveexec_b64 s[0:1], s[22:23]
	s_cbranch_execz .LBB1224_65
.LBB1224_89:
	s_waitcnt lgkmcnt(11)
	global_store_short v[0:1], v13, off offset:1536
	s_or_b64 exec, exec, s[0:1]
	s_and_saveexec_b64 s[0:1], s[24:25]
	s_cbranch_execz .LBB1224_66
.LBB1224_90:
	s_waitcnt lgkmcnt(10)
	global_store_short v[0:1], v12, off offset:1664
	s_or_b64 exec, exec, s[0:1]
	s_and_saveexec_b64 s[0:1], s[26:27]
	s_cbranch_execz .LBB1224_67
.LBB1224_91:
	s_waitcnt lgkmcnt(9)
	global_store_short v[0:1], v11, off offset:1792
	s_or_b64 exec, exec, s[0:1]
	s_and_saveexec_b64 s[0:1], s[28:29]
	s_cbranch_execz .LBB1224_68
.LBB1224_92:
	s_waitcnt lgkmcnt(8)
	global_store_short v[0:1], v10, off offset:1920
	s_or_b64 exec, exec, s[0:1]
	s_and_saveexec_b64 s[0:1], s[30:31]
	s_cbranch_execz .LBB1224_69
.LBB1224_93:
	s_waitcnt lgkmcnt(7)
	global_store_short v[0:1], v9, off offset:2048
	s_or_b64 exec, exec, s[0:1]
	s_and_saveexec_b64 s[0:1], s[34:35]
	s_cbranch_execz .LBB1224_70
.LBB1224_94:
	s_waitcnt lgkmcnt(6)
	global_store_short v[0:1], v8, off offset:2176
	s_or_b64 exec, exec, s[0:1]
	s_and_saveexec_b64 s[0:1], s[36:37]
	s_cbranch_execz .LBB1224_71
.LBB1224_95:
	s_waitcnt lgkmcnt(5)
	global_store_short v[0:1], v7, off offset:2304
	s_or_b64 exec, exec, s[0:1]
	s_and_saveexec_b64 s[0:1], s[38:39]
	s_cbranch_execz .LBB1224_72
.LBB1224_96:
	s_waitcnt lgkmcnt(4)
	global_store_short v[0:1], v6, off offset:2432
	s_or_b64 exec, exec, s[0:1]
	s_and_saveexec_b64 s[0:1], s[40:41]
	s_cbranch_execz .LBB1224_73
.LBB1224_97:
	s_waitcnt lgkmcnt(3)
	global_store_short v[0:1], v5, off offset:2560
	s_or_b64 exec, exec, s[0:1]
	s_and_saveexec_b64 s[0:1], s[42:43]
	s_cbranch_execz .LBB1224_74
.LBB1224_98:
	s_waitcnt lgkmcnt(2)
	global_store_short v[0:1], v4, off offset:2688
	s_or_b64 exec, exec, s[0:1]
	s_and_saveexec_b64 s[0:1], s[44:45]
	s_cbranch_execz .LBB1224_75
.LBB1224_99:
	s_waitcnt lgkmcnt(1)
	global_store_short v[0:1], v3, off offset:2816
	s_or_b64 exec, exec, s[0:1]
	s_and_saveexec_b64 s[0:1], s[46:47]
	s_cbranch_execz .LBB1224_76
.LBB1224_100:
	s_waitcnt lgkmcnt(0)
	global_store_short v[0:1], v2, off offset:2944
	s_endpgm
	.section	.rodata,"a",@progbits
	.p2align	6, 0x0
	.amdhsa_kernel _ZN7rocprim17ROCPRIM_400000_NS6detail17trampoline_kernelINS0_14default_configENS1_20scan_config_selectorIsEEZZNS1_9scan_implILNS1_25lookback_scan_determinismE0ELb1ELb1ES3_N6thrust23THRUST_200600_302600_NS6detail15normal_iteratorINS9_10device_ptrIsEEEESE_sNS9_4plusIsEEsEEDaPvRmT3_T4_T5_mT6_P12ihipStream_tbENKUlT_T0_E_clISt17integral_constantIbLb1EESU_EEDaSP_SQ_EUlSP_E0_NS1_11comp_targetILNS1_3genE4ELNS1_11target_archE910ELNS1_3gpuE8ELNS1_3repE0EEENS1_30default_config_static_selectorELNS0_4arch9wavefront6targetE1EEEvT1_
		.amdhsa_group_segment_fixed_size 3072
		.amdhsa_private_segment_fixed_size 0
		.amdhsa_kernarg_size 32
		.amdhsa_user_sgpr_count 6
		.amdhsa_user_sgpr_private_segment_buffer 1
		.amdhsa_user_sgpr_dispatch_ptr 0
		.amdhsa_user_sgpr_queue_ptr 0
		.amdhsa_user_sgpr_kernarg_segment_ptr 1
		.amdhsa_user_sgpr_dispatch_id 0
		.amdhsa_user_sgpr_flat_scratch_init 0
		.amdhsa_user_sgpr_kernarg_preload_length 0
		.amdhsa_user_sgpr_kernarg_preload_offset 0
		.amdhsa_user_sgpr_private_segment_size 0
		.amdhsa_uses_dynamic_stack 0
		.amdhsa_system_sgpr_private_segment_wavefront_offset 0
		.amdhsa_system_sgpr_workgroup_id_x 1
		.amdhsa_system_sgpr_workgroup_id_y 0
		.amdhsa_system_sgpr_workgroup_id_z 0
		.amdhsa_system_sgpr_workgroup_info 0
		.amdhsa_system_vgpr_workitem_id 0
		.amdhsa_next_free_vgpr 32
		.amdhsa_next_free_sgpr 56
		.amdhsa_accum_offset 32
		.amdhsa_reserve_vcc 1
		.amdhsa_reserve_flat_scratch 0
		.amdhsa_float_round_mode_32 0
		.amdhsa_float_round_mode_16_64 0
		.amdhsa_float_denorm_mode_32 3
		.amdhsa_float_denorm_mode_16_64 3
		.amdhsa_dx10_clamp 1
		.amdhsa_ieee_mode 1
		.amdhsa_fp16_overflow 0
		.amdhsa_tg_split 0
		.amdhsa_exception_fp_ieee_invalid_op 0
		.amdhsa_exception_fp_denorm_src 0
		.amdhsa_exception_fp_ieee_div_zero 0
		.amdhsa_exception_fp_ieee_overflow 0
		.amdhsa_exception_fp_ieee_underflow 0
		.amdhsa_exception_fp_ieee_inexact 0
		.amdhsa_exception_int_div_zero 0
	.end_amdhsa_kernel
	.section	.text._ZN7rocprim17ROCPRIM_400000_NS6detail17trampoline_kernelINS0_14default_configENS1_20scan_config_selectorIsEEZZNS1_9scan_implILNS1_25lookback_scan_determinismE0ELb1ELb1ES3_N6thrust23THRUST_200600_302600_NS6detail15normal_iteratorINS9_10device_ptrIsEEEESE_sNS9_4plusIsEEsEEDaPvRmT3_T4_T5_mT6_P12ihipStream_tbENKUlT_T0_E_clISt17integral_constantIbLb1EESU_EEDaSP_SQ_EUlSP_E0_NS1_11comp_targetILNS1_3genE4ELNS1_11target_archE910ELNS1_3gpuE8ELNS1_3repE0EEENS1_30default_config_static_selectorELNS0_4arch9wavefront6targetE1EEEvT1_,"axG",@progbits,_ZN7rocprim17ROCPRIM_400000_NS6detail17trampoline_kernelINS0_14default_configENS1_20scan_config_selectorIsEEZZNS1_9scan_implILNS1_25lookback_scan_determinismE0ELb1ELb1ES3_N6thrust23THRUST_200600_302600_NS6detail15normal_iteratorINS9_10device_ptrIsEEEESE_sNS9_4plusIsEEsEEDaPvRmT3_T4_T5_mT6_P12ihipStream_tbENKUlT_T0_E_clISt17integral_constantIbLb1EESU_EEDaSP_SQ_EUlSP_E0_NS1_11comp_targetILNS1_3genE4ELNS1_11target_archE910ELNS1_3gpuE8ELNS1_3repE0EEENS1_30default_config_static_selectorELNS0_4arch9wavefront6targetE1EEEvT1_,comdat
.Lfunc_end1224:
	.size	_ZN7rocprim17ROCPRIM_400000_NS6detail17trampoline_kernelINS0_14default_configENS1_20scan_config_selectorIsEEZZNS1_9scan_implILNS1_25lookback_scan_determinismE0ELb1ELb1ES3_N6thrust23THRUST_200600_302600_NS6detail15normal_iteratorINS9_10device_ptrIsEEEESE_sNS9_4plusIsEEsEEDaPvRmT3_T4_T5_mT6_P12ihipStream_tbENKUlT_T0_E_clISt17integral_constantIbLb1EESU_EEDaSP_SQ_EUlSP_E0_NS1_11comp_targetILNS1_3genE4ELNS1_11target_archE910ELNS1_3gpuE8ELNS1_3repE0EEENS1_30default_config_static_selectorELNS0_4arch9wavefront6targetE1EEEvT1_, .Lfunc_end1224-_ZN7rocprim17ROCPRIM_400000_NS6detail17trampoline_kernelINS0_14default_configENS1_20scan_config_selectorIsEEZZNS1_9scan_implILNS1_25lookback_scan_determinismE0ELb1ELb1ES3_N6thrust23THRUST_200600_302600_NS6detail15normal_iteratorINS9_10device_ptrIsEEEESE_sNS9_4plusIsEEsEEDaPvRmT3_T4_T5_mT6_P12ihipStream_tbENKUlT_T0_E_clISt17integral_constantIbLb1EESU_EEDaSP_SQ_EUlSP_E0_NS1_11comp_targetILNS1_3genE4ELNS1_11target_archE910ELNS1_3gpuE8ELNS1_3repE0EEENS1_30default_config_static_selectorELNS0_4arch9wavefront6targetE1EEEvT1_
                                        ; -- End function
	.section	.AMDGPU.csdata,"",@progbits
; Kernel info:
; codeLenInByte = 3080
; NumSgprs: 60
; NumVgprs: 32
; NumAgprs: 0
; TotalNumVgprs: 32
; ScratchSize: 0
; MemoryBound: 0
; FloatMode: 240
; IeeeMode: 1
; LDSByteSize: 3072 bytes/workgroup (compile time only)
; SGPRBlocks: 7
; VGPRBlocks: 3
; NumSGPRsForWavesPerEU: 60
; NumVGPRsForWavesPerEU: 32
; AccumOffset: 32
; Occupancy: 6
; WaveLimiterHint : 0
; COMPUTE_PGM_RSRC2:SCRATCH_EN: 0
; COMPUTE_PGM_RSRC2:USER_SGPR: 6
; COMPUTE_PGM_RSRC2:TRAP_HANDLER: 0
; COMPUTE_PGM_RSRC2:TGID_X_EN: 1
; COMPUTE_PGM_RSRC2:TGID_Y_EN: 0
; COMPUTE_PGM_RSRC2:TGID_Z_EN: 0
; COMPUTE_PGM_RSRC2:TIDIG_COMP_CNT: 0
; COMPUTE_PGM_RSRC3_GFX90A:ACCUM_OFFSET: 7
; COMPUTE_PGM_RSRC3_GFX90A:TG_SPLIT: 0
	.section	.text._ZN7rocprim17ROCPRIM_400000_NS6detail17trampoline_kernelINS0_14default_configENS1_20scan_config_selectorIsEEZZNS1_9scan_implILNS1_25lookback_scan_determinismE0ELb1ELb1ES3_N6thrust23THRUST_200600_302600_NS6detail15normal_iteratorINS9_10device_ptrIsEEEESE_sNS9_4plusIsEEsEEDaPvRmT3_T4_T5_mT6_P12ihipStream_tbENKUlT_T0_E_clISt17integral_constantIbLb1EESU_EEDaSP_SQ_EUlSP_E0_NS1_11comp_targetILNS1_3genE3ELNS1_11target_archE908ELNS1_3gpuE7ELNS1_3repE0EEENS1_30default_config_static_selectorELNS0_4arch9wavefront6targetE1EEEvT1_,"axG",@progbits,_ZN7rocprim17ROCPRIM_400000_NS6detail17trampoline_kernelINS0_14default_configENS1_20scan_config_selectorIsEEZZNS1_9scan_implILNS1_25lookback_scan_determinismE0ELb1ELb1ES3_N6thrust23THRUST_200600_302600_NS6detail15normal_iteratorINS9_10device_ptrIsEEEESE_sNS9_4plusIsEEsEEDaPvRmT3_T4_T5_mT6_P12ihipStream_tbENKUlT_T0_E_clISt17integral_constantIbLb1EESU_EEDaSP_SQ_EUlSP_E0_NS1_11comp_targetILNS1_3genE3ELNS1_11target_archE908ELNS1_3gpuE7ELNS1_3repE0EEENS1_30default_config_static_selectorELNS0_4arch9wavefront6targetE1EEEvT1_,comdat
	.protected	_ZN7rocprim17ROCPRIM_400000_NS6detail17trampoline_kernelINS0_14default_configENS1_20scan_config_selectorIsEEZZNS1_9scan_implILNS1_25lookback_scan_determinismE0ELb1ELb1ES3_N6thrust23THRUST_200600_302600_NS6detail15normal_iteratorINS9_10device_ptrIsEEEESE_sNS9_4plusIsEEsEEDaPvRmT3_T4_T5_mT6_P12ihipStream_tbENKUlT_T0_E_clISt17integral_constantIbLb1EESU_EEDaSP_SQ_EUlSP_E0_NS1_11comp_targetILNS1_3genE3ELNS1_11target_archE908ELNS1_3gpuE7ELNS1_3repE0EEENS1_30default_config_static_selectorELNS0_4arch9wavefront6targetE1EEEvT1_ ; -- Begin function _ZN7rocprim17ROCPRIM_400000_NS6detail17trampoline_kernelINS0_14default_configENS1_20scan_config_selectorIsEEZZNS1_9scan_implILNS1_25lookback_scan_determinismE0ELb1ELb1ES3_N6thrust23THRUST_200600_302600_NS6detail15normal_iteratorINS9_10device_ptrIsEEEESE_sNS9_4plusIsEEsEEDaPvRmT3_T4_T5_mT6_P12ihipStream_tbENKUlT_T0_E_clISt17integral_constantIbLb1EESU_EEDaSP_SQ_EUlSP_E0_NS1_11comp_targetILNS1_3genE3ELNS1_11target_archE908ELNS1_3gpuE7ELNS1_3repE0EEENS1_30default_config_static_selectorELNS0_4arch9wavefront6targetE1EEEvT1_
	.globl	_ZN7rocprim17ROCPRIM_400000_NS6detail17trampoline_kernelINS0_14default_configENS1_20scan_config_selectorIsEEZZNS1_9scan_implILNS1_25lookback_scan_determinismE0ELb1ELb1ES3_N6thrust23THRUST_200600_302600_NS6detail15normal_iteratorINS9_10device_ptrIsEEEESE_sNS9_4plusIsEEsEEDaPvRmT3_T4_T5_mT6_P12ihipStream_tbENKUlT_T0_E_clISt17integral_constantIbLb1EESU_EEDaSP_SQ_EUlSP_E0_NS1_11comp_targetILNS1_3genE3ELNS1_11target_archE908ELNS1_3gpuE7ELNS1_3repE0EEENS1_30default_config_static_selectorELNS0_4arch9wavefront6targetE1EEEvT1_
	.p2align	8
	.type	_ZN7rocprim17ROCPRIM_400000_NS6detail17trampoline_kernelINS0_14default_configENS1_20scan_config_selectorIsEEZZNS1_9scan_implILNS1_25lookback_scan_determinismE0ELb1ELb1ES3_N6thrust23THRUST_200600_302600_NS6detail15normal_iteratorINS9_10device_ptrIsEEEESE_sNS9_4plusIsEEsEEDaPvRmT3_T4_T5_mT6_P12ihipStream_tbENKUlT_T0_E_clISt17integral_constantIbLb1EESU_EEDaSP_SQ_EUlSP_E0_NS1_11comp_targetILNS1_3genE3ELNS1_11target_archE908ELNS1_3gpuE7ELNS1_3repE0EEENS1_30default_config_static_selectorELNS0_4arch9wavefront6targetE1EEEvT1_,@function
_ZN7rocprim17ROCPRIM_400000_NS6detail17trampoline_kernelINS0_14default_configENS1_20scan_config_selectorIsEEZZNS1_9scan_implILNS1_25lookback_scan_determinismE0ELb1ELb1ES3_N6thrust23THRUST_200600_302600_NS6detail15normal_iteratorINS9_10device_ptrIsEEEESE_sNS9_4plusIsEEsEEDaPvRmT3_T4_T5_mT6_P12ihipStream_tbENKUlT_T0_E_clISt17integral_constantIbLb1EESU_EEDaSP_SQ_EUlSP_E0_NS1_11comp_targetILNS1_3genE3ELNS1_11target_archE908ELNS1_3gpuE7ELNS1_3repE0EEENS1_30default_config_static_selectorELNS0_4arch9wavefront6targetE1EEEvT1_: ; @_ZN7rocprim17ROCPRIM_400000_NS6detail17trampoline_kernelINS0_14default_configENS1_20scan_config_selectorIsEEZZNS1_9scan_implILNS1_25lookback_scan_determinismE0ELb1ELb1ES3_N6thrust23THRUST_200600_302600_NS6detail15normal_iteratorINS9_10device_ptrIsEEEESE_sNS9_4plusIsEEsEEDaPvRmT3_T4_T5_mT6_P12ihipStream_tbENKUlT_T0_E_clISt17integral_constantIbLb1EESU_EEDaSP_SQ_EUlSP_E0_NS1_11comp_targetILNS1_3genE3ELNS1_11target_archE908ELNS1_3gpuE7ELNS1_3repE0EEENS1_30default_config_static_selectorELNS0_4arch9wavefront6targetE1EEEvT1_
; %bb.0:
	.section	.rodata,"a",@progbits
	.p2align	6, 0x0
	.amdhsa_kernel _ZN7rocprim17ROCPRIM_400000_NS6detail17trampoline_kernelINS0_14default_configENS1_20scan_config_selectorIsEEZZNS1_9scan_implILNS1_25lookback_scan_determinismE0ELb1ELb1ES3_N6thrust23THRUST_200600_302600_NS6detail15normal_iteratorINS9_10device_ptrIsEEEESE_sNS9_4plusIsEEsEEDaPvRmT3_T4_T5_mT6_P12ihipStream_tbENKUlT_T0_E_clISt17integral_constantIbLb1EESU_EEDaSP_SQ_EUlSP_E0_NS1_11comp_targetILNS1_3genE3ELNS1_11target_archE908ELNS1_3gpuE7ELNS1_3repE0EEENS1_30default_config_static_selectorELNS0_4arch9wavefront6targetE1EEEvT1_
		.amdhsa_group_segment_fixed_size 0
		.amdhsa_private_segment_fixed_size 0
		.amdhsa_kernarg_size 32
		.amdhsa_user_sgpr_count 6
		.amdhsa_user_sgpr_private_segment_buffer 1
		.amdhsa_user_sgpr_dispatch_ptr 0
		.amdhsa_user_sgpr_queue_ptr 0
		.amdhsa_user_sgpr_kernarg_segment_ptr 1
		.amdhsa_user_sgpr_dispatch_id 0
		.amdhsa_user_sgpr_flat_scratch_init 0
		.amdhsa_user_sgpr_kernarg_preload_length 0
		.amdhsa_user_sgpr_kernarg_preload_offset 0
		.amdhsa_user_sgpr_private_segment_size 0
		.amdhsa_uses_dynamic_stack 0
		.amdhsa_system_sgpr_private_segment_wavefront_offset 0
		.amdhsa_system_sgpr_workgroup_id_x 1
		.amdhsa_system_sgpr_workgroup_id_y 0
		.amdhsa_system_sgpr_workgroup_id_z 0
		.amdhsa_system_sgpr_workgroup_info 0
		.amdhsa_system_vgpr_workitem_id 0
		.amdhsa_next_free_vgpr 1
		.amdhsa_next_free_sgpr 0
		.amdhsa_accum_offset 4
		.amdhsa_reserve_vcc 0
		.amdhsa_reserve_flat_scratch 0
		.amdhsa_float_round_mode_32 0
		.amdhsa_float_round_mode_16_64 0
		.amdhsa_float_denorm_mode_32 3
		.amdhsa_float_denorm_mode_16_64 3
		.amdhsa_dx10_clamp 1
		.amdhsa_ieee_mode 1
		.amdhsa_fp16_overflow 0
		.amdhsa_tg_split 0
		.amdhsa_exception_fp_ieee_invalid_op 0
		.amdhsa_exception_fp_denorm_src 0
		.amdhsa_exception_fp_ieee_div_zero 0
		.amdhsa_exception_fp_ieee_overflow 0
		.amdhsa_exception_fp_ieee_underflow 0
		.amdhsa_exception_fp_ieee_inexact 0
		.amdhsa_exception_int_div_zero 0
	.end_amdhsa_kernel
	.section	.text._ZN7rocprim17ROCPRIM_400000_NS6detail17trampoline_kernelINS0_14default_configENS1_20scan_config_selectorIsEEZZNS1_9scan_implILNS1_25lookback_scan_determinismE0ELb1ELb1ES3_N6thrust23THRUST_200600_302600_NS6detail15normal_iteratorINS9_10device_ptrIsEEEESE_sNS9_4plusIsEEsEEDaPvRmT3_T4_T5_mT6_P12ihipStream_tbENKUlT_T0_E_clISt17integral_constantIbLb1EESU_EEDaSP_SQ_EUlSP_E0_NS1_11comp_targetILNS1_3genE3ELNS1_11target_archE908ELNS1_3gpuE7ELNS1_3repE0EEENS1_30default_config_static_selectorELNS0_4arch9wavefront6targetE1EEEvT1_,"axG",@progbits,_ZN7rocprim17ROCPRIM_400000_NS6detail17trampoline_kernelINS0_14default_configENS1_20scan_config_selectorIsEEZZNS1_9scan_implILNS1_25lookback_scan_determinismE0ELb1ELb1ES3_N6thrust23THRUST_200600_302600_NS6detail15normal_iteratorINS9_10device_ptrIsEEEESE_sNS9_4plusIsEEsEEDaPvRmT3_T4_T5_mT6_P12ihipStream_tbENKUlT_T0_E_clISt17integral_constantIbLb1EESU_EEDaSP_SQ_EUlSP_E0_NS1_11comp_targetILNS1_3genE3ELNS1_11target_archE908ELNS1_3gpuE7ELNS1_3repE0EEENS1_30default_config_static_selectorELNS0_4arch9wavefront6targetE1EEEvT1_,comdat
.Lfunc_end1225:
	.size	_ZN7rocprim17ROCPRIM_400000_NS6detail17trampoline_kernelINS0_14default_configENS1_20scan_config_selectorIsEEZZNS1_9scan_implILNS1_25lookback_scan_determinismE0ELb1ELb1ES3_N6thrust23THRUST_200600_302600_NS6detail15normal_iteratorINS9_10device_ptrIsEEEESE_sNS9_4plusIsEEsEEDaPvRmT3_T4_T5_mT6_P12ihipStream_tbENKUlT_T0_E_clISt17integral_constantIbLb1EESU_EEDaSP_SQ_EUlSP_E0_NS1_11comp_targetILNS1_3genE3ELNS1_11target_archE908ELNS1_3gpuE7ELNS1_3repE0EEENS1_30default_config_static_selectorELNS0_4arch9wavefront6targetE1EEEvT1_, .Lfunc_end1225-_ZN7rocprim17ROCPRIM_400000_NS6detail17trampoline_kernelINS0_14default_configENS1_20scan_config_selectorIsEEZZNS1_9scan_implILNS1_25lookback_scan_determinismE0ELb1ELb1ES3_N6thrust23THRUST_200600_302600_NS6detail15normal_iteratorINS9_10device_ptrIsEEEESE_sNS9_4plusIsEEsEEDaPvRmT3_T4_T5_mT6_P12ihipStream_tbENKUlT_T0_E_clISt17integral_constantIbLb1EESU_EEDaSP_SQ_EUlSP_E0_NS1_11comp_targetILNS1_3genE3ELNS1_11target_archE908ELNS1_3gpuE7ELNS1_3repE0EEENS1_30default_config_static_selectorELNS0_4arch9wavefront6targetE1EEEvT1_
                                        ; -- End function
	.section	.AMDGPU.csdata,"",@progbits
; Kernel info:
; codeLenInByte = 0
; NumSgprs: 4
; NumVgprs: 0
; NumAgprs: 0
; TotalNumVgprs: 0
; ScratchSize: 0
; MemoryBound: 0
; FloatMode: 240
; IeeeMode: 1
; LDSByteSize: 0 bytes/workgroup (compile time only)
; SGPRBlocks: 0
; VGPRBlocks: 0
; NumSGPRsForWavesPerEU: 4
; NumVGPRsForWavesPerEU: 1
; AccumOffset: 4
; Occupancy: 8
; WaveLimiterHint : 0
; COMPUTE_PGM_RSRC2:SCRATCH_EN: 0
; COMPUTE_PGM_RSRC2:USER_SGPR: 6
; COMPUTE_PGM_RSRC2:TRAP_HANDLER: 0
; COMPUTE_PGM_RSRC2:TGID_X_EN: 1
; COMPUTE_PGM_RSRC2:TGID_Y_EN: 0
; COMPUTE_PGM_RSRC2:TGID_Z_EN: 0
; COMPUTE_PGM_RSRC2:TIDIG_COMP_CNT: 0
; COMPUTE_PGM_RSRC3_GFX90A:ACCUM_OFFSET: 0
; COMPUTE_PGM_RSRC3_GFX90A:TG_SPLIT: 0
	.section	.text._ZN7rocprim17ROCPRIM_400000_NS6detail17trampoline_kernelINS0_14default_configENS1_20scan_config_selectorIsEEZZNS1_9scan_implILNS1_25lookback_scan_determinismE0ELb1ELb1ES3_N6thrust23THRUST_200600_302600_NS6detail15normal_iteratorINS9_10device_ptrIsEEEESE_sNS9_4plusIsEEsEEDaPvRmT3_T4_T5_mT6_P12ihipStream_tbENKUlT_T0_E_clISt17integral_constantIbLb1EESU_EEDaSP_SQ_EUlSP_E0_NS1_11comp_targetILNS1_3genE2ELNS1_11target_archE906ELNS1_3gpuE6ELNS1_3repE0EEENS1_30default_config_static_selectorELNS0_4arch9wavefront6targetE1EEEvT1_,"axG",@progbits,_ZN7rocprim17ROCPRIM_400000_NS6detail17trampoline_kernelINS0_14default_configENS1_20scan_config_selectorIsEEZZNS1_9scan_implILNS1_25lookback_scan_determinismE0ELb1ELb1ES3_N6thrust23THRUST_200600_302600_NS6detail15normal_iteratorINS9_10device_ptrIsEEEESE_sNS9_4plusIsEEsEEDaPvRmT3_T4_T5_mT6_P12ihipStream_tbENKUlT_T0_E_clISt17integral_constantIbLb1EESU_EEDaSP_SQ_EUlSP_E0_NS1_11comp_targetILNS1_3genE2ELNS1_11target_archE906ELNS1_3gpuE6ELNS1_3repE0EEENS1_30default_config_static_selectorELNS0_4arch9wavefront6targetE1EEEvT1_,comdat
	.protected	_ZN7rocprim17ROCPRIM_400000_NS6detail17trampoline_kernelINS0_14default_configENS1_20scan_config_selectorIsEEZZNS1_9scan_implILNS1_25lookback_scan_determinismE0ELb1ELb1ES3_N6thrust23THRUST_200600_302600_NS6detail15normal_iteratorINS9_10device_ptrIsEEEESE_sNS9_4plusIsEEsEEDaPvRmT3_T4_T5_mT6_P12ihipStream_tbENKUlT_T0_E_clISt17integral_constantIbLb1EESU_EEDaSP_SQ_EUlSP_E0_NS1_11comp_targetILNS1_3genE2ELNS1_11target_archE906ELNS1_3gpuE6ELNS1_3repE0EEENS1_30default_config_static_selectorELNS0_4arch9wavefront6targetE1EEEvT1_ ; -- Begin function _ZN7rocprim17ROCPRIM_400000_NS6detail17trampoline_kernelINS0_14default_configENS1_20scan_config_selectorIsEEZZNS1_9scan_implILNS1_25lookback_scan_determinismE0ELb1ELb1ES3_N6thrust23THRUST_200600_302600_NS6detail15normal_iteratorINS9_10device_ptrIsEEEESE_sNS9_4plusIsEEsEEDaPvRmT3_T4_T5_mT6_P12ihipStream_tbENKUlT_T0_E_clISt17integral_constantIbLb1EESU_EEDaSP_SQ_EUlSP_E0_NS1_11comp_targetILNS1_3genE2ELNS1_11target_archE906ELNS1_3gpuE6ELNS1_3repE0EEENS1_30default_config_static_selectorELNS0_4arch9wavefront6targetE1EEEvT1_
	.globl	_ZN7rocprim17ROCPRIM_400000_NS6detail17trampoline_kernelINS0_14default_configENS1_20scan_config_selectorIsEEZZNS1_9scan_implILNS1_25lookback_scan_determinismE0ELb1ELb1ES3_N6thrust23THRUST_200600_302600_NS6detail15normal_iteratorINS9_10device_ptrIsEEEESE_sNS9_4plusIsEEsEEDaPvRmT3_T4_T5_mT6_P12ihipStream_tbENKUlT_T0_E_clISt17integral_constantIbLb1EESU_EEDaSP_SQ_EUlSP_E0_NS1_11comp_targetILNS1_3genE2ELNS1_11target_archE906ELNS1_3gpuE6ELNS1_3repE0EEENS1_30default_config_static_selectorELNS0_4arch9wavefront6targetE1EEEvT1_
	.p2align	8
	.type	_ZN7rocprim17ROCPRIM_400000_NS6detail17trampoline_kernelINS0_14default_configENS1_20scan_config_selectorIsEEZZNS1_9scan_implILNS1_25lookback_scan_determinismE0ELb1ELb1ES3_N6thrust23THRUST_200600_302600_NS6detail15normal_iteratorINS9_10device_ptrIsEEEESE_sNS9_4plusIsEEsEEDaPvRmT3_T4_T5_mT6_P12ihipStream_tbENKUlT_T0_E_clISt17integral_constantIbLb1EESU_EEDaSP_SQ_EUlSP_E0_NS1_11comp_targetILNS1_3genE2ELNS1_11target_archE906ELNS1_3gpuE6ELNS1_3repE0EEENS1_30default_config_static_selectorELNS0_4arch9wavefront6targetE1EEEvT1_,@function
_ZN7rocprim17ROCPRIM_400000_NS6detail17trampoline_kernelINS0_14default_configENS1_20scan_config_selectorIsEEZZNS1_9scan_implILNS1_25lookback_scan_determinismE0ELb1ELb1ES3_N6thrust23THRUST_200600_302600_NS6detail15normal_iteratorINS9_10device_ptrIsEEEESE_sNS9_4plusIsEEsEEDaPvRmT3_T4_T5_mT6_P12ihipStream_tbENKUlT_T0_E_clISt17integral_constantIbLb1EESU_EEDaSP_SQ_EUlSP_E0_NS1_11comp_targetILNS1_3genE2ELNS1_11target_archE906ELNS1_3gpuE6ELNS1_3repE0EEENS1_30default_config_static_selectorELNS0_4arch9wavefront6targetE1EEEvT1_: ; @_ZN7rocprim17ROCPRIM_400000_NS6detail17trampoline_kernelINS0_14default_configENS1_20scan_config_selectorIsEEZZNS1_9scan_implILNS1_25lookback_scan_determinismE0ELb1ELb1ES3_N6thrust23THRUST_200600_302600_NS6detail15normal_iteratorINS9_10device_ptrIsEEEESE_sNS9_4plusIsEEsEEDaPvRmT3_T4_T5_mT6_P12ihipStream_tbENKUlT_T0_E_clISt17integral_constantIbLb1EESU_EEDaSP_SQ_EUlSP_E0_NS1_11comp_targetILNS1_3genE2ELNS1_11target_archE906ELNS1_3gpuE6ELNS1_3repE0EEENS1_30default_config_static_selectorELNS0_4arch9wavefront6targetE1EEEvT1_
; %bb.0:
	.section	.rodata,"a",@progbits
	.p2align	6, 0x0
	.amdhsa_kernel _ZN7rocprim17ROCPRIM_400000_NS6detail17trampoline_kernelINS0_14default_configENS1_20scan_config_selectorIsEEZZNS1_9scan_implILNS1_25lookback_scan_determinismE0ELb1ELb1ES3_N6thrust23THRUST_200600_302600_NS6detail15normal_iteratorINS9_10device_ptrIsEEEESE_sNS9_4plusIsEEsEEDaPvRmT3_T4_T5_mT6_P12ihipStream_tbENKUlT_T0_E_clISt17integral_constantIbLb1EESU_EEDaSP_SQ_EUlSP_E0_NS1_11comp_targetILNS1_3genE2ELNS1_11target_archE906ELNS1_3gpuE6ELNS1_3repE0EEENS1_30default_config_static_selectorELNS0_4arch9wavefront6targetE1EEEvT1_
		.amdhsa_group_segment_fixed_size 0
		.amdhsa_private_segment_fixed_size 0
		.amdhsa_kernarg_size 32
		.amdhsa_user_sgpr_count 6
		.amdhsa_user_sgpr_private_segment_buffer 1
		.amdhsa_user_sgpr_dispatch_ptr 0
		.amdhsa_user_sgpr_queue_ptr 0
		.amdhsa_user_sgpr_kernarg_segment_ptr 1
		.amdhsa_user_sgpr_dispatch_id 0
		.amdhsa_user_sgpr_flat_scratch_init 0
		.amdhsa_user_sgpr_kernarg_preload_length 0
		.amdhsa_user_sgpr_kernarg_preload_offset 0
		.amdhsa_user_sgpr_private_segment_size 0
		.amdhsa_uses_dynamic_stack 0
		.amdhsa_system_sgpr_private_segment_wavefront_offset 0
		.amdhsa_system_sgpr_workgroup_id_x 1
		.amdhsa_system_sgpr_workgroup_id_y 0
		.amdhsa_system_sgpr_workgroup_id_z 0
		.amdhsa_system_sgpr_workgroup_info 0
		.amdhsa_system_vgpr_workitem_id 0
		.amdhsa_next_free_vgpr 1
		.amdhsa_next_free_sgpr 0
		.amdhsa_accum_offset 4
		.amdhsa_reserve_vcc 0
		.amdhsa_reserve_flat_scratch 0
		.amdhsa_float_round_mode_32 0
		.amdhsa_float_round_mode_16_64 0
		.amdhsa_float_denorm_mode_32 3
		.amdhsa_float_denorm_mode_16_64 3
		.amdhsa_dx10_clamp 1
		.amdhsa_ieee_mode 1
		.amdhsa_fp16_overflow 0
		.amdhsa_tg_split 0
		.amdhsa_exception_fp_ieee_invalid_op 0
		.amdhsa_exception_fp_denorm_src 0
		.amdhsa_exception_fp_ieee_div_zero 0
		.amdhsa_exception_fp_ieee_overflow 0
		.amdhsa_exception_fp_ieee_underflow 0
		.amdhsa_exception_fp_ieee_inexact 0
		.amdhsa_exception_int_div_zero 0
	.end_amdhsa_kernel
	.section	.text._ZN7rocprim17ROCPRIM_400000_NS6detail17trampoline_kernelINS0_14default_configENS1_20scan_config_selectorIsEEZZNS1_9scan_implILNS1_25lookback_scan_determinismE0ELb1ELb1ES3_N6thrust23THRUST_200600_302600_NS6detail15normal_iteratorINS9_10device_ptrIsEEEESE_sNS9_4plusIsEEsEEDaPvRmT3_T4_T5_mT6_P12ihipStream_tbENKUlT_T0_E_clISt17integral_constantIbLb1EESU_EEDaSP_SQ_EUlSP_E0_NS1_11comp_targetILNS1_3genE2ELNS1_11target_archE906ELNS1_3gpuE6ELNS1_3repE0EEENS1_30default_config_static_selectorELNS0_4arch9wavefront6targetE1EEEvT1_,"axG",@progbits,_ZN7rocprim17ROCPRIM_400000_NS6detail17trampoline_kernelINS0_14default_configENS1_20scan_config_selectorIsEEZZNS1_9scan_implILNS1_25lookback_scan_determinismE0ELb1ELb1ES3_N6thrust23THRUST_200600_302600_NS6detail15normal_iteratorINS9_10device_ptrIsEEEESE_sNS9_4plusIsEEsEEDaPvRmT3_T4_T5_mT6_P12ihipStream_tbENKUlT_T0_E_clISt17integral_constantIbLb1EESU_EEDaSP_SQ_EUlSP_E0_NS1_11comp_targetILNS1_3genE2ELNS1_11target_archE906ELNS1_3gpuE6ELNS1_3repE0EEENS1_30default_config_static_selectorELNS0_4arch9wavefront6targetE1EEEvT1_,comdat
.Lfunc_end1226:
	.size	_ZN7rocprim17ROCPRIM_400000_NS6detail17trampoline_kernelINS0_14default_configENS1_20scan_config_selectorIsEEZZNS1_9scan_implILNS1_25lookback_scan_determinismE0ELb1ELb1ES3_N6thrust23THRUST_200600_302600_NS6detail15normal_iteratorINS9_10device_ptrIsEEEESE_sNS9_4plusIsEEsEEDaPvRmT3_T4_T5_mT6_P12ihipStream_tbENKUlT_T0_E_clISt17integral_constantIbLb1EESU_EEDaSP_SQ_EUlSP_E0_NS1_11comp_targetILNS1_3genE2ELNS1_11target_archE906ELNS1_3gpuE6ELNS1_3repE0EEENS1_30default_config_static_selectorELNS0_4arch9wavefront6targetE1EEEvT1_, .Lfunc_end1226-_ZN7rocprim17ROCPRIM_400000_NS6detail17trampoline_kernelINS0_14default_configENS1_20scan_config_selectorIsEEZZNS1_9scan_implILNS1_25lookback_scan_determinismE0ELb1ELb1ES3_N6thrust23THRUST_200600_302600_NS6detail15normal_iteratorINS9_10device_ptrIsEEEESE_sNS9_4plusIsEEsEEDaPvRmT3_T4_T5_mT6_P12ihipStream_tbENKUlT_T0_E_clISt17integral_constantIbLb1EESU_EEDaSP_SQ_EUlSP_E0_NS1_11comp_targetILNS1_3genE2ELNS1_11target_archE906ELNS1_3gpuE6ELNS1_3repE0EEENS1_30default_config_static_selectorELNS0_4arch9wavefront6targetE1EEEvT1_
                                        ; -- End function
	.section	.AMDGPU.csdata,"",@progbits
; Kernel info:
; codeLenInByte = 0
; NumSgprs: 4
; NumVgprs: 0
; NumAgprs: 0
; TotalNumVgprs: 0
; ScratchSize: 0
; MemoryBound: 0
; FloatMode: 240
; IeeeMode: 1
; LDSByteSize: 0 bytes/workgroup (compile time only)
; SGPRBlocks: 0
; VGPRBlocks: 0
; NumSGPRsForWavesPerEU: 4
; NumVGPRsForWavesPerEU: 1
; AccumOffset: 4
; Occupancy: 8
; WaveLimiterHint : 0
; COMPUTE_PGM_RSRC2:SCRATCH_EN: 0
; COMPUTE_PGM_RSRC2:USER_SGPR: 6
; COMPUTE_PGM_RSRC2:TRAP_HANDLER: 0
; COMPUTE_PGM_RSRC2:TGID_X_EN: 1
; COMPUTE_PGM_RSRC2:TGID_Y_EN: 0
; COMPUTE_PGM_RSRC2:TGID_Z_EN: 0
; COMPUTE_PGM_RSRC2:TIDIG_COMP_CNT: 0
; COMPUTE_PGM_RSRC3_GFX90A:ACCUM_OFFSET: 0
; COMPUTE_PGM_RSRC3_GFX90A:TG_SPLIT: 0
	.section	.text._ZN7rocprim17ROCPRIM_400000_NS6detail17trampoline_kernelINS0_14default_configENS1_20scan_config_selectorIsEEZZNS1_9scan_implILNS1_25lookback_scan_determinismE0ELb1ELb1ES3_N6thrust23THRUST_200600_302600_NS6detail15normal_iteratorINS9_10device_ptrIsEEEESE_sNS9_4plusIsEEsEEDaPvRmT3_T4_T5_mT6_P12ihipStream_tbENKUlT_T0_E_clISt17integral_constantIbLb1EESU_EEDaSP_SQ_EUlSP_E0_NS1_11comp_targetILNS1_3genE10ELNS1_11target_archE1201ELNS1_3gpuE5ELNS1_3repE0EEENS1_30default_config_static_selectorELNS0_4arch9wavefront6targetE1EEEvT1_,"axG",@progbits,_ZN7rocprim17ROCPRIM_400000_NS6detail17trampoline_kernelINS0_14default_configENS1_20scan_config_selectorIsEEZZNS1_9scan_implILNS1_25lookback_scan_determinismE0ELb1ELb1ES3_N6thrust23THRUST_200600_302600_NS6detail15normal_iteratorINS9_10device_ptrIsEEEESE_sNS9_4plusIsEEsEEDaPvRmT3_T4_T5_mT6_P12ihipStream_tbENKUlT_T0_E_clISt17integral_constantIbLb1EESU_EEDaSP_SQ_EUlSP_E0_NS1_11comp_targetILNS1_3genE10ELNS1_11target_archE1201ELNS1_3gpuE5ELNS1_3repE0EEENS1_30default_config_static_selectorELNS0_4arch9wavefront6targetE1EEEvT1_,comdat
	.protected	_ZN7rocprim17ROCPRIM_400000_NS6detail17trampoline_kernelINS0_14default_configENS1_20scan_config_selectorIsEEZZNS1_9scan_implILNS1_25lookback_scan_determinismE0ELb1ELb1ES3_N6thrust23THRUST_200600_302600_NS6detail15normal_iteratorINS9_10device_ptrIsEEEESE_sNS9_4plusIsEEsEEDaPvRmT3_T4_T5_mT6_P12ihipStream_tbENKUlT_T0_E_clISt17integral_constantIbLb1EESU_EEDaSP_SQ_EUlSP_E0_NS1_11comp_targetILNS1_3genE10ELNS1_11target_archE1201ELNS1_3gpuE5ELNS1_3repE0EEENS1_30default_config_static_selectorELNS0_4arch9wavefront6targetE1EEEvT1_ ; -- Begin function _ZN7rocprim17ROCPRIM_400000_NS6detail17trampoline_kernelINS0_14default_configENS1_20scan_config_selectorIsEEZZNS1_9scan_implILNS1_25lookback_scan_determinismE0ELb1ELb1ES3_N6thrust23THRUST_200600_302600_NS6detail15normal_iteratorINS9_10device_ptrIsEEEESE_sNS9_4plusIsEEsEEDaPvRmT3_T4_T5_mT6_P12ihipStream_tbENKUlT_T0_E_clISt17integral_constantIbLb1EESU_EEDaSP_SQ_EUlSP_E0_NS1_11comp_targetILNS1_3genE10ELNS1_11target_archE1201ELNS1_3gpuE5ELNS1_3repE0EEENS1_30default_config_static_selectorELNS0_4arch9wavefront6targetE1EEEvT1_
	.globl	_ZN7rocprim17ROCPRIM_400000_NS6detail17trampoline_kernelINS0_14default_configENS1_20scan_config_selectorIsEEZZNS1_9scan_implILNS1_25lookback_scan_determinismE0ELb1ELb1ES3_N6thrust23THRUST_200600_302600_NS6detail15normal_iteratorINS9_10device_ptrIsEEEESE_sNS9_4plusIsEEsEEDaPvRmT3_T4_T5_mT6_P12ihipStream_tbENKUlT_T0_E_clISt17integral_constantIbLb1EESU_EEDaSP_SQ_EUlSP_E0_NS1_11comp_targetILNS1_3genE10ELNS1_11target_archE1201ELNS1_3gpuE5ELNS1_3repE0EEENS1_30default_config_static_selectorELNS0_4arch9wavefront6targetE1EEEvT1_
	.p2align	8
	.type	_ZN7rocprim17ROCPRIM_400000_NS6detail17trampoline_kernelINS0_14default_configENS1_20scan_config_selectorIsEEZZNS1_9scan_implILNS1_25lookback_scan_determinismE0ELb1ELb1ES3_N6thrust23THRUST_200600_302600_NS6detail15normal_iteratorINS9_10device_ptrIsEEEESE_sNS9_4plusIsEEsEEDaPvRmT3_T4_T5_mT6_P12ihipStream_tbENKUlT_T0_E_clISt17integral_constantIbLb1EESU_EEDaSP_SQ_EUlSP_E0_NS1_11comp_targetILNS1_3genE10ELNS1_11target_archE1201ELNS1_3gpuE5ELNS1_3repE0EEENS1_30default_config_static_selectorELNS0_4arch9wavefront6targetE1EEEvT1_,@function
_ZN7rocprim17ROCPRIM_400000_NS6detail17trampoline_kernelINS0_14default_configENS1_20scan_config_selectorIsEEZZNS1_9scan_implILNS1_25lookback_scan_determinismE0ELb1ELb1ES3_N6thrust23THRUST_200600_302600_NS6detail15normal_iteratorINS9_10device_ptrIsEEEESE_sNS9_4plusIsEEsEEDaPvRmT3_T4_T5_mT6_P12ihipStream_tbENKUlT_T0_E_clISt17integral_constantIbLb1EESU_EEDaSP_SQ_EUlSP_E0_NS1_11comp_targetILNS1_3genE10ELNS1_11target_archE1201ELNS1_3gpuE5ELNS1_3repE0EEENS1_30default_config_static_selectorELNS0_4arch9wavefront6targetE1EEEvT1_: ; @_ZN7rocprim17ROCPRIM_400000_NS6detail17trampoline_kernelINS0_14default_configENS1_20scan_config_selectorIsEEZZNS1_9scan_implILNS1_25lookback_scan_determinismE0ELb1ELb1ES3_N6thrust23THRUST_200600_302600_NS6detail15normal_iteratorINS9_10device_ptrIsEEEESE_sNS9_4plusIsEEsEEDaPvRmT3_T4_T5_mT6_P12ihipStream_tbENKUlT_T0_E_clISt17integral_constantIbLb1EESU_EEDaSP_SQ_EUlSP_E0_NS1_11comp_targetILNS1_3genE10ELNS1_11target_archE1201ELNS1_3gpuE5ELNS1_3repE0EEENS1_30default_config_static_selectorELNS0_4arch9wavefront6targetE1EEEvT1_
; %bb.0:
	.section	.rodata,"a",@progbits
	.p2align	6, 0x0
	.amdhsa_kernel _ZN7rocprim17ROCPRIM_400000_NS6detail17trampoline_kernelINS0_14default_configENS1_20scan_config_selectorIsEEZZNS1_9scan_implILNS1_25lookback_scan_determinismE0ELb1ELb1ES3_N6thrust23THRUST_200600_302600_NS6detail15normal_iteratorINS9_10device_ptrIsEEEESE_sNS9_4plusIsEEsEEDaPvRmT3_T4_T5_mT6_P12ihipStream_tbENKUlT_T0_E_clISt17integral_constantIbLb1EESU_EEDaSP_SQ_EUlSP_E0_NS1_11comp_targetILNS1_3genE10ELNS1_11target_archE1201ELNS1_3gpuE5ELNS1_3repE0EEENS1_30default_config_static_selectorELNS0_4arch9wavefront6targetE1EEEvT1_
		.amdhsa_group_segment_fixed_size 0
		.amdhsa_private_segment_fixed_size 0
		.amdhsa_kernarg_size 32
		.amdhsa_user_sgpr_count 6
		.amdhsa_user_sgpr_private_segment_buffer 1
		.amdhsa_user_sgpr_dispatch_ptr 0
		.amdhsa_user_sgpr_queue_ptr 0
		.amdhsa_user_sgpr_kernarg_segment_ptr 1
		.amdhsa_user_sgpr_dispatch_id 0
		.amdhsa_user_sgpr_flat_scratch_init 0
		.amdhsa_user_sgpr_kernarg_preload_length 0
		.amdhsa_user_sgpr_kernarg_preload_offset 0
		.amdhsa_user_sgpr_private_segment_size 0
		.amdhsa_uses_dynamic_stack 0
		.amdhsa_system_sgpr_private_segment_wavefront_offset 0
		.amdhsa_system_sgpr_workgroup_id_x 1
		.amdhsa_system_sgpr_workgroup_id_y 0
		.amdhsa_system_sgpr_workgroup_id_z 0
		.amdhsa_system_sgpr_workgroup_info 0
		.amdhsa_system_vgpr_workitem_id 0
		.amdhsa_next_free_vgpr 1
		.amdhsa_next_free_sgpr 0
		.amdhsa_accum_offset 4
		.amdhsa_reserve_vcc 0
		.amdhsa_reserve_flat_scratch 0
		.amdhsa_float_round_mode_32 0
		.amdhsa_float_round_mode_16_64 0
		.amdhsa_float_denorm_mode_32 3
		.amdhsa_float_denorm_mode_16_64 3
		.amdhsa_dx10_clamp 1
		.amdhsa_ieee_mode 1
		.amdhsa_fp16_overflow 0
		.amdhsa_tg_split 0
		.amdhsa_exception_fp_ieee_invalid_op 0
		.amdhsa_exception_fp_denorm_src 0
		.amdhsa_exception_fp_ieee_div_zero 0
		.amdhsa_exception_fp_ieee_overflow 0
		.amdhsa_exception_fp_ieee_underflow 0
		.amdhsa_exception_fp_ieee_inexact 0
		.amdhsa_exception_int_div_zero 0
	.end_amdhsa_kernel
	.section	.text._ZN7rocprim17ROCPRIM_400000_NS6detail17trampoline_kernelINS0_14default_configENS1_20scan_config_selectorIsEEZZNS1_9scan_implILNS1_25lookback_scan_determinismE0ELb1ELb1ES3_N6thrust23THRUST_200600_302600_NS6detail15normal_iteratorINS9_10device_ptrIsEEEESE_sNS9_4plusIsEEsEEDaPvRmT3_T4_T5_mT6_P12ihipStream_tbENKUlT_T0_E_clISt17integral_constantIbLb1EESU_EEDaSP_SQ_EUlSP_E0_NS1_11comp_targetILNS1_3genE10ELNS1_11target_archE1201ELNS1_3gpuE5ELNS1_3repE0EEENS1_30default_config_static_selectorELNS0_4arch9wavefront6targetE1EEEvT1_,"axG",@progbits,_ZN7rocprim17ROCPRIM_400000_NS6detail17trampoline_kernelINS0_14default_configENS1_20scan_config_selectorIsEEZZNS1_9scan_implILNS1_25lookback_scan_determinismE0ELb1ELb1ES3_N6thrust23THRUST_200600_302600_NS6detail15normal_iteratorINS9_10device_ptrIsEEEESE_sNS9_4plusIsEEsEEDaPvRmT3_T4_T5_mT6_P12ihipStream_tbENKUlT_T0_E_clISt17integral_constantIbLb1EESU_EEDaSP_SQ_EUlSP_E0_NS1_11comp_targetILNS1_3genE10ELNS1_11target_archE1201ELNS1_3gpuE5ELNS1_3repE0EEENS1_30default_config_static_selectorELNS0_4arch9wavefront6targetE1EEEvT1_,comdat
.Lfunc_end1227:
	.size	_ZN7rocprim17ROCPRIM_400000_NS6detail17trampoline_kernelINS0_14default_configENS1_20scan_config_selectorIsEEZZNS1_9scan_implILNS1_25lookback_scan_determinismE0ELb1ELb1ES3_N6thrust23THRUST_200600_302600_NS6detail15normal_iteratorINS9_10device_ptrIsEEEESE_sNS9_4plusIsEEsEEDaPvRmT3_T4_T5_mT6_P12ihipStream_tbENKUlT_T0_E_clISt17integral_constantIbLb1EESU_EEDaSP_SQ_EUlSP_E0_NS1_11comp_targetILNS1_3genE10ELNS1_11target_archE1201ELNS1_3gpuE5ELNS1_3repE0EEENS1_30default_config_static_selectorELNS0_4arch9wavefront6targetE1EEEvT1_, .Lfunc_end1227-_ZN7rocprim17ROCPRIM_400000_NS6detail17trampoline_kernelINS0_14default_configENS1_20scan_config_selectorIsEEZZNS1_9scan_implILNS1_25lookback_scan_determinismE0ELb1ELb1ES3_N6thrust23THRUST_200600_302600_NS6detail15normal_iteratorINS9_10device_ptrIsEEEESE_sNS9_4plusIsEEsEEDaPvRmT3_T4_T5_mT6_P12ihipStream_tbENKUlT_T0_E_clISt17integral_constantIbLb1EESU_EEDaSP_SQ_EUlSP_E0_NS1_11comp_targetILNS1_3genE10ELNS1_11target_archE1201ELNS1_3gpuE5ELNS1_3repE0EEENS1_30default_config_static_selectorELNS0_4arch9wavefront6targetE1EEEvT1_
                                        ; -- End function
	.section	.AMDGPU.csdata,"",@progbits
; Kernel info:
; codeLenInByte = 0
; NumSgprs: 4
; NumVgprs: 0
; NumAgprs: 0
; TotalNumVgprs: 0
; ScratchSize: 0
; MemoryBound: 0
; FloatMode: 240
; IeeeMode: 1
; LDSByteSize: 0 bytes/workgroup (compile time only)
; SGPRBlocks: 0
; VGPRBlocks: 0
; NumSGPRsForWavesPerEU: 4
; NumVGPRsForWavesPerEU: 1
; AccumOffset: 4
; Occupancy: 8
; WaveLimiterHint : 0
; COMPUTE_PGM_RSRC2:SCRATCH_EN: 0
; COMPUTE_PGM_RSRC2:USER_SGPR: 6
; COMPUTE_PGM_RSRC2:TRAP_HANDLER: 0
; COMPUTE_PGM_RSRC2:TGID_X_EN: 1
; COMPUTE_PGM_RSRC2:TGID_Y_EN: 0
; COMPUTE_PGM_RSRC2:TGID_Z_EN: 0
; COMPUTE_PGM_RSRC2:TIDIG_COMP_CNT: 0
; COMPUTE_PGM_RSRC3_GFX90A:ACCUM_OFFSET: 0
; COMPUTE_PGM_RSRC3_GFX90A:TG_SPLIT: 0
	.section	.text._ZN7rocprim17ROCPRIM_400000_NS6detail17trampoline_kernelINS0_14default_configENS1_20scan_config_selectorIsEEZZNS1_9scan_implILNS1_25lookback_scan_determinismE0ELb1ELb1ES3_N6thrust23THRUST_200600_302600_NS6detail15normal_iteratorINS9_10device_ptrIsEEEESE_sNS9_4plusIsEEsEEDaPvRmT3_T4_T5_mT6_P12ihipStream_tbENKUlT_T0_E_clISt17integral_constantIbLb1EESU_EEDaSP_SQ_EUlSP_E0_NS1_11comp_targetILNS1_3genE10ELNS1_11target_archE1200ELNS1_3gpuE4ELNS1_3repE0EEENS1_30default_config_static_selectorELNS0_4arch9wavefront6targetE1EEEvT1_,"axG",@progbits,_ZN7rocprim17ROCPRIM_400000_NS6detail17trampoline_kernelINS0_14default_configENS1_20scan_config_selectorIsEEZZNS1_9scan_implILNS1_25lookback_scan_determinismE0ELb1ELb1ES3_N6thrust23THRUST_200600_302600_NS6detail15normal_iteratorINS9_10device_ptrIsEEEESE_sNS9_4plusIsEEsEEDaPvRmT3_T4_T5_mT6_P12ihipStream_tbENKUlT_T0_E_clISt17integral_constantIbLb1EESU_EEDaSP_SQ_EUlSP_E0_NS1_11comp_targetILNS1_3genE10ELNS1_11target_archE1200ELNS1_3gpuE4ELNS1_3repE0EEENS1_30default_config_static_selectorELNS0_4arch9wavefront6targetE1EEEvT1_,comdat
	.protected	_ZN7rocprim17ROCPRIM_400000_NS6detail17trampoline_kernelINS0_14default_configENS1_20scan_config_selectorIsEEZZNS1_9scan_implILNS1_25lookback_scan_determinismE0ELb1ELb1ES3_N6thrust23THRUST_200600_302600_NS6detail15normal_iteratorINS9_10device_ptrIsEEEESE_sNS9_4plusIsEEsEEDaPvRmT3_T4_T5_mT6_P12ihipStream_tbENKUlT_T0_E_clISt17integral_constantIbLb1EESU_EEDaSP_SQ_EUlSP_E0_NS1_11comp_targetILNS1_3genE10ELNS1_11target_archE1200ELNS1_3gpuE4ELNS1_3repE0EEENS1_30default_config_static_selectorELNS0_4arch9wavefront6targetE1EEEvT1_ ; -- Begin function _ZN7rocprim17ROCPRIM_400000_NS6detail17trampoline_kernelINS0_14default_configENS1_20scan_config_selectorIsEEZZNS1_9scan_implILNS1_25lookback_scan_determinismE0ELb1ELb1ES3_N6thrust23THRUST_200600_302600_NS6detail15normal_iteratorINS9_10device_ptrIsEEEESE_sNS9_4plusIsEEsEEDaPvRmT3_T4_T5_mT6_P12ihipStream_tbENKUlT_T0_E_clISt17integral_constantIbLb1EESU_EEDaSP_SQ_EUlSP_E0_NS1_11comp_targetILNS1_3genE10ELNS1_11target_archE1200ELNS1_3gpuE4ELNS1_3repE0EEENS1_30default_config_static_selectorELNS0_4arch9wavefront6targetE1EEEvT1_
	.globl	_ZN7rocprim17ROCPRIM_400000_NS6detail17trampoline_kernelINS0_14default_configENS1_20scan_config_selectorIsEEZZNS1_9scan_implILNS1_25lookback_scan_determinismE0ELb1ELb1ES3_N6thrust23THRUST_200600_302600_NS6detail15normal_iteratorINS9_10device_ptrIsEEEESE_sNS9_4plusIsEEsEEDaPvRmT3_T4_T5_mT6_P12ihipStream_tbENKUlT_T0_E_clISt17integral_constantIbLb1EESU_EEDaSP_SQ_EUlSP_E0_NS1_11comp_targetILNS1_3genE10ELNS1_11target_archE1200ELNS1_3gpuE4ELNS1_3repE0EEENS1_30default_config_static_selectorELNS0_4arch9wavefront6targetE1EEEvT1_
	.p2align	8
	.type	_ZN7rocprim17ROCPRIM_400000_NS6detail17trampoline_kernelINS0_14default_configENS1_20scan_config_selectorIsEEZZNS1_9scan_implILNS1_25lookback_scan_determinismE0ELb1ELb1ES3_N6thrust23THRUST_200600_302600_NS6detail15normal_iteratorINS9_10device_ptrIsEEEESE_sNS9_4plusIsEEsEEDaPvRmT3_T4_T5_mT6_P12ihipStream_tbENKUlT_T0_E_clISt17integral_constantIbLb1EESU_EEDaSP_SQ_EUlSP_E0_NS1_11comp_targetILNS1_3genE10ELNS1_11target_archE1200ELNS1_3gpuE4ELNS1_3repE0EEENS1_30default_config_static_selectorELNS0_4arch9wavefront6targetE1EEEvT1_,@function
_ZN7rocprim17ROCPRIM_400000_NS6detail17trampoline_kernelINS0_14default_configENS1_20scan_config_selectorIsEEZZNS1_9scan_implILNS1_25lookback_scan_determinismE0ELb1ELb1ES3_N6thrust23THRUST_200600_302600_NS6detail15normal_iteratorINS9_10device_ptrIsEEEESE_sNS9_4plusIsEEsEEDaPvRmT3_T4_T5_mT6_P12ihipStream_tbENKUlT_T0_E_clISt17integral_constantIbLb1EESU_EEDaSP_SQ_EUlSP_E0_NS1_11comp_targetILNS1_3genE10ELNS1_11target_archE1200ELNS1_3gpuE4ELNS1_3repE0EEENS1_30default_config_static_selectorELNS0_4arch9wavefront6targetE1EEEvT1_: ; @_ZN7rocprim17ROCPRIM_400000_NS6detail17trampoline_kernelINS0_14default_configENS1_20scan_config_selectorIsEEZZNS1_9scan_implILNS1_25lookback_scan_determinismE0ELb1ELb1ES3_N6thrust23THRUST_200600_302600_NS6detail15normal_iteratorINS9_10device_ptrIsEEEESE_sNS9_4plusIsEEsEEDaPvRmT3_T4_T5_mT6_P12ihipStream_tbENKUlT_T0_E_clISt17integral_constantIbLb1EESU_EEDaSP_SQ_EUlSP_E0_NS1_11comp_targetILNS1_3genE10ELNS1_11target_archE1200ELNS1_3gpuE4ELNS1_3repE0EEENS1_30default_config_static_selectorELNS0_4arch9wavefront6targetE1EEEvT1_
; %bb.0:
	.section	.rodata,"a",@progbits
	.p2align	6, 0x0
	.amdhsa_kernel _ZN7rocprim17ROCPRIM_400000_NS6detail17trampoline_kernelINS0_14default_configENS1_20scan_config_selectorIsEEZZNS1_9scan_implILNS1_25lookback_scan_determinismE0ELb1ELb1ES3_N6thrust23THRUST_200600_302600_NS6detail15normal_iteratorINS9_10device_ptrIsEEEESE_sNS9_4plusIsEEsEEDaPvRmT3_T4_T5_mT6_P12ihipStream_tbENKUlT_T0_E_clISt17integral_constantIbLb1EESU_EEDaSP_SQ_EUlSP_E0_NS1_11comp_targetILNS1_3genE10ELNS1_11target_archE1200ELNS1_3gpuE4ELNS1_3repE0EEENS1_30default_config_static_selectorELNS0_4arch9wavefront6targetE1EEEvT1_
		.amdhsa_group_segment_fixed_size 0
		.amdhsa_private_segment_fixed_size 0
		.amdhsa_kernarg_size 32
		.amdhsa_user_sgpr_count 6
		.amdhsa_user_sgpr_private_segment_buffer 1
		.amdhsa_user_sgpr_dispatch_ptr 0
		.amdhsa_user_sgpr_queue_ptr 0
		.amdhsa_user_sgpr_kernarg_segment_ptr 1
		.amdhsa_user_sgpr_dispatch_id 0
		.amdhsa_user_sgpr_flat_scratch_init 0
		.amdhsa_user_sgpr_kernarg_preload_length 0
		.amdhsa_user_sgpr_kernarg_preload_offset 0
		.amdhsa_user_sgpr_private_segment_size 0
		.amdhsa_uses_dynamic_stack 0
		.amdhsa_system_sgpr_private_segment_wavefront_offset 0
		.amdhsa_system_sgpr_workgroup_id_x 1
		.amdhsa_system_sgpr_workgroup_id_y 0
		.amdhsa_system_sgpr_workgroup_id_z 0
		.amdhsa_system_sgpr_workgroup_info 0
		.amdhsa_system_vgpr_workitem_id 0
		.amdhsa_next_free_vgpr 1
		.amdhsa_next_free_sgpr 0
		.amdhsa_accum_offset 4
		.amdhsa_reserve_vcc 0
		.amdhsa_reserve_flat_scratch 0
		.amdhsa_float_round_mode_32 0
		.amdhsa_float_round_mode_16_64 0
		.amdhsa_float_denorm_mode_32 3
		.amdhsa_float_denorm_mode_16_64 3
		.amdhsa_dx10_clamp 1
		.amdhsa_ieee_mode 1
		.amdhsa_fp16_overflow 0
		.amdhsa_tg_split 0
		.amdhsa_exception_fp_ieee_invalid_op 0
		.amdhsa_exception_fp_denorm_src 0
		.amdhsa_exception_fp_ieee_div_zero 0
		.amdhsa_exception_fp_ieee_overflow 0
		.amdhsa_exception_fp_ieee_underflow 0
		.amdhsa_exception_fp_ieee_inexact 0
		.amdhsa_exception_int_div_zero 0
	.end_amdhsa_kernel
	.section	.text._ZN7rocprim17ROCPRIM_400000_NS6detail17trampoline_kernelINS0_14default_configENS1_20scan_config_selectorIsEEZZNS1_9scan_implILNS1_25lookback_scan_determinismE0ELb1ELb1ES3_N6thrust23THRUST_200600_302600_NS6detail15normal_iteratorINS9_10device_ptrIsEEEESE_sNS9_4plusIsEEsEEDaPvRmT3_T4_T5_mT6_P12ihipStream_tbENKUlT_T0_E_clISt17integral_constantIbLb1EESU_EEDaSP_SQ_EUlSP_E0_NS1_11comp_targetILNS1_3genE10ELNS1_11target_archE1200ELNS1_3gpuE4ELNS1_3repE0EEENS1_30default_config_static_selectorELNS0_4arch9wavefront6targetE1EEEvT1_,"axG",@progbits,_ZN7rocprim17ROCPRIM_400000_NS6detail17trampoline_kernelINS0_14default_configENS1_20scan_config_selectorIsEEZZNS1_9scan_implILNS1_25lookback_scan_determinismE0ELb1ELb1ES3_N6thrust23THRUST_200600_302600_NS6detail15normal_iteratorINS9_10device_ptrIsEEEESE_sNS9_4plusIsEEsEEDaPvRmT3_T4_T5_mT6_P12ihipStream_tbENKUlT_T0_E_clISt17integral_constantIbLb1EESU_EEDaSP_SQ_EUlSP_E0_NS1_11comp_targetILNS1_3genE10ELNS1_11target_archE1200ELNS1_3gpuE4ELNS1_3repE0EEENS1_30default_config_static_selectorELNS0_4arch9wavefront6targetE1EEEvT1_,comdat
.Lfunc_end1228:
	.size	_ZN7rocprim17ROCPRIM_400000_NS6detail17trampoline_kernelINS0_14default_configENS1_20scan_config_selectorIsEEZZNS1_9scan_implILNS1_25lookback_scan_determinismE0ELb1ELb1ES3_N6thrust23THRUST_200600_302600_NS6detail15normal_iteratorINS9_10device_ptrIsEEEESE_sNS9_4plusIsEEsEEDaPvRmT3_T4_T5_mT6_P12ihipStream_tbENKUlT_T0_E_clISt17integral_constantIbLb1EESU_EEDaSP_SQ_EUlSP_E0_NS1_11comp_targetILNS1_3genE10ELNS1_11target_archE1200ELNS1_3gpuE4ELNS1_3repE0EEENS1_30default_config_static_selectorELNS0_4arch9wavefront6targetE1EEEvT1_, .Lfunc_end1228-_ZN7rocprim17ROCPRIM_400000_NS6detail17trampoline_kernelINS0_14default_configENS1_20scan_config_selectorIsEEZZNS1_9scan_implILNS1_25lookback_scan_determinismE0ELb1ELb1ES3_N6thrust23THRUST_200600_302600_NS6detail15normal_iteratorINS9_10device_ptrIsEEEESE_sNS9_4plusIsEEsEEDaPvRmT3_T4_T5_mT6_P12ihipStream_tbENKUlT_T0_E_clISt17integral_constantIbLb1EESU_EEDaSP_SQ_EUlSP_E0_NS1_11comp_targetILNS1_3genE10ELNS1_11target_archE1200ELNS1_3gpuE4ELNS1_3repE0EEENS1_30default_config_static_selectorELNS0_4arch9wavefront6targetE1EEEvT1_
                                        ; -- End function
	.section	.AMDGPU.csdata,"",@progbits
; Kernel info:
; codeLenInByte = 0
; NumSgprs: 4
; NumVgprs: 0
; NumAgprs: 0
; TotalNumVgprs: 0
; ScratchSize: 0
; MemoryBound: 0
; FloatMode: 240
; IeeeMode: 1
; LDSByteSize: 0 bytes/workgroup (compile time only)
; SGPRBlocks: 0
; VGPRBlocks: 0
; NumSGPRsForWavesPerEU: 4
; NumVGPRsForWavesPerEU: 1
; AccumOffset: 4
; Occupancy: 8
; WaveLimiterHint : 0
; COMPUTE_PGM_RSRC2:SCRATCH_EN: 0
; COMPUTE_PGM_RSRC2:USER_SGPR: 6
; COMPUTE_PGM_RSRC2:TRAP_HANDLER: 0
; COMPUTE_PGM_RSRC2:TGID_X_EN: 1
; COMPUTE_PGM_RSRC2:TGID_Y_EN: 0
; COMPUTE_PGM_RSRC2:TGID_Z_EN: 0
; COMPUTE_PGM_RSRC2:TIDIG_COMP_CNT: 0
; COMPUTE_PGM_RSRC3_GFX90A:ACCUM_OFFSET: 0
; COMPUTE_PGM_RSRC3_GFX90A:TG_SPLIT: 0
	.section	.text._ZN7rocprim17ROCPRIM_400000_NS6detail17trampoline_kernelINS0_14default_configENS1_20scan_config_selectorIsEEZZNS1_9scan_implILNS1_25lookback_scan_determinismE0ELb1ELb1ES3_N6thrust23THRUST_200600_302600_NS6detail15normal_iteratorINS9_10device_ptrIsEEEESE_sNS9_4plusIsEEsEEDaPvRmT3_T4_T5_mT6_P12ihipStream_tbENKUlT_T0_E_clISt17integral_constantIbLb1EESU_EEDaSP_SQ_EUlSP_E0_NS1_11comp_targetILNS1_3genE9ELNS1_11target_archE1100ELNS1_3gpuE3ELNS1_3repE0EEENS1_30default_config_static_selectorELNS0_4arch9wavefront6targetE1EEEvT1_,"axG",@progbits,_ZN7rocprim17ROCPRIM_400000_NS6detail17trampoline_kernelINS0_14default_configENS1_20scan_config_selectorIsEEZZNS1_9scan_implILNS1_25lookback_scan_determinismE0ELb1ELb1ES3_N6thrust23THRUST_200600_302600_NS6detail15normal_iteratorINS9_10device_ptrIsEEEESE_sNS9_4plusIsEEsEEDaPvRmT3_T4_T5_mT6_P12ihipStream_tbENKUlT_T0_E_clISt17integral_constantIbLb1EESU_EEDaSP_SQ_EUlSP_E0_NS1_11comp_targetILNS1_3genE9ELNS1_11target_archE1100ELNS1_3gpuE3ELNS1_3repE0EEENS1_30default_config_static_selectorELNS0_4arch9wavefront6targetE1EEEvT1_,comdat
	.protected	_ZN7rocprim17ROCPRIM_400000_NS6detail17trampoline_kernelINS0_14default_configENS1_20scan_config_selectorIsEEZZNS1_9scan_implILNS1_25lookback_scan_determinismE0ELb1ELb1ES3_N6thrust23THRUST_200600_302600_NS6detail15normal_iteratorINS9_10device_ptrIsEEEESE_sNS9_4plusIsEEsEEDaPvRmT3_T4_T5_mT6_P12ihipStream_tbENKUlT_T0_E_clISt17integral_constantIbLb1EESU_EEDaSP_SQ_EUlSP_E0_NS1_11comp_targetILNS1_3genE9ELNS1_11target_archE1100ELNS1_3gpuE3ELNS1_3repE0EEENS1_30default_config_static_selectorELNS0_4arch9wavefront6targetE1EEEvT1_ ; -- Begin function _ZN7rocprim17ROCPRIM_400000_NS6detail17trampoline_kernelINS0_14default_configENS1_20scan_config_selectorIsEEZZNS1_9scan_implILNS1_25lookback_scan_determinismE0ELb1ELb1ES3_N6thrust23THRUST_200600_302600_NS6detail15normal_iteratorINS9_10device_ptrIsEEEESE_sNS9_4plusIsEEsEEDaPvRmT3_T4_T5_mT6_P12ihipStream_tbENKUlT_T0_E_clISt17integral_constantIbLb1EESU_EEDaSP_SQ_EUlSP_E0_NS1_11comp_targetILNS1_3genE9ELNS1_11target_archE1100ELNS1_3gpuE3ELNS1_3repE0EEENS1_30default_config_static_selectorELNS0_4arch9wavefront6targetE1EEEvT1_
	.globl	_ZN7rocprim17ROCPRIM_400000_NS6detail17trampoline_kernelINS0_14default_configENS1_20scan_config_selectorIsEEZZNS1_9scan_implILNS1_25lookback_scan_determinismE0ELb1ELb1ES3_N6thrust23THRUST_200600_302600_NS6detail15normal_iteratorINS9_10device_ptrIsEEEESE_sNS9_4plusIsEEsEEDaPvRmT3_T4_T5_mT6_P12ihipStream_tbENKUlT_T0_E_clISt17integral_constantIbLb1EESU_EEDaSP_SQ_EUlSP_E0_NS1_11comp_targetILNS1_3genE9ELNS1_11target_archE1100ELNS1_3gpuE3ELNS1_3repE0EEENS1_30default_config_static_selectorELNS0_4arch9wavefront6targetE1EEEvT1_
	.p2align	8
	.type	_ZN7rocprim17ROCPRIM_400000_NS6detail17trampoline_kernelINS0_14default_configENS1_20scan_config_selectorIsEEZZNS1_9scan_implILNS1_25lookback_scan_determinismE0ELb1ELb1ES3_N6thrust23THRUST_200600_302600_NS6detail15normal_iteratorINS9_10device_ptrIsEEEESE_sNS9_4plusIsEEsEEDaPvRmT3_T4_T5_mT6_P12ihipStream_tbENKUlT_T0_E_clISt17integral_constantIbLb1EESU_EEDaSP_SQ_EUlSP_E0_NS1_11comp_targetILNS1_3genE9ELNS1_11target_archE1100ELNS1_3gpuE3ELNS1_3repE0EEENS1_30default_config_static_selectorELNS0_4arch9wavefront6targetE1EEEvT1_,@function
_ZN7rocprim17ROCPRIM_400000_NS6detail17trampoline_kernelINS0_14default_configENS1_20scan_config_selectorIsEEZZNS1_9scan_implILNS1_25lookback_scan_determinismE0ELb1ELb1ES3_N6thrust23THRUST_200600_302600_NS6detail15normal_iteratorINS9_10device_ptrIsEEEESE_sNS9_4plusIsEEsEEDaPvRmT3_T4_T5_mT6_P12ihipStream_tbENKUlT_T0_E_clISt17integral_constantIbLb1EESU_EEDaSP_SQ_EUlSP_E0_NS1_11comp_targetILNS1_3genE9ELNS1_11target_archE1100ELNS1_3gpuE3ELNS1_3repE0EEENS1_30default_config_static_selectorELNS0_4arch9wavefront6targetE1EEEvT1_: ; @_ZN7rocprim17ROCPRIM_400000_NS6detail17trampoline_kernelINS0_14default_configENS1_20scan_config_selectorIsEEZZNS1_9scan_implILNS1_25lookback_scan_determinismE0ELb1ELb1ES3_N6thrust23THRUST_200600_302600_NS6detail15normal_iteratorINS9_10device_ptrIsEEEESE_sNS9_4plusIsEEsEEDaPvRmT3_T4_T5_mT6_P12ihipStream_tbENKUlT_T0_E_clISt17integral_constantIbLb1EESU_EEDaSP_SQ_EUlSP_E0_NS1_11comp_targetILNS1_3genE9ELNS1_11target_archE1100ELNS1_3gpuE3ELNS1_3repE0EEENS1_30default_config_static_selectorELNS0_4arch9wavefront6targetE1EEEvT1_
; %bb.0:
	.section	.rodata,"a",@progbits
	.p2align	6, 0x0
	.amdhsa_kernel _ZN7rocprim17ROCPRIM_400000_NS6detail17trampoline_kernelINS0_14default_configENS1_20scan_config_selectorIsEEZZNS1_9scan_implILNS1_25lookback_scan_determinismE0ELb1ELb1ES3_N6thrust23THRUST_200600_302600_NS6detail15normal_iteratorINS9_10device_ptrIsEEEESE_sNS9_4plusIsEEsEEDaPvRmT3_T4_T5_mT6_P12ihipStream_tbENKUlT_T0_E_clISt17integral_constantIbLb1EESU_EEDaSP_SQ_EUlSP_E0_NS1_11comp_targetILNS1_3genE9ELNS1_11target_archE1100ELNS1_3gpuE3ELNS1_3repE0EEENS1_30default_config_static_selectorELNS0_4arch9wavefront6targetE1EEEvT1_
		.amdhsa_group_segment_fixed_size 0
		.amdhsa_private_segment_fixed_size 0
		.amdhsa_kernarg_size 32
		.amdhsa_user_sgpr_count 6
		.amdhsa_user_sgpr_private_segment_buffer 1
		.amdhsa_user_sgpr_dispatch_ptr 0
		.amdhsa_user_sgpr_queue_ptr 0
		.amdhsa_user_sgpr_kernarg_segment_ptr 1
		.amdhsa_user_sgpr_dispatch_id 0
		.amdhsa_user_sgpr_flat_scratch_init 0
		.amdhsa_user_sgpr_kernarg_preload_length 0
		.amdhsa_user_sgpr_kernarg_preload_offset 0
		.amdhsa_user_sgpr_private_segment_size 0
		.amdhsa_uses_dynamic_stack 0
		.amdhsa_system_sgpr_private_segment_wavefront_offset 0
		.amdhsa_system_sgpr_workgroup_id_x 1
		.amdhsa_system_sgpr_workgroup_id_y 0
		.amdhsa_system_sgpr_workgroup_id_z 0
		.amdhsa_system_sgpr_workgroup_info 0
		.amdhsa_system_vgpr_workitem_id 0
		.amdhsa_next_free_vgpr 1
		.amdhsa_next_free_sgpr 0
		.amdhsa_accum_offset 4
		.amdhsa_reserve_vcc 0
		.amdhsa_reserve_flat_scratch 0
		.amdhsa_float_round_mode_32 0
		.amdhsa_float_round_mode_16_64 0
		.amdhsa_float_denorm_mode_32 3
		.amdhsa_float_denorm_mode_16_64 3
		.amdhsa_dx10_clamp 1
		.amdhsa_ieee_mode 1
		.amdhsa_fp16_overflow 0
		.amdhsa_tg_split 0
		.amdhsa_exception_fp_ieee_invalid_op 0
		.amdhsa_exception_fp_denorm_src 0
		.amdhsa_exception_fp_ieee_div_zero 0
		.amdhsa_exception_fp_ieee_overflow 0
		.amdhsa_exception_fp_ieee_underflow 0
		.amdhsa_exception_fp_ieee_inexact 0
		.amdhsa_exception_int_div_zero 0
	.end_amdhsa_kernel
	.section	.text._ZN7rocprim17ROCPRIM_400000_NS6detail17trampoline_kernelINS0_14default_configENS1_20scan_config_selectorIsEEZZNS1_9scan_implILNS1_25lookback_scan_determinismE0ELb1ELb1ES3_N6thrust23THRUST_200600_302600_NS6detail15normal_iteratorINS9_10device_ptrIsEEEESE_sNS9_4plusIsEEsEEDaPvRmT3_T4_T5_mT6_P12ihipStream_tbENKUlT_T0_E_clISt17integral_constantIbLb1EESU_EEDaSP_SQ_EUlSP_E0_NS1_11comp_targetILNS1_3genE9ELNS1_11target_archE1100ELNS1_3gpuE3ELNS1_3repE0EEENS1_30default_config_static_selectorELNS0_4arch9wavefront6targetE1EEEvT1_,"axG",@progbits,_ZN7rocprim17ROCPRIM_400000_NS6detail17trampoline_kernelINS0_14default_configENS1_20scan_config_selectorIsEEZZNS1_9scan_implILNS1_25lookback_scan_determinismE0ELb1ELb1ES3_N6thrust23THRUST_200600_302600_NS6detail15normal_iteratorINS9_10device_ptrIsEEEESE_sNS9_4plusIsEEsEEDaPvRmT3_T4_T5_mT6_P12ihipStream_tbENKUlT_T0_E_clISt17integral_constantIbLb1EESU_EEDaSP_SQ_EUlSP_E0_NS1_11comp_targetILNS1_3genE9ELNS1_11target_archE1100ELNS1_3gpuE3ELNS1_3repE0EEENS1_30default_config_static_selectorELNS0_4arch9wavefront6targetE1EEEvT1_,comdat
.Lfunc_end1229:
	.size	_ZN7rocprim17ROCPRIM_400000_NS6detail17trampoline_kernelINS0_14default_configENS1_20scan_config_selectorIsEEZZNS1_9scan_implILNS1_25lookback_scan_determinismE0ELb1ELb1ES3_N6thrust23THRUST_200600_302600_NS6detail15normal_iteratorINS9_10device_ptrIsEEEESE_sNS9_4plusIsEEsEEDaPvRmT3_T4_T5_mT6_P12ihipStream_tbENKUlT_T0_E_clISt17integral_constantIbLb1EESU_EEDaSP_SQ_EUlSP_E0_NS1_11comp_targetILNS1_3genE9ELNS1_11target_archE1100ELNS1_3gpuE3ELNS1_3repE0EEENS1_30default_config_static_selectorELNS0_4arch9wavefront6targetE1EEEvT1_, .Lfunc_end1229-_ZN7rocprim17ROCPRIM_400000_NS6detail17trampoline_kernelINS0_14default_configENS1_20scan_config_selectorIsEEZZNS1_9scan_implILNS1_25lookback_scan_determinismE0ELb1ELb1ES3_N6thrust23THRUST_200600_302600_NS6detail15normal_iteratorINS9_10device_ptrIsEEEESE_sNS9_4plusIsEEsEEDaPvRmT3_T4_T5_mT6_P12ihipStream_tbENKUlT_T0_E_clISt17integral_constantIbLb1EESU_EEDaSP_SQ_EUlSP_E0_NS1_11comp_targetILNS1_3genE9ELNS1_11target_archE1100ELNS1_3gpuE3ELNS1_3repE0EEENS1_30default_config_static_selectorELNS0_4arch9wavefront6targetE1EEEvT1_
                                        ; -- End function
	.section	.AMDGPU.csdata,"",@progbits
; Kernel info:
; codeLenInByte = 0
; NumSgprs: 4
; NumVgprs: 0
; NumAgprs: 0
; TotalNumVgprs: 0
; ScratchSize: 0
; MemoryBound: 0
; FloatMode: 240
; IeeeMode: 1
; LDSByteSize: 0 bytes/workgroup (compile time only)
; SGPRBlocks: 0
; VGPRBlocks: 0
; NumSGPRsForWavesPerEU: 4
; NumVGPRsForWavesPerEU: 1
; AccumOffset: 4
; Occupancy: 8
; WaveLimiterHint : 0
; COMPUTE_PGM_RSRC2:SCRATCH_EN: 0
; COMPUTE_PGM_RSRC2:USER_SGPR: 6
; COMPUTE_PGM_RSRC2:TRAP_HANDLER: 0
; COMPUTE_PGM_RSRC2:TGID_X_EN: 1
; COMPUTE_PGM_RSRC2:TGID_Y_EN: 0
; COMPUTE_PGM_RSRC2:TGID_Z_EN: 0
; COMPUTE_PGM_RSRC2:TIDIG_COMP_CNT: 0
; COMPUTE_PGM_RSRC3_GFX90A:ACCUM_OFFSET: 0
; COMPUTE_PGM_RSRC3_GFX90A:TG_SPLIT: 0
	.section	.text._ZN7rocprim17ROCPRIM_400000_NS6detail17trampoline_kernelINS0_14default_configENS1_20scan_config_selectorIsEEZZNS1_9scan_implILNS1_25lookback_scan_determinismE0ELb1ELb1ES3_N6thrust23THRUST_200600_302600_NS6detail15normal_iteratorINS9_10device_ptrIsEEEESE_sNS9_4plusIsEEsEEDaPvRmT3_T4_T5_mT6_P12ihipStream_tbENKUlT_T0_E_clISt17integral_constantIbLb1EESU_EEDaSP_SQ_EUlSP_E0_NS1_11comp_targetILNS1_3genE8ELNS1_11target_archE1030ELNS1_3gpuE2ELNS1_3repE0EEENS1_30default_config_static_selectorELNS0_4arch9wavefront6targetE1EEEvT1_,"axG",@progbits,_ZN7rocprim17ROCPRIM_400000_NS6detail17trampoline_kernelINS0_14default_configENS1_20scan_config_selectorIsEEZZNS1_9scan_implILNS1_25lookback_scan_determinismE0ELb1ELb1ES3_N6thrust23THRUST_200600_302600_NS6detail15normal_iteratorINS9_10device_ptrIsEEEESE_sNS9_4plusIsEEsEEDaPvRmT3_T4_T5_mT6_P12ihipStream_tbENKUlT_T0_E_clISt17integral_constantIbLb1EESU_EEDaSP_SQ_EUlSP_E0_NS1_11comp_targetILNS1_3genE8ELNS1_11target_archE1030ELNS1_3gpuE2ELNS1_3repE0EEENS1_30default_config_static_selectorELNS0_4arch9wavefront6targetE1EEEvT1_,comdat
	.protected	_ZN7rocprim17ROCPRIM_400000_NS6detail17trampoline_kernelINS0_14default_configENS1_20scan_config_selectorIsEEZZNS1_9scan_implILNS1_25lookback_scan_determinismE0ELb1ELb1ES3_N6thrust23THRUST_200600_302600_NS6detail15normal_iteratorINS9_10device_ptrIsEEEESE_sNS9_4plusIsEEsEEDaPvRmT3_T4_T5_mT6_P12ihipStream_tbENKUlT_T0_E_clISt17integral_constantIbLb1EESU_EEDaSP_SQ_EUlSP_E0_NS1_11comp_targetILNS1_3genE8ELNS1_11target_archE1030ELNS1_3gpuE2ELNS1_3repE0EEENS1_30default_config_static_selectorELNS0_4arch9wavefront6targetE1EEEvT1_ ; -- Begin function _ZN7rocprim17ROCPRIM_400000_NS6detail17trampoline_kernelINS0_14default_configENS1_20scan_config_selectorIsEEZZNS1_9scan_implILNS1_25lookback_scan_determinismE0ELb1ELb1ES3_N6thrust23THRUST_200600_302600_NS6detail15normal_iteratorINS9_10device_ptrIsEEEESE_sNS9_4plusIsEEsEEDaPvRmT3_T4_T5_mT6_P12ihipStream_tbENKUlT_T0_E_clISt17integral_constantIbLb1EESU_EEDaSP_SQ_EUlSP_E0_NS1_11comp_targetILNS1_3genE8ELNS1_11target_archE1030ELNS1_3gpuE2ELNS1_3repE0EEENS1_30default_config_static_selectorELNS0_4arch9wavefront6targetE1EEEvT1_
	.globl	_ZN7rocprim17ROCPRIM_400000_NS6detail17trampoline_kernelINS0_14default_configENS1_20scan_config_selectorIsEEZZNS1_9scan_implILNS1_25lookback_scan_determinismE0ELb1ELb1ES3_N6thrust23THRUST_200600_302600_NS6detail15normal_iteratorINS9_10device_ptrIsEEEESE_sNS9_4plusIsEEsEEDaPvRmT3_T4_T5_mT6_P12ihipStream_tbENKUlT_T0_E_clISt17integral_constantIbLb1EESU_EEDaSP_SQ_EUlSP_E0_NS1_11comp_targetILNS1_3genE8ELNS1_11target_archE1030ELNS1_3gpuE2ELNS1_3repE0EEENS1_30default_config_static_selectorELNS0_4arch9wavefront6targetE1EEEvT1_
	.p2align	8
	.type	_ZN7rocprim17ROCPRIM_400000_NS6detail17trampoline_kernelINS0_14default_configENS1_20scan_config_selectorIsEEZZNS1_9scan_implILNS1_25lookback_scan_determinismE0ELb1ELb1ES3_N6thrust23THRUST_200600_302600_NS6detail15normal_iteratorINS9_10device_ptrIsEEEESE_sNS9_4plusIsEEsEEDaPvRmT3_T4_T5_mT6_P12ihipStream_tbENKUlT_T0_E_clISt17integral_constantIbLb1EESU_EEDaSP_SQ_EUlSP_E0_NS1_11comp_targetILNS1_3genE8ELNS1_11target_archE1030ELNS1_3gpuE2ELNS1_3repE0EEENS1_30default_config_static_selectorELNS0_4arch9wavefront6targetE1EEEvT1_,@function
_ZN7rocprim17ROCPRIM_400000_NS6detail17trampoline_kernelINS0_14default_configENS1_20scan_config_selectorIsEEZZNS1_9scan_implILNS1_25lookback_scan_determinismE0ELb1ELb1ES3_N6thrust23THRUST_200600_302600_NS6detail15normal_iteratorINS9_10device_ptrIsEEEESE_sNS9_4plusIsEEsEEDaPvRmT3_T4_T5_mT6_P12ihipStream_tbENKUlT_T0_E_clISt17integral_constantIbLb1EESU_EEDaSP_SQ_EUlSP_E0_NS1_11comp_targetILNS1_3genE8ELNS1_11target_archE1030ELNS1_3gpuE2ELNS1_3repE0EEENS1_30default_config_static_selectorELNS0_4arch9wavefront6targetE1EEEvT1_: ; @_ZN7rocprim17ROCPRIM_400000_NS6detail17trampoline_kernelINS0_14default_configENS1_20scan_config_selectorIsEEZZNS1_9scan_implILNS1_25lookback_scan_determinismE0ELb1ELb1ES3_N6thrust23THRUST_200600_302600_NS6detail15normal_iteratorINS9_10device_ptrIsEEEESE_sNS9_4plusIsEEsEEDaPvRmT3_T4_T5_mT6_P12ihipStream_tbENKUlT_T0_E_clISt17integral_constantIbLb1EESU_EEDaSP_SQ_EUlSP_E0_NS1_11comp_targetILNS1_3genE8ELNS1_11target_archE1030ELNS1_3gpuE2ELNS1_3repE0EEENS1_30default_config_static_selectorELNS0_4arch9wavefront6targetE1EEEvT1_
; %bb.0:
	.section	.rodata,"a",@progbits
	.p2align	6, 0x0
	.amdhsa_kernel _ZN7rocprim17ROCPRIM_400000_NS6detail17trampoline_kernelINS0_14default_configENS1_20scan_config_selectorIsEEZZNS1_9scan_implILNS1_25lookback_scan_determinismE0ELb1ELb1ES3_N6thrust23THRUST_200600_302600_NS6detail15normal_iteratorINS9_10device_ptrIsEEEESE_sNS9_4plusIsEEsEEDaPvRmT3_T4_T5_mT6_P12ihipStream_tbENKUlT_T0_E_clISt17integral_constantIbLb1EESU_EEDaSP_SQ_EUlSP_E0_NS1_11comp_targetILNS1_3genE8ELNS1_11target_archE1030ELNS1_3gpuE2ELNS1_3repE0EEENS1_30default_config_static_selectorELNS0_4arch9wavefront6targetE1EEEvT1_
		.amdhsa_group_segment_fixed_size 0
		.amdhsa_private_segment_fixed_size 0
		.amdhsa_kernarg_size 32
		.amdhsa_user_sgpr_count 6
		.amdhsa_user_sgpr_private_segment_buffer 1
		.amdhsa_user_sgpr_dispatch_ptr 0
		.amdhsa_user_sgpr_queue_ptr 0
		.amdhsa_user_sgpr_kernarg_segment_ptr 1
		.amdhsa_user_sgpr_dispatch_id 0
		.amdhsa_user_sgpr_flat_scratch_init 0
		.amdhsa_user_sgpr_kernarg_preload_length 0
		.amdhsa_user_sgpr_kernarg_preload_offset 0
		.amdhsa_user_sgpr_private_segment_size 0
		.amdhsa_uses_dynamic_stack 0
		.amdhsa_system_sgpr_private_segment_wavefront_offset 0
		.amdhsa_system_sgpr_workgroup_id_x 1
		.amdhsa_system_sgpr_workgroup_id_y 0
		.amdhsa_system_sgpr_workgroup_id_z 0
		.amdhsa_system_sgpr_workgroup_info 0
		.amdhsa_system_vgpr_workitem_id 0
		.amdhsa_next_free_vgpr 1
		.amdhsa_next_free_sgpr 0
		.amdhsa_accum_offset 4
		.amdhsa_reserve_vcc 0
		.amdhsa_reserve_flat_scratch 0
		.amdhsa_float_round_mode_32 0
		.amdhsa_float_round_mode_16_64 0
		.amdhsa_float_denorm_mode_32 3
		.amdhsa_float_denorm_mode_16_64 3
		.amdhsa_dx10_clamp 1
		.amdhsa_ieee_mode 1
		.amdhsa_fp16_overflow 0
		.amdhsa_tg_split 0
		.amdhsa_exception_fp_ieee_invalid_op 0
		.amdhsa_exception_fp_denorm_src 0
		.amdhsa_exception_fp_ieee_div_zero 0
		.amdhsa_exception_fp_ieee_overflow 0
		.amdhsa_exception_fp_ieee_underflow 0
		.amdhsa_exception_fp_ieee_inexact 0
		.amdhsa_exception_int_div_zero 0
	.end_amdhsa_kernel
	.section	.text._ZN7rocprim17ROCPRIM_400000_NS6detail17trampoline_kernelINS0_14default_configENS1_20scan_config_selectorIsEEZZNS1_9scan_implILNS1_25lookback_scan_determinismE0ELb1ELb1ES3_N6thrust23THRUST_200600_302600_NS6detail15normal_iteratorINS9_10device_ptrIsEEEESE_sNS9_4plusIsEEsEEDaPvRmT3_T4_T5_mT6_P12ihipStream_tbENKUlT_T0_E_clISt17integral_constantIbLb1EESU_EEDaSP_SQ_EUlSP_E0_NS1_11comp_targetILNS1_3genE8ELNS1_11target_archE1030ELNS1_3gpuE2ELNS1_3repE0EEENS1_30default_config_static_selectorELNS0_4arch9wavefront6targetE1EEEvT1_,"axG",@progbits,_ZN7rocprim17ROCPRIM_400000_NS6detail17trampoline_kernelINS0_14default_configENS1_20scan_config_selectorIsEEZZNS1_9scan_implILNS1_25lookback_scan_determinismE0ELb1ELb1ES3_N6thrust23THRUST_200600_302600_NS6detail15normal_iteratorINS9_10device_ptrIsEEEESE_sNS9_4plusIsEEsEEDaPvRmT3_T4_T5_mT6_P12ihipStream_tbENKUlT_T0_E_clISt17integral_constantIbLb1EESU_EEDaSP_SQ_EUlSP_E0_NS1_11comp_targetILNS1_3genE8ELNS1_11target_archE1030ELNS1_3gpuE2ELNS1_3repE0EEENS1_30default_config_static_selectorELNS0_4arch9wavefront6targetE1EEEvT1_,comdat
.Lfunc_end1230:
	.size	_ZN7rocprim17ROCPRIM_400000_NS6detail17trampoline_kernelINS0_14default_configENS1_20scan_config_selectorIsEEZZNS1_9scan_implILNS1_25lookback_scan_determinismE0ELb1ELb1ES3_N6thrust23THRUST_200600_302600_NS6detail15normal_iteratorINS9_10device_ptrIsEEEESE_sNS9_4plusIsEEsEEDaPvRmT3_T4_T5_mT6_P12ihipStream_tbENKUlT_T0_E_clISt17integral_constantIbLb1EESU_EEDaSP_SQ_EUlSP_E0_NS1_11comp_targetILNS1_3genE8ELNS1_11target_archE1030ELNS1_3gpuE2ELNS1_3repE0EEENS1_30default_config_static_selectorELNS0_4arch9wavefront6targetE1EEEvT1_, .Lfunc_end1230-_ZN7rocprim17ROCPRIM_400000_NS6detail17trampoline_kernelINS0_14default_configENS1_20scan_config_selectorIsEEZZNS1_9scan_implILNS1_25lookback_scan_determinismE0ELb1ELb1ES3_N6thrust23THRUST_200600_302600_NS6detail15normal_iteratorINS9_10device_ptrIsEEEESE_sNS9_4plusIsEEsEEDaPvRmT3_T4_T5_mT6_P12ihipStream_tbENKUlT_T0_E_clISt17integral_constantIbLb1EESU_EEDaSP_SQ_EUlSP_E0_NS1_11comp_targetILNS1_3genE8ELNS1_11target_archE1030ELNS1_3gpuE2ELNS1_3repE0EEENS1_30default_config_static_selectorELNS0_4arch9wavefront6targetE1EEEvT1_
                                        ; -- End function
	.section	.AMDGPU.csdata,"",@progbits
; Kernel info:
; codeLenInByte = 0
; NumSgprs: 4
; NumVgprs: 0
; NumAgprs: 0
; TotalNumVgprs: 0
; ScratchSize: 0
; MemoryBound: 0
; FloatMode: 240
; IeeeMode: 1
; LDSByteSize: 0 bytes/workgroup (compile time only)
; SGPRBlocks: 0
; VGPRBlocks: 0
; NumSGPRsForWavesPerEU: 4
; NumVGPRsForWavesPerEU: 1
; AccumOffset: 4
; Occupancy: 8
; WaveLimiterHint : 0
; COMPUTE_PGM_RSRC2:SCRATCH_EN: 0
; COMPUTE_PGM_RSRC2:USER_SGPR: 6
; COMPUTE_PGM_RSRC2:TRAP_HANDLER: 0
; COMPUTE_PGM_RSRC2:TGID_X_EN: 1
; COMPUTE_PGM_RSRC2:TGID_Y_EN: 0
; COMPUTE_PGM_RSRC2:TGID_Z_EN: 0
; COMPUTE_PGM_RSRC2:TIDIG_COMP_CNT: 0
; COMPUTE_PGM_RSRC3_GFX90A:ACCUM_OFFSET: 0
; COMPUTE_PGM_RSRC3_GFX90A:TG_SPLIT: 0
	.section	.text._ZN7rocprim17ROCPRIM_400000_NS6detail17trampoline_kernelINS0_14default_configENS1_20scan_config_selectorIsEEZZNS1_9scan_implILNS1_25lookback_scan_determinismE0ELb1ELb1ES3_N6thrust23THRUST_200600_302600_NS6detail15normal_iteratorINS9_10device_ptrIsEEEESE_sNS9_4plusIsEEsEEDaPvRmT3_T4_T5_mT6_P12ihipStream_tbENKUlT_T0_E_clISt17integral_constantIbLb1EEST_IbLb0EEEEDaSP_SQ_EUlSP_E_NS1_11comp_targetILNS1_3genE0ELNS1_11target_archE4294967295ELNS1_3gpuE0ELNS1_3repE0EEENS1_30default_config_static_selectorELNS0_4arch9wavefront6targetE1EEEvT1_,"axG",@progbits,_ZN7rocprim17ROCPRIM_400000_NS6detail17trampoline_kernelINS0_14default_configENS1_20scan_config_selectorIsEEZZNS1_9scan_implILNS1_25lookback_scan_determinismE0ELb1ELb1ES3_N6thrust23THRUST_200600_302600_NS6detail15normal_iteratorINS9_10device_ptrIsEEEESE_sNS9_4plusIsEEsEEDaPvRmT3_T4_T5_mT6_P12ihipStream_tbENKUlT_T0_E_clISt17integral_constantIbLb1EEST_IbLb0EEEEDaSP_SQ_EUlSP_E_NS1_11comp_targetILNS1_3genE0ELNS1_11target_archE4294967295ELNS1_3gpuE0ELNS1_3repE0EEENS1_30default_config_static_selectorELNS0_4arch9wavefront6targetE1EEEvT1_,comdat
	.protected	_ZN7rocprim17ROCPRIM_400000_NS6detail17trampoline_kernelINS0_14default_configENS1_20scan_config_selectorIsEEZZNS1_9scan_implILNS1_25lookback_scan_determinismE0ELb1ELb1ES3_N6thrust23THRUST_200600_302600_NS6detail15normal_iteratorINS9_10device_ptrIsEEEESE_sNS9_4plusIsEEsEEDaPvRmT3_T4_T5_mT6_P12ihipStream_tbENKUlT_T0_E_clISt17integral_constantIbLb1EEST_IbLb0EEEEDaSP_SQ_EUlSP_E_NS1_11comp_targetILNS1_3genE0ELNS1_11target_archE4294967295ELNS1_3gpuE0ELNS1_3repE0EEENS1_30default_config_static_selectorELNS0_4arch9wavefront6targetE1EEEvT1_ ; -- Begin function _ZN7rocprim17ROCPRIM_400000_NS6detail17trampoline_kernelINS0_14default_configENS1_20scan_config_selectorIsEEZZNS1_9scan_implILNS1_25lookback_scan_determinismE0ELb1ELb1ES3_N6thrust23THRUST_200600_302600_NS6detail15normal_iteratorINS9_10device_ptrIsEEEESE_sNS9_4plusIsEEsEEDaPvRmT3_T4_T5_mT6_P12ihipStream_tbENKUlT_T0_E_clISt17integral_constantIbLb1EEST_IbLb0EEEEDaSP_SQ_EUlSP_E_NS1_11comp_targetILNS1_3genE0ELNS1_11target_archE4294967295ELNS1_3gpuE0ELNS1_3repE0EEENS1_30default_config_static_selectorELNS0_4arch9wavefront6targetE1EEEvT1_
	.globl	_ZN7rocprim17ROCPRIM_400000_NS6detail17trampoline_kernelINS0_14default_configENS1_20scan_config_selectorIsEEZZNS1_9scan_implILNS1_25lookback_scan_determinismE0ELb1ELb1ES3_N6thrust23THRUST_200600_302600_NS6detail15normal_iteratorINS9_10device_ptrIsEEEESE_sNS9_4plusIsEEsEEDaPvRmT3_T4_T5_mT6_P12ihipStream_tbENKUlT_T0_E_clISt17integral_constantIbLb1EEST_IbLb0EEEEDaSP_SQ_EUlSP_E_NS1_11comp_targetILNS1_3genE0ELNS1_11target_archE4294967295ELNS1_3gpuE0ELNS1_3repE0EEENS1_30default_config_static_selectorELNS0_4arch9wavefront6targetE1EEEvT1_
	.p2align	8
	.type	_ZN7rocprim17ROCPRIM_400000_NS6detail17trampoline_kernelINS0_14default_configENS1_20scan_config_selectorIsEEZZNS1_9scan_implILNS1_25lookback_scan_determinismE0ELb1ELb1ES3_N6thrust23THRUST_200600_302600_NS6detail15normal_iteratorINS9_10device_ptrIsEEEESE_sNS9_4plusIsEEsEEDaPvRmT3_T4_T5_mT6_P12ihipStream_tbENKUlT_T0_E_clISt17integral_constantIbLb1EEST_IbLb0EEEEDaSP_SQ_EUlSP_E_NS1_11comp_targetILNS1_3genE0ELNS1_11target_archE4294967295ELNS1_3gpuE0ELNS1_3repE0EEENS1_30default_config_static_selectorELNS0_4arch9wavefront6targetE1EEEvT1_,@function
_ZN7rocprim17ROCPRIM_400000_NS6detail17trampoline_kernelINS0_14default_configENS1_20scan_config_selectorIsEEZZNS1_9scan_implILNS1_25lookback_scan_determinismE0ELb1ELb1ES3_N6thrust23THRUST_200600_302600_NS6detail15normal_iteratorINS9_10device_ptrIsEEEESE_sNS9_4plusIsEEsEEDaPvRmT3_T4_T5_mT6_P12ihipStream_tbENKUlT_T0_E_clISt17integral_constantIbLb1EEST_IbLb0EEEEDaSP_SQ_EUlSP_E_NS1_11comp_targetILNS1_3genE0ELNS1_11target_archE4294967295ELNS1_3gpuE0ELNS1_3repE0EEENS1_30default_config_static_selectorELNS0_4arch9wavefront6targetE1EEEvT1_: ; @_ZN7rocprim17ROCPRIM_400000_NS6detail17trampoline_kernelINS0_14default_configENS1_20scan_config_selectorIsEEZZNS1_9scan_implILNS1_25lookback_scan_determinismE0ELb1ELb1ES3_N6thrust23THRUST_200600_302600_NS6detail15normal_iteratorINS9_10device_ptrIsEEEESE_sNS9_4plusIsEEsEEDaPvRmT3_T4_T5_mT6_P12ihipStream_tbENKUlT_T0_E_clISt17integral_constantIbLb1EEST_IbLb0EEEEDaSP_SQ_EUlSP_E_NS1_11comp_targetILNS1_3genE0ELNS1_11target_archE4294967295ELNS1_3gpuE0ELNS1_3repE0EEENS1_30default_config_static_selectorELNS0_4arch9wavefront6targetE1EEEvT1_
; %bb.0:
	.section	.rodata,"a",@progbits
	.p2align	6, 0x0
	.amdhsa_kernel _ZN7rocprim17ROCPRIM_400000_NS6detail17trampoline_kernelINS0_14default_configENS1_20scan_config_selectorIsEEZZNS1_9scan_implILNS1_25lookback_scan_determinismE0ELb1ELb1ES3_N6thrust23THRUST_200600_302600_NS6detail15normal_iteratorINS9_10device_ptrIsEEEESE_sNS9_4plusIsEEsEEDaPvRmT3_T4_T5_mT6_P12ihipStream_tbENKUlT_T0_E_clISt17integral_constantIbLb1EEST_IbLb0EEEEDaSP_SQ_EUlSP_E_NS1_11comp_targetILNS1_3genE0ELNS1_11target_archE4294967295ELNS1_3gpuE0ELNS1_3repE0EEENS1_30default_config_static_selectorELNS0_4arch9wavefront6targetE1EEEvT1_
		.amdhsa_group_segment_fixed_size 0
		.amdhsa_private_segment_fixed_size 0
		.amdhsa_kernarg_size 96
		.amdhsa_user_sgpr_count 6
		.amdhsa_user_sgpr_private_segment_buffer 1
		.amdhsa_user_sgpr_dispatch_ptr 0
		.amdhsa_user_sgpr_queue_ptr 0
		.amdhsa_user_sgpr_kernarg_segment_ptr 1
		.amdhsa_user_sgpr_dispatch_id 0
		.amdhsa_user_sgpr_flat_scratch_init 0
		.amdhsa_user_sgpr_kernarg_preload_length 0
		.amdhsa_user_sgpr_kernarg_preload_offset 0
		.amdhsa_user_sgpr_private_segment_size 0
		.amdhsa_uses_dynamic_stack 0
		.amdhsa_system_sgpr_private_segment_wavefront_offset 0
		.amdhsa_system_sgpr_workgroup_id_x 1
		.amdhsa_system_sgpr_workgroup_id_y 0
		.amdhsa_system_sgpr_workgroup_id_z 0
		.amdhsa_system_sgpr_workgroup_info 0
		.amdhsa_system_vgpr_workitem_id 0
		.amdhsa_next_free_vgpr 1
		.amdhsa_next_free_sgpr 0
		.amdhsa_accum_offset 4
		.amdhsa_reserve_vcc 0
		.amdhsa_reserve_flat_scratch 0
		.amdhsa_float_round_mode_32 0
		.amdhsa_float_round_mode_16_64 0
		.amdhsa_float_denorm_mode_32 3
		.amdhsa_float_denorm_mode_16_64 3
		.amdhsa_dx10_clamp 1
		.amdhsa_ieee_mode 1
		.amdhsa_fp16_overflow 0
		.amdhsa_tg_split 0
		.amdhsa_exception_fp_ieee_invalid_op 0
		.amdhsa_exception_fp_denorm_src 0
		.amdhsa_exception_fp_ieee_div_zero 0
		.amdhsa_exception_fp_ieee_overflow 0
		.amdhsa_exception_fp_ieee_underflow 0
		.amdhsa_exception_fp_ieee_inexact 0
		.amdhsa_exception_int_div_zero 0
	.end_amdhsa_kernel
	.section	.text._ZN7rocprim17ROCPRIM_400000_NS6detail17trampoline_kernelINS0_14default_configENS1_20scan_config_selectorIsEEZZNS1_9scan_implILNS1_25lookback_scan_determinismE0ELb1ELb1ES3_N6thrust23THRUST_200600_302600_NS6detail15normal_iteratorINS9_10device_ptrIsEEEESE_sNS9_4plusIsEEsEEDaPvRmT3_T4_T5_mT6_P12ihipStream_tbENKUlT_T0_E_clISt17integral_constantIbLb1EEST_IbLb0EEEEDaSP_SQ_EUlSP_E_NS1_11comp_targetILNS1_3genE0ELNS1_11target_archE4294967295ELNS1_3gpuE0ELNS1_3repE0EEENS1_30default_config_static_selectorELNS0_4arch9wavefront6targetE1EEEvT1_,"axG",@progbits,_ZN7rocprim17ROCPRIM_400000_NS6detail17trampoline_kernelINS0_14default_configENS1_20scan_config_selectorIsEEZZNS1_9scan_implILNS1_25lookback_scan_determinismE0ELb1ELb1ES3_N6thrust23THRUST_200600_302600_NS6detail15normal_iteratorINS9_10device_ptrIsEEEESE_sNS9_4plusIsEEsEEDaPvRmT3_T4_T5_mT6_P12ihipStream_tbENKUlT_T0_E_clISt17integral_constantIbLb1EEST_IbLb0EEEEDaSP_SQ_EUlSP_E_NS1_11comp_targetILNS1_3genE0ELNS1_11target_archE4294967295ELNS1_3gpuE0ELNS1_3repE0EEENS1_30default_config_static_selectorELNS0_4arch9wavefront6targetE1EEEvT1_,comdat
.Lfunc_end1231:
	.size	_ZN7rocprim17ROCPRIM_400000_NS6detail17trampoline_kernelINS0_14default_configENS1_20scan_config_selectorIsEEZZNS1_9scan_implILNS1_25lookback_scan_determinismE0ELb1ELb1ES3_N6thrust23THRUST_200600_302600_NS6detail15normal_iteratorINS9_10device_ptrIsEEEESE_sNS9_4plusIsEEsEEDaPvRmT3_T4_T5_mT6_P12ihipStream_tbENKUlT_T0_E_clISt17integral_constantIbLb1EEST_IbLb0EEEEDaSP_SQ_EUlSP_E_NS1_11comp_targetILNS1_3genE0ELNS1_11target_archE4294967295ELNS1_3gpuE0ELNS1_3repE0EEENS1_30default_config_static_selectorELNS0_4arch9wavefront6targetE1EEEvT1_, .Lfunc_end1231-_ZN7rocprim17ROCPRIM_400000_NS6detail17trampoline_kernelINS0_14default_configENS1_20scan_config_selectorIsEEZZNS1_9scan_implILNS1_25lookback_scan_determinismE0ELb1ELb1ES3_N6thrust23THRUST_200600_302600_NS6detail15normal_iteratorINS9_10device_ptrIsEEEESE_sNS9_4plusIsEEsEEDaPvRmT3_T4_T5_mT6_P12ihipStream_tbENKUlT_T0_E_clISt17integral_constantIbLb1EEST_IbLb0EEEEDaSP_SQ_EUlSP_E_NS1_11comp_targetILNS1_3genE0ELNS1_11target_archE4294967295ELNS1_3gpuE0ELNS1_3repE0EEENS1_30default_config_static_selectorELNS0_4arch9wavefront6targetE1EEEvT1_
                                        ; -- End function
	.section	.AMDGPU.csdata,"",@progbits
; Kernel info:
; codeLenInByte = 0
; NumSgprs: 4
; NumVgprs: 0
; NumAgprs: 0
; TotalNumVgprs: 0
; ScratchSize: 0
; MemoryBound: 0
; FloatMode: 240
; IeeeMode: 1
; LDSByteSize: 0 bytes/workgroup (compile time only)
; SGPRBlocks: 0
; VGPRBlocks: 0
; NumSGPRsForWavesPerEU: 4
; NumVGPRsForWavesPerEU: 1
; AccumOffset: 4
; Occupancy: 8
; WaveLimiterHint : 0
; COMPUTE_PGM_RSRC2:SCRATCH_EN: 0
; COMPUTE_PGM_RSRC2:USER_SGPR: 6
; COMPUTE_PGM_RSRC2:TRAP_HANDLER: 0
; COMPUTE_PGM_RSRC2:TGID_X_EN: 1
; COMPUTE_PGM_RSRC2:TGID_Y_EN: 0
; COMPUTE_PGM_RSRC2:TGID_Z_EN: 0
; COMPUTE_PGM_RSRC2:TIDIG_COMP_CNT: 0
; COMPUTE_PGM_RSRC3_GFX90A:ACCUM_OFFSET: 0
; COMPUTE_PGM_RSRC3_GFX90A:TG_SPLIT: 0
	.section	.text._ZN7rocprim17ROCPRIM_400000_NS6detail17trampoline_kernelINS0_14default_configENS1_20scan_config_selectorIsEEZZNS1_9scan_implILNS1_25lookback_scan_determinismE0ELb1ELb1ES3_N6thrust23THRUST_200600_302600_NS6detail15normal_iteratorINS9_10device_ptrIsEEEESE_sNS9_4plusIsEEsEEDaPvRmT3_T4_T5_mT6_P12ihipStream_tbENKUlT_T0_E_clISt17integral_constantIbLb1EEST_IbLb0EEEEDaSP_SQ_EUlSP_E_NS1_11comp_targetILNS1_3genE5ELNS1_11target_archE942ELNS1_3gpuE9ELNS1_3repE0EEENS1_30default_config_static_selectorELNS0_4arch9wavefront6targetE1EEEvT1_,"axG",@progbits,_ZN7rocprim17ROCPRIM_400000_NS6detail17trampoline_kernelINS0_14default_configENS1_20scan_config_selectorIsEEZZNS1_9scan_implILNS1_25lookback_scan_determinismE0ELb1ELb1ES3_N6thrust23THRUST_200600_302600_NS6detail15normal_iteratorINS9_10device_ptrIsEEEESE_sNS9_4plusIsEEsEEDaPvRmT3_T4_T5_mT6_P12ihipStream_tbENKUlT_T0_E_clISt17integral_constantIbLb1EEST_IbLb0EEEEDaSP_SQ_EUlSP_E_NS1_11comp_targetILNS1_3genE5ELNS1_11target_archE942ELNS1_3gpuE9ELNS1_3repE0EEENS1_30default_config_static_selectorELNS0_4arch9wavefront6targetE1EEEvT1_,comdat
	.protected	_ZN7rocprim17ROCPRIM_400000_NS6detail17trampoline_kernelINS0_14default_configENS1_20scan_config_selectorIsEEZZNS1_9scan_implILNS1_25lookback_scan_determinismE0ELb1ELb1ES3_N6thrust23THRUST_200600_302600_NS6detail15normal_iteratorINS9_10device_ptrIsEEEESE_sNS9_4plusIsEEsEEDaPvRmT3_T4_T5_mT6_P12ihipStream_tbENKUlT_T0_E_clISt17integral_constantIbLb1EEST_IbLb0EEEEDaSP_SQ_EUlSP_E_NS1_11comp_targetILNS1_3genE5ELNS1_11target_archE942ELNS1_3gpuE9ELNS1_3repE0EEENS1_30default_config_static_selectorELNS0_4arch9wavefront6targetE1EEEvT1_ ; -- Begin function _ZN7rocprim17ROCPRIM_400000_NS6detail17trampoline_kernelINS0_14default_configENS1_20scan_config_selectorIsEEZZNS1_9scan_implILNS1_25lookback_scan_determinismE0ELb1ELb1ES3_N6thrust23THRUST_200600_302600_NS6detail15normal_iteratorINS9_10device_ptrIsEEEESE_sNS9_4plusIsEEsEEDaPvRmT3_T4_T5_mT6_P12ihipStream_tbENKUlT_T0_E_clISt17integral_constantIbLb1EEST_IbLb0EEEEDaSP_SQ_EUlSP_E_NS1_11comp_targetILNS1_3genE5ELNS1_11target_archE942ELNS1_3gpuE9ELNS1_3repE0EEENS1_30default_config_static_selectorELNS0_4arch9wavefront6targetE1EEEvT1_
	.globl	_ZN7rocprim17ROCPRIM_400000_NS6detail17trampoline_kernelINS0_14default_configENS1_20scan_config_selectorIsEEZZNS1_9scan_implILNS1_25lookback_scan_determinismE0ELb1ELb1ES3_N6thrust23THRUST_200600_302600_NS6detail15normal_iteratorINS9_10device_ptrIsEEEESE_sNS9_4plusIsEEsEEDaPvRmT3_T4_T5_mT6_P12ihipStream_tbENKUlT_T0_E_clISt17integral_constantIbLb1EEST_IbLb0EEEEDaSP_SQ_EUlSP_E_NS1_11comp_targetILNS1_3genE5ELNS1_11target_archE942ELNS1_3gpuE9ELNS1_3repE0EEENS1_30default_config_static_selectorELNS0_4arch9wavefront6targetE1EEEvT1_
	.p2align	8
	.type	_ZN7rocprim17ROCPRIM_400000_NS6detail17trampoline_kernelINS0_14default_configENS1_20scan_config_selectorIsEEZZNS1_9scan_implILNS1_25lookback_scan_determinismE0ELb1ELb1ES3_N6thrust23THRUST_200600_302600_NS6detail15normal_iteratorINS9_10device_ptrIsEEEESE_sNS9_4plusIsEEsEEDaPvRmT3_T4_T5_mT6_P12ihipStream_tbENKUlT_T0_E_clISt17integral_constantIbLb1EEST_IbLb0EEEEDaSP_SQ_EUlSP_E_NS1_11comp_targetILNS1_3genE5ELNS1_11target_archE942ELNS1_3gpuE9ELNS1_3repE0EEENS1_30default_config_static_selectorELNS0_4arch9wavefront6targetE1EEEvT1_,@function
_ZN7rocprim17ROCPRIM_400000_NS6detail17trampoline_kernelINS0_14default_configENS1_20scan_config_selectorIsEEZZNS1_9scan_implILNS1_25lookback_scan_determinismE0ELb1ELb1ES3_N6thrust23THRUST_200600_302600_NS6detail15normal_iteratorINS9_10device_ptrIsEEEESE_sNS9_4plusIsEEsEEDaPvRmT3_T4_T5_mT6_P12ihipStream_tbENKUlT_T0_E_clISt17integral_constantIbLb1EEST_IbLb0EEEEDaSP_SQ_EUlSP_E_NS1_11comp_targetILNS1_3genE5ELNS1_11target_archE942ELNS1_3gpuE9ELNS1_3repE0EEENS1_30default_config_static_selectorELNS0_4arch9wavefront6targetE1EEEvT1_: ; @_ZN7rocprim17ROCPRIM_400000_NS6detail17trampoline_kernelINS0_14default_configENS1_20scan_config_selectorIsEEZZNS1_9scan_implILNS1_25lookback_scan_determinismE0ELb1ELb1ES3_N6thrust23THRUST_200600_302600_NS6detail15normal_iteratorINS9_10device_ptrIsEEEESE_sNS9_4plusIsEEsEEDaPvRmT3_T4_T5_mT6_P12ihipStream_tbENKUlT_T0_E_clISt17integral_constantIbLb1EEST_IbLb0EEEEDaSP_SQ_EUlSP_E_NS1_11comp_targetILNS1_3genE5ELNS1_11target_archE942ELNS1_3gpuE9ELNS1_3repE0EEENS1_30default_config_static_selectorELNS0_4arch9wavefront6targetE1EEEvT1_
; %bb.0:
	.section	.rodata,"a",@progbits
	.p2align	6, 0x0
	.amdhsa_kernel _ZN7rocprim17ROCPRIM_400000_NS6detail17trampoline_kernelINS0_14default_configENS1_20scan_config_selectorIsEEZZNS1_9scan_implILNS1_25lookback_scan_determinismE0ELb1ELb1ES3_N6thrust23THRUST_200600_302600_NS6detail15normal_iteratorINS9_10device_ptrIsEEEESE_sNS9_4plusIsEEsEEDaPvRmT3_T4_T5_mT6_P12ihipStream_tbENKUlT_T0_E_clISt17integral_constantIbLb1EEST_IbLb0EEEEDaSP_SQ_EUlSP_E_NS1_11comp_targetILNS1_3genE5ELNS1_11target_archE942ELNS1_3gpuE9ELNS1_3repE0EEENS1_30default_config_static_selectorELNS0_4arch9wavefront6targetE1EEEvT1_
		.amdhsa_group_segment_fixed_size 0
		.amdhsa_private_segment_fixed_size 0
		.amdhsa_kernarg_size 96
		.amdhsa_user_sgpr_count 6
		.amdhsa_user_sgpr_private_segment_buffer 1
		.amdhsa_user_sgpr_dispatch_ptr 0
		.amdhsa_user_sgpr_queue_ptr 0
		.amdhsa_user_sgpr_kernarg_segment_ptr 1
		.amdhsa_user_sgpr_dispatch_id 0
		.amdhsa_user_sgpr_flat_scratch_init 0
		.amdhsa_user_sgpr_kernarg_preload_length 0
		.amdhsa_user_sgpr_kernarg_preload_offset 0
		.amdhsa_user_sgpr_private_segment_size 0
		.amdhsa_uses_dynamic_stack 0
		.amdhsa_system_sgpr_private_segment_wavefront_offset 0
		.amdhsa_system_sgpr_workgroup_id_x 1
		.amdhsa_system_sgpr_workgroup_id_y 0
		.amdhsa_system_sgpr_workgroup_id_z 0
		.amdhsa_system_sgpr_workgroup_info 0
		.amdhsa_system_vgpr_workitem_id 0
		.amdhsa_next_free_vgpr 1
		.amdhsa_next_free_sgpr 0
		.amdhsa_accum_offset 4
		.amdhsa_reserve_vcc 0
		.amdhsa_reserve_flat_scratch 0
		.amdhsa_float_round_mode_32 0
		.amdhsa_float_round_mode_16_64 0
		.amdhsa_float_denorm_mode_32 3
		.amdhsa_float_denorm_mode_16_64 3
		.amdhsa_dx10_clamp 1
		.amdhsa_ieee_mode 1
		.amdhsa_fp16_overflow 0
		.amdhsa_tg_split 0
		.amdhsa_exception_fp_ieee_invalid_op 0
		.amdhsa_exception_fp_denorm_src 0
		.amdhsa_exception_fp_ieee_div_zero 0
		.amdhsa_exception_fp_ieee_overflow 0
		.amdhsa_exception_fp_ieee_underflow 0
		.amdhsa_exception_fp_ieee_inexact 0
		.amdhsa_exception_int_div_zero 0
	.end_amdhsa_kernel
	.section	.text._ZN7rocprim17ROCPRIM_400000_NS6detail17trampoline_kernelINS0_14default_configENS1_20scan_config_selectorIsEEZZNS1_9scan_implILNS1_25lookback_scan_determinismE0ELb1ELb1ES3_N6thrust23THRUST_200600_302600_NS6detail15normal_iteratorINS9_10device_ptrIsEEEESE_sNS9_4plusIsEEsEEDaPvRmT3_T4_T5_mT6_P12ihipStream_tbENKUlT_T0_E_clISt17integral_constantIbLb1EEST_IbLb0EEEEDaSP_SQ_EUlSP_E_NS1_11comp_targetILNS1_3genE5ELNS1_11target_archE942ELNS1_3gpuE9ELNS1_3repE0EEENS1_30default_config_static_selectorELNS0_4arch9wavefront6targetE1EEEvT1_,"axG",@progbits,_ZN7rocprim17ROCPRIM_400000_NS6detail17trampoline_kernelINS0_14default_configENS1_20scan_config_selectorIsEEZZNS1_9scan_implILNS1_25lookback_scan_determinismE0ELb1ELb1ES3_N6thrust23THRUST_200600_302600_NS6detail15normal_iteratorINS9_10device_ptrIsEEEESE_sNS9_4plusIsEEsEEDaPvRmT3_T4_T5_mT6_P12ihipStream_tbENKUlT_T0_E_clISt17integral_constantIbLb1EEST_IbLb0EEEEDaSP_SQ_EUlSP_E_NS1_11comp_targetILNS1_3genE5ELNS1_11target_archE942ELNS1_3gpuE9ELNS1_3repE0EEENS1_30default_config_static_selectorELNS0_4arch9wavefront6targetE1EEEvT1_,comdat
.Lfunc_end1232:
	.size	_ZN7rocprim17ROCPRIM_400000_NS6detail17trampoline_kernelINS0_14default_configENS1_20scan_config_selectorIsEEZZNS1_9scan_implILNS1_25lookback_scan_determinismE0ELb1ELb1ES3_N6thrust23THRUST_200600_302600_NS6detail15normal_iteratorINS9_10device_ptrIsEEEESE_sNS9_4plusIsEEsEEDaPvRmT3_T4_T5_mT6_P12ihipStream_tbENKUlT_T0_E_clISt17integral_constantIbLb1EEST_IbLb0EEEEDaSP_SQ_EUlSP_E_NS1_11comp_targetILNS1_3genE5ELNS1_11target_archE942ELNS1_3gpuE9ELNS1_3repE0EEENS1_30default_config_static_selectorELNS0_4arch9wavefront6targetE1EEEvT1_, .Lfunc_end1232-_ZN7rocprim17ROCPRIM_400000_NS6detail17trampoline_kernelINS0_14default_configENS1_20scan_config_selectorIsEEZZNS1_9scan_implILNS1_25lookback_scan_determinismE0ELb1ELb1ES3_N6thrust23THRUST_200600_302600_NS6detail15normal_iteratorINS9_10device_ptrIsEEEESE_sNS9_4plusIsEEsEEDaPvRmT3_T4_T5_mT6_P12ihipStream_tbENKUlT_T0_E_clISt17integral_constantIbLb1EEST_IbLb0EEEEDaSP_SQ_EUlSP_E_NS1_11comp_targetILNS1_3genE5ELNS1_11target_archE942ELNS1_3gpuE9ELNS1_3repE0EEENS1_30default_config_static_selectorELNS0_4arch9wavefront6targetE1EEEvT1_
                                        ; -- End function
	.section	.AMDGPU.csdata,"",@progbits
; Kernel info:
; codeLenInByte = 0
; NumSgprs: 4
; NumVgprs: 0
; NumAgprs: 0
; TotalNumVgprs: 0
; ScratchSize: 0
; MemoryBound: 0
; FloatMode: 240
; IeeeMode: 1
; LDSByteSize: 0 bytes/workgroup (compile time only)
; SGPRBlocks: 0
; VGPRBlocks: 0
; NumSGPRsForWavesPerEU: 4
; NumVGPRsForWavesPerEU: 1
; AccumOffset: 4
; Occupancy: 8
; WaveLimiterHint : 0
; COMPUTE_PGM_RSRC2:SCRATCH_EN: 0
; COMPUTE_PGM_RSRC2:USER_SGPR: 6
; COMPUTE_PGM_RSRC2:TRAP_HANDLER: 0
; COMPUTE_PGM_RSRC2:TGID_X_EN: 1
; COMPUTE_PGM_RSRC2:TGID_Y_EN: 0
; COMPUTE_PGM_RSRC2:TGID_Z_EN: 0
; COMPUTE_PGM_RSRC2:TIDIG_COMP_CNT: 0
; COMPUTE_PGM_RSRC3_GFX90A:ACCUM_OFFSET: 0
; COMPUTE_PGM_RSRC3_GFX90A:TG_SPLIT: 0
	.section	.text._ZN7rocprim17ROCPRIM_400000_NS6detail17trampoline_kernelINS0_14default_configENS1_20scan_config_selectorIsEEZZNS1_9scan_implILNS1_25lookback_scan_determinismE0ELb1ELb1ES3_N6thrust23THRUST_200600_302600_NS6detail15normal_iteratorINS9_10device_ptrIsEEEESE_sNS9_4plusIsEEsEEDaPvRmT3_T4_T5_mT6_P12ihipStream_tbENKUlT_T0_E_clISt17integral_constantIbLb1EEST_IbLb0EEEEDaSP_SQ_EUlSP_E_NS1_11comp_targetILNS1_3genE4ELNS1_11target_archE910ELNS1_3gpuE8ELNS1_3repE0EEENS1_30default_config_static_selectorELNS0_4arch9wavefront6targetE1EEEvT1_,"axG",@progbits,_ZN7rocprim17ROCPRIM_400000_NS6detail17trampoline_kernelINS0_14default_configENS1_20scan_config_selectorIsEEZZNS1_9scan_implILNS1_25lookback_scan_determinismE0ELb1ELb1ES3_N6thrust23THRUST_200600_302600_NS6detail15normal_iteratorINS9_10device_ptrIsEEEESE_sNS9_4plusIsEEsEEDaPvRmT3_T4_T5_mT6_P12ihipStream_tbENKUlT_T0_E_clISt17integral_constantIbLb1EEST_IbLb0EEEEDaSP_SQ_EUlSP_E_NS1_11comp_targetILNS1_3genE4ELNS1_11target_archE910ELNS1_3gpuE8ELNS1_3repE0EEENS1_30default_config_static_selectorELNS0_4arch9wavefront6targetE1EEEvT1_,comdat
	.protected	_ZN7rocprim17ROCPRIM_400000_NS6detail17trampoline_kernelINS0_14default_configENS1_20scan_config_selectorIsEEZZNS1_9scan_implILNS1_25lookback_scan_determinismE0ELb1ELb1ES3_N6thrust23THRUST_200600_302600_NS6detail15normal_iteratorINS9_10device_ptrIsEEEESE_sNS9_4plusIsEEsEEDaPvRmT3_T4_T5_mT6_P12ihipStream_tbENKUlT_T0_E_clISt17integral_constantIbLb1EEST_IbLb0EEEEDaSP_SQ_EUlSP_E_NS1_11comp_targetILNS1_3genE4ELNS1_11target_archE910ELNS1_3gpuE8ELNS1_3repE0EEENS1_30default_config_static_selectorELNS0_4arch9wavefront6targetE1EEEvT1_ ; -- Begin function _ZN7rocprim17ROCPRIM_400000_NS6detail17trampoline_kernelINS0_14default_configENS1_20scan_config_selectorIsEEZZNS1_9scan_implILNS1_25lookback_scan_determinismE0ELb1ELb1ES3_N6thrust23THRUST_200600_302600_NS6detail15normal_iteratorINS9_10device_ptrIsEEEESE_sNS9_4plusIsEEsEEDaPvRmT3_T4_T5_mT6_P12ihipStream_tbENKUlT_T0_E_clISt17integral_constantIbLb1EEST_IbLb0EEEEDaSP_SQ_EUlSP_E_NS1_11comp_targetILNS1_3genE4ELNS1_11target_archE910ELNS1_3gpuE8ELNS1_3repE0EEENS1_30default_config_static_selectorELNS0_4arch9wavefront6targetE1EEEvT1_
	.globl	_ZN7rocprim17ROCPRIM_400000_NS6detail17trampoline_kernelINS0_14default_configENS1_20scan_config_selectorIsEEZZNS1_9scan_implILNS1_25lookback_scan_determinismE0ELb1ELb1ES3_N6thrust23THRUST_200600_302600_NS6detail15normal_iteratorINS9_10device_ptrIsEEEESE_sNS9_4plusIsEEsEEDaPvRmT3_T4_T5_mT6_P12ihipStream_tbENKUlT_T0_E_clISt17integral_constantIbLb1EEST_IbLb0EEEEDaSP_SQ_EUlSP_E_NS1_11comp_targetILNS1_3genE4ELNS1_11target_archE910ELNS1_3gpuE8ELNS1_3repE0EEENS1_30default_config_static_selectorELNS0_4arch9wavefront6targetE1EEEvT1_
	.p2align	8
	.type	_ZN7rocprim17ROCPRIM_400000_NS6detail17trampoline_kernelINS0_14default_configENS1_20scan_config_selectorIsEEZZNS1_9scan_implILNS1_25lookback_scan_determinismE0ELb1ELb1ES3_N6thrust23THRUST_200600_302600_NS6detail15normal_iteratorINS9_10device_ptrIsEEEESE_sNS9_4plusIsEEsEEDaPvRmT3_T4_T5_mT6_P12ihipStream_tbENKUlT_T0_E_clISt17integral_constantIbLb1EEST_IbLb0EEEEDaSP_SQ_EUlSP_E_NS1_11comp_targetILNS1_3genE4ELNS1_11target_archE910ELNS1_3gpuE8ELNS1_3repE0EEENS1_30default_config_static_selectorELNS0_4arch9wavefront6targetE1EEEvT1_,@function
_ZN7rocprim17ROCPRIM_400000_NS6detail17trampoline_kernelINS0_14default_configENS1_20scan_config_selectorIsEEZZNS1_9scan_implILNS1_25lookback_scan_determinismE0ELb1ELb1ES3_N6thrust23THRUST_200600_302600_NS6detail15normal_iteratorINS9_10device_ptrIsEEEESE_sNS9_4plusIsEEsEEDaPvRmT3_T4_T5_mT6_P12ihipStream_tbENKUlT_T0_E_clISt17integral_constantIbLb1EEST_IbLb0EEEEDaSP_SQ_EUlSP_E_NS1_11comp_targetILNS1_3genE4ELNS1_11target_archE910ELNS1_3gpuE8ELNS1_3repE0EEENS1_30default_config_static_selectorELNS0_4arch9wavefront6targetE1EEEvT1_: ; @_ZN7rocprim17ROCPRIM_400000_NS6detail17trampoline_kernelINS0_14default_configENS1_20scan_config_selectorIsEEZZNS1_9scan_implILNS1_25lookback_scan_determinismE0ELb1ELb1ES3_N6thrust23THRUST_200600_302600_NS6detail15normal_iteratorINS9_10device_ptrIsEEEESE_sNS9_4plusIsEEsEEDaPvRmT3_T4_T5_mT6_P12ihipStream_tbENKUlT_T0_E_clISt17integral_constantIbLb1EEST_IbLb0EEEEDaSP_SQ_EUlSP_E_NS1_11comp_targetILNS1_3genE4ELNS1_11target_archE910ELNS1_3gpuE8ELNS1_3repE0EEENS1_30default_config_static_selectorELNS0_4arch9wavefront6targetE1EEEvT1_
; %bb.0:
	s_load_dwordx8 s[12:19], s[4:5], 0x0
	s_load_dword s1, s[4:5], 0x30
	s_mul_i32 s0, s6, 0x600
	v_lshlrev_b32_e32 v20, 1, v0
	s_waitcnt lgkmcnt(0)
	s_lshl_b64 s[22:23], s[14:15], 1
	s_add_u32 s27, s12, s22
	s_addc_u32 s28, s13, s23
	s_add_i32 s2, s1, -1
	s_mul_i32 s3, s2, 0x600
	s_sub_u32 s7, s18, s3
	s_subb_u32 s26, s19, 0
	s_mov_b32 s1, 0
	s_cmp_lg_u32 s6, s2
	s_cselect_b64 s[18:19], -1, 0
	s_lshl_b64 s[20:21], s[0:1], 1
	s_add_u32 s2, s27, s20
	s_addc_u32 s3, s28, s21
	s_mov_b64 s[0:1], -1
	s_and_b64 vcc, exec, s[18:19]
	s_cbranch_vccz .LBB1233_2
; %bb.1:
	v_mov_b32_e32 v1, s3
	v_add_co_u32_e32 v2, vcc, s2, v20
	v_addc_co_u32_e32 v3, vcc, 0, v1, vcc
	flat_load_ushort v1, v[2:3]
	flat_load_ushort v4, v[2:3] offset:128
	flat_load_ushort v5, v[2:3] offset:256
	;; [unrolled: 1-line block ×23, first 2 shown]
	s_mov_b64 s[0:1], 0
	s_waitcnt vmcnt(0) lgkmcnt(0)
	ds_write_b16 v20, v1
	ds_write_b16 v20, v4 offset:128
	ds_write_b16 v20, v5 offset:256
	;; [unrolled: 1-line block ×23, first 2 shown]
	s_waitcnt lgkmcnt(0)
	; wave barrier
.LBB1233_2:
	s_load_dwordx2 s[24:25], s[4:5], 0x28
	s_andn2_b64 vcc, exec, s[0:1]
	v_cmp_gt_u32_e64 s[0:1], s7, v0
	s_cbranch_vccnz .LBB1233_52
; %bb.3:
	v_pk_mov_b32 v[2:3], s[2:3], s[2:3] op_sel:[0,1]
	flat_load_ushort v1, v[2:3]
	s_waitcnt vmcnt(0) lgkmcnt(0)
	v_mov_b32_e32 v2, v1
	s_and_saveexec_b64 s[8:9], s[0:1]
	s_cbranch_execz .LBB1233_5
; %bb.4:
	v_mov_b32_e32 v3, s3
	v_add_co_u32_e32 v2, vcc, s2, v20
	v_addc_co_u32_e32 v3, vcc, 0, v3, vcc
	flat_load_ushort v2, v[2:3]
.LBB1233_5:
	s_or_b64 exec, exec, s[8:9]
	v_or_b32_e32 v3, 64, v0
	v_cmp_gt_u32_e32 vcc, s7, v3
	v_mov_b32_e32 v3, v1
	s_and_saveexec_b64 s[0:1], vcc
	s_cbranch_execz .LBB1233_7
; %bb.6:
	v_mov_b32_e32 v3, s3
	v_add_co_u32_e32 v4, vcc, s2, v20
	v_addc_co_u32_e32 v5, vcc, 0, v3, vcc
	flat_load_ushort v3, v[4:5] offset:128
.LBB1233_7:
	s_or_b64 exec, exec, s[0:1]
	v_or_b32_e32 v4, 0x80, v0
	v_cmp_gt_u32_e32 vcc, s7, v4
	v_mov_b32_e32 v4, v1
	s_and_saveexec_b64 s[0:1], vcc
	s_cbranch_execz .LBB1233_9
; %bb.8:
	v_mov_b32_e32 v5, s3
	v_add_co_u32_e32 v4, vcc, s2, v20
	v_addc_co_u32_e32 v5, vcc, 0, v5, vcc
	flat_load_ushort v4, v[4:5] offset:256
.LBB1233_9:
	;; [unrolled: 12-line block ×22, first 2 shown]
	s_or_b64 exec, exec, s[0:1]
	v_or_b32_e32 v26, 0x5c0, v0
	v_cmp_gt_u32_e32 vcc, s7, v26
	s_and_saveexec_b64 s[0:1], vcc
	s_cbranch_execz .LBB1233_51
; %bb.50:
	v_mov_b32_e32 v1, s3
	v_add_co_u32_e32 v26, vcc, s2, v20
	v_addc_co_u32_e32 v27, vcc, 0, v1, vcc
	flat_load_ushort v1, v[26:27] offset:2944
.LBB1233_51:
	s_or_b64 exec, exec, s[0:1]
	s_waitcnt vmcnt(0) lgkmcnt(0)
	ds_write_b16 v20, v2
	ds_write_b16 v20, v3 offset:128
	ds_write_b16 v20, v4 offset:256
	;; [unrolled: 1-line block ×23, first 2 shown]
	s_waitcnt lgkmcnt(0)
	; wave barrier
.LBB1233_52:
	v_mul_u32_u24_e32 v21, 24, v0
	v_lshlrev_b32_e32 v1, 1, v21
	s_waitcnt lgkmcnt(0)
	ds_read_b128 v[10:13], v1
	ds_read_b128 v[6:9], v1 offset:16
	ds_read_b128 v[2:5], v1 offset:32
	s_cmp_lg_u32 s6, 0
	v_mbcnt_lo_u32_b32 v22, -1, 0
	s_waitcnt lgkmcnt(2)
	v_add_u16_sdwa v14, v10, v10 dst_sel:DWORD dst_unused:UNUSED_PAD src0_sel:WORD_1 src1_sel:DWORD
	v_add_u16_e32 v23, v14, v11
	v_cmp_eq_u32_e32 vcc, 63, v0
	s_waitcnt lgkmcnt(0)
	; wave barrier
	s_waitcnt lgkmcnt(0)
	s_cbranch_scc0 .LBB1233_79
; %bb.53:
	v_add_u16_sdwa v14, v23, v11 dst_sel:DWORD dst_unused:UNUSED_PAD src0_sel:DWORD src1_sel:WORD_1
	v_add_u16_e32 v14, v14, v12
	v_add_u16_sdwa v14, v14, v12 dst_sel:DWORD dst_unused:UNUSED_PAD src0_sel:DWORD src1_sel:WORD_1
	v_add_u16_e32 v14, v14, v13
	;; [unrolled: 2-line block ×10, first 2 shown]
	v_mbcnt_hi_u32_b32 v15, -1, v22
	v_add_u16_sdwa v14, v14, v5 dst_sel:DWORD dst_unused:UNUSED_PAD src0_sel:DWORD src1_sel:WORD_1
	v_and_b32_e32 v16, 15, v15
	v_cmp_ne_u32_e64 s[0:1], 0, v16
	v_mov_b32_dpp v17, v14 row_shr:1 row_mask:0xf bank_mask:0xf
	v_cndmask_b32_e64 v17, 0, v17, s[0:1]
	v_add_u16_e32 v14, v17, v14
	v_cmp_lt_u32_e64 s[0:1], 1, v16
	s_nop 0
	v_mov_b32_dpp v17, v14 row_shr:2 row_mask:0xf bank_mask:0xf
	v_cndmask_b32_e64 v17, 0, v17, s[0:1]
	v_add_u16_e32 v14, v14, v17
	v_cmp_lt_u32_e64 s[0:1], 3, v16
	s_nop 0
	;; [unrolled: 5-line block ×3, first 2 shown]
	v_mov_b32_dpp v17, v14 row_shr:8 row_mask:0xf bank_mask:0xf
	v_cndmask_b32_e64 v16, 0, v17, s[0:1]
	v_add_u16_e32 v14, v14, v16
	v_and_b32_e32 v17, 16, v15
	v_cmp_ne_u32_e64 s[0:1], 0, v17
	v_mov_b32_dpp v16, v14 row_bcast:15 row_mask:0xf bank_mask:0xf
	v_cndmask_b32_e64 v16, 0, v16, s[0:1]
	v_add_u16_e32 v14, v14, v16
	v_cmp_lt_u32_e64 s[0:1], 31, v15
	s_nop 0
	v_mov_b32_dpp v16, v14 row_bcast:31 row_mask:0xf bank_mask:0xf
	v_cndmask_b32_e64 v16, 0, v16, s[0:1]
	v_add_u16_e32 v14, v14, v16
	s_and_saveexec_b64 s[0:1], vcc
	s_cbranch_execz .LBB1233_55
; %bb.54:
	v_mov_b32_e32 v16, 0
	ds_write_b16 v16, v14
.LBB1233_55:
	s_or_b64 exec, exec, s[0:1]
	v_add_u32_e32 v16, -1, v15
	v_and_b32_e32 v17, 64, v15
	v_cmp_lt_i32_e32 vcc, v16, v17
	v_cndmask_b32_e32 v16, v16, v15, vcc
	v_lshlrev_b32_e32 v16, 2, v16
	ds_bpermute_b32 v24, v16, v14
	v_cmp_gt_u32_e32 vcc, 64, v0
	s_waitcnt lgkmcnt(0)
	; wave barrier
	s_waitcnt lgkmcnt(0)
	s_and_saveexec_b64 s[10:11], vcc
	s_cbranch_execz .LBB1233_78
; %bb.56:
	v_mov_b32_e32 v19, 0
	ds_read_u16 v25, v19
	s_mov_b32 s9, 0
	v_cmp_eq_u32_e64 s[0:1], 0, v15
	s_and_saveexec_b64 s[2:3], s[0:1]
	s_cbranch_execz .LBB1233_58
; %bb.57:
	s_add_i32 s8, s6, 64
	s_lshl_b64 s[8:9], s[8:9], 2
	s_add_u32 s8, s24, s8
	s_waitcnt lgkmcnt(0)
	v_or_b32_e32 v14, 0x10000, v25
	s_addc_u32 s9, s25, s9
	global_store_dword v19, v14, s[8:9]
.LBB1233_58:
	s_or_b64 exec, exec, s[2:3]
	v_xad_u32 v14, v15, -1, s6
	v_add_u32_e32 v18, 64, v14
	v_lshlrev_b64 v[16:17], 2, v[18:19]
	v_mov_b32_e32 v18, s25
	v_add_co_u32_e32 v16, vcc, s24, v16
	v_addc_co_u32_e32 v17, vcc, v18, v17, vcc
	global_load_dword v18, v[16:17], off glc
	s_waitcnt vmcnt(0)
	v_lshrrev_b32_e32 v29, 16, v18
	v_cmp_eq_u16_sdwa s[8:9], v29, v19 src0_sel:BYTE_0 src1_sel:DWORD
	s_and_saveexec_b64 s[2:3], s[8:9]
	s_cbranch_execz .LBB1233_64
; %bb.59:
	s_mov_b32 s12, 1
	s_mov_b64 s[8:9], 0
	v_mov_b32_e32 v19, 0
.LBB1233_60:                            ; =>This Loop Header: Depth=1
                                        ;     Child Loop BB1233_61 Depth 2
	s_max_u32 s13, s12, 1
.LBB1233_61:                            ;   Parent Loop BB1233_60 Depth=1
                                        ; =>  This Inner Loop Header: Depth=2
	s_add_i32 s13, s13, -1
	s_cmp_eq_u32 s13, 0
	s_sleep 1
	s_cbranch_scc0 .LBB1233_61
; %bb.62:                               ;   in Loop: Header=BB1233_60 Depth=1
	global_load_dword v18, v[16:17], off glc
	s_cmp_lt_u32 s12, 32
	s_cselect_b64 s[14:15], -1, 0
	s_cmp_lg_u64 s[14:15], 0
	s_addc_u32 s12, s12, 0
	s_waitcnt vmcnt(0)
	v_lshrrev_b32_e32 v29, 16, v18
	v_cmp_ne_u16_sdwa s[14:15], v29, v19 src0_sel:BYTE_0 src1_sel:DWORD
	s_or_b64 s[8:9], s[14:15], s[8:9]
	s_andn2_b64 exec, exec, s[8:9]
	s_cbranch_execnz .LBB1233_60
; %bb.63:
	s_or_b64 exec, exec, s[8:9]
.LBB1233_64:
	s_or_b64 exec, exec, s[2:3]
	v_and_b32_e32 v27, 63, v15
	v_cmp_ne_u32_e32 vcc, 63, v27
	v_mov_b32_e32 v26, 2
	v_addc_co_u32_e32 v28, vcc, 0, v15, vcc
	v_cmp_eq_u16_sdwa s[2:3], v29, v26 src0_sel:BYTE_0 src1_sel:DWORD
	v_lshlrev_b64 v[16:17], v15, -1
	v_and_b32_e32 v31, 0xffff, v18
	v_lshlrev_b32_e32 v28, 2, v28
	v_and_b32_e32 v19, s3, v17
	ds_bpermute_b32 v32, v28, v31
	v_or_b32_e32 v19, 0x80000000, v19
	v_and_b32_e32 v30, s2, v16
	v_ffbl_b32_e32 v19, v19
	v_add_u32_e32 v19, 32, v19
	v_ffbl_b32_e32 v30, v30
	v_cmp_gt_u32_e64 s[2:3], 62, v27
	v_min_u32_e32 v19, v30, v19
	v_cndmask_b32_e64 v30, 0, 1, s[2:3]
	s_waitcnt lgkmcnt(0)
	v_add_u16_e32 v32, v32, v18
	v_cmp_lt_u32_e32 vcc, v27, v19
	v_lshlrev_b32_e32 v30, 1, v30
	v_cndmask_b32_e32 v33, v31, v32, vcc
	v_add_lshl_u32 v30, v30, v15, 2
	ds_bpermute_b32 v34, v30, v33
	v_cmp_gt_u32_e64 s[8:9], 60, v27
	v_cndmask_b32_e32 v35, v18, v32, vcc
	v_add_u32_e32 v31, 2, v27
	v_cndmask_b32_e64 v32, 0, 1, s[8:9]
	s_waitcnt lgkmcnt(0)
	v_add_u16_e32 v34, v35, v34
	v_cmp_gt_u32_e64 s[2:3], v31, v19
	v_lshlrev_b32_e32 v32, 2, v32
	v_cndmask_b32_e64 v36, v34, v33, s[2:3]
	v_add_lshl_u32 v32, v32, v15, 2
	ds_bpermute_b32 v37, v32, v36
	v_cmp_gt_u32_e64 s[8:9], 56, v27
	v_cndmask_b32_e64 v35, v34, v35, s[2:3]
	v_add_u32_e32 v33, 4, v27
	v_cndmask_b32_e64 v34, 0, 1, s[8:9]
	s_waitcnt lgkmcnt(0)
	v_add_u16_e32 v37, v35, v37
	v_cmp_gt_u32_e64 s[2:3], v33, v19
	v_lshlrev_b32_e32 v34, 3, v34
	v_cndmask_b32_e64 v36, v37, v36, s[2:3]
	v_add_lshl_u32 v34, v34, v15, 2
	ds_bpermute_b32 v38, v34, v36
	v_cndmask_b32_e64 v37, v37, v35, s[2:3]
	v_add_u32_e32 v35, 8, v27
	v_cmp_gt_u32_e64 s[2:3], v35, v19
	v_cmp_gt_u32_e64 s[8:9], 48, v27
	s_waitcnt lgkmcnt(0)
	v_add_u16_e32 v38, v37, v38
	v_cndmask_b32_e64 v39, v38, v36, s[2:3]
	v_cndmask_b32_e64 v36, 0, 1, s[8:9]
	v_lshlrev_b32_e32 v36, 4, v36
	v_add_lshl_u32 v36, v36, v15, 2
	ds_bpermute_b32 v40, v36, v39
	v_cndmask_b32_e64 v38, v38, v37, s[2:3]
	v_add_u32_e32 v37, 16, v27
	v_cmp_gt_u32_e64 s[2:3], v37, v19
	v_cmp_gt_u32_e64 s[8:9], 32, v27
	s_waitcnt lgkmcnt(0)
	v_add_u16_e32 v41, v38, v40
	v_cndmask_b32_e64 v40, v41, v39, s[2:3]
	v_cndmask_b32_e64 v39, 0, 1, s[8:9]
	v_lshlrev_b32_e32 v39, 5, v39
	v_add_lshl_u32 v39, v39, v15, 2
	ds_bpermute_b32 v15, v39, v40
	v_add_u32_e32 v40, 32, v27
	v_cndmask_b32_e64 v38, v41, v38, s[2:3]
	v_cmp_le_u32_e64 s[2:3], v40, v19
	s_waitcnt lgkmcnt(0)
	v_cndmask_b32_e64 v15, 0, v15, s[2:3]
	v_add_u16_e32 v15, v38, v15
	v_cndmask_b32_e32 v18, v18, v15, vcc
	v_mov_b32_e32 v15, 0
	s_branch .LBB1233_66
.LBB1233_65:                            ;   in Loop: Header=BB1233_66 Depth=1
	s_or_b64 exec, exec, s[2:3]
	v_cmp_eq_u16_sdwa s[2:3], v29, v26 src0_sel:BYTE_0 src1_sel:DWORD
	v_and_b32_e32 v42, 0xffff, v41
	v_and_b32_e32 v18, s3, v17
	ds_bpermute_b32 v43, v28, v42
	v_or_b32_e32 v18, 0x80000000, v18
	v_and_b32_e32 v19, s2, v16
	v_ffbl_b32_e32 v18, v18
	v_add_u32_e32 v18, 32, v18
	v_ffbl_b32_e32 v19, v19
	v_min_u32_e32 v18, v19, v18
	s_waitcnt lgkmcnt(0)
	v_add_u16_e32 v19, v43, v41
	v_cmp_lt_u32_e32 vcc, v27, v18
	v_cndmask_b32_e32 v42, v42, v19, vcc
	ds_bpermute_b32 v43, v30, v42
	v_cndmask_b32_e32 v19, v41, v19, vcc
	v_cmp_gt_u32_e64 s[2:3], v31, v18
	v_subrev_u32_e32 v14, 64, v14
	s_waitcnt lgkmcnt(0)
	v_add_u16_e32 v43, v19, v43
	v_cndmask_b32_e64 v42, v43, v42, s[2:3]
	ds_bpermute_b32 v44, v32, v42
	v_cndmask_b32_e64 v19, v43, v19, s[2:3]
	v_cmp_gt_u32_e64 s[2:3], v33, v18
	s_waitcnt lgkmcnt(0)
	v_add_u16_e32 v43, v19, v44
	v_cndmask_b32_e64 v42, v43, v42, s[2:3]
	ds_bpermute_b32 v44, v34, v42
	v_cndmask_b32_e64 v19, v43, v19, s[2:3]
	v_cmp_gt_u32_e64 s[2:3], v35, v18
	;; [unrolled: 6-line block ×3, first 2 shown]
	s_waitcnt lgkmcnt(0)
	v_add_u16_e32 v43, v19, v44
	v_cndmask_b32_e64 v42, v43, v42, s[2:3]
	ds_bpermute_b32 v42, v39, v42
	v_cndmask_b32_e64 v19, v43, v19, s[2:3]
	v_cmp_le_u32_e64 s[2:3], v40, v18
	s_waitcnt lgkmcnt(0)
	v_cndmask_b32_e64 v18, 0, v42, s[2:3]
	v_add_u16_e32 v18, v19, v18
	v_cndmask_b32_e32 v18, v41, v18, vcc
	v_add_u16_e32 v18, v18, v38
.LBB1233_66:                            ; =>This Loop Header: Depth=1
                                        ;     Child Loop BB1233_69 Depth 2
                                        ;       Child Loop BB1233_70 Depth 3
	v_cmp_ne_u16_sdwa s[2:3], v29, v26 src0_sel:BYTE_0 src1_sel:DWORD
	v_cndmask_b32_e64 v19, 0, 1, s[2:3]
	;;#ASMSTART
	;;#ASMEND
	v_cmp_ne_u32_e32 vcc, 0, v19
	s_cmp_lg_u64 vcc, exec
	v_mov_b32_e32 v38, v18
	s_cbranch_scc1 .LBB1233_73
; %bb.67:                               ;   in Loop: Header=BB1233_66 Depth=1
	v_lshlrev_b64 v[18:19], 2, v[14:15]
	v_mov_b32_e32 v29, s25
	v_add_co_u32_e32 v18, vcc, s24, v18
	v_addc_co_u32_e32 v19, vcc, v29, v19, vcc
	global_load_dword v41, v[18:19], off glc
	s_waitcnt vmcnt(0)
	v_lshrrev_b32_e32 v29, 16, v41
	v_cmp_eq_u16_sdwa s[8:9], v29, v15 src0_sel:BYTE_0 src1_sel:DWORD
	s_and_saveexec_b64 s[2:3], s[8:9]
	s_cbranch_execz .LBB1233_65
; %bb.68:                               ;   in Loop: Header=BB1233_66 Depth=1
	s_mov_b32 s12, 1
	s_mov_b64 s[8:9], 0
.LBB1233_69:                            ;   Parent Loop BB1233_66 Depth=1
                                        ; =>  This Loop Header: Depth=2
                                        ;       Child Loop BB1233_70 Depth 3
	s_max_u32 s13, s12, 1
.LBB1233_70:                            ;   Parent Loop BB1233_66 Depth=1
                                        ;     Parent Loop BB1233_69 Depth=2
                                        ; =>    This Inner Loop Header: Depth=3
	s_add_i32 s13, s13, -1
	s_cmp_eq_u32 s13, 0
	s_sleep 1
	s_cbranch_scc0 .LBB1233_70
; %bb.71:                               ;   in Loop: Header=BB1233_69 Depth=2
	global_load_dword v41, v[18:19], off glc
	s_cmp_lt_u32 s12, 32
	s_cselect_b64 s[14:15], -1, 0
	s_cmp_lg_u64 s[14:15], 0
	s_addc_u32 s12, s12, 0
	s_waitcnt vmcnt(0)
	v_lshrrev_b32_e32 v29, 16, v41
	v_cmp_ne_u16_sdwa s[14:15], v29, v15 src0_sel:BYTE_0 src1_sel:DWORD
	s_or_b64 s[8:9], s[14:15], s[8:9]
	s_andn2_b64 exec, exec, s[8:9]
	s_cbranch_execnz .LBB1233_69
; %bb.72:                               ;   in Loop: Header=BB1233_66 Depth=1
	s_or_b64 exec, exec, s[8:9]
	s_branch .LBB1233_65
.LBB1233_73:                            ;   in Loop: Header=BB1233_66 Depth=1
                                        ; implicit-def: $vgpr18
                                        ; implicit-def: $vgpr29
	s_cbranch_execz .LBB1233_66
; %bb.74:
	s_and_saveexec_b64 s[2:3], s[0:1]
	s_cbranch_execz .LBB1233_76
; %bb.75:
	s_add_i32 s0, s6, 64
	s_mov_b32 s1, 0
	s_lshl_b64 s[0:1], s[0:1], 2
	v_add_u16_e32 v14, v38, v25
	s_add_u32 s0, s24, s0
	v_or_b32_e32 v14, 0x20000, v14
	s_addc_u32 s1, s25, s1
	v_mov_b32_e32 v15, 0
	global_store_dword v15, v14, s[0:1]
.LBB1233_76:
	s_or_b64 exec, exec, s[2:3]
	v_cmp_eq_u32_e32 vcc, 0, v0
	s_and_b64 exec, exec, vcc
	s_cbranch_execz .LBB1233_78
; %bb.77:
	v_mov_b32_e32 v14, 0
	ds_write_b16 v14, v38
.LBB1233_78:
	s_or_b64 exec, exec, s[10:11]
	v_mov_b32_e32 v14, 0
	s_waitcnt lgkmcnt(0)
	; wave barrier
	s_waitcnt lgkmcnt(0)
	ds_read_u16 v14, v14
	v_cmp_ne_u32_e32 vcc, 0, v0
	v_cndmask_b32_e32 v15, 0, v24, vcc
	s_waitcnt lgkmcnt(0)
	v_add_u16_e32 v14, v14, v15
	s_load_dwordx8 s[8:15], s[4:5], 0x38
	s_branch .LBB1233_87
.LBB1233_79:
                                        ; implicit-def: $vgpr14
	s_load_dwordx8 s[8:15], s[4:5], 0x38
	s_cbranch_execz .LBB1233_87
; %bb.80:
	s_load_dword s0, s[4:5], 0x20
	s_waitcnt lgkmcnt(0)
	s_cmp_eq_u64 s[12:13], 0
	v_mov_b32_e32 v15, s0
	s_cbranch_scc1 .LBB1233_82
; %bb.81:
	v_mov_b32_e32 v15, s28
	v_add_co_u32_e64 v14, vcc, -2, s27
	v_addc_co_u32_e32 v15, vcc, -1, v15, vcc
	v_mov_b32_e32 v16, 0
	flat_load_ushort v17, v[14:15]
	global_load_ushort v18, v16, s[8:9]
	s_waitcnt vmcnt(0) lgkmcnt(0)
	v_add_u16_e32 v15, v18, v17
.LBB1233_82:
	v_add_u16_sdwa v14, v23, v11 dst_sel:DWORD dst_unused:UNUSED_PAD src0_sel:DWORD src1_sel:WORD_1
	v_add_u16_e32 v14, v14, v12
	v_add_u16_sdwa v14, v14, v12 dst_sel:DWORD dst_unused:UNUSED_PAD src0_sel:DWORD src1_sel:WORD_1
	v_add_u16_e32 v14, v14, v13
	;; [unrolled: 2-line block ×10, first 2 shown]
	v_add_u16_sdwa v16, v14, v5 dst_sel:DWORD dst_unused:UNUSED_PAD src0_sel:DWORD src1_sel:WORD_1
	v_mbcnt_hi_u32_b32 v14, -1, v22
	v_and_b32_e32 v17, 15, v14
	v_mov_b32_dpp v18, v16 row_shr:1 row_mask:0xf bank_mask:0xf
	v_cmp_ne_u32_e32 vcc, 0, v17
	v_cndmask_b32_e32 v18, 0, v18, vcc
	v_add_u16_e32 v16, v18, v16
	v_cmp_lt_u32_e32 vcc, 1, v17
	s_nop 0
	v_mov_b32_dpp v18, v16 row_shr:2 row_mask:0xf bank_mask:0xf
	v_cndmask_b32_e32 v18, 0, v18, vcc
	v_add_u16_e32 v16, v16, v18
	v_cmp_lt_u32_e32 vcc, 3, v17
	s_nop 0
	v_mov_b32_dpp v18, v16 row_shr:4 row_mask:0xf bank_mask:0xf
	;; [unrolled: 5-line block ×3, first 2 shown]
	v_cndmask_b32_e32 v17, 0, v18, vcc
	v_add_u16_e32 v16, v16, v17
	v_and_b32_e32 v18, 16, v14
	v_cmp_ne_u32_e32 vcc, 0, v18
	v_mov_b32_dpp v17, v16 row_bcast:15 row_mask:0xf bank_mask:0xf
	v_cndmask_b32_e32 v17, 0, v17, vcc
	v_add_u16_e32 v16, v16, v17
	v_cmp_lt_u32_e32 vcc, 31, v14
	s_nop 0
	v_mov_b32_dpp v17, v16 row_bcast:31 row_mask:0xf bank_mask:0xf
	v_cndmask_b32_e32 v17, 0, v17, vcc
	v_add_u16_e32 v16, v16, v17
	v_cmp_eq_u32_e32 vcc, 63, v0
	s_and_saveexec_b64 s[0:1], vcc
	s_cbranch_execz .LBB1233_84
; %bb.83:
	v_mov_b32_e32 v17, 0
	ds_write_b16 v17, v16
.LBB1233_84:
	s_or_b64 exec, exec, s[0:1]
	v_add_u32_e32 v17, -1, v14
	v_and_b32_e32 v18, 64, v14
	v_cmp_lt_i32_e32 vcc, v17, v18
	v_cndmask_b32_e32 v17, v17, v14, vcc
	v_add_u16_e32 v16, v16, v15
	v_lshlrev_b32_e32 v17, 2, v17
	ds_bpermute_b32 v16, v17, v16
	v_cmp_eq_u32_e32 vcc, 0, v14
	v_cmp_eq_u32_e64 s[0:1], 0, v0
	s_or_b64 vcc, s[0:1], vcc
	s_waitcnt lgkmcnt(0)
	v_cndmask_b32_e32 v14, v16, v15, vcc
	; wave barrier
	s_and_saveexec_b64 s[2:3], s[0:1]
	s_cbranch_execz .LBB1233_86
; %bb.85:
	v_mov_b32_e32 v14, 0
	ds_read_u16 v16, v14
	s_waitcnt lgkmcnt(0)
	v_add_u16_e32 v16, v16, v15
	v_or_b32_e32 v16, 0x20000, v16
	global_store_dword v14, v16, s[24:25] offset:256
	v_mov_b32_e32 v14, v15
.LBB1233_86:
	s_or_b64 exec, exec, s[2:3]
.LBB1233_87:
	v_add_u16_e32 v15, v14, v10
	v_add_u16_sdwa v16, v15, v10 dst_sel:DWORD dst_unused:UNUSED_PAD src0_sel:DWORD src1_sel:WORD_1
	v_add_u16_e32 v17, v16, v11
	v_add_u16_sdwa v19, v17, v11 dst_sel:DWORD dst_unused:UNUSED_PAD src0_sel:DWORD src1_sel:WORD_1
	;; [unrolled: 2-line block ×9, first 2 shown]
	v_add_u16_e32 v8, v2, v3
	s_add_u32 s0, s16, s22
	v_add_u16_sdwa v3, v8, v3 dst_sel:DWORD dst_unused:UNUSED_PAD src0_sel:DWORD src1_sel:WORD_1
	s_addc_u32 s1, s17, s23
	v_add_u16_e32 v9, v3, v4
	v_add_u16_sdwa v4, v9, v4 dst_sel:DWORD dst_unused:UNUSED_PAD src0_sel:DWORD src1_sel:WORD_1
	s_add_u32 s2, s0, s20
	v_add_u16_e32 v5, v4, v5
	s_addc_u32 s3, s1, s21
	s_mov_b64 s[0:1], -1
	s_and_b64 vcc, exec, s[18:19]
	s_waitcnt lgkmcnt(0)
	; wave barrier
	s_waitcnt lgkmcnt(0)
	s_cbranch_vccz .LBB1233_89
; %bb.88:
	s_mov_b32 s0, 0x5040100
	v_perm_b32 v31, v27, v25, s0
	v_perm_b32 v30, v23, v19, s0
	;; [unrolled: 1-line block ×4, first 2 shown]
	ds_write_b128 v1, v[28:31]
	v_perm_b32 v31, v26, v24, s0
	v_perm_b32 v30, v22, v18, s0
	;; [unrolled: 1-line block ×4, first 2 shown]
	ds_write_b128 v1, v[28:31] offset:16
	v_perm_b32 v31, v5, v4, s0
	v_perm_b32 v30, v9, v3, s0
	;; [unrolled: 1-line block ×4, first 2 shown]
	ds_write_b128 v1, v[28:31] offset:32
	s_waitcnt lgkmcnt(0)
	; wave barrier
	s_waitcnt lgkmcnt(0)
	ds_read_u16 v30, v20
	ds_read_u16 v31, v20 offset:128
	ds_read_u16 v32, v20 offset:256
	;; [unrolled: 1-line block ×23, first 2 shown]
	v_mov_b32_e32 v29, s3
	v_add_co_u32_e32 v28, vcc, s2, v20
	v_addc_co_u32_e32 v29, vcc, 0, v29, vcc
	s_waitcnt lgkmcnt(14)
	flat_store_short v[28:29], v30
	flat_store_short v[28:29], v31 offset:128
	flat_store_short v[28:29], v32 offset:256
	;; [unrolled: 1-line block ×9, first 2 shown]
	s_waitcnt lgkmcnt(0)
	flat_store_short v[28:29], v40 offset:1280
	flat_store_short v[28:29], v41 offset:1408
	;; [unrolled: 1-line block ×14, first 2 shown]
	s_mov_b64 s[0:1], 0
.LBB1233_89:
	s_andn2_b64 vcc, exec, s[0:1]
	s_cbranch_vccnz .LBB1233_146
; %bb.90:
	s_mov_b32 s0, 0x5040100
	v_perm_b32 v31, v27, v25, s0
	v_perm_b32 v30, v23, v19, s0
	;; [unrolled: 1-line block ×12, first 2 shown]
	ds_write_b128 v1, v[28:31]
	ds_write_b128 v1, v[12:15] offset:16
	ds_write_b128 v1, v[2:5] offset:32
	s_waitcnt lgkmcnt(0)
	; wave barrier
	s_waitcnt lgkmcnt(0)
	ds_read_u16 v5, v20
	ds_read_u16 v4, v20 offset:128
	ds_read_u16 v7, v20 offset:256
	ds_read_u16 v8, v20 offset:384
	ds_read_u16 v6, v20 offset:512
	ds_read_u16 v9, v20 offset:640
	ds_read_u16 v17, v20 offset:768
	ds_read_u16 v15, v20 offset:896
	ds_read_u16 v16, v20 offset:1024
	ds_read_u16 v25, v20 offset:1152
	ds_read_u16 v22, v20 offset:1280
	ds_read_u16 v19, v20 offset:1408
	ds_read_u16 v18, v20 offset:1536
	ds_read_u16 v13, v20 offset:1664
	ds_read_u16 v14, v20 offset:1792
	ds_read_u16 v10, v20 offset:1920
	ds_read_u16 v24, v20 offset:2048
	ds_read_u16 v27, v20 offset:2176
	ds_read_u16 v26, v20 offset:2304
	ds_read_u16 v23, v20 offset:2432
	ds_read_u16 v12, v20 offset:2560
	ds_read_u16 v11, v20 offset:2688
	ds_read_u16 v28, v20 offset:2816
	ds_read_u16 v29, v20 offset:2944
	v_mov_b32_e32 v3, s3
	v_add_co_u32_e32 v2, vcc, s2, v20
	v_addc_co_u32_e32 v3, vcc, 0, v3, vcc
	v_mov_b32_e32 v1, 0
	v_cmp_gt_u32_e32 vcc, s7, v0
	s_and_saveexec_b64 s[0:1], vcc
	s_cbranch_execz .LBB1233_92
; %bb.91:
	s_waitcnt lgkmcnt(0)
	flat_store_short v[2:3], v5
.LBB1233_92:
	s_or_b64 exec, exec, s[0:1]
	v_or_b32_e32 v20, 64, v0
	v_cmp_gt_u32_e32 vcc, s7, v20
	s_and_saveexec_b64 s[0:1], vcc
	s_cbranch_execz .LBB1233_94
; %bb.93:
	s_waitcnt lgkmcnt(0)
	flat_store_short v[2:3], v4 offset:128
.LBB1233_94:
	s_or_b64 exec, exec, s[0:1]
	v_or_b32_e32 v20, 0x80, v0
	v_cmp_gt_u32_e32 vcc, s7, v20
	s_and_saveexec_b64 s[0:1], vcc
	s_cbranch_execz .LBB1233_96
; %bb.95:
	s_waitcnt lgkmcnt(0)
	flat_store_short v[2:3], v7 offset:256
.LBB1233_96:
	;; [unrolled: 9-line block ×23, first 2 shown]
	s_or_b64 exec, exec, s[0:1]
	v_cmp_lt_u64_e64 s[0:1], s[14:15], 2
	s_and_b64 vcc, exec, s[0:1]
	s_cbranch_vccnz .LBB1233_146
; %bb.139:
	s_add_u32 s0, s7, -1
	s_addc_u32 s1, s26, -1
	s_add_u32 s2, 0, 0xaaaa0000
	s_addc_u32 s3, 0, 42
	s_add_i32 s3, s3, 0xaaaaa80
	s_mul_hi_u32 s7, s2, 0xffffffe8
	s_sub_i32 s7, s7, s2
	s_mul_i32 s8, s3, 0xffffffe8
	s_mul_i32 s4, s2, 0xffffffe8
	s_add_i32 s7, s7, s8
	s_mul_hi_u32 s5, s3, s4
	s_mul_i32 s6, s3, s4
	s_mul_i32 s9, s2, s7
	s_mul_hi_u32 s4, s2, s4
	s_mul_hi_u32 s8, s2, s7
	s_add_u32 s4, s4, s9
	s_addc_u32 s8, 0, s8
	s_add_u32 s4, s4, s6
	s_mul_hi_u32 s9, s3, s7
	s_addc_u32 s4, s8, s5
	s_addc_u32 s5, s9, 0
	s_mul_i32 s6, s3, s7
	s_add_u32 s4, s4, s6
	v_mov_b32_e32 v2, s4
	s_addc_u32 s5, 0, s5
	v_add_co_u32_e32 v2, vcc, s2, v2
	s_cmp_lg_u64 vcc, 0
	s_addc_u32 s2, s3, s5
	v_readfirstlane_b32 s5, v2
	s_mul_i32 s4, s0, s2
	s_mul_hi_u32 s6, s0, s5
	s_mul_hi_u32 s3, s0, s2
	s_add_u32 s4, s6, s4
	s_addc_u32 s3, 0, s3
	s_mul_hi_u32 s7, s1, s5
	s_mul_i32 s5, s1, s5
	s_add_u32 s4, s4, s5
	s_mul_hi_u32 s6, s1, s2
	s_addc_u32 s3, s3, s7
	s_addc_u32 s4, s6, 0
	s_mul_i32 s2, s1, s2
	s_add_u32 s2, s3, s2
	s_addc_u32 s3, 0, s4
	s_add_u32 s4, s2, 1
	s_addc_u32 s5, s3, 0
	s_add_u32 s6, s2, 2
	s_mul_i32 s8, s3, 24
	s_mul_hi_u32 s9, s2, 24
	s_addc_u32 s7, s3, 0
	s_add_i32 s9, s9, s8
	s_mul_i32 s8, s2, 24
	v_mov_b32_e32 v2, s8
	v_sub_co_u32_e32 v2, vcc, s0, v2
	s_cmp_lg_u64 vcc, 0
	s_subb_u32 s8, s1, s9
	v_subrev_co_u32_e32 v3, vcc, 24, v2
	s_cmp_lg_u64 vcc, 0
	s_subb_u32 s9, s8, 0
	v_readfirstlane_b32 s12, v3
	s_cmp_gt_u32 s12, 23
	s_cselect_b32 s12, -1, 0
	s_cmp_eq_u32 s9, 0
	s_cselect_b32 s9, s12, -1
	s_cmp_lg_u32 s9, 0
	s_cselect_b32 s4, s6, s4
	v_readfirstlane_b32 s6, v2
	s_cselect_b32 s5, s7, s5
	s_cmp_gt_u32 s6, 23
	s_cselect_b32 s6, -1, 0
	s_cmp_eq_u32 s8, 0
	s_cselect_b32 s6, s6, -1
	s_cmp_lg_u32 s6, 0
	s_cselect_b32 s3, s5, s3
	s_cselect_b32 s2, s4, s2
	v_cmp_eq_u64_e32 vcc, s[2:3], v[0:1]
	s_and_saveexec_b64 s[2:3], vcc
	s_cbranch_execz .LBB1233_146
; %bb.140:
	v_mul_hi_u32_u24_e32 v1, 24, v0
	v_mov_b32_e32 v2, s1
	v_sub_co_u32_e32 v0, vcc, s0, v21
	v_subb_co_u32_e32 v1, vcc, v2, v1, vcc
	v_cmp_lt_i64_e32 vcc, 11, v[0:1]
	s_mov_b64 s[0:1], 0
	s_mov_b64 s[8:9], 0
	;; [unrolled: 1-line block ×4, first 2 shown]
	s_and_saveexec_b64 s[2:3], vcc
	s_xor_b64 s[2:3], exec, s[2:3]
	s_cbranch_execnz .LBB1233_147
; %bb.141:
	s_andn2_saveexec_b64 s[2:3], s[2:3]
	s_cbranch_execnz .LBB1233_192
.LBB1233_142:
	s_or_b64 exec, exec, s[2:3]
	s_and_saveexec_b64 s[2:3], s[8:9]
	s_cbranch_execnz .LBB1233_209
.LBB1233_143:
	s_or_b64 exec, exec, s[2:3]
	s_and_saveexec_b64 s[2:3], s[6:7]
	s_cbranch_execnz .LBB1233_210
.LBB1233_144:
	s_or_b64 exec, exec, s[2:3]
	s_and_saveexec_b64 s[2:3], s[4:5]
	s_xor_b64 s[2:3], exec, s[2:3]
	s_cbranch_execnz .LBB1233_211
.LBB1233_145:
	s_or_b64 exec, exec, s[2:3]
	s_and_b64 exec, exec, s[0:1]
	s_cbranch_execnz .LBB1233_212
.LBB1233_146:
	s_endpgm
.LBB1233_147:
	v_cmp_lt_i64_e32 vcc, 17, v[0:1]
	s_and_saveexec_b64 s[12:13], vcc
	s_xor_b64 s[12:13], exec, s[12:13]
	s_cbranch_execz .LBB1233_169
; %bb.148:
	v_cmp_lt_i64_e32 vcc, 20, v[0:1]
                                        ; implicit-def: $vgpr10
	s_and_saveexec_b64 s[14:15], vcc
	s_xor_b64 s[14:15], exec, s[14:15]
	s_cbranch_execz .LBB1233_158
; %bb.149:
	v_cmp_lt_i64_e32 vcc, 21, v[0:1]
	s_mov_b64 s[16:17], 0
                                        ; implicit-def: $vgpr10
	s_and_saveexec_b64 s[4:5], vcc
	s_xor_b64 s[4:5], exec, s[4:5]
	s_cbranch_execz .LBB1233_155
; %bb.150:
	v_cmp_lt_i64_e32 vcc, 22, v[0:1]
	s_and_saveexec_b64 s[16:17], vcc
	s_xor_b64 s[16:17], exec, s[16:17]
	s_cbranch_execz .LBB1233_152
; %bb.151:
	v_mov_b32_e32 v2, 0
	s_waitcnt lgkmcnt(0)
	global_store_short v2, v29, s[10:11]
                                        ; implicit-def: $vgpr28
.LBB1233_152:
	s_or_saveexec_b64 s[16:17], s[16:17]
	s_mov_b64 s[18:19], 0
	s_xor_b64 exec, exec, s[16:17]
; %bb.153:
	s_mov_b64 s[18:19], exec
; %bb.154:
	s_or_b64 exec, exec, s[16:17]
	s_and_b64 s[16:17], s[18:19], exec
	s_waitcnt lgkmcnt(0)
	v_mov_b32_e32 v10, v28
                                        ; implicit-def: $vgpr11
.LBB1233_155:
	s_andn2_saveexec_b64 s[4:5], s[4:5]
; %bb.156:
	s_mov_b64 s[6:7], exec
                                        ; implicit-def: $vgpr10
; %bb.157:
	s_or_b64 exec, exec, s[4:5]
	s_and_b64 s[4:5], s[16:17], exec
	s_and_b64 s[6:7], s[6:7], exec
                                        ; implicit-def: $vgpr26
                                        ; implicit-def: $vgpr12
                                        ; implicit-def: $vgpr23
.LBB1233_158:
	s_andn2_saveexec_b64 s[14:15], s[14:15]
	s_cbranch_execz .LBB1233_168
; %bb.159:
	v_cmp_lt_i64_e32 vcc, 18, v[0:1]
	s_mov_b64 s[16:17], 0
	s_and_saveexec_b64 s[8:9], vcc
	s_xor_b64 s[8:9], exec, s[8:9]
	s_cbranch_execz .LBB1233_165
; %bb.160:
	v_cmp_lt_i64_e32 vcc, 19, v[0:1]
	s_and_saveexec_b64 s[18:19], vcc
	s_xor_b64 s[18:19], exec, s[18:19]
; %bb.161:
	s_mov_b64 s[16:17], exec
                                        ; implicit-def: $vgpr23
; %bb.162:
	s_andn2_saveexec_b64 s[18:19], s[18:19]
	s_cbranch_execz .LBB1233_164
; %bb.163:
	v_mov_b32_e32 v2, 0
	s_waitcnt lgkmcnt(0)
	global_store_short v2, v23, s[10:11]
                                        ; implicit-def: $vgpr12
.LBB1233_164:
	s_or_b64 exec, exec, s[18:19]
	s_and_b64 s[16:17], s[16:17], exec
                                        ; implicit-def: $vgpr26
.LBB1233_165:
	s_andn2_saveexec_b64 s[8:9], s[8:9]
	s_cbranch_execz .LBB1233_167
; %bb.166:
	v_mov_b32_e32 v2, 0
	s_waitcnt lgkmcnt(0)
	global_store_short v2, v26, s[10:11]
                                        ; implicit-def: $vgpr12
.LBB1233_167:
	s_or_b64 exec, exec, s[8:9]
	s_and_b64 s[8:9], s[16:17], exec
                                        ; implicit-def: $vgpr10
                                        ; implicit-def: $vgpr11
.LBB1233_168:
	s_or_b64 exec, exec, s[14:15]
	s_and_b64 s[4:5], s[4:5], exec
	s_and_b64 s[6:7], s[6:7], exec
	;; [unrolled: 1-line block ×3, first 2 shown]
                                        ; implicit-def: $vgpr18
                                        ; implicit-def: $vgpr13
                                        ; implicit-def: $vgpr14
                                        ; implicit-def: $vgpr24
                                        ; implicit-def: $vgpr27
.LBB1233_169:
	s_andn2_saveexec_b64 s[12:13], s[12:13]
	s_cbranch_execz .LBB1233_191
; %bb.170:
	v_cmp_lt_i64_e32 vcc, 14, v[0:1]
	s_mov_b64 s[14:15], s[4:5]
	s_and_saveexec_b64 s[16:17], vcc
	s_xor_b64 s[16:17], exec, s[16:17]
	s_cbranch_execz .LBB1233_180
; %bb.171:
	v_cmp_lt_i64_e32 vcc, 15, v[0:1]
	s_and_saveexec_b64 s[14:15], vcc
	s_xor_b64 s[14:15], exec, s[14:15]
	s_cbranch_execz .LBB1233_177
; %bb.172:
	v_cmp_lt_i64_e32 vcc, 16, v[0:1]
	s_and_saveexec_b64 s[18:19], vcc
	s_xor_b64 s[18:19], exec, s[18:19]
	s_cbranch_execz .LBB1233_174
; %bb.173:
	v_mov_b32_e32 v2, 0
	s_waitcnt lgkmcnt(0)
	global_store_short v2, v27, s[10:11]
                                        ; implicit-def: $vgpr24
.LBB1233_174:
	s_andn2_saveexec_b64 s[18:19], s[18:19]
	s_cbranch_execz .LBB1233_176
; %bb.175:
	v_mov_b32_e32 v2, 0
	s_waitcnt lgkmcnt(0)
	global_store_short v2, v24, s[10:11]
.LBB1233_176:
	s_or_b64 exec, exec, s[18:19]
                                        ; implicit-def: $vgpr10
.LBB1233_177:
	s_or_saveexec_b64 s[14:15], s[14:15]
	s_mov_b64 s[18:19], s[4:5]
	s_xor_b64 exec, exec, s[14:15]
; %bb.178:
	s_or_b64 s[18:19], s[4:5], exec
; %bb.179:
	s_or_b64 exec, exec, s[14:15]
	s_andn2_b64 s[14:15], s[4:5], exec
	s_and_b64 s[18:19], s[18:19], exec
	s_or_b64 s[14:15], s[14:15], s[18:19]
                                        ; implicit-def: $vgpr18
                                        ; implicit-def: $vgpr13
                                        ; implicit-def: $vgpr14
.LBB1233_180:
	s_or_saveexec_b64 s[16:17], s[16:17]
	s_mov_b64 s[18:19], s[6:7]
                                        ; implicit-def: $vgpr11
	s_xor_b64 exec, exec, s[16:17]
	s_cbranch_execz .LBB1233_190
; %bb.181:
	v_cmp_lt_i64_e32 vcc, 12, v[0:1]
	s_mov_b64 s[20:21], s[6:7]
	s_mov_b64 s[22:23], s[14:15]
                                        ; implicit-def: $vgpr10
                                        ; implicit-def: $vgpr11
	s_and_saveexec_b64 s[18:19], vcc
	s_xor_b64 s[18:19], exec, s[18:19]
	s_cbranch_execz .LBB1233_187
; %bb.182:
	v_cmp_lt_i64_e32 vcc, 13, v[0:1]
	s_mov_b64 s[20:21], s[14:15]
	s_and_saveexec_b64 s[22:23], vcc
	s_xor_b64 s[22:23], exec, s[22:23]
; %bb.183:
	s_or_b64 s[20:21], s[14:15], exec
                                        ; implicit-def: $vgpr13
; %bb.184:
	s_or_saveexec_b64 s[22:23], s[22:23]
	s_mov_b64 s[24:25], s[6:7]
	s_xor_b64 exec, exec, s[22:23]
; %bb.185:
	s_or_b64 s[24:25], s[6:7], exec
                                        ; implicit-def: $vgpr14
; %bb.186:
	s_or_b64 exec, exec, s[22:23]
	s_andn2_b64 s[22:23], s[14:15], exec
	s_and_b64 s[20:21], s[20:21], exec
	s_or_b64 s[22:23], s[22:23], s[20:21]
	s_andn2_b64 s[20:21], s[6:7], exec
	s_and_b64 s[24:25], s[24:25], exec
	s_or_b64 s[20:21], s[20:21], s[24:25]
	s_waitcnt lgkmcnt(0)
	v_mov_b32_e32 v10, v14
	v_mov_b32_e32 v11, v13
                                        ; implicit-def: $vgpr18
.LBB1233_187:
	s_andn2_saveexec_b64 s[18:19], s[18:19]
	s_cbranch_execz .LBB1233_189
; %bb.188:
	s_or_b64 s[20:21], s[20:21], exec
                                        ; implicit-def: $vgpr10
	s_waitcnt lgkmcnt(0)
	v_mov_b32_e32 v11, v18
.LBB1233_189:
	s_or_b64 exec, exec, s[18:19]
	s_andn2_b64 s[14:15], s[14:15], exec
	s_and_b64 s[18:19], s[22:23], exec
	s_or_b64 s[14:15], s[14:15], s[18:19]
	s_andn2_b64 s[18:19], s[6:7], exec
	s_and_b64 s[20:21], s[20:21], exec
	s_or_b64 s[18:19], s[18:19], s[20:21]
.LBB1233_190:
	s_or_b64 exec, exec, s[16:17]
	s_andn2_b64 s[4:5], s[4:5], exec
	s_and_b64 s[14:15], s[14:15], exec
	s_or_b64 s[4:5], s[4:5], s[14:15]
	s_andn2_b64 s[6:7], s[6:7], exec
	s_and_b64 s[14:15], s[18:19], exec
	s_or_b64 s[6:7], s[6:7], s[14:15]
                                        ; implicit-def: $vgpr12
.LBB1233_191:
	s_or_b64 exec, exec, s[12:13]
	s_and_b64 s[4:5], s[4:5], exec
	s_and_b64 s[6:7], s[6:7], exec
	;; [unrolled: 1-line block ×3, first 2 shown]
                                        ; implicit-def: $vgpr17
                                        ; implicit-def: $vgpr15
                                        ; implicit-def: $vgpr16
                                        ; implicit-def: $vgpr25
                                        ; implicit-def: $vgpr22
                                        ; implicit-def: $vgpr19
	s_andn2_saveexec_b64 s[2:3], s[2:3]
	s_cbranch_execz .LBB1233_142
.LBB1233_192:
	v_cmp_lt_i64_e32 vcc, 5, v[0:1]
	s_mov_b64 s[14:15], -1
	s_mov_b64 s[12:13], s[8:9]
	s_mov_b64 s[16:17], s[6:7]
	;; [unrolled: 1-line block ×3, first 2 shown]
                                        ; implicit-def: $vgpr10
                                        ; implicit-def: $vgpr11
                                        ; implicit-def: $vgpr12
	s_and_saveexec_b64 s[0:1], vcc
	s_cbranch_execz .LBB1233_208
; %bb.193:
	v_cmp_lt_i64_e32 vcc, 8, v[0:1]
	s_mov_b64 s[12:13], s[8:9]
                                        ; implicit-def: $vgpr12
	s_and_saveexec_b64 s[14:15], vcc
	s_xor_b64 s[14:15], exec, s[14:15]
	s_cbranch_execz .LBB1233_203
; %bb.194:
	v_cmp_lt_i64_e32 vcc, 9, v[0:1]
	s_and_saveexec_b64 s[12:13], vcc
	s_xor_b64 s[12:13], exec, s[12:13]
	s_cbranch_execz .LBB1233_200
; %bb.195:
	v_cmp_lt_i64_e32 vcc, 10, v[0:1]
	s_and_saveexec_b64 s[16:17], vcc
	s_xor_b64 s[16:17], exec, s[16:17]
; %bb.196:
                                        ; implicit-def: $vgpr22
; %bb.197:
	s_andn2_saveexec_b64 s[16:17], s[16:17]
	s_cbranch_execz .LBB1233_199
; %bb.198:
	s_waitcnt lgkmcnt(0)
	v_mov_b32_e32 v19, v22
.LBB1233_199:
	s_or_b64 exec, exec, s[16:17]
                                        ; implicit-def: $vgpr25
.LBB1233_200:
	s_andn2_saveexec_b64 s[12:13], s[12:13]
	s_cbranch_execz .LBB1233_202
; %bb.201:
	s_waitcnt lgkmcnt(0)
	v_mov_b32_e32 v19, v25
.LBB1233_202:
	s_or_b64 exec, exec, s[12:13]
	s_or_b64 s[12:13], s[8:9], exec
	s_waitcnt lgkmcnt(0)
	v_mov_b32_e32 v12, v19
                                        ; implicit-def: $vgpr17
                                        ; implicit-def: $vgpr15
                                        ; implicit-def: $vgpr16
.LBB1233_203:
	s_or_saveexec_b64 s[14:15], s[14:15]
	s_mov_b64 s[16:17], s[6:7]
	s_mov_b64 s[20:21], s[4:5]
                                        ; implicit-def: $vgpr10
                                        ; implicit-def: $vgpr11
	s_xor_b64 exec, exec, s[14:15]
	s_cbranch_execz .LBB1233_207
; %bb.204:
	v_cmp_lt_i64_e32 vcc, 6, v[0:1]
	s_mov_b64 s[20:21], -1
	s_mov_b64 s[18:19], s[12:13]
	s_mov_b64 s[16:17], s[6:7]
	s_and_saveexec_b64 s[22:23], vcc
; %bb.205:
	v_cmp_lt_i64_e32 vcc, 7, v[0:1]
	s_andn2_b64 s[18:19], s[12:13], exec
	s_and_b64 s[24:25], vcc, exec
	s_xor_b64 s[20:21], exec, -1
	s_or_b64 s[16:17], s[6:7], exec
	s_or_b64 s[18:19], s[18:19], s[24:25]
                                        ; implicit-def: $vgpr17
; %bb.206:
	s_or_b64 exec, exec, s[22:23]
	s_andn2_b64 s[22:23], s[4:5], exec
	s_and_b64 s[20:21], s[20:21], exec
	s_or_b64 s[20:21], s[22:23], s[20:21]
	s_andn2_b64 s[22:23], s[6:7], exec
	s_and_b64 s[16:17], s[16:17], exec
	s_andn2_b64 s[12:13], s[12:13], exec
	s_and_b64 s[18:19], s[18:19], exec
	s_or_b64 s[16:17], s[22:23], s[16:17]
	s_or_b64 s[12:13], s[12:13], s[18:19]
	s_waitcnt lgkmcnt(0)
	v_mov_b32_e32 v10, v17
	v_mov_b32_e32 v11, v15
	;; [unrolled: 1-line block ×3, first 2 shown]
.LBB1233_207:
	s_or_b64 exec, exec, s[14:15]
	s_andn2_b64 s[18:19], s[4:5], exec
	s_and_b64 s[20:21], s[20:21], exec
	s_or_b64 s[18:19], s[18:19], s[20:21]
	s_andn2_b64 s[20:21], s[6:7], exec
	s_and_b64 s[16:17], s[16:17], exec
	s_or_b64 s[16:17], s[20:21], s[16:17]
	s_andn2_b64 s[20:21], s[8:9], exec
	s_and_b64 s[12:13], s[12:13], exec
	s_xor_b64 s[14:15], exec, -1
	s_or_b64 s[12:13], s[20:21], s[12:13]
.LBB1233_208:
	s_or_b64 exec, exec, s[0:1]
	s_and_b64 s[0:1], s[14:15], exec
	s_andn2_b64 s[4:5], s[4:5], exec
	s_and_b64 s[14:15], s[18:19], exec
	s_or_b64 s[4:5], s[4:5], s[14:15]
	s_andn2_b64 s[6:7], s[6:7], exec
	s_and_b64 s[14:15], s[16:17], exec
	s_andn2_b64 s[8:9], s[8:9], exec
	s_and_b64 s[12:13], s[12:13], exec
	s_or_b64 s[6:7], s[6:7], s[14:15]
	s_or_b64 s[8:9], s[8:9], s[12:13]
	s_or_b64 exec, exec, s[2:3]
	s_and_saveexec_b64 s[2:3], s[8:9]
	s_cbranch_execz .LBB1233_143
.LBB1233_209:
	v_mov_b32_e32 v2, 0
	s_andn2_b64 s[6:7], s[6:7], exec
	s_waitcnt lgkmcnt(0)
	global_store_short v2, v12, s[10:11]
                                        ; implicit-def: $vgpr10
                                        ; implicit-def: $vgpr11
	s_or_b64 exec, exec, s[2:3]
	s_and_saveexec_b64 s[2:3], s[6:7]
	s_cbranch_execz .LBB1233_144
.LBB1233_210:
	v_mov_b32_e32 v2, 0
	s_waitcnt lgkmcnt(0)
	global_store_short v2, v11, s[10:11]
                                        ; implicit-def: $vgpr10
	s_or_b64 exec, exec, s[2:3]
	s_and_saveexec_b64 s[2:3], s[4:5]
	s_xor_b64 s[2:3], exec, s[2:3]
	s_cbranch_execz .LBB1233_145
.LBB1233_211:
	v_mov_b32_e32 v2, 0
	s_waitcnt lgkmcnt(0)
	global_store_short v2, v10, s[10:11]
	s_or_b64 exec, exec, s[2:3]
	s_and_b64 exec, exec, s[0:1]
	s_cbranch_execz .LBB1233_146
.LBB1233_212:
	v_cmp_lt_i64_e32 vcc, 2, v[0:1]
	s_and_saveexec_b64 s[0:1], vcc
	s_xor_b64 s[0:1], exec, s[0:1]
	s_cbranch_execz .LBB1233_222
; %bb.213:
	v_cmp_lt_i64_e32 vcc, 3, v[0:1]
	s_and_saveexec_b64 s[2:3], vcc
	s_xor_b64 s[2:3], exec, s[2:3]
	s_cbranch_execz .LBB1233_219
; %bb.214:
	;; [unrolled: 5-line block ×3, first 2 shown]
	v_mov_b32_e32 v0, 0
	s_waitcnt lgkmcnt(0)
	global_store_short v0, v9, s[10:11]
                                        ; implicit-def: $vgpr6
.LBB1233_216:
	s_andn2_saveexec_b64 s[4:5], s[4:5]
	s_cbranch_execz .LBB1233_218
; %bb.217:
	v_mov_b32_e32 v0, 0
	s_waitcnt lgkmcnt(0)
	global_store_short v0, v6, s[10:11]
.LBB1233_218:
	s_or_b64 exec, exec, s[4:5]
                                        ; implicit-def: $vgpr8
.LBB1233_219:
	s_andn2_saveexec_b64 s[2:3], s[2:3]
	s_cbranch_execz .LBB1233_221
; %bb.220:
	v_mov_b32_e32 v0, 0
	s_waitcnt lgkmcnt(0)
	global_store_short v0, v8, s[10:11]
.LBB1233_221:
	s_or_b64 exec, exec, s[2:3]
                                        ; implicit-def: $vgpr0_vgpr1
                                        ; implicit-def: $vgpr7
                                        ; implicit-def: $vgpr4
                                        ; implicit-def: $vgpr5
.LBB1233_222:
	s_andn2_saveexec_b64 s[0:1], s[0:1]
	s_cbranch_execz .LBB1233_146
; %bb.223:
	v_cmp_lt_i64_e32 vcc, 1, v[0:1]
	s_and_saveexec_b64 s[0:1], vcc
	s_xor_b64 s[0:1], exec, s[0:1]
	s_cbranch_execz .LBB1233_225
; %bb.224:
	v_mov_b32_e32 v0, 0
	s_waitcnt lgkmcnt(0)
	global_store_short v0, v7, s[10:11]
                                        ; implicit-def: $vgpr4
                                        ; implicit-def: $vgpr0_vgpr1
                                        ; implicit-def: $vgpr5
.LBB1233_225:
	s_andn2_saveexec_b64 s[0:1], s[0:1]
	s_cbranch_execz .LBB1233_146
; %bb.226:
	v_cmp_ne_u64_e32 vcc, 1, v[0:1]
	s_and_saveexec_b64 s[0:1], vcc
	s_xor_b64 s[0:1], exec, s[0:1]
	s_cbranch_execz .LBB1233_228
; %bb.227:
	v_mov_b32_e32 v0, 0
	s_waitcnt lgkmcnt(0)
	global_store_short v0, v5, s[10:11]
                                        ; implicit-def: $vgpr4
.LBB1233_228:
	s_andn2_saveexec_b64 s[0:1], s[0:1]
	s_cbranch_execz .LBB1233_146
; %bb.229:
	v_mov_b32_e32 v0, 0
	s_waitcnt lgkmcnt(0)
	global_store_short v0, v4, s[10:11]
	s_endpgm
	.section	.rodata,"a",@progbits
	.p2align	6, 0x0
	.amdhsa_kernel _ZN7rocprim17ROCPRIM_400000_NS6detail17trampoline_kernelINS0_14default_configENS1_20scan_config_selectorIsEEZZNS1_9scan_implILNS1_25lookback_scan_determinismE0ELb1ELb1ES3_N6thrust23THRUST_200600_302600_NS6detail15normal_iteratorINS9_10device_ptrIsEEEESE_sNS9_4plusIsEEsEEDaPvRmT3_T4_T5_mT6_P12ihipStream_tbENKUlT_T0_E_clISt17integral_constantIbLb1EEST_IbLb0EEEEDaSP_SQ_EUlSP_E_NS1_11comp_targetILNS1_3genE4ELNS1_11target_archE910ELNS1_3gpuE8ELNS1_3repE0EEENS1_30default_config_static_selectorELNS0_4arch9wavefront6targetE1EEEvT1_
		.amdhsa_group_segment_fixed_size 3072
		.amdhsa_private_segment_fixed_size 0
		.amdhsa_kernarg_size 96
		.amdhsa_user_sgpr_count 6
		.amdhsa_user_sgpr_private_segment_buffer 1
		.amdhsa_user_sgpr_dispatch_ptr 0
		.amdhsa_user_sgpr_queue_ptr 0
		.amdhsa_user_sgpr_kernarg_segment_ptr 1
		.amdhsa_user_sgpr_dispatch_id 0
		.amdhsa_user_sgpr_flat_scratch_init 0
		.amdhsa_user_sgpr_kernarg_preload_length 0
		.amdhsa_user_sgpr_kernarg_preload_offset 0
		.amdhsa_user_sgpr_private_segment_size 0
		.amdhsa_uses_dynamic_stack 0
		.amdhsa_system_sgpr_private_segment_wavefront_offset 0
		.amdhsa_system_sgpr_workgroup_id_x 1
		.amdhsa_system_sgpr_workgroup_id_y 0
		.amdhsa_system_sgpr_workgroup_id_z 0
		.amdhsa_system_sgpr_workgroup_info 0
		.amdhsa_system_vgpr_workitem_id 0
		.amdhsa_next_free_vgpr 54
		.amdhsa_next_free_sgpr 29
		.amdhsa_accum_offset 56
		.amdhsa_reserve_vcc 1
		.amdhsa_reserve_flat_scratch 0
		.amdhsa_float_round_mode_32 0
		.amdhsa_float_round_mode_16_64 0
		.amdhsa_float_denorm_mode_32 3
		.amdhsa_float_denorm_mode_16_64 3
		.amdhsa_dx10_clamp 1
		.amdhsa_ieee_mode 1
		.amdhsa_fp16_overflow 0
		.amdhsa_tg_split 0
		.amdhsa_exception_fp_ieee_invalid_op 0
		.amdhsa_exception_fp_denorm_src 0
		.amdhsa_exception_fp_ieee_div_zero 0
		.amdhsa_exception_fp_ieee_overflow 0
		.amdhsa_exception_fp_ieee_underflow 0
		.amdhsa_exception_fp_ieee_inexact 0
		.amdhsa_exception_int_div_zero 0
	.end_amdhsa_kernel
	.section	.text._ZN7rocprim17ROCPRIM_400000_NS6detail17trampoline_kernelINS0_14default_configENS1_20scan_config_selectorIsEEZZNS1_9scan_implILNS1_25lookback_scan_determinismE0ELb1ELb1ES3_N6thrust23THRUST_200600_302600_NS6detail15normal_iteratorINS9_10device_ptrIsEEEESE_sNS9_4plusIsEEsEEDaPvRmT3_T4_T5_mT6_P12ihipStream_tbENKUlT_T0_E_clISt17integral_constantIbLb1EEST_IbLb0EEEEDaSP_SQ_EUlSP_E_NS1_11comp_targetILNS1_3genE4ELNS1_11target_archE910ELNS1_3gpuE8ELNS1_3repE0EEENS1_30default_config_static_selectorELNS0_4arch9wavefront6targetE1EEEvT1_,"axG",@progbits,_ZN7rocprim17ROCPRIM_400000_NS6detail17trampoline_kernelINS0_14default_configENS1_20scan_config_selectorIsEEZZNS1_9scan_implILNS1_25lookback_scan_determinismE0ELb1ELb1ES3_N6thrust23THRUST_200600_302600_NS6detail15normal_iteratorINS9_10device_ptrIsEEEESE_sNS9_4plusIsEEsEEDaPvRmT3_T4_T5_mT6_P12ihipStream_tbENKUlT_T0_E_clISt17integral_constantIbLb1EEST_IbLb0EEEEDaSP_SQ_EUlSP_E_NS1_11comp_targetILNS1_3genE4ELNS1_11target_archE910ELNS1_3gpuE8ELNS1_3repE0EEENS1_30default_config_static_selectorELNS0_4arch9wavefront6targetE1EEEvT1_,comdat
.Lfunc_end1233:
	.size	_ZN7rocprim17ROCPRIM_400000_NS6detail17trampoline_kernelINS0_14default_configENS1_20scan_config_selectorIsEEZZNS1_9scan_implILNS1_25lookback_scan_determinismE0ELb1ELb1ES3_N6thrust23THRUST_200600_302600_NS6detail15normal_iteratorINS9_10device_ptrIsEEEESE_sNS9_4plusIsEEsEEDaPvRmT3_T4_T5_mT6_P12ihipStream_tbENKUlT_T0_E_clISt17integral_constantIbLb1EEST_IbLb0EEEEDaSP_SQ_EUlSP_E_NS1_11comp_targetILNS1_3genE4ELNS1_11target_archE910ELNS1_3gpuE8ELNS1_3repE0EEENS1_30default_config_static_selectorELNS0_4arch9wavefront6targetE1EEEvT1_, .Lfunc_end1233-_ZN7rocprim17ROCPRIM_400000_NS6detail17trampoline_kernelINS0_14default_configENS1_20scan_config_selectorIsEEZZNS1_9scan_implILNS1_25lookback_scan_determinismE0ELb1ELb1ES3_N6thrust23THRUST_200600_302600_NS6detail15normal_iteratorINS9_10device_ptrIsEEEESE_sNS9_4plusIsEEsEEDaPvRmT3_T4_T5_mT6_P12ihipStream_tbENKUlT_T0_E_clISt17integral_constantIbLb1EEST_IbLb0EEEEDaSP_SQ_EUlSP_E_NS1_11comp_targetILNS1_3genE4ELNS1_11target_archE910ELNS1_3gpuE8ELNS1_3repE0EEENS1_30default_config_static_selectorELNS0_4arch9wavefront6targetE1EEEvT1_
                                        ; -- End function
	.section	.AMDGPU.csdata,"",@progbits
; Kernel info:
; codeLenInByte = 7804
; NumSgprs: 33
; NumVgprs: 54
; NumAgprs: 0
; TotalNumVgprs: 54
; ScratchSize: 0
; MemoryBound: 0
; FloatMode: 240
; IeeeMode: 1
; LDSByteSize: 3072 bytes/workgroup (compile time only)
; SGPRBlocks: 4
; VGPRBlocks: 6
; NumSGPRsForWavesPerEU: 33
; NumVGPRsForWavesPerEU: 54
; AccumOffset: 56
; Occupancy: 6
; WaveLimiterHint : 1
; COMPUTE_PGM_RSRC2:SCRATCH_EN: 0
; COMPUTE_PGM_RSRC2:USER_SGPR: 6
; COMPUTE_PGM_RSRC2:TRAP_HANDLER: 0
; COMPUTE_PGM_RSRC2:TGID_X_EN: 1
; COMPUTE_PGM_RSRC2:TGID_Y_EN: 0
; COMPUTE_PGM_RSRC2:TGID_Z_EN: 0
; COMPUTE_PGM_RSRC2:TIDIG_COMP_CNT: 0
; COMPUTE_PGM_RSRC3_GFX90A:ACCUM_OFFSET: 13
; COMPUTE_PGM_RSRC3_GFX90A:TG_SPLIT: 0
	.section	.text._ZN7rocprim17ROCPRIM_400000_NS6detail17trampoline_kernelINS0_14default_configENS1_20scan_config_selectorIsEEZZNS1_9scan_implILNS1_25lookback_scan_determinismE0ELb1ELb1ES3_N6thrust23THRUST_200600_302600_NS6detail15normal_iteratorINS9_10device_ptrIsEEEESE_sNS9_4plusIsEEsEEDaPvRmT3_T4_T5_mT6_P12ihipStream_tbENKUlT_T0_E_clISt17integral_constantIbLb1EEST_IbLb0EEEEDaSP_SQ_EUlSP_E_NS1_11comp_targetILNS1_3genE3ELNS1_11target_archE908ELNS1_3gpuE7ELNS1_3repE0EEENS1_30default_config_static_selectorELNS0_4arch9wavefront6targetE1EEEvT1_,"axG",@progbits,_ZN7rocprim17ROCPRIM_400000_NS6detail17trampoline_kernelINS0_14default_configENS1_20scan_config_selectorIsEEZZNS1_9scan_implILNS1_25lookback_scan_determinismE0ELb1ELb1ES3_N6thrust23THRUST_200600_302600_NS6detail15normal_iteratorINS9_10device_ptrIsEEEESE_sNS9_4plusIsEEsEEDaPvRmT3_T4_T5_mT6_P12ihipStream_tbENKUlT_T0_E_clISt17integral_constantIbLb1EEST_IbLb0EEEEDaSP_SQ_EUlSP_E_NS1_11comp_targetILNS1_3genE3ELNS1_11target_archE908ELNS1_3gpuE7ELNS1_3repE0EEENS1_30default_config_static_selectorELNS0_4arch9wavefront6targetE1EEEvT1_,comdat
	.protected	_ZN7rocprim17ROCPRIM_400000_NS6detail17trampoline_kernelINS0_14default_configENS1_20scan_config_selectorIsEEZZNS1_9scan_implILNS1_25lookback_scan_determinismE0ELb1ELb1ES3_N6thrust23THRUST_200600_302600_NS6detail15normal_iteratorINS9_10device_ptrIsEEEESE_sNS9_4plusIsEEsEEDaPvRmT3_T4_T5_mT6_P12ihipStream_tbENKUlT_T0_E_clISt17integral_constantIbLb1EEST_IbLb0EEEEDaSP_SQ_EUlSP_E_NS1_11comp_targetILNS1_3genE3ELNS1_11target_archE908ELNS1_3gpuE7ELNS1_3repE0EEENS1_30default_config_static_selectorELNS0_4arch9wavefront6targetE1EEEvT1_ ; -- Begin function _ZN7rocprim17ROCPRIM_400000_NS6detail17trampoline_kernelINS0_14default_configENS1_20scan_config_selectorIsEEZZNS1_9scan_implILNS1_25lookback_scan_determinismE0ELb1ELb1ES3_N6thrust23THRUST_200600_302600_NS6detail15normal_iteratorINS9_10device_ptrIsEEEESE_sNS9_4plusIsEEsEEDaPvRmT3_T4_T5_mT6_P12ihipStream_tbENKUlT_T0_E_clISt17integral_constantIbLb1EEST_IbLb0EEEEDaSP_SQ_EUlSP_E_NS1_11comp_targetILNS1_3genE3ELNS1_11target_archE908ELNS1_3gpuE7ELNS1_3repE0EEENS1_30default_config_static_selectorELNS0_4arch9wavefront6targetE1EEEvT1_
	.globl	_ZN7rocprim17ROCPRIM_400000_NS6detail17trampoline_kernelINS0_14default_configENS1_20scan_config_selectorIsEEZZNS1_9scan_implILNS1_25lookback_scan_determinismE0ELb1ELb1ES3_N6thrust23THRUST_200600_302600_NS6detail15normal_iteratorINS9_10device_ptrIsEEEESE_sNS9_4plusIsEEsEEDaPvRmT3_T4_T5_mT6_P12ihipStream_tbENKUlT_T0_E_clISt17integral_constantIbLb1EEST_IbLb0EEEEDaSP_SQ_EUlSP_E_NS1_11comp_targetILNS1_3genE3ELNS1_11target_archE908ELNS1_3gpuE7ELNS1_3repE0EEENS1_30default_config_static_selectorELNS0_4arch9wavefront6targetE1EEEvT1_
	.p2align	8
	.type	_ZN7rocprim17ROCPRIM_400000_NS6detail17trampoline_kernelINS0_14default_configENS1_20scan_config_selectorIsEEZZNS1_9scan_implILNS1_25lookback_scan_determinismE0ELb1ELb1ES3_N6thrust23THRUST_200600_302600_NS6detail15normal_iteratorINS9_10device_ptrIsEEEESE_sNS9_4plusIsEEsEEDaPvRmT3_T4_T5_mT6_P12ihipStream_tbENKUlT_T0_E_clISt17integral_constantIbLb1EEST_IbLb0EEEEDaSP_SQ_EUlSP_E_NS1_11comp_targetILNS1_3genE3ELNS1_11target_archE908ELNS1_3gpuE7ELNS1_3repE0EEENS1_30default_config_static_selectorELNS0_4arch9wavefront6targetE1EEEvT1_,@function
_ZN7rocprim17ROCPRIM_400000_NS6detail17trampoline_kernelINS0_14default_configENS1_20scan_config_selectorIsEEZZNS1_9scan_implILNS1_25lookback_scan_determinismE0ELb1ELb1ES3_N6thrust23THRUST_200600_302600_NS6detail15normal_iteratorINS9_10device_ptrIsEEEESE_sNS9_4plusIsEEsEEDaPvRmT3_T4_T5_mT6_P12ihipStream_tbENKUlT_T0_E_clISt17integral_constantIbLb1EEST_IbLb0EEEEDaSP_SQ_EUlSP_E_NS1_11comp_targetILNS1_3genE3ELNS1_11target_archE908ELNS1_3gpuE7ELNS1_3repE0EEENS1_30default_config_static_selectorELNS0_4arch9wavefront6targetE1EEEvT1_: ; @_ZN7rocprim17ROCPRIM_400000_NS6detail17trampoline_kernelINS0_14default_configENS1_20scan_config_selectorIsEEZZNS1_9scan_implILNS1_25lookback_scan_determinismE0ELb1ELb1ES3_N6thrust23THRUST_200600_302600_NS6detail15normal_iteratorINS9_10device_ptrIsEEEESE_sNS9_4plusIsEEsEEDaPvRmT3_T4_T5_mT6_P12ihipStream_tbENKUlT_T0_E_clISt17integral_constantIbLb1EEST_IbLb0EEEEDaSP_SQ_EUlSP_E_NS1_11comp_targetILNS1_3genE3ELNS1_11target_archE908ELNS1_3gpuE7ELNS1_3repE0EEENS1_30default_config_static_selectorELNS0_4arch9wavefront6targetE1EEEvT1_
; %bb.0:
	.section	.rodata,"a",@progbits
	.p2align	6, 0x0
	.amdhsa_kernel _ZN7rocprim17ROCPRIM_400000_NS6detail17trampoline_kernelINS0_14default_configENS1_20scan_config_selectorIsEEZZNS1_9scan_implILNS1_25lookback_scan_determinismE0ELb1ELb1ES3_N6thrust23THRUST_200600_302600_NS6detail15normal_iteratorINS9_10device_ptrIsEEEESE_sNS9_4plusIsEEsEEDaPvRmT3_T4_T5_mT6_P12ihipStream_tbENKUlT_T0_E_clISt17integral_constantIbLb1EEST_IbLb0EEEEDaSP_SQ_EUlSP_E_NS1_11comp_targetILNS1_3genE3ELNS1_11target_archE908ELNS1_3gpuE7ELNS1_3repE0EEENS1_30default_config_static_selectorELNS0_4arch9wavefront6targetE1EEEvT1_
		.amdhsa_group_segment_fixed_size 0
		.amdhsa_private_segment_fixed_size 0
		.amdhsa_kernarg_size 96
		.amdhsa_user_sgpr_count 6
		.amdhsa_user_sgpr_private_segment_buffer 1
		.amdhsa_user_sgpr_dispatch_ptr 0
		.amdhsa_user_sgpr_queue_ptr 0
		.amdhsa_user_sgpr_kernarg_segment_ptr 1
		.amdhsa_user_sgpr_dispatch_id 0
		.amdhsa_user_sgpr_flat_scratch_init 0
		.amdhsa_user_sgpr_kernarg_preload_length 0
		.amdhsa_user_sgpr_kernarg_preload_offset 0
		.amdhsa_user_sgpr_private_segment_size 0
		.amdhsa_uses_dynamic_stack 0
		.amdhsa_system_sgpr_private_segment_wavefront_offset 0
		.amdhsa_system_sgpr_workgroup_id_x 1
		.amdhsa_system_sgpr_workgroup_id_y 0
		.amdhsa_system_sgpr_workgroup_id_z 0
		.amdhsa_system_sgpr_workgroup_info 0
		.amdhsa_system_vgpr_workitem_id 0
		.amdhsa_next_free_vgpr 1
		.amdhsa_next_free_sgpr 0
		.amdhsa_accum_offset 4
		.amdhsa_reserve_vcc 0
		.amdhsa_reserve_flat_scratch 0
		.amdhsa_float_round_mode_32 0
		.amdhsa_float_round_mode_16_64 0
		.amdhsa_float_denorm_mode_32 3
		.amdhsa_float_denorm_mode_16_64 3
		.amdhsa_dx10_clamp 1
		.amdhsa_ieee_mode 1
		.amdhsa_fp16_overflow 0
		.amdhsa_tg_split 0
		.amdhsa_exception_fp_ieee_invalid_op 0
		.amdhsa_exception_fp_denorm_src 0
		.amdhsa_exception_fp_ieee_div_zero 0
		.amdhsa_exception_fp_ieee_overflow 0
		.amdhsa_exception_fp_ieee_underflow 0
		.amdhsa_exception_fp_ieee_inexact 0
		.amdhsa_exception_int_div_zero 0
	.end_amdhsa_kernel
	.section	.text._ZN7rocprim17ROCPRIM_400000_NS6detail17trampoline_kernelINS0_14default_configENS1_20scan_config_selectorIsEEZZNS1_9scan_implILNS1_25lookback_scan_determinismE0ELb1ELb1ES3_N6thrust23THRUST_200600_302600_NS6detail15normal_iteratorINS9_10device_ptrIsEEEESE_sNS9_4plusIsEEsEEDaPvRmT3_T4_T5_mT6_P12ihipStream_tbENKUlT_T0_E_clISt17integral_constantIbLb1EEST_IbLb0EEEEDaSP_SQ_EUlSP_E_NS1_11comp_targetILNS1_3genE3ELNS1_11target_archE908ELNS1_3gpuE7ELNS1_3repE0EEENS1_30default_config_static_selectorELNS0_4arch9wavefront6targetE1EEEvT1_,"axG",@progbits,_ZN7rocprim17ROCPRIM_400000_NS6detail17trampoline_kernelINS0_14default_configENS1_20scan_config_selectorIsEEZZNS1_9scan_implILNS1_25lookback_scan_determinismE0ELb1ELb1ES3_N6thrust23THRUST_200600_302600_NS6detail15normal_iteratorINS9_10device_ptrIsEEEESE_sNS9_4plusIsEEsEEDaPvRmT3_T4_T5_mT6_P12ihipStream_tbENKUlT_T0_E_clISt17integral_constantIbLb1EEST_IbLb0EEEEDaSP_SQ_EUlSP_E_NS1_11comp_targetILNS1_3genE3ELNS1_11target_archE908ELNS1_3gpuE7ELNS1_3repE0EEENS1_30default_config_static_selectorELNS0_4arch9wavefront6targetE1EEEvT1_,comdat
.Lfunc_end1234:
	.size	_ZN7rocprim17ROCPRIM_400000_NS6detail17trampoline_kernelINS0_14default_configENS1_20scan_config_selectorIsEEZZNS1_9scan_implILNS1_25lookback_scan_determinismE0ELb1ELb1ES3_N6thrust23THRUST_200600_302600_NS6detail15normal_iteratorINS9_10device_ptrIsEEEESE_sNS9_4plusIsEEsEEDaPvRmT3_T4_T5_mT6_P12ihipStream_tbENKUlT_T0_E_clISt17integral_constantIbLb1EEST_IbLb0EEEEDaSP_SQ_EUlSP_E_NS1_11comp_targetILNS1_3genE3ELNS1_11target_archE908ELNS1_3gpuE7ELNS1_3repE0EEENS1_30default_config_static_selectorELNS0_4arch9wavefront6targetE1EEEvT1_, .Lfunc_end1234-_ZN7rocprim17ROCPRIM_400000_NS6detail17trampoline_kernelINS0_14default_configENS1_20scan_config_selectorIsEEZZNS1_9scan_implILNS1_25lookback_scan_determinismE0ELb1ELb1ES3_N6thrust23THRUST_200600_302600_NS6detail15normal_iteratorINS9_10device_ptrIsEEEESE_sNS9_4plusIsEEsEEDaPvRmT3_T4_T5_mT6_P12ihipStream_tbENKUlT_T0_E_clISt17integral_constantIbLb1EEST_IbLb0EEEEDaSP_SQ_EUlSP_E_NS1_11comp_targetILNS1_3genE3ELNS1_11target_archE908ELNS1_3gpuE7ELNS1_3repE0EEENS1_30default_config_static_selectorELNS0_4arch9wavefront6targetE1EEEvT1_
                                        ; -- End function
	.section	.AMDGPU.csdata,"",@progbits
; Kernel info:
; codeLenInByte = 0
; NumSgprs: 4
; NumVgprs: 0
; NumAgprs: 0
; TotalNumVgprs: 0
; ScratchSize: 0
; MemoryBound: 0
; FloatMode: 240
; IeeeMode: 1
; LDSByteSize: 0 bytes/workgroup (compile time only)
; SGPRBlocks: 0
; VGPRBlocks: 0
; NumSGPRsForWavesPerEU: 4
; NumVGPRsForWavesPerEU: 1
; AccumOffset: 4
; Occupancy: 8
; WaveLimiterHint : 0
; COMPUTE_PGM_RSRC2:SCRATCH_EN: 0
; COMPUTE_PGM_RSRC2:USER_SGPR: 6
; COMPUTE_PGM_RSRC2:TRAP_HANDLER: 0
; COMPUTE_PGM_RSRC2:TGID_X_EN: 1
; COMPUTE_PGM_RSRC2:TGID_Y_EN: 0
; COMPUTE_PGM_RSRC2:TGID_Z_EN: 0
; COMPUTE_PGM_RSRC2:TIDIG_COMP_CNT: 0
; COMPUTE_PGM_RSRC3_GFX90A:ACCUM_OFFSET: 0
; COMPUTE_PGM_RSRC3_GFX90A:TG_SPLIT: 0
	.section	.text._ZN7rocprim17ROCPRIM_400000_NS6detail17trampoline_kernelINS0_14default_configENS1_20scan_config_selectorIsEEZZNS1_9scan_implILNS1_25lookback_scan_determinismE0ELb1ELb1ES3_N6thrust23THRUST_200600_302600_NS6detail15normal_iteratorINS9_10device_ptrIsEEEESE_sNS9_4plusIsEEsEEDaPvRmT3_T4_T5_mT6_P12ihipStream_tbENKUlT_T0_E_clISt17integral_constantIbLb1EEST_IbLb0EEEEDaSP_SQ_EUlSP_E_NS1_11comp_targetILNS1_3genE2ELNS1_11target_archE906ELNS1_3gpuE6ELNS1_3repE0EEENS1_30default_config_static_selectorELNS0_4arch9wavefront6targetE1EEEvT1_,"axG",@progbits,_ZN7rocprim17ROCPRIM_400000_NS6detail17trampoline_kernelINS0_14default_configENS1_20scan_config_selectorIsEEZZNS1_9scan_implILNS1_25lookback_scan_determinismE0ELb1ELb1ES3_N6thrust23THRUST_200600_302600_NS6detail15normal_iteratorINS9_10device_ptrIsEEEESE_sNS9_4plusIsEEsEEDaPvRmT3_T4_T5_mT6_P12ihipStream_tbENKUlT_T0_E_clISt17integral_constantIbLb1EEST_IbLb0EEEEDaSP_SQ_EUlSP_E_NS1_11comp_targetILNS1_3genE2ELNS1_11target_archE906ELNS1_3gpuE6ELNS1_3repE0EEENS1_30default_config_static_selectorELNS0_4arch9wavefront6targetE1EEEvT1_,comdat
	.protected	_ZN7rocprim17ROCPRIM_400000_NS6detail17trampoline_kernelINS0_14default_configENS1_20scan_config_selectorIsEEZZNS1_9scan_implILNS1_25lookback_scan_determinismE0ELb1ELb1ES3_N6thrust23THRUST_200600_302600_NS6detail15normal_iteratorINS9_10device_ptrIsEEEESE_sNS9_4plusIsEEsEEDaPvRmT3_T4_T5_mT6_P12ihipStream_tbENKUlT_T0_E_clISt17integral_constantIbLb1EEST_IbLb0EEEEDaSP_SQ_EUlSP_E_NS1_11comp_targetILNS1_3genE2ELNS1_11target_archE906ELNS1_3gpuE6ELNS1_3repE0EEENS1_30default_config_static_selectorELNS0_4arch9wavefront6targetE1EEEvT1_ ; -- Begin function _ZN7rocprim17ROCPRIM_400000_NS6detail17trampoline_kernelINS0_14default_configENS1_20scan_config_selectorIsEEZZNS1_9scan_implILNS1_25lookback_scan_determinismE0ELb1ELb1ES3_N6thrust23THRUST_200600_302600_NS6detail15normal_iteratorINS9_10device_ptrIsEEEESE_sNS9_4plusIsEEsEEDaPvRmT3_T4_T5_mT6_P12ihipStream_tbENKUlT_T0_E_clISt17integral_constantIbLb1EEST_IbLb0EEEEDaSP_SQ_EUlSP_E_NS1_11comp_targetILNS1_3genE2ELNS1_11target_archE906ELNS1_3gpuE6ELNS1_3repE0EEENS1_30default_config_static_selectorELNS0_4arch9wavefront6targetE1EEEvT1_
	.globl	_ZN7rocprim17ROCPRIM_400000_NS6detail17trampoline_kernelINS0_14default_configENS1_20scan_config_selectorIsEEZZNS1_9scan_implILNS1_25lookback_scan_determinismE0ELb1ELb1ES3_N6thrust23THRUST_200600_302600_NS6detail15normal_iteratorINS9_10device_ptrIsEEEESE_sNS9_4plusIsEEsEEDaPvRmT3_T4_T5_mT6_P12ihipStream_tbENKUlT_T0_E_clISt17integral_constantIbLb1EEST_IbLb0EEEEDaSP_SQ_EUlSP_E_NS1_11comp_targetILNS1_3genE2ELNS1_11target_archE906ELNS1_3gpuE6ELNS1_3repE0EEENS1_30default_config_static_selectorELNS0_4arch9wavefront6targetE1EEEvT1_
	.p2align	8
	.type	_ZN7rocprim17ROCPRIM_400000_NS6detail17trampoline_kernelINS0_14default_configENS1_20scan_config_selectorIsEEZZNS1_9scan_implILNS1_25lookback_scan_determinismE0ELb1ELb1ES3_N6thrust23THRUST_200600_302600_NS6detail15normal_iteratorINS9_10device_ptrIsEEEESE_sNS9_4plusIsEEsEEDaPvRmT3_T4_T5_mT6_P12ihipStream_tbENKUlT_T0_E_clISt17integral_constantIbLb1EEST_IbLb0EEEEDaSP_SQ_EUlSP_E_NS1_11comp_targetILNS1_3genE2ELNS1_11target_archE906ELNS1_3gpuE6ELNS1_3repE0EEENS1_30default_config_static_selectorELNS0_4arch9wavefront6targetE1EEEvT1_,@function
_ZN7rocprim17ROCPRIM_400000_NS6detail17trampoline_kernelINS0_14default_configENS1_20scan_config_selectorIsEEZZNS1_9scan_implILNS1_25lookback_scan_determinismE0ELb1ELb1ES3_N6thrust23THRUST_200600_302600_NS6detail15normal_iteratorINS9_10device_ptrIsEEEESE_sNS9_4plusIsEEsEEDaPvRmT3_T4_T5_mT6_P12ihipStream_tbENKUlT_T0_E_clISt17integral_constantIbLb1EEST_IbLb0EEEEDaSP_SQ_EUlSP_E_NS1_11comp_targetILNS1_3genE2ELNS1_11target_archE906ELNS1_3gpuE6ELNS1_3repE0EEENS1_30default_config_static_selectorELNS0_4arch9wavefront6targetE1EEEvT1_: ; @_ZN7rocprim17ROCPRIM_400000_NS6detail17trampoline_kernelINS0_14default_configENS1_20scan_config_selectorIsEEZZNS1_9scan_implILNS1_25lookback_scan_determinismE0ELb1ELb1ES3_N6thrust23THRUST_200600_302600_NS6detail15normal_iteratorINS9_10device_ptrIsEEEESE_sNS9_4plusIsEEsEEDaPvRmT3_T4_T5_mT6_P12ihipStream_tbENKUlT_T0_E_clISt17integral_constantIbLb1EEST_IbLb0EEEEDaSP_SQ_EUlSP_E_NS1_11comp_targetILNS1_3genE2ELNS1_11target_archE906ELNS1_3gpuE6ELNS1_3repE0EEENS1_30default_config_static_selectorELNS0_4arch9wavefront6targetE1EEEvT1_
; %bb.0:
	.section	.rodata,"a",@progbits
	.p2align	6, 0x0
	.amdhsa_kernel _ZN7rocprim17ROCPRIM_400000_NS6detail17trampoline_kernelINS0_14default_configENS1_20scan_config_selectorIsEEZZNS1_9scan_implILNS1_25lookback_scan_determinismE0ELb1ELb1ES3_N6thrust23THRUST_200600_302600_NS6detail15normal_iteratorINS9_10device_ptrIsEEEESE_sNS9_4plusIsEEsEEDaPvRmT3_T4_T5_mT6_P12ihipStream_tbENKUlT_T0_E_clISt17integral_constantIbLb1EEST_IbLb0EEEEDaSP_SQ_EUlSP_E_NS1_11comp_targetILNS1_3genE2ELNS1_11target_archE906ELNS1_3gpuE6ELNS1_3repE0EEENS1_30default_config_static_selectorELNS0_4arch9wavefront6targetE1EEEvT1_
		.amdhsa_group_segment_fixed_size 0
		.amdhsa_private_segment_fixed_size 0
		.amdhsa_kernarg_size 96
		.amdhsa_user_sgpr_count 6
		.amdhsa_user_sgpr_private_segment_buffer 1
		.amdhsa_user_sgpr_dispatch_ptr 0
		.amdhsa_user_sgpr_queue_ptr 0
		.amdhsa_user_sgpr_kernarg_segment_ptr 1
		.amdhsa_user_sgpr_dispatch_id 0
		.amdhsa_user_sgpr_flat_scratch_init 0
		.amdhsa_user_sgpr_kernarg_preload_length 0
		.amdhsa_user_sgpr_kernarg_preload_offset 0
		.amdhsa_user_sgpr_private_segment_size 0
		.amdhsa_uses_dynamic_stack 0
		.amdhsa_system_sgpr_private_segment_wavefront_offset 0
		.amdhsa_system_sgpr_workgroup_id_x 1
		.amdhsa_system_sgpr_workgroup_id_y 0
		.amdhsa_system_sgpr_workgroup_id_z 0
		.amdhsa_system_sgpr_workgroup_info 0
		.amdhsa_system_vgpr_workitem_id 0
		.amdhsa_next_free_vgpr 1
		.amdhsa_next_free_sgpr 0
		.amdhsa_accum_offset 4
		.amdhsa_reserve_vcc 0
		.amdhsa_reserve_flat_scratch 0
		.amdhsa_float_round_mode_32 0
		.amdhsa_float_round_mode_16_64 0
		.amdhsa_float_denorm_mode_32 3
		.amdhsa_float_denorm_mode_16_64 3
		.amdhsa_dx10_clamp 1
		.amdhsa_ieee_mode 1
		.amdhsa_fp16_overflow 0
		.amdhsa_tg_split 0
		.amdhsa_exception_fp_ieee_invalid_op 0
		.amdhsa_exception_fp_denorm_src 0
		.amdhsa_exception_fp_ieee_div_zero 0
		.amdhsa_exception_fp_ieee_overflow 0
		.amdhsa_exception_fp_ieee_underflow 0
		.amdhsa_exception_fp_ieee_inexact 0
		.amdhsa_exception_int_div_zero 0
	.end_amdhsa_kernel
	.section	.text._ZN7rocprim17ROCPRIM_400000_NS6detail17trampoline_kernelINS0_14default_configENS1_20scan_config_selectorIsEEZZNS1_9scan_implILNS1_25lookback_scan_determinismE0ELb1ELb1ES3_N6thrust23THRUST_200600_302600_NS6detail15normal_iteratorINS9_10device_ptrIsEEEESE_sNS9_4plusIsEEsEEDaPvRmT3_T4_T5_mT6_P12ihipStream_tbENKUlT_T0_E_clISt17integral_constantIbLb1EEST_IbLb0EEEEDaSP_SQ_EUlSP_E_NS1_11comp_targetILNS1_3genE2ELNS1_11target_archE906ELNS1_3gpuE6ELNS1_3repE0EEENS1_30default_config_static_selectorELNS0_4arch9wavefront6targetE1EEEvT1_,"axG",@progbits,_ZN7rocprim17ROCPRIM_400000_NS6detail17trampoline_kernelINS0_14default_configENS1_20scan_config_selectorIsEEZZNS1_9scan_implILNS1_25lookback_scan_determinismE0ELb1ELb1ES3_N6thrust23THRUST_200600_302600_NS6detail15normal_iteratorINS9_10device_ptrIsEEEESE_sNS9_4plusIsEEsEEDaPvRmT3_T4_T5_mT6_P12ihipStream_tbENKUlT_T0_E_clISt17integral_constantIbLb1EEST_IbLb0EEEEDaSP_SQ_EUlSP_E_NS1_11comp_targetILNS1_3genE2ELNS1_11target_archE906ELNS1_3gpuE6ELNS1_3repE0EEENS1_30default_config_static_selectorELNS0_4arch9wavefront6targetE1EEEvT1_,comdat
.Lfunc_end1235:
	.size	_ZN7rocprim17ROCPRIM_400000_NS6detail17trampoline_kernelINS0_14default_configENS1_20scan_config_selectorIsEEZZNS1_9scan_implILNS1_25lookback_scan_determinismE0ELb1ELb1ES3_N6thrust23THRUST_200600_302600_NS6detail15normal_iteratorINS9_10device_ptrIsEEEESE_sNS9_4plusIsEEsEEDaPvRmT3_T4_T5_mT6_P12ihipStream_tbENKUlT_T0_E_clISt17integral_constantIbLb1EEST_IbLb0EEEEDaSP_SQ_EUlSP_E_NS1_11comp_targetILNS1_3genE2ELNS1_11target_archE906ELNS1_3gpuE6ELNS1_3repE0EEENS1_30default_config_static_selectorELNS0_4arch9wavefront6targetE1EEEvT1_, .Lfunc_end1235-_ZN7rocprim17ROCPRIM_400000_NS6detail17trampoline_kernelINS0_14default_configENS1_20scan_config_selectorIsEEZZNS1_9scan_implILNS1_25lookback_scan_determinismE0ELb1ELb1ES3_N6thrust23THRUST_200600_302600_NS6detail15normal_iteratorINS9_10device_ptrIsEEEESE_sNS9_4plusIsEEsEEDaPvRmT3_T4_T5_mT6_P12ihipStream_tbENKUlT_T0_E_clISt17integral_constantIbLb1EEST_IbLb0EEEEDaSP_SQ_EUlSP_E_NS1_11comp_targetILNS1_3genE2ELNS1_11target_archE906ELNS1_3gpuE6ELNS1_3repE0EEENS1_30default_config_static_selectorELNS0_4arch9wavefront6targetE1EEEvT1_
                                        ; -- End function
	.section	.AMDGPU.csdata,"",@progbits
; Kernel info:
; codeLenInByte = 0
; NumSgprs: 4
; NumVgprs: 0
; NumAgprs: 0
; TotalNumVgprs: 0
; ScratchSize: 0
; MemoryBound: 0
; FloatMode: 240
; IeeeMode: 1
; LDSByteSize: 0 bytes/workgroup (compile time only)
; SGPRBlocks: 0
; VGPRBlocks: 0
; NumSGPRsForWavesPerEU: 4
; NumVGPRsForWavesPerEU: 1
; AccumOffset: 4
; Occupancy: 8
; WaveLimiterHint : 0
; COMPUTE_PGM_RSRC2:SCRATCH_EN: 0
; COMPUTE_PGM_RSRC2:USER_SGPR: 6
; COMPUTE_PGM_RSRC2:TRAP_HANDLER: 0
; COMPUTE_PGM_RSRC2:TGID_X_EN: 1
; COMPUTE_PGM_RSRC2:TGID_Y_EN: 0
; COMPUTE_PGM_RSRC2:TGID_Z_EN: 0
; COMPUTE_PGM_RSRC2:TIDIG_COMP_CNT: 0
; COMPUTE_PGM_RSRC3_GFX90A:ACCUM_OFFSET: 0
; COMPUTE_PGM_RSRC3_GFX90A:TG_SPLIT: 0
	.section	.text._ZN7rocprim17ROCPRIM_400000_NS6detail17trampoline_kernelINS0_14default_configENS1_20scan_config_selectorIsEEZZNS1_9scan_implILNS1_25lookback_scan_determinismE0ELb1ELb1ES3_N6thrust23THRUST_200600_302600_NS6detail15normal_iteratorINS9_10device_ptrIsEEEESE_sNS9_4plusIsEEsEEDaPvRmT3_T4_T5_mT6_P12ihipStream_tbENKUlT_T0_E_clISt17integral_constantIbLb1EEST_IbLb0EEEEDaSP_SQ_EUlSP_E_NS1_11comp_targetILNS1_3genE10ELNS1_11target_archE1201ELNS1_3gpuE5ELNS1_3repE0EEENS1_30default_config_static_selectorELNS0_4arch9wavefront6targetE1EEEvT1_,"axG",@progbits,_ZN7rocprim17ROCPRIM_400000_NS6detail17trampoline_kernelINS0_14default_configENS1_20scan_config_selectorIsEEZZNS1_9scan_implILNS1_25lookback_scan_determinismE0ELb1ELb1ES3_N6thrust23THRUST_200600_302600_NS6detail15normal_iteratorINS9_10device_ptrIsEEEESE_sNS9_4plusIsEEsEEDaPvRmT3_T4_T5_mT6_P12ihipStream_tbENKUlT_T0_E_clISt17integral_constantIbLb1EEST_IbLb0EEEEDaSP_SQ_EUlSP_E_NS1_11comp_targetILNS1_3genE10ELNS1_11target_archE1201ELNS1_3gpuE5ELNS1_3repE0EEENS1_30default_config_static_selectorELNS0_4arch9wavefront6targetE1EEEvT1_,comdat
	.protected	_ZN7rocprim17ROCPRIM_400000_NS6detail17trampoline_kernelINS0_14default_configENS1_20scan_config_selectorIsEEZZNS1_9scan_implILNS1_25lookback_scan_determinismE0ELb1ELb1ES3_N6thrust23THRUST_200600_302600_NS6detail15normal_iteratorINS9_10device_ptrIsEEEESE_sNS9_4plusIsEEsEEDaPvRmT3_T4_T5_mT6_P12ihipStream_tbENKUlT_T0_E_clISt17integral_constantIbLb1EEST_IbLb0EEEEDaSP_SQ_EUlSP_E_NS1_11comp_targetILNS1_3genE10ELNS1_11target_archE1201ELNS1_3gpuE5ELNS1_3repE0EEENS1_30default_config_static_selectorELNS0_4arch9wavefront6targetE1EEEvT1_ ; -- Begin function _ZN7rocprim17ROCPRIM_400000_NS6detail17trampoline_kernelINS0_14default_configENS1_20scan_config_selectorIsEEZZNS1_9scan_implILNS1_25lookback_scan_determinismE0ELb1ELb1ES3_N6thrust23THRUST_200600_302600_NS6detail15normal_iteratorINS9_10device_ptrIsEEEESE_sNS9_4plusIsEEsEEDaPvRmT3_T4_T5_mT6_P12ihipStream_tbENKUlT_T0_E_clISt17integral_constantIbLb1EEST_IbLb0EEEEDaSP_SQ_EUlSP_E_NS1_11comp_targetILNS1_3genE10ELNS1_11target_archE1201ELNS1_3gpuE5ELNS1_3repE0EEENS1_30default_config_static_selectorELNS0_4arch9wavefront6targetE1EEEvT1_
	.globl	_ZN7rocprim17ROCPRIM_400000_NS6detail17trampoline_kernelINS0_14default_configENS1_20scan_config_selectorIsEEZZNS1_9scan_implILNS1_25lookback_scan_determinismE0ELb1ELb1ES3_N6thrust23THRUST_200600_302600_NS6detail15normal_iteratorINS9_10device_ptrIsEEEESE_sNS9_4plusIsEEsEEDaPvRmT3_T4_T5_mT6_P12ihipStream_tbENKUlT_T0_E_clISt17integral_constantIbLb1EEST_IbLb0EEEEDaSP_SQ_EUlSP_E_NS1_11comp_targetILNS1_3genE10ELNS1_11target_archE1201ELNS1_3gpuE5ELNS1_3repE0EEENS1_30default_config_static_selectorELNS0_4arch9wavefront6targetE1EEEvT1_
	.p2align	8
	.type	_ZN7rocprim17ROCPRIM_400000_NS6detail17trampoline_kernelINS0_14default_configENS1_20scan_config_selectorIsEEZZNS1_9scan_implILNS1_25lookback_scan_determinismE0ELb1ELb1ES3_N6thrust23THRUST_200600_302600_NS6detail15normal_iteratorINS9_10device_ptrIsEEEESE_sNS9_4plusIsEEsEEDaPvRmT3_T4_T5_mT6_P12ihipStream_tbENKUlT_T0_E_clISt17integral_constantIbLb1EEST_IbLb0EEEEDaSP_SQ_EUlSP_E_NS1_11comp_targetILNS1_3genE10ELNS1_11target_archE1201ELNS1_3gpuE5ELNS1_3repE0EEENS1_30default_config_static_selectorELNS0_4arch9wavefront6targetE1EEEvT1_,@function
_ZN7rocprim17ROCPRIM_400000_NS6detail17trampoline_kernelINS0_14default_configENS1_20scan_config_selectorIsEEZZNS1_9scan_implILNS1_25lookback_scan_determinismE0ELb1ELb1ES3_N6thrust23THRUST_200600_302600_NS6detail15normal_iteratorINS9_10device_ptrIsEEEESE_sNS9_4plusIsEEsEEDaPvRmT3_T4_T5_mT6_P12ihipStream_tbENKUlT_T0_E_clISt17integral_constantIbLb1EEST_IbLb0EEEEDaSP_SQ_EUlSP_E_NS1_11comp_targetILNS1_3genE10ELNS1_11target_archE1201ELNS1_3gpuE5ELNS1_3repE0EEENS1_30default_config_static_selectorELNS0_4arch9wavefront6targetE1EEEvT1_: ; @_ZN7rocprim17ROCPRIM_400000_NS6detail17trampoline_kernelINS0_14default_configENS1_20scan_config_selectorIsEEZZNS1_9scan_implILNS1_25lookback_scan_determinismE0ELb1ELb1ES3_N6thrust23THRUST_200600_302600_NS6detail15normal_iteratorINS9_10device_ptrIsEEEESE_sNS9_4plusIsEEsEEDaPvRmT3_T4_T5_mT6_P12ihipStream_tbENKUlT_T0_E_clISt17integral_constantIbLb1EEST_IbLb0EEEEDaSP_SQ_EUlSP_E_NS1_11comp_targetILNS1_3genE10ELNS1_11target_archE1201ELNS1_3gpuE5ELNS1_3repE0EEENS1_30default_config_static_selectorELNS0_4arch9wavefront6targetE1EEEvT1_
; %bb.0:
	.section	.rodata,"a",@progbits
	.p2align	6, 0x0
	.amdhsa_kernel _ZN7rocprim17ROCPRIM_400000_NS6detail17trampoline_kernelINS0_14default_configENS1_20scan_config_selectorIsEEZZNS1_9scan_implILNS1_25lookback_scan_determinismE0ELb1ELb1ES3_N6thrust23THRUST_200600_302600_NS6detail15normal_iteratorINS9_10device_ptrIsEEEESE_sNS9_4plusIsEEsEEDaPvRmT3_T4_T5_mT6_P12ihipStream_tbENKUlT_T0_E_clISt17integral_constantIbLb1EEST_IbLb0EEEEDaSP_SQ_EUlSP_E_NS1_11comp_targetILNS1_3genE10ELNS1_11target_archE1201ELNS1_3gpuE5ELNS1_3repE0EEENS1_30default_config_static_selectorELNS0_4arch9wavefront6targetE1EEEvT1_
		.amdhsa_group_segment_fixed_size 0
		.amdhsa_private_segment_fixed_size 0
		.amdhsa_kernarg_size 96
		.amdhsa_user_sgpr_count 6
		.amdhsa_user_sgpr_private_segment_buffer 1
		.amdhsa_user_sgpr_dispatch_ptr 0
		.amdhsa_user_sgpr_queue_ptr 0
		.amdhsa_user_sgpr_kernarg_segment_ptr 1
		.amdhsa_user_sgpr_dispatch_id 0
		.amdhsa_user_sgpr_flat_scratch_init 0
		.amdhsa_user_sgpr_kernarg_preload_length 0
		.amdhsa_user_sgpr_kernarg_preload_offset 0
		.amdhsa_user_sgpr_private_segment_size 0
		.amdhsa_uses_dynamic_stack 0
		.amdhsa_system_sgpr_private_segment_wavefront_offset 0
		.amdhsa_system_sgpr_workgroup_id_x 1
		.amdhsa_system_sgpr_workgroup_id_y 0
		.amdhsa_system_sgpr_workgroup_id_z 0
		.amdhsa_system_sgpr_workgroup_info 0
		.amdhsa_system_vgpr_workitem_id 0
		.amdhsa_next_free_vgpr 1
		.amdhsa_next_free_sgpr 0
		.amdhsa_accum_offset 4
		.amdhsa_reserve_vcc 0
		.amdhsa_reserve_flat_scratch 0
		.amdhsa_float_round_mode_32 0
		.amdhsa_float_round_mode_16_64 0
		.amdhsa_float_denorm_mode_32 3
		.amdhsa_float_denorm_mode_16_64 3
		.amdhsa_dx10_clamp 1
		.amdhsa_ieee_mode 1
		.amdhsa_fp16_overflow 0
		.amdhsa_tg_split 0
		.amdhsa_exception_fp_ieee_invalid_op 0
		.amdhsa_exception_fp_denorm_src 0
		.amdhsa_exception_fp_ieee_div_zero 0
		.amdhsa_exception_fp_ieee_overflow 0
		.amdhsa_exception_fp_ieee_underflow 0
		.amdhsa_exception_fp_ieee_inexact 0
		.amdhsa_exception_int_div_zero 0
	.end_amdhsa_kernel
	.section	.text._ZN7rocprim17ROCPRIM_400000_NS6detail17trampoline_kernelINS0_14default_configENS1_20scan_config_selectorIsEEZZNS1_9scan_implILNS1_25lookback_scan_determinismE0ELb1ELb1ES3_N6thrust23THRUST_200600_302600_NS6detail15normal_iteratorINS9_10device_ptrIsEEEESE_sNS9_4plusIsEEsEEDaPvRmT3_T4_T5_mT6_P12ihipStream_tbENKUlT_T0_E_clISt17integral_constantIbLb1EEST_IbLb0EEEEDaSP_SQ_EUlSP_E_NS1_11comp_targetILNS1_3genE10ELNS1_11target_archE1201ELNS1_3gpuE5ELNS1_3repE0EEENS1_30default_config_static_selectorELNS0_4arch9wavefront6targetE1EEEvT1_,"axG",@progbits,_ZN7rocprim17ROCPRIM_400000_NS6detail17trampoline_kernelINS0_14default_configENS1_20scan_config_selectorIsEEZZNS1_9scan_implILNS1_25lookback_scan_determinismE0ELb1ELb1ES3_N6thrust23THRUST_200600_302600_NS6detail15normal_iteratorINS9_10device_ptrIsEEEESE_sNS9_4plusIsEEsEEDaPvRmT3_T4_T5_mT6_P12ihipStream_tbENKUlT_T0_E_clISt17integral_constantIbLb1EEST_IbLb0EEEEDaSP_SQ_EUlSP_E_NS1_11comp_targetILNS1_3genE10ELNS1_11target_archE1201ELNS1_3gpuE5ELNS1_3repE0EEENS1_30default_config_static_selectorELNS0_4arch9wavefront6targetE1EEEvT1_,comdat
.Lfunc_end1236:
	.size	_ZN7rocprim17ROCPRIM_400000_NS6detail17trampoline_kernelINS0_14default_configENS1_20scan_config_selectorIsEEZZNS1_9scan_implILNS1_25lookback_scan_determinismE0ELb1ELb1ES3_N6thrust23THRUST_200600_302600_NS6detail15normal_iteratorINS9_10device_ptrIsEEEESE_sNS9_4plusIsEEsEEDaPvRmT3_T4_T5_mT6_P12ihipStream_tbENKUlT_T0_E_clISt17integral_constantIbLb1EEST_IbLb0EEEEDaSP_SQ_EUlSP_E_NS1_11comp_targetILNS1_3genE10ELNS1_11target_archE1201ELNS1_3gpuE5ELNS1_3repE0EEENS1_30default_config_static_selectorELNS0_4arch9wavefront6targetE1EEEvT1_, .Lfunc_end1236-_ZN7rocprim17ROCPRIM_400000_NS6detail17trampoline_kernelINS0_14default_configENS1_20scan_config_selectorIsEEZZNS1_9scan_implILNS1_25lookback_scan_determinismE0ELb1ELb1ES3_N6thrust23THRUST_200600_302600_NS6detail15normal_iteratorINS9_10device_ptrIsEEEESE_sNS9_4plusIsEEsEEDaPvRmT3_T4_T5_mT6_P12ihipStream_tbENKUlT_T0_E_clISt17integral_constantIbLb1EEST_IbLb0EEEEDaSP_SQ_EUlSP_E_NS1_11comp_targetILNS1_3genE10ELNS1_11target_archE1201ELNS1_3gpuE5ELNS1_3repE0EEENS1_30default_config_static_selectorELNS0_4arch9wavefront6targetE1EEEvT1_
                                        ; -- End function
	.section	.AMDGPU.csdata,"",@progbits
; Kernel info:
; codeLenInByte = 0
; NumSgprs: 4
; NumVgprs: 0
; NumAgprs: 0
; TotalNumVgprs: 0
; ScratchSize: 0
; MemoryBound: 0
; FloatMode: 240
; IeeeMode: 1
; LDSByteSize: 0 bytes/workgroup (compile time only)
; SGPRBlocks: 0
; VGPRBlocks: 0
; NumSGPRsForWavesPerEU: 4
; NumVGPRsForWavesPerEU: 1
; AccumOffset: 4
; Occupancy: 8
; WaveLimiterHint : 0
; COMPUTE_PGM_RSRC2:SCRATCH_EN: 0
; COMPUTE_PGM_RSRC2:USER_SGPR: 6
; COMPUTE_PGM_RSRC2:TRAP_HANDLER: 0
; COMPUTE_PGM_RSRC2:TGID_X_EN: 1
; COMPUTE_PGM_RSRC2:TGID_Y_EN: 0
; COMPUTE_PGM_RSRC2:TGID_Z_EN: 0
; COMPUTE_PGM_RSRC2:TIDIG_COMP_CNT: 0
; COMPUTE_PGM_RSRC3_GFX90A:ACCUM_OFFSET: 0
; COMPUTE_PGM_RSRC3_GFX90A:TG_SPLIT: 0
	.section	.text._ZN7rocprim17ROCPRIM_400000_NS6detail17trampoline_kernelINS0_14default_configENS1_20scan_config_selectorIsEEZZNS1_9scan_implILNS1_25lookback_scan_determinismE0ELb1ELb1ES3_N6thrust23THRUST_200600_302600_NS6detail15normal_iteratorINS9_10device_ptrIsEEEESE_sNS9_4plusIsEEsEEDaPvRmT3_T4_T5_mT6_P12ihipStream_tbENKUlT_T0_E_clISt17integral_constantIbLb1EEST_IbLb0EEEEDaSP_SQ_EUlSP_E_NS1_11comp_targetILNS1_3genE10ELNS1_11target_archE1200ELNS1_3gpuE4ELNS1_3repE0EEENS1_30default_config_static_selectorELNS0_4arch9wavefront6targetE1EEEvT1_,"axG",@progbits,_ZN7rocprim17ROCPRIM_400000_NS6detail17trampoline_kernelINS0_14default_configENS1_20scan_config_selectorIsEEZZNS1_9scan_implILNS1_25lookback_scan_determinismE0ELb1ELb1ES3_N6thrust23THRUST_200600_302600_NS6detail15normal_iteratorINS9_10device_ptrIsEEEESE_sNS9_4plusIsEEsEEDaPvRmT3_T4_T5_mT6_P12ihipStream_tbENKUlT_T0_E_clISt17integral_constantIbLb1EEST_IbLb0EEEEDaSP_SQ_EUlSP_E_NS1_11comp_targetILNS1_3genE10ELNS1_11target_archE1200ELNS1_3gpuE4ELNS1_3repE0EEENS1_30default_config_static_selectorELNS0_4arch9wavefront6targetE1EEEvT1_,comdat
	.protected	_ZN7rocprim17ROCPRIM_400000_NS6detail17trampoline_kernelINS0_14default_configENS1_20scan_config_selectorIsEEZZNS1_9scan_implILNS1_25lookback_scan_determinismE0ELb1ELb1ES3_N6thrust23THRUST_200600_302600_NS6detail15normal_iteratorINS9_10device_ptrIsEEEESE_sNS9_4plusIsEEsEEDaPvRmT3_T4_T5_mT6_P12ihipStream_tbENKUlT_T0_E_clISt17integral_constantIbLb1EEST_IbLb0EEEEDaSP_SQ_EUlSP_E_NS1_11comp_targetILNS1_3genE10ELNS1_11target_archE1200ELNS1_3gpuE4ELNS1_3repE0EEENS1_30default_config_static_selectorELNS0_4arch9wavefront6targetE1EEEvT1_ ; -- Begin function _ZN7rocprim17ROCPRIM_400000_NS6detail17trampoline_kernelINS0_14default_configENS1_20scan_config_selectorIsEEZZNS1_9scan_implILNS1_25lookback_scan_determinismE0ELb1ELb1ES3_N6thrust23THRUST_200600_302600_NS6detail15normal_iteratorINS9_10device_ptrIsEEEESE_sNS9_4plusIsEEsEEDaPvRmT3_T4_T5_mT6_P12ihipStream_tbENKUlT_T0_E_clISt17integral_constantIbLb1EEST_IbLb0EEEEDaSP_SQ_EUlSP_E_NS1_11comp_targetILNS1_3genE10ELNS1_11target_archE1200ELNS1_3gpuE4ELNS1_3repE0EEENS1_30default_config_static_selectorELNS0_4arch9wavefront6targetE1EEEvT1_
	.globl	_ZN7rocprim17ROCPRIM_400000_NS6detail17trampoline_kernelINS0_14default_configENS1_20scan_config_selectorIsEEZZNS1_9scan_implILNS1_25lookback_scan_determinismE0ELb1ELb1ES3_N6thrust23THRUST_200600_302600_NS6detail15normal_iteratorINS9_10device_ptrIsEEEESE_sNS9_4plusIsEEsEEDaPvRmT3_T4_T5_mT6_P12ihipStream_tbENKUlT_T0_E_clISt17integral_constantIbLb1EEST_IbLb0EEEEDaSP_SQ_EUlSP_E_NS1_11comp_targetILNS1_3genE10ELNS1_11target_archE1200ELNS1_3gpuE4ELNS1_3repE0EEENS1_30default_config_static_selectorELNS0_4arch9wavefront6targetE1EEEvT1_
	.p2align	8
	.type	_ZN7rocprim17ROCPRIM_400000_NS6detail17trampoline_kernelINS0_14default_configENS1_20scan_config_selectorIsEEZZNS1_9scan_implILNS1_25lookback_scan_determinismE0ELb1ELb1ES3_N6thrust23THRUST_200600_302600_NS6detail15normal_iteratorINS9_10device_ptrIsEEEESE_sNS9_4plusIsEEsEEDaPvRmT3_T4_T5_mT6_P12ihipStream_tbENKUlT_T0_E_clISt17integral_constantIbLb1EEST_IbLb0EEEEDaSP_SQ_EUlSP_E_NS1_11comp_targetILNS1_3genE10ELNS1_11target_archE1200ELNS1_3gpuE4ELNS1_3repE0EEENS1_30default_config_static_selectorELNS0_4arch9wavefront6targetE1EEEvT1_,@function
_ZN7rocprim17ROCPRIM_400000_NS6detail17trampoline_kernelINS0_14default_configENS1_20scan_config_selectorIsEEZZNS1_9scan_implILNS1_25lookback_scan_determinismE0ELb1ELb1ES3_N6thrust23THRUST_200600_302600_NS6detail15normal_iteratorINS9_10device_ptrIsEEEESE_sNS9_4plusIsEEsEEDaPvRmT3_T4_T5_mT6_P12ihipStream_tbENKUlT_T0_E_clISt17integral_constantIbLb1EEST_IbLb0EEEEDaSP_SQ_EUlSP_E_NS1_11comp_targetILNS1_3genE10ELNS1_11target_archE1200ELNS1_3gpuE4ELNS1_3repE0EEENS1_30default_config_static_selectorELNS0_4arch9wavefront6targetE1EEEvT1_: ; @_ZN7rocprim17ROCPRIM_400000_NS6detail17trampoline_kernelINS0_14default_configENS1_20scan_config_selectorIsEEZZNS1_9scan_implILNS1_25lookback_scan_determinismE0ELb1ELb1ES3_N6thrust23THRUST_200600_302600_NS6detail15normal_iteratorINS9_10device_ptrIsEEEESE_sNS9_4plusIsEEsEEDaPvRmT3_T4_T5_mT6_P12ihipStream_tbENKUlT_T0_E_clISt17integral_constantIbLb1EEST_IbLb0EEEEDaSP_SQ_EUlSP_E_NS1_11comp_targetILNS1_3genE10ELNS1_11target_archE1200ELNS1_3gpuE4ELNS1_3repE0EEENS1_30default_config_static_selectorELNS0_4arch9wavefront6targetE1EEEvT1_
; %bb.0:
	.section	.rodata,"a",@progbits
	.p2align	6, 0x0
	.amdhsa_kernel _ZN7rocprim17ROCPRIM_400000_NS6detail17trampoline_kernelINS0_14default_configENS1_20scan_config_selectorIsEEZZNS1_9scan_implILNS1_25lookback_scan_determinismE0ELb1ELb1ES3_N6thrust23THRUST_200600_302600_NS6detail15normal_iteratorINS9_10device_ptrIsEEEESE_sNS9_4plusIsEEsEEDaPvRmT3_T4_T5_mT6_P12ihipStream_tbENKUlT_T0_E_clISt17integral_constantIbLb1EEST_IbLb0EEEEDaSP_SQ_EUlSP_E_NS1_11comp_targetILNS1_3genE10ELNS1_11target_archE1200ELNS1_3gpuE4ELNS1_3repE0EEENS1_30default_config_static_selectorELNS0_4arch9wavefront6targetE1EEEvT1_
		.amdhsa_group_segment_fixed_size 0
		.amdhsa_private_segment_fixed_size 0
		.amdhsa_kernarg_size 96
		.amdhsa_user_sgpr_count 6
		.amdhsa_user_sgpr_private_segment_buffer 1
		.amdhsa_user_sgpr_dispatch_ptr 0
		.amdhsa_user_sgpr_queue_ptr 0
		.amdhsa_user_sgpr_kernarg_segment_ptr 1
		.amdhsa_user_sgpr_dispatch_id 0
		.amdhsa_user_sgpr_flat_scratch_init 0
		.amdhsa_user_sgpr_kernarg_preload_length 0
		.amdhsa_user_sgpr_kernarg_preload_offset 0
		.amdhsa_user_sgpr_private_segment_size 0
		.amdhsa_uses_dynamic_stack 0
		.amdhsa_system_sgpr_private_segment_wavefront_offset 0
		.amdhsa_system_sgpr_workgroup_id_x 1
		.amdhsa_system_sgpr_workgroup_id_y 0
		.amdhsa_system_sgpr_workgroup_id_z 0
		.amdhsa_system_sgpr_workgroup_info 0
		.amdhsa_system_vgpr_workitem_id 0
		.amdhsa_next_free_vgpr 1
		.amdhsa_next_free_sgpr 0
		.amdhsa_accum_offset 4
		.amdhsa_reserve_vcc 0
		.amdhsa_reserve_flat_scratch 0
		.amdhsa_float_round_mode_32 0
		.amdhsa_float_round_mode_16_64 0
		.amdhsa_float_denorm_mode_32 3
		.amdhsa_float_denorm_mode_16_64 3
		.amdhsa_dx10_clamp 1
		.amdhsa_ieee_mode 1
		.amdhsa_fp16_overflow 0
		.amdhsa_tg_split 0
		.amdhsa_exception_fp_ieee_invalid_op 0
		.amdhsa_exception_fp_denorm_src 0
		.amdhsa_exception_fp_ieee_div_zero 0
		.amdhsa_exception_fp_ieee_overflow 0
		.amdhsa_exception_fp_ieee_underflow 0
		.amdhsa_exception_fp_ieee_inexact 0
		.amdhsa_exception_int_div_zero 0
	.end_amdhsa_kernel
	.section	.text._ZN7rocprim17ROCPRIM_400000_NS6detail17trampoline_kernelINS0_14default_configENS1_20scan_config_selectorIsEEZZNS1_9scan_implILNS1_25lookback_scan_determinismE0ELb1ELb1ES3_N6thrust23THRUST_200600_302600_NS6detail15normal_iteratorINS9_10device_ptrIsEEEESE_sNS9_4plusIsEEsEEDaPvRmT3_T4_T5_mT6_P12ihipStream_tbENKUlT_T0_E_clISt17integral_constantIbLb1EEST_IbLb0EEEEDaSP_SQ_EUlSP_E_NS1_11comp_targetILNS1_3genE10ELNS1_11target_archE1200ELNS1_3gpuE4ELNS1_3repE0EEENS1_30default_config_static_selectorELNS0_4arch9wavefront6targetE1EEEvT1_,"axG",@progbits,_ZN7rocprim17ROCPRIM_400000_NS6detail17trampoline_kernelINS0_14default_configENS1_20scan_config_selectorIsEEZZNS1_9scan_implILNS1_25lookback_scan_determinismE0ELb1ELb1ES3_N6thrust23THRUST_200600_302600_NS6detail15normal_iteratorINS9_10device_ptrIsEEEESE_sNS9_4plusIsEEsEEDaPvRmT3_T4_T5_mT6_P12ihipStream_tbENKUlT_T0_E_clISt17integral_constantIbLb1EEST_IbLb0EEEEDaSP_SQ_EUlSP_E_NS1_11comp_targetILNS1_3genE10ELNS1_11target_archE1200ELNS1_3gpuE4ELNS1_3repE0EEENS1_30default_config_static_selectorELNS0_4arch9wavefront6targetE1EEEvT1_,comdat
.Lfunc_end1237:
	.size	_ZN7rocprim17ROCPRIM_400000_NS6detail17trampoline_kernelINS0_14default_configENS1_20scan_config_selectorIsEEZZNS1_9scan_implILNS1_25lookback_scan_determinismE0ELb1ELb1ES3_N6thrust23THRUST_200600_302600_NS6detail15normal_iteratorINS9_10device_ptrIsEEEESE_sNS9_4plusIsEEsEEDaPvRmT3_T4_T5_mT6_P12ihipStream_tbENKUlT_T0_E_clISt17integral_constantIbLb1EEST_IbLb0EEEEDaSP_SQ_EUlSP_E_NS1_11comp_targetILNS1_3genE10ELNS1_11target_archE1200ELNS1_3gpuE4ELNS1_3repE0EEENS1_30default_config_static_selectorELNS0_4arch9wavefront6targetE1EEEvT1_, .Lfunc_end1237-_ZN7rocprim17ROCPRIM_400000_NS6detail17trampoline_kernelINS0_14default_configENS1_20scan_config_selectorIsEEZZNS1_9scan_implILNS1_25lookback_scan_determinismE0ELb1ELb1ES3_N6thrust23THRUST_200600_302600_NS6detail15normal_iteratorINS9_10device_ptrIsEEEESE_sNS9_4plusIsEEsEEDaPvRmT3_T4_T5_mT6_P12ihipStream_tbENKUlT_T0_E_clISt17integral_constantIbLb1EEST_IbLb0EEEEDaSP_SQ_EUlSP_E_NS1_11comp_targetILNS1_3genE10ELNS1_11target_archE1200ELNS1_3gpuE4ELNS1_3repE0EEENS1_30default_config_static_selectorELNS0_4arch9wavefront6targetE1EEEvT1_
                                        ; -- End function
	.section	.AMDGPU.csdata,"",@progbits
; Kernel info:
; codeLenInByte = 0
; NumSgprs: 4
; NumVgprs: 0
; NumAgprs: 0
; TotalNumVgprs: 0
; ScratchSize: 0
; MemoryBound: 0
; FloatMode: 240
; IeeeMode: 1
; LDSByteSize: 0 bytes/workgroup (compile time only)
; SGPRBlocks: 0
; VGPRBlocks: 0
; NumSGPRsForWavesPerEU: 4
; NumVGPRsForWavesPerEU: 1
; AccumOffset: 4
; Occupancy: 8
; WaveLimiterHint : 0
; COMPUTE_PGM_RSRC2:SCRATCH_EN: 0
; COMPUTE_PGM_RSRC2:USER_SGPR: 6
; COMPUTE_PGM_RSRC2:TRAP_HANDLER: 0
; COMPUTE_PGM_RSRC2:TGID_X_EN: 1
; COMPUTE_PGM_RSRC2:TGID_Y_EN: 0
; COMPUTE_PGM_RSRC2:TGID_Z_EN: 0
; COMPUTE_PGM_RSRC2:TIDIG_COMP_CNT: 0
; COMPUTE_PGM_RSRC3_GFX90A:ACCUM_OFFSET: 0
; COMPUTE_PGM_RSRC3_GFX90A:TG_SPLIT: 0
	.section	.text._ZN7rocprim17ROCPRIM_400000_NS6detail17trampoline_kernelINS0_14default_configENS1_20scan_config_selectorIsEEZZNS1_9scan_implILNS1_25lookback_scan_determinismE0ELb1ELb1ES3_N6thrust23THRUST_200600_302600_NS6detail15normal_iteratorINS9_10device_ptrIsEEEESE_sNS9_4plusIsEEsEEDaPvRmT3_T4_T5_mT6_P12ihipStream_tbENKUlT_T0_E_clISt17integral_constantIbLb1EEST_IbLb0EEEEDaSP_SQ_EUlSP_E_NS1_11comp_targetILNS1_3genE9ELNS1_11target_archE1100ELNS1_3gpuE3ELNS1_3repE0EEENS1_30default_config_static_selectorELNS0_4arch9wavefront6targetE1EEEvT1_,"axG",@progbits,_ZN7rocprim17ROCPRIM_400000_NS6detail17trampoline_kernelINS0_14default_configENS1_20scan_config_selectorIsEEZZNS1_9scan_implILNS1_25lookback_scan_determinismE0ELb1ELb1ES3_N6thrust23THRUST_200600_302600_NS6detail15normal_iteratorINS9_10device_ptrIsEEEESE_sNS9_4plusIsEEsEEDaPvRmT3_T4_T5_mT6_P12ihipStream_tbENKUlT_T0_E_clISt17integral_constantIbLb1EEST_IbLb0EEEEDaSP_SQ_EUlSP_E_NS1_11comp_targetILNS1_3genE9ELNS1_11target_archE1100ELNS1_3gpuE3ELNS1_3repE0EEENS1_30default_config_static_selectorELNS0_4arch9wavefront6targetE1EEEvT1_,comdat
	.protected	_ZN7rocprim17ROCPRIM_400000_NS6detail17trampoline_kernelINS0_14default_configENS1_20scan_config_selectorIsEEZZNS1_9scan_implILNS1_25lookback_scan_determinismE0ELb1ELb1ES3_N6thrust23THRUST_200600_302600_NS6detail15normal_iteratorINS9_10device_ptrIsEEEESE_sNS9_4plusIsEEsEEDaPvRmT3_T4_T5_mT6_P12ihipStream_tbENKUlT_T0_E_clISt17integral_constantIbLb1EEST_IbLb0EEEEDaSP_SQ_EUlSP_E_NS1_11comp_targetILNS1_3genE9ELNS1_11target_archE1100ELNS1_3gpuE3ELNS1_3repE0EEENS1_30default_config_static_selectorELNS0_4arch9wavefront6targetE1EEEvT1_ ; -- Begin function _ZN7rocprim17ROCPRIM_400000_NS6detail17trampoline_kernelINS0_14default_configENS1_20scan_config_selectorIsEEZZNS1_9scan_implILNS1_25lookback_scan_determinismE0ELb1ELb1ES3_N6thrust23THRUST_200600_302600_NS6detail15normal_iteratorINS9_10device_ptrIsEEEESE_sNS9_4plusIsEEsEEDaPvRmT3_T4_T5_mT6_P12ihipStream_tbENKUlT_T0_E_clISt17integral_constantIbLb1EEST_IbLb0EEEEDaSP_SQ_EUlSP_E_NS1_11comp_targetILNS1_3genE9ELNS1_11target_archE1100ELNS1_3gpuE3ELNS1_3repE0EEENS1_30default_config_static_selectorELNS0_4arch9wavefront6targetE1EEEvT1_
	.globl	_ZN7rocprim17ROCPRIM_400000_NS6detail17trampoline_kernelINS0_14default_configENS1_20scan_config_selectorIsEEZZNS1_9scan_implILNS1_25lookback_scan_determinismE0ELb1ELb1ES3_N6thrust23THRUST_200600_302600_NS6detail15normal_iteratorINS9_10device_ptrIsEEEESE_sNS9_4plusIsEEsEEDaPvRmT3_T4_T5_mT6_P12ihipStream_tbENKUlT_T0_E_clISt17integral_constantIbLb1EEST_IbLb0EEEEDaSP_SQ_EUlSP_E_NS1_11comp_targetILNS1_3genE9ELNS1_11target_archE1100ELNS1_3gpuE3ELNS1_3repE0EEENS1_30default_config_static_selectorELNS0_4arch9wavefront6targetE1EEEvT1_
	.p2align	8
	.type	_ZN7rocprim17ROCPRIM_400000_NS6detail17trampoline_kernelINS0_14default_configENS1_20scan_config_selectorIsEEZZNS1_9scan_implILNS1_25lookback_scan_determinismE0ELb1ELb1ES3_N6thrust23THRUST_200600_302600_NS6detail15normal_iteratorINS9_10device_ptrIsEEEESE_sNS9_4plusIsEEsEEDaPvRmT3_T4_T5_mT6_P12ihipStream_tbENKUlT_T0_E_clISt17integral_constantIbLb1EEST_IbLb0EEEEDaSP_SQ_EUlSP_E_NS1_11comp_targetILNS1_3genE9ELNS1_11target_archE1100ELNS1_3gpuE3ELNS1_3repE0EEENS1_30default_config_static_selectorELNS0_4arch9wavefront6targetE1EEEvT1_,@function
_ZN7rocprim17ROCPRIM_400000_NS6detail17trampoline_kernelINS0_14default_configENS1_20scan_config_selectorIsEEZZNS1_9scan_implILNS1_25lookback_scan_determinismE0ELb1ELb1ES3_N6thrust23THRUST_200600_302600_NS6detail15normal_iteratorINS9_10device_ptrIsEEEESE_sNS9_4plusIsEEsEEDaPvRmT3_T4_T5_mT6_P12ihipStream_tbENKUlT_T0_E_clISt17integral_constantIbLb1EEST_IbLb0EEEEDaSP_SQ_EUlSP_E_NS1_11comp_targetILNS1_3genE9ELNS1_11target_archE1100ELNS1_3gpuE3ELNS1_3repE0EEENS1_30default_config_static_selectorELNS0_4arch9wavefront6targetE1EEEvT1_: ; @_ZN7rocprim17ROCPRIM_400000_NS6detail17trampoline_kernelINS0_14default_configENS1_20scan_config_selectorIsEEZZNS1_9scan_implILNS1_25lookback_scan_determinismE0ELb1ELb1ES3_N6thrust23THRUST_200600_302600_NS6detail15normal_iteratorINS9_10device_ptrIsEEEESE_sNS9_4plusIsEEsEEDaPvRmT3_T4_T5_mT6_P12ihipStream_tbENKUlT_T0_E_clISt17integral_constantIbLb1EEST_IbLb0EEEEDaSP_SQ_EUlSP_E_NS1_11comp_targetILNS1_3genE9ELNS1_11target_archE1100ELNS1_3gpuE3ELNS1_3repE0EEENS1_30default_config_static_selectorELNS0_4arch9wavefront6targetE1EEEvT1_
; %bb.0:
	.section	.rodata,"a",@progbits
	.p2align	6, 0x0
	.amdhsa_kernel _ZN7rocprim17ROCPRIM_400000_NS6detail17trampoline_kernelINS0_14default_configENS1_20scan_config_selectorIsEEZZNS1_9scan_implILNS1_25lookback_scan_determinismE0ELb1ELb1ES3_N6thrust23THRUST_200600_302600_NS6detail15normal_iteratorINS9_10device_ptrIsEEEESE_sNS9_4plusIsEEsEEDaPvRmT3_T4_T5_mT6_P12ihipStream_tbENKUlT_T0_E_clISt17integral_constantIbLb1EEST_IbLb0EEEEDaSP_SQ_EUlSP_E_NS1_11comp_targetILNS1_3genE9ELNS1_11target_archE1100ELNS1_3gpuE3ELNS1_3repE0EEENS1_30default_config_static_selectorELNS0_4arch9wavefront6targetE1EEEvT1_
		.amdhsa_group_segment_fixed_size 0
		.amdhsa_private_segment_fixed_size 0
		.amdhsa_kernarg_size 96
		.amdhsa_user_sgpr_count 6
		.amdhsa_user_sgpr_private_segment_buffer 1
		.amdhsa_user_sgpr_dispatch_ptr 0
		.amdhsa_user_sgpr_queue_ptr 0
		.amdhsa_user_sgpr_kernarg_segment_ptr 1
		.amdhsa_user_sgpr_dispatch_id 0
		.amdhsa_user_sgpr_flat_scratch_init 0
		.amdhsa_user_sgpr_kernarg_preload_length 0
		.amdhsa_user_sgpr_kernarg_preload_offset 0
		.amdhsa_user_sgpr_private_segment_size 0
		.amdhsa_uses_dynamic_stack 0
		.amdhsa_system_sgpr_private_segment_wavefront_offset 0
		.amdhsa_system_sgpr_workgroup_id_x 1
		.amdhsa_system_sgpr_workgroup_id_y 0
		.amdhsa_system_sgpr_workgroup_id_z 0
		.amdhsa_system_sgpr_workgroup_info 0
		.amdhsa_system_vgpr_workitem_id 0
		.amdhsa_next_free_vgpr 1
		.amdhsa_next_free_sgpr 0
		.amdhsa_accum_offset 4
		.amdhsa_reserve_vcc 0
		.amdhsa_reserve_flat_scratch 0
		.amdhsa_float_round_mode_32 0
		.amdhsa_float_round_mode_16_64 0
		.amdhsa_float_denorm_mode_32 3
		.amdhsa_float_denorm_mode_16_64 3
		.amdhsa_dx10_clamp 1
		.amdhsa_ieee_mode 1
		.amdhsa_fp16_overflow 0
		.amdhsa_tg_split 0
		.amdhsa_exception_fp_ieee_invalid_op 0
		.amdhsa_exception_fp_denorm_src 0
		.amdhsa_exception_fp_ieee_div_zero 0
		.amdhsa_exception_fp_ieee_overflow 0
		.amdhsa_exception_fp_ieee_underflow 0
		.amdhsa_exception_fp_ieee_inexact 0
		.amdhsa_exception_int_div_zero 0
	.end_amdhsa_kernel
	.section	.text._ZN7rocprim17ROCPRIM_400000_NS6detail17trampoline_kernelINS0_14default_configENS1_20scan_config_selectorIsEEZZNS1_9scan_implILNS1_25lookback_scan_determinismE0ELb1ELb1ES3_N6thrust23THRUST_200600_302600_NS6detail15normal_iteratorINS9_10device_ptrIsEEEESE_sNS9_4plusIsEEsEEDaPvRmT3_T4_T5_mT6_P12ihipStream_tbENKUlT_T0_E_clISt17integral_constantIbLb1EEST_IbLb0EEEEDaSP_SQ_EUlSP_E_NS1_11comp_targetILNS1_3genE9ELNS1_11target_archE1100ELNS1_3gpuE3ELNS1_3repE0EEENS1_30default_config_static_selectorELNS0_4arch9wavefront6targetE1EEEvT1_,"axG",@progbits,_ZN7rocprim17ROCPRIM_400000_NS6detail17trampoline_kernelINS0_14default_configENS1_20scan_config_selectorIsEEZZNS1_9scan_implILNS1_25lookback_scan_determinismE0ELb1ELb1ES3_N6thrust23THRUST_200600_302600_NS6detail15normal_iteratorINS9_10device_ptrIsEEEESE_sNS9_4plusIsEEsEEDaPvRmT3_T4_T5_mT6_P12ihipStream_tbENKUlT_T0_E_clISt17integral_constantIbLb1EEST_IbLb0EEEEDaSP_SQ_EUlSP_E_NS1_11comp_targetILNS1_3genE9ELNS1_11target_archE1100ELNS1_3gpuE3ELNS1_3repE0EEENS1_30default_config_static_selectorELNS0_4arch9wavefront6targetE1EEEvT1_,comdat
.Lfunc_end1238:
	.size	_ZN7rocprim17ROCPRIM_400000_NS6detail17trampoline_kernelINS0_14default_configENS1_20scan_config_selectorIsEEZZNS1_9scan_implILNS1_25lookback_scan_determinismE0ELb1ELb1ES3_N6thrust23THRUST_200600_302600_NS6detail15normal_iteratorINS9_10device_ptrIsEEEESE_sNS9_4plusIsEEsEEDaPvRmT3_T4_T5_mT6_P12ihipStream_tbENKUlT_T0_E_clISt17integral_constantIbLb1EEST_IbLb0EEEEDaSP_SQ_EUlSP_E_NS1_11comp_targetILNS1_3genE9ELNS1_11target_archE1100ELNS1_3gpuE3ELNS1_3repE0EEENS1_30default_config_static_selectorELNS0_4arch9wavefront6targetE1EEEvT1_, .Lfunc_end1238-_ZN7rocprim17ROCPRIM_400000_NS6detail17trampoline_kernelINS0_14default_configENS1_20scan_config_selectorIsEEZZNS1_9scan_implILNS1_25lookback_scan_determinismE0ELb1ELb1ES3_N6thrust23THRUST_200600_302600_NS6detail15normal_iteratorINS9_10device_ptrIsEEEESE_sNS9_4plusIsEEsEEDaPvRmT3_T4_T5_mT6_P12ihipStream_tbENKUlT_T0_E_clISt17integral_constantIbLb1EEST_IbLb0EEEEDaSP_SQ_EUlSP_E_NS1_11comp_targetILNS1_3genE9ELNS1_11target_archE1100ELNS1_3gpuE3ELNS1_3repE0EEENS1_30default_config_static_selectorELNS0_4arch9wavefront6targetE1EEEvT1_
                                        ; -- End function
	.section	.AMDGPU.csdata,"",@progbits
; Kernel info:
; codeLenInByte = 0
; NumSgprs: 4
; NumVgprs: 0
; NumAgprs: 0
; TotalNumVgprs: 0
; ScratchSize: 0
; MemoryBound: 0
; FloatMode: 240
; IeeeMode: 1
; LDSByteSize: 0 bytes/workgroup (compile time only)
; SGPRBlocks: 0
; VGPRBlocks: 0
; NumSGPRsForWavesPerEU: 4
; NumVGPRsForWavesPerEU: 1
; AccumOffset: 4
; Occupancy: 8
; WaveLimiterHint : 0
; COMPUTE_PGM_RSRC2:SCRATCH_EN: 0
; COMPUTE_PGM_RSRC2:USER_SGPR: 6
; COMPUTE_PGM_RSRC2:TRAP_HANDLER: 0
; COMPUTE_PGM_RSRC2:TGID_X_EN: 1
; COMPUTE_PGM_RSRC2:TGID_Y_EN: 0
; COMPUTE_PGM_RSRC2:TGID_Z_EN: 0
; COMPUTE_PGM_RSRC2:TIDIG_COMP_CNT: 0
; COMPUTE_PGM_RSRC3_GFX90A:ACCUM_OFFSET: 0
; COMPUTE_PGM_RSRC3_GFX90A:TG_SPLIT: 0
	.section	.text._ZN7rocprim17ROCPRIM_400000_NS6detail17trampoline_kernelINS0_14default_configENS1_20scan_config_selectorIsEEZZNS1_9scan_implILNS1_25lookback_scan_determinismE0ELb1ELb1ES3_N6thrust23THRUST_200600_302600_NS6detail15normal_iteratorINS9_10device_ptrIsEEEESE_sNS9_4plusIsEEsEEDaPvRmT3_T4_T5_mT6_P12ihipStream_tbENKUlT_T0_E_clISt17integral_constantIbLb1EEST_IbLb0EEEEDaSP_SQ_EUlSP_E_NS1_11comp_targetILNS1_3genE8ELNS1_11target_archE1030ELNS1_3gpuE2ELNS1_3repE0EEENS1_30default_config_static_selectorELNS0_4arch9wavefront6targetE1EEEvT1_,"axG",@progbits,_ZN7rocprim17ROCPRIM_400000_NS6detail17trampoline_kernelINS0_14default_configENS1_20scan_config_selectorIsEEZZNS1_9scan_implILNS1_25lookback_scan_determinismE0ELb1ELb1ES3_N6thrust23THRUST_200600_302600_NS6detail15normal_iteratorINS9_10device_ptrIsEEEESE_sNS9_4plusIsEEsEEDaPvRmT3_T4_T5_mT6_P12ihipStream_tbENKUlT_T0_E_clISt17integral_constantIbLb1EEST_IbLb0EEEEDaSP_SQ_EUlSP_E_NS1_11comp_targetILNS1_3genE8ELNS1_11target_archE1030ELNS1_3gpuE2ELNS1_3repE0EEENS1_30default_config_static_selectorELNS0_4arch9wavefront6targetE1EEEvT1_,comdat
	.protected	_ZN7rocprim17ROCPRIM_400000_NS6detail17trampoline_kernelINS0_14default_configENS1_20scan_config_selectorIsEEZZNS1_9scan_implILNS1_25lookback_scan_determinismE0ELb1ELb1ES3_N6thrust23THRUST_200600_302600_NS6detail15normal_iteratorINS9_10device_ptrIsEEEESE_sNS9_4plusIsEEsEEDaPvRmT3_T4_T5_mT6_P12ihipStream_tbENKUlT_T0_E_clISt17integral_constantIbLb1EEST_IbLb0EEEEDaSP_SQ_EUlSP_E_NS1_11comp_targetILNS1_3genE8ELNS1_11target_archE1030ELNS1_3gpuE2ELNS1_3repE0EEENS1_30default_config_static_selectorELNS0_4arch9wavefront6targetE1EEEvT1_ ; -- Begin function _ZN7rocprim17ROCPRIM_400000_NS6detail17trampoline_kernelINS0_14default_configENS1_20scan_config_selectorIsEEZZNS1_9scan_implILNS1_25lookback_scan_determinismE0ELb1ELb1ES3_N6thrust23THRUST_200600_302600_NS6detail15normal_iteratorINS9_10device_ptrIsEEEESE_sNS9_4plusIsEEsEEDaPvRmT3_T4_T5_mT6_P12ihipStream_tbENKUlT_T0_E_clISt17integral_constantIbLb1EEST_IbLb0EEEEDaSP_SQ_EUlSP_E_NS1_11comp_targetILNS1_3genE8ELNS1_11target_archE1030ELNS1_3gpuE2ELNS1_3repE0EEENS1_30default_config_static_selectorELNS0_4arch9wavefront6targetE1EEEvT1_
	.globl	_ZN7rocprim17ROCPRIM_400000_NS6detail17trampoline_kernelINS0_14default_configENS1_20scan_config_selectorIsEEZZNS1_9scan_implILNS1_25lookback_scan_determinismE0ELb1ELb1ES3_N6thrust23THRUST_200600_302600_NS6detail15normal_iteratorINS9_10device_ptrIsEEEESE_sNS9_4plusIsEEsEEDaPvRmT3_T4_T5_mT6_P12ihipStream_tbENKUlT_T0_E_clISt17integral_constantIbLb1EEST_IbLb0EEEEDaSP_SQ_EUlSP_E_NS1_11comp_targetILNS1_3genE8ELNS1_11target_archE1030ELNS1_3gpuE2ELNS1_3repE0EEENS1_30default_config_static_selectorELNS0_4arch9wavefront6targetE1EEEvT1_
	.p2align	8
	.type	_ZN7rocprim17ROCPRIM_400000_NS6detail17trampoline_kernelINS0_14default_configENS1_20scan_config_selectorIsEEZZNS1_9scan_implILNS1_25lookback_scan_determinismE0ELb1ELb1ES3_N6thrust23THRUST_200600_302600_NS6detail15normal_iteratorINS9_10device_ptrIsEEEESE_sNS9_4plusIsEEsEEDaPvRmT3_T4_T5_mT6_P12ihipStream_tbENKUlT_T0_E_clISt17integral_constantIbLb1EEST_IbLb0EEEEDaSP_SQ_EUlSP_E_NS1_11comp_targetILNS1_3genE8ELNS1_11target_archE1030ELNS1_3gpuE2ELNS1_3repE0EEENS1_30default_config_static_selectorELNS0_4arch9wavefront6targetE1EEEvT1_,@function
_ZN7rocprim17ROCPRIM_400000_NS6detail17trampoline_kernelINS0_14default_configENS1_20scan_config_selectorIsEEZZNS1_9scan_implILNS1_25lookback_scan_determinismE0ELb1ELb1ES3_N6thrust23THRUST_200600_302600_NS6detail15normal_iteratorINS9_10device_ptrIsEEEESE_sNS9_4plusIsEEsEEDaPvRmT3_T4_T5_mT6_P12ihipStream_tbENKUlT_T0_E_clISt17integral_constantIbLb1EEST_IbLb0EEEEDaSP_SQ_EUlSP_E_NS1_11comp_targetILNS1_3genE8ELNS1_11target_archE1030ELNS1_3gpuE2ELNS1_3repE0EEENS1_30default_config_static_selectorELNS0_4arch9wavefront6targetE1EEEvT1_: ; @_ZN7rocprim17ROCPRIM_400000_NS6detail17trampoline_kernelINS0_14default_configENS1_20scan_config_selectorIsEEZZNS1_9scan_implILNS1_25lookback_scan_determinismE0ELb1ELb1ES3_N6thrust23THRUST_200600_302600_NS6detail15normal_iteratorINS9_10device_ptrIsEEEESE_sNS9_4plusIsEEsEEDaPvRmT3_T4_T5_mT6_P12ihipStream_tbENKUlT_T0_E_clISt17integral_constantIbLb1EEST_IbLb0EEEEDaSP_SQ_EUlSP_E_NS1_11comp_targetILNS1_3genE8ELNS1_11target_archE1030ELNS1_3gpuE2ELNS1_3repE0EEENS1_30default_config_static_selectorELNS0_4arch9wavefront6targetE1EEEvT1_
; %bb.0:
	.section	.rodata,"a",@progbits
	.p2align	6, 0x0
	.amdhsa_kernel _ZN7rocprim17ROCPRIM_400000_NS6detail17trampoline_kernelINS0_14default_configENS1_20scan_config_selectorIsEEZZNS1_9scan_implILNS1_25lookback_scan_determinismE0ELb1ELb1ES3_N6thrust23THRUST_200600_302600_NS6detail15normal_iteratorINS9_10device_ptrIsEEEESE_sNS9_4plusIsEEsEEDaPvRmT3_T4_T5_mT6_P12ihipStream_tbENKUlT_T0_E_clISt17integral_constantIbLb1EEST_IbLb0EEEEDaSP_SQ_EUlSP_E_NS1_11comp_targetILNS1_3genE8ELNS1_11target_archE1030ELNS1_3gpuE2ELNS1_3repE0EEENS1_30default_config_static_selectorELNS0_4arch9wavefront6targetE1EEEvT1_
		.amdhsa_group_segment_fixed_size 0
		.amdhsa_private_segment_fixed_size 0
		.amdhsa_kernarg_size 96
		.amdhsa_user_sgpr_count 6
		.amdhsa_user_sgpr_private_segment_buffer 1
		.amdhsa_user_sgpr_dispatch_ptr 0
		.amdhsa_user_sgpr_queue_ptr 0
		.amdhsa_user_sgpr_kernarg_segment_ptr 1
		.amdhsa_user_sgpr_dispatch_id 0
		.amdhsa_user_sgpr_flat_scratch_init 0
		.amdhsa_user_sgpr_kernarg_preload_length 0
		.amdhsa_user_sgpr_kernarg_preload_offset 0
		.amdhsa_user_sgpr_private_segment_size 0
		.amdhsa_uses_dynamic_stack 0
		.amdhsa_system_sgpr_private_segment_wavefront_offset 0
		.amdhsa_system_sgpr_workgroup_id_x 1
		.amdhsa_system_sgpr_workgroup_id_y 0
		.amdhsa_system_sgpr_workgroup_id_z 0
		.amdhsa_system_sgpr_workgroup_info 0
		.amdhsa_system_vgpr_workitem_id 0
		.amdhsa_next_free_vgpr 1
		.amdhsa_next_free_sgpr 0
		.amdhsa_accum_offset 4
		.amdhsa_reserve_vcc 0
		.amdhsa_reserve_flat_scratch 0
		.amdhsa_float_round_mode_32 0
		.amdhsa_float_round_mode_16_64 0
		.amdhsa_float_denorm_mode_32 3
		.amdhsa_float_denorm_mode_16_64 3
		.amdhsa_dx10_clamp 1
		.amdhsa_ieee_mode 1
		.amdhsa_fp16_overflow 0
		.amdhsa_tg_split 0
		.amdhsa_exception_fp_ieee_invalid_op 0
		.amdhsa_exception_fp_denorm_src 0
		.amdhsa_exception_fp_ieee_div_zero 0
		.amdhsa_exception_fp_ieee_overflow 0
		.amdhsa_exception_fp_ieee_underflow 0
		.amdhsa_exception_fp_ieee_inexact 0
		.amdhsa_exception_int_div_zero 0
	.end_amdhsa_kernel
	.section	.text._ZN7rocprim17ROCPRIM_400000_NS6detail17trampoline_kernelINS0_14default_configENS1_20scan_config_selectorIsEEZZNS1_9scan_implILNS1_25lookback_scan_determinismE0ELb1ELb1ES3_N6thrust23THRUST_200600_302600_NS6detail15normal_iteratorINS9_10device_ptrIsEEEESE_sNS9_4plusIsEEsEEDaPvRmT3_T4_T5_mT6_P12ihipStream_tbENKUlT_T0_E_clISt17integral_constantIbLb1EEST_IbLb0EEEEDaSP_SQ_EUlSP_E_NS1_11comp_targetILNS1_3genE8ELNS1_11target_archE1030ELNS1_3gpuE2ELNS1_3repE0EEENS1_30default_config_static_selectorELNS0_4arch9wavefront6targetE1EEEvT1_,"axG",@progbits,_ZN7rocprim17ROCPRIM_400000_NS6detail17trampoline_kernelINS0_14default_configENS1_20scan_config_selectorIsEEZZNS1_9scan_implILNS1_25lookback_scan_determinismE0ELb1ELb1ES3_N6thrust23THRUST_200600_302600_NS6detail15normal_iteratorINS9_10device_ptrIsEEEESE_sNS9_4plusIsEEsEEDaPvRmT3_T4_T5_mT6_P12ihipStream_tbENKUlT_T0_E_clISt17integral_constantIbLb1EEST_IbLb0EEEEDaSP_SQ_EUlSP_E_NS1_11comp_targetILNS1_3genE8ELNS1_11target_archE1030ELNS1_3gpuE2ELNS1_3repE0EEENS1_30default_config_static_selectorELNS0_4arch9wavefront6targetE1EEEvT1_,comdat
.Lfunc_end1239:
	.size	_ZN7rocprim17ROCPRIM_400000_NS6detail17trampoline_kernelINS0_14default_configENS1_20scan_config_selectorIsEEZZNS1_9scan_implILNS1_25lookback_scan_determinismE0ELb1ELb1ES3_N6thrust23THRUST_200600_302600_NS6detail15normal_iteratorINS9_10device_ptrIsEEEESE_sNS9_4plusIsEEsEEDaPvRmT3_T4_T5_mT6_P12ihipStream_tbENKUlT_T0_E_clISt17integral_constantIbLb1EEST_IbLb0EEEEDaSP_SQ_EUlSP_E_NS1_11comp_targetILNS1_3genE8ELNS1_11target_archE1030ELNS1_3gpuE2ELNS1_3repE0EEENS1_30default_config_static_selectorELNS0_4arch9wavefront6targetE1EEEvT1_, .Lfunc_end1239-_ZN7rocprim17ROCPRIM_400000_NS6detail17trampoline_kernelINS0_14default_configENS1_20scan_config_selectorIsEEZZNS1_9scan_implILNS1_25lookback_scan_determinismE0ELb1ELb1ES3_N6thrust23THRUST_200600_302600_NS6detail15normal_iteratorINS9_10device_ptrIsEEEESE_sNS9_4plusIsEEsEEDaPvRmT3_T4_T5_mT6_P12ihipStream_tbENKUlT_T0_E_clISt17integral_constantIbLb1EEST_IbLb0EEEEDaSP_SQ_EUlSP_E_NS1_11comp_targetILNS1_3genE8ELNS1_11target_archE1030ELNS1_3gpuE2ELNS1_3repE0EEENS1_30default_config_static_selectorELNS0_4arch9wavefront6targetE1EEEvT1_
                                        ; -- End function
	.section	.AMDGPU.csdata,"",@progbits
; Kernel info:
; codeLenInByte = 0
; NumSgprs: 4
; NumVgprs: 0
; NumAgprs: 0
; TotalNumVgprs: 0
; ScratchSize: 0
; MemoryBound: 0
; FloatMode: 240
; IeeeMode: 1
; LDSByteSize: 0 bytes/workgroup (compile time only)
; SGPRBlocks: 0
; VGPRBlocks: 0
; NumSGPRsForWavesPerEU: 4
; NumVGPRsForWavesPerEU: 1
; AccumOffset: 4
; Occupancy: 8
; WaveLimiterHint : 0
; COMPUTE_PGM_RSRC2:SCRATCH_EN: 0
; COMPUTE_PGM_RSRC2:USER_SGPR: 6
; COMPUTE_PGM_RSRC2:TRAP_HANDLER: 0
; COMPUTE_PGM_RSRC2:TGID_X_EN: 1
; COMPUTE_PGM_RSRC2:TGID_Y_EN: 0
; COMPUTE_PGM_RSRC2:TGID_Z_EN: 0
; COMPUTE_PGM_RSRC2:TIDIG_COMP_CNT: 0
; COMPUTE_PGM_RSRC3_GFX90A:ACCUM_OFFSET: 0
; COMPUTE_PGM_RSRC3_GFX90A:TG_SPLIT: 0
	.section	.text._ZN7rocprim17ROCPRIM_400000_NS6detail17trampoline_kernelINS0_14default_configENS1_20scan_config_selectorIsEEZZNS1_9scan_implILNS1_25lookback_scan_determinismE0ELb1ELb1ES3_N6thrust23THRUST_200600_302600_NS6detail15normal_iteratorINS9_10device_ptrIsEEEESE_sNS9_4plusIsEEsEEDaPvRmT3_T4_T5_mT6_P12ihipStream_tbENKUlT_T0_E_clISt17integral_constantIbLb1EEST_IbLb0EEEEDaSP_SQ_EUlSP_E0_NS1_11comp_targetILNS1_3genE0ELNS1_11target_archE4294967295ELNS1_3gpuE0ELNS1_3repE0EEENS1_30default_config_static_selectorELNS0_4arch9wavefront6targetE1EEEvT1_,"axG",@progbits,_ZN7rocprim17ROCPRIM_400000_NS6detail17trampoline_kernelINS0_14default_configENS1_20scan_config_selectorIsEEZZNS1_9scan_implILNS1_25lookback_scan_determinismE0ELb1ELb1ES3_N6thrust23THRUST_200600_302600_NS6detail15normal_iteratorINS9_10device_ptrIsEEEESE_sNS9_4plusIsEEsEEDaPvRmT3_T4_T5_mT6_P12ihipStream_tbENKUlT_T0_E_clISt17integral_constantIbLb1EEST_IbLb0EEEEDaSP_SQ_EUlSP_E0_NS1_11comp_targetILNS1_3genE0ELNS1_11target_archE4294967295ELNS1_3gpuE0ELNS1_3repE0EEENS1_30default_config_static_selectorELNS0_4arch9wavefront6targetE1EEEvT1_,comdat
	.protected	_ZN7rocprim17ROCPRIM_400000_NS6detail17trampoline_kernelINS0_14default_configENS1_20scan_config_selectorIsEEZZNS1_9scan_implILNS1_25lookback_scan_determinismE0ELb1ELb1ES3_N6thrust23THRUST_200600_302600_NS6detail15normal_iteratorINS9_10device_ptrIsEEEESE_sNS9_4plusIsEEsEEDaPvRmT3_T4_T5_mT6_P12ihipStream_tbENKUlT_T0_E_clISt17integral_constantIbLb1EEST_IbLb0EEEEDaSP_SQ_EUlSP_E0_NS1_11comp_targetILNS1_3genE0ELNS1_11target_archE4294967295ELNS1_3gpuE0ELNS1_3repE0EEENS1_30default_config_static_selectorELNS0_4arch9wavefront6targetE1EEEvT1_ ; -- Begin function _ZN7rocprim17ROCPRIM_400000_NS6detail17trampoline_kernelINS0_14default_configENS1_20scan_config_selectorIsEEZZNS1_9scan_implILNS1_25lookback_scan_determinismE0ELb1ELb1ES3_N6thrust23THRUST_200600_302600_NS6detail15normal_iteratorINS9_10device_ptrIsEEEESE_sNS9_4plusIsEEsEEDaPvRmT3_T4_T5_mT6_P12ihipStream_tbENKUlT_T0_E_clISt17integral_constantIbLb1EEST_IbLb0EEEEDaSP_SQ_EUlSP_E0_NS1_11comp_targetILNS1_3genE0ELNS1_11target_archE4294967295ELNS1_3gpuE0ELNS1_3repE0EEENS1_30default_config_static_selectorELNS0_4arch9wavefront6targetE1EEEvT1_
	.globl	_ZN7rocprim17ROCPRIM_400000_NS6detail17trampoline_kernelINS0_14default_configENS1_20scan_config_selectorIsEEZZNS1_9scan_implILNS1_25lookback_scan_determinismE0ELb1ELb1ES3_N6thrust23THRUST_200600_302600_NS6detail15normal_iteratorINS9_10device_ptrIsEEEESE_sNS9_4plusIsEEsEEDaPvRmT3_T4_T5_mT6_P12ihipStream_tbENKUlT_T0_E_clISt17integral_constantIbLb1EEST_IbLb0EEEEDaSP_SQ_EUlSP_E0_NS1_11comp_targetILNS1_3genE0ELNS1_11target_archE4294967295ELNS1_3gpuE0ELNS1_3repE0EEENS1_30default_config_static_selectorELNS0_4arch9wavefront6targetE1EEEvT1_
	.p2align	8
	.type	_ZN7rocprim17ROCPRIM_400000_NS6detail17trampoline_kernelINS0_14default_configENS1_20scan_config_selectorIsEEZZNS1_9scan_implILNS1_25lookback_scan_determinismE0ELb1ELb1ES3_N6thrust23THRUST_200600_302600_NS6detail15normal_iteratorINS9_10device_ptrIsEEEESE_sNS9_4plusIsEEsEEDaPvRmT3_T4_T5_mT6_P12ihipStream_tbENKUlT_T0_E_clISt17integral_constantIbLb1EEST_IbLb0EEEEDaSP_SQ_EUlSP_E0_NS1_11comp_targetILNS1_3genE0ELNS1_11target_archE4294967295ELNS1_3gpuE0ELNS1_3repE0EEENS1_30default_config_static_selectorELNS0_4arch9wavefront6targetE1EEEvT1_,@function
_ZN7rocprim17ROCPRIM_400000_NS6detail17trampoline_kernelINS0_14default_configENS1_20scan_config_selectorIsEEZZNS1_9scan_implILNS1_25lookback_scan_determinismE0ELb1ELb1ES3_N6thrust23THRUST_200600_302600_NS6detail15normal_iteratorINS9_10device_ptrIsEEEESE_sNS9_4plusIsEEsEEDaPvRmT3_T4_T5_mT6_P12ihipStream_tbENKUlT_T0_E_clISt17integral_constantIbLb1EEST_IbLb0EEEEDaSP_SQ_EUlSP_E0_NS1_11comp_targetILNS1_3genE0ELNS1_11target_archE4294967295ELNS1_3gpuE0ELNS1_3repE0EEENS1_30default_config_static_selectorELNS0_4arch9wavefront6targetE1EEEvT1_: ; @_ZN7rocprim17ROCPRIM_400000_NS6detail17trampoline_kernelINS0_14default_configENS1_20scan_config_selectorIsEEZZNS1_9scan_implILNS1_25lookback_scan_determinismE0ELb1ELb1ES3_N6thrust23THRUST_200600_302600_NS6detail15normal_iteratorINS9_10device_ptrIsEEEESE_sNS9_4plusIsEEsEEDaPvRmT3_T4_T5_mT6_P12ihipStream_tbENKUlT_T0_E_clISt17integral_constantIbLb1EEST_IbLb0EEEEDaSP_SQ_EUlSP_E0_NS1_11comp_targetILNS1_3genE0ELNS1_11target_archE4294967295ELNS1_3gpuE0ELNS1_3repE0EEENS1_30default_config_static_selectorELNS0_4arch9wavefront6targetE1EEEvT1_
; %bb.0:
	.section	.rodata,"a",@progbits
	.p2align	6, 0x0
	.amdhsa_kernel _ZN7rocprim17ROCPRIM_400000_NS6detail17trampoline_kernelINS0_14default_configENS1_20scan_config_selectorIsEEZZNS1_9scan_implILNS1_25lookback_scan_determinismE0ELb1ELb1ES3_N6thrust23THRUST_200600_302600_NS6detail15normal_iteratorINS9_10device_ptrIsEEEESE_sNS9_4plusIsEEsEEDaPvRmT3_T4_T5_mT6_P12ihipStream_tbENKUlT_T0_E_clISt17integral_constantIbLb1EEST_IbLb0EEEEDaSP_SQ_EUlSP_E0_NS1_11comp_targetILNS1_3genE0ELNS1_11target_archE4294967295ELNS1_3gpuE0ELNS1_3repE0EEENS1_30default_config_static_selectorELNS0_4arch9wavefront6targetE1EEEvT1_
		.amdhsa_group_segment_fixed_size 0
		.amdhsa_private_segment_fixed_size 0
		.amdhsa_kernarg_size 32
		.amdhsa_user_sgpr_count 6
		.amdhsa_user_sgpr_private_segment_buffer 1
		.amdhsa_user_sgpr_dispatch_ptr 0
		.amdhsa_user_sgpr_queue_ptr 0
		.amdhsa_user_sgpr_kernarg_segment_ptr 1
		.amdhsa_user_sgpr_dispatch_id 0
		.amdhsa_user_sgpr_flat_scratch_init 0
		.amdhsa_user_sgpr_kernarg_preload_length 0
		.amdhsa_user_sgpr_kernarg_preload_offset 0
		.amdhsa_user_sgpr_private_segment_size 0
		.amdhsa_uses_dynamic_stack 0
		.amdhsa_system_sgpr_private_segment_wavefront_offset 0
		.amdhsa_system_sgpr_workgroup_id_x 1
		.amdhsa_system_sgpr_workgroup_id_y 0
		.amdhsa_system_sgpr_workgroup_id_z 0
		.amdhsa_system_sgpr_workgroup_info 0
		.amdhsa_system_vgpr_workitem_id 0
		.amdhsa_next_free_vgpr 1
		.amdhsa_next_free_sgpr 0
		.amdhsa_accum_offset 4
		.amdhsa_reserve_vcc 0
		.amdhsa_reserve_flat_scratch 0
		.amdhsa_float_round_mode_32 0
		.amdhsa_float_round_mode_16_64 0
		.amdhsa_float_denorm_mode_32 3
		.amdhsa_float_denorm_mode_16_64 3
		.amdhsa_dx10_clamp 1
		.amdhsa_ieee_mode 1
		.amdhsa_fp16_overflow 0
		.amdhsa_tg_split 0
		.amdhsa_exception_fp_ieee_invalid_op 0
		.amdhsa_exception_fp_denorm_src 0
		.amdhsa_exception_fp_ieee_div_zero 0
		.amdhsa_exception_fp_ieee_overflow 0
		.amdhsa_exception_fp_ieee_underflow 0
		.amdhsa_exception_fp_ieee_inexact 0
		.amdhsa_exception_int_div_zero 0
	.end_amdhsa_kernel
	.section	.text._ZN7rocprim17ROCPRIM_400000_NS6detail17trampoline_kernelINS0_14default_configENS1_20scan_config_selectorIsEEZZNS1_9scan_implILNS1_25lookback_scan_determinismE0ELb1ELb1ES3_N6thrust23THRUST_200600_302600_NS6detail15normal_iteratorINS9_10device_ptrIsEEEESE_sNS9_4plusIsEEsEEDaPvRmT3_T4_T5_mT6_P12ihipStream_tbENKUlT_T0_E_clISt17integral_constantIbLb1EEST_IbLb0EEEEDaSP_SQ_EUlSP_E0_NS1_11comp_targetILNS1_3genE0ELNS1_11target_archE4294967295ELNS1_3gpuE0ELNS1_3repE0EEENS1_30default_config_static_selectorELNS0_4arch9wavefront6targetE1EEEvT1_,"axG",@progbits,_ZN7rocprim17ROCPRIM_400000_NS6detail17trampoline_kernelINS0_14default_configENS1_20scan_config_selectorIsEEZZNS1_9scan_implILNS1_25lookback_scan_determinismE0ELb1ELb1ES3_N6thrust23THRUST_200600_302600_NS6detail15normal_iteratorINS9_10device_ptrIsEEEESE_sNS9_4plusIsEEsEEDaPvRmT3_T4_T5_mT6_P12ihipStream_tbENKUlT_T0_E_clISt17integral_constantIbLb1EEST_IbLb0EEEEDaSP_SQ_EUlSP_E0_NS1_11comp_targetILNS1_3genE0ELNS1_11target_archE4294967295ELNS1_3gpuE0ELNS1_3repE0EEENS1_30default_config_static_selectorELNS0_4arch9wavefront6targetE1EEEvT1_,comdat
.Lfunc_end1240:
	.size	_ZN7rocprim17ROCPRIM_400000_NS6detail17trampoline_kernelINS0_14default_configENS1_20scan_config_selectorIsEEZZNS1_9scan_implILNS1_25lookback_scan_determinismE0ELb1ELb1ES3_N6thrust23THRUST_200600_302600_NS6detail15normal_iteratorINS9_10device_ptrIsEEEESE_sNS9_4plusIsEEsEEDaPvRmT3_T4_T5_mT6_P12ihipStream_tbENKUlT_T0_E_clISt17integral_constantIbLb1EEST_IbLb0EEEEDaSP_SQ_EUlSP_E0_NS1_11comp_targetILNS1_3genE0ELNS1_11target_archE4294967295ELNS1_3gpuE0ELNS1_3repE0EEENS1_30default_config_static_selectorELNS0_4arch9wavefront6targetE1EEEvT1_, .Lfunc_end1240-_ZN7rocprim17ROCPRIM_400000_NS6detail17trampoline_kernelINS0_14default_configENS1_20scan_config_selectorIsEEZZNS1_9scan_implILNS1_25lookback_scan_determinismE0ELb1ELb1ES3_N6thrust23THRUST_200600_302600_NS6detail15normal_iteratorINS9_10device_ptrIsEEEESE_sNS9_4plusIsEEsEEDaPvRmT3_T4_T5_mT6_P12ihipStream_tbENKUlT_T0_E_clISt17integral_constantIbLb1EEST_IbLb0EEEEDaSP_SQ_EUlSP_E0_NS1_11comp_targetILNS1_3genE0ELNS1_11target_archE4294967295ELNS1_3gpuE0ELNS1_3repE0EEENS1_30default_config_static_selectorELNS0_4arch9wavefront6targetE1EEEvT1_
                                        ; -- End function
	.section	.AMDGPU.csdata,"",@progbits
; Kernel info:
; codeLenInByte = 0
; NumSgprs: 4
; NumVgprs: 0
; NumAgprs: 0
; TotalNumVgprs: 0
; ScratchSize: 0
; MemoryBound: 0
; FloatMode: 240
; IeeeMode: 1
; LDSByteSize: 0 bytes/workgroup (compile time only)
; SGPRBlocks: 0
; VGPRBlocks: 0
; NumSGPRsForWavesPerEU: 4
; NumVGPRsForWavesPerEU: 1
; AccumOffset: 4
; Occupancy: 8
; WaveLimiterHint : 0
; COMPUTE_PGM_RSRC2:SCRATCH_EN: 0
; COMPUTE_PGM_RSRC2:USER_SGPR: 6
; COMPUTE_PGM_RSRC2:TRAP_HANDLER: 0
; COMPUTE_PGM_RSRC2:TGID_X_EN: 1
; COMPUTE_PGM_RSRC2:TGID_Y_EN: 0
; COMPUTE_PGM_RSRC2:TGID_Z_EN: 0
; COMPUTE_PGM_RSRC2:TIDIG_COMP_CNT: 0
; COMPUTE_PGM_RSRC3_GFX90A:ACCUM_OFFSET: 0
; COMPUTE_PGM_RSRC3_GFX90A:TG_SPLIT: 0
	.section	.text._ZN7rocprim17ROCPRIM_400000_NS6detail17trampoline_kernelINS0_14default_configENS1_20scan_config_selectorIsEEZZNS1_9scan_implILNS1_25lookback_scan_determinismE0ELb1ELb1ES3_N6thrust23THRUST_200600_302600_NS6detail15normal_iteratorINS9_10device_ptrIsEEEESE_sNS9_4plusIsEEsEEDaPvRmT3_T4_T5_mT6_P12ihipStream_tbENKUlT_T0_E_clISt17integral_constantIbLb1EEST_IbLb0EEEEDaSP_SQ_EUlSP_E0_NS1_11comp_targetILNS1_3genE5ELNS1_11target_archE942ELNS1_3gpuE9ELNS1_3repE0EEENS1_30default_config_static_selectorELNS0_4arch9wavefront6targetE1EEEvT1_,"axG",@progbits,_ZN7rocprim17ROCPRIM_400000_NS6detail17trampoline_kernelINS0_14default_configENS1_20scan_config_selectorIsEEZZNS1_9scan_implILNS1_25lookback_scan_determinismE0ELb1ELb1ES3_N6thrust23THRUST_200600_302600_NS6detail15normal_iteratorINS9_10device_ptrIsEEEESE_sNS9_4plusIsEEsEEDaPvRmT3_T4_T5_mT6_P12ihipStream_tbENKUlT_T0_E_clISt17integral_constantIbLb1EEST_IbLb0EEEEDaSP_SQ_EUlSP_E0_NS1_11comp_targetILNS1_3genE5ELNS1_11target_archE942ELNS1_3gpuE9ELNS1_3repE0EEENS1_30default_config_static_selectorELNS0_4arch9wavefront6targetE1EEEvT1_,comdat
	.protected	_ZN7rocprim17ROCPRIM_400000_NS6detail17trampoline_kernelINS0_14default_configENS1_20scan_config_selectorIsEEZZNS1_9scan_implILNS1_25lookback_scan_determinismE0ELb1ELb1ES3_N6thrust23THRUST_200600_302600_NS6detail15normal_iteratorINS9_10device_ptrIsEEEESE_sNS9_4plusIsEEsEEDaPvRmT3_T4_T5_mT6_P12ihipStream_tbENKUlT_T0_E_clISt17integral_constantIbLb1EEST_IbLb0EEEEDaSP_SQ_EUlSP_E0_NS1_11comp_targetILNS1_3genE5ELNS1_11target_archE942ELNS1_3gpuE9ELNS1_3repE0EEENS1_30default_config_static_selectorELNS0_4arch9wavefront6targetE1EEEvT1_ ; -- Begin function _ZN7rocprim17ROCPRIM_400000_NS6detail17trampoline_kernelINS0_14default_configENS1_20scan_config_selectorIsEEZZNS1_9scan_implILNS1_25lookback_scan_determinismE0ELb1ELb1ES3_N6thrust23THRUST_200600_302600_NS6detail15normal_iteratorINS9_10device_ptrIsEEEESE_sNS9_4plusIsEEsEEDaPvRmT3_T4_T5_mT6_P12ihipStream_tbENKUlT_T0_E_clISt17integral_constantIbLb1EEST_IbLb0EEEEDaSP_SQ_EUlSP_E0_NS1_11comp_targetILNS1_3genE5ELNS1_11target_archE942ELNS1_3gpuE9ELNS1_3repE0EEENS1_30default_config_static_selectorELNS0_4arch9wavefront6targetE1EEEvT1_
	.globl	_ZN7rocprim17ROCPRIM_400000_NS6detail17trampoline_kernelINS0_14default_configENS1_20scan_config_selectorIsEEZZNS1_9scan_implILNS1_25lookback_scan_determinismE0ELb1ELb1ES3_N6thrust23THRUST_200600_302600_NS6detail15normal_iteratorINS9_10device_ptrIsEEEESE_sNS9_4plusIsEEsEEDaPvRmT3_T4_T5_mT6_P12ihipStream_tbENKUlT_T0_E_clISt17integral_constantIbLb1EEST_IbLb0EEEEDaSP_SQ_EUlSP_E0_NS1_11comp_targetILNS1_3genE5ELNS1_11target_archE942ELNS1_3gpuE9ELNS1_3repE0EEENS1_30default_config_static_selectorELNS0_4arch9wavefront6targetE1EEEvT1_
	.p2align	8
	.type	_ZN7rocprim17ROCPRIM_400000_NS6detail17trampoline_kernelINS0_14default_configENS1_20scan_config_selectorIsEEZZNS1_9scan_implILNS1_25lookback_scan_determinismE0ELb1ELb1ES3_N6thrust23THRUST_200600_302600_NS6detail15normal_iteratorINS9_10device_ptrIsEEEESE_sNS9_4plusIsEEsEEDaPvRmT3_T4_T5_mT6_P12ihipStream_tbENKUlT_T0_E_clISt17integral_constantIbLb1EEST_IbLb0EEEEDaSP_SQ_EUlSP_E0_NS1_11comp_targetILNS1_3genE5ELNS1_11target_archE942ELNS1_3gpuE9ELNS1_3repE0EEENS1_30default_config_static_selectorELNS0_4arch9wavefront6targetE1EEEvT1_,@function
_ZN7rocprim17ROCPRIM_400000_NS6detail17trampoline_kernelINS0_14default_configENS1_20scan_config_selectorIsEEZZNS1_9scan_implILNS1_25lookback_scan_determinismE0ELb1ELb1ES3_N6thrust23THRUST_200600_302600_NS6detail15normal_iteratorINS9_10device_ptrIsEEEESE_sNS9_4plusIsEEsEEDaPvRmT3_T4_T5_mT6_P12ihipStream_tbENKUlT_T0_E_clISt17integral_constantIbLb1EEST_IbLb0EEEEDaSP_SQ_EUlSP_E0_NS1_11comp_targetILNS1_3genE5ELNS1_11target_archE942ELNS1_3gpuE9ELNS1_3repE0EEENS1_30default_config_static_selectorELNS0_4arch9wavefront6targetE1EEEvT1_: ; @_ZN7rocprim17ROCPRIM_400000_NS6detail17trampoline_kernelINS0_14default_configENS1_20scan_config_selectorIsEEZZNS1_9scan_implILNS1_25lookback_scan_determinismE0ELb1ELb1ES3_N6thrust23THRUST_200600_302600_NS6detail15normal_iteratorINS9_10device_ptrIsEEEESE_sNS9_4plusIsEEsEEDaPvRmT3_T4_T5_mT6_P12ihipStream_tbENKUlT_T0_E_clISt17integral_constantIbLb1EEST_IbLb0EEEEDaSP_SQ_EUlSP_E0_NS1_11comp_targetILNS1_3genE5ELNS1_11target_archE942ELNS1_3gpuE9ELNS1_3repE0EEENS1_30default_config_static_selectorELNS0_4arch9wavefront6targetE1EEEvT1_
; %bb.0:
	.section	.rodata,"a",@progbits
	.p2align	6, 0x0
	.amdhsa_kernel _ZN7rocprim17ROCPRIM_400000_NS6detail17trampoline_kernelINS0_14default_configENS1_20scan_config_selectorIsEEZZNS1_9scan_implILNS1_25lookback_scan_determinismE0ELb1ELb1ES3_N6thrust23THRUST_200600_302600_NS6detail15normal_iteratorINS9_10device_ptrIsEEEESE_sNS9_4plusIsEEsEEDaPvRmT3_T4_T5_mT6_P12ihipStream_tbENKUlT_T0_E_clISt17integral_constantIbLb1EEST_IbLb0EEEEDaSP_SQ_EUlSP_E0_NS1_11comp_targetILNS1_3genE5ELNS1_11target_archE942ELNS1_3gpuE9ELNS1_3repE0EEENS1_30default_config_static_selectorELNS0_4arch9wavefront6targetE1EEEvT1_
		.amdhsa_group_segment_fixed_size 0
		.amdhsa_private_segment_fixed_size 0
		.amdhsa_kernarg_size 32
		.amdhsa_user_sgpr_count 6
		.amdhsa_user_sgpr_private_segment_buffer 1
		.amdhsa_user_sgpr_dispatch_ptr 0
		.amdhsa_user_sgpr_queue_ptr 0
		.amdhsa_user_sgpr_kernarg_segment_ptr 1
		.amdhsa_user_sgpr_dispatch_id 0
		.amdhsa_user_sgpr_flat_scratch_init 0
		.amdhsa_user_sgpr_kernarg_preload_length 0
		.amdhsa_user_sgpr_kernarg_preload_offset 0
		.amdhsa_user_sgpr_private_segment_size 0
		.amdhsa_uses_dynamic_stack 0
		.amdhsa_system_sgpr_private_segment_wavefront_offset 0
		.amdhsa_system_sgpr_workgroup_id_x 1
		.amdhsa_system_sgpr_workgroup_id_y 0
		.amdhsa_system_sgpr_workgroup_id_z 0
		.amdhsa_system_sgpr_workgroup_info 0
		.amdhsa_system_vgpr_workitem_id 0
		.amdhsa_next_free_vgpr 1
		.amdhsa_next_free_sgpr 0
		.amdhsa_accum_offset 4
		.amdhsa_reserve_vcc 0
		.amdhsa_reserve_flat_scratch 0
		.amdhsa_float_round_mode_32 0
		.amdhsa_float_round_mode_16_64 0
		.amdhsa_float_denorm_mode_32 3
		.amdhsa_float_denorm_mode_16_64 3
		.amdhsa_dx10_clamp 1
		.amdhsa_ieee_mode 1
		.amdhsa_fp16_overflow 0
		.amdhsa_tg_split 0
		.amdhsa_exception_fp_ieee_invalid_op 0
		.amdhsa_exception_fp_denorm_src 0
		.amdhsa_exception_fp_ieee_div_zero 0
		.amdhsa_exception_fp_ieee_overflow 0
		.amdhsa_exception_fp_ieee_underflow 0
		.amdhsa_exception_fp_ieee_inexact 0
		.amdhsa_exception_int_div_zero 0
	.end_amdhsa_kernel
	.section	.text._ZN7rocprim17ROCPRIM_400000_NS6detail17trampoline_kernelINS0_14default_configENS1_20scan_config_selectorIsEEZZNS1_9scan_implILNS1_25lookback_scan_determinismE0ELb1ELb1ES3_N6thrust23THRUST_200600_302600_NS6detail15normal_iteratorINS9_10device_ptrIsEEEESE_sNS9_4plusIsEEsEEDaPvRmT3_T4_T5_mT6_P12ihipStream_tbENKUlT_T0_E_clISt17integral_constantIbLb1EEST_IbLb0EEEEDaSP_SQ_EUlSP_E0_NS1_11comp_targetILNS1_3genE5ELNS1_11target_archE942ELNS1_3gpuE9ELNS1_3repE0EEENS1_30default_config_static_selectorELNS0_4arch9wavefront6targetE1EEEvT1_,"axG",@progbits,_ZN7rocprim17ROCPRIM_400000_NS6detail17trampoline_kernelINS0_14default_configENS1_20scan_config_selectorIsEEZZNS1_9scan_implILNS1_25lookback_scan_determinismE0ELb1ELb1ES3_N6thrust23THRUST_200600_302600_NS6detail15normal_iteratorINS9_10device_ptrIsEEEESE_sNS9_4plusIsEEsEEDaPvRmT3_T4_T5_mT6_P12ihipStream_tbENKUlT_T0_E_clISt17integral_constantIbLb1EEST_IbLb0EEEEDaSP_SQ_EUlSP_E0_NS1_11comp_targetILNS1_3genE5ELNS1_11target_archE942ELNS1_3gpuE9ELNS1_3repE0EEENS1_30default_config_static_selectorELNS0_4arch9wavefront6targetE1EEEvT1_,comdat
.Lfunc_end1241:
	.size	_ZN7rocprim17ROCPRIM_400000_NS6detail17trampoline_kernelINS0_14default_configENS1_20scan_config_selectorIsEEZZNS1_9scan_implILNS1_25lookback_scan_determinismE0ELb1ELb1ES3_N6thrust23THRUST_200600_302600_NS6detail15normal_iteratorINS9_10device_ptrIsEEEESE_sNS9_4plusIsEEsEEDaPvRmT3_T4_T5_mT6_P12ihipStream_tbENKUlT_T0_E_clISt17integral_constantIbLb1EEST_IbLb0EEEEDaSP_SQ_EUlSP_E0_NS1_11comp_targetILNS1_3genE5ELNS1_11target_archE942ELNS1_3gpuE9ELNS1_3repE0EEENS1_30default_config_static_selectorELNS0_4arch9wavefront6targetE1EEEvT1_, .Lfunc_end1241-_ZN7rocprim17ROCPRIM_400000_NS6detail17trampoline_kernelINS0_14default_configENS1_20scan_config_selectorIsEEZZNS1_9scan_implILNS1_25lookback_scan_determinismE0ELb1ELb1ES3_N6thrust23THRUST_200600_302600_NS6detail15normal_iteratorINS9_10device_ptrIsEEEESE_sNS9_4plusIsEEsEEDaPvRmT3_T4_T5_mT6_P12ihipStream_tbENKUlT_T0_E_clISt17integral_constantIbLb1EEST_IbLb0EEEEDaSP_SQ_EUlSP_E0_NS1_11comp_targetILNS1_3genE5ELNS1_11target_archE942ELNS1_3gpuE9ELNS1_3repE0EEENS1_30default_config_static_selectorELNS0_4arch9wavefront6targetE1EEEvT1_
                                        ; -- End function
	.section	.AMDGPU.csdata,"",@progbits
; Kernel info:
; codeLenInByte = 0
; NumSgprs: 4
; NumVgprs: 0
; NumAgprs: 0
; TotalNumVgprs: 0
; ScratchSize: 0
; MemoryBound: 0
; FloatMode: 240
; IeeeMode: 1
; LDSByteSize: 0 bytes/workgroup (compile time only)
; SGPRBlocks: 0
; VGPRBlocks: 0
; NumSGPRsForWavesPerEU: 4
; NumVGPRsForWavesPerEU: 1
; AccumOffset: 4
; Occupancy: 8
; WaveLimiterHint : 0
; COMPUTE_PGM_RSRC2:SCRATCH_EN: 0
; COMPUTE_PGM_RSRC2:USER_SGPR: 6
; COMPUTE_PGM_RSRC2:TRAP_HANDLER: 0
; COMPUTE_PGM_RSRC2:TGID_X_EN: 1
; COMPUTE_PGM_RSRC2:TGID_Y_EN: 0
; COMPUTE_PGM_RSRC2:TGID_Z_EN: 0
; COMPUTE_PGM_RSRC2:TIDIG_COMP_CNT: 0
; COMPUTE_PGM_RSRC3_GFX90A:ACCUM_OFFSET: 0
; COMPUTE_PGM_RSRC3_GFX90A:TG_SPLIT: 0
	.section	.text._ZN7rocprim17ROCPRIM_400000_NS6detail17trampoline_kernelINS0_14default_configENS1_20scan_config_selectorIsEEZZNS1_9scan_implILNS1_25lookback_scan_determinismE0ELb1ELb1ES3_N6thrust23THRUST_200600_302600_NS6detail15normal_iteratorINS9_10device_ptrIsEEEESE_sNS9_4plusIsEEsEEDaPvRmT3_T4_T5_mT6_P12ihipStream_tbENKUlT_T0_E_clISt17integral_constantIbLb1EEST_IbLb0EEEEDaSP_SQ_EUlSP_E0_NS1_11comp_targetILNS1_3genE4ELNS1_11target_archE910ELNS1_3gpuE8ELNS1_3repE0EEENS1_30default_config_static_selectorELNS0_4arch9wavefront6targetE1EEEvT1_,"axG",@progbits,_ZN7rocprim17ROCPRIM_400000_NS6detail17trampoline_kernelINS0_14default_configENS1_20scan_config_selectorIsEEZZNS1_9scan_implILNS1_25lookback_scan_determinismE0ELb1ELb1ES3_N6thrust23THRUST_200600_302600_NS6detail15normal_iteratorINS9_10device_ptrIsEEEESE_sNS9_4plusIsEEsEEDaPvRmT3_T4_T5_mT6_P12ihipStream_tbENKUlT_T0_E_clISt17integral_constantIbLb1EEST_IbLb0EEEEDaSP_SQ_EUlSP_E0_NS1_11comp_targetILNS1_3genE4ELNS1_11target_archE910ELNS1_3gpuE8ELNS1_3repE0EEENS1_30default_config_static_selectorELNS0_4arch9wavefront6targetE1EEEvT1_,comdat
	.protected	_ZN7rocprim17ROCPRIM_400000_NS6detail17trampoline_kernelINS0_14default_configENS1_20scan_config_selectorIsEEZZNS1_9scan_implILNS1_25lookback_scan_determinismE0ELb1ELb1ES3_N6thrust23THRUST_200600_302600_NS6detail15normal_iteratorINS9_10device_ptrIsEEEESE_sNS9_4plusIsEEsEEDaPvRmT3_T4_T5_mT6_P12ihipStream_tbENKUlT_T0_E_clISt17integral_constantIbLb1EEST_IbLb0EEEEDaSP_SQ_EUlSP_E0_NS1_11comp_targetILNS1_3genE4ELNS1_11target_archE910ELNS1_3gpuE8ELNS1_3repE0EEENS1_30default_config_static_selectorELNS0_4arch9wavefront6targetE1EEEvT1_ ; -- Begin function _ZN7rocprim17ROCPRIM_400000_NS6detail17trampoline_kernelINS0_14default_configENS1_20scan_config_selectorIsEEZZNS1_9scan_implILNS1_25lookback_scan_determinismE0ELb1ELb1ES3_N6thrust23THRUST_200600_302600_NS6detail15normal_iteratorINS9_10device_ptrIsEEEESE_sNS9_4plusIsEEsEEDaPvRmT3_T4_T5_mT6_P12ihipStream_tbENKUlT_T0_E_clISt17integral_constantIbLb1EEST_IbLb0EEEEDaSP_SQ_EUlSP_E0_NS1_11comp_targetILNS1_3genE4ELNS1_11target_archE910ELNS1_3gpuE8ELNS1_3repE0EEENS1_30default_config_static_selectorELNS0_4arch9wavefront6targetE1EEEvT1_
	.globl	_ZN7rocprim17ROCPRIM_400000_NS6detail17trampoline_kernelINS0_14default_configENS1_20scan_config_selectorIsEEZZNS1_9scan_implILNS1_25lookback_scan_determinismE0ELb1ELb1ES3_N6thrust23THRUST_200600_302600_NS6detail15normal_iteratorINS9_10device_ptrIsEEEESE_sNS9_4plusIsEEsEEDaPvRmT3_T4_T5_mT6_P12ihipStream_tbENKUlT_T0_E_clISt17integral_constantIbLb1EEST_IbLb0EEEEDaSP_SQ_EUlSP_E0_NS1_11comp_targetILNS1_3genE4ELNS1_11target_archE910ELNS1_3gpuE8ELNS1_3repE0EEENS1_30default_config_static_selectorELNS0_4arch9wavefront6targetE1EEEvT1_
	.p2align	8
	.type	_ZN7rocprim17ROCPRIM_400000_NS6detail17trampoline_kernelINS0_14default_configENS1_20scan_config_selectorIsEEZZNS1_9scan_implILNS1_25lookback_scan_determinismE0ELb1ELb1ES3_N6thrust23THRUST_200600_302600_NS6detail15normal_iteratorINS9_10device_ptrIsEEEESE_sNS9_4plusIsEEsEEDaPvRmT3_T4_T5_mT6_P12ihipStream_tbENKUlT_T0_E_clISt17integral_constantIbLb1EEST_IbLb0EEEEDaSP_SQ_EUlSP_E0_NS1_11comp_targetILNS1_3genE4ELNS1_11target_archE910ELNS1_3gpuE8ELNS1_3repE0EEENS1_30default_config_static_selectorELNS0_4arch9wavefront6targetE1EEEvT1_,@function
_ZN7rocprim17ROCPRIM_400000_NS6detail17trampoline_kernelINS0_14default_configENS1_20scan_config_selectorIsEEZZNS1_9scan_implILNS1_25lookback_scan_determinismE0ELb1ELb1ES3_N6thrust23THRUST_200600_302600_NS6detail15normal_iteratorINS9_10device_ptrIsEEEESE_sNS9_4plusIsEEsEEDaPvRmT3_T4_T5_mT6_P12ihipStream_tbENKUlT_T0_E_clISt17integral_constantIbLb1EEST_IbLb0EEEEDaSP_SQ_EUlSP_E0_NS1_11comp_targetILNS1_3genE4ELNS1_11target_archE910ELNS1_3gpuE8ELNS1_3repE0EEENS1_30default_config_static_selectorELNS0_4arch9wavefront6targetE1EEEvT1_: ; @_ZN7rocprim17ROCPRIM_400000_NS6detail17trampoline_kernelINS0_14default_configENS1_20scan_config_selectorIsEEZZNS1_9scan_implILNS1_25lookback_scan_determinismE0ELb1ELb1ES3_N6thrust23THRUST_200600_302600_NS6detail15normal_iteratorINS9_10device_ptrIsEEEESE_sNS9_4plusIsEEsEEDaPvRmT3_T4_T5_mT6_P12ihipStream_tbENKUlT_T0_E_clISt17integral_constantIbLb1EEST_IbLb0EEEEDaSP_SQ_EUlSP_E0_NS1_11comp_targetILNS1_3genE4ELNS1_11target_archE910ELNS1_3gpuE8ELNS1_3repE0EEENS1_30default_config_static_selectorELNS0_4arch9wavefront6targetE1EEEvT1_
; %bb.0:
	s_load_dwordx4 s[52:55], s[4:5], 0x0
	v_mov_b32_e32 v1, 0
	v_lshlrev_b32_e32 v14, 1, v0
	s_waitcnt lgkmcnt(0)
	global_load_ushort v2, v1, s[52:53]
	v_cmp_gt_u32_e32 vcc, s54, v0
	s_waitcnt vmcnt(0)
	v_mov_b32_e32 v3, v2
	s_and_saveexec_b64 s[0:1], vcc
	s_cbranch_execz .LBB1242_2
; %bb.1:
	global_load_ushort v3, v14, s[52:53]
.LBB1242_2:
	s_or_b64 exec, exec, s[0:1]
	v_or_b32_e32 v1, 64, v0
	v_cmp_gt_u32_e64 s[0:1], s54, v1
	v_mov_b32_e32 v4, v2
	s_and_saveexec_b64 s[2:3], s[0:1]
	s_cbranch_execz .LBB1242_4
; %bb.3:
	global_load_ushort v4, v14, s[52:53] offset:128
.LBB1242_4:
	s_or_b64 exec, exec, s[2:3]
	v_or_b32_e32 v1, 0x80, v0
	v_cmp_gt_u32_e64 s[2:3], s54, v1
	v_mov_b32_e32 v5, v2
	s_and_saveexec_b64 s[6:7], s[2:3]
	s_cbranch_execz .LBB1242_6
; %bb.5:
	global_load_ushort v5, v14, s[52:53] offset:256
.LBB1242_6:
	;; [unrolled: 9-line block ×22, first 2 shown]
	s_or_b64 exec, exec, s[46:47]
	v_or_b32_e32 v1, 0x5c0, v0
	v_cmp_gt_u32_e64 s[46:47], s54, v1
	v_cmp_le_u32_e64 s[50:51], s54, v1
	s_and_saveexec_b64 s[54:55], s[50:51]
	s_xor_b64 s[50:51], exec, s[54:55]
; %bb.47:
	v_mov_b32_e32 v1, 0
; %bb.48:
	s_or_saveexec_b64 s[50:51], s[50:51]
	s_load_dword s33, s[4:5], 0x10
	s_load_dwordx2 s[54:55], s[4:5], 0x18
	s_xor_b64 exec, exec, s[50:51]
	s_cbranch_execz .LBB1242_50
; %bb.49:
	global_load_ushort v2, v14, s[52:53] offset:2944
	v_mov_b32_e32 v1, 0
.LBB1242_50:
	s_or_b64 exec, exec, s[50:51]
	s_waitcnt vmcnt(0)
	ds_write_b16 v14, v3
	ds_write_b16 v14, v4 offset:128
	ds_write_b16 v14, v5 offset:256
	;; [unrolled: 1-line block ×23, first 2 shown]
	v_mad_u32_u24 v2, v0, 46, v14
	s_waitcnt lgkmcnt(0)
	; wave barrier
	s_waitcnt lgkmcnt(0)
	ds_read_b128 v[10:13], v2
	ds_read_b128 v[6:9], v2 offset:16
	ds_read_b128 v[2:5], v2 offset:32
	v_mul_u32_u24_e32 v15, 46, v0
	s_waitcnt lgkmcnt(0)
	v_add_u16_sdwa v16, v10, v10 dst_sel:DWORD dst_unused:UNUSED_PAD src0_sel:WORD_1 src1_sel:DWORD
	v_add_u16_e32 v16, v16, v11
	v_add_u16_sdwa v16, v16, v11 dst_sel:DWORD dst_unused:UNUSED_PAD src0_sel:DWORD src1_sel:WORD_1
	v_add_u16_e32 v16, v16, v12
	v_add_u16_sdwa v16, v16, v12 dst_sel:DWORD dst_unused:UNUSED_PAD src0_sel:DWORD src1_sel:WORD_1
	v_add_u16_e32 v16, v16, v13
	v_add_u16_sdwa v16, v16, v13 dst_sel:DWORD dst_unused:UNUSED_PAD src0_sel:DWORD src1_sel:WORD_1
	v_add_u16_e32 v16, v16, v6
	v_add_u16_sdwa v16, v16, v6 dst_sel:DWORD dst_unused:UNUSED_PAD src0_sel:DWORD src1_sel:WORD_1
	v_add_u16_e32 v16, v16, v7
	v_add_u16_sdwa v16, v16, v7 dst_sel:DWORD dst_unused:UNUSED_PAD src0_sel:DWORD src1_sel:WORD_1
	v_add_u16_e32 v16, v16, v8
	v_add_u16_sdwa v16, v16, v8 dst_sel:DWORD dst_unused:UNUSED_PAD src0_sel:DWORD src1_sel:WORD_1
	v_add_u16_e32 v16, v16, v9
	v_add_u16_sdwa v16, v16, v9 dst_sel:DWORD dst_unused:UNUSED_PAD src0_sel:DWORD src1_sel:WORD_1
	v_add_u16_e32 v16, v16, v2
	v_add_u16_sdwa v16, v16, v2 dst_sel:DWORD dst_unused:UNUSED_PAD src0_sel:DWORD src1_sel:WORD_1
	v_add_u16_e32 v16, v16, v3
	v_add_u16_sdwa v16, v16, v3 dst_sel:DWORD dst_unused:UNUSED_PAD src0_sel:DWORD src1_sel:WORD_1
	v_add_u16_e32 v16, v16, v4
	v_add_u16_sdwa v16, v16, v4 dst_sel:DWORD dst_unused:UNUSED_PAD src0_sel:DWORD src1_sel:WORD_1
	v_add_u16_e32 v16, v16, v5
	v_add_u16_sdwa v17, v16, v5 dst_sel:DWORD dst_unused:UNUSED_PAD src0_sel:DWORD src1_sel:WORD_1
	v_mbcnt_lo_u32_b32 v16, -1, 0
	v_mbcnt_hi_u32_b32 v16, -1, v16
	v_and_b32_e32 v18, 15, v16
	v_mov_b32_dpp v19, v17 row_shr:1 row_mask:0xf bank_mask:0xf
	v_cmp_ne_u32_e64 s[4:5], 0, v18
	v_cndmask_b32_e64 v19, 0, v19, s[4:5]
	v_add_u16_e32 v17, v19, v17
	v_cmp_lt_u32_e64 s[4:5], 1, v18
	; wave barrier
	s_nop 0
	v_mov_b32_dpp v19, v17 row_shr:2 row_mask:0xf bank_mask:0xf
	v_cndmask_b32_e64 v19, 0, v19, s[4:5]
	v_add_u16_e32 v17, v17, v19
	v_cmp_lt_u32_e64 s[4:5], 3, v18
	s_nop 0
	v_mov_b32_dpp v19, v17 row_shr:4 row_mask:0xf bank_mask:0xf
	v_cndmask_b32_e64 v19, 0, v19, s[4:5]
	v_add_u16_e32 v17, v17, v19
	v_cmp_lt_u32_e64 s[4:5], 7, v18
	s_nop 0
	v_mov_b32_dpp v19, v17 row_shr:8 row_mask:0xf bank_mask:0xf
	v_cndmask_b32_e64 v18, 0, v19, s[4:5]
	v_add_u16_e32 v17, v17, v18
	v_and_b32_e32 v19, 16, v16
	v_cmp_ne_u32_e64 s[4:5], 0, v19
	v_mov_b32_dpp v18, v17 row_bcast:15 row_mask:0xf bank_mask:0xf
	v_cndmask_b32_e64 v18, 0, v18, s[4:5]
	v_add_u16_e32 v17, v17, v18
	v_cmp_lt_u32_e64 s[4:5], 31, v16
	s_nop 0
	v_mov_b32_dpp v18, v17 row_bcast:31 row_mask:0xf bank_mask:0xf
	v_cndmask_b32_e64 v18, 0, v18, s[4:5]
	v_add_u16_e32 v17, v17, v18
	v_cmp_eq_u32_e64 s[4:5], 63, v0
	s_and_saveexec_b64 s[50:51], s[4:5]
	s_cbranch_execz .LBB1242_52
; %bb.51:
	v_mov_b32_e32 v18, 0
	ds_write_b16 v18, v17
.LBB1242_52:
	s_or_b64 exec, exec, s[50:51]
	v_add_u32_e32 v18, -1, v16
	v_and_b32_e32 v19, 64, v16
	v_cmp_lt_i32_e64 s[4:5], v18, v19
	v_cndmask_b32_e64 v18, v18, v16, s[4:5]
	v_add_u16_e32 v17, s33, v17
	v_lshlrev_b32_e32 v18, 2, v18
	ds_bpermute_b32 v17, v18, v17
	v_cmp_eq_u32_e64 s[4:5], 0, v16
	v_cmp_eq_u32_e64 s[50:51], 0, v0
	v_mov_b32_e32 v16, s33
	s_or_b64 s[4:5], s[50:51], s[4:5]
	s_waitcnt lgkmcnt(0)
	v_cndmask_b32_e64 v16, v17, v16, s[4:5]
	v_add_u16_e32 v17, v16, v10
	v_add_u16_sdwa v10, v17, v10 dst_sel:DWORD dst_unused:UNUSED_PAD src0_sel:DWORD src1_sel:WORD_1
	v_add_u16_e32 v18, v10, v11
	v_add_u16_sdwa v11, v18, v11 dst_sel:DWORD dst_unused:UNUSED_PAD src0_sel:DWORD src1_sel:WORD_1
	;; [unrolled: 2-line block ×11, first 2 shown]
	s_mov_b32 s4, 0x5040100
	v_add_u16_e32 v31, v30, v5
	v_add_u32_e32 v15, v14, v15
	v_perm_b32 v2, v17, v16, s4
	v_perm_b32 v3, v18, v10, s4
	;; [unrolled: 1-line block ×4, first 2 shown]
	s_waitcnt lgkmcnt(0)
	; wave barrier
	s_waitcnt lgkmcnt(0)
	s_waitcnt lgkmcnt(0)
	; wave barrier
	ds_write_b128 v15, v[2:5]
	v_perm_b32 v2, v21, v13, s4
	v_perm_b32 v3, v22, v6, s4
	;; [unrolled: 1-line block ×4, first 2 shown]
	ds_write_b128 v15, v[2:5] offset:16
	v_perm_b32 v2, v25, v9, s4
	v_perm_b32 v3, v27, v26, s4
	;; [unrolled: 1-line block ×4, first 2 shown]
	ds_write_b128 v15, v[2:5] offset:32
	s_waitcnt lgkmcnt(0)
	; wave barrier
	s_waitcnt lgkmcnt(0)
	ds_read_u16 v25, v14 offset:128
	ds_read_u16 v24, v14 offset:256
	;; [unrolled: 1-line block ×23, first 2 shown]
	v_lshlrev_b64 v[0:1], 1, v[0:1]
	v_mov_b32_e32 v26, s55
	v_add_co_u32_e64 v0, s[4:5], s54, v0
	v_addc_co_u32_e64 v1, s[4:5], v26, v1, s[4:5]
	s_and_saveexec_b64 s[4:5], vcc
	s_cbranch_execnz .LBB1242_77
; %bb.53:
	s_or_b64 exec, exec, s[4:5]
	s_and_saveexec_b64 s[4:5], s[0:1]
	s_cbranch_execnz .LBB1242_78
.LBB1242_54:
	s_or_b64 exec, exec, s[4:5]
	s_and_saveexec_b64 s[0:1], s[2:3]
	s_cbranch_execnz .LBB1242_79
.LBB1242_55:
	s_or_b64 exec, exec, s[0:1]
	s_and_saveexec_b64 s[0:1], s[48:49]
	s_cbranch_execnz .LBB1242_80
.LBB1242_56:
	s_or_b64 exec, exec, s[0:1]
	s_and_saveexec_b64 s[0:1], s[6:7]
	s_cbranch_execnz .LBB1242_81
.LBB1242_57:
	s_or_b64 exec, exec, s[0:1]
	s_and_saveexec_b64 s[0:1], s[8:9]
	s_cbranch_execnz .LBB1242_82
.LBB1242_58:
	s_or_b64 exec, exec, s[0:1]
	s_and_saveexec_b64 s[0:1], s[10:11]
	s_cbranch_execnz .LBB1242_83
.LBB1242_59:
	s_or_b64 exec, exec, s[0:1]
	s_and_saveexec_b64 s[0:1], s[12:13]
	s_cbranch_execnz .LBB1242_84
.LBB1242_60:
	s_or_b64 exec, exec, s[0:1]
	s_and_saveexec_b64 s[0:1], s[14:15]
	s_cbranch_execnz .LBB1242_85
.LBB1242_61:
	s_or_b64 exec, exec, s[0:1]
	s_and_saveexec_b64 s[0:1], s[16:17]
	s_cbranch_execnz .LBB1242_86
.LBB1242_62:
	s_or_b64 exec, exec, s[0:1]
	s_and_saveexec_b64 s[0:1], s[18:19]
	s_cbranch_execnz .LBB1242_87
.LBB1242_63:
	s_or_b64 exec, exec, s[0:1]
	s_and_saveexec_b64 s[0:1], s[20:21]
	s_cbranch_execnz .LBB1242_88
.LBB1242_64:
	s_or_b64 exec, exec, s[0:1]
	s_and_saveexec_b64 s[0:1], s[22:23]
	s_cbranch_execnz .LBB1242_89
.LBB1242_65:
	s_or_b64 exec, exec, s[0:1]
	s_and_saveexec_b64 s[0:1], s[24:25]
	s_cbranch_execnz .LBB1242_90
.LBB1242_66:
	s_or_b64 exec, exec, s[0:1]
	s_and_saveexec_b64 s[0:1], s[26:27]
	s_cbranch_execnz .LBB1242_91
.LBB1242_67:
	s_or_b64 exec, exec, s[0:1]
	s_and_saveexec_b64 s[0:1], s[28:29]
	s_cbranch_execnz .LBB1242_92
.LBB1242_68:
	s_or_b64 exec, exec, s[0:1]
	s_and_saveexec_b64 s[0:1], s[30:31]
	s_cbranch_execnz .LBB1242_93
.LBB1242_69:
	s_or_b64 exec, exec, s[0:1]
	s_and_saveexec_b64 s[0:1], s[34:35]
	s_cbranch_execnz .LBB1242_94
.LBB1242_70:
	s_or_b64 exec, exec, s[0:1]
	s_and_saveexec_b64 s[0:1], s[36:37]
	s_cbranch_execnz .LBB1242_95
.LBB1242_71:
	s_or_b64 exec, exec, s[0:1]
	s_and_saveexec_b64 s[0:1], s[38:39]
	s_cbranch_execnz .LBB1242_96
.LBB1242_72:
	s_or_b64 exec, exec, s[0:1]
	s_and_saveexec_b64 s[0:1], s[40:41]
	s_cbranch_execnz .LBB1242_97
.LBB1242_73:
	s_or_b64 exec, exec, s[0:1]
	s_and_saveexec_b64 s[0:1], s[42:43]
	s_cbranch_execnz .LBB1242_98
.LBB1242_74:
	s_or_b64 exec, exec, s[0:1]
	s_and_saveexec_b64 s[0:1], s[44:45]
	s_cbranch_execnz .LBB1242_99
.LBB1242_75:
	s_or_b64 exec, exec, s[0:1]
	s_and_saveexec_b64 s[0:1], s[46:47]
	s_cbranch_execnz .LBB1242_100
.LBB1242_76:
	s_endpgm
.LBB1242_77:
	ds_read_u16 v14, v14
	s_waitcnt lgkmcnt(0)
	global_store_short v[0:1], v14, off
	s_or_b64 exec, exec, s[4:5]
	s_and_saveexec_b64 s[4:5], s[0:1]
	s_cbranch_execz .LBB1242_54
.LBB1242_78:
	s_waitcnt lgkmcnt(14)
	global_store_short v[0:1], v25, off offset:128
	s_or_b64 exec, exec, s[4:5]
	s_and_saveexec_b64 s[0:1], s[2:3]
	s_cbranch_execz .LBB1242_55
.LBB1242_79:
	s_waitcnt lgkmcnt(14)
	global_store_short v[0:1], v24, off offset:256
	s_or_b64 exec, exec, s[0:1]
	s_and_saveexec_b64 s[0:1], s[48:49]
	s_cbranch_execz .LBB1242_56
.LBB1242_80:
	s_waitcnt lgkmcnt(14)
	global_store_short v[0:1], v23, off offset:384
	s_or_b64 exec, exec, s[0:1]
	s_and_saveexec_b64 s[0:1], s[6:7]
	s_cbranch_execz .LBB1242_57
.LBB1242_81:
	s_waitcnt lgkmcnt(14)
	global_store_short v[0:1], v22, off offset:512
	s_or_b64 exec, exec, s[0:1]
	s_and_saveexec_b64 s[0:1], s[8:9]
	s_cbranch_execz .LBB1242_58
.LBB1242_82:
	s_waitcnt lgkmcnt(14)
	global_store_short v[0:1], v21, off offset:640
	s_or_b64 exec, exec, s[0:1]
	s_and_saveexec_b64 s[0:1], s[10:11]
	s_cbranch_execz .LBB1242_59
.LBB1242_83:
	s_waitcnt lgkmcnt(14)
	global_store_short v[0:1], v20, off offset:768
	s_or_b64 exec, exec, s[0:1]
	s_and_saveexec_b64 s[0:1], s[12:13]
	s_cbranch_execz .LBB1242_60
.LBB1242_84:
	s_waitcnt lgkmcnt(14)
	global_store_short v[0:1], v19, off offset:896
	s_or_b64 exec, exec, s[0:1]
	s_and_saveexec_b64 s[0:1], s[14:15]
	s_cbranch_execz .LBB1242_61
.LBB1242_85:
	s_waitcnt lgkmcnt(14)
	global_store_short v[0:1], v18, off offset:1024
	s_or_b64 exec, exec, s[0:1]
	s_and_saveexec_b64 s[0:1], s[16:17]
	s_cbranch_execz .LBB1242_62
.LBB1242_86:
	s_waitcnt lgkmcnt(14)
	global_store_short v[0:1], v17, off offset:1152
	s_or_b64 exec, exec, s[0:1]
	s_and_saveexec_b64 s[0:1], s[18:19]
	s_cbranch_execz .LBB1242_63
.LBB1242_87:
	s_waitcnt lgkmcnt(13)
	global_store_short v[0:1], v16, off offset:1280
	s_or_b64 exec, exec, s[0:1]
	s_and_saveexec_b64 s[0:1], s[20:21]
	s_cbranch_execz .LBB1242_64
.LBB1242_88:
	s_waitcnt lgkmcnt(12)
	global_store_short v[0:1], v15, off offset:1408
	s_or_b64 exec, exec, s[0:1]
	s_and_saveexec_b64 s[0:1], s[22:23]
	s_cbranch_execz .LBB1242_65
.LBB1242_89:
	s_waitcnt lgkmcnt(11)
	global_store_short v[0:1], v13, off offset:1536
	s_or_b64 exec, exec, s[0:1]
	s_and_saveexec_b64 s[0:1], s[24:25]
	s_cbranch_execz .LBB1242_66
.LBB1242_90:
	s_waitcnt lgkmcnt(10)
	global_store_short v[0:1], v12, off offset:1664
	s_or_b64 exec, exec, s[0:1]
	s_and_saveexec_b64 s[0:1], s[26:27]
	s_cbranch_execz .LBB1242_67
.LBB1242_91:
	s_waitcnt lgkmcnt(9)
	global_store_short v[0:1], v11, off offset:1792
	s_or_b64 exec, exec, s[0:1]
	s_and_saveexec_b64 s[0:1], s[28:29]
	s_cbranch_execz .LBB1242_68
.LBB1242_92:
	s_waitcnt lgkmcnt(8)
	global_store_short v[0:1], v10, off offset:1920
	s_or_b64 exec, exec, s[0:1]
	s_and_saveexec_b64 s[0:1], s[30:31]
	s_cbranch_execz .LBB1242_69
.LBB1242_93:
	s_waitcnt lgkmcnt(7)
	global_store_short v[0:1], v9, off offset:2048
	s_or_b64 exec, exec, s[0:1]
	s_and_saveexec_b64 s[0:1], s[34:35]
	s_cbranch_execz .LBB1242_70
.LBB1242_94:
	s_waitcnt lgkmcnt(6)
	global_store_short v[0:1], v8, off offset:2176
	s_or_b64 exec, exec, s[0:1]
	s_and_saveexec_b64 s[0:1], s[36:37]
	s_cbranch_execz .LBB1242_71
.LBB1242_95:
	s_waitcnt lgkmcnt(5)
	global_store_short v[0:1], v7, off offset:2304
	s_or_b64 exec, exec, s[0:1]
	s_and_saveexec_b64 s[0:1], s[38:39]
	s_cbranch_execz .LBB1242_72
.LBB1242_96:
	s_waitcnt lgkmcnt(4)
	global_store_short v[0:1], v6, off offset:2432
	s_or_b64 exec, exec, s[0:1]
	s_and_saveexec_b64 s[0:1], s[40:41]
	s_cbranch_execz .LBB1242_73
.LBB1242_97:
	s_waitcnt lgkmcnt(3)
	global_store_short v[0:1], v5, off offset:2560
	s_or_b64 exec, exec, s[0:1]
	s_and_saveexec_b64 s[0:1], s[42:43]
	s_cbranch_execz .LBB1242_74
.LBB1242_98:
	s_waitcnt lgkmcnt(2)
	global_store_short v[0:1], v4, off offset:2688
	s_or_b64 exec, exec, s[0:1]
	s_and_saveexec_b64 s[0:1], s[44:45]
	s_cbranch_execz .LBB1242_75
.LBB1242_99:
	s_waitcnt lgkmcnt(1)
	global_store_short v[0:1], v3, off offset:2816
	s_or_b64 exec, exec, s[0:1]
	s_and_saveexec_b64 s[0:1], s[46:47]
	s_cbranch_execz .LBB1242_76
.LBB1242_100:
	s_waitcnt lgkmcnt(0)
	global_store_short v[0:1], v2, off offset:2944
	s_endpgm
	.section	.rodata,"a",@progbits
	.p2align	6, 0x0
	.amdhsa_kernel _ZN7rocprim17ROCPRIM_400000_NS6detail17trampoline_kernelINS0_14default_configENS1_20scan_config_selectorIsEEZZNS1_9scan_implILNS1_25lookback_scan_determinismE0ELb1ELb1ES3_N6thrust23THRUST_200600_302600_NS6detail15normal_iteratorINS9_10device_ptrIsEEEESE_sNS9_4plusIsEEsEEDaPvRmT3_T4_T5_mT6_P12ihipStream_tbENKUlT_T0_E_clISt17integral_constantIbLb1EEST_IbLb0EEEEDaSP_SQ_EUlSP_E0_NS1_11comp_targetILNS1_3genE4ELNS1_11target_archE910ELNS1_3gpuE8ELNS1_3repE0EEENS1_30default_config_static_selectorELNS0_4arch9wavefront6targetE1EEEvT1_
		.amdhsa_group_segment_fixed_size 3072
		.amdhsa_private_segment_fixed_size 0
		.amdhsa_kernarg_size 32
		.amdhsa_user_sgpr_count 6
		.amdhsa_user_sgpr_private_segment_buffer 1
		.amdhsa_user_sgpr_dispatch_ptr 0
		.amdhsa_user_sgpr_queue_ptr 0
		.amdhsa_user_sgpr_kernarg_segment_ptr 1
		.amdhsa_user_sgpr_dispatch_id 0
		.amdhsa_user_sgpr_flat_scratch_init 0
		.amdhsa_user_sgpr_kernarg_preload_length 0
		.amdhsa_user_sgpr_kernarg_preload_offset 0
		.amdhsa_user_sgpr_private_segment_size 0
		.amdhsa_uses_dynamic_stack 0
		.amdhsa_system_sgpr_private_segment_wavefront_offset 0
		.amdhsa_system_sgpr_workgroup_id_x 1
		.amdhsa_system_sgpr_workgroup_id_y 0
		.amdhsa_system_sgpr_workgroup_id_z 0
		.amdhsa_system_sgpr_workgroup_info 0
		.amdhsa_system_vgpr_workitem_id 0
		.amdhsa_next_free_vgpr 32
		.amdhsa_next_free_sgpr 56
		.amdhsa_accum_offset 32
		.amdhsa_reserve_vcc 1
		.amdhsa_reserve_flat_scratch 0
		.amdhsa_float_round_mode_32 0
		.amdhsa_float_round_mode_16_64 0
		.amdhsa_float_denorm_mode_32 3
		.amdhsa_float_denorm_mode_16_64 3
		.amdhsa_dx10_clamp 1
		.amdhsa_ieee_mode 1
		.amdhsa_fp16_overflow 0
		.amdhsa_tg_split 0
		.amdhsa_exception_fp_ieee_invalid_op 0
		.amdhsa_exception_fp_denorm_src 0
		.amdhsa_exception_fp_ieee_div_zero 0
		.amdhsa_exception_fp_ieee_overflow 0
		.amdhsa_exception_fp_ieee_underflow 0
		.amdhsa_exception_fp_ieee_inexact 0
		.amdhsa_exception_int_div_zero 0
	.end_amdhsa_kernel
	.section	.text._ZN7rocprim17ROCPRIM_400000_NS6detail17trampoline_kernelINS0_14default_configENS1_20scan_config_selectorIsEEZZNS1_9scan_implILNS1_25lookback_scan_determinismE0ELb1ELb1ES3_N6thrust23THRUST_200600_302600_NS6detail15normal_iteratorINS9_10device_ptrIsEEEESE_sNS9_4plusIsEEsEEDaPvRmT3_T4_T5_mT6_P12ihipStream_tbENKUlT_T0_E_clISt17integral_constantIbLb1EEST_IbLb0EEEEDaSP_SQ_EUlSP_E0_NS1_11comp_targetILNS1_3genE4ELNS1_11target_archE910ELNS1_3gpuE8ELNS1_3repE0EEENS1_30default_config_static_selectorELNS0_4arch9wavefront6targetE1EEEvT1_,"axG",@progbits,_ZN7rocprim17ROCPRIM_400000_NS6detail17trampoline_kernelINS0_14default_configENS1_20scan_config_selectorIsEEZZNS1_9scan_implILNS1_25lookback_scan_determinismE0ELb1ELb1ES3_N6thrust23THRUST_200600_302600_NS6detail15normal_iteratorINS9_10device_ptrIsEEEESE_sNS9_4plusIsEEsEEDaPvRmT3_T4_T5_mT6_P12ihipStream_tbENKUlT_T0_E_clISt17integral_constantIbLb1EEST_IbLb0EEEEDaSP_SQ_EUlSP_E0_NS1_11comp_targetILNS1_3genE4ELNS1_11target_archE910ELNS1_3gpuE8ELNS1_3repE0EEENS1_30default_config_static_selectorELNS0_4arch9wavefront6targetE1EEEvT1_,comdat
.Lfunc_end1242:
	.size	_ZN7rocprim17ROCPRIM_400000_NS6detail17trampoline_kernelINS0_14default_configENS1_20scan_config_selectorIsEEZZNS1_9scan_implILNS1_25lookback_scan_determinismE0ELb1ELb1ES3_N6thrust23THRUST_200600_302600_NS6detail15normal_iteratorINS9_10device_ptrIsEEEESE_sNS9_4plusIsEEsEEDaPvRmT3_T4_T5_mT6_P12ihipStream_tbENKUlT_T0_E_clISt17integral_constantIbLb1EEST_IbLb0EEEEDaSP_SQ_EUlSP_E0_NS1_11comp_targetILNS1_3genE4ELNS1_11target_archE910ELNS1_3gpuE8ELNS1_3repE0EEENS1_30default_config_static_selectorELNS0_4arch9wavefront6targetE1EEEvT1_, .Lfunc_end1242-_ZN7rocprim17ROCPRIM_400000_NS6detail17trampoline_kernelINS0_14default_configENS1_20scan_config_selectorIsEEZZNS1_9scan_implILNS1_25lookback_scan_determinismE0ELb1ELb1ES3_N6thrust23THRUST_200600_302600_NS6detail15normal_iteratorINS9_10device_ptrIsEEEESE_sNS9_4plusIsEEsEEDaPvRmT3_T4_T5_mT6_P12ihipStream_tbENKUlT_T0_E_clISt17integral_constantIbLb1EEST_IbLb0EEEEDaSP_SQ_EUlSP_E0_NS1_11comp_targetILNS1_3genE4ELNS1_11target_archE910ELNS1_3gpuE8ELNS1_3repE0EEENS1_30default_config_static_selectorELNS0_4arch9wavefront6targetE1EEEvT1_
                                        ; -- End function
	.section	.AMDGPU.csdata,"",@progbits
; Kernel info:
; codeLenInByte = 3080
; NumSgprs: 60
; NumVgprs: 32
; NumAgprs: 0
; TotalNumVgprs: 32
; ScratchSize: 0
; MemoryBound: 0
; FloatMode: 240
; IeeeMode: 1
; LDSByteSize: 3072 bytes/workgroup (compile time only)
; SGPRBlocks: 7
; VGPRBlocks: 3
; NumSGPRsForWavesPerEU: 60
; NumVGPRsForWavesPerEU: 32
; AccumOffset: 32
; Occupancy: 6
; WaveLimiterHint : 0
; COMPUTE_PGM_RSRC2:SCRATCH_EN: 0
; COMPUTE_PGM_RSRC2:USER_SGPR: 6
; COMPUTE_PGM_RSRC2:TRAP_HANDLER: 0
; COMPUTE_PGM_RSRC2:TGID_X_EN: 1
; COMPUTE_PGM_RSRC2:TGID_Y_EN: 0
; COMPUTE_PGM_RSRC2:TGID_Z_EN: 0
; COMPUTE_PGM_RSRC2:TIDIG_COMP_CNT: 0
; COMPUTE_PGM_RSRC3_GFX90A:ACCUM_OFFSET: 7
; COMPUTE_PGM_RSRC3_GFX90A:TG_SPLIT: 0
	.section	.text._ZN7rocprim17ROCPRIM_400000_NS6detail17trampoline_kernelINS0_14default_configENS1_20scan_config_selectorIsEEZZNS1_9scan_implILNS1_25lookback_scan_determinismE0ELb1ELb1ES3_N6thrust23THRUST_200600_302600_NS6detail15normal_iteratorINS9_10device_ptrIsEEEESE_sNS9_4plusIsEEsEEDaPvRmT3_T4_T5_mT6_P12ihipStream_tbENKUlT_T0_E_clISt17integral_constantIbLb1EEST_IbLb0EEEEDaSP_SQ_EUlSP_E0_NS1_11comp_targetILNS1_3genE3ELNS1_11target_archE908ELNS1_3gpuE7ELNS1_3repE0EEENS1_30default_config_static_selectorELNS0_4arch9wavefront6targetE1EEEvT1_,"axG",@progbits,_ZN7rocprim17ROCPRIM_400000_NS6detail17trampoline_kernelINS0_14default_configENS1_20scan_config_selectorIsEEZZNS1_9scan_implILNS1_25lookback_scan_determinismE0ELb1ELb1ES3_N6thrust23THRUST_200600_302600_NS6detail15normal_iteratorINS9_10device_ptrIsEEEESE_sNS9_4plusIsEEsEEDaPvRmT3_T4_T5_mT6_P12ihipStream_tbENKUlT_T0_E_clISt17integral_constantIbLb1EEST_IbLb0EEEEDaSP_SQ_EUlSP_E0_NS1_11comp_targetILNS1_3genE3ELNS1_11target_archE908ELNS1_3gpuE7ELNS1_3repE0EEENS1_30default_config_static_selectorELNS0_4arch9wavefront6targetE1EEEvT1_,comdat
	.protected	_ZN7rocprim17ROCPRIM_400000_NS6detail17trampoline_kernelINS0_14default_configENS1_20scan_config_selectorIsEEZZNS1_9scan_implILNS1_25lookback_scan_determinismE0ELb1ELb1ES3_N6thrust23THRUST_200600_302600_NS6detail15normal_iteratorINS9_10device_ptrIsEEEESE_sNS9_4plusIsEEsEEDaPvRmT3_T4_T5_mT6_P12ihipStream_tbENKUlT_T0_E_clISt17integral_constantIbLb1EEST_IbLb0EEEEDaSP_SQ_EUlSP_E0_NS1_11comp_targetILNS1_3genE3ELNS1_11target_archE908ELNS1_3gpuE7ELNS1_3repE0EEENS1_30default_config_static_selectorELNS0_4arch9wavefront6targetE1EEEvT1_ ; -- Begin function _ZN7rocprim17ROCPRIM_400000_NS6detail17trampoline_kernelINS0_14default_configENS1_20scan_config_selectorIsEEZZNS1_9scan_implILNS1_25lookback_scan_determinismE0ELb1ELb1ES3_N6thrust23THRUST_200600_302600_NS6detail15normal_iteratorINS9_10device_ptrIsEEEESE_sNS9_4plusIsEEsEEDaPvRmT3_T4_T5_mT6_P12ihipStream_tbENKUlT_T0_E_clISt17integral_constantIbLb1EEST_IbLb0EEEEDaSP_SQ_EUlSP_E0_NS1_11comp_targetILNS1_3genE3ELNS1_11target_archE908ELNS1_3gpuE7ELNS1_3repE0EEENS1_30default_config_static_selectorELNS0_4arch9wavefront6targetE1EEEvT1_
	.globl	_ZN7rocprim17ROCPRIM_400000_NS6detail17trampoline_kernelINS0_14default_configENS1_20scan_config_selectorIsEEZZNS1_9scan_implILNS1_25lookback_scan_determinismE0ELb1ELb1ES3_N6thrust23THRUST_200600_302600_NS6detail15normal_iteratorINS9_10device_ptrIsEEEESE_sNS9_4plusIsEEsEEDaPvRmT3_T4_T5_mT6_P12ihipStream_tbENKUlT_T0_E_clISt17integral_constantIbLb1EEST_IbLb0EEEEDaSP_SQ_EUlSP_E0_NS1_11comp_targetILNS1_3genE3ELNS1_11target_archE908ELNS1_3gpuE7ELNS1_3repE0EEENS1_30default_config_static_selectorELNS0_4arch9wavefront6targetE1EEEvT1_
	.p2align	8
	.type	_ZN7rocprim17ROCPRIM_400000_NS6detail17trampoline_kernelINS0_14default_configENS1_20scan_config_selectorIsEEZZNS1_9scan_implILNS1_25lookback_scan_determinismE0ELb1ELb1ES3_N6thrust23THRUST_200600_302600_NS6detail15normal_iteratorINS9_10device_ptrIsEEEESE_sNS9_4plusIsEEsEEDaPvRmT3_T4_T5_mT6_P12ihipStream_tbENKUlT_T0_E_clISt17integral_constantIbLb1EEST_IbLb0EEEEDaSP_SQ_EUlSP_E0_NS1_11comp_targetILNS1_3genE3ELNS1_11target_archE908ELNS1_3gpuE7ELNS1_3repE0EEENS1_30default_config_static_selectorELNS0_4arch9wavefront6targetE1EEEvT1_,@function
_ZN7rocprim17ROCPRIM_400000_NS6detail17trampoline_kernelINS0_14default_configENS1_20scan_config_selectorIsEEZZNS1_9scan_implILNS1_25lookback_scan_determinismE0ELb1ELb1ES3_N6thrust23THRUST_200600_302600_NS6detail15normal_iteratorINS9_10device_ptrIsEEEESE_sNS9_4plusIsEEsEEDaPvRmT3_T4_T5_mT6_P12ihipStream_tbENKUlT_T0_E_clISt17integral_constantIbLb1EEST_IbLb0EEEEDaSP_SQ_EUlSP_E0_NS1_11comp_targetILNS1_3genE3ELNS1_11target_archE908ELNS1_3gpuE7ELNS1_3repE0EEENS1_30default_config_static_selectorELNS0_4arch9wavefront6targetE1EEEvT1_: ; @_ZN7rocprim17ROCPRIM_400000_NS6detail17trampoline_kernelINS0_14default_configENS1_20scan_config_selectorIsEEZZNS1_9scan_implILNS1_25lookback_scan_determinismE0ELb1ELb1ES3_N6thrust23THRUST_200600_302600_NS6detail15normal_iteratorINS9_10device_ptrIsEEEESE_sNS9_4plusIsEEsEEDaPvRmT3_T4_T5_mT6_P12ihipStream_tbENKUlT_T0_E_clISt17integral_constantIbLb1EEST_IbLb0EEEEDaSP_SQ_EUlSP_E0_NS1_11comp_targetILNS1_3genE3ELNS1_11target_archE908ELNS1_3gpuE7ELNS1_3repE0EEENS1_30default_config_static_selectorELNS0_4arch9wavefront6targetE1EEEvT1_
; %bb.0:
	.section	.rodata,"a",@progbits
	.p2align	6, 0x0
	.amdhsa_kernel _ZN7rocprim17ROCPRIM_400000_NS6detail17trampoline_kernelINS0_14default_configENS1_20scan_config_selectorIsEEZZNS1_9scan_implILNS1_25lookback_scan_determinismE0ELb1ELb1ES3_N6thrust23THRUST_200600_302600_NS6detail15normal_iteratorINS9_10device_ptrIsEEEESE_sNS9_4plusIsEEsEEDaPvRmT3_T4_T5_mT6_P12ihipStream_tbENKUlT_T0_E_clISt17integral_constantIbLb1EEST_IbLb0EEEEDaSP_SQ_EUlSP_E0_NS1_11comp_targetILNS1_3genE3ELNS1_11target_archE908ELNS1_3gpuE7ELNS1_3repE0EEENS1_30default_config_static_selectorELNS0_4arch9wavefront6targetE1EEEvT1_
		.amdhsa_group_segment_fixed_size 0
		.amdhsa_private_segment_fixed_size 0
		.amdhsa_kernarg_size 32
		.amdhsa_user_sgpr_count 6
		.amdhsa_user_sgpr_private_segment_buffer 1
		.amdhsa_user_sgpr_dispatch_ptr 0
		.amdhsa_user_sgpr_queue_ptr 0
		.amdhsa_user_sgpr_kernarg_segment_ptr 1
		.amdhsa_user_sgpr_dispatch_id 0
		.amdhsa_user_sgpr_flat_scratch_init 0
		.amdhsa_user_sgpr_kernarg_preload_length 0
		.amdhsa_user_sgpr_kernarg_preload_offset 0
		.amdhsa_user_sgpr_private_segment_size 0
		.amdhsa_uses_dynamic_stack 0
		.amdhsa_system_sgpr_private_segment_wavefront_offset 0
		.amdhsa_system_sgpr_workgroup_id_x 1
		.amdhsa_system_sgpr_workgroup_id_y 0
		.amdhsa_system_sgpr_workgroup_id_z 0
		.amdhsa_system_sgpr_workgroup_info 0
		.amdhsa_system_vgpr_workitem_id 0
		.amdhsa_next_free_vgpr 1
		.amdhsa_next_free_sgpr 0
		.amdhsa_accum_offset 4
		.amdhsa_reserve_vcc 0
		.amdhsa_reserve_flat_scratch 0
		.amdhsa_float_round_mode_32 0
		.amdhsa_float_round_mode_16_64 0
		.amdhsa_float_denorm_mode_32 3
		.amdhsa_float_denorm_mode_16_64 3
		.amdhsa_dx10_clamp 1
		.amdhsa_ieee_mode 1
		.amdhsa_fp16_overflow 0
		.amdhsa_tg_split 0
		.amdhsa_exception_fp_ieee_invalid_op 0
		.amdhsa_exception_fp_denorm_src 0
		.amdhsa_exception_fp_ieee_div_zero 0
		.amdhsa_exception_fp_ieee_overflow 0
		.amdhsa_exception_fp_ieee_underflow 0
		.amdhsa_exception_fp_ieee_inexact 0
		.amdhsa_exception_int_div_zero 0
	.end_amdhsa_kernel
	.section	.text._ZN7rocprim17ROCPRIM_400000_NS6detail17trampoline_kernelINS0_14default_configENS1_20scan_config_selectorIsEEZZNS1_9scan_implILNS1_25lookback_scan_determinismE0ELb1ELb1ES3_N6thrust23THRUST_200600_302600_NS6detail15normal_iteratorINS9_10device_ptrIsEEEESE_sNS9_4plusIsEEsEEDaPvRmT3_T4_T5_mT6_P12ihipStream_tbENKUlT_T0_E_clISt17integral_constantIbLb1EEST_IbLb0EEEEDaSP_SQ_EUlSP_E0_NS1_11comp_targetILNS1_3genE3ELNS1_11target_archE908ELNS1_3gpuE7ELNS1_3repE0EEENS1_30default_config_static_selectorELNS0_4arch9wavefront6targetE1EEEvT1_,"axG",@progbits,_ZN7rocprim17ROCPRIM_400000_NS6detail17trampoline_kernelINS0_14default_configENS1_20scan_config_selectorIsEEZZNS1_9scan_implILNS1_25lookback_scan_determinismE0ELb1ELb1ES3_N6thrust23THRUST_200600_302600_NS6detail15normal_iteratorINS9_10device_ptrIsEEEESE_sNS9_4plusIsEEsEEDaPvRmT3_T4_T5_mT6_P12ihipStream_tbENKUlT_T0_E_clISt17integral_constantIbLb1EEST_IbLb0EEEEDaSP_SQ_EUlSP_E0_NS1_11comp_targetILNS1_3genE3ELNS1_11target_archE908ELNS1_3gpuE7ELNS1_3repE0EEENS1_30default_config_static_selectorELNS0_4arch9wavefront6targetE1EEEvT1_,comdat
.Lfunc_end1243:
	.size	_ZN7rocprim17ROCPRIM_400000_NS6detail17trampoline_kernelINS0_14default_configENS1_20scan_config_selectorIsEEZZNS1_9scan_implILNS1_25lookback_scan_determinismE0ELb1ELb1ES3_N6thrust23THRUST_200600_302600_NS6detail15normal_iteratorINS9_10device_ptrIsEEEESE_sNS9_4plusIsEEsEEDaPvRmT3_T4_T5_mT6_P12ihipStream_tbENKUlT_T0_E_clISt17integral_constantIbLb1EEST_IbLb0EEEEDaSP_SQ_EUlSP_E0_NS1_11comp_targetILNS1_3genE3ELNS1_11target_archE908ELNS1_3gpuE7ELNS1_3repE0EEENS1_30default_config_static_selectorELNS0_4arch9wavefront6targetE1EEEvT1_, .Lfunc_end1243-_ZN7rocprim17ROCPRIM_400000_NS6detail17trampoline_kernelINS0_14default_configENS1_20scan_config_selectorIsEEZZNS1_9scan_implILNS1_25lookback_scan_determinismE0ELb1ELb1ES3_N6thrust23THRUST_200600_302600_NS6detail15normal_iteratorINS9_10device_ptrIsEEEESE_sNS9_4plusIsEEsEEDaPvRmT3_T4_T5_mT6_P12ihipStream_tbENKUlT_T0_E_clISt17integral_constantIbLb1EEST_IbLb0EEEEDaSP_SQ_EUlSP_E0_NS1_11comp_targetILNS1_3genE3ELNS1_11target_archE908ELNS1_3gpuE7ELNS1_3repE0EEENS1_30default_config_static_selectorELNS0_4arch9wavefront6targetE1EEEvT1_
                                        ; -- End function
	.section	.AMDGPU.csdata,"",@progbits
; Kernel info:
; codeLenInByte = 0
; NumSgprs: 4
; NumVgprs: 0
; NumAgprs: 0
; TotalNumVgprs: 0
; ScratchSize: 0
; MemoryBound: 0
; FloatMode: 240
; IeeeMode: 1
; LDSByteSize: 0 bytes/workgroup (compile time only)
; SGPRBlocks: 0
; VGPRBlocks: 0
; NumSGPRsForWavesPerEU: 4
; NumVGPRsForWavesPerEU: 1
; AccumOffset: 4
; Occupancy: 8
; WaveLimiterHint : 0
; COMPUTE_PGM_RSRC2:SCRATCH_EN: 0
; COMPUTE_PGM_RSRC2:USER_SGPR: 6
; COMPUTE_PGM_RSRC2:TRAP_HANDLER: 0
; COMPUTE_PGM_RSRC2:TGID_X_EN: 1
; COMPUTE_PGM_RSRC2:TGID_Y_EN: 0
; COMPUTE_PGM_RSRC2:TGID_Z_EN: 0
; COMPUTE_PGM_RSRC2:TIDIG_COMP_CNT: 0
; COMPUTE_PGM_RSRC3_GFX90A:ACCUM_OFFSET: 0
; COMPUTE_PGM_RSRC3_GFX90A:TG_SPLIT: 0
	.section	.text._ZN7rocprim17ROCPRIM_400000_NS6detail17trampoline_kernelINS0_14default_configENS1_20scan_config_selectorIsEEZZNS1_9scan_implILNS1_25lookback_scan_determinismE0ELb1ELb1ES3_N6thrust23THRUST_200600_302600_NS6detail15normal_iteratorINS9_10device_ptrIsEEEESE_sNS9_4plusIsEEsEEDaPvRmT3_T4_T5_mT6_P12ihipStream_tbENKUlT_T0_E_clISt17integral_constantIbLb1EEST_IbLb0EEEEDaSP_SQ_EUlSP_E0_NS1_11comp_targetILNS1_3genE2ELNS1_11target_archE906ELNS1_3gpuE6ELNS1_3repE0EEENS1_30default_config_static_selectorELNS0_4arch9wavefront6targetE1EEEvT1_,"axG",@progbits,_ZN7rocprim17ROCPRIM_400000_NS6detail17trampoline_kernelINS0_14default_configENS1_20scan_config_selectorIsEEZZNS1_9scan_implILNS1_25lookback_scan_determinismE0ELb1ELb1ES3_N6thrust23THRUST_200600_302600_NS6detail15normal_iteratorINS9_10device_ptrIsEEEESE_sNS9_4plusIsEEsEEDaPvRmT3_T4_T5_mT6_P12ihipStream_tbENKUlT_T0_E_clISt17integral_constantIbLb1EEST_IbLb0EEEEDaSP_SQ_EUlSP_E0_NS1_11comp_targetILNS1_3genE2ELNS1_11target_archE906ELNS1_3gpuE6ELNS1_3repE0EEENS1_30default_config_static_selectorELNS0_4arch9wavefront6targetE1EEEvT1_,comdat
	.protected	_ZN7rocprim17ROCPRIM_400000_NS6detail17trampoline_kernelINS0_14default_configENS1_20scan_config_selectorIsEEZZNS1_9scan_implILNS1_25lookback_scan_determinismE0ELb1ELb1ES3_N6thrust23THRUST_200600_302600_NS6detail15normal_iteratorINS9_10device_ptrIsEEEESE_sNS9_4plusIsEEsEEDaPvRmT3_T4_T5_mT6_P12ihipStream_tbENKUlT_T0_E_clISt17integral_constantIbLb1EEST_IbLb0EEEEDaSP_SQ_EUlSP_E0_NS1_11comp_targetILNS1_3genE2ELNS1_11target_archE906ELNS1_3gpuE6ELNS1_3repE0EEENS1_30default_config_static_selectorELNS0_4arch9wavefront6targetE1EEEvT1_ ; -- Begin function _ZN7rocprim17ROCPRIM_400000_NS6detail17trampoline_kernelINS0_14default_configENS1_20scan_config_selectorIsEEZZNS1_9scan_implILNS1_25lookback_scan_determinismE0ELb1ELb1ES3_N6thrust23THRUST_200600_302600_NS6detail15normal_iteratorINS9_10device_ptrIsEEEESE_sNS9_4plusIsEEsEEDaPvRmT3_T4_T5_mT6_P12ihipStream_tbENKUlT_T0_E_clISt17integral_constantIbLb1EEST_IbLb0EEEEDaSP_SQ_EUlSP_E0_NS1_11comp_targetILNS1_3genE2ELNS1_11target_archE906ELNS1_3gpuE6ELNS1_3repE0EEENS1_30default_config_static_selectorELNS0_4arch9wavefront6targetE1EEEvT1_
	.globl	_ZN7rocprim17ROCPRIM_400000_NS6detail17trampoline_kernelINS0_14default_configENS1_20scan_config_selectorIsEEZZNS1_9scan_implILNS1_25lookback_scan_determinismE0ELb1ELb1ES3_N6thrust23THRUST_200600_302600_NS6detail15normal_iteratorINS9_10device_ptrIsEEEESE_sNS9_4plusIsEEsEEDaPvRmT3_T4_T5_mT6_P12ihipStream_tbENKUlT_T0_E_clISt17integral_constantIbLb1EEST_IbLb0EEEEDaSP_SQ_EUlSP_E0_NS1_11comp_targetILNS1_3genE2ELNS1_11target_archE906ELNS1_3gpuE6ELNS1_3repE0EEENS1_30default_config_static_selectorELNS0_4arch9wavefront6targetE1EEEvT1_
	.p2align	8
	.type	_ZN7rocprim17ROCPRIM_400000_NS6detail17trampoline_kernelINS0_14default_configENS1_20scan_config_selectorIsEEZZNS1_9scan_implILNS1_25lookback_scan_determinismE0ELb1ELb1ES3_N6thrust23THRUST_200600_302600_NS6detail15normal_iteratorINS9_10device_ptrIsEEEESE_sNS9_4plusIsEEsEEDaPvRmT3_T4_T5_mT6_P12ihipStream_tbENKUlT_T0_E_clISt17integral_constantIbLb1EEST_IbLb0EEEEDaSP_SQ_EUlSP_E0_NS1_11comp_targetILNS1_3genE2ELNS1_11target_archE906ELNS1_3gpuE6ELNS1_3repE0EEENS1_30default_config_static_selectorELNS0_4arch9wavefront6targetE1EEEvT1_,@function
_ZN7rocprim17ROCPRIM_400000_NS6detail17trampoline_kernelINS0_14default_configENS1_20scan_config_selectorIsEEZZNS1_9scan_implILNS1_25lookback_scan_determinismE0ELb1ELb1ES3_N6thrust23THRUST_200600_302600_NS6detail15normal_iteratorINS9_10device_ptrIsEEEESE_sNS9_4plusIsEEsEEDaPvRmT3_T4_T5_mT6_P12ihipStream_tbENKUlT_T0_E_clISt17integral_constantIbLb1EEST_IbLb0EEEEDaSP_SQ_EUlSP_E0_NS1_11comp_targetILNS1_3genE2ELNS1_11target_archE906ELNS1_3gpuE6ELNS1_3repE0EEENS1_30default_config_static_selectorELNS0_4arch9wavefront6targetE1EEEvT1_: ; @_ZN7rocprim17ROCPRIM_400000_NS6detail17trampoline_kernelINS0_14default_configENS1_20scan_config_selectorIsEEZZNS1_9scan_implILNS1_25lookback_scan_determinismE0ELb1ELb1ES3_N6thrust23THRUST_200600_302600_NS6detail15normal_iteratorINS9_10device_ptrIsEEEESE_sNS9_4plusIsEEsEEDaPvRmT3_T4_T5_mT6_P12ihipStream_tbENKUlT_T0_E_clISt17integral_constantIbLb1EEST_IbLb0EEEEDaSP_SQ_EUlSP_E0_NS1_11comp_targetILNS1_3genE2ELNS1_11target_archE906ELNS1_3gpuE6ELNS1_3repE0EEENS1_30default_config_static_selectorELNS0_4arch9wavefront6targetE1EEEvT1_
; %bb.0:
	.section	.rodata,"a",@progbits
	.p2align	6, 0x0
	.amdhsa_kernel _ZN7rocprim17ROCPRIM_400000_NS6detail17trampoline_kernelINS0_14default_configENS1_20scan_config_selectorIsEEZZNS1_9scan_implILNS1_25lookback_scan_determinismE0ELb1ELb1ES3_N6thrust23THRUST_200600_302600_NS6detail15normal_iteratorINS9_10device_ptrIsEEEESE_sNS9_4plusIsEEsEEDaPvRmT3_T4_T5_mT6_P12ihipStream_tbENKUlT_T0_E_clISt17integral_constantIbLb1EEST_IbLb0EEEEDaSP_SQ_EUlSP_E0_NS1_11comp_targetILNS1_3genE2ELNS1_11target_archE906ELNS1_3gpuE6ELNS1_3repE0EEENS1_30default_config_static_selectorELNS0_4arch9wavefront6targetE1EEEvT1_
		.amdhsa_group_segment_fixed_size 0
		.amdhsa_private_segment_fixed_size 0
		.amdhsa_kernarg_size 32
		.amdhsa_user_sgpr_count 6
		.amdhsa_user_sgpr_private_segment_buffer 1
		.amdhsa_user_sgpr_dispatch_ptr 0
		.amdhsa_user_sgpr_queue_ptr 0
		.amdhsa_user_sgpr_kernarg_segment_ptr 1
		.amdhsa_user_sgpr_dispatch_id 0
		.amdhsa_user_sgpr_flat_scratch_init 0
		.amdhsa_user_sgpr_kernarg_preload_length 0
		.amdhsa_user_sgpr_kernarg_preload_offset 0
		.amdhsa_user_sgpr_private_segment_size 0
		.amdhsa_uses_dynamic_stack 0
		.amdhsa_system_sgpr_private_segment_wavefront_offset 0
		.amdhsa_system_sgpr_workgroup_id_x 1
		.amdhsa_system_sgpr_workgroup_id_y 0
		.amdhsa_system_sgpr_workgroup_id_z 0
		.amdhsa_system_sgpr_workgroup_info 0
		.amdhsa_system_vgpr_workitem_id 0
		.amdhsa_next_free_vgpr 1
		.amdhsa_next_free_sgpr 0
		.amdhsa_accum_offset 4
		.amdhsa_reserve_vcc 0
		.amdhsa_reserve_flat_scratch 0
		.amdhsa_float_round_mode_32 0
		.amdhsa_float_round_mode_16_64 0
		.amdhsa_float_denorm_mode_32 3
		.amdhsa_float_denorm_mode_16_64 3
		.amdhsa_dx10_clamp 1
		.amdhsa_ieee_mode 1
		.amdhsa_fp16_overflow 0
		.amdhsa_tg_split 0
		.amdhsa_exception_fp_ieee_invalid_op 0
		.amdhsa_exception_fp_denorm_src 0
		.amdhsa_exception_fp_ieee_div_zero 0
		.amdhsa_exception_fp_ieee_overflow 0
		.amdhsa_exception_fp_ieee_underflow 0
		.amdhsa_exception_fp_ieee_inexact 0
		.amdhsa_exception_int_div_zero 0
	.end_amdhsa_kernel
	.section	.text._ZN7rocprim17ROCPRIM_400000_NS6detail17trampoline_kernelINS0_14default_configENS1_20scan_config_selectorIsEEZZNS1_9scan_implILNS1_25lookback_scan_determinismE0ELb1ELb1ES3_N6thrust23THRUST_200600_302600_NS6detail15normal_iteratorINS9_10device_ptrIsEEEESE_sNS9_4plusIsEEsEEDaPvRmT3_T4_T5_mT6_P12ihipStream_tbENKUlT_T0_E_clISt17integral_constantIbLb1EEST_IbLb0EEEEDaSP_SQ_EUlSP_E0_NS1_11comp_targetILNS1_3genE2ELNS1_11target_archE906ELNS1_3gpuE6ELNS1_3repE0EEENS1_30default_config_static_selectorELNS0_4arch9wavefront6targetE1EEEvT1_,"axG",@progbits,_ZN7rocprim17ROCPRIM_400000_NS6detail17trampoline_kernelINS0_14default_configENS1_20scan_config_selectorIsEEZZNS1_9scan_implILNS1_25lookback_scan_determinismE0ELb1ELb1ES3_N6thrust23THRUST_200600_302600_NS6detail15normal_iteratorINS9_10device_ptrIsEEEESE_sNS9_4plusIsEEsEEDaPvRmT3_T4_T5_mT6_P12ihipStream_tbENKUlT_T0_E_clISt17integral_constantIbLb1EEST_IbLb0EEEEDaSP_SQ_EUlSP_E0_NS1_11comp_targetILNS1_3genE2ELNS1_11target_archE906ELNS1_3gpuE6ELNS1_3repE0EEENS1_30default_config_static_selectorELNS0_4arch9wavefront6targetE1EEEvT1_,comdat
.Lfunc_end1244:
	.size	_ZN7rocprim17ROCPRIM_400000_NS6detail17trampoline_kernelINS0_14default_configENS1_20scan_config_selectorIsEEZZNS1_9scan_implILNS1_25lookback_scan_determinismE0ELb1ELb1ES3_N6thrust23THRUST_200600_302600_NS6detail15normal_iteratorINS9_10device_ptrIsEEEESE_sNS9_4plusIsEEsEEDaPvRmT3_T4_T5_mT6_P12ihipStream_tbENKUlT_T0_E_clISt17integral_constantIbLb1EEST_IbLb0EEEEDaSP_SQ_EUlSP_E0_NS1_11comp_targetILNS1_3genE2ELNS1_11target_archE906ELNS1_3gpuE6ELNS1_3repE0EEENS1_30default_config_static_selectorELNS0_4arch9wavefront6targetE1EEEvT1_, .Lfunc_end1244-_ZN7rocprim17ROCPRIM_400000_NS6detail17trampoline_kernelINS0_14default_configENS1_20scan_config_selectorIsEEZZNS1_9scan_implILNS1_25lookback_scan_determinismE0ELb1ELb1ES3_N6thrust23THRUST_200600_302600_NS6detail15normal_iteratorINS9_10device_ptrIsEEEESE_sNS9_4plusIsEEsEEDaPvRmT3_T4_T5_mT6_P12ihipStream_tbENKUlT_T0_E_clISt17integral_constantIbLb1EEST_IbLb0EEEEDaSP_SQ_EUlSP_E0_NS1_11comp_targetILNS1_3genE2ELNS1_11target_archE906ELNS1_3gpuE6ELNS1_3repE0EEENS1_30default_config_static_selectorELNS0_4arch9wavefront6targetE1EEEvT1_
                                        ; -- End function
	.section	.AMDGPU.csdata,"",@progbits
; Kernel info:
; codeLenInByte = 0
; NumSgprs: 4
; NumVgprs: 0
; NumAgprs: 0
; TotalNumVgprs: 0
; ScratchSize: 0
; MemoryBound: 0
; FloatMode: 240
; IeeeMode: 1
; LDSByteSize: 0 bytes/workgroup (compile time only)
; SGPRBlocks: 0
; VGPRBlocks: 0
; NumSGPRsForWavesPerEU: 4
; NumVGPRsForWavesPerEU: 1
; AccumOffset: 4
; Occupancy: 8
; WaveLimiterHint : 0
; COMPUTE_PGM_RSRC2:SCRATCH_EN: 0
; COMPUTE_PGM_RSRC2:USER_SGPR: 6
; COMPUTE_PGM_RSRC2:TRAP_HANDLER: 0
; COMPUTE_PGM_RSRC2:TGID_X_EN: 1
; COMPUTE_PGM_RSRC2:TGID_Y_EN: 0
; COMPUTE_PGM_RSRC2:TGID_Z_EN: 0
; COMPUTE_PGM_RSRC2:TIDIG_COMP_CNT: 0
; COMPUTE_PGM_RSRC3_GFX90A:ACCUM_OFFSET: 0
; COMPUTE_PGM_RSRC3_GFX90A:TG_SPLIT: 0
	.section	.text._ZN7rocprim17ROCPRIM_400000_NS6detail17trampoline_kernelINS0_14default_configENS1_20scan_config_selectorIsEEZZNS1_9scan_implILNS1_25lookback_scan_determinismE0ELb1ELb1ES3_N6thrust23THRUST_200600_302600_NS6detail15normal_iteratorINS9_10device_ptrIsEEEESE_sNS9_4plusIsEEsEEDaPvRmT3_T4_T5_mT6_P12ihipStream_tbENKUlT_T0_E_clISt17integral_constantIbLb1EEST_IbLb0EEEEDaSP_SQ_EUlSP_E0_NS1_11comp_targetILNS1_3genE10ELNS1_11target_archE1201ELNS1_3gpuE5ELNS1_3repE0EEENS1_30default_config_static_selectorELNS0_4arch9wavefront6targetE1EEEvT1_,"axG",@progbits,_ZN7rocprim17ROCPRIM_400000_NS6detail17trampoline_kernelINS0_14default_configENS1_20scan_config_selectorIsEEZZNS1_9scan_implILNS1_25lookback_scan_determinismE0ELb1ELb1ES3_N6thrust23THRUST_200600_302600_NS6detail15normal_iteratorINS9_10device_ptrIsEEEESE_sNS9_4plusIsEEsEEDaPvRmT3_T4_T5_mT6_P12ihipStream_tbENKUlT_T0_E_clISt17integral_constantIbLb1EEST_IbLb0EEEEDaSP_SQ_EUlSP_E0_NS1_11comp_targetILNS1_3genE10ELNS1_11target_archE1201ELNS1_3gpuE5ELNS1_3repE0EEENS1_30default_config_static_selectorELNS0_4arch9wavefront6targetE1EEEvT1_,comdat
	.protected	_ZN7rocprim17ROCPRIM_400000_NS6detail17trampoline_kernelINS0_14default_configENS1_20scan_config_selectorIsEEZZNS1_9scan_implILNS1_25lookback_scan_determinismE0ELb1ELb1ES3_N6thrust23THRUST_200600_302600_NS6detail15normal_iteratorINS9_10device_ptrIsEEEESE_sNS9_4plusIsEEsEEDaPvRmT3_T4_T5_mT6_P12ihipStream_tbENKUlT_T0_E_clISt17integral_constantIbLb1EEST_IbLb0EEEEDaSP_SQ_EUlSP_E0_NS1_11comp_targetILNS1_3genE10ELNS1_11target_archE1201ELNS1_3gpuE5ELNS1_3repE0EEENS1_30default_config_static_selectorELNS0_4arch9wavefront6targetE1EEEvT1_ ; -- Begin function _ZN7rocprim17ROCPRIM_400000_NS6detail17trampoline_kernelINS0_14default_configENS1_20scan_config_selectorIsEEZZNS1_9scan_implILNS1_25lookback_scan_determinismE0ELb1ELb1ES3_N6thrust23THRUST_200600_302600_NS6detail15normal_iteratorINS9_10device_ptrIsEEEESE_sNS9_4plusIsEEsEEDaPvRmT3_T4_T5_mT6_P12ihipStream_tbENKUlT_T0_E_clISt17integral_constantIbLb1EEST_IbLb0EEEEDaSP_SQ_EUlSP_E0_NS1_11comp_targetILNS1_3genE10ELNS1_11target_archE1201ELNS1_3gpuE5ELNS1_3repE0EEENS1_30default_config_static_selectorELNS0_4arch9wavefront6targetE1EEEvT1_
	.globl	_ZN7rocprim17ROCPRIM_400000_NS6detail17trampoline_kernelINS0_14default_configENS1_20scan_config_selectorIsEEZZNS1_9scan_implILNS1_25lookback_scan_determinismE0ELb1ELb1ES3_N6thrust23THRUST_200600_302600_NS6detail15normal_iteratorINS9_10device_ptrIsEEEESE_sNS9_4plusIsEEsEEDaPvRmT3_T4_T5_mT6_P12ihipStream_tbENKUlT_T0_E_clISt17integral_constantIbLb1EEST_IbLb0EEEEDaSP_SQ_EUlSP_E0_NS1_11comp_targetILNS1_3genE10ELNS1_11target_archE1201ELNS1_3gpuE5ELNS1_3repE0EEENS1_30default_config_static_selectorELNS0_4arch9wavefront6targetE1EEEvT1_
	.p2align	8
	.type	_ZN7rocprim17ROCPRIM_400000_NS6detail17trampoline_kernelINS0_14default_configENS1_20scan_config_selectorIsEEZZNS1_9scan_implILNS1_25lookback_scan_determinismE0ELb1ELb1ES3_N6thrust23THRUST_200600_302600_NS6detail15normal_iteratorINS9_10device_ptrIsEEEESE_sNS9_4plusIsEEsEEDaPvRmT3_T4_T5_mT6_P12ihipStream_tbENKUlT_T0_E_clISt17integral_constantIbLb1EEST_IbLb0EEEEDaSP_SQ_EUlSP_E0_NS1_11comp_targetILNS1_3genE10ELNS1_11target_archE1201ELNS1_3gpuE5ELNS1_3repE0EEENS1_30default_config_static_selectorELNS0_4arch9wavefront6targetE1EEEvT1_,@function
_ZN7rocprim17ROCPRIM_400000_NS6detail17trampoline_kernelINS0_14default_configENS1_20scan_config_selectorIsEEZZNS1_9scan_implILNS1_25lookback_scan_determinismE0ELb1ELb1ES3_N6thrust23THRUST_200600_302600_NS6detail15normal_iteratorINS9_10device_ptrIsEEEESE_sNS9_4plusIsEEsEEDaPvRmT3_T4_T5_mT6_P12ihipStream_tbENKUlT_T0_E_clISt17integral_constantIbLb1EEST_IbLb0EEEEDaSP_SQ_EUlSP_E0_NS1_11comp_targetILNS1_3genE10ELNS1_11target_archE1201ELNS1_3gpuE5ELNS1_3repE0EEENS1_30default_config_static_selectorELNS0_4arch9wavefront6targetE1EEEvT1_: ; @_ZN7rocprim17ROCPRIM_400000_NS6detail17trampoline_kernelINS0_14default_configENS1_20scan_config_selectorIsEEZZNS1_9scan_implILNS1_25lookback_scan_determinismE0ELb1ELb1ES3_N6thrust23THRUST_200600_302600_NS6detail15normal_iteratorINS9_10device_ptrIsEEEESE_sNS9_4plusIsEEsEEDaPvRmT3_T4_T5_mT6_P12ihipStream_tbENKUlT_T0_E_clISt17integral_constantIbLb1EEST_IbLb0EEEEDaSP_SQ_EUlSP_E0_NS1_11comp_targetILNS1_3genE10ELNS1_11target_archE1201ELNS1_3gpuE5ELNS1_3repE0EEENS1_30default_config_static_selectorELNS0_4arch9wavefront6targetE1EEEvT1_
; %bb.0:
	.section	.rodata,"a",@progbits
	.p2align	6, 0x0
	.amdhsa_kernel _ZN7rocprim17ROCPRIM_400000_NS6detail17trampoline_kernelINS0_14default_configENS1_20scan_config_selectorIsEEZZNS1_9scan_implILNS1_25lookback_scan_determinismE0ELb1ELb1ES3_N6thrust23THRUST_200600_302600_NS6detail15normal_iteratorINS9_10device_ptrIsEEEESE_sNS9_4plusIsEEsEEDaPvRmT3_T4_T5_mT6_P12ihipStream_tbENKUlT_T0_E_clISt17integral_constantIbLb1EEST_IbLb0EEEEDaSP_SQ_EUlSP_E0_NS1_11comp_targetILNS1_3genE10ELNS1_11target_archE1201ELNS1_3gpuE5ELNS1_3repE0EEENS1_30default_config_static_selectorELNS0_4arch9wavefront6targetE1EEEvT1_
		.amdhsa_group_segment_fixed_size 0
		.amdhsa_private_segment_fixed_size 0
		.amdhsa_kernarg_size 32
		.amdhsa_user_sgpr_count 6
		.amdhsa_user_sgpr_private_segment_buffer 1
		.amdhsa_user_sgpr_dispatch_ptr 0
		.amdhsa_user_sgpr_queue_ptr 0
		.amdhsa_user_sgpr_kernarg_segment_ptr 1
		.amdhsa_user_sgpr_dispatch_id 0
		.amdhsa_user_sgpr_flat_scratch_init 0
		.amdhsa_user_sgpr_kernarg_preload_length 0
		.amdhsa_user_sgpr_kernarg_preload_offset 0
		.amdhsa_user_sgpr_private_segment_size 0
		.amdhsa_uses_dynamic_stack 0
		.amdhsa_system_sgpr_private_segment_wavefront_offset 0
		.amdhsa_system_sgpr_workgroup_id_x 1
		.amdhsa_system_sgpr_workgroup_id_y 0
		.amdhsa_system_sgpr_workgroup_id_z 0
		.amdhsa_system_sgpr_workgroup_info 0
		.amdhsa_system_vgpr_workitem_id 0
		.amdhsa_next_free_vgpr 1
		.amdhsa_next_free_sgpr 0
		.amdhsa_accum_offset 4
		.amdhsa_reserve_vcc 0
		.amdhsa_reserve_flat_scratch 0
		.amdhsa_float_round_mode_32 0
		.amdhsa_float_round_mode_16_64 0
		.amdhsa_float_denorm_mode_32 3
		.amdhsa_float_denorm_mode_16_64 3
		.amdhsa_dx10_clamp 1
		.amdhsa_ieee_mode 1
		.amdhsa_fp16_overflow 0
		.amdhsa_tg_split 0
		.amdhsa_exception_fp_ieee_invalid_op 0
		.amdhsa_exception_fp_denorm_src 0
		.amdhsa_exception_fp_ieee_div_zero 0
		.amdhsa_exception_fp_ieee_overflow 0
		.amdhsa_exception_fp_ieee_underflow 0
		.amdhsa_exception_fp_ieee_inexact 0
		.amdhsa_exception_int_div_zero 0
	.end_amdhsa_kernel
	.section	.text._ZN7rocprim17ROCPRIM_400000_NS6detail17trampoline_kernelINS0_14default_configENS1_20scan_config_selectorIsEEZZNS1_9scan_implILNS1_25lookback_scan_determinismE0ELb1ELb1ES3_N6thrust23THRUST_200600_302600_NS6detail15normal_iteratorINS9_10device_ptrIsEEEESE_sNS9_4plusIsEEsEEDaPvRmT3_T4_T5_mT6_P12ihipStream_tbENKUlT_T0_E_clISt17integral_constantIbLb1EEST_IbLb0EEEEDaSP_SQ_EUlSP_E0_NS1_11comp_targetILNS1_3genE10ELNS1_11target_archE1201ELNS1_3gpuE5ELNS1_3repE0EEENS1_30default_config_static_selectorELNS0_4arch9wavefront6targetE1EEEvT1_,"axG",@progbits,_ZN7rocprim17ROCPRIM_400000_NS6detail17trampoline_kernelINS0_14default_configENS1_20scan_config_selectorIsEEZZNS1_9scan_implILNS1_25lookback_scan_determinismE0ELb1ELb1ES3_N6thrust23THRUST_200600_302600_NS6detail15normal_iteratorINS9_10device_ptrIsEEEESE_sNS9_4plusIsEEsEEDaPvRmT3_T4_T5_mT6_P12ihipStream_tbENKUlT_T0_E_clISt17integral_constantIbLb1EEST_IbLb0EEEEDaSP_SQ_EUlSP_E0_NS1_11comp_targetILNS1_3genE10ELNS1_11target_archE1201ELNS1_3gpuE5ELNS1_3repE0EEENS1_30default_config_static_selectorELNS0_4arch9wavefront6targetE1EEEvT1_,comdat
.Lfunc_end1245:
	.size	_ZN7rocprim17ROCPRIM_400000_NS6detail17trampoline_kernelINS0_14default_configENS1_20scan_config_selectorIsEEZZNS1_9scan_implILNS1_25lookback_scan_determinismE0ELb1ELb1ES3_N6thrust23THRUST_200600_302600_NS6detail15normal_iteratorINS9_10device_ptrIsEEEESE_sNS9_4plusIsEEsEEDaPvRmT3_T4_T5_mT6_P12ihipStream_tbENKUlT_T0_E_clISt17integral_constantIbLb1EEST_IbLb0EEEEDaSP_SQ_EUlSP_E0_NS1_11comp_targetILNS1_3genE10ELNS1_11target_archE1201ELNS1_3gpuE5ELNS1_3repE0EEENS1_30default_config_static_selectorELNS0_4arch9wavefront6targetE1EEEvT1_, .Lfunc_end1245-_ZN7rocprim17ROCPRIM_400000_NS6detail17trampoline_kernelINS0_14default_configENS1_20scan_config_selectorIsEEZZNS1_9scan_implILNS1_25lookback_scan_determinismE0ELb1ELb1ES3_N6thrust23THRUST_200600_302600_NS6detail15normal_iteratorINS9_10device_ptrIsEEEESE_sNS9_4plusIsEEsEEDaPvRmT3_T4_T5_mT6_P12ihipStream_tbENKUlT_T0_E_clISt17integral_constantIbLb1EEST_IbLb0EEEEDaSP_SQ_EUlSP_E0_NS1_11comp_targetILNS1_3genE10ELNS1_11target_archE1201ELNS1_3gpuE5ELNS1_3repE0EEENS1_30default_config_static_selectorELNS0_4arch9wavefront6targetE1EEEvT1_
                                        ; -- End function
	.section	.AMDGPU.csdata,"",@progbits
; Kernel info:
; codeLenInByte = 0
; NumSgprs: 4
; NumVgprs: 0
; NumAgprs: 0
; TotalNumVgprs: 0
; ScratchSize: 0
; MemoryBound: 0
; FloatMode: 240
; IeeeMode: 1
; LDSByteSize: 0 bytes/workgroup (compile time only)
; SGPRBlocks: 0
; VGPRBlocks: 0
; NumSGPRsForWavesPerEU: 4
; NumVGPRsForWavesPerEU: 1
; AccumOffset: 4
; Occupancy: 8
; WaveLimiterHint : 0
; COMPUTE_PGM_RSRC2:SCRATCH_EN: 0
; COMPUTE_PGM_RSRC2:USER_SGPR: 6
; COMPUTE_PGM_RSRC2:TRAP_HANDLER: 0
; COMPUTE_PGM_RSRC2:TGID_X_EN: 1
; COMPUTE_PGM_RSRC2:TGID_Y_EN: 0
; COMPUTE_PGM_RSRC2:TGID_Z_EN: 0
; COMPUTE_PGM_RSRC2:TIDIG_COMP_CNT: 0
; COMPUTE_PGM_RSRC3_GFX90A:ACCUM_OFFSET: 0
; COMPUTE_PGM_RSRC3_GFX90A:TG_SPLIT: 0
	.section	.text._ZN7rocprim17ROCPRIM_400000_NS6detail17trampoline_kernelINS0_14default_configENS1_20scan_config_selectorIsEEZZNS1_9scan_implILNS1_25lookback_scan_determinismE0ELb1ELb1ES3_N6thrust23THRUST_200600_302600_NS6detail15normal_iteratorINS9_10device_ptrIsEEEESE_sNS9_4plusIsEEsEEDaPvRmT3_T4_T5_mT6_P12ihipStream_tbENKUlT_T0_E_clISt17integral_constantIbLb1EEST_IbLb0EEEEDaSP_SQ_EUlSP_E0_NS1_11comp_targetILNS1_3genE10ELNS1_11target_archE1200ELNS1_3gpuE4ELNS1_3repE0EEENS1_30default_config_static_selectorELNS0_4arch9wavefront6targetE1EEEvT1_,"axG",@progbits,_ZN7rocprim17ROCPRIM_400000_NS6detail17trampoline_kernelINS0_14default_configENS1_20scan_config_selectorIsEEZZNS1_9scan_implILNS1_25lookback_scan_determinismE0ELb1ELb1ES3_N6thrust23THRUST_200600_302600_NS6detail15normal_iteratorINS9_10device_ptrIsEEEESE_sNS9_4plusIsEEsEEDaPvRmT3_T4_T5_mT6_P12ihipStream_tbENKUlT_T0_E_clISt17integral_constantIbLb1EEST_IbLb0EEEEDaSP_SQ_EUlSP_E0_NS1_11comp_targetILNS1_3genE10ELNS1_11target_archE1200ELNS1_3gpuE4ELNS1_3repE0EEENS1_30default_config_static_selectorELNS0_4arch9wavefront6targetE1EEEvT1_,comdat
	.protected	_ZN7rocprim17ROCPRIM_400000_NS6detail17trampoline_kernelINS0_14default_configENS1_20scan_config_selectorIsEEZZNS1_9scan_implILNS1_25lookback_scan_determinismE0ELb1ELb1ES3_N6thrust23THRUST_200600_302600_NS6detail15normal_iteratorINS9_10device_ptrIsEEEESE_sNS9_4plusIsEEsEEDaPvRmT3_T4_T5_mT6_P12ihipStream_tbENKUlT_T0_E_clISt17integral_constantIbLb1EEST_IbLb0EEEEDaSP_SQ_EUlSP_E0_NS1_11comp_targetILNS1_3genE10ELNS1_11target_archE1200ELNS1_3gpuE4ELNS1_3repE0EEENS1_30default_config_static_selectorELNS0_4arch9wavefront6targetE1EEEvT1_ ; -- Begin function _ZN7rocprim17ROCPRIM_400000_NS6detail17trampoline_kernelINS0_14default_configENS1_20scan_config_selectorIsEEZZNS1_9scan_implILNS1_25lookback_scan_determinismE0ELb1ELb1ES3_N6thrust23THRUST_200600_302600_NS6detail15normal_iteratorINS9_10device_ptrIsEEEESE_sNS9_4plusIsEEsEEDaPvRmT3_T4_T5_mT6_P12ihipStream_tbENKUlT_T0_E_clISt17integral_constantIbLb1EEST_IbLb0EEEEDaSP_SQ_EUlSP_E0_NS1_11comp_targetILNS1_3genE10ELNS1_11target_archE1200ELNS1_3gpuE4ELNS1_3repE0EEENS1_30default_config_static_selectorELNS0_4arch9wavefront6targetE1EEEvT1_
	.globl	_ZN7rocprim17ROCPRIM_400000_NS6detail17trampoline_kernelINS0_14default_configENS1_20scan_config_selectorIsEEZZNS1_9scan_implILNS1_25lookback_scan_determinismE0ELb1ELb1ES3_N6thrust23THRUST_200600_302600_NS6detail15normal_iteratorINS9_10device_ptrIsEEEESE_sNS9_4plusIsEEsEEDaPvRmT3_T4_T5_mT6_P12ihipStream_tbENKUlT_T0_E_clISt17integral_constantIbLb1EEST_IbLb0EEEEDaSP_SQ_EUlSP_E0_NS1_11comp_targetILNS1_3genE10ELNS1_11target_archE1200ELNS1_3gpuE4ELNS1_3repE0EEENS1_30default_config_static_selectorELNS0_4arch9wavefront6targetE1EEEvT1_
	.p2align	8
	.type	_ZN7rocprim17ROCPRIM_400000_NS6detail17trampoline_kernelINS0_14default_configENS1_20scan_config_selectorIsEEZZNS1_9scan_implILNS1_25lookback_scan_determinismE0ELb1ELb1ES3_N6thrust23THRUST_200600_302600_NS6detail15normal_iteratorINS9_10device_ptrIsEEEESE_sNS9_4plusIsEEsEEDaPvRmT3_T4_T5_mT6_P12ihipStream_tbENKUlT_T0_E_clISt17integral_constantIbLb1EEST_IbLb0EEEEDaSP_SQ_EUlSP_E0_NS1_11comp_targetILNS1_3genE10ELNS1_11target_archE1200ELNS1_3gpuE4ELNS1_3repE0EEENS1_30default_config_static_selectorELNS0_4arch9wavefront6targetE1EEEvT1_,@function
_ZN7rocprim17ROCPRIM_400000_NS6detail17trampoline_kernelINS0_14default_configENS1_20scan_config_selectorIsEEZZNS1_9scan_implILNS1_25lookback_scan_determinismE0ELb1ELb1ES3_N6thrust23THRUST_200600_302600_NS6detail15normal_iteratorINS9_10device_ptrIsEEEESE_sNS9_4plusIsEEsEEDaPvRmT3_T4_T5_mT6_P12ihipStream_tbENKUlT_T0_E_clISt17integral_constantIbLb1EEST_IbLb0EEEEDaSP_SQ_EUlSP_E0_NS1_11comp_targetILNS1_3genE10ELNS1_11target_archE1200ELNS1_3gpuE4ELNS1_3repE0EEENS1_30default_config_static_selectorELNS0_4arch9wavefront6targetE1EEEvT1_: ; @_ZN7rocprim17ROCPRIM_400000_NS6detail17trampoline_kernelINS0_14default_configENS1_20scan_config_selectorIsEEZZNS1_9scan_implILNS1_25lookback_scan_determinismE0ELb1ELb1ES3_N6thrust23THRUST_200600_302600_NS6detail15normal_iteratorINS9_10device_ptrIsEEEESE_sNS9_4plusIsEEsEEDaPvRmT3_T4_T5_mT6_P12ihipStream_tbENKUlT_T0_E_clISt17integral_constantIbLb1EEST_IbLb0EEEEDaSP_SQ_EUlSP_E0_NS1_11comp_targetILNS1_3genE10ELNS1_11target_archE1200ELNS1_3gpuE4ELNS1_3repE0EEENS1_30default_config_static_selectorELNS0_4arch9wavefront6targetE1EEEvT1_
; %bb.0:
	.section	.rodata,"a",@progbits
	.p2align	6, 0x0
	.amdhsa_kernel _ZN7rocprim17ROCPRIM_400000_NS6detail17trampoline_kernelINS0_14default_configENS1_20scan_config_selectorIsEEZZNS1_9scan_implILNS1_25lookback_scan_determinismE0ELb1ELb1ES3_N6thrust23THRUST_200600_302600_NS6detail15normal_iteratorINS9_10device_ptrIsEEEESE_sNS9_4plusIsEEsEEDaPvRmT3_T4_T5_mT6_P12ihipStream_tbENKUlT_T0_E_clISt17integral_constantIbLb1EEST_IbLb0EEEEDaSP_SQ_EUlSP_E0_NS1_11comp_targetILNS1_3genE10ELNS1_11target_archE1200ELNS1_3gpuE4ELNS1_3repE0EEENS1_30default_config_static_selectorELNS0_4arch9wavefront6targetE1EEEvT1_
		.amdhsa_group_segment_fixed_size 0
		.amdhsa_private_segment_fixed_size 0
		.amdhsa_kernarg_size 32
		.amdhsa_user_sgpr_count 6
		.amdhsa_user_sgpr_private_segment_buffer 1
		.amdhsa_user_sgpr_dispatch_ptr 0
		.amdhsa_user_sgpr_queue_ptr 0
		.amdhsa_user_sgpr_kernarg_segment_ptr 1
		.amdhsa_user_sgpr_dispatch_id 0
		.amdhsa_user_sgpr_flat_scratch_init 0
		.amdhsa_user_sgpr_kernarg_preload_length 0
		.amdhsa_user_sgpr_kernarg_preload_offset 0
		.amdhsa_user_sgpr_private_segment_size 0
		.amdhsa_uses_dynamic_stack 0
		.amdhsa_system_sgpr_private_segment_wavefront_offset 0
		.amdhsa_system_sgpr_workgroup_id_x 1
		.amdhsa_system_sgpr_workgroup_id_y 0
		.amdhsa_system_sgpr_workgroup_id_z 0
		.amdhsa_system_sgpr_workgroup_info 0
		.amdhsa_system_vgpr_workitem_id 0
		.amdhsa_next_free_vgpr 1
		.amdhsa_next_free_sgpr 0
		.amdhsa_accum_offset 4
		.amdhsa_reserve_vcc 0
		.amdhsa_reserve_flat_scratch 0
		.amdhsa_float_round_mode_32 0
		.amdhsa_float_round_mode_16_64 0
		.amdhsa_float_denorm_mode_32 3
		.amdhsa_float_denorm_mode_16_64 3
		.amdhsa_dx10_clamp 1
		.amdhsa_ieee_mode 1
		.amdhsa_fp16_overflow 0
		.amdhsa_tg_split 0
		.amdhsa_exception_fp_ieee_invalid_op 0
		.amdhsa_exception_fp_denorm_src 0
		.amdhsa_exception_fp_ieee_div_zero 0
		.amdhsa_exception_fp_ieee_overflow 0
		.amdhsa_exception_fp_ieee_underflow 0
		.amdhsa_exception_fp_ieee_inexact 0
		.amdhsa_exception_int_div_zero 0
	.end_amdhsa_kernel
	.section	.text._ZN7rocprim17ROCPRIM_400000_NS6detail17trampoline_kernelINS0_14default_configENS1_20scan_config_selectorIsEEZZNS1_9scan_implILNS1_25lookback_scan_determinismE0ELb1ELb1ES3_N6thrust23THRUST_200600_302600_NS6detail15normal_iteratorINS9_10device_ptrIsEEEESE_sNS9_4plusIsEEsEEDaPvRmT3_T4_T5_mT6_P12ihipStream_tbENKUlT_T0_E_clISt17integral_constantIbLb1EEST_IbLb0EEEEDaSP_SQ_EUlSP_E0_NS1_11comp_targetILNS1_3genE10ELNS1_11target_archE1200ELNS1_3gpuE4ELNS1_3repE0EEENS1_30default_config_static_selectorELNS0_4arch9wavefront6targetE1EEEvT1_,"axG",@progbits,_ZN7rocprim17ROCPRIM_400000_NS6detail17trampoline_kernelINS0_14default_configENS1_20scan_config_selectorIsEEZZNS1_9scan_implILNS1_25lookback_scan_determinismE0ELb1ELb1ES3_N6thrust23THRUST_200600_302600_NS6detail15normal_iteratorINS9_10device_ptrIsEEEESE_sNS9_4plusIsEEsEEDaPvRmT3_T4_T5_mT6_P12ihipStream_tbENKUlT_T0_E_clISt17integral_constantIbLb1EEST_IbLb0EEEEDaSP_SQ_EUlSP_E0_NS1_11comp_targetILNS1_3genE10ELNS1_11target_archE1200ELNS1_3gpuE4ELNS1_3repE0EEENS1_30default_config_static_selectorELNS0_4arch9wavefront6targetE1EEEvT1_,comdat
.Lfunc_end1246:
	.size	_ZN7rocprim17ROCPRIM_400000_NS6detail17trampoline_kernelINS0_14default_configENS1_20scan_config_selectorIsEEZZNS1_9scan_implILNS1_25lookback_scan_determinismE0ELb1ELb1ES3_N6thrust23THRUST_200600_302600_NS6detail15normal_iteratorINS9_10device_ptrIsEEEESE_sNS9_4plusIsEEsEEDaPvRmT3_T4_T5_mT6_P12ihipStream_tbENKUlT_T0_E_clISt17integral_constantIbLb1EEST_IbLb0EEEEDaSP_SQ_EUlSP_E0_NS1_11comp_targetILNS1_3genE10ELNS1_11target_archE1200ELNS1_3gpuE4ELNS1_3repE0EEENS1_30default_config_static_selectorELNS0_4arch9wavefront6targetE1EEEvT1_, .Lfunc_end1246-_ZN7rocprim17ROCPRIM_400000_NS6detail17trampoline_kernelINS0_14default_configENS1_20scan_config_selectorIsEEZZNS1_9scan_implILNS1_25lookback_scan_determinismE0ELb1ELb1ES3_N6thrust23THRUST_200600_302600_NS6detail15normal_iteratorINS9_10device_ptrIsEEEESE_sNS9_4plusIsEEsEEDaPvRmT3_T4_T5_mT6_P12ihipStream_tbENKUlT_T0_E_clISt17integral_constantIbLb1EEST_IbLb0EEEEDaSP_SQ_EUlSP_E0_NS1_11comp_targetILNS1_3genE10ELNS1_11target_archE1200ELNS1_3gpuE4ELNS1_3repE0EEENS1_30default_config_static_selectorELNS0_4arch9wavefront6targetE1EEEvT1_
                                        ; -- End function
	.section	.AMDGPU.csdata,"",@progbits
; Kernel info:
; codeLenInByte = 0
; NumSgprs: 4
; NumVgprs: 0
; NumAgprs: 0
; TotalNumVgprs: 0
; ScratchSize: 0
; MemoryBound: 0
; FloatMode: 240
; IeeeMode: 1
; LDSByteSize: 0 bytes/workgroup (compile time only)
; SGPRBlocks: 0
; VGPRBlocks: 0
; NumSGPRsForWavesPerEU: 4
; NumVGPRsForWavesPerEU: 1
; AccumOffset: 4
; Occupancy: 8
; WaveLimiterHint : 0
; COMPUTE_PGM_RSRC2:SCRATCH_EN: 0
; COMPUTE_PGM_RSRC2:USER_SGPR: 6
; COMPUTE_PGM_RSRC2:TRAP_HANDLER: 0
; COMPUTE_PGM_RSRC2:TGID_X_EN: 1
; COMPUTE_PGM_RSRC2:TGID_Y_EN: 0
; COMPUTE_PGM_RSRC2:TGID_Z_EN: 0
; COMPUTE_PGM_RSRC2:TIDIG_COMP_CNT: 0
; COMPUTE_PGM_RSRC3_GFX90A:ACCUM_OFFSET: 0
; COMPUTE_PGM_RSRC3_GFX90A:TG_SPLIT: 0
	.section	.text._ZN7rocprim17ROCPRIM_400000_NS6detail17trampoline_kernelINS0_14default_configENS1_20scan_config_selectorIsEEZZNS1_9scan_implILNS1_25lookback_scan_determinismE0ELb1ELb1ES3_N6thrust23THRUST_200600_302600_NS6detail15normal_iteratorINS9_10device_ptrIsEEEESE_sNS9_4plusIsEEsEEDaPvRmT3_T4_T5_mT6_P12ihipStream_tbENKUlT_T0_E_clISt17integral_constantIbLb1EEST_IbLb0EEEEDaSP_SQ_EUlSP_E0_NS1_11comp_targetILNS1_3genE9ELNS1_11target_archE1100ELNS1_3gpuE3ELNS1_3repE0EEENS1_30default_config_static_selectorELNS0_4arch9wavefront6targetE1EEEvT1_,"axG",@progbits,_ZN7rocprim17ROCPRIM_400000_NS6detail17trampoline_kernelINS0_14default_configENS1_20scan_config_selectorIsEEZZNS1_9scan_implILNS1_25lookback_scan_determinismE0ELb1ELb1ES3_N6thrust23THRUST_200600_302600_NS6detail15normal_iteratorINS9_10device_ptrIsEEEESE_sNS9_4plusIsEEsEEDaPvRmT3_T4_T5_mT6_P12ihipStream_tbENKUlT_T0_E_clISt17integral_constantIbLb1EEST_IbLb0EEEEDaSP_SQ_EUlSP_E0_NS1_11comp_targetILNS1_3genE9ELNS1_11target_archE1100ELNS1_3gpuE3ELNS1_3repE0EEENS1_30default_config_static_selectorELNS0_4arch9wavefront6targetE1EEEvT1_,comdat
	.protected	_ZN7rocprim17ROCPRIM_400000_NS6detail17trampoline_kernelINS0_14default_configENS1_20scan_config_selectorIsEEZZNS1_9scan_implILNS1_25lookback_scan_determinismE0ELb1ELb1ES3_N6thrust23THRUST_200600_302600_NS6detail15normal_iteratorINS9_10device_ptrIsEEEESE_sNS9_4plusIsEEsEEDaPvRmT3_T4_T5_mT6_P12ihipStream_tbENKUlT_T0_E_clISt17integral_constantIbLb1EEST_IbLb0EEEEDaSP_SQ_EUlSP_E0_NS1_11comp_targetILNS1_3genE9ELNS1_11target_archE1100ELNS1_3gpuE3ELNS1_3repE0EEENS1_30default_config_static_selectorELNS0_4arch9wavefront6targetE1EEEvT1_ ; -- Begin function _ZN7rocprim17ROCPRIM_400000_NS6detail17trampoline_kernelINS0_14default_configENS1_20scan_config_selectorIsEEZZNS1_9scan_implILNS1_25lookback_scan_determinismE0ELb1ELb1ES3_N6thrust23THRUST_200600_302600_NS6detail15normal_iteratorINS9_10device_ptrIsEEEESE_sNS9_4plusIsEEsEEDaPvRmT3_T4_T5_mT6_P12ihipStream_tbENKUlT_T0_E_clISt17integral_constantIbLb1EEST_IbLb0EEEEDaSP_SQ_EUlSP_E0_NS1_11comp_targetILNS1_3genE9ELNS1_11target_archE1100ELNS1_3gpuE3ELNS1_3repE0EEENS1_30default_config_static_selectorELNS0_4arch9wavefront6targetE1EEEvT1_
	.globl	_ZN7rocprim17ROCPRIM_400000_NS6detail17trampoline_kernelINS0_14default_configENS1_20scan_config_selectorIsEEZZNS1_9scan_implILNS1_25lookback_scan_determinismE0ELb1ELb1ES3_N6thrust23THRUST_200600_302600_NS6detail15normal_iteratorINS9_10device_ptrIsEEEESE_sNS9_4plusIsEEsEEDaPvRmT3_T4_T5_mT6_P12ihipStream_tbENKUlT_T0_E_clISt17integral_constantIbLb1EEST_IbLb0EEEEDaSP_SQ_EUlSP_E0_NS1_11comp_targetILNS1_3genE9ELNS1_11target_archE1100ELNS1_3gpuE3ELNS1_3repE0EEENS1_30default_config_static_selectorELNS0_4arch9wavefront6targetE1EEEvT1_
	.p2align	8
	.type	_ZN7rocprim17ROCPRIM_400000_NS6detail17trampoline_kernelINS0_14default_configENS1_20scan_config_selectorIsEEZZNS1_9scan_implILNS1_25lookback_scan_determinismE0ELb1ELb1ES3_N6thrust23THRUST_200600_302600_NS6detail15normal_iteratorINS9_10device_ptrIsEEEESE_sNS9_4plusIsEEsEEDaPvRmT3_T4_T5_mT6_P12ihipStream_tbENKUlT_T0_E_clISt17integral_constantIbLb1EEST_IbLb0EEEEDaSP_SQ_EUlSP_E0_NS1_11comp_targetILNS1_3genE9ELNS1_11target_archE1100ELNS1_3gpuE3ELNS1_3repE0EEENS1_30default_config_static_selectorELNS0_4arch9wavefront6targetE1EEEvT1_,@function
_ZN7rocprim17ROCPRIM_400000_NS6detail17trampoline_kernelINS0_14default_configENS1_20scan_config_selectorIsEEZZNS1_9scan_implILNS1_25lookback_scan_determinismE0ELb1ELb1ES3_N6thrust23THRUST_200600_302600_NS6detail15normal_iteratorINS9_10device_ptrIsEEEESE_sNS9_4plusIsEEsEEDaPvRmT3_T4_T5_mT6_P12ihipStream_tbENKUlT_T0_E_clISt17integral_constantIbLb1EEST_IbLb0EEEEDaSP_SQ_EUlSP_E0_NS1_11comp_targetILNS1_3genE9ELNS1_11target_archE1100ELNS1_3gpuE3ELNS1_3repE0EEENS1_30default_config_static_selectorELNS0_4arch9wavefront6targetE1EEEvT1_: ; @_ZN7rocprim17ROCPRIM_400000_NS6detail17trampoline_kernelINS0_14default_configENS1_20scan_config_selectorIsEEZZNS1_9scan_implILNS1_25lookback_scan_determinismE0ELb1ELb1ES3_N6thrust23THRUST_200600_302600_NS6detail15normal_iteratorINS9_10device_ptrIsEEEESE_sNS9_4plusIsEEsEEDaPvRmT3_T4_T5_mT6_P12ihipStream_tbENKUlT_T0_E_clISt17integral_constantIbLb1EEST_IbLb0EEEEDaSP_SQ_EUlSP_E0_NS1_11comp_targetILNS1_3genE9ELNS1_11target_archE1100ELNS1_3gpuE3ELNS1_3repE0EEENS1_30default_config_static_selectorELNS0_4arch9wavefront6targetE1EEEvT1_
; %bb.0:
	.section	.rodata,"a",@progbits
	.p2align	6, 0x0
	.amdhsa_kernel _ZN7rocprim17ROCPRIM_400000_NS6detail17trampoline_kernelINS0_14default_configENS1_20scan_config_selectorIsEEZZNS1_9scan_implILNS1_25lookback_scan_determinismE0ELb1ELb1ES3_N6thrust23THRUST_200600_302600_NS6detail15normal_iteratorINS9_10device_ptrIsEEEESE_sNS9_4plusIsEEsEEDaPvRmT3_T4_T5_mT6_P12ihipStream_tbENKUlT_T0_E_clISt17integral_constantIbLb1EEST_IbLb0EEEEDaSP_SQ_EUlSP_E0_NS1_11comp_targetILNS1_3genE9ELNS1_11target_archE1100ELNS1_3gpuE3ELNS1_3repE0EEENS1_30default_config_static_selectorELNS0_4arch9wavefront6targetE1EEEvT1_
		.amdhsa_group_segment_fixed_size 0
		.amdhsa_private_segment_fixed_size 0
		.amdhsa_kernarg_size 32
		.amdhsa_user_sgpr_count 6
		.amdhsa_user_sgpr_private_segment_buffer 1
		.amdhsa_user_sgpr_dispatch_ptr 0
		.amdhsa_user_sgpr_queue_ptr 0
		.amdhsa_user_sgpr_kernarg_segment_ptr 1
		.amdhsa_user_sgpr_dispatch_id 0
		.amdhsa_user_sgpr_flat_scratch_init 0
		.amdhsa_user_sgpr_kernarg_preload_length 0
		.amdhsa_user_sgpr_kernarg_preload_offset 0
		.amdhsa_user_sgpr_private_segment_size 0
		.amdhsa_uses_dynamic_stack 0
		.amdhsa_system_sgpr_private_segment_wavefront_offset 0
		.amdhsa_system_sgpr_workgroup_id_x 1
		.amdhsa_system_sgpr_workgroup_id_y 0
		.amdhsa_system_sgpr_workgroup_id_z 0
		.amdhsa_system_sgpr_workgroup_info 0
		.amdhsa_system_vgpr_workitem_id 0
		.amdhsa_next_free_vgpr 1
		.amdhsa_next_free_sgpr 0
		.amdhsa_accum_offset 4
		.amdhsa_reserve_vcc 0
		.amdhsa_reserve_flat_scratch 0
		.amdhsa_float_round_mode_32 0
		.amdhsa_float_round_mode_16_64 0
		.amdhsa_float_denorm_mode_32 3
		.amdhsa_float_denorm_mode_16_64 3
		.amdhsa_dx10_clamp 1
		.amdhsa_ieee_mode 1
		.amdhsa_fp16_overflow 0
		.amdhsa_tg_split 0
		.amdhsa_exception_fp_ieee_invalid_op 0
		.amdhsa_exception_fp_denorm_src 0
		.amdhsa_exception_fp_ieee_div_zero 0
		.amdhsa_exception_fp_ieee_overflow 0
		.amdhsa_exception_fp_ieee_underflow 0
		.amdhsa_exception_fp_ieee_inexact 0
		.amdhsa_exception_int_div_zero 0
	.end_amdhsa_kernel
	.section	.text._ZN7rocprim17ROCPRIM_400000_NS6detail17trampoline_kernelINS0_14default_configENS1_20scan_config_selectorIsEEZZNS1_9scan_implILNS1_25lookback_scan_determinismE0ELb1ELb1ES3_N6thrust23THRUST_200600_302600_NS6detail15normal_iteratorINS9_10device_ptrIsEEEESE_sNS9_4plusIsEEsEEDaPvRmT3_T4_T5_mT6_P12ihipStream_tbENKUlT_T0_E_clISt17integral_constantIbLb1EEST_IbLb0EEEEDaSP_SQ_EUlSP_E0_NS1_11comp_targetILNS1_3genE9ELNS1_11target_archE1100ELNS1_3gpuE3ELNS1_3repE0EEENS1_30default_config_static_selectorELNS0_4arch9wavefront6targetE1EEEvT1_,"axG",@progbits,_ZN7rocprim17ROCPRIM_400000_NS6detail17trampoline_kernelINS0_14default_configENS1_20scan_config_selectorIsEEZZNS1_9scan_implILNS1_25lookback_scan_determinismE0ELb1ELb1ES3_N6thrust23THRUST_200600_302600_NS6detail15normal_iteratorINS9_10device_ptrIsEEEESE_sNS9_4plusIsEEsEEDaPvRmT3_T4_T5_mT6_P12ihipStream_tbENKUlT_T0_E_clISt17integral_constantIbLb1EEST_IbLb0EEEEDaSP_SQ_EUlSP_E0_NS1_11comp_targetILNS1_3genE9ELNS1_11target_archE1100ELNS1_3gpuE3ELNS1_3repE0EEENS1_30default_config_static_selectorELNS0_4arch9wavefront6targetE1EEEvT1_,comdat
.Lfunc_end1247:
	.size	_ZN7rocprim17ROCPRIM_400000_NS6detail17trampoline_kernelINS0_14default_configENS1_20scan_config_selectorIsEEZZNS1_9scan_implILNS1_25lookback_scan_determinismE0ELb1ELb1ES3_N6thrust23THRUST_200600_302600_NS6detail15normal_iteratorINS9_10device_ptrIsEEEESE_sNS9_4plusIsEEsEEDaPvRmT3_T4_T5_mT6_P12ihipStream_tbENKUlT_T0_E_clISt17integral_constantIbLb1EEST_IbLb0EEEEDaSP_SQ_EUlSP_E0_NS1_11comp_targetILNS1_3genE9ELNS1_11target_archE1100ELNS1_3gpuE3ELNS1_3repE0EEENS1_30default_config_static_selectorELNS0_4arch9wavefront6targetE1EEEvT1_, .Lfunc_end1247-_ZN7rocprim17ROCPRIM_400000_NS6detail17trampoline_kernelINS0_14default_configENS1_20scan_config_selectorIsEEZZNS1_9scan_implILNS1_25lookback_scan_determinismE0ELb1ELb1ES3_N6thrust23THRUST_200600_302600_NS6detail15normal_iteratorINS9_10device_ptrIsEEEESE_sNS9_4plusIsEEsEEDaPvRmT3_T4_T5_mT6_P12ihipStream_tbENKUlT_T0_E_clISt17integral_constantIbLb1EEST_IbLb0EEEEDaSP_SQ_EUlSP_E0_NS1_11comp_targetILNS1_3genE9ELNS1_11target_archE1100ELNS1_3gpuE3ELNS1_3repE0EEENS1_30default_config_static_selectorELNS0_4arch9wavefront6targetE1EEEvT1_
                                        ; -- End function
	.section	.AMDGPU.csdata,"",@progbits
; Kernel info:
; codeLenInByte = 0
; NumSgprs: 4
; NumVgprs: 0
; NumAgprs: 0
; TotalNumVgprs: 0
; ScratchSize: 0
; MemoryBound: 0
; FloatMode: 240
; IeeeMode: 1
; LDSByteSize: 0 bytes/workgroup (compile time only)
; SGPRBlocks: 0
; VGPRBlocks: 0
; NumSGPRsForWavesPerEU: 4
; NumVGPRsForWavesPerEU: 1
; AccumOffset: 4
; Occupancy: 8
; WaveLimiterHint : 0
; COMPUTE_PGM_RSRC2:SCRATCH_EN: 0
; COMPUTE_PGM_RSRC2:USER_SGPR: 6
; COMPUTE_PGM_RSRC2:TRAP_HANDLER: 0
; COMPUTE_PGM_RSRC2:TGID_X_EN: 1
; COMPUTE_PGM_RSRC2:TGID_Y_EN: 0
; COMPUTE_PGM_RSRC2:TGID_Z_EN: 0
; COMPUTE_PGM_RSRC2:TIDIG_COMP_CNT: 0
; COMPUTE_PGM_RSRC3_GFX90A:ACCUM_OFFSET: 0
; COMPUTE_PGM_RSRC3_GFX90A:TG_SPLIT: 0
	.section	.text._ZN7rocprim17ROCPRIM_400000_NS6detail17trampoline_kernelINS0_14default_configENS1_20scan_config_selectorIsEEZZNS1_9scan_implILNS1_25lookback_scan_determinismE0ELb1ELb1ES3_N6thrust23THRUST_200600_302600_NS6detail15normal_iteratorINS9_10device_ptrIsEEEESE_sNS9_4plusIsEEsEEDaPvRmT3_T4_T5_mT6_P12ihipStream_tbENKUlT_T0_E_clISt17integral_constantIbLb1EEST_IbLb0EEEEDaSP_SQ_EUlSP_E0_NS1_11comp_targetILNS1_3genE8ELNS1_11target_archE1030ELNS1_3gpuE2ELNS1_3repE0EEENS1_30default_config_static_selectorELNS0_4arch9wavefront6targetE1EEEvT1_,"axG",@progbits,_ZN7rocprim17ROCPRIM_400000_NS6detail17trampoline_kernelINS0_14default_configENS1_20scan_config_selectorIsEEZZNS1_9scan_implILNS1_25lookback_scan_determinismE0ELb1ELb1ES3_N6thrust23THRUST_200600_302600_NS6detail15normal_iteratorINS9_10device_ptrIsEEEESE_sNS9_4plusIsEEsEEDaPvRmT3_T4_T5_mT6_P12ihipStream_tbENKUlT_T0_E_clISt17integral_constantIbLb1EEST_IbLb0EEEEDaSP_SQ_EUlSP_E0_NS1_11comp_targetILNS1_3genE8ELNS1_11target_archE1030ELNS1_3gpuE2ELNS1_3repE0EEENS1_30default_config_static_selectorELNS0_4arch9wavefront6targetE1EEEvT1_,comdat
	.protected	_ZN7rocprim17ROCPRIM_400000_NS6detail17trampoline_kernelINS0_14default_configENS1_20scan_config_selectorIsEEZZNS1_9scan_implILNS1_25lookback_scan_determinismE0ELb1ELb1ES3_N6thrust23THRUST_200600_302600_NS6detail15normal_iteratorINS9_10device_ptrIsEEEESE_sNS9_4plusIsEEsEEDaPvRmT3_T4_T5_mT6_P12ihipStream_tbENKUlT_T0_E_clISt17integral_constantIbLb1EEST_IbLb0EEEEDaSP_SQ_EUlSP_E0_NS1_11comp_targetILNS1_3genE8ELNS1_11target_archE1030ELNS1_3gpuE2ELNS1_3repE0EEENS1_30default_config_static_selectorELNS0_4arch9wavefront6targetE1EEEvT1_ ; -- Begin function _ZN7rocprim17ROCPRIM_400000_NS6detail17trampoline_kernelINS0_14default_configENS1_20scan_config_selectorIsEEZZNS1_9scan_implILNS1_25lookback_scan_determinismE0ELb1ELb1ES3_N6thrust23THRUST_200600_302600_NS6detail15normal_iteratorINS9_10device_ptrIsEEEESE_sNS9_4plusIsEEsEEDaPvRmT3_T4_T5_mT6_P12ihipStream_tbENKUlT_T0_E_clISt17integral_constantIbLb1EEST_IbLb0EEEEDaSP_SQ_EUlSP_E0_NS1_11comp_targetILNS1_3genE8ELNS1_11target_archE1030ELNS1_3gpuE2ELNS1_3repE0EEENS1_30default_config_static_selectorELNS0_4arch9wavefront6targetE1EEEvT1_
	.globl	_ZN7rocprim17ROCPRIM_400000_NS6detail17trampoline_kernelINS0_14default_configENS1_20scan_config_selectorIsEEZZNS1_9scan_implILNS1_25lookback_scan_determinismE0ELb1ELb1ES3_N6thrust23THRUST_200600_302600_NS6detail15normal_iteratorINS9_10device_ptrIsEEEESE_sNS9_4plusIsEEsEEDaPvRmT3_T4_T5_mT6_P12ihipStream_tbENKUlT_T0_E_clISt17integral_constantIbLb1EEST_IbLb0EEEEDaSP_SQ_EUlSP_E0_NS1_11comp_targetILNS1_3genE8ELNS1_11target_archE1030ELNS1_3gpuE2ELNS1_3repE0EEENS1_30default_config_static_selectorELNS0_4arch9wavefront6targetE1EEEvT1_
	.p2align	8
	.type	_ZN7rocprim17ROCPRIM_400000_NS6detail17trampoline_kernelINS0_14default_configENS1_20scan_config_selectorIsEEZZNS1_9scan_implILNS1_25lookback_scan_determinismE0ELb1ELb1ES3_N6thrust23THRUST_200600_302600_NS6detail15normal_iteratorINS9_10device_ptrIsEEEESE_sNS9_4plusIsEEsEEDaPvRmT3_T4_T5_mT6_P12ihipStream_tbENKUlT_T0_E_clISt17integral_constantIbLb1EEST_IbLb0EEEEDaSP_SQ_EUlSP_E0_NS1_11comp_targetILNS1_3genE8ELNS1_11target_archE1030ELNS1_3gpuE2ELNS1_3repE0EEENS1_30default_config_static_selectorELNS0_4arch9wavefront6targetE1EEEvT1_,@function
_ZN7rocprim17ROCPRIM_400000_NS6detail17trampoline_kernelINS0_14default_configENS1_20scan_config_selectorIsEEZZNS1_9scan_implILNS1_25lookback_scan_determinismE0ELb1ELb1ES3_N6thrust23THRUST_200600_302600_NS6detail15normal_iteratorINS9_10device_ptrIsEEEESE_sNS9_4plusIsEEsEEDaPvRmT3_T4_T5_mT6_P12ihipStream_tbENKUlT_T0_E_clISt17integral_constantIbLb1EEST_IbLb0EEEEDaSP_SQ_EUlSP_E0_NS1_11comp_targetILNS1_3genE8ELNS1_11target_archE1030ELNS1_3gpuE2ELNS1_3repE0EEENS1_30default_config_static_selectorELNS0_4arch9wavefront6targetE1EEEvT1_: ; @_ZN7rocprim17ROCPRIM_400000_NS6detail17trampoline_kernelINS0_14default_configENS1_20scan_config_selectorIsEEZZNS1_9scan_implILNS1_25lookback_scan_determinismE0ELb1ELb1ES3_N6thrust23THRUST_200600_302600_NS6detail15normal_iteratorINS9_10device_ptrIsEEEESE_sNS9_4plusIsEEsEEDaPvRmT3_T4_T5_mT6_P12ihipStream_tbENKUlT_T0_E_clISt17integral_constantIbLb1EEST_IbLb0EEEEDaSP_SQ_EUlSP_E0_NS1_11comp_targetILNS1_3genE8ELNS1_11target_archE1030ELNS1_3gpuE2ELNS1_3repE0EEENS1_30default_config_static_selectorELNS0_4arch9wavefront6targetE1EEEvT1_
; %bb.0:
	.section	.rodata,"a",@progbits
	.p2align	6, 0x0
	.amdhsa_kernel _ZN7rocprim17ROCPRIM_400000_NS6detail17trampoline_kernelINS0_14default_configENS1_20scan_config_selectorIsEEZZNS1_9scan_implILNS1_25lookback_scan_determinismE0ELb1ELb1ES3_N6thrust23THRUST_200600_302600_NS6detail15normal_iteratorINS9_10device_ptrIsEEEESE_sNS9_4plusIsEEsEEDaPvRmT3_T4_T5_mT6_P12ihipStream_tbENKUlT_T0_E_clISt17integral_constantIbLb1EEST_IbLb0EEEEDaSP_SQ_EUlSP_E0_NS1_11comp_targetILNS1_3genE8ELNS1_11target_archE1030ELNS1_3gpuE2ELNS1_3repE0EEENS1_30default_config_static_selectorELNS0_4arch9wavefront6targetE1EEEvT1_
		.amdhsa_group_segment_fixed_size 0
		.amdhsa_private_segment_fixed_size 0
		.amdhsa_kernarg_size 32
		.amdhsa_user_sgpr_count 6
		.amdhsa_user_sgpr_private_segment_buffer 1
		.amdhsa_user_sgpr_dispatch_ptr 0
		.amdhsa_user_sgpr_queue_ptr 0
		.amdhsa_user_sgpr_kernarg_segment_ptr 1
		.amdhsa_user_sgpr_dispatch_id 0
		.amdhsa_user_sgpr_flat_scratch_init 0
		.amdhsa_user_sgpr_kernarg_preload_length 0
		.amdhsa_user_sgpr_kernarg_preload_offset 0
		.amdhsa_user_sgpr_private_segment_size 0
		.amdhsa_uses_dynamic_stack 0
		.amdhsa_system_sgpr_private_segment_wavefront_offset 0
		.amdhsa_system_sgpr_workgroup_id_x 1
		.amdhsa_system_sgpr_workgroup_id_y 0
		.amdhsa_system_sgpr_workgroup_id_z 0
		.amdhsa_system_sgpr_workgroup_info 0
		.amdhsa_system_vgpr_workitem_id 0
		.amdhsa_next_free_vgpr 1
		.amdhsa_next_free_sgpr 0
		.amdhsa_accum_offset 4
		.amdhsa_reserve_vcc 0
		.amdhsa_reserve_flat_scratch 0
		.amdhsa_float_round_mode_32 0
		.amdhsa_float_round_mode_16_64 0
		.amdhsa_float_denorm_mode_32 3
		.amdhsa_float_denorm_mode_16_64 3
		.amdhsa_dx10_clamp 1
		.amdhsa_ieee_mode 1
		.amdhsa_fp16_overflow 0
		.amdhsa_tg_split 0
		.amdhsa_exception_fp_ieee_invalid_op 0
		.amdhsa_exception_fp_denorm_src 0
		.amdhsa_exception_fp_ieee_div_zero 0
		.amdhsa_exception_fp_ieee_overflow 0
		.amdhsa_exception_fp_ieee_underflow 0
		.amdhsa_exception_fp_ieee_inexact 0
		.amdhsa_exception_int_div_zero 0
	.end_amdhsa_kernel
	.section	.text._ZN7rocprim17ROCPRIM_400000_NS6detail17trampoline_kernelINS0_14default_configENS1_20scan_config_selectorIsEEZZNS1_9scan_implILNS1_25lookback_scan_determinismE0ELb1ELb1ES3_N6thrust23THRUST_200600_302600_NS6detail15normal_iteratorINS9_10device_ptrIsEEEESE_sNS9_4plusIsEEsEEDaPvRmT3_T4_T5_mT6_P12ihipStream_tbENKUlT_T0_E_clISt17integral_constantIbLb1EEST_IbLb0EEEEDaSP_SQ_EUlSP_E0_NS1_11comp_targetILNS1_3genE8ELNS1_11target_archE1030ELNS1_3gpuE2ELNS1_3repE0EEENS1_30default_config_static_selectorELNS0_4arch9wavefront6targetE1EEEvT1_,"axG",@progbits,_ZN7rocprim17ROCPRIM_400000_NS6detail17trampoline_kernelINS0_14default_configENS1_20scan_config_selectorIsEEZZNS1_9scan_implILNS1_25lookback_scan_determinismE0ELb1ELb1ES3_N6thrust23THRUST_200600_302600_NS6detail15normal_iteratorINS9_10device_ptrIsEEEESE_sNS9_4plusIsEEsEEDaPvRmT3_T4_T5_mT6_P12ihipStream_tbENKUlT_T0_E_clISt17integral_constantIbLb1EEST_IbLb0EEEEDaSP_SQ_EUlSP_E0_NS1_11comp_targetILNS1_3genE8ELNS1_11target_archE1030ELNS1_3gpuE2ELNS1_3repE0EEENS1_30default_config_static_selectorELNS0_4arch9wavefront6targetE1EEEvT1_,comdat
.Lfunc_end1248:
	.size	_ZN7rocprim17ROCPRIM_400000_NS6detail17trampoline_kernelINS0_14default_configENS1_20scan_config_selectorIsEEZZNS1_9scan_implILNS1_25lookback_scan_determinismE0ELb1ELb1ES3_N6thrust23THRUST_200600_302600_NS6detail15normal_iteratorINS9_10device_ptrIsEEEESE_sNS9_4plusIsEEsEEDaPvRmT3_T4_T5_mT6_P12ihipStream_tbENKUlT_T0_E_clISt17integral_constantIbLb1EEST_IbLb0EEEEDaSP_SQ_EUlSP_E0_NS1_11comp_targetILNS1_3genE8ELNS1_11target_archE1030ELNS1_3gpuE2ELNS1_3repE0EEENS1_30default_config_static_selectorELNS0_4arch9wavefront6targetE1EEEvT1_, .Lfunc_end1248-_ZN7rocprim17ROCPRIM_400000_NS6detail17trampoline_kernelINS0_14default_configENS1_20scan_config_selectorIsEEZZNS1_9scan_implILNS1_25lookback_scan_determinismE0ELb1ELb1ES3_N6thrust23THRUST_200600_302600_NS6detail15normal_iteratorINS9_10device_ptrIsEEEESE_sNS9_4plusIsEEsEEDaPvRmT3_T4_T5_mT6_P12ihipStream_tbENKUlT_T0_E_clISt17integral_constantIbLb1EEST_IbLb0EEEEDaSP_SQ_EUlSP_E0_NS1_11comp_targetILNS1_3genE8ELNS1_11target_archE1030ELNS1_3gpuE2ELNS1_3repE0EEENS1_30default_config_static_selectorELNS0_4arch9wavefront6targetE1EEEvT1_
                                        ; -- End function
	.section	.AMDGPU.csdata,"",@progbits
; Kernel info:
; codeLenInByte = 0
; NumSgprs: 4
; NumVgprs: 0
; NumAgprs: 0
; TotalNumVgprs: 0
; ScratchSize: 0
; MemoryBound: 0
; FloatMode: 240
; IeeeMode: 1
; LDSByteSize: 0 bytes/workgroup (compile time only)
; SGPRBlocks: 0
; VGPRBlocks: 0
; NumSGPRsForWavesPerEU: 4
; NumVGPRsForWavesPerEU: 1
; AccumOffset: 4
; Occupancy: 8
; WaveLimiterHint : 0
; COMPUTE_PGM_RSRC2:SCRATCH_EN: 0
; COMPUTE_PGM_RSRC2:USER_SGPR: 6
; COMPUTE_PGM_RSRC2:TRAP_HANDLER: 0
; COMPUTE_PGM_RSRC2:TGID_X_EN: 1
; COMPUTE_PGM_RSRC2:TGID_Y_EN: 0
; COMPUTE_PGM_RSRC2:TGID_Z_EN: 0
; COMPUTE_PGM_RSRC2:TIDIG_COMP_CNT: 0
; COMPUTE_PGM_RSRC3_GFX90A:ACCUM_OFFSET: 0
; COMPUTE_PGM_RSRC3_GFX90A:TG_SPLIT: 0
	.section	.text._ZN7rocprim17ROCPRIM_400000_NS6detail17trampoline_kernelINS0_14default_configENS1_20scan_config_selectorIsEEZZNS1_9scan_implILNS1_25lookback_scan_determinismE0ELb1ELb1ES3_N6thrust23THRUST_200600_302600_NS6detail15normal_iteratorINS9_10device_ptrIsEEEESE_sNS9_4plusIsEEsEEDaPvRmT3_T4_T5_mT6_P12ihipStream_tbENKUlT_T0_E_clISt17integral_constantIbLb0EEST_IbLb1EEEEDaSP_SQ_EUlSP_E_NS1_11comp_targetILNS1_3genE0ELNS1_11target_archE4294967295ELNS1_3gpuE0ELNS1_3repE0EEENS1_30default_config_static_selectorELNS0_4arch9wavefront6targetE1EEEvT1_,"axG",@progbits,_ZN7rocprim17ROCPRIM_400000_NS6detail17trampoline_kernelINS0_14default_configENS1_20scan_config_selectorIsEEZZNS1_9scan_implILNS1_25lookback_scan_determinismE0ELb1ELb1ES3_N6thrust23THRUST_200600_302600_NS6detail15normal_iteratorINS9_10device_ptrIsEEEESE_sNS9_4plusIsEEsEEDaPvRmT3_T4_T5_mT6_P12ihipStream_tbENKUlT_T0_E_clISt17integral_constantIbLb0EEST_IbLb1EEEEDaSP_SQ_EUlSP_E_NS1_11comp_targetILNS1_3genE0ELNS1_11target_archE4294967295ELNS1_3gpuE0ELNS1_3repE0EEENS1_30default_config_static_selectorELNS0_4arch9wavefront6targetE1EEEvT1_,comdat
	.protected	_ZN7rocprim17ROCPRIM_400000_NS6detail17trampoline_kernelINS0_14default_configENS1_20scan_config_selectorIsEEZZNS1_9scan_implILNS1_25lookback_scan_determinismE0ELb1ELb1ES3_N6thrust23THRUST_200600_302600_NS6detail15normal_iteratorINS9_10device_ptrIsEEEESE_sNS9_4plusIsEEsEEDaPvRmT3_T4_T5_mT6_P12ihipStream_tbENKUlT_T0_E_clISt17integral_constantIbLb0EEST_IbLb1EEEEDaSP_SQ_EUlSP_E_NS1_11comp_targetILNS1_3genE0ELNS1_11target_archE4294967295ELNS1_3gpuE0ELNS1_3repE0EEENS1_30default_config_static_selectorELNS0_4arch9wavefront6targetE1EEEvT1_ ; -- Begin function _ZN7rocprim17ROCPRIM_400000_NS6detail17trampoline_kernelINS0_14default_configENS1_20scan_config_selectorIsEEZZNS1_9scan_implILNS1_25lookback_scan_determinismE0ELb1ELb1ES3_N6thrust23THRUST_200600_302600_NS6detail15normal_iteratorINS9_10device_ptrIsEEEESE_sNS9_4plusIsEEsEEDaPvRmT3_T4_T5_mT6_P12ihipStream_tbENKUlT_T0_E_clISt17integral_constantIbLb0EEST_IbLb1EEEEDaSP_SQ_EUlSP_E_NS1_11comp_targetILNS1_3genE0ELNS1_11target_archE4294967295ELNS1_3gpuE0ELNS1_3repE0EEENS1_30default_config_static_selectorELNS0_4arch9wavefront6targetE1EEEvT1_
	.globl	_ZN7rocprim17ROCPRIM_400000_NS6detail17trampoline_kernelINS0_14default_configENS1_20scan_config_selectorIsEEZZNS1_9scan_implILNS1_25lookback_scan_determinismE0ELb1ELb1ES3_N6thrust23THRUST_200600_302600_NS6detail15normal_iteratorINS9_10device_ptrIsEEEESE_sNS9_4plusIsEEsEEDaPvRmT3_T4_T5_mT6_P12ihipStream_tbENKUlT_T0_E_clISt17integral_constantIbLb0EEST_IbLb1EEEEDaSP_SQ_EUlSP_E_NS1_11comp_targetILNS1_3genE0ELNS1_11target_archE4294967295ELNS1_3gpuE0ELNS1_3repE0EEENS1_30default_config_static_selectorELNS0_4arch9wavefront6targetE1EEEvT1_
	.p2align	8
	.type	_ZN7rocprim17ROCPRIM_400000_NS6detail17trampoline_kernelINS0_14default_configENS1_20scan_config_selectorIsEEZZNS1_9scan_implILNS1_25lookback_scan_determinismE0ELb1ELb1ES3_N6thrust23THRUST_200600_302600_NS6detail15normal_iteratorINS9_10device_ptrIsEEEESE_sNS9_4plusIsEEsEEDaPvRmT3_T4_T5_mT6_P12ihipStream_tbENKUlT_T0_E_clISt17integral_constantIbLb0EEST_IbLb1EEEEDaSP_SQ_EUlSP_E_NS1_11comp_targetILNS1_3genE0ELNS1_11target_archE4294967295ELNS1_3gpuE0ELNS1_3repE0EEENS1_30default_config_static_selectorELNS0_4arch9wavefront6targetE1EEEvT1_,@function
_ZN7rocprim17ROCPRIM_400000_NS6detail17trampoline_kernelINS0_14default_configENS1_20scan_config_selectorIsEEZZNS1_9scan_implILNS1_25lookback_scan_determinismE0ELb1ELb1ES3_N6thrust23THRUST_200600_302600_NS6detail15normal_iteratorINS9_10device_ptrIsEEEESE_sNS9_4plusIsEEsEEDaPvRmT3_T4_T5_mT6_P12ihipStream_tbENKUlT_T0_E_clISt17integral_constantIbLb0EEST_IbLb1EEEEDaSP_SQ_EUlSP_E_NS1_11comp_targetILNS1_3genE0ELNS1_11target_archE4294967295ELNS1_3gpuE0ELNS1_3repE0EEENS1_30default_config_static_selectorELNS0_4arch9wavefront6targetE1EEEvT1_: ; @_ZN7rocprim17ROCPRIM_400000_NS6detail17trampoline_kernelINS0_14default_configENS1_20scan_config_selectorIsEEZZNS1_9scan_implILNS1_25lookback_scan_determinismE0ELb1ELb1ES3_N6thrust23THRUST_200600_302600_NS6detail15normal_iteratorINS9_10device_ptrIsEEEESE_sNS9_4plusIsEEsEEDaPvRmT3_T4_T5_mT6_P12ihipStream_tbENKUlT_T0_E_clISt17integral_constantIbLb0EEST_IbLb1EEEEDaSP_SQ_EUlSP_E_NS1_11comp_targetILNS1_3genE0ELNS1_11target_archE4294967295ELNS1_3gpuE0ELNS1_3repE0EEENS1_30default_config_static_selectorELNS0_4arch9wavefront6targetE1EEEvT1_
; %bb.0:
	.section	.rodata,"a",@progbits
	.p2align	6, 0x0
	.amdhsa_kernel _ZN7rocprim17ROCPRIM_400000_NS6detail17trampoline_kernelINS0_14default_configENS1_20scan_config_selectorIsEEZZNS1_9scan_implILNS1_25lookback_scan_determinismE0ELb1ELb1ES3_N6thrust23THRUST_200600_302600_NS6detail15normal_iteratorINS9_10device_ptrIsEEEESE_sNS9_4plusIsEEsEEDaPvRmT3_T4_T5_mT6_P12ihipStream_tbENKUlT_T0_E_clISt17integral_constantIbLb0EEST_IbLb1EEEEDaSP_SQ_EUlSP_E_NS1_11comp_targetILNS1_3genE0ELNS1_11target_archE4294967295ELNS1_3gpuE0ELNS1_3repE0EEENS1_30default_config_static_selectorELNS0_4arch9wavefront6targetE1EEEvT1_
		.amdhsa_group_segment_fixed_size 0
		.amdhsa_private_segment_fixed_size 0
		.amdhsa_kernarg_size 96
		.amdhsa_user_sgpr_count 6
		.amdhsa_user_sgpr_private_segment_buffer 1
		.amdhsa_user_sgpr_dispatch_ptr 0
		.amdhsa_user_sgpr_queue_ptr 0
		.amdhsa_user_sgpr_kernarg_segment_ptr 1
		.amdhsa_user_sgpr_dispatch_id 0
		.amdhsa_user_sgpr_flat_scratch_init 0
		.amdhsa_user_sgpr_kernarg_preload_length 0
		.amdhsa_user_sgpr_kernarg_preload_offset 0
		.amdhsa_user_sgpr_private_segment_size 0
		.amdhsa_uses_dynamic_stack 0
		.amdhsa_system_sgpr_private_segment_wavefront_offset 0
		.amdhsa_system_sgpr_workgroup_id_x 1
		.amdhsa_system_sgpr_workgroup_id_y 0
		.amdhsa_system_sgpr_workgroup_id_z 0
		.amdhsa_system_sgpr_workgroup_info 0
		.amdhsa_system_vgpr_workitem_id 0
		.amdhsa_next_free_vgpr 1
		.amdhsa_next_free_sgpr 0
		.amdhsa_accum_offset 4
		.amdhsa_reserve_vcc 0
		.amdhsa_reserve_flat_scratch 0
		.amdhsa_float_round_mode_32 0
		.amdhsa_float_round_mode_16_64 0
		.amdhsa_float_denorm_mode_32 3
		.amdhsa_float_denorm_mode_16_64 3
		.amdhsa_dx10_clamp 1
		.amdhsa_ieee_mode 1
		.amdhsa_fp16_overflow 0
		.amdhsa_tg_split 0
		.amdhsa_exception_fp_ieee_invalid_op 0
		.amdhsa_exception_fp_denorm_src 0
		.amdhsa_exception_fp_ieee_div_zero 0
		.amdhsa_exception_fp_ieee_overflow 0
		.amdhsa_exception_fp_ieee_underflow 0
		.amdhsa_exception_fp_ieee_inexact 0
		.amdhsa_exception_int_div_zero 0
	.end_amdhsa_kernel
	.section	.text._ZN7rocprim17ROCPRIM_400000_NS6detail17trampoline_kernelINS0_14default_configENS1_20scan_config_selectorIsEEZZNS1_9scan_implILNS1_25lookback_scan_determinismE0ELb1ELb1ES3_N6thrust23THRUST_200600_302600_NS6detail15normal_iteratorINS9_10device_ptrIsEEEESE_sNS9_4plusIsEEsEEDaPvRmT3_T4_T5_mT6_P12ihipStream_tbENKUlT_T0_E_clISt17integral_constantIbLb0EEST_IbLb1EEEEDaSP_SQ_EUlSP_E_NS1_11comp_targetILNS1_3genE0ELNS1_11target_archE4294967295ELNS1_3gpuE0ELNS1_3repE0EEENS1_30default_config_static_selectorELNS0_4arch9wavefront6targetE1EEEvT1_,"axG",@progbits,_ZN7rocprim17ROCPRIM_400000_NS6detail17trampoline_kernelINS0_14default_configENS1_20scan_config_selectorIsEEZZNS1_9scan_implILNS1_25lookback_scan_determinismE0ELb1ELb1ES3_N6thrust23THRUST_200600_302600_NS6detail15normal_iteratorINS9_10device_ptrIsEEEESE_sNS9_4plusIsEEsEEDaPvRmT3_T4_T5_mT6_P12ihipStream_tbENKUlT_T0_E_clISt17integral_constantIbLb0EEST_IbLb1EEEEDaSP_SQ_EUlSP_E_NS1_11comp_targetILNS1_3genE0ELNS1_11target_archE4294967295ELNS1_3gpuE0ELNS1_3repE0EEENS1_30default_config_static_selectorELNS0_4arch9wavefront6targetE1EEEvT1_,comdat
.Lfunc_end1249:
	.size	_ZN7rocprim17ROCPRIM_400000_NS6detail17trampoline_kernelINS0_14default_configENS1_20scan_config_selectorIsEEZZNS1_9scan_implILNS1_25lookback_scan_determinismE0ELb1ELb1ES3_N6thrust23THRUST_200600_302600_NS6detail15normal_iteratorINS9_10device_ptrIsEEEESE_sNS9_4plusIsEEsEEDaPvRmT3_T4_T5_mT6_P12ihipStream_tbENKUlT_T0_E_clISt17integral_constantIbLb0EEST_IbLb1EEEEDaSP_SQ_EUlSP_E_NS1_11comp_targetILNS1_3genE0ELNS1_11target_archE4294967295ELNS1_3gpuE0ELNS1_3repE0EEENS1_30default_config_static_selectorELNS0_4arch9wavefront6targetE1EEEvT1_, .Lfunc_end1249-_ZN7rocprim17ROCPRIM_400000_NS6detail17trampoline_kernelINS0_14default_configENS1_20scan_config_selectorIsEEZZNS1_9scan_implILNS1_25lookback_scan_determinismE0ELb1ELb1ES3_N6thrust23THRUST_200600_302600_NS6detail15normal_iteratorINS9_10device_ptrIsEEEESE_sNS9_4plusIsEEsEEDaPvRmT3_T4_T5_mT6_P12ihipStream_tbENKUlT_T0_E_clISt17integral_constantIbLb0EEST_IbLb1EEEEDaSP_SQ_EUlSP_E_NS1_11comp_targetILNS1_3genE0ELNS1_11target_archE4294967295ELNS1_3gpuE0ELNS1_3repE0EEENS1_30default_config_static_selectorELNS0_4arch9wavefront6targetE1EEEvT1_
                                        ; -- End function
	.section	.AMDGPU.csdata,"",@progbits
; Kernel info:
; codeLenInByte = 0
; NumSgprs: 4
; NumVgprs: 0
; NumAgprs: 0
; TotalNumVgprs: 0
; ScratchSize: 0
; MemoryBound: 0
; FloatMode: 240
; IeeeMode: 1
; LDSByteSize: 0 bytes/workgroup (compile time only)
; SGPRBlocks: 0
; VGPRBlocks: 0
; NumSGPRsForWavesPerEU: 4
; NumVGPRsForWavesPerEU: 1
; AccumOffset: 4
; Occupancy: 8
; WaveLimiterHint : 0
; COMPUTE_PGM_RSRC2:SCRATCH_EN: 0
; COMPUTE_PGM_RSRC2:USER_SGPR: 6
; COMPUTE_PGM_RSRC2:TRAP_HANDLER: 0
; COMPUTE_PGM_RSRC2:TGID_X_EN: 1
; COMPUTE_PGM_RSRC2:TGID_Y_EN: 0
; COMPUTE_PGM_RSRC2:TGID_Z_EN: 0
; COMPUTE_PGM_RSRC2:TIDIG_COMP_CNT: 0
; COMPUTE_PGM_RSRC3_GFX90A:ACCUM_OFFSET: 0
; COMPUTE_PGM_RSRC3_GFX90A:TG_SPLIT: 0
	.section	.text._ZN7rocprim17ROCPRIM_400000_NS6detail17trampoline_kernelINS0_14default_configENS1_20scan_config_selectorIsEEZZNS1_9scan_implILNS1_25lookback_scan_determinismE0ELb1ELb1ES3_N6thrust23THRUST_200600_302600_NS6detail15normal_iteratorINS9_10device_ptrIsEEEESE_sNS9_4plusIsEEsEEDaPvRmT3_T4_T5_mT6_P12ihipStream_tbENKUlT_T0_E_clISt17integral_constantIbLb0EEST_IbLb1EEEEDaSP_SQ_EUlSP_E_NS1_11comp_targetILNS1_3genE5ELNS1_11target_archE942ELNS1_3gpuE9ELNS1_3repE0EEENS1_30default_config_static_selectorELNS0_4arch9wavefront6targetE1EEEvT1_,"axG",@progbits,_ZN7rocprim17ROCPRIM_400000_NS6detail17trampoline_kernelINS0_14default_configENS1_20scan_config_selectorIsEEZZNS1_9scan_implILNS1_25lookback_scan_determinismE0ELb1ELb1ES3_N6thrust23THRUST_200600_302600_NS6detail15normal_iteratorINS9_10device_ptrIsEEEESE_sNS9_4plusIsEEsEEDaPvRmT3_T4_T5_mT6_P12ihipStream_tbENKUlT_T0_E_clISt17integral_constantIbLb0EEST_IbLb1EEEEDaSP_SQ_EUlSP_E_NS1_11comp_targetILNS1_3genE5ELNS1_11target_archE942ELNS1_3gpuE9ELNS1_3repE0EEENS1_30default_config_static_selectorELNS0_4arch9wavefront6targetE1EEEvT1_,comdat
	.protected	_ZN7rocprim17ROCPRIM_400000_NS6detail17trampoline_kernelINS0_14default_configENS1_20scan_config_selectorIsEEZZNS1_9scan_implILNS1_25lookback_scan_determinismE0ELb1ELb1ES3_N6thrust23THRUST_200600_302600_NS6detail15normal_iteratorINS9_10device_ptrIsEEEESE_sNS9_4plusIsEEsEEDaPvRmT3_T4_T5_mT6_P12ihipStream_tbENKUlT_T0_E_clISt17integral_constantIbLb0EEST_IbLb1EEEEDaSP_SQ_EUlSP_E_NS1_11comp_targetILNS1_3genE5ELNS1_11target_archE942ELNS1_3gpuE9ELNS1_3repE0EEENS1_30default_config_static_selectorELNS0_4arch9wavefront6targetE1EEEvT1_ ; -- Begin function _ZN7rocprim17ROCPRIM_400000_NS6detail17trampoline_kernelINS0_14default_configENS1_20scan_config_selectorIsEEZZNS1_9scan_implILNS1_25lookback_scan_determinismE0ELb1ELb1ES3_N6thrust23THRUST_200600_302600_NS6detail15normal_iteratorINS9_10device_ptrIsEEEESE_sNS9_4plusIsEEsEEDaPvRmT3_T4_T5_mT6_P12ihipStream_tbENKUlT_T0_E_clISt17integral_constantIbLb0EEST_IbLb1EEEEDaSP_SQ_EUlSP_E_NS1_11comp_targetILNS1_3genE5ELNS1_11target_archE942ELNS1_3gpuE9ELNS1_3repE0EEENS1_30default_config_static_selectorELNS0_4arch9wavefront6targetE1EEEvT1_
	.globl	_ZN7rocprim17ROCPRIM_400000_NS6detail17trampoline_kernelINS0_14default_configENS1_20scan_config_selectorIsEEZZNS1_9scan_implILNS1_25lookback_scan_determinismE0ELb1ELb1ES3_N6thrust23THRUST_200600_302600_NS6detail15normal_iteratorINS9_10device_ptrIsEEEESE_sNS9_4plusIsEEsEEDaPvRmT3_T4_T5_mT6_P12ihipStream_tbENKUlT_T0_E_clISt17integral_constantIbLb0EEST_IbLb1EEEEDaSP_SQ_EUlSP_E_NS1_11comp_targetILNS1_3genE5ELNS1_11target_archE942ELNS1_3gpuE9ELNS1_3repE0EEENS1_30default_config_static_selectorELNS0_4arch9wavefront6targetE1EEEvT1_
	.p2align	8
	.type	_ZN7rocprim17ROCPRIM_400000_NS6detail17trampoline_kernelINS0_14default_configENS1_20scan_config_selectorIsEEZZNS1_9scan_implILNS1_25lookback_scan_determinismE0ELb1ELb1ES3_N6thrust23THRUST_200600_302600_NS6detail15normal_iteratorINS9_10device_ptrIsEEEESE_sNS9_4plusIsEEsEEDaPvRmT3_T4_T5_mT6_P12ihipStream_tbENKUlT_T0_E_clISt17integral_constantIbLb0EEST_IbLb1EEEEDaSP_SQ_EUlSP_E_NS1_11comp_targetILNS1_3genE5ELNS1_11target_archE942ELNS1_3gpuE9ELNS1_3repE0EEENS1_30default_config_static_selectorELNS0_4arch9wavefront6targetE1EEEvT1_,@function
_ZN7rocprim17ROCPRIM_400000_NS6detail17trampoline_kernelINS0_14default_configENS1_20scan_config_selectorIsEEZZNS1_9scan_implILNS1_25lookback_scan_determinismE0ELb1ELb1ES3_N6thrust23THRUST_200600_302600_NS6detail15normal_iteratorINS9_10device_ptrIsEEEESE_sNS9_4plusIsEEsEEDaPvRmT3_T4_T5_mT6_P12ihipStream_tbENKUlT_T0_E_clISt17integral_constantIbLb0EEST_IbLb1EEEEDaSP_SQ_EUlSP_E_NS1_11comp_targetILNS1_3genE5ELNS1_11target_archE942ELNS1_3gpuE9ELNS1_3repE0EEENS1_30default_config_static_selectorELNS0_4arch9wavefront6targetE1EEEvT1_: ; @_ZN7rocprim17ROCPRIM_400000_NS6detail17trampoline_kernelINS0_14default_configENS1_20scan_config_selectorIsEEZZNS1_9scan_implILNS1_25lookback_scan_determinismE0ELb1ELb1ES3_N6thrust23THRUST_200600_302600_NS6detail15normal_iteratorINS9_10device_ptrIsEEEESE_sNS9_4plusIsEEsEEDaPvRmT3_T4_T5_mT6_P12ihipStream_tbENKUlT_T0_E_clISt17integral_constantIbLb0EEST_IbLb1EEEEDaSP_SQ_EUlSP_E_NS1_11comp_targetILNS1_3genE5ELNS1_11target_archE942ELNS1_3gpuE9ELNS1_3repE0EEENS1_30default_config_static_selectorELNS0_4arch9wavefront6targetE1EEEvT1_
; %bb.0:
	.section	.rodata,"a",@progbits
	.p2align	6, 0x0
	.amdhsa_kernel _ZN7rocprim17ROCPRIM_400000_NS6detail17trampoline_kernelINS0_14default_configENS1_20scan_config_selectorIsEEZZNS1_9scan_implILNS1_25lookback_scan_determinismE0ELb1ELb1ES3_N6thrust23THRUST_200600_302600_NS6detail15normal_iteratorINS9_10device_ptrIsEEEESE_sNS9_4plusIsEEsEEDaPvRmT3_T4_T5_mT6_P12ihipStream_tbENKUlT_T0_E_clISt17integral_constantIbLb0EEST_IbLb1EEEEDaSP_SQ_EUlSP_E_NS1_11comp_targetILNS1_3genE5ELNS1_11target_archE942ELNS1_3gpuE9ELNS1_3repE0EEENS1_30default_config_static_selectorELNS0_4arch9wavefront6targetE1EEEvT1_
		.amdhsa_group_segment_fixed_size 0
		.amdhsa_private_segment_fixed_size 0
		.amdhsa_kernarg_size 96
		.amdhsa_user_sgpr_count 6
		.amdhsa_user_sgpr_private_segment_buffer 1
		.amdhsa_user_sgpr_dispatch_ptr 0
		.amdhsa_user_sgpr_queue_ptr 0
		.amdhsa_user_sgpr_kernarg_segment_ptr 1
		.amdhsa_user_sgpr_dispatch_id 0
		.amdhsa_user_sgpr_flat_scratch_init 0
		.amdhsa_user_sgpr_kernarg_preload_length 0
		.amdhsa_user_sgpr_kernarg_preload_offset 0
		.amdhsa_user_sgpr_private_segment_size 0
		.amdhsa_uses_dynamic_stack 0
		.amdhsa_system_sgpr_private_segment_wavefront_offset 0
		.amdhsa_system_sgpr_workgroup_id_x 1
		.amdhsa_system_sgpr_workgroup_id_y 0
		.amdhsa_system_sgpr_workgroup_id_z 0
		.amdhsa_system_sgpr_workgroup_info 0
		.amdhsa_system_vgpr_workitem_id 0
		.amdhsa_next_free_vgpr 1
		.amdhsa_next_free_sgpr 0
		.amdhsa_accum_offset 4
		.amdhsa_reserve_vcc 0
		.amdhsa_reserve_flat_scratch 0
		.amdhsa_float_round_mode_32 0
		.amdhsa_float_round_mode_16_64 0
		.amdhsa_float_denorm_mode_32 3
		.amdhsa_float_denorm_mode_16_64 3
		.amdhsa_dx10_clamp 1
		.amdhsa_ieee_mode 1
		.amdhsa_fp16_overflow 0
		.amdhsa_tg_split 0
		.amdhsa_exception_fp_ieee_invalid_op 0
		.amdhsa_exception_fp_denorm_src 0
		.amdhsa_exception_fp_ieee_div_zero 0
		.amdhsa_exception_fp_ieee_overflow 0
		.amdhsa_exception_fp_ieee_underflow 0
		.amdhsa_exception_fp_ieee_inexact 0
		.amdhsa_exception_int_div_zero 0
	.end_amdhsa_kernel
	.section	.text._ZN7rocprim17ROCPRIM_400000_NS6detail17trampoline_kernelINS0_14default_configENS1_20scan_config_selectorIsEEZZNS1_9scan_implILNS1_25lookback_scan_determinismE0ELb1ELb1ES3_N6thrust23THRUST_200600_302600_NS6detail15normal_iteratorINS9_10device_ptrIsEEEESE_sNS9_4plusIsEEsEEDaPvRmT3_T4_T5_mT6_P12ihipStream_tbENKUlT_T0_E_clISt17integral_constantIbLb0EEST_IbLb1EEEEDaSP_SQ_EUlSP_E_NS1_11comp_targetILNS1_3genE5ELNS1_11target_archE942ELNS1_3gpuE9ELNS1_3repE0EEENS1_30default_config_static_selectorELNS0_4arch9wavefront6targetE1EEEvT1_,"axG",@progbits,_ZN7rocprim17ROCPRIM_400000_NS6detail17trampoline_kernelINS0_14default_configENS1_20scan_config_selectorIsEEZZNS1_9scan_implILNS1_25lookback_scan_determinismE0ELb1ELb1ES3_N6thrust23THRUST_200600_302600_NS6detail15normal_iteratorINS9_10device_ptrIsEEEESE_sNS9_4plusIsEEsEEDaPvRmT3_T4_T5_mT6_P12ihipStream_tbENKUlT_T0_E_clISt17integral_constantIbLb0EEST_IbLb1EEEEDaSP_SQ_EUlSP_E_NS1_11comp_targetILNS1_3genE5ELNS1_11target_archE942ELNS1_3gpuE9ELNS1_3repE0EEENS1_30default_config_static_selectorELNS0_4arch9wavefront6targetE1EEEvT1_,comdat
.Lfunc_end1250:
	.size	_ZN7rocprim17ROCPRIM_400000_NS6detail17trampoline_kernelINS0_14default_configENS1_20scan_config_selectorIsEEZZNS1_9scan_implILNS1_25lookback_scan_determinismE0ELb1ELb1ES3_N6thrust23THRUST_200600_302600_NS6detail15normal_iteratorINS9_10device_ptrIsEEEESE_sNS9_4plusIsEEsEEDaPvRmT3_T4_T5_mT6_P12ihipStream_tbENKUlT_T0_E_clISt17integral_constantIbLb0EEST_IbLb1EEEEDaSP_SQ_EUlSP_E_NS1_11comp_targetILNS1_3genE5ELNS1_11target_archE942ELNS1_3gpuE9ELNS1_3repE0EEENS1_30default_config_static_selectorELNS0_4arch9wavefront6targetE1EEEvT1_, .Lfunc_end1250-_ZN7rocprim17ROCPRIM_400000_NS6detail17trampoline_kernelINS0_14default_configENS1_20scan_config_selectorIsEEZZNS1_9scan_implILNS1_25lookback_scan_determinismE0ELb1ELb1ES3_N6thrust23THRUST_200600_302600_NS6detail15normal_iteratorINS9_10device_ptrIsEEEESE_sNS9_4plusIsEEsEEDaPvRmT3_T4_T5_mT6_P12ihipStream_tbENKUlT_T0_E_clISt17integral_constantIbLb0EEST_IbLb1EEEEDaSP_SQ_EUlSP_E_NS1_11comp_targetILNS1_3genE5ELNS1_11target_archE942ELNS1_3gpuE9ELNS1_3repE0EEENS1_30default_config_static_selectorELNS0_4arch9wavefront6targetE1EEEvT1_
                                        ; -- End function
	.section	.AMDGPU.csdata,"",@progbits
; Kernel info:
; codeLenInByte = 0
; NumSgprs: 4
; NumVgprs: 0
; NumAgprs: 0
; TotalNumVgprs: 0
; ScratchSize: 0
; MemoryBound: 0
; FloatMode: 240
; IeeeMode: 1
; LDSByteSize: 0 bytes/workgroup (compile time only)
; SGPRBlocks: 0
; VGPRBlocks: 0
; NumSGPRsForWavesPerEU: 4
; NumVGPRsForWavesPerEU: 1
; AccumOffset: 4
; Occupancy: 8
; WaveLimiterHint : 0
; COMPUTE_PGM_RSRC2:SCRATCH_EN: 0
; COMPUTE_PGM_RSRC2:USER_SGPR: 6
; COMPUTE_PGM_RSRC2:TRAP_HANDLER: 0
; COMPUTE_PGM_RSRC2:TGID_X_EN: 1
; COMPUTE_PGM_RSRC2:TGID_Y_EN: 0
; COMPUTE_PGM_RSRC2:TGID_Z_EN: 0
; COMPUTE_PGM_RSRC2:TIDIG_COMP_CNT: 0
; COMPUTE_PGM_RSRC3_GFX90A:ACCUM_OFFSET: 0
; COMPUTE_PGM_RSRC3_GFX90A:TG_SPLIT: 0
	.section	.text._ZN7rocprim17ROCPRIM_400000_NS6detail17trampoline_kernelINS0_14default_configENS1_20scan_config_selectorIsEEZZNS1_9scan_implILNS1_25lookback_scan_determinismE0ELb1ELb1ES3_N6thrust23THRUST_200600_302600_NS6detail15normal_iteratorINS9_10device_ptrIsEEEESE_sNS9_4plusIsEEsEEDaPvRmT3_T4_T5_mT6_P12ihipStream_tbENKUlT_T0_E_clISt17integral_constantIbLb0EEST_IbLb1EEEEDaSP_SQ_EUlSP_E_NS1_11comp_targetILNS1_3genE4ELNS1_11target_archE910ELNS1_3gpuE8ELNS1_3repE0EEENS1_30default_config_static_selectorELNS0_4arch9wavefront6targetE1EEEvT1_,"axG",@progbits,_ZN7rocprim17ROCPRIM_400000_NS6detail17trampoline_kernelINS0_14default_configENS1_20scan_config_selectorIsEEZZNS1_9scan_implILNS1_25lookback_scan_determinismE0ELb1ELb1ES3_N6thrust23THRUST_200600_302600_NS6detail15normal_iteratorINS9_10device_ptrIsEEEESE_sNS9_4plusIsEEsEEDaPvRmT3_T4_T5_mT6_P12ihipStream_tbENKUlT_T0_E_clISt17integral_constantIbLb0EEST_IbLb1EEEEDaSP_SQ_EUlSP_E_NS1_11comp_targetILNS1_3genE4ELNS1_11target_archE910ELNS1_3gpuE8ELNS1_3repE0EEENS1_30default_config_static_selectorELNS0_4arch9wavefront6targetE1EEEvT1_,comdat
	.protected	_ZN7rocprim17ROCPRIM_400000_NS6detail17trampoline_kernelINS0_14default_configENS1_20scan_config_selectorIsEEZZNS1_9scan_implILNS1_25lookback_scan_determinismE0ELb1ELb1ES3_N6thrust23THRUST_200600_302600_NS6detail15normal_iteratorINS9_10device_ptrIsEEEESE_sNS9_4plusIsEEsEEDaPvRmT3_T4_T5_mT6_P12ihipStream_tbENKUlT_T0_E_clISt17integral_constantIbLb0EEST_IbLb1EEEEDaSP_SQ_EUlSP_E_NS1_11comp_targetILNS1_3genE4ELNS1_11target_archE910ELNS1_3gpuE8ELNS1_3repE0EEENS1_30default_config_static_selectorELNS0_4arch9wavefront6targetE1EEEvT1_ ; -- Begin function _ZN7rocprim17ROCPRIM_400000_NS6detail17trampoline_kernelINS0_14default_configENS1_20scan_config_selectorIsEEZZNS1_9scan_implILNS1_25lookback_scan_determinismE0ELb1ELb1ES3_N6thrust23THRUST_200600_302600_NS6detail15normal_iteratorINS9_10device_ptrIsEEEESE_sNS9_4plusIsEEsEEDaPvRmT3_T4_T5_mT6_P12ihipStream_tbENKUlT_T0_E_clISt17integral_constantIbLb0EEST_IbLb1EEEEDaSP_SQ_EUlSP_E_NS1_11comp_targetILNS1_3genE4ELNS1_11target_archE910ELNS1_3gpuE8ELNS1_3repE0EEENS1_30default_config_static_selectorELNS0_4arch9wavefront6targetE1EEEvT1_
	.globl	_ZN7rocprim17ROCPRIM_400000_NS6detail17trampoline_kernelINS0_14default_configENS1_20scan_config_selectorIsEEZZNS1_9scan_implILNS1_25lookback_scan_determinismE0ELb1ELb1ES3_N6thrust23THRUST_200600_302600_NS6detail15normal_iteratorINS9_10device_ptrIsEEEESE_sNS9_4plusIsEEsEEDaPvRmT3_T4_T5_mT6_P12ihipStream_tbENKUlT_T0_E_clISt17integral_constantIbLb0EEST_IbLb1EEEEDaSP_SQ_EUlSP_E_NS1_11comp_targetILNS1_3genE4ELNS1_11target_archE910ELNS1_3gpuE8ELNS1_3repE0EEENS1_30default_config_static_selectorELNS0_4arch9wavefront6targetE1EEEvT1_
	.p2align	8
	.type	_ZN7rocprim17ROCPRIM_400000_NS6detail17trampoline_kernelINS0_14default_configENS1_20scan_config_selectorIsEEZZNS1_9scan_implILNS1_25lookback_scan_determinismE0ELb1ELb1ES3_N6thrust23THRUST_200600_302600_NS6detail15normal_iteratorINS9_10device_ptrIsEEEESE_sNS9_4plusIsEEsEEDaPvRmT3_T4_T5_mT6_P12ihipStream_tbENKUlT_T0_E_clISt17integral_constantIbLb0EEST_IbLb1EEEEDaSP_SQ_EUlSP_E_NS1_11comp_targetILNS1_3genE4ELNS1_11target_archE910ELNS1_3gpuE8ELNS1_3repE0EEENS1_30default_config_static_selectorELNS0_4arch9wavefront6targetE1EEEvT1_,@function
_ZN7rocprim17ROCPRIM_400000_NS6detail17trampoline_kernelINS0_14default_configENS1_20scan_config_selectorIsEEZZNS1_9scan_implILNS1_25lookback_scan_determinismE0ELb1ELb1ES3_N6thrust23THRUST_200600_302600_NS6detail15normal_iteratorINS9_10device_ptrIsEEEESE_sNS9_4plusIsEEsEEDaPvRmT3_T4_T5_mT6_P12ihipStream_tbENKUlT_T0_E_clISt17integral_constantIbLb0EEST_IbLb1EEEEDaSP_SQ_EUlSP_E_NS1_11comp_targetILNS1_3genE4ELNS1_11target_archE910ELNS1_3gpuE8ELNS1_3repE0EEENS1_30default_config_static_selectorELNS0_4arch9wavefront6targetE1EEEvT1_: ; @_ZN7rocprim17ROCPRIM_400000_NS6detail17trampoline_kernelINS0_14default_configENS1_20scan_config_selectorIsEEZZNS1_9scan_implILNS1_25lookback_scan_determinismE0ELb1ELb1ES3_N6thrust23THRUST_200600_302600_NS6detail15normal_iteratorINS9_10device_ptrIsEEEESE_sNS9_4plusIsEEsEEDaPvRmT3_T4_T5_mT6_P12ihipStream_tbENKUlT_T0_E_clISt17integral_constantIbLb0EEST_IbLb1EEEEDaSP_SQ_EUlSP_E_NS1_11comp_targetILNS1_3genE4ELNS1_11target_archE910ELNS1_3gpuE8ELNS1_3repE0EEENS1_30default_config_static_selectorELNS0_4arch9wavefront6targetE1EEEvT1_
; %bb.0:
	s_load_dword s30, s[4:5], 0x20
	s_load_dwordx2 s[24:25], s[4:5], 0x28
	v_cmp_eq_u32_e64 s[0:1], 0, v0
	s_and_saveexec_b64 s[2:3], s[0:1]
	s_cbranch_execz .LBB1251_4
; %bb.1:
	s_mov_b64 s[8:9], exec
	v_mbcnt_lo_u32_b32 v1, s8, 0
	v_mbcnt_hi_u32_b32 v1, s9, v1
	v_cmp_eq_u32_e32 vcc, 0, v1
                                        ; implicit-def: $vgpr2
	s_and_saveexec_b64 s[6:7], vcc
	s_cbranch_execz .LBB1251_3
; %bb.2:
	s_load_dwordx2 s[10:11], s[4:5], 0x58
	s_bcnt1_i32_b64 s8, s[8:9]
	v_mov_b32_e32 v2, 0
	v_mov_b32_e32 v3, s8
	s_waitcnt lgkmcnt(0)
	global_atomic_add v2, v2, v3, s[10:11] glc
.LBB1251_3:
	s_or_b64 exec, exec, s[6:7]
	s_waitcnt vmcnt(0)
	v_readfirstlane_b32 s6, v2
	v_add_u32_e32 v1, s6, v1
	v_mov_b32_e32 v2, 0
	ds_write_b32 v2, v1
.LBB1251_4:
	s_or_b64 exec, exec, s[2:3]
	s_load_dwordx8 s[16:23], s[4:5], 0x0
	s_load_dword s2, s[4:5], 0x30
	s_load_dwordx8 s[8:15], s[4:5], 0x38
	v_mov_b32_e32 v1, 0
	s_waitcnt lgkmcnt(0)
	; wave barrier
	s_waitcnt lgkmcnt(0)
	ds_read_b32 v1, v1
	s_lshl_b64 s[26:27], s[18:19], 1
	s_add_u32 s31, s16, s26
	s_addc_u32 s33, s17, s27
	s_add_i32 s2, s2, -1
	s_mul_i32 s3, s2, 0x600
	s_sub_u32 s28, s22, s3
	s_waitcnt lgkmcnt(0)
	v_readfirstlane_b32 s34, v1
	s_subb_u32 s29, s23, 0
	s_mul_i32 s4, s34, 0x600
	s_mov_b32 s5, 0
	s_cmp_lg_u32 s34, s2
	s_cselect_b64 s[16:17], -1, 0
	s_lshl_b64 s[18:19], s[4:5], 1
	s_add_u32 s4, s31, s18
	s_addc_u32 s5, s33, s19
	s_mov_b64 s[2:3], -1
	s_and_b64 vcc, exec, s[16:17]
	v_lshlrev_b32_e32 v20, 1, v0
	s_waitcnt lgkmcnt(0)
	; wave barrier
	s_cbranch_vccz .LBB1251_6
; %bb.5:
	v_mov_b32_e32 v1, s5
	v_add_co_u32_e32 v2, vcc, s4, v20
	v_addc_co_u32_e32 v3, vcc, 0, v1, vcc
	flat_load_ushort v1, v[2:3]
	flat_load_ushort v4, v[2:3] offset:128
	flat_load_ushort v5, v[2:3] offset:256
	;; [unrolled: 1-line block ×23, first 2 shown]
	s_mov_b64 s[2:3], 0
	s_waitcnt vmcnt(0) lgkmcnt(0)
	ds_write_b16 v20, v1
	ds_write_b16 v20, v4 offset:128
	ds_write_b16 v20, v5 offset:256
	;; [unrolled: 1-line block ×23, first 2 shown]
	s_waitcnt lgkmcnt(0)
	; wave barrier
.LBB1251_6:
	s_andn2_b64 vcc, exec, s[2:3]
	v_cmp_gt_u32_e64 s[2:3], s28, v0
	s_cbranch_vccnz .LBB1251_56
; %bb.7:
	v_pk_mov_b32 v[2:3], s[4:5], s[4:5] op_sel:[0,1]
	flat_load_ushort v1, v[2:3]
	s_waitcnt vmcnt(0) lgkmcnt(0)
	v_mov_b32_e32 v2, v1
	s_and_saveexec_b64 s[6:7], s[2:3]
	s_cbranch_execz .LBB1251_9
; %bb.8:
	v_mov_b32_e32 v3, s5
	v_add_co_u32_e32 v2, vcc, s4, v20
	v_addc_co_u32_e32 v3, vcc, 0, v3, vcc
	flat_load_ushort v2, v[2:3]
.LBB1251_9:
	s_or_b64 exec, exec, s[6:7]
	v_or_b32_e32 v3, 64, v0
	v_cmp_gt_u32_e32 vcc, s28, v3
	v_mov_b32_e32 v3, v1
	s_and_saveexec_b64 s[2:3], vcc
	s_cbranch_execz .LBB1251_11
; %bb.10:
	v_mov_b32_e32 v3, s5
	v_add_co_u32_e32 v4, vcc, s4, v20
	v_addc_co_u32_e32 v5, vcc, 0, v3, vcc
	flat_load_ushort v3, v[4:5] offset:128
.LBB1251_11:
	s_or_b64 exec, exec, s[2:3]
	v_or_b32_e32 v4, 0x80, v0
	v_cmp_gt_u32_e32 vcc, s28, v4
	v_mov_b32_e32 v4, v1
	s_and_saveexec_b64 s[2:3], vcc
	s_cbranch_execz .LBB1251_13
; %bb.12:
	v_mov_b32_e32 v5, s5
	v_add_co_u32_e32 v4, vcc, s4, v20
	v_addc_co_u32_e32 v5, vcc, 0, v5, vcc
	flat_load_ushort v4, v[4:5] offset:256
.LBB1251_13:
	;; [unrolled: 12-line block ×22, first 2 shown]
	s_or_b64 exec, exec, s[2:3]
	v_or_b32_e32 v26, 0x5c0, v0
	v_cmp_gt_u32_e32 vcc, s28, v26
	s_and_saveexec_b64 s[2:3], vcc
	s_cbranch_execz .LBB1251_55
; %bb.54:
	v_mov_b32_e32 v1, s5
	v_add_co_u32_e32 v26, vcc, s4, v20
	v_addc_co_u32_e32 v27, vcc, 0, v1, vcc
	flat_load_ushort v1, v[26:27] offset:2944
.LBB1251_55:
	s_or_b64 exec, exec, s[2:3]
	s_waitcnt vmcnt(0) lgkmcnt(0)
	ds_write_b16 v20, v2
	ds_write_b16 v20, v3 offset:128
	ds_write_b16 v20, v4 offset:256
	;; [unrolled: 1-line block ×23, first 2 shown]
	s_waitcnt lgkmcnt(0)
	; wave barrier
.LBB1251_56:
	v_mul_u32_u24_e32 v21, 24, v0
	v_lshlrev_b32_e32 v1, 1, v21
	s_waitcnt lgkmcnt(0)
	ds_read_b128 v[10:13], v1
	ds_read_b128 v[6:9], v1 offset:16
	ds_read_b128 v[2:5], v1 offset:32
	s_cmp_lg_u32 s34, 0
	v_mbcnt_lo_u32_b32 v22, -1, 0
	s_waitcnt lgkmcnt(2)
	v_add_u16_sdwa v14, v10, v10 dst_sel:DWORD dst_unused:UNUSED_PAD src0_sel:WORD_1 src1_sel:DWORD
	v_add_u16_e32 v23, v14, v11
	v_cmp_eq_u32_e32 vcc, 63, v0
	s_waitcnt lgkmcnt(0)
	; wave barrier
	s_waitcnt lgkmcnt(0)
	s_cbranch_scc0 .LBB1251_79
; %bb.57:
	v_add_u16_sdwa v14, v23, v11 dst_sel:DWORD dst_unused:UNUSED_PAD src0_sel:DWORD src1_sel:WORD_1
	v_add_u16_e32 v14, v14, v12
	v_add_u16_sdwa v14, v14, v12 dst_sel:DWORD dst_unused:UNUSED_PAD src0_sel:DWORD src1_sel:WORD_1
	v_add_u16_e32 v14, v14, v13
	;; [unrolled: 2-line block ×10, first 2 shown]
	v_mbcnt_hi_u32_b32 v15, -1, v22
	v_add_u16_sdwa v14, v14, v5 dst_sel:DWORD dst_unused:UNUSED_PAD src0_sel:DWORD src1_sel:WORD_1
	v_and_b32_e32 v16, 15, v15
	v_cmp_ne_u32_e64 s[2:3], 0, v16
	v_mov_b32_dpp v17, v14 row_shr:1 row_mask:0xf bank_mask:0xf
	v_cndmask_b32_e64 v17, 0, v17, s[2:3]
	v_add_u16_e32 v14, v17, v14
	v_cmp_lt_u32_e64 s[2:3], 1, v16
	s_nop 0
	v_mov_b32_dpp v17, v14 row_shr:2 row_mask:0xf bank_mask:0xf
	v_cndmask_b32_e64 v17, 0, v17, s[2:3]
	v_add_u16_e32 v14, v14, v17
	v_cmp_lt_u32_e64 s[2:3], 3, v16
	s_nop 0
	;; [unrolled: 5-line block ×3, first 2 shown]
	v_mov_b32_dpp v17, v14 row_shr:8 row_mask:0xf bank_mask:0xf
	v_cndmask_b32_e64 v16, 0, v17, s[2:3]
	v_add_u16_e32 v14, v14, v16
	v_and_b32_e32 v17, 16, v15
	v_cmp_ne_u32_e64 s[2:3], 0, v17
	v_mov_b32_dpp v16, v14 row_bcast:15 row_mask:0xf bank_mask:0xf
	v_cndmask_b32_e64 v16, 0, v16, s[2:3]
	v_add_u16_e32 v14, v14, v16
	v_cmp_lt_u32_e64 s[2:3], 31, v15
	s_nop 0
	v_mov_b32_dpp v16, v14 row_bcast:31 row_mask:0xf bank_mask:0xf
	v_cndmask_b32_e64 v16, 0, v16, s[2:3]
	v_add_u16_e32 v14, v14, v16
	s_and_saveexec_b64 s[2:3], vcc
	s_cbranch_execz .LBB1251_59
; %bb.58:
	v_mov_b32_e32 v16, 0
	ds_write_b16 v16, v14
.LBB1251_59:
	s_or_b64 exec, exec, s[2:3]
	v_add_u32_e32 v16, -1, v15
	v_and_b32_e32 v17, 64, v15
	v_cmp_lt_i32_e32 vcc, v16, v17
	v_cndmask_b32_e32 v16, v16, v15, vcc
	v_lshlrev_b32_e32 v16, 2, v16
	ds_bpermute_b32 v24, v16, v14
	v_cmp_gt_u32_e32 vcc, 64, v0
	s_waitcnt lgkmcnt(0)
	; wave barrier
	s_waitcnt lgkmcnt(0)
	s_and_saveexec_b64 s[22:23], vcc
	s_cbranch_execz .LBB1251_78
; %bb.60:
	v_mov_b32_e32 v17, 0
	ds_read_u16 v25, v17
	s_mov_b32 s7, 0
	v_cmp_eq_u32_e64 s[2:3], 0, v15
	s_and_saveexec_b64 s[4:5], s[2:3]
	s_cbranch_execz .LBB1251_62
; %bb.61:
	s_add_i32 s6, s34, 64
	s_lshl_b64 s[6:7], s[6:7], 2
	s_add_u32 s6, s24, s6
	s_waitcnt lgkmcnt(0)
	v_or_b32_e32 v14, 0x10000, v25
	s_addc_u32 s7, s25, s7
	global_store_dword v17, v14, s[6:7]
.LBB1251_62:
	s_or_b64 exec, exec, s[4:5]
	v_xad_u32 v14, v15, -1, s34
	v_add_u32_e32 v16, 64, v14
	v_lshlrev_b64 v[18:19], 2, v[16:17]
	v_mov_b32_e32 v16, s25
	v_add_co_u32_e32 v18, vcc, s24, v18
	v_addc_co_u32_e32 v19, vcc, v16, v19, vcc
	global_load_dword v38, v[18:19], off glc
	s_waitcnt vmcnt(0)
	v_lshrrev_b32_e32 v27, 16, v38
	v_cmp_eq_u16_sdwa s[6:7], v27, v17 src0_sel:BYTE_0 src1_sel:DWORD
	s_and_saveexec_b64 s[4:5], s[6:7]
	s_cbranch_execz .LBB1251_66
; %bb.63:
	s_mov_b64 s[6:7], 0
	v_mov_b32_e32 v16, 0
.LBB1251_64:                            ; =>This Inner Loop Header: Depth=1
	global_load_dword v38, v[18:19], off glc
	s_waitcnt vmcnt(0)
	v_lshrrev_b32_e32 v27, 16, v38
	v_cmp_ne_u16_sdwa s[36:37], v27, v16 src0_sel:BYTE_0 src1_sel:DWORD
	s_or_b64 s[6:7], s[36:37], s[6:7]
	s_andn2_b64 exec, exec, s[6:7]
	s_cbranch_execnz .LBB1251_64
; %bb.65:
	s_or_b64 exec, exec, s[6:7]
.LBB1251_66:
	s_or_b64 exec, exec, s[4:5]
	v_and_b32_e32 v28, 63, v15
	v_cmp_ne_u32_e32 vcc, 63, v28
	v_mov_b32_e32 v26, 2
	v_addc_co_u32_e32 v29, vcc, 0, v15, vcc
	v_cmp_eq_u16_sdwa s[4:5], v27, v26 src0_sel:BYTE_0 src1_sel:DWORD
	v_lshlrev_b64 v[16:17], v15, -1
	v_and_b32_e32 v30, 0xffff, v38
	v_lshlrev_b32_e32 v29, 2, v29
	v_and_b32_e32 v18, s5, v17
	ds_bpermute_b32 v31, v29, v30
	v_or_b32_e32 v18, 0x80000000, v18
	v_and_b32_e32 v19, s4, v16
	v_ffbl_b32_e32 v18, v18
	v_add_u32_e32 v18, 32, v18
	v_ffbl_b32_e32 v19, v19
	v_min_u32_e32 v18, v19, v18
	s_waitcnt lgkmcnt(0)
	v_add_u16_e32 v19, v31, v38
	v_cmp_lt_u32_e32 vcc, v28, v18
	v_cmp_gt_u32_e64 s[4:5], 62, v28
	v_cndmask_b32_e32 v32, v30, v19, vcc
	v_cndmask_b32_e64 v30, 0, 1, s[4:5]
	v_lshlrev_b32_e32 v30, 1, v30
	v_add_lshl_u32 v30, v30, v15, 2
	ds_bpermute_b32 v33, v30, v32
	v_cndmask_b32_e32 v19, v38, v19, vcc
	v_add_u32_e32 v31, 2, v28
	v_cmp_gt_u32_e64 s[4:5], v31, v18
	v_cmp_gt_u32_e64 s[6:7], 60, v28
	s_waitcnt lgkmcnt(0)
	v_add_u16_e32 v33, v19, v33
	v_cndmask_b32_e64 v34, v33, v32, s[4:5]
	v_cndmask_b32_e64 v32, 0, 1, s[6:7]
	v_lshlrev_b32_e32 v32, 2, v32
	v_add_lshl_u32 v32, v32, v15, 2
	ds_bpermute_b32 v35, v32, v34
	v_cndmask_b32_e64 v19, v33, v19, s[4:5]
	v_add_u32_e32 v33, 4, v28
	v_cmp_gt_u32_e64 s[4:5], v33, v18
	v_cmp_gt_u32_e64 s[6:7], 56, v28
	s_waitcnt lgkmcnt(0)
	v_add_u16_e32 v35, v19, v35
	v_cndmask_b32_e64 v36, v35, v34, s[4:5]
	v_cndmask_b32_e64 v34, 0, 1, s[6:7]
	v_lshlrev_b32_e32 v34, 3, v34
	v_add_lshl_u32 v34, v34, v15, 2
	ds_bpermute_b32 v37, v34, v36
	v_cndmask_b32_e64 v19, v35, v19, s[4:5]
	;; [unrolled: 11-line block ×3, first 2 shown]
	v_add_u32_e32 v37, 16, v28
	v_cmp_gt_u32_e64 s[4:5], v37, v18
	v_cmp_gt_u32_e64 s[6:7], 32, v28
	s_waitcnt lgkmcnt(0)
	v_add_u16_e32 v41, v19, v40
	v_cndmask_b32_e64 v40, v41, v39, s[4:5]
	v_cndmask_b32_e64 v39, 0, 1, s[6:7]
	v_lshlrev_b32_e32 v39, 5, v39
	v_add_lshl_u32 v39, v39, v15, 2
	ds_bpermute_b32 v15, v39, v40
	v_add_u32_e32 v40, 32, v28
	v_cndmask_b32_e64 v19, v41, v19, s[4:5]
	v_cmp_le_u32_e64 s[4:5], v40, v18
	s_waitcnt lgkmcnt(0)
	v_cndmask_b32_e64 v15, 0, v15, s[4:5]
	v_add_u16_e32 v15, v19, v15
	v_cndmask_b32_e32 v18, v38, v15, vcc
	v_mov_b32_e32 v15, 0
	s_branch .LBB1251_68
.LBB1251_67:                            ;   in Loop: Header=BB1251_68 Depth=1
	s_or_b64 exec, exec, s[4:5]
	v_cmp_eq_u16_sdwa s[4:5], v27, v26 src0_sel:BYTE_0 src1_sel:DWORD
	v_and_b32_e32 v42, 0xffff, v41
	v_and_b32_e32 v18, s5, v17
	ds_bpermute_b32 v43, v29, v42
	v_or_b32_e32 v18, 0x80000000, v18
	v_and_b32_e32 v19, s4, v16
	v_ffbl_b32_e32 v18, v18
	v_add_u32_e32 v18, 32, v18
	v_ffbl_b32_e32 v19, v19
	v_min_u32_e32 v18, v19, v18
	s_waitcnt lgkmcnt(0)
	v_add_u16_e32 v19, v43, v41
	v_cmp_lt_u32_e32 vcc, v28, v18
	v_cndmask_b32_e32 v42, v42, v19, vcc
	ds_bpermute_b32 v43, v30, v42
	v_cndmask_b32_e32 v19, v41, v19, vcc
	v_cmp_gt_u32_e64 s[4:5], v31, v18
	v_subrev_u32_e32 v14, 64, v14
	s_waitcnt lgkmcnt(0)
	v_add_u16_e32 v43, v19, v43
	v_cndmask_b32_e64 v42, v43, v42, s[4:5]
	ds_bpermute_b32 v44, v32, v42
	v_cndmask_b32_e64 v19, v43, v19, s[4:5]
	v_cmp_gt_u32_e64 s[4:5], v33, v18
	s_waitcnt lgkmcnt(0)
	v_add_u16_e32 v43, v19, v44
	v_cndmask_b32_e64 v42, v43, v42, s[4:5]
	ds_bpermute_b32 v44, v34, v42
	v_cndmask_b32_e64 v19, v43, v19, s[4:5]
	v_cmp_gt_u32_e64 s[4:5], v35, v18
	;; [unrolled: 6-line block ×3, first 2 shown]
	s_waitcnt lgkmcnt(0)
	v_add_u16_e32 v43, v19, v44
	v_cndmask_b32_e64 v42, v43, v42, s[4:5]
	ds_bpermute_b32 v42, v39, v42
	v_cndmask_b32_e64 v19, v43, v19, s[4:5]
	v_cmp_le_u32_e64 s[4:5], v40, v18
	s_waitcnt lgkmcnt(0)
	v_cndmask_b32_e64 v18, 0, v42, s[4:5]
	v_add_u16_e32 v18, v19, v18
	v_cndmask_b32_e32 v18, v41, v18, vcc
	v_add_u16_e32 v18, v18, v38
.LBB1251_68:                            ; =>This Loop Header: Depth=1
                                        ;     Child Loop BB1251_71 Depth 2
	v_cmp_ne_u16_sdwa s[4:5], v27, v26 src0_sel:BYTE_0 src1_sel:DWORD
	v_cndmask_b32_e64 v19, 0, 1, s[4:5]
	;;#ASMSTART
	;;#ASMEND
	v_cmp_ne_u32_e32 vcc, 0, v19
	s_cmp_lg_u64 vcc, exec
	v_mov_b32_e32 v38, v18
	s_cbranch_scc1 .LBB1251_73
; %bb.69:                               ;   in Loop: Header=BB1251_68 Depth=1
	v_lshlrev_b64 v[18:19], 2, v[14:15]
	v_mov_b32_e32 v27, s25
	v_add_co_u32_e32 v18, vcc, s24, v18
	v_addc_co_u32_e32 v19, vcc, v27, v19, vcc
	global_load_dword v41, v[18:19], off glc
	s_waitcnt vmcnt(0)
	v_lshrrev_b32_e32 v27, 16, v41
	v_cmp_eq_u16_sdwa s[6:7], v27, v15 src0_sel:BYTE_0 src1_sel:DWORD
	s_and_saveexec_b64 s[4:5], s[6:7]
	s_cbranch_execz .LBB1251_67
; %bb.70:                               ;   in Loop: Header=BB1251_68 Depth=1
	s_mov_b64 s[6:7], 0
.LBB1251_71:                            ;   Parent Loop BB1251_68 Depth=1
                                        ; =>  This Inner Loop Header: Depth=2
	global_load_dword v41, v[18:19], off glc
	s_waitcnt vmcnt(0)
	v_lshrrev_b32_e32 v27, 16, v41
	v_cmp_ne_u16_sdwa s[36:37], v27, v15 src0_sel:BYTE_0 src1_sel:DWORD
	s_or_b64 s[6:7], s[36:37], s[6:7]
	s_andn2_b64 exec, exec, s[6:7]
	s_cbranch_execnz .LBB1251_71
; %bb.72:                               ;   in Loop: Header=BB1251_68 Depth=1
	s_or_b64 exec, exec, s[6:7]
	s_branch .LBB1251_67
.LBB1251_73:                            ;   in Loop: Header=BB1251_68 Depth=1
                                        ; implicit-def: $vgpr18
                                        ; implicit-def: $vgpr27
	s_cbranch_execz .LBB1251_68
; %bb.74:
	s_and_saveexec_b64 s[4:5], s[2:3]
	s_cbranch_execz .LBB1251_76
; %bb.75:
	s_add_i32 s2, s34, 64
	s_mov_b32 s3, 0
	s_lshl_b64 s[2:3], s[2:3], 2
	v_add_u16_e32 v14, v38, v25
	s_add_u32 s2, s24, s2
	v_or_b32_e32 v14, 0x20000, v14
	s_addc_u32 s3, s25, s3
	v_mov_b32_e32 v15, 0
	global_store_dword v15, v14, s[2:3]
.LBB1251_76:
	s_or_b64 exec, exec, s[4:5]
	s_and_b64 exec, exec, s[0:1]
	s_cbranch_execz .LBB1251_78
; %bb.77:
	v_mov_b32_e32 v14, 0
	ds_write_b16 v14, v38
.LBB1251_78:
	s_or_b64 exec, exec, s[22:23]
	v_mov_b32_e32 v14, 0
	s_waitcnt lgkmcnt(0)
	; wave barrier
	s_waitcnt lgkmcnt(0)
	ds_read_u16 v14, v14
	v_cndmask_b32_e64 v15, v24, 0, s[0:1]
	s_waitcnt lgkmcnt(0)
	v_add_u16_e32 v14, v14, v15
	s_branch .LBB1251_87
.LBB1251_79:
                                        ; implicit-def: $vgpr14
	s_cbranch_execz .LBB1251_87
; %bb.80:
	s_cmp_eq_u64 s[12:13], 0
	v_mov_b32_e32 v15, s30
	s_cbranch_scc1 .LBB1251_82
; %bb.81:
	v_mov_b32_e32 v15, s33
	v_add_co_u32_e64 v14, vcc, -2, s31
	v_addc_co_u32_e32 v15, vcc, -1, v15, vcc
	v_mov_b32_e32 v16, 0
	flat_load_ushort v17, v[14:15]
	global_load_ushort v18, v16, s[8:9]
	s_waitcnt vmcnt(0) lgkmcnt(0)
	v_add_u16_e32 v15, v18, v17
.LBB1251_82:
	v_add_u16_sdwa v14, v23, v11 dst_sel:DWORD dst_unused:UNUSED_PAD src0_sel:DWORD src1_sel:WORD_1
	v_add_u16_e32 v14, v14, v12
	v_add_u16_sdwa v14, v14, v12 dst_sel:DWORD dst_unused:UNUSED_PAD src0_sel:DWORD src1_sel:WORD_1
	v_add_u16_e32 v14, v14, v13
	;; [unrolled: 2-line block ×10, first 2 shown]
	v_add_u16_sdwa v16, v14, v5 dst_sel:DWORD dst_unused:UNUSED_PAD src0_sel:DWORD src1_sel:WORD_1
	v_mbcnt_hi_u32_b32 v14, -1, v22
	v_and_b32_e32 v17, 15, v14
	v_mov_b32_dpp v18, v16 row_shr:1 row_mask:0xf bank_mask:0xf
	v_cmp_ne_u32_e32 vcc, 0, v17
	v_cndmask_b32_e32 v18, 0, v18, vcc
	v_add_u16_e32 v16, v18, v16
	v_cmp_lt_u32_e32 vcc, 1, v17
	s_nop 0
	v_mov_b32_dpp v18, v16 row_shr:2 row_mask:0xf bank_mask:0xf
	v_cndmask_b32_e32 v18, 0, v18, vcc
	v_add_u16_e32 v16, v16, v18
	v_cmp_lt_u32_e32 vcc, 3, v17
	s_nop 0
	v_mov_b32_dpp v18, v16 row_shr:4 row_mask:0xf bank_mask:0xf
	;; [unrolled: 5-line block ×3, first 2 shown]
	v_cndmask_b32_e32 v17, 0, v18, vcc
	v_add_u16_e32 v16, v16, v17
	v_and_b32_e32 v18, 16, v14
	v_cmp_ne_u32_e32 vcc, 0, v18
	v_mov_b32_dpp v17, v16 row_bcast:15 row_mask:0xf bank_mask:0xf
	v_cndmask_b32_e32 v17, 0, v17, vcc
	v_add_u16_e32 v16, v16, v17
	v_cmp_lt_u32_e32 vcc, 31, v14
	s_nop 0
	v_mov_b32_dpp v17, v16 row_bcast:31 row_mask:0xf bank_mask:0xf
	v_cndmask_b32_e32 v17, 0, v17, vcc
	v_add_u16_e32 v16, v16, v17
	v_cmp_eq_u32_e32 vcc, 63, v0
	s_and_saveexec_b64 s[2:3], vcc
	s_cbranch_execz .LBB1251_84
; %bb.83:
	v_mov_b32_e32 v17, 0
	ds_write_b16 v17, v16
.LBB1251_84:
	s_or_b64 exec, exec, s[2:3]
	v_add_u32_e32 v17, -1, v14
	v_and_b32_e32 v18, 64, v14
	v_cmp_lt_i32_e32 vcc, v17, v18
	v_cndmask_b32_e32 v17, v17, v14, vcc
	v_add_u16_e32 v16, v16, v15
	v_lshlrev_b32_e32 v17, 2, v17
	ds_bpermute_b32 v16, v17, v16
	v_cmp_eq_u32_e32 vcc, 0, v14
	s_or_b64 vcc, s[0:1], vcc
	s_waitcnt lgkmcnt(0)
	; wave barrier
	s_waitcnt lgkmcnt(0)
	v_cndmask_b32_e32 v14, v16, v15, vcc
	s_and_saveexec_b64 s[2:3], s[0:1]
	s_cbranch_execz .LBB1251_86
; %bb.85:
	v_mov_b32_e32 v14, 0
	ds_read_u16 v16, v14
	s_waitcnt lgkmcnt(0)
	v_add_u16_e32 v16, v16, v15
	v_or_b32_e32 v16, 0x20000, v16
	global_store_dword v14, v16, s[24:25] offset:256
	v_mov_b32_e32 v14, v15
.LBB1251_86:
	s_or_b64 exec, exec, s[2:3]
.LBB1251_87:
	v_add_u16_e32 v15, v14, v10
	v_add_u16_sdwa v16, v15, v10 dst_sel:DWORD dst_unused:UNUSED_PAD src0_sel:DWORD src1_sel:WORD_1
	v_add_u16_e32 v17, v16, v11
	v_add_u16_sdwa v19, v17, v11 dst_sel:DWORD dst_unused:UNUSED_PAD src0_sel:DWORD src1_sel:WORD_1
	;; [unrolled: 2-line block ×9, first 2 shown]
	v_add_u16_e32 v8, v2, v3
	s_add_u32 s0, s20, s26
	v_add_u16_sdwa v3, v8, v3 dst_sel:DWORD dst_unused:UNUSED_PAD src0_sel:DWORD src1_sel:WORD_1
	s_addc_u32 s1, s21, s27
	v_add_u16_e32 v9, v3, v4
	v_add_u16_sdwa v4, v9, v4 dst_sel:DWORD dst_unused:UNUSED_PAD src0_sel:DWORD src1_sel:WORD_1
	s_add_u32 s2, s0, s18
	v_add_u16_e32 v5, v4, v5
	s_addc_u32 s3, s1, s19
	s_mov_b64 s[0:1], -1
	s_and_b64 vcc, exec, s[16:17]
	s_waitcnt lgkmcnt(0)
	; wave barrier
	s_cbranch_vccz .LBB1251_89
; %bb.88:
	s_mov_b32 s0, 0x5040100
	v_perm_b32 v31, v27, v25, s0
	v_perm_b32 v30, v23, v19, s0
	;; [unrolled: 1-line block ×4, first 2 shown]
	ds_write_b128 v1, v[28:31]
	v_perm_b32 v31, v26, v24, s0
	v_perm_b32 v30, v22, v18, s0
	;; [unrolled: 1-line block ×4, first 2 shown]
	ds_write_b128 v1, v[28:31] offset:16
	v_perm_b32 v31, v5, v4, s0
	v_perm_b32 v30, v9, v3, s0
	;; [unrolled: 1-line block ×4, first 2 shown]
	ds_write_b128 v1, v[28:31] offset:32
	s_waitcnt lgkmcnt(0)
	; wave barrier
	s_waitcnt lgkmcnt(0)
	ds_read_u16 v30, v20
	ds_read_u16 v31, v20 offset:128
	ds_read_u16 v32, v20 offset:256
	;; [unrolled: 1-line block ×23, first 2 shown]
	v_mov_b32_e32 v29, s3
	v_add_co_u32_e32 v28, vcc, s2, v20
	v_addc_co_u32_e32 v29, vcc, 0, v29, vcc
	s_waitcnt lgkmcnt(14)
	flat_store_short v[28:29], v30
	flat_store_short v[28:29], v31 offset:128
	flat_store_short v[28:29], v32 offset:256
	;; [unrolled: 1-line block ×9, first 2 shown]
	s_waitcnt lgkmcnt(0)
	flat_store_short v[28:29], v40 offset:1280
	flat_store_short v[28:29], v41 offset:1408
	;; [unrolled: 1-line block ×14, first 2 shown]
	s_mov_b64 s[0:1], 0
.LBB1251_89:
	s_andn2_b64 vcc, exec, s[0:1]
	s_cbranch_vccnz .LBB1251_146
; %bb.90:
	s_mov_b32 s0, 0x5040100
	v_perm_b32 v31, v27, v25, s0
	v_perm_b32 v30, v23, v19, s0
	;; [unrolled: 1-line block ×12, first 2 shown]
	ds_write_b128 v1, v[28:31]
	ds_write_b128 v1, v[12:15] offset:16
	ds_write_b128 v1, v[2:5] offset:32
	s_waitcnt lgkmcnt(0)
	; wave barrier
	s_waitcnt lgkmcnt(0)
	ds_read_u16 v5, v20
	ds_read_u16 v4, v20 offset:128
	ds_read_u16 v7, v20 offset:256
	;; [unrolled: 1-line block ×23, first 2 shown]
	v_mov_b32_e32 v3, s3
	v_add_co_u32_e32 v2, vcc, s2, v20
	v_addc_co_u32_e32 v3, vcc, 0, v3, vcc
	v_mov_b32_e32 v1, 0
	v_cmp_gt_u32_e32 vcc, s28, v0
	s_and_saveexec_b64 s[0:1], vcc
	s_cbranch_execz .LBB1251_92
; %bb.91:
	s_waitcnt lgkmcnt(0)
	flat_store_short v[2:3], v5
.LBB1251_92:
	s_or_b64 exec, exec, s[0:1]
	v_or_b32_e32 v20, 64, v0
	v_cmp_gt_u32_e32 vcc, s28, v20
	s_and_saveexec_b64 s[0:1], vcc
	s_cbranch_execz .LBB1251_94
; %bb.93:
	s_waitcnt lgkmcnt(0)
	flat_store_short v[2:3], v4 offset:128
.LBB1251_94:
	s_or_b64 exec, exec, s[0:1]
	v_or_b32_e32 v20, 0x80, v0
	v_cmp_gt_u32_e32 vcc, s28, v20
	s_and_saveexec_b64 s[0:1], vcc
	s_cbranch_execz .LBB1251_96
; %bb.95:
	s_waitcnt lgkmcnt(0)
	flat_store_short v[2:3], v7 offset:256
.LBB1251_96:
	;; [unrolled: 9-line block ×23, first 2 shown]
	s_or_b64 exec, exec, s[0:1]
	v_cmp_lt_u64_e64 s[0:1], s[14:15], 2
	s_and_b64 vcc, exec, s[0:1]
	s_cbranch_vccnz .LBB1251_146
; %bb.139:
	s_add_u32 s0, s28, -1
	s_addc_u32 s1, s29, -1
	s_add_u32 s2, 0, 0xaaaa0000
	s_addc_u32 s3, 0, 42
	s_add_i32 s3, s3, 0xaaaaa80
	s_mul_hi_u32 s7, s2, 0xffffffe8
	s_sub_i32 s7, s7, s2
	s_mul_i32 s8, s3, 0xffffffe8
	s_mul_i32 s4, s2, 0xffffffe8
	s_add_i32 s7, s7, s8
	s_mul_hi_u32 s5, s3, s4
	s_mul_i32 s6, s3, s4
	s_mul_i32 s9, s2, s7
	s_mul_hi_u32 s4, s2, s4
	s_mul_hi_u32 s8, s2, s7
	s_add_u32 s4, s4, s9
	s_addc_u32 s8, 0, s8
	s_add_u32 s4, s4, s6
	s_mul_hi_u32 s9, s3, s7
	s_addc_u32 s4, s8, s5
	s_addc_u32 s5, s9, 0
	s_mul_i32 s6, s3, s7
	s_add_u32 s4, s4, s6
	v_mov_b32_e32 v2, s4
	s_addc_u32 s5, 0, s5
	v_add_co_u32_e32 v2, vcc, s2, v2
	s_cmp_lg_u64 vcc, 0
	s_addc_u32 s2, s3, s5
	v_readfirstlane_b32 s5, v2
	s_mul_i32 s4, s0, s2
	s_mul_hi_u32 s6, s0, s5
	s_mul_hi_u32 s3, s0, s2
	s_add_u32 s4, s6, s4
	s_addc_u32 s3, 0, s3
	s_mul_hi_u32 s7, s1, s5
	s_mul_i32 s5, s1, s5
	s_add_u32 s4, s4, s5
	s_mul_hi_u32 s6, s1, s2
	s_addc_u32 s3, s3, s7
	s_addc_u32 s4, s6, 0
	s_mul_i32 s2, s1, s2
	s_add_u32 s2, s3, s2
	s_addc_u32 s3, 0, s4
	s_add_u32 s4, s2, 1
	s_addc_u32 s5, s3, 0
	s_add_u32 s6, s2, 2
	s_mul_i32 s8, s3, 24
	s_mul_hi_u32 s9, s2, 24
	s_addc_u32 s7, s3, 0
	s_add_i32 s9, s9, s8
	s_mul_i32 s8, s2, 24
	v_mov_b32_e32 v2, s8
	v_sub_co_u32_e32 v2, vcc, s0, v2
	s_cmp_lg_u64 vcc, 0
	s_subb_u32 s8, s1, s9
	v_subrev_co_u32_e32 v3, vcc, 24, v2
	s_cmp_lg_u64 vcc, 0
	s_subb_u32 s9, s8, 0
	v_readfirstlane_b32 s12, v3
	s_cmp_gt_u32 s12, 23
	s_cselect_b32 s12, -1, 0
	s_cmp_eq_u32 s9, 0
	s_cselect_b32 s9, s12, -1
	s_cmp_lg_u32 s9, 0
	s_cselect_b32 s4, s6, s4
	v_readfirstlane_b32 s6, v2
	s_cselect_b32 s5, s7, s5
	s_cmp_gt_u32 s6, 23
	s_cselect_b32 s6, -1, 0
	s_cmp_eq_u32 s8, 0
	s_cselect_b32 s6, s6, -1
	s_cmp_lg_u32 s6, 0
	s_cselect_b32 s3, s5, s3
	s_cselect_b32 s2, s4, s2
	v_cmp_eq_u64_e32 vcc, s[2:3], v[0:1]
	s_and_saveexec_b64 s[2:3], vcc
	s_cbranch_execz .LBB1251_146
; %bb.140:
	v_mul_hi_u32_u24_e32 v1, 24, v0
	v_mov_b32_e32 v2, s1
	v_sub_co_u32_e32 v0, vcc, s0, v21
	v_subb_co_u32_e32 v1, vcc, v2, v1, vcc
	v_cmp_lt_i64_e32 vcc, 11, v[0:1]
	s_mov_b64 s[0:1], 0
	s_mov_b64 s[8:9], 0
	;; [unrolled: 1-line block ×4, first 2 shown]
	s_and_saveexec_b64 s[2:3], vcc
	s_xor_b64 s[2:3], exec, s[2:3]
	s_cbranch_execnz .LBB1251_147
; %bb.141:
	s_andn2_saveexec_b64 s[2:3], s[2:3]
	s_cbranch_execnz .LBB1251_192
.LBB1251_142:
	s_or_b64 exec, exec, s[2:3]
	s_and_saveexec_b64 s[2:3], s[8:9]
	s_cbranch_execnz .LBB1251_209
.LBB1251_143:
	s_or_b64 exec, exec, s[2:3]
	s_and_saveexec_b64 s[2:3], s[6:7]
	s_cbranch_execnz .LBB1251_210
.LBB1251_144:
	s_or_b64 exec, exec, s[2:3]
	s_and_saveexec_b64 s[2:3], s[4:5]
	s_xor_b64 s[2:3], exec, s[2:3]
	s_cbranch_execnz .LBB1251_211
.LBB1251_145:
	s_or_b64 exec, exec, s[2:3]
	s_and_b64 exec, exec, s[0:1]
	s_cbranch_execnz .LBB1251_212
.LBB1251_146:
	s_endpgm
.LBB1251_147:
	v_cmp_lt_i64_e32 vcc, 17, v[0:1]
	s_and_saveexec_b64 s[12:13], vcc
	s_xor_b64 s[12:13], exec, s[12:13]
	s_cbranch_execz .LBB1251_169
; %bb.148:
	v_cmp_lt_i64_e32 vcc, 20, v[0:1]
                                        ; implicit-def: $vgpr10
	s_and_saveexec_b64 s[14:15], vcc
	s_xor_b64 s[14:15], exec, s[14:15]
	s_cbranch_execz .LBB1251_158
; %bb.149:
	v_cmp_lt_i64_e32 vcc, 21, v[0:1]
	s_mov_b64 s[16:17], 0
                                        ; implicit-def: $vgpr10
	s_and_saveexec_b64 s[4:5], vcc
	s_xor_b64 s[4:5], exec, s[4:5]
	s_cbranch_execz .LBB1251_155
; %bb.150:
	v_cmp_lt_i64_e32 vcc, 22, v[0:1]
	s_and_saveexec_b64 s[16:17], vcc
	s_xor_b64 s[16:17], exec, s[16:17]
	s_cbranch_execz .LBB1251_152
; %bb.151:
	v_mov_b32_e32 v2, 0
	s_waitcnt lgkmcnt(0)
	global_store_short v2, v29, s[10:11]
                                        ; implicit-def: $vgpr28
.LBB1251_152:
	s_or_saveexec_b64 s[16:17], s[16:17]
	s_mov_b64 s[18:19], 0
	s_xor_b64 exec, exec, s[16:17]
; %bb.153:
	s_mov_b64 s[18:19], exec
; %bb.154:
	s_or_b64 exec, exec, s[16:17]
	s_and_b64 s[16:17], s[18:19], exec
	s_waitcnt lgkmcnt(0)
	v_mov_b32_e32 v10, v28
                                        ; implicit-def: $vgpr11
.LBB1251_155:
	s_andn2_saveexec_b64 s[4:5], s[4:5]
; %bb.156:
	s_mov_b64 s[6:7], exec
                                        ; implicit-def: $vgpr10
; %bb.157:
	s_or_b64 exec, exec, s[4:5]
	s_and_b64 s[4:5], s[16:17], exec
	s_and_b64 s[6:7], s[6:7], exec
                                        ; implicit-def: $vgpr26
                                        ; implicit-def: $vgpr12
                                        ; implicit-def: $vgpr23
.LBB1251_158:
	s_andn2_saveexec_b64 s[14:15], s[14:15]
	s_cbranch_execz .LBB1251_168
; %bb.159:
	v_cmp_lt_i64_e32 vcc, 18, v[0:1]
	s_mov_b64 s[16:17], 0
	s_and_saveexec_b64 s[8:9], vcc
	s_xor_b64 s[8:9], exec, s[8:9]
	s_cbranch_execz .LBB1251_165
; %bb.160:
	v_cmp_lt_i64_e32 vcc, 19, v[0:1]
	s_and_saveexec_b64 s[18:19], vcc
	s_xor_b64 s[18:19], exec, s[18:19]
; %bb.161:
	s_mov_b64 s[16:17], exec
                                        ; implicit-def: $vgpr23
; %bb.162:
	s_andn2_saveexec_b64 s[18:19], s[18:19]
	s_cbranch_execz .LBB1251_164
; %bb.163:
	v_mov_b32_e32 v2, 0
	s_waitcnt lgkmcnt(0)
	global_store_short v2, v23, s[10:11]
                                        ; implicit-def: $vgpr12
.LBB1251_164:
	s_or_b64 exec, exec, s[18:19]
	s_and_b64 s[16:17], s[16:17], exec
                                        ; implicit-def: $vgpr26
.LBB1251_165:
	s_andn2_saveexec_b64 s[8:9], s[8:9]
	s_cbranch_execz .LBB1251_167
; %bb.166:
	v_mov_b32_e32 v2, 0
	s_waitcnt lgkmcnt(0)
	global_store_short v2, v26, s[10:11]
                                        ; implicit-def: $vgpr12
.LBB1251_167:
	s_or_b64 exec, exec, s[8:9]
	s_and_b64 s[8:9], s[16:17], exec
                                        ; implicit-def: $vgpr10
                                        ; implicit-def: $vgpr11
.LBB1251_168:
	s_or_b64 exec, exec, s[14:15]
	s_and_b64 s[4:5], s[4:5], exec
	s_and_b64 s[6:7], s[6:7], exec
	;; [unrolled: 1-line block ×3, first 2 shown]
                                        ; implicit-def: $vgpr18
                                        ; implicit-def: $vgpr13
                                        ; implicit-def: $vgpr14
                                        ; implicit-def: $vgpr24
                                        ; implicit-def: $vgpr27
.LBB1251_169:
	s_andn2_saveexec_b64 s[12:13], s[12:13]
	s_cbranch_execz .LBB1251_191
; %bb.170:
	v_cmp_lt_i64_e32 vcc, 14, v[0:1]
	s_mov_b64 s[14:15], s[4:5]
	s_and_saveexec_b64 s[16:17], vcc
	s_xor_b64 s[16:17], exec, s[16:17]
	s_cbranch_execz .LBB1251_180
; %bb.171:
	v_cmp_lt_i64_e32 vcc, 15, v[0:1]
	s_and_saveexec_b64 s[14:15], vcc
	s_xor_b64 s[14:15], exec, s[14:15]
	s_cbranch_execz .LBB1251_177
; %bb.172:
	v_cmp_lt_i64_e32 vcc, 16, v[0:1]
	s_and_saveexec_b64 s[18:19], vcc
	s_xor_b64 s[18:19], exec, s[18:19]
	s_cbranch_execz .LBB1251_174
; %bb.173:
	v_mov_b32_e32 v2, 0
	s_waitcnt lgkmcnt(0)
	global_store_short v2, v27, s[10:11]
                                        ; implicit-def: $vgpr24
.LBB1251_174:
	s_andn2_saveexec_b64 s[18:19], s[18:19]
	s_cbranch_execz .LBB1251_176
; %bb.175:
	v_mov_b32_e32 v2, 0
	s_waitcnt lgkmcnt(0)
	global_store_short v2, v24, s[10:11]
.LBB1251_176:
	s_or_b64 exec, exec, s[18:19]
                                        ; implicit-def: $vgpr10
.LBB1251_177:
	s_or_saveexec_b64 s[14:15], s[14:15]
	s_mov_b64 s[18:19], s[4:5]
	s_xor_b64 exec, exec, s[14:15]
; %bb.178:
	s_or_b64 s[18:19], s[4:5], exec
; %bb.179:
	s_or_b64 exec, exec, s[14:15]
	s_andn2_b64 s[14:15], s[4:5], exec
	s_and_b64 s[18:19], s[18:19], exec
	s_or_b64 s[14:15], s[14:15], s[18:19]
                                        ; implicit-def: $vgpr18
                                        ; implicit-def: $vgpr13
                                        ; implicit-def: $vgpr14
.LBB1251_180:
	s_or_saveexec_b64 s[16:17], s[16:17]
	s_mov_b64 s[18:19], s[6:7]
                                        ; implicit-def: $vgpr11
	s_xor_b64 exec, exec, s[16:17]
	s_cbranch_execz .LBB1251_190
; %bb.181:
	v_cmp_lt_i64_e32 vcc, 12, v[0:1]
	s_mov_b64 s[20:21], s[6:7]
	s_mov_b64 s[22:23], s[14:15]
                                        ; implicit-def: $vgpr10
                                        ; implicit-def: $vgpr11
	s_and_saveexec_b64 s[18:19], vcc
	s_xor_b64 s[18:19], exec, s[18:19]
	s_cbranch_execz .LBB1251_187
; %bb.182:
	v_cmp_lt_i64_e32 vcc, 13, v[0:1]
	s_mov_b64 s[20:21], s[14:15]
	s_and_saveexec_b64 s[22:23], vcc
	s_xor_b64 s[22:23], exec, s[22:23]
; %bb.183:
	s_or_b64 s[20:21], s[14:15], exec
                                        ; implicit-def: $vgpr13
; %bb.184:
	s_or_saveexec_b64 s[22:23], s[22:23]
	s_mov_b64 s[24:25], s[6:7]
	s_xor_b64 exec, exec, s[22:23]
; %bb.185:
	s_or_b64 s[24:25], s[6:7], exec
                                        ; implicit-def: $vgpr14
; %bb.186:
	s_or_b64 exec, exec, s[22:23]
	s_andn2_b64 s[22:23], s[14:15], exec
	s_and_b64 s[20:21], s[20:21], exec
	s_or_b64 s[22:23], s[22:23], s[20:21]
	s_andn2_b64 s[20:21], s[6:7], exec
	s_and_b64 s[24:25], s[24:25], exec
	s_or_b64 s[20:21], s[20:21], s[24:25]
	s_waitcnt lgkmcnt(0)
	v_mov_b32_e32 v10, v14
	v_mov_b32_e32 v11, v13
                                        ; implicit-def: $vgpr18
.LBB1251_187:
	s_andn2_saveexec_b64 s[18:19], s[18:19]
	s_cbranch_execz .LBB1251_189
; %bb.188:
	s_or_b64 s[20:21], s[20:21], exec
                                        ; implicit-def: $vgpr10
	s_waitcnt lgkmcnt(0)
	v_mov_b32_e32 v11, v18
.LBB1251_189:
	s_or_b64 exec, exec, s[18:19]
	s_andn2_b64 s[14:15], s[14:15], exec
	s_and_b64 s[18:19], s[22:23], exec
	s_or_b64 s[14:15], s[14:15], s[18:19]
	s_andn2_b64 s[18:19], s[6:7], exec
	s_and_b64 s[20:21], s[20:21], exec
	s_or_b64 s[18:19], s[18:19], s[20:21]
.LBB1251_190:
	s_or_b64 exec, exec, s[16:17]
	s_andn2_b64 s[4:5], s[4:5], exec
	s_and_b64 s[14:15], s[14:15], exec
	s_or_b64 s[4:5], s[4:5], s[14:15]
	s_andn2_b64 s[6:7], s[6:7], exec
	s_and_b64 s[14:15], s[18:19], exec
	s_or_b64 s[6:7], s[6:7], s[14:15]
                                        ; implicit-def: $vgpr12
.LBB1251_191:
	s_or_b64 exec, exec, s[12:13]
	s_and_b64 s[4:5], s[4:5], exec
	s_and_b64 s[6:7], s[6:7], exec
	;; [unrolled: 1-line block ×3, first 2 shown]
                                        ; implicit-def: $vgpr17
                                        ; implicit-def: $vgpr15
                                        ; implicit-def: $vgpr16
                                        ; implicit-def: $vgpr25
                                        ; implicit-def: $vgpr22
                                        ; implicit-def: $vgpr19
	s_andn2_saveexec_b64 s[2:3], s[2:3]
	s_cbranch_execz .LBB1251_142
.LBB1251_192:
	v_cmp_lt_i64_e32 vcc, 5, v[0:1]
	s_mov_b64 s[14:15], -1
	s_mov_b64 s[12:13], s[8:9]
	s_mov_b64 s[16:17], s[6:7]
	;; [unrolled: 1-line block ×3, first 2 shown]
                                        ; implicit-def: $vgpr10
                                        ; implicit-def: $vgpr11
                                        ; implicit-def: $vgpr12
	s_and_saveexec_b64 s[0:1], vcc
	s_cbranch_execz .LBB1251_208
; %bb.193:
	v_cmp_lt_i64_e32 vcc, 8, v[0:1]
	s_mov_b64 s[12:13], s[8:9]
                                        ; implicit-def: $vgpr12
	s_and_saveexec_b64 s[14:15], vcc
	s_xor_b64 s[14:15], exec, s[14:15]
	s_cbranch_execz .LBB1251_203
; %bb.194:
	v_cmp_lt_i64_e32 vcc, 9, v[0:1]
	s_and_saveexec_b64 s[12:13], vcc
	s_xor_b64 s[12:13], exec, s[12:13]
	s_cbranch_execz .LBB1251_200
; %bb.195:
	v_cmp_lt_i64_e32 vcc, 10, v[0:1]
	s_and_saveexec_b64 s[16:17], vcc
	s_xor_b64 s[16:17], exec, s[16:17]
; %bb.196:
                                        ; implicit-def: $vgpr22
; %bb.197:
	s_andn2_saveexec_b64 s[16:17], s[16:17]
	s_cbranch_execz .LBB1251_199
; %bb.198:
	s_waitcnt lgkmcnt(0)
	v_mov_b32_e32 v19, v22
.LBB1251_199:
	s_or_b64 exec, exec, s[16:17]
                                        ; implicit-def: $vgpr25
.LBB1251_200:
	s_andn2_saveexec_b64 s[12:13], s[12:13]
	s_cbranch_execz .LBB1251_202
; %bb.201:
	s_waitcnt lgkmcnt(0)
	v_mov_b32_e32 v19, v25
.LBB1251_202:
	s_or_b64 exec, exec, s[12:13]
	s_or_b64 s[12:13], s[8:9], exec
	s_waitcnt lgkmcnt(0)
	v_mov_b32_e32 v12, v19
                                        ; implicit-def: $vgpr17
                                        ; implicit-def: $vgpr15
                                        ; implicit-def: $vgpr16
.LBB1251_203:
	s_or_saveexec_b64 s[14:15], s[14:15]
	s_mov_b64 s[16:17], s[6:7]
	s_mov_b64 s[20:21], s[4:5]
                                        ; implicit-def: $vgpr10
                                        ; implicit-def: $vgpr11
	s_xor_b64 exec, exec, s[14:15]
	s_cbranch_execz .LBB1251_207
; %bb.204:
	v_cmp_lt_i64_e32 vcc, 6, v[0:1]
	s_mov_b64 s[20:21], -1
	s_mov_b64 s[18:19], s[12:13]
	s_mov_b64 s[16:17], s[6:7]
	s_and_saveexec_b64 s[22:23], vcc
; %bb.205:
	v_cmp_lt_i64_e32 vcc, 7, v[0:1]
	s_andn2_b64 s[18:19], s[12:13], exec
	s_and_b64 s[24:25], vcc, exec
	s_xor_b64 s[20:21], exec, -1
	s_or_b64 s[16:17], s[6:7], exec
	s_or_b64 s[18:19], s[18:19], s[24:25]
                                        ; implicit-def: $vgpr17
; %bb.206:
	s_or_b64 exec, exec, s[22:23]
	s_andn2_b64 s[22:23], s[4:5], exec
	s_and_b64 s[20:21], s[20:21], exec
	s_or_b64 s[20:21], s[22:23], s[20:21]
	s_andn2_b64 s[22:23], s[6:7], exec
	s_and_b64 s[16:17], s[16:17], exec
	s_andn2_b64 s[12:13], s[12:13], exec
	s_and_b64 s[18:19], s[18:19], exec
	s_or_b64 s[16:17], s[22:23], s[16:17]
	s_or_b64 s[12:13], s[12:13], s[18:19]
	s_waitcnt lgkmcnt(0)
	v_mov_b32_e32 v10, v17
	v_mov_b32_e32 v11, v15
	;; [unrolled: 1-line block ×3, first 2 shown]
.LBB1251_207:
	s_or_b64 exec, exec, s[14:15]
	s_andn2_b64 s[18:19], s[4:5], exec
	s_and_b64 s[20:21], s[20:21], exec
	s_or_b64 s[18:19], s[18:19], s[20:21]
	s_andn2_b64 s[20:21], s[6:7], exec
	s_and_b64 s[16:17], s[16:17], exec
	s_or_b64 s[16:17], s[20:21], s[16:17]
	s_andn2_b64 s[20:21], s[8:9], exec
	s_and_b64 s[12:13], s[12:13], exec
	s_xor_b64 s[14:15], exec, -1
	s_or_b64 s[12:13], s[20:21], s[12:13]
.LBB1251_208:
	s_or_b64 exec, exec, s[0:1]
	s_and_b64 s[0:1], s[14:15], exec
	s_andn2_b64 s[4:5], s[4:5], exec
	s_and_b64 s[14:15], s[18:19], exec
	s_or_b64 s[4:5], s[4:5], s[14:15]
	s_andn2_b64 s[6:7], s[6:7], exec
	s_and_b64 s[14:15], s[16:17], exec
	s_andn2_b64 s[8:9], s[8:9], exec
	s_and_b64 s[12:13], s[12:13], exec
	s_or_b64 s[6:7], s[6:7], s[14:15]
	s_or_b64 s[8:9], s[8:9], s[12:13]
	s_or_b64 exec, exec, s[2:3]
	s_and_saveexec_b64 s[2:3], s[8:9]
	s_cbranch_execz .LBB1251_143
.LBB1251_209:
	v_mov_b32_e32 v2, 0
	s_andn2_b64 s[6:7], s[6:7], exec
	s_waitcnt lgkmcnt(0)
	global_store_short v2, v12, s[10:11]
                                        ; implicit-def: $vgpr10
                                        ; implicit-def: $vgpr11
	s_or_b64 exec, exec, s[2:3]
	s_and_saveexec_b64 s[2:3], s[6:7]
	s_cbranch_execz .LBB1251_144
.LBB1251_210:
	v_mov_b32_e32 v2, 0
	s_waitcnt lgkmcnt(0)
	global_store_short v2, v11, s[10:11]
                                        ; implicit-def: $vgpr10
	s_or_b64 exec, exec, s[2:3]
	s_and_saveexec_b64 s[2:3], s[4:5]
	s_xor_b64 s[2:3], exec, s[2:3]
	s_cbranch_execz .LBB1251_145
.LBB1251_211:
	v_mov_b32_e32 v2, 0
	s_waitcnt lgkmcnt(0)
	global_store_short v2, v10, s[10:11]
	s_or_b64 exec, exec, s[2:3]
	s_and_b64 exec, exec, s[0:1]
	s_cbranch_execz .LBB1251_146
.LBB1251_212:
	v_cmp_lt_i64_e32 vcc, 2, v[0:1]
	s_and_saveexec_b64 s[0:1], vcc
	s_xor_b64 s[0:1], exec, s[0:1]
	s_cbranch_execz .LBB1251_222
; %bb.213:
	v_cmp_lt_i64_e32 vcc, 3, v[0:1]
	s_and_saveexec_b64 s[2:3], vcc
	s_xor_b64 s[2:3], exec, s[2:3]
	s_cbranch_execz .LBB1251_219
; %bb.214:
	;; [unrolled: 5-line block ×3, first 2 shown]
	v_mov_b32_e32 v0, 0
	s_waitcnt lgkmcnt(0)
	global_store_short v0, v9, s[10:11]
                                        ; implicit-def: $vgpr6
.LBB1251_216:
	s_andn2_saveexec_b64 s[4:5], s[4:5]
	s_cbranch_execz .LBB1251_218
; %bb.217:
	v_mov_b32_e32 v0, 0
	s_waitcnt lgkmcnt(0)
	global_store_short v0, v6, s[10:11]
.LBB1251_218:
	s_or_b64 exec, exec, s[4:5]
                                        ; implicit-def: $vgpr8
.LBB1251_219:
	s_andn2_saveexec_b64 s[2:3], s[2:3]
	s_cbranch_execz .LBB1251_221
; %bb.220:
	v_mov_b32_e32 v0, 0
	s_waitcnt lgkmcnt(0)
	global_store_short v0, v8, s[10:11]
.LBB1251_221:
	s_or_b64 exec, exec, s[2:3]
                                        ; implicit-def: $vgpr0_vgpr1
                                        ; implicit-def: $vgpr7
                                        ; implicit-def: $vgpr4
                                        ; implicit-def: $vgpr5
.LBB1251_222:
	s_andn2_saveexec_b64 s[0:1], s[0:1]
	s_cbranch_execz .LBB1251_146
; %bb.223:
	v_cmp_lt_i64_e32 vcc, 1, v[0:1]
	s_and_saveexec_b64 s[0:1], vcc
	s_xor_b64 s[0:1], exec, s[0:1]
	s_cbranch_execz .LBB1251_225
; %bb.224:
	v_mov_b32_e32 v0, 0
	s_waitcnt lgkmcnt(0)
	global_store_short v0, v7, s[10:11]
                                        ; implicit-def: $vgpr4
                                        ; implicit-def: $vgpr0_vgpr1
                                        ; implicit-def: $vgpr5
.LBB1251_225:
	s_andn2_saveexec_b64 s[0:1], s[0:1]
	s_cbranch_execz .LBB1251_146
; %bb.226:
	v_cmp_ne_u64_e32 vcc, 1, v[0:1]
	s_and_saveexec_b64 s[0:1], vcc
	s_xor_b64 s[0:1], exec, s[0:1]
	s_cbranch_execz .LBB1251_228
; %bb.227:
	v_mov_b32_e32 v0, 0
	s_waitcnt lgkmcnt(0)
	global_store_short v0, v5, s[10:11]
                                        ; implicit-def: $vgpr4
.LBB1251_228:
	s_andn2_saveexec_b64 s[0:1], s[0:1]
	s_cbranch_execz .LBB1251_146
; %bb.229:
	v_mov_b32_e32 v0, 0
	s_waitcnt lgkmcnt(0)
	global_store_short v0, v4, s[10:11]
	s_endpgm
	.section	.rodata,"a",@progbits
	.p2align	6, 0x0
	.amdhsa_kernel _ZN7rocprim17ROCPRIM_400000_NS6detail17trampoline_kernelINS0_14default_configENS1_20scan_config_selectorIsEEZZNS1_9scan_implILNS1_25lookback_scan_determinismE0ELb1ELb1ES3_N6thrust23THRUST_200600_302600_NS6detail15normal_iteratorINS9_10device_ptrIsEEEESE_sNS9_4plusIsEEsEEDaPvRmT3_T4_T5_mT6_P12ihipStream_tbENKUlT_T0_E_clISt17integral_constantIbLb0EEST_IbLb1EEEEDaSP_SQ_EUlSP_E_NS1_11comp_targetILNS1_3genE4ELNS1_11target_archE910ELNS1_3gpuE8ELNS1_3repE0EEENS1_30default_config_static_selectorELNS0_4arch9wavefront6targetE1EEEvT1_
		.amdhsa_group_segment_fixed_size 3072
		.amdhsa_private_segment_fixed_size 0
		.amdhsa_kernarg_size 96
		.amdhsa_user_sgpr_count 6
		.amdhsa_user_sgpr_private_segment_buffer 1
		.amdhsa_user_sgpr_dispatch_ptr 0
		.amdhsa_user_sgpr_queue_ptr 0
		.amdhsa_user_sgpr_kernarg_segment_ptr 1
		.amdhsa_user_sgpr_dispatch_id 0
		.amdhsa_user_sgpr_flat_scratch_init 0
		.amdhsa_user_sgpr_kernarg_preload_length 0
		.amdhsa_user_sgpr_kernarg_preload_offset 0
		.amdhsa_user_sgpr_private_segment_size 0
		.amdhsa_uses_dynamic_stack 0
		.amdhsa_system_sgpr_private_segment_wavefront_offset 0
		.amdhsa_system_sgpr_workgroup_id_x 1
		.amdhsa_system_sgpr_workgroup_id_y 0
		.amdhsa_system_sgpr_workgroup_id_z 0
		.amdhsa_system_sgpr_workgroup_info 0
		.amdhsa_system_vgpr_workitem_id 0
		.amdhsa_next_free_vgpr 54
		.amdhsa_next_free_sgpr 38
		.amdhsa_accum_offset 56
		.amdhsa_reserve_vcc 1
		.amdhsa_reserve_flat_scratch 0
		.amdhsa_float_round_mode_32 0
		.amdhsa_float_round_mode_16_64 0
		.amdhsa_float_denorm_mode_32 3
		.amdhsa_float_denorm_mode_16_64 3
		.amdhsa_dx10_clamp 1
		.amdhsa_ieee_mode 1
		.amdhsa_fp16_overflow 0
		.amdhsa_tg_split 0
		.amdhsa_exception_fp_ieee_invalid_op 0
		.amdhsa_exception_fp_denorm_src 0
		.amdhsa_exception_fp_ieee_div_zero 0
		.amdhsa_exception_fp_ieee_overflow 0
		.amdhsa_exception_fp_ieee_underflow 0
		.amdhsa_exception_fp_ieee_inexact 0
		.amdhsa_exception_int_div_zero 0
	.end_amdhsa_kernel
	.section	.text._ZN7rocprim17ROCPRIM_400000_NS6detail17trampoline_kernelINS0_14default_configENS1_20scan_config_selectorIsEEZZNS1_9scan_implILNS1_25lookback_scan_determinismE0ELb1ELb1ES3_N6thrust23THRUST_200600_302600_NS6detail15normal_iteratorINS9_10device_ptrIsEEEESE_sNS9_4plusIsEEsEEDaPvRmT3_T4_T5_mT6_P12ihipStream_tbENKUlT_T0_E_clISt17integral_constantIbLb0EEST_IbLb1EEEEDaSP_SQ_EUlSP_E_NS1_11comp_targetILNS1_3genE4ELNS1_11target_archE910ELNS1_3gpuE8ELNS1_3repE0EEENS1_30default_config_static_selectorELNS0_4arch9wavefront6targetE1EEEvT1_,"axG",@progbits,_ZN7rocprim17ROCPRIM_400000_NS6detail17trampoline_kernelINS0_14default_configENS1_20scan_config_selectorIsEEZZNS1_9scan_implILNS1_25lookback_scan_determinismE0ELb1ELb1ES3_N6thrust23THRUST_200600_302600_NS6detail15normal_iteratorINS9_10device_ptrIsEEEESE_sNS9_4plusIsEEsEEDaPvRmT3_T4_T5_mT6_P12ihipStream_tbENKUlT_T0_E_clISt17integral_constantIbLb0EEST_IbLb1EEEEDaSP_SQ_EUlSP_E_NS1_11comp_targetILNS1_3genE4ELNS1_11target_archE910ELNS1_3gpuE8ELNS1_3repE0EEENS1_30default_config_static_selectorELNS0_4arch9wavefront6targetE1EEEvT1_,comdat
.Lfunc_end1251:
	.size	_ZN7rocprim17ROCPRIM_400000_NS6detail17trampoline_kernelINS0_14default_configENS1_20scan_config_selectorIsEEZZNS1_9scan_implILNS1_25lookback_scan_determinismE0ELb1ELb1ES3_N6thrust23THRUST_200600_302600_NS6detail15normal_iteratorINS9_10device_ptrIsEEEESE_sNS9_4plusIsEEsEEDaPvRmT3_T4_T5_mT6_P12ihipStream_tbENKUlT_T0_E_clISt17integral_constantIbLb0EEST_IbLb1EEEEDaSP_SQ_EUlSP_E_NS1_11comp_targetILNS1_3genE4ELNS1_11target_archE910ELNS1_3gpuE8ELNS1_3repE0EEENS1_30default_config_static_selectorELNS0_4arch9wavefront6targetE1EEEvT1_, .Lfunc_end1251-_ZN7rocprim17ROCPRIM_400000_NS6detail17trampoline_kernelINS0_14default_configENS1_20scan_config_selectorIsEEZZNS1_9scan_implILNS1_25lookback_scan_determinismE0ELb1ELb1ES3_N6thrust23THRUST_200600_302600_NS6detail15normal_iteratorINS9_10device_ptrIsEEEESE_sNS9_4plusIsEEsEEDaPvRmT3_T4_T5_mT6_P12ihipStream_tbENKUlT_T0_E_clISt17integral_constantIbLb0EEST_IbLb1EEEEDaSP_SQ_EUlSP_E_NS1_11comp_targetILNS1_3genE4ELNS1_11target_archE910ELNS1_3gpuE8ELNS1_3repE0EEENS1_30default_config_static_selectorELNS0_4arch9wavefront6targetE1EEEvT1_
                                        ; -- End function
	.section	.AMDGPU.csdata,"",@progbits
; Kernel info:
; codeLenInByte = 7840
; NumSgprs: 42
; NumVgprs: 54
; NumAgprs: 0
; TotalNumVgprs: 54
; ScratchSize: 0
; MemoryBound: 0
; FloatMode: 240
; IeeeMode: 1
; LDSByteSize: 3072 bytes/workgroup (compile time only)
; SGPRBlocks: 5
; VGPRBlocks: 6
; NumSGPRsForWavesPerEU: 42
; NumVGPRsForWavesPerEU: 54
; AccumOffset: 56
; Occupancy: 6
; WaveLimiterHint : 1
; COMPUTE_PGM_RSRC2:SCRATCH_EN: 0
; COMPUTE_PGM_RSRC2:USER_SGPR: 6
; COMPUTE_PGM_RSRC2:TRAP_HANDLER: 0
; COMPUTE_PGM_RSRC2:TGID_X_EN: 1
; COMPUTE_PGM_RSRC2:TGID_Y_EN: 0
; COMPUTE_PGM_RSRC2:TGID_Z_EN: 0
; COMPUTE_PGM_RSRC2:TIDIG_COMP_CNT: 0
; COMPUTE_PGM_RSRC3_GFX90A:ACCUM_OFFSET: 13
; COMPUTE_PGM_RSRC3_GFX90A:TG_SPLIT: 0
	.section	.text._ZN7rocprim17ROCPRIM_400000_NS6detail17trampoline_kernelINS0_14default_configENS1_20scan_config_selectorIsEEZZNS1_9scan_implILNS1_25lookback_scan_determinismE0ELb1ELb1ES3_N6thrust23THRUST_200600_302600_NS6detail15normal_iteratorINS9_10device_ptrIsEEEESE_sNS9_4plusIsEEsEEDaPvRmT3_T4_T5_mT6_P12ihipStream_tbENKUlT_T0_E_clISt17integral_constantIbLb0EEST_IbLb1EEEEDaSP_SQ_EUlSP_E_NS1_11comp_targetILNS1_3genE3ELNS1_11target_archE908ELNS1_3gpuE7ELNS1_3repE0EEENS1_30default_config_static_selectorELNS0_4arch9wavefront6targetE1EEEvT1_,"axG",@progbits,_ZN7rocprim17ROCPRIM_400000_NS6detail17trampoline_kernelINS0_14default_configENS1_20scan_config_selectorIsEEZZNS1_9scan_implILNS1_25lookback_scan_determinismE0ELb1ELb1ES3_N6thrust23THRUST_200600_302600_NS6detail15normal_iteratorINS9_10device_ptrIsEEEESE_sNS9_4plusIsEEsEEDaPvRmT3_T4_T5_mT6_P12ihipStream_tbENKUlT_T0_E_clISt17integral_constantIbLb0EEST_IbLb1EEEEDaSP_SQ_EUlSP_E_NS1_11comp_targetILNS1_3genE3ELNS1_11target_archE908ELNS1_3gpuE7ELNS1_3repE0EEENS1_30default_config_static_selectorELNS0_4arch9wavefront6targetE1EEEvT1_,comdat
	.protected	_ZN7rocprim17ROCPRIM_400000_NS6detail17trampoline_kernelINS0_14default_configENS1_20scan_config_selectorIsEEZZNS1_9scan_implILNS1_25lookback_scan_determinismE0ELb1ELb1ES3_N6thrust23THRUST_200600_302600_NS6detail15normal_iteratorINS9_10device_ptrIsEEEESE_sNS9_4plusIsEEsEEDaPvRmT3_T4_T5_mT6_P12ihipStream_tbENKUlT_T0_E_clISt17integral_constantIbLb0EEST_IbLb1EEEEDaSP_SQ_EUlSP_E_NS1_11comp_targetILNS1_3genE3ELNS1_11target_archE908ELNS1_3gpuE7ELNS1_3repE0EEENS1_30default_config_static_selectorELNS0_4arch9wavefront6targetE1EEEvT1_ ; -- Begin function _ZN7rocprim17ROCPRIM_400000_NS6detail17trampoline_kernelINS0_14default_configENS1_20scan_config_selectorIsEEZZNS1_9scan_implILNS1_25lookback_scan_determinismE0ELb1ELb1ES3_N6thrust23THRUST_200600_302600_NS6detail15normal_iteratorINS9_10device_ptrIsEEEESE_sNS9_4plusIsEEsEEDaPvRmT3_T4_T5_mT6_P12ihipStream_tbENKUlT_T0_E_clISt17integral_constantIbLb0EEST_IbLb1EEEEDaSP_SQ_EUlSP_E_NS1_11comp_targetILNS1_3genE3ELNS1_11target_archE908ELNS1_3gpuE7ELNS1_3repE0EEENS1_30default_config_static_selectorELNS0_4arch9wavefront6targetE1EEEvT1_
	.globl	_ZN7rocprim17ROCPRIM_400000_NS6detail17trampoline_kernelINS0_14default_configENS1_20scan_config_selectorIsEEZZNS1_9scan_implILNS1_25lookback_scan_determinismE0ELb1ELb1ES3_N6thrust23THRUST_200600_302600_NS6detail15normal_iteratorINS9_10device_ptrIsEEEESE_sNS9_4plusIsEEsEEDaPvRmT3_T4_T5_mT6_P12ihipStream_tbENKUlT_T0_E_clISt17integral_constantIbLb0EEST_IbLb1EEEEDaSP_SQ_EUlSP_E_NS1_11comp_targetILNS1_3genE3ELNS1_11target_archE908ELNS1_3gpuE7ELNS1_3repE0EEENS1_30default_config_static_selectorELNS0_4arch9wavefront6targetE1EEEvT1_
	.p2align	8
	.type	_ZN7rocprim17ROCPRIM_400000_NS6detail17trampoline_kernelINS0_14default_configENS1_20scan_config_selectorIsEEZZNS1_9scan_implILNS1_25lookback_scan_determinismE0ELb1ELb1ES3_N6thrust23THRUST_200600_302600_NS6detail15normal_iteratorINS9_10device_ptrIsEEEESE_sNS9_4plusIsEEsEEDaPvRmT3_T4_T5_mT6_P12ihipStream_tbENKUlT_T0_E_clISt17integral_constantIbLb0EEST_IbLb1EEEEDaSP_SQ_EUlSP_E_NS1_11comp_targetILNS1_3genE3ELNS1_11target_archE908ELNS1_3gpuE7ELNS1_3repE0EEENS1_30default_config_static_selectorELNS0_4arch9wavefront6targetE1EEEvT1_,@function
_ZN7rocprim17ROCPRIM_400000_NS6detail17trampoline_kernelINS0_14default_configENS1_20scan_config_selectorIsEEZZNS1_9scan_implILNS1_25lookback_scan_determinismE0ELb1ELb1ES3_N6thrust23THRUST_200600_302600_NS6detail15normal_iteratorINS9_10device_ptrIsEEEESE_sNS9_4plusIsEEsEEDaPvRmT3_T4_T5_mT6_P12ihipStream_tbENKUlT_T0_E_clISt17integral_constantIbLb0EEST_IbLb1EEEEDaSP_SQ_EUlSP_E_NS1_11comp_targetILNS1_3genE3ELNS1_11target_archE908ELNS1_3gpuE7ELNS1_3repE0EEENS1_30default_config_static_selectorELNS0_4arch9wavefront6targetE1EEEvT1_: ; @_ZN7rocprim17ROCPRIM_400000_NS6detail17trampoline_kernelINS0_14default_configENS1_20scan_config_selectorIsEEZZNS1_9scan_implILNS1_25lookback_scan_determinismE0ELb1ELb1ES3_N6thrust23THRUST_200600_302600_NS6detail15normal_iteratorINS9_10device_ptrIsEEEESE_sNS9_4plusIsEEsEEDaPvRmT3_T4_T5_mT6_P12ihipStream_tbENKUlT_T0_E_clISt17integral_constantIbLb0EEST_IbLb1EEEEDaSP_SQ_EUlSP_E_NS1_11comp_targetILNS1_3genE3ELNS1_11target_archE908ELNS1_3gpuE7ELNS1_3repE0EEENS1_30default_config_static_selectorELNS0_4arch9wavefront6targetE1EEEvT1_
; %bb.0:
	.section	.rodata,"a",@progbits
	.p2align	6, 0x0
	.amdhsa_kernel _ZN7rocprim17ROCPRIM_400000_NS6detail17trampoline_kernelINS0_14default_configENS1_20scan_config_selectorIsEEZZNS1_9scan_implILNS1_25lookback_scan_determinismE0ELb1ELb1ES3_N6thrust23THRUST_200600_302600_NS6detail15normal_iteratorINS9_10device_ptrIsEEEESE_sNS9_4plusIsEEsEEDaPvRmT3_T4_T5_mT6_P12ihipStream_tbENKUlT_T0_E_clISt17integral_constantIbLb0EEST_IbLb1EEEEDaSP_SQ_EUlSP_E_NS1_11comp_targetILNS1_3genE3ELNS1_11target_archE908ELNS1_3gpuE7ELNS1_3repE0EEENS1_30default_config_static_selectorELNS0_4arch9wavefront6targetE1EEEvT1_
		.amdhsa_group_segment_fixed_size 0
		.amdhsa_private_segment_fixed_size 0
		.amdhsa_kernarg_size 96
		.amdhsa_user_sgpr_count 6
		.amdhsa_user_sgpr_private_segment_buffer 1
		.amdhsa_user_sgpr_dispatch_ptr 0
		.amdhsa_user_sgpr_queue_ptr 0
		.amdhsa_user_sgpr_kernarg_segment_ptr 1
		.amdhsa_user_sgpr_dispatch_id 0
		.amdhsa_user_sgpr_flat_scratch_init 0
		.amdhsa_user_sgpr_kernarg_preload_length 0
		.amdhsa_user_sgpr_kernarg_preload_offset 0
		.amdhsa_user_sgpr_private_segment_size 0
		.amdhsa_uses_dynamic_stack 0
		.amdhsa_system_sgpr_private_segment_wavefront_offset 0
		.amdhsa_system_sgpr_workgroup_id_x 1
		.amdhsa_system_sgpr_workgroup_id_y 0
		.amdhsa_system_sgpr_workgroup_id_z 0
		.amdhsa_system_sgpr_workgroup_info 0
		.amdhsa_system_vgpr_workitem_id 0
		.amdhsa_next_free_vgpr 1
		.amdhsa_next_free_sgpr 0
		.amdhsa_accum_offset 4
		.amdhsa_reserve_vcc 0
		.amdhsa_reserve_flat_scratch 0
		.amdhsa_float_round_mode_32 0
		.amdhsa_float_round_mode_16_64 0
		.amdhsa_float_denorm_mode_32 3
		.amdhsa_float_denorm_mode_16_64 3
		.amdhsa_dx10_clamp 1
		.amdhsa_ieee_mode 1
		.amdhsa_fp16_overflow 0
		.amdhsa_tg_split 0
		.amdhsa_exception_fp_ieee_invalid_op 0
		.amdhsa_exception_fp_denorm_src 0
		.amdhsa_exception_fp_ieee_div_zero 0
		.amdhsa_exception_fp_ieee_overflow 0
		.amdhsa_exception_fp_ieee_underflow 0
		.amdhsa_exception_fp_ieee_inexact 0
		.amdhsa_exception_int_div_zero 0
	.end_amdhsa_kernel
	.section	.text._ZN7rocprim17ROCPRIM_400000_NS6detail17trampoline_kernelINS0_14default_configENS1_20scan_config_selectorIsEEZZNS1_9scan_implILNS1_25lookback_scan_determinismE0ELb1ELb1ES3_N6thrust23THRUST_200600_302600_NS6detail15normal_iteratorINS9_10device_ptrIsEEEESE_sNS9_4plusIsEEsEEDaPvRmT3_T4_T5_mT6_P12ihipStream_tbENKUlT_T0_E_clISt17integral_constantIbLb0EEST_IbLb1EEEEDaSP_SQ_EUlSP_E_NS1_11comp_targetILNS1_3genE3ELNS1_11target_archE908ELNS1_3gpuE7ELNS1_3repE0EEENS1_30default_config_static_selectorELNS0_4arch9wavefront6targetE1EEEvT1_,"axG",@progbits,_ZN7rocprim17ROCPRIM_400000_NS6detail17trampoline_kernelINS0_14default_configENS1_20scan_config_selectorIsEEZZNS1_9scan_implILNS1_25lookback_scan_determinismE0ELb1ELb1ES3_N6thrust23THRUST_200600_302600_NS6detail15normal_iteratorINS9_10device_ptrIsEEEESE_sNS9_4plusIsEEsEEDaPvRmT3_T4_T5_mT6_P12ihipStream_tbENKUlT_T0_E_clISt17integral_constantIbLb0EEST_IbLb1EEEEDaSP_SQ_EUlSP_E_NS1_11comp_targetILNS1_3genE3ELNS1_11target_archE908ELNS1_3gpuE7ELNS1_3repE0EEENS1_30default_config_static_selectorELNS0_4arch9wavefront6targetE1EEEvT1_,comdat
.Lfunc_end1252:
	.size	_ZN7rocprim17ROCPRIM_400000_NS6detail17trampoline_kernelINS0_14default_configENS1_20scan_config_selectorIsEEZZNS1_9scan_implILNS1_25lookback_scan_determinismE0ELb1ELb1ES3_N6thrust23THRUST_200600_302600_NS6detail15normal_iteratorINS9_10device_ptrIsEEEESE_sNS9_4plusIsEEsEEDaPvRmT3_T4_T5_mT6_P12ihipStream_tbENKUlT_T0_E_clISt17integral_constantIbLb0EEST_IbLb1EEEEDaSP_SQ_EUlSP_E_NS1_11comp_targetILNS1_3genE3ELNS1_11target_archE908ELNS1_3gpuE7ELNS1_3repE0EEENS1_30default_config_static_selectorELNS0_4arch9wavefront6targetE1EEEvT1_, .Lfunc_end1252-_ZN7rocprim17ROCPRIM_400000_NS6detail17trampoline_kernelINS0_14default_configENS1_20scan_config_selectorIsEEZZNS1_9scan_implILNS1_25lookback_scan_determinismE0ELb1ELb1ES3_N6thrust23THRUST_200600_302600_NS6detail15normal_iteratorINS9_10device_ptrIsEEEESE_sNS9_4plusIsEEsEEDaPvRmT3_T4_T5_mT6_P12ihipStream_tbENKUlT_T0_E_clISt17integral_constantIbLb0EEST_IbLb1EEEEDaSP_SQ_EUlSP_E_NS1_11comp_targetILNS1_3genE3ELNS1_11target_archE908ELNS1_3gpuE7ELNS1_3repE0EEENS1_30default_config_static_selectorELNS0_4arch9wavefront6targetE1EEEvT1_
                                        ; -- End function
	.section	.AMDGPU.csdata,"",@progbits
; Kernel info:
; codeLenInByte = 0
; NumSgprs: 4
; NumVgprs: 0
; NumAgprs: 0
; TotalNumVgprs: 0
; ScratchSize: 0
; MemoryBound: 0
; FloatMode: 240
; IeeeMode: 1
; LDSByteSize: 0 bytes/workgroup (compile time only)
; SGPRBlocks: 0
; VGPRBlocks: 0
; NumSGPRsForWavesPerEU: 4
; NumVGPRsForWavesPerEU: 1
; AccumOffset: 4
; Occupancy: 8
; WaveLimiterHint : 0
; COMPUTE_PGM_RSRC2:SCRATCH_EN: 0
; COMPUTE_PGM_RSRC2:USER_SGPR: 6
; COMPUTE_PGM_RSRC2:TRAP_HANDLER: 0
; COMPUTE_PGM_RSRC2:TGID_X_EN: 1
; COMPUTE_PGM_RSRC2:TGID_Y_EN: 0
; COMPUTE_PGM_RSRC2:TGID_Z_EN: 0
; COMPUTE_PGM_RSRC2:TIDIG_COMP_CNT: 0
; COMPUTE_PGM_RSRC3_GFX90A:ACCUM_OFFSET: 0
; COMPUTE_PGM_RSRC3_GFX90A:TG_SPLIT: 0
	.section	.text._ZN7rocprim17ROCPRIM_400000_NS6detail17trampoline_kernelINS0_14default_configENS1_20scan_config_selectorIsEEZZNS1_9scan_implILNS1_25lookback_scan_determinismE0ELb1ELb1ES3_N6thrust23THRUST_200600_302600_NS6detail15normal_iteratorINS9_10device_ptrIsEEEESE_sNS9_4plusIsEEsEEDaPvRmT3_T4_T5_mT6_P12ihipStream_tbENKUlT_T0_E_clISt17integral_constantIbLb0EEST_IbLb1EEEEDaSP_SQ_EUlSP_E_NS1_11comp_targetILNS1_3genE2ELNS1_11target_archE906ELNS1_3gpuE6ELNS1_3repE0EEENS1_30default_config_static_selectorELNS0_4arch9wavefront6targetE1EEEvT1_,"axG",@progbits,_ZN7rocprim17ROCPRIM_400000_NS6detail17trampoline_kernelINS0_14default_configENS1_20scan_config_selectorIsEEZZNS1_9scan_implILNS1_25lookback_scan_determinismE0ELb1ELb1ES3_N6thrust23THRUST_200600_302600_NS6detail15normal_iteratorINS9_10device_ptrIsEEEESE_sNS9_4plusIsEEsEEDaPvRmT3_T4_T5_mT6_P12ihipStream_tbENKUlT_T0_E_clISt17integral_constantIbLb0EEST_IbLb1EEEEDaSP_SQ_EUlSP_E_NS1_11comp_targetILNS1_3genE2ELNS1_11target_archE906ELNS1_3gpuE6ELNS1_3repE0EEENS1_30default_config_static_selectorELNS0_4arch9wavefront6targetE1EEEvT1_,comdat
	.protected	_ZN7rocprim17ROCPRIM_400000_NS6detail17trampoline_kernelINS0_14default_configENS1_20scan_config_selectorIsEEZZNS1_9scan_implILNS1_25lookback_scan_determinismE0ELb1ELb1ES3_N6thrust23THRUST_200600_302600_NS6detail15normal_iteratorINS9_10device_ptrIsEEEESE_sNS9_4plusIsEEsEEDaPvRmT3_T4_T5_mT6_P12ihipStream_tbENKUlT_T0_E_clISt17integral_constantIbLb0EEST_IbLb1EEEEDaSP_SQ_EUlSP_E_NS1_11comp_targetILNS1_3genE2ELNS1_11target_archE906ELNS1_3gpuE6ELNS1_3repE0EEENS1_30default_config_static_selectorELNS0_4arch9wavefront6targetE1EEEvT1_ ; -- Begin function _ZN7rocprim17ROCPRIM_400000_NS6detail17trampoline_kernelINS0_14default_configENS1_20scan_config_selectorIsEEZZNS1_9scan_implILNS1_25lookback_scan_determinismE0ELb1ELb1ES3_N6thrust23THRUST_200600_302600_NS6detail15normal_iteratorINS9_10device_ptrIsEEEESE_sNS9_4plusIsEEsEEDaPvRmT3_T4_T5_mT6_P12ihipStream_tbENKUlT_T0_E_clISt17integral_constantIbLb0EEST_IbLb1EEEEDaSP_SQ_EUlSP_E_NS1_11comp_targetILNS1_3genE2ELNS1_11target_archE906ELNS1_3gpuE6ELNS1_3repE0EEENS1_30default_config_static_selectorELNS0_4arch9wavefront6targetE1EEEvT1_
	.globl	_ZN7rocprim17ROCPRIM_400000_NS6detail17trampoline_kernelINS0_14default_configENS1_20scan_config_selectorIsEEZZNS1_9scan_implILNS1_25lookback_scan_determinismE0ELb1ELb1ES3_N6thrust23THRUST_200600_302600_NS6detail15normal_iteratorINS9_10device_ptrIsEEEESE_sNS9_4plusIsEEsEEDaPvRmT3_T4_T5_mT6_P12ihipStream_tbENKUlT_T0_E_clISt17integral_constantIbLb0EEST_IbLb1EEEEDaSP_SQ_EUlSP_E_NS1_11comp_targetILNS1_3genE2ELNS1_11target_archE906ELNS1_3gpuE6ELNS1_3repE0EEENS1_30default_config_static_selectorELNS0_4arch9wavefront6targetE1EEEvT1_
	.p2align	8
	.type	_ZN7rocprim17ROCPRIM_400000_NS6detail17trampoline_kernelINS0_14default_configENS1_20scan_config_selectorIsEEZZNS1_9scan_implILNS1_25lookback_scan_determinismE0ELb1ELb1ES3_N6thrust23THRUST_200600_302600_NS6detail15normal_iteratorINS9_10device_ptrIsEEEESE_sNS9_4plusIsEEsEEDaPvRmT3_T4_T5_mT6_P12ihipStream_tbENKUlT_T0_E_clISt17integral_constantIbLb0EEST_IbLb1EEEEDaSP_SQ_EUlSP_E_NS1_11comp_targetILNS1_3genE2ELNS1_11target_archE906ELNS1_3gpuE6ELNS1_3repE0EEENS1_30default_config_static_selectorELNS0_4arch9wavefront6targetE1EEEvT1_,@function
_ZN7rocprim17ROCPRIM_400000_NS6detail17trampoline_kernelINS0_14default_configENS1_20scan_config_selectorIsEEZZNS1_9scan_implILNS1_25lookback_scan_determinismE0ELb1ELb1ES3_N6thrust23THRUST_200600_302600_NS6detail15normal_iteratorINS9_10device_ptrIsEEEESE_sNS9_4plusIsEEsEEDaPvRmT3_T4_T5_mT6_P12ihipStream_tbENKUlT_T0_E_clISt17integral_constantIbLb0EEST_IbLb1EEEEDaSP_SQ_EUlSP_E_NS1_11comp_targetILNS1_3genE2ELNS1_11target_archE906ELNS1_3gpuE6ELNS1_3repE0EEENS1_30default_config_static_selectorELNS0_4arch9wavefront6targetE1EEEvT1_: ; @_ZN7rocprim17ROCPRIM_400000_NS6detail17trampoline_kernelINS0_14default_configENS1_20scan_config_selectorIsEEZZNS1_9scan_implILNS1_25lookback_scan_determinismE0ELb1ELb1ES3_N6thrust23THRUST_200600_302600_NS6detail15normal_iteratorINS9_10device_ptrIsEEEESE_sNS9_4plusIsEEsEEDaPvRmT3_T4_T5_mT6_P12ihipStream_tbENKUlT_T0_E_clISt17integral_constantIbLb0EEST_IbLb1EEEEDaSP_SQ_EUlSP_E_NS1_11comp_targetILNS1_3genE2ELNS1_11target_archE906ELNS1_3gpuE6ELNS1_3repE0EEENS1_30default_config_static_selectorELNS0_4arch9wavefront6targetE1EEEvT1_
; %bb.0:
	.section	.rodata,"a",@progbits
	.p2align	6, 0x0
	.amdhsa_kernel _ZN7rocprim17ROCPRIM_400000_NS6detail17trampoline_kernelINS0_14default_configENS1_20scan_config_selectorIsEEZZNS1_9scan_implILNS1_25lookback_scan_determinismE0ELb1ELb1ES3_N6thrust23THRUST_200600_302600_NS6detail15normal_iteratorINS9_10device_ptrIsEEEESE_sNS9_4plusIsEEsEEDaPvRmT3_T4_T5_mT6_P12ihipStream_tbENKUlT_T0_E_clISt17integral_constantIbLb0EEST_IbLb1EEEEDaSP_SQ_EUlSP_E_NS1_11comp_targetILNS1_3genE2ELNS1_11target_archE906ELNS1_3gpuE6ELNS1_3repE0EEENS1_30default_config_static_selectorELNS0_4arch9wavefront6targetE1EEEvT1_
		.amdhsa_group_segment_fixed_size 0
		.amdhsa_private_segment_fixed_size 0
		.amdhsa_kernarg_size 96
		.amdhsa_user_sgpr_count 6
		.amdhsa_user_sgpr_private_segment_buffer 1
		.amdhsa_user_sgpr_dispatch_ptr 0
		.amdhsa_user_sgpr_queue_ptr 0
		.amdhsa_user_sgpr_kernarg_segment_ptr 1
		.amdhsa_user_sgpr_dispatch_id 0
		.amdhsa_user_sgpr_flat_scratch_init 0
		.amdhsa_user_sgpr_kernarg_preload_length 0
		.amdhsa_user_sgpr_kernarg_preload_offset 0
		.amdhsa_user_sgpr_private_segment_size 0
		.amdhsa_uses_dynamic_stack 0
		.amdhsa_system_sgpr_private_segment_wavefront_offset 0
		.amdhsa_system_sgpr_workgroup_id_x 1
		.amdhsa_system_sgpr_workgroup_id_y 0
		.amdhsa_system_sgpr_workgroup_id_z 0
		.amdhsa_system_sgpr_workgroup_info 0
		.amdhsa_system_vgpr_workitem_id 0
		.amdhsa_next_free_vgpr 1
		.amdhsa_next_free_sgpr 0
		.amdhsa_accum_offset 4
		.amdhsa_reserve_vcc 0
		.amdhsa_reserve_flat_scratch 0
		.amdhsa_float_round_mode_32 0
		.amdhsa_float_round_mode_16_64 0
		.amdhsa_float_denorm_mode_32 3
		.amdhsa_float_denorm_mode_16_64 3
		.amdhsa_dx10_clamp 1
		.amdhsa_ieee_mode 1
		.amdhsa_fp16_overflow 0
		.amdhsa_tg_split 0
		.amdhsa_exception_fp_ieee_invalid_op 0
		.amdhsa_exception_fp_denorm_src 0
		.amdhsa_exception_fp_ieee_div_zero 0
		.amdhsa_exception_fp_ieee_overflow 0
		.amdhsa_exception_fp_ieee_underflow 0
		.amdhsa_exception_fp_ieee_inexact 0
		.amdhsa_exception_int_div_zero 0
	.end_amdhsa_kernel
	.section	.text._ZN7rocprim17ROCPRIM_400000_NS6detail17trampoline_kernelINS0_14default_configENS1_20scan_config_selectorIsEEZZNS1_9scan_implILNS1_25lookback_scan_determinismE0ELb1ELb1ES3_N6thrust23THRUST_200600_302600_NS6detail15normal_iteratorINS9_10device_ptrIsEEEESE_sNS9_4plusIsEEsEEDaPvRmT3_T4_T5_mT6_P12ihipStream_tbENKUlT_T0_E_clISt17integral_constantIbLb0EEST_IbLb1EEEEDaSP_SQ_EUlSP_E_NS1_11comp_targetILNS1_3genE2ELNS1_11target_archE906ELNS1_3gpuE6ELNS1_3repE0EEENS1_30default_config_static_selectorELNS0_4arch9wavefront6targetE1EEEvT1_,"axG",@progbits,_ZN7rocprim17ROCPRIM_400000_NS6detail17trampoline_kernelINS0_14default_configENS1_20scan_config_selectorIsEEZZNS1_9scan_implILNS1_25lookback_scan_determinismE0ELb1ELb1ES3_N6thrust23THRUST_200600_302600_NS6detail15normal_iteratorINS9_10device_ptrIsEEEESE_sNS9_4plusIsEEsEEDaPvRmT3_T4_T5_mT6_P12ihipStream_tbENKUlT_T0_E_clISt17integral_constantIbLb0EEST_IbLb1EEEEDaSP_SQ_EUlSP_E_NS1_11comp_targetILNS1_3genE2ELNS1_11target_archE906ELNS1_3gpuE6ELNS1_3repE0EEENS1_30default_config_static_selectorELNS0_4arch9wavefront6targetE1EEEvT1_,comdat
.Lfunc_end1253:
	.size	_ZN7rocprim17ROCPRIM_400000_NS6detail17trampoline_kernelINS0_14default_configENS1_20scan_config_selectorIsEEZZNS1_9scan_implILNS1_25lookback_scan_determinismE0ELb1ELb1ES3_N6thrust23THRUST_200600_302600_NS6detail15normal_iteratorINS9_10device_ptrIsEEEESE_sNS9_4plusIsEEsEEDaPvRmT3_T4_T5_mT6_P12ihipStream_tbENKUlT_T0_E_clISt17integral_constantIbLb0EEST_IbLb1EEEEDaSP_SQ_EUlSP_E_NS1_11comp_targetILNS1_3genE2ELNS1_11target_archE906ELNS1_3gpuE6ELNS1_3repE0EEENS1_30default_config_static_selectorELNS0_4arch9wavefront6targetE1EEEvT1_, .Lfunc_end1253-_ZN7rocprim17ROCPRIM_400000_NS6detail17trampoline_kernelINS0_14default_configENS1_20scan_config_selectorIsEEZZNS1_9scan_implILNS1_25lookback_scan_determinismE0ELb1ELb1ES3_N6thrust23THRUST_200600_302600_NS6detail15normal_iteratorINS9_10device_ptrIsEEEESE_sNS9_4plusIsEEsEEDaPvRmT3_T4_T5_mT6_P12ihipStream_tbENKUlT_T0_E_clISt17integral_constantIbLb0EEST_IbLb1EEEEDaSP_SQ_EUlSP_E_NS1_11comp_targetILNS1_3genE2ELNS1_11target_archE906ELNS1_3gpuE6ELNS1_3repE0EEENS1_30default_config_static_selectorELNS0_4arch9wavefront6targetE1EEEvT1_
                                        ; -- End function
	.section	.AMDGPU.csdata,"",@progbits
; Kernel info:
; codeLenInByte = 0
; NumSgprs: 4
; NumVgprs: 0
; NumAgprs: 0
; TotalNumVgprs: 0
; ScratchSize: 0
; MemoryBound: 0
; FloatMode: 240
; IeeeMode: 1
; LDSByteSize: 0 bytes/workgroup (compile time only)
; SGPRBlocks: 0
; VGPRBlocks: 0
; NumSGPRsForWavesPerEU: 4
; NumVGPRsForWavesPerEU: 1
; AccumOffset: 4
; Occupancy: 8
; WaveLimiterHint : 0
; COMPUTE_PGM_RSRC2:SCRATCH_EN: 0
; COMPUTE_PGM_RSRC2:USER_SGPR: 6
; COMPUTE_PGM_RSRC2:TRAP_HANDLER: 0
; COMPUTE_PGM_RSRC2:TGID_X_EN: 1
; COMPUTE_PGM_RSRC2:TGID_Y_EN: 0
; COMPUTE_PGM_RSRC2:TGID_Z_EN: 0
; COMPUTE_PGM_RSRC2:TIDIG_COMP_CNT: 0
; COMPUTE_PGM_RSRC3_GFX90A:ACCUM_OFFSET: 0
; COMPUTE_PGM_RSRC3_GFX90A:TG_SPLIT: 0
	.section	.text._ZN7rocprim17ROCPRIM_400000_NS6detail17trampoline_kernelINS0_14default_configENS1_20scan_config_selectorIsEEZZNS1_9scan_implILNS1_25lookback_scan_determinismE0ELb1ELb1ES3_N6thrust23THRUST_200600_302600_NS6detail15normal_iteratorINS9_10device_ptrIsEEEESE_sNS9_4plusIsEEsEEDaPvRmT3_T4_T5_mT6_P12ihipStream_tbENKUlT_T0_E_clISt17integral_constantIbLb0EEST_IbLb1EEEEDaSP_SQ_EUlSP_E_NS1_11comp_targetILNS1_3genE10ELNS1_11target_archE1201ELNS1_3gpuE5ELNS1_3repE0EEENS1_30default_config_static_selectorELNS0_4arch9wavefront6targetE1EEEvT1_,"axG",@progbits,_ZN7rocprim17ROCPRIM_400000_NS6detail17trampoline_kernelINS0_14default_configENS1_20scan_config_selectorIsEEZZNS1_9scan_implILNS1_25lookback_scan_determinismE0ELb1ELb1ES3_N6thrust23THRUST_200600_302600_NS6detail15normal_iteratorINS9_10device_ptrIsEEEESE_sNS9_4plusIsEEsEEDaPvRmT3_T4_T5_mT6_P12ihipStream_tbENKUlT_T0_E_clISt17integral_constantIbLb0EEST_IbLb1EEEEDaSP_SQ_EUlSP_E_NS1_11comp_targetILNS1_3genE10ELNS1_11target_archE1201ELNS1_3gpuE5ELNS1_3repE0EEENS1_30default_config_static_selectorELNS0_4arch9wavefront6targetE1EEEvT1_,comdat
	.protected	_ZN7rocprim17ROCPRIM_400000_NS6detail17trampoline_kernelINS0_14default_configENS1_20scan_config_selectorIsEEZZNS1_9scan_implILNS1_25lookback_scan_determinismE0ELb1ELb1ES3_N6thrust23THRUST_200600_302600_NS6detail15normal_iteratorINS9_10device_ptrIsEEEESE_sNS9_4plusIsEEsEEDaPvRmT3_T4_T5_mT6_P12ihipStream_tbENKUlT_T0_E_clISt17integral_constantIbLb0EEST_IbLb1EEEEDaSP_SQ_EUlSP_E_NS1_11comp_targetILNS1_3genE10ELNS1_11target_archE1201ELNS1_3gpuE5ELNS1_3repE0EEENS1_30default_config_static_selectorELNS0_4arch9wavefront6targetE1EEEvT1_ ; -- Begin function _ZN7rocprim17ROCPRIM_400000_NS6detail17trampoline_kernelINS0_14default_configENS1_20scan_config_selectorIsEEZZNS1_9scan_implILNS1_25lookback_scan_determinismE0ELb1ELb1ES3_N6thrust23THRUST_200600_302600_NS6detail15normal_iteratorINS9_10device_ptrIsEEEESE_sNS9_4plusIsEEsEEDaPvRmT3_T4_T5_mT6_P12ihipStream_tbENKUlT_T0_E_clISt17integral_constantIbLb0EEST_IbLb1EEEEDaSP_SQ_EUlSP_E_NS1_11comp_targetILNS1_3genE10ELNS1_11target_archE1201ELNS1_3gpuE5ELNS1_3repE0EEENS1_30default_config_static_selectorELNS0_4arch9wavefront6targetE1EEEvT1_
	.globl	_ZN7rocprim17ROCPRIM_400000_NS6detail17trampoline_kernelINS0_14default_configENS1_20scan_config_selectorIsEEZZNS1_9scan_implILNS1_25lookback_scan_determinismE0ELb1ELb1ES3_N6thrust23THRUST_200600_302600_NS6detail15normal_iteratorINS9_10device_ptrIsEEEESE_sNS9_4plusIsEEsEEDaPvRmT3_T4_T5_mT6_P12ihipStream_tbENKUlT_T0_E_clISt17integral_constantIbLb0EEST_IbLb1EEEEDaSP_SQ_EUlSP_E_NS1_11comp_targetILNS1_3genE10ELNS1_11target_archE1201ELNS1_3gpuE5ELNS1_3repE0EEENS1_30default_config_static_selectorELNS0_4arch9wavefront6targetE1EEEvT1_
	.p2align	8
	.type	_ZN7rocprim17ROCPRIM_400000_NS6detail17trampoline_kernelINS0_14default_configENS1_20scan_config_selectorIsEEZZNS1_9scan_implILNS1_25lookback_scan_determinismE0ELb1ELb1ES3_N6thrust23THRUST_200600_302600_NS6detail15normal_iteratorINS9_10device_ptrIsEEEESE_sNS9_4plusIsEEsEEDaPvRmT3_T4_T5_mT6_P12ihipStream_tbENKUlT_T0_E_clISt17integral_constantIbLb0EEST_IbLb1EEEEDaSP_SQ_EUlSP_E_NS1_11comp_targetILNS1_3genE10ELNS1_11target_archE1201ELNS1_3gpuE5ELNS1_3repE0EEENS1_30default_config_static_selectorELNS0_4arch9wavefront6targetE1EEEvT1_,@function
_ZN7rocprim17ROCPRIM_400000_NS6detail17trampoline_kernelINS0_14default_configENS1_20scan_config_selectorIsEEZZNS1_9scan_implILNS1_25lookback_scan_determinismE0ELb1ELb1ES3_N6thrust23THRUST_200600_302600_NS6detail15normal_iteratorINS9_10device_ptrIsEEEESE_sNS9_4plusIsEEsEEDaPvRmT3_T4_T5_mT6_P12ihipStream_tbENKUlT_T0_E_clISt17integral_constantIbLb0EEST_IbLb1EEEEDaSP_SQ_EUlSP_E_NS1_11comp_targetILNS1_3genE10ELNS1_11target_archE1201ELNS1_3gpuE5ELNS1_3repE0EEENS1_30default_config_static_selectorELNS0_4arch9wavefront6targetE1EEEvT1_: ; @_ZN7rocprim17ROCPRIM_400000_NS6detail17trampoline_kernelINS0_14default_configENS1_20scan_config_selectorIsEEZZNS1_9scan_implILNS1_25lookback_scan_determinismE0ELb1ELb1ES3_N6thrust23THRUST_200600_302600_NS6detail15normal_iteratorINS9_10device_ptrIsEEEESE_sNS9_4plusIsEEsEEDaPvRmT3_T4_T5_mT6_P12ihipStream_tbENKUlT_T0_E_clISt17integral_constantIbLb0EEST_IbLb1EEEEDaSP_SQ_EUlSP_E_NS1_11comp_targetILNS1_3genE10ELNS1_11target_archE1201ELNS1_3gpuE5ELNS1_3repE0EEENS1_30default_config_static_selectorELNS0_4arch9wavefront6targetE1EEEvT1_
; %bb.0:
	.section	.rodata,"a",@progbits
	.p2align	6, 0x0
	.amdhsa_kernel _ZN7rocprim17ROCPRIM_400000_NS6detail17trampoline_kernelINS0_14default_configENS1_20scan_config_selectorIsEEZZNS1_9scan_implILNS1_25lookback_scan_determinismE0ELb1ELb1ES3_N6thrust23THRUST_200600_302600_NS6detail15normal_iteratorINS9_10device_ptrIsEEEESE_sNS9_4plusIsEEsEEDaPvRmT3_T4_T5_mT6_P12ihipStream_tbENKUlT_T0_E_clISt17integral_constantIbLb0EEST_IbLb1EEEEDaSP_SQ_EUlSP_E_NS1_11comp_targetILNS1_3genE10ELNS1_11target_archE1201ELNS1_3gpuE5ELNS1_3repE0EEENS1_30default_config_static_selectorELNS0_4arch9wavefront6targetE1EEEvT1_
		.amdhsa_group_segment_fixed_size 0
		.amdhsa_private_segment_fixed_size 0
		.amdhsa_kernarg_size 96
		.amdhsa_user_sgpr_count 6
		.amdhsa_user_sgpr_private_segment_buffer 1
		.amdhsa_user_sgpr_dispatch_ptr 0
		.amdhsa_user_sgpr_queue_ptr 0
		.amdhsa_user_sgpr_kernarg_segment_ptr 1
		.amdhsa_user_sgpr_dispatch_id 0
		.amdhsa_user_sgpr_flat_scratch_init 0
		.amdhsa_user_sgpr_kernarg_preload_length 0
		.amdhsa_user_sgpr_kernarg_preload_offset 0
		.amdhsa_user_sgpr_private_segment_size 0
		.amdhsa_uses_dynamic_stack 0
		.amdhsa_system_sgpr_private_segment_wavefront_offset 0
		.amdhsa_system_sgpr_workgroup_id_x 1
		.amdhsa_system_sgpr_workgroup_id_y 0
		.amdhsa_system_sgpr_workgroup_id_z 0
		.amdhsa_system_sgpr_workgroup_info 0
		.amdhsa_system_vgpr_workitem_id 0
		.amdhsa_next_free_vgpr 1
		.amdhsa_next_free_sgpr 0
		.amdhsa_accum_offset 4
		.amdhsa_reserve_vcc 0
		.amdhsa_reserve_flat_scratch 0
		.amdhsa_float_round_mode_32 0
		.amdhsa_float_round_mode_16_64 0
		.amdhsa_float_denorm_mode_32 3
		.amdhsa_float_denorm_mode_16_64 3
		.amdhsa_dx10_clamp 1
		.amdhsa_ieee_mode 1
		.amdhsa_fp16_overflow 0
		.amdhsa_tg_split 0
		.amdhsa_exception_fp_ieee_invalid_op 0
		.amdhsa_exception_fp_denorm_src 0
		.amdhsa_exception_fp_ieee_div_zero 0
		.amdhsa_exception_fp_ieee_overflow 0
		.amdhsa_exception_fp_ieee_underflow 0
		.amdhsa_exception_fp_ieee_inexact 0
		.amdhsa_exception_int_div_zero 0
	.end_amdhsa_kernel
	.section	.text._ZN7rocprim17ROCPRIM_400000_NS6detail17trampoline_kernelINS0_14default_configENS1_20scan_config_selectorIsEEZZNS1_9scan_implILNS1_25lookback_scan_determinismE0ELb1ELb1ES3_N6thrust23THRUST_200600_302600_NS6detail15normal_iteratorINS9_10device_ptrIsEEEESE_sNS9_4plusIsEEsEEDaPvRmT3_T4_T5_mT6_P12ihipStream_tbENKUlT_T0_E_clISt17integral_constantIbLb0EEST_IbLb1EEEEDaSP_SQ_EUlSP_E_NS1_11comp_targetILNS1_3genE10ELNS1_11target_archE1201ELNS1_3gpuE5ELNS1_3repE0EEENS1_30default_config_static_selectorELNS0_4arch9wavefront6targetE1EEEvT1_,"axG",@progbits,_ZN7rocprim17ROCPRIM_400000_NS6detail17trampoline_kernelINS0_14default_configENS1_20scan_config_selectorIsEEZZNS1_9scan_implILNS1_25lookback_scan_determinismE0ELb1ELb1ES3_N6thrust23THRUST_200600_302600_NS6detail15normal_iteratorINS9_10device_ptrIsEEEESE_sNS9_4plusIsEEsEEDaPvRmT3_T4_T5_mT6_P12ihipStream_tbENKUlT_T0_E_clISt17integral_constantIbLb0EEST_IbLb1EEEEDaSP_SQ_EUlSP_E_NS1_11comp_targetILNS1_3genE10ELNS1_11target_archE1201ELNS1_3gpuE5ELNS1_3repE0EEENS1_30default_config_static_selectorELNS0_4arch9wavefront6targetE1EEEvT1_,comdat
.Lfunc_end1254:
	.size	_ZN7rocprim17ROCPRIM_400000_NS6detail17trampoline_kernelINS0_14default_configENS1_20scan_config_selectorIsEEZZNS1_9scan_implILNS1_25lookback_scan_determinismE0ELb1ELb1ES3_N6thrust23THRUST_200600_302600_NS6detail15normal_iteratorINS9_10device_ptrIsEEEESE_sNS9_4plusIsEEsEEDaPvRmT3_T4_T5_mT6_P12ihipStream_tbENKUlT_T0_E_clISt17integral_constantIbLb0EEST_IbLb1EEEEDaSP_SQ_EUlSP_E_NS1_11comp_targetILNS1_3genE10ELNS1_11target_archE1201ELNS1_3gpuE5ELNS1_3repE0EEENS1_30default_config_static_selectorELNS0_4arch9wavefront6targetE1EEEvT1_, .Lfunc_end1254-_ZN7rocprim17ROCPRIM_400000_NS6detail17trampoline_kernelINS0_14default_configENS1_20scan_config_selectorIsEEZZNS1_9scan_implILNS1_25lookback_scan_determinismE0ELb1ELb1ES3_N6thrust23THRUST_200600_302600_NS6detail15normal_iteratorINS9_10device_ptrIsEEEESE_sNS9_4plusIsEEsEEDaPvRmT3_T4_T5_mT6_P12ihipStream_tbENKUlT_T0_E_clISt17integral_constantIbLb0EEST_IbLb1EEEEDaSP_SQ_EUlSP_E_NS1_11comp_targetILNS1_3genE10ELNS1_11target_archE1201ELNS1_3gpuE5ELNS1_3repE0EEENS1_30default_config_static_selectorELNS0_4arch9wavefront6targetE1EEEvT1_
                                        ; -- End function
	.section	.AMDGPU.csdata,"",@progbits
; Kernel info:
; codeLenInByte = 0
; NumSgprs: 4
; NumVgprs: 0
; NumAgprs: 0
; TotalNumVgprs: 0
; ScratchSize: 0
; MemoryBound: 0
; FloatMode: 240
; IeeeMode: 1
; LDSByteSize: 0 bytes/workgroup (compile time only)
; SGPRBlocks: 0
; VGPRBlocks: 0
; NumSGPRsForWavesPerEU: 4
; NumVGPRsForWavesPerEU: 1
; AccumOffset: 4
; Occupancy: 8
; WaveLimiterHint : 0
; COMPUTE_PGM_RSRC2:SCRATCH_EN: 0
; COMPUTE_PGM_RSRC2:USER_SGPR: 6
; COMPUTE_PGM_RSRC2:TRAP_HANDLER: 0
; COMPUTE_PGM_RSRC2:TGID_X_EN: 1
; COMPUTE_PGM_RSRC2:TGID_Y_EN: 0
; COMPUTE_PGM_RSRC2:TGID_Z_EN: 0
; COMPUTE_PGM_RSRC2:TIDIG_COMP_CNT: 0
; COMPUTE_PGM_RSRC3_GFX90A:ACCUM_OFFSET: 0
; COMPUTE_PGM_RSRC3_GFX90A:TG_SPLIT: 0
	.section	.text._ZN7rocprim17ROCPRIM_400000_NS6detail17trampoline_kernelINS0_14default_configENS1_20scan_config_selectorIsEEZZNS1_9scan_implILNS1_25lookback_scan_determinismE0ELb1ELb1ES3_N6thrust23THRUST_200600_302600_NS6detail15normal_iteratorINS9_10device_ptrIsEEEESE_sNS9_4plusIsEEsEEDaPvRmT3_T4_T5_mT6_P12ihipStream_tbENKUlT_T0_E_clISt17integral_constantIbLb0EEST_IbLb1EEEEDaSP_SQ_EUlSP_E_NS1_11comp_targetILNS1_3genE10ELNS1_11target_archE1200ELNS1_3gpuE4ELNS1_3repE0EEENS1_30default_config_static_selectorELNS0_4arch9wavefront6targetE1EEEvT1_,"axG",@progbits,_ZN7rocprim17ROCPRIM_400000_NS6detail17trampoline_kernelINS0_14default_configENS1_20scan_config_selectorIsEEZZNS1_9scan_implILNS1_25lookback_scan_determinismE0ELb1ELb1ES3_N6thrust23THRUST_200600_302600_NS6detail15normal_iteratorINS9_10device_ptrIsEEEESE_sNS9_4plusIsEEsEEDaPvRmT3_T4_T5_mT6_P12ihipStream_tbENKUlT_T0_E_clISt17integral_constantIbLb0EEST_IbLb1EEEEDaSP_SQ_EUlSP_E_NS1_11comp_targetILNS1_3genE10ELNS1_11target_archE1200ELNS1_3gpuE4ELNS1_3repE0EEENS1_30default_config_static_selectorELNS0_4arch9wavefront6targetE1EEEvT1_,comdat
	.protected	_ZN7rocprim17ROCPRIM_400000_NS6detail17trampoline_kernelINS0_14default_configENS1_20scan_config_selectorIsEEZZNS1_9scan_implILNS1_25lookback_scan_determinismE0ELb1ELb1ES3_N6thrust23THRUST_200600_302600_NS6detail15normal_iteratorINS9_10device_ptrIsEEEESE_sNS9_4plusIsEEsEEDaPvRmT3_T4_T5_mT6_P12ihipStream_tbENKUlT_T0_E_clISt17integral_constantIbLb0EEST_IbLb1EEEEDaSP_SQ_EUlSP_E_NS1_11comp_targetILNS1_3genE10ELNS1_11target_archE1200ELNS1_3gpuE4ELNS1_3repE0EEENS1_30default_config_static_selectorELNS0_4arch9wavefront6targetE1EEEvT1_ ; -- Begin function _ZN7rocprim17ROCPRIM_400000_NS6detail17trampoline_kernelINS0_14default_configENS1_20scan_config_selectorIsEEZZNS1_9scan_implILNS1_25lookback_scan_determinismE0ELb1ELb1ES3_N6thrust23THRUST_200600_302600_NS6detail15normal_iteratorINS9_10device_ptrIsEEEESE_sNS9_4plusIsEEsEEDaPvRmT3_T4_T5_mT6_P12ihipStream_tbENKUlT_T0_E_clISt17integral_constantIbLb0EEST_IbLb1EEEEDaSP_SQ_EUlSP_E_NS1_11comp_targetILNS1_3genE10ELNS1_11target_archE1200ELNS1_3gpuE4ELNS1_3repE0EEENS1_30default_config_static_selectorELNS0_4arch9wavefront6targetE1EEEvT1_
	.globl	_ZN7rocprim17ROCPRIM_400000_NS6detail17trampoline_kernelINS0_14default_configENS1_20scan_config_selectorIsEEZZNS1_9scan_implILNS1_25lookback_scan_determinismE0ELb1ELb1ES3_N6thrust23THRUST_200600_302600_NS6detail15normal_iteratorINS9_10device_ptrIsEEEESE_sNS9_4plusIsEEsEEDaPvRmT3_T4_T5_mT6_P12ihipStream_tbENKUlT_T0_E_clISt17integral_constantIbLb0EEST_IbLb1EEEEDaSP_SQ_EUlSP_E_NS1_11comp_targetILNS1_3genE10ELNS1_11target_archE1200ELNS1_3gpuE4ELNS1_3repE0EEENS1_30default_config_static_selectorELNS0_4arch9wavefront6targetE1EEEvT1_
	.p2align	8
	.type	_ZN7rocprim17ROCPRIM_400000_NS6detail17trampoline_kernelINS0_14default_configENS1_20scan_config_selectorIsEEZZNS1_9scan_implILNS1_25lookback_scan_determinismE0ELb1ELb1ES3_N6thrust23THRUST_200600_302600_NS6detail15normal_iteratorINS9_10device_ptrIsEEEESE_sNS9_4plusIsEEsEEDaPvRmT3_T4_T5_mT6_P12ihipStream_tbENKUlT_T0_E_clISt17integral_constantIbLb0EEST_IbLb1EEEEDaSP_SQ_EUlSP_E_NS1_11comp_targetILNS1_3genE10ELNS1_11target_archE1200ELNS1_3gpuE4ELNS1_3repE0EEENS1_30default_config_static_selectorELNS0_4arch9wavefront6targetE1EEEvT1_,@function
_ZN7rocprim17ROCPRIM_400000_NS6detail17trampoline_kernelINS0_14default_configENS1_20scan_config_selectorIsEEZZNS1_9scan_implILNS1_25lookback_scan_determinismE0ELb1ELb1ES3_N6thrust23THRUST_200600_302600_NS6detail15normal_iteratorINS9_10device_ptrIsEEEESE_sNS9_4plusIsEEsEEDaPvRmT3_T4_T5_mT6_P12ihipStream_tbENKUlT_T0_E_clISt17integral_constantIbLb0EEST_IbLb1EEEEDaSP_SQ_EUlSP_E_NS1_11comp_targetILNS1_3genE10ELNS1_11target_archE1200ELNS1_3gpuE4ELNS1_3repE0EEENS1_30default_config_static_selectorELNS0_4arch9wavefront6targetE1EEEvT1_: ; @_ZN7rocprim17ROCPRIM_400000_NS6detail17trampoline_kernelINS0_14default_configENS1_20scan_config_selectorIsEEZZNS1_9scan_implILNS1_25lookback_scan_determinismE0ELb1ELb1ES3_N6thrust23THRUST_200600_302600_NS6detail15normal_iteratorINS9_10device_ptrIsEEEESE_sNS9_4plusIsEEsEEDaPvRmT3_T4_T5_mT6_P12ihipStream_tbENKUlT_T0_E_clISt17integral_constantIbLb0EEST_IbLb1EEEEDaSP_SQ_EUlSP_E_NS1_11comp_targetILNS1_3genE10ELNS1_11target_archE1200ELNS1_3gpuE4ELNS1_3repE0EEENS1_30default_config_static_selectorELNS0_4arch9wavefront6targetE1EEEvT1_
; %bb.0:
	.section	.rodata,"a",@progbits
	.p2align	6, 0x0
	.amdhsa_kernel _ZN7rocprim17ROCPRIM_400000_NS6detail17trampoline_kernelINS0_14default_configENS1_20scan_config_selectorIsEEZZNS1_9scan_implILNS1_25lookback_scan_determinismE0ELb1ELb1ES3_N6thrust23THRUST_200600_302600_NS6detail15normal_iteratorINS9_10device_ptrIsEEEESE_sNS9_4plusIsEEsEEDaPvRmT3_T4_T5_mT6_P12ihipStream_tbENKUlT_T0_E_clISt17integral_constantIbLb0EEST_IbLb1EEEEDaSP_SQ_EUlSP_E_NS1_11comp_targetILNS1_3genE10ELNS1_11target_archE1200ELNS1_3gpuE4ELNS1_3repE0EEENS1_30default_config_static_selectorELNS0_4arch9wavefront6targetE1EEEvT1_
		.amdhsa_group_segment_fixed_size 0
		.amdhsa_private_segment_fixed_size 0
		.amdhsa_kernarg_size 96
		.amdhsa_user_sgpr_count 6
		.amdhsa_user_sgpr_private_segment_buffer 1
		.amdhsa_user_sgpr_dispatch_ptr 0
		.amdhsa_user_sgpr_queue_ptr 0
		.amdhsa_user_sgpr_kernarg_segment_ptr 1
		.amdhsa_user_sgpr_dispatch_id 0
		.amdhsa_user_sgpr_flat_scratch_init 0
		.amdhsa_user_sgpr_kernarg_preload_length 0
		.amdhsa_user_sgpr_kernarg_preload_offset 0
		.amdhsa_user_sgpr_private_segment_size 0
		.amdhsa_uses_dynamic_stack 0
		.amdhsa_system_sgpr_private_segment_wavefront_offset 0
		.amdhsa_system_sgpr_workgroup_id_x 1
		.amdhsa_system_sgpr_workgroup_id_y 0
		.amdhsa_system_sgpr_workgroup_id_z 0
		.amdhsa_system_sgpr_workgroup_info 0
		.amdhsa_system_vgpr_workitem_id 0
		.amdhsa_next_free_vgpr 1
		.amdhsa_next_free_sgpr 0
		.amdhsa_accum_offset 4
		.amdhsa_reserve_vcc 0
		.amdhsa_reserve_flat_scratch 0
		.amdhsa_float_round_mode_32 0
		.amdhsa_float_round_mode_16_64 0
		.amdhsa_float_denorm_mode_32 3
		.amdhsa_float_denorm_mode_16_64 3
		.amdhsa_dx10_clamp 1
		.amdhsa_ieee_mode 1
		.amdhsa_fp16_overflow 0
		.amdhsa_tg_split 0
		.amdhsa_exception_fp_ieee_invalid_op 0
		.amdhsa_exception_fp_denorm_src 0
		.amdhsa_exception_fp_ieee_div_zero 0
		.amdhsa_exception_fp_ieee_overflow 0
		.amdhsa_exception_fp_ieee_underflow 0
		.amdhsa_exception_fp_ieee_inexact 0
		.amdhsa_exception_int_div_zero 0
	.end_amdhsa_kernel
	.section	.text._ZN7rocprim17ROCPRIM_400000_NS6detail17trampoline_kernelINS0_14default_configENS1_20scan_config_selectorIsEEZZNS1_9scan_implILNS1_25lookback_scan_determinismE0ELb1ELb1ES3_N6thrust23THRUST_200600_302600_NS6detail15normal_iteratorINS9_10device_ptrIsEEEESE_sNS9_4plusIsEEsEEDaPvRmT3_T4_T5_mT6_P12ihipStream_tbENKUlT_T0_E_clISt17integral_constantIbLb0EEST_IbLb1EEEEDaSP_SQ_EUlSP_E_NS1_11comp_targetILNS1_3genE10ELNS1_11target_archE1200ELNS1_3gpuE4ELNS1_3repE0EEENS1_30default_config_static_selectorELNS0_4arch9wavefront6targetE1EEEvT1_,"axG",@progbits,_ZN7rocprim17ROCPRIM_400000_NS6detail17trampoline_kernelINS0_14default_configENS1_20scan_config_selectorIsEEZZNS1_9scan_implILNS1_25lookback_scan_determinismE0ELb1ELb1ES3_N6thrust23THRUST_200600_302600_NS6detail15normal_iteratorINS9_10device_ptrIsEEEESE_sNS9_4plusIsEEsEEDaPvRmT3_T4_T5_mT6_P12ihipStream_tbENKUlT_T0_E_clISt17integral_constantIbLb0EEST_IbLb1EEEEDaSP_SQ_EUlSP_E_NS1_11comp_targetILNS1_3genE10ELNS1_11target_archE1200ELNS1_3gpuE4ELNS1_3repE0EEENS1_30default_config_static_selectorELNS0_4arch9wavefront6targetE1EEEvT1_,comdat
.Lfunc_end1255:
	.size	_ZN7rocprim17ROCPRIM_400000_NS6detail17trampoline_kernelINS0_14default_configENS1_20scan_config_selectorIsEEZZNS1_9scan_implILNS1_25lookback_scan_determinismE0ELb1ELb1ES3_N6thrust23THRUST_200600_302600_NS6detail15normal_iteratorINS9_10device_ptrIsEEEESE_sNS9_4plusIsEEsEEDaPvRmT3_T4_T5_mT6_P12ihipStream_tbENKUlT_T0_E_clISt17integral_constantIbLb0EEST_IbLb1EEEEDaSP_SQ_EUlSP_E_NS1_11comp_targetILNS1_3genE10ELNS1_11target_archE1200ELNS1_3gpuE4ELNS1_3repE0EEENS1_30default_config_static_selectorELNS0_4arch9wavefront6targetE1EEEvT1_, .Lfunc_end1255-_ZN7rocprim17ROCPRIM_400000_NS6detail17trampoline_kernelINS0_14default_configENS1_20scan_config_selectorIsEEZZNS1_9scan_implILNS1_25lookback_scan_determinismE0ELb1ELb1ES3_N6thrust23THRUST_200600_302600_NS6detail15normal_iteratorINS9_10device_ptrIsEEEESE_sNS9_4plusIsEEsEEDaPvRmT3_T4_T5_mT6_P12ihipStream_tbENKUlT_T0_E_clISt17integral_constantIbLb0EEST_IbLb1EEEEDaSP_SQ_EUlSP_E_NS1_11comp_targetILNS1_3genE10ELNS1_11target_archE1200ELNS1_3gpuE4ELNS1_3repE0EEENS1_30default_config_static_selectorELNS0_4arch9wavefront6targetE1EEEvT1_
                                        ; -- End function
	.section	.AMDGPU.csdata,"",@progbits
; Kernel info:
; codeLenInByte = 0
; NumSgprs: 4
; NumVgprs: 0
; NumAgprs: 0
; TotalNumVgprs: 0
; ScratchSize: 0
; MemoryBound: 0
; FloatMode: 240
; IeeeMode: 1
; LDSByteSize: 0 bytes/workgroup (compile time only)
; SGPRBlocks: 0
; VGPRBlocks: 0
; NumSGPRsForWavesPerEU: 4
; NumVGPRsForWavesPerEU: 1
; AccumOffset: 4
; Occupancy: 8
; WaveLimiterHint : 0
; COMPUTE_PGM_RSRC2:SCRATCH_EN: 0
; COMPUTE_PGM_RSRC2:USER_SGPR: 6
; COMPUTE_PGM_RSRC2:TRAP_HANDLER: 0
; COMPUTE_PGM_RSRC2:TGID_X_EN: 1
; COMPUTE_PGM_RSRC2:TGID_Y_EN: 0
; COMPUTE_PGM_RSRC2:TGID_Z_EN: 0
; COMPUTE_PGM_RSRC2:TIDIG_COMP_CNT: 0
; COMPUTE_PGM_RSRC3_GFX90A:ACCUM_OFFSET: 0
; COMPUTE_PGM_RSRC3_GFX90A:TG_SPLIT: 0
	.section	.text._ZN7rocprim17ROCPRIM_400000_NS6detail17trampoline_kernelINS0_14default_configENS1_20scan_config_selectorIsEEZZNS1_9scan_implILNS1_25lookback_scan_determinismE0ELb1ELb1ES3_N6thrust23THRUST_200600_302600_NS6detail15normal_iteratorINS9_10device_ptrIsEEEESE_sNS9_4plusIsEEsEEDaPvRmT3_T4_T5_mT6_P12ihipStream_tbENKUlT_T0_E_clISt17integral_constantIbLb0EEST_IbLb1EEEEDaSP_SQ_EUlSP_E_NS1_11comp_targetILNS1_3genE9ELNS1_11target_archE1100ELNS1_3gpuE3ELNS1_3repE0EEENS1_30default_config_static_selectorELNS0_4arch9wavefront6targetE1EEEvT1_,"axG",@progbits,_ZN7rocprim17ROCPRIM_400000_NS6detail17trampoline_kernelINS0_14default_configENS1_20scan_config_selectorIsEEZZNS1_9scan_implILNS1_25lookback_scan_determinismE0ELb1ELb1ES3_N6thrust23THRUST_200600_302600_NS6detail15normal_iteratorINS9_10device_ptrIsEEEESE_sNS9_4plusIsEEsEEDaPvRmT3_T4_T5_mT6_P12ihipStream_tbENKUlT_T0_E_clISt17integral_constantIbLb0EEST_IbLb1EEEEDaSP_SQ_EUlSP_E_NS1_11comp_targetILNS1_3genE9ELNS1_11target_archE1100ELNS1_3gpuE3ELNS1_3repE0EEENS1_30default_config_static_selectorELNS0_4arch9wavefront6targetE1EEEvT1_,comdat
	.protected	_ZN7rocprim17ROCPRIM_400000_NS6detail17trampoline_kernelINS0_14default_configENS1_20scan_config_selectorIsEEZZNS1_9scan_implILNS1_25lookback_scan_determinismE0ELb1ELb1ES3_N6thrust23THRUST_200600_302600_NS6detail15normal_iteratorINS9_10device_ptrIsEEEESE_sNS9_4plusIsEEsEEDaPvRmT3_T4_T5_mT6_P12ihipStream_tbENKUlT_T0_E_clISt17integral_constantIbLb0EEST_IbLb1EEEEDaSP_SQ_EUlSP_E_NS1_11comp_targetILNS1_3genE9ELNS1_11target_archE1100ELNS1_3gpuE3ELNS1_3repE0EEENS1_30default_config_static_selectorELNS0_4arch9wavefront6targetE1EEEvT1_ ; -- Begin function _ZN7rocprim17ROCPRIM_400000_NS6detail17trampoline_kernelINS0_14default_configENS1_20scan_config_selectorIsEEZZNS1_9scan_implILNS1_25lookback_scan_determinismE0ELb1ELb1ES3_N6thrust23THRUST_200600_302600_NS6detail15normal_iteratorINS9_10device_ptrIsEEEESE_sNS9_4plusIsEEsEEDaPvRmT3_T4_T5_mT6_P12ihipStream_tbENKUlT_T0_E_clISt17integral_constantIbLb0EEST_IbLb1EEEEDaSP_SQ_EUlSP_E_NS1_11comp_targetILNS1_3genE9ELNS1_11target_archE1100ELNS1_3gpuE3ELNS1_3repE0EEENS1_30default_config_static_selectorELNS0_4arch9wavefront6targetE1EEEvT1_
	.globl	_ZN7rocprim17ROCPRIM_400000_NS6detail17trampoline_kernelINS0_14default_configENS1_20scan_config_selectorIsEEZZNS1_9scan_implILNS1_25lookback_scan_determinismE0ELb1ELb1ES3_N6thrust23THRUST_200600_302600_NS6detail15normal_iteratorINS9_10device_ptrIsEEEESE_sNS9_4plusIsEEsEEDaPvRmT3_T4_T5_mT6_P12ihipStream_tbENKUlT_T0_E_clISt17integral_constantIbLb0EEST_IbLb1EEEEDaSP_SQ_EUlSP_E_NS1_11comp_targetILNS1_3genE9ELNS1_11target_archE1100ELNS1_3gpuE3ELNS1_3repE0EEENS1_30default_config_static_selectorELNS0_4arch9wavefront6targetE1EEEvT1_
	.p2align	8
	.type	_ZN7rocprim17ROCPRIM_400000_NS6detail17trampoline_kernelINS0_14default_configENS1_20scan_config_selectorIsEEZZNS1_9scan_implILNS1_25lookback_scan_determinismE0ELb1ELb1ES3_N6thrust23THRUST_200600_302600_NS6detail15normal_iteratorINS9_10device_ptrIsEEEESE_sNS9_4plusIsEEsEEDaPvRmT3_T4_T5_mT6_P12ihipStream_tbENKUlT_T0_E_clISt17integral_constantIbLb0EEST_IbLb1EEEEDaSP_SQ_EUlSP_E_NS1_11comp_targetILNS1_3genE9ELNS1_11target_archE1100ELNS1_3gpuE3ELNS1_3repE0EEENS1_30default_config_static_selectorELNS0_4arch9wavefront6targetE1EEEvT1_,@function
_ZN7rocprim17ROCPRIM_400000_NS6detail17trampoline_kernelINS0_14default_configENS1_20scan_config_selectorIsEEZZNS1_9scan_implILNS1_25lookback_scan_determinismE0ELb1ELb1ES3_N6thrust23THRUST_200600_302600_NS6detail15normal_iteratorINS9_10device_ptrIsEEEESE_sNS9_4plusIsEEsEEDaPvRmT3_T4_T5_mT6_P12ihipStream_tbENKUlT_T0_E_clISt17integral_constantIbLb0EEST_IbLb1EEEEDaSP_SQ_EUlSP_E_NS1_11comp_targetILNS1_3genE9ELNS1_11target_archE1100ELNS1_3gpuE3ELNS1_3repE0EEENS1_30default_config_static_selectorELNS0_4arch9wavefront6targetE1EEEvT1_: ; @_ZN7rocprim17ROCPRIM_400000_NS6detail17trampoline_kernelINS0_14default_configENS1_20scan_config_selectorIsEEZZNS1_9scan_implILNS1_25lookback_scan_determinismE0ELb1ELb1ES3_N6thrust23THRUST_200600_302600_NS6detail15normal_iteratorINS9_10device_ptrIsEEEESE_sNS9_4plusIsEEsEEDaPvRmT3_T4_T5_mT6_P12ihipStream_tbENKUlT_T0_E_clISt17integral_constantIbLb0EEST_IbLb1EEEEDaSP_SQ_EUlSP_E_NS1_11comp_targetILNS1_3genE9ELNS1_11target_archE1100ELNS1_3gpuE3ELNS1_3repE0EEENS1_30default_config_static_selectorELNS0_4arch9wavefront6targetE1EEEvT1_
; %bb.0:
	.section	.rodata,"a",@progbits
	.p2align	6, 0x0
	.amdhsa_kernel _ZN7rocprim17ROCPRIM_400000_NS6detail17trampoline_kernelINS0_14default_configENS1_20scan_config_selectorIsEEZZNS1_9scan_implILNS1_25lookback_scan_determinismE0ELb1ELb1ES3_N6thrust23THRUST_200600_302600_NS6detail15normal_iteratorINS9_10device_ptrIsEEEESE_sNS9_4plusIsEEsEEDaPvRmT3_T4_T5_mT6_P12ihipStream_tbENKUlT_T0_E_clISt17integral_constantIbLb0EEST_IbLb1EEEEDaSP_SQ_EUlSP_E_NS1_11comp_targetILNS1_3genE9ELNS1_11target_archE1100ELNS1_3gpuE3ELNS1_3repE0EEENS1_30default_config_static_selectorELNS0_4arch9wavefront6targetE1EEEvT1_
		.amdhsa_group_segment_fixed_size 0
		.amdhsa_private_segment_fixed_size 0
		.amdhsa_kernarg_size 96
		.amdhsa_user_sgpr_count 6
		.amdhsa_user_sgpr_private_segment_buffer 1
		.amdhsa_user_sgpr_dispatch_ptr 0
		.amdhsa_user_sgpr_queue_ptr 0
		.amdhsa_user_sgpr_kernarg_segment_ptr 1
		.amdhsa_user_sgpr_dispatch_id 0
		.amdhsa_user_sgpr_flat_scratch_init 0
		.amdhsa_user_sgpr_kernarg_preload_length 0
		.amdhsa_user_sgpr_kernarg_preload_offset 0
		.amdhsa_user_sgpr_private_segment_size 0
		.amdhsa_uses_dynamic_stack 0
		.amdhsa_system_sgpr_private_segment_wavefront_offset 0
		.amdhsa_system_sgpr_workgroup_id_x 1
		.amdhsa_system_sgpr_workgroup_id_y 0
		.amdhsa_system_sgpr_workgroup_id_z 0
		.amdhsa_system_sgpr_workgroup_info 0
		.amdhsa_system_vgpr_workitem_id 0
		.amdhsa_next_free_vgpr 1
		.amdhsa_next_free_sgpr 0
		.amdhsa_accum_offset 4
		.amdhsa_reserve_vcc 0
		.amdhsa_reserve_flat_scratch 0
		.amdhsa_float_round_mode_32 0
		.amdhsa_float_round_mode_16_64 0
		.amdhsa_float_denorm_mode_32 3
		.amdhsa_float_denorm_mode_16_64 3
		.amdhsa_dx10_clamp 1
		.amdhsa_ieee_mode 1
		.amdhsa_fp16_overflow 0
		.amdhsa_tg_split 0
		.amdhsa_exception_fp_ieee_invalid_op 0
		.amdhsa_exception_fp_denorm_src 0
		.amdhsa_exception_fp_ieee_div_zero 0
		.amdhsa_exception_fp_ieee_overflow 0
		.amdhsa_exception_fp_ieee_underflow 0
		.amdhsa_exception_fp_ieee_inexact 0
		.amdhsa_exception_int_div_zero 0
	.end_amdhsa_kernel
	.section	.text._ZN7rocprim17ROCPRIM_400000_NS6detail17trampoline_kernelINS0_14default_configENS1_20scan_config_selectorIsEEZZNS1_9scan_implILNS1_25lookback_scan_determinismE0ELb1ELb1ES3_N6thrust23THRUST_200600_302600_NS6detail15normal_iteratorINS9_10device_ptrIsEEEESE_sNS9_4plusIsEEsEEDaPvRmT3_T4_T5_mT6_P12ihipStream_tbENKUlT_T0_E_clISt17integral_constantIbLb0EEST_IbLb1EEEEDaSP_SQ_EUlSP_E_NS1_11comp_targetILNS1_3genE9ELNS1_11target_archE1100ELNS1_3gpuE3ELNS1_3repE0EEENS1_30default_config_static_selectorELNS0_4arch9wavefront6targetE1EEEvT1_,"axG",@progbits,_ZN7rocprim17ROCPRIM_400000_NS6detail17trampoline_kernelINS0_14default_configENS1_20scan_config_selectorIsEEZZNS1_9scan_implILNS1_25lookback_scan_determinismE0ELb1ELb1ES3_N6thrust23THRUST_200600_302600_NS6detail15normal_iteratorINS9_10device_ptrIsEEEESE_sNS9_4plusIsEEsEEDaPvRmT3_T4_T5_mT6_P12ihipStream_tbENKUlT_T0_E_clISt17integral_constantIbLb0EEST_IbLb1EEEEDaSP_SQ_EUlSP_E_NS1_11comp_targetILNS1_3genE9ELNS1_11target_archE1100ELNS1_3gpuE3ELNS1_3repE0EEENS1_30default_config_static_selectorELNS0_4arch9wavefront6targetE1EEEvT1_,comdat
.Lfunc_end1256:
	.size	_ZN7rocprim17ROCPRIM_400000_NS6detail17trampoline_kernelINS0_14default_configENS1_20scan_config_selectorIsEEZZNS1_9scan_implILNS1_25lookback_scan_determinismE0ELb1ELb1ES3_N6thrust23THRUST_200600_302600_NS6detail15normal_iteratorINS9_10device_ptrIsEEEESE_sNS9_4plusIsEEsEEDaPvRmT3_T4_T5_mT6_P12ihipStream_tbENKUlT_T0_E_clISt17integral_constantIbLb0EEST_IbLb1EEEEDaSP_SQ_EUlSP_E_NS1_11comp_targetILNS1_3genE9ELNS1_11target_archE1100ELNS1_3gpuE3ELNS1_3repE0EEENS1_30default_config_static_selectorELNS0_4arch9wavefront6targetE1EEEvT1_, .Lfunc_end1256-_ZN7rocprim17ROCPRIM_400000_NS6detail17trampoline_kernelINS0_14default_configENS1_20scan_config_selectorIsEEZZNS1_9scan_implILNS1_25lookback_scan_determinismE0ELb1ELb1ES3_N6thrust23THRUST_200600_302600_NS6detail15normal_iteratorINS9_10device_ptrIsEEEESE_sNS9_4plusIsEEsEEDaPvRmT3_T4_T5_mT6_P12ihipStream_tbENKUlT_T0_E_clISt17integral_constantIbLb0EEST_IbLb1EEEEDaSP_SQ_EUlSP_E_NS1_11comp_targetILNS1_3genE9ELNS1_11target_archE1100ELNS1_3gpuE3ELNS1_3repE0EEENS1_30default_config_static_selectorELNS0_4arch9wavefront6targetE1EEEvT1_
                                        ; -- End function
	.section	.AMDGPU.csdata,"",@progbits
; Kernel info:
; codeLenInByte = 0
; NumSgprs: 4
; NumVgprs: 0
; NumAgprs: 0
; TotalNumVgprs: 0
; ScratchSize: 0
; MemoryBound: 0
; FloatMode: 240
; IeeeMode: 1
; LDSByteSize: 0 bytes/workgroup (compile time only)
; SGPRBlocks: 0
; VGPRBlocks: 0
; NumSGPRsForWavesPerEU: 4
; NumVGPRsForWavesPerEU: 1
; AccumOffset: 4
; Occupancy: 8
; WaveLimiterHint : 0
; COMPUTE_PGM_RSRC2:SCRATCH_EN: 0
; COMPUTE_PGM_RSRC2:USER_SGPR: 6
; COMPUTE_PGM_RSRC2:TRAP_HANDLER: 0
; COMPUTE_PGM_RSRC2:TGID_X_EN: 1
; COMPUTE_PGM_RSRC2:TGID_Y_EN: 0
; COMPUTE_PGM_RSRC2:TGID_Z_EN: 0
; COMPUTE_PGM_RSRC2:TIDIG_COMP_CNT: 0
; COMPUTE_PGM_RSRC3_GFX90A:ACCUM_OFFSET: 0
; COMPUTE_PGM_RSRC3_GFX90A:TG_SPLIT: 0
	.section	.text._ZN7rocprim17ROCPRIM_400000_NS6detail17trampoline_kernelINS0_14default_configENS1_20scan_config_selectorIsEEZZNS1_9scan_implILNS1_25lookback_scan_determinismE0ELb1ELb1ES3_N6thrust23THRUST_200600_302600_NS6detail15normal_iteratorINS9_10device_ptrIsEEEESE_sNS9_4plusIsEEsEEDaPvRmT3_T4_T5_mT6_P12ihipStream_tbENKUlT_T0_E_clISt17integral_constantIbLb0EEST_IbLb1EEEEDaSP_SQ_EUlSP_E_NS1_11comp_targetILNS1_3genE8ELNS1_11target_archE1030ELNS1_3gpuE2ELNS1_3repE0EEENS1_30default_config_static_selectorELNS0_4arch9wavefront6targetE1EEEvT1_,"axG",@progbits,_ZN7rocprim17ROCPRIM_400000_NS6detail17trampoline_kernelINS0_14default_configENS1_20scan_config_selectorIsEEZZNS1_9scan_implILNS1_25lookback_scan_determinismE0ELb1ELb1ES3_N6thrust23THRUST_200600_302600_NS6detail15normal_iteratorINS9_10device_ptrIsEEEESE_sNS9_4plusIsEEsEEDaPvRmT3_T4_T5_mT6_P12ihipStream_tbENKUlT_T0_E_clISt17integral_constantIbLb0EEST_IbLb1EEEEDaSP_SQ_EUlSP_E_NS1_11comp_targetILNS1_3genE8ELNS1_11target_archE1030ELNS1_3gpuE2ELNS1_3repE0EEENS1_30default_config_static_selectorELNS0_4arch9wavefront6targetE1EEEvT1_,comdat
	.protected	_ZN7rocprim17ROCPRIM_400000_NS6detail17trampoline_kernelINS0_14default_configENS1_20scan_config_selectorIsEEZZNS1_9scan_implILNS1_25lookback_scan_determinismE0ELb1ELb1ES3_N6thrust23THRUST_200600_302600_NS6detail15normal_iteratorINS9_10device_ptrIsEEEESE_sNS9_4plusIsEEsEEDaPvRmT3_T4_T5_mT6_P12ihipStream_tbENKUlT_T0_E_clISt17integral_constantIbLb0EEST_IbLb1EEEEDaSP_SQ_EUlSP_E_NS1_11comp_targetILNS1_3genE8ELNS1_11target_archE1030ELNS1_3gpuE2ELNS1_3repE0EEENS1_30default_config_static_selectorELNS0_4arch9wavefront6targetE1EEEvT1_ ; -- Begin function _ZN7rocprim17ROCPRIM_400000_NS6detail17trampoline_kernelINS0_14default_configENS1_20scan_config_selectorIsEEZZNS1_9scan_implILNS1_25lookback_scan_determinismE0ELb1ELb1ES3_N6thrust23THRUST_200600_302600_NS6detail15normal_iteratorINS9_10device_ptrIsEEEESE_sNS9_4plusIsEEsEEDaPvRmT3_T4_T5_mT6_P12ihipStream_tbENKUlT_T0_E_clISt17integral_constantIbLb0EEST_IbLb1EEEEDaSP_SQ_EUlSP_E_NS1_11comp_targetILNS1_3genE8ELNS1_11target_archE1030ELNS1_3gpuE2ELNS1_3repE0EEENS1_30default_config_static_selectorELNS0_4arch9wavefront6targetE1EEEvT1_
	.globl	_ZN7rocprim17ROCPRIM_400000_NS6detail17trampoline_kernelINS0_14default_configENS1_20scan_config_selectorIsEEZZNS1_9scan_implILNS1_25lookback_scan_determinismE0ELb1ELb1ES3_N6thrust23THRUST_200600_302600_NS6detail15normal_iteratorINS9_10device_ptrIsEEEESE_sNS9_4plusIsEEsEEDaPvRmT3_T4_T5_mT6_P12ihipStream_tbENKUlT_T0_E_clISt17integral_constantIbLb0EEST_IbLb1EEEEDaSP_SQ_EUlSP_E_NS1_11comp_targetILNS1_3genE8ELNS1_11target_archE1030ELNS1_3gpuE2ELNS1_3repE0EEENS1_30default_config_static_selectorELNS0_4arch9wavefront6targetE1EEEvT1_
	.p2align	8
	.type	_ZN7rocprim17ROCPRIM_400000_NS6detail17trampoline_kernelINS0_14default_configENS1_20scan_config_selectorIsEEZZNS1_9scan_implILNS1_25lookback_scan_determinismE0ELb1ELb1ES3_N6thrust23THRUST_200600_302600_NS6detail15normal_iteratorINS9_10device_ptrIsEEEESE_sNS9_4plusIsEEsEEDaPvRmT3_T4_T5_mT6_P12ihipStream_tbENKUlT_T0_E_clISt17integral_constantIbLb0EEST_IbLb1EEEEDaSP_SQ_EUlSP_E_NS1_11comp_targetILNS1_3genE8ELNS1_11target_archE1030ELNS1_3gpuE2ELNS1_3repE0EEENS1_30default_config_static_selectorELNS0_4arch9wavefront6targetE1EEEvT1_,@function
_ZN7rocprim17ROCPRIM_400000_NS6detail17trampoline_kernelINS0_14default_configENS1_20scan_config_selectorIsEEZZNS1_9scan_implILNS1_25lookback_scan_determinismE0ELb1ELb1ES3_N6thrust23THRUST_200600_302600_NS6detail15normal_iteratorINS9_10device_ptrIsEEEESE_sNS9_4plusIsEEsEEDaPvRmT3_T4_T5_mT6_P12ihipStream_tbENKUlT_T0_E_clISt17integral_constantIbLb0EEST_IbLb1EEEEDaSP_SQ_EUlSP_E_NS1_11comp_targetILNS1_3genE8ELNS1_11target_archE1030ELNS1_3gpuE2ELNS1_3repE0EEENS1_30default_config_static_selectorELNS0_4arch9wavefront6targetE1EEEvT1_: ; @_ZN7rocprim17ROCPRIM_400000_NS6detail17trampoline_kernelINS0_14default_configENS1_20scan_config_selectorIsEEZZNS1_9scan_implILNS1_25lookback_scan_determinismE0ELb1ELb1ES3_N6thrust23THRUST_200600_302600_NS6detail15normal_iteratorINS9_10device_ptrIsEEEESE_sNS9_4plusIsEEsEEDaPvRmT3_T4_T5_mT6_P12ihipStream_tbENKUlT_T0_E_clISt17integral_constantIbLb0EEST_IbLb1EEEEDaSP_SQ_EUlSP_E_NS1_11comp_targetILNS1_3genE8ELNS1_11target_archE1030ELNS1_3gpuE2ELNS1_3repE0EEENS1_30default_config_static_selectorELNS0_4arch9wavefront6targetE1EEEvT1_
; %bb.0:
	.section	.rodata,"a",@progbits
	.p2align	6, 0x0
	.amdhsa_kernel _ZN7rocprim17ROCPRIM_400000_NS6detail17trampoline_kernelINS0_14default_configENS1_20scan_config_selectorIsEEZZNS1_9scan_implILNS1_25lookback_scan_determinismE0ELb1ELb1ES3_N6thrust23THRUST_200600_302600_NS6detail15normal_iteratorINS9_10device_ptrIsEEEESE_sNS9_4plusIsEEsEEDaPvRmT3_T4_T5_mT6_P12ihipStream_tbENKUlT_T0_E_clISt17integral_constantIbLb0EEST_IbLb1EEEEDaSP_SQ_EUlSP_E_NS1_11comp_targetILNS1_3genE8ELNS1_11target_archE1030ELNS1_3gpuE2ELNS1_3repE0EEENS1_30default_config_static_selectorELNS0_4arch9wavefront6targetE1EEEvT1_
		.amdhsa_group_segment_fixed_size 0
		.amdhsa_private_segment_fixed_size 0
		.amdhsa_kernarg_size 96
		.amdhsa_user_sgpr_count 6
		.amdhsa_user_sgpr_private_segment_buffer 1
		.amdhsa_user_sgpr_dispatch_ptr 0
		.amdhsa_user_sgpr_queue_ptr 0
		.amdhsa_user_sgpr_kernarg_segment_ptr 1
		.amdhsa_user_sgpr_dispatch_id 0
		.amdhsa_user_sgpr_flat_scratch_init 0
		.amdhsa_user_sgpr_kernarg_preload_length 0
		.amdhsa_user_sgpr_kernarg_preload_offset 0
		.amdhsa_user_sgpr_private_segment_size 0
		.amdhsa_uses_dynamic_stack 0
		.amdhsa_system_sgpr_private_segment_wavefront_offset 0
		.amdhsa_system_sgpr_workgroup_id_x 1
		.amdhsa_system_sgpr_workgroup_id_y 0
		.amdhsa_system_sgpr_workgroup_id_z 0
		.amdhsa_system_sgpr_workgroup_info 0
		.amdhsa_system_vgpr_workitem_id 0
		.amdhsa_next_free_vgpr 1
		.amdhsa_next_free_sgpr 0
		.amdhsa_accum_offset 4
		.amdhsa_reserve_vcc 0
		.amdhsa_reserve_flat_scratch 0
		.amdhsa_float_round_mode_32 0
		.amdhsa_float_round_mode_16_64 0
		.amdhsa_float_denorm_mode_32 3
		.amdhsa_float_denorm_mode_16_64 3
		.amdhsa_dx10_clamp 1
		.amdhsa_ieee_mode 1
		.amdhsa_fp16_overflow 0
		.amdhsa_tg_split 0
		.amdhsa_exception_fp_ieee_invalid_op 0
		.amdhsa_exception_fp_denorm_src 0
		.amdhsa_exception_fp_ieee_div_zero 0
		.amdhsa_exception_fp_ieee_overflow 0
		.amdhsa_exception_fp_ieee_underflow 0
		.amdhsa_exception_fp_ieee_inexact 0
		.amdhsa_exception_int_div_zero 0
	.end_amdhsa_kernel
	.section	.text._ZN7rocprim17ROCPRIM_400000_NS6detail17trampoline_kernelINS0_14default_configENS1_20scan_config_selectorIsEEZZNS1_9scan_implILNS1_25lookback_scan_determinismE0ELb1ELb1ES3_N6thrust23THRUST_200600_302600_NS6detail15normal_iteratorINS9_10device_ptrIsEEEESE_sNS9_4plusIsEEsEEDaPvRmT3_T4_T5_mT6_P12ihipStream_tbENKUlT_T0_E_clISt17integral_constantIbLb0EEST_IbLb1EEEEDaSP_SQ_EUlSP_E_NS1_11comp_targetILNS1_3genE8ELNS1_11target_archE1030ELNS1_3gpuE2ELNS1_3repE0EEENS1_30default_config_static_selectorELNS0_4arch9wavefront6targetE1EEEvT1_,"axG",@progbits,_ZN7rocprim17ROCPRIM_400000_NS6detail17trampoline_kernelINS0_14default_configENS1_20scan_config_selectorIsEEZZNS1_9scan_implILNS1_25lookback_scan_determinismE0ELb1ELb1ES3_N6thrust23THRUST_200600_302600_NS6detail15normal_iteratorINS9_10device_ptrIsEEEESE_sNS9_4plusIsEEsEEDaPvRmT3_T4_T5_mT6_P12ihipStream_tbENKUlT_T0_E_clISt17integral_constantIbLb0EEST_IbLb1EEEEDaSP_SQ_EUlSP_E_NS1_11comp_targetILNS1_3genE8ELNS1_11target_archE1030ELNS1_3gpuE2ELNS1_3repE0EEENS1_30default_config_static_selectorELNS0_4arch9wavefront6targetE1EEEvT1_,comdat
.Lfunc_end1257:
	.size	_ZN7rocprim17ROCPRIM_400000_NS6detail17trampoline_kernelINS0_14default_configENS1_20scan_config_selectorIsEEZZNS1_9scan_implILNS1_25lookback_scan_determinismE0ELb1ELb1ES3_N6thrust23THRUST_200600_302600_NS6detail15normal_iteratorINS9_10device_ptrIsEEEESE_sNS9_4plusIsEEsEEDaPvRmT3_T4_T5_mT6_P12ihipStream_tbENKUlT_T0_E_clISt17integral_constantIbLb0EEST_IbLb1EEEEDaSP_SQ_EUlSP_E_NS1_11comp_targetILNS1_3genE8ELNS1_11target_archE1030ELNS1_3gpuE2ELNS1_3repE0EEENS1_30default_config_static_selectorELNS0_4arch9wavefront6targetE1EEEvT1_, .Lfunc_end1257-_ZN7rocprim17ROCPRIM_400000_NS6detail17trampoline_kernelINS0_14default_configENS1_20scan_config_selectorIsEEZZNS1_9scan_implILNS1_25lookback_scan_determinismE0ELb1ELb1ES3_N6thrust23THRUST_200600_302600_NS6detail15normal_iteratorINS9_10device_ptrIsEEEESE_sNS9_4plusIsEEsEEDaPvRmT3_T4_T5_mT6_P12ihipStream_tbENKUlT_T0_E_clISt17integral_constantIbLb0EEST_IbLb1EEEEDaSP_SQ_EUlSP_E_NS1_11comp_targetILNS1_3genE8ELNS1_11target_archE1030ELNS1_3gpuE2ELNS1_3repE0EEENS1_30default_config_static_selectorELNS0_4arch9wavefront6targetE1EEEvT1_
                                        ; -- End function
	.section	.AMDGPU.csdata,"",@progbits
; Kernel info:
; codeLenInByte = 0
; NumSgprs: 4
; NumVgprs: 0
; NumAgprs: 0
; TotalNumVgprs: 0
; ScratchSize: 0
; MemoryBound: 0
; FloatMode: 240
; IeeeMode: 1
; LDSByteSize: 0 bytes/workgroup (compile time only)
; SGPRBlocks: 0
; VGPRBlocks: 0
; NumSGPRsForWavesPerEU: 4
; NumVGPRsForWavesPerEU: 1
; AccumOffset: 4
; Occupancy: 8
; WaveLimiterHint : 0
; COMPUTE_PGM_RSRC2:SCRATCH_EN: 0
; COMPUTE_PGM_RSRC2:USER_SGPR: 6
; COMPUTE_PGM_RSRC2:TRAP_HANDLER: 0
; COMPUTE_PGM_RSRC2:TGID_X_EN: 1
; COMPUTE_PGM_RSRC2:TGID_Y_EN: 0
; COMPUTE_PGM_RSRC2:TGID_Z_EN: 0
; COMPUTE_PGM_RSRC2:TIDIG_COMP_CNT: 0
; COMPUTE_PGM_RSRC3_GFX90A:ACCUM_OFFSET: 0
; COMPUTE_PGM_RSRC3_GFX90A:TG_SPLIT: 0
	.section	.text._ZN7rocprim17ROCPRIM_400000_NS6detail17trampoline_kernelINS0_14default_configENS1_20scan_config_selectorIsEEZZNS1_9scan_implILNS1_25lookback_scan_determinismE0ELb1ELb1ES3_N6thrust23THRUST_200600_302600_NS6detail15normal_iteratorINS9_10device_ptrIsEEEESE_sNS9_4plusIsEEsEEDaPvRmT3_T4_T5_mT6_P12ihipStream_tbENKUlT_T0_E_clISt17integral_constantIbLb0EEST_IbLb1EEEEDaSP_SQ_EUlSP_E0_NS1_11comp_targetILNS1_3genE0ELNS1_11target_archE4294967295ELNS1_3gpuE0ELNS1_3repE0EEENS1_30default_config_static_selectorELNS0_4arch9wavefront6targetE1EEEvT1_,"axG",@progbits,_ZN7rocprim17ROCPRIM_400000_NS6detail17trampoline_kernelINS0_14default_configENS1_20scan_config_selectorIsEEZZNS1_9scan_implILNS1_25lookback_scan_determinismE0ELb1ELb1ES3_N6thrust23THRUST_200600_302600_NS6detail15normal_iteratorINS9_10device_ptrIsEEEESE_sNS9_4plusIsEEsEEDaPvRmT3_T4_T5_mT6_P12ihipStream_tbENKUlT_T0_E_clISt17integral_constantIbLb0EEST_IbLb1EEEEDaSP_SQ_EUlSP_E0_NS1_11comp_targetILNS1_3genE0ELNS1_11target_archE4294967295ELNS1_3gpuE0ELNS1_3repE0EEENS1_30default_config_static_selectorELNS0_4arch9wavefront6targetE1EEEvT1_,comdat
	.protected	_ZN7rocprim17ROCPRIM_400000_NS6detail17trampoline_kernelINS0_14default_configENS1_20scan_config_selectorIsEEZZNS1_9scan_implILNS1_25lookback_scan_determinismE0ELb1ELb1ES3_N6thrust23THRUST_200600_302600_NS6detail15normal_iteratorINS9_10device_ptrIsEEEESE_sNS9_4plusIsEEsEEDaPvRmT3_T4_T5_mT6_P12ihipStream_tbENKUlT_T0_E_clISt17integral_constantIbLb0EEST_IbLb1EEEEDaSP_SQ_EUlSP_E0_NS1_11comp_targetILNS1_3genE0ELNS1_11target_archE4294967295ELNS1_3gpuE0ELNS1_3repE0EEENS1_30default_config_static_selectorELNS0_4arch9wavefront6targetE1EEEvT1_ ; -- Begin function _ZN7rocprim17ROCPRIM_400000_NS6detail17trampoline_kernelINS0_14default_configENS1_20scan_config_selectorIsEEZZNS1_9scan_implILNS1_25lookback_scan_determinismE0ELb1ELb1ES3_N6thrust23THRUST_200600_302600_NS6detail15normal_iteratorINS9_10device_ptrIsEEEESE_sNS9_4plusIsEEsEEDaPvRmT3_T4_T5_mT6_P12ihipStream_tbENKUlT_T0_E_clISt17integral_constantIbLb0EEST_IbLb1EEEEDaSP_SQ_EUlSP_E0_NS1_11comp_targetILNS1_3genE0ELNS1_11target_archE4294967295ELNS1_3gpuE0ELNS1_3repE0EEENS1_30default_config_static_selectorELNS0_4arch9wavefront6targetE1EEEvT1_
	.globl	_ZN7rocprim17ROCPRIM_400000_NS6detail17trampoline_kernelINS0_14default_configENS1_20scan_config_selectorIsEEZZNS1_9scan_implILNS1_25lookback_scan_determinismE0ELb1ELb1ES3_N6thrust23THRUST_200600_302600_NS6detail15normal_iteratorINS9_10device_ptrIsEEEESE_sNS9_4plusIsEEsEEDaPvRmT3_T4_T5_mT6_P12ihipStream_tbENKUlT_T0_E_clISt17integral_constantIbLb0EEST_IbLb1EEEEDaSP_SQ_EUlSP_E0_NS1_11comp_targetILNS1_3genE0ELNS1_11target_archE4294967295ELNS1_3gpuE0ELNS1_3repE0EEENS1_30default_config_static_selectorELNS0_4arch9wavefront6targetE1EEEvT1_
	.p2align	8
	.type	_ZN7rocprim17ROCPRIM_400000_NS6detail17trampoline_kernelINS0_14default_configENS1_20scan_config_selectorIsEEZZNS1_9scan_implILNS1_25lookback_scan_determinismE0ELb1ELb1ES3_N6thrust23THRUST_200600_302600_NS6detail15normal_iteratorINS9_10device_ptrIsEEEESE_sNS9_4plusIsEEsEEDaPvRmT3_T4_T5_mT6_P12ihipStream_tbENKUlT_T0_E_clISt17integral_constantIbLb0EEST_IbLb1EEEEDaSP_SQ_EUlSP_E0_NS1_11comp_targetILNS1_3genE0ELNS1_11target_archE4294967295ELNS1_3gpuE0ELNS1_3repE0EEENS1_30default_config_static_selectorELNS0_4arch9wavefront6targetE1EEEvT1_,@function
_ZN7rocprim17ROCPRIM_400000_NS6detail17trampoline_kernelINS0_14default_configENS1_20scan_config_selectorIsEEZZNS1_9scan_implILNS1_25lookback_scan_determinismE0ELb1ELb1ES3_N6thrust23THRUST_200600_302600_NS6detail15normal_iteratorINS9_10device_ptrIsEEEESE_sNS9_4plusIsEEsEEDaPvRmT3_T4_T5_mT6_P12ihipStream_tbENKUlT_T0_E_clISt17integral_constantIbLb0EEST_IbLb1EEEEDaSP_SQ_EUlSP_E0_NS1_11comp_targetILNS1_3genE0ELNS1_11target_archE4294967295ELNS1_3gpuE0ELNS1_3repE0EEENS1_30default_config_static_selectorELNS0_4arch9wavefront6targetE1EEEvT1_: ; @_ZN7rocprim17ROCPRIM_400000_NS6detail17trampoline_kernelINS0_14default_configENS1_20scan_config_selectorIsEEZZNS1_9scan_implILNS1_25lookback_scan_determinismE0ELb1ELb1ES3_N6thrust23THRUST_200600_302600_NS6detail15normal_iteratorINS9_10device_ptrIsEEEESE_sNS9_4plusIsEEsEEDaPvRmT3_T4_T5_mT6_P12ihipStream_tbENKUlT_T0_E_clISt17integral_constantIbLb0EEST_IbLb1EEEEDaSP_SQ_EUlSP_E0_NS1_11comp_targetILNS1_3genE0ELNS1_11target_archE4294967295ELNS1_3gpuE0ELNS1_3repE0EEENS1_30default_config_static_selectorELNS0_4arch9wavefront6targetE1EEEvT1_
; %bb.0:
	.section	.rodata,"a",@progbits
	.p2align	6, 0x0
	.amdhsa_kernel _ZN7rocprim17ROCPRIM_400000_NS6detail17trampoline_kernelINS0_14default_configENS1_20scan_config_selectorIsEEZZNS1_9scan_implILNS1_25lookback_scan_determinismE0ELb1ELb1ES3_N6thrust23THRUST_200600_302600_NS6detail15normal_iteratorINS9_10device_ptrIsEEEESE_sNS9_4plusIsEEsEEDaPvRmT3_T4_T5_mT6_P12ihipStream_tbENKUlT_T0_E_clISt17integral_constantIbLb0EEST_IbLb1EEEEDaSP_SQ_EUlSP_E0_NS1_11comp_targetILNS1_3genE0ELNS1_11target_archE4294967295ELNS1_3gpuE0ELNS1_3repE0EEENS1_30default_config_static_selectorELNS0_4arch9wavefront6targetE1EEEvT1_
		.amdhsa_group_segment_fixed_size 0
		.amdhsa_private_segment_fixed_size 0
		.amdhsa_kernarg_size 32
		.amdhsa_user_sgpr_count 6
		.amdhsa_user_sgpr_private_segment_buffer 1
		.amdhsa_user_sgpr_dispatch_ptr 0
		.amdhsa_user_sgpr_queue_ptr 0
		.amdhsa_user_sgpr_kernarg_segment_ptr 1
		.amdhsa_user_sgpr_dispatch_id 0
		.amdhsa_user_sgpr_flat_scratch_init 0
		.amdhsa_user_sgpr_kernarg_preload_length 0
		.amdhsa_user_sgpr_kernarg_preload_offset 0
		.amdhsa_user_sgpr_private_segment_size 0
		.amdhsa_uses_dynamic_stack 0
		.amdhsa_system_sgpr_private_segment_wavefront_offset 0
		.amdhsa_system_sgpr_workgroup_id_x 1
		.amdhsa_system_sgpr_workgroup_id_y 0
		.amdhsa_system_sgpr_workgroup_id_z 0
		.amdhsa_system_sgpr_workgroup_info 0
		.amdhsa_system_vgpr_workitem_id 0
		.amdhsa_next_free_vgpr 1
		.amdhsa_next_free_sgpr 0
		.amdhsa_accum_offset 4
		.amdhsa_reserve_vcc 0
		.amdhsa_reserve_flat_scratch 0
		.amdhsa_float_round_mode_32 0
		.amdhsa_float_round_mode_16_64 0
		.amdhsa_float_denorm_mode_32 3
		.amdhsa_float_denorm_mode_16_64 3
		.amdhsa_dx10_clamp 1
		.amdhsa_ieee_mode 1
		.amdhsa_fp16_overflow 0
		.amdhsa_tg_split 0
		.amdhsa_exception_fp_ieee_invalid_op 0
		.amdhsa_exception_fp_denorm_src 0
		.amdhsa_exception_fp_ieee_div_zero 0
		.amdhsa_exception_fp_ieee_overflow 0
		.amdhsa_exception_fp_ieee_underflow 0
		.amdhsa_exception_fp_ieee_inexact 0
		.amdhsa_exception_int_div_zero 0
	.end_amdhsa_kernel
	.section	.text._ZN7rocprim17ROCPRIM_400000_NS6detail17trampoline_kernelINS0_14default_configENS1_20scan_config_selectorIsEEZZNS1_9scan_implILNS1_25lookback_scan_determinismE0ELb1ELb1ES3_N6thrust23THRUST_200600_302600_NS6detail15normal_iteratorINS9_10device_ptrIsEEEESE_sNS9_4plusIsEEsEEDaPvRmT3_T4_T5_mT6_P12ihipStream_tbENKUlT_T0_E_clISt17integral_constantIbLb0EEST_IbLb1EEEEDaSP_SQ_EUlSP_E0_NS1_11comp_targetILNS1_3genE0ELNS1_11target_archE4294967295ELNS1_3gpuE0ELNS1_3repE0EEENS1_30default_config_static_selectorELNS0_4arch9wavefront6targetE1EEEvT1_,"axG",@progbits,_ZN7rocprim17ROCPRIM_400000_NS6detail17trampoline_kernelINS0_14default_configENS1_20scan_config_selectorIsEEZZNS1_9scan_implILNS1_25lookback_scan_determinismE0ELb1ELb1ES3_N6thrust23THRUST_200600_302600_NS6detail15normal_iteratorINS9_10device_ptrIsEEEESE_sNS9_4plusIsEEsEEDaPvRmT3_T4_T5_mT6_P12ihipStream_tbENKUlT_T0_E_clISt17integral_constantIbLb0EEST_IbLb1EEEEDaSP_SQ_EUlSP_E0_NS1_11comp_targetILNS1_3genE0ELNS1_11target_archE4294967295ELNS1_3gpuE0ELNS1_3repE0EEENS1_30default_config_static_selectorELNS0_4arch9wavefront6targetE1EEEvT1_,comdat
.Lfunc_end1258:
	.size	_ZN7rocprim17ROCPRIM_400000_NS6detail17trampoline_kernelINS0_14default_configENS1_20scan_config_selectorIsEEZZNS1_9scan_implILNS1_25lookback_scan_determinismE0ELb1ELb1ES3_N6thrust23THRUST_200600_302600_NS6detail15normal_iteratorINS9_10device_ptrIsEEEESE_sNS9_4plusIsEEsEEDaPvRmT3_T4_T5_mT6_P12ihipStream_tbENKUlT_T0_E_clISt17integral_constantIbLb0EEST_IbLb1EEEEDaSP_SQ_EUlSP_E0_NS1_11comp_targetILNS1_3genE0ELNS1_11target_archE4294967295ELNS1_3gpuE0ELNS1_3repE0EEENS1_30default_config_static_selectorELNS0_4arch9wavefront6targetE1EEEvT1_, .Lfunc_end1258-_ZN7rocprim17ROCPRIM_400000_NS6detail17trampoline_kernelINS0_14default_configENS1_20scan_config_selectorIsEEZZNS1_9scan_implILNS1_25lookback_scan_determinismE0ELb1ELb1ES3_N6thrust23THRUST_200600_302600_NS6detail15normal_iteratorINS9_10device_ptrIsEEEESE_sNS9_4plusIsEEsEEDaPvRmT3_T4_T5_mT6_P12ihipStream_tbENKUlT_T0_E_clISt17integral_constantIbLb0EEST_IbLb1EEEEDaSP_SQ_EUlSP_E0_NS1_11comp_targetILNS1_3genE0ELNS1_11target_archE4294967295ELNS1_3gpuE0ELNS1_3repE0EEENS1_30default_config_static_selectorELNS0_4arch9wavefront6targetE1EEEvT1_
                                        ; -- End function
	.section	.AMDGPU.csdata,"",@progbits
; Kernel info:
; codeLenInByte = 0
; NumSgprs: 4
; NumVgprs: 0
; NumAgprs: 0
; TotalNumVgprs: 0
; ScratchSize: 0
; MemoryBound: 0
; FloatMode: 240
; IeeeMode: 1
; LDSByteSize: 0 bytes/workgroup (compile time only)
; SGPRBlocks: 0
; VGPRBlocks: 0
; NumSGPRsForWavesPerEU: 4
; NumVGPRsForWavesPerEU: 1
; AccumOffset: 4
; Occupancy: 8
; WaveLimiterHint : 0
; COMPUTE_PGM_RSRC2:SCRATCH_EN: 0
; COMPUTE_PGM_RSRC2:USER_SGPR: 6
; COMPUTE_PGM_RSRC2:TRAP_HANDLER: 0
; COMPUTE_PGM_RSRC2:TGID_X_EN: 1
; COMPUTE_PGM_RSRC2:TGID_Y_EN: 0
; COMPUTE_PGM_RSRC2:TGID_Z_EN: 0
; COMPUTE_PGM_RSRC2:TIDIG_COMP_CNT: 0
; COMPUTE_PGM_RSRC3_GFX90A:ACCUM_OFFSET: 0
; COMPUTE_PGM_RSRC3_GFX90A:TG_SPLIT: 0
	.section	.text._ZN7rocprim17ROCPRIM_400000_NS6detail17trampoline_kernelINS0_14default_configENS1_20scan_config_selectorIsEEZZNS1_9scan_implILNS1_25lookback_scan_determinismE0ELb1ELb1ES3_N6thrust23THRUST_200600_302600_NS6detail15normal_iteratorINS9_10device_ptrIsEEEESE_sNS9_4plusIsEEsEEDaPvRmT3_T4_T5_mT6_P12ihipStream_tbENKUlT_T0_E_clISt17integral_constantIbLb0EEST_IbLb1EEEEDaSP_SQ_EUlSP_E0_NS1_11comp_targetILNS1_3genE5ELNS1_11target_archE942ELNS1_3gpuE9ELNS1_3repE0EEENS1_30default_config_static_selectorELNS0_4arch9wavefront6targetE1EEEvT1_,"axG",@progbits,_ZN7rocprim17ROCPRIM_400000_NS6detail17trampoline_kernelINS0_14default_configENS1_20scan_config_selectorIsEEZZNS1_9scan_implILNS1_25lookback_scan_determinismE0ELb1ELb1ES3_N6thrust23THRUST_200600_302600_NS6detail15normal_iteratorINS9_10device_ptrIsEEEESE_sNS9_4plusIsEEsEEDaPvRmT3_T4_T5_mT6_P12ihipStream_tbENKUlT_T0_E_clISt17integral_constantIbLb0EEST_IbLb1EEEEDaSP_SQ_EUlSP_E0_NS1_11comp_targetILNS1_3genE5ELNS1_11target_archE942ELNS1_3gpuE9ELNS1_3repE0EEENS1_30default_config_static_selectorELNS0_4arch9wavefront6targetE1EEEvT1_,comdat
	.protected	_ZN7rocprim17ROCPRIM_400000_NS6detail17trampoline_kernelINS0_14default_configENS1_20scan_config_selectorIsEEZZNS1_9scan_implILNS1_25lookback_scan_determinismE0ELb1ELb1ES3_N6thrust23THRUST_200600_302600_NS6detail15normal_iteratorINS9_10device_ptrIsEEEESE_sNS9_4plusIsEEsEEDaPvRmT3_T4_T5_mT6_P12ihipStream_tbENKUlT_T0_E_clISt17integral_constantIbLb0EEST_IbLb1EEEEDaSP_SQ_EUlSP_E0_NS1_11comp_targetILNS1_3genE5ELNS1_11target_archE942ELNS1_3gpuE9ELNS1_3repE0EEENS1_30default_config_static_selectorELNS0_4arch9wavefront6targetE1EEEvT1_ ; -- Begin function _ZN7rocprim17ROCPRIM_400000_NS6detail17trampoline_kernelINS0_14default_configENS1_20scan_config_selectorIsEEZZNS1_9scan_implILNS1_25lookback_scan_determinismE0ELb1ELb1ES3_N6thrust23THRUST_200600_302600_NS6detail15normal_iteratorINS9_10device_ptrIsEEEESE_sNS9_4plusIsEEsEEDaPvRmT3_T4_T5_mT6_P12ihipStream_tbENKUlT_T0_E_clISt17integral_constantIbLb0EEST_IbLb1EEEEDaSP_SQ_EUlSP_E0_NS1_11comp_targetILNS1_3genE5ELNS1_11target_archE942ELNS1_3gpuE9ELNS1_3repE0EEENS1_30default_config_static_selectorELNS0_4arch9wavefront6targetE1EEEvT1_
	.globl	_ZN7rocprim17ROCPRIM_400000_NS6detail17trampoline_kernelINS0_14default_configENS1_20scan_config_selectorIsEEZZNS1_9scan_implILNS1_25lookback_scan_determinismE0ELb1ELb1ES3_N6thrust23THRUST_200600_302600_NS6detail15normal_iteratorINS9_10device_ptrIsEEEESE_sNS9_4plusIsEEsEEDaPvRmT3_T4_T5_mT6_P12ihipStream_tbENKUlT_T0_E_clISt17integral_constantIbLb0EEST_IbLb1EEEEDaSP_SQ_EUlSP_E0_NS1_11comp_targetILNS1_3genE5ELNS1_11target_archE942ELNS1_3gpuE9ELNS1_3repE0EEENS1_30default_config_static_selectorELNS0_4arch9wavefront6targetE1EEEvT1_
	.p2align	8
	.type	_ZN7rocprim17ROCPRIM_400000_NS6detail17trampoline_kernelINS0_14default_configENS1_20scan_config_selectorIsEEZZNS1_9scan_implILNS1_25lookback_scan_determinismE0ELb1ELb1ES3_N6thrust23THRUST_200600_302600_NS6detail15normal_iteratorINS9_10device_ptrIsEEEESE_sNS9_4plusIsEEsEEDaPvRmT3_T4_T5_mT6_P12ihipStream_tbENKUlT_T0_E_clISt17integral_constantIbLb0EEST_IbLb1EEEEDaSP_SQ_EUlSP_E0_NS1_11comp_targetILNS1_3genE5ELNS1_11target_archE942ELNS1_3gpuE9ELNS1_3repE0EEENS1_30default_config_static_selectorELNS0_4arch9wavefront6targetE1EEEvT1_,@function
_ZN7rocprim17ROCPRIM_400000_NS6detail17trampoline_kernelINS0_14default_configENS1_20scan_config_selectorIsEEZZNS1_9scan_implILNS1_25lookback_scan_determinismE0ELb1ELb1ES3_N6thrust23THRUST_200600_302600_NS6detail15normal_iteratorINS9_10device_ptrIsEEEESE_sNS9_4plusIsEEsEEDaPvRmT3_T4_T5_mT6_P12ihipStream_tbENKUlT_T0_E_clISt17integral_constantIbLb0EEST_IbLb1EEEEDaSP_SQ_EUlSP_E0_NS1_11comp_targetILNS1_3genE5ELNS1_11target_archE942ELNS1_3gpuE9ELNS1_3repE0EEENS1_30default_config_static_selectorELNS0_4arch9wavefront6targetE1EEEvT1_: ; @_ZN7rocprim17ROCPRIM_400000_NS6detail17trampoline_kernelINS0_14default_configENS1_20scan_config_selectorIsEEZZNS1_9scan_implILNS1_25lookback_scan_determinismE0ELb1ELb1ES3_N6thrust23THRUST_200600_302600_NS6detail15normal_iteratorINS9_10device_ptrIsEEEESE_sNS9_4plusIsEEsEEDaPvRmT3_T4_T5_mT6_P12ihipStream_tbENKUlT_T0_E_clISt17integral_constantIbLb0EEST_IbLb1EEEEDaSP_SQ_EUlSP_E0_NS1_11comp_targetILNS1_3genE5ELNS1_11target_archE942ELNS1_3gpuE9ELNS1_3repE0EEENS1_30default_config_static_selectorELNS0_4arch9wavefront6targetE1EEEvT1_
; %bb.0:
	.section	.rodata,"a",@progbits
	.p2align	6, 0x0
	.amdhsa_kernel _ZN7rocprim17ROCPRIM_400000_NS6detail17trampoline_kernelINS0_14default_configENS1_20scan_config_selectorIsEEZZNS1_9scan_implILNS1_25lookback_scan_determinismE0ELb1ELb1ES3_N6thrust23THRUST_200600_302600_NS6detail15normal_iteratorINS9_10device_ptrIsEEEESE_sNS9_4plusIsEEsEEDaPvRmT3_T4_T5_mT6_P12ihipStream_tbENKUlT_T0_E_clISt17integral_constantIbLb0EEST_IbLb1EEEEDaSP_SQ_EUlSP_E0_NS1_11comp_targetILNS1_3genE5ELNS1_11target_archE942ELNS1_3gpuE9ELNS1_3repE0EEENS1_30default_config_static_selectorELNS0_4arch9wavefront6targetE1EEEvT1_
		.amdhsa_group_segment_fixed_size 0
		.amdhsa_private_segment_fixed_size 0
		.amdhsa_kernarg_size 32
		.amdhsa_user_sgpr_count 6
		.amdhsa_user_sgpr_private_segment_buffer 1
		.amdhsa_user_sgpr_dispatch_ptr 0
		.amdhsa_user_sgpr_queue_ptr 0
		.amdhsa_user_sgpr_kernarg_segment_ptr 1
		.amdhsa_user_sgpr_dispatch_id 0
		.amdhsa_user_sgpr_flat_scratch_init 0
		.amdhsa_user_sgpr_kernarg_preload_length 0
		.amdhsa_user_sgpr_kernarg_preload_offset 0
		.amdhsa_user_sgpr_private_segment_size 0
		.amdhsa_uses_dynamic_stack 0
		.amdhsa_system_sgpr_private_segment_wavefront_offset 0
		.amdhsa_system_sgpr_workgroup_id_x 1
		.amdhsa_system_sgpr_workgroup_id_y 0
		.amdhsa_system_sgpr_workgroup_id_z 0
		.amdhsa_system_sgpr_workgroup_info 0
		.amdhsa_system_vgpr_workitem_id 0
		.amdhsa_next_free_vgpr 1
		.amdhsa_next_free_sgpr 0
		.amdhsa_accum_offset 4
		.amdhsa_reserve_vcc 0
		.amdhsa_reserve_flat_scratch 0
		.amdhsa_float_round_mode_32 0
		.amdhsa_float_round_mode_16_64 0
		.amdhsa_float_denorm_mode_32 3
		.amdhsa_float_denorm_mode_16_64 3
		.amdhsa_dx10_clamp 1
		.amdhsa_ieee_mode 1
		.amdhsa_fp16_overflow 0
		.amdhsa_tg_split 0
		.amdhsa_exception_fp_ieee_invalid_op 0
		.amdhsa_exception_fp_denorm_src 0
		.amdhsa_exception_fp_ieee_div_zero 0
		.amdhsa_exception_fp_ieee_overflow 0
		.amdhsa_exception_fp_ieee_underflow 0
		.amdhsa_exception_fp_ieee_inexact 0
		.amdhsa_exception_int_div_zero 0
	.end_amdhsa_kernel
	.section	.text._ZN7rocprim17ROCPRIM_400000_NS6detail17trampoline_kernelINS0_14default_configENS1_20scan_config_selectorIsEEZZNS1_9scan_implILNS1_25lookback_scan_determinismE0ELb1ELb1ES3_N6thrust23THRUST_200600_302600_NS6detail15normal_iteratorINS9_10device_ptrIsEEEESE_sNS9_4plusIsEEsEEDaPvRmT3_T4_T5_mT6_P12ihipStream_tbENKUlT_T0_E_clISt17integral_constantIbLb0EEST_IbLb1EEEEDaSP_SQ_EUlSP_E0_NS1_11comp_targetILNS1_3genE5ELNS1_11target_archE942ELNS1_3gpuE9ELNS1_3repE0EEENS1_30default_config_static_selectorELNS0_4arch9wavefront6targetE1EEEvT1_,"axG",@progbits,_ZN7rocprim17ROCPRIM_400000_NS6detail17trampoline_kernelINS0_14default_configENS1_20scan_config_selectorIsEEZZNS1_9scan_implILNS1_25lookback_scan_determinismE0ELb1ELb1ES3_N6thrust23THRUST_200600_302600_NS6detail15normal_iteratorINS9_10device_ptrIsEEEESE_sNS9_4plusIsEEsEEDaPvRmT3_T4_T5_mT6_P12ihipStream_tbENKUlT_T0_E_clISt17integral_constantIbLb0EEST_IbLb1EEEEDaSP_SQ_EUlSP_E0_NS1_11comp_targetILNS1_3genE5ELNS1_11target_archE942ELNS1_3gpuE9ELNS1_3repE0EEENS1_30default_config_static_selectorELNS0_4arch9wavefront6targetE1EEEvT1_,comdat
.Lfunc_end1259:
	.size	_ZN7rocprim17ROCPRIM_400000_NS6detail17trampoline_kernelINS0_14default_configENS1_20scan_config_selectorIsEEZZNS1_9scan_implILNS1_25lookback_scan_determinismE0ELb1ELb1ES3_N6thrust23THRUST_200600_302600_NS6detail15normal_iteratorINS9_10device_ptrIsEEEESE_sNS9_4plusIsEEsEEDaPvRmT3_T4_T5_mT6_P12ihipStream_tbENKUlT_T0_E_clISt17integral_constantIbLb0EEST_IbLb1EEEEDaSP_SQ_EUlSP_E0_NS1_11comp_targetILNS1_3genE5ELNS1_11target_archE942ELNS1_3gpuE9ELNS1_3repE0EEENS1_30default_config_static_selectorELNS0_4arch9wavefront6targetE1EEEvT1_, .Lfunc_end1259-_ZN7rocprim17ROCPRIM_400000_NS6detail17trampoline_kernelINS0_14default_configENS1_20scan_config_selectorIsEEZZNS1_9scan_implILNS1_25lookback_scan_determinismE0ELb1ELb1ES3_N6thrust23THRUST_200600_302600_NS6detail15normal_iteratorINS9_10device_ptrIsEEEESE_sNS9_4plusIsEEsEEDaPvRmT3_T4_T5_mT6_P12ihipStream_tbENKUlT_T0_E_clISt17integral_constantIbLb0EEST_IbLb1EEEEDaSP_SQ_EUlSP_E0_NS1_11comp_targetILNS1_3genE5ELNS1_11target_archE942ELNS1_3gpuE9ELNS1_3repE0EEENS1_30default_config_static_selectorELNS0_4arch9wavefront6targetE1EEEvT1_
                                        ; -- End function
	.section	.AMDGPU.csdata,"",@progbits
; Kernel info:
; codeLenInByte = 0
; NumSgprs: 4
; NumVgprs: 0
; NumAgprs: 0
; TotalNumVgprs: 0
; ScratchSize: 0
; MemoryBound: 0
; FloatMode: 240
; IeeeMode: 1
; LDSByteSize: 0 bytes/workgroup (compile time only)
; SGPRBlocks: 0
; VGPRBlocks: 0
; NumSGPRsForWavesPerEU: 4
; NumVGPRsForWavesPerEU: 1
; AccumOffset: 4
; Occupancy: 8
; WaveLimiterHint : 0
; COMPUTE_PGM_RSRC2:SCRATCH_EN: 0
; COMPUTE_PGM_RSRC2:USER_SGPR: 6
; COMPUTE_PGM_RSRC2:TRAP_HANDLER: 0
; COMPUTE_PGM_RSRC2:TGID_X_EN: 1
; COMPUTE_PGM_RSRC2:TGID_Y_EN: 0
; COMPUTE_PGM_RSRC2:TGID_Z_EN: 0
; COMPUTE_PGM_RSRC2:TIDIG_COMP_CNT: 0
; COMPUTE_PGM_RSRC3_GFX90A:ACCUM_OFFSET: 0
; COMPUTE_PGM_RSRC3_GFX90A:TG_SPLIT: 0
	.section	.text._ZN7rocprim17ROCPRIM_400000_NS6detail17trampoline_kernelINS0_14default_configENS1_20scan_config_selectorIsEEZZNS1_9scan_implILNS1_25lookback_scan_determinismE0ELb1ELb1ES3_N6thrust23THRUST_200600_302600_NS6detail15normal_iteratorINS9_10device_ptrIsEEEESE_sNS9_4plusIsEEsEEDaPvRmT3_T4_T5_mT6_P12ihipStream_tbENKUlT_T0_E_clISt17integral_constantIbLb0EEST_IbLb1EEEEDaSP_SQ_EUlSP_E0_NS1_11comp_targetILNS1_3genE4ELNS1_11target_archE910ELNS1_3gpuE8ELNS1_3repE0EEENS1_30default_config_static_selectorELNS0_4arch9wavefront6targetE1EEEvT1_,"axG",@progbits,_ZN7rocprim17ROCPRIM_400000_NS6detail17trampoline_kernelINS0_14default_configENS1_20scan_config_selectorIsEEZZNS1_9scan_implILNS1_25lookback_scan_determinismE0ELb1ELb1ES3_N6thrust23THRUST_200600_302600_NS6detail15normal_iteratorINS9_10device_ptrIsEEEESE_sNS9_4plusIsEEsEEDaPvRmT3_T4_T5_mT6_P12ihipStream_tbENKUlT_T0_E_clISt17integral_constantIbLb0EEST_IbLb1EEEEDaSP_SQ_EUlSP_E0_NS1_11comp_targetILNS1_3genE4ELNS1_11target_archE910ELNS1_3gpuE8ELNS1_3repE0EEENS1_30default_config_static_selectorELNS0_4arch9wavefront6targetE1EEEvT1_,comdat
	.protected	_ZN7rocprim17ROCPRIM_400000_NS6detail17trampoline_kernelINS0_14default_configENS1_20scan_config_selectorIsEEZZNS1_9scan_implILNS1_25lookback_scan_determinismE0ELb1ELb1ES3_N6thrust23THRUST_200600_302600_NS6detail15normal_iteratorINS9_10device_ptrIsEEEESE_sNS9_4plusIsEEsEEDaPvRmT3_T4_T5_mT6_P12ihipStream_tbENKUlT_T0_E_clISt17integral_constantIbLb0EEST_IbLb1EEEEDaSP_SQ_EUlSP_E0_NS1_11comp_targetILNS1_3genE4ELNS1_11target_archE910ELNS1_3gpuE8ELNS1_3repE0EEENS1_30default_config_static_selectorELNS0_4arch9wavefront6targetE1EEEvT1_ ; -- Begin function _ZN7rocprim17ROCPRIM_400000_NS6detail17trampoline_kernelINS0_14default_configENS1_20scan_config_selectorIsEEZZNS1_9scan_implILNS1_25lookback_scan_determinismE0ELb1ELb1ES3_N6thrust23THRUST_200600_302600_NS6detail15normal_iteratorINS9_10device_ptrIsEEEESE_sNS9_4plusIsEEsEEDaPvRmT3_T4_T5_mT6_P12ihipStream_tbENKUlT_T0_E_clISt17integral_constantIbLb0EEST_IbLb1EEEEDaSP_SQ_EUlSP_E0_NS1_11comp_targetILNS1_3genE4ELNS1_11target_archE910ELNS1_3gpuE8ELNS1_3repE0EEENS1_30default_config_static_selectorELNS0_4arch9wavefront6targetE1EEEvT1_
	.globl	_ZN7rocprim17ROCPRIM_400000_NS6detail17trampoline_kernelINS0_14default_configENS1_20scan_config_selectorIsEEZZNS1_9scan_implILNS1_25lookback_scan_determinismE0ELb1ELb1ES3_N6thrust23THRUST_200600_302600_NS6detail15normal_iteratorINS9_10device_ptrIsEEEESE_sNS9_4plusIsEEsEEDaPvRmT3_T4_T5_mT6_P12ihipStream_tbENKUlT_T0_E_clISt17integral_constantIbLb0EEST_IbLb1EEEEDaSP_SQ_EUlSP_E0_NS1_11comp_targetILNS1_3genE4ELNS1_11target_archE910ELNS1_3gpuE8ELNS1_3repE0EEENS1_30default_config_static_selectorELNS0_4arch9wavefront6targetE1EEEvT1_
	.p2align	8
	.type	_ZN7rocprim17ROCPRIM_400000_NS6detail17trampoline_kernelINS0_14default_configENS1_20scan_config_selectorIsEEZZNS1_9scan_implILNS1_25lookback_scan_determinismE0ELb1ELb1ES3_N6thrust23THRUST_200600_302600_NS6detail15normal_iteratorINS9_10device_ptrIsEEEESE_sNS9_4plusIsEEsEEDaPvRmT3_T4_T5_mT6_P12ihipStream_tbENKUlT_T0_E_clISt17integral_constantIbLb0EEST_IbLb1EEEEDaSP_SQ_EUlSP_E0_NS1_11comp_targetILNS1_3genE4ELNS1_11target_archE910ELNS1_3gpuE8ELNS1_3repE0EEENS1_30default_config_static_selectorELNS0_4arch9wavefront6targetE1EEEvT1_,@function
_ZN7rocprim17ROCPRIM_400000_NS6detail17trampoline_kernelINS0_14default_configENS1_20scan_config_selectorIsEEZZNS1_9scan_implILNS1_25lookback_scan_determinismE0ELb1ELb1ES3_N6thrust23THRUST_200600_302600_NS6detail15normal_iteratorINS9_10device_ptrIsEEEESE_sNS9_4plusIsEEsEEDaPvRmT3_T4_T5_mT6_P12ihipStream_tbENKUlT_T0_E_clISt17integral_constantIbLb0EEST_IbLb1EEEEDaSP_SQ_EUlSP_E0_NS1_11comp_targetILNS1_3genE4ELNS1_11target_archE910ELNS1_3gpuE8ELNS1_3repE0EEENS1_30default_config_static_selectorELNS0_4arch9wavefront6targetE1EEEvT1_: ; @_ZN7rocprim17ROCPRIM_400000_NS6detail17trampoline_kernelINS0_14default_configENS1_20scan_config_selectorIsEEZZNS1_9scan_implILNS1_25lookback_scan_determinismE0ELb1ELb1ES3_N6thrust23THRUST_200600_302600_NS6detail15normal_iteratorINS9_10device_ptrIsEEEESE_sNS9_4plusIsEEsEEDaPvRmT3_T4_T5_mT6_P12ihipStream_tbENKUlT_T0_E_clISt17integral_constantIbLb0EEST_IbLb1EEEEDaSP_SQ_EUlSP_E0_NS1_11comp_targetILNS1_3genE4ELNS1_11target_archE910ELNS1_3gpuE8ELNS1_3repE0EEENS1_30default_config_static_selectorELNS0_4arch9wavefront6targetE1EEEvT1_
; %bb.0:
	s_load_dwordx4 s[52:55], s[4:5], 0x0
	v_mov_b32_e32 v1, 0
	v_lshlrev_b32_e32 v14, 1, v0
	s_waitcnt lgkmcnt(0)
	global_load_ushort v2, v1, s[52:53]
	v_cmp_gt_u32_e32 vcc, s54, v0
	s_waitcnt vmcnt(0)
	v_mov_b32_e32 v3, v2
	s_and_saveexec_b64 s[0:1], vcc
	s_cbranch_execz .LBB1260_2
; %bb.1:
	global_load_ushort v3, v14, s[52:53]
.LBB1260_2:
	s_or_b64 exec, exec, s[0:1]
	v_or_b32_e32 v1, 64, v0
	v_cmp_gt_u32_e64 s[0:1], s54, v1
	v_mov_b32_e32 v4, v2
	s_and_saveexec_b64 s[2:3], s[0:1]
	s_cbranch_execz .LBB1260_4
; %bb.3:
	global_load_ushort v4, v14, s[52:53] offset:128
.LBB1260_4:
	s_or_b64 exec, exec, s[2:3]
	v_or_b32_e32 v1, 0x80, v0
	v_cmp_gt_u32_e64 s[2:3], s54, v1
	v_mov_b32_e32 v5, v2
	s_and_saveexec_b64 s[6:7], s[2:3]
	s_cbranch_execz .LBB1260_6
; %bb.5:
	global_load_ushort v5, v14, s[52:53] offset:256
.LBB1260_6:
	;; [unrolled: 9-line block ×22, first 2 shown]
	s_or_b64 exec, exec, s[46:47]
	v_or_b32_e32 v1, 0x5c0, v0
	v_cmp_gt_u32_e64 s[46:47], s54, v1
	v_cmp_le_u32_e64 s[50:51], s54, v1
	s_and_saveexec_b64 s[54:55], s[50:51]
	s_xor_b64 s[50:51], exec, s[54:55]
; %bb.47:
	v_mov_b32_e32 v1, 0
; %bb.48:
	s_or_saveexec_b64 s[50:51], s[50:51]
	s_load_dword s33, s[4:5], 0x10
	s_load_dwordx2 s[54:55], s[4:5], 0x18
	s_xor_b64 exec, exec, s[50:51]
	s_cbranch_execz .LBB1260_50
; %bb.49:
	global_load_ushort v2, v14, s[52:53] offset:2944
	v_mov_b32_e32 v1, 0
.LBB1260_50:
	s_or_b64 exec, exec, s[50:51]
	s_waitcnt vmcnt(0)
	ds_write_b16 v14, v3
	ds_write_b16 v14, v4 offset:128
	ds_write_b16 v14, v5 offset:256
	;; [unrolled: 1-line block ×23, first 2 shown]
	v_mad_u32_u24 v2, v0, 46, v14
	s_waitcnt lgkmcnt(0)
	; wave barrier
	s_waitcnt lgkmcnt(0)
	ds_read_b128 v[10:13], v2
	ds_read_b128 v[6:9], v2 offset:16
	ds_read_b128 v[2:5], v2 offset:32
	v_mul_u32_u24_e32 v15, 46, v0
	s_waitcnt lgkmcnt(0)
	v_add_u16_sdwa v16, v10, v10 dst_sel:DWORD dst_unused:UNUSED_PAD src0_sel:WORD_1 src1_sel:DWORD
	v_add_u16_e32 v16, v16, v11
	v_add_u16_sdwa v16, v16, v11 dst_sel:DWORD dst_unused:UNUSED_PAD src0_sel:DWORD src1_sel:WORD_1
	v_add_u16_e32 v16, v16, v12
	v_add_u16_sdwa v16, v16, v12 dst_sel:DWORD dst_unused:UNUSED_PAD src0_sel:DWORD src1_sel:WORD_1
	;; [unrolled: 2-line block ×11, first 2 shown]
	v_mbcnt_lo_u32_b32 v16, -1, 0
	v_mbcnt_hi_u32_b32 v16, -1, v16
	v_and_b32_e32 v18, 15, v16
	v_mov_b32_dpp v19, v17 row_shr:1 row_mask:0xf bank_mask:0xf
	v_cmp_ne_u32_e64 s[4:5], 0, v18
	v_cndmask_b32_e64 v19, 0, v19, s[4:5]
	v_add_u16_e32 v17, v19, v17
	v_cmp_lt_u32_e64 s[4:5], 1, v18
	; wave barrier
	s_nop 0
	v_mov_b32_dpp v19, v17 row_shr:2 row_mask:0xf bank_mask:0xf
	v_cndmask_b32_e64 v19, 0, v19, s[4:5]
	v_add_u16_e32 v17, v17, v19
	v_cmp_lt_u32_e64 s[4:5], 3, v18
	s_nop 0
	v_mov_b32_dpp v19, v17 row_shr:4 row_mask:0xf bank_mask:0xf
	v_cndmask_b32_e64 v19, 0, v19, s[4:5]
	v_add_u16_e32 v17, v17, v19
	v_cmp_lt_u32_e64 s[4:5], 7, v18
	s_nop 0
	v_mov_b32_dpp v19, v17 row_shr:8 row_mask:0xf bank_mask:0xf
	v_cndmask_b32_e64 v18, 0, v19, s[4:5]
	v_add_u16_e32 v17, v17, v18
	v_and_b32_e32 v19, 16, v16
	v_cmp_ne_u32_e64 s[4:5], 0, v19
	v_mov_b32_dpp v18, v17 row_bcast:15 row_mask:0xf bank_mask:0xf
	v_cndmask_b32_e64 v18, 0, v18, s[4:5]
	v_add_u16_e32 v17, v17, v18
	v_cmp_lt_u32_e64 s[4:5], 31, v16
	s_nop 0
	v_mov_b32_dpp v18, v17 row_bcast:31 row_mask:0xf bank_mask:0xf
	v_cndmask_b32_e64 v18, 0, v18, s[4:5]
	v_add_u16_e32 v17, v17, v18
	v_cmp_eq_u32_e64 s[4:5], 63, v0
	s_and_saveexec_b64 s[50:51], s[4:5]
	s_cbranch_execz .LBB1260_52
; %bb.51:
	v_mov_b32_e32 v18, 0
	ds_write_b16 v18, v17
.LBB1260_52:
	s_or_b64 exec, exec, s[50:51]
	v_add_u32_e32 v18, -1, v16
	v_and_b32_e32 v19, 64, v16
	v_cmp_lt_i32_e64 s[4:5], v18, v19
	v_cndmask_b32_e64 v18, v18, v16, s[4:5]
	v_add_u16_e32 v17, s33, v17
	v_lshlrev_b32_e32 v18, 2, v18
	ds_bpermute_b32 v17, v18, v17
	v_cmp_eq_u32_e64 s[4:5], 0, v16
	v_cmp_eq_u32_e64 s[50:51], 0, v0
	v_mov_b32_e32 v16, s33
	s_or_b64 s[4:5], s[50:51], s[4:5]
	s_waitcnt lgkmcnt(0)
	v_cndmask_b32_e64 v16, v17, v16, s[4:5]
	v_add_u16_e32 v17, v16, v10
	v_add_u16_sdwa v10, v17, v10 dst_sel:DWORD dst_unused:UNUSED_PAD src0_sel:DWORD src1_sel:WORD_1
	v_add_u16_e32 v18, v10, v11
	v_add_u16_sdwa v11, v18, v11 dst_sel:DWORD dst_unused:UNUSED_PAD src0_sel:DWORD src1_sel:WORD_1
	;; [unrolled: 2-line block ×11, first 2 shown]
	s_mov_b32 s4, 0x5040100
	v_add_u16_e32 v31, v30, v5
	v_add_u32_e32 v15, v14, v15
	v_perm_b32 v2, v17, v16, s4
	v_perm_b32 v3, v18, v10, s4
	;; [unrolled: 1-line block ×4, first 2 shown]
	s_waitcnt lgkmcnt(0)
	; wave barrier
	s_waitcnt lgkmcnt(0)
	s_waitcnt lgkmcnt(0)
	; wave barrier
	ds_write_b128 v15, v[2:5]
	v_perm_b32 v2, v21, v13, s4
	v_perm_b32 v3, v22, v6, s4
	;; [unrolled: 1-line block ×4, first 2 shown]
	ds_write_b128 v15, v[2:5] offset:16
	v_perm_b32 v2, v25, v9, s4
	v_perm_b32 v3, v27, v26, s4
	v_perm_b32 v4, v29, v28, s4
	v_perm_b32 v5, v31, v30, s4
	ds_write_b128 v15, v[2:5] offset:32
	s_waitcnt lgkmcnt(0)
	; wave barrier
	s_waitcnt lgkmcnt(0)
	ds_read_u16 v25, v14 offset:128
	ds_read_u16 v24, v14 offset:256
	;; [unrolled: 1-line block ×23, first 2 shown]
	v_lshlrev_b64 v[0:1], 1, v[0:1]
	v_mov_b32_e32 v26, s55
	v_add_co_u32_e64 v0, s[4:5], s54, v0
	v_addc_co_u32_e64 v1, s[4:5], v26, v1, s[4:5]
	s_and_saveexec_b64 s[4:5], vcc
	s_cbranch_execnz .LBB1260_77
; %bb.53:
	s_or_b64 exec, exec, s[4:5]
	s_and_saveexec_b64 s[4:5], s[0:1]
	s_cbranch_execnz .LBB1260_78
.LBB1260_54:
	s_or_b64 exec, exec, s[4:5]
	s_and_saveexec_b64 s[0:1], s[2:3]
	s_cbranch_execnz .LBB1260_79
.LBB1260_55:
	s_or_b64 exec, exec, s[0:1]
	s_and_saveexec_b64 s[0:1], s[48:49]
	s_cbranch_execnz .LBB1260_80
.LBB1260_56:
	s_or_b64 exec, exec, s[0:1]
	s_and_saveexec_b64 s[0:1], s[6:7]
	s_cbranch_execnz .LBB1260_81
.LBB1260_57:
	s_or_b64 exec, exec, s[0:1]
	s_and_saveexec_b64 s[0:1], s[8:9]
	s_cbranch_execnz .LBB1260_82
.LBB1260_58:
	s_or_b64 exec, exec, s[0:1]
	s_and_saveexec_b64 s[0:1], s[10:11]
	s_cbranch_execnz .LBB1260_83
.LBB1260_59:
	s_or_b64 exec, exec, s[0:1]
	s_and_saveexec_b64 s[0:1], s[12:13]
	s_cbranch_execnz .LBB1260_84
.LBB1260_60:
	s_or_b64 exec, exec, s[0:1]
	s_and_saveexec_b64 s[0:1], s[14:15]
	s_cbranch_execnz .LBB1260_85
.LBB1260_61:
	s_or_b64 exec, exec, s[0:1]
	s_and_saveexec_b64 s[0:1], s[16:17]
	s_cbranch_execnz .LBB1260_86
.LBB1260_62:
	s_or_b64 exec, exec, s[0:1]
	s_and_saveexec_b64 s[0:1], s[18:19]
	s_cbranch_execnz .LBB1260_87
.LBB1260_63:
	s_or_b64 exec, exec, s[0:1]
	s_and_saveexec_b64 s[0:1], s[20:21]
	s_cbranch_execnz .LBB1260_88
.LBB1260_64:
	s_or_b64 exec, exec, s[0:1]
	s_and_saveexec_b64 s[0:1], s[22:23]
	s_cbranch_execnz .LBB1260_89
.LBB1260_65:
	s_or_b64 exec, exec, s[0:1]
	s_and_saveexec_b64 s[0:1], s[24:25]
	s_cbranch_execnz .LBB1260_90
.LBB1260_66:
	s_or_b64 exec, exec, s[0:1]
	s_and_saveexec_b64 s[0:1], s[26:27]
	s_cbranch_execnz .LBB1260_91
.LBB1260_67:
	s_or_b64 exec, exec, s[0:1]
	s_and_saveexec_b64 s[0:1], s[28:29]
	s_cbranch_execnz .LBB1260_92
.LBB1260_68:
	s_or_b64 exec, exec, s[0:1]
	s_and_saveexec_b64 s[0:1], s[30:31]
	s_cbranch_execnz .LBB1260_93
.LBB1260_69:
	s_or_b64 exec, exec, s[0:1]
	s_and_saveexec_b64 s[0:1], s[34:35]
	s_cbranch_execnz .LBB1260_94
.LBB1260_70:
	s_or_b64 exec, exec, s[0:1]
	s_and_saveexec_b64 s[0:1], s[36:37]
	s_cbranch_execnz .LBB1260_95
.LBB1260_71:
	s_or_b64 exec, exec, s[0:1]
	s_and_saveexec_b64 s[0:1], s[38:39]
	s_cbranch_execnz .LBB1260_96
.LBB1260_72:
	s_or_b64 exec, exec, s[0:1]
	s_and_saveexec_b64 s[0:1], s[40:41]
	s_cbranch_execnz .LBB1260_97
.LBB1260_73:
	s_or_b64 exec, exec, s[0:1]
	s_and_saveexec_b64 s[0:1], s[42:43]
	s_cbranch_execnz .LBB1260_98
.LBB1260_74:
	s_or_b64 exec, exec, s[0:1]
	s_and_saveexec_b64 s[0:1], s[44:45]
	s_cbranch_execnz .LBB1260_99
.LBB1260_75:
	s_or_b64 exec, exec, s[0:1]
	s_and_saveexec_b64 s[0:1], s[46:47]
	s_cbranch_execnz .LBB1260_100
.LBB1260_76:
	s_endpgm
.LBB1260_77:
	ds_read_u16 v14, v14
	s_waitcnt lgkmcnt(0)
	global_store_short v[0:1], v14, off
	s_or_b64 exec, exec, s[4:5]
	s_and_saveexec_b64 s[4:5], s[0:1]
	s_cbranch_execz .LBB1260_54
.LBB1260_78:
	s_waitcnt lgkmcnt(14)
	global_store_short v[0:1], v25, off offset:128
	s_or_b64 exec, exec, s[4:5]
	s_and_saveexec_b64 s[0:1], s[2:3]
	s_cbranch_execz .LBB1260_55
.LBB1260_79:
	s_waitcnt lgkmcnt(14)
	global_store_short v[0:1], v24, off offset:256
	s_or_b64 exec, exec, s[0:1]
	s_and_saveexec_b64 s[0:1], s[48:49]
	s_cbranch_execz .LBB1260_56
.LBB1260_80:
	s_waitcnt lgkmcnt(14)
	global_store_short v[0:1], v23, off offset:384
	s_or_b64 exec, exec, s[0:1]
	s_and_saveexec_b64 s[0:1], s[6:7]
	s_cbranch_execz .LBB1260_57
.LBB1260_81:
	s_waitcnt lgkmcnt(14)
	global_store_short v[0:1], v22, off offset:512
	s_or_b64 exec, exec, s[0:1]
	s_and_saveexec_b64 s[0:1], s[8:9]
	s_cbranch_execz .LBB1260_58
.LBB1260_82:
	s_waitcnt lgkmcnt(14)
	global_store_short v[0:1], v21, off offset:640
	s_or_b64 exec, exec, s[0:1]
	s_and_saveexec_b64 s[0:1], s[10:11]
	s_cbranch_execz .LBB1260_59
.LBB1260_83:
	s_waitcnt lgkmcnt(14)
	global_store_short v[0:1], v20, off offset:768
	s_or_b64 exec, exec, s[0:1]
	s_and_saveexec_b64 s[0:1], s[12:13]
	s_cbranch_execz .LBB1260_60
.LBB1260_84:
	s_waitcnt lgkmcnt(14)
	global_store_short v[0:1], v19, off offset:896
	s_or_b64 exec, exec, s[0:1]
	s_and_saveexec_b64 s[0:1], s[14:15]
	s_cbranch_execz .LBB1260_61
.LBB1260_85:
	s_waitcnt lgkmcnt(14)
	global_store_short v[0:1], v18, off offset:1024
	s_or_b64 exec, exec, s[0:1]
	s_and_saveexec_b64 s[0:1], s[16:17]
	s_cbranch_execz .LBB1260_62
.LBB1260_86:
	s_waitcnt lgkmcnt(14)
	global_store_short v[0:1], v17, off offset:1152
	s_or_b64 exec, exec, s[0:1]
	s_and_saveexec_b64 s[0:1], s[18:19]
	s_cbranch_execz .LBB1260_63
.LBB1260_87:
	s_waitcnt lgkmcnt(13)
	global_store_short v[0:1], v16, off offset:1280
	s_or_b64 exec, exec, s[0:1]
	s_and_saveexec_b64 s[0:1], s[20:21]
	s_cbranch_execz .LBB1260_64
.LBB1260_88:
	s_waitcnt lgkmcnt(12)
	global_store_short v[0:1], v15, off offset:1408
	s_or_b64 exec, exec, s[0:1]
	s_and_saveexec_b64 s[0:1], s[22:23]
	s_cbranch_execz .LBB1260_65
.LBB1260_89:
	s_waitcnt lgkmcnt(11)
	global_store_short v[0:1], v13, off offset:1536
	s_or_b64 exec, exec, s[0:1]
	s_and_saveexec_b64 s[0:1], s[24:25]
	s_cbranch_execz .LBB1260_66
.LBB1260_90:
	s_waitcnt lgkmcnt(10)
	global_store_short v[0:1], v12, off offset:1664
	s_or_b64 exec, exec, s[0:1]
	s_and_saveexec_b64 s[0:1], s[26:27]
	s_cbranch_execz .LBB1260_67
.LBB1260_91:
	s_waitcnt lgkmcnt(9)
	global_store_short v[0:1], v11, off offset:1792
	s_or_b64 exec, exec, s[0:1]
	s_and_saveexec_b64 s[0:1], s[28:29]
	s_cbranch_execz .LBB1260_68
.LBB1260_92:
	s_waitcnt lgkmcnt(8)
	global_store_short v[0:1], v10, off offset:1920
	s_or_b64 exec, exec, s[0:1]
	s_and_saveexec_b64 s[0:1], s[30:31]
	s_cbranch_execz .LBB1260_69
.LBB1260_93:
	s_waitcnt lgkmcnt(7)
	global_store_short v[0:1], v9, off offset:2048
	s_or_b64 exec, exec, s[0:1]
	s_and_saveexec_b64 s[0:1], s[34:35]
	s_cbranch_execz .LBB1260_70
.LBB1260_94:
	s_waitcnt lgkmcnt(6)
	global_store_short v[0:1], v8, off offset:2176
	s_or_b64 exec, exec, s[0:1]
	s_and_saveexec_b64 s[0:1], s[36:37]
	s_cbranch_execz .LBB1260_71
.LBB1260_95:
	s_waitcnt lgkmcnt(5)
	global_store_short v[0:1], v7, off offset:2304
	s_or_b64 exec, exec, s[0:1]
	s_and_saveexec_b64 s[0:1], s[38:39]
	s_cbranch_execz .LBB1260_72
.LBB1260_96:
	s_waitcnt lgkmcnt(4)
	global_store_short v[0:1], v6, off offset:2432
	s_or_b64 exec, exec, s[0:1]
	s_and_saveexec_b64 s[0:1], s[40:41]
	s_cbranch_execz .LBB1260_73
.LBB1260_97:
	s_waitcnt lgkmcnt(3)
	global_store_short v[0:1], v5, off offset:2560
	s_or_b64 exec, exec, s[0:1]
	s_and_saveexec_b64 s[0:1], s[42:43]
	s_cbranch_execz .LBB1260_74
.LBB1260_98:
	s_waitcnt lgkmcnt(2)
	global_store_short v[0:1], v4, off offset:2688
	s_or_b64 exec, exec, s[0:1]
	s_and_saveexec_b64 s[0:1], s[44:45]
	s_cbranch_execz .LBB1260_75
.LBB1260_99:
	s_waitcnt lgkmcnt(1)
	global_store_short v[0:1], v3, off offset:2816
	s_or_b64 exec, exec, s[0:1]
	s_and_saveexec_b64 s[0:1], s[46:47]
	s_cbranch_execz .LBB1260_76
.LBB1260_100:
	s_waitcnt lgkmcnt(0)
	global_store_short v[0:1], v2, off offset:2944
	s_endpgm
	.section	.rodata,"a",@progbits
	.p2align	6, 0x0
	.amdhsa_kernel _ZN7rocprim17ROCPRIM_400000_NS6detail17trampoline_kernelINS0_14default_configENS1_20scan_config_selectorIsEEZZNS1_9scan_implILNS1_25lookback_scan_determinismE0ELb1ELb1ES3_N6thrust23THRUST_200600_302600_NS6detail15normal_iteratorINS9_10device_ptrIsEEEESE_sNS9_4plusIsEEsEEDaPvRmT3_T4_T5_mT6_P12ihipStream_tbENKUlT_T0_E_clISt17integral_constantIbLb0EEST_IbLb1EEEEDaSP_SQ_EUlSP_E0_NS1_11comp_targetILNS1_3genE4ELNS1_11target_archE910ELNS1_3gpuE8ELNS1_3repE0EEENS1_30default_config_static_selectorELNS0_4arch9wavefront6targetE1EEEvT1_
		.amdhsa_group_segment_fixed_size 3072
		.amdhsa_private_segment_fixed_size 0
		.amdhsa_kernarg_size 32
		.amdhsa_user_sgpr_count 6
		.amdhsa_user_sgpr_private_segment_buffer 1
		.amdhsa_user_sgpr_dispatch_ptr 0
		.amdhsa_user_sgpr_queue_ptr 0
		.amdhsa_user_sgpr_kernarg_segment_ptr 1
		.amdhsa_user_sgpr_dispatch_id 0
		.amdhsa_user_sgpr_flat_scratch_init 0
		.amdhsa_user_sgpr_kernarg_preload_length 0
		.amdhsa_user_sgpr_kernarg_preload_offset 0
		.amdhsa_user_sgpr_private_segment_size 0
		.amdhsa_uses_dynamic_stack 0
		.amdhsa_system_sgpr_private_segment_wavefront_offset 0
		.amdhsa_system_sgpr_workgroup_id_x 1
		.amdhsa_system_sgpr_workgroup_id_y 0
		.amdhsa_system_sgpr_workgroup_id_z 0
		.amdhsa_system_sgpr_workgroup_info 0
		.amdhsa_system_vgpr_workitem_id 0
		.amdhsa_next_free_vgpr 32
		.amdhsa_next_free_sgpr 56
		.amdhsa_accum_offset 32
		.amdhsa_reserve_vcc 1
		.amdhsa_reserve_flat_scratch 0
		.amdhsa_float_round_mode_32 0
		.amdhsa_float_round_mode_16_64 0
		.amdhsa_float_denorm_mode_32 3
		.amdhsa_float_denorm_mode_16_64 3
		.amdhsa_dx10_clamp 1
		.amdhsa_ieee_mode 1
		.amdhsa_fp16_overflow 0
		.amdhsa_tg_split 0
		.amdhsa_exception_fp_ieee_invalid_op 0
		.amdhsa_exception_fp_denorm_src 0
		.amdhsa_exception_fp_ieee_div_zero 0
		.amdhsa_exception_fp_ieee_overflow 0
		.amdhsa_exception_fp_ieee_underflow 0
		.amdhsa_exception_fp_ieee_inexact 0
		.amdhsa_exception_int_div_zero 0
	.end_amdhsa_kernel
	.section	.text._ZN7rocprim17ROCPRIM_400000_NS6detail17trampoline_kernelINS0_14default_configENS1_20scan_config_selectorIsEEZZNS1_9scan_implILNS1_25lookback_scan_determinismE0ELb1ELb1ES3_N6thrust23THRUST_200600_302600_NS6detail15normal_iteratorINS9_10device_ptrIsEEEESE_sNS9_4plusIsEEsEEDaPvRmT3_T4_T5_mT6_P12ihipStream_tbENKUlT_T0_E_clISt17integral_constantIbLb0EEST_IbLb1EEEEDaSP_SQ_EUlSP_E0_NS1_11comp_targetILNS1_3genE4ELNS1_11target_archE910ELNS1_3gpuE8ELNS1_3repE0EEENS1_30default_config_static_selectorELNS0_4arch9wavefront6targetE1EEEvT1_,"axG",@progbits,_ZN7rocprim17ROCPRIM_400000_NS6detail17trampoline_kernelINS0_14default_configENS1_20scan_config_selectorIsEEZZNS1_9scan_implILNS1_25lookback_scan_determinismE0ELb1ELb1ES3_N6thrust23THRUST_200600_302600_NS6detail15normal_iteratorINS9_10device_ptrIsEEEESE_sNS9_4plusIsEEsEEDaPvRmT3_T4_T5_mT6_P12ihipStream_tbENKUlT_T0_E_clISt17integral_constantIbLb0EEST_IbLb1EEEEDaSP_SQ_EUlSP_E0_NS1_11comp_targetILNS1_3genE4ELNS1_11target_archE910ELNS1_3gpuE8ELNS1_3repE0EEENS1_30default_config_static_selectorELNS0_4arch9wavefront6targetE1EEEvT1_,comdat
.Lfunc_end1260:
	.size	_ZN7rocprim17ROCPRIM_400000_NS6detail17trampoline_kernelINS0_14default_configENS1_20scan_config_selectorIsEEZZNS1_9scan_implILNS1_25lookback_scan_determinismE0ELb1ELb1ES3_N6thrust23THRUST_200600_302600_NS6detail15normal_iteratorINS9_10device_ptrIsEEEESE_sNS9_4plusIsEEsEEDaPvRmT3_T4_T5_mT6_P12ihipStream_tbENKUlT_T0_E_clISt17integral_constantIbLb0EEST_IbLb1EEEEDaSP_SQ_EUlSP_E0_NS1_11comp_targetILNS1_3genE4ELNS1_11target_archE910ELNS1_3gpuE8ELNS1_3repE0EEENS1_30default_config_static_selectorELNS0_4arch9wavefront6targetE1EEEvT1_, .Lfunc_end1260-_ZN7rocprim17ROCPRIM_400000_NS6detail17trampoline_kernelINS0_14default_configENS1_20scan_config_selectorIsEEZZNS1_9scan_implILNS1_25lookback_scan_determinismE0ELb1ELb1ES3_N6thrust23THRUST_200600_302600_NS6detail15normal_iteratorINS9_10device_ptrIsEEEESE_sNS9_4plusIsEEsEEDaPvRmT3_T4_T5_mT6_P12ihipStream_tbENKUlT_T0_E_clISt17integral_constantIbLb0EEST_IbLb1EEEEDaSP_SQ_EUlSP_E0_NS1_11comp_targetILNS1_3genE4ELNS1_11target_archE910ELNS1_3gpuE8ELNS1_3repE0EEENS1_30default_config_static_selectorELNS0_4arch9wavefront6targetE1EEEvT1_
                                        ; -- End function
	.section	.AMDGPU.csdata,"",@progbits
; Kernel info:
; codeLenInByte = 3080
; NumSgprs: 60
; NumVgprs: 32
; NumAgprs: 0
; TotalNumVgprs: 32
; ScratchSize: 0
; MemoryBound: 0
; FloatMode: 240
; IeeeMode: 1
; LDSByteSize: 3072 bytes/workgroup (compile time only)
; SGPRBlocks: 7
; VGPRBlocks: 3
; NumSGPRsForWavesPerEU: 60
; NumVGPRsForWavesPerEU: 32
; AccumOffset: 32
; Occupancy: 6
; WaveLimiterHint : 0
; COMPUTE_PGM_RSRC2:SCRATCH_EN: 0
; COMPUTE_PGM_RSRC2:USER_SGPR: 6
; COMPUTE_PGM_RSRC2:TRAP_HANDLER: 0
; COMPUTE_PGM_RSRC2:TGID_X_EN: 1
; COMPUTE_PGM_RSRC2:TGID_Y_EN: 0
; COMPUTE_PGM_RSRC2:TGID_Z_EN: 0
; COMPUTE_PGM_RSRC2:TIDIG_COMP_CNT: 0
; COMPUTE_PGM_RSRC3_GFX90A:ACCUM_OFFSET: 7
; COMPUTE_PGM_RSRC3_GFX90A:TG_SPLIT: 0
	.section	.text._ZN7rocprim17ROCPRIM_400000_NS6detail17trampoline_kernelINS0_14default_configENS1_20scan_config_selectorIsEEZZNS1_9scan_implILNS1_25lookback_scan_determinismE0ELb1ELb1ES3_N6thrust23THRUST_200600_302600_NS6detail15normal_iteratorINS9_10device_ptrIsEEEESE_sNS9_4plusIsEEsEEDaPvRmT3_T4_T5_mT6_P12ihipStream_tbENKUlT_T0_E_clISt17integral_constantIbLb0EEST_IbLb1EEEEDaSP_SQ_EUlSP_E0_NS1_11comp_targetILNS1_3genE3ELNS1_11target_archE908ELNS1_3gpuE7ELNS1_3repE0EEENS1_30default_config_static_selectorELNS0_4arch9wavefront6targetE1EEEvT1_,"axG",@progbits,_ZN7rocprim17ROCPRIM_400000_NS6detail17trampoline_kernelINS0_14default_configENS1_20scan_config_selectorIsEEZZNS1_9scan_implILNS1_25lookback_scan_determinismE0ELb1ELb1ES3_N6thrust23THRUST_200600_302600_NS6detail15normal_iteratorINS9_10device_ptrIsEEEESE_sNS9_4plusIsEEsEEDaPvRmT3_T4_T5_mT6_P12ihipStream_tbENKUlT_T0_E_clISt17integral_constantIbLb0EEST_IbLb1EEEEDaSP_SQ_EUlSP_E0_NS1_11comp_targetILNS1_3genE3ELNS1_11target_archE908ELNS1_3gpuE7ELNS1_3repE0EEENS1_30default_config_static_selectorELNS0_4arch9wavefront6targetE1EEEvT1_,comdat
	.protected	_ZN7rocprim17ROCPRIM_400000_NS6detail17trampoline_kernelINS0_14default_configENS1_20scan_config_selectorIsEEZZNS1_9scan_implILNS1_25lookback_scan_determinismE0ELb1ELb1ES3_N6thrust23THRUST_200600_302600_NS6detail15normal_iteratorINS9_10device_ptrIsEEEESE_sNS9_4plusIsEEsEEDaPvRmT3_T4_T5_mT6_P12ihipStream_tbENKUlT_T0_E_clISt17integral_constantIbLb0EEST_IbLb1EEEEDaSP_SQ_EUlSP_E0_NS1_11comp_targetILNS1_3genE3ELNS1_11target_archE908ELNS1_3gpuE7ELNS1_3repE0EEENS1_30default_config_static_selectorELNS0_4arch9wavefront6targetE1EEEvT1_ ; -- Begin function _ZN7rocprim17ROCPRIM_400000_NS6detail17trampoline_kernelINS0_14default_configENS1_20scan_config_selectorIsEEZZNS1_9scan_implILNS1_25lookback_scan_determinismE0ELb1ELb1ES3_N6thrust23THRUST_200600_302600_NS6detail15normal_iteratorINS9_10device_ptrIsEEEESE_sNS9_4plusIsEEsEEDaPvRmT3_T4_T5_mT6_P12ihipStream_tbENKUlT_T0_E_clISt17integral_constantIbLb0EEST_IbLb1EEEEDaSP_SQ_EUlSP_E0_NS1_11comp_targetILNS1_3genE3ELNS1_11target_archE908ELNS1_3gpuE7ELNS1_3repE0EEENS1_30default_config_static_selectorELNS0_4arch9wavefront6targetE1EEEvT1_
	.globl	_ZN7rocprim17ROCPRIM_400000_NS6detail17trampoline_kernelINS0_14default_configENS1_20scan_config_selectorIsEEZZNS1_9scan_implILNS1_25lookback_scan_determinismE0ELb1ELb1ES3_N6thrust23THRUST_200600_302600_NS6detail15normal_iteratorINS9_10device_ptrIsEEEESE_sNS9_4plusIsEEsEEDaPvRmT3_T4_T5_mT6_P12ihipStream_tbENKUlT_T0_E_clISt17integral_constantIbLb0EEST_IbLb1EEEEDaSP_SQ_EUlSP_E0_NS1_11comp_targetILNS1_3genE3ELNS1_11target_archE908ELNS1_3gpuE7ELNS1_3repE0EEENS1_30default_config_static_selectorELNS0_4arch9wavefront6targetE1EEEvT1_
	.p2align	8
	.type	_ZN7rocprim17ROCPRIM_400000_NS6detail17trampoline_kernelINS0_14default_configENS1_20scan_config_selectorIsEEZZNS1_9scan_implILNS1_25lookback_scan_determinismE0ELb1ELb1ES3_N6thrust23THRUST_200600_302600_NS6detail15normal_iteratorINS9_10device_ptrIsEEEESE_sNS9_4plusIsEEsEEDaPvRmT3_T4_T5_mT6_P12ihipStream_tbENKUlT_T0_E_clISt17integral_constantIbLb0EEST_IbLb1EEEEDaSP_SQ_EUlSP_E0_NS1_11comp_targetILNS1_3genE3ELNS1_11target_archE908ELNS1_3gpuE7ELNS1_3repE0EEENS1_30default_config_static_selectorELNS0_4arch9wavefront6targetE1EEEvT1_,@function
_ZN7rocprim17ROCPRIM_400000_NS6detail17trampoline_kernelINS0_14default_configENS1_20scan_config_selectorIsEEZZNS1_9scan_implILNS1_25lookback_scan_determinismE0ELb1ELb1ES3_N6thrust23THRUST_200600_302600_NS6detail15normal_iteratorINS9_10device_ptrIsEEEESE_sNS9_4plusIsEEsEEDaPvRmT3_T4_T5_mT6_P12ihipStream_tbENKUlT_T0_E_clISt17integral_constantIbLb0EEST_IbLb1EEEEDaSP_SQ_EUlSP_E0_NS1_11comp_targetILNS1_3genE3ELNS1_11target_archE908ELNS1_3gpuE7ELNS1_3repE0EEENS1_30default_config_static_selectorELNS0_4arch9wavefront6targetE1EEEvT1_: ; @_ZN7rocprim17ROCPRIM_400000_NS6detail17trampoline_kernelINS0_14default_configENS1_20scan_config_selectorIsEEZZNS1_9scan_implILNS1_25lookback_scan_determinismE0ELb1ELb1ES3_N6thrust23THRUST_200600_302600_NS6detail15normal_iteratorINS9_10device_ptrIsEEEESE_sNS9_4plusIsEEsEEDaPvRmT3_T4_T5_mT6_P12ihipStream_tbENKUlT_T0_E_clISt17integral_constantIbLb0EEST_IbLb1EEEEDaSP_SQ_EUlSP_E0_NS1_11comp_targetILNS1_3genE3ELNS1_11target_archE908ELNS1_3gpuE7ELNS1_3repE0EEENS1_30default_config_static_selectorELNS0_4arch9wavefront6targetE1EEEvT1_
; %bb.0:
	.section	.rodata,"a",@progbits
	.p2align	6, 0x0
	.amdhsa_kernel _ZN7rocprim17ROCPRIM_400000_NS6detail17trampoline_kernelINS0_14default_configENS1_20scan_config_selectorIsEEZZNS1_9scan_implILNS1_25lookback_scan_determinismE0ELb1ELb1ES3_N6thrust23THRUST_200600_302600_NS6detail15normal_iteratorINS9_10device_ptrIsEEEESE_sNS9_4plusIsEEsEEDaPvRmT3_T4_T5_mT6_P12ihipStream_tbENKUlT_T0_E_clISt17integral_constantIbLb0EEST_IbLb1EEEEDaSP_SQ_EUlSP_E0_NS1_11comp_targetILNS1_3genE3ELNS1_11target_archE908ELNS1_3gpuE7ELNS1_3repE0EEENS1_30default_config_static_selectorELNS0_4arch9wavefront6targetE1EEEvT1_
		.amdhsa_group_segment_fixed_size 0
		.amdhsa_private_segment_fixed_size 0
		.amdhsa_kernarg_size 32
		.amdhsa_user_sgpr_count 6
		.amdhsa_user_sgpr_private_segment_buffer 1
		.amdhsa_user_sgpr_dispatch_ptr 0
		.amdhsa_user_sgpr_queue_ptr 0
		.amdhsa_user_sgpr_kernarg_segment_ptr 1
		.amdhsa_user_sgpr_dispatch_id 0
		.amdhsa_user_sgpr_flat_scratch_init 0
		.amdhsa_user_sgpr_kernarg_preload_length 0
		.amdhsa_user_sgpr_kernarg_preload_offset 0
		.amdhsa_user_sgpr_private_segment_size 0
		.amdhsa_uses_dynamic_stack 0
		.amdhsa_system_sgpr_private_segment_wavefront_offset 0
		.amdhsa_system_sgpr_workgroup_id_x 1
		.amdhsa_system_sgpr_workgroup_id_y 0
		.amdhsa_system_sgpr_workgroup_id_z 0
		.amdhsa_system_sgpr_workgroup_info 0
		.amdhsa_system_vgpr_workitem_id 0
		.amdhsa_next_free_vgpr 1
		.amdhsa_next_free_sgpr 0
		.amdhsa_accum_offset 4
		.amdhsa_reserve_vcc 0
		.amdhsa_reserve_flat_scratch 0
		.amdhsa_float_round_mode_32 0
		.amdhsa_float_round_mode_16_64 0
		.amdhsa_float_denorm_mode_32 3
		.amdhsa_float_denorm_mode_16_64 3
		.amdhsa_dx10_clamp 1
		.amdhsa_ieee_mode 1
		.amdhsa_fp16_overflow 0
		.amdhsa_tg_split 0
		.amdhsa_exception_fp_ieee_invalid_op 0
		.amdhsa_exception_fp_denorm_src 0
		.amdhsa_exception_fp_ieee_div_zero 0
		.amdhsa_exception_fp_ieee_overflow 0
		.amdhsa_exception_fp_ieee_underflow 0
		.amdhsa_exception_fp_ieee_inexact 0
		.amdhsa_exception_int_div_zero 0
	.end_amdhsa_kernel
	.section	.text._ZN7rocprim17ROCPRIM_400000_NS6detail17trampoline_kernelINS0_14default_configENS1_20scan_config_selectorIsEEZZNS1_9scan_implILNS1_25lookback_scan_determinismE0ELb1ELb1ES3_N6thrust23THRUST_200600_302600_NS6detail15normal_iteratorINS9_10device_ptrIsEEEESE_sNS9_4plusIsEEsEEDaPvRmT3_T4_T5_mT6_P12ihipStream_tbENKUlT_T0_E_clISt17integral_constantIbLb0EEST_IbLb1EEEEDaSP_SQ_EUlSP_E0_NS1_11comp_targetILNS1_3genE3ELNS1_11target_archE908ELNS1_3gpuE7ELNS1_3repE0EEENS1_30default_config_static_selectorELNS0_4arch9wavefront6targetE1EEEvT1_,"axG",@progbits,_ZN7rocprim17ROCPRIM_400000_NS6detail17trampoline_kernelINS0_14default_configENS1_20scan_config_selectorIsEEZZNS1_9scan_implILNS1_25lookback_scan_determinismE0ELb1ELb1ES3_N6thrust23THRUST_200600_302600_NS6detail15normal_iteratorINS9_10device_ptrIsEEEESE_sNS9_4plusIsEEsEEDaPvRmT3_T4_T5_mT6_P12ihipStream_tbENKUlT_T0_E_clISt17integral_constantIbLb0EEST_IbLb1EEEEDaSP_SQ_EUlSP_E0_NS1_11comp_targetILNS1_3genE3ELNS1_11target_archE908ELNS1_3gpuE7ELNS1_3repE0EEENS1_30default_config_static_selectorELNS0_4arch9wavefront6targetE1EEEvT1_,comdat
.Lfunc_end1261:
	.size	_ZN7rocprim17ROCPRIM_400000_NS6detail17trampoline_kernelINS0_14default_configENS1_20scan_config_selectorIsEEZZNS1_9scan_implILNS1_25lookback_scan_determinismE0ELb1ELb1ES3_N6thrust23THRUST_200600_302600_NS6detail15normal_iteratorINS9_10device_ptrIsEEEESE_sNS9_4plusIsEEsEEDaPvRmT3_T4_T5_mT6_P12ihipStream_tbENKUlT_T0_E_clISt17integral_constantIbLb0EEST_IbLb1EEEEDaSP_SQ_EUlSP_E0_NS1_11comp_targetILNS1_3genE3ELNS1_11target_archE908ELNS1_3gpuE7ELNS1_3repE0EEENS1_30default_config_static_selectorELNS0_4arch9wavefront6targetE1EEEvT1_, .Lfunc_end1261-_ZN7rocprim17ROCPRIM_400000_NS6detail17trampoline_kernelINS0_14default_configENS1_20scan_config_selectorIsEEZZNS1_9scan_implILNS1_25lookback_scan_determinismE0ELb1ELb1ES3_N6thrust23THRUST_200600_302600_NS6detail15normal_iteratorINS9_10device_ptrIsEEEESE_sNS9_4plusIsEEsEEDaPvRmT3_T4_T5_mT6_P12ihipStream_tbENKUlT_T0_E_clISt17integral_constantIbLb0EEST_IbLb1EEEEDaSP_SQ_EUlSP_E0_NS1_11comp_targetILNS1_3genE3ELNS1_11target_archE908ELNS1_3gpuE7ELNS1_3repE0EEENS1_30default_config_static_selectorELNS0_4arch9wavefront6targetE1EEEvT1_
                                        ; -- End function
	.section	.AMDGPU.csdata,"",@progbits
; Kernel info:
; codeLenInByte = 0
; NumSgprs: 4
; NumVgprs: 0
; NumAgprs: 0
; TotalNumVgprs: 0
; ScratchSize: 0
; MemoryBound: 0
; FloatMode: 240
; IeeeMode: 1
; LDSByteSize: 0 bytes/workgroup (compile time only)
; SGPRBlocks: 0
; VGPRBlocks: 0
; NumSGPRsForWavesPerEU: 4
; NumVGPRsForWavesPerEU: 1
; AccumOffset: 4
; Occupancy: 8
; WaveLimiterHint : 0
; COMPUTE_PGM_RSRC2:SCRATCH_EN: 0
; COMPUTE_PGM_RSRC2:USER_SGPR: 6
; COMPUTE_PGM_RSRC2:TRAP_HANDLER: 0
; COMPUTE_PGM_RSRC2:TGID_X_EN: 1
; COMPUTE_PGM_RSRC2:TGID_Y_EN: 0
; COMPUTE_PGM_RSRC2:TGID_Z_EN: 0
; COMPUTE_PGM_RSRC2:TIDIG_COMP_CNT: 0
; COMPUTE_PGM_RSRC3_GFX90A:ACCUM_OFFSET: 0
; COMPUTE_PGM_RSRC3_GFX90A:TG_SPLIT: 0
	.section	.text._ZN7rocprim17ROCPRIM_400000_NS6detail17trampoline_kernelINS0_14default_configENS1_20scan_config_selectorIsEEZZNS1_9scan_implILNS1_25lookback_scan_determinismE0ELb1ELb1ES3_N6thrust23THRUST_200600_302600_NS6detail15normal_iteratorINS9_10device_ptrIsEEEESE_sNS9_4plusIsEEsEEDaPvRmT3_T4_T5_mT6_P12ihipStream_tbENKUlT_T0_E_clISt17integral_constantIbLb0EEST_IbLb1EEEEDaSP_SQ_EUlSP_E0_NS1_11comp_targetILNS1_3genE2ELNS1_11target_archE906ELNS1_3gpuE6ELNS1_3repE0EEENS1_30default_config_static_selectorELNS0_4arch9wavefront6targetE1EEEvT1_,"axG",@progbits,_ZN7rocprim17ROCPRIM_400000_NS6detail17trampoline_kernelINS0_14default_configENS1_20scan_config_selectorIsEEZZNS1_9scan_implILNS1_25lookback_scan_determinismE0ELb1ELb1ES3_N6thrust23THRUST_200600_302600_NS6detail15normal_iteratorINS9_10device_ptrIsEEEESE_sNS9_4plusIsEEsEEDaPvRmT3_T4_T5_mT6_P12ihipStream_tbENKUlT_T0_E_clISt17integral_constantIbLb0EEST_IbLb1EEEEDaSP_SQ_EUlSP_E0_NS1_11comp_targetILNS1_3genE2ELNS1_11target_archE906ELNS1_3gpuE6ELNS1_3repE0EEENS1_30default_config_static_selectorELNS0_4arch9wavefront6targetE1EEEvT1_,comdat
	.protected	_ZN7rocprim17ROCPRIM_400000_NS6detail17trampoline_kernelINS0_14default_configENS1_20scan_config_selectorIsEEZZNS1_9scan_implILNS1_25lookback_scan_determinismE0ELb1ELb1ES3_N6thrust23THRUST_200600_302600_NS6detail15normal_iteratorINS9_10device_ptrIsEEEESE_sNS9_4plusIsEEsEEDaPvRmT3_T4_T5_mT6_P12ihipStream_tbENKUlT_T0_E_clISt17integral_constantIbLb0EEST_IbLb1EEEEDaSP_SQ_EUlSP_E0_NS1_11comp_targetILNS1_3genE2ELNS1_11target_archE906ELNS1_3gpuE6ELNS1_3repE0EEENS1_30default_config_static_selectorELNS0_4arch9wavefront6targetE1EEEvT1_ ; -- Begin function _ZN7rocprim17ROCPRIM_400000_NS6detail17trampoline_kernelINS0_14default_configENS1_20scan_config_selectorIsEEZZNS1_9scan_implILNS1_25lookback_scan_determinismE0ELb1ELb1ES3_N6thrust23THRUST_200600_302600_NS6detail15normal_iteratorINS9_10device_ptrIsEEEESE_sNS9_4plusIsEEsEEDaPvRmT3_T4_T5_mT6_P12ihipStream_tbENKUlT_T0_E_clISt17integral_constantIbLb0EEST_IbLb1EEEEDaSP_SQ_EUlSP_E0_NS1_11comp_targetILNS1_3genE2ELNS1_11target_archE906ELNS1_3gpuE6ELNS1_3repE0EEENS1_30default_config_static_selectorELNS0_4arch9wavefront6targetE1EEEvT1_
	.globl	_ZN7rocprim17ROCPRIM_400000_NS6detail17trampoline_kernelINS0_14default_configENS1_20scan_config_selectorIsEEZZNS1_9scan_implILNS1_25lookback_scan_determinismE0ELb1ELb1ES3_N6thrust23THRUST_200600_302600_NS6detail15normal_iteratorINS9_10device_ptrIsEEEESE_sNS9_4plusIsEEsEEDaPvRmT3_T4_T5_mT6_P12ihipStream_tbENKUlT_T0_E_clISt17integral_constantIbLb0EEST_IbLb1EEEEDaSP_SQ_EUlSP_E0_NS1_11comp_targetILNS1_3genE2ELNS1_11target_archE906ELNS1_3gpuE6ELNS1_3repE0EEENS1_30default_config_static_selectorELNS0_4arch9wavefront6targetE1EEEvT1_
	.p2align	8
	.type	_ZN7rocprim17ROCPRIM_400000_NS6detail17trampoline_kernelINS0_14default_configENS1_20scan_config_selectorIsEEZZNS1_9scan_implILNS1_25lookback_scan_determinismE0ELb1ELb1ES3_N6thrust23THRUST_200600_302600_NS6detail15normal_iteratorINS9_10device_ptrIsEEEESE_sNS9_4plusIsEEsEEDaPvRmT3_T4_T5_mT6_P12ihipStream_tbENKUlT_T0_E_clISt17integral_constantIbLb0EEST_IbLb1EEEEDaSP_SQ_EUlSP_E0_NS1_11comp_targetILNS1_3genE2ELNS1_11target_archE906ELNS1_3gpuE6ELNS1_3repE0EEENS1_30default_config_static_selectorELNS0_4arch9wavefront6targetE1EEEvT1_,@function
_ZN7rocprim17ROCPRIM_400000_NS6detail17trampoline_kernelINS0_14default_configENS1_20scan_config_selectorIsEEZZNS1_9scan_implILNS1_25lookback_scan_determinismE0ELb1ELb1ES3_N6thrust23THRUST_200600_302600_NS6detail15normal_iteratorINS9_10device_ptrIsEEEESE_sNS9_4plusIsEEsEEDaPvRmT3_T4_T5_mT6_P12ihipStream_tbENKUlT_T0_E_clISt17integral_constantIbLb0EEST_IbLb1EEEEDaSP_SQ_EUlSP_E0_NS1_11comp_targetILNS1_3genE2ELNS1_11target_archE906ELNS1_3gpuE6ELNS1_3repE0EEENS1_30default_config_static_selectorELNS0_4arch9wavefront6targetE1EEEvT1_: ; @_ZN7rocprim17ROCPRIM_400000_NS6detail17trampoline_kernelINS0_14default_configENS1_20scan_config_selectorIsEEZZNS1_9scan_implILNS1_25lookback_scan_determinismE0ELb1ELb1ES3_N6thrust23THRUST_200600_302600_NS6detail15normal_iteratorINS9_10device_ptrIsEEEESE_sNS9_4plusIsEEsEEDaPvRmT3_T4_T5_mT6_P12ihipStream_tbENKUlT_T0_E_clISt17integral_constantIbLb0EEST_IbLb1EEEEDaSP_SQ_EUlSP_E0_NS1_11comp_targetILNS1_3genE2ELNS1_11target_archE906ELNS1_3gpuE6ELNS1_3repE0EEENS1_30default_config_static_selectorELNS0_4arch9wavefront6targetE1EEEvT1_
; %bb.0:
	.section	.rodata,"a",@progbits
	.p2align	6, 0x0
	.amdhsa_kernel _ZN7rocprim17ROCPRIM_400000_NS6detail17trampoline_kernelINS0_14default_configENS1_20scan_config_selectorIsEEZZNS1_9scan_implILNS1_25lookback_scan_determinismE0ELb1ELb1ES3_N6thrust23THRUST_200600_302600_NS6detail15normal_iteratorINS9_10device_ptrIsEEEESE_sNS9_4plusIsEEsEEDaPvRmT3_T4_T5_mT6_P12ihipStream_tbENKUlT_T0_E_clISt17integral_constantIbLb0EEST_IbLb1EEEEDaSP_SQ_EUlSP_E0_NS1_11comp_targetILNS1_3genE2ELNS1_11target_archE906ELNS1_3gpuE6ELNS1_3repE0EEENS1_30default_config_static_selectorELNS0_4arch9wavefront6targetE1EEEvT1_
		.amdhsa_group_segment_fixed_size 0
		.amdhsa_private_segment_fixed_size 0
		.amdhsa_kernarg_size 32
		.amdhsa_user_sgpr_count 6
		.amdhsa_user_sgpr_private_segment_buffer 1
		.amdhsa_user_sgpr_dispatch_ptr 0
		.amdhsa_user_sgpr_queue_ptr 0
		.amdhsa_user_sgpr_kernarg_segment_ptr 1
		.amdhsa_user_sgpr_dispatch_id 0
		.amdhsa_user_sgpr_flat_scratch_init 0
		.amdhsa_user_sgpr_kernarg_preload_length 0
		.amdhsa_user_sgpr_kernarg_preload_offset 0
		.amdhsa_user_sgpr_private_segment_size 0
		.amdhsa_uses_dynamic_stack 0
		.amdhsa_system_sgpr_private_segment_wavefront_offset 0
		.amdhsa_system_sgpr_workgroup_id_x 1
		.amdhsa_system_sgpr_workgroup_id_y 0
		.amdhsa_system_sgpr_workgroup_id_z 0
		.amdhsa_system_sgpr_workgroup_info 0
		.amdhsa_system_vgpr_workitem_id 0
		.amdhsa_next_free_vgpr 1
		.amdhsa_next_free_sgpr 0
		.amdhsa_accum_offset 4
		.amdhsa_reserve_vcc 0
		.amdhsa_reserve_flat_scratch 0
		.amdhsa_float_round_mode_32 0
		.amdhsa_float_round_mode_16_64 0
		.amdhsa_float_denorm_mode_32 3
		.amdhsa_float_denorm_mode_16_64 3
		.amdhsa_dx10_clamp 1
		.amdhsa_ieee_mode 1
		.amdhsa_fp16_overflow 0
		.amdhsa_tg_split 0
		.amdhsa_exception_fp_ieee_invalid_op 0
		.amdhsa_exception_fp_denorm_src 0
		.amdhsa_exception_fp_ieee_div_zero 0
		.amdhsa_exception_fp_ieee_overflow 0
		.amdhsa_exception_fp_ieee_underflow 0
		.amdhsa_exception_fp_ieee_inexact 0
		.amdhsa_exception_int_div_zero 0
	.end_amdhsa_kernel
	.section	.text._ZN7rocprim17ROCPRIM_400000_NS6detail17trampoline_kernelINS0_14default_configENS1_20scan_config_selectorIsEEZZNS1_9scan_implILNS1_25lookback_scan_determinismE0ELb1ELb1ES3_N6thrust23THRUST_200600_302600_NS6detail15normal_iteratorINS9_10device_ptrIsEEEESE_sNS9_4plusIsEEsEEDaPvRmT3_T4_T5_mT6_P12ihipStream_tbENKUlT_T0_E_clISt17integral_constantIbLb0EEST_IbLb1EEEEDaSP_SQ_EUlSP_E0_NS1_11comp_targetILNS1_3genE2ELNS1_11target_archE906ELNS1_3gpuE6ELNS1_3repE0EEENS1_30default_config_static_selectorELNS0_4arch9wavefront6targetE1EEEvT1_,"axG",@progbits,_ZN7rocprim17ROCPRIM_400000_NS6detail17trampoline_kernelINS0_14default_configENS1_20scan_config_selectorIsEEZZNS1_9scan_implILNS1_25lookback_scan_determinismE0ELb1ELb1ES3_N6thrust23THRUST_200600_302600_NS6detail15normal_iteratorINS9_10device_ptrIsEEEESE_sNS9_4plusIsEEsEEDaPvRmT3_T4_T5_mT6_P12ihipStream_tbENKUlT_T0_E_clISt17integral_constantIbLb0EEST_IbLb1EEEEDaSP_SQ_EUlSP_E0_NS1_11comp_targetILNS1_3genE2ELNS1_11target_archE906ELNS1_3gpuE6ELNS1_3repE0EEENS1_30default_config_static_selectorELNS0_4arch9wavefront6targetE1EEEvT1_,comdat
.Lfunc_end1262:
	.size	_ZN7rocprim17ROCPRIM_400000_NS6detail17trampoline_kernelINS0_14default_configENS1_20scan_config_selectorIsEEZZNS1_9scan_implILNS1_25lookback_scan_determinismE0ELb1ELb1ES3_N6thrust23THRUST_200600_302600_NS6detail15normal_iteratorINS9_10device_ptrIsEEEESE_sNS9_4plusIsEEsEEDaPvRmT3_T4_T5_mT6_P12ihipStream_tbENKUlT_T0_E_clISt17integral_constantIbLb0EEST_IbLb1EEEEDaSP_SQ_EUlSP_E0_NS1_11comp_targetILNS1_3genE2ELNS1_11target_archE906ELNS1_3gpuE6ELNS1_3repE0EEENS1_30default_config_static_selectorELNS0_4arch9wavefront6targetE1EEEvT1_, .Lfunc_end1262-_ZN7rocprim17ROCPRIM_400000_NS6detail17trampoline_kernelINS0_14default_configENS1_20scan_config_selectorIsEEZZNS1_9scan_implILNS1_25lookback_scan_determinismE0ELb1ELb1ES3_N6thrust23THRUST_200600_302600_NS6detail15normal_iteratorINS9_10device_ptrIsEEEESE_sNS9_4plusIsEEsEEDaPvRmT3_T4_T5_mT6_P12ihipStream_tbENKUlT_T0_E_clISt17integral_constantIbLb0EEST_IbLb1EEEEDaSP_SQ_EUlSP_E0_NS1_11comp_targetILNS1_3genE2ELNS1_11target_archE906ELNS1_3gpuE6ELNS1_3repE0EEENS1_30default_config_static_selectorELNS0_4arch9wavefront6targetE1EEEvT1_
                                        ; -- End function
	.section	.AMDGPU.csdata,"",@progbits
; Kernel info:
; codeLenInByte = 0
; NumSgprs: 4
; NumVgprs: 0
; NumAgprs: 0
; TotalNumVgprs: 0
; ScratchSize: 0
; MemoryBound: 0
; FloatMode: 240
; IeeeMode: 1
; LDSByteSize: 0 bytes/workgroup (compile time only)
; SGPRBlocks: 0
; VGPRBlocks: 0
; NumSGPRsForWavesPerEU: 4
; NumVGPRsForWavesPerEU: 1
; AccumOffset: 4
; Occupancy: 8
; WaveLimiterHint : 0
; COMPUTE_PGM_RSRC2:SCRATCH_EN: 0
; COMPUTE_PGM_RSRC2:USER_SGPR: 6
; COMPUTE_PGM_RSRC2:TRAP_HANDLER: 0
; COMPUTE_PGM_RSRC2:TGID_X_EN: 1
; COMPUTE_PGM_RSRC2:TGID_Y_EN: 0
; COMPUTE_PGM_RSRC2:TGID_Z_EN: 0
; COMPUTE_PGM_RSRC2:TIDIG_COMP_CNT: 0
; COMPUTE_PGM_RSRC3_GFX90A:ACCUM_OFFSET: 0
; COMPUTE_PGM_RSRC3_GFX90A:TG_SPLIT: 0
	.section	.text._ZN7rocprim17ROCPRIM_400000_NS6detail17trampoline_kernelINS0_14default_configENS1_20scan_config_selectorIsEEZZNS1_9scan_implILNS1_25lookback_scan_determinismE0ELb1ELb1ES3_N6thrust23THRUST_200600_302600_NS6detail15normal_iteratorINS9_10device_ptrIsEEEESE_sNS9_4plusIsEEsEEDaPvRmT3_T4_T5_mT6_P12ihipStream_tbENKUlT_T0_E_clISt17integral_constantIbLb0EEST_IbLb1EEEEDaSP_SQ_EUlSP_E0_NS1_11comp_targetILNS1_3genE10ELNS1_11target_archE1201ELNS1_3gpuE5ELNS1_3repE0EEENS1_30default_config_static_selectorELNS0_4arch9wavefront6targetE1EEEvT1_,"axG",@progbits,_ZN7rocprim17ROCPRIM_400000_NS6detail17trampoline_kernelINS0_14default_configENS1_20scan_config_selectorIsEEZZNS1_9scan_implILNS1_25lookback_scan_determinismE0ELb1ELb1ES3_N6thrust23THRUST_200600_302600_NS6detail15normal_iteratorINS9_10device_ptrIsEEEESE_sNS9_4plusIsEEsEEDaPvRmT3_T4_T5_mT6_P12ihipStream_tbENKUlT_T0_E_clISt17integral_constantIbLb0EEST_IbLb1EEEEDaSP_SQ_EUlSP_E0_NS1_11comp_targetILNS1_3genE10ELNS1_11target_archE1201ELNS1_3gpuE5ELNS1_3repE0EEENS1_30default_config_static_selectorELNS0_4arch9wavefront6targetE1EEEvT1_,comdat
	.protected	_ZN7rocprim17ROCPRIM_400000_NS6detail17trampoline_kernelINS0_14default_configENS1_20scan_config_selectorIsEEZZNS1_9scan_implILNS1_25lookback_scan_determinismE0ELb1ELb1ES3_N6thrust23THRUST_200600_302600_NS6detail15normal_iteratorINS9_10device_ptrIsEEEESE_sNS9_4plusIsEEsEEDaPvRmT3_T4_T5_mT6_P12ihipStream_tbENKUlT_T0_E_clISt17integral_constantIbLb0EEST_IbLb1EEEEDaSP_SQ_EUlSP_E0_NS1_11comp_targetILNS1_3genE10ELNS1_11target_archE1201ELNS1_3gpuE5ELNS1_3repE0EEENS1_30default_config_static_selectorELNS0_4arch9wavefront6targetE1EEEvT1_ ; -- Begin function _ZN7rocprim17ROCPRIM_400000_NS6detail17trampoline_kernelINS0_14default_configENS1_20scan_config_selectorIsEEZZNS1_9scan_implILNS1_25lookback_scan_determinismE0ELb1ELb1ES3_N6thrust23THRUST_200600_302600_NS6detail15normal_iteratorINS9_10device_ptrIsEEEESE_sNS9_4plusIsEEsEEDaPvRmT3_T4_T5_mT6_P12ihipStream_tbENKUlT_T0_E_clISt17integral_constantIbLb0EEST_IbLb1EEEEDaSP_SQ_EUlSP_E0_NS1_11comp_targetILNS1_3genE10ELNS1_11target_archE1201ELNS1_3gpuE5ELNS1_3repE0EEENS1_30default_config_static_selectorELNS0_4arch9wavefront6targetE1EEEvT1_
	.globl	_ZN7rocprim17ROCPRIM_400000_NS6detail17trampoline_kernelINS0_14default_configENS1_20scan_config_selectorIsEEZZNS1_9scan_implILNS1_25lookback_scan_determinismE0ELb1ELb1ES3_N6thrust23THRUST_200600_302600_NS6detail15normal_iteratorINS9_10device_ptrIsEEEESE_sNS9_4plusIsEEsEEDaPvRmT3_T4_T5_mT6_P12ihipStream_tbENKUlT_T0_E_clISt17integral_constantIbLb0EEST_IbLb1EEEEDaSP_SQ_EUlSP_E0_NS1_11comp_targetILNS1_3genE10ELNS1_11target_archE1201ELNS1_3gpuE5ELNS1_3repE0EEENS1_30default_config_static_selectorELNS0_4arch9wavefront6targetE1EEEvT1_
	.p2align	8
	.type	_ZN7rocprim17ROCPRIM_400000_NS6detail17trampoline_kernelINS0_14default_configENS1_20scan_config_selectorIsEEZZNS1_9scan_implILNS1_25lookback_scan_determinismE0ELb1ELb1ES3_N6thrust23THRUST_200600_302600_NS6detail15normal_iteratorINS9_10device_ptrIsEEEESE_sNS9_4plusIsEEsEEDaPvRmT3_T4_T5_mT6_P12ihipStream_tbENKUlT_T0_E_clISt17integral_constantIbLb0EEST_IbLb1EEEEDaSP_SQ_EUlSP_E0_NS1_11comp_targetILNS1_3genE10ELNS1_11target_archE1201ELNS1_3gpuE5ELNS1_3repE0EEENS1_30default_config_static_selectorELNS0_4arch9wavefront6targetE1EEEvT1_,@function
_ZN7rocprim17ROCPRIM_400000_NS6detail17trampoline_kernelINS0_14default_configENS1_20scan_config_selectorIsEEZZNS1_9scan_implILNS1_25lookback_scan_determinismE0ELb1ELb1ES3_N6thrust23THRUST_200600_302600_NS6detail15normal_iteratorINS9_10device_ptrIsEEEESE_sNS9_4plusIsEEsEEDaPvRmT3_T4_T5_mT6_P12ihipStream_tbENKUlT_T0_E_clISt17integral_constantIbLb0EEST_IbLb1EEEEDaSP_SQ_EUlSP_E0_NS1_11comp_targetILNS1_3genE10ELNS1_11target_archE1201ELNS1_3gpuE5ELNS1_3repE0EEENS1_30default_config_static_selectorELNS0_4arch9wavefront6targetE1EEEvT1_: ; @_ZN7rocprim17ROCPRIM_400000_NS6detail17trampoline_kernelINS0_14default_configENS1_20scan_config_selectorIsEEZZNS1_9scan_implILNS1_25lookback_scan_determinismE0ELb1ELb1ES3_N6thrust23THRUST_200600_302600_NS6detail15normal_iteratorINS9_10device_ptrIsEEEESE_sNS9_4plusIsEEsEEDaPvRmT3_T4_T5_mT6_P12ihipStream_tbENKUlT_T0_E_clISt17integral_constantIbLb0EEST_IbLb1EEEEDaSP_SQ_EUlSP_E0_NS1_11comp_targetILNS1_3genE10ELNS1_11target_archE1201ELNS1_3gpuE5ELNS1_3repE0EEENS1_30default_config_static_selectorELNS0_4arch9wavefront6targetE1EEEvT1_
; %bb.0:
	.section	.rodata,"a",@progbits
	.p2align	6, 0x0
	.amdhsa_kernel _ZN7rocprim17ROCPRIM_400000_NS6detail17trampoline_kernelINS0_14default_configENS1_20scan_config_selectorIsEEZZNS1_9scan_implILNS1_25lookback_scan_determinismE0ELb1ELb1ES3_N6thrust23THRUST_200600_302600_NS6detail15normal_iteratorINS9_10device_ptrIsEEEESE_sNS9_4plusIsEEsEEDaPvRmT3_T4_T5_mT6_P12ihipStream_tbENKUlT_T0_E_clISt17integral_constantIbLb0EEST_IbLb1EEEEDaSP_SQ_EUlSP_E0_NS1_11comp_targetILNS1_3genE10ELNS1_11target_archE1201ELNS1_3gpuE5ELNS1_3repE0EEENS1_30default_config_static_selectorELNS0_4arch9wavefront6targetE1EEEvT1_
		.amdhsa_group_segment_fixed_size 0
		.amdhsa_private_segment_fixed_size 0
		.amdhsa_kernarg_size 32
		.amdhsa_user_sgpr_count 6
		.amdhsa_user_sgpr_private_segment_buffer 1
		.amdhsa_user_sgpr_dispatch_ptr 0
		.amdhsa_user_sgpr_queue_ptr 0
		.amdhsa_user_sgpr_kernarg_segment_ptr 1
		.amdhsa_user_sgpr_dispatch_id 0
		.amdhsa_user_sgpr_flat_scratch_init 0
		.amdhsa_user_sgpr_kernarg_preload_length 0
		.amdhsa_user_sgpr_kernarg_preload_offset 0
		.amdhsa_user_sgpr_private_segment_size 0
		.amdhsa_uses_dynamic_stack 0
		.amdhsa_system_sgpr_private_segment_wavefront_offset 0
		.amdhsa_system_sgpr_workgroup_id_x 1
		.amdhsa_system_sgpr_workgroup_id_y 0
		.amdhsa_system_sgpr_workgroup_id_z 0
		.amdhsa_system_sgpr_workgroup_info 0
		.amdhsa_system_vgpr_workitem_id 0
		.amdhsa_next_free_vgpr 1
		.amdhsa_next_free_sgpr 0
		.amdhsa_accum_offset 4
		.amdhsa_reserve_vcc 0
		.amdhsa_reserve_flat_scratch 0
		.amdhsa_float_round_mode_32 0
		.amdhsa_float_round_mode_16_64 0
		.amdhsa_float_denorm_mode_32 3
		.amdhsa_float_denorm_mode_16_64 3
		.amdhsa_dx10_clamp 1
		.amdhsa_ieee_mode 1
		.amdhsa_fp16_overflow 0
		.amdhsa_tg_split 0
		.amdhsa_exception_fp_ieee_invalid_op 0
		.amdhsa_exception_fp_denorm_src 0
		.amdhsa_exception_fp_ieee_div_zero 0
		.amdhsa_exception_fp_ieee_overflow 0
		.amdhsa_exception_fp_ieee_underflow 0
		.amdhsa_exception_fp_ieee_inexact 0
		.amdhsa_exception_int_div_zero 0
	.end_amdhsa_kernel
	.section	.text._ZN7rocprim17ROCPRIM_400000_NS6detail17trampoline_kernelINS0_14default_configENS1_20scan_config_selectorIsEEZZNS1_9scan_implILNS1_25lookback_scan_determinismE0ELb1ELb1ES3_N6thrust23THRUST_200600_302600_NS6detail15normal_iteratorINS9_10device_ptrIsEEEESE_sNS9_4plusIsEEsEEDaPvRmT3_T4_T5_mT6_P12ihipStream_tbENKUlT_T0_E_clISt17integral_constantIbLb0EEST_IbLb1EEEEDaSP_SQ_EUlSP_E0_NS1_11comp_targetILNS1_3genE10ELNS1_11target_archE1201ELNS1_3gpuE5ELNS1_3repE0EEENS1_30default_config_static_selectorELNS0_4arch9wavefront6targetE1EEEvT1_,"axG",@progbits,_ZN7rocprim17ROCPRIM_400000_NS6detail17trampoline_kernelINS0_14default_configENS1_20scan_config_selectorIsEEZZNS1_9scan_implILNS1_25lookback_scan_determinismE0ELb1ELb1ES3_N6thrust23THRUST_200600_302600_NS6detail15normal_iteratorINS9_10device_ptrIsEEEESE_sNS9_4plusIsEEsEEDaPvRmT3_T4_T5_mT6_P12ihipStream_tbENKUlT_T0_E_clISt17integral_constantIbLb0EEST_IbLb1EEEEDaSP_SQ_EUlSP_E0_NS1_11comp_targetILNS1_3genE10ELNS1_11target_archE1201ELNS1_3gpuE5ELNS1_3repE0EEENS1_30default_config_static_selectorELNS0_4arch9wavefront6targetE1EEEvT1_,comdat
.Lfunc_end1263:
	.size	_ZN7rocprim17ROCPRIM_400000_NS6detail17trampoline_kernelINS0_14default_configENS1_20scan_config_selectorIsEEZZNS1_9scan_implILNS1_25lookback_scan_determinismE0ELb1ELb1ES3_N6thrust23THRUST_200600_302600_NS6detail15normal_iteratorINS9_10device_ptrIsEEEESE_sNS9_4plusIsEEsEEDaPvRmT3_T4_T5_mT6_P12ihipStream_tbENKUlT_T0_E_clISt17integral_constantIbLb0EEST_IbLb1EEEEDaSP_SQ_EUlSP_E0_NS1_11comp_targetILNS1_3genE10ELNS1_11target_archE1201ELNS1_3gpuE5ELNS1_3repE0EEENS1_30default_config_static_selectorELNS0_4arch9wavefront6targetE1EEEvT1_, .Lfunc_end1263-_ZN7rocprim17ROCPRIM_400000_NS6detail17trampoline_kernelINS0_14default_configENS1_20scan_config_selectorIsEEZZNS1_9scan_implILNS1_25lookback_scan_determinismE0ELb1ELb1ES3_N6thrust23THRUST_200600_302600_NS6detail15normal_iteratorINS9_10device_ptrIsEEEESE_sNS9_4plusIsEEsEEDaPvRmT3_T4_T5_mT6_P12ihipStream_tbENKUlT_T0_E_clISt17integral_constantIbLb0EEST_IbLb1EEEEDaSP_SQ_EUlSP_E0_NS1_11comp_targetILNS1_3genE10ELNS1_11target_archE1201ELNS1_3gpuE5ELNS1_3repE0EEENS1_30default_config_static_selectorELNS0_4arch9wavefront6targetE1EEEvT1_
                                        ; -- End function
	.section	.AMDGPU.csdata,"",@progbits
; Kernel info:
; codeLenInByte = 0
; NumSgprs: 4
; NumVgprs: 0
; NumAgprs: 0
; TotalNumVgprs: 0
; ScratchSize: 0
; MemoryBound: 0
; FloatMode: 240
; IeeeMode: 1
; LDSByteSize: 0 bytes/workgroup (compile time only)
; SGPRBlocks: 0
; VGPRBlocks: 0
; NumSGPRsForWavesPerEU: 4
; NumVGPRsForWavesPerEU: 1
; AccumOffset: 4
; Occupancy: 8
; WaveLimiterHint : 0
; COMPUTE_PGM_RSRC2:SCRATCH_EN: 0
; COMPUTE_PGM_RSRC2:USER_SGPR: 6
; COMPUTE_PGM_RSRC2:TRAP_HANDLER: 0
; COMPUTE_PGM_RSRC2:TGID_X_EN: 1
; COMPUTE_PGM_RSRC2:TGID_Y_EN: 0
; COMPUTE_PGM_RSRC2:TGID_Z_EN: 0
; COMPUTE_PGM_RSRC2:TIDIG_COMP_CNT: 0
; COMPUTE_PGM_RSRC3_GFX90A:ACCUM_OFFSET: 0
; COMPUTE_PGM_RSRC3_GFX90A:TG_SPLIT: 0
	.section	.text._ZN7rocprim17ROCPRIM_400000_NS6detail17trampoline_kernelINS0_14default_configENS1_20scan_config_selectorIsEEZZNS1_9scan_implILNS1_25lookback_scan_determinismE0ELb1ELb1ES3_N6thrust23THRUST_200600_302600_NS6detail15normal_iteratorINS9_10device_ptrIsEEEESE_sNS9_4plusIsEEsEEDaPvRmT3_T4_T5_mT6_P12ihipStream_tbENKUlT_T0_E_clISt17integral_constantIbLb0EEST_IbLb1EEEEDaSP_SQ_EUlSP_E0_NS1_11comp_targetILNS1_3genE10ELNS1_11target_archE1200ELNS1_3gpuE4ELNS1_3repE0EEENS1_30default_config_static_selectorELNS0_4arch9wavefront6targetE1EEEvT1_,"axG",@progbits,_ZN7rocprim17ROCPRIM_400000_NS6detail17trampoline_kernelINS0_14default_configENS1_20scan_config_selectorIsEEZZNS1_9scan_implILNS1_25lookback_scan_determinismE0ELb1ELb1ES3_N6thrust23THRUST_200600_302600_NS6detail15normal_iteratorINS9_10device_ptrIsEEEESE_sNS9_4plusIsEEsEEDaPvRmT3_T4_T5_mT6_P12ihipStream_tbENKUlT_T0_E_clISt17integral_constantIbLb0EEST_IbLb1EEEEDaSP_SQ_EUlSP_E0_NS1_11comp_targetILNS1_3genE10ELNS1_11target_archE1200ELNS1_3gpuE4ELNS1_3repE0EEENS1_30default_config_static_selectorELNS0_4arch9wavefront6targetE1EEEvT1_,comdat
	.protected	_ZN7rocprim17ROCPRIM_400000_NS6detail17trampoline_kernelINS0_14default_configENS1_20scan_config_selectorIsEEZZNS1_9scan_implILNS1_25lookback_scan_determinismE0ELb1ELb1ES3_N6thrust23THRUST_200600_302600_NS6detail15normal_iteratorINS9_10device_ptrIsEEEESE_sNS9_4plusIsEEsEEDaPvRmT3_T4_T5_mT6_P12ihipStream_tbENKUlT_T0_E_clISt17integral_constantIbLb0EEST_IbLb1EEEEDaSP_SQ_EUlSP_E0_NS1_11comp_targetILNS1_3genE10ELNS1_11target_archE1200ELNS1_3gpuE4ELNS1_3repE0EEENS1_30default_config_static_selectorELNS0_4arch9wavefront6targetE1EEEvT1_ ; -- Begin function _ZN7rocprim17ROCPRIM_400000_NS6detail17trampoline_kernelINS0_14default_configENS1_20scan_config_selectorIsEEZZNS1_9scan_implILNS1_25lookback_scan_determinismE0ELb1ELb1ES3_N6thrust23THRUST_200600_302600_NS6detail15normal_iteratorINS9_10device_ptrIsEEEESE_sNS9_4plusIsEEsEEDaPvRmT3_T4_T5_mT6_P12ihipStream_tbENKUlT_T0_E_clISt17integral_constantIbLb0EEST_IbLb1EEEEDaSP_SQ_EUlSP_E0_NS1_11comp_targetILNS1_3genE10ELNS1_11target_archE1200ELNS1_3gpuE4ELNS1_3repE0EEENS1_30default_config_static_selectorELNS0_4arch9wavefront6targetE1EEEvT1_
	.globl	_ZN7rocprim17ROCPRIM_400000_NS6detail17trampoline_kernelINS0_14default_configENS1_20scan_config_selectorIsEEZZNS1_9scan_implILNS1_25lookback_scan_determinismE0ELb1ELb1ES3_N6thrust23THRUST_200600_302600_NS6detail15normal_iteratorINS9_10device_ptrIsEEEESE_sNS9_4plusIsEEsEEDaPvRmT3_T4_T5_mT6_P12ihipStream_tbENKUlT_T0_E_clISt17integral_constantIbLb0EEST_IbLb1EEEEDaSP_SQ_EUlSP_E0_NS1_11comp_targetILNS1_3genE10ELNS1_11target_archE1200ELNS1_3gpuE4ELNS1_3repE0EEENS1_30default_config_static_selectorELNS0_4arch9wavefront6targetE1EEEvT1_
	.p2align	8
	.type	_ZN7rocprim17ROCPRIM_400000_NS6detail17trampoline_kernelINS0_14default_configENS1_20scan_config_selectorIsEEZZNS1_9scan_implILNS1_25lookback_scan_determinismE0ELb1ELb1ES3_N6thrust23THRUST_200600_302600_NS6detail15normal_iteratorINS9_10device_ptrIsEEEESE_sNS9_4plusIsEEsEEDaPvRmT3_T4_T5_mT6_P12ihipStream_tbENKUlT_T0_E_clISt17integral_constantIbLb0EEST_IbLb1EEEEDaSP_SQ_EUlSP_E0_NS1_11comp_targetILNS1_3genE10ELNS1_11target_archE1200ELNS1_3gpuE4ELNS1_3repE0EEENS1_30default_config_static_selectorELNS0_4arch9wavefront6targetE1EEEvT1_,@function
_ZN7rocprim17ROCPRIM_400000_NS6detail17trampoline_kernelINS0_14default_configENS1_20scan_config_selectorIsEEZZNS1_9scan_implILNS1_25lookback_scan_determinismE0ELb1ELb1ES3_N6thrust23THRUST_200600_302600_NS6detail15normal_iteratorINS9_10device_ptrIsEEEESE_sNS9_4plusIsEEsEEDaPvRmT3_T4_T5_mT6_P12ihipStream_tbENKUlT_T0_E_clISt17integral_constantIbLb0EEST_IbLb1EEEEDaSP_SQ_EUlSP_E0_NS1_11comp_targetILNS1_3genE10ELNS1_11target_archE1200ELNS1_3gpuE4ELNS1_3repE0EEENS1_30default_config_static_selectorELNS0_4arch9wavefront6targetE1EEEvT1_: ; @_ZN7rocprim17ROCPRIM_400000_NS6detail17trampoline_kernelINS0_14default_configENS1_20scan_config_selectorIsEEZZNS1_9scan_implILNS1_25lookback_scan_determinismE0ELb1ELb1ES3_N6thrust23THRUST_200600_302600_NS6detail15normal_iteratorINS9_10device_ptrIsEEEESE_sNS9_4plusIsEEsEEDaPvRmT3_T4_T5_mT6_P12ihipStream_tbENKUlT_T0_E_clISt17integral_constantIbLb0EEST_IbLb1EEEEDaSP_SQ_EUlSP_E0_NS1_11comp_targetILNS1_3genE10ELNS1_11target_archE1200ELNS1_3gpuE4ELNS1_3repE0EEENS1_30default_config_static_selectorELNS0_4arch9wavefront6targetE1EEEvT1_
; %bb.0:
	.section	.rodata,"a",@progbits
	.p2align	6, 0x0
	.amdhsa_kernel _ZN7rocprim17ROCPRIM_400000_NS6detail17trampoline_kernelINS0_14default_configENS1_20scan_config_selectorIsEEZZNS1_9scan_implILNS1_25lookback_scan_determinismE0ELb1ELb1ES3_N6thrust23THRUST_200600_302600_NS6detail15normal_iteratorINS9_10device_ptrIsEEEESE_sNS9_4plusIsEEsEEDaPvRmT3_T4_T5_mT6_P12ihipStream_tbENKUlT_T0_E_clISt17integral_constantIbLb0EEST_IbLb1EEEEDaSP_SQ_EUlSP_E0_NS1_11comp_targetILNS1_3genE10ELNS1_11target_archE1200ELNS1_3gpuE4ELNS1_3repE0EEENS1_30default_config_static_selectorELNS0_4arch9wavefront6targetE1EEEvT1_
		.amdhsa_group_segment_fixed_size 0
		.amdhsa_private_segment_fixed_size 0
		.amdhsa_kernarg_size 32
		.amdhsa_user_sgpr_count 6
		.amdhsa_user_sgpr_private_segment_buffer 1
		.amdhsa_user_sgpr_dispatch_ptr 0
		.amdhsa_user_sgpr_queue_ptr 0
		.amdhsa_user_sgpr_kernarg_segment_ptr 1
		.amdhsa_user_sgpr_dispatch_id 0
		.amdhsa_user_sgpr_flat_scratch_init 0
		.amdhsa_user_sgpr_kernarg_preload_length 0
		.amdhsa_user_sgpr_kernarg_preload_offset 0
		.amdhsa_user_sgpr_private_segment_size 0
		.amdhsa_uses_dynamic_stack 0
		.amdhsa_system_sgpr_private_segment_wavefront_offset 0
		.amdhsa_system_sgpr_workgroup_id_x 1
		.amdhsa_system_sgpr_workgroup_id_y 0
		.amdhsa_system_sgpr_workgroup_id_z 0
		.amdhsa_system_sgpr_workgroup_info 0
		.amdhsa_system_vgpr_workitem_id 0
		.amdhsa_next_free_vgpr 1
		.amdhsa_next_free_sgpr 0
		.amdhsa_accum_offset 4
		.amdhsa_reserve_vcc 0
		.amdhsa_reserve_flat_scratch 0
		.amdhsa_float_round_mode_32 0
		.amdhsa_float_round_mode_16_64 0
		.amdhsa_float_denorm_mode_32 3
		.amdhsa_float_denorm_mode_16_64 3
		.amdhsa_dx10_clamp 1
		.amdhsa_ieee_mode 1
		.amdhsa_fp16_overflow 0
		.amdhsa_tg_split 0
		.amdhsa_exception_fp_ieee_invalid_op 0
		.amdhsa_exception_fp_denorm_src 0
		.amdhsa_exception_fp_ieee_div_zero 0
		.amdhsa_exception_fp_ieee_overflow 0
		.amdhsa_exception_fp_ieee_underflow 0
		.amdhsa_exception_fp_ieee_inexact 0
		.amdhsa_exception_int_div_zero 0
	.end_amdhsa_kernel
	.section	.text._ZN7rocprim17ROCPRIM_400000_NS6detail17trampoline_kernelINS0_14default_configENS1_20scan_config_selectorIsEEZZNS1_9scan_implILNS1_25lookback_scan_determinismE0ELb1ELb1ES3_N6thrust23THRUST_200600_302600_NS6detail15normal_iteratorINS9_10device_ptrIsEEEESE_sNS9_4plusIsEEsEEDaPvRmT3_T4_T5_mT6_P12ihipStream_tbENKUlT_T0_E_clISt17integral_constantIbLb0EEST_IbLb1EEEEDaSP_SQ_EUlSP_E0_NS1_11comp_targetILNS1_3genE10ELNS1_11target_archE1200ELNS1_3gpuE4ELNS1_3repE0EEENS1_30default_config_static_selectorELNS0_4arch9wavefront6targetE1EEEvT1_,"axG",@progbits,_ZN7rocprim17ROCPRIM_400000_NS6detail17trampoline_kernelINS0_14default_configENS1_20scan_config_selectorIsEEZZNS1_9scan_implILNS1_25lookback_scan_determinismE0ELb1ELb1ES3_N6thrust23THRUST_200600_302600_NS6detail15normal_iteratorINS9_10device_ptrIsEEEESE_sNS9_4plusIsEEsEEDaPvRmT3_T4_T5_mT6_P12ihipStream_tbENKUlT_T0_E_clISt17integral_constantIbLb0EEST_IbLb1EEEEDaSP_SQ_EUlSP_E0_NS1_11comp_targetILNS1_3genE10ELNS1_11target_archE1200ELNS1_3gpuE4ELNS1_3repE0EEENS1_30default_config_static_selectorELNS0_4arch9wavefront6targetE1EEEvT1_,comdat
.Lfunc_end1264:
	.size	_ZN7rocprim17ROCPRIM_400000_NS6detail17trampoline_kernelINS0_14default_configENS1_20scan_config_selectorIsEEZZNS1_9scan_implILNS1_25lookback_scan_determinismE0ELb1ELb1ES3_N6thrust23THRUST_200600_302600_NS6detail15normal_iteratorINS9_10device_ptrIsEEEESE_sNS9_4plusIsEEsEEDaPvRmT3_T4_T5_mT6_P12ihipStream_tbENKUlT_T0_E_clISt17integral_constantIbLb0EEST_IbLb1EEEEDaSP_SQ_EUlSP_E0_NS1_11comp_targetILNS1_3genE10ELNS1_11target_archE1200ELNS1_3gpuE4ELNS1_3repE0EEENS1_30default_config_static_selectorELNS0_4arch9wavefront6targetE1EEEvT1_, .Lfunc_end1264-_ZN7rocprim17ROCPRIM_400000_NS6detail17trampoline_kernelINS0_14default_configENS1_20scan_config_selectorIsEEZZNS1_9scan_implILNS1_25lookback_scan_determinismE0ELb1ELb1ES3_N6thrust23THRUST_200600_302600_NS6detail15normal_iteratorINS9_10device_ptrIsEEEESE_sNS9_4plusIsEEsEEDaPvRmT3_T4_T5_mT6_P12ihipStream_tbENKUlT_T0_E_clISt17integral_constantIbLb0EEST_IbLb1EEEEDaSP_SQ_EUlSP_E0_NS1_11comp_targetILNS1_3genE10ELNS1_11target_archE1200ELNS1_3gpuE4ELNS1_3repE0EEENS1_30default_config_static_selectorELNS0_4arch9wavefront6targetE1EEEvT1_
                                        ; -- End function
	.section	.AMDGPU.csdata,"",@progbits
; Kernel info:
; codeLenInByte = 0
; NumSgprs: 4
; NumVgprs: 0
; NumAgprs: 0
; TotalNumVgprs: 0
; ScratchSize: 0
; MemoryBound: 0
; FloatMode: 240
; IeeeMode: 1
; LDSByteSize: 0 bytes/workgroup (compile time only)
; SGPRBlocks: 0
; VGPRBlocks: 0
; NumSGPRsForWavesPerEU: 4
; NumVGPRsForWavesPerEU: 1
; AccumOffset: 4
; Occupancy: 8
; WaveLimiterHint : 0
; COMPUTE_PGM_RSRC2:SCRATCH_EN: 0
; COMPUTE_PGM_RSRC2:USER_SGPR: 6
; COMPUTE_PGM_RSRC2:TRAP_HANDLER: 0
; COMPUTE_PGM_RSRC2:TGID_X_EN: 1
; COMPUTE_PGM_RSRC2:TGID_Y_EN: 0
; COMPUTE_PGM_RSRC2:TGID_Z_EN: 0
; COMPUTE_PGM_RSRC2:TIDIG_COMP_CNT: 0
; COMPUTE_PGM_RSRC3_GFX90A:ACCUM_OFFSET: 0
; COMPUTE_PGM_RSRC3_GFX90A:TG_SPLIT: 0
	.section	.text._ZN7rocprim17ROCPRIM_400000_NS6detail17trampoline_kernelINS0_14default_configENS1_20scan_config_selectorIsEEZZNS1_9scan_implILNS1_25lookback_scan_determinismE0ELb1ELb1ES3_N6thrust23THRUST_200600_302600_NS6detail15normal_iteratorINS9_10device_ptrIsEEEESE_sNS9_4plusIsEEsEEDaPvRmT3_T4_T5_mT6_P12ihipStream_tbENKUlT_T0_E_clISt17integral_constantIbLb0EEST_IbLb1EEEEDaSP_SQ_EUlSP_E0_NS1_11comp_targetILNS1_3genE9ELNS1_11target_archE1100ELNS1_3gpuE3ELNS1_3repE0EEENS1_30default_config_static_selectorELNS0_4arch9wavefront6targetE1EEEvT1_,"axG",@progbits,_ZN7rocprim17ROCPRIM_400000_NS6detail17trampoline_kernelINS0_14default_configENS1_20scan_config_selectorIsEEZZNS1_9scan_implILNS1_25lookback_scan_determinismE0ELb1ELb1ES3_N6thrust23THRUST_200600_302600_NS6detail15normal_iteratorINS9_10device_ptrIsEEEESE_sNS9_4plusIsEEsEEDaPvRmT3_T4_T5_mT6_P12ihipStream_tbENKUlT_T0_E_clISt17integral_constantIbLb0EEST_IbLb1EEEEDaSP_SQ_EUlSP_E0_NS1_11comp_targetILNS1_3genE9ELNS1_11target_archE1100ELNS1_3gpuE3ELNS1_3repE0EEENS1_30default_config_static_selectorELNS0_4arch9wavefront6targetE1EEEvT1_,comdat
	.protected	_ZN7rocprim17ROCPRIM_400000_NS6detail17trampoline_kernelINS0_14default_configENS1_20scan_config_selectorIsEEZZNS1_9scan_implILNS1_25lookback_scan_determinismE0ELb1ELb1ES3_N6thrust23THRUST_200600_302600_NS6detail15normal_iteratorINS9_10device_ptrIsEEEESE_sNS9_4plusIsEEsEEDaPvRmT3_T4_T5_mT6_P12ihipStream_tbENKUlT_T0_E_clISt17integral_constantIbLb0EEST_IbLb1EEEEDaSP_SQ_EUlSP_E0_NS1_11comp_targetILNS1_3genE9ELNS1_11target_archE1100ELNS1_3gpuE3ELNS1_3repE0EEENS1_30default_config_static_selectorELNS0_4arch9wavefront6targetE1EEEvT1_ ; -- Begin function _ZN7rocprim17ROCPRIM_400000_NS6detail17trampoline_kernelINS0_14default_configENS1_20scan_config_selectorIsEEZZNS1_9scan_implILNS1_25lookback_scan_determinismE0ELb1ELb1ES3_N6thrust23THRUST_200600_302600_NS6detail15normal_iteratorINS9_10device_ptrIsEEEESE_sNS9_4plusIsEEsEEDaPvRmT3_T4_T5_mT6_P12ihipStream_tbENKUlT_T0_E_clISt17integral_constantIbLb0EEST_IbLb1EEEEDaSP_SQ_EUlSP_E0_NS1_11comp_targetILNS1_3genE9ELNS1_11target_archE1100ELNS1_3gpuE3ELNS1_3repE0EEENS1_30default_config_static_selectorELNS0_4arch9wavefront6targetE1EEEvT1_
	.globl	_ZN7rocprim17ROCPRIM_400000_NS6detail17trampoline_kernelINS0_14default_configENS1_20scan_config_selectorIsEEZZNS1_9scan_implILNS1_25lookback_scan_determinismE0ELb1ELb1ES3_N6thrust23THRUST_200600_302600_NS6detail15normal_iteratorINS9_10device_ptrIsEEEESE_sNS9_4plusIsEEsEEDaPvRmT3_T4_T5_mT6_P12ihipStream_tbENKUlT_T0_E_clISt17integral_constantIbLb0EEST_IbLb1EEEEDaSP_SQ_EUlSP_E0_NS1_11comp_targetILNS1_3genE9ELNS1_11target_archE1100ELNS1_3gpuE3ELNS1_3repE0EEENS1_30default_config_static_selectorELNS0_4arch9wavefront6targetE1EEEvT1_
	.p2align	8
	.type	_ZN7rocprim17ROCPRIM_400000_NS6detail17trampoline_kernelINS0_14default_configENS1_20scan_config_selectorIsEEZZNS1_9scan_implILNS1_25lookback_scan_determinismE0ELb1ELb1ES3_N6thrust23THRUST_200600_302600_NS6detail15normal_iteratorINS9_10device_ptrIsEEEESE_sNS9_4plusIsEEsEEDaPvRmT3_T4_T5_mT6_P12ihipStream_tbENKUlT_T0_E_clISt17integral_constantIbLb0EEST_IbLb1EEEEDaSP_SQ_EUlSP_E0_NS1_11comp_targetILNS1_3genE9ELNS1_11target_archE1100ELNS1_3gpuE3ELNS1_3repE0EEENS1_30default_config_static_selectorELNS0_4arch9wavefront6targetE1EEEvT1_,@function
_ZN7rocprim17ROCPRIM_400000_NS6detail17trampoline_kernelINS0_14default_configENS1_20scan_config_selectorIsEEZZNS1_9scan_implILNS1_25lookback_scan_determinismE0ELb1ELb1ES3_N6thrust23THRUST_200600_302600_NS6detail15normal_iteratorINS9_10device_ptrIsEEEESE_sNS9_4plusIsEEsEEDaPvRmT3_T4_T5_mT6_P12ihipStream_tbENKUlT_T0_E_clISt17integral_constantIbLb0EEST_IbLb1EEEEDaSP_SQ_EUlSP_E0_NS1_11comp_targetILNS1_3genE9ELNS1_11target_archE1100ELNS1_3gpuE3ELNS1_3repE0EEENS1_30default_config_static_selectorELNS0_4arch9wavefront6targetE1EEEvT1_: ; @_ZN7rocprim17ROCPRIM_400000_NS6detail17trampoline_kernelINS0_14default_configENS1_20scan_config_selectorIsEEZZNS1_9scan_implILNS1_25lookback_scan_determinismE0ELb1ELb1ES3_N6thrust23THRUST_200600_302600_NS6detail15normal_iteratorINS9_10device_ptrIsEEEESE_sNS9_4plusIsEEsEEDaPvRmT3_T4_T5_mT6_P12ihipStream_tbENKUlT_T0_E_clISt17integral_constantIbLb0EEST_IbLb1EEEEDaSP_SQ_EUlSP_E0_NS1_11comp_targetILNS1_3genE9ELNS1_11target_archE1100ELNS1_3gpuE3ELNS1_3repE0EEENS1_30default_config_static_selectorELNS0_4arch9wavefront6targetE1EEEvT1_
; %bb.0:
	.section	.rodata,"a",@progbits
	.p2align	6, 0x0
	.amdhsa_kernel _ZN7rocprim17ROCPRIM_400000_NS6detail17trampoline_kernelINS0_14default_configENS1_20scan_config_selectorIsEEZZNS1_9scan_implILNS1_25lookback_scan_determinismE0ELb1ELb1ES3_N6thrust23THRUST_200600_302600_NS6detail15normal_iteratorINS9_10device_ptrIsEEEESE_sNS9_4plusIsEEsEEDaPvRmT3_T4_T5_mT6_P12ihipStream_tbENKUlT_T0_E_clISt17integral_constantIbLb0EEST_IbLb1EEEEDaSP_SQ_EUlSP_E0_NS1_11comp_targetILNS1_3genE9ELNS1_11target_archE1100ELNS1_3gpuE3ELNS1_3repE0EEENS1_30default_config_static_selectorELNS0_4arch9wavefront6targetE1EEEvT1_
		.amdhsa_group_segment_fixed_size 0
		.amdhsa_private_segment_fixed_size 0
		.amdhsa_kernarg_size 32
		.amdhsa_user_sgpr_count 6
		.amdhsa_user_sgpr_private_segment_buffer 1
		.amdhsa_user_sgpr_dispatch_ptr 0
		.amdhsa_user_sgpr_queue_ptr 0
		.amdhsa_user_sgpr_kernarg_segment_ptr 1
		.amdhsa_user_sgpr_dispatch_id 0
		.amdhsa_user_sgpr_flat_scratch_init 0
		.amdhsa_user_sgpr_kernarg_preload_length 0
		.amdhsa_user_sgpr_kernarg_preload_offset 0
		.amdhsa_user_sgpr_private_segment_size 0
		.amdhsa_uses_dynamic_stack 0
		.amdhsa_system_sgpr_private_segment_wavefront_offset 0
		.amdhsa_system_sgpr_workgroup_id_x 1
		.amdhsa_system_sgpr_workgroup_id_y 0
		.amdhsa_system_sgpr_workgroup_id_z 0
		.amdhsa_system_sgpr_workgroup_info 0
		.amdhsa_system_vgpr_workitem_id 0
		.amdhsa_next_free_vgpr 1
		.amdhsa_next_free_sgpr 0
		.amdhsa_accum_offset 4
		.amdhsa_reserve_vcc 0
		.amdhsa_reserve_flat_scratch 0
		.amdhsa_float_round_mode_32 0
		.amdhsa_float_round_mode_16_64 0
		.amdhsa_float_denorm_mode_32 3
		.amdhsa_float_denorm_mode_16_64 3
		.amdhsa_dx10_clamp 1
		.amdhsa_ieee_mode 1
		.amdhsa_fp16_overflow 0
		.amdhsa_tg_split 0
		.amdhsa_exception_fp_ieee_invalid_op 0
		.amdhsa_exception_fp_denorm_src 0
		.amdhsa_exception_fp_ieee_div_zero 0
		.amdhsa_exception_fp_ieee_overflow 0
		.amdhsa_exception_fp_ieee_underflow 0
		.amdhsa_exception_fp_ieee_inexact 0
		.amdhsa_exception_int_div_zero 0
	.end_amdhsa_kernel
	.section	.text._ZN7rocprim17ROCPRIM_400000_NS6detail17trampoline_kernelINS0_14default_configENS1_20scan_config_selectorIsEEZZNS1_9scan_implILNS1_25lookback_scan_determinismE0ELb1ELb1ES3_N6thrust23THRUST_200600_302600_NS6detail15normal_iteratorINS9_10device_ptrIsEEEESE_sNS9_4plusIsEEsEEDaPvRmT3_T4_T5_mT6_P12ihipStream_tbENKUlT_T0_E_clISt17integral_constantIbLb0EEST_IbLb1EEEEDaSP_SQ_EUlSP_E0_NS1_11comp_targetILNS1_3genE9ELNS1_11target_archE1100ELNS1_3gpuE3ELNS1_3repE0EEENS1_30default_config_static_selectorELNS0_4arch9wavefront6targetE1EEEvT1_,"axG",@progbits,_ZN7rocprim17ROCPRIM_400000_NS6detail17trampoline_kernelINS0_14default_configENS1_20scan_config_selectorIsEEZZNS1_9scan_implILNS1_25lookback_scan_determinismE0ELb1ELb1ES3_N6thrust23THRUST_200600_302600_NS6detail15normal_iteratorINS9_10device_ptrIsEEEESE_sNS9_4plusIsEEsEEDaPvRmT3_T4_T5_mT6_P12ihipStream_tbENKUlT_T0_E_clISt17integral_constantIbLb0EEST_IbLb1EEEEDaSP_SQ_EUlSP_E0_NS1_11comp_targetILNS1_3genE9ELNS1_11target_archE1100ELNS1_3gpuE3ELNS1_3repE0EEENS1_30default_config_static_selectorELNS0_4arch9wavefront6targetE1EEEvT1_,comdat
.Lfunc_end1265:
	.size	_ZN7rocprim17ROCPRIM_400000_NS6detail17trampoline_kernelINS0_14default_configENS1_20scan_config_selectorIsEEZZNS1_9scan_implILNS1_25lookback_scan_determinismE0ELb1ELb1ES3_N6thrust23THRUST_200600_302600_NS6detail15normal_iteratorINS9_10device_ptrIsEEEESE_sNS9_4plusIsEEsEEDaPvRmT3_T4_T5_mT6_P12ihipStream_tbENKUlT_T0_E_clISt17integral_constantIbLb0EEST_IbLb1EEEEDaSP_SQ_EUlSP_E0_NS1_11comp_targetILNS1_3genE9ELNS1_11target_archE1100ELNS1_3gpuE3ELNS1_3repE0EEENS1_30default_config_static_selectorELNS0_4arch9wavefront6targetE1EEEvT1_, .Lfunc_end1265-_ZN7rocprim17ROCPRIM_400000_NS6detail17trampoline_kernelINS0_14default_configENS1_20scan_config_selectorIsEEZZNS1_9scan_implILNS1_25lookback_scan_determinismE0ELb1ELb1ES3_N6thrust23THRUST_200600_302600_NS6detail15normal_iteratorINS9_10device_ptrIsEEEESE_sNS9_4plusIsEEsEEDaPvRmT3_T4_T5_mT6_P12ihipStream_tbENKUlT_T0_E_clISt17integral_constantIbLb0EEST_IbLb1EEEEDaSP_SQ_EUlSP_E0_NS1_11comp_targetILNS1_3genE9ELNS1_11target_archE1100ELNS1_3gpuE3ELNS1_3repE0EEENS1_30default_config_static_selectorELNS0_4arch9wavefront6targetE1EEEvT1_
                                        ; -- End function
	.section	.AMDGPU.csdata,"",@progbits
; Kernel info:
; codeLenInByte = 0
; NumSgprs: 4
; NumVgprs: 0
; NumAgprs: 0
; TotalNumVgprs: 0
; ScratchSize: 0
; MemoryBound: 0
; FloatMode: 240
; IeeeMode: 1
; LDSByteSize: 0 bytes/workgroup (compile time only)
; SGPRBlocks: 0
; VGPRBlocks: 0
; NumSGPRsForWavesPerEU: 4
; NumVGPRsForWavesPerEU: 1
; AccumOffset: 4
; Occupancy: 8
; WaveLimiterHint : 0
; COMPUTE_PGM_RSRC2:SCRATCH_EN: 0
; COMPUTE_PGM_RSRC2:USER_SGPR: 6
; COMPUTE_PGM_RSRC2:TRAP_HANDLER: 0
; COMPUTE_PGM_RSRC2:TGID_X_EN: 1
; COMPUTE_PGM_RSRC2:TGID_Y_EN: 0
; COMPUTE_PGM_RSRC2:TGID_Z_EN: 0
; COMPUTE_PGM_RSRC2:TIDIG_COMP_CNT: 0
; COMPUTE_PGM_RSRC3_GFX90A:ACCUM_OFFSET: 0
; COMPUTE_PGM_RSRC3_GFX90A:TG_SPLIT: 0
	.section	.text._ZN7rocprim17ROCPRIM_400000_NS6detail17trampoline_kernelINS0_14default_configENS1_20scan_config_selectorIsEEZZNS1_9scan_implILNS1_25lookback_scan_determinismE0ELb1ELb1ES3_N6thrust23THRUST_200600_302600_NS6detail15normal_iteratorINS9_10device_ptrIsEEEESE_sNS9_4plusIsEEsEEDaPvRmT3_T4_T5_mT6_P12ihipStream_tbENKUlT_T0_E_clISt17integral_constantIbLb0EEST_IbLb1EEEEDaSP_SQ_EUlSP_E0_NS1_11comp_targetILNS1_3genE8ELNS1_11target_archE1030ELNS1_3gpuE2ELNS1_3repE0EEENS1_30default_config_static_selectorELNS0_4arch9wavefront6targetE1EEEvT1_,"axG",@progbits,_ZN7rocprim17ROCPRIM_400000_NS6detail17trampoline_kernelINS0_14default_configENS1_20scan_config_selectorIsEEZZNS1_9scan_implILNS1_25lookback_scan_determinismE0ELb1ELb1ES3_N6thrust23THRUST_200600_302600_NS6detail15normal_iteratorINS9_10device_ptrIsEEEESE_sNS9_4plusIsEEsEEDaPvRmT3_T4_T5_mT6_P12ihipStream_tbENKUlT_T0_E_clISt17integral_constantIbLb0EEST_IbLb1EEEEDaSP_SQ_EUlSP_E0_NS1_11comp_targetILNS1_3genE8ELNS1_11target_archE1030ELNS1_3gpuE2ELNS1_3repE0EEENS1_30default_config_static_selectorELNS0_4arch9wavefront6targetE1EEEvT1_,comdat
	.protected	_ZN7rocprim17ROCPRIM_400000_NS6detail17trampoline_kernelINS0_14default_configENS1_20scan_config_selectorIsEEZZNS1_9scan_implILNS1_25lookback_scan_determinismE0ELb1ELb1ES3_N6thrust23THRUST_200600_302600_NS6detail15normal_iteratorINS9_10device_ptrIsEEEESE_sNS9_4plusIsEEsEEDaPvRmT3_T4_T5_mT6_P12ihipStream_tbENKUlT_T0_E_clISt17integral_constantIbLb0EEST_IbLb1EEEEDaSP_SQ_EUlSP_E0_NS1_11comp_targetILNS1_3genE8ELNS1_11target_archE1030ELNS1_3gpuE2ELNS1_3repE0EEENS1_30default_config_static_selectorELNS0_4arch9wavefront6targetE1EEEvT1_ ; -- Begin function _ZN7rocprim17ROCPRIM_400000_NS6detail17trampoline_kernelINS0_14default_configENS1_20scan_config_selectorIsEEZZNS1_9scan_implILNS1_25lookback_scan_determinismE0ELb1ELb1ES3_N6thrust23THRUST_200600_302600_NS6detail15normal_iteratorINS9_10device_ptrIsEEEESE_sNS9_4plusIsEEsEEDaPvRmT3_T4_T5_mT6_P12ihipStream_tbENKUlT_T0_E_clISt17integral_constantIbLb0EEST_IbLb1EEEEDaSP_SQ_EUlSP_E0_NS1_11comp_targetILNS1_3genE8ELNS1_11target_archE1030ELNS1_3gpuE2ELNS1_3repE0EEENS1_30default_config_static_selectorELNS0_4arch9wavefront6targetE1EEEvT1_
	.globl	_ZN7rocprim17ROCPRIM_400000_NS6detail17trampoline_kernelINS0_14default_configENS1_20scan_config_selectorIsEEZZNS1_9scan_implILNS1_25lookback_scan_determinismE0ELb1ELb1ES3_N6thrust23THRUST_200600_302600_NS6detail15normal_iteratorINS9_10device_ptrIsEEEESE_sNS9_4plusIsEEsEEDaPvRmT3_T4_T5_mT6_P12ihipStream_tbENKUlT_T0_E_clISt17integral_constantIbLb0EEST_IbLb1EEEEDaSP_SQ_EUlSP_E0_NS1_11comp_targetILNS1_3genE8ELNS1_11target_archE1030ELNS1_3gpuE2ELNS1_3repE0EEENS1_30default_config_static_selectorELNS0_4arch9wavefront6targetE1EEEvT1_
	.p2align	8
	.type	_ZN7rocprim17ROCPRIM_400000_NS6detail17trampoline_kernelINS0_14default_configENS1_20scan_config_selectorIsEEZZNS1_9scan_implILNS1_25lookback_scan_determinismE0ELb1ELb1ES3_N6thrust23THRUST_200600_302600_NS6detail15normal_iteratorINS9_10device_ptrIsEEEESE_sNS9_4plusIsEEsEEDaPvRmT3_T4_T5_mT6_P12ihipStream_tbENKUlT_T0_E_clISt17integral_constantIbLb0EEST_IbLb1EEEEDaSP_SQ_EUlSP_E0_NS1_11comp_targetILNS1_3genE8ELNS1_11target_archE1030ELNS1_3gpuE2ELNS1_3repE0EEENS1_30default_config_static_selectorELNS0_4arch9wavefront6targetE1EEEvT1_,@function
_ZN7rocprim17ROCPRIM_400000_NS6detail17trampoline_kernelINS0_14default_configENS1_20scan_config_selectorIsEEZZNS1_9scan_implILNS1_25lookback_scan_determinismE0ELb1ELb1ES3_N6thrust23THRUST_200600_302600_NS6detail15normal_iteratorINS9_10device_ptrIsEEEESE_sNS9_4plusIsEEsEEDaPvRmT3_T4_T5_mT6_P12ihipStream_tbENKUlT_T0_E_clISt17integral_constantIbLb0EEST_IbLb1EEEEDaSP_SQ_EUlSP_E0_NS1_11comp_targetILNS1_3genE8ELNS1_11target_archE1030ELNS1_3gpuE2ELNS1_3repE0EEENS1_30default_config_static_selectorELNS0_4arch9wavefront6targetE1EEEvT1_: ; @_ZN7rocprim17ROCPRIM_400000_NS6detail17trampoline_kernelINS0_14default_configENS1_20scan_config_selectorIsEEZZNS1_9scan_implILNS1_25lookback_scan_determinismE0ELb1ELb1ES3_N6thrust23THRUST_200600_302600_NS6detail15normal_iteratorINS9_10device_ptrIsEEEESE_sNS9_4plusIsEEsEEDaPvRmT3_T4_T5_mT6_P12ihipStream_tbENKUlT_T0_E_clISt17integral_constantIbLb0EEST_IbLb1EEEEDaSP_SQ_EUlSP_E0_NS1_11comp_targetILNS1_3genE8ELNS1_11target_archE1030ELNS1_3gpuE2ELNS1_3repE0EEENS1_30default_config_static_selectorELNS0_4arch9wavefront6targetE1EEEvT1_
; %bb.0:
	.section	.rodata,"a",@progbits
	.p2align	6, 0x0
	.amdhsa_kernel _ZN7rocprim17ROCPRIM_400000_NS6detail17trampoline_kernelINS0_14default_configENS1_20scan_config_selectorIsEEZZNS1_9scan_implILNS1_25lookback_scan_determinismE0ELb1ELb1ES3_N6thrust23THRUST_200600_302600_NS6detail15normal_iteratorINS9_10device_ptrIsEEEESE_sNS9_4plusIsEEsEEDaPvRmT3_T4_T5_mT6_P12ihipStream_tbENKUlT_T0_E_clISt17integral_constantIbLb0EEST_IbLb1EEEEDaSP_SQ_EUlSP_E0_NS1_11comp_targetILNS1_3genE8ELNS1_11target_archE1030ELNS1_3gpuE2ELNS1_3repE0EEENS1_30default_config_static_selectorELNS0_4arch9wavefront6targetE1EEEvT1_
		.amdhsa_group_segment_fixed_size 0
		.amdhsa_private_segment_fixed_size 0
		.amdhsa_kernarg_size 32
		.amdhsa_user_sgpr_count 6
		.amdhsa_user_sgpr_private_segment_buffer 1
		.amdhsa_user_sgpr_dispatch_ptr 0
		.amdhsa_user_sgpr_queue_ptr 0
		.amdhsa_user_sgpr_kernarg_segment_ptr 1
		.amdhsa_user_sgpr_dispatch_id 0
		.amdhsa_user_sgpr_flat_scratch_init 0
		.amdhsa_user_sgpr_kernarg_preload_length 0
		.amdhsa_user_sgpr_kernarg_preload_offset 0
		.amdhsa_user_sgpr_private_segment_size 0
		.amdhsa_uses_dynamic_stack 0
		.amdhsa_system_sgpr_private_segment_wavefront_offset 0
		.amdhsa_system_sgpr_workgroup_id_x 1
		.amdhsa_system_sgpr_workgroup_id_y 0
		.amdhsa_system_sgpr_workgroup_id_z 0
		.amdhsa_system_sgpr_workgroup_info 0
		.amdhsa_system_vgpr_workitem_id 0
		.amdhsa_next_free_vgpr 1
		.amdhsa_next_free_sgpr 0
		.amdhsa_accum_offset 4
		.amdhsa_reserve_vcc 0
		.amdhsa_reserve_flat_scratch 0
		.amdhsa_float_round_mode_32 0
		.amdhsa_float_round_mode_16_64 0
		.amdhsa_float_denorm_mode_32 3
		.amdhsa_float_denorm_mode_16_64 3
		.amdhsa_dx10_clamp 1
		.amdhsa_ieee_mode 1
		.amdhsa_fp16_overflow 0
		.amdhsa_tg_split 0
		.amdhsa_exception_fp_ieee_invalid_op 0
		.amdhsa_exception_fp_denorm_src 0
		.amdhsa_exception_fp_ieee_div_zero 0
		.amdhsa_exception_fp_ieee_overflow 0
		.amdhsa_exception_fp_ieee_underflow 0
		.amdhsa_exception_fp_ieee_inexact 0
		.amdhsa_exception_int_div_zero 0
	.end_amdhsa_kernel
	.section	.text._ZN7rocprim17ROCPRIM_400000_NS6detail17trampoline_kernelINS0_14default_configENS1_20scan_config_selectorIsEEZZNS1_9scan_implILNS1_25lookback_scan_determinismE0ELb1ELb1ES3_N6thrust23THRUST_200600_302600_NS6detail15normal_iteratorINS9_10device_ptrIsEEEESE_sNS9_4plusIsEEsEEDaPvRmT3_T4_T5_mT6_P12ihipStream_tbENKUlT_T0_E_clISt17integral_constantIbLb0EEST_IbLb1EEEEDaSP_SQ_EUlSP_E0_NS1_11comp_targetILNS1_3genE8ELNS1_11target_archE1030ELNS1_3gpuE2ELNS1_3repE0EEENS1_30default_config_static_selectorELNS0_4arch9wavefront6targetE1EEEvT1_,"axG",@progbits,_ZN7rocprim17ROCPRIM_400000_NS6detail17trampoline_kernelINS0_14default_configENS1_20scan_config_selectorIsEEZZNS1_9scan_implILNS1_25lookback_scan_determinismE0ELb1ELb1ES3_N6thrust23THRUST_200600_302600_NS6detail15normal_iteratorINS9_10device_ptrIsEEEESE_sNS9_4plusIsEEsEEDaPvRmT3_T4_T5_mT6_P12ihipStream_tbENKUlT_T0_E_clISt17integral_constantIbLb0EEST_IbLb1EEEEDaSP_SQ_EUlSP_E0_NS1_11comp_targetILNS1_3genE8ELNS1_11target_archE1030ELNS1_3gpuE2ELNS1_3repE0EEENS1_30default_config_static_selectorELNS0_4arch9wavefront6targetE1EEEvT1_,comdat
.Lfunc_end1266:
	.size	_ZN7rocprim17ROCPRIM_400000_NS6detail17trampoline_kernelINS0_14default_configENS1_20scan_config_selectorIsEEZZNS1_9scan_implILNS1_25lookback_scan_determinismE0ELb1ELb1ES3_N6thrust23THRUST_200600_302600_NS6detail15normal_iteratorINS9_10device_ptrIsEEEESE_sNS9_4plusIsEEsEEDaPvRmT3_T4_T5_mT6_P12ihipStream_tbENKUlT_T0_E_clISt17integral_constantIbLb0EEST_IbLb1EEEEDaSP_SQ_EUlSP_E0_NS1_11comp_targetILNS1_3genE8ELNS1_11target_archE1030ELNS1_3gpuE2ELNS1_3repE0EEENS1_30default_config_static_selectorELNS0_4arch9wavefront6targetE1EEEvT1_, .Lfunc_end1266-_ZN7rocprim17ROCPRIM_400000_NS6detail17trampoline_kernelINS0_14default_configENS1_20scan_config_selectorIsEEZZNS1_9scan_implILNS1_25lookback_scan_determinismE0ELb1ELb1ES3_N6thrust23THRUST_200600_302600_NS6detail15normal_iteratorINS9_10device_ptrIsEEEESE_sNS9_4plusIsEEsEEDaPvRmT3_T4_T5_mT6_P12ihipStream_tbENKUlT_T0_E_clISt17integral_constantIbLb0EEST_IbLb1EEEEDaSP_SQ_EUlSP_E0_NS1_11comp_targetILNS1_3genE8ELNS1_11target_archE1030ELNS1_3gpuE2ELNS1_3repE0EEENS1_30default_config_static_selectorELNS0_4arch9wavefront6targetE1EEEvT1_
                                        ; -- End function
	.section	.AMDGPU.csdata,"",@progbits
; Kernel info:
; codeLenInByte = 0
; NumSgprs: 4
; NumVgprs: 0
; NumAgprs: 0
; TotalNumVgprs: 0
; ScratchSize: 0
; MemoryBound: 0
; FloatMode: 240
; IeeeMode: 1
; LDSByteSize: 0 bytes/workgroup (compile time only)
; SGPRBlocks: 0
; VGPRBlocks: 0
; NumSGPRsForWavesPerEU: 4
; NumVGPRsForWavesPerEU: 1
; AccumOffset: 4
; Occupancy: 8
; WaveLimiterHint : 0
; COMPUTE_PGM_RSRC2:SCRATCH_EN: 0
; COMPUTE_PGM_RSRC2:USER_SGPR: 6
; COMPUTE_PGM_RSRC2:TRAP_HANDLER: 0
; COMPUTE_PGM_RSRC2:TGID_X_EN: 1
; COMPUTE_PGM_RSRC2:TGID_Y_EN: 0
; COMPUTE_PGM_RSRC2:TGID_Z_EN: 0
; COMPUTE_PGM_RSRC2:TIDIG_COMP_CNT: 0
; COMPUTE_PGM_RSRC3_GFX90A:ACCUM_OFFSET: 0
; COMPUTE_PGM_RSRC3_GFX90A:TG_SPLIT: 0
	.section	.text._ZN7rocprim17ROCPRIM_400000_NS6detail17trampoline_kernelINS0_14default_configENS1_20scan_config_selectorIsEEZZNS1_9scan_implILNS1_25lookback_scan_determinismE0ELb0ELb1ES3_N6thrust23THRUST_200600_302600_NS6detail15normal_iteratorINS9_10device_ptrIsEEEESE_sNS9_4plusIsEEsEEDaPvRmT3_T4_T5_mT6_P12ihipStream_tbENKUlT_T0_E_clISt17integral_constantIbLb0EESU_EEDaSP_SQ_EUlSP_E_NS1_11comp_targetILNS1_3genE0ELNS1_11target_archE4294967295ELNS1_3gpuE0ELNS1_3repE0EEENS1_30default_config_static_selectorELNS0_4arch9wavefront6targetE1EEEvT1_,"axG",@progbits,_ZN7rocprim17ROCPRIM_400000_NS6detail17trampoline_kernelINS0_14default_configENS1_20scan_config_selectorIsEEZZNS1_9scan_implILNS1_25lookback_scan_determinismE0ELb0ELb1ES3_N6thrust23THRUST_200600_302600_NS6detail15normal_iteratorINS9_10device_ptrIsEEEESE_sNS9_4plusIsEEsEEDaPvRmT3_T4_T5_mT6_P12ihipStream_tbENKUlT_T0_E_clISt17integral_constantIbLb0EESU_EEDaSP_SQ_EUlSP_E_NS1_11comp_targetILNS1_3genE0ELNS1_11target_archE4294967295ELNS1_3gpuE0ELNS1_3repE0EEENS1_30default_config_static_selectorELNS0_4arch9wavefront6targetE1EEEvT1_,comdat
	.protected	_ZN7rocprim17ROCPRIM_400000_NS6detail17trampoline_kernelINS0_14default_configENS1_20scan_config_selectorIsEEZZNS1_9scan_implILNS1_25lookback_scan_determinismE0ELb0ELb1ES3_N6thrust23THRUST_200600_302600_NS6detail15normal_iteratorINS9_10device_ptrIsEEEESE_sNS9_4plusIsEEsEEDaPvRmT3_T4_T5_mT6_P12ihipStream_tbENKUlT_T0_E_clISt17integral_constantIbLb0EESU_EEDaSP_SQ_EUlSP_E_NS1_11comp_targetILNS1_3genE0ELNS1_11target_archE4294967295ELNS1_3gpuE0ELNS1_3repE0EEENS1_30default_config_static_selectorELNS0_4arch9wavefront6targetE1EEEvT1_ ; -- Begin function _ZN7rocprim17ROCPRIM_400000_NS6detail17trampoline_kernelINS0_14default_configENS1_20scan_config_selectorIsEEZZNS1_9scan_implILNS1_25lookback_scan_determinismE0ELb0ELb1ES3_N6thrust23THRUST_200600_302600_NS6detail15normal_iteratorINS9_10device_ptrIsEEEESE_sNS9_4plusIsEEsEEDaPvRmT3_T4_T5_mT6_P12ihipStream_tbENKUlT_T0_E_clISt17integral_constantIbLb0EESU_EEDaSP_SQ_EUlSP_E_NS1_11comp_targetILNS1_3genE0ELNS1_11target_archE4294967295ELNS1_3gpuE0ELNS1_3repE0EEENS1_30default_config_static_selectorELNS0_4arch9wavefront6targetE1EEEvT1_
	.globl	_ZN7rocprim17ROCPRIM_400000_NS6detail17trampoline_kernelINS0_14default_configENS1_20scan_config_selectorIsEEZZNS1_9scan_implILNS1_25lookback_scan_determinismE0ELb0ELb1ES3_N6thrust23THRUST_200600_302600_NS6detail15normal_iteratorINS9_10device_ptrIsEEEESE_sNS9_4plusIsEEsEEDaPvRmT3_T4_T5_mT6_P12ihipStream_tbENKUlT_T0_E_clISt17integral_constantIbLb0EESU_EEDaSP_SQ_EUlSP_E_NS1_11comp_targetILNS1_3genE0ELNS1_11target_archE4294967295ELNS1_3gpuE0ELNS1_3repE0EEENS1_30default_config_static_selectorELNS0_4arch9wavefront6targetE1EEEvT1_
	.p2align	8
	.type	_ZN7rocprim17ROCPRIM_400000_NS6detail17trampoline_kernelINS0_14default_configENS1_20scan_config_selectorIsEEZZNS1_9scan_implILNS1_25lookback_scan_determinismE0ELb0ELb1ES3_N6thrust23THRUST_200600_302600_NS6detail15normal_iteratorINS9_10device_ptrIsEEEESE_sNS9_4plusIsEEsEEDaPvRmT3_T4_T5_mT6_P12ihipStream_tbENKUlT_T0_E_clISt17integral_constantIbLb0EESU_EEDaSP_SQ_EUlSP_E_NS1_11comp_targetILNS1_3genE0ELNS1_11target_archE4294967295ELNS1_3gpuE0ELNS1_3repE0EEENS1_30default_config_static_selectorELNS0_4arch9wavefront6targetE1EEEvT1_,@function
_ZN7rocprim17ROCPRIM_400000_NS6detail17trampoline_kernelINS0_14default_configENS1_20scan_config_selectorIsEEZZNS1_9scan_implILNS1_25lookback_scan_determinismE0ELb0ELb1ES3_N6thrust23THRUST_200600_302600_NS6detail15normal_iteratorINS9_10device_ptrIsEEEESE_sNS9_4plusIsEEsEEDaPvRmT3_T4_T5_mT6_P12ihipStream_tbENKUlT_T0_E_clISt17integral_constantIbLb0EESU_EEDaSP_SQ_EUlSP_E_NS1_11comp_targetILNS1_3genE0ELNS1_11target_archE4294967295ELNS1_3gpuE0ELNS1_3repE0EEENS1_30default_config_static_selectorELNS0_4arch9wavefront6targetE1EEEvT1_: ; @_ZN7rocprim17ROCPRIM_400000_NS6detail17trampoline_kernelINS0_14default_configENS1_20scan_config_selectorIsEEZZNS1_9scan_implILNS1_25lookback_scan_determinismE0ELb0ELb1ES3_N6thrust23THRUST_200600_302600_NS6detail15normal_iteratorINS9_10device_ptrIsEEEESE_sNS9_4plusIsEEsEEDaPvRmT3_T4_T5_mT6_P12ihipStream_tbENKUlT_T0_E_clISt17integral_constantIbLb0EESU_EEDaSP_SQ_EUlSP_E_NS1_11comp_targetILNS1_3genE0ELNS1_11target_archE4294967295ELNS1_3gpuE0ELNS1_3repE0EEENS1_30default_config_static_selectorELNS0_4arch9wavefront6targetE1EEEvT1_
; %bb.0:
	.section	.rodata,"a",@progbits
	.p2align	6, 0x0
	.amdhsa_kernel _ZN7rocprim17ROCPRIM_400000_NS6detail17trampoline_kernelINS0_14default_configENS1_20scan_config_selectorIsEEZZNS1_9scan_implILNS1_25lookback_scan_determinismE0ELb0ELb1ES3_N6thrust23THRUST_200600_302600_NS6detail15normal_iteratorINS9_10device_ptrIsEEEESE_sNS9_4plusIsEEsEEDaPvRmT3_T4_T5_mT6_P12ihipStream_tbENKUlT_T0_E_clISt17integral_constantIbLb0EESU_EEDaSP_SQ_EUlSP_E_NS1_11comp_targetILNS1_3genE0ELNS1_11target_archE4294967295ELNS1_3gpuE0ELNS1_3repE0EEENS1_30default_config_static_selectorELNS0_4arch9wavefront6targetE1EEEvT1_
		.amdhsa_group_segment_fixed_size 0
		.amdhsa_private_segment_fixed_size 0
		.amdhsa_kernarg_size 96
		.amdhsa_user_sgpr_count 6
		.amdhsa_user_sgpr_private_segment_buffer 1
		.amdhsa_user_sgpr_dispatch_ptr 0
		.amdhsa_user_sgpr_queue_ptr 0
		.amdhsa_user_sgpr_kernarg_segment_ptr 1
		.amdhsa_user_sgpr_dispatch_id 0
		.amdhsa_user_sgpr_flat_scratch_init 0
		.amdhsa_user_sgpr_kernarg_preload_length 0
		.amdhsa_user_sgpr_kernarg_preload_offset 0
		.amdhsa_user_sgpr_private_segment_size 0
		.amdhsa_uses_dynamic_stack 0
		.amdhsa_system_sgpr_private_segment_wavefront_offset 0
		.amdhsa_system_sgpr_workgroup_id_x 1
		.amdhsa_system_sgpr_workgroup_id_y 0
		.amdhsa_system_sgpr_workgroup_id_z 0
		.amdhsa_system_sgpr_workgroup_info 0
		.amdhsa_system_vgpr_workitem_id 0
		.amdhsa_next_free_vgpr 1
		.amdhsa_next_free_sgpr 0
		.amdhsa_accum_offset 4
		.amdhsa_reserve_vcc 0
		.amdhsa_reserve_flat_scratch 0
		.amdhsa_float_round_mode_32 0
		.amdhsa_float_round_mode_16_64 0
		.amdhsa_float_denorm_mode_32 3
		.amdhsa_float_denorm_mode_16_64 3
		.amdhsa_dx10_clamp 1
		.amdhsa_ieee_mode 1
		.amdhsa_fp16_overflow 0
		.amdhsa_tg_split 0
		.amdhsa_exception_fp_ieee_invalid_op 0
		.amdhsa_exception_fp_denorm_src 0
		.amdhsa_exception_fp_ieee_div_zero 0
		.amdhsa_exception_fp_ieee_overflow 0
		.amdhsa_exception_fp_ieee_underflow 0
		.amdhsa_exception_fp_ieee_inexact 0
		.amdhsa_exception_int_div_zero 0
	.end_amdhsa_kernel
	.section	.text._ZN7rocprim17ROCPRIM_400000_NS6detail17trampoline_kernelINS0_14default_configENS1_20scan_config_selectorIsEEZZNS1_9scan_implILNS1_25lookback_scan_determinismE0ELb0ELb1ES3_N6thrust23THRUST_200600_302600_NS6detail15normal_iteratorINS9_10device_ptrIsEEEESE_sNS9_4plusIsEEsEEDaPvRmT3_T4_T5_mT6_P12ihipStream_tbENKUlT_T0_E_clISt17integral_constantIbLb0EESU_EEDaSP_SQ_EUlSP_E_NS1_11comp_targetILNS1_3genE0ELNS1_11target_archE4294967295ELNS1_3gpuE0ELNS1_3repE0EEENS1_30default_config_static_selectorELNS0_4arch9wavefront6targetE1EEEvT1_,"axG",@progbits,_ZN7rocprim17ROCPRIM_400000_NS6detail17trampoline_kernelINS0_14default_configENS1_20scan_config_selectorIsEEZZNS1_9scan_implILNS1_25lookback_scan_determinismE0ELb0ELb1ES3_N6thrust23THRUST_200600_302600_NS6detail15normal_iteratorINS9_10device_ptrIsEEEESE_sNS9_4plusIsEEsEEDaPvRmT3_T4_T5_mT6_P12ihipStream_tbENKUlT_T0_E_clISt17integral_constantIbLb0EESU_EEDaSP_SQ_EUlSP_E_NS1_11comp_targetILNS1_3genE0ELNS1_11target_archE4294967295ELNS1_3gpuE0ELNS1_3repE0EEENS1_30default_config_static_selectorELNS0_4arch9wavefront6targetE1EEEvT1_,comdat
.Lfunc_end1267:
	.size	_ZN7rocprim17ROCPRIM_400000_NS6detail17trampoline_kernelINS0_14default_configENS1_20scan_config_selectorIsEEZZNS1_9scan_implILNS1_25lookback_scan_determinismE0ELb0ELb1ES3_N6thrust23THRUST_200600_302600_NS6detail15normal_iteratorINS9_10device_ptrIsEEEESE_sNS9_4plusIsEEsEEDaPvRmT3_T4_T5_mT6_P12ihipStream_tbENKUlT_T0_E_clISt17integral_constantIbLb0EESU_EEDaSP_SQ_EUlSP_E_NS1_11comp_targetILNS1_3genE0ELNS1_11target_archE4294967295ELNS1_3gpuE0ELNS1_3repE0EEENS1_30default_config_static_selectorELNS0_4arch9wavefront6targetE1EEEvT1_, .Lfunc_end1267-_ZN7rocprim17ROCPRIM_400000_NS6detail17trampoline_kernelINS0_14default_configENS1_20scan_config_selectorIsEEZZNS1_9scan_implILNS1_25lookback_scan_determinismE0ELb0ELb1ES3_N6thrust23THRUST_200600_302600_NS6detail15normal_iteratorINS9_10device_ptrIsEEEESE_sNS9_4plusIsEEsEEDaPvRmT3_T4_T5_mT6_P12ihipStream_tbENKUlT_T0_E_clISt17integral_constantIbLb0EESU_EEDaSP_SQ_EUlSP_E_NS1_11comp_targetILNS1_3genE0ELNS1_11target_archE4294967295ELNS1_3gpuE0ELNS1_3repE0EEENS1_30default_config_static_selectorELNS0_4arch9wavefront6targetE1EEEvT1_
                                        ; -- End function
	.section	.AMDGPU.csdata,"",@progbits
; Kernel info:
; codeLenInByte = 0
; NumSgprs: 4
; NumVgprs: 0
; NumAgprs: 0
; TotalNumVgprs: 0
; ScratchSize: 0
; MemoryBound: 0
; FloatMode: 240
; IeeeMode: 1
; LDSByteSize: 0 bytes/workgroup (compile time only)
; SGPRBlocks: 0
; VGPRBlocks: 0
; NumSGPRsForWavesPerEU: 4
; NumVGPRsForWavesPerEU: 1
; AccumOffset: 4
; Occupancy: 8
; WaveLimiterHint : 0
; COMPUTE_PGM_RSRC2:SCRATCH_EN: 0
; COMPUTE_PGM_RSRC2:USER_SGPR: 6
; COMPUTE_PGM_RSRC2:TRAP_HANDLER: 0
; COMPUTE_PGM_RSRC2:TGID_X_EN: 1
; COMPUTE_PGM_RSRC2:TGID_Y_EN: 0
; COMPUTE_PGM_RSRC2:TGID_Z_EN: 0
; COMPUTE_PGM_RSRC2:TIDIG_COMP_CNT: 0
; COMPUTE_PGM_RSRC3_GFX90A:ACCUM_OFFSET: 0
; COMPUTE_PGM_RSRC3_GFX90A:TG_SPLIT: 0
	.section	.text._ZN7rocprim17ROCPRIM_400000_NS6detail17trampoline_kernelINS0_14default_configENS1_20scan_config_selectorIsEEZZNS1_9scan_implILNS1_25lookback_scan_determinismE0ELb0ELb1ES3_N6thrust23THRUST_200600_302600_NS6detail15normal_iteratorINS9_10device_ptrIsEEEESE_sNS9_4plusIsEEsEEDaPvRmT3_T4_T5_mT6_P12ihipStream_tbENKUlT_T0_E_clISt17integral_constantIbLb0EESU_EEDaSP_SQ_EUlSP_E_NS1_11comp_targetILNS1_3genE5ELNS1_11target_archE942ELNS1_3gpuE9ELNS1_3repE0EEENS1_30default_config_static_selectorELNS0_4arch9wavefront6targetE1EEEvT1_,"axG",@progbits,_ZN7rocprim17ROCPRIM_400000_NS6detail17trampoline_kernelINS0_14default_configENS1_20scan_config_selectorIsEEZZNS1_9scan_implILNS1_25lookback_scan_determinismE0ELb0ELb1ES3_N6thrust23THRUST_200600_302600_NS6detail15normal_iteratorINS9_10device_ptrIsEEEESE_sNS9_4plusIsEEsEEDaPvRmT3_T4_T5_mT6_P12ihipStream_tbENKUlT_T0_E_clISt17integral_constantIbLb0EESU_EEDaSP_SQ_EUlSP_E_NS1_11comp_targetILNS1_3genE5ELNS1_11target_archE942ELNS1_3gpuE9ELNS1_3repE0EEENS1_30default_config_static_selectorELNS0_4arch9wavefront6targetE1EEEvT1_,comdat
	.protected	_ZN7rocprim17ROCPRIM_400000_NS6detail17trampoline_kernelINS0_14default_configENS1_20scan_config_selectorIsEEZZNS1_9scan_implILNS1_25lookback_scan_determinismE0ELb0ELb1ES3_N6thrust23THRUST_200600_302600_NS6detail15normal_iteratorINS9_10device_ptrIsEEEESE_sNS9_4plusIsEEsEEDaPvRmT3_T4_T5_mT6_P12ihipStream_tbENKUlT_T0_E_clISt17integral_constantIbLb0EESU_EEDaSP_SQ_EUlSP_E_NS1_11comp_targetILNS1_3genE5ELNS1_11target_archE942ELNS1_3gpuE9ELNS1_3repE0EEENS1_30default_config_static_selectorELNS0_4arch9wavefront6targetE1EEEvT1_ ; -- Begin function _ZN7rocprim17ROCPRIM_400000_NS6detail17trampoline_kernelINS0_14default_configENS1_20scan_config_selectorIsEEZZNS1_9scan_implILNS1_25lookback_scan_determinismE0ELb0ELb1ES3_N6thrust23THRUST_200600_302600_NS6detail15normal_iteratorINS9_10device_ptrIsEEEESE_sNS9_4plusIsEEsEEDaPvRmT3_T4_T5_mT6_P12ihipStream_tbENKUlT_T0_E_clISt17integral_constantIbLb0EESU_EEDaSP_SQ_EUlSP_E_NS1_11comp_targetILNS1_3genE5ELNS1_11target_archE942ELNS1_3gpuE9ELNS1_3repE0EEENS1_30default_config_static_selectorELNS0_4arch9wavefront6targetE1EEEvT1_
	.globl	_ZN7rocprim17ROCPRIM_400000_NS6detail17trampoline_kernelINS0_14default_configENS1_20scan_config_selectorIsEEZZNS1_9scan_implILNS1_25lookback_scan_determinismE0ELb0ELb1ES3_N6thrust23THRUST_200600_302600_NS6detail15normal_iteratorINS9_10device_ptrIsEEEESE_sNS9_4plusIsEEsEEDaPvRmT3_T4_T5_mT6_P12ihipStream_tbENKUlT_T0_E_clISt17integral_constantIbLb0EESU_EEDaSP_SQ_EUlSP_E_NS1_11comp_targetILNS1_3genE5ELNS1_11target_archE942ELNS1_3gpuE9ELNS1_3repE0EEENS1_30default_config_static_selectorELNS0_4arch9wavefront6targetE1EEEvT1_
	.p2align	8
	.type	_ZN7rocprim17ROCPRIM_400000_NS6detail17trampoline_kernelINS0_14default_configENS1_20scan_config_selectorIsEEZZNS1_9scan_implILNS1_25lookback_scan_determinismE0ELb0ELb1ES3_N6thrust23THRUST_200600_302600_NS6detail15normal_iteratorINS9_10device_ptrIsEEEESE_sNS9_4plusIsEEsEEDaPvRmT3_T4_T5_mT6_P12ihipStream_tbENKUlT_T0_E_clISt17integral_constantIbLb0EESU_EEDaSP_SQ_EUlSP_E_NS1_11comp_targetILNS1_3genE5ELNS1_11target_archE942ELNS1_3gpuE9ELNS1_3repE0EEENS1_30default_config_static_selectorELNS0_4arch9wavefront6targetE1EEEvT1_,@function
_ZN7rocprim17ROCPRIM_400000_NS6detail17trampoline_kernelINS0_14default_configENS1_20scan_config_selectorIsEEZZNS1_9scan_implILNS1_25lookback_scan_determinismE0ELb0ELb1ES3_N6thrust23THRUST_200600_302600_NS6detail15normal_iteratorINS9_10device_ptrIsEEEESE_sNS9_4plusIsEEsEEDaPvRmT3_T4_T5_mT6_P12ihipStream_tbENKUlT_T0_E_clISt17integral_constantIbLb0EESU_EEDaSP_SQ_EUlSP_E_NS1_11comp_targetILNS1_3genE5ELNS1_11target_archE942ELNS1_3gpuE9ELNS1_3repE0EEENS1_30default_config_static_selectorELNS0_4arch9wavefront6targetE1EEEvT1_: ; @_ZN7rocprim17ROCPRIM_400000_NS6detail17trampoline_kernelINS0_14default_configENS1_20scan_config_selectorIsEEZZNS1_9scan_implILNS1_25lookback_scan_determinismE0ELb0ELb1ES3_N6thrust23THRUST_200600_302600_NS6detail15normal_iteratorINS9_10device_ptrIsEEEESE_sNS9_4plusIsEEsEEDaPvRmT3_T4_T5_mT6_P12ihipStream_tbENKUlT_T0_E_clISt17integral_constantIbLb0EESU_EEDaSP_SQ_EUlSP_E_NS1_11comp_targetILNS1_3genE5ELNS1_11target_archE942ELNS1_3gpuE9ELNS1_3repE0EEENS1_30default_config_static_selectorELNS0_4arch9wavefront6targetE1EEEvT1_
; %bb.0:
	.section	.rodata,"a",@progbits
	.p2align	6, 0x0
	.amdhsa_kernel _ZN7rocprim17ROCPRIM_400000_NS6detail17trampoline_kernelINS0_14default_configENS1_20scan_config_selectorIsEEZZNS1_9scan_implILNS1_25lookback_scan_determinismE0ELb0ELb1ES3_N6thrust23THRUST_200600_302600_NS6detail15normal_iteratorINS9_10device_ptrIsEEEESE_sNS9_4plusIsEEsEEDaPvRmT3_T4_T5_mT6_P12ihipStream_tbENKUlT_T0_E_clISt17integral_constantIbLb0EESU_EEDaSP_SQ_EUlSP_E_NS1_11comp_targetILNS1_3genE5ELNS1_11target_archE942ELNS1_3gpuE9ELNS1_3repE0EEENS1_30default_config_static_selectorELNS0_4arch9wavefront6targetE1EEEvT1_
		.amdhsa_group_segment_fixed_size 0
		.amdhsa_private_segment_fixed_size 0
		.amdhsa_kernarg_size 96
		.amdhsa_user_sgpr_count 6
		.amdhsa_user_sgpr_private_segment_buffer 1
		.amdhsa_user_sgpr_dispatch_ptr 0
		.amdhsa_user_sgpr_queue_ptr 0
		.amdhsa_user_sgpr_kernarg_segment_ptr 1
		.amdhsa_user_sgpr_dispatch_id 0
		.amdhsa_user_sgpr_flat_scratch_init 0
		.amdhsa_user_sgpr_kernarg_preload_length 0
		.amdhsa_user_sgpr_kernarg_preload_offset 0
		.amdhsa_user_sgpr_private_segment_size 0
		.amdhsa_uses_dynamic_stack 0
		.amdhsa_system_sgpr_private_segment_wavefront_offset 0
		.amdhsa_system_sgpr_workgroup_id_x 1
		.amdhsa_system_sgpr_workgroup_id_y 0
		.amdhsa_system_sgpr_workgroup_id_z 0
		.amdhsa_system_sgpr_workgroup_info 0
		.amdhsa_system_vgpr_workitem_id 0
		.amdhsa_next_free_vgpr 1
		.amdhsa_next_free_sgpr 0
		.amdhsa_accum_offset 4
		.amdhsa_reserve_vcc 0
		.amdhsa_reserve_flat_scratch 0
		.amdhsa_float_round_mode_32 0
		.amdhsa_float_round_mode_16_64 0
		.amdhsa_float_denorm_mode_32 3
		.amdhsa_float_denorm_mode_16_64 3
		.amdhsa_dx10_clamp 1
		.amdhsa_ieee_mode 1
		.amdhsa_fp16_overflow 0
		.amdhsa_tg_split 0
		.amdhsa_exception_fp_ieee_invalid_op 0
		.amdhsa_exception_fp_denorm_src 0
		.amdhsa_exception_fp_ieee_div_zero 0
		.amdhsa_exception_fp_ieee_overflow 0
		.amdhsa_exception_fp_ieee_underflow 0
		.amdhsa_exception_fp_ieee_inexact 0
		.amdhsa_exception_int_div_zero 0
	.end_amdhsa_kernel
	.section	.text._ZN7rocprim17ROCPRIM_400000_NS6detail17trampoline_kernelINS0_14default_configENS1_20scan_config_selectorIsEEZZNS1_9scan_implILNS1_25lookback_scan_determinismE0ELb0ELb1ES3_N6thrust23THRUST_200600_302600_NS6detail15normal_iteratorINS9_10device_ptrIsEEEESE_sNS9_4plusIsEEsEEDaPvRmT3_T4_T5_mT6_P12ihipStream_tbENKUlT_T0_E_clISt17integral_constantIbLb0EESU_EEDaSP_SQ_EUlSP_E_NS1_11comp_targetILNS1_3genE5ELNS1_11target_archE942ELNS1_3gpuE9ELNS1_3repE0EEENS1_30default_config_static_selectorELNS0_4arch9wavefront6targetE1EEEvT1_,"axG",@progbits,_ZN7rocprim17ROCPRIM_400000_NS6detail17trampoline_kernelINS0_14default_configENS1_20scan_config_selectorIsEEZZNS1_9scan_implILNS1_25lookback_scan_determinismE0ELb0ELb1ES3_N6thrust23THRUST_200600_302600_NS6detail15normal_iteratorINS9_10device_ptrIsEEEESE_sNS9_4plusIsEEsEEDaPvRmT3_T4_T5_mT6_P12ihipStream_tbENKUlT_T0_E_clISt17integral_constantIbLb0EESU_EEDaSP_SQ_EUlSP_E_NS1_11comp_targetILNS1_3genE5ELNS1_11target_archE942ELNS1_3gpuE9ELNS1_3repE0EEENS1_30default_config_static_selectorELNS0_4arch9wavefront6targetE1EEEvT1_,comdat
.Lfunc_end1268:
	.size	_ZN7rocprim17ROCPRIM_400000_NS6detail17trampoline_kernelINS0_14default_configENS1_20scan_config_selectorIsEEZZNS1_9scan_implILNS1_25lookback_scan_determinismE0ELb0ELb1ES3_N6thrust23THRUST_200600_302600_NS6detail15normal_iteratorINS9_10device_ptrIsEEEESE_sNS9_4plusIsEEsEEDaPvRmT3_T4_T5_mT6_P12ihipStream_tbENKUlT_T0_E_clISt17integral_constantIbLb0EESU_EEDaSP_SQ_EUlSP_E_NS1_11comp_targetILNS1_3genE5ELNS1_11target_archE942ELNS1_3gpuE9ELNS1_3repE0EEENS1_30default_config_static_selectorELNS0_4arch9wavefront6targetE1EEEvT1_, .Lfunc_end1268-_ZN7rocprim17ROCPRIM_400000_NS6detail17trampoline_kernelINS0_14default_configENS1_20scan_config_selectorIsEEZZNS1_9scan_implILNS1_25lookback_scan_determinismE0ELb0ELb1ES3_N6thrust23THRUST_200600_302600_NS6detail15normal_iteratorINS9_10device_ptrIsEEEESE_sNS9_4plusIsEEsEEDaPvRmT3_T4_T5_mT6_P12ihipStream_tbENKUlT_T0_E_clISt17integral_constantIbLb0EESU_EEDaSP_SQ_EUlSP_E_NS1_11comp_targetILNS1_3genE5ELNS1_11target_archE942ELNS1_3gpuE9ELNS1_3repE0EEENS1_30default_config_static_selectorELNS0_4arch9wavefront6targetE1EEEvT1_
                                        ; -- End function
	.section	.AMDGPU.csdata,"",@progbits
; Kernel info:
; codeLenInByte = 0
; NumSgprs: 4
; NumVgprs: 0
; NumAgprs: 0
; TotalNumVgprs: 0
; ScratchSize: 0
; MemoryBound: 0
; FloatMode: 240
; IeeeMode: 1
; LDSByteSize: 0 bytes/workgroup (compile time only)
; SGPRBlocks: 0
; VGPRBlocks: 0
; NumSGPRsForWavesPerEU: 4
; NumVGPRsForWavesPerEU: 1
; AccumOffset: 4
; Occupancy: 8
; WaveLimiterHint : 0
; COMPUTE_PGM_RSRC2:SCRATCH_EN: 0
; COMPUTE_PGM_RSRC2:USER_SGPR: 6
; COMPUTE_PGM_RSRC2:TRAP_HANDLER: 0
; COMPUTE_PGM_RSRC2:TGID_X_EN: 1
; COMPUTE_PGM_RSRC2:TGID_Y_EN: 0
; COMPUTE_PGM_RSRC2:TGID_Z_EN: 0
; COMPUTE_PGM_RSRC2:TIDIG_COMP_CNT: 0
; COMPUTE_PGM_RSRC3_GFX90A:ACCUM_OFFSET: 0
; COMPUTE_PGM_RSRC3_GFX90A:TG_SPLIT: 0
	.section	.text._ZN7rocprim17ROCPRIM_400000_NS6detail17trampoline_kernelINS0_14default_configENS1_20scan_config_selectorIsEEZZNS1_9scan_implILNS1_25lookback_scan_determinismE0ELb0ELb1ES3_N6thrust23THRUST_200600_302600_NS6detail15normal_iteratorINS9_10device_ptrIsEEEESE_sNS9_4plusIsEEsEEDaPvRmT3_T4_T5_mT6_P12ihipStream_tbENKUlT_T0_E_clISt17integral_constantIbLb0EESU_EEDaSP_SQ_EUlSP_E_NS1_11comp_targetILNS1_3genE4ELNS1_11target_archE910ELNS1_3gpuE8ELNS1_3repE0EEENS1_30default_config_static_selectorELNS0_4arch9wavefront6targetE1EEEvT1_,"axG",@progbits,_ZN7rocprim17ROCPRIM_400000_NS6detail17trampoline_kernelINS0_14default_configENS1_20scan_config_selectorIsEEZZNS1_9scan_implILNS1_25lookback_scan_determinismE0ELb0ELb1ES3_N6thrust23THRUST_200600_302600_NS6detail15normal_iteratorINS9_10device_ptrIsEEEESE_sNS9_4plusIsEEsEEDaPvRmT3_T4_T5_mT6_P12ihipStream_tbENKUlT_T0_E_clISt17integral_constantIbLb0EESU_EEDaSP_SQ_EUlSP_E_NS1_11comp_targetILNS1_3genE4ELNS1_11target_archE910ELNS1_3gpuE8ELNS1_3repE0EEENS1_30default_config_static_selectorELNS0_4arch9wavefront6targetE1EEEvT1_,comdat
	.protected	_ZN7rocprim17ROCPRIM_400000_NS6detail17trampoline_kernelINS0_14default_configENS1_20scan_config_selectorIsEEZZNS1_9scan_implILNS1_25lookback_scan_determinismE0ELb0ELb1ES3_N6thrust23THRUST_200600_302600_NS6detail15normal_iteratorINS9_10device_ptrIsEEEESE_sNS9_4plusIsEEsEEDaPvRmT3_T4_T5_mT6_P12ihipStream_tbENKUlT_T0_E_clISt17integral_constantIbLb0EESU_EEDaSP_SQ_EUlSP_E_NS1_11comp_targetILNS1_3genE4ELNS1_11target_archE910ELNS1_3gpuE8ELNS1_3repE0EEENS1_30default_config_static_selectorELNS0_4arch9wavefront6targetE1EEEvT1_ ; -- Begin function _ZN7rocprim17ROCPRIM_400000_NS6detail17trampoline_kernelINS0_14default_configENS1_20scan_config_selectorIsEEZZNS1_9scan_implILNS1_25lookback_scan_determinismE0ELb0ELb1ES3_N6thrust23THRUST_200600_302600_NS6detail15normal_iteratorINS9_10device_ptrIsEEEESE_sNS9_4plusIsEEsEEDaPvRmT3_T4_T5_mT6_P12ihipStream_tbENKUlT_T0_E_clISt17integral_constantIbLb0EESU_EEDaSP_SQ_EUlSP_E_NS1_11comp_targetILNS1_3genE4ELNS1_11target_archE910ELNS1_3gpuE8ELNS1_3repE0EEENS1_30default_config_static_selectorELNS0_4arch9wavefront6targetE1EEEvT1_
	.globl	_ZN7rocprim17ROCPRIM_400000_NS6detail17trampoline_kernelINS0_14default_configENS1_20scan_config_selectorIsEEZZNS1_9scan_implILNS1_25lookback_scan_determinismE0ELb0ELb1ES3_N6thrust23THRUST_200600_302600_NS6detail15normal_iteratorINS9_10device_ptrIsEEEESE_sNS9_4plusIsEEsEEDaPvRmT3_T4_T5_mT6_P12ihipStream_tbENKUlT_T0_E_clISt17integral_constantIbLb0EESU_EEDaSP_SQ_EUlSP_E_NS1_11comp_targetILNS1_3genE4ELNS1_11target_archE910ELNS1_3gpuE8ELNS1_3repE0EEENS1_30default_config_static_selectorELNS0_4arch9wavefront6targetE1EEEvT1_
	.p2align	8
	.type	_ZN7rocprim17ROCPRIM_400000_NS6detail17trampoline_kernelINS0_14default_configENS1_20scan_config_selectorIsEEZZNS1_9scan_implILNS1_25lookback_scan_determinismE0ELb0ELb1ES3_N6thrust23THRUST_200600_302600_NS6detail15normal_iteratorINS9_10device_ptrIsEEEESE_sNS9_4plusIsEEsEEDaPvRmT3_T4_T5_mT6_P12ihipStream_tbENKUlT_T0_E_clISt17integral_constantIbLb0EESU_EEDaSP_SQ_EUlSP_E_NS1_11comp_targetILNS1_3genE4ELNS1_11target_archE910ELNS1_3gpuE8ELNS1_3repE0EEENS1_30default_config_static_selectorELNS0_4arch9wavefront6targetE1EEEvT1_,@function
_ZN7rocprim17ROCPRIM_400000_NS6detail17trampoline_kernelINS0_14default_configENS1_20scan_config_selectorIsEEZZNS1_9scan_implILNS1_25lookback_scan_determinismE0ELb0ELb1ES3_N6thrust23THRUST_200600_302600_NS6detail15normal_iteratorINS9_10device_ptrIsEEEESE_sNS9_4plusIsEEsEEDaPvRmT3_T4_T5_mT6_P12ihipStream_tbENKUlT_T0_E_clISt17integral_constantIbLb0EESU_EEDaSP_SQ_EUlSP_E_NS1_11comp_targetILNS1_3genE4ELNS1_11target_archE910ELNS1_3gpuE8ELNS1_3repE0EEENS1_30default_config_static_selectorELNS0_4arch9wavefront6targetE1EEEvT1_: ; @_ZN7rocprim17ROCPRIM_400000_NS6detail17trampoline_kernelINS0_14default_configENS1_20scan_config_selectorIsEEZZNS1_9scan_implILNS1_25lookback_scan_determinismE0ELb0ELb1ES3_N6thrust23THRUST_200600_302600_NS6detail15normal_iteratorINS9_10device_ptrIsEEEESE_sNS9_4plusIsEEsEEDaPvRmT3_T4_T5_mT6_P12ihipStream_tbENKUlT_T0_E_clISt17integral_constantIbLb0EESU_EEDaSP_SQ_EUlSP_E_NS1_11comp_targetILNS1_3genE4ELNS1_11target_archE910ELNS1_3gpuE8ELNS1_3repE0EEENS1_30default_config_static_selectorELNS0_4arch9wavefront6targetE1EEEvT1_
; %bb.0:
	s_load_dwordx8 s[20:27], s[4:5], 0x0
	s_load_dword s1, s[4:5], 0x30
	s_mul_i32 s0, s6, 0x600
	v_lshlrev_b32_e32 v20, 1, v0
	s_waitcnt lgkmcnt(0)
	s_lshl_b64 s[28:29], s[22:23], 1
	s_add_u32 s2, s20, s28
	s_addc_u32 s3, s21, s29
	s_add_i32 s7, s1, -1
	s_mul_i32 s8, s7, 0x600
	s_sub_u32 s33, s26, s8
	s_subb_u32 s36, s27, 0
	s_mov_b32 s1, 0
	s_cmp_lg_u32 s6, s7
	s_cselect_b64 s[26:27], -1, 0
	s_lshl_b64 s[30:31], s[0:1], 1
	s_add_u32 s2, s2, s30
	s_addc_u32 s3, s3, s31
	s_mov_b64 s[0:1], -1
	s_and_b64 vcc, exec, s[26:27]
	s_cbranch_vccz .LBB1269_2
; %bb.1:
	v_mov_b32_e32 v1, s3
	v_add_co_u32_e32 v2, vcc, s2, v20
	v_addc_co_u32_e32 v3, vcc, 0, v1, vcc
	flat_load_ushort v1, v[2:3]
	flat_load_ushort v4, v[2:3] offset:128
	flat_load_ushort v5, v[2:3] offset:256
	;; [unrolled: 1-line block ×23, first 2 shown]
	s_mov_b64 s[0:1], 0
	s_waitcnt vmcnt(0) lgkmcnt(0)
	ds_write_b16 v20, v1
	ds_write_b16 v20, v4 offset:128
	ds_write_b16 v20, v5 offset:256
	;; [unrolled: 1-line block ×23, first 2 shown]
	s_waitcnt lgkmcnt(0)
	; wave barrier
.LBB1269_2:
	s_load_dwordx2 s[34:35], s[4:5], 0x28
	s_andn2_b64 vcc, exec, s[0:1]
	v_cmp_gt_u32_e64 s[0:1], s33, v0
	s_cbranch_vccnz .LBB1269_52
; %bb.3:
	v_pk_mov_b32 v[2:3], s[2:3], s[2:3] op_sel:[0,1]
	flat_load_ushort v1, v[2:3]
	s_waitcnt vmcnt(0) lgkmcnt(0)
	v_mov_b32_e32 v2, v1
	s_and_saveexec_b64 s[8:9], s[0:1]
	s_cbranch_execz .LBB1269_5
; %bb.4:
	v_mov_b32_e32 v3, s3
	v_add_co_u32_e32 v2, vcc, s2, v20
	v_addc_co_u32_e32 v3, vcc, 0, v3, vcc
	flat_load_ushort v2, v[2:3]
.LBB1269_5:
	s_or_b64 exec, exec, s[8:9]
	v_or_b32_e32 v3, 64, v0
	v_cmp_gt_u32_e32 vcc, s33, v3
	v_mov_b32_e32 v3, v1
	s_and_saveexec_b64 s[0:1], vcc
	s_cbranch_execz .LBB1269_7
; %bb.6:
	v_mov_b32_e32 v3, s3
	v_add_co_u32_e32 v4, vcc, s2, v20
	v_addc_co_u32_e32 v5, vcc, 0, v3, vcc
	flat_load_ushort v3, v[4:5] offset:128
.LBB1269_7:
	s_or_b64 exec, exec, s[0:1]
	v_or_b32_e32 v4, 0x80, v0
	v_cmp_gt_u32_e32 vcc, s33, v4
	v_mov_b32_e32 v4, v1
	s_and_saveexec_b64 s[0:1], vcc
	s_cbranch_execz .LBB1269_9
; %bb.8:
	v_mov_b32_e32 v5, s3
	v_add_co_u32_e32 v4, vcc, s2, v20
	v_addc_co_u32_e32 v5, vcc, 0, v5, vcc
	flat_load_ushort v4, v[4:5] offset:256
.LBB1269_9:
	s_or_b64 exec, exec, s[0:1]
	v_or_b32_e32 v5, 0xc0, v0
	v_cmp_gt_u32_e32 vcc, s33, v5
	v_mov_b32_e32 v5, v1
	s_and_saveexec_b64 s[0:1], vcc
	s_cbranch_execz .LBB1269_11
; %bb.10:
	v_mov_b32_e32 v5, s3
	v_add_co_u32_e32 v6, vcc, s2, v20
	v_addc_co_u32_e32 v7, vcc, 0, v5, vcc
	flat_load_ushort v5, v[6:7] offset:384
.LBB1269_11:
	s_or_b64 exec, exec, s[0:1]
	v_or_b32_e32 v6, 0x100, v0
	v_cmp_gt_u32_e32 vcc, s33, v6
	v_mov_b32_e32 v6, v1
	s_and_saveexec_b64 s[0:1], vcc
	s_cbranch_execz .LBB1269_13
; %bb.12:
	v_mov_b32_e32 v7, s3
	v_add_co_u32_e32 v6, vcc, s2, v20
	v_addc_co_u32_e32 v7, vcc, 0, v7, vcc
	flat_load_ushort v6, v[6:7] offset:512
.LBB1269_13:
	s_or_b64 exec, exec, s[0:1]
	v_or_b32_e32 v7, 0x140, v0
	v_cmp_gt_u32_e32 vcc, s33, v7
	v_mov_b32_e32 v7, v1
	s_and_saveexec_b64 s[0:1], vcc
	s_cbranch_execz .LBB1269_15
; %bb.14:
	v_mov_b32_e32 v7, s3
	v_add_co_u32_e32 v8, vcc, s2, v20
	v_addc_co_u32_e32 v9, vcc, 0, v7, vcc
	flat_load_ushort v7, v[8:9] offset:640
.LBB1269_15:
	s_or_b64 exec, exec, s[0:1]
	v_or_b32_e32 v8, 0x180, v0
	v_cmp_gt_u32_e32 vcc, s33, v8
	v_mov_b32_e32 v8, v1
	s_and_saveexec_b64 s[0:1], vcc
	s_cbranch_execz .LBB1269_17
; %bb.16:
	v_mov_b32_e32 v9, s3
	v_add_co_u32_e32 v8, vcc, s2, v20
	v_addc_co_u32_e32 v9, vcc, 0, v9, vcc
	flat_load_ushort v8, v[8:9] offset:768
.LBB1269_17:
	s_or_b64 exec, exec, s[0:1]
	v_or_b32_e32 v9, 0x1c0, v0
	v_cmp_gt_u32_e32 vcc, s33, v9
	v_mov_b32_e32 v9, v1
	s_and_saveexec_b64 s[0:1], vcc
	s_cbranch_execz .LBB1269_19
; %bb.18:
	v_mov_b32_e32 v9, s3
	v_add_co_u32_e32 v10, vcc, s2, v20
	v_addc_co_u32_e32 v11, vcc, 0, v9, vcc
	flat_load_ushort v9, v[10:11] offset:896
.LBB1269_19:
	s_or_b64 exec, exec, s[0:1]
	v_or_b32_e32 v10, 0x200, v0
	v_cmp_gt_u32_e32 vcc, s33, v10
	v_mov_b32_e32 v10, v1
	s_and_saveexec_b64 s[0:1], vcc
	s_cbranch_execz .LBB1269_21
; %bb.20:
	v_mov_b32_e32 v11, s3
	v_add_co_u32_e32 v10, vcc, s2, v20
	v_addc_co_u32_e32 v11, vcc, 0, v11, vcc
	flat_load_ushort v10, v[10:11] offset:1024
.LBB1269_21:
	s_or_b64 exec, exec, s[0:1]
	v_or_b32_e32 v11, 0x240, v0
	v_cmp_gt_u32_e32 vcc, s33, v11
	v_mov_b32_e32 v11, v1
	s_and_saveexec_b64 s[0:1], vcc
	s_cbranch_execz .LBB1269_23
; %bb.22:
	v_mov_b32_e32 v11, s3
	v_add_co_u32_e32 v12, vcc, s2, v20
	v_addc_co_u32_e32 v13, vcc, 0, v11, vcc
	flat_load_ushort v11, v[12:13] offset:1152
.LBB1269_23:
	s_or_b64 exec, exec, s[0:1]
	v_or_b32_e32 v12, 0x280, v0
	v_cmp_gt_u32_e32 vcc, s33, v12
	v_mov_b32_e32 v12, v1
	s_and_saveexec_b64 s[0:1], vcc
	s_cbranch_execz .LBB1269_25
; %bb.24:
	v_mov_b32_e32 v13, s3
	v_add_co_u32_e32 v12, vcc, s2, v20
	v_addc_co_u32_e32 v13, vcc, 0, v13, vcc
	flat_load_ushort v12, v[12:13] offset:1280
.LBB1269_25:
	s_or_b64 exec, exec, s[0:1]
	v_or_b32_e32 v13, 0x2c0, v0
	v_cmp_gt_u32_e32 vcc, s33, v13
	v_mov_b32_e32 v13, v1
	s_and_saveexec_b64 s[0:1], vcc
	s_cbranch_execz .LBB1269_27
; %bb.26:
	v_mov_b32_e32 v13, s3
	v_add_co_u32_e32 v14, vcc, s2, v20
	v_addc_co_u32_e32 v15, vcc, 0, v13, vcc
	flat_load_ushort v13, v[14:15] offset:1408
.LBB1269_27:
	s_or_b64 exec, exec, s[0:1]
	v_or_b32_e32 v14, 0x300, v0
	v_cmp_gt_u32_e32 vcc, s33, v14
	v_mov_b32_e32 v14, v1
	s_and_saveexec_b64 s[0:1], vcc
	s_cbranch_execz .LBB1269_29
; %bb.28:
	v_mov_b32_e32 v15, s3
	v_add_co_u32_e32 v14, vcc, s2, v20
	v_addc_co_u32_e32 v15, vcc, 0, v15, vcc
	flat_load_ushort v14, v[14:15] offset:1536
.LBB1269_29:
	s_or_b64 exec, exec, s[0:1]
	v_or_b32_e32 v15, 0x340, v0
	v_cmp_gt_u32_e32 vcc, s33, v15
	v_mov_b32_e32 v15, v1
	s_and_saveexec_b64 s[0:1], vcc
	s_cbranch_execz .LBB1269_31
; %bb.30:
	v_mov_b32_e32 v15, s3
	v_add_co_u32_e32 v16, vcc, s2, v20
	v_addc_co_u32_e32 v17, vcc, 0, v15, vcc
	flat_load_ushort v15, v[16:17] offset:1664
.LBB1269_31:
	s_or_b64 exec, exec, s[0:1]
	v_or_b32_e32 v16, 0x380, v0
	v_cmp_gt_u32_e32 vcc, s33, v16
	v_mov_b32_e32 v16, v1
	s_and_saveexec_b64 s[0:1], vcc
	s_cbranch_execz .LBB1269_33
; %bb.32:
	v_mov_b32_e32 v17, s3
	v_add_co_u32_e32 v16, vcc, s2, v20
	v_addc_co_u32_e32 v17, vcc, 0, v17, vcc
	flat_load_ushort v16, v[16:17] offset:1792
.LBB1269_33:
	s_or_b64 exec, exec, s[0:1]
	v_or_b32_e32 v17, 0x3c0, v0
	v_cmp_gt_u32_e32 vcc, s33, v17
	v_mov_b32_e32 v17, v1
	s_and_saveexec_b64 s[0:1], vcc
	s_cbranch_execz .LBB1269_35
; %bb.34:
	v_mov_b32_e32 v17, s3
	v_add_co_u32_e32 v18, vcc, s2, v20
	v_addc_co_u32_e32 v19, vcc, 0, v17, vcc
	flat_load_ushort v17, v[18:19] offset:1920
.LBB1269_35:
	s_or_b64 exec, exec, s[0:1]
	v_or_b32_e32 v18, 0x400, v0
	v_cmp_gt_u32_e32 vcc, s33, v18
	v_mov_b32_e32 v18, v1
	s_and_saveexec_b64 s[0:1], vcc
	s_cbranch_execz .LBB1269_37
; %bb.36:
	v_mov_b32_e32 v19, s3
	v_add_co_u32_e32 v18, vcc, s2, v20
	v_addc_co_u32_e32 v19, vcc, 0, v19, vcc
	flat_load_ushort v18, v[18:19] offset:2048
.LBB1269_37:
	s_or_b64 exec, exec, s[0:1]
	v_or_b32_e32 v19, 0x440, v0
	v_cmp_gt_u32_e32 vcc, s33, v19
	v_mov_b32_e32 v19, v1
	s_and_saveexec_b64 s[0:1], vcc
	s_cbranch_execz .LBB1269_39
; %bb.38:
	v_mov_b32_e32 v19, s3
	v_add_co_u32_e32 v22, vcc, s2, v20
	v_addc_co_u32_e32 v23, vcc, 0, v19, vcc
	flat_load_ushort v19, v[22:23] offset:2176
.LBB1269_39:
	s_or_b64 exec, exec, s[0:1]
	v_or_b32_e32 v21, 0x480, v0
	v_cmp_gt_u32_e32 vcc, s33, v21
	v_mov_b32_e32 v21, v1
	s_and_saveexec_b64 s[0:1], vcc
	s_cbranch_execz .LBB1269_41
; %bb.40:
	v_mov_b32_e32 v21, s3
	v_add_co_u32_e32 v22, vcc, s2, v20
	v_addc_co_u32_e32 v23, vcc, 0, v21, vcc
	flat_load_ushort v21, v[22:23] offset:2304
.LBB1269_41:
	s_or_b64 exec, exec, s[0:1]
	v_or_b32_e32 v22, 0x4c0, v0
	v_cmp_gt_u32_e32 vcc, s33, v22
	v_mov_b32_e32 v22, v1
	s_and_saveexec_b64 s[0:1], vcc
	s_cbranch_execz .LBB1269_43
; %bb.42:
	v_mov_b32_e32 v23, s3
	v_add_co_u32_e32 v22, vcc, s2, v20
	v_addc_co_u32_e32 v23, vcc, 0, v23, vcc
	flat_load_ushort v22, v[22:23] offset:2432
.LBB1269_43:
	s_or_b64 exec, exec, s[0:1]
	v_or_b32_e32 v23, 0x500, v0
	v_cmp_gt_u32_e32 vcc, s33, v23
	v_mov_b32_e32 v23, v1
	s_and_saveexec_b64 s[0:1], vcc
	s_cbranch_execz .LBB1269_45
; %bb.44:
	v_mov_b32_e32 v23, s3
	v_add_co_u32_e32 v24, vcc, s2, v20
	v_addc_co_u32_e32 v25, vcc, 0, v23, vcc
	flat_load_ushort v23, v[24:25] offset:2560
.LBB1269_45:
	s_or_b64 exec, exec, s[0:1]
	v_or_b32_e32 v24, 0x540, v0
	v_cmp_gt_u32_e32 vcc, s33, v24
	v_mov_b32_e32 v24, v1
	s_and_saveexec_b64 s[0:1], vcc
	s_cbranch_execz .LBB1269_47
; %bb.46:
	v_mov_b32_e32 v25, s3
	v_add_co_u32_e32 v24, vcc, s2, v20
	v_addc_co_u32_e32 v25, vcc, 0, v25, vcc
	flat_load_ushort v24, v[24:25] offset:2688
.LBB1269_47:
	s_or_b64 exec, exec, s[0:1]
	v_or_b32_e32 v25, 0x580, v0
	v_cmp_gt_u32_e32 vcc, s33, v25
	v_mov_b32_e32 v25, v1
	s_and_saveexec_b64 s[0:1], vcc
	s_cbranch_execz .LBB1269_49
; %bb.48:
	v_mov_b32_e32 v25, s3
	v_add_co_u32_e32 v26, vcc, s2, v20
	v_addc_co_u32_e32 v27, vcc, 0, v25, vcc
	flat_load_ushort v25, v[26:27] offset:2816
.LBB1269_49:
	s_or_b64 exec, exec, s[0:1]
	v_or_b32_e32 v26, 0x5c0, v0
	v_cmp_gt_u32_e32 vcc, s33, v26
	s_and_saveexec_b64 s[0:1], vcc
	s_cbranch_execz .LBB1269_51
; %bb.50:
	v_mov_b32_e32 v1, s3
	v_add_co_u32_e32 v26, vcc, s2, v20
	v_addc_co_u32_e32 v27, vcc, 0, v1, vcc
	flat_load_ushort v1, v[26:27] offset:2944
.LBB1269_51:
	s_or_b64 exec, exec, s[0:1]
	s_waitcnt vmcnt(0) lgkmcnt(0)
	ds_write_b16 v20, v2
	ds_write_b16 v20, v3 offset:128
	ds_write_b16 v20, v4 offset:256
	;; [unrolled: 1-line block ×23, first 2 shown]
	s_waitcnt lgkmcnt(0)
	; wave barrier
.LBB1269_52:
	v_mul_u32_u24_e32 v21, 24, v0
	v_lshlrev_b32_e32 v1, 1, v21
	s_waitcnt lgkmcnt(0)
	ds_read_b128 v[10:13], v1
	ds_read_b128 v[6:9], v1 offset:16
	ds_read_b128 v[2:5], v1 offset:32
	s_cmp_lg_u32 s6, 0
	v_mbcnt_lo_u32_b32 v22, -1, 0
	v_cmp_eq_u32_e32 vcc, 63, v0
	s_waitcnt lgkmcnt(0)
	; wave barrier
	s_waitcnt lgkmcnt(0)
	s_cbranch_scc0 .LBB1269_75
; %bb.53:
	v_add_u16_sdwa v14, v10, v10 dst_sel:DWORD dst_unused:UNUSED_PAD src0_sel:WORD_1 src1_sel:DWORD
	v_add_u16_e32 v14, v14, v11
	v_add_u16_sdwa v14, v14, v11 dst_sel:DWORD dst_unused:UNUSED_PAD src0_sel:DWORD src1_sel:WORD_1
	v_add_u16_e32 v14, v14, v12
	v_add_u16_sdwa v14, v14, v12 dst_sel:DWORD dst_unused:UNUSED_PAD src0_sel:DWORD src1_sel:WORD_1
	;; [unrolled: 2-line block ×10, first 2 shown]
	v_add_u16_e32 v14, v14, v5
	v_mbcnt_hi_u32_b32 v15, -1, v22
	v_add_u16_sdwa v14, v14, v5 dst_sel:DWORD dst_unused:UNUSED_PAD src0_sel:DWORD src1_sel:WORD_1
	v_and_b32_e32 v16, 15, v15
	v_cmp_ne_u32_e64 s[0:1], 0, v16
	v_mov_b32_dpp v17, v14 row_shr:1 row_mask:0xf bank_mask:0xf
	v_cndmask_b32_e64 v17, 0, v17, s[0:1]
	v_add_u16_e32 v14, v17, v14
	v_cmp_lt_u32_e64 s[0:1], 1, v16
	s_nop 0
	v_mov_b32_dpp v17, v14 row_shr:2 row_mask:0xf bank_mask:0xf
	v_cndmask_b32_e64 v17, 0, v17, s[0:1]
	v_add_u16_e32 v14, v14, v17
	v_cmp_lt_u32_e64 s[0:1], 3, v16
	s_nop 0
	;; [unrolled: 5-line block ×3, first 2 shown]
	v_mov_b32_dpp v17, v14 row_shr:8 row_mask:0xf bank_mask:0xf
	v_cndmask_b32_e64 v16, 0, v17, s[0:1]
	v_add_u16_e32 v14, v14, v16
	v_and_b32_e32 v17, 16, v15
	v_cmp_ne_u32_e64 s[0:1], 0, v17
	v_mov_b32_dpp v16, v14 row_bcast:15 row_mask:0xf bank_mask:0xf
	v_cndmask_b32_e64 v16, 0, v16, s[0:1]
	v_add_u16_e32 v14, v14, v16
	v_cmp_lt_u32_e64 s[0:1], 31, v15
	s_nop 0
	v_mov_b32_dpp v16, v14 row_bcast:31 row_mask:0xf bank_mask:0xf
	v_cndmask_b32_e64 v16, 0, v16, s[0:1]
	v_add_u16_e32 v14, v14, v16
	s_and_saveexec_b64 s[0:1], vcc
	s_cbranch_execz .LBB1269_55
; %bb.54:
	v_mov_b32_e32 v16, 0
	ds_write_b16 v16, v14
.LBB1269_55:
	s_or_b64 exec, exec, s[0:1]
	v_add_u32_e32 v16, -1, v15
	v_and_b32_e32 v17, 64, v15
	v_cmp_lt_i32_e32 vcc, v16, v17
	v_cndmask_b32_e32 v16, v16, v15, vcc
	v_lshlrev_b32_e32 v16, 2, v16
	ds_bpermute_b32 v23, v16, v14
	v_cmp_gt_u32_e32 vcc, 64, v0
	s_waitcnt lgkmcnt(0)
	; wave barrier
	s_waitcnt lgkmcnt(0)
	s_and_saveexec_b64 s[10:11], vcc
	s_cbranch_execz .LBB1269_74
; %bb.56:
	v_mov_b32_e32 v17, 0
	ds_read_u16 v24, v17
	s_mov_b32 s9, 0
	v_cmp_eq_u32_e64 s[0:1], 0, v15
	s_and_saveexec_b64 s[2:3], s[0:1]
	s_cbranch_execz .LBB1269_58
; %bb.57:
	s_add_i32 s8, s6, 64
	s_lshl_b64 s[8:9], s[8:9], 2
	s_add_u32 s8, s34, s8
	s_waitcnt lgkmcnt(0)
	v_or_b32_e32 v14, 0x10000, v24
	s_addc_u32 s9, s35, s9
	global_store_dword v17, v14, s[8:9]
.LBB1269_58:
	s_or_b64 exec, exec, s[2:3]
	v_xad_u32 v14, v15, -1, s6
	v_add_u32_e32 v16, 64, v14
	v_lshlrev_b64 v[18:19], 2, v[16:17]
	v_mov_b32_e32 v16, s35
	v_add_co_u32_e32 v18, vcc, s34, v18
	v_addc_co_u32_e32 v19, vcc, v16, v19, vcc
	global_load_dword v37, v[18:19], off glc
	s_waitcnt vmcnt(0)
	v_lshrrev_b32_e32 v26, 16, v37
	v_cmp_eq_u16_sdwa s[8:9], v26, v17 src0_sel:BYTE_0 src1_sel:DWORD
	s_and_saveexec_b64 s[2:3], s[8:9]
	s_cbranch_execz .LBB1269_62
; %bb.59:
	s_mov_b64 s[8:9], 0
	v_mov_b32_e32 v16, 0
.LBB1269_60:                            ; =>This Inner Loop Header: Depth=1
	global_load_dword v37, v[18:19], off glc
	s_waitcnt vmcnt(0)
	v_lshrrev_b32_e32 v26, 16, v37
	v_cmp_ne_u16_sdwa s[12:13], v26, v16 src0_sel:BYTE_0 src1_sel:DWORD
	s_or_b64 s[8:9], s[12:13], s[8:9]
	s_andn2_b64 exec, exec, s[8:9]
	s_cbranch_execnz .LBB1269_60
; %bb.61:
	s_or_b64 exec, exec, s[8:9]
.LBB1269_62:
	s_or_b64 exec, exec, s[2:3]
	v_and_b32_e32 v27, 63, v15
	v_cmp_ne_u32_e32 vcc, 63, v27
	v_mov_b32_e32 v25, 2
	v_addc_co_u32_e32 v28, vcc, 0, v15, vcc
	v_cmp_eq_u16_sdwa s[2:3], v26, v25 src0_sel:BYTE_0 src1_sel:DWORD
	v_lshlrev_b64 v[16:17], v15, -1
	v_and_b32_e32 v29, 0xffff, v37
	v_lshlrev_b32_e32 v28, 2, v28
	v_and_b32_e32 v18, s3, v17
	ds_bpermute_b32 v30, v28, v29
	v_or_b32_e32 v18, 0x80000000, v18
	v_and_b32_e32 v19, s2, v16
	v_ffbl_b32_e32 v18, v18
	v_add_u32_e32 v18, 32, v18
	v_ffbl_b32_e32 v19, v19
	v_min_u32_e32 v18, v19, v18
	s_waitcnt lgkmcnt(0)
	v_add_u16_e32 v19, v30, v37
	v_cmp_lt_u32_e32 vcc, v27, v18
	v_cmp_gt_u32_e64 s[2:3], 62, v27
	v_cndmask_b32_e32 v31, v29, v19, vcc
	v_cndmask_b32_e64 v29, 0, 1, s[2:3]
	v_lshlrev_b32_e32 v29, 1, v29
	v_add_lshl_u32 v29, v29, v15, 2
	ds_bpermute_b32 v32, v29, v31
	v_cndmask_b32_e32 v19, v37, v19, vcc
	v_add_u32_e32 v30, 2, v27
	v_cmp_gt_u32_e64 s[2:3], v30, v18
	v_cmp_gt_u32_e64 s[8:9], 60, v27
	s_waitcnt lgkmcnt(0)
	v_add_u16_e32 v32, v19, v32
	v_cndmask_b32_e64 v33, v32, v31, s[2:3]
	v_cndmask_b32_e64 v31, 0, 1, s[8:9]
	v_lshlrev_b32_e32 v31, 2, v31
	v_add_lshl_u32 v31, v31, v15, 2
	ds_bpermute_b32 v34, v31, v33
	v_cndmask_b32_e64 v19, v32, v19, s[2:3]
	v_add_u32_e32 v32, 4, v27
	v_cmp_gt_u32_e64 s[2:3], v32, v18
	v_cmp_gt_u32_e64 s[8:9], 56, v27
	s_waitcnt lgkmcnt(0)
	v_add_u16_e32 v34, v19, v34
	v_cndmask_b32_e64 v35, v34, v33, s[2:3]
	v_cndmask_b32_e64 v33, 0, 1, s[8:9]
	v_lshlrev_b32_e32 v33, 3, v33
	v_add_lshl_u32 v33, v33, v15, 2
	ds_bpermute_b32 v36, v33, v35
	v_cndmask_b32_e64 v19, v34, v19, s[2:3]
	;; [unrolled: 11-line block ×3, first 2 shown]
	v_add_u32_e32 v36, 16, v27
	v_cmp_gt_u32_e64 s[2:3], v36, v18
	v_cmp_gt_u32_e64 s[8:9], 32, v27
	s_waitcnt lgkmcnt(0)
	v_add_u16_e32 v40, v19, v39
	v_cndmask_b32_e64 v39, v40, v38, s[2:3]
	v_cndmask_b32_e64 v38, 0, 1, s[8:9]
	v_lshlrev_b32_e32 v38, 5, v38
	v_add_lshl_u32 v38, v38, v15, 2
	ds_bpermute_b32 v15, v38, v39
	v_add_u32_e32 v39, 32, v27
	v_cndmask_b32_e64 v19, v40, v19, s[2:3]
	v_cmp_le_u32_e64 s[2:3], v39, v18
	s_waitcnt lgkmcnt(0)
	v_cndmask_b32_e64 v15, 0, v15, s[2:3]
	v_add_u16_e32 v15, v19, v15
	v_cndmask_b32_e32 v18, v37, v15, vcc
	v_mov_b32_e32 v15, 0
	s_branch .LBB1269_64
.LBB1269_63:                            ;   in Loop: Header=BB1269_64 Depth=1
	s_or_b64 exec, exec, s[2:3]
	v_cmp_eq_u16_sdwa s[2:3], v26, v25 src0_sel:BYTE_0 src1_sel:DWORD
	v_and_b32_e32 v41, 0xffff, v40
	v_and_b32_e32 v18, s3, v17
	ds_bpermute_b32 v42, v28, v41
	v_or_b32_e32 v18, 0x80000000, v18
	v_and_b32_e32 v19, s2, v16
	v_ffbl_b32_e32 v18, v18
	v_add_u32_e32 v18, 32, v18
	v_ffbl_b32_e32 v19, v19
	v_min_u32_e32 v18, v19, v18
	s_waitcnt lgkmcnt(0)
	v_add_u16_e32 v19, v42, v40
	v_cmp_lt_u32_e32 vcc, v27, v18
	v_cndmask_b32_e32 v41, v41, v19, vcc
	ds_bpermute_b32 v42, v29, v41
	v_cndmask_b32_e32 v19, v40, v19, vcc
	v_cmp_gt_u32_e64 s[2:3], v30, v18
	v_subrev_u32_e32 v14, 64, v14
	s_waitcnt lgkmcnt(0)
	v_add_u16_e32 v42, v19, v42
	v_cndmask_b32_e64 v41, v42, v41, s[2:3]
	ds_bpermute_b32 v43, v31, v41
	v_cndmask_b32_e64 v19, v42, v19, s[2:3]
	v_cmp_gt_u32_e64 s[2:3], v32, v18
	s_waitcnt lgkmcnt(0)
	v_add_u16_e32 v42, v19, v43
	v_cndmask_b32_e64 v41, v42, v41, s[2:3]
	ds_bpermute_b32 v43, v33, v41
	v_cndmask_b32_e64 v19, v42, v19, s[2:3]
	v_cmp_gt_u32_e64 s[2:3], v34, v18
	;; [unrolled: 6-line block ×3, first 2 shown]
	s_waitcnt lgkmcnt(0)
	v_add_u16_e32 v42, v19, v43
	v_cndmask_b32_e64 v41, v42, v41, s[2:3]
	ds_bpermute_b32 v41, v38, v41
	v_cndmask_b32_e64 v19, v42, v19, s[2:3]
	v_cmp_le_u32_e64 s[2:3], v39, v18
	s_waitcnt lgkmcnt(0)
	v_cndmask_b32_e64 v18, 0, v41, s[2:3]
	v_add_u16_e32 v18, v19, v18
	v_cndmask_b32_e32 v18, v40, v18, vcc
	v_add_u16_e32 v18, v18, v37
.LBB1269_64:                            ; =>This Loop Header: Depth=1
                                        ;     Child Loop BB1269_67 Depth 2
	v_cmp_ne_u16_sdwa s[2:3], v26, v25 src0_sel:BYTE_0 src1_sel:DWORD
	v_cndmask_b32_e64 v19, 0, 1, s[2:3]
	;;#ASMSTART
	;;#ASMEND
	v_cmp_ne_u32_e32 vcc, 0, v19
	s_cmp_lg_u64 vcc, exec
	v_mov_b32_e32 v37, v18
	s_cbranch_scc1 .LBB1269_69
; %bb.65:                               ;   in Loop: Header=BB1269_64 Depth=1
	v_lshlrev_b64 v[18:19], 2, v[14:15]
	v_mov_b32_e32 v26, s35
	v_add_co_u32_e32 v18, vcc, s34, v18
	v_addc_co_u32_e32 v19, vcc, v26, v19, vcc
	global_load_dword v40, v[18:19], off glc
	s_waitcnt vmcnt(0)
	v_lshrrev_b32_e32 v26, 16, v40
	v_cmp_eq_u16_sdwa s[8:9], v26, v15 src0_sel:BYTE_0 src1_sel:DWORD
	s_and_saveexec_b64 s[2:3], s[8:9]
	s_cbranch_execz .LBB1269_63
; %bb.66:                               ;   in Loop: Header=BB1269_64 Depth=1
	s_mov_b64 s[8:9], 0
.LBB1269_67:                            ;   Parent Loop BB1269_64 Depth=1
                                        ; =>  This Inner Loop Header: Depth=2
	global_load_dword v40, v[18:19], off glc
	s_waitcnt vmcnt(0)
	v_lshrrev_b32_e32 v26, 16, v40
	v_cmp_ne_u16_sdwa s[12:13], v26, v15 src0_sel:BYTE_0 src1_sel:DWORD
	s_or_b64 s[8:9], s[12:13], s[8:9]
	s_andn2_b64 exec, exec, s[8:9]
	s_cbranch_execnz .LBB1269_67
; %bb.68:                               ;   in Loop: Header=BB1269_64 Depth=1
	s_or_b64 exec, exec, s[8:9]
	s_branch .LBB1269_63
.LBB1269_69:                            ;   in Loop: Header=BB1269_64 Depth=1
                                        ; implicit-def: $vgpr18
                                        ; implicit-def: $vgpr26
	s_cbranch_execz .LBB1269_64
; %bb.70:
	s_and_saveexec_b64 s[2:3], s[0:1]
	s_cbranch_execz .LBB1269_72
; %bb.71:
	s_add_i32 s0, s6, 64
	s_mov_b32 s1, 0
	s_lshl_b64 s[0:1], s[0:1], 2
	v_add_u16_e32 v14, v37, v24
	s_add_u32 s0, s34, s0
	v_or_b32_e32 v14, 0x20000, v14
	s_addc_u32 s1, s35, s1
	v_mov_b32_e32 v15, 0
	global_store_dword v15, v14, s[0:1]
.LBB1269_72:
	s_or_b64 exec, exec, s[2:3]
	v_cmp_eq_u32_e32 vcc, 0, v0
	s_and_b64 exec, exec, vcc
	s_cbranch_execz .LBB1269_74
; %bb.73:
	v_mov_b32_e32 v14, 0
	ds_write_b16 v14, v37
.LBB1269_74:
	s_or_b64 exec, exec, s[10:11]
	v_mov_b32_e32 v14, 0
	s_waitcnt lgkmcnt(0)
	; wave barrier
	s_waitcnt lgkmcnt(0)
	ds_read_u16 v14, v14
	v_cmp_ne_u32_e32 vcc, 0, v0
	v_cndmask_b32_e32 v15, 0, v23, vcc
	v_add_u16_e32 v15, v15, v10
	s_waitcnt lgkmcnt(0)
	v_add_u16_e32 v14, v15, v14
	v_add_u16_sdwa v15, v14, v10 dst_sel:DWORD dst_unused:UNUSED_PAD src0_sel:DWORD src1_sel:WORD_1
	v_add_u16_e32 v16, v15, v11
	v_add_u16_sdwa v18, v16, v11 dst_sel:DWORD dst_unused:UNUSED_PAD src0_sel:DWORD src1_sel:WORD_1
	;; [unrolled: 2-line block ×12, first 2 shown]
	s_load_dwordx8 s[16:23], s[4:5], 0x38
	s_branch .LBB1269_93
.LBB1269_75:
                                        ; implicit-def: $vgpr14
                                        ; implicit-def: $vgpr15
                                        ; implicit-def: $vgpr16
                                        ; implicit-def: $vgpr18
                                        ; implicit-def: $vgpr19
                                        ; implicit-def: $vgpr23
                                        ; implicit-def: $vgpr29
                                        ; implicit-def: $vgpr36
                                        ; implicit-def: $vgpr26
                                        ; implicit-def: $vgpr33
                                        ; implicit-def: $vgpr41
                                        ; implicit-def: $vgpr47
                                        ; implicit-def: $vgpr53
                                        ; implicit-def: $vgpr54
                                        ; implicit-def: $vgpr56
                                        ; implicit-def: $vgpr58
                                        ; implicit-def: $vgpr55
                                        ; implicit-def: $vgpr57
                                        ; implicit-def: $vgpr59
                                        ; implicit-def: $vgpr60
                                        ; implicit-def: $vgpr61
                                        ; implicit-def: $vgpr62
                                        ; implicit-def: $vgpr63
                                        ; implicit-def: $vgpr64
	s_load_dwordx8 s[16:23], s[4:5], 0x38
	s_cbranch_execz .LBB1269_93
; %bb.76:
	s_waitcnt lgkmcnt(0)
	s_cmp_lg_u64 s[20:21], 0
	s_cselect_b64 s[2:3], -1, 0
	s_cmp_eq_u64 s[20:21], 0
	v_cmp_eq_u32_e32 vcc, 0, v0
	s_cselect_b64 s[12:13], -1, 0
	v_cmp_ne_u32_e64 s[0:1], 0, v0
	s_and_b64 s[6:7], vcc, s[2:3]
	v_mov_b32_e32 v17, v10
	s_and_saveexec_b64 s[2:3], s[6:7]
	s_cbranch_execz .LBB1269_78
; %bb.77:
	v_mov_b32_e32 v14, 0
	global_load_ushort v14, v14, s[16:17]
	s_waitcnt vmcnt(0)
	v_add_u16_e32 v17, v14, v10
.LBB1269_78:
	s_or_b64 exec, exec, s[2:3]
	v_add_u16_sdwa v24, v17, v10 dst_sel:DWORD dst_unused:UNUSED_PAD src0_sel:DWORD src1_sel:WORD_1
	v_add_u16_e32 v25, v24, v11
	v_add_u16_sdwa v27, v25, v11 dst_sel:DWORD dst_unused:UNUSED_PAD src0_sel:DWORD src1_sel:WORD_1
	v_add_u16_e32 v28, v27, v12
	v_add_u16_sdwa v30, v28, v12 dst_sel:DWORD dst_unused:UNUSED_PAD src0_sel:DWORD src1_sel:WORD_1
	v_add_u16_e32 v31, v30, v13
	v_add_u16_sdwa v32, v31, v13 dst_sel:DWORD dst_unused:UNUSED_PAD src0_sel:DWORD src1_sel:WORD_1
	v_add_u16_e32 v34, v32, v6
	v_add_u16_sdwa v35, v34, v6 dst_sel:DWORD dst_unused:UNUSED_PAD src0_sel:DWORD src1_sel:WORD_1
	v_add_u16_e32 v37, v35, v7
	v_add_u16_sdwa v38, v37, v7 dst_sel:DWORD dst_unused:UNUSED_PAD src0_sel:DWORD src1_sel:WORD_1
	v_add_u16_e32 v39, v38, v8
	v_add_u16_sdwa v40, v39, v8 dst_sel:DWORD dst_unused:UNUSED_PAD src0_sel:DWORD src1_sel:WORD_1
	v_add_u16_e32 v42, v40, v9
	v_add_u16_sdwa v43, v42, v9 dst_sel:DWORD dst_unused:UNUSED_PAD src0_sel:DWORD src1_sel:WORD_1
	v_add_u16_e32 v44, v43, v2
	v_add_u16_sdwa v45, v44, v2 dst_sel:DWORD dst_unused:UNUSED_PAD src0_sel:DWORD src1_sel:WORD_1
	v_add_u16_e32 v46, v45, v3
	v_add_u16_sdwa v48, v46, v3 dst_sel:DWORD dst_unused:UNUSED_PAD src0_sel:DWORD src1_sel:WORD_1
	v_add_u16_e32 v49, v48, v4
	v_add_u16_sdwa v50, v49, v4 dst_sel:DWORD dst_unused:UNUSED_PAD src0_sel:DWORD src1_sel:WORD_1
	v_mbcnt_hi_u32_b32 v22, -1, v22
	v_add_u16_e32 v51, v50, v5
	v_and_b32_e32 v14, 15, v22
	v_and_b32_e32 v65, 16, v22
	v_add_u16_sdwa v52, v51, v5 dst_sel:DWORD dst_unused:UNUSED_PAD src0_sel:DWORD src1_sel:WORD_1
	v_add_u16_sdwa v66, v51, v5 dst_sel:DWORD dst_unused:UNUSED_PAD src0_sel:DWORD src1_sel:WORD_1
	v_cmp_eq_u32_e64 s[10:11], 0, v14
	v_cmp_lt_u32_e64 s[8:9], 1, v14
	v_cmp_lt_u32_e64 s[6:7], 3, v14
	;; [unrolled: 1-line block ×3, first 2 shown]
	s_andn2_b64 vcc, exec, s[12:13]
	v_cmp_ne_u32_e64 s[14:15], 0, v65
	v_cmp_lt_u32_e64 s[12:13], 31, v22
	s_cbranch_vccnz .LBB1269_84
; %bb.79:
	v_mov_b32_dpp v14, v66 row_shr:1 row_mask:0xf bank_mask:0xf
	v_cndmask_b32_e64 v14, v14, 0, s[10:11]
	v_add_u16_e32 v14, v14, v52
	v_cmp_eq_u32_e32 vcc, 63, v0
	s_nop 0
	v_mov_b32_dpp v15, v14 row_shr:2 row_mask:0xf bank_mask:0xf
	v_cndmask_b32_e64 v15, 0, v15, s[8:9]
	v_add_u16_e32 v14, v14, v15
	s_nop 1
	v_mov_b32_dpp v15, v14 row_shr:4 row_mask:0xf bank_mask:0xf
	v_cndmask_b32_e64 v15, 0, v15, s[6:7]
	v_add_u16_e32 v14, v14, v15
	;; [unrolled: 4-line block ×3, first 2 shown]
	s_nop 1
	v_mov_b32_dpp v15, v14 row_bcast:15 row_mask:0xf bank_mask:0xf
	v_cndmask_b32_e64 v15, 0, v15, s[14:15]
	v_add_u16_e32 v14, v14, v15
	s_nop 1
	v_mov_b32_dpp v15, v14 row_bcast:31 row_mask:0xf bank_mask:0xf
	v_cndmask_b32_e64 v15, 0, v15, s[12:13]
	v_add_u16_e32 v14, v14, v15
	s_and_saveexec_b64 s[12:13], vcc
	s_cbranch_execz .LBB1269_81
; %bb.80:
	v_mov_b32_e32 v15, 0
	ds_write_b16 v15, v14
.LBB1269_81:
	s_or_b64 exec, exec, s[12:13]
	v_add_u32_e32 v15, -1, v22
	v_and_b32_e32 v16, 64, v22
	v_cmp_lt_i32_e32 vcc, v15, v16
	v_cndmask_b32_e32 v15, v15, v22, vcc
	v_lshlrev_b32_e32 v15, 2, v15
	s_load_dword s12, s[4:5], 0x20
	ds_bpermute_b32 v67, v15, v14
	v_mov_b32_e32 v64, v52
	v_mov_b32_e32 v63, v51
	;; [unrolled: 1-line block ×24, first 2 shown]
	s_waitcnt lgkmcnt(0)
	; wave barrier
	s_waitcnt lgkmcnt(0)
	s_and_saveexec_b64 s[4:5], s[0:1]
	s_cbranch_execz .LBB1269_83
; %bb.82:
	v_add_u16_e32 v14, v17, v67
	v_add_u16_sdwa v15, v14, v10 dst_sel:DWORD dst_unused:UNUSED_PAD src0_sel:DWORD src1_sel:WORD_1
	v_add_u16_e32 v16, v15, v11
	v_add_u16_sdwa v18, v16, v11 dst_sel:DWORD dst_unused:UNUSED_PAD src0_sel:DWORD src1_sel:WORD_1
	;; [unrolled: 2-line block ×12, first 2 shown]
	;;#ASMSTART
	;;#ASMEND
.LBB1269_83:
	s_or_b64 exec, exec, s[4:5]
	v_add_u16_e32 v14, s12, v14
	v_add_u16_e32 v15, s12, v15
	;; [unrolled: 1-line block ×24, first 2 shown]
	s_branch .LBB1269_90
.LBB1269_84:
                                        ; implicit-def: $vgpr14
                                        ; implicit-def: $vgpr15
                                        ; implicit-def: $vgpr16
                                        ; implicit-def: $vgpr18
                                        ; implicit-def: $vgpr19
                                        ; implicit-def: $vgpr23
                                        ; implicit-def: $vgpr29
                                        ; implicit-def: $vgpr36
                                        ; implicit-def: $vgpr26
                                        ; implicit-def: $vgpr33
                                        ; implicit-def: $vgpr41
                                        ; implicit-def: $vgpr47
                                        ; implicit-def: $vgpr53
                                        ; implicit-def: $vgpr54
                                        ; implicit-def: $vgpr56
                                        ; implicit-def: $vgpr58
                                        ; implicit-def: $vgpr55
                                        ; implicit-def: $vgpr57
                                        ; implicit-def: $vgpr59
                                        ; implicit-def: $vgpr60
                                        ; implicit-def: $vgpr61
                                        ; implicit-def: $vgpr62
                                        ; implicit-def: $vgpr63
                                        ; implicit-def: $vgpr64
	s_cbranch_execz .LBB1269_90
; %bb.85:
	s_nop 0
	v_mov_b32_dpp v14, v66 row_shr:1 row_mask:0xf bank_mask:0xf
	v_cndmask_b32_e64 v14, v14, 0, s[10:11]
	v_add_u16_e32 v14, v14, v52
	v_cmp_ne_u32_e32 vcc, 0, v65
	s_nop 0
	v_mov_b32_dpp v15, v14 row_shr:2 row_mask:0xf bank_mask:0xf
	v_cndmask_b32_e64 v15, 0, v15, s[8:9]
	v_add_u16_e32 v14, v14, v15
	s_nop 1
	v_mov_b32_dpp v15, v14 row_shr:4 row_mask:0xf bank_mask:0xf
	v_cndmask_b32_e64 v15, 0, v15, s[6:7]
	v_add_u16_e32 v14, v14, v15
	;; [unrolled: 4-line block ×3, first 2 shown]
	s_nop 1
	v_mov_b32_dpp v15, v14 row_bcast:15 row_mask:0xf bank_mask:0xf
	v_cndmask_b32_e32 v15, 0, v15, vcc
	v_add_u16_e32 v14, v14, v15
	v_cmp_lt_u32_e32 vcc, 31, v22
	s_nop 0
	v_mov_b32_dpp v15, v14 row_bcast:31 row_mask:0xf bank_mask:0xf
	v_cndmask_b32_e32 v15, 0, v15, vcc
	v_add_u16_e32 v14, v14, v15
	v_cmp_eq_u32_e32 vcc, 63, v0
	s_and_saveexec_b64 s[2:3], vcc
	s_cbranch_execz .LBB1269_87
; %bb.86:
	v_mov_b32_e32 v15, 0
	ds_write_b16 v15, v14
.LBB1269_87:
	s_or_b64 exec, exec, s[2:3]
	v_add_u32_e32 v15, -1, v22
	v_and_b32_e32 v16, 64, v22
	v_cmp_lt_i32_e32 vcc, v15, v16
	v_cndmask_b32_e32 v15, v15, v22, vcc
	v_lshlrev_b32_e32 v15, 2, v15
	ds_bpermute_b32 v14, v15, v14
	s_waitcnt lgkmcnt(0)
	; wave barrier
	s_waitcnt lgkmcnt(0)
	s_and_saveexec_b64 s[2:3], s[0:1]
	s_cbranch_execz .LBB1269_89
; %bb.88:
	v_add_u16_e32 v17, v17, v14
	v_add_u16_sdwa v24, v17, v10 dst_sel:DWORD dst_unused:UNUSED_PAD src0_sel:DWORD src1_sel:WORD_1
	v_add_u16_e32 v25, v24, v11
	v_add_u16_sdwa v27, v25, v11 dst_sel:DWORD dst_unused:UNUSED_PAD src0_sel:DWORD src1_sel:WORD_1
	;; [unrolled: 2-line block ×12, first 2 shown]
	;;#ASMSTART
	;;#ASMEND
.LBB1269_89:
	s_or_b64 exec, exec, s[2:3]
	v_mov_b32_e32 v14, v17
	v_mov_b32_e32 v15, v24
	;; [unrolled: 1-line block ×24, first 2 shown]
.LBB1269_90:
	v_cmp_eq_u32_e32 vcc, 63, v0
	s_and_saveexec_b64 s[0:1], vcc
	s_cbranch_execz .LBB1269_92
; %bb.91:
	s_mov_b32 s2, 0x20000
	v_mov_b32_e32 v2, 0
	v_or_b32_sdwa v3, v64, s2 dst_sel:DWORD dst_unused:UNUSED_PAD src0_sel:WORD_0 src1_sel:DWORD
	global_store_dword v2, v3, s[34:35] offset:256
.LBB1269_92:
	s_or_b64 exec, exec, s[0:1]
.LBB1269_93:
	s_add_u32 s0, s24, s28
	s_addc_u32 s1, s25, s29
	s_add_u32 s2, s0, s30
	s_addc_u32 s3, s1, s31
	s_mov_b64 s[0:1], -1
	s_and_b64 vcc, exec, s[26:27]
	s_waitcnt lgkmcnt(0)
	; wave barrier
	s_waitcnt lgkmcnt(0)
	s_cbranch_vccz .LBB1269_95
; %bb.94:
	s_mov_b32 s0, 0x5040100
	v_perm_b32 v5, v36, v29, s0
	v_perm_b32 v4, v23, v19, s0
	;; [unrolled: 1-line block ×4, first 2 shown]
	ds_write_b128 v1, v[2:5]
	v_perm_b32 v5, v58, v56, s0
	v_perm_b32 v4, v54, v53, s0
	;; [unrolled: 1-line block ×4, first 2 shown]
	ds_write_b128 v1, v[2:5] offset:16
	v_perm_b32 v5, v64, v63, s0
	v_perm_b32 v4, v62, v61, s0
	v_perm_b32 v3, v60, v59, s0
	v_perm_b32 v2, v57, v55, s0
	ds_write_b128 v1, v[2:5] offset:32
	s_waitcnt lgkmcnt(0)
	; wave barrier
	s_waitcnt lgkmcnt(0)
	ds_read_u16 v4, v20
	ds_read_u16 v5, v20 offset:128
	ds_read_u16 v6, v20 offset:256
	;; [unrolled: 1-line block ×23, first 2 shown]
	v_mov_b32_e32 v3, s3
	v_add_co_u32_e32 v2, vcc, s2, v20
	v_addc_co_u32_e32 v3, vcc, 0, v3, vcc
	s_waitcnt lgkmcnt(14)
	flat_store_short v[2:3], v4
	flat_store_short v[2:3], v5 offset:128
	flat_store_short v[2:3], v6 offset:256
	;; [unrolled: 1-line block ×9, first 2 shown]
	s_waitcnt lgkmcnt(0)
	flat_store_short v[2:3], v17 offset:1280
	flat_store_short v[2:3], v22 offset:1408
	flat_store_short v[2:3], v24 offset:1536
	flat_store_short v[2:3], v25 offset:1664
	flat_store_short v[2:3], v27 offset:1792
	flat_store_short v[2:3], v28 offset:1920
	flat_store_short v[2:3], v30 offset:2048
	flat_store_short v[2:3], v31 offset:2176
	flat_store_short v[2:3], v32 offset:2304
	flat_store_short v[2:3], v34 offset:2432
	flat_store_short v[2:3], v35 offset:2560
	flat_store_short v[2:3], v37 offset:2688
	flat_store_short v[2:3], v38 offset:2816
	flat_store_short v[2:3], v39 offset:2944
	s_mov_b64 s[0:1], 0
.LBB1269_95:
	s_andn2_b64 vcc, exec, s[0:1]
	s_cbranch_vccnz .LBB1269_152
; %bb.96:
	s_mov_b32 s0, 0x5040100
	v_perm_b32 v5, v36, v29, s0
	v_perm_b32 v4, v23, v19, s0
	;; [unrolled: 1-line block ×4, first 2 shown]
	ds_write_b128 v1, v[2:5]
	v_perm_b32 v5, v58, v56, s0
	v_perm_b32 v4, v54, v53, s0
	;; [unrolled: 1-line block ×4, first 2 shown]
	ds_write_b128 v1, v[2:5] offset:16
	v_perm_b32 v5, v64, v63, s0
	v_perm_b32 v4, v62, v61, s0
	;; [unrolled: 1-line block ×4, first 2 shown]
	ds_write_b128 v1, v[2:5] offset:32
	s_waitcnt lgkmcnt(0)
	; wave barrier
	s_waitcnt lgkmcnt(0)
	ds_read_u16 v5, v20
	ds_read_u16 v4, v20 offset:128
	ds_read_u16 v7, v20 offset:256
	;; [unrolled: 1-line block ×23, first 2 shown]
	v_mov_b32_e32 v3, s3
	v_add_co_u32_e32 v2, vcc, s2, v20
	v_addc_co_u32_e32 v3, vcc, 0, v3, vcc
	v_mov_b32_e32 v1, 0
	v_cmp_gt_u32_e32 vcc, s33, v0
	s_and_saveexec_b64 s[0:1], vcc
	s_cbranch_execz .LBB1269_98
; %bb.97:
	s_waitcnt lgkmcnt(0)
	flat_store_short v[2:3], v5
.LBB1269_98:
	s_or_b64 exec, exec, s[0:1]
	v_or_b32_e32 v20, 64, v0
	v_cmp_gt_u32_e32 vcc, s33, v20
	s_and_saveexec_b64 s[0:1], vcc
	s_cbranch_execz .LBB1269_100
; %bb.99:
	s_waitcnt lgkmcnt(0)
	flat_store_short v[2:3], v4 offset:128
.LBB1269_100:
	s_or_b64 exec, exec, s[0:1]
	v_or_b32_e32 v20, 0x80, v0
	v_cmp_gt_u32_e32 vcc, s33, v20
	s_and_saveexec_b64 s[0:1], vcc
	s_cbranch_execz .LBB1269_102
; %bb.101:
	s_waitcnt lgkmcnt(0)
	flat_store_short v[2:3], v7 offset:256
.LBB1269_102:
	;; [unrolled: 9-line block ×23, first 2 shown]
	s_or_b64 exec, exec, s[0:1]
	v_cmp_lt_u64_e64 s[0:1], s[22:23], 2
	s_and_b64 vcc, exec, s[0:1]
	s_cbranch_vccnz .LBB1269_152
; %bb.145:
	s_add_u32 s0, s33, -1
	s_addc_u32 s1, s36, -1
	s_add_u32 s2, 0, 0xaaaa0000
	s_addc_u32 s3, 0, 42
	s_add_i32 s3, s3, 0xaaaaa80
	s_mul_hi_u32 s7, s2, 0xffffffe8
	s_sub_i32 s7, s7, s2
	s_mul_i32 s8, s3, 0xffffffe8
	s_mul_i32 s4, s2, 0xffffffe8
	s_add_i32 s7, s7, s8
	s_mul_hi_u32 s5, s3, s4
	s_mul_i32 s6, s3, s4
	s_mul_i32 s9, s2, s7
	s_mul_hi_u32 s4, s2, s4
	s_mul_hi_u32 s8, s2, s7
	s_add_u32 s4, s4, s9
	s_addc_u32 s8, 0, s8
	s_add_u32 s4, s4, s6
	s_mul_hi_u32 s9, s3, s7
	s_addc_u32 s4, s8, s5
	s_addc_u32 s5, s9, 0
	s_mul_i32 s6, s3, s7
	s_add_u32 s4, s4, s6
	v_mov_b32_e32 v2, s4
	s_addc_u32 s5, 0, s5
	v_add_co_u32_e32 v2, vcc, s2, v2
	s_cmp_lg_u64 vcc, 0
	s_addc_u32 s2, s3, s5
	v_readfirstlane_b32 s5, v2
	s_mul_i32 s4, s0, s2
	s_mul_hi_u32 s6, s0, s5
	s_mul_hi_u32 s3, s0, s2
	s_add_u32 s4, s6, s4
	s_addc_u32 s3, 0, s3
	s_mul_hi_u32 s7, s1, s5
	s_mul_i32 s5, s1, s5
	s_add_u32 s4, s4, s5
	s_mul_hi_u32 s6, s1, s2
	s_addc_u32 s3, s3, s7
	s_addc_u32 s4, s6, 0
	s_mul_i32 s2, s1, s2
	s_add_u32 s2, s3, s2
	s_addc_u32 s3, 0, s4
	s_add_u32 s4, s2, 1
	s_addc_u32 s5, s3, 0
	s_add_u32 s6, s2, 2
	s_mul_i32 s8, s3, 24
	s_mul_hi_u32 s9, s2, 24
	s_addc_u32 s7, s3, 0
	s_add_i32 s9, s9, s8
	s_mul_i32 s8, s2, 24
	v_mov_b32_e32 v2, s8
	v_sub_co_u32_e32 v2, vcc, s0, v2
	s_cmp_lg_u64 vcc, 0
	s_subb_u32 s8, s1, s9
	v_subrev_co_u32_e32 v3, vcc, 24, v2
	s_cmp_lg_u64 vcc, 0
	s_subb_u32 s9, s8, 0
	v_readfirstlane_b32 s10, v3
	s_cmp_gt_u32 s10, 23
	s_cselect_b32 s10, -1, 0
	s_cmp_eq_u32 s9, 0
	s_cselect_b32 s9, s10, -1
	s_cmp_lg_u32 s9, 0
	s_cselect_b32 s4, s6, s4
	v_readfirstlane_b32 s6, v2
	s_cselect_b32 s5, s7, s5
	s_cmp_gt_u32 s6, 23
	s_cselect_b32 s6, -1, 0
	s_cmp_eq_u32 s8, 0
	s_cselect_b32 s6, s6, -1
	s_cmp_lg_u32 s6, 0
	s_cselect_b32 s3, s5, s3
	s_cselect_b32 s2, s4, s2
	v_cmp_eq_u64_e32 vcc, s[2:3], v[0:1]
	s_and_saveexec_b64 s[2:3], vcc
	s_cbranch_execz .LBB1269_152
; %bb.146:
	v_mul_hi_u32_u24_e32 v1, 24, v0
	v_mov_b32_e32 v2, s1
	v_sub_co_u32_e32 v0, vcc, s0, v21
	v_subb_co_u32_e32 v1, vcc, v2, v1, vcc
	v_cmp_lt_i64_e32 vcc, 11, v[0:1]
	s_mov_b64 s[0:1], 0
	s_mov_b64 s[8:9], 0
	;; [unrolled: 1-line block ×4, first 2 shown]
	s_and_saveexec_b64 s[2:3], vcc
	s_xor_b64 s[2:3], exec, s[2:3]
	s_cbranch_execnz .LBB1269_153
; %bb.147:
	s_andn2_saveexec_b64 s[2:3], s[2:3]
	s_cbranch_execnz .LBB1269_198
.LBB1269_148:
	s_or_b64 exec, exec, s[2:3]
	s_and_saveexec_b64 s[2:3], s[8:9]
	s_cbranch_execnz .LBB1269_215
.LBB1269_149:
	s_or_b64 exec, exec, s[2:3]
	s_and_saveexec_b64 s[2:3], s[6:7]
	s_cbranch_execnz .LBB1269_216
.LBB1269_150:
	s_or_b64 exec, exec, s[2:3]
	s_and_saveexec_b64 s[2:3], s[4:5]
	s_xor_b64 s[2:3], exec, s[2:3]
	s_cbranch_execnz .LBB1269_217
.LBB1269_151:
	s_or_b64 exec, exec, s[2:3]
	s_and_b64 exec, exec, s[0:1]
	s_cbranch_execnz .LBB1269_218
.LBB1269_152:
	s_endpgm
.LBB1269_153:
	v_cmp_lt_i64_e32 vcc, 17, v[0:1]
	s_and_saveexec_b64 s[10:11], vcc
	s_xor_b64 s[10:11], exec, s[10:11]
	s_cbranch_execz .LBB1269_175
; %bb.154:
	v_cmp_lt_i64_e32 vcc, 20, v[0:1]
                                        ; implicit-def: $vgpr10
	s_and_saveexec_b64 s[12:13], vcc
	s_xor_b64 s[12:13], exec, s[12:13]
	s_cbranch_execz .LBB1269_164
; %bb.155:
	v_cmp_lt_i64_e32 vcc, 21, v[0:1]
	s_mov_b64 s[14:15], 0
                                        ; implicit-def: $vgpr10
	s_and_saveexec_b64 s[4:5], vcc
	s_xor_b64 s[4:5], exec, s[4:5]
	s_cbranch_execz .LBB1269_161
; %bb.156:
	v_cmp_lt_i64_e32 vcc, 22, v[0:1]
	s_and_saveexec_b64 s[14:15], vcc
	s_xor_b64 s[14:15], exec, s[14:15]
	s_cbranch_execz .LBB1269_158
; %bb.157:
	v_mov_b32_e32 v2, 0
	s_waitcnt lgkmcnt(0)
	global_store_short v2, v29, s[18:19]
                                        ; implicit-def: $vgpr28
.LBB1269_158:
	s_or_saveexec_b64 s[14:15], s[14:15]
	s_mov_b64 s[16:17], 0
	s_xor_b64 exec, exec, s[14:15]
; %bb.159:
	s_mov_b64 s[16:17], exec
; %bb.160:
	s_or_b64 exec, exec, s[14:15]
	s_and_b64 s[14:15], s[16:17], exec
	s_waitcnt lgkmcnt(0)
	v_mov_b32_e32 v10, v28
                                        ; implicit-def: $vgpr11
.LBB1269_161:
	s_andn2_saveexec_b64 s[4:5], s[4:5]
; %bb.162:
	s_mov_b64 s[6:7], exec
                                        ; implicit-def: $vgpr10
; %bb.163:
	s_or_b64 exec, exec, s[4:5]
	s_and_b64 s[4:5], s[14:15], exec
	s_and_b64 s[6:7], s[6:7], exec
                                        ; implicit-def: $vgpr26
                                        ; implicit-def: $vgpr12
                                        ; implicit-def: $vgpr23
.LBB1269_164:
	s_andn2_saveexec_b64 s[12:13], s[12:13]
	s_cbranch_execz .LBB1269_174
; %bb.165:
	v_cmp_lt_i64_e32 vcc, 18, v[0:1]
	s_mov_b64 s[14:15], 0
	s_and_saveexec_b64 s[8:9], vcc
	s_xor_b64 s[8:9], exec, s[8:9]
	s_cbranch_execz .LBB1269_171
; %bb.166:
	v_cmp_lt_i64_e32 vcc, 19, v[0:1]
	s_and_saveexec_b64 s[16:17], vcc
	s_xor_b64 s[16:17], exec, s[16:17]
; %bb.167:
	s_mov_b64 s[14:15], exec
                                        ; implicit-def: $vgpr23
; %bb.168:
	s_andn2_saveexec_b64 s[16:17], s[16:17]
	s_cbranch_execz .LBB1269_170
; %bb.169:
	v_mov_b32_e32 v2, 0
	s_waitcnt lgkmcnt(0)
	global_store_short v2, v23, s[18:19]
                                        ; implicit-def: $vgpr12
.LBB1269_170:
	s_or_b64 exec, exec, s[16:17]
	s_and_b64 s[14:15], s[14:15], exec
                                        ; implicit-def: $vgpr26
.LBB1269_171:
	s_andn2_saveexec_b64 s[8:9], s[8:9]
	s_cbranch_execz .LBB1269_173
; %bb.172:
	v_mov_b32_e32 v2, 0
	s_waitcnt lgkmcnt(0)
	global_store_short v2, v26, s[18:19]
                                        ; implicit-def: $vgpr12
.LBB1269_173:
	s_or_b64 exec, exec, s[8:9]
	s_and_b64 s[8:9], s[14:15], exec
                                        ; implicit-def: $vgpr10
                                        ; implicit-def: $vgpr11
.LBB1269_174:
	s_or_b64 exec, exec, s[12:13]
	s_and_b64 s[4:5], s[4:5], exec
	s_and_b64 s[6:7], s[6:7], exec
	;; [unrolled: 1-line block ×3, first 2 shown]
                                        ; implicit-def: $vgpr18
                                        ; implicit-def: $vgpr13
                                        ; implicit-def: $vgpr14
                                        ; implicit-def: $vgpr24
                                        ; implicit-def: $vgpr27
.LBB1269_175:
	s_andn2_saveexec_b64 s[10:11], s[10:11]
	s_cbranch_execz .LBB1269_197
; %bb.176:
	v_cmp_lt_i64_e32 vcc, 14, v[0:1]
	s_mov_b64 s[12:13], s[4:5]
	s_and_saveexec_b64 s[14:15], vcc
	s_xor_b64 s[14:15], exec, s[14:15]
	s_cbranch_execz .LBB1269_186
; %bb.177:
	v_cmp_lt_i64_e32 vcc, 15, v[0:1]
	s_and_saveexec_b64 s[12:13], vcc
	s_xor_b64 s[12:13], exec, s[12:13]
	s_cbranch_execz .LBB1269_183
; %bb.178:
	v_cmp_lt_i64_e32 vcc, 16, v[0:1]
	s_and_saveexec_b64 s[16:17], vcc
	s_xor_b64 s[16:17], exec, s[16:17]
	s_cbranch_execz .LBB1269_180
; %bb.179:
	v_mov_b32_e32 v2, 0
	s_waitcnt lgkmcnt(0)
	global_store_short v2, v27, s[18:19]
                                        ; implicit-def: $vgpr24
.LBB1269_180:
	s_andn2_saveexec_b64 s[16:17], s[16:17]
	s_cbranch_execz .LBB1269_182
; %bb.181:
	v_mov_b32_e32 v2, 0
	s_waitcnt lgkmcnt(0)
	global_store_short v2, v24, s[18:19]
.LBB1269_182:
	s_or_b64 exec, exec, s[16:17]
                                        ; implicit-def: $vgpr10
.LBB1269_183:
	s_or_saveexec_b64 s[12:13], s[12:13]
	s_mov_b64 s[16:17], s[4:5]
	s_xor_b64 exec, exec, s[12:13]
; %bb.184:
	s_or_b64 s[16:17], s[4:5], exec
; %bb.185:
	s_or_b64 exec, exec, s[12:13]
	s_andn2_b64 s[12:13], s[4:5], exec
	s_and_b64 s[16:17], s[16:17], exec
	s_or_b64 s[12:13], s[12:13], s[16:17]
                                        ; implicit-def: $vgpr18
                                        ; implicit-def: $vgpr13
                                        ; implicit-def: $vgpr14
.LBB1269_186:
	s_or_saveexec_b64 s[14:15], s[14:15]
	s_mov_b64 s[16:17], s[6:7]
                                        ; implicit-def: $vgpr11
	s_xor_b64 exec, exec, s[14:15]
	s_cbranch_execz .LBB1269_196
; %bb.187:
	v_cmp_lt_i64_e32 vcc, 12, v[0:1]
	s_mov_b64 s[20:21], s[6:7]
	s_mov_b64 s[22:23], s[12:13]
                                        ; implicit-def: $vgpr10
                                        ; implicit-def: $vgpr11
	s_and_saveexec_b64 s[16:17], vcc
	s_xor_b64 s[16:17], exec, s[16:17]
	s_cbranch_execz .LBB1269_193
; %bb.188:
	v_cmp_lt_i64_e32 vcc, 13, v[0:1]
	s_mov_b64 s[20:21], s[12:13]
	s_and_saveexec_b64 s[22:23], vcc
	s_xor_b64 s[22:23], exec, s[22:23]
; %bb.189:
	s_or_b64 s[20:21], s[12:13], exec
                                        ; implicit-def: $vgpr13
; %bb.190:
	s_or_saveexec_b64 s[22:23], s[22:23]
	s_mov_b64 s[24:25], s[6:7]
	s_xor_b64 exec, exec, s[22:23]
; %bb.191:
	s_or_b64 s[24:25], s[6:7], exec
                                        ; implicit-def: $vgpr14
; %bb.192:
	s_or_b64 exec, exec, s[22:23]
	s_andn2_b64 s[22:23], s[12:13], exec
	s_and_b64 s[20:21], s[20:21], exec
	s_or_b64 s[22:23], s[22:23], s[20:21]
	s_andn2_b64 s[20:21], s[6:7], exec
	s_and_b64 s[24:25], s[24:25], exec
	s_or_b64 s[20:21], s[20:21], s[24:25]
	s_waitcnt lgkmcnt(0)
	v_mov_b32_e32 v10, v14
	v_mov_b32_e32 v11, v13
                                        ; implicit-def: $vgpr18
.LBB1269_193:
	s_andn2_saveexec_b64 s[16:17], s[16:17]
	s_cbranch_execz .LBB1269_195
; %bb.194:
	s_or_b64 s[20:21], s[20:21], exec
                                        ; implicit-def: $vgpr10
	s_waitcnt lgkmcnt(0)
	v_mov_b32_e32 v11, v18
.LBB1269_195:
	s_or_b64 exec, exec, s[16:17]
	s_andn2_b64 s[12:13], s[12:13], exec
	s_and_b64 s[16:17], s[22:23], exec
	s_or_b64 s[12:13], s[12:13], s[16:17]
	s_andn2_b64 s[16:17], s[6:7], exec
	s_and_b64 s[20:21], s[20:21], exec
	s_or_b64 s[16:17], s[16:17], s[20:21]
.LBB1269_196:
	s_or_b64 exec, exec, s[14:15]
	s_andn2_b64 s[4:5], s[4:5], exec
	s_and_b64 s[12:13], s[12:13], exec
	s_or_b64 s[4:5], s[4:5], s[12:13]
	s_andn2_b64 s[6:7], s[6:7], exec
	s_and_b64 s[12:13], s[16:17], exec
	s_or_b64 s[6:7], s[6:7], s[12:13]
                                        ; implicit-def: $vgpr12
.LBB1269_197:
	s_or_b64 exec, exec, s[10:11]
	s_and_b64 s[4:5], s[4:5], exec
	s_and_b64 s[6:7], s[6:7], exec
	;; [unrolled: 1-line block ×3, first 2 shown]
                                        ; implicit-def: $vgpr17
                                        ; implicit-def: $vgpr15
                                        ; implicit-def: $vgpr16
                                        ; implicit-def: $vgpr25
                                        ; implicit-def: $vgpr22
                                        ; implicit-def: $vgpr19
	s_andn2_saveexec_b64 s[2:3], s[2:3]
	s_cbranch_execz .LBB1269_148
.LBB1269_198:
	v_cmp_lt_i64_e32 vcc, 5, v[0:1]
	s_mov_b64 s[12:13], -1
	s_mov_b64 s[10:11], s[8:9]
	s_mov_b64 s[14:15], s[6:7]
	s_mov_b64 s[16:17], s[4:5]
                                        ; implicit-def: $vgpr10
                                        ; implicit-def: $vgpr11
                                        ; implicit-def: $vgpr12
	s_and_saveexec_b64 s[0:1], vcc
	s_cbranch_execz .LBB1269_214
; %bb.199:
	v_cmp_lt_i64_e32 vcc, 8, v[0:1]
	s_mov_b64 s[10:11], s[8:9]
                                        ; implicit-def: $vgpr12
	s_and_saveexec_b64 s[12:13], vcc
	s_xor_b64 s[12:13], exec, s[12:13]
	s_cbranch_execz .LBB1269_209
; %bb.200:
	v_cmp_lt_i64_e32 vcc, 9, v[0:1]
	s_and_saveexec_b64 s[10:11], vcc
	s_xor_b64 s[10:11], exec, s[10:11]
	s_cbranch_execz .LBB1269_206
; %bb.201:
	v_cmp_lt_i64_e32 vcc, 10, v[0:1]
	s_and_saveexec_b64 s[14:15], vcc
	s_xor_b64 s[14:15], exec, s[14:15]
; %bb.202:
                                        ; implicit-def: $vgpr22
; %bb.203:
	s_andn2_saveexec_b64 s[14:15], s[14:15]
	s_cbranch_execz .LBB1269_205
; %bb.204:
	s_waitcnt lgkmcnt(0)
	v_mov_b32_e32 v19, v22
.LBB1269_205:
	s_or_b64 exec, exec, s[14:15]
                                        ; implicit-def: $vgpr25
.LBB1269_206:
	s_andn2_saveexec_b64 s[10:11], s[10:11]
	s_cbranch_execz .LBB1269_208
; %bb.207:
	s_waitcnt lgkmcnt(0)
	v_mov_b32_e32 v19, v25
.LBB1269_208:
	s_or_b64 exec, exec, s[10:11]
	s_or_b64 s[10:11], s[8:9], exec
	s_waitcnt lgkmcnt(0)
	v_mov_b32_e32 v12, v19
                                        ; implicit-def: $vgpr17
                                        ; implicit-def: $vgpr15
                                        ; implicit-def: $vgpr16
.LBB1269_209:
	s_or_saveexec_b64 s[12:13], s[12:13]
	s_mov_b64 s[14:15], s[6:7]
	s_mov_b64 s[20:21], s[4:5]
                                        ; implicit-def: $vgpr10
                                        ; implicit-def: $vgpr11
	s_xor_b64 exec, exec, s[12:13]
	s_cbranch_execz .LBB1269_213
; %bb.210:
	v_cmp_lt_i64_e32 vcc, 6, v[0:1]
	s_mov_b64 s[20:21], -1
	s_mov_b64 s[16:17], s[10:11]
	s_mov_b64 s[14:15], s[6:7]
	s_and_saveexec_b64 s[22:23], vcc
; %bb.211:
	v_cmp_lt_i64_e32 vcc, 7, v[0:1]
	s_andn2_b64 s[16:17], s[10:11], exec
	s_and_b64 s[24:25], vcc, exec
	s_xor_b64 s[20:21], exec, -1
	s_or_b64 s[14:15], s[6:7], exec
	s_or_b64 s[16:17], s[16:17], s[24:25]
                                        ; implicit-def: $vgpr17
; %bb.212:
	s_or_b64 exec, exec, s[22:23]
	s_andn2_b64 s[22:23], s[4:5], exec
	s_and_b64 s[20:21], s[20:21], exec
	s_or_b64 s[20:21], s[22:23], s[20:21]
	s_andn2_b64 s[22:23], s[6:7], exec
	s_and_b64 s[14:15], s[14:15], exec
	s_andn2_b64 s[10:11], s[10:11], exec
	s_and_b64 s[16:17], s[16:17], exec
	s_or_b64 s[14:15], s[22:23], s[14:15]
	s_or_b64 s[10:11], s[10:11], s[16:17]
	s_waitcnt lgkmcnt(0)
	v_mov_b32_e32 v10, v17
	v_mov_b32_e32 v11, v15
	;; [unrolled: 1-line block ×3, first 2 shown]
.LBB1269_213:
	s_or_b64 exec, exec, s[12:13]
	s_andn2_b64 s[16:17], s[4:5], exec
	s_and_b64 s[20:21], s[20:21], exec
	s_or_b64 s[16:17], s[16:17], s[20:21]
	s_andn2_b64 s[20:21], s[6:7], exec
	s_and_b64 s[14:15], s[14:15], exec
	s_or_b64 s[14:15], s[20:21], s[14:15]
	s_andn2_b64 s[20:21], s[8:9], exec
	s_and_b64 s[10:11], s[10:11], exec
	s_xor_b64 s[12:13], exec, -1
	s_or_b64 s[10:11], s[20:21], s[10:11]
.LBB1269_214:
	s_or_b64 exec, exec, s[0:1]
	s_and_b64 s[0:1], s[12:13], exec
	s_andn2_b64 s[4:5], s[4:5], exec
	s_and_b64 s[12:13], s[16:17], exec
	s_or_b64 s[4:5], s[4:5], s[12:13]
	s_andn2_b64 s[6:7], s[6:7], exec
	s_and_b64 s[12:13], s[14:15], exec
	s_andn2_b64 s[8:9], s[8:9], exec
	s_and_b64 s[10:11], s[10:11], exec
	s_or_b64 s[6:7], s[6:7], s[12:13]
	s_or_b64 s[8:9], s[8:9], s[10:11]
	s_or_b64 exec, exec, s[2:3]
	s_and_saveexec_b64 s[2:3], s[8:9]
	s_cbranch_execz .LBB1269_149
.LBB1269_215:
	v_mov_b32_e32 v2, 0
	s_andn2_b64 s[6:7], s[6:7], exec
	s_waitcnt lgkmcnt(0)
	global_store_short v2, v12, s[18:19]
                                        ; implicit-def: $vgpr10
                                        ; implicit-def: $vgpr11
	s_or_b64 exec, exec, s[2:3]
	s_and_saveexec_b64 s[2:3], s[6:7]
	s_cbranch_execz .LBB1269_150
.LBB1269_216:
	v_mov_b32_e32 v2, 0
	s_waitcnt lgkmcnt(0)
	global_store_short v2, v11, s[18:19]
                                        ; implicit-def: $vgpr10
	s_or_b64 exec, exec, s[2:3]
	s_and_saveexec_b64 s[2:3], s[4:5]
	s_xor_b64 s[2:3], exec, s[2:3]
	s_cbranch_execz .LBB1269_151
.LBB1269_217:
	v_mov_b32_e32 v2, 0
	s_waitcnt lgkmcnt(0)
	global_store_short v2, v10, s[18:19]
	s_or_b64 exec, exec, s[2:3]
	s_and_b64 exec, exec, s[0:1]
	s_cbranch_execz .LBB1269_152
.LBB1269_218:
	v_cmp_lt_i64_e32 vcc, 2, v[0:1]
	s_and_saveexec_b64 s[0:1], vcc
	s_xor_b64 s[0:1], exec, s[0:1]
	s_cbranch_execz .LBB1269_228
; %bb.219:
	v_cmp_lt_i64_e32 vcc, 3, v[0:1]
	s_and_saveexec_b64 s[2:3], vcc
	s_xor_b64 s[2:3], exec, s[2:3]
	s_cbranch_execz .LBB1269_225
; %bb.220:
	;; [unrolled: 5-line block ×3, first 2 shown]
	v_mov_b32_e32 v0, 0
	s_waitcnt lgkmcnt(0)
	global_store_short v0, v9, s[18:19]
                                        ; implicit-def: $vgpr6
.LBB1269_222:
	s_andn2_saveexec_b64 s[4:5], s[4:5]
	s_cbranch_execz .LBB1269_224
; %bb.223:
	v_mov_b32_e32 v0, 0
	s_waitcnt lgkmcnt(0)
	global_store_short v0, v6, s[18:19]
.LBB1269_224:
	s_or_b64 exec, exec, s[4:5]
                                        ; implicit-def: $vgpr8
.LBB1269_225:
	s_andn2_saveexec_b64 s[2:3], s[2:3]
	s_cbranch_execz .LBB1269_227
; %bb.226:
	v_mov_b32_e32 v0, 0
	s_waitcnt lgkmcnt(0)
	global_store_short v0, v8, s[18:19]
.LBB1269_227:
	s_or_b64 exec, exec, s[2:3]
                                        ; implicit-def: $vgpr0_vgpr1
                                        ; implicit-def: $vgpr7
                                        ; implicit-def: $vgpr4
                                        ; implicit-def: $vgpr5
.LBB1269_228:
	s_andn2_saveexec_b64 s[0:1], s[0:1]
	s_cbranch_execz .LBB1269_152
; %bb.229:
	v_cmp_lt_i64_e32 vcc, 1, v[0:1]
	s_and_saveexec_b64 s[0:1], vcc
	s_xor_b64 s[0:1], exec, s[0:1]
	s_cbranch_execz .LBB1269_231
; %bb.230:
	v_mov_b32_e32 v0, 0
	s_waitcnt lgkmcnt(0)
	global_store_short v0, v7, s[18:19]
                                        ; implicit-def: $vgpr4
                                        ; implicit-def: $vgpr0_vgpr1
                                        ; implicit-def: $vgpr5
.LBB1269_231:
	s_andn2_saveexec_b64 s[0:1], s[0:1]
	s_cbranch_execz .LBB1269_152
; %bb.232:
	v_cmp_ne_u64_e32 vcc, 1, v[0:1]
	s_and_saveexec_b64 s[0:1], vcc
	s_xor_b64 s[0:1], exec, s[0:1]
	s_cbranch_execz .LBB1269_234
; %bb.233:
	v_mov_b32_e32 v0, 0
	s_waitcnt lgkmcnt(0)
	global_store_short v0, v5, s[18:19]
                                        ; implicit-def: $vgpr4
.LBB1269_234:
	s_andn2_saveexec_b64 s[0:1], s[0:1]
	s_cbranch_execz .LBB1269_152
; %bb.235:
	v_mov_b32_e32 v0, 0
	s_waitcnt lgkmcnt(0)
	global_store_short v0, v4, s[18:19]
	s_endpgm
	.section	.rodata,"a",@progbits
	.p2align	6, 0x0
	.amdhsa_kernel _ZN7rocprim17ROCPRIM_400000_NS6detail17trampoline_kernelINS0_14default_configENS1_20scan_config_selectorIsEEZZNS1_9scan_implILNS1_25lookback_scan_determinismE0ELb0ELb1ES3_N6thrust23THRUST_200600_302600_NS6detail15normal_iteratorINS9_10device_ptrIsEEEESE_sNS9_4plusIsEEsEEDaPvRmT3_T4_T5_mT6_P12ihipStream_tbENKUlT_T0_E_clISt17integral_constantIbLb0EESU_EEDaSP_SQ_EUlSP_E_NS1_11comp_targetILNS1_3genE4ELNS1_11target_archE910ELNS1_3gpuE8ELNS1_3repE0EEENS1_30default_config_static_selectorELNS0_4arch9wavefront6targetE1EEEvT1_
		.amdhsa_group_segment_fixed_size 3072
		.amdhsa_private_segment_fixed_size 0
		.amdhsa_kernarg_size 96
		.amdhsa_user_sgpr_count 6
		.amdhsa_user_sgpr_private_segment_buffer 1
		.amdhsa_user_sgpr_dispatch_ptr 0
		.amdhsa_user_sgpr_queue_ptr 0
		.amdhsa_user_sgpr_kernarg_segment_ptr 1
		.amdhsa_user_sgpr_dispatch_id 0
		.amdhsa_user_sgpr_flat_scratch_init 0
		.amdhsa_user_sgpr_kernarg_preload_length 0
		.amdhsa_user_sgpr_kernarg_preload_offset 0
		.amdhsa_user_sgpr_private_segment_size 0
		.amdhsa_uses_dynamic_stack 0
		.amdhsa_system_sgpr_private_segment_wavefront_offset 0
		.amdhsa_system_sgpr_workgroup_id_x 1
		.amdhsa_system_sgpr_workgroup_id_y 0
		.amdhsa_system_sgpr_workgroup_id_z 0
		.amdhsa_system_sgpr_workgroup_info 0
		.amdhsa_system_vgpr_workitem_id 0
		.amdhsa_next_free_vgpr 68
		.amdhsa_next_free_sgpr 37
		.amdhsa_accum_offset 68
		.amdhsa_reserve_vcc 1
		.amdhsa_reserve_flat_scratch 0
		.amdhsa_float_round_mode_32 0
		.amdhsa_float_round_mode_16_64 0
		.amdhsa_float_denorm_mode_32 3
		.amdhsa_float_denorm_mode_16_64 3
		.amdhsa_dx10_clamp 1
		.amdhsa_ieee_mode 1
		.amdhsa_fp16_overflow 0
		.amdhsa_tg_split 0
		.amdhsa_exception_fp_ieee_invalid_op 0
		.amdhsa_exception_fp_denorm_src 0
		.amdhsa_exception_fp_ieee_div_zero 0
		.amdhsa_exception_fp_ieee_overflow 0
		.amdhsa_exception_fp_ieee_underflow 0
		.amdhsa_exception_fp_ieee_inexact 0
		.amdhsa_exception_int_div_zero 0
	.end_amdhsa_kernel
	.section	.text._ZN7rocprim17ROCPRIM_400000_NS6detail17trampoline_kernelINS0_14default_configENS1_20scan_config_selectorIsEEZZNS1_9scan_implILNS1_25lookback_scan_determinismE0ELb0ELb1ES3_N6thrust23THRUST_200600_302600_NS6detail15normal_iteratorINS9_10device_ptrIsEEEESE_sNS9_4plusIsEEsEEDaPvRmT3_T4_T5_mT6_P12ihipStream_tbENKUlT_T0_E_clISt17integral_constantIbLb0EESU_EEDaSP_SQ_EUlSP_E_NS1_11comp_targetILNS1_3genE4ELNS1_11target_archE910ELNS1_3gpuE8ELNS1_3repE0EEENS1_30default_config_static_selectorELNS0_4arch9wavefront6targetE1EEEvT1_,"axG",@progbits,_ZN7rocprim17ROCPRIM_400000_NS6detail17trampoline_kernelINS0_14default_configENS1_20scan_config_selectorIsEEZZNS1_9scan_implILNS1_25lookback_scan_determinismE0ELb0ELb1ES3_N6thrust23THRUST_200600_302600_NS6detail15normal_iteratorINS9_10device_ptrIsEEEESE_sNS9_4plusIsEEsEEDaPvRmT3_T4_T5_mT6_P12ihipStream_tbENKUlT_T0_E_clISt17integral_constantIbLb0EESU_EEDaSP_SQ_EUlSP_E_NS1_11comp_targetILNS1_3genE4ELNS1_11target_archE910ELNS1_3gpuE8ELNS1_3repE0EEENS1_30default_config_static_selectorELNS0_4arch9wavefront6targetE1EEEvT1_,comdat
.Lfunc_end1269:
	.size	_ZN7rocprim17ROCPRIM_400000_NS6detail17trampoline_kernelINS0_14default_configENS1_20scan_config_selectorIsEEZZNS1_9scan_implILNS1_25lookback_scan_determinismE0ELb0ELb1ES3_N6thrust23THRUST_200600_302600_NS6detail15normal_iteratorINS9_10device_ptrIsEEEESE_sNS9_4plusIsEEsEEDaPvRmT3_T4_T5_mT6_P12ihipStream_tbENKUlT_T0_E_clISt17integral_constantIbLb0EESU_EEDaSP_SQ_EUlSP_E_NS1_11comp_targetILNS1_3genE4ELNS1_11target_archE910ELNS1_3gpuE8ELNS1_3repE0EEENS1_30default_config_static_selectorELNS0_4arch9wavefront6targetE1EEEvT1_, .Lfunc_end1269-_ZN7rocprim17ROCPRIM_400000_NS6detail17trampoline_kernelINS0_14default_configENS1_20scan_config_selectorIsEEZZNS1_9scan_implILNS1_25lookback_scan_determinismE0ELb0ELb1ES3_N6thrust23THRUST_200600_302600_NS6detail15normal_iteratorINS9_10device_ptrIsEEEESE_sNS9_4plusIsEEsEEDaPvRmT3_T4_T5_mT6_P12ihipStream_tbENKUlT_T0_E_clISt17integral_constantIbLb0EESU_EEDaSP_SQ_EUlSP_E_NS1_11comp_targetILNS1_3genE4ELNS1_11target_archE910ELNS1_3gpuE8ELNS1_3repE0EEENS1_30default_config_static_selectorELNS0_4arch9wavefront6targetE1EEEvT1_
                                        ; -- End function
	.section	.AMDGPU.csdata,"",@progbits
; Kernel info:
; codeLenInByte = 8608
; NumSgprs: 41
; NumVgprs: 68
; NumAgprs: 0
; TotalNumVgprs: 68
; ScratchSize: 0
; MemoryBound: 0
; FloatMode: 240
; IeeeMode: 1
; LDSByteSize: 3072 bytes/workgroup (compile time only)
; SGPRBlocks: 5
; VGPRBlocks: 8
; NumSGPRsForWavesPerEU: 41
; NumVGPRsForWavesPerEU: 68
; AccumOffset: 68
; Occupancy: 6
; WaveLimiterHint : 1
; COMPUTE_PGM_RSRC2:SCRATCH_EN: 0
; COMPUTE_PGM_RSRC2:USER_SGPR: 6
; COMPUTE_PGM_RSRC2:TRAP_HANDLER: 0
; COMPUTE_PGM_RSRC2:TGID_X_EN: 1
; COMPUTE_PGM_RSRC2:TGID_Y_EN: 0
; COMPUTE_PGM_RSRC2:TGID_Z_EN: 0
; COMPUTE_PGM_RSRC2:TIDIG_COMP_CNT: 0
; COMPUTE_PGM_RSRC3_GFX90A:ACCUM_OFFSET: 16
; COMPUTE_PGM_RSRC3_GFX90A:TG_SPLIT: 0
	.section	.text._ZN7rocprim17ROCPRIM_400000_NS6detail17trampoline_kernelINS0_14default_configENS1_20scan_config_selectorIsEEZZNS1_9scan_implILNS1_25lookback_scan_determinismE0ELb0ELb1ES3_N6thrust23THRUST_200600_302600_NS6detail15normal_iteratorINS9_10device_ptrIsEEEESE_sNS9_4plusIsEEsEEDaPvRmT3_T4_T5_mT6_P12ihipStream_tbENKUlT_T0_E_clISt17integral_constantIbLb0EESU_EEDaSP_SQ_EUlSP_E_NS1_11comp_targetILNS1_3genE3ELNS1_11target_archE908ELNS1_3gpuE7ELNS1_3repE0EEENS1_30default_config_static_selectorELNS0_4arch9wavefront6targetE1EEEvT1_,"axG",@progbits,_ZN7rocprim17ROCPRIM_400000_NS6detail17trampoline_kernelINS0_14default_configENS1_20scan_config_selectorIsEEZZNS1_9scan_implILNS1_25lookback_scan_determinismE0ELb0ELb1ES3_N6thrust23THRUST_200600_302600_NS6detail15normal_iteratorINS9_10device_ptrIsEEEESE_sNS9_4plusIsEEsEEDaPvRmT3_T4_T5_mT6_P12ihipStream_tbENKUlT_T0_E_clISt17integral_constantIbLb0EESU_EEDaSP_SQ_EUlSP_E_NS1_11comp_targetILNS1_3genE3ELNS1_11target_archE908ELNS1_3gpuE7ELNS1_3repE0EEENS1_30default_config_static_selectorELNS0_4arch9wavefront6targetE1EEEvT1_,comdat
	.protected	_ZN7rocprim17ROCPRIM_400000_NS6detail17trampoline_kernelINS0_14default_configENS1_20scan_config_selectorIsEEZZNS1_9scan_implILNS1_25lookback_scan_determinismE0ELb0ELb1ES3_N6thrust23THRUST_200600_302600_NS6detail15normal_iteratorINS9_10device_ptrIsEEEESE_sNS9_4plusIsEEsEEDaPvRmT3_T4_T5_mT6_P12ihipStream_tbENKUlT_T0_E_clISt17integral_constantIbLb0EESU_EEDaSP_SQ_EUlSP_E_NS1_11comp_targetILNS1_3genE3ELNS1_11target_archE908ELNS1_3gpuE7ELNS1_3repE0EEENS1_30default_config_static_selectorELNS0_4arch9wavefront6targetE1EEEvT1_ ; -- Begin function _ZN7rocprim17ROCPRIM_400000_NS6detail17trampoline_kernelINS0_14default_configENS1_20scan_config_selectorIsEEZZNS1_9scan_implILNS1_25lookback_scan_determinismE0ELb0ELb1ES3_N6thrust23THRUST_200600_302600_NS6detail15normal_iteratorINS9_10device_ptrIsEEEESE_sNS9_4plusIsEEsEEDaPvRmT3_T4_T5_mT6_P12ihipStream_tbENKUlT_T0_E_clISt17integral_constantIbLb0EESU_EEDaSP_SQ_EUlSP_E_NS1_11comp_targetILNS1_3genE3ELNS1_11target_archE908ELNS1_3gpuE7ELNS1_3repE0EEENS1_30default_config_static_selectorELNS0_4arch9wavefront6targetE1EEEvT1_
	.globl	_ZN7rocprim17ROCPRIM_400000_NS6detail17trampoline_kernelINS0_14default_configENS1_20scan_config_selectorIsEEZZNS1_9scan_implILNS1_25lookback_scan_determinismE0ELb0ELb1ES3_N6thrust23THRUST_200600_302600_NS6detail15normal_iteratorINS9_10device_ptrIsEEEESE_sNS9_4plusIsEEsEEDaPvRmT3_T4_T5_mT6_P12ihipStream_tbENKUlT_T0_E_clISt17integral_constantIbLb0EESU_EEDaSP_SQ_EUlSP_E_NS1_11comp_targetILNS1_3genE3ELNS1_11target_archE908ELNS1_3gpuE7ELNS1_3repE0EEENS1_30default_config_static_selectorELNS0_4arch9wavefront6targetE1EEEvT1_
	.p2align	8
	.type	_ZN7rocprim17ROCPRIM_400000_NS6detail17trampoline_kernelINS0_14default_configENS1_20scan_config_selectorIsEEZZNS1_9scan_implILNS1_25lookback_scan_determinismE0ELb0ELb1ES3_N6thrust23THRUST_200600_302600_NS6detail15normal_iteratorINS9_10device_ptrIsEEEESE_sNS9_4plusIsEEsEEDaPvRmT3_T4_T5_mT6_P12ihipStream_tbENKUlT_T0_E_clISt17integral_constantIbLb0EESU_EEDaSP_SQ_EUlSP_E_NS1_11comp_targetILNS1_3genE3ELNS1_11target_archE908ELNS1_3gpuE7ELNS1_3repE0EEENS1_30default_config_static_selectorELNS0_4arch9wavefront6targetE1EEEvT1_,@function
_ZN7rocprim17ROCPRIM_400000_NS6detail17trampoline_kernelINS0_14default_configENS1_20scan_config_selectorIsEEZZNS1_9scan_implILNS1_25lookback_scan_determinismE0ELb0ELb1ES3_N6thrust23THRUST_200600_302600_NS6detail15normal_iteratorINS9_10device_ptrIsEEEESE_sNS9_4plusIsEEsEEDaPvRmT3_T4_T5_mT6_P12ihipStream_tbENKUlT_T0_E_clISt17integral_constantIbLb0EESU_EEDaSP_SQ_EUlSP_E_NS1_11comp_targetILNS1_3genE3ELNS1_11target_archE908ELNS1_3gpuE7ELNS1_3repE0EEENS1_30default_config_static_selectorELNS0_4arch9wavefront6targetE1EEEvT1_: ; @_ZN7rocprim17ROCPRIM_400000_NS6detail17trampoline_kernelINS0_14default_configENS1_20scan_config_selectorIsEEZZNS1_9scan_implILNS1_25lookback_scan_determinismE0ELb0ELb1ES3_N6thrust23THRUST_200600_302600_NS6detail15normal_iteratorINS9_10device_ptrIsEEEESE_sNS9_4plusIsEEsEEDaPvRmT3_T4_T5_mT6_P12ihipStream_tbENKUlT_T0_E_clISt17integral_constantIbLb0EESU_EEDaSP_SQ_EUlSP_E_NS1_11comp_targetILNS1_3genE3ELNS1_11target_archE908ELNS1_3gpuE7ELNS1_3repE0EEENS1_30default_config_static_selectorELNS0_4arch9wavefront6targetE1EEEvT1_
; %bb.0:
	.section	.rodata,"a",@progbits
	.p2align	6, 0x0
	.amdhsa_kernel _ZN7rocprim17ROCPRIM_400000_NS6detail17trampoline_kernelINS0_14default_configENS1_20scan_config_selectorIsEEZZNS1_9scan_implILNS1_25lookback_scan_determinismE0ELb0ELb1ES3_N6thrust23THRUST_200600_302600_NS6detail15normal_iteratorINS9_10device_ptrIsEEEESE_sNS9_4plusIsEEsEEDaPvRmT3_T4_T5_mT6_P12ihipStream_tbENKUlT_T0_E_clISt17integral_constantIbLb0EESU_EEDaSP_SQ_EUlSP_E_NS1_11comp_targetILNS1_3genE3ELNS1_11target_archE908ELNS1_3gpuE7ELNS1_3repE0EEENS1_30default_config_static_selectorELNS0_4arch9wavefront6targetE1EEEvT1_
		.amdhsa_group_segment_fixed_size 0
		.amdhsa_private_segment_fixed_size 0
		.amdhsa_kernarg_size 96
		.amdhsa_user_sgpr_count 6
		.amdhsa_user_sgpr_private_segment_buffer 1
		.amdhsa_user_sgpr_dispatch_ptr 0
		.amdhsa_user_sgpr_queue_ptr 0
		.amdhsa_user_sgpr_kernarg_segment_ptr 1
		.amdhsa_user_sgpr_dispatch_id 0
		.amdhsa_user_sgpr_flat_scratch_init 0
		.amdhsa_user_sgpr_kernarg_preload_length 0
		.amdhsa_user_sgpr_kernarg_preload_offset 0
		.amdhsa_user_sgpr_private_segment_size 0
		.amdhsa_uses_dynamic_stack 0
		.amdhsa_system_sgpr_private_segment_wavefront_offset 0
		.amdhsa_system_sgpr_workgroup_id_x 1
		.amdhsa_system_sgpr_workgroup_id_y 0
		.amdhsa_system_sgpr_workgroup_id_z 0
		.amdhsa_system_sgpr_workgroup_info 0
		.amdhsa_system_vgpr_workitem_id 0
		.amdhsa_next_free_vgpr 1
		.amdhsa_next_free_sgpr 0
		.amdhsa_accum_offset 4
		.amdhsa_reserve_vcc 0
		.amdhsa_reserve_flat_scratch 0
		.amdhsa_float_round_mode_32 0
		.amdhsa_float_round_mode_16_64 0
		.amdhsa_float_denorm_mode_32 3
		.amdhsa_float_denorm_mode_16_64 3
		.amdhsa_dx10_clamp 1
		.amdhsa_ieee_mode 1
		.amdhsa_fp16_overflow 0
		.amdhsa_tg_split 0
		.amdhsa_exception_fp_ieee_invalid_op 0
		.amdhsa_exception_fp_denorm_src 0
		.amdhsa_exception_fp_ieee_div_zero 0
		.amdhsa_exception_fp_ieee_overflow 0
		.amdhsa_exception_fp_ieee_underflow 0
		.amdhsa_exception_fp_ieee_inexact 0
		.amdhsa_exception_int_div_zero 0
	.end_amdhsa_kernel
	.section	.text._ZN7rocprim17ROCPRIM_400000_NS6detail17trampoline_kernelINS0_14default_configENS1_20scan_config_selectorIsEEZZNS1_9scan_implILNS1_25lookback_scan_determinismE0ELb0ELb1ES3_N6thrust23THRUST_200600_302600_NS6detail15normal_iteratorINS9_10device_ptrIsEEEESE_sNS9_4plusIsEEsEEDaPvRmT3_T4_T5_mT6_P12ihipStream_tbENKUlT_T0_E_clISt17integral_constantIbLb0EESU_EEDaSP_SQ_EUlSP_E_NS1_11comp_targetILNS1_3genE3ELNS1_11target_archE908ELNS1_3gpuE7ELNS1_3repE0EEENS1_30default_config_static_selectorELNS0_4arch9wavefront6targetE1EEEvT1_,"axG",@progbits,_ZN7rocprim17ROCPRIM_400000_NS6detail17trampoline_kernelINS0_14default_configENS1_20scan_config_selectorIsEEZZNS1_9scan_implILNS1_25lookback_scan_determinismE0ELb0ELb1ES3_N6thrust23THRUST_200600_302600_NS6detail15normal_iteratorINS9_10device_ptrIsEEEESE_sNS9_4plusIsEEsEEDaPvRmT3_T4_T5_mT6_P12ihipStream_tbENKUlT_T0_E_clISt17integral_constantIbLb0EESU_EEDaSP_SQ_EUlSP_E_NS1_11comp_targetILNS1_3genE3ELNS1_11target_archE908ELNS1_3gpuE7ELNS1_3repE0EEENS1_30default_config_static_selectorELNS0_4arch9wavefront6targetE1EEEvT1_,comdat
.Lfunc_end1270:
	.size	_ZN7rocprim17ROCPRIM_400000_NS6detail17trampoline_kernelINS0_14default_configENS1_20scan_config_selectorIsEEZZNS1_9scan_implILNS1_25lookback_scan_determinismE0ELb0ELb1ES3_N6thrust23THRUST_200600_302600_NS6detail15normal_iteratorINS9_10device_ptrIsEEEESE_sNS9_4plusIsEEsEEDaPvRmT3_T4_T5_mT6_P12ihipStream_tbENKUlT_T0_E_clISt17integral_constantIbLb0EESU_EEDaSP_SQ_EUlSP_E_NS1_11comp_targetILNS1_3genE3ELNS1_11target_archE908ELNS1_3gpuE7ELNS1_3repE0EEENS1_30default_config_static_selectorELNS0_4arch9wavefront6targetE1EEEvT1_, .Lfunc_end1270-_ZN7rocprim17ROCPRIM_400000_NS6detail17trampoline_kernelINS0_14default_configENS1_20scan_config_selectorIsEEZZNS1_9scan_implILNS1_25lookback_scan_determinismE0ELb0ELb1ES3_N6thrust23THRUST_200600_302600_NS6detail15normal_iteratorINS9_10device_ptrIsEEEESE_sNS9_4plusIsEEsEEDaPvRmT3_T4_T5_mT6_P12ihipStream_tbENKUlT_T0_E_clISt17integral_constantIbLb0EESU_EEDaSP_SQ_EUlSP_E_NS1_11comp_targetILNS1_3genE3ELNS1_11target_archE908ELNS1_3gpuE7ELNS1_3repE0EEENS1_30default_config_static_selectorELNS0_4arch9wavefront6targetE1EEEvT1_
                                        ; -- End function
	.section	.AMDGPU.csdata,"",@progbits
; Kernel info:
; codeLenInByte = 0
; NumSgprs: 4
; NumVgprs: 0
; NumAgprs: 0
; TotalNumVgprs: 0
; ScratchSize: 0
; MemoryBound: 0
; FloatMode: 240
; IeeeMode: 1
; LDSByteSize: 0 bytes/workgroup (compile time only)
; SGPRBlocks: 0
; VGPRBlocks: 0
; NumSGPRsForWavesPerEU: 4
; NumVGPRsForWavesPerEU: 1
; AccumOffset: 4
; Occupancy: 8
; WaveLimiterHint : 0
; COMPUTE_PGM_RSRC2:SCRATCH_EN: 0
; COMPUTE_PGM_RSRC2:USER_SGPR: 6
; COMPUTE_PGM_RSRC2:TRAP_HANDLER: 0
; COMPUTE_PGM_RSRC2:TGID_X_EN: 1
; COMPUTE_PGM_RSRC2:TGID_Y_EN: 0
; COMPUTE_PGM_RSRC2:TGID_Z_EN: 0
; COMPUTE_PGM_RSRC2:TIDIG_COMP_CNT: 0
; COMPUTE_PGM_RSRC3_GFX90A:ACCUM_OFFSET: 0
; COMPUTE_PGM_RSRC3_GFX90A:TG_SPLIT: 0
	.section	.text._ZN7rocprim17ROCPRIM_400000_NS6detail17trampoline_kernelINS0_14default_configENS1_20scan_config_selectorIsEEZZNS1_9scan_implILNS1_25lookback_scan_determinismE0ELb0ELb1ES3_N6thrust23THRUST_200600_302600_NS6detail15normal_iteratorINS9_10device_ptrIsEEEESE_sNS9_4plusIsEEsEEDaPvRmT3_T4_T5_mT6_P12ihipStream_tbENKUlT_T0_E_clISt17integral_constantIbLb0EESU_EEDaSP_SQ_EUlSP_E_NS1_11comp_targetILNS1_3genE2ELNS1_11target_archE906ELNS1_3gpuE6ELNS1_3repE0EEENS1_30default_config_static_selectorELNS0_4arch9wavefront6targetE1EEEvT1_,"axG",@progbits,_ZN7rocprim17ROCPRIM_400000_NS6detail17trampoline_kernelINS0_14default_configENS1_20scan_config_selectorIsEEZZNS1_9scan_implILNS1_25lookback_scan_determinismE0ELb0ELb1ES3_N6thrust23THRUST_200600_302600_NS6detail15normal_iteratorINS9_10device_ptrIsEEEESE_sNS9_4plusIsEEsEEDaPvRmT3_T4_T5_mT6_P12ihipStream_tbENKUlT_T0_E_clISt17integral_constantIbLb0EESU_EEDaSP_SQ_EUlSP_E_NS1_11comp_targetILNS1_3genE2ELNS1_11target_archE906ELNS1_3gpuE6ELNS1_3repE0EEENS1_30default_config_static_selectorELNS0_4arch9wavefront6targetE1EEEvT1_,comdat
	.protected	_ZN7rocprim17ROCPRIM_400000_NS6detail17trampoline_kernelINS0_14default_configENS1_20scan_config_selectorIsEEZZNS1_9scan_implILNS1_25lookback_scan_determinismE0ELb0ELb1ES3_N6thrust23THRUST_200600_302600_NS6detail15normal_iteratorINS9_10device_ptrIsEEEESE_sNS9_4plusIsEEsEEDaPvRmT3_T4_T5_mT6_P12ihipStream_tbENKUlT_T0_E_clISt17integral_constantIbLb0EESU_EEDaSP_SQ_EUlSP_E_NS1_11comp_targetILNS1_3genE2ELNS1_11target_archE906ELNS1_3gpuE6ELNS1_3repE0EEENS1_30default_config_static_selectorELNS0_4arch9wavefront6targetE1EEEvT1_ ; -- Begin function _ZN7rocprim17ROCPRIM_400000_NS6detail17trampoline_kernelINS0_14default_configENS1_20scan_config_selectorIsEEZZNS1_9scan_implILNS1_25lookback_scan_determinismE0ELb0ELb1ES3_N6thrust23THRUST_200600_302600_NS6detail15normal_iteratorINS9_10device_ptrIsEEEESE_sNS9_4plusIsEEsEEDaPvRmT3_T4_T5_mT6_P12ihipStream_tbENKUlT_T0_E_clISt17integral_constantIbLb0EESU_EEDaSP_SQ_EUlSP_E_NS1_11comp_targetILNS1_3genE2ELNS1_11target_archE906ELNS1_3gpuE6ELNS1_3repE0EEENS1_30default_config_static_selectorELNS0_4arch9wavefront6targetE1EEEvT1_
	.globl	_ZN7rocprim17ROCPRIM_400000_NS6detail17trampoline_kernelINS0_14default_configENS1_20scan_config_selectorIsEEZZNS1_9scan_implILNS1_25lookback_scan_determinismE0ELb0ELb1ES3_N6thrust23THRUST_200600_302600_NS6detail15normal_iteratorINS9_10device_ptrIsEEEESE_sNS9_4plusIsEEsEEDaPvRmT3_T4_T5_mT6_P12ihipStream_tbENKUlT_T0_E_clISt17integral_constantIbLb0EESU_EEDaSP_SQ_EUlSP_E_NS1_11comp_targetILNS1_3genE2ELNS1_11target_archE906ELNS1_3gpuE6ELNS1_3repE0EEENS1_30default_config_static_selectorELNS0_4arch9wavefront6targetE1EEEvT1_
	.p2align	8
	.type	_ZN7rocprim17ROCPRIM_400000_NS6detail17trampoline_kernelINS0_14default_configENS1_20scan_config_selectorIsEEZZNS1_9scan_implILNS1_25lookback_scan_determinismE0ELb0ELb1ES3_N6thrust23THRUST_200600_302600_NS6detail15normal_iteratorINS9_10device_ptrIsEEEESE_sNS9_4plusIsEEsEEDaPvRmT3_T4_T5_mT6_P12ihipStream_tbENKUlT_T0_E_clISt17integral_constantIbLb0EESU_EEDaSP_SQ_EUlSP_E_NS1_11comp_targetILNS1_3genE2ELNS1_11target_archE906ELNS1_3gpuE6ELNS1_3repE0EEENS1_30default_config_static_selectorELNS0_4arch9wavefront6targetE1EEEvT1_,@function
_ZN7rocprim17ROCPRIM_400000_NS6detail17trampoline_kernelINS0_14default_configENS1_20scan_config_selectorIsEEZZNS1_9scan_implILNS1_25lookback_scan_determinismE0ELb0ELb1ES3_N6thrust23THRUST_200600_302600_NS6detail15normal_iteratorINS9_10device_ptrIsEEEESE_sNS9_4plusIsEEsEEDaPvRmT3_T4_T5_mT6_P12ihipStream_tbENKUlT_T0_E_clISt17integral_constantIbLb0EESU_EEDaSP_SQ_EUlSP_E_NS1_11comp_targetILNS1_3genE2ELNS1_11target_archE906ELNS1_3gpuE6ELNS1_3repE0EEENS1_30default_config_static_selectorELNS0_4arch9wavefront6targetE1EEEvT1_: ; @_ZN7rocprim17ROCPRIM_400000_NS6detail17trampoline_kernelINS0_14default_configENS1_20scan_config_selectorIsEEZZNS1_9scan_implILNS1_25lookback_scan_determinismE0ELb0ELb1ES3_N6thrust23THRUST_200600_302600_NS6detail15normal_iteratorINS9_10device_ptrIsEEEESE_sNS9_4plusIsEEsEEDaPvRmT3_T4_T5_mT6_P12ihipStream_tbENKUlT_T0_E_clISt17integral_constantIbLb0EESU_EEDaSP_SQ_EUlSP_E_NS1_11comp_targetILNS1_3genE2ELNS1_11target_archE906ELNS1_3gpuE6ELNS1_3repE0EEENS1_30default_config_static_selectorELNS0_4arch9wavefront6targetE1EEEvT1_
; %bb.0:
	.section	.rodata,"a",@progbits
	.p2align	6, 0x0
	.amdhsa_kernel _ZN7rocprim17ROCPRIM_400000_NS6detail17trampoline_kernelINS0_14default_configENS1_20scan_config_selectorIsEEZZNS1_9scan_implILNS1_25lookback_scan_determinismE0ELb0ELb1ES3_N6thrust23THRUST_200600_302600_NS6detail15normal_iteratorINS9_10device_ptrIsEEEESE_sNS9_4plusIsEEsEEDaPvRmT3_T4_T5_mT6_P12ihipStream_tbENKUlT_T0_E_clISt17integral_constantIbLb0EESU_EEDaSP_SQ_EUlSP_E_NS1_11comp_targetILNS1_3genE2ELNS1_11target_archE906ELNS1_3gpuE6ELNS1_3repE0EEENS1_30default_config_static_selectorELNS0_4arch9wavefront6targetE1EEEvT1_
		.amdhsa_group_segment_fixed_size 0
		.amdhsa_private_segment_fixed_size 0
		.amdhsa_kernarg_size 96
		.amdhsa_user_sgpr_count 6
		.amdhsa_user_sgpr_private_segment_buffer 1
		.amdhsa_user_sgpr_dispatch_ptr 0
		.amdhsa_user_sgpr_queue_ptr 0
		.amdhsa_user_sgpr_kernarg_segment_ptr 1
		.amdhsa_user_sgpr_dispatch_id 0
		.amdhsa_user_sgpr_flat_scratch_init 0
		.amdhsa_user_sgpr_kernarg_preload_length 0
		.amdhsa_user_sgpr_kernarg_preload_offset 0
		.amdhsa_user_sgpr_private_segment_size 0
		.amdhsa_uses_dynamic_stack 0
		.amdhsa_system_sgpr_private_segment_wavefront_offset 0
		.amdhsa_system_sgpr_workgroup_id_x 1
		.amdhsa_system_sgpr_workgroup_id_y 0
		.amdhsa_system_sgpr_workgroup_id_z 0
		.amdhsa_system_sgpr_workgroup_info 0
		.amdhsa_system_vgpr_workitem_id 0
		.amdhsa_next_free_vgpr 1
		.amdhsa_next_free_sgpr 0
		.amdhsa_accum_offset 4
		.amdhsa_reserve_vcc 0
		.amdhsa_reserve_flat_scratch 0
		.amdhsa_float_round_mode_32 0
		.amdhsa_float_round_mode_16_64 0
		.amdhsa_float_denorm_mode_32 3
		.amdhsa_float_denorm_mode_16_64 3
		.amdhsa_dx10_clamp 1
		.amdhsa_ieee_mode 1
		.amdhsa_fp16_overflow 0
		.amdhsa_tg_split 0
		.amdhsa_exception_fp_ieee_invalid_op 0
		.amdhsa_exception_fp_denorm_src 0
		.amdhsa_exception_fp_ieee_div_zero 0
		.amdhsa_exception_fp_ieee_overflow 0
		.amdhsa_exception_fp_ieee_underflow 0
		.amdhsa_exception_fp_ieee_inexact 0
		.amdhsa_exception_int_div_zero 0
	.end_amdhsa_kernel
	.section	.text._ZN7rocprim17ROCPRIM_400000_NS6detail17trampoline_kernelINS0_14default_configENS1_20scan_config_selectorIsEEZZNS1_9scan_implILNS1_25lookback_scan_determinismE0ELb0ELb1ES3_N6thrust23THRUST_200600_302600_NS6detail15normal_iteratorINS9_10device_ptrIsEEEESE_sNS9_4plusIsEEsEEDaPvRmT3_T4_T5_mT6_P12ihipStream_tbENKUlT_T0_E_clISt17integral_constantIbLb0EESU_EEDaSP_SQ_EUlSP_E_NS1_11comp_targetILNS1_3genE2ELNS1_11target_archE906ELNS1_3gpuE6ELNS1_3repE0EEENS1_30default_config_static_selectorELNS0_4arch9wavefront6targetE1EEEvT1_,"axG",@progbits,_ZN7rocprim17ROCPRIM_400000_NS6detail17trampoline_kernelINS0_14default_configENS1_20scan_config_selectorIsEEZZNS1_9scan_implILNS1_25lookback_scan_determinismE0ELb0ELb1ES3_N6thrust23THRUST_200600_302600_NS6detail15normal_iteratorINS9_10device_ptrIsEEEESE_sNS9_4plusIsEEsEEDaPvRmT3_T4_T5_mT6_P12ihipStream_tbENKUlT_T0_E_clISt17integral_constantIbLb0EESU_EEDaSP_SQ_EUlSP_E_NS1_11comp_targetILNS1_3genE2ELNS1_11target_archE906ELNS1_3gpuE6ELNS1_3repE0EEENS1_30default_config_static_selectorELNS0_4arch9wavefront6targetE1EEEvT1_,comdat
.Lfunc_end1271:
	.size	_ZN7rocprim17ROCPRIM_400000_NS6detail17trampoline_kernelINS0_14default_configENS1_20scan_config_selectorIsEEZZNS1_9scan_implILNS1_25lookback_scan_determinismE0ELb0ELb1ES3_N6thrust23THRUST_200600_302600_NS6detail15normal_iteratorINS9_10device_ptrIsEEEESE_sNS9_4plusIsEEsEEDaPvRmT3_T4_T5_mT6_P12ihipStream_tbENKUlT_T0_E_clISt17integral_constantIbLb0EESU_EEDaSP_SQ_EUlSP_E_NS1_11comp_targetILNS1_3genE2ELNS1_11target_archE906ELNS1_3gpuE6ELNS1_3repE0EEENS1_30default_config_static_selectorELNS0_4arch9wavefront6targetE1EEEvT1_, .Lfunc_end1271-_ZN7rocprim17ROCPRIM_400000_NS6detail17trampoline_kernelINS0_14default_configENS1_20scan_config_selectorIsEEZZNS1_9scan_implILNS1_25lookback_scan_determinismE0ELb0ELb1ES3_N6thrust23THRUST_200600_302600_NS6detail15normal_iteratorINS9_10device_ptrIsEEEESE_sNS9_4plusIsEEsEEDaPvRmT3_T4_T5_mT6_P12ihipStream_tbENKUlT_T0_E_clISt17integral_constantIbLb0EESU_EEDaSP_SQ_EUlSP_E_NS1_11comp_targetILNS1_3genE2ELNS1_11target_archE906ELNS1_3gpuE6ELNS1_3repE0EEENS1_30default_config_static_selectorELNS0_4arch9wavefront6targetE1EEEvT1_
                                        ; -- End function
	.section	.AMDGPU.csdata,"",@progbits
; Kernel info:
; codeLenInByte = 0
; NumSgprs: 4
; NumVgprs: 0
; NumAgprs: 0
; TotalNumVgprs: 0
; ScratchSize: 0
; MemoryBound: 0
; FloatMode: 240
; IeeeMode: 1
; LDSByteSize: 0 bytes/workgroup (compile time only)
; SGPRBlocks: 0
; VGPRBlocks: 0
; NumSGPRsForWavesPerEU: 4
; NumVGPRsForWavesPerEU: 1
; AccumOffset: 4
; Occupancy: 8
; WaveLimiterHint : 0
; COMPUTE_PGM_RSRC2:SCRATCH_EN: 0
; COMPUTE_PGM_RSRC2:USER_SGPR: 6
; COMPUTE_PGM_RSRC2:TRAP_HANDLER: 0
; COMPUTE_PGM_RSRC2:TGID_X_EN: 1
; COMPUTE_PGM_RSRC2:TGID_Y_EN: 0
; COMPUTE_PGM_RSRC2:TGID_Z_EN: 0
; COMPUTE_PGM_RSRC2:TIDIG_COMP_CNT: 0
; COMPUTE_PGM_RSRC3_GFX90A:ACCUM_OFFSET: 0
; COMPUTE_PGM_RSRC3_GFX90A:TG_SPLIT: 0
	.section	.text._ZN7rocprim17ROCPRIM_400000_NS6detail17trampoline_kernelINS0_14default_configENS1_20scan_config_selectorIsEEZZNS1_9scan_implILNS1_25lookback_scan_determinismE0ELb0ELb1ES3_N6thrust23THRUST_200600_302600_NS6detail15normal_iteratorINS9_10device_ptrIsEEEESE_sNS9_4plusIsEEsEEDaPvRmT3_T4_T5_mT6_P12ihipStream_tbENKUlT_T0_E_clISt17integral_constantIbLb0EESU_EEDaSP_SQ_EUlSP_E_NS1_11comp_targetILNS1_3genE10ELNS1_11target_archE1201ELNS1_3gpuE5ELNS1_3repE0EEENS1_30default_config_static_selectorELNS0_4arch9wavefront6targetE1EEEvT1_,"axG",@progbits,_ZN7rocprim17ROCPRIM_400000_NS6detail17trampoline_kernelINS0_14default_configENS1_20scan_config_selectorIsEEZZNS1_9scan_implILNS1_25lookback_scan_determinismE0ELb0ELb1ES3_N6thrust23THRUST_200600_302600_NS6detail15normal_iteratorINS9_10device_ptrIsEEEESE_sNS9_4plusIsEEsEEDaPvRmT3_T4_T5_mT6_P12ihipStream_tbENKUlT_T0_E_clISt17integral_constantIbLb0EESU_EEDaSP_SQ_EUlSP_E_NS1_11comp_targetILNS1_3genE10ELNS1_11target_archE1201ELNS1_3gpuE5ELNS1_3repE0EEENS1_30default_config_static_selectorELNS0_4arch9wavefront6targetE1EEEvT1_,comdat
	.protected	_ZN7rocprim17ROCPRIM_400000_NS6detail17trampoline_kernelINS0_14default_configENS1_20scan_config_selectorIsEEZZNS1_9scan_implILNS1_25lookback_scan_determinismE0ELb0ELb1ES3_N6thrust23THRUST_200600_302600_NS6detail15normal_iteratorINS9_10device_ptrIsEEEESE_sNS9_4plusIsEEsEEDaPvRmT3_T4_T5_mT6_P12ihipStream_tbENKUlT_T0_E_clISt17integral_constantIbLb0EESU_EEDaSP_SQ_EUlSP_E_NS1_11comp_targetILNS1_3genE10ELNS1_11target_archE1201ELNS1_3gpuE5ELNS1_3repE0EEENS1_30default_config_static_selectorELNS0_4arch9wavefront6targetE1EEEvT1_ ; -- Begin function _ZN7rocprim17ROCPRIM_400000_NS6detail17trampoline_kernelINS0_14default_configENS1_20scan_config_selectorIsEEZZNS1_9scan_implILNS1_25lookback_scan_determinismE0ELb0ELb1ES3_N6thrust23THRUST_200600_302600_NS6detail15normal_iteratorINS9_10device_ptrIsEEEESE_sNS9_4plusIsEEsEEDaPvRmT3_T4_T5_mT6_P12ihipStream_tbENKUlT_T0_E_clISt17integral_constantIbLb0EESU_EEDaSP_SQ_EUlSP_E_NS1_11comp_targetILNS1_3genE10ELNS1_11target_archE1201ELNS1_3gpuE5ELNS1_3repE0EEENS1_30default_config_static_selectorELNS0_4arch9wavefront6targetE1EEEvT1_
	.globl	_ZN7rocprim17ROCPRIM_400000_NS6detail17trampoline_kernelINS0_14default_configENS1_20scan_config_selectorIsEEZZNS1_9scan_implILNS1_25lookback_scan_determinismE0ELb0ELb1ES3_N6thrust23THRUST_200600_302600_NS6detail15normal_iteratorINS9_10device_ptrIsEEEESE_sNS9_4plusIsEEsEEDaPvRmT3_T4_T5_mT6_P12ihipStream_tbENKUlT_T0_E_clISt17integral_constantIbLb0EESU_EEDaSP_SQ_EUlSP_E_NS1_11comp_targetILNS1_3genE10ELNS1_11target_archE1201ELNS1_3gpuE5ELNS1_3repE0EEENS1_30default_config_static_selectorELNS0_4arch9wavefront6targetE1EEEvT1_
	.p2align	8
	.type	_ZN7rocprim17ROCPRIM_400000_NS6detail17trampoline_kernelINS0_14default_configENS1_20scan_config_selectorIsEEZZNS1_9scan_implILNS1_25lookback_scan_determinismE0ELb0ELb1ES3_N6thrust23THRUST_200600_302600_NS6detail15normal_iteratorINS9_10device_ptrIsEEEESE_sNS9_4plusIsEEsEEDaPvRmT3_T4_T5_mT6_P12ihipStream_tbENKUlT_T0_E_clISt17integral_constantIbLb0EESU_EEDaSP_SQ_EUlSP_E_NS1_11comp_targetILNS1_3genE10ELNS1_11target_archE1201ELNS1_3gpuE5ELNS1_3repE0EEENS1_30default_config_static_selectorELNS0_4arch9wavefront6targetE1EEEvT1_,@function
_ZN7rocprim17ROCPRIM_400000_NS6detail17trampoline_kernelINS0_14default_configENS1_20scan_config_selectorIsEEZZNS1_9scan_implILNS1_25lookback_scan_determinismE0ELb0ELb1ES3_N6thrust23THRUST_200600_302600_NS6detail15normal_iteratorINS9_10device_ptrIsEEEESE_sNS9_4plusIsEEsEEDaPvRmT3_T4_T5_mT6_P12ihipStream_tbENKUlT_T0_E_clISt17integral_constantIbLb0EESU_EEDaSP_SQ_EUlSP_E_NS1_11comp_targetILNS1_3genE10ELNS1_11target_archE1201ELNS1_3gpuE5ELNS1_3repE0EEENS1_30default_config_static_selectorELNS0_4arch9wavefront6targetE1EEEvT1_: ; @_ZN7rocprim17ROCPRIM_400000_NS6detail17trampoline_kernelINS0_14default_configENS1_20scan_config_selectorIsEEZZNS1_9scan_implILNS1_25lookback_scan_determinismE0ELb0ELb1ES3_N6thrust23THRUST_200600_302600_NS6detail15normal_iteratorINS9_10device_ptrIsEEEESE_sNS9_4plusIsEEsEEDaPvRmT3_T4_T5_mT6_P12ihipStream_tbENKUlT_T0_E_clISt17integral_constantIbLb0EESU_EEDaSP_SQ_EUlSP_E_NS1_11comp_targetILNS1_3genE10ELNS1_11target_archE1201ELNS1_3gpuE5ELNS1_3repE0EEENS1_30default_config_static_selectorELNS0_4arch9wavefront6targetE1EEEvT1_
; %bb.0:
	.section	.rodata,"a",@progbits
	.p2align	6, 0x0
	.amdhsa_kernel _ZN7rocprim17ROCPRIM_400000_NS6detail17trampoline_kernelINS0_14default_configENS1_20scan_config_selectorIsEEZZNS1_9scan_implILNS1_25lookback_scan_determinismE0ELb0ELb1ES3_N6thrust23THRUST_200600_302600_NS6detail15normal_iteratorINS9_10device_ptrIsEEEESE_sNS9_4plusIsEEsEEDaPvRmT3_T4_T5_mT6_P12ihipStream_tbENKUlT_T0_E_clISt17integral_constantIbLb0EESU_EEDaSP_SQ_EUlSP_E_NS1_11comp_targetILNS1_3genE10ELNS1_11target_archE1201ELNS1_3gpuE5ELNS1_3repE0EEENS1_30default_config_static_selectorELNS0_4arch9wavefront6targetE1EEEvT1_
		.amdhsa_group_segment_fixed_size 0
		.amdhsa_private_segment_fixed_size 0
		.amdhsa_kernarg_size 96
		.amdhsa_user_sgpr_count 6
		.amdhsa_user_sgpr_private_segment_buffer 1
		.amdhsa_user_sgpr_dispatch_ptr 0
		.amdhsa_user_sgpr_queue_ptr 0
		.amdhsa_user_sgpr_kernarg_segment_ptr 1
		.amdhsa_user_sgpr_dispatch_id 0
		.amdhsa_user_sgpr_flat_scratch_init 0
		.amdhsa_user_sgpr_kernarg_preload_length 0
		.amdhsa_user_sgpr_kernarg_preload_offset 0
		.amdhsa_user_sgpr_private_segment_size 0
		.amdhsa_uses_dynamic_stack 0
		.amdhsa_system_sgpr_private_segment_wavefront_offset 0
		.amdhsa_system_sgpr_workgroup_id_x 1
		.amdhsa_system_sgpr_workgroup_id_y 0
		.amdhsa_system_sgpr_workgroup_id_z 0
		.amdhsa_system_sgpr_workgroup_info 0
		.amdhsa_system_vgpr_workitem_id 0
		.amdhsa_next_free_vgpr 1
		.amdhsa_next_free_sgpr 0
		.amdhsa_accum_offset 4
		.amdhsa_reserve_vcc 0
		.amdhsa_reserve_flat_scratch 0
		.amdhsa_float_round_mode_32 0
		.amdhsa_float_round_mode_16_64 0
		.amdhsa_float_denorm_mode_32 3
		.amdhsa_float_denorm_mode_16_64 3
		.amdhsa_dx10_clamp 1
		.amdhsa_ieee_mode 1
		.amdhsa_fp16_overflow 0
		.amdhsa_tg_split 0
		.amdhsa_exception_fp_ieee_invalid_op 0
		.amdhsa_exception_fp_denorm_src 0
		.amdhsa_exception_fp_ieee_div_zero 0
		.amdhsa_exception_fp_ieee_overflow 0
		.amdhsa_exception_fp_ieee_underflow 0
		.amdhsa_exception_fp_ieee_inexact 0
		.amdhsa_exception_int_div_zero 0
	.end_amdhsa_kernel
	.section	.text._ZN7rocprim17ROCPRIM_400000_NS6detail17trampoline_kernelINS0_14default_configENS1_20scan_config_selectorIsEEZZNS1_9scan_implILNS1_25lookback_scan_determinismE0ELb0ELb1ES3_N6thrust23THRUST_200600_302600_NS6detail15normal_iteratorINS9_10device_ptrIsEEEESE_sNS9_4plusIsEEsEEDaPvRmT3_T4_T5_mT6_P12ihipStream_tbENKUlT_T0_E_clISt17integral_constantIbLb0EESU_EEDaSP_SQ_EUlSP_E_NS1_11comp_targetILNS1_3genE10ELNS1_11target_archE1201ELNS1_3gpuE5ELNS1_3repE0EEENS1_30default_config_static_selectorELNS0_4arch9wavefront6targetE1EEEvT1_,"axG",@progbits,_ZN7rocprim17ROCPRIM_400000_NS6detail17trampoline_kernelINS0_14default_configENS1_20scan_config_selectorIsEEZZNS1_9scan_implILNS1_25lookback_scan_determinismE0ELb0ELb1ES3_N6thrust23THRUST_200600_302600_NS6detail15normal_iteratorINS9_10device_ptrIsEEEESE_sNS9_4plusIsEEsEEDaPvRmT3_T4_T5_mT6_P12ihipStream_tbENKUlT_T0_E_clISt17integral_constantIbLb0EESU_EEDaSP_SQ_EUlSP_E_NS1_11comp_targetILNS1_3genE10ELNS1_11target_archE1201ELNS1_3gpuE5ELNS1_3repE0EEENS1_30default_config_static_selectorELNS0_4arch9wavefront6targetE1EEEvT1_,comdat
.Lfunc_end1272:
	.size	_ZN7rocprim17ROCPRIM_400000_NS6detail17trampoline_kernelINS0_14default_configENS1_20scan_config_selectorIsEEZZNS1_9scan_implILNS1_25lookback_scan_determinismE0ELb0ELb1ES3_N6thrust23THRUST_200600_302600_NS6detail15normal_iteratorINS9_10device_ptrIsEEEESE_sNS9_4plusIsEEsEEDaPvRmT3_T4_T5_mT6_P12ihipStream_tbENKUlT_T0_E_clISt17integral_constantIbLb0EESU_EEDaSP_SQ_EUlSP_E_NS1_11comp_targetILNS1_3genE10ELNS1_11target_archE1201ELNS1_3gpuE5ELNS1_3repE0EEENS1_30default_config_static_selectorELNS0_4arch9wavefront6targetE1EEEvT1_, .Lfunc_end1272-_ZN7rocprim17ROCPRIM_400000_NS6detail17trampoline_kernelINS0_14default_configENS1_20scan_config_selectorIsEEZZNS1_9scan_implILNS1_25lookback_scan_determinismE0ELb0ELb1ES3_N6thrust23THRUST_200600_302600_NS6detail15normal_iteratorINS9_10device_ptrIsEEEESE_sNS9_4plusIsEEsEEDaPvRmT3_T4_T5_mT6_P12ihipStream_tbENKUlT_T0_E_clISt17integral_constantIbLb0EESU_EEDaSP_SQ_EUlSP_E_NS1_11comp_targetILNS1_3genE10ELNS1_11target_archE1201ELNS1_3gpuE5ELNS1_3repE0EEENS1_30default_config_static_selectorELNS0_4arch9wavefront6targetE1EEEvT1_
                                        ; -- End function
	.section	.AMDGPU.csdata,"",@progbits
; Kernel info:
; codeLenInByte = 0
; NumSgprs: 4
; NumVgprs: 0
; NumAgprs: 0
; TotalNumVgprs: 0
; ScratchSize: 0
; MemoryBound: 0
; FloatMode: 240
; IeeeMode: 1
; LDSByteSize: 0 bytes/workgroup (compile time only)
; SGPRBlocks: 0
; VGPRBlocks: 0
; NumSGPRsForWavesPerEU: 4
; NumVGPRsForWavesPerEU: 1
; AccumOffset: 4
; Occupancy: 8
; WaveLimiterHint : 0
; COMPUTE_PGM_RSRC2:SCRATCH_EN: 0
; COMPUTE_PGM_RSRC2:USER_SGPR: 6
; COMPUTE_PGM_RSRC2:TRAP_HANDLER: 0
; COMPUTE_PGM_RSRC2:TGID_X_EN: 1
; COMPUTE_PGM_RSRC2:TGID_Y_EN: 0
; COMPUTE_PGM_RSRC2:TGID_Z_EN: 0
; COMPUTE_PGM_RSRC2:TIDIG_COMP_CNT: 0
; COMPUTE_PGM_RSRC3_GFX90A:ACCUM_OFFSET: 0
; COMPUTE_PGM_RSRC3_GFX90A:TG_SPLIT: 0
	.section	.text._ZN7rocprim17ROCPRIM_400000_NS6detail17trampoline_kernelINS0_14default_configENS1_20scan_config_selectorIsEEZZNS1_9scan_implILNS1_25lookback_scan_determinismE0ELb0ELb1ES3_N6thrust23THRUST_200600_302600_NS6detail15normal_iteratorINS9_10device_ptrIsEEEESE_sNS9_4plusIsEEsEEDaPvRmT3_T4_T5_mT6_P12ihipStream_tbENKUlT_T0_E_clISt17integral_constantIbLb0EESU_EEDaSP_SQ_EUlSP_E_NS1_11comp_targetILNS1_3genE10ELNS1_11target_archE1200ELNS1_3gpuE4ELNS1_3repE0EEENS1_30default_config_static_selectorELNS0_4arch9wavefront6targetE1EEEvT1_,"axG",@progbits,_ZN7rocprim17ROCPRIM_400000_NS6detail17trampoline_kernelINS0_14default_configENS1_20scan_config_selectorIsEEZZNS1_9scan_implILNS1_25lookback_scan_determinismE0ELb0ELb1ES3_N6thrust23THRUST_200600_302600_NS6detail15normal_iteratorINS9_10device_ptrIsEEEESE_sNS9_4plusIsEEsEEDaPvRmT3_T4_T5_mT6_P12ihipStream_tbENKUlT_T0_E_clISt17integral_constantIbLb0EESU_EEDaSP_SQ_EUlSP_E_NS1_11comp_targetILNS1_3genE10ELNS1_11target_archE1200ELNS1_3gpuE4ELNS1_3repE0EEENS1_30default_config_static_selectorELNS0_4arch9wavefront6targetE1EEEvT1_,comdat
	.protected	_ZN7rocprim17ROCPRIM_400000_NS6detail17trampoline_kernelINS0_14default_configENS1_20scan_config_selectorIsEEZZNS1_9scan_implILNS1_25lookback_scan_determinismE0ELb0ELb1ES3_N6thrust23THRUST_200600_302600_NS6detail15normal_iteratorINS9_10device_ptrIsEEEESE_sNS9_4plusIsEEsEEDaPvRmT3_T4_T5_mT6_P12ihipStream_tbENKUlT_T0_E_clISt17integral_constantIbLb0EESU_EEDaSP_SQ_EUlSP_E_NS1_11comp_targetILNS1_3genE10ELNS1_11target_archE1200ELNS1_3gpuE4ELNS1_3repE0EEENS1_30default_config_static_selectorELNS0_4arch9wavefront6targetE1EEEvT1_ ; -- Begin function _ZN7rocprim17ROCPRIM_400000_NS6detail17trampoline_kernelINS0_14default_configENS1_20scan_config_selectorIsEEZZNS1_9scan_implILNS1_25lookback_scan_determinismE0ELb0ELb1ES3_N6thrust23THRUST_200600_302600_NS6detail15normal_iteratorINS9_10device_ptrIsEEEESE_sNS9_4plusIsEEsEEDaPvRmT3_T4_T5_mT6_P12ihipStream_tbENKUlT_T0_E_clISt17integral_constantIbLb0EESU_EEDaSP_SQ_EUlSP_E_NS1_11comp_targetILNS1_3genE10ELNS1_11target_archE1200ELNS1_3gpuE4ELNS1_3repE0EEENS1_30default_config_static_selectorELNS0_4arch9wavefront6targetE1EEEvT1_
	.globl	_ZN7rocprim17ROCPRIM_400000_NS6detail17trampoline_kernelINS0_14default_configENS1_20scan_config_selectorIsEEZZNS1_9scan_implILNS1_25lookback_scan_determinismE0ELb0ELb1ES3_N6thrust23THRUST_200600_302600_NS6detail15normal_iteratorINS9_10device_ptrIsEEEESE_sNS9_4plusIsEEsEEDaPvRmT3_T4_T5_mT6_P12ihipStream_tbENKUlT_T0_E_clISt17integral_constantIbLb0EESU_EEDaSP_SQ_EUlSP_E_NS1_11comp_targetILNS1_3genE10ELNS1_11target_archE1200ELNS1_3gpuE4ELNS1_3repE0EEENS1_30default_config_static_selectorELNS0_4arch9wavefront6targetE1EEEvT1_
	.p2align	8
	.type	_ZN7rocprim17ROCPRIM_400000_NS6detail17trampoline_kernelINS0_14default_configENS1_20scan_config_selectorIsEEZZNS1_9scan_implILNS1_25lookback_scan_determinismE0ELb0ELb1ES3_N6thrust23THRUST_200600_302600_NS6detail15normal_iteratorINS9_10device_ptrIsEEEESE_sNS9_4plusIsEEsEEDaPvRmT3_T4_T5_mT6_P12ihipStream_tbENKUlT_T0_E_clISt17integral_constantIbLb0EESU_EEDaSP_SQ_EUlSP_E_NS1_11comp_targetILNS1_3genE10ELNS1_11target_archE1200ELNS1_3gpuE4ELNS1_3repE0EEENS1_30default_config_static_selectorELNS0_4arch9wavefront6targetE1EEEvT1_,@function
_ZN7rocprim17ROCPRIM_400000_NS6detail17trampoline_kernelINS0_14default_configENS1_20scan_config_selectorIsEEZZNS1_9scan_implILNS1_25lookback_scan_determinismE0ELb0ELb1ES3_N6thrust23THRUST_200600_302600_NS6detail15normal_iteratorINS9_10device_ptrIsEEEESE_sNS9_4plusIsEEsEEDaPvRmT3_T4_T5_mT6_P12ihipStream_tbENKUlT_T0_E_clISt17integral_constantIbLb0EESU_EEDaSP_SQ_EUlSP_E_NS1_11comp_targetILNS1_3genE10ELNS1_11target_archE1200ELNS1_3gpuE4ELNS1_3repE0EEENS1_30default_config_static_selectorELNS0_4arch9wavefront6targetE1EEEvT1_: ; @_ZN7rocprim17ROCPRIM_400000_NS6detail17trampoline_kernelINS0_14default_configENS1_20scan_config_selectorIsEEZZNS1_9scan_implILNS1_25lookback_scan_determinismE0ELb0ELb1ES3_N6thrust23THRUST_200600_302600_NS6detail15normal_iteratorINS9_10device_ptrIsEEEESE_sNS9_4plusIsEEsEEDaPvRmT3_T4_T5_mT6_P12ihipStream_tbENKUlT_T0_E_clISt17integral_constantIbLb0EESU_EEDaSP_SQ_EUlSP_E_NS1_11comp_targetILNS1_3genE10ELNS1_11target_archE1200ELNS1_3gpuE4ELNS1_3repE0EEENS1_30default_config_static_selectorELNS0_4arch9wavefront6targetE1EEEvT1_
; %bb.0:
	.section	.rodata,"a",@progbits
	.p2align	6, 0x0
	.amdhsa_kernel _ZN7rocprim17ROCPRIM_400000_NS6detail17trampoline_kernelINS0_14default_configENS1_20scan_config_selectorIsEEZZNS1_9scan_implILNS1_25lookback_scan_determinismE0ELb0ELb1ES3_N6thrust23THRUST_200600_302600_NS6detail15normal_iteratorINS9_10device_ptrIsEEEESE_sNS9_4plusIsEEsEEDaPvRmT3_T4_T5_mT6_P12ihipStream_tbENKUlT_T0_E_clISt17integral_constantIbLb0EESU_EEDaSP_SQ_EUlSP_E_NS1_11comp_targetILNS1_3genE10ELNS1_11target_archE1200ELNS1_3gpuE4ELNS1_3repE0EEENS1_30default_config_static_selectorELNS0_4arch9wavefront6targetE1EEEvT1_
		.amdhsa_group_segment_fixed_size 0
		.amdhsa_private_segment_fixed_size 0
		.amdhsa_kernarg_size 96
		.amdhsa_user_sgpr_count 6
		.amdhsa_user_sgpr_private_segment_buffer 1
		.amdhsa_user_sgpr_dispatch_ptr 0
		.amdhsa_user_sgpr_queue_ptr 0
		.amdhsa_user_sgpr_kernarg_segment_ptr 1
		.amdhsa_user_sgpr_dispatch_id 0
		.amdhsa_user_sgpr_flat_scratch_init 0
		.amdhsa_user_sgpr_kernarg_preload_length 0
		.amdhsa_user_sgpr_kernarg_preload_offset 0
		.amdhsa_user_sgpr_private_segment_size 0
		.amdhsa_uses_dynamic_stack 0
		.amdhsa_system_sgpr_private_segment_wavefront_offset 0
		.amdhsa_system_sgpr_workgroup_id_x 1
		.amdhsa_system_sgpr_workgroup_id_y 0
		.amdhsa_system_sgpr_workgroup_id_z 0
		.amdhsa_system_sgpr_workgroup_info 0
		.amdhsa_system_vgpr_workitem_id 0
		.amdhsa_next_free_vgpr 1
		.amdhsa_next_free_sgpr 0
		.amdhsa_accum_offset 4
		.amdhsa_reserve_vcc 0
		.amdhsa_reserve_flat_scratch 0
		.amdhsa_float_round_mode_32 0
		.amdhsa_float_round_mode_16_64 0
		.amdhsa_float_denorm_mode_32 3
		.amdhsa_float_denorm_mode_16_64 3
		.amdhsa_dx10_clamp 1
		.amdhsa_ieee_mode 1
		.amdhsa_fp16_overflow 0
		.amdhsa_tg_split 0
		.amdhsa_exception_fp_ieee_invalid_op 0
		.amdhsa_exception_fp_denorm_src 0
		.amdhsa_exception_fp_ieee_div_zero 0
		.amdhsa_exception_fp_ieee_overflow 0
		.amdhsa_exception_fp_ieee_underflow 0
		.amdhsa_exception_fp_ieee_inexact 0
		.amdhsa_exception_int_div_zero 0
	.end_amdhsa_kernel
	.section	.text._ZN7rocprim17ROCPRIM_400000_NS6detail17trampoline_kernelINS0_14default_configENS1_20scan_config_selectorIsEEZZNS1_9scan_implILNS1_25lookback_scan_determinismE0ELb0ELb1ES3_N6thrust23THRUST_200600_302600_NS6detail15normal_iteratorINS9_10device_ptrIsEEEESE_sNS9_4plusIsEEsEEDaPvRmT3_T4_T5_mT6_P12ihipStream_tbENKUlT_T0_E_clISt17integral_constantIbLb0EESU_EEDaSP_SQ_EUlSP_E_NS1_11comp_targetILNS1_3genE10ELNS1_11target_archE1200ELNS1_3gpuE4ELNS1_3repE0EEENS1_30default_config_static_selectorELNS0_4arch9wavefront6targetE1EEEvT1_,"axG",@progbits,_ZN7rocprim17ROCPRIM_400000_NS6detail17trampoline_kernelINS0_14default_configENS1_20scan_config_selectorIsEEZZNS1_9scan_implILNS1_25lookback_scan_determinismE0ELb0ELb1ES3_N6thrust23THRUST_200600_302600_NS6detail15normal_iteratorINS9_10device_ptrIsEEEESE_sNS9_4plusIsEEsEEDaPvRmT3_T4_T5_mT6_P12ihipStream_tbENKUlT_T0_E_clISt17integral_constantIbLb0EESU_EEDaSP_SQ_EUlSP_E_NS1_11comp_targetILNS1_3genE10ELNS1_11target_archE1200ELNS1_3gpuE4ELNS1_3repE0EEENS1_30default_config_static_selectorELNS0_4arch9wavefront6targetE1EEEvT1_,comdat
.Lfunc_end1273:
	.size	_ZN7rocprim17ROCPRIM_400000_NS6detail17trampoline_kernelINS0_14default_configENS1_20scan_config_selectorIsEEZZNS1_9scan_implILNS1_25lookback_scan_determinismE0ELb0ELb1ES3_N6thrust23THRUST_200600_302600_NS6detail15normal_iteratorINS9_10device_ptrIsEEEESE_sNS9_4plusIsEEsEEDaPvRmT3_T4_T5_mT6_P12ihipStream_tbENKUlT_T0_E_clISt17integral_constantIbLb0EESU_EEDaSP_SQ_EUlSP_E_NS1_11comp_targetILNS1_3genE10ELNS1_11target_archE1200ELNS1_3gpuE4ELNS1_3repE0EEENS1_30default_config_static_selectorELNS0_4arch9wavefront6targetE1EEEvT1_, .Lfunc_end1273-_ZN7rocprim17ROCPRIM_400000_NS6detail17trampoline_kernelINS0_14default_configENS1_20scan_config_selectorIsEEZZNS1_9scan_implILNS1_25lookback_scan_determinismE0ELb0ELb1ES3_N6thrust23THRUST_200600_302600_NS6detail15normal_iteratorINS9_10device_ptrIsEEEESE_sNS9_4plusIsEEsEEDaPvRmT3_T4_T5_mT6_P12ihipStream_tbENKUlT_T0_E_clISt17integral_constantIbLb0EESU_EEDaSP_SQ_EUlSP_E_NS1_11comp_targetILNS1_3genE10ELNS1_11target_archE1200ELNS1_3gpuE4ELNS1_3repE0EEENS1_30default_config_static_selectorELNS0_4arch9wavefront6targetE1EEEvT1_
                                        ; -- End function
	.section	.AMDGPU.csdata,"",@progbits
; Kernel info:
; codeLenInByte = 0
; NumSgprs: 4
; NumVgprs: 0
; NumAgprs: 0
; TotalNumVgprs: 0
; ScratchSize: 0
; MemoryBound: 0
; FloatMode: 240
; IeeeMode: 1
; LDSByteSize: 0 bytes/workgroup (compile time only)
; SGPRBlocks: 0
; VGPRBlocks: 0
; NumSGPRsForWavesPerEU: 4
; NumVGPRsForWavesPerEU: 1
; AccumOffset: 4
; Occupancy: 8
; WaveLimiterHint : 0
; COMPUTE_PGM_RSRC2:SCRATCH_EN: 0
; COMPUTE_PGM_RSRC2:USER_SGPR: 6
; COMPUTE_PGM_RSRC2:TRAP_HANDLER: 0
; COMPUTE_PGM_RSRC2:TGID_X_EN: 1
; COMPUTE_PGM_RSRC2:TGID_Y_EN: 0
; COMPUTE_PGM_RSRC2:TGID_Z_EN: 0
; COMPUTE_PGM_RSRC2:TIDIG_COMP_CNT: 0
; COMPUTE_PGM_RSRC3_GFX90A:ACCUM_OFFSET: 0
; COMPUTE_PGM_RSRC3_GFX90A:TG_SPLIT: 0
	.section	.text._ZN7rocprim17ROCPRIM_400000_NS6detail17trampoline_kernelINS0_14default_configENS1_20scan_config_selectorIsEEZZNS1_9scan_implILNS1_25lookback_scan_determinismE0ELb0ELb1ES3_N6thrust23THRUST_200600_302600_NS6detail15normal_iteratorINS9_10device_ptrIsEEEESE_sNS9_4plusIsEEsEEDaPvRmT3_T4_T5_mT6_P12ihipStream_tbENKUlT_T0_E_clISt17integral_constantIbLb0EESU_EEDaSP_SQ_EUlSP_E_NS1_11comp_targetILNS1_3genE9ELNS1_11target_archE1100ELNS1_3gpuE3ELNS1_3repE0EEENS1_30default_config_static_selectorELNS0_4arch9wavefront6targetE1EEEvT1_,"axG",@progbits,_ZN7rocprim17ROCPRIM_400000_NS6detail17trampoline_kernelINS0_14default_configENS1_20scan_config_selectorIsEEZZNS1_9scan_implILNS1_25lookback_scan_determinismE0ELb0ELb1ES3_N6thrust23THRUST_200600_302600_NS6detail15normal_iteratorINS9_10device_ptrIsEEEESE_sNS9_4plusIsEEsEEDaPvRmT3_T4_T5_mT6_P12ihipStream_tbENKUlT_T0_E_clISt17integral_constantIbLb0EESU_EEDaSP_SQ_EUlSP_E_NS1_11comp_targetILNS1_3genE9ELNS1_11target_archE1100ELNS1_3gpuE3ELNS1_3repE0EEENS1_30default_config_static_selectorELNS0_4arch9wavefront6targetE1EEEvT1_,comdat
	.protected	_ZN7rocprim17ROCPRIM_400000_NS6detail17trampoline_kernelINS0_14default_configENS1_20scan_config_selectorIsEEZZNS1_9scan_implILNS1_25lookback_scan_determinismE0ELb0ELb1ES3_N6thrust23THRUST_200600_302600_NS6detail15normal_iteratorINS9_10device_ptrIsEEEESE_sNS9_4plusIsEEsEEDaPvRmT3_T4_T5_mT6_P12ihipStream_tbENKUlT_T0_E_clISt17integral_constantIbLb0EESU_EEDaSP_SQ_EUlSP_E_NS1_11comp_targetILNS1_3genE9ELNS1_11target_archE1100ELNS1_3gpuE3ELNS1_3repE0EEENS1_30default_config_static_selectorELNS0_4arch9wavefront6targetE1EEEvT1_ ; -- Begin function _ZN7rocprim17ROCPRIM_400000_NS6detail17trampoline_kernelINS0_14default_configENS1_20scan_config_selectorIsEEZZNS1_9scan_implILNS1_25lookback_scan_determinismE0ELb0ELb1ES3_N6thrust23THRUST_200600_302600_NS6detail15normal_iteratorINS9_10device_ptrIsEEEESE_sNS9_4plusIsEEsEEDaPvRmT3_T4_T5_mT6_P12ihipStream_tbENKUlT_T0_E_clISt17integral_constantIbLb0EESU_EEDaSP_SQ_EUlSP_E_NS1_11comp_targetILNS1_3genE9ELNS1_11target_archE1100ELNS1_3gpuE3ELNS1_3repE0EEENS1_30default_config_static_selectorELNS0_4arch9wavefront6targetE1EEEvT1_
	.globl	_ZN7rocprim17ROCPRIM_400000_NS6detail17trampoline_kernelINS0_14default_configENS1_20scan_config_selectorIsEEZZNS1_9scan_implILNS1_25lookback_scan_determinismE0ELb0ELb1ES3_N6thrust23THRUST_200600_302600_NS6detail15normal_iteratorINS9_10device_ptrIsEEEESE_sNS9_4plusIsEEsEEDaPvRmT3_T4_T5_mT6_P12ihipStream_tbENKUlT_T0_E_clISt17integral_constantIbLb0EESU_EEDaSP_SQ_EUlSP_E_NS1_11comp_targetILNS1_3genE9ELNS1_11target_archE1100ELNS1_3gpuE3ELNS1_3repE0EEENS1_30default_config_static_selectorELNS0_4arch9wavefront6targetE1EEEvT1_
	.p2align	8
	.type	_ZN7rocprim17ROCPRIM_400000_NS6detail17trampoline_kernelINS0_14default_configENS1_20scan_config_selectorIsEEZZNS1_9scan_implILNS1_25lookback_scan_determinismE0ELb0ELb1ES3_N6thrust23THRUST_200600_302600_NS6detail15normal_iteratorINS9_10device_ptrIsEEEESE_sNS9_4plusIsEEsEEDaPvRmT3_T4_T5_mT6_P12ihipStream_tbENKUlT_T0_E_clISt17integral_constantIbLb0EESU_EEDaSP_SQ_EUlSP_E_NS1_11comp_targetILNS1_3genE9ELNS1_11target_archE1100ELNS1_3gpuE3ELNS1_3repE0EEENS1_30default_config_static_selectorELNS0_4arch9wavefront6targetE1EEEvT1_,@function
_ZN7rocprim17ROCPRIM_400000_NS6detail17trampoline_kernelINS0_14default_configENS1_20scan_config_selectorIsEEZZNS1_9scan_implILNS1_25lookback_scan_determinismE0ELb0ELb1ES3_N6thrust23THRUST_200600_302600_NS6detail15normal_iteratorINS9_10device_ptrIsEEEESE_sNS9_4plusIsEEsEEDaPvRmT3_T4_T5_mT6_P12ihipStream_tbENKUlT_T0_E_clISt17integral_constantIbLb0EESU_EEDaSP_SQ_EUlSP_E_NS1_11comp_targetILNS1_3genE9ELNS1_11target_archE1100ELNS1_3gpuE3ELNS1_3repE0EEENS1_30default_config_static_selectorELNS0_4arch9wavefront6targetE1EEEvT1_: ; @_ZN7rocprim17ROCPRIM_400000_NS6detail17trampoline_kernelINS0_14default_configENS1_20scan_config_selectorIsEEZZNS1_9scan_implILNS1_25lookback_scan_determinismE0ELb0ELb1ES3_N6thrust23THRUST_200600_302600_NS6detail15normal_iteratorINS9_10device_ptrIsEEEESE_sNS9_4plusIsEEsEEDaPvRmT3_T4_T5_mT6_P12ihipStream_tbENKUlT_T0_E_clISt17integral_constantIbLb0EESU_EEDaSP_SQ_EUlSP_E_NS1_11comp_targetILNS1_3genE9ELNS1_11target_archE1100ELNS1_3gpuE3ELNS1_3repE0EEENS1_30default_config_static_selectorELNS0_4arch9wavefront6targetE1EEEvT1_
; %bb.0:
	.section	.rodata,"a",@progbits
	.p2align	6, 0x0
	.amdhsa_kernel _ZN7rocprim17ROCPRIM_400000_NS6detail17trampoline_kernelINS0_14default_configENS1_20scan_config_selectorIsEEZZNS1_9scan_implILNS1_25lookback_scan_determinismE0ELb0ELb1ES3_N6thrust23THRUST_200600_302600_NS6detail15normal_iteratorINS9_10device_ptrIsEEEESE_sNS9_4plusIsEEsEEDaPvRmT3_T4_T5_mT6_P12ihipStream_tbENKUlT_T0_E_clISt17integral_constantIbLb0EESU_EEDaSP_SQ_EUlSP_E_NS1_11comp_targetILNS1_3genE9ELNS1_11target_archE1100ELNS1_3gpuE3ELNS1_3repE0EEENS1_30default_config_static_selectorELNS0_4arch9wavefront6targetE1EEEvT1_
		.amdhsa_group_segment_fixed_size 0
		.amdhsa_private_segment_fixed_size 0
		.amdhsa_kernarg_size 96
		.amdhsa_user_sgpr_count 6
		.amdhsa_user_sgpr_private_segment_buffer 1
		.amdhsa_user_sgpr_dispatch_ptr 0
		.amdhsa_user_sgpr_queue_ptr 0
		.amdhsa_user_sgpr_kernarg_segment_ptr 1
		.amdhsa_user_sgpr_dispatch_id 0
		.amdhsa_user_sgpr_flat_scratch_init 0
		.amdhsa_user_sgpr_kernarg_preload_length 0
		.amdhsa_user_sgpr_kernarg_preload_offset 0
		.amdhsa_user_sgpr_private_segment_size 0
		.amdhsa_uses_dynamic_stack 0
		.amdhsa_system_sgpr_private_segment_wavefront_offset 0
		.amdhsa_system_sgpr_workgroup_id_x 1
		.amdhsa_system_sgpr_workgroup_id_y 0
		.amdhsa_system_sgpr_workgroup_id_z 0
		.amdhsa_system_sgpr_workgroup_info 0
		.amdhsa_system_vgpr_workitem_id 0
		.amdhsa_next_free_vgpr 1
		.amdhsa_next_free_sgpr 0
		.amdhsa_accum_offset 4
		.amdhsa_reserve_vcc 0
		.amdhsa_reserve_flat_scratch 0
		.amdhsa_float_round_mode_32 0
		.amdhsa_float_round_mode_16_64 0
		.amdhsa_float_denorm_mode_32 3
		.amdhsa_float_denorm_mode_16_64 3
		.amdhsa_dx10_clamp 1
		.amdhsa_ieee_mode 1
		.amdhsa_fp16_overflow 0
		.amdhsa_tg_split 0
		.amdhsa_exception_fp_ieee_invalid_op 0
		.amdhsa_exception_fp_denorm_src 0
		.amdhsa_exception_fp_ieee_div_zero 0
		.amdhsa_exception_fp_ieee_overflow 0
		.amdhsa_exception_fp_ieee_underflow 0
		.amdhsa_exception_fp_ieee_inexact 0
		.amdhsa_exception_int_div_zero 0
	.end_amdhsa_kernel
	.section	.text._ZN7rocprim17ROCPRIM_400000_NS6detail17trampoline_kernelINS0_14default_configENS1_20scan_config_selectorIsEEZZNS1_9scan_implILNS1_25lookback_scan_determinismE0ELb0ELb1ES3_N6thrust23THRUST_200600_302600_NS6detail15normal_iteratorINS9_10device_ptrIsEEEESE_sNS9_4plusIsEEsEEDaPvRmT3_T4_T5_mT6_P12ihipStream_tbENKUlT_T0_E_clISt17integral_constantIbLb0EESU_EEDaSP_SQ_EUlSP_E_NS1_11comp_targetILNS1_3genE9ELNS1_11target_archE1100ELNS1_3gpuE3ELNS1_3repE0EEENS1_30default_config_static_selectorELNS0_4arch9wavefront6targetE1EEEvT1_,"axG",@progbits,_ZN7rocprim17ROCPRIM_400000_NS6detail17trampoline_kernelINS0_14default_configENS1_20scan_config_selectorIsEEZZNS1_9scan_implILNS1_25lookback_scan_determinismE0ELb0ELb1ES3_N6thrust23THRUST_200600_302600_NS6detail15normal_iteratorINS9_10device_ptrIsEEEESE_sNS9_4plusIsEEsEEDaPvRmT3_T4_T5_mT6_P12ihipStream_tbENKUlT_T0_E_clISt17integral_constantIbLb0EESU_EEDaSP_SQ_EUlSP_E_NS1_11comp_targetILNS1_3genE9ELNS1_11target_archE1100ELNS1_3gpuE3ELNS1_3repE0EEENS1_30default_config_static_selectorELNS0_4arch9wavefront6targetE1EEEvT1_,comdat
.Lfunc_end1274:
	.size	_ZN7rocprim17ROCPRIM_400000_NS6detail17trampoline_kernelINS0_14default_configENS1_20scan_config_selectorIsEEZZNS1_9scan_implILNS1_25lookback_scan_determinismE0ELb0ELb1ES3_N6thrust23THRUST_200600_302600_NS6detail15normal_iteratorINS9_10device_ptrIsEEEESE_sNS9_4plusIsEEsEEDaPvRmT3_T4_T5_mT6_P12ihipStream_tbENKUlT_T0_E_clISt17integral_constantIbLb0EESU_EEDaSP_SQ_EUlSP_E_NS1_11comp_targetILNS1_3genE9ELNS1_11target_archE1100ELNS1_3gpuE3ELNS1_3repE0EEENS1_30default_config_static_selectorELNS0_4arch9wavefront6targetE1EEEvT1_, .Lfunc_end1274-_ZN7rocprim17ROCPRIM_400000_NS6detail17trampoline_kernelINS0_14default_configENS1_20scan_config_selectorIsEEZZNS1_9scan_implILNS1_25lookback_scan_determinismE0ELb0ELb1ES3_N6thrust23THRUST_200600_302600_NS6detail15normal_iteratorINS9_10device_ptrIsEEEESE_sNS9_4plusIsEEsEEDaPvRmT3_T4_T5_mT6_P12ihipStream_tbENKUlT_T0_E_clISt17integral_constantIbLb0EESU_EEDaSP_SQ_EUlSP_E_NS1_11comp_targetILNS1_3genE9ELNS1_11target_archE1100ELNS1_3gpuE3ELNS1_3repE0EEENS1_30default_config_static_selectorELNS0_4arch9wavefront6targetE1EEEvT1_
                                        ; -- End function
	.section	.AMDGPU.csdata,"",@progbits
; Kernel info:
; codeLenInByte = 0
; NumSgprs: 4
; NumVgprs: 0
; NumAgprs: 0
; TotalNumVgprs: 0
; ScratchSize: 0
; MemoryBound: 0
; FloatMode: 240
; IeeeMode: 1
; LDSByteSize: 0 bytes/workgroup (compile time only)
; SGPRBlocks: 0
; VGPRBlocks: 0
; NumSGPRsForWavesPerEU: 4
; NumVGPRsForWavesPerEU: 1
; AccumOffset: 4
; Occupancy: 8
; WaveLimiterHint : 0
; COMPUTE_PGM_RSRC2:SCRATCH_EN: 0
; COMPUTE_PGM_RSRC2:USER_SGPR: 6
; COMPUTE_PGM_RSRC2:TRAP_HANDLER: 0
; COMPUTE_PGM_RSRC2:TGID_X_EN: 1
; COMPUTE_PGM_RSRC2:TGID_Y_EN: 0
; COMPUTE_PGM_RSRC2:TGID_Z_EN: 0
; COMPUTE_PGM_RSRC2:TIDIG_COMP_CNT: 0
; COMPUTE_PGM_RSRC3_GFX90A:ACCUM_OFFSET: 0
; COMPUTE_PGM_RSRC3_GFX90A:TG_SPLIT: 0
	.section	.text._ZN7rocprim17ROCPRIM_400000_NS6detail17trampoline_kernelINS0_14default_configENS1_20scan_config_selectorIsEEZZNS1_9scan_implILNS1_25lookback_scan_determinismE0ELb0ELb1ES3_N6thrust23THRUST_200600_302600_NS6detail15normal_iteratorINS9_10device_ptrIsEEEESE_sNS9_4plusIsEEsEEDaPvRmT3_T4_T5_mT6_P12ihipStream_tbENKUlT_T0_E_clISt17integral_constantIbLb0EESU_EEDaSP_SQ_EUlSP_E_NS1_11comp_targetILNS1_3genE8ELNS1_11target_archE1030ELNS1_3gpuE2ELNS1_3repE0EEENS1_30default_config_static_selectorELNS0_4arch9wavefront6targetE1EEEvT1_,"axG",@progbits,_ZN7rocprim17ROCPRIM_400000_NS6detail17trampoline_kernelINS0_14default_configENS1_20scan_config_selectorIsEEZZNS1_9scan_implILNS1_25lookback_scan_determinismE0ELb0ELb1ES3_N6thrust23THRUST_200600_302600_NS6detail15normal_iteratorINS9_10device_ptrIsEEEESE_sNS9_4plusIsEEsEEDaPvRmT3_T4_T5_mT6_P12ihipStream_tbENKUlT_T0_E_clISt17integral_constantIbLb0EESU_EEDaSP_SQ_EUlSP_E_NS1_11comp_targetILNS1_3genE8ELNS1_11target_archE1030ELNS1_3gpuE2ELNS1_3repE0EEENS1_30default_config_static_selectorELNS0_4arch9wavefront6targetE1EEEvT1_,comdat
	.protected	_ZN7rocprim17ROCPRIM_400000_NS6detail17trampoline_kernelINS0_14default_configENS1_20scan_config_selectorIsEEZZNS1_9scan_implILNS1_25lookback_scan_determinismE0ELb0ELb1ES3_N6thrust23THRUST_200600_302600_NS6detail15normal_iteratorINS9_10device_ptrIsEEEESE_sNS9_4plusIsEEsEEDaPvRmT3_T4_T5_mT6_P12ihipStream_tbENKUlT_T0_E_clISt17integral_constantIbLb0EESU_EEDaSP_SQ_EUlSP_E_NS1_11comp_targetILNS1_3genE8ELNS1_11target_archE1030ELNS1_3gpuE2ELNS1_3repE0EEENS1_30default_config_static_selectorELNS0_4arch9wavefront6targetE1EEEvT1_ ; -- Begin function _ZN7rocprim17ROCPRIM_400000_NS6detail17trampoline_kernelINS0_14default_configENS1_20scan_config_selectorIsEEZZNS1_9scan_implILNS1_25lookback_scan_determinismE0ELb0ELb1ES3_N6thrust23THRUST_200600_302600_NS6detail15normal_iteratorINS9_10device_ptrIsEEEESE_sNS9_4plusIsEEsEEDaPvRmT3_T4_T5_mT6_P12ihipStream_tbENKUlT_T0_E_clISt17integral_constantIbLb0EESU_EEDaSP_SQ_EUlSP_E_NS1_11comp_targetILNS1_3genE8ELNS1_11target_archE1030ELNS1_3gpuE2ELNS1_3repE0EEENS1_30default_config_static_selectorELNS0_4arch9wavefront6targetE1EEEvT1_
	.globl	_ZN7rocprim17ROCPRIM_400000_NS6detail17trampoline_kernelINS0_14default_configENS1_20scan_config_selectorIsEEZZNS1_9scan_implILNS1_25lookback_scan_determinismE0ELb0ELb1ES3_N6thrust23THRUST_200600_302600_NS6detail15normal_iteratorINS9_10device_ptrIsEEEESE_sNS9_4plusIsEEsEEDaPvRmT3_T4_T5_mT6_P12ihipStream_tbENKUlT_T0_E_clISt17integral_constantIbLb0EESU_EEDaSP_SQ_EUlSP_E_NS1_11comp_targetILNS1_3genE8ELNS1_11target_archE1030ELNS1_3gpuE2ELNS1_3repE0EEENS1_30default_config_static_selectorELNS0_4arch9wavefront6targetE1EEEvT1_
	.p2align	8
	.type	_ZN7rocprim17ROCPRIM_400000_NS6detail17trampoline_kernelINS0_14default_configENS1_20scan_config_selectorIsEEZZNS1_9scan_implILNS1_25lookback_scan_determinismE0ELb0ELb1ES3_N6thrust23THRUST_200600_302600_NS6detail15normal_iteratorINS9_10device_ptrIsEEEESE_sNS9_4plusIsEEsEEDaPvRmT3_T4_T5_mT6_P12ihipStream_tbENKUlT_T0_E_clISt17integral_constantIbLb0EESU_EEDaSP_SQ_EUlSP_E_NS1_11comp_targetILNS1_3genE8ELNS1_11target_archE1030ELNS1_3gpuE2ELNS1_3repE0EEENS1_30default_config_static_selectorELNS0_4arch9wavefront6targetE1EEEvT1_,@function
_ZN7rocprim17ROCPRIM_400000_NS6detail17trampoline_kernelINS0_14default_configENS1_20scan_config_selectorIsEEZZNS1_9scan_implILNS1_25lookback_scan_determinismE0ELb0ELb1ES3_N6thrust23THRUST_200600_302600_NS6detail15normal_iteratorINS9_10device_ptrIsEEEESE_sNS9_4plusIsEEsEEDaPvRmT3_T4_T5_mT6_P12ihipStream_tbENKUlT_T0_E_clISt17integral_constantIbLb0EESU_EEDaSP_SQ_EUlSP_E_NS1_11comp_targetILNS1_3genE8ELNS1_11target_archE1030ELNS1_3gpuE2ELNS1_3repE0EEENS1_30default_config_static_selectorELNS0_4arch9wavefront6targetE1EEEvT1_: ; @_ZN7rocprim17ROCPRIM_400000_NS6detail17trampoline_kernelINS0_14default_configENS1_20scan_config_selectorIsEEZZNS1_9scan_implILNS1_25lookback_scan_determinismE0ELb0ELb1ES3_N6thrust23THRUST_200600_302600_NS6detail15normal_iteratorINS9_10device_ptrIsEEEESE_sNS9_4plusIsEEsEEDaPvRmT3_T4_T5_mT6_P12ihipStream_tbENKUlT_T0_E_clISt17integral_constantIbLb0EESU_EEDaSP_SQ_EUlSP_E_NS1_11comp_targetILNS1_3genE8ELNS1_11target_archE1030ELNS1_3gpuE2ELNS1_3repE0EEENS1_30default_config_static_selectorELNS0_4arch9wavefront6targetE1EEEvT1_
; %bb.0:
	.section	.rodata,"a",@progbits
	.p2align	6, 0x0
	.amdhsa_kernel _ZN7rocprim17ROCPRIM_400000_NS6detail17trampoline_kernelINS0_14default_configENS1_20scan_config_selectorIsEEZZNS1_9scan_implILNS1_25lookback_scan_determinismE0ELb0ELb1ES3_N6thrust23THRUST_200600_302600_NS6detail15normal_iteratorINS9_10device_ptrIsEEEESE_sNS9_4plusIsEEsEEDaPvRmT3_T4_T5_mT6_P12ihipStream_tbENKUlT_T0_E_clISt17integral_constantIbLb0EESU_EEDaSP_SQ_EUlSP_E_NS1_11comp_targetILNS1_3genE8ELNS1_11target_archE1030ELNS1_3gpuE2ELNS1_3repE0EEENS1_30default_config_static_selectorELNS0_4arch9wavefront6targetE1EEEvT1_
		.amdhsa_group_segment_fixed_size 0
		.amdhsa_private_segment_fixed_size 0
		.amdhsa_kernarg_size 96
		.amdhsa_user_sgpr_count 6
		.amdhsa_user_sgpr_private_segment_buffer 1
		.amdhsa_user_sgpr_dispatch_ptr 0
		.amdhsa_user_sgpr_queue_ptr 0
		.amdhsa_user_sgpr_kernarg_segment_ptr 1
		.amdhsa_user_sgpr_dispatch_id 0
		.amdhsa_user_sgpr_flat_scratch_init 0
		.amdhsa_user_sgpr_kernarg_preload_length 0
		.amdhsa_user_sgpr_kernarg_preload_offset 0
		.amdhsa_user_sgpr_private_segment_size 0
		.amdhsa_uses_dynamic_stack 0
		.amdhsa_system_sgpr_private_segment_wavefront_offset 0
		.amdhsa_system_sgpr_workgroup_id_x 1
		.amdhsa_system_sgpr_workgroup_id_y 0
		.amdhsa_system_sgpr_workgroup_id_z 0
		.amdhsa_system_sgpr_workgroup_info 0
		.amdhsa_system_vgpr_workitem_id 0
		.amdhsa_next_free_vgpr 1
		.amdhsa_next_free_sgpr 0
		.amdhsa_accum_offset 4
		.amdhsa_reserve_vcc 0
		.amdhsa_reserve_flat_scratch 0
		.amdhsa_float_round_mode_32 0
		.amdhsa_float_round_mode_16_64 0
		.amdhsa_float_denorm_mode_32 3
		.amdhsa_float_denorm_mode_16_64 3
		.amdhsa_dx10_clamp 1
		.amdhsa_ieee_mode 1
		.amdhsa_fp16_overflow 0
		.amdhsa_tg_split 0
		.amdhsa_exception_fp_ieee_invalid_op 0
		.amdhsa_exception_fp_denorm_src 0
		.amdhsa_exception_fp_ieee_div_zero 0
		.amdhsa_exception_fp_ieee_overflow 0
		.amdhsa_exception_fp_ieee_underflow 0
		.amdhsa_exception_fp_ieee_inexact 0
		.amdhsa_exception_int_div_zero 0
	.end_amdhsa_kernel
	.section	.text._ZN7rocprim17ROCPRIM_400000_NS6detail17trampoline_kernelINS0_14default_configENS1_20scan_config_selectorIsEEZZNS1_9scan_implILNS1_25lookback_scan_determinismE0ELb0ELb1ES3_N6thrust23THRUST_200600_302600_NS6detail15normal_iteratorINS9_10device_ptrIsEEEESE_sNS9_4plusIsEEsEEDaPvRmT3_T4_T5_mT6_P12ihipStream_tbENKUlT_T0_E_clISt17integral_constantIbLb0EESU_EEDaSP_SQ_EUlSP_E_NS1_11comp_targetILNS1_3genE8ELNS1_11target_archE1030ELNS1_3gpuE2ELNS1_3repE0EEENS1_30default_config_static_selectorELNS0_4arch9wavefront6targetE1EEEvT1_,"axG",@progbits,_ZN7rocprim17ROCPRIM_400000_NS6detail17trampoline_kernelINS0_14default_configENS1_20scan_config_selectorIsEEZZNS1_9scan_implILNS1_25lookback_scan_determinismE0ELb0ELb1ES3_N6thrust23THRUST_200600_302600_NS6detail15normal_iteratorINS9_10device_ptrIsEEEESE_sNS9_4plusIsEEsEEDaPvRmT3_T4_T5_mT6_P12ihipStream_tbENKUlT_T0_E_clISt17integral_constantIbLb0EESU_EEDaSP_SQ_EUlSP_E_NS1_11comp_targetILNS1_3genE8ELNS1_11target_archE1030ELNS1_3gpuE2ELNS1_3repE0EEENS1_30default_config_static_selectorELNS0_4arch9wavefront6targetE1EEEvT1_,comdat
.Lfunc_end1275:
	.size	_ZN7rocprim17ROCPRIM_400000_NS6detail17trampoline_kernelINS0_14default_configENS1_20scan_config_selectorIsEEZZNS1_9scan_implILNS1_25lookback_scan_determinismE0ELb0ELb1ES3_N6thrust23THRUST_200600_302600_NS6detail15normal_iteratorINS9_10device_ptrIsEEEESE_sNS9_4plusIsEEsEEDaPvRmT3_T4_T5_mT6_P12ihipStream_tbENKUlT_T0_E_clISt17integral_constantIbLb0EESU_EEDaSP_SQ_EUlSP_E_NS1_11comp_targetILNS1_3genE8ELNS1_11target_archE1030ELNS1_3gpuE2ELNS1_3repE0EEENS1_30default_config_static_selectorELNS0_4arch9wavefront6targetE1EEEvT1_, .Lfunc_end1275-_ZN7rocprim17ROCPRIM_400000_NS6detail17trampoline_kernelINS0_14default_configENS1_20scan_config_selectorIsEEZZNS1_9scan_implILNS1_25lookback_scan_determinismE0ELb0ELb1ES3_N6thrust23THRUST_200600_302600_NS6detail15normal_iteratorINS9_10device_ptrIsEEEESE_sNS9_4plusIsEEsEEDaPvRmT3_T4_T5_mT6_P12ihipStream_tbENKUlT_T0_E_clISt17integral_constantIbLb0EESU_EEDaSP_SQ_EUlSP_E_NS1_11comp_targetILNS1_3genE8ELNS1_11target_archE1030ELNS1_3gpuE2ELNS1_3repE0EEENS1_30default_config_static_selectorELNS0_4arch9wavefront6targetE1EEEvT1_
                                        ; -- End function
	.section	.AMDGPU.csdata,"",@progbits
; Kernel info:
; codeLenInByte = 0
; NumSgprs: 4
; NumVgprs: 0
; NumAgprs: 0
; TotalNumVgprs: 0
; ScratchSize: 0
; MemoryBound: 0
; FloatMode: 240
; IeeeMode: 1
; LDSByteSize: 0 bytes/workgroup (compile time only)
; SGPRBlocks: 0
; VGPRBlocks: 0
; NumSGPRsForWavesPerEU: 4
; NumVGPRsForWavesPerEU: 1
; AccumOffset: 4
; Occupancy: 8
; WaveLimiterHint : 0
; COMPUTE_PGM_RSRC2:SCRATCH_EN: 0
; COMPUTE_PGM_RSRC2:USER_SGPR: 6
; COMPUTE_PGM_RSRC2:TRAP_HANDLER: 0
; COMPUTE_PGM_RSRC2:TGID_X_EN: 1
; COMPUTE_PGM_RSRC2:TGID_Y_EN: 0
; COMPUTE_PGM_RSRC2:TGID_Z_EN: 0
; COMPUTE_PGM_RSRC2:TIDIG_COMP_CNT: 0
; COMPUTE_PGM_RSRC3_GFX90A:ACCUM_OFFSET: 0
; COMPUTE_PGM_RSRC3_GFX90A:TG_SPLIT: 0
	.section	.text._ZN7rocprim17ROCPRIM_400000_NS6detail17trampoline_kernelINS0_14default_configENS1_20scan_config_selectorIsEEZZNS1_9scan_implILNS1_25lookback_scan_determinismE0ELb0ELb1ES3_N6thrust23THRUST_200600_302600_NS6detail15normal_iteratorINS9_10device_ptrIsEEEESE_sNS9_4plusIsEEsEEDaPvRmT3_T4_T5_mT6_P12ihipStream_tbENKUlT_T0_E_clISt17integral_constantIbLb0EESU_EEDaSP_SQ_EUlSP_E0_NS1_11comp_targetILNS1_3genE0ELNS1_11target_archE4294967295ELNS1_3gpuE0ELNS1_3repE0EEENS1_30default_config_static_selectorELNS0_4arch9wavefront6targetE1EEEvT1_,"axG",@progbits,_ZN7rocprim17ROCPRIM_400000_NS6detail17trampoline_kernelINS0_14default_configENS1_20scan_config_selectorIsEEZZNS1_9scan_implILNS1_25lookback_scan_determinismE0ELb0ELb1ES3_N6thrust23THRUST_200600_302600_NS6detail15normal_iteratorINS9_10device_ptrIsEEEESE_sNS9_4plusIsEEsEEDaPvRmT3_T4_T5_mT6_P12ihipStream_tbENKUlT_T0_E_clISt17integral_constantIbLb0EESU_EEDaSP_SQ_EUlSP_E0_NS1_11comp_targetILNS1_3genE0ELNS1_11target_archE4294967295ELNS1_3gpuE0ELNS1_3repE0EEENS1_30default_config_static_selectorELNS0_4arch9wavefront6targetE1EEEvT1_,comdat
	.protected	_ZN7rocprim17ROCPRIM_400000_NS6detail17trampoline_kernelINS0_14default_configENS1_20scan_config_selectorIsEEZZNS1_9scan_implILNS1_25lookback_scan_determinismE0ELb0ELb1ES3_N6thrust23THRUST_200600_302600_NS6detail15normal_iteratorINS9_10device_ptrIsEEEESE_sNS9_4plusIsEEsEEDaPvRmT3_T4_T5_mT6_P12ihipStream_tbENKUlT_T0_E_clISt17integral_constantIbLb0EESU_EEDaSP_SQ_EUlSP_E0_NS1_11comp_targetILNS1_3genE0ELNS1_11target_archE4294967295ELNS1_3gpuE0ELNS1_3repE0EEENS1_30default_config_static_selectorELNS0_4arch9wavefront6targetE1EEEvT1_ ; -- Begin function _ZN7rocprim17ROCPRIM_400000_NS6detail17trampoline_kernelINS0_14default_configENS1_20scan_config_selectorIsEEZZNS1_9scan_implILNS1_25lookback_scan_determinismE0ELb0ELb1ES3_N6thrust23THRUST_200600_302600_NS6detail15normal_iteratorINS9_10device_ptrIsEEEESE_sNS9_4plusIsEEsEEDaPvRmT3_T4_T5_mT6_P12ihipStream_tbENKUlT_T0_E_clISt17integral_constantIbLb0EESU_EEDaSP_SQ_EUlSP_E0_NS1_11comp_targetILNS1_3genE0ELNS1_11target_archE4294967295ELNS1_3gpuE0ELNS1_3repE0EEENS1_30default_config_static_selectorELNS0_4arch9wavefront6targetE1EEEvT1_
	.globl	_ZN7rocprim17ROCPRIM_400000_NS6detail17trampoline_kernelINS0_14default_configENS1_20scan_config_selectorIsEEZZNS1_9scan_implILNS1_25lookback_scan_determinismE0ELb0ELb1ES3_N6thrust23THRUST_200600_302600_NS6detail15normal_iteratorINS9_10device_ptrIsEEEESE_sNS9_4plusIsEEsEEDaPvRmT3_T4_T5_mT6_P12ihipStream_tbENKUlT_T0_E_clISt17integral_constantIbLb0EESU_EEDaSP_SQ_EUlSP_E0_NS1_11comp_targetILNS1_3genE0ELNS1_11target_archE4294967295ELNS1_3gpuE0ELNS1_3repE0EEENS1_30default_config_static_selectorELNS0_4arch9wavefront6targetE1EEEvT1_
	.p2align	8
	.type	_ZN7rocprim17ROCPRIM_400000_NS6detail17trampoline_kernelINS0_14default_configENS1_20scan_config_selectorIsEEZZNS1_9scan_implILNS1_25lookback_scan_determinismE0ELb0ELb1ES3_N6thrust23THRUST_200600_302600_NS6detail15normal_iteratorINS9_10device_ptrIsEEEESE_sNS9_4plusIsEEsEEDaPvRmT3_T4_T5_mT6_P12ihipStream_tbENKUlT_T0_E_clISt17integral_constantIbLb0EESU_EEDaSP_SQ_EUlSP_E0_NS1_11comp_targetILNS1_3genE0ELNS1_11target_archE4294967295ELNS1_3gpuE0ELNS1_3repE0EEENS1_30default_config_static_selectorELNS0_4arch9wavefront6targetE1EEEvT1_,@function
_ZN7rocprim17ROCPRIM_400000_NS6detail17trampoline_kernelINS0_14default_configENS1_20scan_config_selectorIsEEZZNS1_9scan_implILNS1_25lookback_scan_determinismE0ELb0ELb1ES3_N6thrust23THRUST_200600_302600_NS6detail15normal_iteratorINS9_10device_ptrIsEEEESE_sNS9_4plusIsEEsEEDaPvRmT3_T4_T5_mT6_P12ihipStream_tbENKUlT_T0_E_clISt17integral_constantIbLb0EESU_EEDaSP_SQ_EUlSP_E0_NS1_11comp_targetILNS1_3genE0ELNS1_11target_archE4294967295ELNS1_3gpuE0ELNS1_3repE0EEENS1_30default_config_static_selectorELNS0_4arch9wavefront6targetE1EEEvT1_: ; @_ZN7rocprim17ROCPRIM_400000_NS6detail17trampoline_kernelINS0_14default_configENS1_20scan_config_selectorIsEEZZNS1_9scan_implILNS1_25lookback_scan_determinismE0ELb0ELb1ES3_N6thrust23THRUST_200600_302600_NS6detail15normal_iteratorINS9_10device_ptrIsEEEESE_sNS9_4plusIsEEsEEDaPvRmT3_T4_T5_mT6_P12ihipStream_tbENKUlT_T0_E_clISt17integral_constantIbLb0EESU_EEDaSP_SQ_EUlSP_E0_NS1_11comp_targetILNS1_3genE0ELNS1_11target_archE4294967295ELNS1_3gpuE0ELNS1_3repE0EEENS1_30default_config_static_selectorELNS0_4arch9wavefront6targetE1EEEvT1_
; %bb.0:
	.section	.rodata,"a",@progbits
	.p2align	6, 0x0
	.amdhsa_kernel _ZN7rocprim17ROCPRIM_400000_NS6detail17trampoline_kernelINS0_14default_configENS1_20scan_config_selectorIsEEZZNS1_9scan_implILNS1_25lookback_scan_determinismE0ELb0ELb1ES3_N6thrust23THRUST_200600_302600_NS6detail15normal_iteratorINS9_10device_ptrIsEEEESE_sNS9_4plusIsEEsEEDaPvRmT3_T4_T5_mT6_P12ihipStream_tbENKUlT_T0_E_clISt17integral_constantIbLb0EESU_EEDaSP_SQ_EUlSP_E0_NS1_11comp_targetILNS1_3genE0ELNS1_11target_archE4294967295ELNS1_3gpuE0ELNS1_3repE0EEENS1_30default_config_static_selectorELNS0_4arch9wavefront6targetE1EEEvT1_
		.amdhsa_group_segment_fixed_size 0
		.amdhsa_private_segment_fixed_size 0
		.amdhsa_kernarg_size 32
		.amdhsa_user_sgpr_count 6
		.amdhsa_user_sgpr_private_segment_buffer 1
		.amdhsa_user_sgpr_dispatch_ptr 0
		.amdhsa_user_sgpr_queue_ptr 0
		.amdhsa_user_sgpr_kernarg_segment_ptr 1
		.amdhsa_user_sgpr_dispatch_id 0
		.amdhsa_user_sgpr_flat_scratch_init 0
		.amdhsa_user_sgpr_kernarg_preload_length 0
		.amdhsa_user_sgpr_kernarg_preload_offset 0
		.amdhsa_user_sgpr_private_segment_size 0
		.amdhsa_uses_dynamic_stack 0
		.amdhsa_system_sgpr_private_segment_wavefront_offset 0
		.amdhsa_system_sgpr_workgroup_id_x 1
		.amdhsa_system_sgpr_workgroup_id_y 0
		.amdhsa_system_sgpr_workgroup_id_z 0
		.amdhsa_system_sgpr_workgroup_info 0
		.amdhsa_system_vgpr_workitem_id 0
		.amdhsa_next_free_vgpr 1
		.amdhsa_next_free_sgpr 0
		.amdhsa_accum_offset 4
		.amdhsa_reserve_vcc 0
		.amdhsa_reserve_flat_scratch 0
		.amdhsa_float_round_mode_32 0
		.amdhsa_float_round_mode_16_64 0
		.amdhsa_float_denorm_mode_32 3
		.amdhsa_float_denorm_mode_16_64 3
		.amdhsa_dx10_clamp 1
		.amdhsa_ieee_mode 1
		.amdhsa_fp16_overflow 0
		.amdhsa_tg_split 0
		.amdhsa_exception_fp_ieee_invalid_op 0
		.amdhsa_exception_fp_denorm_src 0
		.amdhsa_exception_fp_ieee_div_zero 0
		.amdhsa_exception_fp_ieee_overflow 0
		.amdhsa_exception_fp_ieee_underflow 0
		.amdhsa_exception_fp_ieee_inexact 0
		.amdhsa_exception_int_div_zero 0
	.end_amdhsa_kernel
	.section	.text._ZN7rocprim17ROCPRIM_400000_NS6detail17trampoline_kernelINS0_14default_configENS1_20scan_config_selectorIsEEZZNS1_9scan_implILNS1_25lookback_scan_determinismE0ELb0ELb1ES3_N6thrust23THRUST_200600_302600_NS6detail15normal_iteratorINS9_10device_ptrIsEEEESE_sNS9_4plusIsEEsEEDaPvRmT3_T4_T5_mT6_P12ihipStream_tbENKUlT_T0_E_clISt17integral_constantIbLb0EESU_EEDaSP_SQ_EUlSP_E0_NS1_11comp_targetILNS1_3genE0ELNS1_11target_archE4294967295ELNS1_3gpuE0ELNS1_3repE0EEENS1_30default_config_static_selectorELNS0_4arch9wavefront6targetE1EEEvT1_,"axG",@progbits,_ZN7rocprim17ROCPRIM_400000_NS6detail17trampoline_kernelINS0_14default_configENS1_20scan_config_selectorIsEEZZNS1_9scan_implILNS1_25lookback_scan_determinismE0ELb0ELb1ES3_N6thrust23THRUST_200600_302600_NS6detail15normal_iteratorINS9_10device_ptrIsEEEESE_sNS9_4plusIsEEsEEDaPvRmT3_T4_T5_mT6_P12ihipStream_tbENKUlT_T0_E_clISt17integral_constantIbLb0EESU_EEDaSP_SQ_EUlSP_E0_NS1_11comp_targetILNS1_3genE0ELNS1_11target_archE4294967295ELNS1_3gpuE0ELNS1_3repE0EEENS1_30default_config_static_selectorELNS0_4arch9wavefront6targetE1EEEvT1_,comdat
.Lfunc_end1276:
	.size	_ZN7rocprim17ROCPRIM_400000_NS6detail17trampoline_kernelINS0_14default_configENS1_20scan_config_selectorIsEEZZNS1_9scan_implILNS1_25lookback_scan_determinismE0ELb0ELb1ES3_N6thrust23THRUST_200600_302600_NS6detail15normal_iteratorINS9_10device_ptrIsEEEESE_sNS9_4plusIsEEsEEDaPvRmT3_T4_T5_mT6_P12ihipStream_tbENKUlT_T0_E_clISt17integral_constantIbLb0EESU_EEDaSP_SQ_EUlSP_E0_NS1_11comp_targetILNS1_3genE0ELNS1_11target_archE4294967295ELNS1_3gpuE0ELNS1_3repE0EEENS1_30default_config_static_selectorELNS0_4arch9wavefront6targetE1EEEvT1_, .Lfunc_end1276-_ZN7rocprim17ROCPRIM_400000_NS6detail17trampoline_kernelINS0_14default_configENS1_20scan_config_selectorIsEEZZNS1_9scan_implILNS1_25lookback_scan_determinismE0ELb0ELb1ES3_N6thrust23THRUST_200600_302600_NS6detail15normal_iteratorINS9_10device_ptrIsEEEESE_sNS9_4plusIsEEsEEDaPvRmT3_T4_T5_mT6_P12ihipStream_tbENKUlT_T0_E_clISt17integral_constantIbLb0EESU_EEDaSP_SQ_EUlSP_E0_NS1_11comp_targetILNS1_3genE0ELNS1_11target_archE4294967295ELNS1_3gpuE0ELNS1_3repE0EEENS1_30default_config_static_selectorELNS0_4arch9wavefront6targetE1EEEvT1_
                                        ; -- End function
	.section	.AMDGPU.csdata,"",@progbits
; Kernel info:
; codeLenInByte = 0
; NumSgprs: 4
; NumVgprs: 0
; NumAgprs: 0
; TotalNumVgprs: 0
; ScratchSize: 0
; MemoryBound: 0
; FloatMode: 240
; IeeeMode: 1
; LDSByteSize: 0 bytes/workgroup (compile time only)
; SGPRBlocks: 0
; VGPRBlocks: 0
; NumSGPRsForWavesPerEU: 4
; NumVGPRsForWavesPerEU: 1
; AccumOffset: 4
; Occupancy: 8
; WaveLimiterHint : 0
; COMPUTE_PGM_RSRC2:SCRATCH_EN: 0
; COMPUTE_PGM_RSRC2:USER_SGPR: 6
; COMPUTE_PGM_RSRC2:TRAP_HANDLER: 0
; COMPUTE_PGM_RSRC2:TGID_X_EN: 1
; COMPUTE_PGM_RSRC2:TGID_Y_EN: 0
; COMPUTE_PGM_RSRC2:TGID_Z_EN: 0
; COMPUTE_PGM_RSRC2:TIDIG_COMP_CNT: 0
; COMPUTE_PGM_RSRC3_GFX90A:ACCUM_OFFSET: 0
; COMPUTE_PGM_RSRC3_GFX90A:TG_SPLIT: 0
	.section	.text._ZN7rocprim17ROCPRIM_400000_NS6detail17trampoline_kernelINS0_14default_configENS1_20scan_config_selectorIsEEZZNS1_9scan_implILNS1_25lookback_scan_determinismE0ELb0ELb1ES3_N6thrust23THRUST_200600_302600_NS6detail15normal_iteratorINS9_10device_ptrIsEEEESE_sNS9_4plusIsEEsEEDaPvRmT3_T4_T5_mT6_P12ihipStream_tbENKUlT_T0_E_clISt17integral_constantIbLb0EESU_EEDaSP_SQ_EUlSP_E0_NS1_11comp_targetILNS1_3genE5ELNS1_11target_archE942ELNS1_3gpuE9ELNS1_3repE0EEENS1_30default_config_static_selectorELNS0_4arch9wavefront6targetE1EEEvT1_,"axG",@progbits,_ZN7rocprim17ROCPRIM_400000_NS6detail17trampoline_kernelINS0_14default_configENS1_20scan_config_selectorIsEEZZNS1_9scan_implILNS1_25lookback_scan_determinismE0ELb0ELb1ES3_N6thrust23THRUST_200600_302600_NS6detail15normal_iteratorINS9_10device_ptrIsEEEESE_sNS9_4plusIsEEsEEDaPvRmT3_T4_T5_mT6_P12ihipStream_tbENKUlT_T0_E_clISt17integral_constantIbLb0EESU_EEDaSP_SQ_EUlSP_E0_NS1_11comp_targetILNS1_3genE5ELNS1_11target_archE942ELNS1_3gpuE9ELNS1_3repE0EEENS1_30default_config_static_selectorELNS0_4arch9wavefront6targetE1EEEvT1_,comdat
	.protected	_ZN7rocprim17ROCPRIM_400000_NS6detail17trampoline_kernelINS0_14default_configENS1_20scan_config_selectorIsEEZZNS1_9scan_implILNS1_25lookback_scan_determinismE0ELb0ELb1ES3_N6thrust23THRUST_200600_302600_NS6detail15normal_iteratorINS9_10device_ptrIsEEEESE_sNS9_4plusIsEEsEEDaPvRmT3_T4_T5_mT6_P12ihipStream_tbENKUlT_T0_E_clISt17integral_constantIbLb0EESU_EEDaSP_SQ_EUlSP_E0_NS1_11comp_targetILNS1_3genE5ELNS1_11target_archE942ELNS1_3gpuE9ELNS1_3repE0EEENS1_30default_config_static_selectorELNS0_4arch9wavefront6targetE1EEEvT1_ ; -- Begin function _ZN7rocprim17ROCPRIM_400000_NS6detail17trampoline_kernelINS0_14default_configENS1_20scan_config_selectorIsEEZZNS1_9scan_implILNS1_25lookback_scan_determinismE0ELb0ELb1ES3_N6thrust23THRUST_200600_302600_NS6detail15normal_iteratorINS9_10device_ptrIsEEEESE_sNS9_4plusIsEEsEEDaPvRmT3_T4_T5_mT6_P12ihipStream_tbENKUlT_T0_E_clISt17integral_constantIbLb0EESU_EEDaSP_SQ_EUlSP_E0_NS1_11comp_targetILNS1_3genE5ELNS1_11target_archE942ELNS1_3gpuE9ELNS1_3repE0EEENS1_30default_config_static_selectorELNS0_4arch9wavefront6targetE1EEEvT1_
	.globl	_ZN7rocprim17ROCPRIM_400000_NS6detail17trampoline_kernelINS0_14default_configENS1_20scan_config_selectorIsEEZZNS1_9scan_implILNS1_25lookback_scan_determinismE0ELb0ELb1ES3_N6thrust23THRUST_200600_302600_NS6detail15normal_iteratorINS9_10device_ptrIsEEEESE_sNS9_4plusIsEEsEEDaPvRmT3_T4_T5_mT6_P12ihipStream_tbENKUlT_T0_E_clISt17integral_constantIbLb0EESU_EEDaSP_SQ_EUlSP_E0_NS1_11comp_targetILNS1_3genE5ELNS1_11target_archE942ELNS1_3gpuE9ELNS1_3repE0EEENS1_30default_config_static_selectorELNS0_4arch9wavefront6targetE1EEEvT1_
	.p2align	8
	.type	_ZN7rocprim17ROCPRIM_400000_NS6detail17trampoline_kernelINS0_14default_configENS1_20scan_config_selectorIsEEZZNS1_9scan_implILNS1_25lookback_scan_determinismE0ELb0ELb1ES3_N6thrust23THRUST_200600_302600_NS6detail15normal_iteratorINS9_10device_ptrIsEEEESE_sNS9_4plusIsEEsEEDaPvRmT3_T4_T5_mT6_P12ihipStream_tbENKUlT_T0_E_clISt17integral_constantIbLb0EESU_EEDaSP_SQ_EUlSP_E0_NS1_11comp_targetILNS1_3genE5ELNS1_11target_archE942ELNS1_3gpuE9ELNS1_3repE0EEENS1_30default_config_static_selectorELNS0_4arch9wavefront6targetE1EEEvT1_,@function
_ZN7rocprim17ROCPRIM_400000_NS6detail17trampoline_kernelINS0_14default_configENS1_20scan_config_selectorIsEEZZNS1_9scan_implILNS1_25lookback_scan_determinismE0ELb0ELb1ES3_N6thrust23THRUST_200600_302600_NS6detail15normal_iteratorINS9_10device_ptrIsEEEESE_sNS9_4plusIsEEsEEDaPvRmT3_T4_T5_mT6_P12ihipStream_tbENKUlT_T0_E_clISt17integral_constantIbLb0EESU_EEDaSP_SQ_EUlSP_E0_NS1_11comp_targetILNS1_3genE5ELNS1_11target_archE942ELNS1_3gpuE9ELNS1_3repE0EEENS1_30default_config_static_selectorELNS0_4arch9wavefront6targetE1EEEvT1_: ; @_ZN7rocprim17ROCPRIM_400000_NS6detail17trampoline_kernelINS0_14default_configENS1_20scan_config_selectorIsEEZZNS1_9scan_implILNS1_25lookback_scan_determinismE0ELb0ELb1ES3_N6thrust23THRUST_200600_302600_NS6detail15normal_iteratorINS9_10device_ptrIsEEEESE_sNS9_4plusIsEEsEEDaPvRmT3_T4_T5_mT6_P12ihipStream_tbENKUlT_T0_E_clISt17integral_constantIbLb0EESU_EEDaSP_SQ_EUlSP_E0_NS1_11comp_targetILNS1_3genE5ELNS1_11target_archE942ELNS1_3gpuE9ELNS1_3repE0EEENS1_30default_config_static_selectorELNS0_4arch9wavefront6targetE1EEEvT1_
; %bb.0:
	.section	.rodata,"a",@progbits
	.p2align	6, 0x0
	.amdhsa_kernel _ZN7rocprim17ROCPRIM_400000_NS6detail17trampoline_kernelINS0_14default_configENS1_20scan_config_selectorIsEEZZNS1_9scan_implILNS1_25lookback_scan_determinismE0ELb0ELb1ES3_N6thrust23THRUST_200600_302600_NS6detail15normal_iteratorINS9_10device_ptrIsEEEESE_sNS9_4plusIsEEsEEDaPvRmT3_T4_T5_mT6_P12ihipStream_tbENKUlT_T0_E_clISt17integral_constantIbLb0EESU_EEDaSP_SQ_EUlSP_E0_NS1_11comp_targetILNS1_3genE5ELNS1_11target_archE942ELNS1_3gpuE9ELNS1_3repE0EEENS1_30default_config_static_selectorELNS0_4arch9wavefront6targetE1EEEvT1_
		.amdhsa_group_segment_fixed_size 0
		.amdhsa_private_segment_fixed_size 0
		.amdhsa_kernarg_size 32
		.amdhsa_user_sgpr_count 6
		.amdhsa_user_sgpr_private_segment_buffer 1
		.amdhsa_user_sgpr_dispatch_ptr 0
		.amdhsa_user_sgpr_queue_ptr 0
		.amdhsa_user_sgpr_kernarg_segment_ptr 1
		.amdhsa_user_sgpr_dispatch_id 0
		.amdhsa_user_sgpr_flat_scratch_init 0
		.amdhsa_user_sgpr_kernarg_preload_length 0
		.amdhsa_user_sgpr_kernarg_preload_offset 0
		.amdhsa_user_sgpr_private_segment_size 0
		.amdhsa_uses_dynamic_stack 0
		.amdhsa_system_sgpr_private_segment_wavefront_offset 0
		.amdhsa_system_sgpr_workgroup_id_x 1
		.amdhsa_system_sgpr_workgroup_id_y 0
		.amdhsa_system_sgpr_workgroup_id_z 0
		.amdhsa_system_sgpr_workgroup_info 0
		.amdhsa_system_vgpr_workitem_id 0
		.amdhsa_next_free_vgpr 1
		.amdhsa_next_free_sgpr 0
		.amdhsa_accum_offset 4
		.amdhsa_reserve_vcc 0
		.amdhsa_reserve_flat_scratch 0
		.amdhsa_float_round_mode_32 0
		.amdhsa_float_round_mode_16_64 0
		.amdhsa_float_denorm_mode_32 3
		.amdhsa_float_denorm_mode_16_64 3
		.amdhsa_dx10_clamp 1
		.amdhsa_ieee_mode 1
		.amdhsa_fp16_overflow 0
		.amdhsa_tg_split 0
		.amdhsa_exception_fp_ieee_invalid_op 0
		.amdhsa_exception_fp_denorm_src 0
		.amdhsa_exception_fp_ieee_div_zero 0
		.amdhsa_exception_fp_ieee_overflow 0
		.amdhsa_exception_fp_ieee_underflow 0
		.amdhsa_exception_fp_ieee_inexact 0
		.amdhsa_exception_int_div_zero 0
	.end_amdhsa_kernel
	.section	.text._ZN7rocprim17ROCPRIM_400000_NS6detail17trampoline_kernelINS0_14default_configENS1_20scan_config_selectorIsEEZZNS1_9scan_implILNS1_25lookback_scan_determinismE0ELb0ELb1ES3_N6thrust23THRUST_200600_302600_NS6detail15normal_iteratorINS9_10device_ptrIsEEEESE_sNS9_4plusIsEEsEEDaPvRmT3_T4_T5_mT6_P12ihipStream_tbENKUlT_T0_E_clISt17integral_constantIbLb0EESU_EEDaSP_SQ_EUlSP_E0_NS1_11comp_targetILNS1_3genE5ELNS1_11target_archE942ELNS1_3gpuE9ELNS1_3repE0EEENS1_30default_config_static_selectorELNS0_4arch9wavefront6targetE1EEEvT1_,"axG",@progbits,_ZN7rocprim17ROCPRIM_400000_NS6detail17trampoline_kernelINS0_14default_configENS1_20scan_config_selectorIsEEZZNS1_9scan_implILNS1_25lookback_scan_determinismE0ELb0ELb1ES3_N6thrust23THRUST_200600_302600_NS6detail15normal_iteratorINS9_10device_ptrIsEEEESE_sNS9_4plusIsEEsEEDaPvRmT3_T4_T5_mT6_P12ihipStream_tbENKUlT_T0_E_clISt17integral_constantIbLb0EESU_EEDaSP_SQ_EUlSP_E0_NS1_11comp_targetILNS1_3genE5ELNS1_11target_archE942ELNS1_3gpuE9ELNS1_3repE0EEENS1_30default_config_static_selectorELNS0_4arch9wavefront6targetE1EEEvT1_,comdat
.Lfunc_end1277:
	.size	_ZN7rocprim17ROCPRIM_400000_NS6detail17trampoline_kernelINS0_14default_configENS1_20scan_config_selectorIsEEZZNS1_9scan_implILNS1_25lookback_scan_determinismE0ELb0ELb1ES3_N6thrust23THRUST_200600_302600_NS6detail15normal_iteratorINS9_10device_ptrIsEEEESE_sNS9_4plusIsEEsEEDaPvRmT3_T4_T5_mT6_P12ihipStream_tbENKUlT_T0_E_clISt17integral_constantIbLb0EESU_EEDaSP_SQ_EUlSP_E0_NS1_11comp_targetILNS1_3genE5ELNS1_11target_archE942ELNS1_3gpuE9ELNS1_3repE0EEENS1_30default_config_static_selectorELNS0_4arch9wavefront6targetE1EEEvT1_, .Lfunc_end1277-_ZN7rocprim17ROCPRIM_400000_NS6detail17trampoline_kernelINS0_14default_configENS1_20scan_config_selectorIsEEZZNS1_9scan_implILNS1_25lookback_scan_determinismE0ELb0ELb1ES3_N6thrust23THRUST_200600_302600_NS6detail15normal_iteratorINS9_10device_ptrIsEEEESE_sNS9_4plusIsEEsEEDaPvRmT3_T4_T5_mT6_P12ihipStream_tbENKUlT_T0_E_clISt17integral_constantIbLb0EESU_EEDaSP_SQ_EUlSP_E0_NS1_11comp_targetILNS1_3genE5ELNS1_11target_archE942ELNS1_3gpuE9ELNS1_3repE0EEENS1_30default_config_static_selectorELNS0_4arch9wavefront6targetE1EEEvT1_
                                        ; -- End function
	.section	.AMDGPU.csdata,"",@progbits
; Kernel info:
; codeLenInByte = 0
; NumSgprs: 4
; NumVgprs: 0
; NumAgprs: 0
; TotalNumVgprs: 0
; ScratchSize: 0
; MemoryBound: 0
; FloatMode: 240
; IeeeMode: 1
; LDSByteSize: 0 bytes/workgroup (compile time only)
; SGPRBlocks: 0
; VGPRBlocks: 0
; NumSGPRsForWavesPerEU: 4
; NumVGPRsForWavesPerEU: 1
; AccumOffset: 4
; Occupancy: 8
; WaveLimiterHint : 0
; COMPUTE_PGM_RSRC2:SCRATCH_EN: 0
; COMPUTE_PGM_RSRC2:USER_SGPR: 6
; COMPUTE_PGM_RSRC2:TRAP_HANDLER: 0
; COMPUTE_PGM_RSRC2:TGID_X_EN: 1
; COMPUTE_PGM_RSRC2:TGID_Y_EN: 0
; COMPUTE_PGM_RSRC2:TGID_Z_EN: 0
; COMPUTE_PGM_RSRC2:TIDIG_COMP_CNT: 0
; COMPUTE_PGM_RSRC3_GFX90A:ACCUM_OFFSET: 0
; COMPUTE_PGM_RSRC3_GFX90A:TG_SPLIT: 0
	.section	.text._ZN7rocprim17ROCPRIM_400000_NS6detail17trampoline_kernelINS0_14default_configENS1_20scan_config_selectorIsEEZZNS1_9scan_implILNS1_25lookback_scan_determinismE0ELb0ELb1ES3_N6thrust23THRUST_200600_302600_NS6detail15normal_iteratorINS9_10device_ptrIsEEEESE_sNS9_4plusIsEEsEEDaPvRmT3_T4_T5_mT6_P12ihipStream_tbENKUlT_T0_E_clISt17integral_constantIbLb0EESU_EEDaSP_SQ_EUlSP_E0_NS1_11comp_targetILNS1_3genE4ELNS1_11target_archE910ELNS1_3gpuE8ELNS1_3repE0EEENS1_30default_config_static_selectorELNS0_4arch9wavefront6targetE1EEEvT1_,"axG",@progbits,_ZN7rocprim17ROCPRIM_400000_NS6detail17trampoline_kernelINS0_14default_configENS1_20scan_config_selectorIsEEZZNS1_9scan_implILNS1_25lookback_scan_determinismE0ELb0ELb1ES3_N6thrust23THRUST_200600_302600_NS6detail15normal_iteratorINS9_10device_ptrIsEEEESE_sNS9_4plusIsEEsEEDaPvRmT3_T4_T5_mT6_P12ihipStream_tbENKUlT_T0_E_clISt17integral_constantIbLb0EESU_EEDaSP_SQ_EUlSP_E0_NS1_11comp_targetILNS1_3genE4ELNS1_11target_archE910ELNS1_3gpuE8ELNS1_3repE0EEENS1_30default_config_static_selectorELNS0_4arch9wavefront6targetE1EEEvT1_,comdat
	.protected	_ZN7rocprim17ROCPRIM_400000_NS6detail17trampoline_kernelINS0_14default_configENS1_20scan_config_selectorIsEEZZNS1_9scan_implILNS1_25lookback_scan_determinismE0ELb0ELb1ES3_N6thrust23THRUST_200600_302600_NS6detail15normal_iteratorINS9_10device_ptrIsEEEESE_sNS9_4plusIsEEsEEDaPvRmT3_T4_T5_mT6_P12ihipStream_tbENKUlT_T0_E_clISt17integral_constantIbLb0EESU_EEDaSP_SQ_EUlSP_E0_NS1_11comp_targetILNS1_3genE4ELNS1_11target_archE910ELNS1_3gpuE8ELNS1_3repE0EEENS1_30default_config_static_selectorELNS0_4arch9wavefront6targetE1EEEvT1_ ; -- Begin function _ZN7rocprim17ROCPRIM_400000_NS6detail17trampoline_kernelINS0_14default_configENS1_20scan_config_selectorIsEEZZNS1_9scan_implILNS1_25lookback_scan_determinismE0ELb0ELb1ES3_N6thrust23THRUST_200600_302600_NS6detail15normal_iteratorINS9_10device_ptrIsEEEESE_sNS9_4plusIsEEsEEDaPvRmT3_T4_T5_mT6_P12ihipStream_tbENKUlT_T0_E_clISt17integral_constantIbLb0EESU_EEDaSP_SQ_EUlSP_E0_NS1_11comp_targetILNS1_3genE4ELNS1_11target_archE910ELNS1_3gpuE8ELNS1_3repE0EEENS1_30default_config_static_selectorELNS0_4arch9wavefront6targetE1EEEvT1_
	.globl	_ZN7rocprim17ROCPRIM_400000_NS6detail17trampoline_kernelINS0_14default_configENS1_20scan_config_selectorIsEEZZNS1_9scan_implILNS1_25lookback_scan_determinismE0ELb0ELb1ES3_N6thrust23THRUST_200600_302600_NS6detail15normal_iteratorINS9_10device_ptrIsEEEESE_sNS9_4plusIsEEsEEDaPvRmT3_T4_T5_mT6_P12ihipStream_tbENKUlT_T0_E_clISt17integral_constantIbLb0EESU_EEDaSP_SQ_EUlSP_E0_NS1_11comp_targetILNS1_3genE4ELNS1_11target_archE910ELNS1_3gpuE8ELNS1_3repE0EEENS1_30default_config_static_selectorELNS0_4arch9wavefront6targetE1EEEvT1_
	.p2align	8
	.type	_ZN7rocprim17ROCPRIM_400000_NS6detail17trampoline_kernelINS0_14default_configENS1_20scan_config_selectorIsEEZZNS1_9scan_implILNS1_25lookback_scan_determinismE0ELb0ELb1ES3_N6thrust23THRUST_200600_302600_NS6detail15normal_iteratorINS9_10device_ptrIsEEEESE_sNS9_4plusIsEEsEEDaPvRmT3_T4_T5_mT6_P12ihipStream_tbENKUlT_T0_E_clISt17integral_constantIbLb0EESU_EEDaSP_SQ_EUlSP_E0_NS1_11comp_targetILNS1_3genE4ELNS1_11target_archE910ELNS1_3gpuE8ELNS1_3repE0EEENS1_30default_config_static_selectorELNS0_4arch9wavefront6targetE1EEEvT1_,@function
_ZN7rocprim17ROCPRIM_400000_NS6detail17trampoline_kernelINS0_14default_configENS1_20scan_config_selectorIsEEZZNS1_9scan_implILNS1_25lookback_scan_determinismE0ELb0ELb1ES3_N6thrust23THRUST_200600_302600_NS6detail15normal_iteratorINS9_10device_ptrIsEEEESE_sNS9_4plusIsEEsEEDaPvRmT3_T4_T5_mT6_P12ihipStream_tbENKUlT_T0_E_clISt17integral_constantIbLb0EESU_EEDaSP_SQ_EUlSP_E0_NS1_11comp_targetILNS1_3genE4ELNS1_11target_archE910ELNS1_3gpuE8ELNS1_3repE0EEENS1_30default_config_static_selectorELNS0_4arch9wavefront6targetE1EEEvT1_: ; @_ZN7rocprim17ROCPRIM_400000_NS6detail17trampoline_kernelINS0_14default_configENS1_20scan_config_selectorIsEEZZNS1_9scan_implILNS1_25lookback_scan_determinismE0ELb0ELb1ES3_N6thrust23THRUST_200600_302600_NS6detail15normal_iteratorINS9_10device_ptrIsEEEESE_sNS9_4plusIsEEsEEDaPvRmT3_T4_T5_mT6_P12ihipStream_tbENKUlT_T0_E_clISt17integral_constantIbLb0EESU_EEDaSP_SQ_EUlSP_E0_NS1_11comp_targetILNS1_3genE4ELNS1_11target_archE910ELNS1_3gpuE8ELNS1_3repE0EEENS1_30default_config_static_selectorELNS0_4arch9wavefront6targetE1EEEvT1_
; %bb.0:
	s_load_dwordx4 s[52:55], s[4:5], 0x0
	v_mov_b32_e32 v1, 0
	v_lshlrev_b32_e32 v14, 1, v0
	s_waitcnt lgkmcnt(0)
	global_load_ushort v2, v1, s[52:53]
	v_cmp_gt_u32_e32 vcc, s54, v0
	s_waitcnt vmcnt(0)
	v_mov_b32_e32 v3, v2
	s_and_saveexec_b64 s[0:1], vcc
	s_cbranch_execz .LBB1278_2
; %bb.1:
	global_load_ushort v3, v14, s[52:53]
.LBB1278_2:
	s_or_b64 exec, exec, s[0:1]
	v_or_b32_e32 v1, 64, v0
	v_cmp_gt_u32_e64 s[0:1], s54, v1
	v_mov_b32_e32 v4, v2
	s_and_saveexec_b64 s[2:3], s[0:1]
	s_cbranch_execz .LBB1278_4
; %bb.3:
	global_load_ushort v4, v14, s[52:53] offset:128
.LBB1278_4:
	s_or_b64 exec, exec, s[2:3]
	v_or_b32_e32 v1, 0x80, v0
	v_cmp_gt_u32_e64 s[2:3], s54, v1
	v_mov_b32_e32 v5, v2
	s_and_saveexec_b64 s[6:7], s[2:3]
	s_cbranch_execz .LBB1278_6
; %bb.5:
	global_load_ushort v5, v14, s[52:53] offset:256
.LBB1278_6:
	;; [unrolled: 9-line block ×22, first 2 shown]
	s_or_b64 exec, exec, s[46:47]
	v_or_b32_e32 v1, 0x5c0, v0
	v_cmp_gt_u32_e64 s[46:47], s54, v1
	v_cmp_le_u32_e64 s[50:51], s54, v1
	s_and_saveexec_b64 s[54:55], s[50:51]
	s_xor_b64 s[50:51], exec, s[54:55]
; %bb.47:
	v_mov_b32_e32 v1, 0
; %bb.48:
	s_andn2_saveexec_b64 s[50:51], s[50:51]
	s_cbranch_execz .LBB1278_50
; %bb.49:
	global_load_ushort v2, v14, s[52:53] offset:2944
	v_mov_b32_e32 v1, 0
.LBB1278_50:
	s_or_b64 exec, exec, s[50:51]
	s_waitcnt vmcnt(0)
	ds_write_b16 v14, v3
	ds_write_b16 v14, v4 offset:128
	ds_write_b16 v14, v5 offset:256
	;; [unrolled: 1-line block ×23, first 2 shown]
	v_mad_u32_u24 v2, v0, 46, v14
	s_waitcnt lgkmcnt(0)
	; wave barrier
	s_waitcnt lgkmcnt(0)
	ds_read_b128 v[6:9], v2
	ds_read_b128 v[10:13], v2 offset:16
	ds_read_b128 v[2:5], v2 offset:32
	s_load_dwordx2 s[52:53], s[4:5], 0x18
	s_waitcnt lgkmcnt(0)
	v_add_u16_sdwa v15, v6, v6 dst_sel:DWORD dst_unused:UNUSED_PAD src0_sel:WORD_1 src1_sel:DWORD
	v_add_u16_e32 v16, v15, v7
	v_add_u16_sdwa v17, v16, v7 dst_sel:DWORD dst_unused:UNUSED_PAD src0_sel:DWORD src1_sel:WORD_1
	v_add_u16_e32 v18, v17, v8
	v_add_u16_sdwa v19, v18, v8 dst_sel:DWORD dst_unused:UNUSED_PAD src0_sel:DWORD src1_sel:WORD_1
	;; [unrolled: 2-line block ×11, first 2 shown]
	v_mbcnt_lo_u32_b32 v36, -1, 0
	v_mbcnt_hi_u32_b32 v36, -1, v36
	v_and_b32_e32 v38, 15, v36
	v_mov_b32_dpp v39, v37 row_shr:1 row_mask:0xf bank_mask:0xf
	v_cmp_ne_u32_e64 s[50:51], 0, v38
	v_cndmask_b32_e64 v39, 0, v39, s[50:51]
	v_add_u16_e32 v37, v39, v37
	v_cmp_lt_u32_e64 s[50:51], 1, v38
	; wave barrier
	s_nop 0
	v_mov_b32_dpp v39, v37 row_shr:2 row_mask:0xf bank_mask:0xf
	v_cndmask_b32_e64 v39, 0, v39, s[50:51]
	v_add_u16_e32 v37, v37, v39
	v_cmp_lt_u32_e64 s[50:51], 3, v38
	s_nop 0
	v_mov_b32_dpp v39, v37 row_shr:4 row_mask:0xf bank_mask:0xf
	v_cndmask_b32_e64 v39, 0, v39, s[50:51]
	v_add_u16_e32 v37, v37, v39
	v_cmp_lt_u32_e64 s[50:51], 7, v38
	s_nop 0
	v_mov_b32_dpp v39, v37 row_shr:8 row_mask:0xf bank_mask:0xf
	v_cndmask_b32_e64 v38, 0, v39, s[50:51]
	v_add_u16_e32 v37, v37, v38
	v_and_b32_e32 v39, 16, v36
	v_cmp_ne_u32_e64 s[50:51], 0, v39
	v_mov_b32_dpp v38, v37 row_bcast:15 row_mask:0xf bank_mask:0xf
	v_cndmask_b32_e64 v38, 0, v38, s[50:51]
	v_add_u16_e32 v37, v37, v38
	v_cmp_lt_u32_e64 s[50:51], 31, v36
	s_nop 0
	v_mov_b32_dpp v38, v37 row_bcast:31 row_mask:0xf bank_mask:0xf
	v_cndmask_b32_e64 v38, 0, v38, s[50:51]
	v_add_u16_e32 v37, v37, v38
	v_cmp_eq_u32_e64 s[50:51], 63, v0
	s_and_saveexec_b64 s[54:55], s[50:51]
	s_cbranch_execz .LBB1278_52
; %bb.51:
	v_mov_b32_e32 v38, 0
	ds_write_b16 v38, v37
.LBB1278_52:
	s_or_b64 exec, exec, s[54:55]
	v_add_u32_e32 v38, -1, v36
	v_and_b32_e32 v39, 64, v36
	s_load_dword s33, s[4:5], 0x10
	v_cmp_lt_i32_e64 s[4:5], v38, v39
	v_cndmask_b32_e64 v36, v38, v36, s[4:5]
	v_lshlrev_b32_e32 v36, 2, v36
	ds_bpermute_b32 v37, v36, v37
	v_mul_u32_u24_e32 v36, 46, v0
	v_cmp_ne_u32_e64 s[4:5], 0, v0
	s_waitcnt lgkmcnt(0)
	; wave barrier
	s_waitcnt lgkmcnt(0)
	s_and_saveexec_b64 s[50:51], s[4:5]
	s_cbranch_execz .LBB1278_54
; %bb.53:
	v_add_u16_e32 v37, v6, v37
	v_add_u16_sdwa v15, v37, v6 dst_sel:DWORD dst_unused:UNUSED_PAD src0_sel:DWORD src1_sel:WORD_1
	v_add_u16_e32 v16, v15, v7
	v_add_u16_sdwa v17, v16, v7 dst_sel:DWORD dst_unused:UNUSED_PAD src0_sel:DWORD src1_sel:WORD_1
	;; [unrolled: 2-line block ×11, first 2 shown]
	v_mov_b32_e32 v6, v37
	;;#ASMSTART
	;;#ASMEND
.LBB1278_54:
	s_or_b64 exec, exec, s[50:51]
	v_add_u16_e32 v2, s33, v6
	v_add_u16_e32 v6, s33, v15
	;; [unrolled: 1-line block ×12, first 2 shown]
	s_mov_b32 s4, 0x5040100
	v_add_u16_e32 v11, s33, v22
	v_add_u16_e32 v12, s33, v23
	;; [unrolled: 1-line block ×6, first 2 shown]
	v_add_u16_sdwa v27, v26, v5 dst_sel:DWORD dst_unused:UNUSED_PAD src0_sel:DWORD src1_sel:WORD_1
	v_add_u32_e32 v28, v14, v36
	v_perm_b32 v5, v10, v9, s4
	v_perm_b32 v4, v8, v4, s4
	;; [unrolled: 1-line block ×4, first 2 shown]
	v_add_u16_e32 v20, s33, v30
	v_add_u16_e32 v21, s33, v31
	;; [unrolled: 1-line block ×5, first 2 shown]
	s_waitcnt lgkmcnt(0)
	; wave barrier
	ds_write_b128 v28, v[2:5]
	v_perm_b32 v5, v19, v18, s4
	v_perm_b32 v4, v17, v16, s4
	;; [unrolled: 1-line block ×4, first 2 shown]
	ds_write_b128 v28, v[2:5] offset:16
	v_perm_b32 v4, v25, v24, s4
	v_perm_b32 v3, v23, v22, s4
	;; [unrolled: 1-line block ×4, first 2 shown]
	ds_write_b128 v28, v[2:5] offset:32
	s_waitcnt lgkmcnt(0)
	; wave barrier
	s_waitcnt lgkmcnt(0)
	ds_read_u16 v25, v14 offset:128
	ds_read_u16 v24, v14 offset:256
	;; [unrolled: 1-line block ×23, first 2 shown]
	v_lshlrev_b64 v[0:1], 1, v[0:1]
	v_mov_b32_e32 v26, s53
	v_add_co_u32_e64 v0, s[4:5], s52, v0
	v_addc_co_u32_e64 v1, s[4:5], v26, v1, s[4:5]
	s_and_saveexec_b64 s[4:5], vcc
	s_cbranch_execnz .LBB1278_79
; %bb.55:
	s_or_b64 exec, exec, s[4:5]
	s_and_saveexec_b64 s[4:5], s[0:1]
	s_cbranch_execnz .LBB1278_80
.LBB1278_56:
	s_or_b64 exec, exec, s[4:5]
	s_and_saveexec_b64 s[0:1], s[2:3]
	s_cbranch_execnz .LBB1278_81
.LBB1278_57:
	s_or_b64 exec, exec, s[0:1]
	s_and_saveexec_b64 s[0:1], s[48:49]
	s_cbranch_execnz .LBB1278_82
.LBB1278_58:
	s_or_b64 exec, exec, s[0:1]
	s_and_saveexec_b64 s[0:1], s[6:7]
	s_cbranch_execnz .LBB1278_83
.LBB1278_59:
	s_or_b64 exec, exec, s[0:1]
	s_and_saveexec_b64 s[0:1], s[8:9]
	s_cbranch_execnz .LBB1278_84
.LBB1278_60:
	s_or_b64 exec, exec, s[0:1]
	s_and_saveexec_b64 s[0:1], s[10:11]
	s_cbranch_execnz .LBB1278_85
.LBB1278_61:
	s_or_b64 exec, exec, s[0:1]
	s_and_saveexec_b64 s[0:1], s[12:13]
	s_cbranch_execnz .LBB1278_86
.LBB1278_62:
	s_or_b64 exec, exec, s[0:1]
	s_and_saveexec_b64 s[0:1], s[14:15]
	s_cbranch_execnz .LBB1278_87
.LBB1278_63:
	s_or_b64 exec, exec, s[0:1]
	s_and_saveexec_b64 s[0:1], s[16:17]
	s_cbranch_execnz .LBB1278_88
.LBB1278_64:
	s_or_b64 exec, exec, s[0:1]
	s_and_saveexec_b64 s[0:1], s[18:19]
	s_cbranch_execnz .LBB1278_89
.LBB1278_65:
	s_or_b64 exec, exec, s[0:1]
	s_and_saveexec_b64 s[0:1], s[20:21]
	s_cbranch_execnz .LBB1278_90
.LBB1278_66:
	s_or_b64 exec, exec, s[0:1]
	s_and_saveexec_b64 s[0:1], s[22:23]
	s_cbranch_execnz .LBB1278_91
.LBB1278_67:
	s_or_b64 exec, exec, s[0:1]
	s_and_saveexec_b64 s[0:1], s[24:25]
	s_cbranch_execnz .LBB1278_92
.LBB1278_68:
	s_or_b64 exec, exec, s[0:1]
	s_and_saveexec_b64 s[0:1], s[26:27]
	s_cbranch_execnz .LBB1278_93
.LBB1278_69:
	s_or_b64 exec, exec, s[0:1]
	s_and_saveexec_b64 s[0:1], s[28:29]
	s_cbranch_execnz .LBB1278_94
.LBB1278_70:
	s_or_b64 exec, exec, s[0:1]
	s_and_saveexec_b64 s[0:1], s[30:31]
	s_cbranch_execnz .LBB1278_95
.LBB1278_71:
	s_or_b64 exec, exec, s[0:1]
	s_and_saveexec_b64 s[0:1], s[34:35]
	s_cbranch_execnz .LBB1278_96
.LBB1278_72:
	s_or_b64 exec, exec, s[0:1]
	s_and_saveexec_b64 s[0:1], s[36:37]
	s_cbranch_execnz .LBB1278_97
.LBB1278_73:
	s_or_b64 exec, exec, s[0:1]
	s_and_saveexec_b64 s[0:1], s[38:39]
	s_cbranch_execnz .LBB1278_98
.LBB1278_74:
	s_or_b64 exec, exec, s[0:1]
	s_and_saveexec_b64 s[0:1], s[40:41]
	s_cbranch_execnz .LBB1278_99
.LBB1278_75:
	s_or_b64 exec, exec, s[0:1]
	s_and_saveexec_b64 s[0:1], s[42:43]
	s_cbranch_execnz .LBB1278_100
.LBB1278_76:
	s_or_b64 exec, exec, s[0:1]
	s_and_saveexec_b64 s[0:1], s[44:45]
	s_cbranch_execnz .LBB1278_101
.LBB1278_77:
	s_or_b64 exec, exec, s[0:1]
	s_and_saveexec_b64 s[0:1], s[46:47]
	s_cbranch_execnz .LBB1278_102
.LBB1278_78:
	s_endpgm
.LBB1278_79:
	ds_read_u16 v14, v14
	s_waitcnt lgkmcnt(0)
	global_store_short v[0:1], v14, off
	s_or_b64 exec, exec, s[4:5]
	s_and_saveexec_b64 s[4:5], s[0:1]
	s_cbranch_execz .LBB1278_56
.LBB1278_80:
	s_waitcnt lgkmcnt(14)
	global_store_short v[0:1], v25, off offset:128
	s_or_b64 exec, exec, s[4:5]
	s_and_saveexec_b64 s[0:1], s[2:3]
	s_cbranch_execz .LBB1278_57
.LBB1278_81:
	s_waitcnt lgkmcnt(14)
	global_store_short v[0:1], v24, off offset:256
	s_or_b64 exec, exec, s[0:1]
	s_and_saveexec_b64 s[0:1], s[48:49]
	s_cbranch_execz .LBB1278_58
.LBB1278_82:
	s_waitcnt lgkmcnt(14)
	global_store_short v[0:1], v23, off offset:384
	s_or_b64 exec, exec, s[0:1]
	s_and_saveexec_b64 s[0:1], s[6:7]
	s_cbranch_execz .LBB1278_59
.LBB1278_83:
	s_waitcnt lgkmcnt(14)
	global_store_short v[0:1], v22, off offset:512
	s_or_b64 exec, exec, s[0:1]
	s_and_saveexec_b64 s[0:1], s[8:9]
	s_cbranch_execz .LBB1278_60
.LBB1278_84:
	s_waitcnt lgkmcnt(14)
	global_store_short v[0:1], v21, off offset:640
	s_or_b64 exec, exec, s[0:1]
	s_and_saveexec_b64 s[0:1], s[10:11]
	s_cbranch_execz .LBB1278_61
.LBB1278_85:
	s_waitcnt lgkmcnt(14)
	global_store_short v[0:1], v20, off offset:768
	s_or_b64 exec, exec, s[0:1]
	s_and_saveexec_b64 s[0:1], s[12:13]
	s_cbranch_execz .LBB1278_62
.LBB1278_86:
	s_waitcnt lgkmcnt(14)
	global_store_short v[0:1], v19, off offset:896
	s_or_b64 exec, exec, s[0:1]
	s_and_saveexec_b64 s[0:1], s[14:15]
	s_cbranch_execz .LBB1278_63
.LBB1278_87:
	s_waitcnt lgkmcnt(14)
	global_store_short v[0:1], v18, off offset:1024
	s_or_b64 exec, exec, s[0:1]
	s_and_saveexec_b64 s[0:1], s[16:17]
	s_cbranch_execz .LBB1278_64
.LBB1278_88:
	s_waitcnt lgkmcnt(14)
	global_store_short v[0:1], v17, off offset:1152
	s_or_b64 exec, exec, s[0:1]
	s_and_saveexec_b64 s[0:1], s[18:19]
	s_cbranch_execz .LBB1278_65
.LBB1278_89:
	s_waitcnt lgkmcnt(13)
	global_store_short v[0:1], v16, off offset:1280
	s_or_b64 exec, exec, s[0:1]
	s_and_saveexec_b64 s[0:1], s[20:21]
	s_cbranch_execz .LBB1278_66
.LBB1278_90:
	s_waitcnt lgkmcnt(12)
	global_store_short v[0:1], v15, off offset:1408
	s_or_b64 exec, exec, s[0:1]
	s_and_saveexec_b64 s[0:1], s[22:23]
	s_cbranch_execz .LBB1278_67
.LBB1278_91:
	s_waitcnt lgkmcnt(11)
	global_store_short v[0:1], v13, off offset:1536
	s_or_b64 exec, exec, s[0:1]
	s_and_saveexec_b64 s[0:1], s[24:25]
	s_cbranch_execz .LBB1278_68
.LBB1278_92:
	s_waitcnt lgkmcnt(10)
	global_store_short v[0:1], v12, off offset:1664
	s_or_b64 exec, exec, s[0:1]
	s_and_saveexec_b64 s[0:1], s[26:27]
	s_cbranch_execz .LBB1278_69
.LBB1278_93:
	s_waitcnt lgkmcnt(9)
	global_store_short v[0:1], v11, off offset:1792
	s_or_b64 exec, exec, s[0:1]
	s_and_saveexec_b64 s[0:1], s[28:29]
	s_cbranch_execz .LBB1278_70
.LBB1278_94:
	s_waitcnt lgkmcnt(8)
	global_store_short v[0:1], v10, off offset:1920
	s_or_b64 exec, exec, s[0:1]
	s_and_saveexec_b64 s[0:1], s[30:31]
	s_cbranch_execz .LBB1278_71
.LBB1278_95:
	s_waitcnt lgkmcnt(7)
	global_store_short v[0:1], v9, off offset:2048
	s_or_b64 exec, exec, s[0:1]
	s_and_saveexec_b64 s[0:1], s[34:35]
	s_cbranch_execz .LBB1278_72
.LBB1278_96:
	s_waitcnt lgkmcnt(6)
	global_store_short v[0:1], v8, off offset:2176
	s_or_b64 exec, exec, s[0:1]
	s_and_saveexec_b64 s[0:1], s[36:37]
	s_cbranch_execz .LBB1278_73
.LBB1278_97:
	s_waitcnt lgkmcnt(5)
	global_store_short v[0:1], v7, off offset:2304
	s_or_b64 exec, exec, s[0:1]
	s_and_saveexec_b64 s[0:1], s[38:39]
	s_cbranch_execz .LBB1278_74
.LBB1278_98:
	s_waitcnt lgkmcnt(4)
	global_store_short v[0:1], v6, off offset:2432
	s_or_b64 exec, exec, s[0:1]
	s_and_saveexec_b64 s[0:1], s[40:41]
	s_cbranch_execz .LBB1278_75
.LBB1278_99:
	s_waitcnt lgkmcnt(3)
	global_store_short v[0:1], v5, off offset:2560
	s_or_b64 exec, exec, s[0:1]
	s_and_saveexec_b64 s[0:1], s[42:43]
	s_cbranch_execz .LBB1278_76
.LBB1278_100:
	s_waitcnt lgkmcnt(2)
	global_store_short v[0:1], v4, off offset:2688
	s_or_b64 exec, exec, s[0:1]
	s_and_saveexec_b64 s[0:1], s[44:45]
	s_cbranch_execz .LBB1278_77
.LBB1278_101:
	s_waitcnt lgkmcnt(1)
	global_store_short v[0:1], v3, off offset:2816
	s_or_b64 exec, exec, s[0:1]
	s_and_saveexec_b64 s[0:1], s[46:47]
	s_cbranch_execz .LBB1278_78
.LBB1278_102:
	s_waitcnt lgkmcnt(0)
	global_store_short v[0:1], v2, off offset:2944
	s_endpgm
	.section	.rodata,"a",@progbits
	.p2align	6, 0x0
	.amdhsa_kernel _ZN7rocprim17ROCPRIM_400000_NS6detail17trampoline_kernelINS0_14default_configENS1_20scan_config_selectorIsEEZZNS1_9scan_implILNS1_25lookback_scan_determinismE0ELb0ELb1ES3_N6thrust23THRUST_200600_302600_NS6detail15normal_iteratorINS9_10device_ptrIsEEEESE_sNS9_4plusIsEEsEEDaPvRmT3_T4_T5_mT6_P12ihipStream_tbENKUlT_T0_E_clISt17integral_constantIbLb0EESU_EEDaSP_SQ_EUlSP_E0_NS1_11comp_targetILNS1_3genE4ELNS1_11target_archE910ELNS1_3gpuE8ELNS1_3repE0EEENS1_30default_config_static_selectorELNS0_4arch9wavefront6targetE1EEEvT1_
		.amdhsa_group_segment_fixed_size 3072
		.amdhsa_private_segment_fixed_size 0
		.amdhsa_kernarg_size 32
		.amdhsa_user_sgpr_count 6
		.amdhsa_user_sgpr_private_segment_buffer 1
		.amdhsa_user_sgpr_dispatch_ptr 0
		.amdhsa_user_sgpr_queue_ptr 0
		.amdhsa_user_sgpr_kernarg_segment_ptr 1
		.amdhsa_user_sgpr_dispatch_id 0
		.amdhsa_user_sgpr_flat_scratch_init 0
		.amdhsa_user_sgpr_kernarg_preload_length 0
		.amdhsa_user_sgpr_kernarg_preload_offset 0
		.amdhsa_user_sgpr_private_segment_size 0
		.amdhsa_uses_dynamic_stack 0
		.amdhsa_system_sgpr_private_segment_wavefront_offset 0
		.amdhsa_system_sgpr_workgroup_id_x 1
		.amdhsa_system_sgpr_workgroup_id_y 0
		.amdhsa_system_sgpr_workgroup_id_z 0
		.amdhsa_system_sgpr_workgroup_info 0
		.amdhsa_system_vgpr_workitem_id 0
		.amdhsa_next_free_vgpr 40
		.amdhsa_next_free_sgpr 56
		.amdhsa_accum_offset 40
		.amdhsa_reserve_vcc 1
		.amdhsa_reserve_flat_scratch 0
		.amdhsa_float_round_mode_32 0
		.amdhsa_float_round_mode_16_64 0
		.amdhsa_float_denorm_mode_32 3
		.amdhsa_float_denorm_mode_16_64 3
		.amdhsa_dx10_clamp 1
		.amdhsa_ieee_mode 1
		.amdhsa_fp16_overflow 0
		.amdhsa_tg_split 0
		.amdhsa_exception_fp_ieee_invalid_op 0
		.amdhsa_exception_fp_denorm_src 0
		.amdhsa_exception_fp_ieee_div_zero 0
		.amdhsa_exception_fp_ieee_overflow 0
		.amdhsa_exception_fp_ieee_underflow 0
		.amdhsa_exception_fp_ieee_inexact 0
		.amdhsa_exception_int_div_zero 0
	.end_amdhsa_kernel
	.section	.text._ZN7rocprim17ROCPRIM_400000_NS6detail17trampoline_kernelINS0_14default_configENS1_20scan_config_selectorIsEEZZNS1_9scan_implILNS1_25lookback_scan_determinismE0ELb0ELb1ES3_N6thrust23THRUST_200600_302600_NS6detail15normal_iteratorINS9_10device_ptrIsEEEESE_sNS9_4plusIsEEsEEDaPvRmT3_T4_T5_mT6_P12ihipStream_tbENKUlT_T0_E_clISt17integral_constantIbLb0EESU_EEDaSP_SQ_EUlSP_E0_NS1_11comp_targetILNS1_3genE4ELNS1_11target_archE910ELNS1_3gpuE8ELNS1_3repE0EEENS1_30default_config_static_selectorELNS0_4arch9wavefront6targetE1EEEvT1_,"axG",@progbits,_ZN7rocprim17ROCPRIM_400000_NS6detail17trampoline_kernelINS0_14default_configENS1_20scan_config_selectorIsEEZZNS1_9scan_implILNS1_25lookback_scan_determinismE0ELb0ELb1ES3_N6thrust23THRUST_200600_302600_NS6detail15normal_iteratorINS9_10device_ptrIsEEEESE_sNS9_4plusIsEEsEEDaPvRmT3_T4_T5_mT6_P12ihipStream_tbENKUlT_T0_E_clISt17integral_constantIbLb0EESU_EEDaSP_SQ_EUlSP_E0_NS1_11comp_targetILNS1_3genE4ELNS1_11target_archE910ELNS1_3gpuE8ELNS1_3repE0EEENS1_30default_config_static_selectorELNS0_4arch9wavefront6targetE1EEEvT1_,comdat
.Lfunc_end1278:
	.size	_ZN7rocprim17ROCPRIM_400000_NS6detail17trampoline_kernelINS0_14default_configENS1_20scan_config_selectorIsEEZZNS1_9scan_implILNS1_25lookback_scan_determinismE0ELb0ELb1ES3_N6thrust23THRUST_200600_302600_NS6detail15normal_iteratorINS9_10device_ptrIsEEEESE_sNS9_4plusIsEEsEEDaPvRmT3_T4_T5_mT6_P12ihipStream_tbENKUlT_T0_E_clISt17integral_constantIbLb0EESU_EEDaSP_SQ_EUlSP_E0_NS1_11comp_targetILNS1_3genE4ELNS1_11target_archE910ELNS1_3gpuE8ELNS1_3repE0EEENS1_30default_config_static_selectorELNS0_4arch9wavefront6targetE1EEEvT1_, .Lfunc_end1278-_ZN7rocprim17ROCPRIM_400000_NS6detail17trampoline_kernelINS0_14default_configENS1_20scan_config_selectorIsEEZZNS1_9scan_implILNS1_25lookback_scan_determinismE0ELb0ELb1ES3_N6thrust23THRUST_200600_302600_NS6detail15normal_iteratorINS9_10device_ptrIsEEEESE_sNS9_4plusIsEEsEEDaPvRmT3_T4_T5_mT6_P12ihipStream_tbENKUlT_T0_E_clISt17integral_constantIbLb0EESU_EEDaSP_SQ_EUlSP_E0_NS1_11comp_targetILNS1_3genE4ELNS1_11target_archE910ELNS1_3gpuE8ELNS1_3repE0EEENS1_30default_config_static_selectorELNS0_4arch9wavefront6targetE1EEEvT1_
                                        ; -- End function
	.section	.AMDGPU.csdata,"",@progbits
; Kernel info:
; codeLenInByte = 3156
; NumSgprs: 60
; NumVgprs: 40
; NumAgprs: 0
; TotalNumVgprs: 40
; ScratchSize: 0
; MemoryBound: 0
; FloatMode: 240
; IeeeMode: 1
; LDSByteSize: 3072 bytes/workgroup (compile time only)
; SGPRBlocks: 7
; VGPRBlocks: 4
; NumSGPRsForWavesPerEU: 60
; NumVGPRsForWavesPerEU: 40
; AccumOffset: 40
; Occupancy: 6
; WaveLimiterHint : 0
; COMPUTE_PGM_RSRC2:SCRATCH_EN: 0
; COMPUTE_PGM_RSRC2:USER_SGPR: 6
; COMPUTE_PGM_RSRC2:TRAP_HANDLER: 0
; COMPUTE_PGM_RSRC2:TGID_X_EN: 1
; COMPUTE_PGM_RSRC2:TGID_Y_EN: 0
; COMPUTE_PGM_RSRC2:TGID_Z_EN: 0
; COMPUTE_PGM_RSRC2:TIDIG_COMP_CNT: 0
; COMPUTE_PGM_RSRC3_GFX90A:ACCUM_OFFSET: 9
; COMPUTE_PGM_RSRC3_GFX90A:TG_SPLIT: 0
	.section	.text._ZN7rocprim17ROCPRIM_400000_NS6detail17trampoline_kernelINS0_14default_configENS1_20scan_config_selectorIsEEZZNS1_9scan_implILNS1_25lookback_scan_determinismE0ELb0ELb1ES3_N6thrust23THRUST_200600_302600_NS6detail15normal_iteratorINS9_10device_ptrIsEEEESE_sNS9_4plusIsEEsEEDaPvRmT3_T4_T5_mT6_P12ihipStream_tbENKUlT_T0_E_clISt17integral_constantIbLb0EESU_EEDaSP_SQ_EUlSP_E0_NS1_11comp_targetILNS1_3genE3ELNS1_11target_archE908ELNS1_3gpuE7ELNS1_3repE0EEENS1_30default_config_static_selectorELNS0_4arch9wavefront6targetE1EEEvT1_,"axG",@progbits,_ZN7rocprim17ROCPRIM_400000_NS6detail17trampoline_kernelINS0_14default_configENS1_20scan_config_selectorIsEEZZNS1_9scan_implILNS1_25lookback_scan_determinismE0ELb0ELb1ES3_N6thrust23THRUST_200600_302600_NS6detail15normal_iteratorINS9_10device_ptrIsEEEESE_sNS9_4plusIsEEsEEDaPvRmT3_T4_T5_mT6_P12ihipStream_tbENKUlT_T0_E_clISt17integral_constantIbLb0EESU_EEDaSP_SQ_EUlSP_E0_NS1_11comp_targetILNS1_3genE3ELNS1_11target_archE908ELNS1_3gpuE7ELNS1_3repE0EEENS1_30default_config_static_selectorELNS0_4arch9wavefront6targetE1EEEvT1_,comdat
	.protected	_ZN7rocprim17ROCPRIM_400000_NS6detail17trampoline_kernelINS0_14default_configENS1_20scan_config_selectorIsEEZZNS1_9scan_implILNS1_25lookback_scan_determinismE0ELb0ELb1ES3_N6thrust23THRUST_200600_302600_NS6detail15normal_iteratorINS9_10device_ptrIsEEEESE_sNS9_4plusIsEEsEEDaPvRmT3_T4_T5_mT6_P12ihipStream_tbENKUlT_T0_E_clISt17integral_constantIbLb0EESU_EEDaSP_SQ_EUlSP_E0_NS1_11comp_targetILNS1_3genE3ELNS1_11target_archE908ELNS1_3gpuE7ELNS1_3repE0EEENS1_30default_config_static_selectorELNS0_4arch9wavefront6targetE1EEEvT1_ ; -- Begin function _ZN7rocprim17ROCPRIM_400000_NS6detail17trampoline_kernelINS0_14default_configENS1_20scan_config_selectorIsEEZZNS1_9scan_implILNS1_25lookback_scan_determinismE0ELb0ELb1ES3_N6thrust23THRUST_200600_302600_NS6detail15normal_iteratorINS9_10device_ptrIsEEEESE_sNS9_4plusIsEEsEEDaPvRmT3_T4_T5_mT6_P12ihipStream_tbENKUlT_T0_E_clISt17integral_constantIbLb0EESU_EEDaSP_SQ_EUlSP_E0_NS1_11comp_targetILNS1_3genE3ELNS1_11target_archE908ELNS1_3gpuE7ELNS1_3repE0EEENS1_30default_config_static_selectorELNS0_4arch9wavefront6targetE1EEEvT1_
	.globl	_ZN7rocprim17ROCPRIM_400000_NS6detail17trampoline_kernelINS0_14default_configENS1_20scan_config_selectorIsEEZZNS1_9scan_implILNS1_25lookback_scan_determinismE0ELb0ELb1ES3_N6thrust23THRUST_200600_302600_NS6detail15normal_iteratorINS9_10device_ptrIsEEEESE_sNS9_4plusIsEEsEEDaPvRmT3_T4_T5_mT6_P12ihipStream_tbENKUlT_T0_E_clISt17integral_constantIbLb0EESU_EEDaSP_SQ_EUlSP_E0_NS1_11comp_targetILNS1_3genE3ELNS1_11target_archE908ELNS1_3gpuE7ELNS1_3repE0EEENS1_30default_config_static_selectorELNS0_4arch9wavefront6targetE1EEEvT1_
	.p2align	8
	.type	_ZN7rocprim17ROCPRIM_400000_NS6detail17trampoline_kernelINS0_14default_configENS1_20scan_config_selectorIsEEZZNS1_9scan_implILNS1_25lookback_scan_determinismE0ELb0ELb1ES3_N6thrust23THRUST_200600_302600_NS6detail15normal_iteratorINS9_10device_ptrIsEEEESE_sNS9_4plusIsEEsEEDaPvRmT3_T4_T5_mT6_P12ihipStream_tbENKUlT_T0_E_clISt17integral_constantIbLb0EESU_EEDaSP_SQ_EUlSP_E0_NS1_11comp_targetILNS1_3genE3ELNS1_11target_archE908ELNS1_3gpuE7ELNS1_3repE0EEENS1_30default_config_static_selectorELNS0_4arch9wavefront6targetE1EEEvT1_,@function
_ZN7rocprim17ROCPRIM_400000_NS6detail17trampoline_kernelINS0_14default_configENS1_20scan_config_selectorIsEEZZNS1_9scan_implILNS1_25lookback_scan_determinismE0ELb0ELb1ES3_N6thrust23THRUST_200600_302600_NS6detail15normal_iteratorINS9_10device_ptrIsEEEESE_sNS9_4plusIsEEsEEDaPvRmT3_T4_T5_mT6_P12ihipStream_tbENKUlT_T0_E_clISt17integral_constantIbLb0EESU_EEDaSP_SQ_EUlSP_E0_NS1_11comp_targetILNS1_3genE3ELNS1_11target_archE908ELNS1_3gpuE7ELNS1_3repE0EEENS1_30default_config_static_selectorELNS0_4arch9wavefront6targetE1EEEvT1_: ; @_ZN7rocprim17ROCPRIM_400000_NS6detail17trampoline_kernelINS0_14default_configENS1_20scan_config_selectorIsEEZZNS1_9scan_implILNS1_25lookback_scan_determinismE0ELb0ELb1ES3_N6thrust23THRUST_200600_302600_NS6detail15normal_iteratorINS9_10device_ptrIsEEEESE_sNS9_4plusIsEEsEEDaPvRmT3_T4_T5_mT6_P12ihipStream_tbENKUlT_T0_E_clISt17integral_constantIbLb0EESU_EEDaSP_SQ_EUlSP_E0_NS1_11comp_targetILNS1_3genE3ELNS1_11target_archE908ELNS1_3gpuE7ELNS1_3repE0EEENS1_30default_config_static_selectorELNS0_4arch9wavefront6targetE1EEEvT1_
; %bb.0:
	.section	.rodata,"a",@progbits
	.p2align	6, 0x0
	.amdhsa_kernel _ZN7rocprim17ROCPRIM_400000_NS6detail17trampoline_kernelINS0_14default_configENS1_20scan_config_selectorIsEEZZNS1_9scan_implILNS1_25lookback_scan_determinismE0ELb0ELb1ES3_N6thrust23THRUST_200600_302600_NS6detail15normal_iteratorINS9_10device_ptrIsEEEESE_sNS9_4plusIsEEsEEDaPvRmT3_T4_T5_mT6_P12ihipStream_tbENKUlT_T0_E_clISt17integral_constantIbLb0EESU_EEDaSP_SQ_EUlSP_E0_NS1_11comp_targetILNS1_3genE3ELNS1_11target_archE908ELNS1_3gpuE7ELNS1_3repE0EEENS1_30default_config_static_selectorELNS0_4arch9wavefront6targetE1EEEvT1_
		.amdhsa_group_segment_fixed_size 0
		.amdhsa_private_segment_fixed_size 0
		.amdhsa_kernarg_size 32
		.amdhsa_user_sgpr_count 6
		.amdhsa_user_sgpr_private_segment_buffer 1
		.amdhsa_user_sgpr_dispatch_ptr 0
		.amdhsa_user_sgpr_queue_ptr 0
		.amdhsa_user_sgpr_kernarg_segment_ptr 1
		.amdhsa_user_sgpr_dispatch_id 0
		.amdhsa_user_sgpr_flat_scratch_init 0
		.amdhsa_user_sgpr_kernarg_preload_length 0
		.amdhsa_user_sgpr_kernarg_preload_offset 0
		.amdhsa_user_sgpr_private_segment_size 0
		.amdhsa_uses_dynamic_stack 0
		.amdhsa_system_sgpr_private_segment_wavefront_offset 0
		.amdhsa_system_sgpr_workgroup_id_x 1
		.amdhsa_system_sgpr_workgroup_id_y 0
		.amdhsa_system_sgpr_workgroup_id_z 0
		.amdhsa_system_sgpr_workgroup_info 0
		.amdhsa_system_vgpr_workitem_id 0
		.amdhsa_next_free_vgpr 1
		.amdhsa_next_free_sgpr 0
		.amdhsa_accum_offset 4
		.amdhsa_reserve_vcc 0
		.amdhsa_reserve_flat_scratch 0
		.amdhsa_float_round_mode_32 0
		.amdhsa_float_round_mode_16_64 0
		.amdhsa_float_denorm_mode_32 3
		.amdhsa_float_denorm_mode_16_64 3
		.amdhsa_dx10_clamp 1
		.amdhsa_ieee_mode 1
		.amdhsa_fp16_overflow 0
		.amdhsa_tg_split 0
		.amdhsa_exception_fp_ieee_invalid_op 0
		.amdhsa_exception_fp_denorm_src 0
		.amdhsa_exception_fp_ieee_div_zero 0
		.amdhsa_exception_fp_ieee_overflow 0
		.amdhsa_exception_fp_ieee_underflow 0
		.amdhsa_exception_fp_ieee_inexact 0
		.amdhsa_exception_int_div_zero 0
	.end_amdhsa_kernel
	.section	.text._ZN7rocprim17ROCPRIM_400000_NS6detail17trampoline_kernelINS0_14default_configENS1_20scan_config_selectorIsEEZZNS1_9scan_implILNS1_25lookback_scan_determinismE0ELb0ELb1ES3_N6thrust23THRUST_200600_302600_NS6detail15normal_iteratorINS9_10device_ptrIsEEEESE_sNS9_4plusIsEEsEEDaPvRmT3_T4_T5_mT6_P12ihipStream_tbENKUlT_T0_E_clISt17integral_constantIbLb0EESU_EEDaSP_SQ_EUlSP_E0_NS1_11comp_targetILNS1_3genE3ELNS1_11target_archE908ELNS1_3gpuE7ELNS1_3repE0EEENS1_30default_config_static_selectorELNS0_4arch9wavefront6targetE1EEEvT1_,"axG",@progbits,_ZN7rocprim17ROCPRIM_400000_NS6detail17trampoline_kernelINS0_14default_configENS1_20scan_config_selectorIsEEZZNS1_9scan_implILNS1_25lookback_scan_determinismE0ELb0ELb1ES3_N6thrust23THRUST_200600_302600_NS6detail15normal_iteratorINS9_10device_ptrIsEEEESE_sNS9_4plusIsEEsEEDaPvRmT3_T4_T5_mT6_P12ihipStream_tbENKUlT_T0_E_clISt17integral_constantIbLb0EESU_EEDaSP_SQ_EUlSP_E0_NS1_11comp_targetILNS1_3genE3ELNS1_11target_archE908ELNS1_3gpuE7ELNS1_3repE0EEENS1_30default_config_static_selectorELNS0_4arch9wavefront6targetE1EEEvT1_,comdat
.Lfunc_end1279:
	.size	_ZN7rocprim17ROCPRIM_400000_NS6detail17trampoline_kernelINS0_14default_configENS1_20scan_config_selectorIsEEZZNS1_9scan_implILNS1_25lookback_scan_determinismE0ELb0ELb1ES3_N6thrust23THRUST_200600_302600_NS6detail15normal_iteratorINS9_10device_ptrIsEEEESE_sNS9_4plusIsEEsEEDaPvRmT3_T4_T5_mT6_P12ihipStream_tbENKUlT_T0_E_clISt17integral_constantIbLb0EESU_EEDaSP_SQ_EUlSP_E0_NS1_11comp_targetILNS1_3genE3ELNS1_11target_archE908ELNS1_3gpuE7ELNS1_3repE0EEENS1_30default_config_static_selectorELNS0_4arch9wavefront6targetE1EEEvT1_, .Lfunc_end1279-_ZN7rocprim17ROCPRIM_400000_NS6detail17trampoline_kernelINS0_14default_configENS1_20scan_config_selectorIsEEZZNS1_9scan_implILNS1_25lookback_scan_determinismE0ELb0ELb1ES3_N6thrust23THRUST_200600_302600_NS6detail15normal_iteratorINS9_10device_ptrIsEEEESE_sNS9_4plusIsEEsEEDaPvRmT3_T4_T5_mT6_P12ihipStream_tbENKUlT_T0_E_clISt17integral_constantIbLb0EESU_EEDaSP_SQ_EUlSP_E0_NS1_11comp_targetILNS1_3genE3ELNS1_11target_archE908ELNS1_3gpuE7ELNS1_3repE0EEENS1_30default_config_static_selectorELNS0_4arch9wavefront6targetE1EEEvT1_
                                        ; -- End function
	.section	.AMDGPU.csdata,"",@progbits
; Kernel info:
; codeLenInByte = 0
; NumSgprs: 4
; NumVgprs: 0
; NumAgprs: 0
; TotalNumVgprs: 0
; ScratchSize: 0
; MemoryBound: 0
; FloatMode: 240
; IeeeMode: 1
; LDSByteSize: 0 bytes/workgroup (compile time only)
; SGPRBlocks: 0
; VGPRBlocks: 0
; NumSGPRsForWavesPerEU: 4
; NumVGPRsForWavesPerEU: 1
; AccumOffset: 4
; Occupancy: 8
; WaveLimiterHint : 0
; COMPUTE_PGM_RSRC2:SCRATCH_EN: 0
; COMPUTE_PGM_RSRC2:USER_SGPR: 6
; COMPUTE_PGM_RSRC2:TRAP_HANDLER: 0
; COMPUTE_PGM_RSRC2:TGID_X_EN: 1
; COMPUTE_PGM_RSRC2:TGID_Y_EN: 0
; COMPUTE_PGM_RSRC2:TGID_Z_EN: 0
; COMPUTE_PGM_RSRC2:TIDIG_COMP_CNT: 0
; COMPUTE_PGM_RSRC3_GFX90A:ACCUM_OFFSET: 0
; COMPUTE_PGM_RSRC3_GFX90A:TG_SPLIT: 0
	.section	.text._ZN7rocprim17ROCPRIM_400000_NS6detail17trampoline_kernelINS0_14default_configENS1_20scan_config_selectorIsEEZZNS1_9scan_implILNS1_25lookback_scan_determinismE0ELb0ELb1ES3_N6thrust23THRUST_200600_302600_NS6detail15normal_iteratorINS9_10device_ptrIsEEEESE_sNS9_4plusIsEEsEEDaPvRmT3_T4_T5_mT6_P12ihipStream_tbENKUlT_T0_E_clISt17integral_constantIbLb0EESU_EEDaSP_SQ_EUlSP_E0_NS1_11comp_targetILNS1_3genE2ELNS1_11target_archE906ELNS1_3gpuE6ELNS1_3repE0EEENS1_30default_config_static_selectorELNS0_4arch9wavefront6targetE1EEEvT1_,"axG",@progbits,_ZN7rocprim17ROCPRIM_400000_NS6detail17trampoline_kernelINS0_14default_configENS1_20scan_config_selectorIsEEZZNS1_9scan_implILNS1_25lookback_scan_determinismE0ELb0ELb1ES3_N6thrust23THRUST_200600_302600_NS6detail15normal_iteratorINS9_10device_ptrIsEEEESE_sNS9_4plusIsEEsEEDaPvRmT3_T4_T5_mT6_P12ihipStream_tbENKUlT_T0_E_clISt17integral_constantIbLb0EESU_EEDaSP_SQ_EUlSP_E0_NS1_11comp_targetILNS1_3genE2ELNS1_11target_archE906ELNS1_3gpuE6ELNS1_3repE0EEENS1_30default_config_static_selectorELNS0_4arch9wavefront6targetE1EEEvT1_,comdat
	.protected	_ZN7rocprim17ROCPRIM_400000_NS6detail17trampoline_kernelINS0_14default_configENS1_20scan_config_selectorIsEEZZNS1_9scan_implILNS1_25lookback_scan_determinismE0ELb0ELb1ES3_N6thrust23THRUST_200600_302600_NS6detail15normal_iteratorINS9_10device_ptrIsEEEESE_sNS9_4plusIsEEsEEDaPvRmT3_T4_T5_mT6_P12ihipStream_tbENKUlT_T0_E_clISt17integral_constantIbLb0EESU_EEDaSP_SQ_EUlSP_E0_NS1_11comp_targetILNS1_3genE2ELNS1_11target_archE906ELNS1_3gpuE6ELNS1_3repE0EEENS1_30default_config_static_selectorELNS0_4arch9wavefront6targetE1EEEvT1_ ; -- Begin function _ZN7rocprim17ROCPRIM_400000_NS6detail17trampoline_kernelINS0_14default_configENS1_20scan_config_selectorIsEEZZNS1_9scan_implILNS1_25lookback_scan_determinismE0ELb0ELb1ES3_N6thrust23THRUST_200600_302600_NS6detail15normal_iteratorINS9_10device_ptrIsEEEESE_sNS9_4plusIsEEsEEDaPvRmT3_T4_T5_mT6_P12ihipStream_tbENKUlT_T0_E_clISt17integral_constantIbLb0EESU_EEDaSP_SQ_EUlSP_E0_NS1_11comp_targetILNS1_3genE2ELNS1_11target_archE906ELNS1_3gpuE6ELNS1_3repE0EEENS1_30default_config_static_selectorELNS0_4arch9wavefront6targetE1EEEvT1_
	.globl	_ZN7rocprim17ROCPRIM_400000_NS6detail17trampoline_kernelINS0_14default_configENS1_20scan_config_selectorIsEEZZNS1_9scan_implILNS1_25lookback_scan_determinismE0ELb0ELb1ES3_N6thrust23THRUST_200600_302600_NS6detail15normal_iteratorINS9_10device_ptrIsEEEESE_sNS9_4plusIsEEsEEDaPvRmT3_T4_T5_mT6_P12ihipStream_tbENKUlT_T0_E_clISt17integral_constantIbLb0EESU_EEDaSP_SQ_EUlSP_E0_NS1_11comp_targetILNS1_3genE2ELNS1_11target_archE906ELNS1_3gpuE6ELNS1_3repE0EEENS1_30default_config_static_selectorELNS0_4arch9wavefront6targetE1EEEvT1_
	.p2align	8
	.type	_ZN7rocprim17ROCPRIM_400000_NS6detail17trampoline_kernelINS0_14default_configENS1_20scan_config_selectorIsEEZZNS1_9scan_implILNS1_25lookback_scan_determinismE0ELb0ELb1ES3_N6thrust23THRUST_200600_302600_NS6detail15normal_iteratorINS9_10device_ptrIsEEEESE_sNS9_4plusIsEEsEEDaPvRmT3_T4_T5_mT6_P12ihipStream_tbENKUlT_T0_E_clISt17integral_constantIbLb0EESU_EEDaSP_SQ_EUlSP_E0_NS1_11comp_targetILNS1_3genE2ELNS1_11target_archE906ELNS1_3gpuE6ELNS1_3repE0EEENS1_30default_config_static_selectorELNS0_4arch9wavefront6targetE1EEEvT1_,@function
_ZN7rocprim17ROCPRIM_400000_NS6detail17trampoline_kernelINS0_14default_configENS1_20scan_config_selectorIsEEZZNS1_9scan_implILNS1_25lookback_scan_determinismE0ELb0ELb1ES3_N6thrust23THRUST_200600_302600_NS6detail15normal_iteratorINS9_10device_ptrIsEEEESE_sNS9_4plusIsEEsEEDaPvRmT3_T4_T5_mT6_P12ihipStream_tbENKUlT_T0_E_clISt17integral_constantIbLb0EESU_EEDaSP_SQ_EUlSP_E0_NS1_11comp_targetILNS1_3genE2ELNS1_11target_archE906ELNS1_3gpuE6ELNS1_3repE0EEENS1_30default_config_static_selectorELNS0_4arch9wavefront6targetE1EEEvT1_: ; @_ZN7rocprim17ROCPRIM_400000_NS6detail17trampoline_kernelINS0_14default_configENS1_20scan_config_selectorIsEEZZNS1_9scan_implILNS1_25lookback_scan_determinismE0ELb0ELb1ES3_N6thrust23THRUST_200600_302600_NS6detail15normal_iteratorINS9_10device_ptrIsEEEESE_sNS9_4plusIsEEsEEDaPvRmT3_T4_T5_mT6_P12ihipStream_tbENKUlT_T0_E_clISt17integral_constantIbLb0EESU_EEDaSP_SQ_EUlSP_E0_NS1_11comp_targetILNS1_3genE2ELNS1_11target_archE906ELNS1_3gpuE6ELNS1_3repE0EEENS1_30default_config_static_selectorELNS0_4arch9wavefront6targetE1EEEvT1_
; %bb.0:
	.section	.rodata,"a",@progbits
	.p2align	6, 0x0
	.amdhsa_kernel _ZN7rocprim17ROCPRIM_400000_NS6detail17trampoline_kernelINS0_14default_configENS1_20scan_config_selectorIsEEZZNS1_9scan_implILNS1_25lookback_scan_determinismE0ELb0ELb1ES3_N6thrust23THRUST_200600_302600_NS6detail15normal_iteratorINS9_10device_ptrIsEEEESE_sNS9_4plusIsEEsEEDaPvRmT3_T4_T5_mT6_P12ihipStream_tbENKUlT_T0_E_clISt17integral_constantIbLb0EESU_EEDaSP_SQ_EUlSP_E0_NS1_11comp_targetILNS1_3genE2ELNS1_11target_archE906ELNS1_3gpuE6ELNS1_3repE0EEENS1_30default_config_static_selectorELNS0_4arch9wavefront6targetE1EEEvT1_
		.amdhsa_group_segment_fixed_size 0
		.amdhsa_private_segment_fixed_size 0
		.amdhsa_kernarg_size 32
		.amdhsa_user_sgpr_count 6
		.amdhsa_user_sgpr_private_segment_buffer 1
		.amdhsa_user_sgpr_dispatch_ptr 0
		.amdhsa_user_sgpr_queue_ptr 0
		.amdhsa_user_sgpr_kernarg_segment_ptr 1
		.amdhsa_user_sgpr_dispatch_id 0
		.amdhsa_user_sgpr_flat_scratch_init 0
		.amdhsa_user_sgpr_kernarg_preload_length 0
		.amdhsa_user_sgpr_kernarg_preload_offset 0
		.amdhsa_user_sgpr_private_segment_size 0
		.amdhsa_uses_dynamic_stack 0
		.amdhsa_system_sgpr_private_segment_wavefront_offset 0
		.amdhsa_system_sgpr_workgroup_id_x 1
		.amdhsa_system_sgpr_workgroup_id_y 0
		.amdhsa_system_sgpr_workgroup_id_z 0
		.amdhsa_system_sgpr_workgroup_info 0
		.amdhsa_system_vgpr_workitem_id 0
		.amdhsa_next_free_vgpr 1
		.amdhsa_next_free_sgpr 0
		.amdhsa_accum_offset 4
		.amdhsa_reserve_vcc 0
		.amdhsa_reserve_flat_scratch 0
		.amdhsa_float_round_mode_32 0
		.amdhsa_float_round_mode_16_64 0
		.amdhsa_float_denorm_mode_32 3
		.amdhsa_float_denorm_mode_16_64 3
		.amdhsa_dx10_clamp 1
		.amdhsa_ieee_mode 1
		.amdhsa_fp16_overflow 0
		.amdhsa_tg_split 0
		.amdhsa_exception_fp_ieee_invalid_op 0
		.amdhsa_exception_fp_denorm_src 0
		.amdhsa_exception_fp_ieee_div_zero 0
		.amdhsa_exception_fp_ieee_overflow 0
		.amdhsa_exception_fp_ieee_underflow 0
		.amdhsa_exception_fp_ieee_inexact 0
		.amdhsa_exception_int_div_zero 0
	.end_amdhsa_kernel
	.section	.text._ZN7rocprim17ROCPRIM_400000_NS6detail17trampoline_kernelINS0_14default_configENS1_20scan_config_selectorIsEEZZNS1_9scan_implILNS1_25lookback_scan_determinismE0ELb0ELb1ES3_N6thrust23THRUST_200600_302600_NS6detail15normal_iteratorINS9_10device_ptrIsEEEESE_sNS9_4plusIsEEsEEDaPvRmT3_T4_T5_mT6_P12ihipStream_tbENKUlT_T0_E_clISt17integral_constantIbLb0EESU_EEDaSP_SQ_EUlSP_E0_NS1_11comp_targetILNS1_3genE2ELNS1_11target_archE906ELNS1_3gpuE6ELNS1_3repE0EEENS1_30default_config_static_selectorELNS0_4arch9wavefront6targetE1EEEvT1_,"axG",@progbits,_ZN7rocprim17ROCPRIM_400000_NS6detail17trampoline_kernelINS0_14default_configENS1_20scan_config_selectorIsEEZZNS1_9scan_implILNS1_25lookback_scan_determinismE0ELb0ELb1ES3_N6thrust23THRUST_200600_302600_NS6detail15normal_iteratorINS9_10device_ptrIsEEEESE_sNS9_4plusIsEEsEEDaPvRmT3_T4_T5_mT6_P12ihipStream_tbENKUlT_T0_E_clISt17integral_constantIbLb0EESU_EEDaSP_SQ_EUlSP_E0_NS1_11comp_targetILNS1_3genE2ELNS1_11target_archE906ELNS1_3gpuE6ELNS1_3repE0EEENS1_30default_config_static_selectorELNS0_4arch9wavefront6targetE1EEEvT1_,comdat
.Lfunc_end1280:
	.size	_ZN7rocprim17ROCPRIM_400000_NS6detail17trampoline_kernelINS0_14default_configENS1_20scan_config_selectorIsEEZZNS1_9scan_implILNS1_25lookback_scan_determinismE0ELb0ELb1ES3_N6thrust23THRUST_200600_302600_NS6detail15normal_iteratorINS9_10device_ptrIsEEEESE_sNS9_4plusIsEEsEEDaPvRmT3_T4_T5_mT6_P12ihipStream_tbENKUlT_T0_E_clISt17integral_constantIbLb0EESU_EEDaSP_SQ_EUlSP_E0_NS1_11comp_targetILNS1_3genE2ELNS1_11target_archE906ELNS1_3gpuE6ELNS1_3repE0EEENS1_30default_config_static_selectorELNS0_4arch9wavefront6targetE1EEEvT1_, .Lfunc_end1280-_ZN7rocprim17ROCPRIM_400000_NS6detail17trampoline_kernelINS0_14default_configENS1_20scan_config_selectorIsEEZZNS1_9scan_implILNS1_25lookback_scan_determinismE0ELb0ELb1ES3_N6thrust23THRUST_200600_302600_NS6detail15normal_iteratorINS9_10device_ptrIsEEEESE_sNS9_4plusIsEEsEEDaPvRmT3_T4_T5_mT6_P12ihipStream_tbENKUlT_T0_E_clISt17integral_constantIbLb0EESU_EEDaSP_SQ_EUlSP_E0_NS1_11comp_targetILNS1_3genE2ELNS1_11target_archE906ELNS1_3gpuE6ELNS1_3repE0EEENS1_30default_config_static_selectorELNS0_4arch9wavefront6targetE1EEEvT1_
                                        ; -- End function
	.section	.AMDGPU.csdata,"",@progbits
; Kernel info:
; codeLenInByte = 0
; NumSgprs: 4
; NumVgprs: 0
; NumAgprs: 0
; TotalNumVgprs: 0
; ScratchSize: 0
; MemoryBound: 0
; FloatMode: 240
; IeeeMode: 1
; LDSByteSize: 0 bytes/workgroup (compile time only)
; SGPRBlocks: 0
; VGPRBlocks: 0
; NumSGPRsForWavesPerEU: 4
; NumVGPRsForWavesPerEU: 1
; AccumOffset: 4
; Occupancy: 8
; WaveLimiterHint : 0
; COMPUTE_PGM_RSRC2:SCRATCH_EN: 0
; COMPUTE_PGM_RSRC2:USER_SGPR: 6
; COMPUTE_PGM_RSRC2:TRAP_HANDLER: 0
; COMPUTE_PGM_RSRC2:TGID_X_EN: 1
; COMPUTE_PGM_RSRC2:TGID_Y_EN: 0
; COMPUTE_PGM_RSRC2:TGID_Z_EN: 0
; COMPUTE_PGM_RSRC2:TIDIG_COMP_CNT: 0
; COMPUTE_PGM_RSRC3_GFX90A:ACCUM_OFFSET: 0
; COMPUTE_PGM_RSRC3_GFX90A:TG_SPLIT: 0
	.section	.text._ZN7rocprim17ROCPRIM_400000_NS6detail17trampoline_kernelINS0_14default_configENS1_20scan_config_selectorIsEEZZNS1_9scan_implILNS1_25lookback_scan_determinismE0ELb0ELb1ES3_N6thrust23THRUST_200600_302600_NS6detail15normal_iteratorINS9_10device_ptrIsEEEESE_sNS9_4plusIsEEsEEDaPvRmT3_T4_T5_mT6_P12ihipStream_tbENKUlT_T0_E_clISt17integral_constantIbLb0EESU_EEDaSP_SQ_EUlSP_E0_NS1_11comp_targetILNS1_3genE10ELNS1_11target_archE1201ELNS1_3gpuE5ELNS1_3repE0EEENS1_30default_config_static_selectorELNS0_4arch9wavefront6targetE1EEEvT1_,"axG",@progbits,_ZN7rocprim17ROCPRIM_400000_NS6detail17trampoline_kernelINS0_14default_configENS1_20scan_config_selectorIsEEZZNS1_9scan_implILNS1_25lookback_scan_determinismE0ELb0ELb1ES3_N6thrust23THRUST_200600_302600_NS6detail15normal_iteratorINS9_10device_ptrIsEEEESE_sNS9_4plusIsEEsEEDaPvRmT3_T4_T5_mT6_P12ihipStream_tbENKUlT_T0_E_clISt17integral_constantIbLb0EESU_EEDaSP_SQ_EUlSP_E0_NS1_11comp_targetILNS1_3genE10ELNS1_11target_archE1201ELNS1_3gpuE5ELNS1_3repE0EEENS1_30default_config_static_selectorELNS0_4arch9wavefront6targetE1EEEvT1_,comdat
	.protected	_ZN7rocprim17ROCPRIM_400000_NS6detail17trampoline_kernelINS0_14default_configENS1_20scan_config_selectorIsEEZZNS1_9scan_implILNS1_25lookback_scan_determinismE0ELb0ELb1ES3_N6thrust23THRUST_200600_302600_NS6detail15normal_iteratorINS9_10device_ptrIsEEEESE_sNS9_4plusIsEEsEEDaPvRmT3_T4_T5_mT6_P12ihipStream_tbENKUlT_T0_E_clISt17integral_constantIbLb0EESU_EEDaSP_SQ_EUlSP_E0_NS1_11comp_targetILNS1_3genE10ELNS1_11target_archE1201ELNS1_3gpuE5ELNS1_3repE0EEENS1_30default_config_static_selectorELNS0_4arch9wavefront6targetE1EEEvT1_ ; -- Begin function _ZN7rocprim17ROCPRIM_400000_NS6detail17trampoline_kernelINS0_14default_configENS1_20scan_config_selectorIsEEZZNS1_9scan_implILNS1_25lookback_scan_determinismE0ELb0ELb1ES3_N6thrust23THRUST_200600_302600_NS6detail15normal_iteratorINS9_10device_ptrIsEEEESE_sNS9_4plusIsEEsEEDaPvRmT3_T4_T5_mT6_P12ihipStream_tbENKUlT_T0_E_clISt17integral_constantIbLb0EESU_EEDaSP_SQ_EUlSP_E0_NS1_11comp_targetILNS1_3genE10ELNS1_11target_archE1201ELNS1_3gpuE5ELNS1_3repE0EEENS1_30default_config_static_selectorELNS0_4arch9wavefront6targetE1EEEvT1_
	.globl	_ZN7rocprim17ROCPRIM_400000_NS6detail17trampoline_kernelINS0_14default_configENS1_20scan_config_selectorIsEEZZNS1_9scan_implILNS1_25lookback_scan_determinismE0ELb0ELb1ES3_N6thrust23THRUST_200600_302600_NS6detail15normal_iteratorINS9_10device_ptrIsEEEESE_sNS9_4plusIsEEsEEDaPvRmT3_T4_T5_mT6_P12ihipStream_tbENKUlT_T0_E_clISt17integral_constantIbLb0EESU_EEDaSP_SQ_EUlSP_E0_NS1_11comp_targetILNS1_3genE10ELNS1_11target_archE1201ELNS1_3gpuE5ELNS1_3repE0EEENS1_30default_config_static_selectorELNS0_4arch9wavefront6targetE1EEEvT1_
	.p2align	8
	.type	_ZN7rocprim17ROCPRIM_400000_NS6detail17trampoline_kernelINS0_14default_configENS1_20scan_config_selectorIsEEZZNS1_9scan_implILNS1_25lookback_scan_determinismE0ELb0ELb1ES3_N6thrust23THRUST_200600_302600_NS6detail15normal_iteratorINS9_10device_ptrIsEEEESE_sNS9_4plusIsEEsEEDaPvRmT3_T4_T5_mT6_P12ihipStream_tbENKUlT_T0_E_clISt17integral_constantIbLb0EESU_EEDaSP_SQ_EUlSP_E0_NS1_11comp_targetILNS1_3genE10ELNS1_11target_archE1201ELNS1_3gpuE5ELNS1_3repE0EEENS1_30default_config_static_selectorELNS0_4arch9wavefront6targetE1EEEvT1_,@function
_ZN7rocprim17ROCPRIM_400000_NS6detail17trampoline_kernelINS0_14default_configENS1_20scan_config_selectorIsEEZZNS1_9scan_implILNS1_25lookback_scan_determinismE0ELb0ELb1ES3_N6thrust23THRUST_200600_302600_NS6detail15normal_iteratorINS9_10device_ptrIsEEEESE_sNS9_4plusIsEEsEEDaPvRmT3_T4_T5_mT6_P12ihipStream_tbENKUlT_T0_E_clISt17integral_constantIbLb0EESU_EEDaSP_SQ_EUlSP_E0_NS1_11comp_targetILNS1_3genE10ELNS1_11target_archE1201ELNS1_3gpuE5ELNS1_3repE0EEENS1_30default_config_static_selectorELNS0_4arch9wavefront6targetE1EEEvT1_: ; @_ZN7rocprim17ROCPRIM_400000_NS6detail17trampoline_kernelINS0_14default_configENS1_20scan_config_selectorIsEEZZNS1_9scan_implILNS1_25lookback_scan_determinismE0ELb0ELb1ES3_N6thrust23THRUST_200600_302600_NS6detail15normal_iteratorINS9_10device_ptrIsEEEESE_sNS9_4plusIsEEsEEDaPvRmT3_T4_T5_mT6_P12ihipStream_tbENKUlT_T0_E_clISt17integral_constantIbLb0EESU_EEDaSP_SQ_EUlSP_E0_NS1_11comp_targetILNS1_3genE10ELNS1_11target_archE1201ELNS1_3gpuE5ELNS1_3repE0EEENS1_30default_config_static_selectorELNS0_4arch9wavefront6targetE1EEEvT1_
; %bb.0:
	.section	.rodata,"a",@progbits
	.p2align	6, 0x0
	.amdhsa_kernel _ZN7rocprim17ROCPRIM_400000_NS6detail17trampoline_kernelINS0_14default_configENS1_20scan_config_selectorIsEEZZNS1_9scan_implILNS1_25lookback_scan_determinismE0ELb0ELb1ES3_N6thrust23THRUST_200600_302600_NS6detail15normal_iteratorINS9_10device_ptrIsEEEESE_sNS9_4plusIsEEsEEDaPvRmT3_T4_T5_mT6_P12ihipStream_tbENKUlT_T0_E_clISt17integral_constantIbLb0EESU_EEDaSP_SQ_EUlSP_E0_NS1_11comp_targetILNS1_3genE10ELNS1_11target_archE1201ELNS1_3gpuE5ELNS1_3repE0EEENS1_30default_config_static_selectorELNS0_4arch9wavefront6targetE1EEEvT1_
		.amdhsa_group_segment_fixed_size 0
		.amdhsa_private_segment_fixed_size 0
		.amdhsa_kernarg_size 32
		.amdhsa_user_sgpr_count 6
		.amdhsa_user_sgpr_private_segment_buffer 1
		.amdhsa_user_sgpr_dispatch_ptr 0
		.amdhsa_user_sgpr_queue_ptr 0
		.amdhsa_user_sgpr_kernarg_segment_ptr 1
		.amdhsa_user_sgpr_dispatch_id 0
		.amdhsa_user_sgpr_flat_scratch_init 0
		.amdhsa_user_sgpr_kernarg_preload_length 0
		.amdhsa_user_sgpr_kernarg_preload_offset 0
		.amdhsa_user_sgpr_private_segment_size 0
		.amdhsa_uses_dynamic_stack 0
		.amdhsa_system_sgpr_private_segment_wavefront_offset 0
		.amdhsa_system_sgpr_workgroup_id_x 1
		.amdhsa_system_sgpr_workgroup_id_y 0
		.amdhsa_system_sgpr_workgroup_id_z 0
		.amdhsa_system_sgpr_workgroup_info 0
		.amdhsa_system_vgpr_workitem_id 0
		.amdhsa_next_free_vgpr 1
		.amdhsa_next_free_sgpr 0
		.amdhsa_accum_offset 4
		.amdhsa_reserve_vcc 0
		.amdhsa_reserve_flat_scratch 0
		.amdhsa_float_round_mode_32 0
		.amdhsa_float_round_mode_16_64 0
		.amdhsa_float_denorm_mode_32 3
		.amdhsa_float_denorm_mode_16_64 3
		.amdhsa_dx10_clamp 1
		.amdhsa_ieee_mode 1
		.amdhsa_fp16_overflow 0
		.amdhsa_tg_split 0
		.amdhsa_exception_fp_ieee_invalid_op 0
		.amdhsa_exception_fp_denorm_src 0
		.amdhsa_exception_fp_ieee_div_zero 0
		.amdhsa_exception_fp_ieee_overflow 0
		.amdhsa_exception_fp_ieee_underflow 0
		.amdhsa_exception_fp_ieee_inexact 0
		.amdhsa_exception_int_div_zero 0
	.end_amdhsa_kernel
	.section	.text._ZN7rocprim17ROCPRIM_400000_NS6detail17trampoline_kernelINS0_14default_configENS1_20scan_config_selectorIsEEZZNS1_9scan_implILNS1_25lookback_scan_determinismE0ELb0ELb1ES3_N6thrust23THRUST_200600_302600_NS6detail15normal_iteratorINS9_10device_ptrIsEEEESE_sNS9_4plusIsEEsEEDaPvRmT3_T4_T5_mT6_P12ihipStream_tbENKUlT_T0_E_clISt17integral_constantIbLb0EESU_EEDaSP_SQ_EUlSP_E0_NS1_11comp_targetILNS1_3genE10ELNS1_11target_archE1201ELNS1_3gpuE5ELNS1_3repE0EEENS1_30default_config_static_selectorELNS0_4arch9wavefront6targetE1EEEvT1_,"axG",@progbits,_ZN7rocprim17ROCPRIM_400000_NS6detail17trampoline_kernelINS0_14default_configENS1_20scan_config_selectorIsEEZZNS1_9scan_implILNS1_25lookback_scan_determinismE0ELb0ELb1ES3_N6thrust23THRUST_200600_302600_NS6detail15normal_iteratorINS9_10device_ptrIsEEEESE_sNS9_4plusIsEEsEEDaPvRmT3_T4_T5_mT6_P12ihipStream_tbENKUlT_T0_E_clISt17integral_constantIbLb0EESU_EEDaSP_SQ_EUlSP_E0_NS1_11comp_targetILNS1_3genE10ELNS1_11target_archE1201ELNS1_3gpuE5ELNS1_3repE0EEENS1_30default_config_static_selectorELNS0_4arch9wavefront6targetE1EEEvT1_,comdat
.Lfunc_end1281:
	.size	_ZN7rocprim17ROCPRIM_400000_NS6detail17trampoline_kernelINS0_14default_configENS1_20scan_config_selectorIsEEZZNS1_9scan_implILNS1_25lookback_scan_determinismE0ELb0ELb1ES3_N6thrust23THRUST_200600_302600_NS6detail15normal_iteratorINS9_10device_ptrIsEEEESE_sNS9_4plusIsEEsEEDaPvRmT3_T4_T5_mT6_P12ihipStream_tbENKUlT_T0_E_clISt17integral_constantIbLb0EESU_EEDaSP_SQ_EUlSP_E0_NS1_11comp_targetILNS1_3genE10ELNS1_11target_archE1201ELNS1_3gpuE5ELNS1_3repE0EEENS1_30default_config_static_selectorELNS0_4arch9wavefront6targetE1EEEvT1_, .Lfunc_end1281-_ZN7rocprim17ROCPRIM_400000_NS6detail17trampoline_kernelINS0_14default_configENS1_20scan_config_selectorIsEEZZNS1_9scan_implILNS1_25lookback_scan_determinismE0ELb0ELb1ES3_N6thrust23THRUST_200600_302600_NS6detail15normal_iteratorINS9_10device_ptrIsEEEESE_sNS9_4plusIsEEsEEDaPvRmT3_T4_T5_mT6_P12ihipStream_tbENKUlT_T0_E_clISt17integral_constantIbLb0EESU_EEDaSP_SQ_EUlSP_E0_NS1_11comp_targetILNS1_3genE10ELNS1_11target_archE1201ELNS1_3gpuE5ELNS1_3repE0EEENS1_30default_config_static_selectorELNS0_4arch9wavefront6targetE1EEEvT1_
                                        ; -- End function
	.section	.AMDGPU.csdata,"",@progbits
; Kernel info:
; codeLenInByte = 0
; NumSgprs: 4
; NumVgprs: 0
; NumAgprs: 0
; TotalNumVgprs: 0
; ScratchSize: 0
; MemoryBound: 0
; FloatMode: 240
; IeeeMode: 1
; LDSByteSize: 0 bytes/workgroup (compile time only)
; SGPRBlocks: 0
; VGPRBlocks: 0
; NumSGPRsForWavesPerEU: 4
; NumVGPRsForWavesPerEU: 1
; AccumOffset: 4
; Occupancy: 8
; WaveLimiterHint : 0
; COMPUTE_PGM_RSRC2:SCRATCH_EN: 0
; COMPUTE_PGM_RSRC2:USER_SGPR: 6
; COMPUTE_PGM_RSRC2:TRAP_HANDLER: 0
; COMPUTE_PGM_RSRC2:TGID_X_EN: 1
; COMPUTE_PGM_RSRC2:TGID_Y_EN: 0
; COMPUTE_PGM_RSRC2:TGID_Z_EN: 0
; COMPUTE_PGM_RSRC2:TIDIG_COMP_CNT: 0
; COMPUTE_PGM_RSRC3_GFX90A:ACCUM_OFFSET: 0
; COMPUTE_PGM_RSRC3_GFX90A:TG_SPLIT: 0
	.section	.text._ZN7rocprim17ROCPRIM_400000_NS6detail17trampoline_kernelINS0_14default_configENS1_20scan_config_selectorIsEEZZNS1_9scan_implILNS1_25lookback_scan_determinismE0ELb0ELb1ES3_N6thrust23THRUST_200600_302600_NS6detail15normal_iteratorINS9_10device_ptrIsEEEESE_sNS9_4plusIsEEsEEDaPvRmT3_T4_T5_mT6_P12ihipStream_tbENKUlT_T0_E_clISt17integral_constantIbLb0EESU_EEDaSP_SQ_EUlSP_E0_NS1_11comp_targetILNS1_3genE10ELNS1_11target_archE1200ELNS1_3gpuE4ELNS1_3repE0EEENS1_30default_config_static_selectorELNS0_4arch9wavefront6targetE1EEEvT1_,"axG",@progbits,_ZN7rocprim17ROCPRIM_400000_NS6detail17trampoline_kernelINS0_14default_configENS1_20scan_config_selectorIsEEZZNS1_9scan_implILNS1_25lookback_scan_determinismE0ELb0ELb1ES3_N6thrust23THRUST_200600_302600_NS6detail15normal_iteratorINS9_10device_ptrIsEEEESE_sNS9_4plusIsEEsEEDaPvRmT3_T4_T5_mT6_P12ihipStream_tbENKUlT_T0_E_clISt17integral_constantIbLb0EESU_EEDaSP_SQ_EUlSP_E0_NS1_11comp_targetILNS1_3genE10ELNS1_11target_archE1200ELNS1_3gpuE4ELNS1_3repE0EEENS1_30default_config_static_selectorELNS0_4arch9wavefront6targetE1EEEvT1_,comdat
	.protected	_ZN7rocprim17ROCPRIM_400000_NS6detail17trampoline_kernelINS0_14default_configENS1_20scan_config_selectorIsEEZZNS1_9scan_implILNS1_25lookback_scan_determinismE0ELb0ELb1ES3_N6thrust23THRUST_200600_302600_NS6detail15normal_iteratorINS9_10device_ptrIsEEEESE_sNS9_4plusIsEEsEEDaPvRmT3_T4_T5_mT6_P12ihipStream_tbENKUlT_T0_E_clISt17integral_constantIbLb0EESU_EEDaSP_SQ_EUlSP_E0_NS1_11comp_targetILNS1_3genE10ELNS1_11target_archE1200ELNS1_3gpuE4ELNS1_3repE0EEENS1_30default_config_static_selectorELNS0_4arch9wavefront6targetE1EEEvT1_ ; -- Begin function _ZN7rocprim17ROCPRIM_400000_NS6detail17trampoline_kernelINS0_14default_configENS1_20scan_config_selectorIsEEZZNS1_9scan_implILNS1_25lookback_scan_determinismE0ELb0ELb1ES3_N6thrust23THRUST_200600_302600_NS6detail15normal_iteratorINS9_10device_ptrIsEEEESE_sNS9_4plusIsEEsEEDaPvRmT3_T4_T5_mT6_P12ihipStream_tbENKUlT_T0_E_clISt17integral_constantIbLb0EESU_EEDaSP_SQ_EUlSP_E0_NS1_11comp_targetILNS1_3genE10ELNS1_11target_archE1200ELNS1_3gpuE4ELNS1_3repE0EEENS1_30default_config_static_selectorELNS0_4arch9wavefront6targetE1EEEvT1_
	.globl	_ZN7rocprim17ROCPRIM_400000_NS6detail17trampoline_kernelINS0_14default_configENS1_20scan_config_selectorIsEEZZNS1_9scan_implILNS1_25lookback_scan_determinismE0ELb0ELb1ES3_N6thrust23THRUST_200600_302600_NS6detail15normal_iteratorINS9_10device_ptrIsEEEESE_sNS9_4plusIsEEsEEDaPvRmT3_T4_T5_mT6_P12ihipStream_tbENKUlT_T0_E_clISt17integral_constantIbLb0EESU_EEDaSP_SQ_EUlSP_E0_NS1_11comp_targetILNS1_3genE10ELNS1_11target_archE1200ELNS1_3gpuE4ELNS1_3repE0EEENS1_30default_config_static_selectorELNS0_4arch9wavefront6targetE1EEEvT1_
	.p2align	8
	.type	_ZN7rocprim17ROCPRIM_400000_NS6detail17trampoline_kernelINS0_14default_configENS1_20scan_config_selectorIsEEZZNS1_9scan_implILNS1_25lookback_scan_determinismE0ELb0ELb1ES3_N6thrust23THRUST_200600_302600_NS6detail15normal_iteratorINS9_10device_ptrIsEEEESE_sNS9_4plusIsEEsEEDaPvRmT3_T4_T5_mT6_P12ihipStream_tbENKUlT_T0_E_clISt17integral_constantIbLb0EESU_EEDaSP_SQ_EUlSP_E0_NS1_11comp_targetILNS1_3genE10ELNS1_11target_archE1200ELNS1_3gpuE4ELNS1_3repE0EEENS1_30default_config_static_selectorELNS0_4arch9wavefront6targetE1EEEvT1_,@function
_ZN7rocprim17ROCPRIM_400000_NS6detail17trampoline_kernelINS0_14default_configENS1_20scan_config_selectorIsEEZZNS1_9scan_implILNS1_25lookback_scan_determinismE0ELb0ELb1ES3_N6thrust23THRUST_200600_302600_NS6detail15normal_iteratorINS9_10device_ptrIsEEEESE_sNS9_4plusIsEEsEEDaPvRmT3_T4_T5_mT6_P12ihipStream_tbENKUlT_T0_E_clISt17integral_constantIbLb0EESU_EEDaSP_SQ_EUlSP_E0_NS1_11comp_targetILNS1_3genE10ELNS1_11target_archE1200ELNS1_3gpuE4ELNS1_3repE0EEENS1_30default_config_static_selectorELNS0_4arch9wavefront6targetE1EEEvT1_: ; @_ZN7rocprim17ROCPRIM_400000_NS6detail17trampoline_kernelINS0_14default_configENS1_20scan_config_selectorIsEEZZNS1_9scan_implILNS1_25lookback_scan_determinismE0ELb0ELb1ES3_N6thrust23THRUST_200600_302600_NS6detail15normal_iteratorINS9_10device_ptrIsEEEESE_sNS9_4plusIsEEsEEDaPvRmT3_T4_T5_mT6_P12ihipStream_tbENKUlT_T0_E_clISt17integral_constantIbLb0EESU_EEDaSP_SQ_EUlSP_E0_NS1_11comp_targetILNS1_3genE10ELNS1_11target_archE1200ELNS1_3gpuE4ELNS1_3repE0EEENS1_30default_config_static_selectorELNS0_4arch9wavefront6targetE1EEEvT1_
; %bb.0:
	.section	.rodata,"a",@progbits
	.p2align	6, 0x0
	.amdhsa_kernel _ZN7rocprim17ROCPRIM_400000_NS6detail17trampoline_kernelINS0_14default_configENS1_20scan_config_selectorIsEEZZNS1_9scan_implILNS1_25lookback_scan_determinismE0ELb0ELb1ES3_N6thrust23THRUST_200600_302600_NS6detail15normal_iteratorINS9_10device_ptrIsEEEESE_sNS9_4plusIsEEsEEDaPvRmT3_T4_T5_mT6_P12ihipStream_tbENKUlT_T0_E_clISt17integral_constantIbLb0EESU_EEDaSP_SQ_EUlSP_E0_NS1_11comp_targetILNS1_3genE10ELNS1_11target_archE1200ELNS1_3gpuE4ELNS1_3repE0EEENS1_30default_config_static_selectorELNS0_4arch9wavefront6targetE1EEEvT1_
		.amdhsa_group_segment_fixed_size 0
		.amdhsa_private_segment_fixed_size 0
		.amdhsa_kernarg_size 32
		.amdhsa_user_sgpr_count 6
		.amdhsa_user_sgpr_private_segment_buffer 1
		.amdhsa_user_sgpr_dispatch_ptr 0
		.amdhsa_user_sgpr_queue_ptr 0
		.amdhsa_user_sgpr_kernarg_segment_ptr 1
		.amdhsa_user_sgpr_dispatch_id 0
		.amdhsa_user_sgpr_flat_scratch_init 0
		.amdhsa_user_sgpr_kernarg_preload_length 0
		.amdhsa_user_sgpr_kernarg_preload_offset 0
		.amdhsa_user_sgpr_private_segment_size 0
		.amdhsa_uses_dynamic_stack 0
		.amdhsa_system_sgpr_private_segment_wavefront_offset 0
		.amdhsa_system_sgpr_workgroup_id_x 1
		.amdhsa_system_sgpr_workgroup_id_y 0
		.amdhsa_system_sgpr_workgroup_id_z 0
		.amdhsa_system_sgpr_workgroup_info 0
		.amdhsa_system_vgpr_workitem_id 0
		.amdhsa_next_free_vgpr 1
		.amdhsa_next_free_sgpr 0
		.amdhsa_accum_offset 4
		.amdhsa_reserve_vcc 0
		.amdhsa_reserve_flat_scratch 0
		.amdhsa_float_round_mode_32 0
		.amdhsa_float_round_mode_16_64 0
		.amdhsa_float_denorm_mode_32 3
		.amdhsa_float_denorm_mode_16_64 3
		.amdhsa_dx10_clamp 1
		.amdhsa_ieee_mode 1
		.amdhsa_fp16_overflow 0
		.amdhsa_tg_split 0
		.amdhsa_exception_fp_ieee_invalid_op 0
		.amdhsa_exception_fp_denorm_src 0
		.amdhsa_exception_fp_ieee_div_zero 0
		.amdhsa_exception_fp_ieee_overflow 0
		.amdhsa_exception_fp_ieee_underflow 0
		.amdhsa_exception_fp_ieee_inexact 0
		.amdhsa_exception_int_div_zero 0
	.end_amdhsa_kernel
	.section	.text._ZN7rocprim17ROCPRIM_400000_NS6detail17trampoline_kernelINS0_14default_configENS1_20scan_config_selectorIsEEZZNS1_9scan_implILNS1_25lookback_scan_determinismE0ELb0ELb1ES3_N6thrust23THRUST_200600_302600_NS6detail15normal_iteratorINS9_10device_ptrIsEEEESE_sNS9_4plusIsEEsEEDaPvRmT3_T4_T5_mT6_P12ihipStream_tbENKUlT_T0_E_clISt17integral_constantIbLb0EESU_EEDaSP_SQ_EUlSP_E0_NS1_11comp_targetILNS1_3genE10ELNS1_11target_archE1200ELNS1_3gpuE4ELNS1_3repE0EEENS1_30default_config_static_selectorELNS0_4arch9wavefront6targetE1EEEvT1_,"axG",@progbits,_ZN7rocprim17ROCPRIM_400000_NS6detail17trampoline_kernelINS0_14default_configENS1_20scan_config_selectorIsEEZZNS1_9scan_implILNS1_25lookback_scan_determinismE0ELb0ELb1ES3_N6thrust23THRUST_200600_302600_NS6detail15normal_iteratorINS9_10device_ptrIsEEEESE_sNS9_4plusIsEEsEEDaPvRmT3_T4_T5_mT6_P12ihipStream_tbENKUlT_T0_E_clISt17integral_constantIbLb0EESU_EEDaSP_SQ_EUlSP_E0_NS1_11comp_targetILNS1_3genE10ELNS1_11target_archE1200ELNS1_3gpuE4ELNS1_3repE0EEENS1_30default_config_static_selectorELNS0_4arch9wavefront6targetE1EEEvT1_,comdat
.Lfunc_end1282:
	.size	_ZN7rocprim17ROCPRIM_400000_NS6detail17trampoline_kernelINS0_14default_configENS1_20scan_config_selectorIsEEZZNS1_9scan_implILNS1_25lookback_scan_determinismE0ELb0ELb1ES3_N6thrust23THRUST_200600_302600_NS6detail15normal_iteratorINS9_10device_ptrIsEEEESE_sNS9_4plusIsEEsEEDaPvRmT3_T4_T5_mT6_P12ihipStream_tbENKUlT_T0_E_clISt17integral_constantIbLb0EESU_EEDaSP_SQ_EUlSP_E0_NS1_11comp_targetILNS1_3genE10ELNS1_11target_archE1200ELNS1_3gpuE4ELNS1_3repE0EEENS1_30default_config_static_selectorELNS0_4arch9wavefront6targetE1EEEvT1_, .Lfunc_end1282-_ZN7rocprim17ROCPRIM_400000_NS6detail17trampoline_kernelINS0_14default_configENS1_20scan_config_selectorIsEEZZNS1_9scan_implILNS1_25lookback_scan_determinismE0ELb0ELb1ES3_N6thrust23THRUST_200600_302600_NS6detail15normal_iteratorINS9_10device_ptrIsEEEESE_sNS9_4plusIsEEsEEDaPvRmT3_T4_T5_mT6_P12ihipStream_tbENKUlT_T0_E_clISt17integral_constantIbLb0EESU_EEDaSP_SQ_EUlSP_E0_NS1_11comp_targetILNS1_3genE10ELNS1_11target_archE1200ELNS1_3gpuE4ELNS1_3repE0EEENS1_30default_config_static_selectorELNS0_4arch9wavefront6targetE1EEEvT1_
                                        ; -- End function
	.section	.AMDGPU.csdata,"",@progbits
; Kernel info:
; codeLenInByte = 0
; NumSgprs: 4
; NumVgprs: 0
; NumAgprs: 0
; TotalNumVgprs: 0
; ScratchSize: 0
; MemoryBound: 0
; FloatMode: 240
; IeeeMode: 1
; LDSByteSize: 0 bytes/workgroup (compile time only)
; SGPRBlocks: 0
; VGPRBlocks: 0
; NumSGPRsForWavesPerEU: 4
; NumVGPRsForWavesPerEU: 1
; AccumOffset: 4
; Occupancy: 8
; WaveLimiterHint : 0
; COMPUTE_PGM_RSRC2:SCRATCH_EN: 0
; COMPUTE_PGM_RSRC2:USER_SGPR: 6
; COMPUTE_PGM_RSRC2:TRAP_HANDLER: 0
; COMPUTE_PGM_RSRC2:TGID_X_EN: 1
; COMPUTE_PGM_RSRC2:TGID_Y_EN: 0
; COMPUTE_PGM_RSRC2:TGID_Z_EN: 0
; COMPUTE_PGM_RSRC2:TIDIG_COMP_CNT: 0
; COMPUTE_PGM_RSRC3_GFX90A:ACCUM_OFFSET: 0
; COMPUTE_PGM_RSRC3_GFX90A:TG_SPLIT: 0
	.section	.text._ZN7rocprim17ROCPRIM_400000_NS6detail17trampoline_kernelINS0_14default_configENS1_20scan_config_selectorIsEEZZNS1_9scan_implILNS1_25lookback_scan_determinismE0ELb0ELb1ES3_N6thrust23THRUST_200600_302600_NS6detail15normal_iteratorINS9_10device_ptrIsEEEESE_sNS9_4plusIsEEsEEDaPvRmT3_T4_T5_mT6_P12ihipStream_tbENKUlT_T0_E_clISt17integral_constantIbLb0EESU_EEDaSP_SQ_EUlSP_E0_NS1_11comp_targetILNS1_3genE9ELNS1_11target_archE1100ELNS1_3gpuE3ELNS1_3repE0EEENS1_30default_config_static_selectorELNS0_4arch9wavefront6targetE1EEEvT1_,"axG",@progbits,_ZN7rocprim17ROCPRIM_400000_NS6detail17trampoline_kernelINS0_14default_configENS1_20scan_config_selectorIsEEZZNS1_9scan_implILNS1_25lookback_scan_determinismE0ELb0ELb1ES3_N6thrust23THRUST_200600_302600_NS6detail15normal_iteratorINS9_10device_ptrIsEEEESE_sNS9_4plusIsEEsEEDaPvRmT3_T4_T5_mT6_P12ihipStream_tbENKUlT_T0_E_clISt17integral_constantIbLb0EESU_EEDaSP_SQ_EUlSP_E0_NS1_11comp_targetILNS1_3genE9ELNS1_11target_archE1100ELNS1_3gpuE3ELNS1_3repE0EEENS1_30default_config_static_selectorELNS0_4arch9wavefront6targetE1EEEvT1_,comdat
	.protected	_ZN7rocprim17ROCPRIM_400000_NS6detail17trampoline_kernelINS0_14default_configENS1_20scan_config_selectorIsEEZZNS1_9scan_implILNS1_25lookback_scan_determinismE0ELb0ELb1ES3_N6thrust23THRUST_200600_302600_NS6detail15normal_iteratorINS9_10device_ptrIsEEEESE_sNS9_4plusIsEEsEEDaPvRmT3_T4_T5_mT6_P12ihipStream_tbENKUlT_T0_E_clISt17integral_constantIbLb0EESU_EEDaSP_SQ_EUlSP_E0_NS1_11comp_targetILNS1_3genE9ELNS1_11target_archE1100ELNS1_3gpuE3ELNS1_3repE0EEENS1_30default_config_static_selectorELNS0_4arch9wavefront6targetE1EEEvT1_ ; -- Begin function _ZN7rocprim17ROCPRIM_400000_NS6detail17trampoline_kernelINS0_14default_configENS1_20scan_config_selectorIsEEZZNS1_9scan_implILNS1_25lookback_scan_determinismE0ELb0ELb1ES3_N6thrust23THRUST_200600_302600_NS6detail15normal_iteratorINS9_10device_ptrIsEEEESE_sNS9_4plusIsEEsEEDaPvRmT3_T4_T5_mT6_P12ihipStream_tbENKUlT_T0_E_clISt17integral_constantIbLb0EESU_EEDaSP_SQ_EUlSP_E0_NS1_11comp_targetILNS1_3genE9ELNS1_11target_archE1100ELNS1_3gpuE3ELNS1_3repE0EEENS1_30default_config_static_selectorELNS0_4arch9wavefront6targetE1EEEvT1_
	.globl	_ZN7rocprim17ROCPRIM_400000_NS6detail17trampoline_kernelINS0_14default_configENS1_20scan_config_selectorIsEEZZNS1_9scan_implILNS1_25lookback_scan_determinismE0ELb0ELb1ES3_N6thrust23THRUST_200600_302600_NS6detail15normal_iteratorINS9_10device_ptrIsEEEESE_sNS9_4plusIsEEsEEDaPvRmT3_T4_T5_mT6_P12ihipStream_tbENKUlT_T0_E_clISt17integral_constantIbLb0EESU_EEDaSP_SQ_EUlSP_E0_NS1_11comp_targetILNS1_3genE9ELNS1_11target_archE1100ELNS1_3gpuE3ELNS1_3repE0EEENS1_30default_config_static_selectorELNS0_4arch9wavefront6targetE1EEEvT1_
	.p2align	8
	.type	_ZN7rocprim17ROCPRIM_400000_NS6detail17trampoline_kernelINS0_14default_configENS1_20scan_config_selectorIsEEZZNS1_9scan_implILNS1_25lookback_scan_determinismE0ELb0ELb1ES3_N6thrust23THRUST_200600_302600_NS6detail15normal_iteratorINS9_10device_ptrIsEEEESE_sNS9_4plusIsEEsEEDaPvRmT3_T4_T5_mT6_P12ihipStream_tbENKUlT_T0_E_clISt17integral_constantIbLb0EESU_EEDaSP_SQ_EUlSP_E0_NS1_11comp_targetILNS1_3genE9ELNS1_11target_archE1100ELNS1_3gpuE3ELNS1_3repE0EEENS1_30default_config_static_selectorELNS0_4arch9wavefront6targetE1EEEvT1_,@function
_ZN7rocprim17ROCPRIM_400000_NS6detail17trampoline_kernelINS0_14default_configENS1_20scan_config_selectorIsEEZZNS1_9scan_implILNS1_25lookback_scan_determinismE0ELb0ELb1ES3_N6thrust23THRUST_200600_302600_NS6detail15normal_iteratorINS9_10device_ptrIsEEEESE_sNS9_4plusIsEEsEEDaPvRmT3_T4_T5_mT6_P12ihipStream_tbENKUlT_T0_E_clISt17integral_constantIbLb0EESU_EEDaSP_SQ_EUlSP_E0_NS1_11comp_targetILNS1_3genE9ELNS1_11target_archE1100ELNS1_3gpuE3ELNS1_3repE0EEENS1_30default_config_static_selectorELNS0_4arch9wavefront6targetE1EEEvT1_: ; @_ZN7rocprim17ROCPRIM_400000_NS6detail17trampoline_kernelINS0_14default_configENS1_20scan_config_selectorIsEEZZNS1_9scan_implILNS1_25lookback_scan_determinismE0ELb0ELb1ES3_N6thrust23THRUST_200600_302600_NS6detail15normal_iteratorINS9_10device_ptrIsEEEESE_sNS9_4plusIsEEsEEDaPvRmT3_T4_T5_mT6_P12ihipStream_tbENKUlT_T0_E_clISt17integral_constantIbLb0EESU_EEDaSP_SQ_EUlSP_E0_NS1_11comp_targetILNS1_3genE9ELNS1_11target_archE1100ELNS1_3gpuE3ELNS1_3repE0EEENS1_30default_config_static_selectorELNS0_4arch9wavefront6targetE1EEEvT1_
; %bb.0:
	.section	.rodata,"a",@progbits
	.p2align	6, 0x0
	.amdhsa_kernel _ZN7rocprim17ROCPRIM_400000_NS6detail17trampoline_kernelINS0_14default_configENS1_20scan_config_selectorIsEEZZNS1_9scan_implILNS1_25lookback_scan_determinismE0ELb0ELb1ES3_N6thrust23THRUST_200600_302600_NS6detail15normal_iteratorINS9_10device_ptrIsEEEESE_sNS9_4plusIsEEsEEDaPvRmT3_T4_T5_mT6_P12ihipStream_tbENKUlT_T0_E_clISt17integral_constantIbLb0EESU_EEDaSP_SQ_EUlSP_E0_NS1_11comp_targetILNS1_3genE9ELNS1_11target_archE1100ELNS1_3gpuE3ELNS1_3repE0EEENS1_30default_config_static_selectorELNS0_4arch9wavefront6targetE1EEEvT1_
		.amdhsa_group_segment_fixed_size 0
		.amdhsa_private_segment_fixed_size 0
		.amdhsa_kernarg_size 32
		.amdhsa_user_sgpr_count 6
		.amdhsa_user_sgpr_private_segment_buffer 1
		.amdhsa_user_sgpr_dispatch_ptr 0
		.amdhsa_user_sgpr_queue_ptr 0
		.amdhsa_user_sgpr_kernarg_segment_ptr 1
		.amdhsa_user_sgpr_dispatch_id 0
		.amdhsa_user_sgpr_flat_scratch_init 0
		.amdhsa_user_sgpr_kernarg_preload_length 0
		.amdhsa_user_sgpr_kernarg_preload_offset 0
		.amdhsa_user_sgpr_private_segment_size 0
		.amdhsa_uses_dynamic_stack 0
		.amdhsa_system_sgpr_private_segment_wavefront_offset 0
		.amdhsa_system_sgpr_workgroup_id_x 1
		.amdhsa_system_sgpr_workgroup_id_y 0
		.amdhsa_system_sgpr_workgroup_id_z 0
		.amdhsa_system_sgpr_workgroup_info 0
		.amdhsa_system_vgpr_workitem_id 0
		.amdhsa_next_free_vgpr 1
		.amdhsa_next_free_sgpr 0
		.amdhsa_accum_offset 4
		.amdhsa_reserve_vcc 0
		.amdhsa_reserve_flat_scratch 0
		.amdhsa_float_round_mode_32 0
		.amdhsa_float_round_mode_16_64 0
		.amdhsa_float_denorm_mode_32 3
		.amdhsa_float_denorm_mode_16_64 3
		.amdhsa_dx10_clamp 1
		.amdhsa_ieee_mode 1
		.amdhsa_fp16_overflow 0
		.amdhsa_tg_split 0
		.amdhsa_exception_fp_ieee_invalid_op 0
		.amdhsa_exception_fp_denorm_src 0
		.amdhsa_exception_fp_ieee_div_zero 0
		.amdhsa_exception_fp_ieee_overflow 0
		.amdhsa_exception_fp_ieee_underflow 0
		.amdhsa_exception_fp_ieee_inexact 0
		.amdhsa_exception_int_div_zero 0
	.end_amdhsa_kernel
	.section	.text._ZN7rocprim17ROCPRIM_400000_NS6detail17trampoline_kernelINS0_14default_configENS1_20scan_config_selectorIsEEZZNS1_9scan_implILNS1_25lookback_scan_determinismE0ELb0ELb1ES3_N6thrust23THRUST_200600_302600_NS6detail15normal_iteratorINS9_10device_ptrIsEEEESE_sNS9_4plusIsEEsEEDaPvRmT3_T4_T5_mT6_P12ihipStream_tbENKUlT_T0_E_clISt17integral_constantIbLb0EESU_EEDaSP_SQ_EUlSP_E0_NS1_11comp_targetILNS1_3genE9ELNS1_11target_archE1100ELNS1_3gpuE3ELNS1_3repE0EEENS1_30default_config_static_selectorELNS0_4arch9wavefront6targetE1EEEvT1_,"axG",@progbits,_ZN7rocprim17ROCPRIM_400000_NS6detail17trampoline_kernelINS0_14default_configENS1_20scan_config_selectorIsEEZZNS1_9scan_implILNS1_25lookback_scan_determinismE0ELb0ELb1ES3_N6thrust23THRUST_200600_302600_NS6detail15normal_iteratorINS9_10device_ptrIsEEEESE_sNS9_4plusIsEEsEEDaPvRmT3_T4_T5_mT6_P12ihipStream_tbENKUlT_T0_E_clISt17integral_constantIbLb0EESU_EEDaSP_SQ_EUlSP_E0_NS1_11comp_targetILNS1_3genE9ELNS1_11target_archE1100ELNS1_3gpuE3ELNS1_3repE0EEENS1_30default_config_static_selectorELNS0_4arch9wavefront6targetE1EEEvT1_,comdat
.Lfunc_end1283:
	.size	_ZN7rocprim17ROCPRIM_400000_NS6detail17trampoline_kernelINS0_14default_configENS1_20scan_config_selectorIsEEZZNS1_9scan_implILNS1_25lookback_scan_determinismE0ELb0ELb1ES3_N6thrust23THRUST_200600_302600_NS6detail15normal_iteratorINS9_10device_ptrIsEEEESE_sNS9_4plusIsEEsEEDaPvRmT3_T4_T5_mT6_P12ihipStream_tbENKUlT_T0_E_clISt17integral_constantIbLb0EESU_EEDaSP_SQ_EUlSP_E0_NS1_11comp_targetILNS1_3genE9ELNS1_11target_archE1100ELNS1_3gpuE3ELNS1_3repE0EEENS1_30default_config_static_selectorELNS0_4arch9wavefront6targetE1EEEvT1_, .Lfunc_end1283-_ZN7rocprim17ROCPRIM_400000_NS6detail17trampoline_kernelINS0_14default_configENS1_20scan_config_selectorIsEEZZNS1_9scan_implILNS1_25lookback_scan_determinismE0ELb0ELb1ES3_N6thrust23THRUST_200600_302600_NS6detail15normal_iteratorINS9_10device_ptrIsEEEESE_sNS9_4plusIsEEsEEDaPvRmT3_T4_T5_mT6_P12ihipStream_tbENKUlT_T0_E_clISt17integral_constantIbLb0EESU_EEDaSP_SQ_EUlSP_E0_NS1_11comp_targetILNS1_3genE9ELNS1_11target_archE1100ELNS1_3gpuE3ELNS1_3repE0EEENS1_30default_config_static_selectorELNS0_4arch9wavefront6targetE1EEEvT1_
                                        ; -- End function
	.section	.AMDGPU.csdata,"",@progbits
; Kernel info:
; codeLenInByte = 0
; NumSgprs: 4
; NumVgprs: 0
; NumAgprs: 0
; TotalNumVgprs: 0
; ScratchSize: 0
; MemoryBound: 0
; FloatMode: 240
; IeeeMode: 1
; LDSByteSize: 0 bytes/workgroup (compile time only)
; SGPRBlocks: 0
; VGPRBlocks: 0
; NumSGPRsForWavesPerEU: 4
; NumVGPRsForWavesPerEU: 1
; AccumOffset: 4
; Occupancy: 8
; WaveLimiterHint : 0
; COMPUTE_PGM_RSRC2:SCRATCH_EN: 0
; COMPUTE_PGM_RSRC2:USER_SGPR: 6
; COMPUTE_PGM_RSRC2:TRAP_HANDLER: 0
; COMPUTE_PGM_RSRC2:TGID_X_EN: 1
; COMPUTE_PGM_RSRC2:TGID_Y_EN: 0
; COMPUTE_PGM_RSRC2:TGID_Z_EN: 0
; COMPUTE_PGM_RSRC2:TIDIG_COMP_CNT: 0
; COMPUTE_PGM_RSRC3_GFX90A:ACCUM_OFFSET: 0
; COMPUTE_PGM_RSRC3_GFX90A:TG_SPLIT: 0
	.section	.text._ZN7rocprim17ROCPRIM_400000_NS6detail17trampoline_kernelINS0_14default_configENS1_20scan_config_selectorIsEEZZNS1_9scan_implILNS1_25lookback_scan_determinismE0ELb0ELb1ES3_N6thrust23THRUST_200600_302600_NS6detail15normal_iteratorINS9_10device_ptrIsEEEESE_sNS9_4plusIsEEsEEDaPvRmT3_T4_T5_mT6_P12ihipStream_tbENKUlT_T0_E_clISt17integral_constantIbLb0EESU_EEDaSP_SQ_EUlSP_E0_NS1_11comp_targetILNS1_3genE8ELNS1_11target_archE1030ELNS1_3gpuE2ELNS1_3repE0EEENS1_30default_config_static_selectorELNS0_4arch9wavefront6targetE1EEEvT1_,"axG",@progbits,_ZN7rocprim17ROCPRIM_400000_NS6detail17trampoline_kernelINS0_14default_configENS1_20scan_config_selectorIsEEZZNS1_9scan_implILNS1_25lookback_scan_determinismE0ELb0ELb1ES3_N6thrust23THRUST_200600_302600_NS6detail15normal_iteratorINS9_10device_ptrIsEEEESE_sNS9_4plusIsEEsEEDaPvRmT3_T4_T5_mT6_P12ihipStream_tbENKUlT_T0_E_clISt17integral_constantIbLb0EESU_EEDaSP_SQ_EUlSP_E0_NS1_11comp_targetILNS1_3genE8ELNS1_11target_archE1030ELNS1_3gpuE2ELNS1_3repE0EEENS1_30default_config_static_selectorELNS0_4arch9wavefront6targetE1EEEvT1_,comdat
	.protected	_ZN7rocprim17ROCPRIM_400000_NS6detail17trampoline_kernelINS0_14default_configENS1_20scan_config_selectorIsEEZZNS1_9scan_implILNS1_25lookback_scan_determinismE0ELb0ELb1ES3_N6thrust23THRUST_200600_302600_NS6detail15normal_iteratorINS9_10device_ptrIsEEEESE_sNS9_4plusIsEEsEEDaPvRmT3_T4_T5_mT6_P12ihipStream_tbENKUlT_T0_E_clISt17integral_constantIbLb0EESU_EEDaSP_SQ_EUlSP_E0_NS1_11comp_targetILNS1_3genE8ELNS1_11target_archE1030ELNS1_3gpuE2ELNS1_3repE0EEENS1_30default_config_static_selectorELNS0_4arch9wavefront6targetE1EEEvT1_ ; -- Begin function _ZN7rocprim17ROCPRIM_400000_NS6detail17trampoline_kernelINS0_14default_configENS1_20scan_config_selectorIsEEZZNS1_9scan_implILNS1_25lookback_scan_determinismE0ELb0ELb1ES3_N6thrust23THRUST_200600_302600_NS6detail15normal_iteratorINS9_10device_ptrIsEEEESE_sNS9_4plusIsEEsEEDaPvRmT3_T4_T5_mT6_P12ihipStream_tbENKUlT_T0_E_clISt17integral_constantIbLb0EESU_EEDaSP_SQ_EUlSP_E0_NS1_11comp_targetILNS1_3genE8ELNS1_11target_archE1030ELNS1_3gpuE2ELNS1_3repE0EEENS1_30default_config_static_selectorELNS0_4arch9wavefront6targetE1EEEvT1_
	.globl	_ZN7rocprim17ROCPRIM_400000_NS6detail17trampoline_kernelINS0_14default_configENS1_20scan_config_selectorIsEEZZNS1_9scan_implILNS1_25lookback_scan_determinismE0ELb0ELb1ES3_N6thrust23THRUST_200600_302600_NS6detail15normal_iteratorINS9_10device_ptrIsEEEESE_sNS9_4plusIsEEsEEDaPvRmT3_T4_T5_mT6_P12ihipStream_tbENKUlT_T0_E_clISt17integral_constantIbLb0EESU_EEDaSP_SQ_EUlSP_E0_NS1_11comp_targetILNS1_3genE8ELNS1_11target_archE1030ELNS1_3gpuE2ELNS1_3repE0EEENS1_30default_config_static_selectorELNS0_4arch9wavefront6targetE1EEEvT1_
	.p2align	8
	.type	_ZN7rocprim17ROCPRIM_400000_NS6detail17trampoline_kernelINS0_14default_configENS1_20scan_config_selectorIsEEZZNS1_9scan_implILNS1_25lookback_scan_determinismE0ELb0ELb1ES3_N6thrust23THRUST_200600_302600_NS6detail15normal_iteratorINS9_10device_ptrIsEEEESE_sNS9_4plusIsEEsEEDaPvRmT3_T4_T5_mT6_P12ihipStream_tbENKUlT_T0_E_clISt17integral_constantIbLb0EESU_EEDaSP_SQ_EUlSP_E0_NS1_11comp_targetILNS1_3genE8ELNS1_11target_archE1030ELNS1_3gpuE2ELNS1_3repE0EEENS1_30default_config_static_selectorELNS0_4arch9wavefront6targetE1EEEvT1_,@function
_ZN7rocprim17ROCPRIM_400000_NS6detail17trampoline_kernelINS0_14default_configENS1_20scan_config_selectorIsEEZZNS1_9scan_implILNS1_25lookback_scan_determinismE0ELb0ELb1ES3_N6thrust23THRUST_200600_302600_NS6detail15normal_iteratorINS9_10device_ptrIsEEEESE_sNS9_4plusIsEEsEEDaPvRmT3_T4_T5_mT6_P12ihipStream_tbENKUlT_T0_E_clISt17integral_constantIbLb0EESU_EEDaSP_SQ_EUlSP_E0_NS1_11comp_targetILNS1_3genE8ELNS1_11target_archE1030ELNS1_3gpuE2ELNS1_3repE0EEENS1_30default_config_static_selectorELNS0_4arch9wavefront6targetE1EEEvT1_: ; @_ZN7rocprim17ROCPRIM_400000_NS6detail17trampoline_kernelINS0_14default_configENS1_20scan_config_selectorIsEEZZNS1_9scan_implILNS1_25lookback_scan_determinismE0ELb0ELb1ES3_N6thrust23THRUST_200600_302600_NS6detail15normal_iteratorINS9_10device_ptrIsEEEESE_sNS9_4plusIsEEsEEDaPvRmT3_T4_T5_mT6_P12ihipStream_tbENKUlT_T0_E_clISt17integral_constantIbLb0EESU_EEDaSP_SQ_EUlSP_E0_NS1_11comp_targetILNS1_3genE8ELNS1_11target_archE1030ELNS1_3gpuE2ELNS1_3repE0EEENS1_30default_config_static_selectorELNS0_4arch9wavefront6targetE1EEEvT1_
; %bb.0:
	.section	.rodata,"a",@progbits
	.p2align	6, 0x0
	.amdhsa_kernel _ZN7rocprim17ROCPRIM_400000_NS6detail17trampoline_kernelINS0_14default_configENS1_20scan_config_selectorIsEEZZNS1_9scan_implILNS1_25lookback_scan_determinismE0ELb0ELb1ES3_N6thrust23THRUST_200600_302600_NS6detail15normal_iteratorINS9_10device_ptrIsEEEESE_sNS9_4plusIsEEsEEDaPvRmT3_T4_T5_mT6_P12ihipStream_tbENKUlT_T0_E_clISt17integral_constantIbLb0EESU_EEDaSP_SQ_EUlSP_E0_NS1_11comp_targetILNS1_3genE8ELNS1_11target_archE1030ELNS1_3gpuE2ELNS1_3repE0EEENS1_30default_config_static_selectorELNS0_4arch9wavefront6targetE1EEEvT1_
		.amdhsa_group_segment_fixed_size 0
		.amdhsa_private_segment_fixed_size 0
		.amdhsa_kernarg_size 32
		.amdhsa_user_sgpr_count 6
		.amdhsa_user_sgpr_private_segment_buffer 1
		.amdhsa_user_sgpr_dispatch_ptr 0
		.amdhsa_user_sgpr_queue_ptr 0
		.amdhsa_user_sgpr_kernarg_segment_ptr 1
		.amdhsa_user_sgpr_dispatch_id 0
		.amdhsa_user_sgpr_flat_scratch_init 0
		.amdhsa_user_sgpr_kernarg_preload_length 0
		.amdhsa_user_sgpr_kernarg_preload_offset 0
		.amdhsa_user_sgpr_private_segment_size 0
		.amdhsa_uses_dynamic_stack 0
		.amdhsa_system_sgpr_private_segment_wavefront_offset 0
		.amdhsa_system_sgpr_workgroup_id_x 1
		.amdhsa_system_sgpr_workgroup_id_y 0
		.amdhsa_system_sgpr_workgroup_id_z 0
		.amdhsa_system_sgpr_workgroup_info 0
		.amdhsa_system_vgpr_workitem_id 0
		.amdhsa_next_free_vgpr 1
		.amdhsa_next_free_sgpr 0
		.amdhsa_accum_offset 4
		.amdhsa_reserve_vcc 0
		.amdhsa_reserve_flat_scratch 0
		.amdhsa_float_round_mode_32 0
		.amdhsa_float_round_mode_16_64 0
		.amdhsa_float_denorm_mode_32 3
		.amdhsa_float_denorm_mode_16_64 3
		.amdhsa_dx10_clamp 1
		.amdhsa_ieee_mode 1
		.amdhsa_fp16_overflow 0
		.amdhsa_tg_split 0
		.amdhsa_exception_fp_ieee_invalid_op 0
		.amdhsa_exception_fp_denorm_src 0
		.amdhsa_exception_fp_ieee_div_zero 0
		.amdhsa_exception_fp_ieee_overflow 0
		.amdhsa_exception_fp_ieee_underflow 0
		.amdhsa_exception_fp_ieee_inexact 0
		.amdhsa_exception_int_div_zero 0
	.end_amdhsa_kernel
	.section	.text._ZN7rocprim17ROCPRIM_400000_NS6detail17trampoline_kernelINS0_14default_configENS1_20scan_config_selectorIsEEZZNS1_9scan_implILNS1_25lookback_scan_determinismE0ELb0ELb1ES3_N6thrust23THRUST_200600_302600_NS6detail15normal_iteratorINS9_10device_ptrIsEEEESE_sNS9_4plusIsEEsEEDaPvRmT3_T4_T5_mT6_P12ihipStream_tbENKUlT_T0_E_clISt17integral_constantIbLb0EESU_EEDaSP_SQ_EUlSP_E0_NS1_11comp_targetILNS1_3genE8ELNS1_11target_archE1030ELNS1_3gpuE2ELNS1_3repE0EEENS1_30default_config_static_selectorELNS0_4arch9wavefront6targetE1EEEvT1_,"axG",@progbits,_ZN7rocprim17ROCPRIM_400000_NS6detail17trampoline_kernelINS0_14default_configENS1_20scan_config_selectorIsEEZZNS1_9scan_implILNS1_25lookback_scan_determinismE0ELb0ELb1ES3_N6thrust23THRUST_200600_302600_NS6detail15normal_iteratorINS9_10device_ptrIsEEEESE_sNS9_4plusIsEEsEEDaPvRmT3_T4_T5_mT6_P12ihipStream_tbENKUlT_T0_E_clISt17integral_constantIbLb0EESU_EEDaSP_SQ_EUlSP_E0_NS1_11comp_targetILNS1_3genE8ELNS1_11target_archE1030ELNS1_3gpuE2ELNS1_3repE0EEENS1_30default_config_static_selectorELNS0_4arch9wavefront6targetE1EEEvT1_,comdat
.Lfunc_end1284:
	.size	_ZN7rocprim17ROCPRIM_400000_NS6detail17trampoline_kernelINS0_14default_configENS1_20scan_config_selectorIsEEZZNS1_9scan_implILNS1_25lookback_scan_determinismE0ELb0ELb1ES3_N6thrust23THRUST_200600_302600_NS6detail15normal_iteratorINS9_10device_ptrIsEEEESE_sNS9_4plusIsEEsEEDaPvRmT3_T4_T5_mT6_P12ihipStream_tbENKUlT_T0_E_clISt17integral_constantIbLb0EESU_EEDaSP_SQ_EUlSP_E0_NS1_11comp_targetILNS1_3genE8ELNS1_11target_archE1030ELNS1_3gpuE2ELNS1_3repE0EEENS1_30default_config_static_selectorELNS0_4arch9wavefront6targetE1EEEvT1_, .Lfunc_end1284-_ZN7rocprim17ROCPRIM_400000_NS6detail17trampoline_kernelINS0_14default_configENS1_20scan_config_selectorIsEEZZNS1_9scan_implILNS1_25lookback_scan_determinismE0ELb0ELb1ES3_N6thrust23THRUST_200600_302600_NS6detail15normal_iteratorINS9_10device_ptrIsEEEESE_sNS9_4plusIsEEsEEDaPvRmT3_T4_T5_mT6_P12ihipStream_tbENKUlT_T0_E_clISt17integral_constantIbLb0EESU_EEDaSP_SQ_EUlSP_E0_NS1_11comp_targetILNS1_3genE8ELNS1_11target_archE1030ELNS1_3gpuE2ELNS1_3repE0EEENS1_30default_config_static_selectorELNS0_4arch9wavefront6targetE1EEEvT1_
                                        ; -- End function
	.section	.AMDGPU.csdata,"",@progbits
; Kernel info:
; codeLenInByte = 0
; NumSgprs: 4
; NumVgprs: 0
; NumAgprs: 0
; TotalNumVgprs: 0
; ScratchSize: 0
; MemoryBound: 0
; FloatMode: 240
; IeeeMode: 1
; LDSByteSize: 0 bytes/workgroup (compile time only)
; SGPRBlocks: 0
; VGPRBlocks: 0
; NumSGPRsForWavesPerEU: 4
; NumVGPRsForWavesPerEU: 1
; AccumOffset: 4
; Occupancy: 8
; WaveLimiterHint : 0
; COMPUTE_PGM_RSRC2:SCRATCH_EN: 0
; COMPUTE_PGM_RSRC2:USER_SGPR: 6
; COMPUTE_PGM_RSRC2:TRAP_HANDLER: 0
; COMPUTE_PGM_RSRC2:TGID_X_EN: 1
; COMPUTE_PGM_RSRC2:TGID_Y_EN: 0
; COMPUTE_PGM_RSRC2:TGID_Z_EN: 0
; COMPUTE_PGM_RSRC2:TIDIG_COMP_CNT: 0
; COMPUTE_PGM_RSRC3_GFX90A:ACCUM_OFFSET: 0
; COMPUTE_PGM_RSRC3_GFX90A:TG_SPLIT: 0
	.section	.text._ZN7rocprim17ROCPRIM_400000_NS6detail17trampoline_kernelINS0_14default_configENS1_20scan_config_selectorIsEEZZNS1_9scan_implILNS1_25lookback_scan_determinismE0ELb0ELb1ES3_N6thrust23THRUST_200600_302600_NS6detail15normal_iteratorINS9_10device_ptrIsEEEESE_sNS9_4plusIsEEsEEDaPvRmT3_T4_T5_mT6_P12ihipStream_tbENKUlT_T0_E_clISt17integral_constantIbLb1EESU_EEDaSP_SQ_EUlSP_E_NS1_11comp_targetILNS1_3genE0ELNS1_11target_archE4294967295ELNS1_3gpuE0ELNS1_3repE0EEENS1_30default_config_static_selectorELNS0_4arch9wavefront6targetE1EEEvT1_,"axG",@progbits,_ZN7rocprim17ROCPRIM_400000_NS6detail17trampoline_kernelINS0_14default_configENS1_20scan_config_selectorIsEEZZNS1_9scan_implILNS1_25lookback_scan_determinismE0ELb0ELb1ES3_N6thrust23THRUST_200600_302600_NS6detail15normal_iteratorINS9_10device_ptrIsEEEESE_sNS9_4plusIsEEsEEDaPvRmT3_T4_T5_mT6_P12ihipStream_tbENKUlT_T0_E_clISt17integral_constantIbLb1EESU_EEDaSP_SQ_EUlSP_E_NS1_11comp_targetILNS1_3genE0ELNS1_11target_archE4294967295ELNS1_3gpuE0ELNS1_3repE0EEENS1_30default_config_static_selectorELNS0_4arch9wavefront6targetE1EEEvT1_,comdat
	.protected	_ZN7rocprim17ROCPRIM_400000_NS6detail17trampoline_kernelINS0_14default_configENS1_20scan_config_selectorIsEEZZNS1_9scan_implILNS1_25lookback_scan_determinismE0ELb0ELb1ES3_N6thrust23THRUST_200600_302600_NS6detail15normal_iteratorINS9_10device_ptrIsEEEESE_sNS9_4plusIsEEsEEDaPvRmT3_T4_T5_mT6_P12ihipStream_tbENKUlT_T0_E_clISt17integral_constantIbLb1EESU_EEDaSP_SQ_EUlSP_E_NS1_11comp_targetILNS1_3genE0ELNS1_11target_archE4294967295ELNS1_3gpuE0ELNS1_3repE0EEENS1_30default_config_static_selectorELNS0_4arch9wavefront6targetE1EEEvT1_ ; -- Begin function _ZN7rocprim17ROCPRIM_400000_NS6detail17trampoline_kernelINS0_14default_configENS1_20scan_config_selectorIsEEZZNS1_9scan_implILNS1_25lookback_scan_determinismE0ELb0ELb1ES3_N6thrust23THRUST_200600_302600_NS6detail15normal_iteratorINS9_10device_ptrIsEEEESE_sNS9_4plusIsEEsEEDaPvRmT3_T4_T5_mT6_P12ihipStream_tbENKUlT_T0_E_clISt17integral_constantIbLb1EESU_EEDaSP_SQ_EUlSP_E_NS1_11comp_targetILNS1_3genE0ELNS1_11target_archE4294967295ELNS1_3gpuE0ELNS1_3repE0EEENS1_30default_config_static_selectorELNS0_4arch9wavefront6targetE1EEEvT1_
	.globl	_ZN7rocprim17ROCPRIM_400000_NS6detail17trampoline_kernelINS0_14default_configENS1_20scan_config_selectorIsEEZZNS1_9scan_implILNS1_25lookback_scan_determinismE0ELb0ELb1ES3_N6thrust23THRUST_200600_302600_NS6detail15normal_iteratorINS9_10device_ptrIsEEEESE_sNS9_4plusIsEEsEEDaPvRmT3_T4_T5_mT6_P12ihipStream_tbENKUlT_T0_E_clISt17integral_constantIbLb1EESU_EEDaSP_SQ_EUlSP_E_NS1_11comp_targetILNS1_3genE0ELNS1_11target_archE4294967295ELNS1_3gpuE0ELNS1_3repE0EEENS1_30default_config_static_selectorELNS0_4arch9wavefront6targetE1EEEvT1_
	.p2align	8
	.type	_ZN7rocprim17ROCPRIM_400000_NS6detail17trampoline_kernelINS0_14default_configENS1_20scan_config_selectorIsEEZZNS1_9scan_implILNS1_25lookback_scan_determinismE0ELb0ELb1ES3_N6thrust23THRUST_200600_302600_NS6detail15normal_iteratorINS9_10device_ptrIsEEEESE_sNS9_4plusIsEEsEEDaPvRmT3_T4_T5_mT6_P12ihipStream_tbENKUlT_T0_E_clISt17integral_constantIbLb1EESU_EEDaSP_SQ_EUlSP_E_NS1_11comp_targetILNS1_3genE0ELNS1_11target_archE4294967295ELNS1_3gpuE0ELNS1_3repE0EEENS1_30default_config_static_selectorELNS0_4arch9wavefront6targetE1EEEvT1_,@function
_ZN7rocprim17ROCPRIM_400000_NS6detail17trampoline_kernelINS0_14default_configENS1_20scan_config_selectorIsEEZZNS1_9scan_implILNS1_25lookback_scan_determinismE0ELb0ELb1ES3_N6thrust23THRUST_200600_302600_NS6detail15normal_iteratorINS9_10device_ptrIsEEEESE_sNS9_4plusIsEEsEEDaPvRmT3_T4_T5_mT6_P12ihipStream_tbENKUlT_T0_E_clISt17integral_constantIbLb1EESU_EEDaSP_SQ_EUlSP_E_NS1_11comp_targetILNS1_3genE0ELNS1_11target_archE4294967295ELNS1_3gpuE0ELNS1_3repE0EEENS1_30default_config_static_selectorELNS0_4arch9wavefront6targetE1EEEvT1_: ; @_ZN7rocprim17ROCPRIM_400000_NS6detail17trampoline_kernelINS0_14default_configENS1_20scan_config_selectorIsEEZZNS1_9scan_implILNS1_25lookback_scan_determinismE0ELb0ELb1ES3_N6thrust23THRUST_200600_302600_NS6detail15normal_iteratorINS9_10device_ptrIsEEEESE_sNS9_4plusIsEEsEEDaPvRmT3_T4_T5_mT6_P12ihipStream_tbENKUlT_T0_E_clISt17integral_constantIbLb1EESU_EEDaSP_SQ_EUlSP_E_NS1_11comp_targetILNS1_3genE0ELNS1_11target_archE4294967295ELNS1_3gpuE0ELNS1_3repE0EEENS1_30default_config_static_selectorELNS0_4arch9wavefront6targetE1EEEvT1_
; %bb.0:
	.section	.rodata,"a",@progbits
	.p2align	6, 0x0
	.amdhsa_kernel _ZN7rocprim17ROCPRIM_400000_NS6detail17trampoline_kernelINS0_14default_configENS1_20scan_config_selectorIsEEZZNS1_9scan_implILNS1_25lookback_scan_determinismE0ELb0ELb1ES3_N6thrust23THRUST_200600_302600_NS6detail15normal_iteratorINS9_10device_ptrIsEEEESE_sNS9_4plusIsEEsEEDaPvRmT3_T4_T5_mT6_P12ihipStream_tbENKUlT_T0_E_clISt17integral_constantIbLb1EESU_EEDaSP_SQ_EUlSP_E_NS1_11comp_targetILNS1_3genE0ELNS1_11target_archE4294967295ELNS1_3gpuE0ELNS1_3repE0EEENS1_30default_config_static_selectorELNS0_4arch9wavefront6targetE1EEEvT1_
		.amdhsa_group_segment_fixed_size 0
		.amdhsa_private_segment_fixed_size 0
		.amdhsa_kernarg_size 96
		.amdhsa_user_sgpr_count 6
		.amdhsa_user_sgpr_private_segment_buffer 1
		.amdhsa_user_sgpr_dispatch_ptr 0
		.amdhsa_user_sgpr_queue_ptr 0
		.amdhsa_user_sgpr_kernarg_segment_ptr 1
		.amdhsa_user_sgpr_dispatch_id 0
		.amdhsa_user_sgpr_flat_scratch_init 0
		.amdhsa_user_sgpr_kernarg_preload_length 0
		.amdhsa_user_sgpr_kernarg_preload_offset 0
		.amdhsa_user_sgpr_private_segment_size 0
		.amdhsa_uses_dynamic_stack 0
		.amdhsa_system_sgpr_private_segment_wavefront_offset 0
		.amdhsa_system_sgpr_workgroup_id_x 1
		.amdhsa_system_sgpr_workgroup_id_y 0
		.amdhsa_system_sgpr_workgroup_id_z 0
		.amdhsa_system_sgpr_workgroup_info 0
		.amdhsa_system_vgpr_workitem_id 0
		.amdhsa_next_free_vgpr 1
		.amdhsa_next_free_sgpr 0
		.amdhsa_accum_offset 4
		.amdhsa_reserve_vcc 0
		.amdhsa_reserve_flat_scratch 0
		.amdhsa_float_round_mode_32 0
		.amdhsa_float_round_mode_16_64 0
		.amdhsa_float_denorm_mode_32 3
		.amdhsa_float_denorm_mode_16_64 3
		.amdhsa_dx10_clamp 1
		.amdhsa_ieee_mode 1
		.amdhsa_fp16_overflow 0
		.amdhsa_tg_split 0
		.amdhsa_exception_fp_ieee_invalid_op 0
		.amdhsa_exception_fp_denorm_src 0
		.amdhsa_exception_fp_ieee_div_zero 0
		.amdhsa_exception_fp_ieee_overflow 0
		.amdhsa_exception_fp_ieee_underflow 0
		.amdhsa_exception_fp_ieee_inexact 0
		.amdhsa_exception_int_div_zero 0
	.end_amdhsa_kernel
	.section	.text._ZN7rocprim17ROCPRIM_400000_NS6detail17trampoline_kernelINS0_14default_configENS1_20scan_config_selectorIsEEZZNS1_9scan_implILNS1_25lookback_scan_determinismE0ELb0ELb1ES3_N6thrust23THRUST_200600_302600_NS6detail15normal_iteratorINS9_10device_ptrIsEEEESE_sNS9_4plusIsEEsEEDaPvRmT3_T4_T5_mT6_P12ihipStream_tbENKUlT_T0_E_clISt17integral_constantIbLb1EESU_EEDaSP_SQ_EUlSP_E_NS1_11comp_targetILNS1_3genE0ELNS1_11target_archE4294967295ELNS1_3gpuE0ELNS1_3repE0EEENS1_30default_config_static_selectorELNS0_4arch9wavefront6targetE1EEEvT1_,"axG",@progbits,_ZN7rocprim17ROCPRIM_400000_NS6detail17trampoline_kernelINS0_14default_configENS1_20scan_config_selectorIsEEZZNS1_9scan_implILNS1_25lookback_scan_determinismE0ELb0ELb1ES3_N6thrust23THRUST_200600_302600_NS6detail15normal_iteratorINS9_10device_ptrIsEEEESE_sNS9_4plusIsEEsEEDaPvRmT3_T4_T5_mT6_P12ihipStream_tbENKUlT_T0_E_clISt17integral_constantIbLb1EESU_EEDaSP_SQ_EUlSP_E_NS1_11comp_targetILNS1_3genE0ELNS1_11target_archE4294967295ELNS1_3gpuE0ELNS1_3repE0EEENS1_30default_config_static_selectorELNS0_4arch9wavefront6targetE1EEEvT1_,comdat
.Lfunc_end1285:
	.size	_ZN7rocprim17ROCPRIM_400000_NS6detail17trampoline_kernelINS0_14default_configENS1_20scan_config_selectorIsEEZZNS1_9scan_implILNS1_25lookback_scan_determinismE0ELb0ELb1ES3_N6thrust23THRUST_200600_302600_NS6detail15normal_iteratorINS9_10device_ptrIsEEEESE_sNS9_4plusIsEEsEEDaPvRmT3_T4_T5_mT6_P12ihipStream_tbENKUlT_T0_E_clISt17integral_constantIbLb1EESU_EEDaSP_SQ_EUlSP_E_NS1_11comp_targetILNS1_3genE0ELNS1_11target_archE4294967295ELNS1_3gpuE0ELNS1_3repE0EEENS1_30default_config_static_selectorELNS0_4arch9wavefront6targetE1EEEvT1_, .Lfunc_end1285-_ZN7rocprim17ROCPRIM_400000_NS6detail17trampoline_kernelINS0_14default_configENS1_20scan_config_selectorIsEEZZNS1_9scan_implILNS1_25lookback_scan_determinismE0ELb0ELb1ES3_N6thrust23THRUST_200600_302600_NS6detail15normal_iteratorINS9_10device_ptrIsEEEESE_sNS9_4plusIsEEsEEDaPvRmT3_T4_T5_mT6_P12ihipStream_tbENKUlT_T0_E_clISt17integral_constantIbLb1EESU_EEDaSP_SQ_EUlSP_E_NS1_11comp_targetILNS1_3genE0ELNS1_11target_archE4294967295ELNS1_3gpuE0ELNS1_3repE0EEENS1_30default_config_static_selectorELNS0_4arch9wavefront6targetE1EEEvT1_
                                        ; -- End function
	.section	.AMDGPU.csdata,"",@progbits
; Kernel info:
; codeLenInByte = 0
; NumSgprs: 4
; NumVgprs: 0
; NumAgprs: 0
; TotalNumVgprs: 0
; ScratchSize: 0
; MemoryBound: 0
; FloatMode: 240
; IeeeMode: 1
; LDSByteSize: 0 bytes/workgroup (compile time only)
; SGPRBlocks: 0
; VGPRBlocks: 0
; NumSGPRsForWavesPerEU: 4
; NumVGPRsForWavesPerEU: 1
; AccumOffset: 4
; Occupancy: 8
; WaveLimiterHint : 0
; COMPUTE_PGM_RSRC2:SCRATCH_EN: 0
; COMPUTE_PGM_RSRC2:USER_SGPR: 6
; COMPUTE_PGM_RSRC2:TRAP_HANDLER: 0
; COMPUTE_PGM_RSRC2:TGID_X_EN: 1
; COMPUTE_PGM_RSRC2:TGID_Y_EN: 0
; COMPUTE_PGM_RSRC2:TGID_Z_EN: 0
; COMPUTE_PGM_RSRC2:TIDIG_COMP_CNT: 0
; COMPUTE_PGM_RSRC3_GFX90A:ACCUM_OFFSET: 0
; COMPUTE_PGM_RSRC3_GFX90A:TG_SPLIT: 0
	.section	.text._ZN7rocprim17ROCPRIM_400000_NS6detail17trampoline_kernelINS0_14default_configENS1_20scan_config_selectorIsEEZZNS1_9scan_implILNS1_25lookback_scan_determinismE0ELb0ELb1ES3_N6thrust23THRUST_200600_302600_NS6detail15normal_iteratorINS9_10device_ptrIsEEEESE_sNS9_4plusIsEEsEEDaPvRmT3_T4_T5_mT6_P12ihipStream_tbENKUlT_T0_E_clISt17integral_constantIbLb1EESU_EEDaSP_SQ_EUlSP_E_NS1_11comp_targetILNS1_3genE5ELNS1_11target_archE942ELNS1_3gpuE9ELNS1_3repE0EEENS1_30default_config_static_selectorELNS0_4arch9wavefront6targetE1EEEvT1_,"axG",@progbits,_ZN7rocprim17ROCPRIM_400000_NS6detail17trampoline_kernelINS0_14default_configENS1_20scan_config_selectorIsEEZZNS1_9scan_implILNS1_25lookback_scan_determinismE0ELb0ELb1ES3_N6thrust23THRUST_200600_302600_NS6detail15normal_iteratorINS9_10device_ptrIsEEEESE_sNS9_4plusIsEEsEEDaPvRmT3_T4_T5_mT6_P12ihipStream_tbENKUlT_T0_E_clISt17integral_constantIbLb1EESU_EEDaSP_SQ_EUlSP_E_NS1_11comp_targetILNS1_3genE5ELNS1_11target_archE942ELNS1_3gpuE9ELNS1_3repE0EEENS1_30default_config_static_selectorELNS0_4arch9wavefront6targetE1EEEvT1_,comdat
	.protected	_ZN7rocprim17ROCPRIM_400000_NS6detail17trampoline_kernelINS0_14default_configENS1_20scan_config_selectorIsEEZZNS1_9scan_implILNS1_25lookback_scan_determinismE0ELb0ELb1ES3_N6thrust23THRUST_200600_302600_NS6detail15normal_iteratorINS9_10device_ptrIsEEEESE_sNS9_4plusIsEEsEEDaPvRmT3_T4_T5_mT6_P12ihipStream_tbENKUlT_T0_E_clISt17integral_constantIbLb1EESU_EEDaSP_SQ_EUlSP_E_NS1_11comp_targetILNS1_3genE5ELNS1_11target_archE942ELNS1_3gpuE9ELNS1_3repE0EEENS1_30default_config_static_selectorELNS0_4arch9wavefront6targetE1EEEvT1_ ; -- Begin function _ZN7rocprim17ROCPRIM_400000_NS6detail17trampoline_kernelINS0_14default_configENS1_20scan_config_selectorIsEEZZNS1_9scan_implILNS1_25lookback_scan_determinismE0ELb0ELb1ES3_N6thrust23THRUST_200600_302600_NS6detail15normal_iteratorINS9_10device_ptrIsEEEESE_sNS9_4plusIsEEsEEDaPvRmT3_T4_T5_mT6_P12ihipStream_tbENKUlT_T0_E_clISt17integral_constantIbLb1EESU_EEDaSP_SQ_EUlSP_E_NS1_11comp_targetILNS1_3genE5ELNS1_11target_archE942ELNS1_3gpuE9ELNS1_3repE0EEENS1_30default_config_static_selectorELNS0_4arch9wavefront6targetE1EEEvT1_
	.globl	_ZN7rocprim17ROCPRIM_400000_NS6detail17trampoline_kernelINS0_14default_configENS1_20scan_config_selectorIsEEZZNS1_9scan_implILNS1_25lookback_scan_determinismE0ELb0ELb1ES3_N6thrust23THRUST_200600_302600_NS6detail15normal_iteratorINS9_10device_ptrIsEEEESE_sNS9_4plusIsEEsEEDaPvRmT3_T4_T5_mT6_P12ihipStream_tbENKUlT_T0_E_clISt17integral_constantIbLb1EESU_EEDaSP_SQ_EUlSP_E_NS1_11comp_targetILNS1_3genE5ELNS1_11target_archE942ELNS1_3gpuE9ELNS1_3repE0EEENS1_30default_config_static_selectorELNS0_4arch9wavefront6targetE1EEEvT1_
	.p2align	8
	.type	_ZN7rocprim17ROCPRIM_400000_NS6detail17trampoline_kernelINS0_14default_configENS1_20scan_config_selectorIsEEZZNS1_9scan_implILNS1_25lookback_scan_determinismE0ELb0ELb1ES3_N6thrust23THRUST_200600_302600_NS6detail15normal_iteratorINS9_10device_ptrIsEEEESE_sNS9_4plusIsEEsEEDaPvRmT3_T4_T5_mT6_P12ihipStream_tbENKUlT_T0_E_clISt17integral_constantIbLb1EESU_EEDaSP_SQ_EUlSP_E_NS1_11comp_targetILNS1_3genE5ELNS1_11target_archE942ELNS1_3gpuE9ELNS1_3repE0EEENS1_30default_config_static_selectorELNS0_4arch9wavefront6targetE1EEEvT1_,@function
_ZN7rocprim17ROCPRIM_400000_NS6detail17trampoline_kernelINS0_14default_configENS1_20scan_config_selectorIsEEZZNS1_9scan_implILNS1_25lookback_scan_determinismE0ELb0ELb1ES3_N6thrust23THRUST_200600_302600_NS6detail15normal_iteratorINS9_10device_ptrIsEEEESE_sNS9_4plusIsEEsEEDaPvRmT3_T4_T5_mT6_P12ihipStream_tbENKUlT_T0_E_clISt17integral_constantIbLb1EESU_EEDaSP_SQ_EUlSP_E_NS1_11comp_targetILNS1_3genE5ELNS1_11target_archE942ELNS1_3gpuE9ELNS1_3repE0EEENS1_30default_config_static_selectorELNS0_4arch9wavefront6targetE1EEEvT1_: ; @_ZN7rocprim17ROCPRIM_400000_NS6detail17trampoline_kernelINS0_14default_configENS1_20scan_config_selectorIsEEZZNS1_9scan_implILNS1_25lookback_scan_determinismE0ELb0ELb1ES3_N6thrust23THRUST_200600_302600_NS6detail15normal_iteratorINS9_10device_ptrIsEEEESE_sNS9_4plusIsEEsEEDaPvRmT3_T4_T5_mT6_P12ihipStream_tbENKUlT_T0_E_clISt17integral_constantIbLb1EESU_EEDaSP_SQ_EUlSP_E_NS1_11comp_targetILNS1_3genE5ELNS1_11target_archE942ELNS1_3gpuE9ELNS1_3repE0EEENS1_30default_config_static_selectorELNS0_4arch9wavefront6targetE1EEEvT1_
; %bb.0:
	.section	.rodata,"a",@progbits
	.p2align	6, 0x0
	.amdhsa_kernel _ZN7rocprim17ROCPRIM_400000_NS6detail17trampoline_kernelINS0_14default_configENS1_20scan_config_selectorIsEEZZNS1_9scan_implILNS1_25lookback_scan_determinismE0ELb0ELb1ES3_N6thrust23THRUST_200600_302600_NS6detail15normal_iteratorINS9_10device_ptrIsEEEESE_sNS9_4plusIsEEsEEDaPvRmT3_T4_T5_mT6_P12ihipStream_tbENKUlT_T0_E_clISt17integral_constantIbLb1EESU_EEDaSP_SQ_EUlSP_E_NS1_11comp_targetILNS1_3genE5ELNS1_11target_archE942ELNS1_3gpuE9ELNS1_3repE0EEENS1_30default_config_static_selectorELNS0_4arch9wavefront6targetE1EEEvT1_
		.amdhsa_group_segment_fixed_size 0
		.amdhsa_private_segment_fixed_size 0
		.amdhsa_kernarg_size 96
		.amdhsa_user_sgpr_count 6
		.amdhsa_user_sgpr_private_segment_buffer 1
		.amdhsa_user_sgpr_dispatch_ptr 0
		.amdhsa_user_sgpr_queue_ptr 0
		.amdhsa_user_sgpr_kernarg_segment_ptr 1
		.amdhsa_user_sgpr_dispatch_id 0
		.amdhsa_user_sgpr_flat_scratch_init 0
		.amdhsa_user_sgpr_kernarg_preload_length 0
		.amdhsa_user_sgpr_kernarg_preload_offset 0
		.amdhsa_user_sgpr_private_segment_size 0
		.amdhsa_uses_dynamic_stack 0
		.amdhsa_system_sgpr_private_segment_wavefront_offset 0
		.amdhsa_system_sgpr_workgroup_id_x 1
		.amdhsa_system_sgpr_workgroup_id_y 0
		.amdhsa_system_sgpr_workgroup_id_z 0
		.amdhsa_system_sgpr_workgroup_info 0
		.amdhsa_system_vgpr_workitem_id 0
		.amdhsa_next_free_vgpr 1
		.amdhsa_next_free_sgpr 0
		.amdhsa_accum_offset 4
		.amdhsa_reserve_vcc 0
		.amdhsa_reserve_flat_scratch 0
		.amdhsa_float_round_mode_32 0
		.amdhsa_float_round_mode_16_64 0
		.amdhsa_float_denorm_mode_32 3
		.amdhsa_float_denorm_mode_16_64 3
		.amdhsa_dx10_clamp 1
		.amdhsa_ieee_mode 1
		.amdhsa_fp16_overflow 0
		.amdhsa_tg_split 0
		.amdhsa_exception_fp_ieee_invalid_op 0
		.amdhsa_exception_fp_denorm_src 0
		.amdhsa_exception_fp_ieee_div_zero 0
		.amdhsa_exception_fp_ieee_overflow 0
		.amdhsa_exception_fp_ieee_underflow 0
		.amdhsa_exception_fp_ieee_inexact 0
		.amdhsa_exception_int_div_zero 0
	.end_amdhsa_kernel
	.section	.text._ZN7rocprim17ROCPRIM_400000_NS6detail17trampoline_kernelINS0_14default_configENS1_20scan_config_selectorIsEEZZNS1_9scan_implILNS1_25lookback_scan_determinismE0ELb0ELb1ES3_N6thrust23THRUST_200600_302600_NS6detail15normal_iteratorINS9_10device_ptrIsEEEESE_sNS9_4plusIsEEsEEDaPvRmT3_T4_T5_mT6_P12ihipStream_tbENKUlT_T0_E_clISt17integral_constantIbLb1EESU_EEDaSP_SQ_EUlSP_E_NS1_11comp_targetILNS1_3genE5ELNS1_11target_archE942ELNS1_3gpuE9ELNS1_3repE0EEENS1_30default_config_static_selectorELNS0_4arch9wavefront6targetE1EEEvT1_,"axG",@progbits,_ZN7rocprim17ROCPRIM_400000_NS6detail17trampoline_kernelINS0_14default_configENS1_20scan_config_selectorIsEEZZNS1_9scan_implILNS1_25lookback_scan_determinismE0ELb0ELb1ES3_N6thrust23THRUST_200600_302600_NS6detail15normal_iteratorINS9_10device_ptrIsEEEESE_sNS9_4plusIsEEsEEDaPvRmT3_T4_T5_mT6_P12ihipStream_tbENKUlT_T0_E_clISt17integral_constantIbLb1EESU_EEDaSP_SQ_EUlSP_E_NS1_11comp_targetILNS1_3genE5ELNS1_11target_archE942ELNS1_3gpuE9ELNS1_3repE0EEENS1_30default_config_static_selectorELNS0_4arch9wavefront6targetE1EEEvT1_,comdat
.Lfunc_end1286:
	.size	_ZN7rocprim17ROCPRIM_400000_NS6detail17trampoline_kernelINS0_14default_configENS1_20scan_config_selectorIsEEZZNS1_9scan_implILNS1_25lookback_scan_determinismE0ELb0ELb1ES3_N6thrust23THRUST_200600_302600_NS6detail15normal_iteratorINS9_10device_ptrIsEEEESE_sNS9_4plusIsEEsEEDaPvRmT3_T4_T5_mT6_P12ihipStream_tbENKUlT_T0_E_clISt17integral_constantIbLb1EESU_EEDaSP_SQ_EUlSP_E_NS1_11comp_targetILNS1_3genE5ELNS1_11target_archE942ELNS1_3gpuE9ELNS1_3repE0EEENS1_30default_config_static_selectorELNS0_4arch9wavefront6targetE1EEEvT1_, .Lfunc_end1286-_ZN7rocprim17ROCPRIM_400000_NS6detail17trampoline_kernelINS0_14default_configENS1_20scan_config_selectorIsEEZZNS1_9scan_implILNS1_25lookback_scan_determinismE0ELb0ELb1ES3_N6thrust23THRUST_200600_302600_NS6detail15normal_iteratorINS9_10device_ptrIsEEEESE_sNS9_4plusIsEEsEEDaPvRmT3_T4_T5_mT6_P12ihipStream_tbENKUlT_T0_E_clISt17integral_constantIbLb1EESU_EEDaSP_SQ_EUlSP_E_NS1_11comp_targetILNS1_3genE5ELNS1_11target_archE942ELNS1_3gpuE9ELNS1_3repE0EEENS1_30default_config_static_selectorELNS0_4arch9wavefront6targetE1EEEvT1_
                                        ; -- End function
	.section	.AMDGPU.csdata,"",@progbits
; Kernel info:
; codeLenInByte = 0
; NumSgprs: 4
; NumVgprs: 0
; NumAgprs: 0
; TotalNumVgprs: 0
; ScratchSize: 0
; MemoryBound: 0
; FloatMode: 240
; IeeeMode: 1
; LDSByteSize: 0 bytes/workgroup (compile time only)
; SGPRBlocks: 0
; VGPRBlocks: 0
; NumSGPRsForWavesPerEU: 4
; NumVGPRsForWavesPerEU: 1
; AccumOffset: 4
; Occupancy: 8
; WaveLimiterHint : 0
; COMPUTE_PGM_RSRC2:SCRATCH_EN: 0
; COMPUTE_PGM_RSRC2:USER_SGPR: 6
; COMPUTE_PGM_RSRC2:TRAP_HANDLER: 0
; COMPUTE_PGM_RSRC2:TGID_X_EN: 1
; COMPUTE_PGM_RSRC2:TGID_Y_EN: 0
; COMPUTE_PGM_RSRC2:TGID_Z_EN: 0
; COMPUTE_PGM_RSRC2:TIDIG_COMP_CNT: 0
; COMPUTE_PGM_RSRC3_GFX90A:ACCUM_OFFSET: 0
; COMPUTE_PGM_RSRC3_GFX90A:TG_SPLIT: 0
	.section	.text._ZN7rocprim17ROCPRIM_400000_NS6detail17trampoline_kernelINS0_14default_configENS1_20scan_config_selectorIsEEZZNS1_9scan_implILNS1_25lookback_scan_determinismE0ELb0ELb1ES3_N6thrust23THRUST_200600_302600_NS6detail15normal_iteratorINS9_10device_ptrIsEEEESE_sNS9_4plusIsEEsEEDaPvRmT3_T4_T5_mT6_P12ihipStream_tbENKUlT_T0_E_clISt17integral_constantIbLb1EESU_EEDaSP_SQ_EUlSP_E_NS1_11comp_targetILNS1_3genE4ELNS1_11target_archE910ELNS1_3gpuE8ELNS1_3repE0EEENS1_30default_config_static_selectorELNS0_4arch9wavefront6targetE1EEEvT1_,"axG",@progbits,_ZN7rocprim17ROCPRIM_400000_NS6detail17trampoline_kernelINS0_14default_configENS1_20scan_config_selectorIsEEZZNS1_9scan_implILNS1_25lookback_scan_determinismE0ELb0ELb1ES3_N6thrust23THRUST_200600_302600_NS6detail15normal_iteratorINS9_10device_ptrIsEEEESE_sNS9_4plusIsEEsEEDaPvRmT3_T4_T5_mT6_P12ihipStream_tbENKUlT_T0_E_clISt17integral_constantIbLb1EESU_EEDaSP_SQ_EUlSP_E_NS1_11comp_targetILNS1_3genE4ELNS1_11target_archE910ELNS1_3gpuE8ELNS1_3repE0EEENS1_30default_config_static_selectorELNS0_4arch9wavefront6targetE1EEEvT1_,comdat
	.protected	_ZN7rocprim17ROCPRIM_400000_NS6detail17trampoline_kernelINS0_14default_configENS1_20scan_config_selectorIsEEZZNS1_9scan_implILNS1_25lookback_scan_determinismE0ELb0ELb1ES3_N6thrust23THRUST_200600_302600_NS6detail15normal_iteratorINS9_10device_ptrIsEEEESE_sNS9_4plusIsEEsEEDaPvRmT3_T4_T5_mT6_P12ihipStream_tbENKUlT_T0_E_clISt17integral_constantIbLb1EESU_EEDaSP_SQ_EUlSP_E_NS1_11comp_targetILNS1_3genE4ELNS1_11target_archE910ELNS1_3gpuE8ELNS1_3repE0EEENS1_30default_config_static_selectorELNS0_4arch9wavefront6targetE1EEEvT1_ ; -- Begin function _ZN7rocprim17ROCPRIM_400000_NS6detail17trampoline_kernelINS0_14default_configENS1_20scan_config_selectorIsEEZZNS1_9scan_implILNS1_25lookback_scan_determinismE0ELb0ELb1ES3_N6thrust23THRUST_200600_302600_NS6detail15normal_iteratorINS9_10device_ptrIsEEEESE_sNS9_4plusIsEEsEEDaPvRmT3_T4_T5_mT6_P12ihipStream_tbENKUlT_T0_E_clISt17integral_constantIbLb1EESU_EEDaSP_SQ_EUlSP_E_NS1_11comp_targetILNS1_3genE4ELNS1_11target_archE910ELNS1_3gpuE8ELNS1_3repE0EEENS1_30default_config_static_selectorELNS0_4arch9wavefront6targetE1EEEvT1_
	.globl	_ZN7rocprim17ROCPRIM_400000_NS6detail17trampoline_kernelINS0_14default_configENS1_20scan_config_selectorIsEEZZNS1_9scan_implILNS1_25lookback_scan_determinismE0ELb0ELb1ES3_N6thrust23THRUST_200600_302600_NS6detail15normal_iteratorINS9_10device_ptrIsEEEESE_sNS9_4plusIsEEsEEDaPvRmT3_T4_T5_mT6_P12ihipStream_tbENKUlT_T0_E_clISt17integral_constantIbLb1EESU_EEDaSP_SQ_EUlSP_E_NS1_11comp_targetILNS1_3genE4ELNS1_11target_archE910ELNS1_3gpuE8ELNS1_3repE0EEENS1_30default_config_static_selectorELNS0_4arch9wavefront6targetE1EEEvT1_
	.p2align	8
	.type	_ZN7rocprim17ROCPRIM_400000_NS6detail17trampoline_kernelINS0_14default_configENS1_20scan_config_selectorIsEEZZNS1_9scan_implILNS1_25lookback_scan_determinismE0ELb0ELb1ES3_N6thrust23THRUST_200600_302600_NS6detail15normal_iteratorINS9_10device_ptrIsEEEESE_sNS9_4plusIsEEsEEDaPvRmT3_T4_T5_mT6_P12ihipStream_tbENKUlT_T0_E_clISt17integral_constantIbLb1EESU_EEDaSP_SQ_EUlSP_E_NS1_11comp_targetILNS1_3genE4ELNS1_11target_archE910ELNS1_3gpuE8ELNS1_3repE0EEENS1_30default_config_static_selectorELNS0_4arch9wavefront6targetE1EEEvT1_,@function
_ZN7rocprim17ROCPRIM_400000_NS6detail17trampoline_kernelINS0_14default_configENS1_20scan_config_selectorIsEEZZNS1_9scan_implILNS1_25lookback_scan_determinismE0ELb0ELb1ES3_N6thrust23THRUST_200600_302600_NS6detail15normal_iteratorINS9_10device_ptrIsEEEESE_sNS9_4plusIsEEsEEDaPvRmT3_T4_T5_mT6_P12ihipStream_tbENKUlT_T0_E_clISt17integral_constantIbLb1EESU_EEDaSP_SQ_EUlSP_E_NS1_11comp_targetILNS1_3genE4ELNS1_11target_archE910ELNS1_3gpuE8ELNS1_3repE0EEENS1_30default_config_static_selectorELNS0_4arch9wavefront6targetE1EEEvT1_: ; @_ZN7rocprim17ROCPRIM_400000_NS6detail17trampoline_kernelINS0_14default_configENS1_20scan_config_selectorIsEEZZNS1_9scan_implILNS1_25lookback_scan_determinismE0ELb0ELb1ES3_N6thrust23THRUST_200600_302600_NS6detail15normal_iteratorINS9_10device_ptrIsEEEESE_sNS9_4plusIsEEsEEDaPvRmT3_T4_T5_mT6_P12ihipStream_tbENKUlT_T0_E_clISt17integral_constantIbLb1EESU_EEDaSP_SQ_EUlSP_E_NS1_11comp_targetILNS1_3genE4ELNS1_11target_archE910ELNS1_3gpuE8ELNS1_3repE0EEENS1_30default_config_static_selectorELNS0_4arch9wavefront6targetE1EEEvT1_
; %bb.0:
	s_load_dwordx2 s[10:11], s[4:5], 0x28
	v_cmp_ne_u32_e64 s[0:1], 0, v0
	v_cmp_eq_u32_e64 s[2:3], 0, v0
	s_and_saveexec_b64 s[6:7], s[2:3]
	s_cbranch_execz .LBB1287_4
; %bb.1:
	s_mov_b64 s[12:13], exec
	v_mbcnt_lo_u32_b32 v1, s12, 0
	v_mbcnt_hi_u32_b32 v1, s13, v1
	v_cmp_eq_u32_e32 vcc, 0, v1
                                        ; implicit-def: $vgpr2
	s_and_saveexec_b64 s[8:9], vcc
	s_cbranch_execz .LBB1287_3
; %bb.2:
	s_load_dwordx2 s[14:15], s[4:5], 0x58
	s_bcnt1_i32_b64 s12, s[12:13]
	v_mov_b32_e32 v2, 0
	v_mov_b32_e32 v3, s12
	s_waitcnt lgkmcnt(0)
	global_atomic_add v2, v2, v3, s[14:15] glc
.LBB1287_3:
	s_or_b64 exec, exec, s[8:9]
	s_waitcnt vmcnt(0)
	v_readfirstlane_b32 s8, v2
	v_add_u32_e32 v1, s8, v1
	v_mov_b32_e32 v2, 0
	ds_write_b32 v2, v1
.LBB1287_4:
	s_or_b64 exec, exec, s[6:7]
	s_load_dwordx8 s[20:27], s[4:5], 0x0
	s_load_dword s33, s[4:5], 0x20
	s_load_dword s6, s[4:5], 0x30
	s_load_dwordx8 s[12:19], s[4:5], 0x38
	v_mov_b32_e32 v1, 0
	s_waitcnt lgkmcnt(0)
	; wave barrier
	s_waitcnt lgkmcnt(0)
	ds_read_b32 v1, v1
	s_lshl_b64 s[22:23], s[22:23], 1
	s_add_u32 s7, s20, s22
	s_addc_u32 s8, s21, s23
	s_add_i32 s6, s6, -1
	s_mul_i32 s9, s6, 0x600
	s_sub_u32 s30, s26, s9
	s_waitcnt lgkmcnt(0)
	v_readfirstlane_b32 s34, v1
	s_subb_u32 s31, s27, 0
	s_mul_i32 s4, s34, 0x600
	s_mov_b32 s5, 0
	s_cmp_lg_u32 s34, s6
	s_cselect_b64 s[20:21], -1, 0
	s_lshl_b64 s[26:27], s[4:5], 1
	s_add_u32 s6, s7, s26
	s_addc_u32 s7, s8, s27
	s_mov_b64 s[4:5], -1
	s_and_b64 vcc, exec, s[20:21]
	v_lshlrev_b32_e32 v20, 1, v0
	s_waitcnt lgkmcnt(0)
	; wave barrier
	s_cbranch_vccz .LBB1287_6
; %bb.5:
	v_mov_b32_e32 v1, s7
	v_add_co_u32_e32 v2, vcc, s6, v20
	v_addc_co_u32_e32 v3, vcc, 0, v1, vcc
	flat_load_ushort v1, v[2:3]
	flat_load_ushort v4, v[2:3] offset:128
	flat_load_ushort v5, v[2:3] offset:256
	;; [unrolled: 1-line block ×23, first 2 shown]
	s_mov_b64 s[4:5], 0
	s_waitcnt vmcnt(0) lgkmcnt(0)
	ds_write_b16 v20, v1
	ds_write_b16 v20, v4 offset:128
	ds_write_b16 v20, v5 offset:256
	;; [unrolled: 1-line block ×23, first 2 shown]
	s_waitcnt lgkmcnt(0)
	; wave barrier
.LBB1287_6:
	s_andn2_b64 vcc, exec, s[4:5]
	v_cmp_gt_u32_e64 s[4:5], s30, v0
	s_cbranch_vccnz .LBB1287_56
; %bb.7:
	v_pk_mov_b32 v[2:3], s[6:7], s[6:7] op_sel:[0,1]
	flat_load_ushort v1, v[2:3]
	s_waitcnt vmcnt(0) lgkmcnt(0)
	v_mov_b32_e32 v2, v1
	s_and_saveexec_b64 s[8:9], s[4:5]
	s_cbranch_execz .LBB1287_9
; %bb.8:
	v_mov_b32_e32 v3, s7
	v_add_co_u32_e32 v2, vcc, s6, v20
	v_addc_co_u32_e32 v3, vcc, 0, v3, vcc
	flat_load_ushort v2, v[2:3]
.LBB1287_9:
	s_or_b64 exec, exec, s[8:9]
	v_or_b32_e32 v3, 64, v0
	v_cmp_gt_u32_e32 vcc, s30, v3
	v_mov_b32_e32 v3, v1
	s_and_saveexec_b64 s[4:5], vcc
	s_cbranch_execz .LBB1287_11
; %bb.10:
	v_mov_b32_e32 v3, s7
	v_add_co_u32_e32 v4, vcc, s6, v20
	v_addc_co_u32_e32 v5, vcc, 0, v3, vcc
	flat_load_ushort v3, v[4:5] offset:128
.LBB1287_11:
	s_or_b64 exec, exec, s[4:5]
	v_or_b32_e32 v4, 0x80, v0
	v_cmp_gt_u32_e32 vcc, s30, v4
	v_mov_b32_e32 v4, v1
	s_and_saveexec_b64 s[4:5], vcc
	s_cbranch_execz .LBB1287_13
; %bb.12:
	v_mov_b32_e32 v5, s7
	v_add_co_u32_e32 v4, vcc, s6, v20
	v_addc_co_u32_e32 v5, vcc, 0, v5, vcc
	flat_load_ushort v4, v[4:5] offset:256
.LBB1287_13:
	;; [unrolled: 12-line block ×22, first 2 shown]
	s_or_b64 exec, exec, s[4:5]
	v_or_b32_e32 v26, 0x5c0, v0
	v_cmp_gt_u32_e32 vcc, s30, v26
	s_and_saveexec_b64 s[4:5], vcc
	s_cbranch_execz .LBB1287_55
; %bb.54:
	v_mov_b32_e32 v1, s7
	v_add_co_u32_e32 v26, vcc, s6, v20
	v_addc_co_u32_e32 v27, vcc, 0, v1, vcc
	flat_load_ushort v1, v[26:27] offset:2944
.LBB1287_55:
	s_or_b64 exec, exec, s[4:5]
	s_waitcnt vmcnt(0) lgkmcnt(0)
	ds_write_b16 v20, v2
	ds_write_b16 v20, v3 offset:128
	ds_write_b16 v20, v4 offset:256
	;; [unrolled: 1-line block ×23, first 2 shown]
	s_waitcnt lgkmcnt(0)
	; wave barrier
.LBB1287_56:
	v_mul_u32_u24_e32 v21, 24, v0
	v_lshlrev_b32_e32 v1, 1, v21
	s_waitcnt lgkmcnt(0)
	ds_read_b128 v[10:13], v1
	ds_read_b128 v[6:9], v1 offset:16
	ds_read_b128 v[2:5], v1 offset:32
	s_cmp_lg_u32 s34, 0
	v_mbcnt_lo_u32_b32 v22, -1, 0
	v_cmp_eq_u32_e32 vcc, 63, v0
	s_waitcnt lgkmcnt(0)
	; wave barrier
	s_waitcnt lgkmcnt(0)
	s_cbranch_scc0 .LBB1287_83
; %bb.57:
	v_add_u16_sdwa v14, v10, v10 dst_sel:DWORD dst_unused:UNUSED_PAD src0_sel:WORD_1 src1_sel:DWORD
	v_add_u16_e32 v14, v14, v11
	v_add_u16_sdwa v14, v14, v11 dst_sel:DWORD dst_unused:UNUSED_PAD src0_sel:DWORD src1_sel:WORD_1
	v_add_u16_e32 v14, v14, v12
	v_add_u16_sdwa v14, v14, v12 dst_sel:DWORD dst_unused:UNUSED_PAD src0_sel:DWORD src1_sel:WORD_1
	v_add_u16_e32 v14, v14, v13
	v_add_u16_sdwa v14, v14, v13 dst_sel:DWORD dst_unused:UNUSED_PAD src0_sel:DWORD src1_sel:WORD_1
	v_add_u16_e32 v14, v14, v6
	v_add_u16_sdwa v14, v14, v6 dst_sel:DWORD dst_unused:UNUSED_PAD src0_sel:DWORD src1_sel:WORD_1
	v_add_u16_e32 v14, v14, v7
	v_add_u16_sdwa v14, v14, v7 dst_sel:DWORD dst_unused:UNUSED_PAD src0_sel:DWORD src1_sel:WORD_1
	v_add_u16_e32 v14, v14, v8
	v_add_u16_sdwa v14, v14, v8 dst_sel:DWORD dst_unused:UNUSED_PAD src0_sel:DWORD src1_sel:WORD_1
	v_add_u16_e32 v14, v14, v9
	v_add_u16_sdwa v14, v14, v9 dst_sel:DWORD dst_unused:UNUSED_PAD src0_sel:DWORD src1_sel:WORD_1
	v_add_u16_e32 v14, v14, v2
	v_add_u16_sdwa v14, v14, v2 dst_sel:DWORD dst_unused:UNUSED_PAD src0_sel:DWORD src1_sel:WORD_1
	v_add_u16_e32 v14, v14, v3
	v_add_u16_sdwa v14, v14, v3 dst_sel:DWORD dst_unused:UNUSED_PAD src0_sel:DWORD src1_sel:WORD_1
	v_add_u16_e32 v14, v14, v4
	v_add_u16_sdwa v14, v14, v4 dst_sel:DWORD dst_unused:UNUSED_PAD src0_sel:DWORD src1_sel:WORD_1
	v_add_u16_e32 v14, v14, v5
	v_mbcnt_hi_u32_b32 v15, -1, v22
	v_add_u16_sdwa v14, v14, v5 dst_sel:DWORD dst_unused:UNUSED_PAD src0_sel:DWORD src1_sel:WORD_1
	v_and_b32_e32 v16, 15, v15
	v_cmp_ne_u32_e64 s[4:5], 0, v16
	v_mov_b32_dpp v17, v14 row_shr:1 row_mask:0xf bank_mask:0xf
	v_cndmask_b32_e64 v17, 0, v17, s[4:5]
	v_add_u16_e32 v14, v17, v14
	v_cmp_lt_u32_e64 s[4:5], 1, v16
	s_nop 0
	v_mov_b32_dpp v17, v14 row_shr:2 row_mask:0xf bank_mask:0xf
	v_cndmask_b32_e64 v17, 0, v17, s[4:5]
	v_add_u16_e32 v14, v14, v17
	v_cmp_lt_u32_e64 s[4:5], 3, v16
	s_nop 0
	;; [unrolled: 5-line block ×3, first 2 shown]
	v_mov_b32_dpp v17, v14 row_shr:8 row_mask:0xf bank_mask:0xf
	v_cndmask_b32_e64 v16, 0, v17, s[4:5]
	v_add_u16_e32 v14, v14, v16
	v_and_b32_e32 v17, 16, v15
	v_cmp_ne_u32_e64 s[4:5], 0, v17
	v_mov_b32_dpp v16, v14 row_bcast:15 row_mask:0xf bank_mask:0xf
	v_cndmask_b32_e64 v16, 0, v16, s[4:5]
	v_add_u16_e32 v14, v14, v16
	v_cmp_lt_u32_e64 s[4:5], 31, v15
	s_nop 0
	v_mov_b32_dpp v16, v14 row_bcast:31 row_mask:0xf bank_mask:0xf
	v_cndmask_b32_e64 v16, 0, v16, s[4:5]
	v_add_u16_e32 v14, v14, v16
	s_and_saveexec_b64 s[4:5], vcc
	s_cbranch_execz .LBB1287_59
; %bb.58:
	v_mov_b32_e32 v16, 0
	ds_write_b16 v16, v14
.LBB1287_59:
	s_or_b64 exec, exec, s[4:5]
	v_add_u32_e32 v16, -1, v15
	v_and_b32_e32 v17, 64, v15
	v_cmp_lt_i32_e32 vcc, v16, v17
	v_cndmask_b32_e32 v16, v16, v15, vcc
	v_lshlrev_b32_e32 v16, 2, v16
	ds_bpermute_b32 v23, v16, v14
	v_cmp_gt_u32_e32 vcc, 64, v0
	s_waitcnt lgkmcnt(0)
	; wave barrier
	s_waitcnt lgkmcnt(0)
	s_and_saveexec_b64 s[28:29], vcc
	s_cbranch_execz .LBB1287_82
; %bb.60:
	v_mov_b32_e32 v19, 0
	ds_read_u16 v24, v19
	s_mov_b32 s9, 0
	v_cmp_eq_u32_e64 s[4:5], 0, v15
	s_and_saveexec_b64 s[6:7], s[4:5]
	s_cbranch_execz .LBB1287_62
; %bb.61:
	s_add_i32 s8, s34, 64
	s_lshl_b64 s[8:9], s[8:9], 2
	s_add_u32 s8, s10, s8
	s_waitcnt lgkmcnt(0)
	v_or_b32_e32 v14, 0x10000, v24
	s_addc_u32 s9, s11, s9
	global_store_dword v19, v14, s[8:9]
.LBB1287_62:
	s_or_b64 exec, exec, s[6:7]
	v_xad_u32 v14, v15, -1, s34
	v_add_u32_e32 v18, 64, v14
	v_lshlrev_b64 v[16:17], 2, v[18:19]
	v_mov_b32_e32 v18, s11
	v_add_co_u32_e32 v16, vcc, s10, v16
	v_addc_co_u32_e32 v17, vcc, v18, v17, vcc
	global_load_dword v18, v[16:17], off glc
	s_waitcnt vmcnt(0)
	v_lshrrev_b32_e32 v28, 16, v18
	v_cmp_eq_u16_sdwa s[8:9], v28, v19 src0_sel:BYTE_0 src1_sel:DWORD
	s_and_saveexec_b64 s[6:7], s[8:9]
	s_cbranch_execz .LBB1287_68
; %bb.63:
	s_mov_b32 s35, 1
	s_mov_b64 s[8:9], 0
	v_mov_b32_e32 v19, 0
.LBB1287_64:                            ; =>This Loop Header: Depth=1
                                        ;     Child Loop BB1287_65 Depth 2
	s_max_u32 s36, s35, 1
.LBB1287_65:                            ;   Parent Loop BB1287_64 Depth=1
                                        ; =>  This Inner Loop Header: Depth=2
	s_add_i32 s36, s36, -1
	s_cmp_eq_u32 s36, 0
	s_sleep 1
	s_cbranch_scc0 .LBB1287_65
; %bb.66:                               ;   in Loop: Header=BB1287_64 Depth=1
	global_load_dword v18, v[16:17], off glc
	s_cmp_lt_u32 s35, 32
	s_cselect_b64 s[36:37], -1, 0
	s_cmp_lg_u64 s[36:37], 0
	s_addc_u32 s35, s35, 0
	s_waitcnt vmcnt(0)
	v_lshrrev_b32_e32 v28, 16, v18
	v_cmp_ne_u16_sdwa s[36:37], v28, v19 src0_sel:BYTE_0 src1_sel:DWORD
	s_or_b64 s[8:9], s[36:37], s[8:9]
	s_andn2_b64 exec, exec, s[8:9]
	s_cbranch_execnz .LBB1287_64
; %bb.67:
	s_or_b64 exec, exec, s[8:9]
.LBB1287_68:
	s_or_b64 exec, exec, s[6:7]
	v_and_b32_e32 v26, 63, v15
	v_cmp_ne_u32_e32 vcc, 63, v26
	v_mov_b32_e32 v25, 2
	v_addc_co_u32_e32 v27, vcc, 0, v15, vcc
	v_cmp_eq_u16_sdwa s[6:7], v28, v25 src0_sel:BYTE_0 src1_sel:DWORD
	v_lshlrev_b64 v[16:17], v15, -1
	v_and_b32_e32 v30, 0xffff, v18
	v_lshlrev_b32_e32 v27, 2, v27
	v_and_b32_e32 v19, s7, v17
	ds_bpermute_b32 v31, v27, v30
	v_or_b32_e32 v19, 0x80000000, v19
	v_and_b32_e32 v29, s6, v16
	v_ffbl_b32_e32 v19, v19
	v_add_u32_e32 v19, 32, v19
	v_ffbl_b32_e32 v29, v29
	v_cmp_gt_u32_e64 s[6:7], 62, v26
	v_min_u32_e32 v19, v29, v19
	v_cndmask_b32_e64 v29, 0, 1, s[6:7]
	s_waitcnt lgkmcnt(0)
	v_add_u16_e32 v31, v31, v18
	v_cmp_lt_u32_e32 vcc, v26, v19
	v_lshlrev_b32_e32 v29, 1, v29
	v_cndmask_b32_e32 v32, v30, v31, vcc
	v_add_lshl_u32 v29, v29, v15, 2
	ds_bpermute_b32 v33, v29, v32
	v_cmp_gt_u32_e64 s[8:9], 60, v26
	v_cndmask_b32_e32 v34, v18, v31, vcc
	v_add_u32_e32 v30, 2, v26
	v_cndmask_b32_e64 v31, 0, 1, s[8:9]
	s_waitcnt lgkmcnt(0)
	v_add_u16_e32 v33, v34, v33
	v_cmp_gt_u32_e64 s[6:7], v30, v19
	v_lshlrev_b32_e32 v31, 2, v31
	v_cndmask_b32_e64 v35, v33, v32, s[6:7]
	v_add_lshl_u32 v31, v31, v15, 2
	ds_bpermute_b32 v36, v31, v35
	v_cmp_gt_u32_e64 s[8:9], 56, v26
	v_cndmask_b32_e64 v34, v33, v34, s[6:7]
	v_add_u32_e32 v32, 4, v26
	v_cndmask_b32_e64 v33, 0, 1, s[8:9]
	s_waitcnt lgkmcnt(0)
	v_add_u16_e32 v36, v34, v36
	v_cmp_gt_u32_e64 s[6:7], v32, v19
	v_lshlrev_b32_e32 v33, 3, v33
	v_cndmask_b32_e64 v35, v36, v35, s[6:7]
	v_add_lshl_u32 v33, v33, v15, 2
	ds_bpermute_b32 v37, v33, v35
	v_cndmask_b32_e64 v36, v36, v34, s[6:7]
	v_add_u32_e32 v34, 8, v26
	v_cmp_gt_u32_e64 s[6:7], v34, v19
	v_cmp_gt_u32_e64 s[8:9], 48, v26
	s_waitcnt lgkmcnt(0)
	v_add_u16_e32 v37, v36, v37
	v_cndmask_b32_e64 v38, v37, v35, s[6:7]
	v_cndmask_b32_e64 v35, 0, 1, s[8:9]
	v_lshlrev_b32_e32 v35, 4, v35
	v_add_lshl_u32 v35, v35, v15, 2
	ds_bpermute_b32 v39, v35, v38
	v_cndmask_b32_e64 v37, v37, v36, s[6:7]
	v_add_u32_e32 v36, 16, v26
	v_cmp_gt_u32_e64 s[6:7], v36, v19
	v_cmp_gt_u32_e64 s[8:9], 32, v26
	s_waitcnt lgkmcnt(0)
	v_add_u16_e32 v40, v37, v39
	v_cndmask_b32_e64 v39, v40, v38, s[6:7]
	v_cndmask_b32_e64 v38, 0, 1, s[8:9]
	v_lshlrev_b32_e32 v38, 5, v38
	v_add_lshl_u32 v38, v38, v15, 2
	ds_bpermute_b32 v15, v38, v39
	v_add_u32_e32 v39, 32, v26
	v_cndmask_b32_e64 v37, v40, v37, s[6:7]
	v_cmp_le_u32_e64 s[6:7], v39, v19
	s_waitcnt lgkmcnt(0)
	v_cndmask_b32_e64 v15, 0, v15, s[6:7]
	v_add_u16_e32 v15, v37, v15
	v_cndmask_b32_e32 v18, v18, v15, vcc
	v_mov_b32_e32 v15, 0
	s_branch .LBB1287_70
.LBB1287_69:                            ;   in Loop: Header=BB1287_70 Depth=1
	s_or_b64 exec, exec, s[6:7]
	v_cmp_eq_u16_sdwa s[6:7], v28, v25 src0_sel:BYTE_0 src1_sel:DWORD
	v_and_b32_e32 v41, 0xffff, v40
	v_and_b32_e32 v18, s7, v17
	ds_bpermute_b32 v42, v27, v41
	v_or_b32_e32 v18, 0x80000000, v18
	v_and_b32_e32 v19, s6, v16
	v_ffbl_b32_e32 v18, v18
	v_add_u32_e32 v18, 32, v18
	v_ffbl_b32_e32 v19, v19
	v_min_u32_e32 v18, v19, v18
	s_waitcnt lgkmcnt(0)
	v_add_u16_e32 v19, v42, v40
	v_cmp_lt_u32_e32 vcc, v26, v18
	v_cndmask_b32_e32 v41, v41, v19, vcc
	ds_bpermute_b32 v42, v29, v41
	v_cndmask_b32_e32 v19, v40, v19, vcc
	v_cmp_gt_u32_e64 s[6:7], v30, v18
	v_subrev_u32_e32 v14, 64, v14
	s_waitcnt lgkmcnt(0)
	v_add_u16_e32 v42, v19, v42
	v_cndmask_b32_e64 v41, v42, v41, s[6:7]
	ds_bpermute_b32 v43, v31, v41
	v_cndmask_b32_e64 v19, v42, v19, s[6:7]
	v_cmp_gt_u32_e64 s[6:7], v32, v18
	s_waitcnt lgkmcnt(0)
	v_add_u16_e32 v42, v19, v43
	v_cndmask_b32_e64 v41, v42, v41, s[6:7]
	ds_bpermute_b32 v43, v33, v41
	v_cndmask_b32_e64 v19, v42, v19, s[6:7]
	v_cmp_gt_u32_e64 s[6:7], v34, v18
	;; [unrolled: 6-line block ×3, first 2 shown]
	s_waitcnt lgkmcnt(0)
	v_add_u16_e32 v42, v19, v43
	v_cndmask_b32_e64 v41, v42, v41, s[6:7]
	ds_bpermute_b32 v41, v38, v41
	v_cndmask_b32_e64 v19, v42, v19, s[6:7]
	v_cmp_le_u32_e64 s[6:7], v39, v18
	s_waitcnt lgkmcnt(0)
	v_cndmask_b32_e64 v18, 0, v41, s[6:7]
	v_add_u16_e32 v18, v19, v18
	v_cndmask_b32_e32 v18, v40, v18, vcc
	v_add_u16_e32 v18, v18, v37
.LBB1287_70:                            ; =>This Loop Header: Depth=1
                                        ;     Child Loop BB1287_73 Depth 2
                                        ;       Child Loop BB1287_74 Depth 3
	v_cmp_ne_u16_sdwa s[6:7], v28, v25 src0_sel:BYTE_0 src1_sel:DWORD
	v_cndmask_b32_e64 v19, 0, 1, s[6:7]
	;;#ASMSTART
	;;#ASMEND
	v_cmp_ne_u32_e32 vcc, 0, v19
	s_cmp_lg_u64 vcc, exec
	v_mov_b32_e32 v37, v18
	s_cbranch_scc1 .LBB1287_77
; %bb.71:                               ;   in Loop: Header=BB1287_70 Depth=1
	v_lshlrev_b64 v[18:19], 2, v[14:15]
	v_mov_b32_e32 v28, s11
	v_add_co_u32_e32 v18, vcc, s10, v18
	v_addc_co_u32_e32 v19, vcc, v28, v19, vcc
	global_load_dword v40, v[18:19], off glc
	s_waitcnt vmcnt(0)
	v_lshrrev_b32_e32 v28, 16, v40
	v_cmp_eq_u16_sdwa s[8:9], v28, v15 src0_sel:BYTE_0 src1_sel:DWORD
	s_and_saveexec_b64 s[6:7], s[8:9]
	s_cbranch_execz .LBB1287_69
; %bb.72:                               ;   in Loop: Header=BB1287_70 Depth=1
	s_mov_b32 s35, 1
	s_mov_b64 s[8:9], 0
.LBB1287_73:                            ;   Parent Loop BB1287_70 Depth=1
                                        ; =>  This Loop Header: Depth=2
                                        ;       Child Loop BB1287_74 Depth 3
	s_max_u32 s36, s35, 1
.LBB1287_74:                            ;   Parent Loop BB1287_70 Depth=1
                                        ;     Parent Loop BB1287_73 Depth=2
                                        ; =>    This Inner Loop Header: Depth=3
	s_add_i32 s36, s36, -1
	s_cmp_eq_u32 s36, 0
	s_sleep 1
	s_cbranch_scc0 .LBB1287_74
; %bb.75:                               ;   in Loop: Header=BB1287_73 Depth=2
	global_load_dword v40, v[18:19], off glc
	s_cmp_lt_u32 s35, 32
	s_cselect_b64 s[36:37], -1, 0
	s_cmp_lg_u64 s[36:37], 0
	s_addc_u32 s35, s35, 0
	s_waitcnt vmcnt(0)
	v_lshrrev_b32_e32 v28, 16, v40
	v_cmp_ne_u16_sdwa s[36:37], v28, v15 src0_sel:BYTE_0 src1_sel:DWORD
	s_or_b64 s[8:9], s[36:37], s[8:9]
	s_andn2_b64 exec, exec, s[8:9]
	s_cbranch_execnz .LBB1287_73
; %bb.76:                               ;   in Loop: Header=BB1287_70 Depth=1
	s_or_b64 exec, exec, s[8:9]
	s_branch .LBB1287_69
.LBB1287_77:                            ;   in Loop: Header=BB1287_70 Depth=1
                                        ; implicit-def: $vgpr18
                                        ; implicit-def: $vgpr28
	s_cbranch_execz .LBB1287_70
; %bb.78:
	s_and_saveexec_b64 s[6:7], s[4:5]
	s_cbranch_execz .LBB1287_80
; %bb.79:
	s_add_i32 s4, s34, 64
	s_mov_b32 s5, 0
	s_lshl_b64 s[4:5], s[4:5], 2
	v_add_u16_e32 v14, v37, v24
	s_add_u32 s4, s10, s4
	v_or_b32_e32 v14, 0x20000, v14
	s_addc_u32 s5, s11, s5
	v_mov_b32_e32 v15, 0
	global_store_dword v15, v14, s[4:5]
.LBB1287_80:
	s_or_b64 exec, exec, s[6:7]
	s_and_b64 exec, exec, s[2:3]
	s_cbranch_execz .LBB1287_82
; %bb.81:
	v_mov_b32_e32 v14, 0
	ds_write_b16 v14, v37
.LBB1287_82:
	s_or_b64 exec, exec, s[28:29]
	v_mov_b32_e32 v14, 0
	s_waitcnt lgkmcnt(0)
	; wave barrier
	s_waitcnt lgkmcnt(0)
	ds_read_u16 v14, v14
	v_cndmask_b32_e64 v15, v23, 0, s[2:3]
	v_add_u16_e32 v15, v15, v10
	s_waitcnt lgkmcnt(0)
	v_add_u16_e32 v14, v15, v14
	v_add_u16_sdwa v15, v14, v10 dst_sel:DWORD dst_unused:UNUSED_PAD src0_sel:DWORD src1_sel:WORD_1
	v_add_u16_e32 v16, v15, v11
	v_add_u16_sdwa v18, v16, v11 dst_sel:DWORD dst_unused:UNUSED_PAD src0_sel:DWORD src1_sel:WORD_1
	;; [unrolled: 2-line block ×12, first 2 shown]
	s_branch .LBB1287_101
.LBB1287_83:
                                        ; implicit-def: $vgpr14
                                        ; implicit-def: $vgpr15
                                        ; implicit-def: $vgpr16
                                        ; implicit-def: $vgpr18
                                        ; implicit-def: $vgpr19
                                        ; implicit-def: $vgpr23
                                        ; implicit-def: $vgpr31
                                        ; implicit-def: $vgpr38
                                        ; implicit-def: $vgpr28
                                        ; implicit-def: $vgpr35
                                        ; implicit-def: $vgpr43
                                        ; implicit-def: $vgpr49
                                        ; implicit-def: $vgpr53
                                        ; implicit-def: $vgpr54
                                        ; implicit-def: $vgpr56
                                        ; implicit-def: $vgpr58
                                        ; implicit-def: $vgpr55
                                        ; implicit-def: $vgpr57
                                        ; implicit-def: $vgpr59
                                        ; implicit-def: $vgpr60
                                        ; implicit-def: $vgpr61
                                        ; implicit-def: $vgpr62
                                        ; implicit-def: $vgpr63
                                        ; implicit-def: $vgpr64
	s_cbranch_execz .LBB1287_101
; %bb.84:
	s_cmp_lg_u64 s[16:17], 0
	s_cselect_b64 s[4:5], -1, 0
	s_cmp_eq_u64 s[16:17], 0
	s_cselect_b64 s[6:7], -1, 0
	s_and_b64 s[4:5], s[2:3], s[4:5]
	v_mov_b32_e32 v17, v10
	s_and_saveexec_b64 s[2:3], s[4:5]
	s_cbranch_execz .LBB1287_86
; %bb.85:
	v_mov_b32_e32 v14, 0
	global_load_ushort v14, v14, s[12:13]
	s_waitcnt vmcnt(0)
	v_add_u16_e32 v17, v14, v10
.LBB1287_86:
	s_or_b64 exec, exec, s[2:3]
	v_add_u16_sdwa v24, v17, v10 dst_sel:DWORD dst_unused:UNUSED_PAD src0_sel:DWORD src1_sel:WORD_1
	v_add_u16_e32 v25, v24, v11
	v_add_u16_sdwa v26, v25, v11 dst_sel:DWORD dst_unused:UNUSED_PAD src0_sel:DWORD src1_sel:WORD_1
	v_add_u16_e32 v27, v26, v12
	;; [unrolled: 2-line block ×10, first 2 shown]
	v_add_u16_sdwa v50, v48, v4 dst_sel:DWORD dst_unused:UNUSED_PAD src0_sel:DWORD src1_sel:WORD_1
	v_mbcnt_hi_u32_b32 v22, -1, v22
	v_add_u16_e32 v51, v50, v5
	v_and_b32_e32 v14, 15, v22
	v_add_u16_sdwa v52, v51, v5 dst_sel:DWORD dst_unused:UNUSED_PAD src0_sel:DWORD src1_sel:WORD_1
	v_add_u16_sdwa v65, v51, v5 dst_sel:DWORD dst_unused:UNUSED_PAD src0_sel:DWORD src1_sel:WORD_1
	v_cmp_eq_u32_e64 s[8:9], 0, v14
	v_cmp_lt_u32_e64 s[4:5], 1, v14
	v_cmp_lt_u32_e64 s[2:3], 3, v14
	s_andn2_b64 vcc, exec, s[6:7]
	v_cmp_lt_u32_e64 s[6:7], 7, v14
	s_cbranch_vccnz .LBB1287_92
; %bb.87:
	v_mov_b32_dpp v14, v65 row_shr:1 row_mask:0xf bank_mask:0xf
	v_cndmask_b32_e64 v14, v14, 0, s[8:9]
	v_add_u16_e32 v14, v14, v52
	v_and_b32_e32 v16, 16, v22
	v_cmp_ne_u32_e32 vcc, 0, v16
	v_mov_b32_dpp v15, v14 row_shr:2 row_mask:0xf bank_mask:0xf
	v_cndmask_b32_e64 v15, 0, v15, s[4:5]
	v_add_u16_e32 v14, v14, v15
	s_nop 1
	v_mov_b32_dpp v15, v14 row_shr:4 row_mask:0xf bank_mask:0xf
	v_cndmask_b32_e64 v15, 0, v15, s[2:3]
	v_add_u16_e32 v14, v14, v15
	s_nop 1
	;; [unrolled: 4-line block ×3, first 2 shown]
	v_mov_b32_dpp v15, v14 row_bcast:15 row_mask:0xf bank_mask:0xf
	v_cndmask_b32_e32 v15, 0, v15, vcc
	v_add_u16_e32 v14, v14, v15
	v_cmp_lt_u32_e32 vcc, 31, v22
	s_nop 0
	v_mov_b32_dpp v15, v14 row_bcast:31 row_mask:0xf bank_mask:0xf
	v_cndmask_b32_e32 v15, 0, v15, vcc
	v_add_u16_e32 v14, v14, v15
	v_cmp_eq_u32_e32 vcc, 63, v0
	s_and_saveexec_b64 s[12:13], vcc
	s_cbranch_execz .LBB1287_89
; %bb.88:
	v_mov_b32_e32 v15, 0
	ds_write_b16 v15, v14
.LBB1287_89:
	s_or_b64 exec, exec, s[12:13]
	v_add_u32_e32 v15, -1, v22
	v_and_b32_e32 v16, 64, v22
	v_cmp_lt_i32_e32 vcc, v15, v16
	v_cndmask_b32_e32 v15, v15, v22, vcc
	v_lshlrev_b32_e32 v15, 2, v15
	ds_bpermute_b32 v66, v15, v14
	v_mov_b32_e32 v64, v52
	v_mov_b32_e32 v63, v51
	;; [unrolled: 1-line block ×24, first 2 shown]
	s_waitcnt lgkmcnt(0)
	; wave barrier
	s_waitcnt lgkmcnt(0)
	s_and_saveexec_b64 s[12:13], s[0:1]
	s_cbranch_execz .LBB1287_91
; %bb.90:
	v_add_u16_e32 v14, v17, v66
	v_add_u16_sdwa v15, v14, v10 dst_sel:DWORD dst_unused:UNUSED_PAD src0_sel:DWORD src1_sel:WORD_1
	v_add_u16_e32 v16, v15, v11
	v_add_u16_sdwa v18, v16, v11 dst_sel:DWORD dst_unused:UNUSED_PAD src0_sel:DWORD src1_sel:WORD_1
	;; [unrolled: 2-line block ×12, first 2 shown]
	;;#ASMSTART
	;;#ASMEND
.LBB1287_91:
	s_or_b64 exec, exec, s[12:13]
	v_add_u16_e32 v14, s33, v14
	v_add_u16_e32 v15, s33, v15
	;; [unrolled: 1-line block ×24, first 2 shown]
	s_branch .LBB1287_98
.LBB1287_92:
                                        ; implicit-def: $vgpr14
                                        ; implicit-def: $vgpr15
                                        ; implicit-def: $vgpr16
                                        ; implicit-def: $vgpr18
                                        ; implicit-def: $vgpr19
                                        ; implicit-def: $vgpr23
                                        ; implicit-def: $vgpr31
                                        ; implicit-def: $vgpr38
                                        ; implicit-def: $vgpr28
                                        ; implicit-def: $vgpr35
                                        ; implicit-def: $vgpr43
                                        ; implicit-def: $vgpr49
                                        ; implicit-def: $vgpr53
                                        ; implicit-def: $vgpr54
                                        ; implicit-def: $vgpr56
                                        ; implicit-def: $vgpr58
                                        ; implicit-def: $vgpr55
                                        ; implicit-def: $vgpr57
                                        ; implicit-def: $vgpr59
                                        ; implicit-def: $vgpr60
                                        ; implicit-def: $vgpr61
                                        ; implicit-def: $vgpr62
                                        ; implicit-def: $vgpr63
                                        ; implicit-def: $vgpr64
	s_cbranch_execz .LBB1287_98
; %bb.93:
	s_nop 0
	v_mov_b32_dpp v14, v65 row_shr:1 row_mask:0xf bank_mask:0xf
	v_cndmask_b32_e64 v14, v14, 0, s[8:9]
	v_add_u16_e32 v14, v14, v52
	v_and_b32_e32 v16, 16, v22
	v_cmp_ne_u32_e32 vcc, 0, v16
	v_mov_b32_dpp v15, v14 row_shr:2 row_mask:0xf bank_mask:0xf
	v_cndmask_b32_e64 v15, 0, v15, s[4:5]
	v_add_u16_e32 v14, v14, v15
	s_nop 1
	v_mov_b32_dpp v15, v14 row_shr:4 row_mask:0xf bank_mask:0xf
	v_cndmask_b32_e64 v15, 0, v15, s[2:3]
	v_add_u16_e32 v14, v14, v15
	s_nop 1
	;; [unrolled: 4-line block ×3, first 2 shown]
	v_mov_b32_dpp v15, v14 row_bcast:15 row_mask:0xf bank_mask:0xf
	v_cndmask_b32_e32 v15, 0, v15, vcc
	v_add_u16_e32 v14, v14, v15
	v_cmp_lt_u32_e32 vcc, 31, v22
	s_nop 0
	v_mov_b32_dpp v15, v14 row_bcast:31 row_mask:0xf bank_mask:0xf
	v_cndmask_b32_e32 v15, 0, v15, vcc
	v_add_u16_e32 v14, v14, v15
	v_cmp_eq_u32_e32 vcc, 63, v0
	s_and_saveexec_b64 s[2:3], vcc
	s_cbranch_execz .LBB1287_95
; %bb.94:
	v_mov_b32_e32 v15, 0
	ds_write_b16 v15, v14
.LBB1287_95:
	s_or_b64 exec, exec, s[2:3]
	v_add_u32_e32 v15, -1, v22
	v_and_b32_e32 v16, 64, v22
	v_cmp_lt_i32_e32 vcc, v15, v16
	v_cndmask_b32_e32 v15, v15, v22, vcc
	v_lshlrev_b32_e32 v15, 2, v15
	ds_bpermute_b32 v14, v15, v14
	s_waitcnt lgkmcnt(0)
	; wave barrier
	s_waitcnt lgkmcnt(0)
	s_and_saveexec_b64 s[2:3], s[0:1]
	s_cbranch_execz .LBB1287_97
; %bb.96:
	v_add_u16_e32 v17, v17, v14
	v_add_u16_sdwa v24, v17, v10 dst_sel:DWORD dst_unused:UNUSED_PAD src0_sel:DWORD src1_sel:WORD_1
	v_add_u16_e32 v25, v24, v11
	v_add_u16_sdwa v26, v25, v11 dst_sel:DWORD dst_unused:UNUSED_PAD src0_sel:DWORD src1_sel:WORD_1
	;; [unrolled: 2-line block ×12, first 2 shown]
	;;#ASMSTART
	;;#ASMEND
.LBB1287_97:
	s_or_b64 exec, exec, s[2:3]
	v_mov_b32_e32 v14, v17
	v_mov_b32_e32 v15, v24
	;; [unrolled: 1-line block ×24, first 2 shown]
.LBB1287_98:
	v_cmp_eq_u32_e32 vcc, 63, v0
	s_and_saveexec_b64 s[0:1], vcc
	s_cbranch_execz .LBB1287_100
; %bb.99:
	s_mov_b32 s2, 0x20000
	v_mov_b32_e32 v2, 0
	v_or_b32_sdwa v3, v64, s2 dst_sel:DWORD dst_unused:UNUSED_PAD src0_sel:WORD_0 src1_sel:DWORD
	global_store_dword v2, v3, s[10:11] offset:256
.LBB1287_100:
	s_or_b64 exec, exec, s[0:1]
.LBB1287_101:
	s_add_u32 s0, s24, s22
	s_addc_u32 s1, s25, s23
	s_add_u32 s2, s0, s26
	s_addc_u32 s3, s1, s27
	s_mov_b64 s[0:1], -1
	s_and_b64 vcc, exec, s[20:21]
	s_waitcnt lgkmcnt(0)
	; wave barrier
	s_cbranch_vccz .LBB1287_103
; %bb.102:
	s_mov_b32 s0, 0x5040100
	v_perm_b32 v5, v38, v31, s0
	v_perm_b32 v4, v23, v19, s0
	;; [unrolled: 1-line block ×4, first 2 shown]
	ds_write_b128 v1, v[2:5]
	v_perm_b32 v5, v58, v56, s0
	v_perm_b32 v4, v54, v53, s0
	;; [unrolled: 1-line block ×4, first 2 shown]
	ds_write_b128 v1, v[2:5] offset:16
	v_perm_b32 v5, v64, v63, s0
	v_perm_b32 v4, v62, v61, s0
	v_perm_b32 v3, v60, v59, s0
	v_perm_b32 v2, v57, v55, s0
	ds_write_b128 v1, v[2:5] offset:32
	s_waitcnt lgkmcnt(0)
	; wave barrier
	s_waitcnt lgkmcnt(0)
	ds_read_u16 v4, v20
	ds_read_u16 v5, v20 offset:128
	ds_read_u16 v6, v20 offset:256
	;; [unrolled: 1-line block ×23, first 2 shown]
	v_mov_b32_e32 v3, s3
	v_add_co_u32_e32 v2, vcc, s2, v20
	v_addc_co_u32_e32 v3, vcc, 0, v3, vcc
	s_waitcnt lgkmcnt(14)
	flat_store_short v[2:3], v4
	flat_store_short v[2:3], v5 offset:128
	flat_store_short v[2:3], v6 offset:256
	;; [unrolled: 1-line block ×9, first 2 shown]
	s_waitcnt lgkmcnt(0)
	flat_store_short v[2:3], v17 offset:1280
	flat_store_short v[2:3], v22 offset:1408
	;; [unrolled: 1-line block ×14, first 2 shown]
	s_mov_b64 s[0:1], 0
.LBB1287_103:
	s_andn2_b64 vcc, exec, s[0:1]
	s_cbranch_vccnz .LBB1287_160
; %bb.104:
	s_mov_b32 s0, 0x5040100
	v_perm_b32 v5, v38, v31, s0
	v_perm_b32 v4, v23, v19, s0
	;; [unrolled: 1-line block ×4, first 2 shown]
	ds_write_b128 v1, v[2:5]
	v_perm_b32 v5, v58, v56, s0
	v_perm_b32 v4, v54, v53, s0
	;; [unrolled: 1-line block ×4, first 2 shown]
	ds_write_b128 v1, v[2:5] offset:16
	v_perm_b32 v5, v64, v63, s0
	v_perm_b32 v4, v62, v61, s0
	;; [unrolled: 1-line block ×4, first 2 shown]
	ds_write_b128 v1, v[2:5] offset:32
	s_waitcnt lgkmcnt(0)
	; wave barrier
	s_waitcnt lgkmcnt(0)
	ds_read_u16 v5, v20
	ds_read_u16 v4, v20 offset:128
	ds_read_u16 v7, v20 offset:256
	;; [unrolled: 1-line block ×23, first 2 shown]
	v_mov_b32_e32 v3, s3
	v_add_co_u32_e32 v2, vcc, s2, v20
	v_addc_co_u32_e32 v3, vcc, 0, v3, vcc
	v_mov_b32_e32 v1, 0
	v_cmp_gt_u32_e32 vcc, s30, v0
	s_and_saveexec_b64 s[0:1], vcc
	s_cbranch_execz .LBB1287_106
; %bb.105:
	s_waitcnt lgkmcnt(0)
	flat_store_short v[2:3], v5
.LBB1287_106:
	s_or_b64 exec, exec, s[0:1]
	v_or_b32_e32 v20, 64, v0
	v_cmp_gt_u32_e32 vcc, s30, v20
	s_and_saveexec_b64 s[0:1], vcc
	s_cbranch_execz .LBB1287_108
; %bb.107:
	s_waitcnt lgkmcnt(0)
	flat_store_short v[2:3], v4 offset:128
.LBB1287_108:
	s_or_b64 exec, exec, s[0:1]
	v_or_b32_e32 v20, 0x80, v0
	v_cmp_gt_u32_e32 vcc, s30, v20
	s_and_saveexec_b64 s[0:1], vcc
	s_cbranch_execz .LBB1287_110
; %bb.109:
	s_waitcnt lgkmcnt(0)
	flat_store_short v[2:3], v7 offset:256
.LBB1287_110:
	;; [unrolled: 9-line block ×23, first 2 shown]
	s_or_b64 exec, exec, s[0:1]
	v_cmp_lt_u64_e64 s[0:1], s[18:19], 2
	s_and_b64 vcc, exec, s[0:1]
	s_cbranch_vccnz .LBB1287_160
; %bb.153:
	s_add_u32 s0, s30, -1
	s_addc_u32 s1, s31, -1
	s_add_u32 s2, 0, 0xaaaa0000
	s_addc_u32 s3, 0, 42
	s_add_i32 s3, s3, 0xaaaaa80
	s_mul_hi_u32 s7, s2, 0xffffffe8
	s_sub_i32 s7, s7, s2
	s_mul_i32 s8, s3, 0xffffffe8
	s_mul_i32 s4, s2, 0xffffffe8
	s_add_i32 s7, s7, s8
	s_mul_hi_u32 s5, s3, s4
	s_mul_i32 s6, s3, s4
	s_mul_i32 s9, s2, s7
	s_mul_hi_u32 s4, s2, s4
	s_mul_hi_u32 s8, s2, s7
	s_add_u32 s4, s4, s9
	s_addc_u32 s8, 0, s8
	s_add_u32 s4, s4, s6
	s_mul_hi_u32 s9, s3, s7
	s_addc_u32 s4, s8, s5
	s_addc_u32 s5, s9, 0
	s_mul_i32 s6, s3, s7
	s_add_u32 s4, s4, s6
	v_mov_b32_e32 v2, s4
	s_addc_u32 s5, 0, s5
	v_add_co_u32_e32 v2, vcc, s2, v2
	s_cmp_lg_u64 vcc, 0
	s_addc_u32 s2, s3, s5
	v_readfirstlane_b32 s5, v2
	s_mul_i32 s4, s0, s2
	s_mul_hi_u32 s6, s0, s5
	s_mul_hi_u32 s3, s0, s2
	s_add_u32 s4, s6, s4
	s_addc_u32 s3, 0, s3
	s_mul_hi_u32 s7, s1, s5
	s_mul_i32 s5, s1, s5
	s_add_u32 s4, s4, s5
	s_mul_hi_u32 s6, s1, s2
	s_addc_u32 s3, s3, s7
	s_addc_u32 s4, s6, 0
	s_mul_i32 s2, s1, s2
	s_add_u32 s2, s3, s2
	s_addc_u32 s3, 0, s4
	s_add_u32 s4, s2, 1
	s_addc_u32 s5, s3, 0
	s_add_u32 s6, s2, 2
	s_mul_i32 s8, s3, 24
	s_mul_hi_u32 s9, s2, 24
	s_addc_u32 s7, s3, 0
	s_add_i32 s9, s9, s8
	s_mul_i32 s8, s2, 24
	v_mov_b32_e32 v2, s8
	v_sub_co_u32_e32 v2, vcc, s0, v2
	s_cmp_lg_u64 vcc, 0
	s_subb_u32 s8, s1, s9
	v_subrev_co_u32_e32 v3, vcc, 24, v2
	s_cmp_lg_u64 vcc, 0
	s_subb_u32 s9, s8, 0
	v_readfirstlane_b32 s10, v3
	s_cmp_gt_u32 s10, 23
	s_cselect_b32 s10, -1, 0
	s_cmp_eq_u32 s9, 0
	s_cselect_b32 s9, s10, -1
	s_cmp_lg_u32 s9, 0
	s_cselect_b32 s4, s6, s4
	v_readfirstlane_b32 s6, v2
	s_cselect_b32 s5, s7, s5
	s_cmp_gt_u32 s6, 23
	s_cselect_b32 s6, -1, 0
	s_cmp_eq_u32 s8, 0
	s_cselect_b32 s6, s6, -1
	s_cmp_lg_u32 s6, 0
	s_cselect_b32 s3, s5, s3
	s_cselect_b32 s2, s4, s2
	v_cmp_eq_u64_e32 vcc, s[2:3], v[0:1]
	s_and_saveexec_b64 s[2:3], vcc
	s_cbranch_execz .LBB1287_160
; %bb.154:
	v_mul_hi_u32_u24_e32 v1, 24, v0
	v_mov_b32_e32 v2, s1
	v_sub_co_u32_e32 v0, vcc, s0, v21
	v_subb_co_u32_e32 v1, vcc, v2, v1, vcc
	v_cmp_lt_i64_e32 vcc, 11, v[0:1]
	s_mov_b64 s[0:1], 0
	s_mov_b64 s[8:9], 0
	;; [unrolled: 1-line block ×4, first 2 shown]
	s_and_saveexec_b64 s[2:3], vcc
	s_xor_b64 s[2:3], exec, s[2:3]
	s_cbranch_execnz .LBB1287_161
; %bb.155:
	s_andn2_saveexec_b64 s[2:3], s[2:3]
	s_cbranch_execnz .LBB1287_206
.LBB1287_156:
	s_or_b64 exec, exec, s[2:3]
	s_and_saveexec_b64 s[2:3], s[8:9]
	s_cbranch_execnz .LBB1287_223
.LBB1287_157:
	s_or_b64 exec, exec, s[2:3]
	s_and_saveexec_b64 s[2:3], s[6:7]
	s_cbranch_execnz .LBB1287_224
.LBB1287_158:
	s_or_b64 exec, exec, s[2:3]
	s_and_saveexec_b64 s[2:3], s[4:5]
	s_xor_b64 s[2:3], exec, s[2:3]
	s_cbranch_execnz .LBB1287_225
.LBB1287_159:
	s_or_b64 exec, exec, s[2:3]
	s_and_b64 exec, exec, s[0:1]
	s_cbranch_execnz .LBB1287_226
.LBB1287_160:
	s_endpgm
.LBB1287_161:
	v_cmp_lt_i64_e32 vcc, 17, v[0:1]
	s_and_saveexec_b64 s[10:11], vcc
	s_xor_b64 s[10:11], exec, s[10:11]
	s_cbranch_execz .LBB1287_183
; %bb.162:
	v_cmp_lt_i64_e32 vcc, 20, v[0:1]
                                        ; implicit-def: $vgpr10
	s_and_saveexec_b64 s[12:13], vcc
	s_xor_b64 s[12:13], exec, s[12:13]
	s_cbranch_execz .LBB1287_172
; %bb.163:
	v_cmp_lt_i64_e32 vcc, 21, v[0:1]
	s_mov_b64 s[16:17], 0
                                        ; implicit-def: $vgpr10
	s_and_saveexec_b64 s[4:5], vcc
	s_xor_b64 s[4:5], exec, s[4:5]
	s_cbranch_execz .LBB1287_169
; %bb.164:
	v_cmp_lt_i64_e32 vcc, 22, v[0:1]
	s_and_saveexec_b64 s[16:17], vcc
	s_xor_b64 s[16:17], exec, s[16:17]
	s_cbranch_execz .LBB1287_166
; %bb.165:
	v_mov_b32_e32 v2, 0
	s_waitcnt lgkmcnt(0)
	global_store_short v2, v29, s[14:15]
                                        ; implicit-def: $vgpr28
.LBB1287_166:
	s_or_saveexec_b64 s[16:17], s[16:17]
	s_mov_b64 s[18:19], 0
	s_xor_b64 exec, exec, s[16:17]
; %bb.167:
	s_mov_b64 s[18:19], exec
; %bb.168:
	s_or_b64 exec, exec, s[16:17]
	s_and_b64 s[16:17], s[18:19], exec
	s_waitcnt lgkmcnt(0)
	v_mov_b32_e32 v10, v28
                                        ; implicit-def: $vgpr11
.LBB1287_169:
	s_andn2_saveexec_b64 s[4:5], s[4:5]
; %bb.170:
	s_mov_b64 s[6:7], exec
                                        ; implicit-def: $vgpr10
; %bb.171:
	s_or_b64 exec, exec, s[4:5]
	s_and_b64 s[4:5], s[16:17], exec
	s_and_b64 s[6:7], s[6:7], exec
                                        ; implicit-def: $vgpr26
                                        ; implicit-def: $vgpr12
                                        ; implicit-def: $vgpr23
.LBB1287_172:
	s_andn2_saveexec_b64 s[12:13], s[12:13]
	s_cbranch_execz .LBB1287_182
; %bb.173:
	v_cmp_lt_i64_e32 vcc, 18, v[0:1]
	s_mov_b64 s[16:17], 0
	s_and_saveexec_b64 s[8:9], vcc
	s_xor_b64 s[8:9], exec, s[8:9]
	s_cbranch_execz .LBB1287_179
; %bb.174:
	v_cmp_lt_i64_e32 vcc, 19, v[0:1]
	s_and_saveexec_b64 s[18:19], vcc
	s_xor_b64 s[18:19], exec, s[18:19]
; %bb.175:
	s_mov_b64 s[16:17], exec
                                        ; implicit-def: $vgpr23
; %bb.176:
	s_andn2_saveexec_b64 s[18:19], s[18:19]
	s_cbranch_execz .LBB1287_178
; %bb.177:
	v_mov_b32_e32 v2, 0
	s_waitcnt lgkmcnt(0)
	global_store_short v2, v23, s[14:15]
                                        ; implicit-def: $vgpr12
.LBB1287_178:
	s_or_b64 exec, exec, s[18:19]
	s_and_b64 s[16:17], s[16:17], exec
                                        ; implicit-def: $vgpr26
.LBB1287_179:
	s_andn2_saveexec_b64 s[8:9], s[8:9]
	s_cbranch_execz .LBB1287_181
; %bb.180:
	v_mov_b32_e32 v2, 0
	s_waitcnt lgkmcnt(0)
	global_store_short v2, v26, s[14:15]
                                        ; implicit-def: $vgpr12
.LBB1287_181:
	s_or_b64 exec, exec, s[8:9]
	s_and_b64 s[8:9], s[16:17], exec
                                        ; implicit-def: $vgpr10
                                        ; implicit-def: $vgpr11
.LBB1287_182:
	s_or_b64 exec, exec, s[12:13]
	s_and_b64 s[4:5], s[4:5], exec
	s_and_b64 s[6:7], s[6:7], exec
	;; [unrolled: 1-line block ×3, first 2 shown]
                                        ; implicit-def: $vgpr18
                                        ; implicit-def: $vgpr13
                                        ; implicit-def: $vgpr14
                                        ; implicit-def: $vgpr24
                                        ; implicit-def: $vgpr27
.LBB1287_183:
	s_andn2_saveexec_b64 s[10:11], s[10:11]
	s_cbranch_execz .LBB1287_205
; %bb.184:
	v_cmp_lt_i64_e32 vcc, 14, v[0:1]
	s_mov_b64 s[12:13], s[4:5]
	s_and_saveexec_b64 s[16:17], vcc
	s_xor_b64 s[16:17], exec, s[16:17]
	s_cbranch_execz .LBB1287_194
; %bb.185:
	v_cmp_lt_i64_e32 vcc, 15, v[0:1]
	s_and_saveexec_b64 s[12:13], vcc
	s_xor_b64 s[12:13], exec, s[12:13]
	s_cbranch_execz .LBB1287_191
; %bb.186:
	v_cmp_lt_i64_e32 vcc, 16, v[0:1]
	s_and_saveexec_b64 s[18:19], vcc
	s_xor_b64 s[18:19], exec, s[18:19]
	s_cbranch_execz .LBB1287_188
; %bb.187:
	v_mov_b32_e32 v2, 0
	s_waitcnt lgkmcnt(0)
	global_store_short v2, v27, s[14:15]
                                        ; implicit-def: $vgpr24
.LBB1287_188:
	s_andn2_saveexec_b64 s[18:19], s[18:19]
	s_cbranch_execz .LBB1287_190
; %bb.189:
	v_mov_b32_e32 v2, 0
	s_waitcnt lgkmcnt(0)
	global_store_short v2, v24, s[14:15]
.LBB1287_190:
	s_or_b64 exec, exec, s[18:19]
                                        ; implicit-def: $vgpr10
.LBB1287_191:
	s_or_saveexec_b64 s[12:13], s[12:13]
	s_mov_b64 s[18:19], s[4:5]
	s_xor_b64 exec, exec, s[12:13]
; %bb.192:
	s_or_b64 s[18:19], s[4:5], exec
; %bb.193:
	s_or_b64 exec, exec, s[12:13]
	s_andn2_b64 s[12:13], s[4:5], exec
	s_and_b64 s[18:19], s[18:19], exec
	s_or_b64 s[12:13], s[12:13], s[18:19]
                                        ; implicit-def: $vgpr18
                                        ; implicit-def: $vgpr13
                                        ; implicit-def: $vgpr14
.LBB1287_194:
	s_or_saveexec_b64 s[16:17], s[16:17]
	s_mov_b64 s[18:19], s[6:7]
                                        ; implicit-def: $vgpr11
	s_xor_b64 exec, exec, s[16:17]
	s_cbranch_execz .LBB1287_204
; %bb.195:
	v_cmp_lt_i64_e32 vcc, 12, v[0:1]
	s_mov_b64 s[20:21], s[6:7]
	s_mov_b64 s[22:23], s[12:13]
                                        ; implicit-def: $vgpr10
                                        ; implicit-def: $vgpr11
	s_and_saveexec_b64 s[18:19], vcc
	s_xor_b64 s[18:19], exec, s[18:19]
	s_cbranch_execz .LBB1287_201
; %bb.196:
	v_cmp_lt_i64_e32 vcc, 13, v[0:1]
	s_mov_b64 s[20:21], s[12:13]
	s_and_saveexec_b64 s[22:23], vcc
	s_xor_b64 s[22:23], exec, s[22:23]
; %bb.197:
	s_or_b64 s[20:21], s[12:13], exec
                                        ; implicit-def: $vgpr13
; %bb.198:
	s_or_saveexec_b64 s[22:23], s[22:23]
	s_mov_b64 s[24:25], s[6:7]
	s_xor_b64 exec, exec, s[22:23]
; %bb.199:
	s_or_b64 s[24:25], s[6:7], exec
                                        ; implicit-def: $vgpr14
; %bb.200:
	s_or_b64 exec, exec, s[22:23]
	s_andn2_b64 s[22:23], s[12:13], exec
	s_and_b64 s[20:21], s[20:21], exec
	s_or_b64 s[22:23], s[22:23], s[20:21]
	s_andn2_b64 s[20:21], s[6:7], exec
	s_and_b64 s[24:25], s[24:25], exec
	s_or_b64 s[20:21], s[20:21], s[24:25]
	s_waitcnt lgkmcnt(0)
	v_mov_b32_e32 v10, v14
	v_mov_b32_e32 v11, v13
                                        ; implicit-def: $vgpr18
.LBB1287_201:
	s_andn2_saveexec_b64 s[18:19], s[18:19]
	s_cbranch_execz .LBB1287_203
; %bb.202:
	s_or_b64 s[20:21], s[20:21], exec
                                        ; implicit-def: $vgpr10
	s_waitcnt lgkmcnt(0)
	v_mov_b32_e32 v11, v18
.LBB1287_203:
	s_or_b64 exec, exec, s[18:19]
	s_andn2_b64 s[12:13], s[12:13], exec
	s_and_b64 s[18:19], s[22:23], exec
	s_or_b64 s[12:13], s[12:13], s[18:19]
	s_andn2_b64 s[18:19], s[6:7], exec
	s_and_b64 s[20:21], s[20:21], exec
	s_or_b64 s[18:19], s[18:19], s[20:21]
.LBB1287_204:
	s_or_b64 exec, exec, s[16:17]
	s_andn2_b64 s[4:5], s[4:5], exec
	s_and_b64 s[12:13], s[12:13], exec
	s_or_b64 s[4:5], s[4:5], s[12:13]
	s_andn2_b64 s[6:7], s[6:7], exec
	s_and_b64 s[12:13], s[18:19], exec
	s_or_b64 s[6:7], s[6:7], s[12:13]
                                        ; implicit-def: $vgpr12
.LBB1287_205:
	s_or_b64 exec, exec, s[10:11]
	s_and_b64 s[4:5], s[4:5], exec
	s_and_b64 s[6:7], s[6:7], exec
	;; [unrolled: 1-line block ×3, first 2 shown]
                                        ; implicit-def: $vgpr17
                                        ; implicit-def: $vgpr15
                                        ; implicit-def: $vgpr16
                                        ; implicit-def: $vgpr25
                                        ; implicit-def: $vgpr22
                                        ; implicit-def: $vgpr19
	s_andn2_saveexec_b64 s[2:3], s[2:3]
	s_cbranch_execz .LBB1287_156
.LBB1287_206:
	v_cmp_lt_i64_e32 vcc, 5, v[0:1]
	s_mov_b64 s[12:13], -1
	s_mov_b64 s[10:11], s[8:9]
	s_mov_b64 s[16:17], s[6:7]
	;; [unrolled: 1-line block ×3, first 2 shown]
                                        ; implicit-def: $vgpr10
                                        ; implicit-def: $vgpr11
                                        ; implicit-def: $vgpr12
	s_and_saveexec_b64 s[0:1], vcc
	s_cbranch_execz .LBB1287_222
; %bb.207:
	v_cmp_lt_i64_e32 vcc, 8, v[0:1]
	s_mov_b64 s[10:11], s[8:9]
                                        ; implicit-def: $vgpr12
	s_and_saveexec_b64 s[12:13], vcc
	s_xor_b64 s[12:13], exec, s[12:13]
	s_cbranch_execz .LBB1287_217
; %bb.208:
	v_cmp_lt_i64_e32 vcc, 9, v[0:1]
	s_and_saveexec_b64 s[10:11], vcc
	s_xor_b64 s[10:11], exec, s[10:11]
	s_cbranch_execz .LBB1287_214
; %bb.209:
	v_cmp_lt_i64_e32 vcc, 10, v[0:1]
	s_and_saveexec_b64 s[16:17], vcc
	s_xor_b64 s[16:17], exec, s[16:17]
; %bb.210:
                                        ; implicit-def: $vgpr22
; %bb.211:
	s_andn2_saveexec_b64 s[16:17], s[16:17]
	s_cbranch_execz .LBB1287_213
; %bb.212:
	s_waitcnt lgkmcnt(0)
	v_mov_b32_e32 v19, v22
.LBB1287_213:
	s_or_b64 exec, exec, s[16:17]
                                        ; implicit-def: $vgpr25
.LBB1287_214:
	s_andn2_saveexec_b64 s[10:11], s[10:11]
	s_cbranch_execz .LBB1287_216
; %bb.215:
	s_waitcnt lgkmcnt(0)
	v_mov_b32_e32 v19, v25
.LBB1287_216:
	s_or_b64 exec, exec, s[10:11]
	s_or_b64 s[10:11], s[8:9], exec
	s_waitcnt lgkmcnt(0)
	v_mov_b32_e32 v12, v19
                                        ; implicit-def: $vgpr17
                                        ; implicit-def: $vgpr15
                                        ; implicit-def: $vgpr16
.LBB1287_217:
	s_or_saveexec_b64 s[12:13], s[12:13]
	s_mov_b64 s[16:17], s[6:7]
	s_mov_b64 s[20:21], s[4:5]
                                        ; implicit-def: $vgpr10
                                        ; implicit-def: $vgpr11
	s_xor_b64 exec, exec, s[12:13]
	s_cbranch_execz .LBB1287_221
; %bb.218:
	v_cmp_lt_i64_e32 vcc, 6, v[0:1]
	s_mov_b64 s[20:21], -1
	s_mov_b64 s[18:19], s[10:11]
	s_mov_b64 s[16:17], s[6:7]
	s_and_saveexec_b64 s[22:23], vcc
; %bb.219:
	v_cmp_lt_i64_e32 vcc, 7, v[0:1]
	s_andn2_b64 s[18:19], s[10:11], exec
	s_and_b64 s[24:25], vcc, exec
	s_xor_b64 s[20:21], exec, -1
	s_or_b64 s[16:17], s[6:7], exec
	s_or_b64 s[18:19], s[18:19], s[24:25]
                                        ; implicit-def: $vgpr17
; %bb.220:
	s_or_b64 exec, exec, s[22:23]
	s_andn2_b64 s[22:23], s[4:5], exec
	s_and_b64 s[20:21], s[20:21], exec
	s_or_b64 s[20:21], s[22:23], s[20:21]
	s_andn2_b64 s[22:23], s[6:7], exec
	s_and_b64 s[16:17], s[16:17], exec
	s_andn2_b64 s[10:11], s[10:11], exec
	s_and_b64 s[18:19], s[18:19], exec
	s_or_b64 s[16:17], s[22:23], s[16:17]
	s_or_b64 s[10:11], s[10:11], s[18:19]
	s_waitcnt lgkmcnt(0)
	v_mov_b32_e32 v10, v17
	v_mov_b32_e32 v11, v15
	;; [unrolled: 1-line block ×3, first 2 shown]
.LBB1287_221:
	s_or_b64 exec, exec, s[12:13]
	s_andn2_b64 s[18:19], s[4:5], exec
	s_and_b64 s[20:21], s[20:21], exec
	s_or_b64 s[18:19], s[18:19], s[20:21]
	s_andn2_b64 s[20:21], s[6:7], exec
	s_and_b64 s[16:17], s[16:17], exec
	s_or_b64 s[16:17], s[20:21], s[16:17]
	s_andn2_b64 s[20:21], s[8:9], exec
	s_and_b64 s[10:11], s[10:11], exec
	s_xor_b64 s[12:13], exec, -1
	s_or_b64 s[10:11], s[20:21], s[10:11]
.LBB1287_222:
	s_or_b64 exec, exec, s[0:1]
	s_and_b64 s[0:1], s[12:13], exec
	s_andn2_b64 s[4:5], s[4:5], exec
	s_and_b64 s[12:13], s[18:19], exec
	s_or_b64 s[4:5], s[4:5], s[12:13]
	s_andn2_b64 s[6:7], s[6:7], exec
	s_and_b64 s[12:13], s[16:17], exec
	s_andn2_b64 s[8:9], s[8:9], exec
	s_and_b64 s[10:11], s[10:11], exec
	s_or_b64 s[6:7], s[6:7], s[12:13]
	s_or_b64 s[8:9], s[8:9], s[10:11]
	s_or_b64 exec, exec, s[2:3]
	s_and_saveexec_b64 s[2:3], s[8:9]
	s_cbranch_execz .LBB1287_157
.LBB1287_223:
	v_mov_b32_e32 v2, 0
	s_andn2_b64 s[6:7], s[6:7], exec
	s_waitcnt lgkmcnt(0)
	global_store_short v2, v12, s[14:15]
                                        ; implicit-def: $vgpr10
                                        ; implicit-def: $vgpr11
	s_or_b64 exec, exec, s[2:3]
	s_and_saveexec_b64 s[2:3], s[6:7]
	s_cbranch_execz .LBB1287_158
.LBB1287_224:
	v_mov_b32_e32 v2, 0
	s_waitcnt lgkmcnt(0)
	global_store_short v2, v11, s[14:15]
                                        ; implicit-def: $vgpr10
	s_or_b64 exec, exec, s[2:3]
	s_and_saveexec_b64 s[2:3], s[4:5]
	s_xor_b64 s[2:3], exec, s[2:3]
	s_cbranch_execz .LBB1287_159
.LBB1287_225:
	v_mov_b32_e32 v2, 0
	s_waitcnt lgkmcnt(0)
	global_store_short v2, v10, s[14:15]
	s_or_b64 exec, exec, s[2:3]
	s_and_b64 exec, exec, s[0:1]
	s_cbranch_execz .LBB1287_160
.LBB1287_226:
	v_cmp_lt_i64_e32 vcc, 2, v[0:1]
	s_and_saveexec_b64 s[0:1], vcc
	s_xor_b64 s[0:1], exec, s[0:1]
	s_cbranch_execz .LBB1287_236
; %bb.227:
	v_cmp_lt_i64_e32 vcc, 3, v[0:1]
	s_and_saveexec_b64 s[2:3], vcc
	s_xor_b64 s[2:3], exec, s[2:3]
	s_cbranch_execz .LBB1287_233
; %bb.228:
	;; [unrolled: 5-line block ×3, first 2 shown]
	v_mov_b32_e32 v0, 0
	s_waitcnt lgkmcnt(0)
	global_store_short v0, v9, s[14:15]
                                        ; implicit-def: $vgpr6
.LBB1287_230:
	s_andn2_saveexec_b64 s[4:5], s[4:5]
	s_cbranch_execz .LBB1287_232
; %bb.231:
	v_mov_b32_e32 v0, 0
	s_waitcnt lgkmcnt(0)
	global_store_short v0, v6, s[14:15]
.LBB1287_232:
	s_or_b64 exec, exec, s[4:5]
                                        ; implicit-def: $vgpr8
.LBB1287_233:
	s_andn2_saveexec_b64 s[2:3], s[2:3]
	s_cbranch_execz .LBB1287_235
; %bb.234:
	v_mov_b32_e32 v0, 0
	s_waitcnt lgkmcnt(0)
	global_store_short v0, v8, s[14:15]
.LBB1287_235:
	s_or_b64 exec, exec, s[2:3]
                                        ; implicit-def: $vgpr0_vgpr1
                                        ; implicit-def: $vgpr7
                                        ; implicit-def: $vgpr4
                                        ; implicit-def: $vgpr5
.LBB1287_236:
	s_andn2_saveexec_b64 s[0:1], s[0:1]
	s_cbranch_execz .LBB1287_160
; %bb.237:
	v_cmp_lt_i64_e32 vcc, 1, v[0:1]
	s_and_saveexec_b64 s[0:1], vcc
	s_xor_b64 s[0:1], exec, s[0:1]
	s_cbranch_execz .LBB1287_239
; %bb.238:
	v_mov_b32_e32 v0, 0
	s_waitcnt lgkmcnt(0)
	global_store_short v0, v7, s[14:15]
                                        ; implicit-def: $vgpr4
                                        ; implicit-def: $vgpr0_vgpr1
                                        ; implicit-def: $vgpr5
.LBB1287_239:
	s_andn2_saveexec_b64 s[0:1], s[0:1]
	s_cbranch_execz .LBB1287_160
; %bb.240:
	v_cmp_ne_u64_e32 vcc, 1, v[0:1]
	s_and_saveexec_b64 s[0:1], vcc
	s_xor_b64 s[0:1], exec, s[0:1]
	s_cbranch_execz .LBB1287_242
; %bb.241:
	v_mov_b32_e32 v0, 0
	s_waitcnt lgkmcnt(0)
	global_store_short v0, v5, s[14:15]
                                        ; implicit-def: $vgpr4
.LBB1287_242:
	s_andn2_saveexec_b64 s[0:1], s[0:1]
	s_cbranch_execz .LBB1287_160
; %bb.243:
	v_mov_b32_e32 v0, 0
	s_waitcnt lgkmcnt(0)
	global_store_short v0, v4, s[14:15]
	s_endpgm
	.section	.rodata,"a",@progbits
	.p2align	6, 0x0
	.amdhsa_kernel _ZN7rocprim17ROCPRIM_400000_NS6detail17trampoline_kernelINS0_14default_configENS1_20scan_config_selectorIsEEZZNS1_9scan_implILNS1_25lookback_scan_determinismE0ELb0ELb1ES3_N6thrust23THRUST_200600_302600_NS6detail15normal_iteratorINS9_10device_ptrIsEEEESE_sNS9_4plusIsEEsEEDaPvRmT3_T4_T5_mT6_P12ihipStream_tbENKUlT_T0_E_clISt17integral_constantIbLb1EESU_EEDaSP_SQ_EUlSP_E_NS1_11comp_targetILNS1_3genE4ELNS1_11target_archE910ELNS1_3gpuE8ELNS1_3repE0EEENS1_30default_config_static_selectorELNS0_4arch9wavefront6targetE1EEEvT1_
		.amdhsa_group_segment_fixed_size 3072
		.amdhsa_private_segment_fixed_size 0
		.amdhsa_kernarg_size 96
		.amdhsa_user_sgpr_count 6
		.amdhsa_user_sgpr_private_segment_buffer 1
		.amdhsa_user_sgpr_dispatch_ptr 0
		.amdhsa_user_sgpr_queue_ptr 0
		.amdhsa_user_sgpr_kernarg_segment_ptr 1
		.amdhsa_user_sgpr_dispatch_id 0
		.amdhsa_user_sgpr_flat_scratch_init 0
		.amdhsa_user_sgpr_kernarg_preload_length 0
		.amdhsa_user_sgpr_kernarg_preload_offset 0
		.amdhsa_user_sgpr_private_segment_size 0
		.amdhsa_uses_dynamic_stack 0
		.amdhsa_system_sgpr_private_segment_wavefront_offset 0
		.amdhsa_system_sgpr_workgroup_id_x 1
		.amdhsa_system_sgpr_workgroup_id_y 0
		.amdhsa_system_sgpr_workgroup_id_z 0
		.amdhsa_system_sgpr_workgroup_info 0
		.amdhsa_system_vgpr_workitem_id 0
		.amdhsa_next_free_vgpr 67
		.amdhsa_next_free_sgpr 38
		.amdhsa_accum_offset 68
		.amdhsa_reserve_vcc 1
		.amdhsa_reserve_flat_scratch 0
		.amdhsa_float_round_mode_32 0
		.amdhsa_float_round_mode_16_64 0
		.amdhsa_float_denorm_mode_32 3
		.amdhsa_float_denorm_mode_16_64 3
		.amdhsa_dx10_clamp 1
		.amdhsa_ieee_mode 1
		.amdhsa_fp16_overflow 0
		.amdhsa_tg_split 0
		.amdhsa_exception_fp_ieee_invalid_op 0
		.amdhsa_exception_fp_denorm_src 0
		.amdhsa_exception_fp_ieee_div_zero 0
		.amdhsa_exception_fp_ieee_overflow 0
		.amdhsa_exception_fp_ieee_underflow 0
		.amdhsa_exception_fp_ieee_inexact 0
		.amdhsa_exception_int_div_zero 0
	.end_amdhsa_kernel
	.section	.text._ZN7rocprim17ROCPRIM_400000_NS6detail17trampoline_kernelINS0_14default_configENS1_20scan_config_selectorIsEEZZNS1_9scan_implILNS1_25lookback_scan_determinismE0ELb0ELb1ES3_N6thrust23THRUST_200600_302600_NS6detail15normal_iteratorINS9_10device_ptrIsEEEESE_sNS9_4plusIsEEsEEDaPvRmT3_T4_T5_mT6_P12ihipStream_tbENKUlT_T0_E_clISt17integral_constantIbLb1EESU_EEDaSP_SQ_EUlSP_E_NS1_11comp_targetILNS1_3genE4ELNS1_11target_archE910ELNS1_3gpuE8ELNS1_3repE0EEENS1_30default_config_static_selectorELNS0_4arch9wavefront6targetE1EEEvT1_,"axG",@progbits,_ZN7rocprim17ROCPRIM_400000_NS6detail17trampoline_kernelINS0_14default_configENS1_20scan_config_selectorIsEEZZNS1_9scan_implILNS1_25lookback_scan_determinismE0ELb0ELb1ES3_N6thrust23THRUST_200600_302600_NS6detail15normal_iteratorINS9_10device_ptrIsEEEESE_sNS9_4plusIsEEsEEDaPvRmT3_T4_T5_mT6_P12ihipStream_tbENKUlT_T0_E_clISt17integral_constantIbLb1EESU_EEDaSP_SQ_EUlSP_E_NS1_11comp_targetILNS1_3genE4ELNS1_11target_archE910ELNS1_3gpuE8ELNS1_3repE0EEENS1_30default_config_static_selectorELNS0_4arch9wavefront6targetE1EEEvT1_,comdat
.Lfunc_end1287:
	.size	_ZN7rocprim17ROCPRIM_400000_NS6detail17trampoline_kernelINS0_14default_configENS1_20scan_config_selectorIsEEZZNS1_9scan_implILNS1_25lookback_scan_determinismE0ELb0ELb1ES3_N6thrust23THRUST_200600_302600_NS6detail15normal_iteratorINS9_10device_ptrIsEEEESE_sNS9_4plusIsEEsEEDaPvRmT3_T4_T5_mT6_P12ihipStream_tbENKUlT_T0_E_clISt17integral_constantIbLb1EESU_EEDaSP_SQ_EUlSP_E_NS1_11comp_targetILNS1_3genE4ELNS1_11target_archE910ELNS1_3gpuE8ELNS1_3repE0EEENS1_30default_config_static_selectorELNS0_4arch9wavefront6targetE1EEEvT1_, .Lfunc_end1287-_ZN7rocprim17ROCPRIM_400000_NS6detail17trampoline_kernelINS0_14default_configENS1_20scan_config_selectorIsEEZZNS1_9scan_implILNS1_25lookback_scan_determinismE0ELb0ELb1ES3_N6thrust23THRUST_200600_302600_NS6detail15normal_iteratorINS9_10device_ptrIsEEEESE_sNS9_4plusIsEEsEEDaPvRmT3_T4_T5_mT6_P12ihipStream_tbENKUlT_T0_E_clISt17integral_constantIbLb1EESU_EEDaSP_SQ_EUlSP_E_NS1_11comp_targetILNS1_3genE4ELNS1_11target_archE910ELNS1_3gpuE8ELNS1_3repE0EEENS1_30default_config_static_selectorELNS0_4arch9wavefront6targetE1EEEvT1_
                                        ; -- End function
	.section	.AMDGPU.csdata,"",@progbits
; Kernel info:
; codeLenInByte = 8784
; NumSgprs: 42
; NumVgprs: 67
; NumAgprs: 0
; TotalNumVgprs: 67
; ScratchSize: 0
; MemoryBound: 0
; FloatMode: 240
; IeeeMode: 1
; LDSByteSize: 3072 bytes/workgroup (compile time only)
; SGPRBlocks: 5
; VGPRBlocks: 8
; NumSGPRsForWavesPerEU: 42
; NumVGPRsForWavesPerEU: 67
; AccumOffset: 68
; Occupancy: 6
; WaveLimiterHint : 1
; COMPUTE_PGM_RSRC2:SCRATCH_EN: 0
; COMPUTE_PGM_RSRC2:USER_SGPR: 6
; COMPUTE_PGM_RSRC2:TRAP_HANDLER: 0
; COMPUTE_PGM_RSRC2:TGID_X_EN: 1
; COMPUTE_PGM_RSRC2:TGID_Y_EN: 0
; COMPUTE_PGM_RSRC2:TGID_Z_EN: 0
; COMPUTE_PGM_RSRC2:TIDIG_COMP_CNT: 0
; COMPUTE_PGM_RSRC3_GFX90A:ACCUM_OFFSET: 16
; COMPUTE_PGM_RSRC3_GFX90A:TG_SPLIT: 0
	.section	.text._ZN7rocprim17ROCPRIM_400000_NS6detail17trampoline_kernelINS0_14default_configENS1_20scan_config_selectorIsEEZZNS1_9scan_implILNS1_25lookback_scan_determinismE0ELb0ELb1ES3_N6thrust23THRUST_200600_302600_NS6detail15normal_iteratorINS9_10device_ptrIsEEEESE_sNS9_4plusIsEEsEEDaPvRmT3_T4_T5_mT6_P12ihipStream_tbENKUlT_T0_E_clISt17integral_constantIbLb1EESU_EEDaSP_SQ_EUlSP_E_NS1_11comp_targetILNS1_3genE3ELNS1_11target_archE908ELNS1_3gpuE7ELNS1_3repE0EEENS1_30default_config_static_selectorELNS0_4arch9wavefront6targetE1EEEvT1_,"axG",@progbits,_ZN7rocprim17ROCPRIM_400000_NS6detail17trampoline_kernelINS0_14default_configENS1_20scan_config_selectorIsEEZZNS1_9scan_implILNS1_25lookback_scan_determinismE0ELb0ELb1ES3_N6thrust23THRUST_200600_302600_NS6detail15normal_iteratorINS9_10device_ptrIsEEEESE_sNS9_4plusIsEEsEEDaPvRmT3_T4_T5_mT6_P12ihipStream_tbENKUlT_T0_E_clISt17integral_constantIbLb1EESU_EEDaSP_SQ_EUlSP_E_NS1_11comp_targetILNS1_3genE3ELNS1_11target_archE908ELNS1_3gpuE7ELNS1_3repE0EEENS1_30default_config_static_selectorELNS0_4arch9wavefront6targetE1EEEvT1_,comdat
	.protected	_ZN7rocprim17ROCPRIM_400000_NS6detail17trampoline_kernelINS0_14default_configENS1_20scan_config_selectorIsEEZZNS1_9scan_implILNS1_25lookback_scan_determinismE0ELb0ELb1ES3_N6thrust23THRUST_200600_302600_NS6detail15normal_iteratorINS9_10device_ptrIsEEEESE_sNS9_4plusIsEEsEEDaPvRmT3_T4_T5_mT6_P12ihipStream_tbENKUlT_T0_E_clISt17integral_constantIbLb1EESU_EEDaSP_SQ_EUlSP_E_NS1_11comp_targetILNS1_3genE3ELNS1_11target_archE908ELNS1_3gpuE7ELNS1_3repE0EEENS1_30default_config_static_selectorELNS0_4arch9wavefront6targetE1EEEvT1_ ; -- Begin function _ZN7rocprim17ROCPRIM_400000_NS6detail17trampoline_kernelINS0_14default_configENS1_20scan_config_selectorIsEEZZNS1_9scan_implILNS1_25lookback_scan_determinismE0ELb0ELb1ES3_N6thrust23THRUST_200600_302600_NS6detail15normal_iteratorINS9_10device_ptrIsEEEESE_sNS9_4plusIsEEsEEDaPvRmT3_T4_T5_mT6_P12ihipStream_tbENKUlT_T0_E_clISt17integral_constantIbLb1EESU_EEDaSP_SQ_EUlSP_E_NS1_11comp_targetILNS1_3genE3ELNS1_11target_archE908ELNS1_3gpuE7ELNS1_3repE0EEENS1_30default_config_static_selectorELNS0_4arch9wavefront6targetE1EEEvT1_
	.globl	_ZN7rocprim17ROCPRIM_400000_NS6detail17trampoline_kernelINS0_14default_configENS1_20scan_config_selectorIsEEZZNS1_9scan_implILNS1_25lookback_scan_determinismE0ELb0ELb1ES3_N6thrust23THRUST_200600_302600_NS6detail15normal_iteratorINS9_10device_ptrIsEEEESE_sNS9_4plusIsEEsEEDaPvRmT3_T4_T5_mT6_P12ihipStream_tbENKUlT_T0_E_clISt17integral_constantIbLb1EESU_EEDaSP_SQ_EUlSP_E_NS1_11comp_targetILNS1_3genE3ELNS1_11target_archE908ELNS1_3gpuE7ELNS1_3repE0EEENS1_30default_config_static_selectorELNS0_4arch9wavefront6targetE1EEEvT1_
	.p2align	8
	.type	_ZN7rocprim17ROCPRIM_400000_NS6detail17trampoline_kernelINS0_14default_configENS1_20scan_config_selectorIsEEZZNS1_9scan_implILNS1_25lookback_scan_determinismE0ELb0ELb1ES3_N6thrust23THRUST_200600_302600_NS6detail15normal_iteratorINS9_10device_ptrIsEEEESE_sNS9_4plusIsEEsEEDaPvRmT3_T4_T5_mT6_P12ihipStream_tbENKUlT_T0_E_clISt17integral_constantIbLb1EESU_EEDaSP_SQ_EUlSP_E_NS1_11comp_targetILNS1_3genE3ELNS1_11target_archE908ELNS1_3gpuE7ELNS1_3repE0EEENS1_30default_config_static_selectorELNS0_4arch9wavefront6targetE1EEEvT1_,@function
_ZN7rocprim17ROCPRIM_400000_NS6detail17trampoline_kernelINS0_14default_configENS1_20scan_config_selectorIsEEZZNS1_9scan_implILNS1_25lookback_scan_determinismE0ELb0ELb1ES3_N6thrust23THRUST_200600_302600_NS6detail15normal_iteratorINS9_10device_ptrIsEEEESE_sNS9_4plusIsEEsEEDaPvRmT3_T4_T5_mT6_P12ihipStream_tbENKUlT_T0_E_clISt17integral_constantIbLb1EESU_EEDaSP_SQ_EUlSP_E_NS1_11comp_targetILNS1_3genE3ELNS1_11target_archE908ELNS1_3gpuE7ELNS1_3repE0EEENS1_30default_config_static_selectorELNS0_4arch9wavefront6targetE1EEEvT1_: ; @_ZN7rocprim17ROCPRIM_400000_NS6detail17trampoline_kernelINS0_14default_configENS1_20scan_config_selectorIsEEZZNS1_9scan_implILNS1_25lookback_scan_determinismE0ELb0ELb1ES3_N6thrust23THRUST_200600_302600_NS6detail15normal_iteratorINS9_10device_ptrIsEEEESE_sNS9_4plusIsEEsEEDaPvRmT3_T4_T5_mT6_P12ihipStream_tbENKUlT_T0_E_clISt17integral_constantIbLb1EESU_EEDaSP_SQ_EUlSP_E_NS1_11comp_targetILNS1_3genE3ELNS1_11target_archE908ELNS1_3gpuE7ELNS1_3repE0EEENS1_30default_config_static_selectorELNS0_4arch9wavefront6targetE1EEEvT1_
; %bb.0:
	.section	.rodata,"a",@progbits
	.p2align	6, 0x0
	.amdhsa_kernel _ZN7rocprim17ROCPRIM_400000_NS6detail17trampoline_kernelINS0_14default_configENS1_20scan_config_selectorIsEEZZNS1_9scan_implILNS1_25lookback_scan_determinismE0ELb0ELb1ES3_N6thrust23THRUST_200600_302600_NS6detail15normal_iteratorINS9_10device_ptrIsEEEESE_sNS9_4plusIsEEsEEDaPvRmT3_T4_T5_mT6_P12ihipStream_tbENKUlT_T0_E_clISt17integral_constantIbLb1EESU_EEDaSP_SQ_EUlSP_E_NS1_11comp_targetILNS1_3genE3ELNS1_11target_archE908ELNS1_3gpuE7ELNS1_3repE0EEENS1_30default_config_static_selectorELNS0_4arch9wavefront6targetE1EEEvT1_
		.amdhsa_group_segment_fixed_size 0
		.amdhsa_private_segment_fixed_size 0
		.amdhsa_kernarg_size 96
		.amdhsa_user_sgpr_count 6
		.amdhsa_user_sgpr_private_segment_buffer 1
		.amdhsa_user_sgpr_dispatch_ptr 0
		.amdhsa_user_sgpr_queue_ptr 0
		.amdhsa_user_sgpr_kernarg_segment_ptr 1
		.amdhsa_user_sgpr_dispatch_id 0
		.amdhsa_user_sgpr_flat_scratch_init 0
		.amdhsa_user_sgpr_kernarg_preload_length 0
		.amdhsa_user_sgpr_kernarg_preload_offset 0
		.amdhsa_user_sgpr_private_segment_size 0
		.amdhsa_uses_dynamic_stack 0
		.amdhsa_system_sgpr_private_segment_wavefront_offset 0
		.amdhsa_system_sgpr_workgroup_id_x 1
		.amdhsa_system_sgpr_workgroup_id_y 0
		.amdhsa_system_sgpr_workgroup_id_z 0
		.amdhsa_system_sgpr_workgroup_info 0
		.amdhsa_system_vgpr_workitem_id 0
		.amdhsa_next_free_vgpr 1
		.amdhsa_next_free_sgpr 0
		.amdhsa_accum_offset 4
		.amdhsa_reserve_vcc 0
		.amdhsa_reserve_flat_scratch 0
		.amdhsa_float_round_mode_32 0
		.amdhsa_float_round_mode_16_64 0
		.amdhsa_float_denorm_mode_32 3
		.amdhsa_float_denorm_mode_16_64 3
		.amdhsa_dx10_clamp 1
		.amdhsa_ieee_mode 1
		.amdhsa_fp16_overflow 0
		.amdhsa_tg_split 0
		.amdhsa_exception_fp_ieee_invalid_op 0
		.amdhsa_exception_fp_denorm_src 0
		.amdhsa_exception_fp_ieee_div_zero 0
		.amdhsa_exception_fp_ieee_overflow 0
		.amdhsa_exception_fp_ieee_underflow 0
		.amdhsa_exception_fp_ieee_inexact 0
		.amdhsa_exception_int_div_zero 0
	.end_amdhsa_kernel
	.section	.text._ZN7rocprim17ROCPRIM_400000_NS6detail17trampoline_kernelINS0_14default_configENS1_20scan_config_selectorIsEEZZNS1_9scan_implILNS1_25lookback_scan_determinismE0ELb0ELb1ES3_N6thrust23THRUST_200600_302600_NS6detail15normal_iteratorINS9_10device_ptrIsEEEESE_sNS9_4plusIsEEsEEDaPvRmT3_T4_T5_mT6_P12ihipStream_tbENKUlT_T0_E_clISt17integral_constantIbLb1EESU_EEDaSP_SQ_EUlSP_E_NS1_11comp_targetILNS1_3genE3ELNS1_11target_archE908ELNS1_3gpuE7ELNS1_3repE0EEENS1_30default_config_static_selectorELNS0_4arch9wavefront6targetE1EEEvT1_,"axG",@progbits,_ZN7rocprim17ROCPRIM_400000_NS6detail17trampoline_kernelINS0_14default_configENS1_20scan_config_selectorIsEEZZNS1_9scan_implILNS1_25lookback_scan_determinismE0ELb0ELb1ES3_N6thrust23THRUST_200600_302600_NS6detail15normal_iteratorINS9_10device_ptrIsEEEESE_sNS9_4plusIsEEsEEDaPvRmT3_T4_T5_mT6_P12ihipStream_tbENKUlT_T0_E_clISt17integral_constantIbLb1EESU_EEDaSP_SQ_EUlSP_E_NS1_11comp_targetILNS1_3genE3ELNS1_11target_archE908ELNS1_3gpuE7ELNS1_3repE0EEENS1_30default_config_static_selectorELNS0_4arch9wavefront6targetE1EEEvT1_,comdat
.Lfunc_end1288:
	.size	_ZN7rocprim17ROCPRIM_400000_NS6detail17trampoline_kernelINS0_14default_configENS1_20scan_config_selectorIsEEZZNS1_9scan_implILNS1_25lookback_scan_determinismE0ELb0ELb1ES3_N6thrust23THRUST_200600_302600_NS6detail15normal_iteratorINS9_10device_ptrIsEEEESE_sNS9_4plusIsEEsEEDaPvRmT3_T4_T5_mT6_P12ihipStream_tbENKUlT_T0_E_clISt17integral_constantIbLb1EESU_EEDaSP_SQ_EUlSP_E_NS1_11comp_targetILNS1_3genE3ELNS1_11target_archE908ELNS1_3gpuE7ELNS1_3repE0EEENS1_30default_config_static_selectorELNS0_4arch9wavefront6targetE1EEEvT1_, .Lfunc_end1288-_ZN7rocprim17ROCPRIM_400000_NS6detail17trampoline_kernelINS0_14default_configENS1_20scan_config_selectorIsEEZZNS1_9scan_implILNS1_25lookback_scan_determinismE0ELb0ELb1ES3_N6thrust23THRUST_200600_302600_NS6detail15normal_iteratorINS9_10device_ptrIsEEEESE_sNS9_4plusIsEEsEEDaPvRmT3_T4_T5_mT6_P12ihipStream_tbENKUlT_T0_E_clISt17integral_constantIbLb1EESU_EEDaSP_SQ_EUlSP_E_NS1_11comp_targetILNS1_3genE3ELNS1_11target_archE908ELNS1_3gpuE7ELNS1_3repE0EEENS1_30default_config_static_selectorELNS0_4arch9wavefront6targetE1EEEvT1_
                                        ; -- End function
	.section	.AMDGPU.csdata,"",@progbits
; Kernel info:
; codeLenInByte = 0
; NumSgprs: 4
; NumVgprs: 0
; NumAgprs: 0
; TotalNumVgprs: 0
; ScratchSize: 0
; MemoryBound: 0
; FloatMode: 240
; IeeeMode: 1
; LDSByteSize: 0 bytes/workgroup (compile time only)
; SGPRBlocks: 0
; VGPRBlocks: 0
; NumSGPRsForWavesPerEU: 4
; NumVGPRsForWavesPerEU: 1
; AccumOffset: 4
; Occupancy: 8
; WaveLimiterHint : 0
; COMPUTE_PGM_RSRC2:SCRATCH_EN: 0
; COMPUTE_PGM_RSRC2:USER_SGPR: 6
; COMPUTE_PGM_RSRC2:TRAP_HANDLER: 0
; COMPUTE_PGM_RSRC2:TGID_X_EN: 1
; COMPUTE_PGM_RSRC2:TGID_Y_EN: 0
; COMPUTE_PGM_RSRC2:TGID_Z_EN: 0
; COMPUTE_PGM_RSRC2:TIDIG_COMP_CNT: 0
; COMPUTE_PGM_RSRC3_GFX90A:ACCUM_OFFSET: 0
; COMPUTE_PGM_RSRC3_GFX90A:TG_SPLIT: 0
	.section	.text._ZN7rocprim17ROCPRIM_400000_NS6detail17trampoline_kernelINS0_14default_configENS1_20scan_config_selectorIsEEZZNS1_9scan_implILNS1_25lookback_scan_determinismE0ELb0ELb1ES3_N6thrust23THRUST_200600_302600_NS6detail15normal_iteratorINS9_10device_ptrIsEEEESE_sNS9_4plusIsEEsEEDaPvRmT3_T4_T5_mT6_P12ihipStream_tbENKUlT_T0_E_clISt17integral_constantIbLb1EESU_EEDaSP_SQ_EUlSP_E_NS1_11comp_targetILNS1_3genE2ELNS1_11target_archE906ELNS1_3gpuE6ELNS1_3repE0EEENS1_30default_config_static_selectorELNS0_4arch9wavefront6targetE1EEEvT1_,"axG",@progbits,_ZN7rocprim17ROCPRIM_400000_NS6detail17trampoline_kernelINS0_14default_configENS1_20scan_config_selectorIsEEZZNS1_9scan_implILNS1_25lookback_scan_determinismE0ELb0ELb1ES3_N6thrust23THRUST_200600_302600_NS6detail15normal_iteratorINS9_10device_ptrIsEEEESE_sNS9_4plusIsEEsEEDaPvRmT3_T4_T5_mT6_P12ihipStream_tbENKUlT_T0_E_clISt17integral_constantIbLb1EESU_EEDaSP_SQ_EUlSP_E_NS1_11comp_targetILNS1_3genE2ELNS1_11target_archE906ELNS1_3gpuE6ELNS1_3repE0EEENS1_30default_config_static_selectorELNS0_4arch9wavefront6targetE1EEEvT1_,comdat
	.protected	_ZN7rocprim17ROCPRIM_400000_NS6detail17trampoline_kernelINS0_14default_configENS1_20scan_config_selectorIsEEZZNS1_9scan_implILNS1_25lookback_scan_determinismE0ELb0ELb1ES3_N6thrust23THRUST_200600_302600_NS6detail15normal_iteratorINS9_10device_ptrIsEEEESE_sNS9_4plusIsEEsEEDaPvRmT3_T4_T5_mT6_P12ihipStream_tbENKUlT_T0_E_clISt17integral_constantIbLb1EESU_EEDaSP_SQ_EUlSP_E_NS1_11comp_targetILNS1_3genE2ELNS1_11target_archE906ELNS1_3gpuE6ELNS1_3repE0EEENS1_30default_config_static_selectorELNS0_4arch9wavefront6targetE1EEEvT1_ ; -- Begin function _ZN7rocprim17ROCPRIM_400000_NS6detail17trampoline_kernelINS0_14default_configENS1_20scan_config_selectorIsEEZZNS1_9scan_implILNS1_25lookback_scan_determinismE0ELb0ELb1ES3_N6thrust23THRUST_200600_302600_NS6detail15normal_iteratorINS9_10device_ptrIsEEEESE_sNS9_4plusIsEEsEEDaPvRmT3_T4_T5_mT6_P12ihipStream_tbENKUlT_T0_E_clISt17integral_constantIbLb1EESU_EEDaSP_SQ_EUlSP_E_NS1_11comp_targetILNS1_3genE2ELNS1_11target_archE906ELNS1_3gpuE6ELNS1_3repE0EEENS1_30default_config_static_selectorELNS0_4arch9wavefront6targetE1EEEvT1_
	.globl	_ZN7rocprim17ROCPRIM_400000_NS6detail17trampoline_kernelINS0_14default_configENS1_20scan_config_selectorIsEEZZNS1_9scan_implILNS1_25lookback_scan_determinismE0ELb0ELb1ES3_N6thrust23THRUST_200600_302600_NS6detail15normal_iteratorINS9_10device_ptrIsEEEESE_sNS9_4plusIsEEsEEDaPvRmT3_T4_T5_mT6_P12ihipStream_tbENKUlT_T0_E_clISt17integral_constantIbLb1EESU_EEDaSP_SQ_EUlSP_E_NS1_11comp_targetILNS1_3genE2ELNS1_11target_archE906ELNS1_3gpuE6ELNS1_3repE0EEENS1_30default_config_static_selectorELNS0_4arch9wavefront6targetE1EEEvT1_
	.p2align	8
	.type	_ZN7rocprim17ROCPRIM_400000_NS6detail17trampoline_kernelINS0_14default_configENS1_20scan_config_selectorIsEEZZNS1_9scan_implILNS1_25lookback_scan_determinismE0ELb0ELb1ES3_N6thrust23THRUST_200600_302600_NS6detail15normal_iteratorINS9_10device_ptrIsEEEESE_sNS9_4plusIsEEsEEDaPvRmT3_T4_T5_mT6_P12ihipStream_tbENKUlT_T0_E_clISt17integral_constantIbLb1EESU_EEDaSP_SQ_EUlSP_E_NS1_11comp_targetILNS1_3genE2ELNS1_11target_archE906ELNS1_3gpuE6ELNS1_3repE0EEENS1_30default_config_static_selectorELNS0_4arch9wavefront6targetE1EEEvT1_,@function
_ZN7rocprim17ROCPRIM_400000_NS6detail17trampoline_kernelINS0_14default_configENS1_20scan_config_selectorIsEEZZNS1_9scan_implILNS1_25lookback_scan_determinismE0ELb0ELb1ES3_N6thrust23THRUST_200600_302600_NS6detail15normal_iteratorINS9_10device_ptrIsEEEESE_sNS9_4plusIsEEsEEDaPvRmT3_T4_T5_mT6_P12ihipStream_tbENKUlT_T0_E_clISt17integral_constantIbLb1EESU_EEDaSP_SQ_EUlSP_E_NS1_11comp_targetILNS1_3genE2ELNS1_11target_archE906ELNS1_3gpuE6ELNS1_3repE0EEENS1_30default_config_static_selectorELNS0_4arch9wavefront6targetE1EEEvT1_: ; @_ZN7rocprim17ROCPRIM_400000_NS6detail17trampoline_kernelINS0_14default_configENS1_20scan_config_selectorIsEEZZNS1_9scan_implILNS1_25lookback_scan_determinismE0ELb0ELb1ES3_N6thrust23THRUST_200600_302600_NS6detail15normal_iteratorINS9_10device_ptrIsEEEESE_sNS9_4plusIsEEsEEDaPvRmT3_T4_T5_mT6_P12ihipStream_tbENKUlT_T0_E_clISt17integral_constantIbLb1EESU_EEDaSP_SQ_EUlSP_E_NS1_11comp_targetILNS1_3genE2ELNS1_11target_archE906ELNS1_3gpuE6ELNS1_3repE0EEENS1_30default_config_static_selectorELNS0_4arch9wavefront6targetE1EEEvT1_
; %bb.0:
	.section	.rodata,"a",@progbits
	.p2align	6, 0x0
	.amdhsa_kernel _ZN7rocprim17ROCPRIM_400000_NS6detail17trampoline_kernelINS0_14default_configENS1_20scan_config_selectorIsEEZZNS1_9scan_implILNS1_25lookback_scan_determinismE0ELb0ELb1ES3_N6thrust23THRUST_200600_302600_NS6detail15normal_iteratorINS9_10device_ptrIsEEEESE_sNS9_4plusIsEEsEEDaPvRmT3_T4_T5_mT6_P12ihipStream_tbENKUlT_T0_E_clISt17integral_constantIbLb1EESU_EEDaSP_SQ_EUlSP_E_NS1_11comp_targetILNS1_3genE2ELNS1_11target_archE906ELNS1_3gpuE6ELNS1_3repE0EEENS1_30default_config_static_selectorELNS0_4arch9wavefront6targetE1EEEvT1_
		.amdhsa_group_segment_fixed_size 0
		.amdhsa_private_segment_fixed_size 0
		.amdhsa_kernarg_size 96
		.amdhsa_user_sgpr_count 6
		.amdhsa_user_sgpr_private_segment_buffer 1
		.amdhsa_user_sgpr_dispatch_ptr 0
		.amdhsa_user_sgpr_queue_ptr 0
		.amdhsa_user_sgpr_kernarg_segment_ptr 1
		.amdhsa_user_sgpr_dispatch_id 0
		.amdhsa_user_sgpr_flat_scratch_init 0
		.amdhsa_user_sgpr_kernarg_preload_length 0
		.amdhsa_user_sgpr_kernarg_preload_offset 0
		.amdhsa_user_sgpr_private_segment_size 0
		.amdhsa_uses_dynamic_stack 0
		.amdhsa_system_sgpr_private_segment_wavefront_offset 0
		.amdhsa_system_sgpr_workgroup_id_x 1
		.amdhsa_system_sgpr_workgroup_id_y 0
		.amdhsa_system_sgpr_workgroup_id_z 0
		.amdhsa_system_sgpr_workgroup_info 0
		.amdhsa_system_vgpr_workitem_id 0
		.amdhsa_next_free_vgpr 1
		.amdhsa_next_free_sgpr 0
		.amdhsa_accum_offset 4
		.amdhsa_reserve_vcc 0
		.amdhsa_reserve_flat_scratch 0
		.amdhsa_float_round_mode_32 0
		.amdhsa_float_round_mode_16_64 0
		.amdhsa_float_denorm_mode_32 3
		.amdhsa_float_denorm_mode_16_64 3
		.amdhsa_dx10_clamp 1
		.amdhsa_ieee_mode 1
		.amdhsa_fp16_overflow 0
		.amdhsa_tg_split 0
		.amdhsa_exception_fp_ieee_invalid_op 0
		.amdhsa_exception_fp_denorm_src 0
		.amdhsa_exception_fp_ieee_div_zero 0
		.amdhsa_exception_fp_ieee_overflow 0
		.amdhsa_exception_fp_ieee_underflow 0
		.amdhsa_exception_fp_ieee_inexact 0
		.amdhsa_exception_int_div_zero 0
	.end_amdhsa_kernel
	.section	.text._ZN7rocprim17ROCPRIM_400000_NS6detail17trampoline_kernelINS0_14default_configENS1_20scan_config_selectorIsEEZZNS1_9scan_implILNS1_25lookback_scan_determinismE0ELb0ELb1ES3_N6thrust23THRUST_200600_302600_NS6detail15normal_iteratorINS9_10device_ptrIsEEEESE_sNS9_4plusIsEEsEEDaPvRmT3_T4_T5_mT6_P12ihipStream_tbENKUlT_T0_E_clISt17integral_constantIbLb1EESU_EEDaSP_SQ_EUlSP_E_NS1_11comp_targetILNS1_3genE2ELNS1_11target_archE906ELNS1_3gpuE6ELNS1_3repE0EEENS1_30default_config_static_selectorELNS0_4arch9wavefront6targetE1EEEvT1_,"axG",@progbits,_ZN7rocprim17ROCPRIM_400000_NS6detail17trampoline_kernelINS0_14default_configENS1_20scan_config_selectorIsEEZZNS1_9scan_implILNS1_25lookback_scan_determinismE0ELb0ELb1ES3_N6thrust23THRUST_200600_302600_NS6detail15normal_iteratorINS9_10device_ptrIsEEEESE_sNS9_4plusIsEEsEEDaPvRmT3_T4_T5_mT6_P12ihipStream_tbENKUlT_T0_E_clISt17integral_constantIbLb1EESU_EEDaSP_SQ_EUlSP_E_NS1_11comp_targetILNS1_3genE2ELNS1_11target_archE906ELNS1_3gpuE6ELNS1_3repE0EEENS1_30default_config_static_selectorELNS0_4arch9wavefront6targetE1EEEvT1_,comdat
.Lfunc_end1289:
	.size	_ZN7rocprim17ROCPRIM_400000_NS6detail17trampoline_kernelINS0_14default_configENS1_20scan_config_selectorIsEEZZNS1_9scan_implILNS1_25lookback_scan_determinismE0ELb0ELb1ES3_N6thrust23THRUST_200600_302600_NS6detail15normal_iteratorINS9_10device_ptrIsEEEESE_sNS9_4plusIsEEsEEDaPvRmT3_T4_T5_mT6_P12ihipStream_tbENKUlT_T0_E_clISt17integral_constantIbLb1EESU_EEDaSP_SQ_EUlSP_E_NS1_11comp_targetILNS1_3genE2ELNS1_11target_archE906ELNS1_3gpuE6ELNS1_3repE0EEENS1_30default_config_static_selectorELNS0_4arch9wavefront6targetE1EEEvT1_, .Lfunc_end1289-_ZN7rocprim17ROCPRIM_400000_NS6detail17trampoline_kernelINS0_14default_configENS1_20scan_config_selectorIsEEZZNS1_9scan_implILNS1_25lookback_scan_determinismE0ELb0ELb1ES3_N6thrust23THRUST_200600_302600_NS6detail15normal_iteratorINS9_10device_ptrIsEEEESE_sNS9_4plusIsEEsEEDaPvRmT3_T4_T5_mT6_P12ihipStream_tbENKUlT_T0_E_clISt17integral_constantIbLb1EESU_EEDaSP_SQ_EUlSP_E_NS1_11comp_targetILNS1_3genE2ELNS1_11target_archE906ELNS1_3gpuE6ELNS1_3repE0EEENS1_30default_config_static_selectorELNS0_4arch9wavefront6targetE1EEEvT1_
                                        ; -- End function
	.section	.AMDGPU.csdata,"",@progbits
; Kernel info:
; codeLenInByte = 0
; NumSgprs: 4
; NumVgprs: 0
; NumAgprs: 0
; TotalNumVgprs: 0
; ScratchSize: 0
; MemoryBound: 0
; FloatMode: 240
; IeeeMode: 1
; LDSByteSize: 0 bytes/workgroup (compile time only)
; SGPRBlocks: 0
; VGPRBlocks: 0
; NumSGPRsForWavesPerEU: 4
; NumVGPRsForWavesPerEU: 1
; AccumOffset: 4
; Occupancy: 8
; WaveLimiterHint : 0
; COMPUTE_PGM_RSRC2:SCRATCH_EN: 0
; COMPUTE_PGM_RSRC2:USER_SGPR: 6
; COMPUTE_PGM_RSRC2:TRAP_HANDLER: 0
; COMPUTE_PGM_RSRC2:TGID_X_EN: 1
; COMPUTE_PGM_RSRC2:TGID_Y_EN: 0
; COMPUTE_PGM_RSRC2:TGID_Z_EN: 0
; COMPUTE_PGM_RSRC2:TIDIG_COMP_CNT: 0
; COMPUTE_PGM_RSRC3_GFX90A:ACCUM_OFFSET: 0
; COMPUTE_PGM_RSRC3_GFX90A:TG_SPLIT: 0
	.section	.text._ZN7rocprim17ROCPRIM_400000_NS6detail17trampoline_kernelINS0_14default_configENS1_20scan_config_selectorIsEEZZNS1_9scan_implILNS1_25lookback_scan_determinismE0ELb0ELb1ES3_N6thrust23THRUST_200600_302600_NS6detail15normal_iteratorINS9_10device_ptrIsEEEESE_sNS9_4plusIsEEsEEDaPvRmT3_T4_T5_mT6_P12ihipStream_tbENKUlT_T0_E_clISt17integral_constantIbLb1EESU_EEDaSP_SQ_EUlSP_E_NS1_11comp_targetILNS1_3genE10ELNS1_11target_archE1201ELNS1_3gpuE5ELNS1_3repE0EEENS1_30default_config_static_selectorELNS0_4arch9wavefront6targetE1EEEvT1_,"axG",@progbits,_ZN7rocprim17ROCPRIM_400000_NS6detail17trampoline_kernelINS0_14default_configENS1_20scan_config_selectorIsEEZZNS1_9scan_implILNS1_25lookback_scan_determinismE0ELb0ELb1ES3_N6thrust23THRUST_200600_302600_NS6detail15normal_iteratorINS9_10device_ptrIsEEEESE_sNS9_4plusIsEEsEEDaPvRmT3_T4_T5_mT6_P12ihipStream_tbENKUlT_T0_E_clISt17integral_constantIbLb1EESU_EEDaSP_SQ_EUlSP_E_NS1_11comp_targetILNS1_3genE10ELNS1_11target_archE1201ELNS1_3gpuE5ELNS1_3repE0EEENS1_30default_config_static_selectorELNS0_4arch9wavefront6targetE1EEEvT1_,comdat
	.protected	_ZN7rocprim17ROCPRIM_400000_NS6detail17trampoline_kernelINS0_14default_configENS1_20scan_config_selectorIsEEZZNS1_9scan_implILNS1_25lookback_scan_determinismE0ELb0ELb1ES3_N6thrust23THRUST_200600_302600_NS6detail15normal_iteratorINS9_10device_ptrIsEEEESE_sNS9_4plusIsEEsEEDaPvRmT3_T4_T5_mT6_P12ihipStream_tbENKUlT_T0_E_clISt17integral_constantIbLb1EESU_EEDaSP_SQ_EUlSP_E_NS1_11comp_targetILNS1_3genE10ELNS1_11target_archE1201ELNS1_3gpuE5ELNS1_3repE0EEENS1_30default_config_static_selectorELNS0_4arch9wavefront6targetE1EEEvT1_ ; -- Begin function _ZN7rocprim17ROCPRIM_400000_NS6detail17trampoline_kernelINS0_14default_configENS1_20scan_config_selectorIsEEZZNS1_9scan_implILNS1_25lookback_scan_determinismE0ELb0ELb1ES3_N6thrust23THRUST_200600_302600_NS6detail15normal_iteratorINS9_10device_ptrIsEEEESE_sNS9_4plusIsEEsEEDaPvRmT3_T4_T5_mT6_P12ihipStream_tbENKUlT_T0_E_clISt17integral_constantIbLb1EESU_EEDaSP_SQ_EUlSP_E_NS1_11comp_targetILNS1_3genE10ELNS1_11target_archE1201ELNS1_3gpuE5ELNS1_3repE0EEENS1_30default_config_static_selectorELNS0_4arch9wavefront6targetE1EEEvT1_
	.globl	_ZN7rocprim17ROCPRIM_400000_NS6detail17trampoline_kernelINS0_14default_configENS1_20scan_config_selectorIsEEZZNS1_9scan_implILNS1_25lookback_scan_determinismE0ELb0ELb1ES3_N6thrust23THRUST_200600_302600_NS6detail15normal_iteratorINS9_10device_ptrIsEEEESE_sNS9_4plusIsEEsEEDaPvRmT3_T4_T5_mT6_P12ihipStream_tbENKUlT_T0_E_clISt17integral_constantIbLb1EESU_EEDaSP_SQ_EUlSP_E_NS1_11comp_targetILNS1_3genE10ELNS1_11target_archE1201ELNS1_3gpuE5ELNS1_3repE0EEENS1_30default_config_static_selectorELNS0_4arch9wavefront6targetE1EEEvT1_
	.p2align	8
	.type	_ZN7rocprim17ROCPRIM_400000_NS6detail17trampoline_kernelINS0_14default_configENS1_20scan_config_selectorIsEEZZNS1_9scan_implILNS1_25lookback_scan_determinismE0ELb0ELb1ES3_N6thrust23THRUST_200600_302600_NS6detail15normal_iteratorINS9_10device_ptrIsEEEESE_sNS9_4plusIsEEsEEDaPvRmT3_T4_T5_mT6_P12ihipStream_tbENKUlT_T0_E_clISt17integral_constantIbLb1EESU_EEDaSP_SQ_EUlSP_E_NS1_11comp_targetILNS1_3genE10ELNS1_11target_archE1201ELNS1_3gpuE5ELNS1_3repE0EEENS1_30default_config_static_selectorELNS0_4arch9wavefront6targetE1EEEvT1_,@function
_ZN7rocprim17ROCPRIM_400000_NS6detail17trampoline_kernelINS0_14default_configENS1_20scan_config_selectorIsEEZZNS1_9scan_implILNS1_25lookback_scan_determinismE0ELb0ELb1ES3_N6thrust23THRUST_200600_302600_NS6detail15normal_iteratorINS9_10device_ptrIsEEEESE_sNS9_4plusIsEEsEEDaPvRmT3_T4_T5_mT6_P12ihipStream_tbENKUlT_T0_E_clISt17integral_constantIbLb1EESU_EEDaSP_SQ_EUlSP_E_NS1_11comp_targetILNS1_3genE10ELNS1_11target_archE1201ELNS1_3gpuE5ELNS1_3repE0EEENS1_30default_config_static_selectorELNS0_4arch9wavefront6targetE1EEEvT1_: ; @_ZN7rocprim17ROCPRIM_400000_NS6detail17trampoline_kernelINS0_14default_configENS1_20scan_config_selectorIsEEZZNS1_9scan_implILNS1_25lookback_scan_determinismE0ELb0ELb1ES3_N6thrust23THRUST_200600_302600_NS6detail15normal_iteratorINS9_10device_ptrIsEEEESE_sNS9_4plusIsEEsEEDaPvRmT3_T4_T5_mT6_P12ihipStream_tbENKUlT_T0_E_clISt17integral_constantIbLb1EESU_EEDaSP_SQ_EUlSP_E_NS1_11comp_targetILNS1_3genE10ELNS1_11target_archE1201ELNS1_3gpuE5ELNS1_3repE0EEENS1_30default_config_static_selectorELNS0_4arch9wavefront6targetE1EEEvT1_
; %bb.0:
	.section	.rodata,"a",@progbits
	.p2align	6, 0x0
	.amdhsa_kernel _ZN7rocprim17ROCPRIM_400000_NS6detail17trampoline_kernelINS0_14default_configENS1_20scan_config_selectorIsEEZZNS1_9scan_implILNS1_25lookback_scan_determinismE0ELb0ELb1ES3_N6thrust23THRUST_200600_302600_NS6detail15normal_iteratorINS9_10device_ptrIsEEEESE_sNS9_4plusIsEEsEEDaPvRmT3_T4_T5_mT6_P12ihipStream_tbENKUlT_T0_E_clISt17integral_constantIbLb1EESU_EEDaSP_SQ_EUlSP_E_NS1_11comp_targetILNS1_3genE10ELNS1_11target_archE1201ELNS1_3gpuE5ELNS1_3repE0EEENS1_30default_config_static_selectorELNS0_4arch9wavefront6targetE1EEEvT1_
		.amdhsa_group_segment_fixed_size 0
		.amdhsa_private_segment_fixed_size 0
		.amdhsa_kernarg_size 96
		.amdhsa_user_sgpr_count 6
		.amdhsa_user_sgpr_private_segment_buffer 1
		.amdhsa_user_sgpr_dispatch_ptr 0
		.amdhsa_user_sgpr_queue_ptr 0
		.amdhsa_user_sgpr_kernarg_segment_ptr 1
		.amdhsa_user_sgpr_dispatch_id 0
		.amdhsa_user_sgpr_flat_scratch_init 0
		.amdhsa_user_sgpr_kernarg_preload_length 0
		.amdhsa_user_sgpr_kernarg_preload_offset 0
		.amdhsa_user_sgpr_private_segment_size 0
		.amdhsa_uses_dynamic_stack 0
		.amdhsa_system_sgpr_private_segment_wavefront_offset 0
		.amdhsa_system_sgpr_workgroup_id_x 1
		.amdhsa_system_sgpr_workgroup_id_y 0
		.amdhsa_system_sgpr_workgroup_id_z 0
		.amdhsa_system_sgpr_workgroup_info 0
		.amdhsa_system_vgpr_workitem_id 0
		.amdhsa_next_free_vgpr 1
		.amdhsa_next_free_sgpr 0
		.amdhsa_accum_offset 4
		.amdhsa_reserve_vcc 0
		.amdhsa_reserve_flat_scratch 0
		.amdhsa_float_round_mode_32 0
		.amdhsa_float_round_mode_16_64 0
		.amdhsa_float_denorm_mode_32 3
		.amdhsa_float_denorm_mode_16_64 3
		.amdhsa_dx10_clamp 1
		.amdhsa_ieee_mode 1
		.amdhsa_fp16_overflow 0
		.amdhsa_tg_split 0
		.amdhsa_exception_fp_ieee_invalid_op 0
		.amdhsa_exception_fp_denorm_src 0
		.amdhsa_exception_fp_ieee_div_zero 0
		.amdhsa_exception_fp_ieee_overflow 0
		.amdhsa_exception_fp_ieee_underflow 0
		.amdhsa_exception_fp_ieee_inexact 0
		.amdhsa_exception_int_div_zero 0
	.end_amdhsa_kernel
	.section	.text._ZN7rocprim17ROCPRIM_400000_NS6detail17trampoline_kernelINS0_14default_configENS1_20scan_config_selectorIsEEZZNS1_9scan_implILNS1_25lookback_scan_determinismE0ELb0ELb1ES3_N6thrust23THRUST_200600_302600_NS6detail15normal_iteratorINS9_10device_ptrIsEEEESE_sNS9_4plusIsEEsEEDaPvRmT3_T4_T5_mT6_P12ihipStream_tbENKUlT_T0_E_clISt17integral_constantIbLb1EESU_EEDaSP_SQ_EUlSP_E_NS1_11comp_targetILNS1_3genE10ELNS1_11target_archE1201ELNS1_3gpuE5ELNS1_3repE0EEENS1_30default_config_static_selectorELNS0_4arch9wavefront6targetE1EEEvT1_,"axG",@progbits,_ZN7rocprim17ROCPRIM_400000_NS6detail17trampoline_kernelINS0_14default_configENS1_20scan_config_selectorIsEEZZNS1_9scan_implILNS1_25lookback_scan_determinismE0ELb0ELb1ES3_N6thrust23THRUST_200600_302600_NS6detail15normal_iteratorINS9_10device_ptrIsEEEESE_sNS9_4plusIsEEsEEDaPvRmT3_T4_T5_mT6_P12ihipStream_tbENKUlT_T0_E_clISt17integral_constantIbLb1EESU_EEDaSP_SQ_EUlSP_E_NS1_11comp_targetILNS1_3genE10ELNS1_11target_archE1201ELNS1_3gpuE5ELNS1_3repE0EEENS1_30default_config_static_selectorELNS0_4arch9wavefront6targetE1EEEvT1_,comdat
.Lfunc_end1290:
	.size	_ZN7rocprim17ROCPRIM_400000_NS6detail17trampoline_kernelINS0_14default_configENS1_20scan_config_selectorIsEEZZNS1_9scan_implILNS1_25lookback_scan_determinismE0ELb0ELb1ES3_N6thrust23THRUST_200600_302600_NS6detail15normal_iteratorINS9_10device_ptrIsEEEESE_sNS9_4plusIsEEsEEDaPvRmT3_T4_T5_mT6_P12ihipStream_tbENKUlT_T0_E_clISt17integral_constantIbLb1EESU_EEDaSP_SQ_EUlSP_E_NS1_11comp_targetILNS1_3genE10ELNS1_11target_archE1201ELNS1_3gpuE5ELNS1_3repE0EEENS1_30default_config_static_selectorELNS0_4arch9wavefront6targetE1EEEvT1_, .Lfunc_end1290-_ZN7rocprim17ROCPRIM_400000_NS6detail17trampoline_kernelINS0_14default_configENS1_20scan_config_selectorIsEEZZNS1_9scan_implILNS1_25lookback_scan_determinismE0ELb0ELb1ES3_N6thrust23THRUST_200600_302600_NS6detail15normal_iteratorINS9_10device_ptrIsEEEESE_sNS9_4plusIsEEsEEDaPvRmT3_T4_T5_mT6_P12ihipStream_tbENKUlT_T0_E_clISt17integral_constantIbLb1EESU_EEDaSP_SQ_EUlSP_E_NS1_11comp_targetILNS1_3genE10ELNS1_11target_archE1201ELNS1_3gpuE5ELNS1_3repE0EEENS1_30default_config_static_selectorELNS0_4arch9wavefront6targetE1EEEvT1_
                                        ; -- End function
	.section	.AMDGPU.csdata,"",@progbits
; Kernel info:
; codeLenInByte = 0
; NumSgprs: 4
; NumVgprs: 0
; NumAgprs: 0
; TotalNumVgprs: 0
; ScratchSize: 0
; MemoryBound: 0
; FloatMode: 240
; IeeeMode: 1
; LDSByteSize: 0 bytes/workgroup (compile time only)
; SGPRBlocks: 0
; VGPRBlocks: 0
; NumSGPRsForWavesPerEU: 4
; NumVGPRsForWavesPerEU: 1
; AccumOffset: 4
; Occupancy: 8
; WaveLimiterHint : 0
; COMPUTE_PGM_RSRC2:SCRATCH_EN: 0
; COMPUTE_PGM_RSRC2:USER_SGPR: 6
; COMPUTE_PGM_RSRC2:TRAP_HANDLER: 0
; COMPUTE_PGM_RSRC2:TGID_X_EN: 1
; COMPUTE_PGM_RSRC2:TGID_Y_EN: 0
; COMPUTE_PGM_RSRC2:TGID_Z_EN: 0
; COMPUTE_PGM_RSRC2:TIDIG_COMP_CNT: 0
; COMPUTE_PGM_RSRC3_GFX90A:ACCUM_OFFSET: 0
; COMPUTE_PGM_RSRC3_GFX90A:TG_SPLIT: 0
	.section	.text._ZN7rocprim17ROCPRIM_400000_NS6detail17trampoline_kernelINS0_14default_configENS1_20scan_config_selectorIsEEZZNS1_9scan_implILNS1_25lookback_scan_determinismE0ELb0ELb1ES3_N6thrust23THRUST_200600_302600_NS6detail15normal_iteratorINS9_10device_ptrIsEEEESE_sNS9_4plusIsEEsEEDaPvRmT3_T4_T5_mT6_P12ihipStream_tbENKUlT_T0_E_clISt17integral_constantIbLb1EESU_EEDaSP_SQ_EUlSP_E_NS1_11comp_targetILNS1_3genE10ELNS1_11target_archE1200ELNS1_3gpuE4ELNS1_3repE0EEENS1_30default_config_static_selectorELNS0_4arch9wavefront6targetE1EEEvT1_,"axG",@progbits,_ZN7rocprim17ROCPRIM_400000_NS6detail17trampoline_kernelINS0_14default_configENS1_20scan_config_selectorIsEEZZNS1_9scan_implILNS1_25lookback_scan_determinismE0ELb0ELb1ES3_N6thrust23THRUST_200600_302600_NS6detail15normal_iteratorINS9_10device_ptrIsEEEESE_sNS9_4plusIsEEsEEDaPvRmT3_T4_T5_mT6_P12ihipStream_tbENKUlT_T0_E_clISt17integral_constantIbLb1EESU_EEDaSP_SQ_EUlSP_E_NS1_11comp_targetILNS1_3genE10ELNS1_11target_archE1200ELNS1_3gpuE4ELNS1_3repE0EEENS1_30default_config_static_selectorELNS0_4arch9wavefront6targetE1EEEvT1_,comdat
	.protected	_ZN7rocprim17ROCPRIM_400000_NS6detail17trampoline_kernelINS0_14default_configENS1_20scan_config_selectorIsEEZZNS1_9scan_implILNS1_25lookback_scan_determinismE0ELb0ELb1ES3_N6thrust23THRUST_200600_302600_NS6detail15normal_iteratorINS9_10device_ptrIsEEEESE_sNS9_4plusIsEEsEEDaPvRmT3_T4_T5_mT6_P12ihipStream_tbENKUlT_T0_E_clISt17integral_constantIbLb1EESU_EEDaSP_SQ_EUlSP_E_NS1_11comp_targetILNS1_3genE10ELNS1_11target_archE1200ELNS1_3gpuE4ELNS1_3repE0EEENS1_30default_config_static_selectorELNS0_4arch9wavefront6targetE1EEEvT1_ ; -- Begin function _ZN7rocprim17ROCPRIM_400000_NS6detail17trampoline_kernelINS0_14default_configENS1_20scan_config_selectorIsEEZZNS1_9scan_implILNS1_25lookback_scan_determinismE0ELb0ELb1ES3_N6thrust23THRUST_200600_302600_NS6detail15normal_iteratorINS9_10device_ptrIsEEEESE_sNS9_4plusIsEEsEEDaPvRmT3_T4_T5_mT6_P12ihipStream_tbENKUlT_T0_E_clISt17integral_constantIbLb1EESU_EEDaSP_SQ_EUlSP_E_NS1_11comp_targetILNS1_3genE10ELNS1_11target_archE1200ELNS1_3gpuE4ELNS1_3repE0EEENS1_30default_config_static_selectorELNS0_4arch9wavefront6targetE1EEEvT1_
	.globl	_ZN7rocprim17ROCPRIM_400000_NS6detail17trampoline_kernelINS0_14default_configENS1_20scan_config_selectorIsEEZZNS1_9scan_implILNS1_25lookback_scan_determinismE0ELb0ELb1ES3_N6thrust23THRUST_200600_302600_NS6detail15normal_iteratorINS9_10device_ptrIsEEEESE_sNS9_4plusIsEEsEEDaPvRmT3_T4_T5_mT6_P12ihipStream_tbENKUlT_T0_E_clISt17integral_constantIbLb1EESU_EEDaSP_SQ_EUlSP_E_NS1_11comp_targetILNS1_3genE10ELNS1_11target_archE1200ELNS1_3gpuE4ELNS1_3repE0EEENS1_30default_config_static_selectorELNS0_4arch9wavefront6targetE1EEEvT1_
	.p2align	8
	.type	_ZN7rocprim17ROCPRIM_400000_NS6detail17trampoline_kernelINS0_14default_configENS1_20scan_config_selectorIsEEZZNS1_9scan_implILNS1_25lookback_scan_determinismE0ELb0ELb1ES3_N6thrust23THRUST_200600_302600_NS6detail15normal_iteratorINS9_10device_ptrIsEEEESE_sNS9_4plusIsEEsEEDaPvRmT3_T4_T5_mT6_P12ihipStream_tbENKUlT_T0_E_clISt17integral_constantIbLb1EESU_EEDaSP_SQ_EUlSP_E_NS1_11comp_targetILNS1_3genE10ELNS1_11target_archE1200ELNS1_3gpuE4ELNS1_3repE0EEENS1_30default_config_static_selectorELNS0_4arch9wavefront6targetE1EEEvT1_,@function
_ZN7rocprim17ROCPRIM_400000_NS6detail17trampoline_kernelINS0_14default_configENS1_20scan_config_selectorIsEEZZNS1_9scan_implILNS1_25lookback_scan_determinismE0ELb0ELb1ES3_N6thrust23THRUST_200600_302600_NS6detail15normal_iteratorINS9_10device_ptrIsEEEESE_sNS9_4plusIsEEsEEDaPvRmT3_T4_T5_mT6_P12ihipStream_tbENKUlT_T0_E_clISt17integral_constantIbLb1EESU_EEDaSP_SQ_EUlSP_E_NS1_11comp_targetILNS1_3genE10ELNS1_11target_archE1200ELNS1_3gpuE4ELNS1_3repE0EEENS1_30default_config_static_selectorELNS0_4arch9wavefront6targetE1EEEvT1_: ; @_ZN7rocprim17ROCPRIM_400000_NS6detail17trampoline_kernelINS0_14default_configENS1_20scan_config_selectorIsEEZZNS1_9scan_implILNS1_25lookback_scan_determinismE0ELb0ELb1ES3_N6thrust23THRUST_200600_302600_NS6detail15normal_iteratorINS9_10device_ptrIsEEEESE_sNS9_4plusIsEEsEEDaPvRmT3_T4_T5_mT6_P12ihipStream_tbENKUlT_T0_E_clISt17integral_constantIbLb1EESU_EEDaSP_SQ_EUlSP_E_NS1_11comp_targetILNS1_3genE10ELNS1_11target_archE1200ELNS1_3gpuE4ELNS1_3repE0EEENS1_30default_config_static_selectorELNS0_4arch9wavefront6targetE1EEEvT1_
; %bb.0:
	.section	.rodata,"a",@progbits
	.p2align	6, 0x0
	.amdhsa_kernel _ZN7rocprim17ROCPRIM_400000_NS6detail17trampoline_kernelINS0_14default_configENS1_20scan_config_selectorIsEEZZNS1_9scan_implILNS1_25lookback_scan_determinismE0ELb0ELb1ES3_N6thrust23THRUST_200600_302600_NS6detail15normal_iteratorINS9_10device_ptrIsEEEESE_sNS9_4plusIsEEsEEDaPvRmT3_T4_T5_mT6_P12ihipStream_tbENKUlT_T0_E_clISt17integral_constantIbLb1EESU_EEDaSP_SQ_EUlSP_E_NS1_11comp_targetILNS1_3genE10ELNS1_11target_archE1200ELNS1_3gpuE4ELNS1_3repE0EEENS1_30default_config_static_selectorELNS0_4arch9wavefront6targetE1EEEvT1_
		.amdhsa_group_segment_fixed_size 0
		.amdhsa_private_segment_fixed_size 0
		.amdhsa_kernarg_size 96
		.amdhsa_user_sgpr_count 6
		.amdhsa_user_sgpr_private_segment_buffer 1
		.amdhsa_user_sgpr_dispatch_ptr 0
		.amdhsa_user_sgpr_queue_ptr 0
		.amdhsa_user_sgpr_kernarg_segment_ptr 1
		.amdhsa_user_sgpr_dispatch_id 0
		.amdhsa_user_sgpr_flat_scratch_init 0
		.amdhsa_user_sgpr_kernarg_preload_length 0
		.amdhsa_user_sgpr_kernarg_preload_offset 0
		.amdhsa_user_sgpr_private_segment_size 0
		.amdhsa_uses_dynamic_stack 0
		.amdhsa_system_sgpr_private_segment_wavefront_offset 0
		.amdhsa_system_sgpr_workgroup_id_x 1
		.amdhsa_system_sgpr_workgroup_id_y 0
		.amdhsa_system_sgpr_workgroup_id_z 0
		.amdhsa_system_sgpr_workgroup_info 0
		.amdhsa_system_vgpr_workitem_id 0
		.amdhsa_next_free_vgpr 1
		.amdhsa_next_free_sgpr 0
		.amdhsa_accum_offset 4
		.amdhsa_reserve_vcc 0
		.amdhsa_reserve_flat_scratch 0
		.amdhsa_float_round_mode_32 0
		.amdhsa_float_round_mode_16_64 0
		.amdhsa_float_denorm_mode_32 3
		.amdhsa_float_denorm_mode_16_64 3
		.amdhsa_dx10_clamp 1
		.amdhsa_ieee_mode 1
		.amdhsa_fp16_overflow 0
		.amdhsa_tg_split 0
		.amdhsa_exception_fp_ieee_invalid_op 0
		.amdhsa_exception_fp_denorm_src 0
		.amdhsa_exception_fp_ieee_div_zero 0
		.amdhsa_exception_fp_ieee_overflow 0
		.amdhsa_exception_fp_ieee_underflow 0
		.amdhsa_exception_fp_ieee_inexact 0
		.amdhsa_exception_int_div_zero 0
	.end_amdhsa_kernel
	.section	.text._ZN7rocprim17ROCPRIM_400000_NS6detail17trampoline_kernelINS0_14default_configENS1_20scan_config_selectorIsEEZZNS1_9scan_implILNS1_25lookback_scan_determinismE0ELb0ELb1ES3_N6thrust23THRUST_200600_302600_NS6detail15normal_iteratorINS9_10device_ptrIsEEEESE_sNS9_4plusIsEEsEEDaPvRmT3_T4_T5_mT6_P12ihipStream_tbENKUlT_T0_E_clISt17integral_constantIbLb1EESU_EEDaSP_SQ_EUlSP_E_NS1_11comp_targetILNS1_3genE10ELNS1_11target_archE1200ELNS1_3gpuE4ELNS1_3repE0EEENS1_30default_config_static_selectorELNS0_4arch9wavefront6targetE1EEEvT1_,"axG",@progbits,_ZN7rocprim17ROCPRIM_400000_NS6detail17trampoline_kernelINS0_14default_configENS1_20scan_config_selectorIsEEZZNS1_9scan_implILNS1_25lookback_scan_determinismE0ELb0ELb1ES3_N6thrust23THRUST_200600_302600_NS6detail15normal_iteratorINS9_10device_ptrIsEEEESE_sNS9_4plusIsEEsEEDaPvRmT3_T4_T5_mT6_P12ihipStream_tbENKUlT_T0_E_clISt17integral_constantIbLb1EESU_EEDaSP_SQ_EUlSP_E_NS1_11comp_targetILNS1_3genE10ELNS1_11target_archE1200ELNS1_3gpuE4ELNS1_3repE0EEENS1_30default_config_static_selectorELNS0_4arch9wavefront6targetE1EEEvT1_,comdat
.Lfunc_end1291:
	.size	_ZN7rocprim17ROCPRIM_400000_NS6detail17trampoline_kernelINS0_14default_configENS1_20scan_config_selectorIsEEZZNS1_9scan_implILNS1_25lookback_scan_determinismE0ELb0ELb1ES3_N6thrust23THRUST_200600_302600_NS6detail15normal_iteratorINS9_10device_ptrIsEEEESE_sNS9_4plusIsEEsEEDaPvRmT3_T4_T5_mT6_P12ihipStream_tbENKUlT_T0_E_clISt17integral_constantIbLb1EESU_EEDaSP_SQ_EUlSP_E_NS1_11comp_targetILNS1_3genE10ELNS1_11target_archE1200ELNS1_3gpuE4ELNS1_3repE0EEENS1_30default_config_static_selectorELNS0_4arch9wavefront6targetE1EEEvT1_, .Lfunc_end1291-_ZN7rocprim17ROCPRIM_400000_NS6detail17trampoline_kernelINS0_14default_configENS1_20scan_config_selectorIsEEZZNS1_9scan_implILNS1_25lookback_scan_determinismE0ELb0ELb1ES3_N6thrust23THRUST_200600_302600_NS6detail15normal_iteratorINS9_10device_ptrIsEEEESE_sNS9_4plusIsEEsEEDaPvRmT3_T4_T5_mT6_P12ihipStream_tbENKUlT_T0_E_clISt17integral_constantIbLb1EESU_EEDaSP_SQ_EUlSP_E_NS1_11comp_targetILNS1_3genE10ELNS1_11target_archE1200ELNS1_3gpuE4ELNS1_3repE0EEENS1_30default_config_static_selectorELNS0_4arch9wavefront6targetE1EEEvT1_
                                        ; -- End function
	.section	.AMDGPU.csdata,"",@progbits
; Kernel info:
; codeLenInByte = 0
; NumSgprs: 4
; NumVgprs: 0
; NumAgprs: 0
; TotalNumVgprs: 0
; ScratchSize: 0
; MemoryBound: 0
; FloatMode: 240
; IeeeMode: 1
; LDSByteSize: 0 bytes/workgroup (compile time only)
; SGPRBlocks: 0
; VGPRBlocks: 0
; NumSGPRsForWavesPerEU: 4
; NumVGPRsForWavesPerEU: 1
; AccumOffset: 4
; Occupancy: 8
; WaveLimiterHint : 0
; COMPUTE_PGM_RSRC2:SCRATCH_EN: 0
; COMPUTE_PGM_RSRC2:USER_SGPR: 6
; COMPUTE_PGM_RSRC2:TRAP_HANDLER: 0
; COMPUTE_PGM_RSRC2:TGID_X_EN: 1
; COMPUTE_PGM_RSRC2:TGID_Y_EN: 0
; COMPUTE_PGM_RSRC2:TGID_Z_EN: 0
; COMPUTE_PGM_RSRC2:TIDIG_COMP_CNT: 0
; COMPUTE_PGM_RSRC3_GFX90A:ACCUM_OFFSET: 0
; COMPUTE_PGM_RSRC3_GFX90A:TG_SPLIT: 0
	.section	.text._ZN7rocprim17ROCPRIM_400000_NS6detail17trampoline_kernelINS0_14default_configENS1_20scan_config_selectorIsEEZZNS1_9scan_implILNS1_25lookback_scan_determinismE0ELb0ELb1ES3_N6thrust23THRUST_200600_302600_NS6detail15normal_iteratorINS9_10device_ptrIsEEEESE_sNS9_4plusIsEEsEEDaPvRmT3_T4_T5_mT6_P12ihipStream_tbENKUlT_T0_E_clISt17integral_constantIbLb1EESU_EEDaSP_SQ_EUlSP_E_NS1_11comp_targetILNS1_3genE9ELNS1_11target_archE1100ELNS1_3gpuE3ELNS1_3repE0EEENS1_30default_config_static_selectorELNS0_4arch9wavefront6targetE1EEEvT1_,"axG",@progbits,_ZN7rocprim17ROCPRIM_400000_NS6detail17trampoline_kernelINS0_14default_configENS1_20scan_config_selectorIsEEZZNS1_9scan_implILNS1_25lookback_scan_determinismE0ELb0ELb1ES3_N6thrust23THRUST_200600_302600_NS6detail15normal_iteratorINS9_10device_ptrIsEEEESE_sNS9_4plusIsEEsEEDaPvRmT3_T4_T5_mT6_P12ihipStream_tbENKUlT_T0_E_clISt17integral_constantIbLb1EESU_EEDaSP_SQ_EUlSP_E_NS1_11comp_targetILNS1_3genE9ELNS1_11target_archE1100ELNS1_3gpuE3ELNS1_3repE0EEENS1_30default_config_static_selectorELNS0_4arch9wavefront6targetE1EEEvT1_,comdat
	.protected	_ZN7rocprim17ROCPRIM_400000_NS6detail17trampoline_kernelINS0_14default_configENS1_20scan_config_selectorIsEEZZNS1_9scan_implILNS1_25lookback_scan_determinismE0ELb0ELb1ES3_N6thrust23THRUST_200600_302600_NS6detail15normal_iteratorINS9_10device_ptrIsEEEESE_sNS9_4plusIsEEsEEDaPvRmT3_T4_T5_mT6_P12ihipStream_tbENKUlT_T0_E_clISt17integral_constantIbLb1EESU_EEDaSP_SQ_EUlSP_E_NS1_11comp_targetILNS1_3genE9ELNS1_11target_archE1100ELNS1_3gpuE3ELNS1_3repE0EEENS1_30default_config_static_selectorELNS0_4arch9wavefront6targetE1EEEvT1_ ; -- Begin function _ZN7rocprim17ROCPRIM_400000_NS6detail17trampoline_kernelINS0_14default_configENS1_20scan_config_selectorIsEEZZNS1_9scan_implILNS1_25lookback_scan_determinismE0ELb0ELb1ES3_N6thrust23THRUST_200600_302600_NS6detail15normal_iteratorINS9_10device_ptrIsEEEESE_sNS9_4plusIsEEsEEDaPvRmT3_T4_T5_mT6_P12ihipStream_tbENKUlT_T0_E_clISt17integral_constantIbLb1EESU_EEDaSP_SQ_EUlSP_E_NS1_11comp_targetILNS1_3genE9ELNS1_11target_archE1100ELNS1_3gpuE3ELNS1_3repE0EEENS1_30default_config_static_selectorELNS0_4arch9wavefront6targetE1EEEvT1_
	.globl	_ZN7rocprim17ROCPRIM_400000_NS6detail17trampoline_kernelINS0_14default_configENS1_20scan_config_selectorIsEEZZNS1_9scan_implILNS1_25lookback_scan_determinismE0ELb0ELb1ES3_N6thrust23THRUST_200600_302600_NS6detail15normal_iteratorINS9_10device_ptrIsEEEESE_sNS9_4plusIsEEsEEDaPvRmT3_T4_T5_mT6_P12ihipStream_tbENKUlT_T0_E_clISt17integral_constantIbLb1EESU_EEDaSP_SQ_EUlSP_E_NS1_11comp_targetILNS1_3genE9ELNS1_11target_archE1100ELNS1_3gpuE3ELNS1_3repE0EEENS1_30default_config_static_selectorELNS0_4arch9wavefront6targetE1EEEvT1_
	.p2align	8
	.type	_ZN7rocprim17ROCPRIM_400000_NS6detail17trampoline_kernelINS0_14default_configENS1_20scan_config_selectorIsEEZZNS1_9scan_implILNS1_25lookback_scan_determinismE0ELb0ELb1ES3_N6thrust23THRUST_200600_302600_NS6detail15normal_iteratorINS9_10device_ptrIsEEEESE_sNS9_4plusIsEEsEEDaPvRmT3_T4_T5_mT6_P12ihipStream_tbENKUlT_T0_E_clISt17integral_constantIbLb1EESU_EEDaSP_SQ_EUlSP_E_NS1_11comp_targetILNS1_3genE9ELNS1_11target_archE1100ELNS1_3gpuE3ELNS1_3repE0EEENS1_30default_config_static_selectorELNS0_4arch9wavefront6targetE1EEEvT1_,@function
_ZN7rocprim17ROCPRIM_400000_NS6detail17trampoline_kernelINS0_14default_configENS1_20scan_config_selectorIsEEZZNS1_9scan_implILNS1_25lookback_scan_determinismE0ELb0ELb1ES3_N6thrust23THRUST_200600_302600_NS6detail15normal_iteratorINS9_10device_ptrIsEEEESE_sNS9_4plusIsEEsEEDaPvRmT3_T4_T5_mT6_P12ihipStream_tbENKUlT_T0_E_clISt17integral_constantIbLb1EESU_EEDaSP_SQ_EUlSP_E_NS1_11comp_targetILNS1_3genE9ELNS1_11target_archE1100ELNS1_3gpuE3ELNS1_3repE0EEENS1_30default_config_static_selectorELNS0_4arch9wavefront6targetE1EEEvT1_: ; @_ZN7rocprim17ROCPRIM_400000_NS6detail17trampoline_kernelINS0_14default_configENS1_20scan_config_selectorIsEEZZNS1_9scan_implILNS1_25lookback_scan_determinismE0ELb0ELb1ES3_N6thrust23THRUST_200600_302600_NS6detail15normal_iteratorINS9_10device_ptrIsEEEESE_sNS9_4plusIsEEsEEDaPvRmT3_T4_T5_mT6_P12ihipStream_tbENKUlT_T0_E_clISt17integral_constantIbLb1EESU_EEDaSP_SQ_EUlSP_E_NS1_11comp_targetILNS1_3genE9ELNS1_11target_archE1100ELNS1_3gpuE3ELNS1_3repE0EEENS1_30default_config_static_selectorELNS0_4arch9wavefront6targetE1EEEvT1_
; %bb.0:
	.section	.rodata,"a",@progbits
	.p2align	6, 0x0
	.amdhsa_kernel _ZN7rocprim17ROCPRIM_400000_NS6detail17trampoline_kernelINS0_14default_configENS1_20scan_config_selectorIsEEZZNS1_9scan_implILNS1_25lookback_scan_determinismE0ELb0ELb1ES3_N6thrust23THRUST_200600_302600_NS6detail15normal_iteratorINS9_10device_ptrIsEEEESE_sNS9_4plusIsEEsEEDaPvRmT3_T4_T5_mT6_P12ihipStream_tbENKUlT_T0_E_clISt17integral_constantIbLb1EESU_EEDaSP_SQ_EUlSP_E_NS1_11comp_targetILNS1_3genE9ELNS1_11target_archE1100ELNS1_3gpuE3ELNS1_3repE0EEENS1_30default_config_static_selectorELNS0_4arch9wavefront6targetE1EEEvT1_
		.amdhsa_group_segment_fixed_size 0
		.amdhsa_private_segment_fixed_size 0
		.amdhsa_kernarg_size 96
		.amdhsa_user_sgpr_count 6
		.amdhsa_user_sgpr_private_segment_buffer 1
		.amdhsa_user_sgpr_dispatch_ptr 0
		.amdhsa_user_sgpr_queue_ptr 0
		.amdhsa_user_sgpr_kernarg_segment_ptr 1
		.amdhsa_user_sgpr_dispatch_id 0
		.amdhsa_user_sgpr_flat_scratch_init 0
		.amdhsa_user_sgpr_kernarg_preload_length 0
		.amdhsa_user_sgpr_kernarg_preload_offset 0
		.amdhsa_user_sgpr_private_segment_size 0
		.amdhsa_uses_dynamic_stack 0
		.amdhsa_system_sgpr_private_segment_wavefront_offset 0
		.amdhsa_system_sgpr_workgroup_id_x 1
		.amdhsa_system_sgpr_workgroup_id_y 0
		.amdhsa_system_sgpr_workgroup_id_z 0
		.amdhsa_system_sgpr_workgroup_info 0
		.amdhsa_system_vgpr_workitem_id 0
		.amdhsa_next_free_vgpr 1
		.amdhsa_next_free_sgpr 0
		.amdhsa_accum_offset 4
		.amdhsa_reserve_vcc 0
		.amdhsa_reserve_flat_scratch 0
		.amdhsa_float_round_mode_32 0
		.amdhsa_float_round_mode_16_64 0
		.amdhsa_float_denorm_mode_32 3
		.amdhsa_float_denorm_mode_16_64 3
		.amdhsa_dx10_clamp 1
		.amdhsa_ieee_mode 1
		.amdhsa_fp16_overflow 0
		.amdhsa_tg_split 0
		.amdhsa_exception_fp_ieee_invalid_op 0
		.amdhsa_exception_fp_denorm_src 0
		.amdhsa_exception_fp_ieee_div_zero 0
		.amdhsa_exception_fp_ieee_overflow 0
		.amdhsa_exception_fp_ieee_underflow 0
		.amdhsa_exception_fp_ieee_inexact 0
		.amdhsa_exception_int_div_zero 0
	.end_amdhsa_kernel
	.section	.text._ZN7rocprim17ROCPRIM_400000_NS6detail17trampoline_kernelINS0_14default_configENS1_20scan_config_selectorIsEEZZNS1_9scan_implILNS1_25lookback_scan_determinismE0ELb0ELb1ES3_N6thrust23THRUST_200600_302600_NS6detail15normal_iteratorINS9_10device_ptrIsEEEESE_sNS9_4plusIsEEsEEDaPvRmT3_T4_T5_mT6_P12ihipStream_tbENKUlT_T0_E_clISt17integral_constantIbLb1EESU_EEDaSP_SQ_EUlSP_E_NS1_11comp_targetILNS1_3genE9ELNS1_11target_archE1100ELNS1_3gpuE3ELNS1_3repE0EEENS1_30default_config_static_selectorELNS0_4arch9wavefront6targetE1EEEvT1_,"axG",@progbits,_ZN7rocprim17ROCPRIM_400000_NS6detail17trampoline_kernelINS0_14default_configENS1_20scan_config_selectorIsEEZZNS1_9scan_implILNS1_25lookback_scan_determinismE0ELb0ELb1ES3_N6thrust23THRUST_200600_302600_NS6detail15normal_iteratorINS9_10device_ptrIsEEEESE_sNS9_4plusIsEEsEEDaPvRmT3_T4_T5_mT6_P12ihipStream_tbENKUlT_T0_E_clISt17integral_constantIbLb1EESU_EEDaSP_SQ_EUlSP_E_NS1_11comp_targetILNS1_3genE9ELNS1_11target_archE1100ELNS1_3gpuE3ELNS1_3repE0EEENS1_30default_config_static_selectorELNS0_4arch9wavefront6targetE1EEEvT1_,comdat
.Lfunc_end1292:
	.size	_ZN7rocprim17ROCPRIM_400000_NS6detail17trampoline_kernelINS0_14default_configENS1_20scan_config_selectorIsEEZZNS1_9scan_implILNS1_25lookback_scan_determinismE0ELb0ELb1ES3_N6thrust23THRUST_200600_302600_NS6detail15normal_iteratorINS9_10device_ptrIsEEEESE_sNS9_4plusIsEEsEEDaPvRmT3_T4_T5_mT6_P12ihipStream_tbENKUlT_T0_E_clISt17integral_constantIbLb1EESU_EEDaSP_SQ_EUlSP_E_NS1_11comp_targetILNS1_3genE9ELNS1_11target_archE1100ELNS1_3gpuE3ELNS1_3repE0EEENS1_30default_config_static_selectorELNS0_4arch9wavefront6targetE1EEEvT1_, .Lfunc_end1292-_ZN7rocprim17ROCPRIM_400000_NS6detail17trampoline_kernelINS0_14default_configENS1_20scan_config_selectorIsEEZZNS1_9scan_implILNS1_25lookback_scan_determinismE0ELb0ELb1ES3_N6thrust23THRUST_200600_302600_NS6detail15normal_iteratorINS9_10device_ptrIsEEEESE_sNS9_4plusIsEEsEEDaPvRmT3_T4_T5_mT6_P12ihipStream_tbENKUlT_T0_E_clISt17integral_constantIbLb1EESU_EEDaSP_SQ_EUlSP_E_NS1_11comp_targetILNS1_3genE9ELNS1_11target_archE1100ELNS1_3gpuE3ELNS1_3repE0EEENS1_30default_config_static_selectorELNS0_4arch9wavefront6targetE1EEEvT1_
                                        ; -- End function
	.section	.AMDGPU.csdata,"",@progbits
; Kernel info:
; codeLenInByte = 0
; NumSgprs: 4
; NumVgprs: 0
; NumAgprs: 0
; TotalNumVgprs: 0
; ScratchSize: 0
; MemoryBound: 0
; FloatMode: 240
; IeeeMode: 1
; LDSByteSize: 0 bytes/workgroup (compile time only)
; SGPRBlocks: 0
; VGPRBlocks: 0
; NumSGPRsForWavesPerEU: 4
; NumVGPRsForWavesPerEU: 1
; AccumOffset: 4
; Occupancy: 8
; WaveLimiterHint : 0
; COMPUTE_PGM_RSRC2:SCRATCH_EN: 0
; COMPUTE_PGM_RSRC2:USER_SGPR: 6
; COMPUTE_PGM_RSRC2:TRAP_HANDLER: 0
; COMPUTE_PGM_RSRC2:TGID_X_EN: 1
; COMPUTE_PGM_RSRC2:TGID_Y_EN: 0
; COMPUTE_PGM_RSRC2:TGID_Z_EN: 0
; COMPUTE_PGM_RSRC2:TIDIG_COMP_CNT: 0
; COMPUTE_PGM_RSRC3_GFX90A:ACCUM_OFFSET: 0
; COMPUTE_PGM_RSRC3_GFX90A:TG_SPLIT: 0
	.section	.text._ZN7rocprim17ROCPRIM_400000_NS6detail17trampoline_kernelINS0_14default_configENS1_20scan_config_selectorIsEEZZNS1_9scan_implILNS1_25lookback_scan_determinismE0ELb0ELb1ES3_N6thrust23THRUST_200600_302600_NS6detail15normal_iteratorINS9_10device_ptrIsEEEESE_sNS9_4plusIsEEsEEDaPvRmT3_T4_T5_mT6_P12ihipStream_tbENKUlT_T0_E_clISt17integral_constantIbLb1EESU_EEDaSP_SQ_EUlSP_E_NS1_11comp_targetILNS1_3genE8ELNS1_11target_archE1030ELNS1_3gpuE2ELNS1_3repE0EEENS1_30default_config_static_selectorELNS0_4arch9wavefront6targetE1EEEvT1_,"axG",@progbits,_ZN7rocprim17ROCPRIM_400000_NS6detail17trampoline_kernelINS0_14default_configENS1_20scan_config_selectorIsEEZZNS1_9scan_implILNS1_25lookback_scan_determinismE0ELb0ELb1ES3_N6thrust23THRUST_200600_302600_NS6detail15normal_iteratorINS9_10device_ptrIsEEEESE_sNS9_4plusIsEEsEEDaPvRmT3_T4_T5_mT6_P12ihipStream_tbENKUlT_T0_E_clISt17integral_constantIbLb1EESU_EEDaSP_SQ_EUlSP_E_NS1_11comp_targetILNS1_3genE8ELNS1_11target_archE1030ELNS1_3gpuE2ELNS1_3repE0EEENS1_30default_config_static_selectorELNS0_4arch9wavefront6targetE1EEEvT1_,comdat
	.protected	_ZN7rocprim17ROCPRIM_400000_NS6detail17trampoline_kernelINS0_14default_configENS1_20scan_config_selectorIsEEZZNS1_9scan_implILNS1_25lookback_scan_determinismE0ELb0ELb1ES3_N6thrust23THRUST_200600_302600_NS6detail15normal_iteratorINS9_10device_ptrIsEEEESE_sNS9_4plusIsEEsEEDaPvRmT3_T4_T5_mT6_P12ihipStream_tbENKUlT_T0_E_clISt17integral_constantIbLb1EESU_EEDaSP_SQ_EUlSP_E_NS1_11comp_targetILNS1_3genE8ELNS1_11target_archE1030ELNS1_3gpuE2ELNS1_3repE0EEENS1_30default_config_static_selectorELNS0_4arch9wavefront6targetE1EEEvT1_ ; -- Begin function _ZN7rocprim17ROCPRIM_400000_NS6detail17trampoline_kernelINS0_14default_configENS1_20scan_config_selectorIsEEZZNS1_9scan_implILNS1_25lookback_scan_determinismE0ELb0ELb1ES3_N6thrust23THRUST_200600_302600_NS6detail15normal_iteratorINS9_10device_ptrIsEEEESE_sNS9_4plusIsEEsEEDaPvRmT3_T4_T5_mT6_P12ihipStream_tbENKUlT_T0_E_clISt17integral_constantIbLb1EESU_EEDaSP_SQ_EUlSP_E_NS1_11comp_targetILNS1_3genE8ELNS1_11target_archE1030ELNS1_3gpuE2ELNS1_3repE0EEENS1_30default_config_static_selectorELNS0_4arch9wavefront6targetE1EEEvT1_
	.globl	_ZN7rocprim17ROCPRIM_400000_NS6detail17trampoline_kernelINS0_14default_configENS1_20scan_config_selectorIsEEZZNS1_9scan_implILNS1_25lookback_scan_determinismE0ELb0ELb1ES3_N6thrust23THRUST_200600_302600_NS6detail15normal_iteratorINS9_10device_ptrIsEEEESE_sNS9_4plusIsEEsEEDaPvRmT3_T4_T5_mT6_P12ihipStream_tbENKUlT_T0_E_clISt17integral_constantIbLb1EESU_EEDaSP_SQ_EUlSP_E_NS1_11comp_targetILNS1_3genE8ELNS1_11target_archE1030ELNS1_3gpuE2ELNS1_3repE0EEENS1_30default_config_static_selectorELNS0_4arch9wavefront6targetE1EEEvT1_
	.p2align	8
	.type	_ZN7rocprim17ROCPRIM_400000_NS6detail17trampoline_kernelINS0_14default_configENS1_20scan_config_selectorIsEEZZNS1_9scan_implILNS1_25lookback_scan_determinismE0ELb0ELb1ES3_N6thrust23THRUST_200600_302600_NS6detail15normal_iteratorINS9_10device_ptrIsEEEESE_sNS9_4plusIsEEsEEDaPvRmT3_T4_T5_mT6_P12ihipStream_tbENKUlT_T0_E_clISt17integral_constantIbLb1EESU_EEDaSP_SQ_EUlSP_E_NS1_11comp_targetILNS1_3genE8ELNS1_11target_archE1030ELNS1_3gpuE2ELNS1_3repE0EEENS1_30default_config_static_selectorELNS0_4arch9wavefront6targetE1EEEvT1_,@function
_ZN7rocprim17ROCPRIM_400000_NS6detail17trampoline_kernelINS0_14default_configENS1_20scan_config_selectorIsEEZZNS1_9scan_implILNS1_25lookback_scan_determinismE0ELb0ELb1ES3_N6thrust23THRUST_200600_302600_NS6detail15normal_iteratorINS9_10device_ptrIsEEEESE_sNS9_4plusIsEEsEEDaPvRmT3_T4_T5_mT6_P12ihipStream_tbENKUlT_T0_E_clISt17integral_constantIbLb1EESU_EEDaSP_SQ_EUlSP_E_NS1_11comp_targetILNS1_3genE8ELNS1_11target_archE1030ELNS1_3gpuE2ELNS1_3repE0EEENS1_30default_config_static_selectorELNS0_4arch9wavefront6targetE1EEEvT1_: ; @_ZN7rocprim17ROCPRIM_400000_NS6detail17trampoline_kernelINS0_14default_configENS1_20scan_config_selectorIsEEZZNS1_9scan_implILNS1_25lookback_scan_determinismE0ELb0ELb1ES3_N6thrust23THRUST_200600_302600_NS6detail15normal_iteratorINS9_10device_ptrIsEEEESE_sNS9_4plusIsEEsEEDaPvRmT3_T4_T5_mT6_P12ihipStream_tbENKUlT_T0_E_clISt17integral_constantIbLb1EESU_EEDaSP_SQ_EUlSP_E_NS1_11comp_targetILNS1_3genE8ELNS1_11target_archE1030ELNS1_3gpuE2ELNS1_3repE0EEENS1_30default_config_static_selectorELNS0_4arch9wavefront6targetE1EEEvT1_
; %bb.0:
	.section	.rodata,"a",@progbits
	.p2align	6, 0x0
	.amdhsa_kernel _ZN7rocprim17ROCPRIM_400000_NS6detail17trampoline_kernelINS0_14default_configENS1_20scan_config_selectorIsEEZZNS1_9scan_implILNS1_25lookback_scan_determinismE0ELb0ELb1ES3_N6thrust23THRUST_200600_302600_NS6detail15normal_iteratorINS9_10device_ptrIsEEEESE_sNS9_4plusIsEEsEEDaPvRmT3_T4_T5_mT6_P12ihipStream_tbENKUlT_T0_E_clISt17integral_constantIbLb1EESU_EEDaSP_SQ_EUlSP_E_NS1_11comp_targetILNS1_3genE8ELNS1_11target_archE1030ELNS1_3gpuE2ELNS1_3repE0EEENS1_30default_config_static_selectorELNS0_4arch9wavefront6targetE1EEEvT1_
		.amdhsa_group_segment_fixed_size 0
		.amdhsa_private_segment_fixed_size 0
		.amdhsa_kernarg_size 96
		.amdhsa_user_sgpr_count 6
		.amdhsa_user_sgpr_private_segment_buffer 1
		.amdhsa_user_sgpr_dispatch_ptr 0
		.amdhsa_user_sgpr_queue_ptr 0
		.amdhsa_user_sgpr_kernarg_segment_ptr 1
		.amdhsa_user_sgpr_dispatch_id 0
		.amdhsa_user_sgpr_flat_scratch_init 0
		.amdhsa_user_sgpr_kernarg_preload_length 0
		.amdhsa_user_sgpr_kernarg_preload_offset 0
		.amdhsa_user_sgpr_private_segment_size 0
		.amdhsa_uses_dynamic_stack 0
		.amdhsa_system_sgpr_private_segment_wavefront_offset 0
		.amdhsa_system_sgpr_workgroup_id_x 1
		.amdhsa_system_sgpr_workgroup_id_y 0
		.amdhsa_system_sgpr_workgroup_id_z 0
		.amdhsa_system_sgpr_workgroup_info 0
		.amdhsa_system_vgpr_workitem_id 0
		.amdhsa_next_free_vgpr 1
		.amdhsa_next_free_sgpr 0
		.amdhsa_accum_offset 4
		.amdhsa_reserve_vcc 0
		.amdhsa_reserve_flat_scratch 0
		.amdhsa_float_round_mode_32 0
		.amdhsa_float_round_mode_16_64 0
		.amdhsa_float_denorm_mode_32 3
		.amdhsa_float_denorm_mode_16_64 3
		.amdhsa_dx10_clamp 1
		.amdhsa_ieee_mode 1
		.amdhsa_fp16_overflow 0
		.amdhsa_tg_split 0
		.amdhsa_exception_fp_ieee_invalid_op 0
		.amdhsa_exception_fp_denorm_src 0
		.amdhsa_exception_fp_ieee_div_zero 0
		.amdhsa_exception_fp_ieee_overflow 0
		.amdhsa_exception_fp_ieee_underflow 0
		.amdhsa_exception_fp_ieee_inexact 0
		.amdhsa_exception_int_div_zero 0
	.end_amdhsa_kernel
	.section	.text._ZN7rocprim17ROCPRIM_400000_NS6detail17trampoline_kernelINS0_14default_configENS1_20scan_config_selectorIsEEZZNS1_9scan_implILNS1_25lookback_scan_determinismE0ELb0ELb1ES3_N6thrust23THRUST_200600_302600_NS6detail15normal_iteratorINS9_10device_ptrIsEEEESE_sNS9_4plusIsEEsEEDaPvRmT3_T4_T5_mT6_P12ihipStream_tbENKUlT_T0_E_clISt17integral_constantIbLb1EESU_EEDaSP_SQ_EUlSP_E_NS1_11comp_targetILNS1_3genE8ELNS1_11target_archE1030ELNS1_3gpuE2ELNS1_3repE0EEENS1_30default_config_static_selectorELNS0_4arch9wavefront6targetE1EEEvT1_,"axG",@progbits,_ZN7rocprim17ROCPRIM_400000_NS6detail17trampoline_kernelINS0_14default_configENS1_20scan_config_selectorIsEEZZNS1_9scan_implILNS1_25lookback_scan_determinismE0ELb0ELb1ES3_N6thrust23THRUST_200600_302600_NS6detail15normal_iteratorINS9_10device_ptrIsEEEESE_sNS9_4plusIsEEsEEDaPvRmT3_T4_T5_mT6_P12ihipStream_tbENKUlT_T0_E_clISt17integral_constantIbLb1EESU_EEDaSP_SQ_EUlSP_E_NS1_11comp_targetILNS1_3genE8ELNS1_11target_archE1030ELNS1_3gpuE2ELNS1_3repE0EEENS1_30default_config_static_selectorELNS0_4arch9wavefront6targetE1EEEvT1_,comdat
.Lfunc_end1293:
	.size	_ZN7rocprim17ROCPRIM_400000_NS6detail17trampoline_kernelINS0_14default_configENS1_20scan_config_selectorIsEEZZNS1_9scan_implILNS1_25lookback_scan_determinismE0ELb0ELb1ES3_N6thrust23THRUST_200600_302600_NS6detail15normal_iteratorINS9_10device_ptrIsEEEESE_sNS9_4plusIsEEsEEDaPvRmT3_T4_T5_mT6_P12ihipStream_tbENKUlT_T0_E_clISt17integral_constantIbLb1EESU_EEDaSP_SQ_EUlSP_E_NS1_11comp_targetILNS1_3genE8ELNS1_11target_archE1030ELNS1_3gpuE2ELNS1_3repE0EEENS1_30default_config_static_selectorELNS0_4arch9wavefront6targetE1EEEvT1_, .Lfunc_end1293-_ZN7rocprim17ROCPRIM_400000_NS6detail17trampoline_kernelINS0_14default_configENS1_20scan_config_selectorIsEEZZNS1_9scan_implILNS1_25lookback_scan_determinismE0ELb0ELb1ES3_N6thrust23THRUST_200600_302600_NS6detail15normal_iteratorINS9_10device_ptrIsEEEESE_sNS9_4plusIsEEsEEDaPvRmT3_T4_T5_mT6_P12ihipStream_tbENKUlT_T0_E_clISt17integral_constantIbLb1EESU_EEDaSP_SQ_EUlSP_E_NS1_11comp_targetILNS1_3genE8ELNS1_11target_archE1030ELNS1_3gpuE2ELNS1_3repE0EEENS1_30default_config_static_selectorELNS0_4arch9wavefront6targetE1EEEvT1_
                                        ; -- End function
	.section	.AMDGPU.csdata,"",@progbits
; Kernel info:
; codeLenInByte = 0
; NumSgprs: 4
; NumVgprs: 0
; NumAgprs: 0
; TotalNumVgprs: 0
; ScratchSize: 0
; MemoryBound: 0
; FloatMode: 240
; IeeeMode: 1
; LDSByteSize: 0 bytes/workgroup (compile time only)
; SGPRBlocks: 0
; VGPRBlocks: 0
; NumSGPRsForWavesPerEU: 4
; NumVGPRsForWavesPerEU: 1
; AccumOffset: 4
; Occupancy: 8
; WaveLimiterHint : 0
; COMPUTE_PGM_RSRC2:SCRATCH_EN: 0
; COMPUTE_PGM_RSRC2:USER_SGPR: 6
; COMPUTE_PGM_RSRC2:TRAP_HANDLER: 0
; COMPUTE_PGM_RSRC2:TGID_X_EN: 1
; COMPUTE_PGM_RSRC2:TGID_Y_EN: 0
; COMPUTE_PGM_RSRC2:TGID_Z_EN: 0
; COMPUTE_PGM_RSRC2:TIDIG_COMP_CNT: 0
; COMPUTE_PGM_RSRC3_GFX90A:ACCUM_OFFSET: 0
; COMPUTE_PGM_RSRC3_GFX90A:TG_SPLIT: 0
	.section	.text._ZN7rocprim17ROCPRIM_400000_NS6detail17trampoline_kernelINS0_14default_configENS1_20scan_config_selectorIsEEZZNS1_9scan_implILNS1_25lookback_scan_determinismE0ELb0ELb1ES3_N6thrust23THRUST_200600_302600_NS6detail15normal_iteratorINS9_10device_ptrIsEEEESE_sNS9_4plusIsEEsEEDaPvRmT3_T4_T5_mT6_P12ihipStream_tbENKUlT_T0_E_clISt17integral_constantIbLb1EESU_EEDaSP_SQ_EUlSP_E0_NS1_11comp_targetILNS1_3genE0ELNS1_11target_archE4294967295ELNS1_3gpuE0ELNS1_3repE0EEENS1_30default_config_static_selectorELNS0_4arch9wavefront6targetE1EEEvT1_,"axG",@progbits,_ZN7rocprim17ROCPRIM_400000_NS6detail17trampoline_kernelINS0_14default_configENS1_20scan_config_selectorIsEEZZNS1_9scan_implILNS1_25lookback_scan_determinismE0ELb0ELb1ES3_N6thrust23THRUST_200600_302600_NS6detail15normal_iteratorINS9_10device_ptrIsEEEESE_sNS9_4plusIsEEsEEDaPvRmT3_T4_T5_mT6_P12ihipStream_tbENKUlT_T0_E_clISt17integral_constantIbLb1EESU_EEDaSP_SQ_EUlSP_E0_NS1_11comp_targetILNS1_3genE0ELNS1_11target_archE4294967295ELNS1_3gpuE0ELNS1_3repE0EEENS1_30default_config_static_selectorELNS0_4arch9wavefront6targetE1EEEvT1_,comdat
	.protected	_ZN7rocprim17ROCPRIM_400000_NS6detail17trampoline_kernelINS0_14default_configENS1_20scan_config_selectorIsEEZZNS1_9scan_implILNS1_25lookback_scan_determinismE0ELb0ELb1ES3_N6thrust23THRUST_200600_302600_NS6detail15normal_iteratorINS9_10device_ptrIsEEEESE_sNS9_4plusIsEEsEEDaPvRmT3_T4_T5_mT6_P12ihipStream_tbENKUlT_T0_E_clISt17integral_constantIbLb1EESU_EEDaSP_SQ_EUlSP_E0_NS1_11comp_targetILNS1_3genE0ELNS1_11target_archE4294967295ELNS1_3gpuE0ELNS1_3repE0EEENS1_30default_config_static_selectorELNS0_4arch9wavefront6targetE1EEEvT1_ ; -- Begin function _ZN7rocprim17ROCPRIM_400000_NS6detail17trampoline_kernelINS0_14default_configENS1_20scan_config_selectorIsEEZZNS1_9scan_implILNS1_25lookback_scan_determinismE0ELb0ELb1ES3_N6thrust23THRUST_200600_302600_NS6detail15normal_iteratorINS9_10device_ptrIsEEEESE_sNS9_4plusIsEEsEEDaPvRmT3_T4_T5_mT6_P12ihipStream_tbENKUlT_T0_E_clISt17integral_constantIbLb1EESU_EEDaSP_SQ_EUlSP_E0_NS1_11comp_targetILNS1_3genE0ELNS1_11target_archE4294967295ELNS1_3gpuE0ELNS1_3repE0EEENS1_30default_config_static_selectorELNS0_4arch9wavefront6targetE1EEEvT1_
	.globl	_ZN7rocprim17ROCPRIM_400000_NS6detail17trampoline_kernelINS0_14default_configENS1_20scan_config_selectorIsEEZZNS1_9scan_implILNS1_25lookback_scan_determinismE0ELb0ELb1ES3_N6thrust23THRUST_200600_302600_NS6detail15normal_iteratorINS9_10device_ptrIsEEEESE_sNS9_4plusIsEEsEEDaPvRmT3_T4_T5_mT6_P12ihipStream_tbENKUlT_T0_E_clISt17integral_constantIbLb1EESU_EEDaSP_SQ_EUlSP_E0_NS1_11comp_targetILNS1_3genE0ELNS1_11target_archE4294967295ELNS1_3gpuE0ELNS1_3repE0EEENS1_30default_config_static_selectorELNS0_4arch9wavefront6targetE1EEEvT1_
	.p2align	8
	.type	_ZN7rocprim17ROCPRIM_400000_NS6detail17trampoline_kernelINS0_14default_configENS1_20scan_config_selectorIsEEZZNS1_9scan_implILNS1_25lookback_scan_determinismE0ELb0ELb1ES3_N6thrust23THRUST_200600_302600_NS6detail15normal_iteratorINS9_10device_ptrIsEEEESE_sNS9_4plusIsEEsEEDaPvRmT3_T4_T5_mT6_P12ihipStream_tbENKUlT_T0_E_clISt17integral_constantIbLb1EESU_EEDaSP_SQ_EUlSP_E0_NS1_11comp_targetILNS1_3genE0ELNS1_11target_archE4294967295ELNS1_3gpuE0ELNS1_3repE0EEENS1_30default_config_static_selectorELNS0_4arch9wavefront6targetE1EEEvT1_,@function
_ZN7rocprim17ROCPRIM_400000_NS6detail17trampoline_kernelINS0_14default_configENS1_20scan_config_selectorIsEEZZNS1_9scan_implILNS1_25lookback_scan_determinismE0ELb0ELb1ES3_N6thrust23THRUST_200600_302600_NS6detail15normal_iteratorINS9_10device_ptrIsEEEESE_sNS9_4plusIsEEsEEDaPvRmT3_T4_T5_mT6_P12ihipStream_tbENKUlT_T0_E_clISt17integral_constantIbLb1EESU_EEDaSP_SQ_EUlSP_E0_NS1_11comp_targetILNS1_3genE0ELNS1_11target_archE4294967295ELNS1_3gpuE0ELNS1_3repE0EEENS1_30default_config_static_selectorELNS0_4arch9wavefront6targetE1EEEvT1_: ; @_ZN7rocprim17ROCPRIM_400000_NS6detail17trampoline_kernelINS0_14default_configENS1_20scan_config_selectorIsEEZZNS1_9scan_implILNS1_25lookback_scan_determinismE0ELb0ELb1ES3_N6thrust23THRUST_200600_302600_NS6detail15normal_iteratorINS9_10device_ptrIsEEEESE_sNS9_4plusIsEEsEEDaPvRmT3_T4_T5_mT6_P12ihipStream_tbENKUlT_T0_E_clISt17integral_constantIbLb1EESU_EEDaSP_SQ_EUlSP_E0_NS1_11comp_targetILNS1_3genE0ELNS1_11target_archE4294967295ELNS1_3gpuE0ELNS1_3repE0EEENS1_30default_config_static_selectorELNS0_4arch9wavefront6targetE1EEEvT1_
; %bb.0:
	.section	.rodata,"a",@progbits
	.p2align	6, 0x0
	.amdhsa_kernel _ZN7rocprim17ROCPRIM_400000_NS6detail17trampoline_kernelINS0_14default_configENS1_20scan_config_selectorIsEEZZNS1_9scan_implILNS1_25lookback_scan_determinismE0ELb0ELb1ES3_N6thrust23THRUST_200600_302600_NS6detail15normal_iteratorINS9_10device_ptrIsEEEESE_sNS9_4plusIsEEsEEDaPvRmT3_T4_T5_mT6_P12ihipStream_tbENKUlT_T0_E_clISt17integral_constantIbLb1EESU_EEDaSP_SQ_EUlSP_E0_NS1_11comp_targetILNS1_3genE0ELNS1_11target_archE4294967295ELNS1_3gpuE0ELNS1_3repE0EEENS1_30default_config_static_selectorELNS0_4arch9wavefront6targetE1EEEvT1_
		.amdhsa_group_segment_fixed_size 0
		.amdhsa_private_segment_fixed_size 0
		.amdhsa_kernarg_size 32
		.amdhsa_user_sgpr_count 6
		.amdhsa_user_sgpr_private_segment_buffer 1
		.amdhsa_user_sgpr_dispatch_ptr 0
		.amdhsa_user_sgpr_queue_ptr 0
		.amdhsa_user_sgpr_kernarg_segment_ptr 1
		.amdhsa_user_sgpr_dispatch_id 0
		.amdhsa_user_sgpr_flat_scratch_init 0
		.amdhsa_user_sgpr_kernarg_preload_length 0
		.amdhsa_user_sgpr_kernarg_preload_offset 0
		.amdhsa_user_sgpr_private_segment_size 0
		.amdhsa_uses_dynamic_stack 0
		.amdhsa_system_sgpr_private_segment_wavefront_offset 0
		.amdhsa_system_sgpr_workgroup_id_x 1
		.amdhsa_system_sgpr_workgroup_id_y 0
		.amdhsa_system_sgpr_workgroup_id_z 0
		.amdhsa_system_sgpr_workgroup_info 0
		.amdhsa_system_vgpr_workitem_id 0
		.amdhsa_next_free_vgpr 1
		.amdhsa_next_free_sgpr 0
		.amdhsa_accum_offset 4
		.amdhsa_reserve_vcc 0
		.amdhsa_reserve_flat_scratch 0
		.amdhsa_float_round_mode_32 0
		.amdhsa_float_round_mode_16_64 0
		.amdhsa_float_denorm_mode_32 3
		.amdhsa_float_denorm_mode_16_64 3
		.amdhsa_dx10_clamp 1
		.amdhsa_ieee_mode 1
		.amdhsa_fp16_overflow 0
		.amdhsa_tg_split 0
		.amdhsa_exception_fp_ieee_invalid_op 0
		.amdhsa_exception_fp_denorm_src 0
		.amdhsa_exception_fp_ieee_div_zero 0
		.amdhsa_exception_fp_ieee_overflow 0
		.amdhsa_exception_fp_ieee_underflow 0
		.amdhsa_exception_fp_ieee_inexact 0
		.amdhsa_exception_int_div_zero 0
	.end_amdhsa_kernel
	.section	.text._ZN7rocprim17ROCPRIM_400000_NS6detail17trampoline_kernelINS0_14default_configENS1_20scan_config_selectorIsEEZZNS1_9scan_implILNS1_25lookback_scan_determinismE0ELb0ELb1ES3_N6thrust23THRUST_200600_302600_NS6detail15normal_iteratorINS9_10device_ptrIsEEEESE_sNS9_4plusIsEEsEEDaPvRmT3_T4_T5_mT6_P12ihipStream_tbENKUlT_T0_E_clISt17integral_constantIbLb1EESU_EEDaSP_SQ_EUlSP_E0_NS1_11comp_targetILNS1_3genE0ELNS1_11target_archE4294967295ELNS1_3gpuE0ELNS1_3repE0EEENS1_30default_config_static_selectorELNS0_4arch9wavefront6targetE1EEEvT1_,"axG",@progbits,_ZN7rocprim17ROCPRIM_400000_NS6detail17trampoline_kernelINS0_14default_configENS1_20scan_config_selectorIsEEZZNS1_9scan_implILNS1_25lookback_scan_determinismE0ELb0ELb1ES3_N6thrust23THRUST_200600_302600_NS6detail15normal_iteratorINS9_10device_ptrIsEEEESE_sNS9_4plusIsEEsEEDaPvRmT3_T4_T5_mT6_P12ihipStream_tbENKUlT_T0_E_clISt17integral_constantIbLb1EESU_EEDaSP_SQ_EUlSP_E0_NS1_11comp_targetILNS1_3genE0ELNS1_11target_archE4294967295ELNS1_3gpuE0ELNS1_3repE0EEENS1_30default_config_static_selectorELNS0_4arch9wavefront6targetE1EEEvT1_,comdat
.Lfunc_end1294:
	.size	_ZN7rocprim17ROCPRIM_400000_NS6detail17trampoline_kernelINS0_14default_configENS1_20scan_config_selectorIsEEZZNS1_9scan_implILNS1_25lookback_scan_determinismE0ELb0ELb1ES3_N6thrust23THRUST_200600_302600_NS6detail15normal_iteratorINS9_10device_ptrIsEEEESE_sNS9_4plusIsEEsEEDaPvRmT3_T4_T5_mT6_P12ihipStream_tbENKUlT_T0_E_clISt17integral_constantIbLb1EESU_EEDaSP_SQ_EUlSP_E0_NS1_11comp_targetILNS1_3genE0ELNS1_11target_archE4294967295ELNS1_3gpuE0ELNS1_3repE0EEENS1_30default_config_static_selectorELNS0_4arch9wavefront6targetE1EEEvT1_, .Lfunc_end1294-_ZN7rocprim17ROCPRIM_400000_NS6detail17trampoline_kernelINS0_14default_configENS1_20scan_config_selectorIsEEZZNS1_9scan_implILNS1_25lookback_scan_determinismE0ELb0ELb1ES3_N6thrust23THRUST_200600_302600_NS6detail15normal_iteratorINS9_10device_ptrIsEEEESE_sNS9_4plusIsEEsEEDaPvRmT3_T4_T5_mT6_P12ihipStream_tbENKUlT_T0_E_clISt17integral_constantIbLb1EESU_EEDaSP_SQ_EUlSP_E0_NS1_11comp_targetILNS1_3genE0ELNS1_11target_archE4294967295ELNS1_3gpuE0ELNS1_3repE0EEENS1_30default_config_static_selectorELNS0_4arch9wavefront6targetE1EEEvT1_
                                        ; -- End function
	.section	.AMDGPU.csdata,"",@progbits
; Kernel info:
; codeLenInByte = 0
; NumSgprs: 4
; NumVgprs: 0
; NumAgprs: 0
; TotalNumVgprs: 0
; ScratchSize: 0
; MemoryBound: 0
; FloatMode: 240
; IeeeMode: 1
; LDSByteSize: 0 bytes/workgroup (compile time only)
; SGPRBlocks: 0
; VGPRBlocks: 0
; NumSGPRsForWavesPerEU: 4
; NumVGPRsForWavesPerEU: 1
; AccumOffset: 4
; Occupancy: 8
; WaveLimiterHint : 0
; COMPUTE_PGM_RSRC2:SCRATCH_EN: 0
; COMPUTE_PGM_RSRC2:USER_SGPR: 6
; COMPUTE_PGM_RSRC2:TRAP_HANDLER: 0
; COMPUTE_PGM_RSRC2:TGID_X_EN: 1
; COMPUTE_PGM_RSRC2:TGID_Y_EN: 0
; COMPUTE_PGM_RSRC2:TGID_Z_EN: 0
; COMPUTE_PGM_RSRC2:TIDIG_COMP_CNT: 0
; COMPUTE_PGM_RSRC3_GFX90A:ACCUM_OFFSET: 0
; COMPUTE_PGM_RSRC3_GFX90A:TG_SPLIT: 0
	.section	.text._ZN7rocprim17ROCPRIM_400000_NS6detail17trampoline_kernelINS0_14default_configENS1_20scan_config_selectorIsEEZZNS1_9scan_implILNS1_25lookback_scan_determinismE0ELb0ELb1ES3_N6thrust23THRUST_200600_302600_NS6detail15normal_iteratorINS9_10device_ptrIsEEEESE_sNS9_4plusIsEEsEEDaPvRmT3_T4_T5_mT6_P12ihipStream_tbENKUlT_T0_E_clISt17integral_constantIbLb1EESU_EEDaSP_SQ_EUlSP_E0_NS1_11comp_targetILNS1_3genE5ELNS1_11target_archE942ELNS1_3gpuE9ELNS1_3repE0EEENS1_30default_config_static_selectorELNS0_4arch9wavefront6targetE1EEEvT1_,"axG",@progbits,_ZN7rocprim17ROCPRIM_400000_NS6detail17trampoline_kernelINS0_14default_configENS1_20scan_config_selectorIsEEZZNS1_9scan_implILNS1_25lookback_scan_determinismE0ELb0ELb1ES3_N6thrust23THRUST_200600_302600_NS6detail15normal_iteratorINS9_10device_ptrIsEEEESE_sNS9_4plusIsEEsEEDaPvRmT3_T4_T5_mT6_P12ihipStream_tbENKUlT_T0_E_clISt17integral_constantIbLb1EESU_EEDaSP_SQ_EUlSP_E0_NS1_11comp_targetILNS1_3genE5ELNS1_11target_archE942ELNS1_3gpuE9ELNS1_3repE0EEENS1_30default_config_static_selectorELNS0_4arch9wavefront6targetE1EEEvT1_,comdat
	.protected	_ZN7rocprim17ROCPRIM_400000_NS6detail17trampoline_kernelINS0_14default_configENS1_20scan_config_selectorIsEEZZNS1_9scan_implILNS1_25lookback_scan_determinismE0ELb0ELb1ES3_N6thrust23THRUST_200600_302600_NS6detail15normal_iteratorINS9_10device_ptrIsEEEESE_sNS9_4plusIsEEsEEDaPvRmT3_T4_T5_mT6_P12ihipStream_tbENKUlT_T0_E_clISt17integral_constantIbLb1EESU_EEDaSP_SQ_EUlSP_E0_NS1_11comp_targetILNS1_3genE5ELNS1_11target_archE942ELNS1_3gpuE9ELNS1_3repE0EEENS1_30default_config_static_selectorELNS0_4arch9wavefront6targetE1EEEvT1_ ; -- Begin function _ZN7rocprim17ROCPRIM_400000_NS6detail17trampoline_kernelINS0_14default_configENS1_20scan_config_selectorIsEEZZNS1_9scan_implILNS1_25lookback_scan_determinismE0ELb0ELb1ES3_N6thrust23THRUST_200600_302600_NS6detail15normal_iteratorINS9_10device_ptrIsEEEESE_sNS9_4plusIsEEsEEDaPvRmT3_T4_T5_mT6_P12ihipStream_tbENKUlT_T0_E_clISt17integral_constantIbLb1EESU_EEDaSP_SQ_EUlSP_E0_NS1_11comp_targetILNS1_3genE5ELNS1_11target_archE942ELNS1_3gpuE9ELNS1_3repE0EEENS1_30default_config_static_selectorELNS0_4arch9wavefront6targetE1EEEvT1_
	.globl	_ZN7rocprim17ROCPRIM_400000_NS6detail17trampoline_kernelINS0_14default_configENS1_20scan_config_selectorIsEEZZNS1_9scan_implILNS1_25lookback_scan_determinismE0ELb0ELb1ES3_N6thrust23THRUST_200600_302600_NS6detail15normal_iteratorINS9_10device_ptrIsEEEESE_sNS9_4plusIsEEsEEDaPvRmT3_T4_T5_mT6_P12ihipStream_tbENKUlT_T0_E_clISt17integral_constantIbLb1EESU_EEDaSP_SQ_EUlSP_E0_NS1_11comp_targetILNS1_3genE5ELNS1_11target_archE942ELNS1_3gpuE9ELNS1_3repE0EEENS1_30default_config_static_selectorELNS0_4arch9wavefront6targetE1EEEvT1_
	.p2align	8
	.type	_ZN7rocprim17ROCPRIM_400000_NS6detail17trampoline_kernelINS0_14default_configENS1_20scan_config_selectorIsEEZZNS1_9scan_implILNS1_25lookback_scan_determinismE0ELb0ELb1ES3_N6thrust23THRUST_200600_302600_NS6detail15normal_iteratorINS9_10device_ptrIsEEEESE_sNS9_4plusIsEEsEEDaPvRmT3_T4_T5_mT6_P12ihipStream_tbENKUlT_T0_E_clISt17integral_constantIbLb1EESU_EEDaSP_SQ_EUlSP_E0_NS1_11comp_targetILNS1_3genE5ELNS1_11target_archE942ELNS1_3gpuE9ELNS1_3repE0EEENS1_30default_config_static_selectorELNS0_4arch9wavefront6targetE1EEEvT1_,@function
_ZN7rocprim17ROCPRIM_400000_NS6detail17trampoline_kernelINS0_14default_configENS1_20scan_config_selectorIsEEZZNS1_9scan_implILNS1_25lookback_scan_determinismE0ELb0ELb1ES3_N6thrust23THRUST_200600_302600_NS6detail15normal_iteratorINS9_10device_ptrIsEEEESE_sNS9_4plusIsEEsEEDaPvRmT3_T4_T5_mT6_P12ihipStream_tbENKUlT_T0_E_clISt17integral_constantIbLb1EESU_EEDaSP_SQ_EUlSP_E0_NS1_11comp_targetILNS1_3genE5ELNS1_11target_archE942ELNS1_3gpuE9ELNS1_3repE0EEENS1_30default_config_static_selectorELNS0_4arch9wavefront6targetE1EEEvT1_: ; @_ZN7rocprim17ROCPRIM_400000_NS6detail17trampoline_kernelINS0_14default_configENS1_20scan_config_selectorIsEEZZNS1_9scan_implILNS1_25lookback_scan_determinismE0ELb0ELb1ES3_N6thrust23THRUST_200600_302600_NS6detail15normal_iteratorINS9_10device_ptrIsEEEESE_sNS9_4plusIsEEsEEDaPvRmT3_T4_T5_mT6_P12ihipStream_tbENKUlT_T0_E_clISt17integral_constantIbLb1EESU_EEDaSP_SQ_EUlSP_E0_NS1_11comp_targetILNS1_3genE5ELNS1_11target_archE942ELNS1_3gpuE9ELNS1_3repE0EEENS1_30default_config_static_selectorELNS0_4arch9wavefront6targetE1EEEvT1_
; %bb.0:
	.section	.rodata,"a",@progbits
	.p2align	6, 0x0
	.amdhsa_kernel _ZN7rocprim17ROCPRIM_400000_NS6detail17trampoline_kernelINS0_14default_configENS1_20scan_config_selectorIsEEZZNS1_9scan_implILNS1_25lookback_scan_determinismE0ELb0ELb1ES3_N6thrust23THRUST_200600_302600_NS6detail15normal_iteratorINS9_10device_ptrIsEEEESE_sNS9_4plusIsEEsEEDaPvRmT3_T4_T5_mT6_P12ihipStream_tbENKUlT_T0_E_clISt17integral_constantIbLb1EESU_EEDaSP_SQ_EUlSP_E0_NS1_11comp_targetILNS1_3genE5ELNS1_11target_archE942ELNS1_3gpuE9ELNS1_3repE0EEENS1_30default_config_static_selectorELNS0_4arch9wavefront6targetE1EEEvT1_
		.amdhsa_group_segment_fixed_size 0
		.amdhsa_private_segment_fixed_size 0
		.amdhsa_kernarg_size 32
		.amdhsa_user_sgpr_count 6
		.amdhsa_user_sgpr_private_segment_buffer 1
		.amdhsa_user_sgpr_dispatch_ptr 0
		.amdhsa_user_sgpr_queue_ptr 0
		.amdhsa_user_sgpr_kernarg_segment_ptr 1
		.amdhsa_user_sgpr_dispatch_id 0
		.amdhsa_user_sgpr_flat_scratch_init 0
		.amdhsa_user_sgpr_kernarg_preload_length 0
		.amdhsa_user_sgpr_kernarg_preload_offset 0
		.amdhsa_user_sgpr_private_segment_size 0
		.amdhsa_uses_dynamic_stack 0
		.amdhsa_system_sgpr_private_segment_wavefront_offset 0
		.amdhsa_system_sgpr_workgroup_id_x 1
		.amdhsa_system_sgpr_workgroup_id_y 0
		.amdhsa_system_sgpr_workgroup_id_z 0
		.amdhsa_system_sgpr_workgroup_info 0
		.amdhsa_system_vgpr_workitem_id 0
		.amdhsa_next_free_vgpr 1
		.amdhsa_next_free_sgpr 0
		.amdhsa_accum_offset 4
		.amdhsa_reserve_vcc 0
		.amdhsa_reserve_flat_scratch 0
		.amdhsa_float_round_mode_32 0
		.amdhsa_float_round_mode_16_64 0
		.amdhsa_float_denorm_mode_32 3
		.amdhsa_float_denorm_mode_16_64 3
		.amdhsa_dx10_clamp 1
		.amdhsa_ieee_mode 1
		.amdhsa_fp16_overflow 0
		.amdhsa_tg_split 0
		.amdhsa_exception_fp_ieee_invalid_op 0
		.amdhsa_exception_fp_denorm_src 0
		.amdhsa_exception_fp_ieee_div_zero 0
		.amdhsa_exception_fp_ieee_overflow 0
		.amdhsa_exception_fp_ieee_underflow 0
		.amdhsa_exception_fp_ieee_inexact 0
		.amdhsa_exception_int_div_zero 0
	.end_amdhsa_kernel
	.section	.text._ZN7rocprim17ROCPRIM_400000_NS6detail17trampoline_kernelINS0_14default_configENS1_20scan_config_selectorIsEEZZNS1_9scan_implILNS1_25lookback_scan_determinismE0ELb0ELb1ES3_N6thrust23THRUST_200600_302600_NS6detail15normal_iteratorINS9_10device_ptrIsEEEESE_sNS9_4plusIsEEsEEDaPvRmT3_T4_T5_mT6_P12ihipStream_tbENKUlT_T0_E_clISt17integral_constantIbLb1EESU_EEDaSP_SQ_EUlSP_E0_NS1_11comp_targetILNS1_3genE5ELNS1_11target_archE942ELNS1_3gpuE9ELNS1_3repE0EEENS1_30default_config_static_selectorELNS0_4arch9wavefront6targetE1EEEvT1_,"axG",@progbits,_ZN7rocprim17ROCPRIM_400000_NS6detail17trampoline_kernelINS0_14default_configENS1_20scan_config_selectorIsEEZZNS1_9scan_implILNS1_25lookback_scan_determinismE0ELb0ELb1ES3_N6thrust23THRUST_200600_302600_NS6detail15normal_iteratorINS9_10device_ptrIsEEEESE_sNS9_4plusIsEEsEEDaPvRmT3_T4_T5_mT6_P12ihipStream_tbENKUlT_T0_E_clISt17integral_constantIbLb1EESU_EEDaSP_SQ_EUlSP_E0_NS1_11comp_targetILNS1_3genE5ELNS1_11target_archE942ELNS1_3gpuE9ELNS1_3repE0EEENS1_30default_config_static_selectorELNS0_4arch9wavefront6targetE1EEEvT1_,comdat
.Lfunc_end1295:
	.size	_ZN7rocprim17ROCPRIM_400000_NS6detail17trampoline_kernelINS0_14default_configENS1_20scan_config_selectorIsEEZZNS1_9scan_implILNS1_25lookback_scan_determinismE0ELb0ELb1ES3_N6thrust23THRUST_200600_302600_NS6detail15normal_iteratorINS9_10device_ptrIsEEEESE_sNS9_4plusIsEEsEEDaPvRmT3_T4_T5_mT6_P12ihipStream_tbENKUlT_T0_E_clISt17integral_constantIbLb1EESU_EEDaSP_SQ_EUlSP_E0_NS1_11comp_targetILNS1_3genE5ELNS1_11target_archE942ELNS1_3gpuE9ELNS1_3repE0EEENS1_30default_config_static_selectorELNS0_4arch9wavefront6targetE1EEEvT1_, .Lfunc_end1295-_ZN7rocprim17ROCPRIM_400000_NS6detail17trampoline_kernelINS0_14default_configENS1_20scan_config_selectorIsEEZZNS1_9scan_implILNS1_25lookback_scan_determinismE0ELb0ELb1ES3_N6thrust23THRUST_200600_302600_NS6detail15normal_iteratorINS9_10device_ptrIsEEEESE_sNS9_4plusIsEEsEEDaPvRmT3_T4_T5_mT6_P12ihipStream_tbENKUlT_T0_E_clISt17integral_constantIbLb1EESU_EEDaSP_SQ_EUlSP_E0_NS1_11comp_targetILNS1_3genE5ELNS1_11target_archE942ELNS1_3gpuE9ELNS1_3repE0EEENS1_30default_config_static_selectorELNS0_4arch9wavefront6targetE1EEEvT1_
                                        ; -- End function
	.section	.AMDGPU.csdata,"",@progbits
; Kernel info:
; codeLenInByte = 0
; NumSgprs: 4
; NumVgprs: 0
; NumAgprs: 0
; TotalNumVgprs: 0
; ScratchSize: 0
; MemoryBound: 0
; FloatMode: 240
; IeeeMode: 1
; LDSByteSize: 0 bytes/workgroup (compile time only)
; SGPRBlocks: 0
; VGPRBlocks: 0
; NumSGPRsForWavesPerEU: 4
; NumVGPRsForWavesPerEU: 1
; AccumOffset: 4
; Occupancy: 8
; WaveLimiterHint : 0
; COMPUTE_PGM_RSRC2:SCRATCH_EN: 0
; COMPUTE_PGM_RSRC2:USER_SGPR: 6
; COMPUTE_PGM_RSRC2:TRAP_HANDLER: 0
; COMPUTE_PGM_RSRC2:TGID_X_EN: 1
; COMPUTE_PGM_RSRC2:TGID_Y_EN: 0
; COMPUTE_PGM_RSRC2:TGID_Z_EN: 0
; COMPUTE_PGM_RSRC2:TIDIG_COMP_CNT: 0
; COMPUTE_PGM_RSRC3_GFX90A:ACCUM_OFFSET: 0
; COMPUTE_PGM_RSRC3_GFX90A:TG_SPLIT: 0
	.section	.text._ZN7rocprim17ROCPRIM_400000_NS6detail17trampoline_kernelINS0_14default_configENS1_20scan_config_selectorIsEEZZNS1_9scan_implILNS1_25lookback_scan_determinismE0ELb0ELb1ES3_N6thrust23THRUST_200600_302600_NS6detail15normal_iteratorINS9_10device_ptrIsEEEESE_sNS9_4plusIsEEsEEDaPvRmT3_T4_T5_mT6_P12ihipStream_tbENKUlT_T0_E_clISt17integral_constantIbLb1EESU_EEDaSP_SQ_EUlSP_E0_NS1_11comp_targetILNS1_3genE4ELNS1_11target_archE910ELNS1_3gpuE8ELNS1_3repE0EEENS1_30default_config_static_selectorELNS0_4arch9wavefront6targetE1EEEvT1_,"axG",@progbits,_ZN7rocprim17ROCPRIM_400000_NS6detail17trampoline_kernelINS0_14default_configENS1_20scan_config_selectorIsEEZZNS1_9scan_implILNS1_25lookback_scan_determinismE0ELb0ELb1ES3_N6thrust23THRUST_200600_302600_NS6detail15normal_iteratorINS9_10device_ptrIsEEEESE_sNS9_4plusIsEEsEEDaPvRmT3_T4_T5_mT6_P12ihipStream_tbENKUlT_T0_E_clISt17integral_constantIbLb1EESU_EEDaSP_SQ_EUlSP_E0_NS1_11comp_targetILNS1_3genE4ELNS1_11target_archE910ELNS1_3gpuE8ELNS1_3repE0EEENS1_30default_config_static_selectorELNS0_4arch9wavefront6targetE1EEEvT1_,comdat
	.protected	_ZN7rocprim17ROCPRIM_400000_NS6detail17trampoline_kernelINS0_14default_configENS1_20scan_config_selectorIsEEZZNS1_9scan_implILNS1_25lookback_scan_determinismE0ELb0ELb1ES3_N6thrust23THRUST_200600_302600_NS6detail15normal_iteratorINS9_10device_ptrIsEEEESE_sNS9_4plusIsEEsEEDaPvRmT3_T4_T5_mT6_P12ihipStream_tbENKUlT_T0_E_clISt17integral_constantIbLb1EESU_EEDaSP_SQ_EUlSP_E0_NS1_11comp_targetILNS1_3genE4ELNS1_11target_archE910ELNS1_3gpuE8ELNS1_3repE0EEENS1_30default_config_static_selectorELNS0_4arch9wavefront6targetE1EEEvT1_ ; -- Begin function _ZN7rocprim17ROCPRIM_400000_NS6detail17trampoline_kernelINS0_14default_configENS1_20scan_config_selectorIsEEZZNS1_9scan_implILNS1_25lookback_scan_determinismE0ELb0ELb1ES3_N6thrust23THRUST_200600_302600_NS6detail15normal_iteratorINS9_10device_ptrIsEEEESE_sNS9_4plusIsEEsEEDaPvRmT3_T4_T5_mT6_P12ihipStream_tbENKUlT_T0_E_clISt17integral_constantIbLb1EESU_EEDaSP_SQ_EUlSP_E0_NS1_11comp_targetILNS1_3genE4ELNS1_11target_archE910ELNS1_3gpuE8ELNS1_3repE0EEENS1_30default_config_static_selectorELNS0_4arch9wavefront6targetE1EEEvT1_
	.globl	_ZN7rocprim17ROCPRIM_400000_NS6detail17trampoline_kernelINS0_14default_configENS1_20scan_config_selectorIsEEZZNS1_9scan_implILNS1_25lookback_scan_determinismE0ELb0ELb1ES3_N6thrust23THRUST_200600_302600_NS6detail15normal_iteratorINS9_10device_ptrIsEEEESE_sNS9_4plusIsEEsEEDaPvRmT3_T4_T5_mT6_P12ihipStream_tbENKUlT_T0_E_clISt17integral_constantIbLb1EESU_EEDaSP_SQ_EUlSP_E0_NS1_11comp_targetILNS1_3genE4ELNS1_11target_archE910ELNS1_3gpuE8ELNS1_3repE0EEENS1_30default_config_static_selectorELNS0_4arch9wavefront6targetE1EEEvT1_
	.p2align	8
	.type	_ZN7rocprim17ROCPRIM_400000_NS6detail17trampoline_kernelINS0_14default_configENS1_20scan_config_selectorIsEEZZNS1_9scan_implILNS1_25lookback_scan_determinismE0ELb0ELb1ES3_N6thrust23THRUST_200600_302600_NS6detail15normal_iteratorINS9_10device_ptrIsEEEESE_sNS9_4plusIsEEsEEDaPvRmT3_T4_T5_mT6_P12ihipStream_tbENKUlT_T0_E_clISt17integral_constantIbLb1EESU_EEDaSP_SQ_EUlSP_E0_NS1_11comp_targetILNS1_3genE4ELNS1_11target_archE910ELNS1_3gpuE8ELNS1_3repE0EEENS1_30default_config_static_selectorELNS0_4arch9wavefront6targetE1EEEvT1_,@function
_ZN7rocprim17ROCPRIM_400000_NS6detail17trampoline_kernelINS0_14default_configENS1_20scan_config_selectorIsEEZZNS1_9scan_implILNS1_25lookback_scan_determinismE0ELb0ELb1ES3_N6thrust23THRUST_200600_302600_NS6detail15normal_iteratorINS9_10device_ptrIsEEEESE_sNS9_4plusIsEEsEEDaPvRmT3_T4_T5_mT6_P12ihipStream_tbENKUlT_T0_E_clISt17integral_constantIbLb1EESU_EEDaSP_SQ_EUlSP_E0_NS1_11comp_targetILNS1_3genE4ELNS1_11target_archE910ELNS1_3gpuE8ELNS1_3repE0EEENS1_30default_config_static_selectorELNS0_4arch9wavefront6targetE1EEEvT1_: ; @_ZN7rocprim17ROCPRIM_400000_NS6detail17trampoline_kernelINS0_14default_configENS1_20scan_config_selectorIsEEZZNS1_9scan_implILNS1_25lookback_scan_determinismE0ELb0ELb1ES3_N6thrust23THRUST_200600_302600_NS6detail15normal_iteratorINS9_10device_ptrIsEEEESE_sNS9_4plusIsEEsEEDaPvRmT3_T4_T5_mT6_P12ihipStream_tbENKUlT_T0_E_clISt17integral_constantIbLb1EESU_EEDaSP_SQ_EUlSP_E0_NS1_11comp_targetILNS1_3genE4ELNS1_11target_archE910ELNS1_3gpuE8ELNS1_3repE0EEENS1_30default_config_static_selectorELNS0_4arch9wavefront6targetE1EEEvT1_
; %bb.0:
	s_load_dwordx4 s[52:55], s[4:5], 0x0
	v_mov_b32_e32 v1, 0
	v_lshlrev_b32_e32 v14, 1, v0
	s_waitcnt lgkmcnt(0)
	global_load_ushort v2, v1, s[52:53]
	v_cmp_gt_u32_e32 vcc, s54, v0
	s_waitcnt vmcnt(0)
	v_mov_b32_e32 v3, v2
	s_and_saveexec_b64 s[0:1], vcc
	s_cbranch_execz .LBB1296_2
; %bb.1:
	global_load_ushort v3, v14, s[52:53]
.LBB1296_2:
	s_or_b64 exec, exec, s[0:1]
	v_or_b32_e32 v1, 64, v0
	v_cmp_gt_u32_e64 s[0:1], s54, v1
	v_mov_b32_e32 v4, v2
	s_and_saveexec_b64 s[2:3], s[0:1]
	s_cbranch_execz .LBB1296_4
; %bb.3:
	global_load_ushort v4, v14, s[52:53] offset:128
.LBB1296_4:
	s_or_b64 exec, exec, s[2:3]
	v_or_b32_e32 v1, 0x80, v0
	v_cmp_gt_u32_e64 s[2:3], s54, v1
	v_mov_b32_e32 v5, v2
	s_and_saveexec_b64 s[6:7], s[2:3]
	s_cbranch_execz .LBB1296_6
; %bb.5:
	global_load_ushort v5, v14, s[52:53] offset:256
.LBB1296_6:
	;; [unrolled: 9-line block ×22, first 2 shown]
	s_or_b64 exec, exec, s[46:47]
	v_or_b32_e32 v1, 0x5c0, v0
	v_cmp_gt_u32_e64 s[46:47], s54, v1
	v_cmp_le_u32_e64 s[50:51], s54, v1
	s_and_saveexec_b64 s[54:55], s[50:51]
	s_xor_b64 s[50:51], exec, s[54:55]
; %bb.47:
	v_mov_b32_e32 v1, 0
; %bb.48:
	s_andn2_saveexec_b64 s[50:51], s[50:51]
	s_cbranch_execz .LBB1296_50
; %bb.49:
	global_load_ushort v2, v14, s[52:53] offset:2944
	v_mov_b32_e32 v1, 0
.LBB1296_50:
	s_or_b64 exec, exec, s[50:51]
	s_waitcnt vmcnt(0)
	ds_write_b16 v14, v3
	ds_write_b16 v14, v4 offset:128
	ds_write_b16 v14, v5 offset:256
	;; [unrolled: 1-line block ×23, first 2 shown]
	v_mad_u32_u24 v2, v0, 46, v14
	s_waitcnt lgkmcnt(0)
	; wave barrier
	s_waitcnt lgkmcnt(0)
	ds_read_b128 v[6:9], v2
	ds_read_b128 v[10:13], v2 offset:16
	ds_read_b128 v[2:5], v2 offset:32
	s_load_dwordx2 s[52:53], s[4:5], 0x18
	s_waitcnt lgkmcnt(0)
	v_add_u16_sdwa v15, v6, v6 dst_sel:DWORD dst_unused:UNUSED_PAD src0_sel:WORD_1 src1_sel:DWORD
	v_add_u16_e32 v16, v15, v7
	v_add_u16_sdwa v17, v16, v7 dst_sel:DWORD dst_unused:UNUSED_PAD src0_sel:DWORD src1_sel:WORD_1
	v_add_u16_e32 v18, v17, v8
	v_add_u16_sdwa v19, v18, v8 dst_sel:DWORD dst_unused:UNUSED_PAD src0_sel:DWORD src1_sel:WORD_1
	;; [unrolled: 2-line block ×11, first 2 shown]
	v_mbcnt_lo_u32_b32 v36, -1, 0
	v_mbcnt_hi_u32_b32 v36, -1, v36
	v_and_b32_e32 v38, 15, v36
	v_mov_b32_dpp v39, v37 row_shr:1 row_mask:0xf bank_mask:0xf
	v_cmp_ne_u32_e64 s[50:51], 0, v38
	v_cndmask_b32_e64 v39, 0, v39, s[50:51]
	v_add_u16_e32 v37, v39, v37
	v_cmp_lt_u32_e64 s[50:51], 1, v38
	; wave barrier
	s_nop 0
	v_mov_b32_dpp v39, v37 row_shr:2 row_mask:0xf bank_mask:0xf
	v_cndmask_b32_e64 v39, 0, v39, s[50:51]
	v_add_u16_e32 v37, v37, v39
	v_cmp_lt_u32_e64 s[50:51], 3, v38
	s_nop 0
	v_mov_b32_dpp v39, v37 row_shr:4 row_mask:0xf bank_mask:0xf
	v_cndmask_b32_e64 v39, 0, v39, s[50:51]
	v_add_u16_e32 v37, v37, v39
	v_cmp_lt_u32_e64 s[50:51], 7, v38
	s_nop 0
	v_mov_b32_dpp v39, v37 row_shr:8 row_mask:0xf bank_mask:0xf
	v_cndmask_b32_e64 v38, 0, v39, s[50:51]
	v_add_u16_e32 v37, v37, v38
	v_and_b32_e32 v39, 16, v36
	v_cmp_ne_u32_e64 s[50:51], 0, v39
	v_mov_b32_dpp v38, v37 row_bcast:15 row_mask:0xf bank_mask:0xf
	v_cndmask_b32_e64 v38, 0, v38, s[50:51]
	v_add_u16_e32 v37, v37, v38
	v_cmp_lt_u32_e64 s[50:51], 31, v36
	s_nop 0
	v_mov_b32_dpp v38, v37 row_bcast:31 row_mask:0xf bank_mask:0xf
	v_cndmask_b32_e64 v38, 0, v38, s[50:51]
	v_add_u16_e32 v37, v37, v38
	v_cmp_eq_u32_e64 s[50:51], 63, v0
	s_and_saveexec_b64 s[54:55], s[50:51]
	s_cbranch_execz .LBB1296_52
; %bb.51:
	v_mov_b32_e32 v38, 0
	ds_write_b16 v38, v37
.LBB1296_52:
	s_or_b64 exec, exec, s[54:55]
	v_add_u32_e32 v38, -1, v36
	v_and_b32_e32 v39, 64, v36
	s_load_dword s33, s[4:5], 0x10
	v_cmp_lt_i32_e64 s[4:5], v38, v39
	v_cndmask_b32_e64 v36, v38, v36, s[4:5]
	v_lshlrev_b32_e32 v36, 2, v36
	ds_bpermute_b32 v37, v36, v37
	v_mul_u32_u24_e32 v36, 46, v0
	v_cmp_ne_u32_e64 s[4:5], 0, v0
	s_waitcnt lgkmcnt(0)
	; wave barrier
	s_waitcnt lgkmcnt(0)
	s_and_saveexec_b64 s[50:51], s[4:5]
	s_cbranch_execz .LBB1296_54
; %bb.53:
	v_add_u16_e32 v37, v6, v37
	v_add_u16_sdwa v15, v37, v6 dst_sel:DWORD dst_unused:UNUSED_PAD src0_sel:DWORD src1_sel:WORD_1
	v_add_u16_e32 v16, v15, v7
	v_add_u16_sdwa v17, v16, v7 dst_sel:DWORD dst_unused:UNUSED_PAD src0_sel:DWORD src1_sel:WORD_1
	;; [unrolled: 2-line block ×11, first 2 shown]
	v_mov_b32_e32 v6, v37
	;;#ASMSTART
	;;#ASMEND
.LBB1296_54:
	s_or_b64 exec, exec, s[50:51]
	v_add_u16_e32 v2, s33, v6
	v_add_u16_e32 v6, s33, v15
	;; [unrolled: 1-line block ×12, first 2 shown]
	s_mov_b32 s4, 0x5040100
	v_add_u16_e32 v11, s33, v22
	v_add_u16_e32 v12, s33, v23
	;; [unrolled: 1-line block ×6, first 2 shown]
	v_add_u16_sdwa v27, v26, v5 dst_sel:DWORD dst_unused:UNUSED_PAD src0_sel:DWORD src1_sel:WORD_1
	v_add_u32_e32 v28, v14, v36
	v_perm_b32 v5, v10, v9, s4
	v_perm_b32 v4, v8, v4, s4
	;; [unrolled: 1-line block ×4, first 2 shown]
	v_add_u16_e32 v20, s33, v30
	v_add_u16_e32 v21, s33, v31
	;; [unrolled: 1-line block ×5, first 2 shown]
	s_waitcnt lgkmcnt(0)
	; wave barrier
	ds_write_b128 v28, v[2:5]
	v_perm_b32 v5, v19, v18, s4
	v_perm_b32 v4, v17, v16, s4
	;; [unrolled: 1-line block ×4, first 2 shown]
	ds_write_b128 v28, v[2:5] offset:16
	v_perm_b32 v4, v25, v24, s4
	v_perm_b32 v3, v23, v22, s4
	;; [unrolled: 1-line block ×4, first 2 shown]
	ds_write_b128 v28, v[2:5] offset:32
	s_waitcnt lgkmcnt(0)
	; wave barrier
	s_waitcnt lgkmcnt(0)
	ds_read_u16 v25, v14 offset:128
	ds_read_u16 v24, v14 offset:256
	;; [unrolled: 1-line block ×23, first 2 shown]
	v_lshlrev_b64 v[0:1], 1, v[0:1]
	v_mov_b32_e32 v26, s53
	v_add_co_u32_e64 v0, s[4:5], s52, v0
	v_addc_co_u32_e64 v1, s[4:5], v26, v1, s[4:5]
	s_and_saveexec_b64 s[4:5], vcc
	s_cbranch_execnz .LBB1296_79
; %bb.55:
	s_or_b64 exec, exec, s[4:5]
	s_and_saveexec_b64 s[4:5], s[0:1]
	s_cbranch_execnz .LBB1296_80
.LBB1296_56:
	s_or_b64 exec, exec, s[4:5]
	s_and_saveexec_b64 s[0:1], s[2:3]
	s_cbranch_execnz .LBB1296_81
.LBB1296_57:
	s_or_b64 exec, exec, s[0:1]
	s_and_saveexec_b64 s[0:1], s[48:49]
	s_cbranch_execnz .LBB1296_82
.LBB1296_58:
	s_or_b64 exec, exec, s[0:1]
	s_and_saveexec_b64 s[0:1], s[6:7]
	s_cbranch_execnz .LBB1296_83
.LBB1296_59:
	s_or_b64 exec, exec, s[0:1]
	s_and_saveexec_b64 s[0:1], s[8:9]
	s_cbranch_execnz .LBB1296_84
.LBB1296_60:
	s_or_b64 exec, exec, s[0:1]
	s_and_saveexec_b64 s[0:1], s[10:11]
	s_cbranch_execnz .LBB1296_85
.LBB1296_61:
	s_or_b64 exec, exec, s[0:1]
	s_and_saveexec_b64 s[0:1], s[12:13]
	s_cbranch_execnz .LBB1296_86
.LBB1296_62:
	s_or_b64 exec, exec, s[0:1]
	s_and_saveexec_b64 s[0:1], s[14:15]
	s_cbranch_execnz .LBB1296_87
.LBB1296_63:
	s_or_b64 exec, exec, s[0:1]
	s_and_saveexec_b64 s[0:1], s[16:17]
	s_cbranch_execnz .LBB1296_88
.LBB1296_64:
	s_or_b64 exec, exec, s[0:1]
	s_and_saveexec_b64 s[0:1], s[18:19]
	s_cbranch_execnz .LBB1296_89
.LBB1296_65:
	s_or_b64 exec, exec, s[0:1]
	s_and_saveexec_b64 s[0:1], s[20:21]
	s_cbranch_execnz .LBB1296_90
.LBB1296_66:
	s_or_b64 exec, exec, s[0:1]
	s_and_saveexec_b64 s[0:1], s[22:23]
	s_cbranch_execnz .LBB1296_91
.LBB1296_67:
	s_or_b64 exec, exec, s[0:1]
	s_and_saveexec_b64 s[0:1], s[24:25]
	s_cbranch_execnz .LBB1296_92
.LBB1296_68:
	s_or_b64 exec, exec, s[0:1]
	s_and_saveexec_b64 s[0:1], s[26:27]
	s_cbranch_execnz .LBB1296_93
.LBB1296_69:
	s_or_b64 exec, exec, s[0:1]
	s_and_saveexec_b64 s[0:1], s[28:29]
	s_cbranch_execnz .LBB1296_94
.LBB1296_70:
	s_or_b64 exec, exec, s[0:1]
	s_and_saveexec_b64 s[0:1], s[30:31]
	s_cbranch_execnz .LBB1296_95
.LBB1296_71:
	s_or_b64 exec, exec, s[0:1]
	s_and_saveexec_b64 s[0:1], s[34:35]
	s_cbranch_execnz .LBB1296_96
.LBB1296_72:
	s_or_b64 exec, exec, s[0:1]
	s_and_saveexec_b64 s[0:1], s[36:37]
	s_cbranch_execnz .LBB1296_97
.LBB1296_73:
	s_or_b64 exec, exec, s[0:1]
	s_and_saveexec_b64 s[0:1], s[38:39]
	s_cbranch_execnz .LBB1296_98
.LBB1296_74:
	s_or_b64 exec, exec, s[0:1]
	s_and_saveexec_b64 s[0:1], s[40:41]
	s_cbranch_execnz .LBB1296_99
.LBB1296_75:
	s_or_b64 exec, exec, s[0:1]
	s_and_saveexec_b64 s[0:1], s[42:43]
	s_cbranch_execnz .LBB1296_100
.LBB1296_76:
	s_or_b64 exec, exec, s[0:1]
	s_and_saveexec_b64 s[0:1], s[44:45]
	s_cbranch_execnz .LBB1296_101
.LBB1296_77:
	s_or_b64 exec, exec, s[0:1]
	s_and_saveexec_b64 s[0:1], s[46:47]
	s_cbranch_execnz .LBB1296_102
.LBB1296_78:
	s_endpgm
.LBB1296_79:
	ds_read_u16 v14, v14
	s_waitcnt lgkmcnt(0)
	global_store_short v[0:1], v14, off
	s_or_b64 exec, exec, s[4:5]
	s_and_saveexec_b64 s[4:5], s[0:1]
	s_cbranch_execz .LBB1296_56
.LBB1296_80:
	s_waitcnt lgkmcnt(14)
	global_store_short v[0:1], v25, off offset:128
	s_or_b64 exec, exec, s[4:5]
	s_and_saveexec_b64 s[0:1], s[2:3]
	s_cbranch_execz .LBB1296_57
.LBB1296_81:
	s_waitcnt lgkmcnt(14)
	global_store_short v[0:1], v24, off offset:256
	s_or_b64 exec, exec, s[0:1]
	s_and_saveexec_b64 s[0:1], s[48:49]
	s_cbranch_execz .LBB1296_58
.LBB1296_82:
	s_waitcnt lgkmcnt(14)
	global_store_short v[0:1], v23, off offset:384
	s_or_b64 exec, exec, s[0:1]
	s_and_saveexec_b64 s[0:1], s[6:7]
	s_cbranch_execz .LBB1296_59
.LBB1296_83:
	s_waitcnt lgkmcnt(14)
	global_store_short v[0:1], v22, off offset:512
	s_or_b64 exec, exec, s[0:1]
	s_and_saveexec_b64 s[0:1], s[8:9]
	s_cbranch_execz .LBB1296_60
.LBB1296_84:
	s_waitcnt lgkmcnt(14)
	global_store_short v[0:1], v21, off offset:640
	s_or_b64 exec, exec, s[0:1]
	s_and_saveexec_b64 s[0:1], s[10:11]
	s_cbranch_execz .LBB1296_61
.LBB1296_85:
	s_waitcnt lgkmcnt(14)
	global_store_short v[0:1], v20, off offset:768
	s_or_b64 exec, exec, s[0:1]
	s_and_saveexec_b64 s[0:1], s[12:13]
	s_cbranch_execz .LBB1296_62
.LBB1296_86:
	s_waitcnt lgkmcnt(14)
	global_store_short v[0:1], v19, off offset:896
	s_or_b64 exec, exec, s[0:1]
	s_and_saveexec_b64 s[0:1], s[14:15]
	s_cbranch_execz .LBB1296_63
.LBB1296_87:
	s_waitcnt lgkmcnt(14)
	global_store_short v[0:1], v18, off offset:1024
	s_or_b64 exec, exec, s[0:1]
	s_and_saveexec_b64 s[0:1], s[16:17]
	s_cbranch_execz .LBB1296_64
.LBB1296_88:
	s_waitcnt lgkmcnt(14)
	global_store_short v[0:1], v17, off offset:1152
	s_or_b64 exec, exec, s[0:1]
	s_and_saveexec_b64 s[0:1], s[18:19]
	s_cbranch_execz .LBB1296_65
.LBB1296_89:
	s_waitcnt lgkmcnt(13)
	global_store_short v[0:1], v16, off offset:1280
	s_or_b64 exec, exec, s[0:1]
	s_and_saveexec_b64 s[0:1], s[20:21]
	s_cbranch_execz .LBB1296_66
.LBB1296_90:
	s_waitcnt lgkmcnt(12)
	global_store_short v[0:1], v15, off offset:1408
	s_or_b64 exec, exec, s[0:1]
	s_and_saveexec_b64 s[0:1], s[22:23]
	s_cbranch_execz .LBB1296_67
.LBB1296_91:
	s_waitcnt lgkmcnt(11)
	global_store_short v[0:1], v13, off offset:1536
	s_or_b64 exec, exec, s[0:1]
	s_and_saveexec_b64 s[0:1], s[24:25]
	s_cbranch_execz .LBB1296_68
.LBB1296_92:
	s_waitcnt lgkmcnt(10)
	global_store_short v[0:1], v12, off offset:1664
	s_or_b64 exec, exec, s[0:1]
	s_and_saveexec_b64 s[0:1], s[26:27]
	s_cbranch_execz .LBB1296_69
.LBB1296_93:
	s_waitcnt lgkmcnt(9)
	global_store_short v[0:1], v11, off offset:1792
	s_or_b64 exec, exec, s[0:1]
	s_and_saveexec_b64 s[0:1], s[28:29]
	s_cbranch_execz .LBB1296_70
.LBB1296_94:
	s_waitcnt lgkmcnt(8)
	global_store_short v[0:1], v10, off offset:1920
	s_or_b64 exec, exec, s[0:1]
	s_and_saveexec_b64 s[0:1], s[30:31]
	s_cbranch_execz .LBB1296_71
.LBB1296_95:
	s_waitcnt lgkmcnt(7)
	global_store_short v[0:1], v9, off offset:2048
	s_or_b64 exec, exec, s[0:1]
	s_and_saveexec_b64 s[0:1], s[34:35]
	s_cbranch_execz .LBB1296_72
.LBB1296_96:
	s_waitcnt lgkmcnt(6)
	global_store_short v[0:1], v8, off offset:2176
	s_or_b64 exec, exec, s[0:1]
	s_and_saveexec_b64 s[0:1], s[36:37]
	s_cbranch_execz .LBB1296_73
.LBB1296_97:
	s_waitcnt lgkmcnt(5)
	global_store_short v[0:1], v7, off offset:2304
	s_or_b64 exec, exec, s[0:1]
	s_and_saveexec_b64 s[0:1], s[38:39]
	s_cbranch_execz .LBB1296_74
.LBB1296_98:
	s_waitcnt lgkmcnt(4)
	global_store_short v[0:1], v6, off offset:2432
	s_or_b64 exec, exec, s[0:1]
	s_and_saveexec_b64 s[0:1], s[40:41]
	s_cbranch_execz .LBB1296_75
.LBB1296_99:
	s_waitcnt lgkmcnt(3)
	global_store_short v[0:1], v5, off offset:2560
	s_or_b64 exec, exec, s[0:1]
	s_and_saveexec_b64 s[0:1], s[42:43]
	s_cbranch_execz .LBB1296_76
.LBB1296_100:
	s_waitcnt lgkmcnt(2)
	global_store_short v[0:1], v4, off offset:2688
	s_or_b64 exec, exec, s[0:1]
	s_and_saveexec_b64 s[0:1], s[44:45]
	s_cbranch_execz .LBB1296_77
.LBB1296_101:
	s_waitcnt lgkmcnt(1)
	global_store_short v[0:1], v3, off offset:2816
	s_or_b64 exec, exec, s[0:1]
	s_and_saveexec_b64 s[0:1], s[46:47]
	s_cbranch_execz .LBB1296_78
.LBB1296_102:
	s_waitcnt lgkmcnt(0)
	global_store_short v[0:1], v2, off offset:2944
	s_endpgm
	.section	.rodata,"a",@progbits
	.p2align	6, 0x0
	.amdhsa_kernel _ZN7rocprim17ROCPRIM_400000_NS6detail17trampoline_kernelINS0_14default_configENS1_20scan_config_selectorIsEEZZNS1_9scan_implILNS1_25lookback_scan_determinismE0ELb0ELb1ES3_N6thrust23THRUST_200600_302600_NS6detail15normal_iteratorINS9_10device_ptrIsEEEESE_sNS9_4plusIsEEsEEDaPvRmT3_T4_T5_mT6_P12ihipStream_tbENKUlT_T0_E_clISt17integral_constantIbLb1EESU_EEDaSP_SQ_EUlSP_E0_NS1_11comp_targetILNS1_3genE4ELNS1_11target_archE910ELNS1_3gpuE8ELNS1_3repE0EEENS1_30default_config_static_selectorELNS0_4arch9wavefront6targetE1EEEvT1_
		.amdhsa_group_segment_fixed_size 3072
		.amdhsa_private_segment_fixed_size 0
		.amdhsa_kernarg_size 32
		.amdhsa_user_sgpr_count 6
		.amdhsa_user_sgpr_private_segment_buffer 1
		.amdhsa_user_sgpr_dispatch_ptr 0
		.amdhsa_user_sgpr_queue_ptr 0
		.amdhsa_user_sgpr_kernarg_segment_ptr 1
		.amdhsa_user_sgpr_dispatch_id 0
		.amdhsa_user_sgpr_flat_scratch_init 0
		.amdhsa_user_sgpr_kernarg_preload_length 0
		.amdhsa_user_sgpr_kernarg_preload_offset 0
		.amdhsa_user_sgpr_private_segment_size 0
		.amdhsa_uses_dynamic_stack 0
		.amdhsa_system_sgpr_private_segment_wavefront_offset 0
		.amdhsa_system_sgpr_workgroup_id_x 1
		.amdhsa_system_sgpr_workgroup_id_y 0
		.amdhsa_system_sgpr_workgroup_id_z 0
		.amdhsa_system_sgpr_workgroup_info 0
		.amdhsa_system_vgpr_workitem_id 0
		.amdhsa_next_free_vgpr 40
		.amdhsa_next_free_sgpr 56
		.amdhsa_accum_offset 40
		.amdhsa_reserve_vcc 1
		.amdhsa_reserve_flat_scratch 0
		.amdhsa_float_round_mode_32 0
		.amdhsa_float_round_mode_16_64 0
		.amdhsa_float_denorm_mode_32 3
		.amdhsa_float_denorm_mode_16_64 3
		.amdhsa_dx10_clamp 1
		.amdhsa_ieee_mode 1
		.amdhsa_fp16_overflow 0
		.amdhsa_tg_split 0
		.amdhsa_exception_fp_ieee_invalid_op 0
		.amdhsa_exception_fp_denorm_src 0
		.amdhsa_exception_fp_ieee_div_zero 0
		.amdhsa_exception_fp_ieee_overflow 0
		.amdhsa_exception_fp_ieee_underflow 0
		.amdhsa_exception_fp_ieee_inexact 0
		.amdhsa_exception_int_div_zero 0
	.end_amdhsa_kernel
	.section	.text._ZN7rocprim17ROCPRIM_400000_NS6detail17trampoline_kernelINS0_14default_configENS1_20scan_config_selectorIsEEZZNS1_9scan_implILNS1_25lookback_scan_determinismE0ELb0ELb1ES3_N6thrust23THRUST_200600_302600_NS6detail15normal_iteratorINS9_10device_ptrIsEEEESE_sNS9_4plusIsEEsEEDaPvRmT3_T4_T5_mT6_P12ihipStream_tbENKUlT_T0_E_clISt17integral_constantIbLb1EESU_EEDaSP_SQ_EUlSP_E0_NS1_11comp_targetILNS1_3genE4ELNS1_11target_archE910ELNS1_3gpuE8ELNS1_3repE0EEENS1_30default_config_static_selectorELNS0_4arch9wavefront6targetE1EEEvT1_,"axG",@progbits,_ZN7rocprim17ROCPRIM_400000_NS6detail17trampoline_kernelINS0_14default_configENS1_20scan_config_selectorIsEEZZNS1_9scan_implILNS1_25lookback_scan_determinismE0ELb0ELb1ES3_N6thrust23THRUST_200600_302600_NS6detail15normal_iteratorINS9_10device_ptrIsEEEESE_sNS9_4plusIsEEsEEDaPvRmT3_T4_T5_mT6_P12ihipStream_tbENKUlT_T0_E_clISt17integral_constantIbLb1EESU_EEDaSP_SQ_EUlSP_E0_NS1_11comp_targetILNS1_3genE4ELNS1_11target_archE910ELNS1_3gpuE8ELNS1_3repE0EEENS1_30default_config_static_selectorELNS0_4arch9wavefront6targetE1EEEvT1_,comdat
.Lfunc_end1296:
	.size	_ZN7rocprim17ROCPRIM_400000_NS6detail17trampoline_kernelINS0_14default_configENS1_20scan_config_selectorIsEEZZNS1_9scan_implILNS1_25lookback_scan_determinismE0ELb0ELb1ES3_N6thrust23THRUST_200600_302600_NS6detail15normal_iteratorINS9_10device_ptrIsEEEESE_sNS9_4plusIsEEsEEDaPvRmT3_T4_T5_mT6_P12ihipStream_tbENKUlT_T0_E_clISt17integral_constantIbLb1EESU_EEDaSP_SQ_EUlSP_E0_NS1_11comp_targetILNS1_3genE4ELNS1_11target_archE910ELNS1_3gpuE8ELNS1_3repE0EEENS1_30default_config_static_selectorELNS0_4arch9wavefront6targetE1EEEvT1_, .Lfunc_end1296-_ZN7rocprim17ROCPRIM_400000_NS6detail17trampoline_kernelINS0_14default_configENS1_20scan_config_selectorIsEEZZNS1_9scan_implILNS1_25lookback_scan_determinismE0ELb0ELb1ES3_N6thrust23THRUST_200600_302600_NS6detail15normal_iteratorINS9_10device_ptrIsEEEESE_sNS9_4plusIsEEsEEDaPvRmT3_T4_T5_mT6_P12ihipStream_tbENKUlT_T0_E_clISt17integral_constantIbLb1EESU_EEDaSP_SQ_EUlSP_E0_NS1_11comp_targetILNS1_3genE4ELNS1_11target_archE910ELNS1_3gpuE8ELNS1_3repE0EEENS1_30default_config_static_selectorELNS0_4arch9wavefront6targetE1EEEvT1_
                                        ; -- End function
	.section	.AMDGPU.csdata,"",@progbits
; Kernel info:
; codeLenInByte = 3156
; NumSgprs: 60
; NumVgprs: 40
; NumAgprs: 0
; TotalNumVgprs: 40
; ScratchSize: 0
; MemoryBound: 0
; FloatMode: 240
; IeeeMode: 1
; LDSByteSize: 3072 bytes/workgroup (compile time only)
; SGPRBlocks: 7
; VGPRBlocks: 4
; NumSGPRsForWavesPerEU: 60
; NumVGPRsForWavesPerEU: 40
; AccumOffset: 40
; Occupancy: 6
; WaveLimiterHint : 0
; COMPUTE_PGM_RSRC2:SCRATCH_EN: 0
; COMPUTE_PGM_RSRC2:USER_SGPR: 6
; COMPUTE_PGM_RSRC2:TRAP_HANDLER: 0
; COMPUTE_PGM_RSRC2:TGID_X_EN: 1
; COMPUTE_PGM_RSRC2:TGID_Y_EN: 0
; COMPUTE_PGM_RSRC2:TGID_Z_EN: 0
; COMPUTE_PGM_RSRC2:TIDIG_COMP_CNT: 0
; COMPUTE_PGM_RSRC3_GFX90A:ACCUM_OFFSET: 9
; COMPUTE_PGM_RSRC3_GFX90A:TG_SPLIT: 0
	.section	.text._ZN7rocprim17ROCPRIM_400000_NS6detail17trampoline_kernelINS0_14default_configENS1_20scan_config_selectorIsEEZZNS1_9scan_implILNS1_25lookback_scan_determinismE0ELb0ELb1ES3_N6thrust23THRUST_200600_302600_NS6detail15normal_iteratorINS9_10device_ptrIsEEEESE_sNS9_4plusIsEEsEEDaPvRmT3_T4_T5_mT6_P12ihipStream_tbENKUlT_T0_E_clISt17integral_constantIbLb1EESU_EEDaSP_SQ_EUlSP_E0_NS1_11comp_targetILNS1_3genE3ELNS1_11target_archE908ELNS1_3gpuE7ELNS1_3repE0EEENS1_30default_config_static_selectorELNS0_4arch9wavefront6targetE1EEEvT1_,"axG",@progbits,_ZN7rocprim17ROCPRIM_400000_NS6detail17trampoline_kernelINS0_14default_configENS1_20scan_config_selectorIsEEZZNS1_9scan_implILNS1_25lookback_scan_determinismE0ELb0ELb1ES3_N6thrust23THRUST_200600_302600_NS6detail15normal_iteratorINS9_10device_ptrIsEEEESE_sNS9_4plusIsEEsEEDaPvRmT3_T4_T5_mT6_P12ihipStream_tbENKUlT_T0_E_clISt17integral_constantIbLb1EESU_EEDaSP_SQ_EUlSP_E0_NS1_11comp_targetILNS1_3genE3ELNS1_11target_archE908ELNS1_3gpuE7ELNS1_3repE0EEENS1_30default_config_static_selectorELNS0_4arch9wavefront6targetE1EEEvT1_,comdat
	.protected	_ZN7rocprim17ROCPRIM_400000_NS6detail17trampoline_kernelINS0_14default_configENS1_20scan_config_selectorIsEEZZNS1_9scan_implILNS1_25lookback_scan_determinismE0ELb0ELb1ES3_N6thrust23THRUST_200600_302600_NS6detail15normal_iteratorINS9_10device_ptrIsEEEESE_sNS9_4plusIsEEsEEDaPvRmT3_T4_T5_mT6_P12ihipStream_tbENKUlT_T0_E_clISt17integral_constantIbLb1EESU_EEDaSP_SQ_EUlSP_E0_NS1_11comp_targetILNS1_3genE3ELNS1_11target_archE908ELNS1_3gpuE7ELNS1_3repE0EEENS1_30default_config_static_selectorELNS0_4arch9wavefront6targetE1EEEvT1_ ; -- Begin function _ZN7rocprim17ROCPRIM_400000_NS6detail17trampoline_kernelINS0_14default_configENS1_20scan_config_selectorIsEEZZNS1_9scan_implILNS1_25lookback_scan_determinismE0ELb0ELb1ES3_N6thrust23THRUST_200600_302600_NS6detail15normal_iteratorINS9_10device_ptrIsEEEESE_sNS9_4plusIsEEsEEDaPvRmT3_T4_T5_mT6_P12ihipStream_tbENKUlT_T0_E_clISt17integral_constantIbLb1EESU_EEDaSP_SQ_EUlSP_E0_NS1_11comp_targetILNS1_3genE3ELNS1_11target_archE908ELNS1_3gpuE7ELNS1_3repE0EEENS1_30default_config_static_selectorELNS0_4arch9wavefront6targetE1EEEvT1_
	.globl	_ZN7rocprim17ROCPRIM_400000_NS6detail17trampoline_kernelINS0_14default_configENS1_20scan_config_selectorIsEEZZNS1_9scan_implILNS1_25lookback_scan_determinismE0ELb0ELb1ES3_N6thrust23THRUST_200600_302600_NS6detail15normal_iteratorINS9_10device_ptrIsEEEESE_sNS9_4plusIsEEsEEDaPvRmT3_T4_T5_mT6_P12ihipStream_tbENKUlT_T0_E_clISt17integral_constantIbLb1EESU_EEDaSP_SQ_EUlSP_E0_NS1_11comp_targetILNS1_3genE3ELNS1_11target_archE908ELNS1_3gpuE7ELNS1_3repE0EEENS1_30default_config_static_selectorELNS0_4arch9wavefront6targetE1EEEvT1_
	.p2align	8
	.type	_ZN7rocprim17ROCPRIM_400000_NS6detail17trampoline_kernelINS0_14default_configENS1_20scan_config_selectorIsEEZZNS1_9scan_implILNS1_25lookback_scan_determinismE0ELb0ELb1ES3_N6thrust23THRUST_200600_302600_NS6detail15normal_iteratorINS9_10device_ptrIsEEEESE_sNS9_4plusIsEEsEEDaPvRmT3_T4_T5_mT6_P12ihipStream_tbENKUlT_T0_E_clISt17integral_constantIbLb1EESU_EEDaSP_SQ_EUlSP_E0_NS1_11comp_targetILNS1_3genE3ELNS1_11target_archE908ELNS1_3gpuE7ELNS1_3repE0EEENS1_30default_config_static_selectorELNS0_4arch9wavefront6targetE1EEEvT1_,@function
_ZN7rocprim17ROCPRIM_400000_NS6detail17trampoline_kernelINS0_14default_configENS1_20scan_config_selectorIsEEZZNS1_9scan_implILNS1_25lookback_scan_determinismE0ELb0ELb1ES3_N6thrust23THRUST_200600_302600_NS6detail15normal_iteratorINS9_10device_ptrIsEEEESE_sNS9_4plusIsEEsEEDaPvRmT3_T4_T5_mT6_P12ihipStream_tbENKUlT_T0_E_clISt17integral_constantIbLb1EESU_EEDaSP_SQ_EUlSP_E0_NS1_11comp_targetILNS1_3genE3ELNS1_11target_archE908ELNS1_3gpuE7ELNS1_3repE0EEENS1_30default_config_static_selectorELNS0_4arch9wavefront6targetE1EEEvT1_: ; @_ZN7rocprim17ROCPRIM_400000_NS6detail17trampoline_kernelINS0_14default_configENS1_20scan_config_selectorIsEEZZNS1_9scan_implILNS1_25lookback_scan_determinismE0ELb0ELb1ES3_N6thrust23THRUST_200600_302600_NS6detail15normal_iteratorINS9_10device_ptrIsEEEESE_sNS9_4plusIsEEsEEDaPvRmT3_T4_T5_mT6_P12ihipStream_tbENKUlT_T0_E_clISt17integral_constantIbLb1EESU_EEDaSP_SQ_EUlSP_E0_NS1_11comp_targetILNS1_3genE3ELNS1_11target_archE908ELNS1_3gpuE7ELNS1_3repE0EEENS1_30default_config_static_selectorELNS0_4arch9wavefront6targetE1EEEvT1_
; %bb.0:
	.section	.rodata,"a",@progbits
	.p2align	6, 0x0
	.amdhsa_kernel _ZN7rocprim17ROCPRIM_400000_NS6detail17trampoline_kernelINS0_14default_configENS1_20scan_config_selectorIsEEZZNS1_9scan_implILNS1_25lookback_scan_determinismE0ELb0ELb1ES3_N6thrust23THRUST_200600_302600_NS6detail15normal_iteratorINS9_10device_ptrIsEEEESE_sNS9_4plusIsEEsEEDaPvRmT3_T4_T5_mT6_P12ihipStream_tbENKUlT_T0_E_clISt17integral_constantIbLb1EESU_EEDaSP_SQ_EUlSP_E0_NS1_11comp_targetILNS1_3genE3ELNS1_11target_archE908ELNS1_3gpuE7ELNS1_3repE0EEENS1_30default_config_static_selectorELNS0_4arch9wavefront6targetE1EEEvT1_
		.amdhsa_group_segment_fixed_size 0
		.amdhsa_private_segment_fixed_size 0
		.amdhsa_kernarg_size 32
		.amdhsa_user_sgpr_count 6
		.amdhsa_user_sgpr_private_segment_buffer 1
		.amdhsa_user_sgpr_dispatch_ptr 0
		.amdhsa_user_sgpr_queue_ptr 0
		.amdhsa_user_sgpr_kernarg_segment_ptr 1
		.amdhsa_user_sgpr_dispatch_id 0
		.amdhsa_user_sgpr_flat_scratch_init 0
		.amdhsa_user_sgpr_kernarg_preload_length 0
		.amdhsa_user_sgpr_kernarg_preload_offset 0
		.amdhsa_user_sgpr_private_segment_size 0
		.amdhsa_uses_dynamic_stack 0
		.amdhsa_system_sgpr_private_segment_wavefront_offset 0
		.amdhsa_system_sgpr_workgroup_id_x 1
		.amdhsa_system_sgpr_workgroup_id_y 0
		.amdhsa_system_sgpr_workgroup_id_z 0
		.amdhsa_system_sgpr_workgroup_info 0
		.amdhsa_system_vgpr_workitem_id 0
		.amdhsa_next_free_vgpr 1
		.amdhsa_next_free_sgpr 0
		.amdhsa_accum_offset 4
		.amdhsa_reserve_vcc 0
		.amdhsa_reserve_flat_scratch 0
		.amdhsa_float_round_mode_32 0
		.amdhsa_float_round_mode_16_64 0
		.amdhsa_float_denorm_mode_32 3
		.amdhsa_float_denorm_mode_16_64 3
		.amdhsa_dx10_clamp 1
		.amdhsa_ieee_mode 1
		.amdhsa_fp16_overflow 0
		.amdhsa_tg_split 0
		.amdhsa_exception_fp_ieee_invalid_op 0
		.amdhsa_exception_fp_denorm_src 0
		.amdhsa_exception_fp_ieee_div_zero 0
		.amdhsa_exception_fp_ieee_overflow 0
		.amdhsa_exception_fp_ieee_underflow 0
		.amdhsa_exception_fp_ieee_inexact 0
		.amdhsa_exception_int_div_zero 0
	.end_amdhsa_kernel
	.section	.text._ZN7rocprim17ROCPRIM_400000_NS6detail17trampoline_kernelINS0_14default_configENS1_20scan_config_selectorIsEEZZNS1_9scan_implILNS1_25lookback_scan_determinismE0ELb0ELb1ES3_N6thrust23THRUST_200600_302600_NS6detail15normal_iteratorINS9_10device_ptrIsEEEESE_sNS9_4plusIsEEsEEDaPvRmT3_T4_T5_mT6_P12ihipStream_tbENKUlT_T0_E_clISt17integral_constantIbLb1EESU_EEDaSP_SQ_EUlSP_E0_NS1_11comp_targetILNS1_3genE3ELNS1_11target_archE908ELNS1_3gpuE7ELNS1_3repE0EEENS1_30default_config_static_selectorELNS0_4arch9wavefront6targetE1EEEvT1_,"axG",@progbits,_ZN7rocprim17ROCPRIM_400000_NS6detail17trampoline_kernelINS0_14default_configENS1_20scan_config_selectorIsEEZZNS1_9scan_implILNS1_25lookback_scan_determinismE0ELb0ELb1ES3_N6thrust23THRUST_200600_302600_NS6detail15normal_iteratorINS9_10device_ptrIsEEEESE_sNS9_4plusIsEEsEEDaPvRmT3_T4_T5_mT6_P12ihipStream_tbENKUlT_T0_E_clISt17integral_constantIbLb1EESU_EEDaSP_SQ_EUlSP_E0_NS1_11comp_targetILNS1_3genE3ELNS1_11target_archE908ELNS1_3gpuE7ELNS1_3repE0EEENS1_30default_config_static_selectorELNS0_4arch9wavefront6targetE1EEEvT1_,comdat
.Lfunc_end1297:
	.size	_ZN7rocprim17ROCPRIM_400000_NS6detail17trampoline_kernelINS0_14default_configENS1_20scan_config_selectorIsEEZZNS1_9scan_implILNS1_25lookback_scan_determinismE0ELb0ELb1ES3_N6thrust23THRUST_200600_302600_NS6detail15normal_iteratorINS9_10device_ptrIsEEEESE_sNS9_4plusIsEEsEEDaPvRmT3_T4_T5_mT6_P12ihipStream_tbENKUlT_T0_E_clISt17integral_constantIbLb1EESU_EEDaSP_SQ_EUlSP_E0_NS1_11comp_targetILNS1_3genE3ELNS1_11target_archE908ELNS1_3gpuE7ELNS1_3repE0EEENS1_30default_config_static_selectorELNS0_4arch9wavefront6targetE1EEEvT1_, .Lfunc_end1297-_ZN7rocprim17ROCPRIM_400000_NS6detail17trampoline_kernelINS0_14default_configENS1_20scan_config_selectorIsEEZZNS1_9scan_implILNS1_25lookback_scan_determinismE0ELb0ELb1ES3_N6thrust23THRUST_200600_302600_NS6detail15normal_iteratorINS9_10device_ptrIsEEEESE_sNS9_4plusIsEEsEEDaPvRmT3_T4_T5_mT6_P12ihipStream_tbENKUlT_T0_E_clISt17integral_constantIbLb1EESU_EEDaSP_SQ_EUlSP_E0_NS1_11comp_targetILNS1_3genE3ELNS1_11target_archE908ELNS1_3gpuE7ELNS1_3repE0EEENS1_30default_config_static_selectorELNS0_4arch9wavefront6targetE1EEEvT1_
                                        ; -- End function
	.section	.AMDGPU.csdata,"",@progbits
; Kernel info:
; codeLenInByte = 0
; NumSgprs: 4
; NumVgprs: 0
; NumAgprs: 0
; TotalNumVgprs: 0
; ScratchSize: 0
; MemoryBound: 0
; FloatMode: 240
; IeeeMode: 1
; LDSByteSize: 0 bytes/workgroup (compile time only)
; SGPRBlocks: 0
; VGPRBlocks: 0
; NumSGPRsForWavesPerEU: 4
; NumVGPRsForWavesPerEU: 1
; AccumOffset: 4
; Occupancy: 8
; WaveLimiterHint : 0
; COMPUTE_PGM_RSRC2:SCRATCH_EN: 0
; COMPUTE_PGM_RSRC2:USER_SGPR: 6
; COMPUTE_PGM_RSRC2:TRAP_HANDLER: 0
; COMPUTE_PGM_RSRC2:TGID_X_EN: 1
; COMPUTE_PGM_RSRC2:TGID_Y_EN: 0
; COMPUTE_PGM_RSRC2:TGID_Z_EN: 0
; COMPUTE_PGM_RSRC2:TIDIG_COMP_CNT: 0
; COMPUTE_PGM_RSRC3_GFX90A:ACCUM_OFFSET: 0
; COMPUTE_PGM_RSRC3_GFX90A:TG_SPLIT: 0
	.section	.text._ZN7rocprim17ROCPRIM_400000_NS6detail17trampoline_kernelINS0_14default_configENS1_20scan_config_selectorIsEEZZNS1_9scan_implILNS1_25lookback_scan_determinismE0ELb0ELb1ES3_N6thrust23THRUST_200600_302600_NS6detail15normal_iteratorINS9_10device_ptrIsEEEESE_sNS9_4plusIsEEsEEDaPvRmT3_T4_T5_mT6_P12ihipStream_tbENKUlT_T0_E_clISt17integral_constantIbLb1EESU_EEDaSP_SQ_EUlSP_E0_NS1_11comp_targetILNS1_3genE2ELNS1_11target_archE906ELNS1_3gpuE6ELNS1_3repE0EEENS1_30default_config_static_selectorELNS0_4arch9wavefront6targetE1EEEvT1_,"axG",@progbits,_ZN7rocprim17ROCPRIM_400000_NS6detail17trampoline_kernelINS0_14default_configENS1_20scan_config_selectorIsEEZZNS1_9scan_implILNS1_25lookback_scan_determinismE0ELb0ELb1ES3_N6thrust23THRUST_200600_302600_NS6detail15normal_iteratorINS9_10device_ptrIsEEEESE_sNS9_4plusIsEEsEEDaPvRmT3_T4_T5_mT6_P12ihipStream_tbENKUlT_T0_E_clISt17integral_constantIbLb1EESU_EEDaSP_SQ_EUlSP_E0_NS1_11comp_targetILNS1_3genE2ELNS1_11target_archE906ELNS1_3gpuE6ELNS1_3repE0EEENS1_30default_config_static_selectorELNS0_4arch9wavefront6targetE1EEEvT1_,comdat
	.protected	_ZN7rocprim17ROCPRIM_400000_NS6detail17trampoline_kernelINS0_14default_configENS1_20scan_config_selectorIsEEZZNS1_9scan_implILNS1_25lookback_scan_determinismE0ELb0ELb1ES3_N6thrust23THRUST_200600_302600_NS6detail15normal_iteratorINS9_10device_ptrIsEEEESE_sNS9_4plusIsEEsEEDaPvRmT3_T4_T5_mT6_P12ihipStream_tbENKUlT_T0_E_clISt17integral_constantIbLb1EESU_EEDaSP_SQ_EUlSP_E0_NS1_11comp_targetILNS1_3genE2ELNS1_11target_archE906ELNS1_3gpuE6ELNS1_3repE0EEENS1_30default_config_static_selectorELNS0_4arch9wavefront6targetE1EEEvT1_ ; -- Begin function _ZN7rocprim17ROCPRIM_400000_NS6detail17trampoline_kernelINS0_14default_configENS1_20scan_config_selectorIsEEZZNS1_9scan_implILNS1_25lookback_scan_determinismE0ELb0ELb1ES3_N6thrust23THRUST_200600_302600_NS6detail15normal_iteratorINS9_10device_ptrIsEEEESE_sNS9_4plusIsEEsEEDaPvRmT3_T4_T5_mT6_P12ihipStream_tbENKUlT_T0_E_clISt17integral_constantIbLb1EESU_EEDaSP_SQ_EUlSP_E0_NS1_11comp_targetILNS1_3genE2ELNS1_11target_archE906ELNS1_3gpuE6ELNS1_3repE0EEENS1_30default_config_static_selectorELNS0_4arch9wavefront6targetE1EEEvT1_
	.globl	_ZN7rocprim17ROCPRIM_400000_NS6detail17trampoline_kernelINS0_14default_configENS1_20scan_config_selectorIsEEZZNS1_9scan_implILNS1_25lookback_scan_determinismE0ELb0ELb1ES3_N6thrust23THRUST_200600_302600_NS6detail15normal_iteratorINS9_10device_ptrIsEEEESE_sNS9_4plusIsEEsEEDaPvRmT3_T4_T5_mT6_P12ihipStream_tbENKUlT_T0_E_clISt17integral_constantIbLb1EESU_EEDaSP_SQ_EUlSP_E0_NS1_11comp_targetILNS1_3genE2ELNS1_11target_archE906ELNS1_3gpuE6ELNS1_3repE0EEENS1_30default_config_static_selectorELNS0_4arch9wavefront6targetE1EEEvT1_
	.p2align	8
	.type	_ZN7rocprim17ROCPRIM_400000_NS6detail17trampoline_kernelINS0_14default_configENS1_20scan_config_selectorIsEEZZNS1_9scan_implILNS1_25lookback_scan_determinismE0ELb0ELb1ES3_N6thrust23THRUST_200600_302600_NS6detail15normal_iteratorINS9_10device_ptrIsEEEESE_sNS9_4plusIsEEsEEDaPvRmT3_T4_T5_mT6_P12ihipStream_tbENKUlT_T0_E_clISt17integral_constantIbLb1EESU_EEDaSP_SQ_EUlSP_E0_NS1_11comp_targetILNS1_3genE2ELNS1_11target_archE906ELNS1_3gpuE6ELNS1_3repE0EEENS1_30default_config_static_selectorELNS0_4arch9wavefront6targetE1EEEvT1_,@function
_ZN7rocprim17ROCPRIM_400000_NS6detail17trampoline_kernelINS0_14default_configENS1_20scan_config_selectorIsEEZZNS1_9scan_implILNS1_25lookback_scan_determinismE0ELb0ELb1ES3_N6thrust23THRUST_200600_302600_NS6detail15normal_iteratorINS9_10device_ptrIsEEEESE_sNS9_4plusIsEEsEEDaPvRmT3_T4_T5_mT6_P12ihipStream_tbENKUlT_T0_E_clISt17integral_constantIbLb1EESU_EEDaSP_SQ_EUlSP_E0_NS1_11comp_targetILNS1_3genE2ELNS1_11target_archE906ELNS1_3gpuE6ELNS1_3repE0EEENS1_30default_config_static_selectorELNS0_4arch9wavefront6targetE1EEEvT1_: ; @_ZN7rocprim17ROCPRIM_400000_NS6detail17trampoline_kernelINS0_14default_configENS1_20scan_config_selectorIsEEZZNS1_9scan_implILNS1_25lookback_scan_determinismE0ELb0ELb1ES3_N6thrust23THRUST_200600_302600_NS6detail15normal_iteratorINS9_10device_ptrIsEEEESE_sNS9_4plusIsEEsEEDaPvRmT3_T4_T5_mT6_P12ihipStream_tbENKUlT_T0_E_clISt17integral_constantIbLb1EESU_EEDaSP_SQ_EUlSP_E0_NS1_11comp_targetILNS1_3genE2ELNS1_11target_archE906ELNS1_3gpuE6ELNS1_3repE0EEENS1_30default_config_static_selectorELNS0_4arch9wavefront6targetE1EEEvT1_
; %bb.0:
	.section	.rodata,"a",@progbits
	.p2align	6, 0x0
	.amdhsa_kernel _ZN7rocprim17ROCPRIM_400000_NS6detail17trampoline_kernelINS0_14default_configENS1_20scan_config_selectorIsEEZZNS1_9scan_implILNS1_25lookback_scan_determinismE0ELb0ELb1ES3_N6thrust23THRUST_200600_302600_NS6detail15normal_iteratorINS9_10device_ptrIsEEEESE_sNS9_4plusIsEEsEEDaPvRmT3_T4_T5_mT6_P12ihipStream_tbENKUlT_T0_E_clISt17integral_constantIbLb1EESU_EEDaSP_SQ_EUlSP_E0_NS1_11comp_targetILNS1_3genE2ELNS1_11target_archE906ELNS1_3gpuE6ELNS1_3repE0EEENS1_30default_config_static_selectorELNS0_4arch9wavefront6targetE1EEEvT1_
		.amdhsa_group_segment_fixed_size 0
		.amdhsa_private_segment_fixed_size 0
		.amdhsa_kernarg_size 32
		.amdhsa_user_sgpr_count 6
		.amdhsa_user_sgpr_private_segment_buffer 1
		.amdhsa_user_sgpr_dispatch_ptr 0
		.amdhsa_user_sgpr_queue_ptr 0
		.amdhsa_user_sgpr_kernarg_segment_ptr 1
		.amdhsa_user_sgpr_dispatch_id 0
		.amdhsa_user_sgpr_flat_scratch_init 0
		.amdhsa_user_sgpr_kernarg_preload_length 0
		.amdhsa_user_sgpr_kernarg_preload_offset 0
		.amdhsa_user_sgpr_private_segment_size 0
		.amdhsa_uses_dynamic_stack 0
		.amdhsa_system_sgpr_private_segment_wavefront_offset 0
		.amdhsa_system_sgpr_workgroup_id_x 1
		.amdhsa_system_sgpr_workgroup_id_y 0
		.amdhsa_system_sgpr_workgroup_id_z 0
		.amdhsa_system_sgpr_workgroup_info 0
		.amdhsa_system_vgpr_workitem_id 0
		.amdhsa_next_free_vgpr 1
		.amdhsa_next_free_sgpr 0
		.amdhsa_accum_offset 4
		.amdhsa_reserve_vcc 0
		.amdhsa_reserve_flat_scratch 0
		.amdhsa_float_round_mode_32 0
		.amdhsa_float_round_mode_16_64 0
		.amdhsa_float_denorm_mode_32 3
		.amdhsa_float_denorm_mode_16_64 3
		.amdhsa_dx10_clamp 1
		.amdhsa_ieee_mode 1
		.amdhsa_fp16_overflow 0
		.amdhsa_tg_split 0
		.amdhsa_exception_fp_ieee_invalid_op 0
		.amdhsa_exception_fp_denorm_src 0
		.amdhsa_exception_fp_ieee_div_zero 0
		.amdhsa_exception_fp_ieee_overflow 0
		.amdhsa_exception_fp_ieee_underflow 0
		.amdhsa_exception_fp_ieee_inexact 0
		.amdhsa_exception_int_div_zero 0
	.end_amdhsa_kernel
	.section	.text._ZN7rocprim17ROCPRIM_400000_NS6detail17trampoline_kernelINS0_14default_configENS1_20scan_config_selectorIsEEZZNS1_9scan_implILNS1_25lookback_scan_determinismE0ELb0ELb1ES3_N6thrust23THRUST_200600_302600_NS6detail15normal_iteratorINS9_10device_ptrIsEEEESE_sNS9_4plusIsEEsEEDaPvRmT3_T4_T5_mT6_P12ihipStream_tbENKUlT_T0_E_clISt17integral_constantIbLb1EESU_EEDaSP_SQ_EUlSP_E0_NS1_11comp_targetILNS1_3genE2ELNS1_11target_archE906ELNS1_3gpuE6ELNS1_3repE0EEENS1_30default_config_static_selectorELNS0_4arch9wavefront6targetE1EEEvT1_,"axG",@progbits,_ZN7rocprim17ROCPRIM_400000_NS6detail17trampoline_kernelINS0_14default_configENS1_20scan_config_selectorIsEEZZNS1_9scan_implILNS1_25lookback_scan_determinismE0ELb0ELb1ES3_N6thrust23THRUST_200600_302600_NS6detail15normal_iteratorINS9_10device_ptrIsEEEESE_sNS9_4plusIsEEsEEDaPvRmT3_T4_T5_mT6_P12ihipStream_tbENKUlT_T0_E_clISt17integral_constantIbLb1EESU_EEDaSP_SQ_EUlSP_E0_NS1_11comp_targetILNS1_3genE2ELNS1_11target_archE906ELNS1_3gpuE6ELNS1_3repE0EEENS1_30default_config_static_selectorELNS0_4arch9wavefront6targetE1EEEvT1_,comdat
.Lfunc_end1298:
	.size	_ZN7rocprim17ROCPRIM_400000_NS6detail17trampoline_kernelINS0_14default_configENS1_20scan_config_selectorIsEEZZNS1_9scan_implILNS1_25lookback_scan_determinismE0ELb0ELb1ES3_N6thrust23THRUST_200600_302600_NS6detail15normal_iteratorINS9_10device_ptrIsEEEESE_sNS9_4plusIsEEsEEDaPvRmT3_T4_T5_mT6_P12ihipStream_tbENKUlT_T0_E_clISt17integral_constantIbLb1EESU_EEDaSP_SQ_EUlSP_E0_NS1_11comp_targetILNS1_3genE2ELNS1_11target_archE906ELNS1_3gpuE6ELNS1_3repE0EEENS1_30default_config_static_selectorELNS0_4arch9wavefront6targetE1EEEvT1_, .Lfunc_end1298-_ZN7rocprim17ROCPRIM_400000_NS6detail17trampoline_kernelINS0_14default_configENS1_20scan_config_selectorIsEEZZNS1_9scan_implILNS1_25lookback_scan_determinismE0ELb0ELb1ES3_N6thrust23THRUST_200600_302600_NS6detail15normal_iteratorINS9_10device_ptrIsEEEESE_sNS9_4plusIsEEsEEDaPvRmT3_T4_T5_mT6_P12ihipStream_tbENKUlT_T0_E_clISt17integral_constantIbLb1EESU_EEDaSP_SQ_EUlSP_E0_NS1_11comp_targetILNS1_3genE2ELNS1_11target_archE906ELNS1_3gpuE6ELNS1_3repE0EEENS1_30default_config_static_selectorELNS0_4arch9wavefront6targetE1EEEvT1_
                                        ; -- End function
	.section	.AMDGPU.csdata,"",@progbits
; Kernel info:
; codeLenInByte = 0
; NumSgprs: 4
; NumVgprs: 0
; NumAgprs: 0
; TotalNumVgprs: 0
; ScratchSize: 0
; MemoryBound: 0
; FloatMode: 240
; IeeeMode: 1
; LDSByteSize: 0 bytes/workgroup (compile time only)
; SGPRBlocks: 0
; VGPRBlocks: 0
; NumSGPRsForWavesPerEU: 4
; NumVGPRsForWavesPerEU: 1
; AccumOffset: 4
; Occupancy: 8
; WaveLimiterHint : 0
; COMPUTE_PGM_RSRC2:SCRATCH_EN: 0
; COMPUTE_PGM_RSRC2:USER_SGPR: 6
; COMPUTE_PGM_RSRC2:TRAP_HANDLER: 0
; COMPUTE_PGM_RSRC2:TGID_X_EN: 1
; COMPUTE_PGM_RSRC2:TGID_Y_EN: 0
; COMPUTE_PGM_RSRC2:TGID_Z_EN: 0
; COMPUTE_PGM_RSRC2:TIDIG_COMP_CNT: 0
; COMPUTE_PGM_RSRC3_GFX90A:ACCUM_OFFSET: 0
; COMPUTE_PGM_RSRC3_GFX90A:TG_SPLIT: 0
	.section	.text._ZN7rocprim17ROCPRIM_400000_NS6detail17trampoline_kernelINS0_14default_configENS1_20scan_config_selectorIsEEZZNS1_9scan_implILNS1_25lookback_scan_determinismE0ELb0ELb1ES3_N6thrust23THRUST_200600_302600_NS6detail15normal_iteratorINS9_10device_ptrIsEEEESE_sNS9_4plusIsEEsEEDaPvRmT3_T4_T5_mT6_P12ihipStream_tbENKUlT_T0_E_clISt17integral_constantIbLb1EESU_EEDaSP_SQ_EUlSP_E0_NS1_11comp_targetILNS1_3genE10ELNS1_11target_archE1201ELNS1_3gpuE5ELNS1_3repE0EEENS1_30default_config_static_selectorELNS0_4arch9wavefront6targetE1EEEvT1_,"axG",@progbits,_ZN7rocprim17ROCPRIM_400000_NS6detail17trampoline_kernelINS0_14default_configENS1_20scan_config_selectorIsEEZZNS1_9scan_implILNS1_25lookback_scan_determinismE0ELb0ELb1ES3_N6thrust23THRUST_200600_302600_NS6detail15normal_iteratorINS9_10device_ptrIsEEEESE_sNS9_4plusIsEEsEEDaPvRmT3_T4_T5_mT6_P12ihipStream_tbENKUlT_T0_E_clISt17integral_constantIbLb1EESU_EEDaSP_SQ_EUlSP_E0_NS1_11comp_targetILNS1_3genE10ELNS1_11target_archE1201ELNS1_3gpuE5ELNS1_3repE0EEENS1_30default_config_static_selectorELNS0_4arch9wavefront6targetE1EEEvT1_,comdat
	.protected	_ZN7rocprim17ROCPRIM_400000_NS6detail17trampoline_kernelINS0_14default_configENS1_20scan_config_selectorIsEEZZNS1_9scan_implILNS1_25lookback_scan_determinismE0ELb0ELb1ES3_N6thrust23THRUST_200600_302600_NS6detail15normal_iteratorINS9_10device_ptrIsEEEESE_sNS9_4plusIsEEsEEDaPvRmT3_T4_T5_mT6_P12ihipStream_tbENKUlT_T0_E_clISt17integral_constantIbLb1EESU_EEDaSP_SQ_EUlSP_E0_NS1_11comp_targetILNS1_3genE10ELNS1_11target_archE1201ELNS1_3gpuE5ELNS1_3repE0EEENS1_30default_config_static_selectorELNS0_4arch9wavefront6targetE1EEEvT1_ ; -- Begin function _ZN7rocprim17ROCPRIM_400000_NS6detail17trampoline_kernelINS0_14default_configENS1_20scan_config_selectorIsEEZZNS1_9scan_implILNS1_25lookback_scan_determinismE0ELb0ELb1ES3_N6thrust23THRUST_200600_302600_NS6detail15normal_iteratorINS9_10device_ptrIsEEEESE_sNS9_4plusIsEEsEEDaPvRmT3_T4_T5_mT6_P12ihipStream_tbENKUlT_T0_E_clISt17integral_constantIbLb1EESU_EEDaSP_SQ_EUlSP_E0_NS1_11comp_targetILNS1_3genE10ELNS1_11target_archE1201ELNS1_3gpuE5ELNS1_3repE0EEENS1_30default_config_static_selectorELNS0_4arch9wavefront6targetE1EEEvT1_
	.globl	_ZN7rocprim17ROCPRIM_400000_NS6detail17trampoline_kernelINS0_14default_configENS1_20scan_config_selectorIsEEZZNS1_9scan_implILNS1_25lookback_scan_determinismE0ELb0ELb1ES3_N6thrust23THRUST_200600_302600_NS6detail15normal_iteratorINS9_10device_ptrIsEEEESE_sNS9_4plusIsEEsEEDaPvRmT3_T4_T5_mT6_P12ihipStream_tbENKUlT_T0_E_clISt17integral_constantIbLb1EESU_EEDaSP_SQ_EUlSP_E0_NS1_11comp_targetILNS1_3genE10ELNS1_11target_archE1201ELNS1_3gpuE5ELNS1_3repE0EEENS1_30default_config_static_selectorELNS0_4arch9wavefront6targetE1EEEvT1_
	.p2align	8
	.type	_ZN7rocprim17ROCPRIM_400000_NS6detail17trampoline_kernelINS0_14default_configENS1_20scan_config_selectorIsEEZZNS1_9scan_implILNS1_25lookback_scan_determinismE0ELb0ELb1ES3_N6thrust23THRUST_200600_302600_NS6detail15normal_iteratorINS9_10device_ptrIsEEEESE_sNS9_4plusIsEEsEEDaPvRmT3_T4_T5_mT6_P12ihipStream_tbENKUlT_T0_E_clISt17integral_constantIbLb1EESU_EEDaSP_SQ_EUlSP_E0_NS1_11comp_targetILNS1_3genE10ELNS1_11target_archE1201ELNS1_3gpuE5ELNS1_3repE0EEENS1_30default_config_static_selectorELNS0_4arch9wavefront6targetE1EEEvT1_,@function
_ZN7rocprim17ROCPRIM_400000_NS6detail17trampoline_kernelINS0_14default_configENS1_20scan_config_selectorIsEEZZNS1_9scan_implILNS1_25lookback_scan_determinismE0ELb0ELb1ES3_N6thrust23THRUST_200600_302600_NS6detail15normal_iteratorINS9_10device_ptrIsEEEESE_sNS9_4plusIsEEsEEDaPvRmT3_T4_T5_mT6_P12ihipStream_tbENKUlT_T0_E_clISt17integral_constantIbLb1EESU_EEDaSP_SQ_EUlSP_E0_NS1_11comp_targetILNS1_3genE10ELNS1_11target_archE1201ELNS1_3gpuE5ELNS1_3repE0EEENS1_30default_config_static_selectorELNS0_4arch9wavefront6targetE1EEEvT1_: ; @_ZN7rocprim17ROCPRIM_400000_NS6detail17trampoline_kernelINS0_14default_configENS1_20scan_config_selectorIsEEZZNS1_9scan_implILNS1_25lookback_scan_determinismE0ELb0ELb1ES3_N6thrust23THRUST_200600_302600_NS6detail15normal_iteratorINS9_10device_ptrIsEEEESE_sNS9_4plusIsEEsEEDaPvRmT3_T4_T5_mT6_P12ihipStream_tbENKUlT_T0_E_clISt17integral_constantIbLb1EESU_EEDaSP_SQ_EUlSP_E0_NS1_11comp_targetILNS1_3genE10ELNS1_11target_archE1201ELNS1_3gpuE5ELNS1_3repE0EEENS1_30default_config_static_selectorELNS0_4arch9wavefront6targetE1EEEvT1_
; %bb.0:
	.section	.rodata,"a",@progbits
	.p2align	6, 0x0
	.amdhsa_kernel _ZN7rocprim17ROCPRIM_400000_NS6detail17trampoline_kernelINS0_14default_configENS1_20scan_config_selectorIsEEZZNS1_9scan_implILNS1_25lookback_scan_determinismE0ELb0ELb1ES3_N6thrust23THRUST_200600_302600_NS6detail15normal_iteratorINS9_10device_ptrIsEEEESE_sNS9_4plusIsEEsEEDaPvRmT3_T4_T5_mT6_P12ihipStream_tbENKUlT_T0_E_clISt17integral_constantIbLb1EESU_EEDaSP_SQ_EUlSP_E0_NS1_11comp_targetILNS1_3genE10ELNS1_11target_archE1201ELNS1_3gpuE5ELNS1_3repE0EEENS1_30default_config_static_selectorELNS0_4arch9wavefront6targetE1EEEvT1_
		.amdhsa_group_segment_fixed_size 0
		.amdhsa_private_segment_fixed_size 0
		.amdhsa_kernarg_size 32
		.amdhsa_user_sgpr_count 6
		.amdhsa_user_sgpr_private_segment_buffer 1
		.amdhsa_user_sgpr_dispatch_ptr 0
		.amdhsa_user_sgpr_queue_ptr 0
		.amdhsa_user_sgpr_kernarg_segment_ptr 1
		.amdhsa_user_sgpr_dispatch_id 0
		.amdhsa_user_sgpr_flat_scratch_init 0
		.amdhsa_user_sgpr_kernarg_preload_length 0
		.amdhsa_user_sgpr_kernarg_preload_offset 0
		.amdhsa_user_sgpr_private_segment_size 0
		.amdhsa_uses_dynamic_stack 0
		.amdhsa_system_sgpr_private_segment_wavefront_offset 0
		.amdhsa_system_sgpr_workgroup_id_x 1
		.amdhsa_system_sgpr_workgroup_id_y 0
		.amdhsa_system_sgpr_workgroup_id_z 0
		.amdhsa_system_sgpr_workgroup_info 0
		.amdhsa_system_vgpr_workitem_id 0
		.amdhsa_next_free_vgpr 1
		.amdhsa_next_free_sgpr 0
		.amdhsa_accum_offset 4
		.amdhsa_reserve_vcc 0
		.amdhsa_reserve_flat_scratch 0
		.amdhsa_float_round_mode_32 0
		.amdhsa_float_round_mode_16_64 0
		.amdhsa_float_denorm_mode_32 3
		.amdhsa_float_denorm_mode_16_64 3
		.amdhsa_dx10_clamp 1
		.amdhsa_ieee_mode 1
		.amdhsa_fp16_overflow 0
		.amdhsa_tg_split 0
		.amdhsa_exception_fp_ieee_invalid_op 0
		.amdhsa_exception_fp_denorm_src 0
		.amdhsa_exception_fp_ieee_div_zero 0
		.amdhsa_exception_fp_ieee_overflow 0
		.amdhsa_exception_fp_ieee_underflow 0
		.amdhsa_exception_fp_ieee_inexact 0
		.amdhsa_exception_int_div_zero 0
	.end_amdhsa_kernel
	.section	.text._ZN7rocprim17ROCPRIM_400000_NS6detail17trampoline_kernelINS0_14default_configENS1_20scan_config_selectorIsEEZZNS1_9scan_implILNS1_25lookback_scan_determinismE0ELb0ELb1ES3_N6thrust23THRUST_200600_302600_NS6detail15normal_iteratorINS9_10device_ptrIsEEEESE_sNS9_4plusIsEEsEEDaPvRmT3_T4_T5_mT6_P12ihipStream_tbENKUlT_T0_E_clISt17integral_constantIbLb1EESU_EEDaSP_SQ_EUlSP_E0_NS1_11comp_targetILNS1_3genE10ELNS1_11target_archE1201ELNS1_3gpuE5ELNS1_3repE0EEENS1_30default_config_static_selectorELNS0_4arch9wavefront6targetE1EEEvT1_,"axG",@progbits,_ZN7rocprim17ROCPRIM_400000_NS6detail17trampoline_kernelINS0_14default_configENS1_20scan_config_selectorIsEEZZNS1_9scan_implILNS1_25lookback_scan_determinismE0ELb0ELb1ES3_N6thrust23THRUST_200600_302600_NS6detail15normal_iteratorINS9_10device_ptrIsEEEESE_sNS9_4plusIsEEsEEDaPvRmT3_T4_T5_mT6_P12ihipStream_tbENKUlT_T0_E_clISt17integral_constantIbLb1EESU_EEDaSP_SQ_EUlSP_E0_NS1_11comp_targetILNS1_3genE10ELNS1_11target_archE1201ELNS1_3gpuE5ELNS1_3repE0EEENS1_30default_config_static_selectorELNS0_4arch9wavefront6targetE1EEEvT1_,comdat
.Lfunc_end1299:
	.size	_ZN7rocprim17ROCPRIM_400000_NS6detail17trampoline_kernelINS0_14default_configENS1_20scan_config_selectorIsEEZZNS1_9scan_implILNS1_25lookback_scan_determinismE0ELb0ELb1ES3_N6thrust23THRUST_200600_302600_NS6detail15normal_iteratorINS9_10device_ptrIsEEEESE_sNS9_4plusIsEEsEEDaPvRmT3_T4_T5_mT6_P12ihipStream_tbENKUlT_T0_E_clISt17integral_constantIbLb1EESU_EEDaSP_SQ_EUlSP_E0_NS1_11comp_targetILNS1_3genE10ELNS1_11target_archE1201ELNS1_3gpuE5ELNS1_3repE0EEENS1_30default_config_static_selectorELNS0_4arch9wavefront6targetE1EEEvT1_, .Lfunc_end1299-_ZN7rocprim17ROCPRIM_400000_NS6detail17trampoline_kernelINS0_14default_configENS1_20scan_config_selectorIsEEZZNS1_9scan_implILNS1_25lookback_scan_determinismE0ELb0ELb1ES3_N6thrust23THRUST_200600_302600_NS6detail15normal_iteratorINS9_10device_ptrIsEEEESE_sNS9_4plusIsEEsEEDaPvRmT3_T4_T5_mT6_P12ihipStream_tbENKUlT_T0_E_clISt17integral_constantIbLb1EESU_EEDaSP_SQ_EUlSP_E0_NS1_11comp_targetILNS1_3genE10ELNS1_11target_archE1201ELNS1_3gpuE5ELNS1_3repE0EEENS1_30default_config_static_selectorELNS0_4arch9wavefront6targetE1EEEvT1_
                                        ; -- End function
	.section	.AMDGPU.csdata,"",@progbits
; Kernel info:
; codeLenInByte = 0
; NumSgprs: 4
; NumVgprs: 0
; NumAgprs: 0
; TotalNumVgprs: 0
; ScratchSize: 0
; MemoryBound: 0
; FloatMode: 240
; IeeeMode: 1
; LDSByteSize: 0 bytes/workgroup (compile time only)
; SGPRBlocks: 0
; VGPRBlocks: 0
; NumSGPRsForWavesPerEU: 4
; NumVGPRsForWavesPerEU: 1
; AccumOffset: 4
; Occupancy: 8
; WaveLimiterHint : 0
; COMPUTE_PGM_RSRC2:SCRATCH_EN: 0
; COMPUTE_PGM_RSRC2:USER_SGPR: 6
; COMPUTE_PGM_RSRC2:TRAP_HANDLER: 0
; COMPUTE_PGM_RSRC2:TGID_X_EN: 1
; COMPUTE_PGM_RSRC2:TGID_Y_EN: 0
; COMPUTE_PGM_RSRC2:TGID_Z_EN: 0
; COMPUTE_PGM_RSRC2:TIDIG_COMP_CNT: 0
; COMPUTE_PGM_RSRC3_GFX90A:ACCUM_OFFSET: 0
; COMPUTE_PGM_RSRC3_GFX90A:TG_SPLIT: 0
	.section	.text._ZN7rocprim17ROCPRIM_400000_NS6detail17trampoline_kernelINS0_14default_configENS1_20scan_config_selectorIsEEZZNS1_9scan_implILNS1_25lookback_scan_determinismE0ELb0ELb1ES3_N6thrust23THRUST_200600_302600_NS6detail15normal_iteratorINS9_10device_ptrIsEEEESE_sNS9_4plusIsEEsEEDaPvRmT3_T4_T5_mT6_P12ihipStream_tbENKUlT_T0_E_clISt17integral_constantIbLb1EESU_EEDaSP_SQ_EUlSP_E0_NS1_11comp_targetILNS1_3genE10ELNS1_11target_archE1200ELNS1_3gpuE4ELNS1_3repE0EEENS1_30default_config_static_selectorELNS0_4arch9wavefront6targetE1EEEvT1_,"axG",@progbits,_ZN7rocprim17ROCPRIM_400000_NS6detail17trampoline_kernelINS0_14default_configENS1_20scan_config_selectorIsEEZZNS1_9scan_implILNS1_25lookback_scan_determinismE0ELb0ELb1ES3_N6thrust23THRUST_200600_302600_NS6detail15normal_iteratorINS9_10device_ptrIsEEEESE_sNS9_4plusIsEEsEEDaPvRmT3_T4_T5_mT6_P12ihipStream_tbENKUlT_T0_E_clISt17integral_constantIbLb1EESU_EEDaSP_SQ_EUlSP_E0_NS1_11comp_targetILNS1_3genE10ELNS1_11target_archE1200ELNS1_3gpuE4ELNS1_3repE0EEENS1_30default_config_static_selectorELNS0_4arch9wavefront6targetE1EEEvT1_,comdat
	.protected	_ZN7rocprim17ROCPRIM_400000_NS6detail17trampoline_kernelINS0_14default_configENS1_20scan_config_selectorIsEEZZNS1_9scan_implILNS1_25lookback_scan_determinismE0ELb0ELb1ES3_N6thrust23THRUST_200600_302600_NS6detail15normal_iteratorINS9_10device_ptrIsEEEESE_sNS9_4plusIsEEsEEDaPvRmT3_T4_T5_mT6_P12ihipStream_tbENKUlT_T0_E_clISt17integral_constantIbLb1EESU_EEDaSP_SQ_EUlSP_E0_NS1_11comp_targetILNS1_3genE10ELNS1_11target_archE1200ELNS1_3gpuE4ELNS1_3repE0EEENS1_30default_config_static_selectorELNS0_4arch9wavefront6targetE1EEEvT1_ ; -- Begin function _ZN7rocprim17ROCPRIM_400000_NS6detail17trampoline_kernelINS0_14default_configENS1_20scan_config_selectorIsEEZZNS1_9scan_implILNS1_25lookback_scan_determinismE0ELb0ELb1ES3_N6thrust23THRUST_200600_302600_NS6detail15normal_iteratorINS9_10device_ptrIsEEEESE_sNS9_4plusIsEEsEEDaPvRmT3_T4_T5_mT6_P12ihipStream_tbENKUlT_T0_E_clISt17integral_constantIbLb1EESU_EEDaSP_SQ_EUlSP_E0_NS1_11comp_targetILNS1_3genE10ELNS1_11target_archE1200ELNS1_3gpuE4ELNS1_3repE0EEENS1_30default_config_static_selectorELNS0_4arch9wavefront6targetE1EEEvT1_
	.globl	_ZN7rocprim17ROCPRIM_400000_NS6detail17trampoline_kernelINS0_14default_configENS1_20scan_config_selectorIsEEZZNS1_9scan_implILNS1_25lookback_scan_determinismE0ELb0ELb1ES3_N6thrust23THRUST_200600_302600_NS6detail15normal_iteratorINS9_10device_ptrIsEEEESE_sNS9_4plusIsEEsEEDaPvRmT3_T4_T5_mT6_P12ihipStream_tbENKUlT_T0_E_clISt17integral_constantIbLb1EESU_EEDaSP_SQ_EUlSP_E0_NS1_11comp_targetILNS1_3genE10ELNS1_11target_archE1200ELNS1_3gpuE4ELNS1_3repE0EEENS1_30default_config_static_selectorELNS0_4arch9wavefront6targetE1EEEvT1_
	.p2align	8
	.type	_ZN7rocprim17ROCPRIM_400000_NS6detail17trampoline_kernelINS0_14default_configENS1_20scan_config_selectorIsEEZZNS1_9scan_implILNS1_25lookback_scan_determinismE0ELb0ELb1ES3_N6thrust23THRUST_200600_302600_NS6detail15normal_iteratorINS9_10device_ptrIsEEEESE_sNS9_4plusIsEEsEEDaPvRmT3_T4_T5_mT6_P12ihipStream_tbENKUlT_T0_E_clISt17integral_constantIbLb1EESU_EEDaSP_SQ_EUlSP_E0_NS1_11comp_targetILNS1_3genE10ELNS1_11target_archE1200ELNS1_3gpuE4ELNS1_3repE0EEENS1_30default_config_static_selectorELNS0_4arch9wavefront6targetE1EEEvT1_,@function
_ZN7rocprim17ROCPRIM_400000_NS6detail17trampoline_kernelINS0_14default_configENS1_20scan_config_selectorIsEEZZNS1_9scan_implILNS1_25lookback_scan_determinismE0ELb0ELb1ES3_N6thrust23THRUST_200600_302600_NS6detail15normal_iteratorINS9_10device_ptrIsEEEESE_sNS9_4plusIsEEsEEDaPvRmT3_T4_T5_mT6_P12ihipStream_tbENKUlT_T0_E_clISt17integral_constantIbLb1EESU_EEDaSP_SQ_EUlSP_E0_NS1_11comp_targetILNS1_3genE10ELNS1_11target_archE1200ELNS1_3gpuE4ELNS1_3repE0EEENS1_30default_config_static_selectorELNS0_4arch9wavefront6targetE1EEEvT1_: ; @_ZN7rocprim17ROCPRIM_400000_NS6detail17trampoline_kernelINS0_14default_configENS1_20scan_config_selectorIsEEZZNS1_9scan_implILNS1_25lookback_scan_determinismE0ELb0ELb1ES3_N6thrust23THRUST_200600_302600_NS6detail15normal_iteratorINS9_10device_ptrIsEEEESE_sNS9_4plusIsEEsEEDaPvRmT3_T4_T5_mT6_P12ihipStream_tbENKUlT_T0_E_clISt17integral_constantIbLb1EESU_EEDaSP_SQ_EUlSP_E0_NS1_11comp_targetILNS1_3genE10ELNS1_11target_archE1200ELNS1_3gpuE4ELNS1_3repE0EEENS1_30default_config_static_selectorELNS0_4arch9wavefront6targetE1EEEvT1_
; %bb.0:
	.section	.rodata,"a",@progbits
	.p2align	6, 0x0
	.amdhsa_kernel _ZN7rocprim17ROCPRIM_400000_NS6detail17trampoline_kernelINS0_14default_configENS1_20scan_config_selectorIsEEZZNS1_9scan_implILNS1_25lookback_scan_determinismE0ELb0ELb1ES3_N6thrust23THRUST_200600_302600_NS6detail15normal_iteratorINS9_10device_ptrIsEEEESE_sNS9_4plusIsEEsEEDaPvRmT3_T4_T5_mT6_P12ihipStream_tbENKUlT_T0_E_clISt17integral_constantIbLb1EESU_EEDaSP_SQ_EUlSP_E0_NS1_11comp_targetILNS1_3genE10ELNS1_11target_archE1200ELNS1_3gpuE4ELNS1_3repE0EEENS1_30default_config_static_selectorELNS0_4arch9wavefront6targetE1EEEvT1_
		.amdhsa_group_segment_fixed_size 0
		.amdhsa_private_segment_fixed_size 0
		.amdhsa_kernarg_size 32
		.amdhsa_user_sgpr_count 6
		.amdhsa_user_sgpr_private_segment_buffer 1
		.amdhsa_user_sgpr_dispatch_ptr 0
		.amdhsa_user_sgpr_queue_ptr 0
		.amdhsa_user_sgpr_kernarg_segment_ptr 1
		.amdhsa_user_sgpr_dispatch_id 0
		.amdhsa_user_sgpr_flat_scratch_init 0
		.amdhsa_user_sgpr_kernarg_preload_length 0
		.amdhsa_user_sgpr_kernarg_preload_offset 0
		.amdhsa_user_sgpr_private_segment_size 0
		.amdhsa_uses_dynamic_stack 0
		.amdhsa_system_sgpr_private_segment_wavefront_offset 0
		.amdhsa_system_sgpr_workgroup_id_x 1
		.amdhsa_system_sgpr_workgroup_id_y 0
		.amdhsa_system_sgpr_workgroup_id_z 0
		.amdhsa_system_sgpr_workgroup_info 0
		.amdhsa_system_vgpr_workitem_id 0
		.amdhsa_next_free_vgpr 1
		.amdhsa_next_free_sgpr 0
		.amdhsa_accum_offset 4
		.amdhsa_reserve_vcc 0
		.amdhsa_reserve_flat_scratch 0
		.amdhsa_float_round_mode_32 0
		.amdhsa_float_round_mode_16_64 0
		.amdhsa_float_denorm_mode_32 3
		.amdhsa_float_denorm_mode_16_64 3
		.amdhsa_dx10_clamp 1
		.amdhsa_ieee_mode 1
		.amdhsa_fp16_overflow 0
		.amdhsa_tg_split 0
		.amdhsa_exception_fp_ieee_invalid_op 0
		.amdhsa_exception_fp_denorm_src 0
		.amdhsa_exception_fp_ieee_div_zero 0
		.amdhsa_exception_fp_ieee_overflow 0
		.amdhsa_exception_fp_ieee_underflow 0
		.amdhsa_exception_fp_ieee_inexact 0
		.amdhsa_exception_int_div_zero 0
	.end_amdhsa_kernel
	.section	.text._ZN7rocprim17ROCPRIM_400000_NS6detail17trampoline_kernelINS0_14default_configENS1_20scan_config_selectorIsEEZZNS1_9scan_implILNS1_25lookback_scan_determinismE0ELb0ELb1ES3_N6thrust23THRUST_200600_302600_NS6detail15normal_iteratorINS9_10device_ptrIsEEEESE_sNS9_4plusIsEEsEEDaPvRmT3_T4_T5_mT6_P12ihipStream_tbENKUlT_T0_E_clISt17integral_constantIbLb1EESU_EEDaSP_SQ_EUlSP_E0_NS1_11comp_targetILNS1_3genE10ELNS1_11target_archE1200ELNS1_3gpuE4ELNS1_3repE0EEENS1_30default_config_static_selectorELNS0_4arch9wavefront6targetE1EEEvT1_,"axG",@progbits,_ZN7rocprim17ROCPRIM_400000_NS6detail17trampoline_kernelINS0_14default_configENS1_20scan_config_selectorIsEEZZNS1_9scan_implILNS1_25lookback_scan_determinismE0ELb0ELb1ES3_N6thrust23THRUST_200600_302600_NS6detail15normal_iteratorINS9_10device_ptrIsEEEESE_sNS9_4plusIsEEsEEDaPvRmT3_T4_T5_mT6_P12ihipStream_tbENKUlT_T0_E_clISt17integral_constantIbLb1EESU_EEDaSP_SQ_EUlSP_E0_NS1_11comp_targetILNS1_3genE10ELNS1_11target_archE1200ELNS1_3gpuE4ELNS1_3repE0EEENS1_30default_config_static_selectorELNS0_4arch9wavefront6targetE1EEEvT1_,comdat
.Lfunc_end1300:
	.size	_ZN7rocprim17ROCPRIM_400000_NS6detail17trampoline_kernelINS0_14default_configENS1_20scan_config_selectorIsEEZZNS1_9scan_implILNS1_25lookback_scan_determinismE0ELb0ELb1ES3_N6thrust23THRUST_200600_302600_NS6detail15normal_iteratorINS9_10device_ptrIsEEEESE_sNS9_4plusIsEEsEEDaPvRmT3_T4_T5_mT6_P12ihipStream_tbENKUlT_T0_E_clISt17integral_constantIbLb1EESU_EEDaSP_SQ_EUlSP_E0_NS1_11comp_targetILNS1_3genE10ELNS1_11target_archE1200ELNS1_3gpuE4ELNS1_3repE0EEENS1_30default_config_static_selectorELNS0_4arch9wavefront6targetE1EEEvT1_, .Lfunc_end1300-_ZN7rocprim17ROCPRIM_400000_NS6detail17trampoline_kernelINS0_14default_configENS1_20scan_config_selectorIsEEZZNS1_9scan_implILNS1_25lookback_scan_determinismE0ELb0ELb1ES3_N6thrust23THRUST_200600_302600_NS6detail15normal_iteratorINS9_10device_ptrIsEEEESE_sNS9_4plusIsEEsEEDaPvRmT3_T4_T5_mT6_P12ihipStream_tbENKUlT_T0_E_clISt17integral_constantIbLb1EESU_EEDaSP_SQ_EUlSP_E0_NS1_11comp_targetILNS1_3genE10ELNS1_11target_archE1200ELNS1_3gpuE4ELNS1_3repE0EEENS1_30default_config_static_selectorELNS0_4arch9wavefront6targetE1EEEvT1_
                                        ; -- End function
	.section	.AMDGPU.csdata,"",@progbits
; Kernel info:
; codeLenInByte = 0
; NumSgprs: 4
; NumVgprs: 0
; NumAgprs: 0
; TotalNumVgprs: 0
; ScratchSize: 0
; MemoryBound: 0
; FloatMode: 240
; IeeeMode: 1
; LDSByteSize: 0 bytes/workgroup (compile time only)
; SGPRBlocks: 0
; VGPRBlocks: 0
; NumSGPRsForWavesPerEU: 4
; NumVGPRsForWavesPerEU: 1
; AccumOffset: 4
; Occupancy: 8
; WaveLimiterHint : 0
; COMPUTE_PGM_RSRC2:SCRATCH_EN: 0
; COMPUTE_PGM_RSRC2:USER_SGPR: 6
; COMPUTE_PGM_RSRC2:TRAP_HANDLER: 0
; COMPUTE_PGM_RSRC2:TGID_X_EN: 1
; COMPUTE_PGM_RSRC2:TGID_Y_EN: 0
; COMPUTE_PGM_RSRC2:TGID_Z_EN: 0
; COMPUTE_PGM_RSRC2:TIDIG_COMP_CNT: 0
; COMPUTE_PGM_RSRC3_GFX90A:ACCUM_OFFSET: 0
; COMPUTE_PGM_RSRC3_GFX90A:TG_SPLIT: 0
	.section	.text._ZN7rocprim17ROCPRIM_400000_NS6detail17trampoline_kernelINS0_14default_configENS1_20scan_config_selectorIsEEZZNS1_9scan_implILNS1_25lookback_scan_determinismE0ELb0ELb1ES3_N6thrust23THRUST_200600_302600_NS6detail15normal_iteratorINS9_10device_ptrIsEEEESE_sNS9_4plusIsEEsEEDaPvRmT3_T4_T5_mT6_P12ihipStream_tbENKUlT_T0_E_clISt17integral_constantIbLb1EESU_EEDaSP_SQ_EUlSP_E0_NS1_11comp_targetILNS1_3genE9ELNS1_11target_archE1100ELNS1_3gpuE3ELNS1_3repE0EEENS1_30default_config_static_selectorELNS0_4arch9wavefront6targetE1EEEvT1_,"axG",@progbits,_ZN7rocprim17ROCPRIM_400000_NS6detail17trampoline_kernelINS0_14default_configENS1_20scan_config_selectorIsEEZZNS1_9scan_implILNS1_25lookback_scan_determinismE0ELb0ELb1ES3_N6thrust23THRUST_200600_302600_NS6detail15normal_iteratorINS9_10device_ptrIsEEEESE_sNS9_4plusIsEEsEEDaPvRmT3_T4_T5_mT6_P12ihipStream_tbENKUlT_T0_E_clISt17integral_constantIbLb1EESU_EEDaSP_SQ_EUlSP_E0_NS1_11comp_targetILNS1_3genE9ELNS1_11target_archE1100ELNS1_3gpuE3ELNS1_3repE0EEENS1_30default_config_static_selectorELNS0_4arch9wavefront6targetE1EEEvT1_,comdat
	.protected	_ZN7rocprim17ROCPRIM_400000_NS6detail17trampoline_kernelINS0_14default_configENS1_20scan_config_selectorIsEEZZNS1_9scan_implILNS1_25lookback_scan_determinismE0ELb0ELb1ES3_N6thrust23THRUST_200600_302600_NS6detail15normal_iteratorINS9_10device_ptrIsEEEESE_sNS9_4plusIsEEsEEDaPvRmT3_T4_T5_mT6_P12ihipStream_tbENKUlT_T0_E_clISt17integral_constantIbLb1EESU_EEDaSP_SQ_EUlSP_E0_NS1_11comp_targetILNS1_3genE9ELNS1_11target_archE1100ELNS1_3gpuE3ELNS1_3repE0EEENS1_30default_config_static_selectorELNS0_4arch9wavefront6targetE1EEEvT1_ ; -- Begin function _ZN7rocprim17ROCPRIM_400000_NS6detail17trampoline_kernelINS0_14default_configENS1_20scan_config_selectorIsEEZZNS1_9scan_implILNS1_25lookback_scan_determinismE0ELb0ELb1ES3_N6thrust23THRUST_200600_302600_NS6detail15normal_iteratorINS9_10device_ptrIsEEEESE_sNS9_4plusIsEEsEEDaPvRmT3_T4_T5_mT6_P12ihipStream_tbENKUlT_T0_E_clISt17integral_constantIbLb1EESU_EEDaSP_SQ_EUlSP_E0_NS1_11comp_targetILNS1_3genE9ELNS1_11target_archE1100ELNS1_3gpuE3ELNS1_3repE0EEENS1_30default_config_static_selectorELNS0_4arch9wavefront6targetE1EEEvT1_
	.globl	_ZN7rocprim17ROCPRIM_400000_NS6detail17trampoline_kernelINS0_14default_configENS1_20scan_config_selectorIsEEZZNS1_9scan_implILNS1_25lookback_scan_determinismE0ELb0ELb1ES3_N6thrust23THRUST_200600_302600_NS6detail15normal_iteratorINS9_10device_ptrIsEEEESE_sNS9_4plusIsEEsEEDaPvRmT3_T4_T5_mT6_P12ihipStream_tbENKUlT_T0_E_clISt17integral_constantIbLb1EESU_EEDaSP_SQ_EUlSP_E0_NS1_11comp_targetILNS1_3genE9ELNS1_11target_archE1100ELNS1_3gpuE3ELNS1_3repE0EEENS1_30default_config_static_selectorELNS0_4arch9wavefront6targetE1EEEvT1_
	.p2align	8
	.type	_ZN7rocprim17ROCPRIM_400000_NS6detail17trampoline_kernelINS0_14default_configENS1_20scan_config_selectorIsEEZZNS1_9scan_implILNS1_25lookback_scan_determinismE0ELb0ELb1ES3_N6thrust23THRUST_200600_302600_NS6detail15normal_iteratorINS9_10device_ptrIsEEEESE_sNS9_4plusIsEEsEEDaPvRmT3_T4_T5_mT6_P12ihipStream_tbENKUlT_T0_E_clISt17integral_constantIbLb1EESU_EEDaSP_SQ_EUlSP_E0_NS1_11comp_targetILNS1_3genE9ELNS1_11target_archE1100ELNS1_3gpuE3ELNS1_3repE0EEENS1_30default_config_static_selectorELNS0_4arch9wavefront6targetE1EEEvT1_,@function
_ZN7rocprim17ROCPRIM_400000_NS6detail17trampoline_kernelINS0_14default_configENS1_20scan_config_selectorIsEEZZNS1_9scan_implILNS1_25lookback_scan_determinismE0ELb0ELb1ES3_N6thrust23THRUST_200600_302600_NS6detail15normal_iteratorINS9_10device_ptrIsEEEESE_sNS9_4plusIsEEsEEDaPvRmT3_T4_T5_mT6_P12ihipStream_tbENKUlT_T0_E_clISt17integral_constantIbLb1EESU_EEDaSP_SQ_EUlSP_E0_NS1_11comp_targetILNS1_3genE9ELNS1_11target_archE1100ELNS1_3gpuE3ELNS1_3repE0EEENS1_30default_config_static_selectorELNS0_4arch9wavefront6targetE1EEEvT1_: ; @_ZN7rocprim17ROCPRIM_400000_NS6detail17trampoline_kernelINS0_14default_configENS1_20scan_config_selectorIsEEZZNS1_9scan_implILNS1_25lookback_scan_determinismE0ELb0ELb1ES3_N6thrust23THRUST_200600_302600_NS6detail15normal_iteratorINS9_10device_ptrIsEEEESE_sNS9_4plusIsEEsEEDaPvRmT3_T4_T5_mT6_P12ihipStream_tbENKUlT_T0_E_clISt17integral_constantIbLb1EESU_EEDaSP_SQ_EUlSP_E0_NS1_11comp_targetILNS1_3genE9ELNS1_11target_archE1100ELNS1_3gpuE3ELNS1_3repE0EEENS1_30default_config_static_selectorELNS0_4arch9wavefront6targetE1EEEvT1_
; %bb.0:
	.section	.rodata,"a",@progbits
	.p2align	6, 0x0
	.amdhsa_kernel _ZN7rocprim17ROCPRIM_400000_NS6detail17trampoline_kernelINS0_14default_configENS1_20scan_config_selectorIsEEZZNS1_9scan_implILNS1_25lookback_scan_determinismE0ELb0ELb1ES3_N6thrust23THRUST_200600_302600_NS6detail15normal_iteratorINS9_10device_ptrIsEEEESE_sNS9_4plusIsEEsEEDaPvRmT3_T4_T5_mT6_P12ihipStream_tbENKUlT_T0_E_clISt17integral_constantIbLb1EESU_EEDaSP_SQ_EUlSP_E0_NS1_11comp_targetILNS1_3genE9ELNS1_11target_archE1100ELNS1_3gpuE3ELNS1_3repE0EEENS1_30default_config_static_selectorELNS0_4arch9wavefront6targetE1EEEvT1_
		.amdhsa_group_segment_fixed_size 0
		.amdhsa_private_segment_fixed_size 0
		.amdhsa_kernarg_size 32
		.amdhsa_user_sgpr_count 6
		.amdhsa_user_sgpr_private_segment_buffer 1
		.amdhsa_user_sgpr_dispatch_ptr 0
		.amdhsa_user_sgpr_queue_ptr 0
		.amdhsa_user_sgpr_kernarg_segment_ptr 1
		.amdhsa_user_sgpr_dispatch_id 0
		.amdhsa_user_sgpr_flat_scratch_init 0
		.amdhsa_user_sgpr_kernarg_preload_length 0
		.amdhsa_user_sgpr_kernarg_preload_offset 0
		.amdhsa_user_sgpr_private_segment_size 0
		.amdhsa_uses_dynamic_stack 0
		.amdhsa_system_sgpr_private_segment_wavefront_offset 0
		.amdhsa_system_sgpr_workgroup_id_x 1
		.amdhsa_system_sgpr_workgroup_id_y 0
		.amdhsa_system_sgpr_workgroup_id_z 0
		.amdhsa_system_sgpr_workgroup_info 0
		.amdhsa_system_vgpr_workitem_id 0
		.amdhsa_next_free_vgpr 1
		.amdhsa_next_free_sgpr 0
		.amdhsa_accum_offset 4
		.amdhsa_reserve_vcc 0
		.amdhsa_reserve_flat_scratch 0
		.amdhsa_float_round_mode_32 0
		.amdhsa_float_round_mode_16_64 0
		.amdhsa_float_denorm_mode_32 3
		.amdhsa_float_denorm_mode_16_64 3
		.amdhsa_dx10_clamp 1
		.amdhsa_ieee_mode 1
		.amdhsa_fp16_overflow 0
		.amdhsa_tg_split 0
		.amdhsa_exception_fp_ieee_invalid_op 0
		.amdhsa_exception_fp_denorm_src 0
		.amdhsa_exception_fp_ieee_div_zero 0
		.amdhsa_exception_fp_ieee_overflow 0
		.amdhsa_exception_fp_ieee_underflow 0
		.amdhsa_exception_fp_ieee_inexact 0
		.amdhsa_exception_int_div_zero 0
	.end_amdhsa_kernel
	.section	.text._ZN7rocprim17ROCPRIM_400000_NS6detail17trampoline_kernelINS0_14default_configENS1_20scan_config_selectorIsEEZZNS1_9scan_implILNS1_25lookback_scan_determinismE0ELb0ELb1ES3_N6thrust23THRUST_200600_302600_NS6detail15normal_iteratorINS9_10device_ptrIsEEEESE_sNS9_4plusIsEEsEEDaPvRmT3_T4_T5_mT6_P12ihipStream_tbENKUlT_T0_E_clISt17integral_constantIbLb1EESU_EEDaSP_SQ_EUlSP_E0_NS1_11comp_targetILNS1_3genE9ELNS1_11target_archE1100ELNS1_3gpuE3ELNS1_3repE0EEENS1_30default_config_static_selectorELNS0_4arch9wavefront6targetE1EEEvT1_,"axG",@progbits,_ZN7rocprim17ROCPRIM_400000_NS6detail17trampoline_kernelINS0_14default_configENS1_20scan_config_selectorIsEEZZNS1_9scan_implILNS1_25lookback_scan_determinismE0ELb0ELb1ES3_N6thrust23THRUST_200600_302600_NS6detail15normal_iteratorINS9_10device_ptrIsEEEESE_sNS9_4plusIsEEsEEDaPvRmT3_T4_T5_mT6_P12ihipStream_tbENKUlT_T0_E_clISt17integral_constantIbLb1EESU_EEDaSP_SQ_EUlSP_E0_NS1_11comp_targetILNS1_3genE9ELNS1_11target_archE1100ELNS1_3gpuE3ELNS1_3repE0EEENS1_30default_config_static_selectorELNS0_4arch9wavefront6targetE1EEEvT1_,comdat
.Lfunc_end1301:
	.size	_ZN7rocprim17ROCPRIM_400000_NS6detail17trampoline_kernelINS0_14default_configENS1_20scan_config_selectorIsEEZZNS1_9scan_implILNS1_25lookback_scan_determinismE0ELb0ELb1ES3_N6thrust23THRUST_200600_302600_NS6detail15normal_iteratorINS9_10device_ptrIsEEEESE_sNS9_4plusIsEEsEEDaPvRmT3_T4_T5_mT6_P12ihipStream_tbENKUlT_T0_E_clISt17integral_constantIbLb1EESU_EEDaSP_SQ_EUlSP_E0_NS1_11comp_targetILNS1_3genE9ELNS1_11target_archE1100ELNS1_3gpuE3ELNS1_3repE0EEENS1_30default_config_static_selectorELNS0_4arch9wavefront6targetE1EEEvT1_, .Lfunc_end1301-_ZN7rocprim17ROCPRIM_400000_NS6detail17trampoline_kernelINS0_14default_configENS1_20scan_config_selectorIsEEZZNS1_9scan_implILNS1_25lookback_scan_determinismE0ELb0ELb1ES3_N6thrust23THRUST_200600_302600_NS6detail15normal_iteratorINS9_10device_ptrIsEEEESE_sNS9_4plusIsEEsEEDaPvRmT3_T4_T5_mT6_P12ihipStream_tbENKUlT_T0_E_clISt17integral_constantIbLb1EESU_EEDaSP_SQ_EUlSP_E0_NS1_11comp_targetILNS1_3genE9ELNS1_11target_archE1100ELNS1_3gpuE3ELNS1_3repE0EEENS1_30default_config_static_selectorELNS0_4arch9wavefront6targetE1EEEvT1_
                                        ; -- End function
	.section	.AMDGPU.csdata,"",@progbits
; Kernel info:
; codeLenInByte = 0
; NumSgprs: 4
; NumVgprs: 0
; NumAgprs: 0
; TotalNumVgprs: 0
; ScratchSize: 0
; MemoryBound: 0
; FloatMode: 240
; IeeeMode: 1
; LDSByteSize: 0 bytes/workgroup (compile time only)
; SGPRBlocks: 0
; VGPRBlocks: 0
; NumSGPRsForWavesPerEU: 4
; NumVGPRsForWavesPerEU: 1
; AccumOffset: 4
; Occupancy: 8
; WaveLimiterHint : 0
; COMPUTE_PGM_RSRC2:SCRATCH_EN: 0
; COMPUTE_PGM_RSRC2:USER_SGPR: 6
; COMPUTE_PGM_RSRC2:TRAP_HANDLER: 0
; COMPUTE_PGM_RSRC2:TGID_X_EN: 1
; COMPUTE_PGM_RSRC2:TGID_Y_EN: 0
; COMPUTE_PGM_RSRC2:TGID_Z_EN: 0
; COMPUTE_PGM_RSRC2:TIDIG_COMP_CNT: 0
; COMPUTE_PGM_RSRC3_GFX90A:ACCUM_OFFSET: 0
; COMPUTE_PGM_RSRC3_GFX90A:TG_SPLIT: 0
	.section	.text._ZN7rocprim17ROCPRIM_400000_NS6detail17trampoline_kernelINS0_14default_configENS1_20scan_config_selectorIsEEZZNS1_9scan_implILNS1_25lookback_scan_determinismE0ELb0ELb1ES3_N6thrust23THRUST_200600_302600_NS6detail15normal_iteratorINS9_10device_ptrIsEEEESE_sNS9_4plusIsEEsEEDaPvRmT3_T4_T5_mT6_P12ihipStream_tbENKUlT_T0_E_clISt17integral_constantIbLb1EESU_EEDaSP_SQ_EUlSP_E0_NS1_11comp_targetILNS1_3genE8ELNS1_11target_archE1030ELNS1_3gpuE2ELNS1_3repE0EEENS1_30default_config_static_selectorELNS0_4arch9wavefront6targetE1EEEvT1_,"axG",@progbits,_ZN7rocprim17ROCPRIM_400000_NS6detail17trampoline_kernelINS0_14default_configENS1_20scan_config_selectorIsEEZZNS1_9scan_implILNS1_25lookback_scan_determinismE0ELb0ELb1ES3_N6thrust23THRUST_200600_302600_NS6detail15normal_iteratorINS9_10device_ptrIsEEEESE_sNS9_4plusIsEEsEEDaPvRmT3_T4_T5_mT6_P12ihipStream_tbENKUlT_T0_E_clISt17integral_constantIbLb1EESU_EEDaSP_SQ_EUlSP_E0_NS1_11comp_targetILNS1_3genE8ELNS1_11target_archE1030ELNS1_3gpuE2ELNS1_3repE0EEENS1_30default_config_static_selectorELNS0_4arch9wavefront6targetE1EEEvT1_,comdat
	.protected	_ZN7rocprim17ROCPRIM_400000_NS6detail17trampoline_kernelINS0_14default_configENS1_20scan_config_selectorIsEEZZNS1_9scan_implILNS1_25lookback_scan_determinismE0ELb0ELb1ES3_N6thrust23THRUST_200600_302600_NS6detail15normal_iteratorINS9_10device_ptrIsEEEESE_sNS9_4plusIsEEsEEDaPvRmT3_T4_T5_mT6_P12ihipStream_tbENKUlT_T0_E_clISt17integral_constantIbLb1EESU_EEDaSP_SQ_EUlSP_E0_NS1_11comp_targetILNS1_3genE8ELNS1_11target_archE1030ELNS1_3gpuE2ELNS1_3repE0EEENS1_30default_config_static_selectorELNS0_4arch9wavefront6targetE1EEEvT1_ ; -- Begin function _ZN7rocprim17ROCPRIM_400000_NS6detail17trampoline_kernelINS0_14default_configENS1_20scan_config_selectorIsEEZZNS1_9scan_implILNS1_25lookback_scan_determinismE0ELb0ELb1ES3_N6thrust23THRUST_200600_302600_NS6detail15normal_iteratorINS9_10device_ptrIsEEEESE_sNS9_4plusIsEEsEEDaPvRmT3_T4_T5_mT6_P12ihipStream_tbENKUlT_T0_E_clISt17integral_constantIbLb1EESU_EEDaSP_SQ_EUlSP_E0_NS1_11comp_targetILNS1_3genE8ELNS1_11target_archE1030ELNS1_3gpuE2ELNS1_3repE0EEENS1_30default_config_static_selectorELNS0_4arch9wavefront6targetE1EEEvT1_
	.globl	_ZN7rocprim17ROCPRIM_400000_NS6detail17trampoline_kernelINS0_14default_configENS1_20scan_config_selectorIsEEZZNS1_9scan_implILNS1_25lookback_scan_determinismE0ELb0ELb1ES3_N6thrust23THRUST_200600_302600_NS6detail15normal_iteratorINS9_10device_ptrIsEEEESE_sNS9_4plusIsEEsEEDaPvRmT3_T4_T5_mT6_P12ihipStream_tbENKUlT_T0_E_clISt17integral_constantIbLb1EESU_EEDaSP_SQ_EUlSP_E0_NS1_11comp_targetILNS1_3genE8ELNS1_11target_archE1030ELNS1_3gpuE2ELNS1_3repE0EEENS1_30default_config_static_selectorELNS0_4arch9wavefront6targetE1EEEvT1_
	.p2align	8
	.type	_ZN7rocprim17ROCPRIM_400000_NS6detail17trampoline_kernelINS0_14default_configENS1_20scan_config_selectorIsEEZZNS1_9scan_implILNS1_25lookback_scan_determinismE0ELb0ELb1ES3_N6thrust23THRUST_200600_302600_NS6detail15normal_iteratorINS9_10device_ptrIsEEEESE_sNS9_4plusIsEEsEEDaPvRmT3_T4_T5_mT6_P12ihipStream_tbENKUlT_T0_E_clISt17integral_constantIbLb1EESU_EEDaSP_SQ_EUlSP_E0_NS1_11comp_targetILNS1_3genE8ELNS1_11target_archE1030ELNS1_3gpuE2ELNS1_3repE0EEENS1_30default_config_static_selectorELNS0_4arch9wavefront6targetE1EEEvT1_,@function
_ZN7rocprim17ROCPRIM_400000_NS6detail17trampoline_kernelINS0_14default_configENS1_20scan_config_selectorIsEEZZNS1_9scan_implILNS1_25lookback_scan_determinismE0ELb0ELb1ES3_N6thrust23THRUST_200600_302600_NS6detail15normal_iteratorINS9_10device_ptrIsEEEESE_sNS9_4plusIsEEsEEDaPvRmT3_T4_T5_mT6_P12ihipStream_tbENKUlT_T0_E_clISt17integral_constantIbLb1EESU_EEDaSP_SQ_EUlSP_E0_NS1_11comp_targetILNS1_3genE8ELNS1_11target_archE1030ELNS1_3gpuE2ELNS1_3repE0EEENS1_30default_config_static_selectorELNS0_4arch9wavefront6targetE1EEEvT1_: ; @_ZN7rocprim17ROCPRIM_400000_NS6detail17trampoline_kernelINS0_14default_configENS1_20scan_config_selectorIsEEZZNS1_9scan_implILNS1_25lookback_scan_determinismE0ELb0ELb1ES3_N6thrust23THRUST_200600_302600_NS6detail15normal_iteratorINS9_10device_ptrIsEEEESE_sNS9_4plusIsEEsEEDaPvRmT3_T4_T5_mT6_P12ihipStream_tbENKUlT_T0_E_clISt17integral_constantIbLb1EESU_EEDaSP_SQ_EUlSP_E0_NS1_11comp_targetILNS1_3genE8ELNS1_11target_archE1030ELNS1_3gpuE2ELNS1_3repE0EEENS1_30default_config_static_selectorELNS0_4arch9wavefront6targetE1EEEvT1_
; %bb.0:
	.section	.rodata,"a",@progbits
	.p2align	6, 0x0
	.amdhsa_kernel _ZN7rocprim17ROCPRIM_400000_NS6detail17trampoline_kernelINS0_14default_configENS1_20scan_config_selectorIsEEZZNS1_9scan_implILNS1_25lookback_scan_determinismE0ELb0ELb1ES3_N6thrust23THRUST_200600_302600_NS6detail15normal_iteratorINS9_10device_ptrIsEEEESE_sNS9_4plusIsEEsEEDaPvRmT3_T4_T5_mT6_P12ihipStream_tbENKUlT_T0_E_clISt17integral_constantIbLb1EESU_EEDaSP_SQ_EUlSP_E0_NS1_11comp_targetILNS1_3genE8ELNS1_11target_archE1030ELNS1_3gpuE2ELNS1_3repE0EEENS1_30default_config_static_selectorELNS0_4arch9wavefront6targetE1EEEvT1_
		.amdhsa_group_segment_fixed_size 0
		.amdhsa_private_segment_fixed_size 0
		.amdhsa_kernarg_size 32
		.amdhsa_user_sgpr_count 6
		.amdhsa_user_sgpr_private_segment_buffer 1
		.amdhsa_user_sgpr_dispatch_ptr 0
		.amdhsa_user_sgpr_queue_ptr 0
		.amdhsa_user_sgpr_kernarg_segment_ptr 1
		.amdhsa_user_sgpr_dispatch_id 0
		.amdhsa_user_sgpr_flat_scratch_init 0
		.amdhsa_user_sgpr_kernarg_preload_length 0
		.amdhsa_user_sgpr_kernarg_preload_offset 0
		.amdhsa_user_sgpr_private_segment_size 0
		.amdhsa_uses_dynamic_stack 0
		.amdhsa_system_sgpr_private_segment_wavefront_offset 0
		.amdhsa_system_sgpr_workgroup_id_x 1
		.amdhsa_system_sgpr_workgroup_id_y 0
		.amdhsa_system_sgpr_workgroup_id_z 0
		.amdhsa_system_sgpr_workgroup_info 0
		.amdhsa_system_vgpr_workitem_id 0
		.amdhsa_next_free_vgpr 1
		.amdhsa_next_free_sgpr 0
		.amdhsa_accum_offset 4
		.amdhsa_reserve_vcc 0
		.amdhsa_reserve_flat_scratch 0
		.amdhsa_float_round_mode_32 0
		.amdhsa_float_round_mode_16_64 0
		.amdhsa_float_denorm_mode_32 3
		.amdhsa_float_denorm_mode_16_64 3
		.amdhsa_dx10_clamp 1
		.amdhsa_ieee_mode 1
		.amdhsa_fp16_overflow 0
		.amdhsa_tg_split 0
		.amdhsa_exception_fp_ieee_invalid_op 0
		.amdhsa_exception_fp_denorm_src 0
		.amdhsa_exception_fp_ieee_div_zero 0
		.amdhsa_exception_fp_ieee_overflow 0
		.amdhsa_exception_fp_ieee_underflow 0
		.amdhsa_exception_fp_ieee_inexact 0
		.amdhsa_exception_int_div_zero 0
	.end_amdhsa_kernel
	.section	.text._ZN7rocprim17ROCPRIM_400000_NS6detail17trampoline_kernelINS0_14default_configENS1_20scan_config_selectorIsEEZZNS1_9scan_implILNS1_25lookback_scan_determinismE0ELb0ELb1ES3_N6thrust23THRUST_200600_302600_NS6detail15normal_iteratorINS9_10device_ptrIsEEEESE_sNS9_4plusIsEEsEEDaPvRmT3_T4_T5_mT6_P12ihipStream_tbENKUlT_T0_E_clISt17integral_constantIbLb1EESU_EEDaSP_SQ_EUlSP_E0_NS1_11comp_targetILNS1_3genE8ELNS1_11target_archE1030ELNS1_3gpuE2ELNS1_3repE0EEENS1_30default_config_static_selectorELNS0_4arch9wavefront6targetE1EEEvT1_,"axG",@progbits,_ZN7rocprim17ROCPRIM_400000_NS6detail17trampoline_kernelINS0_14default_configENS1_20scan_config_selectorIsEEZZNS1_9scan_implILNS1_25lookback_scan_determinismE0ELb0ELb1ES3_N6thrust23THRUST_200600_302600_NS6detail15normal_iteratorINS9_10device_ptrIsEEEESE_sNS9_4plusIsEEsEEDaPvRmT3_T4_T5_mT6_P12ihipStream_tbENKUlT_T0_E_clISt17integral_constantIbLb1EESU_EEDaSP_SQ_EUlSP_E0_NS1_11comp_targetILNS1_3genE8ELNS1_11target_archE1030ELNS1_3gpuE2ELNS1_3repE0EEENS1_30default_config_static_selectorELNS0_4arch9wavefront6targetE1EEEvT1_,comdat
.Lfunc_end1302:
	.size	_ZN7rocprim17ROCPRIM_400000_NS6detail17trampoline_kernelINS0_14default_configENS1_20scan_config_selectorIsEEZZNS1_9scan_implILNS1_25lookback_scan_determinismE0ELb0ELb1ES3_N6thrust23THRUST_200600_302600_NS6detail15normal_iteratorINS9_10device_ptrIsEEEESE_sNS9_4plusIsEEsEEDaPvRmT3_T4_T5_mT6_P12ihipStream_tbENKUlT_T0_E_clISt17integral_constantIbLb1EESU_EEDaSP_SQ_EUlSP_E0_NS1_11comp_targetILNS1_3genE8ELNS1_11target_archE1030ELNS1_3gpuE2ELNS1_3repE0EEENS1_30default_config_static_selectorELNS0_4arch9wavefront6targetE1EEEvT1_, .Lfunc_end1302-_ZN7rocprim17ROCPRIM_400000_NS6detail17trampoline_kernelINS0_14default_configENS1_20scan_config_selectorIsEEZZNS1_9scan_implILNS1_25lookback_scan_determinismE0ELb0ELb1ES3_N6thrust23THRUST_200600_302600_NS6detail15normal_iteratorINS9_10device_ptrIsEEEESE_sNS9_4plusIsEEsEEDaPvRmT3_T4_T5_mT6_P12ihipStream_tbENKUlT_T0_E_clISt17integral_constantIbLb1EESU_EEDaSP_SQ_EUlSP_E0_NS1_11comp_targetILNS1_3genE8ELNS1_11target_archE1030ELNS1_3gpuE2ELNS1_3repE0EEENS1_30default_config_static_selectorELNS0_4arch9wavefront6targetE1EEEvT1_
                                        ; -- End function
	.section	.AMDGPU.csdata,"",@progbits
; Kernel info:
; codeLenInByte = 0
; NumSgprs: 4
; NumVgprs: 0
; NumAgprs: 0
; TotalNumVgprs: 0
; ScratchSize: 0
; MemoryBound: 0
; FloatMode: 240
; IeeeMode: 1
; LDSByteSize: 0 bytes/workgroup (compile time only)
; SGPRBlocks: 0
; VGPRBlocks: 0
; NumSGPRsForWavesPerEU: 4
; NumVGPRsForWavesPerEU: 1
; AccumOffset: 4
; Occupancy: 8
; WaveLimiterHint : 0
; COMPUTE_PGM_RSRC2:SCRATCH_EN: 0
; COMPUTE_PGM_RSRC2:USER_SGPR: 6
; COMPUTE_PGM_RSRC2:TRAP_HANDLER: 0
; COMPUTE_PGM_RSRC2:TGID_X_EN: 1
; COMPUTE_PGM_RSRC2:TGID_Y_EN: 0
; COMPUTE_PGM_RSRC2:TGID_Z_EN: 0
; COMPUTE_PGM_RSRC2:TIDIG_COMP_CNT: 0
; COMPUTE_PGM_RSRC3_GFX90A:ACCUM_OFFSET: 0
; COMPUTE_PGM_RSRC3_GFX90A:TG_SPLIT: 0
	.section	.text._ZN7rocprim17ROCPRIM_400000_NS6detail17trampoline_kernelINS0_14default_configENS1_20scan_config_selectorIsEEZZNS1_9scan_implILNS1_25lookback_scan_determinismE0ELb0ELb1ES3_N6thrust23THRUST_200600_302600_NS6detail15normal_iteratorINS9_10device_ptrIsEEEESE_sNS9_4plusIsEEsEEDaPvRmT3_T4_T5_mT6_P12ihipStream_tbENKUlT_T0_E_clISt17integral_constantIbLb1EEST_IbLb0EEEEDaSP_SQ_EUlSP_E_NS1_11comp_targetILNS1_3genE0ELNS1_11target_archE4294967295ELNS1_3gpuE0ELNS1_3repE0EEENS1_30default_config_static_selectorELNS0_4arch9wavefront6targetE1EEEvT1_,"axG",@progbits,_ZN7rocprim17ROCPRIM_400000_NS6detail17trampoline_kernelINS0_14default_configENS1_20scan_config_selectorIsEEZZNS1_9scan_implILNS1_25lookback_scan_determinismE0ELb0ELb1ES3_N6thrust23THRUST_200600_302600_NS6detail15normal_iteratorINS9_10device_ptrIsEEEESE_sNS9_4plusIsEEsEEDaPvRmT3_T4_T5_mT6_P12ihipStream_tbENKUlT_T0_E_clISt17integral_constantIbLb1EEST_IbLb0EEEEDaSP_SQ_EUlSP_E_NS1_11comp_targetILNS1_3genE0ELNS1_11target_archE4294967295ELNS1_3gpuE0ELNS1_3repE0EEENS1_30default_config_static_selectorELNS0_4arch9wavefront6targetE1EEEvT1_,comdat
	.protected	_ZN7rocprim17ROCPRIM_400000_NS6detail17trampoline_kernelINS0_14default_configENS1_20scan_config_selectorIsEEZZNS1_9scan_implILNS1_25lookback_scan_determinismE0ELb0ELb1ES3_N6thrust23THRUST_200600_302600_NS6detail15normal_iteratorINS9_10device_ptrIsEEEESE_sNS9_4plusIsEEsEEDaPvRmT3_T4_T5_mT6_P12ihipStream_tbENKUlT_T0_E_clISt17integral_constantIbLb1EEST_IbLb0EEEEDaSP_SQ_EUlSP_E_NS1_11comp_targetILNS1_3genE0ELNS1_11target_archE4294967295ELNS1_3gpuE0ELNS1_3repE0EEENS1_30default_config_static_selectorELNS0_4arch9wavefront6targetE1EEEvT1_ ; -- Begin function _ZN7rocprim17ROCPRIM_400000_NS6detail17trampoline_kernelINS0_14default_configENS1_20scan_config_selectorIsEEZZNS1_9scan_implILNS1_25lookback_scan_determinismE0ELb0ELb1ES3_N6thrust23THRUST_200600_302600_NS6detail15normal_iteratorINS9_10device_ptrIsEEEESE_sNS9_4plusIsEEsEEDaPvRmT3_T4_T5_mT6_P12ihipStream_tbENKUlT_T0_E_clISt17integral_constantIbLb1EEST_IbLb0EEEEDaSP_SQ_EUlSP_E_NS1_11comp_targetILNS1_3genE0ELNS1_11target_archE4294967295ELNS1_3gpuE0ELNS1_3repE0EEENS1_30default_config_static_selectorELNS0_4arch9wavefront6targetE1EEEvT1_
	.globl	_ZN7rocprim17ROCPRIM_400000_NS6detail17trampoline_kernelINS0_14default_configENS1_20scan_config_selectorIsEEZZNS1_9scan_implILNS1_25lookback_scan_determinismE0ELb0ELb1ES3_N6thrust23THRUST_200600_302600_NS6detail15normal_iteratorINS9_10device_ptrIsEEEESE_sNS9_4plusIsEEsEEDaPvRmT3_T4_T5_mT6_P12ihipStream_tbENKUlT_T0_E_clISt17integral_constantIbLb1EEST_IbLb0EEEEDaSP_SQ_EUlSP_E_NS1_11comp_targetILNS1_3genE0ELNS1_11target_archE4294967295ELNS1_3gpuE0ELNS1_3repE0EEENS1_30default_config_static_selectorELNS0_4arch9wavefront6targetE1EEEvT1_
	.p2align	8
	.type	_ZN7rocprim17ROCPRIM_400000_NS6detail17trampoline_kernelINS0_14default_configENS1_20scan_config_selectorIsEEZZNS1_9scan_implILNS1_25lookback_scan_determinismE0ELb0ELb1ES3_N6thrust23THRUST_200600_302600_NS6detail15normal_iteratorINS9_10device_ptrIsEEEESE_sNS9_4plusIsEEsEEDaPvRmT3_T4_T5_mT6_P12ihipStream_tbENKUlT_T0_E_clISt17integral_constantIbLb1EEST_IbLb0EEEEDaSP_SQ_EUlSP_E_NS1_11comp_targetILNS1_3genE0ELNS1_11target_archE4294967295ELNS1_3gpuE0ELNS1_3repE0EEENS1_30default_config_static_selectorELNS0_4arch9wavefront6targetE1EEEvT1_,@function
_ZN7rocprim17ROCPRIM_400000_NS6detail17trampoline_kernelINS0_14default_configENS1_20scan_config_selectorIsEEZZNS1_9scan_implILNS1_25lookback_scan_determinismE0ELb0ELb1ES3_N6thrust23THRUST_200600_302600_NS6detail15normal_iteratorINS9_10device_ptrIsEEEESE_sNS9_4plusIsEEsEEDaPvRmT3_T4_T5_mT6_P12ihipStream_tbENKUlT_T0_E_clISt17integral_constantIbLb1EEST_IbLb0EEEEDaSP_SQ_EUlSP_E_NS1_11comp_targetILNS1_3genE0ELNS1_11target_archE4294967295ELNS1_3gpuE0ELNS1_3repE0EEENS1_30default_config_static_selectorELNS0_4arch9wavefront6targetE1EEEvT1_: ; @_ZN7rocprim17ROCPRIM_400000_NS6detail17trampoline_kernelINS0_14default_configENS1_20scan_config_selectorIsEEZZNS1_9scan_implILNS1_25lookback_scan_determinismE0ELb0ELb1ES3_N6thrust23THRUST_200600_302600_NS6detail15normal_iteratorINS9_10device_ptrIsEEEESE_sNS9_4plusIsEEsEEDaPvRmT3_T4_T5_mT6_P12ihipStream_tbENKUlT_T0_E_clISt17integral_constantIbLb1EEST_IbLb0EEEEDaSP_SQ_EUlSP_E_NS1_11comp_targetILNS1_3genE0ELNS1_11target_archE4294967295ELNS1_3gpuE0ELNS1_3repE0EEENS1_30default_config_static_selectorELNS0_4arch9wavefront6targetE1EEEvT1_
; %bb.0:
	.section	.rodata,"a",@progbits
	.p2align	6, 0x0
	.amdhsa_kernel _ZN7rocprim17ROCPRIM_400000_NS6detail17trampoline_kernelINS0_14default_configENS1_20scan_config_selectorIsEEZZNS1_9scan_implILNS1_25lookback_scan_determinismE0ELb0ELb1ES3_N6thrust23THRUST_200600_302600_NS6detail15normal_iteratorINS9_10device_ptrIsEEEESE_sNS9_4plusIsEEsEEDaPvRmT3_T4_T5_mT6_P12ihipStream_tbENKUlT_T0_E_clISt17integral_constantIbLb1EEST_IbLb0EEEEDaSP_SQ_EUlSP_E_NS1_11comp_targetILNS1_3genE0ELNS1_11target_archE4294967295ELNS1_3gpuE0ELNS1_3repE0EEENS1_30default_config_static_selectorELNS0_4arch9wavefront6targetE1EEEvT1_
		.amdhsa_group_segment_fixed_size 0
		.amdhsa_private_segment_fixed_size 0
		.amdhsa_kernarg_size 96
		.amdhsa_user_sgpr_count 6
		.amdhsa_user_sgpr_private_segment_buffer 1
		.amdhsa_user_sgpr_dispatch_ptr 0
		.amdhsa_user_sgpr_queue_ptr 0
		.amdhsa_user_sgpr_kernarg_segment_ptr 1
		.amdhsa_user_sgpr_dispatch_id 0
		.amdhsa_user_sgpr_flat_scratch_init 0
		.amdhsa_user_sgpr_kernarg_preload_length 0
		.amdhsa_user_sgpr_kernarg_preload_offset 0
		.amdhsa_user_sgpr_private_segment_size 0
		.amdhsa_uses_dynamic_stack 0
		.amdhsa_system_sgpr_private_segment_wavefront_offset 0
		.amdhsa_system_sgpr_workgroup_id_x 1
		.amdhsa_system_sgpr_workgroup_id_y 0
		.amdhsa_system_sgpr_workgroup_id_z 0
		.amdhsa_system_sgpr_workgroup_info 0
		.amdhsa_system_vgpr_workitem_id 0
		.amdhsa_next_free_vgpr 1
		.amdhsa_next_free_sgpr 0
		.amdhsa_accum_offset 4
		.amdhsa_reserve_vcc 0
		.amdhsa_reserve_flat_scratch 0
		.amdhsa_float_round_mode_32 0
		.amdhsa_float_round_mode_16_64 0
		.amdhsa_float_denorm_mode_32 3
		.amdhsa_float_denorm_mode_16_64 3
		.amdhsa_dx10_clamp 1
		.amdhsa_ieee_mode 1
		.amdhsa_fp16_overflow 0
		.amdhsa_tg_split 0
		.amdhsa_exception_fp_ieee_invalid_op 0
		.amdhsa_exception_fp_denorm_src 0
		.amdhsa_exception_fp_ieee_div_zero 0
		.amdhsa_exception_fp_ieee_overflow 0
		.amdhsa_exception_fp_ieee_underflow 0
		.amdhsa_exception_fp_ieee_inexact 0
		.amdhsa_exception_int_div_zero 0
	.end_amdhsa_kernel
	.section	.text._ZN7rocprim17ROCPRIM_400000_NS6detail17trampoline_kernelINS0_14default_configENS1_20scan_config_selectorIsEEZZNS1_9scan_implILNS1_25lookback_scan_determinismE0ELb0ELb1ES3_N6thrust23THRUST_200600_302600_NS6detail15normal_iteratorINS9_10device_ptrIsEEEESE_sNS9_4plusIsEEsEEDaPvRmT3_T4_T5_mT6_P12ihipStream_tbENKUlT_T0_E_clISt17integral_constantIbLb1EEST_IbLb0EEEEDaSP_SQ_EUlSP_E_NS1_11comp_targetILNS1_3genE0ELNS1_11target_archE4294967295ELNS1_3gpuE0ELNS1_3repE0EEENS1_30default_config_static_selectorELNS0_4arch9wavefront6targetE1EEEvT1_,"axG",@progbits,_ZN7rocprim17ROCPRIM_400000_NS6detail17trampoline_kernelINS0_14default_configENS1_20scan_config_selectorIsEEZZNS1_9scan_implILNS1_25lookback_scan_determinismE0ELb0ELb1ES3_N6thrust23THRUST_200600_302600_NS6detail15normal_iteratorINS9_10device_ptrIsEEEESE_sNS9_4plusIsEEsEEDaPvRmT3_T4_T5_mT6_P12ihipStream_tbENKUlT_T0_E_clISt17integral_constantIbLb1EEST_IbLb0EEEEDaSP_SQ_EUlSP_E_NS1_11comp_targetILNS1_3genE0ELNS1_11target_archE4294967295ELNS1_3gpuE0ELNS1_3repE0EEENS1_30default_config_static_selectorELNS0_4arch9wavefront6targetE1EEEvT1_,comdat
.Lfunc_end1303:
	.size	_ZN7rocprim17ROCPRIM_400000_NS6detail17trampoline_kernelINS0_14default_configENS1_20scan_config_selectorIsEEZZNS1_9scan_implILNS1_25lookback_scan_determinismE0ELb0ELb1ES3_N6thrust23THRUST_200600_302600_NS6detail15normal_iteratorINS9_10device_ptrIsEEEESE_sNS9_4plusIsEEsEEDaPvRmT3_T4_T5_mT6_P12ihipStream_tbENKUlT_T0_E_clISt17integral_constantIbLb1EEST_IbLb0EEEEDaSP_SQ_EUlSP_E_NS1_11comp_targetILNS1_3genE0ELNS1_11target_archE4294967295ELNS1_3gpuE0ELNS1_3repE0EEENS1_30default_config_static_selectorELNS0_4arch9wavefront6targetE1EEEvT1_, .Lfunc_end1303-_ZN7rocprim17ROCPRIM_400000_NS6detail17trampoline_kernelINS0_14default_configENS1_20scan_config_selectorIsEEZZNS1_9scan_implILNS1_25lookback_scan_determinismE0ELb0ELb1ES3_N6thrust23THRUST_200600_302600_NS6detail15normal_iteratorINS9_10device_ptrIsEEEESE_sNS9_4plusIsEEsEEDaPvRmT3_T4_T5_mT6_P12ihipStream_tbENKUlT_T0_E_clISt17integral_constantIbLb1EEST_IbLb0EEEEDaSP_SQ_EUlSP_E_NS1_11comp_targetILNS1_3genE0ELNS1_11target_archE4294967295ELNS1_3gpuE0ELNS1_3repE0EEENS1_30default_config_static_selectorELNS0_4arch9wavefront6targetE1EEEvT1_
                                        ; -- End function
	.section	.AMDGPU.csdata,"",@progbits
; Kernel info:
; codeLenInByte = 0
; NumSgprs: 4
; NumVgprs: 0
; NumAgprs: 0
; TotalNumVgprs: 0
; ScratchSize: 0
; MemoryBound: 0
; FloatMode: 240
; IeeeMode: 1
; LDSByteSize: 0 bytes/workgroup (compile time only)
; SGPRBlocks: 0
; VGPRBlocks: 0
; NumSGPRsForWavesPerEU: 4
; NumVGPRsForWavesPerEU: 1
; AccumOffset: 4
; Occupancy: 8
; WaveLimiterHint : 0
; COMPUTE_PGM_RSRC2:SCRATCH_EN: 0
; COMPUTE_PGM_RSRC2:USER_SGPR: 6
; COMPUTE_PGM_RSRC2:TRAP_HANDLER: 0
; COMPUTE_PGM_RSRC2:TGID_X_EN: 1
; COMPUTE_PGM_RSRC2:TGID_Y_EN: 0
; COMPUTE_PGM_RSRC2:TGID_Z_EN: 0
; COMPUTE_PGM_RSRC2:TIDIG_COMP_CNT: 0
; COMPUTE_PGM_RSRC3_GFX90A:ACCUM_OFFSET: 0
; COMPUTE_PGM_RSRC3_GFX90A:TG_SPLIT: 0
	.section	.text._ZN7rocprim17ROCPRIM_400000_NS6detail17trampoline_kernelINS0_14default_configENS1_20scan_config_selectorIsEEZZNS1_9scan_implILNS1_25lookback_scan_determinismE0ELb0ELb1ES3_N6thrust23THRUST_200600_302600_NS6detail15normal_iteratorINS9_10device_ptrIsEEEESE_sNS9_4plusIsEEsEEDaPvRmT3_T4_T5_mT6_P12ihipStream_tbENKUlT_T0_E_clISt17integral_constantIbLb1EEST_IbLb0EEEEDaSP_SQ_EUlSP_E_NS1_11comp_targetILNS1_3genE5ELNS1_11target_archE942ELNS1_3gpuE9ELNS1_3repE0EEENS1_30default_config_static_selectorELNS0_4arch9wavefront6targetE1EEEvT1_,"axG",@progbits,_ZN7rocprim17ROCPRIM_400000_NS6detail17trampoline_kernelINS0_14default_configENS1_20scan_config_selectorIsEEZZNS1_9scan_implILNS1_25lookback_scan_determinismE0ELb0ELb1ES3_N6thrust23THRUST_200600_302600_NS6detail15normal_iteratorINS9_10device_ptrIsEEEESE_sNS9_4plusIsEEsEEDaPvRmT3_T4_T5_mT6_P12ihipStream_tbENKUlT_T0_E_clISt17integral_constantIbLb1EEST_IbLb0EEEEDaSP_SQ_EUlSP_E_NS1_11comp_targetILNS1_3genE5ELNS1_11target_archE942ELNS1_3gpuE9ELNS1_3repE0EEENS1_30default_config_static_selectorELNS0_4arch9wavefront6targetE1EEEvT1_,comdat
	.protected	_ZN7rocprim17ROCPRIM_400000_NS6detail17trampoline_kernelINS0_14default_configENS1_20scan_config_selectorIsEEZZNS1_9scan_implILNS1_25lookback_scan_determinismE0ELb0ELb1ES3_N6thrust23THRUST_200600_302600_NS6detail15normal_iteratorINS9_10device_ptrIsEEEESE_sNS9_4plusIsEEsEEDaPvRmT3_T4_T5_mT6_P12ihipStream_tbENKUlT_T0_E_clISt17integral_constantIbLb1EEST_IbLb0EEEEDaSP_SQ_EUlSP_E_NS1_11comp_targetILNS1_3genE5ELNS1_11target_archE942ELNS1_3gpuE9ELNS1_3repE0EEENS1_30default_config_static_selectorELNS0_4arch9wavefront6targetE1EEEvT1_ ; -- Begin function _ZN7rocprim17ROCPRIM_400000_NS6detail17trampoline_kernelINS0_14default_configENS1_20scan_config_selectorIsEEZZNS1_9scan_implILNS1_25lookback_scan_determinismE0ELb0ELb1ES3_N6thrust23THRUST_200600_302600_NS6detail15normal_iteratorINS9_10device_ptrIsEEEESE_sNS9_4plusIsEEsEEDaPvRmT3_T4_T5_mT6_P12ihipStream_tbENKUlT_T0_E_clISt17integral_constantIbLb1EEST_IbLb0EEEEDaSP_SQ_EUlSP_E_NS1_11comp_targetILNS1_3genE5ELNS1_11target_archE942ELNS1_3gpuE9ELNS1_3repE0EEENS1_30default_config_static_selectorELNS0_4arch9wavefront6targetE1EEEvT1_
	.globl	_ZN7rocprim17ROCPRIM_400000_NS6detail17trampoline_kernelINS0_14default_configENS1_20scan_config_selectorIsEEZZNS1_9scan_implILNS1_25lookback_scan_determinismE0ELb0ELb1ES3_N6thrust23THRUST_200600_302600_NS6detail15normal_iteratorINS9_10device_ptrIsEEEESE_sNS9_4plusIsEEsEEDaPvRmT3_T4_T5_mT6_P12ihipStream_tbENKUlT_T0_E_clISt17integral_constantIbLb1EEST_IbLb0EEEEDaSP_SQ_EUlSP_E_NS1_11comp_targetILNS1_3genE5ELNS1_11target_archE942ELNS1_3gpuE9ELNS1_3repE0EEENS1_30default_config_static_selectorELNS0_4arch9wavefront6targetE1EEEvT1_
	.p2align	8
	.type	_ZN7rocprim17ROCPRIM_400000_NS6detail17trampoline_kernelINS0_14default_configENS1_20scan_config_selectorIsEEZZNS1_9scan_implILNS1_25lookback_scan_determinismE0ELb0ELb1ES3_N6thrust23THRUST_200600_302600_NS6detail15normal_iteratorINS9_10device_ptrIsEEEESE_sNS9_4plusIsEEsEEDaPvRmT3_T4_T5_mT6_P12ihipStream_tbENKUlT_T0_E_clISt17integral_constantIbLb1EEST_IbLb0EEEEDaSP_SQ_EUlSP_E_NS1_11comp_targetILNS1_3genE5ELNS1_11target_archE942ELNS1_3gpuE9ELNS1_3repE0EEENS1_30default_config_static_selectorELNS0_4arch9wavefront6targetE1EEEvT1_,@function
_ZN7rocprim17ROCPRIM_400000_NS6detail17trampoline_kernelINS0_14default_configENS1_20scan_config_selectorIsEEZZNS1_9scan_implILNS1_25lookback_scan_determinismE0ELb0ELb1ES3_N6thrust23THRUST_200600_302600_NS6detail15normal_iteratorINS9_10device_ptrIsEEEESE_sNS9_4plusIsEEsEEDaPvRmT3_T4_T5_mT6_P12ihipStream_tbENKUlT_T0_E_clISt17integral_constantIbLb1EEST_IbLb0EEEEDaSP_SQ_EUlSP_E_NS1_11comp_targetILNS1_3genE5ELNS1_11target_archE942ELNS1_3gpuE9ELNS1_3repE0EEENS1_30default_config_static_selectorELNS0_4arch9wavefront6targetE1EEEvT1_: ; @_ZN7rocprim17ROCPRIM_400000_NS6detail17trampoline_kernelINS0_14default_configENS1_20scan_config_selectorIsEEZZNS1_9scan_implILNS1_25lookback_scan_determinismE0ELb0ELb1ES3_N6thrust23THRUST_200600_302600_NS6detail15normal_iteratorINS9_10device_ptrIsEEEESE_sNS9_4plusIsEEsEEDaPvRmT3_T4_T5_mT6_P12ihipStream_tbENKUlT_T0_E_clISt17integral_constantIbLb1EEST_IbLb0EEEEDaSP_SQ_EUlSP_E_NS1_11comp_targetILNS1_3genE5ELNS1_11target_archE942ELNS1_3gpuE9ELNS1_3repE0EEENS1_30default_config_static_selectorELNS0_4arch9wavefront6targetE1EEEvT1_
; %bb.0:
	.section	.rodata,"a",@progbits
	.p2align	6, 0x0
	.amdhsa_kernel _ZN7rocprim17ROCPRIM_400000_NS6detail17trampoline_kernelINS0_14default_configENS1_20scan_config_selectorIsEEZZNS1_9scan_implILNS1_25lookback_scan_determinismE0ELb0ELb1ES3_N6thrust23THRUST_200600_302600_NS6detail15normal_iteratorINS9_10device_ptrIsEEEESE_sNS9_4plusIsEEsEEDaPvRmT3_T4_T5_mT6_P12ihipStream_tbENKUlT_T0_E_clISt17integral_constantIbLb1EEST_IbLb0EEEEDaSP_SQ_EUlSP_E_NS1_11comp_targetILNS1_3genE5ELNS1_11target_archE942ELNS1_3gpuE9ELNS1_3repE0EEENS1_30default_config_static_selectorELNS0_4arch9wavefront6targetE1EEEvT1_
		.amdhsa_group_segment_fixed_size 0
		.amdhsa_private_segment_fixed_size 0
		.amdhsa_kernarg_size 96
		.amdhsa_user_sgpr_count 6
		.amdhsa_user_sgpr_private_segment_buffer 1
		.amdhsa_user_sgpr_dispatch_ptr 0
		.amdhsa_user_sgpr_queue_ptr 0
		.amdhsa_user_sgpr_kernarg_segment_ptr 1
		.amdhsa_user_sgpr_dispatch_id 0
		.amdhsa_user_sgpr_flat_scratch_init 0
		.amdhsa_user_sgpr_kernarg_preload_length 0
		.amdhsa_user_sgpr_kernarg_preload_offset 0
		.amdhsa_user_sgpr_private_segment_size 0
		.amdhsa_uses_dynamic_stack 0
		.amdhsa_system_sgpr_private_segment_wavefront_offset 0
		.amdhsa_system_sgpr_workgroup_id_x 1
		.amdhsa_system_sgpr_workgroup_id_y 0
		.amdhsa_system_sgpr_workgroup_id_z 0
		.amdhsa_system_sgpr_workgroup_info 0
		.amdhsa_system_vgpr_workitem_id 0
		.amdhsa_next_free_vgpr 1
		.amdhsa_next_free_sgpr 0
		.amdhsa_accum_offset 4
		.amdhsa_reserve_vcc 0
		.amdhsa_reserve_flat_scratch 0
		.amdhsa_float_round_mode_32 0
		.amdhsa_float_round_mode_16_64 0
		.amdhsa_float_denorm_mode_32 3
		.amdhsa_float_denorm_mode_16_64 3
		.amdhsa_dx10_clamp 1
		.amdhsa_ieee_mode 1
		.amdhsa_fp16_overflow 0
		.amdhsa_tg_split 0
		.amdhsa_exception_fp_ieee_invalid_op 0
		.amdhsa_exception_fp_denorm_src 0
		.amdhsa_exception_fp_ieee_div_zero 0
		.amdhsa_exception_fp_ieee_overflow 0
		.amdhsa_exception_fp_ieee_underflow 0
		.amdhsa_exception_fp_ieee_inexact 0
		.amdhsa_exception_int_div_zero 0
	.end_amdhsa_kernel
	.section	.text._ZN7rocprim17ROCPRIM_400000_NS6detail17trampoline_kernelINS0_14default_configENS1_20scan_config_selectorIsEEZZNS1_9scan_implILNS1_25lookback_scan_determinismE0ELb0ELb1ES3_N6thrust23THRUST_200600_302600_NS6detail15normal_iteratorINS9_10device_ptrIsEEEESE_sNS9_4plusIsEEsEEDaPvRmT3_T4_T5_mT6_P12ihipStream_tbENKUlT_T0_E_clISt17integral_constantIbLb1EEST_IbLb0EEEEDaSP_SQ_EUlSP_E_NS1_11comp_targetILNS1_3genE5ELNS1_11target_archE942ELNS1_3gpuE9ELNS1_3repE0EEENS1_30default_config_static_selectorELNS0_4arch9wavefront6targetE1EEEvT1_,"axG",@progbits,_ZN7rocprim17ROCPRIM_400000_NS6detail17trampoline_kernelINS0_14default_configENS1_20scan_config_selectorIsEEZZNS1_9scan_implILNS1_25lookback_scan_determinismE0ELb0ELb1ES3_N6thrust23THRUST_200600_302600_NS6detail15normal_iteratorINS9_10device_ptrIsEEEESE_sNS9_4plusIsEEsEEDaPvRmT3_T4_T5_mT6_P12ihipStream_tbENKUlT_T0_E_clISt17integral_constantIbLb1EEST_IbLb0EEEEDaSP_SQ_EUlSP_E_NS1_11comp_targetILNS1_3genE5ELNS1_11target_archE942ELNS1_3gpuE9ELNS1_3repE0EEENS1_30default_config_static_selectorELNS0_4arch9wavefront6targetE1EEEvT1_,comdat
.Lfunc_end1304:
	.size	_ZN7rocprim17ROCPRIM_400000_NS6detail17trampoline_kernelINS0_14default_configENS1_20scan_config_selectorIsEEZZNS1_9scan_implILNS1_25lookback_scan_determinismE0ELb0ELb1ES3_N6thrust23THRUST_200600_302600_NS6detail15normal_iteratorINS9_10device_ptrIsEEEESE_sNS9_4plusIsEEsEEDaPvRmT3_T4_T5_mT6_P12ihipStream_tbENKUlT_T0_E_clISt17integral_constantIbLb1EEST_IbLb0EEEEDaSP_SQ_EUlSP_E_NS1_11comp_targetILNS1_3genE5ELNS1_11target_archE942ELNS1_3gpuE9ELNS1_3repE0EEENS1_30default_config_static_selectorELNS0_4arch9wavefront6targetE1EEEvT1_, .Lfunc_end1304-_ZN7rocprim17ROCPRIM_400000_NS6detail17trampoline_kernelINS0_14default_configENS1_20scan_config_selectorIsEEZZNS1_9scan_implILNS1_25lookback_scan_determinismE0ELb0ELb1ES3_N6thrust23THRUST_200600_302600_NS6detail15normal_iteratorINS9_10device_ptrIsEEEESE_sNS9_4plusIsEEsEEDaPvRmT3_T4_T5_mT6_P12ihipStream_tbENKUlT_T0_E_clISt17integral_constantIbLb1EEST_IbLb0EEEEDaSP_SQ_EUlSP_E_NS1_11comp_targetILNS1_3genE5ELNS1_11target_archE942ELNS1_3gpuE9ELNS1_3repE0EEENS1_30default_config_static_selectorELNS0_4arch9wavefront6targetE1EEEvT1_
                                        ; -- End function
	.section	.AMDGPU.csdata,"",@progbits
; Kernel info:
; codeLenInByte = 0
; NumSgprs: 4
; NumVgprs: 0
; NumAgprs: 0
; TotalNumVgprs: 0
; ScratchSize: 0
; MemoryBound: 0
; FloatMode: 240
; IeeeMode: 1
; LDSByteSize: 0 bytes/workgroup (compile time only)
; SGPRBlocks: 0
; VGPRBlocks: 0
; NumSGPRsForWavesPerEU: 4
; NumVGPRsForWavesPerEU: 1
; AccumOffset: 4
; Occupancy: 8
; WaveLimiterHint : 0
; COMPUTE_PGM_RSRC2:SCRATCH_EN: 0
; COMPUTE_PGM_RSRC2:USER_SGPR: 6
; COMPUTE_PGM_RSRC2:TRAP_HANDLER: 0
; COMPUTE_PGM_RSRC2:TGID_X_EN: 1
; COMPUTE_PGM_RSRC2:TGID_Y_EN: 0
; COMPUTE_PGM_RSRC2:TGID_Z_EN: 0
; COMPUTE_PGM_RSRC2:TIDIG_COMP_CNT: 0
; COMPUTE_PGM_RSRC3_GFX90A:ACCUM_OFFSET: 0
; COMPUTE_PGM_RSRC3_GFX90A:TG_SPLIT: 0
	.section	.text._ZN7rocprim17ROCPRIM_400000_NS6detail17trampoline_kernelINS0_14default_configENS1_20scan_config_selectorIsEEZZNS1_9scan_implILNS1_25lookback_scan_determinismE0ELb0ELb1ES3_N6thrust23THRUST_200600_302600_NS6detail15normal_iteratorINS9_10device_ptrIsEEEESE_sNS9_4plusIsEEsEEDaPvRmT3_T4_T5_mT6_P12ihipStream_tbENKUlT_T0_E_clISt17integral_constantIbLb1EEST_IbLb0EEEEDaSP_SQ_EUlSP_E_NS1_11comp_targetILNS1_3genE4ELNS1_11target_archE910ELNS1_3gpuE8ELNS1_3repE0EEENS1_30default_config_static_selectorELNS0_4arch9wavefront6targetE1EEEvT1_,"axG",@progbits,_ZN7rocprim17ROCPRIM_400000_NS6detail17trampoline_kernelINS0_14default_configENS1_20scan_config_selectorIsEEZZNS1_9scan_implILNS1_25lookback_scan_determinismE0ELb0ELb1ES3_N6thrust23THRUST_200600_302600_NS6detail15normal_iteratorINS9_10device_ptrIsEEEESE_sNS9_4plusIsEEsEEDaPvRmT3_T4_T5_mT6_P12ihipStream_tbENKUlT_T0_E_clISt17integral_constantIbLb1EEST_IbLb0EEEEDaSP_SQ_EUlSP_E_NS1_11comp_targetILNS1_3genE4ELNS1_11target_archE910ELNS1_3gpuE8ELNS1_3repE0EEENS1_30default_config_static_selectorELNS0_4arch9wavefront6targetE1EEEvT1_,comdat
	.protected	_ZN7rocprim17ROCPRIM_400000_NS6detail17trampoline_kernelINS0_14default_configENS1_20scan_config_selectorIsEEZZNS1_9scan_implILNS1_25lookback_scan_determinismE0ELb0ELb1ES3_N6thrust23THRUST_200600_302600_NS6detail15normal_iteratorINS9_10device_ptrIsEEEESE_sNS9_4plusIsEEsEEDaPvRmT3_T4_T5_mT6_P12ihipStream_tbENKUlT_T0_E_clISt17integral_constantIbLb1EEST_IbLb0EEEEDaSP_SQ_EUlSP_E_NS1_11comp_targetILNS1_3genE4ELNS1_11target_archE910ELNS1_3gpuE8ELNS1_3repE0EEENS1_30default_config_static_selectorELNS0_4arch9wavefront6targetE1EEEvT1_ ; -- Begin function _ZN7rocprim17ROCPRIM_400000_NS6detail17trampoline_kernelINS0_14default_configENS1_20scan_config_selectorIsEEZZNS1_9scan_implILNS1_25lookback_scan_determinismE0ELb0ELb1ES3_N6thrust23THRUST_200600_302600_NS6detail15normal_iteratorINS9_10device_ptrIsEEEESE_sNS9_4plusIsEEsEEDaPvRmT3_T4_T5_mT6_P12ihipStream_tbENKUlT_T0_E_clISt17integral_constantIbLb1EEST_IbLb0EEEEDaSP_SQ_EUlSP_E_NS1_11comp_targetILNS1_3genE4ELNS1_11target_archE910ELNS1_3gpuE8ELNS1_3repE0EEENS1_30default_config_static_selectorELNS0_4arch9wavefront6targetE1EEEvT1_
	.globl	_ZN7rocprim17ROCPRIM_400000_NS6detail17trampoline_kernelINS0_14default_configENS1_20scan_config_selectorIsEEZZNS1_9scan_implILNS1_25lookback_scan_determinismE0ELb0ELb1ES3_N6thrust23THRUST_200600_302600_NS6detail15normal_iteratorINS9_10device_ptrIsEEEESE_sNS9_4plusIsEEsEEDaPvRmT3_T4_T5_mT6_P12ihipStream_tbENKUlT_T0_E_clISt17integral_constantIbLb1EEST_IbLb0EEEEDaSP_SQ_EUlSP_E_NS1_11comp_targetILNS1_3genE4ELNS1_11target_archE910ELNS1_3gpuE8ELNS1_3repE0EEENS1_30default_config_static_selectorELNS0_4arch9wavefront6targetE1EEEvT1_
	.p2align	8
	.type	_ZN7rocprim17ROCPRIM_400000_NS6detail17trampoline_kernelINS0_14default_configENS1_20scan_config_selectorIsEEZZNS1_9scan_implILNS1_25lookback_scan_determinismE0ELb0ELb1ES3_N6thrust23THRUST_200600_302600_NS6detail15normal_iteratorINS9_10device_ptrIsEEEESE_sNS9_4plusIsEEsEEDaPvRmT3_T4_T5_mT6_P12ihipStream_tbENKUlT_T0_E_clISt17integral_constantIbLb1EEST_IbLb0EEEEDaSP_SQ_EUlSP_E_NS1_11comp_targetILNS1_3genE4ELNS1_11target_archE910ELNS1_3gpuE8ELNS1_3repE0EEENS1_30default_config_static_selectorELNS0_4arch9wavefront6targetE1EEEvT1_,@function
_ZN7rocprim17ROCPRIM_400000_NS6detail17trampoline_kernelINS0_14default_configENS1_20scan_config_selectorIsEEZZNS1_9scan_implILNS1_25lookback_scan_determinismE0ELb0ELb1ES3_N6thrust23THRUST_200600_302600_NS6detail15normal_iteratorINS9_10device_ptrIsEEEESE_sNS9_4plusIsEEsEEDaPvRmT3_T4_T5_mT6_P12ihipStream_tbENKUlT_T0_E_clISt17integral_constantIbLb1EEST_IbLb0EEEEDaSP_SQ_EUlSP_E_NS1_11comp_targetILNS1_3genE4ELNS1_11target_archE910ELNS1_3gpuE8ELNS1_3repE0EEENS1_30default_config_static_selectorELNS0_4arch9wavefront6targetE1EEEvT1_: ; @_ZN7rocprim17ROCPRIM_400000_NS6detail17trampoline_kernelINS0_14default_configENS1_20scan_config_selectorIsEEZZNS1_9scan_implILNS1_25lookback_scan_determinismE0ELb0ELb1ES3_N6thrust23THRUST_200600_302600_NS6detail15normal_iteratorINS9_10device_ptrIsEEEESE_sNS9_4plusIsEEsEEDaPvRmT3_T4_T5_mT6_P12ihipStream_tbENKUlT_T0_E_clISt17integral_constantIbLb1EEST_IbLb0EEEEDaSP_SQ_EUlSP_E_NS1_11comp_targetILNS1_3genE4ELNS1_11target_archE910ELNS1_3gpuE8ELNS1_3repE0EEENS1_30default_config_static_selectorELNS0_4arch9wavefront6targetE1EEEvT1_
; %bb.0:
	s_load_dwordx8 s[16:23], s[4:5], 0x0
	s_load_dword s1, s[4:5], 0x30
	s_mul_i32 s0, s6, 0x600
	v_lshlrev_b32_e32 v20, 1, v0
	s_waitcnt lgkmcnt(0)
	s_lshl_b64 s[24:25], s[18:19], 1
	s_add_u32 s2, s16, s24
	s_addc_u32 s3, s17, s25
	s_add_i32 s7, s1, -1
	s_mul_i32 s8, s7, 0x600
	s_sub_u32 s30, s22, s8
	s_subb_u32 s31, s23, 0
	s_mov_b32 s1, 0
	s_cmp_lg_u32 s6, s7
	s_cselect_b64 s[22:23], -1, 0
	s_lshl_b64 s[26:27], s[0:1], 1
	s_add_u32 s2, s2, s26
	s_addc_u32 s3, s3, s27
	s_mov_b64 s[0:1], -1
	s_and_b64 vcc, exec, s[22:23]
	s_cbranch_vccz .LBB1305_2
; %bb.1:
	v_mov_b32_e32 v1, s3
	v_add_co_u32_e32 v2, vcc, s2, v20
	v_addc_co_u32_e32 v3, vcc, 0, v1, vcc
	flat_load_ushort v1, v[2:3]
	flat_load_ushort v4, v[2:3] offset:128
	flat_load_ushort v5, v[2:3] offset:256
	;; [unrolled: 1-line block ×23, first 2 shown]
	s_mov_b64 s[0:1], 0
	s_waitcnt vmcnt(0) lgkmcnt(0)
	ds_write_b16 v20, v1
	ds_write_b16 v20, v4 offset:128
	ds_write_b16 v20, v5 offset:256
	;; [unrolled: 1-line block ×23, first 2 shown]
	s_waitcnt lgkmcnt(0)
	; wave barrier
.LBB1305_2:
	s_load_dwordx2 s[28:29], s[4:5], 0x28
	s_andn2_b64 vcc, exec, s[0:1]
	v_cmp_gt_u32_e64 s[0:1], s30, v0
	s_cbranch_vccnz .LBB1305_52
; %bb.3:
	v_pk_mov_b32 v[2:3], s[2:3], s[2:3] op_sel:[0,1]
	flat_load_ushort v1, v[2:3]
	s_waitcnt vmcnt(0) lgkmcnt(0)
	v_mov_b32_e32 v2, v1
	s_and_saveexec_b64 s[8:9], s[0:1]
	s_cbranch_execz .LBB1305_5
; %bb.4:
	v_mov_b32_e32 v3, s3
	v_add_co_u32_e32 v2, vcc, s2, v20
	v_addc_co_u32_e32 v3, vcc, 0, v3, vcc
	flat_load_ushort v2, v[2:3]
.LBB1305_5:
	s_or_b64 exec, exec, s[8:9]
	v_or_b32_e32 v3, 64, v0
	v_cmp_gt_u32_e32 vcc, s30, v3
	v_mov_b32_e32 v3, v1
	s_and_saveexec_b64 s[0:1], vcc
	s_cbranch_execz .LBB1305_7
; %bb.6:
	v_mov_b32_e32 v3, s3
	v_add_co_u32_e32 v4, vcc, s2, v20
	v_addc_co_u32_e32 v5, vcc, 0, v3, vcc
	flat_load_ushort v3, v[4:5] offset:128
.LBB1305_7:
	s_or_b64 exec, exec, s[0:1]
	v_or_b32_e32 v4, 0x80, v0
	v_cmp_gt_u32_e32 vcc, s30, v4
	v_mov_b32_e32 v4, v1
	s_and_saveexec_b64 s[0:1], vcc
	s_cbranch_execz .LBB1305_9
; %bb.8:
	v_mov_b32_e32 v5, s3
	v_add_co_u32_e32 v4, vcc, s2, v20
	v_addc_co_u32_e32 v5, vcc, 0, v5, vcc
	flat_load_ushort v4, v[4:5] offset:256
.LBB1305_9:
	;; [unrolled: 12-line block ×22, first 2 shown]
	s_or_b64 exec, exec, s[0:1]
	v_or_b32_e32 v26, 0x5c0, v0
	v_cmp_gt_u32_e32 vcc, s30, v26
	s_and_saveexec_b64 s[0:1], vcc
	s_cbranch_execz .LBB1305_51
; %bb.50:
	v_mov_b32_e32 v1, s3
	v_add_co_u32_e32 v26, vcc, s2, v20
	v_addc_co_u32_e32 v27, vcc, 0, v1, vcc
	flat_load_ushort v1, v[26:27] offset:2944
.LBB1305_51:
	s_or_b64 exec, exec, s[0:1]
	s_waitcnt vmcnt(0) lgkmcnt(0)
	ds_write_b16 v20, v2
	ds_write_b16 v20, v3 offset:128
	ds_write_b16 v20, v4 offset:256
	;; [unrolled: 1-line block ×23, first 2 shown]
	s_waitcnt lgkmcnt(0)
	; wave barrier
.LBB1305_52:
	v_mul_u32_u24_e32 v21, 24, v0
	v_lshlrev_b32_e32 v1, 1, v21
	s_waitcnt lgkmcnt(0)
	ds_read_b128 v[10:13], v1
	ds_read_b128 v[6:9], v1 offset:16
	ds_read_b128 v[2:5], v1 offset:32
	s_cmp_lg_u32 s6, 0
	v_mbcnt_lo_u32_b32 v22, -1, 0
	v_cmp_eq_u32_e32 vcc, 63, v0
	s_waitcnt lgkmcnt(0)
	; wave barrier
	s_waitcnt lgkmcnt(0)
	s_cbranch_scc0 .LBB1305_79
; %bb.53:
	v_add_u16_sdwa v14, v10, v10 dst_sel:DWORD dst_unused:UNUSED_PAD src0_sel:WORD_1 src1_sel:DWORD
	v_add_u16_e32 v14, v14, v11
	v_add_u16_sdwa v14, v14, v11 dst_sel:DWORD dst_unused:UNUSED_PAD src0_sel:DWORD src1_sel:WORD_1
	v_add_u16_e32 v14, v14, v12
	v_add_u16_sdwa v14, v14, v12 dst_sel:DWORD dst_unused:UNUSED_PAD src0_sel:DWORD src1_sel:WORD_1
	v_add_u16_e32 v14, v14, v13
	v_add_u16_sdwa v14, v14, v13 dst_sel:DWORD dst_unused:UNUSED_PAD src0_sel:DWORD src1_sel:WORD_1
	v_add_u16_e32 v14, v14, v6
	v_add_u16_sdwa v14, v14, v6 dst_sel:DWORD dst_unused:UNUSED_PAD src0_sel:DWORD src1_sel:WORD_1
	v_add_u16_e32 v14, v14, v7
	v_add_u16_sdwa v14, v14, v7 dst_sel:DWORD dst_unused:UNUSED_PAD src0_sel:DWORD src1_sel:WORD_1
	v_add_u16_e32 v14, v14, v8
	v_add_u16_sdwa v14, v14, v8 dst_sel:DWORD dst_unused:UNUSED_PAD src0_sel:DWORD src1_sel:WORD_1
	v_add_u16_e32 v14, v14, v9
	v_add_u16_sdwa v14, v14, v9 dst_sel:DWORD dst_unused:UNUSED_PAD src0_sel:DWORD src1_sel:WORD_1
	v_add_u16_e32 v14, v14, v2
	v_add_u16_sdwa v14, v14, v2 dst_sel:DWORD dst_unused:UNUSED_PAD src0_sel:DWORD src1_sel:WORD_1
	v_add_u16_e32 v14, v14, v3
	v_add_u16_sdwa v14, v14, v3 dst_sel:DWORD dst_unused:UNUSED_PAD src0_sel:DWORD src1_sel:WORD_1
	v_add_u16_e32 v14, v14, v4
	v_add_u16_sdwa v14, v14, v4 dst_sel:DWORD dst_unused:UNUSED_PAD src0_sel:DWORD src1_sel:WORD_1
	v_add_u16_e32 v14, v14, v5
	v_mbcnt_hi_u32_b32 v15, -1, v22
	v_add_u16_sdwa v14, v14, v5 dst_sel:DWORD dst_unused:UNUSED_PAD src0_sel:DWORD src1_sel:WORD_1
	v_and_b32_e32 v16, 15, v15
	v_cmp_ne_u32_e64 s[0:1], 0, v16
	v_mov_b32_dpp v17, v14 row_shr:1 row_mask:0xf bank_mask:0xf
	v_cndmask_b32_e64 v17, 0, v17, s[0:1]
	v_add_u16_e32 v14, v17, v14
	v_cmp_lt_u32_e64 s[0:1], 1, v16
	s_nop 0
	v_mov_b32_dpp v17, v14 row_shr:2 row_mask:0xf bank_mask:0xf
	v_cndmask_b32_e64 v17, 0, v17, s[0:1]
	v_add_u16_e32 v14, v14, v17
	v_cmp_lt_u32_e64 s[0:1], 3, v16
	s_nop 0
	;; [unrolled: 5-line block ×3, first 2 shown]
	v_mov_b32_dpp v17, v14 row_shr:8 row_mask:0xf bank_mask:0xf
	v_cndmask_b32_e64 v16, 0, v17, s[0:1]
	v_add_u16_e32 v14, v14, v16
	v_and_b32_e32 v17, 16, v15
	v_cmp_ne_u32_e64 s[0:1], 0, v17
	v_mov_b32_dpp v16, v14 row_bcast:15 row_mask:0xf bank_mask:0xf
	v_cndmask_b32_e64 v16, 0, v16, s[0:1]
	v_add_u16_e32 v14, v14, v16
	v_cmp_lt_u32_e64 s[0:1], 31, v15
	s_nop 0
	v_mov_b32_dpp v16, v14 row_bcast:31 row_mask:0xf bank_mask:0xf
	v_cndmask_b32_e64 v16, 0, v16, s[0:1]
	v_add_u16_e32 v14, v14, v16
	s_and_saveexec_b64 s[0:1], vcc
	s_cbranch_execz .LBB1305_55
; %bb.54:
	v_mov_b32_e32 v16, 0
	ds_write_b16 v16, v14
.LBB1305_55:
	s_or_b64 exec, exec, s[0:1]
	v_add_u32_e32 v16, -1, v15
	v_and_b32_e32 v17, 64, v15
	v_cmp_lt_i32_e32 vcc, v16, v17
	v_cndmask_b32_e32 v16, v16, v15, vcc
	v_lshlrev_b32_e32 v16, 2, v16
	ds_bpermute_b32 v23, v16, v14
	v_cmp_gt_u32_e32 vcc, 64, v0
	s_waitcnt lgkmcnt(0)
	; wave barrier
	s_waitcnt lgkmcnt(0)
	s_and_saveexec_b64 s[10:11], vcc
	s_cbranch_execz .LBB1305_78
; %bb.56:
	v_mov_b32_e32 v19, 0
	ds_read_u16 v24, v19
	s_mov_b32 s9, 0
	v_cmp_eq_u32_e64 s[0:1], 0, v15
	s_and_saveexec_b64 s[2:3], s[0:1]
	s_cbranch_execz .LBB1305_58
; %bb.57:
	s_add_i32 s8, s6, 64
	s_lshl_b64 s[8:9], s[8:9], 2
	s_add_u32 s8, s28, s8
	s_waitcnt lgkmcnt(0)
	v_or_b32_e32 v14, 0x10000, v24
	s_addc_u32 s9, s29, s9
	global_store_dword v19, v14, s[8:9]
.LBB1305_58:
	s_or_b64 exec, exec, s[2:3]
	v_xad_u32 v14, v15, -1, s6
	v_add_u32_e32 v18, 64, v14
	v_lshlrev_b64 v[16:17], 2, v[18:19]
	v_mov_b32_e32 v18, s29
	v_add_co_u32_e32 v16, vcc, s28, v16
	v_addc_co_u32_e32 v17, vcc, v18, v17, vcc
	global_load_dword v18, v[16:17], off glc
	s_waitcnt vmcnt(0)
	v_lshrrev_b32_e32 v28, 16, v18
	v_cmp_eq_u16_sdwa s[8:9], v28, v19 src0_sel:BYTE_0 src1_sel:DWORD
	s_and_saveexec_b64 s[2:3], s[8:9]
	s_cbranch_execz .LBB1305_64
; %bb.59:
	s_mov_b32 s7, 1
	s_mov_b64 s[8:9], 0
	v_mov_b32_e32 v19, 0
.LBB1305_60:                            ; =>This Loop Header: Depth=1
                                        ;     Child Loop BB1305_61 Depth 2
	s_max_u32 s12, s7, 1
.LBB1305_61:                            ;   Parent Loop BB1305_60 Depth=1
                                        ; =>  This Inner Loop Header: Depth=2
	s_add_i32 s12, s12, -1
	s_cmp_eq_u32 s12, 0
	s_sleep 1
	s_cbranch_scc0 .LBB1305_61
; %bb.62:                               ;   in Loop: Header=BB1305_60 Depth=1
	global_load_dword v18, v[16:17], off glc
	s_cmp_lt_u32 s7, 32
	s_cselect_b64 s[12:13], -1, 0
	s_cmp_lg_u64 s[12:13], 0
	s_addc_u32 s7, s7, 0
	s_waitcnt vmcnt(0)
	v_lshrrev_b32_e32 v28, 16, v18
	v_cmp_ne_u16_sdwa s[12:13], v28, v19 src0_sel:BYTE_0 src1_sel:DWORD
	s_or_b64 s[8:9], s[12:13], s[8:9]
	s_andn2_b64 exec, exec, s[8:9]
	s_cbranch_execnz .LBB1305_60
; %bb.63:
	s_or_b64 exec, exec, s[8:9]
.LBB1305_64:
	s_or_b64 exec, exec, s[2:3]
	v_and_b32_e32 v26, 63, v15
	v_cmp_ne_u32_e32 vcc, 63, v26
	v_mov_b32_e32 v25, 2
	v_addc_co_u32_e32 v27, vcc, 0, v15, vcc
	v_cmp_eq_u16_sdwa s[2:3], v28, v25 src0_sel:BYTE_0 src1_sel:DWORD
	v_lshlrev_b64 v[16:17], v15, -1
	v_and_b32_e32 v30, 0xffff, v18
	v_lshlrev_b32_e32 v27, 2, v27
	v_and_b32_e32 v19, s3, v17
	ds_bpermute_b32 v31, v27, v30
	v_or_b32_e32 v19, 0x80000000, v19
	v_and_b32_e32 v29, s2, v16
	v_ffbl_b32_e32 v19, v19
	v_add_u32_e32 v19, 32, v19
	v_ffbl_b32_e32 v29, v29
	v_cmp_gt_u32_e64 s[2:3], 62, v26
	v_min_u32_e32 v19, v29, v19
	v_cndmask_b32_e64 v29, 0, 1, s[2:3]
	s_waitcnt lgkmcnt(0)
	v_add_u16_e32 v31, v31, v18
	v_cmp_lt_u32_e32 vcc, v26, v19
	v_lshlrev_b32_e32 v29, 1, v29
	v_cndmask_b32_e32 v32, v30, v31, vcc
	v_add_lshl_u32 v29, v29, v15, 2
	ds_bpermute_b32 v33, v29, v32
	v_cmp_gt_u32_e64 s[8:9], 60, v26
	v_cndmask_b32_e32 v34, v18, v31, vcc
	v_add_u32_e32 v30, 2, v26
	v_cndmask_b32_e64 v31, 0, 1, s[8:9]
	s_waitcnt lgkmcnt(0)
	v_add_u16_e32 v33, v34, v33
	v_cmp_gt_u32_e64 s[2:3], v30, v19
	v_lshlrev_b32_e32 v31, 2, v31
	v_cndmask_b32_e64 v35, v33, v32, s[2:3]
	v_add_lshl_u32 v31, v31, v15, 2
	ds_bpermute_b32 v36, v31, v35
	v_cmp_gt_u32_e64 s[8:9], 56, v26
	v_cndmask_b32_e64 v34, v33, v34, s[2:3]
	v_add_u32_e32 v32, 4, v26
	v_cndmask_b32_e64 v33, 0, 1, s[8:9]
	s_waitcnt lgkmcnt(0)
	v_add_u16_e32 v36, v34, v36
	v_cmp_gt_u32_e64 s[2:3], v32, v19
	v_lshlrev_b32_e32 v33, 3, v33
	v_cndmask_b32_e64 v35, v36, v35, s[2:3]
	v_add_lshl_u32 v33, v33, v15, 2
	ds_bpermute_b32 v37, v33, v35
	v_cndmask_b32_e64 v36, v36, v34, s[2:3]
	v_add_u32_e32 v34, 8, v26
	v_cmp_gt_u32_e64 s[2:3], v34, v19
	v_cmp_gt_u32_e64 s[8:9], 48, v26
	s_waitcnt lgkmcnt(0)
	v_add_u16_e32 v37, v36, v37
	v_cndmask_b32_e64 v38, v37, v35, s[2:3]
	v_cndmask_b32_e64 v35, 0, 1, s[8:9]
	v_lshlrev_b32_e32 v35, 4, v35
	v_add_lshl_u32 v35, v35, v15, 2
	ds_bpermute_b32 v39, v35, v38
	v_cndmask_b32_e64 v37, v37, v36, s[2:3]
	v_add_u32_e32 v36, 16, v26
	v_cmp_gt_u32_e64 s[2:3], v36, v19
	v_cmp_gt_u32_e64 s[8:9], 32, v26
	s_waitcnt lgkmcnt(0)
	v_add_u16_e32 v40, v37, v39
	v_cndmask_b32_e64 v39, v40, v38, s[2:3]
	v_cndmask_b32_e64 v38, 0, 1, s[8:9]
	v_lshlrev_b32_e32 v38, 5, v38
	v_add_lshl_u32 v38, v38, v15, 2
	ds_bpermute_b32 v15, v38, v39
	v_add_u32_e32 v39, 32, v26
	v_cndmask_b32_e64 v37, v40, v37, s[2:3]
	v_cmp_le_u32_e64 s[2:3], v39, v19
	s_waitcnt lgkmcnt(0)
	v_cndmask_b32_e64 v15, 0, v15, s[2:3]
	v_add_u16_e32 v15, v37, v15
	v_cndmask_b32_e32 v18, v18, v15, vcc
	v_mov_b32_e32 v15, 0
	s_branch .LBB1305_66
.LBB1305_65:                            ;   in Loop: Header=BB1305_66 Depth=1
	s_or_b64 exec, exec, s[2:3]
	v_cmp_eq_u16_sdwa s[2:3], v28, v25 src0_sel:BYTE_0 src1_sel:DWORD
	v_and_b32_e32 v41, 0xffff, v40
	v_and_b32_e32 v18, s3, v17
	ds_bpermute_b32 v42, v27, v41
	v_or_b32_e32 v18, 0x80000000, v18
	v_and_b32_e32 v19, s2, v16
	v_ffbl_b32_e32 v18, v18
	v_add_u32_e32 v18, 32, v18
	v_ffbl_b32_e32 v19, v19
	v_min_u32_e32 v18, v19, v18
	s_waitcnt lgkmcnt(0)
	v_add_u16_e32 v19, v42, v40
	v_cmp_lt_u32_e32 vcc, v26, v18
	v_cndmask_b32_e32 v41, v41, v19, vcc
	ds_bpermute_b32 v42, v29, v41
	v_cndmask_b32_e32 v19, v40, v19, vcc
	v_cmp_gt_u32_e64 s[2:3], v30, v18
	v_subrev_u32_e32 v14, 64, v14
	s_waitcnt lgkmcnt(0)
	v_add_u16_e32 v42, v19, v42
	v_cndmask_b32_e64 v41, v42, v41, s[2:3]
	ds_bpermute_b32 v43, v31, v41
	v_cndmask_b32_e64 v19, v42, v19, s[2:3]
	v_cmp_gt_u32_e64 s[2:3], v32, v18
	s_waitcnt lgkmcnt(0)
	v_add_u16_e32 v42, v19, v43
	v_cndmask_b32_e64 v41, v42, v41, s[2:3]
	ds_bpermute_b32 v43, v33, v41
	v_cndmask_b32_e64 v19, v42, v19, s[2:3]
	v_cmp_gt_u32_e64 s[2:3], v34, v18
	;; [unrolled: 6-line block ×3, first 2 shown]
	s_waitcnt lgkmcnt(0)
	v_add_u16_e32 v42, v19, v43
	v_cndmask_b32_e64 v41, v42, v41, s[2:3]
	ds_bpermute_b32 v41, v38, v41
	v_cndmask_b32_e64 v19, v42, v19, s[2:3]
	v_cmp_le_u32_e64 s[2:3], v39, v18
	s_waitcnt lgkmcnt(0)
	v_cndmask_b32_e64 v18, 0, v41, s[2:3]
	v_add_u16_e32 v18, v19, v18
	v_cndmask_b32_e32 v18, v40, v18, vcc
	v_add_u16_e32 v18, v18, v37
.LBB1305_66:                            ; =>This Loop Header: Depth=1
                                        ;     Child Loop BB1305_69 Depth 2
                                        ;       Child Loop BB1305_70 Depth 3
	v_cmp_ne_u16_sdwa s[2:3], v28, v25 src0_sel:BYTE_0 src1_sel:DWORD
	v_cndmask_b32_e64 v19, 0, 1, s[2:3]
	;;#ASMSTART
	;;#ASMEND
	v_cmp_ne_u32_e32 vcc, 0, v19
	s_cmp_lg_u64 vcc, exec
	v_mov_b32_e32 v37, v18
	s_cbranch_scc1 .LBB1305_73
; %bb.67:                               ;   in Loop: Header=BB1305_66 Depth=1
	v_lshlrev_b64 v[18:19], 2, v[14:15]
	v_mov_b32_e32 v28, s29
	v_add_co_u32_e32 v18, vcc, s28, v18
	v_addc_co_u32_e32 v19, vcc, v28, v19, vcc
	global_load_dword v40, v[18:19], off glc
	s_waitcnt vmcnt(0)
	v_lshrrev_b32_e32 v28, 16, v40
	v_cmp_eq_u16_sdwa s[8:9], v28, v15 src0_sel:BYTE_0 src1_sel:DWORD
	s_and_saveexec_b64 s[2:3], s[8:9]
	s_cbranch_execz .LBB1305_65
; %bb.68:                               ;   in Loop: Header=BB1305_66 Depth=1
	s_mov_b32 s7, 1
	s_mov_b64 s[8:9], 0
.LBB1305_69:                            ;   Parent Loop BB1305_66 Depth=1
                                        ; =>  This Loop Header: Depth=2
                                        ;       Child Loop BB1305_70 Depth 3
	s_max_u32 s12, s7, 1
.LBB1305_70:                            ;   Parent Loop BB1305_66 Depth=1
                                        ;     Parent Loop BB1305_69 Depth=2
                                        ; =>    This Inner Loop Header: Depth=3
	s_add_i32 s12, s12, -1
	s_cmp_eq_u32 s12, 0
	s_sleep 1
	s_cbranch_scc0 .LBB1305_70
; %bb.71:                               ;   in Loop: Header=BB1305_69 Depth=2
	global_load_dword v40, v[18:19], off glc
	s_cmp_lt_u32 s7, 32
	s_cselect_b64 s[12:13], -1, 0
	s_cmp_lg_u64 s[12:13], 0
	s_addc_u32 s7, s7, 0
	s_waitcnt vmcnt(0)
	v_lshrrev_b32_e32 v28, 16, v40
	v_cmp_ne_u16_sdwa s[12:13], v28, v15 src0_sel:BYTE_0 src1_sel:DWORD
	s_or_b64 s[8:9], s[12:13], s[8:9]
	s_andn2_b64 exec, exec, s[8:9]
	s_cbranch_execnz .LBB1305_69
; %bb.72:                               ;   in Loop: Header=BB1305_66 Depth=1
	s_or_b64 exec, exec, s[8:9]
	s_branch .LBB1305_65
.LBB1305_73:                            ;   in Loop: Header=BB1305_66 Depth=1
                                        ; implicit-def: $vgpr18
                                        ; implicit-def: $vgpr28
	s_cbranch_execz .LBB1305_66
; %bb.74:
	s_and_saveexec_b64 s[2:3], s[0:1]
	s_cbranch_execz .LBB1305_76
; %bb.75:
	s_add_i32 s0, s6, 64
	s_mov_b32 s1, 0
	s_lshl_b64 s[0:1], s[0:1], 2
	v_add_u16_e32 v14, v37, v24
	s_add_u32 s0, s28, s0
	v_or_b32_e32 v14, 0x20000, v14
	s_addc_u32 s1, s29, s1
	v_mov_b32_e32 v15, 0
	global_store_dword v15, v14, s[0:1]
.LBB1305_76:
	s_or_b64 exec, exec, s[2:3]
	v_cmp_eq_u32_e32 vcc, 0, v0
	s_and_b64 exec, exec, vcc
	s_cbranch_execz .LBB1305_78
; %bb.77:
	v_mov_b32_e32 v14, 0
	ds_write_b16 v14, v37
.LBB1305_78:
	s_or_b64 exec, exec, s[10:11]
	v_mov_b32_e32 v14, 0
	s_waitcnt lgkmcnt(0)
	; wave barrier
	s_waitcnt lgkmcnt(0)
	ds_read_u16 v14, v14
	v_cmp_ne_u32_e32 vcc, 0, v0
	v_cndmask_b32_e32 v15, 0, v23, vcc
	v_add_u16_e32 v15, v15, v10
	s_waitcnt lgkmcnt(0)
	v_add_u16_e32 v14, v15, v14
	v_add_u16_sdwa v15, v14, v10 dst_sel:DWORD dst_unused:UNUSED_PAD src0_sel:DWORD src1_sel:WORD_1
	v_add_u16_e32 v16, v15, v11
	v_add_u16_sdwa v18, v16, v11 dst_sel:DWORD dst_unused:UNUSED_PAD src0_sel:DWORD src1_sel:WORD_1
	v_add_u16_e32 v19, v18, v12
	v_add_u16_sdwa v23, v19, v12 dst_sel:DWORD dst_unused:UNUSED_PAD src0_sel:DWORD src1_sel:WORD_1
	v_add_u16_e32 v31, v23, v13
	v_add_u16_sdwa v38, v31, v13 dst_sel:DWORD dst_unused:UNUSED_PAD src0_sel:DWORD src1_sel:WORD_1
	v_add_u16_e32 v28, v38, v6
	v_add_u16_sdwa v35, v28, v6 dst_sel:DWORD dst_unused:UNUSED_PAD src0_sel:DWORD src1_sel:WORD_1
	v_add_u16_e32 v43, v35, v7
	v_add_u16_sdwa v49, v43, v7 dst_sel:DWORD dst_unused:UNUSED_PAD src0_sel:DWORD src1_sel:WORD_1
	v_add_u16_e32 v53, v49, v8
	v_add_u16_sdwa v54, v53, v8 dst_sel:DWORD dst_unused:UNUSED_PAD src0_sel:DWORD src1_sel:WORD_1
	v_add_u16_e32 v56, v54, v9
	v_add_u16_sdwa v58, v56, v9 dst_sel:DWORD dst_unused:UNUSED_PAD src0_sel:DWORD src1_sel:WORD_1
	v_add_u16_e32 v55, v58, v2
	v_add_u16_sdwa v57, v55, v2 dst_sel:DWORD dst_unused:UNUSED_PAD src0_sel:DWORD src1_sel:WORD_1
	v_add_u16_e32 v59, v57, v3
	v_add_u16_sdwa v60, v59, v3 dst_sel:DWORD dst_unused:UNUSED_PAD src0_sel:DWORD src1_sel:WORD_1
	v_add_u16_e32 v61, v60, v4
	v_add_u16_sdwa v62, v61, v4 dst_sel:DWORD dst_unused:UNUSED_PAD src0_sel:DWORD src1_sel:WORD_1
	v_add_u16_e32 v63, v62, v5
	v_add_u16_sdwa v64, v63, v5 dst_sel:DWORD dst_unused:UNUSED_PAD src0_sel:DWORD src1_sel:WORD_1
	s_load_dwordx8 s[12:19], s[4:5], 0x38
	s_branch .LBB1305_97
.LBB1305_79:
                                        ; implicit-def: $vgpr14
                                        ; implicit-def: $vgpr15
                                        ; implicit-def: $vgpr16
                                        ; implicit-def: $vgpr18
                                        ; implicit-def: $vgpr19
                                        ; implicit-def: $vgpr23
                                        ; implicit-def: $vgpr31
                                        ; implicit-def: $vgpr38
                                        ; implicit-def: $vgpr28
                                        ; implicit-def: $vgpr35
                                        ; implicit-def: $vgpr43
                                        ; implicit-def: $vgpr49
                                        ; implicit-def: $vgpr53
                                        ; implicit-def: $vgpr54
                                        ; implicit-def: $vgpr56
                                        ; implicit-def: $vgpr58
                                        ; implicit-def: $vgpr55
                                        ; implicit-def: $vgpr57
                                        ; implicit-def: $vgpr59
                                        ; implicit-def: $vgpr60
                                        ; implicit-def: $vgpr61
                                        ; implicit-def: $vgpr62
                                        ; implicit-def: $vgpr63
                                        ; implicit-def: $vgpr64
	s_load_dwordx8 s[12:19], s[4:5], 0x38
	s_cbranch_execz .LBB1305_97
; %bb.80:
	s_waitcnt lgkmcnt(0)
	s_cmp_lg_u64 s[16:17], 0
	s_cselect_b64 s[2:3], -1, 0
	s_cmp_eq_u64 s[16:17], 0
	v_cmp_eq_u32_e32 vcc, 0, v0
	s_cselect_b64 s[8:9], -1, 0
	v_cmp_ne_u32_e64 s[0:1], 0, v0
	s_and_b64 s[6:7], vcc, s[2:3]
	v_mov_b32_e32 v17, v10
	s_and_saveexec_b64 s[2:3], s[6:7]
	s_cbranch_execz .LBB1305_82
; %bb.81:
	v_mov_b32_e32 v14, 0
	global_load_ushort v14, v14, s[12:13]
	s_waitcnt vmcnt(0)
	v_add_u16_e32 v17, v14, v10
.LBB1305_82:
	s_or_b64 exec, exec, s[2:3]
	v_add_u16_sdwa v24, v17, v10 dst_sel:DWORD dst_unused:UNUSED_PAD src0_sel:DWORD src1_sel:WORD_1
	v_add_u16_e32 v25, v24, v11
	v_add_u16_sdwa v26, v25, v11 dst_sel:DWORD dst_unused:UNUSED_PAD src0_sel:DWORD src1_sel:WORD_1
	v_add_u16_e32 v27, v26, v12
	;; [unrolled: 2-line block ×10, first 2 shown]
	v_add_u16_sdwa v50, v48, v4 dst_sel:DWORD dst_unused:UNUSED_PAD src0_sel:DWORD src1_sel:WORD_1
	v_mbcnt_hi_u32_b32 v22, -1, v22
	v_add_u16_e32 v51, v50, v5
	v_and_b32_e32 v14, 15, v22
	v_add_u16_sdwa v52, v51, v5 dst_sel:DWORD dst_unused:UNUSED_PAD src0_sel:DWORD src1_sel:WORD_1
	v_add_u16_sdwa v65, v51, v5 dst_sel:DWORD dst_unused:UNUSED_PAD src0_sel:DWORD src1_sel:WORD_1
	v_cmp_eq_u32_e64 s[10:11], 0, v14
	v_cmp_lt_u32_e64 s[6:7], 1, v14
	v_cmp_lt_u32_e64 s[2:3], 3, v14
	s_andn2_b64 vcc, exec, s[8:9]
	v_cmp_lt_u32_e64 s[8:9], 7, v14
	s_cbranch_vccnz .LBB1305_88
; %bb.83:
	v_mov_b32_dpp v14, v65 row_shr:1 row_mask:0xf bank_mask:0xf
	v_cndmask_b32_e64 v14, v14, 0, s[10:11]
	v_add_u16_e32 v14, v14, v52
	v_and_b32_e32 v16, 16, v22
	v_cmp_ne_u32_e32 vcc, 0, v16
	v_mov_b32_dpp v15, v14 row_shr:2 row_mask:0xf bank_mask:0xf
	v_cndmask_b32_e64 v15, 0, v15, s[6:7]
	v_add_u16_e32 v14, v14, v15
	s_nop 1
	v_mov_b32_dpp v15, v14 row_shr:4 row_mask:0xf bank_mask:0xf
	v_cndmask_b32_e64 v15, 0, v15, s[2:3]
	v_add_u16_e32 v14, v14, v15
	s_nop 1
	;; [unrolled: 4-line block ×3, first 2 shown]
	v_mov_b32_dpp v15, v14 row_bcast:15 row_mask:0xf bank_mask:0xf
	v_cndmask_b32_e32 v15, 0, v15, vcc
	v_add_u16_e32 v14, v14, v15
	v_cmp_lt_u32_e32 vcc, 31, v22
	s_nop 0
	v_mov_b32_dpp v15, v14 row_bcast:31 row_mask:0xf bank_mask:0xf
	v_cndmask_b32_e32 v15, 0, v15, vcc
	v_add_u16_e32 v14, v14, v15
	v_cmp_eq_u32_e32 vcc, 63, v0
	s_and_saveexec_b64 s[12:13], vcc
	s_cbranch_execz .LBB1305_85
; %bb.84:
	v_mov_b32_e32 v15, 0
	ds_write_b16 v15, v14
.LBB1305_85:
	s_or_b64 exec, exec, s[12:13]
	v_add_u32_e32 v15, -1, v22
	v_and_b32_e32 v16, 64, v22
	v_cmp_lt_i32_e32 vcc, v15, v16
	v_cndmask_b32_e32 v15, v15, v22, vcc
	v_lshlrev_b32_e32 v15, 2, v15
	s_load_dword s12, s[4:5], 0x20
	ds_bpermute_b32 v66, v15, v14
	v_mov_b32_e32 v64, v52
	v_mov_b32_e32 v63, v51
	;; [unrolled: 1-line block ×24, first 2 shown]
	s_waitcnt lgkmcnt(0)
	; wave barrier
	s_waitcnt lgkmcnt(0)
	s_and_saveexec_b64 s[4:5], s[0:1]
	s_cbranch_execz .LBB1305_87
; %bb.86:
	v_add_u16_e32 v14, v17, v66
	v_add_u16_sdwa v15, v14, v10 dst_sel:DWORD dst_unused:UNUSED_PAD src0_sel:DWORD src1_sel:WORD_1
	v_add_u16_e32 v16, v15, v11
	v_add_u16_sdwa v18, v16, v11 dst_sel:DWORD dst_unused:UNUSED_PAD src0_sel:DWORD src1_sel:WORD_1
	;; [unrolled: 2-line block ×12, first 2 shown]
	;;#ASMSTART
	;;#ASMEND
.LBB1305_87:
	s_or_b64 exec, exec, s[4:5]
	v_add_u16_e32 v14, s12, v14
	v_add_u16_e32 v15, s12, v15
	;; [unrolled: 1-line block ×24, first 2 shown]
	s_branch .LBB1305_94
.LBB1305_88:
                                        ; implicit-def: $vgpr14
                                        ; implicit-def: $vgpr15
                                        ; implicit-def: $vgpr16
                                        ; implicit-def: $vgpr18
                                        ; implicit-def: $vgpr19
                                        ; implicit-def: $vgpr23
                                        ; implicit-def: $vgpr31
                                        ; implicit-def: $vgpr38
                                        ; implicit-def: $vgpr28
                                        ; implicit-def: $vgpr35
                                        ; implicit-def: $vgpr43
                                        ; implicit-def: $vgpr49
                                        ; implicit-def: $vgpr53
                                        ; implicit-def: $vgpr54
                                        ; implicit-def: $vgpr56
                                        ; implicit-def: $vgpr58
                                        ; implicit-def: $vgpr55
                                        ; implicit-def: $vgpr57
                                        ; implicit-def: $vgpr59
                                        ; implicit-def: $vgpr60
                                        ; implicit-def: $vgpr61
                                        ; implicit-def: $vgpr62
                                        ; implicit-def: $vgpr63
                                        ; implicit-def: $vgpr64
	s_cbranch_execz .LBB1305_94
; %bb.89:
	s_nop 0
	v_mov_b32_dpp v14, v65 row_shr:1 row_mask:0xf bank_mask:0xf
	v_cndmask_b32_e64 v14, v14, 0, s[10:11]
	v_add_u16_e32 v14, v14, v52
	v_and_b32_e32 v16, 16, v22
	v_cmp_ne_u32_e32 vcc, 0, v16
	v_mov_b32_dpp v15, v14 row_shr:2 row_mask:0xf bank_mask:0xf
	v_cndmask_b32_e64 v15, 0, v15, s[6:7]
	v_add_u16_e32 v14, v14, v15
	s_nop 1
	v_mov_b32_dpp v15, v14 row_shr:4 row_mask:0xf bank_mask:0xf
	v_cndmask_b32_e64 v15, 0, v15, s[2:3]
	v_add_u16_e32 v14, v14, v15
	s_nop 1
	;; [unrolled: 4-line block ×3, first 2 shown]
	v_mov_b32_dpp v15, v14 row_bcast:15 row_mask:0xf bank_mask:0xf
	v_cndmask_b32_e32 v15, 0, v15, vcc
	v_add_u16_e32 v14, v14, v15
	v_cmp_lt_u32_e32 vcc, 31, v22
	s_nop 0
	v_mov_b32_dpp v15, v14 row_bcast:31 row_mask:0xf bank_mask:0xf
	v_cndmask_b32_e32 v15, 0, v15, vcc
	v_add_u16_e32 v14, v14, v15
	v_cmp_eq_u32_e32 vcc, 63, v0
	s_and_saveexec_b64 s[2:3], vcc
	s_cbranch_execz .LBB1305_91
; %bb.90:
	v_mov_b32_e32 v15, 0
	ds_write_b16 v15, v14
.LBB1305_91:
	s_or_b64 exec, exec, s[2:3]
	v_add_u32_e32 v15, -1, v22
	v_and_b32_e32 v16, 64, v22
	v_cmp_lt_i32_e32 vcc, v15, v16
	v_cndmask_b32_e32 v15, v15, v22, vcc
	v_lshlrev_b32_e32 v15, 2, v15
	ds_bpermute_b32 v14, v15, v14
	s_waitcnt lgkmcnt(0)
	; wave barrier
	s_waitcnt lgkmcnt(0)
	s_and_saveexec_b64 s[2:3], s[0:1]
	s_cbranch_execz .LBB1305_93
; %bb.92:
	v_add_u16_e32 v17, v17, v14
	v_add_u16_sdwa v24, v17, v10 dst_sel:DWORD dst_unused:UNUSED_PAD src0_sel:DWORD src1_sel:WORD_1
	v_add_u16_e32 v25, v24, v11
	v_add_u16_sdwa v26, v25, v11 dst_sel:DWORD dst_unused:UNUSED_PAD src0_sel:DWORD src1_sel:WORD_1
	;; [unrolled: 2-line block ×12, first 2 shown]
	;;#ASMSTART
	;;#ASMEND
.LBB1305_93:
	s_or_b64 exec, exec, s[2:3]
	v_mov_b32_e32 v14, v17
	v_mov_b32_e32 v15, v24
	;; [unrolled: 1-line block ×24, first 2 shown]
.LBB1305_94:
	v_cmp_eq_u32_e32 vcc, 63, v0
	s_and_saveexec_b64 s[0:1], vcc
	s_cbranch_execz .LBB1305_96
; %bb.95:
	s_mov_b32 s2, 0x20000
	v_mov_b32_e32 v2, 0
	v_or_b32_sdwa v3, v64, s2 dst_sel:DWORD dst_unused:UNUSED_PAD src0_sel:WORD_0 src1_sel:DWORD
	global_store_dword v2, v3, s[28:29] offset:256
.LBB1305_96:
	s_or_b64 exec, exec, s[0:1]
.LBB1305_97:
	s_add_u32 s0, s20, s24
	s_addc_u32 s1, s21, s25
	s_add_u32 s2, s0, s26
	s_addc_u32 s3, s1, s27
	s_mov_b64 s[0:1], -1
	s_and_b64 vcc, exec, s[22:23]
	s_waitcnt lgkmcnt(0)
	; wave barrier
	s_waitcnt lgkmcnt(0)
	s_cbranch_vccz .LBB1305_99
; %bb.98:
	s_mov_b32 s0, 0x5040100
	v_perm_b32 v5, v38, v31, s0
	v_perm_b32 v4, v23, v19, s0
	;; [unrolled: 1-line block ×4, first 2 shown]
	ds_write_b128 v1, v[2:5]
	v_perm_b32 v5, v58, v56, s0
	v_perm_b32 v4, v54, v53, s0
	;; [unrolled: 1-line block ×4, first 2 shown]
	ds_write_b128 v1, v[2:5] offset:16
	v_perm_b32 v5, v64, v63, s0
	v_perm_b32 v4, v62, v61, s0
	;; [unrolled: 1-line block ×4, first 2 shown]
	ds_write_b128 v1, v[2:5] offset:32
	s_waitcnt lgkmcnt(0)
	; wave barrier
	s_waitcnt lgkmcnt(0)
	ds_read_u16 v4, v20
	ds_read_u16 v5, v20 offset:128
	ds_read_u16 v6, v20 offset:256
	ds_read_u16 v7, v20 offset:384
	ds_read_u16 v8, v20 offset:512
	ds_read_u16 v9, v20 offset:640
	ds_read_u16 v10, v20 offset:768
	ds_read_u16 v11, v20 offset:896
	ds_read_u16 v12, v20 offset:1024
	ds_read_u16 v13, v20 offset:1152
	ds_read_u16 v17, v20 offset:1280
	ds_read_u16 v22, v20 offset:1408
	ds_read_u16 v24, v20 offset:1536
	ds_read_u16 v25, v20 offset:1664
	ds_read_u16 v26, v20 offset:1792
	ds_read_u16 v27, v20 offset:1920
	ds_read_u16 v29, v20 offset:2048
	ds_read_u16 v30, v20 offset:2176
	ds_read_u16 v32, v20 offset:2304
	ds_read_u16 v33, v20 offset:2432
	ds_read_u16 v34, v20 offset:2560
	ds_read_u16 v36, v20 offset:2688
	ds_read_u16 v37, v20 offset:2816
	ds_read_u16 v39, v20 offset:2944
	v_mov_b32_e32 v3, s3
	v_add_co_u32_e32 v2, vcc, s2, v20
	v_addc_co_u32_e32 v3, vcc, 0, v3, vcc
	s_waitcnt lgkmcnt(14)
	flat_store_short v[2:3], v4
	flat_store_short v[2:3], v5 offset:128
	flat_store_short v[2:3], v6 offset:256
	;; [unrolled: 1-line block ×9, first 2 shown]
	s_waitcnt lgkmcnt(0)
	flat_store_short v[2:3], v17 offset:1280
	flat_store_short v[2:3], v22 offset:1408
	;; [unrolled: 1-line block ×14, first 2 shown]
	s_mov_b64 s[0:1], 0
.LBB1305_99:
	s_andn2_b64 vcc, exec, s[0:1]
	s_cbranch_vccnz .LBB1305_156
; %bb.100:
	s_mov_b32 s0, 0x5040100
	v_perm_b32 v5, v38, v31, s0
	v_perm_b32 v4, v23, v19, s0
	;; [unrolled: 1-line block ×4, first 2 shown]
	ds_write_b128 v1, v[2:5]
	v_perm_b32 v5, v58, v56, s0
	v_perm_b32 v4, v54, v53, s0
	;; [unrolled: 1-line block ×4, first 2 shown]
	ds_write_b128 v1, v[2:5] offset:16
	v_perm_b32 v5, v64, v63, s0
	v_perm_b32 v4, v62, v61, s0
	;; [unrolled: 1-line block ×4, first 2 shown]
	ds_write_b128 v1, v[2:5] offset:32
	s_waitcnt lgkmcnt(0)
	; wave barrier
	s_waitcnt lgkmcnt(0)
	ds_read_u16 v5, v20
	ds_read_u16 v4, v20 offset:128
	ds_read_u16 v7, v20 offset:256
	;; [unrolled: 1-line block ×23, first 2 shown]
	v_mov_b32_e32 v3, s3
	v_add_co_u32_e32 v2, vcc, s2, v20
	v_addc_co_u32_e32 v3, vcc, 0, v3, vcc
	v_mov_b32_e32 v1, 0
	v_cmp_gt_u32_e32 vcc, s30, v0
	s_and_saveexec_b64 s[0:1], vcc
	s_cbranch_execz .LBB1305_102
; %bb.101:
	s_waitcnt lgkmcnt(0)
	flat_store_short v[2:3], v5
.LBB1305_102:
	s_or_b64 exec, exec, s[0:1]
	v_or_b32_e32 v20, 64, v0
	v_cmp_gt_u32_e32 vcc, s30, v20
	s_and_saveexec_b64 s[0:1], vcc
	s_cbranch_execz .LBB1305_104
; %bb.103:
	s_waitcnt lgkmcnt(0)
	flat_store_short v[2:3], v4 offset:128
.LBB1305_104:
	s_or_b64 exec, exec, s[0:1]
	v_or_b32_e32 v20, 0x80, v0
	v_cmp_gt_u32_e32 vcc, s30, v20
	s_and_saveexec_b64 s[0:1], vcc
	s_cbranch_execz .LBB1305_106
; %bb.105:
	s_waitcnt lgkmcnt(0)
	flat_store_short v[2:3], v7 offset:256
.LBB1305_106:
	;; [unrolled: 9-line block ×23, first 2 shown]
	s_or_b64 exec, exec, s[0:1]
	v_cmp_lt_u64_e64 s[0:1], s[18:19], 2
	s_and_b64 vcc, exec, s[0:1]
	s_cbranch_vccnz .LBB1305_156
; %bb.149:
	s_add_u32 s0, s30, -1
	s_addc_u32 s1, s31, -1
	s_add_u32 s2, 0, 0xaaaa0000
	s_addc_u32 s3, 0, 42
	s_add_i32 s3, s3, 0xaaaaa80
	s_mul_hi_u32 s7, s2, 0xffffffe8
	s_sub_i32 s7, s7, s2
	s_mul_i32 s8, s3, 0xffffffe8
	s_mul_i32 s4, s2, 0xffffffe8
	s_add_i32 s7, s7, s8
	s_mul_hi_u32 s5, s3, s4
	s_mul_i32 s6, s3, s4
	s_mul_i32 s9, s2, s7
	s_mul_hi_u32 s4, s2, s4
	s_mul_hi_u32 s8, s2, s7
	s_add_u32 s4, s4, s9
	s_addc_u32 s8, 0, s8
	s_add_u32 s4, s4, s6
	s_mul_hi_u32 s9, s3, s7
	s_addc_u32 s4, s8, s5
	s_addc_u32 s5, s9, 0
	s_mul_i32 s6, s3, s7
	s_add_u32 s4, s4, s6
	v_mov_b32_e32 v2, s4
	s_addc_u32 s5, 0, s5
	v_add_co_u32_e32 v2, vcc, s2, v2
	s_cmp_lg_u64 vcc, 0
	s_addc_u32 s2, s3, s5
	v_readfirstlane_b32 s5, v2
	s_mul_i32 s4, s0, s2
	s_mul_hi_u32 s6, s0, s5
	s_mul_hi_u32 s3, s0, s2
	s_add_u32 s4, s6, s4
	s_addc_u32 s3, 0, s3
	s_mul_hi_u32 s7, s1, s5
	s_mul_i32 s5, s1, s5
	s_add_u32 s4, s4, s5
	s_mul_hi_u32 s6, s1, s2
	s_addc_u32 s3, s3, s7
	s_addc_u32 s4, s6, 0
	s_mul_i32 s2, s1, s2
	s_add_u32 s2, s3, s2
	s_addc_u32 s3, 0, s4
	s_add_u32 s4, s2, 1
	s_addc_u32 s5, s3, 0
	s_add_u32 s6, s2, 2
	s_mul_i32 s8, s3, 24
	s_mul_hi_u32 s9, s2, 24
	s_addc_u32 s7, s3, 0
	s_add_i32 s9, s9, s8
	s_mul_i32 s8, s2, 24
	v_mov_b32_e32 v2, s8
	v_sub_co_u32_e32 v2, vcc, s0, v2
	s_cmp_lg_u64 vcc, 0
	s_subb_u32 s8, s1, s9
	v_subrev_co_u32_e32 v3, vcc, 24, v2
	s_cmp_lg_u64 vcc, 0
	s_subb_u32 s9, s8, 0
	v_readfirstlane_b32 s10, v3
	s_cmp_gt_u32 s10, 23
	s_cselect_b32 s10, -1, 0
	s_cmp_eq_u32 s9, 0
	s_cselect_b32 s9, s10, -1
	s_cmp_lg_u32 s9, 0
	s_cselect_b32 s4, s6, s4
	v_readfirstlane_b32 s6, v2
	s_cselect_b32 s5, s7, s5
	s_cmp_gt_u32 s6, 23
	s_cselect_b32 s6, -1, 0
	s_cmp_eq_u32 s8, 0
	s_cselect_b32 s6, s6, -1
	s_cmp_lg_u32 s6, 0
	s_cselect_b32 s3, s5, s3
	s_cselect_b32 s2, s4, s2
	v_cmp_eq_u64_e32 vcc, s[2:3], v[0:1]
	s_and_saveexec_b64 s[2:3], vcc
	s_cbranch_execz .LBB1305_156
; %bb.150:
	v_mul_hi_u32_u24_e32 v1, 24, v0
	v_mov_b32_e32 v2, s1
	v_sub_co_u32_e32 v0, vcc, s0, v21
	v_subb_co_u32_e32 v1, vcc, v2, v1, vcc
	v_cmp_lt_i64_e32 vcc, 11, v[0:1]
	s_mov_b64 s[0:1], 0
	s_mov_b64 s[8:9], 0
	;; [unrolled: 1-line block ×4, first 2 shown]
	s_and_saveexec_b64 s[2:3], vcc
	s_xor_b64 s[2:3], exec, s[2:3]
	s_cbranch_execnz .LBB1305_157
; %bb.151:
	s_andn2_saveexec_b64 s[2:3], s[2:3]
	s_cbranch_execnz .LBB1305_202
.LBB1305_152:
	s_or_b64 exec, exec, s[2:3]
	s_and_saveexec_b64 s[2:3], s[8:9]
	s_cbranch_execnz .LBB1305_219
.LBB1305_153:
	s_or_b64 exec, exec, s[2:3]
	s_and_saveexec_b64 s[2:3], s[6:7]
	s_cbranch_execnz .LBB1305_220
.LBB1305_154:
	s_or_b64 exec, exec, s[2:3]
	s_and_saveexec_b64 s[2:3], s[4:5]
	s_xor_b64 s[2:3], exec, s[2:3]
	s_cbranch_execnz .LBB1305_221
.LBB1305_155:
	s_or_b64 exec, exec, s[2:3]
	s_and_b64 exec, exec, s[0:1]
	s_cbranch_execnz .LBB1305_222
.LBB1305_156:
	s_endpgm
.LBB1305_157:
	v_cmp_lt_i64_e32 vcc, 17, v[0:1]
	s_and_saveexec_b64 s[10:11], vcc
	s_xor_b64 s[10:11], exec, s[10:11]
	s_cbranch_execz .LBB1305_179
; %bb.158:
	v_cmp_lt_i64_e32 vcc, 20, v[0:1]
                                        ; implicit-def: $vgpr10
	s_and_saveexec_b64 s[12:13], vcc
	s_xor_b64 s[12:13], exec, s[12:13]
	s_cbranch_execz .LBB1305_168
; %bb.159:
	v_cmp_lt_i64_e32 vcc, 21, v[0:1]
	s_mov_b64 s[16:17], 0
                                        ; implicit-def: $vgpr10
	s_and_saveexec_b64 s[4:5], vcc
	s_xor_b64 s[4:5], exec, s[4:5]
	s_cbranch_execz .LBB1305_165
; %bb.160:
	v_cmp_lt_i64_e32 vcc, 22, v[0:1]
	s_and_saveexec_b64 s[16:17], vcc
	s_xor_b64 s[16:17], exec, s[16:17]
	s_cbranch_execz .LBB1305_162
; %bb.161:
	v_mov_b32_e32 v2, 0
	s_waitcnt lgkmcnt(0)
	global_store_short v2, v29, s[14:15]
                                        ; implicit-def: $vgpr28
.LBB1305_162:
	s_or_saveexec_b64 s[16:17], s[16:17]
	s_mov_b64 s[18:19], 0
	s_xor_b64 exec, exec, s[16:17]
; %bb.163:
	s_mov_b64 s[18:19], exec
; %bb.164:
	s_or_b64 exec, exec, s[16:17]
	s_and_b64 s[16:17], s[18:19], exec
	s_waitcnt lgkmcnt(0)
	v_mov_b32_e32 v10, v28
                                        ; implicit-def: $vgpr11
.LBB1305_165:
	s_andn2_saveexec_b64 s[4:5], s[4:5]
; %bb.166:
	s_mov_b64 s[6:7], exec
                                        ; implicit-def: $vgpr10
; %bb.167:
	s_or_b64 exec, exec, s[4:5]
	s_and_b64 s[4:5], s[16:17], exec
	s_and_b64 s[6:7], s[6:7], exec
                                        ; implicit-def: $vgpr26
                                        ; implicit-def: $vgpr12
                                        ; implicit-def: $vgpr23
.LBB1305_168:
	s_andn2_saveexec_b64 s[12:13], s[12:13]
	s_cbranch_execz .LBB1305_178
; %bb.169:
	v_cmp_lt_i64_e32 vcc, 18, v[0:1]
	s_mov_b64 s[16:17], 0
	s_and_saveexec_b64 s[8:9], vcc
	s_xor_b64 s[8:9], exec, s[8:9]
	s_cbranch_execz .LBB1305_175
; %bb.170:
	v_cmp_lt_i64_e32 vcc, 19, v[0:1]
	s_and_saveexec_b64 s[18:19], vcc
	s_xor_b64 s[18:19], exec, s[18:19]
; %bb.171:
	s_mov_b64 s[16:17], exec
                                        ; implicit-def: $vgpr23
; %bb.172:
	s_andn2_saveexec_b64 s[18:19], s[18:19]
	s_cbranch_execz .LBB1305_174
; %bb.173:
	v_mov_b32_e32 v2, 0
	s_waitcnt lgkmcnt(0)
	global_store_short v2, v23, s[14:15]
                                        ; implicit-def: $vgpr12
.LBB1305_174:
	s_or_b64 exec, exec, s[18:19]
	s_and_b64 s[16:17], s[16:17], exec
                                        ; implicit-def: $vgpr26
.LBB1305_175:
	s_andn2_saveexec_b64 s[8:9], s[8:9]
	s_cbranch_execz .LBB1305_177
; %bb.176:
	v_mov_b32_e32 v2, 0
	s_waitcnt lgkmcnt(0)
	global_store_short v2, v26, s[14:15]
                                        ; implicit-def: $vgpr12
.LBB1305_177:
	s_or_b64 exec, exec, s[8:9]
	s_and_b64 s[8:9], s[16:17], exec
                                        ; implicit-def: $vgpr10
                                        ; implicit-def: $vgpr11
.LBB1305_178:
	s_or_b64 exec, exec, s[12:13]
	s_and_b64 s[4:5], s[4:5], exec
	s_and_b64 s[6:7], s[6:7], exec
	s_and_b64 s[8:9], s[8:9], exec
                                        ; implicit-def: $vgpr18
                                        ; implicit-def: $vgpr13
                                        ; implicit-def: $vgpr14
                                        ; implicit-def: $vgpr24
                                        ; implicit-def: $vgpr27
.LBB1305_179:
	s_andn2_saveexec_b64 s[10:11], s[10:11]
	s_cbranch_execz .LBB1305_201
; %bb.180:
	v_cmp_lt_i64_e32 vcc, 14, v[0:1]
	s_mov_b64 s[12:13], s[4:5]
	s_and_saveexec_b64 s[16:17], vcc
	s_xor_b64 s[16:17], exec, s[16:17]
	s_cbranch_execz .LBB1305_190
; %bb.181:
	v_cmp_lt_i64_e32 vcc, 15, v[0:1]
	s_and_saveexec_b64 s[12:13], vcc
	s_xor_b64 s[12:13], exec, s[12:13]
	s_cbranch_execz .LBB1305_187
; %bb.182:
	v_cmp_lt_i64_e32 vcc, 16, v[0:1]
	s_and_saveexec_b64 s[18:19], vcc
	s_xor_b64 s[18:19], exec, s[18:19]
	s_cbranch_execz .LBB1305_184
; %bb.183:
	v_mov_b32_e32 v2, 0
	s_waitcnt lgkmcnt(0)
	global_store_short v2, v27, s[14:15]
                                        ; implicit-def: $vgpr24
.LBB1305_184:
	s_andn2_saveexec_b64 s[18:19], s[18:19]
	s_cbranch_execz .LBB1305_186
; %bb.185:
	v_mov_b32_e32 v2, 0
	s_waitcnt lgkmcnt(0)
	global_store_short v2, v24, s[14:15]
.LBB1305_186:
	s_or_b64 exec, exec, s[18:19]
                                        ; implicit-def: $vgpr10
.LBB1305_187:
	s_or_saveexec_b64 s[12:13], s[12:13]
	s_mov_b64 s[18:19], s[4:5]
	s_xor_b64 exec, exec, s[12:13]
; %bb.188:
	s_or_b64 s[18:19], s[4:5], exec
; %bb.189:
	s_or_b64 exec, exec, s[12:13]
	s_andn2_b64 s[12:13], s[4:5], exec
	s_and_b64 s[18:19], s[18:19], exec
	s_or_b64 s[12:13], s[12:13], s[18:19]
                                        ; implicit-def: $vgpr18
                                        ; implicit-def: $vgpr13
                                        ; implicit-def: $vgpr14
.LBB1305_190:
	s_or_saveexec_b64 s[16:17], s[16:17]
	s_mov_b64 s[18:19], s[6:7]
                                        ; implicit-def: $vgpr11
	s_xor_b64 exec, exec, s[16:17]
	s_cbranch_execz .LBB1305_200
; %bb.191:
	v_cmp_lt_i64_e32 vcc, 12, v[0:1]
	s_mov_b64 s[20:21], s[6:7]
	s_mov_b64 s[22:23], s[12:13]
                                        ; implicit-def: $vgpr10
                                        ; implicit-def: $vgpr11
	s_and_saveexec_b64 s[18:19], vcc
	s_xor_b64 s[18:19], exec, s[18:19]
	s_cbranch_execz .LBB1305_197
; %bb.192:
	v_cmp_lt_i64_e32 vcc, 13, v[0:1]
	s_mov_b64 s[20:21], s[12:13]
	s_and_saveexec_b64 s[22:23], vcc
	s_xor_b64 s[22:23], exec, s[22:23]
; %bb.193:
	s_or_b64 s[20:21], s[12:13], exec
                                        ; implicit-def: $vgpr13
; %bb.194:
	s_or_saveexec_b64 s[22:23], s[22:23]
	s_mov_b64 s[24:25], s[6:7]
	s_xor_b64 exec, exec, s[22:23]
; %bb.195:
	s_or_b64 s[24:25], s[6:7], exec
                                        ; implicit-def: $vgpr14
; %bb.196:
	s_or_b64 exec, exec, s[22:23]
	s_andn2_b64 s[22:23], s[12:13], exec
	s_and_b64 s[20:21], s[20:21], exec
	s_or_b64 s[22:23], s[22:23], s[20:21]
	s_andn2_b64 s[20:21], s[6:7], exec
	s_and_b64 s[24:25], s[24:25], exec
	s_or_b64 s[20:21], s[20:21], s[24:25]
	s_waitcnt lgkmcnt(0)
	v_mov_b32_e32 v10, v14
	v_mov_b32_e32 v11, v13
                                        ; implicit-def: $vgpr18
.LBB1305_197:
	s_andn2_saveexec_b64 s[18:19], s[18:19]
	s_cbranch_execz .LBB1305_199
; %bb.198:
	s_or_b64 s[20:21], s[20:21], exec
                                        ; implicit-def: $vgpr10
	s_waitcnt lgkmcnt(0)
	v_mov_b32_e32 v11, v18
.LBB1305_199:
	s_or_b64 exec, exec, s[18:19]
	s_andn2_b64 s[12:13], s[12:13], exec
	s_and_b64 s[18:19], s[22:23], exec
	s_or_b64 s[12:13], s[12:13], s[18:19]
	s_andn2_b64 s[18:19], s[6:7], exec
	s_and_b64 s[20:21], s[20:21], exec
	s_or_b64 s[18:19], s[18:19], s[20:21]
.LBB1305_200:
	s_or_b64 exec, exec, s[16:17]
	s_andn2_b64 s[4:5], s[4:5], exec
	s_and_b64 s[12:13], s[12:13], exec
	s_or_b64 s[4:5], s[4:5], s[12:13]
	s_andn2_b64 s[6:7], s[6:7], exec
	s_and_b64 s[12:13], s[18:19], exec
	s_or_b64 s[6:7], s[6:7], s[12:13]
                                        ; implicit-def: $vgpr12
.LBB1305_201:
	s_or_b64 exec, exec, s[10:11]
	s_and_b64 s[4:5], s[4:5], exec
	s_and_b64 s[6:7], s[6:7], exec
	;; [unrolled: 1-line block ×3, first 2 shown]
                                        ; implicit-def: $vgpr17
                                        ; implicit-def: $vgpr15
                                        ; implicit-def: $vgpr16
                                        ; implicit-def: $vgpr25
                                        ; implicit-def: $vgpr22
                                        ; implicit-def: $vgpr19
	s_andn2_saveexec_b64 s[2:3], s[2:3]
	s_cbranch_execz .LBB1305_152
.LBB1305_202:
	v_cmp_lt_i64_e32 vcc, 5, v[0:1]
	s_mov_b64 s[12:13], -1
	s_mov_b64 s[10:11], s[8:9]
	s_mov_b64 s[16:17], s[6:7]
	;; [unrolled: 1-line block ×3, first 2 shown]
                                        ; implicit-def: $vgpr10
                                        ; implicit-def: $vgpr11
                                        ; implicit-def: $vgpr12
	s_and_saveexec_b64 s[0:1], vcc
	s_cbranch_execz .LBB1305_218
; %bb.203:
	v_cmp_lt_i64_e32 vcc, 8, v[0:1]
	s_mov_b64 s[10:11], s[8:9]
                                        ; implicit-def: $vgpr12
	s_and_saveexec_b64 s[12:13], vcc
	s_xor_b64 s[12:13], exec, s[12:13]
	s_cbranch_execz .LBB1305_213
; %bb.204:
	v_cmp_lt_i64_e32 vcc, 9, v[0:1]
	s_and_saveexec_b64 s[10:11], vcc
	s_xor_b64 s[10:11], exec, s[10:11]
	s_cbranch_execz .LBB1305_210
; %bb.205:
	v_cmp_lt_i64_e32 vcc, 10, v[0:1]
	s_and_saveexec_b64 s[16:17], vcc
	s_xor_b64 s[16:17], exec, s[16:17]
; %bb.206:
                                        ; implicit-def: $vgpr22
; %bb.207:
	s_andn2_saveexec_b64 s[16:17], s[16:17]
	s_cbranch_execz .LBB1305_209
; %bb.208:
	s_waitcnt lgkmcnt(0)
	v_mov_b32_e32 v19, v22
.LBB1305_209:
	s_or_b64 exec, exec, s[16:17]
                                        ; implicit-def: $vgpr25
.LBB1305_210:
	s_andn2_saveexec_b64 s[10:11], s[10:11]
	s_cbranch_execz .LBB1305_212
; %bb.211:
	s_waitcnt lgkmcnt(0)
	v_mov_b32_e32 v19, v25
.LBB1305_212:
	s_or_b64 exec, exec, s[10:11]
	s_or_b64 s[10:11], s[8:9], exec
	s_waitcnt lgkmcnt(0)
	v_mov_b32_e32 v12, v19
                                        ; implicit-def: $vgpr17
                                        ; implicit-def: $vgpr15
                                        ; implicit-def: $vgpr16
.LBB1305_213:
	s_or_saveexec_b64 s[12:13], s[12:13]
	s_mov_b64 s[16:17], s[6:7]
	s_mov_b64 s[20:21], s[4:5]
                                        ; implicit-def: $vgpr10
                                        ; implicit-def: $vgpr11
	s_xor_b64 exec, exec, s[12:13]
	s_cbranch_execz .LBB1305_217
; %bb.214:
	v_cmp_lt_i64_e32 vcc, 6, v[0:1]
	s_mov_b64 s[20:21], -1
	s_mov_b64 s[18:19], s[10:11]
	s_mov_b64 s[16:17], s[6:7]
	s_and_saveexec_b64 s[22:23], vcc
; %bb.215:
	v_cmp_lt_i64_e32 vcc, 7, v[0:1]
	s_andn2_b64 s[18:19], s[10:11], exec
	s_and_b64 s[24:25], vcc, exec
	s_xor_b64 s[20:21], exec, -1
	s_or_b64 s[16:17], s[6:7], exec
	s_or_b64 s[18:19], s[18:19], s[24:25]
                                        ; implicit-def: $vgpr17
; %bb.216:
	s_or_b64 exec, exec, s[22:23]
	s_andn2_b64 s[22:23], s[4:5], exec
	s_and_b64 s[20:21], s[20:21], exec
	s_or_b64 s[20:21], s[22:23], s[20:21]
	s_andn2_b64 s[22:23], s[6:7], exec
	s_and_b64 s[16:17], s[16:17], exec
	s_andn2_b64 s[10:11], s[10:11], exec
	s_and_b64 s[18:19], s[18:19], exec
	s_or_b64 s[16:17], s[22:23], s[16:17]
	s_or_b64 s[10:11], s[10:11], s[18:19]
	s_waitcnt lgkmcnt(0)
	v_mov_b32_e32 v10, v17
	v_mov_b32_e32 v11, v15
	;; [unrolled: 1-line block ×3, first 2 shown]
.LBB1305_217:
	s_or_b64 exec, exec, s[12:13]
	s_andn2_b64 s[18:19], s[4:5], exec
	s_and_b64 s[20:21], s[20:21], exec
	s_or_b64 s[18:19], s[18:19], s[20:21]
	s_andn2_b64 s[20:21], s[6:7], exec
	s_and_b64 s[16:17], s[16:17], exec
	s_or_b64 s[16:17], s[20:21], s[16:17]
	s_andn2_b64 s[20:21], s[8:9], exec
	s_and_b64 s[10:11], s[10:11], exec
	s_xor_b64 s[12:13], exec, -1
	s_or_b64 s[10:11], s[20:21], s[10:11]
.LBB1305_218:
	s_or_b64 exec, exec, s[0:1]
	s_and_b64 s[0:1], s[12:13], exec
	s_andn2_b64 s[4:5], s[4:5], exec
	s_and_b64 s[12:13], s[18:19], exec
	s_or_b64 s[4:5], s[4:5], s[12:13]
	s_andn2_b64 s[6:7], s[6:7], exec
	s_and_b64 s[12:13], s[16:17], exec
	s_andn2_b64 s[8:9], s[8:9], exec
	s_and_b64 s[10:11], s[10:11], exec
	s_or_b64 s[6:7], s[6:7], s[12:13]
	s_or_b64 s[8:9], s[8:9], s[10:11]
	s_or_b64 exec, exec, s[2:3]
	s_and_saveexec_b64 s[2:3], s[8:9]
	s_cbranch_execz .LBB1305_153
.LBB1305_219:
	v_mov_b32_e32 v2, 0
	s_andn2_b64 s[6:7], s[6:7], exec
	s_waitcnt lgkmcnt(0)
	global_store_short v2, v12, s[14:15]
                                        ; implicit-def: $vgpr10
                                        ; implicit-def: $vgpr11
	s_or_b64 exec, exec, s[2:3]
	s_and_saveexec_b64 s[2:3], s[6:7]
	s_cbranch_execz .LBB1305_154
.LBB1305_220:
	v_mov_b32_e32 v2, 0
	s_waitcnt lgkmcnt(0)
	global_store_short v2, v11, s[14:15]
                                        ; implicit-def: $vgpr10
	s_or_b64 exec, exec, s[2:3]
	s_and_saveexec_b64 s[2:3], s[4:5]
	s_xor_b64 s[2:3], exec, s[2:3]
	s_cbranch_execz .LBB1305_155
.LBB1305_221:
	v_mov_b32_e32 v2, 0
	s_waitcnt lgkmcnt(0)
	global_store_short v2, v10, s[14:15]
	s_or_b64 exec, exec, s[2:3]
	s_and_b64 exec, exec, s[0:1]
	s_cbranch_execz .LBB1305_156
.LBB1305_222:
	v_cmp_lt_i64_e32 vcc, 2, v[0:1]
	s_and_saveexec_b64 s[0:1], vcc
	s_xor_b64 s[0:1], exec, s[0:1]
	s_cbranch_execz .LBB1305_232
; %bb.223:
	v_cmp_lt_i64_e32 vcc, 3, v[0:1]
	s_and_saveexec_b64 s[2:3], vcc
	s_xor_b64 s[2:3], exec, s[2:3]
	s_cbranch_execz .LBB1305_229
; %bb.224:
	;; [unrolled: 5-line block ×3, first 2 shown]
	v_mov_b32_e32 v0, 0
	s_waitcnt lgkmcnt(0)
	global_store_short v0, v9, s[14:15]
                                        ; implicit-def: $vgpr6
.LBB1305_226:
	s_andn2_saveexec_b64 s[4:5], s[4:5]
	s_cbranch_execz .LBB1305_228
; %bb.227:
	v_mov_b32_e32 v0, 0
	s_waitcnt lgkmcnt(0)
	global_store_short v0, v6, s[14:15]
.LBB1305_228:
	s_or_b64 exec, exec, s[4:5]
                                        ; implicit-def: $vgpr8
.LBB1305_229:
	s_andn2_saveexec_b64 s[2:3], s[2:3]
	s_cbranch_execz .LBB1305_231
; %bb.230:
	v_mov_b32_e32 v0, 0
	s_waitcnt lgkmcnt(0)
	global_store_short v0, v8, s[14:15]
.LBB1305_231:
	s_or_b64 exec, exec, s[2:3]
                                        ; implicit-def: $vgpr0_vgpr1
                                        ; implicit-def: $vgpr7
                                        ; implicit-def: $vgpr4
                                        ; implicit-def: $vgpr5
.LBB1305_232:
	s_andn2_saveexec_b64 s[0:1], s[0:1]
	s_cbranch_execz .LBB1305_156
; %bb.233:
	v_cmp_lt_i64_e32 vcc, 1, v[0:1]
	s_and_saveexec_b64 s[0:1], vcc
	s_xor_b64 s[0:1], exec, s[0:1]
	s_cbranch_execz .LBB1305_235
; %bb.234:
	v_mov_b32_e32 v0, 0
	s_waitcnt lgkmcnt(0)
	global_store_short v0, v7, s[14:15]
                                        ; implicit-def: $vgpr4
                                        ; implicit-def: $vgpr0_vgpr1
                                        ; implicit-def: $vgpr5
.LBB1305_235:
	s_andn2_saveexec_b64 s[0:1], s[0:1]
	s_cbranch_execz .LBB1305_156
; %bb.236:
	v_cmp_ne_u64_e32 vcc, 1, v[0:1]
	s_and_saveexec_b64 s[0:1], vcc
	s_xor_b64 s[0:1], exec, s[0:1]
	s_cbranch_execz .LBB1305_238
; %bb.237:
	v_mov_b32_e32 v0, 0
	s_waitcnt lgkmcnt(0)
	global_store_short v0, v5, s[14:15]
                                        ; implicit-def: $vgpr4
.LBB1305_238:
	s_andn2_saveexec_b64 s[0:1], s[0:1]
	s_cbranch_execz .LBB1305_156
; %bb.239:
	v_mov_b32_e32 v0, 0
	s_waitcnt lgkmcnt(0)
	global_store_short v0, v4, s[14:15]
	s_endpgm
	.section	.rodata,"a",@progbits
	.p2align	6, 0x0
	.amdhsa_kernel _ZN7rocprim17ROCPRIM_400000_NS6detail17trampoline_kernelINS0_14default_configENS1_20scan_config_selectorIsEEZZNS1_9scan_implILNS1_25lookback_scan_determinismE0ELb0ELb1ES3_N6thrust23THRUST_200600_302600_NS6detail15normal_iteratorINS9_10device_ptrIsEEEESE_sNS9_4plusIsEEsEEDaPvRmT3_T4_T5_mT6_P12ihipStream_tbENKUlT_T0_E_clISt17integral_constantIbLb1EEST_IbLb0EEEEDaSP_SQ_EUlSP_E_NS1_11comp_targetILNS1_3genE4ELNS1_11target_archE910ELNS1_3gpuE8ELNS1_3repE0EEENS1_30default_config_static_selectorELNS0_4arch9wavefront6targetE1EEEvT1_
		.amdhsa_group_segment_fixed_size 3072
		.amdhsa_private_segment_fixed_size 0
		.amdhsa_kernarg_size 96
		.amdhsa_user_sgpr_count 6
		.amdhsa_user_sgpr_private_segment_buffer 1
		.amdhsa_user_sgpr_dispatch_ptr 0
		.amdhsa_user_sgpr_queue_ptr 0
		.amdhsa_user_sgpr_kernarg_segment_ptr 1
		.amdhsa_user_sgpr_dispatch_id 0
		.amdhsa_user_sgpr_flat_scratch_init 0
		.amdhsa_user_sgpr_kernarg_preload_length 0
		.amdhsa_user_sgpr_kernarg_preload_offset 0
		.amdhsa_user_sgpr_private_segment_size 0
		.amdhsa_uses_dynamic_stack 0
		.amdhsa_system_sgpr_private_segment_wavefront_offset 0
		.amdhsa_system_sgpr_workgroup_id_x 1
		.amdhsa_system_sgpr_workgroup_id_y 0
		.amdhsa_system_sgpr_workgroup_id_z 0
		.amdhsa_system_sgpr_workgroup_info 0
		.amdhsa_system_vgpr_workitem_id 0
		.amdhsa_next_free_vgpr 67
		.amdhsa_next_free_sgpr 32
		.amdhsa_accum_offset 68
		.amdhsa_reserve_vcc 1
		.amdhsa_reserve_flat_scratch 0
		.amdhsa_float_round_mode_32 0
		.amdhsa_float_round_mode_16_64 0
		.amdhsa_float_denorm_mode_32 3
		.amdhsa_float_denorm_mode_16_64 3
		.amdhsa_dx10_clamp 1
		.amdhsa_ieee_mode 1
		.amdhsa_fp16_overflow 0
		.amdhsa_tg_split 0
		.amdhsa_exception_fp_ieee_invalid_op 0
		.amdhsa_exception_fp_denorm_src 0
		.amdhsa_exception_fp_ieee_div_zero 0
		.amdhsa_exception_fp_ieee_overflow 0
		.amdhsa_exception_fp_ieee_underflow 0
		.amdhsa_exception_fp_ieee_inexact 0
		.amdhsa_exception_int_div_zero 0
	.end_amdhsa_kernel
	.section	.text._ZN7rocprim17ROCPRIM_400000_NS6detail17trampoline_kernelINS0_14default_configENS1_20scan_config_selectorIsEEZZNS1_9scan_implILNS1_25lookback_scan_determinismE0ELb0ELb1ES3_N6thrust23THRUST_200600_302600_NS6detail15normal_iteratorINS9_10device_ptrIsEEEESE_sNS9_4plusIsEEsEEDaPvRmT3_T4_T5_mT6_P12ihipStream_tbENKUlT_T0_E_clISt17integral_constantIbLb1EEST_IbLb0EEEEDaSP_SQ_EUlSP_E_NS1_11comp_targetILNS1_3genE4ELNS1_11target_archE910ELNS1_3gpuE8ELNS1_3repE0EEENS1_30default_config_static_selectorELNS0_4arch9wavefront6targetE1EEEvT1_,"axG",@progbits,_ZN7rocprim17ROCPRIM_400000_NS6detail17trampoline_kernelINS0_14default_configENS1_20scan_config_selectorIsEEZZNS1_9scan_implILNS1_25lookback_scan_determinismE0ELb0ELb1ES3_N6thrust23THRUST_200600_302600_NS6detail15normal_iteratorINS9_10device_ptrIsEEEESE_sNS9_4plusIsEEsEEDaPvRmT3_T4_T5_mT6_P12ihipStream_tbENKUlT_T0_E_clISt17integral_constantIbLb1EEST_IbLb0EEEEDaSP_SQ_EUlSP_E_NS1_11comp_targetILNS1_3genE4ELNS1_11target_archE910ELNS1_3gpuE8ELNS1_3repE0EEENS1_30default_config_static_selectorELNS0_4arch9wavefront6targetE1EEEvT1_,comdat
.Lfunc_end1305:
	.size	_ZN7rocprim17ROCPRIM_400000_NS6detail17trampoline_kernelINS0_14default_configENS1_20scan_config_selectorIsEEZZNS1_9scan_implILNS1_25lookback_scan_determinismE0ELb0ELb1ES3_N6thrust23THRUST_200600_302600_NS6detail15normal_iteratorINS9_10device_ptrIsEEEESE_sNS9_4plusIsEEsEEDaPvRmT3_T4_T5_mT6_P12ihipStream_tbENKUlT_T0_E_clISt17integral_constantIbLb1EEST_IbLb0EEEEDaSP_SQ_EUlSP_E_NS1_11comp_targetILNS1_3genE4ELNS1_11target_archE910ELNS1_3gpuE8ELNS1_3repE0EEENS1_30default_config_static_selectorELNS0_4arch9wavefront6targetE1EEEvT1_, .Lfunc_end1305-_ZN7rocprim17ROCPRIM_400000_NS6detail17trampoline_kernelINS0_14default_configENS1_20scan_config_selectorIsEEZZNS1_9scan_implILNS1_25lookback_scan_determinismE0ELb0ELb1ES3_N6thrust23THRUST_200600_302600_NS6detail15normal_iteratorINS9_10device_ptrIsEEEESE_sNS9_4plusIsEEsEEDaPvRmT3_T4_T5_mT6_P12ihipStream_tbENKUlT_T0_E_clISt17integral_constantIbLb1EEST_IbLb0EEEEDaSP_SQ_EUlSP_E_NS1_11comp_targetILNS1_3genE4ELNS1_11target_archE910ELNS1_3gpuE8ELNS1_3repE0EEENS1_30default_config_static_selectorELNS0_4arch9wavefront6targetE1EEEvT1_
                                        ; -- End function
	.section	.AMDGPU.csdata,"",@progbits
; Kernel info:
; codeLenInByte = 8668
; NumSgprs: 36
; NumVgprs: 67
; NumAgprs: 0
; TotalNumVgprs: 67
; ScratchSize: 0
; MemoryBound: 0
; FloatMode: 240
; IeeeMode: 1
; LDSByteSize: 3072 bytes/workgroup (compile time only)
; SGPRBlocks: 4
; VGPRBlocks: 8
; NumSGPRsForWavesPerEU: 36
; NumVGPRsForWavesPerEU: 67
; AccumOffset: 68
; Occupancy: 6
; WaveLimiterHint : 1
; COMPUTE_PGM_RSRC2:SCRATCH_EN: 0
; COMPUTE_PGM_RSRC2:USER_SGPR: 6
; COMPUTE_PGM_RSRC2:TRAP_HANDLER: 0
; COMPUTE_PGM_RSRC2:TGID_X_EN: 1
; COMPUTE_PGM_RSRC2:TGID_Y_EN: 0
; COMPUTE_PGM_RSRC2:TGID_Z_EN: 0
; COMPUTE_PGM_RSRC2:TIDIG_COMP_CNT: 0
; COMPUTE_PGM_RSRC3_GFX90A:ACCUM_OFFSET: 16
; COMPUTE_PGM_RSRC3_GFX90A:TG_SPLIT: 0
	.section	.text._ZN7rocprim17ROCPRIM_400000_NS6detail17trampoline_kernelINS0_14default_configENS1_20scan_config_selectorIsEEZZNS1_9scan_implILNS1_25lookback_scan_determinismE0ELb0ELb1ES3_N6thrust23THRUST_200600_302600_NS6detail15normal_iteratorINS9_10device_ptrIsEEEESE_sNS9_4plusIsEEsEEDaPvRmT3_T4_T5_mT6_P12ihipStream_tbENKUlT_T0_E_clISt17integral_constantIbLb1EEST_IbLb0EEEEDaSP_SQ_EUlSP_E_NS1_11comp_targetILNS1_3genE3ELNS1_11target_archE908ELNS1_3gpuE7ELNS1_3repE0EEENS1_30default_config_static_selectorELNS0_4arch9wavefront6targetE1EEEvT1_,"axG",@progbits,_ZN7rocprim17ROCPRIM_400000_NS6detail17trampoline_kernelINS0_14default_configENS1_20scan_config_selectorIsEEZZNS1_9scan_implILNS1_25lookback_scan_determinismE0ELb0ELb1ES3_N6thrust23THRUST_200600_302600_NS6detail15normal_iteratorINS9_10device_ptrIsEEEESE_sNS9_4plusIsEEsEEDaPvRmT3_T4_T5_mT6_P12ihipStream_tbENKUlT_T0_E_clISt17integral_constantIbLb1EEST_IbLb0EEEEDaSP_SQ_EUlSP_E_NS1_11comp_targetILNS1_3genE3ELNS1_11target_archE908ELNS1_3gpuE7ELNS1_3repE0EEENS1_30default_config_static_selectorELNS0_4arch9wavefront6targetE1EEEvT1_,comdat
	.protected	_ZN7rocprim17ROCPRIM_400000_NS6detail17trampoline_kernelINS0_14default_configENS1_20scan_config_selectorIsEEZZNS1_9scan_implILNS1_25lookback_scan_determinismE0ELb0ELb1ES3_N6thrust23THRUST_200600_302600_NS6detail15normal_iteratorINS9_10device_ptrIsEEEESE_sNS9_4plusIsEEsEEDaPvRmT3_T4_T5_mT6_P12ihipStream_tbENKUlT_T0_E_clISt17integral_constantIbLb1EEST_IbLb0EEEEDaSP_SQ_EUlSP_E_NS1_11comp_targetILNS1_3genE3ELNS1_11target_archE908ELNS1_3gpuE7ELNS1_3repE0EEENS1_30default_config_static_selectorELNS0_4arch9wavefront6targetE1EEEvT1_ ; -- Begin function _ZN7rocprim17ROCPRIM_400000_NS6detail17trampoline_kernelINS0_14default_configENS1_20scan_config_selectorIsEEZZNS1_9scan_implILNS1_25lookback_scan_determinismE0ELb0ELb1ES3_N6thrust23THRUST_200600_302600_NS6detail15normal_iteratorINS9_10device_ptrIsEEEESE_sNS9_4plusIsEEsEEDaPvRmT3_T4_T5_mT6_P12ihipStream_tbENKUlT_T0_E_clISt17integral_constantIbLb1EEST_IbLb0EEEEDaSP_SQ_EUlSP_E_NS1_11comp_targetILNS1_3genE3ELNS1_11target_archE908ELNS1_3gpuE7ELNS1_3repE0EEENS1_30default_config_static_selectorELNS0_4arch9wavefront6targetE1EEEvT1_
	.globl	_ZN7rocprim17ROCPRIM_400000_NS6detail17trampoline_kernelINS0_14default_configENS1_20scan_config_selectorIsEEZZNS1_9scan_implILNS1_25lookback_scan_determinismE0ELb0ELb1ES3_N6thrust23THRUST_200600_302600_NS6detail15normal_iteratorINS9_10device_ptrIsEEEESE_sNS9_4plusIsEEsEEDaPvRmT3_T4_T5_mT6_P12ihipStream_tbENKUlT_T0_E_clISt17integral_constantIbLb1EEST_IbLb0EEEEDaSP_SQ_EUlSP_E_NS1_11comp_targetILNS1_3genE3ELNS1_11target_archE908ELNS1_3gpuE7ELNS1_3repE0EEENS1_30default_config_static_selectorELNS0_4arch9wavefront6targetE1EEEvT1_
	.p2align	8
	.type	_ZN7rocprim17ROCPRIM_400000_NS6detail17trampoline_kernelINS0_14default_configENS1_20scan_config_selectorIsEEZZNS1_9scan_implILNS1_25lookback_scan_determinismE0ELb0ELb1ES3_N6thrust23THRUST_200600_302600_NS6detail15normal_iteratorINS9_10device_ptrIsEEEESE_sNS9_4plusIsEEsEEDaPvRmT3_T4_T5_mT6_P12ihipStream_tbENKUlT_T0_E_clISt17integral_constantIbLb1EEST_IbLb0EEEEDaSP_SQ_EUlSP_E_NS1_11comp_targetILNS1_3genE3ELNS1_11target_archE908ELNS1_3gpuE7ELNS1_3repE0EEENS1_30default_config_static_selectorELNS0_4arch9wavefront6targetE1EEEvT1_,@function
_ZN7rocprim17ROCPRIM_400000_NS6detail17trampoline_kernelINS0_14default_configENS1_20scan_config_selectorIsEEZZNS1_9scan_implILNS1_25lookback_scan_determinismE0ELb0ELb1ES3_N6thrust23THRUST_200600_302600_NS6detail15normal_iteratorINS9_10device_ptrIsEEEESE_sNS9_4plusIsEEsEEDaPvRmT3_T4_T5_mT6_P12ihipStream_tbENKUlT_T0_E_clISt17integral_constantIbLb1EEST_IbLb0EEEEDaSP_SQ_EUlSP_E_NS1_11comp_targetILNS1_3genE3ELNS1_11target_archE908ELNS1_3gpuE7ELNS1_3repE0EEENS1_30default_config_static_selectorELNS0_4arch9wavefront6targetE1EEEvT1_: ; @_ZN7rocprim17ROCPRIM_400000_NS6detail17trampoline_kernelINS0_14default_configENS1_20scan_config_selectorIsEEZZNS1_9scan_implILNS1_25lookback_scan_determinismE0ELb0ELb1ES3_N6thrust23THRUST_200600_302600_NS6detail15normal_iteratorINS9_10device_ptrIsEEEESE_sNS9_4plusIsEEsEEDaPvRmT3_T4_T5_mT6_P12ihipStream_tbENKUlT_T0_E_clISt17integral_constantIbLb1EEST_IbLb0EEEEDaSP_SQ_EUlSP_E_NS1_11comp_targetILNS1_3genE3ELNS1_11target_archE908ELNS1_3gpuE7ELNS1_3repE0EEENS1_30default_config_static_selectorELNS0_4arch9wavefront6targetE1EEEvT1_
; %bb.0:
	.section	.rodata,"a",@progbits
	.p2align	6, 0x0
	.amdhsa_kernel _ZN7rocprim17ROCPRIM_400000_NS6detail17trampoline_kernelINS0_14default_configENS1_20scan_config_selectorIsEEZZNS1_9scan_implILNS1_25lookback_scan_determinismE0ELb0ELb1ES3_N6thrust23THRUST_200600_302600_NS6detail15normal_iteratorINS9_10device_ptrIsEEEESE_sNS9_4plusIsEEsEEDaPvRmT3_T4_T5_mT6_P12ihipStream_tbENKUlT_T0_E_clISt17integral_constantIbLb1EEST_IbLb0EEEEDaSP_SQ_EUlSP_E_NS1_11comp_targetILNS1_3genE3ELNS1_11target_archE908ELNS1_3gpuE7ELNS1_3repE0EEENS1_30default_config_static_selectorELNS0_4arch9wavefront6targetE1EEEvT1_
		.amdhsa_group_segment_fixed_size 0
		.amdhsa_private_segment_fixed_size 0
		.amdhsa_kernarg_size 96
		.amdhsa_user_sgpr_count 6
		.amdhsa_user_sgpr_private_segment_buffer 1
		.amdhsa_user_sgpr_dispatch_ptr 0
		.amdhsa_user_sgpr_queue_ptr 0
		.amdhsa_user_sgpr_kernarg_segment_ptr 1
		.amdhsa_user_sgpr_dispatch_id 0
		.amdhsa_user_sgpr_flat_scratch_init 0
		.amdhsa_user_sgpr_kernarg_preload_length 0
		.amdhsa_user_sgpr_kernarg_preload_offset 0
		.amdhsa_user_sgpr_private_segment_size 0
		.amdhsa_uses_dynamic_stack 0
		.amdhsa_system_sgpr_private_segment_wavefront_offset 0
		.amdhsa_system_sgpr_workgroup_id_x 1
		.amdhsa_system_sgpr_workgroup_id_y 0
		.amdhsa_system_sgpr_workgroup_id_z 0
		.amdhsa_system_sgpr_workgroup_info 0
		.amdhsa_system_vgpr_workitem_id 0
		.amdhsa_next_free_vgpr 1
		.amdhsa_next_free_sgpr 0
		.amdhsa_accum_offset 4
		.amdhsa_reserve_vcc 0
		.amdhsa_reserve_flat_scratch 0
		.amdhsa_float_round_mode_32 0
		.amdhsa_float_round_mode_16_64 0
		.amdhsa_float_denorm_mode_32 3
		.amdhsa_float_denorm_mode_16_64 3
		.amdhsa_dx10_clamp 1
		.amdhsa_ieee_mode 1
		.amdhsa_fp16_overflow 0
		.amdhsa_tg_split 0
		.amdhsa_exception_fp_ieee_invalid_op 0
		.amdhsa_exception_fp_denorm_src 0
		.amdhsa_exception_fp_ieee_div_zero 0
		.amdhsa_exception_fp_ieee_overflow 0
		.amdhsa_exception_fp_ieee_underflow 0
		.amdhsa_exception_fp_ieee_inexact 0
		.amdhsa_exception_int_div_zero 0
	.end_amdhsa_kernel
	.section	.text._ZN7rocprim17ROCPRIM_400000_NS6detail17trampoline_kernelINS0_14default_configENS1_20scan_config_selectorIsEEZZNS1_9scan_implILNS1_25lookback_scan_determinismE0ELb0ELb1ES3_N6thrust23THRUST_200600_302600_NS6detail15normal_iteratorINS9_10device_ptrIsEEEESE_sNS9_4plusIsEEsEEDaPvRmT3_T4_T5_mT6_P12ihipStream_tbENKUlT_T0_E_clISt17integral_constantIbLb1EEST_IbLb0EEEEDaSP_SQ_EUlSP_E_NS1_11comp_targetILNS1_3genE3ELNS1_11target_archE908ELNS1_3gpuE7ELNS1_3repE0EEENS1_30default_config_static_selectorELNS0_4arch9wavefront6targetE1EEEvT1_,"axG",@progbits,_ZN7rocprim17ROCPRIM_400000_NS6detail17trampoline_kernelINS0_14default_configENS1_20scan_config_selectorIsEEZZNS1_9scan_implILNS1_25lookback_scan_determinismE0ELb0ELb1ES3_N6thrust23THRUST_200600_302600_NS6detail15normal_iteratorINS9_10device_ptrIsEEEESE_sNS9_4plusIsEEsEEDaPvRmT3_T4_T5_mT6_P12ihipStream_tbENKUlT_T0_E_clISt17integral_constantIbLb1EEST_IbLb0EEEEDaSP_SQ_EUlSP_E_NS1_11comp_targetILNS1_3genE3ELNS1_11target_archE908ELNS1_3gpuE7ELNS1_3repE0EEENS1_30default_config_static_selectorELNS0_4arch9wavefront6targetE1EEEvT1_,comdat
.Lfunc_end1306:
	.size	_ZN7rocprim17ROCPRIM_400000_NS6detail17trampoline_kernelINS0_14default_configENS1_20scan_config_selectorIsEEZZNS1_9scan_implILNS1_25lookback_scan_determinismE0ELb0ELb1ES3_N6thrust23THRUST_200600_302600_NS6detail15normal_iteratorINS9_10device_ptrIsEEEESE_sNS9_4plusIsEEsEEDaPvRmT3_T4_T5_mT6_P12ihipStream_tbENKUlT_T0_E_clISt17integral_constantIbLb1EEST_IbLb0EEEEDaSP_SQ_EUlSP_E_NS1_11comp_targetILNS1_3genE3ELNS1_11target_archE908ELNS1_3gpuE7ELNS1_3repE0EEENS1_30default_config_static_selectorELNS0_4arch9wavefront6targetE1EEEvT1_, .Lfunc_end1306-_ZN7rocprim17ROCPRIM_400000_NS6detail17trampoline_kernelINS0_14default_configENS1_20scan_config_selectorIsEEZZNS1_9scan_implILNS1_25lookback_scan_determinismE0ELb0ELb1ES3_N6thrust23THRUST_200600_302600_NS6detail15normal_iteratorINS9_10device_ptrIsEEEESE_sNS9_4plusIsEEsEEDaPvRmT3_T4_T5_mT6_P12ihipStream_tbENKUlT_T0_E_clISt17integral_constantIbLb1EEST_IbLb0EEEEDaSP_SQ_EUlSP_E_NS1_11comp_targetILNS1_3genE3ELNS1_11target_archE908ELNS1_3gpuE7ELNS1_3repE0EEENS1_30default_config_static_selectorELNS0_4arch9wavefront6targetE1EEEvT1_
                                        ; -- End function
	.section	.AMDGPU.csdata,"",@progbits
; Kernel info:
; codeLenInByte = 0
; NumSgprs: 4
; NumVgprs: 0
; NumAgprs: 0
; TotalNumVgprs: 0
; ScratchSize: 0
; MemoryBound: 0
; FloatMode: 240
; IeeeMode: 1
; LDSByteSize: 0 bytes/workgroup (compile time only)
; SGPRBlocks: 0
; VGPRBlocks: 0
; NumSGPRsForWavesPerEU: 4
; NumVGPRsForWavesPerEU: 1
; AccumOffset: 4
; Occupancy: 8
; WaveLimiterHint : 0
; COMPUTE_PGM_RSRC2:SCRATCH_EN: 0
; COMPUTE_PGM_RSRC2:USER_SGPR: 6
; COMPUTE_PGM_RSRC2:TRAP_HANDLER: 0
; COMPUTE_PGM_RSRC2:TGID_X_EN: 1
; COMPUTE_PGM_RSRC2:TGID_Y_EN: 0
; COMPUTE_PGM_RSRC2:TGID_Z_EN: 0
; COMPUTE_PGM_RSRC2:TIDIG_COMP_CNT: 0
; COMPUTE_PGM_RSRC3_GFX90A:ACCUM_OFFSET: 0
; COMPUTE_PGM_RSRC3_GFX90A:TG_SPLIT: 0
	.section	.text._ZN7rocprim17ROCPRIM_400000_NS6detail17trampoline_kernelINS0_14default_configENS1_20scan_config_selectorIsEEZZNS1_9scan_implILNS1_25lookback_scan_determinismE0ELb0ELb1ES3_N6thrust23THRUST_200600_302600_NS6detail15normal_iteratorINS9_10device_ptrIsEEEESE_sNS9_4plusIsEEsEEDaPvRmT3_T4_T5_mT6_P12ihipStream_tbENKUlT_T0_E_clISt17integral_constantIbLb1EEST_IbLb0EEEEDaSP_SQ_EUlSP_E_NS1_11comp_targetILNS1_3genE2ELNS1_11target_archE906ELNS1_3gpuE6ELNS1_3repE0EEENS1_30default_config_static_selectorELNS0_4arch9wavefront6targetE1EEEvT1_,"axG",@progbits,_ZN7rocprim17ROCPRIM_400000_NS6detail17trampoline_kernelINS0_14default_configENS1_20scan_config_selectorIsEEZZNS1_9scan_implILNS1_25lookback_scan_determinismE0ELb0ELb1ES3_N6thrust23THRUST_200600_302600_NS6detail15normal_iteratorINS9_10device_ptrIsEEEESE_sNS9_4plusIsEEsEEDaPvRmT3_T4_T5_mT6_P12ihipStream_tbENKUlT_T0_E_clISt17integral_constantIbLb1EEST_IbLb0EEEEDaSP_SQ_EUlSP_E_NS1_11comp_targetILNS1_3genE2ELNS1_11target_archE906ELNS1_3gpuE6ELNS1_3repE0EEENS1_30default_config_static_selectorELNS0_4arch9wavefront6targetE1EEEvT1_,comdat
	.protected	_ZN7rocprim17ROCPRIM_400000_NS6detail17trampoline_kernelINS0_14default_configENS1_20scan_config_selectorIsEEZZNS1_9scan_implILNS1_25lookback_scan_determinismE0ELb0ELb1ES3_N6thrust23THRUST_200600_302600_NS6detail15normal_iteratorINS9_10device_ptrIsEEEESE_sNS9_4plusIsEEsEEDaPvRmT3_T4_T5_mT6_P12ihipStream_tbENKUlT_T0_E_clISt17integral_constantIbLb1EEST_IbLb0EEEEDaSP_SQ_EUlSP_E_NS1_11comp_targetILNS1_3genE2ELNS1_11target_archE906ELNS1_3gpuE6ELNS1_3repE0EEENS1_30default_config_static_selectorELNS0_4arch9wavefront6targetE1EEEvT1_ ; -- Begin function _ZN7rocprim17ROCPRIM_400000_NS6detail17trampoline_kernelINS0_14default_configENS1_20scan_config_selectorIsEEZZNS1_9scan_implILNS1_25lookback_scan_determinismE0ELb0ELb1ES3_N6thrust23THRUST_200600_302600_NS6detail15normal_iteratorINS9_10device_ptrIsEEEESE_sNS9_4plusIsEEsEEDaPvRmT3_T4_T5_mT6_P12ihipStream_tbENKUlT_T0_E_clISt17integral_constantIbLb1EEST_IbLb0EEEEDaSP_SQ_EUlSP_E_NS1_11comp_targetILNS1_3genE2ELNS1_11target_archE906ELNS1_3gpuE6ELNS1_3repE0EEENS1_30default_config_static_selectorELNS0_4arch9wavefront6targetE1EEEvT1_
	.globl	_ZN7rocprim17ROCPRIM_400000_NS6detail17trampoline_kernelINS0_14default_configENS1_20scan_config_selectorIsEEZZNS1_9scan_implILNS1_25lookback_scan_determinismE0ELb0ELb1ES3_N6thrust23THRUST_200600_302600_NS6detail15normal_iteratorINS9_10device_ptrIsEEEESE_sNS9_4plusIsEEsEEDaPvRmT3_T4_T5_mT6_P12ihipStream_tbENKUlT_T0_E_clISt17integral_constantIbLb1EEST_IbLb0EEEEDaSP_SQ_EUlSP_E_NS1_11comp_targetILNS1_3genE2ELNS1_11target_archE906ELNS1_3gpuE6ELNS1_3repE0EEENS1_30default_config_static_selectorELNS0_4arch9wavefront6targetE1EEEvT1_
	.p2align	8
	.type	_ZN7rocprim17ROCPRIM_400000_NS6detail17trampoline_kernelINS0_14default_configENS1_20scan_config_selectorIsEEZZNS1_9scan_implILNS1_25lookback_scan_determinismE0ELb0ELb1ES3_N6thrust23THRUST_200600_302600_NS6detail15normal_iteratorINS9_10device_ptrIsEEEESE_sNS9_4plusIsEEsEEDaPvRmT3_T4_T5_mT6_P12ihipStream_tbENKUlT_T0_E_clISt17integral_constantIbLb1EEST_IbLb0EEEEDaSP_SQ_EUlSP_E_NS1_11comp_targetILNS1_3genE2ELNS1_11target_archE906ELNS1_3gpuE6ELNS1_3repE0EEENS1_30default_config_static_selectorELNS0_4arch9wavefront6targetE1EEEvT1_,@function
_ZN7rocprim17ROCPRIM_400000_NS6detail17trampoline_kernelINS0_14default_configENS1_20scan_config_selectorIsEEZZNS1_9scan_implILNS1_25lookback_scan_determinismE0ELb0ELb1ES3_N6thrust23THRUST_200600_302600_NS6detail15normal_iteratorINS9_10device_ptrIsEEEESE_sNS9_4plusIsEEsEEDaPvRmT3_T4_T5_mT6_P12ihipStream_tbENKUlT_T0_E_clISt17integral_constantIbLb1EEST_IbLb0EEEEDaSP_SQ_EUlSP_E_NS1_11comp_targetILNS1_3genE2ELNS1_11target_archE906ELNS1_3gpuE6ELNS1_3repE0EEENS1_30default_config_static_selectorELNS0_4arch9wavefront6targetE1EEEvT1_: ; @_ZN7rocprim17ROCPRIM_400000_NS6detail17trampoline_kernelINS0_14default_configENS1_20scan_config_selectorIsEEZZNS1_9scan_implILNS1_25lookback_scan_determinismE0ELb0ELb1ES3_N6thrust23THRUST_200600_302600_NS6detail15normal_iteratorINS9_10device_ptrIsEEEESE_sNS9_4plusIsEEsEEDaPvRmT3_T4_T5_mT6_P12ihipStream_tbENKUlT_T0_E_clISt17integral_constantIbLb1EEST_IbLb0EEEEDaSP_SQ_EUlSP_E_NS1_11comp_targetILNS1_3genE2ELNS1_11target_archE906ELNS1_3gpuE6ELNS1_3repE0EEENS1_30default_config_static_selectorELNS0_4arch9wavefront6targetE1EEEvT1_
; %bb.0:
	.section	.rodata,"a",@progbits
	.p2align	6, 0x0
	.amdhsa_kernel _ZN7rocprim17ROCPRIM_400000_NS6detail17trampoline_kernelINS0_14default_configENS1_20scan_config_selectorIsEEZZNS1_9scan_implILNS1_25lookback_scan_determinismE0ELb0ELb1ES3_N6thrust23THRUST_200600_302600_NS6detail15normal_iteratorINS9_10device_ptrIsEEEESE_sNS9_4plusIsEEsEEDaPvRmT3_T4_T5_mT6_P12ihipStream_tbENKUlT_T0_E_clISt17integral_constantIbLb1EEST_IbLb0EEEEDaSP_SQ_EUlSP_E_NS1_11comp_targetILNS1_3genE2ELNS1_11target_archE906ELNS1_3gpuE6ELNS1_3repE0EEENS1_30default_config_static_selectorELNS0_4arch9wavefront6targetE1EEEvT1_
		.amdhsa_group_segment_fixed_size 0
		.amdhsa_private_segment_fixed_size 0
		.amdhsa_kernarg_size 96
		.amdhsa_user_sgpr_count 6
		.amdhsa_user_sgpr_private_segment_buffer 1
		.amdhsa_user_sgpr_dispatch_ptr 0
		.amdhsa_user_sgpr_queue_ptr 0
		.amdhsa_user_sgpr_kernarg_segment_ptr 1
		.amdhsa_user_sgpr_dispatch_id 0
		.amdhsa_user_sgpr_flat_scratch_init 0
		.amdhsa_user_sgpr_kernarg_preload_length 0
		.amdhsa_user_sgpr_kernarg_preload_offset 0
		.amdhsa_user_sgpr_private_segment_size 0
		.amdhsa_uses_dynamic_stack 0
		.amdhsa_system_sgpr_private_segment_wavefront_offset 0
		.amdhsa_system_sgpr_workgroup_id_x 1
		.amdhsa_system_sgpr_workgroup_id_y 0
		.amdhsa_system_sgpr_workgroup_id_z 0
		.amdhsa_system_sgpr_workgroup_info 0
		.amdhsa_system_vgpr_workitem_id 0
		.amdhsa_next_free_vgpr 1
		.amdhsa_next_free_sgpr 0
		.amdhsa_accum_offset 4
		.amdhsa_reserve_vcc 0
		.amdhsa_reserve_flat_scratch 0
		.amdhsa_float_round_mode_32 0
		.amdhsa_float_round_mode_16_64 0
		.amdhsa_float_denorm_mode_32 3
		.amdhsa_float_denorm_mode_16_64 3
		.amdhsa_dx10_clamp 1
		.amdhsa_ieee_mode 1
		.amdhsa_fp16_overflow 0
		.amdhsa_tg_split 0
		.amdhsa_exception_fp_ieee_invalid_op 0
		.amdhsa_exception_fp_denorm_src 0
		.amdhsa_exception_fp_ieee_div_zero 0
		.amdhsa_exception_fp_ieee_overflow 0
		.amdhsa_exception_fp_ieee_underflow 0
		.amdhsa_exception_fp_ieee_inexact 0
		.amdhsa_exception_int_div_zero 0
	.end_amdhsa_kernel
	.section	.text._ZN7rocprim17ROCPRIM_400000_NS6detail17trampoline_kernelINS0_14default_configENS1_20scan_config_selectorIsEEZZNS1_9scan_implILNS1_25lookback_scan_determinismE0ELb0ELb1ES3_N6thrust23THRUST_200600_302600_NS6detail15normal_iteratorINS9_10device_ptrIsEEEESE_sNS9_4plusIsEEsEEDaPvRmT3_T4_T5_mT6_P12ihipStream_tbENKUlT_T0_E_clISt17integral_constantIbLb1EEST_IbLb0EEEEDaSP_SQ_EUlSP_E_NS1_11comp_targetILNS1_3genE2ELNS1_11target_archE906ELNS1_3gpuE6ELNS1_3repE0EEENS1_30default_config_static_selectorELNS0_4arch9wavefront6targetE1EEEvT1_,"axG",@progbits,_ZN7rocprim17ROCPRIM_400000_NS6detail17trampoline_kernelINS0_14default_configENS1_20scan_config_selectorIsEEZZNS1_9scan_implILNS1_25lookback_scan_determinismE0ELb0ELb1ES3_N6thrust23THRUST_200600_302600_NS6detail15normal_iteratorINS9_10device_ptrIsEEEESE_sNS9_4plusIsEEsEEDaPvRmT3_T4_T5_mT6_P12ihipStream_tbENKUlT_T0_E_clISt17integral_constantIbLb1EEST_IbLb0EEEEDaSP_SQ_EUlSP_E_NS1_11comp_targetILNS1_3genE2ELNS1_11target_archE906ELNS1_3gpuE6ELNS1_3repE0EEENS1_30default_config_static_selectorELNS0_4arch9wavefront6targetE1EEEvT1_,comdat
.Lfunc_end1307:
	.size	_ZN7rocprim17ROCPRIM_400000_NS6detail17trampoline_kernelINS0_14default_configENS1_20scan_config_selectorIsEEZZNS1_9scan_implILNS1_25lookback_scan_determinismE0ELb0ELb1ES3_N6thrust23THRUST_200600_302600_NS6detail15normal_iteratorINS9_10device_ptrIsEEEESE_sNS9_4plusIsEEsEEDaPvRmT3_T4_T5_mT6_P12ihipStream_tbENKUlT_T0_E_clISt17integral_constantIbLb1EEST_IbLb0EEEEDaSP_SQ_EUlSP_E_NS1_11comp_targetILNS1_3genE2ELNS1_11target_archE906ELNS1_3gpuE6ELNS1_3repE0EEENS1_30default_config_static_selectorELNS0_4arch9wavefront6targetE1EEEvT1_, .Lfunc_end1307-_ZN7rocprim17ROCPRIM_400000_NS6detail17trampoline_kernelINS0_14default_configENS1_20scan_config_selectorIsEEZZNS1_9scan_implILNS1_25lookback_scan_determinismE0ELb0ELb1ES3_N6thrust23THRUST_200600_302600_NS6detail15normal_iteratorINS9_10device_ptrIsEEEESE_sNS9_4plusIsEEsEEDaPvRmT3_T4_T5_mT6_P12ihipStream_tbENKUlT_T0_E_clISt17integral_constantIbLb1EEST_IbLb0EEEEDaSP_SQ_EUlSP_E_NS1_11comp_targetILNS1_3genE2ELNS1_11target_archE906ELNS1_3gpuE6ELNS1_3repE0EEENS1_30default_config_static_selectorELNS0_4arch9wavefront6targetE1EEEvT1_
                                        ; -- End function
	.section	.AMDGPU.csdata,"",@progbits
; Kernel info:
; codeLenInByte = 0
; NumSgprs: 4
; NumVgprs: 0
; NumAgprs: 0
; TotalNumVgprs: 0
; ScratchSize: 0
; MemoryBound: 0
; FloatMode: 240
; IeeeMode: 1
; LDSByteSize: 0 bytes/workgroup (compile time only)
; SGPRBlocks: 0
; VGPRBlocks: 0
; NumSGPRsForWavesPerEU: 4
; NumVGPRsForWavesPerEU: 1
; AccumOffset: 4
; Occupancy: 8
; WaveLimiterHint : 0
; COMPUTE_PGM_RSRC2:SCRATCH_EN: 0
; COMPUTE_PGM_RSRC2:USER_SGPR: 6
; COMPUTE_PGM_RSRC2:TRAP_HANDLER: 0
; COMPUTE_PGM_RSRC2:TGID_X_EN: 1
; COMPUTE_PGM_RSRC2:TGID_Y_EN: 0
; COMPUTE_PGM_RSRC2:TGID_Z_EN: 0
; COMPUTE_PGM_RSRC2:TIDIG_COMP_CNT: 0
; COMPUTE_PGM_RSRC3_GFX90A:ACCUM_OFFSET: 0
; COMPUTE_PGM_RSRC3_GFX90A:TG_SPLIT: 0
	.section	.text._ZN7rocprim17ROCPRIM_400000_NS6detail17trampoline_kernelINS0_14default_configENS1_20scan_config_selectorIsEEZZNS1_9scan_implILNS1_25lookback_scan_determinismE0ELb0ELb1ES3_N6thrust23THRUST_200600_302600_NS6detail15normal_iteratorINS9_10device_ptrIsEEEESE_sNS9_4plusIsEEsEEDaPvRmT3_T4_T5_mT6_P12ihipStream_tbENKUlT_T0_E_clISt17integral_constantIbLb1EEST_IbLb0EEEEDaSP_SQ_EUlSP_E_NS1_11comp_targetILNS1_3genE10ELNS1_11target_archE1201ELNS1_3gpuE5ELNS1_3repE0EEENS1_30default_config_static_selectorELNS0_4arch9wavefront6targetE1EEEvT1_,"axG",@progbits,_ZN7rocprim17ROCPRIM_400000_NS6detail17trampoline_kernelINS0_14default_configENS1_20scan_config_selectorIsEEZZNS1_9scan_implILNS1_25lookback_scan_determinismE0ELb0ELb1ES3_N6thrust23THRUST_200600_302600_NS6detail15normal_iteratorINS9_10device_ptrIsEEEESE_sNS9_4plusIsEEsEEDaPvRmT3_T4_T5_mT6_P12ihipStream_tbENKUlT_T0_E_clISt17integral_constantIbLb1EEST_IbLb0EEEEDaSP_SQ_EUlSP_E_NS1_11comp_targetILNS1_3genE10ELNS1_11target_archE1201ELNS1_3gpuE5ELNS1_3repE0EEENS1_30default_config_static_selectorELNS0_4arch9wavefront6targetE1EEEvT1_,comdat
	.protected	_ZN7rocprim17ROCPRIM_400000_NS6detail17trampoline_kernelINS0_14default_configENS1_20scan_config_selectorIsEEZZNS1_9scan_implILNS1_25lookback_scan_determinismE0ELb0ELb1ES3_N6thrust23THRUST_200600_302600_NS6detail15normal_iteratorINS9_10device_ptrIsEEEESE_sNS9_4plusIsEEsEEDaPvRmT3_T4_T5_mT6_P12ihipStream_tbENKUlT_T0_E_clISt17integral_constantIbLb1EEST_IbLb0EEEEDaSP_SQ_EUlSP_E_NS1_11comp_targetILNS1_3genE10ELNS1_11target_archE1201ELNS1_3gpuE5ELNS1_3repE0EEENS1_30default_config_static_selectorELNS0_4arch9wavefront6targetE1EEEvT1_ ; -- Begin function _ZN7rocprim17ROCPRIM_400000_NS6detail17trampoline_kernelINS0_14default_configENS1_20scan_config_selectorIsEEZZNS1_9scan_implILNS1_25lookback_scan_determinismE0ELb0ELb1ES3_N6thrust23THRUST_200600_302600_NS6detail15normal_iteratorINS9_10device_ptrIsEEEESE_sNS9_4plusIsEEsEEDaPvRmT3_T4_T5_mT6_P12ihipStream_tbENKUlT_T0_E_clISt17integral_constantIbLb1EEST_IbLb0EEEEDaSP_SQ_EUlSP_E_NS1_11comp_targetILNS1_3genE10ELNS1_11target_archE1201ELNS1_3gpuE5ELNS1_3repE0EEENS1_30default_config_static_selectorELNS0_4arch9wavefront6targetE1EEEvT1_
	.globl	_ZN7rocprim17ROCPRIM_400000_NS6detail17trampoline_kernelINS0_14default_configENS1_20scan_config_selectorIsEEZZNS1_9scan_implILNS1_25lookback_scan_determinismE0ELb0ELb1ES3_N6thrust23THRUST_200600_302600_NS6detail15normal_iteratorINS9_10device_ptrIsEEEESE_sNS9_4plusIsEEsEEDaPvRmT3_T4_T5_mT6_P12ihipStream_tbENKUlT_T0_E_clISt17integral_constantIbLb1EEST_IbLb0EEEEDaSP_SQ_EUlSP_E_NS1_11comp_targetILNS1_3genE10ELNS1_11target_archE1201ELNS1_3gpuE5ELNS1_3repE0EEENS1_30default_config_static_selectorELNS0_4arch9wavefront6targetE1EEEvT1_
	.p2align	8
	.type	_ZN7rocprim17ROCPRIM_400000_NS6detail17trampoline_kernelINS0_14default_configENS1_20scan_config_selectorIsEEZZNS1_9scan_implILNS1_25lookback_scan_determinismE0ELb0ELb1ES3_N6thrust23THRUST_200600_302600_NS6detail15normal_iteratorINS9_10device_ptrIsEEEESE_sNS9_4plusIsEEsEEDaPvRmT3_T4_T5_mT6_P12ihipStream_tbENKUlT_T0_E_clISt17integral_constantIbLb1EEST_IbLb0EEEEDaSP_SQ_EUlSP_E_NS1_11comp_targetILNS1_3genE10ELNS1_11target_archE1201ELNS1_3gpuE5ELNS1_3repE0EEENS1_30default_config_static_selectorELNS0_4arch9wavefront6targetE1EEEvT1_,@function
_ZN7rocprim17ROCPRIM_400000_NS6detail17trampoline_kernelINS0_14default_configENS1_20scan_config_selectorIsEEZZNS1_9scan_implILNS1_25lookback_scan_determinismE0ELb0ELb1ES3_N6thrust23THRUST_200600_302600_NS6detail15normal_iteratorINS9_10device_ptrIsEEEESE_sNS9_4plusIsEEsEEDaPvRmT3_T4_T5_mT6_P12ihipStream_tbENKUlT_T0_E_clISt17integral_constantIbLb1EEST_IbLb0EEEEDaSP_SQ_EUlSP_E_NS1_11comp_targetILNS1_3genE10ELNS1_11target_archE1201ELNS1_3gpuE5ELNS1_3repE0EEENS1_30default_config_static_selectorELNS0_4arch9wavefront6targetE1EEEvT1_: ; @_ZN7rocprim17ROCPRIM_400000_NS6detail17trampoline_kernelINS0_14default_configENS1_20scan_config_selectorIsEEZZNS1_9scan_implILNS1_25lookback_scan_determinismE0ELb0ELb1ES3_N6thrust23THRUST_200600_302600_NS6detail15normal_iteratorINS9_10device_ptrIsEEEESE_sNS9_4plusIsEEsEEDaPvRmT3_T4_T5_mT6_P12ihipStream_tbENKUlT_T0_E_clISt17integral_constantIbLb1EEST_IbLb0EEEEDaSP_SQ_EUlSP_E_NS1_11comp_targetILNS1_3genE10ELNS1_11target_archE1201ELNS1_3gpuE5ELNS1_3repE0EEENS1_30default_config_static_selectorELNS0_4arch9wavefront6targetE1EEEvT1_
; %bb.0:
	.section	.rodata,"a",@progbits
	.p2align	6, 0x0
	.amdhsa_kernel _ZN7rocprim17ROCPRIM_400000_NS6detail17trampoline_kernelINS0_14default_configENS1_20scan_config_selectorIsEEZZNS1_9scan_implILNS1_25lookback_scan_determinismE0ELb0ELb1ES3_N6thrust23THRUST_200600_302600_NS6detail15normal_iteratorINS9_10device_ptrIsEEEESE_sNS9_4plusIsEEsEEDaPvRmT3_T4_T5_mT6_P12ihipStream_tbENKUlT_T0_E_clISt17integral_constantIbLb1EEST_IbLb0EEEEDaSP_SQ_EUlSP_E_NS1_11comp_targetILNS1_3genE10ELNS1_11target_archE1201ELNS1_3gpuE5ELNS1_3repE0EEENS1_30default_config_static_selectorELNS0_4arch9wavefront6targetE1EEEvT1_
		.amdhsa_group_segment_fixed_size 0
		.amdhsa_private_segment_fixed_size 0
		.amdhsa_kernarg_size 96
		.amdhsa_user_sgpr_count 6
		.amdhsa_user_sgpr_private_segment_buffer 1
		.amdhsa_user_sgpr_dispatch_ptr 0
		.amdhsa_user_sgpr_queue_ptr 0
		.amdhsa_user_sgpr_kernarg_segment_ptr 1
		.amdhsa_user_sgpr_dispatch_id 0
		.amdhsa_user_sgpr_flat_scratch_init 0
		.amdhsa_user_sgpr_kernarg_preload_length 0
		.amdhsa_user_sgpr_kernarg_preload_offset 0
		.amdhsa_user_sgpr_private_segment_size 0
		.amdhsa_uses_dynamic_stack 0
		.amdhsa_system_sgpr_private_segment_wavefront_offset 0
		.amdhsa_system_sgpr_workgroup_id_x 1
		.amdhsa_system_sgpr_workgroup_id_y 0
		.amdhsa_system_sgpr_workgroup_id_z 0
		.amdhsa_system_sgpr_workgroup_info 0
		.amdhsa_system_vgpr_workitem_id 0
		.amdhsa_next_free_vgpr 1
		.amdhsa_next_free_sgpr 0
		.amdhsa_accum_offset 4
		.amdhsa_reserve_vcc 0
		.amdhsa_reserve_flat_scratch 0
		.amdhsa_float_round_mode_32 0
		.amdhsa_float_round_mode_16_64 0
		.amdhsa_float_denorm_mode_32 3
		.amdhsa_float_denorm_mode_16_64 3
		.amdhsa_dx10_clamp 1
		.amdhsa_ieee_mode 1
		.amdhsa_fp16_overflow 0
		.amdhsa_tg_split 0
		.amdhsa_exception_fp_ieee_invalid_op 0
		.amdhsa_exception_fp_denorm_src 0
		.amdhsa_exception_fp_ieee_div_zero 0
		.amdhsa_exception_fp_ieee_overflow 0
		.amdhsa_exception_fp_ieee_underflow 0
		.amdhsa_exception_fp_ieee_inexact 0
		.amdhsa_exception_int_div_zero 0
	.end_amdhsa_kernel
	.section	.text._ZN7rocprim17ROCPRIM_400000_NS6detail17trampoline_kernelINS0_14default_configENS1_20scan_config_selectorIsEEZZNS1_9scan_implILNS1_25lookback_scan_determinismE0ELb0ELb1ES3_N6thrust23THRUST_200600_302600_NS6detail15normal_iteratorINS9_10device_ptrIsEEEESE_sNS9_4plusIsEEsEEDaPvRmT3_T4_T5_mT6_P12ihipStream_tbENKUlT_T0_E_clISt17integral_constantIbLb1EEST_IbLb0EEEEDaSP_SQ_EUlSP_E_NS1_11comp_targetILNS1_3genE10ELNS1_11target_archE1201ELNS1_3gpuE5ELNS1_3repE0EEENS1_30default_config_static_selectorELNS0_4arch9wavefront6targetE1EEEvT1_,"axG",@progbits,_ZN7rocprim17ROCPRIM_400000_NS6detail17trampoline_kernelINS0_14default_configENS1_20scan_config_selectorIsEEZZNS1_9scan_implILNS1_25lookback_scan_determinismE0ELb0ELb1ES3_N6thrust23THRUST_200600_302600_NS6detail15normal_iteratorINS9_10device_ptrIsEEEESE_sNS9_4plusIsEEsEEDaPvRmT3_T4_T5_mT6_P12ihipStream_tbENKUlT_T0_E_clISt17integral_constantIbLb1EEST_IbLb0EEEEDaSP_SQ_EUlSP_E_NS1_11comp_targetILNS1_3genE10ELNS1_11target_archE1201ELNS1_3gpuE5ELNS1_3repE0EEENS1_30default_config_static_selectorELNS0_4arch9wavefront6targetE1EEEvT1_,comdat
.Lfunc_end1308:
	.size	_ZN7rocprim17ROCPRIM_400000_NS6detail17trampoline_kernelINS0_14default_configENS1_20scan_config_selectorIsEEZZNS1_9scan_implILNS1_25lookback_scan_determinismE0ELb0ELb1ES3_N6thrust23THRUST_200600_302600_NS6detail15normal_iteratorINS9_10device_ptrIsEEEESE_sNS9_4plusIsEEsEEDaPvRmT3_T4_T5_mT6_P12ihipStream_tbENKUlT_T0_E_clISt17integral_constantIbLb1EEST_IbLb0EEEEDaSP_SQ_EUlSP_E_NS1_11comp_targetILNS1_3genE10ELNS1_11target_archE1201ELNS1_3gpuE5ELNS1_3repE0EEENS1_30default_config_static_selectorELNS0_4arch9wavefront6targetE1EEEvT1_, .Lfunc_end1308-_ZN7rocprim17ROCPRIM_400000_NS6detail17trampoline_kernelINS0_14default_configENS1_20scan_config_selectorIsEEZZNS1_9scan_implILNS1_25lookback_scan_determinismE0ELb0ELb1ES3_N6thrust23THRUST_200600_302600_NS6detail15normal_iteratorINS9_10device_ptrIsEEEESE_sNS9_4plusIsEEsEEDaPvRmT3_T4_T5_mT6_P12ihipStream_tbENKUlT_T0_E_clISt17integral_constantIbLb1EEST_IbLb0EEEEDaSP_SQ_EUlSP_E_NS1_11comp_targetILNS1_3genE10ELNS1_11target_archE1201ELNS1_3gpuE5ELNS1_3repE0EEENS1_30default_config_static_selectorELNS0_4arch9wavefront6targetE1EEEvT1_
                                        ; -- End function
	.section	.AMDGPU.csdata,"",@progbits
; Kernel info:
; codeLenInByte = 0
; NumSgprs: 4
; NumVgprs: 0
; NumAgprs: 0
; TotalNumVgprs: 0
; ScratchSize: 0
; MemoryBound: 0
; FloatMode: 240
; IeeeMode: 1
; LDSByteSize: 0 bytes/workgroup (compile time only)
; SGPRBlocks: 0
; VGPRBlocks: 0
; NumSGPRsForWavesPerEU: 4
; NumVGPRsForWavesPerEU: 1
; AccumOffset: 4
; Occupancy: 8
; WaveLimiterHint : 0
; COMPUTE_PGM_RSRC2:SCRATCH_EN: 0
; COMPUTE_PGM_RSRC2:USER_SGPR: 6
; COMPUTE_PGM_RSRC2:TRAP_HANDLER: 0
; COMPUTE_PGM_RSRC2:TGID_X_EN: 1
; COMPUTE_PGM_RSRC2:TGID_Y_EN: 0
; COMPUTE_PGM_RSRC2:TGID_Z_EN: 0
; COMPUTE_PGM_RSRC2:TIDIG_COMP_CNT: 0
; COMPUTE_PGM_RSRC3_GFX90A:ACCUM_OFFSET: 0
; COMPUTE_PGM_RSRC3_GFX90A:TG_SPLIT: 0
	.section	.text._ZN7rocprim17ROCPRIM_400000_NS6detail17trampoline_kernelINS0_14default_configENS1_20scan_config_selectorIsEEZZNS1_9scan_implILNS1_25lookback_scan_determinismE0ELb0ELb1ES3_N6thrust23THRUST_200600_302600_NS6detail15normal_iteratorINS9_10device_ptrIsEEEESE_sNS9_4plusIsEEsEEDaPvRmT3_T4_T5_mT6_P12ihipStream_tbENKUlT_T0_E_clISt17integral_constantIbLb1EEST_IbLb0EEEEDaSP_SQ_EUlSP_E_NS1_11comp_targetILNS1_3genE10ELNS1_11target_archE1200ELNS1_3gpuE4ELNS1_3repE0EEENS1_30default_config_static_selectorELNS0_4arch9wavefront6targetE1EEEvT1_,"axG",@progbits,_ZN7rocprim17ROCPRIM_400000_NS6detail17trampoline_kernelINS0_14default_configENS1_20scan_config_selectorIsEEZZNS1_9scan_implILNS1_25lookback_scan_determinismE0ELb0ELb1ES3_N6thrust23THRUST_200600_302600_NS6detail15normal_iteratorINS9_10device_ptrIsEEEESE_sNS9_4plusIsEEsEEDaPvRmT3_T4_T5_mT6_P12ihipStream_tbENKUlT_T0_E_clISt17integral_constantIbLb1EEST_IbLb0EEEEDaSP_SQ_EUlSP_E_NS1_11comp_targetILNS1_3genE10ELNS1_11target_archE1200ELNS1_3gpuE4ELNS1_3repE0EEENS1_30default_config_static_selectorELNS0_4arch9wavefront6targetE1EEEvT1_,comdat
	.protected	_ZN7rocprim17ROCPRIM_400000_NS6detail17trampoline_kernelINS0_14default_configENS1_20scan_config_selectorIsEEZZNS1_9scan_implILNS1_25lookback_scan_determinismE0ELb0ELb1ES3_N6thrust23THRUST_200600_302600_NS6detail15normal_iteratorINS9_10device_ptrIsEEEESE_sNS9_4plusIsEEsEEDaPvRmT3_T4_T5_mT6_P12ihipStream_tbENKUlT_T0_E_clISt17integral_constantIbLb1EEST_IbLb0EEEEDaSP_SQ_EUlSP_E_NS1_11comp_targetILNS1_3genE10ELNS1_11target_archE1200ELNS1_3gpuE4ELNS1_3repE0EEENS1_30default_config_static_selectorELNS0_4arch9wavefront6targetE1EEEvT1_ ; -- Begin function _ZN7rocprim17ROCPRIM_400000_NS6detail17trampoline_kernelINS0_14default_configENS1_20scan_config_selectorIsEEZZNS1_9scan_implILNS1_25lookback_scan_determinismE0ELb0ELb1ES3_N6thrust23THRUST_200600_302600_NS6detail15normal_iteratorINS9_10device_ptrIsEEEESE_sNS9_4plusIsEEsEEDaPvRmT3_T4_T5_mT6_P12ihipStream_tbENKUlT_T0_E_clISt17integral_constantIbLb1EEST_IbLb0EEEEDaSP_SQ_EUlSP_E_NS1_11comp_targetILNS1_3genE10ELNS1_11target_archE1200ELNS1_3gpuE4ELNS1_3repE0EEENS1_30default_config_static_selectorELNS0_4arch9wavefront6targetE1EEEvT1_
	.globl	_ZN7rocprim17ROCPRIM_400000_NS6detail17trampoline_kernelINS0_14default_configENS1_20scan_config_selectorIsEEZZNS1_9scan_implILNS1_25lookback_scan_determinismE0ELb0ELb1ES3_N6thrust23THRUST_200600_302600_NS6detail15normal_iteratorINS9_10device_ptrIsEEEESE_sNS9_4plusIsEEsEEDaPvRmT3_T4_T5_mT6_P12ihipStream_tbENKUlT_T0_E_clISt17integral_constantIbLb1EEST_IbLb0EEEEDaSP_SQ_EUlSP_E_NS1_11comp_targetILNS1_3genE10ELNS1_11target_archE1200ELNS1_3gpuE4ELNS1_3repE0EEENS1_30default_config_static_selectorELNS0_4arch9wavefront6targetE1EEEvT1_
	.p2align	8
	.type	_ZN7rocprim17ROCPRIM_400000_NS6detail17trampoline_kernelINS0_14default_configENS1_20scan_config_selectorIsEEZZNS1_9scan_implILNS1_25lookback_scan_determinismE0ELb0ELb1ES3_N6thrust23THRUST_200600_302600_NS6detail15normal_iteratorINS9_10device_ptrIsEEEESE_sNS9_4plusIsEEsEEDaPvRmT3_T4_T5_mT6_P12ihipStream_tbENKUlT_T0_E_clISt17integral_constantIbLb1EEST_IbLb0EEEEDaSP_SQ_EUlSP_E_NS1_11comp_targetILNS1_3genE10ELNS1_11target_archE1200ELNS1_3gpuE4ELNS1_3repE0EEENS1_30default_config_static_selectorELNS0_4arch9wavefront6targetE1EEEvT1_,@function
_ZN7rocprim17ROCPRIM_400000_NS6detail17trampoline_kernelINS0_14default_configENS1_20scan_config_selectorIsEEZZNS1_9scan_implILNS1_25lookback_scan_determinismE0ELb0ELb1ES3_N6thrust23THRUST_200600_302600_NS6detail15normal_iteratorINS9_10device_ptrIsEEEESE_sNS9_4plusIsEEsEEDaPvRmT3_T4_T5_mT6_P12ihipStream_tbENKUlT_T0_E_clISt17integral_constantIbLb1EEST_IbLb0EEEEDaSP_SQ_EUlSP_E_NS1_11comp_targetILNS1_3genE10ELNS1_11target_archE1200ELNS1_3gpuE4ELNS1_3repE0EEENS1_30default_config_static_selectorELNS0_4arch9wavefront6targetE1EEEvT1_: ; @_ZN7rocprim17ROCPRIM_400000_NS6detail17trampoline_kernelINS0_14default_configENS1_20scan_config_selectorIsEEZZNS1_9scan_implILNS1_25lookback_scan_determinismE0ELb0ELb1ES3_N6thrust23THRUST_200600_302600_NS6detail15normal_iteratorINS9_10device_ptrIsEEEESE_sNS9_4plusIsEEsEEDaPvRmT3_T4_T5_mT6_P12ihipStream_tbENKUlT_T0_E_clISt17integral_constantIbLb1EEST_IbLb0EEEEDaSP_SQ_EUlSP_E_NS1_11comp_targetILNS1_3genE10ELNS1_11target_archE1200ELNS1_3gpuE4ELNS1_3repE0EEENS1_30default_config_static_selectorELNS0_4arch9wavefront6targetE1EEEvT1_
; %bb.0:
	.section	.rodata,"a",@progbits
	.p2align	6, 0x0
	.amdhsa_kernel _ZN7rocprim17ROCPRIM_400000_NS6detail17trampoline_kernelINS0_14default_configENS1_20scan_config_selectorIsEEZZNS1_9scan_implILNS1_25lookback_scan_determinismE0ELb0ELb1ES3_N6thrust23THRUST_200600_302600_NS6detail15normal_iteratorINS9_10device_ptrIsEEEESE_sNS9_4plusIsEEsEEDaPvRmT3_T4_T5_mT6_P12ihipStream_tbENKUlT_T0_E_clISt17integral_constantIbLb1EEST_IbLb0EEEEDaSP_SQ_EUlSP_E_NS1_11comp_targetILNS1_3genE10ELNS1_11target_archE1200ELNS1_3gpuE4ELNS1_3repE0EEENS1_30default_config_static_selectorELNS0_4arch9wavefront6targetE1EEEvT1_
		.amdhsa_group_segment_fixed_size 0
		.amdhsa_private_segment_fixed_size 0
		.amdhsa_kernarg_size 96
		.amdhsa_user_sgpr_count 6
		.amdhsa_user_sgpr_private_segment_buffer 1
		.amdhsa_user_sgpr_dispatch_ptr 0
		.amdhsa_user_sgpr_queue_ptr 0
		.amdhsa_user_sgpr_kernarg_segment_ptr 1
		.amdhsa_user_sgpr_dispatch_id 0
		.amdhsa_user_sgpr_flat_scratch_init 0
		.amdhsa_user_sgpr_kernarg_preload_length 0
		.amdhsa_user_sgpr_kernarg_preload_offset 0
		.amdhsa_user_sgpr_private_segment_size 0
		.amdhsa_uses_dynamic_stack 0
		.amdhsa_system_sgpr_private_segment_wavefront_offset 0
		.amdhsa_system_sgpr_workgroup_id_x 1
		.amdhsa_system_sgpr_workgroup_id_y 0
		.amdhsa_system_sgpr_workgroup_id_z 0
		.amdhsa_system_sgpr_workgroup_info 0
		.amdhsa_system_vgpr_workitem_id 0
		.amdhsa_next_free_vgpr 1
		.amdhsa_next_free_sgpr 0
		.amdhsa_accum_offset 4
		.amdhsa_reserve_vcc 0
		.amdhsa_reserve_flat_scratch 0
		.amdhsa_float_round_mode_32 0
		.amdhsa_float_round_mode_16_64 0
		.amdhsa_float_denorm_mode_32 3
		.amdhsa_float_denorm_mode_16_64 3
		.amdhsa_dx10_clamp 1
		.amdhsa_ieee_mode 1
		.amdhsa_fp16_overflow 0
		.amdhsa_tg_split 0
		.amdhsa_exception_fp_ieee_invalid_op 0
		.amdhsa_exception_fp_denorm_src 0
		.amdhsa_exception_fp_ieee_div_zero 0
		.amdhsa_exception_fp_ieee_overflow 0
		.amdhsa_exception_fp_ieee_underflow 0
		.amdhsa_exception_fp_ieee_inexact 0
		.amdhsa_exception_int_div_zero 0
	.end_amdhsa_kernel
	.section	.text._ZN7rocprim17ROCPRIM_400000_NS6detail17trampoline_kernelINS0_14default_configENS1_20scan_config_selectorIsEEZZNS1_9scan_implILNS1_25lookback_scan_determinismE0ELb0ELb1ES3_N6thrust23THRUST_200600_302600_NS6detail15normal_iteratorINS9_10device_ptrIsEEEESE_sNS9_4plusIsEEsEEDaPvRmT3_T4_T5_mT6_P12ihipStream_tbENKUlT_T0_E_clISt17integral_constantIbLb1EEST_IbLb0EEEEDaSP_SQ_EUlSP_E_NS1_11comp_targetILNS1_3genE10ELNS1_11target_archE1200ELNS1_3gpuE4ELNS1_3repE0EEENS1_30default_config_static_selectorELNS0_4arch9wavefront6targetE1EEEvT1_,"axG",@progbits,_ZN7rocprim17ROCPRIM_400000_NS6detail17trampoline_kernelINS0_14default_configENS1_20scan_config_selectorIsEEZZNS1_9scan_implILNS1_25lookback_scan_determinismE0ELb0ELb1ES3_N6thrust23THRUST_200600_302600_NS6detail15normal_iteratorINS9_10device_ptrIsEEEESE_sNS9_4plusIsEEsEEDaPvRmT3_T4_T5_mT6_P12ihipStream_tbENKUlT_T0_E_clISt17integral_constantIbLb1EEST_IbLb0EEEEDaSP_SQ_EUlSP_E_NS1_11comp_targetILNS1_3genE10ELNS1_11target_archE1200ELNS1_3gpuE4ELNS1_3repE0EEENS1_30default_config_static_selectorELNS0_4arch9wavefront6targetE1EEEvT1_,comdat
.Lfunc_end1309:
	.size	_ZN7rocprim17ROCPRIM_400000_NS6detail17trampoline_kernelINS0_14default_configENS1_20scan_config_selectorIsEEZZNS1_9scan_implILNS1_25lookback_scan_determinismE0ELb0ELb1ES3_N6thrust23THRUST_200600_302600_NS6detail15normal_iteratorINS9_10device_ptrIsEEEESE_sNS9_4plusIsEEsEEDaPvRmT3_T4_T5_mT6_P12ihipStream_tbENKUlT_T0_E_clISt17integral_constantIbLb1EEST_IbLb0EEEEDaSP_SQ_EUlSP_E_NS1_11comp_targetILNS1_3genE10ELNS1_11target_archE1200ELNS1_3gpuE4ELNS1_3repE0EEENS1_30default_config_static_selectorELNS0_4arch9wavefront6targetE1EEEvT1_, .Lfunc_end1309-_ZN7rocprim17ROCPRIM_400000_NS6detail17trampoline_kernelINS0_14default_configENS1_20scan_config_selectorIsEEZZNS1_9scan_implILNS1_25lookback_scan_determinismE0ELb0ELb1ES3_N6thrust23THRUST_200600_302600_NS6detail15normal_iteratorINS9_10device_ptrIsEEEESE_sNS9_4plusIsEEsEEDaPvRmT3_T4_T5_mT6_P12ihipStream_tbENKUlT_T0_E_clISt17integral_constantIbLb1EEST_IbLb0EEEEDaSP_SQ_EUlSP_E_NS1_11comp_targetILNS1_3genE10ELNS1_11target_archE1200ELNS1_3gpuE4ELNS1_3repE0EEENS1_30default_config_static_selectorELNS0_4arch9wavefront6targetE1EEEvT1_
                                        ; -- End function
	.section	.AMDGPU.csdata,"",@progbits
; Kernel info:
; codeLenInByte = 0
; NumSgprs: 4
; NumVgprs: 0
; NumAgprs: 0
; TotalNumVgprs: 0
; ScratchSize: 0
; MemoryBound: 0
; FloatMode: 240
; IeeeMode: 1
; LDSByteSize: 0 bytes/workgroup (compile time only)
; SGPRBlocks: 0
; VGPRBlocks: 0
; NumSGPRsForWavesPerEU: 4
; NumVGPRsForWavesPerEU: 1
; AccumOffset: 4
; Occupancy: 8
; WaveLimiterHint : 0
; COMPUTE_PGM_RSRC2:SCRATCH_EN: 0
; COMPUTE_PGM_RSRC2:USER_SGPR: 6
; COMPUTE_PGM_RSRC2:TRAP_HANDLER: 0
; COMPUTE_PGM_RSRC2:TGID_X_EN: 1
; COMPUTE_PGM_RSRC2:TGID_Y_EN: 0
; COMPUTE_PGM_RSRC2:TGID_Z_EN: 0
; COMPUTE_PGM_RSRC2:TIDIG_COMP_CNT: 0
; COMPUTE_PGM_RSRC3_GFX90A:ACCUM_OFFSET: 0
; COMPUTE_PGM_RSRC3_GFX90A:TG_SPLIT: 0
	.section	.text._ZN7rocprim17ROCPRIM_400000_NS6detail17trampoline_kernelINS0_14default_configENS1_20scan_config_selectorIsEEZZNS1_9scan_implILNS1_25lookback_scan_determinismE0ELb0ELb1ES3_N6thrust23THRUST_200600_302600_NS6detail15normal_iteratorINS9_10device_ptrIsEEEESE_sNS9_4plusIsEEsEEDaPvRmT3_T4_T5_mT6_P12ihipStream_tbENKUlT_T0_E_clISt17integral_constantIbLb1EEST_IbLb0EEEEDaSP_SQ_EUlSP_E_NS1_11comp_targetILNS1_3genE9ELNS1_11target_archE1100ELNS1_3gpuE3ELNS1_3repE0EEENS1_30default_config_static_selectorELNS0_4arch9wavefront6targetE1EEEvT1_,"axG",@progbits,_ZN7rocprim17ROCPRIM_400000_NS6detail17trampoline_kernelINS0_14default_configENS1_20scan_config_selectorIsEEZZNS1_9scan_implILNS1_25lookback_scan_determinismE0ELb0ELb1ES3_N6thrust23THRUST_200600_302600_NS6detail15normal_iteratorINS9_10device_ptrIsEEEESE_sNS9_4plusIsEEsEEDaPvRmT3_T4_T5_mT6_P12ihipStream_tbENKUlT_T0_E_clISt17integral_constantIbLb1EEST_IbLb0EEEEDaSP_SQ_EUlSP_E_NS1_11comp_targetILNS1_3genE9ELNS1_11target_archE1100ELNS1_3gpuE3ELNS1_3repE0EEENS1_30default_config_static_selectorELNS0_4arch9wavefront6targetE1EEEvT1_,comdat
	.protected	_ZN7rocprim17ROCPRIM_400000_NS6detail17trampoline_kernelINS0_14default_configENS1_20scan_config_selectorIsEEZZNS1_9scan_implILNS1_25lookback_scan_determinismE0ELb0ELb1ES3_N6thrust23THRUST_200600_302600_NS6detail15normal_iteratorINS9_10device_ptrIsEEEESE_sNS9_4plusIsEEsEEDaPvRmT3_T4_T5_mT6_P12ihipStream_tbENKUlT_T0_E_clISt17integral_constantIbLb1EEST_IbLb0EEEEDaSP_SQ_EUlSP_E_NS1_11comp_targetILNS1_3genE9ELNS1_11target_archE1100ELNS1_3gpuE3ELNS1_3repE0EEENS1_30default_config_static_selectorELNS0_4arch9wavefront6targetE1EEEvT1_ ; -- Begin function _ZN7rocprim17ROCPRIM_400000_NS6detail17trampoline_kernelINS0_14default_configENS1_20scan_config_selectorIsEEZZNS1_9scan_implILNS1_25lookback_scan_determinismE0ELb0ELb1ES3_N6thrust23THRUST_200600_302600_NS6detail15normal_iteratorINS9_10device_ptrIsEEEESE_sNS9_4plusIsEEsEEDaPvRmT3_T4_T5_mT6_P12ihipStream_tbENKUlT_T0_E_clISt17integral_constantIbLb1EEST_IbLb0EEEEDaSP_SQ_EUlSP_E_NS1_11comp_targetILNS1_3genE9ELNS1_11target_archE1100ELNS1_3gpuE3ELNS1_3repE0EEENS1_30default_config_static_selectorELNS0_4arch9wavefront6targetE1EEEvT1_
	.globl	_ZN7rocprim17ROCPRIM_400000_NS6detail17trampoline_kernelINS0_14default_configENS1_20scan_config_selectorIsEEZZNS1_9scan_implILNS1_25lookback_scan_determinismE0ELb0ELb1ES3_N6thrust23THRUST_200600_302600_NS6detail15normal_iteratorINS9_10device_ptrIsEEEESE_sNS9_4plusIsEEsEEDaPvRmT3_T4_T5_mT6_P12ihipStream_tbENKUlT_T0_E_clISt17integral_constantIbLb1EEST_IbLb0EEEEDaSP_SQ_EUlSP_E_NS1_11comp_targetILNS1_3genE9ELNS1_11target_archE1100ELNS1_3gpuE3ELNS1_3repE0EEENS1_30default_config_static_selectorELNS0_4arch9wavefront6targetE1EEEvT1_
	.p2align	8
	.type	_ZN7rocprim17ROCPRIM_400000_NS6detail17trampoline_kernelINS0_14default_configENS1_20scan_config_selectorIsEEZZNS1_9scan_implILNS1_25lookback_scan_determinismE0ELb0ELb1ES3_N6thrust23THRUST_200600_302600_NS6detail15normal_iteratorINS9_10device_ptrIsEEEESE_sNS9_4plusIsEEsEEDaPvRmT3_T4_T5_mT6_P12ihipStream_tbENKUlT_T0_E_clISt17integral_constantIbLb1EEST_IbLb0EEEEDaSP_SQ_EUlSP_E_NS1_11comp_targetILNS1_3genE9ELNS1_11target_archE1100ELNS1_3gpuE3ELNS1_3repE0EEENS1_30default_config_static_selectorELNS0_4arch9wavefront6targetE1EEEvT1_,@function
_ZN7rocprim17ROCPRIM_400000_NS6detail17trampoline_kernelINS0_14default_configENS1_20scan_config_selectorIsEEZZNS1_9scan_implILNS1_25lookback_scan_determinismE0ELb0ELb1ES3_N6thrust23THRUST_200600_302600_NS6detail15normal_iteratorINS9_10device_ptrIsEEEESE_sNS9_4plusIsEEsEEDaPvRmT3_T4_T5_mT6_P12ihipStream_tbENKUlT_T0_E_clISt17integral_constantIbLb1EEST_IbLb0EEEEDaSP_SQ_EUlSP_E_NS1_11comp_targetILNS1_3genE9ELNS1_11target_archE1100ELNS1_3gpuE3ELNS1_3repE0EEENS1_30default_config_static_selectorELNS0_4arch9wavefront6targetE1EEEvT1_: ; @_ZN7rocprim17ROCPRIM_400000_NS6detail17trampoline_kernelINS0_14default_configENS1_20scan_config_selectorIsEEZZNS1_9scan_implILNS1_25lookback_scan_determinismE0ELb0ELb1ES3_N6thrust23THRUST_200600_302600_NS6detail15normal_iteratorINS9_10device_ptrIsEEEESE_sNS9_4plusIsEEsEEDaPvRmT3_T4_T5_mT6_P12ihipStream_tbENKUlT_T0_E_clISt17integral_constantIbLb1EEST_IbLb0EEEEDaSP_SQ_EUlSP_E_NS1_11comp_targetILNS1_3genE9ELNS1_11target_archE1100ELNS1_3gpuE3ELNS1_3repE0EEENS1_30default_config_static_selectorELNS0_4arch9wavefront6targetE1EEEvT1_
; %bb.0:
	.section	.rodata,"a",@progbits
	.p2align	6, 0x0
	.amdhsa_kernel _ZN7rocprim17ROCPRIM_400000_NS6detail17trampoline_kernelINS0_14default_configENS1_20scan_config_selectorIsEEZZNS1_9scan_implILNS1_25lookback_scan_determinismE0ELb0ELb1ES3_N6thrust23THRUST_200600_302600_NS6detail15normal_iteratorINS9_10device_ptrIsEEEESE_sNS9_4plusIsEEsEEDaPvRmT3_T4_T5_mT6_P12ihipStream_tbENKUlT_T0_E_clISt17integral_constantIbLb1EEST_IbLb0EEEEDaSP_SQ_EUlSP_E_NS1_11comp_targetILNS1_3genE9ELNS1_11target_archE1100ELNS1_3gpuE3ELNS1_3repE0EEENS1_30default_config_static_selectorELNS0_4arch9wavefront6targetE1EEEvT1_
		.amdhsa_group_segment_fixed_size 0
		.amdhsa_private_segment_fixed_size 0
		.amdhsa_kernarg_size 96
		.amdhsa_user_sgpr_count 6
		.amdhsa_user_sgpr_private_segment_buffer 1
		.amdhsa_user_sgpr_dispatch_ptr 0
		.amdhsa_user_sgpr_queue_ptr 0
		.amdhsa_user_sgpr_kernarg_segment_ptr 1
		.amdhsa_user_sgpr_dispatch_id 0
		.amdhsa_user_sgpr_flat_scratch_init 0
		.amdhsa_user_sgpr_kernarg_preload_length 0
		.amdhsa_user_sgpr_kernarg_preload_offset 0
		.amdhsa_user_sgpr_private_segment_size 0
		.amdhsa_uses_dynamic_stack 0
		.amdhsa_system_sgpr_private_segment_wavefront_offset 0
		.amdhsa_system_sgpr_workgroup_id_x 1
		.amdhsa_system_sgpr_workgroup_id_y 0
		.amdhsa_system_sgpr_workgroup_id_z 0
		.amdhsa_system_sgpr_workgroup_info 0
		.amdhsa_system_vgpr_workitem_id 0
		.amdhsa_next_free_vgpr 1
		.amdhsa_next_free_sgpr 0
		.amdhsa_accum_offset 4
		.amdhsa_reserve_vcc 0
		.amdhsa_reserve_flat_scratch 0
		.amdhsa_float_round_mode_32 0
		.amdhsa_float_round_mode_16_64 0
		.amdhsa_float_denorm_mode_32 3
		.amdhsa_float_denorm_mode_16_64 3
		.amdhsa_dx10_clamp 1
		.amdhsa_ieee_mode 1
		.amdhsa_fp16_overflow 0
		.amdhsa_tg_split 0
		.amdhsa_exception_fp_ieee_invalid_op 0
		.amdhsa_exception_fp_denorm_src 0
		.amdhsa_exception_fp_ieee_div_zero 0
		.amdhsa_exception_fp_ieee_overflow 0
		.amdhsa_exception_fp_ieee_underflow 0
		.amdhsa_exception_fp_ieee_inexact 0
		.amdhsa_exception_int_div_zero 0
	.end_amdhsa_kernel
	.section	.text._ZN7rocprim17ROCPRIM_400000_NS6detail17trampoline_kernelINS0_14default_configENS1_20scan_config_selectorIsEEZZNS1_9scan_implILNS1_25lookback_scan_determinismE0ELb0ELb1ES3_N6thrust23THRUST_200600_302600_NS6detail15normal_iteratorINS9_10device_ptrIsEEEESE_sNS9_4plusIsEEsEEDaPvRmT3_T4_T5_mT6_P12ihipStream_tbENKUlT_T0_E_clISt17integral_constantIbLb1EEST_IbLb0EEEEDaSP_SQ_EUlSP_E_NS1_11comp_targetILNS1_3genE9ELNS1_11target_archE1100ELNS1_3gpuE3ELNS1_3repE0EEENS1_30default_config_static_selectorELNS0_4arch9wavefront6targetE1EEEvT1_,"axG",@progbits,_ZN7rocprim17ROCPRIM_400000_NS6detail17trampoline_kernelINS0_14default_configENS1_20scan_config_selectorIsEEZZNS1_9scan_implILNS1_25lookback_scan_determinismE0ELb0ELb1ES3_N6thrust23THRUST_200600_302600_NS6detail15normal_iteratorINS9_10device_ptrIsEEEESE_sNS9_4plusIsEEsEEDaPvRmT3_T4_T5_mT6_P12ihipStream_tbENKUlT_T0_E_clISt17integral_constantIbLb1EEST_IbLb0EEEEDaSP_SQ_EUlSP_E_NS1_11comp_targetILNS1_3genE9ELNS1_11target_archE1100ELNS1_3gpuE3ELNS1_3repE0EEENS1_30default_config_static_selectorELNS0_4arch9wavefront6targetE1EEEvT1_,comdat
.Lfunc_end1310:
	.size	_ZN7rocprim17ROCPRIM_400000_NS6detail17trampoline_kernelINS0_14default_configENS1_20scan_config_selectorIsEEZZNS1_9scan_implILNS1_25lookback_scan_determinismE0ELb0ELb1ES3_N6thrust23THRUST_200600_302600_NS6detail15normal_iteratorINS9_10device_ptrIsEEEESE_sNS9_4plusIsEEsEEDaPvRmT3_T4_T5_mT6_P12ihipStream_tbENKUlT_T0_E_clISt17integral_constantIbLb1EEST_IbLb0EEEEDaSP_SQ_EUlSP_E_NS1_11comp_targetILNS1_3genE9ELNS1_11target_archE1100ELNS1_3gpuE3ELNS1_3repE0EEENS1_30default_config_static_selectorELNS0_4arch9wavefront6targetE1EEEvT1_, .Lfunc_end1310-_ZN7rocprim17ROCPRIM_400000_NS6detail17trampoline_kernelINS0_14default_configENS1_20scan_config_selectorIsEEZZNS1_9scan_implILNS1_25lookback_scan_determinismE0ELb0ELb1ES3_N6thrust23THRUST_200600_302600_NS6detail15normal_iteratorINS9_10device_ptrIsEEEESE_sNS9_4plusIsEEsEEDaPvRmT3_T4_T5_mT6_P12ihipStream_tbENKUlT_T0_E_clISt17integral_constantIbLb1EEST_IbLb0EEEEDaSP_SQ_EUlSP_E_NS1_11comp_targetILNS1_3genE9ELNS1_11target_archE1100ELNS1_3gpuE3ELNS1_3repE0EEENS1_30default_config_static_selectorELNS0_4arch9wavefront6targetE1EEEvT1_
                                        ; -- End function
	.section	.AMDGPU.csdata,"",@progbits
; Kernel info:
; codeLenInByte = 0
; NumSgprs: 4
; NumVgprs: 0
; NumAgprs: 0
; TotalNumVgprs: 0
; ScratchSize: 0
; MemoryBound: 0
; FloatMode: 240
; IeeeMode: 1
; LDSByteSize: 0 bytes/workgroup (compile time only)
; SGPRBlocks: 0
; VGPRBlocks: 0
; NumSGPRsForWavesPerEU: 4
; NumVGPRsForWavesPerEU: 1
; AccumOffset: 4
; Occupancy: 8
; WaveLimiterHint : 0
; COMPUTE_PGM_RSRC2:SCRATCH_EN: 0
; COMPUTE_PGM_RSRC2:USER_SGPR: 6
; COMPUTE_PGM_RSRC2:TRAP_HANDLER: 0
; COMPUTE_PGM_RSRC2:TGID_X_EN: 1
; COMPUTE_PGM_RSRC2:TGID_Y_EN: 0
; COMPUTE_PGM_RSRC2:TGID_Z_EN: 0
; COMPUTE_PGM_RSRC2:TIDIG_COMP_CNT: 0
; COMPUTE_PGM_RSRC3_GFX90A:ACCUM_OFFSET: 0
; COMPUTE_PGM_RSRC3_GFX90A:TG_SPLIT: 0
	.section	.text._ZN7rocprim17ROCPRIM_400000_NS6detail17trampoline_kernelINS0_14default_configENS1_20scan_config_selectorIsEEZZNS1_9scan_implILNS1_25lookback_scan_determinismE0ELb0ELb1ES3_N6thrust23THRUST_200600_302600_NS6detail15normal_iteratorINS9_10device_ptrIsEEEESE_sNS9_4plusIsEEsEEDaPvRmT3_T4_T5_mT6_P12ihipStream_tbENKUlT_T0_E_clISt17integral_constantIbLb1EEST_IbLb0EEEEDaSP_SQ_EUlSP_E_NS1_11comp_targetILNS1_3genE8ELNS1_11target_archE1030ELNS1_3gpuE2ELNS1_3repE0EEENS1_30default_config_static_selectorELNS0_4arch9wavefront6targetE1EEEvT1_,"axG",@progbits,_ZN7rocprim17ROCPRIM_400000_NS6detail17trampoline_kernelINS0_14default_configENS1_20scan_config_selectorIsEEZZNS1_9scan_implILNS1_25lookback_scan_determinismE0ELb0ELb1ES3_N6thrust23THRUST_200600_302600_NS6detail15normal_iteratorINS9_10device_ptrIsEEEESE_sNS9_4plusIsEEsEEDaPvRmT3_T4_T5_mT6_P12ihipStream_tbENKUlT_T0_E_clISt17integral_constantIbLb1EEST_IbLb0EEEEDaSP_SQ_EUlSP_E_NS1_11comp_targetILNS1_3genE8ELNS1_11target_archE1030ELNS1_3gpuE2ELNS1_3repE0EEENS1_30default_config_static_selectorELNS0_4arch9wavefront6targetE1EEEvT1_,comdat
	.protected	_ZN7rocprim17ROCPRIM_400000_NS6detail17trampoline_kernelINS0_14default_configENS1_20scan_config_selectorIsEEZZNS1_9scan_implILNS1_25lookback_scan_determinismE0ELb0ELb1ES3_N6thrust23THRUST_200600_302600_NS6detail15normal_iteratorINS9_10device_ptrIsEEEESE_sNS9_4plusIsEEsEEDaPvRmT3_T4_T5_mT6_P12ihipStream_tbENKUlT_T0_E_clISt17integral_constantIbLb1EEST_IbLb0EEEEDaSP_SQ_EUlSP_E_NS1_11comp_targetILNS1_3genE8ELNS1_11target_archE1030ELNS1_3gpuE2ELNS1_3repE0EEENS1_30default_config_static_selectorELNS0_4arch9wavefront6targetE1EEEvT1_ ; -- Begin function _ZN7rocprim17ROCPRIM_400000_NS6detail17trampoline_kernelINS0_14default_configENS1_20scan_config_selectorIsEEZZNS1_9scan_implILNS1_25lookback_scan_determinismE0ELb0ELb1ES3_N6thrust23THRUST_200600_302600_NS6detail15normal_iteratorINS9_10device_ptrIsEEEESE_sNS9_4plusIsEEsEEDaPvRmT3_T4_T5_mT6_P12ihipStream_tbENKUlT_T0_E_clISt17integral_constantIbLb1EEST_IbLb0EEEEDaSP_SQ_EUlSP_E_NS1_11comp_targetILNS1_3genE8ELNS1_11target_archE1030ELNS1_3gpuE2ELNS1_3repE0EEENS1_30default_config_static_selectorELNS0_4arch9wavefront6targetE1EEEvT1_
	.globl	_ZN7rocprim17ROCPRIM_400000_NS6detail17trampoline_kernelINS0_14default_configENS1_20scan_config_selectorIsEEZZNS1_9scan_implILNS1_25lookback_scan_determinismE0ELb0ELb1ES3_N6thrust23THRUST_200600_302600_NS6detail15normal_iteratorINS9_10device_ptrIsEEEESE_sNS9_4plusIsEEsEEDaPvRmT3_T4_T5_mT6_P12ihipStream_tbENKUlT_T0_E_clISt17integral_constantIbLb1EEST_IbLb0EEEEDaSP_SQ_EUlSP_E_NS1_11comp_targetILNS1_3genE8ELNS1_11target_archE1030ELNS1_3gpuE2ELNS1_3repE0EEENS1_30default_config_static_selectorELNS0_4arch9wavefront6targetE1EEEvT1_
	.p2align	8
	.type	_ZN7rocprim17ROCPRIM_400000_NS6detail17trampoline_kernelINS0_14default_configENS1_20scan_config_selectorIsEEZZNS1_9scan_implILNS1_25lookback_scan_determinismE0ELb0ELb1ES3_N6thrust23THRUST_200600_302600_NS6detail15normal_iteratorINS9_10device_ptrIsEEEESE_sNS9_4plusIsEEsEEDaPvRmT3_T4_T5_mT6_P12ihipStream_tbENKUlT_T0_E_clISt17integral_constantIbLb1EEST_IbLb0EEEEDaSP_SQ_EUlSP_E_NS1_11comp_targetILNS1_3genE8ELNS1_11target_archE1030ELNS1_3gpuE2ELNS1_3repE0EEENS1_30default_config_static_selectorELNS0_4arch9wavefront6targetE1EEEvT1_,@function
_ZN7rocprim17ROCPRIM_400000_NS6detail17trampoline_kernelINS0_14default_configENS1_20scan_config_selectorIsEEZZNS1_9scan_implILNS1_25lookback_scan_determinismE0ELb0ELb1ES3_N6thrust23THRUST_200600_302600_NS6detail15normal_iteratorINS9_10device_ptrIsEEEESE_sNS9_4plusIsEEsEEDaPvRmT3_T4_T5_mT6_P12ihipStream_tbENKUlT_T0_E_clISt17integral_constantIbLb1EEST_IbLb0EEEEDaSP_SQ_EUlSP_E_NS1_11comp_targetILNS1_3genE8ELNS1_11target_archE1030ELNS1_3gpuE2ELNS1_3repE0EEENS1_30default_config_static_selectorELNS0_4arch9wavefront6targetE1EEEvT1_: ; @_ZN7rocprim17ROCPRIM_400000_NS6detail17trampoline_kernelINS0_14default_configENS1_20scan_config_selectorIsEEZZNS1_9scan_implILNS1_25lookback_scan_determinismE0ELb0ELb1ES3_N6thrust23THRUST_200600_302600_NS6detail15normal_iteratorINS9_10device_ptrIsEEEESE_sNS9_4plusIsEEsEEDaPvRmT3_T4_T5_mT6_P12ihipStream_tbENKUlT_T0_E_clISt17integral_constantIbLb1EEST_IbLb0EEEEDaSP_SQ_EUlSP_E_NS1_11comp_targetILNS1_3genE8ELNS1_11target_archE1030ELNS1_3gpuE2ELNS1_3repE0EEENS1_30default_config_static_selectorELNS0_4arch9wavefront6targetE1EEEvT1_
; %bb.0:
	.section	.rodata,"a",@progbits
	.p2align	6, 0x0
	.amdhsa_kernel _ZN7rocprim17ROCPRIM_400000_NS6detail17trampoline_kernelINS0_14default_configENS1_20scan_config_selectorIsEEZZNS1_9scan_implILNS1_25lookback_scan_determinismE0ELb0ELb1ES3_N6thrust23THRUST_200600_302600_NS6detail15normal_iteratorINS9_10device_ptrIsEEEESE_sNS9_4plusIsEEsEEDaPvRmT3_T4_T5_mT6_P12ihipStream_tbENKUlT_T0_E_clISt17integral_constantIbLb1EEST_IbLb0EEEEDaSP_SQ_EUlSP_E_NS1_11comp_targetILNS1_3genE8ELNS1_11target_archE1030ELNS1_3gpuE2ELNS1_3repE0EEENS1_30default_config_static_selectorELNS0_4arch9wavefront6targetE1EEEvT1_
		.amdhsa_group_segment_fixed_size 0
		.amdhsa_private_segment_fixed_size 0
		.amdhsa_kernarg_size 96
		.amdhsa_user_sgpr_count 6
		.amdhsa_user_sgpr_private_segment_buffer 1
		.amdhsa_user_sgpr_dispatch_ptr 0
		.amdhsa_user_sgpr_queue_ptr 0
		.amdhsa_user_sgpr_kernarg_segment_ptr 1
		.amdhsa_user_sgpr_dispatch_id 0
		.amdhsa_user_sgpr_flat_scratch_init 0
		.amdhsa_user_sgpr_kernarg_preload_length 0
		.amdhsa_user_sgpr_kernarg_preload_offset 0
		.amdhsa_user_sgpr_private_segment_size 0
		.amdhsa_uses_dynamic_stack 0
		.amdhsa_system_sgpr_private_segment_wavefront_offset 0
		.amdhsa_system_sgpr_workgroup_id_x 1
		.amdhsa_system_sgpr_workgroup_id_y 0
		.amdhsa_system_sgpr_workgroup_id_z 0
		.amdhsa_system_sgpr_workgroup_info 0
		.amdhsa_system_vgpr_workitem_id 0
		.amdhsa_next_free_vgpr 1
		.amdhsa_next_free_sgpr 0
		.amdhsa_accum_offset 4
		.amdhsa_reserve_vcc 0
		.amdhsa_reserve_flat_scratch 0
		.amdhsa_float_round_mode_32 0
		.amdhsa_float_round_mode_16_64 0
		.amdhsa_float_denorm_mode_32 3
		.amdhsa_float_denorm_mode_16_64 3
		.amdhsa_dx10_clamp 1
		.amdhsa_ieee_mode 1
		.amdhsa_fp16_overflow 0
		.amdhsa_tg_split 0
		.amdhsa_exception_fp_ieee_invalid_op 0
		.amdhsa_exception_fp_denorm_src 0
		.amdhsa_exception_fp_ieee_div_zero 0
		.amdhsa_exception_fp_ieee_overflow 0
		.amdhsa_exception_fp_ieee_underflow 0
		.amdhsa_exception_fp_ieee_inexact 0
		.amdhsa_exception_int_div_zero 0
	.end_amdhsa_kernel
	.section	.text._ZN7rocprim17ROCPRIM_400000_NS6detail17trampoline_kernelINS0_14default_configENS1_20scan_config_selectorIsEEZZNS1_9scan_implILNS1_25lookback_scan_determinismE0ELb0ELb1ES3_N6thrust23THRUST_200600_302600_NS6detail15normal_iteratorINS9_10device_ptrIsEEEESE_sNS9_4plusIsEEsEEDaPvRmT3_T4_T5_mT6_P12ihipStream_tbENKUlT_T0_E_clISt17integral_constantIbLb1EEST_IbLb0EEEEDaSP_SQ_EUlSP_E_NS1_11comp_targetILNS1_3genE8ELNS1_11target_archE1030ELNS1_3gpuE2ELNS1_3repE0EEENS1_30default_config_static_selectorELNS0_4arch9wavefront6targetE1EEEvT1_,"axG",@progbits,_ZN7rocprim17ROCPRIM_400000_NS6detail17trampoline_kernelINS0_14default_configENS1_20scan_config_selectorIsEEZZNS1_9scan_implILNS1_25lookback_scan_determinismE0ELb0ELb1ES3_N6thrust23THRUST_200600_302600_NS6detail15normal_iteratorINS9_10device_ptrIsEEEESE_sNS9_4plusIsEEsEEDaPvRmT3_T4_T5_mT6_P12ihipStream_tbENKUlT_T0_E_clISt17integral_constantIbLb1EEST_IbLb0EEEEDaSP_SQ_EUlSP_E_NS1_11comp_targetILNS1_3genE8ELNS1_11target_archE1030ELNS1_3gpuE2ELNS1_3repE0EEENS1_30default_config_static_selectorELNS0_4arch9wavefront6targetE1EEEvT1_,comdat
.Lfunc_end1311:
	.size	_ZN7rocprim17ROCPRIM_400000_NS6detail17trampoline_kernelINS0_14default_configENS1_20scan_config_selectorIsEEZZNS1_9scan_implILNS1_25lookback_scan_determinismE0ELb0ELb1ES3_N6thrust23THRUST_200600_302600_NS6detail15normal_iteratorINS9_10device_ptrIsEEEESE_sNS9_4plusIsEEsEEDaPvRmT3_T4_T5_mT6_P12ihipStream_tbENKUlT_T0_E_clISt17integral_constantIbLb1EEST_IbLb0EEEEDaSP_SQ_EUlSP_E_NS1_11comp_targetILNS1_3genE8ELNS1_11target_archE1030ELNS1_3gpuE2ELNS1_3repE0EEENS1_30default_config_static_selectorELNS0_4arch9wavefront6targetE1EEEvT1_, .Lfunc_end1311-_ZN7rocprim17ROCPRIM_400000_NS6detail17trampoline_kernelINS0_14default_configENS1_20scan_config_selectorIsEEZZNS1_9scan_implILNS1_25lookback_scan_determinismE0ELb0ELb1ES3_N6thrust23THRUST_200600_302600_NS6detail15normal_iteratorINS9_10device_ptrIsEEEESE_sNS9_4plusIsEEsEEDaPvRmT3_T4_T5_mT6_P12ihipStream_tbENKUlT_T0_E_clISt17integral_constantIbLb1EEST_IbLb0EEEEDaSP_SQ_EUlSP_E_NS1_11comp_targetILNS1_3genE8ELNS1_11target_archE1030ELNS1_3gpuE2ELNS1_3repE0EEENS1_30default_config_static_selectorELNS0_4arch9wavefront6targetE1EEEvT1_
                                        ; -- End function
	.section	.AMDGPU.csdata,"",@progbits
; Kernel info:
; codeLenInByte = 0
; NumSgprs: 4
; NumVgprs: 0
; NumAgprs: 0
; TotalNumVgprs: 0
; ScratchSize: 0
; MemoryBound: 0
; FloatMode: 240
; IeeeMode: 1
; LDSByteSize: 0 bytes/workgroup (compile time only)
; SGPRBlocks: 0
; VGPRBlocks: 0
; NumSGPRsForWavesPerEU: 4
; NumVGPRsForWavesPerEU: 1
; AccumOffset: 4
; Occupancy: 8
; WaveLimiterHint : 0
; COMPUTE_PGM_RSRC2:SCRATCH_EN: 0
; COMPUTE_PGM_RSRC2:USER_SGPR: 6
; COMPUTE_PGM_RSRC2:TRAP_HANDLER: 0
; COMPUTE_PGM_RSRC2:TGID_X_EN: 1
; COMPUTE_PGM_RSRC2:TGID_Y_EN: 0
; COMPUTE_PGM_RSRC2:TGID_Z_EN: 0
; COMPUTE_PGM_RSRC2:TIDIG_COMP_CNT: 0
; COMPUTE_PGM_RSRC3_GFX90A:ACCUM_OFFSET: 0
; COMPUTE_PGM_RSRC3_GFX90A:TG_SPLIT: 0
	.section	.text._ZN7rocprim17ROCPRIM_400000_NS6detail17trampoline_kernelINS0_14default_configENS1_20scan_config_selectorIsEEZZNS1_9scan_implILNS1_25lookback_scan_determinismE0ELb0ELb1ES3_N6thrust23THRUST_200600_302600_NS6detail15normal_iteratorINS9_10device_ptrIsEEEESE_sNS9_4plusIsEEsEEDaPvRmT3_T4_T5_mT6_P12ihipStream_tbENKUlT_T0_E_clISt17integral_constantIbLb1EEST_IbLb0EEEEDaSP_SQ_EUlSP_E0_NS1_11comp_targetILNS1_3genE0ELNS1_11target_archE4294967295ELNS1_3gpuE0ELNS1_3repE0EEENS1_30default_config_static_selectorELNS0_4arch9wavefront6targetE1EEEvT1_,"axG",@progbits,_ZN7rocprim17ROCPRIM_400000_NS6detail17trampoline_kernelINS0_14default_configENS1_20scan_config_selectorIsEEZZNS1_9scan_implILNS1_25lookback_scan_determinismE0ELb0ELb1ES3_N6thrust23THRUST_200600_302600_NS6detail15normal_iteratorINS9_10device_ptrIsEEEESE_sNS9_4plusIsEEsEEDaPvRmT3_T4_T5_mT6_P12ihipStream_tbENKUlT_T0_E_clISt17integral_constantIbLb1EEST_IbLb0EEEEDaSP_SQ_EUlSP_E0_NS1_11comp_targetILNS1_3genE0ELNS1_11target_archE4294967295ELNS1_3gpuE0ELNS1_3repE0EEENS1_30default_config_static_selectorELNS0_4arch9wavefront6targetE1EEEvT1_,comdat
	.protected	_ZN7rocprim17ROCPRIM_400000_NS6detail17trampoline_kernelINS0_14default_configENS1_20scan_config_selectorIsEEZZNS1_9scan_implILNS1_25lookback_scan_determinismE0ELb0ELb1ES3_N6thrust23THRUST_200600_302600_NS6detail15normal_iteratorINS9_10device_ptrIsEEEESE_sNS9_4plusIsEEsEEDaPvRmT3_T4_T5_mT6_P12ihipStream_tbENKUlT_T0_E_clISt17integral_constantIbLb1EEST_IbLb0EEEEDaSP_SQ_EUlSP_E0_NS1_11comp_targetILNS1_3genE0ELNS1_11target_archE4294967295ELNS1_3gpuE0ELNS1_3repE0EEENS1_30default_config_static_selectorELNS0_4arch9wavefront6targetE1EEEvT1_ ; -- Begin function _ZN7rocprim17ROCPRIM_400000_NS6detail17trampoline_kernelINS0_14default_configENS1_20scan_config_selectorIsEEZZNS1_9scan_implILNS1_25lookback_scan_determinismE0ELb0ELb1ES3_N6thrust23THRUST_200600_302600_NS6detail15normal_iteratorINS9_10device_ptrIsEEEESE_sNS9_4plusIsEEsEEDaPvRmT3_T4_T5_mT6_P12ihipStream_tbENKUlT_T0_E_clISt17integral_constantIbLb1EEST_IbLb0EEEEDaSP_SQ_EUlSP_E0_NS1_11comp_targetILNS1_3genE0ELNS1_11target_archE4294967295ELNS1_3gpuE0ELNS1_3repE0EEENS1_30default_config_static_selectorELNS0_4arch9wavefront6targetE1EEEvT1_
	.globl	_ZN7rocprim17ROCPRIM_400000_NS6detail17trampoline_kernelINS0_14default_configENS1_20scan_config_selectorIsEEZZNS1_9scan_implILNS1_25lookback_scan_determinismE0ELb0ELb1ES3_N6thrust23THRUST_200600_302600_NS6detail15normal_iteratorINS9_10device_ptrIsEEEESE_sNS9_4plusIsEEsEEDaPvRmT3_T4_T5_mT6_P12ihipStream_tbENKUlT_T0_E_clISt17integral_constantIbLb1EEST_IbLb0EEEEDaSP_SQ_EUlSP_E0_NS1_11comp_targetILNS1_3genE0ELNS1_11target_archE4294967295ELNS1_3gpuE0ELNS1_3repE0EEENS1_30default_config_static_selectorELNS0_4arch9wavefront6targetE1EEEvT1_
	.p2align	8
	.type	_ZN7rocprim17ROCPRIM_400000_NS6detail17trampoline_kernelINS0_14default_configENS1_20scan_config_selectorIsEEZZNS1_9scan_implILNS1_25lookback_scan_determinismE0ELb0ELb1ES3_N6thrust23THRUST_200600_302600_NS6detail15normal_iteratorINS9_10device_ptrIsEEEESE_sNS9_4plusIsEEsEEDaPvRmT3_T4_T5_mT6_P12ihipStream_tbENKUlT_T0_E_clISt17integral_constantIbLb1EEST_IbLb0EEEEDaSP_SQ_EUlSP_E0_NS1_11comp_targetILNS1_3genE0ELNS1_11target_archE4294967295ELNS1_3gpuE0ELNS1_3repE0EEENS1_30default_config_static_selectorELNS0_4arch9wavefront6targetE1EEEvT1_,@function
_ZN7rocprim17ROCPRIM_400000_NS6detail17trampoline_kernelINS0_14default_configENS1_20scan_config_selectorIsEEZZNS1_9scan_implILNS1_25lookback_scan_determinismE0ELb0ELb1ES3_N6thrust23THRUST_200600_302600_NS6detail15normal_iteratorINS9_10device_ptrIsEEEESE_sNS9_4plusIsEEsEEDaPvRmT3_T4_T5_mT6_P12ihipStream_tbENKUlT_T0_E_clISt17integral_constantIbLb1EEST_IbLb0EEEEDaSP_SQ_EUlSP_E0_NS1_11comp_targetILNS1_3genE0ELNS1_11target_archE4294967295ELNS1_3gpuE0ELNS1_3repE0EEENS1_30default_config_static_selectorELNS0_4arch9wavefront6targetE1EEEvT1_: ; @_ZN7rocprim17ROCPRIM_400000_NS6detail17trampoline_kernelINS0_14default_configENS1_20scan_config_selectorIsEEZZNS1_9scan_implILNS1_25lookback_scan_determinismE0ELb0ELb1ES3_N6thrust23THRUST_200600_302600_NS6detail15normal_iteratorINS9_10device_ptrIsEEEESE_sNS9_4plusIsEEsEEDaPvRmT3_T4_T5_mT6_P12ihipStream_tbENKUlT_T0_E_clISt17integral_constantIbLb1EEST_IbLb0EEEEDaSP_SQ_EUlSP_E0_NS1_11comp_targetILNS1_3genE0ELNS1_11target_archE4294967295ELNS1_3gpuE0ELNS1_3repE0EEENS1_30default_config_static_selectorELNS0_4arch9wavefront6targetE1EEEvT1_
; %bb.0:
	.section	.rodata,"a",@progbits
	.p2align	6, 0x0
	.amdhsa_kernel _ZN7rocprim17ROCPRIM_400000_NS6detail17trampoline_kernelINS0_14default_configENS1_20scan_config_selectorIsEEZZNS1_9scan_implILNS1_25lookback_scan_determinismE0ELb0ELb1ES3_N6thrust23THRUST_200600_302600_NS6detail15normal_iteratorINS9_10device_ptrIsEEEESE_sNS9_4plusIsEEsEEDaPvRmT3_T4_T5_mT6_P12ihipStream_tbENKUlT_T0_E_clISt17integral_constantIbLb1EEST_IbLb0EEEEDaSP_SQ_EUlSP_E0_NS1_11comp_targetILNS1_3genE0ELNS1_11target_archE4294967295ELNS1_3gpuE0ELNS1_3repE0EEENS1_30default_config_static_selectorELNS0_4arch9wavefront6targetE1EEEvT1_
		.amdhsa_group_segment_fixed_size 0
		.amdhsa_private_segment_fixed_size 0
		.amdhsa_kernarg_size 32
		.amdhsa_user_sgpr_count 6
		.amdhsa_user_sgpr_private_segment_buffer 1
		.amdhsa_user_sgpr_dispatch_ptr 0
		.amdhsa_user_sgpr_queue_ptr 0
		.amdhsa_user_sgpr_kernarg_segment_ptr 1
		.amdhsa_user_sgpr_dispatch_id 0
		.amdhsa_user_sgpr_flat_scratch_init 0
		.amdhsa_user_sgpr_kernarg_preload_length 0
		.amdhsa_user_sgpr_kernarg_preload_offset 0
		.amdhsa_user_sgpr_private_segment_size 0
		.amdhsa_uses_dynamic_stack 0
		.amdhsa_system_sgpr_private_segment_wavefront_offset 0
		.amdhsa_system_sgpr_workgroup_id_x 1
		.amdhsa_system_sgpr_workgroup_id_y 0
		.amdhsa_system_sgpr_workgroup_id_z 0
		.amdhsa_system_sgpr_workgroup_info 0
		.amdhsa_system_vgpr_workitem_id 0
		.amdhsa_next_free_vgpr 1
		.amdhsa_next_free_sgpr 0
		.amdhsa_accum_offset 4
		.amdhsa_reserve_vcc 0
		.amdhsa_reserve_flat_scratch 0
		.amdhsa_float_round_mode_32 0
		.amdhsa_float_round_mode_16_64 0
		.amdhsa_float_denorm_mode_32 3
		.amdhsa_float_denorm_mode_16_64 3
		.amdhsa_dx10_clamp 1
		.amdhsa_ieee_mode 1
		.amdhsa_fp16_overflow 0
		.amdhsa_tg_split 0
		.amdhsa_exception_fp_ieee_invalid_op 0
		.amdhsa_exception_fp_denorm_src 0
		.amdhsa_exception_fp_ieee_div_zero 0
		.amdhsa_exception_fp_ieee_overflow 0
		.amdhsa_exception_fp_ieee_underflow 0
		.amdhsa_exception_fp_ieee_inexact 0
		.amdhsa_exception_int_div_zero 0
	.end_amdhsa_kernel
	.section	.text._ZN7rocprim17ROCPRIM_400000_NS6detail17trampoline_kernelINS0_14default_configENS1_20scan_config_selectorIsEEZZNS1_9scan_implILNS1_25lookback_scan_determinismE0ELb0ELb1ES3_N6thrust23THRUST_200600_302600_NS6detail15normal_iteratorINS9_10device_ptrIsEEEESE_sNS9_4plusIsEEsEEDaPvRmT3_T4_T5_mT6_P12ihipStream_tbENKUlT_T0_E_clISt17integral_constantIbLb1EEST_IbLb0EEEEDaSP_SQ_EUlSP_E0_NS1_11comp_targetILNS1_3genE0ELNS1_11target_archE4294967295ELNS1_3gpuE0ELNS1_3repE0EEENS1_30default_config_static_selectorELNS0_4arch9wavefront6targetE1EEEvT1_,"axG",@progbits,_ZN7rocprim17ROCPRIM_400000_NS6detail17trampoline_kernelINS0_14default_configENS1_20scan_config_selectorIsEEZZNS1_9scan_implILNS1_25lookback_scan_determinismE0ELb0ELb1ES3_N6thrust23THRUST_200600_302600_NS6detail15normal_iteratorINS9_10device_ptrIsEEEESE_sNS9_4plusIsEEsEEDaPvRmT3_T4_T5_mT6_P12ihipStream_tbENKUlT_T0_E_clISt17integral_constantIbLb1EEST_IbLb0EEEEDaSP_SQ_EUlSP_E0_NS1_11comp_targetILNS1_3genE0ELNS1_11target_archE4294967295ELNS1_3gpuE0ELNS1_3repE0EEENS1_30default_config_static_selectorELNS0_4arch9wavefront6targetE1EEEvT1_,comdat
.Lfunc_end1312:
	.size	_ZN7rocprim17ROCPRIM_400000_NS6detail17trampoline_kernelINS0_14default_configENS1_20scan_config_selectorIsEEZZNS1_9scan_implILNS1_25lookback_scan_determinismE0ELb0ELb1ES3_N6thrust23THRUST_200600_302600_NS6detail15normal_iteratorINS9_10device_ptrIsEEEESE_sNS9_4plusIsEEsEEDaPvRmT3_T4_T5_mT6_P12ihipStream_tbENKUlT_T0_E_clISt17integral_constantIbLb1EEST_IbLb0EEEEDaSP_SQ_EUlSP_E0_NS1_11comp_targetILNS1_3genE0ELNS1_11target_archE4294967295ELNS1_3gpuE0ELNS1_3repE0EEENS1_30default_config_static_selectorELNS0_4arch9wavefront6targetE1EEEvT1_, .Lfunc_end1312-_ZN7rocprim17ROCPRIM_400000_NS6detail17trampoline_kernelINS0_14default_configENS1_20scan_config_selectorIsEEZZNS1_9scan_implILNS1_25lookback_scan_determinismE0ELb0ELb1ES3_N6thrust23THRUST_200600_302600_NS6detail15normal_iteratorINS9_10device_ptrIsEEEESE_sNS9_4plusIsEEsEEDaPvRmT3_T4_T5_mT6_P12ihipStream_tbENKUlT_T0_E_clISt17integral_constantIbLb1EEST_IbLb0EEEEDaSP_SQ_EUlSP_E0_NS1_11comp_targetILNS1_3genE0ELNS1_11target_archE4294967295ELNS1_3gpuE0ELNS1_3repE0EEENS1_30default_config_static_selectorELNS0_4arch9wavefront6targetE1EEEvT1_
                                        ; -- End function
	.section	.AMDGPU.csdata,"",@progbits
; Kernel info:
; codeLenInByte = 0
; NumSgprs: 4
; NumVgprs: 0
; NumAgprs: 0
; TotalNumVgprs: 0
; ScratchSize: 0
; MemoryBound: 0
; FloatMode: 240
; IeeeMode: 1
; LDSByteSize: 0 bytes/workgroup (compile time only)
; SGPRBlocks: 0
; VGPRBlocks: 0
; NumSGPRsForWavesPerEU: 4
; NumVGPRsForWavesPerEU: 1
; AccumOffset: 4
; Occupancy: 8
; WaveLimiterHint : 0
; COMPUTE_PGM_RSRC2:SCRATCH_EN: 0
; COMPUTE_PGM_RSRC2:USER_SGPR: 6
; COMPUTE_PGM_RSRC2:TRAP_HANDLER: 0
; COMPUTE_PGM_RSRC2:TGID_X_EN: 1
; COMPUTE_PGM_RSRC2:TGID_Y_EN: 0
; COMPUTE_PGM_RSRC2:TGID_Z_EN: 0
; COMPUTE_PGM_RSRC2:TIDIG_COMP_CNT: 0
; COMPUTE_PGM_RSRC3_GFX90A:ACCUM_OFFSET: 0
; COMPUTE_PGM_RSRC3_GFX90A:TG_SPLIT: 0
	.section	.text._ZN7rocprim17ROCPRIM_400000_NS6detail17trampoline_kernelINS0_14default_configENS1_20scan_config_selectorIsEEZZNS1_9scan_implILNS1_25lookback_scan_determinismE0ELb0ELb1ES3_N6thrust23THRUST_200600_302600_NS6detail15normal_iteratorINS9_10device_ptrIsEEEESE_sNS9_4plusIsEEsEEDaPvRmT3_T4_T5_mT6_P12ihipStream_tbENKUlT_T0_E_clISt17integral_constantIbLb1EEST_IbLb0EEEEDaSP_SQ_EUlSP_E0_NS1_11comp_targetILNS1_3genE5ELNS1_11target_archE942ELNS1_3gpuE9ELNS1_3repE0EEENS1_30default_config_static_selectorELNS0_4arch9wavefront6targetE1EEEvT1_,"axG",@progbits,_ZN7rocprim17ROCPRIM_400000_NS6detail17trampoline_kernelINS0_14default_configENS1_20scan_config_selectorIsEEZZNS1_9scan_implILNS1_25lookback_scan_determinismE0ELb0ELb1ES3_N6thrust23THRUST_200600_302600_NS6detail15normal_iteratorINS9_10device_ptrIsEEEESE_sNS9_4plusIsEEsEEDaPvRmT3_T4_T5_mT6_P12ihipStream_tbENKUlT_T0_E_clISt17integral_constantIbLb1EEST_IbLb0EEEEDaSP_SQ_EUlSP_E0_NS1_11comp_targetILNS1_3genE5ELNS1_11target_archE942ELNS1_3gpuE9ELNS1_3repE0EEENS1_30default_config_static_selectorELNS0_4arch9wavefront6targetE1EEEvT1_,comdat
	.protected	_ZN7rocprim17ROCPRIM_400000_NS6detail17trampoline_kernelINS0_14default_configENS1_20scan_config_selectorIsEEZZNS1_9scan_implILNS1_25lookback_scan_determinismE0ELb0ELb1ES3_N6thrust23THRUST_200600_302600_NS6detail15normal_iteratorINS9_10device_ptrIsEEEESE_sNS9_4plusIsEEsEEDaPvRmT3_T4_T5_mT6_P12ihipStream_tbENKUlT_T0_E_clISt17integral_constantIbLb1EEST_IbLb0EEEEDaSP_SQ_EUlSP_E0_NS1_11comp_targetILNS1_3genE5ELNS1_11target_archE942ELNS1_3gpuE9ELNS1_3repE0EEENS1_30default_config_static_selectorELNS0_4arch9wavefront6targetE1EEEvT1_ ; -- Begin function _ZN7rocprim17ROCPRIM_400000_NS6detail17trampoline_kernelINS0_14default_configENS1_20scan_config_selectorIsEEZZNS1_9scan_implILNS1_25lookback_scan_determinismE0ELb0ELb1ES3_N6thrust23THRUST_200600_302600_NS6detail15normal_iteratorINS9_10device_ptrIsEEEESE_sNS9_4plusIsEEsEEDaPvRmT3_T4_T5_mT6_P12ihipStream_tbENKUlT_T0_E_clISt17integral_constantIbLb1EEST_IbLb0EEEEDaSP_SQ_EUlSP_E0_NS1_11comp_targetILNS1_3genE5ELNS1_11target_archE942ELNS1_3gpuE9ELNS1_3repE0EEENS1_30default_config_static_selectorELNS0_4arch9wavefront6targetE1EEEvT1_
	.globl	_ZN7rocprim17ROCPRIM_400000_NS6detail17trampoline_kernelINS0_14default_configENS1_20scan_config_selectorIsEEZZNS1_9scan_implILNS1_25lookback_scan_determinismE0ELb0ELb1ES3_N6thrust23THRUST_200600_302600_NS6detail15normal_iteratorINS9_10device_ptrIsEEEESE_sNS9_4plusIsEEsEEDaPvRmT3_T4_T5_mT6_P12ihipStream_tbENKUlT_T0_E_clISt17integral_constantIbLb1EEST_IbLb0EEEEDaSP_SQ_EUlSP_E0_NS1_11comp_targetILNS1_3genE5ELNS1_11target_archE942ELNS1_3gpuE9ELNS1_3repE0EEENS1_30default_config_static_selectorELNS0_4arch9wavefront6targetE1EEEvT1_
	.p2align	8
	.type	_ZN7rocprim17ROCPRIM_400000_NS6detail17trampoline_kernelINS0_14default_configENS1_20scan_config_selectorIsEEZZNS1_9scan_implILNS1_25lookback_scan_determinismE0ELb0ELb1ES3_N6thrust23THRUST_200600_302600_NS6detail15normal_iteratorINS9_10device_ptrIsEEEESE_sNS9_4plusIsEEsEEDaPvRmT3_T4_T5_mT6_P12ihipStream_tbENKUlT_T0_E_clISt17integral_constantIbLb1EEST_IbLb0EEEEDaSP_SQ_EUlSP_E0_NS1_11comp_targetILNS1_3genE5ELNS1_11target_archE942ELNS1_3gpuE9ELNS1_3repE0EEENS1_30default_config_static_selectorELNS0_4arch9wavefront6targetE1EEEvT1_,@function
_ZN7rocprim17ROCPRIM_400000_NS6detail17trampoline_kernelINS0_14default_configENS1_20scan_config_selectorIsEEZZNS1_9scan_implILNS1_25lookback_scan_determinismE0ELb0ELb1ES3_N6thrust23THRUST_200600_302600_NS6detail15normal_iteratorINS9_10device_ptrIsEEEESE_sNS9_4plusIsEEsEEDaPvRmT3_T4_T5_mT6_P12ihipStream_tbENKUlT_T0_E_clISt17integral_constantIbLb1EEST_IbLb0EEEEDaSP_SQ_EUlSP_E0_NS1_11comp_targetILNS1_3genE5ELNS1_11target_archE942ELNS1_3gpuE9ELNS1_3repE0EEENS1_30default_config_static_selectorELNS0_4arch9wavefront6targetE1EEEvT1_: ; @_ZN7rocprim17ROCPRIM_400000_NS6detail17trampoline_kernelINS0_14default_configENS1_20scan_config_selectorIsEEZZNS1_9scan_implILNS1_25lookback_scan_determinismE0ELb0ELb1ES3_N6thrust23THRUST_200600_302600_NS6detail15normal_iteratorINS9_10device_ptrIsEEEESE_sNS9_4plusIsEEsEEDaPvRmT3_T4_T5_mT6_P12ihipStream_tbENKUlT_T0_E_clISt17integral_constantIbLb1EEST_IbLb0EEEEDaSP_SQ_EUlSP_E0_NS1_11comp_targetILNS1_3genE5ELNS1_11target_archE942ELNS1_3gpuE9ELNS1_3repE0EEENS1_30default_config_static_selectorELNS0_4arch9wavefront6targetE1EEEvT1_
; %bb.0:
	.section	.rodata,"a",@progbits
	.p2align	6, 0x0
	.amdhsa_kernel _ZN7rocprim17ROCPRIM_400000_NS6detail17trampoline_kernelINS0_14default_configENS1_20scan_config_selectorIsEEZZNS1_9scan_implILNS1_25lookback_scan_determinismE0ELb0ELb1ES3_N6thrust23THRUST_200600_302600_NS6detail15normal_iteratorINS9_10device_ptrIsEEEESE_sNS9_4plusIsEEsEEDaPvRmT3_T4_T5_mT6_P12ihipStream_tbENKUlT_T0_E_clISt17integral_constantIbLb1EEST_IbLb0EEEEDaSP_SQ_EUlSP_E0_NS1_11comp_targetILNS1_3genE5ELNS1_11target_archE942ELNS1_3gpuE9ELNS1_3repE0EEENS1_30default_config_static_selectorELNS0_4arch9wavefront6targetE1EEEvT1_
		.amdhsa_group_segment_fixed_size 0
		.amdhsa_private_segment_fixed_size 0
		.amdhsa_kernarg_size 32
		.amdhsa_user_sgpr_count 6
		.amdhsa_user_sgpr_private_segment_buffer 1
		.amdhsa_user_sgpr_dispatch_ptr 0
		.amdhsa_user_sgpr_queue_ptr 0
		.amdhsa_user_sgpr_kernarg_segment_ptr 1
		.amdhsa_user_sgpr_dispatch_id 0
		.amdhsa_user_sgpr_flat_scratch_init 0
		.amdhsa_user_sgpr_kernarg_preload_length 0
		.amdhsa_user_sgpr_kernarg_preload_offset 0
		.amdhsa_user_sgpr_private_segment_size 0
		.amdhsa_uses_dynamic_stack 0
		.amdhsa_system_sgpr_private_segment_wavefront_offset 0
		.amdhsa_system_sgpr_workgroup_id_x 1
		.amdhsa_system_sgpr_workgroup_id_y 0
		.amdhsa_system_sgpr_workgroup_id_z 0
		.amdhsa_system_sgpr_workgroup_info 0
		.amdhsa_system_vgpr_workitem_id 0
		.amdhsa_next_free_vgpr 1
		.amdhsa_next_free_sgpr 0
		.amdhsa_accum_offset 4
		.amdhsa_reserve_vcc 0
		.amdhsa_reserve_flat_scratch 0
		.amdhsa_float_round_mode_32 0
		.amdhsa_float_round_mode_16_64 0
		.amdhsa_float_denorm_mode_32 3
		.amdhsa_float_denorm_mode_16_64 3
		.amdhsa_dx10_clamp 1
		.amdhsa_ieee_mode 1
		.amdhsa_fp16_overflow 0
		.amdhsa_tg_split 0
		.amdhsa_exception_fp_ieee_invalid_op 0
		.amdhsa_exception_fp_denorm_src 0
		.amdhsa_exception_fp_ieee_div_zero 0
		.amdhsa_exception_fp_ieee_overflow 0
		.amdhsa_exception_fp_ieee_underflow 0
		.amdhsa_exception_fp_ieee_inexact 0
		.amdhsa_exception_int_div_zero 0
	.end_amdhsa_kernel
	.section	.text._ZN7rocprim17ROCPRIM_400000_NS6detail17trampoline_kernelINS0_14default_configENS1_20scan_config_selectorIsEEZZNS1_9scan_implILNS1_25lookback_scan_determinismE0ELb0ELb1ES3_N6thrust23THRUST_200600_302600_NS6detail15normal_iteratorINS9_10device_ptrIsEEEESE_sNS9_4plusIsEEsEEDaPvRmT3_T4_T5_mT6_P12ihipStream_tbENKUlT_T0_E_clISt17integral_constantIbLb1EEST_IbLb0EEEEDaSP_SQ_EUlSP_E0_NS1_11comp_targetILNS1_3genE5ELNS1_11target_archE942ELNS1_3gpuE9ELNS1_3repE0EEENS1_30default_config_static_selectorELNS0_4arch9wavefront6targetE1EEEvT1_,"axG",@progbits,_ZN7rocprim17ROCPRIM_400000_NS6detail17trampoline_kernelINS0_14default_configENS1_20scan_config_selectorIsEEZZNS1_9scan_implILNS1_25lookback_scan_determinismE0ELb0ELb1ES3_N6thrust23THRUST_200600_302600_NS6detail15normal_iteratorINS9_10device_ptrIsEEEESE_sNS9_4plusIsEEsEEDaPvRmT3_T4_T5_mT6_P12ihipStream_tbENKUlT_T0_E_clISt17integral_constantIbLb1EEST_IbLb0EEEEDaSP_SQ_EUlSP_E0_NS1_11comp_targetILNS1_3genE5ELNS1_11target_archE942ELNS1_3gpuE9ELNS1_3repE0EEENS1_30default_config_static_selectorELNS0_4arch9wavefront6targetE1EEEvT1_,comdat
.Lfunc_end1313:
	.size	_ZN7rocprim17ROCPRIM_400000_NS6detail17trampoline_kernelINS0_14default_configENS1_20scan_config_selectorIsEEZZNS1_9scan_implILNS1_25lookback_scan_determinismE0ELb0ELb1ES3_N6thrust23THRUST_200600_302600_NS6detail15normal_iteratorINS9_10device_ptrIsEEEESE_sNS9_4plusIsEEsEEDaPvRmT3_T4_T5_mT6_P12ihipStream_tbENKUlT_T0_E_clISt17integral_constantIbLb1EEST_IbLb0EEEEDaSP_SQ_EUlSP_E0_NS1_11comp_targetILNS1_3genE5ELNS1_11target_archE942ELNS1_3gpuE9ELNS1_3repE0EEENS1_30default_config_static_selectorELNS0_4arch9wavefront6targetE1EEEvT1_, .Lfunc_end1313-_ZN7rocprim17ROCPRIM_400000_NS6detail17trampoline_kernelINS0_14default_configENS1_20scan_config_selectorIsEEZZNS1_9scan_implILNS1_25lookback_scan_determinismE0ELb0ELb1ES3_N6thrust23THRUST_200600_302600_NS6detail15normal_iteratorINS9_10device_ptrIsEEEESE_sNS9_4plusIsEEsEEDaPvRmT3_T4_T5_mT6_P12ihipStream_tbENKUlT_T0_E_clISt17integral_constantIbLb1EEST_IbLb0EEEEDaSP_SQ_EUlSP_E0_NS1_11comp_targetILNS1_3genE5ELNS1_11target_archE942ELNS1_3gpuE9ELNS1_3repE0EEENS1_30default_config_static_selectorELNS0_4arch9wavefront6targetE1EEEvT1_
                                        ; -- End function
	.section	.AMDGPU.csdata,"",@progbits
; Kernel info:
; codeLenInByte = 0
; NumSgprs: 4
; NumVgprs: 0
; NumAgprs: 0
; TotalNumVgprs: 0
; ScratchSize: 0
; MemoryBound: 0
; FloatMode: 240
; IeeeMode: 1
; LDSByteSize: 0 bytes/workgroup (compile time only)
; SGPRBlocks: 0
; VGPRBlocks: 0
; NumSGPRsForWavesPerEU: 4
; NumVGPRsForWavesPerEU: 1
; AccumOffset: 4
; Occupancy: 8
; WaveLimiterHint : 0
; COMPUTE_PGM_RSRC2:SCRATCH_EN: 0
; COMPUTE_PGM_RSRC2:USER_SGPR: 6
; COMPUTE_PGM_RSRC2:TRAP_HANDLER: 0
; COMPUTE_PGM_RSRC2:TGID_X_EN: 1
; COMPUTE_PGM_RSRC2:TGID_Y_EN: 0
; COMPUTE_PGM_RSRC2:TGID_Z_EN: 0
; COMPUTE_PGM_RSRC2:TIDIG_COMP_CNT: 0
; COMPUTE_PGM_RSRC3_GFX90A:ACCUM_OFFSET: 0
; COMPUTE_PGM_RSRC3_GFX90A:TG_SPLIT: 0
	.section	.text._ZN7rocprim17ROCPRIM_400000_NS6detail17trampoline_kernelINS0_14default_configENS1_20scan_config_selectorIsEEZZNS1_9scan_implILNS1_25lookback_scan_determinismE0ELb0ELb1ES3_N6thrust23THRUST_200600_302600_NS6detail15normal_iteratorINS9_10device_ptrIsEEEESE_sNS9_4plusIsEEsEEDaPvRmT3_T4_T5_mT6_P12ihipStream_tbENKUlT_T0_E_clISt17integral_constantIbLb1EEST_IbLb0EEEEDaSP_SQ_EUlSP_E0_NS1_11comp_targetILNS1_3genE4ELNS1_11target_archE910ELNS1_3gpuE8ELNS1_3repE0EEENS1_30default_config_static_selectorELNS0_4arch9wavefront6targetE1EEEvT1_,"axG",@progbits,_ZN7rocprim17ROCPRIM_400000_NS6detail17trampoline_kernelINS0_14default_configENS1_20scan_config_selectorIsEEZZNS1_9scan_implILNS1_25lookback_scan_determinismE0ELb0ELb1ES3_N6thrust23THRUST_200600_302600_NS6detail15normal_iteratorINS9_10device_ptrIsEEEESE_sNS9_4plusIsEEsEEDaPvRmT3_T4_T5_mT6_P12ihipStream_tbENKUlT_T0_E_clISt17integral_constantIbLb1EEST_IbLb0EEEEDaSP_SQ_EUlSP_E0_NS1_11comp_targetILNS1_3genE4ELNS1_11target_archE910ELNS1_3gpuE8ELNS1_3repE0EEENS1_30default_config_static_selectorELNS0_4arch9wavefront6targetE1EEEvT1_,comdat
	.protected	_ZN7rocprim17ROCPRIM_400000_NS6detail17trampoline_kernelINS0_14default_configENS1_20scan_config_selectorIsEEZZNS1_9scan_implILNS1_25lookback_scan_determinismE0ELb0ELb1ES3_N6thrust23THRUST_200600_302600_NS6detail15normal_iteratorINS9_10device_ptrIsEEEESE_sNS9_4plusIsEEsEEDaPvRmT3_T4_T5_mT6_P12ihipStream_tbENKUlT_T0_E_clISt17integral_constantIbLb1EEST_IbLb0EEEEDaSP_SQ_EUlSP_E0_NS1_11comp_targetILNS1_3genE4ELNS1_11target_archE910ELNS1_3gpuE8ELNS1_3repE0EEENS1_30default_config_static_selectorELNS0_4arch9wavefront6targetE1EEEvT1_ ; -- Begin function _ZN7rocprim17ROCPRIM_400000_NS6detail17trampoline_kernelINS0_14default_configENS1_20scan_config_selectorIsEEZZNS1_9scan_implILNS1_25lookback_scan_determinismE0ELb0ELb1ES3_N6thrust23THRUST_200600_302600_NS6detail15normal_iteratorINS9_10device_ptrIsEEEESE_sNS9_4plusIsEEsEEDaPvRmT3_T4_T5_mT6_P12ihipStream_tbENKUlT_T0_E_clISt17integral_constantIbLb1EEST_IbLb0EEEEDaSP_SQ_EUlSP_E0_NS1_11comp_targetILNS1_3genE4ELNS1_11target_archE910ELNS1_3gpuE8ELNS1_3repE0EEENS1_30default_config_static_selectorELNS0_4arch9wavefront6targetE1EEEvT1_
	.globl	_ZN7rocprim17ROCPRIM_400000_NS6detail17trampoline_kernelINS0_14default_configENS1_20scan_config_selectorIsEEZZNS1_9scan_implILNS1_25lookback_scan_determinismE0ELb0ELb1ES3_N6thrust23THRUST_200600_302600_NS6detail15normal_iteratorINS9_10device_ptrIsEEEESE_sNS9_4plusIsEEsEEDaPvRmT3_T4_T5_mT6_P12ihipStream_tbENKUlT_T0_E_clISt17integral_constantIbLb1EEST_IbLb0EEEEDaSP_SQ_EUlSP_E0_NS1_11comp_targetILNS1_3genE4ELNS1_11target_archE910ELNS1_3gpuE8ELNS1_3repE0EEENS1_30default_config_static_selectorELNS0_4arch9wavefront6targetE1EEEvT1_
	.p2align	8
	.type	_ZN7rocprim17ROCPRIM_400000_NS6detail17trampoline_kernelINS0_14default_configENS1_20scan_config_selectorIsEEZZNS1_9scan_implILNS1_25lookback_scan_determinismE0ELb0ELb1ES3_N6thrust23THRUST_200600_302600_NS6detail15normal_iteratorINS9_10device_ptrIsEEEESE_sNS9_4plusIsEEsEEDaPvRmT3_T4_T5_mT6_P12ihipStream_tbENKUlT_T0_E_clISt17integral_constantIbLb1EEST_IbLb0EEEEDaSP_SQ_EUlSP_E0_NS1_11comp_targetILNS1_3genE4ELNS1_11target_archE910ELNS1_3gpuE8ELNS1_3repE0EEENS1_30default_config_static_selectorELNS0_4arch9wavefront6targetE1EEEvT1_,@function
_ZN7rocprim17ROCPRIM_400000_NS6detail17trampoline_kernelINS0_14default_configENS1_20scan_config_selectorIsEEZZNS1_9scan_implILNS1_25lookback_scan_determinismE0ELb0ELb1ES3_N6thrust23THRUST_200600_302600_NS6detail15normal_iteratorINS9_10device_ptrIsEEEESE_sNS9_4plusIsEEsEEDaPvRmT3_T4_T5_mT6_P12ihipStream_tbENKUlT_T0_E_clISt17integral_constantIbLb1EEST_IbLb0EEEEDaSP_SQ_EUlSP_E0_NS1_11comp_targetILNS1_3genE4ELNS1_11target_archE910ELNS1_3gpuE8ELNS1_3repE0EEENS1_30default_config_static_selectorELNS0_4arch9wavefront6targetE1EEEvT1_: ; @_ZN7rocprim17ROCPRIM_400000_NS6detail17trampoline_kernelINS0_14default_configENS1_20scan_config_selectorIsEEZZNS1_9scan_implILNS1_25lookback_scan_determinismE0ELb0ELb1ES3_N6thrust23THRUST_200600_302600_NS6detail15normal_iteratorINS9_10device_ptrIsEEEESE_sNS9_4plusIsEEsEEDaPvRmT3_T4_T5_mT6_P12ihipStream_tbENKUlT_T0_E_clISt17integral_constantIbLb1EEST_IbLb0EEEEDaSP_SQ_EUlSP_E0_NS1_11comp_targetILNS1_3genE4ELNS1_11target_archE910ELNS1_3gpuE8ELNS1_3repE0EEENS1_30default_config_static_selectorELNS0_4arch9wavefront6targetE1EEEvT1_
; %bb.0:
	s_load_dwordx4 s[52:55], s[4:5], 0x0
	v_mov_b32_e32 v1, 0
	v_lshlrev_b32_e32 v14, 1, v0
	s_waitcnt lgkmcnt(0)
	global_load_ushort v2, v1, s[52:53]
	v_cmp_gt_u32_e32 vcc, s54, v0
	s_waitcnt vmcnt(0)
	v_mov_b32_e32 v3, v2
	s_and_saveexec_b64 s[0:1], vcc
	s_cbranch_execz .LBB1314_2
; %bb.1:
	global_load_ushort v3, v14, s[52:53]
.LBB1314_2:
	s_or_b64 exec, exec, s[0:1]
	v_or_b32_e32 v1, 64, v0
	v_cmp_gt_u32_e64 s[0:1], s54, v1
	v_mov_b32_e32 v4, v2
	s_and_saveexec_b64 s[2:3], s[0:1]
	s_cbranch_execz .LBB1314_4
; %bb.3:
	global_load_ushort v4, v14, s[52:53] offset:128
.LBB1314_4:
	s_or_b64 exec, exec, s[2:3]
	v_or_b32_e32 v1, 0x80, v0
	v_cmp_gt_u32_e64 s[2:3], s54, v1
	v_mov_b32_e32 v5, v2
	s_and_saveexec_b64 s[6:7], s[2:3]
	s_cbranch_execz .LBB1314_6
; %bb.5:
	global_load_ushort v5, v14, s[52:53] offset:256
.LBB1314_6:
	;; [unrolled: 9-line block ×22, first 2 shown]
	s_or_b64 exec, exec, s[46:47]
	v_or_b32_e32 v1, 0x5c0, v0
	v_cmp_gt_u32_e64 s[46:47], s54, v1
	v_cmp_le_u32_e64 s[50:51], s54, v1
	s_and_saveexec_b64 s[54:55], s[50:51]
	s_xor_b64 s[50:51], exec, s[54:55]
; %bb.47:
	v_mov_b32_e32 v1, 0
; %bb.48:
	s_andn2_saveexec_b64 s[50:51], s[50:51]
	s_cbranch_execz .LBB1314_50
; %bb.49:
	global_load_ushort v2, v14, s[52:53] offset:2944
	v_mov_b32_e32 v1, 0
.LBB1314_50:
	s_or_b64 exec, exec, s[50:51]
	s_waitcnt vmcnt(0)
	ds_write_b16 v14, v3
	ds_write_b16 v14, v4 offset:128
	ds_write_b16 v14, v5 offset:256
	;; [unrolled: 1-line block ×23, first 2 shown]
	v_mad_u32_u24 v2, v0, 46, v14
	s_waitcnt lgkmcnt(0)
	; wave barrier
	s_waitcnt lgkmcnt(0)
	ds_read_b128 v[6:9], v2
	ds_read_b128 v[10:13], v2 offset:16
	ds_read_b128 v[2:5], v2 offset:32
	s_load_dwordx2 s[52:53], s[4:5], 0x18
	s_waitcnt lgkmcnt(0)
	v_add_u16_sdwa v15, v6, v6 dst_sel:DWORD dst_unused:UNUSED_PAD src0_sel:WORD_1 src1_sel:DWORD
	v_add_u16_e32 v16, v15, v7
	v_add_u16_sdwa v17, v16, v7 dst_sel:DWORD dst_unused:UNUSED_PAD src0_sel:DWORD src1_sel:WORD_1
	v_add_u16_e32 v18, v17, v8
	v_add_u16_sdwa v19, v18, v8 dst_sel:DWORD dst_unused:UNUSED_PAD src0_sel:DWORD src1_sel:WORD_1
	;; [unrolled: 2-line block ×11, first 2 shown]
	v_mbcnt_lo_u32_b32 v36, -1, 0
	v_mbcnt_hi_u32_b32 v36, -1, v36
	v_and_b32_e32 v38, 15, v36
	v_mov_b32_dpp v39, v37 row_shr:1 row_mask:0xf bank_mask:0xf
	v_cmp_ne_u32_e64 s[50:51], 0, v38
	v_cndmask_b32_e64 v39, 0, v39, s[50:51]
	v_add_u16_e32 v37, v39, v37
	v_cmp_lt_u32_e64 s[50:51], 1, v38
	; wave barrier
	s_nop 0
	v_mov_b32_dpp v39, v37 row_shr:2 row_mask:0xf bank_mask:0xf
	v_cndmask_b32_e64 v39, 0, v39, s[50:51]
	v_add_u16_e32 v37, v37, v39
	v_cmp_lt_u32_e64 s[50:51], 3, v38
	s_nop 0
	v_mov_b32_dpp v39, v37 row_shr:4 row_mask:0xf bank_mask:0xf
	v_cndmask_b32_e64 v39, 0, v39, s[50:51]
	v_add_u16_e32 v37, v37, v39
	v_cmp_lt_u32_e64 s[50:51], 7, v38
	s_nop 0
	v_mov_b32_dpp v39, v37 row_shr:8 row_mask:0xf bank_mask:0xf
	v_cndmask_b32_e64 v38, 0, v39, s[50:51]
	v_add_u16_e32 v37, v37, v38
	v_and_b32_e32 v39, 16, v36
	v_cmp_ne_u32_e64 s[50:51], 0, v39
	v_mov_b32_dpp v38, v37 row_bcast:15 row_mask:0xf bank_mask:0xf
	v_cndmask_b32_e64 v38, 0, v38, s[50:51]
	v_add_u16_e32 v37, v37, v38
	v_cmp_lt_u32_e64 s[50:51], 31, v36
	s_nop 0
	v_mov_b32_dpp v38, v37 row_bcast:31 row_mask:0xf bank_mask:0xf
	v_cndmask_b32_e64 v38, 0, v38, s[50:51]
	v_add_u16_e32 v37, v37, v38
	v_cmp_eq_u32_e64 s[50:51], 63, v0
	s_and_saveexec_b64 s[54:55], s[50:51]
	s_cbranch_execz .LBB1314_52
; %bb.51:
	v_mov_b32_e32 v38, 0
	ds_write_b16 v38, v37
.LBB1314_52:
	s_or_b64 exec, exec, s[54:55]
	v_add_u32_e32 v38, -1, v36
	v_and_b32_e32 v39, 64, v36
	s_load_dword s33, s[4:5], 0x10
	v_cmp_lt_i32_e64 s[4:5], v38, v39
	v_cndmask_b32_e64 v36, v38, v36, s[4:5]
	v_lshlrev_b32_e32 v36, 2, v36
	ds_bpermute_b32 v37, v36, v37
	v_mul_u32_u24_e32 v36, 46, v0
	v_cmp_ne_u32_e64 s[4:5], 0, v0
	s_waitcnt lgkmcnt(0)
	; wave barrier
	s_waitcnt lgkmcnt(0)
	s_and_saveexec_b64 s[50:51], s[4:5]
	s_cbranch_execz .LBB1314_54
; %bb.53:
	v_add_u16_e32 v37, v6, v37
	v_add_u16_sdwa v15, v37, v6 dst_sel:DWORD dst_unused:UNUSED_PAD src0_sel:DWORD src1_sel:WORD_1
	v_add_u16_e32 v16, v15, v7
	v_add_u16_sdwa v17, v16, v7 dst_sel:DWORD dst_unused:UNUSED_PAD src0_sel:DWORD src1_sel:WORD_1
	;; [unrolled: 2-line block ×11, first 2 shown]
	v_mov_b32_e32 v6, v37
	;;#ASMSTART
	;;#ASMEND
.LBB1314_54:
	s_or_b64 exec, exec, s[50:51]
	v_add_u16_e32 v2, s33, v6
	v_add_u16_e32 v6, s33, v15
	;; [unrolled: 1-line block ×12, first 2 shown]
	s_mov_b32 s4, 0x5040100
	v_add_u16_e32 v11, s33, v22
	v_add_u16_e32 v12, s33, v23
	;; [unrolled: 1-line block ×6, first 2 shown]
	v_add_u16_sdwa v27, v26, v5 dst_sel:DWORD dst_unused:UNUSED_PAD src0_sel:DWORD src1_sel:WORD_1
	v_add_u32_e32 v28, v14, v36
	v_perm_b32 v5, v10, v9, s4
	v_perm_b32 v4, v8, v4, s4
	;; [unrolled: 1-line block ×4, first 2 shown]
	v_add_u16_e32 v20, s33, v30
	v_add_u16_e32 v21, s33, v31
	;; [unrolled: 1-line block ×5, first 2 shown]
	s_waitcnt lgkmcnt(0)
	; wave barrier
	ds_write_b128 v28, v[2:5]
	v_perm_b32 v5, v19, v18, s4
	v_perm_b32 v4, v17, v16, s4
	v_perm_b32 v3, v15, v13, s4
	v_perm_b32 v2, v12, v11, s4
	ds_write_b128 v28, v[2:5] offset:16
	v_perm_b32 v4, v25, v24, s4
	v_perm_b32 v3, v23, v22, s4
	;; [unrolled: 1-line block ×4, first 2 shown]
	ds_write_b128 v28, v[2:5] offset:32
	s_waitcnt lgkmcnt(0)
	; wave barrier
	s_waitcnt lgkmcnt(0)
	ds_read_u16 v25, v14 offset:128
	ds_read_u16 v24, v14 offset:256
	ds_read_u16 v23, v14 offset:384
	ds_read_u16 v22, v14 offset:512
	ds_read_u16 v21, v14 offset:640
	ds_read_u16 v20, v14 offset:768
	ds_read_u16 v19, v14 offset:896
	ds_read_u16 v18, v14 offset:1024
	ds_read_u16 v17, v14 offset:1152
	ds_read_u16 v16, v14 offset:1280
	ds_read_u16 v15, v14 offset:1408
	ds_read_u16 v13, v14 offset:1536
	ds_read_u16 v12, v14 offset:1664
	ds_read_u16 v11, v14 offset:1792
	ds_read_u16 v10, v14 offset:1920
	ds_read_u16 v9, v14 offset:2048
	ds_read_u16 v8, v14 offset:2176
	ds_read_u16 v7, v14 offset:2304
	ds_read_u16 v6, v14 offset:2432
	ds_read_u16 v5, v14 offset:2560
	ds_read_u16 v4, v14 offset:2688
	ds_read_u16 v3, v14 offset:2816
	ds_read_u16 v2, v14 offset:2944
	v_lshlrev_b64 v[0:1], 1, v[0:1]
	v_mov_b32_e32 v26, s53
	v_add_co_u32_e64 v0, s[4:5], s52, v0
	v_addc_co_u32_e64 v1, s[4:5], v26, v1, s[4:5]
	s_and_saveexec_b64 s[4:5], vcc
	s_cbranch_execnz .LBB1314_79
; %bb.55:
	s_or_b64 exec, exec, s[4:5]
	s_and_saveexec_b64 s[4:5], s[0:1]
	s_cbranch_execnz .LBB1314_80
.LBB1314_56:
	s_or_b64 exec, exec, s[4:5]
	s_and_saveexec_b64 s[0:1], s[2:3]
	s_cbranch_execnz .LBB1314_81
.LBB1314_57:
	s_or_b64 exec, exec, s[0:1]
	s_and_saveexec_b64 s[0:1], s[48:49]
	s_cbranch_execnz .LBB1314_82
.LBB1314_58:
	s_or_b64 exec, exec, s[0:1]
	s_and_saveexec_b64 s[0:1], s[6:7]
	s_cbranch_execnz .LBB1314_83
.LBB1314_59:
	s_or_b64 exec, exec, s[0:1]
	s_and_saveexec_b64 s[0:1], s[8:9]
	s_cbranch_execnz .LBB1314_84
.LBB1314_60:
	s_or_b64 exec, exec, s[0:1]
	s_and_saveexec_b64 s[0:1], s[10:11]
	s_cbranch_execnz .LBB1314_85
.LBB1314_61:
	s_or_b64 exec, exec, s[0:1]
	s_and_saveexec_b64 s[0:1], s[12:13]
	s_cbranch_execnz .LBB1314_86
.LBB1314_62:
	s_or_b64 exec, exec, s[0:1]
	s_and_saveexec_b64 s[0:1], s[14:15]
	s_cbranch_execnz .LBB1314_87
.LBB1314_63:
	s_or_b64 exec, exec, s[0:1]
	s_and_saveexec_b64 s[0:1], s[16:17]
	s_cbranch_execnz .LBB1314_88
.LBB1314_64:
	s_or_b64 exec, exec, s[0:1]
	s_and_saveexec_b64 s[0:1], s[18:19]
	s_cbranch_execnz .LBB1314_89
.LBB1314_65:
	s_or_b64 exec, exec, s[0:1]
	s_and_saveexec_b64 s[0:1], s[20:21]
	s_cbranch_execnz .LBB1314_90
.LBB1314_66:
	s_or_b64 exec, exec, s[0:1]
	s_and_saveexec_b64 s[0:1], s[22:23]
	s_cbranch_execnz .LBB1314_91
.LBB1314_67:
	s_or_b64 exec, exec, s[0:1]
	s_and_saveexec_b64 s[0:1], s[24:25]
	s_cbranch_execnz .LBB1314_92
.LBB1314_68:
	s_or_b64 exec, exec, s[0:1]
	s_and_saveexec_b64 s[0:1], s[26:27]
	s_cbranch_execnz .LBB1314_93
.LBB1314_69:
	s_or_b64 exec, exec, s[0:1]
	s_and_saveexec_b64 s[0:1], s[28:29]
	s_cbranch_execnz .LBB1314_94
.LBB1314_70:
	s_or_b64 exec, exec, s[0:1]
	s_and_saveexec_b64 s[0:1], s[30:31]
	s_cbranch_execnz .LBB1314_95
.LBB1314_71:
	s_or_b64 exec, exec, s[0:1]
	s_and_saveexec_b64 s[0:1], s[34:35]
	s_cbranch_execnz .LBB1314_96
.LBB1314_72:
	s_or_b64 exec, exec, s[0:1]
	s_and_saveexec_b64 s[0:1], s[36:37]
	s_cbranch_execnz .LBB1314_97
.LBB1314_73:
	s_or_b64 exec, exec, s[0:1]
	s_and_saveexec_b64 s[0:1], s[38:39]
	s_cbranch_execnz .LBB1314_98
.LBB1314_74:
	s_or_b64 exec, exec, s[0:1]
	s_and_saveexec_b64 s[0:1], s[40:41]
	s_cbranch_execnz .LBB1314_99
.LBB1314_75:
	s_or_b64 exec, exec, s[0:1]
	s_and_saveexec_b64 s[0:1], s[42:43]
	s_cbranch_execnz .LBB1314_100
.LBB1314_76:
	s_or_b64 exec, exec, s[0:1]
	s_and_saveexec_b64 s[0:1], s[44:45]
	s_cbranch_execnz .LBB1314_101
.LBB1314_77:
	s_or_b64 exec, exec, s[0:1]
	s_and_saveexec_b64 s[0:1], s[46:47]
	s_cbranch_execnz .LBB1314_102
.LBB1314_78:
	s_endpgm
.LBB1314_79:
	ds_read_u16 v14, v14
	s_waitcnt lgkmcnt(0)
	global_store_short v[0:1], v14, off
	s_or_b64 exec, exec, s[4:5]
	s_and_saveexec_b64 s[4:5], s[0:1]
	s_cbranch_execz .LBB1314_56
.LBB1314_80:
	s_waitcnt lgkmcnt(14)
	global_store_short v[0:1], v25, off offset:128
	s_or_b64 exec, exec, s[4:5]
	s_and_saveexec_b64 s[0:1], s[2:3]
	s_cbranch_execz .LBB1314_57
.LBB1314_81:
	s_waitcnt lgkmcnt(14)
	global_store_short v[0:1], v24, off offset:256
	s_or_b64 exec, exec, s[0:1]
	s_and_saveexec_b64 s[0:1], s[48:49]
	s_cbranch_execz .LBB1314_58
.LBB1314_82:
	s_waitcnt lgkmcnt(14)
	global_store_short v[0:1], v23, off offset:384
	s_or_b64 exec, exec, s[0:1]
	s_and_saveexec_b64 s[0:1], s[6:7]
	s_cbranch_execz .LBB1314_59
.LBB1314_83:
	s_waitcnt lgkmcnt(14)
	global_store_short v[0:1], v22, off offset:512
	s_or_b64 exec, exec, s[0:1]
	s_and_saveexec_b64 s[0:1], s[8:9]
	s_cbranch_execz .LBB1314_60
.LBB1314_84:
	s_waitcnt lgkmcnt(14)
	global_store_short v[0:1], v21, off offset:640
	s_or_b64 exec, exec, s[0:1]
	s_and_saveexec_b64 s[0:1], s[10:11]
	s_cbranch_execz .LBB1314_61
.LBB1314_85:
	s_waitcnt lgkmcnt(14)
	global_store_short v[0:1], v20, off offset:768
	s_or_b64 exec, exec, s[0:1]
	s_and_saveexec_b64 s[0:1], s[12:13]
	s_cbranch_execz .LBB1314_62
.LBB1314_86:
	s_waitcnt lgkmcnt(14)
	global_store_short v[0:1], v19, off offset:896
	s_or_b64 exec, exec, s[0:1]
	s_and_saveexec_b64 s[0:1], s[14:15]
	s_cbranch_execz .LBB1314_63
.LBB1314_87:
	s_waitcnt lgkmcnt(14)
	global_store_short v[0:1], v18, off offset:1024
	s_or_b64 exec, exec, s[0:1]
	s_and_saveexec_b64 s[0:1], s[16:17]
	s_cbranch_execz .LBB1314_64
.LBB1314_88:
	s_waitcnt lgkmcnt(14)
	global_store_short v[0:1], v17, off offset:1152
	s_or_b64 exec, exec, s[0:1]
	s_and_saveexec_b64 s[0:1], s[18:19]
	s_cbranch_execz .LBB1314_65
.LBB1314_89:
	s_waitcnt lgkmcnt(13)
	global_store_short v[0:1], v16, off offset:1280
	s_or_b64 exec, exec, s[0:1]
	s_and_saveexec_b64 s[0:1], s[20:21]
	s_cbranch_execz .LBB1314_66
.LBB1314_90:
	s_waitcnt lgkmcnt(12)
	global_store_short v[0:1], v15, off offset:1408
	s_or_b64 exec, exec, s[0:1]
	s_and_saveexec_b64 s[0:1], s[22:23]
	s_cbranch_execz .LBB1314_67
.LBB1314_91:
	s_waitcnt lgkmcnt(11)
	global_store_short v[0:1], v13, off offset:1536
	s_or_b64 exec, exec, s[0:1]
	s_and_saveexec_b64 s[0:1], s[24:25]
	s_cbranch_execz .LBB1314_68
.LBB1314_92:
	s_waitcnt lgkmcnt(10)
	global_store_short v[0:1], v12, off offset:1664
	s_or_b64 exec, exec, s[0:1]
	s_and_saveexec_b64 s[0:1], s[26:27]
	s_cbranch_execz .LBB1314_69
.LBB1314_93:
	s_waitcnt lgkmcnt(9)
	global_store_short v[0:1], v11, off offset:1792
	s_or_b64 exec, exec, s[0:1]
	s_and_saveexec_b64 s[0:1], s[28:29]
	s_cbranch_execz .LBB1314_70
.LBB1314_94:
	s_waitcnt lgkmcnt(8)
	global_store_short v[0:1], v10, off offset:1920
	s_or_b64 exec, exec, s[0:1]
	s_and_saveexec_b64 s[0:1], s[30:31]
	s_cbranch_execz .LBB1314_71
.LBB1314_95:
	s_waitcnt lgkmcnt(7)
	global_store_short v[0:1], v9, off offset:2048
	s_or_b64 exec, exec, s[0:1]
	s_and_saveexec_b64 s[0:1], s[34:35]
	s_cbranch_execz .LBB1314_72
.LBB1314_96:
	s_waitcnt lgkmcnt(6)
	global_store_short v[0:1], v8, off offset:2176
	s_or_b64 exec, exec, s[0:1]
	s_and_saveexec_b64 s[0:1], s[36:37]
	s_cbranch_execz .LBB1314_73
.LBB1314_97:
	s_waitcnt lgkmcnt(5)
	global_store_short v[0:1], v7, off offset:2304
	s_or_b64 exec, exec, s[0:1]
	s_and_saveexec_b64 s[0:1], s[38:39]
	s_cbranch_execz .LBB1314_74
.LBB1314_98:
	s_waitcnt lgkmcnt(4)
	global_store_short v[0:1], v6, off offset:2432
	s_or_b64 exec, exec, s[0:1]
	s_and_saveexec_b64 s[0:1], s[40:41]
	s_cbranch_execz .LBB1314_75
.LBB1314_99:
	s_waitcnt lgkmcnt(3)
	global_store_short v[0:1], v5, off offset:2560
	s_or_b64 exec, exec, s[0:1]
	s_and_saveexec_b64 s[0:1], s[42:43]
	s_cbranch_execz .LBB1314_76
.LBB1314_100:
	s_waitcnt lgkmcnt(2)
	global_store_short v[0:1], v4, off offset:2688
	s_or_b64 exec, exec, s[0:1]
	s_and_saveexec_b64 s[0:1], s[44:45]
	s_cbranch_execz .LBB1314_77
.LBB1314_101:
	s_waitcnt lgkmcnt(1)
	global_store_short v[0:1], v3, off offset:2816
	s_or_b64 exec, exec, s[0:1]
	s_and_saveexec_b64 s[0:1], s[46:47]
	s_cbranch_execz .LBB1314_78
.LBB1314_102:
	s_waitcnt lgkmcnt(0)
	global_store_short v[0:1], v2, off offset:2944
	s_endpgm
	.section	.rodata,"a",@progbits
	.p2align	6, 0x0
	.amdhsa_kernel _ZN7rocprim17ROCPRIM_400000_NS6detail17trampoline_kernelINS0_14default_configENS1_20scan_config_selectorIsEEZZNS1_9scan_implILNS1_25lookback_scan_determinismE0ELb0ELb1ES3_N6thrust23THRUST_200600_302600_NS6detail15normal_iteratorINS9_10device_ptrIsEEEESE_sNS9_4plusIsEEsEEDaPvRmT3_T4_T5_mT6_P12ihipStream_tbENKUlT_T0_E_clISt17integral_constantIbLb1EEST_IbLb0EEEEDaSP_SQ_EUlSP_E0_NS1_11comp_targetILNS1_3genE4ELNS1_11target_archE910ELNS1_3gpuE8ELNS1_3repE0EEENS1_30default_config_static_selectorELNS0_4arch9wavefront6targetE1EEEvT1_
		.amdhsa_group_segment_fixed_size 3072
		.amdhsa_private_segment_fixed_size 0
		.amdhsa_kernarg_size 32
		.amdhsa_user_sgpr_count 6
		.amdhsa_user_sgpr_private_segment_buffer 1
		.amdhsa_user_sgpr_dispatch_ptr 0
		.amdhsa_user_sgpr_queue_ptr 0
		.amdhsa_user_sgpr_kernarg_segment_ptr 1
		.amdhsa_user_sgpr_dispatch_id 0
		.amdhsa_user_sgpr_flat_scratch_init 0
		.amdhsa_user_sgpr_kernarg_preload_length 0
		.amdhsa_user_sgpr_kernarg_preload_offset 0
		.amdhsa_user_sgpr_private_segment_size 0
		.amdhsa_uses_dynamic_stack 0
		.amdhsa_system_sgpr_private_segment_wavefront_offset 0
		.amdhsa_system_sgpr_workgroup_id_x 1
		.amdhsa_system_sgpr_workgroup_id_y 0
		.amdhsa_system_sgpr_workgroup_id_z 0
		.amdhsa_system_sgpr_workgroup_info 0
		.amdhsa_system_vgpr_workitem_id 0
		.amdhsa_next_free_vgpr 40
		.amdhsa_next_free_sgpr 56
		.amdhsa_accum_offset 40
		.amdhsa_reserve_vcc 1
		.amdhsa_reserve_flat_scratch 0
		.amdhsa_float_round_mode_32 0
		.amdhsa_float_round_mode_16_64 0
		.amdhsa_float_denorm_mode_32 3
		.amdhsa_float_denorm_mode_16_64 3
		.amdhsa_dx10_clamp 1
		.amdhsa_ieee_mode 1
		.amdhsa_fp16_overflow 0
		.amdhsa_tg_split 0
		.amdhsa_exception_fp_ieee_invalid_op 0
		.amdhsa_exception_fp_denorm_src 0
		.amdhsa_exception_fp_ieee_div_zero 0
		.amdhsa_exception_fp_ieee_overflow 0
		.amdhsa_exception_fp_ieee_underflow 0
		.amdhsa_exception_fp_ieee_inexact 0
		.amdhsa_exception_int_div_zero 0
	.end_amdhsa_kernel
	.section	.text._ZN7rocprim17ROCPRIM_400000_NS6detail17trampoline_kernelINS0_14default_configENS1_20scan_config_selectorIsEEZZNS1_9scan_implILNS1_25lookback_scan_determinismE0ELb0ELb1ES3_N6thrust23THRUST_200600_302600_NS6detail15normal_iteratorINS9_10device_ptrIsEEEESE_sNS9_4plusIsEEsEEDaPvRmT3_T4_T5_mT6_P12ihipStream_tbENKUlT_T0_E_clISt17integral_constantIbLb1EEST_IbLb0EEEEDaSP_SQ_EUlSP_E0_NS1_11comp_targetILNS1_3genE4ELNS1_11target_archE910ELNS1_3gpuE8ELNS1_3repE0EEENS1_30default_config_static_selectorELNS0_4arch9wavefront6targetE1EEEvT1_,"axG",@progbits,_ZN7rocprim17ROCPRIM_400000_NS6detail17trampoline_kernelINS0_14default_configENS1_20scan_config_selectorIsEEZZNS1_9scan_implILNS1_25lookback_scan_determinismE0ELb0ELb1ES3_N6thrust23THRUST_200600_302600_NS6detail15normal_iteratorINS9_10device_ptrIsEEEESE_sNS9_4plusIsEEsEEDaPvRmT3_T4_T5_mT6_P12ihipStream_tbENKUlT_T0_E_clISt17integral_constantIbLb1EEST_IbLb0EEEEDaSP_SQ_EUlSP_E0_NS1_11comp_targetILNS1_3genE4ELNS1_11target_archE910ELNS1_3gpuE8ELNS1_3repE0EEENS1_30default_config_static_selectorELNS0_4arch9wavefront6targetE1EEEvT1_,comdat
.Lfunc_end1314:
	.size	_ZN7rocprim17ROCPRIM_400000_NS6detail17trampoline_kernelINS0_14default_configENS1_20scan_config_selectorIsEEZZNS1_9scan_implILNS1_25lookback_scan_determinismE0ELb0ELb1ES3_N6thrust23THRUST_200600_302600_NS6detail15normal_iteratorINS9_10device_ptrIsEEEESE_sNS9_4plusIsEEsEEDaPvRmT3_T4_T5_mT6_P12ihipStream_tbENKUlT_T0_E_clISt17integral_constantIbLb1EEST_IbLb0EEEEDaSP_SQ_EUlSP_E0_NS1_11comp_targetILNS1_3genE4ELNS1_11target_archE910ELNS1_3gpuE8ELNS1_3repE0EEENS1_30default_config_static_selectorELNS0_4arch9wavefront6targetE1EEEvT1_, .Lfunc_end1314-_ZN7rocprim17ROCPRIM_400000_NS6detail17trampoline_kernelINS0_14default_configENS1_20scan_config_selectorIsEEZZNS1_9scan_implILNS1_25lookback_scan_determinismE0ELb0ELb1ES3_N6thrust23THRUST_200600_302600_NS6detail15normal_iteratorINS9_10device_ptrIsEEEESE_sNS9_4plusIsEEsEEDaPvRmT3_T4_T5_mT6_P12ihipStream_tbENKUlT_T0_E_clISt17integral_constantIbLb1EEST_IbLb0EEEEDaSP_SQ_EUlSP_E0_NS1_11comp_targetILNS1_3genE4ELNS1_11target_archE910ELNS1_3gpuE8ELNS1_3repE0EEENS1_30default_config_static_selectorELNS0_4arch9wavefront6targetE1EEEvT1_
                                        ; -- End function
	.section	.AMDGPU.csdata,"",@progbits
; Kernel info:
; codeLenInByte = 3156
; NumSgprs: 60
; NumVgprs: 40
; NumAgprs: 0
; TotalNumVgprs: 40
; ScratchSize: 0
; MemoryBound: 0
; FloatMode: 240
; IeeeMode: 1
; LDSByteSize: 3072 bytes/workgroup (compile time only)
; SGPRBlocks: 7
; VGPRBlocks: 4
; NumSGPRsForWavesPerEU: 60
; NumVGPRsForWavesPerEU: 40
; AccumOffset: 40
; Occupancy: 6
; WaveLimiterHint : 0
; COMPUTE_PGM_RSRC2:SCRATCH_EN: 0
; COMPUTE_PGM_RSRC2:USER_SGPR: 6
; COMPUTE_PGM_RSRC2:TRAP_HANDLER: 0
; COMPUTE_PGM_RSRC2:TGID_X_EN: 1
; COMPUTE_PGM_RSRC2:TGID_Y_EN: 0
; COMPUTE_PGM_RSRC2:TGID_Z_EN: 0
; COMPUTE_PGM_RSRC2:TIDIG_COMP_CNT: 0
; COMPUTE_PGM_RSRC3_GFX90A:ACCUM_OFFSET: 9
; COMPUTE_PGM_RSRC3_GFX90A:TG_SPLIT: 0
	.section	.text._ZN7rocprim17ROCPRIM_400000_NS6detail17trampoline_kernelINS0_14default_configENS1_20scan_config_selectorIsEEZZNS1_9scan_implILNS1_25lookback_scan_determinismE0ELb0ELb1ES3_N6thrust23THRUST_200600_302600_NS6detail15normal_iteratorINS9_10device_ptrIsEEEESE_sNS9_4plusIsEEsEEDaPvRmT3_T4_T5_mT6_P12ihipStream_tbENKUlT_T0_E_clISt17integral_constantIbLb1EEST_IbLb0EEEEDaSP_SQ_EUlSP_E0_NS1_11comp_targetILNS1_3genE3ELNS1_11target_archE908ELNS1_3gpuE7ELNS1_3repE0EEENS1_30default_config_static_selectorELNS0_4arch9wavefront6targetE1EEEvT1_,"axG",@progbits,_ZN7rocprim17ROCPRIM_400000_NS6detail17trampoline_kernelINS0_14default_configENS1_20scan_config_selectorIsEEZZNS1_9scan_implILNS1_25lookback_scan_determinismE0ELb0ELb1ES3_N6thrust23THRUST_200600_302600_NS6detail15normal_iteratorINS9_10device_ptrIsEEEESE_sNS9_4plusIsEEsEEDaPvRmT3_T4_T5_mT6_P12ihipStream_tbENKUlT_T0_E_clISt17integral_constantIbLb1EEST_IbLb0EEEEDaSP_SQ_EUlSP_E0_NS1_11comp_targetILNS1_3genE3ELNS1_11target_archE908ELNS1_3gpuE7ELNS1_3repE0EEENS1_30default_config_static_selectorELNS0_4arch9wavefront6targetE1EEEvT1_,comdat
	.protected	_ZN7rocprim17ROCPRIM_400000_NS6detail17trampoline_kernelINS0_14default_configENS1_20scan_config_selectorIsEEZZNS1_9scan_implILNS1_25lookback_scan_determinismE0ELb0ELb1ES3_N6thrust23THRUST_200600_302600_NS6detail15normal_iteratorINS9_10device_ptrIsEEEESE_sNS9_4plusIsEEsEEDaPvRmT3_T4_T5_mT6_P12ihipStream_tbENKUlT_T0_E_clISt17integral_constantIbLb1EEST_IbLb0EEEEDaSP_SQ_EUlSP_E0_NS1_11comp_targetILNS1_3genE3ELNS1_11target_archE908ELNS1_3gpuE7ELNS1_3repE0EEENS1_30default_config_static_selectorELNS0_4arch9wavefront6targetE1EEEvT1_ ; -- Begin function _ZN7rocprim17ROCPRIM_400000_NS6detail17trampoline_kernelINS0_14default_configENS1_20scan_config_selectorIsEEZZNS1_9scan_implILNS1_25lookback_scan_determinismE0ELb0ELb1ES3_N6thrust23THRUST_200600_302600_NS6detail15normal_iteratorINS9_10device_ptrIsEEEESE_sNS9_4plusIsEEsEEDaPvRmT3_T4_T5_mT6_P12ihipStream_tbENKUlT_T0_E_clISt17integral_constantIbLb1EEST_IbLb0EEEEDaSP_SQ_EUlSP_E0_NS1_11comp_targetILNS1_3genE3ELNS1_11target_archE908ELNS1_3gpuE7ELNS1_3repE0EEENS1_30default_config_static_selectorELNS0_4arch9wavefront6targetE1EEEvT1_
	.globl	_ZN7rocprim17ROCPRIM_400000_NS6detail17trampoline_kernelINS0_14default_configENS1_20scan_config_selectorIsEEZZNS1_9scan_implILNS1_25lookback_scan_determinismE0ELb0ELb1ES3_N6thrust23THRUST_200600_302600_NS6detail15normal_iteratorINS9_10device_ptrIsEEEESE_sNS9_4plusIsEEsEEDaPvRmT3_T4_T5_mT6_P12ihipStream_tbENKUlT_T0_E_clISt17integral_constantIbLb1EEST_IbLb0EEEEDaSP_SQ_EUlSP_E0_NS1_11comp_targetILNS1_3genE3ELNS1_11target_archE908ELNS1_3gpuE7ELNS1_3repE0EEENS1_30default_config_static_selectorELNS0_4arch9wavefront6targetE1EEEvT1_
	.p2align	8
	.type	_ZN7rocprim17ROCPRIM_400000_NS6detail17trampoline_kernelINS0_14default_configENS1_20scan_config_selectorIsEEZZNS1_9scan_implILNS1_25lookback_scan_determinismE0ELb0ELb1ES3_N6thrust23THRUST_200600_302600_NS6detail15normal_iteratorINS9_10device_ptrIsEEEESE_sNS9_4plusIsEEsEEDaPvRmT3_T4_T5_mT6_P12ihipStream_tbENKUlT_T0_E_clISt17integral_constantIbLb1EEST_IbLb0EEEEDaSP_SQ_EUlSP_E0_NS1_11comp_targetILNS1_3genE3ELNS1_11target_archE908ELNS1_3gpuE7ELNS1_3repE0EEENS1_30default_config_static_selectorELNS0_4arch9wavefront6targetE1EEEvT1_,@function
_ZN7rocprim17ROCPRIM_400000_NS6detail17trampoline_kernelINS0_14default_configENS1_20scan_config_selectorIsEEZZNS1_9scan_implILNS1_25lookback_scan_determinismE0ELb0ELb1ES3_N6thrust23THRUST_200600_302600_NS6detail15normal_iteratorINS9_10device_ptrIsEEEESE_sNS9_4plusIsEEsEEDaPvRmT3_T4_T5_mT6_P12ihipStream_tbENKUlT_T0_E_clISt17integral_constantIbLb1EEST_IbLb0EEEEDaSP_SQ_EUlSP_E0_NS1_11comp_targetILNS1_3genE3ELNS1_11target_archE908ELNS1_3gpuE7ELNS1_3repE0EEENS1_30default_config_static_selectorELNS0_4arch9wavefront6targetE1EEEvT1_: ; @_ZN7rocprim17ROCPRIM_400000_NS6detail17trampoline_kernelINS0_14default_configENS1_20scan_config_selectorIsEEZZNS1_9scan_implILNS1_25lookback_scan_determinismE0ELb0ELb1ES3_N6thrust23THRUST_200600_302600_NS6detail15normal_iteratorINS9_10device_ptrIsEEEESE_sNS9_4plusIsEEsEEDaPvRmT3_T4_T5_mT6_P12ihipStream_tbENKUlT_T0_E_clISt17integral_constantIbLb1EEST_IbLb0EEEEDaSP_SQ_EUlSP_E0_NS1_11comp_targetILNS1_3genE3ELNS1_11target_archE908ELNS1_3gpuE7ELNS1_3repE0EEENS1_30default_config_static_selectorELNS0_4arch9wavefront6targetE1EEEvT1_
; %bb.0:
	.section	.rodata,"a",@progbits
	.p2align	6, 0x0
	.amdhsa_kernel _ZN7rocprim17ROCPRIM_400000_NS6detail17trampoline_kernelINS0_14default_configENS1_20scan_config_selectorIsEEZZNS1_9scan_implILNS1_25lookback_scan_determinismE0ELb0ELb1ES3_N6thrust23THRUST_200600_302600_NS6detail15normal_iteratorINS9_10device_ptrIsEEEESE_sNS9_4plusIsEEsEEDaPvRmT3_T4_T5_mT6_P12ihipStream_tbENKUlT_T0_E_clISt17integral_constantIbLb1EEST_IbLb0EEEEDaSP_SQ_EUlSP_E0_NS1_11comp_targetILNS1_3genE3ELNS1_11target_archE908ELNS1_3gpuE7ELNS1_3repE0EEENS1_30default_config_static_selectorELNS0_4arch9wavefront6targetE1EEEvT1_
		.amdhsa_group_segment_fixed_size 0
		.amdhsa_private_segment_fixed_size 0
		.amdhsa_kernarg_size 32
		.amdhsa_user_sgpr_count 6
		.amdhsa_user_sgpr_private_segment_buffer 1
		.amdhsa_user_sgpr_dispatch_ptr 0
		.amdhsa_user_sgpr_queue_ptr 0
		.amdhsa_user_sgpr_kernarg_segment_ptr 1
		.amdhsa_user_sgpr_dispatch_id 0
		.amdhsa_user_sgpr_flat_scratch_init 0
		.amdhsa_user_sgpr_kernarg_preload_length 0
		.amdhsa_user_sgpr_kernarg_preload_offset 0
		.amdhsa_user_sgpr_private_segment_size 0
		.amdhsa_uses_dynamic_stack 0
		.amdhsa_system_sgpr_private_segment_wavefront_offset 0
		.amdhsa_system_sgpr_workgroup_id_x 1
		.amdhsa_system_sgpr_workgroup_id_y 0
		.amdhsa_system_sgpr_workgroup_id_z 0
		.amdhsa_system_sgpr_workgroup_info 0
		.amdhsa_system_vgpr_workitem_id 0
		.amdhsa_next_free_vgpr 1
		.amdhsa_next_free_sgpr 0
		.amdhsa_accum_offset 4
		.amdhsa_reserve_vcc 0
		.amdhsa_reserve_flat_scratch 0
		.amdhsa_float_round_mode_32 0
		.amdhsa_float_round_mode_16_64 0
		.amdhsa_float_denorm_mode_32 3
		.amdhsa_float_denorm_mode_16_64 3
		.amdhsa_dx10_clamp 1
		.amdhsa_ieee_mode 1
		.amdhsa_fp16_overflow 0
		.amdhsa_tg_split 0
		.amdhsa_exception_fp_ieee_invalid_op 0
		.amdhsa_exception_fp_denorm_src 0
		.amdhsa_exception_fp_ieee_div_zero 0
		.amdhsa_exception_fp_ieee_overflow 0
		.amdhsa_exception_fp_ieee_underflow 0
		.amdhsa_exception_fp_ieee_inexact 0
		.amdhsa_exception_int_div_zero 0
	.end_amdhsa_kernel
	.section	.text._ZN7rocprim17ROCPRIM_400000_NS6detail17trampoline_kernelINS0_14default_configENS1_20scan_config_selectorIsEEZZNS1_9scan_implILNS1_25lookback_scan_determinismE0ELb0ELb1ES3_N6thrust23THRUST_200600_302600_NS6detail15normal_iteratorINS9_10device_ptrIsEEEESE_sNS9_4plusIsEEsEEDaPvRmT3_T4_T5_mT6_P12ihipStream_tbENKUlT_T0_E_clISt17integral_constantIbLb1EEST_IbLb0EEEEDaSP_SQ_EUlSP_E0_NS1_11comp_targetILNS1_3genE3ELNS1_11target_archE908ELNS1_3gpuE7ELNS1_3repE0EEENS1_30default_config_static_selectorELNS0_4arch9wavefront6targetE1EEEvT1_,"axG",@progbits,_ZN7rocprim17ROCPRIM_400000_NS6detail17trampoline_kernelINS0_14default_configENS1_20scan_config_selectorIsEEZZNS1_9scan_implILNS1_25lookback_scan_determinismE0ELb0ELb1ES3_N6thrust23THRUST_200600_302600_NS6detail15normal_iteratorINS9_10device_ptrIsEEEESE_sNS9_4plusIsEEsEEDaPvRmT3_T4_T5_mT6_P12ihipStream_tbENKUlT_T0_E_clISt17integral_constantIbLb1EEST_IbLb0EEEEDaSP_SQ_EUlSP_E0_NS1_11comp_targetILNS1_3genE3ELNS1_11target_archE908ELNS1_3gpuE7ELNS1_3repE0EEENS1_30default_config_static_selectorELNS0_4arch9wavefront6targetE1EEEvT1_,comdat
.Lfunc_end1315:
	.size	_ZN7rocprim17ROCPRIM_400000_NS6detail17trampoline_kernelINS0_14default_configENS1_20scan_config_selectorIsEEZZNS1_9scan_implILNS1_25lookback_scan_determinismE0ELb0ELb1ES3_N6thrust23THRUST_200600_302600_NS6detail15normal_iteratorINS9_10device_ptrIsEEEESE_sNS9_4plusIsEEsEEDaPvRmT3_T4_T5_mT6_P12ihipStream_tbENKUlT_T0_E_clISt17integral_constantIbLb1EEST_IbLb0EEEEDaSP_SQ_EUlSP_E0_NS1_11comp_targetILNS1_3genE3ELNS1_11target_archE908ELNS1_3gpuE7ELNS1_3repE0EEENS1_30default_config_static_selectorELNS0_4arch9wavefront6targetE1EEEvT1_, .Lfunc_end1315-_ZN7rocprim17ROCPRIM_400000_NS6detail17trampoline_kernelINS0_14default_configENS1_20scan_config_selectorIsEEZZNS1_9scan_implILNS1_25lookback_scan_determinismE0ELb0ELb1ES3_N6thrust23THRUST_200600_302600_NS6detail15normal_iteratorINS9_10device_ptrIsEEEESE_sNS9_4plusIsEEsEEDaPvRmT3_T4_T5_mT6_P12ihipStream_tbENKUlT_T0_E_clISt17integral_constantIbLb1EEST_IbLb0EEEEDaSP_SQ_EUlSP_E0_NS1_11comp_targetILNS1_3genE3ELNS1_11target_archE908ELNS1_3gpuE7ELNS1_3repE0EEENS1_30default_config_static_selectorELNS0_4arch9wavefront6targetE1EEEvT1_
                                        ; -- End function
	.section	.AMDGPU.csdata,"",@progbits
; Kernel info:
; codeLenInByte = 0
; NumSgprs: 4
; NumVgprs: 0
; NumAgprs: 0
; TotalNumVgprs: 0
; ScratchSize: 0
; MemoryBound: 0
; FloatMode: 240
; IeeeMode: 1
; LDSByteSize: 0 bytes/workgroup (compile time only)
; SGPRBlocks: 0
; VGPRBlocks: 0
; NumSGPRsForWavesPerEU: 4
; NumVGPRsForWavesPerEU: 1
; AccumOffset: 4
; Occupancy: 8
; WaveLimiterHint : 0
; COMPUTE_PGM_RSRC2:SCRATCH_EN: 0
; COMPUTE_PGM_RSRC2:USER_SGPR: 6
; COMPUTE_PGM_RSRC2:TRAP_HANDLER: 0
; COMPUTE_PGM_RSRC2:TGID_X_EN: 1
; COMPUTE_PGM_RSRC2:TGID_Y_EN: 0
; COMPUTE_PGM_RSRC2:TGID_Z_EN: 0
; COMPUTE_PGM_RSRC2:TIDIG_COMP_CNT: 0
; COMPUTE_PGM_RSRC3_GFX90A:ACCUM_OFFSET: 0
; COMPUTE_PGM_RSRC3_GFX90A:TG_SPLIT: 0
	.section	.text._ZN7rocprim17ROCPRIM_400000_NS6detail17trampoline_kernelINS0_14default_configENS1_20scan_config_selectorIsEEZZNS1_9scan_implILNS1_25lookback_scan_determinismE0ELb0ELb1ES3_N6thrust23THRUST_200600_302600_NS6detail15normal_iteratorINS9_10device_ptrIsEEEESE_sNS9_4plusIsEEsEEDaPvRmT3_T4_T5_mT6_P12ihipStream_tbENKUlT_T0_E_clISt17integral_constantIbLb1EEST_IbLb0EEEEDaSP_SQ_EUlSP_E0_NS1_11comp_targetILNS1_3genE2ELNS1_11target_archE906ELNS1_3gpuE6ELNS1_3repE0EEENS1_30default_config_static_selectorELNS0_4arch9wavefront6targetE1EEEvT1_,"axG",@progbits,_ZN7rocprim17ROCPRIM_400000_NS6detail17trampoline_kernelINS0_14default_configENS1_20scan_config_selectorIsEEZZNS1_9scan_implILNS1_25lookback_scan_determinismE0ELb0ELb1ES3_N6thrust23THRUST_200600_302600_NS6detail15normal_iteratorINS9_10device_ptrIsEEEESE_sNS9_4plusIsEEsEEDaPvRmT3_T4_T5_mT6_P12ihipStream_tbENKUlT_T0_E_clISt17integral_constantIbLb1EEST_IbLb0EEEEDaSP_SQ_EUlSP_E0_NS1_11comp_targetILNS1_3genE2ELNS1_11target_archE906ELNS1_3gpuE6ELNS1_3repE0EEENS1_30default_config_static_selectorELNS0_4arch9wavefront6targetE1EEEvT1_,comdat
	.protected	_ZN7rocprim17ROCPRIM_400000_NS6detail17trampoline_kernelINS0_14default_configENS1_20scan_config_selectorIsEEZZNS1_9scan_implILNS1_25lookback_scan_determinismE0ELb0ELb1ES3_N6thrust23THRUST_200600_302600_NS6detail15normal_iteratorINS9_10device_ptrIsEEEESE_sNS9_4plusIsEEsEEDaPvRmT3_T4_T5_mT6_P12ihipStream_tbENKUlT_T0_E_clISt17integral_constantIbLb1EEST_IbLb0EEEEDaSP_SQ_EUlSP_E0_NS1_11comp_targetILNS1_3genE2ELNS1_11target_archE906ELNS1_3gpuE6ELNS1_3repE0EEENS1_30default_config_static_selectorELNS0_4arch9wavefront6targetE1EEEvT1_ ; -- Begin function _ZN7rocprim17ROCPRIM_400000_NS6detail17trampoline_kernelINS0_14default_configENS1_20scan_config_selectorIsEEZZNS1_9scan_implILNS1_25lookback_scan_determinismE0ELb0ELb1ES3_N6thrust23THRUST_200600_302600_NS6detail15normal_iteratorINS9_10device_ptrIsEEEESE_sNS9_4plusIsEEsEEDaPvRmT3_T4_T5_mT6_P12ihipStream_tbENKUlT_T0_E_clISt17integral_constantIbLb1EEST_IbLb0EEEEDaSP_SQ_EUlSP_E0_NS1_11comp_targetILNS1_3genE2ELNS1_11target_archE906ELNS1_3gpuE6ELNS1_3repE0EEENS1_30default_config_static_selectorELNS0_4arch9wavefront6targetE1EEEvT1_
	.globl	_ZN7rocprim17ROCPRIM_400000_NS6detail17trampoline_kernelINS0_14default_configENS1_20scan_config_selectorIsEEZZNS1_9scan_implILNS1_25lookback_scan_determinismE0ELb0ELb1ES3_N6thrust23THRUST_200600_302600_NS6detail15normal_iteratorINS9_10device_ptrIsEEEESE_sNS9_4plusIsEEsEEDaPvRmT3_T4_T5_mT6_P12ihipStream_tbENKUlT_T0_E_clISt17integral_constantIbLb1EEST_IbLb0EEEEDaSP_SQ_EUlSP_E0_NS1_11comp_targetILNS1_3genE2ELNS1_11target_archE906ELNS1_3gpuE6ELNS1_3repE0EEENS1_30default_config_static_selectorELNS0_4arch9wavefront6targetE1EEEvT1_
	.p2align	8
	.type	_ZN7rocprim17ROCPRIM_400000_NS6detail17trampoline_kernelINS0_14default_configENS1_20scan_config_selectorIsEEZZNS1_9scan_implILNS1_25lookback_scan_determinismE0ELb0ELb1ES3_N6thrust23THRUST_200600_302600_NS6detail15normal_iteratorINS9_10device_ptrIsEEEESE_sNS9_4plusIsEEsEEDaPvRmT3_T4_T5_mT6_P12ihipStream_tbENKUlT_T0_E_clISt17integral_constantIbLb1EEST_IbLb0EEEEDaSP_SQ_EUlSP_E0_NS1_11comp_targetILNS1_3genE2ELNS1_11target_archE906ELNS1_3gpuE6ELNS1_3repE0EEENS1_30default_config_static_selectorELNS0_4arch9wavefront6targetE1EEEvT1_,@function
_ZN7rocprim17ROCPRIM_400000_NS6detail17trampoline_kernelINS0_14default_configENS1_20scan_config_selectorIsEEZZNS1_9scan_implILNS1_25lookback_scan_determinismE0ELb0ELb1ES3_N6thrust23THRUST_200600_302600_NS6detail15normal_iteratorINS9_10device_ptrIsEEEESE_sNS9_4plusIsEEsEEDaPvRmT3_T4_T5_mT6_P12ihipStream_tbENKUlT_T0_E_clISt17integral_constantIbLb1EEST_IbLb0EEEEDaSP_SQ_EUlSP_E0_NS1_11comp_targetILNS1_3genE2ELNS1_11target_archE906ELNS1_3gpuE6ELNS1_3repE0EEENS1_30default_config_static_selectorELNS0_4arch9wavefront6targetE1EEEvT1_: ; @_ZN7rocprim17ROCPRIM_400000_NS6detail17trampoline_kernelINS0_14default_configENS1_20scan_config_selectorIsEEZZNS1_9scan_implILNS1_25lookback_scan_determinismE0ELb0ELb1ES3_N6thrust23THRUST_200600_302600_NS6detail15normal_iteratorINS9_10device_ptrIsEEEESE_sNS9_4plusIsEEsEEDaPvRmT3_T4_T5_mT6_P12ihipStream_tbENKUlT_T0_E_clISt17integral_constantIbLb1EEST_IbLb0EEEEDaSP_SQ_EUlSP_E0_NS1_11comp_targetILNS1_3genE2ELNS1_11target_archE906ELNS1_3gpuE6ELNS1_3repE0EEENS1_30default_config_static_selectorELNS0_4arch9wavefront6targetE1EEEvT1_
; %bb.0:
	.section	.rodata,"a",@progbits
	.p2align	6, 0x0
	.amdhsa_kernel _ZN7rocprim17ROCPRIM_400000_NS6detail17trampoline_kernelINS0_14default_configENS1_20scan_config_selectorIsEEZZNS1_9scan_implILNS1_25lookback_scan_determinismE0ELb0ELb1ES3_N6thrust23THRUST_200600_302600_NS6detail15normal_iteratorINS9_10device_ptrIsEEEESE_sNS9_4plusIsEEsEEDaPvRmT3_T4_T5_mT6_P12ihipStream_tbENKUlT_T0_E_clISt17integral_constantIbLb1EEST_IbLb0EEEEDaSP_SQ_EUlSP_E0_NS1_11comp_targetILNS1_3genE2ELNS1_11target_archE906ELNS1_3gpuE6ELNS1_3repE0EEENS1_30default_config_static_selectorELNS0_4arch9wavefront6targetE1EEEvT1_
		.amdhsa_group_segment_fixed_size 0
		.amdhsa_private_segment_fixed_size 0
		.amdhsa_kernarg_size 32
		.amdhsa_user_sgpr_count 6
		.amdhsa_user_sgpr_private_segment_buffer 1
		.amdhsa_user_sgpr_dispatch_ptr 0
		.amdhsa_user_sgpr_queue_ptr 0
		.amdhsa_user_sgpr_kernarg_segment_ptr 1
		.amdhsa_user_sgpr_dispatch_id 0
		.amdhsa_user_sgpr_flat_scratch_init 0
		.amdhsa_user_sgpr_kernarg_preload_length 0
		.amdhsa_user_sgpr_kernarg_preload_offset 0
		.amdhsa_user_sgpr_private_segment_size 0
		.amdhsa_uses_dynamic_stack 0
		.amdhsa_system_sgpr_private_segment_wavefront_offset 0
		.amdhsa_system_sgpr_workgroup_id_x 1
		.amdhsa_system_sgpr_workgroup_id_y 0
		.amdhsa_system_sgpr_workgroup_id_z 0
		.amdhsa_system_sgpr_workgroup_info 0
		.amdhsa_system_vgpr_workitem_id 0
		.amdhsa_next_free_vgpr 1
		.amdhsa_next_free_sgpr 0
		.amdhsa_accum_offset 4
		.amdhsa_reserve_vcc 0
		.amdhsa_reserve_flat_scratch 0
		.amdhsa_float_round_mode_32 0
		.amdhsa_float_round_mode_16_64 0
		.amdhsa_float_denorm_mode_32 3
		.amdhsa_float_denorm_mode_16_64 3
		.amdhsa_dx10_clamp 1
		.amdhsa_ieee_mode 1
		.amdhsa_fp16_overflow 0
		.amdhsa_tg_split 0
		.amdhsa_exception_fp_ieee_invalid_op 0
		.amdhsa_exception_fp_denorm_src 0
		.amdhsa_exception_fp_ieee_div_zero 0
		.amdhsa_exception_fp_ieee_overflow 0
		.amdhsa_exception_fp_ieee_underflow 0
		.amdhsa_exception_fp_ieee_inexact 0
		.amdhsa_exception_int_div_zero 0
	.end_amdhsa_kernel
	.section	.text._ZN7rocprim17ROCPRIM_400000_NS6detail17trampoline_kernelINS0_14default_configENS1_20scan_config_selectorIsEEZZNS1_9scan_implILNS1_25lookback_scan_determinismE0ELb0ELb1ES3_N6thrust23THRUST_200600_302600_NS6detail15normal_iteratorINS9_10device_ptrIsEEEESE_sNS9_4plusIsEEsEEDaPvRmT3_T4_T5_mT6_P12ihipStream_tbENKUlT_T0_E_clISt17integral_constantIbLb1EEST_IbLb0EEEEDaSP_SQ_EUlSP_E0_NS1_11comp_targetILNS1_3genE2ELNS1_11target_archE906ELNS1_3gpuE6ELNS1_3repE0EEENS1_30default_config_static_selectorELNS0_4arch9wavefront6targetE1EEEvT1_,"axG",@progbits,_ZN7rocprim17ROCPRIM_400000_NS6detail17trampoline_kernelINS0_14default_configENS1_20scan_config_selectorIsEEZZNS1_9scan_implILNS1_25lookback_scan_determinismE0ELb0ELb1ES3_N6thrust23THRUST_200600_302600_NS6detail15normal_iteratorINS9_10device_ptrIsEEEESE_sNS9_4plusIsEEsEEDaPvRmT3_T4_T5_mT6_P12ihipStream_tbENKUlT_T0_E_clISt17integral_constantIbLb1EEST_IbLb0EEEEDaSP_SQ_EUlSP_E0_NS1_11comp_targetILNS1_3genE2ELNS1_11target_archE906ELNS1_3gpuE6ELNS1_3repE0EEENS1_30default_config_static_selectorELNS0_4arch9wavefront6targetE1EEEvT1_,comdat
.Lfunc_end1316:
	.size	_ZN7rocprim17ROCPRIM_400000_NS6detail17trampoline_kernelINS0_14default_configENS1_20scan_config_selectorIsEEZZNS1_9scan_implILNS1_25lookback_scan_determinismE0ELb0ELb1ES3_N6thrust23THRUST_200600_302600_NS6detail15normal_iteratorINS9_10device_ptrIsEEEESE_sNS9_4plusIsEEsEEDaPvRmT3_T4_T5_mT6_P12ihipStream_tbENKUlT_T0_E_clISt17integral_constantIbLb1EEST_IbLb0EEEEDaSP_SQ_EUlSP_E0_NS1_11comp_targetILNS1_3genE2ELNS1_11target_archE906ELNS1_3gpuE6ELNS1_3repE0EEENS1_30default_config_static_selectorELNS0_4arch9wavefront6targetE1EEEvT1_, .Lfunc_end1316-_ZN7rocprim17ROCPRIM_400000_NS6detail17trampoline_kernelINS0_14default_configENS1_20scan_config_selectorIsEEZZNS1_9scan_implILNS1_25lookback_scan_determinismE0ELb0ELb1ES3_N6thrust23THRUST_200600_302600_NS6detail15normal_iteratorINS9_10device_ptrIsEEEESE_sNS9_4plusIsEEsEEDaPvRmT3_T4_T5_mT6_P12ihipStream_tbENKUlT_T0_E_clISt17integral_constantIbLb1EEST_IbLb0EEEEDaSP_SQ_EUlSP_E0_NS1_11comp_targetILNS1_3genE2ELNS1_11target_archE906ELNS1_3gpuE6ELNS1_3repE0EEENS1_30default_config_static_selectorELNS0_4arch9wavefront6targetE1EEEvT1_
                                        ; -- End function
	.section	.AMDGPU.csdata,"",@progbits
; Kernel info:
; codeLenInByte = 0
; NumSgprs: 4
; NumVgprs: 0
; NumAgprs: 0
; TotalNumVgprs: 0
; ScratchSize: 0
; MemoryBound: 0
; FloatMode: 240
; IeeeMode: 1
; LDSByteSize: 0 bytes/workgroup (compile time only)
; SGPRBlocks: 0
; VGPRBlocks: 0
; NumSGPRsForWavesPerEU: 4
; NumVGPRsForWavesPerEU: 1
; AccumOffset: 4
; Occupancy: 8
; WaveLimiterHint : 0
; COMPUTE_PGM_RSRC2:SCRATCH_EN: 0
; COMPUTE_PGM_RSRC2:USER_SGPR: 6
; COMPUTE_PGM_RSRC2:TRAP_HANDLER: 0
; COMPUTE_PGM_RSRC2:TGID_X_EN: 1
; COMPUTE_PGM_RSRC2:TGID_Y_EN: 0
; COMPUTE_PGM_RSRC2:TGID_Z_EN: 0
; COMPUTE_PGM_RSRC2:TIDIG_COMP_CNT: 0
; COMPUTE_PGM_RSRC3_GFX90A:ACCUM_OFFSET: 0
; COMPUTE_PGM_RSRC3_GFX90A:TG_SPLIT: 0
	.section	.text._ZN7rocprim17ROCPRIM_400000_NS6detail17trampoline_kernelINS0_14default_configENS1_20scan_config_selectorIsEEZZNS1_9scan_implILNS1_25lookback_scan_determinismE0ELb0ELb1ES3_N6thrust23THRUST_200600_302600_NS6detail15normal_iteratorINS9_10device_ptrIsEEEESE_sNS9_4plusIsEEsEEDaPvRmT3_T4_T5_mT6_P12ihipStream_tbENKUlT_T0_E_clISt17integral_constantIbLb1EEST_IbLb0EEEEDaSP_SQ_EUlSP_E0_NS1_11comp_targetILNS1_3genE10ELNS1_11target_archE1201ELNS1_3gpuE5ELNS1_3repE0EEENS1_30default_config_static_selectorELNS0_4arch9wavefront6targetE1EEEvT1_,"axG",@progbits,_ZN7rocprim17ROCPRIM_400000_NS6detail17trampoline_kernelINS0_14default_configENS1_20scan_config_selectorIsEEZZNS1_9scan_implILNS1_25lookback_scan_determinismE0ELb0ELb1ES3_N6thrust23THRUST_200600_302600_NS6detail15normal_iteratorINS9_10device_ptrIsEEEESE_sNS9_4plusIsEEsEEDaPvRmT3_T4_T5_mT6_P12ihipStream_tbENKUlT_T0_E_clISt17integral_constantIbLb1EEST_IbLb0EEEEDaSP_SQ_EUlSP_E0_NS1_11comp_targetILNS1_3genE10ELNS1_11target_archE1201ELNS1_3gpuE5ELNS1_3repE0EEENS1_30default_config_static_selectorELNS0_4arch9wavefront6targetE1EEEvT1_,comdat
	.protected	_ZN7rocprim17ROCPRIM_400000_NS6detail17trampoline_kernelINS0_14default_configENS1_20scan_config_selectorIsEEZZNS1_9scan_implILNS1_25lookback_scan_determinismE0ELb0ELb1ES3_N6thrust23THRUST_200600_302600_NS6detail15normal_iteratorINS9_10device_ptrIsEEEESE_sNS9_4plusIsEEsEEDaPvRmT3_T4_T5_mT6_P12ihipStream_tbENKUlT_T0_E_clISt17integral_constantIbLb1EEST_IbLb0EEEEDaSP_SQ_EUlSP_E0_NS1_11comp_targetILNS1_3genE10ELNS1_11target_archE1201ELNS1_3gpuE5ELNS1_3repE0EEENS1_30default_config_static_selectorELNS0_4arch9wavefront6targetE1EEEvT1_ ; -- Begin function _ZN7rocprim17ROCPRIM_400000_NS6detail17trampoline_kernelINS0_14default_configENS1_20scan_config_selectorIsEEZZNS1_9scan_implILNS1_25lookback_scan_determinismE0ELb0ELb1ES3_N6thrust23THRUST_200600_302600_NS6detail15normal_iteratorINS9_10device_ptrIsEEEESE_sNS9_4plusIsEEsEEDaPvRmT3_T4_T5_mT6_P12ihipStream_tbENKUlT_T0_E_clISt17integral_constantIbLb1EEST_IbLb0EEEEDaSP_SQ_EUlSP_E0_NS1_11comp_targetILNS1_3genE10ELNS1_11target_archE1201ELNS1_3gpuE5ELNS1_3repE0EEENS1_30default_config_static_selectorELNS0_4arch9wavefront6targetE1EEEvT1_
	.globl	_ZN7rocprim17ROCPRIM_400000_NS6detail17trampoline_kernelINS0_14default_configENS1_20scan_config_selectorIsEEZZNS1_9scan_implILNS1_25lookback_scan_determinismE0ELb0ELb1ES3_N6thrust23THRUST_200600_302600_NS6detail15normal_iteratorINS9_10device_ptrIsEEEESE_sNS9_4plusIsEEsEEDaPvRmT3_T4_T5_mT6_P12ihipStream_tbENKUlT_T0_E_clISt17integral_constantIbLb1EEST_IbLb0EEEEDaSP_SQ_EUlSP_E0_NS1_11comp_targetILNS1_3genE10ELNS1_11target_archE1201ELNS1_3gpuE5ELNS1_3repE0EEENS1_30default_config_static_selectorELNS0_4arch9wavefront6targetE1EEEvT1_
	.p2align	8
	.type	_ZN7rocprim17ROCPRIM_400000_NS6detail17trampoline_kernelINS0_14default_configENS1_20scan_config_selectorIsEEZZNS1_9scan_implILNS1_25lookback_scan_determinismE0ELb0ELb1ES3_N6thrust23THRUST_200600_302600_NS6detail15normal_iteratorINS9_10device_ptrIsEEEESE_sNS9_4plusIsEEsEEDaPvRmT3_T4_T5_mT6_P12ihipStream_tbENKUlT_T0_E_clISt17integral_constantIbLb1EEST_IbLb0EEEEDaSP_SQ_EUlSP_E0_NS1_11comp_targetILNS1_3genE10ELNS1_11target_archE1201ELNS1_3gpuE5ELNS1_3repE0EEENS1_30default_config_static_selectorELNS0_4arch9wavefront6targetE1EEEvT1_,@function
_ZN7rocprim17ROCPRIM_400000_NS6detail17trampoline_kernelINS0_14default_configENS1_20scan_config_selectorIsEEZZNS1_9scan_implILNS1_25lookback_scan_determinismE0ELb0ELb1ES3_N6thrust23THRUST_200600_302600_NS6detail15normal_iteratorINS9_10device_ptrIsEEEESE_sNS9_4plusIsEEsEEDaPvRmT3_T4_T5_mT6_P12ihipStream_tbENKUlT_T0_E_clISt17integral_constantIbLb1EEST_IbLb0EEEEDaSP_SQ_EUlSP_E0_NS1_11comp_targetILNS1_3genE10ELNS1_11target_archE1201ELNS1_3gpuE5ELNS1_3repE0EEENS1_30default_config_static_selectorELNS0_4arch9wavefront6targetE1EEEvT1_: ; @_ZN7rocprim17ROCPRIM_400000_NS6detail17trampoline_kernelINS0_14default_configENS1_20scan_config_selectorIsEEZZNS1_9scan_implILNS1_25lookback_scan_determinismE0ELb0ELb1ES3_N6thrust23THRUST_200600_302600_NS6detail15normal_iteratorINS9_10device_ptrIsEEEESE_sNS9_4plusIsEEsEEDaPvRmT3_T4_T5_mT6_P12ihipStream_tbENKUlT_T0_E_clISt17integral_constantIbLb1EEST_IbLb0EEEEDaSP_SQ_EUlSP_E0_NS1_11comp_targetILNS1_3genE10ELNS1_11target_archE1201ELNS1_3gpuE5ELNS1_3repE0EEENS1_30default_config_static_selectorELNS0_4arch9wavefront6targetE1EEEvT1_
; %bb.0:
	.section	.rodata,"a",@progbits
	.p2align	6, 0x0
	.amdhsa_kernel _ZN7rocprim17ROCPRIM_400000_NS6detail17trampoline_kernelINS0_14default_configENS1_20scan_config_selectorIsEEZZNS1_9scan_implILNS1_25lookback_scan_determinismE0ELb0ELb1ES3_N6thrust23THRUST_200600_302600_NS6detail15normal_iteratorINS9_10device_ptrIsEEEESE_sNS9_4plusIsEEsEEDaPvRmT3_T4_T5_mT6_P12ihipStream_tbENKUlT_T0_E_clISt17integral_constantIbLb1EEST_IbLb0EEEEDaSP_SQ_EUlSP_E0_NS1_11comp_targetILNS1_3genE10ELNS1_11target_archE1201ELNS1_3gpuE5ELNS1_3repE0EEENS1_30default_config_static_selectorELNS0_4arch9wavefront6targetE1EEEvT1_
		.amdhsa_group_segment_fixed_size 0
		.amdhsa_private_segment_fixed_size 0
		.amdhsa_kernarg_size 32
		.amdhsa_user_sgpr_count 6
		.amdhsa_user_sgpr_private_segment_buffer 1
		.amdhsa_user_sgpr_dispatch_ptr 0
		.amdhsa_user_sgpr_queue_ptr 0
		.amdhsa_user_sgpr_kernarg_segment_ptr 1
		.amdhsa_user_sgpr_dispatch_id 0
		.amdhsa_user_sgpr_flat_scratch_init 0
		.amdhsa_user_sgpr_kernarg_preload_length 0
		.amdhsa_user_sgpr_kernarg_preload_offset 0
		.amdhsa_user_sgpr_private_segment_size 0
		.amdhsa_uses_dynamic_stack 0
		.amdhsa_system_sgpr_private_segment_wavefront_offset 0
		.amdhsa_system_sgpr_workgroup_id_x 1
		.amdhsa_system_sgpr_workgroup_id_y 0
		.amdhsa_system_sgpr_workgroup_id_z 0
		.amdhsa_system_sgpr_workgroup_info 0
		.amdhsa_system_vgpr_workitem_id 0
		.amdhsa_next_free_vgpr 1
		.amdhsa_next_free_sgpr 0
		.amdhsa_accum_offset 4
		.amdhsa_reserve_vcc 0
		.amdhsa_reserve_flat_scratch 0
		.amdhsa_float_round_mode_32 0
		.amdhsa_float_round_mode_16_64 0
		.amdhsa_float_denorm_mode_32 3
		.amdhsa_float_denorm_mode_16_64 3
		.amdhsa_dx10_clamp 1
		.amdhsa_ieee_mode 1
		.amdhsa_fp16_overflow 0
		.amdhsa_tg_split 0
		.amdhsa_exception_fp_ieee_invalid_op 0
		.amdhsa_exception_fp_denorm_src 0
		.amdhsa_exception_fp_ieee_div_zero 0
		.amdhsa_exception_fp_ieee_overflow 0
		.amdhsa_exception_fp_ieee_underflow 0
		.amdhsa_exception_fp_ieee_inexact 0
		.amdhsa_exception_int_div_zero 0
	.end_amdhsa_kernel
	.section	.text._ZN7rocprim17ROCPRIM_400000_NS6detail17trampoline_kernelINS0_14default_configENS1_20scan_config_selectorIsEEZZNS1_9scan_implILNS1_25lookback_scan_determinismE0ELb0ELb1ES3_N6thrust23THRUST_200600_302600_NS6detail15normal_iteratorINS9_10device_ptrIsEEEESE_sNS9_4plusIsEEsEEDaPvRmT3_T4_T5_mT6_P12ihipStream_tbENKUlT_T0_E_clISt17integral_constantIbLb1EEST_IbLb0EEEEDaSP_SQ_EUlSP_E0_NS1_11comp_targetILNS1_3genE10ELNS1_11target_archE1201ELNS1_3gpuE5ELNS1_3repE0EEENS1_30default_config_static_selectorELNS0_4arch9wavefront6targetE1EEEvT1_,"axG",@progbits,_ZN7rocprim17ROCPRIM_400000_NS6detail17trampoline_kernelINS0_14default_configENS1_20scan_config_selectorIsEEZZNS1_9scan_implILNS1_25lookback_scan_determinismE0ELb0ELb1ES3_N6thrust23THRUST_200600_302600_NS6detail15normal_iteratorINS9_10device_ptrIsEEEESE_sNS9_4plusIsEEsEEDaPvRmT3_T4_T5_mT6_P12ihipStream_tbENKUlT_T0_E_clISt17integral_constantIbLb1EEST_IbLb0EEEEDaSP_SQ_EUlSP_E0_NS1_11comp_targetILNS1_3genE10ELNS1_11target_archE1201ELNS1_3gpuE5ELNS1_3repE0EEENS1_30default_config_static_selectorELNS0_4arch9wavefront6targetE1EEEvT1_,comdat
.Lfunc_end1317:
	.size	_ZN7rocprim17ROCPRIM_400000_NS6detail17trampoline_kernelINS0_14default_configENS1_20scan_config_selectorIsEEZZNS1_9scan_implILNS1_25lookback_scan_determinismE0ELb0ELb1ES3_N6thrust23THRUST_200600_302600_NS6detail15normal_iteratorINS9_10device_ptrIsEEEESE_sNS9_4plusIsEEsEEDaPvRmT3_T4_T5_mT6_P12ihipStream_tbENKUlT_T0_E_clISt17integral_constantIbLb1EEST_IbLb0EEEEDaSP_SQ_EUlSP_E0_NS1_11comp_targetILNS1_3genE10ELNS1_11target_archE1201ELNS1_3gpuE5ELNS1_3repE0EEENS1_30default_config_static_selectorELNS0_4arch9wavefront6targetE1EEEvT1_, .Lfunc_end1317-_ZN7rocprim17ROCPRIM_400000_NS6detail17trampoline_kernelINS0_14default_configENS1_20scan_config_selectorIsEEZZNS1_9scan_implILNS1_25lookback_scan_determinismE0ELb0ELb1ES3_N6thrust23THRUST_200600_302600_NS6detail15normal_iteratorINS9_10device_ptrIsEEEESE_sNS9_4plusIsEEsEEDaPvRmT3_T4_T5_mT6_P12ihipStream_tbENKUlT_T0_E_clISt17integral_constantIbLb1EEST_IbLb0EEEEDaSP_SQ_EUlSP_E0_NS1_11comp_targetILNS1_3genE10ELNS1_11target_archE1201ELNS1_3gpuE5ELNS1_3repE0EEENS1_30default_config_static_selectorELNS0_4arch9wavefront6targetE1EEEvT1_
                                        ; -- End function
	.section	.AMDGPU.csdata,"",@progbits
; Kernel info:
; codeLenInByte = 0
; NumSgprs: 4
; NumVgprs: 0
; NumAgprs: 0
; TotalNumVgprs: 0
; ScratchSize: 0
; MemoryBound: 0
; FloatMode: 240
; IeeeMode: 1
; LDSByteSize: 0 bytes/workgroup (compile time only)
; SGPRBlocks: 0
; VGPRBlocks: 0
; NumSGPRsForWavesPerEU: 4
; NumVGPRsForWavesPerEU: 1
; AccumOffset: 4
; Occupancy: 8
; WaveLimiterHint : 0
; COMPUTE_PGM_RSRC2:SCRATCH_EN: 0
; COMPUTE_PGM_RSRC2:USER_SGPR: 6
; COMPUTE_PGM_RSRC2:TRAP_HANDLER: 0
; COMPUTE_PGM_RSRC2:TGID_X_EN: 1
; COMPUTE_PGM_RSRC2:TGID_Y_EN: 0
; COMPUTE_PGM_RSRC2:TGID_Z_EN: 0
; COMPUTE_PGM_RSRC2:TIDIG_COMP_CNT: 0
; COMPUTE_PGM_RSRC3_GFX90A:ACCUM_OFFSET: 0
; COMPUTE_PGM_RSRC3_GFX90A:TG_SPLIT: 0
	.section	.text._ZN7rocprim17ROCPRIM_400000_NS6detail17trampoline_kernelINS0_14default_configENS1_20scan_config_selectorIsEEZZNS1_9scan_implILNS1_25lookback_scan_determinismE0ELb0ELb1ES3_N6thrust23THRUST_200600_302600_NS6detail15normal_iteratorINS9_10device_ptrIsEEEESE_sNS9_4plusIsEEsEEDaPvRmT3_T4_T5_mT6_P12ihipStream_tbENKUlT_T0_E_clISt17integral_constantIbLb1EEST_IbLb0EEEEDaSP_SQ_EUlSP_E0_NS1_11comp_targetILNS1_3genE10ELNS1_11target_archE1200ELNS1_3gpuE4ELNS1_3repE0EEENS1_30default_config_static_selectorELNS0_4arch9wavefront6targetE1EEEvT1_,"axG",@progbits,_ZN7rocprim17ROCPRIM_400000_NS6detail17trampoline_kernelINS0_14default_configENS1_20scan_config_selectorIsEEZZNS1_9scan_implILNS1_25lookback_scan_determinismE0ELb0ELb1ES3_N6thrust23THRUST_200600_302600_NS6detail15normal_iteratorINS9_10device_ptrIsEEEESE_sNS9_4plusIsEEsEEDaPvRmT3_T4_T5_mT6_P12ihipStream_tbENKUlT_T0_E_clISt17integral_constantIbLb1EEST_IbLb0EEEEDaSP_SQ_EUlSP_E0_NS1_11comp_targetILNS1_3genE10ELNS1_11target_archE1200ELNS1_3gpuE4ELNS1_3repE0EEENS1_30default_config_static_selectorELNS0_4arch9wavefront6targetE1EEEvT1_,comdat
	.protected	_ZN7rocprim17ROCPRIM_400000_NS6detail17trampoline_kernelINS0_14default_configENS1_20scan_config_selectorIsEEZZNS1_9scan_implILNS1_25lookback_scan_determinismE0ELb0ELb1ES3_N6thrust23THRUST_200600_302600_NS6detail15normal_iteratorINS9_10device_ptrIsEEEESE_sNS9_4plusIsEEsEEDaPvRmT3_T4_T5_mT6_P12ihipStream_tbENKUlT_T0_E_clISt17integral_constantIbLb1EEST_IbLb0EEEEDaSP_SQ_EUlSP_E0_NS1_11comp_targetILNS1_3genE10ELNS1_11target_archE1200ELNS1_3gpuE4ELNS1_3repE0EEENS1_30default_config_static_selectorELNS0_4arch9wavefront6targetE1EEEvT1_ ; -- Begin function _ZN7rocprim17ROCPRIM_400000_NS6detail17trampoline_kernelINS0_14default_configENS1_20scan_config_selectorIsEEZZNS1_9scan_implILNS1_25lookback_scan_determinismE0ELb0ELb1ES3_N6thrust23THRUST_200600_302600_NS6detail15normal_iteratorINS9_10device_ptrIsEEEESE_sNS9_4plusIsEEsEEDaPvRmT3_T4_T5_mT6_P12ihipStream_tbENKUlT_T0_E_clISt17integral_constantIbLb1EEST_IbLb0EEEEDaSP_SQ_EUlSP_E0_NS1_11comp_targetILNS1_3genE10ELNS1_11target_archE1200ELNS1_3gpuE4ELNS1_3repE0EEENS1_30default_config_static_selectorELNS0_4arch9wavefront6targetE1EEEvT1_
	.globl	_ZN7rocprim17ROCPRIM_400000_NS6detail17trampoline_kernelINS0_14default_configENS1_20scan_config_selectorIsEEZZNS1_9scan_implILNS1_25lookback_scan_determinismE0ELb0ELb1ES3_N6thrust23THRUST_200600_302600_NS6detail15normal_iteratorINS9_10device_ptrIsEEEESE_sNS9_4plusIsEEsEEDaPvRmT3_T4_T5_mT6_P12ihipStream_tbENKUlT_T0_E_clISt17integral_constantIbLb1EEST_IbLb0EEEEDaSP_SQ_EUlSP_E0_NS1_11comp_targetILNS1_3genE10ELNS1_11target_archE1200ELNS1_3gpuE4ELNS1_3repE0EEENS1_30default_config_static_selectorELNS0_4arch9wavefront6targetE1EEEvT1_
	.p2align	8
	.type	_ZN7rocprim17ROCPRIM_400000_NS6detail17trampoline_kernelINS0_14default_configENS1_20scan_config_selectorIsEEZZNS1_9scan_implILNS1_25lookback_scan_determinismE0ELb0ELb1ES3_N6thrust23THRUST_200600_302600_NS6detail15normal_iteratorINS9_10device_ptrIsEEEESE_sNS9_4plusIsEEsEEDaPvRmT3_T4_T5_mT6_P12ihipStream_tbENKUlT_T0_E_clISt17integral_constantIbLb1EEST_IbLb0EEEEDaSP_SQ_EUlSP_E0_NS1_11comp_targetILNS1_3genE10ELNS1_11target_archE1200ELNS1_3gpuE4ELNS1_3repE0EEENS1_30default_config_static_selectorELNS0_4arch9wavefront6targetE1EEEvT1_,@function
_ZN7rocprim17ROCPRIM_400000_NS6detail17trampoline_kernelINS0_14default_configENS1_20scan_config_selectorIsEEZZNS1_9scan_implILNS1_25lookback_scan_determinismE0ELb0ELb1ES3_N6thrust23THRUST_200600_302600_NS6detail15normal_iteratorINS9_10device_ptrIsEEEESE_sNS9_4plusIsEEsEEDaPvRmT3_T4_T5_mT6_P12ihipStream_tbENKUlT_T0_E_clISt17integral_constantIbLb1EEST_IbLb0EEEEDaSP_SQ_EUlSP_E0_NS1_11comp_targetILNS1_3genE10ELNS1_11target_archE1200ELNS1_3gpuE4ELNS1_3repE0EEENS1_30default_config_static_selectorELNS0_4arch9wavefront6targetE1EEEvT1_: ; @_ZN7rocprim17ROCPRIM_400000_NS6detail17trampoline_kernelINS0_14default_configENS1_20scan_config_selectorIsEEZZNS1_9scan_implILNS1_25lookback_scan_determinismE0ELb0ELb1ES3_N6thrust23THRUST_200600_302600_NS6detail15normal_iteratorINS9_10device_ptrIsEEEESE_sNS9_4plusIsEEsEEDaPvRmT3_T4_T5_mT6_P12ihipStream_tbENKUlT_T0_E_clISt17integral_constantIbLb1EEST_IbLb0EEEEDaSP_SQ_EUlSP_E0_NS1_11comp_targetILNS1_3genE10ELNS1_11target_archE1200ELNS1_3gpuE4ELNS1_3repE0EEENS1_30default_config_static_selectorELNS0_4arch9wavefront6targetE1EEEvT1_
; %bb.0:
	.section	.rodata,"a",@progbits
	.p2align	6, 0x0
	.amdhsa_kernel _ZN7rocprim17ROCPRIM_400000_NS6detail17trampoline_kernelINS0_14default_configENS1_20scan_config_selectorIsEEZZNS1_9scan_implILNS1_25lookback_scan_determinismE0ELb0ELb1ES3_N6thrust23THRUST_200600_302600_NS6detail15normal_iteratorINS9_10device_ptrIsEEEESE_sNS9_4plusIsEEsEEDaPvRmT3_T4_T5_mT6_P12ihipStream_tbENKUlT_T0_E_clISt17integral_constantIbLb1EEST_IbLb0EEEEDaSP_SQ_EUlSP_E0_NS1_11comp_targetILNS1_3genE10ELNS1_11target_archE1200ELNS1_3gpuE4ELNS1_3repE0EEENS1_30default_config_static_selectorELNS0_4arch9wavefront6targetE1EEEvT1_
		.amdhsa_group_segment_fixed_size 0
		.amdhsa_private_segment_fixed_size 0
		.amdhsa_kernarg_size 32
		.amdhsa_user_sgpr_count 6
		.amdhsa_user_sgpr_private_segment_buffer 1
		.amdhsa_user_sgpr_dispatch_ptr 0
		.amdhsa_user_sgpr_queue_ptr 0
		.amdhsa_user_sgpr_kernarg_segment_ptr 1
		.amdhsa_user_sgpr_dispatch_id 0
		.amdhsa_user_sgpr_flat_scratch_init 0
		.amdhsa_user_sgpr_kernarg_preload_length 0
		.amdhsa_user_sgpr_kernarg_preload_offset 0
		.amdhsa_user_sgpr_private_segment_size 0
		.amdhsa_uses_dynamic_stack 0
		.amdhsa_system_sgpr_private_segment_wavefront_offset 0
		.amdhsa_system_sgpr_workgroup_id_x 1
		.amdhsa_system_sgpr_workgroup_id_y 0
		.amdhsa_system_sgpr_workgroup_id_z 0
		.amdhsa_system_sgpr_workgroup_info 0
		.amdhsa_system_vgpr_workitem_id 0
		.amdhsa_next_free_vgpr 1
		.amdhsa_next_free_sgpr 0
		.amdhsa_accum_offset 4
		.amdhsa_reserve_vcc 0
		.amdhsa_reserve_flat_scratch 0
		.amdhsa_float_round_mode_32 0
		.amdhsa_float_round_mode_16_64 0
		.amdhsa_float_denorm_mode_32 3
		.amdhsa_float_denorm_mode_16_64 3
		.amdhsa_dx10_clamp 1
		.amdhsa_ieee_mode 1
		.amdhsa_fp16_overflow 0
		.amdhsa_tg_split 0
		.amdhsa_exception_fp_ieee_invalid_op 0
		.amdhsa_exception_fp_denorm_src 0
		.amdhsa_exception_fp_ieee_div_zero 0
		.amdhsa_exception_fp_ieee_overflow 0
		.amdhsa_exception_fp_ieee_underflow 0
		.amdhsa_exception_fp_ieee_inexact 0
		.amdhsa_exception_int_div_zero 0
	.end_amdhsa_kernel
	.section	.text._ZN7rocprim17ROCPRIM_400000_NS6detail17trampoline_kernelINS0_14default_configENS1_20scan_config_selectorIsEEZZNS1_9scan_implILNS1_25lookback_scan_determinismE0ELb0ELb1ES3_N6thrust23THRUST_200600_302600_NS6detail15normal_iteratorINS9_10device_ptrIsEEEESE_sNS9_4plusIsEEsEEDaPvRmT3_T4_T5_mT6_P12ihipStream_tbENKUlT_T0_E_clISt17integral_constantIbLb1EEST_IbLb0EEEEDaSP_SQ_EUlSP_E0_NS1_11comp_targetILNS1_3genE10ELNS1_11target_archE1200ELNS1_3gpuE4ELNS1_3repE0EEENS1_30default_config_static_selectorELNS0_4arch9wavefront6targetE1EEEvT1_,"axG",@progbits,_ZN7rocprim17ROCPRIM_400000_NS6detail17trampoline_kernelINS0_14default_configENS1_20scan_config_selectorIsEEZZNS1_9scan_implILNS1_25lookback_scan_determinismE0ELb0ELb1ES3_N6thrust23THRUST_200600_302600_NS6detail15normal_iteratorINS9_10device_ptrIsEEEESE_sNS9_4plusIsEEsEEDaPvRmT3_T4_T5_mT6_P12ihipStream_tbENKUlT_T0_E_clISt17integral_constantIbLb1EEST_IbLb0EEEEDaSP_SQ_EUlSP_E0_NS1_11comp_targetILNS1_3genE10ELNS1_11target_archE1200ELNS1_3gpuE4ELNS1_3repE0EEENS1_30default_config_static_selectorELNS0_4arch9wavefront6targetE1EEEvT1_,comdat
.Lfunc_end1318:
	.size	_ZN7rocprim17ROCPRIM_400000_NS6detail17trampoline_kernelINS0_14default_configENS1_20scan_config_selectorIsEEZZNS1_9scan_implILNS1_25lookback_scan_determinismE0ELb0ELb1ES3_N6thrust23THRUST_200600_302600_NS6detail15normal_iteratorINS9_10device_ptrIsEEEESE_sNS9_4plusIsEEsEEDaPvRmT3_T4_T5_mT6_P12ihipStream_tbENKUlT_T0_E_clISt17integral_constantIbLb1EEST_IbLb0EEEEDaSP_SQ_EUlSP_E0_NS1_11comp_targetILNS1_3genE10ELNS1_11target_archE1200ELNS1_3gpuE4ELNS1_3repE0EEENS1_30default_config_static_selectorELNS0_4arch9wavefront6targetE1EEEvT1_, .Lfunc_end1318-_ZN7rocprim17ROCPRIM_400000_NS6detail17trampoline_kernelINS0_14default_configENS1_20scan_config_selectorIsEEZZNS1_9scan_implILNS1_25lookback_scan_determinismE0ELb0ELb1ES3_N6thrust23THRUST_200600_302600_NS6detail15normal_iteratorINS9_10device_ptrIsEEEESE_sNS9_4plusIsEEsEEDaPvRmT3_T4_T5_mT6_P12ihipStream_tbENKUlT_T0_E_clISt17integral_constantIbLb1EEST_IbLb0EEEEDaSP_SQ_EUlSP_E0_NS1_11comp_targetILNS1_3genE10ELNS1_11target_archE1200ELNS1_3gpuE4ELNS1_3repE0EEENS1_30default_config_static_selectorELNS0_4arch9wavefront6targetE1EEEvT1_
                                        ; -- End function
	.section	.AMDGPU.csdata,"",@progbits
; Kernel info:
; codeLenInByte = 0
; NumSgprs: 4
; NumVgprs: 0
; NumAgprs: 0
; TotalNumVgprs: 0
; ScratchSize: 0
; MemoryBound: 0
; FloatMode: 240
; IeeeMode: 1
; LDSByteSize: 0 bytes/workgroup (compile time only)
; SGPRBlocks: 0
; VGPRBlocks: 0
; NumSGPRsForWavesPerEU: 4
; NumVGPRsForWavesPerEU: 1
; AccumOffset: 4
; Occupancy: 8
; WaveLimiterHint : 0
; COMPUTE_PGM_RSRC2:SCRATCH_EN: 0
; COMPUTE_PGM_RSRC2:USER_SGPR: 6
; COMPUTE_PGM_RSRC2:TRAP_HANDLER: 0
; COMPUTE_PGM_RSRC2:TGID_X_EN: 1
; COMPUTE_PGM_RSRC2:TGID_Y_EN: 0
; COMPUTE_PGM_RSRC2:TGID_Z_EN: 0
; COMPUTE_PGM_RSRC2:TIDIG_COMP_CNT: 0
; COMPUTE_PGM_RSRC3_GFX90A:ACCUM_OFFSET: 0
; COMPUTE_PGM_RSRC3_GFX90A:TG_SPLIT: 0
	.section	.text._ZN7rocprim17ROCPRIM_400000_NS6detail17trampoline_kernelINS0_14default_configENS1_20scan_config_selectorIsEEZZNS1_9scan_implILNS1_25lookback_scan_determinismE0ELb0ELb1ES3_N6thrust23THRUST_200600_302600_NS6detail15normal_iteratorINS9_10device_ptrIsEEEESE_sNS9_4plusIsEEsEEDaPvRmT3_T4_T5_mT6_P12ihipStream_tbENKUlT_T0_E_clISt17integral_constantIbLb1EEST_IbLb0EEEEDaSP_SQ_EUlSP_E0_NS1_11comp_targetILNS1_3genE9ELNS1_11target_archE1100ELNS1_3gpuE3ELNS1_3repE0EEENS1_30default_config_static_selectorELNS0_4arch9wavefront6targetE1EEEvT1_,"axG",@progbits,_ZN7rocprim17ROCPRIM_400000_NS6detail17trampoline_kernelINS0_14default_configENS1_20scan_config_selectorIsEEZZNS1_9scan_implILNS1_25lookback_scan_determinismE0ELb0ELb1ES3_N6thrust23THRUST_200600_302600_NS6detail15normal_iteratorINS9_10device_ptrIsEEEESE_sNS9_4plusIsEEsEEDaPvRmT3_T4_T5_mT6_P12ihipStream_tbENKUlT_T0_E_clISt17integral_constantIbLb1EEST_IbLb0EEEEDaSP_SQ_EUlSP_E0_NS1_11comp_targetILNS1_3genE9ELNS1_11target_archE1100ELNS1_3gpuE3ELNS1_3repE0EEENS1_30default_config_static_selectorELNS0_4arch9wavefront6targetE1EEEvT1_,comdat
	.protected	_ZN7rocprim17ROCPRIM_400000_NS6detail17trampoline_kernelINS0_14default_configENS1_20scan_config_selectorIsEEZZNS1_9scan_implILNS1_25lookback_scan_determinismE0ELb0ELb1ES3_N6thrust23THRUST_200600_302600_NS6detail15normal_iteratorINS9_10device_ptrIsEEEESE_sNS9_4plusIsEEsEEDaPvRmT3_T4_T5_mT6_P12ihipStream_tbENKUlT_T0_E_clISt17integral_constantIbLb1EEST_IbLb0EEEEDaSP_SQ_EUlSP_E0_NS1_11comp_targetILNS1_3genE9ELNS1_11target_archE1100ELNS1_3gpuE3ELNS1_3repE0EEENS1_30default_config_static_selectorELNS0_4arch9wavefront6targetE1EEEvT1_ ; -- Begin function _ZN7rocprim17ROCPRIM_400000_NS6detail17trampoline_kernelINS0_14default_configENS1_20scan_config_selectorIsEEZZNS1_9scan_implILNS1_25lookback_scan_determinismE0ELb0ELb1ES3_N6thrust23THRUST_200600_302600_NS6detail15normal_iteratorINS9_10device_ptrIsEEEESE_sNS9_4plusIsEEsEEDaPvRmT3_T4_T5_mT6_P12ihipStream_tbENKUlT_T0_E_clISt17integral_constantIbLb1EEST_IbLb0EEEEDaSP_SQ_EUlSP_E0_NS1_11comp_targetILNS1_3genE9ELNS1_11target_archE1100ELNS1_3gpuE3ELNS1_3repE0EEENS1_30default_config_static_selectorELNS0_4arch9wavefront6targetE1EEEvT1_
	.globl	_ZN7rocprim17ROCPRIM_400000_NS6detail17trampoline_kernelINS0_14default_configENS1_20scan_config_selectorIsEEZZNS1_9scan_implILNS1_25lookback_scan_determinismE0ELb0ELb1ES3_N6thrust23THRUST_200600_302600_NS6detail15normal_iteratorINS9_10device_ptrIsEEEESE_sNS9_4plusIsEEsEEDaPvRmT3_T4_T5_mT6_P12ihipStream_tbENKUlT_T0_E_clISt17integral_constantIbLb1EEST_IbLb0EEEEDaSP_SQ_EUlSP_E0_NS1_11comp_targetILNS1_3genE9ELNS1_11target_archE1100ELNS1_3gpuE3ELNS1_3repE0EEENS1_30default_config_static_selectorELNS0_4arch9wavefront6targetE1EEEvT1_
	.p2align	8
	.type	_ZN7rocprim17ROCPRIM_400000_NS6detail17trampoline_kernelINS0_14default_configENS1_20scan_config_selectorIsEEZZNS1_9scan_implILNS1_25lookback_scan_determinismE0ELb0ELb1ES3_N6thrust23THRUST_200600_302600_NS6detail15normal_iteratorINS9_10device_ptrIsEEEESE_sNS9_4plusIsEEsEEDaPvRmT3_T4_T5_mT6_P12ihipStream_tbENKUlT_T0_E_clISt17integral_constantIbLb1EEST_IbLb0EEEEDaSP_SQ_EUlSP_E0_NS1_11comp_targetILNS1_3genE9ELNS1_11target_archE1100ELNS1_3gpuE3ELNS1_3repE0EEENS1_30default_config_static_selectorELNS0_4arch9wavefront6targetE1EEEvT1_,@function
_ZN7rocprim17ROCPRIM_400000_NS6detail17trampoline_kernelINS0_14default_configENS1_20scan_config_selectorIsEEZZNS1_9scan_implILNS1_25lookback_scan_determinismE0ELb0ELb1ES3_N6thrust23THRUST_200600_302600_NS6detail15normal_iteratorINS9_10device_ptrIsEEEESE_sNS9_4plusIsEEsEEDaPvRmT3_T4_T5_mT6_P12ihipStream_tbENKUlT_T0_E_clISt17integral_constantIbLb1EEST_IbLb0EEEEDaSP_SQ_EUlSP_E0_NS1_11comp_targetILNS1_3genE9ELNS1_11target_archE1100ELNS1_3gpuE3ELNS1_3repE0EEENS1_30default_config_static_selectorELNS0_4arch9wavefront6targetE1EEEvT1_: ; @_ZN7rocprim17ROCPRIM_400000_NS6detail17trampoline_kernelINS0_14default_configENS1_20scan_config_selectorIsEEZZNS1_9scan_implILNS1_25lookback_scan_determinismE0ELb0ELb1ES3_N6thrust23THRUST_200600_302600_NS6detail15normal_iteratorINS9_10device_ptrIsEEEESE_sNS9_4plusIsEEsEEDaPvRmT3_T4_T5_mT6_P12ihipStream_tbENKUlT_T0_E_clISt17integral_constantIbLb1EEST_IbLb0EEEEDaSP_SQ_EUlSP_E0_NS1_11comp_targetILNS1_3genE9ELNS1_11target_archE1100ELNS1_3gpuE3ELNS1_3repE0EEENS1_30default_config_static_selectorELNS0_4arch9wavefront6targetE1EEEvT1_
; %bb.0:
	.section	.rodata,"a",@progbits
	.p2align	6, 0x0
	.amdhsa_kernel _ZN7rocprim17ROCPRIM_400000_NS6detail17trampoline_kernelINS0_14default_configENS1_20scan_config_selectorIsEEZZNS1_9scan_implILNS1_25lookback_scan_determinismE0ELb0ELb1ES3_N6thrust23THRUST_200600_302600_NS6detail15normal_iteratorINS9_10device_ptrIsEEEESE_sNS9_4plusIsEEsEEDaPvRmT3_T4_T5_mT6_P12ihipStream_tbENKUlT_T0_E_clISt17integral_constantIbLb1EEST_IbLb0EEEEDaSP_SQ_EUlSP_E0_NS1_11comp_targetILNS1_3genE9ELNS1_11target_archE1100ELNS1_3gpuE3ELNS1_3repE0EEENS1_30default_config_static_selectorELNS0_4arch9wavefront6targetE1EEEvT1_
		.amdhsa_group_segment_fixed_size 0
		.amdhsa_private_segment_fixed_size 0
		.amdhsa_kernarg_size 32
		.amdhsa_user_sgpr_count 6
		.amdhsa_user_sgpr_private_segment_buffer 1
		.amdhsa_user_sgpr_dispatch_ptr 0
		.amdhsa_user_sgpr_queue_ptr 0
		.amdhsa_user_sgpr_kernarg_segment_ptr 1
		.amdhsa_user_sgpr_dispatch_id 0
		.amdhsa_user_sgpr_flat_scratch_init 0
		.amdhsa_user_sgpr_kernarg_preload_length 0
		.amdhsa_user_sgpr_kernarg_preload_offset 0
		.amdhsa_user_sgpr_private_segment_size 0
		.amdhsa_uses_dynamic_stack 0
		.amdhsa_system_sgpr_private_segment_wavefront_offset 0
		.amdhsa_system_sgpr_workgroup_id_x 1
		.amdhsa_system_sgpr_workgroup_id_y 0
		.amdhsa_system_sgpr_workgroup_id_z 0
		.amdhsa_system_sgpr_workgroup_info 0
		.amdhsa_system_vgpr_workitem_id 0
		.amdhsa_next_free_vgpr 1
		.amdhsa_next_free_sgpr 0
		.amdhsa_accum_offset 4
		.amdhsa_reserve_vcc 0
		.amdhsa_reserve_flat_scratch 0
		.amdhsa_float_round_mode_32 0
		.amdhsa_float_round_mode_16_64 0
		.amdhsa_float_denorm_mode_32 3
		.amdhsa_float_denorm_mode_16_64 3
		.amdhsa_dx10_clamp 1
		.amdhsa_ieee_mode 1
		.amdhsa_fp16_overflow 0
		.amdhsa_tg_split 0
		.amdhsa_exception_fp_ieee_invalid_op 0
		.amdhsa_exception_fp_denorm_src 0
		.amdhsa_exception_fp_ieee_div_zero 0
		.amdhsa_exception_fp_ieee_overflow 0
		.amdhsa_exception_fp_ieee_underflow 0
		.amdhsa_exception_fp_ieee_inexact 0
		.amdhsa_exception_int_div_zero 0
	.end_amdhsa_kernel
	.section	.text._ZN7rocprim17ROCPRIM_400000_NS6detail17trampoline_kernelINS0_14default_configENS1_20scan_config_selectorIsEEZZNS1_9scan_implILNS1_25lookback_scan_determinismE0ELb0ELb1ES3_N6thrust23THRUST_200600_302600_NS6detail15normal_iteratorINS9_10device_ptrIsEEEESE_sNS9_4plusIsEEsEEDaPvRmT3_T4_T5_mT6_P12ihipStream_tbENKUlT_T0_E_clISt17integral_constantIbLb1EEST_IbLb0EEEEDaSP_SQ_EUlSP_E0_NS1_11comp_targetILNS1_3genE9ELNS1_11target_archE1100ELNS1_3gpuE3ELNS1_3repE0EEENS1_30default_config_static_selectorELNS0_4arch9wavefront6targetE1EEEvT1_,"axG",@progbits,_ZN7rocprim17ROCPRIM_400000_NS6detail17trampoline_kernelINS0_14default_configENS1_20scan_config_selectorIsEEZZNS1_9scan_implILNS1_25lookback_scan_determinismE0ELb0ELb1ES3_N6thrust23THRUST_200600_302600_NS6detail15normal_iteratorINS9_10device_ptrIsEEEESE_sNS9_4plusIsEEsEEDaPvRmT3_T4_T5_mT6_P12ihipStream_tbENKUlT_T0_E_clISt17integral_constantIbLb1EEST_IbLb0EEEEDaSP_SQ_EUlSP_E0_NS1_11comp_targetILNS1_3genE9ELNS1_11target_archE1100ELNS1_3gpuE3ELNS1_3repE0EEENS1_30default_config_static_selectorELNS0_4arch9wavefront6targetE1EEEvT1_,comdat
.Lfunc_end1319:
	.size	_ZN7rocprim17ROCPRIM_400000_NS6detail17trampoline_kernelINS0_14default_configENS1_20scan_config_selectorIsEEZZNS1_9scan_implILNS1_25lookback_scan_determinismE0ELb0ELb1ES3_N6thrust23THRUST_200600_302600_NS6detail15normal_iteratorINS9_10device_ptrIsEEEESE_sNS9_4plusIsEEsEEDaPvRmT3_T4_T5_mT6_P12ihipStream_tbENKUlT_T0_E_clISt17integral_constantIbLb1EEST_IbLb0EEEEDaSP_SQ_EUlSP_E0_NS1_11comp_targetILNS1_3genE9ELNS1_11target_archE1100ELNS1_3gpuE3ELNS1_3repE0EEENS1_30default_config_static_selectorELNS0_4arch9wavefront6targetE1EEEvT1_, .Lfunc_end1319-_ZN7rocprim17ROCPRIM_400000_NS6detail17trampoline_kernelINS0_14default_configENS1_20scan_config_selectorIsEEZZNS1_9scan_implILNS1_25lookback_scan_determinismE0ELb0ELb1ES3_N6thrust23THRUST_200600_302600_NS6detail15normal_iteratorINS9_10device_ptrIsEEEESE_sNS9_4plusIsEEsEEDaPvRmT3_T4_T5_mT6_P12ihipStream_tbENKUlT_T0_E_clISt17integral_constantIbLb1EEST_IbLb0EEEEDaSP_SQ_EUlSP_E0_NS1_11comp_targetILNS1_3genE9ELNS1_11target_archE1100ELNS1_3gpuE3ELNS1_3repE0EEENS1_30default_config_static_selectorELNS0_4arch9wavefront6targetE1EEEvT1_
                                        ; -- End function
	.section	.AMDGPU.csdata,"",@progbits
; Kernel info:
; codeLenInByte = 0
; NumSgprs: 4
; NumVgprs: 0
; NumAgprs: 0
; TotalNumVgprs: 0
; ScratchSize: 0
; MemoryBound: 0
; FloatMode: 240
; IeeeMode: 1
; LDSByteSize: 0 bytes/workgroup (compile time only)
; SGPRBlocks: 0
; VGPRBlocks: 0
; NumSGPRsForWavesPerEU: 4
; NumVGPRsForWavesPerEU: 1
; AccumOffset: 4
; Occupancy: 8
; WaveLimiterHint : 0
; COMPUTE_PGM_RSRC2:SCRATCH_EN: 0
; COMPUTE_PGM_RSRC2:USER_SGPR: 6
; COMPUTE_PGM_RSRC2:TRAP_HANDLER: 0
; COMPUTE_PGM_RSRC2:TGID_X_EN: 1
; COMPUTE_PGM_RSRC2:TGID_Y_EN: 0
; COMPUTE_PGM_RSRC2:TGID_Z_EN: 0
; COMPUTE_PGM_RSRC2:TIDIG_COMP_CNT: 0
; COMPUTE_PGM_RSRC3_GFX90A:ACCUM_OFFSET: 0
; COMPUTE_PGM_RSRC3_GFX90A:TG_SPLIT: 0
	.section	.text._ZN7rocprim17ROCPRIM_400000_NS6detail17trampoline_kernelINS0_14default_configENS1_20scan_config_selectorIsEEZZNS1_9scan_implILNS1_25lookback_scan_determinismE0ELb0ELb1ES3_N6thrust23THRUST_200600_302600_NS6detail15normal_iteratorINS9_10device_ptrIsEEEESE_sNS9_4plusIsEEsEEDaPvRmT3_T4_T5_mT6_P12ihipStream_tbENKUlT_T0_E_clISt17integral_constantIbLb1EEST_IbLb0EEEEDaSP_SQ_EUlSP_E0_NS1_11comp_targetILNS1_3genE8ELNS1_11target_archE1030ELNS1_3gpuE2ELNS1_3repE0EEENS1_30default_config_static_selectorELNS0_4arch9wavefront6targetE1EEEvT1_,"axG",@progbits,_ZN7rocprim17ROCPRIM_400000_NS6detail17trampoline_kernelINS0_14default_configENS1_20scan_config_selectorIsEEZZNS1_9scan_implILNS1_25lookback_scan_determinismE0ELb0ELb1ES3_N6thrust23THRUST_200600_302600_NS6detail15normal_iteratorINS9_10device_ptrIsEEEESE_sNS9_4plusIsEEsEEDaPvRmT3_T4_T5_mT6_P12ihipStream_tbENKUlT_T0_E_clISt17integral_constantIbLb1EEST_IbLb0EEEEDaSP_SQ_EUlSP_E0_NS1_11comp_targetILNS1_3genE8ELNS1_11target_archE1030ELNS1_3gpuE2ELNS1_3repE0EEENS1_30default_config_static_selectorELNS0_4arch9wavefront6targetE1EEEvT1_,comdat
	.protected	_ZN7rocprim17ROCPRIM_400000_NS6detail17trampoline_kernelINS0_14default_configENS1_20scan_config_selectorIsEEZZNS1_9scan_implILNS1_25lookback_scan_determinismE0ELb0ELb1ES3_N6thrust23THRUST_200600_302600_NS6detail15normal_iteratorINS9_10device_ptrIsEEEESE_sNS9_4plusIsEEsEEDaPvRmT3_T4_T5_mT6_P12ihipStream_tbENKUlT_T0_E_clISt17integral_constantIbLb1EEST_IbLb0EEEEDaSP_SQ_EUlSP_E0_NS1_11comp_targetILNS1_3genE8ELNS1_11target_archE1030ELNS1_3gpuE2ELNS1_3repE0EEENS1_30default_config_static_selectorELNS0_4arch9wavefront6targetE1EEEvT1_ ; -- Begin function _ZN7rocprim17ROCPRIM_400000_NS6detail17trampoline_kernelINS0_14default_configENS1_20scan_config_selectorIsEEZZNS1_9scan_implILNS1_25lookback_scan_determinismE0ELb0ELb1ES3_N6thrust23THRUST_200600_302600_NS6detail15normal_iteratorINS9_10device_ptrIsEEEESE_sNS9_4plusIsEEsEEDaPvRmT3_T4_T5_mT6_P12ihipStream_tbENKUlT_T0_E_clISt17integral_constantIbLb1EEST_IbLb0EEEEDaSP_SQ_EUlSP_E0_NS1_11comp_targetILNS1_3genE8ELNS1_11target_archE1030ELNS1_3gpuE2ELNS1_3repE0EEENS1_30default_config_static_selectorELNS0_4arch9wavefront6targetE1EEEvT1_
	.globl	_ZN7rocprim17ROCPRIM_400000_NS6detail17trampoline_kernelINS0_14default_configENS1_20scan_config_selectorIsEEZZNS1_9scan_implILNS1_25lookback_scan_determinismE0ELb0ELb1ES3_N6thrust23THRUST_200600_302600_NS6detail15normal_iteratorINS9_10device_ptrIsEEEESE_sNS9_4plusIsEEsEEDaPvRmT3_T4_T5_mT6_P12ihipStream_tbENKUlT_T0_E_clISt17integral_constantIbLb1EEST_IbLb0EEEEDaSP_SQ_EUlSP_E0_NS1_11comp_targetILNS1_3genE8ELNS1_11target_archE1030ELNS1_3gpuE2ELNS1_3repE0EEENS1_30default_config_static_selectorELNS0_4arch9wavefront6targetE1EEEvT1_
	.p2align	8
	.type	_ZN7rocprim17ROCPRIM_400000_NS6detail17trampoline_kernelINS0_14default_configENS1_20scan_config_selectorIsEEZZNS1_9scan_implILNS1_25lookback_scan_determinismE0ELb0ELb1ES3_N6thrust23THRUST_200600_302600_NS6detail15normal_iteratorINS9_10device_ptrIsEEEESE_sNS9_4plusIsEEsEEDaPvRmT3_T4_T5_mT6_P12ihipStream_tbENKUlT_T0_E_clISt17integral_constantIbLb1EEST_IbLb0EEEEDaSP_SQ_EUlSP_E0_NS1_11comp_targetILNS1_3genE8ELNS1_11target_archE1030ELNS1_3gpuE2ELNS1_3repE0EEENS1_30default_config_static_selectorELNS0_4arch9wavefront6targetE1EEEvT1_,@function
_ZN7rocprim17ROCPRIM_400000_NS6detail17trampoline_kernelINS0_14default_configENS1_20scan_config_selectorIsEEZZNS1_9scan_implILNS1_25lookback_scan_determinismE0ELb0ELb1ES3_N6thrust23THRUST_200600_302600_NS6detail15normal_iteratorINS9_10device_ptrIsEEEESE_sNS9_4plusIsEEsEEDaPvRmT3_T4_T5_mT6_P12ihipStream_tbENKUlT_T0_E_clISt17integral_constantIbLb1EEST_IbLb0EEEEDaSP_SQ_EUlSP_E0_NS1_11comp_targetILNS1_3genE8ELNS1_11target_archE1030ELNS1_3gpuE2ELNS1_3repE0EEENS1_30default_config_static_selectorELNS0_4arch9wavefront6targetE1EEEvT1_: ; @_ZN7rocprim17ROCPRIM_400000_NS6detail17trampoline_kernelINS0_14default_configENS1_20scan_config_selectorIsEEZZNS1_9scan_implILNS1_25lookback_scan_determinismE0ELb0ELb1ES3_N6thrust23THRUST_200600_302600_NS6detail15normal_iteratorINS9_10device_ptrIsEEEESE_sNS9_4plusIsEEsEEDaPvRmT3_T4_T5_mT6_P12ihipStream_tbENKUlT_T0_E_clISt17integral_constantIbLb1EEST_IbLb0EEEEDaSP_SQ_EUlSP_E0_NS1_11comp_targetILNS1_3genE8ELNS1_11target_archE1030ELNS1_3gpuE2ELNS1_3repE0EEENS1_30default_config_static_selectorELNS0_4arch9wavefront6targetE1EEEvT1_
; %bb.0:
	.section	.rodata,"a",@progbits
	.p2align	6, 0x0
	.amdhsa_kernel _ZN7rocprim17ROCPRIM_400000_NS6detail17trampoline_kernelINS0_14default_configENS1_20scan_config_selectorIsEEZZNS1_9scan_implILNS1_25lookback_scan_determinismE0ELb0ELb1ES3_N6thrust23THRUST_200600_302600_NS6detail15normal_iteratorINS9_10device_ptrIsEEEESE_sNS9_4plusIsEEsEEDaPvRmT3_T4_T5_mT6_P12ihipStream_tbENKUlT_T0_E_clISt17integral_constantIbLb1EEST_IbLb0EEEEDaSP_SQ_EUlSP_E0_NS1_11comp_targetILNS1_3genE8ELNS1_11target_archE1030ELNS1_3gpuE2ELNS1_3repE0EEENS1_30default_config_static_selectorELNS0_4arch9wavefront6targetE1EEEvT1_
		.amdhsa_group_segment_fixed_size 0
		.amdhsa_private_segment_fixed_size 0
		.amdhsa_kernarg_size 32
		.amdhsa_user_sgpr_count 6
		.amdhsa_user_sgpr_private_segment_buffer 1
		.amdhsa_user_sgpr_dispatch_ptr 0
		.amdhsa_user_sgpr_queue_ptr 0
		.amdhsa_user_sgpr_kernarg_segment_ptr 1
		.amdhsa_user_sgpr_dispatch_id 0
		.amdhsa_user_sgpr_flat_scratch_init 0
		.amdhsa_user_sgpr_kernarg_preload_length 0
		.amdhsa_user_sgpr_kernarg_preload_offset 0
		.amdhsa_user_sgpr_private_segment_size 0
		.amdhsa_uses_dynamic_stack 0
		.amdhsa_system_sgpr_private_segment_wavefront_offset 0
		.amdhsa_system_sgpr_workgroup_id_x 1
		.amdhsa_system_sgpr_workgroup_id_y 0
		.amdhsa_system_sgpr_workgroup_id_z 0
		.amdhsa_system_sgpr_workgroup_info 0
		.amdhsa_system_vgpr_workitem_id 0
		.amdhsa_next_free_vgpr 1
		.amdhsa_next_free_sgpr 0
		.amdhsa_accum_offset 4
		.amdhsa_reserve_vcc 0
		.amdhsa_reserve_flat_scratch 0
		.amdhsa_float_round_mode_32 0
		.amdhsa_float_round_mode_16_64 0
		.amdhsa_float_denorm_mode_32 3
		.amdhsa_float_denorm_mode_16_64 3
		.amdhsa_dx10_clamp 1
		.amdhsa_ieee_mode 1
		.amdhsa_fp16_overflow 0
		.amdhsa_tg_split 0
		.amdhsa_exception_fp_ieee_invalid_op 0
		.amdhsa_exception_fp_denorm_src 0
		.amdhsa_exception_fp_ieee_div_zero 0
		.amdhsa_exception_fp_ieee_overflow 0
		.amdhsa_exception_fp_ieee_underflow 0
		.amdhsa_exception_fp_ieee_inexact 0
		.amdhsa_exception_int_div_zero 0
	.end_amdhsa_kernel
	.section	.text._ZN7rocprim17ROCPRIM_400000_NS6detail17trampoline_kernelINS0_14default_configENS1_20scan_config_selectorIsEEZZNS1_9scan_implILNS1_25lookback_scan_determinismE0ELb0ELb1ES3_N6thrust23THRUST_200600_302600_NS6detail15normal_iteratorINS9_10device_ptrIsEEEESE_sNS9_4plusIsEEsEEDaPvRmT3_T4_T5_mT6_P12ihipStream_tbENKUlT_T0_E_clISt17integral_constantIbLb1EEST_IbLb0EEEEDaSP_SQ_EUlSP_E0_NS1_11comp_targetILNS1_3genE8ELNS1_11target_archE1030ELNS1_3gpuE2ELNS1_3repE0EEENS1_30default_config_static_selectorELNS0_4arch9wavefront6targetE1EEEvT1_,"axG",@progbits,_ZN7rocprim17ROCPRIM_400000_NS6detail17trampoline_kernelINS0_14default_configENS1_20scan_config_selectorIsEEZZNS1_9scan_implILNS1_25lookback_scan_determinismE0ELb0ELb1ES3_N6thrust23THRUST_200600_302600_NS6detail15normal_iteratorINS9_10device_ptrIsEEEESE_sNS9_4plusIsEEsEEDaPvRmT3_T4_T5_mT6_P12ihipStream_tbENKUlT_T0_E_clISt17integral_constantIbLb1EEST_IbLb0EEEEDaSP_SQ_EUlSP_E0_NS1_11comp_targetILNS1_3genE8ELNS1_11target_archE1030ELNS1_3gpuE2ELNS1_3repE0EEENS1_30default_config_static_selectorELNS0_4arch9wavefront6targetE1EEEvT1_,comdat
.Lfunc_end1320:
	.size	_ZN7rocprim17ROCPRIM_400000_NS6detail17trampoline_kernelINS0_14default_configENS1_20scan_config_selectorIsEEZZNS1_9scan_implILNS1_25lookback_scan_determinismE0ELb0ELb1ES3_N6thrust23THRUST_200600_302600_NS6detail15normal_iteratorINS9_10device_ptrIsEEEESE_sNS9_4plusIsEEsEEDaPvRmT3_T4_T5_mT6_P12ihipStream_tbENKUlT_T0_E_clISt17integral_constantIbLb1EEST_IbLb0EEEEDaSP_SQ_EUlSP_E0_NS1_11comp_targetILNS1_3genE8ELNS1_11target_archE1030ELNS1_3gpuE2ELNS1_3repE0EEENS1_30default_config_static_selectorELNS0_4arch9wavefront6targetE1EEEvT1_, .Lfunc_end1320-_ZN7rocprim17ROCPRIM_400000_NS6detail17trampoline_kernelINS0_14default_configENS1_20scan_config_selectorIsEEZZNS1_9scan_implILNS1_25lookback_scan_determinismE0ELb0ELb1ES3_N6thrust23THRUST_200600_302600_NS6detail15normal_iteratorINS9_10device_ptrIsEEEESE_sNS9_4plusIsEEsEEDaPvRmT3_T4_T5_mT6_P12ihipStream_tbENKUlT_T0_E_clISt17integral_constantIbLb1EEST_IbLb0EEEEDaSP_SQ_EUlSP_E0_NS1_11comp_targetILNS1_3genE8ELNS1_11target_archE1030ELNS1_3gpuE2ELNS1_3repE0EEENS1_30default_config_static_selectorELNS0_4arch9wavefront6targetE1EEEvT1_
                                        ; -- End function
	.section	.AMDGPU.csdata,"",@progbits
; Kernel info:
; codeLenInByte = 0
; NumSgprs: 4
; NumVgprs: 0
; NumAgprs: 0
; TotalNumVgprs: 0
; ScratchSize: 0
; MemoryBound: 0
; FloatMode: 240
; IeeeMode: 1
; LDSByteSize: 0 bytes/workgroup (compile time only)
; SGPRBlocks: 0
; VGPRBlocks: 0
; NumSGPRsForWavesPerEU: 4
; NumVGPRsForWavesPerEU: 1
; AccumOffset: 4
; Occupancy: 8
; WaveLimiterHint : 0
; COMPUTE_PGM_RSRC2:SCRATCH_EN: 0
; COMPUTE_PGM_RSRC2:USER_SGPR: 6
; COMPUTE_PGM_RSRC2:TRAP_HANDLER: 0
; COMPUTE_PGM_RSRC2:TGID_X_EN: 1
; COMPUTE_PGM_RSRC2:TGID_Y_EN: 0
; COMPUTE_PGM_RSRC2:TGID_Z_EN: 0
; COMPUTE_PGM_RSRC2:TIDIG_COMP_CNT: 0
; COMPUTE_PGM_RSRC3_GFX90A:ACCUM_OFFSET: 0
; COMPUTE_PGM_RSRC3_GFX90A:TG_SPLIT: 0
	.section	.text._ZN7rocprim17ROCPRIM_400000_NS6detail17trampoline_kernelINS0_14default_configENS1_20scan_config_selectorIsEEZZNS1_9scan_implILNS1_25lookback_scan_determinismE0ELb0ELb1ES3_N6thrust23THRUST_200600_302600_NS6detail15normal_iteratorINS9_10device_ptrIsEEEESE_sNS9_4plusIsEEsEEDaPvRmT3_T4_T5_mT6_P12ihipStream_tbENKUlT_T0_E_clISt17integral_constantIbLb0EEST_IbLb1EEEEDaSP_SQ_EUlSP_E_NS1_11comp_targetILNS1_3genE0ELNS1_11target_archE4294967295ELNS1_3gpuE0ELNS1_3repE0EEENS1_30default_config_static_selectorELNS0_4arch9wavefront6targetE1EEEvT1_,"axG",@progbits,_ZN7rocprim17ROCPRIM_400000_NS6detail17trampoline_kernelINS0_14default_configENS1_20scan_config_selectorIsEEZZNS1_9scan_implILNS1_25lookback_scan_determinismE0ELb0ELb1ES3_N6thrust23THRUST_200600_302600_NS6detail15normal_iteratorINS9_10device_ptrIsEEEESE_sNS9_4plusIsEEsEEDaPvRmT3_T4_T5_mT6_P12ihipStream_tbENKUlT_T0_E_clISt17integral_constantIbLb0EEST_IbLb1EEEEDaSP_SQ_EUlSP_E_NS1_11comp_targetILNS1_3genE0ELNS1_11target_archE4294967295ELNS1_3gpuE0ELNS1_3repE0EEENS1_30default_config_static_selectorELNS0_4arch9wavefront6targetE1EEEvT1_,comdat
	.protected	_ZN7rocprim17ROCPRIM_400000_NS6detail17trampoline_kernelINS0_14default_configENS1_20scan_config_selectorIsEEZZNS1_9scan_implILNS1_25lookback_scan_determinismE0ELb0ELb1ES3_N6thrust23THRUST_200600_302600_NS6detail15normal_iteratorINS9_10device_ptrIsEEEESE_sNS9_4plusIsEEsEEDaPvRmT3_T4_T5_mT6_P12ihipStream_tbENKUlT_T0_E_clISt17integral_constantIbLb0EEST_IbLb1EEEEDaSP_SQ_EUlSP_E_NS1_11comp_targetILNS1_3genE0ELNS1_11target_archE4294967295ELNS1_3gpuE0ELNS1_3repE0EEENS1_30default_config_static_selectorELNS0_4arch9wavefront6targetE1EEEvT1_ ; -- Begin function _ZN7rocprim17ROCPRIM_400000_NS6detail17trampoline_kernelINS0_14default_configENS1_20scan_config_selectorIsEEZZNS1_9scan_implILNS1_25lookback_scan_determinismE0ELb0ELb1ES3_N6thrust23THRUST_200600_302600_NS6detail15normal_iteratorINS9_10device_ptrIsEEEESE_sNS9_4plusIsEEsEEDaPvRmT3_T4_T5_mT6_P12ihipStream_tbENKUlT_T0_E_clISt17integral_constantIbLb0EEST_IbLb1EEEEDaSP_SQ_EUlSP_E_NS1_11comp_targetILNS1_3genE0ELNS1_11target_archE4294967295ELNS1_3gpuE0ELNS1_3repE0EEENS1_30default_config_static_selectorELNS0_4arch9wavefront6targetE1EEEvT1_
	.globl	_ZN7rocprim17ROCPRIM_400000_NS6detail17trampoline_kernelINS0_14default_configENS1_20scan_config_selectorIsEEZZNS1_9scan_implILNS1_25lookback_scan_determinismE0ELb0ELb1ES3_N6thrust23THRUST_200600_302600_NS6detail15normal_iteratorINS9_10device_ptrIsEEEESE_sNS9_4plusIsEEsEEDaPvRmT3_T4_T5_mT6_P12ihipStream_tbENKUlT_T0_E_clISt17integral_constantIbLb0EEST_IbLb1EEEEDaSP_SQ_EUlSP_E_NS1_11comp_targetILNS1_3genE0ELNS1_11target_archE4294967295ELNS1_3gpuE0ELNS1_3repE0EEENS1_30default_config_static_selectorELNS0_4arch9wavefront6targetE1EEEvT1_
	.p2align	8
	.type	_ZN7rocprim17ROCPRIM_400000_NS6detail17trampoline_kernelINS0_14default_configENS1_20scan_config_selectorIsEEZZNS1_9scan_implILNS1_25lookback_scan_determinismE0ELb0ELb1ES3_N6thrust23THRUST_200600_302600_NS6detail15normal_iteratorINS9_10device_ptrIsEEEESE_sNS9_4plusIsEEsEEDaPvRmT3_T4_T5_mT6_P12ihipStream_tbENKUlT_T0_E_clISt17integral_constantIbLb0EEST_IbLb1EEEEDaSP_SQ_EUlSP_E_NS1_11comp_targetILNS1_3genE0ELNS1_11target_archE4294967295ELNS1_3gpuE0ELNS1_3repE0EEENS1_30default_config_static_selectorELNS0_4arch9wavefront6targetE1EEEvT1_,@function
_ZN7rocprim17ROCPRIM_400000_NS6detail17trampoline_kernelINS0_14default_configENS1_20scan_config_selectorIsEEZZNS1_9scan_implILNS1_25lookback_scan_determinismE0ELb0ELb1ES3_N6thrust23THRUST_200600_302600_NS6detail15normal_iteratorINS9_10device_ptrIsEEEESE_sNS9_4plusIsEEsEEDaPvRmT3_T4_T5_mT6_P12ihipStream_tbENKUlT_T0_E_clISt17integral_constantIbLb0EEST_IbLb1EEEEDaSP_SQ_EUlSP_E_NS1_11comp_targetILNS1_3genE0ELNS1_11target_archE4294967295ELNS1_3gpuE0ELNS1_3repE0EEENS1_30default_config_static_selectorELNS0_4arch9wavefront6targetE1EEEvT1_: ; @_ZN7rocprim17ROCPRIM_400000_NS6detail17trampoline_kernelINS0_14default_configENS1_20scan_config_selectorIsEEZZNS1_9scan_implILNS1_25lookback_scan_determinismE0ELb0ELb1ES3_N6thrust23THRUST_200600_302600_NS6detail15normal_iteratorINS9_10device_ptrIsEEEESE_sNS9_4plusIsEEsEEDaPvRmT3_T4_T5_mT6_P12ihipStream_tbENKUlT_T0_E_clISt17integral_constantIbLb0EEST_IbLb1EEEEDaSP_SQ_EUlSP_E_NS1_11comp_targetILNS1_3genE0ELNS1_11target_archE4294967295ELNS1_3gpuE0ELNS1_3repE0EEENS1_30default_config_static_selectorELNS0_4arch9wavefront6targetE1EEEvT1_
; %bb.0:
	.section	.rodata,"a",@progbits
	.p2align	6, 0x0
	.amdhsa_kernel _ZN7rocprim17ROCPRIM_400000_NS6detail17trampoline_kernelINS0_14default_configENS1_20scan_config_selectorIsEEZZNS1_9scan_implILNS1_25lookback_scan_determinismE0ELb0ELb1ES3_N6thrust23THRUST_200600_302600_NS6detail15normal_iteratorINS9_10device_ptrIsEEEESE_sNS9_4plusIsEEsEEDaPvRmT3_T4_T5_mT6_P12ihipStream_tbENKUlT_T0_E_clISt17integral_constantIbLb0EEST_IbLb1EEEEDaSP_SQ_EUlSP_E_NS1_11comp_targetILNS1_3genE0ELNS1_11target_archE4294967295ELNS1_3gpuE0ELNS1_3repE0EEENS1_30default_config_static_selectorELNS0_4arch9wavefront6targetE1EEEvT1_
		.amdhsa_group_segment_fixed_size 0
		.amdhsa_private_segment_fixed_size 0
		.amdhsa_kernarg_size 96
		.amdhsa_user_sgpr_count 6
		.amdhsa_user_sgpr_private_segment_buffer 1
		.amdhsa_user_sgpr_dispatch_ptr 0
		.amdhsa_user_sgpr_queue_ptr 0
		.amdhsa_user_sgpr_kernarg_segment_ptr 1
		.amdhsa_user_sgpr_dispatch_id 0
		.amdhsa_user_sgpr_flat_scratch_init 0
		.amdhsa_user_sgpr_kernarg_preload_length 0
		.amdhsa_user_sgpr_kernarg_preload_offset 0
		.amdhsa_user_sgpr_private_segment_size 0
		.amdhsa_uses_dynamic_stack 0
		.amdhsa_system_sgpr_private_segment_wavefront_offset 0
		.amdhsa_system_sgpr_workgroup_id_x 1
		.amdhsa_system_sgpr_workgroup_id_y 0
		.amdhsa_system_sgpr_workgroup_id_z 0
		.amdhsa_system_sgpr_workgroup_info 0
		.amdhsa_system_vgpr_workitem_id 0
		.amdhsa_next_free_vgpr 1
		.amdhsa_next_free_sgpr 0
		.amdhsa_accum_offset 4
		.amdhsa_reserve_vcc 0
		.amdhsa_reserve_flat_scratch 0
		.amdhsa_float_round_mode_32 0
		.amdhsa_float_round_mode_16_64 0
		.amdhsa_float_denorm_mode_32 3
		.amdhsa_float_denorm_mode_16_64 3
		.amdhsa_dx10_clamp 1
		.amdhsa_ieee_mode 1
		.amdhsa_fp16_overflow 0
		.amdhsa_tg_split 0
		.amdhsa_exception_fp_ieee_invalid_op 0
		.amdhsa_exception_fp_denorm_src 0
		.amdhsa_exception_fp_ieee_div_zero 0
		.amdhsa_exception_fp_ieee_overflow 0
		.amdhsa_exception_fp_ieee_underflow 0
		.amdhsa_exception_fp_ieee_inexact 0
		.amdhsa_exception_int_div_zero 0
	.end_amdhsa_kernel
	.section	.text._ZN7rocprim17ROCPRIM_400000_NS6detail17trampoline_kernelINS0_14default_configENS1_20scan_config_selectorIsEEZZNS1_9scan_implILNS1_25lookback_scan_determinismE0ELb0ELb1ES3_N6thrust23THRUST_200600_302600_NS6detail15normal_iteratorINS9_10device_ptrIsEEEESE_sNS9_4plusIsEEsEEDaPvRmT3_T4_T5_mT6_P12ihipStream_tbENKUlT_T0_E_clISt17integral_constantIbLb0EEST_IbLb1EEEEDaSP_SQ_EUlSP_E_NS1_11comp_targetILNS1_3genE0ELNS1_11target_archE4294967295ELNS1_3gpuE0ELNS1_3repE0EEENS1_30default_config_static_selectorELNS0_4arch9wavefront6targetE1EEEvT1_,"axG",@progbits,_ZN7rocprim17ROCPRIM_400000_NS6detail17trampoline_kernelINS0_14default_configENS1_20scan_config_selectorIsEEZZNS1_9scan_implILNS1_25lookback_scan_determinismE0ELb0ELb1ES3_N6thrust23THRUST_200600_302600_NS6detail15normal_iteratorINS9_10device_ptrIsEEEESE_sNS9_4plusIsEEsEEDaPvRmT3_T4_T5_mT6_P12ihipStream_tbENKUlT_T0_E_clISt17integral_constantIbLb0EEST_IbLb1EEEEDaSP_SQ_EUlSP_E_NS1_11comp_targetILNS1_3genE0ELNS1_11target_archE4294967295ELNS1_3gpuE0ELNS1_3repE0EEENS1_30default_config_static_selectorELNS0_4arch9wavefront6targetE1EEEvT1_,comdat
.Lfunc_end1321:
	.size	_ZN7rocprim17ROCPRIM_400000_NS6detail17trampoline_kernelINS0_14default_configENS1_20scan_config_selectorIsEEZZNS1_9scan_implILNS1_25lookback_scan_determinismE0ELb0ELb1ES3_N6thrust23THRUST_200600_302600_NS6detail15normal_iteratorINS9_10device_ptrIsEEEESE_sNS9_4plusIsEEsEEDaPvRmT3_T4_T5_mT6_P12ihipStream_tbENKUlT_T0_E_clISt17integral_constantIbLb0EEST_IbLb1EEEEDaSP_SQ_EUlSP_E_NS1_11comp_targetILNS1_3genE0ELNS1_11target_archE4294967295ELNS1_3gpuE0ELNS1_3repE0EEENS1_30default_config_static_selectorELNS0_4arch9wavefront6targetE1EEEvT1_, .Lfunc_end1321-_ZN7rocprim17ROCPRIM_400000_NS6detail17trampoline_kernelINS0_14default_configENS1_20scan_config_selectorIsEEZZNS1_9scan_implILNS1_25lookback_scan_determinismE0ELb0ELb1ES3_N6thrust23THRUST_200600_302600_NS6detail15normal_iteratorINS9_10device_ptrIsEEEESE_sNS9_4plusIsEEsEEDaPvRmT3_T4_T5_mT6_P12ihipStream_tbENKUlT_T0_E_clISt17integral_constantIbLb0EEST_IbLb1EEEEDaSP_SQ_EUlSP_E_NS1_11comp_targetILNS1_3genE0ELNS1_11target_archE4294967295ELNS1_3gpuE0ELNS1_3repE0EEENS1_30default_config_static_selectorELNS0_4arch9wavefront6targetE1EEEvT1_
                                        ; -- End function
	.section	.AMDGPU.csdata,"",@progbits
; Kernel info:
; codeLenInByte = 0
; NumSgprs: 4
; NumVgprs: 0
; NumAgprs: 0
; TotalNumVgprs: 0
; ScratchSize: 0
; MemoryBound: 0
; FloatMode: 240
; IeeeMode: 1
; LDSByteSize: 0 bytes/workgroup (compile time only)
; SGPRBlocks: 0
; VGPRBlocks: 0
; NumSGPRsForWavesPerEU: 4
; NumVGPRsForWavesPerEU: 1
; AccumOffset: 4
; Occupancy: 8
; WaveLimiterHint : 0
; COMPUTE_PGM_RSRC2:SCRATCH_EN: 0
; COMPUTE_PGM_RSRC2:USER_SGPR: 6
; COMPUTE_PGM_RSRC2:TRAP_HANDLER: 0
; COMPUTE_PGM_RSRC2:TGID_X_EN: 1
; COMPUTE_PGM_RSRC2:TGID_Y_EN: 0
; COMPUTE_PGM_RSRC2:TGID_Z_EN: 0
; COMPUTE_PGM_RSRC2:TIDIG_COMP_CNT: 0
; COMPUTE_PGM_RSRC3_GFX90A:ACCUM_OFFSET: 0
; COMPUTE_PGM_RSRC3_GFX90A:TG_SPLIT: 0
	.section	.text._ZN7rocprim17ROCPRIM_400000_NS6detail17trampoline_kernelINS0_14default_configENS1_20scan_config_selectorIsEEZZNS1_9scan_implILNS1_25lookback_scan_determinismE0ELb0ELb1ES3_N6thrust23THRUST_200600_302600_NS6detail15normal_iteratorINS9_10device_ptrIsEEEESE_sNS9_4plusIsEEsEEDaPvRmT3_T4_T5_mT6_P12ihipStream_tbENKUlT_T0_E_clISt17integral_constantIbLb0EEST_IbLb1EEEEDaSP_SQ_EUlSP_E_NS1_11comp_targetILNS1_3genE5ELNS1_11target_archE942ELNS1_3gpuE9ELNS1_3repE0EEENS1_30default_config_static_selectorELNS0_4arch9wavefront6targetE1EEEvT1_,"axG",@progbits,_ZN7rocprim17ROCPRIM_400000_NS6detail17trampoline_kernelINS0_14default_configENS1_20scan_config_selectorIsEEZZNS1_9scan_implILNS1_25lookback_scan_determinismE0ELb0ELb1ES3_N6thrust23THRUST_200600_302600_NS6detail15normal_iteratorINS9_10device_ptrIsEEEESE_sNS9_4plusIsEEsEEDaPvRmT3_T4_T5_mT6_P12ihipStream_tbENKUlT_T0_E_clISt17integral_constantIbLb0EEST_IbLb1EEEEDaSP_SQ_EUlSP_E_NS1_11comp_targetILNS1_3genE5ELNS1_11target_archE942ELNS1_3gpuE9ELNS1_3repE0EEENS1_30default_config_static_selectorELNS0_4arch9wavefront6targetE1EEEvT1_,comdat
	.protected	_ZN7rocprim17ROCPRIM_400000_NS6detail17trampoline_kernelINS0_14default_configENS1_20scan_config_selectorIsEEZZNS1_9scan_implILNS1_25lookback_scan_determinismE0ELb0ELb1ES3_N6thrust23THRUST_200600_302600_NS6detail15normal_iteratorINS9_10device_ptrIsEEEESE_sNS9_4plusIsEEsEEDaPvRmT3_T4_T5_mT6_P12ihipStream_tbENKUlT_T0_E_clISt17integral_constantIbLb0EEST_IbLb1EEEEDaSP_SQ_EUlSP_E_NS1_11comp_targetILNS1_3genE5ELNS1_11target_archE942ELNS1_3gpuE9ELNS1_3repE0EEENS1_30default_config_static_selectorELNS0_4arch9wavefront6targetE1EEEvT1_ ; -- Begin function _ZN7rocprim17ROCPRIM_400000_NS6detail17trampoline_kernelINS0_14default_configENS1_20scan_config_selectorIsEEZZNS1_9scan_implILNS1_25lookback_scan_determinismE0ELb0ELb1ES3_N6thrust23THRUST_200600_302600_NS6detail15normal_iteratorINS9_10device_ptrIsEEEESE_sNS9_4plusIsEEsEEDaPvRmT3_T4_T5_mT6_P12ihipStream_tbENKUlT_T0_E_clISt17integral_constantIbLb0EEST_IbLb1EEEEDaSP_SQ_EUlSP_E_NS1_11comp_targetILNS1_3genE5ELNS1_11target_archE942ELNS1_3gpuE9ELNS1_3repE0EEENS1_30default_config_static_selectorELNS0_4arch9wavefront6targetE1EEEvT1_
	.globl	_ZN7rocprim17ROCPRIM_400000_NS6detail17trampoline_kernelINS0_14default_configENS1_20scan_config_selectorIsEEZZNS1_9scan_implILNS1_25lookback_scan_determinismE0ELb0ELb1ES3_N6thrust23THRUST_200600_302600_NS6detail15normal_iteratorINS9_10device_ptrIsEEEESE_sNS9_4plusIsEEsEEDaPvRmT3_T4_T5_mT6_P12ihipStream_tbENKUlT_T0_E_clISt17integral_constantIbLb0EEST_IbLb1EEEEDaSP_SQ_EUlSP_E_NS1_11comp_targetILNS1_3genE5ELNS1_11target_archE942ELNS1_3gpuE9ELNS1_3repE0EEENS1_30default_config_static_selectorELNS0_4arch9wavefront6targetE1EEEvT1_
	.p2align	8
	.type	_ZN7rocprim17ROCPRIM_400000_NS6detail17trampoline_kernelINS0_14default_configENS1_20scan_config_selectorIsEEZZNS1_9scan_implILNS1_25lookback_scan_determinismE0ELb0ELb1ES3_N6thrust23THRUST_200600_302600_NS6detail15normal_iteratorINS9_10device_ptrIsEEEESE_sNS9_4plusIsEEsEEDaPvRmT3_T4_T5_mT6_P12ihipStream_tbENKUlT_T0_E_clISt17integral_constantIbLb0EEST_IbLb1EEEEDaSP_SQ_EUlSP_E_NS1_11comp_targetILNS1_3genE5ELNS1_11target_archE942ELNS1_3gpuE9ELNS1_3repE0EEENS1_30default_config_static_selectorELNS0_4arch9wavefront6targetE1EEEvT1_,@function
_ZN7rocprim17ROCPRIM_400000_NS6detail17trampoline_kernelINS0_14default_configENS1_20scan_config_selectorIsEEZZNS1_9scan_implILNS1_25lookback_scan_determinismE0ELb0ELb1ES3_N6thrust23THRUST_200600_302600_NS6detail15normal_iteratorINS9_10device_ptrIsEEEESE_sNS9_4plusIsEEsEEDaPvRmT3_T4_T5_mT6_P12ihipStream_tbENKUlT_T0_E_clISt17integral_constantIbLb0EEST_IbLb1EEEEDaSP_SQ_EUlSP_E_NS1_11comp_targetILNS1_3genE5ELNS1_11target_archE942ELNS1_3gpuE9ELNS1_3repE0EEENS1_30default_config_static_selectorELNS0_4arch9wavefront6targetE1EEEvT1_: ; @_ZN7rocprim17ROCPRIM_400000_NS6detail17trampoline_kernelINS0_14default_configENS1_20scan_config_selectorIsEEZZNS1_9scan_implILNS1_25lookback_scan_determinismE0ELb0ELb1ES3_N6thrust23THRUST_200600_302600_NS6detail15normal_iteratorINS9_10device_ptrIsEEEESE_sNS9_4plusIsEEsEEDaPvRmT3_T4_T5_mT6_P12ihipStream_tbENKUlT_T0_E_clISt17integral_constantIbLb0EEST_IbLb1EEEEDaSP_SQ_EUlSP_E_NS1_11comp_targetILNS1_3genE5ELNS1_11target_archE942ELNS1_3gpuE9ELNS1_3repE0EEENS1_30default_config_static_selectorELNS0_4arch9wavefront6targetE1EEEvT1_
; %bb.0:
	.section	.rodata,"a",@progbits
	.p2align	6, 0x0
	.amdhsa_kernel _ZN7rocprim17ROCPRIM_400000_NS6detail17trampoline_kernelINS0_14default_configENS1_20scan_config_selectorIsEEZZNS1_9scan_implILNS1_25lookback_scan_determinismE0ELb0ELb1ES3_N6thrust23THRUST_200600_302600_NS6detail15normal_iteratorINS9_10device_ptrIsEEEESE_sNS9_4plusIsEEsEEDaPvRmT3_T4_T5_mT6_P12ihipStream_tbENKUlT_T0_E_clISt17integral_constantIbLb0EEST_IbLb1EEEEDaSP_SQ_EUlSP_E_NS1_11comp_targetILNS1_3genE5ELNS1_11target_archE942ELNS1_3gpuE9ELNS1_3repE0EEENS1_30default_config_static_selectorELNS0_4arch9wavefront6targetE1EEEvT1_
		.amdhsa_group_segment_fixed_size 0
		.amdhsa_private_segment_fixed_size 0
		.amdhsa_kernarg_size 96
		.amdhsa_user_sgpr_count 6
		.amdhsa_user_sgpr_private_segment_buffer 1
		.amdhsa_user_sgpr_dispatch_ptr 0
		.amdhsa_user_sgpr_queue_ptr 0
		.amdhsa_user_sgpr_kernarg_segment_ptr 1
		.amdhsa_user_sgpr_dispatch_id 0
		.amdhsa_user_sgpr_flat_scratch_init 0
		.amdhsa_user_sgpr_kernarg_preload_length 0
		.amdhsa_user_sgpr_kernarg_preload_offset 0
		.amdhsa_user_sgpr_private_segment_size 0
		.amdhsa_uses_dynamic_stack 0
		.amdhsa_system_sgpr_private_segment_wavefront_offset 0
		.amdhsa_system_sgpr_workgroup_id_x 1
		.amdhsa_system_sgpr_workgroup_id_y 0
		.amdhsa_system_sgpr_workgroup_id_z 0
		.amdhsa_system_sgpr_workgroup_info 0
		.amdhsa_system_vgpr_workitem_id 0
		.amdhsa_next_free_vgpr 1
		.amdhsa_next_free_sgpr 0
		.amdhsa_accum_offset 4
		.amdhsa_reserve_vcc 0
		.amdhsa_reserve_flat_scratch 0
		.amdhsa_float_round_mode_32 0
		.amdhsa_float_round_mode_16_64 0
		.amdhsa_float_denorm_mode_32 3
		.amdhsa_float_denorm_mode_16_64 3
		.amdhsa_dx10_clamp 1
		.amdhsa_ieee_mode 1
		.amdhsa_fp16_overflow 0
		.amdhsa_tg_split 0
		.amdhsa_exception_fp_ieee_invalid_op 0
		.amdhsa_exception_fp_denorm_src 0
		.amdhsa_exception_fp_ieee_div_zero 0
		.amdhsa_exception_fp_ieee_overflow 0
		.amdhsa_exception_fp_ieee_underflow 0
		.amdhsa_exception_fp_ieee_inexact 0
		.amdhsa_exception_int_div_zero 0
	.end_amdhsa_kernel
	.section	.text._ZN7rocprim17ROCPRIM_400000_NS6detail17trampoline_kernelINS0_14default_configENS1_20scan_config_selectorIsEEZZNS1_9scan_implILNS1_25lookback_scan_determinismE0ELb0ELb1ES3_N6thrust23THRUST_200600_302600_NS6detail15normal_iteratorINS9_10device_ptrIsEEEESE_sNS9_4plusIsEEsEEDaPvRmT3_T4_T5_mT6_P12ihipStream_tbENKUlT_T0_E_clISt17integral_constantIbLb0EEST_IbLb1EEEEDaSP_SQ_EUlSP_E_NS1_11comp_targetILNS1_3genE5ELNS1_11target_archE942ELNS1_3gpuE9ELNS1_3repE0EEENS1_30default_config_static_selectorELNS0_4arch9wavefront6targetE1EEEvT1_,"axG",@progbits,_ZN7rocprim17ROCPRIM_400000_NS6detail17trampoline_kernelINS0_14default_configENS1_20scan_config_selectorIsEEZZNS1_9scan_implILNS1_25lookback_scan_determinismE0ELb0ELb1ES3_N6thrust23THRUST_200600_302600_NS6detail15normal_iteratorINS9_10device_ptrIsEEEESE_sNS9_4plusIsEEsEEDaPvRmT3_T4_T5_mT6_P12ihipStream_tbENKUlT_T0_E_clISt17integral_constantIbLb0EEST_IbLb1EEEEDaSP_SQ_EUlSP_E_NS1_11comp_targetILNS1_3genE5ELNS1_11target_archE942ELNS1_3gpuE9ELNS1_3repE0EEENS1_30default_config_static_selectorELNS0_4arch9wavefront6targetE1EEEvT1_,comdat
.Lfunc_end1322:
	.size	_ZN7rocprim17ROCPRIM_400000_NS6detail17trampoline_kernelINS0_14default_configENS1_20scan_config_selectorIsEEZZNS1_9scan_implILNS1_25lookback_scan_determinismE0ELb0ELb1ES3_N6thrust23THRUST_200600_302600_NS6detail15normal_iteratorINS9_10device_ptrIsEEEESE_sNS9_4plusIsEEsEEDaPvRmT3_T4_T5_mT6_P12ihipStream_tbENKUlT_T0_E_clISt17integral_constantIbLb0EEST_IbLb1EEEEDaSP_SQ_EUlSP_E_NS1_11comp_targetILNS1_3genE5ELNS1_11target_archE942ELNS1_3gpuE9ELNS1_3repE0EEENS1_30default_config_static_selectorELNS0_4arch9wavefront6targetE1EEEvT1_, .Lfunc_end1322-_ZN7rocprim17ROCPRIM_400000_NS6detail17trampoline_kernelINS0_14default_configENS1_20scan_config_selectorIsEEZZNS1_9scan_implILNS1_25lookback_scan_determinismE0ELb0ELb1ES3_N6thrust23THRUST_200600_302600_NS6detail15normal_iteratorINS9_10device_ptrIsEEEESE_sNS9_4plusIsEEsEEDaPvRmT3_T4_T5_mT6_P12ihipStream_tbENKUlT_T0_E_clISt17integral_constantIbLb0EEST_IbLb1EEEEDaSP_SQ_EUlSP_E_NS1_11comp_targetILNS1_3genE5ELNS1_11target_archE942ELNS1_3gpuE9ELNS1_3repE0EEENS1_30default_config_static_selectorELNS0_4arch9wavefront6targetE1EEEvT1_
                                        ; -- End function
	.section	.AMDGPU.csdata,"",@progbits
; Kernel info:
; codeLenInByte = 0
; NumSgprs: 4
; NumVgprs: 0
; NumAgprs: 0
; TotalNumVgprs: 0
; ScratchSize: 0
; MemoryBound: 0
; FloatMode: 240
; IeeeMode: 1
; LDSByteSize: 0 bytes/workgroup (compile time only)
; SGPRBlocks: 0
; VGPRBlocks: 0
; NumSGPRsForWavesPerEU: 4
; NumVGPRsForWavesPerEU: 1
; AccumOffset: 4
; Occupancy: 8
; WaveLimiterHint : 0
; COMPUTE_PGM_RSRC2:SCRATCH_EN: 0
; COMPUTE_PGM_RSRC2:USER_SGPR: 6
; COMPUTE_PGM_RSRC2:TRAP_HANDLER: 0
; COMPUTE_PGM_RSRC2:TGID_X_EN: 1
; COMPUTE_PGM_RSRC2:TGID_Y_EN: 0
; COMPUTE_PGM_RSRC2:TGID_Z_EN: 0
; COMPUTE_PGM_RSRC2:TIDIG_COMP_CNT: 0
; COMPUTE_PGM_RSRC3_GFX90A:ACCUM_OFFSET: 0
; COMPUTE_PGM_RSRC3_GFX90A:TG_SPLIT: 0
	.section	.text._ZN7rocprim17ROCPRIM_400000_NS6detail17trampoline_kernelINS0_14default_configENS1_20scan_config_selectorIsEEZZNS1_9scan_implILNS1_25lookback_scan_determinismE0ELb0ELb1ES3_N6thrust23THRUST_200600_302600_NS6detail15normal_iteratorINS9_10device_ptrIsEEEESE_sNS9_4plusIsEEsEEDaPvRmT3_T4_T5_mT6_P12ihipStream_tbENKUlT_T0_E_clISt17integral_constantIbLb0EEST_IbLb1EEEEDaSP_SQ_EUlSP_E_NS1_11comp_targetILNS1_3genE4ELNS1_11target_archE910ELNS1_3gpuE8ELNS1_3repE0EEENS1_30default_config_static_selectorELNS0_4arch9wavefront6targetE1EEEvT1_,"axG",@progbits,_ZN7rocprim17ROCPRIM_400000_NS6detail17trampoline_kernelINS0_14default_configENS1_20scan_config_selectorIsEEZZNS1_9scan_implILNS1_25lookback_scan_determinismE0ELb0ELb1ES3_N6thrust23THRUST_200600_302600_NS6detail15normal_iteratorINS9_10device_ptrIsEEEESE_sNS9_4plusIsEEsEEDaPvRmT3_T4_T5_mT6_P12ihipStream_tbENKUlT_T0_E_clISt17integral_constantIbLb0EEST_IbLb1EEEEDaSP_SQ_EUlSP_E_NS1_11comp_targetILNS1_3genE4ELNS1_11target_archE910ELNS1_3gpuE8ELNS1_3repE0EEENS1_30default_config_static_selectorELNS0_4arch9wavefront6targetE1EEEvT1_,comdat
	.protected	_ZN7rocprim17ROCPRIM_400000_NS6detail17trampoline_kernelINS0_14default_configENS1_20scan_config_selectorIsEEZZNS1_9scan_implILNS1_25lookback_scan_determinismE0ELb0ELb1ES3_N6thrust23THRUST_200600_302600_NS6detail15normal_iteratorINS9_10device_ptrIsEEEESE_sNS9_4plusIsEEsEEDaPvRmT3_T4_T5_mT6_P12ihipStream_tbENKUlT_T0_E_clISt17integral_constantIbLb0EEST_IbLb1EEEEDaSP_SQ_EUlSP_E_NS1_11comp_targetILNS1_3genE4ELNS1_11target_archE910ELNS1_3gpuE8ELNS1_3repE0EEENS1_30default_config_static_selectorELNS0_4arch9wavefront6targetE1EEEvT1_ ; -- Begin function _ZN7rocprim17ROCPRIM_400000_NS6detail17trampoline_kernelINS0_14default_configENS1_20scan_config_selectorIsEEZZNS1_9scan_implILNS1_25lookback_scan_determinismE0ELb0ELb1ES3_N6thrust23THRUST_200600_302600_NS6detail15normal_iteratorINS9_10device_ptrIsEEEESE_sNS9_4plusIsEEsEEDaPvRmT3_T4_T5_mT6_P12ihipStream_tbENKUlT_T0_E_clISt17integral_constantIbLb0EEST_IbLb1EEEEDaSP_SQ_EUlSP_E_NS1_11comp_targetILNS1_3genE4ELNS1_11target_archE910ELNS1_3gpuE8ELNS1_3repE0EEENS1_30default_config_static_selectorELNS0_4arch9wavefront6targetE1EEEvT1_
	.globl	_ZN7rocprim17ROCPRIM_400000_NS6detail17trampoline_kernelINS0_14default_configENS1_20scan_config_selectorIsEEZZNS1_9scan_implILNS1_25lookback_scan_determinismE0ELb0ELb1ES3_N6thrust23THRUST_200600_302600_NS6detail15normal_iteratorINS9_10device_ptrIsEEEESE_sNS9_4plusIsEEsEEDaPvRmT3_T4_T5_mT6_P12ihipStream_tbENKUlT_T0_E_clISt17integral_constantIbLb0EEST_IbLb1EEEEDaSP_SQ_EUlSP_E_NS1_11comp_targetILNS1_3genE4ELNS1_11target_archE910ELNS1_3gpuE8ELNS1_3repE0EEENS1_30default_config_static_selectorELNS0_4arch9wavefront6targetE1EEEvT1_
	.p2align	8
	.type	_ZN7rocprim17ROCPRIM_400000_NS6detail17trampoline_kernelINS0_14default_configENS1_20scan_config_selectorIsEEZZNS1_9scan_implILNS1_25lookback_scan_determinismE0ELb0ELb1ES3_N6thrust23THRUST_200600_302600_NS6detail15normal_iteratorINS9_10device_ptrIsEEEESE_sNS9_4plusIsEEsEEDaPvRmT3_T4_T5_mT6_P12ihipStream_tbENKUlT_T0_E_clISt17integral_constantIbLb0EEST_IbLb1EEEEDaSP_SQ_EUlSP_E_NS1_11comp_targetILNS1_3genE4ELNS1_11target_archE910ELNS1_3gpuE8ELNS1_3repE0EEENS1_30default_config_static_selectorELNS0_4arch9wavefront6targetE1EEEvT1_,@function
_ZN7rocprim17ROCPRIM_400000_NS6detail17trampoline_kernelINS0_14default_configENS1_20scan_config_selectorIsEEZZNS1_9scan_implILNS1_25lookback_scan_determinismE0ELb0ELb1ES3_N6thrust23THRUST_200600_302600_NS6detail15normal_iteratorINS9_10device_ptrIsEEEESE_sNS9_4plusIsEEsEEDaPvRmT3_T4_T5_mT6_P12ihipStream_tbENKUlT_T0_E_clISt17integral_constantIbLb0EEST_IbLb1EEEEDaSP_SQ_EUlSP_E_NS1_11comp_targetILNS1_3genE4ELNS1_11target_archE910ELNS1_3gpuE8ELNS1_3repE0EEENS1_30default_config_static_selectorELNS0_4arch9wavefront6targetE1EEEvT1_: ; @_ZN7rocprim17ROCPRIM_400000_NS6detail17trampoline_kernelINS0_14default_configENS1_20scan_config_selectorIsEEZZNS1_9scan_implILNS1_25lookback_scan_determinismE0ELb0ELb1ES3_N6thrust23THRUST_200600_302600_NS6detail15normal_iteratorINS9_10device_ptrIsEEEESE_sNS9_4plusIsEEsEEDaPvRmT3_T4_T5_mT6_P12ihipStream_tbENKUlT_T0_E_clISt17integral_constantIbLb0EEST_IbLb1EEEEDaSP_SQ_EUlSP_E_NS1_11comp_targetILNS1_3genE4ELNS1_11target_archE910ELNS1_3gpuE8ELNS1_3repE0EEENS1_30default_config_static_selectorELNS0_4arch9wavefront6targetE1EEEvT1_
; %bb.0:
	s_load_dwordx2 s[28:29], s[4:5], 0x28
	v_cmp_ne_u32_e64 s[0:1], 0, v0
	v_cmp_eq_u32_e64 s[2:3], 0, v0
	s_and_saveexec_b64 s[6:7], s[2:3]
	s_cbranch_execz .LBB1323_4
; %bb.1:
	s_mov_b64 s[10:11], exec
	v_mbcnt_lo_u32_b32 v1, s10, 0
	v_mbcnt_hi_u32_b32 v1, s11, v1
	v_cmp_eq_u32_e32 vcc, 0, v1
                                        ; implicit-def: $vgpr2
	s_and_saveexec_b64 s[8:9], vcc
	s_cbranch_execz .LBB1323_3
; %bb.2:
	s_load_dwordx2 s[12:13], s[4:5], 0x58
	s_bcnt1_i32_b64 s10, s[10:11]
	v_mov_b32_e32 v2, 0
	v_mov_b32_e32 v3, s10
	s_waitcnt lgkmcnt(0)
	global_atomic_add v2, v2, v3, s[12:13] glc
.LBB1323_3:
	s_or_b64 exec, exec, s[8:9]
	s_waitcnt vmcnt(0)
	v_readfirstlane_b32 s8, v2
	v_add_u32_e32 v1, s8, v1
	v_mov_b32_e32 v2, 0
	ds_write_b32 v2, v1
.LBB1323_4:
	s_or_b64 exec, exec, s[6:7]
	s_load_dwordx8 s[20:27], s[4:5], 0x0
	s_load_dword s33, s[4:5], 0x20
	s_load_dword s6, s[4:5], 0x30
	s_load_dwordx8 s[12:19], s[4:5], 0x38
	v_mov_b32_e32 v1, 0
	s_waitcnt lgkmcnt(0)
	; wave barrier
	s_waitcnt lgkmcnt(0)
	ds_read_b32 v1, v1
	s_lshl_b64 s[22:23], s[22:23], 1
	s_add_u32 s7, s20, s22
	s_addc_u32 s8, s21, s23
	s_add_i32 s6, s6, -1
	s_mul_i32 s9, s6, 0x600
	s_sub_u32 s30, s26, s9
	s_waitcnt lgkmcnt(0)
	v_readfirstlane_b32 s34, v1
	s_subb_u32 s31, s27, 0
	s_mul_i32 s4, s34, 0x600
	s_mov_b32 s5, 0
	s_cmp_lg_u32 s34, s6
	s_cselect_b64 s[20:21], -1, 0
	s_lshl_b64 s[26:27], s[4:5], 1
	s_add_u32 s6, s7, s26
	s_addc_u32 s7, s8, s27
	s_mov_b64 s[4:5], -1
	s_and_b64 vcc, exec, s[20:21]
	v_lshlrev_b32_e32 v20, 1, v0
	s_waitcnt lgkmcnt(0)
	; wave barrier
	s_cbranch_vccz .LBB1323_6
; %bb.5:
	v_mov_b32_e32 v1, s7
	v_add_co_u32_e32 v2, vcc, s6, v20
	v_addc_co_u32_e32 v3, vcc, 0, v1, vcc
	flat_load_ushort v1, v[2:3]
	flat_load_ushort v4, v[2:3] offset:128
	flat_load_ushort v5, v[2:3] offset:256
	;; [unrolled: 1-line block ×23, first 2 shown]
	s_mov_b64 s[4:5], 0
	s_waitcnt vmcnt(0) lgkmcnt(0)
	ds_write_b16 v20, v1
	ds_write_b16 v20, v4 offset:128
	ds_write_b16 v20, v5 offset:256
	;; [unrolled: 1-line block ×23, first 2 shown]
	s_waitcnt lgkmcnt(0)
	; wave barrier
.LBB1323_6:
	s_andn2_b64 vcc, exec, s[4:5]
	v_cmp_gt_u32_e64 s[4:5], s30, v0
	s_cbranch_vccnz .LBB1323_56
; %bb.7:
	v_pk_mov_b32 v[2:3], s[6:7], s[6:7] op_sel:[0,1]
	flat_load_ushort v1, v[2:3]
	s_waitcnt vmcnt(0) lgkmcnt(0)
	v_mov_b32_e32 v2, v1
	s_and_saveexec_b64 s[8:9], s[4:5]
	s_cbranch_execz .LBB1323_9
; %bb.8:
	v_mov_b32_e32 v3, s7
	v_add_co_u32_e32 v2, vcc, s6, v20
	v_addc_co_u32_e32 v3, vcc, 0, v3, vcc
	flat_load_ushort v2, v[2:3]
.LBB1323_9:
	s_or_b64 exec, exec, s[8:9]
	v_or_b32_e32 v3, 64, v0
	v_cmp_gt_u32_e32 vcc, s30, v3
	v_mov_b32_e32 v3, v1
	s_and_saveexec_b64 s[4:5], vcc
	s_cbranch_execz .LBB1323_11
; %bb.10:
	v_mov_b32_e32 v3, s7
	v_add_co_u32_e32 v4, vcc, s6, v20
	v_addc_co_u32_e32 v5, vcc, 0, v3, vcc
	flat_load_ushort v3, v[4:5] offset:128
.LBB1323_11:
	s_or_b64 exec, exec, s[4:5]
	v_or_b32_e32 v4, 0x80, v0
	v_cmp_gt_u32_e32 vcc, s30, v4
	v_mov_b32_e32 v4, v1
	s_and_saveexec_b64 s[4:5], vcc
	s_cbranch_execz .LBB1323_13
; %bb.12:
	v_mov_b32_e32 v5, s7
	v_add_co_u32_e32 v4, vcc, s6, v20
	v_addc_co_u32_e32 v5, vcc, 0, v5, vcc
	flat_load_ushort v4, v[4:5] offset:256
.LBB1323_13:
	;; [unrolled: 12-line block ×22, first 2 shown]
	s_or_b64 exec, exec, s[4:5]
	v_or_b32_e32 v26, 0x5c0, v0
	v_cmp_gt_u32_e32 vcc, s30, v26
	s_and_saveexec_b64 s[4:5], vcc
	s_cbranch_execz .LBB1323_55
; %bb.54:
	v_mov_b32_e32 v1, s7
	v_add_co_u32_e32 v26, vcc, s6, v20
	v_addc_co_u32_e32 v27, vcc, 0, v1, vcc
	flat_load_ushort v1, v[26:27] offset:2944
.LBB1323_55:
	s_or_b64 exec, exec, s[4:5]
	s_waitcnt vmcnt(0) lgkmcnt(0)
	ds_write_b16 v20, v2
	ds_write_b16 v20, v3 offset:128
	ds_write_b16 v20, v4 offset:256
	;; [unrolled: 1-line block ×23, first 2 shown]
	s_waitcnt lgkmcnt(0)
	; wave barrier
.LBB1323_56:
	v_mul_u32_u24_e32 v21, 24, v0
	v_lshlrev_b32_e32 v1, 1, v21
	s_waitcnt lgkmcnt(0)
	ds_read_b128 v[10:13], v1
	ds_read_b128 v[6:9], v1 offset:16
	ds_read_b128 v[2:5], v1 offset:32
	s_cmp_lg_u32 s34, 0
	v_mbcnt_lo_u32_b32 v22, -1, 0
	v_cmp_eq_u32_e32 vcc, 63, v0
	s_waitcnt lgkmcnt(0)
	; wave barrier
	s_waitcnt lgkmcnt(0)
	s_cbranch_scc0 .LBB1323_79
; %bb.57:
	v_add_u16_sdwa v14, v10, v10 dst_sel:DWORD dst_unused:UNUSED_PAD src0_sel:WORD_1 src1_sel:DWORD
	v_add_u16_e32 v14, v14, v11
	v_add_u16_sdwa v14, v14, v11 dst_sel:DWORD dst_unused:UNUSED_PAD src0_sel:DWORD src1_sel:WORD_1
	v_add_u16_e32 v14, v14, v12
	v_add_u16_sdwa v14, v14, v12 dst_sel:DWORD dst_unused:UNUSED_PAD src0_sel:DWORD src1_sel:WORD_1
	;; [unrolled: 2-line block ×10, first 2 shown]
	v_add_u16_e32 v14, v14, v5
	v_mbcnt_hi_u32_b32 v15, -1, v22
	v_add_u16_sdwa v14, v14, v5 dst_sel:DWORD dst_unused:UNUSED_PAD src0_sel:DWORD src1_sel:WORD_1
	v_and_b32_e32 v16, 15, v15
	v_cmp_ne_u32_e64 s[4:5], 0, v16
	v_mov_b32_dpp v17, v14 row_shr:1 row_mask:0xf bank_mask:0xf
	v_cndmask_b32_e64 v17, 0, v17, s[4:5]
	v_add_u16_e32 v14, v17, v14
	v_cmp_lt_u32_e64 s[4:5], 1, v16
	s_nop 0
	v_mov_b32_dpp v17, v14 row_shr:2 row_mask:0xf bank_mask:0xf
	v_cndmask_b32_e64 v17, 0, v17, s[4:5]
	v_add_u16_e32 v14, v14, v17
	v_cmp_lt_u32_e64 s[4:5], 3, v16
	s_nop 0
	;; [unrolled: 5-line block ×3, first 2 shown]
	v_mov_b32_dpp v17, v14 row_shr:8 row_mask:0xf bank_mask:0xf
	v_cndmask_b32_e64 v16, 0, v17, s[4:5]
	v_add_u16_e32 v14, v14, v16
	v_and_b32_e32 v17, 16, v15
	v_cmp_ne_u32_e64 s[4:5], 0, v17
	v_mov_b32_dpp v16, v14 row_bcast:15 row_mask:0xf bank_mask:0xf
	v_cndmask_b32_e64 v16, 0, v16, s[4:5]
	v_add_u16_e32 v14, v14, v16
	v_cmp_lt_u32_e64 s[4:5], 31, v15
	s_nop 0
	v_mov_b32_dpp v16, v14 row_bcast:31 row_mask:0xf bank_mask:0xf
	v_cndmask_b32_e64 v16, 0, v16, s[4:5]
	v_add_u16_e32 v14, v14, v16
	s_and_saveexec_b64 s[4:5], vcc
	s_cbranch_execz .LBB1323_59
; %bb.58:
	v_mov_b32_e32 v16, 0
	ds_write_b16 v16, v14
.LBB1323_59:
	s_or_b64 exec, exec, s[4:5]
	v_add_u32_e32 v16, -1, v15
	v_and_b32_e32 v17, 64, v15
	v_cmp_lt_i32_e32 vcc, v16, v17
	v_cndmask_b32_e32 v16, v16, v15, vcc
	v_lshlrev_b32_e32 v16, 2, v16
	ds_bpermute_b32 v23, v16, v14
	v_cmp_gt_u32_e32 vcc, 64, v0
	s_waitcnt lgkmcnt(0)
	; wave barrier
	s_waitcnt lgkmcnt(0)
	s_and_saveexec_b64 s[10:11], vcc
	s_cbranch_execz .LBB1323_78
; %bb.60:
	v_mov_b32_e32 v17, 0
	ds_read_u16 v24, v17
	s_mov_b32 s9, 0
	v_cmp_eq_u32_e64 s[4:5], 0, v15
	s_and_saveexec_b64 s[6:7], s[4:5]
	s_cbranch_execz .LBB1323_62
; %bb.61:
	s_add_i32 s8, s34, 64
	s_lshl_b64 s[8:9], s[8:9], 2
	s_add_u32 s8, s28, s8
	s_waitcnt lgkmcnt(0)
	v_or_b32_e32 v14, 0x10000, v24
	s_addc_u32 s9, s29, s9
	global_store_dword v17, v14, s[8:9]
.LBB1323_62:
	s_or_b64 exec, exec, s[6:7]
	v_xad_u32 v14, v15, -1, s34
	v_add_u32_e32 v16, 64, v14
	v_lshlrev_b64 v[18:19], 2, v[16:17]
	v_mov_b32_e32 v16, s29
	v_add_co_u32_e32 v18, vcc, s28, v18
	v_addc_co_u32_e32 v19, vcc, v16, v19, vcc
	global_load_dword v37, v[18:19], off glc
	s_waitcnt vmcnt(0)
	v_lshrrev_b32_e32 v26, 16, v37
	v_cmp_eq_u16_sdwa s[8:9], v26, v17 src0_sel:BYTE_0 src1_sel:DWORD
	s_and_saveexec_b64 s[6:7], s[8:9]
	s_cbranch_execz .LBB1323_66
; %bb.63:
	s_mov_b64 s[8:9], 0
	v_mov_b32_e32 v16, 0
.LBB1323_64:                            ; =>This Inner Loop Header: Depth=1
	global_load_dword v37, v[18:19], off glc
	s_waitcnt vmcnt(0)
	v_lshrrev_b32_e32 v26, 16, v37
	v_cmp_ne_u16_sdwa s[36:37], v26, v16 src0_sel:BYTE_0 src1_sel:DWORD
	s_or_b64 s[8:9], s[36:37], s[8:9]
	s_andn2_b64 exec, exec, s[8:9]
	s_cbranch_execnz .LBB1323_64
; %bb.65:
	s_or_b64 exec, exec, s[8:9]
.LBB1323_66:
	s_or_b64 exec, exec, s[6:7]
	v_and_b32_e32 v27, 63, v15
	v_cmp_ne_u32_e32 vcc, 63, v27
	v_mov_b32_e32 v25, 2
	v_addc_co_u32_e32 v28, vcc, 0, v15, vcc
	v_cmp_eq_u16_sdwa s[6:7], v26, v25 src0_sel:BYTE_0 src1_sel:DWORD
	v_lshlrev_b64 v[16:17], v15, -1
	v_and_b32_e32 v29, 0xffff, v37
	v_lshlrev_b32_e32 v28, 2, v28
	v_and_b32_e32 v18, s7, v17
	ds_bpermute_b32 v30, v28, v29
	v_or_b32_e32 v18, 0x80000000, v18
	v_and_b32_e32 v19, s6, v16
	v_ffbl_b32_e32 v18, v18
	v_add_u32_e32 v18, 32, v18
	v_ffbl_b32_e32 v19, v19
	v_min_u32_e32 v18, v19, v18
	s_waitcnt lgkmcnt(0)
	v_add_u16_e32 v19, v30, v37
	v_cmp_lt_u32_e32 vcc, v27, v18
	v_cmp_gt_u32_e64 s[6:7], 62, v27
	v_cndmask_b32_e32 v31, v29, v19, vcc
	v_cndmask_b32_e64 v29, 0, 1, s[6:7]
	v_lshlrev_b32_e32 v29, 1, v29
	v_add_lshl_u32 v29, v29, v15, 2
	ds_bpermute_b32 v32, v29, v31
	v_cndmask_b32_e32 v19, v37, v19, vcc
	v_add_u32_e32 v30, 2, v27
	v_cmp_gt_u32_e64 s[6:7], v30, v18
	v_cmp_gt_u32_e64 s[8:9], 60, v27
	s_waitcnt lgkmcnt(0)
	v_add_u16_e32 v32, v19, v32
	v_cndmask_b32_e64 v33, v32, v31, s[6:7]
	v_cndmask_b32_e64 v31, 0, 1, s[8:9]
	v_lshlrev_b32_e32 v31, 2, v31
	v_add_lshl_u32 v31, v31, v15, 2
	ds_bpermute_b32 v34, v31, v33
	v_cndmask_b32_e64 v19, v32, v19, s[6:7]
	v_add_u32_e32 v32, 4, v27
	v_cmp_gt_u32_e64 s[6:7], v32, v18
	v_cmp_gt_u32_e64 s[8:9], 56, v27
	s_waitcnt lgkmcnt(0)
	v_add_u16_e32 v34, v19, v34
	v_cndmask_b32_e64 v35, v34, v33, s[6:7]
	v_cndmask_b32_e64 v33, 0, 1, s[8:9]
	v_lshlrev_b32_e32 v33, 3, v33
	v_add_lshl_u32 v33, v33, v15, 2
	ds_bpermute_b32 v36, v33, v35
	v_cndmask_b32_e64 v19, v34, v19, s[6:7]
	;; [unrolled: 11-line block ×3, first 2 shown]
	v_add_u32_e32 v36, 16, v27
	v_cmp_gt_u32_e64 s[6:7], v36, v18
	v_cmp_gt_u32_e64 s[8:9], 32, v27
	s_waitcnt lgkmcnt(0)
	v_add_u16_e32 v40, v19, v39
	v_cndmask_b32_e64 v39, v40, v38, s[6:7]
	v_cndmask_b32_e64 v38, 0, 1, s[8:9]
	v_lshlrev_b32_e32 v38, 5, v38
	v_add_lshl_u32 v38, v38, v15, 2
	ds_bpermute_b32 v15, v38, v39
	v_add_u32_e32 v39, 32, v27
	v_cndmask_b32_e64 v19, v40, v19, s[6:7]
	v_cmp_le_u32_e64 s[6:7], v39, v18
	s_waitcnt lgkmcnt(0)
	v_cndmask_b32_e64 v15, 0, v15, s[6:7]
	v_add_u16_e32 v15, v19, v15
	v_cndmask_b32_e32 v18, v37, v15, vcc
	v_mov_b32_e32 v15, 0
	s_branch .LBB1323_68
.LBB1323_67:                            ;   in Loop: Header=BB1323_68 Depth=1
	s_or_b64 exec, exec, s[6:7]
	v_cmp_eq_u16_sdwa s[6:7], v26, v25 src0_sel:BYTE_0 src1_sel:DWORD
	v_and_b32_e32 v41, 0xffff, v40
	v_and_b32_e32 v18, s7, v17
	ds_bpermute_b32 v42, v28, v41
	v_or_b32_e32 v18, 0x80000000, v18
	v_and_b32_e32 v19, s6, v16
	v_ffbl_b32_e32 v18, v18
	v_add_u32_e32 v18, 32, v18
	v_ffbl_b32_e32 v19, v19
	v_min_u32_e32 v18, v19, v18
	s_waitcnt lgkmcnt(0)
	v_add_u16_e32 v19, v42, v40
	v_cmp_lt_u32_e32 vcc, v27, v18
	v_cndmask_b32_e32 v41, v41, v19, vcc
	ds_bpermute_b32 v42, v29, v41
	v_cndmask_b32_e32 v19, v40, v19, vcc
	v_cmp_gt_u32_e64 s[6:7], v30, v18
	v_subrev_u32_e32 v14, 64, v14
	s_waitcnt lgkmcnt(0)
	v_add_u16_e32 v42, v19, v42
	v_cndmask_b32_e64 v41, v42, v41, s[6:7]
	ds_bpermute_b32 v43, v31, v41
	v_cndmask_b32_e64 v19, v42, v19, s[6:7]
	v_cmp_gt_u32_e64 s[6:7], v32, v18
	s_waitcnt lgkmcnt(0)
	v_add_u16_e32 v42, v19, v43
	v_cndmask_b32_e64 v41, v42, v41, s[6:7]
	ds_bpermute_b32 v43, v33, v41
	v_cndmask_b32_e64 v19, v42, v19, s[6:7]
	v_cmp_gt_u32_e64 s[6:7], v34, v18
	;; [unrolled: 6-line block ×3, first 2 shown]
	s_waitcnt lgkmcnt(0)
	v_add_u16_e32 v42, v19, v43
	v_cndmask_b32_e64 v41, v42, v41, s[6:7]
	ds_bpermute_b32 v41, v38, v41
	v_cndmask_b32_e64 v19, v42, v19, s[6:7]
	v_cmp_le_u32_e64 s[6:7], v39, v18
	s_waitcnt lgkmcnt(0)
	v_cndmask_b32_e64 v18, 0, v41, s[6:7]
	v_add_u16_e32 v18, v19, v18
	v_cndmask_b32_e32 v18, v40, v18, vcc
	v_add_u16_e32 v18, v18, v37
.LBB1323_68:                            ; =>This Loop Header: Depth=1
                                        ;     Child Loop BB1323_71 Depth 2
	v_cmp_ne_u16_sdwa s[6:7], v26, v25 src0_sel:BYTE_0 src1_sel:DWORD
	v_cndmask_b32_e64 v19, 0, 1, s[6:7]
	;;#ASMSTART
	;;#ASMEND
	v_cmp_ne_u32_e32 vcc, 0, v19
	s_cmp_lg_u64 vcc, exec
	v_mov_b32_e32 v37, v18
	s_cbranch_scc1 .LBB1323_73
; %bb.69:                               ;   in Loop: Header=BB1323_68 Depth=1
	v_lshlrev_b64 v[18:19], 2, v[14:15]
	v_mov_b32_e32 v26, s29
	v_add_co_u32_e32 v18, vcc, s28, v18
	v_addc_co_u32_e32 v19, vcc, v26, v19, vcc
	global_load_dword v40, v[18:19], off glc
	s_waitcnt vmcnt(0)
	v_lshrrev_b32_e32 v26, 16, v40
	v_cmp_eq_u16_sdwa s[8:9], v26, v15 src0_sel:BYTE_0 src1_sel:DWORD
	s_and_saveexec_b64 s[6:7], s[8:9]
	s_cbranch_execz .LBB1323_67
; %bb.70:                               ;   in Loop: Header=BB1323_68 Depth=1
	s_mov_b64 s[8:9], 0
.LBB1323_71:                            ;   Parent Loop BB1323_68 Depth=1
                                        ; =>  This Inner Loop Header: Depth=2
	global_load_dword v40, v[18:19], off glc
	s_waitcnt vmcnt(0)
	v_lshrrev_b32_e32 v26, 16, v40
	v_cmp_ne_u16_sdwa s[36:37], v26, v15 src0_sel:BYTE_0 src1_sel:DWORD
	s_or_b64 s[8:9], s[36:37], s[8:9]
	s_andn2_b64 exec, exec, s[8:9]
	s_cbranch_execnz .LBB1323_71
; %bb.72:                               ;   in Loop: Header=BB1323_68 Depth=1
	s_or_b64 exec, exec, s[8:9]
	s_branch .LBB1323_67
.LBB1323_73:                            ;   in Loop: Header=BB1323_68 Depth=1
                                        ; implicit-def: $vgpr18
                                        ; implicit-def: $vgpr26
	s_cbranch_execz .LBB1323_68
; %bb.74:
	s_and_saveexec_b64 s[6:7], s[4:5]
	s_cbranch_execz .LBB1323_76
; %bb.75:
	s_add_i32 s4, s34, 64
	s_mov_b32 s5, 0
	s_lshl_b64 s[4:5], s[4:5], 2
	v_add_u16_e32 v14, v37, v24
	s_add_u32 s4, s28, s4
	v_or_b32_e32 v14, 0x20000, v14
	s_addc_u32 s5, s29, s5
	v_mov_b32_e32 v15, 0
	global_store_dword v15, v14, s[4:5]
.LBB1323_76:
	s_or_b64 exec, exec, s[6:7]
	s_and_b64 exec, exec, s[2:3]
	s_cbranch_execz .LBB1323_78
; %bb.77:
	v_mov_b32_e32 v14, 0
	ds_write_b16 v14, v37
.LBB1323_78:
	s_or_b64 exec, exec, s[10:11]
	v_mov_b32_e32 v14, 0
	s_waitcnt lgkmcnt(0)
	; wave barrier
	s_waitcnt lgkmcnt(0)
	ds_read_u16 v14, v14
	v_cndmask_b32_e64 v15, v23, 0, s[2:3]
	v_add_u16_e32 v15, v15, v10
	s_waitcnt lgkmcnt(0)
	v_add_u16_e32 v14, v15, v14
	v_add_u16_sdwa v15, v14, v10 dst_sel:DWORD dst_unused:UNUSED_PAD src0_sel:DWORD src1_sel:WORD_1
	v_add_u16_e32 v16, v15, v11
	v_add_u16_sdwa v18, v16, v11 dst_sel:DWORD dst_unused:UNUSED_PAD src0_sel:DWORD src1_sel:WORD_1
	v_add_u16_e32 v19, v18, v12
	v_add_u16_sdwa v23, v19, v12 dst_sel:DWORD dst_unused:UNUSED_PAD src0_sel:DWORD src1_sel:WORD_1
	v_add_u16_e32 v29, v23, v13
	v_add_u16_sdwa v36, v29, v13 dst_sel:DWORD dst_unused:UNUSED_PAD src0_sel:DWORD src1_sel:WORD_1
	v_add_u16_e32 v26, v36, v6
	v_add_u16_sdwa v33, v26, v6 dst_sel:DWORD dst_unused:UNUSED_PAD src0_sel:DWORD src1_sel:WORD_1
	v_add_u16_e32 v41, v33, v7
	v_add_u16_sdwa v47, v41, v7 dst_sel:DWORD dst_unused:UNUSED_PAD src0_sel:DWORD src1_sel:WORD_1
	v_add_u16_e32 v53, v47, v8
	v_add_u16_sdwa v54, v53, v8 dst_sel:DWORD dst_unused:UNUSED_PAD src0_sel:DWORD src1_sel:WORD_1
	v_add_u16_e32 v56, v54, v9
	v_add_u16_sdwa v58, v56, v9 dst_sel:DWORD dst_unused:UNUSED_PAD src0_sel:DWORD src1_sel:WORD_1
	v_add_u16_e32 v55, v58, v2
	v_add_u16_sdwa v57, v55, v2 dst_sel:DWORD dst_unused:UNUSED_PAD src0_sel:DWORD src1_sel:WORD_1
	v_add_u16_e32 v59, v57, v3
	v_add_u16_sdwa v60, v59, v3 dst_sel:DWORD dst_unused:UNUSED_PAD src0_sel:DWORD src1_sel:WORD_1
	v_add_u16_e32 v61, v60, v4
	v_add_u16_sdwa v62, v61, v4 dst_sel:DWORD dst_unused:UNUSED_PAD src0_sel:DWORD src1_sel:WORD_1
	v_add_u16_e32 v63, v62, v5
	v_add_u16_sdwa v64, v63, v5 dst_sel:DWORD dst_unused:UNUSED_PAD src0_sel:DWORD src1_sel:WORD_1
	s_branch .LBB1323_97
.LBB1323_79:
                                        ; implicit-def: $vgpr14
                                        ; implicit-def: $vgpr15
                                        ; implicit-def: $vgpr16
                                        ; implicit-def: $vgpr18
                                        ; implicit-def: $vgpr19
                                        ; implicit-def: $vgpr23
                                        ; implicit-def: $vgpr29
                                        ; implicit-def: $vgpr36
                                        ; implicit-def: $vgpr26
                                        ; implicit-def: $vgpr33
                                        ; implicit-def: $vgpr41
                                        ; implicit-def: $vgpr47
                                        ; implicit-def: $vgpr53
                                        ; implicit-def: $vgpr54
                                        ; implicit-def: $vgpr56
                                        ; implicit-def: $vgpr58
                                        ; implicit-def: $vgpr55
                                        ; implicit-def: $vgpr57
                                        ; implicit-def: $vgpr59
                                        ; implicit-def: $vgpr60
                                        ; implicit-def: $vgpr61
                                        ; implicit-def: $vgpr62
                                        ; implicit-def: $vgpr63
                                        ; implicit-def: $vgpr64
	s_cbranch_execz .LBB1323_97
; %bb.80:
	s_cmp_lg_u64 s[16:17], 0
	s_cselect_b64 s[4:5], -1, 0
	s_cmp_eq_u64 s[16:17], 0
	s_cselect_b64 s[10:11], -1, 0
	s_and_b64 s[4:5], s[2:3], s[4:5]
	v_mov_b32_e32 v17, v10
	s_and_saveexec_b64 s[2:3], s[4:5]
	s_cbranch_execz .LBB1323_82
; %bb.81:
	v_mov_b32_e32 v14, 0
	global_load_ushort v14, v14, s[12:13]
	s_waitcnt vmcnt(0)
	v_add_u16_e32 v17, v14, v10
.LBB1323_82:
	s_or_b64 exec, exec, s[2:3]
	v_add_u16_sdwa v24, v17, v10 dst_sel:DWORD dst_unused:UNUSED_PAD src0_sel:DWORD src1_sel:WORD_1
	v_add_u16_e32 v25, v24, v11
	v_add_u16_sdwa v27, v25, v11 dst_sel:DWORD dst_unused:UNUSED_PAD src0_sel:DWORD src1_sel:WORD_1
	v_add_u16_e32 v28, v27, v12
	v_add_u16_sdwa v30, v28, v12 dst_sel:DWORD dst_unused:UNUSED_PAD src0_sel:DWORD src1_sel:WORD_1
	v_add_u16_e32 v31, v30, v13
	v_add_u16_sdwa v32, v31, v13 dst_sel:DWORD dst_unused:UNUSED_PAD src0_sel:DWORD src1_sel:WORD_1
	v_add_u16_e32 v34, v32, v6
	v_add_u16_sdwa v35, v34, v6 dst_sel:DWORD dst_unused:UNUSED_PAD src0_sel:DWORD src1_sel:WORD_1
	v_add_u16_e32 v37, v35, v7
	v_add_u16_sdwa v38, v37, v7 dst_sel:DWORD dst_unused:UNUSED_PAD src0_sel:DWORD src1_sel:WORD_1
	v_add_u16_e32 v39, v38, v8
	v_add_u16_sdwa v40, v39, v8 dst_sel:DWORD dst_unused:UNUSED_PAD src0_sel:DWORD src1_sel:WORD_1
	v_add_u16_e32 v42, v40, v9
	v_add_u16_sdwa v43, v42, v9 dst_sel:DWORD dst_unused:UNUSED_PAD src0_sel:DWORD src1_sel:WORD_1
	v_add_u16_e32 v44, v43, v2
	v_add_u16_sdwa v45, v44, v2 dst_sel:DWORD dst_unused:UNUSED_PAD src0_sel:DWORD src1_sel:WORD_1
	v_add_u16_e32 v46, v45, v3
	v_add_u16_sdwa v48, v46, v3 dst_sel:DWORD dst_unused:UNUSED_PAD src0_sel:DWORD src1_sel:WORD_1
	v_add_u16_e32 v49, v48, v4
	v_add_u16_sdwa v50, v49, v4 dst_sel:DWORD dst_unused:UNUSED_PAD src0_sel:DWORD src1_sel:WORD_1
	v_mbcnt_hi_u32_b32 v22, -1, v22
	v_add_u16_e32 v51, v50, v5
	v_and_b32_e32 v14, 15, v22
	v_and_b32_e32 v65, 16, v22
	v_add_u16_sdwa v52, v51, v5 dst_sel:DWORD dst_unused:UNUSED_PAD src0_sel:DWORD src1_sel:WORD_1
	v_add_u16_sdwa v66, v51, v5 dst_sel:DWORD dst_unused:UNUSED_PAD src0_sel:DWORD src1_sel:WORD_1
	v_cmp_eq_u32_e64 s[8:9], 0, v14
	v_cmp_lt_u32_e64 s[6:7], 1, v14
	v_cmp_lt_u32_e64 s[4:5], 3, v14
	;; [unrolled: 1-line block ×3, first 2 shown]
	s_andn2_b64 vcc, exec, s[10:11]
	v_cmp_ne_u32_e64 s[12:13], 0, v65
	v_cmp_lt_u32_e64 s[10:11], 31, v22
	s_cbranch_vccnz .LBB1323_88
; %bb.83:
	v_mov_b32_dpp v14, v66 row_shr:1 row_mask:0xf bank_mask:0xf
	v_cndmask_b32_e64 v14, v14, 0, s[8:9]
	v_add_u16_e32 v14, v14, v52
	v_cmp_eq_u32_e32 vcc, 63, v0
	s_nop 0
	v_mov_b32_dpp v15, v14 row_shr:2 row_mask:0xf bank_mask:0xf
	v_cndmask_b32_e64 v15, 0, v15, s[6:7]
	v_add_u16_e32 v14, v14, v15
	s_nop 1
	v_mov_b32_dpp v15, v14 row_shr:4 row_mask:0xf bank_mask:0xf
	v_cndmask_b32_e64 v15, 0, v15, s[4:5]
	v_add_u16_e32 v14, v14, v15
	;; [unrolled: 4-line block ×3, first 2 shown]
	s_nop 1
	v_mov_b32_dpp v15, v14 row_bcast:15 row_mask:0xf bank_mask:0xf
	v_cndmask_b32_e64 v15, 0, v15, s[12:13]
	v_add_u16_e32 v14, v14, v15
	s_nop 1
	v_mov_b32_dpp v15, v14 row_bcast:31 row_mask:0xf bank_mask:0xf
	v_cndmask_b32_e64 v15, 0, v15, s[10:11]
	v_add_u16_e32 v14, v14, v15
	s_and_saveexec_b64 s[10:11], vcc
	s_cbranch_execz .LBB1323_85
; %bb.84:
	v_mov_b32_e32 v15, 0
	ds_write_b16 v15, v14
.LBB1323_85:
	s_or_b64 exec, exec, s[10:11]
	v_add_u32_e32 v15, -1, v22
	v_and_b32_e32 v16, 64, v22
	v_cmp_lt_i32_e32 vcc, v15, v16
	v_cndmask_b32_e32 v15, v15, v22, vcc
	v_lshlrev_b32_e32 v15, 2, v15
	ds_bpermute_b32 v67, v15, v14
	v_mov_b32_e32 v64, v52
	v_mov_b32_e32 v63, v51
	;; [unrolled: 1-line block ×24, first 2 shown]
	s_waitcnt lgkmcnt(0)
	; wave barrier
	s_waitcnt lgkmcnt(0)
	s_and_saveexec_b64 s[10:11], s[0:1]
	s_cbranch_execz .LBB1323_87
; %bb.86:
	v_add_u16_e32 v14, v17, v67
	v_add_u16_sdwa v15, v14, v10 dst_sel:DWORD dst_unused:UNUSED_PAD src0_sel:DWORD src1_sel:WORD_1
	v_add_u16_e32 v16, v15, v11
	v_add_u16_sdwa v18, v16, v11 dst_sel:DWORD dst_unused:UNUSED_PAD src0_sel:DWORD src1_sel:WORD_1
	;; [unrolled: 2-line block ×12, first 2 shown]
	;;#ASMSTART
	;;#ASMEND
.LBB1323_87:
	s_or_b64 exec, exec, s[10:11]
	v_add_u16_e32 v14, s33, v14
	v_add_u16_e32 v15, s33, v15
	;; [unrolled: 1-line block ×24, first 2 shown]
	s_branch .LBB1323_94
.LBB1323_88:
                                        ; implicit-def: $vgpr14
                                        ; implicit-def: $vgpr15
                                        ; implicit-def: $vgpr16
                                        ; implicit-def: $vgpr18
                                        ; implicit-def: $vgpr19
                                        ; implicit-def: $vgpr23
                                        ; implicit-def: $vgpr29
                                        ; implicit-def: $vgpr36
                                        ; implicit-def: $vgpr26
                                        ; implicit-def: $vgpr33
                                        ; implicit-def: $vgpr41
                                        ; implicit-def: $vgpr47
                                        ; implicit-def: $vgpr53
                                        ; implicit-def: $vgpr54
                                        ; implicit-def: $vgpr56
                                        ; implicit-def: $vgpr58
                                        ; implicit-def: $vgpr55
                                        ; implicit-def: $vgpr57
                                        ; implicit-def: $vgpr59
                                        ; implicit-def: $vgpr60
                                        ; implicit-def: $vgpr61
                                        ; implicit-def: $vgpr62
                                        ; implicit-def: $vgpr63
                                        ; implicit-def: $vgpr64
	s_cbranch_execz .LBB1323_94
; %bb.89:
	s_nop 0
	v_mov_b32_dpp v14, v66 row_shr:1 row_mask:0xf bank_mask:0xf
	v_cndmask_b32_e64 v14, v14, 0, s[8:9]
	v_add_u16_e32 v14, v14, v52
	v_cmp_ne_u32_e32 vcc, 0, v65
	s_nop 0
	v_mov_b32_dpp v15, v14 row_shr:2 row_mask:0xf bank_mask:0xf
	v_cndmask_b32_e64 v15, 0, v15, s[6:7]
	v_add_u16_e32 v14, v14, v15
	s_nop 1
	v_mov_b32_dpp v15, v14 row_shr:4 row_mask:0xf bank_mask:0xf
	v_cndmask_b32_e64 v15, 0, v15, s[4:5]
	v_add_u16_e32 v14, v14, v15
	;; [unrolled: 4-line block ×3, first 2 shown]
	s_nop 1
	v_mov_b32_dpp v15, v14 row_bcast:15 row_mask:0xf bank_mask:0xf
	v_cndmask_b32_e32 v15, 0, v15, vcc
	v_add_u16_e32 v14, v14, v15
	v_cmp_lt_u32_e32 vcc, 31, v22
	s_nop 0
	v_mov_b32_dpp v15, v14 row_bcast:31 row_mask:0xf bank_mask:0xf
	v_cndmask_b32_e32 v15, 0, v15, vcc
	v_add_u16_e32 v14, v14, v15
	v_cmp_eq_u32_e32 vcc, 63, v0
	s_and_saveexec_b64 s[2:3], vcc
	s_cbranch_execz .LBB1323_91
; %bb.90:
	v_mov_b32_e32 v15, 0
	ds_write_b16 v15, v14
.LBB1323_91:
	s_or_b64 exec, exec, s[2:3]
	v_add_u32_e32 v15, -1, v22
	v_and_b32_e32 v16, 64, v22
	v_cmp_lt_i32_e32 vcc, v15, v16
	v_cndmask_b32_e32 v15, v15, v22, vcc
	v_lshlrev_b32_e32 v15, 2, v15
	ds_bpermute_b32 v14, v15, v14
	s_waitcnt lgkmcnt(0)
	; wave barrier
	s_waitcnt lgkmcnt(0)
	s_and_saveexec_b64 s[2:3], s[0:1]
	s_cbranch_execz .LBB1323_93
; %bb.92:
	v_add_u16_e32 v17, v17, v14
	v_add_u16_sdwa v24, v17, v10 dst_sel:DWORD dst_unused:UNUSED_PAD src0_sel:DWORD src1_sel:WORD_1
	v_add_u16_e32 v25, v24, v11
	v_add_u16_sdwa v27, v25, v11 dst_sel:DWORD dst_unused:UNUSED_PAD src0_sel:DWORD src1_sel:WORD_1
	;; [unrolled: 2-line block ×12, first 2 shown]
	;;#ASMSTART
	;;#ASMEND
.LBB1323_93:
	s_or_b64 exec, exec, s[2:3]
	v_mov_b32_e32 v14, v17
	v_mov_b32_e32 v15, v24
	;; [unrolled: 1-line block ×24, first 2 shown]
.LBB1323_94:
	v_cmp_eq_u32_e32 vcc, 63, v0
	s_and_saveexec_b64 s[0:1], vcc
	s_cbranch_execz .LBB1323_96
; %bb.95:
	s_mov_b32 s2, 0x20000
	v_mov_b32_e32 v2, 0
	v_or_b32_sdwa v3, v64, s2 dst_sel:DWORD dst_unused:UNUSED_PAD src0_sel:WORD_0 src1_sel:DWORD
	global_store_dword v2, v3, s[28:29] offset:256
.LBB1323_96:
	s_or_b64 exec, exec, s[0:1]
.LBB1323_97:
	s_add_u32 s0, s24, s22
	s_addc_u32 s1, s25, s23
	s_add_u32 s2, s0, s26
	s_addc_u32 s3, s1, s27
	s_mov_b64 s[0:1], -1
	s_and_b64 vcc, exec, s[20:21]
	s_waitcnt lgkmcnt(0)
	; wave barrier
	s_cbranch_vccz .LBB1323_99
; %bb.98:
	s_mov_b32 s0, 0x5040100
	v_perm_b32 v5, v36, v29, s0
	v_perm_b32 v4, v23, v19, s0
	;; [unrolled: 1-line block ×4, first 2 shown]
	ds_write_b128 v1, v[2:5]
	v_perm_b32 v5, v58, v56, s0
	v_perm_b32 v4, v54, v53, s0
	;; [unrolled: 1-line block ×4, first 2 shown]
	ds_write_b128 v1, v[2:5] offset:16
	v_perm_b32 v5, v64, v63, s0
	v_perm_b32 v4, v62, v61, s0
	v_perm_b32 v3, v60, v59, s0
	v_perm_b32 v2, v57, v55, s0
	ds_write_b128 v1, v[2:5] offset:32
	s_waitcnt lgkmcnt(0)
	; wave barrier
	s_waitcnt lgkmcnt(0)
	ds_read_u16 v4, v20
	ds_read_u16 v5, v20 offset:128
	ds_read_u16 v6, v20 offset:256
	;; [unrolled: 1-line block ×23, first 2 shown]
	v_mov_b32_e32 v3, s3
	v_add_co_u32_e32 v2, vcc, s2, v20
	v_addc_co_u32_e32 v3, vcc, 0, v3, vcc
	s_waitcnt lgkmcnt(14)
	flat_store_short v[2:3], v4
	flat_store_short v[2:3], v5 offset:128
	flat_store_short v[2:3], v6 offset:256
	;; [unrolled: 1-line block ×9, first 2 shown]
	s_waitcnt lgkmcnt(0)
	flat_store_short v[2:3], v17 offset:1280
	flat_store_short v[2:3], v22 offset:1408
	;; [unrolled: 1-line block ×14, first 2 shown]
	s_mov_b64 s[0:1], 0
.LBB1323_99:
	s_andn2_b64 vcc, exec, s[0:1]
	s_cbranch_vccnz .LBB1323_156
; %bb.100:
	s_mov_b32 s0, 0x5040100
	v_perm_b32 v5, v36, v29, s0
	v_perm_b32 v4, v23, v19, s0
	;; [unrolled: 1-line block ×4, first 2 shown]
	ds_write_b128 v1, v[2:5]
	v_perm_b32 v5, v58, v56, s0
	v_perm_b32 v4, v54, v53, s0
	;; [unrolled: 1-line block ×4, first 2 shown]
	ds_write_b128 v1, v[2:5] offset:16
	v_perm_b32 v5, v64, v63, s0
	v_perm_b32 v4, v62, v61, s0
	;; [unrolled: 1-line block ×4, first 2 shown]
	ds_write_b128 v1, v[2:5] offset:32
	s_waitcnt lgkmcnt(0)
	; wave barrier
	s_waitcnt lgkmcnt(0)
	ds_read_u16 v5, v20
	ds_read_u16 v4, v20 offset:128
	ds_read_u16 v7, v20 offset:256
	;; [unrolled: 1-line block ×23, first 2 shown]
	v_mov_b32_e32 v3, s3
	v_add_co_u32_e32 v2, vcc, s2, v20
	v_addc_co_u32_e32 v3, vcc, 0, v3, vcc
	v_mov_b32_e32 v1, 0
	v_cmp_gt_u32_e32 vcc, s30, v0
	s_and_saveexec_b64 s[0:1], vcc
	s_cbranch_execz .LBB1323_102
; %bb.101:
	s_waitcnt lgkmcnt(0)
	flat_store_short v[2:3], v5
.LBB1323_102:
	s_or_b64 exec, exec, s[0:1]
	v_or_b32_e32 v20, 64, v0
	v_cmp_gt_u32_e32 vcc, s30, v20
	s_and_saveexec_b64 s[0:1], vcc
	s_cbranch_execz .LBB1323_104
; %bb.103:
	s_waitcnt lgkmcnt(0)
	flat_store_short v[2:3], v4 offset:128
.LBB1323_104:
	s_or_b64 exec, exec, s[0:1]
	v_or_b32_e32 v20, 0x80, v0
	v_cmp_gt_u32_e32 vcc, s30, v20
	s_and_saveexec_b64 s[0:1], vcc
	s_cbranch_execz .LBB1323_106
; %bb.105:
	s_waitcnt lgkmcnt(0)
	flat_store_short v[2:3], v7 offset:256
.LBB1323_106:
	;; [unrolled: 9-line block ×23, first 2 shown]
	s_or_b64 exec, exec, s[0:1]
	v_cmp_lt_u64_e64 s[0:1], s[18:19], 2
	s_and_b64 vcc, exec, s[0:1]
	s_cbranch_vccnz .LBB1323_156
; %bb.149:
	s_add_u32 s0, s30, -1
	s_addc_u32 s1, s31, -1
	s_add_u32 s2, 0, 0xaaaa0000
	s_addc_u32 s3, 0, 42
	s_add_i32 s3, s3, 0xaaaaa80
	s_mul_hi_u32 s7, s2, 0xffffffe8
	s_sub_i32 s7, s7, s2
	s_mul_i32 s8, s3, 0xffffffe8
	s_mul_i32 s4, s2, 0xffffffe8
	s_add_i32 s7, s7, s8
	s_mul_hi_u32 s5, s3, s4
	s_mul_i32 s6, s3, s4
	s_mul_i32 s9, s2, s7
	s_mul_hi_u32 s4, s2, s4
	s_mul_hi_u32 s8, s2, s7
	s_add_u32 s4, s4, s9
	s_addc_u32 s8, 0, s8
	s_add_u32 s4, s4, s6
	s_mul_hi_u32 s9, s3, s7
	s_addc_u32 s4, s8, s5
	s_addc_u32 s5, s9, 0
	s_mul_i32 s6, s3, s7
	s_add_u32 s4, s4, s6
	v_mov_b32_e32 v2, s4
	s_addc_u32 s5, 0, s5
	v_add_co_u32_e32 v2, vcc, s2, v2
	s_cmp_lg_u64 vcc, 0
	s_addc_u32 s2, s3, s5
	v_readfirstlane_b32 s5, v2
	s_mul_i32 s4, s0, s2
	s_mul_hi_u32 s6, s0, s5
	s_mul_hi_u32 s3, s0, s2
	s_add_u32 s4, s6, s4
	s_addc_u32 s3, 0, s3
	s_mul_hi_u32 s7, s1, s5
	s_mul_i32 s5, s1, s5
	s_add_u32 s4, s4, s5
	s_mul_hi_u32 s6, s1, s2
	s_addc_u32 s3, s3, s7
	s_addc_u32 s4, s6, 0
	s_mul_i32 s2, s1, s2
	s_add_u32 s2, s3, s2
	s_addc_u32 s3, 0, s4
	s_add_u32 s4, s2, 1
	s_addc_u32 s5, s3, 0
	s_add_u32 s6, s2, 2
	s_mul_i32 s8, s3, 24
	s_mul_hi_u32 s9, s2, 24
	s_addc_u32 s7, s3, 0
	s_add_i32 s9, s9, s8
	s_mul_i32 s8, s2, 24
	v_mov_b32_e32 v2, s8
	v_sub_co_u32_e32 v2, vcc, s0, v2
	s_cmp_lg_u64 vcc, 0
	s_subb_u32 s8, s1, s9
	v_subrev_co_u32_e32 v3, vcc, 24, v2
	s_cmp_lg_u64 vcc, 0
	s_subb_u32 s9, s8, 0
	v_readfirstlane_b32 s10, v3
	s_cmp_gt_u32 s10, 23
	s_cselect_b32 s10, -1, 0
	s_cmp_eq_u32 s9, 0
	s_cselect_b32 s9, s10, -1
	s_cmp_lg_u32 s9, 0
	s_cselect_b32 s4, s6, s4
	v_readfirstlane_b32 s6, v2
	s_cselect_b32 s5, s7, s5
	s_cmp_gt_u32 s6, 23
	s_cselect_b32 s6, -1, 0
	s_cmp_eq_u32 s8, 0
	s_cselect_b32 s6, s6, -1
	s_cmp_lg_u32 s6, 0
	s_cselect_b32 s3, s5, s3
	s_cselect_b32 s2, s4, s2
	v_cmp_eq_u64_e32 vcc, s[2:3], v[0:1]
	s_and_saveexec_b64 s[2:3], vcc
	s_cbranch_execz .LBB1323_156
; %bb.150:
	v_mul_hi_u32_u24_e32 v1, 24, v0
	v_mov_b32_e32 v2, s1
	v_sub_co_u32_e32 v0, vcc, s0, v21
	v_subb_co_u32_e32 v1, vcc, v2, v1, vcc
	v_cmp_lt_i64_e32 vcc, 11, v[0:1]
	s_mov_b64 s[0:1], 0
	s_mov_b64 s[8:9], 0
	;; [unrolled: 1-line block ×4, first 2 shown]
	s_and_saveexec_b64 s[2:3], vcc
	s_xor_b64 s[2:3], exec, s[2:3]
	s_cbranch_execnz .LBB1323_157
; %bb.151:
	s_andn2_saveexec_b64 s[2:3], s[2:3]
	s_cbranch_execnz .LBB1323_202
.LBB1323_152:
	s_or_b64 exec, exec, s[2:3]
	s_and_saveexec_b64 s[2:3], s[8:9]
	s_cbranch_execnz .LBB1323_219
.LBB1323_153:
	s_or_b64 exec, exec, s[2:3]
	s_and_saveexec_b64 s[2:3], s[6:7]
	s_cbranch_execnz .LBB1323_220
.LBB1323_154:
	s_or_b64 exec, exec, s[2:3]
	s_and_saveexec_b64 s[2:3], s[4:5]
	s_xor_b64 s[2:3], exec, s[2:3]
	s_cbranch_execnz .LBB1323_221
.LBB1323_155:
	s_or_b64 exec, exec, s[2:3]
	s_and_b64 exec, exec, s[0:1]
	s_cbranch_execnz .LBB1323_222
.LBB1323_156:
	s_endpgm
.LBB1323_157:
	v_cmp_lt_i64_e32 vcc, 17, v[0:1]
	s_and_saveexec_b64 s[10:11], vcc
	s_xor_b64 s[10:11], exec, s[10:11]
	s_cbranch_execz .LBB1323_179
; %bb.158:
	v_cmp_lt_i64_e32 vcc, 20, v[0:1]
                                        ; implicit-def: $vgpr10
	s_and_saveexec_b64 s[12:13], vcc
	s_xor_b64 s[12:13], exec, s[12:13]
	s_cbranch_execz .LBB1323_168
; %bb.159:
	v_cmp_lt_i64_e32 vcc, 21, v[0:1]
	s_mov_b64 s[16:17], 0
                                        ; implicit-def: $vgpr10
	s_and_saveexec_b64 s[4:5], vcc
	s_xor_b64 s[4:5], exec, s[4:5]
	s_cbranch_execz .LBB1323_165
; %bb.160:
	v_cmp_lt_i64_e32 vcc, 22, v[0:1]
	s_and_saveexec_b64 s[16:17], vcc
	s_xor_b64 s[16:17], exec, s[16:17]
	s_cbranch_execz .LBB1323_162
; %bb.161:
	v_mov_b32_e32 v2, 0
	s_waitcnt lgkmcnt(0)
	global_store_short v2, v29, s[14:15]
                                        ; implicit-def: $vgpr28
.LBB1323_162:
	s_or_saveexec_b64 s[16:17], s[16:17]
	s_mov_b64 s[18:19], 0
	s_xor_b64 exec, exec, s[16:17]
; %bb.163:
	s_mov_b64 s[18:19], exec
; %bb.164:
	s_or_b64 exec, exec, s[16:17]
	s_and_b64 s[16:17], s[18:19], exec
	s_waitcnt lgkmcnt(0)
	v_mov_b32_e32 v10, v28
                                        ; implicit-def: $vgpr11
.LBB1323_165:
	s_andn2_saveexec_b64 s[4:5], s[4:5]
; %bb.166:
	s_mov_b64 s[6:7], exec
                                        ; implicit-def: $vgpr10
; %bb.167:
	s_or_b64 exec, exec, s[4:5]
	s_and_b64 s[4:5], s[16:17], exec
	s_and_b64 s[6:7], s[6:7], exec
                                        ; implicit-def: $vgpr26
                                        ; implicit-def: $vgpr12
                                        ; implicit-def: $vgpr23
.LBB1323_168:
	s_andn2_saveexec_b64 s[12:13], s[12:13]
	s_cbranch_execz .LBB1323_178
; %bb.169:
	v_cmp_lt_i64_e32 vcc, 18, v[0:1]
	s_mov_b64 s[16:17], 0
	s_and_saveexec_b64 s[8:9], vcc
	s_xor_b64 s[8:9], exec, s[8:9]
	s_cbranch_execz .LBB1323_175
; %bb.170:
	v_cmp_lt_i64_e32 vcc, 19, v[0:1]
	s_and_saveexec_b64 s[18:19], vcc
	s_xor_b64 s[18:19], exec, s[18:19]
; %bb.171:
	s_mov_b64 s[16:17], exec
                                        ; implicit-def: $vgpr23
; %bb.172:
	s_andn2_saveexec_b64 s[18:19], s[18:19]
	s_cbranch_execz .LBB1323_174
; %bb.173:
	v_mov_b32_e32 v2, 0
	s_waitcnt lgkmcnt(0)
	global_store_short v2, v23, s[14:15]
                                        ; implicit-def: $vgpr12
.LBB1323_174:
	s_or_b64 exec, exec, s[18:19]
	s_and_b64 s[16:17], s[16:17], exec
                                        ; implicit-def: $vgpr26
.LBB1323_175:
	s_andn2_saveexec_b64 s[8:9], s[8:9]
	s_cbranch_execz .LBB1323_177
; %bb.176:
	v_mov_b32_e32 v2, 0
	s_waitcnt lgkmcnt(0)
	global_store_short v2, v26, s[14:15]
                                        ; implicit-def: $vgpr12
.LBB1323_177:
	s_or_b64 exec, exec, s[8:9]
	s_and_b64 s[8:9], s[16:17], exec
                                        ; implicit-def: $vgpr10
                                        ; implicit-def: $vgpr11
.LBB1323_178:
	s_or_b64 exec, exec, s[12:13]
	s_and_b64 s[4:5], s[4:5], exec
	s_and_b64 s[6:7], s[6:7], exec
	;; [unrolled: 1-line block ×3, first 2 shown]
                                        ; implicit-def: $vgpr18
                                        ; implicit-def: $vgpr13
                                        ; implicit-def: $vgpr14
                                        ; implicit-def: $vgpr24
                                        ; implicit-def: $vgpr27
.LBB1323_179:
	s_andn2_saveexec_b64 s[10:11], s[10:11]
	s_cbranch_execz .LBB1323_201
; %bb.180:
	v_cmp_lt_i64_e32 vcc, 14, v[0:1]
	s_mov_b64 s[12:13], s[4:5]
	s_and_saveexec_b64 s[16:17], vcc
	s_xor_b64 s[16:17], exec, s[16:17]
	s_cbranch_execz .LBB1323_190
; %bb.181:
	v_cmp_lt_i64_e32 vcc, 15, v[0:1]
	s_and_saveexec_b64 s[12:13], vcc
	s_xor_b64 s[12:13], exec, s[12:13]
	s_cbranch_execz .LBB1323_187
; %bb.182:
	v_cmp_lt_i64_e32 vcc, 16, v[0:1]
	s_and_saveexec_b64 s[18:19], vcc
	s_xor_b64 s[18:19], exec, s[18:19]
	s_cbranch_execz .LBB1323_184
; %bb.183:
	v_mov_b32_e32 v2, 0
	s_waitcnt lgkmcnt(0)
	global_store_short v2, v27, s[14:15]
                                        ; implicit-def: $vgpr24
.LBB1323_184:
	s_andn2_saveexec_b64 s[18:19], s[18:19]
	s_cbranch_execz .LBB1323_186
; %bb.185:
	v_mov_b32_e32 v2, 0
	s_waitcnt lgkmcnt(0)
	global_store_short v2, v24, s[14:15]
.LBB1323_186:
	s_or_b64 exec, exec, s[18:19]
                                        ; implicit-def: $vgpr10
.LBB1323_187:
	s_or_saveexec_b64 s[12:13], s[12:13]
	s_mov_b64 s[18:19], s[4:5]
	s_xor_b64 exec, exec, s[12:13]
; %bb.188:
	s_or_b64 s[18:19], s[4:5], exec
; %bb.189:
	s_or_b64 exec, exec, s[12:13]
	s_andn2_b64 s[12:13], s[4:5], exec
	s_and_b64 s[18:19], s[18:19], exec
	s_or_b64 s[12:13], s[12:13], s[18:19]
                                        ; implicit-def: $vgpr18
                                        ; implicit-def: $vgpr13
                                        ; implicit-def: $vgpr14
.LBB1323_190:
	s_or_saveexec_b64 s[16:17], s[16:17]
	s_mov_b64 s[18:19], s[6:7]
                                        ; implicit-def: $vgpr11
	s_xor_b64 exec, exec, s[16:17]
	s_cbranch_execz .LBB1323_200
; %bb.191:
	v_cmp_lt_i64_e32 vcc, 12, v[0:1]
	s_mov_b64 s[20:21], s[6:7]
	s_mov_b64 s[22:23], s[12:13]
                                        ; implicit-def: $vgpr10
                                        ; implicit-def: $vgpr11
	s_and_saveexec_b64 s[18:19], vcc
	s_xor_b64 s[18:19], exec, s[18:19]
	s_cbranch_execz .LBB1323_197
; %bb.192:
	v_cmp_lt_i64_e32 vcc, 13, v[0:1]
	s_mov_b64 s[20:21], s[12:13]
	s_and_saveexec_b64 s[22:23], vcc
	s_xor_b64 s[22:23], exec, s[22:23]
; %bb.193:
	s_or_b64 s[20:21], s[12:13], exec
                                        ; implicit-def: $vgpr13
; %bb.194:
	s_or_saveexec_b64 s[22:23], s[22:23]
	s_mov_b64 s[24:25], s[6:7]
	s_xor_b64 exec, exec, s[22:23]
; %bb.195:
	s_or_b64 s[24:25], s[6:7], exec
                                        ; implicit-def: $vgpr14
; %bb.196:
	s_or_b64 exec, exec, s[22:23]
	s_andn2_b64 s[22:23], s[12:13], exec
	s_and_b64 s[20:21], s[20:21], exec
	s_or_b64 s[22:23], s[22:23], s[20:21]
	s_andn2_b64 s[20:21], s[6:7], exec
	s_and_b64 s[24:25], s[24:25], exec
	s_or_b64 s[20:21], s[20:21], s[24:25]
	s_waitcnt lgkmcnt(0)
	v_mov_b32_e32 v10, v14
	v_mov_b32_e32 v11, v13
                                        ; implicit-def: $vgpr18
.LBB1323_197:
	s_andn2_saveexec_b64 s[18:19], s[18:19]
	s_cbranch_execz .LBB1323_199
; %bb.198:
	s_or_b64 s[20:21], s[20:21], exec
                                        ; implicit-def: $vgpr10
	s_waitcnt lgkmcnt(0)
	v_mov_b32_e32 v11, v18
.LBB1323_199:
	s_or_b64 exec, exec, s[18:19]
	s_andn2_b64 s[12:13], s[12:13], exec
	s_and_b64 s[18:19], s[22:23], exec
	s_or_b64 s[12:13], s[12:13], s[18:19]
	s_andn2_b64 s[18:19], s[6:7], exec
	s_and_b64 s[20:21], s[20:21], exec
	s_or_b64 s[18:19], s[18:19], s[20:21]
.LBB1323_200:
	s_or_b64 exec, exec, s[16:17]
	s_andn2_b64 s[4:5], s[4:5], exec
	s_and_b64 s[12:13], s[12:13], exec
	s_or_b64 s[4:5], s[4:5], s[12:13]
	s_andn2_b64 s[6:7], s[6:7], exec
	s_and_b64 s[12:13], s[18:19], exec
	s_or_b64 s[6:7], s[6:7], s[12:13]
                                        ; implicit-def: $vgpr12
.LBB1323_201:
	s_or_b64 exec, exec, s[10:11]
	s_and_b64 s[4:5], s[4:5], exec
	s_and_b64 s[6:7], s[6:7], exec
	;; [unrolled: 1-line block ×3, first 2 shown]
                                        ; implicit-def: $vgpr17
                                        ; implicit-def: $vgpr15
                                        ; implicit-def: $vgpr16
                                        ; implicit-def: $vgpr25
                                        ; implicit-def: $vgpr22
                                        ; implicit-def: $vgpr19
	s_andn2_saveexec_b64 s[2:3], s[2:3]
	s_cbranch_execz .LBB1323_152
.LBB1323_202:
	v_cmp_lt_i64_e32 vcc, 5, v[0:1]
	s_mov_b64 s[12:13], -1
	s_mov_b64 s[10:11], s[8:9]
	s_mov_b64 s[16:17], s[6:7]
	;; [unrolled: 1-line block ×3, first 2 shown]
                                        ; implicit-def: $vgpr10
                                        ; implicit-def: $vgpr11
                                        ; implicit-def: $vgpr12
	s_and_saveexec_b64 s[0:1], vcc
	s_cbranch_execz .LBB1323_218
; %bb.203:
	v_cmp_lt_i64_e32 vcc, 8, v[0:1]
	s_mov_b64 s[10:11], s[8:9]
                                        ; implicit-def: $vgpr12
	s_and_saveexec_b64 s[12:13], vcc
	s_xor_b64 s[12:13], exec, s[12:13]
	s_cbranch_execz .LBB1323_213
; %bb.204:
	v_cmp_lt_i64_e32 vcc, 9, v[0:1]
	s_and_saveexec_b64 s[10:11], vcc
	s_xor_b64 s[10:11], exec, s[10:11]
	s_cbranch_execz .LBB1323_210
; %bb.205:
	v_cmp_lt_i64_e32 vcc, 10, v[0:1]
	s_and_saveexec_b64 s[16:17], vcc
	s_xor_b64 s[16:17], exec, s[16:17]
; %bb.206:
                                        ; implicit-def: $vgpr22
; %bb.207:
	s_andn2_saveexec_b64 s[16:17], s[16:17]
	s_cbranch_execz .LBB1323_209
; %bb.208:
	s_waitcnt lgkmcnt(0)
	v_mov_b32_e32 v19, v22
.LBB1323_209:
	s_or_b64 exec, exec, s[16:17]
                                        ; implicit-def: $vgpr25
.LBB1323_210:
	s_andn2_saveexec_b64 s[10:11], s[10:11]
	s_cbranch_execz .LBB1323_212
; %bb.211:
	s_waitcnt lgkmcnt(0)
	v_mov_b32_e32 v19, v25
.LBB1323_212:
	s_or_b64 exec, exec, s[10:11]
	s_or_b64 s[10:11], s[8:9], exec
	s_waitcnt lgkmcnt(0)
	v_mov_b32_e32 v12, v19
                                        ; implicit-def: $vgpr17
                                        ; implicit-def: $vgpr15
                                        ; implicit-def: $vgpr16
.LBB1323_213:
	s_or_saveexec_b64 s[12:13], s[12:13]
	s_mov_b64 s[16:17], s[6:7]
	s_mov_b64 s[20:21], s[4:5]
                                        ; implicit-def: $vgpr10
                                        ; implicit-def: $vgpr11
	s_xor_b64 exec, exec, s[12:13]
	s_cbranch_execz .LBB1323_217
; %bb.214:
	v_cmp_lt_i64_e32 vcc, 6, v[0:1]
	s_mov_b64 s[20:21], -1
	s_mov_b64 s[18:19], s[10:11]
	s_mov_b64 s[16:17], s[6:7]
	s_and_saveexec_b64 s[22:23], vcc
; %bb.215:
	v_cmp_lt_i64_e32 vcc, 7, v[0:1]
	s_andn2_b64 s[18:19], s[10:11], exec
	s_and_b64 s[24:25], vcc, exec
	s_xor_b64 s[20:21], exec, -1
	s_or_b64 s[16:17], s[6:7], exec
	s_or_b64 s[18:19], s[18:19], s[24:25]
                                        ; implicit-def: $vgpr17
; %bb.216:
	s_or_b64 exec, exec, s[22:23]
	s_andn2_b64 s[22:23], s[4:5], exec
	s_and_b64 s[20:21], s[20:21], exec
	s_or_b64 s[20:21], s[22:23], s[20:21]
	s_andn2_b64 s[22:23], s[6:7], exec
	s_and_b64 s[16:17], s[16:17], exec
	s_andn2_b64 s[10:11], s[10:11], exec
	s_and_b64 s[18:19], s[18:19], exec
	s_or_b64 s[16:17], s[22:23], s[16:17]
	s_or_b64 s[10:11], s[10:11], s[18:19]
	s_waitcnt lgkmcnt(0)
	v_mov_b32_e32 v10, v17
	v_mov_b32_e32 v11, v15
	;; [unrolled: 1-line block ×3, first 2 shown]
.LBB1323_217:
	s_or_b64 exec, exec, s[12:13]
	s_andn2_b64 s[18:19], s[4:5], exec
	s_and_b64 s[20:21], s[20:21], exec
	s_or_b64 s[18:19], s[18:19], s[20:21]
	s_andn2_b64 s[20:21], s[6:7], exec
	s_and_b64 s[16:17], s[16:17], exec
	s_or_b64 s[16:17], s[20:21], s[16:17]
	s_andn2_b64 s[20:21], s[8:9], exec
	s_and_b64 s[10:11], s[10:11], exec
	s_xor_b64 s[12:13], exec, -1
	s_or_b64 s[10:11], s[20:21], s[10:11]
.LBB1323_218:
	s_or_b64 exec, exec, s[0:1]
	s_and_b64 s[0:1], s[12:13], exec
	s_andn2_b64 s[4:5], s[4:5], exec
	s_and_b64 s[12:13], s[18:19], exec
	s_or_b64 s[4:5], s[4:5], s[12:13]
	s_andn2_b64 s[6:7], s[6:7], exec
	s_and_b64 s[12:13], s[16:17], exec
	s_andn2_b64 s[8:9], s[8:9], exec
	s_and_b64 s[10:11], s[10:11], exec
	s_or_b64 s[6:7], s[6:7], s[12:13]
	s_or_b64 s[8:9], s[8:9], s[10:11]
	s_or_b64 exec, exec, s[2:3]
	s_and_saveexec_b64 s[2:3], s[8:9]
	s_cbranch_execz .LBB1323_153
.LBB1323_219:
	v_mov_b32_e32 v2, 0
	s_andn2_b64 s[6:7], s[6:7], exec
	s_waitcnt lgkmcnt(0)
	global_store_short v2, v12, s[14:15]
                                        ; implicit-def: $vgpr10
                                        ; implicit-def: $vgpr11
	s_or_b64 exec, exec, s[2:3]
	s_and_saveexec_b64 s[2:3], s[6:7]
	s_cbranch_execz .LBB1323_154
.LBB1323_220:
	v_mov_b32_e32 v2, 0
	s_waitcnt lgkmcnt(0)
	global_store_short v2, v11, s[14:15]
                                        ; implicit-def: $vgpr10
	s_or_b64 exec, exec, s[2:3]
	s_and_saveexec_b64 s[2:3], s[4:5]
	s_xor_b64 s[2:3], exec, s[2:3]
	s_cbranch_execz .LBB1323_155
.LBB1323_221:
	v_mov_b32_e32 v2, 0
	s_waitcnt lgkmcnt(0)
	global_store_short v2, v10, s[14:15]
	s_or_b64 exec, exec, s[2:3]
	s_and_b64 exec, exec, s[0:1]
	s_cbranch_execz .LBB1323_156
.LBB1323_222:
	v_cmp_lt_i64_e32 vcc, 2, v[0:1]
	s_and_saveexec_b64 s[0:1], vcc
	s_xor_b64 s[0:1], exec, s[0:1]
	s_cbranch_execz .LBB1323_232
; %bb.223:
	v_cmp_lt_i64_e32 vcc, 3, v[0:1]
	s_and_saveexec_b64 s[2:3], vcc
	s_xor_b64 s[2:3], exec, s[2:3]
	s_cbranch_execz .LBB1323_229
; %bb.224:
	;; [unrolled: 5-line block ×3, first 2 shown]
	v_mov_b32_e32 v0, 0
	s_waitcnt lgkmcnt(0)
	global_store_short v0, v9, s[14:15]
                                        ; implicit-def: $vgpr6
.LBB1323_226:
	s_andn2_saveexec_b64 s[4:5], s[4:5]
	s_cbranch_execz .LBB1323_228
; %bb.227:
	v_mov_b32_e32 v0, 0
	s_waitcnt lgkmcnt(0)
	global_store_short v0, v6, s[14:15]
.LBB1323_228:
	s_or_b64 exec, exec, s[4:5]
                                        ; implicit-def: $vgpr8
.LBB1323_229:
	s_andn2_saveexec_b64 s[2:3], s[2:3]
	s_cbranch_execz .LBB1323_231
; %bb.230:
	v_mov_b32_e32 v0, 0
	s_waitcnt lgkmcnt(0)
	global_store_short v0, v8, s[14:15]
.LBB1323_231:
	s_or_b64 exec, exec, s[2:3]
                                        ; implicit-def: $vgpr0_vgpr1
                                        ; implicit-def: $vgpr7
                                        ; implicit-def: $vgpr4
                                        ; implicit-def: $vgpr5
.LBB1323_232:
	s_andn2_saveexec_b64 s[0:1], s[0:1]
	s_cbranch_execz .LBB1323_156
; %bb.233:
	v_cmp_lt_i64_e32 vcc, 1, v[0:1]
	s_and_saveexec_b64 s[0:1], vcc
	s_xor_b64 s[0:1], exec, s[0:1]
	s_cbranch_execz .LBB1323_235
; %bb.234:
	v_mov_b32_e32 v0, 0
	s_waitcnt lgkmcnt(0)
	global_store_short v0, v7, s[14:15]
                                        ; implicit-def: $vgpr4
                                        ; implicit-def: $vgpr0_vgpr1
                                        ; implicit-def: $vgpr5
.LBB1323_235:
	s_andn2_saveexec_b64 s[0:1], s[0:1]
	s_cbranch_execz .LBB1323_156
; %bb.236:
	v_cmp_ne_u64_e32 vcc, 1, v[0:1]
	s_and_saveexec_b64 s[0:1], vcc
	s_xor_b64 s[0:1], exec, s[0:1]
	s_cbranch_execz .LBB1323_238
; %bb.237:
	v_mov_b32_e32 v0, 0
	s_waitcnt lgkmcnt(0)
	global_store_short v0, v5, s[14:15]
                                        ; implicit-def: $vgpr4
.LBB1323_238:
	s_andn2_saveexec_b64 s[0:1], s[0:1]
	s_cbranch_execz .LBB1323_156
; %bb.239:
	v_mov_b32_e32 v0, 0
	s_waitcnt lgkmcnt(0)
	global_store_short v0, v4, s[14:15]
	s_endpgm
	.section	.rodata,"a",@progbits
	.p2align	6, 0x0
	.amdhsa_kernel _ZN7rocprim17ROCPRIM_400000_NS6detail17trampoline_kernelINS0_14default_configENS1_20scan_config_selectorIsEEZZNS1_9scan_implILNS1_25lookback_scan_determinismE0ELb0ELb1ES3_N6thrust23THRUST_200600_302600_NS6detail15normal_iteratorINS9_10device_ptrIsEEEESE_sNS9_4plusIsEEsEEDaPvRmT3_T4_T5_mT6_P12ihipStream_tbENKUlT_T0_E_clISt17integral_constantIbLb0EEST_IbLb1EEEEDaSP_SQ_EUlSP_E_NS1_11comp_targetILNS1_3genE4ELNS1_11target_archE910ELNS1_3gpuE8ELNS1_3repE0EEENS1_30default_config_static_selectorELNS0_4arch9wavefront6targetE1EEEvT1_
		.amdhsa_group_segment_fixed_size 3072
		.amdhsa_private_segment_fixed_size 0
		.amdhsa_kernarg_size 96
		.amdhsa_user_sgpr_count 6
		.amdhsa_user_sgpr_private_segment_buffer 1
		.amdhsa_user_sgpr_dispatch_ptr 0
		.amdhsa_user_sgpr_queue_ptr 0
		.amdhsa_user_sgpr_kernarg_segment_ptr 1
		.amdhsa_user_sgpr_dispatch_id 0
		.amdhsa_user_sgpr_flat_scratch_init 0
		.amdhsa_user_sgpr_kernarg_preload_length 0
		.amdhsa_user_sgpr_kernarg_preload_offset 0
		.amdhsa_user_sgpr_private_segment_size 0
		.amdhsa_uses_dynamic_stack 0
		.amdhsa_system_sgpr_private_segment_wavefront_offset 0
		.amdhsa_system_sgpr_workgroup_id_x 1
		.amdhsa_system_sgpr_workgroup_id_y 0
		.amdhsa_system_sgpr_workgroup_id_z 0
		.amdhsa_system_sgpr_workgroup_info 0
		.amdhsa_system_vgpr_workitem_id 0
		.amdhsa_next_free_vgpr 68
		.amdhsa_next_free_sgpr 38
		.amdhsa_accum_offset 68
		.amdhsa_reserve_vcc 1
		.amdhsa_reserve_flat_scratch 0
		.amdhsa_float_round_mode_32 0
		.amdhsa_float_round_mode_16_64 0
		.amdhsa_float_denorm_mode_32 3
		.amdhsa_float_denorm_mode_16_64 3
		.amdhsa_dx10_clamp 1
		.amdhsa_ieee_mode 1
		.amdhsa_fp16_overflow 0
		.amdhsa_tg_split 0
		.amdhsa_exception_fp_ieee_invalid_op 0
		.amdhsa_exception_fp_denorm_src 0
		.amdhsa_exception_fp_ieee_div_zero 0
		.amdhsa_exception_fp_ieee_overflow 0
		.amdhsa_exception_fp_ieee_underflow 0
		.amdhsa_exception_fp_ieee_inexact 0
		.amdhsa_exception_int_div_zero 0
	.end_amdhsa_kernel
	.section	.text._ZN7rocprim17ROCPRIM_400000_NS6detail17trampoline_kernelINS0_14default_configENS1_20scan_config_selectorIsEEZZNS1_9scan_implILNS1_25lookback_scan_determinismE0ELb0ELb1ES3_N6thrust23THRUST_200600_302600_NS6detail15normal_iteratorINS9_10device_ptrIsEEEESE_sNS9_4plusIsEEsEEDaPvRmT3_T4_T5_mT6_P12ihipStream_tbENKUlT_T0_E_clISt17integral_constantIbLb0EEST_IbLb1EEEEDaSP_SQ_EUlSP_E_NS1_11comp_targetILNS1_3genE4ELNS1_11target_archE910ELNS1_3gpuE8ELNS1_3repE0EEENS1_30default_config_static_selectorELNS0_4arch9wavefront6targetE1EEEvT1_,"axG",@progbits,_ZN7rocprim17ROCPRIM_400000_NS6detail17trampoline_kernelINS0_14default_configENS1_20scan_config_selectorIsEEZZNS1_9scan_implILNS1_25lookback_scan_determinismE0ELb0ELb1ES3_N6thrust23THRUST_200600_302600_NS6detail15normal_iteratorINS9_10device_ptrIsEEEESE_sNS9_4plusIsEEsEEDaPvRmT3_T4_T5_mT6_P12ihipStream_tbENKUlT_T0_E_clISt17integral_constantIbLb0EEST_IbLb1EEEEDaSP_SQ_EUlSP_E_NS1_11comp_targetILNS1_3genE4ELNS1_11target_archE910ELNS1_3gpuE8ELNS1_3repE0EEENS1_30default_config_static_selectorELNS0_4arch9wavefront6targetE1EEEvT1_,comdat
.Lfunc_end1323:
	.size	_ZN7rocprim17ROCPRIM_400000_NS6detail17trampoline_kernelINS0_14default_configENS1_20scan_config_selectorIsEEZZNS1_9scan_implILNS1_25lookback_scan_determinismE0ELb0ELb1ES3_N6thrust23THRUST_200600_302600_NS6detail15normal_iteratorINS9_10device_ptrIsEEEESE_sNS9_4plusIsEEsEEDaPvRmT3_T4_T5_mT6_P12ihipStream_tbENKUlT_T0_E_clISt17integral_constantIbLb0EEST_IbLb1EEEEDaSP_SQ_EUlSP_E_NS1_11comp_targetILNS1_3genE4ELNS1_11target_archE910ELNS1_3gpuE8ELNS1_3repE0EEENS1_30default_config_static_selectorELNS0_4arch9wavefront6targetE1EEEvT1_, .Lfunc_end1323-_ZN7rocprim17ROCPRIM_400000_NS6detail17trampoline_kernelINS0_14default_configENS1_20scan_config_selectorIsEEZZNS1_9scan_implILNS1_25lookback_scan_determinismE0ELb0ELb1ES3_N6thrust23THRUST_200600_302600_NS6detail15normal_iteratorINS9_10device_ptrIsEEEESE_sNS9_4plusIsEEsEEDaPvRmT3_T4_T5_mT6_P12ihipStream_tbENKUlT_T0_E_clISt17integral_constantIbLb0EEST_IbLb1EEEEDaSP_SQ_EUlSP_E_NS1_11comp_targetILNS1_3genE4ELNS1_11target_archE910ELNS1_3gpuE8ELNS1_3repE0EEENS1_30default_config_static_selectorELNS0_4arch9wavefront6targetE1EEEvT1_
                                        ; -- End function
	.section	.AMDGPU.csdata,"",@progbits
; Kernel info:
; codeLenInByte = 8724
; NumSgprs: 42
; NumVgprs: 68
; NumAgprs: 0
; TotalNumVgprs: 68
; ScratchSize: 0
; MemoryBound: 0
; FloatMode: 240
; IeeeMode: 1
; LDSByteSize: 3072 bytes/workgroup (compile time only)
; SGPRBlocks: 5
; VGPRBlocks: 8
; NumSGPRsForWavesPerEU: 42
; NumVGPRsForWavesPerEU: 68
; AccumOffset: 68
; Occupancy: 6
; WaveLimiterHint : 1
; COMPUTE_PGM_RSRC2:SCRATCH_EN: 0
; COMPUTE_PGM_RSRC2:USER_SGPR: 6
; COMPUTE_PGM_RSRC2:TRAP_HANDLER: 0
; COMPUTE_PGM_RSRC2:TGID_X_EN: 1
; COMPUTE_PGM_RSRC2:TGID_Y_EN: 0
; COMPUTE_PGM_RSRC2:TGID_Z_EN: 0
; COMPUTE_PGM_RSRC2:TIDIG_COMP_CNT: 0
; COMPUTE_PGM_RSRC3_GFX90A:ACCUM_OFFSET: 16
; COMPUTE_PGM_RSRC3_GFX90A:TG_SPLIT: 0
	.section	.text._ZN7rocprim17ROCPRIM_400000_NS6detail17trampoline_kernelINS0_14default_configENS1_20scan_config_selectorIsEEZZNS1_9scan_implILNS1_25lookback_scan_determinismE0ELb0ELb1ES3_N6thrust23THRUST_200600_302600_NS6detail15normal_iteratorINS9_10device_ptrIsEEEESE_sNS9_4plusIsEEsEEDaPvRmT3_T4_T5_mT6_P12ihipStream_tbENKUlT_T0_E_clISt17integral_constantIbLb0EEST_IbLb1EEEEDaSP_SQ_EUlSP_E_NS1_11comp_targetILNS1_3genE3ELNS1_11target_archE908ELNS1_3gpuE7ELNS1_3repE0EEENS1_30default_config_static_selectorELNS0_4arch9wavefront6targetE1EEEvT1_,"axG",@progbits,_ZN7rocprim17ROCPRIM_400000_NS6detail17trampoline_kernelINS0_14default_configENS1_20scan_config_selectorIsEEZZNS1_9scan_implILNS1_25lookback_scan_determinismE0ELb0ELb1ES3_N6thrust23THRUST_200600_302600_NS6detail15normal_iteratorINS9_10device_ptrIsEEEESE_sNS9_4plusIsEEsEEDaPvRmT3_T4_T5_mT6_P12ihipStream_tbENKUlT_T0_E_clISt17integral_constantIbLb0EEST_IbLb1EEEEDaSP_SQ_EUlSP_E_NS1_11comp_targetILNS1_3genE3ELNS1_11target_archE908ELNS1_3gpuE7ELNS1_3repE0EEENS1_30default_config_static_selectorELNS0_4arch9wavefront6targetE1EEEvT1_,comdat
	.protected	_ZN7rocprim17ROCPRIM_400000_NS6detail17trampoline_kernelINS0_14default_configENS1_20scan_config_selectorIsEEZZNS1_9scan_implILNS1_25lookback_scan_determinismE0ELb0ELb1ES3_N6thrust23THRUST_200600_302600_NS6detail15normal_iteratorINS9_10device_ptrIsEEEESE_sNS9_4plusIsEEsEEDaPvRmT3_T4_T5_mT6_P12ihipStream_tbENKUlT_T0_E_clISt17integral_constantIbLb0EEST_IbLb1EEEEDaSP_SQ_EUlSP_E_NS1_11comp_targetILNS1_3genE3ELNS1_11target_archE908ELNS1_3gpuE7ELNS1_3repE0EEENS1_30default_config_static_selectorELNS0_4arch9wavefront6targetE1EEEvT1_ ; -- Begin function _ZN7rocprim17ROCPRIM_400000_NS6detail17trampoline_kernelINS0_14default_configENS1_20scan_config_selectorIsEEZZNS1_9scan_implILNS1_25lookback_scan_determinismE0ELb0ELb1ES3_N6thrust23THRUST_200600_302600_NS6detail15normal_iteratorINS9_10device_ptrIsEEEESE_sNS9_4plusIsEEsEEDaPvRmT3_T4_T5_mT6_P12ihipStream_tbENKUlT_T0_E_clISt17integral_constantIbLb0EEST_IbLb1EEEEDaSP_SQ_EUlSP_E_NS1_11comp_targetILNS1_3genE3ELNS1_11target_archE908ELNS1_3gpuE7ELNS1_3repE0EEENS1_30default_config_static_selectorELNS0_4arch9wavefront6targetE1EEEvT1_
	.globl	_ZN7rocprim17ROCPRIM_400000_NS6detail17trampoline_kernelINS0_14default_configENS1_20scan_config_selectorIsEEZZNS1_9scan_implILNS1_25lookback_scan_determinismE0ELb0ELb1ES3_N6thrust23THRUST_200600_302600_NS6detail15normal_iteratorINS9_10device_ptrIsEEEESE_sNS9_4plusIsEEsEEDaPvRmT3_T4_T5_mT6_P12ihipStream_tbENKUlT_T0_E_clISt17integral_constantIbLb0EEST_IbLb1EEEEDaSP_SQ_EUlSP_E_NS1_11comp_targetILNS1_3genE3ELNS1_11target_archE908ELNS1_3gpuE7ELNS1_3repE0EEENS1_30default_config_static_selectorELNS0_4arch9wavefront6targetE1EEEvT1_
	.p2align	8
	.type	_ZN7rocprim17ROCPRIM_400000_NS6detail17trampoline_kernelINS0_14default_configENS1_20scan_config_selectorIsEEZZNS1_9scan_implILNS1_25lookback_scan_determinismE0ELb0ELb1ES3_N6thrust23THRUST_200600_302600_NS6detail15normal_iteratorINS9_10device_ptrIsEEEESE_sNS9_4plusIsEEsEEDaPvRmT3_T4_T5_mT6_P12ihipStream_tbENKUlT_T0_E_clISt17integral_constantIbLb0EEST_IbLb1EEEEDaSP_SQ_EUlSP_E_NS1_11comp_targetILNS1_3genE3ELNS1_11target_archE908ELNS1_3gpuE7ELNS1_3repE0EEENS1_30default_config_static_selectorELNS0_4arch9wavefront6targetE1EEEvT1_,@function
_ZN7rocprim17ROCPRIM_400000_NS6detail17trampoline_kernelINS0_14default_configENS1_20scan_config_selectorIsEEZZNS1_9scan_implILNS1_25lookback_scan_determinismE0ELb0ELb1ES3_N6thrust23THRUST_200600_302600_NS6detail15normal_iteratorINS9_10device_ptrIsEEEESE_sNS9_4plusIsEEsEEDaPvRmT3_T4_T5_mT6_P12ihipStream_tbENKUlT_T0_E_clISt17integral_constantIbLb0EEST_IbLb1EEEEDaSP_SQ_EUlSP_E_NS1_11comp_targetILNS1_3genE3ELNS1_11target_archE908ELNS1_3gpuE7ELNS1_3repE0EEENS1_30default_config_static_selectorELNS0_4arch9wavefront6targetE1EEEvT1_: ; @_ZN7rocprim17ROCPRIM_400000_NS6detail17trampoline_kernelINS0_14default_configENS1_20scan_config_selectorIsEEZZNS1_9scan_implILNS1_25lookback_scan_determinismE0ELb0ELb1ES3_N6thrust23THRUST_200600_302600_NS6detail15normal_iteratorINS9_10device_ptrIsEEEESE_sNS9_4plusIsEEsEEDaPvRmT3_T4_T5_mT6_P12ihipStream_tbENKUlT_T0_E_clISt17integral_constantIbLb0EEST_IbLb1EEEEDaSP_SQ_EUlSP_E_NS1_11comp_targetILNS1_3genE3ELNS1_11target_archE908ELNS1_3gpuE7ELNS1_3repE0EEENS1_30default_config_static_selectorELNS0_4arch9wavefront6targetE1EEEvT1_
; %bb.0:
	.section	.rodata,"a",@progbits
	.p2align	6, 0x0
	.amdhsa_kernel _ZN7rocprim17ROCPRIM_400000_NS6detail17trampoline_kernelINS0_14default_configENS1_20scan_config_selectorIsEEZZNS1_9scan_implILNS1_25lookback_scan_determinismE0ELb0ELb1ES3_N6thrust23THRUST_200600_302600_NS6detail15normal_iteratorINS9_10device_ptrIsEEEESE_sNS9_4plusIsEEsEEDaPvRmT3_T4_T5_mT6_P12ihipStream_tbENKUlT_T0_E_clISt17integral_constantIbLb0EEST_IbLb1EEEEDaSP_SQ_EUlSP_E_NS1_11comp_targetILNS1_3genE3ELNS1_11target_archE908ELNS1_3gpuE7ELNS1_3repE0EEENS1_30default_config_static_selectorELNS0_4arch9wavefront6targetE1EEEvT1_
		.amdhsa_group_segment_fixed_size 0
		.amdhsa_private_segment_fixed_size 0
		.amdhsa_kernarg_size 96
		.amdhsa_user_sgpr_count 6
		.amdhsa_user_sgpr_private_segment_buffer 1
		.amdhsa_user_sgpr_dispatch_ptr 0
		.amdhsa_user_sgpr_queue_ptr 0
		.amdhsa_user_sgpr_kernarg_segment_ptr 1
		.amdhsa_user_sgpr_dispatch_id 0
		.amdhsa_user_sgpr_flat_scratch_init 0
		.amdhsa_user_sgpr_kernarg_preload_length 0
		.amdhsa_user_sgpr_kernarg_preload_offset 0
		.amdhsa_user_sgpr_private_segment_size 0
		.amdhsa_uses_dynamic_stack 0
		.amdhsa_system_sgpr_private_segment_wavefront_offset 0
		.amdhsa_system_sgpr_workgroup_id_x 1
		.amdhsa_system_sgpr_workgroup_id_y 0
		.amdhsa_system_sgpr_workgroup_id_z 0
		.amdhsa_system_sgpr_workgroup_info 0
		.amdhsa_system_vgpr_workitem_id 0
		.amdhsa_next_free_vgpr 1
		.amdhsa_next_free_sgpr 0
		.amdhsa_accum_offset 4
		.amdhsa_reserve_vcc 0
		.amdhsa_reserve_flat_scratch 0
		.amdhsa_float_round_mode_32 0
		.amdhsa_float_round_mode_16_64 0
		.amdhsa_float_denorm_mode_32 3
		.amdhsa_float_denorm_mode_16_64 3
		.amdhsa_dx10_clamp 1
		.amdhsa_ieee_mode 1
		.amdhsa_fp16_overflow 0
		.amdhsa_tg_split 0
		.amdhsa_exception_fp_ieee_invalid_op 0
		.amdhsa_exception_fp_denorm_src 0
		.amdhsa_exception_fp_ieee_div_zero 0
		.amdhsa_exception_fp_ieee_overflow 0
		.amdhsa_exception_fp_ieee_underflow 0
		.amdhsa_exception_fp_ieee_inexact 0
		.amdhsa_exception_int_div_zero 0
	.end_amdhsa_kernel
	.section	.text._ZN7rocprim17ROCPRIM_400000_NS6detail17trampoline_kernelINS0_14default_configENS1_20scan_config_selectorIsEEZZNS1_9scan_implILNS1_25lookback_scan_determinismE0ELb0ELb1ES3_N6thrust23THRUST_200600_302600_NS6detail15normal_iteratorINS9_10device_ptrIsEEEESE_sNS9_4plusIsEEsEEDaPvRmT3_T4_T5_mT6_P12ihipStream_tbENKUlT_T0_E_clISt17integral_constantIbLb0EEST_IbLb1EEEEDaSP_SQ_EUlSP_E_NS1_11comp_targetILNS1_3genE3ELNS1_11target_archE908ELNS1_3gpuE7ELNS1_3repE0EEENS1_30default_config_static_selectorELNS0_4arch9wavefront6targetE1EEEvT1_,"axG",@progbits,_ZN7rocprim17ROCPRIM_400000_NS6detail17trampoline_kernelINS0_14default_configENS1_20scan_config_selectorIsEEZZNS1_9scan_implILNS1_25lookback_scan_determinismE0ELb0ELb1ES3_N6thrust23THRUST_200600_302600_NS6detail15normal_iteratorINS9_10device_ptrIsEEEESE_sNS9_4plusIsEEsEEDaPvRmT3_T4_T5_mT6_P12ihipStream_tbENKUlT_T0_E_clISt17integral_constantIbLb0EEST_IbLb1EEEEDaSP_SQ_EUlSP_E_NS1_11comp_targetILNS1_3genE3ELNS1_11target_archE908ELNS1_3gpuE7ELNS1_3repE0EEENS1_30default_config_static_selectorELNS0_4arch9wavefront6targetE1EEEvT1_,comdat
.Lfunc_end1324:
	.size	_ZN7rocprim17ROCPRIM_400000_NS6detail17trampoline_kernelINS0_14default_configENS1_20scan_config_selectorIsEEZZNS1_9scan_implILNS1_25lookback_scan_determinismE0ELb0ELb1ES3_N6thrust23THRUST_200600_302600_NS6detail15normal_iteratorINS9_10device_ptrIsEEEESE_sNS9_4plusIsEEsEEDaPvRmT3_T4_T5_mT6_P12ihipStream_tbENKUlT_T0_E_clISt17integral_constantIbLb0EEST_IbLb1EEEEDaSP_SQ_EUlSP_E_NS1_11comp_targetILNS1_3genE3ELNS1_11target_archE908ELNS1_3gpuE7ELNS1_3repE0EEENS1_30default_config_static_selectorELNS0_4arch9wavefront6targetE1EEEvT1_, .Lfunc_end1324-_ZN7rocprim17ROCPRIM_400000_NS6detail17trampoline_kernelINS0_14default_configENS1_20scan_config_selectorIsEEZZNS1_9scan_implILNS1_25lookback_scan_determinismE0ELb0ELb1ES3_N6thrust23THRUST_200600_302600_NS6detail15normal_iteratorINS9_10device_ptrIsEEEESE_sNS9_4plusIsEEsEEDaPvRmT3_T4_T5_mT6_P12ihipStream_tbENKUlT_T0_E_clISt17integral_constantIbLb0EEST_IbLb1EEEEDaSP_SQ_EUlSP_E_NS1_11comp_targetILNS1_3genE3ELNS1_11target_archE908ELNS1_3gpuE7ELNS1_3repE0EEENS1_30default_config_static_selectorELNS0_4arch9wavefront6targetE1EEEvT1_
                                        ; -- End function
	.section	.AMDGPU.csdata,"",@progbits
; Kernel info:
; codeLenInByte = 0
; NumSgprs: 4
; NumVgprs: 0
; NumAgprs: 0
; TotalNumVgprs: 0
; ScratchSize: 0
; MemoryBound: 0
; FloatMode: 240
; IeeeMode: 1
; LDSByteSize: 0 bytes/workgroup (compile time only)
; SGPRBlocks: 0
; VGPRBlocks: 0
; NumSGPRsForWavesPerEU: 4
; NumVGPRsForWavesPerEU: 1
; AccumOffset: 4
; Occupancy: 8
; WaveLimiterHint : 0
; COMPUTE_PGM_RSRC2:SCRATCH_EN: 0
; COMPUTE_PGM_RSRC2:USER_SGPR: 6
; COMPUTE_PGM_RSRC2:TRAP_HANDLER: 0
; COMPUTE_PGM_RSRC2:TGID_X_EN: 1
; COMPUTE_PGM_RSRC2:TGID_Y_EN: 0
; COMPUTE_PGM_RSRC2:TGID_Z_EN: 0
; COMPUTE_PGM_RSRC2:TIDIG_COMP_CNT: 0
; COMPUTE_PGM_RSRC3_GFX90A:ACCUM_OFFSET: 0
; COMPUTE_PGM_RSRC3_GFX90A:TG_SPLIT: 0
	.section	.text._ZN7rocprim17ROCPRIM_400000_NS6detail17trampoline_kernelINS0_14default_configENS1_20scan_config_selectorIsEEZZNS1_9scan_implILNS1_25lookback_scan_determinismE0ELb0ELb1ES3_N6thrust23THRUST_200600_302600_NS6detail15normal_iteratorINS9_10device_ptrIsEEEESE_sNS9_4plusIsEEsEEDaPvRmT3_T4_T5_mT6_P12ihipStream_tbENKUlT_T0_E_clISt17integral_constantIbLb0EEST_IbLb1EEEEDaSP_SQ_EUlSP_E_NS1_11comp_targetILNS1_3genE2ELNS1_11target_archE906ELNS1_3gpuE6ELNS1_3repE0EEENS1_30default_config_static_selectorELNS0_4arch9wavefront6targetE1EEEvT1_,"axG",@progbits,_ZN7rocprim17ROCPRIM_400000_NS6detail17trampoline_kernelINS0_14default_configENS1_20scan_config_selectorIsEEZZNS1_9scan_implILNS1_25lookback_scan_determinismE0ELb0ELb1ES3_N6thrust23THRUST_200600_302600_NS6detail15normal_iteratorINS9_10device_ptrIsEEEESE_sNS9_4plusIsEEsEEDaPvRmT3_T4_T5_mT6_P12ihipStream_tbENKUlT_T0_E_clISt17integral_constantIbLb0EEST_IbLb1EEEEDaSP_SQ_EUlSP_E_NS1_11comp_targetILNS1_3genE2ELNS1_11target_archE906ELNS1_3gpuE6ELNS1_3repE0EEENS1_30default_config_static_selectorELNS0_4arch9wavefront6targetE1EEEvT1_,comdat
	.protected	_ZN7rocprim17ROCPRIM_400000_NS6detail17trampoline_kernelINS0_14default_configENS1_20scan_config_selectorIsEEZZNS1_9scan_implILNS1_25lookback_scan_determinismE0ELb0ELb1ES3_N6thrust23THRUST_200600_302600_NS6detail15normal_iteratorINS9_10device_ptrIsEEEESE_sNS9_4plusIsEEsEEDaPvRmT3_T4_T5_mT6_P12ihipStream_tbENKUlT_T0_E_clISt17integral_constantIbLb0EEST_IbLb1EEEEDaSP_SQ_EUlSP_E_NS1_11comp_targetILNS1_3genE2ELNS1_11target_archE906ELNS1_3gpuE6ELNS1_3repE0EEENS1_30default_config_static_selectorELNS0_4arch9wavefront6targetE1EEEvT1_ ; -- Begin function _ZN7rocprim17ROCPRIM_400000_NS6detail17trampoline_kernelINS0_14default_configENS1_20scan_config_selectorIsEEZZNS1_9scan_implILNS1_25lookback_scan_determinismE0ELb0ELb1ES3_N6thrust23THRUST_200600_302600_NS6detail15normal_iteratorINS9_10device_ptrIsEEEESE_sNS9_4plusIsEEsEEDaPvRmT3_T4_T5_mT6_P12ihipStream_tbENKUlT_T0_E_clISt17integral_constantIbLb0EEST_IbLb1EEEEDaSP_SQ_EUlSP_E_NS1_11comp_targetILNS1_3genE2ELNS1_11target_archE906ELNS1_3gpuE6ELNS1_3repE0EEENS1_30default_config_static_selectorELNS0_4arch9wavefront6targetE1EEEvT1_
	.globl	_ZN7rocprim17ROCPRIM_400000_NS6detail17trampoline_kernelINS0_14default_configENS1_20scan_config_selectorIsEEZZNS1_9scan_implILNS1_25lookback_scan_determinismE0ELb0ELb1ES3_N6thrust23THRUST_200600_302600_NS6detail15normal_iteratorINS9_10device_ptrIsEEEESE_sNS9_4plusIsEEsEEDaPvRmT3_T4_T5_mT6_P12ihipStream_tbENKUlT_T0_E_clISt17integral_constantIbLb0EEST_IbLb1EEEEDaSP_SQ_EUlSP_E_NS1_11comp_targetILNS1_3genE2ELNS1_11target_archE906ELNS1_3gpuE6ELNS1_3repE0EEENS1_30default_config_static_selectorELNS0_4arch9wavefront6targetE1EEEvT1_
	.p2align	8
	.type	_ZN7rocprim17ROCPRIM_400000_NS6detail17trampoline_kernelINS0_14default_configENS1_20scan_config_selectorIsEEZZNS1_9scan_implILNS1_25lookback_scan_determinismE0ELb0ELb1ES3_N6thrust23THRUST_200600_302600_NS6detail15normal_iteratorINS9_10device_ptrIsEEEESE_sNS9_4plusIsEEsEEDaPvRmT3_T4_T5_mT6_P12ihipStream_tbENKUlT_T0_E_clISt17integral_constantIbLb0EEST_IbLb1EEEEDaSP_SQ_EUlSP_E_NS1_11comp_targetILNS1_3genE2ELNS1_11target_archE906ELNS1_3gpuE6ELNS1_3repE0EEENS1_30default_config_static_selectorELNS0_4arch9wavefront6targetE1EEEvT1_,@function
_ZN7rocprim17ROCPRIM_400000_NS6detail17trampoline_kernelINS0_14default_configENS1_20scan_config_selectorIsEEZZNS1_9scan_implILNS1_25lookback_scan_determinismE0ELb0ELb1ES3_N6thrust23THRUST_200600_302600_NS6detail15normal_iteratorINS9_10device_ptrIsEEEESE_sNS9_4plusIsEEsEEDaPvRmT3_T4_T5_mT6_P12ihipStream_tbENKUlT_T0_E_clISt17integral_constantIbLb0EEST_IbLb1EEEEDaSP_SQ_EUlSP_E_NS1_11comp_targetILNS1_3genE2ELNS1_11target_archE906ELNS1_3gpuE6ELNS1_3repE0EEENS1_30default_config_static_selectorELNS0_4arch9wavefront6targetE1EEEvT1_: ; @_ZN7rocprim17ROCPRIM_400000_NS6detail17trampoline_kernelINS0_14default_configENS1_20scan_config_selectorIsEEZZNS1_9scan_implILNS1_25lookback_scan_determinismE0ELb0ELb1ES3_N6thrust23THRUST_200600_302600_NS6detail15normal_iteratorINS9_10device_ptrIsEEEESE_sNS9_4plusIsEEsEEDaPvRmT3_T4_T5_mT6_P12ihipStream_tbENKUlT_T0_E_clISt17integral_constantIbLb0EEST_IbLb1EEEEDaSP_SQ_EUlSP_E_NS1_11comp_targetILNS1_3genE2ELNS1_11target_archE906ELNS1_3gpuE6ELNS1_3repE0EEENS1_30default_config_static_selectorELNS0_4arch9wavefront6targetE1EEEvT1_
; %bb.0:
	.section	.rodata,"a",@progbits
	.p2align	6, 0x0
	.amdhsa_kernel _ZN7rocprim17ROCPRIM_400000_NS6detail17trampoline_kernelINS0_14default_configENS1_20scan_config_selectorIsEEZZNS1_9scan_implILNS1_25lookback_scan_determinismE0ELb0ELb1ES3_N6thrust23THRUST_200600_302600_NS6detail15normal_iteratorINS9_10device_ptrIsEEEESE_sNS9_4plusIsEEsEEDaPvRmT3_T4_T5_mT6_P12ihipStream_tbENKUlT_T0_E_clISt17integral_constantIbLb0EEST_IbLb1EEEEDaSP_SQ_EUlSP_E_NS1_11comp_targetILNS1_3genE2ELNS1_11target_archE906ELNS1_3gpuE6ELNS1_3repE0EEENS1_30default_config_static_selectorELNS0_4arch9wavefront6targetE1EEEvT1_
		.amdhsa_group_segment_fixed_size 0
		.amdhsa_private_segment_fixed_size 0
		.amdhsa_kernarg_size 96
		.amdhsa_user_sgpr_count 6
		.amdhsa_user_sgpr_private_segment_buffer 1
		.amdhsa_user_sgpr_dispatch_ptr 0
		.amdhsa_user_sgpr_queue_ptr 0
		.amdhsa_user_sgpr_kernarg_segment_ptr 1
		.amdhsa_user_sgpr_dispatch_id 0
		.amdhsa_user_sgpr_flat_scratch_init 0
		.amdhsa_user_sgpr_kernarg_preload_length 0
		.amdhsa_user_sgpr_kernarg_preload_offset 0
		.amdhsa_user_sgpr_private_segment_size 0
		.amdhsa_uses_dynamic_stack 0
		.amdhsa_system_sgpr_private_segment_wavefront_offset 0
		.amdhsa_system_sgpr_workgroup_id_x 1
		.amdhsa_system_sgpr_workgroup_id_y 0
		.amdhsa_system_sgpr_workgroup_id_z 0
		.amdhsa_system_sgpr_workgroup_info 0
		.amdhsa_system_vgpr_workitem_id 0
		.amdhsa_next_free_vgpr 1
		.amdhsa_next_free_sgpr 0
		.amdhsa_accum_offset 4
		.amdhsa_reserve_vcc 0
		.amdhsa_reserve_flat_scratch 0
		.amdhsa_float_round_mode_32 0
		.amdhsa_float_round_mode_16_64 0
		.amdhsa_float_denorm_mode_32 3
		.amdhsa_float_denorm_mode_16_64 3
		.amdhsa_dx10_clamp 1
		.amdhsa_ieee_mode 1
		.amdhsa_fp16_overflow 0
		.amdhsa_tg_split 0
		.amdhsa_exception_fp_ieee_invalid_op 0
		.amdhsa_exception_fp_denorm_src 0
		.amdhsa_exception_fp_ieee_div_zero 0
		.amdhsa_exception_fp_ieee_overflow 0
		.amdhsa_exception_fp_ieee_underflow 0
		.amdhsa_exception_fp_ieee_inexact 0
		.amdhsa_exception_int_div_zero 0
	.end_amdhsa_kernel
	.section	.text._ZN7rocprim17ROCPRIM_400000_NS6detail17trampoline_kernelINS0_14default_configENS1_20scan_config_selectorIsEEZZNS1_9scan_implILNS1_25lookback_scan_determinismE0ELb0ELb1ES3_N6thrust23THRUST_200600_302600_NS6detail15normal_iteratorINS9_10device_ptrIsEEEESE_sNS9_4plusIsEEsEEDaPvRmT3_T4_T5_mT6_P12ihipStream_tbENKUlT_T0_E_clISt17integral_constantIbLb0EEST_IbLb1EEEEDaSP_SQ_EUlSP_E_NS1_11comp_targetILNS1_3genE2ELNS1_11target_archE906ELNS1_3gpuE6ELNS1_3repE0EEENS1_30default_config_static_selectorELNS0_4arch9wavefront6targetE1EEEvT1_,"axG",@progbits,_ZN7rocprim17ROCPRIM_400000_NS6detail17trampoline_kernelINS0_14default_configENS1_20scan_config_selectorIsEEZZNS1_9scan_implILNS1_25lookback_scan_determinismE0ELb0ELb1ES3_N6thrust23THRUST_200600_302600_NS6detail15normal_iteratorINS9_10device_ptrIsEEEESE_sNS9_4plusIsEEsEEDaPvRmT3_T4_T5_mT6_P12ihipStream_tbENKUlT_T0_E_clISt17integral_constantIbLb0EEST_IbLb1EEEEDaSP_SQ_EUlSP_E_NS1_11comp_targetILNS1_3genE2ELNS1_11target_archE906ELNS1_3gpuE6ELNS1_3repE0EEENS1_30default_config_static_selectorELNS0_4arch9wavefront6targetE1EEEvT1_,comdat
.Lfunc_end1325:
	.size	_ZN7rocprim17ROCPRIM_400000_NS6detail17trampoline_kernelINS0_14default_configENS1_20scan_config_selectorIsEEZZNS1_9scan_implILNS1_25lookback_scan_determinismE0ELb0ELb1ES3_N6thrust23THRUST_200600_302600_NS6detail15normal_iteratorINS9_10device_ptrIsEEEESE_sNS9_4plusIsEEsEEDaPvRmT3_T4_T5_mT6_P12ihipStream_tbENKUlT_T0_E_clISt17integral_constantIbLb0EEST_IbLb1EEEEDaSP_SQ_EUlSP_E_NS1_11comp_targetILNS1_3genE2ELNS1_11target_archE906ELNS1_3gpuE6ELNS1_3repE0EEENS1_30default_config_static_selectorELNS0_4arch9wavefront6targetE1EEEvT1_, .Lfunc_end1325-_ZN7rocprim17ROCPRIM_400000_NS6detail17trampoline_kernelINS0_14default_configENS1_20scan_config_selectorIsEEZZNS1_9scan_implILNS1_25lookback_scan_determinismE0ELb0ELb1ES3_N6thrust23THRUST_200600_302600_NS6detail15normal_iteratorINS9_10device_ptrIsEEEESE_sNS9_4plusIsEEsEEDaPvRmT3_T4_T5_mT6_P12ihipStream_tbENKUlT_T0_E_clISt17integral_constantIbLb0EEST_IbLb1EEEEDaSP_SQ_EUlSP_E_NS1_11comp_targetILNS1_3genE2ELNS1_11target_archE906ELNS1_3gpuE6ELNS1_3repE0EEENS1_30default_config_static_selectorELNS0_4arch9wavefront6targetE1EEEvT1_
                                        ; -- End function
	.section	.AMDGPU.csdata,"",@progbits
; Kernel info:
; codeLenInByte = 0
; NumSgprs: 4
; NumVgprs: 0
; NumAgprs: 0
; TotalNumVgprs: 0
; ScratchSize: 0
; MemoryBound: 0
; FloatMode: 240
; IeeeMode: 1
; LDSByteSize: 0 bytes/workgroup (compile time only)
; SGPRBlocks: 0
; VGPRBlocks: 0
; NumSGPRsForWavesPerEU: 4
; NumVGPRsForWavesPerEU: 1
; AccumOffset: 4
; Occupancy: 8
; WaveLimiterHint : 0
; COMPUTE_PGM_RSRC2:SCRATCH_EN: 0
; COMPUTE_PGM_RSRC2:USER_SGPR: 6
; COMPUTE_PGM_RSRC2:TRAP_HANDLER: 0
; COMPUTE_PGM_RSRC2:TGID_X_EN: 1
; COMPUTE_PGM_RSRC2:TGID_Y_EN: 0
; COMPUTE_PGM_RSRC2:TGID_Z_EN: 0
; COMPUTE_PGM_RSRC2:TIDIG_COMP_CNT: 0
; COMPUTE_PGM_RSRC3_GFX90A:ACCUM_OFFSET: 0
; COMPUTE_PGM_RSRC3_GFX90A:TG_SPLIT: 0
	.section	.text._ZN7rocprim17ROCPRIM_400000_NS6detail17trampoline_kernelINS0_14default_configENS1_20scan_config_selectorIsEEZZNS1_9scan_implILNS1_25lookback_scan_determinismE0ELb0ELb1ES3_N6thrust23THRUST_200600_302600_NS6detail15normal_iteratorINS9_10device_ptrIsEEEESE_sNS9_4plusIsEEsEEDaPvRmT3_T4_T5_mT6_P12ihipStream_tbENKUlT_T0_E_clISt17integral_constantIbLb0EEST_IbLb1EEEEDaSP_SQ_EUlSP_E_NS1_11comp_targetILNS1_3genE10ELNS1_11target_archE1201ELNS1_3gpuE5ELNS1_3repE0EEENS1_30default_config_static_selectorELNS0_4arch9wavefront6targetE1EEEvT1_,"axG",@progbits,_ZN7rocprim17ROCPRIM_400000_NS6detail17trampoline_kernelINS0_14default_configENS1_20scan_config_selectorIsEEZZNS1_9scan_implILNS1_25lookback_scan_determinismE0ELb0ELb1ES3_N6thrust23THRUST_200600_302600_NS6detail15normal_iteratorINS9_10device_ptrIsEEEESE_sNS9_4plusIsEEsEEDaPvRmT3_T4_T5_mT6_P12ihipStream_tbENKUlT_T0_E_clISt17integral_constantIbLb0EEST_IbLb1EEEEDaSP_SQ_EUlSP_E_NS1_11comp_targetILNS1_3genE10ELNS1_11target_archE1201ELNS1_3gpuE5ELNS1_3repE0EEENS1_30default_config_static_selectorELNS0_4arch9wavefront6targetE1EEEvT1_,comdat
	.protected	_ZN7rocprim17ROCPRIM_400000_NS6detail17trampoline_kernelINS0_14default_configENS1_20scan_config_selectorIsEEZZNS1_9scan_implILNS1_25lookback_scan_determinismE0ELb0ELb1ES3_N6thrust23THRUST_200600_302600_NS6detail15normal_iteratorINS9_10device_ptrIsEEEESE_sNS9_4plusIsEEsEEDaPvRmT3_T4_T5_mT6_P12ihipStream_tbENKUlT_T0_E_clISt17integral_constantIbLb0EEST_IbLb1EEEEDaSP_SQ_EUlSP_E_NS1_11comp_targetILNS1_3genE10ELNS1_11target_archE1201ELNS1_3gpuE5ELNS1_3repE0EEENS1_30default_config_static_selectorELNS0_4arch9wavefront6targetE1EEEvT1_ ; -- Begin function _ZN7rocprim17ROCPRIM_400000_NS6detail17trampoline_kernelINS0_14default_configENS1_20scan_config_selectorIsEEZZNS1_9scan_implILNS1_25lookback_scan_determinismE0ELb0ELb1ES3_N6thrust23THRUST_200600_302600_NS6detail15normal_iteratorINS9_10device_ptrIsEEEESE_sNS9_4plusIsEEsEEDaPvRmT3_T4_T5_mT6_P12ihipStream_tbENKUlT_T0_E_clISt17integral_constantIbLb0EEST_IbLb1EEEEDaSP_SQ_EUlSP_E_NS1_11comp_targetILNS1_3genE10ELNS1_11target_archE1201ELNS1_3gpuE5ELNS1_3repE0EEENS1_30default_config_static_selectorELNS0_4arch9wavefront6targetE1EEEvT1_
	.globl	_ZN7rocprim17ROCPRIM_400000_NS6detail17trampoline_kernelINS0_14default_configENS1_20scan_config_selectorIsEEZZNS1_9scan_implILNS1_25lookback_scan_determinismE0ELb0ELb1ES3_N6thrust23THRUST_200600_302600_NS6detail15normal_iteratorINS9_10device_ptrIsEEEESE_sNS9_4plusIsEEsEEDaPvRmT3_T4_T5_mT6_P12ihipStream_tbENKUlT_T0_E_clISt17integral_constantIbLb0EEST_IbLb1EEEEDaSP_SQ_EUlSP_E_NS1_11comp_targetILNS1_3genE10ELNS1_11target_archE1201ELNS1_3gpuE5ELNS1_3repE0EEENS1_30default_config_static_selectorELNS0_4arch9wavefront6targetE1EEEvT1_
	.p2align	8
	.type	_ZN7rocprim17ROCPRIM_400000_NS6detail17trampoline_kernelINS0_14default_configENS1_20scan_config_selectorIsEEZZNS1_9scan_implILNS1_25lookback_scan_determinismE0ELb0ELb1ES3_N6thrust23THRUST_200600_302600_NS6detail15normal_iteratorINS9_10device_ptrIsEEEESE_sNS9_4plusIsEEsEEDaPvRmT3_T4_T5_mT6_P12ihipStream_tbENKUlT_T0_E_clISt17integral_constantIbLb0EEST_IbLb1EEEEDaSP_SQ_EUlSP_E_NS1_11comp_targetILNS1_3genE10ELNS1_11target_archE1201ELNS1_3gpuE5ELNS1_3repE0EEENS1_30default_config_static_selectorELNS0_4arch9wavefront6targetE1EEEvT1_,@function
_ZN7rocprim17ROCPRIM_400000_NS6detail17trampoline_kernelINS0_14default_configENS1_20scan_config_selectorIsEEZZNS1_9scan_implILNS1_25lookback_scan_determinismE0ELb0ELb1ES3_N6thrust23THRUST_200600_302600_NS6detail15normal_iteratorINS9_10device_ptrIsEEEESE_sNS9_4plusIsEEsEEDaPvRmT3_T4_T5_mT6_P12ihipStream_tbENKUlT_T0_E_clISt17integral_constantIbLb0EEST_IbLb1EEEEDaSP_SQ_EUlSP_E_NS1_11comp_targetILNS1_3genE10ELNS1_11target_archE1201ELNS1_3gpuE5ELNS1_3repE0EEENS1_30default_config_static_selectorELNS0_4arch9wavefront6targetE1EEEvT1_: ; @_ZN7rocprim17ROCPRIM_400000_NS6detail17trampoline_kernelINS0_14default_configENS1_20scan_config_selectorIsEEZZNS1_9scan_implILNS1_25lookback_scan_determinismE0ELb0ELb1ES3_N6thrust23THRUST_200600_302600_NS6detail15normal_iteratorINS9_10device_ptrIsEEEESE_sNS9_4plusIsEEsEEDaPvRmT3_T4_T5_mT6_P12ihipStream_tbENKUlT_T0_E_clISt17integral_constantIbLb0EEST_IbLb1EEEEDaSP_SQ_EUlSP_E_NS1_11comp_targetILNS1_3genE10ELNS1_11target_archE1201ELNS1_3gpuE5ELNS1_3repE0EEENS1_30default_config_static_selectorELNS0_4arch9wavefront6targetE1EEEvT1_
; %bb.0:
	.section	.rodata,"a",@progbits
	.p2align	6, 0x0
	.amdhsa_kernel _ZN7rocprim17ROCPRIM_400000_NS6detail17trampoline_kernelINS0_14default_configENS1_20scan_config_selectorIsEEZZNS1_9scan_implILNS1_25lookback_scan_determinismE0ELb0ELb1ES3_N6thrust23THRUST_200600_302600_NS6detail15normal_iteratorINS9_10device_ptrIsEEEESE_sNS9_4plusIsEEsEEDaPvRmT3_T4_T5_mT6_P12ihipStream_tbENKUlT_T0_E_clISt17integral_constantIbLb0EEST_IbLb1EEEEDaSP_SQ_EUlSP_E_NS1_11comp_targetILNS1_3genE10ELNS1_11target_archE1201ELNS1_3gpuE5ELNS1_3repE0EEENS1_30default_config_static_selectorELNS0_4arch9wavefront6targetE1EEEvT1_
		.amdhsa_group_segment_fixed_size 0
		.amdhsa_private_segment_fixed_size 0
		.amdhsa_kernarg_size 96
		.amdhsa_user_sgpr_count 6
		.amdhsa_user_sgpr_private_segment_buffer 1
		.amdhsa_user_sgpr_dispatch_ptr 0
		.amdhsa_user_sgpr_queue_ptr 0
		.amdhsa_user_sgpr_kernarg_segment_ptr 1
		.amdhsa_user_sgpr_dispatch_id 0
		.amdhsa_user_sgpr_flat_scratch_init 0
		.amdhsa_user_sgpr_kernarg_preload_length 0
		.amdhsa_user_sgpr_kernarg_preload_offset 0
		.amdhsa_user_sgpr_private_segment_size 0
		.amdhsa_uses_dynamic_stack 0
		.amdhsa_system_sgpr_private_segment_wavefront_offset 0
		.amdhsa_system_sgpr_workgroup_id_x 1
		.amdhsa_system_sgpr_workgroup_id_y 0
		.amdhsa_system_sgpr_workgroup_id_z 0
		.amdhsa_system_sgpr_workgroup_info 0
		.amdhsa_system_vgpr_workitem_id 0
		.amdhsa_next_free_vgpr 1
		.amdhsa_next_free_sgpr 0
		.amdhsa_accum_offset 4
		.amdhsa_reserve_vcc 0
		.amdhsa_reserve_flat_scratch 0
		.amdhsa_float_round_mode_32 0
		.amdhsa_float_round_mode_16_64 0
		.amdhsa_float_denorm_mode_32 3
		.amdhsa_float_denorm_mode_16_64 3
		.amdhsa_dx10_clamp 1
		.amdhsa_ieee_mode 1
		.amdhsa_fp16_overflow 0
		.amdhsa_tg_split 0
		.amdhsa_exception_fp_ieee_invalid_op 0
		.amdhsa_exception_fp_denorm_src 0
		.amdhsa_exception_fp_ieee_div_zero 0
		.amdhsa_exception_fp_ieee_overflow 0
		.amdhsa_exception_fp_ieee_underflow 0
		.amdhsa_exception_fp_ieee_inexact 0
		.amdhsa_exception_int_div_zero 0
	.end_amdhsa_kernel
	.section	.text._ZN7rocprim17ROCPRIM_400000_NS6detail17trampoline_kernelINS0_14default_configENS1_20scan_config_selectorIsEEZZNS1_9scan_implILNS1_25lookback_scan_determinismE0ELb0ELb1ES3_N6thrust23THRUST_200600_302600_NS6detail15normal_iteratorINS9_10device_ptrIsEEEESE_sNS9_4plusIsEEsEEDaPvRmT3_T4_T5_mT6_P12ihipStream_tbENKUlT_T0_E_clISt17integral_constantIbLb0EEST_IbLb1EEEEDaSP_SQ_EUlSP_E_NS1_11comp_targetILNS1_3genE10ELNS1_11target_archE1201ELNS1_3gpuE5ELNS1_3repE0EEENS1_30default_config_static_selectorELNS0_4arch9wavefront6targetE1EEEvT1_,"axG",@progbits,_ZN7rocprim17ROCPRIM_400000_NS6detail17trampoline_kernelINS0_14default_configENS1_20scan_config_selectorIsEEZZNS1_9scan_implILNS1_25lookback_scan_determinismE0ELb0ELb1ES3_N6thrust23THRUST_200600_302600_NS6detail15normal_iteratorINS9_10device_ptrIsEEEESE_sNS9_4plusIsEEsEEDaPvRmT3_T4_T5_mT6_P12ihipStream_tbENKUlT_T0_E_clISt17integral_constantIbLb0EEST_IbLb1EEEEDaSP_SQ_EUlSP_E_NS1_11comp_targetILNS1_3genE10ELNS1_11target_archE1201ELNS1_3gpuE5ELNS1_3repE0EEENS1_30default_config_static_selectorELNS0_4arch9wavefront6targetE1EEEvT1_,comdat
.Lfunc_end1326:
	.size	_ZN7rocprim17ROCPRIM_400000_NS6detail17trampoline_kernelINS0_14default_configENS1_20scan_config_selectorIsEEZZNS1_9scan_implILNS1_25lookback_scan_determinismE0ELb0ELb1ES3_N6thrust23THRUST_200600_302600_NS6detail15normal_iteratorINS9_10device_ptrIsEEEESE_sNS9_4plusIsEEsEEDaPvRmT3_T4_T5_mT6_P12ihipStream_tbENKUlT_T0_E_clISt17integral_constantIbLb0EEST_IbLb1EEEEDaSP_SQ_EUlSP_E_NS1_11comp_targetILNS1_3genE10ELNS1_11target_archE1201ELNS1_3gpuE5ELNS1_3repE0EEENS1_30default_config_static_selectorELNS0_4arch9wavefront6targetE1EEEvT1_, .Lfunc_end1326-_ZN7rocprim17ROCPRIM_400000_NS6detail17trampoline_kernelINS0_14default_configENS1_20scan_config_selectorIsEEZZNS1_9scan_implILNS1_25lookback_scan_determinismE0ELb0ELb1ES3_N6thrust23THRUST_200600_302600_NS6detail15normal_iteratorINS9_10device_ptrIsEEEESE_sNS9_4plusIsEEsEEDaPvRmT3_T4_T5_mT6_P12ihipStream_tbENKUlT_T0_E_clISt17integral_constantIbLb0EEST_IbLb1EEEEDaSP_SQ_EUlSP_E_NS1_11comp_targetILNS1_3genE10ELNS1_11target_archE1201ELNS1_3gpuE5ELNS1_3repE0EEENS1_30default_config_static_selectorELNS0_4arch9wavefront6targetE1EEEvT1_
                                        ; -- End function
	.section	.AMDGPU.csdata,"",@progbits
; Kernel info:
; codeLenInByte = 0
; NumSgprs: 4
; NumVgprs: 0
; NumAgprs: 0
; TotalNumVgprs: 0
; ScratchSize: 0
; MemoryBound: 0
; FloatMode: 240
; IeeeMode: 1
; LDSByteSize: 0 bytes/workgroup (compile time only)
; SGPRBlocks: 0
; VGPRBlocks: 0
; NumSGPRsForWavesPerEU: 4
; NumVGPRsForWavesPerEU: 1
; AccumOffset: 4
; Occupancy: 8
; WaveLimiterHint : 0
; COMPUTE_PGM_RSRC2:SCRATCH_EN: 0
; COMPUTE_PGM_RSRC2:USER_SGPR: 6
; COMPUTE_PGM_RSRC2:TRAP_HANDLER: 0
; COMPUTE_PGM_RSRC2:TGID_X_EN: 1
; COMPUTE_PGM_RSRC2:TGID_Y_EN: 0
; COMPUTE_PGM_RSRC2:TGID_Z_EN: 0
; COMPUTE_PGM_RSRC2:TIDIG_COMP_CNT: 0
; COMPUTE_PGM_RSRC3_GFX90A:ACCUM_OFFSET: 0
; COMPUTE_PGM_RSRC3_GFX90A:TG_SPLIT: 0
	.section	.text._ZN7rocprim17ROCPRIM_400000_NS6detail17trampoline_kernelINS0_14default_configENS1_20scan_config_selectorIsEEZZNS1_9scan_implILNS1_25lookback_scan_determinismE0ELb0ELb1ES3_N6thrust23THRUST_200600_302600_NS6detail15normal_iteratorINS9_10device_ptrIsEEEESE_sNS9_4plusIsEEsEEDaPvRmT3_T4_T5_mT6_P12ihipStream_tbENKUlT_T0_E_clISt17integral_constantIbLb0EEST_IbLb1EEEEDaSP_SQ_EUlSP_E_NS1_11comp_targetILNS1_3genE10ELNS1_11target_archE1200ELNS1_3gpuE4ELNS1_3repE0EEENS1_30default_config_static_selectorELNS0_4arch9wavefront6targetE1EEEvT1_,"axG",@progbits,_ZN7rocprim17ROCPRIM_400000_NS6detail17trampoline_kernelINS0_14default_configENS1_20scan_config_selectorIsEEZZNS1_9scan_implILNS1_25lookback_scan_determinismE0ELb0ELb1ES3_N6thrust23THRUST_200600_302600_NS6detail15normal_iteratorINS9_10device_ptrIsEEEESE_sNS9_4plusIsEEsEEDaPvRmT3_T4_T5_mT6_P12ihipStream_tbENKUlT_T0_E_clISt17integral_constantIbLb0EEST_IbLb1EEEEDaSP_SQ_EUlSP_E_NS1_11comp_targetILNS1_3genE10ELNS1_11target_archE1200ELNS1_3gpuE4ELNS1_3repE0EEENS1_30default_config_static_selectorELNS0_4arch9wavefront6targetE1EEEvT1_,comdat
	.protected	_ZN7rocprim17ROCPRIM_400000_NS6detail17trampoline_kernelINS0_14default_configENS1_20scan_config_selectorIsEEZZNS1_9scan_implILNS1_25lookback_scan_determinismE0ELb0ELb1ES3_N6thrust23THRUST_200600_302600_NS6detail15normal_iteratorINS9_10device_ptrIsEEEESE_sNS9_4plusIsEEsEEDaPvRmT3_T4_T5_mT6_P12ihipStream_tbENKUlT_T0_E_clISt17integral_constantIbLb0EEST_IbLb1EEEEDaSP_SQ_EUlSP_E_NS1_11comp_targetILNS1_3genE10ELNS1_11target_archE1200ELNS1_3gpuE4ELNS1_3repE0EEENS1_30default_config_static_selectorELNS0_4arch9wavefront6targetE1EEEvT1_ ; -- Begin function _ZN7rocprim17ROCPRIM_400000_NS6detail17trampoline_kernelINS0_14default_configENS1_20scan_config_selectorIsEEZZNS1_9scan_implILNS1_25lookback_scan_determinismE0ELb0ELb1ES3_N6thrust23THRUST_200600_302600_NS6detail15normal_iteratorINS9_10device_ptrIsEEEESE_sNS9_4plusIsEEsEEDaPvRmT3_T4_T5_mT6_P12ihipStream_tbENKUlT_T0_E_clISt17integral_constantIbLb0EEST_IbLb1EEEEDaSP_SQ_EUlSP_E_NS1_11comp_targetILNS1_3genE10ELNS1_11target_archE1200ELNS1_3gpuE4ELNS1_3repE0EEENS1_30default_config_static_selectorELNS0_4arch9wavefront6targetE1EEEvT1_
	.globl	_ZN7rocprim17ROCPRIM_400000_NS6detail17trampoline_kernelINS0_14default_configENS1_20scan_config_selectorIsEEZZNS1_9scan_implILNS1_25lookback_scan_determinismE0ELb0ELb1ES3_N6thrust23THRUST_200600_302600_NS6detail15normal_iteratorINS9_10device_ptrIsEEEESE_sNS9_4plusIsEEsEEDaPvRmT3_T4_T5_mT6_P12ihipStream_tbENKUlT_T0_E_clISt17integral_constantIbLb0EEST_IbLb1EEEEDaSP_SQ_EUlSP_E_NS1_11comp_targetILNS1_3genE10ELNS1_11target_archE1200ELNS1_3gpuE4ELNS1_3repE0EEENS1_30default_config_static_selectorELNS0_4arch9wavefront6targetE1EEEvT1_
	.p2align	8
	.type	_ZN7rocprim17ROCPRIM_400000_NS6detail17trampoline_kernelINS0_14default_configENS1_20scan_config_selectorIsEEZZNS1_9scan_implILNS1_25lookback_scan_determinismE0ELb0ELb1ES3_N6thrust23THRUST_200600_302600_NS6detail15normal_iteratorINS9_10device_ptrIsEEEESE_sNS9_4plusIsEEsEEDaPvRmT3_T4_T5_mT6_P12ihipStream_tbENKUlT_T0_E_clISt17integral_constantIbLb0EEST_IbLb1EEEEDaSP_SQ_EUlSP_E_NS1_11comp_targetILNS1_3genE10ELNS1_11target_archE1200ELNS1_3gpuE4ELNS1_3repE0EEENS1_30default_config_static_selectorELNS0_4arch9wavefront6targetE1EEEvT1_,@function
_ZN7rocprim17ROCPRIM_400000_NS6detail17trampoline_kernelINS0_14default_configENS1_20scan_config_selectorIsEEZZNS1_9scan_implILNS1_25lookback_scan_determinismE0ELb0ELb1ES3_N6thrust23THRUST_200600_302600_NS6detail15normal_iteratorINS9_10device_ptrIsEEEESE_sNS9_4plusIsEEsEEDaPvRmT3_T4_T5_mT6_P12ihipStream_tbENKUlT_T0_E_clISt17integral_constantIbLb0EEST_IbLb1EEEEDaSP_SQ_EUlSP_E_NS1_11comp_targetILNS1_3genE10ELNS1_11target_archE1200ELNS1_3gpuE4ELNS1_3repE0EEENS1_30default_config_static_selectorELNS0_4arch9wavefront6targetE1EEEvT1_: ; @_ZN7rocprim17ROCPRIM_400000_NS6detail17trampoline_kernelINS0_14default_configENS1_20scan_config_selectorIsEEZZNS1_9scan_implILNS1_25lookback_scan_determinismE0ELb0ELb1ES3_N6thrust23THRUST_200600_302600_NS6detail15normal_iteratorINS9_10device_ptrIsEEEESE_sNS9_4plusIsEEsEEDaPvRmT3_T4_T5_mT6_P12ihipStream_tbENKUlT_T0_E_clISt17integral_constantIbLb0EEST_IbLb1EEEEDaSP_SQ_EUlSP_E_NS1_11comp_targetILNS1_3genE10ELNS1_11target_archE1200ELNS1_3gpuE4ELNS1_3repE0EEENS1_30default_config_static_selectorELNS0_4arch9wavefront6targetE1EEEvT1_
; %bb.0:
	.section	.rodata,"a",@progbits
	.p2align	6, 0x0
	.amdhsa_kernel _ZN7rocprim17ROCPRIM_400000_NS6detail17trampoline_kernelINS0_14default_configENS1_20scan_config_selectorIsEEZZNS1_9scan_implILNS1_25lookback_scan_determinismE0ELb0ELb1ES3_N6thrust23THRUST_200600_302600_NS6detail15normal_iteratorINS9_10device_ptrIsEEEESE_sNS9_4plusIsEEsEEDaPvRmT3_T4_T5_mT6_P12ihipStream_tbENKUlT_T0_E_clISt17integral_constantIbLb0EEST_IbLb1EEEEDaSP_SQ_EUlSP_E_NS1_11comp_targetILNS1_3genE10ELNS1_11target_archE1200ELNS1_3gpuE4ELNS1_3repE0EEENS1_30default_config_static_selectorELNS0_4arch9wavefront6targetE1EEEvT1_
		.amdhsa_group_segment_fixed_size 0
		.amdhsa_private_segment_fixed_size 0
		.amdhsa_kernarg_size 96
		.amdhsa_user_sgpr_count 6
		.amdhsa_user_sgpr_private_segment_buffer 1
		.amdhsa_user_sgpr_dispatch_ptr 0
		.amdhsa_user_sgpr_queue_ptr 0
		.amdhsa_user_sgpr_kernarg_segment_ptr 1
		.amdhsa_user_sgpr_dispatch_id 0
		.amdhsa_user_sgpr_flat_scratch_init 0
		.amdhsa_user_sgpr_kernarg_preload_length 0
		.amdhsa_user_sgpr_kernarg_preload_offset 0
		.amdhsa_user_sgpr_private_segment_size 0
		.amdhsa_uses_dynamic_stack 0
		.amdhsa_system_sgpr_private_segment_wavefront_offset 0
		.amdhsa_system_sgpr_workgroup_id_x 1
		.amdhsa_system_sgpr_workgroup_id_y 0
		.amdhsa_system_sgpr_workgroup_id_z 0
		.amdhsa_system_sgpr_workgroup_info 0
		.amdhsa_system_vgpr_workitem_id 0
		.amdhsa_next_free_vgpr 1
		.amdhsa_next_free_sgpr 0
		.amdhsa_accum_offset 4
		.amdhsa_reserve_vcc 0
		.amdhsa_reserve_flat_scratch 0
		.amdhsa_float_round_mode_32 0
		.amdhsa_float_round_mode_16_64 0
		.amdhsa_float_denorm_mode_32 3
		.amdhsa_float_denorm_mode_16_64 3
		.amdhsa_dx10_clamp 1
		.amdhsa_ieee_mode 1
		.amdhsa_fp16_overflow 0
		.amdhsa_tg_split 0
		.amdhsa_exception_fp_ieee_invalid_op 0
		.amdhsa_exception_fp_denorm_src 0
		.amdhsa_exception_fp_ieee_div_zero 0
		.amdhsa_exception_fp_ieee_overflow 0
		.amdhsa_exception_fp_ieee_underflow 0
		.amdhsa_exception_fp_ieee_inexact 0
		.amdhsa_exception_int_div_zero 0
	.end_amdhsa_kernel
	.section	.text._ZN7rocprim17ROCPRIM_400000_NS6detail17trampoline_kernelINS0_14default_configENS1_20scan_config_selectorIsEEZZNS1_9scan_implILNS1_25lookback_scan_determinismE0ELb0ELb1ES3_N6thrust23THRUST_200600_302600_NS6detail15normal_iteratorINS9_10device_ptrIsEEEESE_sNS9_4plusIsEEsEEDaPvRmT3_T4_T5_mT6_P12ihipStream_tbENKUlT_T0_E_clISt17integral_constantIbLb0EEST_IbLb1EEEEDaSP_SQ_EUlSP_E_NS1_11comp_targetILNS1_3genE10ELNS1_11target_archE1200ELNS1_3gpuE4ELNS1_3repE0EEENS1_30default_config_static_selectorELNS0_4arch9wavefront6targetE1EEEvT1_,"axG",@progbits,_ZN7rocprim17ROCPRIM_400000_NS6detail17trampoline_kernelINS0_14default_configENS1_20scan_config_selectorIsEEZZNS1_9scan_implILNS1_25lookback_scan_determinismE0ELb0ELb1ES3_N6thrust23THRUST_200600_302600_NS6detail15normal_iteratorINS9_10device_ptrIsEEEESE_sNS9_4plusIsEEsEEDaPvRmT3_T4_T5_mT6_P12ihipStream_tbENKUlT_T0_E_clISt17integral_constantIbLb0EEST_IbLb1EEEEDaSP_SQ_EUlSP_E_NS1_11comp_targetILNS1_3genE10ELNS1_11target_archE1200ELNS1_3gpuE4ELNS1_3repE0EEENS1_30default_config_static_selectorELNS0_4arch9wavefront6targetE1EEEvT1_,comdat
.Lfunc_end1327:
	.size	_ZN7rocprim17ROCPRIM_400000_NS6detail17trampoline_kernelINS0_14default_configENS1_20scan_config_selectorIsEEZZNS1_9scan_implILNS1_25lookback_scan_determinismE0ELb0ELb1ES3_N6thrust23THRUST_200600_302600_NS6detail15normal_iteratorINS9_10device_ptrIsEEEESE_sNS9_4plusIsEEsEEDaPvRmT3_T4_T5_mT6_P12ihipStream_tbENKUlT_T0_E_clISt17integral_constantIbLb0EEST_IbLb1EEEEDaSP_SQ_EUlSP_E_NS1_11comp_targetILNS1_3genE10ELNS1_11target_archE1200ELNS1_3gpuE4ELNS1_3repE0EEENS1_30default_config_static_selectorELNS0_4arch9wavefront6targetE1EEEvT1_, .Lfunc_end1327-_ZN7rocprim17ROCPRIM_400000_NS6detail17trampoline_kernelINS0_14default_configENS1_20scan_config_selectorIsEEZZNS1_9scan_implILNS1_25lookback_scan_determinismE0ELb0ELb1ES3_N6thrust23THRUST_200600_302600_NS6detail15normal_iteratorINS9_10device_ptrIsEEEESE_sNS9_4plusIsEEsEEDaPvRmT3_T4_T5_mT6_P12ihipStream_tbENKUlT_T0_E_clISt17integral_constantIbLb0EEST_IbLb1EEEEDaSP_SQ_EUlSP_E_NS1_11comp_targetILNS1_3genE10ELNS1_11target_archE1200ELNS1_3gpuE4ELNS1_3repE0EEENS1_30default_config_static_selectorELNS0_4arch9wavefront6targetE1EEEvT1_
                                        ; -- End function
	.section	.AMDGPU.csdata,"",@progbits
; Kernel info:
; codeLenInByte = 0
; NumSgprs: 4
; NumVgprs: 0
; NumAgprs: 0
; TotalNumVgprs: 0
; ScratchSize: 0
; MemoryBound: 0
; FloatMode: 240
; IeeeMode: 1
; LDSByteSize: 0 bytes/workgroup (compile time only)
; SGPRBlocks: 0
; VGPRBlocks: 0
; NumSGPRsForWavesPerEU: 4
; NumVGPRsForWavesPerEU: 1
; AccumOffset: 4
; Occupancy: 8
; WaveLimiterHint : 0
; COMPUTE_PGM_RSRC2:SCRATCH_EN: 0
; COMPUTE_PGM_RSRC2:USER_SGPR: 6
; COMPUTE_PGM_RSRC2:TRAP_HANDLER: 0
; COMPUTE_PGM_RSRC2:TGID_X_EN: 1
; COMPUTE_PGM_RSRC2:TGID_Y_EN: 0
; COMPUTE_PGM_RSRC2:TGID_Z_EN: 0
; COMPUTE_PGM_RSRC2:TIDIG_COMP_CNT: 0
; COMPUTE_PGM_RSRC3_GFX90A:ACCUM_OFFSET: 0
; COMPUTE_PGM_RSRC3_GFX90A:TG_SPLIT: 0
	.section	.text._ZN7rocprim17ROCPRIM_400000_NS6detail17trampoline_kernelINS0_14default_configENS1_20scan_config_selectorIsEEZZNS1_9scan_implILNS1_25lookback_scan_determinismE0ELb0ELb1ES3_N6thrust23THRUST_200600_302600_NS6detail15normal_iteratorINS9_10device_ptrIsEEEESE_sNS9_4plusIsEEsEEDaPvRmT3_T4_T5_mT6_P12ihipStream_tbENKUlT_T0_E_clISt17integral_constantIbLb0EEST_IbLb1EEEEDaSP_SQ_EUlSP_E_NS1_11comp_targetILNS1_3genE9ELNS1_11target_archE1100ELNS1_3gpuE3ELNS1_3repE0EEENS1_30default_config_static_selectorELNS0_4arch9wavefront6targetE1EEEvT1_,"axG",@progbits,_ZN7rocprim17ROCPRIM_400000_NS6detail17trampoline_kernelINS0_14default_configENS1_20scan_config_selectorIsEEZZNS1_9scan_implILNS1_25lookback_scan_determinismE0ELb0ELb1ES3_N6thrust23THRUST_200600_302600_NS6detail15normal_iteratorINS9_10device_ptrIsEEEESE_sNS9_4plusIsEEsEEDaPvRmT3_T4_T5_mT6_P12ihipStream_tbENKUlT_T0_E_clISt17integral_constantIbLb0EEST_IbLb1EEEEDaSP_SQ_EUlSP_E_NS1_11comp_targetILNS1_3genE9ELNS1_11target_archE1100ELNS1_3gpuE3ELNS1_3repE0EEENS1_30default_config_static_selectorELNS0_4arch9wavefront6targetE1EEEvT1_,comdat
	.protected	_ZN7rocprim17ROCPRIM_400000_NS6detail17trampoline_kernelINS0_14default_configENS1_20scan_config_selectorIsEEZZNS1_9scan_implILNS1_25lookback_scan_determinismE0ELb0ELb1ES3_N6thrust23THRUST_200600_302600_NS6detail15normal_iteratorINS9_10device_ptrIsEEEESE_sNS9_4plusIsEEsEEDaPvRmT3_T4_T5_mT6_P12ihipStream_tbENKUlT_T0_E_clISt17integral_constantIbLb0EEST_IbLb1EEEEDaSP_SQ_EUlSP_E_NS1_11comp_targetILNS1_3genE9ELNS1_11target_archE1100ELNS1_3gpuE3ELNS1_3repE0EEENS1_30default_config_static_selectorELNS0_4arch9wavefront6targetE1EEEvT1_ ; -- Begin function _ZN7rocprim17ROCPRIM_400000_NS6detail17trampoline_kernelINS0_14default_configENS1_20scan_config_selectorIsEEZZNS1_9scan_implILNS1_25lookback_scan_determinismE0ELb0ELb1ES3_N6thrust23THRUST_200600_302600_NS6detail15normal_iteratorINS9_10device_ptrIsEEEESE_sNS9_4plusIsEEsEEDaPvRmT3_T4_T5_mT6_P12ihipStream_tbENKUlT_T0_E_clISt17integral_constantIbLb0EEST_IbLb1EEEEDaSP_SQ_EUlSP_E_NS1_11comp_targetILNS1_3genE9ELNS1_11target_archE1100ELNS1_3gpuE3ELNS1_3repE0EEENS1_30default_config_static_selectorELNS0_4arch9wavefront6targetE1EEEvT1_
	.globl	_ZN7rocprim17ROCPRIM_400000_NS6detail17trampoline_kernelINS0_14default_configENS1_20scan_config_selectorIsEEZZNS1_9scan_implILNS1_25lookback_scan_determinismE0ELb0ELb1ES3_N6thrust23THRUST_200600_302600_NS6detail15normal_iteratorINS9_10device_ptrIsEEEESE_sNS9_4plusIsEEsEEDaPvRmT3_T4_T5_mT6_P12ihipStream_tbENKUlT_T0_E_clISt17integral_constantIbLb0EEST_IbLb1EEEEDaSP_SQ_EUlSP_E_NS1_11comp_targetILNS1_3genE9ELNS1_11target_archE1100ELNS1_3gpuE3ELNS1_3repE0EEENS1_30default_config_static_selectorELNS0_4arch9wavefront6targetE1EEEvT1_
	.p2align	8
	.type	_ZN7rocprim17ROCPRIM_400000_NS6detail17trampoline_kernelINS0_14default_configENS1_20scan_config_selectorIsEEZZNS1_9scan_implILNS1_25lookback_scan_determinismE0ELb0ELb1ES3_N6thrust23THRUST_200600_302600_NS6detail15normal_iteratorINS9_10device_ptrIsEEEESE_sNS9_4plusIsEEsEEDaPvRmT3_T4_T5_mT6_P12ihipStream_tbENKUlT_T0_E_clISt17integral_constantIbLb0EEST_IbLb1EEEEDaSP_SQ_EUlSP_E_NS1_11comp_targetILNS1_3genE9ELNS1_11target_archE1100ELNS1_3gpuE3ELNS1_3repE0EEENS1_30default_config_static_selectorELNS0_4arch9wavefront6targetE1EEEvT1_,@function
_ZN7rocprim17ROCPRIM_400000_NS6detail17trampoline_kernelINS0_14default_configENS1_20scan_config_selectorIsEEZZNS1_9scan_implILNS1_25lookback_scan_determinismE0ELb0ELb1ES3_N6thrust23THRUST_200600_302600_NS6detail15normal_iteratorINS9_10device_ptrIsEEEESE_sNS9_4plusIsEEsEEDaPvRmT3_T4_T5_mT6_P12ihipStream_tbENKUlT_T0_E_clISt17integral_constantIbLb0EEST_IbLb1EEEEDaSP_SQ_EUlSP_E_NS1_11comp_targetILNS1_3genE9ELNS1_11target_archE1100ELNS1_3gpuE3ELNS1_3repE0EEENS1_30default_config_static_selectorELNS0_4arch9wavefront6targetE1EEEvT1_: ; @_ZN7rocprim17ROCPRIM_400000_NS6detail17trampoline_kernelINS0_14default_configENS1_20scan_config_selectorIsEEZZNS1_9scan_implILNS1_25lookback_scan_determinismE0ELb0ELb1ES3_N6thrust23THRUST_200600_302600_NS6detail15normal_iteratorINS9_10device_ptrIsEEEESE_sNS9_4plusIsEEsEEDaPvRmT3_T4_T5_mT6_P12ihipStream_tbENKUlT_T0_E_clISt17integral_constantIbLb0EEST_IbLb1EEEEDaSP_SQ_EUlSP_E_NS1_11comp_targetILNS1_3genE9ELNS1_11target_archE1100ELNS1_3gpuE3ELNS1_3repE0EEENS1_30default_config_static_selectorELNS0_4arch9wavefront6targetE1EEEvT1_
; %bb.0:
	.section	.rodata,"a",@progbits
	.p2align	6, 0x0
	.amdhsa_kernel _ZN7rocprim17ROCPRIM_400000_NS6detail17trampoline_kernelINS0_14default_configENS1_20scan_config_selectorIsEEZZNS1_9scan_implILNS1_25lookback_scan_determinismE0ELb0ELb1ES3_N6thrust23THRUST_200600_302600_NS6detail15normal_iteratorINS9_10device_ptrIsEEEESE_sNS9_4plusIsEEsEEDaPvRmT3_T4_T5_mT6_P12ihipStream_tbENKUlT_T0_E_clISt17integral_constantIbLb0EEST_IbLb1EEEEDaSP_SQ_EUlSP_E_NS1_11comp_targetILNS1_3genE9ELNS1_11target_archE1100ELNS1_3gpuE3ELNS1_3repE0EEENS1_30default_config_static_selectorELNS0_4arch9wavefront6targetE1EEEvT1_
		.amdhsa_group_segment_fixed_size 0
		.amdhsa_private_segment_fixed_size 0
		.amdhsa_kernarg_size 96
		.amdhsa_user_sgpr_count 6
		.amdhsa_user_sgpr_private_segment_buffer 1
		.amdhsa_user_sgpr_dispatch_ptr 0
		.amdhsa_user_sgpr_queue_ptr 0
		.amdhsa_user_sgpr_kernarg_segment_ptr 1
		.amdhsa_user_sgpr_dispatch_id 0
		.amdhsa_user_sgpr_flat_scratch_init 0
		.amdhsa_user_sgpr_kernarg_preload_length 0
		.amdhsa_user_sgpr_kernarg_preload_offset 0
		.amdhsa_user_sgpr_private_segment_size 0
		.amdhsa_uses_dynamic_stack 0
		.amdhsa_system_sgpr_private_segment_wavefront_offset 0
		.amdhsa_system_sgpr_workgroup_id_x 1
		.amdhsa_system_sgpr_workgroup_id_y 0
		.amdhsa_system_sgpr_workgroup_id_z 0
		.amdhsa_system_sgpr_workgroup_info 0
		.amdhsa_system_vgpr_workitem_id 0
		.amdhsa_next_free_vgpr 1
		.amdhsa_next_free_sgpr 0
		.amdhsa_accum_offset 4
		.amdhsa_reserve_vcc 0
		.amdhsa_reserve_flat_scratch 0
		.amdhsa_float_round_mode_32 0
		.amdhsa_float_round_mode_16_64 0
		.amdhsa_float_denorm_mode_32 3
		.amdhsa_float_denorm_mode_16_64 3
		.amdhsa_dx10_clamp 1
		.amdhsa_ieee_mode 1
		.amdhsa_fp16_overflow 0
		.amdhsa_tg_split 0
		.amdhsa_exception_fp_ieee_invalid_op 0
		.amdhsa_exception_fp_denorm_src 0
		.amdhsa_exception_fp_ieee_div_zero 0
		.amdhsa_exception_fp_ieee_overflow 0
		.amdhsa_exception_fp_ieee_underflow 0
		.amdhsa_exception_fp_ieee_inexact 0
		.amdhsa_exception_int_div_zero 0
	.end_amdhsa_kernel
	.section	.text._ZN7rocprim17ROCPRIM_400000_NS6detail17trampoline_kernelINS0_14default_configENS1_20scan_config_selectorIsEEZZNS1_9scan_implILNS1_25lookback_scan_determinismE0ELb0ELb1ES3_N6thrust23THRUST_200600_302600_NS6detail15normal_iteratorINS9_10device_ptrIsEEEESE_sNS9_4plusIsEEsEEDaPvRmT3_T4_T5_mT6_P12ihipStream_tbENKUlT_T0_E_clISt17integral_constantIbLb0EEST_IbLb1EEEEDaSP_SQ_EUlSP_E_NS1_11comp_targetILNS1_3genE9ELNS1_11target_archE1100ELNS1_3gpuE3ELNS1_3repE0EEENS1_30default_config_static_selectorELNS0_4arch9wavefront6targetE1EEEvT1_,"axG",@progbits,_ZN7rocprim17ROCPRIM_400000_NS6detail17trampoline_kernelINS0_14default_configENS1_20scan_config_selectorIsEEZZNS1_9scan_implILNS1_25lookback_scan_determinismE0ELb0ELb1ES3_N6thrust23THRUST_200600_302600_NS6detail15normal_iteratorINS9_10device_ptrIsEEEESE_sNS9_4plusIsEEsEEDaPvRmT3_T4_T5_mT6_P12ihipStream_tbENKUlT_T0_E_clISt17integral_constantIbLb0EEST_IbLb1EEEEDaSP_SQ_EUlSP_E_NS1_11comp_targetILNS1_3genE9ELNS1_11target_archE1100ELNS1_3gpuE3ELNS1_3repE0EEENS1_30default_config_static_selectorELNS0_4arch9wavefront6targetE1EEEvT1_,comdat
.Lfunc_end1328:
	.size	_ZN7rocprim17ROCPRIM_400000_NS6detail17trampoline_kernelINS0_14default_configENS1_20scan_config_selectorIsEEZZNS1_9scan_implILNS1_25lookback_scan_determinismE0ELb0ELb1ES3_N6thrust23THRUST_200600_302600_NS6detail15normal_iteratorINS9_10device_ptrIsEEEESE_sNS9_4plusIsEEsEEDaPvRmT3_T4_T5_mT6_P12ihipStream_tbENKUlT_T0_E_clISt17integral_constantIbLb0EEST_IbLb1EEEEDaSP_SQ_EUlSP_E_NS1_11comp_targetILNS1_3genE9ELNS1_11target_archE1100ELNS1_3gpuE3ELNS1_3repE0EEENS1_30default_config_static_selectorELNS0_4arch9wavefront6targetE1EEEvT1_, .Lfunc_end1328-_ZN7rocprim17ROCPRIM_400000_NS6detail17trampoline_kernelINS0_14default_configENS1_20scan_config_selectorIsEEZZNS1_9scan_implILNS1_25lookback_scan_determinismE0ELb0ELb1ES3_N6thrust23THRUST_200600_302600_NS6detail15normal_iteratorINS9_10device_ptrIsEEEESE_sNS9_4plusIsEEsEEDaPvRmT3_T4_T5_mT6_P12ihipStream_tbENKUlT_T0_E_clISt17integral_constantIbLb0EEST_IbLb1EEEEDaSP_SQ_EUlSP_E_NS1_11comp_targetILNS1_3genE9ELNS1_11target_archE1100ELNS1_3gpuE3ELNS1_3repE0EEENS1_30default_config_static_selectorELNS0_4arch9wavefront6targetE1EEEvT1_
                                        ; -- End function
	.section	.AMDGPU.csdata,"",@progbits
; Kernel info:
; codeLenInByte = 0
; NumSgprs: 4
; NumVgprs: 0
; NumAgprs: 0
; TotalNumVgprs: 0
; ScratchSize: 0
; MemoryBound: 0
; FloatMode: 240
; IeeeMode: 1
; LDSByteSize: 0 bytes/workgroup (compile time only)
; SGPRBlocks: 0
; VGPRBlocks: 0
; NumSGPRsForWavesPerEU: 4
; NumVGPRsForWavesPerEU: 1
; AccumOffset: 4
; Occupancy: 8
; WaveLimiterHint : 0
; COMPUTE_PGM_RSRC2:SCRATCH_EN: 0
; COMPUTE_PGM_RSRC2:USER_SGPR: 6
; COMPUTE_PGM_RSRC2:TRAP_HANDLER: 0
; COMPUTE_PGM_RSRC2:TGID_X_EN: 1
; COMPUTE_PGM_RSRC2:TGID_Y_EN: 0
; COMPUTE_PGM_RSRC2:TGID_Z_EN: 0
; COMPUTE_PGM_RSRC2:TIDIG_COMP_CNT: 0
; COMPUTE_PGM_RSRC3_GFX90A:ACCUM_OFFSET: 0
; COMPUTE_PGM_RSRC3_GFX90A:TG_SPLIT: 0
	.section	.text._ZN7rocprim17ROCPRIM_400000_NS6detail17trampoline_kernelINS0_14default_configENS1_20scan_config_selectorIsEEZZNS1_9scan_implILNS1_25lookback_scan_determinismE0ELb0ELb1ES3_N6thrust23THRUST_200600_302600_NS6detail15normal_iteratorINS9_10device_ptrIsEEEESE_sNS9_4plusIsEEsEEDaPvRmT3_T4_T5_mT6_P12ihipStream_tbENKUlT_T0_E_clISt17integral_constantIbLb0EEST_IbLb1EEEEDaSP_SQ_EUlSP_E_NS1_11comp_targetILNS1_3genE8ELNS1_11target_archE1030ELNS1_3gpuE2ELNS1_3repE0EEENS1_30default_config_static_selectorELNS0_4arch9wavefront6targetE1EEEvT1_,"axG",@progbits,_ZN7rocprim17ROCPRIM_400000_NS6detail17trampoline_kernelINS0_14default_configENS1_20scan_config_selectorIsEEZZNS1_9scan_implILNS1_25lookback_scan_determinismE0ELb0ELb1ES3_N6thrust23THRUST_200600_302600_NS6detail15normal_iteratorINS9_10device_ptrIsEEEESE_sNS9_4plusIsEEsEEDaPvRmT3_T4_T5_mT6_P12ihipStream_tbENKUlT_T0_E_clISt17integral_constantIbLb0EEST_IbLb1EEEEDaSP_SQ_EUlSP_E_NS1_11comp_targetILNS1_3genE8ELNS1_11target_archE1030ELNS1_3gpuE2ELNS1_3repE0EEENS1_30default_config_static_selectorELNS0_4arch9wavefront6targetE1EEEvT1_,comdat
	.protected	_ZN7rocprim17ROCPRIM_400000_NS6detail17trampoline_kernelINS0_14default_configENS1_20scan_config_selectorIsEEZZNS1_9scan_implILNS1_25lookback_scan_determinismE0ELb0ELb1ES3_N6thrust23THRUST_200600_302600_NS6detail15normal_iteratorINS9_10device_ptrIsEEEESE_sNS9_4plusIsEEsEEDaPvRmT3_T4_T5_mT6_P12ihipStream_tbENKUlT_T0_E_clISt17integral_constantIbLb0EEST_IbLb1EEEEDaSP_SQ_EUlSP_E_NS1_11comp_targetILNS1_3genE8ELNS1_11target_archE1030ELNS1_3gpuE2ELNS1_3repE0EEENS1_30default_config_static_selectorELNS0_4arch9wavefront6targetE1EEEvT1_ ; -- Begin function _ZN7rocprim17ROCPRIM_400000_NS6detail17trampoline_kernelINS0_14default_configENS1_20scan_config_selectorIsEEZZNS1_9scan_implILNS1_25lookback_scan_determinismE0ELb0ELb1ES3_N6thrust23THRUST_200600_302600_NS6detail15normal_iteratorINS9_10device_ptrIsEEEESE_sNS9_4plusIsEEsEEDaPvRmT3_T4_T5_mT6_P12ihipStream_tbENKUlT_T0_E_clISt17integral_constantIbLb0EEST_IbLb1EEEEDaSP_SQ_EUlSP_E_NS1_11comp_targetILNS1_3genE8ELNS1_11target_archE1030ELNS1_3gpuE2ELNS1_3repE0EEENS1_30default_config_static_selectorELNS0_4arch9wavefront6targetE1EEEvT1_
	.globl	_ZN7rocprim17ROCPRIM_400000_NS6detail17trampoline_kernelINS0_14default_configENS1_20scan_config_selectorIsEEZZNS1_9scan_implILNS1_25lookback_scan_determinismE0ELb0ELb1ES3_N6thrust23THRUST_200600_302600_NS6detail15normal_iteratorINS9_10device_ptrIsEEEESE_sNS9_4plusIsEEsEEDaPvRmT3_T4_T5_mT6_P12ihipStream_tbENKUlT_T0_E_clISt17integral_constantIbLb0EEST_IbLb1EEEEDaSP_SQ_EUlSP_E_NS1_11comp_targetILNS1_3genE8ELNS1_11target_archE1030ELNS1_3gpuE2ELNS1_3repE0EEENS1_30default_config_static_selectorELNS0_4arch9wavefront6targetE1EEEvT1_
	.p2align	8
	.type	_ZN7rocprim17ROCPRIM_400000_NS6detail17trampoline_kernelINS0_14default_configENS1_20scan_config_selectorIsEEZZNS1_9scan_implILNS1_25lookback_scan_determinismE0ELb0ELb1ES3_N6thrust23THRUST_200600_302600_NS6detail15normal_iteratorINS9_10device_ptrIsEEEESE_sNS9_4plusIsEEsEEDaPvRmT3_T4_T5_mT6_P12ihipStream_tbENKUlT_T0_E_clISt17integral_constantIbLb0EEST_IbLb1EEEEDaSP_SQ_EUlSP_E_NS1_11comp_targetILNS1_3genE8ELNS1_11target_archE1030ELNS1_3gpuE2ELNS1_3repE0EEENS1_30default_config_static_selectorELNS0_4arch9wavefront6targetE1EEEvT1_,@function
_ZN7rocprim17ROCPRIM_400000_NS6detail17trampoline_kernelINS0_14default_configENS1_20scan_config_selectorIsEEZZNS1_9scan_implILNS1_25lookback_scan_determinismE0ELb0ELb1ES3_N6thrust23THRUST_200600_302600_NS6detail15normal_iteratorINS9_10device_ptrIsEEEESE_sNS9_4plusIsEEsEEDaPvRmT3_T4_T5_mT6_P12ihipStream_tbENKUlT_T0_E_clISt17integral_constantIbLb0EEST_IbLb1EEEEDaSP_SQ_EUlSP_E_NS1_11comp_targetILNS1_3genE8ELNS1_11target_archE1030ELNS1_3gpuE2ELNS1_3repE0EEENS1_30default_config_static_selectorELNS0_4arch9wavefront6targetE1EEEvT1_: ; @_ZN7rocprim17ROCPRIM_400000_NS6detail17trampoline_kernelINS0_14default_configENS1_20scan_config_selectorIsEEZZNS1_9scan_implILNS1_25lookback_scan_determinismE0ELb0ELb1ES3_N6thrust23THRUST_200600_302600_NS6detail15normal_iteratorINS9_10device_ptrIsEEEESE_sNS9_4plusIsEEsEEDaPvRmT3_T4_T5_mT6_P12ihipStream_tbENKUlT_T0_E_clISt17integral_constantIbLb0EEST_IbLb1EEEEDaSP_SQ_EUlSP_E_NS1_11comp_targetILNS1_3genE8ELNS1_11target_archE1030ELNS1_3gpuE2ELNS1_3repE0EEENS1_30default_config_static_selectorELNS0_4arch9wavefront6targetE1EEEvT1_
; %bb.0:
	.section	.rodata,"a",@progbits
	.p2align	6, 0x0
	.amdhsa_kernel _ZN7rocprim17ROCPRIM_400000_NS6detail17trampoline_kernelINS0_14default_configENS1_20scan_config_selectorIsEEZZNS1_9scan_implILNS1_25lookback_scan_determinismE0ELb0ELb1ES3_N6thrust23THRUST_200600_302600_NS6detail15normal_iteratorINS9_10device_ptrIsEEEESE_sNS9_4plusIsEEsEEDaPvRmT3_T4_T5_mT6_P12ihipStream_tbENKUlT_T0_E_clISt17integral_constantIbLb0EEST_IbLb1EEEEDaSP_SQ_EUlSP_E_NS1_11comp_targetILNS1_3genE8ELNS1_11target_archE1030ELNS1_3gpuE2ELNS1_3repE0EEENS1_30default_config_static_selectorELNS0_4arch9wavefront6targetE1EEEvT1_
		.amdhsa_group_segment_fixed_size 0
		.amdhsa_private_segment_fixed_size 0
		.amdhsa_kernarg_size 96
		.amdhsa_user_sgpr_count 6
		.amdhsa_user_sgpr_private_segment_buffer 1
		.amdhsa_user_sgpr_dispatch_ptr 0
		.amdhsa_user_sgpr_queue_ptr 0
		.amdhsa_user_sgpr_kernarg_segment_ptr 1
		.amdhsa_user_sgpr_dispatch_id 0
		.amdhsa_user_sgpr_flat_scratch_init 0
		.amdhsa_user_sgpr_kernarg_preload_length 0
		.amdhsa_user_sgpr_kernarg_preload_offset 0
		.amdhsa_user_sgpr_private_segment_size 0
		.amdhsa_uses_dynamic_stack 0
		.amdhsa_system_sgpr_private_segment_wavefront_offset 0
		.amdhsa_system_sgpr_workgroup_id_x 1
		.amdhsa_system_sgpr_workgroup_id_y 0
		.amdhsa_system_sgpr_workgroup_id_z 0
		.amdhsa_system_sgpr_workgroup_info 0
		.amdhsa_system_vgpr_workitem_id 0
		.amdhsa_next_free_vgpr 1
		.amdhsa_next_free_sgpr 0
		.amdhsa_accum_offset 4
		.amdhsa_reserve_vcc 0
		.amdhsa_reserve_flat_scratch 0
		.amdhsa_float_round_mode_32 0
		.amdhsa_float_round_mode_16_64 0
		.amdhsa_float_denorm_mode_32 3
		.amdhsa_float_denorm_mode_16_64 3
		.amdhsa_dx10_clamp 1
		.amdhsa_ieee_mode 1
		.amdhsa_fp16_overflow 0
		.amdhsa_tg_split 0
		.amdhsa_exception_fp_ieee_invalid_op 0
		.amdhsa_exception_fp_denorm_src 0
		.amdhsa_exception_fp_ieee_div_zero 0
		.amdhsa_exception_fp_ieee_overflow 0
		.amdhsa_exception_fp_ieee_underflow 0
		.amdhsa_exception_fp_ieee_inexact 0
		.amdhsa_exception_int_div_zero 0
	.end_amdhsa_kernel
	.section	.text._ZN7rocprim17ROCPRIM_400000_NS6detail17trampoline_kernelINS0_14default_configENS1_20scan_config_selectorIsEEZZNS1_9scan_implILNS1_25lookback_scan_determinismE0ELb0ELb1ES3_N6thrust23THRUST_200600_302600_NS6detail15normal_iteratorINS9_10device_ptrIsEEEESE_sNS9_4plusIsEEsEEDaPvRmT3_T4_T5_mT6_P12ihipStream_tbENKUlT_T0_E_clISt17integral_constantIbLb0EEST_IbLb1EEEEDaSP_SQ_EUlSP_E_NS1_11comp_targetILNS1_3genE8ELNS1_11target_archE1030ELNS1_3gpuE2ELNS1_3repE0EEENS1_30default_config_static_selectorELNS0_4arch9wavefront6targetE1EEEvT1_,"axG",@progbits,_ZN7rocprim17ROCPRIM_400000_NS6detail17trampoline_kernelINS0_14default_configENS1_20scan_config_selectorIsEEZZNS1_9scan_implILNS1_25lookback_scan_determinismE0ELb0ELb1ES3_N6thrust23THRUST_200600_302600_NS6detail15normal_iteratorINS9_10device_ptrIsEEEESE_sNS9_4plusIsEEsEEDaPvRmT3_T4_T5_mT6_P12ihipStream_tbENKUlT_T0_E_clISt17integral_constantIbLb0EEST_IbLb1EEEEDaSP_SQ_EUlSP_E_NS1_11comp_targetILNS1_3genE8ELNS1_11target_archE1030ELNS1_3gpuE2ELNS1_3repE0EEENS1_30default_config_static_selectorELNS0_4arch9wavefront6targetE1EEEvT1_,comdat
.Lfunc_end1329:
	.size	_ZN7rocprim17ROCPRIM_400000_NS6detail17trampoline_kernelINS0_14default_configENS1_20scan_config_selectorIsEEZZNS1_9scan_implILNS1_25lookback_scan_determinismE0ELb0ELb1ES3_N6thrust23THRUST_200600_302600_NS6detail15normal_iteratorINS9_10device_ptrIsEEEESE_sNS9_4plusIsEEsEEDaPvRmT3_T4_T5_mT6_P12ihipStream_tbENKUlT_T0_E_clISt17integral_constantIbLb0EEST_IbLb1EEEEDaSP_SQ_EUlSP_E_NS1_11comp_targetILNS1_3genE8ELNS1_11target_archE1030ELNS1_3gpuE2ELNS1_3repE0EEENS1_30default_config_static_selectorELNS0_4arch9wavefront6targetE1EEEvT1_, .Lfunc_end1329-_ZN7rocprim17ROCPRIM_400000_NS6detail17trampoline_kernelINS0_14default_configENS1_20scan_config_selectorIsEEZZNS1_9scan_implILNS1_25lookback_scan_determinismE0ELb0ELb1ES3_N6thrust23THRUST_200600_302600_NS6detail15normal_iteratorINS9_10device_ptrIsEEEESE_sNS9_4plusIsEEsEEDaPvRmT3_T4_T5_mT6_P12ihipStream_tbENKUlT_T0_E_clISt17integral_constantIbLb0EEST_IbLb1EEEEDaSP_SQ_EUlSP_E_NS1_11comp_targetILNS1_3genE8ELNS1_11target_archE1030ELNS1_3gpuE2ELNS1_3repE0EEENS1_30default_config_static_selectorELNS0_4arch9wavefront6targetE1EEEvT1_
                                        ; -- End function
	.section	.AMDGPU.csdata,"",@progbits
; Kernel info:
; codeLenInByte = 0
; NumSgprs: 4
; NumVgprs: 0
; NumAgprs: 0
; TotalNumVgprs: 0
; ScratchSize: 0
; MemoryBound: 0
; FloatMode: 240
; IeeeMode: 1
; LDSByteSize: 0 bytes/workgroup (compile time only)
; SGPRBlocks: 0
; VGPRBlocks: 0
; NumSGPRsForWavesPerEU: 4
; NumVGPRsForWavesPerEU: 1
; AccumOffset: 4
; Occupancy: 8
; WaveLimiterHint : 0
; COMPUTE_PGM_RSRC2:SCRATCH_EN: 0
; COMPUTE_PGM_RSRC2:USER_SGPR: 6
; COMPUTE_PGM_RSRC2:TRAP_HANDLER: 0
; COMPUTE_PGM_RSRC2:TGID_X_EN: 1
; COMPUTE_PGM_RSRC2:TGID_Y_EN: 0
; COMPUTE_PGM_RSRC2:TGID_Z_EN: 0
; COMPUTE_PGM_RSRC2:TIDIG_COMP_CNT: 0
; COMPUTE_PGM_RSRC3_GFX90A:ACCUM_OFFSET: 0
; COMPUTE_PGM_RSRC3_GFX90A:TG_SPLIT: 0
	.section	.text._ZN7rocprim17ROCPRIM_400000_NS6detail17trampoline_kernelINS0_14default_configENS1_20scan_config_selectorIsEEZZNS1_9scan_implILNS1_25lookback_scan_determinismE0ELb0ELb1ES3_N6thrust23THRUST_200600_302600_NS6detail15normal_iteratorINS9_10device_ptrIsEEEESE_sNS9_4plusIsEEsEEDaPvRmT3_T4_T5_mT6_P12ihipStream_tbENKUlT_T0_E_clISt17integral_constantIbLb0EEST_IbLb1EEEEDaSP_SQ_EUlSP_E0_NS1_11comp_targetILNS1_3genE0ELNS1_11target_archE4294967295ELNS1_3gpuE0ELNS1_3repE0EEENS1_30default_config_static_selectorELNS0_4arch9wavefront6targetE1EEEvT1_,"axG",@progbits,_ZN7rocprim17ROCPRIM_400000_NS6detail17trampoline_kernelINS0_14default_configENS1_20scan_config_selectorIsEEZZNS1_9scan_implILNS1_25lookback_scan_determinismE0ELb0ELb1ES3_N6thrust23THRUST_200600_302600_NS6detail15normal_iteratorINS9_10device_ptrIsEEEESE_sNS9_4plusIsEEsEEDaPvRmT3_T4_T5_mT6_P12ihipStream_tbENKUlT_T0_E_clISt17integral_constantIbLb0EEST_IbLb1EEEEDaSP_SQ_EUlSP_E0_NS1_11comp_targetILNS1_3genE0ELNS1_11target_archE4294967295ELNS1_3gpuE0ELNS1_3repE0EEENS1_30default_config_static_selectorELNS0_4arch9wavefront6targetE1EEEvT1_,comdat
	.protected	_ZN7rocprim17ROCPRIM_400000_NS6detail17trampoline_kernelINS0_14default_configENS1_20scan_config_selectorIsEEZZNS1_9scan_implILNS1_25lookback_scan_determinismE0ELb0ELb1ES3_N6thrust23THRUST_200600_302600_NS6detail15normal_iteratorINS9_10device_ptrIsEEEESE_sNS9_4plusIsEEsEEDaPvRmT3_T4_T5_mT6_P12ihipStream_tbENKUlT_T0_E_clISt17integral_constantIbLb0EEST_IbLb1EEEEDaSP_SQ_EUlSP_E0_NS1_11comp_targetILNS1_3genE0ELNS1_11target_archE4294967295ELNS1_3gpuE0ELNS1_3repE0EEENS1_30default_config_static_selectorELNS0_4arch9wavefront6targetE1EEEvT1_ ; -- Begin function _ZN7rocprim17ROCPRIM_400000_NS6detail17trampoline_kernelINS0_14default_configENS1_20scan_config_selectorIsEEZZNS1_9scan_implILNS1_25lookback_scan_determinismE0ELb0ELb1ES3_N6thrust23THRUST_200600_302600_NS6detail15normal_iteratorINS9_10device_ptrIsEEEESE_sNS9_4plusIsEEsEEDaPvRmT3_T4_T5_mT6_P12ihipStream_tbENKUlT_T0_E_clISt17integral_constantIbLb0EEST_IbLb1EEEEDaSP_SQ_EUlSP_E0_NS1_11comp_targetILNS1_3genE0ELNS1_11target_archE4294967295ELNS1_3gpuE0ELNS1_3repE0EEENS1_30default_config_static_selectorELNS0_4arch9wavefront6targetE1EEEvT1_
	.globl	_ZN7rocprim17ROCPRIM_400000_NS6detail17trampoline_kernelINS0_14default_configENS1_20scan_config_selectorIsEEZZNS1_9scan_implILNS1_25lookback_scan_determinismE0ELb0ELb1ES3_N6thrust23THRUST_200600_302600_NS6detail15normal_iteratorINS9_10device_ptrIsEEEESE_sNS9_4plusIsEEsEEDaPvRmT3_T4_T5_mT6_P12ihipStream_tbENKUlT_T0_E_clISt17integral_constantIbLb0EEST_IbLb1EEEEDaSP_SQ_EUlSP_E0_NS1_11comp_targetILNS1_3genE0ELNS1_11target_archE4294967295ELNS1_3gpuE0ELNS1_3repE0EEENS1_30default_config_static_selectorELNS0_4arch9wavefront6targetE1EEEvT1_
	.p2align	8
	.type	_ZN7rocprim17ROCPRIM_400000_NS6detail17trampoline_kernelINS0_14default_configENS1_20scan_config_selectorIsEEZZNS1_9scan_implILNS1_25lookback_scan_determinismE0ELb0ELb1ES3_N6thrust23THRUST_200600_302600_NS6detail15normal_iteratorINS9_10device_ptrIsEEEESE_sNS9_4plusIsEEsEEDaPvRmT3_T4_T5_mT6_P12ihipStream_tbENKUlT_T0_E_clISt17integral_constantIbLb0EEST_IbLb1EEEEDaSP_SQ_EUlSP_E0_NS1_11comp_targetILNS1_3genE0ELNS1_11target_archE4294967295ELNS1_3gpuE0ELNS1_3repE0EEENS1_30default_config_static_selectorELNS0_4arch9wavefront6targetE1EEEvT1_,@function
_ZN7rocprim17ROCPRIM_400000_NS6detail17trampoline_kernelINS0_14default_configENS1_20scan_config_selectorIsEEZZNS1_9scan_implILNS1_25lookback_scan_determinismE0ELb0ELb1ES3_N6thrust23THRUST_200600_302600_NS6detail15normal_iteratorINS9_10device_ptrIsEEEESE_sNS9_4plusIsEEsEEDaPvRmT3_T4_T5_mT6_P12ihipStream_tbENKUlT_T0_E_clISt17integral_constantIbLb0EEST_IbLb1EEEEDaSP_SQ_EUlSP_E0_NS1_11comp_targetILNS1_3genE0ELNS1_11target_archE4294967295ELNS1_3gpuE0ELNS1_3repE0EEENS1_30default_config_static_selectorELNS0_4arch9wavefront6targetE1EEEvT1_: ; @_ZN7rocprim17ROCPRIM_400000_NS6detail17trampoline_kernelINS0_14default_configENS1_20scan_config_selectorIsEEZZNS1_9scan_implILNS1_25lookback_scan_determinismE0ELb0ELb1ES3_N6thrust23THRUST_200600_302600_NS6detail15normal_iteratorINS9_10device_ptrIsEEEESE_sNS9_4plusIsEEsEEDaPvRmT3_T4_T5_mT6_P12ihipStream_tbENKUlT_T0_E_clISt17integral_constantIbLb0EEST_IbLb1EEEEDaSP_SQ_EUlSP_E0_NS1_11comp_targetILNS1_3genE0ELNS1_11target_archE4294967295ELNS1_3gpuE0ELNS1_3repE0EEENS1_30default_config_static_selectorELNS0_4arch9wavefront6targetE1EEEvT1_
; %bb.0:
	.section	.rodata,"a",@progbits
	.p2align	6, 0x0
	.amdhsa_kernel _ZN7rocprim17ROCPRIM_400000_NS6detail17trampoline_kernelINS0_14default_configENS1_20scan_config_selectorIsEEZZNS1_9scan_implILNS1_25lookback_scan_determinismE0ELb0ELb1ES3_N6thrust23THRUST_200600_302600_NS6detail15normal_iteratorINS9_10device_ptrIsEEEESE_sNS9_4plusIsEEsEEDaPvRmT3_T4_T5_mT6_P12ihipStream_tbENKUlT_T0_E_clISt17integral_constantIbLb0EEST_IbLb1EEEEDaSP_SQ_EUlSP_E0_NS1_11comp_targetILNS1_3genE0ELNS1_11target_archE4294967295ELNS1_3gpuE0ELNS1_3repE0EEENS1_30default_config_static_selectorELNS0_4arch9wavefront6targetE1EEEvT1_
		.amdhsa_group_segment_fixed_size 0
		.amdhsa_private_segment_fixed_size 0
		.amdhsa_kernarg_size 32
		.amdhsa_user_sgpr_count 6
		.amdhsa_user_sgpr_private_segment_buffer 1
		.amdhsa_user_sgpr_dispatch_ptr 0
		.amdhsa_user_sgpr_queue_ptr 0
		.amdhsa_user_sgpr_kernarg_segment_ptr 1
		.amdhsa_user_sgpr_dispatch_id 0
		.amdhsa_user_sgpr_flat_scratch_init 0
		.amdhsa_user_sgpr_kernarg_preload_length 0
		.amdhsa_user_sgpr_kernarg_preload_offset 0
		.amdhsa_user_sgpr_private_segment_size 0
		.amdhsa_uses_dynamic_stack 0
		.amdhsa_system_sgpr_private_segment_wavefront_offset 0
		.amdhsa_system_sgpr_workgroup_id_x 1
		.amdhsa_system_sgpr_workgroup_id_y 0
		.amdhsa_system_sgpr_workgroup_id_z 0
		.amdhsa_system_sgpr_workgroup_info 0
		.amdhsa_system_vgpr_workitem_id 0
		.amdhsa_next_free_vgpr 1
		.amdhsa_next_free_sgpr 0
		.amdhsa_accum_offset 4
		.amdhsa_reserve_vcc 0
		.amdhsa_reserve_flat_scratch 0
		.amdhsa_float_round_mode_32 0
		.amdhsa_float_round_mode_16_64 0
		.amdhsa_float_denorm_mode_32 3
		.amdhsa_float_denorm_mode_16_64 3
		.amdhsa_dx10_clamp 1
		.amdhsa_ieee_mode 1
		.amdhsa_fp16_overflow 0
		.amdhsa_tg_split 0
		.amdhsa_exception_fp_ieee_invalid_op 0
		.amdhsa_exception_fp_denorm_src 0
		.amdhsa_exception_fp_ieee_div_zero 0
		.amdhsa_exception_fp_ieee_overflow 0
		.amdhsa_exception_fp_ieee_underflow 0
		.amdhsa_exception_fp_ieee_inexact 0
		.amdhsa_exception_int_div_zero 0
	.end_amdhsa_kernel
	.section	.text._ZN7rocprim17ROCPRIM_400000_NS6detail17trampoline_kernelINS0_14default_configENS1_20scan_config_selectorIsEEZZNS1_9scan_implILNS1_25lookback_scan_determinismE0ELb0ELb1ES3_N6thrust23THRUST_200600_302600_NS6detail15normal_iteratorINS9_10device_ptrIsEEEESE_sNS9_4plusIsEEsEEDaPvRmT3_T4_T5_mT6_P12ihipStream_tbENKUlT_T0_E_clISt17integral_constantIbLb0EEST_IbLb1EEEEDaSP_SQ_EUlSP_E0_NS1_11comp_targetILNS1_3genE0ELNS1_11target_archE4294967295ELNS1_3gpuE0ELNS1_3repE0EEENS1_30default_config_static_selectorELNS0_4arch9wavefront6targetE1EEEvT1_,"axG",@progbits,_ZN7rocprim17ROCPRIM_400000_NS6detail17trampoline_kernelINS0_14default_configENS1_20scan_config_selectorIsEEZZNS1_9scan_implILNS1_25lookback_scan_determinismE0ELb0ELb1ES3_N6thrust23THRUST_200600_302600_NS6detail15normal_iteratorINS9_10device_ptrIsEEEESE_sNS9_4plusIsEEsEEDaPvRmT3_T4_T5_mT6_P12ihipStream_tbENKUlT_T0_E_clISt17integral_constantIbLb0EEST_IbLb1EEEEDaSP_SQ_EUlSP_E0_NS1_11comp_targetILNS1_3genE0ELNS1_11target_archE4294967295ELNS1_3gpuE0ELNS1_3repE0EEENS1_30default_config_static_selectorELNS0_4arch9wavefront6targetE1EEEvT1_,comdat
.Lfunc_end1330:
	.size	_ZN7rocprim17ROCPRIM_400000_NS6detail17trampoline_kernelINS0_14default_configENS1_20scan_config_selectorIsEEZZNS1_9scan_implILNS1_25lookback_scan_determinismE0ELb0ELb1ES3_N6thrust23THRUST_200600_302600_NS6detail15normal_iteratorINS9_10device_ptrIsEEEESE_sNS9_4plusIsEEsEEDaPvRmT3_T4_T5_mT6_P12ihipStream_tbENKUlT_T0_E_clISt17integral_constantIbLb0EEST_IbLb1EEEEDaSP_SQ_EUlSP_E0_NS1_11comp_targetILNS1_3genE0ELNS1_11target_archE4294967295ELNS1_3gpuE0ELNS1_3repE0EEENS1_30default_config_static_selectorELNS0_4arch9wavefront6targetE1EEEvT1_, .Lfunc_end1330-_ZN7rocprim17ROCPRIM_400000_NS6detail17trampoline_kernelINS0_14default_configENS1_20scan_config_selectorIsEEZZNS1_9scan_implILNS1_25lookback_scan_determinismE0ELb0ELb1ES3_N6thrust23THRUST_200600_302600_NS6detail15normal_iteratorINS9_10device_ptrIsEEEESE_sNS9_4plusIsEEsEEDaPvRmT3_T4_T5_mT6_P12ihipStream_tbENKUlT_T0_E_clISt17integral_constantIbLb0EEST_IbLb1EEEEDaSP_SQ_EUlSP_E0_NS1_11comp_targetILNS1_3genE0ELNS1_11target_archE4294967295ELNS1_3gpuE0ELNS1_3repE0EEENS1_30default_config_static_selectorELNS0_4arch9wavefront6targetE1EEEvT1_
                                        ; -- End function
	.section	.AMDGPU.csdata,"",@progbits
; Kernel info:
; codeLenInByte = 0
; NumSgprs: 4
; NumVgprs: 0
; NumAgprs: 0
; TotalNumVgprs: 0
; ScratchSize: 0
; MemoryBound: 0
; FloatMode: 240
; IeeeMode: 1
; LDSByteSize: 0 bytes/workgroup (compile time only)
; SGPRBlocks: 0
; VGPRBlocks: 0
; NumSGPRsForWavesPerEU: 4
; NumVGPRsForWavesPerEU: 1
; AccumOffset: 4
; Occupancy: 8
; WaveLimiterHint : 0
; COMPUTE_PGM_RSRC2:SCRATCH_EN: 0
; COMPUTE_PGM_RSRC2:USER_SGPR: 6
; COMPUTE_PGM_RSRC2:TRAP_HANDLER: 0
; COMPUTE_PGM_RSRC2:TGID_X_EN: 1
; COMPUTE_PGM_RSRC2:TGID_Y_EN: 0
; COMPUTE_PGM_RSRC2:TGID_Z_EN: 0
; COMPUTE_PGM_RSRC2:TIDIG_COMP_CNT: 0
; COMPUTE_PGM_RSRC3_GFX90A:ACCUM_OFFSET: 0
; COMPUTE_PGM_RSRC3_GFX90A:TG_SPLIT: 0
	.section	.text._ZN7rocprim17ROCPRIM_400000_NS6detail17trampoline_kernelINS0_14default_configENS1_20scan_config_selectorIsEEZZNS1_9scan_implILNS1_25lookback_scan_determinismE0ELb0ELb1ES3_N6thrust23THRUST_200600_302600_NS6detail15normal_iteratorINS9_10device_ptrIsEEEESE_sNS9_4plusIsEEsEEDaPvRmT3_T4_T5_mT6_P12ihipStream_tbENKUlT_T0_E_clISt17integral_constantIbLb0EEST_IbLb1EEEEDaSP_SQ_EUlSP_E0_NS1_11comp_targetILNS1_3genE5ELNS1_11target_archE942ELNS1_3gpuE9ELNS1_3repE0EEENS1_30default_config_static_selectorELNS0_4arch9wavefront6targetE1EEEvT1_,"axG",@progbits,_ZN7rocprim17ROCPRIM_400000_NS6detail17trampoline_kernelINS0_14default_configENS1_20scan_config_selectorIsEEZZNS1_9scan_implILNS1_25lookback_scan_determinismE0ELb0ELb1ES3_N6thrust23THRUST_200600_302600_NS6detail15normal_iteratorINS9_10device_ptrIsEEEESE_sNS9_4plusIsEEsEEDaPvRmT3_T4_T5_mT6_P12ihipStream_tbENKUlT_T0_E_clISt17integral_constantIbLb0EEST_IbLb1EEEEDaSP_SQ_EUlSP_E0_NS1_11comp_targetILNS1_3genE5ELNS1_11target_archE942ELNS1_3gpuE9ELNS1_3repE0EEENS1_30default_config_static_selectorELNS0_4arch9wavefront6targetE1EEEvT1_,comdat
	.protected	_ZN7rocprim17ROCPRIM_400000_NS6detail17trampoline_kernelINS0_14default_configENS1_20scan_config_selectorIsEEZZNS1_9scan_implILNS1_25lookback_scan_determinismE0ELb0ELb1ES3_N6thrust23THRUST_200600_302600_NS6detail15normal_iteratorINS9_10device_ptrIsEEEESE_sNS9_4plusIsEEsEEDaPvRmT3_T4_T5_mT6_P12ihipStream_tbENKUlT_T0_E_clISt17integral_constantIbLb0EEST_IbLb1EEEEDaSP_SQ_EUlSP_E0_NS1_11comp_targetILNS1_3genE5ELNS1_11target_archE942ELNS1_3gpuE9ELNS1_3repE0EEENS1_30default_config_static_selectorELNS0_4arch9wavefront6targetE1EEEvT1_ ; -- Begin function _ZN7rocprim17ROCPRIM_400000_NS6detail17trampoline_kernelINS0_14default_configENS1_20scan_config_selectorIsEEZZNS1_9scan_implILNS1_25lookback_scan_determinismE0ELb0ELb1ES3_N6thrust23THRUST_200600_302600_NS6detail15normal_iteratorINS9_10device_ptrIsEEEESE_sNS9_4plusIsEEsEEDaPvRmT3_T4_T5_mT6_P12ihipStream_tbENKUlT_T0_E_clISt17integral_constantIbLb0EEST_IbLb1EEEEDaSP_SQ_EUlSP_E0_NS1_11comp_targetILNS1_3genE5ELNS1_11target_archE942ELNS1_3gpuE9ELNS1_3repE0EEENS1_30default_config_static_selectorELNS0_4arch9wavefront6targetE1EEEvT1_
	.globl	_ZN7rocprim17ROCPRIM_400000_NS6detail17trampoline_kernelINS0_14default_configENS1_20scan_config_selectorIsEEZZNS1_9scan_implILNS1_25lookback_scan_determinismE0ELb0ELb1ES3_N6thrust23THRUST_200600_302600_NS6detail15normal_iteratorINS9_10device_ptrIsEEEESE_sNS9_4plusIsEEsEEDaPvRmT3_T4_T5_mT6_P12ihipStream_tbENKUlT_T0_E_clISt17integral_constantIbLb0EEST_IbLb1EEEEDaSP_SQ_EUlSP_E0_NS1_11comp_targetILNS1_3genE5ELNS1_11target_archE942ELNS1_3gpuE9ELNS1_3repE0EEENS1_30default_config_static_selectorELNS0_4arch9wavefront6targetE1EEEvT1_
	.p2align	8
	.type	_ZN7rocprim17ROCPRIM_400000_NS6detail17trampoline_kernelINS0_14default_configENS1_20scan_config_selectorIsEEZZNS1_9scan_implILNS1_25lookback_scan_determinismE0ELb0ELb1ES3_N6thrust23THRUST_200600_302600_NS6detail15normal_iteratorINS9_10device_ptrIsEEEESE_sNS9_4plusIsEEsEEDaPvRmT3_T4_T5_mT6_P12ihipStream_tbENKUlT_T0_E_clISt17integral_constantIbLb0EEST_IbLb1EEEEDaSP_SQ_EUlSP_E0_NS1_11comp_targetILNS1_3genE5ELNS1_11target_archE942ELNS1_3gpuE9ELNS1_3repE0EEENS1_30default_config_static_selectorELNS0_4arch9wavefront6targetE1EEEvT1_,@function
_ZN7rocprim17ROCPRIM_400000_NS6detail17trampoline_kernelINS0_14default_configENS1_20scan_config_selectorIsEEZZNS1_9scan_implILNS1_25lookback_scan_determinismE0ELb0ELb1ES3_N6thrust23THRUST_200600_302600_NS6detail15normal_iteratorINS9_10device_ptrIsEEEESE_sNS9_4plusIsEEsEEDaPvRmT3_T4_T5_mT6_P12ihipStream_tbENKUlT_T0_E_clISt17integral_constantIbLb0EEST_IbLb1EEEEDaSP_SQ_EUlSP_E0_NS1_11comp_targetILNS1_3genE5ELNS1_11target_archE942ELNS1_3gpuE9ELNS1_3repE0EEENS1_30default_config_static_selectorELNS0_4arch9wavefront6targetE1EEEvT1_: ; @_ZN7rocprim17ROCPRIM_400000_NS6detail17trampoline_kernelINS0_14default_configENS1_20scan_config_selectorIsEEZZNS1_9scan_implILNS1_25lookback_scan_determinismE0ELb0ELb1ES3_N6thrust23THRUST_200600_302600_NS6detail15normal_iteratorINS9_10device_ptrIsEEEESE_sNS9_4plusIsEEsEEDaPvRmT3_T4_T5_mT6_P12ihipStream_tbENKUlT_T0_E_clISt17integral_constantIbLb0EEST_IbLb1EEEEDaSP_SQ_EUlSP_E0_NS1_11comp_targetILNS1_3genE5ELNS1_11target_archE942ELNS1_3gpuE9ELNS1_3repE0EEENS1_30default_config_static_selectorELNS0_4arch9wavefront6targetE1EEEvT1_
; %bb.0:
	.section	.rodata,"a",@progbits
	.p2align	6, 0x0
	.amdhsa_kernel _ZN7rocprim17ROCPRIM_400000_NS6detail17trampoline_kernelINS0_14default_configENS1_20scan_config_selectorIsEEZZNS1_9scan_implILNS1_25lookback_scan_determinismE0ELb0ELb1ES3_N6thrust23THRUST_200600_302600_NS6detail15normal_iteratorINS9_10device_ptrIsEEEESE_sNS9_4plusIsEEsEEDaPvRmT3_T4_T5_mT6_P12ihipStream_tbENKUlT_T0_E_clISt17integral_constantIbLb0EEST_IbLb1EEEEDaSP_SQ_EUlSP_E0_NS1_11comp_targetILNS1_3genE5ELNS1_11target_archE942ELNS1_3gpuE9ELNS1_3repE0EEENS1_30default_config_static_selectorELNS0_4arch9wavefront6targetE1EEEvT1_
		.amdhsa_group_segment_fixed_size 0
		.amdhsa_private_segment_fixed_size 0
		.amdhsa_kernarg_size 32
		.amdhsa_user_sgpr_count 6
		.amdhsa_user_sgpr_private_segment_buffer 1
		.amdhsa_user_sgpr_dispatch_ptr 0
		.amdhsa_user_sgpr_queue_ptr 0
		.amdhsa_user_sgpr_kernarg_segment_ptr 1
		.amdhsa_user_sgpr_dispatch_id 0
		.amdhsa_user_sgpr_flat_scratch_init 0
		.amdhsa_user_sgpr_kernarg_preload_length 0
		.amdhsa_user_sgpr_kernarg_preload_offset 0
		.amdhsa_user_sgpr_private_segment_size 0
		.amdhsa_uses_dynamic_stack 0
		.amdhsa_system_sgpr_private_segment_wavefront_offset 0
		.amdhsa_system_sgpr_workgroup_id_x 1
		.amdhsa_system_sgpr_workgroup_id_y 0
		.amdhsa_system_sgpr_workgroup_id_z 0
		.amdhsa_system_sgpr_workgroup_info 0
		.amdhsa_system_vgpr_workitem_id 0
		.amdhsa_next_free_vgpr 1
		.amdhsa_next_free_sgpr 0
		.amdhsa_accum_offset 4
		.amdhsa_reserve_vcc 0
		.amdhsa_reserve_flat_scratch 0
		.amdhsa_float_round_mode_32 0
		.amdhsa_float_round_mode_16_64 0
		.amdhsa_float_denorm_mode_32 3
		.amdhsa_float_denorm_mode_16_64 3
		.amdhsa_dx10_clamp 1
		.amdhsa_ieee_mode 1
		.amdhsa_fp16_overflow 0
		.amdhsa_tg_split 0
		.amdhsa_exception_fp_ieee_invalid_op 0
		.amdhsa_exception_fp_denorm_src 0
		.amdhsa_exception_fp_ieee_div_zero 0
		.amdhsa_exception_fp_ieee_overflow 0
		.amdhsa_exception_fp_ieee_underflow 0
		.amdhsa_exception_fp_ieee_inexact 0
		.amdhsa_exception_int_div_zero 0
	.end_amdhsa_kernel
	.section	.text._ZN7rocprim17ROCPRIM_400000_NS6detail17trampoline_kernelINS0_14default_configENS1_20scan_config_selectorIsEEZZNS1_9scan_implILNS1_25lookback_scan_determinismE0ELb0ELb1ES3_N6thrust23THRUST_200600_302600_NS6detail15normal_iteratorINS9_10device_ptrIsEEEESE_sNS9_4plusIsEEsEEDaPvRmT3_T4_T5_mT6_P12ihipStream_tbENKUlT_T0_E_clISt17integral_constantIbLb0EEST_IbLb1EEEEDaSP_SQ_EUlSP_E0_NS1_11comp_targetILNS1_3genE5ELNS1_11target_archE942ELNS1_3gpuE9ELNS1_3repE0EEENS1_30default_config_static_selectorELNS0_4arch9wavefront6targetE1EEEvT1_,"axG",@progbits,_ZN7rocprim17ROCPRIM_400000_NS6detail17trampoline_kernelINS0_14default_configENS1_20scan_config_selectorIsEEZZNS1_9scan_implILNS1_25lookback_scan_determinismE0ELb0ELb1ES3_N6thrust23THRUST_200600_302600_NS6detail15normal_iteratorINS9_10device_ptrIsEEEESE_sNS9_4plusIsEEsEEDaPvRmT3_T4_T5_mT6_P12ihipStream_tbENKUlT_T0_E_clISt17integral_constantIbLb0EEST_IbLb1EEEEDaSP_SQ_EUlSP_E0_NS1_11comp_targetILNS1_3genE5ELNS1_11target_archE942ELNS1_3gpuE9ELNS1_3repE0EEENS1_30default_config_static_selectorELNS0_4arch9wavefront6targetE1EEEvT1_,comdat
.Lfunc_end1331:
	.size	_ZN7rocprim17ROCPRIM_400000_NS6detail17trampoline_kernelINS0_14default_configENS1_20scan_config_selectorIsEEZZNS1_9scan_implILNS1_25lookback_scan_determinismE0ELb0ELb1ES3_N6thrust23THRUST_200600_302600_NS6detail15normal_iteratorINS9_10device_ptrIsEEEESE_sNS9_4plusIsEEsEEDaPvRmT3_T4_T5_mT6_P12ihipStream_tbENKUlT_T0_E_clISt17integral_constantIbLb0EEST_IbLb1EEEEDaSP_SQ_EUlSP_E0_NS1_11comp_targetILNS1_3genE5ELNS1_11target_archE942ELNS1_3gpuE9ELNS1_3repE0EEENS1_30default_config_static_selectorELNS0_4arch9wavefront6targetE1EEEvT1_, .Lfunc_end1331-_ZN7rocprim17ROCPRIM_400000_NS6detail17trampoline_kernelINS0_14default_configENS1_20scan_config_selectorIsEEZZNS1_9scan_implILNS1_25lookback_scan_determinismE0ELb0ELb1ES3_N6thrust23THRUST_200600_302600_NS6detail15normal_iteratorINS9_10device_ptrIsEEEESE_sNS9_4plusIsEEsEEDaPvRmT3_T4_T5_mT6_P12ihipStream_tbENKUlT_T0_E_clISt17integral_constantIbLb0EEST_IbLb1EEEEDaSP_SQ_EUlSP_E0_NS1_11comp_targetILNS1_3genE5ELNS1_11target_archE942ELNS1_3gpuE9ELNS1_3repE0EEENS1_30default_config_static_selectorELNS0_4arch9wavefront6targetE1EEEvT1_
                                        ; -- End function
	.section	.AMDGPU.csdata,"",@progbits
; Kernel info:
; codeLenInByte = 0
; NumSgprs: 4
; NumVgprs: 0
; NumAgprs: 0
; TotalNumVgprs: 0
; ScratchSize: 0
; MemoryBound: 0
; FloatMode: 240
; IeeeMode: 1
; LDSByteSize: 0 bytes/workgroup (compile time only)
; SGPRBlocks: 0
; VGPRBlocks: 0
; NumSGPRsForWavesPerEU: 4
; NumVGPRsForWavesPerEU: 1
; AccumOffset: 4
; Occupancy: 8
; WaveLimiterHint : 0
; COMPUTE_PGM_RSRC2:SCRATCH_EN: 0
; COMPUTE_PGM_RSRC2:USER_SGPR: 6
; COMPUTE_PGM_RSRC2:TRAP_HANDLER: 0
; COMPUTE_PGM_RSRC2:TGID_X_EN: 1
; COMPUTE_PGM_RSRC2:TGID_Y_EN: 0
; COMPUTE_PGM_RSRC2:TGID_Z_EN: 0
; COMPUTE_PGM_RSRC2:TIDIG_COMP_CNT: 0
; COMPUTE_PGM_RSRC3_GFX90A:ACCUM_OFFSET: 0
; COMPUTE_PGM_RSRC3_GFX90A:TG_SPLIT: 0
	.section	.text._ZN7rocprim17ROCPRIM_400000_NS6detail17trampoline_kernelINS0_14default_configENS1_20scan_config_selectorIsEEZZNS1_9scan_implILNS1_25lookback_scan_determinismE0ELb0ELb1ES3_N6thrust23THRUST_200600_302600_NS6detail15normal_iteratorINS9_10device_ptrIsEEEESE_sNS9_4plusIsEEsEEDaPvRmT3_T4_T5_mT6_P12ihipStream_tbENKUlT_T0_E_clISt17integral_constantIbLb0EEST_IbLb1EEEEDaSP_SQ_EUlSP_E0_NS1_11comp_targetILNS1_3genE4ELNS1_11target_archE910ELNS1_3gpuE8ELNS1_3repE0EEENS1_30default_config_static_selectorELNS0_4arch9wavefront6targetE1EEEvT1_,"axG",@progbits,_ZN7rocprim17ROCPRIM_400000_NS6detail17trampoline_kernelINS0_14default_configENS1_20scan_config_selectorIsEEZZNS1_9scan_implILNS1_25lookback_scan_determinismE0ELb0ELb1ES3_N6thrust23THRUST_200600_302600_NS6detail15normal_iteratorINS9_10device_ptrIsEEEESE_sNS9_4plusIsEEsEEDaPvRmT3_T4_T5_mT6_P12ihipStream_tbENKUlT_T0_E_clISt17integral_constantIbLb0EEST_IbLb1EEEEDaSP_SQ_EUlSP_E0_NS1_11comp_targetILNS1_3genE4ELNS1_11target_archE910ELNS1_3gpuE8ELNS1_3repE0EEENS1_30default_config_static_selectorELNS0_4arch9wavefront6targetE1EEEvT1_,comdat
	.protected	_ZN7rocprim17ROCPRIM_400000_NS6detail17trampoline_kernelINS0_14default_configENS1_20scan_config_selectorIsEEZZNS1_9scan_implILNS1_25lookback_scan_determinismE0ELb0ELb1ES3_N6thrust23THRUST_200600_302600_NS6detail15normal_iteratorINS9_10device_ptrIsEEEESE_sNS9_4plusIsEEsEEDaPvRmT3_T4_T5_mT6_P12ihipStream_tbENKUlT_T0_E_clISt17integral_constantIbLb0EEST_IbLb1EEEEDaSP_SQ_EUlSP_E0_NS1_11comp_targetILNS1_3genE4ELNS1_11target_archE910ELNS1_3gpuE8ELNS1_3repE0EEENS1_30default_config_static_selectorELNS0_4arch9wavefront6targetE1EEEvT1_ ; -- Begin function _ZN7rocprim17ROCPRIM_400000_NS6detail17trampoline_kernelINS0_14default_configENS1_20scan_config_selectorIsEEZZNS1_9scan_implILNS1_25lookback_scan_determinismE0ELb0ELb1ES3_N6thrust23THRUST_200600_302600_NS6detail15normal_iteratorINS9_10device_ptrIsEEEESE_sNS9_4plusIsEEsEEDaPvRmT3_T4_T5_mT6_P12ihipStream_tbENKUlT_T0_E_clISt17integral_constantIbLb0EEST_IbLb1EEEEDaSP_SQ_EUlSP_E0_NS1_11comp_targetILNS1_3genE4ELNS1_11target_archE910ELNS1_3gpuE8ELNS1_3repE0EEENS1_30default_config_static_selectorELNS0_4arch9wavefront6targetE1EEEvT1_
	.globl	_ZN7rocprim17ROCPRIM_400000_NS6detail17trampoline_kernelINS0_14default_configENS1_20scan_config_selectorIsEEZZNS1_9scan_implILNS1_25lookback_scan_determinismE0ELb0ELb1ES3_N6thrust23THRUST_200600_302600_NS6detail15normal_iteratorINS9_10device_ptrIsEEEESE_sNS9_4plusIsEEsEEDaPvRmT3_T4_T5_mT6_P12ihipStream_tbENKUlT_T0_E_clISt17integral_constantIbLb0EEST_IbLb1EEEEDaSP_SQ_EUlSP_E0_NS1_11comp_targetILNS1_3genE4ELNS1_11target_archE910ELNS1_3gpuE8ELNS1_3repE0EEENS1_30default_config_static_selectorELNS0_4arch9wavefront6targetE1EEEvT1_
	.p2align	8
	.type	_ZN7rocprim17ROCPRIM_400000_NS6detail17trampoline_kernelINS0_14default_configENS1_20scan_config_selectorIsEEZZNS1_9scan_implILNS1_25lookback_scan_determinismE0ELb0ELb1ES3_N6thrust23THRUST_200600_302600_NS6detail15normal_iteratorINS9_10device_ptrIsEEEESE_sNS9_4plusIsEEsEEDaPvRmT3_T4_T5_mT6_P12ihipStream_tbENKUlT_T0_E_clISt17integral_constantIbLb0EEST_IbLb1EEEEDaSP_SQ_EUlSP_E0_NS1_11comp_targetILNS1_3genE4ELNS1_11target_archE910ELNS1_3gpuE8ELNS1_3repE0EEENS1_30default_config_static_selectorELNS0_4arch9wavefront6targetE1EEEvT1_,@function
_ZN7rocprim17ROCPRIM_400000_NS6detail17trampoline_kernelINS0_14default_configENS1_20scan_config_selectorIsEEZZNS1_9scan_implILNS1_25lookback_scan_determinismE0ELb0ELb1ES3_N6thrust23THRUST_200600_302600_NS6detail15normal_iteratorINS9_10device_ptrIsEEEESE_sNS9_4plusIsEEsEEDaPvRmT3_T4_T5_mT6_P12ihipStream_tbENKUlT_T0_E_clISt17integral_constantIbLb0EEST_IbLb1EEEEDaSP_SQ_EUlSP_E0_NS1_11comp_targetILNS1_3genE4ELNS1_11target_archE910ELNS1_3gpuE8ELNS1_3repE0EEENS1_30default_config_static_selectorELNS0_4arch9wavefront6targetE1EEEvT1_: ; @_ZN7rocprim17ROCPRIM_400000_NS6detail17trampoline_kernelINS0_14default_configENS1_20scan_config_selectorIsEEZZNS1_9scan_implILNS1_25lookback_scan_determinismE0ELb0ELb1ES3_N6thrust23THRUST_200600_302600_NS6detail15normal_iteratorINS9_10device_ptrIsEEEESE_sNS9_4plusIsEEsEEDaPvRmT3_T4_T5_mT6_P12ihipStream_tbENKUlT_T0_E_clISt17integral_constantIbLb0EEST_IbLb1EEEEDaSP_SQ_EUlSP_E0_NS1_11comp_targetILNS1_3genE4ELNS1_11target_archE910ELNS1_3gpuE8ELNS1_3repE0EEENS1_30default_config_static_selectorELNS0_4arch9wavefront6targetE1EEEvT1_
; %bb.0:
	s_load_dwordx4 s[52:55], s[4:5], 0x0
	v_mov_b32_e32 v1, 0
	v_lshlrev_b32_e32 v14, 1, v0
	s_waitcnt lgkmcnt(0)
	global_load_ushort v2, v1, s[52:53]
	v_cmp_gt_u32_e32 vcc, s54, v0
	s_waitcnt vmcnt(0)
	v_mov_b32_e32 v3, v2
	s_and_saveexec_b64 s[0:1], vcc
	s_cbranch_execz .LBB1332_2
; %bb.1:
	global_load_ushort v3, v14, s[52:53]
.LBB1332_2:
	s_or_b64 exec, exec, s[0:1]
	v_or_b32_e32 v1, 64, v0
	v_cmp_gt_u32_e64 s[0:1], s54, v1
	v_mov_b32_e32 v4, v2
	s_and_saveexec_b64 s[2:3], s[0:1]
	s_cbranch_execz .LBB1332_4
; %bb.3:
	global_load_ushort v4, v14, s[52:53] offset:128
.LBB1332_4:
	s_or_b64 exec, exec, s[2:3]
	v_or_b32_e32 v1, 0x80, v0
	v_cmp_gt_u32_e64 s[2:3], s54, v1
	v_mov_b32_e32 v5, v2
	s_and_saveexec_b64 s[6:7], s[2:3]
	s_cbranch_execz .LBB1332_6
; %bb.5:
	global_load_ushort v5, v14, s[52:53] offset:256
.LBB1332_6:
	s_or_b64 exec, exec, s[6:7]
	v_or_b32_e32 v1, 0xc0, v0
	v_cmp_gt_u32_e64 s[48:49], s54, v1
	v_mov_b32_e32 v6, v2
	s_and_saveexec_b64 s[6:7], s[48:49]
	s_cbranch_execz .LBB1332_8
; %bb.7:
	global_load_ushort v6, v14, s[52:53] offset:384
.LBB1332_8:
	s_or_b64 exec, exec, s[6:7]
	v_or_b32_e32 v1, 0x100, v0
	v_cmp_gt_u32_e64 s[6:7], s54, v1
	v_mov_b32_e32 v7, v2
	s_and_saveexec_b64 s[8:9], s[6:7]
	s_cbranch_execz .LBB1332_10
; %bb.9:
	global_load_ushort v7, v14, s[52:53] offset:512
.LBB1332_10:
	s_or_b64 exec, exec, s[8:9]
	v_or_b32_e32 v1, 0x140, v0
	v_cmp_gt_u32_e64 s[8:9], s54, v1
	v_mov_b32_e32 v8, v2
	s_and_saveexec_b64 s[10:11], s[8:9]
	s_cbranch_execz .LBB1332_12
; %bb.11:
	global_load_ushort v8, v14, s[52:53] offset:640
.LBB1332_12:
	s_or_b64 exec, exec, s[10:11]
	v_or_b32_e32 v1, 0x180, v0
	v_cmp_gt_u32_e64 s[10:11], s54, v1
	v_mov_b32_e32 v9, v2
	s_and_saveexec_b64 s[12:13], s[10:11]
	s_cbranch_execz .LBB1332_14
; %bb.13:
	global_load_ushort v9, v14, s[52:53] offset:768
.LBB1332_14:
	s_or_b64 exec, exec, s[12:13]
	v_or_b32_e32 v1, 0x1c0, v0
	v_cmp_gt_u32_e64 s[12:13], s54, v1
	v_mov_b32_e32 v10, v2
	s_and_saveexec_b64 s[14:15], s[12:13]
	s_cbranch_execz .LBB1332_16
; %bb.15:
	global_load_ushort v10, v14, s[52:53] offset:896
.LBB1332_16:
	s_or_b64 exec, exec, s[14:15]
	v_or_b32_e32 v1, 0x200, v0
	v_cmp_gt_u32_e64 s[14:15], s54, v1
	v_mov_b32_e32 v11, v2
	s_and_saveexec_b64 s[16:17], s[14:15]
	s_cbranch_execz .LBB1332_18
; %bb.17:
	global_load_ushort v11, v14, s[52:53] offset:1024
.LBB1332_18:
	s_or_b64 exec, exec, s[16:17]
	v_or_b32_e32 v1, 0x240, v0
	v_cmp_gt_u32_e64 s[16:17], s54, v1
	v_mov_b32_e32 v12, v2
	s_and_saveexec_b64 s[18:19], s[16:17]
	s_cbranch_execz .LBB1332_20
; %bb.19:
	global_load_ushort v12, v14, s[52:53] offset:1152
.LBB1332_20:
	s_or_b64 exec, exec, s[18:19]
	v_or_b32_e32 v1, 0x280, v0
	v_cmp_gt_u32_e64 s[18:19], s54, v1
	v_mov_b32_e32 v13, v2
	s_and_saveexec_b64 s[20:21], s[18:19]
	s_cbranch_execz .LBB1332_22
; %bb.21:
	global_load_ushort v13, v14, s[52:53] offset:1280
.LBB1332_22:
	s_or_b64 exec, exec, s[20:21]
	v_or_b32_e32 v1, 0x2c0, v0
	v_cmp_gt_u32_e64 s[20:21], s54, v1
	v_mov_b32_e32 v15, v2
	s_and_saveexec_b64 s[22:23], s[20:21]
	s_cbranch_execz .LBB1332_24
; %bb.23:
	global_load_ushort v15, v14, s[52:53] offset:1408
.LBB1332_24:
	s_or_b64 exec, exec, s[22:23]
	v_or_b32_e32 v1, 0x300, v0
	v_cmp_gt_u32_e64 s[22:23], s54, v1
	v_mov_b32_e32 v16, v2
	s_and_saveexec_b64 s[24:25], s[22:23]
	s_cbranch_execz .LBB1332_26
; %bb.25:
	global_load_ushort v16, v14, s[52:53] offset:1536
.LBB1332_26:
	s_or_b64 exec, exec, s[24:25]
	v_or_b32_e32 v1, 0x340, v0
	v_cmp_gt_u32_e64 s[24:25], s54, v1
	v_mov_b32_e32 v17, v2
	s_and_saveexec_b64 s[26:27], s[24:25]
	s_cbranch_execz .LBB1332_28
; %bb.27:
	global_load_ushort v17, v14, s[52:53] offset:1664
.LBB1332_28:
	s_or_b64 exec, exec, s[26:27]
	v_or_b32_e32 v1, 0x380, v0
	v_cmp_gt_u32_e64 s[26:27], s54, v1
	v_mov_b32_e32 v18, v2
	s_and_saveexec_b64 s[28:29], s[26:27]
	s_cbranch_execz .LBB1332_30
; %bb.29:
	global_load_ushort v18, v14, s[52:53] offset:1792
.LBB1332_30:
	s_or_b64 exec, exec, s[28:29]
	v_or_b32_e32 v1, 0x3c0, v0
	v_cmp_gt_u32_e64 s[28:29], s54, v1
	v_mov_b32_e32 v19, v2
	s_and_saveexec_b64 s[30:31], s[28:29]
	s_cbranch_execz .LBB1332_32
; %bb.31:
	global_load_ushort v19, v14, s[52:53] offset:1920
.LBB1332_32:
	s_or_b64 exec, exec, s[30:31]
	v_or_b32_e32 v1, 0x400, v0
	v_cmp_gt_u32_e64 s[30:31], s54, v1
	v_mov_b32_e32 v20, v2
	s_and_saveexec_b64 s[34:35], s[30:31]
	s_cbranch_execz .LBB1332_34
; %bb.33:
	global_load_ushort v20, v14, s[52:53] offset:2048
.LBB1332_34:
	s_or_b64 exec, exec, s[34:35]
	v_or_b32_e32 v1, 0x440, v0
	v_cmp_gt_u32_e64 s[34:35], s54, v1
	v_mov_b32_e32 v21, v2
	s_and_saveexec_b64 s[36:37], s[34:35]
	s_cbranch_execz .LBB1332_36
; %bb.35:
	global_load_ushort v21, v14, s[52:53] offset:2176
.LBB1332_36:
	s_or_b64 exec, exec, s[36:37]
	v_or_b32_e32 v1, 0x480, v0
	v_cmp_gt_u32_e64 s[36:37], s54, v1
	v_mov_b32_e32 v22, v2
	s_and_saveexec_b64 s[38:39], s[36:37]
	s_cbranch_execz .LBB1332_38
; %bb.37:
	global_load_ushort v22, v14, s[52:53] offset:2304
.LBB1332_38:
	s_or_b64 exec, exec, s[38:39]
	v_or_b32_e32 v1, 0x4c0, v0
	v_cmp_gt_u32_e64 s[38:39], s54, v1
	v_mov_b32_e32 v23, v2
	s_and_saveexec_b64 s[40:41], s[38:39]
	s_cbranch_execz .LBB1332_40
; %bb.39:
	global_load_ushort v23, v14, s[52:53] offset:2432
.LBB1332_40:
	s_or_b64 exec, exec, s[40:41]
	v_or_b32_e32 v1, 0x500, v0
	v_cmp_gt_u32_e64 s[40:41], s54, v1
	v_mov_b32_e32 v24, v2
	s_and_saveexec_b64 s[42:43], s[40:41]
	s_cbranch_execz .LBB1332_42
; %bb.41:
	global_load_ushort v24, v14, s[52:53] offset:2560
.LBB1332_42:
	s_or_b64 exec, exec, s[42:43]
	v_or_b32_e32 v1, 0x540, v0
	v_cmp_gt_u32_e64 s[42:43], s54, v1
	v_mov_b32_e32 v25, v2
	s_and_saveexec_b64 s[44:45], s[42:43]
	s_cbranch_execz .LBB1332_44
; %bb.43:
	global_load_ushort v25, v14, s[52:53] offset:2688
.LBB1332_44:
	s_or_b64 exec, exec, s[44:45]
	v_or_b32_e32 v1, 0x580, v0
	v_cmp_gt_u32_e64 s[44:45], s54, v1
	v_mov_b32_e32 v26, v2
	s_and_saveexec_b64 s[46:47], s[44:45]
	s_cbranch_execz .LBB1332_46
; %bb.45:
	global_load_ushort v26, v14, s[52:53] offset:2816
.LBB1332_46:
	s_or_b64 exec, exec, s[46:47]
	v_or_b32_e32 v1, 0x5c0, v0
	v_cmp_gt_u32_e64 s[46:47], s54, v1
	v_cmp_le_u32_e64 s[50:51], s54, v1
	s_and_saveexec_b64 s[54:55], s[50:51]
	s_xor_b64 s[50:51], exec, s[54:55]
; %bb.47:
	v_mov_b32_e32 v1, 0
; %bb.48:
	s_andn2_saveexec_b64 s[50:51], s[50:51]
	s_cbranch_execz .LBB1332_50
; %bb.49:
	global_load_ushort v2, v14, s[52:53] offset:2944
	v_mov_b32_e32 v1, 0
.LBB1332_50:
	s_or_b64 exec, exec, s[50:51]
	s_waitcnt vmcnt(0)
	ds_write_b16 v14, v3
	ds_write_b16 v14, v4 offset:128
	ds_write_b16 v14, v5 offset:256
	;; [unrolled: 1-line block ×23, first 2 shown]
	v_mad_u32_u24 v2, v0, 46, v14
	s_waitcnt lgkmcnt(0)
	; wave barrier
	s_waitcnt lgkmcnt(0)
	ds_read_b128 v[6:9], v2
	ds_read_b128 v[10:13], v2 offset:16
	ds_read_b128 v[2:5], v2 offset:32
	s_load_dwordx2 s[52:53], s[4:5], 0x18
	s_waitcnt lgkmcnt(0)
	v_add_u16_sdwa v15, v6, v6 dst_sel:DWORD dst_unused:UNUSED_PAD src0_sel:WORD_1 src1_sel:DWORD
	v_add_u16_e32 v16, v15, v7
	v_add_u16_sdwa v17, v16, v7 dst_sel:DWORD dst_unused:UNUSED_PAD src0_sel:DWORD src1_sel:WORD_1
	v_add_u16_e32 v18, v17, v8
	v_add_u16_sdwa v19, v18, v8 dst_sel:DWORD dst_unused:UNUSED_PAD src0_sel:DWORD src1_sel:WORD_1
	;; [unrolled: 2-line block ×11, first 2 shown]
	v_mbcnt_lo_u32_b32 v36, -1, 0
	v_mbcnt_hi_u32_b32 v36, -1, v36
	v_and_b32_e32 v38, 15, v36
	v_mov_b32_dpp v39, v37 row_shr:1 row_mask:0xf bank_mask:0xf
	v_cmp_ne_u32_e64 s[50:51], 0, v38
	v_cndmask_b32_e64 v39, 0, v39, s[50:51]
	v_add_u16_e32 v37, v39, v37
	v_cmp_lt_u32_e64 s[50:51], 1, v38
	; wave barrier
	s_nop 0
	v_mov_b32_dpp v39, v37 row_shr:2 row_mask:0xf bank_mask:0xf
	v_cndmask_b32_e64 v39, 0, v39, s[50:51]
	v_add_u16_e32 v37, v37, v39
	v_cmp_lt_u32_e64 s[50:51], 3, v38
	s_nop 0
	v_mov_b32_dpp v39, v37 row_shr:4 row_mask:0xf bank_mask:0xf
	v_cndmask_b32_e64 v39, 0, v39, s[50:51]
	v_add_u16_e32 v37, v37, v39
	v_cmp_lt_u32_e64 s[50:51], 7, v38
	s_nop 0
	v_mov_b32_dpp v39, v37 row_shr:8 row_mask:0xf bank_mask:0xf
	v_cndmask_b32_e64 v38, 0, v39, s[50:51]
	v_add_u16_e32 v37, v37, v38
	v_and_b32_e32 v39, 16, v36
	v_cmp_ne_u32_e64 s[50:51], 0, v39
	v_mov_b32_dpp v38, v37 row_bcast:15 row_mask:0xf bank_mask:0xf
	v_cndmask_b32_e64 v38, 0, v38, s[50:51]
	v_add_u16_e32 v37, v37, v38
	v_cmp_lt_u32_e64 s[50:51], 31, v36
	s_nop 0
	v_mov_b32_dpp v38, v37 row_bcast:31 row_mask:0xf bank_mask:0xf
	v_cndmask_b32_e64 v38, 0, v38, s[50:51]
	v_add_u16_e32 v37, v37, v38
	v_cmp_eq_u32_e64 s[50:51], 63, v0
	s_and_saveexec_b64 s[54:55], s[50:51]
	s_cbranch_execz .LBB1332_52
; %bb.51:
	v_mov_b32_e32 v38, 0
	ds_write_b16 v38, v37
.LBB1332_52:
	s_or_b64 exec, exec, s[54:55]
	v_add_u32_e32 v38, -1, v36
	v_and_b32_e32 v39, 64, v36
	s_load_dword s33, s[4:5], 0x10
	v_cmp_lt_i32_e64 s[4:5], v38, v39
	v_cndmask_b32_e64 v36, v38, v36, s[4:5]
	v_lshlrev_b32_e32 v36, 2, v36
	ds_bpermute_b32 v37, v36, v37
	v_mul_u32_u24_e32 v36, 46, v0
	v_cmp_ne_u32_e64 s[4:5], 0, v0
	s_waitcnt lgkmcnt(0)
	; wave barrier
	s_waitcnt lgkmcnt(0)
	s_and_saveexec_b64 s[50:51], s[4:5]
	s_cbranch_execz .LBB1332_54
; %bb.53:
	v_add_u16_e32 v37, v6, v37
	v_add_u16_sdwa v15, v37, v6 dst_sel:DWORD dst_unused:UNUSED_PAD src0_sel:DWORD src1_sel:WORD_1
	v_add_u16_e32 v16, v15, v7
	v_add_u16_sdwa v17, v16, v7 dst_sel:DWORD dst_unused:UNUSED_PAD src0_sel:DWORD src1_sel:WORD_1
	;; [unrolled: 2-line block ×11, first 2 shown]
	v_mov_b32_e32 v6, v37
	;;#ASMSTART
	;;#ASMEND
.LBB1332_54:
	s_or_b64 exec, exec, s[50:51]
	v_add_u16_e32 v2, s33, v6
	v_add_u16_e32 v6, s33, v15
	;; [unrolled: 1-line block ×12, first 2 shown]
	s_mov_b32 s4, 0x5040100
	v_add_u16_e32 v11, s33, v22
	v_add_u16_e32 v12, s33, v23
	;; [unrolled: 1-line block ×6, first 2 shown]
	v_add_u16_sdwa v27, v26, v5 dst_sel:DWORD dst_unused:UNUSED_PAD src0_sel:DWORD src1_sel:WORD_1
	v_add_u32_e32 v28, v14, v36
	v_perm_b32 v5, v10, v9, s4
	v_perm_b32 v4, v8, v4, s4
	;; [unrolled: 1-line block ×4, first 2 shown]
	v_add_u16_e32 v20, s33, v30
	v_add_u16_e32 v21, s33, v31
	;; [unrolled: 1-line block ×5, first 2 shown]
	s_waitcnt lgkmcnt(0)
	; wave barrier
	ds_write_b128 v28, v[2:5]
	v_perm_b32 v5, v19, v18, s4
	v_perm_b32 v4, v17, v16, s4
	v_perm_b32 v3, v15, v13, s4
	v_perm_b32 v2, v12, v11, s4
	ds_write_b128 v28, v[2:5] offset:16
	v_perm_b32 v4, v25, v24, s4
	v_perm_b32 v3, v23, v22, s4
	v_perm_b32 v2, v21, v20, s4
	v_perm_b32 v5, v27, v26, s4
	ds_write_b128 v28, v[2:5] offset:32
	s_waitcnt lgkmcnt(0)
	; wave barrier
	s_waitcnt lgkmcnt(0)
	ds_read_u16 v25, v14 offset:128
	ds_read_u16 v24, v14 offset:256
	;; [unrolled: 1-line block ×23, first 2 shown]
	v_lshlrev_b64 v[0:1], 1, v[0:1]
	v_mov_b32_e32 v26, s53
	v_add_co_u32_e64 v0, s[4:5], s52, v0
	v_addc_co_u32_e64 v1, s[4:5], v26, v1, s[4:5]
	s_and_saveexec_b64 s[4:5], vcc
	s_cbranch_execnz .LBB1332_79
; %bb.55:
	s_or_b64 exec, exec, s[4:5]
	s_and_saveexec_b64 s[4:5], s[0:1]
	s_cbranch_execnz .LBB1332_80
.LBB1332_56:
	s_or_b64 exec, exec, s[4:5]
	s_and_saveexec_b64 s[0:1], s[2:3]
	s_cbranch_execnz .LBB1332_81
.LBB1332_57:
	s_or_b64 exec, exec, s[0:1]
	s_and_saveexec_b64 s[0:1], s[48:49]
	s_cbranch_execnz .LBB1332_82
.LBB1332_58:
	s_or_b64 exec, exec, s[0:1]
	s_and_saveexec_b64 s[0:1], s[6:7]
	s_cbranch_execnz .LBB1332_83
.LBB1332_59:
	s_or_b64 exec, exec, s[0:1]
	s_and_saveexec_b64 s[0:1], s[8:9]
	s_cbranch_execnz .LBB1332_84
.LBB1332_60:
	s_or_b64 exec, exec, s[0:1]
	s_and_saveexec_b64 s[0:1], s[10:11]
	s_cbranch_execnz .LBB1332_85
.LBB1332_61:
	s_or_b64 exec, exec, s[0:1]
	s_and_saveexec_b64 s[0:1], s[12:13]
	s_cbranch_execnz .LBB1332_86
.LBB1332_62:
	s_or_b64 exec, exec, s[0:1]
	s_and_saveexec_b64 s[0:1], s[14:15]
	s_cbranch_execnz .LBB1332_87
.LBB1332_63:
	s_or_b64 exec, exec, s[0:1]
	s_and_saveexec_b64 s[0:1], s[16:17]
	s_cbranch_execnz .LBB1332_88
.LBB1332_64:
	s_or_b64 exec, exec, s[0:1]
	s_and_saveexec_b64 s[0:1], s[18:19]
	s_cbranch_execnz .LBB1332_89
.LBB1332_65:
	s_or_b64 exec, exec, s[0:1]
	s_and_saveexec_b64 s[0:1], s[20:21]
	s_cbranch_execnz .LBB1332_90
.LBB1332_66:
	s_or_b64 exec, exec, s[0:1]
	s_and_saveexec_b64 s[0:1], s[22:23]
	s_cbranch_execnz .LBB1332_91
.LBB1332_67:
	s_or_b64 exec, exec, s[0:1]
	s_and_saveexec_b64 s[0:1], s[24:25]
	s_cbranch_execnz .LBB1332_92
.LBB1332_68:
	s_or_b64 exec, exec, s[0:1]
	s_and_saveexec_b64 s[0:1], s[26:27]
	s_cbranch_execnz .LBB1332_93
.LBB1332_69:
	s_or_b64 exec, exec, s[0:1]
	s_and_saveexec_b64 s[0:1], s[28:29]
	s_cbranch_execnz .LBB1332_94
.LBB1332_70:
	s_or_b64 exec, exec, s[0:1]
	s_and_saveexec_b64 s[0:1], s[30:31]
	s_cbranch_execnz .LBB1332_95
.LBB1332_71:
	s_or_b64 exec, exec, s[0:1]
	s_and_saveexec_b64 s[0:1], s[34:35]
	s_cbranch_execnz .LBB1332_96
.LBB1332_72:
	s_or_b64 exec, exec, s[0:1]
	s_and_saveexec_b64 s[0:1], s[36:37]
	s_cbranch_execnz .LBB1332_97
.LBB1332_73:
	s_or_b64 exec, exec, s[0:1]
	s_and_saveexec_b64 s[0:1], s[38:39]
	s_cbranch_execnz .LBB1332_98
.LBB1332_74:
	s_or_b64 exec, exec, s[0:1]
	s_and_saveexec_b64 s[0:1], s[40:41]
	s_cbranch_execnz .LBB1332_99
.LBB1332_75:
	s_or_b64 exec, exec, s[0:1]
	s_and_saveexec_b64 s[0:1], s[42:43]
	s_cbranch_execnz .LBB1332_100
.LBB1332_76:
	s_or_b64 exec, exec, s[0:1]
	s_and_saveexec_b64 s[0:1], s[44:45]
	s_cbranch_execnz .LBB1332_101
.LBB1332_77:
	s_or_b64 exec, exec, s[0:1]
	s_and_saveexec_b64 s[0:1], s[46:47]
	s_cbranch_execnz .LBB1332_102
.LBB1332_78:
	s_endpgm
.LBB1332_79:
	ds_read_u16 v14, v14
	s_waitcnt lgkmcnt(0)
	global_store_short v[0:1], v14, off
	s_or_b64 exec, exec, s[4:5]
	s_and_saveexec_b64 s[4:5], s[0:1]
	s_cbranch_execz .LBB1332_56
.LBB1332_80:
	s_waitcnt lgkmcnt(14)
	global_store_short v[0:1], v25, off offset:128
	s_or_b64 exec, exec, s[4:5]
	s_and_saveexec_b64 s[0:1], s[2:3]
	s_cbranch_execz .LBB1332_57
.LBB1332_81:
	s_waitcnt lgkmcnt(14)
	global_store_short v[0:1], v24, off offset:256
	s_or_b64 exec, exec, s[0:1]
	s_and_saveexec_b64 s[0:1], s[48:49]
	s_cbranch_execz .LBB1332_58
.LBB1332_82:
	s_waitcnt lgkmcnt(14)
	global_store_short v[0:1], v23, off offset:384
	s_or_b64 exec, exec, s[0:1]
	s_and_saveexec_b64 s[0:1], s[6:7]
	s_cbranch_execz .LBB1332_59
.LBB1332_83:
	s_waitcnt lgkmcnt(14)
	global_store_short v[0:1], v22, off offset:512
	s_or_b64 exec, exec, s[0:1]
	s_and_saveexec_b64 s[0:1], s[8:9]
	s_cbranch_execz .LBB1332_60
.LBB1332_84:
	s_waitcnt lgkmcnt(14)
	global_store_short v[0:1], v21, off offset:640
	s_or_b64 exec, exec, s[0:1]
	s_and_saveexec_b64 s[0:1], s[10:11]
	s_cbranch_execz .LBB1332_61
.LBB1332_85:
	s_waitcnt lgkmcnt(14)
	global_store_short v[0:1], v20, off offset:768
	s_or_b64 exec, exec, s[0:1]
	s_and_saveexec_b64 s[0:1], s[12:13]
	s_cbranch_execz .LBB1332_62
.LBB1332_86:
	s_waitcnt lgkmcnt(14)
	global_store_short v[0:1], v19, off offset:896
	s_or_b64 exec, exec, s[0:1]
	s_and_saveexec_b64 s[0:1], s[14:15]
	s_cbranch_execz .LBB1332_63
.LBB1332_87:
	s_waitcnt lgkmcnt(14)
	global_store_short v[0:1], v18, off offset:1024
	s_or_b64 exec, exec, s[0:1]
	s_and_saveexec_b64 s[0:1], s[16:17]
	s_cbranch_execz .LBB1332_64
.LBB1332_88:
	s_waitcnt lgkmcnt(14)
	global_store_short v[0:1], v17, off offset:1152
	s_or_b64 exec, exec, s[0:1]
	s_and_saveexec_b64 s[0:1], s[18:19]
	s_cbranch_execz .LBB1332_65
.LBB1332_89:
	s_waitcnt lgkmcnt(13)
	global_store_short v[0:1], v16, off offset:1280
	s_or_b64 exec, exec, s[0:1]
	s_and_saveexec_b64 s[0:1], s[20:21]
	s_cbranch_execz .LBB1332_66
.LBB1332_90:
	s_waitcnt lgkmcnt(12)
	global_store_short v[0:1], v15, off offset:1408
	s_or_b64 exec, exec, s[0:1]
	s_and_saveexec_b64 s[0:1], s[22:23]
	s_cbranch_execz .LBB1332_67
.LBB1332_91:
	s_waitcnt lgkmcnt(11)
	global_store_short v[0:1], v13, off offset:1536
	s_or_b64 exec, exec, s[0:1]
	s_and_saveexec_b64 s[0:1], s[24:25]
	s_cbranch_execz .LBB1332_68
.LBB1332_92:
	s_waitcnt lgkmcnt(10)
	global_store_short v[0:1], v12, off offset:1664
	s_or_b64 exec, exec, s[0:1]
	s_and_saveexec_b64 s[0:1], s[26:27]
	s_cbranch_execz .LBB1332_69
.LBB1332_93:
	s_waitcnt lgkmcnt(9)
	global_store_short v[0:1], v11, off offset:1792
	s_or_b64 exec, exec, s[0:1]
	s_and_saveexec_b64 s[0:1], s[28:29]
	s_cbranch_execz .LBB1332_70
.LBB1332_94:
	s_waitcnt lgkmcnt(8)
	global_store_short v[0:1], v10, off offset:1920
	s_or_b64 exec, exec, s[0:1]
	s_and_saveexec_b64 s[0:1], s[30:31]
	s_cbranch_execz .LBB1332_71
.LBB1332_95:
	s_waitcnt lgkmcnt(7)
	global_store_short v[0:1], v9, off offset:2048
	s_or_b64 exec, exec, s[0:1]
	s_and_saveexec_b64 s[0:1], s[34:35]
	s_cbranch_execz .LBB1332_72
.LBB1332_96:
	s_waitcnt lgkmcnt(6)
	global_store_short v[0:1], v8, off offset:2176
	s_or_b64 exec, exec, s[0:1]
	s_and_saveexec_b64 s[0:1], s[36:37]
	s_cbranch_execz .LBB1332_73
.LBB1332_97:
	s_waitcnt lgkmcnt(5)
	global_store_short v[0:1], v7, off offset:2304
	s_or_b64 exec, exec, s[0:1]
	s_and_saveexec_b64 s[0:1], s[38:39]
	s_cbranch_execz .LBB1332_74
.LBB1332_98:
	s_waitcnt lgkmcnt(4)
	global_store_short v[0:1], v6, off offset:2432
	s_or_b64 exec, exec, s[0:1]
	s_and_saveexec_b64 s[0:1], s[40:41]
	s_cbranch_execz .LBB1332_75
.LBB1332_99:
	s_waitcnt lgkmcnt(3)
	global_store_short v[0:1], v5, off offset:2560
	s_or_b64 exec, exec, s[0:1]
	s_and_saveexec_b64 s[0:1], s[42:43]
	s_cbranch_execz .LBB1332_76
.LBB1332_100:
	s_waitcnt lgkmcnt(2)
	global_store_short v[0:1], v4, off offset:2688
	s_or_b64 exec, exec, s[0:1]
	s_and_saveexec_b64 s[0:1], s[44:45]
	s_cbranch_execz .LBB1332_77
.LBB1332_101:
	s_waitcnt lgkmcnt(1)
	global_store_short v[0:1], v3, off offset:2816
	s_or_b64 exec, exec, s[0:1]
	s_and_saveexec_b64 s[0:1], s[46:47]
	s_cbranch_execz .LBB1332_78
.LBB1332_102:
	s_waitcnt lgkmcnt(0)
	global_store_short v[0:1], v2, off offset:2944
	s_endpgm
	.section	.rodata,"a",@progbits
	.p2align	6, 0x0
	.amdhsa_kernel _ZN7rocprim17ROCPRIM_400000_NS6detail17trampoline_kernelINS0_14default_configENS1_20scan_config_selectorIsEEZZNS1_9scan_implILNS1_25lookback_scan_determinismE0ELb0ELb1ES3_N6thrust23THRUST_200600_302600_NS6detail15normal_iteratorINS9_10device_ptrIsEEEESE_sNS9_4plusIsEEsEEDaPvRmT3_T4_T5_mT6_P12ihipStream_tbENKUlT_T0_E_clISt17integral_constantIbLb0EEST_IbLb1EEEEDaSP_SQ_EUlSP_E0_NS1_11comp_targetILNS1_3genE4ELNS1_11target_archE910ELNS1_3gpuE8ELNS1_3repE0EEENS1_30default_config_static_selectorELNS0_4arch9wavefront6targetE1EEEvT1_
		.amdhsa_group_segment_fixed_size 3072
		.amdhsa_private_segment_fixed_size 0
		.amdhsa_kernarg_size 32
		.amdhsa_user_sgpr_count 6
		.amdhsa_user_sgpr_private_segment_buffer 1
		.amdhsa_user_sgpr_dispatch_ptr 0
		.amdhsa_user_sgpr_queue_ptr 0
		.amdhsa_user_sgpr_kernarg_segment_ptr 1
		.amdhsa_user_sgpr_dispatch_id 0
		.amdhsa_user_sgpr_flat_scratch_init 0
		.amdhsa_user_sgpr_kernarg_preload_length 0
		.amdhsa_user_sgpr_kernarg_preload_offset 0
		.amdhsa_user_sgpr_private_segment_size 0
		.amdhsa_uses_dynamic_stack 0
		.amdhsa_system_sgpr_private_segment_wavefront_offset 0
		.amdhsa_system_sgpr_workgroup_id_x 1
		.amdhsa_system_sgpr_workgroup_id_y 0
		.amdhsa_system_sgpr_workgroup_id_z 0
		.amdhsa_system_sgpr_workgroup_info 0
		.amdhsa_system_vgpr_workitem_id 0
		.amdhsa_next_free_vgpr 40
		.amdhsa_next_free_sgpr 56
		.amdhsa_accum_offset 40
		.amdhsa_reserve_vcc 1
		.amdhsa_reserve_flat_scratch 0
		.amdhsa_float_round_mode_32 0
		.amdhsa_float_round_mode_16_64 0
		.amdhsa_float_denorm_mode_32 3
		.amdhsa_float_denorm_mode_16_64 3
		.amdhsa_dx10_clamp 1
		.amdhsa_ieee_mode 1
		.amdhsa_fp16_overflow 0
		.amdhsa_tg_split 0
		.amdhsa_exception_fp_ieee_invalid_op 0
		.amdhsa_exception_fp_denorm_src 0
		.amdhsa_exception_fp_ieee_div_zero 0
		.amdhsa_exception_fp_ieee_overflow 0
		.amdhsa_exception_fp_ieee_underflow 0
		.amdhsa_exception_fp_ieee_inexact 0
		.amdhsa_exception_int_div_zero 0
	.end_amdhsa_kernel
	.section	.text._ZN7rocprim17ROCPRIM_400000_NS6detail17trampoline_kernelINS0_14default_configENS1_20scan_config_selectorIsEEZZNS1_9scan_implILNS1_25lookback_scan_determinismE0ELb0ELb1ES3_N6thrust23THRUST_200600_302600_NS6detail15normal_iteratorINS9_10device_ptrIsEEEESE_sNS9_4plusIsEEsEEDaPvRmT3_T4_T5_mT6_P12ihipStream_tbENKUlT_T0_E_clISt17integral_constantIbLb0EEST_IbLb1EEEEDaSP_SQ_EUlSP_E0_NS1_11comp_targetILNS1_3genE4ELNS1_11target_archE910ELNS1_3gpuE8ELNS1_3repE0EEENS1_30default_config_static_selectorELNS0_4arch9wavefront6targetE1EEEvT1_,"axG",@progbits,_ZN7rocprim17ROCPRIM_400000_NS6detail17trampoline_kernelINS0_14default_configENS1_20scan_config_selectorIsEEZZNS1_9scan_implILNS1_25lookback_scan_determinismE0ELb0ELb1ES3_N6thrust23THRUST_200600_302600_NS6detail15normal_iteratorINS9_10device_ptrIsEEEESE_sNS9_4plusIsEEsEEDaPvRmT3_T4_T5_mT6_P12ihipStream_tbENKUlT_T0_E_clISt17integral_constantIbLb0EEST_IbLb1EEEEDaSP_SQ_EUlSP_E0_NS1_11comp_targetILNS1_3genE4ELNS1_11target_archE910ELNS1_3gpuE8ELNS1_3repE0EEENS1_30default_config_static_selectorELNS0_4arch9wavefront6targetE1EEEvT1_,comdat
.Lfunc_end1332:
	.size	_ZN7rocprim17ROCPRIM_400000_NS6detail17trampoline_kernelINS0_14default_configENS1_20scan_config_selectorIsEEZZNS1_9scan_implILNS1_25lookback_scan_determinismE0ELb0ELb1ES3_N6thrust23THRUST_200600_302600_NS6detail15normal_iteratorINS9_10device_ptrIsEEEESE_sNS9_4plusIsEEsEEDaPvRmT3_T4_T5_mT6_P12ihipStream_tbENKUlT_T0_E_clISt17integral_constantIbLb0EEST_IbLb1EEEEDaSP_SQ_EUlSP_E0_NS1_11comp_targetILNS1_3genE4ELNS1_11target_archE910ELNS1_3gpuE8ELNS1_3repE0EEENS1_30default_config_static_selectorELNS0_4arch9wavefront6targetE1EEEvT1_, .Lfunc_end1332-_ZN7rocprim17ROCPRIM_400000_NS6detail17trampoline_kernelINS0_14default_configENS1_20scan_config_selectorIsEEZZNS1_9scan_implILNS1_25lookback_scan_determinismE0ELb0ELb1ES3_N6thrust23THRUST_200600_302600_NS6detail15normal_iteratorINS9_10device_ptrIsEEEESE_sNS9_4plusIsEEsEEDaPvRmT3_T4_T5_mT6_P12ihipStream_tbENKUlT_T0_E_clISt17integral_constantIbLb0EEST_IbLb1EEEEDaSP_SQ_EUlSP_E0_NS1_11comp_targetILNS1_3genE4ELNS1_11target_archE910ELNS1_3gpuE8ELNS1_3repE0EEENS1_30default_config_static_selectorELNS0_4arch9wavefront6targetE1EEEvT1_
                                        ; -- End function
	.section	.AMDGPU.csdata,"",@progbits
; Kernel info:
; codeLenInByte = 3156
; NumSgprs: 60
; NumVgprs: 40
; NumAgprs: 0
; TotalNumVgprs: 40
; ScratchSize: 0
; MemoryBound: 0
; FloatMode: 240
; IeeeMode: 1
; LDSByteSize: 3072 bytes/workgroup (compile time only)
; SGPRBlocks: 7
; VGPRBlocks: 4
; NumSGPRsForWavesPerEU: 60
; NumVGPRsForWavesPerEU: 40
; AccumOffset: 40
; Occupancy: 6
; WaveLimiterHint : 0
; COMPUTE_PGM_RSRC2:SCRATCH_EN: 0
; COMPUTE_PGM_RSRC2:USER_SGPR: 6
; COMPUTE_PGM_RSRC2:TRAP_HANDLER: 0
; COMPUTE_PGM_RSRC2:TGID_X_EN: 1
; COMPUTE_PGM_RSRC2:TGID_Y_EN: 0
; COMPUTE_PGM_RSRC2:TGID_Z_EN: 0
; COMPUTE_PGM_RSRC2:TIDIG_COMP_CNT: 0
; COMPUTE_PGM_RSRC3_GFX90A:ACCUM_OFFSET: 9
; COMPUTE_PGM_RSRC3_GFX90A:TG_SPLIT: 0
	.section	.text._ZN7rocprim17ROCPRIM_400000_NS6detail17trampoline_kernelINS0_14default_configENS1_20scan_config_selectorIsEEZZNS1_9scan_implILNS1_25lookback_scan_determinismE0ELb0ELb1ES3_N6thrust23THRUST_200600_302600_NS6detail15normal_iteratorINS9_10device_ptrIsEEEESE_sNS9_4plusIsEEsEEDaPvRmT3_T4_T5_mT6_P12ihipStream_tbENKUlT_T0_E_clISt17integral_constantIbLb0EEST_IbLb1EEEEDaSP_SQ_EUlSP_E0_NS1_11comp_targetILNS1_3genE3ELNS1_11target_archE908ELNS1_3gpuE7ELNS1_3repE0EEENS1_30default_config_static_selectorELNS0_4arch9wavefront6targetE1EEEvT1_,"axG",@progbits,_ZN7rocprim17ROCPRIM_400000_NS6detail17trampoline_kernelINS0_14default_configENS1_20scan_config_selectorIsEEZZNS1_9scan_implILNS1_25lookback_scan_determinismE0ELb0ELb1ES3_N6thrust23THRUST_200600_302600_NS6detail15normal_iteratorINS9_10device_ptrIsEEEESE_sNS9_4plusIsEEsEEDaPvRmT3_T4_T5_mT6_P12ihipStream_tbENKUlT_T0_E_clISt17integral_constantIbLb0EEST_IbLb1EEEEDaSP_SQ_EUlSP_E0_NS1_11comp_targetILNS1_3genE3ELNS1_11target_archE908ELNS1_3gpuE7ELNS1_3repE0EEENS1_30default_config_static_selectorELNS0_4arch9wavefront6targetE1EEEvT1_,comdat
	.protected	_ZN7rocprim17ROCPRIM_400000_NS6detail17trampoline_kernelINS0_14default_configENS1_20scan_config_selectorIsEEZZNS1_9scan_implILNS1_25lookback_scan_determinismE0ELb0ELb1ES3_N6thrust23THRUST_200600_302600_NS6detail15normal_iteratorINS9_10device_ptrIsEEEESE_sNS9_4plusIsEEsEEDaPvRmT3_T4_T5_mT6_P12ihipStream_tbENKUlT_T0_E_clISt17integral_constantIbLb0EEST_IbLb1EEEEDaSP_SQ_EUlSP_E0_NS1_11comp_targetILNS1_3genE3ELNS1_11target_archE908ELNS1_3gpuE7ELNS1_3repE0EEENS1_30default_config_static_selectorELNS0_4arch9wavefront6targetE1EEEvT1_ ; -- Begin function _ZN7rocprim17ROCPRIM_400000_NS6detail17trampoline_kernelINS0_14default_configENS1_20scan_config_selectorIsEEZZNS1_9scan_implILNS1_25lookback_scan_determinismE0ELb0ELb1ES3_N6thrust23THRUST_200600_302600_NS6detail15normal_iteratorINS9_10device_ptrIsEEEESE_sNS9_4plusIsEEsEEDaPvRmT3_T4_T5_mT6_P12ihipStream_tbENKUlT_T0_E_clISt17integral_constantIbLb0EEST_IbLb1EEEEDaSP_SQ_EUlSP_E0_NS1_11comp_targetILNS1_3genE3ELNS1_11target_archE908ELNS1_3gpuE7ELNS1_3repE0EEENS1_30default_config_static_selectorELNS0_4arch9wavefront6targetE1EEEvT1_
	.globl	_ZN7rocprim17ROCPRIM_400000_NS6detail17trampoline_kernelINS0_14default_configENS1_20scan_config_selectorIsEEZZNS1_9scan_implILNS1_25lookback_scan_determinismE0ELb0ELb1ES3_N6thrust23THRUST_200600_302600_NS6detail15normal_iteratorINS9_10device_ptrIsEEEESE_sNS9_4plusIsEEsEEDaPvRmT3_T4_T5_mT6_P12ihipStream_tbENKUlT_T0_E_clISt17integral_constantIbLb0EEST_IbLb1EEEEDaSP_SQ_EUlSP_E0_NS1_11comp_targetILNS1_3genE3ELNS1_11target_archE908ELNS1_3gpuE7ELNS1_3repE0EEENS1_30default_config_static_selectorELNS0_4arch9wavefront6targetE1EEEvT1_
	.p2align	8
	.type	_ZN7rocprim17ROCPRIM_400000_NS6detail17trampoline_kernelINS0_14default_configENS1_20scan_config_selectorIsEEZZNS1_9scan_implILNS1_25lookback_scan_determinismE0ELb0ELb1ES3_N6thrust23THRUST_200600_302600_NS6detail15normal_iteratorINS9_10device_ptrIsEEEESE_sNS9_4plusIsEEsEEDaPvRmT3_T4_T5_mT6_P12ihipStream_tbENKUlT_T0_E_clISt17integral_constantIbLb0EEST_IbLb1EEEEDaSP_SQ_EUlSP_E0_NS1_11comp_targetILNS1_3genE3ELNS1_11target_archE908ELNS1_3gpuE7ELNS1_3repE0EEENS1_30default_config_static_selectorELNS0_4arch9wavefront6targetE1EEEvT1_,@function
_ZN7rocprim17ROCPRIM_400000_NS6detail17trampoline_kernelINS0_14default_configENS1_20scan_config_selectorIsEEZZNS1_9scan_implILNS1_25lookback_scan_determinismE0ELb0ELb1ES3_N6thrust23THRUST_200600_302600_NS6detail15normal_iteratorINS9_10device_ptrIsEEEESE_sNS9_4plusIsEEsEEDaPvRmT3_T4_T5_mT6_P12ihipStream_tbENKUlT_T0_E_clISt17integral_constantIbLb0EEST_IbLb1EEEEDaSP_SQ_EUlSP_E0_NS1_11comp_targetILNS1_3genE3ELNS1_11target_archE908ELNS1_3gpuE7ELNS1_3repE0EEENS1_30default_config_static_selectorELNS0_4arch9wavefront6targetE1EEEvT1_: ; @_ZN7rocprim17ROCPRIM_400000_NS6detail17trampoline_kernelINS0_14default_configENS1_20scan_config_selectorIsEEZZNS1_9scan_implILNS1_25lookback_scan_determinismE0ELb0ELb1ES3_N6thrust23THRUST_200600_302600_NS6detail15normal_iteratorINS9_10device_ptrIsEEEESE_sNS9_4plusIsEEsEEDaPvRmT3_T4_T5_mT6_P12ihipStream_tbENKUlT_T0_E_clISt17integral_constantIbLb0EEST_IbLb1EEEEDaSP_SQ_EUlSP_E0_NS1_11comp_targetILNS1_3genE3ELNS1_11target_archE908ELNS1_3gpuE7ELNS1_3repE0EEENS1_30default_config_static_selectorELNS0_4arch9wavefront6targetE1EEEvT1_
; %bb.0:
	.section	.rodata,"a",@progbits
	.p2align	6, 0x0
	.amdhsa_kernel _ZN7rocprim17ROCPRIM_400000_NS6detail17trampoline_kernelINS0_14default_configENS1_20scan_config_selectorIsEEZZNS1_9scan_implILNS1_25lookback_scan_determinismE0ELb0ELb1ES3_N6thrust23THRUST_200600_302600_NS6detail15normal_iteratorINS9_10device_ptrIsEEEESE_sNS9_4plusIsEEsEEDaPvRmT3_T4_T5_mT6_P12ihipStream_tbENKUlT_T0_E_clISt17integral_constantIbLb0EEST_IbLb1EEEEDaSP_SQ_EUlSP_E0_NS1_11comp_targetILNS1_3genE3ELNS1_11target_archE908ELNS1_3gpuE7ELNS1_3repE0EEENS1_30default_config_static_selectorELNS0_4arch9wavefront6targetE1EEEvT1_
		.amdhsa_group_segment_fixed_size 0
		.amdhsa_private_segment_fixed_size 0
		.amdhsa_kernarg_size 32
		.amdhsa_user_sgpr_count 6
		.amdhsa_user_sgpr_private_segment_buffer 1
		.amdhsa_user_sgpr_dispatch_ptr 0
		.amdhsa_user_sgpr_queue_ptr 0
		.amdhsa_user_sgpr_kernarg_segment_ptr 1
		.amdhsa_user_sgpr_dispatch_id 0
		.amdhsa_user_sgpr_flat_scratch_init 0
		.amdhsa_user_sgpr_kernarg_preload_length 0
		.amdhsa_user_sgpr_kernarg_preload_offset 0
		.amdhsa_user_sgpr_private_segment_size 0
		.amdhsa_uses_dynamic_stack 0
		.amdhsa_system_sgpr_private_segment_wavefront_offset 0
		.amdhsa_system_sgpr_workgroup_id_x 1
		.amdhsa_system_sgpr_workgroup_id_y 0
		.amdhsa_system_sgpr_workgroup_id_z 0
		.amdhsa_system_sgpr_workgroup_info 0
		.amdhsa_system_vgpr_workitem_id 0
		.amdhsa_next_free_vgpr 1
		.amdhsa_next_free_sgpr 0
		.amdhsa_accum_offset 4
		.amdhsa_reserve_vcc 0
		.amdhsa_reserve_flat_scratch 0
		.amdhsa_float_round_mode_32 0
		.amdhsa_float_round_mode_16_64 0
		.amdhsa_float_denorm_mode_32 3
		.amdhsa_float_denorm_mode_16_64 3
		.amdhsa_dx10_clamp 1
		.amdhsa_ieee_mode 1
		.amdhsa_fp16_overflow 0
		.amdhsa_tg_split 0
		.amdhsa_exception_fp_ieee_invalid_op 0
		.amdhsa_exception_fp_denorm_src 0
		.amdhsa_exception_fp_ieee_div_zero 0
		.amdhsa_exception_fp_ieee_overflow 0
		.amdhsa_exception_fp_ieee_underflow 0
		.amdhsa_exception_fp_ieee_inexact 0
		.amdhsa_exception_int_div_zero 0
	.end_amdhsa_kernel
	.section	.text._ZN7rocprim17ROCPRIM_400000_NS6detail17trampoline_kernelINS0_14default_configENS1_20scan_config_selectorIsEEZZNS1_9scan_implILNS1_25lookback_scan_determinismE0ELb0ELb1ES3_N6thrust23THRUST_200600_302600_NS6detail15normal_iteratorINS9_10device_ptrIsEEEESE_sNS9_4plusIsEEsEEDaPvRmT3_T4_T5_mT6_P12ihipStream_tbENKUlT_T0_E_clISt17integral_constantIbLb0EEST_IbLb1EEEEDaSP_SQ_EUlSP_E0_NS1_11comp_targetILNS1_3genE3ELNS1_11target_archE908ELNS1_3gpuE7ELNS1_3repE0EEENS1_30default_config_static_selectorELNS0_4arch9wavefront6targetE1EEEvT1_,"axG",@progbits,_ZN7rocprim17ROCPRIM_400000_NS6detail17trampoline_kernelINS0_14default_configENS1_20scan_config_selectorIsEEZZNS1_9scan_implILNS1_25lookback_scan_determinismE0ELb0ELb1ES3_N6thrust23THRUST_200600_302600_NS6detail15normal_iteratorINS9_10device_ptrIsEEEESE_sNS9_4plusIsEEsEEDaPvRmT3_T4_T5_mT6_P12ihipStream_tbENKUlT_T0_E_clISt17integral_constantIbLb0EEST_IbLb1EEEEDaSP_SQ_EUlSP_E0_NS1_11comp_targetILNS1_3genE3ELNS1_11target_archE908ELNS1_3gpuE7ELNS1_3repE0EEENS1_30default_config_static_selectorELNS0_4arch9wavefront6targetE1EEEvT1_,comdat
.Lfunc_end1333:
	.size	_ZN7rocprim17ROCPRIM_400000_NS6detail17trampoline_kernelINS0_14default_configENS1_20scan_config_selectorIsEEZZNS1_9scan_implILNS1_25lookback_scan_determinismE0ELb0ELb1ES3_N6thrust23THRUST_200600_302600_NS6detail15normal_iteratorINS9_10device_ptrIsEEEESE_sNS9_4plusIsEEsEEDaPvRmT3_T4_T5_mT6_P12ihipStream_tbENKUlT_T0_E_clISt17integral_constantIbLb0EEST_IbLb1EEEEDaSP_SQ_EUlSP_E0_NS1_11comp_targetILNS1_3genE3ELNS1_11target_archE908ELNS1_3gpuE7ELNS1_3repE0EEENS1_30default_config_static_selectorELNS0_4arch9wavefront6targetE1EEEvT1_, .Lfunc_end1333-_ZN7rocprim17ROCPRIM_400000_NS6detail17trampoline_kernelINS0_14default_configENS1_20scan_config_selectorIsEEZZNS1_9scan_implILNS1_25lookback_scan_determinismE0ELb0ELb1ES3_N6thrust23THRUST_200600_302600_NS6detail15normal_iteratorINS9_10device_ptrIsEEEESE_sNS9_4plusIsEEsEEDaPvRmT3_T4_T5_mT6_P12ihipStream_tbENKUlT_T0_E_clISt17integral_constantIbLb0EEST_IbLb1EEEEDaSP_SQ_EUlSP_E0_NS1_11comp_targetILNS1_3genE3ELNS1_11target_archE908ELNS1_3gpuE7ELNS1_3repE0EEENS1_30default_config_static_selectorELNS0_4arch9wavefront6targetE1EEEvT1_
                                        ; -- End function
	.section	.AMDGPU.csdata,"",@progbits
; Kernel info:
; codeLenInByte = 0
; NumSgprs: 4
; NumVgprs: 0
; NumAgprs: 0
; TotalNumVgprs: 0
; ScratchSize: 0
; MemoryBound: 0
; FloatMode: 240
; IeeeMode: 1
; LDSByteSize: 0 bytes/workgroup (compile time only)
; SGPRBlocks: 0
; VGPRBlocks: 0
; NumSGPRsForWavesPerEU: 4
; NumVGPRsForWavesPerEU: 1
; AccumOffset: 4
; Occupancy: 8
; WaveLimiterHint : 0
; COMPUTE_PGM_RSRC2:SCRATCH_EN: 0
; COMPUTE_PGM_RSRC2:USER_SGPR: 6
; COMPUTE_PGM_RSRC2:TRAP_HANDLER: 0
; COMPUTE_PGM_RSRC2:TGID_X_EN: 1
; COMPUTE_PGM_RSRC2:TGID_Y_EN: 0
; COMPUTE_PGM_RSRC2:TGID_Z_EN: 0
; COMPUTE_PGM_RSRC2:TIDIG_COMP_CNT: 0
; COMPUTE_PGM_RSRC3_GFX90A:ACCUM_OFFSET: 0
; COMPUTE_PGM_RSRC3_GFX90A:TG_SPLIT: 0
	.section	.text._ZN7rocprim17ROCPRIM_400000_NS6detail17trampoline_kernelINS0_14default_configENS1_20scan_config_selectorIsEEZZNS1_9scan_implILNS1_25lookback_scan_determinismE0ELb0ELb1ES3_N6thrust23THRUST_200600_302600_NS6detail15normal_iteratorINS9_10device_ptrIsEEEESE_sNS9_4plusIsEEsEEDaPvRmT3_T4_T5_mT6_P12ihipStream_tbENKUlT_T0_E_clISt17integral_constantIbLb0EEST_IbLb1EEEEDaSP_SQ_EUlSP_E0_NS1_11comp_targetILNS1_3genE2ELNS1_11target_archE906ELNS1_3gpuE6ELNS1_3repE0EEENS1_30default_config_static_selectorELNS0_4arch9wavefront6targetE1EEEvT1_,"axG",@progbits,_ZN7rocprim17ROCPRIM_400000_NS6detail17trampoline_kernelINS0_14default_configENS1_20scan_config_selectorIsEEZZNS1_9scan_implILNS1_25lookback_scan_determinismE0ELb0ELb1ES3_N6thrust23THRUST_200600_302600_NS6detail15normal_iteratorINS9_10device_ptrIsEEEESE_sNS9_4plusIsEEsEEDaPvRmT3_T4_T5_mT6_P12ihipStream_tbENKUlT_T0_E_clISt17integral_constantIbLb0EEST_IbLb1EEEEDaSP_SQ_EUlSP_E0_NS1_11comp_targetILNS1_3genE2ELNS1_11target_archE906ELNS1_3gpuE6ELNS1_3repE0EEENS1_30default_config_static_selectorELNS0_4arch9wavefront6targetE1EEEvT1_,comdat
	.protected	_ZN7rocprim17ROCPRIM_400000_NS6detail17trampoline_kernelINS0_14default_configENS1_20scan_config_selectorIsEEZZNS1_9scan_implILNS1_25lookback_scan_determinismE0ELb0ELb1ES3_N6thrust23THRUST_200600_302600_NS6detail15normal_iteratorINS9_10device_ptrIsEEEESE_sNS9_4plusIsEEsEEDaPvRmT3_T4_T5_mT6_P12ihipStream_tbENKUlT_T0_E_clISt17integral_constantIbLb0EEST_IbLb1EEEEDaSP_SQ_EUlSP_E0_NS1_11comp_targetILNS1_3genE2ELNS1_11target_archE906ELNS1_3gpuE6ELNS1_3repE0EEENS1_30default_config_static_selectorELNS0_4arch9wavefront6targetE1EEEvT1_ ; -- Begin function _ZN7rocprim17ROCPRIM_400000_NS6detail17trampoline_kernelINS0_14default_configENS1_20scan_config_selectorIsEEZZNS1_9scan_implILNS1_25lookback_scan_determinismE0ELb0ELb1ES3_N6thrust23THRUST_200600_302600_NS6detail15normal_iteratorINS9_10device_ptrIsEEEESE_sNS9_4plusIsEEsEEDaPvRmT3_T4_T5_mT6_P12ihipStream_tbENKUlT_T0_E_clISt17integral_constantIbLb0EEST_IbLb1EEEEDaSP_SQ_EUlSP_E0_NS1_11comp_targetILNS1_3genE2ELNS1_11target_archE906ELNS1_3gpuE6ELNS1_3repE0EEENS1_30default_config_static_selectorELNS0_4arch9wavefront6targetE1EEEvT1_
	.globl	_ZN7rocprim17ROCPRIM_400000_NS6detail17trampoline_kernelINS0_14default_configENS1_20scan_config_selectorIsEEZZNS1_9scan_implILNS1_25lookback_scan_determinismE0ELb0ELb1ES3_N6thrust23THRUST_200600_302600_NS6detail15normal_iteratorINS9_10device_ptrIsEEEESE_sNS9_4plusIsEEsEEDaPvRmT3_T4_T5_mT6_P12ihipStream_tbENKUlT_T0_E_clISt17integral_constantIbLb0EEST_IbLb1EEEEDaSP_SQ_EUlSP_E0_NS1_11comp_targetILNS1_3genE2ELNS1_11target_archE906ELNS1_3gpuE6ELNS1_3repE0EEENS1_30default_config_static_selectorELNS0_4arch9wavefront6targetE1EEEvT1_
	.p2align	8
	.type	_ZN7rocprim17ROCPRIM_400000_NS6detail17trampoline_kernelINS0_14default_configENS1_20scan_config_selectorIsEEZZNS1_9scan_implILNS1_25lookback_scan_determinismE0ELb0ELb1ES3_N6thrust23THRUST_200600_302600_NS6detail15normal_iteratorINS9_10device_ptrIsEEEESE_sNS9_4plusIsEEsEEDaPvRmT3_T4_T5_mT6_P12ihipStream_tbENKUlT_T0_E_clISt17integral_constantIbLb0EEST_IbLb1EEEEDaSP_SQ_EUlSP_E0_NS1_11comp_targetILNS1_3genE2ELNS1_11target_archE906ELNS1_3gpuE6ELNS1_3repE0EEENS1_30default_config_static_selectorELNS0_4arch9wavefront6targetE1EEEvT1_,@function
_ZN7rocprim17ROCPRIM_400000_NS6detail17trampoline_kernelINS0_14default_configENS1_20scan_config_selectorIsEEZZNS1_9scan_implILNS1_25lookback_scan_determinismE0ELb0ELb1ES3_N6thrust23THRUST_200600_302600_NS6detail15normal_iteratorINS9_10device_ptrIsEEEESE_sNS9_4plusIsEEsEEDaPvRmT3_T4_T5_mT6_P12ihipStream_tbENKUlT_T0_E_clISt17integral_constantIbLb0EEST_IbLb1EEEEDaSP_SQ_EUlSP_E0_NS1_11comp_targetILNS1_3genE2ELNS1_11target_archE906ELNS1_3gpuE6ELNS1_3repE0EEENS1_30default_config_static_selectorELNS0_4arch9wavefront6targetE1EEEvT1_: ; @_ZN7rocprim17ROCPRIM_400000_NS6detail17trampoline_kernelINS0_14default_configENS1_20scan_config_selectorIsEEZZNS1_9scan_implILNS1_25lookback_scan_determinismE0ELb0ELb1ES3_N6thrust23THRUST_200600_302600_NS6detail15normal_iteratorINS9_10device_ptrIsEEEESE_sNS9_4plusIsEEsEEDaPvRmT3_T4_T5_mT6_P12ihipStream_tbENKUlT_T0_E_clISt17integral_constantIbLb0EEST_IbLb1EEEEDaSP_SQ_EUlSP_E0_NS1_11comp_targetILNS1_3genE2ELNS1_11target_archE906ELNS1_3gpuE6ELNS1_3repE0EEENS1_30default_config_static_selectorELNS0_4arch9wavefront6targetE1EEEvT1_
; %bb.0:
	.section	.rodata,"a",@progbits
	.p2align	6, 0x0
	.amdhsa_kernel _ZN7rocprim17ROCPRIM_400000_NS6detail17trampoline_kernelINS0_14default_configENS1_20scan_config_selectorIsEEZZNS1_9scan_implILNS1_25lookback_scan_determinismE0ELb0ELb1ES3_N6thrust23THRUST_200600_302600_NS6detail15normal_iteratorINS9_10device_ptrIsEEEESE_sNS9_4plusIsEEsEEDaPvRmT3_T4_T5_mT6_P12ihipStream_tbENKUlT_T0_E_clISt17integral_constantIbLb0EEST_IbLb1EEEEDaSP_SQ_EUlSP_E0_NS1_11comp_targetILNS1_3genE2ELNS1_11target_archE906ELNS1_3gpuE6ELNS1_3repE0EEENS1_30default_config_static_selectorELNS0_4arch9wavefront6targetE1EEEvT1_
		.amdhsa_group_segment_fixed_size 0
		.amdhsa_private_segment_fixed_size 0
		.amdhsa_kernarg_size 32
		.amdhsa_user_sgpr_count 6
		.amdhsa_user_sgpr_private_segment_buffer 1
		.amdhsa_user_sgpr_dispatch_ptr 0
		.amdhsa_user_sgpr_queue_ptr 0
		.amdhsa_user_sgpr_kernarg_segment_ptr 1
		.amdhsa_user_sgpr_dispatch_id 0
		.amdhsa_user_sgpr_flat_scratch_init 0
		.amdhsa_user_sgpr_kernarg_preload_length 0
		.amdhsa_user_sgpr_kernarg_preload_offset 0
		.amdhsa_user_sgpr_private_segment_size 0
		.amdhsa_uses_dynamic_stack 0
		.amdhsa_system_sgpr_private_segment_wavefront_offset 0
		.amdhsa_system_sgpr_workgroup_id_x 1
		.amdhsa_system_sgpr_workgroup_id_y 0
		.amdhsa_system_sgpr_workgroup_id_z 0
		.amdhsa_system_sgpr_workgroup_info 0
		.amdhsa_system_vgpr_workitem_id 0
		.amdhsa_next_free_vgpr 1
		.amdhsa_next_free_sgpr 0
		.amdhsa_accum_offset 4
		.amdhsa_reserve_vcc 0
		.amdhsa_reserve_flat_scratch 0
		.amdhsa_float_round_mode_32 0
		.amdhsa_float_round_mode_16_64 0
		.amdhsa_float_denorm_mode_32 3
		.amdhsa_float_denorm_mode_16_64 3
		.amdhsa_dx10_clamp 1
		.amdhsa_ieee_mode 1
		.amdhsa_fp16_overflow 0
		.amdhsa_tg_split 0
		.amdhsa_exception_fp_ieee_invalid_op 0
		.amdhsa_exception_fp_denorm_src 0
		.amdhsa_exception_fp_ieee_div_zero 0
		.amdhsa_exception_fp_ieee_overflow 0
		.amdhsa_exception_fp_ieee_underflow 0
		.amdhsa_exception_fp_ieee_inexact 0
		.amdhsa_exception_int_div_zero 0
	.end_amdhsa_kernel
	.section	.text._ZN7rocprim17ROCPRIM_400000_NS6detail17trampoline_kernelINS0_14default_configENS1_20scan_config_selectorIsEEZZNS1_9scan_implILNS1_25lookback_scan_determinismE0ELb0ELb1ES3_N6thrust23THRUST_200600_302600_NS6detail15normal_iteratorINS9_10device_ptrIsEEEESE_sNS9_4plusIsEEsEEDaPvRmT3_T4_T5_mT6_P12ihipStream_tbENKUlT_T0_E_clISt17integral_constantIbLb0EEST_IbLb1EEEEDaSP_SQ_EUlSP_E0_NS1_11comp_targetILNS1_3genE2ELNS1_11target_archE906ELNS1_3gpuE6ELNS1_3repE0EEENS1_30default_config_static_selectorELNS0_4arch9wavefront6targetE1EEEvT1_,"axG",@progbits,_ZN7rocprim17ROCPRIM_400000_NS6detail17trampoline_kernelINS0_14default_configENS1_20scan_config_selectorIsEEZZNS1_9scan_implILNS1_25lookback_scan_determinismE0ELb0ELb1ES3_N6thrust23THRUST_200600_302600_NS6detail15normal_iteratorINS9_10device_ptrIsEEEESE_sNS9_4plusIsEEsEEDaPvRmT3_T4_T5_mT6_P12ihipStream_tbENKUlT_T0_E_clISt17integral_constantIbLb0EEST_IbLb1EEEEDaSP_SQ_EUlSP_E0_NS1_11comp_targetILNS1_3genE2ELNS1_11target_archE906ELNS1_3gpuE6ELNS1_3repE0EEENS1_30default_config_static_selectorELNS0_4arch9wavefront6targetE1EEEvT1_,comdat
.Lfunc_end1334:
	.size	_ZN7rocprim17ROCPRIM_400000_NS6detail17trampoline_kernelINS0_14default_configENS1_20scan_config_selectorIsEEZZNS1_9scan_implILNS1_25lookback_scan_determinismE0ELb0ELb1ES3_N6thrust23THRUST_200600_302600_NS6detail15normal_iteratorINS9_10device_ptrIsEEEESE_sNS9_4plusIsEEsEEDaPvRmT3_T4_T5_mT6_P12ihipStream_tbENKUlT_T0_E_clISt17integral_constantIbLb0EEST_IbLb1EEEEDaSP_SQ_EUlSP_E0_NS1_11comp_targetILNS1_3genE2ELNS1_11target_archE906ELNS1_3gpuE6ELNS1_3repE0EEENS1_30default_config_static_selectorELNS0_4arch9wavefront6targetE1EEEvT1_, .Lfunc_end1334-_ZN7rocprim17ROCPRIM_400000_NS6detail17trampoline_kernelINS0_14default_configENS1_20scan_config_selectorIsEEZZNS1_9scan_implILNS1_25lookback_scan_determinismE0ELb0ELb1ES3_N6thrust23THRUST_200600_302600_NS6detail15normal_iteratorINS9_10device_ptrIsEEEESE_sNS9_4plusIsEEsEEDaPvRmT3_T4_T5_mT6_P12ihipStream_tbENKUlT_T0_E_clISt17integral_constantIbLb0EEST_IbLb1EEEEDaSP_SQ_EUlSP_E0_NS1_11comp_targetILNS1_3genE2ELNS1_11target_archE906ELNS1_3gpuE6ELNS1_3repE0EEENS1_30default_config_static_selectorELNS0_4arch9wavefront6targetE1EEEvT1_
                                        ; -- End function
	.section	.AMDGPU.csdata,"",@progbits
; Kernel info:
; codeLenInByte = 0
; NumSgprs: 4
; NumVgprs: 0
; NumAgprs: 0
; TotalNumVgprs: 0
; ScratchSize: 0
; MemoryBound: 0
; FloatMode: 240
; IeeeMode: 1
; LDSByteSize: 0 bytes/workgroup (compile time only)
; SGPRBlocks: 0
; VGPRBlocks: 0
; NumSGPRsForWavesPerEU: 4
; NumVGPRsForWavesPerEU: 1
; AccumOffset: 4
; Occupancy: 8
; WaveLimiterHint : 0
; COMPUTE_PGM_RSRC2:SCRATCH_EN: 0
; COMPUTE_PGM_RSRC2:USER_SGPR: 6
; COMPUTE_PGM_RSRC2:TRAP_HANDLER: 0
; COMPUTE_PGM_RSRC2:TGID_X_EN: 1
; COMPUTE_PGM_RSRC2:TGID_Y_EN: 0
; COMPUTE_PGM_RSRC2:TGID_Z_EN: 0
; COMPUTE_PGM_RSRC2:TIDIG_COMP_CNT: 0
; COMPUTE_PGM_RSRC3_GFX90A:ACCUM_OFFSET: 0
; COMPUTE_PGM_RSRC3_GFX90A:TG_SPLIT: 0
	.section	.text._ZN7rocprim17ROCPRIM_400000_NS6detail17trampoline_kernelINS0_14default_configENS1_20scan_config_selectorIsEEZZNS1_9scan_implILNS1_25lookback_scan_determinismE0ELb0ELb1ES3_N6thrust23THRUST_200600_302600_NS6detail15normal_iteratorINS9_10device_ptrIsEEEESE_sNS9_4plusIsEEsEEDaPvRmT3_T4_T5_mT6_P12ihipStream_tbENKUlT_T0_E_clISt17integral_constantIbLb0EEST_IbLb1EEEEDaSP_SQ_EUlSP_E0_NS1_11comp_targetILNS1_3genE10ELNS1_11target_archE1201ELNS1_3gpuE5ELNS1_3repE0EEENS1_30default_config_static_selectorELNS0_4arch9wavefront6targetE1EEEvT1_,"axG",@progbits,_ZN7rocprim17ROCPRIM_400000_NS6detail17trampoline_kernelINS0_14default_configENS1_20scan_config_selectorIsEEZZNS1_9scan_implILNS1_25lookback_scan_determinismE0ELb0ELb1ES3_N6thrust23THRUST_200600_302600_NS6detail15normal_iteratorINS9_10device_ptrIsEEEESE_sNS9_4plusIsEEsEEDaPvRmT3_T4_T5_mT6_P12ihipStream_tbENKUlT_T0_E_clISt17integral_constantIbLb0EEST_IbLb1EEEEDaSP_SQ_EUlSP_E0_NS1_11comp_targetILNS1_3genE10ELNS1_11target_archE1201ELNS1_3gpuE5ELNS1_3repE0EEENS1_30default_config_static_selectorELNS0_4arch9wavefront6targetE1EEEvT1_,comdat
	.protected	_ZN7rocprim17ROCPRIM_400000_NS6detail17trampoline_kernelINS0_14default_configENS1_20scan_config_selectorIsEEZZNS1_9scan_implILNS1_25lookback_scan_determinismE0ELb0ELb1ES3_N6thrust23THRUST_200600_302600_NS6detail15normal_iteratorINS9_10device_ptrIsEEEESE_sNS9_4plusIsEEsEEDaPvRmT3_T4_T5_mT6_P12ihipStream_tbENKUlT_T0_E_clISt17integral_constantIbLb0EEST_IbLb1EEEEDaSP_SQ_EUlSP_E0_NS1_11comp_targetILNS1_3genE10ELNS1_11target_archE1201ELNS1_3gpuE5ELNS1_3repE0EEENS1_30default_config_static_selectorELNS0_4arch9wavefront6targetE1EEEvT1_ ; -- Begin function _ZN7rocprim17ROCPRIM_400000_NS6detail17trampoline_kernelINS0_14default_configENS1_20scan_config_selectorIsEEZZNS1_9scan_implILNS1_25lookback_scan_determinismE0ELb0ELb1ES3_N6thrust23THRUST_200600_302600_NS6detail15normal_iteratorINS9_10device_ptrIsEEEESE_sNS9_4plusIsEEsEEDaPvRmT3_T4_T5_mT6_P12ihipStream_tbENKUlT_T0_E_clISt17integral_constantIbLb0EEST_IbLb1EEEEDaSP_SQ_EUlSP_E0_NS1_11comp_targetILNS1_3genE10ELNS1_11target_archE1201ELNS1_3gpuE5ELNS1_3repE0EEENS1_30default_config_static_selectorELNS0_4arch9wavefront6targetE1EEEvT1_
	.globl	_ZN7rocprim17ROCPRIM_400000_NS6detail17trampoline_kernelINS0_14default_configENS1_20scan_config_selectorIsEEZZNS1_9scan_implILNS1_25lookback_scan_determinismE0ELb0ELb1ES3_N6thrust23THRUST_200600_302600_NS6detail15normal_iteratorINS9_10device_ptrIsEEEESE_sNS9_4plusIsEEsEEDaPvRmT3_T4_T5_mT6_P12ihipStream_tbENKUlT_T0_E_clISt17integral_constantIbLb0EEST_IbLb1EEEEDaSP_SQ_EUlSP_E0_NS1_11comp_targetILNS1_3genE10ELNS1_11target_archE1201ELNS1_3gpuE5ELNS1_3repE0EEENS1_30default_config_static_selectorELNS0_4arch9wavefront6targetE1EEEvT1_
	.p2align	8
	.type	_ZN7rocprim17ROCPRIM_400000_NS6detail17trampoline_kernelINS0_14default_configENS1_20scan_config_selectorIsEEZZNS1_9scan_implILNS1_25lookback_scan_determinismE0ELb0ELb1ES3_N6thrust23THRUST_200600_302600_NS6detail15normal_iteratorINS9_10device_ptrIsEEEESE_sNS9_4plusIsEEsEEDaPvRmT3_T4_T5_mT6_P12ihipStream_tbENKUlT_T0_E_clISt17integral_constantIbLb0EEST_IbLb1EEEEDaSP_SQ_EUlSP_E0_NS1_11comp_targetILNS1_3genE10ELNS1_11target_archE1201ELNS1_3gpuE5ELNS1_3repE0EEENS1_30default_config_static_selectorELNS0_4arch9wavefront6targetE1EEEvT1_,@function
_ZN7rocprim17ROCPRIM_400000_NS6detail17trampoline_kernelINS0_14default_configENS1_20scan_config_selectorIsEEZZNS1_9scan_implILNS1_25lookback_scan_determinismE0ELb0ELb1ES3_N6thrust23THRUST_200600_302600_NS6detail15normal_iteratorINS9_10device_ptrIsEEEESE_sNS9_4plusIsEEsEEDaPvRmT3_T4_T5_mT6_P12ihipStream_tbENKUlT_T0_E_clISt17integral_constantIbLb0EEST_IbLb1EEEEDaSP_SQ_EUlSP_E0_NS1_11comp_targetILNS1_3genE10ELNS1_11target_archE1201ELNS1_3gpuE5ELNS1_3repE0EEENS1_30default_config_static_selectorELNS0_4arch9wavefront6targetE1EEEvT1_: ; @_ZN7rocprim17ROCPRIM_400000_NS6detail17trampoline_kernelINS0_14default_configENS1_20scan_config_selectorIsEEZZNS1_9scan_implILNS1_25lookback_scan_determinismE0ELb0ELb1ES3_N6thrust23THRUST_200600_302600_NS6detail15normal_iteratorINS9_10device_ptrIsEEEESE_sNS9_4plusIsEEsEEDaPvRmT3_T4_T5_mT6_P12ihipStream_tbENKUlT_T0_E_clISt17integral_constantIbLb0EEST_IbLb1EEEEDaSP_SQ_EUlSP_E0_NS1_11comp_targetILNS1_3genE10ELNS1_11target_archE1201ELNS1_3gpuE5ELNS1_3repE0EEENS1_30default_config_static_selectorELNS0_4arch9wavefront6targetE1EEEvT1_
; %bb.0:
	.section	.rodata,"a",@progbits
	.p2align	6, 0x0
	.amdhsa_kernel _ZN7rocprim17ROCPRIM_400000_NS6detail17trampoline_kernelINS0_14default_configENS1_20scan_config_selectorIsEEZZNS1_9scan_implILNS1_25lookback_scan_determinismE0ELb0ELb1ES3_N6thrust23THRUST_200600_302600_NS6detail15normal_iteratorINS9_10device_ptrIsEEEESE_sNS9_4plusIsEEsEEDaPvRmT3_T4_T5_mT6_P12ihipStream_tbENKUlT_T0_E_clISt17integral_constantIbLb0EEST_IbLb1EEEEDaSP_SQ_EUlSP_E0_NS1_11comp_targetILNS1_3genE10ELNS1_11target_archE1201ELNS1_3gpuE5ELNS1_3repE0EEENS1_30default_config_static_selectorELNS0_4arch9wavefront6targetE1EEEvT1_
		.amdhsa_group_segment_fixed_size 0
		.amdhsa_private_segment_fixed_size 0
		.amdhsa_kernarg_size 32
		.amdhsa_user_sgpr_count 6
		.amdhsa_user_sgpr_private_segment_buffer 1
		.amdhsa_user_sgpr_dispatch_ptr 0
		.amdhsa_user_sgpr_queue_ptr 0
		.amdhsa_user_sgpr_kernarg_segment_ptr 1
		.amdhsa_user_sgpr_dispatch_id 0
		.amdhsa_user_sgpr_flat_scratch_init 0
		.amdhsa_user_sgpr_kernarg_preload_length 0
		.amdhsa_user_sgpr_kernarg_preload_offset 0
		.amdhsa_user_sgpr_private_segment_size 0
		.amdhsa_uses_dynamic_stack 0
		.amdhsa_system_sgpr_private_segment_wavefront_offset 0
		.amdhsa_system_sgpr_workgroup_id_x 1
		.amdhsa_system_sgpr_workgroup_id_y 0
		.amdhsa_system_sgpr_workgroup_id_z 0
		.amdhsa_system_sgpr_workgroup_info 0
		.amdhsa_system_vgpr_workitem_id 0
		.amdhsa_next_free_vgpr 1
		.amdhsa_next_free_sgpr 0
		.amdhsa_accum_offset 4
		.amdhsa_reserve_vcc 0
		.amdhsa_reserve_flat_scratch 0
		.amdhsa_float_round_mode_32 0
		.amdhsa_float_round_mode_16_64 0
		.amdhsa_float_denorm_mode_32 3
		.amdhsa_float_denorm_mode_16_64 3
		.amdhsa_dx10_clamp 1
		.amdhsa_ieee_mode 1
		.amdhsa_fp16_overflow 0
		.amdhsa_tg_split 0
		.amdhsa_exception_fp_ieee_invalid_op 0
		.amdhsa_exception_fp_denorm_src 0
		.amdhsa_exception_fp_ieee_div_zero 0
		.amdhsa_exception_fp_ieee_overflow 0
		.amdhsa_exception_fp_ieee_underflow 0
		.amdhsa_exception_fp_ieee_inexact 0
		.amdhsa_exception_int_div_zero 0
	.end_amdhsa_kernel
	.section	.text._ZN7rocprim17ROCPRIM_400000_NS6detail17trampoline_kernelINS0_14default_configENS1_20scan_config_selectorIsEEZZNS1_9scan_implILNS1_25lookback_scan_determinismE0ELb0ELb1ES3_N6thrust23THRUST_200600_302600_NS6detail15normal_iteratorINS9_10device_ptrIsEEEESE_sNS9_4plusIsEEsEEDaPvRmT3_T4_T5_mT6_P12ihipStream_tbENKUlT_T0_E_clISt17integral_constantIbLb0EEST_IbLb1EEEEDaSP_SQ_EUlSP_E0_NS1_11comp_targetILNS1_3genE10ELNS1_11target_archE1201ELNS1_3gpuE5ELNS1_3repE0EEENS1_30default_config_static_selectorELNS0_4arch9wavefront6targetE1EEEvT1_,"axG",@progbits,_ZN7rocprim17ROCPRIM_400000_NS6detail17trampoline_kernelINS0_14default_configENS1_20scan_config_selectorIsEEZZNS1_9scan_implILNS1_25lookback_scan_determinismE0ELb0ELb1ES3_N6thrust23THRUST_200600_302600_NS6detail15normal_iteratorINS9_10device_ptrIsEEEESE_sNS9_4plusIsEEsEEDaPvRmT3_T4_T5_mT6_P12ihipStream_tbENKUlT_T0_E_clISt17integral_constantIbLb0EEST_IbLb1EEEEDaSP_SQ_EUlSP_E0_NS1_11comp_targetILNS1_3genE10ELNS1_11target_archE1201ELNS1_3gpuE5ELNS1_3repE0EEENS1_30default_config_static_selectorELNS0_4arch9wavefront6targetE1EEEvT1_,comdat
.Lfunc_end1335:
	.size	_ZN7rocprim17ROCPRIM_400000_NS6detail17trampoline_kernelINS0_14default_configENS1_20scan_config_selectorIsEEZZNS1_9scan_implILNS1_25lookback_scan_determinismE0ELb0ELb1ES3_N6thrust23THRUST_200600_302600_NS6detail15normal_iteratorINS9_10device_ptrIsEEEESE_sNS9_4plusIsEEsEEDaPvRmT3_T4_T5_mT6_P12ihipStream_tbENKUlT_T0_E_clISt17integral_constantIbLb0EEST_IbLb1EEEEDaSP_SQ_EUlSP_E0_NS1_11comp_targetILNS1_3genE10ELNS1_11target_archE1201ELNS1_3gpuE5ELNS1_3repE0EEENS1_30default_config_static_selectorELNS0_4arch9wavefront6targetE1EEEvT1_, .Lfunc_end1335-_ZN7rocprim17ROCPRIM_400000_NS6detail17trampoline_kernelINS0_14default_configENS1_20scan_config_selectorIsEEZZNS1_9scan_implILNS1_25lookback_scan_determinismE0ELb0ELb1ES3_N6thrust23THRUST_200600_302600_NS6detail15normal_iteratorINS9_10device_ptrIsEEEESE_sNS9_4plusIsEEsEEDaPvRmT3_T4_T5_mT6_P12ihipStream_tbENKUlT_T0_E_clISt17integral_constantIbLb0EEST_IbLb1EEEEDaSP_SQ_EUlSP_E0_NS1_11comp_targetILNS1_3genE10ELNS1_11target_archE1201ELNS1_3gpuE5ELNS1_3repE0EEENS1_30default_config_static_selectorELNS0_4arch9wavefront6targetE1EEEvT1_
                                        ; -- End function
	.section	.AMDGPU.csdata,"",@progbits
; Kernel info:
; codeLenInByte = 0
; NumSgprs: 4
; NumVgprs: 0
; NumAgprs: 0
; TotalNumVgprs: 0
; ScratchSize: 0
; MemoryBound: 0
; FloatMode: 240
; IeeeMode: 1
; LDSByteSize: 0 bytes/workgroup (compile time only)
; SGPRBlocks: 0
; VGPRBlocks: 0
; NumSGPRsForWavesPerEU: 4
; NumVGPRsForWavesPerEU: 1
; AccumOffset: 4
; Occupancy: 8
; WaveLimiterHint : 0
; COMPUTE_PGM_RSRC2:SCRATCH_EN: 0
; COMPUTE_PGM_RSRC2:USER_SGPR: 6
; COMPUTE_PGM_RSRC2:TRAP_HANDLER: 0
; COMPUTE_PGM_RSRC2:TGID_X_EN: 1
; COMPUTE_PGM_RSRC2:TGID_Y_EN: 0
; COMPUTE_PGM_RSRC2:TGID_Z_EN: 0
; COMPUTE_PGM_RSRC2:TIDIG_COMP_CNT: 0
; COMPUTE_PGM_RSRC3_GFX90A:ACCUM_OFFSET: 0
; COMPUTE_PGM_RSRC3_GFX90A:TG_SPLIT: 0
	.section	.text._ZN7rocprim17ROCPRIM_400000_NS6detail17trampoline_kernelINS0_14default_configENS1_20scan_config_selectorIsEEZZNS1_9scan_implILNS1_25lookback_scan_determinismE0ELb0ELb1ES3_N6thrust23THRUST_200600_302600_NS6detail15normal_iteratorINS9_10device_ptrIsEEEESE_sNS9_4plusIsEEsEEDaPvRmT3_T4_T5_mT6_P12ihipStream_tbENKUlT_T0_E_clISt17integral_constantIbLb0EEST_IbLb1EEEEDaSP_SQ_EUlSP_E0_NS1_11comp_targetILNS1_3genE10ELNS1_11target_archE1200ELNS1_3gpuE4ELNS1_3repE0EEENS1_30default_config_static_selectorELNS0_4arch9wavefront6targetE1EEEvT1_,"axG",@progbits,_ZN7rocprim17ROCPRIM_400000_NS6detail17trampoline_kernelINS0_14default_configENS1_20scan_config_selectorIsEEZZNS1_9scan_implILNS1_25lookback_scan_determinismE0ELb0ELb1ES3_N6thrust23THRUST_200600_302600_NS6detail15normal_iteratorINS9_10device_ptrIsEEEESE_sNS9_4plusIsEEsEEDaPvRmT3_T4_T5_mT6_P12ihipStream_tbENKUlT_T0_E_clISt17integral_constantIbLb0EEST_IbLb1EEEEDaSP_SQ_EUlSP_E0_NS1_11comp_targetILNS1_3genE10ELNS1_11target_archE1200ELNS1_3gpuE4ELNS1_3repE0EEENS1_30default_config_static_selectorELNS0_4arch9wavefront6targetE1EEEvT1_,comdat
	.protected	_ZN7rocprim17ROCPRIM_400000_NS6detail17trampoline_kernelINS0_14default_configENS1_20scan_config_selectorIsEEZZNS1_9scan_implILNS1_25lookback_scan_determinismE0ELb0ELb1ES3_N6thrust23THRUST_200600_302600_NS6detail15normal_iteratorINS9_10device_ptrIsEEEESE_sNS9_4plusIsEEsEEDaPvRmT3_T4_T5_mT6_P12ihipStream_tbENKUlT_T0_E_clISt17integral_constantIbLb0EEST_IbLb1EEEEDaSP_SQ_EUlSP_E0_NS1_11comp_targetILNS1_3genE10ELNS1_11target_archE1200ELNS1_3gpuE4ELNS1_3repE0EEENS1_30default_config_static_selectorELNS0_4arch9wavefront6targetE1EEEvT1_ ; -- Begin function _ZN7rocprim17ROCPRIM_400000_NS6detail17trampoline_kernelINS0_14default_configENS1_20scan_config_selectorIsEEZZNS1_9scan_implILNS1_25lookback_scan_determinismE0ELb0ELb1ES3_N6thrust23THRUST_200600_302600_NS6detail15normal_iteratorINS9_10device_ptrIsEEEESE_sNS9_4plusIsEEsEEDaPvRmT3_T4_T5_mT6_P12ihipStream_tbENKUlT_T0_E_clISt17integral_constantIbLb0EEST_IbLb1EEEEDaSP_SQ_EUlSP_E0_NS1_11comp_targetILNS1_3genE10ELNS1_11target_archE1200ELNS1_3gpuE4ELNS1_3repE0EEENS1_30default_config_static_selectorELNS0_4arch9wavefront6targetE1EEEvT1_
	.globl	_ZN7rocprim17ROCPRIM_400000_NS6detail17trampoline_kernelINS0_14default_configENS1_20scan_config_selectorIsEEZZNS1_9scan_implILNS1_25lookback_scan_determinismE0ELb0ELb1ES3_N6thrust23THRUST_200600_302600_NS6detail15normal_iteratorINS9_10device_ptrIsEEEESE_sNS9_4plusIsEEsEEDaPvRmT3_T4_T5_mT6_P12ihipStream_tbENKUlT_T0_E_clISt17integral_constantIbLb0EEST_IbLb1EEEEDaSP_SQ_EUlSP_E0_NS1_11comp_targetILNS1_3genE10ELNS1_11target_archE1200ELNS1_3gpuE4ELNS1_3repE0EEENS1_30default_config_static_selectorELNS0_4arch9wavefront6targetE1EEEvT1_
	.p2align	8
	.type	_ZN7rocprim17ROCPRIM_400000_NS6detail17trampoline_kernelINS0_14default_configENS1_20scan_config_selectorIsEEZZNS1_9scan_implILNS1_25lookback_scan_determinismE0ELb0ELb1ES3_N6thrust23THRUST_200600_302600_NS6detail15normal_iteratorINS9_10device_ptrIsEEEESE_sNS9_4plusIsEEsEEDaPvRmT3_T4_T5_mT6_P12ihipStream_tbENKUlT_T0_E_clISt17integral_constantIbLb0EEST_IbLb1EEEEDaSP_SQ_EUlSP_E0_NS1_11comp_targetILNS1_3genE10ELNS1_11target_archE1200ELNS1_3gpuE4ELNS1_3repE0EEENS1_30default_config_static_selectorELNS0_4arch9wavefront6targetE1EEEvT1_,@function
_ZN7rocprim17ROCPRIM_400000_NS6detail17trampoline_kernelINS0_14default_configENS1_20scan_config_selectorIsEEZZNS1_9scan_implILNS1_25lookback_scan_determinismE0ELb0ELb1ES3_N6thrust23THRUST_200600_302600_NS6detail15normal_iteratorINS9_10device_ptrIsEEEESE_sNS9_4plusIsEEsEEDaPvRmT3_T4_T5_mT6_P12ihipStream_tbENKUlT_T0_E_clISt17integral_constantIbLb0EEST_IbLb1EEEEDaSP_SQ_EUlSP_E0_NS1_11comp_targetILNS1_3genE10ELNS1_11target_archE1200ELNS1_3gpuE4ELNS1_3repE0EEENS1_30default_config_static_selectorELNS0_4arch9wavefront6targetE1EEEvT1_: ; @_ZN7rocprim17ROCPRIM_400000_NS6detail17trampoline_kernelINS0_14default_configENS1_20scan_config_selectorIsEEZZNS1_9scan_implILNS1_25lookback_scan_determinismE0ELb0ELb1ES3_N6thrust23THRUST_200600_302600_NS6detail15normal_iteratorINS9_10device_ptrIsEEEESE_sNS9_4plusIsEEsEEDaPvRmT3_T4_T5_mT6_P12ihipStream_tbENKUlT_T0_E_clISt17integral_constantIbLb0EEST_IbLb1EEEEDaSP_SQ_EUlSP_E0_NS1_11comp_targetILNS1_3genE10ELNS1_11target_archE1200ELNS1_3gpuE4ELNS1_3repE0EEENS1_30default_config_static_selectorELNS0_4arch9wavefront6targetE1EEEvT1_
; %bb.0:
	.section	.rodata,"a",@progbits
	.p2align	6, 0x0
	.amdhsa_kernel _ZN7rocprim17ROCPRIM_400000_NS6detail17trampoline_kernelINS0_14default_configENS1_20scan_config_selectorIsEEZZNS1_9scan_implILNS1_25lookback_scan_determinismE0ELb0ELb1ES3_N6thrust23THRUST_200600_302600_NS6detail15normal_iteratorINS9_10device_ptrIsEEEESE_sNS9_4plusIsEEsEEDaPvRmT3_T4_T5_mT6_P12ihipStream_tbENKUlT_T0_E_clISt17integral_constantIbLb0EEST_IbLb1EEEEDaSP_SQ_EUlSP_E0_NS1_11comp_targetILNS1_3genE10ELNS1_11target_archE1200ELNS1_3gpuE4ELNS1_3repE0EEENS1_30default_config_static_selectorELNS0_4arch9wavefront6targetE1EEEvT1_
		.amdhsa_group_segment_fixed_size 0
		.amdhsa_private_segment_fixed_size 0
		.amdhsa_kernarg_size 32
		.amdhsa_user_sgpr_count 6
		.amdhsa_user_sgpr_private_segment_buffer 1
		.amdhsa_user_sgpr_dispatch_ptr 0
		.amdhsa_user_sgpr_queue_ptr 0
		.amdhsa_user_sgpr_kernarg_segment_ptr 1
		.amdhsa_user_sgpr_dispatch_id 0
		.amdhsa_user_sgpr_flat_scratch_init 0
		.amdhsa_user_sgpr_kernarg_preload_length 0
		.amdhsa_user_sgpr_kernarg_preload_offset 0
		.amdhsa_user_sgpr_private_segment_size 0
		.amdhsa_uses_dynamic_stack 0
		.amdhsa_system_sgpr_private_segment_wavefront_offset 0
		.amdhsa_system_sgpr_workgroup_id_x 1
		.amdhsa_system_sgpr_workgroup_id_y 0
		.amdhsa_system_sgpr_workgroup_id_z 0
		.amdhsa_system_sgpr_workgroup_info 0
		.amdhsa_system_vgpr_workitem_id 0
		.amdhsa_next_free_vgpr 1
		.amdhsa_next_free_sgpr 0
		.amdhsa_accum_offset 4
		.amdhsa_reserve_vcc 0
		.amdhsa_reserve_flat_scratch 0
		.amdhsa_float_round_mode_32 0
		.amdhsa_float_round_mode_16_64 0
		.amdhsa_float_denorm_mode_32 3
		.amdhsa_float_denorm_mode_16_64 3
		.amdhsa_dx10_clamp 1
		.amdhsa_ieee_mode 1
		.amdhsa_fp16_overflow 0
		.amdhsa_tg_split 0
		.amdhsa_exception_fp_ieee_invalid_op 0
		.amdhsa_exception_fp_denorm_src 0
		.amdhsa_exception_fp_ieee_div_zero 0
		.amdhsa_exception_fp_ieee_overflow 0
		.amdhsa_exception_fp_ieee_underflow 0
		.amdhsa_exception_fp_ieee_inexact 0
		.amdhsa_exception_int_div_zero 0
	.end_amdhsa_kernel
	.section	.text._ZN7rocprim17ROCPRIM_400000_NS6detail17trampoline_kernelINS0_14default_configENS1_20scan_config_selectorIsEEZZNS1_9scan_implILNS1_25lookback_scan_determinismE0ELb0ELb1ES3_N6thrust23THRUST_200600_302600_NS6detail15normal_iteratorINS9_10device_ptrIsEEEESE_sNS9_4plusIsEEsEEDaPvRmT3_T4_T5_mT6_P12ihipStream_tbENKUlT_T0_E_clISt17integral_constantIbLb0EEST_IbLb1EEEEDaSP_SQ_EUlSP_E0_NS1_11comp_targetILNS1_3genE10ELNS1_11target_archE1200ELNS1_3gpuE4ELNS1_3repE0EEENS1_30default_config_static_selectorELNS0_4arch9wavefront6targetE1EEEvT1_,"axG",@progbits,_ZN7rocprim17ROCPRIM_400000_NS6detail17trampoline_kernelINS0_14default_configENS1_20scan_config_selectorIsEEZZNS1_9scan_implILNS1_25lookback_scan_determinismE0ELb0ELb1ES3_N6thrust23THRUST_200600_302600_NS6detail15normal_iteratorINS9_10device_ptrIsEEEESE_sNS9_4plusIsEEsEEDaPvRmT3_T4_T5_mT6_P12ihipStream_tbENKUlT_T0_E_clISt17integral_constantIbLb0EEST_IbLb1EEEEDaSP_SQ_EUlSP_E0_NS1_11comp_targetILNS1_3genE10ELNS1_11target_archE1200ELNS1_3gpuE4ELNS1_3repE0EEENS1_30default_config_static_selectorELNS0_4arch9wavefront6targetE1EEEvT1_,comdat
.Lfunc_end1336:
	.size	_ZN7rocprim17ROCPRIM_400000_NS6detail17trampoline_kernelINS0_14default_configENS1_20scan_config_selectorIsEEZZNS1_9scan_implILNS1_25lookback_scan_determinismE0ELb0ELb1ES3_N6thrust23THRUST_200600_302600_NS6detail15normal_iteratorINS9_10device_ptrIsEEEESE_sNS9_4plusIsEEsEEDaPvRmT3_T4_T5_mT6_P12ihipStream_tbENKUlT_T0_E_clISt17integral_constantIbLb0EEST_IbLb1EEEEDaSP_SQ_EUlSP_E0_NS1_11comp_targetILNS1_3genE10ELNS1_11target_archE1200ELNS1_3gpuE4ELNS1_3repE0EEENS1_30default_config_static_selectorELNS0_4arch9wavefront6targetE1EEEvT1_, .Lfunc_end1336-_ZN7rocprim17ROCPRIM_400000_NS6detail17trampoline_kernelINS0_14default_configENS1_20scan_config_selectorIsEEZZNS1_9scan_implILNS1_25lookback_scan_determinismE0ELb0ELb1ES3_N6thrust23THRUST_200600_302600_NS6detail15normal_iteratorINS9_10device_ptrIsEEEESE_sNS9_4plusIsEEsEEDaPvRmT3_T4_T5_mT6_P12ihipStream_tbENKUlT_T0_E_clISt17integral_constantIbLb0EEST_IbLb1EEEEDaSP_SQ_EUlSP_E0_NS1_11comp_targetILNS1_3genE10ELNS1_11target_archE1200ELNS1_3gpuE4ELNS1_3repE0EEENS1_30default_config_static_selectorELNS0_4arch9wavefront6targetE1EEEvT1_
                                        ; -- End function
	.section	.AMDGPU.csdata,"",@progbits
; Kernel info:
; codeLenInByte = 0
; NumSgprs: 4
; NumVgprs: 0
; NumAgprs: 0
; TotalNumVgprs: 0
; ScratchSize: 0
; MemoryBound: 0
; FloatMode: 240
; IeeeMode: 1
; LDSByteSize: 0 bytes/workgroup (compile time only)
; SGPRBlocks: 0
; VGPRBlocks: 0
; NumSGPRsForWavesPerEU: 4
; NumVGPRsForWavesPerEU: 1
; AccumOffset: 4
; Occupancy: 8
; WaveLimiterHint : 0
; COMPUTE_PGM_RSRC2:SCRATCH_EN: 0
; COMPUTE_PGM_RSRC2:USER_SGPR: 6
; COMPUTE_PGM_RSRC2:TRAP_HANDLER: 0
; COMPUTE_PGM_RSRC2:TGID_X_EN: 1
; COMPUTE_PGM_RSRC2:TGID_Y_EN: 0
; COMPUTE_PGM_RSRC2:TGID_Z_EN: 0
; COMPUTE_PGM_RSRC2:TIDIG_COMP_CNT: 0
; COMPUTE_PGM_RSRC3_GFX90A:ACCUM_OFFSET: 0
; COMPUTE_PGM_RSRC3_GFX90A:TG_SPLIT: 0
	.section	.text._ZN7rocprim17ROCPRIM_400000_NS6detail17trampoline_kernelINS0_14default_configENS1_20scan_config_selectorIsEEZZNS1_9scan_implILNS1_25lookback_scan_determinismE0ELb0ELb1ES3_N6thrust23THRUST_200600_302600_NS6detail15normal_iteratorINS9_10device_ptrIsEEEESE_sNS9_4plusIsEEsEEDaPvRmT3_T4_T5_mT6_P12ihipStream_tbENKUlT_T0_E_clISt17integral_constantIbLb0EEST_IbLb1EEEEDaSP_SQ_EUlSP_E0_NS1_11comp_targetILNS1_3genE9ELNS1_11target_archE1100ELNS1_3gpuE3ELNS1_3repE0EEENS1_30default_config_static_selectorELNS0_4arch9wavefront6targetE1EEEvT1_,"axG",@progbits,_ZN7rocprim17ROCPRIM_400000_NS6detail17trampoline_kernelINS0_14default_configENS1_20scan_config_selectorIsEEZZNS1_9scan_implILNS1_25lookback_scan_determinismE0ELb0ELb1ES3_N6thrust23THRUST_200600_302600_NS6detail15normal_iteratorINS9_10device_ptrIsEEEESE_sNS9_4plusIsEEsEEDaPvRmT3_T4_T5_mT6_P12ihipStream_tbENKUlT_T0_E_clISt17integral_constantIbLb0EEST_IbLb1EEEEDaSP_SQ_EUlSP_E0_NS1_11comp_targetILNS1_3genE9ELNS1_11target_archE1100ELNS1_3gpuE3ELNS1_3repE0EEENS1_30default_config_static_selectorELNS0_4arch9wavefront6targetE1EEEvT1_,comdat
	.protected	_ZN7rocprim17ROCPRIM_400000_NS6detail17trampoline_kernelINS0_14default_configENS1_20scan_config_selectorIsEEZZNS1_9scan_implILNS1_25lookback_scan_determinismE0ELb0ELb1ES3_N6thrust23THRUST_200600_302600_NS6detail15normal_iteratorINS9_10device_ptrIsEEEESE_sNS9_4plusIsEEsEEDaPvRmT3_T4_T5_mT6_P12ihipStream_tbENKUlT_T0_E_clISt17integral_constantIbLb0EEST_IbLb1EEEEDaSP_SQ_EUlSP_E0_NS1_11comp_targetILNS1_3genE9ELNS1_11target_archE1100ELNS1_3gpuE3ELNS1_3repE0EEENS1_30default_config_static_selectorELNS0_4arch9wavefront6targetE1EEEvT1_ ; -- Begin function _ZN7rocprim17ROCPRIM_400000_NS6detail17trampoline_kernelINS0_14default_configENS1_20scan_config_selectorIsEEZZNS1_9scan_implILNS1_25lookback_scan_determinismE0ELb0ELb1ES3_N6thrust23THRUST_200600_302600_NS6detail15normal_iteratorINS9_10device_ptrIsEEEESE_sNS9_4plusIsEEsEEDaPvRmT3_T4_T5_mT6_P12ihipStream_tbENKUlT_T0_E_clISt17integral_constantIbLb0EEST_IbLb1EEEEDaSP_SQ_EUlSP_E0_NS1_11comp_targetILNS1_3genE9ELNS1_11target_archE1100ELNS1_3gpuE3ELNS1_3repE0EEENS1_30default_config_static_selectorELNS0_4arch9wavefront6targetE1EEEvT1_
	.globl	_ZN7rocprim17ROCPRIM_400000_NS6detail17trampoline_kernelINS0_14default_configENS1_20scan_config_selectorIsEEZZNS1_9scan_implILNS1_25lookback_scan_determinismE0ELb0ELb1ES3_N6thrust23THRUST_200600_302600_NS6detail15normal_iteratorINS9_10device_ptrIsEEEESE_sNS9_4plusIsEEsEEDaPvRmT3_T4_T5_mT6_P12ihipStream_tbENKUlT_T0_E_clISt17integral_constantIbLb0EEST_IbLb1EEEEDaSP_SQ_EUlSP_E0_NS1_11comp_targetILNS1_3genE9ELNS1_11target_archE1100ELNS1_3gpuE3ELNS1_3repE0EEENS1_30default_config_static_selectorELNS0_4arch9wavefront6targetE1EEEvT1_
	.p2align	8
	.type	_ZN7rocprim17ROCPRIM_400000_NS6detail17trampoline_kernelINS0_14default_configENS1_20scan_config_selectorIsEEZZNS1_9scan_implILNS1_25lookback_scan_determinismE0ELb0ELb1ES3_N6thrust23THRUST_200600_302600_NS6detail15normal_iteratorINS9_10device_ptrIsEEEESE_sNS9_4plusIsEEsEEDaPvRmT3_T4_T5_mT6_P12ihipStream_tbENKUlT_T0_E_clISt17integral_constantIbLb0EEST_IbLb1EEEEDaSP_SQ_EUlSP_E0_NS1_11comp_targetILNS1_3genE9ELNS1_11target_archE1100ELNS1_3gpuE3ELNS1_3repE0EEENS1_30default_config_static_selectorELNS0_4arch9wavefront6targetE1EEEvT1_,@function
_ZN7rocprim17ROCPRIM_400000_NS6detail17trampoline_kernelINS0_14default_configENS1_20scan_config_selectorIsEEZZNS1_9scan_implILNS1_25lookback_scan_determinismE0ELb0ELb1ES3_N6thrust23THRUST_200600_302600_NS6detail15normal_iteratorINS9_10device_ptrIsEEEESE_sNS9_4plusIsEEsEEDaPvRmT3_T4_T5_mT6_P12ihipStream_tbENKUlT_T0_E_clISt17integral_constantIbLb0EEST_IbLb1EEEEDaSP_SQ_EUlSP_E0_NS1_11comp_targetILNS1_3genE9ELNS1_11target_archE1100ELNS1_3gpuE3ELNS1_3repE0EEENS1_30default_config_static_selectorELNS0_4arch9wavefront6targetE1EEEvT1_: ; @_ZN7rocprim17ROCPRIM_400000_NS6detail17trampoline_kernelINS0_14default_configENS1_20scan_config_selectorIsEEZZNS1_9scan_implILNS1_25lookback_scan_determinismE0ELb0ELb1ES3_N6thrust23THRUST_200600_302600_NS6detail15normal_iteratorINS9_10device_ptrIsEEEESE_sNS9_4plusIsEEsEEDaPvRmT3_T4_T5_mT6_P12ihipStream_tbENKUlT_T0_E_clISt17integral_constantIbLb0EEST_IbLb1EEEEDaSP_SQ_EUlSP_E0_NS1_11comp_targetILNS1_3genE9ELNS1_11target_archE1100ELNS1_3gpuE3ELNS1_3repE0EEENS1_30default_config_static_selectorELNS0_4arch9wavefront6targetE1EEEvT1_
; %bb.0:
	.section	.rodata,"a",@progbits
	.p2align	6, 0x0
	.amdhsa_kernel _ZN7rocprim17ROCPRIM_400000_NS6detail17trampoline_kernelINS0_14default_configENS1_20scan_config_selectorIsEEZZNS1_9scan_implILNS1_25lookback_scan_determinismE0ELb0ELb1ES3_N6thrust23THRUST_200600_302600_NS6detail15normal_iteratorINS9_10device_ptrIsEEEESE_sNS9_4plusIsEEsEEDaPvRmT3_T4_T5_mT6_P12ihipStream_tbENKUlT_T0_E_clISt17integral_constantIbLb0EEST_IbLb1EEEEDaSP_SQ_EUlSP_E0_NS1_11comp_targetILNS1_3genE9ELNS1_11target_archE1100ELNS1_3gpuE3ELNS1_3repE0EEENS1_30default_config_static_selectorELNS0_4arch9wavefront6targetE1EEEvT1_
		.amdhsa_group_segment_fixed_size 0
		.amdhsa_private_segment_fixed_size 0
		.amdhsa_kernarg_size 32
		.amdhsa_user_sgpr_count 6
		.amdhsa_user_sgpr_private_segment_buffer 1
		.amdhsa_user_sgpr_dispatch_ptr 0
		.amdhsa_user_sgpr_queue_ptr 0
		.amdhsa_user_sgpr_kernarg_segment_ptr 1
		.amdhsa_user_sgpr_dispatch_id 0
		.amdhsa_user_sgpr_flat_scratch_init 0
		.amdhsa_user_sgpr_kernarg_preload_length 0
		.amdhsa_user_sgpr_kernarg_preload_offset 0
		.amdhsa_user_sgpr_private_segment_size 0
		.amdhsa_uses_dynamic_stack 0
		.amdhsa_system_sgpr_private_segment_wavefront_offset 0
		.amdhsa_system_sgpr_workgroup_id_x 1
		.amdhsa_system_sgpr_workgroup_id_y 0
		.amdhsa_system_sgpr_workgroup_id_z 0
		.amdhsa_system_sgpr_workgroup_info 0
		.amdhsa_system_vgpr_workitem_id 0
		.amdhsa_next_free_vgpr 1
		.amdhsa_next_free_sgpr 0
		.amdhsa_accum_offset 4
		.amdhsa_reserve_vcc 0
		.amdhsa_reserve_flat_scratch 0
		.amdhsa_float_round_mode_32 0
		.amdhsa_float_round_mode_16_64 0
		.amdhsa_float_denorm_mode_32 3
		.amdhsa_float_denorm_mode_16_64 3
		.amdhsa_dx10_clamp 1
		.amdhsa_ieee_mode 1
		.amdhsa_fp16_overflow 0
		.amdhsa_tg_split 0
		.amdhsa_exception_fp_ieee_invalid_op 0
		.amdhsa_exception_fp_denorm_src 0
		.amdhsa_exception_fp_ieee_div_zero 0
		.amdhsa_exception_fp_ieee_overflow 0
		.amdhsa_exception_fp_ieee_underflow 0
		.amdhsa_exception_fp_ieee_inexact 0
		.amdhsa_exception_int_div_zero 0
	.end_amdhsa_kernel
	.section	.text._ZN7rocprim17ROCPRIM_400000_NS6detail17trampoline_kernelINS0_14default_configENS1_20scan_config_selectorIsEEZZNS1_9scan_implILNS1_25lookback_scan_determinismE0ELb0ELb1ES3_N6thrust23THRUST_200600_302600_NS6detail15normal_iteratorINS9_10device_ptrIsEEEESE_sNS9_4plusIsEEsEEDaPvRmT3_T4_T5_mT6_P12ihipStream_tbENKUlT_T0_E_clISt17integral_constantIbLb0EEST_IbLb1EEEEDaSP_SQ_EUlSP_E0_NS1_11comp_targetILNS1_3genE9ELNS1_11target_archE1100ELNS1_3gpuE3ELNS1_3repE0EEENS1_30default_config_static_selectorELNS0_4arch9wavefront6targetE1EEEvT1_,"axG",@progbits,_ZN7rocprim17ROCPRIM_400000_NS6detail17trampoline_kernelINS0_14default_configENS1_20scan_config_selectorIsEEZZNS1_9scan_implILNS1_25lookback_scan_determinismE0ELb0ELb1ES3_N6thrust23THRUST_200600_302600_NS6detail15normal_iteratorINS9_10device_ptrIsEEEESE_sNS9_4plusIsEEsEEDaPvRmT3_T4_T5_mT6_P12ihipStream_tbENKUlT_T0_E_clISt17integral_constantIbLb0EEST_IbLb1EEEEDaSP_SQ_EUlSP_E0_NS1_11comp_targetILNS1_3genE9ELNS1_11target_archE1100ELNS1_3gpuE3ELNS1_3repE0EEENS1_30default_config_static_selectorELNS0_4arch9wavefront6targetE1EEEvT1_,comdat
.Lfunc_end1337:
	.size	_ZN7rocprim17ROCPRIM_400000_NS6detail17trampoline_kernelINS0_14default_configENS1_20scan_config_selectorIsEEZZNS1_9scan_implILNS1_25lookback_scan_determinismE0ELb0ELb1ES3_N6thrust23THRUST_200600_302600_NS6detail15normal_iteratorINS9_10device_ptrIsEEEESE_sNS9_4plusIsEEsEEDaPvRmT3_T4_T5_mT6_P12ihipStream_tbENKUlT_T0_E_clISt17integral_constantIbLb0EEST_IbLb1EEEEDaSP_SQ_EUlSP_E0_NS1_11comp_targetILNS1_3genE9ELNS1_11target_archE1100ELNS1_3gpuE3ELNS1_3repE0EEENS1_30default_config_static_selectorELNS0_4arch9wavefront6targetE1EEEvT1_, .Lfunc_end1337-_ZN7rocprim17ROCPRIM_400000_NS6detail17trampoline_kernelINS0_14default_configENS1_20scan_config_selectorIsEEZZNS1_9scan_implILNS1_25lookback_scan_determinismE0ELb0ELb1ES3_N6thrust23THRUST_200600_302600_NS6detail15normal_iteratorINS9_10device_ptrIsEEEESE_sNS9_4plusIsEEsEEDaPvRmT3_T4_T5_mT6_P12ihipStream_tbENKUlT_T0_E_clISt17integral_constantIbLb0EEST_IbLb1EEEEDaSP_SQ_EUlSP_E0_NS1_11comp_targetILNS1_3genE9ELNS1_11target_archE1100ELNS1_3gpuE3ELNS1_3repE0EEENS1_30default_config_static_selectorELNS0_4arch9wavefront6targetE1EEEvT1_
                                        ; -- End function
	.section	.AMDGPU.csdata,"",@progbits
; Kernel info:
; codeLenInByte = 0
; NumSgprs: 4
; NumVgprs: 0
; NumAgprs: 0
; TotalNumVgprs: 0
; ScratchSize: 0
; MemoryBound: 0
; FloatMode: 240
; IeeeMode: 1
; LDSByteSize: 0 bytes/workgroup (compile time only)
; SGPRBlocks: 0
; VGPRBlocks: 0
; NumSGPRsForWavesPerEU: 4
; NumVGPRsForWavesPerEU: 1
; AccumOffset: 4
; Occupancy: 8
; WaveLimiterHint : 0
; COMPUTE_PGM_RSRC2:SCRATCH_EN: 0
; COMPUTE_PGM_RSRC2:USER_SGPR: 6
; COMPUTE_PGM_RSRC2:TRAP_HANDLER: 0
; COMPUTE_PGM_RSRC2:TGID_X_EN: 1
; COMPUTE_PGM_RSRC2:TGID_Y_EN: 0
; COMPUTE_PGM_RSRC2:TGID_Z_EN: 0
; COMPUTE_PGM_RSRC2:TIDIG_COMP_CNT: 0
; COMPUTE_PGM_RSRC3_GFX90A:ACCUM_OFFSET: 0
; COMPUTE_PGM_RSRC3_GFX90A:TG_SPLIT: 0
	.section	.text._ZN7rocprim17ROCPRIM_400000_NS6detail17trampoline_kernelINS0_14default_configENS1_20scan_config_selectorIsEEZZNS1_9scan_implILNS1_25lookback_scan_determinismE0ELb0ELb1ES3_N6thrust23THRUST_200600_302600_NS6detail15normal_iteratorINS9_10device_ptrIsEEEESE_sNS9_4plusIsEEsEEDaPvRmT3_T4_T5_mT6_P12ihipStream_tbENKUlT_T0_E_clISt17integral_constantIbLb0EEST_IbLb1EEEEDaSP_SQ_EUlSP_E0_NS1_11comp_targetILNS1_3genE8ELNS1_11target_archE1030ELNS1_3gpuE2ELNS1_3repE0EEENS1_30default_config_static_selectorELNS0_4arch9wavefront6targetE1EEEvT1_,"axG",@progbits,_ZN7rocprim17ROCPRIM_400000_NS6detail17trampoline_kernelINS0_14default_configENS1_20scan_config_selectorIsEEZZNS1_9scan_implILNS1_25lookback_scan_determinismE0ELb0ELb1ES3_N6thrust23THRUST_200600_302600_NS6detail15normal_iteratorINS9_10device_ptrIsEEEESE_sNS9_4plusIsEEsEEDaPvRmT3_T4_T5_mT6_P12ihipStream_tbENKUlT_T0_E_clISt17integral_constantIbLb0EEST_IbLb1EEEEDaSP_SQ_EUlSP_E0_NS1_11comp_targetILNS1_3genE8ELNS1_11target_archE1030ELNS1_3gpuE2ELNS1_3repE0EEENS1_30default_config_static_selectorELNS0_4arch9wavefront6targetE1EEEvT1_,comdat
	.protected	_ZN7rocprim17ROCPRIM_400000_NS6detail17trampoline_kernelINS0_14default_configENS1_20scan_config_selectorIsEEZZNS1_9scan_implILNS1_25lookback_scan_determinismE0ELb0ELb1ES3_N6thrust23THRUST_200600_302600_NS6detail15normal_iteratorINS9_10device_ptrIsEEEESE_sNS9_4plusIsEEsEEDaPvRmT3_T4_T5_mT6_P12ihipStream_tbENKUlT_T0_E_clISt17integral_constantIbLb0EEST_IbLb1EEEEDaSP_SQ_EUlSP_E0_NS1_11comp_targetILNS1_3genE8ELNS1_11target_archE1030ELNS1_3gpuE2ELNS1_3repE0EEENS1_30default_config_static_selectorELNS0_4arch9wavefront6targetE1EEEvT1_ ; -- Begin function _ZN7rocprim17ROCPRIM_400000_NS6detail17trampoline_kernelINS0_14default_configENS1_20scan_config_selectorIsEEZZNS1_9scan_implILNS1_25lookback_scan_determinismE0ELb0ELb1ES3_N6thrust23THRUST_200600_302600_NS6detail15normal_iteratorINS9_10device_ptrIsEEEESE_sNS9_4plusIsEEsEEDaPvRmT3_T4_T5_mT6_P12ihipStream_tbENKUlT_T0_E_clISt17integral_constantIbLb0EEST_IbLb1EEEEDaSP_SQ_EUlSP_E0_NS1_11comp_targetILNS1_3genE8ELNS1_11target_archE1030ELNS1_3gpuE2ELNS1_3repE0EEENS1_30default_config_static_selectorELNS0_4arch9wavefront6targetE1EEEvT1_
	.globl	_ZN7rocprim17ROCPRIM_400000_NS6detail17trampoline_kernelINS0_14default_configENS1_20scan_config_selectorIsEEZZNS1_9scan_implILNS1_25lookback_scan_determinismE0ELb0ELb1ES3_N6thrust23THRUST_200600_302600_NS6detail15normal_iteratorINS9_10device_ptrIsEEEESE_sNS9_4plusIsEEsEEDaPvRmT3_T4_T5_mT6_P12ihipStream_tbENKUlT_T0_E_clISt17integral_constantIbLb0EEST_IbLb1EEEEDaSP_SQ_EUlSP_E0_NS1_11comp_targetILNS1_3genE8ELNS1_11target_archE1030ELNS1_3gpuE2ELNS1_3repE0EEENS1_30default_config_static_selectorELNS0_4arch9wavefront6targetE1EEEvT1_
	.p2align	8
	.type	_ZN7rocprim17ROCPRIM_400000_NS6detail17trampoline_kernelINS0_14default_configENS1_20scan_config_selectorIsEEZZNS1_9scan_implILNS1_25lookback_scan_determinismE0ELb0ELb1ES3_N6thrust23THRUST_200600_302600_NS6detail15normal_iteratorINS9_10device_ptrIsEEEESE_sNS9_4plusIsEEsEEDaPvRmT3_T4_T5_mT6_P12ihipStream_tbENKUlT_T0_E_clISt17integral_constantIbLb0EEST_IbLb1EEEEDaSP_SQ_EUlSP_E0_NS1_11comp_targetILNS1_3genE8ELNS1_11target_archE1030ELNS1_3gpuE2ELNS1_3repE0EEENS1_30default_config_static_selectorELNS0_4arch9wavefront6targetE1EEEvT1_,@function
_ZN7rocprim17ROCPRIM_400000_NS6detail17trampoline_kernelINS0_14default_configENS1_20scan_config_selectorIsEEZZNS1_9scan_implILNS1_25lookback_scan_determinismE0ELb0ELb1ES3_N6thrust23THRUST_200600_302600_NS6detail15normal_iteratorINS9_10device_ptrIsEEEESE_sNS9_4plusIsEEsEEDaPvRmT3_T4_T5_mT6_P12ihipStream_tbENKUlT_T0_E_clISt17integral_constantIbLb0EEST_IbLb1EEEEDaSP_SQ_EUlSP_E0_NS1_11comp_targetILNS1_3genE8ELNS1_11target_archE1030ELNS1_3gpuE2ELNS1_3repE0EEENS1_30default_config_static_selectorELNS0_4arch9wavefront6targetE1EEEvT1_: ; @_ZN7rocprim17ROCPRIM_400000_NS6detail17trampoline_kernelINS0_14default_configENS1_20scan_config_selectorIsEEZZNS1_9scan_implILNS1_25lookback_scan_determinismE0ELb0ELb1ES3_N6thrust23THRUST_200600_302600_NS6detail15normal_iteratorINS9_10device_ptrIsEEEESE_sNS9_4plusIsEEsEEDaPvRmT3_T4_T5_mT6_P12ihipStream_tbENKUlT_T0_E_clISt17integral_constantIbLb0EEST_IbLb1EEEEDaSP_SQ_EUlSP_E0_NS1_11comp_targetILNS1_3genE8ELNS1_11target_archE1030ELNS1_3gpuE2ELNS1_3repE0EEENS1_30default_config_static_selectorELNS0_4arch9wavefront6targetE1EEEvT1_
; %bb.0:
	.section	.rodata,"a",@progbits
	.p2align	6, 0x0
	.amdhsa_kernel _ZN7rocprim17ROCPRIM_400000_NS6detail17trampoline_kernelINS0_14default_configENS1_20scan_config_selectorIsEEZZNS1_9scan_implILNS1_25lookback_scan_determinismE0ELb0ELb1ES3_N6thrust23THRUST_200600_302600_NS6detail15normal_iteratorINS9_10device_ptrIsEEEESE_sNS9_4plusIsEEsEEDaPvRmT3_T4_T5_mT6_P12ihipStream_tbENKUlT_T0_E_clISt17integral_constantIbLb0EEST_IbLb1EEEEDaSP_SQ_EUlSP_E0_NS1_11comp_targetILNS1_3genE8ELNS1_11target_archE1030ELNS1_3gpuE2ELNS1_3repE0EEENS1_30default_config_static_selectorELNS0_4arch9wavefront6targetE1EEEvT1_
		.amdhsa_group_segment_fixed_size 0
		.amdhsa_private_segment_fixed_size 0
		.amdhsa_kernarg_size 32
		.amdhsa_user_sgpr_count 6
		.amdhsa_user_sgpr_private_segment_buffer 1
		.amdhsa_user_sgpr_dispatch_ptr 0
		.amdhsa_user_sgpr_queue_ptr 0
		.amdhsa_user_sgpr_kernarg_segment_ptr 1
		.amdhsa_user_sgpr_dispatch_id 0
		.amdhsa_user_sgpr_flat_scratch_init 0
		.amdhsa_user_sgpr_kernarg_preload_length 0
		.amdhsa_user_sgpr_kernarg_preload_offset 0
		.amdhsa_user_sgpr_private_segment_size 0
		.amdhsa_uses_dynamic_stack 0
		.amdhsa_system_sgpr_private_segment_wavefront_offset 0
		.amdhsa_system_sgpr_workgroup_id_x 1
		.amdhsa_system_sgpr_workgroup_id_y 0
		.amdhsa_system_sgpr_workgroup_id_z 0
		.amdhsa_system_sgpr_workgroup_info 0
		.amdhsa_system_vgpr_workitem_id 0
		.amdhsa_next_free_vgpr 1
		.amdhsa_next_free_sgpr 0
		.amdhsa_accum_offset 4
		.amdhsa_reserve_vcc 0
		.amdhsa_reserve_flat_scratch 0
		.amdhsa_float_round_mode_32 0
		.amdhsa_float_round_mode_16_64 0
		.amdhsa_float_denorm_mode_32 3
		.amdhsa_float_denorm_mode_16_64 3
		.amdhsa_dx10_clamp 1
		.amdhsa_ieee_mode 1
		.amdhsa_fp16_overflow 0
		.amdhsa_tg_split 0
		.amdhsa_exception_fp_ieee_invalid_op 0
		.amdhsa_exception_fp_denorm_src 0
		.amdhsa_exception_fp_ieee_div_zero 0
		.amdhsa_exception_fp_ieee_overflow 0
		.amdhsa_exception_fp_ieee_underflow 0
		.amdhsa_exception_fp_ieee_inexact 0
		.amdhsa_exception_int_div_zero 0
	.end_amdhsa_kernel
	.section	.text._ZN7rocprim17ROCPRIM_400000_NS6detail17trampoline_kernelINS0_14default_configENS1_20scan_config_selectorIsEEZZNS1_9scan_implILNS1_25lookback_scan_determinismE0ELb0ELb1ES3_N6thrust23THRUST_200600_302600_NS6detail15normal_iteratorINS9_10device_ptrIsEEEESE_sNS9_4plusIsEEsEEDaPvRmT3_T4_T5_mT6_P12ihipStream_tbENKUlT_T0_E_clISt17integral_constantIbLb0EEST_IbLb1EEEEDaSP_SQ_EUlSP_E0_NS1_11comp_targetILNS1_3genE8ELNS1_11target_archE1030ELNS1_3gpuE2ELNS1_3repE0EEENS1_30default_config_static_selectorELNS0_4arch9wavefront6targetE1EEEvT1_,"axG",@progbits,_ZN7rocprim17ROCPRIM_400000_NS6detail17trampoline_kernelINS0_14default_configENS1_20scan_config_selectorIsEEZZNS1_9scan_implILNS1_25lookback_scan_determinismE0ELb0ELb1ES3_N6thrust23THRUST_200600_302600_NS6detail15normal_iteratorINS9_10device_ptrIsEEEESE_sNS9_4plusIsEEsEEDaPvRmT3_T4_T5_mT6_P12ihipStream_tbENKUlT_T0_E_clISt17integral_constantIbLb0EEST_IbLb1EEEEDaSP_SQ_EUlSP_E0_NS1_11comp_targetILNS1_3genE8ELNS1_11target_archE1030ELNS1_3gpuE2ELNS1_3repE0EEENS1_30default_config_static_selectorELNS0_4arch9wavefront6targetE1EEEvT1_,comdat
.Lfunc_end1338:
	.size	_ZN7rocprim17ROCPRIM_400000_NS6detail17trampoline_kernelINS0_14default_configENS1_20scan_config_selectorIsEEZZNS1_9scan_implILNS1_25lookback_scan_determinismE0ELb0ELb1ES3_N6thrust23THRUST_200600_302600_NS6detail15normal_iteratorINS9_10device_ptrIsEEEESE_sNS9_4plusIsEEsEEDaPvRmT3_T4_T5_mT6_P12ihipStream_tbENKUlT_T0_E_clISt17integral_constantIbLb0EEST_IbLb1EEEEDaSP_SQ_EUlSP_E0_NS1_11comp_targetILNS1_3genE8ELNS1_11target_archE1030ELNS1_3gpuE2ELNS1_3repE0EEENS1_30default_config_static_selectorELNS0_4arch9wavefront6targetE1EEEvT1_, .Lfunc_end1338-_ZN7rocprim17ROCPRIM_400000_NS6detail17trampoline_kernelINS0_14default_configENS1_20scan_config_selectorIsEEZZNS1_9scan_implILNS1_25lookback_scan_determinismE0ELb0ELb1ES3_N6thrust23THRUST_200600_302600_NS6detail15normal_iteratorINS9_10device_ptrIsEEEESE_sNS9_4plusIsEEsEEDaPvRmT3_T4_T5_mT6_P12ihipStream_tbENKUlT_T0_E_clISt17integral_constantIbLb0EEST_IbLb1EEEEDaSP_SQ_EUlSP_E0_NS1_11comp_targetILNS1_3genE8ELNS1_11target_archE1030ELNS1_3gpuE2ELNS1_3repE0EEENS1_30default_config_static_selectorELNS0_4arch9wavefront6targetE1EEEvT1_
                                        ; -- End function
	.section	.AMDGPU.csdata,"",@progbits
; Kernel info:
; codeLenInByte = 0
; NumSgprs: 4
; NumVgprs: 0
; NumAgprs: 0
; TotalNumVgprs: 0
; ScratchSize: 0
; MemoryBound: 0
; FloatMode: 240
; IeeeMode: 1
; LDSByteSize: 0 bytes/workgroup (compile time only)
; SGPRBlocks: 0
; VGPRBlocks: 0
; NumSGPRsForWavesPerEU: 4
; NumVGPRsForWavesPerEU: 1
; AccumOffset: 4
; Occupancy: 8
; WaveLimiterHint : 0
; COMPUTE_PGM_RSRC2:SCRATCH_EN: 0
; COMPUTE_PGM_RSRC2:USER_SGPR: 6
; COMPUTE_PGM_RSRC2:TRAP_HANDLER: 0
; COMPUTE_PGM_RSRC2:TGID_X_EN: 1
; COMPUTE_PGM_RSRC2:TGID_Y_EN: 0
; COMPUTE_PGM_RSRC2:TGID_Z_EN: 0
; COMPUTE_PGM_RSRC2:TIDIG_COMP_CNT: 0
; COMPUTE_PGM_RSRC3_GFX90A:ACCUM_OFFSET: 0
; COMPUTE_PGM_RSRC3_GFX90A:TG_SPLIT: 0
	.section	.text._ZN6thrust23THRUST_200600_302600_NS11hip_rocprim14__parallel_for6kernelILj256ENS1_20__uninitialized_fill7functorINS0_10device_ptrIiEEiEEmLj1EEEvT0_T1_SA_,"axG",@progbits,_ZN6thrust23THRUST_200600_302600_NS11hip_rocprim14__parallel_for6kernelILj256ENS1_20__uninitialized_fill7functorINS0_10device_ptrIiEEiEEmLj1EEEvT0_T1_SA_,comdat
	.protected	_ZN6thrust23THRUST_200600_302600_NS11hip_rocprim14__parallel_for6kernelILj256ENS1_20__uninitialized_fill7functorINS0_10device_ptrIiEEiEEmLj1EEEvT0_T1_SA_ ; -- Begin function _ZN6thrust23THRUST_200600_302600_NS11hip_rocprim14__parallel_for6kernelILj256ENS1_20__uninitialized_fill7functorINS0_10device_ptrIiEEiEEmLj1EEEvT0_T1_SA_
	.globl	_ZN6thrust23THRUST_200600_302600_NS11hip_rocprim14__parallel_for6kernelILj256ENS1_20__uninitialized_fill7functorINS0_10device_ptrIiEEiEEmLj1EEEvT0_T1_SA_
	.p2align	8
	.type	_ZN6thrust23THRUST_200600_302600_NS11hip_rocprim14__parallel_for6kernelILj256ENS1_20__uninitialized_fill7functorINS0_10device_ptrIiEEiEEmLj1EEEvT0_T1_SA_,@function
_ZN6thrust23THRUST_200600_302600_NS11hip_rocprim14__parallel_for6kernelILj256ENS1_20__uninitialized_fill7functorINS0_10device_ptrIiEEiEEmLj1EEEvT0_T1_SA_: ; @_ZN6thrust23THRUST_200600_302600_NS11hip_rocprim14__parallel_for6kernelILj256ENS1_20__uninitialized_fill7functorINS0_10device_ptrIiEEiEEmLj1EEEvT0_T1_SA_
; %bb.0:
	s_load_dwordx4 s[8:11], s[4:5], 0x10
	s_lshl_b32 s0, s6, 8
	v_mov_b32_e32 v2, 0x100
	v_mov_b32_e32 v3, 0
	s_waitcnt lgkmcnt(0)
	s_add_u32 s0, s0, s10
	s_addc_u32 s1, 0, s11
	s_sub_u32 s2, s8, s0
	s_subb_u32 s3, s9, s1
	v_cmp_lt_u64_e32 vcc, s[2:3], v[2:3]
	s_cbranch_vccz .LBB1339_2
; %bb.1:
	v_cmp_gt_u32_e32 vcc, s2, v0
	s_and_b64 s[2:3], vcc, exec
	s_cbranch_execz .LBB1339_3
	s_branch .LBB1339_4
.LBB1339_2:
	s_mov_b64 s[2:3], 0
.LBB1339_3:
	s_or_b64 s[2:3], s[2:3], exec
.LBB1339_4:
	s_and_saveexec_b64 s[6:7], s[2:3]
	s_cbranch_execnz .LBB1339_6
; %bb.5:
	s_endpgm
.LBB1339_6:
	s_load_dwordx2 s[2:3], s[4:5], 0x0
	s_load_dword s6, s[4:5], 0x8
	s_lshl_b64 s[0:1], s[0:1], 2
	v_mov_b32_e32 v1, 0
	v_lshlrev_b64 v[0:1], 2, v[0:1]
	s_waitcnt lgkmcnt(0)
	s_add_u32 s0, s2, s0
	s_addc_u32 s1, s3, s1
	v_mov_b32_e32 v2, s1
	v_add_co_u32_e32 v0, vcc, s0, v0
	v_addc_co_u32_e32 v1, vcc, v2, v1, vcc
	v_mov_b32_e32 v2, s6
	flat_store_dword v[0:1], v2
	s_endpgm
	.section	.rodata,"a",@progbits
	.p2align	6, 0x0
	.amdhsa_kernel _ZN6thrust23THRUST_200600_302600_NS11hip_rocprim14__parallel_for6kernelILj256ENS1_20__uninitialized_fill7functorINS0_10device_ptrIiEEiEEmLj1EEEvT0_T1_SA_
		.amdhsa_group_segment_fixed_size 0
		.amdhsa_private_segment_fixed_size 0
		.amdhsa_kernarg_size 32
		.amdhsa_user_sgpr_count 6
		.amdhsa_user_sgpr_private_segment_buffer 1
		.amdhsa_user_sgpr_dispatch_ptr 0
		.amdhsa_user_sgpr_queue_ptr 0
		.amdhsa_user_sgpr_kernarg_segment_ptr 1
		.amdhsa_user_sgpr_dispatch_id 0
		.amdhsa_user_sgpr_flat_scratch_init 0
		.amdhsa_user_sgpr_kernarg_preload_length 0
		.amdhsa_user_sgpr_kernarg_preload_offset 0
		.amdhsa_user_sgpr_private_segment_size 0
		.amdhsa_uses_dynamic_stack 0
		.amdhsa_system_sgpr_private_segment_wavefront_offset 0
		.amdhsa_system_sgpr_workgroup_id_x 1
		.amdhsa_system_sgpr_workgroup_id_y 0
		.amdhsa_system_sgpr_workgroup_id_z 0
		.amdhsa_system_sgpr_workgroup_info 0
		.amdhsa_system_vgpr_workitem_id 0
		.amdhsa_next_free_vgpr 4
		.amdhsa_next_free_sgpr 12
		.amdhsa_accum_offset 4
		.amdhsa_reserve_vcc 1
		.amdhsa_reserve_flat_scratch 0
		.amdhsa_float_round_mode_32 0
		.amdhsa_float_round_mode_16_64 0
		.amdhsa_float_denorm_mode_32 3
		.amdhsa_float_denorm_mode_16_64 3
		.amdhsa_dx10_clamp 1
		.amdhsa_ieee_mode 1
		.amdhsa_fp16_overflow 0
		.amdhsa_tg_split 0
		.amdhsa_exception_fp_ieee_invalid_op 0
		.amdhsa_exception_fp_denorm_src 0
		.amdhsa_exception_fp_ieee_div_zero 0
		.amdhsa_exception_fp_ieee_overflow 0
		.amdhsa_exception_fp_ieee_underflow 0
		.amdhsa_exception_fp_ieee_inexact 0
		.amdhsa_exception_int_div_zero 0
	.end_amdhsa_kernel
	.section	.text._ZN6thrust23THRUST_200600_302600_NS11hip_rocprim14__parallel_for6kernelILj256ENS1_20__uninitialized_fill7functorINS0_10device_ptrIiEEiEEmLj1EEEvT0_T1_SA_,"axG",@progbits,_ZN6thrust23THRUST_200600_302600_NS11hip_rocprim14__parallel_for6kernelILj256ENS1_20__uninitialized_fill7functorINS0_10device_ptrIiEEiEEmLj1EEEvT0_T1_SA_,comdat
.Lfunc_end1339:
	.size	_ZN6thrust23THRUST_200600_302600_NS11hip_rocprim14__parallel_for6kernelILj256ENS1_20__uninitialized_fill7functorINS0_10device_ptrIiEEiEEmLj1EEEvT0_T1_SA_, .Lfunc_end1339-_ZN6thrust23THRUST_200600_302600_NS11hip_rocprim14__parallel_for6kernelILj256ENS1_20__uninitialized_fill7functorINS0_10device_ptrIiEEiEEmLj1EEEvT0_T1_SA_
                                        ; -- End function
	.section	.AMDGPU.csdata,"",@progbits
; Kernel info:
; codeLenInByte = 160
; NumSgprs: 16
; NumVgprs: 4
; NumAgprs: 0
; TotalNumVgprs: 4
; ScratchSize: 0
; MemoryBound: 0
; FloatMode: 240
; IeeeMode: 1
; LDSByteSize: 0 bytes/workgroup (compile time only)
; SGPRBlocks: 1
; VGPRBlocks: 0
; NumSGPRsForWavesPerEU: 16
; NumVGPRsForWavesPerEU: 4
; AccumOffset: 4
; Occupancy: 8
; WaveLimiterHint : 0
; COMPUTE_PGM_RSRC2:SCRATCH_EN: 0
; COMPUTE_PGM_RSRC2:USER_SGPR: 6
; COMPUTE_PGM_RSRC2:TRAP_HANDLER: 0
; COMPUTE_PGM_RSRC2:TGID_X_EN: 1
; COMPUTE_PGM_RSRC2:TGID_Y_EN: 0
; COMPUTE_PGM_RSRC2:TGID_Z_EN: 0
; COMPUTE_PGM_RSRC2:TIDIG_COMP_CNT: 0
; COMPUTE_PGM_RSRC3_GFX90A:ACCUM_OFFSET: 0
; COMPUTE_PGM_RSRC3_GFX90A:TG_SPLIT: 0
	.section	.text._ZN7rocprim17ROCPRIM_400000_NS6detail17trampoline_kernelINS0_14default_configENS1_20scan_config_selectorIiEEZZNS1_9scan_implILNS1_25lookback_scan_determinismE0ELb0ELb0ES3_N6thrust23THRUST_200600_302600_NS6detail15normal_iteratorINS9_10device_ptrIiEEEESE_iNS9_4plusIvEEiEEDaPvRmT3_T4_T5_mT6_P12ihipStream_tbENKUlT_T0_E_clISt17integral_constantIbLb0EESU_EEDaSP_SQ_EUlSP_E_NS1_11comp_targetILNS1_3genE0ELNS1_11target_archE4294967295ELNS1_3gpuE0ELNS1_3repE0EEENS1_30default_config_static_selectorELNS0_4arch9wavefront6targetE1EEEvT1_,"axG",@progbits,_ZN7rocprim17ROCPRIM_400000_NS6detail17trampoline_kernelINS0_14default_configENS1_20scan_config_selectorIiEEZZNS1_9scan_implILNS1_25lookback_scan_determinismE0ELb0ELb0ES3_N6thrust23THRUST_200600_302600_NS6detail15normal_iteratorINS9_10device_ptrIiEEEESE_iNS9_4plusIvEEiEEDaPvRmT3_T4_T5_mT6_P12ihipStream_tbENKUlT_T0_E_clISt17integral_constantIbLb0EESU_EEDaSP_SQ_EUlSP_E_NS1_11comp_targetILNS1_3genE0ELNS1_11target_archE4294967295ELNS1_3gpuE0ELNS1_3repE0EEENS1_30default_config_static_selectorELNS0_4arch9wavefront6targetE1EEEvT1_,comdat
	.protected	_ZN7rocprim17ROCPRIM_400000_NS6detail17trampoline_kernelINS0_14default_configENS1_20scan_config_selectorIiEEZZNS1_9scan_implILNS1_25lookback_scan_determinismE0ELb0ELb0ES3_N6thrust23THRUST_200600_302600_NS6detail15normal_iteratorINS9_10device_ptrIiEEEESE_iNS9_4plusIvEEiEEDaPvRmT3_T4_T5_mT6_P12ihipStream_tbENKUlT_T0_E_clISt17integral_constantIbLb0EESU_EEDaSP_SQ_EUlSP_E_NS1_11comp_targetILNS1_3genE0ELNS1_11target_archE4294967295ELNS1_3gpuE0ELNS1_3repE0EEENS1_30default_config_static_selectorELNS0_4arch9wavefront6targetE1EEEvT1_ ; -- Begin function _ZN7rocprim17ROCPRIM_400000_NS6detail17trampoline_kernelINS0_14default_configENS1_20scan_config_selectorIiEEZZNS1_9scan_implILNS1_25lookback_scan_determinismE0ELb0ELb0ES3_N6thrust23THRUST_200600_302600_NS6detail15normal_iteratorINS9_10device_ptrIiEEEESE_iNS9_4plusIvEEiEEDaPvRmT3_T4_T5_mT6_P12ihipStream_tbENKUlT_T0_E_clISt17integral_constantIbLb0EESU_EEDaSP_SQ_EUlSP_E_NS1_11comp_targetILNS1_3genE0ELNS1_11target_archE4294967295ELNS1_3gpuE0ELNS1_3repE0EEENS1_30default_config_static_selectorELNS0_4arch9wavefront6targetE1EEEvT1_
	.globl	_ZN7rocprim17ROCPRIM_400000_NS6detail17trampoline_kernelINS0_14default_configENS1_20scan_config_selectorIiEEZZNS1_9scan_implILNS1_25lookback_scan_determinismE0ELb0ELb0ES3_N6thrust23THRUST_200600_302600_NS6detail15normal_iteratorINS9_10device_ptrIiEEEESE_iNS9_4plusIvEEiEEDaPvRmT3_T4_T5_mT6_P12ihipStream_tbENKUlT_T0_E_clISt17integral_constantIbLb0EESU_EEDaSP_SQ_EUlSP_E_NS1_11comp_targetILNS1_3genE0ELNS1_11target_archE4294967295ELNS1_3gpuE0ELNS1_3repE0EEENS1_30default_config_static_selectorELNS0_4arch9wavefront6targetE1EEEvT1_
	.p2align	8
	.type	_ZN7rocprim17ROCPRIM_400000_NS6detail17trampoline_kernelINS0_14default_configENS1_20scan_config_selectorIiEEZZNS1_9scan_implILNS1_25lookback_scan_determinismE0ELb0ELb0ES3_N6thrust23THRUST_200600_302600_NS6detail15normal_iteratorINS9_10device_ptrIiEEEESE_iNS9_4plusIvEEiEEDaPvRmT3_T4_T5_mT6_P12ihipStream_tbENKUlT_T0_E_clISt17integral_constantIbLb0EESU_EEDaSP_SQ_EUlSP_E_NS1_11comp_targetILNS1_3genE0ELNS1_11target_archE4294967295ELNS1_3gpuE0ELNS1_3repE0EEENS1_30default_config_static_selectorELNS0_4arch9wavefront6targetE1EEEvT1_,@function
_ZN7rocprim17ROCPRIM_400000_NS6detail17trampoline_kernelINS0_14default_configENS1_20scan_config_selectorIiEEZZNS1_9scan_implILNS1_25lookback_scan_determinismE0ELb0ELb0ES3_N6thrust23THRUST_200600_302600_NS6detail15normal_iteratorINS9_10device_ptrIiEEEESE_iNS9_4plusIvEEiEEDaPvRmT3_T4_T5_mT6_P12ihipStream_tbENKUlT_T0_E_clISt17integral_constantIbLb0EESU_EEDaSP_SQ_EUlSP_E_NS1_11comp_targetILNS1_3genE0ELNS1_11target_archE4294967295ELNS1_3gpuE0ELNS1_3repE0EEENS1_30default_config_static_selectorELNS0_4arch9wavefront6targetE1EEEvT1_: ; @_ZN7rocprim17ROCPRIM_400000_NS6detail17trampoline_kernelINS0_14default_configENS1_20scan_config_selectorIiEEZZNS1_9scan_implILNS1_25lookback_scan_determinismE0ELb0ELb0ES3_N6thrust23THRUST_200600_302600_NS6detail15normal_iteratorINS9_10device_ptrIiEEEESE_iNS9_4plusIvEEiEEDaPvRmT3_T4_T5_mT6_P12ihipStream_tbENKUlT_T0_E_clISt17integral_constantIbLb0EESU_EEDaSP_SQ_EUlSP_E_NS1_11comp_targetILNS1_3genE0ELNS1_11target_archE4294967295ELNS1_3gpuE0ELNS1_3repE0EEENS1_30default_config_static_selectorELNS0_4arch9wavefront6targetE1EEEvT1_
; %bb.0:
	.section	.rodata,"a",@progbits
	.p2align	6, 0x0
	.amdhsa_kernel _ZN7rocprim17ROCPRIM_400000_NS6detail17trampoline_kernelINS0_14default_configENS1_20scan_config_selectorIiEEZZNS1_9scan_implILNS1_25lookback_scan_determinismE0ELb0ELb0ES3_N6thrust23THRUST_200600_302600_NS6detail15normal_iteratorINS9_10device_ptrIiEEEESE_iNS9_4plusIvEEiEEDaPvRmT3_T4_T5_mT6_P12ihipStream_tbENKUlT_T0_E_clISt17integral_constantIbLb0EESU_EEDaSP_SQ_EUlSP_E_NS1_11comp_targetILNS1_3genE0ELNS1_11target_archE4294967295ELNS1_3gpuE0ELNS1_3repE0EEENS1_30default_config_static_selectorELNS0_4arch9wavefront6targetE1EEEvT1_
		.amdhsa_group_segment_fixed_size 0
		.amdhsa_private_segment_fixed_size 0
		.amdhsa_kernarg_size 96
		.amdhsa_user_sgpr_count 6
		.amdhsa_user_sgpr_private_segment_buffer 1
		.amdhsa_user_sgpr_dispatch_ptr 0
		.amdhsa_user_sgpr_queue_ptr 0
		.amdhsa_user_sgpr_kernarg_segment_ptr 1
		.amdhsa_user_sgpr_dispatch_id 0
		.amdhsa_user_sgpr_flat_scratch_init 0
		.amdhsa_user_sgpr_kernarg_preload_length 0
		.amdhsa_user_sgpr_kernarg_preload_offset 0
		.amdhsa_user_sgpr_private_segment_size 0
		.amdhsa_uses_dynamic_stack 0
		.amdhsa_system_sgpr_private_segment_wavefront_offset 0
		.amdhsa_system_sgpr_workgroup_id_x 1
		.amdhsa_system_sgpr_workgroup_id_y 0
		.amdhsa_system_sgpr_workgroup_id_z 0
		.amdhsa_system_sgpr_workgroup_info 0
		.amdhsa_system_vgpr_workitem_id 0
		.amdhsa_next_free_vgpr 1
		.amdhsa_next_free_sgpr 0
		.amdhsa_accum_offset 4
		.amdhsa_reserve_vcc 0
		.amdhsa_reserve_flat_scratch 0
		.amdhsa_float_round_mode_32 0
		.amdhsa_float_round_mode_16_64 0
		.amdhsa_float_denorm_mode_32 3
		.amdhsa_float_denorm_mode_16_64 3
		.amdhsa_dx10_clamp 1
		.amdhsa_ieee_mode 1
		.amdhsa_fp16_overflow 0
		.amdhsa_tg_split 0
		.amdhsa_exception_fp_ieee_invalid_op 0
		.amdhsa_exception_fp_denorm_src 0
		.amdhsa_exception_fp_ieee_div_zero 0
		.amdhsa_exception_fp_ieee_overflow 0
		.amdhsa_exception_fp_ieee_underflow 0
		.amdhsa_exception_fp_ieee_inexact 0
		.amdhsa_exception_int_div_zero 0
	.end_amdhsa_kernel
	.section	.text._ZN7rocprim17ROCPRIM_400000_NS6detail17trampoline_kernelINS0_14default_configENS1_20scan_config_selectorIiEEZZNS1_9scan_implILNS1_25lookback_scan_determinismE0ELb0ELb0ES3_N6thrust23THRUST_200600_302600_NS6detail15normal_iteratorINS9_10device_ptrIiEEEESE_iNS9_4plusIvEEiEEDaPvRmT3_T4_T5_mT6_P12ihipStream_tbENKUlT_T0_E_clISt17integral_constantIbLb0EESU_EEDaSP_SQ_EUlSP_E_NS1_11comp_targetILNS1_3genE0ELNS1_11target_archE4294967295ELNS1_3gpuE0ELNS1_3repE0EEENS1_30default_config_static_selectorELNS0_4arch9wavefront6targetE1EEEvT1_,"axG",@progbits,_ZN7rocprim17ROCPRIM_400000_NS6detail17trampoline_kernelINS0_14default_configENS1_20scan_config_selectorIiEEZZNS1_9scan_implILNS1_25lookback_scan_determinismE0ELb0ELb0ES3_N6thrust23THRUST_200600_302600_NS6detail15normal_iteratorINS9_10device_ptrIiEEEESE_iNS9_4plusIvEEiEEDaPvRmT3_T4_T5_mT6_P12ihipStream_tbENKUlT_T0_E_clISt17integral_constantIbLb0EESU_EEDaSP_SQ_EUlSP_E_NS1_11comp_targetILNS1_3genE0ELNS1_11target_archE4294967295ELNS1_3gpuE0ELNS1_3repE0EEENS1_30default_config_static_selectorELNS0_4arch9wavefront6targetE1EEEvT1_,comdat
.Lfunc_end1340:
	.size	_ZN7rocprim17ROCPRIM_400000_NS6detail17trampoline_kernelINS0_14default_configENS1_20scan_config_selectorIiEEZZNS1_9scan_implILNS1_25lookback_scan_determinismE0ELb0ELb0ES3_N6thrust23THRUST_200600_302600_NS6detail15normal_iteratorINS9_10device_ptrIiEEEESE_iNS9_4plusIvEEiEEDaPvRmT3_T4_T5_mT6_P12ihipStream_tbENKUlT_T0_E_clISt17integral_constantIbLb0EESU_EEDaSP_SQ_EUlSP_E_NS1_11comp_targetILNS1_3genE0ELNS1_11target_archE4294967295ELNS1_3gpuE0ELNS1_3repE0EEENS1_30default_config_static_selectorELNS0_4arch9wavefront6targetE1EEEvT1_, .Lfunc_end1340-_ZN7rocprim17ROCPRIM_400000_NS6detail17trampoline_kernelINS0_14default_configENS1_20scan_config_selectorIiEEZZNS1_9scan_implILNS1_25lookback_scan_determinismE0ELb0ELb0ES3_N6thrust23THRUST_200600_302600_NS6detail15normal_iteratorINS9_10device_ptrIiEEEESE_iNS9_4plusIvEEiEEDaPvRmT3_T4_T5_mT6_P12ihipStream_tbENKUlT_T0_E_clISt17integral_constantIbLb0EESU_EEDaSP_SQ_EUlSP_E_NS1_11comp_targetILNS1_3genE0ELNS1_11target_archE4294967295ELNS1_3gpuE0ELNS1_3repE0EEENS1_30default_config_static_selectorELNS0_4arch9wavefront6targetE1EEEvT1_
                                        ; -- End function
	.section	.AMDGPU.csdata,"",@progbits
; Kernel info:
; codeLenInByte = 0
; NumSgprs: 4
; NumVgprs: 0
; NumAgprs: 0
; TotalNumVgprs: 0
; ScratchSize: 0
; MemoryBound: 0
; FloatMode: 240
; IeeeMode: 1
; LDSByteSize: 0 bytes/workgroup (compile time only)
; SGPRBlocks: 0
; VGPRBlocks: 0
; NumSGPRsForWavesPerEU: 4
; NumVGPRsForWavesPerEU: 1
; AccumOffset: 4
; Occupancy: 8
; WaveLimiterHint : 0
; COMPUTE_PGM_RSRC2:SCRATCH_EN: 0
; COMPUTE_PGM_RSRC2:USER_SGPR: 6
; COMPUTE_PGM_RSRC2:TRAP_HANDLER: 0
; COMPUTE_PGM_RSRC2:TGID_X_EN: 1
; COMPUTE_PGM_RSRC2:TGID_Y_EN: 0
; COMPUTE_PGM_RSRC2:TGID_Z_EN: 0
; COMPUTE_PGM_RSRC2:TIDIG_COMP_CNT: 0
; COMPUTE_PGM_RSRC3_GFX90A:ACCUM_OFFSET: 0
; COMPUTE_PGM_RSRC3_GFX90A:TG_SPLIT: 0
	.section	.text._ZN7rocprim17ROCPRIM_400000_NS6detail17trampoline_kernelINS0_14default_configENS1_20scan_config_selectorIiEEZZNS1_9scan_implILNS1_25lookback_scan_determinismE0ELb0ELb0ES3_N6thrust23THRUST_200600_302600_NS6detail15normal_iteratorINS9_10device_ptrIiEEEESE_iNS9_4plusIvEEiEEDaPvRmT3_T4_T5_mT6_P12ihipStream_tbENKUlT_T0_E_clISt17integral_constantIbLb0EESU_EEDaSP_SQ_EUlSP_E_NS1_11comp_targetILNS1_3genE5ELNS1_11target_archE942ELNS1_3gpuE9ELNS1_3repE0EEENS1_30default_config_static_selectorELNS0_4arch9wavefront6targetE1EEEvT1_,"axG",@progbits,_ZN7rocprim17ROCPRIM_400000_NS6detail17trampoline_kernelINS0_14default_configENS1_20scan_config_selectorIiEEZZNS1_9scan_implILNS1_25lookback_scan_determinismE0ELb0ELb0ES3_N6thrust23THRUST_200600_302600_NS6detail15normal_iteratorINS9_10device_ptrIiEEEESE_iNS9_4plusIvEEiEEDaPvRmT3_T4_T5_mT6_P12ihipStream_tbENKUlT_T0_E_clISt17integral_constantIbLb0EESU_EEDaSP_SQ_EUlSP_E_NS1_11comp_targetILNS1_3genE5ELNS1_11target_archE942ELNS1_3gpuE9ELNS1_3repE0EEENS1_30default_config_static_selectorELNS0_4arch9wavefront6targetE1EEEvT1_,comdat
	.protected	_ZN7rocprim17ROCPRIM_400000_NS6detail17trampoline_kernelINS0_14default_configENS1_20scan_config_selectorIiEEZZNS1_9scan_implILNS1_25lookback_scan_determinismE0ELb0ELb0ES3_N6thrust23THRUST_200600_302600_NS6detail15normal_iteratorINS9_10device_ptrIiEEEESE_iNS9_4plusIvEEiEEDaPvRmT3_T4_T5_mT6_P12ihipStream_tbENKUlT_T0_E_clISt17integral_constantIbLb0EESU_EEDaSP_SQ_EUlSP_E_NS1_11comp_targetILNS1_3genE5ELNS1_11target_archE942ELNS1_3gpuE9ELNS1_3repE0EEENS1_30default_config_static_selectorELNS0_4arch9wavefront6targetE1EEEvT1_ ; -- Begin function _ZN7rocprim17ROCPRIM_400000_NS6detail17trampoline_kernelINS0_14default_configENS1_20scan_config_selectorIiEEZZNS1_9scan_implILNS1_25lookback_scan_determinismE0ELb0ELb0ES3_N6thrust23THRUST_200600_302600_NS6detail15normal_iteratorINS9_10device_ptrIiEEEESE_iNS9_4plusIvEEiEEDaPvRmT3_T4_T5_mT6_P12ihipStream_tbENKUlT_T0_E_clISt17integral_constantIbLb0EESU_EEDaSP_SQ_EUlSP_E_NS1_11comp_targetILNS1_3genE5ELNS1_11target_archE942ELNS1_3gpuE9ELNS1_3repE0EEENS1_30default_config_static_selectorELNS0_4arch9wavefront6targetE1EEEvT1_
	.globl	_ZN7rocprim17ROCPRIM_400000_NS6detail17trampoline_kernelINS0_14default_configENS1_20scan_config_selectorIiEEZZNS1_9scan_implILNS1_25lookback_scan_determinismE0ELb0ELb0ES3_N6thrust23THRUST_200600_302600_NS6detail15normal_iteratorINS9_10device_ptrIiEEEESE_iNS9_4plusIvEEiEEDaPvRmT3_T4_T5_mT6_P12ihipStream_tbENKUlT_T0_E_clISt17integral_constantIbLb0EESU_EEDaSP_SQ_EUlSP_E_NS1_11comp_targetILNS1_3genE5ELNS1_11target_archE942ELNS1_3gpuE9ELNS1_3repE0EEENS1_30default_config_static_selectorELNS0_4arch9wavefront6targetE1EEEvT1_
	.p2align	8
	.type	_ZN7rocprim17ROCPRIM_400000_NS6detail17trampoline_kernelINS0_14default_configENS1_20scan_config_selectorIiEEZZNS1_9scan_implILNS1_25lookback_scan_determinismE0ELb0ELb0ES3_N6thrust23THRUST_200600_302600_NS6detail15normal_iteratorINS9_10device_ptrIiEEEESE_iNS9_4plusIvEEiEEDaPvRmT3_T4_T5_mT6_P12ihipStream_tbENKUlT_T0_E_clISt17integral_constantIbLb0EESU_EEDaSP_SQ_EUlSP_E_NS1_11comp_targetILNS1_3genE5ELNS1_11target_archE942ELNS1_3gpuE9ELNS1_3repE0EEENS1_30default_config_static_selectorELNS0_4arch9wavefront6targetE1EEEvT1_,@function
_ZN7rocprim17ROCPRIM_400000_NS6detail17trampoline_kernelINS0_14default_configENS1_20scan_config_selectorIiEEZZNS1_9scan_implILNS1_25lookback_scan_determinismE0ELb0ELb0ES3_N6thrust23THRUST_200600_302600_NS6detail15normal_iteratorINS9_10device_ptrIiEEEESE_iNS9_4plusIvEEiEEDaPvRmT3_T4_T5_mT6_P12ihipStream_tbENKUlT_T0_E_clISt17integral_constantIbLb0EESU_EEDaSP_SQ_EUlSP_E_NS1_11comp_targetILNS1_3genE5ELNS1_11target_archE942ELNS1_3gpuE9ELNS1_3repE0EEENS1_30default_config_static_selectorELNS0_4arch9wavefront6targetE1EEEvT1_: ; @_ZN7rocprim17ROCPRIM_400000_NS6detail17trampoline_kernelINS0_14default_configENS1_20scan_config_selectorIiEEZZNS1_9scan_implILNS1_25lookback_scan_determinismE0ELb0ELb0ES3_N6thrust23THRUST_200600_302600_NS6detail15normal_iteratorINS9_10device_ptrIiEEEESE_iNS9_4plusIvEEiEEDaPvRmT3_T4_T5_mT6_P12ihipStream_tbENKUlT_T0_E_clISt17integral_constantIbLb0EESU_EEDaSP_SQ_EUlSP_E_NS1_11comp_targetILNS1_3genE5ELNS1_11target_archE942ELNS1_3gpuE9ELNS1_3repE0EEENS1_30default_config_static_selectorELNS0_4arch9wavefront6targetE1EEEvT1_
; %bb.0:
	.section	.rodata,"a",@progbits
	.p2align	6, 0x0
	.amdhsa_kernel _ZN7rocprim17ROCPRIM_400000_NS6detail17trampoline_kernelINS0_14default_configENS1_20scan_config_selectorIiEEZZNS1_9scan_implILNS1_25lookback_scan_determinismE0ELb0ELb0ES3_N6thrust23THRUST_200600_302600_NS6detail15normal_iteratorINS9_10device_ptrIiEEEESE_iNS9_4plusIvEEiEEDaPvRmT3_T4_T5_mT6_P12ihipStream_tbENKUlT_T0_E_clISt17integral_constantIbLb0EESU_EEDaSP_SQ_EUlSP_E_NS1_11comp_targetILNS1_3genE5ELNS1_11target_archE942ELNS1_3gpuE9ELNS1_3repE0EEENS1_30default_config_static_selectorELNS0_4arch9wavefront6targetE1EEEvT1_
		.amdhsa_group_segment_fixed_size 0
		.amdhsa_private_segment_fixed_size 0
		.amdhsa_kernarg_size 96
		.amdhsa_user_sgpr_count 6
		.amdhsa_user_sgpr_private_segment_buffer 1
		.amdhsa_user_sgpr_dispatch_ptr 0
		.amdhsa_user_sgpr_queue_ptr 0
		.amdhsa_user_sgpr_kernarg_segment_ptr 1
		.amdhsa_user_sgpr_dispatch_id 0
		.amdhsa_user_sgpr_flat_scratch_init 0
		.amdhsa_user_sgpr_kernarg_preload_length 0
		.amdhsa_user_sgpr_kernarg_preload_offset 0
		.amdhsa_user_sgpr_private_segment_size 0
		.amdhsa_uses_dynamic_stack 0
		.amdhsa_system_sgpr_private_segment_wavefront_offset 0
		.amdhsa_system_sgpr_workgroup_id_x 1
		.amdhsa_system_sgpr_workgroup_id_y 0
		.amdhsa_system_sgpr_workgroup_id_z 0
		.amdhsa_system_sgpr_workgroup_info 0
		.amdhsa_system_vgpr_workitem_id 0
		.amdhsa_next_free_vgpr 1
		.amdhsa_next_free_sgpr 0
		.amdhsa_accum_offset 4
		.amdhsa_reserve_vcc 0
		.amdhsa_reserve_flat_scratch 0
		.amdhsa_float_round_mode_32 0
		.amdhsa_float_round_mode_16_64 0
		.amdhsa_float_denorm_mode_32 3
		.amdhsa_float_denorm_mode_16_64 3
		.amdhsa_dx10_clamp 1
		.amdhsa_ieee_mode 1
		.amdhsa_fp16_overflow 0
		.amdhsa_tg_split 0
		.amdhsa_exception_fp_ieee_invalid_op 0
		.amdhsa_exception_fp_denorm_src 0
		.amdhsa_exception_fp_ieee_div_zero 0
		.amdhsa_exception_fp_ieee_overflow 0
		.amdhsa_exception_fp_ieee_underflow 0
		.amdhsa_exception_fp_ieee_inexact 0
		.amdhsa_exception_int_div_zero 0
	.end_amdhsa_kernel
	.section	.text._ZN7rocprim17ROCPRIM_400000_NS6detail17trampoline_kernelINS0_14default_configENS1_20scan_config_selectorIiEEZZNS1_9scan_implILNS1_25lookback_scan_determinismE0ELb0ELb0ES3_N6thrust23THRUST_200600_302600_NS6detail15normal_iteratorINS9_10device_ptrIiEEEESE_iNS9_4plusIvEEiEEDaPvRmT3_T4_T5_mT6_P12ihipStream_tbENKUlT_T0_E_clISt17integral_constantIbLb0EESU_EEDaSP_SQ_EUlSP_E_NS1_11comp_targetILNS1_3genE5ELNS1_11target_archE942ELNS1_3gpuE9ELNS1_3repE0EEENS1_30default_config_static_selectorELNS0_4arch9wavefront6targetE1EEEvT1_,"axG",@progbits,_ZN7rocprim17ROCPRIM_400000_NS6detail17trampoline_kernelINS0_14default_configENS1_20scan_config_selectorIiEEZZNS1_9scan_implILNS1_25lookback_scan_determinismE0ELb0ELb0ES3_N6thrust23THRUST_200600_302600_NS6detail15normal_iteratorINS9_10device_ptrIiEEEESE_iNS9_4plusIvEEiEEDaPvRmT3_T4_T5_mT6_P12ihipStream_tbENKUlT_T0_E_clISt17integral_constantIbLb0EESU_EEDaSP_SQ_EUlSP_E_NS1_11comp_targetILNS1_3genE5ELNS1_11target_archE942ELNS1_3gpuE9ELNS1_3repE0EEENS1_30default_config_static_selectorELNS0_4arch9wavefront6targetE1EEEvT1_,comdat
.Lfunc_end1341:
	.size	_ZN7rocprim17ROCPRIM_400000_NS6detail17trampoline_kernelINS0_14default_configENS1_20scan_config_selectorIiEEZZNS1_9scan_implILNS1_25lookback_scan_determinismE0ELb0ELb0ES3_N6thrust23THRUST_200600_302600_NS6detail15normal_iteratorINS9_10device_ptrIiEEEESE_iNS9_4plusIvEEiEEDaPvRmT3_T4_T5_mT6_P12ihipStream_tbENKUlT_T0_E_clISt17integral_constantIbLb0EESU_EEDaSP_SQ_EUlSP_E_NS1_11comp_targetILNS1_3genE5ELNS1_11target_archE942ELNS1_3gpuE9ELNS1_3repE0EEENS1_30default_config_static_selectorELNS0_4arch9wavefront6targetE1EEEvT1_, .Lfunc_end1341-_ZN7rocprim17ROCPRIM_400000_NS6detail17trampoline_kernelINS0_14default_configENS1_20scan_config_selectorIiEEZZNS1_9scan_implILNS1_25lookback_scan_determinismE0ELb0ELb0ES3_N6thrust23THRUST_200600_302600_NS6detail15normal_iteratorINS9_10device_ptrIiEEEESE_iNS9_4plusIvEEiEEDaPvRmT3_T4_T5_mT6_P12ihipStream_tbENKUlT_T0_E_clISt17integral_constantIbLb0EESU_EEDaSP_SQ_EUlSP_E_NS1_11comp_targetILNS1_3genE5ELNS1_11target_archE942ELNS1_3gpuE9ELNS1_3repE0EEENS1_30default_config_static_selectorELNS0_4arch9wavefront6targetE1EEEvT1_
                                        ; -- End function
	.section	.AMDGPU.csdata,"",@progbits
; Kernel info:
; codeLenInByte = 0
; NumSgprs: 4
; NumVgprs: 0
; NumAgprs: 0
; TotalNumVgprs: 0
; ScratchSize: 0
; MemoryBound: 0
; FloatMode: 240
; IeeeMode: 1
; LDSByteSize: 0 bytes/workgroup (compile time only)
; SGPRBlocks: 0
; VGPRBlocks: 0
; NumSGPRsForWavesPerEU: 4
; NumVGPRsForWavesPerEU: 1
; AccumOffset: 4
; Occupancy: 8
; WaveLimiterHint : 0
; COMPUTE_PGM_RSRC2:SCRATCH_EN: 0
; COMPUTE_PGM_RSRC2:USER_SGPR: 6
; COMPUTE_PGM_RSRC2:TRAP_HANDLER: 0
; COMPUTE_PGM_RSRC2:TGID_X_EN: 1
; COMPUTE_PGM_RSRC2:TGID_Y_EN: 0
; COMPUTE_PGM_RSRC2:TGID_Z_EN: 0
; COMPUTE_PGM_RSRC2:TIDIG_COMP_CNT: 0
; COMPUTE_PGM_RSRC3_GFX90A:ACCUM_OFFSET: 0
; COMPUTE_PGM_RSRC3_GFX90A:TG_SPLIT: 0
	.section	.text._ZN7rocprim17ROCPRIM_400000_NS6detail17trampoline_kernelINS0_14default_configENS1_20scan_config_selectorIiEEZZNS1_9scan_implILNS1_25lookback_scan_determinismE0ELb0ELb0ES3_N6thrust23THRUST_200600_302600_NS6detail15normal_iteratorINS9_10device_ptrIiEEEESE_iNS9_4plusIvEEiEEDaPvRmT3_T4_T5_mT6_P12ihipStream_tbENKUlT_T0_E_clISt17integral_constantIbLb0EESU_EEDaSP_SQ_EUlSP_E_NS1_11comp_targetILNS1_3genE4ELNS1_11target_archE910ELNS1_3gpuE8ELNS1_3repE0EEENS1_30default_config_static_selectorELNS0_4arch9wavefront6targetE1EEEvT1_,"axG",@progbits,_ZN7rocprim17ROCPRIM_400000_NS6detail17trampoline_kernelINS0_14default_configENS1_20scan_config_selectorIiEEZZNS1_9scan_implILNS1_25lookback_scan_determinismE0ELb0ELb0ES3_N6thrust23THRUST_200600_302600_NS6detail15normal_iteratorINS9_10device_ptrIiEEEESE_iNS9_4plusIvEEiEEDaPvRmT3_T4_T5_mT6_P12ihipStream_tbENKUlT_T0_E_clISt17integral_constantIbLb0EESU_EEDaSP_SQ_EUlSP_E_NS1_11comp_targetILNS1_3genE4ELNS1_11target_archE910ELNS1_3gpuE8ELNS1_3repE0EEENS1_30default_config_static_selectorELNS0_4arch9wavefront6targetE1EEEvT1_,comdat
	.protected	_ZN7rocprim17ROCPRIM_400000_NS6detail17trampoline_kernelINS0_14default_configENS1_20scan_config_selectorIiEEZZNS1_9scan_implILNS1_25lookback_scan_determinismE0ELb0ELb0ES3_N6thrust23THRUST_200600_302600_NS6detail15normal_iteratorINS9_10device_ptrIiEEEESE_iNS9_4plusIvEEiEEDaPvRmT3_T4_T5_mT6_P12ihipStream_tbENKUlT_T0_E_clISt17integral_constantIbLb0EESU_EEDaSP_SQ_EUlSP_E_NS1_11comp_targetILNS1_3genE4ELNS1_11target_archE910ELNS1_3gpuE8ELNS1_3repE0EEENS1_30default_config_static_selectorELNS0_4arch9wavefront6targetE1EEEvT1_ ; -- Begin function _ZN7rocprim17ROCPRIM_400000_NS6detail17trampoline_kernelINS0_14default_configENS1_20scan_config_selectorIiEEZZNS1_9scan_implILNS1_25lookback_scan_determinismE0ELb0ELb0ES3_N6thrust23THRUST_200600_302600_NS6detail15normal_iteratorINS9_10device_ptrIiEEEESE_iNS9_4plusIvEEiEEDaPvRmT3_T4_T5_mT6_P12ihipStream_tbENKUlT_T0_E_clISt17integral_constantIbLb0EESU_EEDaSP_SQ_EUlSP_E_NS1_11comp_targetILNS1_3genE4ELNS1_11target_archE910ELNS1_3gpuE8ELNS1_3repE0EEENS1_30default_config_static_selectorELNS0_4arch9wavefront6targetE1EEEvT1_
	.globl	_ZN7rocprim17ROCPRIM_400000_NS6detail17trampoline_kernelINS0_14default_configENS1_20scan_config_selectorIiEEZZNS1_9scan_implILNS1_25lookback_scan_determinismE0ELb0ELb0ES3_N6thrust23THRUST_200600_302600_NS6detail15normal_iteratorINS9_10device_ptrIiEEEESE_iNS9_4plusIvEEiEEDaPvRmT3_T4_T5_mT6_P12ihipStream_tbENKUlT_T0_E_clISt17integral_constantIbLb0EESU_EEDaSP_SQ_EUlSP_E_NS1_11comp_targetILNS1_3genE4ELNS1_11target_archE910ELNS1_3gpuE8ELNS1_3repE0EEENS1_30default_config_static_selectorELNS0_4arch9wavefront6targetE1EEEvT1_
	.p2align	8
	.type	_ZN7rocprim17ROCPRIM_400000_NS6detail17trampoline_kernelINS0_14default_configENS1_20scan_config_selectorIiEEZZNS1_9scan_implILNS1_25lookback_scan_determinismE0ELb0ELb0ES3_N6thrust23THRUST_200600_302600_NS6detail15normal_iteratorINS9_10device_ptrIiEEEESE_iNS9_4plusIvEEiEEDaPvRmT3_T4_T5_mT6_P12ihipStream_tbENKUlT_T0_E_clISt17integral_constantIbLb0EESU_EEDaSP_SQ_EUlSP_E_NS1_11comp_targetILNS1_3genE4ELNS1_11target_archE910ELNS1_3gpuE8ELNS1_3repE0EEENS1_30default_config_static_selectorELNS0_4arch9wavefront6targetE1EEEvT1_,@function
_ZN7rocprim17ROCPRIM_400000_NS6detail17trampoline_kernelINS0_14default_configENS1_20scan_config_selectorIiEEZZNS1_9scan_implILNS1_25lookback_scan_determinismE0ELb0ELb0ES3_N6thrust23THRUST_200600_302600_NS6detail15normal_iteratorINS9_10device_ptrIiEEEESE_iNS9_4plusIvEEiEEDaPvRmT3_T4_T5_mT6_P12ihipStream_tbENKUlT_T0_E_clISt17integral_constantIbLb0EESU_EEDaSP_SQ_EUlSP_E_NS1_11comp_targetILNS1_3genE4ELNS1_11target_archE910ELNS1_3gpuE8ELNS1_3repE0EEENS1_30default_config_static_selectorELNS0_4arch9wavefront6targetE1EEEvT1_: ; @_ZN7rocprim17ROCPRIM_400000_NS6detail17trampoline_kernelINS0_14default_configENS1_20scan_config_selectorIiEEZZNS1_9scan_implILNS1_25lookback_scan_determinismE0ELb0ELb0ES3_N6thrust23THRUST_200600_302600_NS6detail15normal_iteratorINS9_10device_ptrIiEEEESE_iNS9_4plusIvEEiEEDaPvRmT3_T4_T5_mT6_P12ihipStream_tbENKUlT_T0_E_clISt17integral_constantIbLb0EESU_EEDaSP_SQ_EUlSP_E_NS1_11comp_targetILNS1_3genE4ELNS1_11target_archE910ELNS1_3gpuE8ELNS1_3repE0EEENS1_30default_config_static_selectorELNS0_4arch9wavefront6targetE1EEEvT1_
; %bb.0:
	s_load_dwordx8 s[8:15], s[4:5], 0x0
	s_load_dword s1, s[4:5], 0x30
	s_mul_i32 s0, s6, 0x500
	v_lshlrev_b32_e32 v22, 2, v0
	s_waitcnt lgkmcnt(0)
	s_lshl_b64 s[16:17], s[10:11], 2
	s_add_u32 s2, s8, s16
	s_addc_u32 s3, s9, s17
	s_add_i32 s7, s1, -1
	s_mul_i32 s8, s7, 0x500
	s_sub_u32 s24, s14, s8
	s_subb_u32 s25, s15, 0
	s_mov_b32 s1, 0
	s_cmp_lg_u32 s6, s7
	s_cselect_b64 s[14:15], -1, 0
	s_lshl_b64 s[18:19], s[0:1], 2
	s_add_u32 s2, s2, s18
	s_addc_u32 s3, s3, s19
	s_mov_b64 s[0:1], -1
	s_and_b64 vcc, exec, s[14:15]
	s_cbranch_vccz .LBB1342_2
; %bb.1:
	v_mov_b32_e32 v1, s3
	v_add_co_u32_e32 v2, vcc, s2, v22
	v_addc_co_u32_e32 v3, vcc, 0, v1, vcc
	flat_load_dword v1, v[2:3]
	flat_load_dword v4, v[2:3] offset:512
	flat_load_dword v5, v[2:3] offset:1024
	flat_load_dword v6, v[2:3] offset:1536
	flat_load_dword v7, v[2:3] offset:2048
	flat_load_dword v8, v[2:3] offset:2560
	flat_load_dword v9, v[2:3] offset:3072
	flat_load_dword v10, v[2:3] offset:3584
	v_add_co_u32_e32 v2, vcc, 0x1000, v2
	v_addc_co_u32_e32 v3, vcc, 0, v3, vcc
	flat_load_dword v11, v[2:3]
	flat_load_dword v12, v[2:3] offset:512
	s_mov_b64 s[0:1], 0
	s_waitcnt vmcnt(0) lgkmcnt(0)
	ds_write2st64_b32 v22, v1, v4 offset1:2
	ds_write2st64_b32 v22, v5, v6 offset0:4 offset1:6
	ds_write2st64_b32 v22, v7, v8 offset0:8 offset1:10
	;; [unrolled: 1-line block ×4, first 2 shown]
	s_waitcnt lgkmcnt(0)
	s_barrier
.LBB1342_2:
	s_load_dwordx2 s[20:21], s[4:5], 0x28
	s_andn2_b64 vcc, exec, s[0:1]
	v_cmp_gt_u32_e64 s[0:1], s24, v0
	s_cbranch_vccnz .LBB1342_24
; %bb.3:
	v_pk_mov_b32 v[2:3], s[2:3], s[2:3] op_sel:[0,1]
	flat_load_dword v1, v[2:3]
	s_waitcnt vmcnt(0) lgkmcnt(0)
	v_mov_b32_e32 v2, v1
	v_mov_b32_e32 v3, v1
	;; [unrolled: 1-line block ×9, first 2 shown]
	s_and_saveexec_b64 s[8:9], s[0:1]
	s_cbranch_execz .LBB1342_5
; %bb.4:
	v_mov_b32_e32 v11, s3
	v_add_co_u32_e32 v10, vcc, s2, v22
	v_addc_co_u32_e32 v11, vcc, 0, v11, vcc
	flat_load_dword v10, v[10:11]
.LBB1342_5:
	s_or_b64 exec, exec, s[8:9]
	v_or_b32_e32 v11, 0x80, v0
	v_cmp_gt_u32_e32 vcc, s24, v11
	s_and_saveexec_b64 s[0:1], vcc
	s_cbranch_execz .LBB1342_7
; %bb.6:
	v_mov_b32_e32 v1, s3
	v_add_co_u32_e32 v12, vcc, s2, v22
	v_addc_co_u32_e32 v13, vcc, 0, v1, vcc
	flat_load_dword v1, v[12:13] offset:512
.LBB1342_7:
	s_or_b64 exec, exec, s[0:1]
	v_or_b32_e32 v11, 0x100, v0
	v_cmp_gt_u32_e32 vcc, s24, v11
	s_and_saveexec_b64 s[0:1], vcc
	s_cbranch_execz .LBB1342_9
; %bb.8:
	v_mov_b32_e32 v2, s3
	v_add_co_u32_e32 v12, vcc, s2, v22
	v_addc_co_u32_e32 v13, vcc, 0, v2, vcc
	flat_load_dword v2, v[12:13] offset:1024
.LBB1342_9:
	s_or_b64 exec, exec, s[0:1]
	v_or_b32_e32 v11, 0x180, v0
	v_cmp_gt_u32_e32 vcc, s24, v11
	s_and_saveexec_b64 s[0:1], vcc
	s_cbranch_execz .LBB1342_11
; %bb.10:
	v_mov_b32_e32 v3, s3
	v_add_co_u32_e32 v12, vcc, s2, v22
	v_addc_co_u32_e32 v13, vcc, 0, v3, vcc
	flat_load_dword v3, v[12:13] offset:1536
.LBB1342_11:
	s_or_b64 exec, exec, s[0:1]
	v_or_b32_e32 v11, 0x200, v0
	v_cmp_gt_u32_e32 vcc, s24, v11
	s_and_saveexec_b64 s[0:1], vcc
	s_cbranch_execz .LBB1342_13
; %bb.12:
	v_mov_b32_e32 v4, s3
	v_add_co_u32_e32 v12, vcc, s2, v22
	v_addc_co_u32_e32 v13, vcc, 0, v4, vcc
	flat_load_dword v4, v[12:13] offset:2048
.LBB1342_13:
	s_or_b64 exec, exec, s[0:1]
	v_or_b32_e32 v11, 0x280, v0
	v_cmp_gt_u32_e32 vcc, s24, v11
	s_and_saveexec_b64 s[0:1], vcc
	s_cbranch_execz .LBB1342_15
; %bb.14:
	v_mov_b32_e32 v5, s3
	v_add_co_u32_e32 v12, vcc, s2, v22
	v_addc_co_u32_e32 v13, vcc, 0, v5, vcc
	flat_load_dword v5, v[12:13] offset:2560
.LBB1342_15:
	s_or_b64 exec, exec, s[0:1]
	v_or_b32_e32 v11, 0x300, v0
	v_cmp_gt_u32_e32 vcc, s24, v11
	s_and_saveexec_b64 s[0:1], vcc
	s_cbranch_execz .LBB1342_17
; %bb.16:
	v_mov_b32_e32 v6, s3
	v_add_co_u32_e32 v12, vcc, s2, v22
	v_addc_co_u32_e32 v13, vcc, 0, v6, vcc
	flat_load_dword v6, v[12:13] offset:3072
.LBB1342_17:
	s_or_b64 exec, exec, s[0:1]
	v_or_b32_e32 v11, 0x380, v0
	v_cmp_gt_u32_e32 vcc, s24, v11
	s_and_saveexec_b64 s[0:1], vcc
	s_cbranch_execz .LBB1342_19
; %bb.18:
	v_mov_b32_e32 v7, s3
	v_add_co_u32_e32 v12, vcc, s2, v22
	v_addc_co_u32_e32 v13, vcc, 0, v7, vcc
	flat_load_dword v7, v[12:13] offset:3584
.LBB1342_19:
	s_or_b64 exec, exec, s[0:1]
	v_or_b32_e32 v11, 0x400, v0
	v_cmp_gt_u32_e32 vcc, s24, v11
	s_and_saveexec_b64 s[0:1], vcc
	s_cbranch_execz .LBB1342_21
; %bb.20:
	v_lshlrev_b32_e32 v8, 2, v11
	v_mov_b32_e32 v11, s3
	v_add_co_u32_e32 v12, vcc, s2, v8
	v_addc_co_u32_e32 v13, vcc, 0, v11, vcc
	flat_load_dword v8, v[12:13]
.LBB1342_21:
	s_or_b64 exec, exec, s[0:1]
	v_or_b32_e32 v11, 0x480, v0
	v_cmp_gt_u32_e32 vcc, s24, v11
	s_and_saveexec_b64 s[0:1], vcc
	s_cbranch_execz .LBB1342_23
; %bb.22:
	v_lshlrev_b32_e32 v9, 2, v11
	v_mov_b32_e32 v11, s3
	v_add_co_u32_e32 v12, vcc, s2, v9
	v_addc_co_u32_e32 v13, vcc, 0, v11, vcc
	flat_load_dword v9, v[12:13]
.LBB1342_23:
	s_or_b64 exec, exec, s[0:1]
	s_waitcnt vmcnt(0) lgkmcnt(0)
	ds_write2st64_b32 v22, v10, v1 offset1:2
	ds_write2st64_b32 v22, v2, v3 offset0:4 offset1:6
	ds_write2st64_b32 v22, v4, v5 offset0:8 offset1:10
	;; [unrolled: 1-line block ×4, first 2 shown]
	s_waitcnt lgkmcnt(0)
	s_barrier
.LBB1342_24:
	v_mul_u32_u24_e32 v23, 10, v0
	v_lshlrev_b32_e32 v1, 2, v23
	s_waitcnt lgkmcnt(0)
	ds_read2_b64 v[2:5], v1 offset1:1
	ds_read2_b64 v[16:19], v1 offset0:2 offset1:3
	ds_read_b64 v[20:21], v1 offset:32
	s_cmp_lg_u32 s6, 0
	v_lshrrev_b32_e32 v24, 5, v0
	v_cmp_gt_u32_e32 vcc, 64, v0
	s_waitcnt lgkmcnt(0)
	s_barrier
	s_cbranch_scc0 .LBB1342_49
; %bb.25:
	v_add_u32_e32 v6, v3, v2
	v_add3_u32 v6, v6, v4, v5
	v_add3_u32 v6, v6, v16, v17
	;; [unrolled: 1-line block ×4, first 2 shown]
	v_add_lshl_u32 v7, v24, v0, 2
	ds_write_b32 v7, v6
	s_waitcnt lgkmcnt(0)
	s_barrier
	s_and_saveexec_b64 s[2:3], vcc
	s_cbranch_execz .LBB1342_27
; %bb.26:
	v_lshlrev_b32_e32 v7, 1, v0
	v_lshrrev_b32_e32 v8, 4, v0
	v_add_lshl_u32 v7, v8, v7, 2
	ds_read2_b32 v[8:9], v7 offset1:1
	v_mbcnt_lo_u32_b32 v10, -1, 0
	v_mbcnt_hi_u32_b32 v10, -1, v10
	v_and_b32_e32 v11, 15, v10
	v_cmp_ne_u32_e64 s[0:1], 0, v11
	s_waitcnt lgkmcnt(0)
	v_add_u32_e32 v9, v9, v8
	; wave barrier
	s_nop 1
	v_mov_b32_dpp v12, v9 row_shr:1 row_mask:0xf bank_mask:0xf
	v_cndmask_b32_e64 v12, 0, v12, s[0:1]
	v_add_u32_e32 v9, v12, v9
	v_cmp_lt_u32_e64 s[0:1], 1, v11
	s_nop 0
	v_mov_b32_dpp v12, v9 row_shr:2 row_mask:0xf bank_mask:0xf
	v_cndmask_b32_e64 v12, 0, v12, s[0:1]
	v_add_u32_e32 v9, v9, v12
	v_cmp_lt_u32_e64 s[0:1], 3, v11
	;; [unrolled: 5-line block ×3, first 2 shown]
	s_nop 0
	v_mov_b32_dpp v12, v9 row_shr:8 row_mask:0xf bank_mask:0xf
	v_cndmask_b32_e64 v11, 0, v12, s[0:1]
	v_add_u32_e32 v9, v9, v11
	v_bfe_i32 v12, v10, 4, 1
	v_cmp_lt_u32_e64 s[0:1], 31, v10
	v_mov_b32_dpp v11, v9 row_bcast:15 row_mask:0xf bank_mask:0xf
	v_and_b32_e32 v11, v12, v11
	v_add_u32_e32 v9, v9, v11
	v_and_b32_e32 v12, 64, v10
	s_nop 0
	v_mov_b32_dpp v11, v9 row_bcast:31 row_mask:0xf bank_mask:0xf
	v_cndmask_b32_e64 v11, 0, v11, s[0:1]
	v_add_u32_e32 v9, v9, v11
	v_add_u32_e32 v11, -1, v10
	v_cmp_lt_i32_e64 s[0:1], v11, v12
	v_cndmask_b32_e64 v10, v11, v10, s[0:1]
	v_lshlrev_b32_e32 v10, 2, v10
	ds_bpermute_b32 v9, v10, v9
	v_cmp_eq_u32_e64 s[0:1], 0, v0
	s_waitcnt lgkmcnt(0)
	v_add_u32_e32 v8, v9, v8
	v_cndmask_b32_e64 v6, v8, v6, s[0:1]
	ds_write_b32 v7, v6
	; wave barrier
	ds_read_b32 v8, v7 offset:4
	s_waitcnt lgkmcnt(0)
	v_add_u32_e32 v6, v8, v6
	ds_write_b32 v7, v6 offset:4
.LBB1342_27:
	s_or_b64 exec, exec, s[2:3]
	v_cmp_eq_u32_e64 s[0:1], 0, v0
	v_cmp_ne_u32_e64 s[2:3], 0, v0
	v_mov_b32_e32 v25, 0
	s_waitcnt lgkmcnt(0)
	s_barrier
	s_and_saveexec_b64 s[8:9], s[2:3]
	s_cbranch_execz .LBB1342_29
; %bb.28:
	v_add_u32_e32 v6, -1, v0
	v_lshrrev_b32_e32 v7, 5, v6
	v_add_lshl_u32 v6, v7, v6, 2
	ds_read_b32 v25, v6
.LBB1342_29:
	s_or_b64 exec, exec, s[8:9]
	s_and_saveexec_b64 s[8:9], vcc
	s_cbranch_execz .LBB1342_48
; %bb.30:
	v_mov_b32_e32 v13, 0
	ds_read_b32 v6, v13 offset:520
	v_mbcnt_lo_u32_b32 v7, -1, 0
	v_mbcnt_hi_u32_b32 v9, -1, v7
	s_mov_b32 s23, 0
	v_cmp_eq_u32_e64 s[2:3], 0, v9
	s_and_saveexec_b64 s[10:11], s[2:3]
	s_cbranch_execz .LBB1342_32
; %bb.31:
	s_add_i32 s22, s6, 64
	s_lshl_b64 s[22:23], s[22:23], 3
	s_add_u32 s22, s20, s22
	v_mov_b32_e32 v7, 1
	s_addc_u32 s23, s21, s23
	s_waitcnt lgkmcnt(0)
	global_store_dwordx2 v13, v[6:7], s[22:23]
.LBB1342_32:
	s_or_b64 exec, exec, s[10:11]
	v_xad_u32 v8, v9, -1, s6
	v_add_u32_e32 v12, 64, v8
	v_lshlrev_b64 v[10:11], 3, v[12:13]
	v_mov_b32_e32 v7, s21
	v_add_co_u32_e32 v14, vcc, s20, v10
	v_addc_co_u32_e32 v15, vcc, v7, v11, vcc
	global_load_dwordx2 v[10:11], v[14:15], off glc
	s_waitcnt vmcnt(0)
	v_cmp_eq_u16_sdwa s[22:23], v11, v13 src0_sel:BYTE_0 src1_sel:DWORD
	s_and_saveexec_b64 s[10:11], s[22:23]
	s_cbranch_execz .LBB1342_36
; %bb.33:
	s_mov_b64 s[22:23], 0
	v_mov_b32_e32 v7, 0
.LBB1342_34:                            ; =>This Inner Loop Header: Depth=1
	global_load_dwordx2 v[10:11], v[14:15], off glc
	s_waitcnt vmcnt(0)
	v_cmp_ne_u16_sdwa s[26:27], v11, v7 src0_sel:BYTE_0 src1_sel:DWORD
	s_or_b64 s[22:23], s[26:27], s[22:23]
	s_andn2_b64 exec, exec, s[22:23]
	s_cbranch_execnz .LBB1342_34
; %bb.35:
	s_or_b64 exec, exec, s[22:23]
.LBB1342_36:
	s_or_b64 exec, exec, s[10:11]
	v_and_b32_e32 v26, 63, v9
	v_mov_b32_e32 v7, 2
	v_cmp_ne_u32_e32 vcc, 63, v26
	v_cmp_eq_u16_sdwa s[10:11], v11, v7 src0_sel:BYTE_0 src1_sel:DWORD
	v_lshlrev_b64 v[12:13], v9, -1
	v_addc_co_u32_e32 v27, vcc, 0, v9, vcc
	v_and_b32_e32 v14, s11, v13
	v_lshlrev_b32_e32 v27, 2, v27
	v_or_b32_e32 v14, 0x80000000, v14
	ds_bpermute_b32 v28, v27, v10
	v_and_b32_e32 v15, s10, v12
	v_ffbl_b32_e32 v14, v14
	v_add_u32_e32 v14, 32, v14
	v_ffbl_b32_e32 v15, v15
	v_min_u32_e32 v14, v15, v14
	v_cmp_lt_u32_e32 vcc, v26, v14
	s_waitcnt lgkmcnt(0)
	v_cndmask_b32_e32 v15, 0, v28, vcc
	v_cmp_gt_u32_e32 vcc, 62, v26
	v_add_u32_e32 v10, v15, v10
	v_cndmask_b32_e64 v15, 0, 1, vcc
	v_lshlrev_b32_e32 v15, 1, v15
	v_add_lshl_u32 v28, v15, v9, 2
	ds_bpermute_b32 v15, v28, v10
	v_add_u32_e32 v29, 2, v26
	v_cmp_le_u32_e32 vcc, v29, v14
	v_add_u32_e32 v31, 4, v26
	v_add_u32_e32 v33, 8, v26
	s_waitcnt lgkmcnt(0)
	v_cndmask_b32_e32 v15, 0, v15, vcc
	v_cmp_gt_u32_e32 vcc, 60, v26
	v_add_u32_e32 v10, v10, v15
	v_cndmask_b32_e64 v15, 0, 1, vcc
	v_lshlrev_b32_e32 v15, 2, v15
	v_add_lshl_u32 v30, v15, v9, 2
	ds_bpermute_b32 v15, v30, v10
	v_cmp_le_u32_e32 vcc, v31, v14
	v_add_u32_e32 v36, 16, v26
	v_add_u32_e32 v38, 32, v26
	s_waitcnt lgkmcnt(0)
	v_cndmask_b32_e32 v15, 0, v15, vcc
	v_cmp_gt_u32_e32 vcc, 56, v26
	v_add_u32_e32 v10, v10, v15
	v_cndmask_b32_e64 v15, 0, 1, vcc
	v_lshlrev_b32_e32 v15, 3, v15
	v_add_lshl_u32 v32, v15, v9, 2
	ds_bpermute_b32 v15, v32, v10
	v_cmp_le_u32_e32 vcc, v33, v14
	s_waitcnt lgkmcnt(0)
	v_cndmask_b32_e32 v15, 0, v15, vcc
	v_cmp_gt_u32_e32 vcc, 48, v26
	v_add_u32_e32 v10, v10, v15
	v_cndmask_b32_e64 v15, 0, 1, vcc
	v_lshlrev_b32_e32 v15, 4, v15
	v_add_lshl_u32 v35, v15, v9, 2
	ds_bpermute_b32 v15, v35, v10
	v_cmp_le_u32_e32 vcc, v36, v14
	;; [unrolled: 9-line block ×3, first 2 shown]
	s_waitcnt lgkmcnt(0)
	v_cndmask_b32_e32 v9, 0, v9, vcc
	v_add_u32_e32 v10, v10, v9
	v_mov_b32_e32 v9, 0
	s_branch .LBB1342_38
.LBB1342_37:                            ;   in Loop: Header=BB1342_38 Depth=1
	s_or_b64 exec, exec, s[10:11]
	v_cmp_eq_u16_sdwa s[10:11], v11, v7 src0_sel:BYTE_0 src1_sel:DWORD
	v_and_b32_e32 v14, s11, v13
	v_or_b32_e32 v14, 0x80000000, v14
	ds_bpermute_b32 v39, v27, v10
	v_and_b32_e32 v15, s10, v12
	v_ffbl_b32_e32 v14, v14
	v_add_u32_e32 v14, 32, v14
	v_ffbl_b32_e32 v15, v15
	v_min_u32_e32 v14, v15, v14
	v_cmp_lt_u32_e32 vcc, v26, v14
	s_waitcnt lgkmcnt(0)
	v_cndmask_b32_e32 v15, 0, v39, vcc
	v_add_u32_e32 v10, v15, v10
	ds_bpermute_b32 v15, v28, v10
	v_cmp_le_u32_e32 vcc, v29, v14
	v_subrev_u32_e32 v8, 64, v8
	s_waitcnt lgkmcnt(0)
	v_cndmask_b32_e32 v15, 0, v15, vcc
	v_add_u32_e32 v10, v10, v15
	ds_bpermute_b32 v15, v30, v10
	v_cmp_le_u32_e32 vcc, v31, v14
	s_waitcnt lgkmcnt(0)
	v_cndmask_b32_e32 v15, 0, v15, vcc
	v_add_u32_e32 v10, v10, v15
	ds_bpermute_b32 v15, v32, v10
	v_cmp_le_u32_e32 vcc, v33, v14
	;; [unrolled: 5-line block ×4, first 2 shown]
	s_waitcnt lgkmcnt(0)
	v_cndmask_b32_e32 v14, 0, v15, vcc
	v_add3_u32 v10, v14, v34, v10
.LBB1342_38:                            ; =>This Loop Header: Depth=1
                                        ;     Child Loop BB1342_41 Depth 2
	v_cmp_ne_u16_sdwa s[10:11], v11, v7 src0_sel:BYTE_0 src1_sel:DWORD
	v_cndmask_b32_e64 v11, 0, 1, s[10:11]
	;;#ASMSTART
	;;#ASMEND
	v_cmp_ne_u32_e32 vcc, 0, v11
	s_cmp_lg_u64 vcc, exec
	v_mov_b32_e32 v34, v10
	s_cbranch_scc1 .LBB1342_43
; %bb.39:                               ;   in Loop: Header=BB1342_38 Depth=1
	v_lshlrev_b64 v[10:11], 3, v[8:9]
	v_mov_b32_e32 v15, s21
	v_add_co_u32_e32 v14, vcc, s20, v10
	v_addc_co_u32_e32 v15, vcc, v15, v11, vcc
	global_load_dwordx2 v[10:11], v[14:15], off glc
	s_waitcnt vmcnt(0)
	v_cmp_eq_u16_sdwa s[22:23], v11, v9 src0_sel:BYTE_0 src1_sel:DWORD
	s_and_saveexec_b64 s[10:11], s[22:23]
	s_cbranch_execz .LBB1342_37
; %bb.40:                               ;   in Loop: Header=BB1342_38 Depth=1
	s_mov_b64 s[22:23], 0
.LBB1342_41:                            ;   Parent Loop BB1342_38 Depth=1
                                        ; =>  This Inner Loop Header: Depth=2
	global_load_dwordx2 v[10:11], v[14:15], off glc
	s_waitcnt vmcnt(0)
	v_cmp_ne_u16_sdwa s[26:27], v11, v9 src0_sel:BYTE_0 src1_sel:DWORD
	s_or_b64 s[22:23], s[26:27], s[22:23]
	s_andn2_b64 exec, exec, s[22:23]
	s_cbranch_execnz .LBB1342_41
; %bb.42:                               ;   in Loop: Header=BB1342_38 Depth=1
	s_or_b64 exec, exec, s[22:23]
	s_branch .LBB1342_37
.LBB1342_43:                            ;   in Loop: Header=BB1342_38 Depth=1
                                        ; implicit-def: $vgpr10
                                        ; implicit-def: $vgpr11
	s_cbranch_execz .LBB1342_38
; %bb.44:
	s_and_saveexec_b64 s[10:11], s[2:3]
	s_cbranch_execz .LBB1342_46
; %bb.45:
	s_add_i32 s2, s6, 64
	s_mov_b32 s3, 0
	s_lshl_b64 s[2:3], s[2:3], 3
	s_add_u32 s2, s20, s2
	v_add_u32_e32 v6, v34, v6
	v_mov_b32_e32 v7, 2
	s_addc_u32 s3, s21, s3
	v_mov_b32_e32 v8, 0
	global_store_dwordx2 v8, v[6:7], s[2:3]
.LBB1342_46:
	s_or_b64 exec, exec, s[10:11]
	s_and_b64 exec, exec, s[0:1]
	s_cbranch_execz .LBB1342_48
; %bb.47:
	v_mov_b32_e32 v6, 0
	ds_write_b32 v6, v34
.LBB1342_48:
	s_or_b64 exec, exec, s[8:9]
	v_mov_b32_e32 v6, 0
	s_waitcnt lgkmcnt(0)
	s_barrier
	ds_read_b32 v6, v6
	s_waitcnt lgkmcnt(0)
	v_add3_u32 v6, v25, v2, v6
	v_add_u32_e32 v7, v6, v3
	v_add_u32_e32 v8, v7, v4
	;; [unrolled: 1-line block ×9, first 2 shown]
	s_load_dwordx8 s[4:11], s[4:5], 0x38
	s_branch .LBB1342_61
.LBB1342_49:
                                        ; implicit-def: $vgpr6_vgpr7_vgpr8_vgpr9_vgpr10_vgpr11_vgpr12_vgpr13_vgpr14_vgpr15
	s_load_dwordx8 s[4:11], s[4:5], 0x38
	s_cbranch_execz .LBB1342_61
; %bb.50:
	s_waitcnt lgkmcnt(0)
	s_cmp_lg_u64 s[8:9], 0
	s_cselect_b64 s[2:3], -1, 0
	v_cmp_eq_u32_e64 s[0:1], 0, v0
	v_cmp_ne_u32_e32 vcc, 0, v0
	s_and_b64 s[8:9], s[0:1], s[2:3]
	v_mov_b32_e32 v12, v3
	v_mov_b32_e32 v13, v4
	;; [unrolled: 1-line block ×3, first 2 shown]
	s_and_saveexec_b64 s[2:3], s[8:9]
	s_cbranch_execz .LBB1342_52
; %bb.51:
	v_mov_b32_e32 v6, 0
	global_load_dword v6, v6, s[4:5]
	v_mov_b32_e32 v12, v3
	v_mov_b32_e32 v13, v4
	;; [unrolled: 1-line block ×3, first 2 shown]
	s_waitcnt vmcnt(0)
	v_add_u32_e32 v2, v6, v2
.LBB1342_52:
	s_or_b64 exec, exec, s[2:3]
	v_add_u32_e32 v3, v12, v2
	v_add_u32_e32 v4, v3, v13
	;; [unrolled: 1-line block ×9, first 2 shown]
	v_add_lshl_u32 v15, v24, v0, 2
	v_cmp_gt_u32_e64 s[2:3], 64, v0
	ds_write_b32 v15, v11
	s_waitcnt lgkmcnt(0)
	s_barrier
	s_and_saveexec_b64 s[4:5], s[2:3]
	s_cbranch_execz .LBB1342_54
; %bb.53:
	v_lshlrev_b32_e32 v15, 1, v0
	v_lshrrev_b32_e32 v24, 4, v0
	v_add_lshl_u32 v15, v24, v15, 2
	ds_read2_b32 v[24:25], v15 offset1:1
	v_mbcnt_lo_u32_b32 v26, -1, 0
	v_mbcnt_hi_u32_b32 v26, -1, v26
	v_and_b32_e32 v27, 15, v26
	v_cmp_ne_u32_e64 s[2:3], 0, v27
	s_waitcnt lgkmcnt(0)
	v_add_u32_e32 v25, v25, v24
	; wave barrier
	s_nop 1
	v_mov_b32_dpp v28, v25 row_shr:1 row_mask:0xf bank_mask:0xf
	v_cndmask_b32_e64 v28, 0, v28, s[2:3]
	v_add_u32_e32 v25, v28, v25
	v_cmp_lt_u32_e64 s[2:3], 1, v27
	s_nop 0
	v_mov_b32_dpp v28, v25 row_shr:2 row_mask:0xf bank_mask:0xf
	v_cndmask_b32_e64 v28, 0, v28, s[2:3]
	v_add_u32_e32 v25, v25, v28
	v_cmp_lt_u32_e64 s[2:3], 3, v27
	;; [unrolled: 5-line block ×3, first 2 shown]
	s_nop 0
	v_mov_b32_dpp v28, v25 row_shr:8 row_mask:0xf bank_mask:0xf
	v_cndmask_b32_e64 v27, 0, v28, s[2:3]
	v_add_u32_e32 v25, v25, v27
	v_bfe_i32 v28, v26, 4, 1
	v_cmp_lt_u32_e64 s[2:3], 31, v26
	v_mov_b32_dpp v27, v25 row_bcast:15 row_mask:0xf bank_mask:0xf
	v_and_b32_e32 v27, v28, v27
	v_add_u32_e32 v25, v25, v27
	v_and_b32_e32 v28, 64, v26
	s_nop 0
	v_mov_b32_dpp v27, v25 row_bcast:31 row_mask:0xf bank_mask:0xf
	v_cndmask_b32_e64 v27, 0, v27, s[2:3]
	v_add_u32_e32 v25, v25, v27
	v_add_u32_e32 v27, -1, v26
	v_cmp_lt_i32_e64 s[2:3], v27, v28
	v_cndmask_b32_e64 v26, v27, v26, s[2:3]
	v_lshlrev_b32_e32 v26, 2, v26
	ds_bpermute_b32 v25, v26, v25
	s_waitcnt lgkmcnt(0)
	v_add_u32_e32 v24, v25, v24
	v_cndmask_b32_e64 v24, v24, v11, s[0:1]
	ds_write_b32 v15, v24
	; wave barrier
	ds_read_b32 v25, v15 offset:4
	s_waitcnt lgkmcnt(0)
	v_add_u32_e32 v24, v25, v24
	ds_write_b32 v15, v24 offset:4
.LBB1342_54:
	s_or_b64 exec, exec, s[4:5]
	v_mov_b32_e32 v15, v11
	s_waitcnt lgkmcnt(0)
	s_barrier
	s_and_saveexec_b64 s[0:1], vcc
	s_cbranch_execz .LBB1342_56
; %bb.55:
	v_add_u32_e32 v15, -1, v0
	v_lshrrev_b32_e32 v24, 5, v15
	v_add_lshl_u32 v15, v24, v15, 2
	ds_read_b32 v15, v15
.LBB1342_56:
	s_or_b64 exec, exec, s[0:1]
	s_and_saveexec_b64 s[0:1], vcc
	s_cbranch_execz .LBB1342_58
; %bb.57:
	s_waitcnt lgkmcnt(0)
	v_add_u32_e32 v2, v15, v2
	v_add_u32_e32 v3, v2, v12
	;; [unrolled: 1-line block ×10, first 2 shown]
	;;#ASMSTART
	;;#ASMEND
.LBB1342_58:
	s_or_b64 exec, exec, s[0:1]
	s_movk_i32 s0, 0x7f
	v_cmp_eq_u32_e32 vcc, s0, v0
	s_and_saveexec_b64 s[0:1], vcc
	s_cbranch_execz .LBB1342_60
; %bb.59:
	v_mov_b32_e32 v14, 0
	v_mov_b32_e32 v13, 2
	;; [unrolled: 1-line block ×3, first 2 shown]
	global_store_dwordx2 v14, v[12:13], s[20:21] offset:512
.LBB1342_60:
	s_or_b64 exec, exec, s[0:1]
	s_waitcnt lgkmcnt(0)
	v_pk_mov_b32 v[14:15], v[10:11], v[10:11] op_sel:[0,1]
	v_pk_mov_b32 v[12:13], v[8:9], v[8:9] op_sel:[0,1]
	;; [unrolled: 1-line block ×5, first 2 shown]
.LBB1342_61:
	s_add_u32 s0, s12, s16
	s_addc_u32 s1, s13, s17
	s_add_u32 s2, s0, s18
	s_addc_u32 s3, s1, s19
	s_mov_b64 s[0:1], -1
	s_and_b64 vcc, exec, s[14:15]
	s_waitcnt lgkmcnt(0)
	s_barrier
	s_cbranch_vccz .LBB1342_63
; %bb.62:
	ds_write2_b64 v1, v[6:7], v[8:9] offset1:1
	ds_write2_b64 v1, v[10:11], v[12:13] offset0:2 offset1:3
	ds_write_b64 v1, v[14:15] offset:32
	s_waitcnt lgkmcnt(0)
	s_barrier
	ds_read2st64_b32 v[2:3], v22 offset1:2
	ds_read2st64_b32 v[4:5], v22 offset0:4 offset1:6
	ds_read2st64_b32 v[16:17], v22 offset0:8 offset1:10
	;; [unrolled: 1-line block ×4, first 2 shown]
	v_mov_b32_e32 v25, s3
	v_add_co_u32_e32 v24, vcc, s2, v22
	v_addc_co_u32_e32 v25, vcc, 0, v25, vcc
	s_waitcnt lgkmcnt(4)
	flat_store_dword v[24:25], v2
	flat_store_dword v[24:25], v3 offset:512
	s_waitcnt lgkmcnt(0)
	flat_store_dword v[24:25], v4 offset:1024
	flat_store_dword v[24:25], v5 offset:1536
	;; [unrolled: 1-line block ×6, first 2 shown]
	v_add_co_u32_e32 v2, vcc, 0x1000, v24
	v_addc_co_u32_e32 v3, vcc, 0, v25, vcc
	flat_store_dword v[2:3], v20
	flat_store_dword v[2:3], v21 offset:512
	s_mov_b64 s[0:1], 0
.LBB1342_63:
	s_andn2_b64 vcc, exec, s[0:1]
	s_cbranch_vccnz .LBB1342_119
; %bb.64:
	ds_write2_b64 v1, v[6:7], v[8:9] offset1:1
	ds_write2_b64 v1, v[10:11], v[12:13] offset0:2 offset1:3
	ds_write_b64 v1, v[14:15] offset:32
	s_waitcnt lgkmcnt(0)
	s_barrier
	ds_read2st64_b32 v[2:3], v22 offset1:2
	ds_read2st64_b32 v[6:7], v22 offset0:4 offset1:6
	ds_read2st64_b32 v[4:5], v22 offset0:8 offset1:10
	;; [unrolled: 1-line block ×4, first 2 shown]
	v_mov_b32_e32 v13, s3
	v_add_co_u32_e32 v12, vcc, s2, v22
	v_addc_co_u32_e32 v13, vcc, 0, v13, vcc
	v_mov_b32_e32 v1, 0
	v_cmp_gt_u32_e32 vcc, s24, v0
	s_and_saveexec_b64 s[0:1], vcc
	s_cbranch_execz .LBB1342_66
; %bb.65:
	s_waitcnt lgkmcnt(0)
	flat_store_dword v[12:13], v2
.LBB1342_66:
	s_or_b64 exec, exec, s[0:1]
	v_or_b32_e32 v14, 0x80, v0
	v_cmp_gt_u32_e32 vcc, s24, v14
	s_and_saveexec_b64 s[0:1], vcc
	s_cbranch_execz .LBB1342_68
; %bb.67:
	s_waitcnt lgkmcnt(0)
	flat_store_dword v[12:13], v3 offset:512
.LBB1342_68:
	s_or_b64 exec, exec, s[0:1]
	v_or_b32_e32 v14, 0x100, v0
	v_cmp_gt_u32_e32 vcc, s24, v14
	s_and_saveexec_b64 s[0:1], vcc
	s_cbranch_execz .LBB1342_70
; %bb.69:
	s_waitcnt lgkmcnt(0)
	flat_store_dword v[12:13], v6 offset:1024
.LBB1342_70:
	;; [unrolled: 9-line block ×7, first 2 shown]
	s_or_b64 exec, exec, s[0:1]
	v_or_b32_e32 v14, 0x400, v0
	v_cmp_gt_u32_e32 vcc, s24, v14
	s_and_saveexec_b64 s[0:1], vcc
	s_cbranch_execz .LBB1342_82
; %bb.81:
	v_add_co_u32_e32 v14, vcc, 0x1000, v12
	v_addc_co_u32_e32 v15, vcc, 0, v13, vcc
	s_waitcnt lgkmcnt(0)
	flat_store_dword v[14:15], v10
.LBB1342_82:
	s_or_b64 exec, exec, s[0:1]
	v_or_b32_e32 v14, 0x480, v0
	v_cmp_gt_u32_e32 vcc, s24, v14
	s_and_saveexec_b64 s[0:1], vcc
	s_cbranch_execz .LBB1342_84
; %bb.83:
	v_add_co_u32_e32 v12, vcc, 0x1000, v12
	v_addc_co_u32_e32 v13, vcc, 0, v13, vcc
	s_waitcnt lgkmcnt(0)
	flat_store_dword v[12:13], v11 offset:512
.LBB1342_84:
	s_or_b64 exec, exec, s[0:1]
	v_cmp_lt_u64_e64 s[0:1], s[10:11], 2
	s_and_b64 vcc, exec, s[0:1]
	s_cbranch_vccnz .LBB1342_119
; %bb.85:
	s_add_u32 s0, s24, -1
	s_addc_u32 s1, s25, -1
	s_add_u32 s2, 0, 0x99986000
	s_addc_u32 s3, 0, 0x59
	s_add_i32 s3, s3, 0x19999940
	s_mul_hi_u32 s9, s2, -10
	s_sub_i32 s9, s9, s2
	s_mul_i32 s10, s3, -10
	s_mul_i32 s4, s2, -10
	s_add_i32 s9, s9, s10
	s_mul_hi_u32 s5, s3, s4
	s_mul_i32 s8, s3, s4
	s_mul_i32 s11, s2, s9
	s_mul_hi_u32 s4, s2, s4
	s_mul_hi_u32 s10, s2, s9
	s_add_u32 s4, s4, s11
	s_addc_u32 s10, 0, s10
	s_add_u32 s4, s4, s8
	s_mul_hi_u32 s11, s3, s9
	s_addc_u32 s4, s10, s5
	s_addc_u32 s5, s11, 0
	s_mul_i32 s8, s3, s9
	s_add_u32 s4, s4, s8
	v_mov_b32_e32 v12, s4
	s_addc_u32 s5, 0, s5
	v_add_co_u32_e32 v12, vcc, s2, v12
	s_cmp_lg_u64 vcc, 0
	s_addc_u32 s2, s3, s5
	v_readfirstlane_b32 s5, v12
	s_mul_i32 s4, s0, s2
	s_mul_hi_u32 s8, s0, s5
	s_mul_hi_u32 s3, s0, s2
	s_add_u32 s4, s8, s4
	s_addc_u32 s3, 0, s3
	s_mul_hi_u32 s9, s1, s5
	s_mul_i32 s5, s1, s5
	s_add_u32 s4, s4, s5
	s_mul_hi_u32 s8, s1, s2
	s_addc_u32 s3, s3, s9
	s_addc_u32 s4, s8, 0
	s_mul_i32 s2, s1, s2
	s_add_u32 s2, s3, s2
	s_addc_u32 s3, 0, s4
	s_add_u32 s4, s2, 1
	s_addc_u32 s5, s3, 0
	s_add_u32 s8, s2, 2
	s_mul_i32 s10, s3, 10
	s_mul_hi_u32 s11, s2, 10
	s_addc_u32 s9, s3, 0
	s_add_i32 s11, s11, s10
	s_mul_i32 s10, s2, 10
	v_mov_b32_e32 v12, s10
	v_sub_co_u32_e32 v12, vcc, s0, v12
	s_cmp_lg_u64 vcc, 0
	s_subb_u32 s10, s1, s11
	v_subrev_co_u32_e32 v13, vcc, 10, v12
	s_cmp_lg_u64 vcc, 0
	s_subb_u32 s11, s10, 0
	v_readfirstlane_b32 s12, v13
	s_cmp_gt_u32 s12, 9
	s_cselect_b32 s12, -1, 0
	s_cmp_eq_u32 s11, 0
	s_cselect_b32 s11, s12, -1
	s_cmp_lg_u32 s11, 0
	s_cselect_b32 s4, s8, s4
	v_readfirstlane_b32 s8, v12
	s_cselect_b32 s5, s9, s5
	s_cmp_gt_u32 s8, 9
	s_cselect_b32 s8, -1, 0
	s_cmp_eq_u32 s10, 0
	s_cselect_b32 s8, s8, -1
	s_cmp_lg_u32 s8, 0
	s_cselect_b32 s3, s5, s3
	s_cselect_b32 s2, s4, s2
	v_cmp_eq_u64_e32 vcc, s[2:3], v[0:1]
	s_and_saveexec_b64 s[2:3], vcc
	s_cbranch_execz .LBB1342_119
; %bb.86:
	v_mul_hi_u32_u24_e32 v1, 10, v0
	v_mov_b32_e32 v12, s1
	v_sub_co_u32_e32 v0, vcc, s0, v23
	v_subb_co_u32_e32 v1, vcc, v12, v1, vcc
	v_cmp_lt_i64_e32 vcc, 4, v[0:1]
	s_and_saveexec_b64 s[0:1], vcc
	s_xor_b64 s[0:1], exec, s[0:1]
	s_cbranch_execz .LBB1342_104
; %bb.87:
	v_cmp_lt_i64_e32 vcc, 6, v[0:1]
	s_and_saveexec_b64 s[2:3], vcc
	s_xor_b64 s[2:3], exec, s[2:3]
	s_cbranch_execz .LBB1342_97
; %bb.88:
	;; [unrolled: 5-line block ×4, first 2 shown]
	v_mov_b32_e32 v0, 0
	s_waitcnt lgkmcnt(0)
	global_store_dword v0, v11, s[6:7]
                                        ; implicit-def: $vgpr10_vgpr11
.LBB1342_91:
	s_andn2_saveexec_b64 s[8:9], s[8:9]
	s_cbranch_execz .LBB1342_93
; %bb.92:
	v_mov_b32_e32 v0, 0
	s_waitcnt lgkmcnt(0)
	global_store_dword v0, v10, s[6:7]
.LBB1342_93:
	s_or_b64 exec, exec, s[8:9]
                                        ; implicit-def: $vgpr8_vgpr9
.LBB1342_94:
	s_andn2_saveexec_b64 s[4:5], s[4:5]
	s_cbranch_execz .LBB1342_96
; %bb.95:
	v_mov_b32_e32 v0, 0
	s_waitcnt lgkmcnt(0)
	global_store_dword v0, v9, s[6:7]
.LBB1342_96:
	s_or_b64 exec, exec, s[4:5]
                                        ; implicit-def: $vgpr4_vgpr5
                                        ; implicit-def: $vgpr0_vgpr1
                                        ; implicit-def: $vgpr8_vgpr9
.LBB1342_97:
	s_andn2_saveexec_b64 s[2:3], s[2:3]
	s_cbranch_execz .LBB1342_103
; %bb.98:
	v_cmp_lt_i64_e32 vcc, 5, v[0:1]
	s_and_saveexec_b64 s[4:5], vcc
	s_xor_b64 s[4:5], exec, s[4:5]
	s_cbranch_execz .LBB1342_100
; %bb.99:
	v_mov_b32_e32 v0, 0
	s_waitcnt lgkmcnt(0)
	global_store_dword v0, v8, s[6:7]
                                        ; implicit-def: $vgpr4_vgpr5
.LBB1342_100:
	s_andn2_saveexec_b64 s[4:5], s[4:5]
	s_cbranch_execz .LBB1342_102
; %bb.101:
	v_mov_b32_e32 v0, 0
	s_waitcnt lgkmcnt(0)
	global_store_dword v0, v5, s[6:7]
.LBB1342_102:
	s_or_b64 exec, exec, s[4:5]
.LBB1342_103:
	s_or_b64 exec, exec, s[2:3]
                                        ; implicit-def: $vgpr0_vgpr1
                                        ; implicit-def: $vgpr6_vgpr7
                                        ; implicit-def: $vgpr2_vgpr3
                                        ; implicit-def: $vgpr4_vgpr5
.LBB1342_104:
	s_andn2_saveexec_b64 s[0:1], s[0:1]
	s_cbranch_execz .LBB1342_119
; %bb.105:
	v_cmp_lt_i64_e32 vcc, 2, v[0:1]
	s_and_saveexec_b64 s[0:1], vcc
	s_xor_b64 s[0:1], exec, s[0:1]
	s_cbranch_execz .LBB1342_111
; %bb.106:
	v_cmp_lt_i64_e32 vcc, 3, v[0:1]
	s_and_saveexec_b64 s[2:3], vcc
	s_xor_b64 s[2:3], exec, s[2:3]
	s_cbranch_execz .LBB1342_108
; %bb.107:
	v_mov_b32_e32 v0, 0
	s_waitcnt lgkmcnt(0)
	global_store_dword v0, v4, s[6:7]
                                        ; implicit-def: $vgpr6_vgpr7
.LBB1342_108:
	s_andn2_saveexec_b64 s[2:3], s[2:3]
	s_cbranch_execz .LBB1342_110
; %bb.109:
	v_mov_b32_e32 v0, 0
	s_waitcnt lgkmcnt(0)
	global_store_dword v0, v7, s[6:7]
.LBB1342_110:
	s_or_b64 exec, exec, s[2:3]
                                        ; implicit-def: $vgpr0_vgpr1
                                        ; implicit-def: $vgpr6_vgpr7
                                        ; implicit-def: $vgpr2_vgpr3
.LBB1342_111:
	s_andn2_saveexec_b64 s[0:1], s[0:1]
	s_cbranch_execz .LBB1342_119
; %bb.112:
	v_cmp_lt_i64_e32 vcc, 1, v[0:1]
	s_and_saveexec_b64 s[0:1], vcc
	s_xor_b64 s[0:1], exec, s[0:1]
	s_cbranch_execz .LBB1342_114
; %bb.113:
	v_mov_b32_e32 v0, 0
	s_waitcnt lgkmcnt(0)
	global_store_dword v0, v6, s[6:7]
                                        ; implicit-def: $vgpr2_vgpr3
                                        ; implicit-def: $vgpr0_vgpr1
.LBB1342_114:
	s_andn2_saveexec_b64 s[0:1], s[0:1]
	s_cbranch_execz .LBB1342_119
; %bb.115:
	v_cmp_ne_u64_e32 vcc, 1, v[0:1]
	s_and_saveexec_b64 s[0:1], vcc
	s_xor_b64 s[0:1], exec, s[0:1]
	s_cbranch_execz .LBB1342_117
; %bb.116:
	v_mov_b32_e32 v0, 0
	s_waitcnt lgkmcnt(0)
	global_store_dword v0, v2, s[6:7]
                                        ; implicit-def: $vgpr2_vgpr3
.LBB1342_117:
	s_andn2_saveexec_b64 s[0:1], s[0:1]
	s_cbranch_execz .LBB1342_119
; %bb.118:
	v_mov_b32_e32 v0, 0
	s_waitcnt lgkmcnt(0)
	global_store_dword v0, v3, s[6:7]
.LBB1342_119:
	s_endpgm
	.section	.rodata,"a",@progbits
	.p2align	6, 0x0
	.amdhsa_kernel _ZN7rocprim17ROCPRIM_400000_NS6detail17trampoline_kernelINS0_14default_configENS1_20scan_config_selectorIiEEZZNS1_9scan_implILNS1_25lookback_scan_determinismE0ELb0ELb0ES3_N6thrust23THRUST_200600_302600_NS6detail15normal_iteratorINS9_10device_ptrIiEEEESE_iNS9_4plusIvEEiEEDaPvRmT3_T4_T5_mT6_P12ihipStream_tbENKUlT_T0_E_clISt17integral_constantIbLb0EESU_EEDaSP_SQ_EUlSP_E_NS1_11comp_targetILNS1_3genE4ELNS1_11target_archE910ELNS1_3gpuE8ELNS1_3repE0EEENS1_30default_config_static_selectorELNS0_4arch9wavefront6targetE1EEEvT1_
		.amdhsa_group_segment_fixed_size 5120
		.amdhsa_private_segment_fixed_size 0
		.amdhsa_kernarg_size 96
		.amdhsa_user_sgpr_count 6
		.amdhsa_user_sgpr_private_segment_buffer 1
		.amdhsa_user_sgpr_dispatch_ptr 0
		.amdhsa_user_sgpr_queue_ptr 0
		.amdhsa_user_sgpr_kernarg_segment_ptr 1
		.amdhsa_user_sgpr_dispatch_id 0
		.amdhsa_user_sgpr_flat_scratch_init 0
		.amdhsa_user_sgpr_kernarg_preload_length 0
		.amdhsa_user_sgpr_kernarg_preload_offset 0
		.amdhsa_user_sgpr_private_segment_size 0
		.amdhsa_uses_dynamic_stack 0
		.amdhsa_system_sgpr_private_segment_wavefront_offset 0
		.amdhsa_system_sgpr_workgroup_id_x 1
		.amdhsa_system_sgpr_workgroup_id_y 0
		.amdhsa_system_sgpr_workgroup_id_z 0
		.amdhsa_system_sgpr_workgroup_info 0
		.amdhsa_system_vgpr_workitem_id 0
		.amdhsa_next_free_vgpr 40
		.amdhsa_next_free_sgpr 28
		.amdhsa_accum_offset 40
		.amdhsa_reserve_vcc 1
		.amdhsa_reserve_flat_scratch 0
		.amdhsa_float_round_mode_32 0
		.amdhsa_float_round_mode_16_64 0
		.amdhsa_float_denorm_mode_32 3
		.amdhsa_float_denorm_mode_16_64 3
		.amdhsa_dx10_clamp 1
		.amdhsa_ieee_mode 1
		.amdhsa_fp16_overflow 0
		.amdhsa_tg_split 0
		.amdhsa_exception_fp_ieee_invalid_op 0
		.amdhsa_exception_fp_denorm_src 0
		.amdhsa_exception_fp_ieee_div_zero 0
		.amdhsa_exception_fp_ieee_overflow 0
		.amdhsa_exception_fp_ieee_underflow 0
		.amdhsa_exception_fp_ieee_inexact 0
		.amdhsa_exception_int_div_zero 0
	.end_amdhsa_kernel
	.section	.text._ZN7rocprim17ROCPRIM_400000_NS6detail17trampoline_kernelINS0_14default_configENS1_20scan_config_selectorIiEEZZNS1_9scan_implILNS1_25lookback_scan_determinismE0ELb0ELb0ES3_N6thrust23THRUST_200600_302600_NS6detail15normal_iteratorINS9_10device_ptrIiEEEESE_iNS9_4plusIvEEiEEDaPvRmT3_T4_T5_mT6_P12ihipStream_tbENKUlT_T0_E_clISt17integral_constantIbLb0EESU_EEDaSP_SQ_EUlSP_E_NS1_11comp_targetILNS1_3genE4ELNS1_11target_archE910ELNS1_3gpuE8ELNS1_3repE0EEENS1_30default_config_static_selectorELNS0_4arch9wavefront6targetE1EEEvT1_,"axG",@progbits,_ZN7rocprim17ROCPRIM_400000_NS6detail17trampoline_kernelINS0_14default_configENS1_20scan_config_selectorIiEEZZNS1_9scan_implILNS1_25lookback_scan_determinismE0ELb0ELb0ES3_N6thrust23THRUST_200600_302600_NS6detail15normal_iteratorINS9_10device_ptrIiEEEESE_iNS9_4plusIvEEiEEDaPvRmT3_T4_T5_mT6_P12ihipStream_tbENKUlT_T0_E_clISt17integral_constantIbLb0EESU_EEDaSP_SQ_EUlSP_E_NS1_11comp_targetILNS1_3genE4ELNS1_11target_archE910ELNS1_3gpuE8ELNS1_3repE0EEENS1_30default_config_static_selectorELNS0_4arch9wavefront6targetE1EEEvT1_,comdat
.Lfunc_end1342:
	.size	_ZN7rocprim17ROCPRIM_400000_NS6detail17trampoline_kernelINS0_14default_configENS1_20scan_config_selectorIiEEZZNS1_9scan_implILNS1_25lookback_scan_determinismE0ELb0ELb0ES3_N6thrust23THRUST_200600_302600_NS6detail15normal_iteratorINS9_10device_ptrIiEEEESE_iNS9_4plusIvEEiEEDaPvRmT3_T4_T5_mT6_P12ihipStream_tbENKUlT_T0_E_clISt17integral_constantIbLb0EESU_EEDaSP_SQ_EUlSP_E_NS1_11comp_targetILNS1_3genE4ELNS1_11target_archE910ELNS1_3gpuE8ELNS1_3repE0EEENS1_30default_config_static_selectorELNS0_4arch9wavefront6targetE1EEEvT1_, .Lfunc_end1342-_ZN7rocprim17ROCPRIM_400000_NS6detail17trampoline_kernelINS0_14default_configENS1_20scan_config_selectorIiEEZZNS1_9scan_implILNS1_25lookback_scan_determinismE0ELb0ELb0ES3_N6thrust23THRUST_200600_302600_NS6detail15normal_iteratorINS9_10device_ptrIiEEEESE_iNS9_4plusIvEEiEEDaPvRmT3_T4_T5_mT6_P12ihipStream_tbENKUlT_T0_E_clISt17integral_constantIbLb0EESU_EEDaSP_SQ_EUlSP_E_NS1_11comp_targetILNS1_3genE4ELNS1_11target_archE910ELNS1_3gpuE8ELNS1_3repE0EEENS1_30default_config_static_selectorELNS0_4arch9wavefront6targetE1EEEvT1_
                                        ; -- End function
	.section	.AMDGPU.csdata,"",@progbits
; Kernel info:
; codeLenInByte = 4524
; NumSgprs: 32
; NumVgprs: 40
; NumAgprs: 0
; TotalNumVgprs: 40
; ScratchSize: 0
; MemoryBound: 0
; FloatMode: 240
; IeeeMode: 1
; LDSByteSize: 5120 bytes/workgroup (compile time only)
; SGPRBlocks: 3
; VGPRBlocks: 4
; NumSGPRsForWavesPerEU: 32
; NumVGPRsForWavesPerEU: 40
; AccumOffset: 40
; Occupancy: 6
; WaveLimiterHint : 1
; COMPUTE_PGM_RSRC2:SCRATCH_EN: 0
; COMPUTE_PGM_RSRC2:USER_SGPR: 6
; COMPUTE_PGM_RSRC2:TRAP_HANDLER: 0
; COMPUTE_PGM_RSRC2:TGID_X_EN: 1
; COMPUTE_PGM_RSRC2:TGID_Y_EN: 0
; COMPUTE_PGM_RSRC2:TGID_Z_EN: 0
; COMPUTE_PGM_RSRC2:TIDIG_COMP_CNT: 0
; COMPUTE_PGM_RSRC3_GFX90A:ACCUM_OFFSET: 9
; COMPUTE_PGM_RSRC3_GFX90A:TG_SPLIT: 0
	.section	.text._ZN7rocprim17ROCPRIM_400000_NS6detail17trampoline_kernelINS0_14default_configENS1_20scan_config_selectorIiEEZZNS1_9scan_implILNS1_25lookback_scan_determinismE0ELb0ELb0ES3_N6thrust23THRUST_200600_302600_NS6detail15normal_iteratorINS9_10device_ptrIiEEEESE_iNS9_4plusIvEEiEEDaPvRmT3_T4_T5_mT6_P12ihipStream_tbENKUlT_T0_E_clISt17integral_constantIbLb0EESU_EEDaSP_SQ_EUlSP_E_NS1_11comp_targetILNS1_3genE3ELNS1_11target_archE908ELNS1_3gpuE7ELNS1_3repE0EEENS1_30default_config_static_selectorELNS0_4arch9wavefront6targetE1EEEvT1_,"axG",@progbits,_ZN7rocprim17ROCPRIM_400000_NS6detail17trampoline_kernelINS0_14default_configENS1_20scan_config_selectorIiEEZZNS1_9scan_implILNS1_25lookback_scan_determinismE0ELb0ELb0ES3_N6thrust23THRUST_200600_302600_NS6detail15normal_iteratorINS9_10device_ptrIiEEEESE_iNS9_4plusIvEEiEEDaPvRmT3_T4_T5_mT6_P12ihipStream_tbENKUlT_T0_E_clISt17integral_constantIbLb0EESU_EEDaSP_SQ_EUlSP_E_NS1_11comp_targetILNS1_3genE3ELNS1_11target_archE908ELNS1_3gpuE7ELNS1_3repE0EEENS1_30default_config_static_selectorELNS0_4arch9wavefront6targetE1EEEvT1_,comdat
	.protected	_ZN7rocprim17ROCPRIM_400000_NS6detail17trampoline_kernelINS0_14default_configENS1_20scan_config_selectorIiEEZZNS1_9scan_implILNS1_25lookback_scan_determinismE0ELb0ELb0ES3_N6thrust23THRUST_200600_302600_NS6detail15normal_iteratorINS9_10device_ptrIiEEEESE_iNS9_4plusIvEEiEEDaPvRmT3_T4_T5_mT6_P12ihipStream_tbENKUlT_T0_E_clISt17integral_constantIbLb0EESU_EEDaSP_SQ_EUlSP_E_NS1_11comp_targetILNS1_3genE3ELNS1_11target_archE908ELNS1_3gpuE7ELNS1_3repE0EEENS1_30default_config_static_selectorELNS0_4arch9wavefront6targetE1EEEvT1_ ; -- Begin function _ZN7rocprim17ROCPRIM_400000_NS6detail17trampoline_kernelINS0_14default_configENS1_20scan_config_selectorIiEEZZNS1_9scan_implILNS1_25lookback_scan_determinismE0ELb0ELb0ES3_N6thrust23THRUST_200600_302600_NS6detail15normal_iteratorINS9_10device_ptrIiEEEESE_iNS9_4plusIvEEiEEDaPvRmT3_T4_T5_mT6_P12ihipStream_tbENKUlT_T0_E_clISt17integral_constantIbLb0EESU_EEDaSP_SQ_EUlSP_E_NS1_11comp_targetILNS1_3genE3ELNS1_11target_archE908ELNS1_3gpuE7ELNS1_3repE0EEENS1_30default_config_static_selectorELNS0_4arch9wavefront6targetE1EEEvT1_
	.globl	_ZN7rocprim17ROCPRIM_400000_NS6detail17trampoline_kernelINS0_14default_configENS1_20scan_config_selectorIiEEZZNS1_9scan_implILNS1_25lookback_scan_determinismE0ELb0ELb0ES3_N6thrust23THRUST_200600_302600_NS6detail15normal_iteratorINS9_10device_ptrIiEEEESE_iNS9_4plusIvEEiEEDaPvRmT3_T4_T5_mT6_P12ihipStream_tbENKUlT_T0_E_clISt17integral_constantIbLb0EESU_EEDaSP_SQ_EUlSP_E_NS1_11comp_targetILNS1_3genE3ELNS1_11target_archE908ELNS1_3gpuE7ELNS1_3repE0EEENS1_30default_config_static_selectorELNS0_4arch9wavefront6targetE1EEEvT1_
	.p2align	8
	.type	_ZN7rocprim17ROCPRIM_400000_NS6detail17trampoline_kernelINS0_14default_configENS1_20scan_config_selectorIiEEZZNS1_9scan_implILNS1_25lookback_scan_determinismE0ELb0ELb0ES3_N6thrust23THRUST_200600_302600_NS6detail15normal_iteratorINS9_10device_ptrIiEEEESE_iNS9_4plusIvEEiEEDaPvRmT3_T4_T5_mT6_P12ihipStream_tbENKUlT_T0_E_clISt17integral_constantIbLb0EESU_EEDaSP_SQ_EUlSP_E_NS1_11comp_targetILNS1_3genE3ELNS1_11target_archE908ELNS1_3gpuE7ELNS1_3repE0EEENS1_30default_config_static_selectorELNS0_4arch9wavefront6targetE1EEEvT1_,@function
_ZN7rocprim17ROCPRIM_400000_NS6detail17trampoline_kernelINS0_14default_configENS1_20scan_config_selectorIiEEZZNS1_9scan_implILNS1_25lookback_scan_determinismE0ELb0ELb0ES3_N6thrust23THRUST_200600_302600_NS6detail15normal_iteratorINS9_10device_ptrIiEEEESE_iNS9_4plusIvEEiEEDaPvRmT3_T4_T5_mT6_P12ihipStream_tbENKUlT_T0_E_clISt17integral_constantIbLb0EESU_EEDaSP_SQ_EUlSP_E_NS1_11comp_targetILNS1_3genE3ELNS1_11target_archE908ELNS1_3gpuE7ELNS1_3repE0EEENS1_30default_config_static_selectorELNS0_4arch9wavefront6targetE1EEEvT1_: ; @_ZN7rocprim17ROCPRIM_400000_NS6detail17trampoline_kernelINS0_14default_configENS1_20scan_config_selectorIiEEZZNS1_9scan_implILNS1_25lookback_scan_determinismE0ELb0ELb0ES3_N6thrust23THRUST_200600_302600_NS6detail15normal_iteratorINS9_10device_ptrIiEEEESE_iNS9_4plusIvEEiEEDaPvRmT3_T4_T5_mT6_P12ihipStream_tbENKUlT_T0_E_clISt17integral_constantIbLb0EESU_EEDaSP_SQ_EUlSP_E_NS1_11comp_targetILNS1_3genE3ELNS1_11target_archE908ELNS1_3gpuE7ELNS1_3repE0EEENS1_30default_config_static_selectorELNS0_4arch9wavefront6targetE1EEEvT1_
; %bb.0:
	.section	.rodata,"a",@progbits
	.p2align	6, 0x0
	.amdhsa_kernel _ZN7rocprim17ROCPRIM_400000_NS6detail17trampoline_kernelINS0_14default_configENS1_20scan_config_selectorIiEEZZNS1_9scan_implILNS1_25lookback_scan_determinismE0ELb0ELb0ES3_N6thrust23THRUST_200600_302600_NS6detail15normal_iteratorINS9_10device_ptrIiEEEESE_iNS9_4plusIvEEiEEDaPvRmT3_T4_T5_mT6_P12ihipStream_tbENKUlT_T0_E_clISt17integral_constantIbLb0EESU_EEDaSP_SQ_EUlSP_E_NS1_11comp_targetILNS1_3genE3ELNS1_11target_archE908ELNS1_3gpuE7ELNS1_3repE0EEENS1_30default_config_static_selectorELNS0_4arch9wavefront6targetE1EEEvT1_
		.amdhsa_group_segment_fixed_size 0
		.amdhsa_private_segment_fixed_size 0
		.amdhsa_kernarg_size 96
		.amdhsa_user_sgpr_count 6
		.amdhsa_user_sgpr_private_segment_buffer 1
		.amdhsa_user_sgpr_dispatch_ptr 0
		.amdhsa_user_sgpr_queue_ptr 0
		.amdhsa_user_sgpr_kernarg_segment_ptr 1
		.amdhsa_user_sgpr_dispatch_id 0
		.amdhsa_user_sgpr_flat_scratch_init 0
		.amdhsa_user_sgpr_kernarg_preload_length 0
		.amdhsa_user_sgpr_kernarg_preload_offset 0
		.amdhsa_user_sgpr_private_segment_size 0
		.amdhsa_uses_dynamic_stack 0
		.amdhsa_system_sgpr_private_segment_wavefront_offset 0
		.amdhsa_system_sgpr_workgroup_id_x 1
		.amdhsa_system_sgpr_workgroup_id_y 0
		.amdhsa_system_sgpr_workgroup_id_z 0
		.amdhsa_system_sgpr_workgroup_info 0
		.amdhsa_system_vgpr_workitem_id 0
		.amdhsa_next_free_vgpr 1
		.amdhsa_next_free_sgpr 0
		.amdhsa_accum_offset 4
		.amdhsa_reserve_vcc 0
		.amdhsa_reserve_flat_scratch 0
		.amdhsa_float_round_mode_32 0
		.amdhsa_float_round_mode_16_64 0
		.amdhsa_float_denorm_mode_32 3
		.amdhsa_float_denorm_mode_16_64 3
		.amdhsa_dx10_clamp 1
		.amdhsa_ieee_mode 1
		.amdhsa_fp16_overflow 0
		.amdhsa_tg_split 0
		.amdhsa_exception_fp_ieee_invalid_op 0
		.amdhsa_exception_fp_denorm_src 0
		.amdhsa_exception_fp_ieee_div_zero 0
		.amdhsa_exception_fp_ieee_overflow 0
		.amdhsa_exception_fp_ieee_underflow 0
		.amdhsa_exception_fp_ieee_inexact 0
		.amdhsa_exception_int_div_zero 0
	.end_amdhsa_kernel
	.section	.text._ZN7rocprim17ROCPRIM_400000_NS6detail17trampoline_kernelINS0_14default_configENS1_20scan_config_selectorIiEEZZNS1_9scan_implILNS1_25lookback_scan_determinismE0ELb0ELb0ES3_N6thrust23THRUST_200600_302600_NS6detail15normal_iteratorINS9_10device_ptrIiEEEESE_iNS9_4plusIvEEiEEDaPvRmT3_T4_T5_mT6_P12ihipStream_tbENKUlT_T0_E_clISt17integral_constantIbLb0EESU_EEDaSP_SQ_EUlSP_E_NS1_11comp_targetILNS1_3genE3ELNS1_11target_archE908ELNS1_3gpuE7ELNS1_3repE0EEENS1_30default_config_static_selectorELNS0_4arch9wavefront6targetE1EEEvT1_,"axG",@progbits,_ZN7rocprim17ROCPRIM_400000_NS6detail17trampoline_kernelINS0_14default_configENS1_20scan_config_selectorIiEEZZNS1_9scan_implILNS1_25lookback_scan_determinismE0ELb0ELb0ES3_N6thrust23THRUST_200600_302600_NS6detail15normal_iteratorINS9_10device_ptrIiEEEESE_iNS9_4plusIvEEiEEDaPvRmT3_T4_T5_mT6_P12ihipStream_tbENKUlT_T0_E_clISt17integral_constantIbLb0EESU_EEDaSP_SQ_EUlSP_E_NS1_11comp_targetILNS1_3genE3ELNS1_11target_archE908ELNS1_3gpuE7ELNS1_3repE0EEENS1_30default_config_static_selectorELNS0_4arch9wavefront6targetE1EEEvT1_,comdat
.Lfunc_end1343:
	.size	_ZN7rocprim17ROCPRIM_400000_NS6detail17trampoline_kernelINS0_14default_configENS1_20scan_config_selectorIiEEZZNS1_9scan_implILNS1_25lookback_scan_determinismE0ELb0ELb0ES3_N6thrust23THRUST_200600_302600_NS6detail15normal_iteratorINS9_10device_ptrIiEEEESE_iNS9_4plusIvEEiEEDaPvRmT3_T4_T5_mT6_P12ihipStream_tbENKUlT_T0_E_clISt17integral_constantIbLb0EESU_EEDaSP_SQ_EUlSP_E_NS1_11comp_targetILNS1_3genE3ELNS1_11target_archE908ELNS1_3gpuE7ELNS1_3repE0EEENS1_30default_config_static_selectorELNS0_4arch9wavefront6targetE1EEEvT1_, .Lfunc_end1343-_ZN7rocprim17ROCPRIM_400000_NS6detail17trampoline_kernelINS0_14default_configENS1_20scan_config_selectorIiEEZZNS1_9scan_implILNS1_25lookback_scan_determinismE0ELb0ELb0ES3_N6thrust23THRUST_200600_302600_NS6detail15normal_iteratorINS9_10device_ptrIiEEEESE_iNS9_4plusIvEEiEEDaPvRmT3_T4_T5_mT6_P12ihipStream_tbENKUlT_T0_E_clISt17integral_constantIbLb0EESU_EEDaSP_SQ_EUlSP_E_NS1_11comp_targetILNS1_3genE3ELNS1_11target_archE908ELNS1_3gpuE7ELNS1_3repE0EEENS1_30default_config_static_selectorELNS0_4arch9wavefront6targetE1EEEvT1_
                                        ; -- End function
	.section	.AMDGPU.csdata,"",@progbits
; Kernel info:
; codeLenInByte = 0
; NumSgprs: 4
; NumVgprs: 0
; NumAgprs: 0
; TotalNumVgprs: 0
; ScratchSize: 0
; MemoryBound: 0
; FloatMode: 240
; IeeeMode: 1
; LDSByteSize: 0 bytes/workgroup (compile time only)
; SGPRBlocks: 0
; VGPRBlocks: 0
; NumSGPRsForWavesPerEU: 4
; NumVGPRsForWavesPerEU: 1
; AccumOffset: 4
; Occupancy: 8
; WaveLimiterHint : 0
; COMPUTE_PGM_RSRC2:SCRATCH_EN: 0
; COMPUTE_PGM_RSRC2:USER_SGPR: 6
; COMPUTE_PGM_RSRC2:TRAP_HANDLER: 0
; COMPUTE_PGM_RSRC2:TGID_X_EN: 1
; COMPUTE_PGM_RSRC2:TGID_Y_EN: 0
; COMPUTE_PGM_RSRC2:TGID_Z_EN: 0
; COMPUTE_PGM_RSRC2:TIDIG_COMP_CNT: 0
; COMPUTE_PGM_RSRC3_GFX90A:ACCUM_OFFSET: 0
; COMPUTE_PGM_RSRC3_GFX90A:TG_SPLIT: 0
	.section	.text._ZN7rocprim17ROCPRIM_400000_NS6detail17trampoline_kernelINS0_14default_configENS1_20scan_config_selectorIiEEZZNS1_9scan_implILNS1_25lookback_scan_determinismE0ELb0ELb0ES3_N6thrust23THRUST_200600_302600_NS6detail15normal_iteratorINS9_10device_ptrIiEEEESE_iNS9_4plusIvEEiEEDaPvRmT3_T4_T5_mT6_P12ihipStream_tbENKUlT_T0_E_clISt17integral_constantIbLb0EESU_EEDaSP_SQ_EUlSP_E_NS1_11comp_targetILNS1_3genE2ELNS1_11target_archE906ELNS1_3gpuE6ELNS1_3repE0EEENS1_30default_config_static_selectorELNS0_4arch9wavefront6targetE1EEEvT1_,"axG",@progbits,_ZN7rocprim17ROCPRIM_400000_NS6detail17trampoline_kernelINS0_14default_configENS1_20scan_config_selectorIiEEZZNS1_9scan_implILNS1_25lookback_scan_determinismE0ELb0ELb0ES3_N6thrust23THRUST_200600_302600_NS6detail15normal_iteratorINS9_10device_ptrIiEEEESE_iNS9_4plusIvEEiEEDaPvRmT3_T4_T5_mT6_P12ihipStream_tbENKUlT_T0_E_clISt17integral_constantIbLb0EESU_EEDaSP_SQ_EUlSP_E_NS1_11comp_targetILNS1_3genE2ELNS1_11target_archE906ELNS1_3gpuE6ELNS1_3repE0EEENS1_30default_config_static_selectorELNS0_4arch9wavefront6targetE1EEEvT1_,comdat
	.protected	_ZN7rocprim17ROCPRIM_400000_NS6detail17trampoline_kernelINS0_14default_configENS1_20scan_config_selectorIiEEZZNS1_9scan_implILNS1_25lookback_scan_determinismE0ELb0ELb0ES3_N6thrust23THRUST_200600_302600_NS6detail15normal_iteratorINS9_10device_ptrIiEEEESE_iNS9_4plusIvEEiEEDaPvRmT3_T4_T5_mT6_P12ihipStream_tbENKUlT_T0_E_clISt17integral_constantIbLb0EESU_EEDaSP_SQ_EUlSP_E_NS1_11comp_targetILNS1_3genE2ELNS1_11target_archE906ELNS1_3gpuE6ELNS1_3repE0EEENS1_30default_config_static_selectorELNS0_4arch9wavefront6targetE1EEEvT1_ ; -- Begin function _ZN7rocprim17ROCPRIM_400000_NS6detail17trampoline_kernelINS0_14default_configENS1_20scan_config_selectorIiEEZZNS1_9scan_implILNS1_25lookback_scan_determinismE0ELb0ELb0ES3_N6thrust23THRUST_200600_302600_NS6detail15normal_iteratorINS9_10device_ptrIiEEEESE_iNS9_4plusIvEEiEEDaPvRmT3_T4_T5_mT6_P12ihipStream_tbENKUlT_T0_E_clISt17integral_constantIbLb0EESU_EEDaSP_SQ_EUlSP_E_NS1_11comp_targetILNS1_3genE2ELNS1_11target_archE906ELNS1_3gpuE6ELNS1_3repE0EEENS1_30default_config_static_selectorELNS0_4arch9wavefront6targetE1EEEvT1_
	.globl	_ZN7rocprim17ROCPRIM_400000_NS6detail17trampoline_kernelINS0_14default_configENS1_20scan_config_selectorIiEEZZNS1_9scan_implILNS1_25lookback_scan_determinismE0ELb0ELb0ES3_N6thrust23THRUST_200600_302600_NS6detail15normal_iteratorINS9_10device_ptrIiEEEESE_iNS9_4plusIvEEiEEDaPvRmT3_T4_T5_mT6_P12ihipStream_tbENKUlT_T0_E_clISt17integral_constantIbLb0EESU_EEDaSP_SQ_EUlSP_E_NS1_11comp_targetILNS1_3genE2ELNS1_11target_archE906ELNS1_3gpuE6ELNS1_3repE0EEENS1_30default_config_static_selectorELNS0_4arch9wavefront6targetE1EEEvT1_
	.p2align	8
	.type	_ZN7rocprim17ROCPRIM_400000_NS6detail17trampoline_kernelINS0_14default_configENS1_20scan_config_selectorIiEEZZNS1_9scan_implILNS1_25lookback_scan_determinismE0ELb0ELb0ES3_N6thrust23THRUST_200600_302600_NS6detail15normal_iteratorINS9_10device_ptrIiEEEESE_iNS9_4plusIvEEiEEDaPvRmT3_T4_T5_mT6_P12ihipStream_tbENKUlT_T0_E_clISt17integral_constantIbLb0EESU_EEDaSP_SQ_EUlSP_E_NS1_11comp_targetILNS1_3genE2ELNS1_11target_archE906ELNS1_3gpuE6ELNS1_3repE0EEENS1_30default_config_static_selectorELNS0_4arch9wavefront6targetE1EEEvT1_,@function
_ZN7rocprim17ROCPRIM_400000_NS6detail17trampoline_kernelINS0_14default_configENS1_20scan_config_selectorIiEEZZNS1_9scan_implILNS1_25lookback_scan_determinismE0ELb0ELb0ES3_N6thrust23THRUST_200600_302600_NS6detail15normal_iteratorINS9_10device_ptrIiEEEESE_iNS9_4plusIvEEiEEDaPvRmT3_T4_T5_mT6_P12ihipStream_tbENKUlT_T0_E_clISt17integral_constantIbLb0EESU_EEDaSP_SQ_EUlSP_E_NS1_11comp_targetILNS1_3genE2ELNS1_11target_archE906ELNS1_3gpuE6ELNS1_3repE0EEENS1_30default_config_static_selectorELNS0_4arch9wavefront6targetE1EEEvT1_: ; @_ZN7rocprim17ROCPRIM_400000_NS6detail17trampoline_kernelINS0_14default_configENS1_20scan_config_selectorIiEEZZNS1_9scan_implILNS1_25lookback_scan_determinismE0ELb0ELb0ES3_N6thrust23THRUST_200600_302600_NS6detail15normal_iteratorINS9_10device_ptrIiEEEESE_iNS9_4plusIvEEiEEDaPvRmT3_T4_T5_mT6_P12ihipStream_tbENKUlT_T0_E_clISt17integral_constantIbLb0EESU_EEDaSP_SQ_EUlSP_E_NS1_11comp_targetILNS1_3genE2ELNS1_11target_archE906ELNS1_3gpuE6ELNS1_3repE0EEENS1_30default_config_static_selectorELNS0_4arch9wavefront6targetE1EEEvT1_
; %bb.0:
	.section	.rodata,"a",@progbits
	.p2align	6, 0x0
	.amdhsa_kernel _ZN7rocprim17ROCPRIM_400000_NS6detail17trampoline_kernelINS0_14default_configENS1_20scan_config_selectorIiEEZZNS1_9scan_implILNS1_25lookback_scan_determinismE0ELb0ELb0ES3_N6thrust23THRUST_200600_302600_NS6detail15normal_iteratorINS9_10device_ptrIiEEEESE_iNS9_4plusIvEEiEEDaPvRmT3_T4_T5_mT6_P12ihipStream_tbENKUlT_T0_E_clISt17integral_constantIbLb0EESU_EEDaSP_SQ_EUlSP_E_NS1_11comp_targetILNS1_3genE2ELNS1_11target_archE906ELNS1_3gpuE6ELNS1_3repE0EEENS1_30default_config_static_selectorELNS0_4arch9wavefront6targetE1EEEvT1_
		.amdhsa_group_segment_fixed_size 0
		.amdhsa_private_segment_fixed_size 0
		.amdhsa_kernarg_size 96
		.amdhsa_user_sgpr_count 6
		.amdhsa_user_sgpr_private_segment_buffer 1
		.amdhsa_user_sgpr_dispatch_ptr 0
		.amdhsa_user_sgpr_queue_ptr 0
		.amdhsa_user_sgpr_kernarg_segment_ptr 1
		.amdhsa_user_sgpr_dispatch_id 0
		.amdhsa_user_sgpr_flat_scratch_init 0
		.amdhsa_user_sgpr_kernarg_preload_length 0
		.amdhsa_user_sgpr_kernarg_preload_offset 0
		.amdhsa_user_sgpr_private_segment_size 0
		.amdhsa_uses_dynamic_stack 0
		.amdhsa_system_sgpr_private_segment_wavefront_offset 0
		.amdhsa_system_sgpr_workgroup_id_x 1
		.amdhsa_system_sgpr_workgroup_id_y 0
		.amdhsa_system_sgpr_workgroup_id_z 0
		.amdhsa_system_sgpr_workgroup_info 0
		.amdhsa_system_vgpr_workitem_id 0
		.amdhsa_next_free_vgpr 1
		.amdhsa_next_free_sgpr 0
		.amdhsa_accum_offset 4
		.amdhsa_reserve_vcc 0
		.amdhsa_reserve_flat_scratch 0
		.amdhsa_float_round_mode_32 0
		.amdhsa_float_round_mode_16_64 0
		.amdhsa_float_denorm_mode_32 3
		.amdhsa_float_denorm_mode_16_64 3
		.amdhsa_dx10_clamp 1
		.amdhsa_ieee_mode 1
		.amdhsa_fp16_overflow 0
		.amdhsa_tg_split 0
		.amdhsa_exception_fp_ieee_invalid_op 0
		.amdhsa_exception_fp_denorm_src 0
		.amdhsa_exception_fp_ieee_div_zero 0
		.amdhsa_exception_fp_ieee_overflow 0
		.amdhsa_exception_fp_ieee_underflow 0
		.amdhsa_exception_fp_ieee_inexact 0
		.amdhsa_exception_int_div_zero 0
	.end_amdhsa_kernel
	.section	.text._ZN7rocprim17ROCPRIM_400000_NS6detail17trampoline_kernelINS0_14default_configENS1_20scan_config_selectorIiEEZZNS1_9scan_implILNS1_25lookback_scan_determinismE0ELb0ELb0ES3_N6thrust23THRUST_200600_302600_NS6detail15normal_iteratorINS9_10device_ptrIiEEEESE_iNS9_4plusIvEEiEEDaPvRmT3_T4_T5_mT6_P12ihipStream_tbENKUlT_T0_E_clISt17integral_constantIbLb0EESU_EEDaSP_SQ_EUlSP_E_NS1_11comp_targetILNS1_3genE2ELNS1_11target_archE906ELNS1_3gpuE6ELNS1_3repE0EEENS1_30default_config_static_selectorELNS0_4arch9wavefront6targetE1EEEvT1_,"axG",@progbits,_ZN7rocprim17ROCPRIM_400000_NS6detail17trampoline_kernelINS0_14default_configENS1_20scan_config_selectorIiEEZZNS1_9scan_implILNS1_25lookback_scan_determinismE0ELb0ELb0ES3_N6thrust23THRUST_200600_302600_NS6detail15normal_iteratorINS9_10device_ptrIiEEEESE_iNS9_4plusIvEEiEEDaPvRmT3_T4_T5_mT6_P12ihipStream_tbENKUlT_T0_E_clISt17integral_constantIbLb0EESU_EEDaSP_SQ_EUlSP_E_NS1_11comp_targetILNS1_3genE2ELNS1_11target_archE906ELNS1_3gpuE6ELNS1_3repE0EEENS1_30default_config_static_selectorELNS0_4arch9wavefront6targetE1EEEvT1_,comdat
.Lfunc_end1344:
	.size	_ZN7rocprim17ROCPRIM_400000_NS6detail17trampoline_kernelINS0_14default_configENS1_20scan_config_selectorIiEEZZNS1_9scan_implILNS1_25lookback_scan_determinismE0ELb0ELb0ES3_N6thrust23THRUST_200600_302600_NS6detail15normal_iteratorINS9_10device_ptrIiEEEESE_iNS9_4plusIvEEiEEDaPvRmT3_T4_T5_mT6_P12ihipStream_tbENKUlT_T0_E_clISt17integral_constantIbLb0EESU_EEDaSP_SQ_EUlSP_E_NS1_11comp_targetILNS1_3genE2ELNS1_11target_archE906ELNS1_3gpuE6ELNS1_3repE0EEENS1_30default_config_static_selectorELNS0_4arch9wavefront6targetE1EEEvT1_, .Lfunc_end1344-_ZN7rocprim17ROCPRIM_400000_NS6detail17trampoline_kernelINS0_14default_configENS1_20scan_config_selectorIiEEZZNS1_9scan_implILNS1_25lookback_scan_determinismE0ELb0ELb0ES3_N6thrust23THRUST_200600_302600_NS6detail15normal_iteratorINS9_10device_ptrIiEEEESE_iNS9_4plusIvEEiEEDaPvRmT3_T4_T5_mT6_P12ihipStream_tbENKUlT_T0_E_clISt17integral_constantIbLb0EESU_EEDaSP_SQ_EUlSP_E_NS1_11comp_targetILNS1_3genE2ELNS1_11target_archE906ELNS1_3gpuE6ELNS1_3repE0EEENS1_30default_config_static_selectorELNS0_4arch9wavefront6targetE1EEEvT1_
                                        ; -- End function
	.section	.AMDGPU.csdata,"",@progbits
; Kernel info:
; codeLenInByte = 0
; NumSgprs: 4
; NumVgprs: 0
; NumAgprs: 0
; TotalNumVgprs: 0
; ScratchSize: 0
; MemoryBound: 0
; FloatMode: 240
; IeeeMode: 1
; LDSByteSize: 0 bytes/workgroup (compile time only)
; SGPRBlocks: 0
; VGPRBlocks: 0
; NumSGPRsForWavesPerEU: 4
; NumVGPRsForWavesPerEU: 1
; AccumOffset: 4
; Occupancy: 8
; WaveLimiterHint : 0
; COMPUTE_PGM_RSRC2:SCRATCH_EN: 0
; COMPUTE_PGM_RSRC2:USER_SGPR: 6
; COMPUTE_PGM_RSRC2:TRAP_HANDLER: 0
; COMPUTE_PGM_RSRC2:TGID_X_EN: 1
; COMPUTE_PGM_RSRC2:TGID_Y_EN: 0
; COMPUTE_PGM_RSRC2:TGID_Z_EN: 0
; COMPUTE_PGM_RSRC2:TIDIG_COMP_CNT: 0
; COMPUTE_PGM_RSRC3_GFX90A:ACCUM_OFFSET: 0
; COMPUTE_PGM_RSRC3_GFX90A:TG_SPLIT: 0
	.section	.text._ZN7rocprim17ROCPRIM_400000_NS6detail17trampoline_kernelINS0_14default_configENS1_20scan_config_selectorIiEEZZNS1_9scan_implILNS1_25lookback_scan_determinismE0ELb0ELb0ES3_N6thrust23THRUST_200600_302600_NS6detail15normal_iteratorINS9_10device_ptrIiEEEESE_iNS9_4plusIvEEiEEDaPvRmT3_T4_T5_mT6_P12ihipStream_tbENKUlT_T0_E_clISt17integral_constantIbLb0EESU_EEDaSP_SQ_EUlSP_E_NS1_11comp_targetILNS1_3genE10ELNS1_11target_archE1201ELNS1_3gpuE5ELNS1_3repE0EEENS1_30default_config_static_selectorELNS0_4arch9wavefront6targetE1EEEvT1_,"axG",@progbits,_ZN7rocprim17ROCPRIM_400000_NS6detail17trampoline_kernelINS0_14default_configENS1_20scan_config_selectorIiEEZZNS1_9scan_implILNS1_25lookback_scan_determinismE0ELb0ELb0ES3_N6thrust23THRUST_200600_302600_NS6detail15normal_iteratorINS9_10device_ptrIiEEEESE_iNS9_4plusIvEEiEEDaPvRmT3_T4_T5_mT6_P12ihipStream_tbENKUlT_T0_E_clISt17integral_constantIbLb0EESU_EEDaSP_SQ_EUlSP_E_NS1_11comp_targetILNS1_3genE10ELNS1_11target_archE1201ELNS1_3gpuE5ELNS1_3repE0EEENS1_30default_config_static_selectorELNS0_4arch9wavefront6targetE1EEEvT1_,comdat
	.protected	_ZN7rocprim17ROCPRIM_400000_NS6detail17trampoline_kernelINS0_14default_configENS1_20scan_config_selectorIiEEZZNS1_9scan_implILNS1_25lookback_scan_determinismE0ELb0ELb0ES3_N6thrust23THRUST_200600_302600_NS6detail15normal_iteratorINS9_10device_ptrIiEEEESE_iNS9_4plusIvEEiEEDaPvRmT3_T4_T5_mT6_P12ihipStream_tbENKUlT_T0_E_clISt17integral_constantIbLb0EESU_EEDaSP_SQ_EUlSP_E_NS1_11comp_targetILNS1_3genE10ELNS1_11target_archE1201ELNS1_3gpuE5ELNS1_3repE0EEENS1_30default_config_static_selectorELNS0_4arch9wavefront6targetE1EEEvT1_ ; -- Begin function _ZN7rocprim17ROCPRIM_400000_NS6detail17trampoline_kernelINS0_14default_configENS1_20scan_config_selectorIiEEZZNS1_9scan_implILNS1_25lookback_scan_determinismE0ELb0ELb0ES3_N6thrust23THRUST_200600_302600_NS6detail15normal_iteratorINS9_10device_ptrIiEEEESE_iNS9_4plusIvEEiEEDaPvRmT3_T4_T5_mT6_P12ihipStream_tbENKUlT_T0_E_clISt17integral_constantIbLb0EESU_EEDaSP_SQ_EUlSP_E_NS1_11comp_targetILNS1_3genE10ELNS1_11target_archE1201ELNS1_3gpuE5ELNS1_3repE0EEENS1_30default_config_static_selectorELNS0_4arch9wavefront6targetE1EEEvT1_
	.globl	_ZN7rocprim17ROCPRIM_400000_NS6detail17trampoline_kernelINS0_14default_configENS1_20scan_config_selectorIiEEZZNS1_9scan_implILNS1_25lookback_scan_determinismE0ELb0ELb0ES3_N6thrust23THRUST_200600_302600_NS6detail15normal_iteratorINS9_10device_ptrIiEEEESE_iNS9_4plusIvEEiEEDaPvRmT3_T4_T5_mT6_P12ihipStream_tbENKUlT_T0_E_clISt17integral_constantIbLb0EESU_EEDaSP_SQ_EUlSP_E_NS1_11comp_targetILNS1_3genE10ELNS1_11target_archE1201ELNS1_3gpuE5ELNS1_3repE0EEENS1_30default_config_static_selectorELNS0_4arch9wavefront6targetE1EEEvT1_
	.p2align	8
	.type	_ZN7rocprim17ROCPRIM_400000_NS6detail17trampoline_kernelINS0_14default_configENS1_20scan_config_selectorIiEEZZNS1_9scan_implILNS1_25lookback_scan_determinismE0ELb0ELb0ES3_N6thrust23THRUST_200600_302600_NS6detail15normal_iteratorINS9_10device_ptrIiEEEESE_iNS9_4plusIvEEiEEDaPvRmT3_T4_T5_mT6_P12ihipStream_tbENKUlT_T0_E_clISt17integral_constantIbLb0EESU_EEDaSP_SQ_EUlSP_E_NS1_11comp_targetILNS1_3genE10ELNS1_11target_archE1201ELNS1_3gpuE5ELNS1_3repE0EEENS1_30default_config_static_selectorELNS0_4arch9wavefront6targetE1EEEvT1_,@function
_ZN7rocprim17ROCPRIM_400000_NS6detail17trampoline_kernelINS0_14default_configENS1_20scan_config_selectorIiEEZZNS1_9scan_implILNS1_25lookback_scan_determinismE0ELb0ELb0ES3_N6thrust23THRUST_200600_302600_NS6detail15normal_iteratorINS9_10device_ptrIiEEEESE_iNS9_4plusIvEEiEEDaPvRmT3_T4_T5_mT6_P12ihipStream_tbENKUlT_T0_E_clISt17integral_constantIbLb0EESU_EEDaSP_SQ_EUlSP_E_NS1_11comp_targetILNS1_3genE10ELNS1_11target_archE1201ELNS1_3gpuE5ELNS1_3repE0EEENS1_30default_config_static_selectorELNS0_4arch9wavefront6targetE1EEEvT1_: ; @_ZN7rocprim17ROCPRIM_400000_NS6detail17trampoline_kernelINS0_14default_configENS1_20scan_config_selectorIiEEZZNS1_9scan_implILNS1_25lookback_scan_determinismE0ELb0ELb0ES3_N6thrust23THRUST_200600_302600_NS6detail15normal_iteratorINS9_10device_ptrIiEEEESE_iNS9_4plusIvEEiEEDaPvRmT3_T4_T5_mT6_P12ihipStream_tbENKUlT_T0_E_clISt17integral_constantIbLb0EESU_EEDaSP_SQ_EUlSP_E_NS1_11comp_targetILNS1_3genE10ELNS1_11target_archE1201ELNS1_3gpuE5ELNS1_3repE0EEENS1_30default_config_static_selectorELNS0_4arch9wavefront6targetE1EEEvT1_
; %bb.0:
	.section	.rodata,"a",@progbits
	.p2align	6, 0x0
	.amdhsa_kernel _ZN7rocprim17ROCPRIM_400000_NS6detail17trampoline_kernelINS0_14default_configENS1_20scan_config_selectorIiEEZZNS1_9scan_implILNS1_25lookback_scan_determinismE0ELb0ELb0ES3_N6thrust23THRUST_200600_302600_NS6detail15normal_iteratorINS9_10device_ptrIiEEEESE_iNS9_4plusIvEEiEEDaPvRmT3_T4_T5_mT6_P12ihipStream_tbENKUlT_T0_E_clISt17integral_constantIbLb0EESU_EEDaSP_SQ_EUlSP_E_NS1_11comp_targetILNS1_3genE10ELNS1_11target_archE1201ELNS1_3gpuE5ELNS1_3repE0EEENS1_30default_config_static_selectorELNS0_4arch9wavefront6targetE1EEEvT1_
		.amdhsa_group_segment_fixed_size 0
		.amdhsa_private_segment_fixed_size 0
		.amdhsa_kernarg_size 96
		.amdhsa_user_sgpr_count 6
		.amdhsa_user_sgpr_private_segment_buffer 1
		.amdhsa_user_sgpr_dispatch_ptr 0
		.amdhsa_user_sgpr_queue_ptr 0
		.amdhsa_user_sgpr_kernarg_segment_ptr 1
		.amdhsa_user_sgpr_dispatch_id 0
		.amdhsa_user_sgpr_flat_scratch_init 0
		.amdhsa_user_sgpr_kernarg_preload_length 0
		.amdhsa_user_sgpr_kernarg_preload_offset 0
		.amdhsa_user_sgpr_private_segment_size 0
		.amdhsa_uses_dynamic_stack 0
		.amdhsa_system_sgpr_private_segment_wavefront_offset 0
		.amdhsa_system_sgpr_workgroup_id_x 1
		.amdhsa_system_sgpr_workgroup_id_y 0
		.amdhsa_system_sgpr_workgroup_id_z 0
		.amdhsa_system_sgpr_workgroup_info 0
		.amdhsa_system_vgpr_workitem_id 0
		.amdhsa_next_free_vgpr 1
		.amdhsa_next_free_sgpr 0
		.amdhsa_accum_offset 4
		.amdhsa_reserve_vcc 0
		.amdhsa_reserve_flat_scratch 0
		.amdhsa_float_round_mode_32 0
		.amdhsa_float_round_mode_16_64 0
		.amdhsa_float_denorm_mode_32 3
		.amdhsa_float_denorm_mode_16_64 3
		.amdhsa_dx10_clamp 1
		.amdhsa_ieee_mode 1
		.amdhsa_fp16_overflow 0
		.amdhsa_tg_split 0
		.amdhsa_exception_fp_ieee_invalid_op 0
		.amdhsa_exception_fp_denorm_src 0
		.amdhsa_exception_fp_ieee_div_zero 0
		.amdhsa_exception_fp_ieee_overflow 0
		.amdhsa_exception_fp_ieee_underflow 0
		.amdhsa_exception_fp_ieee_inexact 0
		.amdhsa_exception_int_div_zero 0
	.end_amdhsa_kernel
	.section	.text._ZN7rocprim17ROCPRIM_400000_NS6detail17trampoline_kernelINS0_14default_configENS1_20scan_config_selectorIiEEZZNS1_9scan_implILNS1_25lookback_scan_determinismE0ELb0ELb0ES3_N6thrust23THRUST_200600_302600_NS6detail15normal_iteratorINS9_10device_ptrIiEEEESE_iNS9_4plusIvEEiEEDaPvRmT3_T4_T5_mT6_P12ihipStream_tbENKUlT_T0_E_clISt17integral_constantIbLb0EESU_EEDaSP_SQ_EUlSP_E_NS1_11comp_targetILNS1_3genE10ELNS1_11target_archE1201ELNS1_3gpuE5ELNS1_3repE0EEENS1_30default_config_static_selectorELNS0_4arch9wavefront6targetE1EEEvT1_,"axG",@progbits,_ZN7rocprim17ROCPRIM_400000_NS6detail17trampoline_kernelINS0_14default_configENS1_20scan_config_selectorIiEEZZNS1_9scan_implILNS1_25lookback_scan_determinismE0ELb0ELb0ES3_N6thrust23THRUST_200600_302600_NS6detail15normal_iteratorINS9_10device_ptrIiEEEESE_iNS9_4plusIvEEiEEDaPvRmT3_T4_T5_mT6_P12ihipStream_tbENKUlT_T0_E_clISt17integral_constantIbLb0EESU_EEDaSP_SQ_EUlSP_E_NS1_11comp_targetILNS1_3genE10ELNS1_11target_archE1201ELNS1_3gpuE5ELNS1_3repE0EEENS1_30default_config_static_selectorELNS0_4arch9wavefront6targetE1EEEvT1_,comdat
.Lfunc_end1345:
	.size	_ZN7rocprim17ROCPRIM_400000_NS6detail17trampoline_kernelINS0_14default_configENS1_20scan_config_selectorIiEEZZNS1_9scan_implILNS1_25lookback_scan_determinismE0ELb0ELb0ES3_N6thrust23THRUST_200600_302600_NS6detail15normal_iteratorINS9_10device_ptrIiEEEESE_iNS9_4plusIvEEiEEDaPvRmT3_T4_T5_mT6_P12ihipStream_tbENKUlT_T0_E_clISt17integral_constantIbLb0EESU_EEDaSP_SQ_EUlSP_E_NS1_11comp_targetILNS1_3genE10ELNS1_11target_archE1201ELNS1_3gpuE5ELNS1_3repE0EEENS1_30default_config_static_selectorELNS0_4arch9wavefront6targetE1EEEvT1_, .Lfunc_end1345-_ZN7rocprim17ROCPRIM_400000_NS6detail17trampoline_kernelINS0_14default_configENS1_20scan_config_selectorIiEEZZNS1_9scan_implILNS1_25lookback_scan_determinismE0ELb0ELb0ES3_N6thrust23THRUST_200600_302600_NS6detail15normal_iteratorINS9_10device_ptrIiEEEESE_iNS9_4plusIvEEiEEDaPvRmT3_T4_T5_mT6_P12ihipStream_tbENKUlT_T0_E_clISt17integral_constantIbLb0EESU_EEDaSP_SQ_EUlSP_E_NS1_11comp_targetILNS1_3genE10ELNS1_11target_archE1201ELNS1_3gpuE5ELNS1_3repE0EEENS1_30default_config_static_selectorELNS0_4arch9wavefront6targetE1EEEvT1_
                                        ; -- End function
	.section	.AMDGPU.csdata,"",@progbits
; Kernel info:
; codeLenInByte = 0
; NumSgprs: 4
; NumVgprs: 0
; NumAgprs: 0
; TotalNumVgprs: 0
; ScratchSize: 0
; MemoryBound: 0
; FloatMode: 240
; IeeeMode: 1
; LDSByteSize: 0 bytes/workgroup (compile time only)
; SGPRBlocks: 0
; VGPRBlocks: 0
; NumSGPRsForWavesPerEU: 4
; NumVGPRsForWavesPerEU: 1
; AccumOffset: 4
; Occupancy: 8
; WaveLimiterHint : 0
; COMPUTE_PGM_RSRC2:SCRATCH_EN: 0
; COMPUTE_PGM_RSRC2:USER_SGPR: 6
; COMPUTE_PGM_RSRC2:TRAP_HANDLER: 0
; COMPUTE_PGM_RSRC2:TGID_X_EN: 1
; COMPUTE_PGM_RSRC2:TGID_Y_EN: 0
; COMPUTE_PGM_RSRC2:TGID_Z_EN: 0
; COMPUTE_PGM_RSRC2:TIDIG_COMP_CNT: 0
; COMPUTE_PGM_RSRC3_GFX90A:ACCUM_OFFSET: 0
; COMPUTE_PGM_RSRC3_GFX90A:TG_SPLIT: 0
	.section	.text._ZN7rocprim17ROCPRIM_400000_NS6detail17trampoline_kernelINS0_14default_configENS1_20scan_config_selectorIiEEZZNS1_9scan_implILNS1_25lookback_scan_determinismE0ELb0ELb0ES3_N6thrust23THRUST_200600_302600_NS6detail15normal_iteratorINS9_10device_ptrIiEEEESE_iNS9_4plusIvEEiEEDaPvRmT3_T4_T5_mT6_P12ihipStream_tbENKUlT_T0_E_clISt17integral_constantIbLb0EESU_EEDaSP_SQ_EUlSP_E_NS1_11comp_targetILNS1_3genE10ELNS1_11target_archE1200ELNS1_3gpuE4ELNS1_3repE0EEENS1_30default_config_static_selectorELNS0_4arch9wavefront6targetE1EEEvT1_,"axG",@progbits,_ZN7rocprim17ROCPRIM_400000_NS6detail17trampoline_kernelINS0_14default_configENS1_20scan_config_selectorIiEEZZNS1_9scan_implILNS1_25lookback_scan_determinismE0ELb0ELb0ES3_N6thrust23THRUST_200600_302600_NS6detail15normal_iteratorINS9_10device_ptrIiEEEESE_iNS9_4plusIvEEiEEDaPvRmT3_T4_T5_mT6_P12ihipStream_tbENKUlT_T0_E_clISt17integral_constantIbLb0EESU_EEDaSP_SQ_EUlSP_E_NS1_11comp_targetILNS1_3genE10ELNS1_11target_archE1200ELNS1_3gpuE4ELNS1_3repE0EEENS1_30default_config_static_selectorELNS0_4arch9wavefront6targetE1EEEvT1_,comdat
	.protected	_ZN7rocprim17ROCPRIM_400000_NS6detail17trampoline_kernelINS0_14default_configENS1_20scan_config_selectorIiEEZZNS1_9scan_implILNS1_25lookback_scan_determinismE0ELb0ELb0ES3_N6thrust23THRUST_200600_302600_NS6detail15normal_iteratorINS9_10device_ptrIiEEEESE_iNS9_4plusIvEEiEEDaPvRmT3_T4_T5_mT6_P12ihipStream_tbENKUlT_T0_E_clISt17integral_constantIbLb0EESU_EEDaSP_SQ_EUlSP_E_NS1_11comp_targetILNS1_3genE10ELNS1_11target_archE1200ELNS1_3gpuE4ELNS1_3repE0EEENS1_30default_config_static_selectorELNS0_4arch9wavefront6targetE1EEEvT1_ ; -- Begin function _ZN7rocprim17ROCPRIM_400000_NS6detail17trampoline_kernelINS0_14default_configENS1_20scan_config_selectorIiEEZZNS1_9scan_implILNS1_25lookback_scan_determinismE0ELb0ELb0ES3_N6thrust23THRUST_200600_302600_NS6detail15normal_iteratorINS9_10device_ptrIiEEEESE_iNS9_4plusIvEEiEEDaPvRmT3_T4_T5_mT6_P12ihipStream_tbENKUlT_T0_E_clISt17integral_constantIbLb0EESU_EEDaSP_SQ_EUlSP_E_NS1_11comp_targetILNS1_3genE10ELNS1_11target_archE1200ELNS1_3gpuE4ELNS1_3repE0EEENS1_30default_config_static_selectorELNS0_4arch9wavefront6targetE1EEEvT1_
	.globl	_ZN7rocprim17ROCPRIM_400000_NS6detail17trampoline_kernelINS0_14default_configENS1_20scan_config_selectorIiEEZZNS1_9scan_implILNS1_25lookback_scan_determinismE0ELb0ELb0ES3_N6thrust23THRUST_200600_302600_NS6detail15normal_iteratorINS9_10device_ptrIiEEEESE_iNS9_4plusIvEEiEEDaPvRmT3_T4_T5_mT6_P12ihipStream_tbENKUlT_T0_E_clISt17integral_constantIbLb0EESU_EEDaSP_SQ_EUlSP_E_NS1_11comp_targetILNS1_3genE10ELNS1_11target_archE1200ELNS1_3gpuE4ELNS1_3repE0EEENS1_30default_config_static_selectorELNS0_4arch9wavefront6targetE1EEEvT1_
	.p2align	8
	.type	_ZN7rocprim17ROCPRIM_400000_NS6detail17trampoline_kernelINS0_14default_configENS1_20scan_config_selectorIiEEZZNS1_9scan_implILNS1_25lookback_scan_determinismE0ELb0ELb0ES3_N6thrust23THRUST_200600_302600_NS6detail15normal_iteratorINS9_10device_ptrIiEEEESE_iNS9_4plusIvEEiEEDaPvRmT3_T4_T5_mT6_P12ihipStream_tbENKUlT_T0_E_clISt17integral_constantIbLb0EESU_EEDaSP_SQ_EUlSP_E_NS1_11comp_targetILNS1_3genE10ELNS1_11target_archE1200ELNS1_3gpuE4ELNS1_3repE0EEENS1_30default_config_static_selectorELNS0_4arch9wavefront6targetE1EEEvT1_,@function
_ZN7rocprim17ROCPRIM_400000_NS6detail17trampoline_kernelINS0_14default_configENS1_20scan_config_selectorIiEEZZNS1_9scan_implILNS1_25lookback_scan_determinismE0ELb0ELb0ES3_N6thrust23THRUST_200600_302600_NS6detail15normal_iteratorINS9_10device_ptrIiEEEESE_iNS9_4plusIvEEiEEDaPvRmT3_T4_T5_mT6_P12ihipStream_tbENKUlT_T0_E_clISt17integral_constantIbLb0EESU_EEDaSP_SQ_EUlSP_E_NS1_11comp_targetILNS1_3genE10ELNS1_11target_archE1200ELNS1_3gpuE4ELNS1_3repE0EEENS1_30default_config_static_selectorELNS0_4arch9wavefront6targetE1EEEvT1_: ; @_ZN7rocprim17ROCPRIM_400000_NS6detail17trampoline_kernelINS0_14default_configENS1_20scan_config_selectorIiEEZZNS1_9scan_implILNS1_25lookback_scan_determinismE0ELb0ELb0ES3_N6thrust23THRUST_200600_302600_NS6detail15normal_iteratorINS9_10device_ptrIiEEEESE_iNS9_4plusIvEEiEEDaPvRmT3_T4_T5_mT6_P12ihipStream_tbENKUlT_T0_E_clISt17integral_constantIbLb0EESU_EEDaSP_SQ_EUlSP_E_NS1_11comp_targetILNS1_3genE10ELNS1_11target_archE1200ELNS1_3gpuE4ELNS1_3repE0EEENS1_30default_config_static_selectorELNS0_4arch9wavefront6targetE1EEEvT1_
; %bb.0:
	.section	.rodata,"a",@progbits
	.p2align	6, 0x0
	.amdhsa_kernel _ZN7rocprim17ROCPRIM_400000_NS6detail17trampoline_kernelINS0_14default_configENS1_20scan_config_selectorIiEEZZNS1_9scan_implILNS1_25lookback_scan_determinismE0ELb0ELb0ES3_N6thrust23THRUST_200600_302600_NS6detail15normal_iteratorINS9_10device_ptrIiEEEESE_iNS9_4plusIvEEiEEDaPvRmT3_T4_T5_mT6_P12ihipStream_tbENKUlT_T0_E_clISt17integral_constantIbLb0EESU_EEDaSP_SQ_EUlSP_E_NS1_11comp_targetILNS1_3genE10ELNS1_11target_archE1200ELNS1_3gpuE4ELNS1_3repE0EEENS1_30default_config_static_selectorELNS0_4arch9wavefront6targetE1EEEvT1_
		.amdhsa_group_segment_fixed_size 0
		.amdhsa_private_segment_fixed_size 0
		.amdhsa_kernarg_size 96
		.amdhsa_user_sgpr_count 6
		.amdhsa_user_sgpr_private_segment_buffer 1
		.amdhsa_user_sgpr_dispatch_ptr 0
		.amdhsa_user_sgpr_queue_ptr 0
		.amdhsa_user_sgpr_kernarg_segment_ptr 1
		.amdhsa_user_sgpr_dispatch_id 0
		.amdhsa_user_sgpr_flat_scratch_init 0
		.amdhsa_user_sgpr_kernarg_preload_length 0
		.amdhsa_user_sgpr_kernarg_preload_offset 0
		.amdhsa_user_sgpr_private_segment_size 0
		.amdhsa_uses_dynamic_stack 0
		.amdhsa_system_sgpr_private_segment_wavefront_offset 0
		.amdhsa_system_sgpr_workgroup_id_x 1
		.amdhsa_system_sgpr_workgroup_id_y 0
		.amdhsa_system_sgpr_workgroup_id_z 0
		.amdhsa_system_sgpr_workgroup_info 0
		.amdhsa_system_vgpr_workitem_id 0
		.amdhsa_next_free_vgpr 1
		.amdhsa_next_free_sgpr 0
		.amdhsa_accum_offset 4
		.amdhsa_reserve_vcc 0
		.amdhsa_reserve_flat_scratch 0
		.amdhsa_float_round_mode_32 0
		.amdhsa_float_round_mode_16_64 0
		.amdhsa_float_denorm_mode_32 3
		.amdhsa_float_denorm_mode_16_64 3
		.amdhsa_dx10_clamp 1
		.amdhsa_ieee_mode 1
		.amdhsa_fp16_overflow 0
		.amdhsa_tg_split 0
		.amdhsa_exception_fp_ieee_invalid_op 0
		.amdhsa_exception_fp_denorm_src 0
		.amdhsa_exception_fp_ieee_div_zero 0
		.amdhsa_exception_fp_ieee_overflow 0
		.amdhsa_exception_fp_ieee_underflow 0
		.amdhsa_exception_fp_ieee_inexact 0
		.amdhsa_exception_int_div_zero 0
	.end_amdhsa_kernel
	.section	.text._ZN7rocprim17ROCPRIM_400000_NS6detail17trampoline_kernelINS0_14default_configENS1_20scan_config_selectorIiEEZZNS1_9scan_implILNS1_25lookback_scan_determinismE0ELb0ELb0ES3_N6thrust23THRUST_200600_302600_NS6detail15normal_iteratorINS9_10device_ptrIiEEEESE_iNS9_4plusIvEEiEEDaPvRmT3_T4_T5_mT6_P12ihipStream_tbENKUlT_T0_E_clISt17integral_constantIbLb0EESU_EEDaSP_SQ_EUlSP_E_NS1_11comp_targetILNS1_3genE10ELNS1_11target_archE1200ELNS1_3gpuE4ELNS1_3repE0EEENS1_30default_config_static_selectorELNS0_4arch9wavefront6targetE1EEEvT1_,"axG",@progbits,_ZN7rocprim17ROCPRIM_400000_NS6detail17trampoline_kernelINS0_14default_configENS1_20scan_config_selectorIiEEZZNS1_9scan_implILNS1_25lookback_scan_determinismE0ELb0ELb0ES3_N6thrust23THRUST_200600_302600_NS6detail15normal_iteratorINS9_10device_ptrIiEEEESE_iNS9_4plusIvEEiEEDaPvRmT3_T4_T5_mT6_P12ihipStream_tbENKUlT_T0_E_clISt17integral_constantIbLb0EESU_EEDaSP_SQ_EUlSP_E_NS1_11comp_targetILNS1_3genE10ELNS1_11target_archE1200ELNS1_3gpuE4ELNS1_3repE0EEENS1_30default_config_static_selectorELNS0_4arch9wavefront6targetE1EEEvT1_,comdat
.Lfunc_end1346:
	.size	_ZN7rocprim17ROCPRIM_400000_NS6detail17trampoline_kernelINS0_14default_configENS1_20scan_config_selectorIiEEZZNS1_9scan_implILNS1_25lookback_scan_determinismE0ELb0ELb0ES3_N6thrust23THRUST_200600_302600_NS6detail15normal_iteratorINS9_10device_ptrIiEEEESE_iNS9_4plusIvEEiEEDaPvRmT3_T4_T5_mT6_P12ihipStream_tbENKUlT_T0_E_clISt17integral_constantIbLb0EESU_EEDaSP_SQ_EUlSP_E_NS1_11comp_targetILNS1_3genE10ELNS1_11target_archE1200ELNS1_3gpuE4ELNS1_3repE0EEENS1_30default_config_static_selectorELNS0_4arch9wavefront6targetE1EEEvT1_, .Lfunc_end1346-_ZN7rocprim17ROCPRIM_400000_NS6detail17trampoline_kernelINS0_14default_configENS1_20scan_config_selectorIiEEZZNS1_9scan_implILNS1_25lookback_scan_determinismE0ELb0ELb0ES3_N6thrust23THRUST_200600_302600_NS6detail15normal_iteratorINS9_10device_ptrIiEEEESE_iNS9_4plusIvEEiEEDaPvRmT3_T4_T5_mT6_P12ihipStream_tbENKUlT_T0_E_clISt17integral_constantIbLb0EESU_EEDaSP_SQ_EUlSP_E_NS1_11comp_targetILNS1_3genE10ELNS1_11target_archE1200ELNS1_3gpuE4ELNS1_3repE0EEENS1_30default_config_static_selectorELNS0_4arch9wavefront6targetE1EEEvT1_
                                        ; -- End function
	.section	.AMDGPU.csdata,"",@progbits
; Kernel info:
; codeLenInByte = 0
; NumSgprs: 4
; NumVgprs: 0
; NumAgprs: 0
; TotalNumVgprs: 0
; ScratchSize: 0
; MemoryBound: 0
; FloatMode: 240
; IeeeMode: 1
; LDSByteSize: 0 bytes/workgroup (compile time only)
; SGPRBlocks: 0
; VGPRBlocks: 0
; NumSGPRsForWavesPerEU: 4
; NumVGPRsForWavesPerEU: 1
; AccumOffset: 4
; Occupancy: 8
; WaveLimiterHint : 0
; COMPUTE_PGM_RSRC2:SCRATCH_EN: 0
; COMPUTE_PGM_RSRC2:USER_SGPR: 6
; COMPUTE_PGM_RSRC2:TRAP_HANDLER: 0
; COMPUTE_PGM_RSRC2:TGID_X_EN: 1
; COMPUTE_PGM_RSRC2:TGID_Y_EN: 0
; COMPUTE_PGM_RSRC2:TGID_Z_EN: 0
; COMPUTE_PGM_RSRC2:TIDIG_COMP_CNT: 0
; COMPUTE_PGM_RSRC3_GFX90A:ACCUM_OFFSET: 0
; COMPUTE_PGM_RSRC3_GFX90A:TG_SPLIT: 0
	.section	.text._ZN7rocprim17ROCPRIM_400000_NS6detail17trampoline_kernelINS0_14default_configENS1_20scan_config_selectorIiEEZZNS1_9scan_implILNS1_25lookback_scan_determinismE0ELb0ELb0ES3_N6thrust23THRUST_200600_302600_NS6detail15normal_iteratorINS9_10device_ptrIiEEEESE_iNS9_4plusIvEEiEEDaPvRmT3_T4_T5_mT6_P12ihipStream_tbENKUlT_T0_E_clISt17integral_constantIbLb0EESU_EEDaSP_SQ_EUlSP_E_NS1_11comp_targetILNS1_3genE9ELNS1_11target_archE1100ELNS1_3gpuE3ELNS1_3repE0EEENS1_30default_config_static_selectorELNS0_4arch9wavefront6targetE1EEEvT1_,"axG",@progbits,_ZN7rocprim17ROCPRIM_400000_NS6detail17trampoline_kernelINS0_14default_configENS1_20scan_config_selectorIiEEZZNS1_9scan_implILNS1_25lookback_scan_determinismE0ELb0ELb0ES3_N6thrust23THRUST_200600_302600_NS6detail15normal_iteratorINS9_10device_ptrIiEEEESE_iNS9_4plusIvEEiEEDaPvRmT3_T4_T5_mT6_P12ihipStream_tbENKUlT_T0_E_clISt17integral_constantIbLb0EESU_EEDaSP_SQ_EUlSP_E_NS1_11comp_targetILNS1_3genE9ELNS1_11target_archE1100ELNS1_3gpuE3ELNS1_3repE0EEENS1_30default_config_static_selectorELNS0_4arch9wavefront6targetE1EEEvT1_,comdat
	.protected	_ZN7rocprim17ROCPRIM_400000_NS6detail17trampoline_kernelINS0_14default_configENS1_20scan_config_selectorIiEEZZNS1_9scan_implILNS1_25lookback_scan_determinismE0ELb0ELb0ES3_N6thrust23THRUST_200600_302600_NS6detail15normal_iteratorINS9_10device_ptrIiEEEESE_iNS9_4plusIvEEiEEDaPvRmT3_T4_T5_mT6_P12ihipStream_tbENKUlT_T0_E_clISt17integral_constantIbLb0EESU_EEDaSP_SQ_EUlSP_E_NS1_11comp_targetILNS1_3genE9ELNS1_11target_archE1100ELNS1_3gpuE3ELNS1_3repE0EEENS1_30default_config_static_selectorELNS0_4arch9wavefront6targetE1EEEvT1_ ; -- Begin function _ZN7rocprim17ROCPRIM_400000_NS6detail17trampoline_kernelINS0_14default_configENS1_20scan_config_selectorIiEEZZNS1_9scan_implILNS1_25lookback_scan_determinismE0ELb0ELb0ES3_N6thrust23THRUST_200600_302600_NS6detail15normal_iteratorINS9_10device_ptrIiEEEESE_iNS9_4plusIvEEiEEDaPvRmT3_T4_T5_mT6_P12ihipStream_tbENKUlT_T0_E_clISt17integral_constantIbLb0EESU_EEDaSP_SQ_EUlSP_E_NS1_11comp_targetILNS1_3genE9ELNS1_11target_archE1100ELNS1_3gpuE3ELNS1_3repE0EEENS1_30default_config_static_selectorELNS0_4arch9wavefront6targetE1EEEvT1_
	.globl	_ZN7rocprim17ROCPRIM_400000_NS6detail17trampoline_kernelINS0_14default_configENS1_20scan_config_selectorIiEEZZNS1_9scan_implILNS1_25lookback_scan_determinismE0ELb0ELb0ES3_N6thrust23THRUST_200600_302600_NS6detail15normal_iteratorINS9_10device_ptrIiEEEESE_iNS9_4plusIvEEiEEDaPvRmT3_T4_T5_mT6_P12ihipStream_tbENKUlT_T0_E_clISt17integral_constantIbLb0EESU_EEDaSP_SQ_EUlSP_E_NS1_11comp_targetILNS1_3genE9ELNS1_11target_archE1100ELNS1_3gpuE3ELNS1_3repE0EEENS1_30default_config_static_selectorELNS0_4arch9wavefront6targetE1EEEvT1_
	.p2align	8
	.type	_ZN7rocprim17ROCPRIM_400000_NS6detail17trampoline_kernelINS0_14default_configENS1_20scan_config_selectorIiEEZZNS1_9scan_implILNS1_25lookback_scan_determinismE0ELb0ELb0ES3_N6thrust23THRUST_200600_302600_NS6detail15normal_iteratorINS9_10device_ptrIiEEEESE_iNS9_4plusIvEEiEEDaPvRmT3_T4_T5_mT6_P12ihipStream_tbENKUlT_T0_E_clISt17integral_constantIbLb0EESU_EEDaSP_SQ_EUlSP_E_NS1_11comp_targetILNS1_3genE9ELNS1_11target_archE1100ELNS1_3gpuE3ELNS1_3repE0EEENS1_30default_config_static_selectorELNS0_4arch9wavefront6targetE1EEEvT1_,@function
_ZN7rocprim17ROCPRIM_400000_NS6detail17trampoline_kernelINS0_14default_configENS1_20scan_config_selectorIiEEZZNS1_9scan_implILNS1_25lookback_scan_determinismE0ELb0ELb0ES3_N6thrust23THRUST_200600_302600_NS6detail15normal_iteratorINS9_10device_ptrIiEEEESE_iNS9_4plusIvEEiEEDaPvRmT3_T4_T5_mT6_P12ihipStream_tbENKUlT_T0_E_clISt17integral_constantIbLb0EESU_EEDaSP_SQ_EUlSP_E_NS1_11comp_targetILNS1_3genE9ELNS1_11target_archE1100ELNS1_3gpuE3ELNS1_3repE0EEENS1_30default_config_static_selectorELNS0_4arch9wavefront6targetE1EEEvT1_: ; @_ZN7rocprim17ROCPRIM_400000_NS6detail17trampoline_kernelINS0_14default_configENS1_20scan_config_selectorIiEEZZNS1_9scan_implILNS1_25lookback_scan_determinismE0ELb0ELb0ES3_N6thrust23THRUST_200600_302600_NS6detail15normal_iteratorINS9_10device_ptrIiEEEESE_iNS9_4plusIvEEiEEDaPvRmT3_T4_T5_mT6_P12ihipStream_tbENKUlT_T0_E_clISt17integral_constantIbLb0EESU_EEDaSP_SQ_EUlSP_E_NS1_11comp_targetILNS1_3genE9ELNS1_11target_archE1100ELNS1_3gpuE3ELNS1_3repE0EEENS1_30default_config_static_selectorELNS0_4arch9wavefront6targetE1EEEvT1_
; %bb.0:
	.section	.rodata,"a",@progbits
	.p2align	6, 0x0
	.amdhsa_kernel _ZN7rocprim17ROCPRIM_400000_NS6detail17trampoline_kernelINS0_14default_configENS1_20scan_config_selectorIiEEZZNS1_9scan_implILNS1_25lookback_scan_determinismE0ELb0ELb0ES3_N6thrust23THRUST_200600_302600_NS6detail15normal_iteratorINS9_10device_ptrIiEEEESE_iNS9_4plusIvEEiEEDaPvRmT3_T4_T5_mT6_P12ihipStream_tbENKUlT_T0_E_clISt17integral_constantIbLb0EESU_EEDaSP_SQ_EUlSP_E_NS1_11comp_targetILNS1_3genE9ELNS1_11target_archE1100ELNS1_3gpuE3ELNS1_3repE0EEENS1_30default_config_static_selectorELNS0_4arch9wavefront6targetE1EEEvT1_
		.amdhsa_group_segment_fixed_size 0
		.amdhsa_private_segment_fixed_size 0
		.amdhsa_kernarg_size 96
		.amdhsa_user_sgpr_count 6
		.amdhsa_user_sgpr_private_segment_buffer 1
		.amdhsa_user_sgpr_dispatch_ptr 0
		.amdhsa_user_sgpr_queue_ptr 0
		.amdhsa_user_sgpr_kernarg_segment_ptr 1
		.amdhsa_user_sgpr_dispatch_id 0
		.amdhsa_user_sgpr_flat_scratch_init 0
		.amdhsa_user_sgpr_kernarg_preload_length 0
		.amdhsa_user_sgpr_kernarg_preload_offset 0
		.amdhsa_user_sgpr_private_segment_size 0
		.amdhsa_uses_dynamic_stack 0
		.amdhsa_system_sgpr_private_segment_wavefront_offset 0
		.amdhsa_system_sgpr_workgroup_id_x 1
		.amdhsa_system_sgpr_workgroup_id_y 0
		.amdhsa_system_sgpr_workgroup_id_z 0
		.amdhsa_system_sgpr_workgroup_info 0
		.amdhsa_system_vgpr_workitem_id 0
		.amdhsa_next_free_vgpr 1
		.amdhsa_next_free_sgpr 0
		.amdhsa_accum_offset 4
		.amdhsa_reserve_vcc 0
		.amdhsa_reserve_flat_scratch 0
		.amdhsa_float_round_mode_32 0
		.amdhsa_float_round_mode_16_64 0
		.amdhsa_float_denorm_mode_32 3
		.amdhsa_float_denorm_mode_16_64 3
		.amdhsa_dx10_clamp 1
		.amdhsa_ieee_mode 1
		.amdhsa_fp16_overflow 0
		.amdhsa_tg_split 0
		.amdhsa_exception_fp_ieee_invalid_op 0
		.amdhsa_exception_fp_denorm_src 0
		.amdhsa_exception_fp_ieee_div_zero 0
		.amdhsa_exception_fp_ieee_overflow 0
		.amdhsa_exception_fp_ieee_underflow 0
		.amdhsa_exception_fp_ieee_inexact 0
		.amdhsa_exception_int_div_zero 0
	.end_amdhsa_kernel
	.section	.text._ZN7rocprim17ROCPRIM_400000_NS6detail17trampoline_kernelINS0_14default_configENS1_20scan_config_selectorIiEEZZNS1_9scan_implILNS1_25lookback_scan_determinismE0ELb0ELb0ES3_N6thrust23THRUST_200600_302600_NS6detail15normal_iteratorINS9_10device_ptrIiEEEESE_iNS9_4plusIvEEiEEDaPvRmT3_T4_T5_mT6_P12ihipStream_tbENKUlT_T0_E_clISt17integral_constantIbLb0EESU_EEDaSP_SQ_EUlSP_E_NS1_11comp_targetILNS1_3genE9ELNS1_11target_archE1100ELNS1_3gpuE3ELNS1_3repE0EEENS1_30default_config_static_selectorELNS0_4arch9wavefront6targetE1EEEvT1_,"axG",@progbits,_ZN7rocprim17ROCPRIM_400000_NS6detail17trampoline_kernelINS0_14default_configENS1_20scan_config_selectorIiEEZZNS1_9scan_implILNS1_25lookback_scan_determinismE0ELb0ELb0ES3_N6thrust23THRUST_200600_302600_NS6detail15normal_iteratorINS9_10device_ptrIiEEEESE_iNS9_4plusIvEEiEEDaPvRmT3_T4_T5_mT6_P12ihipStream_tbENKUlT_T0_E_clISt17integral_constantIbLb0EESU_EEDaSP_SQ_EUlSP_E_NS1_11comp_targetILNS1_3genE9ELNS1_11target_archE1100ELNS1_3gpuE3ELNS1_3repE0EEENS1_30default_config_static_selectorELNS0_4arch9wavefront6targetE1EEEvT1_,comdat
.Lfunc_end1347:
	.size	_ZN7rocprim17ROCPRIM_400000_NS6detail17trampoline_kernelINS0_14default_configENS1_20scan_config_selectorIiEEZZNS1_9scan_implILNS1_25lookback_scan_determinismE0ELb0ELb0ES3_N6thrust23THRUST_200600_302600_NS6detail15normal_iteratorINS9_10device_ptrIiEEEESE_iNS9_4plusIvEEiEEDaPvRmT3_T4_T5_mT6_P12ihipStream_tbENKUlT_T0_E_clISt17integral_constantIbLb0EESU_EEDaSP_SQ_EUlSP_E_NS1_11comp_targetILNS1_3genE9ELNS1_11target_archE1100ELNS1_3gpuE3ELNS1_3repE0EEENS1_30default_config_static_selectorELNS0_4arch9wavefront6targetE1EEEvT1_, .Lfunc_end1347-_ZN7rocprim17ROCPRIM_400000_NS6detail17trampoline_kernelINS0_14default_configENS1_20scan_config_selectorIiEEZZNS1_9scan_implILNS1_25lookback_scan_determinismE0ELb0ELb0ES3_N6thrust23THRUST_200600_302600_NS6detail15normal_iteratorINS9_10device_ptrIiEEEESE_iNS9_4plusIvEEiEEDaPvRmT3_T4_T5_mT6_P12ihipStream_tbENKUlT_T0_E_clISt17integral_constantIbLb0EESU_EEDaSP_SQ_EUlSP_E_NS1_11comp_targetILNS1_3genE9ELNS1_11target_archE1100ELNS1_3gpuE3ELNS1_3repE0EEENS1_30default_config_static_selectorELNS0_4arch9wavefront6targetE1EEEvT1_
                                        ; -- End function
	.section	.AMDGPU.csdata,"",@progbits
; Kernel info:
; codeLenInByte = 0
; NumSgprs: 4
; NumVgprs: 0
; NumAgprs: 0
; TotalNumVgprs: 0
; ScratchSize: 0
; MemoryBound: 0
; FloatMode: 240
; IeeeMode: 1
; LDSByteSize: 0 bytes/workgroup (compile time only)
; SGPRBlocks: 0
; VGPRBlocks: 0
; NumSGPRsForWavesPerEU: 4
; NumVGPRsForWavesPerEU: 1
; AccumOffset: 4
; Occupancy: 8
; WaveLimiterHint : 0
; COMPUTE_PGM_RSRC2:SCRATCH_EN: 0
; COMPUTE_PGM_RSRC2:USER_SGPR: 6
; COMPUTE_PGM_RSRC2:TRAP_HANDLER: 0
; COMPUTE_PGM_RSRC2:TGID_X_EN: 1
; COMPUTE_PGM_RSRC2:TGID_Y_EN: 0
; COMPUTE_PGM_RSRC2:TGID_Z_EN: 0
; COMPUTE_PGM_RSRC2:TIDIG_COMP_CNT: 0
; COMPUTE_PGM_RSRC3_GFX90A:ACCUM_OFFSET: 0
; COMPUTE_PGM_RSRC3_GFX90A:TG_SPLIT: 0
	.section	.text._ZN7rocprim17ROCPRIM_400000_NS6detail17trampoline_kernelINS0_14default_configENS1_20scan_config_selectorIiEEZZNS1_9scan_implILNS1_25lookback_scan_determinismE0ELb0ELb0ES3_N6thrust23THRUST_200600_302600_NS6detail15normal_iteratorINS9_10device_ptrIiEEEESE_iNS9_4plusIvEEiEEDaPvRmT3_T4_T5_mT6_P12ihipStream_tbENKUlT_T0_E_clISt17integral_constantIbLb0EESU_EEDaSP_SQ_EUlSP_E_NS1_11comp_targetILNS1_3genE8ELNS1_11target_archE1030ELNS1_3gpuE2ELNS1_3repE0EEENS1_30default_config_static_selectorELNS0_4arch9wavefront6targetE1EEEvT1_,"axG",@progbits,_ZN7rocprim17ROCPRIM_400000_NS6detail17trampoline_kernelINS0_14default_configENS1_20scan_config_selectorIiEEZZNS1_9scan_implILNS1_25lookback_scan_determinismE0ELb0ELb0ES3_N6thrust23THRUST_200600_302600_NS6detail15normal_iteratorINS9_10device_ptrIiEEEESE_iNS9_4plusIvEEiEEDaPvRmT3_T4_T5_mT6_P12ihipStream_tbENKUlT_T0_E_clISt17integral_constantIbLb0EESU_EEDaSP_SQ_EUlSP_E_NS1_11comp_targetILNS1_3genE8ELNS1_11target_archE1030ELNS1_3gpuE2ELNS1_3repE0EEENS1_30default_config_static_selectorELNS0_4arch9wavefront6targetE1EEEvT1_,comdat
	.protected	_ZN7rocprim17ROCPRIM_400000_NS6detail17trampoline_kernelINS0_14default_configENS1_20scan_config_selectorIiEEZZNS1_9scan_implILNS1_25lookback_scan_determinismE0ELb0ELb0ES3_N6thrust23THRUST_200600_302600_NS6detail15normal_iteratorINS9_10device_ptrIiEEEESE_iNS9_4plusIvEEiEEDaPvRmT3_T4_T5_mT6_P12ihipStream_tbENKUlT_T0_E_clISt17integral_constantIbLb0EESU_EEDaSP_SQ_EUlSP_E_NS1_11comp_targetILNS1_3genE8ELNS1_11target_archE1030ELNS1_3gpuE2ELNS1_3repE0EEENS1_30default_config_static_selectorELNS0_4arch9wavefront6targetE1EEEvT1_ ; -- Begin function _ZN7rocprim17ROCPRIM_400000_NS6detail17trampoline_kernelINS0_14default_configENS1_20scan_config_selectorIiEEZZNS1_9scan_implILNS1_25lookback_scan_determinismE0ELb0ELb0ES3_N6thrust23THRUST_200600_302600_NS6detail15normal_iteratorINS9_10device_ptrIiEEEESE_iNS9_4plusIvEEiEEDaPvRmT3_T4_T5_mT6_P12ihipStream_tbENKUlT_T0_E_clISt17integral_constantIbLb0EESU_EEDaSP_SQ_EUlSP_E_NS1_11comp_targetILNS1_3genE8ELNS1_11target_archE1030ELNS1_3gpuE2ELNS1_3repE0EEENS1_30default_config_static_selectorELNS0_4arch9wavefront6targetE1EEEvT1_
	.globl	_ZN7rocprim17ROCPRIM_400000_NS6detail17trampoline_kernelINS0_14default_configENS1_20scan_config_selectorIiEEZZNS1_9scan_implILNS1_25lookback_scan_determinismE0ELb0ELb0ES3_N6thrust23THRUST_200600_302600_NS6detail15normal_iteratorINS9_10device_ptrIiEEEESE_iNS9_4plusIvEEiEEDaPvRmT3_T4_T5_mT6_P12ihipStream_tbENKUlT_T0_E_clISt17integral_constantIbLb0EESU_EEDaSP_SQ_EUlSP_E_NS1_11comp_targetILNS1_3genE8ELNS1_11target_archE1030ELNS1_3gpuE2ELNS1_3repE0EEENS1_30default_config_static_selectorELNS0_4arch9wavefront6targetE1EEEvT1_
	.p2align	8
	.type	_ZN7rocprim17ROCPRIM_400000_NS6detail17trampoline_kernelINS0_14default_configENS1_20scan_config_selectorIiEEZZNS1_9scan_implILNS1_25lookback_scan_determinismE0ELb0ELb0ES3_N6thrust23THRUST_200600_302600_NS6detail15normal_iteratorINS9_10device_ptrIiEEEESE_iNS9_4plusIvEEiEEDaPvRmT3_T4_T5_mT6_P12ihipStream_tbENKUlT_T0_E_clISt17integral_constantIbLb0EESU_EEDaSP_SQ_EUlSP_E_NS1_11comp_targetILNS1_3genE8ELNS1_11target_archE1030ELNS1_3gpuE2ELNS1_3repE0EEENS1_30default_config_static_selectorELNS0_4arch9wavefront6targetE1EEEvT1_,@function
_ZN7rocprim17ROCPRIM_400000_NS6detail17trampoline_kernelINS0_14default_configENS1_20scan_config_selectorIiEEZZNS1_9scan_implILNS1_25lookback_scan_determinismE0ELb0ELb0ES3_N6thrust23THRUST_200600_302600_NS6detail15normal_iteratorINS9_10device_ptrIiEEEESE_iNS9_4plusIvEEiEEDaPvRmT3_T4_T5_mT6_P12ihipStream_tbENKUlT_T0_E_clISt17integral_constantIbLb0EESU_EEDaSP_SQ_EUlSP_E_NS1_11comp_targetILNS1_3genE8ELNS1_11target_archE1030ELNS1_3gpuE2ELNS1_3repE0EEENS1_30default_config_static_selectorELNS0_4arch9wavefront6targetE1EEEvT1_: ; @_ZN7rocprim17ROCPRIM_400000_NS6detail17trampoline_kernelINS0_14default_configENS1_20scan_config_selectorIiEEZZNS1_9scan_implILNS1_25lookback_scan_determinismE0ELb0ELb0ES3_N6thrust23THRUST_200600_302600_NS6detail15normal_iteratorINS9_10device_ptrIiEEEESE_iNS9_4plusIvEEiEEDaPvRmT3_T4_T5_mT6_P12ihipStream_tbENKUlT_T0_E_clISt17integral_constantIbLb0EESU_EEDaSP_SQ_EUlSP_E_NS1_11comp_targetILNS1_3genE8ELNS1_11target_archE1030ELNS1_3gpuE2ELNS1_3repE0EEENS1_30default_config_static_selectorELNS0_4arch9wavefront6targetE1EEEvT1_
; %bb.0:
	.section	.rodata,"a",@progbits
	.p2align	6, 0x0
	.amdhsa_kernel _ZN7rocprim17ROCPRIM_400000_NS6detail17trampoline_kernelINS0_14default_configENS1_20scan_config_selectorIiEEZZNS1_9scan_implILNS1_25lookback_scan_determinismE0ELb0ELb0ES3_N6thrust23THRUST_200600_302600_NS6detail15normal_iteratorINS9_10device_ptrIiEEEESE_iNS9_4plusIvEEiEEDaPvRmT3_T4_T5_mT6_P12ihipStream_tbENKUlT_T0_E_clISt17integral_constantIbLb0EESU_EEDaSP_SQ_EUlSP_E_NS1_11comp_targetILNS1_3genE8ELNS1_11target_archE1030ELNS1_3gpuE2ELNS1_3repE0EEENS1_30default_config_static_selectorELNS0_4arch9wavefront6targetE1EEEvT1_
		.amdhsa_group_segment_fixed_size 0
		.amdhsa_private_segment_fixed_size 0
		.amdhsa_kernarg_size 96
		.amdhsa_user_sgpr_count 6
		.amdhsa_user_sgpr_private_segment_buffer 1
		.amdhsa_user_sgpr_dispatch_ptr 0
		.amdhsa_user_sgpr_queue_ptr 0
		.amdhsa_user_sgpr_kernarg_segment_ptr 1
		.amdhsa_user_sgpr_dispatch_id 0
		.amdhsa_user_sgpr_flat_scratch_init 0
		.amdhsa_user_sgpr_kernarg_preload_length 0
		.amdhsa_user_sgpr_kernarg_preload_offset 0
		.amdhsa_user_sgpr_private_segment_size 0
		.amdhsa_uses_dynamic_stack 0
		.amdhsa_system_sgpr_private_segment_wavefront_offset 0
		.amdhsa_system_sgpr_workgroup_id_x 1
		.amdhsa_system_sgpr_workgroup_id_y 0
		.amdhsa_system_sgpr_workgroup_id_z 0
		.amdhsa_system_sgpr_workgroup_info 0
		.amdhsa_system_vgpr_workitem_id 0
		.amdhsa_next_free_vgpr 1
		.amdhsa_next_free_sgpr 0
		.amdhsa_accum_offset 4
		.amdhsa_reserve_vcc 0
		.amdhsa_reserve_flat_scratch 0
		.amdhsa_float_round_mode_32 0
		.amdhsa_float_round_mode_16_64 0
		.amdhsa_float_denorm_mode_32 3
		.amdhsa_float_denorm_mode_16_64 3
		.amdhsa_dx10_clamp 1
		.amdhsa_ieee_mode 1
		.amdhsa_fp16_overflow 0
		.amdhsa_tg_split 0
		.amdhsa_exception_fp_ieee_invalid_op 0
		.amdhsa_exception_fp_denorm_src 0
		.amdhsa_exception_fp_ieee_div_zero 0
		.amdhsa_exception_fp_ieee_overflow 0
		.amdhsa_exception_fp_ieee_underflow 0
		.amdhsa_exception_fp_ieee_inexact 0
		.amdhsa_exception_int_div_zero 0
	.end_amdhsa_kernel
	.section	.text._ZN7rocprim17ROCPRIM_400000_NS6detail17trampoline_kernelINS0_14default_configENS1_20scan_config_selectorIiEEZZNS1_9scan_implILNS1_25lookback_scan_determinismE0ELb0ELb0ES3_N6thrust23THRUST_200600_302600_NS6detail15normal_iteratorINS9_10device_ptrIiEEEESE_iNS9_4plusIvEEiEEDaPvRmT3_T4_T5_mT6_P12ihipStream_tbENKUlT_T0_E_clISt17integral_constantIbLb0EESU_EEDaSP_SQ_EUlSP_E_NS1_11comp_targetILNS1_3genE8ELNS1_11target_archE1030ELNS1_3gpuE2ELNS1_3repE0EEENS1_30default_config_static_selectorELNS0_4arch9wavefront6targetE1EEEvT1_,"axG",@progbits,_ZN7rocprim17ROCPRIM_400000_NS6detail17trampoline_kernelINS0_14default_configENS1_20scan_config_selectorIiEEZZNS1_9scan_implILNS1_25lookback_scan_determinismE0ELb0ELb0ES3_N6thrust23THRUST_200600_302600_NS6detail15normal_iteratorINS9_10device_ptrIiEEEESE_iNS9_4plusIvEEiEEDaPvRmT3_T4_T5_mT6_P12ihipStream_tbENKUlT_T0_E_clISt17integral_constantIbLb0EESU_EEDaSP_SQ_EUlSP_E_NS1_11comp_targetILNS1_3genE8ELNS1_11target_archE1030ELNS1_3gpuE2ELNS1_3repE0EEENS1_30default_config_static_selectorELNS0_4arch9wavefront6targetE1EEEvT1_,comdat
.Lfunc_end1348:
	.size	_ZN7rocprim17ROCPRIM_400000_NS6detail17trampoline_kernelINS0_14default_configENS1_20scan_config_selectorIiEEZZNS1_9scan_implILNS1_25lookback_scan_determinismE0ELb0ELb0ES3_N6thrust23THRUST_200600_302600_NS6detail15normal_iteratorINS9_10device_ptrIiEEEESE_iNS9_4plusIvEEiEEDaPvRmT3_T4_T5_mT6_P12ihipStream_tbENKUlT_T0_E_clISt17integral_constantIbLb0EESU_EEDaSP_SQ_EUlSP_E_NS1_11comp_targetILNS1_3genE8ELNS1_11target_archE1030ELNS1_3gpuE2ELNS1_3repE0EEENS1_30default_config_static_selectorELNS0_4arch9wavefront6targetE1EEEvT1_, .Lfunc_end1348-_ZN7rocprim17ROCPRIM_400000_NS6detail17trampoline_kernelINS0_14default_configENS1_20scan_config_selectorIiEEZZNS1_9scan_implILNS1_25lookback_scan_determinismE0ELb0ELb0ES3_N6thrust23THRUST_200600_302600_NS6detail15normal_iteratorINS9_10device_ptrIiEEEESE_iNS9_4plusIvEEiEEDaPvRmT3_T4_T5_mT6_P12ihipStream_tbENKUlT_T0_E_clISt17integral_constantIbLb0EESU_EEDaSP_SQ_EUlSP_E_NS1_11comp_targetILNS1_3genE8ELNS1_11target_archE1030ELNS1_3gpuE2ELNS1_3repE0EEENS1_30default_config_static_selectorELNS0_4arch9wavefront6targetE1EEEvT1_
                                        ; -- End function
	.section	.AMDGPU.csdata,"",@progbits
; Kernel info:
; codeLenInByte = 0
; NumSgprs: 4
; NumVgprs: 0
; NumAgprs: 0
; TotalNumVgprs: 0
; ScratchSize: 0
; MemoryBound: 0
; FloatMode: 240
; IeeeMode: 1
; LDSByteSize: 0 bytes/workgroup (compile time only)
; SGPRBlocks: 0
; VGPRBlocks: 0
; NumSGPRsForWavesPerEU: 4
; NumVGPRsForWavesPerEU: 1
; AccumOffset: 4
; Occupancy: 8
; WaveLimiterHint : 0
; COMPUTE_PGM_RSRC2:SCRATCH_EN: 0
; COMPUTE_PGM_RSRC2:USER_SGPR: 6
; COMPUTE_PGM_RSRC2:TRAP_HANDLER: 0
; COMPUTE_PGM_RSRC2:TGID_X_EN: 1
; COMPUTE_PGM_RSRC2:TGID_Y_EN: 0
; COMPUTE_PGM_RSRC2:TGID_Z_EN: 0
; COMPUTE_PGM_RSRC2:TIDIG_COMP_CNT: 0
; COMPUTE_PGM_RSRC3_GFX90A:ACCUM_OFFSET: 0
; COMPUTE_PGM_RSRC3_GFX90A:TG_SPLIT: 0
	.section	.text._ZN7rocprim17ROCPRIM_400000_NS6detail17trampoline_kernelINS0_14default_configENS1_20scan_config_selectorIiEEZZNS1_9scan_implILNS1_25lookback_scan_determinismE0ELb0ELb0ES3_N6thrust23THRUST_200600_302600_NS6detail15normal_iteratorINS9_10device_ptrIiEEEESE_iNS9_4plusIvEEiEEDaPvRmT3_T4_T5_mT6_P12ihipStream_tbENKUlT_T0_E_clISt17integral_constantIbLb0EESU_EEDaSP_SQ_EUlSP_E0_NS1_11comp_targetILNS1_3genE0ELNS1_11target_archE4294967295ELNS1_3gpuE0ELNS1_3repE0EEENS1_30default_config_static_selectorELNS0_4arch9wavefront6targetE1EEEvT1_,"axG",@progbits,_ZN7rocprim17ROCPRIM_400000_NS6detail17trampoline_kernelINS0_14default_configENS1_20scan_config_selectorIiEEZZNS1_9scan_implILNS1_25lookback_scan_determinismE0ELb0ELb0ES3_N6thrust23THRUST_200600_302600_NS6detail15normal_iteratorINS9_10device_ptrIiEEEESE_iNS9_4plusIvEEiEEDaPvRmT3_T4_T5_mT6_P12ihipStream_tbENKUlT_T0_E_clISt17integral_constantIbLb0EESU_EEDaSP_SQ_EUlSP_E0_NS1_11comp_targetILNS1_3genE0ELNS1_11target_archE4294967295ELNS1_3gpuE0ELNS1_3repE0EEENS1_30default_config_static_selectorELNS0_4arch9wavefront6targetE1EEEvT1_,comdat
	.protected	_ZN7rocprim17ROCPRIM_400000_NS6detail17trampoline_kernelINS0_14default_configENS1_20scan_config_selectorIiEEZZNS1_9scan_implILNS1_25lookback_scan_determinismE0ELb0ELb0ES3_N6thrust23THRUST_200600_302600_NS6detail15normal_iteratorINS9_10device_ptrIiEEEESE_iNS9_4plusIvEEiEEDaPvRmT3_T4_T5_mT6_P12ihipStream_tbENKUlT_T0_E_clISt17integral_constantIbLb0EESU_EEDaSP_SQ_EUlSP_E0_NS1_11comp_targetILNS1_3genE0ELNS1_11target_archE4294967295ELNS1_3gpuE0ELNS1_3repE0EEENS1_30default_config_static_selectorELNS0_4arch9wavefront6targetE1EEEvT1_ ; -- Begin function _ZN7rocprim17ROCPRIM_400000_NS6detail17trampoline_kernelINS0_14default_configENS1_20scan_config_selectorIiEEZZNS1_9scan_implILNS1_25lookback_scan_determinismE0ELb0ELb0ES3_N6thrust23THRUST_200600_302600_NS6detail15normal_iteratorINS9_10device_ptrIiEEEESE_iNS9_4plusIvEEiEEDaPvRmT3_T4_T5_mT6_P12ihipStream_tbENKUlT_T0_E_clISt17integral_constantIbLb0EESU_EEDaSP_SQ_EUlSP_E0_NS1_11comp_targetILNS1_3genE0ELNS1_11target_archE4294967295ELNS1_3gpuE0ELNS1_3repE0EEENS1_30default_config_static_selectorELNS0_4arch9wavefront6targetE1EEEvT1_
	.globl	_ZN7rocprim17ROCPRIM_400000_NS6detail17trampoline_kernelINS0_14default_configENS1_20scan_config_selectorIiEEZZNS1_9scan_implILNS1_25lookback_scan_determinismE0ELb0ELb0ES3_N6thrust23THRUST_200600_302600_NS6detail15normal_iteratorINS9_10device_ptrIiEEEESE_iNS9_4plusIvEEiEEDaPvRmT3_T4_T5_mT6_P12ihipStream_tbENKUlT_T0_E_clISt17integral_constantIbLb0EESU_EEDaSP_SQ_EUlSP_E0_NS1_11comp_targetILNS1_3genE0ELNS1_11target_archE4294967295ELNS1_3gpuE0ELNS1_3repE0EEENS1_30default_config_static_selectorELNS0_4arch9wavefront6targetE1EEEvT1_
	.p2align	8
	.type	_ZN7rocprim17ROCPRIM_400000_NS6detail17trampoline_kernelINS0_14default_configENS1_20scan_config_selectorIiEEZZNS1_9scan_implILNS1_25lookback_scan_determinismE0ELb0ELb0ES3_N6thrust23THRUST_200600_302600_NS6detail15normal_iteratorINS9_10device_ptrIiEEEESE_iNS9_4plusIvEEiEEDaPvRmT3_T4_T5_mT6_P12ihipStream_tbENKUlT_T0_E_clISt17integral_constantIbLb0EESU_EEDaSP_SQ_EUlSP_E0_NS1_11comp_targetILNS1_3genE0ELNS1_11target_archE4294967295ELNS1_3gpuE0ELNS1_3repE0EEENS1_30default_config_static_selectorELNS0_4arch9wavefront6targetE1EEEvT1_,@function
_ZN7rocprim17ROCPRIM_400000_NS6detail17trampoline_kernelINS0_14default_configENS1_20scan_config_selectorIiEEZZNS1_9scan_implILNS1_25lookback_scan_determinismE0ELb0ELb0ES3_N6thrust23THRUST_200600_302600_NS6detail15normal_iteratorINS9_10device_ptrIiEEEESE_iNS9_4plusIvEEiEEDaPvRmT3_T4_T5_mT6_P12ihipStream_tbENKUlT_T0_E_clISt17integral_constantIbLb0EESU_EEDaSP_SQ_EUlSP_E0_NS1_11comp_targetILNS1_3genE0ELNS1_11target_archE4294967295ELNS1_3gpuE0ELNS1_3repE0EEENS1_30default_config_static_selectorELNS0_4arch9wavefront6targetE1EEEvT1_: ; @_ZN7rocprim17ROCPRIM_400000_NS6detail17trampoline_kernelINS0_14default_configENS1_20scan_config_selectorIiEEZZNS1_9scan_implILNS1_25lookback_scan_determinismE0ELb0ELb0ES3_N6thrust23THRUST_200600_302600_NS6detail15normal_iteratorINS9_10device_ptrIiEEEESE_iNS9_4plusIvEEiEEDaPvRmT3_T4_T5_mT6_P12ihipStream_tbENKUlT_T0_E_clISt17integral_constantIbLb0EESU_EEDaSP_SQ_EUlSP_E0_NS1_11comp_targetILNS1_3genE0ELNS1_11target_archE4294967295ELNS1_3gpuE0ELNS1_3repE0EEENS1_30default_config_static_selectorELNS0_4arch9wavefront6targetE1EEEvT1_
; %bb.0:
	.section	.rodata,"a",@progbits
	.p2align	6, 0x0
	.amdhsa_kernel _ZN7rocprim17ROCPRIM_400000_NS6detail17trampoline_kernelINS0_14default_configENS1_20scan_config_selectorIiEEZZNS1_9scan_implILNS1_25lookback_scan_determinismE0ELb0ELb0ES3_N6thrust23THRUST_200600_302600_NS6detail15normal_iteratorINS9_10device_ptrIiEEEESE_iNS9_4plusIvEEiEEDaPvRmT3_T4_T5_mT6_P12ihipStream_tbENKUlT_T0_E_clISt17integral_constantIbLb0EESU_EEDaSP_SQ_EUlSP_E0_NS1_11comp_targetILNS1_3genE0ELNS1_11target_archE4294967295ELNS1_3gpuE0ELNS1_3repE0EEENS1_30default_config_static_selectorELNS0_4arch9wavefront6targetE1EEEvT1_
		.amdhsa_group_segment_fixed_size 0
		.amdhsa_private_segment_fixed_size 0
		.amdhsa_kernarg_size 32
		.amdhsa_user_sgpr_count 6
		.amdhsa_user_sgpr_private_segment_buffer 1
		.amdhsa_user_sgpr_dispatch_ptr 0
		.amdhsa_user_sgpr_queue_ptr 0
		.amdhsa_user_sgpr_kernarg_segment_ptr 1
		.amdhsa_user_sgpr_dispatch_id 0
		.amdhsa_user_sgpr_flat_scratch_init 0
		.amdhsa_user_sgpr_kernarg_preload_length 0
		.amdhsa_user_sgpr_kernarg_preload_offset 0
		.amdhsa_user_sgpr_private_segment_size 0
		.amdhsa_uses_dynamic_stack 0
		.amdhsa_system_sgpr_private_segment_wavefront_offset 0
		.amdhsa_system_sgpr_workgroup_id_x 1
		.amdhsa_system_sgpr_workgroup_id_y 0
		.amdhsa_system_sgpr_workgroup_id_z 0
		.amdhsa_system_sgpr_workgroup_info 0
		.amdhsa_system_vgpr_workitem_id 0
		.amdhsa_next_free_vgpr 1
		.amdhsa_next_free_sgpr 0
		.amdhsa_accum_offset 4
		.amdhsa_reserve_vcc 0
		.amdhsa_reserve_flat_scratch 0
		.amdhsa_float_round_mode_32 0
		.amdhsa_float_round_mode_16_64 0
		.amdhsa_float_denorm_mode_32 3
		.amdhsa_float_denorm_mode_16_64 3
		.amdhsa_dx10_clamp 1
		.amdhsa_ieee_mode 1
		.amdhsa_fp16_overflow 0
		.amdhsa_tg_split 0
		.amdhsa_exception_fp_ieee_invalid_op 0
		.amdhsa_exception_fp_denorm_src 0
		.amdhsa_exception_fp_ieee_div_zero 0
		.amdhsa_exception_fp_ieee_overflow 0
		.amdhsa_exception_fp_ieee_underflow 0
		.amdhsa_exception_fp_ieee_inexact 0
		.amdhsa_exception_int_div_zero 0
	.end_amdhsa_kernel
	.section	.text._ZN7rocprim17ROCPRIM_400000_NS6detail17trampoline_kernelINS0_14default_configENS1_20scan_config_selectorIiEEZZNS1_9scan_implILNS1_25lookback_scan_determinismE0ELb0ELb0ES3_N6thrust23THRUST_200600_302600_NS6detail15normal_iteratorINS9_10device_ptrIiEEEESE_iNS9_4plusIvEEiEEDaPvRmT3_T4_T5_mT6_P12ihipStream_tbENKUlT_T0_E_clISt17integral_constantIbLb0EESU_EEDaSP_SQ_EUlSP_E0_NS1_11comp_targetILNS1_3genE0ELNS1_11target_archE4294967295ELNS1_3gpuE0ELNS1_3repE0EEENS1_30default_config_static_selectorELNS0_4arch9wavefront6targetE1EEEvT1_,"axG",@progbits,_ZN7rocprim17ROCPRIM_400000_NS6detail17trampoline_kernelINS0_14default_configENS1_20scan_config_selectorIiEEZZNS1_9scan_implILNS1_25lookback_scan_determinismE0ELb0ELb0ES3_N6thrust23THRUST_200600_302600_NS6detail15normal_iteratorINS9_10device_ptrIiEEEESE_iNS9_4plusIvEEiEEDaPvRmT3_T4_T5_mT6_P12ihipStream_tbENKUlT_T0_E_clISt17integral_constantIbLb0EESU_EEDaSP_SQ_EUlSP_E0_NS1_11comp_targetILNS1_3genE0ELNS1_11target_archE4294967295ELNS1_3gpuE0ELNS1_3repE0EEENS1_30default_config_static_selectorELNS0_4arch9wavefront6targetE1EEEvT1_,comdat
.Lfunc_end1349:
	.size	_ZN7rocprim17ROCPRIM_400000_NS6detail17trampoline_kernelINS0_14default_configENS1_20scan_config_selectorIiEEZZNS1_9scan_implILNS1_25lookback_scan_determinismE0ELb0ELb0ES3_N6thrust23THRUST_200600_302600_NS6detail15normal_iteratorINS9_10device_ptrIiEEEESE_iNS9_4plusIvEEiEEDaPvRmT3_T4_T5_mT6_P12ihipStream_tbENKUlT_T0_E_clISt17integral_constantIbLb0EESU_EEDaSP_SQ_EUlSP_E0_NS1_11comp_targetILNS1_3genE0ELNS1_11target_archE4294967295ELNS1_3gpuE0ELNS1_3repE0EEENS1_30default_config_static_selectorELNS0_4arch9wavefront6targetE1EEEvT1_, .Lfunc_end1349-_ZN7rocprim17ROCPRIM_400000_NS6detail17trampoline_kernelINS0_14default_configENS1_20scan_config_selectorIiEEZZNS1_9scan_implILNS1_25lookback_scan_determinismE0ELb0ELb0ES3_N6thrust23THRUST_200600_302600_NS6detail15normal_iteratorINS9_10device_ptrIiEEEESE_iNS9_4plusIvEEiEEDaPvRmT3_T4_T5_mT6_P12ihipStream_tbENKUlT_T0_E_clISt17integral_constantIbLb0EESU_EEDaSP_SQ_EUlSP_E0_NS1_11comp_targetILNS1_3genE0ELNS1_11target_archE4294967295ELNS1_3gpuE0ELNS1_3repE0EEENS1_30default_config_static_selectorELNS0_4arch9wavefront6targetE1EEEvT1_
                                        ; -- End function
	.section	.AMDGPU.csdata,"",@progbits
; Kernel info:
; codeLenInByte = 0
; NumSgprs: 4
; NumVgprs: 0
; NumAgprs: 0
; TotalNumVgprs: 0
; ScratchSize: 0
; MemoryBound: 0
; FloatMode: 240
; IeeeMode: 1
; LDSByteSize: 0 bytes/workgroup (compile time only)
; SGPRBlocks: 0
; VGPRBlocks: 0
; NumSGPRsForWavesPerEU: 4
; NumVGPRsForWavesPerEU: 1
; AccumOffset: 4
; Occupancy: 8
; WaveLimiterHint : 0
; COMPUTE_PGM_RSRC2:SCRATCH_EN: 0
; COMPUTE_PGM_RSRC2:USER_SGPR: 6
; COMPUTE_PGM_RSRC2:TRAP_HANDLER: 0
; COMPUTE_PGM_RSRC2:TGID_X_EN: 1
; COMPUTE_PGM_RSRC2:TGID_Y_EN: 0
; COMPUTE_PGM_RSRC2:TGID_Z_EN: 0
; COMPUTE_PGM_RSRC2:TIDIG_COMP_CNT: 0
; COMPUTE_PGM_RSRC3_GFX90A:ACCUM_OFFSET: 0
; COMPUTE_PGM_RSRC3_GFX90A:TG_SPLIT: 0
	.section	.text._ZN7rocprim17ROCPRIM_400000_NS6detail17trampoline_kernelINS0_14default_configENS1_20scan_config_selectorIiEEZZNS1_9scan_implILNS1_25lookback_scan_determinismE0ELb0ELb0ES3_N6thrust23THRUST_200600_302600_NS6detail15normal_iteratorINS9_10device_ptrIiEEEESE_iNS9_4plusIvEEiEEDaPvRmT3_T4_T5_mT6_P12ihipStream_tbENKUlT_T0_E_clISt17integral_constantIbLb0EESU_EEDaSP_SQ_EUlSP_E0_NS1_11comp_targetILNS1_3genE5ELNS1_11target_archE942ELNS1_3gpuE9ELNS1_3repE0EEENS1_30default_config_static_selectorELNS0_4arch9wavefront6targetE1EEEvT1_,"axG",@progbits,_ZN7rocprim17ROCPRIM_400000_NS6detail17trampoline_kernelINS0_14default_configENS1_20scan_config_selectorIiEEZZNS1_9scan_implILNS1_25lookback_scan_determinismE0ELb0ELb0ES3_N6thrust23THRUST_200600_302600_NS6detail15normal_iteratorINS9_10device_ptrIiEEEESE_iNS9_4plusIvEEiEEDaPvRmT3_T4_T5_mT6_P12ihipStream_tbENKUlT_T0_E_clISt17integral_constantIbLb0EESU_EEDaSP_SQ_EUlSP_E0_NS1_11comp_targetILNS1_3genE5ELNS1_11target_archE942ELNS1_3gpuE9ELNS1_3repE0EEENS1_30default_config_static_selectorELNS0_4arch9wavefront6targetE1EEEvT1_,comdat
	.protected	_ZN7rocprim17ROCPRIM_400000_NS6detail17trampoline_kernelINS0_14default_configENS1_20scan_config_selectorIiEEZZNS1_9scan_implILNS1_25lookback_scan_determinismE0ELb0ELb0ES3_N6thrust23THRUST_200600_302600_NS6detail15normal_iteratorINS9_10device_ptrIiEEEESE_iNS9_4plusIvEEiEEDaPvRmT3_T4_T5_mT6_P12ihipStream_tbENKUlT_T0_E_clISt17integral_constantIbLb0EESU_EEDaSP_SQ_EUlSP_E0_NS1_11comp_targetILNS1_3genE5ELNS1_11target_archE942ELNS1_3gpuE9ELNS1_3repE0EEENS1_30default_config_static_selectorELNS0_4arch9wavefront6targetE1EEEvT1_ ; -- Begin function _ZN7rocprim17ROCPRIM_400000_NS6detail17trampoline_kernelINS0_14default_configENS1_20scan_config_selectorIiEEZZNS1_9scan_implILNS1_25lookback_scan_determinismE0ELb0ELb0ES3_N6thrust23THRUST_200600_302600_NS6detail15normal_iteratorINS9_10device_ptrIiEEEESE_iNS9_4plusIvEEiEEDaPvRmT3_T4_T5_mT6_P12ihipStream_tbENKUlT_T0_E_clISt17integral_constantIbLb0EESU_EEDaSP_SQ_EUlSP_E0_NS1_11comp_targetILNS1_3genE5ELNS1_11target_archE942ELNS1_3gpuE9ELNS1_3repE0EEENS1_30default_config_static_selectorELNS0_4arch9wavefront6targetE1EEEvT1_
	.globl	_ZN7rocprim17ROCPRIM_400000_NS6detail17trampoline_kernelINS0_14default_configENS1_20scan_config_selectorIiEEZZNS1_9scan_implILNS1_25lookback_scan_determinismE0ELb0ELb0ES3_N6thrust23THRUST_200600_302600_NS6detail15normal_iteratorINS9_10device_ptrIiEEEESE_iNS9_4plusIvEEiEEDaPvRmT3_T4_T5_mT6_P12ihipStream_tbENKUlT_T0_E_clISt17integral_constantIbLb0EESU_EEDaSP_SQ_EUlSP_E0_NS1_11comp_targetILNS1_3genE5ELNS1_11target_archE942ELNS1_3gpuE9ELNS1_3repE0EEENS1_30default_config_static_selectorELNS0_4arch9wavefront6targetE1EEEvT1_
	.p2align	8
	.type	_ZN7rocprim17ROCPRIM_400000_NS6detail17trampoline_kernelINS0_14default_configENS1_20scan_config_selectorIiEEZZNS1_9scan_implILNS1_25lookback_scan_determinismE0ELb0ELb0ES3_N6thrust23THRUST_200600_302600_NS6detail15normal_iteratorINS9_10device_ptrIiEEEESE_iNS9_4plusIvEEiEEDaPvRmT3_T4_T5_mT6_P12ihipStream_tbENKUlT_T0_E_clISt17integral_constantIbLb0EESU_EEDaSP_SQ_EUlSP_E0_NS1_11comp_targetILNS1_3genE5ELNS1_11target_archE942ELNS1_3gpuE9ELNS1_3repE0EEENS1_30default_config_static_selectorELNS0_4arch9wavefront6targetE1EEEvT1_,@function
_ZN7rocprim17ROCPRIM_400000_NS6detail17trampoline_kernelINS0_14default_configENS1_20scan_config_selectorIiEEZZNS1_9scan_implILNS1_25lookback_scan_determinismE0ELb0ELb0ES3_N6thrust23THRUST_200600_302600_NS6detail15normal_iteratorINS9_10device_ptrIiEEEESE_iNS9_4plusIvEEiEEDaPvRmT3_T4_T5_mT6_P12ihipStream_tbENKUlT_T0_E_clISt17integral_constantIbLb0EESU_EEDaSP_SQ_EUlSP_E0_NS1_11comp_targetILNS1_3genE5ELNS1_11target_archE942ELNS1_3gpuE9ELNS1_3repE0EEENS1_30default_config_static_selectorELNS0_4arch9wavefront6targetE1EEEvT1_: ; @_ZN7rocprim17ROCPRIM_400000_NS6detail17trampoline_kernelINS0_14default_configENS1_20scan_config_selectorIiEEZZNS1_9scan_implILNS1_25lookback_scan_determinismE0ELb0ELb0ES3_N6thrust23THRUST_200600_302600_NS6detail15normal_iteratorINS9_10device_ptrIiEEEESE_iNS9_4plusIvEEiEEDaPvRmT3_T4_T5_mT6_P12ihipStream_tbENKUlT_T0_E_clISt17integral_constantIbLb0EESU_EEDaSP_SQ_EUlSP_E0_NS1_11comp_targetILNS1_3genE5ELNS1_11target_archE942ELNS1_3gpuE9ELNS1_3repE0EEENS1_30default_config_static_selectorELNS0_4arch9wavefront6targetE1EEEvT1_
; %bb.0:
	.section	.rodata,"a",@progbits
	.p2align	6, 0x0
	.amdhsa_kernel _ZN7rocprim17ROCPRIM_400000_NS6detail17trampoline_kernelINS0_14default_configENS1_20scan_config_selectorIiEEZZNS1_9scan_implILNS1_25lookback_scan_determinismE0ELb0ELb0ES3_N6thrust23THRUST_200600_302600_NS6detail15normal_iteratorINS9_10device_ptrIiEEEESE_iNS9_4plusIvEEiEEDaPvRmT3_T4_T5_mT6_P12ihipStream_tbENKUlT_T0_E_clISt17integral_constantIbLb0EESU_EEDaSP_SQ_EUlSP_E0_NS1_11comp_targetILNS1_3genE5ELNS1_11target_archE942ELNS1_3gpuE9ELNS1_3repE0EEENS1_30default_config_static_selectorELNS0_4arch9wavefront6targetE1EEEvT1_
		.amdhsa_group_segment_fixed_size 0
		.amdhsa_private_segment_fixed_size 0
		.amdhsa_kernarg_size 32
		.amdhsa_user_sgpr_count 6
		.amdhsa_user_sgpr_private_segment_buffer 1
		.amdhsa_user_sgpr_dispatch_ptr 0
		.amdhsa_user_sgpr_queue_ptr 0
		.amdhsa_user_sgpr_kernarg_segment_ptr 1
		.amdhsa_user_sgpr_dispatch_id 0
		.amdhsa_user_sgpr_flat_scratch_init 0
		.amdhsa_user_sgpr_kernarg_preload_length 0
		.amdhsa_user_sgpr_kernarg_preload_offset 0
		.amdhsa_user_sgpr_private_segment_size 0
		.amdhsa_uses_dynamic_stack 0
		.amdhsa_system_sgpr_private_segment_wavefront_offset 0
		.amdhsa_system_sgpr_workgroup_id_x 1
		.amdhsa_system_sgpr_workgroup_id_y 0
		.amdhsa_system_sgpr_workgroup_id_z 0
		.amdhsa_system_sgpr_workgroup_info 0
		.amdhsa_system_vgpr_workitem_id 0
		.amdhsa_next_free_vgpr 1
		.amdhsa_next_free_sgpr 0
		.amdhsa_accum_offset 4
		.amdhsa_reserve_vcc 0
		.amdhsa_reserve_flat_scratch 0
		.amdhsa_float_round_mode_32 0
		.amdhsa_float_round_mode_16_64 0
		.amdhsa_float_denorm_mode_32 3
		.amdhsa_float_denorm_mode_16_64 3
		.amdhsa_dx10_clamp 1
		.amdhsa_ieee_mode 1
		.amdhsa_fp16_overflow 0
		.amdhsa_tg_split 0
		.amdhsa_exception_fp_ieee_invalid_op 0
		.amdhsa_exception_fp_denorm_src 0
		.amdhsa_exception_fp_ieee_div_zero 0
		.amdhsa_exception_fp_ieee_overflow 0
		.amdhsa_exception_fp_ieee_underflow 0
		.amdhsa_exception_fp_ieee_inexact 0
		.amdhsa_exception_int_div_zero 0
	.end_amdhsa_kernel
	.section	.text._ZN7rocprim17ROCPRIM_400000_NS6detail17trampoline_kernelINS0_14default_configENS1_20scan_config_selectorIiEEZZNS1_9scan_implILNS1_25lookback_scan_determinismE0ELb0ELb0ES3_N6thrust23THRUST_200600_302600_NS6detail15normal_iteratorINS9_10device_ptrIiEEEESE_iNS9_4plusIvEEiEEDaPvRmT3_T4_T5_mT6_P12ihipStream_tbENKUlT_T0_E_clISt17integral_constantIbLb0EESU_EEDaSP_SQ_EUlSP_E0_NS1_11comp_targetILNS1_3genE5ELNS1_11target_archE942ELNS1_3gpuE9ELNS1_3repE0EEENS1_30default_config_static_selectorELNS0_4arch9wavefront6targetE1EEEvT1_,"axG",@progbits,_ZN7rocprim17ROCPRIM_400000_NS6detail17trampoline_kernelINS0_14default_configENS1_20scan_config_selectorIiEEZZNS1_9scan_implILNS1_25lookback_scan_determinismE0ELb0ELb0ES3_N6thrust23THRUST_200600_302600_NS6detail15normal_iteratorINS9_10device_ptrIiEEEESE_iNS9_4plusIvEEiEEDaPvRmT3_T4_T5_mT6_P12ihipStream_tbENKUlT_T0_E_clISt17integral_constantIbLb0EESU_EEDaSP_SQ_EUlSP_E0_NS1_11comp_targetILNS1_3genE5ELNS1_11target_archE942ELNS1_3gpuE9ELNS1_3repE0EEENS1_30default_config_static_selectorELNS0_4arch9wavefront6targetE1EEEvT1_,comdat
.Lfunc_end1350:
	.size	_ZN7rocprim17ROCPRIM_400000_NS6detail17trampoline_kernelINS0_14default_configENS1_20scan_config_selectorIiEEZZNS1_9scan_implILNS1_25lookback_scan_determinismE0ELb0ELb0ES3_N6thrust23THRUST_200600_302600_NS6detail15normal_iteratorINS9_10device_ptrIiEEEESE_iNS9_4plusIvEEiEEDaPvRmT3_T4_T5_mT6_P12ihipStream_tbENKUlT_T0_E_clISt17integral_constantIbLb0EESU_EEDaSP_SQ_EUlSP_E0_NS1_11comp_targetILNS1_3genE5ELNS1_11target_archE942ELNS1_3gpuE9ELNS1_3repE0EEENS1_30default_config_static_selectorELNS0_4arch9wavefront6targetE1EEEvT1_, .Lfunc_end1350-_ZN7rocprim17ROCPRIM_400000_NS6detail17trampoline_kernelINS0_14default_configENS1_20scan_config_selectorIiEEZZNS1_9scan_implILNS1_25lookback_scan_determinismE0ELb0ELb0ES3_N6thrust23THRUST_200600_302600_NS6detail15normal_iteratorINS9_10device_ptrIiEEEESE_iNS9_4plusIvEEiEEDaPvRmT3_T4_T5_mT6_P12ihipStream_tbENKUlT_T0_E_clISt17integral_constantIbLb0EESU_EEDaSP_SQ_EUlSP_E0_NS1_11comp_targetILNS1_3genE5ELNS1_11target_archE942ELNS1_3gpuE9ELNS1_3repE0EEENS1_30default_config_static_selectorELNS0_4arch9wavefront6targetE1EEEvT1_
                                        ; -- End function
	.section	.AMDGPU.csdata,"",@progbits
; Kernel info:
; codeLenInByte = 0
; NumSgprs: 4
; NumVgprs: 0
; NumAgprs: 0
; TotalNumVgprs: 0
; ScratchSize: 0
; MemoryBound: 0
; FloatMode: 240
; IeeeMode: 1
; LDSByteSize: 0 bytes/workgroup (compile time only)
; SGPRBlocks: 0
; VGPRBlocks: 0
; NumSGPRsForWavesPerEU: 4
; NumVGPRsForWavesPerEU: 1
; AccumOffset: 4
; Occupancy: 8
; WaveLimiterHint : 0
; COMPUTE_PGM_RSRC2:SCRATCH_EN: 0
; COMPUTE_PGM_RSRC2:USER_SGPR: 6
; COMPUTE_PGM_RSRC2:TRAP_HANDLER: 0
; COMPUTE_PGM_RSRC2:TGID_X_EN: 1
; COMPUTE_PGM_RSRC2:TGID_Y_EN: 0
; COMPUTE_PGM_RSRC2:TGID_Z_EN: 0
; COMPUTE_PGM_RSRC2:TIDIG_COMP_CNT: 0
; COMPUTE_PGM_RSRC3_GFX90A:ACCUM_OFFSET: 0
; COMPUTE_PGM_RSRC3_GFX90A:TG_SPLIT: 0
	.section	.text._ZN7rocprim17ROCPRIM_400000_NS6detail17trampoline_kernelINS0_14default_configENS1_20scan_config_selectorIiEEZZNS1_9scan_implILNS1_25lookback_scan_determinismE0ELb0ELb0ES3_N6thrust23THRUST_200600_302600_NS6detail15normal_iteratorINS9_10device_ptrIiEEEESE_iNS9_4plusIvEEiEEDaPvRmT3_T4_T5_mT6_P12ihipStream_tbENKUlT_T0_E_clISt17integral_constantIbLb0EESU_EEDaSP_SQ_EUlSP_E0_NS1_11comp_targetILNS1_3genE4ELNS1_11target_archE910ELNS1_3gpuE8ELNS1_3repE0EEENS1_30default_config_static_selectorELNS0_4arch9wavefront6targetE1EEEvT1_,"axG",@progbits,_ZN7rocprim17ROCPRIM_400000_NS6detail17trampoline_kernelINS0_14default_configENS1_20scan_config_selectorIiEEZZNS1_9scan_implILNS1_25lookback_scan_determinismE0ELb0ELb0ES3_N6thrust23THRUST_200600_302600_NS6detail15normal_iteratorINS9_10device_ptrIiEEEESE_iNS9_4plusIvEEiEEDaPvRmT3_T4_T5_mT6_P12ihipStream_tbENKUlT_T0_E_clISt17integral_constantIbLb0EESU_EEDaSP_SQ_EUlSP_E0_NS1_11comp_targetILNS1_3genE4ELNS1_11target_archE910ELNS1_3gpuE8ELNS1_3repE0EEENS1_30default_config_static_selectorELNS0_4arch9wavefront6targetE1EEEvT1_,comdat
	.protected	_ZN7rocprim17ROCPRIM_400000_NS6detail17trampoline_kernelINS0_14default_configENS1_20scan_config_selectorIiEEZZNS1_9scan_implILNS1_25lookback_scan_determinismE0ELb0ELb0ES3_N6thrust23THRUST_200600_302600_NS6detail15normal_iteratorINS9_10device_ptrIiEEEESE_iNS9_4plusIvEEiEEDaPvRmT3_T4_T5_mT6_P12ihipStream_tbENKUlT_T0_E_clISt17integral_constantIbLb0EESU_EEDaSP_SQ_EUlSP_E0_NS1_11comp_targetILNS1_3genE4ELNS1_11target_archE910ELNS1_3gpuE8ELNS1_3repE0EEENS1_30default_config_static_selectorELNS0_4arch9wavefront6targetE1EEEvT1_ ; -- Begin function _ZN7rocprim17ROCPRIM_400000_NS6detail17trampoline_kernelINS0_14default_configENS1_20scan_config_selectorIiEEZZNS1_9scan_implILNS1_25lookback_scan_determinismE0ELb0ELb0ES3_N6thrust23THRUST_200600_302600_NS6detail15normal_iteratorINS9_10device_ptrIiEEEESE_iNS9_4plusIvEEiEEDaPvRmT3_T4_T5_mT6_P12ihipStream_tbENKUlT_T0_E_clISt17integral_constantIbLb0EESU_EEDaSP_SQ_EUlSP_E0_NS1_11comp_targetILNS1_3genE4ELNS1_11target_archE910ELNS1_3gpuE8ELNS1_3repE0EEENS1_30default_config_static_selectorELNS0_4arch9wavefront6targetE1EEEvT1_
	.globl	_ZN7rocprim17ROCPRIM_400000_NS6detail17trampoline_kernelINS0_14default_configENS1_20scan_config_selectorIiEEZZNS1_9scan_implILNS1_25lookback_scan_determinismE0ELb0ELb0ES3_N6thrust23THRUST_200600_302600_NS6detail15normal_iteratorINS9_10device_ptrIiEEEESE_iNS9_4plusIvEEiEEDaPvRmT3_T4_T5_mT6_P12ihipStream_tbENKUlT_T0_E_clISt17integral_constantIbLb0EESU_EEDaSP_SQ_EUlSP_E0_NS1_11comp_targetILNS1_3genE4ELNS1_11target_archE910ELNS1_3gpuE8ELNS1_3repE0EEENS1_30default_config_static_selectorELNS0_4arch9wavefront6targetE1EEEvT1_
	.p2align	8
	.type	_ZN7rocprim17ROCPRIM_400000_NS6detail17trampoline_kernelINS0_14default_configENS1_20scan_config_selectorIiEEZZNS1_9scan_implILNS1_25lookback_scan_determinismE0ELb0ELb0ES3_N6thrust23THRUST_200600_302600_NS6detail15normal_iteratorINS9_10device_ptrIiEEEESE_iNS9_4plusIvEEiEEDaPvRmT3_T4_T5_mT6_P12ihipStream_tbENKUlT_T0_E_clISt17integral_constantIbLb0EESU_EEDaSP_SQ_EUlSP_E0_NS1_11comp_targetILNS1_3genE4ELNS1_11target_archE910ELNS1_3gpuE8ELNS1_3repE0EEENS1_30default_config_static_selectorELNS0_4arch9wavefront6targetE1EEEvT1_,@function
_ZN7rocprim17ROCPRIM_400000_NS6detail17trampoline_kernelINS0_14default_configENS1_20scan_config_selectorIiEEZZNS1_9scan_implILNS1_25lookback_scan_determinismE0ELb0ELb0ES3_N6thrust23THRUST_200600_302600_NS6detail15normal_iteratorINS9_10device_ptrIiEEEESE_iNS9_4plusIvEEiEEDaPvRmT3_T4_T5_mT6_P12ihipStream_tbENKUlT_T0_E_clISt17integral_constantIbLb0EESU_EEDaSP_SQ_EUlSP_E0_NS1_11comp_targetILNS1_3genE4ELNS1_11target_archE910ELNS1_3gpuE8ELNS1_3repE0EEENS1_30default_config_static_selectorELNS0_4arch9wavefront6targetE1EEEvT1_: ; @_ZN7rocprim17ROCPRIM_400000_NS6detail17trampoline_kernelINS0_14default_configENS1_20scan_config_selectorIiEEZZNS1_9scan_implILNS1_25lookback_scan_determinismE0ELb0ELb0ES3_N6thrust23THRUST_200600_302600_NS6detail15normal_iteratorINS9_10device_ptrIiEEEESE_iNS9_4plusIvEEiEEDaPvRmT3_T4_T5_mT6_P12ihipStream_tbENKUlT_T0_E_clISt17integral_constantIbLb0EESU_EEDaSP_SQ_EUlSP_E0_NS1_11comp_targetILNS1_3genE4ELNS1_11target_archE910ELNS1_3gpuE8ELNS1_3repE0EEENS1_30default_config_static_selectorELNS0_4arch9wavefront6targetE1EEEvT1_
; %bb.0:
	s_load_dwordx4 s[20:23], s[4:5], 0x0
	v_lshlrev_b32_e32 v20, 2, v0
	s_waitcnt lgkmcnt(0)
	s_load_dword s23, s[20:21], 0x0
	v_cmp_gt_u32_e32 vcc, s22, v0
	s_waitcnt lgkmcnt(0)
	v_mov_b32_e32 v1, s23
	s_and_saveexec_b64 s[0:1], vcc
	s_cbranch_execz .LBB1351_2
; %bb.1:
	global_load_dword v1, v20, s[20:21]
.LBB1351_2:
	s_or_b64 exec, exec, s[0:1]
	v_or_b32_e32 v2, 0x80, v0
	v_cmp_gt_u32_e64 s[0:1], s22, v2
	v_mov_b32_e32 v2, s23
	s_and_saveexec_b64 s[2:3], s[0:1]
	s_cbranch_execz .LBB1351_4
; %bb.3:
	global_load_dword v2, v20, s[20:21] offset:512
.LBB1351_4:
	s_or_b64 exec, exec, s[2:3]
	v_or_b32_e32 v3, 0x100, v0
	v_cmp_gt_u32_e64 s[2:3], s22, v3
	v_mov_b32_e32 v3, s23
	s_and_saveexec_b64 s[6:7], s[2:3]
	s_cbranch_execz .LBB1351_6
; %bb.5:
	global_load_dword v3, v20, s[20:21] offset:1024
.LBB1351_6:
	;; [unrolled: 9-line block ×7, first 2 shown]
	s_or_b64 exec, exec, s[14:15]
	v_or_b32_e32 v10, 0x400, v0
	v_cmp_gt_u32_e64 s[14:15], s22, v10
	v_mov_b32_e32 v9, s23
	s_and_saveexec_b64 s[16:17], s[14:15]
	s_cbranch_execz .LBB1351_18
; %bb.17:
	v_lshlrev_b32_e32 v9, 2, v10
	global_load_dword v9, v9, s[20:21]
.LBB1351_18:
	s_or_b64 exec, exec, s[16:17]
	v_or_b32_e32 v11, 0x480, v0
	v_cmp_gt_u32_e64 s[16:17], s22, v11
	v_mov_b32_e32 v10, s23
	s_and_saveexec_b64 s[22:23], s[16:17]
	s_cbranch_execz .LBB1351_20
; %bb.19:
	v_lshlrev_b32_e32 v10, 2, v11
	global_load_dword v10, v10, s[20:21]
.LBB1351_20:
	s_or_b64 exec, exec, s[22:23]
	s_waitcnt vmcnt(0)
	ds_write2st64_b32 v20, v1, v2 offset1:2
	ds_write2st64_b32 v20, v3, v4 offset0:4 offset1:6
	ds_write2st64_b32 v20, v5, v6 offset0:8 offset1:10
	;; [unrolled: 1-line block ×4, first 2 shown]
	v_mad_u32_u24 v1, v0, 36, v20
	s_waitcnt lgkmcnt(0)
	s_barrier
	ds_read2_b64 v[6:9], v1 offset1:1
	ds_read2_b64 v[2:5], v1 offset0:2 offset1:3
	ds_read_b64 v[18:19], v1 offset:32
	v_lshrrev_b32_e32 v21, 3, v0
	v_and_b32_e32 v21, 12, v21
	s_waitcnt lgkmcnt(2)
	v_add_u32_e32 v1, v7, v6
	v_add_u32_e32 v14, v1, v8
	;; [unrolled: 1-line block ×3, first 2 shown]
	s_waitcnt lgkmcnt(1)
	v_add_u32_e32 v10, v15, v2
	v_add_u32_e32 v11, v10, v3
	;; [unrolled: 1-line block ×4, first 2 shown]
	s_waitcnt lgkmcnt(0)
	v_add_u32_e32 v16, v13, v18
	v_add_u32_e32 v17, v16, v19
	;; [unrolled: 1-line block ×3, first 2 shown]
	v_cmp_gt_u32_e64 s[20:21], 64, v0
	s_barrier
	ds_write_b32 v21, v17
	s_waitcnt lgkmcnt(0)
	s_barrier
	s_and_saveexec_b64 s[22:23], s[20:21]
	s_cbranch_execz .LBB1351_22
; %bb.21:
	v_lshlrev_b32_e32 v21, 1, v0
	v_lshrrev_b32_e32 v22, 4, v0
	v_add_lshl_u32 v21, v22, v21, 2
	ds_read2_b32 v[22:23], v21 offset1:1
	v_mbcnt_lo_u32_b32 v24, -1, 0
	v_mbcnt_hi_u32_b32 v24, -1, v24
	v_and_b32_e32 v25, 15, v24
	v_cmp_ne_u32_e64 s[20:21], 0, v25
	s_waitcnt lgkmcnt(0)
	v_add_u32_e32 v23, v23, v22
	; wave barrier
	s_nop 1
	v_mov_b32_dpp v26, v23 row_shr:1 row_mask:0xf bank_mask:0xf
	v_cndmask_b32_e64 v26, 0, v26, s[20:21]
	v_add_u32_e32 v23, v26, v23
	v_cmp_lt_u32_e64 s[20:21], 1, v25
	s_nop 0
	v_mov_b32_dpp v26, v23 row_shr:2 row_mask:0xf bank_mask:0xf
	v_cndmask_b32_e64 v26, 0, v26, s[20:21]
	v_add_u32_e32 v23, v23, v26
	v_cmp_lt_u32_e64 s[20:21], 3, v25
	;; [unrolled: 5-line block ×3, first 2 shown]
	s_nop 0
	v_mov_b32_dpp v26, v23 row_shr:8 row_mask:0xf bank_mask:0xf
	v_cndmask_b32_e64 v25, 0, v26, s[20:21]
	v_add_u32_e32 v23, v23, v25
	v_bfe_i32 v26, v24, 4, 1
	v_cmp_lt_u32_e64 s[20:21], 31, v24
	v_mov_b32_dpp v25, v23 row_bcast:15 row_mask:0xf bank_mask:0xf
	v_and_b32_e32 v25, v26, v25
	v_add_u32_e32 v23, v23, v25
	v_and_b32_e32 v26, 64, v24
	s_nop 0
	v_mov_b32_dpp v25, v23 row_bcast:31 row_mask:0xf bank_mask:0xf
	v_cndmask_b32_e64 v25, 0, v25, s[20:21]
	v_add_u32_e32 v23, v23, v25
	v_add_u32_e32 v25, -1, v24
	v_cmp_lt_i32_e64 s[20:21], v25, v26
	v_cndmask_b32_e64 v24, v25, v24, s[20:21]
	v_lshlrev_b32_e32 v24, 2, v24
	ds_bpermute_b32 v23, v24, v23
	v_cmp_eq_u32_e64 s[20:21], 0, v0
	s_waitcnt lgkmcnt(0)
	v_add_u32_e32 v22, v23, v22
	v_cndmask_b32_e64 v22, v22, v17, s[20:21]
	ds_write_b32 v21, v22
	; wave barrier
	ds_read_b32 v23, v21 offset:4
	s_waitcnt lgkmcnt(0)
	v_add_u32_e32 v22, v23, v22
	ds_write_b32 v21, v22 offset:4
.LBB1351_22:
	s_or_b64 exec, exec, s[22:23]
	s_load_dwordx2 s[20:21], s[4:5], 0x18
	v_cmp_ne_u32_e64 s[4:5], 0, v0
	v_mov_b32_e32 v22, v17
	s_waitcnt lgkmcnt(0)
	s_barrier
	s_and_saveexec_b64 s[22:23], s[4:5]
	s_cbranch_execz .LBB1351_24
; %bb.23:
	v_add_u32_e32 v21, -1, v0
	v_lshrrev_b32_e32 v22, 5, v21
	v_add_lshl_u32 v21, v22, v21, 2
	ds_read_b32 v22, v21
.LBB1351_24:
	s_or_b64 exec, exec, s[22:23]
	v_mul_u32_u24_e32 v21, 36, v0
	v_mov_b32_e32 v0, v6
	s_and_saveexec_b64 s[22:23], s[4:5]
	s_cbranch_execz .LBB1351_26
; %bb.25:
	s_waitcnt lgkmcnt(0)
	v_add_u32_e32 v0, v22, v6
	v_add_u32_e32 v1, v0, v7
	;; [unrolled: 1-line block ×10, first 2 shown]
	;;#ASMSTART
	;;#ASMEND
.LBB1351_26:
	s_or_b64 exec, exec, s[22:23]
	v_add_u32_e32 v2, v20, v21
	s_waitcnt lgkmcnt(0)
	s_barrier
	ds_write2_b64 v2, v[0:1], v[14:15] offset1:1
	ds_write2_b64 v2, v[10:11], v[12:13] offset0:2 offset1:3
	ds_write_b64 v2, v[16:17] offset:32
	s_waitcnt lgkmcnt(0)
	s_barrier
	ds_read2st64_b32 v[8:9], v20 offset0:2 offset1:4
	ds_read2st64_b32 v[6:7], v20 offset0:6 offset1:8
	;; [unrolled: 1-line block ×4, first 2 shown]
	ds_read_b32 v10, v20 offset:4608
	v_mov_b32_e32 v1, s21
	v_add_co_u32_e64 v0, s[4:5], s20, v20
	v_addc_co_u32_e64 v1, s[4:5], 0, v1, s[4:5]
	s_and_saveexec_b64 s[4:5], vcc
	s_cbranch_execnz .LBB1351_37
; %bb.27:
	s_or_b64 exec, exec, s[4:5]
	s_and_saveexec_b64 s[4:5], s[0:1]
	s_cbranch_execnz .LBB1351_38
.LBB1351_28:
	s_or_b64 exec, exec, s[4:5]
	s_and_saveexec_b64 s[0:1], s[2:3]
	s_cbranch_execnz .LBB1351_39
.LBB1351_29:
	s_or_b64 exec, exec, s[0:1]
	s_and_saveexec_b64 s[0:1], s[18:19]
	s_cbranch_execnz .LBB1351_40
.LBB1351_30:
	s_or_b64 exec, exec, s[0:1]
	s_and_saveexec_b64 s[0:1], s[6:7]
	s_cbranch_execnz .LBB1351_41
.LBB1351_31:
	s_or_b64 exec, exec, s[0:1]
	s_and_saveexec_b64 s[0:1], s[8:9]
	s_cbranch_execnz .LBB1351_42
.LBB1351_32:
	s_or_b64 exec, exec, s[0:1]
	s_and_saveexec_b64 s[0:1], s[10:11]
	s_cbranch_execnz .LBB1351_43
.LBB1351_33:
	s_or_b64 exec, exec, s[0:1]
	s_and_saveexec_b64 s[0:1], s[12:13]
	s_cbranch_execnz .LBB1351_44
.LBB1351_34:
	s_or_b64 exec, exec, s[0:1]
	s_and_saveexec_b64 s[0:1], s[14:15]
	s_cbranch_execnz .LBB1351_45
.LBB1351_35:
	s_or_b64 exec, exec, s[0:1]
	s_and_saveexec_b64 s[0:1], s[16:17]
	s_cbranch_execnz .LBB1351_46
.LBB1351_36:
	s_endpgm
.LBB1351_37:
	ds_read_b32 v11, v20
	s_waitcnt lgkmcnt(0)
	global_store_dword v[0:1], v11, off
	s_or_b64 exec, exec, s[4:5]
	s_and_saveexec_b64 s[4:5], s[0:1]
	s_cbranch_execz .LBB1351_28
.LBB1351_38:
	s_waitcnt lgkmcnt(4)
	global_store_dword v[0:1], v8, off offset:512
	s_or_b64 exec, exec, s[4:5]
	s_and_saveexec_b64 s[0:1], s[2:3]
	s_cbranch_execz .LBB1351_29
.LBB1351_39:
	s_waitcnt lgkmcnt(4)
	global_store_dword v[0:1], v9, off offset:1024
	s_or_b64 exec, exec, s[0:1]
	s_and_saveexec_b64 s[0:1], s[18:19]
	s_cbranch_execz .LBB1351_30
.LBB1351_40:
	s_waitcnt lgkmcnt(3)
	global_store_dword v[0:1], v6, off offset:1536
	s_or_b64 exec, exec, s[0:1]
	s_and_saveexec_b64 s[0:1], s[6:7]
	s_cbranch_execz .LBB1351_31
.LBB1351_41:
	s_waitcnt lgkmcnt(3)
	global_store_dword v[0:1], v7, off offset:2048
	s_or_b64 exec, exec, s[0:1]
	s_and_saveexec_b64 s[0:1], s[8:9]
	s_cbranch_execz .LBB1351_32
.LBB1351_42:
	s_waitcnt lgkmcnt(2)
	global_store_dword v[0:1], v4, off offset:2560
	s_or_b64 exec, exec, s[0:1]
	s_and_saveexec_b64 s[0:1], s[10:11]
	s_cbranch_execz .LBB1351_33
.LBB1351_43:
	s_waitcnt lgkmcnt(2)
	global_store_dword v[0:1], v5, off offset:3072
	s_or_b64 exec, exec, s[0:1]
	s_and_saveexec_b64 s[0:1], s[12:13]
	s_cbranch_execz .LBB1351_34
.LBB1351_44:
	s_waitcnt lgkmcnt(1)
	global_store_dword v[0:1], v2, off offset:3584
	s_or_b64 exec, exec, s[0:1]
	s_and_saveexec_b64 s[0:1], s[14:15]
	s_cbranch_execz .LBB1351_35
.LBB1351_45:
	s_waitcnt lgkmcnt(2)
	v_add_co_u32_e32 v4, vcc, 0x1000, v0
	v_addc_co_u32_e32 v5, vcc, 0, v1, vcc
	s_waitcnt lgkmcnt(1)
	global_store_dword v[4:5], v3, off
	s_or_b64 exec, exec, s[0:1]
	s_and_saveexec_b64 s[0:1], s[16:17]
	s_cbranch_execz .LBB1351_36
.LBB1351_46:
	v_add_co_u32_e32 v0, vcc, 0x1000, v0
	v_addc_co_u32_e32 v1, vcc, 0, v1, vcc
	s_waitcnt lgkmcnt(0)
	global_store_dword v[0:1], v10, off offset:512
	s_endpgm
	.section	.rodata,"a",@progbits
	.p2align	6, 0x0
	.amdhsa_kernel _ZN7rocprim17ROCPRIM_400000_NS6detail17trampoline_kernelINS0_14default_configENS1_20scan_config_selectorIiEEZZNS1_9scan_implILNS1_25lookback_scan_determinismE0ELb0ELb0ES3_N6thrust23THRUST_200600_302600_NS6detail15normal_iteratorINS9_10device_ptrIiEEEESE_iNS9_4plusIvEEiEEDaPvRmT3_T4_T5_mT6_P12ihipStream_tbENKUlT_T0_E_clISt17integral_constantIbLb0EESU_EEDaSP_SQ_EUlSP_E0_NS1_11comp_targetILNS1_3genE4ELNS1_11target_archE910ELNS1_3gpuE8ELNS1_3repE0EEENS1_30default_config_static_selectorELNS0_4arch9wavefront6targetE1EEEvT1_
		.amdhsa_group_segment_fixed_size 5120
		.amdhsa_private_segment_fixed_size 0
		.amdhsa_kernarg_size 32
		.amdhsa_user_sgpr_count 6
		.amdhsa_user_sgpr_private_segment_buffer 1
		.amdhsa_user_sgpr_dispatch_ptr 0
		.amdhsa_user_sgpr_queue_ptr 0
		.amdhsa_user_sgpr_kernarg_segment_ptr 1
		.amdhsa_user_sgpr_dispatch_id 0
		.amdhsa_user_sgpr_flat_scratch_init 0
		.amdhsa_user_sgpr_kernarg_preload_length 0
		.amdhsa_user_sgpr_kernarg_preload_offset 0
		.amdhsa_user_sgpr_private_segment_size 0
		.amdhsa_uses_dynamic_stack 0
		.amdhsa_system_sgpr_private_segment_wavefront_offset 0
		.amdhsa_system_sgpr_workgroup_id_x 1
		.amdhsa_system_sgpr_workgroup_id_y 0
		.amdhsa_system_sgpr_workgroup_id_z 0
		.amdhsa_system_sgpr_workgroup_info 0
		.amdhsa_system_vgpr_workitem_id 0
		.amdhsa_next_free_vgpr 27
		.amdhsa_next_free_sgpr 24
		.amdhsa_accum_offset 28
		.amdhsa_reserve_vcc 1
		.amdhsa_reserve_flat_scratch 0
		.amdhsa_float_round_mode_32 0
		.amdhsa_float_round_mode_16_64 0
		.amdhsa_float_denorm_mode_32 3
		.amdhsa_float_denorm_mode_16_64 3
		.amdhsa_dx10_clamp 1
		.amdhsa_ieee_mode 1
		.amdhsa_fp16_overflow 0
		.amdhsa_tg_split 0
		.amdhsa_exception_fp_ieee_invalid_op 0
		.amdhsa_exception_fp_denorm_src 0
		.amdhsa_exception_fp_ieee_div_zero 0
		.amdhsa_exception_fp_ieee_overflow 0
		.amdhsa_exception_fp_ieee_underflow 0
		.amdhsa_exception_fp_ieee_inexact 0
		.amdhsa_exception_int_div_zero 0
	.end_amdhsa_kernel
	.section	.text._ZN7rocprim17ROCPRIM_400000_NS6detail17trampoline_kernelINS0_14default_configENS1_20scan_config_selectorIiEEZZNS1_9scan_implILNS1_25lookback_scan_determinismE0ELb0ELb0ES3_N6thrust23THRUST_200600_302600_NS6detail15normal_iteratorINS9_10device_ptrIiEEEESE_iNS9_4plusIvEEiEEDaPvRmT3_T4_T5_mT6_P12ihipStream_tbENKUlT_T0_E_clISt17integral_constantIbLb0EESU_EEDaSP_SQ_EUlSP_E0_NS1_11comp_targetILNS1_3genE4ELNS1_11target_archE910ELNS1_3gpuE8ELNS1_3repE0EEENS1_30default_config_static_selectorELNS0_4arch9wavefront6targetE1EEEvT1_,"axG",@progbits,_ZN7rocprim17ROCPRIM_400000_NS6detail17trampoline_kernelINS0_14default_configENS1_20scan_config_selectorIiEEZZNS1_9scan_implILNS1_25lookback_scan_determinismE0ELb0ELb0ES3_N6thrust23THRUST_200600_302600_NS6detail15normal_iteratorINS9_10device_ptrIiEEEESE_iNS9_4plusIvEEiEEDaPvRmT3_T4_T5_mT6_P12ihipStream_tbENKUlT_T0_E_clISt17integral_constantIbLb0EESU_EEDaSP_SQ_EUlSP_E0_NS1_11comp_targetILNS1_3genE4ELNS1_11target_archE910ELNS1_3gpuE8ELNS1_3repE0EEENS1_30default_config_static_selectorELNS0_4arch9wavefront6targetE1EEEvT1_,comdat
.Lfunc_end1351:
	.size	_ZN7rocprim17ROCPRIM_400000_NS6detail17trampoline_kernelINS0_14default_configENS1_20scan_config_selectorIiEEZZNS1_9scan_implILNS1_25lookback_scan_determinismE0ELb0ELb0ES3_N6thrust23THRUST_200600_302600_NS6detail15normal_iteratorINS9_10device_ptrIiEEEESE_iNS9_4plusIvEEiEEDaPvRmT3_T4_T5_mT6_P12ihipStream_tbENKUlT_T0_E_clISt17integral_constantIbLb0EESU_EEDaSP_SQ_EUlSP_E0_NS1_11comp_targetILNS1_3genE4ELNS1_11target_archE910ELNS1_3gpuE8ELNS1_3repE0EEENS1_30default_config_static_selectorELNS0_4arch9wavefront6targetE1EEEvT1_, .Lfunc_end1351-_ZN7rocprim17ROCPRIM_400000_NS6detail17trampoline_kernelINS0_14default_configENS1_20scan_config_selectorIiEEZZNS1_9scan_implILNS1_25lookback_scan_determinismE0ELb0ELb0ES3_N6thrust23THRUST_200600_302600_NS6detail15normal_iteratorINS9_10device_ptrIiEEEESE_iNS9_4plusIvEEiEEDaPvRmT3_T4_T5_mT6_P12ihipStream_tbENKUlT_T0_E_clISt17integral_constantIbLb0EESU_EEDaSP_SQ_EUlSP_E0_NS1_11comp_targetILNS1_3genE4ELNS1_11target_archE910ELNS1_3gpuE8ELNS1_3repE0EEENS1_30default_config_static_selectorELNS0_4arch9wavefront6targetE1EEEvT1_
                                        ; -- End function
	.section	.AMDGPU.csdata,"",@progbits
; Kernel info:
; codeLenInByte = 1556
; NumSgprs: 28
; NumVgprs: 27
; NumAgprs: 0
; TotalNumVgprs: 27
; ScratchSize: 0
; MemoryBound: 0
; FloatMode: 240
; IeeeMode: 1
; LDSByteSize: 5120 bytes/workgroup (compile time only)
; SGPRBlocks: 3
; VGPRBlocks: 3
; NumSGPRsForWavesPerEU: 28
; NumVGPRsForWavesPerEU: 27
; AccumOffset: 28
; Occupancy: 6
; WaveLimiterHint : 0
; COMPUTE_PGM_RSRC2:SCRATCH_EN: 0
; COMPUTE_PGM_RSRC2:USER_SGPR: 6
; COMPUTE_PGM_RSRC2:TRAP_HANDLER: 0
; COMPUTE_PGM_RSRC2:TGID_X_EN: 1
; COMPUTE_PGM_RSRC2:TGID_Y_EN: 0
; COMPUTE_PGM_RSRC2:TGID_Z_EN: 0
; COMPUTE_PGM_RSRC2:TIDIG_COMP_CNT: 0
; COMPUTE_PGM_RSRC3_GFX90A:ACCUM_OFFSET: 6
; COMPUTE_PGM_RSRC3_GFX90A:TG_SPLIT: 0
	.section	.text._ZN7rocprim17ROCPRIM_400000_NS6detail17trampoline_kernelINS0_14default_configENS1_20scan_config_selectorIiEEZZNS1_9scan_implILNS1_25lookback_scan_determinismE0ELb0ELb0ES3_N6thrust23THRUST_200600_302600_NS6detail15normal_iteratorINS9_10device_ptrIiEEEESE_iNS9_4plusIvEEiEEDaPvRmT3_T4_T5_mT6_P12ihipStream_tbENKUlT_T0_E_clISt17integral_constantIbLb0EESU_EEDaSP_SQ_EUlSP_E0_NS1_11comp_targetILNS1_3genE3ELNS1_11target_archE908ELNS1_3gpuE7ELNS1_3repE0EEENS1_30default_config_static_selectorELNS0_4arch9wavefront6targetE1EEEvT1_,"axG",@progbits,_ZN7rocprim17ROCPRIM_400000_NS6detail17trampoline_kernelINS0_14default_configENS1_20scan_config_selectorIiEEZZNS1_9scan_implILNS1_25lookback_scan_determinismE0ELb0ELb0ES3_N6thrust23THRUST_200600_302600_NS6detail15normal_iteratorINS9_10device_ptrIiEEEESE_iNS9_4plusIvEEiEEDaPvRmT3_T4_T5_mT6_P12ihipStream_tbENKUlT_T0_E_clISt17integral_constantIbLb0EESU_EEDaSP_SQ_EUlSP_E0_NS1_11comp_targetILNS1_3genE3ELNS1_11target_archE908ELNS1_3gpuE7ELNS1_3repE0EEENS1_30default_config_static_selectorELNS0_4arch9wavefront6targetE1EEEvT1_,comdat
	.protected	_ZN7rocprim17ROCPRIM_400000_NS6detail17trampoline_kernelINS0_14default_configENS1_20scan_config_selectorIiEEZZNS1_9scan_implILNS1_25lookback_scan_determinismE0ELb0ELb0ES3_N6thrust23THRUST_200600_302600_NS6detail15normal_iteratorINS9_10device_ptrIiEEEESE_iNS9_4plusIvEEiEEDaPvRmT3_T4_T5_mT6_P12ihipStream_tbENKUlT_T0_E_clISt17integral_constantIbLb0EESU_EEDaSP_SQ_EUlSP_E0_NS1_11comp_targetILNS1_3genE3ELNS1_11target_archE908ELNS1_3gpuE7ELNS1_3repE0EEENS1_30default_config_static_selectorELNS0_4arch9wavefront6targetE1EEEvT1_ ; -- Begin function _ZN7rocprim17ROCPRIM_400000_NS6detail17trampoline_kernelINS0_14default_configENS1_20scan_config_selectorIiEEZZNS1_9scan_implILNS1_25lookback_scan_determinismE0ELb0ELb0ES3_N6thrust23THRUST_200600_302600_NS6detail15normal_iteratorINS9_10device_ptrIiEEEESE_iNS9_4plusIvEEiEEDaPvRmT3_T4_T5_mT6_P12ihipStream_tbENKUlT_T0_E_clISt17integral_constantIbLb0EESU_EEDaSP_SQ_EUlSP_E0_NS1_11comp_targetILNS1_3genE3ELNS1_11target_archE908ELNS1_3gpuE7ELNS1_3repE0EEENS1_30default_config_static_selectorELNS0_4arch9wavefront6targetE1EEEvT1_
	.globl	_ZN7rocprim17ROCPRIM_400000_NS6detail17trampoline_kernelINS0_14default_configENS1_20scan_config_selectorIiEEZZNS1_9scan_implILNS1_25lookback_scan_determinismE0ELb0ELb0ES3_N6thrust23THRUST_200600_302600_NS6detail15normal_iteratorINS9_10device_ptrIiEEEESE_iNS9_4plusIvEEiEEDaPvRmT3_T4_T5_mT6_P12ihipStream_tbENKUlT_T0_E_clISt17integral_constantIbLb0EESU_EEDaSP_SQ_EUlSP_E0_NS1_11comp_targetILNS1_3genE3ELNS1_11target_archE908ELNS1_3gpuE7ELNS1_3repE0EEENS1_30default_config_static_selectorELNS0_4arch9wavefront6targetE1EEEvT1_
	.p2align	8
	.type	_ZN7rocprim17ROCPRIM_400000_NS6detail17trampoline_kernelINS0_14default_configENS1_20scan_config_selectorIiEEZZNS1_9scan_implILNS1_25lookback_scan_determinismE0ELb0ELb0ES3_N6thrust23THRUST_200600_302600_NS6detail15normal_iteratorINS9_10device_ptrIiEEEESE_iNS9_4plusIvEEiEEDaPvRmT3_T4_T5_mT6_P12ihipStream_tbENKUlT_T0_E_clISt17integral_constantIbLb0EESU_EEDaSP_SQ_EUlSP_E0_NS1_11comp_targetILNS1_3genE3ELNS1_11target_archE908ELNS1_3gpuE7ELNS1_3repE0EEENS1_30default_config_static_selectorELNS0_4arch9wavefront6targetE1EEEvT1_,@function
_ZN7rocprim17ROCPRIM_400000_NS6detail17trampoline_kernelINS0_14default_configENS1_20scan_config_selectorIiEEZZNS1_9scan_implILNS1_25lookback_scan_determinismE0ELb0ELb0ES3_N6thrust23THRUST_200600_302600_NS6detail15normal_iteratorINS9_10device_ptrIiEEEESE_iNS9_4plusIvEEiEEDaPvRmT3_T4_T5_mT6_P12ihipStream_tbENKUlT_T0_E_clISt17integral_constantIbLb0EESU_EEDaSP_SQ_EUlSP_E0_NS1_11comp_targetILNS1_3genE3ELNS1_11target_archE908ELNS1_3gpuE7ELNS1_3repE0EEENS1_30default_config_static_selectorELNS0_4arch9wavefront6targetE1EEEvT1_: ; @_ZN7rocprim17ROCPRIM_400000_NS6detail17trampoline_kernelINS0_14default_configENS1_20scan_config_selectorIiEEZZNS1_9scan_implILNS1_25lookback_scan_determinismE0ELb0ELb0ES3_N6thrust23THRUST_200600_302600_NS6detail15normal_iteratorINS9_10device_ptrIiEEEESE_iNS9_4plusIvEEiEEDaPvRmT3_T4_T5_mT6_P12ihipStream_tbENKUlT_T0_E_clISt17integral_constantIbLb0EESU_EEDaSP_SQ_EUlSP_E0_NS1_11comp_targetILNS1_3genE3ELNS1_11target_archE908ELNS1_3gpuE7ELNS1_3repE0EEENS1_30default_config_static_selectorELNS0_4arch9wavefront6targetE1EEEvT1_
; %bb.0:
	.section	.rodata,"a",@progbits
	.p2align	6, 0x0
	.amdhsa_kernel _ZN7rocprim17ROCPRIM_400000_NS6detail17trampoline_kernelINS0_14default_configENS1_20scan_config_selectorIiEEZZNS1_9scan_implILNS1_25lookback_scan_determinismE0ELb0ELb0ES3_N6thrust23THRUST_200600_302600_NS6detail15normal_iteratorINS9_10device_ptrIiEEEESE_iNS9_4plusIvEEiEEDaPvRmT3_T4_T5_mT6_P12ihipStream_tbENKUlT_T0_E_clISt17integral_constantIbLb0EESU_EEDaSP_SQ_EUlSP_E0_NS1_11comp_targetILNS1_3genE3ELNS1_11target_archE908ELNS1_3gpuE7ELNS1_3repE0EEENS1_30default_config_static_selectorELNS0_4arch9wavefront6targetE1EEEvT1_
		.amdhsa_group_segment_fixed_size 0
		.amdhsa_private_segment_fixed_size 0
		.amdhsa_kernarg_size 32
		.amdhsa_user_sgpr_count 6
		.amdhsa_user_sgpr_private_segment_buffer 1
		.amdhsa_user_sgpr_dispatch_ptr 0
		.amdhsa_user_sgpr_queue_ptr 0
		.amdhsa_user_sgpr_kernarg_segment_ptr 1
		.amdhsa_user_sgpr_dispatch_id 0
		.amdhsa_user_sgpr_flat_scratch_init 0
		.amdhsa_user_sgpr_kernarg_preload_length 0
		.amdhsa_user_sgpr_kernarg_preload_offset 0
		.amdhsa_user_sgpr_private_segment_size 0
		.amdhsa_uses_dynamic_stack 0
		.amdhsa_system_sgpr_private_segment_wavefront_offset 0
		.amdhsa_system_sgpr_workgroup_id_x 1
		.amdhsa_system_sgpr_workgroup_id_y 0
		.amdhsa_system_sgpr_workgroup_id_z 0
		.amdhsa_system_sgpr_workgroup_info 0
		.amdhsa_system_vgpr_workitem_id 0
		.amdhsa_next_free_vgpr 1
		.amdhsa_next_free_sgpr 0
		.amdhsa_accum_offset 4
		.amdhsa_reserve_vcc 0
		.amdhsa_reserve_flat_scratch 0
		.amdhsa_float_round_mode_32 0
		.amdhsa_float_round_mode_16_64 0
		.amdhsa_float_denorm_mode_32 3
		.amdhsa_float_denorm_mode_16_64 3
		.amdhsa_dx10_clamp 1
		.amdhsa_ieee_mode 1
		.amdhsa_fp16_overflow 0
		.amdhsa_tg_split 0
		.amdhsa_exception_fp_ieee_invalid_op 0
		.amdhsa_exception_fp_denorm_src 0
		.amdhsa_exception_fp_ieee_div_zero 0
		.amdhsa_exception_fp_ieee_overflow 0
		.amdhsa_exception_fp_ieee_underflow 0
		.amdhsa_exception_fp_ieee_inexact 0
		.amdhsa_exception_int_div_zero 0
	.end_amdhsa_kernel
	.section	.text._ZN7rocprim17ROCPRIM_400000_NS6detail17trampoline_kernelINS0_14default_configENS1_20scan_config_selectorIiEEZZNS1_9scan_implILNS1_25lookback_scan_determinismE0ELb0ELb0ES3_N6thrust23THRUST_200600_302600_NS6detail15normal_iteratorINS9_10device_ptrIiEEEESE_iNS9_4plusIvEEiEEDaPvRmT3_T4_T5_mT6_P12ihipStream_tbENKUlT_T0_E_clISt17integral_constantIbLb0EESU_EEDaSP_SQ_EUlSP_E0_NS1_11comp_targetILNS1_3genE3ELNS1_11target_archE908ELNS1_3gpuE7ELNS1_3repE0EEENS1_30default_config_static_selectorELNS0_4arch9wavefront6targetE1EEEvT1_,"axG",@progbits,_ZN7rocprim17ROCPRIM_400000_NS6detail17trampoline_kernelINS0_14default_configENS1_20scan_config_selectorIiEEZZNS1_9scan_implILNS1_25lookback_scan_determinismE0ELb0ELb0ES3_N6thrust23THRUST_200600_302600_NS6detail15normal_iteratorINS9_10device_ptrIiEEEESE_iNS9_4plusIvEEiEEDaPvRmT3_T4_T5_mT6_P12ihipStream_tbENKUlT_T0_E_clISt17integral_constantIbLb0EESU_EEDaSP_SQ_EUlSP_E0_NS1_11comp_targetILNS1_3genE3ELNS1_11target_archE908ELNS1_3gpuE7ELNS1_3repE0EEENS1_30default_config_static_selectorELNS0_4arch9wavefront6targetE1EEEvT1_,comdat
.Lfunc_end1352:
	.size	_ZN7rocprim17ROCPRIM_400000_NS6detail17trampoline_kernelINS0_14default_configENS1_20scan_config_selectorIiEEZZNS1_9scan_implILNS1_25lookback_scan_determinismE0ELb0ELb0ES3_N6thrust23THRUST_200600_302600_NS6detail15normal_iteratorINS9_10device_ptrIiEEEESE_iNS9_4plusIvEEiEEDaPvRmT3_T4_T5_mT6_P12ihipStream_tbENKUlT_T0_E_clISt17integral_constantIbLb0EESU_EEDaSP_SQ_EUlSP_E0_NS1_11comp_targetILNS1_3genE3ELNS1_11target_archE908ELNS1_3gpuE7ELNS1_3repE0EEENS1_30default_config_static_selectorELNS0_4arch9wavefront6targetE1EEEvT1_, .Lfunc_end1352-_ZN7rocprim17ROCPRIM_400000_NS6detail17trampoline_kernelINS0_14default_configENS1_20scan_config_selectorIiEEZZNS1_9scan_implILNS1_25lookback_scan_determinismE0ELb0ELb0ES3_N6thrust23THRUST_200600_302600_NS6detail15normal_iteratorINS9_10device_ptrIiEEEESE_iNS9_4plusIvEEiEEDaPvRmT3_T4_T5_mT6_P12ihipStream_tbENKUlT_T0_E_clISt17integral_constantIbLb0EESU_EEDaSP_SQ_EUlSP_E0_NS1_11comp_targetILNS1_3genE3ELNS1_11target_archE908ELNS1_3gpuE7ELNS1_3repE0EEENS1_30default_config_static_selectorELNS0_4arch9wavefront6targetE1EEEvT1_
                                        ; -- End function
	.section	.AMDGPU.csdata,"",@progbits
; Kernel info:
; codeLenInByte = 0
; NumSgprs: 4
; NumVgprs: 0
; NumAgprs: 0
; TotalNumVgprs: 0
; ScratchSize: 0
; MemoryBound: 0
; FloatMode: 240
; IeeeMode: 1
; LDSByteSize: 0 bytes/workgroup (compile time only)
; SGPRBlocks: 0
; VGPRBlocks: 0
; NumSGPRsForWavesPerEU: 4
; NumVGPRsForWavesPerEU: 1
; AccumOffset: 4
; Occupancy: 8
; WaveLimiterHint : 0
; COMPUTE_PGM_RSRC2:SCRATCH_EN: 0
; COMPUTE_PGM_RSRC2:USER_SGPR: 6
; COMPUTE_PGM_RSRC2:TRAP_HANDLER: 0
; COMPUTE_PGM_RSRC2:TGID_X_EN: 1
; COMPUTE_PGM_RSRC2:TGID_Y_EN: 0
; COMPUTE_PGM_RSRC2:TGID_Z_EN: 0
; COMPUTE_PGM_RSRC2:TIDIG_COMP_CNT: 0
; COMPUTE_PGM_RSRC3_GFX90A:ACCUM_OFFSET: 0
; COMPUTE_PGM_RSRC3_GFX90A:TG_SPLIT: 0
	.section	.text._ZN7rocprim17ROCPRIM_400000_NS6detail17trampoline_kernelINS0_14default_configENS1_20scan_config_selectorIiEEZZNS1_9scan_implILNS1_25lookback_scan_determinismE0ELb0ELb0ES3_N6thrust23THRUST_200600_302600_NS6detail15normal_iteratorINS9_10device_ptrIiEEEESE_iNS9_4plusIvEEiEEDaPvRmT3_T4_T5_mT6_P12ihipStream_tbENKUlT_T0_E_clISt17integral_constantIbLb0EESU_EEDaSP_SQ_EUlSP_E0_NS1_11comp_targetILNS1_3genE2ELNS1_11target_archE906ELNS1_3gpuE6ELNS1_3repE0EEENS1_30default_config_static_selectorELNS0_4arch9wavefront6targetE1EEEvT1_,"axG",@progbits,_ZN7rocprim17ROCPRIM_400000_NS6detail17trampoline_kernelINS0_14default_configENS1_20scan_config_selectorIiEEZZNS1_9scan_implILNS1_25lookback_scan_determinismE0ELb0ELb0ES3_N6thrust23THRUST_200600_302600_NS6detail15normal_iteratorINS9_10device_ptrIiEEEESE_iNS9_4plusIvEEiEEDaPvRmT3_T4_T5_mT6_P12ihipStream_tbENKUlT_T0_E_clISt17integral_constantIbLb0EESU_EEDaSP_SQ_EUlSP_E0_NS1_11comp_targetILNS1_3genE2ELNS1_11target_archE906ELNS1_3gpuE6ELNS1_3repE0EEENS1_30default_config_static_selectorELNS0_4arch9wavefront6targetE1EEEvT1_,comdat
	.protected	_ZN7rocprim17ROCPRIM_400000_NS6detail17trampoline_kernelINS0_14default_configENS1_20scan_config_selectorIiEEZZNS1_9scan_implILNS1_25lookback_scan_determinismE0ELb0ELb0ES3_N6thrust23THRUST_200600_302600_NS6detail15normal_iteratorINS9_10device_ptrIiEEEESE_iNS9_4plusIvEEiEEDaPvRmT3_T4_T5_mT6_P12ihipStream_tbENKUlT_T0_E_clISt17integral_constantIbLb0EESU_EEDaSP_SQ_EUlSP_E0_NS1_11comp_targetILNS1_3genE2ELNS1_11target_archE906ELNS1_3gpuE6ELNS1_3repE0EEENS1_30default_config_static_selectorELNS0_4arch9wavefront6targetE1EEEvT1_ ; -- Begin function _ZN7rocprim17ROCPRIM_400000_NS6detail17trampoline_kernelINS0_14default_configENS1_20scan_config_selectorIiEEZZNS1_9scan_implILNS1_25lookback_scan_determinismE0ELb0ELb0ES3_N6thrust23THRUST_200600_302600_NS6detail15normal_iteratorINS9_10device_ptrIiEEEESE_iNS9_4plusIvEEiEEDaPvRmT3_T4_T5_mT6_P12ihipStream_tbENKUlT_T0_E_clISt17integral_constantIbLb0EESU_EEDaSP_SQ_EUlSP_E0_NS1_11comp_targetILNS1_3genE2ELNS1_11target_archE906ELNS1_3gpuE6ELNS1_3repE0EEENS1_30default_config_static_selectorELNS0_4arch9wavefront6targetE1EEEvT1_
	.globl	_ZN7rocprim17ROCPRIM_400000_NS6detail17trampoline_kernelINS0_14default_configENS1_20scan_config_selectorIiEEZZNS1_9scan_implILNS1_25lookback_scan_determinismE0ELb0ELb0ES3_N6thrust23THRUST_200600_302600_NS6detail15normal_iteratorINS9_10device_ptrIiEEEESE_iNS9_4plusIvEEiEEDaPvRmT3_T4_T5_mT6_P12ihipStream_tbENKUlT_T0_E_clISt17integral_constantIbLb0EESU_EEDaSP_SQ_EUlSP_E0_NS1_11comp_targetILNS1_3genE2ELNS1_11target_archE906ELNS1_3gpuE6ELNS1_3repE0EEENS1_30default_config_static_selectorELNS0_4arch9wavefront6targetE1EEEvT1_
	.p2align	8
	.type	_ZN7rocprim17ROCPRIM_400000_NS6detail17trampoline_kernelINS0_14default_configENS1_20scan_config_selectorIiEEZZNS1_9scan_implILNS1_25lookback_scan_determinismE0ELb0ELb0ES3_N6thrust23THRUST_200600_302600_NS6detail15normal_iteratorINS9_10device_ptrIiEEEESE_iNS9_4plusIvEEiEEDaPvRmT3_T4_T5_mT6_P12ihipStream_tbENKUlT_T0_E_clISt17integral_constantIbLb0EESU_EEDaSP_SQ_EUlSP_E0_NS1_11comp_targetILNS1_3genE2ELNS1_11target_archE906ELNS1_3gpuE6ELNS1_3repE0EEENS1_30default_config_static_selectorELNS0_4arch9wavefront6targetE1EEEvT1_,@function
_ZN7rocprim17ROCPRIM_400000_NS6detail17trampoline_kernelINS0_14default_configENS1_20scan_config_selectorIiEEZZNS1_9scan_implILNS1_25lookback_scan_determinismE0ELb0ELb0ES3_N6thrust23THRUST_200600_302600_NS6detail15normal_iteratorINS9_10device_ptrIiEEEESE_iNS9_4plusIvEEiEEDaPvRmT3_T4_T5_mT6_P12ihipStream_tbENKUlT_T0_E_clISt17integral_constantIbLb0EESU_EEDaSP_SQ_EUlSP_E0_NS1_11comp_targetILNS1_3genE2ELNS1_11target_archE906ELNS1_3gpuE6ELNS1_3repE0EEENS1_30default_config_static_selectorELNS0_4arch9wavefront6targetE1EEEvT1_: ; @_ZN7rocprim17ROCPRIM_400000_NS6detail17trampoline_kernelINS0_14default_configENS1_20scan_config_selectorIiEEZZNS1_9scan_implILNS1_25lookback_scan_determinismE0ELb0ELb0ES3_N6thrust23THRUST_200600_302600_NS6detail15normal_iteratorINS9_10device_ptrIiEEEESE_iNS9_4plusIvEEiEEDaPvRmT3_T4_T5_mT6_P12ihipStream_tbENKUlT_T0_E_clISt17integral_constantIbLb0EESU_EEDaSP_SQ_EUlSP_E0_NS1_11comp_targetILNS1_3genE2ELNS1_11target_archE906ELNS1_3gpuE6ELNS1_3repE0EEENS1_30default_config_static_selectorELNS0_4arch9wavefront6targetE1EEEvT1_
; %bb.0:
	.section	.rodata,"a",@progbits
	.p2align	6, 0x0
	.amdhsa_kernel _ZN7rocprim17ROCPRIM_400000_NS6detail17trampoline_kernelINS0_14default_configENS1_20scan_config_selectorIiEEZZNS1_9scan_implILNS1_25lookback_scan_determinismE0ELb0ELb0ES3_N6thrust23THRUST_200600_302600_NS6detail15normal_iteratorINS9_10device_ptrIiEEEESE_iNS9_4plusIvEEiEEDaPvRmT3_T4_T5_mT6_P12ihipStream_tbENKUlT_T0_E_clISt17integral_constantIbLb0EESU_EEDaSP_SQ_EUlSP_E0_NS1_11comp_targetILNS1_3genE2ELNS1_11target_archE906ELNS1_3gpuE6ELNS1_3repE0EEENS1_30default_config_static_selectorELNS0_4arch9wavefront6targetE1EEEvT1_
		.amdhsa_group_segment_fixed_size 0
		.amdhsa_private_segment_fixed_size 0
		.amdhsa_kernarg_size 32
		.amdhsa_user_sgpr_count 6
		.amdhsa_user_sgpr_private_segment_buffer 1
		.amdhsa_user_sgpr_dispatch_ptr 0
		.amdhsa_user_sgpr_queue_ptr 0
		.amdhsa_user_sgpr_kernarg_segment_ptr 1
		.amdhsa_user_sgpr_dispatch_id 0
		.amdhsa_user_sgpr_flat_scratch_init 0
		.amdhsa_user_sgpr_kernarg_preload_length 0
		.amdhsa_user_sgpr_kernarg_preload_offset 0
		.amdhsa_user_sgpr_private_segment_size 0
		.amdhsa_uses_dynamic_stack 0
		.amdhsa_system_sgpr_private_segment_wavefront_offset 0
		.amdhsa_system_sgpr_workgroup_id_x 1
		.amdhsa_system_sgpr_workgroup_id_y 0
		.amdhsa_system_sgpr_workgroup_id_z 0
		.amdhsa_system_sgpr_workgroup_info 0
		.amdhsa_system_vgpr_workitem_id 0
		.amdhsa_next_free_vgpr 1
		.amdhsa_next_free_sgpr 0
		.amdhsa_accum_offset 4
		.amdhsa_reserve_vcc 0
		.amdhsa_reserve_flat_scratch 0
		.amdhsa_float_round_mode_32 0
		.amdhsa_float_round_mode_16_64 0
		.amdhsa_float_denorm_mode_32 3
		.amdhsa_float_denorm_mode_16_64 3
		.amdhsa_dx10_clamp 1
		.amdhsa_ieee_mode 1
		.amdhsa_fp16_overflow 0
		.amdhsa_tg_split 0
		.amdhsa_exception_fp_ieee_invalid_op 0
		.amdhsa_exception_fp_denorm_src 0
		.amdhsa_exception_fp_ieee_div_zero 0
		.amdhsa_exception_fp_ieee_overflow 0
		.amdhsa_exception_fp_ieee_underflow 0
		.amdhsa_exception_fp_ieee_inexact 0
		.amdhsa_exception_int_div_zero 0
	.end_amdhsa_kernel
	.section	.text._ZN7rocprim17ROCPRIM_400000_NS6detail17trampoline_kernelINS0_14default_configENS1_20scan_config_selectorIiEEZZNS1_9scan_implILNS1_25lookback_scan_determinismE0ELb0ELb0ES3_N6thrust23THRUST_200600_302600_NS6detail15normal_iteratorINS9_10device_ptrIiEEEESE_iNS9_4plusIvEEiEEDaPvRmT3_T4_T5_mT6_P12ihipStream_tbENKUlT_T0_E_clISt17integral_constantIbLb0EESU_EEDaSP_SQ_EUlSP_E0_NS1_11comp_targetILNS1_3genE2ELNS1_11target_archE906ELNS1_3gpuE6ELNS1_3repE0EEENS1_30default_config_static_selectorELNS0_4arch9wavefront6targetE1EEEvT1_,"axG",@progbits,_ZN7rocprim17ROCPRIM_400000_NS6detail17trampoline_kernelINS0_14default_configENS1_20scan_config_selectorIiEEZZNS1_9scan_implILNS1_25lookback_scan_determinismE0ELb0ELb0ES3_N6thrust23THRUST_200600_302600_NS6detail15normal_iteratorINS9_10device_ptrIiEEEESE_iNS9_4plusIvEEiEEDaPvRmT3_T4_T5_mT6_P12ihipStream_tbENKUlT_T0_E_clISt17integral_constantIbLb0EESU_EEDaSP_SQ_EUlSP_E0_NS1_11comp_targetILNS1_3genE2ELNS1_11target_archE906ELNS1_3gpuE6ELNS1_3repE0EEENS1_30default_config_static_selectorELNS0_4arch9wavefront6targetE1EEEvT1_,comdat
.Lfunc_end1353:
	.size	_ZN7rocprim17ROCPRIM_400000_NS6detail17trampoline_kernelINS0_14default_configENS1_20scan_config_selectorIiEEZZNS1_9scan_implILNS1_25lookback_scan_determinismE0ELb0ELb0ES3_N6thrust23THRUST_200600_302600_NS6detail15normal_iteratorINS9_10device_ptrIiEEEESE_iNS9_4plusIvEEiEEDaPvRmT3_T4_T5_mT6_P12ihipStream_tbENKUlT_T0_E_clISt17integral_constantIbLb0EESU_EEDaSP_SQ_EUlSP_E0_NS1_11comp_targetILNS1_3genE2ELNS1_11target_archE906ELNS1_3gpuE6ELNS1_3repE0EEENS1_30default_config_static_selectorELNS0_4arch9wavefront6targetE1EEEvT1_, .Lfunc_end1353-_ZN7rocprim17ROCPRIM_400000_NS6detail17trampoline_kernelINS0_14default_configENS1_20scan_config_selectorIiEEZZNS1_9scan_implILNS1_25lookback_scan_determinismE0ELb0ELb0ES3_N6thrust23THRUST_200600_302600_NS6detail15normal_iteratorINS9_10device_ptrIiEEEESE_iNS9_4plusIvEEiEEDaPvRmT3_T4_T5_mT6_P12ihipStream_tbENKUlT_T0_E_clISt17integral_constantIbLb0EESU_EEDaSP_SQ_EUlSP_E0_NS1_11comp_targetILNS1_3genE2ELNS1_11target_archE906ELNS1_3gpuE6ELNS1_3repE0EEENS1_30default_config_static_selectorELNS0_4arch9wavefront6targetE1EEEvT1_
                                        ; -- End function
	.section	.AMDGPU.csdata,"",@progbits
; Kernel info:
; codeLenInByte = 0
; NumSgprs: 4
; NumVgprs: 0
; NumAgprs: 0
; TotalNumVgprs: 0
; ScratchSize: 0
; MemoryBound: 0
; FloatMode: 240
; IeeeMode: 1
; LDSByteSize: 0 bytes/workgroup (compile time only)
; SGPRBlocks: 0
; VGPRBlocks: 0
; NumSGPRsForWavesPerEU: 4
; NumVGPRsForWavesPerEU: 1
; AccumOffset: 4
; Occupancy: 8
; WaveLimiterHint : 0
; COMPUTE_PGM_RSRC2:SCRATCH_EN: 0
; COMPUTE_PGM_RSRC2:USER_SGPR: 6
; COMPUTE_PGM_RSRC2:TRAP_HANDLER: 0
; COMPUTE_PGM_RSRC2:TGID_X_EN: 1
; COMPUTE_PGM_RSRC2:TGID_Y_EN: 0
; COMPUTE_PGM_RSRC2:TGID_Z_EN: 0
; COMPUTE_PGM_RSRC2:TIDIG_COMP_CNT: 0
; COMPUTE_PGM_RSRC3_GFX90A:ACCUM_OFFSET: 0
; COMPUTE_PGM_RSRC3_GFX90A:TG_SPLIT: 0
	.section	.text._ZN7rocprim17ROCPRIM_400000_NS6detail17trampoline_kernelINS0_14default_configENS1_20scan_config_selectorIiEEZZNS1_9scan_implILNS1_25lookback_scan_determinismE0ELb0ELb0ES3_N6thrust23THRUST_200600_302600_NS6detail15normal_iteratorINS9_10device_ptrIiEEEESE_iNS9_4plusIvEEiEEDaPvRmT3_T4_T5_mT6_P12ihipStream_tbENKUlT_T0_E_clISt17integral_constantIbLb0EESU_EEDaSP_SQ_EUlSP_E0_NS1_11comp_targetILNS1_3genE10ELNS1_11target_archE1201ELNS1_3gpuE5ELNS1_3repE0EEENS1_30default_config_static_selectorELNS0_4arch9wavefront6targetE1EEEvT1_,"axG",@progbits,_ZN7rocprim17ROCPRIM_400000_NS6detail17trampoline_kernelINS0_14default_configENS1_20scan_config_selectorIiEEZZNS1_9scan_implILNS1_25lookback_scan_determinismE0ELb0ELb0ES3_N6thrust23THRUST_200600_302600_NS6detail15normal_iteratorINS9_10device_ptrIiEEEESE_iNS9_4plusIvEEiEEDaPvRmT3_T4_T5_mT6_P12ihipStream_tbENKUlT_T0_E_clISt17integral_constantIbLb0EESU_EEDaSP_SQ_EUlSP_E0_NS1_11comp_targetILNS1_3genE10ELNS1_11target_archE1201ELNS1_3gpuE5ELNS1_3repE0EEENS1_30default_config_static_selectorELNS0_4arch9wavefront6targetE1EEEvT1_,comdat
	.protected	_ZN7rocprim17ROCPRIM_400000_NS6detail17trampoline_kernelINS0_14default_configENS1_20scan_config_selectorIiEEZZNS1_9scan_implILNS1_25lookback_scan_determinismE0ELb0ELb0ES3_N6thrust23THRUST_200600_302600_NS6detail15normal_iteratorINS9_10device_ptrIiEEEESE_iNS9_4plusIvEEiEEDaPvRmT3_T4_T5_mT6_P12ihipStream_tbENKUlT_T0_E_clISt17integral_constantIbLb0EESU_EEDaSP_SQ_EUlSP_E0_NS1_11comp_targetILNS1_3genE10ELNS1_11target_archE1201ELNS1_3gpuE5ELNS1_3repE0EEENS1_30default_config_static_selectorELNS0_4arch9wavefront6targetE1EEEvT1_ ; -- Begin function _ZN7rocprim17ROCPRIM_400000_NS6detail17trampoline_kernelINS0_14default_configENS1_20scan_config_selectorIiEEZZNS1_9scan_implILNS1_25lookback_scan_determinismE0ELb0ELb0ES3_N6thrust23THRUST_200600_302600_NS6detail15normal_iteratorINS9_10device_ptrIiEEEESE_iNS9_4plusIvEEiEEDaPvRmT3_T4_T5_mT6_P12ihipStream_tbENKUlT_T0_E_clISt17integral_constantIbLb0EESU_EEDaSP_SQ_EUlSP_E0_NS1_11comp_targetILNS1_3genE10ELNS1_11target_archE1201ELNS1_3gpuE5ELNS1_3repE0EEENS1_30default_config_static_selectorELNS0_4arch9wavefront6targetE1EEEvT1_
	.globl	_ZN7rocprim17ROCPRIM_400000_NS6detail17trampoline_kernelINS0_14default_configENS1_20scan_config_selectorIiEEZZNS1_9scan_implILNS1_25lookback_scan_determinismE0ELb0ELb0ES3_N6thrust23THRUST_200600_302600_NS6detail15normal_iteratorINS9_10device_ptrIiEEEESE_iNS9_4plusIvEEiEEDaPvRmT3_T4_T5_mT6_P12ihipStream_tbENKUlT_T0_E_clISt17integral_constantIbLb0EESU_EEDaSP_SQ_EUlSP_E0_NS1_11comp_targetILNS1_3genE10ELNS1_11target_archE1201ELNS1_3gpuE5ELNS1_3repE0EEENS1_30default_config_static_selectorELNS0_4arch9wavefront6targetE1EEEvT1_
	.p2align	8
	.type	_ZN7rocprim17ROCPRIM_400000_NS6detail17trampoline_kernelINS0_14default_configENS1_20scan_config_selectorIiEEZZNS1_9scan_implILNS1_25lookback_scan_determinismE0ELb0ELb0ES3_N6thrust23THRUST_200600_302600_NS6detail15normal_iteratorINS9_10device_ptrIiEEEESE_iNS9_4plusIvEEiEEDaPvRmT3_T4_T5_mT6_P12ihipStream_tbENKUlT_T0_E_clISt17integral_constantIbLb0EESU_EEDaSP_SQ_EUlSP_E0_NS1_11comp_targetILNS1_3genE10ELNS1_11target_archE1201ELNS1_3gpuE5ELNS1_3repE0EEENS1_30default_config_static_selectorELNS0_4arch9wavefront6targetE1EEEvT1_,@function
_ZN7rocprim17ROCPRIM_400000_NS6detail17trampoline_kernelINS0_14default_configENS1_20scan_config_selectorIiEEZZNS1_9scan_implILNS1_25lookback_scan_determinismE0ELb0ELb0ES3_N6thrust23THRUST_200600_302600_NS6detail15normal_iteratorINS9_10device_ptrIiEEEESE_iNS9_4plusIvEEiEEDaPvRmT3_T4_T5_mT6_P12ihipStream_tbENKUlT_T0_E_clISt17integral_constantIbLb0EESU_EEDaSP_SQ_EUlSP_E0_NS1_11comp_targetILNS1_3genE10ELNS1_11target_archE1201ELNS1_3gpuE5ELNS1_3repE0EEENS1_30default_config_static_selectorELNS0_4arch9wavefront6targetE1EEEvT1_: ; @_ZN7rocprim17ROCPRIM_400000_NS6detail17trampoline_kernelINS0_14default_configENS1_20scan_config_selectorIiEEZZNS1_9scan_implILNS1_25lookback_scan_determinismE0ELb0ELb0ES3_N6thrust23THRUST_200600_302600_NS6detail15normal_iteratorINS9_10device_ptrIiEEEESE_iNS9_4plusIvEEiEEDaPvRmT3_T4_T5_mT6_P12ihipStream_tbENKUlT_T0_E_clISt17integral_constantIbLb0EESU_EEDaSP_SQ_EUlSP_E0_NS1_11comp_targetILNS1_3genE10ELNS1_11target_archE1201ELNS1_3gpuE5ELNS1_3repE0EEENS1_30default_config_static_selectorELNS0_4arch9wavefront6targetE1EEEvT1_
; %bb.0:
	.section	.rodata,"a",@progbits
	.p2align	6, 0x0
	.amdhsa_kernel _ZN7rocprim17ROCPRIM_400000_NS6detail17trampoline_kernelINS0_14default_configENS1_20scan_config_selectorIiEEZZNS1_9scan_implILNS1_25lookback_scan_determinismE0ELb0ELb0ES3_N6thrust23THRUST_200600_302600_NS6detail15normal_iteratorINS9_10device_ptrIiEEEESE_iNS9_4plusIvEEiEEDaPvRmT3_T4_T5_mT6_P12ihipStream_tbENKUlT_T0_E_clISt17integral_constantIbLb0EESU_EEDaSP_SQ_EUlSP_E0_NS1_11comp_targetILNS1_3genE10ELNS1_11target_archE1201ELNS1_3gpuE5ELNS1_3repE0EEENS1_30default_config_static_selectorELNS0_4arch9wavefront6targetE1EEEvT1_
		.amdhsa_group_segment_fixed_size 0
		.amdhsa_private_segment_fixed_size 0
		.amdhsa_kernarg_size 32
		.amdhsa_user_sgpr_count 6
		.amdhsa_user_sgpr_private_segment_buffer 1
		.amdhsa_user_sgpr_dispatch_ptr 0
		.amdhsa_user_sgpr_queue_ptr 0
		.amdhsa_user_sgpr_kernarg_segment_ptr 1
		.amdhsa_user_sgpr_dispatch_id 0
		.amdhsa_user_sgpr_flat_scratch_init 0
		.amdhsa_user_sgpr_kernarg_preload_length 0
		.amdhsa_user_sgpr_kernarg_preload_offset 0
		.amdhsa_user_sgpr_private_segment_size 0
		.amdhsa_uses_dynamic_stack 0
		.amdhsa_system_sgpr_private_segment_wavefront_offset 0
		.amdhsa_system_sgpr_workgroup_id_x 1
		.amdhsa_system_sgpr_workgroup_id_y 0
		.amdhsa_system_sgpr_workgroup_id_z 0
		.amdhsa_system_sgpr_workgroup_info 0
		.amdhsa_system_vgpr_workitem_id 0
		.amdhsa_next_free_vgpr 1
		.amdhsa_next_free_sgpr 0
		.amdhsa_accum_offset 4
		.amdhsa_reserve_vcc 0
		.amdhsa_reserve_flat_scratch 0
		.amdhsa_float_round_mode_32 0
		.amdhsa_float_round_mode_16_64 0
		.amdhsa_float_denorm_mode_32 3
		.amdhsa_float_denorm_mode_16_64 3
		.amdhsa_dx10_clamp 1
		.amdhsa_ieee_mode 1
		.amdhsa_fp16_overflow 0
		.amdhsa_tg_split 0
		.amdhsa_exception_fp_ieee_invalid_op 0
		.amdhsa_exception_fp_denorm_src 0
		.amdhsa_exception_fp_ieee_div_zero 0
		.amdhsa_exception_fp_ieee_overflow 0
		.amdhsa_exception_fp_ieee_underflow 0
		.amdhsa_exception_fp_ieee_inexact 0
		.amdhsa_exception_int_div_zero 0
	.end_amdhsa_kernel
	.section	.text._ZN7rocprim17ROCPRIM_400000_NS6detail17trampoline_kernelINS0_14default_configENS1_20scan_config_selectorIiEEZZNS1_9scan_implILNS1_25lookback_scan_determinismE0ELb0ELb0ES3_N6thrust23THRUST_200600_302600_NS6detail15normal_iteratorINS9_10device_ptrIiEEEESE_iNS9_4plusIvEEiEEDaPvRmT3_T4_T5_mT6_P12ihipStream_tbENKUlT_T0_E_clISt17integral_constantIbLb0EESU_EEDaSP_SQ_EUlSP_E0_NS1_11comp_targetILNS1_3genE10ELNS1_11target_archE1201ELNS1_3gpuE5ELNS1_3repE0EEENS1_30default_config_static_selectorELNS0_4arch9wavefront6targetE1EEEvT1_,"axG",@progbits,_ZN7rocprim17ROCPRIM_400000_NS6detail17trampoline_kernelINS0_14default_configENS1_20scan_config_selectorIiEEZZNS1_9scan_implILNS1_25lookback_scan_determinismE0ELb0ELb0ES3_N6thrust23THRUST_200600_302600_NS6detail15normal_iteratorINS9_10device_ptrIiEEEESE_iNS9_4plusIvEEiEEDaPvRmT3_T4_T5_mT6_P12ihipStream_tbENKUlT_T0_E_clISt17integral_constantIbLb0EESU_EEDaSP_SQ_EUlSP_E0_NS1_11comp_targetILNS1_3genE10ELNS1_11target_archE1201ELNS1_3gpuE5ELNS1_3repE0EEENS1_30default_config_static_selectorELNS0_4arch9wavefront6targetE1EEEvT1_,comdat
.Lfunc_end1354:
	.size	_ZN7rocprim17ROCPRIM_400000_NS6detail17trampoline_kernelINS0_14default_configENS1_20scan_config_selectorIiEEZZNS1_9scan_implILNS1_25lookback_scan_determinismE0ELb0ELb0ES3_N6thrust23THRUST_200600_302600_NS6detail15normal_iteratorINS9_10device_ptrIiEEEESE_iNS9_4plusIvEEiEEDaPvRmT3_T4_T5_mT6_P12ihipStream_tbENKUlT_T0_E_clISt17integral_constantIbLb0EESU_EEDaSP_SQ_EUlSP_E0_NS1_11comp_targetILNS1_3genE10ELNS1_11target_archE1201ELNS1_3gpuE5ELNS1_3repE0EEENS1_30default_config_static_selectorELNS0_4arch9wavefront6targetE1EEEvT1_, .Lfunc_end1354-_ZN7rocprim17ROCPRIM_400000_NS6detail17trampoline_kernelINS0_14default_configENS1_20scan_config_selectorIiEEZZNS1_9scan_implILNS1_25lookback_scan_determinismE0ELb0ELb0ES3_N6thrust23THRUST_200600_302600_NS6detail15normal_iteratorINS9_10device_ptrIiEEEESE_iNS9_4plusIvEEiEEDaPvRmT3_T4_T5_mT6_P12ihipStream_tbENKUlT_T0_E_clISt17integral_constantIbLb0EESU_EEDaSP_SQ_EUlSP_E0_NS1_11comp_targetILNS1_3genE10ELNS1_11target_archE1201ELNS1_3gpuE5ELNS1_3repE0EEENS1_30default_config_static_selectorELNS0_4arch9wavefront6targetE1EEEvT1_
                                        ; -- End function
	.section	.AMDGPU.csdata,"",@progbits
; Kernel info:
; codeLenInByte = 0
; NumSgprs: 4
; NumVgprs: 0
; NumAgprs: 0
; TotalNumVgprs: 0
; ScratchSize: 0
; MemoryBound: 0
; FloatMode: 240
; IeeeMode: 1
; LDSByteSize: 0 bytes/workgroup (compile time only)
; SGPRBlocks: 0
; VGPRBlocks: 0
; NumSGPRsForWavesPerEU: 4
; NumVGPRsForWavesPerEU: 1
; AccumOffset: 4
; Occupancy: 8
; WaveLimiterHint : 0
; COMPUTE_PGM_RSRC2:SCRATCH_EN: 0
; COMPUTE_PGM_RSRC2:USER_SGPR: 6
; COMPUTE_PGM_RSRC2:TRAP_HANDLER: 0
; COMPUTE_PGM_RSRC2:TGID_X_EN: 1
; COMPUTE_PGM_RSRC2:TGID_Y_EN: 0
; COMPUTE_PGM_RSRC2:TGID_Z_EN: 0
; COMPUTE_PGM_RSRC2:TIDIG_COMP_CNT: 0
; COMPUTE_PGM_RSRC3_GFX90A:ACCUM_OFFSET: 0
; COMPUTE_PGM_RSRC3_GFX90A:TG_SPLIT: 0
	.section	.text._ZN7rocprim17ROCPRIM_400000_NS6detail17trampoline_kernelINS0_14default_configENS1_20scan_config_selectorIiEEZZNS1_9scan_implILNS1_25lookback_scan_determinismE0ELb0ELb0ES3_N6thrust23THRUST_200600_302600_NS6detail15normal_iteratorINS9_10device_ptrIiEEEESE_iNS9_4plusIvEEiEEDaPvRmT3_T4_T5_mT6_P12ihipStream_tbENKUlT_T0_E_clISt17integral_constantIbLb0EESU_EEDaSP_SQ_EUlSP_E0_NS1_11comp_targetILNS1_3genE10ELNS1_11target_archE1200ELNS1_3gpuE4ELNS1_3repE0EEENS1_30default_config_static_selectorELNS0_4arch9wavefront6targetE1EEEvT1_,"axG",@progbits,_ZN7rocprim17ROCPRIM_400000_NS6detail17trampoline_kernelINS0_14default_configENS1_20scan_config_selectorIiEEZZNS1_9scan_implILNS1_25lookback_scan_determinismE0ELb0ELb0ES3_N6thrust23THRUST_200600_302600_NS6detail15normal_iteratorINS9_10device_ptrIiEEEESE_iNS9_4plusIvEEiEEDaPvRmT3_T4_T5_mT6_P12ihipStream_tbENKUlT_T0_E_clISt17integral_constantIbLb0EESU_EEDaSP_SQ_EUlSP_E0_NS1_11comp_targetILNS1_3genE10ELNS1_11target_archE1200ELNS1_3gpuE4ELNS1_3repE0EEENS1_30default_config_static_selectorELNS0_4arch9wavefront6targetE1EEEvT1_,comdat
	.protected	_ZN7rocprim17ROCPRIM_400000_NS6detail17trampoline_kernelINS0_14default_configENS1_20scan_config_selectorIiEEZZNS1_9scan_implILNS1_25lookback_scan_determinismE0ELb0ELb0ES3_N6thrust23THRUST_200600_302600_NS6detail15normal_iteratorINS9_10device_ptrIiEEEESE_iNS9_4plusIvEEiEEDaPvRmT3_T4_T5_mT6_P12ihipStream_tbENKUlT_T0_E_clISt17integral_constantIbLb0EESU_EEDaSP_SQ_EUlSP_E0_NS1_11comp_targetILNS1_3genE10ELNS1_11target_archE1200ELNS1_3gpuE4ELNS1_3repE0EEENS1_30default_config_static_selectorELNS0_4arch9wavefront6targetE1EEEvT1_ ; -- Begin function _ZN7rocprim17ROCPRIM_400000_NS6detail17trampoline_kernelINS0_14default_configENS1_20scan_config_selectorIiEEZZNS1_9scan_implILNS1_25lookback_scan_determinismE0ELb0ELb0ES3_N6thrust23THRUST_200600_302600_NS6detail15normal_iteratorINS9_10device_ptrIiEEEESE_iNS9_4plusIvEEiEEDaPvRmT3_T4_T5_mT6_P12ihipStream_tbENKUlT_T0_E_clISt17integral_constantIbLb0EESU_EEDaSP_SQ_EUlSP_E0_NS1_11comp_targetILNS1_3genE10ELNS1_11target_archE1200ELNS1_3gpuE4ELNS1_3repE0EEENS1_30default_config_static_selectorELNS0_4arch9wavefront6targetE1EEEvT1_
	.globl	_ZN7rocprim17ROCPRIM_400000_NS6detail17trampoline_kernelINS0_14default_configENS1_20scan_config_selectorIiEEZZNS1_9scan_implILNS1_25lookback_scan_determinismE0ELb0ELb0ES3_N6thrust23THRUST_200600_302600_NS6detail15normal_iteratorINS9_10device_ptrIiEEEESE_iNS9_4plusIvEEiEEDaPvRmT3_T4_T5_mT6_P12ihipStream_tbENKUlT_T0_E_clISt17integral_constantIbLb0EESU_EEDaSP_SQ_EUlSP_E0_NS1_11comp_targetILNS1_3genE10ELNS1_11target_archE1200ELNS1_3gpuE4ELNS1_3repE0EEENS1_30default_config_static_selectorELNS0_4arch9wavefront6targetE1EEEvT1_
	.p2align	8
	.type	_ZN7rocprim17ROCPRIM_400000_NS6detail17trampoline_kernelINS0_14default_configENS1_20scan_config_selectorIiEEZZNS1_9scan_implILNS1_25lookback_scan_determinismE0ELb0ELb0ES3_N6thrust23THRUST_200600_302600_NS6detail15normal_iteratorINS9_10device_ptrIiEEEESE_iNS9_4plusIvEEiEEDaPvRmT3_T4_T5_mT6_P12ihipStream_tbENKUlT_T0_E_clISt17integral_constantIbLb0EESU_EEDaSP_SQ_EUlSP_E0_NS1_11comp_targetILNS1_3genE10ELNS1_11target_archE1200ELNS1_3gpuE4ELNS1_3repE0EEENS1_30default_config_static_selectorELNS0_4arch9wavefront6targetE1EEEvT1_,@function
_ZN7rocprim17ROCPRIM_400000_NS6detail17trampoline_kernelINS0_14default_configENS1_20scan_config_selectorIiEEZZNS1_9scan_implILNS1_25lookback_scan_determinismE0ELb0ELb0ES3_N6thrust23THRUST_200600_302600_NS6detail15normal_iteratorINS9_10device_ptrIiEEEESE_iNS9_4plusIvEEiEEDaPvRmT3_T4_T5_mT6_P12ihipStream_tbENKUlT_T0_E_clISt17integral_constantIbLb0EESU_EEDaSP_SQ_EUlSP_E0_NS1_11comp_targetILNS1_3genE10ELNS1_11target_archE1200ELNS1_3gpuE4ELNS1_3repE0EEENS1_30default_config_static_selectorELNS0_4arch9wavefront6targetE1EEEvT1_: ; @_ZN7rocprim17ROCPRIM_400000_NS6detail17trampoline_kernelINS0_14default_configENS1_20scan_config_selectorIiEEZZNS1_9scan_implILNS1_25lookback_scan_determinismE0ELb0ELb0ES3_N6thrust23THRUST_200600_302600_NS6detail15normal_iteratorINS9_10device_ptrIiEEEESE_iNS9_4plusIvEEiEEDaPvRmT3_T4_T5_mT6_P12ihipStream_tbENKUlT_T0_E_clISt17integral_constantIbLb0EESU_EEDaSP_SQ_EUlSP_E0_NS1_11comp_targetILNS1_3genE10ELNS1_11target_archE1200ELNS1_3gpuE4ELNS1_3repE0EEENS1_30default_config_static_selectorELNS0_4arch9wavefront6targetE1EEEvT1_
; %bb.0:
	.section	.rodata,"a",@progbits
	.p2align	6, 0x0
	.amdhsa_kernel _ZN7rocprim17ROCPRIM_400000_NS6detail17trampoline_kernelINS0_14default_configENS1_20scan_config_selectorIiEEZZNS1_9scan_implILNS1_25lookback_scan_determinismE0ELb0ELb0ES3_N6thrust23THRUST_200600_302600_NS6detail15normal_iteratorINS9_10device_ptrIiEEEESE_iNS9_4plusIvEEiEEDaPvRmT3_T4_T5_mT6_P12ihipStream_tbENKUlT_T0_E_clISt17integral_constantIbLb0EESU_EEDaSP_SQ_EUlSP_E0_NS1_11comp_targetILNS1_3genE10ELNS1_11target_archE1200ELNS1_3gpuE4ELNS1_3repE0EEENS1_30default_config_static_selectorELNS0_4arch9wavefront6targetE1EEEvT1_
		.amdhsa_group_segment_fixed_size 0
		.amdhsa_private_segment_fixed_size 0
		.amdhsa_kernarg_size 32
		.amdhsa_user_sgpr_count 6
		.amdhsa_user_sgpr_private_segment_buffer 1
		.amdhsa_user_sgpr_dispatch_ptr 0
		.amdhsa_user_sgpr_queue_ptr 0
		.amdhsa_user_sgpr_kernarg_segment_ptr 1
		.amdhsa_user_sgpr_dispatch_id 0
		.amdhsa_user_sgpr_flat_scratch_init 0
		.amdhsa_user_sgpr_kernarg_preload_length 0
		.amdhsa_user_sgpr_kernarg_preload_offset 0
		.amdhsa_user_sgpr_private_segment_size 0
		.amdhsa_uses_dynamic_stack 0
		.amdhsa_system_sgpr_private_segment_wavefront_offset 0
		.amdhsa_system_sgpr_workgroup_id_x 1
		.amdhsa_system_sgpr_workgroup_id_y 0
		.amdhsa_system_sgpr_workgroup_id_z 0
		.amdhsa_system_sgpr_workgroup_info 0
		.amdhsa_system_vgpr_workitem_id 0
		.amdhsa_next_free_vgpr 1
		.amdhsa_next_free_sgpr 0
		.amdhsa_accum_offset 4
		.amdhsa_reserve_vcc 0
		.amdhsa_reserve_flat_scratch 0
		.amdhsa_float_round_mode_32 0
		.amdhsa_float_round_mode_16_64 0
		.amdhsa_float_denorm_mode_32 3
		.amdhsa_float_denorm_mode_16_64 3
		.amdhsa_dx10_clamp 1
		.amdhsa_ieee_mode 1
		.amdhsa_fp16_overflow 0
		.amdhsa_tg_split 0
		.amdhsa_exception_fp_ieee_invalid_op 0
		.amdhsa_exception_fp_denorm_src 0
		.amdhsa_exception_fp_ieee_div_zero 0
		.amdhsa_exception_fp_ieee_overflow 0
		.amdhsa_exception_fp_ieee_underflow 0
		.amdhsa_exception_fp_ieee_inexact 0
		.amdhsa_exception_int_div_zero 0
	.end_amdhsa_kernel
	.section	.text._ZN7rocprim17ROCPRIM_400000_NS6detail17trampoline_kernelINS0_14default_configENS1_20scan_config_selectorIiEEZZNS1_9scan_implILNS1_25lookback_scan_determinismE0ELb0ELb0ES3_N6thrust23THRUST_200600_302600_NS6detail15normal_iteratorINS9_10device_ptrIiEEEESE_iNS9_4plusIvEEiEEDaPvRmT3_T4_T5_mT6_P12ihipStream_tbENKUlT_T0_E_clISt17integral_constantIbLb0EESU_EEDaSP_SQ_EUlSP_E0_NS1_11comp_targetILNS1_3genE10ELNS1_11target_archE1200ELNS1_3gpuE4ELNS1_3repE0EEENS1_30default_config_static_selectorELNS0_4arch9wavefront6targetE1EEEvT1_,"axG",@progbits,_ZN7rocprim17ROCPRIM_400000_NS6detail17trampoline_kernelINS0_14default_configENS1_20scan_config_selectorIiEEZZNS1_9scan_implILNS1_25lookback_scan_determinismE0ELb0ELb0ES3_N6thrust23THRUST_200600_302600_NS6detail15normal_iteratorINS9_10device_ptrIiEEEESE_iNS9_4plusIvEEiEEDaPvRmT3_T4_T5_mT6_P12ihipStream_tbENKUlT_T0_E_clISt17integral_constantIbLb0EESU_EEDaSP_SQ_EUlSP_E0_NS1_11comp_targetILNS1_3genE10ELNS1_11target_archE1200ELNS1_3gpuE4ELNS1_3repE0EEENS1_30default_config_static_selectorELNS0_4arch9wavefront6targetE1EEEvT1_,comdat
.Lfunc_end1355:
	.size	_ZN7rocprim17ROCPRIM_400000_NS6detail17trampoline_kernelINS0_14default_configENS1_20scan_config_selectorIiEEZZNS1_9scan_implILNS1_25lookback_scan_determinismE0ELb0ELb0ES3_N6thrust23THRUST_200600_302600_NS6detail15normal_iteratorINS9_10device_ptrIiEEEESE_iNS9_4plusIvEEiEEDaPvRmT3_T4_T5_mT6_P12ihipStream_tbENKUlT_T0_E_clISt17integral_constantIbLb0EESU_EEDaSP_SQ_EUlSP_E0_NS1_11comp_targetILNS1_3genE10ELNS1_11target_archE1200ELNS1_3gpuE4ELNS1_3repE0EEENS1_30default_config_static_selectorELNS0_4arch9wavefront6targetE1EEEvT1_, .Lfunc_end1355-_ZN7rocprim17ROCPRIM_400000_NS6detail17trampoline_kernelINS0_14default_configENS1_20scan_config_selectorIiEEZZNS1_9scan_implILNS1_25lookback_scan_determinismE0ELb0ELb0ES3_N6thrust23THRUST_200600_302600_NS6detail15normal_iteratorINS9_10device_ptrIiEEEESE_iNS9_4plusIvEEiEEDaPvRmT3_T4_T5_mT6_P12ihipStream_tbENKUlT_T0_E_clISt17integral_constantIbLb0EESU_EEDaSP_SQ_EUlSP_E0_NS1_11comp_targetILNS1_3genE10ELNS1_11target_archE1200ELNS1_3gpuE4ELNS1_3repE0EEENS1_30default_config_static_selectorELNS0_4arch9wavefront6targetE1EEEvT1_
                                        ; -- End function
	.section	.AMDGPU.csdata,"",@progbits
; Kernel info:
; codeLenInByte = 0
; NumSgprs: 4
; NumVgprs: 0
; NumAgprs: 0
; TotalNumVgprs: 0
; ScratchSize: 0
; MemoryBound: 0
; FloatMode: 240
; IeeeMode: 1
; LDSByteSize: 0 bytes/workgroup (compile time only)
; SGPRBlocks: 0
; VGPRBlocks: 0
; NumSGPRsForWavesPerEU: 4
; NumVGPRsForWavesPerEU: 1
; AccumOffset: 4
; Occupancy: 8
; WaveLimiterHint : 0
; COMPUTE_PGM_RSRC2:SCRATCH_EN: 0
; COMPUTE_PGM_RSRC2:USER_SGPR: 6
; COMPUTE_PGM_RSRC2:TRAP_HANDLER: 0
; COMPUTE_PGM_RSRC2:TGID_X_EN: 1
; COMPUTE_PGM_RSRC2:TGID_Y_EN: 0
; COMPUTE_PGM_RSRC2:TGID_Z_EN: 0
; COMPUTE_PGM_RSRC2:TIDIG_COMP_CNT: 0
; COMPUTE_PGM_RSRC3_GFX90A:ACCUM_OFFSET: 0
; COMPUTE_PGM_RSRC3_GFX90A:TG_SPLIT: 0
	.section	.text._ZN7rocprim17ROCPRIM_400000_NS6detail17trampoline_kernelINS0_14default_configENS1_20scan_config_selectorIiEEZZNS1_9scan_implILNS1_25lookback_scan_determinismE0ELb0ELb0ES3_N6thrust23THRUST_200600_302600_NS6detail15normal_iteratorINS9_10device_ptrIiEEEESE_iNS9_4plusIvEEiEEDaPvRmT3_T4_T5_mT6_P12ihipStream_tbENKUlT_T0_E_clISt17integral_constantIbLb0EESU_EEDaSP_SQ_EUlSP_E0_NS1_11comp_targetILNS1_3genE9ELNS1_11target_archE1100ELNS1_3gpuE3ELNS1_3repE0EEENS1_30default_config_static_selectorELNS0_4arch9wavefront6targetE1EEEvT1_,"axG",@progbits,_ZN7rocprim17ROCPRIM_400000_NS6detail17trampoline_kernelINS0_14default_configENS1_20scan_config_selectorIiEEZZNS1_9scan_implILNS1_25lookback_scan_determinismE0ELb0ELb0ES3_N6thrust23THRUST_200600_302600_NS6detail15normal_iteratorINS9_10device_ptrIiEEEESE_iNS9_4plusIvEEiEEDaPvRmT3_T4_T5_mT6_P12ihipStream_tbENKUlT_T0_E_clISt17integral_constantIbLb0EESU_EEDaSP_SQ_EUlSP_E0_NS1_11comp_targetILNS1_3genE9ELNS1_11target_archE1100ELNS1_3gpuE3ELNS1_3repE0EEENS1_30default_config_static_selectorELNS0_4arch9wavefront6targetE1EEEvT1_,comdat
	.protected	_ZN7rocprim17ROCPRIM_400000_NS6detail17trampoline_kernelINS0_14default_configENS1_20scan_config_selectorIiEEZZNS1_9scan_implILNS1_25lookback_scan_determinismE0ELb0ELb0ES3_N6thrust23THRUST_200600_302600_NS6detail15normal_iteratorINS9_10device_ptrIiEEEESE_iNS9_4plusIvEEiEEDaPvRmT3_T4_T5_mT6_P12ihipStream_tbENKUlT_T0_E_clISt17integral_constantIbLb0EESU_EEDaSP_SQ_EUlSP_E0_NS1_11comp_targetILNS1_3genE9ELNS1_11target_archE1100ELNS1_3gpuE3ELNS1_3repE0EEENS1_30default_config_static_selectorELNS0_4arch9wavefront6targetE1EEEvT1_ ; -- Begin function _ZN7rocprim17ROCPRIM_400000_NS6detail17trampoline_kernelINS0_14default_configENS1_20scan_config_selectorIiEEZZNS1_9scan_implILNS1_25lookback_scan_determinismE0ELb0ELb0ES3_N6thrust23THRUST_200600_302600_NS6detail15normal_iteratorINS9_10device_ptrIiEEEESE_iNS9_4plusIvEEiEEDaPvRmT3_T4_T5_mT6_P12ihipStream_tbENKUlT_T0_E_clISt17integral_constantIbLb0EESU_EEDaSP_SQ_EUlSP_E0_NS1_11comp_targetILNS1_3genE9ELNS1_11target_archE1100ELNS1_3gpuE3ELNS1_3repE0EEENS1_30default_config_static_selectorELNS0_4arch9wavefront6targetE1EEEvT1_
	.globl	_ZN7rocprim17ROCPRIM_400000_NS6detail17trampoline_kernelINS0_14default_configENS1_20scan_config_selectorIiEEZZNS1_9scan_implILNS1_25lookback_scan_determinismE0ELb0ELb0ES3_N6thrust23THRUST_200600_302600_NS6detail15normal_iteratorINS9_10device_ptrIiEEEESE_iNS9_4plusIvEEiEEDaPvRmT3_T4_T5_mT6_P12ihipStream_tbENKUlT_T0_E_clISt17integral_constantIbLb0EESU_EEDaSP_SQ_EUlSP_E0_NS1_11comp_targetILNS1_3genE9ELNS1_11target_archE1100ELNS1_3gpuE3ELNS1_3repE0EEENS1_30default_config_static_selectorELNS0_4arch9wavefront6targetE1EEEvT1_
	.p2align	8
	.type	_ZN7rocprim17ROCPRIM_400000_NS6detail17trampoline_kernelINS0_14default_configENS1_20scan_config_selectorIiEEZZNS1_9scan_implILNS1_25lookback_scan_determinismE0ELb0ELb0ES3_N6thrust23THRUST_200600_302600_NS6detail15normal_iteratorINS9_10device_ptrIiEEEESE_iNS9_4plusIvEEiEEDaPvRmT3_T4_T5_mT6_P12ihipStream_tbENKUlT_T0_E_clISt17integral_constantIbLb0EESU_EEDaSP_SQ_EUlSP_E0_NS1_11comp_targetILNS1_3genE9ELNS1_11target_archE1100ELNS1_3gpuE3ELNS1_3repE0EEENS1_30default_config_static_selectorELNS0_4arch9wavefront6targetE1EEEvT1_,@function
_ZN7rocprim17ROCPRIM_400000_NS6detail17trampoline_kernelINS0_14default_configENS1_20scan_config_selectorIiEEZZNS1_9scan_implILNS1_25lookback_scan_determinismE0ELb0ELb0ES3_N6thrust23THRUST_200600_302600_NS6detail15normal_iteratorINS9_10device_ptrIiEEEESE_iNS9_4plusIvEEiEEDaPvRmT3_T4_T5_mT6_P12ihipStream_tbENKUlT_T0_E_clISt17integral_constantIbLb0EESU_EEDaSP_SQ_EUlSP_E0_NS1_11comp_targetILNS1_3genE9ELNS1_11target_archE1100ELNS1_3gpuE3ELNS1_3repE0EEENS1_30default_config_static_selectorELNS0_4arch9wavefront6targetE1EEEvT1_: ; @_ZN7rocprim17ROCPRIM_400000_NS6detail17trampoline_kernelINS0_14default_configENS1_20scan_config_selectorIiEEZZNS1_9scan_implILNS1_25lookback_scan_determinismE0ELb0ELb0ES3_N6thrust23THRUST_200600_302600_NS6detail15normal_iteratorINS9_10device_ptrIiEEEESE_iNS9_4plusIvEEiEEDaPvRmT3_T4_T5_mT6_P12ihipStream_tbENKUlT_T0_E_clISt17integral_constantIbLb0EESU_EEDaSP_SQ_EUlSP_E0_NS1_11comp_targetILNS1_3genE9ELNS1_11target_archE1100ELNS1_3gpuE3ELNS1_3repE0EEENS1_30default_config_static_selectorELNS0_4arch9wavefront6targetE1EEEvT1_
; %bb.0:
	.section	.rodata,"a",@progbits
	.p2align	6, 0x0
	.amdhsa_kernel _ZN7rocprim17ROCPRIM_400000_NS6detail17trampoline_kernelINS0_14default_configENS1_20scan_config_selectorIiEEZZNS1_9scan_implILNS1_25lookback_scan_determinismE0ELb0ELb0ES3_N6thrust23THRUST_200600_302600_NS6detail15normal_iteratorINS9_10device_ptrIiEEEESE_iNS9_4plusIvEEiEEDaPvRmT3_T4_T5_mT6_P12ihipStream_tbENKUlT_T0_E_clISt17integral_constantIbLb0EESU_EEDaSP_SQ_EUlSP_E0_NS1_11comp_targetILNS1_3genE9ELNS1_11target_archE1100ELNS1_3gpuE3ELNS1_3repE0EEENS1_30default_config_static_selectorELNS0_4arch9wavefront6targetE1EEEvT1_
		.amdhsa_group_segment_fixed_size 0
		.amdhsa_private_segment_fixed_size 0
		.amdhsa_kernarg_size 32
		.amdhsa_user_sgpr_count 6
		.amdhsa_user_sgpr_private_segment_buffer 1
		.amdhsa_user_sgpr_dispatch_ptr 0
		.amdhsa_user_sgpr_queue_ptr 0
		.amdhsa_user_sgpr_kernarg_segment_ptr 1
		.amdhsa_user_sgpr_dispatch_id 0
		.amdhsa_user_sgpr_flat_scratch_init 0
		.amdhsa_user_sgpr_kernarg_preload_length 0
		.amdhsa_user_sgpr_kernarg_preload_offset 0
		.amdhsa_user_sgpr_private_segment_size 0
		.amdhsa_uses_dynamic_stack 0
		.amdhsa_system_sgpr_private_segment_wavefront_offset 0
		.amdhsa_system_sgpr_workgroup_id_x 1
		.amdhsa_system_sgpr_workgroup_id_y 0
		.amdhsa_system_sgpr_workgroup_id_z 0
		.amdhsa_system_sgpr_workgroup_info 0
		.amdhsa_system_vgpr_workitem_id 0
		.amdhsa_next_free_vgpr 1
		.amdhsa_next_free_sgpr 0
		.amdhsa_accum_offset 4
		.amdhsa_reserve_vcc 0
		.amdhsa_reserve_flat_scratch 0
		.amdhsa_float_round_mode_32 0
		.amdhsa_float_round_mode_16_64 0
		.amdhsa_float_denorm_mode_32 3
		.amdhsa_float_denorm_mode_16_64 3
		.amdhsa_dx10_clamp 1
		.amdhsa_ieee_mode 1
		.amdhsa_fp16_overflow 0
		.amdhsa_tg_split 0
		.amdhsa_exception_fp_ieee_invalid_op 0
		.amdhsa_exception_fp_denorm_src 0
		.amdhsa_exception_fp_ieee_div_zero 0
		.amdhsa_exception_fp_ieee_overflow 0
		.amdhsa_exception_fp_ieee_underflow 0
		.amdhsa_exception_fp_ieee_inexact 0
		.amdhsa_exception_int_div_zero 0
	.end_amdhsa_kernel
	.section	.text._ZN7rocprim17ROCPRIM_400000_NS6detail17trampoline_kernelINS0_14default_configENS1_20scan_config_selectorIiEEZZNS1_9scan_implILNS1_25lookback_scan_determinismE0ELb0ELb0ES3_N6thrust23THRUST_200600_302600_NS6detail15normal_iteratorINS9_10device_ptrIiEEEESE_iNS9_4plusIvEEiEEDaPvRmT3_T4_T5_mT6_P12ihipStream_tbENKUlT_T0_E_clISt17integral_constantIbLb0EESU_EEDaSP_SQ_EUlSP_E0_NS1_11comp_targetILNS1_3genE9ELNS1_11target_archE1100ELNS1_3gpuE3ELNS1_3repE0EEENS1_30default_config_static_selectorELNS0_4arch9wavefront6targetE1EEEvT1_,"axG",@progbits,_ZN7rocprim17ROCPRIM_400000_NS6detail17trampoline_kernelINS0_14default_configENS1_20scan_config_selectorIiEEZZNS1_9scan_implILNS1_25lookback_scan_determinismE0ELb0ELb0ES3_N6thrust23THRUST_200600_302600_NS6detail15normal_iteratorINS9_10device_ptrIiEEEESE_iNS9_4plusIvEEiEEDaPvRmT3_T4_T5_mT6_P12ihipStream_tbENKUlT_T0_E_clISt17integral_constantIbLb0EESU_EEDaSP_SQ_EUlSP_E0_NS1_11comp_targetILNS1_3genE9ELNS1_11target_archE1100ELNS1_3gpuE3ELNS1_3repE0EEENS1_30default_config_static_selectorELNS0_4arch9wavefront6targetE1EEEvT1_,comdat
.Lfunc_end1356:
	.size	_ZN7rocprim17ROCPRIM_400000_NS6detail17trampoline_kernelINS0_14default_configENS1_20scan_config_selectorIiEEZZNS1_9scan_implILNS1_25lookback_scan_determinismE0ELb0ELb0ES3_N6thrust23THRUST_200600_302600_NS6detail15normal_iteratorINS9_10device_ptrIiEEEESE_iNS9_4plusIvEEiEEDaPvRmT3_T4_T5_mT6_P12ihipStream_tbENKUlT_T0_E_clISt17integral_constantIbLb0EESU_EEDaSP_SQ_EUlSP_E0_NS1_11comp_targetILNS1_3genE9ELNS1_11target_archE1100ELNS1_3gpuE3ELNS1_3repE0EEENS1_30default_config_static_selectorELNS0_4arch9wavefront6targetE1EEEvT1_, .Lfunc_end1356-_ZN7rocprim17ROCPRIM_400000_NS6detail17trampoline_kernelINS0_14default_configENS1_20scan_config_selectorIiEEZZNS1_9scan_implILNS1_25lookback_scan_determinismE0ELb0ELb0ES3_N6thrust23THRUST_200600_302600_NS6detail15normal_iteratorINS9_10device_ptrIiEEEESE_iNS9_4plusIvEEiEEDaPvRmT3_T4_T5_mT6_P12ihipStream_tbENKUlT_T0_E_clISt17integral_constantIbLb0EESU_EEDaSP_SQ_EUlSP_E0_NS1_11comp_targetILNS1_3genE9ELNS1_11target_archE1100ELNS1_3gpuE3ELNS1_3repE0EEENS1_30default_config_static_selectorELNS0_4arch9wavefront6targetE1EEEvT1_
                                        ; -- End function
	.section	.AMDGPU.csdata,"",@progbits
; Kernel info:
; codeLenInByte = 0
; NumSgprs: 4
; NumVgprs: 0
; NumAgprs: 0
; TotalNumVgprs: 0
; ScratchSize: 0
; MemoryBound: 0
; FloatMode: 240
; IeeeMode: 1
; LDSByteSize: 0 bytes/workgroup (compile time only)
; SGPRBlocks: 0
; VGPRBlocks: 0
; NumSGPRsForWavesPerEU: 4
; NumVGPRsForWavesPerEU: 1
; AccumOffset: 4
; Occupancy: 8
; WaveLimiterHint : 0
; COMPUTE_PGM_RSRC2:SCRATCH_EN: 0
; COMPUTE_PGM_RSRC2:USER_SGPR: 6
; COMPUTE_PGM_RSRC2:TRAP_HANDLER: 0
; COMPUTE_PGM_RSRC2:TGID_X_EN: 1
; COMPUTE_PGM_RSRC2:TGID_Y_EN: 0
; COMPUTE_PGM_RSRC2:TGID_Z_EN: 0
; COMPUTE_PGM_RSRC2:TIDIG_COMP_CNT: 0
; COMPUTE_PGM_RSRC3_GFX90A:ACCUM_OFFSET: 0
; COMPUTE_PGM_RSRC3_GFX90A:TG_SPLIT: 0
	.section	.text._ZN7rocprim17ROCPRIM_400000_NS6detail17trampoline_kernelINS0_14default_configENS1_20scan_config_selectorIiEEZZNS1_9scan_implILNS1_25lookback_scan_determinismE0ELb0ELb0ES3_N6thrust23THRUST_200600_302600_NS6detail15normal_iteratorINS9_10device_ptrIiEEEESE_iNS9_4plusIvEEiEEDaPvRmT3_T4_T5_mT6_P12ihipStream_tbENKUlT_T0_E_clISt17integral_constantIbLb0EESU_EEDaSP_SQ_EUlSP_E0_NS1_11comp_targetILNS1_3genE8ELNS1_11target_archE1030ELNS1_3gpuE2ELNS1_3repE0EEENS1_30default_config_static_selectorELNS0_4arch9wavefront6targetE1EEEvT1_,"axG",@progbits,_ZN7rocprim17ROCPRIM_400000_NS6detail17trampoline_kernelINS0_14default_configENS1_20scan_config_selectorIiEEZZNS1_9scan_implILNS1_25lookback_scan_determinismE0ELb0ELb0ES3_N6thrust23THRUST_200600_302600_NS6detail15normal_iteratorINS9_10device_ptrIiEEEESE_iNS9_4plusIvEEiEEDaPvRmT3_T4_T5_mT6_P12ihipStream_tbENKUlT_T0_E_clISt17integral_constantIbLb0EESU_EEDaSP_SQ_EUlSP_E0_NS1_11comp_targetILNS1_3genE8ELNS1_11target_archE1030ELNS1_3gpuE2ELNS1_3repE0EEENS1_30default_config_static_selectorELNS0_4arch9wavefront6targetE1EEEvT1_,comdat
	.protected	_ZN7rocprim17ROCPRIM_400000_NS6detail17trampoline_kernelINS0_14default_configENS1_20scan_config_selectorIiEEZZNS1_9scan_implILNS1_25lookback_scan_determinismE0ELb0ELb0ES3_N6thrust23THRUST_200600_302600_NS6detail15normal_iteratorINS9_10device_ptrIiEEEESE_iNS9_4plusIvEEiEEDaPvRmT3_T4_T5_mT6_P12ihipStream_tbENKUlT_T0_E_clISt17integral_constantIbLb0EESU_EEDaSP_SQ_EUlSP_E0_NS1_11comp_targetILNS1_3genE8ELNS1_11target_archE1030ELNS1_3gpuE2ELNS1_3repE0EEENS1_30default_config_static_selectorELNS0_4arch9wavefront6targetE1EEEvT1_ ; -- Begin function _ZN7rocprim17ROCPRIM_400000_NS6detail17trampoline_kernelINS0_14default_configENS1_20scan_config_selectorIiEEZZNS1_9scan_implILNS1_25lookback_scan_determinismE0ELb0ELb0ES3_N6thrust23THRUST_200600_302600_NS6detail15normal_iteratorINS9_10device_ptrIiEEEESE_iNS9_4plusIvEEiEEDaPvRmT3_T4_T5_mT6_P12ihipStream_tbENKUlT_T0_E_clISt17integral_constantIbLb0EESU_EEDaSP_SQ_EUlSP_E0_NS1_11comp_targetILNS1_3genE8ELNS1_11target_archE1030ELNS1_3gpuE2ELNS1_3repE0EEENS1_30default_config_static_selectorELNS0_4arch9wavefront6targetE1EEEvT1_
	.globl	_ZN7rocprim17ROCPRIM_400000_NS6detail17trampoline_kernelINS0_14default_configENS1_20scan_config_selectorIiEEZZNS1_9scan_implILNS1_25lookback_scan_determinismE0ELb0ELb0ES3_N6thrust23THRUST_200600_302600_NS6detail15normal_iteratorINS9_10device_ptrIiEEEESE_iNS9_4plusIvEEiEEDaPvRmT3_T4_T5_mT6_P12ihipStream_tbENKUlT_T0_E_clISt17integral_constantIbLb0EESU_EEDaSP_SQ_EUlSP_E0_NS1_11comp_targetILNS1_3genE8ELNS1_11target_archE1030ELNS1_3gpuE2ELNS1_3repE0EEENS1_30default_config_static_selectorELNS0_4arch9wavefront6targetE1EEEvT1_
	.p2align	8
	.type	_ZN7rocprim17ROCPRIM_400000_NS6detail17trampoline_kernelINS0_14default_configENS1_20scan_config_selectorIiEEZZNS1_9scan_implILNS1_25lookback_scan_determinismE0ELb0ELb0ES3_N6thrust23THRUST_200600_302600_NS6detail15normal_iteratorINS9_10device_ptrIiEEEESE_iNS9_4plusIvEEiEEDaPvRmT3_T4_T5_mT6_P12ihipStream_tbENKUlT_T0_E_clISt17integral_constantIbLb0EESU_EEDaSP_SQ_EUlSP_E0_NS1_11comp_targetILNS1_3genE8ELNS1_11target_archE1030ELNS1_3gpuE2ELNS1_3repE0EEENS1_30default_config_static_selectorELNS0_4arch9wavefront6targetE1EEEvT1_,@function
_ZN7rocprim17ROCPRIM_400000_NS6detail17trampoline_kernelINS0_14default_configENS1_20scan_config_selectorIiEEZZNS1_9scan_implILNS1_25lookback_scan_determinismE0ELb0ELb0ES3_N6thrust23THRUST_200600_302600_NS6detail15normal_iteratorINS9_10device_ptrIiEEEESE_iNS9_4plusIvEEiEEDaPvRmT3_T4_T5_mT6_P12ihipStream_tbENKUlT_T0_E_clISt17integral_constantIbLb0EESU_EEDaSP_SQ_EUlSP_E0_NS1_11comp_targetILNS1_3genE8ELNS1_11target_archE1030ELNS1_3gpuE2ELNS1_3repE0EEENS1_30default_config_static_selectorELNS0_4arch9wavefront6targetE1EEEvT1_: ; @_ZN7rocprim17ROCPRIM_400000_NS6detail17trampoline_kernelINS0_14default_configENS1_20scan_config_selectorIiEEZZNS1_9scan_implILNS1_25lookback_scan_determinismE0ELb0ELb0ES3_N6thrust23THRUST_200600_302600_NS6detail15normal_iteratorINS9_10device_ptrIiEEEESE_iNS9_4plusIvEEiEEDaPvRmT3_T4_T5_mT6_P12ihipStream_tbENKUlT_T0_E_clISt17integral_constantIbLb0EESU_EEDaSP_SQ_EUlSP_E0_NS1_11comp_targetILNS1_3genE8ELNS1_11target_archE1030ELNS1_3gpuE2ELNS1_3repE0EEENS1_30default_config_static_selectorELNS0_4arch9wavefront6targetE1EEEvT1_
; %bb.0:
	.section	.rodata,"a",@progbits
	.p2align	6, 0x0
	.amdhsa_kernel _ZN7rocprim17ROCPRIM_400000_NS6detail17trampoline_kernelINS0_14default_configENS1_20scan_config_selectorIiEEZZNS1_9scan_implILNS1_25lookback_scan_determinismE0ELb0ELb0ES3_N6thrust23THRUST_200600_302600_NS6detail15normal_iteratorINS9_10device_ptrIiEEEESE_iNS9_4plusIvEEiEEDaPvRmT3_T4_T5_mT6_P12ihipStream_tbENKUlT_T0_E_clISt17integral_constantIbLb0EESU_EEDaSP_SQ_EUlSP_E0_NS1_11comp_targetILNS1_3genE8ELNS1_11target_archE1030ELNS1_3gpuE2ELNS1_3repE0EEENS1_30default_config_static_selectorELNS0_4arch9wavefront6targetE1EEEvT1_
		.amdhsa_group_segment_fixed_size 0
		.amdhsa_private_segment_fixed_size 0
		.amdhsa_kernarg_size 32
		.amdhsa_user_sgpr_count 6
		.amdhsa_user_sgpr_private_segment_buffer 1
		.amdhsa_user_sgpr_dispatch_ptr 0
		.amdhsa_user_sgpr_queue_ptr 0
		.amdhsa_user_sgpr_kernarg_segment_ptr 1
		.amdhsa_user_sgpr_dispatch_id 0
		.amdhsa_user_sgpr_flat_scratch_init 0
		.amdhsa_user_sgpr_kernarg_preload_length 0
		.amdhsa_user_sgpr_kernarg_preload_offset 0
		.amdhsa_user_sgpr_private_segment_size 0
		.amdhsa_uses_dynamic_stack 0
		.amdhsa_system_sgpr_private_segment_wavefront_offset 0
		.amdhsa_system_sgpr_workgroup_id_x 1
		.amdhsa_system_sgpr_workgroup_id_y 0
		.amdhsa_system_sgpr_workgroup_id_z 0
		.amdhsa_system_sgpr_workgroup_info 0
		.amdhsa_system_vgpr_workitem_id 0
		.amdhsa_next_free_vgpr 1
		.amdhsa_next_free_sgpr 0
		.amdhsa_accum_offset 4
		.amdhsa_reserve_vcc 0
		.amdhsa_reserve_flat_scratch 0
		.amdhsa_float_round_mode_32 0
		.amdhsa_float_round_mode_16_64 0
		.amdhsa_float_denorm_mode_32 3
		.amdhsa_float_denorm_mode_16_64 3
		.amdhsa_dx10_clamp 1
		.amdhsa_ieee_mode 1
		.amdhsa_fp16_overflow 0
		.amdhsa_tg_split 0
		.amdhsa_exception_fp_ieee_invalid_op 0
		.amdhsa_exception_fp_denorm_src 0
		.amdhsa_exception_fp_ieee_div_zero 0
		.amdhsa_exception_fp_ieee_overflow 0
		.amdhsa_exception_fp_ieee_underflow 0
		.amdhsa_exception_fp_ieee_inexact 0
		.amdhsa_exception_int_div_zero 0
	.end_amdhsa_kernel
	.section	.text._ZN7rocprim17ROCPRIM_400000_NS6detail17trampoline_kernelINS0_14default_configENS1_20scan_config_selectorIiEEZZNS1_9scan_implILNS1_25lookback_scan_determinismE0ELb0ELb0ES3_N6thrust23THRUST_200600_302600_NS6detail15normal_iteratorINS9_10device_ptrIiEEEESE_iNS9_4plusIvEEiEEDaPvRmT3_T4_T5_mT6_P12ihipStream_tbENKUlT_T0_E_clISt17integral_constantIbLb0EESU_EEDaSP_SQ_EUlSP_E0_NS1_11comp_targetILNS1_3genE8ELNS1_11target_archE1030ELNS1_3gpuE2ELNS1_3repE0EEENS1_30default_config_static_selectorELNS0_4arch9wavefront6targetE1EEEvT1_,"axG",@progbits,_ZN7rocprim17ROCPRIM_400000_NS6detail17trampoline_kernelINS0_14default_configENS1_20scan_config_selectorIiEEZZNS1_9scan_implILNS1_25lookback_scan_determinismE0ELb0ELb0ES3_N6thrust23THRUST_200600_302600_NS6detail15normal_iteratorINS9_10device_ptrIiEEEESE_iNS9_4plusIvEEiEEDaPvRmT3_T4_T5_mT6_P12ihipStream_tbENKUlT_T0_E_clISt17integral_constantIbLb0EESU_EEDaSP_SQ_EUlSP_E0_NS1_11comp_targetILNS1_3genE8ELNS1_11target_archE1030ELNS1_3gpuE2ELNS1_3repE0EEENS1_30default_config_static_selectorELNS0_4arch9wavefront6targetE1EEEvT1_,comdat
.Lfunc_end1357:
	.size	_ZN7rocprim17ROCPRIM_400000_NS6detail17trampoline_kernelINS0_14default_configENS1_20scan_config_selectorIiEEZZNS1_9scan_implILNS1_25lookback_scan_determinismE0ELb0ELb0ES3_N6thrust23THRUST_200600_302600_NS6detail15normal_iteratorINS9_10device_ptrIiEEEESE_iNS9_4plusIvEEiEEDaPvRmT3_T4_T5_mT6_P12ihipStream_tbENKUlT_T0_E_clISt17integral_constantIbLb0EESU_EEDaSP_SQ_EUlSP_E0_NS1_11comp_targetILNS1_3genE8ELNS1_11target_archE1030ELNS1_3gpuE2ELNS1_3repE0EEENS1_30default_config_static_selectorELNS0_4arch9wavefront6targetE1EEEvT1_, .Lfunc_end1357-_ZN7rocprim17ROCPRIM_400000_NS6detail17trampoline_kernelINS0_14default_configENS1_20scan_config_selectorIiEEZZNS1_9scan_implILNS1_25lookback_scan_determinismE0ELb0ELb0ES3_N6thrust23THRUST_200600_302600_NS6detail15normal_iteratorINS9_10device_ptrIiEEEESE_iNS9_4plusIvEEiEEDaPvRmT3_T4_T5_mT6_P12ihipStream_tbENKUlT_T0_E_clISt17integral_constantIbLb0EESU_EEDaSP_SQ_EUlSP_E0_NS1_11comp_targetILNS1_3genE8ELNS1_11target_archE1030ELNS1_3gpuE2ELNS1_3repE0EEENS1_30default_config_static_selectorELNS0_4arch9wavefront6targetE1EEEvT1_
                                        ; -- End function
	.section	.AMDGPU.csdata,"",@progbits
; Kernel info:
; codeLenInByte = 0
; NumSgprs: 4
; NumVgprs: 0
; NumAgprs: 0
; TotalNumVgprs: 0
; ScratchSize: 0
; MemoryBound: 0
; FloatMode: 240
; IeeeMode: 1
; LDSByteSize: 0 bytes/workgroup (compile time only)
; SGPRBlocks: 0
; VGPRBlocks: 0
; NumSGPRsForWavesPerEU: 4
; NumVGPRsForWavesPerEU: 1
; AccumOffset: 4
; Occupancy: 8
; WaveLimiterHint : 0
; COMPUTE_PGM_RSRC2:SCRATCH_EN: 0
; COMPUTE_PGM_RSRC2:USER_SGPR: 6
; COMPUTE_PGM_RSRC2:TRAP_HANDLER: 0
; COMPUTE_PGM_RSRC2:TGID_X_EN: 1
; COMPUTE_PGM_RSRC2:TGID_Y_EN: 0
; COMPUTE_PGM_RSRC2:TGID_Z_EN: 0
; COMPUTE_PGM_RSRC2:TIDIG_COMP_CNT: 0
; COMPUTE_PGM_RSRC3_GFX90A:ACCUM_OFFSET: 0
; COMPUTE_PGM_RSRC3_GFX90A:TG_SPLIT: 0
	.section	.text._ZN7rocprim17ROCPRIM_400000_NS6detail17trampoline_kernelINS0_14default_configENS1_20scan_config_selectorIiEEZZNS1_9scan_implILNS1_25lookback_scan_determinismE0ELb0ELb0ES3_N6thrust23THRUST_200600_302600_NS6detail15normal_iteratorINS9_10device_ptrIiEEEESE_iNS9_4plusIvEEiEEDaPvRmT3_T4_T5_mT6_P12ihipStream_tbENKUlT_T0_E_clISt17integral_constantIbLb1EESU_EEDaSP_SQ_EUlSP_E_NS1_11comp_targetILNS1_3genE0ELNS1_11target_archE4294967295ELNS1_3gpuE0ELNS1_3repE0EEENS1_30default_config_static_selectorELNS0_4arch9wavefront6targetE1EEEvT1_,"axG",@progbits,_ZN7rocprim17ROCPRIM_400000_NS6detail17trampoline_kernelINS0_14default_configENS1_20scan_config_selectorIiEEZZNS1_9scan_implILNS1_25lookback_scan_determinismE0ELb0ELb0ES3_N6thrust23THRUST_200600_302600_NS6detail15normal_iteratorINS9_10device_ptrIiEEEESE_iNS9_4plusIvEEiEEDaPvRmT3_T4_T5_mT6_P12ihipStream_tbENKUlT_T0_E_clISt17integral_constantIbLb1EESU_EEDaSP_SQ_EUlSP_E_NS1_11comp_targetILNS1_3genE0ELNS1_11target_archE4294967295ELNS1_3gpuE0ELNS1_3repE0EEENS1_30default_config_static_selectorELNS0_4arch9wavefront6targetE1EEEvT1_,comdat
	.protected	_ZN7rocprim17ROCPRIM_400000_NS6detail17trampoline_kernelINS0_14default_configENS1_20scan_config_selectorIiEEZZNS1_9scan_implILNS1_25lookback_scan_determinismE0ELb0ELb0ES3_N6thrust23THRUST_200600_302600_NS6detail15normal_iteratorINS9_10device_ptrIiEEEESE_iNS9_4plusIvEEiEEDaPvRmT3_T4_T5_mT6_P12ihipStream_tbENKUlT_T0_E_clISt17integral_constantIbLb1EESU_EEDaSP_SQ_EUlSP_E_NS1_11comp_targetILNS1_3genE0ELNS1_11target_archE4294967295ELNS1_3gpuE0ELNS1_3repE0EEENS1_30default_config_static_selectorELNS0_4arch9wavefront6targetE1EEEvT1_ ; -- Begin function _ZN7rocprim17ROCPRIM_400000_NS6detail17trampoline_kernelINS0_14default_configENS1_20scan_config_selectorIiEEZZNS1_9scan_implILNS1_25lookback_scan_determinismE0ELb0ELb0ES3_N6thrust23THRUST_200600_302600_NS6detail15normal_iteratorINS9_10device_ptrIiEEEESE_iNS9_4plusIvEEiEEDaPvRmT3_T4_T5_mT6_P12ihipStream_tbENKUlT_T0_E_clISt17integral_constantIbLb1EESU_EEDaSP_SQ_EUlSP_E_NS1_11comp_targetILNS1_3genE0ELNS1_11target_archE4294967295ELNS1_3gpuE0ELNS1_3repE0EEENS1_30default_config_static_selectorELNS0_4arch9wavefront6targetE1EEEvT1_
	.globl	_ZN7rocprim17ROCPRIM_400000_NS6detail17trampoline_kernelINS0_14default_configENS1_20scan_config_selectorIiEEZZNS1_9scan_implILNS1_25lookback_scan_determinismE0ELb0ELb0ES3_N6thrust23THRUST_200600_302600_NS6detail15normal_iteratorINS9_10device_ptrIiEEEESE_iNS9_4plusIvEEiEEDaPvRmT3_T4_T5_mT6_P12ihipStream_tbENKUlT_T0_E_clISt17integral_constantIbLb1EESU_EEDaSP_SQ_EUlSP_E_NS1_11comp_targetILNS1_3genE0ELNS1_11target_archE4294967295ELNS1_3gpuE0ELNS1_3repE0EEENS1_30default_config_static_selectorELNS0_4arch9wavefront6targetE1EEEvT1_
	.p2align	8
	.type	_ZN7rocprim17ROCPRIM_400000_NS6detail17trampoline_kernelINS0_14default_configENS1_20scan_config_selectorIiEEZZNS1_9scan_implILNS1_25lookback_scan_determinismE0ELb0ELb0ES3_N6thrust23THRUST_200600_302600_NS6detail15normal_iteratorINS9_10device_ptrIiEEEESE_iNS9_4plusIvEEiEEDaPvRmT3_T4_T5_mT6_P12ihipStream_tbENKUlT_T0_E_clISt17integral_constantIbLb1EESU_EEDaSP_SQ_EUlSP_E_NS1_11comp_targetILNS1_3genE0ELNS1_11target_archE4294967295ELNS1_3gpuE0ELNS1_3repE0EEENS1_30default_config_static_selectorELNS0_4arch9wavefront6targetE1EEEvT1_,@function
_ZN7rocprim17ROCPRIM_400000_NS6detail17trampoline_kernelINS0_14default_configENS1_20scan_config_selectorIiEEZZNS1_9scan_implILNS1_25lookback_scan_determinismE0ELb0ELb0ES3_N6thrust23THRUST_200600_302600_NS6detail15normal_iteratorINS9_10device_ptrIiEEEESE_iNS9_4plusIvEEiEEDaPvRmT3_T4_T5_mT6_P12ihipStream_tbENKUlT_T0_E_clISt17integral_constantIbLb1EESU_EEDaSP_SQ_EUlSP_E_NS1_11comp_targetILNS1_3genE0ELNS1_11target_archE4294967295ELNS1_3gpuE0ELNS1_3repE0EEENS1_30default_config_static_selectorELNS0_4arch9wavefront6targetE1EEEvT1_: ; @_ZN7rocprim17ROCPRIM_400000_NS6detail17trampoline_kernelINS0_14default_configENS1_20scan_config_selectorIiEEZZNS1_9scan_implILNS1_25lookback_scan_determinismE0ELb0ELb0ES3_N6thrust23THRUST_200600_302600_NS6detail15normal_iteratorINS9_10device_ptrIiEEEESE_iNS9_4plusIvEEiEEDaPvRmT3_T4_T5_mT6_P12ihipStream_tbENKUlT_T0_E_clISt17integral_constantIbLb1EESU_EEDaSP_SQ_EUlSP_E_NS1_11comp_targetILNS1_3genE0ELNS1_11target_archE4294967295ELNS1_3gpuE0ELNS1_3repE0EEENS1_30default_config_static_selectorELNS0_4arch9wavefront6targetE1EEEvT1_
; %bb.0:
	.section	.rodata,"a",@progbits
	.p2align	6, 0x0
	.amdhsa_kernel _ZN7rocprim17ROCPRIM_400000_NS6detail17trampoline_kernelINS0_14default_configENS1_20scan_config_selectorIiEEZZNS1_9scan_implILNS1_25lookback_scan_determinismE0ELb0ELb0ES3_N6thrust23THRUST_200600_302600_NS6detail15normal_iteratorINS9_10device_ptrIiEEEESE_iNS9_4plusIvEEiEEDaPvRmT3_T4_T5_mT6_P12ihipStream_tbENKUlT_T0_E_clISt17integral_constantIbLb1EESU_EEDaSP_SQ_EUlSP_E_NS1_11comp_targetILNS1_3genE0ELNS1_11target_archE4294967295ELNS1_3gpuE0ELNS1_3repE0EEENS1_30default_config_static_selectorELNS0_4arch9wavefront6targetE1EEEvT1_
		.amdhsa_group_segment_fixed_size 0
		.amdhsa_private_segment_fixed_size 0
		.amdhsa_kernarg_size 96
		.amdhsa_user_sgpr_count 6
		.amdhsa_user_sgpr_private_segment_buffer 1
		.amdhsa_user_sgpr_dispatch_ptr 0
		.amdhsa_user_sgpr_queue_ptr 0
		.amdhsa_user_sgpr_kernarg_segment_ptr 1
		.amdhsa_user_sgpr_dispatch_id 0
		.amdhsa_user_sgpr_flat_scratch_init 0
		.amdhsa_user_sgpr_kernarg_preload_length 0
		.amdhsa_user_sgpr_kernarg_preload_offset 0
		.amdhsa_user_sgpr_private_segment_size 0
		.amdhsa_uses_dynamic_stack 0
		.amdhsa_system_sgpr_private_segment_wavefront_offset 0
		.amdhsa_system_sgpr_workgroup_id_x 1
		.amdhsa_system_sgpr_workgroup_id_y 0
		.amdhsa_system_sgpr_workgroup_id_z 0
		.amdhsa_system_sgpr_workgroup_info 0
		.amdhsa_system_vgpr_workitem_id 0
		.amdhsa_next_free_vgpr 1
		.amdhsa_next_free_sgpr 0
		.amdhsa_accum_offset 4
		.amdhsa_reserve_vcc 0
		.amdhsa_reserve_flat_scratch 0
		.amdhsa_float_round_mode_32 0
		.amdhsa_float_round_mode_16_64 0
		.amdhsa_float_denorm_mode_32 3
		.amdhsa_float_denorm_mode_16_64 3
		.amdhsa_dx10_clamp 1
		.amdhsa_ieee_mode 1
		.amdhsa_fp16_overflow 0
		.amdhsa_tg_split 0
		.amdhsa_exception_fp_ieee_invalid_op 0
		.amdhsa_exception_fp_denorm_src 0
		.amdhsa_exception_fp_ieee_div_zero 0
		.amdhsa_exception_fp_ieee_overflow 0
		.amdhsa_exception_fp_ieee_underflow 0
		.amdhsa_exception_fp_ieee_inexact 0
		.amdhsa_exception_int_div_zero 0
	.end_amdhsa_kernel
	.section	.text._ZN7rocprim17ROCPRIM_400000_NS6detail17trampoline_kernelINS0_14default_configENS1_20scan_config_selectorIiEEZZNS1_9scan_implILNS1_25lookback_scan_determinismE0ELb0ELb0ES3_N6thrust23THRUST_200600_302600_NS6detail15normal_iteratorINS9_10device_ptrIiEEEESE_iNS9_4plusIvEEiEEDaPvRmT3_T4_T5_mT6_P12ihipStream_tbENKUlT_T0_E_clISt17integral_constantIbLb1EESU_EEDaSP_SQ_EUlSP_E_NS1_11comp_targetILNS1_3genE0ELNS1_11target_archE4294967295ELNS1_3gpuE0ELNS1_3repE0EEENS1_30default_config_static_selectorELNS0_4arch9wavefront6targetE1EEEvT1_,"axG",@progbits,_ZN7rocprim17ROCPRIM_400000_NS6detail17trampoline_kernelINS0_14default_configENS1_20scan_config_selectorIiEEZZNS1_9scan_implILNS1_25lookback_scan_determinismE0ELb0ELb0ES3_N6thrust23THRUST_200600_302600_NS6detail15normal_iteratorINS9_10device_ptrIiEEEESE_iNS9_4plusIvEEiEEDaPvRmT3_T4_T5_mT6_P12ihipStream_tbENKUlT_T0_E_clISt17integral_constantIbLb1EESU_EEDaSP_SQ_EUlSP_E_NS1_11comp_targetILNS1_3genE0ELNS1_11target_archE4294967295ELNS1_3gpuE0ELNS1_3repE0EEENS1_30default_config_static_selectorELNS0_4arch9wavefront6targetE1EEEvT1_,comdat
.Lfunc_end1358:
	.size	_ZN7rocprim17ROCPRIM_400000_NS6detail17trampoline_kernelINS0_14default_configENS1_20scan_config_selectorIiEEZZNS1_9scan_implILNS1_25lookback_scan_determinismE0ELb0ELb0ES3_N6thrust23THRUST_200600_302600_NS6detail15normal_iteratorINS9_10device_ptrIiEEEESE_iNS9_4plusIvEEiEEDaPvRmT3_T4_T5_mT6_P12ihipStream_tbENKUlT_T0_E_clISt17integral_constantIbLb1EESU_EEDaSP_SQ_EUlSP_E_NS1_11comp_targetILNS1_3genE0ELNS1_11target_archE4294967295ELNS1_3gpuE0ELNS1_3repE0EEENS1_30default_config_static_selectorELNS0_4arch9wavefront6targetE1EEEvT1_, .Lfunc_end1358-_ZN7rocprim17ROCPRIM_400000_NS6detail17trampoline_kernelINS0_14default_configENS1_20scan_config_selectorIiEEZZNS1_9scan_implILNS1_25lookback_scan_determinismE0ELb0ELb0ES3_N6thrust23THRUST_200600_302600_NS6detail15normal_iteratorINS9_10device_ptrIiEEEESE_iNS9_4plusIvEEiEEDaPvRmT3_T4_T5_mT6_P12ihipStream_tbENKUlT_T0_E_clISt17integral_constantIbLb1EESU_EEDaSP_SQ_EUlSP_E_NS1_11comp_targetILNS1_3genE0ELNS1_11target_archE4294967295ELNS1_3gpuE0ELNS1_3repE0EEENS1_30default_config_static_selectorELNS0_4arch9wavefront6targetE1EEEvT1_
                                        ; -- End function
	.section	.AMDGPU.csdata,"",@progbits
; Kernel info:
; codeLenInByte = 0
; NumSgprs: 4
; NumVgprs: 0
; NumAgprs: 0
; TotalNumVgprs: 0
; ScratchSize: 0
; MemoryBound: 0
; FloatMode: 240
; IeeeMode: 1
; LDSByteSize: 0 bytes/workgroup (compile time only)
; SGPRBlocks: 0
; VGPRBlocks: 0
; NumSGPRsForWavesPerEU: 4
; NumVGPRsForWavesPerEU: 1
; AccumOffset: 4
; Occupancy: 8
; WaveLimiterHint : 0
; COMPUTE_PGM_RSRC2:SCRATCH_EN: 0
; COMPUTE_PGM_RSRC2:USER_SGPR: 6
; COMPUTE_PGM_RSRC2:TRAP_HANDLER: 0
; COMPUTE_PGM_RSRC2:TGID_X_EN: 1
; COMPUTE_PGM_RSRC2:TGID_Y_EN: 0
; COMPUTE_PGM_RSRC2:TGID_Z_EN: 0
; COMPUTE_PGM_RSRC2:TIDIG_COMP_CNT: 0
; COMPUTE_PGM_RSRC3_GFX90A:ACCUM_OFFSET: 0
; COMPUTE_PGM_RSRC3_GFX90A:TG_SPLIT: 0
	.section	.text._ZN7rocprim17ROCPRIM_400000_NS6detail17trampoline_kernelINS0_14default_configENS1_20scan_config_selectorIiEEZZNS1_9scan_implILNS1_25lookback_scan_determinismE0ELb0ELb0ES3_N6thrust23THRUST_200600_302600_NS6detail15normal_iteratorINS9_10device_ptrIiEEEESE_iNS9_4plusIvEEiEEDaPvRmT3_T4_T5_mT6_P12ihipStream_tbENKUlT_T0_E_clISt17integral_constantIbLb1EESU_EEDaSP_SQ_EUlSP_E_NS1_11comp_targetILNS1_3genE5ELNS1_11target_archE942ELNS1_3gpuE9ELNS1_3repE0EEENS1_30default_config_static_selectorELNS0_4arch9wavefront6targetE1EEEvT1_,"axG",@progbits,_ZN7rocprim17ROCPRIM_400000_NS6detail17trampoline_kernelINS0_14default_configENS1_20scan_config_selectorIiEEZZNS1_9scan_implILNS1_25lookback_scan_determinismE0ELb0ELb0ES3_N6thrust23THRUST_200600_302600_NS6detail15normal_iteratorINS9_10device_ptrIiEEEESE_iNS9_4plusIvEEiEEDaPvRmT3_T4_T5_mT6_P12ihipStream_tbENKUlT_T0_E_clISt17integral_constantIbLb1EESU_EEDaSP_SQ_EUlSP_E_NS1_11comp_targetILNS1_3genE5ELNS1_11target_archE942ELNS1_3gpuE9ELNS1_3repE0EEENS1_30default_config_static_selectorELNS0_4arch9wavefront6targetE1EEEvT1_,comdat
	.protected	_ZN7rocprim17ROCPRIM_400000_NS6detail17trampoline_kernelINS0_14default_configENS1_20scan_config_selectorIiEEZZNS1_9scan_implILNS1_25lookback_scan_determinismE0ELb0ELb0ES3_N6thrust23THRUST_200600_302600_NS6detail15normal_iteratorINS9_10device_ptrIiEEEESE_iNS9_4plusIvEEiEEDaPvRmT3_T4_T5_mT6_P12ihipStream_tbENKUlT_T0_E_clISt17integral_constantIbLb1EESU_EEDaSP_SQ_EUlSP_E_NS1_11comp_targetILNS1_3genE5ELNS1_11target_archE942ELNS1_3gpuE9ELNS1_3repE0EEENS1_30default_config_static_selectorELNS0_4arch9wavefront6targetE1EEEvT1_ ; -- Begin function _ZN7rocprim17ROCPRIM_400000_NS6detail17trampoline_kernelINS0_14default_configENS1_20scan_config_selectorIiEEZZNS1_9scan_implILNS1_25lookback_scan_determinismE0ELb0ELb0ES3_N6thrust23THRUST_200600_302600_NS6detail15normal_iteratorINS9_10device_ptrIiEEEESE_iNS9_4plusIvEEiEEDaPvRmT3_T4_T5_mT6_P12ihipStream_tbENKUlT_T0_E_clISt17integral_constantIbLb1EESU_EEDaSP_SQ_EUlSP_E_NS1_11comp_targetILNS1_3genE5ELNS1_11target_archE942ELNS1_3gpuE9ELNS1_3repE0EEENS1_30default_config_static_selectorELNS0_4arch9wavefront6targetE1EEEvT1_
	.globl	_ZN7rocprim17ROCPRIM_400000_NS6detail17trampoline_kernelINS0_14default_configENS1_20scan_config_selectorIiEEZZNS1_9scan_implILNS1_25lookback_scan_determinismE0ELb0ELb0ES3_N6thrust23THRUST_200600_302600_NS6detail15normal_iteratorINS9_10device_ptrIiEEEESE_iNS9_4plusIvEEiEEDaPvRmT3_T4_T5_mT6_P12ihipStream_tbENKUlT_T0_E_clISt17integral_constantIbLb1EESU_EEDaSP_SQ_EUlSP_E_NS1_11comp_targetILNS1_3genE5ELNS1_11target_archE942ELNS1_3gpuE9ELNS1_3repE0EEENS1_30default_config_static_selectorELNS0_4arch9wavefront6targetE1EEEvT1_
	.p2align	8
	.type	_ZN7rocprim17ROCPRIM_400000_NS6detail17trampoline_kernelINS0_14default_configENS1_20scan_config_selectorIiEEZZNS1_9scan_implILNS1_25lookback_scan_determinismE0ELb0ELb0ES3_N6thrust23THRUST_200600_302600_NS6detail15normal_iteratorINS9_10device_ptrIiEEEESE_iNS9_4plusIvEEiEEDaPvRmT3_T4_T5_mT6_P12ihipStream_tbENKUlT_T0_E_clISt17integral_constantIbLb1EESU_EEDaSP_SQ_EUlSP_E_NS1_11comp_targetILNS1_3genE5ELNS1_11target_archE942ELNS1_3gpuE9ELNS1_3repE0EEENS1_30default_config_static_selectorELNS0_4arch9wavefront6targetE1EEEvT1_,@function
_ZN7rocprim17ROCPRIM_400000_NS6detail17trampoline_kernelINS0_14default_configENS1_20scan_config_selectorIiEEZZNS1_9scan_implILNS1_25lookback_scan_determinismE0ELb0ELb0ES3_N6thrust23THRUST_200600_302600_NS6detail15normal_iteratorINS9_10device_ptrIiEEEESE_iNS9_4plusIvEEiEEDaPvRmT3_T4_T5_mT6_P12ihipStream_tbENKUlT_T0_E_clISt17integral_constantIbLb1EESU_EEDaSP_SQ_EUlSP_E_NS1_11comp_targetILNS1_3genE5ELNS1_11target_archE942ELNS1_3gpuE9ELNS1_3repE0EEENS1_30default_config_static_selectorELNS0_4arch9wavefront6targetE1EEEvT1_: ; @_ZN7rocprim17ROCPRIM_400000_NS6detail17trampoline_kernelINS0_14default_configENS1_20scan_config_selectorIiEEZZNS1_9scan_implILNS1_25lookback_scan_determinismE0ELb0ELb0ES3_N6thrust23THRUST_200600_302600_NS6detail15normal_iteratorINS9_10device_ptrIiEEEESE_iNS9_4plusIvEEiEEDaPvRmT3_T4_T5_mT6_P12ihipStream_tbENKUlT_T0_E_clISt17integral_constantIbLb1EESU_EEDaSP_SQ_EUlSP_E_NS1_11comp_targetILNS1_3genE5ELNS1_11target_archE942ELNS1_3gpuE9ELNS1_3repE0EEENS1_30default_config_static_selectorELNS0_4arch9wavefront6targetE1EEEvT1_
; %bb.0:
	.section	.rodata,"a",@progbits
	.p2align	6, 0x0
	.amdhsa_kernel _ZN7rocprim17ROCPRIM_400000_NS6detail17trampoline_kernelINS0_14default_configENS1_20scan_config_selectorIiEEZZNS1_9scan_implILNS1_25lookback_scan_determinismE0ELb0ELb0ES3_N6thrust23THRUST_200600_302600_NS6detail15normal_iteratorINS9_10device_ptrIiEEEESE_iNS9_4plusIvEEiEEDaPvRmT3_T4_T5_mT6_P12ihipStream_tbENKUlT_T0_E_clISt17integral_constantIbLb1EESU_EEDaSP_SQ_EUlSP_E_NS1_11comp_targetILNS1_3genE5ELNS1_11target_archE942ELNS1_3gpuE9ELNS1_3repE0EEENS1_30default_config_static_selectorELNS0_4arch9wavefront6targetE1EEEvT1_
		.amdhsa_group_segment_fixed_size 0
		.amdhsa_private_segment_fixed_size 0
		.amdhsa_kernarg_size 96
		.amdhsa_user_sgpr_count 6
		.amdhsa_user_sgpr_private_segment_buffer 1
		.amdhsa_user_sgpr_dispatch_ptr 0
		.amdhsa_user_sgpr_queue_ptr 0
		.amdhsa_user_sgpr_kernarg_segment_ptr 1
		.amdhsa_user_sgpr_dispatch_id 0
		.amdhsa_user_sgpr_flat_scratch_init 0
		.amdhsa_user_sgpr_kernarg_preload_length 0
		.amdhsa_user_sgpr_kernarg_preload_offset 0
		.amdhsa_user_sgpr_private_segment_size 0
		.amdhsa_uses_dynamic_stack 0
		.amdhsa_system_sgpr_private_segment_wavefront_offset 0
		.amdhsa_system_sgpr_workgroup_id_x 1
		.amdhsa_system_sgpr_workgroup_id_y 0
		.amdhsa_system_sgpr_workgroup_id_z 0
		.amdhsa_system_sgpr_workgroup_info 0
		.amdhsa_system_vgpr_workitem_id 0
		.amdhsa_next_free_vgpr 1
		.amdhsa_next_free_sgpr 0
		.amdhsa_accum_offset 4
		.amdhsa_reserve_vcc 0
		.amdhsa_reserve_flat_scratch 0
		.amdhsa_float_round_mode_32 0
		.amdhsa_float_round_mode_16_64 0
		.amdhsa_float_denorm_mode_32 3
		.amdhsa_float_denorm_mode_16_64 3
		.amdhsa_dx10_clamp 1
		.amdhsa_ieee_mode 1
		.amdhsa_fp16_overflow 0
		.amdhsa_tg_split 0
		.amdhsa_exception_fp_ieee_invalid_op 0
		.amdhsa_exception_fp_denorm_src 0
		.amdhsa_exception_fp_ieee_div_zero 0
		.amdhsa_exception_fp_ieee_overflow 0
		.amdhsa_exception_fp_ieee_underflow 0
		.amdhsa_exception_fp_ieee_inexact 0
		.amdhsa_exception_int_div_zero 0
	.end_amdhsa_kernel
	.section	.text._ZN7rocprim17ROCPRIM_400000_NS6detail17trampoline_kernelINS0_14default_configENS1_20scan_config_selectorIiEEZZNS1_9scan_implILNS1_25lookback_scan_determinismE0ELb0ELb0ES3_N6thrust23THRUST_200600_302600_NS6detail15normal_iteratorINS9_10device_ptrIiEEEESE_iNS9_4plusIvEEiEEDaPvRmT3_T4_T5_mT6_P12ihipStream_tbENKUlT_T0_E_clISt17integral_constantIbLb1EESU_EEDaSP_SQ_EUlSP_E_NS1_11comp_targetILNS1_3genE5ELNS1_11target_archE942ELNS1_3gpuE9ELNS1_3repE0EEENS1_30default_config_static_selectorELNS0_4arch9wavefront6targetE1EEEvT1_,"axG",@progbits,_ZN7rocprim17ROCPRIM_400000_NS6detail17trampoline_kernelINS0_14default_configENS1_20scan_config_selectorIiEEZZNS1_9scan_implILNS1_25lookback_scan_determinismE0ELb0ELb0ES3_N6thrust23THRUST_200600_302600_NS6detail15normal_iteratorINS9_10device_ptrIiEEEESE_iNS9_4plusIvEEiEEDaPvRmT3_T4_T5_mT6_P12ihipStream_tbENKUlT_T0_E_clISt17integral_constantIbLb1EESU_EEDaSP_SQ_EUlSP_E_NS1_11comp_targetILNS1_3genE5ELNS1_11target_archE942ELNS1_3gpuE9ELNS1_3repE0EEENS1_30default_config_static_selectorELNS0_4arch9wavefront6targetE1EEEvT1_,comdat
.Lfunc_end1359:
	.size	_ZN7rocprim17ROCPRIM_400000_NS6detail17trampoline_kernelINS0_14default_configENS1_20scan_config_selectorIiEEZZNS1_9scan_implILNS1_25lookback_scan_determinismE0ELb0ELb0ES3_N6thrust23THRUST_200600_302600_NS6detail15normal_iteratorINS9_10device_ptrIiEEEESE_iNS9_4plusIvEEiEEDaPvRmT3_T4_T5_mT6_P12ihipStream_tbENKUlT_T0_E_clISt17integral_constantIbLb1EESU_EEDaSP_SQ_EUlSP_E_NS1_11comp_targetILNS1_3genE5ELNS1_11target_archE942ELNS1_3gpuE9ELNS1_3repE0EEENS1_30default_config_static_selectorELNS0_4arch9wavefront6targetE1EEEvT1_, .Lfunc_end1359-_ZN7rocprim17ROCPRIM_400000_NS6detail17trampoline_kernelINS0_14default_configENS1_20scan_config_selectorIiEEZZNS1_9scan_implILNS1_25lookback_scan_determinismE0ELb0ELb0ES3_N6thrust23THRUST_200600_302600_NS6detail15normal_iteratorINS9_10device_ptrIiEEEESE_iNS9_4plusIvEEiEEDaPvRmT3_T4_T5_mT6_P12ihipStream_tbENKUlT_T0_E_clISt17integral_constantIbLb1EESU_EEDaSP_SQ_EUlSP_E_NS1_11comp_targetILNS1_3genE5ELNS1_11target_archE942ELNS1_3gpuE9ELNS1_3repE0EEENS1_30default_config_static_selectorELNS0_4arch9wavefront6targetE1EEEvT1_
                                        ; -- End function
	.section	.AMDGPU.csdata,"",@progbits
; Kernel info:
; codeLenInByte = 0
; NumSgprs: 4
; NumVgprs: 0
; NumAgprs: 0
; TotalNumVgprs: 0
; ScratchSize: 0
; MemoryBound: 0
; FloatMode: 240
; IeeeMode: 1
; LDSByteSize: 0 bytes/workgroup (compile time only)
; SGPRBlocks: 0
; VGPRBlocks: 0
; NumSGPRsForWavesPerEU: 4
; NumVGPRsForWavesPerEU: 1
; AccumOffset: 4
; Occupancy: 8
; WaveLimiterHint : 0
; COMPUTE_PGM_RSRC2:SCRATCH_EN: 0
; COMPUTE_PGM_RSRC2:USER_SGPR: 6
; COMPUTE_PGM_RSRC2:TRAP_HANDLER: 0
; COMPUTE_PGM_RSRC2:TGID_X_EN: 1
; COMPUTE_PGM_RSRC2:TGID_Y_EN: 0
; COMPUTE_PGM_RSRC2:TGID_Z_EN: 0
; COMPUTE_PGM_RSRC2:TIDIG_COMP_CNT: 0
; COMPUTE_PGM_RSRC3_GFX90A:ACCUM_OFFSET: 0
; COMPUTE_PGM_RSRC3_GFX90A:TG_SPLIT: 0
	.section	.text._ZN7rocprim17ROCPRIM_400000_NS6detail17trampoline_kernelINS0_14default_configENS1_20scan_config_selectorIiEEZZNS1_9scan_implILNS1_25lookback_scan_determinismE0ELb0ELb0ES3_N6thrust23THRUST_200600_302600_NS6detail15normal_iteratorINS9_10device_ptrIiEEEESE_iNS9_4plusIvEEiEEDaPvRmT3_T4_T5_mT6_P12ihipStream_tbENKUlT_T0_E_clISt17integral_constantIbLb1EESU_EEDaSP_SQ_EUlSP_E_NS1_11comp_targetILNS1_3genE4ELNS1_11target_archE910ELNS1_3gpuE8ELNS1_3repE0EEENS1_30default_config_static_selectorELNS0_4arch9wavefront6targetE1EEEvT1_,"axG",@progbits,_ZN7rocprim17ROCPRIM_400000_NS6detail17trampoline_kernelINS0_14default_configENS1_20scan_config_selectorIiEEZZNS1_9scan_implILNS1_25lookback_scan_determinismE0ELb0ELb0ES3_N6thrust23THRUST_200600_302600_NS6detail15normal_iteratorINS9_10device_ptrIiEEEESE_iNS9_4plusIvEEiEEDaPvRmT3_T4_T5_mT6_P12ihipStream_tbENKUlT_T0_E_clISt17integral_constantIbLb1EESU_EEDaSP_SQ_EUlSP_E_NS1_11comp_targetILNS1_3genE4ELNS1_11target_archE910ELNS1_3gpuE8ELNS1_3repE0EEENS1_30default_config_static_selectorELNS0_4arch9wavefront6targetE1EEEvT1_,comdat
	.protected	_ZN7rocprim17ROCPRIM_400000_NS6detail17trampoline_kernelINS0_14default_configENS1_20scan_config_selectorIiEEZZNS1_9scan_implILNS1_25lookback_scan_determinismE0ELb0ELb0ES3_N6thrust23THRUST_200600_302600_NS6detail15normal_iteratorINS9_10device_ptrIiEEEESE_iNS9_4plusIvEEiEEDaPvRmT3_T4_T5_mT6_P12ihipStream_tbENKUlT_T0_E_clISt17integral_constantIbLb1EESU_EEDaSP_SQ_EUlSP_E_NS1_11comp_targetILNS1_3genE4ELNS1_11target_archE910ELNS1_3gpuE8ELNS1_3repE0EEENS1_30default_config_static_selectorELNS0_4arch9wavefront6targetE1EEEvT1_ ; -- Begin function _ZN7rocprim17ROCPRIM_400000_NS6detail17trampoline_kernelINS0_14default_configENS1_20scan_config_selectorIiEEZZNS1_9scan_implILNS1_25lookback_scan_determinismE0ELb0ELb0ES3_N6thrust23THRUST_200600_302600_NS6detail15normal_iteratorINS9_10device_ptrIiEEEESE_iNS9_4plusIvEEiEEDaPvRmT3_T4_T5_mT6_P12ihipStream_tbENKUlT_T0_E_clISt17integral_constantIbLb1EESU_EEDaSP_SQ_EUlSP_E_NS1_11comp_targetILNS1_3genE4ELNS1_11target_archE910ELNS1_3gpuE8ELNS1_3repE0EEENS1_30default_config_static_selectorELNS0_4arch9wavefront6targetE1EEEvT1_
	.globl	_ZN7rocprim17ROCPRIM_400000_NS6detail17trampoline_kernelINS0_14default_configENS1_20scan_config_selectorIiEEZZNS1_9scan_implILNS1_25lookback_scan_determinismE0ELb0ELb0ES3_N6thrust23THRUST_200600_302600_NS6detail15normal_iteratorINS9_10device_ptrIiEEEESE_iNS9_4plusIvEEiEEDaPvRmT3_T4_T5_mT6_P12ihipStream_tbENKUlT_T0_E_clISt17integral_constantIbLb1EESU_EEDaSP_SQ_EUlSP_E_NS1_11comp_targetILNS1_3genE4ELNS1_11target_archE910ELNS1_3gpuE8ELNS1_3repE0EEENS1_30default_config_static_selectorELNS0_4arch9wavefront6targetE1EEEvT1_
	.p2align	8
	.type	_ZN7rocprim17ROCPRIM_400000_NS6detail17trampoline_kernelINS0_14default_configENS1_20scan_config_selectorIiEEZZNS1_9scan_implILNS1_25lookback_scan_determinismE0ELb0ELb0ES3_N6thrust23THRUST_200600_302600_NS6detail15normal_iteratorINS9_10device_ptrIiEEEESE_iNS9_4plusIvEEiEEDaPvRmT3_T4_T5_mT6_P12ihipStream_tbENKUlT_T0_E_clISt17integral_constantIbLb1EESU_EEDaSP_SQ_EUlSP_E_NS1_11comp_targetILNS1_3genE4ELNS1_11target_archE910ELNS1_3gpuE8ELNS1_3repE0EEENS1_30default_config_static_selectorELNS0_4arch9wavefront6targetE1EEEvT1_,@function
_ZN7rocprim17ROCPRIM_400000_NS6detail17trampoline_kernelINS0_14default_configENS1_20scan_config_selectorIiEEZZNS1_9scan_implILNS1_25lookback_scan_determinismE0ELb0ELb0ES3_N6thrust23THRUST_200600_302600_NS6detail15normal_iteratorINS9_10device_ptrIiEEEESE_iNS9_4plusIvEEiEEDaPvRmT3_T4_T5_mT6_P12ihipStream_tbENKUlT_T0_E_clISt17integral_constantIbLb1EESU_EEDaSP_SQ_EUlSP_E_NS1_11comp_targetILNS1_3genE4ELNS1_11target_archE910ELNS1_3gpuE8ELNS1_3repE0EEENS1_30default_config_static_selectorELNS0_4arch9wavefront6targetE1EEEvT1_: ; @_ZN7rocprim17ROCPRIM_400000_NS6detail17trampoline_kernelINS0_14default_configENS1_20scan_config_selectorIiEEZZNS1_9scan_implILNS1_25lookback_scan_determinismE0ELb0ELb0ES3_N6thrust23THRUST_200600_302600_NS6detail15normal_iteratorINS9_10device_ptrIiEEEESE_iNS9_4plusIvEEiEEDaPvRmT3_T4_T5_mT6_P12ihipStream_tbENKUlT_T0_E_clISt17integral_constantIbLb1EESU_EEDaSP_SQ_EUlSP_E_NS1_11comp_targetILNS1_3genE4ELNS1_11target_archE910ELNS1_3gpuE8ELNS1_3repE0EEENS1_30default_config_static_selectorELNS0_4arch9wavefront6targetE1EEEvT1_
; %bb.0:
	s_load_dwordx2 s[6:7], s[4:5], 0x28
	v_cmp_ne_u32_e64 s[0:1], 0, v0
	v_cmp_eq_u32_e64 s[2:3], 0, v0
	s_and_saveexec_b64 s[8:9], s[2:3]
	s_cbranch_execz .LBB1360_4
; %bb.1:
	s_mov_b64 s[12:13], exec
	v_mbcnt_lo_u32_b32 v1, s12, 0
	v_mbcnt_hi_u32_b32 v1, s13, v1
	v_cmp_eq_u32_e32 vcc, 0, v1
                                        ; implicit-def: $vgpr2
	s_and_saveexec_b64 s[10:11], vcc
	s_cbranch_execz .LBB1360_3
; %bb.2:
	s_load_dwordx2 s[14:15], s[4:5], 0x58
	s_bcnt1_i32_b64 s12, s[12:13]
	v_mov_b32_e32 v2, 0
	v_mov_b32_e32 v3, s12
	s_waitcnt lgkmcnt(0)
	global_atomic_add v2, v2, v3, s[14:15] glc
.LBB1360_3:
	s_or_b64 exec, exec, s[10:11]
	s_waitcnt vmcnt(0)
	v_readfirstlane_b32 s10, v2
	v_add_u32_e32 v1, s10, v1
	v_mov_b32_e32 v2, 0
	ds_write_b32 v2, v1
.LBB1360_4:
	s_or_b64 exec, exec, s[8:9]
	s_load_dwordx8 s[16:23], s[4:5], 0x0
	s_load_dword s24, s[4:5], 0x30
	s_load_dwordx8 s[8:15], s[4:5], 0x38
	v_mov_b32_e32 v1, 0
	s_waitcnt lgkmcnt(0)
	s_barrier
	ds_read_b32 v1, v1
	s_lshl_b64 s[18:19], s[18:19], 2
	s_add_u32 s25, s16, s18
	s_addc_u32 s26, s17, s19
	s_add_i32 s16, s24, -1
	s_mul_i32 s17, s16, 0x500
	s_sub_u32 s30, s22, s17
	s_waitcnt lgkmcnt(0)
	v_readfirstlane_b32 s33, v1
	s_subb_u32 s31, s23, 0
	s_mul_i32 s4, s33, 0x500
	s_mov_b32 s5, 0
	s_cmp_lg_u32 s33, s16
	s_cselect_b64 s[16:17], -1, 0
	s_lshl_b64 s[22:23], s[4:5], 2
	s_add_u32 s24, s25, s22
	s_addc_u32 s25, s26, s23
	s_mov_b64 s[4:5], -1
	s_and_b64 vcc, exec, s[16:17]
	v_lshlrev_b32_e32 v22, 2, v0
	s_barrier
	s_cbranch_vccz .LBB1360_6
; %bb.5:
	v_mov_b32_e32 v1, s25
	v_add_co_u32_e32 v2, vcc, s24, v22
	v_addc_co_u32_e32 v3, vcc, 0, v1, vcc
	flat_load_dword v1, v[2:3]
	flat_load_dword v4, v[2:3] offset:512
	flat_load_dword v5, v[2:3] offset:1024
	;; [unrolled: 1-line block ×7, first 2 shown]
	v_add_co_u32_e32 v2, vcc, 0x1000, v2
	v_addc_co_u32_e32 v3, vcc, 0, v3, vcc
	flat_load_dword v11, v[2:3]
	flat_load_dword v12, v[2:3] offset:512
	s_mov_b64 s[4:5], 0
	s_waitcnt vmcnt(0) lgkmcnt(0)
	ds_write2st64_b32 v22, v1, v4 offset1:2
	ds_write2st64_b32 v22, v5, v6 offset0:4 offset1:6
	ds_write2st64_b32 v22, v7, v8 offset0:8 offset1:10
	;; [unrolled: 1-line block ×4, first 2 shown]
	s_waitcnt lgkmcnt(0)
	s_barrier
.LBB1360_6:
	s_andn2_b64 vcc, exec, s[4:5]
	v_cmp_gt_u32_e64 s[4:5], s30, v0
	s_cbranch_vccnz .LBB1360_28
; %bb.7:
	v_pk_mov_b32 v[2:3], s[24:25], s[24:25] op_sel:[0,1]
	flat_load_dword v1, v[2:3]
	s_waitcnt vmcnt(0) lgkmcnt(0)
	v_mov_b32_e32 v2, v1
	v_mov_b32_e32 v3, v1
	;; [unrolled: 1-line block ×9, first 2 shown]
	s_and_saveexec_b64 s[26:27], s[4:5]
	s_cbranch_execz .LBB1360_9
; %bb.8:
	v_mov_b32_e32 v11, s25
	v_add_co_u32_e32 v10, vcc, s24, v22
	v_addc_co_u32_e32 v11, vcc, 0, v11, vcc
	flat_load_dword v10, v[10:11]
.LBB1360_9:
	s_or_b64 exec, exec, s[26:27]
	v_or_b32_e32 v11, 0x80, v0
	v_cmp_gt_u32_e32 vcc, s30, v11
	s_and_saveexec_b64 s[4:5], vcc
	s_cbranch_execz .LBB1360_11
; %bb.10:
	v_mov_b32_e32 v1, s25
	v_add_co_u32_e32 v12, vcc, s24, v22
	v_addc_co_u32_e32 v13, vcc, 0, v1, vcc
	flat_load_dword v1, v[12:13] offset:512
.LBB1360_11:
	s_or_b64 exec, exec, s[4:5]
	v_or_b32_e32 v11, 0x100, v0
	v_cmp_gt_u32_e32 vcc, s30, v11
	s_and_saveexec_b64 s[4:5], vcc
	s_cbranch_execz .LBB1360_13
; %bb.12:
	v_mov_b32_e32 v2, s25
	v_add_co_u32_e32 v12, vcc, s24, v22
	v_addc_co_u32_e32 v13, vcc, 0, v2, vcc
	flat_load_dword v2, v[12:13] offset:1024
.LBB1360_13:
	;; [unrolled: 11-line block ×7, first 2 shown]
	s_or_b64 exec, exec, s[4:5]
	v_or_b32_e32 v11, 0x400, v0
	v_cmp_gt_u32_e32 vcc, s30, v11
	s_and_saveexec_b64 s[4:5], vcc
	s_cbranch_execz .LBB1360_25
; %bb.24:
	v_lshlrev_b32_e32 v8, 2, v11
	v_mov_b32_e32 v11, s25
	v_add_co_u32_e32 v12, vcc, s24, v8
	v_addc_co_u32_e32 v13, vcc, 0, v11, vcc
	flat_load_dword v8, v[12:13]
.LBB1360_25:
	s_or_b64 exec, exec, s[4:5]
	v_or_b32_e32 v11, 0x480, v0
	v_cmp_gt_u32_e32 vcc, s30, v11
	s_and_saveexec_b64 s[4:5], vcc
	s_cbranch_execz .LBB1360_27
; %bb.26:
	v_lshlrev_b32_e32 v9, 2, v11
	v_mov_b32_e32 v11, s25
	v_add_co_u32_e32 v12, vcc, s24, v9
	v_addc_co_u32_e32 v13, vcc, 0, v11, vcc
	flat_load_dword v9, v[12:13]
.LBB1360_27:
	s_or_b64 exec, exec, s[4:5]
	s_waitcnt vmcnt(0) lgkmcnt(0)
	ds_write2st64_b32 v22, v10, v1 offset1:2
	ds_write2st64_b32 v22, v2, v3 offset0:4 offset1:6
	ds_write2st64_b32 v22, v4, v5 offset0:8 offset1:10
	;; [unrolled: 1-line block ×4, first 2 shown]
	s_waitcnt lgkmcnt(0)
	s_barrier
.LBB1360_28:
	v_mul_u32_u24_e32 v23, 10, v0
	v_lshlrev_b32_e32 v1, 2, v23
	ds_read2_b64 v[2:5], v1 offset1:1
	ds_read2_b64 v[16:19], v1 offset0:2 offset1:3
	ds_read_b64 v[20:21], v1 offset:32
	s_cmp_lg_u32 s33, 0
	v_lshrrev_b32_e32 v24, 5, v0
	v_cmp_gt_u32_e32 vcc, 64, v0
	s_waitcnt lgkmcnt(0)
	s_barrier
	s_cbranch_scc0 .LBB1360_57
; %bb.29:
	v_add_u32_e32 v6, v3, v2
	v_add3_u32 v6, v6, v4, v5
	v_add3_u32 v6, v6, v16, v17
	;; [unrolled: 1-line block ×4, first 2 shown]
	v_add_lshl_u32 v7, v24, v0, 2
	ds_write_b32 v7, v6
	s_waitcnt lgkmcnt(0)
	s_barrier
	s_and_saveexec_b64 s[24:25], vcc
	s_cbranch_execz .LBB1360_31
; %bb.30:
	v_lshlrev_b32_e32 v7, 1, v0
	v_lshrrev_b32_e32 v8, 4, v0
	v_add_lshl_u32 v7, v8, v7, 2
	ds_read2_b32 v[8:9], v7 offset1:1
	v_mbcnt_lo_u32_b32 v10, -1, 0
	v_mbcnt_hi_u32_b32 v10, -1, v10
	v_and_b32_e32 v11, 15, v10
	v_cmp_ne_u32_e64 s[4:5], 0, v11
	s_waitcnt lgkmcnt(0)
	v_add_u32_e32 v9, v9, v8
	; wave barrier
	s_nop 1
	v_mov_b32_dpp v12, v9 row_shr:1 row_mask:0xf bank_mask:0xf
	v_cndmask_b32_e64 v12, 0, v12, s[4:5]
	v_add_u32_e32 v9, v12, v9
	v_cmp_lt_u32_e64 s[4:5], 1, v11
	s_nop 0
	v_mov_b32_dpp v12, v9 row_shr:2 row_mask:0xf bank_mask:0xf
	v_cndmask_b32_e64 v12, 0, v12, s[4:5]
	v_add_u32_e32 v9, v9, v12
	v_cmp_lt_u32_e64 s[4:5], 3, v11
	;; [unrolled: 5-line block ×3, first 2 shown]
	s_nop 0
	v_mov_b32_dpp v12, v9 row_shr:8 row_mask:0xf bank_mask:0xf
	v_cndmask_b32_e64 v11, 0, v12, s[4:5]
	v_add_u32_e32 v9, v9, v11
	v_bfe_i32 v12, v10, 4, 1
	v_cmp_lt_u32_e64 s[4:5], 31, v10
	v_mov_b32_dpp v11, v9 row_bcast:15 row_mask:0xf bank_mask:0xf
	v_and_b32_e32 v11, v12, v11
	v_add_u32_e32 v9, v9, v11
	v_and_b32_e32 v12, 64, v10
	s_nop 0
	v_mov_b32_dpp v11, v9 row_bcast:31 row_mask:0xf bank_mask:0xf
	v_cndmask_b32_e64 v11, 0, v11, s[4:5]
	v_add_u32_e32 v9, v9, v11
	v_add_u32_e32 v11, -1, v10
	v_cmp_lt_i32_e64 s[4:5], v11, v12
	v_cndmask_b32_e64 v10, v11, v10, s[4:5]
	v_lshlrev_b32_e32 v10, 2, v10
	ds_bpermute_b32 v9, v10, v9
	s_waitcnt lgkmcnt(0)
	v_add_u32_e32 v8, v9, v8
	v_cndmask_b32_e64 v6, v8, v6, s[2:3]
	ds_write_b32 v7, v6
	; wave barrier
	ds_read_b32 v8, v7 offset:4
	s_waitcnt lgkmcnt(0)
	v_add_u32_e32 v6, v8, v6
	ds_write_b32 v7, v6 offset:4
.LBB1360_31:
	s_or_b64 exec, exec, s[24:25]
	v_mov_b32_e32 v25, 0
	s_waitcnt lgkmcnt(0)
	s_barrier
	s_and_saveexec_b64 s[4:5], s[0:1]
	s_cbranch_execz .LBB1360_33
; %bb.32:
	v_add_u32_e32 v6, -1, v0
	v_lshrrev_b32_e32 v7, 5, v6
	v_add_lshl_u32 v6, v7, v6, 2
	ds_read_b32 v25, v6
.LBB1360_33:
	s_or_b64 exec, exec, s[4:5]
	s_and_saveexec_b64 s[24:25], vcc
	s_cbranch_execz .LBB1360_56
; %bb.34:
	v_mov_b32_e32 v15, 0
	ds_read_b32 v6, v15 offset:520
	v_mbcnt_lo_u32_b32 v7, -1, 0
	v_mbcnt_hi_u32_b32 v9, -1, v7
	s_mov_b32 s29, 0
	v_cmp_eq_u32_e64 s[4:5], 0, v9
	s_and_saveexec_b64 s[26:27], s[4:5]
	s_cbranch_execz .LBB1360_36
; %bb.35:
	s_add_i32 s28, s33, 64
	s_lshl_b64 s[28:29], s[28:29], 3
	s_add_u32 s28, s6, s28
	v_mov_b32_e32 v7, 1
	s_addc_u32 s29, s7, s29
	s_waitcnt lgkmcnt(0)
	global_store_dwordx2 v15, v[6:7], s[28:29]
.LBB1360_36:
	s_or_b64 exec, exec, s[26:27]
	v_xad_u32 v8, v9, -1, s33
	v_add_u32_e32 v14, 64, v8
	v_lshlrev_b64 v[10:11], 3, v[14:15]
	v_mov_b32_e32 v7, s7
	v_add_co_u32_e32 v10, vcc, s6, v10
	v_addc_co_u32_e32 v11, vcc, v7, v11, vcc
	global_load_dwordx2 v[12:13], v[10:11], off glc
	s_waitcnt vmcnt(0)
	v_cmp_eq_u16_sdwa s[28:29], v13, v15 src0_sel:BYTE_0 src1_sel:DWORD
	s_and_saveexec_b64 s[26:27], s[28:29]
	s_cbranch_execz .LBB1360_42
; %bb.37:
	s_mov_b32 s34, 1
	s_mov_b64 s[28:29], 0
	v_mov_b32_e32 v7, 0
.LBB1360_38:                            ; =>This Loop Header: Depth=1
                                        ;     Child Loop BB1360_39 Depth 2
	s_max_u32 s35, s34, 1
.LBB1360_39:                            ;   Parent Loop BB1360_38 Depth=1
                                        ; =>  This Inner Loop Header: Depth=2
	s_add_i32 s35, s35, -1
	s_cmp_eq_u32 s35, 0
	s_sleep 1
	s_cbranch_scc0 .LBB1360_39
; %bb.40:                               ;   in Loop: Header=BB1360_38 Depth=1
	global_load_dwordx2 v[12:13], v[10:11], off glc
	s_cmp_lt_u32 s34, 32
	s_cselect_b64 s[36:37], -1, 0
	s_cmp_lg_u64 s[36:37], 0
	s_addc_u32 s34, s34, 0
	s_waitcnt vmcnt(0)
	v_cmp_ne_u16_sdwa s[36:37], v13, v7 src0_sel:BYTE_0 src1_sel:DWORD
	s_or_b64 s[28:29], s[36:37], s[28:29]
	s_andn2_b64 exec, exec, s[28:29]
	s_cbranch_execnz .LBB1360_38
; %bb.41:
	s_or_b64 exec, exec, s[28:29]
.LBB1360_42:
	s_or_b64 exec, exec, s[26:27]
	v_and_b32_e32 v26, 63, v9
	v_mov_b32_e32 v7, 2
	v_cmp_ne_u32_e32 vcc, 63, v26
	v_cmp_eq_u16_sdwa s[26:27], v13, v7 src0_sel:BYTE_0 src1_sel:DWORD
	v_lshlrev_b64 v[10:11], v9, -1
	v_addc_co_u32_e32 v27, vcc, 0, v9, vcc
	v_and_b32_e32 v14, s27, v11
	v_lshlrev_b32_e32 v27, 2, v27
	v_or_b32_e32 v14, 0x80000000, v14
	ds_bpermute_b32 v28, v27, v12
	v_and_b32_e32 v15, s26, v10
	v_ffbl_b32_e32 v14, v14
	v_add_u32_e32 v14, 32, v14
	v_ffbl_b32_e32 v15, v15
	v_min_u32_e32 v14, v15, v14
	v_cmp_lt_u32_e32 vcc, v26, v14
	s_waitcnt lgkmcnt(0)
	v_cndmask_b32_e32 v15, 0, v28, vcc
	v_cmp_gt_u32_e32 vcc, 62, v26
	v_add_u32_e32 v12, v15, v12
	v_cndmask_b32_e64 v15, 0, 1, vcc
	v_lshlrev_b32_e32 v15, 1, v15
	v_add_lshl_u32 v28, v15, v9, 2
	ds_bpermute_b32 v15, v28, v12
	v_add_u32_e32 v29, 2, v26
	v_cmp_le_u32_e32 vcc, v29, v14
	v_add_u32_e32 v31, 4, v26
	v_add_u32_e32 v33, 8, v26
	s_waitcnt lgkmcnt(0)
	v_cndmask_b32_e32 v15, 0, v15, vcc
	v_cmp_gt_u32_e32 vcc, 60, v26
	v_add_u32_e32 v12, v12, v15
	v_cndmask_b32_e64 v15, 0, 1, vcc
	v_lshlrev_b32_e32 v15, 2, v15
	v_add_lshl_u32 v30, v15, v9, 2
	ds_bpermute_b32 v15, v30, v12
	v_cmp_le_u32_e32 vcc, v31, v14
	v_add_u32_e32 v36, 16, v26
	v_add_u32_e32 v38, 32, v26
	s_waitcnt lgkmcnt(0)
	v_cndmask_b32_e32 v15, 0, v15, vcc
	v_cmp_gt_u32_e32 vcc, 56, v26
	v_add_u32_e32 v12, v12, v15
	v_cndmask_b32_e64 v15, 0, 1, vcc
	v_lshlrev_b32_e32 v15, 3, v15
	v_add_lshl_u32 v32, v15, v9, 2
	ds_bpermute_b32 v15, v32, v12
	v_cmp_le_u32_e32 vcc, v33, v14
	s_waitcnt lgkmcnt(0)
	v_cndmask_b32_e32 v15, 0, v15, vcc
	v_cmp_gt_u32_e32 vcc, 48, v26
	v_add_u32_e32 v12, v12, v15
	v_cndmask_b32_e64 v15, 0, 1, vcc
	v_lshlrev_b32_e32 v15, 4, v15
	v_add_lshl_u32 v35, v15, v9, 2
	ds_bpermute_b32 v15, v35, v12
	v_cmp_le_u32_e32 vcc, v36, v14
	;; [unrolled: 9-line block ×3, first 2 shown]
	s_waitcnt lgkmcnt(0)
	v_cndmask_b32_e32 v9, 0, v9, vcc
	v_add_u32_e32 v12, v12, v9
	v_mov_b32_e32 v9, 0
	s_branch .LBB1360_44
.LBB1360_43:                            ;   in Loop: Header=BB1360_44 Depth=1
	s_or_b64 exec, exec, s[26:27]
	v_cmp_eq_u16_sdwa s[26:27], v13, v7 src0_sel:BYTE_0 src1_sel:DWORD
	v_and_b32_e32 v14, s27, v11
	v_or_b32_e32 v14, 0x80000000, v14
	ds_bpermute_b32 v39, v27, v12
	v_and_b32_e32 v15, s26, v10
	v_ffbl_b32_e32 v14, v14
	v_add_u32_e32 v14, 32, v14
	v_ffbl_b32_e32 v15, v15
	v_min_u32_e32 v14, v15, v14
	v_cmp_lt_u32_e32 vcc, v26, v14
	s_waitcnt lgkmcnt(0)
	v_cndmask_b32_e32 v15, 0, v39, vcc
	v_add_u32_e32 v12, v15, v12
	ds_bpermute_b32 v15, v28, v12
	v_cmp_le_u32_e32 vcc, v29, v14
	v_subrev_u32_e32 v8, 64, v8
	s_waitcnt lgkmcnt(0)
	v_cndmask_b32_e32 v15, 0, v15, vcc
	v_add_u32_e32 v12, v12, v15
	ds_bpermute_b32 v15, v30, v12
	v_cmp_le_u32_e32 vcc, v31, v14
	s_waitcnt lgkmcnt(0)
	v_cndmask_b32_e32 v15, 0, v15, vcc
	v_add_u32_e32 v12, v12, v15
	ds_bpermute_b32 v15, v32, v12
	v_cmp_le_u32_e32 vcc, v33, v14
	;; [unrolled: 5-line block ×4, first 2 shown]
	s_waitcnt lgkmcnt(0)
	v_cndmask_b32_e32 v14, 0, v15, vcc
	v_add3_u32 v12, v14, v34, v12
.LBB1360_44:                            ; =>This Loop Header: Depth=1
                                        ;     Child Loop BB1360_47 Depth 2
                                        ;       Child Loop BB1360_48 Depth 3
	v_cmp_ne_u16_sdwa s[26:27], v13, v7 src0_sel:BYTE_0 src1_sel:DWORD
	v_cndmask_b32_e64 v13, 0, 1, s[26:27]
	;;#ASMSTART
	;;#ASMEND
	v_cmp_ne_u32_e32 vcc, 0, v13
	s_cmp_lg_u64 vcc, exec
	v_mov_b32_e32 v34, v12
	s_cbranch_scc1 .LBB1360_51
; %bb.45:                               ;   in Loop: Header=BB1360_44 Depth=1
	v_lshlrev_b64 v[12:13], 3, v[8:9]
	v_mov_b32_e32 v15, s7
	v_add_co_u32_e32 v14, vcc, s6, v12
	v_addc_co_u32_e32 v15, vcc, v15, v13, vcc
	global_load_dwordx2 v[12:13], v[14:15], off glc
	s_waitcnt vmcnt(0)
	v_cmp_eq_u16_sdwa s[28:29], v13, v9 src0_sel:BYTE_0 src1_sel:DWORD
	s_and_saveexec_b64 s[26:27], s[28:29]
	s_cbranch_execz .LBB1360_43
; %bb.46:                               ;   in Loop: Header=BB1360_44 Depth=1
	s_mov_b32 s34, 1
	s_mov_b64 s[28:29], 0
.LBB1360_47:                            ;   Parent Loop BB1360_44 Depth=1
                                        ; =>  This Loop Header: Depth=2
                                        ;       Child Loop BB1360_48 Depth 3
	s_max_u32 s35, s34, 1
.LBB1360_48:                            ;   Parent Loop BB1360_44 Depth=1
                                        ;     Parent Loop BB1360_47 Depth=2
                                        ; =>    This Inner Loop Header: Depth=3
	s_add_i32 s35, s35, -1
	s_cmp_eq_u32 s35, 0
	s_sleep 1
	s_cbranch_scc0 .LBB1360_48
; %bb.49:                               ;   in Loop: Header=BB1360_47 Depth=2
	global_load_dwordx2 v[12:13], v[14:15], off glc
	s_cmp_lt_u32 s34, 32
	s_cselect_b64 s[36:37], -1, 0
	s_cmp_lg_u64 s[36:37], 0
	s_addc_u32 s34, s34, 0
	s_waitcnt vmcnt(0)
	v_cmp_ne_u16_sdwa s[36:37], v13, v9 src0_sel:BYTE_0 src1_sel:DWORD
	s_or_b64 s[28:29], s[36:37], s[28:29]
	s_andn2_b64 exec, exec, s[28:29]
	s_cbranch_execnz .LBB1360_47
; %bb.50:                               ;   in Loop: Header=BB1360_44 Depth=1
	s_or_b64 exec, exec, s[28:29]
	s_branch .LBB1360_43
.LBB1360_51:                            ;   in Loop: Header=BB1360_44 Depth=1
                                        ; implicit-def: $vgpr12
                                        ; implicit-def: $vgpr13
	s_cbranch_execz .LBB1360_44
; %bb.52:
	s_and_saveexec_b64 s[26:27], s[4:5]
	s_cbranch_execz .LBB1360_54
; %bb.53:
	s_add_i32 s4, s33, 64
	s_mov_b32 s5, 0
	s_lshl_b64 s[4:5], s[4:5], 3
	s_add_u32 s4, s6, s4
	v_add_u32_e32 v6, v34, v6
	v_mov_b32_e32 v7, 2
	s_addc_u32 s5, s7, s5
	v_mov_b32_e32 v8, 0
	global_store_dwordx2 v8, v[6:7], s[4:5]
.LBB1360_54:
	s_or_b64 exec, exec, s[26:27]
	s_and_b64 exec, exec, s[2:3]
	s_cbranch_execz .LBB1360_56
; %bb.55:
	v_mov_b32_e32 v6, 0
	ds_write_b32 v6, v34
.LBB1360_56:
	s_or_b64 exec, exec, s[24:25]
	v_mov_b32_e32 v6, 0
	s_waitcnt lgkmcnt(0)
	s_barrier
	ds_read_b32 v6, v6
	s_waitcnt lgkmcnt(0)
	v_add3_u32 v6, v25, v2, v6
	v_add_u32_e32 v7, v6, v3
	v_add_u32_e32 v8, v7, v4
	;; [unrolled: 1-line block ×9, first 2 shown]
	s_branch .LBB1360_69
.LBB1360_57:
                                        ; implicit-def: $vgpr6_vgpr7_vgpr8_vgpr9_vgpr10_vgpr11_vgpr12_vgpr13_vgpr14_vgpr15
	s_cbranch_execz .LBB1360_69
; %bb.58:
	s_cmp_lg_u64 s[12:13], 0
	s_cselect_b64 s[4:5], -1, 0
	s_and_b64 s[12:13], s[2:3], s[4:5]
	v_mov_b32_e32 v12, v3
	v_mov_b32_e32 v13, v4
	;; [unrolled: 1-line block ×3, first 2 shown]
	s_and_saveexec_b64 s[4:5], s[12:13]
	s_cbranch_execz .LBB1360_60
; %bb.59:
	v_mov_b32_e32 v6, 0
	global_load_dword v6, v6, s[8:9]
	v_mov_b32_e32 v12, v3
	v_mov_b32_e32 v13, v4
	;; [unrolled: 1-line block ×3, first 2 shown]
	s_waitcnt vmcnt(0)
	v_add_u32_e32 v2, v6, v2
.LBB1360_60:
	s_or_b64 exec, exec, s[4:5]
	v_add_u32_e32 v3, v12, v2
	v_add_u32_e32 v4, v3, v13
	;; [unrolled: 1-line block ×9, first 2 shown]
	v_add_lshl_u32 v15, v24, v0, 2
	v_cmp_gt_u32_e32 vcc, 64, v0
	ds_write_b32 v15, v11
	s_waitcnt lgkmcnt(0)
	s_barrier
	s_and_saveexec_b64 s[4:5], vcc
	s_cbranch_execz .LBB1360_62
; %bb.61:
	v_lshlrev_b32_e32 v15, 1, v0
	v_lshrrev_b32_e32 v24, 4, v0
	v_add_lshl_u32 v15, v24, v15, 2
	ds_read2_b32 v[24:25], v15 offset1:1
	v_mbcnt_lo_u32_b32 v26, -1, 0
	v_mbcnt_hi_u32_b32 v26, -1, v26
	v_and_b32_e32 v27, 15, v26
	v_cmp_ne_u32_e32 vcc, 0, v27
	s_waitcnt lgkmcnt(0)
	v_add_u32_e32 v25, v25, v24
	; wave barrier
	s_nop 1
	v_mov_b32_dpp v28, v25 row_shr:1 row_mask:0xf bank_mask:0xf
	v_cndmask_b32_e32 v28, 0, v28, vcc
	v_add_u32_e32 v25, v28, v25
	v_cmp_lt_u32_e32 vcc, 1, v27
	s_nop 0
	v_mov_b32_dpp v28, v25 row_shr:2 row_mask:0xf bank_mask:0xf
	v_cndmask_b32_e32 v28, 0, v28, vcc
	v_add_u32_e32 v25, v25, v28
	v_cmp_lt_u32_e32 vcc, 3, v27
	;; [unrolled: 5-line block ×3, first 2 shown]
	s_nop 0
	v_mov_b32_dpp v28, v25 row_shr:8 row_mask:0xf bank_mask:0xf
	v_cndmask_b32_e32 v27, 0, v28, vcc
	v_add_u32_e32 v25, v25, v27
	v_bfe_i32 v28, v26, 4, 1
	v_cmp_lt_u32_e32 vcc, 31, v26
	v_mov_b32_dpp v27, v25 row_bcast:15 row_mask:0xf bank_mask:0xf
	v_and_b32_e32 v27, v28, v27
	v_add_u32_e32 v25, v25, v27
	v_and_b32_e32 v28, 64, v26
	s_nop 0
	v_mov_b32_dpp v27, v25 row_bcast:31 row_mask:0xf bank_mask:0xf
	v_cndmask_b32_e32 v27, 0, v27, vcc
	v_add_u32_e32 v25, v25, v27
	v_add_u32_e32 v27, -1, v26
	v_cmp_lt_i32_e32 vcc, v27, v28
	v_cndmask_b32_e32 v26, v27, v26, vcc
	v_lshlrev_b32_e32 v26, 2, v26
	ds_bpermute_b32 v25, v26, v25
	s_waitcnt lgkmcnt(0)
	v_add_u32_e32 v24, v25, v24
	v_cndmask_b32_e64 v24, v24, v11, s[2:3]
	ds_write_b32 v15, v24
	; wave barrier
	ds_read_b32 v25, v15 offset:4
	s_waitcnt lgkmcnt(0)
	v_add_u32_e32 v24, v25, v24
	ds_write_b32 v15, v24 offset:4
.LBB1360_62:
	s_or_b64 exec, exec, s[4:5]
	v_mov_b32_e32 v15, v11
	s_waitcnt lgkmcnt(0)
	s_barrier
	s_and_saveexec_b64 s[2:3], s[0:1]
	s_cbranch_execz .LBB1360_64
; %bb.63:
	v_add_u32_e32 v15, -1, v0
	v_lshrrev_b32_e32 v24, 5, v15
	v_add_lshl_u32 v15, v24, v15, 2
	ds_read_b32 v15, v15
.LBB1360_64:
	s_or_b64 exec, exec, s[2:3]
	s_and_saveexec_b64 s[2:3], s[0:1]
	s_cbranch_execz .LBB1360_66
; %bb.65:
	s_waitcnt lgkmcnt(0)
	v_add_u32_e32 v2, v15, v2
	v_add_u32_e32 v3, v2, v12
	;; [unrolled: 1-line block ×10, first 2 shown]
	;;#ASMSTART
	;;#ASMEND
.LBB1360_66:
	s_or_b64 exec, exec, s[2:3]
	s_movk_i32 s0, 0x7f
	v_cmp_eq_u32_e32 vcc, s0, v0
	s_and_saveexec_b64 s[0:1], vcc
	s_cbranch_execz .LBB1360_68
; %bb.67:
	v_mov_b32_e32 v14, 0
	v_mov_b32_e32 v13, 2
	;; [unrolled: 1-line block ×3, first 2 shown]
	global_store_dwordx2 v14, v[12:13], s[6:7] offset:512
.LBB1360_68:
	s_or_b64 exec, exec, s[0:1]
	s_waitcnt lgkmcnt(0)
	v_pk_mov_b32 v[14:15], v[10:11], v[10:11] op_sel:[0,1]
	v_pk_mov_b32 v[12:13], v[8:9], v[8:9] op_sel:[0,1]
	;; [unrolled: 1-line block ×5, first 2 shown]
.LBB1360_69:
	s_add_u32 s0, s20, s18
	s_addc_u32 s1, s21, s19
	s_add_u32 s2, s0, s22
	s_addc_u32 s3, s1, s23
	s_mov_b64 s[0:1], -1
	s_and_b64 vcc, exec, s[16:17]
	s_barrier
	s_cbranch_vccz .LBB1360_71
; %bb.70:
	ds_write2_b64 v1, v[6:7], v[8:9] offset1:1
	ds_write2_b64 v1, v[10:11], v[12:13] offset0:2 offset1:3
	ds_write_b64 v1, v[14:15] offset:32
	s_waitcnt lgkmcnt(0)
	s_barrier
	ds_read2st64_b32 v[2:3], v22 offset1:2
	ds_read2st64_b32 v[4:5], v22 offset0:4 offset1:6
	ds_read2st64_b32 v[16:17], v22 offset0:8 offset1:10
	;; [unrolled: 1-line block ×4, first 2 shown]
	v_mov_b32_e32 v25, s3
	v_add_co_u32_e32 v24, vcc, s2, v22
	v_addc_co_u32_e32 v25, vcc, 0, v25, vcc
	s_waitcnt lgkmcnt(4)
	flat_store_dword v[24:25], v2
	flat_store_dword v[24:25], v3 offset:512
	s_waitcnt lgkmcnt(0)
	flat_store_dword v[24:25], v4 offset:1024
	flat_store_dword v[24:25], v5 offset:1536
	flat_store_dword v[24:25], v16 offset:2048
	flat_store_dword v[24:25], v17 offset:2560
	flat_store_dword v[24:25], v18 offset:3072
	flat_store_dword v[24:25], v19 offset:3584
	v_add_co_u32_e32 v2, vcc, 0x1000, v24
	v_addc_co_u32_e32 v3, vcc, 0, v25, vcc
	flat_store_dword v[2:3], v20
	flat_store_dword v[2:3], v21 offset:512
	s_mov_b64 s[0:1], 0
.LBB1360_71:
	s_andn2_b64 vcc, exec, s[0:1]
	s_cbranch_vccnz .LBB1360_127
; %bb.72:
	ds_write2_b64 v1, v[6:7], v[8:9] offset1:1
	ds_write2_b64 v1, v[10:11], v[12:13] offset0:2 offset1:3
	ds_write_b64 v1, v[14:15] offset:32
	s_waitcnt lgkmcnt(0)
	s_barrier
	ds_read2st64_b32 v[2:3], v22 offset1:2
	ds_read2st64_b32 v[6:7], v22 offset0:4 offset1:6
	ds_read2st64_b32 v[4:5], v22 offset0:8 offset1:10
	ds_read2st64_b32 v[8:9], v22 offset0:12 offset1:14
	ds_read2st64_b32 v[10:11], v22 offset0:16 offset1:18
	v_mov_b32_e32 v13, s3
	v_add_co_u32_e32 v12, vcc, s2, v22
	v_addc_co_u32_e32 v13, vcc, 0, v13, vcc
	v_mov_b32_e32 v1, 0
	v_cmp_gt_u32_e32 vcc, s30, v0
	s_and_saveexec_b64 s[0:1], vcc
	s_cbranch_execz .LBB1360_74
; %bb.73:
	s_waitcnt lgkmcnt(0)
	flat_store_dword v[12:13], v2
.LBB1360_74:
	s_or_b64 exec, exec, s[0:1]
	v_or_b32_e32 v14, 0x80, v0
	v_cmp_gt_u32_e32 vcc, s30, v14
	s_and_saveexec_b64 s[0:1], vcc
	s_cbranch_execz .LBB1360_76
; %bb.75:
	s_waitcnt lgkmcnt(0)
	flat_store_dword v[12:13], v3 offset:512
.LBB1360_76:
	s_or_b64 exec, exec, s[0:1]
	v_or_b32_e32 v14, 0x100, v0
	v_cmp_gt_u32_e32 vcc, s30, v14
	s_and_saveexec_b64 s[0:1], vcc
	s_cbranch_execz .LBB1360_78
; %bb.77:
	s_waitcnt lgkmcnt(0)
	flat_store_dword v[12:13], v6 offset:1024
.LBB1360_78:
	;; [unrolled: 9-line block ×7, first 2 shown]
	s_or_b64 exec, exec, s[0:1]
	v_or_b32_e32 v14, 0x400, v0
	v_cmp_gt_u32_e32 vcc, s30, v14
	s_and_saveexec_b64 s[0:1], vcc
	s_cbranch_execz .LBB1360_90
; %bb.89:
	v_add_co_u32_e32 v14, vcc, 0x1000, v12
	v_addc_co_u32_e32 v15, vcc, 0, v13, vcc
	s_waitcnt lgkmcnt(0)
	flat_store_dword v[14:15], v10
.LBB1360_90:
	s_or_b64 exec, exec, s[0:1]
	v_or_b32_e32 v14, 0x480, v0
	v_cmp_gt_u32_e32 vcc, s30, v14
	s_and_saveexec_b64 s[0:1], vcc
	s_cbranch_execz .LBB1360_92
; %bb.91:
	v_add_co_u32_e32 v12, vcc, 0x1000, v12
	v_addc_co_u32_e32 v13, vcc, 0, v13, vcc
	s_waitcnt lgkmcnt(0)
	flat_store_dword v[12:13], v11 offset:512
.LBB1360_92:
	s_or_b64 exec, exec, s[0:1]
	v_cmp_lt_u64_e64 s[0:1], s[14:15], 2
	s_and_b64 vcc, exec, s[0:1]
	s_cbranch_vccnz .LBB1360_127
; %bb.93:
	s_add_u32 s0, s30, -1
	s_addc_u32 s1, s31, -1
	s_add_u32 s2, 0, 0x99986000
	s_addc_u32 s3, 0, 0x59
	s_add_i32 s3, s3, 0x19999940
	s_mul_hi_u32 s7, s2, -10
	s_sub_i32 s7, s7, s2
	s_mul_i32 s8, s3, -10
	s_mul_i32 s4, s2, -10
	s_add_i32 s7, s7, s8
	s_mul_hi_u32 s5, s3, s4
	s_mul_i32 s6, s3, s4
	s_mul_i32 s9, s2, s7
	s_mul_hi_u32 s4, s2, s4
	s_mul_hi_u32 s8, s2, s7
	s_add_u32 s4, s4, s9
	s_addc_u32 s8, 0, s8
	s_add_u32 s4, s4, s6
	s_mul_hi_u32 s9, s3, s7
	s_addc_u32 s4, s8, s5
	s_addc_u32 s5, s9, 0
	s_mul_i32 s6, s3, s7
	s_add_u32 s4, s4, s6
	v_mov_b32_e32 v12, s4
	s_addc_u32 s5, 0, s5
	v_add_co_u32_e32 v12, vcc, s2, v12
	s_cmp_lg_u64 vcc, 0
	s_addc_u32 s2, s3, s5
	v_readfirstlane_b32 s5, v12
	s_mul_i32 s4, s0, s2
	s_mul_hi_u32 s6, s0, s5
	s_mul_hi_u32 s3, s0, s2
	s_add_u32 s4, s6, s4
	s_addc_u32 s3, 0, s3
	s_mul_hi_u32 s7, s1, s5
	s_mul_i32 s5, s1, s5
	s_add_u32 s4, s4, s5
	s_mul_hi_u32 s6, s1, s2
	s_addc_u32 s3, s3, s7
	s_addc_u32 s4, s6, 0
	s_mul_i32 s2, s1, s2
	s_add_u32 s2, s3, s2
	s_addc_u32 s3, 0, s4
	s_add_u32 s4, s2, 1
	s_addc_u32 s5, s3, 0
	s_add_u32 s6, s2, 2
	s_mul_i32 s8, s3, 10
	s_mul_hi_u32 s9, s2, 10
	s_addc_u32 s7, s3, 0
	s_add_i32 s9, s9, s8
	s_mul_i32 s8, s2, 10
	v_mov_b32_e32 v12, s8
	v_sub_co_u32_e32 v12, vcc, s0, v12
	s_cmp_lg_u64 vcc, 0
	s_subb_u32 s8, s1, s9
	v_subrev_co_u32_e32 v13, vcc, 10, v12
	s_cmp_lg_u64 vcc, 0
	s_subb_u32 s9, s8, 0
	v_readfirstlane_b32 s12, v13
	s_cmp_gt_u32 s12, 9
	s_cselect_b32 s12, -1, 0
	s_cmp_eq_u32 s9, 0
	s_cselect_b32 s9, s12, -1
	s_cmp_lg_u32 s9, 0
	s_cselect_b32 s4, s6, s4
	v_readfirstlane_b32 s6, v12
	s_cselect_b32 s5, s7, s5
	s_cmp_gt_u32 s6, 9
	s_cselect_b32 s6, -1, 0
	s_cmp_eq_u32 s8, 0
	s_cselect_b32 s6, s6, -1
	s_cmp_lg_u32 s6, 0
	s_cselect_b32 s3, s5, s3
	s_cselect_b32 s2, s4, s2
	v_cmp_eq_u64_e32 vcc, s[2:3], v[0:1]
	s_and_saveexec_b64 s[2:3], vcc
	s_cbranch_execz .LBB1360_127
; %bb.94:
	v_mul_hi_u32_u24_e32 v1, 10, v0
	v_mov_b32_e32 v12, s1
	v_sub_co_u32_e32 v0, vcc, s0, v23
	v_subb_co_u32_e32 v1, vcc, v12, v1, vcc
	v_cmp_lt_i64_e32 vcc, 4, v[0:1]
	s_and_saveexec_b64 s[0:1], vcc
	s_xor_b64 s[0:1], exec, s[0:1]
	s_cbranch_execz .LBB1360_112
; %bb.95:
	v_cmp_lt_i64_e32 vcc, 6, v[0:1]
	s_and_saveexec_b64 s[2:3], vcc
	s_xor_b64 s[2:3], exec, s[2:3]
	s_cbranch_execz .LBB1360_105
; %bb.96:
	;; [unrolled: 5-line block ×4, first 2 shown]
	v_mov_b32_e32 v0, 0
	s_waitcnt lgkmcnt(0)
	global_store_dword v0, v11, s[10:11]
                                        ; implicit-def: $vgpr10_vgpr11
.LBB1360_99:
	s_andn2_saveexec_b64 s[6:7], s[6:7]
	s_cbranch_execz .LBB1360_101
; %bb.100:
	v_mov_b32_e32 v0, 0
	s_waitcnt lgkmcnt(0)
	global_store_dword v0, v10, s[10:11]
.LBB1360_101:
	s_or_b64 exec, exec, s[6:7]
                                        ; implicit-def: $vgpr8_vgpr9
.LBB1360_102:
	s_andn2_saveexec_b64 s[4:5], s[4:5]
	s_cbranch_execz .LBB1360_104
; %bb.103:
	v_mov_b32_e32 v0, 0
	s_waitcnt lgkmcnt(0)
	global_store_dword v0, v9, s[10:11]
.LBB1360_104:
	s_or_b64 exec, exec, s[4:5]
                                        ; implicit-def: $vgpr4_vgpr5
                                        ; implicit-def: $vgpr0_vgpr1
                                        ; implicit-def: $vgpr8_vgpr9
.LBB1360_105:
	s_andn2_saveexec_b64 s[2:3], s[2:3]
	s_cbranch_execz .LBB1360_111
; %bb.106:
	v_cmp_lt_i64_e32 vcc, 5, v[0:1]
	s_and_saveexec_b64 s[4:5], vcc
	s_xor_b64 s[4:5], exec, s[4:5]
	s_cbranch_execz .LBB1360_108
; %bb.107:
	v_mov_b32_e32 v0, 0
	s_waitcnt lgkmcnt(0)
	global_store_dword v0, v8, s[10:11]
                                        ; implicit-def: $vgpr4_vgpr5
.LBB1360_108:
	s_andn2_saveexec_b64 s[4:5], s[4:5]
	s_cbranch_execz .LBB1360_110
; %bb.109:
	v_mov_b32_e32 v0, 0
	s_waitcnt lgkmcnt(0)
	global_store_dword v0, v5, s[10:11]
.LBB1360_110:
	s_or_b64 exec, exec, s[4:5]
.LBB1360_111:
	s_or_b64 exec, exec, s[2:3]
                                        ; implicit-def: $vgpr0_vgpr1
                                        ; implicit-def: $vgpr6_vgpr7
                                        ; implicit-def: $vgpr2_vgpr3
                                        ; implicit-def: $vgpr4_vgpr5
.LBB1360_112:
	s_andn2_saveexec_b64 s[0:1], s[0:1]
	s_cbranch_execz .LBB1360_127
; %bb.113:
	v_cmp_lt_i64_e32 vcc, 2, v[0:1]
	s_and_saveexec_b64 s[0:1], vcc
	s_xor_b64 s[0:1], exec, s[0:1]
	s_cbranch_execz .LBB1360_119
; %bb.114:
	v_cmp_lt_i64_e32 vcc, 3, v[0:1]
	s_and_saveexec_b64 s[2:3], vcc
	s_xor_b64 s[2:3], exec, s[2:3]
	s_cbranch_execz .LBB1360_116
; %bb.115:
	v_mov_b32_e32 v0, 0
	s_waitcnt lgkmcnt(0)
	global_store_dword v0, v4, s[10:11]
                                        ; implicit-def: $vgpr6_vgpr7
.LBB1360_116:
	s_andn2_saveexec_b64 s[2:3], s[2:3]
	s_cbranch_execz .LBB1360_118
; %bb.117:
	v_mov_b32_e32 v0, 0
	s_waitcnt lgkmcnt(0)
	global_store_dword v0, v7, s[10:11]
.LBB1360_118:
	s_or_b64 exec, exec, s[2:3]
                                        ; implicit-def: $vgpr0_vgpr1
                                        ; implicit-def: $vgpr6_vgpr7
                                        ; implicit-def: $vgpr2_vgpr3
.LBB1360_119:
	s_andn2_saveexec_b64 s[0:1], s[0:1]
	s_cbranch_execz .LBB1360_127
; %bb.120:
	v_cmp_lt_i64_e32 vcc, 1, v[0:1]
	s_and_saveexec_b64 s[0:1], vcc
	s_xor_b64 s[0:1], exec, s[0:1]
	s_cbranch_execz .LBB1360_122
; %bb.121:
	v_mov_b32_e32 v0, 0
	s_waitcnt lgkmcnt(0)
	global_store_dword v0, v6, s[10:11]
                                        ; implicit-def: $vgpr2_vgpr3
                                        ; implicit-def: $vgpr0_vgpr1
.LBB1360_122:
	s_andn2_saveexec_b64 s[0:1], s[0:1]
	s_cbranch_execz .LBB1360_127
; %bb.123:
	v_cmp_ne_u64_e32 vcc, 1, v[0:1]
	s_and_saveexec_b64 s[0:1], vcc
	s_xor_b64 s[0:1], exec, s[0:1]
	s_cbranch_execz .LBB1360_125
; %bb.124:
	v_mov_b32_e32 v0, 0
	s_waitcnt lgkmcnt(0)
	global_store_dword v0, v2, s[10:11]
                                        ; implicit-def: $vgpr2_vgpr3
.LBB1360_125:
	s_andn2_saveexec_b64 s[0:1], s[0:1]
	s_cbranch_execz .LBB1360_127
; %bb.126:
	v_mov_b32_e32 v0, 0
	s_waitcnt lgkmcnt(0)
	global_store_dword v0, v3, s[10:11]
.LBB1360_127:
	s_endpgm
	.section	.rodata,"a",@progbits
	.p2align	6, 0x0
	.amdhsa_kernel _ZN7rocprim17ROCPRIM_400000_NS6detail17trampoline_kernelINS0_14default_configENS1_20scan_config_selectorIiEEZZNS1_9scan_implILNS1_25lookback_scan_determinismE0ELb0ELb0ES3_N6thrust23THRUST_200600_302600_NS6detail15normal_iteratorINS9_10device_ptrIiEEEESE_iNS9_4plusIvEEiEEDaPvRmT3_T4_T5_mT6_P12ihipStream_tbENKUlT_T0_E_clISt17integral_constantIbLb1EESU_EEDaSP_SQ_EUlSP_E_NS1_11comp_targetILNS1_3genE4ELNS1_11target_archE910ELNS1_3gpuE8ELNS1_3repE0EEENS1_30default_config_static_selectorELNS0_4arch9wavefront6targetE1EEEvT1_
		.amdhsa_group_segment_fixed_size 5120
		.amdhsa_private_segment_fixed_size 0
		.amdhsa_kernarg_size 96
		.amdhsa_user_sgpr_count 6
		.amdhsa_user_sgpr_private_segment_buffer 1
		.amdhsa_user_sgpr_dispatch_ptr 0
		.amdhsa_user_sgpr_queue_ptr 0
		.amdhsa_user_sgpr_kernarg_segment_ptr 1
		.amdhsa_user_sgpr_dispatch_id 0
		.amdhsa_user_sgpr_flat_scratch_init 0
		.amdhsa_user_sgpr_kernarg_preload_length 0
		.amdhsa_user_sgpr_kernarg_preload_offset 0
		.amdhsa_user_sgpr_private_segment_size 0
		.amdhsa_uses_dynamic_stack 0
		.amdhsa_system_sgpr_private_segment_wavefront_offset 0
		.amdhsa_system_sgpr_workgroup_id_x 1
		.amdhsa_system_sgpr_workgroup_id_y 0
		.amdhsa_system_sgpr_workgroup_id_z 0
		.amdhsa_system_sgpr_workgroup_info 0
		.amdhsa_system_vgpr_workitem_id 0
		.amdhsa_next_free_vgpr 40
		.amdhsa_next_free_sgpr 38
		.amdhsa_accum_offset 40
		.amdhsa_reserve_vcc 1
		.amdhsa_reserve_flat_scratch 0
		.amdhsa_float_round_mode_32 0
		.amdhsa_float_round_mode_16_64 0
		.amdhsa_float_denorm_mode_32 3
		.amdhsa_float_denorm_mode_16_64 3
		.amdhsa_dx10_clamp 1
		.amdhsa_ieee_mode 1
		.amdhsa_fp16_overflow 0
		.amdhsa_tg_split 0
		.amdhsa_exception_fp_ieee_invalid_op 0
		.amdhsa_exception_fp_denorm_src 0
		.amdhsa_exception_fp_ieee_div_zero 0
		.amdhsa_exception_fp_ieee_overflow 0
		.amdhsa_exception_fp_ieee_underflow 0
		.amdhsa_exception_fp_ieee_inexact 0
		.amdhsa_exception_int_div_zero 0
	.end_amdhsa_kernel
	.section	.text._ZN7rocprim17ROCPRIM_400000_NS6detail17trampoline_kernelINS0_14default_configENS1_20scan_config_selectorIiEEZZNS1_9scan_implILNS1_25lookback_scan_determinismE0ELb0ELb0ES3_N6thrust23THRUST_200600_302600_NS6detail15normal_iteratorINS9_10device_ptrIiEEEESE_iNS9_4plusIvEEiEEDaPvRmT3_T4_T5_mT6_P12ihipStream_tbENKUlT_T0_E_clISt17integral_constantIbLb1EESU_EEDaSP_SQ_EUlSP_E_NS1_11comp_targetILNS1_3genE4ELNS1_11target_archE910ELNS1_3gpuE8ELNS1_3repE0EEENS1_30default_config_static_selectorELNS0_4arch9wavefront6targetE1EEEvT1_,"axG",@progbits,_ZN7rocprim17ROCPRIM_400000_NS6detail17trampoline_kernelINS0_14default_configENS1_20scan_config_selectorIiEEZZNS1_9scan_implILNS1_25lookback_scan_determinismE0ELb0ELb0ES3_N6thrust23THRUST_200600_302600_NS6detail15normal_iteratorINS9_10device_ptrIiEEEESE_iNS9_4plusIvEEiEEDaPvRmT3_T4_T5_mT6_P12ihipStream_tbENKUlT_T0_E_clISt17integral_constantIbLb1EESU_EEDaSP_SQ_EUlSP_E_NS1_11comp_targetILNS1_3genE4ELNS1_11target_archE910ELNS1_3gpuE8ELNS1_3repE0EEENS1_30default_config_static_selectorELNS0_4arch9wavefront6targetE1EEEvT1_,comdat
.Lfunc_end1360:
	.size	_ZN7rocprim17ROCPRIM_400000_NS6detail17trampoline_kernelINS0_14default_configENS1_20scan_config_selectorIiEEZZNS1_9scan_implILNS1_25lookback_scan_determinismE0ELb0ELb0ES3_N6thrust23THRUST_200600_302600_NS6detail15normal_iteratorINS9_10device_ptrIiEEEESE_iNS9_4plusIvEEiEEDaPvRmT3_T4_T5_mT6_P12ihipStream_tbENKUlT_T0_E_clISt17integral_constantIbLb1EESU_EEDaSP_SQ_EUlSP_E_NS1_11comp_targetILNS1_3genE4ELNS1_11target_archE910ELNS1_3gpuE8ELNS1_3repE0EEENS1_30default_config_static_selectorELNS0_4arch9wavefront6targetE1EEEvT1_, .Lfunc_end1360-_ZN7rocprim17ROCPRIM_400000_NS6detail17trampoline_kernelINS0_14default_configENS1_20scan_config_selectorIiEEZZNS1_9scan_implILNS1_25lookback_scan_determinismE0ELb0ELb0ES3_N6thrust23THRUST_200600_302600_NS6detail15normal_iteratorINS9_10device_ptrIiEEEESE_iNS9_4plusIvEEiEEDaPvRmT3_T4_T5_mT6_P12ihipStream_tbENKUlT_T0_E_clISt17integral_constantIbLb1EESU_EEDaSP_SQ_EUlSP_E_NS1_11comp_targetILNS1_3genE4ELNS1_11target_archE910ELNS1_3gpuE8ELNS1_3repE0EEENS1_30default_config_static_selectorELNS0_4arch9wavefront6targetE1EEEvT1_
                                        ; -- End function
	.section	.AMDGPU.csdata,"",@progbits
; Kernel info:
; codeLenInByte = 4644
; NumSgprs: 42
; NumVgprs: 40
; NumAgprs: 0
; TotalNumVgprs: 40
; ScratchSize: 0
; MemoryBound: 0
; FloatMode: 240
; IeeeMode: 1
; LDSByteSize: 5120 bytes/workgroup (compile time only)
; SGPRBlocks: 5
; VGPRBlocks: 4
; NumSGPRsForWavesPerEU: 42
; NumVGPRsForWavesPerEU: 40
; AccumOffset: 40
; Occupancy: 6
; WaveLimiterHint : 1
; COMPUTE_PGM_RSRC2:SCRATCH_EN: 0
; COMPUTE_PGM_RSRC2:USER_SGPR: 6
; COMPUTE_PGM_RSRC2:TRAP_HANDLER: 0
; COMPUTE_PGM_RSRC2:TGID_X_EN: 1
; COMPUTE_PGM_RSRC2:TGID_Y_EN: 0
; COMPUTE_PGM_RSRC2:TGID_Z_EN: 0
; COMPUTE_PGM_RSRC2:TIDIG_COMP_CNT: 0
; COMPUTE_PGM_RSRC3_GFX90A:ACCUM_OFFSET: 9
; COMPUTE_PGM_RSRC3_GFX90A:TG_SPLIT: 0
	.section	.text._ZN7rocprim17ROCPRIM_400000_NS6detail17trampoline_kernelINS0_14default_configENS1_20scan_config_selectorIiEEZZNS1_9scan_implILNS1_25lookback_scan_determinismE0ELb0ELb0ES3_N6thrust23THRUST_200600_302600_NS6detail15normal_iteratorINS9_10device_ptrIiEEEESE_iNS9_4plusIvEEiEEDaPvRmT3_T4_T5_mT6_P12ihipStream_tbENKUlT_T0_E_clISt17integral_constantIbLb1EESU_EEDaSP_SQ_EUlSP_E_NS1_11comp_targetILNS1_3genE3ELNS1_11target_archE908ELNS1_3gpuE7ELNS1_3repE0EEENS1_30default_config_static_selectorELNS0_4arch9wavefront6targetE1EEEvT1_,"axG",@progbits,_ZN7rocprim17ROCPRIM_400000_NS6detail17trampoline_kernelINS0_14default_configENS1_20scan_config_selectorIiEEZZNS1_9scan_implILNS1_25lookback_scan_determinismE0ELb0ELb0ES3_N6thrust23THRUST_200600_302600_NS6detail15normal_iteratorINS9_10device_ptrIiEEEESE_iNS9_4plusIvEEiEEDaPvRmT3_T4_T5_mT6_P12ihipStream_tbENKUlT_T0_E_clISt17integral_constantIbLb1EESU_EEDaSP_SQ_EUlSP_E_NS1_11comp_targetILNS1_3genE3ELNS1_11target_archE908ELNS1_3gpuE7ELNS1_3repE0EEENS1_30default_config_static_selectorELNS0_4arch9wavefront6targetE1EEEvT1_,comdat
	.protected	_ZN7rocprim17ROCPRIM_400000_NS6detail17trampoline_kernelINS0_14default_configENS1_20scan_config_selectorIiEEZZNS1_9scan_implILNS1_25lookback_scan_determinismE0ELb0ELb0ES3_N6thrust23THRUST_200600_302600_NS6detail15normal_iteratorINS9_10device_ptrIiEEEESE_iNS9_4plusIvEEiEEDaPvRmT3_T4_T5_mT6_P12ihipStream_tbENKUlT_T0_E_clISt17integral_constantIbLb1EESU_EEDaSP_SQ_EUlSP_E_NS1_11comp_targetILNS1_3genE3ELNS1_11target_archE908ELNS1_3gpuE7ELNS1_3repE0EEENS1_30default_config_static_selectorELNS0_4arch9wavefront6targetE1EEEvT1_ ; -- Begin function _ZN7rocprim17ROCPRIM_400000_NS6detail17trampoline_kernelINS0_14default_configENS1_20scan_config_selectorIiEEZZNS1_9scan_implILNS1_25lookback_scan_determinismE0ELb0ELb0ES3_N6thrust23THRUST_200600_302600_NS6detail15normal_iteratorINS9_10device_ptrIiEEEESE_iNS9_4plusIvEEiEEDaPvRmT3_T4_T5_mT6_P12ihipStream_tbENKUlT_T0_E_clISt17integral_constantIbLb1EESU_EEDaSP_SQ_EUlSP_E_NS1_11comp_targetILNS1_3genE3ELNS1_11target_archE908ELNS1_3gpuE7ELNS1_3repE0EEENS1_30default_config_static_selectorELNS0_4arch9wavefront6targetE1EEEvT1_
	.globl	_ZN7rocprim17ROCPRIM_400000_NS6detail17trampoline_kernelINS0_14default_configENS1_20scan_config_selectorIiEEZZNS1_9scan_implILNS1_25lookback_scan_determinismE0ELb0ELb0ES3_N6thrust23THRUST_200600_302600_NS6detail15normal_iteratorINS9_10device_ptrIiEEEESE_iNS9_4plusIvEEiEEDaPvRmT3_T4_T5_mT6_P12ihipStream_tbENKUlT_T0_E_clISt17integral_constantIbLb1EESU_EEDaSP_SQ_EUlSP_E_NS1_11comp_targetILNS1_3genE3ELNS1_11target_archE908ELNS1_3gpuE7ELNS1_3repE0EEENS1_30default_config_static_selectorELNS0_4arch9wavefront6targetE1EEEvT1_
	.p2align	8
	.type	_ZN7rocprim17ROCPRIM_400000_NS6detail17trampoline_kernelINS0_14default_configENS1_20scan_config_selectorIiEEZZNS1_9scan_implILNS1_25lookback_scan_determinismE0ELb0ELb0ES3_N6thrust23THRUST_200600_302600_NS6detail15normal_iteratorINS9_10device_ptrIiEEEESE_iNS9_4plusIvEEiEEDaPvRmT3_T4_T5_mT6_P12ihipStream_tbENKUlT_T0_E_clISt17integral_constantIbLb1EESU_EEDaSP_SQ_EUlSP_E_NS1_11comp_targetILNS1_3genE3ELNS1_11target_archE908ELNS1_3gpuE7ELNS1_3repE0EEENS1_30default_config_static_selectorELNS0_4arch9wavefront6targetE1EEEvT1_,@function
_ZN7rocprim17ROCPRIM_400000_NS6detail17trampoline_kernelINS0_14default_configENS1_20scan_config_selectorIiEEZZNS1_9scan_implILNS1_25lookback_scan_determinismE0ELb0ELb0ES3_N6thrust23THRUST_200600_302600_NS6detail15normal_iteratorINS9_10device_ptrIiEEEESE_iNS9_4plusIvEEiEEDaPvRmT3_T4_T5_mT6_P12ihipStream_tbENKUlT_T0_E_clISt17integral_constantIbLb1EESU_EEDaSP_SQ_EUlSP_E_NS1_11comp_targetILNS1_3genE3ELNS1_11target_archE908ELNS1_3gpuE7ELNS1_3repE0EEENS1_30default_config_static_selectorELNS0_4arch9wavefront6targetE1EEEvT1_: ; @_ZN7rocprim17ROCPRIM_400000_NS6detail17trampoline_kernelINS0_14default_configENS1_20scan_config_selectorIiEEZZNS1_9scan_implILNS1_25lookback_scan_determinismE0ELb0ELb0ES3_N6thrust23THRUST_200600_302600_NS6detail15normal_iteratorINS9_10device_ptrIiEEEESE_iNS9_4plusIvEEiEEDaPvRmT3_T4_T5_mT6_P12ihipStream_tbENKUlT_T0_E_clISt17integral_constantIbLb1EESU_EEDaSP_SQ_EUlSP_E_NS1_11comp_targetILNS1_3genE3ELNS1_11target_archE908ELNS1_3gpuE7ELNS1_3repE0EEENS1_30default_config_static_selectorELNS0_4arch9wavefront6targetE1EEEvT1_
; %bb.0:
	.section	.rodata,"a",@progbits
	.p2align	6, 0x0
	.amdhsa_kernel _ZN7rocprim17ROCPRIM_400000_NS6detail17trampoline_kernelINS0_14default_configENS1_20scan_config_selectorIiEEZZNS1_9scan_implILNS1_25lookback_scan_determinismE0ELb0ELb0ES3_N6thrust23THRUST_200600_302600_NS6detail15normal_iteratorINS9_10device_ptrIiEEEESE_iNS9_4plusIvEEiEEDaPvRmT3_T4_T5_mT6_P12ihipStream_tbENKUlT_T0_E_clISt17integral_constantIbLb1EESU_EEDaSP_SQ_EUlSP_E_NS1_11comp_targetILNS1_3genE3ELNS1_11target_archE908ELNS1_3gpuE7ELNS1_3repE0EEENS1_30default_config_static_selectorELNS0_4arch9wavefront6targetE1EEEvT1_
		.amdhsa_group_segment_fixed_size 0
		.amdhsa_private_segment_fixed_size 0
		.amdhsa_kernarg_size 96
		.amdhsa_user_sgpr_count 6
		.amdhsa_user_sgpr_private_segment_buffer 1
		.amdhsa_user_sgpr_dispatch_ptr 0
		.amdhsa_user_sgpr_queue_ptr 0
		.amdhsa_user_sgpr_kernarg_segment_ptr 1
		.amdhsa_user_sgpr_dispatch_id 0
		.amdhsa_user_sgpr_flat_scratch_init 0
		.amdhsa_user_sgpr_kernarg_preload_length 0
		.amdhsa_user_sgpr_kernarg_preload_offset 0
		.amdhsa_user_sgpr_private_segment_size 0
		.amdhsa_uses_dynamic_stack 0
		.amdhsa_system_sgpr_private_segment_wavefront_offset 0
		.amdhsa_system_sgpr_workgroup_id_x 1
		.amdhsa_system_sgpr_workgroup_id_y 0
		.amdhsa_system_sgpr_workgroup_id_z 0
		.amdhsa_system_sgpr_workgroup_info 0
		.amdhsa_system_vgpr_workitem_id 0
		.amdhsa_next_free_vgpr 1
		.amdhsa_next_free_sgpr 0
		.amdhsa_accum_offset 4
		.amdhsa_reserve_vcc 0
		.amdhsa_reserve_flat_scratch 0
		.amdhsa_float_round_mode_32 0
		.amdhsa_float_round_mode_16_64 0
		.amdhsa_float_denorm_mode_32 3
		.amdhsa_float_denorm_mode_16_64 3
		.amdhsa_dx10_clamp 1
		.amdhsa_ieee_mode 1
		.amdhsa_fp16_overflow 0
		.amdhsa_tg_split 0
		.amdhsa_exception_fp_ieee_invalid_op 0
		.amdhsa_exception_fp_denorm_src 0
		.amdhsa_exception_fp_ieee_div_zero 0
		.amdhsa_exception_fp_ieee_overflow 0
		.amdhsa_exception_fp_ieee_underflow 0
		.amdhsa_exception_fp_ieee_inexact 0
		.amdhsa_exception_int_div_zero 0
	.end_amdhsa_kernel
	.section	.text._ZN7rocprim17ROCPRIM_400000_NS6detail17trampoline_kernelINS0_14default_configENS1_20scan_config_selectorIiEEZZNS1_9scan_implILNS1_25lookback_scan_determinismE0ELb0ELb0ES3_N6thrust23THRUST_200600_302600_NS6detail15normal_iteratorINS9_10device_ptrIiEEEESE_iNS9_4plusIvEEiEEDaPvRmT3_T4_T5_mT6_P12ihipStream_tbENKUlT_T0_E_clISt17integral_constantIbLb1EESU_EEDaSP_SQ_EUlSP_E_NS1_11comp_targetILNS1_3genE3ELNS1_11target_archE908ELNS1_3gpuE7ELNS1_3repE0EEENS1_30default_config_static_selectorELNS0_4arch9wavefront6targetE1EEEvT1_,"axG",@progbits,_ZN7rocprim17ROCPRIM_400000_NS6detail17trampoline_kernelINS0_14default_configENS1_20scan_config_selectorIiEEZZNS1_9scan_implILNS1_25lookback_scan_determinismE0ELb0ELb0ES3_N6thrust23THRUST_200600_302600_NS6detail15normal_iteratorINS9_10device_ptrIiEEEESE_iNS9_4plusIvEEiEEDaPvRmT3_T4_T5_mT6_P12ihipStream_tbENKUlT_T0_E_clISt17integral_constantIbLb1EESU_EEDaSP_SQ_EUlSP_E_NS1_11comp_targetILNS1_3genE3ELNS1_11target_archE908ELNS1_3gpuE7ELNS1_3repE0EEENS1_30default_config_static_selectorELNS0_4arch9wavefront6targetE1EEEvT1_,comdat
.Lfunc_end1361:
	.size	_ZN7rocprim17ROCPRIM_400000_NS6detail17trampoline_kernelINS0_14default_configENS1_20scan_config_selectorIiEEZZNS1_9scan_implILNS1_25lookback_scan_determinismE0ELb0ELb0ES3_N6thrust23THRUST_200600_302600_NS6detail15normal_iteratorINS9_10device_ptrIiEEEESE_iNS9_4plusIvEEiEEDaPvRmT3_T4_T5_mT6_P12ihipStream_tbENKUlT_T0_E_clISt17integral_constantIbLb1EESU_EEDaSP_SQ_EUlSP_E_NS1_11comp_targetILNS1_3genE3ELNS1_11target_archE908ELNS1_3gpuE7ELNS1_3repE0EEENS1_30default_config_static_selectorELNS0_4arch9wavefront6targetE1EEEvT1_, .Lfunc_end1361-_ZN7rocprim17ROCPRIM_400000_NS6detail17trampoline_kernelINS0_14default_configENS1_20scan_config_selectorIiEEZZNS1_9scan_implILNS1_25lookback_scan_determinismE0ELb0ELb0ES3_N6thrust23THRUST_200600_302600_NS6detail15normal_iteratorINS9_10device_ptrIiEEEESE_iNS9_4plusIvEEiEEDaPvRmT3_T4_T5_mT6_P12ihipStream_tbENKUlT_T0_E_clISt17integral_constantIbLb1EESU_EEDaSP_SQ_EUlSP_E_NS1_11comp_targetILNS1_3genE3ELNS1_11target_archE908ELNS1_3gpuE7ELNS1_3repE0EEENS1_30default_config_static_selectorELNS0_4arch9wavefront6targetE1EEEvT1_
                                        ; -- End function
	.section	.AMDGPU.csdata,"",@progbits
; Kernel info:
; codeLenInByte = 0
; NumSgprs: 4
; NumVgprs: 0
; NumAgprs: 0
; TotalNumVgprs: 0
; ScratchSize: 0
; MemoryBound: 0
; FloatMode: 240
; IeeeMode: 1
; LDSByteSize: 0 bytes/workgroup (compile time only)
; SGPRBlocks: 0
; VGPRBlocks: 0
; NumSGPRsForWavesPerEU: 4
; NumVGPRsForWavesPerEU: 1
; AccumOffset: 4
; Occupancy: 8
; WaveLimiterHint : 0
; COMPUTE_PGM_RSRC2:SCRATCH_EN: 0
; COMPUTE_PGM_RSRC2:USER_SGPR: 6
; COMPUTE_PGM_RSRC2:TRAP_HANDLER: 0
; COMPUTE_PGM_RSRC2:TGID_X_EN: 1
; COMPUTE_PGM_RSRC2:TGID_Y_EN: 0
; COMPUTE_PGM_RSRC2:TGID_Z_EN: 0
; COMPUTE_PGM_RSRC2:TIDIG_COMP_CNT: 0
; COMPUTE_PGM_RSRC3_GFX90A:ACCUM_OFFSET: 0
; COMPUTE_PGM_RSRC3_GFX90A:TG_SPLIT: 0
	.section	.text._ZN7rocprim17ROCPRIM_400000_NS6detail17trampoline_kernelINS0_14default_configENS1_20scan_config_selectorIiEEZZNS1_9scan_implILNS1_25lookback_scan_determinismE0ELb0ELb0ES3_N6thrust23THRUST_200600_302600_NS6detail15normal_iteratorINS9_10device_ptrIiEEEESE_iNS9_4plusIvEEiEEDaPvRmT3_T4_T5_mT6_P12ihipStream_tbENKUlT_T0_E_clISt17integral_constantIbLb1EESU_EEDaSP_SQ_EUlSP_E_NS1_11comp_targetILNS1_3genE2ELNS1_11target_archE906ELNS1_3gpuE6ELNS1_3repE0EEENS1_30default_config_static_selectorELNS0_4arch9wavefront6targetE1EEEvT1_,"axG",@progbits,_ZN7rocprim17ROCPRIM_400000_NS6detail17trampoline_kernelINS0_14default_configENS1_20scan_config_selectorIiEEZZNS1_9scan_implILNS1_25lookback_scan_determinismE0ELb0ELb0ES3_N6thrust23THRUST_200600_302600_NS6detail15normal_iteratorINS9_10device_ptrIiEEEESE_iNS9_4plusIvEEiEEDaPvRmT3_T4_T5_mT6_P12ihipStream_tbENKUlT_T0_E_clISt17integral_constantIbLb1EESU_EEDaSP_SQ_EUlSP_E_NS1_11comp_targetILNS1_3genE2ELNS1_11target_archE906ELNS1_3gpuE6ELNS1_3repE0EEENS1_30default_config_static_selectorELNS0_4arch9wavefront6targetE1EEEvT1_,comdat
	.protected	_ZN7rocprim17ROCPRIM_400000_NS6detail17trampoline_kernelINS0_14default_configENS1_20scan_config_selectorIiEEZZNS1_9scan_implILNS1_25lookback_scan_determinismE0ELb0ELb0ES3_N6thrust23THRUST_200600_302600_NS6detail15normal_iteratorINS9_10device_ptrIiEEEESE_iNS9_4plusIvEEiEEDaPvRmT3_T4_T5_mT6_P12ihipStream_tbENKUlT_T0_E_clISt17integral_constantIbLb1EESU_EEDaSP_SQ_EUlSP_E_NS1_11comp_targetILNS1_3genE2ELNS1_11target_archE906ELNS1_3gpuE6ELNS1_3repE0EEENS1_30default_config_static_selectorELNS0_4arch9wavefront6targetE1EEEvT1_ ; -- Begin function _ZN7rocprim17ROCPRIM_400000_NS6detail17trampoline_kernelINS0_14default_configENS1_20scan_config_selectorIiEEZZNS1_9scan_implILNS1_25lookback_scan_determinismE0ELb0ELb0ES3_N6thrust23THRUST_200600_302600_NS6detail15normal_iteratorINS9_10device_ptrIiEEEESE_iNS9_4plusIvEEiEEDaPvRmT3_T4_T5_mT6_P12ihipStream_tbENKUlT_T0_E_clISt17integral_constantIbLb1EESU_EEDaSP_SQ_EUlSP_E_NS1_11comp_targetILNS1_3genE2ELNS1_11target_archE906ELNS1_3gpuE6ELNS1_3repE0EEENS1_30default_config_static_selectorELNS0_4arch9wavefront6targetE1EEEvT1_
	.globl	_ZN7rocprim17ROCPRIM_400000_NS6detail17trampoline_kernelINS0_14default_configENS1_20scan_config_selectorIiEEZZNS1_9scan_implILNS1_25lookback_scan_determinismE0ELb0ELb0ES3_N6thrust23THRUST_200600_302600_NS6detail15normal_iteratorINS9_10device_ptrIiEEEESE_iNS9_4plusIvEEiEEDaPvRmT3_T4_T5_mT6_P12ihipStream_tbENKUlT_T0_E_clISt17integral_constantIbLb1EESU_EEDaSP_SQ_EUlSP_E_NS1_11comp_targetILNS1_3genE2ELNS1_11target_archE906ELNS1_3gpuE6ELNS1_3repE0EEENS1_30default_config_static_selectorELNS0_4arch9wavefront6targetE1EEEvT1_
	.p2align	8
	.type	_ZN7rocprim17ROCPRIM_400000_NS6detail17trampoline_kernelINS0_14default_configENS1_20scan_config_selectorIiEEZZNS1_9scan_implILNS1_25lookback_scan_determinismE0ELb0ELb0ES3_N6thrust23THRUST_200600_302600_NS6detail15normal_iteratorINS9_10device_ptrIiEEEESE_iNS9_4plusIvEEiEEDaPvRmT3_T4_T5_mT6_P12ihipStream_tbENKUlT_T0_E_clISt17integral_constantIbLb1EESU_EEDaSP_SQ_EUlSP_E_NS1_11comp_targetILNS1_3genE2ELNS1_11target_archE906ELNS1_3gpuE6ELNS1_3repE0EEENS1_30default_config_static_selectorELNS0_4arch9wavefront6targetE1EEEvT1_,@function
_ZN7rocprim17ROCPRIM_400000_NS6detail17trampoline_kernelINS0_14default_configENS1_20scan_config_selectorIiEEZZNS1_9scan_implILNS1_25lookback_scan_determinismE0ELb0ELb0ES3_N6thrust23THRUST_200600_302600_NS6detail15normal_iteratorINS9_10device_ptrIiEEEESE_iNS9_4plusIvEEiEEDaPvRmT3_T4_T5_mT6_P12ihipStream_tbENKUlT_T0_E_clISt17integral_constantIbLb1EESU_EEDaSP_SQ_EUlSP_E_NS1_11comp_targetILNS1_3genE2ELNS1_11target_archE906ELNS1_3gpuE6ELNS1_3repE0EEENS1_30default_config_static_selectorELNS0_4arch9wavefront6targetE1EEEvT1_: ; @_ZN7rocprim17ROCPRIM_400000_NS6detail17trampoline_kernelINS0_14default_configENS1_20scan_config_selectorIiEEZZNS1_9scan_implILNS1_25lookback_scan_determinismE0ELb0ELb0ES3_N6thrust23THRUST_200600_302600_NS6detail15normal_iteratorINS9_10device_ptrIiEEEESE_iNS9_4plusIvEEiEEDaPvRmT3_T4_T5_mT6_P12ihipStream_tbENKUlT_T0_E_clISt17integral_constantIbLb1EESU_EEDaSP_SQ_EUlSP_E_NS1_11comp_targetILNS1_3genE2ELNS1_11target_archE906ELNS1_3gpuE6ELNS1_3repE0EEENS1_30default_config_static_selectorELNS0_4arch9wavefront6targetE1EEEvT1_
; %bb.0:
	.section	.rodata,"a",@progbits
	.p2align	6, 0x0
	.amdhsa_kernel _ZN7rocprim17ROCPRIM_400000_NS6detail17trampoline_kernelINS0_14default_configENS1_20scan_config_selectorIiEEZZNS1_9scan_implILNS1_25lookback_scan_determinismE0ELb0ELb0ES3_N6thrust23THRUST_200600_302600_NS6detail15normal_iteratorINS9_10device_ptrIiEEEESE_iNS9_4plusIvEEiEEDaPvRmT3_T4_T5_mT6_P12ihipStream_tbENKUlT_T0_E_clISt17integral_constantIbLb1EESU_EEDaSP_SQ_EUlSP_E_NS1_11comp_targetILNS1_3genE2ELNS1_11target_archE906ELNS1_3gpuE6ELNS1_3repE0EEENS1_30default_config_static_selectorELNS0_4arch9wavefront6targetE1EEEvT1_
		.amdhsa_group_segment_fixed_size 0
		.amdhsa_private_segment_fixed_size 0
		.amdhsa_kernarg_size 96
		.amdhsa_user_sgpr_count 6
		.amdhsa_user_sgpr_private_segment_buffer 1
		.amdhsa_user_sgpr_dispatch_ptr 0
		.amdhsa_user_sgpr_queue_ptr 0
		.amdhsa_user_sgpr_kernarg_segment_ptr 1
		.amdhsa_user_sgpr_dispatch_id 0
		.amdhsa_user_sgpr_flat_scratch_init 0
		.amdhsa_user_sgpr_kernarg_preload_length 0
		.amdhsa_user_sgpr_kernarg_preload_offset 0
		.amdhsa_user_sgpr_private_segment_size 0
		.amdhsa_uses_dynamic_stack 0
		.amdhsa_system_sgpr_private_segment_wavefront_offset 0
		.amdhsa_system_sgpr_workgroup_id_x 1
		.amdhsa_system_sgpr_workgroup_id_y 0
		.amdhsa_system_sgpr_workgroup_id_z 0
		.amdhsa_system_sgpr_workgroup_info 0
		.amdhsa_system_vgpr_workitem_id 0
		.amdhsa_next_free_vgpr 1
		.amdhsa_next_free_sgpr 0
		.amdhsa_accum_offset 4
		.amdhsa_reserve_vcc 0
		.amdhsa_reserve_flat_scratch 0
		.amdhsa_float_round_mode_32 0
		.amdhsa_float_round_mode_16_64 0
		.amdhsa_float_denorm_mode_32 3
		.amdhsa_float_denorm_mode_16_64 3
		.amdhsa_dx10_clamp 1
		.amdhsa_ieee_mode 1
		.amdhsa_fp16_overflow 0
		.amdhsa_tg_split 0
		.amdhsa_exception_fp_ieee_invalid_op 0
		.amdhsa_exception_fp_denorm_src 0
		.amdhsa_exception_fp_ieee_div_zero 0
		.amdhsa_exception_fp_ieee_overflow 0
		.amdhsa_exception_fp_ieee_underflow 0
		.amdhsa_exception_fp_ieee_inexact 0
		.amdhsa_exception_int_div_zero 0
	.end_amdhsa_kernel
	.section	.text._ZN7rocprim17ROCPRIM_400000_NS6detail17trampoline_kernelINS0_14default_configENS1_20scan_config_selectorIiEEZZNS1_9scan_implILNS1_25lookback_scan_determinismE0ELb0ELb0ES3_N6thrust23THRUST_200600_302600_NS6detail15normal_iteratorINS9_10device_ptrIiEEEESE_iNS9_4plusIvEEiEEDaPvRmT3_T4_T5_mT6_P12ihipStream_tbENKUlT_T0_E_clISt17integral_constantIbLb1EESU_EEDaSP_SQ_EUlSP_E_NS1_11comp_targetILNS1_3genE2ELNS1_11target_archE906ELNS1_3gpuE6ELNS1_3repE0EEENS1_30default_config_static_selectorELNS0_4arch9wavefront6targetE1EEEvT1_,"axG",@progbits,_ZN7rocprim17ROCPRIM_400000_NS6detail17trampoline_kernelINS0_14default_configENS1_20scan_config_selectorIiEEZZNS1_9scan_implILNS1_25lookback_scan_determinismE0ELb0ELb0ES3_N6thrust23THRUST_200600_302600_NS6detail15normal_iteratorINS9_10device_ptrIiEEEESE_iNS9_4plusIvEEiEEDaPvRmT3_T4_T5_mT6_P12ihipStream_tbENKUlT_T0_E_clISt17integral_constantIbLb1EESU_EEDaSP_SQ_EUlSP_E_NS1_11comp_targetILNS1_3genE2ELNS1_11target_archE906ELNS1_3gpuE6ELNS1_3repE0EEENS1_30default_config_static_selectorELNS0_4arch9wavefront6targetE1EEEvT1_,comdat
.Lfunc_end1362:
	.size	_ZN7rocprim17ROCPRIM_400000_NS6detail17trampoline_kernelINS0_14default_configENS1_20scan_config_selectorIiEEZZNS1_9scan_implILNS1_25lookback_scan_determinismE0ELb0ELb0ES3_N6thrust23THRUST_200600_302600_NS6detail15normal_iteratorINS9_10device_ptrIiEEEESE_iNS9_4plusIvEEiEEDaPvRmT3_T4_T5_mT6_P12ihipStream_tbENKUlT_T0_E_clISt17integral_constantIbLb1EESU_EEDaSP_SQ_EUlSP_E_NS1_11comp_targetILNS1_3genE2ELNS1_11target_archE906ELNS1_3gpuE6ELNS1_3repE0EEENS1_30default_config_static_selectorELNS0_4arch9wavefront6targetE1EEEvT1_, .Lfunc_end1362-_ZN7rocprim17ROCPRIM_400000_NS6detail17trampoline_kernelINS0_14default_configENS1_20scan_config_selectorIiEEZZNS1_9scan_implILNS1_25lookback_scan_determinismE0ELb0ELb0ES3_N6thrust23THRUST_200600_302600_NS6detail15normal_iteratorINS9_10device_ptrIiEEEESE_iNS9_4plusIvEEiEEDaPvRmT3_T4_T5_mT6_P12ihipStream_tbENKUlT_T0_E_clISt17integral_constantIbLb1EESU_EEDaSP_SQ_EUlSP_E_NS1_11comp_targetILNS1_3genE2ELNS1_11target_archE906ELNS1_3gpuE6ELNS1_3repE0EEENS1_30default_config_static_selectorELNS0_4arch9wavefront6targetE1EEEvT1_
                                        ; -- End function
	.section	.AMDGPU.csdata,"",@progbits
; Kernel info:
; codeLenInByte = 0
; NumSgprs: 4
; NumVgprs: 0
; NumAgprs: 0
; TotalNumVgprs: 0
; ScratchSize: 0
; MemoryBound: 0
; FloatMode: 240
; IeeeMode: 1
; LDSByteSize: 0 bytes/workgroup (compile time only)
; SGPRBlocks: 0
; VGPRBlocks: 0
; NumSGPRsForWavesPerEU: 4
; NumVGPRsForWavesPerEU: 1
; AccumOffset: 4
; Occupancy: 8
; WaveLimiterHint : 0
; COMPUTE_PGM_RSRC2:SCRATCH_EN: 0
; COMPUTE_PGM_RSRC2:USER_SGPR: 6
; COMPUTE_PGM_RSRC2:TRAP_HANDLER: 0
; COMPUTE_PGM_RSRC2:TGID_X_EN: 1
; COMPUTE_PGM_RSRC2:TGID_Y_EN: 0
; COMPUTE_PGM_RSRC2:TGID_Z_EN: 0
; COMPUTE_PGM_RSRC2:TIDIG_COMP_CNT: 0
; COMPUTE_PGM_RSRC3_GFX90A:ACCUM_OFFSET: 0
; COMPUTE_PGM_RSRC3_GFX90A:TG_SPLIT: 0
	.section	.text._ZN7rocprim17ROCPRIM_400000_NS6detail17trampoline_kernelINS0_14default_configENS1_20scan_config_selectorIiEEZZNS1_9scan_implILNS1_25lookback_scan_determinismE0ELb0ELb0ES3_N6thrust23THRUST_200600_302600_NS6detail15normal_iteratorINS9_10device_ptrIiEEEESE_iNS9_4plusIvEEiEEDaPvRmT3_T4_T5_mT6_P12ihipStream_tbENKUlT_T0_E_clISt17integral_constantIbLb1EESU_EEDaSP_SQ_EUlSP_E_NS1_11comp_targetILNS1_3genE10ELNS1_11target_archE1201ELNS1_3gpuE5ELNS1_3repE0EEENS1_30default_config_static_selectorELNS0_4arch9wavefront6targetE1EEEvT1_,"axG",@progbits,_ZN7rocprim17ROCPRIM_400000_NS6detail17trampoline_kernelINS0_14default_configENS1_20scan_config_selectorIiEEZZNS1_9scan_implILNS1_25lookback_scan_determinismE0ELb0ELb0ES3_N6thrust23THRUST_200600_302600_NS6detail15normal_iteratorINS9_10device_ptrIiEEEESE_iNS9_4plusIvEEiEEDaPvRmT3_T4_T5_mT6_P12ihipStream_tbENKUlT_T0_E_clISt17integral_constantIbLb1EESU_EEDaSP_SQ_EUlSP_E_NS1_11comp_targetILNS1_3genE10ELNS1_11target_archE1201ELNS1_3gpuE5ELNS1_3repE0EEENS1_30default_config_static_selectorELNS0_4arch9wavefront6targetE1EEEvT1_,comdat
	.protected	_ZN7rocprim17ROCPRIM_400000_NS6detail17trampoline_kernelINS0_14default_configENS1_20scan_config_selectorIiEEZZNS1_9scan_implILNS1_25lookback_scan_determinismE0ELb0ELb0ES3_N6thrust23THRUST_200600_302600_NS6detail15normal_iteratorINS9_10device_ptrIiEEEESE_iNS9_4plusIvEEiEEDaPvRmT3_T4_T5_mT6_P12ihipStream_tbENKUlT_T0_E_clISt17integral_constantIbLb1EESU_EEDaSP_SQ_EUlSP_E_NS1_11comp_targetILNS1_3genE10ELNS1_11target_archE1201ELNS1_3gpuE5ELNS1_3repE0EEENS1_30default_config_static_selectorELNS0_4arch9wavefront6targetE1EEEvT1_ ; -- Begin function _ZN7rocprim17ROCPRIM_400000_NS6detail17trampoline_kernelINS0_14default_configENS1_20scan_config_selectorIiEEZZNS1_9scan_implILNS1_25lookback_scan_determinismE0ELb0ELb0ES3_N6thrust23THRUST_200600_302600_NS6detail15normal_iteratorINS9_10device_ptrIiEEEESE_iNS9_4plusIvEEiEEDaPvRmT3_T4_T5_mT6_P12ihipStream_tbENKUlT_T0_E_clISt17integral_constantIbLb1EESU_EEDaSP_SQ_EUlSP_E_NS1_11comp_targetILNS1_3genE10ELNS1_11target_archE1201ELNS1_3gpuE5ELNS1_3repE0EEENS1_30default_config_static_selectorELNS0_4arch9wavefront6targetE1EEEvT1_
	.globl	_ZN7rocprim17ROCPRIM_400000_NS6detail17trampoline_kernelINS0_14default_configENS1_20scan_config_selectorIiEEZZNS1_9scan_implILNS1_25lookback_scan_determinismE0ELb0ELb0ES3_N6thrust23THRUST_200600_302600_NS6detail15normal_iteratorINS9_10device_ptrIiEEEESE_iNS9_4plusIvEEiEEDaPvRmT3_T4_T5_mT6_P12ihipStream_tbENKUlT_T0_E_clISt17integral_constantIbLb1EESU_EEDaSP_SQ_EUlSP_E_NS1_11comp_targetILNS1_3genE10ELNS1_11target_archE1201ELNS1_3gpuE5ELNS1_3repE0EEENS1_30default_config_static_selectorELNS0_4arch9wavefront6targetE1EEEvT1_
	.p2align	8
	.type	_ZN7rocprim17ROCPRIM_400000_NS6detail17trampoline_kernelINS0_14default_configENS1_20scan_config_selectorIiEEZZNS1_9scan_implILNS1_25lookback_scan_determinismE0ELb0ELb0ES3_N6thrust23THRUST_200600_302600_NS6detail15normal_iteratorINS9_10device_ptrIiEEEESE_iNS9_4plusIvEEiEEDaPvRmT3_T4_T5_mT6_P12ihipStream_tbENKUlT_T0_E_clISt17integral_constantIbLb1EESU_EEDaSP_SQ_EUlSP_E_NS1_11comp_targetILNS1_3genE10ELNS1_11target_archE1201ELNS1_3gpuE5ELNS1_3repE0EEENS1_30default_config_static_selectorELNS0_4arch9wavefront6targetE1EEEvT1_,@function
_ZN7rocprim17ROCPRIM_400000_NS6detail17trampoline_kernelINS0_14default_configENS1_20scan_config_selectorIiEEZZNS1_9scan_implILNS1_25lookback_scan_determinismE0ELb0ELb0ES3_N6thrust23THRUST_200600_302600_NS6detail15normal_iteratorINS9_10device_ptrIiEEEESE_iNS9_4plusIvEEiEEDaPvRmT3_T4_T5_mT6_P12ihipStream_tbENKUlT_T0_E_clISt17integral_constantIbLb1EESU_EEDaSP_SQ_EUlSP_E_NS1_11comp_targetILNS1_3genE10ELNS1_11target_archE1201ELNS1_3gpuE5ELNS1_3repE0EEENS1_30default_config_static_selectorELNS0_4arch9wavefront6targetE1EEEvT1_: ; @_ZN7rocprim17ROCPRIM_400000_NS6detail17trampoline_kernelINS0_14default_configENS1_20scan_config_selectorIiEEZZNS1_9scan_implILNS1_25lookback_scan_determinismE0ELb0ELb0ES3_N6thrust23THRUST_200600_302600_NS6detail15normal_iteratorINS9_10device_ptrIiEEEESE_iNS9_4plusIvEEiEEDaPvRmT3_T4_T5_mT6_P12ihipStream_tbENKUlT_T0_E_clISt17integral_constantIbLb1EESU_EEDaSP_SQ_EUlSP_E_NS1_11comp_targetILNS1_3genE10ELNS1_11target_archE1201ELNS1_3gpuE5ELNS1_3repE0EEENS1_30default_config_static_selectorELNS0_4arch9wavefront6targetE1EEEvT1_
; %bb.0:
	.section	.rodata,"a",@progbits
	.p2align	6, 0x0
	.amdhsa_kernel _ZN7rocprim17ROCPRIM_400000_NS6detail17trampoline_kernelINS0_14default_configENS1_20scan_config_selectorIiEEZZNS1_9scan_implILNS1_25lookback_scan_determinismE0ELb0ELb0ES3_N6thrust23THRUST_200600_302600_NS6detail15normal_iteratorINS9_10device_ptrIiEEEESE_iNS9_4plusIvEEiEEDaPvRmT3_T4_T5_mT6_P12ihipStream_tbENKUlT_T0_E_clISt17integral_constantIbLb1EESU_EEDaSP_SQ_EUlSP_E_NS1_11comp_targetILNS1_3genE10ELNS1_11target_archE1201ELNS1_3gpuE5ELNS1_3repE0EEENS1_30default_config_static_selectorELNS0_4arch9wavefront6targetE1EEEvT1_
		.amdhsa_group_segment_fixed_size 0
		.amdhsa_private_segment_fixed_size 0
		.amdhsa_kernarg_size 96
		.amdhsa_user_sgpr_count 6
		.amdhsa_user_sgpr_private_segment_buffer 1
		.amdhsa_user_sgpr_dispatch_ptr 0
		.amdhsa_user_sgpr_queue_ptr 0
		.amdhsa_user_sgpr_kernarg_segment_ptr 1
		.amdhsa_user_sgpr_dispatch_id 0
		.amdhsa_user_sgpr_flat_scratch_init 0
		.amdhsa_user_sgpr_kernarg_preload_length 0
		.amdhsa_user_sgpr_kernarg_preload_offset 0
		.amdhsa_user_sgpr_private_segment_size 0
		.amdhsa_uses_dynamic_stack 0
		.amdhsa_system_sgpr_private_segment_wavefront_offset 0
		.amdhsa_system_sgpr_workgroup_id_x 1
		.amdhsa_system_sgpr_workgroup_id_y 0
		.amdhsa_system_sgpr_workgroup_id_z 0
		.amdhsa_system_sgpr_workgroup_info 0
		.amdhsa_system_vgpr_workitem_id 0
		.amdhsa_next_free_vgpr 1
		.amdhsa_next_free_sgpr 0
		.amdhsa_accum_offset 4
		.amdhsa_reserve_vcc 0
		.amdhsa_reserve_flat_scratch 0
		.amdhsa_float_round_mode_32 0
		.amdhsa_float_round_mode_16_64 0
		.amdhsa_float_denorm_mode_32 3
		.amdhsa_float_denorm_mode_16_64 3
		.amdhsa_dx10_clamp 1
		.amdhsa_ieee_mode 1
		.amdhsa_fp16_overflow 0
		.amdhsa_tg_split 0
		.amdhsa_exception_fp_ieee_invalid_op 0
		.amdhsa_exception_fp_denorm_src 0
		.amdhsa_exception_fp_ieee_div_zero 0
		.amdhsa_exception_fp_ieee_overflow 0
		.amdhsa_exception_fp_ieee_underflow 0
		.amdhsa_exception_fp_ieee_inexact 0
		.amdhsa_exception_int_div_zero 0
	.end_amdhsa_kernel
	.section	.text._ZN7rocprim17ROCPRIM_400000_NS6detail17trampoline_kernelINS0_14default_configENS1_20scan_config_selectorIiEEZZNS1_9scan_implILNS1_25lookback_scan_determinismE0ELb0ELb0ES3_N6thrust23THRUST_200600_302600_NS6detail15normal_iteratorINS9_10device_ptrIiEEEESE_iNS9_4plusIvEEiEEDaPvRmT3_T4_T5_mT6_P12ihipStream_tbENKUlT_T0_E_clISt17integral_constantIbLb1EESU_EEDaSP_SQ_EUlSP_E_NS1_11comp_targetILNS1_3genE10ELNS1_11target_archE1201ELNS1_3gpuE5ELNS1_3repE0EEENS1_30default_config_static_selectorELNS0_4arch9wavefront6targetE1EEEvT1_,"axG",@progbits,_ZN7rocprim17ROCPRIM_400000_NS6detail17trampoline_kernelINS0_14default_configENS1_20scan_config_selectorIiEEZZNS1_9scan_implILNS1_25lookback_scan_determinismE0ELb0ELb0ES3_N6thrust23THRUST_200600_302600_NS6detail15normal_iteratorINS9_10device_ptrIiEEEESE_iNS9_4plusIvEEiEEDaPvRmT3_T4_T5_mT6_P12ihipStream_tbENKUlT_T0_E_clISt17integral_constantIbLb1EESU_EEDaSP_SQ_EUlSP_E_NS1_11comp_targetILNS1_3genE10ELNS1_11target_archE1201ELNS1_3gpuE5ELNS1_3repE0EEENS1_30default_config_static_selectorELNS0_4arch9wavefront6targetE1EEEvT1_,comdat
.Lfunc_end1363:
	.size	_ZN7rocprim17ROCPRIM_400000_NS6detail17trampoline_kernelINS0_14default_configENS1_20scan_config_selectorIiEEZZNS1_9scan_implILNS1_25lookback_scan_determinismE0ELb0ELb0ES3_N6thrust23THRUST_200600_302600_NS6detail15normal_iteratorINS9_10device_ptrIiEEEESE_iNS9_4plusIvEEiEEDaPvRmT3_T4_T5_mT6_P12ihipStream_tbENKUlT_T0_E_clISt17integral_constantIbLb1EESU_EEDaSP_SQ_EUlSP_E_NS1_11comp_targetILNS1_3genE10ELNS1_11target_archE1201ELNS1_3gpuE5ELNS1_3repE0EEENS1_30default_config_static_selectorELNS0_4arch9wavefront6targetE1EEEvT1_, .Lfunc_end1363-_ZN7rocprim17ROCPRIM_400000_NS6detail17trampoline_kernelINS0_14default_configENS1_20scan_config_selectorIiEEZZNS1_9scan_implILNS1_25lookback_scan_determinismE0ELb0ELb0ES3_N6thrust23THRUST_200600_302600_NS6detail15normal_iteratorINS9_10device_ptrIiEEEESE_iNS9_4plusIvEEiEEDaPvRmT3_T4_T5_mT6_P12ihipStream_tbENKUlT_T0_E_clISt17integral_constantIbLb1EESU_EEDaSP_SQ_EUlSP_E_NS1_11comp_targetILNS1_3genE10ELNS1_11target_archE1201ELNS1_3gpuE5ELNS1_3repE0EEENS1_30default_config_static_selectorELNS0_4arch9wavefront6targetE1EEEvT1_
                                        ; -- End function
	.section	.AMDGPU.csdata,"",@progbits
; Kernel info:
; codeLenInByte = 0
; NumSgprs: 4
; NumVgprs: 0
; NumAgprs: 0
; TotalNumVgprs: 0
; ScratchSize: 0
; MemoryBound: 0
; FloatMode: 240
; IeeeMode: 1
; LDSByteSize: 0 bytes/workgroup (compile time only)
; SGPRBlocks: 0
; VGPRBlocks: 0
; NumSGPRsForWavesPerEU: 4
; NumVGPRsForWavesPerEU: 1
; AccumOffset: 4
; Occupancy: 8
; WaveLimiterHint : 0
; COMPUTE_PGM_RSRC2:SCRATCH_EN: 0
; COMPUTE_PGM_RSRC2:USER_SGPR: 6
; COMPUTE_PGM_RSRC2:TRAP_HANDLER: 0
; COMPUTE_PGM_RSRC2:TGID_X_EN: 1
; COMPUTE_PGM_RSRC2:TGID_Y_EN: 0
; COMPUTE_PGM_RSRC2:TGID_Z_EN: 0
; COMPUTE_PGM_RSRC2:TIDIG_COMP_CNT: 0
; COMPUTE_PGM_RSRC3_GFX90A:ACCUM_OFFSET: 0
; COMPUTE_PGM_RSRC3_GFX90A:TG_SPLIT: 0
	.section	.text._ZN7rocprim17ROCPRIM_400000_NS6detail17trampoline_kernelINS0_14default_configENS1_20scan_config_selectorIiEEZZNS1_9scan_implILNS1_25lookback_scan_determinismE0ELb0ELb0ES3_N6thrust23THRUST_200600_302600_NS6detail15normal_iteratorINS9_10device_ptrIiEEEESE_iNS9_4plusIvEEiEEDaPvRmT3_T4_T5_mT6_P12ihipStream_tbENKUlT_T0_E_clISt17integral_constantIbLb1EESU_EEDaSP_SQ_EUlSP_E_NS1_11comp_targetILNS1_3genE10ELNS1_11target_archE1200ELNS1_3gpuE4ELNS1_3repE0EEENS1_30default_config_static_selectorELNS0_4arch9wavefront6targetE1EEEvT1_,"axG",@progbits,_ZN7rocprim17ROCPRIM_400000_NS6detail17trampoline_kernelINS0_14default_configENS1_20scan_config_selectorIiEEZZNS1_9scan_implILNS1_25lookback_scan_determinismE0ELb0ELb0ES3_N6thrust23THRUST_200600_302600_NS6detail15normal_iteratorINS9_10device_ptrIiEEEESE_iNS9_4plusIvEEiEEDaPvRmT3_T4_T5_mT6_P12ihipStream_tbENKUlT_T0_E_clISt17integral_constantIbLb1EESU_EEDaSP_SQ_EUlSP_E_NS1_11comp_targetILNS1_3genE10ELNS1_11target_archE1200ELNS1_3gpuE4ELNS1_3repE0EEENS1_30default_config_static_selectorELNS0_4arch9wavefront6targetE1EEEvT1_,comdat
	.protected	_ZN7rocprim17ROCPRIM_400000_NS6detail17trampoline_kernelINS0_14default_configENS1_20scan_config_selectorIiEEZZNS1_9scan_implILNS1_25lookback_scan_determinismE0ELb0ELb0ES3_N6thrust23THRUST_200600_302600_NS6detail15normal_iteratorINS9_10device_ptrIiEEEESE_iNS9_4plusIvEEiEEDaPvRmT3_T4_T5_mT6_P12ihipStream_tbENKUlT_T0_E_clISt17integral_constantIbLb1EESU_EEDaSP_SQ_EUlSP_E_NS1_11comp_targetILNS1_3genE10ELNS1_11target_archE1200ELNS1_3gpuE4ELNS1_3repE0EEENS1_30default_config_static_selectorELNS0_4arch9wavefront6targetE1EEEvT1_ ; -- Begin function _ZN7rocprim17ROCPRIM_400000_NS6detail17trampoline_kernelINS0_14default_configENS1_20scan_config_selectorIiEEZZNS1_9scan_implILNS1_25lookback_scan_determinismE0ELb0ELb0ES3_N6thrust23THRUST_200600_302600_NS6detail15normal_iteratorINS9_10device_ptrIiEEEESE_iNS9_4plusIvEEiEEDaPvRmT3_T4_T5_mT6_P12ihipStream_tbENKUlT_T0_E_clISt17integral_constantIbLb1EESU_EEDaSP_SQ_EUlSP_E_NS1_11comp_targetILNS1_3genE10ELNS1_11target_archE1200ELNS1_3gpuE4ELNS1_3repE0EEENS1_30default_config_static_selectorELNS0_4arch9wavefront6targetE1EEEvT1_
	.globl	_ZN7rocprim17ROCPRIM_400000_NS6detail17trampoline_kernelINS0_14default_configENS1_20scan_config_selectorIiEEZZNS1_9scan_implILNS1_25lookback_scan_determinismE0ELb0ELb0ES3_N6thrust23THRUST_200600_302600_NS6detail15normal_iteratorINS9_10device_ptrIiEEEESE_iNS9_4plusIvEEiEEDaPvRmT3_T4_T5_mT6_P12ihipStream_tbENKUlT_T0_E_clISt17integral_constantIbLb1EESU_EEDaSP_SQ_EUlSP_E_NS1_11comp_targetILNS1_3genE10ELNS1_11target_archE1200ELNS1_3gpuE4ELNS1_3repE0EEENS1_30default_config_static_selectorELNS0_4arch9wavefront6targetE1EEEvT1_
	.p2align	8
	.type	_ZN7rocprim17ROCPRIM_400000_NS6detail17trampoline_kernelINS0_14default_configENS1_20scan_config_selectorIiEEZZNS1_9scan_implILNS1_25lookback_scan_determinismE0ELb0ELb0ES3_N6thrust23THRUST_200600_302600_NS6detail15normal_iteratorINS9_10device_ptrIiEEEESE_iNS9_4plusIvEEiEEDaPvRmT3_T4_T5_mT6_P12ihipStream_tbENKUlT_T0_E_clISt17integral_constantIbLb1EESU_EEDaSP_SQ_EUlSP_E_NS1_11comp_targetILNS1_3genE10ELNS1_11target_archE1200ELNS1_3gpuE4ELNS1_3repE0EEENS1_30default_config_static_selectorELNS0_4arch9wavefront6targetE1EEEvT1_,@function
_ZN7rocprim17ROCPRIM_400000_NS6detail17trampoline_kernelINS0_14default_configENS1_20scan_config_selectorIiEEZZNS1_9scan_implILNS1_25lookback_scan_determinismE0ELb0ELb0ES3_N6thrust23THRUST_200600_302600_NS6detail15normal_iteratorINS9_10device_ptrIiEEEESE_iNS9_4plusIvEEiEEDaPvRmT3_T4_T5_mT6_P12ihipStream_tbENKUlT_T0_E_clISt17integral_constantIbLb1EESU_EEDaSP_SQ_EUlSP_E_NS1_11comp_targetILNS1_3genE10ELNS1_11target_archE1200ELNS1_3gpuE4ELNS1_3repE0EEENS1_30default_config_static_selectorELNS0_4arch9wavefront6targetE1EEEvT1_: ; @_ZN7rocprim17ROCPRIM_400000_NS6detail17trampoline_kernelINS0_14default_configENS1_20scan_config_selectorIiEEZZNS1_9scan_implILNS1_25lookback_scan_determinismE0ELb0ELb0ES3_N6thrust23THRUST_200600_302600_NS6detail15normal_iteratorINS9_10device_ptrIiEEEESE_iNS9_4plusIvEEiEEDaPvRmT3_T4_T5_mT6_P12ihipStream_tbENKUlT_T0_E_clISt17integral_constantIbLb1EESU_EEDaSP_SQ_EUlSP_E_NS1_11comp_targetILNS1_3genE10ELNS1_11target_archE1200ELNS1_3gpuE4ELNS1_3repE0EEENS1_30default_config_static_selectorELNS0_4arch9wavefront6targetE1EEEvT1_
; %bb.0:
	.section	.rodata,"a",@progbits
	.p2align	6, 0x0
	.amdhsa_kernel _ZN7rocprim17ROCPRIM_400000_NS6detail17trampoline_kernelINS0_14default_configENS1_20scan_config_selectorIiEEZZNS1_9scan_implILNS1_25lookback_scan_determinismE0ELb0ELb0ES3_N6thrust23THRUST_200600_302600_NS6detail15normal_iteratorINS9_10device_ptrIiEEEESE_iNS9_4plusIvEEiEEDaPvRmT3_T4_T5_mT6_P12ihipStream_tbENKUlT_T0_E_clISt17integral_constantIbLb1EESU_EEDaSP_SQ_EUlSP_E_NS1_11comp_targetILNS1_3genE10ELNS1_11target_archE1200ELNS1_3gpuE4ELNS1_3repE0EEENS1_30default_config_static_selectorELNS0_4arch9wavefront6targetE1EEEvT1_
		.amdhsa_group_segment_fixed_size 0
		.amdhsa_private_segment_fixed_size 0
		.amdhsa_kernarg_size 96
		.amdhsa_user_sgpr_count 6
		.amdhsa_user_sgpr_private_segment_buffer 1
		.amdhsa_user_sgpr_dispatch_ptr 0
		.amdhsa_user_sgpr_queue_ptr 0
		.amdhsa_user_sgpr_kernarg_segment_ptr 1
		.amdhsa_user_sgpr_dispatch_id 0
		.amdhsa_user_sgpr_flat_scratch_init 0
		.amdhsa_user_sgpr_kernarg_preload_length 0
		.amdhsa_user_sgpr_kernarg_preload_offset 0
		.amdhsa_user_sgpr_private_segment_size 0
		.amdhsa_uses_dynamic_stack 0
		.amdhsa_system_sgpr_private_segment_wavefront_offset 0
		.amdhsa_system_sgpr_workgroup_id_x 1
		.amdhsa_system_sgpr_workgroup_id_y 0
		.amdhsa_system_sgpr_workgroup_id_z 0
		.amdhsa_system_sgpr_workgroup_info 0
		.amdhsa_system_vgpr_workitem_id 0
		.amdhsa_next_free_vgpr 1
		.amdhsa_next_free_sgpr 0
		.amdhsa_accum_offset 4
		.amdhsa_reserve_vcc 0
		.amdhsa_reserve_flat_scratch 0
		.amdhsa_float_round_mode_32 0
		.amdhsa_float_round_mode_16_64 0
		.amdhsa_float_denorm_mode_32 3
		.amdhsa_float_denorm_mode_16_64 3
		.amdhsa_dx10_clamp 1
		.amdhsa_ieee_mode 1
		.amdhsa_fp16_overflow 0
		.amdhsa_tg_split 0
		.amdhsa_exception_fp_ieee_invalid_op 0
		.amdhsa_exception_fp_denorm_src 0
		.amdhsa_exception_fp_ieee_div_zero 0
		.amdhsa_exception_fp_ieee_overflow 0
		.amdhsa_exception_fp_ieee_underflow 0
		.amdhsa_exception_fp_ieee_inexact 0
		.amdhsa_exception_int_div_zero 0
	.end_amdhsa_kernel
	.section	.text._ZN7rocprim17ROCPRIM_400000_NS6detail17trampoline_kernelINS0_14default_configENS1_20scan_config_selectorIiEEZZNS1_9scan_implILNS1_25lookback_scan_determinismE0ELb0ELb0ES3_N6thrust23THRUST_200600_302600_NS6detail15normal_iteratorINS9_10device_ptrIiEEEESE_iNS9_4plusIvEEiEEDaPvRmT3_T4_T5_mT6_P12ihipStream_tbENKUlT_T0_E_clISt17integral_constantIbLb1EESU_EEDaSP_SQ_EUlSP_E_NS1_11comp_targetILNS1_3genE10ELNS1_11target_archE1200ELNS1_3gpuE4ELNS1_3repE0EEENS1_30default_config_static_selectorELNS0_4arch9wavefront6targetE1EEEvT1_,"axG",@progbits,_ZN7rocprim17ROCPRIM_400000_NS6detail17trampoline_kernelINS0_14default_configENS1_20scan_config_selectorIiEEZZNS1_9scan_implILNS1_25lookback_scan_determinismE0ELb0ELb0ES3_N6thrust23THRUST_200600_302600_NS6detail15normal_iteratorINS9_10device_ptrIiEEEESE_iNS9_4plusIvEEiEEDaPvRmT3_T4_T5_mT6_P12ihipStream_tbENKUlT_T0_E_clISt17integral_constantIbLb1EESU_EEDaSP_SQ_EUlSP_E_NS1_11comp_targetILNS1_3genE10ELNS1_11target_archE1200ELNS1_3gpuE4ELNS1_3repE0EEENS1_30default_config_static_selectorELNS0_4arch9wavefront6targetE1EEEvT1_,comdat
.Lfunc_end1364:
	.size	_ZN7rocprim17ROCPRIM_400000_NS6detail17trampoline_kernelINS0_14default_configENS1_20scan_config_selectorIiEEZZNS1_9scan_implILNS1_25lookback_scan_determinismE0ELb0ELb0ES3_N6thrust23THRUST_200600_302600_NS6detail15normal_iteratorINS9_10device_ptrIiEEEESE_iNS9_4plusIvEEiEEDaPvRmT3_T4_T5_mT6_P12ihipStream_tbENKUlT_T0_E_clISt17integral_constantIbLb1EESU_EEDaSP_SQ_EUlSP_E_NS1_11comp_targetILNS1_3genE10ELNS1_11target_archE1200ELNS1_3gpuE4ELNS1_3repE0EEENS1_30default_config_static_selectorELNS0_4arch9wavefront6targetE1EEEvT1_, .Lfunc_end1364-_ZN7rocprim17ROCPRIM_400000_NS6detail17trampoline_kernelINS0_14default_configENS1_20scan_config_selectorIiEEZZNS1_9scan_implILNS1_25lookback_scan_determinismE0ELb0ELb0ES3_N6thrust23THRUST_200600_302600_NS6detail15normal_iteratorINS9_10device_ptrIiEEEESE_iNS9_4plusIvEEiEEDaPvRmT3_T4_T5_mT6_P12ihipStream_tbENKUlT_T0_E_clISt17integral_constantIbLb1EESU_EEDaSP_SQ_EUlSP_E_NS1_11comp_targetILNS1_3genE10ELNS1_11target_archE1200ELNS1_3gpuE4ELNS1_3repE0EEENS1_30default_config_static_selectorELNS0_4arch9wavefront6targetE1EEEvT1_
                                        ; -- End function
	.section	.AMDGPU.csdata,"",@progbits
; Kernel info:
; codeLenInByte = 0
; NumSgprs: 4
; NumVgprs: 0
; NumAgprs: 0
; TotalNumVgprs: 0
; ScratchSize: 0
; MemoryBound: 0
; FloatMode: 240
; IeeeMode: 1
; LDSByteSize: 0 bytes/workgroup (compile time only)
; SGPRBlocks: 0
; VGPRBlocks: 0
; NumSGPRsForWavesPerEU: 4
; NumVGPRsForWavesPerEU: 1
; AccumOffset: 4
; Occupancy: 8
; WaveLimiterHint : 0
; COMPUTE_PGM_RSRC2:SCRATCH_EN: 0
; COMPUTE_PGM_RSRC2:USER_SGPR: 6
; COMPUTE_PGM_RSRC2:TRAP_HANDLER: 0
; COMPUTE_PGM_RSRC2:TGID_X_EN: 1
; COMPUTE_PGM_RSRC2:TGID_Y_EN: 0
; COMPUTE_PGM_RSRC2:TGID_Z_EN: 0
; COMPUTE_PGM_RSRC2:TIDIG_COMP_CNT: 0
; COMPUTE_PGM_RSRC3_GFX90A:ACCUM_OFFSET: 0
; COMPUTE_PGM_RSRC3_GFX90A:TG_SPLIT: 0
	.section	.text._ZN7rocprim17ROCPRIM_400000_NS6detail17trampoline_kernelINS0_14default_configENS1_20scan_config_selectorIiEEZZNS1_9scan_implILNS1_25lookback_scan_determinismE0ELb0ELb0ES3_N6thrust23THRUST_200600_302600_NS6detail15normal_iteratorINS9_10device_ptrIiEEEESE_iNS9_4plusIvEEiEEDaPvRmT3_T4_T5_mT6_P12ihipStream_tbENKUlT_T0_E_clISt17integral_constantIbLb1EESU_EEDaSP_SQ_EUlSP_E_NS1_11comp_targetILNS1_3genE9ELNS1_11target_archE1100ELNS1_3gpuE3ELNS1_3repE0EEENS1_30default_config_static_selectorELNS0_4arch9wavefront6targetE1EEEvT1_,"axG",@progbits,_ZN7rocprim17ROCPRIM_400000_NS6detail17trampoline_kernelINS0_14default_configENS1_20scan_config_selectorIiEEZZNS1_9scan_implILNS1_25lookback_scan_determinismE0ELb0ELb0ES3_N6thrust23THRUST_200600_302600_NS6detail15normal_iteratorINS9_10device_ptrIiEEEESE_iNS9_4plusIvEEiEEDaPvRmT3_T4_T5_mT6_P12ihipStream_tbENKUlT_T0_E_clISt17integral_constantIbLb1EESU_EEDaSP_SQ_EUlSP_E_NS1_11comp_targetILNS1_3genE9ELNS1_11target_archE1100ELNS1_3gpuE3ELNS1_3repE0EEENS1_30default_config_static_selectorELNS0_4arch9wavefront6targetE1EEEvT1_,comdat
	.protected	_ZN7rocprim17ROCPRIM_400000_NS6detail17trampoline_kernelINS0_14default_configENS1_20scan_config_selectorIiEEZZNS1_9scan_implILNS1_25lookback_scan_determinismE0ELb0ELb0ES3_N6thrust23THRUST_200600_302600_NS6detail15normal_iteratorINS9_10device_ptrIiEEEESE_iNS9_4plusIvEEiEEDaPvRmT3_T4_T5_mT6_P12ihipStream_tbENKUlT_T0_E_clISt17integral_constantIbLb1EESU_EEDaSP_SQ_EUlSP_E_NS1_11comp_targetILNS1_3genE9ELNS1_11target_archE1100ELNS1_3gpuE3ELNS1_3repE0EEENS1_30default_config_static_selectorELNS0_4arch9wavefront6targetE1EEEvT1_ ; -- Begin function _ZN7rocprim17ROCPRIM_400000_NS6detail17trampoline_kernelINS0_14default_configENS1_20scan_config_selectorIiEEZZNS1_9scan_implILNS1_25lookback_scan_determinismE0ELb0ELb0ES3_N6thrust23THRUST_200600_302600_NS6detail15normal_iteratorINS9_10device_ptrIiEEEESE_iNS9_4plusIvEEiEEDaPvRmT3_T4_T5_mT6_P12ihipStream_tbENKUlT_T0_E_clISt17integral_constantIbLb1EESU_EEDaSP_SQ_EUlSP_E_NS1_11comp_targetILNS1_3genE9ELNS1_11target_archE1100ELNS1_3gpuE3ELNS1_3repE0EEENS1_30default_config_static_selectorELNS0_4arch9wavefront6targetE1EEEvT1_
	.globl	_ZN7rocprim17ROCPRIM_400000_NS6detail17trampoline_kernelINS0_14default_configENS1_20scan_config_selectorIiEEZZNS1_9scan_implILNS1_25lookback_scan_determinismE0ELb0ELb0ES3_N6thrust23THRUST_200600_302600_NS6detail15normal_iteratorINS9_10device_ptrIiEEEESE_iNS9_4plusIvEEiEEDaPvRmT3_T4_T5_mT6_P12ihipStream_tbENKUlT_T0_E_clISt17integral_constantIbLb1EESU_EEDaSP_SQ_EUlSP_E_NS1_11comp_targetILNS1_3genE9ELNS1_11target_archE1100ELNS1_3gpuE3ELNS1_3repE0EEENS1_30default_config_static_selectorELNS0_4arch9wavefront6targetE1EEEvT1_
	.p2align	8
	.type	_ZN7rocprim17ROCPRIM_400000_NS6detail17trampoline_kernelINS0_14default_configENS1_20scan_config_selectorIiEEZZNS1_9scan_implILNS1_25lookback_scan_determinismE0ELb0ELb0ES3_N6thrust23THRUST_200600_302600_NS6detail15normal_iteratorINS9_10device_ptrIiEEEESE_iNS9_4plusIvEEiEEDaPvRmT3_T4_T5_mT6_P12ihipStream_tbENKUlT_T0_E_clISt17integral_constantIbLb1EESU_EEDaSP_SQ_EUlSP_E_NS1_11comp_targetILNS1_3genE9ELNS1_11target_archE1100ELNS1_3gpuE3ELNS1_3repE0EEENS1_30default_config_static_selectorELNS0_4arch9wavefront6targetE1EEEvT1_,@function
_ZN7rocprim17ROCPRIM_400000_NS6detail17trampoline_kernelINS0_14default_configENS1_20scan_config_selectorIiEEZZNS1_9scan_implILNS1_25lookback_scan_determinismE0ELb0ELb0ES3_N6thrust23THRUST_200600_302600_NS6detail15normal_iteratorINS9_10device_ptrIiEEEESE_iNS9_4plusIvEEiEEDaPvRmT3_T4_T5_mT6_P12ihipStream_tbENKUlT_T0_E_clISt17integral_constantIbLb1EESU_EEDaSP_SQ_EUlSP_E_NS1_11comp_targetILNS1_3genE9ELNS1_11target_archE1100ELNS1_3gpuE3ELNS1_3repE0EEENS1_30default_config_static_selectorELNS0_4arch9wavefront6targetE1EEEvT1_: ; @_ZN7rocprim17ROCPRIM_400000_NS6detail17trampoline_kernelINS0_14default_configENS1_20scan_config_selectorIiEEZZNS1_9scan_implILNS1_25lookback_scan_determinismE0ELb0ELb0ES3_N6thrust23THRUST_200600_302600_NS6detail15normal_iteratorINS9_10device_ptrIiEEEESE_iNS9_4plusIvEEiEEDaPvRmT3_T4_T5_mT6_P12ihipStream_tbENKUlT_T0_E_clISt17integral_constantIbLb1EESU_EEDaSP_SQ_EUlSP_E_NS1_11comp_targetILNS1_3genE9ELNS1_11target_archE1100ELNS1_3gpuE3ELNS1_3repE0EEENS1_30default_config_static_selectorELNS0_4arch9wavefront6targetE1EEEvT1_
; %bb.0:
	.section	.rodata,"a",@progbits
	.p2align	6, 0x0
	.amdhsa_kernel _ZN7rocprim17ROCPRIM_400000_NS6detail17trampoline_kernelINS0_14default_configENS1_20scan_config_selectorIiEEZZNS1_9scan_implILNS1_25lookback_scan_determinismE0ELb0ELb0ES3_N6thrust23THRUST_200600_302600_NS6detail15normal_iteratorINS9_10device_ptrIiEEEESE_iNS9_4plusIvEEiEEDaPvRmT3_T4_T5_mT6_P12ihipStream_tbENKUlT_T0_E_clISt17integral_constantIbLb1EESU_EEDaSP_SQ_EUlSP_E_NS1_11comp_targetILNS1_3genE9ELNS1_11target_archE1100ELNS1_3gpuE3ELNS1_3repE0EEENS1_30default_config_static_selectorELNS0_4arch9wavefront6targetE1EEEvT1_
		.amdhsa_group_segment_fixed_size 0
		.amdhsa_private_segment_fixed_size 0
		.amdhsa_kernarg_size 96
		.amdhsa_user_sgpr_count 6
		.amdhsa_user_sgpr_private_segment_buffer 1
		.amdhsa_user_sgpr_dispatch_ptr 0
		.amdhsa_user_sgpr_queue_ptr 0
		.amdhsa_user_sgpr_kernarg_segment_ptr 1
		.amdhsa_user_sgpr_dispatch_id 0
		.amdhsa_user_sgpr_flat_scratch_init 0
		.amdhsa_user_sgpr_kernarg_preload_length 0
		.amdhsa_user_sgpr_kernarg_preload_offset 0
		.amdhsa_user_sgpr_private_segment_size 0
		.amdhsa_uses_dynamic_stack 0
		.amdhsa_system_sgpr_private_segment_wavefront_offset 0
		.amdhsa_system_sgpr_workgroup_id_x 1
		.amdhsa_system_sgpr_workgroup_id_y 0
		.amdhsa_system_sgpr_workgroup_id_z 0
		.amdhsa_system_sgpr_workgroup_info 0
		.amdhsa_system_vgpr_workitem_id 0
		.amdhsa_next_free_vgpr 1
		.amdhsa_next_free_sgpr 0
		.amdhsa_accum_offset 4
		.amdhsa_reserve_vcc 0
		.amdhsa_reserve_flat_scratch 0
		.amdhsa_float_round_mode_32 0
		.amdhsa_float_round_mode_16_64 0
		.amdhsa_float_denorm_mode_32 3
		.amdhsa_float_denorm_mode_16_64 3
		.amdhsa_dx10_clamp 1
		.amdhsa_ieee_mode 1
		.amdhsa_fp16_overflow 0
		.amdhsa_tg_split 0
		.amdhsa_exception_fp_ieee_invalid_op 0
		.amdhsa_exception_fp_denorm_src 0
		.amdhsa_exception_fp_ieee_div_zero 0
		.amdhsa_exception_fp_ieee_overflow 0
		.amdhsa_exception_fp_ieee_underflow 0
		.amdhsa_exception_fp_ieee_inexact 0
		.amdhsa_exception_int_div_zero 0
	.end_amdhsa_kernel
	.section	.text._ZN7rocprim17ROCPRIM_400000_NS6detail17trampoline_kernelINS0_14default_configENS1_20scan_config_selectorIiEEZZNS1_9scan_implILNS1_25lookback_scan_determinismE0ELb0ELb0ES3_N6thrust23THRUST_200600_302600_NS6detail15normal_iteratorINS9_10device_ptrIiEEEESE_iNS9_4plusIvEEiEEDaPvRmT3_T4_T5_mT6_P12ihipStream_tbENKUlT_T0_E_clISt17integral_constantIbLb1EESU_EEDaSP_SQ_EUlSP_E_NS1_11comp_targetILNS1_3genE9ELNS1_11target_archE1100ELNS1_3gpuE3ELNS1_3repE0EEENS1_30default_config_static_selectorELNS0_4arch9wavefront6targetE1EEEvT1_,"axG",@progbits,_ZN7rocprim17ROCPRIM_400000_NS6detail17trampoline_kernelINS0_14default_configENS1_20scan_config_selectorIiEEZZNS1_9scan_implILNS1_25lookback_scan_determinismE0ELb0ELb0ES3_N6thrust23THRUST_200600_302600_NS6detail15normal_iteratorINS9_10device_ptrIiEEEESE_iNS9_4plusIvEEiEEDaPvRmT3_T4_T5_mT6_P12ihipStream_tbENKUlT_T0_E_clISt17integral_constantIbLb1EESU_EEDaSP_SQ_EUlSP_E_NS1_11comp_targetILNS1_3genE9ELNS1_11target_archE1100ELNS1_3gpuE3ELNS1_3repE0EEENS1_30default_config_static_selectorELNS0_4arch9wavefront6targetE1EEEvT1_,comdat
.Lfunc_end1365:
	.size	_ZN7rocprim17ROCPRIM_400000_NS6detail17trampoline_kernelINS0_14default_configENS1_20scan_config_selectorIiEEZZNS1_9scan_implILNS1_25lookback_scan_determinismE0ELb0ELb0ES3_N6thrust23THRUST_200600_302600_NS6detail15normal_iteratorINS9_10device_ptrIiEEEESE_iNS9_4plusIvEEiEEDaPvRmT3_T4_T5_mT6_P12ihipStream_tbENKUlT_T0_E_clISt17integral_constantIbLb1EESU_EEDaSP_SQ_EUlSP_E_NS1_11comp_targetILNS1_3genE9ELNS1_11target_archE1100ELNS1_3gpuE3ELNS1_3repE0EEENS1_30default_config_static_selectorELNS0_4arch9wavefront6targetE1EEEvT1_, .Lfunc_end1365-_ZN7rocprim17ROCPRIM_400000_NS6detail17trampoline_kernelINS0_14default_configENS1_20scan_config_selectorIiEEZZNS1_9scan_implILNS1_25lookback_scan_determinismE0ELb0ELb0ES3_N6thrust23THRUST_200600_302600_NS6detail15normal_iteratorINS9_10device_ptrIiEEEESE_iNS9_4plusIvEEiEEDaPvRmT3_T4_T5_mT6_P12ihipStream_tbENKUlT_T0_E_clISt17integral_constantIbLb1EESU_EEDaSP_SQ_EUlSP_E_NS1_11comp_targetILNS1_3genE9ELNS1_11target_archE1100ELNS1_3gpuE3ELNS1_3repE0EEENS1_30default_config_static_selectorELNS0_4arch9wavefront6targetE1EEEvT1_
                                        ; -- End function
	.section	.AMDGPU.csdata,"",@progbits
; Kernel info:
; codeLenInByte = 0
; NumSgprs: 4
; NumVgprs: 0
; NumAgprs: 0
; TotalNumVgprs: 0
; ScratchSize: 0
; MemoryBound: 0
; FloatMode: 240
; IeeeMode: 1
; LDSByteSize: 0 bytes/workgroup (compile time only)
; SGPRBlocks: 0
; VGPRBlocks: 0
; NumSGPRsForWavesPerEU: 4
; NumVGPRsForWavesPerEU: 1
; AccumOffset: 4
; Occupancy: 8
; WaveLimiterHint : 0
; COMPUTE_PGM_RSRC2:SCRATCH_EN: 0
; COMPUTE_PGM_RSRC2:USER_SGPR: 6
; COMPUTE_PGM_RSRC2:TRAP_HANDLER: 0
; COMPUTE_PGM_RSRC2:TGID_X_EN: 1
; COMPUTE_PGM_RSRC2:TGID_Y_EN: 0
; COMPUTE_PGM_RSRC2:TGID_Z_EN: 0
; COMPUTE_PGM_RSRC2:TIDIG_COMP_CNT: 0
; COMPUTE_PGM_RSRC3_GFX90A:ACCUM_OFFSET: 0
; COMPUTE_PGM_RSRC3_GFX90A:TG_SPLIT: 0
	.section	.text._ZN7rocprim17ROCPRIM_400000_NS6detail17trampoline_kernelINS0_14default_configENS1_20scan_config_selectorIiEEZZNS1_9scan_implILNS1_25lookback_scan_determinismE0ELb0ELb0ES3_N6thrust23THRUST_200600_302600_NS6detail15normal_iteratorINS9_10device_ptrIiEEEESE_iNS9_4plusIvEEiEEDaPvRmT3_T4_T5_mT6_P12ihipStream_tbENKUlT_T0_E_clISt17integral_constantIbLb1EESU_EEDaSP_SQ_EUlSP_E_NS1_11comp_targetILNS1_3genE8ELNS1_11target_archE1030ELNS1_3gpuE2ELNS1_3repE0EEENS1_30default_config_static_selectorELNS0_4arch9wavefront6targetE1EEEvT1_,"axG",@progbits,_ZN7rocprim17ROCPRIM_400000_NS6detail17trampoline_kernelINS0_14default_configENS1_20scan_config_selectorIiEEZZNS1_9scan_implILNS1_25lookback_scan_determinismE0ELb0ELb0ES3_N6thrust23THRUST_200600_302600_NS6detail15normal_iteratorINS9_10device_ptrIiEEEESE_iNS9_4plusIvEEiEEDaPvRmT3_T4_T5_mT6_P12ihipStream_tbENKUlT_T0_E_clISt17integral_constantIbLb1EESU_EEDaSP_SQ_EUlSP_E_NS1_11comp_targetILNS1_3genE8ELNS1_11target_archE1030ELNS1_3gpuE2ELNS1_3repE0EEENS1_30default_config_static_selectorELNS0_4arch9wavefront6targetE1EEEvT1_,comdat
	.protected	_ZN7rocprim17ROCPRIM_400000_NS6detail17trampoline_kernelINS0_14default_configENS1_20scan_config_selectorIiEEZZNS1_9scan_implILNS1_25lookback_scan_determinismE0ELb0ELb0ES3_N6thrust23THRUST_200600_302600_NS6detail15normal_iteratorINS9_10device_ptrIiEEEESE_iNS9_4plusIvEEiEEDaPvRmT3_T4_T5_mT6_P12ihipStream_tbENKUlT_T0_E_clISt17integral_constantIbLb1EESU_EEDaSP_SQ_EUlSP_E_NS1_11comp_targetILNS1_3genE8ELNS1_11target_archE1030ELNS1_3gpuE2ELNS1_3repE0EEENS1_30default_config_static_selectorELNS0_4arch9wavefront6targetE1EEEvT1_ ; -- Begin function _ZN7rocprim17ROCPRIM_400000_NS6detail17trampoline_kernelINS0_14default_configENS1_20scan_config_selectorIiEEZZNS1_9scan_implILNS1_25lookback_scan_determinismE0ELb0ELb0ES3_N6thrust23THRUST_200600_302600_NS6detail15normal_iteratorINS9_10device_ptrIiEEEESE_iNS9_4plusIvEEiEEDaPvRmT3_T4_T5_mT6_P12ihipStream_tbENKUlT_T0_E_clISt17integral_constantIbLb1EESU_EEDaSP_SQ_EUlSP_E_NS1_11comp_targetILNS1_3genE8ELNS1_11target_archE1030ELNS1_3gpuE2ELNS1_3repE0EEENS1_30default_config_static_selectorELNS0_4arch9wavefront6targetE1EEEvT1_
	.globl	_ZN7rocprim17ROCPRIM_400000_NS6detail17trampoline_kernelINS0_14default_configENS1_20scan_config_selectorIiEEZZNS1_9scan_implILNS1_25lookback_scan_determinismE0ELb0ELb0ES3_N6thrust23THRUST_200600_302600_NS6detail15normal_iteratorINS9_10device_ptrIiEEEESE_iNS9_4plusIvEEiEEDaPvRmT3_T4_T5_mT6_P12ihipStream_tbENKUlT_T0_E_clISt17integral_constantIbLb1EESU_EEDaSP_SQ_EUlSP_E_NS1_11comp_targetILNS1_3genE8ELNS1_11target_archE1030ELNS1_3gpuE2ELNS1_3repE0EEENS1_30default_config_static_selectorELNS0_4arch9wavefront6targetE1EEEvT1_
	.p2align	8
	.type	_ZN7rocprim17ROCPRIM_400000_NS6detail17trampoline_kernelINS0_14default_configENS1_20scan_config_selectorIiEEZZNS1_9scan_implILNS1_25lookback_scan_determinismE0ELb0ELb0ES3_N6thrust23THRUST_200600_302600_NS6detail15normal_iteratorINS9_10device_ptrIiEEEESE_iNS9_4plusIvEEiEEDaPvRmT3_T4_T5_mT6_P12ihipStream_tbENKUlT_T0_E_clISt17integral_constantIbLb1EESU_EEDaSP_SQ_EUlSP_E_NS1_11comp_targetILNS1_3genE8ELNS1_11target_archE1030ELNS1_3gpuE2ELNS1_3repE0EEENS1_30default_config_static_selectorELNS0_4arch9wavefront6targetE1EEEvT1_,@function
_ZN7rocprim17ROCPRIM_400000_NS6detail17trampoline_kernelINS0_14default_configENS1_20scan_config_selectorIiEEZZNS1_9scan_implILNS1_25lookback_scan_determinismE0ELb0ELb0ES3_N6thrust23THRUST_200600_302600_NS6detail15normal_iteratorINS9_10device_ptrIiEEEESE_iNS9_4plusIvEEiEEDaPvRmT3_T4_T5_mT6_P12ihipStream_tbENKUlT_T0_E_clISt17integral_constantIbLb1EESU_EEDaSP_SQ_EUlSP_E_NS1_11comp_targetILNS1_3genE8ELNS1_11target_archE1030ELNS1_3gpuE2ELNS1_3repE0EEENS1_30default_config_static_selectorELNS0_4arch9wavefront6targetE1EEEvT1_: ; @_ZN7rocprim17ROCPRIM_400000_NS6detail17trampoline_kernelINS0_14default_configENS1_20scan_config_selectorIiEEZZNS1_9scan_implILNS1_25lookback_scan_determinismE0ELb0ELb0ES3_N6thrust23THRUST_200600_302600_NS6detail15normal_iteratorINS9_10device_ptrIiEEEESE_iNS9_4plusIvEEiEEDaPvRmT3_T4_T5_mT6_P12ihipStream_tbENKUlT_T0_E_clISt17integral_constantIbLb1EESU_EEDaSP_SQ_EUlSP_E_NS1_11comp_targetILNS1_3genE8ELNS1_11target_archE1030ELNS1_3gpuE2ELNS1_3repE0EEENS1_30default_config_static_selectorELNS0_4arch9wavefront6targetE1EEEvT1_
; %bb.0:
	.section	.rodata,"a",@progbits
	.p2align	6, 0x0
	.amdhsa_kernel _ZN7rocprim17ROCPRIM_400000_NS6detail17trampoline_kernelINS0_14default_configENS1_20scan_config_selectorIiEEZZNS1_9scan_implILNS1_25lookback_scan_determinismE0ELb0ELb0ES3_N6thrust23THRUST_200600_302600_NS6detail15normal_iteratorINS9_10device_ptrIiEEEESE_iNS9_4plusIvEEiEEDaPvRmT3_T4_T5_mT6_P12ihipStream_tbENKUlT_T0_E_clISt17integral_constantIbLb1EESU_EEDaSP_SQ_EUlSP_E_NS1_11comp_targetILNS1_3genE8ELNS1_11target_archE1030ELNS1_3gpuE2ELNS1_3repE0EEENS1_30default_config_static_selectorELNS0_4arch9wavefront6targetE1EEEvT1_
		.amdhsa_group_segment_fixed_size 0
		.amdhsa_private_segment_fixed_size 0
		.amdhsa_kernarg_size 96
		.amdhsa_user_sgpr_count 6
		.amdhsa_user_sgpr_private_segment_buffer 1
		.amdhsa_user_sgpr_dispatch_ptr 0
		.amdhsa_user_sgpr_queue_ptr 0
		.amdhsa_user_sgpr_kernarg_segment_ptr 1
		.amdhsa_user_sgpr_dispatch_id 0
		.amdhsa_user_sgpr_flat_scratch_init 0
		.amdhsa_user_sgpr_kernarg_preload_length 0
		.amdhsa_user_sgpr_kernarg_preload_offset 0
		.amdhsa_user_sgpr_private_segment_size 0
		.amdhsa_uses_dynamic_stack 0
		.amdhsa_system_sgpr_private_segment_wavefront_offset 0
		.amdhsa_system_sgpr_workgroup_id_x 1
		.amdhsa_system_sgpr_workgroup_id_y 0
		.amdhsa_system_sgpr_workgroup_id_z 0
		.amdhsa_system_sgpr_workgroup_info 0
		.amdhsa_system_vgpr_workitem_id 0
		.amdhsa_next_free_vgpr 1
		.amdhsa_next_free_sgpr 0
		.amdhsa_accum_offset 4
		.amdhsa_reserve_vcc 0
		.amdhsa_reserve_flat_scratch 0
		.amdhsa_float_round_mode_32 0
		.amdhsa_float_round_mode_16_64 0
		.amdhsa_float_denorm_mode_32 3
		.amdhsa_float_denorm_mode_16_64 3
		.amdhsa_dx10_clamp 1
		.amdhsa_ieee_mode 1
		.amdhsa_fp16_overflow 0
		.amdhsa_tg_split 0
		.amdhsa_exception_fp_ieee_invalid_op 0
		.amdhsa_exception_fp_denorm_src 0
		.amdhsa_exception_fp_ieee_div_zero 0
		.amdhsa_exception_fp_ieee_overflow 0
		.amdhsa_exception_fp_ieee_underflow 0
		.amdhsa_exception_fp_ieee_inexact 0
		.amdhsa_exception_int_div_zero 0
	.end_amdhsa_kernel
	.section	.text._ZN7rocprim17ROCPRIM_400000_NS6detail17trampoline_kernelINS0_14default_configENS1_20scan_config_selectorIiEEZZNS1_9scan_implILNS1_25lookback_scan_determinismE0ELb0ELb0ES3_N6thrust23THRUST_200600_302600_NS6detail15normal_iteratorINS9_10device_ptrIiEEEESE_iNS9_4plusIvEEiEEDaPvRmT3_T4_T5_mT6_P12ihipStream_tbENKUlT_T0_E_clISt17integral_constantIbLb1EESU_EEDaSP_SQ_EUlSP_E_NS1_11comp_targetILNS1_3genE8ELNS1_11target_archE1030ELNS1_3gpuE2ELNS1_3repE0EEENS1_30default_config_static_selectorELNS0_4arch9wavefront6targetE1EEEvT1_,"axG",@progbits,_ZN7rocprim17ROCPRIM_400000_NS6detail17trampoline_kernelINS0_14default_configENS1_20scan_config_selectorIiEEZZNS1_9scan_implILNS1_25lookback_scan_determinismE0ELb0ELb0ES3_N6thrust23THRUST_200600_302600_NS6detail15normal_iteratorINS9_10device_ptrIiEEEESE_iNS9_4plusIvEEiEEDaPvRmT3_T4_T5_mT6_P12ihipStream_tbENKUlT_T0_E_clISt17integral_constantIbLb1EESU_EEDaSP_SQ_EUlSP_E_NS1_11comp_targetILNS1_3genE8ELNS1_11target_archE1030ELNS1_3gpuE2ELNS1_3repE0EEENS1_30default_config_static_selectorELNS0_4arch9wavefront6targetE1EEEvT1_,comdat
.Lfunc_end1366:
	.size	_ZN7rocprim17ROCPRIM_400000_NS6detail17trampoline_kernelINS0_14default_configENS1_20scan_config_selectorIiEEZZNS1_9scan_implILNS1_25lookback_scan_determinismE0ELb0ELb0ES3_N6thrust23THRUST_200600_302600_NS6detail15normal_iteratorINS9_10device_ptrIiEEEESE_iNS9_4plusIvEEiEEDaPvRmT3_T4_T5_mT6_P12ihipStream_tbENKUlT_T0_E_clISt17integral_constantIbLb1EESU_EEDaSP_SQ_EUlSP_E_NS1_11comp_targetILNS1_3genE8ELNS1_11target_archE1030ELNS1_3gpuE2ELNS1_3repE0EEENS1_30default_config_static_selectorELNS0_4arch9wavefront6targetE1EEEvT1_, .Lfunc_end1366-_ZN7rocprim17ROCPRIM_400000_NS6detail17trampoline_kernelINS0_14default_configENS1_20scan_config_selectorIiEEZZNS1_9scan_implILNS1_25lookback_scan_determinismE0ELb0ELb0ES3_N6thrust23THRUST_200600_302600_NS6detail15normal_iteratorINS9_10device_ptrIiEEEESE_iNS9_4plusIvEEiEEDaPvRmT3_T4_T5_mT6_P12ihipStream_tbENKUlT_T0_E_clISt17integral_constantIbLb1EESU_EEDaSP_SQ_EUlSP_E_NS1_11comp_targetILNS1_3genE8ELNS1_11target_archE1030ELNS1_3gpuE2ELNS1_3repE0EEENS1_30default_config_static_selectorELNS0_4arch9wavefront6targetE1EEEvT1_
                                        ; -- End function
	.section	.AMDGPU.csdata,"",@progbits
; Kernel info:
; codeLenInByte = 0
; NumSgprs: 4
; NumVgprs: 0
; NumAgprs: 0
; TotalNumVgprs: 0
; ScratchSize: 0
; MemoryBound: 0
; FloatMode: 240
; IeeeMode: 1
; LDSByteSize: 0 bytes/workgroup (compile time only)
; SGPRBlocks: 0
; VGPRBlocks: 0
; NumSGPRsForWavesPerEU: 4
; NumVGPRsForWavesPerEU: 1
; AccumOffset: 4
; Occupancy: 8
; WaveLimiterHint : 0
; COMPUTE_PGM_RSRC2:SCRATCH_EN: 0
; COMPUTE_PGM_RSRC2:USER_SGPR: 6
; COMPUTE_PGM_RSRC2:TRAP_HANDLER: 0
; COMPUTE_PGM_RSRC2:TGID_X_EN: 1
; COMPUTE_PGM_RSRC2:TGID_Y_EN: 0
; COMPUTE_PGM_RSRC2:TGID_Z_EN: 0
; COMPUTE_PGM_RSRC2:TIDIG_COMP_CNT: 0
; COMPUTE_PGM_RSRC3_GFX90A:ACCUM_OFFSET: 0
; COMPUTE_PGM_RSRC3_GFX90A:TG_SPLIT: 0
	.section	.text._ZN7rocprim17ROCPRIM_400000_NS6detail17trampoline_kernelINS0_14default_configENS1_20scan_config_selectorIiEEZZNS1_9scan_implILNS1_25lookback_scan_determinismE0ELb0ELb0ES3_N6thrust23THRUST_200600_302600_NS6detail15normal_iteratorINS9_10device_ptrIiEEEESE_iNS9_4plusIvEEiEEDaPvRmT3_T4_T5_mT6_P12ihipStream_tbENKUlT_T0_E_clISt17integral_constantIbLb1EESU_EEDaSP_SQ_EUlSP_E0_NS1_11comp_targetILNS1_3genE0ELNS1_11target_archE4294967295ELNS1_3gpuE0ELNS1_3repE0EEENS1_30default_config_static_selectorELNS0_4arch9wavefront6targetE1EEEvT1_,"axG",@progbits,_ZN7rocprim17ROCPRIM_400000_NS6detail17trampoline_kernelINS0_14default_configENS1_20scan_config_selectorIiEEZZNS1_9scan_implILNS1_25lookback_scan_determinismE0ELb0ELb0ES3_N6thrust23THRUST_200600_302600_NS6detail15normal_iteratorINS9_10device_ptrIiEEEESE_iNS9_4plusIvEEiEEDaPvRmT3_T4_T5_mT6_P12ihipStream_tbENKUlT_T0_E_clISt17integral_constantIbLb1EESU_EEDaSP_SQ_EUlSP_E0_NS1_11comp_targetILNS1_3genE0ELNS1_11target_archE4294967295ELNS1_3gpuE0ELNS1_3repE0EEENS1_30default_config_static_selectorELNS0_4arch9wavefront6targetE1EEEvT1_,comdat
	.protected	_ZN7rocprim17ROCPRIM_400000_NS6detail17trampoline_kernelINS0_14default_configENS1_20scan_config_selectorIiEEZZNS1_9scan_implILNS1_25lookback_scan_determinismE0ELb0ELb0ES3_N6thrust23THRUST_200600_302600_NS6detail15normal_iteratorINS9_10device_ptrIiEEEESE_iNS9_4plusIvEEiEEDaPvRmT3_T4_T5_mT6_P12ihipStream_tbENKUlT_T0_E_clISt17integral_constantIbLb1EESU_EEDaSP_SQ_EUlSP_E0_NS1_11comp_targetILNS1_3genE0ELNS1_11target_archE4294967295ELNS1_3gpuE0ELNS1_3repE0EEENS1_30default_config_static_selectorELNS0_4arch9wavefront6targetE1EEEvT1_ ; -- Begin function _ZN7rocprim17ROCPRIM_400000_NS6detail17trampoline_kernelINS0_14default_configENS1_20scan_config_selectorIiEEZZNS1_9scan_implILNS1_25lookback_scan_determinismE0ELb0ELb0ES3_N6thrust23THRUST_200600_302600_NS6detail15normal_iteratorINS9_10device_ptrIiEEEESE_iNS9_4plusIvEEiEEDaPvRmT3_T4_T5_mT6_P12ihipStream_tbENKUlT_T0_E_clISt17integral_constantIbLb1EESU_EEDaSP_SQ_EUlSP_E0_NS1_11comp_targetILNS1_3genE0ELNS1_11target_archE4294967295ELNS1_3gpuE0ELNS1_3repE0EEENS1_30default_config_static_selectorELNS0_4arch9wavefront6targetE1EEEvT1_
	.globl	_ZN7rocprim17ROCPRIM_400000_NS6detail17trampoline_kernelINS0_14default_configENS1_20scan_config_selectorIiEEZZNS1_9scan_implILNS1_25lookback_scan_determinismE0ELb0ELb0ES3_N6thrust23THRUST_200600_302600_NS6detail15normal_iteratorINS9_10device_ptrIiEEEESE_iNS9_4plusIvEEiEEDaPvRmT3_T4_T5_mT6_P12ihipStream_tbENKUlT_T0_E_clISt17integral_constantIbLb1EESU_EEDaSP_SQ_EUlSP_E0_NS1_11comp_targetILNS1_3genE0ELNS1_11target_archE4294967295ELNS1_3gpuE0ELNS1_3repE0EEENS1_30default_config_static_selectorELNS0_4arch9wavefront6targetE1EEEvT1_
	.p2align	8
	.type	_ZN7rocprim17ROCPRIM_400000_NS6detail17trampoline_kernelINS0_14default_configENS1_20scan_config_selectorIiEEZZNS1_9scan_implILNS1_25lookback_scan_determinismE0ELb0ELb0ES3_N6thrust23THRUST_200600_302600_NS6detail15normal_iteratorINS9_10device_ptrIiEEEESE_iNS9_4plusIvEEiEEDaPvRmT3_T4_T5_mT6_P12ihipStream_tbENKUlT_T0_E_clISt17integral_constantIbLb1EESU_EEDaSP_SQ_EUlSP_E0_NS1_11comp_targetILNS1_3genE0ELNS1_11target_archE4294967295ELNS1_3gpuE0ELNS1_3repE0EEENS1_30default_config_static_selectorELNS0_4arch9wavefront6targetE1EEEvT1_,@function
_ZN7rocprim17ROCPRIM_400000_NS6detail17trampoline_kernelINS0_14default_configENS1_20scan_config_selectorIiEEZZNS1_9scan_implILNS1_25lookback_scan_determinismE0ELb0ELb0ES3_N6thrust23THRUST_200600_302600_NS6detail15normal_iteratorINS9_10device_ptrIiEEEESE_iNS9_4plusIvEEiEEDaPvRmT3_T4_T5_mT6_P12ihipStream_tbENKUlT_T0_E_clISt17integral_constantIbLb1EESU_EEDaSP_SQ_EUlSP_E0_NS1_11comp_targetILNS1_3genE0ELNS1_11target_archE4294967295ELNS1_3gpuE0ELNS1_3repE0EEENS1_30default_config_static_selectorELNS0_4arch9wavefront6targetE1EEEvT1_: ; @_ZN7rocprim17ROCPRIM_400000_NS6detail17trampoline_kernelINS0_14default_configENS1_20scan_config_selectorIiEEZZNS1_9scan_implILNS1_25lookback_scan_determinismE0ELb0ELb0ES3_N6thrust23THRUST_200600_302600_NS6detail15normal_iteratorINS9_10device_ptrIiEEEESE_iNS9_4plusIvEEiEEDaPvRmT3_T4_T5_mT6_P12ihipStream_tbENKUlT_T0_E_clISt17integral_constantIbLb1EESU_EEDaSP_SQ_EUlSP_E0_NS1_11comp_targetILNS1_3genE0ELNS1_11target_archE4294967295ELNS1_3gpuE0ELNS1_3repE0EEENS1_30default_config_static_selectorELNS0_4arch9wavefront6targetE1EEEvT1_
; %bb.0:
	.section	.rodata,"a",@progbits
	.p2align	6, 0x0
	.amdhsa_kernel _ZN7rocprim17ROCPRIM_400000_NS6detail17trampoline_kernelINS0_14default_configENS1_20scan_config_selectorIiEEZZNS1_9scan_implILNS1_25lookback_scan_determinismE0ELb0ELb0ES3_N6thrust23THRUST_200600_302600_NS6detail15normal_iteratorINS9_10device_ptrIiEEEESE_iNS9_4plusIvEEiEEDaPvRmT3_T4_T5_mT6_P12ihipStream_tbENKUlT_T0_E_clISt17integral_constantIbLb1EESU_EEDaSP_SQ_EUlSP_E0_NS1_11comp_targetILNS1_3genE0ELNS1_11target_archE4294967295ELNS1_3gpuE0ELNS1_3repE0EEENS1_30default_config_static_selectorELNS0_4arch9wavefront6targetE1EEEvT1_
		.amdhsa_group_segment_fixed_size 0
		.amdhsa_private_segment_fixed_size 0
		.amdhsa_kernarg_size 32
		.amdhsa_user_sgpr_count 6
		.amdhsa_user_sgpr_private_segment_buffer 1
		.amdhsa_user_sgpr_dispatch_ptr 0
		.amdhsa_user_sgpr_queue_ptr 0
		.amdhsa_user_sgpr_kernarg_segment_ptr 1
		.amdhsa_user_sgpr_dispatch_id 0
		.amdhsa_user_sgpr_flat_scratch_init 0
		.amdhsa_user_sgpr_kernarg_preload_length 0
		.amdhsa_user_sgpr_kernarg_preload_offset 0
		.amdhsa_user_sgpr_private_segment_size 0
		.amdhsa_uses_dynamic_stack 0
		.amdhsa_system_sgpr_private_segment_wavefront_offset 0
		.amdhsa_system_sgpr_workgroup_id_x 1
		.amdhsa_system_sgpr_workgroup_id_y 0
		.amdhsa_system_sgpr_workgroup_id_z 0
		.amdhsa_system_sgpr_workgroup_info 0
		.amdhsa_system_vgpr_workitem_id 0
		.amdhsa_next_free_vgpr 1
		.amdhsa_next_free_sgpr 0
		.amdhsa_accum_offset 4
		.amdhsa_reserve_vcc 0
		.amdhsa_reserve_flat_scratch 0
		.amdhsa_float_round_mode_32 0
		.amdhsa_float_round_mode_16_64 0
		.amdhsa_float_denorm_mode_32 3
		.amdhsa_float_denorm_mode_16_64 3
		.amdhsa_dx10_clamp 1
		.amdhsa_ieee_mode 1
		.amdhsa_fp16_overflow 0
		.amdhsa_tg_split 0
		.amdhsa_exception_fp_ieee_invalid_op 0
		.amdhsa_exception_fp_denorm_src 0
		.amdhsa_exception_fp_ieee_div_zero 0
		.amdhsa_exception_fp_ieee_overflow 0
		.amdhsa_exception_fp_ieee_underflow 0
		.amdhsa_exception_fp_ieee_inexact 0
		.amdhsa_exception_int_div_zero 0
	.end_amdhsa_kernel
	.section	.text._ZN7rocprim17ROCPRIM_400000_NS6detail17trampoline_kernelINS0_14default_configENS1_20scan_config_selectorIiEEZZNS1_9scan_implILNS1_25lookback_scan_determinismE0ELb0ELb0ES3_N6thrust23THRUST_200600_302600_NS6detail15normal_iteratorINS9_10device_ptrIiEEEESE_iNS9_4plusIvEEiEEDaPvRmT3_T4_T5_mT6_P12ihipStream_tbENKUlT_T0_E_clISt17integral_constantIbLb1EESU_EEDaSP_SQ_EUlSP_E0_NS1_11comp_targetILNS1_3genE0ELNS1_11target_archE4294967295ELNS1_3gpuE0ELNS1_3repE0EEENS1_30default_config_static_selectorELNS0_4arch9wavefront6targetE1EEEvT1_,"axG",@progbits,_ZN7rocprim17ROCPRIM_400000_NS6detail17trampoline_kernelINS0_14default_configENS1_20scan_config_selectorIiEEZZNS1_9scan_implILNS1_25lookback_scan_determinismE0ELb0ELb0ES3_N6thrust23THRUST_200600_302600_NS6detail15normal_iteratorINS9_10device_ptrIiEEEESE_iNS9_4plusIvEEiEEDaPvRmT3_T4_T5_mT6_P12ihipStream_tbENKUlT_T0_E_clISt17integral_constantIbLb1EESU_EEDaSP_SQ_EUlSP_E0_NS1_11comp_targetILNS1_3genE0ELNS1_11target_archE4294967295ELNS1_3gpuE0ELNS1_3repE0EEENS1_30default_config_static_selectorELNS0_4arch9wavefront6targetE1EEEvT1_,comdat
.Lfunc_end1367:
	.size	_ZN7rocprim17ROCPRIM_400000_NS6detail17trampoline_kernelINS0_14default_configENS1_20scan_config_selectorIiEEZZNS1_9scan_implILNS1_25lookback_scan_determinismE0ELb0ELb0ES3_N6thrust23THRUST_200600_302600_NS6detail15normal_iteratorINS9_10device_ptrIiEEEESE_iNS9_4plusIvEEiEEDaPvRmT3_T4_T5_mT6_P12ihipStream_tbENKUlT_T0_E_clISt17integral_constantIbLb1EESU_EEDaSP_SQ_EUlSP_E0_NS1_11comp_targetILNS1_3genE0ELNS1_11target_archE4294967295ELNS1_3gpuE0ELNS1_3repE0EEENS1_30default_config_static_selectorELNS0_4arch9wavefront6targetE1EEEvT1_, .Lfunc_end1367-_ZN7rocprim17ROCPRIM_400000_NS6detail17trampoline_kernelINS0_14default_configENS1_20scan_config_selectorIiEEZZNS1_9scan_implILNS1_25lookback_scan_determinismE0ELb0ELb0ES3_N6thrust23THRUST_200600_302600_NS6detail15normal_iteratorINS9_10device_ptrIiEEEESE_iNS9_4plusIvEEiEEDaPvRmT3_T4_T5_mT6_P12ihipStream_tbENKUlT_T0_E_clISt17integral_constantIbLb1EESU_EEDaSP_SQ_EUlSP_E0_NS1_11comp_targetILNS1_3genE0ELNS1_11target_archE4294967295ELNS1_3gpuE0ELNS1_3repE0EEENS1_30default_config_static_selectorELNS0_4arch9wavefront6targetE1EEEvT1_
                                        ; -- End function
	.section	.AMDGPU.csdata,"",@progbits
; Kernel info:
; codeLenInByte = 0
; NumSgprs: 4
; NumVgprs: 0
; NumAgprs: 0
; TotalNumVgprs: 0
; ScratchSize: 0
; MemoryBound: 0
; FloatMode: 240
; IeeeMode: 1
; LDSByteSize: 0 bytes/workgroup (compile time only)
; SGPRBlocks: 0
; VGPRBlocks: 0
; NumSGPRsForWavesPerEU: 4
; NumVGPRsForWavesPerEU: 1
; AccumOffset: 4
; Occupancy: 8
; WaveLimiterHint : 0
; COMPUTE_PGM_RSRC2:SCRATCH_EN: 0
; COMPUTE_PGM_RSRC2:USER_SGPR: 6
; COMPUTE_PGM_RSRC2:TRAP_HANDLER: 0
; COMPUTE_PGM_RSRC2:TGID_X_EN: 1
; COMPUTE_PGM_RSRC2:TGID_Y_EN: 0
; COMPUTE_PGM_RSRC2:TGID_Z_EN: 0
; COMPUTE_PGM_RSRC2:TIDIG_COMP_CNT: 0
; COMPUTE_PGM_RSRC3_GFX90A:ACCUM_OFFSET: 0
; COMPUTE_PGM_RSRC3_GFX90A:TG_SPLIT: 0
	.section	.text._ZN7rocprim17ROCPRIM_400000_NS6detail17trampoline_kernelINS0_14default_configENS1_20scan_config_selectorIiEEZZNS1_9scan_implILNS1_25lookback_scan_determinismE0ELb0ELb0ES3_N6thrust23THRUST_200600_302600_NS6detail15normal_iteratorINS9_10device_ptrIiEEEESE_iNS9_4plusIvEEiEEDaPvRmT3_T4_T5_mT6_P12ihipStream_tbENKUlT_T0_E_clISt17integral_constantIbLb1EESU_EEDaSP_SQ_EUlSP_E0_NS1_11comp_targetILNS1_3genE5ELNS1_11target_archE942ELNS1_3gpuE9ELNS1_3repE0EEENS1_30default_config_static_selectorELNS0_4arch9wavefront6targetE1EEEvT1_,"axG",@progbits,_ZN7rocprim17ROCPRIM_400000_NS6detail17trampoline_kernelINS0_14default_configENS1_20scan_config_selectorIiEEZZNS1_9scan_implILNS1_25lookback_scan_determinismE0ELb0ELb0ES3_N6thrust23THRUST_200600_302600_NS6detail15normal_iteratorINS9_10device_ptrIiEEEESE_iNS9_4plusIvEEiEEDaPvRmT3_T4_T5_mT6_P12ihipStream_tbENKUlT_T0_E_clISt17integral_constantIbLb1EESU_EEDaSP_SQ_EUlSP_E0_NS1_11comp_targetILNS1_3genE5ELNS1_11target_archE942ELNS1_3gpuE9ELNS1_3repE0EEENS1_30default_config_static_selectorELNS0_4arch9wavefront6targetE1EEEvT1_,comdat
	.protected	_ZN7rocprim17ROCPRIM_400000_NS6detail17trampoline_kernelINS0_14default_configENS1_20scan_config_selectorIiEEZZNS1_9scan_implILNS1_25lookback_scan_determinismE0ELb0ELb0ES3_N6thrust23THRUST_200600_302600_NS6detail15normal_iteratorINS9_10device_ptrIiEEEESE_iNS9_4plusIvEEiEEDaPvRmT3_T4_T5_mT6_P12ihipStream_tbENKUlT_T0_E_clISt17integral_constantIbLb1EESU_EEDaSP_SQ_EUlSP_E0_NS1_11comp_targetILNS1_3genE5ELNS1_11target_archE942ELNS1_3gpuE9ELNS1_3repE0EEENS1_30default_config_static_selectorELNS0_4arch9wavefront6targetE1EEEvT1_ ; -- Begin function _ZN7rocprim17ROCPRIM_400000_NS6detail17trampoline_kernelINS0_14default_configENS1_20scan_config_selectorIiEEZZNS1_9scan_implILNS1_25lookback_scan_determinismE0ELb0ELb0ES3_N6thrust23THRUST_200600_302600_NS6detail15normal_iteratorINS9_10device_ptrIiEEEESE_iNS9_4plusIvEEiEEDaPvRmT3_T4_T5_mT6_P12ihipStream_tbENKUlT_T0_E_clISt17integral_constantIbLb1EESU_EEDaSP_SQ_EUlSP_E0_NS1_11comp_targetILNS1_3genE5ELNS1_11target_archE942ELNS1_3gpuE9ELNS1_3repE0EEENS1_30default_config_static_selectorELNS0_4arch9wavefront6targetE1EEEvT1_
	.globl	_ZN7rocprim17ROCPRIM_400000_NS6detail17trampoline_kernelINS0_14default_configENS1_20scan_config_selectorIiEEZZNS1_9scan_implILNS1_25lookback_scan_determinismE0ELb0ELb0ES3_N6thrust23THRUST_200600_302600_NS6detail15normal_iteratorINS9_10device_ptrIiEEEESE_iNS9_4plusIvEEiEEDaPvRmT3_T4_T5_mT6_P12ihipStream_tbENKUlT_T0_E_clISt17integral_constantIbLb1EESU_EEDaSP_SQ_EUlSP_E0_NS1_11comp_targetILNS1_3genE5ELNS1_11target_archE942ELNS1_3gpuE9ELNS1_3repE0EEENS1_30default_config_static_selectorELNS0_4arch9wavefront6targetE1EEEvT1_
	.p2align	8
	.type	_ZN7rocprim17ROCPRIM_400000_NS6detail17trampoline_kernelINS0_14default_configENS1_20scan_config_selectorIiEEZZNS1_9scan_implILNS1_25lookback_scan_determinismE0ELb0ELb0ES3_N6thrust23THRUST_200600_302600_NS6detail15normal_iteratorINS9_10device_ptrIiEEEESE_iNS9_4plusIvEEiEEDaPvRmT3_T4_T5_mT6_P12ihipStream_tbENKUlT_T0_E_clISt17integral_constantIbLb1EESU_EEDaSP_SQ_EUlSP_E0_NS1_11comp_targetILNS1_3genE5ELNS1_11target_archE942ELNS1_3gpuE9ELNS1_3repE0EEENS1_30default_config_static_selectorELNS0_4arch9wavefront6targetE1EEEvT1_,@function
_ZN7rocprim17ROCPRIM_400000_NS6detail17trampoline_kernelINS0_14default_configENS1_20scan_config_selectorIiEEZZNS1_9scan_implILNS1_25lookback_scan_determinismE0ELb0ELb0ES3_N6thrust23THRUST_200600_302600_NS6detail15normal_iteratorINS9_10device_ptrIiEEEESE_iNS9_4plusIvEEiEEDaPvRmT3_T4_T5_mT6_P12ihipStream_tbENKUlT_T0_E_clISt17integral_constantIbLb1EESU_EEDaSP_SQ_EUlSP_E0_NS1_11comp_targetILNS1_3genE5ELNS1_11target_archE942ELNS1_3gpuE9ELNS1_3repE0EEENS1_30default_config_static_selectorELNS0_4arch9wavefront6targetE1EEEvT1_: ; @_ZN7rocprim17ROCPRIM_400000_NS6detail17trampoline_kernelINS0_14default_configENS1_20scan_config_selectorIiEEZZNS1_9scan_implILNS1_25lookback_scan_determinismE0ELb0ELb0ES3_N6thrust23THRUST_200600_302600_NS6detail15normal_iteratorINS9_10device_ptrIiEEEESE_iNS9_4plusIvEEiEEDaPvRmT3_T4_T5_mT6_P12ihipStream_tbENKUlT_T0_E_clISt17integral_constantIbLb1EESU_EEDaSP_SQ_EUlSP_E0_NS1_11comp_targetILNS1_3genE5ELNS1_11target_archE942ELNS1_3gpuE9ELNS1_3repE0EEENS1_30default_config_static_selectorELNS0_4arch9wavefront6targetE1EEEvT1_
; %bb.0:
	.section	.rodata,"a",@progbits
	.p2align	6, 0x0
	.amdhsa_kernel _ZN7rocprim17ROCPRIM_400000_NS6detail17trampoline_kernelINS0_14default_configENS1_20scan_config_selectorIiEEZZNS1_9scan_implILNS1_25lookback_scan_determinismE0ELb0ELb0ES3_N6thrust23THRUST_200600_302600_NS6detail15normal_iteratorINS9_10device_ptrIiEEEESE_iNS9_4plusIvEEiEEDaPvRmT3_T4_T5_mT6_P12ihipStream_tbENKUlT_T0_E_clISt17integral_constantIbLb1EESU_EEDaSP_SQ_EUlSP_E0_NS1_11comp_targetILNS1_3genE5ELNS1_11target_archE942ELNS1_3gpuE9ELNS1_3repE0EEENS1_30default_config_static_selectorELNS0_4arch9wavefront6targetE1EEEvT1_
		.amdhsa_group_segment_fixed_size 0
		.amdhsa_private_segment_fixed_size 0
		.amdhsa_kernarg_size 32
		.amdhsa_user_sgpr_count 6
		.amdhsa_user_sgpr_private_segment_buffer 1
		.amdhsa_user_sgpr_dispatch_ptr 0
		.amdhsa_user_sgpr_queue_ptr 0
		.amdhsa_user_sgpr_kernarg_segment_ptr 1
		.amdhsa_user_sgpr_dispatch_id 0
		.amdhsa_user_sgpr_flat_scratch_init 0
		.amdhsa_user_sgpr_kernarg_preload_length 0
		.amdhsa_user_sgpr_kernarg_preload_offset 0
		.amdhsa_user_sgpr_private_segment_size 0
		.amdhsa_uses_dynamic_stack 0
		.amdhsa_system_sgpr_private_segment_wavefront_offset 0
		.amdhsa_system_sgpr_workgroup_id_x 1
		.amdhsa_system_sgpr_workgroup_id_y 0
		.amdhsa_system_sgpr_workgroup_id_z 0
		.amdhsa_system_sgpr_workgroup_info 0
		.amdhsa_system_vgpr_workitem_id 0
		.amdhsa_next_free_vgpr 1
		.amdhsa_next_free_sgpr 0
		.amdhsa_accum_offset 4
		.amdhsa_reserve_vcc 0
		.amdhsa_reserve_flat_scratch 0
		.amdhsa_float_round_mode_32 0
		.amdhsa_float_round_mode_16_64 0
		.amdhsa_float_denorm_mode_32 3
		.amdhsa_float_denorm_mode_16_64 3
		.amdhsa_dx10_clamp 1
		.amdhsa_ieee_mode 1
		.amdhsa_fp16_overflow 0
		.amdhsa_tg_split 0
		.amdhsa_exception_fp_ieee_invalid_op 0
		.amdhsa_exception_fp_denorm_src 0
		.amdhsa_exception_fp_ieee_div_zero 0
		.amdhsa_exception_fp_ieee_overflow 0
		.amdhsa_exception_fp_ieee_underflow 0
		.amdhsa_exception_fp_ieee_inexact 0
		.amdhsa_exception_int_div_zero 0
	.end_amdhsa_kernel
	.section	.text._ZN7rocprim17ROCPRIM_400000_NS6detail17trampoline_kernelINS0_14default_configENS1_20scan_config_selectorIiEEZZNS1_9scan_implILNS1_25lookback_scan_determinismE0ELb0ELb0ES3_N6thrust23THRUST_200600_302600_NS6detail15normal_iteratorINS9_10device_ptrIiEEEESE_iNS9_4plusIvEEiEEDaPvRmT3_T4_T5_mT6_P12ihipStream_tbENKUlT_T0_E_clISt17integral_constantIbLb1EESU_EEDaSP_SQ_EUlSP_E0_NS1_11comp_targetILNS1_3genE5ELNS1_11target_archE942ELNS1_3gpuE9ELNS1_3repE0EEENS1_30default_config_static_selectorELNS0_4arch9wavefront6targetE1EEEvT1_,"axG",@progbits,_ZN7rocprim17ROCPRIM_400000_NS6detail17trampoline_kernelINS0_14default_configENS1_20scan_config_selectorIiEEZZNS1_9scan_implILNS1_25lookback_scan_determinismE0ELb0ELb0ES3_N6thrust23THRUST_200600_302600_NS6detail15normal_iteratorINS9_10device_ptrIiEEEESE_iNS9_4plusIvEEiEEDaPvRmT3_T4_T5_mT6_P12ihipStream_tbENKUlT_T0_E_clISt17integral_constantIbLb1EESU_EEDaSP_SQ_EUlSP_E0_NS1_11comp_targetILNS1_3genE5ELNS1_11target_archE942ELNS1_3gpuE9ELNS1_3repE0EEENS1_30default_config_static_selectorELNS0_4arch9wavefront6targetE1EEEvT1_,comdat
.Lfunc_end1368:
	.size	_ZN7rocprim17ROCPRIM_400000_NS6detail17trampoline_kernelINS0_14default_configENS1_20scan_config_selectorIiEEZZNS1_9scan_implILNS1_25lookback_scan_determinismE0ELb0ELb0ES3_N6thrust23THRUST_200600_302600_NS6detail15normal_iteratorINS9_10device_ptrIiEEEESE_iNS9_4plusIvEEiEEDaPvRmT3_T4_T5_mT6_P12ihipStream_tbENKUlT_T0_E_clISt17integral_constantIbLb1EESU_EEDaSP_SQ_EUlSP_E0_NS1_11comp_targetILNS1_3genE5ELNS1_11target_archE942ELNS1_3gpuE9ELNS1_3repE0EEENS1_30default_config_static_selectorELNS0_4arch9wavefront6targetE1EEEvT1_, .Lfunc_end1368-_ZN7rocprim17ROCPRIM_400000_NS6detail17trampoline_kernelINS0_14default_configENS1_20scan_config_selectorIiEEZZNS1_9scan_implILNS1_25lookback_scan_determinismE0ELb0ELb0ES3_N6thrust23THRUST_200600_302600_NS6detail15normal_iteratorINS9_10device_ptrIiEEEESE_iNS9_4plusIvEEiEEDaPvRmT3_T4_T5_mT6_P12ihipStream_tbENKUlT_T0_E_clISt17integral_constantIbLb1EESU_EEDaSP_SQ_EUlSP_E0_NS1_11comp_targetILNS1_3genE5ELNS1_11target_archE942ELNS1_3gpuE9ELNS1_3repE0EEENS1_30default_config_static_selectorELNS0_4arch9wavefront6targetE1EEEvT1_
                                        ; -- End function
	.section	.AMDGPU.csdata,"",@progbits
; Kernel info:
; codeLenInByte = 0
; NumSgprs: 4
; NumVgprs: 0
; NumAgprs: 0
; TotalNumVgprs: 0
; ScratchSize: 0
; MemoryBound: 0
; FloatMode: 240
; IeeeMode: 1
; LDSByteSize: 0 bytes/workgroup (compile time only)
; SGPRBlocks: 0
; VGPRBlocks: 0
; NumSGPRsForWavesPerEU: 4
; NumVGPRsForWavesPerEU: 1
; AccumOffset: 4
; Occupancy: 8
; WaveLimiterHint : 0
; COMPUTE_PGM_RSRC2:SCRATCH_EN: 0
; COMPUTE_PGM_RSRC2:USER_SGPR: 6
; COMPUTE_PGM_RSRC2:TRAP_HANDLER: 0
; COMPUTE_PGM_RSRC2:TGID_X_EN: 1
; COMPUTE_PGM_RSRC2:TGID_Y_EN: 0
; COMPUTE_PGM_RSRC2:TGID_Z_EN: 0
; COMPUTE_PGM_RSRC2:TIDIG_COMP_CNT: 0
; COMPUTE_PGM_RSRC3_GFX90A:ACCUM_OFFSET: 0
; COMPUTE_PGM_RSRC3_GFX90A:TG_SPLIT: 0
	.section	.text._ZN7rocprim17ROCPRIM_400000_NS6detail17trampoline_kernelINS0_14default_configENS1_20scan_config_selectorIiEEZZNS1_9scan_implILNS1_25lookback_scan_determinismE0ELb0ELb0ES3_N6thrust23THRUST_200600_302600_NS6detail15normal_iteratorINS9_10device_ptrIiEEEESE_iNS9_4plusIvEEiEEDaPvRmT3_T4_T5_mT6_P12ihipStream_tbENKUlT_T0_E_clISt17integral_constantIbLb1EESU_EEDaSP_SQ_EUlSP_E0_NS1_11comp_targetILNS1_3genE4ELNS1_11target_archE910ELNS1_3gpuE8ELNS1_3repE0EEENS1_30default_config_static_selectorELNS0_4arch9wavefront6targetE1EEEvT1_,"axG",@progbits,_ZN7rocprim17ROCPRIM_400000_NS6detail17trampoline_kernelINS0_14default_configENS1_20scan_config_selectorIiEEZZNS1_9scan_implILNS1_25lookback_scan_determinismE0ELb0ELb0ES3_N6thrust23THRUST_200600_302600_NS6detail15normal_iteratorINS9_10device_ptrIiEEEESE_iNS9_4plusIvEEiEEDaPvRmT3_T4_T5_mT6_P12ihipStream_tbENKUlT_T0_E_clISt17integral_constantIbLb1EESU_EEDaSP_SQ_EUlSP_E0_NS1_11comp_targetILNS1_3genE4ELNS1_11target_archE910ELNS1_3gpuE8ELNS1_3repE0EEENS1_30default_config_static_selectorELNS0_4arch9wavefront6targetE1EEEvT1_,comdat
	.protected	_ZN7rocprim17ROCPRIM_400000_NS6detail17trampoline_kernelINS0_14default_configENS1_20scan_config_selectorIiEEZZNS1_9scan_implILNS1_25lookback_scan_determinismE0ELb0ELb0ES3_N6thrust23THRUST_200600_302600_NS6detail15normal_iteratorINS9_10device_ptrIiEEEESE_iNS9_4plusIvEEiEEDaPvRmT3_T4_T5_mT6_P12ihipStream_tbENKUlT_T0_E_clISt17integral_constantIbLb1EESU_EEDaSP_SQ_EUlSP_E0_NS1_11comp_targetILNS1_3genE4ELNS1_11target_archE910ELNS1_3gpuE8ELNS1_3repE0EEENS1_30default_config_static_selectorELNS0_4arch9wavefront6targetE1EEEvT1_ ; -- Begin function _ZN7rocprim17ROCPRIM_400000_NS6detail17trampoline_kernelINS0_14default_configENS1_20scan_config_selectorIiEEZZNS1_9scan_implILNS1_25lookback_scan_determinismE0ELb0ELb0ES3_N6thrust23THRUST_200600_302600_NS6detail15normal_iteratorINS9_10device_ptrIiEEEESE_iNS9_4plusIvEEiEEDaPvRmT3_T4_T5_mT6_P12ihipStream_tbENKUlT_T0_E_clISt17integral_constantIbLb1EESU_EEDaSP_SQ_EUlSP_E0_NS1_11comp_targetILNS1_3genE4ELNS1_11target_archE910ELNS1_3gpuE8ELNS1_3repE0EEENS1_30default_config_static_selectorELNS0_4arch9wavefront6targetE1EEEvT1_
	.globl	_ZN7rocprim17ROCPRIM_400000_NS6detail17trampoline_kernelINS0_14default_configENS1_20scan_config_selectorIiEEZZNS1_9scan_implILNS1_25lookback_scan_determinismE0ELb0ELb0ES3_N6thrust23THRUST_200600_302600_NS6detail15normal_iteratorINS9_10device_ptrIiEEEESE_iNS9_4plusIvEEiEEDaPvRmT3_T4_T5_mT6_P12ihipStream_tbENKUlT_T0_E_clISt17integral_constantIbLb1EESU_EEDaSP_SQ_EUlSP_E0_NS1_11comp_targetILNS1_3genE4ELNS1_11target_archE910ELNS1_3gpuE8ELNS1_3repE0EEENS1_30default_config_static_selectorELNS0_4arch9wavefront6targetE1EEEvT1_
	.p2align	8
	.type	_ZN7rocprim17ROCPRIM_400000_NS6detail17trampoline_kernelINS0_14default_configENS1_20scan_config_selectorIiEEZZNS1_9scan_implILNS1_25lookback_scan_determinismE0ELb0ELb0ES3_N6thrust23THRUST_200600_302600_NS6detail15normal_iteratorINS9_10device_ptrIiEEEESE_iNS9_4plusIvEEiEEDaPvRmT3_T4_T5_mT6_P12ihipStream_tbENKUlT_T0_E_clISt17integral_constantIbLb1EESU_EEDaSP_SQ_EUlSP_E0_NS1_11comp_targetILNS1_3genE4ELNS1_11target_archE910ELNS1_3gpuE8ELNS1_3repE0EEENS1_30default_config_static_selectorELNS0_4arch9wavefront6targetE1EEEvT1_,@function
_ZN7rocprim17ROCPRIM_400000_NS6detail17trampoline_kernelINS0_14default_configENS1_20scan_config_selectorIiEEZZNS1_9scan_implILNS1_25lookback_scan_determinismE0ELb0ELb0ES3_N6thrust23THRUST_200600_302600_NS6detail15normal_iteratorINS9_10device_ptrIiEEEESE_iNS9_4plusIvEEiEEDaPvRmT3_T4_T5_mT6_P12ihipStream_tbENKUlT_T0_E_clISt17integral_constantIbLb1EESU_EEDaSP_SQ_EUlSP_E0_NS1_11comp_targetILNS1_3genE4ELNS1_11target_archE910ELNS1_3gpuE8ELNS1_3repE0EEENS1_30default_config_static_selectorELNS0_4arch9wavefront6targetE1EEEvT1_: ; @_ZN7rocprim17ROCPRIM_400000_NS6detail17trampoline_kernelINS0_14default_configENS1_20scan_config_selectorIiEEZZNS1_9scan_implILNS1_25lookback_scan_determinismE0ELb0ELb0ES3_N6thrust23THRUST_200600_302600_NS6detail15normal_iteratorINS9_10device_ptrIiEEEESE_iNS9_4plusIvEEiEEDaPvRmT3_T4_T5_mT6_P12ihipStream_tbENKUlT_T0_E_clISt17integral_constantIbLb1EESU_EEDaSP_SQ_EUlSP_E0_NS1_11comp_targetILNS1_3genE4ELNS1_11target_archE910ELNS1_3gpuE8ELNS1_3repE0EEENS1_30default_config_static_selectorELNS0_4arch9wavefront6targetE1EEEvT1_
; %bb.0:
	s_load_dwordx4 s[20:23], s[4:5], 0x0
	v_lshlrev_b32_e32 v20, 2, v0
	s_waitcnt lgkmcnt(0)
	s_load_dword s23, s[20:21], 0x0
	v_cmp_gt_u32_e32 vcc, s22, v0
	s_waitcnt lgkmcnt(0)
	v_mov_b32_e32 v1, s23
	s_and_saveexec_b64 s[0:1], vcc
	s_cbranch_execz .LBB1369_2
; %bb.1:
	global_load_dword v1, v20, s[20:21]
.LBB1369_2:
	s_or_b64 exec, exec, s[0:1]
	v_or_b32_e32 v2, 0x80, v0
	v_cmp_gt_u32_e64 s[0:1], s22, v2
	v_mov_b32_e32 v2, s23
	s_and_saveexec_b64 s[2:3], s[0:1]
	s_cbranch_execz .LBB1369_4
; %bb.3:
	global_load_dword v2, v20, s[20:21] offset:512
.LBB1369_4:
	s_or_b64 exec, exec, s[2:3]
	v_or_b32_e32 v3, 0x100, v0
	v_cmp_gt_u32_e64 s[2:3], s22, v3
	v_mov_b32_e32 v3, s23
	s_and_saveexec_b64 s[6:7], s[2:3]
	s_cbranch_execz .LBB1369_6
; %bb.5:
	global_load_dword v3, v20, s[20:21] offset:1024
.LBB1369_6:
	;; [unrolled: 9-line block ×7, first 2 shown]
	s_or_b64 exec, exec, s[14:15]
	v_or_b32_e32 v10, 0x400, v0
	v_cmp_gt_u32_e64 s[14:15], s22, v10
	v_mov_b32_e32 v9, s23
	s_and_saveexec_b64 s[16:17], s[14:15]
	s_cbranch_execz .LBB1369_18
; %bb.17:
	v_lshlrev_b32_e32 v9, 2, v10
	global_load_dword v9, v9, s[20:21]
.LBB1369_18:
	s_or_b64 exec, exec, s[16:17]
	v_or_b32_e32 v11, 0x480, v0
	v_cmp_gt_u32_e64 s[16:17], s22, v11
	v_mov_b32_e32 v10, s23
	s_and_saveexec_b64 s[22:23], s[16:17]
	s_cbranch_execz .LBB1369_20
; %bb.19:
	v_lshlrev_b32_e32 v10, 2, v11
	global_load_dword v10, v10, s[20:21]
.LBB1369_20:
	s_or_b64 exec, exec, s[22:23]
	s_waitcnt vmcnt(0)
	ds_write2st64_b32 v20, v1, v2 offset1:2
	ds_write2st64_b32 v20, v3, v4 offset0:4 offset1:6
	ds_write2st64_b32 v20, v5, v6 offset0:8 offset1:10
	;; [unrolled: 1-line block ×4, first 2 shown]
	v_mad_u32_u24 v1, v0, 36, v20
	s_waitcnt lgkmcnt(0)
	s_barrier
	ds_read2_b64 v[6:9], v1 offset1:1
	ds_read2_b64 v[2:5], v1 offset0:2 offset1:3
	ds_read_b64 v[18:19], v1 offset:32
	v_lshrrev_b32_e32 v21, 3, v0
	v_and_b32_e32 v21, 12, v21
	s_waitcnt lgkmcnt(2)
	v_add_u32_e32 v1, v7, v6
	v_add_u32_e32 v14, v1, v8
	v_add_u32_e32 v15, v14, v9
	s_waitcnt lgkmcnt(1)
	v_add_u32_e32 v10, v15, v2
	v_add_u32_e32 v11, v10, v3
	v_add_u32_e32 v12, v11, v4
	v_add_u32_e32 v13, v12, v5
	s_waitcnt lgkmcnt(0)
	v_add_u32_e32 v16, v13, v18
	v_add_u32_e32 v17, v16, v19
	;; [unrolled: 1-line block ×3, first 2 shown]
	v_cmp_gt_u32_e64 s[20:21], 64, v0
	s_barrier
	ds_write_b32 v21, v17
	s_waitcnt lgkmcnt(0)
	s_barrier
	s_and_saveexec_b64 s[22:23], s[20:21]
	s_cbranch_execz .LBB1369_22
; %bb.21:
	v_lshlrev_b32_e32 v21, 1, v0
	v_lshrrev_b32_e32 v22, 4, v0
	v_add_lshl_u32 v21, v22, v21, 2
	ds_read2_b32 v[22:23], v21 offset1:1
	v_mbcnt_lo_u32_b32 v24, -1, 0
	v_mbcnt_hi_u32_b32 v24, -1, v24
	v_and_b32_e32 v25, 15, v24
	v_cmp_ne_u32_e64 s[20:21], 0, v25
	s_waitcnt lgkmcnt(0)
	v_add_u32_e32 v23, v23, v22
	; wave barrier
	s_nop 1
	v_mov_b32_dpp v26, v23 row_shr:1 row_mask:0xf bank_mask:0xf
	v_cndmask_b32_e64 v26, 0, v26, s[20:21]
	v_add_u32_e32 v23, v26, v23
	v_cmp_lt_u32_e64 s[20:21], 1, v25
	s_nop 0
	v_mov_b32_dpp v26, v23 row_shr:2 row_mask:0xf bank_mask:0xf
	v_cndmask_b32_e64 v26, 0, v26, s[20:21]
	v_add_u32_e32 v23, v23, v26
	v_cmp_lt_u32_e64 s[20:21], 3, v25
	;; [unrolled: 5-line block ×3, first 2 shown]
	s_nop 0
	v_mov_b32_dpp v26, v23 row_shr:8 row_mask:0xf bank_mask:0xf
	v_cndmask_b32_e64 v25, 0, v26, s[20:21]
	v_add_u32_e32 v23, v23, v25
	v_bfe_i32 v26, v24, 4, 1
	v_cmp_lt_u32_e64 s[20:21], 31, v24
	v_mov_b32_dpp v25, v23 row_bcast:15 row_mask:0xf bank_mask:0xf
	v_and_b32_e32 v25, v26, v25
	v_add_u32_e32 v23, v23, v25
	v_and_b32_e32 v26, 64, v24
	s_nop 0
	v_mov_b32_dpp v25, v23 row_bcast:31 row_mask:0xf bank_mask:0xf
	v_cndmask_b32_e64 v25, 0, v25, s[20:21]
	v_add_u32_e32 v23, v23, v25
	v_add_u32_e32 v25, -1, v24
	v_cmp_lt_i32_e64 s[20:21], v25, v26
	v_cndmask_b32_e64 v24, v25, v24, s[20:21]
	v_lshlrev_b32_e32 v24, 2, v24
	ds_bpermute_b32 v23, v24, v23
	v_cmp_eq_u32_e64 s[20:21], 0, v0
	s_waitcnt lgkmcnt(0)
	v_add_u32_e32 v22, v23, v22
	v_cndmask_b32_e64 v22, v22, v17, s[20:21]
	ds_write_b32 v21, v22
	; wave barrier
	ds_read_b32 v23, v21 offset:4
	s_waitcnt lgkmcnt(0)
	v_add_u32_e32 v22, v23, v22
	ds_write_b32 v21, v22 offset:4
.LBB1369_22:
	s_or_b64 exec, exec, s[22:23]
	s_load_dwordx2 s[20:21], s[4:5], 0x18
	v_cmp_ne_u32_e64 s[4:5], 0, v0
	v_mov_b32_e32 v22, v17
	s_waitcnt lgkmcnt(0)
	s_barrier
	s_and_saveexec_b64 s[22:23], s[4:5]
	s_cbranch_execz .LBB1369_24
; %bb.23:
	v_add_u32_e32 v21, -1, v0
	v_lshrrev_b32_e32 v22, 5, v21
	v_add_lshl_u32 v21, v22, v21, 2
	ds_read_b32 v22, v21
.LBB1369_24:
	s_or_b64 exec, exec, s[22:23]
	v_mul_u32_u24_e32 v21, 36, v0
	v_mov_b32_e32 v0, v6
	s_and_saveexec_b64 s[22:23], s[4:5]
	s_cbranch_execz .LBB1369_26
; %bb.25:
	s_waitcnt lgkmcnt(0)
	v_add_u32_e32 v0, v22, v6
	v_add_u32_e32 v1, v0, v7
	;; [unrolled: 1-line block ×10, first 2 shown]
	;;#ASMSTART
	;;#ASMEND
.LBB1369_26:
	s_or_b64 exec, exec, s[22:23]
	v_add_u32_e32 v2, v20, v21
	s_waitcnt lgkmcnt(0)
	s_barrier
	ds_write2_b64 v2, v[0:1], v[14:15] offset1:1
	ds_write2_b64 v2, v[10:11], v[12:13] offset0:2 offset1:3
	ds_write_b64 v2, v[16:17] offset:32
	s_waitcnt lgkmcnt(0)
	s_barrier
	ds_read2st64_b32 v[8:9], v20 offset0:2 offset1:4
	ds_read2st64_b32 v[6:7], v20 offset0:6 offset1:8
	;; [unrolled: 1-line block ×4, first 2 shown]
	ds_read_b32 v10, v20 offset:4608
	v_mov_b32_e32 v1, s21
	v_add_co_u32_e64 v0, s[4:5], s20, v20
	v_addc_co_u32_e64 v1, s[4:5], 0, v1, s[4:5]
	s_and_saveexec_b64 s[4:5], vcc
	s_cbranch_execnz .LBB1369_37
; %bb.27:
	s_or_b64 exec, exec, s[4:5]
	s_and_saveexec_b64 s[4:5], s[0:1]
	s_cbranch_execnz .LBB1369_38
.LBB1369_28:
	s_or_b64 exec, exec, s[4:5]
	s_and_saveexec_b64 s[0:1], s[2:3]
	s_cbranch_execnz .LBB1369_39
.LBB1369_29:
	s_or_b64 exec, exec, s[0:1]
	s_and_saveexec_b64 s[0:1], s[18:19]
	s_cbranch_execnz .LBB1369_40
.LBB1369_30:
	s_or_b64 exec, exec, s[0:1]
	s_and_saveexec_b64 s[0:1], s[6:7]
	s_cbranch_execnz .LBB1369_41
.LBB1369_31:
	s_or_b64 exec, exec, s[0:1]
	s_and_saveexec_b64 s[0:1], s[8:9]
	s_cbranch_execnz .LBB1369_42
.LBB1369_32:
	s_or_b64 exec, exec, s[0:1]
	s_and_saveexec_b64 s[0:1], s[10:11]
	s_cbranch_execnz .LBB1369_43
.LBB1369_33:
	s_or_b64 exec, exec, s[0:1]
	s_and_saveexec_b64 s[0:1], s[12:13]
	s_cbranch_execnz .LBB1369_44
.LBB1369_34:
	s_or_b64 exec, exec, s[0:1]
	s_and_saveexec_b64 s[0:1], s[14:15]
	s_cbranch_execnz .LBB1369_45
.LBB1369_35:
	s_or_b64 exec, exec, s[0:1]
	s_and_saveexec_b64 s[0:1], s[16:17]
	s_cbranch_execnz .LBB1369_46
.LBB1369_36:
	s_endpgm
.LBB1369_37:
	ds_read_b32 v11, v20
	s_waitcnt lgkmcnt(0)
	global_store_dword v[0:1], v11, off
	s_or_b64 exec, exec, s[4:5]
	s_and_saveexec_b64 s[4:5], s[0:1]
	s_cbranch_execz .LBB1369_28
.LBB1369_38:
	s_waitcnt lgkmcnt(4)
	global_store_dword v[0:1], v8, off offset:512
	s_or_b64 exec, exec, s[4:5]
	s_and_saveexec_b64 s[0:1], s[2:3]
	s_cbranch_execz .LBB1369_29
.LBB1369_39:
	s_waitcnt lgkmcnt(4)
	global_store_dword v[0:1], v9, off offset:1024
	s_or_b64 exec, exec, s[0:1]
	s_and_saveexec_b64 s[0:1], s[18:19]
	s_cbranch_execz .LBB1369_30
.LBB1369_40:
	s_waitcnt lgkmcnt(3)
	global_store_dword v[0:1], v6, off offset:1536
	s_or_b64 exec, exec, s[0:1]
	s_and_saveexec_b64 s[0:1], s[6:7]
	s_cbranch_execz .LBB1369_31
.LBB1369_41:
	s_waitcnt lgkmcnt(3)
	global_store_dword v[0:1], v7, off offset:2048
	s_or_b64 exec, exec, s[0:1]
	s_and_saveexec_b64 s[0:1], s[8:9]
	s_cbranch_execz .LBB1369_32
.LBB1369_42:
	s_waitcnt lgkmcnt(2)
	global_store_dword v[0:1], v4, off offset:2560
	s_or_b64 exec, exec, s[0:1]
	s_and_saveexec_b64 s[0:1], s[10:11]
	s_cbranch_execz .LBB1369_33
.LBB1369_43:
	s_waitcnt lgkmcnt(2)
	global_store_dword v[0:1], v5, off offset:3072
	s_or_b64 exec, exec, s[0:1]
	s_and_saveexec_b64 s[0:1], s[12:13]
	s_cbranch_execz .LBB1369_34
.LBB1369_44:
	s_waitcnt lgkmcnt(1)
	global_store_dword v[0:1], v2, off offset:3584
	s_or_b64 exec, exec, s[0:1]
	s_and_saveexec_b64 s[0:1], s[14:15]
	s_cbranch_execz .LBB1369_35
.LBB1369_45:
	s_waitcnt lgkmcnt(2)
	v_add_co_u32_e32 v4, vcc, 0x1000, v0
	v_addc_co_u32_e32 v5, vcc, 0, v1, vcc
	s_waitcnt lgkmcnt(1)
	global_store_dword v[4:5], v3, off
	s_or_b64 exec, exec, s[0:1]
	s_and_saveexec_b64 s[0:1], s[16:17]
	s_cbranch_execz .LBB1369_36
.LBB1369_46:
	v_add_co_u32_e32 v0, vcc, 0x1000, v0
	v_addc_co_u32_e32 v1, vcc, 0, v1, vcc
	s_waitcnt lgkmcnt(0)
	global_store_dword v[0:1], v10, off offset:512
	s_endpgm
	.section	.rodata,"a",@progbits
	.p2align	6, 0x0
	.amdhsa_kernel _ZN7rocprim17ROCPRIM_400000_NS6detail17trampoline_kernelINS0_14default_configENS1_20scan_config_selectorIiEEZZNS1_9scan_implILNS1_25lookback_scan_determinismE0ELb0ELb0ES3_N6thrust23THRUST_200600_302600_NS6detail15normal_iteratorINS9_10device_ptrIiEEEESE_iNS9_4plusIvEEiEEDaPvRmT3_T4_T5_mT6_P12ihipStream_tbENKUlT_T0_E_clISt17integral_constantIbLb1EESU_EEDaSP_SQ_EUlSP_E0_NS1_11comp_targetILNS1_3genE4ELNS1_11target_archE910ELNS1_3gpuE8ELNS1_3repE0EEENS1_30default_config_static_selectorELNS0_4arch9wavefront6targetE1EEEvT1_
		.amdhsa_group_segment_fixed_size 5120
		.amdhsa_private_segment_fixed_size 0
		.amdhsa_kernarg_size 32
		.amdhsa_user_sgpr_count 6
		.amdhsa_user_sgpr_private_segment_buffer 1
		.amdhsa_user_sgpr_dispatch_ptr 0
		.amdhsa_user_sgpr_queue_ptr 0
		.amdhsa_user_sgpr_kernarg_segment_ptr 1
		.amdhsa_user_sgpr_dispatch_id 0
		.amdhsa_user_sgpr_flat_scratch_init 0
		.amdhsa_user_sgpr_kernarg_preload_length 0
		.amdhsa_user_sgpr_kernarg_preload_offset 0
		.amdhsa_user_sgpr_private_segment_size 0
		.amdhsa_uses_dynamic_stack 0
		.amdhsa_system_sgpr_private_segment_wavefront_offset 0
		.amdhsa_system_sgpr_workgroup_id_x 1
		.amdhsa_system_sgpr_workgroup_id_y 0
		.amdhsa_system_sgpr_workgroup_id_z 0
		.amdhsa_system_sgpr_workgroup_info 0
		.amdhsa_system_vgpr_workitem_id 0
		.amdhsa_next_free_vgpr 27
		.amdhsa_next_free_sgpr 24
		.amdhsa_accum_offset 28
		.amdhsa_reserve_vcc 1
		.amdhsa_reserve_flat_scratch 0
		.amdhsa_float_round_mode_32 0
		.amdhsa_float_round_mode_16_64 0
		.amdhsa_float_denorm_mode_32 3
		.amdhsa_float_denorm_mode_16_64 3
		.amdhsa_dx10_clamp 1
		.amdhsa_ieee_mode 1
		.amdhsa_fp16_overflow 0
		.amdhsa_tg_split 0
		.amdhsa_exception_fp_ieee_invalid_op 0
		.amdhsa_exception_fp_denorm_src 0
		.amdhsa_exception_fp_ieee_div_zero 0
		.amdhsa_exception_fp_ieee_overflow 0
		.amdhsa_exception_fp_ieee_underflow 0
		.amdhsa_exception_fp_ieee_inexact 0
		.amdhsa_exception_int_div_zero 0
	.end_amdhsa_kernel
	.section	.text._ZN7rocprim17ROCPRIM_400000_NS6detail17trampoline_kernelINS0_14default_configENS1_20scan_config_selectorIiEEZZNS1_9scan_implILNS1_25lookback_scan_determinismE0ELb0ELb0ES3_N6thrust23THRUST_200600_302600_NS6detail15normal_iteratorINS9_10device_ptrIiEEEESE_iNS9_4plusIvEEiEEDaPvRmT3_T4_T5_mT6_P12ihipStream_tbENKUlT_T0_E_clISt17integral_constantIbLb1EESU_EEDaSP_SQ_EUlSP_E0_NS1_11comp_targetILNS1_3genE4ELNS1_11target_archE910ELNS1_3gpuE8ELNS1_3repE0EEENS1_30default_config_static_selectorELNS0_4arch9wavefront6targetE1EEEvT1_,"axG",@progbits,_ZN7rocprim17ROCPRIM_400000_NS6detail17trampoline_kernelINS0_14default_configENS1_20scan_config_selectorIiEEZZNS1_9scan_implILNS1_25lookback_scan_determinismE0ELb0ELb0ES3_N6thrust23THRUST_200600_302600_NS6detail15normal_iteratorINS9_10device_ptrIiEEEESE_iNS9_4plusIvEEiEEDaPvRmT3_T4_T5_mT6_P12ihipStream_tbENKUlT_T0_E_clISt17integral_constantIbLb1EESU_EEDaSP_SQ_EUlSP_E0_NS1_11comp_targetILNS1_3genE4ELNS1_11target_archE910ELNS1_3gpuE8ELNS1_3repE0EEENS1_30default_config_static_selectorELNS0_4arch9wavefront6targetE1EEEvT1_,comdat
.Lfunc_end1369:
	.size	_ZN7rocprim17ROCPRIM_400000_NS6detail17trampoline_kernelINS0_14default_configENS1_20scan_config_selectorIiEEZZNS1_9scan_implILNS1_25lookback_scan_determinismE0ELb0ELb0ES3_N6thrust23THRUST_200600_302600_NS6detail15normal_iteratorINS9_10device_ptrIiEEEESE_iNS9_4plusIvEEiEEDaPvRmT3_T4_T5_mT6_P12ihipStream_tbENKUlT_T0_E_clISt17integral_constantIbLb1EESU_EEDaSP_SQ_EUlSP_E0_NS1_11comp_targetILNS1_3genE4ELNS1_11target_archE910ELNS1_3gpuE8ELNS1_3repE0EEENS1_30default_config_static_selectorELNS0_4arch9wavefront6targetE1EEEvT1_, .Lfunc_end1369-_ZN7rocprim17ROCPRIM_400000_NS6detail17trampoline_kernelINS0_14default_configENS1_20scan_config_selectorIiEEZZNS1_9scan_implILNS1_25lookback_scan_determinismE0ELb0ELb0ES3_N6thrust23THRUST_200600_302600_NS6detail15normal_iteratorINS9_10device_ptrIiEEEESE_iNS9_4plusIvEEiEEDaPvRmT3_T4_T5_mT6_P12ihipStream_tbENKUlT_T0_E_clISt17integral_constantIbLb1EESU_EEDaSP_SQ_EUlSP_E0_NS1_11comp_targetILNS1_3genE4ELNS1_11target_archE910ELNS1_3gpuE8ELNS1_3repE0EEENS1_30default_config_static_selectorELNS0_4arch9wavefront6targetE1EEEvT1_
                                        ; -- End function
	.section	.AMDGPU.csdata,"",@progbits
; Kernel info:
; codeLenInByte = 1556
; NumSgprs: 28
; NumVgprs: 27
; NumAgprs: 0
; TotalNumVgprs: 27
; ScratchSize: 0
; MemoryBound: 0
; FloatMode: 240
; IeeeMode: 1
; LDSByteSize: 5120 bytes/workgroup (compile time only)
; SGPRBlocks: 3
; VGPRBlocks: 3
; NumSGPRsForWavesPerEU: 28
; NumVGPRsForWavesPerEU: 27
; AccumOffset: 28
; Occupancy: 6
; WaveLimiterHint : 0
; COMPUTE_PGM_RSRC2:SCRATCH_EN: 0
; COMPUTE_PGM_RSRC2:USER_SGPR: 6
; COMPUTE_PGM_RSRC2:TRAP_HANDLER: 0
; COMPUTE_PGM_RSRC2:TGID_X_EN: 1
; COMPUTE_PGM_RSRC2:TGID_Y_EN: 0
; COMPUTE_PGM_RSRC2:TGID_Z_EN: 0
; COMPUTE_PGM_RSRC2:TIDIG_COMP_CNT: 0
; COMPUTE_PGM_RSRC3_GFX90A:ACCUM_OFFSET: 6
; COMPUTE_PGM_RSRC3_GFX90A:TG_SPLIT: 0
	.section	.text._ZN7rocprim17ROCPRIM_400000_NS6detail17trampoline_kernelINS0_14default_configENS1_20scan_config_selectorIiEEZZNS1_9scan_implILNS1_25lookback_scan_determinismE0ELb0ELb0ES3_N6thrust23THRUST_200600_302600_NS6detail15normal_iteratorINS9_10device_ptrIiEEEESE_iNS9_4plusIvEEiEEDaPvRmT3_T4_T5_mT6_P12ihipStream_tbENKUlT_T0_E_clISt17integral_constantIbLb1EESU_EEDaSP_SQ_EUlSP_E0_NS1_11comp_targetILNS1_3genE3ELNS1_11target_archE908ELNS1_3gpuE7ELNS1_3repE0EEENS1_30default_config_static_selectorELNS0_4arch9wavefront6targetE1EEEvT1_,"axG",@progbits,_ZN7rocprim17ROCPRIM_400000_NS6detail17trampoline_kernelINS0_14default_configENS1_20scan_config_selectorIiEEZZNS1_9scan_implILNS1_25lookback_scan_determinismE0ELb0ELb0ES3_N6thrust23THRUST_200600_302600_NS6detail15normal_iteratorINS9_10device_ptrIiEEEESE_iNS9_4plusIvEEiEEDaPvRmT3_T4_T5_mT6_P12ihipStream_tbENKUlT_T0_E_clISt17integral_constantIbLb1EESU_EEDaSP_SQ_EUlSP_E0_NS1_11comp_targetILNS1_3genE3ELNS1_11target_archE908ELNS1_3gpuE7ELNS1_3repE0EEENS1_30default_config_static_selectorELNS0_4arch9wavefront6targetE1EEEvT1_,comdat
	.protected	_ZN7rocprim17ROCPRIM_400000_NS6detail17trampoline_kernelINS0_14default_configENS1_20scan_config_selectorIiEEZZNS1_9scan_implILNS1_25lookback_scan_determinismE0ELb0ELb0ES3_N6thrust23THRUST_200600_302600_NS6detail15normal_iteratorINS9_10device_ptrIiEEEESE_iNS9_4plusIvEEiEEDaPvRmT3_T4_T5_mT6_P12ihipStream_tbENKUlT_T0_E_clISt17integral_constantIbLb1EESU_EEDaSP_SQ_EUlSP_E0_NS1_11comp_targetILNS1_3genE3ELNS1_11target_archE908ELNS1_3gpuE7ELNS1_3repE0EEENS1_30default_config_static_selectorELNS0_4arch9wavefront6targetE1EEEvT1_ ; -- Begin function _ZN7rocprim17ROCPRIM_400000_NS6detail17trampoline_kernelINS0_14default_configENS1_20scan_config_selectorIiEEZZNS1_9scan_implILNS1_25lookback_scan_determinismE0ELb0ELb0ES3_N6thrust23THRUST_200600_302600_NS6detail15normal_iteratorINS9_10device_ptrIiEEEESE_iNS9_4plusIvEEiEEDaPvRmT3_T4_T5_mT6_P12ihipStream_tbENKUlT_T0_E_clISt17integral_constantIbLb1EESU_EEDaSP_SQ_EUlSP_E0_NS1_11comp_targetILNS1_3genE3ELNS1_11target_archE908ELNS1_3gpuE7ELNS1_3repE0EEENS1_30default_config_static_selectorELNS0_4arch9wavefront6targetE1EEEvT1_
	.globl	_ZN7rocprim17ROCPRIM_400000_NS6detail17trampoline_kernelINS0_14default_configENS1_20scan_config_selectorIiEEZZNS1_9scan_implILNS1_25lookback_scan_determinismE0ELb0ELb0ES3_N6thrust23THRUST_200600_302600_NS6detail15normal_iteratorINS9_10device_ptrIiEEEESE_iNS9_4plusIvEEiEEDaPvRmT3_T4_T5_mT6_P12ihipStream_tbENKUlT_T0_E_clISt17integral_constantIbLb1EESU_EEDaSP_SQ_EUlSP_E0_NS1_11comp_targetILNS1_3genE3ELNS1_11target_archE908ELNS1_3gpuE7ELNS1_3repE0EEENS1_30default_config_static_selectorELNS0_4arch9wavefront6targetE1EEEvT1_
	.p2align	8
	.type	_ZN7rocprim17ROCPRIM_400000_NS6detail17trampoline_kernelINS0_14default_configENS1_20scan_config_selectorIiEEZZNS1_9scan_implILNS1_25lookback_scan_determinismE0ELb0ELb0ES3_N6thrust23THRUST_200600_302600_NS6detail15normal_iteratorINS9_10device_ptrIiEEEESE_iNS9_4plusIvEEiEEDaPvRmT3_T4_T5_mT6_P12ihipStream_tbENKUlT_T0_E_clISt17integral_constantIbLb1EESU_EEDaSP_SQ_EUlSP_E0_NS1_11comp_targetILNS1_3genE3ELNS1_11target_archE908ELNS1_3gpuE7ELNS1_3repE0EEENS1_30default_config_static_selectorELNS0_4arch9wavefront6targetE1EEEvT1_,@function
_ZN7rocprim17ROCPRIM_400000_NS6detail17trampoline_kernelINS0_14default_configENS1_20scan_config_selectorIiEEZZNS1_9scan_implILNS1_25lookback_scan_determinismE0ELb0ELb0ES3_N6thrust23THRUST_200600_302600_NS6detail15normal_iteratorINS9_10device_ptrIiEEEESE_iNS9_4plusIvEEiEEDaPvRmT3_T4_T5_mT6_P12ihipStream_tbENKUlT_T0_E_clISt17integral_constantIbLb1EESU_EEDaSP_SQ_EUlSP_E0_NS1_11comp_targetILNS1_3genE3ELNS1_11target_archE908ELNS1_3gpuE7ELNS1_3repE0EEENS1_30default_config_static_selectorELNS0_4arch9wavefront6targetE1EEEvT1_: ; @_ZN7rocprim17ROCPRIM_400000_NS6detail17trampoline_kernelINS0_14default_configENS1_20scan_config_selectorIiEEZZNS1_9scan_implILNS1_25lookback_scan_determinismE0ELb0ELb0ES3_N6thrust23THRUST_200600_302600_NS6detail15normal_iteratorINS9_10device_ptrIiEEEESE_iNS9_4plusIvEEiEEDaPvRmT3_T4_T5_mT6_P12ihipStream_tbENKUlT_T0_E_clISt17integral_constantIbLb1EESU_EEDaSP_SQ_EUlSP_E0_NS1_11comp_targetILNS1_3genE3ELNS1_11target_archE908ELNS1_3gpuE7ELNS1_3repE0EEENS1_30default_config_static_selectorELNS0_4arch9wavefront6targetE1EEEvT1_
; %bb.0:
	.section	.rodata,"a",@progbits
	.p2align	6, 0x0
	.amdhsa_kernel _ZN7rocprim17ROCPRIM_400000_NS6detail17trampoline_kernelINS0_14default_configENS1_20scan_config_selectorIiEEZZNS1_9scan_implILNS1_25lookback_scan_determinismE0ELb0ELb0ES3_N6thrust23THRUST_200600_302600_NS6detail15normal_iteratorINS9_10device_ptrIiEEEESE_iNS9_4plusIvEEiEEDaPvRmT3_T4_T5_mT6_P12ihipStream_tbENKUlT_T0_E_clISt17integral_constantIbLb1EESU_EEDaSP_SQ_EUlSP_E0_NS1_11comp_targetILNS1_3genE3ELNS1_11target_archE908ELNS1_3gpuE7ELNS1_3repE0EEENS1_30default_config_static_selectorELNS0_4arch9wavefront6targetE1EEEvT1_
		.amdhsa_group_segment_fixed_size 0
		.amdhsa_private_segment_fixed_size 0
		.amdhsa_kernarg_size 32
		.amdhsa_user_sgpr_count 6
		.amdhsa_user_sgpr_private_segment_buffer 1
		.amdhsa_user_sgpr_dispatch_ptr 0
		.amdhsa_user_sgpr_queue_ptr 0
		.amdhsa_user_sgpr_kernarg_segment_ptr 1
		.amdhsa_user_sgpr_dispatch_id 0
		.amdhsa_user_sgpr_flat_scratch_init 0
		.amdhsa_user_sgpr_kernarg_preload_length 0
		.amdhsa_user_sgpr_kernarg_preload_offset 0
		.amdhsa_user_sgpr_private_segment_size 0
		.amdhsa_uses_dynamic_stack 0
		.amdhsa_system_sgpr_private_segment_wavefront_offset 0
		.amdhsa_system_sgpr_workgroup_id_x 1
		.amdhsa_system_sgpr_workgroup_id_y 0
		.amdhsa_system_sgpr_workgroup_id_z 0
		.amdhsa_system_sgpr_workgroup_info 0
		.amdhsa_system_vgpr_workitem_id 0
		.amdhsa_next_free_vgpr 1
		.amdhsa_next_free_sgpr 0
		.amdhsa_accum_offset 4
		.amdhsa_reserve_vcc 0
		.amdhsa_reserve_flat_scratch 0
		.amdhsa_float_round_mode_32 0
		.amdhsa_float_round_mode_16_64 0
		.amdhsa_float_denorm_mode_32 3
		.amdhsa_float_denorm_mode_16_64 3
		.amdhsa_dx10_clamp 1
		.amdhsa_ieee_mode 1
		.amdhsa_fp16_overflow 0
		.amdhsa_tg_split 0
		.amdhsa_exception_fp_ieee_invalid_op 0
		.amdhsa_exception_fp_denorm_src 0
		.amdhsa_exception_fp_ieee_div_zero 0
		.amdhsa_exception_fp_ieee_overflow 0
		.amdhsa_exception_fp_ieee_underflow 0
		.amdhsa_exception_fp_ieee_inexact 0
		.amdhsa_exception_int_div_zero 0
	.end_amdhsa_kernel
	.section	.text._ZN7rocprim17ROCPRIM_400000_NS6detail17trampoline_kernelINS0_14default_configENS1_20scan_config_selectorIiEEZZNS1_9scan_implILNS1_25lookback_scan_determinismE0ELb0ELb0ES3_N6thrust23THRUST_200600_302600_NS6detail15normal_iteratorINS9_10device_ptrIiEEEESE_iNS9_4plusIvEEiEEDaPvRmT3_T4_T5_mT6_P12ihipStream_tbENKUlT_T0_E_clISt17integral_constantIbLb1EESU_EEDaSP_SQ_EUlSP_E0_NS1_11comp_targetILNS1_3genE3ELNS1_11target_archE908ELNS1_3gpuE7ELNS1_3repE0EEENS1_30default_config_static_selectorELNS0_4arch9wavefront6targetE1EEEvT1_,"axG",@progbits,_ZN7rocprim17ROCPRIM_400000_NS6detail17trampoline_kernelINS0_14default_configENS1_20scan_config_selectorIiEEZZNS1_9scan_implILNS1_25lookback_scan_determinismE0ELb0ELb0ES3_N6thrust23THRUST_200600_302600_NS6detail15normal_iteratorINS9_10device_ptrIiEEEESE_iNS9_4plusIvEEiEEDaPvRmT3_T4_T5_mT6_P12ihipStream_tbENKUlT_T0_E_clISt17integral_constantIbLb1EESU_EEDaSP_SQ_EUlSP_E0_NS1_11comp_targetILNS1_3genE3ELNS1_11target_archE908ELNS1_3gpuE7ELNS1_3repE0EEENS1_30default_config_static_selectorELNS0_4arch9wavefront6targetE1EEEvT1_,comdat
.Lfunc_end1370:
	.size	_ZN7rocprim17ROCPRIM_400000_NS6detail17trampoline_kernelINS0_14default_configENS1_20scan_config_selectorIiEEZZNS1_9scan_implILNS1_25lookback_scan_determinismE0ELb0ELb0ES3_N6thrust23THRUST_200600_302600_NS6detail15normal_iteratorINS9_10device_ptrIiEEEESE_iNS9_4plusIvEEiEEDaPvRmT3_T4_T5_mT6_P12ihipStream_tbENKUlT_T0_E_clISt17integral_constantIbLb1EESU_EEDaSP_SQ_EUlSP_E0_NS1_11comp_targetILNS1_3genE3ELNS1_11target_archE908ELNS1_3gpuE7ELNS1_3repE0EEENS1_30default_config_static_selectorELNS0_4arch9wavefront6targetE1EEEvT1_, .Lfunc_end1370-_ZN7rocprim17ROCPRIM_400000_NS6detail17trampoline_kernelINS0_14default_configENS1_20scan_config_selectorIiEEZZNS1_9scan_implILNS1_25lookback_scan_determinismE0ELb0ELb0ES3_N6thrust23THRUST_200600_302600_NS6detail15normal_iteratorINS9_10device_ptrIiEEEESE_iNS9_4plusIvEEiEEDaPvRmT3_T4_T5_mT6_P12ihipStream_tbENKUlT_T0_E_clISt17integral_constantIbLb1EESU_EEDaSP_SQ_EUlSP_E0_NS1_11comp_targetILNS1_3genE3ELNS1_11target_archE908ELNS1_3gpuE7ELNS1_3repE0EEENS1_30default_config_static_selectorELNS0_4arch9wavefront6targetE1EEEvT1_
                                        ; -- End function
	.section	.AMDGPU.csdata,"",@progbits
; Kernel info:
; codeLenInByte = 0
; NumSgprs: 4
; NumVgprs: 0
; NumAgprs: 0
; TotalNumVgprs: 0
; ScratchSize: 0
; MemoryBound: 0
; FloatMode: 240
; IeeeMode: 1
; LDSByteSize: 0 bytes/workgroup (compile time only)
; SGPRBlocks: 0
; VGPRBlocks: 0
; NumSGPRsForWavesPerEU: 4
; NumVGPRsForWavesPerEU: 1
; AccumOffset: 4
; Occupancy: 8
; WaveLimiterHint : 0
; COMPUTE_PGM_RSRC2:SCRATCH_EN: 0
; COMPUTE_PGM_RSRC2:USER_SGPR: 6
; COMPUTE_PGM_RSRC2:TRAP_HANDLER: 0
; COMPUTE_PGM_RSRC2:TGID_X_EN: 1
; COMPUTE_PGM_RSRC2:TGID_Y_EN: 0
; COMPUTE_PGM_RSRC2:TGID_Z_EN: 0
; COMPUTE_PGM_RSRC2:TIDIG_COMP_CNT: 0
; COMPUTE_PGM_RSRC3_GFX90A:ACCUM_OFFSET: 0
; COMPUTE_PGM_RSRC3_GFX90A:TG_SPLIT: 0
	.section	.text._ZN7rocprim17ROCPRIM_400000_NS6detail17trampoline_kernelINS0_14default_configENS1_20scan_config_selectorIiEEZZNS1_9scan_implILNS1_25lookback_scan_determinismE0ELb0ELb0ES3_N6thrust23THRUST_200600_302600_NS6detail15normal_iteratorINS9_10device_ptrIiEEEESE_iNS9_4plusIvEEiEEDaPvRmT3_T4_T5_mT6_P12ihipStream_tbENKUlT_T0_E_clISt17integral_constantIbLb1EESU_EEDaSP_SQ_EUlSP_E0_NS1_11comp_targetILNS1_3genE2ELNS1_11target_archE906ELNS1_3gpuE6ELNS1_3repE0EEENS1_30default_config_static_selectorELNS0_4arch9wavefront6targetE1EEEvT1_,"axG",@progbits,_ZN7rocprim17ROCPRIM_400000_NS6detail17trampoline_kernelINS0_14default_configENS1_20scan_config_selectorIiEEZZNS1_9scan_implILNS1_25lookback_scan_determinismE0ELb0ELb0ES3_N6thrust23THRUST_200600_302600_NS6detail15normal_iteratorINS9_10device_ptrIiEEEESE_iNS9_4plusIvEEiEEDaPvRmT3_T4_T5_mT6_P12ihipStream_tbENKUlT_T0_E_clISt17integral_constantIbLb1EESU_EEDaSP_SQ_EUlSP_E0_NS1_11comp_targetILNS1_3genE2ELNS1_11target_archE906ELNS1_3gpuE6ELNS1_3repE0EEENS1_30default_config_static_selectorELNS0_4arch9wavefront6targetE1EEEvT1_,comdat
	.protected	_ZN7rocprim17ROCPRIM_400000_NS6detail17trampoline_kernelINS0_14default_configENS1_20scan_config_selectorIiEEZZNS1_9scan_implILNS1_25lookback_scan_determinismE0ELb0ELb0ES3_N6thrust23THRUST_200600_302600_NS6detail15normal_iteratorINS9_10device_ptrIiEEEESE_iNS9_4plusIvEEiEEDaPvRmT3_T4_T5_mT6_P12ihipStream_tbENKUlT_T0_E_clISt17integral_constantIbLb1EESU_EEDaSP_SQ_EUlSP_E0_NS1_11comp_targetILNS1_3genE2ELNS1_11target_archE906ELNS1_3gpuE6ELNS1_3repE0EEENS1_30default_config_static_selectorELNS0_4arch9wavefront6targetE1EEEvT1_ ; -- Begin function _ZN7rocprim17ROCPRIM_400000_NS6detail17trampoline_kernelINS0_14default_configENS1_20scan_config_selectorIiEEZZNS1_9scan_implILNS1_25lookback_scan_determinismE0ELb0ELb0ES3_N6thrust23THRUST_200600_302600_NS6detail15normal_iteratorINS9_10device_ptrIiEEEESE_iNS9_4plusIvEEiEEDaPvRmT3_T4_T5_mT6_P12ihipStream_tbENKUlT_T0_E_clISt17integral_constantIbLb1EESU_EEDaSP_SQ_EUlSP_E0_NS1_11comp_targetILNS1_3genE2ELNS1_11target_archE906ELNS1_3gpuE6ELNS1_3repE0EEENS1_30default_config_static_selectorELNS0_4arch9wavefront6targetE1EEEvT1_
	.globl	_ZN7rocprim17ROCPRIM_400000_NS6detail17trampoline_kernelINS0_14default_configENS1_20scan_config_selectorIiEEZZNS1_9scan_implILNS1_25lookback_scan_determinismE0ELb0ELb0ES3_N6thrust23THRUST_200600_302600_NS6detail15normal_iteratorINS9_10device_ptrIiEEEESE_iNS9_4plusIvEEiEEDaPvRmT3_T4_T5_mT6_P12ihipStream_tbENKUlT_T0_E_clISt17integral_constantIbLb1EESU_EEDaSP_SQ_EUlSP_E0_NS1_11comp_targetILNS1_3genE2ELNS1_11target_archE906ELNS1_3gpuE6ELNS1_3repE0EEENS1_30default_config_static_selectorELNS0_4arch9wavefront6targetE1EEEvT1_
	.p2align	8
	.type	_ZN7rocprim17ROCPRIM_400000_NS6detail17trampoline_kernelINS0_14default_configENS1_20scan_config_selectorIiEEZZNS1_9scan_implILNS1_25lookback_scan_determinismE0ELb0ELb0ES3_N6thrust23THRUST_200600_302600_NS6detail15normal_iteratorINS9_10device_ptrIiEEEESE_iNS9_4plusIvEEiEEDaPvRmT3_T4_T5_mT6_P12ihipStream_tbENKUlT_T0_E_clISt17integral_constantIbLb1EESU_EEDaSP_SQ_EUlSP_E0_NS1_11comp_targetILNS1_3genE2ELNS1_11target_archE906ELNS1_3gpuE6ELNS1_3repE0EEENS1_30default_config_static_selectorELNS0_4arch9wavefront6targetE1EEEvT1_,@function
_ZN7rocprim17ROCPRIM_400000_NS6detail17trampoline_kernelINS0_14default_configENS1_20scan_config_selectorIiEEZZNS1_9scan_implILNS1_25lookback_scan_determinismE0ELb0ELb0ES3_N6thrust23THRUST_200600_302600_NS6detail15normal_iteratorINS9_10device_ptrIiEEEESE_iNS9_4plusIvEEiEEDaPvRmT3_T4_T5_mT6_P12ihipStream_tbENKUlT_T0_E_clISt17integral_constantIbLb1EESU_EEDaSP_SQ_EUlSP_E0_NS1_11comp_targetILNS1_3genE2ELNS1_11target_archE906ELNS1_3gpuE6ELNS1_3repE0EEENS1_30default_config_static_selectorELNS0_4arch9wavefront6targetE1EEEvT1_: ; @_ZN7rocprim17ROCPRIM_400000_NS6detail17trampoline_kernelINS0_14default_configENS1_20scan_config_selectorIiEEZZNS1_9scan_implILNS1_25lookback_scan_determinismE0ELb0ELb0ES3_N6thrust23THRUST_200600_302600_NS6detail15normal_iteratorINS9_10device_ptrIiEEEESE_iNS9_4plusIvEEiEEDaPvRmT3_T4_T5_mT6_P12ihipStream_tbENKUlT_T0_E_clISt17integral_constantIbLb1EESU_EEDaSP_SQ_EUlSP_E0_NS1_11comp_targetILNS1_3genE2ELNS1_11target_archE906ELNS1_3gpuE6ELNS1_3repE0EEENS1_30default_config_static_selectorELNS0_4arch9wavefront6targetE1EEEvT1_
; %bb.0:
	.section	.rodata,"a",@progbits
	.p2align	6, 0x0
	.amdhsa_kernel _ZN7rocprim17ROCPRIM_400000_NS6detail17trampoline_kernelINS0_14default_configENS1_20scan_config_selectorIiEEZZNS1_9scan_implILNS1_25lookback_scan_determinismE0ELb0ELb0ES3_N6thrust23THRUST_200600_302600_NS6detail15normal_iteratorINS9_10device_ptrIiEEEESE_iNS9_4plusIvEEiEEDaPvRmT3_T4_T5_mT6_P12ihipStream_tbENKUlT_T0_E_clISt17integral_constantIbLb1EESU_EEDaSP_SQ_EUlSP_E0_NS1_11comp_targetILNS1_3genE2ELNS1_11target_archE906ELNS1_3gpuE6ELNS1_3repE0EEENS1_30default_config_static_selectorELNS0_4arch9wavefront6targetE1EEEvT1_
		.amdhsa_group_segment_fixed_size 0
		.amdhsa_private_segment_fixed_size 0
		.amdhsa_kernarg_size 32
		.amdhsa_user_sgpr_count 6
		.amdhsa_user_sgpr_private_segment_buffer 1
		.amdhsa_user_sgpr_dispatch_ptr 0
		.amdhsa_user_sgpr_queue_ptr 0
		.amdhsa_user_sgpr_kernarg_segment_ptr 1
		.amdhsa_user_sgpr_dispatch_id 0
		.amdhsa_user_sgpr_flat_scratch_init 0
		.amdhsa_user_sgpr_kernarg_preload_length 0
		.amdhsa_user_sgpr_kernarg_preload_offset 0
		.amdhsa_user_sgpr_private_segment_size 0
		.amdhsa_uses_dynamic_stack 0
		.amdhsa_system_sgpr_private_segment_wavefront_offset 0
		.amdhsa_system_sgpr_workgroup_id_x 1
		.amdhsa_system_sgpr_workgroup_id_y 0
		.amdhsa_system_sgpr_workgroup_id_z 0
		.amdhsa_system_sgpr_workgroup_info 0
		.amdhsa_system_vgpr_workitem_id 0
		.amdhsa_next_free_vgpr 1
		.amdhsa_next_free_sgpr 0
		.amdhsa_accum_offset 4
		.amdhsa_reserve_vcc 0
		.amdhsa_reserve_flat_scratch 0
		.amdhsa_float_round_mode_32 0
		.amdhsa_float_round_mode_16_64 0
		.amdhsa_float_denorm_mode_32 3
		.amdhsa_float_denorm_mode_16_64 3
		.amdhsa_dx10_clamp 1
		.amdhsa_ieee_mode 1
		.amdhsa_fp16_overflow 0
		.amdhsa_tg_split 0
		.amdhsa_exception_fp_ieee_invalid_op 0
		.amdhsa_exception_fp_denorm_src 0
		.amdhsa_exception_fp_ieee_div_zero 0
		.amdhsa_exception_fp_ieee_overflow 0
		.amdhsa_exception_fp_ieee_underflow 0
		.amdhsa_exception_fp_ieee_inexact 0
		.amdhsa_exception_int_div_zero 0
	.end_amdhsa_kernel
	.section	.text._ZN7rocprim17ROCPRIM_400000_NS6detail17trampoline_kernelINS0_14default_configENS1_20scan_config_selectorIiEEZZNS1_9scan_implILNS1_25lookback_scan_determinismE0ELb0ELb0ES3_N6thrust23THRUST_200600_302600_NS6detail15normal_iteratorINS9_10device_ptrIiEEEESE_iNS9_4plusIvEEiEEDaPvRmT3_T4_T5_mT6_P12ihipStream_tbENKUlT_T0_E_clISt17integral_constantIbLb1EESU_EEDaSP_SQ_EUlSP_E0_NS1_11comp_targetILNS1_3genE2ELNS1_11target_archE906ELNS1_3gpuE6ELNS1_3repE0EEENS1_30default_config_static_selectorELNS0_4arch9wavefront6targetE1EEEvT1_,"axG",@progbits,_ZN7rocprim17ROCPRIM_400000_NS6detail17trampoline_kernelINS0_14default_configENS1_20scan_config_selectorIiEEZZNS1_9scan_implILNS1_25lookback_scan_determinismE0ELb0ELb0ES3_N6thrust23THRUST_200600_302600_NS6detail15normal_iteratorINS9_10device_ptrIiEEEESE_iNS9_4plusIvEEiEEDaPvRmT3_T4_T5_mT6_P12ihipStream_tbENKUlT_T0_E_clISt17integral_constantIbLb1EESU_EEDaSP_SQ_EUlSP_E0_NS1_11comp_targetILNS1_3genE2ELNS1_11target_archE906ELNS1_3gpuE6ELNS1_3repE0EEENS1_30default_config_static_selectorELNS0_4arch9wavefront6targetE1EEEvT1_,comdat
.Lfunc_end1371:
	.size	_ZN7rocprim17ROCPRIM_400000_NS6detail17trampoline_kernelINS0_14default_configENS1_20scan_config_selectorIiEEZZNS1_9scan_implILNS1_25lookback_scan_determinismE0ELb0ELb0ES3_N6thrust23THRUST_200600_302600_NS6detail15normal_iteratorINS9_10device_ptrIiEEEESE_iNS9_4plusIvEEiEEDaPvRmT3_T4_T5_mT6_P12ihipStream_tbENKUlT_T0_E_clISt17integral_constantIbLb1EESU_EEDaSP_SQ_EUlSP_E0_NS1_11comp_targetILNS1_3genE2ELNS1_11target_archE906ELNS1_3gpuE6ELNS1_3repE0EEENS1_30default_config_static_selectorELNS0_4arch9wavefront6targetE1EEEvT1_, .Lfunc_end1371-_ZN7rocprim17ROCPRIM_400000_NS6detail17trampoline_kernelINS0_14default_configENS1_20scan_config_selectorIiEEZZNS1_9scan_implILNS1_25lookback_scan_determinismE0ELb0ELb0ES3_N6thrust23THRUST_200600_302600_NS6detail15normal_iteratorINS9_10device_ptrIiEEEESE_iNS9_4plusIvEEiEEDaPvRmT3_T4_T5_mT6_P12ihipStream_tbENKUlT_T0_E_clISt17integral_constantIbLb1EESU_EEDaSP_SQ_EUlSP_E0_NS1_11comp_targetILNS1_3genE2ELNS1_11target_archE906ELNS1_3gpuE6ELNS1_3repE0EEENS1_30default_config_static_selectorELNS0_4arch9wavefront6targetE1EEEvT1_
                                        ; -- End function
	.section	.AMDGPU.csdata,"",@progbits
; Kernel info:
; codeLenInByte = 0
; NumSgprs: 4
; NumVgprs: 0
; NumAgprs: 0
; TotalNumVgprs: 0
; ScratchSize: 0
; MemoryBound: 0
; FloatMode: 240
; IeeeMode: 1
; LDSByteSize: 0 bytes/workgroup (compile time only)
; SGPRBlocks: 0
; VGPRBlocks: 0
; NumSGPRsForWavesPerEU: 4
; NumVGPRsForWavesPerEU: 1
; AccumOffset: 4
; Occupancy: 8
; WaveLimiterHint : 0
; COMPUTE_PGM_RSRC2:SCRATCH_EN: 0
; COMPUTE_PGM_RSRC2:USER_SGPR: 6
; COMPUTE_PGM_RSRC2:TRAP_HANDLER: 0
; COMPUTE_PGM_RSRC2:TGID_X_EN: 1
; COMPUTE_PGM_RSRC2:TGID_Y_EN: 0
; COMPUTE_PGM_RSRC2:TGID_Z_EN: 0
; COMPUTE_PGM_RSRC2:TIDIG_COMP_CNT: 0
; COMPUTE_PGM_RSRC3_GFX90A:ACCUM_OFFSET: 0
; COMPUTE_PGM_RSRC3_GFX90A:TG_SPLIT: 0
	.section	.text._ZN7rocprim17ROCPRIM_400000_NS6detail17trampoline_kernelINS0_14default_configENS1_20scan_config_selectorIiEEZZNS1_9scan_implILNS1_25lookback_scan_determinismE0ELb0ELb0ES3_N6thrust23THRUST_200600_302600_NS6detail15normal_iteratorINS9_10device_ptrIiEEEESE_iNS9_4plusIvEEiEEDaPvRmT3_T4_T5_mT6_P12ihipStream_tbENKUlT_T0_E_clISt17integral_constantIbLb1EESU_EEDaSP_SQ_EUlSP_E0_NS1_11comp_targetILNS1_3genE10ELNS1_11target_archE1201ELNS1_3gpuE5ELNS1_3repE0EEENS1_30default_config_static_selectorELNS0_4arch9wavefront6targetE1EEEvT1_,"axG",@progbits,_ZN7rocprim17ROCPRIM_400000_NS6detail17trampoline_kernelINS0_14default_configENS1_20scan_config_selectorIiEEZZNS1_9scan_implILNS1_25lookback_scan_determinismE0ELb0ELb0ES3_N6thrust23THRUST_200600_302600_NS6detail15normal_iteratorINS9_10device_ptrIiEEEESE_iNS9_4plusIvEEiEEDaPvRmT3_T4_T5_mT6_P12ihipStream_tbENKUlT_T0_E_clISt17integral_constantIbLb1EESU_EEDaSP_SQ_EUlSP_E0_NS1_11comp_targetILNS1_3genE10ELNS1_11target_archE1201ELNS1_3gpuE5ELNS1_3repE0EEENS1_30default_config_static_selectorELNS0_4arch9wavefront6targetE1EEEvT1_,comdat
	.protected	_ZN7rocprim17ROCPRIM_400000_NS6detail17trampoline_kernelINS0_14default_configENS1_20scan_config_selectorIiEEZZNS1_9scan_implILNS1_25lookback_scan_determinismE0ELb0ELb0ES3_N6thrust23THRUST_200600_302600_NS6detail15normal_iteratorINS9_10device_ptrIiEEEESE_iNS9_4plusIvEEiEEDaPvRmT3_T4_T5_mT6_P12ihipStream_tbENKUlT_T0_E_clISt17integral_constantIbLb1EESU_EEDaSP_SQ_EUlSP_E0_NS1_11comp_targetILNS1_3genE10ELNS1_11target_archE1201ELNS1_3gpuE5ELNS1_3repE0EEENS1_30default_config_static_selectorELNS0_4arch9wavefront6targetE1EEEvT1_ ; -- Begin function _ZN7rocprim17ROCPRIM_400000_NS6detail17trampoline_kernelINS0_14default_configENS1_20scan_config_selectorIiEEZZNS1_9scan_implILNS1_25lookback_scan_determinismE0ELb0ELb0ES3_N6thrust23THRUST_200600_302600_NS6detail15normal_iteratorINS9_10device_ptrIiEEEESE_iNS9_4plusIvEEiEEDaPvRmT3_T4_T5_mT6_P12ihipStream_tbENKUlT_T0_E_clISt17integral_constantIbLb1EESU_EEDaSP_SQ_EUlSP_E0_NS1_11comp_targetILNS1_3genE10ELNS1_11target_archE1201ELNS1_3gpuE5ELNS1_3repE0EEENS1_30default_config_static_selectorELNS0_4arch9wavefront6targetE1EEEvT1_
	.globl	_ZN7rocprim17ROCPRIM_400000_NS6detail17trampoline_kernelINS0_14default_configENS1_20scan_config_selectorIiEEZZNS1_9scan_implILNS1_25lookback_scan_determinismE0ELb0ELb0ES3_N6thrust23THRUST_200600_302600_NS6detail15normal_iteratorINS9_10device_ptrIiEEEESE_iNS9_4plusIvEEiEEDaPvRmT3_T4_T5_mT6_P12ihipStream_tbENKUlT_T0_E_clISt17integral_constantIbLb1EESU_EEDaSP_SQ_EUlSP_E0_NS1_11comp_targetILNS1_3genE10ELNS1_11target_archE1201ELNS1_3gpuE5ELNS1_3repE0EEENS1_30default_config_static_selectorELNS0_4arch9wavefront6targetE1EEEvT1_
	.p2align	8
	.type	_ZN7rocprim17ROCPRIM_400000_NS6detail17trampoline_kernelINS0_14default_configENS1_20scan_config_selectorIiEEZZNS1_9scan_implILNS1_25lookback_scan_determinismE0ELb0ELb0ES3_N6thrust23THRUST_200600_302600_NS6detail15normal_iteratorINS9_10device_ptrIiEEEESE_iNS9_4plusIvEEiEEDaPvRmT3_T4_T5_mT6_P12ihipStream_tbENKUlT_T0_E_clISt17integral_constantIbLb1EESU_EEDaSP_SQ_EUlSP_E0_NS1_11comp_targetILNS1_3genE10ELNS1_11target_archE1201ELNS1_3gpuE5ELNS1_3repE0EEENS1_30default_config_static_selectorELNS0_4arch9wavefront6targetE1EEEvT1_,@function
_ZN7rocprim17ROCPRIM_400000_NS6detail17trampoline_kernelINS0_14default_configENS1_20scan_config_selectorIiEEZZNS1_9scan_implILNS1_25lookback_scan_determinismE0ELb0ELb0ES3_N6thrust23THRUST_200600_302600_NS6detail15normal_iteratorINS9_10device_ptrIiEEEESE_iNS9_4plusIvEEiEEDaPvRmT3_T4_T5_mT6_P12ihipStream_tbENKUlT_T0_E_clISt17integral_constantIbLb1EESU_EEDaSP_SQ_EUlSP_E0_NS1_11comp_targetILNS1_3genE10ELNS1_11target_archE1201ELNS1_3gpuE5ELNS1_3repE0EEENS1_30default_config_static_selectorELNS0_4arch9wavefront6targetE1EEEvT1_: ; @_ZN7rocprim17ROCPRIM_400000_NS6detail17trampoline_kernelINS0_14default_configENS1_20scan_config_selectorIiEEZZNS1_9scan_implILNS1_25lookback_scan_determinismE0ELb0ELb0ES3_N6thrust23THRUST_200600_302600_NS6detail15normal_iteratorINS9_10device_ptrIiEEEESE_iNS9_4plusIvEEiEEDaPvRmT3_T4_T5_mT6_P12ihipStream_tbENKUlT_T0_E_clISt17integral_constantIbLb1EESU_EEDaSP_SQ_EUlSP_E0_NS1_11comp_targetILNS1_3genE10ELNS1_11target_archE1201ELNS1_3gpuE5ELNS1_3repE0EEENS1_30default_config_static_selectorELNS0_4arch9wavefront6targetE1EEEvT1_
; %bb.0:
	.section	.rodata,"a",@progbits
	.p2align	6, 0x0
	.amdhsa_kernel _ZN7rocprim17ROCPRIM_400000_NS6detail17trampoline_kernelINS0_14default_configENS1_20scan_config_selectorIiEEZZNS1_9scan_implILNS1_25lookback_scan_determinismE0ELb0ELb0ES3_N6thrust23THRUST_200600_302600_NS6detail15normal_iteratorINS9_10device_ptrIiEEEESE_iNS9_4plusIvEEiEEDaPvRmT3_T4_T5_mT6_P12ihipStream_tbENKUlT_T0_E_clISt17integral_constantIbLb1EESU_EEDaSP_SQ_EUlSP_E0_NS1_11comp_targetILNS1_3genE10ELNS1_11target_archE1201ELNS1_3gpuE5ELNS1_3repE0EEENS1_30default_config_static_selectorELNS0_4arch9wavefront6targetE1EEEvT1_
		.amdhsa_group_segment_fixed_size 0
		.amdhsa_private_segment_fixed_size 0
		.amdhsa_kernarg_size 32
		.amdhsa_user_sgpr_count 6
		.amdhsa_user_sgpr_private_segment_buffer 1
		.amdhsa_user_sgpr_dispatch_ptr 0
		.amdhsa_user_sgpr_queue_ptr 0
		.amdhsa_user_sgpr_kernarg_segment_ptr 1
		.amdhsa_user_sgpr_dispatch_id 0
		.amdhsa_user_sgpr_flat_scratch_init 0
		.amdhsa_user_sgpr_kernarg_preload_length 0
		.amdhsa_user_sgpr_kernarg_preload_offset 0
		.amdhsa_user_sgpr_private_segment_size 0
		.amdhsa_uses_dynamic_stack 0
		.amdhsa_system_sgpr_private_segment_wavefront_offset 0
		.amdhsa_system_sgpr_workgroup_id_x 1
		.amdhsa_system_sgpr_workgroup_id_y 0
		.amdhsa_system_sgpr_workgroup_id_z 0
		.amdhsa_system_sgpr_workgroup_info 0
		.amdhsa_system_vgpr_workitem_id 0
		.amdhsa_next_free_vgpr 1
		.amdhsa_next_free_sgpr 0
		.amdhsa_accum_offset 4
		.amdhsa_reserve_vcc 0
		.amdhsa_reserve_flat_scratch 0
		.amdhsa_float_round_mode_32 0
		.amdhsa_float_round_mode_16_64 0
		.amdhsa_float_denorm_mode_32 3
		.amdhsa_float_denorm_mode_16_64 3
		.amdhsa_dx10_clamp 1
		.amdhsa_ieee_mode 1
		.amdhsa_fp16_overflow 0
		.amdhsa_tg_split 0
		.amdhsa_exception_fp_ieee_invalid_op 0
		.amdhsa_exception_fp_denorm_src 0
		.amdhsa_exception_fp_ieee_div_zero 0
		.amdhsa_exception_fp_ieee_overflow 0
		.amdhsa_exception_fp_ieee_underflow 0
		.amdhsa_exception_fp_ieee_inexact 0
		.amdhsa_exception_int_div_zero 0
	.end_amdhsa_kernel
	.section	.text._ZN7rocprim17ROCPRIM_400000_NS6detail17trampoline_kernelINS0_14default_configENS1_20scan_config_selectorIiEEZZNS1_9scan_implILNS1_25lookback_scan_determinismE0ELb0ELb0ES3_N6thrust23THRUST_200600_302600_NS6detail15normal_iteratorINS9_10device_ptrIiEEEESE_iNS9_4plusIvEEiEEDaPvRmT3_T4_T5_mT6_P12ihipStream_tbENKUlT_T0_E_clISt17integral_constantIbLb1EESU_EEDaSP_SQ_EUlSP_E0_NS1_11comp_targetILNS1_3genE10ELNS1_11target_archE1201ELNS1_3gpuE5ELNS1_3repE0EEENS1_30default_config_static_selectorELNS0_4arch9wavefront6targetE1EEEvT1_,"axG",@progbits,_ZN7rocprim17ROCPRIM_400000_NS6detail17trampoline_kernelINS0_14default_configENS1_20scan_config_selectorIiEEZZNS1_9scan_implILNS1_25lookback_scan_determinismE0ELb0ELb0ES3_N6thrust23THRUST_200600_302600_NS6detail15normal_iteratorINS9_10device_ptrIiEEEESE_iNS9_4plusIvEEiEEDaPvRmT3_T4_T5_mT6_P12ihipStream_tbENKUlT_T0_E_clISt17integral_constantIbLb1EESU_EEDaSP_SQ_EUlSP_E0_NS1_11comp_targetILNS1_3genE10ELNS1_11target_archE1201ELNS1_3gpuE5ELNS1_3repE0EEENS1_30default_config_static_selectorELNS0_4arch9wavefront6targetE1EEEvT1_,comdat
.Lfunc_end1372:
	.size	_ZN7rocprim17ROCPRIM_400000_NS6detail17trampoline_kernelINS0_14default_configENS1_20scan_config_selectorIiEEZZNS1_9scan_implILNS1_25lookback_scan_determinismE0ELb0ELb0ES3_N6thrust23THRUST_200600_302600_NS6detail15normal_iteratorINS9_10device_ptrIiEEEESE_iNS9_4plusIvEEiEEDaPvRmT3_T4_T5_mT6_P12ihipStream_tbENKUlT_T0_E_clISt17integral_constantIbLb1EESU_EEDaSP_SQ_EUlSP_E0_NS1_11comp_targetILNS1_3genE10ELNS1_11target_archE1201ELNS1_3gpuE5ELNS1_3repE0EEENS1_30default_config_static_selectorELNS0_4arch9wavefront6targetE1EEEvT1_, .Lfunc_end1372-_ZN7rocprim17ROCPRIM_400000_NS6detail17trampoline_kernelINS0_14default_configENS1_20scan_config_selectorIiEEZZNS1_9scan_implILNS1_25lookback_scan_determinismE0ELb0ELb0ES3_N6thrust23THRUST_200600_302600_NS6detail15normal_iteratorINS9_10device_ptrIiEEEESE_iNS9_4plusIvEEiEEDaPvRmT3_T4_T5_mT6_P12ihipStream_tbENKUlT_T0_E_clISt17integral_constantIbLb1EESU_EEDaSP_SQ_EUlSP_E0_NS1_11comp_targetILNS1_3genE10ELNS1_11target_archE1201ELNS1_3gpuE5ELNS1_3repE0EEENS1_30default_config_static_selectorELNS0_4arch9wavefront6targetE1EEEvT1_
                                        ; -- End function
	.section	.AMDGPU.csdata,"",@progbits
; Kernel info:
; codeLenInByte = 0
; NumSgprs: 4
; NumVgprs: 0
; NumAgprs: 0
; TotalNumVgprs: 0
; ScratchSize: 0
; MemoryBound: 0
; FloatMode: 240
; IeeeMode: 1
; LDSByteSize: 0 bytes/workgroup (compile time only)
; SGPRBlocks: 0
; VGPRBlocks: 0
; NumSGPRsForWavesPerEU: 4
; NumVGPRsForWavesPerEU: 1
; AccumOffset: 4
; Occupancy: 8
; WaveLimiterHint : 0
; COMPUTE_PGM_RSRC2:SCRATCH_EN: 0
; COMPUTE_PGM_RSRC2:USER_SGPR: 6
; COMPUTE_PGM_RSRC2:TRAP_HANDLER: 0
; COMPUTE_PGM_RSRC2:TGID_X_EN: 1
; COMPUTE_PGM_RSRC2:TGID_Y_EN: 0
; COMPUTE_PGM_RSRC2:TGID_Z_EN: 0
; COMPUTE_PGM_RSRC2:TIDIG_COMP_CNT: 0
; COMPUTE_PGM_RSRC3_GFX90A:ACCUM_OFFSET: 0
; COMPUTE_PGM_RSRC3_GFX90A:TG_SPLIT: 0
	.section	.text._ZN7rocprim17ROCPRIM_400000_NS6detail17trampoline_kernelINS0_14default_configENS1_20scan_config_selectorIiEEZZNS1_9scan_implILNS1_25lookback_scan_determinismE0ELb0ELb0ES3_N6thrust23THRUST_200600_302600_NS6detail15normal_iteratorINS9_10device_ptrIiEEEESE_iNS9_4plusIvEEiEEDaPvRmT3_T4_T5_mT6_P12ihipStream_tbENKUlT_T0_E_clISt17integral_constantIbLb1EESU_EEDaSP_SQ_EUlSP_E0_NS1_11comp_targetILNS1_3genE10ELNS1_11target_archE1200ELNS1_3gpuE4ELNS1_3repE0EEENS1_30default_config_static_selectorELNS0_4arch9wavefront6targetE1EEEvT1_,"axG",@progbits,_ZN7rocprim17ROCPRIM_400000_NS6detail17trampoline_kernelINS0_14default_configENS1_20scan_config_selectorIiEEZZNS1_9scan_implILNS1_25lookback_scan_determinismE0ELb0ELb0ES3_N6thrust23THRUST_200600_302600_NS6detail15normal_iteratorINS9_10device_ptrIiEEEESE_iNS9_4plusIvEEiEEDaPvRmT3_T4_T5_mT6_P12ihipStream_tbENKUlT_T0_E_clISt17integral_constantIbLb1EESU_EEDaSP_SQ_EUlSP_E0_NS1_11comp_targetILNS1_3genE10ELNS1_11target_archE1200ELNS1_3gpuE4ELNS1_3repE0EEENS1_30default_config_static_selectorELNS0_4arch9wavefront6targetE1EEEvT1_,comdat
	.protected	_ZN7rocprim17ROCPRIM_400000_NS6detail17trampoline_kernelINS0_14default_configENS1_20scan_config_selectorIiEEZZNS1_9scan_implILNS1_25lookback_scan_determinismE0ELb0ELb0ES3_N6thrust23THRUST_200600_302600_NS6detail15normal_iteratorINS9_10device_ptrIiEEEESE_iNS9_4plusIvEEiEEDaPvRmT3_T4_T5_mT6_P12ihipStream_tbENKUlT_T0_E_clISt17integral_constantIbLb1EESU_EEDaSP_SQ_EUlSP_E0_NS1_11comp_targetILNS1_3genE10ELNS1_11target_archE1200ELNS1_3gpuE4ELNS1_3repE0EEENS1_30default_config_static_selectorELNS0_4arch9wavefront6targetE1EEEvT1_ ; -- Begin function _ZN7rocprim17ROCPRIM_400000_NS6detail17trampoline_kernelINS0_14default_configENS1_20scan_config_selectorIiEEZZNS1_9scan_implILNS1_25lookback_scan_determinismE0ELb0ELb0ES3_N6thrust23THRUST_200600_302600_NS6detail15normal_iteratorINS9_10device_ptrIiEEEESE_iNS9_4plusIvEEiEEDaPvRmT3_T4_T5_mT6_P12ihipStream_tbENKUlT_T0_E_clISt17integral_constantIbLb1EESU_EEDaSP_SQ_EUlSP_E0_NS1_11comp_targetILNS1_3genE10ELNS1_11target_archE1200ELNS1_3gpuE4ELNS1_3repE0EEENS1_30default_config_static_selectorELNS0_4arch9wavefront6targetE1EEEvT1_
	.globl	_ZN7rocprim17ROCPRIM_400000_NS6detail17trampoline_kernelINS0_14default_configENS1_20scan_config_selectorIiEEZZNS1_9scan_implILNS1_25lookback_scan_determinismE0ELb0ELb0ES3_N6thrust23THRUST_200600_302600_NS6detail15normal_iteratorINS9_10device_ptrIiEEEESE_iNS9_4plusIvEEiEEDaPvRmT3_T4_T5_mT6_P12ihipStream_tbENKUlT_T0_E_clISt17integral_constantIbLb1EESU_EEDaSP_SQ_EUlSP_E0_NS1_11comp_targetILNS1_3genE10ELNS1_11target_archE1200ELNS1_3gpuE4ELNS1_3repE0EEENS1_30default_config_static_selectorELNS0_4arch9wavefront6targetE1EEEvT1_
	.p2align	8
	.type	_ZN7rocprim17ROCPRIM_400000_NS6detail17trampoline_kernelINS0_14default_configENS1_20scan_config_selectorIiEEZZNS1_9scan_implILNS1_25lookback_scan_determinismE0ELb0ELb0ES3_N6thrust23THRUST_200600_302600_NS6detail15normal_iteratorINS9_10device_ptrIiEEEESE_iNS9_4plusIvEEiEEDaPvRmT3_T4_T5_mT6_P12ihipStream_tbENKUlT_T0_E_clISt17integral_constantIbLb1EESU_EEDaSP_SQ_EUlSP_E0_NS1_11comp_targetILNS1_3genE10ELNS1_11target_archE1200ELNS1_3gpuE4ELNS1_3repE0EEENS1_30default_config_static_selectorELNS0_4arch9wavefront6targetE1EEEvT1_,@function
_ZN7rocprim17ROCPRIM_400000_NS6detail17trampoline_kernelINS0_14default_configENS1_20scan_config_selectorIiEEZZNS1_9scan_implILNS1_25lookback_scan_determinismE0ELb0ELb0ES3_N6thrust23THRUST_200600_302600_NS6detail15normal_iteratorINS9_10device_ptrIiEEEESE_iNS9_4plusIvEEiEEDaPvRmT3_T4_T5_mT6_P12ihipStream_tbENKUlT_T0_E_clISt17integral_constantIbLb1EESU_EEDaSP_SQ_EUlSP_E0_NS1_11comp_targetILNS1_3genE10ELNS1_11target_archE1200ELNS1_3gpuE4ELNS1_3repE0EEENS1_30default_config_static_selectorELNS0_4arch9wavefront6targetE1EEEvT1_: ; @_ZN7rocprim17ROCPRIM_400000_NS6detail17trampoline_kernelINS0_14default_configENS1_20scan_config_selectorIiEEZZNS1_9scan_implILNS1_25lookback_scan_determinismE0ELb0ELb0ES3_N6thrust23THRUST_200600_302600_NS6detail15normal_iteratorINS9_10device_ptrIiEEEESE_iNS9_4plusIvEEiEEDaPvRmT3_T4_T5_mT6_P12ihipStream_tbENKUlT_T0_E_clISt17integral_constantIbLb1EESU_EEDaSP_SQ_EUlSP_E0_NS1_11comp_targetILNS1_3genE10ELNS1_11target_archE1200ELNS1_3gpuE4ELNS1_3repE0EEENS1_30default_config_static_selectorELNS0_4arch9wavefront6targetE1EEEvT1_
; %bb.0:
	.section	.rodata,"a",@progbits
	.p2align	6, 0x0
	.amdhsa_kernel _ZN7rocprim17ROCPRIM_400000_NS6detail17trampoline_kernelINS0_14default_configENS1_20scan_config_selectorIiEEZZNS1_9scan_implILNS1_25lookback_scan_determinismE0ELb0ELb0ES3_N6thrust23THRUST_200600_302600_NS6detail15normal_iteratorINS9_10device_ptrIiEEEESE_iNS9_4plusIvEEiEEDaPvRmT3_T4_T5_mT6_P12ihipStream_tbENKUlT_T0_E_clISt17integral_constantIbLb1EESU_EEDaSP_SQ_EUlSP_E0_NS1_11comp_targetILNS1_3genE10ELNS1_11target_archE1200ELNS1_3gpuE4ELNS1_3repE0EEENS1_30default_config_static_selectorELNS0_4arch9wavefront6targetE1EEEvT1_
		.amdhsa_group_segment_fixed_size 0
		.amdhsa_private_segment_fixed_size 0
		.amdhsa_kernarg_size 32
		.amdhsa_user_sgpr_count 6
		.amdhsa_user_sgpr_private_segment_buffer 1
		.amdhsa_user_sgpr_dispatch_ptr 0
		.amdhsa_user_sgpr_queue_ptr 0
		.amdhsa_user_sgpr_kernarg_segment_ptr 1
		.amdhsa_user_sgpr_dispatch_id 0
		.amdhsa_user_sgpr_flat_scratch_init 0
		.amdhsa_user_sgpr_kernarg_preload_length 0
		.amdhsa_user_sgpr_kernarg_preload_offset 0
		.amdhsa_user_sgpr_private_segment_size 0
		.amdhsa_uses_dynamic_stack 0
		.amdhsa_system_sgpr_private_segment_wavefront_offset 0
		.amdhsa_system_sgpr_workgroup_id_x 1
		.amdhsa_system_sgpr_workgroup_id_y 0
		.amdhsa_system_sgpr_workgroup_id_z 0
		.amdhsa_system_sgpr_workgroup_info 0
		.amdhsa_system_vgpr_workitem_id 0
		.amdhsa_next_free_vgpr 1
		.amdhsa_next_free_sgpr 0
		.amdhsa_accum_offset 4
		.amdhsa_reserve_vcc 0
		.amdhsa_reserve_flat_scratch 0
		.amdhsa_float_round_mode_32 0
		.amdhsa_float_round_mode_16_64 0
		.amdhsa_float_denorm_mode_32 3
		.amdhsa_float_denorm_mode_16_64 3
		.amdhsa_dx10_clamp 1
		.amdhsa_ieee_mode 1
		.amdhsa_fp16_overflow 0
		.amdhsa_tg_split 0
		.amdhsa_exception_fp_ieee_invalid_op 0
		.amdhsa_exception_fp_denorm_src 0
		.amdhsa_exception_fp_ieee_div_zero 0
		.amdhsa_exception_fp_ieee_overflow 0
		.amdhsa_exception_fp_ieee_underflow 0
		.amdhsa_exception_fp_ieee_inexact 0
		.amdhsa_exception_int_div_zero 0
	.end_amdhsa_kernel
	.section	.text._ZN7rocprim17ROCPRIM_400000_NS6detail17trampoline_kernelINS0_14default_configENS1_20scan_config_selectorIiEEZZNS1_9scan_implILNS1_25lookback_scan_determinismE0ELb0ELb0ES3_N6thrust23THRUST_200600_302600_NS6detail15normal_iteratorINS9_10device_ptrIiEEEESE_iNS9_4plusIvEEiEEDaPvRmT3_T4_T5_mT6_P12ihipStream_tbENKUlT_T0_E_clISt17integral_constantIbLb1EESU_EEDaSP_SQ_EUlSP_E0_NS1_11comp_targetILNS1_3genE10ELNS1_11target_archE1200ELNS1_3gpuE4ELNS1_3repE0EEENS1_30default_config_static_selectorELNS0_4arch9wavefront6targetE1EEEvT1_,"axG",@progbits,_ZN7rocprim17ROCPRIM_400000_NS6detail17trampoline_kernelINS0_14default_configENS1_20scan_config_selectorIiEEZZNS1_9scan_implILNS1_25lookback_scan_determinismE0ELb0ELb0ES3_N6thrust23THRUST_200600_302600_NS6detail15normal_iteratorINS9_10device_ptrIiEEEESE_iNS9_4plusIvEEiEEDaPvRmT3_T4_T5_mT6_P12ihipStream_tbENKUlT_T0_E_clISt17integral_constantIbLb1EESU_EEDaSP_SQ_EUlSP_E0_NS1_11comp_targetILNS1_3genE10ELNS1_11target_archE1200ELNS1_3gpuE4ELNS1_3repE0EEENS1_30default_config_static_selectorELNS0_4arch9wavefront6targetE1EEEvT1_,comdat
.Lfunc_end1373:
	.size	_ZN7rocprim17ROCPRIM_400000_NS6detail17trampoline_kernelINS0_14default_configENS1_20scan_config_selectorIiEEZZNS1_9scan_implILNS1_25lookback_scan_determinismE0ELb0ELb0ES3_N6thrust23THRUST_200600_302600_NS6detail15normal_iteratorINS9_10device_ptrIiEEEESE_iNS9_4plusIvEEiEEDaPvRmT3_T4_T5_mT6_P12ihipStream_tbENKUlT_T0_E_clISt17integral_constantIbLb1EESU_EEDaSP_SQ_EUlSP_E0_NS1_11comp_targetILNS1_3genE10ELNS1_11target_archE1200ELNS1_3gpuE4ELNS1_3repE0EEENS1_30default_config_static_selectorELNS0_4arch9wavefront6targetE1EEEvT1_, .Lfunc_end1373-_ZN7rocprim17ROCPRIM_400000_NS6detail17trampoline_kernelINS0_14default_configENS1_20scan_config_selectorIiEEZZNS1_9scan_implILNS1_25lookback_scan_determinismE0ELb0ELb0ES3_N6thrust23THRUST_200600_302600_NS6detail15normal_iteratorINS9_10device_ptrIiEEEESE_iNS9_4plusIvEEiEEDaPvRmT3_T4_T5_mT6_P12ihipStream_tbENKUlT_T0_E_clISt17integral_constantIbLb1EESU_EEDaSP_SQ_EUlSP_E0_NS1_11comp_targetILNS1_3genE10ELNS1_11target_archE1200ELNS1_3gpuE4ELNS1_3repE0EEENS1_30default_config_static_selectorELNS0_4arch9wavefront6targetE1EEEvT1_
                                        ; -- End function
	.section	.AMDGPU.csdata,"",@progbits
; Kernel info:
; codeLenInByte = 0
; NumSgprs: 4
; NumVgprs: 0
; NumAgprs: 0
; TotalNumVgprs: 0
; ScratchSize: 0
; MemoryBound: 0
; FloatMode: 240
; IeeeMode: 1
; LDSByteSize: 0 bytes/workgroup (compile time only)
; SGPRBlocks: 0
; VGPRBlocks: 0
; NumSGPRsForWavesPerEU: 4
; NumVGPRsForWavesPerEU: 1
; AccumOffset: 4
; Occupancy: 8
; WaveLimiterHint : 0
; COMPUTE_PGM_RSRC2:SCRATCH_EN: 0
; COMPUTE_PGM_RSRC2:USER_SGPR: 6
; COMPUTE_PGM_RSRC2:TRAP_HANDLER: 0
; COMPUTE_PGM_RSRC2:TGID_X_EN: 1
; COMPUTE_PGM_RSRC2:TGID_Y_EN: 0
; COMPUTE_PGM_RSRC2:TGID_Z_EN: 0
; COMPUTE_PGM_RSRC2:TIDIG_COMP_CNT: 0
; COMPUTE_PGM_RSRC3_GFX90A:ACCUM_OFFSET: 0
; COMPUTE_PGM_RSRC3_GFX90A:TG_SPLIT: 0
	.section	.text._ZN7rocprim17ROCPRIM_400000_NS6detail17trampoline_kernelINS0_14default_configENS1_20scan_config_selectorIiEEZZNS1_9scan_implILNS1_25lookback_scan_determinismE0ELb0ELb0ES3_N6thrust23THRUST_200600_302600_NS6detail15normal_iteratorINS9_10device_ptrIiEEEESE_iNS9_4plusIvEEiEEDaPvRmT3_T4_T5_mT6_P12ihipStream_tbENKUlT_T0_E_clISt17integral_constantIbLb1EESU_EEDaSP_SQ_EUlSP_E0_NS1_11comp_targetILNS1_3genE9ELNS1_11target_archE1100ELNS1_3gpuE3ELNS1_3repE0EEENS1_30default_config_static_selectorELNS0_4arch9wavefront6targetE1EEEvT1_,"axG",@progbits,_ZN7rocprim17ROCPRIM_400000_NS6detail17trampoline_kernelINS0_14default_configENS1_20scan_config_selectorIiEEZZNS1_9scan_implILNS1_25lookback_scan_determinismE0ELb0ELb0ES3_N6thrust23THRUST_200600_302600_NS6detail15normal_iteratorINS9_10device_ptrIiEEEESE_iNS9_4plusIvEEiEEDaPvRmT3_T4_T5_mT6_P12ihipStream_tbENKUlT_T0_E_clISt17integral_constantIbLb1EESU_EEDaSP_SQ_EUlSP_E0_NS1_11comp_targetILNS1_3genE9ELNS1_11target_archE1100ELNS1_3gpuE3ELNS1_3repE0EEENS1_30default_config_static_selectorELNS0_4arch9wavefront6targetE1EEEvT1_,comdat
	.protected	_ZN7rocprim17ROCPRIM_400000_NS6detail17trampoline_kernelINS0_14default_configENS1_20scan_config_selectorIiEEZZNS1_9scan_implILNS1_25lookback_scan_determinismE0ELb0ELb0ES3_N6thrust23THRUST_200600_302600_NS6detail15normal_iteratorINS9_10device_ptrIiEEEESE_iNS9_4plusIvEEiEEDaPvRmT3_T4_T5_mT6_P12ihipStream_tbENKUlT_T0_E_clISt17integral_constantIbLb1EESU_EEDaSP_SQ_EUlSP_E0_NS1_11comp_targetILNS1_3genE9ELNS1_11target_archE1100ELNS1_3gpuE3ELNS1_3repE0EEENS1_30default_config_static_selectorELNS0_4arch9wavefront6targetE1EEEvT1_ ; -- Begin function _ZN7rocprim17ROCPRIM_400000_NS6detail17trampoline_kernelINS0_14default_configENS1_20scan_config_selectorIiEEZZNS1_9scan_implILNS1_25lookback_scan_determinismE0ELb0ELb0ES3_N6thrust23THRUST_200600_302600_NS6detail15normal_iteratorINS9_10device_ptrIiEEEESE_iNS9_4plusIvEEiEEDaPvRmT3_T4_T5_mT6_P12ihipStream_tbENKUlT_T0_E_clISt17integral_constantIbLb1EESU_EEDaSP_SQ_EUlSP_E0_NS1_11comp_targetILNS1_3genE9ELNS1_11target_archE1100ELNS1_3gpuE3ELNS1_3repE0EEENS1_30default_config_static_selectorELNS0_4arch9wavefront6targetE1EEEvT1_
	.globl	_ZN7rocprim17ROCPRIM_400000_NS6detail17trampoline_kernelINS0_14default_configENS1_20scan_config_selectorIiEEZZNS1_9scan_implILNS1_25lookback_scan_determinismE0ELb0ELb0ES3_N6thrust23THRUST_200600_302600_NS6detail15normal_iteratorINS9_10device_ptrIiEEEESE_iNS9_4plusIvEEiEEDaPvRmT3_T4_T5_mT6_P12ihipStream_tbENKUlT_T0_E_clISt17integral_constantIbLb1EESU_EEDaSP_SQ_EUlSP_E0_NS1_11comp_targetILNS1_3genE9ELNS1_11target_archE1100ELNS1_3gpuE3ELNS1_3repE0EEENS1_30default_config_static_selectorELNS0_4arch9wavefront6targetE1EEEvT1_
	.p2align	8
	.type	_ZN7rocprim17ROCPRIM_400000_NS6detail17trampoline_kernelINS0_14default_configENS1_20scan_config_selectorIiEEZZNS1_9scan_implILNS1_25lookback_scan_determinismE0ELb0ELb0ES3_N6thrust23THRUST_200600_302600_NS6detail15normal_iteratorINS9_10device_ptrIiEEEESE_iNS9_4plusIvEEiEEDaPvRmT3_T4_T5_mT6_P12ihipStream_tbENKUlT_T0_E_clISt17integral_constantIbLb1EESU_EEDaSP_SQ_EUlSP_E0_NS1_11comp_targetILNS1_3genE9ELNS1_11target_archE1100ELNS1_3gpuE3ELNS1_3repE0EEENS1_30default_config_static_selectorELNS0_4arch9wavefront6targetE1EEEvT1_,@function
_ZN7rocprim17ROCPRIM_400000_NS6detail17trampoline_kernelINS0_14default_configENS1_20scan_config_selectorIiEEZZNS1_9scan_implILNS1_25lookback_scan_determinismE0ELb0ELb0ES3_N6thrust23THRUST_200600_302600_NS6detail15normal_iteratorINS9_10device_ptrIiEEEESE_iNS9_4plusIvEEiEEDaPvRmT3_T4_T5_mT6_P12ihipStream_tbENKUlT_T0_E_clISt17integral_constantIbLb1EESU_EEDaSP_SQ_EUlSP_E0_NS1_11comp_targetILNS1_3genE9ELNS1_11target_archE1100ELNS1_3gpuE3ELNS1_3repE0EEENS1_30default_config_static_selectorELNS0_4arch9wavefront6targetE1EEEvT1_: ; @_ZN7rocprim17ROCPRIM_400000_NS6detail17trampoline_kernelINS0_14default_configENS1_20scan_config_selectorIiEEZZNS1_9scan_implILNS1_25lookback_scan_determinismE0ELb0ELb0ES3_N6thrust23THRUST_200600_302600_NS6detail15normal_iteratorINS9_10device_ptrIiEEEESE_iNS9_4plusIvEEiEEDaPvRmT3_T4_T5_mT6_P12ihipStream_tbENKUlT_T0_E_clISt17integral_constantIbLb1EESU_EEDaSP_SQ_EUlSP_E0_NS1_11comp_targetILNS1_3genE9ELNS1_11target_archE1100ELNS1_3gpuE3ELNS1_3repE0EEENS1_30default_config_static_selectorELNS0_4arch9wavefront6targetE1EEEvT1_
; %bb.0:
	.section	.rodata,"a",@progbits
	.p2align	6, 0x0
	.amdhsa_kernel _ZN7rocprim17ROCPRIM_400000_NS6detail17trampoline_kernelINS0_14default_configENS1_20scan_config_selectorIiEEZZNS1_9scan_implILNS1_25lookback_scan_determinismE0ELb0ELb0ES3_N6thrust23THRUST_200600_302600_NS6detail15normal_iteratorINS9_10device_ptrIiEEEESE_iNS9_4plusIvEEiEEDaPvRmT3_T4_T5_mT6_P12ihipStream_tbENKUlT_T0_E_clISt17integral_constantIbLb1EESU_EEDaSP_SQ_EUlSP_E0_NS1_11comp_targetILNS1_3genE9ELNS1_11target_archE1100ELNS1_3gpuE3ELNS1_3repE0EEENS1_30default_config_static_selectorELNS0_4arch9wavefront6targetE1EEEvT1_
		.amdhsa_group_segment_fixed_size 0
		.amdhsa_private_segment_fixed_size 0
		.amdhsa_kernarg_size 32
		.amdhsa_user_sgpr_count 6
		.amdhsa_user_sgpr_private_segment_buffer 1
		.amdhsa_user_sgpr_dispatch_ptr 0
		.amdhsa_user_sgpr_queue_ptr 0
		.amdhsa_user_sgpr_kernarg_segment_ptr 1
		.amdhsa_user_sgpr_dispatch_id 0
		.amdhsa_user_sgpr_flat_scratch_init 0
		.amdhsa_user_sgpr_kernarg_preload_length 0
		.amdhsa_user_sgpr_kernarg_preload_offset 0
		.amdhsa_user_sgpr_private_segment_size 0
		.amdhsa_uses_dynamic_stack 0
		.amdhsa_system_sgpr_private_segment_wavefront_offset 0
		.amdhsa_system_sgpr_workgroup_id_x 1
		.amdhsa_system_sgpr_workgroup_id_y 0
		.amdhsa_system_sgpr_workgroup_id_z 0
		.amdhsa_system_sgpr_workgroup_info 0
		.amdhsa_system_vgpr_workitem_id 0
		.amdhsa_next_free_vgpr 1
		.amdhsa_next_free_sgpr 0
		.amdhsa_accum_offset 4
		.amdhsa_reserve_vcc 0
		.amdhsa_reserve_flat_scratch 0
		.amdhsa_float_round_mode_32 0
		.amdhsa_float_round_mode_16_64 0
		.amdhsa_float_denorm_mode_32 3
		.amdhsa_float_denorm_mode_16_64 3
		.amdhsa_dx10_clamp 1
		.amdhsa_ieee_mode 1
		.amdhsa_fp16_overflow 0
		.amdhsa_tg_split 0
		.amdhsa_exception_fp_ieee_invalid_op 0
		.amdhsa_exception_fp_denorm_src 0
		.amdhsa_exception_fp_ieee_div_zero 0
		.amdhsa_exception_fp_ieee_overflow 0
		.amdhsa_exception_fp_ieee_underflow 0
		.amdhsa_exception_fp_ieee_inexact 0
		.amdhsa_exception_int_div_zero 0
	.end_amdhsa_kernel
	.section	.text._ZN7rocprim17ROCPRIM_400000_NS6detail17trampoline_kernelINS0_14default_configENS1_20scan_config_selectorIiEEZZNS1_9scan_implILNS1_25lookback_scan_determinismE0ELb0ELb0ES3_N6thrust23THRUST_200600_302600_NS6detail15normal_iteratorINS9_10device_ptrIiEEEESE_iNS9_4plusIvEEiEEDaPvRmT3_T4_T5_mT6_P12ihipStream_tbENKUlT_T0_E_clISt17integral_constantIbLb1EESU_EEDaSP_SQ_EUlSP_E0_NS1_11comp_targetILNS1_3genE9ELNS1_11target_archE1100ELNS1_3gpuE3ELNS1_3repE0EEENS1_30default_config_static_selectorELNS0_4arch9wavefront6targetE1EEEvT1_,"axG",@progbits,_ZN7rocprim17ROCPRIM_400000_NS6detail17trampoline_kernelINS0_14default_configENS1_20scan_config_selectorIiEEZZNS1_9scan_implILNS1_25lookback_scan_determinismE0ELb0ELb0ES3_N6thrust23THRUST_200600_302600_NS6detail15normal_iteratorINS9_10device_ptrIiEEEESE_iNS9_4plusIvEEiEEDaPvRmT3_T4_T5_mT6_P12ihipStream_tbENKUlT_T0_E_clISt17integral_constantIbLb1EESU_EEDaSP_SQ_EUlSP_E0_NS1_11comp_targetILNS1_3genE9ELNS1_11target_archE1100ELNS1_3gpuE3ELNS1_3repE0EEENS1_30default_config_static_selectorELNS0_4arch9wavefront6targetE1EEEvT1_,comdat
.Lfunc_end1374:
	.size	_ZN7rocprim17ROCPRIM_400000_NS6detail17trampoline_kernelINS0_14default_configENS1_20scan_config_selectorIiEEZZNS1_9scan_implILNS1_25lookback_scan_determinismE0ELb0ELb0ES3_N6thrust23THRUST_200600_302600_NS6detail15normal_iteratorINS9_10device_ptrIiEEEESE_iNS9_4plusIvEEiEEDaPvRmT3_T4_T5_mT6_P12ihipStream_tbENKUlT_T0_E_clISt17integral_constantIbLb1EESU_EEDaSP_SQ_EUlSP_E0_NS1_11comp_targetILNS1_3genE9ELNS1_11target_archE1100ELNS1_3gpuE3ELNS1_3repE0EEENS1_30default_config_static_selectorELNS0_4arch9wavefront6targetE1EEEvT1_, .Lfunc_end1374-_ZN7rocprim17ROCPRIM_400000_NS6detail17trampoline_kernelINS0_14default_configENS1_20scan_config_selectorIiEEZZNS1_9scan_implILNS1_25lookback_scan_determinismE0ELb0ELb0ES3_N6thrust23THRUST_200600_302600_NS6detail15normal_iteratorINS9_10device_ptrIiEEEESE_iNS9_4plusIvEEiEEDaPvRmT3_T4_T5_mT6_P12ihipStream_tbENKUlT_T0_E_clISt17integral_constantIbLb1EESU_EEDaSP_SQ_EUlSP_E0_NS1_11comp_targetILNS1_3genE9ELNS1_11target_archE1100ELNS1_3gpuE3ELNS1_3repE0EEENS1_30default_config_static_selectorELNS0_4arch9wavefront6targetE1EEEvT1_
                                        ; -- End function
	.section	.AMDGPU.csdata,"",@progbits
; Kernel info:
; codeLenInByte = 0
; NumSgprs: 4
; NumVgprs: 0
; NumAgprs: 0
; TotalNumVgprs: 0
; ScratchSize: 0
; MemoryBound: 0
; FloatMode: 240
; IeeeMode: 1
; LDSByteSize: 0 bytes/workgroup (compile time only)
; SGPRBlocks: 0
; VGPRBlocks: 0
; NumSGPRsForWavesPerEU: 4
; NumVGPRsForWavesPerEU: 1
; AccumOffset: 4
; Occupancy: 8
; WaveLimiterHint : 0
; COMPUTE_PGM_RSRC2:SCRATCH_EN: 0
; COMPUTE_PGM_RSRC2:USER_SGPR: 6
; COMPUTE_PGM_RSRC2:TRAP_HANDLER: 0
; COMPUTE_PGM_RSRC2:TGID_X_EN: 1
; COMPUTE_PGM_RSRC2:TGID_Y_EN: 0
; COMPUTE_PGM_RSRC2:TGID_Z_EN: 0
; COMPUTE_PGM_RSRC2:TIDIG_COMP_CNT: 0
; COMPUTE_PGM_RSRC3_GFX90A:ACCUM_OFFSET: 0
; COMPUTE_PGM_RSRC3_GFX90A:TG_SPLIT: 0
	.section	.text._ZN7rocprim17ROCPRIM_400000_NS6detail17trampoline_kernelINS0_14default_configENS1_20scan_config_selectorIiEEZZNS1_9scan_implILNS1_25lookback_scan_determinismE0ELb0ELb0ES3_N6thrust23THRUST_200600_302600_NS6detail15normal_iteratorINS9_10device_ptrIiEEEESE_iNS9_4plusIvEEiEEDaPvRmT3_T4_T5_mT6_P12ihipStream_tbENKUlT_T0_E_clISt17integral_constantIbLb1EESU_EEDaSP_SQ_EUlSP_E0_NS1_11comp_targetILNS1_3genE8ELNS1_11target_archE1030ELNS1_3gpuE2ELNS1_3repE0EEENS1_30default_config_static_selectorELNS0_4arch9wavefront6targetE1EEEvT1_,"axG",@progbits,_ZN7rocprim17ROCPRIM_400000_NS6detail17trampoline_kernelINS0_14default_configENS1_20scan_config_selectorIiEEZZNS1_9scan_implILNS1_25lookback_scan_determinismE0ELb0ELb0ES3_N6thrust23THRUST_200600_302600_NS6detail15normal_iteratorINS9_10device_ptrIiEEEESE_iNS9_4plusIvEEiEEDaPvRmT3_T4_T5_mT6_P12ihipStream_tbENKUlT_T0_E_clISt17integral_constantIbLb1EESU_EEDaSP_SQ_EUlSP_E0_NS1_11comp_targetILNS1_3genE8ELNS1_11target_archE1030ELNS1_3gpuE2ELNS1_3repE0EEENS1_30default_config_static_selectorELNS0_4arch9wavefront6targetE1EEEvT1_,comdat
	.protected	_ZN7rocprim17ROCPRIM_400000_NS6detail17trampoline_kernelINS0_14default_configENS1_20scan_config_selectorIiEEZZNS1_9scan_implILNS1_25lookback_scan_determinismE0ELb0ELb0ES3_N6thrust23THRUST_200600_302600_NS6detail15normal_iteratorINS9_10device_ptrIiEEEESE_iNS9_4plusIvEEiEEDaPvRmT3_T4_T5_mT6_P12ihipStream_tbENKUlT_T0_E_clISt17integral_constantIbLb1EESU_EEDaSP_SQ_EUlSP_E0_NS1_11comp_targetILNS1_3genE8ELNS1_11target_archE1030ELNS1_3gpuE2ELNS1_3repE0EEENS1_30default_config_static_selectorELNS0_4arch9wavefront6targetE1EEEvT1_ ; -- Begin function _ZN7rocprim17ROCPRIM_400000_NS6detail17trampoline_kernelINS0_14default_configENS1_20scan_config_selectorIiEEZZNS1_9scan_implILNS1_25lookback_scan_determinismE0ELb0ELb0ES3_N6thrust23THRUST_200600_302600_NS6detail15normal_iteratorINS9_10device_ptrIiEEEESE_iNS9_4plusIvEEiEEDaPvRmT3_T4_T5_mT6_P12ihipStream_tbENKUlT_T0_E_clISt17integral_constantIbLb1EESU_EEDaSP_SQ_EUlSP_E0_NS1_11comp_targetILNS1_3genE8ELNS1_11target_archE1030ELNS1_3gpuE2ELNS1_3repE0EEENS1_30default_config_static_selectorELNS0_4arch9wavefront6targetE1EEEvT1_
	.globl	_ZN7rocprim17ROCPRIM_400000_NS6detail17trampoline_kernelINS0_14default_configENS1_20scan_config_selectorIiEEZZNS1_9scan_implILNS1_25lookback_scan_determinismE0ELb0ELb0ES3_N6thrust23THRUST_200600_302600_NS6detail15normal_iteratorINS9_10device_ptrIiEEEESE_iNS9_4plusIvEEiEEDaPvRmT3_T4_T5_mT6_P12ihipStream_tbENKUlT_T0_E_clISt17integral_constantIbLb1EESU_EEDaSP_SQ_EUlSP_E0_NS1_11comp_targetILNS1_3genE8ELNS1_11target_archE1030ELNS1_3gpuE2ELNS1_3repE0EEENS1_30default_config_static_selectorELNS0_4arch9wavefront6targetE1EEEvT1_
	.p2align	8
	.type	_ZN7rocprim17ROCPRIM_400000_NS6detail17trampoline_kernelINS0_14default_configENS1_20scan_config_selectorIiEEZZNS1_9scan_implILNS1_25lookback_scan_determinismE0ELb0ELb0ES3_N6thrust23THRUST_200600_302600_NS6detail15normal_iteratorINS9_10device_ptrIiEEEESE_iNS9_4plusIvEEiEEDaPvRmT3_T4_T5_mT6_P12ihipStream_tbENKUlT_T0_E_clISt17integral_constantIbLb1EESU_EEDaSP_SQ_EUlSP_E0_NS1_11comp_targetILNS1_3genE8ELNS1_11target_archE1030ELNS1_3gpuE2ELNS1_3repE0EEENS1_30default_config_static_selectorELNS0_4arch9wavefront6targetE1EEEvT1_,@function
_ZN7rocprim17ROCPRIM_400000_NS6detail17trampoline_kernelINS0_14default_configENS1_20scan_config_selectorIiEEZZNS1_9scan_implILNS1_25lookback_scan_determinismE0ELb0ELb0ES3_N6thrust23THRUST_200600_302600_NS6detail15normal_iteratorINS9_10device_ptrIiEEEESE_iNS9_4plusIvEEiEEDaPvRmT3_T4_T5_mT6_P12ihipStream_tbENKUlT_T0_E_clISt17integral_constantIbLb1EESU_EEDaSP_SQ_EUlSP_E0_NS1_11comp_targetILNS1_3genE8ELNS1_11target_archE1030ELNS1_3gpuE2ELNS1_3repE0EEENS1_30default_config_static_selectorELNS0_4arch9wavefront6targetE1EEEvT1_: ; @_ZN7rocprim17ROCPRIM_400000_NS6detail17trampoline_kernelINS0_14default_configENS1_20scan_config_selectorIiEEZZNS1_9scan_implILNS1_25lookback_scan_determinismE0ELb0ELb0ES3_N6thrust23THRUST_200600_302600_NS6detail15normal_iteratorINS9_10device_ptrIiEEEESE_iNS9_4plusIvEEiEEDaPvRmT3_T4_T5_mT6_P12ihipStream_tbENKUlT_T0_E_clISt17integral_constantIbLb1EESU_EEDaSP_SQ_EUlSP_E0_NS1_11comp_targetILNS1_3genE8ELNS1_11target_archE1030ELNS1_3gpuE2ELNS1_3repE0EEENS1_30default_config_static_selectorELNS0_4arch9wavefront6targetE1EEEvT1_
; %bb.0:
	.section	.rodata,"a",@progbits
	.p2align	6, 0x0
	.amdhsa_kernel _ZN7rocprim17ROCPRIM_400000_NS6detail17trampoline_kernelINS0_14default_configENS1_20scan_config_selectorIiEEZZNS1_9scan_implILNS1_25lookback_scan_determinismE0ELb0ELb0ES3_N6thrust23THRUST_200600_302600_NS6detail15normal_iteratorINS9_10device_ptrIiEEEESE_iNS9_4plusIvEEiEEDaPvRmT3_T4_T5_mT6_P12ihipStream_tbENKUlT_T0_E_clISt17integral_constantIbLb1EESU_EEDaSP_SQ_EUlSP_E0_NS1_11comp_targetILNS1_3genE8ELNS1_11target_archE1030ELNS1_3gpuE2ELNS1_3repE0EEENS1_30default_config_static_selectorELNS0_4arch9wavefront6targetE1EEEvT1_
		.amdhsa_group_segment_fixed_size 0
		.amdhsa_private_segment_fixed_size 0
		.amdhsa_kernarg_size 32
		.amdhsa_user_sgpr_count 6
		.amdhsa_user_sgpr_private_segment_buffer 1
		.amdhsa_user_sgpr_dispatch_ptr 0
		.amdhsa_user_sgpr_queue_ptr 0
		.amdhsa_user_sgpr_kernarg_segment_ptr 1
		.amdhsa_user_sgpr_dispatch_id 0
		.amdhsa_user_sgpr_flat_scratch_init 0
		.amdhsa_user_sgpr_kernarg_preload_length 0
		.amdhsa_user_sgpr_kernarg_preload_offset 0
		.amdhsa_user_sgpr_private_segment_size 0
		.amdhsa_uses_dynamic_stack 0
		.amdhsa_system_sgpr_private_segment_wavefront_offset 0
		.amdhsa_system_sgpr_workgroup_id_x 1
		.amdhsa_system_sgpr_workgroup_id_y 0
		.amdhsa_system_sgpr_workgroup_id_z 0
		.amdhsa_system_sgpr_workgroup_info 0
		.amdhsa_system_vgpr_workitem_id 0
		.amdhsa_next_free_vgpr 1
		.amdhsa_next_free_sgpr 0
		.amdhsa_accum_offset 4
		.amdhsa_reserve_vcc 0
		.amdhsa_reserve_flat_scratch 0
		.amdhsa_float_round_mode_32 0
		.amdhsa_float_round_mode_16_64 0
		.amdhsa_float_denorm_mode_32 3
		.amdhsa_float_denorm_mode_16_64 3
		.amdhsa_dx10_clamp 1
		.amdhsa_ieee_mode 1
		.amdhsa_fp16_overflow 0
		.amdhsa_tg_split 0
		.amdhsa_exception_fp_ieee_invalid_op 0
		.amdhsa_exception_fp_denorm_src 0
		.amdhsa_exception_fp_ieee_div_zero 0
		.amdhsa_exception_fp_ieee_overflow 0
		.amdhsa_exception_fp_ieee_underflow 0
		.amdhsa_exception_fp_ieee_inexact 0
		.amdhsa_exception_int_div_zero 0
	.end_amdhsa_kernel
	.section	.text._ZN7rocprim17ROCPRIM_400000_NS6detail17trampoline_kernelINS0_14default_configENS1_20scan_config_selectorIiEEZZNS1_9scan_implILNS1_25lookback_scan_determinismE0ELb0ELb0ES3_N6thrust23THRUST_200600_302600_NS6detail15normal_iteratorINS9_10device_ptrIiEEEESE_iNS9_4plusIvEEiEEDaPvRmT3_T4_T5_mT6_P12ihipStream_tbENKUlT_T0_E_clISt17integral_constantIbLb1EESU_EEDaSP_SQ_EUlSP_E0_NS1_11comp_targetILNS1_3genE8ELNS1_11target_archE1030ELNS1_3gpuE2ELNS1_3repE0EEENS1_30default_config_static_selectorELNS0_4arch9wavefront6targetE1EEEvT1_,"axG",@progbits,_ZN7rocprim17ROCPRIM_400000_NS6detail17trampoline_kernelINS0_14default_configENS1_20scan_config_selectorIiEEZZNS1_9scan_implILNS1_25lookback_scan_determinismE0ELb0ELb0ES3_N6thrust23THRUST_200600_302600_NS6detail15normal_iteratorINS9_10device_ptrIiEEEESE_iNS9_4plusIvEEiEEDaPvRmT3_T4_T5_mT6_P12ihipStream_tbENKUlT_T0_E_clISt17integral_constantIbLb1EESU_EEDaSP_SQ_EUlSP_E0_NS1_11comp_targetILNS1_3genE8ELNS1_11target_archE1030ELNS1_3gpuE2ELNS1_3repE0EEENS1_30default_config_static_selectorELNS0_4arch9wavefront6targetE1EEEvT1_,comdat
.Lfunc_end1375:
	.size	_ZN7rocprim17ROCPRIM_400000_NS6detail17trampoline_kernelINS0_14default_configENS1_20scan_config_selectorIiEEZZNS1_9scan_implILNS1_25lookback_scan_determinismE0ELb0ELb0ES3_N6thrust23THRUST_200600_302600_NS6detail15normal_iteratorINS9_10device_ptrIiEEEESE_iNS9_4plusIvEEiEEDaPvRmT3_T4_T5_mT6_P12ihipStream_tbENKUlT_T0_E_clISt17integral_constantIbLb1EESU_EEDaSP_SQ_EUlSP_E0_NS1_11comp_targetILNS1_3genE8ELNS1_11target_archE1030ELNS1_3gpuE2ELNS1_3repE0EEENS1_30default_config_static_selectorELNS0_4arch9wavefront6targetE1EEEvT1_, .Lfunc_end1375-_ZN7rocprim17ROCPRIM_400000_NS6detail17trampoline_kernelINS0_14default_configENS1_20scan_config_selectorIiEEZZNS1_9scan_implILNS1_25lookback_scan_determinismE0ELb0ELb0ES3_N6thrust23THRUST_200600_302600_NS6detail15normal_iteratorINS9_10device_ptrIiEEEESE_iNS9_4plusIvEEiEEDaPvRmT3_T4_T5_mT6_P12ihipStream_tbENKUlT_T0_E_clISt17integral_constantIbLb1EESU_EEDaSP_SQ_EUlSP_E0_NS1_11comp_targetILNS1_3genE8ELNS1_11target_archE1030ELNS1_3gpuE2ELNS1_3repE0EEENS1_30default_config_static_selectorELNS0_4arch9wavefront6targetE1EEEvT1_
                                        ; -- End function
	.section	.AMDGPU.csdata,"",@progbits
; Kernel info:
; codeLenInByte = 0
; NumSgprs: 4
; NumVgprs: 0
; NumAgprs: 0
; TotalNumVgprs: 0
; ScratchSize: 0
; MemoryBound: 0
; FloatMode: 240
; IeeeMode: 1
; LDSByteSize: 0 bytes/workgroup (compile time only)
; SGPRBlocks: 0
; VGPRBlocks: 0
; NumSGPRsForWavesPerEU: 4
; NumVGPRsForWavesPerEU: 1
; AccumOffset: 4
; Occupancy: 8
; WaveLimiterHint : 0
; COMPUTE_PGM_RSRC2:SCRATCH_EN: 0
; COMPUTE_PGM_RSRC2:USER_SGPR: 6
; COMPUTE_PGM_RSRC2:TRAP_HANDLER: 0
; COMPUTE_PGM_RSRC2:TGID_X_EN: 1
; COMPUTE_PGM_RSRC2:TGID_Y_EN: 0
; COMPUTE_PGM_RSRC2:TGID_Z_EN: 0
; COMPUTE_PGM_RSRC2:TIDIG_COMP_CNT: 0
; COMPUTE_PGM_RSRC3_GFX90A:ACCUM_OFFSET: 0
; COMPUTE_PGM_RSRC3_GFX90A:TG_SPLIT: 0
	.section	.text._ZN7rocprim17ROCPRIM_400000_NS6detail17trampoline_kernelINS0_14default_configENS1_20scan_config_selectorIiEEZZNS1_9scan_implILNS1_25lookback_scan_determinismE0ELb0ELb0ES3_N6thrust23THRUST_200600_302600_NS6detail15normal_iteratorINS9_10device_ptrIiEEEESE_iNS9_4plusIvEEiEEDaPvRmT3_T4_T5_mT6_P12ihipStream_tbENKUlT_T0_E_clISt17integral_constantIbLb1EEST_IbLb0EEEEDaSP_SQ_EUlSP_E_NS1_11comp_targetILNS1_3genE0ELNS1_11target_archE4294967295ELNS1_3gpuE0ELNS1_3repE0EEENS1_30default_config_static_selectorELNS0_4arch9wavefront6targetE1EEEvT1_,"axG",@progbits,_ZN7rocprim17ROCPRIM_400000_NS6detail17trampoline_kernelINS0_14default_configENS1_20scan_config_selectorIiEEZZNS1_9scan_implILNS1_25lookback_scan_determinismE0ELb0ELb0ES3_N6thrust23THRUST_200600_302600_NS6detail15normal_iteratorINS9_10device_ptrIiEEEESE_iNS9_4plusIvEEiEEDaPvRmT3_T4_T5_mT6_P12ihipStream_tbENKUlT_T0_E_clISt17integral_constantIbLb1EEST_IbLb0EEEEDaSP_SQ_EUlSP_E_NS1_11comp_targetILNS1_3genE0ELNS1_11target_archE4294967295ELNS1_3gpuE0ELNS1_3repE0EEENS1_30default_config_static_selectorELNS0_4arch9wavefront6targetE1EEEvT1_,comdat
	.protected	_ZN7rocprim17ROCPRIM_400000_NS6detail17trampoline_kernelINS0_14default_configENS1_20scan_config_selectorIiEEZZNS1_9scan_implILNS1_25lookback_scan_determinismE0ELb0ELb0ES3_N6thrust23THRUST_200600_302600_NS6detail15normal_iteratorINS9_10device_ptrIiEEEESE_iNS9_4plusIvEEiEEDaPvRmT3_T4_T5_mT6_P12ihipStream_tbENKUlT_T0_E_clISt17integral_constantIbLb1EEST_IbLb0EEEEDaSP_SQ_EUlSP_E_NS1_11comp_targetILNS1_3genE0ELNS1_11target_archE4294967295ELNS1_3gpuE0ELNS1_3repE0EEENS1_30default_config_static_selectorELNS0_4arch9wavefront6targetE1EEEvT1_ ; -- Begin function _ZN7rocprim17ROCPRIM_400000_NS6detail17trampoline_kernelINS0_14default_configENS1_20scan_config_selectorIiEEZZNS1_9scan_implILNS1_25lookback_scan_determinismE0ELb0ELb0ES3_N6thrust23THRUST_200600_302600_NS6detail15normal_iteratorINS9_10device_ptrIiEEEESE_iNS9_4plusIvEEiEEDaPvRmT3_T4_T5_mT6_P12ihipStream_tbENKUlT_T0_E_clISt17integral_constantIbLb1EEST_IbLb0EEEEDaSP_SQ_EUlSP_E_NS1_11comp_targetILNS1_3genE0ELNS1_11target_archE4294967295ELNS1_3gpuE0ELNS1_3repE0EEENS1_30default_config_static_selectorELNS0_4arch9wavefront6targetE1EEEvT1_
	.globl	_ZN7rocprim17ROCPRIM_400000_NS6detail17trampoline_kernelINS0_14default_configENS1_20scan_config_selectorIiEEZZNS1_9scan_implILNS1_25lookback_scan_determinismE0ELb0ELb0ES3_N6thrust23THRUST_200600_302600_NS6detail15normal_iteratorINS9_10device_ptrIiEEEESE_iNS9_4plusIvEEiEEDaPvRmT3_T4_T5_mT6_P12ihipStream_tbENKUlT_T0_E_clISt17integral_constantIbLb1EEST_IbLb0EEEEDaSP_SQ_EUlSP_E_NS1_11comp_targetILNS1_3genE0ELNS1_11target_archE4294967295ELNS1_3gpuE0ELNS1_3repE0EEENS1_30default_config_static_selectorELNS0_4arch9wavefront6targetE1EEEvT1_
	.p2align	8
	.type	_ZN7rocprim17ROCPRIM_400000_NS6detail17trampoline_kernelINS0_14default_configENS1_20scan_config_selectorIiEEZZNS1_9scan_implILNS1_25lookback_scan_determinismE0ELb0ELb0ES3_N6thrust23THRUST_200600_302600_NS6detail15normal_iteratorINS9_10device_ptrIiEEEESE_iNS9_4plusIvEEiEEDaPvRmT3_T4_T5_mT6_P12ihipStream_tbENKUlT_T0_E_clISt17integral_constantIbLb1EEST_IbLb0EEEEDaSP_SQ_EUlSP_E_NS1_11comp_targetILNS1_3genE0ELNS1_11target_archE4294967295ELNS1_3gpuE0ELNS1_3repE0EEENS1_30default_config_static_selectorELNS0_4arch9wavefront6targetE1EEEvT1_,@function
_ZN7rocprim17ROCPRIM_400000_NS6detail17trampoline_kernelINS0_14default_configENS1_20scan_config_selectorIiEEZZNS1_9scan_implILNS1_25lookback_scan_determinismE0ELb0ELb0ES3_N6thrust23THRUST_200600_302600_NS6detail15normal_iteratorINS9_10device_ptrIiEEEESE_iNS9_4plusIvEEiEEDaPvRmT3_T4_T5_mT6_P12ihipStream_tbENKUlT_T0_E_clISt17integral_constantIbLb1EEST_IbLb0EEEEDaSP_SQ_EUlSP_E_NS1_11comp_targetILNS1_3genE0ELNS1_11target_archE4294967295ELNS1_3gpuE0ELNS1_3repE0EEENS1_30default_config_static_selectorELNS0_4arch9wavefront6targetE1EEEvT1_: ; @_ZN7rocprim17ROCPRIM_400000_NS6detail17trampoline_kernelINS0_14default_configENS1_20scan_config_selectorIiEEZZNS1_9scan_implILNS1_25lookback_scan_determinismE0ELb0ELb0ES3_N6thrust23THRUST_200600_302600_NS6detail15normal_iteratorINS9_10device_ptrIiEEEESE_iNS9_4plusIvEEiEEDaPvRmT3_T4_T5_mT6_P12ihipStream_tbENKUlT_T0_E_clISt17integral_constantIbLb1EEST_IbLb0EEEEDaSP_SQ_EUlSP_E_NS1_11comp_targetILNS1_3genE0ELNS1_11target_archE4294967295ELNS1_3gpuE0ELNS1_3repE0EEENS1_30default_config_static_selectorELNS0_4arch9wavefront6targetE1EEEvT1_
; %bb.0:
	.section	.rodata,"a",@progbits
	.p2align	6, 0x0
	.amdhsa_kernel _ZN7rocprim17ROCPRIM_400000_NS6detail17trampoline_kernelINS0_14default_configENS1_20scan_config_selectorIiEEZZNS1_9scan_implILNS1_25lookback_scan_determinismE0ELb0ELb0ES3_N6thrust23THRUST_200600_302600_NS6detail15normal_iteratorINS9_10device_ptrIiEEEESE_iNS9_4plusIvEEiEEDaPvRmT3_T4_T5_mT6_P12ihipStream_tbENKUlT_T0_E_clISt17integral_constantIbLb1EEST_IbLb0EEEEDaSP_SQ_EUlSP_E_NS1_11comp_targetILNS1_3genE0ELNS1_11target_archE4294967295ELNS1_3gpuE0ELNS1_3repE0EEENS1_30default_config_static_selectorELNS0_4arch9wavefront6targetE1EEEvT1_
		.amdhsa_group_segment_fixed_size 0
		.amdhsa_private_segment_fixed_size 0
		.amdhsa_kernarg_size 96
		.amdhsa_user_sgpr_count 6
		.amdhsa_user_sgpr_private_segment_buffer 1
		.amdhsa_user_sgpr_dispatch_ptr 0
		.amdhsa_user_sgpr_queue_ptr 0
		.amdhsa_user_sgpr_kernarg_segment_ptr 1
		.amdhsa_user_sgpr_dispatch_id 0
		.amdhsa_user_sgpr_flat_scratch_init 0
		.amdhsa_user_sgpr_kernarg_preload_length 0
		.amdhsa_user_sgpr_kernarg_preload_offset 0
		.amdhsa_user_sgpr_private_segment_size 0
		.amdhsa_uses_dynamic_stack 0
		.amdhsa_system_sgpr_private_segment_wavefront_offset 0
		.amdhsa_system_sgpr_workgroup_id_x 1
		.amdhsa_system_sgpr_workgroup_id_y 0
		.amdhsa_system_sgpr_workgroup_id_z 0
		.amdhsa_system_sgpr_workgroup_info 0
		.amdhsa_system_vgpr_workitem_id 0
		.amdhsa_next_free_vgpr 1
		.amdhsa_next_free_sgpr 0
		.amdhsa_accum_offset 4
		.amdhsa_reserve_vcc 0
		.amdhsa_reserve_flat_scratch 0
		.amdhsa_float_round_mode_32 0
		.amdhsa_float_round_mode_16_64 0
		.amdhsa_float_denorm_mode_32 3
		.amdhsa_float_denorm_mode_16_64 3
		.amdhsa_dx10_clamp 1
		.amdhsa_ieee_mode 1
		.amdhsa_fp16_overflow 0
		.amdhsa_tg_split 0
		.amdhsa_exception_fp_ieee_invalid_op 0
		.amdhsa_exception_fp_denorm_src 0
		.amdhsa_exception_fp_ieee_div_zero 0
		.amdhsa_exception_fp_ieee_overflow 0
		.amdhsa_exception_fp_ieee_underflow 0
		.amdhsa_exception_fp_ieee_inexact 0
		.amdhsa_exception_int_div_zero 0
	.end_amdhsa_kernel
	.section	.text._ZN7rocprim17ROCPRIM_400000_NS6detail17trampoline_kernelINS0_14default_configENS1_20scan_config_selectorIiEEZZNS1_9scan_implILNS1_25lookback_scan_determinismE0ELb0ELb0ES3_N6thrust23THRUST_200600_302600_NS6detail15normal_iteratorINS9_10device_ptrIiEEEESE_iNS9_4plusIvEEiEEDaPvRmT3_T4_T5_mT6_P12ihipStream_tbENKUlT_T0_E_clISt17integral_constantIbLb1EEST_IbLb0EEEEDaSP_SQ_EUlSP_E_NS1_11comp_targetILNS1_3genE0ELNS1_11target_archE4294967295ELNS1_3gpuE0ELNS1_3repE0EEENS1_30default_config_static_selectorELNS0_4arch9wavefront6targetE1EEEvT1_,"axG",@progbits,_ZN7rocprim17ROCPRIM_400000_NS6detail17trampoline_kernelINS0_14default_configENS1_20scan_config_selectorIiEEZZNS1_9scan_implILNS1_25lookback_scan_determinismE0ELb0ELb0ES3_N6thrust23THRUST_200600_302600_NS6detail15normal_iteratorINS9_10device_ptrIiEEEESE_iNS9_4plusIvEEiEEDaPvRmT3_T4_T5_mT6_P12ihipStream_tbENKUlT_T0_E_clISt17integral_constantIbLb1EEST_IbLb0EEEEDaSP_SQ_EUlSP_E_NS1_11comp_targetILNS1_3genE0ELNS1_11target_archE4294967295ELNS1_3gpuE0ELNS1_3repE0EEENS1_30default_config_static_selectorELNS0_4arch9wavefront6targetE1EEEvT1_,comdat
.Lfunc_end1376:
	.size	_ZN7rocprim17ROCPRIM_400000_NS6detail17trampoline_kernelINS0_14default_configENS1_20scan_config_selectorIiEEZZNS1_9scan_implILNS1_25lookback_scan_determinismE0ELb0ELb0ES3_N6thrust23THRUST_200600_302600_NS6detail15normal_iteratorINS9_10device_ptrIiEEEESE_iNS9_4plusIvEEiEEDaPvRmT3_T4_T5_mT6_P12ihipStream_tbENKUlT_T0_E_clISt17integral_constantIbLb1EEST_IbLb0EEEEDaSP_SQ_EUlSP_E_NS1_11comp_targetILNS1_3genE0ELNS1_11target_archE4294967295ELNS1_3gpuE0ELNS1_3repE0EEENS1_30default_config_static_selectorELNS0_4arch9wavefront6targetE1EEEvT1_, .Lfunc_end1376-_ZN7rocprim17ROCPRIM_400000_NS6detail17trampoline_kernelINS0_14default_configENS1_20scan_config_selectorIiEEZZNS1_9scan_implILNS1_25lookback_scan_determinismE0ELb0ELb0ES3_N6thrust23THRUST_200600_302600_NS6detail15normal_iteratorINS9_10device_ptrIiEEEESE_iNS9_4plusIvEEiEEDaPvRmT3_T4_T5_mT6_P12ihipStream_tbENKUlT_T0_E_clISt17integral_constantIbLb1EEST_IbLb0EEEEDaSP_SQ_EUlSP_E_NS1_11comp_targetILNS1_3genE0ELNS1_11target_archE4294967295ELNS1_3gpuE0ELNS1_3repE0EEENS1_30default_config_static_selectorELNS0_4arch9wavefront6targetE1EEEvT1_
                                        ; -- End function
	.section	.AMDGPU.csdata,"",@progbits
; Kernel info:
; codeLenInByte = 0
; NumSgprs: 4
; NumVgprs: 0
; NumAgprs: 0
; TotalNumVgprs: 0
; ScratchSize: 0
; MemoryBound: 0
; FloatMode: 240
; IeeeMode: 1
; LDSByteSize: 0 bytes/workgroup (compile time only)
; SGPRBlocks: 0
; VGPRBlocks: 0
; NumSGPRsForWavesPerEU: 4
; NumVGPRsForWavesPerEU: 1
; AccumOffset: 4
; Occupancy: 8
; WaveLimiterHint : 0
; COMPUTE_PGM_RSRC2:SCRATCH_EN: 0
; COMPUTE_PGM_RSRC2:USER_SGPR: 6
; COMPUTE_PGM_RSRC2:TRAP_HANDLER: 0
; COMPUTE_PGM_RSRC2:TGID_X_EN: 1
; COMPUTE_PGM_RSRC2:TGID_Y_EN: 0
; COMPUTE_PGM_RSRC2:TGID_Z_EN: 0
; COMPUTE_PGM_RSRC2:TIDIG_COMP_CNT: 0
; COMPUTE_PGM_RSRC3_GFX90A:ACCUM_OFFSET: 0
; COMPUTE_PGM_RSRC3_GFX90A:TG_SPLIT: 0
	.section	.text._ZN7rocprim17ROCPRIM_400000_NS6detail17trampoline_kernelINS0_14default_configENS1_20scan_config_selectorIiEEZZNS1_9scan_implILNS1_25lookback_scan_determinismE0ELb0ELb0ES3_N6thrust23THRUST_200600_302600_NS6detail15normal_iteratorINS9_10device_ptrIiEEEESE_iNS9_4plusIvEEiEEDaPvRmT3_T4_T5_mT6_P12ihipStream_tbENKUlT_T0_E_clISt17integral_constantIbLb1EEST_IbLb0EEEEDaSP_SQ_EUlSP_E_NS1_11comp_targetILNS1_3genE5ELNS1_11target_archE942ELNS1_3gpuE9ELNS1_3repE0EEENS1_30default_config_static_selectorELNS0_4arch9wavefront6targetE1EEEvT1_,"axG",@progbits,_ZN7rocprim17ROCPRIM_400000_NS6detail17trampoline_kernelINS0_14default_configENS1_20scan_config_selectorIiEEZZNS1_9scan_implILNS1_25lookback_scan_determinismE0ELb0ELb0ES3_N6thrust23THRUST_200600_302600_NS6detail15normal_iteratorINS9_10device_ptrIiEEEESE_iNS9_4plusIvEEiEEDaPvRmT3_T4_T5_mT6_P12ihipStream_tbENKUlT_T0_E_clISt17integral_constantIbLb1EEST_IbLb0EEEEDaSP_SQ_EUlSP_E_NS1_11comp_targetILNS1_3genE5ELNS1_11target_archE942ELNS1_3gpuE9ELNS1_3repE0EEENS1_30default_config_static_selectorELNS0_4arch9wavefront6targetE1EEEvT1_,comdat
	.protected	_ZN7rocprim17ROCPRIM_400000_NS6detail17trampoline_kernelINS0_14default_configENS1_20scan_config_selectorIiEEZZNS1_9scan_implILNS1_25lookback_scan_determinismE0ELb0ELb0ES3_N6thrust23THRUST_200600_302600_NS6detail15normal_iteratorINS9_10device_ptrIiEEEESE_iNS9_4plusIvEEiEEDaPvRmT3_T4_T5_mT6_P12ihipStream_tbENKUlT_T0_E_clISt17integral_constantIbLb1EEST_IbLb0EEEEDaSP_SQ_EUlSP_E_NS1_11comp_targetILNS1_3genE5ELNS1_11target_archE942ELNS1_3gpuE9ELNS1_3repE0EEENS1_30default_config_static_selectorELNS0_4arch9wavefront6targetE1EEEvT1_ ; -- Begin function _ZN7rocprim17ROCPRIM_400000_NS6detail17trampoline_kernelINS0_14default_configENS1_20scan_config_selectorIiEEZZNS1_9scan_implILNS1_25lookback_scan_determinismE0ELb0ELb0ES3_N6thrust23THRUST_200600_302600_NS6detail15normal_iteratorINS9_10device_ptrIiEEEESE_iNS9_4plusIvEEiEEDaPvRmT3_T4_T5_mT6_P12ihipStream_tbENKUlT_T0_E_clISt17integral_constantIbLb1EEST_IbLb0EEEEDaSP_SQ_EUlSP_E_NS1_11comp_targetILNS1_3genE5ELNS1_11target_archE942ELNS1_3gpuE9ELNS1_3repE0EEENS1_30default_config_static_selectorELNS0_4arch9wavefront6targetE1EEEvT1_
	.globl	_ZN7rocprim17ROCPRIM_400000_NS6detail17trampoline_kernelINS0_14default_configENS1_20scan_config_selectorIiEEZZNS1_9scan_implILNS1_25lookback_scan_determinismE0ELb0ELb0ES3_N6thrust23THRUST_200600_302600_NS6detail15normal_iteratorINS9_10device_ptrIiEEEESE_iNS9_4plusIvEEiEEDaPvRmT3_T4_T5_mT6_P12ihipStream_tbENKUlT_T0_E_clISt17integral_constantIbLb1EEST_IbLb0EEEEDaSP_SQ_EUlSP_E_NS1_11comp_targetILNS1_3genE5ELNS1_11target_archE942ELNS1_3gpuE9ELNS1_3repE0EEENS1_30default_config_static_selectorELNS0_4arch9wavefront6targetE1EEEvT1_
	.p2align	8
	.type	_ZN7rocprim17ROCPRIM_400000_NS6detail17trampoline_kernelINS0_14default_configENS1_20scan_config_selectorIiEEZZNS1_9scan_implILNS1_25lookback_scan_determinismE0ELb0ELb0ES3_N6thrust23THRUST_200600_302600_NS6detail15normal_iteratorINS9_10device_ptrIiEEEESE_iNS9_4plusIvEEiEEDaPvRmT3_T4_T5_mT6_P12ihipStream_tbENKUlT_T0_E_clISt17integral_constantIbLb1EEST_IbLb0EEEEDaSP_SQ_EUlSP_E_NS1_11comp_targetILNS1_3genE5ELNS1_11target_archE942ELNS1_3gpuE9ELNS1_3repE0EEENS1_30default_config_static_selectorELNS0_4arch9wavefront6targetE1EEEvT1_,@function
_ZN7rocprim17ROCPRIM_400000_NS6detail17trampoline_kernelINS0_14default_configENS1_20scan_config_selectorIiEEZZNS1_9scan_implILNS1_25lookback_scan_determinismE0ELb0ELb0ES3_N6thrust23THRUST_200600_302600_NS6detail15normal_iteratorINS9_10device_ptrIiEEEESE_iNS9_4plusIvEEiEEDaPvRmT3_T4_T5_mT6_P12ihipStream_tbENKUlT_T0_E_clISt17integral_constantIbLb1EEST_IbLb0EEEEDaSP_SQ_EUlSP_E_NS1_11comp_targetILNS1_3genE5ELNS1_11target_archE942ELNS1_3gpuE9ELNS1_3repE0EEENS1_30default_config_static_selectorELNS0_4arch9wavefront6targetE1EEEvT1_: ; @_ZN7rocprim17ROCPRIM_400000_NS6detail17trampoline_kernelINS0_14default_configENS1_20scan_config_selectorIiEEZZNS1_9scan_implILNS1_25lookback_scan_determinismE0ELb0ELb0ES3_N6thrust23THRUST_200600_302600_NS6detail15normal_iteratorINS9_10device_ptrIiEEEESE_iNS9_4plusIvEEiEEDaPvRmT3_T4_T5_mT6_P12ihipStream_tbENKUlT_T0_E_clISt17integral_constantIbLb1EEST_IbLb0EEEEDaSP_SQ_EUlSP_E_NS1_11comp_targetILNS1_3genE5ELNS1_11target_archE942ELNS1_3gpuE9ELNS1_3repE0EEENS1_30default_config_static_selectorELNS0_4arch9wavefront6targetE1EEEvT1_
; %bb.0:
	.section	.rodata,"a",@progbits
	.p2align	6, 0x0
	.amdhsa_kernel _ZN7rocprim17ROCPRIM_400000_NS6detail17trampoline_kernelINS0_14default_configENS1_20scan_config_selectorIiEEZZNS1_9scan_implILNS1_25lookback_scan_determinismE0ELb0ELb0ES3_N6thrust23THRUST_200600_302600_NS6detail15normal_iteratorINS9_10device_ptrIiEEEESE_iNS9_4plusIvEEiEEDaPvRmT3_T4_T5_mT6_P12ihipStream_tbENKUlT_T0_E_clISt17integral_constantIbLb1EEST_IbLb0EEEEDaSP_SQ_EUlSP_E_NS1_11comp_targetILNS1_3genE5ELNS1_11target_archE942ELNS1_3gpuE9ELNS1_3repE0EEENS1_30default_config_static_selectorELNS0_4arch9wavefront6targetE1EEEvT1_
		.amdhsa_group_segment_fixed_size 0
		.amdhsa_private_segment_fixed_size 0
		.amdhsa_kernarg_size 96
		.amdhsa_user_sgpr_count 6
		.amdhsa_user_sgpr_private_segment_buffer 1
		.amdhsa_user_sgpr_dispatch_ptr 0
		.amdhsa_user_sgpr_queue_ptr 0
		.amdhsa_user_sgpr_kernarg_segment_ptr 1
		.amdhsa_user_sgpr_dispatch_id 0
		.amdhsa_user_sgpr_flat_scratch_init 0
		.amdhsa_user_sgpr_kernarg_preload_length 0
		.amdhsa_user_sgpr_kernarg_preload_offset 0
		.amdhsa_user_sgpr_private_segment_size 0
		.amdhsa_uses_dynamic_stack 0
		.amdhsa_system_sgpr_private_segment_wavefront_offset 0
		.amdhsa_system_sgpr_workgroup_id_x 1
		.amdhsa_system_sgpr_workgroup_id_y 0
		.amdhsa_system_sgpr_workgroup_id_z 0
		.amdhsa_system_sgpr_workgroup_info 0
		.amdhsa_system_vgpr_workitem_id 0
		.amdhsa_next_free_vgpr 1
		.amdhsa_next_free_sgpr 0
		.amdhsa_accum_offset 4
		.amdhsa_reserve_vcc 0
		.amdhsa_reserve_flat_scratch 0
		.amdhsa_float_round_mode_32 0
		.amdhsa_float_round_mode_16_64 0
		.amdhsa_float_denorm_mode_32 3
		.amdhsa_float_denorm_mode_16_64 3
		.amdhsa_dx10_clamp 1
		.amdhsa_ieee_mode 1
		.amdhsa_fp16_overflow 0
		.amdhsa_tg_split 0
		.amdhsa_exception_fp_ieee_invalid_op 0
		.amdhsa_exception_fp_denorm_src 0
		.amdhsa_exception_fp_ieee_div_zero 0
		.amdhsa_exception_fp_ieee_overflow 0
		.amdhsa_exception_fp_ieee_underflow 0
		.amdhsa_exception_fp_ieee_inexact 0
		.amdhsa_exception_int_div_zero 0
	.end_amdhsa_kernel
	.section	.text._ZN7rocprim17ROCPRIM_400000_NS6detail17trampoline_kernelINS0_14default_configENS1_20scan_config_selectorIiEEZZNS1_9scan_implILNS1_25lookback_scan_determinismE0ELb0ELb0ES3_N6thrust23THRUST_200600_302600_NS6detail15normal_iteratorINS9_10device_ptrIiEEEESE_iNS9_4plusIvEEiEEDaPvRmT3_T4_T5_mT6_P12ihipStream_tbENKUlT_T0_E_clISt17integral_constantIbLb1EEST_IbLb0EEEEDaSP_SQ_EUlSP_E_NS1_11comp_targetILNS1_3genE5ELNS1_11target_archE942ELNS1_3gpuE9ELNS1_3repE0EEENS1_30default_config_static_selectorELNS0_4arch9wavefront6targetE1EEEvT1_,"axG",@progbits,_ZN7rocprim17ROCPRIM_400000_NS6detail17trampoline_kernelINS0_14default_configENS1_20scan_config_selectorIiEEZZNS1_9scan_implILNS1_25lookback_scan_determinismE0ELb0ELb0ES3_N6thrust23THRUST_200600_302600_NS6detail15normal_iteratorINS9_10device_ptrIiEEEESE_iNS9_4plusIvEEiEEDaPvRmT3_T4_T5_mT6_P12ihipStream_tbENKUlT_T0_E_clISt17integral_constantIbLb1EEST_IbLb0EEEEDaSP_SQ_EUlSP_E_NS1_11comp_targetILNS1_3genE5ELNS1_11target_archE942ELNS1_3gpuE9ELNS1_3repE0EEENS1_30default_config_static_selectorELNS0_4arch9wavefront6targetE1EEEvT1_,comdat
.Lfunc_end1377:
	.size	_ZN7rocprim17ROCPRIM_400000_NS6detail17trampoline_kernelINS0_14default_configENS1_20scan_config_selectorIiEEZZNS1_9scan_implILNS1_25lookback_scan_determinismE0ELb0ELb0ES3_N6thrust23THRUST_200600_302600_NS6detail15normal_iteratorINS9_10device_ptrIiEEEESE_iNS9_4plusIvEEiEEDaPvRmT3_T4_T5_mT6_P12ihipStream_tbENKUlT_T0_E_clISt17integral_constantIbLb1EEST_IbLb0EEEEDaSP_SQ_EUlSP_E_NS1_11comp_targetILNS1_3genE5ELNS1_11target_archE942ELNS1_3gpuE9ELNS1_3repE0EEENS1_30default_config_static_selectorELNS0_4arch9wavefront6targetE1EEEvT1_, .Lfunc_end1377-_ZN7rocprim17ROCPRIM_400000_NS6detail17trampoline_kernelINS0_14default_configENS1_20scan_config_selectorIiEEZZNS1_9scan_implILNS1_25lookback_scan_determinismE0ELb0ELb0ES3_N6thrust23THRUST_200600_302600_NS6detail15normal_iteratorINS9_10device_ptrIiEEEESE_iNS9_4plusIvEEiEEDaPvRmT3_T4_T5_mT6_P12ihipStream_tbENKUlT_T0_E_clISt17integral_constantIbLb1EEST_IbLb0EEEEDaSP_SQ_EUlSP_E_NS1_11comp_targetILNS1_3genE5ELNS1_11target_archE942ELNS1_3gpuE9ELNS1_3repE0EEENS1_30default_config_static_selectorELNS0_4arch9wavefront6targetE1EEEvT1_
                                        ; -- End function
	.section	.AMDGPU.csdata,"",@progbits
; Kernel info:
; codeLenInByte = 0
; NumSgprs: 4
; NumVgprs: 0
; NumAgprs: 0
; TotalNumVgprs: 0
; ScratchSize: 0
; MemoryBound: 0
; FloatMode: 240
; IeeeMode: 1
; LDSByteSize: 0 bytes/workgroup (compile time only)
; SGPRBlocks: 0
; VGPRBlocks: 0
; NumSGPRsForWavesPerEU: 4
; NumVGPRsForWavesPerEU: 1
; AccumOffset: 4
; Occupancy: 8
; WaveLimiterHint : 0
; COMPUTE_PGM_RSRC2:SCRATCH_EN: 0
; COMPUTE_PGM_RSRC2:USER_SGPR: 6
; COMPUTE_PGM_RSRC2:TRAP_HANDLER: 0
; COMPUTE_PGM_RSRC2:TGID_X_EN: 1
; COMPUTE_PGM_RSRC2:TGID_Y_EN: 0
; COMPUTE_PGM_RSRC2:TGID_Z_EN: 0
; COMPUTE_PGM_RSRC2:TIDIG_COMP_CNT: 0
; COMPUTE_PGM_RSRC3_GFX90A:ACCUM_OFFSET: 0
; COMPUTE_PGM_RSRC3_GFX90A:TG_SPLIT: 0
	.section	.text._ZN7rocprim17ROCPRIM_400000_NS6detail17trampoline_kernelINS0_14default_configENS1_20scan_config_selectorIiEEZZNS1_9scan_implILNS1_25lookback_scan_determinismE0ELb0ELb0ES3_N6thrust23THRUST_200600_302600_NS6detail15normal_iteratorINS9_10device_ptrIiEEEESE_iNS9_4plusIvEEiEEDaPvRmT3_T4_T5_mT6_P12ihipStream_tbENKUlT_T0_E_clISt17integral_constantIbLb1EEST_IbLb0EEEEDaSP_SQ_EUlSP_E_NS1_11comp_targetILNS1_3genE4ELNS1_11target_archE910ELNS1_3gpuE8ELNS1_3repE0EEENS1_30default_config_static_selectorELNS0_4arch9wavefront6targetE1EEEvT1_,"axG",@progbits,_ZN7rocprim17ROCPRIM_400000_NS6detail17trampoline_kernelINS0_14default_configENS1_20scan_config_selectorIiEEZZNS1_9scan_implILNS1_25lookback_scan_determinismE0ELb0ELb0ES3_N6thrust23THRUST_200600_302600_NS6detail15normal_iteratorINS9_10device_ptrIiEEEESE_iNS9_4plusIvEEiEEDaPvRmT3_T4_T5_mT6_P12ihipStream_tbENKUlT_T0_E_clISt17integral_constantIbLb1EEST_IbLb0EEEEDaSP_SQ_EUlSP_E_NS1_11comp_targetILNS1_3genE4ELNS1_11target_archE910ELNS1_3gpuE8ELNS1_3repE0EEENS1_30default_config_static_selectorELNS0_4arch9wavefront6targetE1EEEvT1_,comdat
	.protected	_ZN7rocprim17ROCPRIM_400000_NS6detail17trampoline_kernelINS0_14default_configENS1_20scan_config_selectorIiEEZZNS1_9scan_implILNS1_25lookback_scan_determinismE0ELb0ELb0ES3_N6thrust23THRUST_200600_302600_NS6detail15normal_iteratorINS9_10device_ptrIiEEEESE_iNS9_4plusIvEEiEEDaPvRmT3_T4_T5_mT6_P12ihipStream_tbENKUlT_T0_E_clISt17integral_constantIbLb1EEST_IbLb0EEEEDaSP_SQ_EUlSP_E_NS1_11comp_targetILNS1_3genE4ELNS1_11target_archE910ELNS1_3gpuE8ELNS1_3repE0EEENS1_30default_config_static_selectorELNS0_4arch9wavefront6targetE1EEEvT1_ ; -- Begin function _ZN7rocprim17ROCPRIM_400000_NS6detail17trampoline_kernelINS0_14default_configENS1_20scan_config_selectorIiEEZZNS1_9scan_implILNS1_25lookback_scan_determinismE0ELb0ELb0ES3_N6thrust23THRUST_200600_302600_NS6detail15normal_iteratorINS9_10device_ptrIiEEEESE_iNS9_4plusIvEEiEEDaPvRmT3_T4_T5_mT6_P12ihipStream_tbENKUlT_T0_E_clISt17integral_constantIbLb1EEST_IbLb0EEEEDaSP_SQ_EUlSP_E_NS1_11comp_targetILNS1_3genE4ELNS1_11target_archE910ELNS1_3gpuE8ELNS1_3repE0EEENS1_30default_config_static_selectorELNS0_4arch9wavefront6targetE1EEEvT1_
	.globl	_ZN7rocprim17ROCPRIM_400000_NS6detail17trampoline_kernelINS0_14default_configENS1_20scan_config_selectorIiEEZZNS1_9scan_implILNS1_25lookback_scan_determinismE0ELb0ELb0ES3_N6thrust23THRUST_200600_302600_NS6detail15normal_iteratorINS9_10device_ptrIiEEEESE_iNS9_4plusIvEEiEEDaPvRmT3_T4_T5_mT6_P12ihipStream_tbENKUlT_T0_E_clISt17integral_constantIbLb1EEST_IbLb0EEEEDaSP_SQ_EUlSP_E_NS1_11comp_targetILNS1_3genE4ELNS1_11target_archE910ELNS1_3gpuE8ELNS1_3repE0EEENS1_30default_config_static_selectorELNS0_4arch9wavefront6targetE1EEEvT1_
	.p2align	8
	.type	_ZN7rocprim17ROCPRIM_400000_NS6detail17trampoline_kernelINS0_14default_configENS1_20scan_config_selectorIiEEZZNS1_9scan_implILNS1_25lookback_scan_determinismE0ELb0ELb0ES3_N6thrust23THRUST_200600_302600_NS6detail15normal_iteratorINS9_10device_ptrIiEEEESE_iNS9_4plusIvEEiEEDaPvRmT3_T4_T5_mT6_P12ihipStream_tbENKUlT_T0_E_clISt17integral_constantIbLb1EEST_IbLb0EEEEDaSP_SQ_EUlSP_E_NS1_11comp_targetILNS1_3genE4ELNS1_11target_archE910ELNS1_3gpuE8ELNS1_3repE0EEENS1_30default_config_static_selectorELNS0_4arch9wavefront6targetE1EEEvT1_,@function
_ZN7rocprim17ROCPRIM_400000_NS6detail17trampoline_kernelINS0_14default_configENS1_20scan_config_selectorIiEEZZNS1_9scan_implILNS1_25lookback_scan_determinismE0ELb0ELb0ES3_N6thrust23THRUST_200600_302600_NS6detail15normal_iteratorINS9_10device_ptrIiEEEESE_iNS9_4plusIvEEiEEDaPvRmT3_T4_T5_mT6_P12ihipStream_tbENKUlT_T0_E_clISt17integral_constantIbLb1EEST_IbLb0EEEEDaSP_SQ_EUlSP_E_NS1_11comp_targetILNS1_3genE4ELNS1_11target_archE910ELNS1_3gpuE8ELNS1_3repE0EEENS1_30default_config_static_selectorELNS0_4arch9wavefront6targetE1EEEvT1_: ; @_ZN7rocprim17ROCPRIM_400000_NS6detail17trampoline_kernelINS0_14default_configENS1_20scan_config_selectorIiEEZZNS1_9scan_implILNS1_25lookback_scan_determinismE0ELb0ELb0ES3_N6thrust23THRUST_200600_302600_NS6detail15normal_iteratorINS9_10device_ptrIiEEEESE_iNS9_4plusIvEEiEEDaPvRmT3_T4_T5_mT6_P12ihipStream_tbENKUlT_T0_E_clISt17integral_constantIbLb1EEST_IbLb0EEEEDaSP_SQ_EUlSP_E_NS1_11comp_targetILNS1_3genE4ELNS1_11target_archE910ELNS1_3gpuE8ELNS1_3repE0EEENS1_30default_config_static_selectorELNS0_4arch9wavefront6targetE1EEEvT1_
; %bb.0:
	s_load_dwordx8 s[8:15], s[4:5], 0x0
	s_load_dword s1, s[4:5], 0x30
	s_mul_i32 s0, s6, 0x500
	v_lshlrev_b32_e32 v22, 2, v0
	s_waitcnt lgkmcnt(0)
	s_lshl_b64 s[16:17], s[10:11], 2
	s_add_u32 s2, s8, s16
	s_addc_u32 s3, s9, s17
	s_add_i32 s7, s1, -1
	s_mul_i32 s8, s7, 0x500
	s_sub_u32 s24, s14, s8
	s_subb_u32 s25, s15, 0
	s_mov_b32 s1, 0
	s_cmp_lg_u32 s6, s7
	s_cselect_b64 s[14:15], -1, 0
	s_lshl_b64 s[18:19], s[0:1], 2
	s_add_u32 s2, s2, s18
	s_addc_u32 s3, s3, s19
	s_mov_b64 s[0:1], -1
	s_and_b64 vcc, exec, s[14:15]
	s_cbranch_vccz .LBB1378_2
; %bb.1:
	v_mov_b32_e32 v1, s3
	v_add_co_u32_e32 v2, vcc, s2, v22
	v_addc_co_u32_e32 v3, vcc, 0, v1, vcc
	flat_load_dword v1, v[2:3]
	flat_load_dword v4, v[2:3] offset:512
	flat_load_dword v5, v[2:3] offset:1024
	;; [unrolled: 1-line block ×7, first 2 shown]
	v_add_co_u32_e32 v2, vcc, 0x1000, v2
	v_addc_co_u32_e32 v3, vcc, 0, v3, vcc
	flat_load_dword v11, v[2:3]
	flat_load_dword v12, v[2:3] offset:512
	s_mov_b64 s[0:1], 0
	s_waitcnt vmcnt(0) lgkmcnt(0)
	ds_write2st64_b32 v22, v1, v4 offset1:2
	ds_write2st64_b32 v22, v5, v6 offset0:4 offset1:6
	ds_write2st64_b32 v22, v7, v8 offset0:8 offset1:10
	;; [unrolled: 1-line block ×4, first 2 shown]
	s_waitcnt lgkmcnt(0)
	s_barrier
.LBB1378_2:
	s_load_dwordx2 s[20:21], s[4:5], 0x28
	s_andn2_b64 vcc, exec, s[0:1]
	v_cmp_gt_u32_e64 s[0:1], s24, v0
	s_cbranch_vccnz .LBB1378_24
; %bb.3:
	v_pk_mov_b32 v[2:3], s[2:3], s[2:3] op_sel:[0,1]
	flat_load_dword v1, v[2:3]
	s_waitcnt vmcnt(0) lgkmcnt(0)
	v_mov_b32_e32 v2, v1
	v_mov_b32_e32 v3, v1
	;; [unrolled: 1-line block ×9, first 2 shown]
	s_and_saveexec_b64 s[8:9], s[0:1]
	s_cbranch_execz .LBB1378_5
; %bb.4:
	v_mov_b32_e32 v11, s3
	v_add_co_u32_e32 v10, vcc, s2, v22
	v_addc_co_u32_e32 v11, vcc, 0, v11, vcc
	flat_load_dword v10, v[10:11]
.LBB1378_5:
	s_or_b64 exec, exec, s[8:9]
	v_or_b32_e32 v11, 0x80, v0
	v_cmp_gt_u32_e32 vcc, s24, v11
	s_and_saveexec_b64 s[0:1], vcc
	s_cbranch_execz .LBB1378_7
; %bb.6:
	v_mov_b32_e32 v1, s3
	v_add_co_u32_e32 v12, vcc, s2, v22
	v_addc_co_u32_e32 v13, vcc, 0, v1, vcc
	flat_load_dword v1, v[12:13] offset:512
.LBB1378_7:
	s_or_b64 exec, exec, s[0:1]
	v_or_b32_e32 v11, 0x100, v0
	v_cmp_gt_u32_e32 vcc, s24, v11
	s_and_saveexec_b64 s[0:1], vcc
	s_cbranch_execz .LBB1378_9
; %bb.8:
	v_mov_b32_e32 v2, s3
	v_add_co_u32_e32 v12, vcc, s2, v22
	v_addc_co_u32_e32 v13, vcc, 0, v2, vcc
	flat_load_dword v2, v[12:13] offset:1024
.LBB1378_9:
	;; [unrolled: 11-line block ×7, first 2 shown]
	s_or_b64 exec, exec, s[0:1]
	v_or_b32_e32 v11, 0x400, v0
	v_cmp_gt_u32_e32 vcc, s24, v11
	s_and_saveexec_b64 s[0:1], vcc
	s_cbranch_execz .LBB1378_21
; %bb.20:
	v_lshlrev_b32_e32 v8, 2, v11
	v_mov_b32_e32 v11, s3
	v_add_co_u32_e32 v12, vcc, s2, v8
	v_addc_co_u32_e32 v13, vcc, 0, v11, vcc
	flat_load_dword v8, v[12:13]
.LBB1378_21:
	s_or_b64 exec, exec, s[0:1]
	v_or_b32_e32 v11, 0x480, v0
	v_cmp_gt_u32_e32 vcc, s24, v11
	s_and_saveexec_b64 s[0:1], vcc
	s_cbranch_execz .LBB1378_23
; %bb.22:
	v_lshlrev_b32_e32 v9, 2, v11
	v_mov_b32_e32 v11, s3
	v_add_co_u32_e32 v12, vcc, s2, v9
	v_addc_co_u32_e32 v13, vcc, 0, v11, vcc
	flat_load_dword v9, v[12:13]
.LBB1378_23:
	s_or_b64 exec, exec, s[0:1]
	s_waitcnt vmcnt(0) lgkmcnt(0)
	ds_write2st64_b32 v22, v10, v1 offset1:2
	ds_write2st64_b32 v22, v2, v3 offset0:4 offset1:6
	ds_write2st64_b32 v22, v4, v5 offset0:8 offset1:10
	;; [unrolled: 1-line block ×4, first 2 shown]
	s_waitcnt lgkmcnt(0)
	s_barrier
.LBB1378_24:
	v_mul_u32_u24_e32 v23, 10, v0
	v_lshlrev_b32_e32 v1, 2, v23
	s_waitcnt lgkmcnt(0)
	ds_read2_b64 v[2:5], v1 offset1:1
	ds_read2_b64 v[16:19], v1 offset0:2 offset1:3
	ds_read_b64 v[20:21], v1 offset:32
	s_cmp_lg_u32 s6, 0
	v_lshrrev_b32_e32 v24, 5, v0
	v_cmp_gt_u32_e32 vcc, 64, v0
	s_waitcnt lgkmcnt(0)
	s_barrier
	s_cbranch_scc0 .LBB1378_53
; %bb.25:
	v_add_u32_e32 v6, v3, v2
	v_add3_u32 v6, v6, v4, v5
	v_add3_u32 v6, v6, v16, v17
	;; [unrolled: 1-line block ×4, first 2 shown]
	v_add_lshl_u32 v7, v24, v0, 2
	ds_write_b32 v7, v6
	s_waitcnt lgkmcnt(0)
	s_barrier
	s_and_saveexec_b64 s[2:3], vcc
	s_cbranch_execz .LBB1378_27
; %bb.26:
	v_lshlrev_b32_e32 v7, 1, v0
	v_lshrrev_b32_e32 v8, 4, v0
	v_add_lshl_u32 v7, v8, v7, 2
	ds_read2_b32 v[8:9], v7 offset1:1
	v_mbcnt_lo_u32_b32 v10, -1, 0
	v_mbcnt_hi_u32_b32 v10, -1, v10
	v_and_b32_e32 v11, 15, v10
	v_cmp_ne_u32_e64 s[0:1], 0, v11
	s_waitcnt lgkmcnt(0)
	v_add_u32_e32 v9, v9, v8
	; wave barrier
	s_nop 1
	v_mov_b32_dpp v12, v9 row_shr:1 row_mask:0xf bank_mask:0xf
	v_cndmask_b32_e64 v12, 0, v12, s[0:1]
	v_add_u32_e32 v9, v12, v9
	v_cmp_lt_u32_e64 s[0:1], 1, v11
	s_nop 0
	v_mov_b32_dpp v12, v9 row_shr:2 row_mask:0xf bank_mask:0xf
	v_cndmask_b32_e64 v12, 0, v12, s[0:1]
	v_add_u32_e32 v9, v9, v12
	v_cmp_lt_u32_e64 s[0:1], 3, v11
	;; [unrolled: 5-line block ×3, first 2 shown]
	s_nop 0
	v_mov_b32_dpp v12, v9 row_shr:8 row_mask:0xf bank_mask:0xf
	v_cndmask_b32_e64 v11, 0, v12, s[0:1]
	v_add_u32_e32 v9, v9, v11
	v_bfe_i32 v12, v10, 4, 1
	v_cmp_lt_u32_e64 s[0:1], 31, v10
	v_mov_b32_dpp v11, v9 row_bcast:15 row_mask:0xf bank_mask:0xf
	v_and_b32_e32 v11, v12, v11
	v_add_u32_e32 v9, v9, v11
	v_and_b32_e32 v12, 64, v10
	s_nop 0
	v_mov_b32_dpp v11, v9 row_bcast:31 row_mask:0xf bank_mask:0xf
	v_cndmask_b32_e64 v11, 0, v11, s[0:1]
	v_add_u32_e32 v9, v9, v11
	v_add_u32_e32 v11, -1, v10
	v_cmp_lt_i32_e64 s[0:1], v11, v12
	v_cndmask_b32_e64 v10, v11, v10, s[0:1]
	v_lshlrev_b32_e32 v10, 2, v10
	ds_bpermute_b32 v9, v10, v9
	v_cmp_eq_u32_e64 s[0:1], 0, v0
	s_waitcnt lgkmcnt(0)
	v_add_u32_e32 v8, v9, v8
	v_cndmask_b32_e64 v6, v8, v6, s[0:1]
	ds_write_b32 v7, v6
	; wave barrier
	ds_read_b32 v8, v7 offset:4
	s_waitcnt lgkmcnt(0)
	v_add_u32_e32 v6, v8, v6
	ds_write_b32 v7, v6 offset:4
.LBB1378_27:
	s_or_b64 exec, exec, s[2:3]
	v_cmp_eq_u32_e64 s[0:1], 0, v0
	v_cmp_ne_u32_e64 s[2:3], 0, v0
	v_mov_b32_e32 v25, 0
	s_waitcnt lgkmcnt(0)
	s_barrier
	s_and_saveexec_b64 s[8:9], s[2:3]
	s_cbranch_execz .LBB1378_29
; %bb.28:
	v_add_u32_e32 v6, -1, v0
	v_lshrrev_b32_e32 v7, 5, v6
	v_add_lshl_u32 v6, v7, v6, 2
	ds_read_b32 v25, v6
.LBB1378_29:
	s_or_b64 exec, exec, s[8:9]
	s_and_saveexec_b64 s[8:9], vcc
	s_cbranch_execz .LBB1378_52
; %bb.30:
	v_mov_b32_e32 v15, 0
	ds_read_b32 v6, v15 offset:520
	v_mbcnt_lo_u32_b32 v7, -1, 0
	v_mbcnt_hi_u32_b32 v9, -1, v7
	s_mov_b32 s23, 0
	v_cmp_eq_u32_e64 s[2:3], 0, v9
	s_and_saveexec_b64 s[10:11], s[2:3]
	s_cbranch_execz .LBB1378_32
; %bb.31:
	s_add_i32 s22, s6, 64
	s_lshl_b64 s[22:23], s[22:23], 3
	s_add_u32 s22, s20, s22
	v_mov_b32_e32 v7, 1
	s_addc_u32 s23, s21, s23
	s_waitcnt lgkmcnt(0)
	global_store_dwordx2 v15, v[6:7], s[22:23]
.LBB1378_32:
	s_or_b64 exec, exec, s[10:11]
	v_xad_u32 v8, v9, -1, s6
	v_add_u32_e32 v14, 64, v8
	v_lshlrev_b64 v[10:11], 3, v[14:15]
	v_mov_b32_e32 v7, s21
	v_add_co_u32_e32 v10, vcc, s20, v10
	v_addc_co_u32_e32 v11, vcc, v7, v11, vcc
	global_load_dwordx2 v[12:13], v[10:11], off glc
	s_waitcnt vmcnt(0)
	v_cmp_eq_u16_sdwa s[22:23], v13, v15 src0_sel:BYTE_0 src1_sel:DWORD
	s_and_saveexec_b64 s[10:11], s[22:23]
	s_cbranch_execz .LBB1378_38
; %bb.33:
	s_mov_b32 s7, 1
	s_mov_b64 s[22:23], 0
	v_mov_b32_e32 v7, 0
.LBB1378_34:                            ; =>This Loop Header: Depth=1
                                        ;     Child Loop BB1378_35 Depth 2
	s_max_u32 s26, s7, 1
.LBB1378_35:                            ;   Parent Loop BB1378_34 Depth=1
                                        ; =>  This Inner Loop Header: Depth=2
	s_add_i32 s26, s26, -1
	s_cmp_eq_u32 s26, 0
	s_sleep 1
	s_cbranch_scc0 .LBB1378_35
; %bb.36:                               ;   in Loop: Header=BB1378_34 Depth=1
	global_load_dwordx2 v[12:13], v[10:11], off glc
	s_cmp_lt_u32 s7, 32
	s_cselect_b64 s[26:27], -1, 0
	s_cmp_lg_u64 s[26:27], 0
	s_addc_u32 s7, s7, 0
	s_waitcnt vmcnt(0)
	v_cmp_ne_u16_sdwa s[26:27], v13, v7 src0_sel:BYTE_0 src1_sel:DWORD
	s_or_b64 s[22:23], s[26:27], s[22:23]
	s_andn2_b64 exec, exec, s[22:23]
	s_cbranch_execnz .LBB1378_34
; %bb.37:
	s_or_b64 exec, exec, s[22:23]
.LBB1378_38:
	s_or_b64 exec, exec, s[10:11]
	v_and_b32_e32 v26, 63, v9
	v_mov_b32_e32 v7, 2
	v_cmp_ne_u32_e32 vcc, 63, v26
	v_cmp_eq_u16_sdwa s[10:11], v13, v7 src0_sel:BYTE_0 src1_sel:DWORD
	v_lshlrev_b64 v[10:11], v9, -1
	v_addc_co_u32_e32 v27, vcc, 0, v9, vcc
	v_and_b32_e32 v14, s11, v11
	v_lshlrev_b32_e32 v27, 2, v27
	v_or_b32_e32 v14, 0x80000000, v14
	ds_bpermute_b32 v28, v27, v12
	v_and_b32_e32 v15, s10, v10
	v_ffbl_b32_e32 v14, v14
	v_add_u32_e32 v14, 32, v14
	v_ffbl_b32_e32 v15, v15
	v_min_u32_e32 v14, v15, v14
	v_cmp_lt_u32_e32 vcc, v26, v14
	s_waitcnt lgkmcnt(0)
	v_cndmask_b32_e32 v15, 0, v28, vcc
	v_cmp_gt_u32_e32 vcc, 62, v26
	v_add_u32_e32 v12, v15, v12
	v_cndmask_b32_e64 v15, 0, 1, vcc
	v_lshlrev_b32_e32 v15, 1, v15
	v_add_lshl_u32 v28, v15, v9, 2
	ds_bpermute_b32 v15, v28, v12
	v_add_u32_e32 v29, 2, v26
	v_cmp_le_u32_e32 vcc, v29, v14
	v_add_u32_e32 v31, 4, v26
	v_add_u32_e32 v33, 8, v26
	s_waitcnt lgkmcnt(0)
	v_cndmask_b32_e32 v15, 0, v15, vcc
	v_cmp_gt_u32_e32 vcc, 60, v26
	v_add_u32_e32 v12, v12, v15
	v_cndmask_b32_e64 v15, 0, 1, vcc
	v_lshlrev_b32_e32 v15, 2, v15
	v_add_lshl_u32 v30, v15, v9, 2
	ds_bpermute_b32 v15, v30, v12
	v_cmp_le_u32_e32 vcc, v31, v14
	v_add_u32_e32 v36, 16, v26
	v_add_u32_e32 v38, 32, v26
	s_waitcnt lgkmcnt(0)
	v_cndmask_b32_e32 v15, 0, v15, vcc
	v_cmp_gt_u32_e32 vcc, 56, v26
	v_add_u32_e32 v12, v12, v15
	v_cndmask_b32_e64 v15, 0, 1, vcc
	v_lshlrev_b32_e32 v15, 3, v15
	v_add_lshl_u32 v32, v15, v9, 2
	ds_bpermute_b32 v15, v32, v12
	v_cmp_le_u32_e32 vcc, v33, v14
	s_waitcnt lgkmcnt(0)
	v_cndmask_b32_e32 v15, 0, v15, vcc
	v_cmp_gt_u32_e32 vcc, 48, v26
	v_add_u32_e32 v12, v12, v15
	v_cndmask_b32_e64 v15, 0, 1, vcc
	v_lshlrev_b32_e32 v15, 4, v15
	v_add_lshl_u32 v35, v15, v9, 2
	ds_bpermute_b32 v15, v35, v12
	v_cmp_le_u32_e32 vcc, v36, v14
	s_waitcnt lgkmcnt(0)
	v_cndmask_b32_e32 v15, 0, v15, vcc
	v_cmp_gt_u32_e32 vcc, 32, v26
	v_add_u32_e32 v12, v12, v15
	v_cndmask_b32_e64 v15, 0, 1, vcc
	v_lshlrev_b32_e32 v15, 5, v15
	v_add_lshl_u32 v37, v15, v9, 2
	ds_bpermute_b32 v9, v37, v12
	v_cmp_le_u32_e32 vcc, v38, v14
	s_waitcnt lgkmcnt(0)
	v_cndmask_b32_e32 v9, 0, v9, vcc
	v_add_u32_e32 v12, v12, v9
	v_mov_b32_e32 v9, 0
	s_branch .LBB1378_40
.LBB1378_39:                            ;   in Loop: Header=BB1378_40 Depth=1
	s_or_b64 exec, exec, s[10:11]
	v_cmp_eq_u16_sdwa s[10:11], v13, v7 src0_sel:BYTE_0 src1_sel:DWORD
	v_and_b32_e32 v14, s11, v11
	v_or_b32_e32 v14, 0x80000000, v14
	ds_bpermute_b32 v39, v27, v12
	v_and_b32_e32 v15, s10, v10
	v_ffbl_b32_e32 v14, v14
	v_add_u32_e32 v14, 32, v14
	v_ffbl_b32_e32 v15, v15
	v_min_u32_e32 v14, v15, v14
	v_cmp_lt_u32_e32 vcc, v26, v14
	s_waitcnt lgkmcnt(0)
	v_cndmask_b32_e32 v15, 0, v39, vcc
	v_add_u32_e32 v12, v15, v12
	ds_bpermute_b32 v15, v28, v12
	v_cmp_le_u32_e32 vcc, v29, v14
	v_subrev_u32_e32 v8, 64, v8
	s_waitcnt lgkmcnt(0)
	v_cndmask_b32_e32 v15, 0, v15, vcc
	v_add_u32_e32 v12, v12, v15
	ds_bpermute_b32 v15, v30, v12
	v_cmp_le_u32_e32 vcc, v31, v14
	s_waitcnt lgkmcnt(0)
	v_cndmask_b32_e32 v15, 0, v15, vcc
	v_add_u32_e32 v12, v12, v15
	ds_bpermute_b32 v15, v32, v12
	v_cmp_le_u32_e32 vcc, v33, v14
	;; [unrolled: 5-line block ×4, first 2 shown]
	s_waitcnt lgkmcnt(0)
	v_cndmask_b32_e32 v14, 0, v15, vcc
	v_add3_u32 v12, v14, v34, v12
.LBB1378_40:                            ; =>This Loop Header: Depth=1
                                        ;     Child Loop BB1378_43 Depth 2
                                        ;       Child Loop BB1378_44 Depth 3
	v_cmp_ne_u16_sdwa s[10:11], v13, v7 src0_sel:BYTE_0 src1_sel:DWORD
	v_cndmask_b32_e64 v13, 0, 1, s[10:11]
	;;#ASMSTART
	;;#ASMEND
	v_cmp_ne_u32_e32 vcc, 0, v13
	s_cmp_lg_u64 vcc, exec
	v_mov_b32_e32 v34, v12
	s_cbranch_scc1 .LBB1378_47
; %bb.41:                               ;   in Loop: Header=BB1378_40 Depth=1
	v_lshlrev_b64 v[12:13], 3, v[8:9]
	v_mov_b32_e32 v15, s21
	v_add_co_u32_e32 v14, vcc, s20, v12
	v_addc_co_u32_e32 v15, vcc, v15, v13, vcc
	global_load_dwordx2 v[12:13], v[14:15], off glc
	s_waitcnt vmcnt(0)
	v_cmp_eq_u16_sdwa s[22:23], v13, v9 src0_sel:BYTE_0 src1_sel:DWORD
	s_and_saveexec_b64 s[10:11], s[22:23]
	s_cbranch_execz .LBB1378_39
; %bb.42:                               ;   in Loop: Header=BB1378_40 Depth=1
	s_mov_b32 s7, 1
	s_mov_b64 s[22:23], 0
.LBB1378_43:                            ;   Parent Loop BB1378_40 Depth=1
                                        ; =>  This Loop Header: Depth=2
                                        ;       Child Loop BB1378_44 Depth 3
	s_max_u32 s26, s7, 1
.LBB1378_44:                            ;   Parent Loop BB1378_40 Depth=1
                                        ;     Parent Loop BB1378_43 Depth=2
                                        ; =>    This Inner Loop Header: Depth=3
	s_add_i32 s26, s26, -1
	s_cmp_eq_u32 s26, 0
	s_sleep 1
	s_cbranch_scc0 .LBB1378_44
; %bb.45:                               ;   in Loop: Header=BB1378_43 Depth=2
	global_load_dwordx2 v[12:13], v[14:15], off glc
	s_cmp_lt_u32 s7, 32
	s_cselect_b64 s[26:27], -1, 0
	s_cmp_lg_u64 s[26:27], 0
	s_addc_u32 s7, s7, 0
	s_waitcnt vmcnt(0)
	v_cmp_ne_u16_sdwa s[26:27], v13, v9 src0_sel:BYTE_0 src1_sel:DWORD
	s_or_b64 s[22:23], s[26:27], s[22:23]
	s_andn2_b64 exec, exec, s[22:23]
	s_cbranch_execnz .LBB1378_43
; %bb.46:                               ;   in Loop: Header=BB1378_40 Depth=1
	s_or_b64 exec, exec, s[22:23]
	s_branch .LBB1378_39
.LBB1378_47:                            ;   in Loop: Header=BB1378_40 Depth=1
                                        ; implicit-def: $vgpr12
                                        ; implicit-def: $vgpr13
	s_cbranch_execz .LBB1378_40
; %bb.48:
	s_and_saveexec_b64 s[10:11], s[2:3]
	s_cbranch_execz .LBB1378_50
; %bb.49:
	s_add_i32 s2, s6, 64
	s_mov_b32 s3, 0
	s_lshl_b64 s[2:3], s[2:3], 3
	s_add_u32 s2, s20, s2
	v_add_u32_e32 v6, v34, v6
	v_mov_b32_e32 v7, 2
	s_addc_u32 s3, s21, s3
	v_mov_b32_e32 v8, 0
	global_store_dwordx2 v8, v[6:7], s[2:3]
.LBB1378_50:
	s_or_b64 exec, exec, s[10:11]
	s_and_b64 exec, exec, s[0:1]
	s_cbranch_execz .LBB1378_52
; %bb.51:
	v_mov_b32_e32 v6, 0
	ds_write_b32 v6, v34
.LBB1378_52:
	s_or_b64 exec, exec, s[8:9]
	v_mov_b32_e32 v6, 0
	s_waitcnt lgkmcnt(0)
	s_barrier
	ds_read_b32 v6, v6
	s_waitcnt lgkmcnt(0)
	v_add3_u32 v6, v25, v2, v6
	v_add_u32_e32 v7, v6, v3
	v_add_u32_e32 v8, v7, v4
	;; [unrolled: 1-line block ×9, first 2 shown]
	s_load_dwordx8 s[4:11], s[4:5], 0x38
	s_branch .LBB1378_65
.LBB1378_53:
                                        ; implicit-def: $vgpr6_vgpr7_vgpr8_vgpr9_vgpr10_vgpr11_vgpr12_vgpr13_vgpr14_vgpr15
	s_load_dwordx8 s[4:11], s[4:5], 0x38
	s_cbranch_execz .LBB1378_65
; %bb.54:
	s_waitcnt lgkmcnt(0)
	s_cmp_lg_u64 s[8:9], 0
	s_cselect_b64 s[2:3], -1, 0
	v_cmp_eq_u32_e64 s[0:1], 0, v0
	v_cmp_ne_u32_e32 vcc, 0, v0
	s_and_b64 s[8:9], s[0:1], s[2:3]
	v_mov_b32_e32 v12, v3
	v_mov_b32_e32 v13, v4
	;; [unrolled: 1-line block ×3, first 2 shown]
	s_and_saveexec_b64 s[2:3], s[8:9]
	s_cbranch_execz .LBB1378_56
; %bb.55:
	v_mov_b32_e32 v6, 0
	global_load_dword v6, v6, s[4:5]
	v_mov_b32_e32 v12, v3
	v_mov_b32_e32 v13, v4
	;; [unrolled: 1-line block ×3, first 2 shown]
	s_waitcnt vmcnt(0)
	v_add_u32_e32 v2, v6, v2
.LBB1378_56:
	s_or_b64 exec, exec, s[2:3]
	v_add_u32_e32 v3, v12, v2
	v_add_u32_e32 v4, v3, v13
	;; [unrolled: 1-line block ×9, first 2 shown]
	v_add_lshl_u32 v15, v24, v0, 2
	v_cmp_gt_u32_e64 s[2:3], 64, v0
	ds_write_b32 v15, v11
	s_waitcnt lgkmcnt(0)
	s_barrier
	s_and_saveexec_b64 s[4:5], s[2:3]
	s_cbranch_execz .LBB1378_58
; %bb.57:
	v_lshlrev_b32_e32 v15, 1, v0
	v_lshrrev_b32_e32 v24, 4, v0
	v_add_lshl_u32 v15, v24, v15, 2
	ds_read2_b32 v[24:25], v15 offset1:1
	v_mbcnt_lo_u32_b32 v26, -1, 0
	v_mbcnt_hi_u32_b32 v26, -1, v26
	v_and_b32_e32 v27, 15, v26
	v_cmp_ne_u32_e64 s[2:3], 0, v27
	s_waitcnt lgkmcnt(0)
	v_add_u32_e32 v25, v25, v24
	; wave barrier
	s_nop 1
	v_mov_b32_dpp v28, v25 row_shr:1 row_mask:0xf bank_mask:0xf
	v_cndmask_b32_e64 v28, 0, v28, s[2:3]
	v_add_u32_e32 v25, v28, v25
	v_cmp_lt_u32_e64 s[2:3], 1, v27
	s_nop 0
	v_mov_b32_dpp v28, v25 row_shr:2 row_mask:0xf bank_mask:0xf
	v_cndmask_b32_e64 v28, 0, v28, s[2:3]
	v_add_u32_e32 v25, v25, v28
	v_cmp_lt_u32_e64 s[2:3], 3, v27
	;; [unrolled: 5-line block ×3, first 2 shown]
	s_nop 0
	v_mov_b32_dpp v28, v25 row_shr:8 row_mask:0xf bank_mask:0xf
	v_cndmask_b32_e64 v27, 0, v28, s[2:3]
	v_add_u32_e32 v25, v25, v27
	v_bfe_i32 v28, v26, 4, 1
	v_cmp_lt_u32_e64 s[2:3], 31, v26
	v_mov_b32_dpp v27, v25 row_bcast:15 row_mask:0xf bank_mask:0xf
	v_and_b32_e32 v27, v28, v27
	v_add_u32_e32 v25, v25, v27
	v_and_b32_e32 v28, 64, v26
	s_nop 0
	v_mov_b32_dpp v27, v25 row_bcast:31 row_mask:0xf bank_mask:0xf
	v_cndmask_b32_e64 v27, 0, v27, s[2:3]
	v_add_u32_e32 v25, v25, v27
	v_add_u32_e32 v27, -1, v26
	v_cmp_lt_i32_e64 s[2:3], v27, v28
	v_cndmask_b32_e64 v26, v27, v26, s[2:3]
	v_lshlrev_b32_e32 v26, 2, v26
	ds_bpermute_b32 v25, v26, v25
	s_waitcnt lgkmcnt(0)
	v_add_u32_e32 v24, v25, v24
	v_cndmask_b32_e64 v24, v24, v11, s[0:1]
	ds_write_b32 v15, v24
	; wave barrier
	ds_read_b32 v25, v15 offset:4
	s_waitcnt lgkmcnt(0)
	v_add_u32_e32 v24, v25, v24
	ds_write_b32 v15, v24 offset:4
.LBB1378_58:
	s_or_b64 exec, exec, s[4:5]
	v_mov_b32_e32 v15, v11
	s_waitcnt lgkmcnt(0)
	s_barrier
	s_and_saveexec_b64 s[0:1], vcc
	s_cbranch_execz .LBB1378_60
; %bb.59:
	v_add_u32_e32 v15, -1, v0
	v_lshrrev_b32_e32 v24, 5, v15
	v_add_lshl_u32 v15, v24, v15, 2
	ds_read_b32 v15, v15
.LBB1378_60:
	s_or_b64 exec, exec, s[0:1]
	s_and_saveexec_b64 s[0:1], vcc
	s_cbranch_execz .LBB1378_62
; %bb.61:
	s_waitcnt lgkmcnt(0)
	v_add_u32_e32 v2, v15, v2
	v_add_u32_e32 v3, v2, v12
	;; [unrolled: 1-line block ×10, first 2 shown]
	;;#ASMSTART
	;;#ASMEND
.LBB1378_62:
	s_or_b64 exec, exec, s[0:1]
	s_movk_i32 s0, 0x7f
	v_cmp_eq_u32_e32 vcc, s0, v0
	s_and_saveexec_b64 s[0:1], vcc
	s_cbranch_execz .LBB1378_64
; %bb.63:
	v_mov_b32_e32 v14, 0
	v_mov_b32_e32 v13, 2
	;; [unrolled: 1-line block ×3, first 2 shown]
	global_store_dwordx2 v14, v[12:13], s[20:21] offset:512
.LBB1378_64:
	s_or_b64 exec, exec, s[0:1]
	s_waitcnt lgkmcnt(0)
	v_pk_mov_b32 v[14:15], v[10:11], v[10:11] op_sel:[0,1]
	v_pk_mov_b32 v[12:13], v[8:9], v[8:9] op_sel:[0,1]
	;; [unrolled: 1-line block ×5, first 2 shown]
.LBB1378_65:
	s_add_u32 s0, s12, s16
	s_addc_u32 s1, s13, s17
	s_add_u32 s2, s0, s18
	s_addc_u32 s3, s1, s19
	s_mov_b64 s[0:1], -1
	s_and_b64 vcc, exec, s[14:15]
	s_waitcnt lgkmcnt(0)
	s_barrier
	s_cbranch_vccz .LBB1378_67
; %bb.66:
	ds_write2_b64 v1, v[6:7], v[8:9] offset1:1
	ds_write2_b64 v1, v[10:11], v[12:13] offset0:2 offset1:3
	ds_write_b64 v1, v[14:15] offset:32
	s_waitcnt lgkmcnt(0)
	s_barrier
	ds_read2st64_b32 v[2:3], v22 offset1:2
	ds_read2st64_b32 v[4:5], v22 offset0:4 offset1:6
	ds_read2st64_b32 v[16:17], v22 offset0:8 offset1:10
	;; [unrolled: 1-line block ×4, first 2 shown]
	v_mov_b32_e32 v25, s3
	v_add_co_u32_e32 v24, vcc, s2, v22
	v_addc_co_u32_e32 v25, vcc, 0, v25, vcc
	s_waitcnt lgkmcnt(4)
	flat_store_dword v[24:25], v2
	flat_store_dword v[24:25], v3 offset:512
	s_waitcnt lgkmcnt(0)
	flat_store_dword v[24:25], v4 offset:1024
	flat_store_dword v[24:25], v5 offset:1536
	;; [unrolled: 1-line block ×6, first 2 shown]
	v_add_co_u32_e32 v2, vcc, 0x1000, v24
	v_addc_co_u32_e32 v3, vcc, 0, v25, vcc
	flat_store_dword v[2:3], v20
	flat_store_dword v[2:3], v21 offset:512
	s_mov_b64 s[0:1], 0
.LBB1378_67:
	s_andn2_b64 vcc, exec, s[0:1]
	s_cbranch_vccnz .LBB1378_123
; %bb.68:
	ds_write2_b64 v1, v[6:7], v[8:9] offset1:1
	ds_write2_b64 v1, v[10:11], v[12:13] offset0:2 offset1:3
	ds_write_b64 v1, v[14:15] offset:32
	s_waitcnt lgkmcnt(0)
	s_barrier
	ds_read2st64_b32 v[2:3], v22 offset1:2
	ds_read2st64_b32 v[6:7], v22 offset0:4 offset1:6
	ds_read2st64_b32 v[4:5], v22 offset0:8 offset1:10
	;; [unrolled: 1-line block ×4, first 2 shown]
	v_mov_b32_e32 v13, s3
	v_add_co_u32_e32 v12, vcc, s2, v22
	v_addc_co_u32_e32 v13, vcc, 0, v13, vcc
	v_mov_b32_e32 v1, 0
	v_cmp_gt_u32_e32 vcc, s24, v0
	s_and_saveexec_b64 s[0:1], vcc
	s_cbranch_execz .LBB1378_70
; %bb.69:
	s_waitcnt lgkmcnt(0)
	flat_store_dword v[12:13], v2
.LBB1378_70:
	s_or_b64 exec, exec, s[0:1]
	v_or_b32_e32 v14, 0x80, v0
	v_cmp_gt_u32_e32 vcc, s24, v14
	s_and_saveexec_b64 s[0:1], vcc
	s_cbranch_execz .LBB1378_72
; %bb.71:
	s_waitcnt lgkmcnt(0)
	flat_store_dword v[12:13], v3 offset:512
.LBB1378_72:
	s_or_b64 exec, exec, s[0:1]
	v_or_b32_e32 v14, 0x100, v0
	v_cmp_gt_u32_e32 vcc, s24, v14
	s_and_saveexec_b64 s[0:1], vcc
	s_cbranch_execz .LBB1378_74
; %bb.73:
	s_waitcnt lgkmcnt(0)
	flat_store_dword v[12:13], v6 offset:1024
.LBB1378_74:
	;; [unrolled: 9-line block ×7, first 2 shown]
	s_or_b64 exec, exec, s[0:1]
	v_or_b32_e32 v14, 0x400, v0
	v_cmp_gt_u32_e32 vcc, s24, v14
	s_and_saveexec_b64 s[0:1], vcc
	s_cbranch_execz .LBB1378_86
; %bb.85:
	v_add_co_u32_e32 v14, vcc, 0x1000, v12
	v_addc_co_u32_e32 v15, vcc, 0, v13, vcc
	s_waitcnt lgkmcnt(0)
	flat_store_dword v[14:15], v10
.LBB1378_86:
	s_or_b64 exec, exec, s[0:1]
	v_or_b32_e32 v14, 0x480, v0
	v_cmp_gt_u32_e32 vcc, s24, v14
	s_and_saveexec_b64 s[0:1], vcc
	s_cbranch_execz .LBB1378_88
; %bb.87:
	v_add_co_u32_e32 v12, vcc, 0x1000, v12
	v_addc_co_u32_e32 v13, vcc, 0, v13, vcc
	s_waitcnt lgkmcnt(0)
	flat_store_dword v[12:13], v11 offset:512
.LBB1378_88:
	s_or_b64 exec, exec, s[0:1]
	v_cmp_lt_u64_e64 s[0:1], s[10:11], 2
	s_and_b64 vcc, exec, s[0:1]
	s_cbranch_vccnz .LBB1378_123
; %bb.89:
	s_add_u32 s0, s24, -1
	s_addc_u32 s1, s25, -1
	s_add_u32 s2, 0, 0x99986000
	s_addc_u32 s3, 0, 0x59
	s_add_i32 s3, s3, 0x19999940
	s_mul_hi_u32 s9, s2, -10
	s_sub_i32 s9, s9, s2
	s_mul_i32 s10, s3, -10
	s_mul_i32 s4, s2, -10
	s_add_i32 s9, s9, s10
	s_mul_hi_u32 s5, s3, s4
	s_mul_i32 s8, s3, s4
	s_mul_i32 s11, s2, s9
	s_mul_hi_u32 s4, s2, s4
	s_mul_hi_u32 s10, s2, s9
	s_add_u32 s4, s4, s11
	s_addc_u32 s10, 0, s10
	s_add_u32 s4, s4, s8
	s_mul_hi_u32 s11, s3, s9
	s_addc_u32 s4, s10, s5
	s_addc_u32 s5, s11, 0
	s_mul_i32 s8, s3, s9
	s_add_u32 s4, s4, s8
	v_mov_b32_e32 v12, s4
	s_addc_u32 s5, 0, s5
	v_add_co_u32_e32 v12, vcc, s2, v12
	s_cmp_lg_u64 vcc, 0
	s_addc_u32 s2, s3, s5
	v_readfirstlane_b32 s5, v12
	s_mul_i32 s4, s0, s2
	s_mul_hi_u32 s8, s0, s5
	s_mul_hi_u32 s3, s0, s2
	s_add_u32 s4, s8, s4
	s_addc_u32 s3, 0, s3
	s_mul_hi_u32 s9, s1, s5
	s_mul_i32 s5, s1, s5
	s_add_u32 s4, s4, s5
	s_mul_hi_u32 s8, s1, s2
	s_addc_u32 s3, s3, s9
	s_addc_u32 s4, s8, 0
	s_mul_i32 s2, s1, s2
	s_add_u32 s2, s3, s2
	s_addc_u32 s3, 0, s4
	s_add_u32 s4, s2, 1
	s_addc_u32 s5, s3, 0
	s_add_u32 s8, s2, 2
	s_mul_i32 s10, s3, 10
	s_mul_hi_u32 s11, s2, 10
	s_addc_u32 s9, s3, 0
	s_add_i32 s11, s11, s10
	s_mul_i32 s10, s2, 10
	v_mov_b32_e32 v12, s10
	v_sub_co_u32_e32 v12, vcc, s0, v12
	s_cmp_lg_u64 vcc, 0
	s_subb_u32 s10, s1, s11
	v_subrev_co_u32_e32 v13, vcc, 10, v12
	s_cmp_lg_u64 vcc, 0
	s_subb_u32 s11, s10, 0
	v_readfirstlane_b32 s12, v13
	s_cmp_gt_u32 s12, 9
	s_cselect_b32 s12, -1, 0
	s_cmp_eq_u32 s11, 0
	s_cselect_b32 s11, s12, -1
	s_cmp_lg_u32 s11, 0
	s_cselect_b32 s4, s8, s4
	v_readfirstlane_b32 s8, v12
	s_cselect_b32 s5, s9, s5
	s_cmp_gt_u32 s8, 9
	s_cselect_b32 s8, -1, 0
	s_cmp_eq_u32 s10, 0
	s_cselect_b32 s8, s8, -1
	s_cmp_lg_u32 s8, 0
	s_cselect_b32 s3, s5, s3
	s_cselect_b32 s2, s4, s2
	v_cmp_eq_u64_e32 vcc, s[2:3], v[0:1]
	s_and_saveexec_b64 s[2:3], vcc
	s_cbranch_execz .LBB1378_123
; %bb.90:
	v_mul_hi_u32_u24_e32 v1, 10, v0
	v_mov_b32_e32 v12, s1
	v_sub_co_u32_e32 v0, vcc, s0, v23
	v_subb_co_u32_e32 v1, vcc, v12, v1, vcc
	v_cmp_lt_i64_e32 vcc, 4, v[0:1]
	s_and_saveexec_b64 s[0:1], vcc
	s_xor_b64 s[0:1], exec, s[0:1]
	s_cbranch_execz .LBB1378_108
; %bb.91:
	v_cmp_lt_i64_e32 vcc, 6, v[0:1]
	s_and_saveexec_b64 s[2:3], vcc
	s_xor_b64 s[2:3], exec, s[2:3]
	s_cbranch_execz .LBB1378_101
; %bb.92:
	;; [unrolled: 5-line block ×4, first 2 shown]
	v_mov_b32_e32 v0, 0
	s_waitcnt lgkmcnt(0)
	global_store_dword v0, v11, s[6:7]
                                        ; implicit-def: $vgpr10_vgpr11
.LBB1378_95:
	s_andn2_saveexec_b64 s[8:9], s[8:9]
	s_cbranch_execz .LBB1378_97
; %bb.96:
	v_mov_b32_e32 v0, 0
	s_waitcnt lgkmcnt(0)
	global_store_dword v0, v10, s[6:7]
.LBB1378_97:
	s_or_b64 exec, exec, s[8:9]
                                        ; implicit-def: $vgpr8_vgpr9
.LBB1378_98:
	s_andn2_saveexec_b64 s[4:5], s[4:5]
	s_cbranch_execz .LBB1378_100
; %bb.99:
	v_mov_b32_e32 v0, 0
	s_waitcnt lgkmcnt(0)
	global_store_dword v0, v9, s[6:7]
.LBB1378_100:
	s_or_b64 exec, exec, s[4:5]
                                        ; implicit-def: $vgpr4_vgpr5
                                        ; implicit-def: $vgpr0_vgpr1
                                        ; implicit-def: $vgpr8_vgpr9
.LBB1378_101:
	s_andn2_saveexec_b64 s[2:3], s[2:3]
	s_cbranch_execz .LBB1378_107
; %bb.102:
	v_cmp_lt_i64_e32 vcc, 5, v[0:1]
	s_and_saveexec_b64 s[4:5], vcc
	s_xor_b64 s[4:5], exec, s[4:5]
	s_cbranch_execz .LBB1378_104
; %bb.103:
	v_mov_b32_e32 v0, 0
	s_waitcnt lgkmcnt(0)
	global_store_dword v0, v8, s[6:7]
                                        ; implicit-def: $vgpr4_vgpr5
.LBB1378_104:
	s_andn2_saveexec_b64 s[4:5], s[4:5]
	s_cbranch_execz .LBB1378_106
; %bb.105:
	v_mov_b32_e32 v0, 0
	s_waitcnt lgkmcnt(0)
	global_store_dword v0, v5, s[6:7]
.LBB1378_106:
	s_or_b64 exec, exec, s[4:5]
.LBB1378_107:
	s_or_b64 exec, exec, s[2:3]
                                        ; implicit-def: $vgpr0_vgpr1
                                        ; implicit-def: $vgpr6_vgpr7
                                        ; implicit-def: $vgpr2_vgpr3
                                        ; implicit-def: $vgpr4_vgpr5
.LBB1378_108:
	s_andn2_saveexec_b64 s[0:1], s[0:1]
	s_cbranch_execz .LBB1378_123
; %bb.109:
	v_cmp_lt_i64_e32 vcc, 2, v[0:1]
	s_and_saveexec_b64 s[0:1], vcc
	s_xor_b64 s[0:1], exec, s[0:1]
	s_cbranch_execz .LBB1378_115
; %bb.110:
	v_cmp_lt_i64_e32 vcc, 3, v[0:1]
	s_and_saveexec_b64 s[2:3], vcc
	s_xor_b64 s[2:3], exec, s[2:3]
	s_cbranch_execz .LBB1378_112
; %bb.111:
	v_mov_b32_e32 v0, 0
	s_waitcnt lgkmcnt(0)
	global_store_dword v0, v4, s[6:7]
                                        ; implicit-def: $vgpr6_vgpr7
.LBB1378_112:
	s_andn2_saveexec_b64 s[2:3], s[2:3]
	s_cbranch_execz .LBB1378_114
; %bb.113:
	v_mov_b32_e32 v0, 0
	s_waitcnt lgkmcnt(0)
	global_store_dword v0, v7, s[6:7]
.LBB1378_114:
	s_or_b64 exec, exec, s[2:3]
                                        ; implicit-def: $vgpr0_vgpr1
                                        ; implicit-def: $vgpr6_vgpr7
                                        ; implicit-def: $vgpr2_vgpr3
.LBB1378_115:
	s_andn2_saveexec_b64 s[0:1], s[0:1]
	s_cbranch_execz .LBB1378_123
; %bb.116:
	v_cmp_lt_i64_e32 vcc, 1, v[0:1]
	s_and_saveexec_b64 s[0:1], vcc
	s_xor_b64 s[0:1], exec, s[0:1]
	s_cbranch_execz .LBB1378_118
; %bb.117:
	v_mov_b32_e32 v0, 0
	s_waitcnt lgkmcnt(0)
	global_store_dword v0, v6, s[6:7]
                                        ; implicit-def: $vgpr2_vgpr3
                                        ; implicit-def: $vgpr0_vgpr1
.LBB1378_118:
	s_andn2_saveexec_b64 s[0:1], s[0:1]
	s_cbranch_execz .LBB1378_123
; %bb.119:
	v_cmp_ne_u64_e32 vcc, 1, v[0:1]
	s_and_saveexec_b64 s[0:1], vcc
	s_xor_b64 s[0:1], exec, s[0:1]
	s_cbranch_execz .LBB1378_121
; %bb.120:
	v_mov_b32_e32 v0, 0
	s_waitcnt lgkmcnt(0)
	global_store_dword v0, v2, s[6:7]
                                        ; implicit-def: $vgpr2_vgpr3
.LBB1378_121:
	s_andn2_saveexec_b64 s[0:1], s[0:1]
	s_cbranch_execz .LBB1378_123
; %bb.122:
	v_mov_b32_e32 v0, 0
	s_waitcnt lgkmcnt(0)
	global_store_dword v0, v3, s[6:7]
.LBB1378_123:
	s_endpgm
	.section	.rodata,"a",@progbits
	.p2align	6, 0x0
	.amdhsa_kernel _ZN7rocprim17ROCPRIM_400000_NS6detail17trampoline_kernelINS0_14default_configENS1_20scan_config_selectorIiEEZZNS1_9scan_implILNS1_25lookback_scan_determinismE0ELb0ELb0ES3_N6thrust23THRUST_200600_302600_NS6detail15normal_iteratorINS9_10device_ptrIiEEEESE_iNS9_4plusIvEEiEEDaPvRmT3_T4_T5_mT6_P12ihipStream_tbENKUlT_T0_E_clISt17integral_constantIbLb1EEST_IbLb0EEEEDaSP_SQ_EUlSP_E_NS1_11comp_targetILNS1_3genE4ELNS1_11target_archE910ELNS1_3gpuE8ELNS1_3repE0EEENS1_30default_config_static_selectorELNS0_4arch9wavefront6targetE1EEEvT1_
		.amdhsa_group_segment_fixed_size 5120
		.amdhsa_private_segment_fixed_size 0
		.amdhsa_kernarg_size 96
		.amdhsa_user_sgpr_count 6
		.amdhsa_user_sgpr_private_segment_buffer 1
		.amdhsa_user_sgpr_dispatch_ptr 0
		.amdhsa_user_sgpr_queue_ptr 0
		.amdhsa_user_sgpr_kernarg_segment_ptr 1
		.amdhsa_user_sgpr_dispatch_id 0
		.amdhsa_user_sgpr_flat_scratch_init 0
		.amdhsa_user_sgpr_kernarg_preload_length 0
		.amdhsa_user_sgpr_kernarg_preload_offset 0
		.amdhsa_user_sgpr_private_segment_size 0
		.amdhsa_uses_dynamic_stack 0
		.amdhsa_system_sgpr_private_segment_wavefront_offset 0
		.amdhsa_system_sgpr_workgroup_id_x 1
		.amdhsa_system_sgpr_workgroup_id_y 0
		.amdhsa_system_sgpr_workgroup_id_z 0
		.amdhsa_system_sgpr_workgroup_info 0
		.amdhsa_system_vgpr_workitem_id 0
		.amdhsa_next_free_vgpr 40
		.amdhsa_next_free_sgpr 28
		.amdhsa_accum_offset 40
		.amdhsa_reserve_vcc 1
		.amdhsa_reserve_flat_scratch 0
		.amdhsa_float_round_mode_32 0
		.amdhsa_float_round_mode_16_64 0
		.amdhsa_float_denorm_mode_32 3
		.amdhsa_float_denorm_mode_16_64 3
		.amdhsa_dx10_clamp 1
		.amdhsa_ieee_mode 1
		.amdhsa_fp16_overflow 0
		.amdhsa_tg_split 0
		.amdhsa_exception_fp_ieee_invalid_op 0
		.amdhsa_exception_fp_denorm_src 0
		.amdhsa_exception_fp_ieee_div_zero 0
		.amdhsa_exception_fp_ieee_overflow 0
		.amdhsa_exception_fp_ieee_underflow 0
		.amdhsa_exception_fp_ieee_inexact 0
		.amdhsa_exception_int_div_zero 0
	.end_amdhsa_kernel
	.section	.text._ZN7rocprim17ROCPRIM_400000_NS6detail17trampoline_kernelINS0_14default_configENS1_20scan_config_selectorIiEEZZNS1_9scan_implILNS1_25lookback_scan_determinismE0ELb0ELb0ES3_N6thrust23THRUST_200600_302600_NS6detail15normal_iteratorINS9_10device_ptrIiEEEESE_iNS9_4plusIvEEiEEDaPvRmT3_T4_T5_mT6_P12ihipStream_tbENKUlT_T0_E_clISt17integral_constantIbLb1EEST_IbLb0EEEEDaSP_SQ_EUlSP_E_NS1_11comp_targetILNS1_3genE4ELNS1_11target_archE910ELNS1_3gpuE8ELNS1_3repE0EEENS1_30default_config_static_selectorELNS0_4arch9wavefront6targetE1EEEvT1_,"axG",@progbits,_ZN7rocprim17ROCPRIM_400000_NS6detail17trampoline_kernelINS0_14default_configENS1_20scan_config_selectorIiEEZZNS1_9scan_implILNS1_25lookback_scan_determinismE0ELb0ELb0ES3_N6thrust23THRUST_200600_302600_NS6detail15normal_iteratorINS9_10device_ptrIiEEEESE_iNS9_4plusIvEEiEEDaPvRmT3_T4_T5_mT6_P12ihipStream_tbENKUlT_T0_E_clISt17integral_constantIbLb1EEST_IbLb0EEEEDaSP_SQ_EUlSP_E_NS1_11comp_targetILNS1_3genE4ELNS1_11target_archE910ELNS1_3gpuE8ELNS1_3repE0EEENS1_30default_config_static_selectorELNS0_4arch9wavefront6targetE1EEEvT1_,comdat
.Lfunc_end1378:
	.size	_ZN7rocprim17ROCPRIM_400000_NS6detail17trampoline_kernelINS0_14default_configENS1_20scan_config_selectorIiEEZZNS1_9scan_implILNS1_25lookback_scan_determinismE0ELb0ELb0ES3_N6thrust23THRUST_200600_302600_NS6detail15normal_iteratorINS9_10device_ptrIiEEEESE_iNS9_4plusIvEEiEEDaPvRmT3_T4_T5_mT6_P12ihipStream_tbENKUlT_T0_E_clISt17integral_constantIbLb1EEST_IbLb0EEEEDaSP_SQ_EUlSP_E_NS1_11comp_targetILNS1_3genE4ELNS1_11target_archE910ELNS1_3gpuE8ELNS1_3repE0EEENS1_30default_config_static_selectorELNS0_4arch9wavefront6targetE1EEEvT1_, .Lfunc_end1378-_ZN7rocprim17ROCPRIM_400000_NS6detail17trampoline_kernelINS0_14default_configENS1_20scan_config_selectorIiEEZZNS1_9scan_implILNS1_25lookback_scan_determinismE0ELb0ELb0ES3_N6thrust23THRUST_200600_302600_NS6detail15normal_iteratorINS9_10device_ptrIiEEEESE_iNS9_4plusIvEEiEEDaPvRmT3_T4_T5_mT6_P12ihipStream_tbENKUlT_T0_E_clISt17integral_constantIbLb1EEST_IbLb0EEEEDaSP_SQ_EUlSP_E_NS1_11comp_targetILNS1_3genE4ELNS1_11target_archE910ELNS1_3gpuE8ELNS1_3repE0EEENS1_30default_config_static_selectorELNS0_4arch9wavefront6targetE1EEEvT1_
                                        ; -- End function
	.section	.AMDGPU.csdata,"",@progbits
; Kernel info:
; codeLenInByte = 4604
; NumSgprs: 32
; NumVgprs: 40
; NumAgprs: 0
; TotalNumVgprs: 40
; ScratchSize: 0
; MemoryBound: 0
; FloatMode: 240
; IeeeMode: 1
; LDSByteSize: 5120 bytes/workgroup (compile time only)
; SGPRBlocks: 3
; VGPRBlocks: 4
; NumSGPRsForWavesPerEU: 32
; NumVGPRsForWavesPerEU: 40
; AccumOffset: 40
; Occupancy: 6
; WaveLimiterHint : 1
; COMPUTE_PGM_RSRC2:SCRATCH_EN: 0
; COMPUTE_PGM_RSRC2:USER_SGPR: 6
; COMPUTE_PGM_RSRC2:TRAP_HANDLER: 0
; COMPUTE_PGM_RSRC2:TGID_X_EN: 1
; COMPUTE_PGM_RSRC2:TGID_Y_EN: 0
; COMPUTE_PGM_RSRC2:TGID_Z_EN: 0
; COMPUTE_PGM_RSRC2:TIDIG_COMP_CNT: 0
; COMPUTE_PGM_RSRC3_GFX90A:ACCUM_OFFSET: 9
; COMPUTE_PGM_RSRC3_GFX90A:TG_SPLIT: 0
	.section	.text._ZN7rocprim17ROCPRIM_400000_NS6detail17trampoline_kernelINS0_14default_configENS1_20scan_config_selectorIiEEZZNS1_9scan_implILNS1_25lookback_scan_determinismE0ELb0ELb0ES3_N6thrust23THRUST_200600_302600_NS6detail15normal_iteratorINS9_10device_ptrIiEEEESE_iNS9_4plusIvEEiEEDaPvRmT3_T4_T5_mT6_P12ihipStream_tbENKUlT_T0_E_clISt17integral_constantIbLb1EEST_IbLb0EEEEDaSP_SQ_EUlSP_E_NS1_11comp_targetILNS1_3genE3ELNS1_11target_archE908ELNS1_3gpuE7ELNS1_3repE0EEENS1_30default_config_static_selectorELNS0_4arch9wavefront6targetE1EEEvT1_,"axG",@progbits,_ZN7rocprim17ROCPRIM_400000_NS6detail17trampoline_kernelINS0_14default_configENS1_20scan_config_selectorIiEEZZNS1_9scan_implILNS1_25lookback_scan_determinismE0ELb0ELb0ES3_N6thrust23THRUST_200600_302600_NS6detail15normal_iteratorINS9_10device_ptrIiEEEESE_iNS9_4plusIvEEiEEDaPvRmT3_T4_T5_mT6_P12ihipStream_tbENKUlT_T0_E_clISt17integral_constantIbLb1EEST_IbLb0EEEEDaSP_SQ_EUlSP_E_NS1_11comp_targetILNS1_3genE3ELNS1_11target_archE908ELNS1_3gpuE7ELNS1_3repE0EEENS1_30default_config_static_selectorELNS0_4arch9wavefront6targetE1EEEvT1_,comdat
	.protected	_ZN7rocprim17ROCPRIM_400000_NS6detail17trampoline_kernelINS0_14default_configENS1_20scan_config_selectorIiEEZZNS1_9scan_implILNS1_25lookback_scan_determinismE0ELb0ELb0ES3_N6thrust23THRUST_200600_302600_NS6detail15normal_iteratorINS9_10device_ptrIiEEEESE_iNS9_4plusIvEEiEEDaPvRmT3_T4_T5_mT6_P12ihipStream_tbENKUlT_T0_E_clISt17integral_constantIbLb1EEST_IbLb0EEEEDaSP_SQ_EUlSP_E_NS1_11comp_targetILNS1_3genE3ELNS1_11target_archE908ELNS1_3gpuE7ELNS1_3repE0EEENS1_30default_config_static_selectorELNS0_4arch9wavefront6targetE1EEEvT1_ ; -- Begin function _ZN7rocprim17ROCPRIM_400000_NS6detail17trampoline_kernelINS0_14default_configENS1_20scan_config_selectorIiEEZZNS1_9scan_implILNS1_25lookback_scan_determinismE0ELb0ELb0ES3_N6thrust23THRUST_200600_302600_NS6detail15normal_iteratorINS9_10device_ptrIiEEEESE_iNS9_4plusIvEEiEEDaPvRmT3_T4_T5_mT6_P12ihipStream_tbENKUlT_T0_E_clISt17integral_constantIbLb1EEST_IbLb0EEEEDaSP_SQ_EUlSP_E_NS1_11comp_targetILNS1_3genE3ELNS1_11target_archE908ELNS1_3gpuE7ELNS1_3repE0EEENS1_30default_config_static_selectorELNS0_4arch9wavefront6targetE1EEEvT1_
	.globl	_ZN7rocprim17ROCPRIM_400000_NS6detail17trampoline_kernelINS0_14default_configENS1_20scan_config_selectorIiEEZZNS1_9scan_implILNS1_25lookback_scan_determinismE0ELb0ELb0ES3_N6thrust23THRUST_200600_302600_NS6detail15normal_iteratorINS9_10device_ptrIiEEEESE_iNS9_4plusIvEEiEEDaPvRmT3_T4_T5_mT6_P12ihipStream_tbENKUlT_T0_E_clISt17integral_constantIbLb1EEST_IbLb0EEEEDaSP_SQ_EUlSP_E_NS1_11comp_targetILNS1_3genE3ELNS1_11target_archE908ELNS1_3gpuE7ELNS1_3repE0EEENS1_30default_config_static_selectorELNS0_4arch9wavefront6targetE1EEEvT1_
	.p2align	8
	.type	_ZN7rocprim17ROCPRIM_400000_NS6detail17trampoline_kernelINS0_14default_configENS1_20scan_config_selectorIiEEZZNS1_9scan_implILNS1_25lookback_scan_determinismE0ELb0ELb0ES3_N6thrust23THRUST_200600_302600_NS6detail15normal_iteratorINS9_10device_ptrIiEEEESE_iNS9_4plusIvEEiEEDaPvRmT3_T4_T5_mT6_P12ihipStream_tbENKUlT_T0_E_clISt17integral_constantIbLb1EEST_IbLb0EEEEDaSP_SQ_EUlSP_E_NS1_11comp_targetILNS1_3genE3ELNS1_11target_archE908ELNS1_3gpuE7ELNS1_3repE0EEENS1_30default_config_static_selectorELNS0_4arch9wavefront6targetE1EEEvT1_,@function
_ZN7rocprim17ROCPRIM_400000_NS6detail17trampoline_kernelINS0_14default_configENS1_20scan_config_selectorIiEEZZNS1_9scan_implILNS1_25lookback_scan_determinismE0ELb0ELb0ES3_N6thrust23THRUST_200600_302600_NS6detail15normal_iteratorINS9_10device_ptrIiEEEESE_iNS9_4plusIvEEiEEDaPvRmT3_T4_T5_mT6_P12ihipStream_tbENKUlT_T0_E_clISt17integral_constantIbLb1EEST_IbLb0EEEEDaSP_SQ_EUlSP_E_NS1_11comp_targetILNS1_3genE3ELNS1_11target_archE908ELNS1_3gpuE7ELNS1_3repE0EEENS1_30default_config_static_selectorELNS0_4arch9wavefront6targetE1EEEvT1_: ; @_ZN7rocprim17ROCPRIM_400000_NS6detail17trampoline_kernelINS0_14default_configENS1_20scan_config_selectorIiEEZZNS1_9scan_implILNS1_25lookback_scan_determinismE0ELb0ELb0ES3_N6thrust23THRUST_200600_302600_NS6detail15normal_iteratorINS9_10device_ptrIiEEEESE_iNS9_4plusIvEEiEEDaPvRmT3_T4_T5_mT6_P12ihipStream_tbENKUlT_T0_E_clISt17integral_constantIbLb1EEST_IbLb0EEEEDaSP_SQ_EUlSP_E_NS1_11comp_targetILNS1_3genE3ELNS1_11target_archE908ELNS1_3gpuE7ELNS1_3repE0EEENS1_30default_config_static_selectorELNS0_4arch9wavefront6targetE1EEEvT1_
; %bb.0:
	.section	.rodata,"a",@progbits
	.p2align	6, 0x0
	.amdhsa_kernel _ZN7rocprim17ROCPRIM_400000_NS6detail17trampoline_kernelINS0_14default_configENS1_20scan_config_selectorIiEEZZNS1_9scan_implILNS1_25lookback_scan_determinismE0ELb0ELb0ES3_N6thrust23THRUST_200600_302600_NS6detail15normal_iteratorINS9_10device_ptrIiEEEESE_iNS9_4plusIvEEiEEDaPvRmT3_T4_T5_mT6_P12ihipStream_tbENKUlT_T0_E_clISt17integral_constantIbLb1EEST_IbLb0EEEEDaSP_SQ_EUlSP_E_NS1_11comp_targetILNS1_3genE3ELNS1_11target_archE908ELNS1_3gpuE7ELNS1_3repE0EEENS1_30default_config_static_selectorELNS0_4arch9wavefront6targetE1EEEvT1_
		.amdhsa_group_segment_fixed_size 0
		.amdhsa_private_segment_fixed_size 0
		.amdhsa_kernarg_size 96
		.amdhsa_user_sgpr_count 6
		.amdhsa_user_sgpr_private_segment_buffer 1
		.amdhsa_user_sgpr_dispatch_ptr 0
		.amdhsa_user_sgpr_queue_ptr 0
		.amdhsa_user_sgpr_kernarg_segment_ptr 1
		.amdhsa_user_sgpr_dispatch_id 0
		.amdhsa_user_sgpr_flat_scratch_init 0
		.amdhsa_user_sgpr_kernarg_preload_length 0
		.amdhsa_user_sgpr_kernarg_preload_offset 0
		.amdhsa_user_sgpr_private_segment_size 0
		.amdhsa_uses_dynamic_stack 0
		.amdhsa_system_sgpr_private_segment_wavefront_offset 0
		.amdhsa_system_sgpr_workgroup_id_x 1
		.amdhsa_system_sgpr_workgroup_id_y 0
		.amdhsa_system_sgpr_workgroup_id_z 0
		.amdhsa_system_sgpr_workgroup_info 0
		.amdhsa_system_vgpr_workitem_id 0
		.amdhsa_next_free_vgpr 1
		.amdhsa_next_free_sgpr 0
		.amdhsa_accum_offset 4
		.amdhsa_reserve_vcc 0
		.amdhsa_reserve_flat_scratch 0
		.amdhsa_float_round_mode_32 0
		.amdhsa_float_round_mode_16_64 0
		.amdhsa_float_denorm_mode_32 3
		.amdhsa_float_denorm_mode_16_64 3
		.amdhsa_dx10_clamp 1
		.amdhsa_ieee_mode 1
		.amdhsa_fp16_overflow 0
		.amdhsa_tg_split 0
		.amdhsa_exception_fp_ieee_invalid_op 0
		.amdhsa_exception_fp_denorm_src 0
		.amdhsa_exception_fp_ieee_div_zero 0
		.amdhsa_exception_fp_ieee_overflow 0
		.amdhsa_exception_fp_ieee_underflow 0
		.amdhsa_exception_fp_ieee_inexact 0
		.amdhsa_exception_int_div_zero 0
	.end_amdhsa_kernel
	.section	.text._ZN7rocprim17ROCPRIM_400000_NS6detail17trampoline_kernelINS0_14default_configENS1_20scan_config_selectorIiEEZZNS1_9scan_implILNS1_25lookback_scan_determinismE0ELb0ELb0ES3_N6thrust23THRUST_200600_302600_NS6detail15normal_iteratorINS9_10device_ptrIiEEEESE_iNS9_4plusIvEEiEEDaPvRmT3_T4_T5_mT6_P12ihipStream_tbENKUlT_T0_E_clISt17integral_constantIbLb1EEST_IbLb0EEEEDaSP_SQ_EUlSP_E_NS1_11comp_targetILNS1_3genE3ELNS1_11target_archE908ELNS1_3gpuE7ELNS1_3repE0EEENS1_30default_config_static_selectorELNS0_4arch9wavefront6targetE1EEEvT1_,"axG",@progbits,_ZN7rocprim17ROCPRIM_400000_NS6detail17trampoline_kernelINS0_14default_configENS1_20scan_config_selectorIiEEZZNS1_9scan_implILNS1_25lookback_scan_determinismE0ELb0ELb0ES3_N6thrust23THRUST_200600_302600_NS6detail15normal_iteratorINS9_10device_ptrIiEEEESE_iNS9_4plusIvEEiEEDaPvRmT3_T4_T5_mT6_P12ihipStream_tbENKUlT_T0_E_clISt17integral_constantIbLb1EEST_IbLb0EEEEDaSP_SQ_EUlSP_E_NS1_11comp_targetILNS1_3genE3ELNS1_11target_archE908ELNS1_3gpuE7ELNS1_3repE0EEENS1_30default_config_static_selectorELNS0_4arch9wavefront6targetE1EEEvT1_,comdat
.Lfunc_end1379:
	.size	_ZN7rocprim17ROCPRIM_400000_NS6detail17trampoline_kernelINS0_14default_configENS1_20scan_config_selectorIiEEZZNS1_9scan_implILNS1_25lookback_scan_determinismE0ELb0ELb0ES3_N6thrust23THRUST_200600_302600_NS6detail15normal_iteratorINS9_10device_ptrIiEEEESE_iNS9_4plusIvEEiEEDaPvRmT3_T4_T5_mT6_P12ihipStream_tbENKUlT_T0_E_clISt17integral_constantIbLb1EEST_IbLb0EEEEDaSP_SQ_EUlSP_E_NS1_11comp_targetILNS1_3genE3ELNS1_11target_archE908ELNS1_3gpuE7ELNS1_3repE0EEENS1_30default_config_static_selectorELNS0_4arch9wavefront6targetE1EEEvT1_, .Lfunc_end1379-_ZN7rocprim17ROCPRIM_400000_NS6detail17trampoline_kernelINS0_14default_configENS1_20scan_config_selectorIiEEZZNS1_9scan_implILNS1_25lookback_scan_determinismE0ELb0ELb0ES3_N6thrust23THRUST_200600_302600_NS6detail15normal_iteratorINS9_10device_ptrIiEEEESE_iNS9_4plusIvEEiEEDaPvRmT3_T4_T5_mT6_P12ihipStream_tbENKUlT_T0_E_clISt17integral_constantIbLb1EEST_IbLb0EEEEDaSP_SQ_EUlSP_E_NS1_11comp_targetILNS1_3genE3ELNS1_11target_archE908ELNS1_3gpuE7ELNS1_3repE0EEENS1_30default_config_static_selectorELNS0_4arch9wavefront6targetE1EEEvT1_
                                        ; -- End function
	.section	.AMDGPU.csdata,"",@progbits
; Kernel info:
; codeLenInByte = 0
; NumSgprs: 4
; NumVgprs: 0
; NumAgprs: 0
; TotalNumVgprs: 0
; ScratchSize: 0
; MemoryBound: 0
; FloatMode: 240
; IeeeMode: 1
; LDSByteSize: 0 bytes/workgroup (compile time only)
; SGPRBlocks: 0
; VGPRBlocks: 0
; NumSGPRsForWavesPerEU: 4
; NumVGPRsForWavesPerEU: 1
; AccumOffset: 4
; Occupancy: 8
; WaveLimiterHint : 0
; COMPUTE_PGM_RSRC2:SCRATCH_EN: 0
; COMPUTE_PGM_RSRC2:USER_SGPR: 6
; COMPUTE_PGM_RSRC2:TRAP_HANDLER: 0
; COMPUTE_PGM_RSRC2:TGID_X_EN: 1
; COMPUTE_PGM_RSRC2:TGID_Y_EN: 0
; COMPUTE_PGM_RSRC2:TGID_Z_EN: 0
; COMPUTE_PGM_RSRC2:TIDIG_COMP_CNT: 0
; COMPUTE_PGM_RSRC3_GFX90A:ACCUM_OFFSET: 0
; COMPUTE_PGM_RSRC3_GFX90A:TG_SPLIT: 0
	.section	.text._ZN7rocprim17ROCPRIM_400000_NS6detail17trampoline_kernelINS0_14default_configENS1_20scan_config_selectorIiEEZZNS1_9scan_implILNS1_25lookback_scan_determinismE0ELb0ELb0ES3_N6thrust23THRUST_200600_302600_NS6detail15normal_iteratorINS9_10device_ptrIiEEEESE_iNS9_4plusIvEEiEEDaPvRmT3_T4_T5_mT6_P12ihipStream_tbENKUlT_T0_E_clISt17integral_constantIbLb1EEST_IbLb0EEEEDaSP_SQ_EUlSP_E_NS1_11comp_targetILNS1_3genE2ELNS1_11target_archE906ELNS1_3gpuE6ELNS1_3repE0EEENS1_30default_config_static_selectorELNS0_4arch9wavefront6targetE1EEEvT1_,"axG",@progbits,_ZN7rocprim17ROCPRIM_400000_NS6detail17trampoline_kernelINS0_14default_configENS1_20scan_config_selectorIiEEZZNS1_9scan_implILNS1_25lookback_scan_determinismE0ELb0ELb0ES3_N6thrust23THRUST_200600_302600_NS6detail15normal_iteratorINS9_10device_ptrIiEEEESE_iNS9_4plusIvEEiEEDaPvRmT3_T4_T5_mT6_P12ihipStream_tbENKUlT_T0_E_clISt17integral_constantIbLb1EEST_IbLb0EEEEDaSP_SQ_EUlSP_E_NS1_11comp_targetILNS1_3genE2ELNS1_11target_archE906ELNS1_3gpuE6ELNS1_3repE0EEENS1_30default_config_static_selectorELNS0_4arch9wavefront6targetE1EEEvT1_,comdat
	.protected	_ZN7rocprim17ROCPRIM_400000_NS6detail17trampoline_kernelINS0_14default_configENS1_20scan_config_selectorIiEEZZNS1_9scan_implILNS1_25lookback_scan_determinismE0ELb0ELb0ES3_N6thrust23THRUST_200600_302600_NS6detail15normal_iteratorINS9_10device_ptrIiEEEESE_iNS9_4plusIvEEiEEDaPvRmT3_T4_T5_mT6_P12ihipStream_tbENKUlT_T0_E_clISt17integral_constantIbLb1EEST_IbLb0EEEEDaSP_SQ_EUlSP_E_NS1_11comp_targetILNS1_3genE2ELNS1_11target_archE906ELNS1_3gpuE6ELNS1_3repE0EEENS1_30default_config_static_selectorELNS0_4arch9wavefront6targetE1EEEvT1_ ; -- Begin function _ZN7rocprim17ROCPRIM_400000_NS6detail17trampoline_kernelINS0_14default_configENS1_20scan_config_selectorIiEEZZNS1_9scan_implILNS1_25lookback_scan_determinismE0ELb0ELb0ES3_N6thrust23THRUST_200600_302600_NS6detail15normal_iteratorINS9_10device_ptrIiEEEESE_iNS9_4plusIvEEiEEDaPvRmT3_T4_T5_mT6_P12ihipStream_tbENKUlT_T0_E_clISt17integral_constantIbLb1EEST_IbLb0EEEEDaSP_SQ_EUlSP_E_NS1_11comp_targetILNS1_3genE2ELNS1_11target_archE906ELNS1_3gpuE6ELNS1_3repE0EEENS1_30default_config_static_selectorELNS0_4arch9wavefront6targetE1EEEvT1_
	.globl	_ZN7rocprim17ROCPRIM_400000_NS6detail17trampoline_kernelINS0_14default_configENS1_20scan_config_selectorIiEEZZNS1_9scan_implILNS1_25lookback_scan_determinismE0ELb0ELb0ES3_N6thrust23THRUST_200600_302600_NS6detail15normal_iteratorINS9_10device_ptrIiEEEESE_iNS9_4plusIvEEiEEDaPvRmT3_T4_T5_mT6_P12ihipStream_tbENKUlT_T0_E_clISt17integral_constantIbLb1EEST_IbLb0EEEEDaSP_SQ_EUlSP_E_NS1_11comp_targetILNS1_3genE2ELNS1_11target_archE906ELNS1_3gpuE6ELNS1_3repE0EEENS1_30default_config_static_selectorELNS0_4arch9wavefront6targetE1EEEvT1_
	.p2align	8
	.type	_ZN7rocprim17ROCPRIM_400000_NS6detail17trampoline_kernelINS0_14default_configENS1_20scan_config_selectorIiEEZZNS1_9scan_implILNS1_25lookback_scan_determinismE0ELb0ELb0ES3_N6thrust23THRUST_200600_302600_NS6detail15normal_iteratorINS9_10device_ptrIiEEEESE_iNS9_4plusIvEEiEEDaPvRmT3_T4_T5_mT6_P12ihipStream_tbENKUlT_T0_E_clISt17integral_constantIbLb1EEST_IbLb0EEEEDaSP_SQ_EUlSP_E_NS1_11comp_targetILNS1_3genE2ELNS1_11target_archE906ELNS1_3gpuE6ELNS1_3repE0EEENS1_30default_config_static_selectorELNS0_4arch9wavefront6targetE1EEEvT1_,@function
_ZN7rocprim17ROCPRIM_400000_NS6detail17trampoline_kernelINS0_14default_configENS1_20scan_config_selectorIiEEZZNS1_9scan_implILNS1_25lookback_scan_determinismE0ELb0ELb0ES3_N6thrust23THRUST_200600_302600_NS6detail15normal_iteratorINS9_10device_ptrIiEEEESE_iNS9_4plusIvEEiEEDaPvRmT3_T4_T5_mT6_P12ihipStream_tbENKUlT_T0_E_clISt17integral_constantIbLb1EEST_IbLb0EEEEDaSP_SQ_EUlSP_E_NS1_11comp_targetILNS1_3genE2ELNS1_11target_archE906ELNS1_3gpuE6ELNS1_3repE0EEENS1_30default_config_static_selectorELNS0_4arch9wavefront6targetE1EEEvT1_: ; @_ZN7rocprim17ROCPRIM_400000_NS6detail17trampoline_kernelINS0_14default_configENS1_20scan_config_selectorIiEEZZNS1_9scan_implILNS1_25lookback_scan_determinismE0ELb0ELb0ES3_N6thrust23THRUST_200600_302600_NS6detail15normal_iteratorINS9_10device_ptrIiEEEESE_iNS9_4plusIvEEiEEDaPvRmT3_T4_T5_mT6_P12ihipStream_tbENKUlT_T0_E_clISt17integral_constantIbLb1EEST_IbLb0EEEEDaSP_SQ_EUlSP_E_NS1_11comp_targetILNS1_3genE2ELNS1_11target_archE906ELNS1_3gpuE6ELNS1_3repE0EEENS1_30default_config_static_selectorELNS0_4arch9wavefront6targetE1EEEvT1_
; %bb.0:
	.section	.rodata,"a",@progbits
	.p2align	6, 0x0
	.amdhsa_kernel _ZN7rocprim17ROCPRIM_400000_NS6detail17trampoline_kernelINS0_14default_configENS1_20scan_config_selectorIiEEZZNS1_9scan_implILNS1_25lookback_scan_determinismE0ELb0ELb0ES3_N6thrust23THRUST_200600_302600_NS6detail15normal_iteratorINS9_10device_ptrIiEEEESE_iNS9_4plusIvEEiEEDaPvRmT3_T4_T5_mT6_P12ihipStream_tbENKUlT_T0_E_clISt17integral_constantIbLb1EEST_IbLb0EEEEDaSP_SQ_EUlSP_E_NS1_11comp_targetILNS1_3genE2ELNS1_11target_archE906ELNS1_3gpuE6ELNS1_3repE0EEENS1_30default_config_static_selectorELNS0_4arch9wavefront6targetE1EEEvT1_
		.amdhsa_group_segment_fixed_size 0
		.amdhsa_private_segment_fixed_size 0
		.amdhsa_kernarg_size 96
		.amdhsa_user_sgpr_count 6
		.amdhsa_user_sgpr_private_segment_buffer 1
		.amdhsa_user_sgpr_dispatch_ptr 0
		.amdhsa_user_sgpr_queue_ptr 0
		.amdhsa_user_sgpr_kernarg_segment_ptr 1
		.amdhsa_user_sgpr_dispatch_id 0
		.amdhsa_user_sgpr_flat_scratch_init 0
		.amdhsa_user_sgpr_kernarg_preload_length 0
		.amdhsa_user_sgpr_kernarg_preload_offset 0
		.amdhsa_user_sgpr_private_segment_size 0
		.amdhsa_uses_dynamic_stack 0
		.amdhsa_system_sgpr_private_segment_wavefront_offset 0
		.amdhsa_system_sgpr_workgroup_id_x 1
		.amdhsa_system_sgpr_workgroup_id_y 0
		.amdhsa_system_sgpr_workgroup_id_z 0
		.amdhsa_system_sgpr_workgroup_info 0
		.amdhsa_system_vgpr_workitem_id 0
		.amdhsa_next_free_vgpr 1
		.amdhsa_next_free_sgpr 0
		.amdhsa_accum_offset 4
		.amdhsa_reserve_vcc 0
		.amdhsa_reserve_flat_scratch 0
		.amdhsa_float_round_mode_32 0
		.amdhsa_float_round_mode_16_64 0
		.amdhsa_float_denorm_mode_32 3
		.amdhsa_float_denorm_mode_16_64 3
		.amdhsa_dx10_clamp 1
		.amdhsa_ieee_mode 1
		.amdhsa_fp16_overflow 0
		.amdhsa_tg_split 0
		.amdhsa_exception_fp_ieee_invalid_op 0
		.amdhsa_exception_fp_denorm_src 0
		.amdhsa_exception_fp_ieee_div_zero 0
		.amdhsa_exception_fp_ieee_overflow 0
		.amdhsa_exception_fp_ieee_underflow 0
		.amdhsa_exception_fp_ieee_inexact 0
		.amdhsa_exception_int_div_zero 0
	.end_amdhsa_kernel
	.section	.text._ZN7rocprim17ROCPRIM_400000_NS6detail17trampoline_kernelINS0_14default_configENS1_20scan_config_selectorIiEEZZNS1_9scan_implILNS1_25lookback_scan_determinismE0ELb0ELb0ES3_N6thrust23THRUST_200600_302600_NS6detail15normal_iteratorINS9_10device_ptrIiEEEESE_iNS9_4plusIvEEiEEDaPvRmT3_T4_T5_mT6_P12ihipStream_tbENKUlT_T0_E_clISt17integral_constantIbLb1EEST_IbLb0EEEEDaSP_SQ_EUlSP_E_NS1_11comp_targetILNS1_3genE2ELNS1_11target_archE906ELNS1_3gpuE6ELNS1_3repE0EEENS1_30default_config_static_selectorELNS0_4arch9wavefront6targetE1EEEvT1_,"axG",@progbits,_ZN7rocprim17ROCPRIM_400000_NS6detail17trampoline_kernelINS0_14default_configENS1_20scan_config_selectorIiEEZZNS1_9scan_implILNS1_25lookback_scan_determinismE0ELb0ELb0ES3_N6thrust23THRUST_200600_302600_NS6detail15normal_iteratorINS9_10device_ptrIiEEEESE_iNS9_4plusIvEEiEEDaPvRmT3_T4_T5_mT6_P12ihipStream_tbENKUlT_T0_E_clISt17integral_constantIbLb1EEST_IbLb0EEEEDaSP_SQ_EUlSP_E_NS1_11comp_targetILNS1_3genE2ELNS1_11target_archE906ELNS1_3gpuE6ELNS1_3repE0EEENS1_30default_config_static_selectorELNS0_4arch9wavefront6targetE1EEEvT1_,comdat
.Lfunc_end1380:
	.size	_ZN7rocprim17ROCPRIM_400000_NS6detail17trampoline_kernelINS0_14default_configENS1_20scan_config_selectorIiEEZZNS1_9scan_implILNS1_25lookback_scan_determinismE0ELb0ELb0ES3_N6thrust23THRUST_200600_302600_NS6detail15normal_iteratorINS9_10device_ptrIiEEEESE_iNS9_4plusIvEEiEEDaPvRmT3_T4_T5_mT6_P12ihipStream_tbENKUlT_T0_E_clISt17integral_constantIbLb1EEST_IbLb0EEEEDaSP_SQ_EUlSP_E_NS1_11comp_targetILNS1_3genE2ELNS1_11target_archE906ELNS1_3gpuE6ELNS1_3repE0EEENS1_30default_config_static_selectorELNS0_4arch9wavefront6targetE1EEEvT1_, .Lfunc_end1380-_ZN7rocprim17ROCPRIM_400000_NS6detail17trampoline_kernelINS0_14default_configENS1_20scan_config_selectorIiEEZZNS1_9scan_implILNS1_25lookback_scan_determinismE0ELb0ELb0ES3_N6thrust23THRUST_200600_302600_NS6detail15normal_iteratorINS9_10device_ptrIiEEEESE_iNS9_4plusIvEEiEEDaPvRmT3_T4_T5_mT6_P12ihipStream_tbENKUlT_T0_E_clISt17integral_constantIbLb1EEST_IbLb0EEEEDaSP_SQ_EUlSP_E_NS1_11comp_targetILNS1_3genE2ELNS1_11target_archE906ELNS1_3gpuE6ELNS1_3repE0EEENS1_30default_config_static_selectorELNS0_4arch9wavefront6targetE1EEEvT1_
                                        ; -- End function
	.section	.AMDGPU.csdata,"",@progbits
; Kernel info:
; codeLenInByte = 0
; NumSgprs: 4
; NumVgprs: 0
; NumAgprs: 0
; TotalNumVgprs: 0
; ScratchSize: 0
; MemoryBound: 0
; FloatMode: 240
; IeeeMode: 1
; LDSByteSize: 0 bytes/workgroup (compile time only)
; SGPRBlocks: 0
; VGPRBlocks: 0
; NumSGPRsForWavesPerEU: 4
; NumVGPRsForWavesPerEU: 1
; AccumOffset: 4
; Occupancy: 8
; WaveLimiterHint : 0
; COMPUTE_PGM_RSRC2:SCRATCH_EN: 0
; COMPUTE_PGM_RSRC2:USER_SGPR: 6
; COMPUTE_PGM_RSRC2:TRAP_HANDLER: 0
; COMPUTE_PGM_RSRC2:TGID_X_EN: 1
; COMPUTE_PGM_RSRC2:TGID_Y_EN: 0
; COMPUTE_PGM_RSRC2:TGID_Z_EN: 0
; COMPUTE_PGM_RSRC2:TIDIG_COMP_CNT: 0
; COMPUTE_PGM_RSRC3_GFX90A:ACCUM_OFFSET: 0
; COMPUTE_PGM_RSRC3_GFX90A:TG_SPLIT: 0
	.section	.text._ZN7rocprim17ROCPRIM_400000_NS6detail17trampoline_kernelINS0_14default_configENS1_20scan_config_selectorIiEEZZNS1_9scan_implILNS1_25lookback_scan_determinismE0ELb0ELb0ES3_N6thrust23THRUST_200600_302600_NS6detail15normal_iteratorINS9_10device_ptrIiEEEESE_iNS9_4plusIvEEiEEDaPvRmT3_T4_T5_mT6_P12ihipStream_tbENKUlT_T0_E_clISt17integral_constantIbLb1EEST_IbLb0EEEEDaSP_SQ_EUlSP_E_NS1_11comp_targetILNS1_3genE10ELNS1_11target_archE1201ELNS1_3gpuE5ELNS1_3repE0EEENS1_30default_config_static_selectorELNS0_4arch9wavefront6targetE1EEEvT1_,"axG",@progbits,_ZN7rocprim17ROCPRIM_400000_NS6detail17trampoline_kernelINS0_14default_configENS1_20scan_config_selectorIiEEZZNS1_9scan_implILNS1_25lookback_scan_determinismE0ELb0ELb0ES3_N6thrust23THRUST_200600_302600_NS6detail15normal_iteratorINS9_10device_ptrIiEEEESE_iNS9_4plusIvEEiEEDaPvRmT3_T4_T5_mT6_P12ihipStream_tbENKUlT_T0_E_clISt17integral_constantIbLb1EEST_IbLb0EEEEDaSP_SQ_EUlSP_E_NS1_11comp_targetILNS1_3genE10ELNS1_11target_archE1201ELNS1_3gpuE5ELNS1_3repE0EEENS1_30default_config_static_selectorELNS0_4arch9wavefront6targetE1EEEvT1_,comdat
	.protected	_ZN7rocprim17ROCPRIM_400000_NS6detail17trampoline_kernelINS0_14default_configENS1_20scan_config_selectorIiEEZZNS1_9scan_implILNS1_25lookback_scan_determinismE0ELb0ELb0ES3_N6thrust23THRUST_200600_302600_NS6detail15normal_iteratorINS9_10device_ptrIiEEEESE_iNS9_4plusIvEEiEEDaPvRmT3_T4_T5_mT6_P12ihipStream_tbENKUlT_T0_E_clISt17integral_constantIbLb1EEST_IbLb0EEEEDaSP_SQ_EUlSP_E_NS1_11comp_targetILNS1_3genE10ELNS1_11target_archE1201ELNS1_3gpuE5ELNS1_3repE0EEENS1_30default_config_static_selectorELNS0_4arch9wavefront6targetE1EEEvT1_ ; -- Begin function _ZN7rocprim17ROCPRIM_400000_NS6detail17trampoline_kernelINS0_14default_configENS1_20scan_config_selectorIiEEZZNS1_9scan_implILNS1_25lookback_scan_determinismE0ELb0ELb0ES3_N6thrust23THRUST_200600_302600_NS6detail15normal_iteratorINS9_10device_ptrIiEEEESE_iNS9_4plusIvEEiEEDaPvRmT3_T4_T5_mT6_P12ihipStream_tbENKUlT_T0_E_clISt17integral_constantIbLb1EEST_IbLb0EEEEDaSP_SQ_EUlSP_E_NS1_11comp_targetILNS1_3genE10ELNS1_11target_archE1201ELNS1_3gpuE5ELNS1_3repE0EEENS1_30default_config_static_selectorELNS0_4arch9wavefront6targetE1EEEvT1_
	.globl	_ZN7rocprim17ROCPRIM_400000_NS6detail17trampoline_kernelINS0_14default_configENS1_20scan_config_selectorIiEEZZNS1_9scan_implILNS1_25lookback_scan_determinismE0ELb0ELb0ES3_N6thrust23THRUST_200600_302600_NS6detail15normal_iteratorINS9_10device_ptrIiEEEESE_iNS9_4plusIvEEiEEDaPvRmT3_T4_T5_mT6_P12ihipStream_tbENKUlT_T0_E_clISt17integral_constantIbLb1EEST_IbLb0EEEEDaSP_SQ_EUlSP_E_NS1_11comp_targetILNS1_3genE10ELNS1_11target_archE1201ELNS1_3gpuE5ELNS1_3repE0EEENS1_30default_config_static_selectorELNS0_4arch9wavefront6targetE1EEEvT1_
	.p2align	8
	.type	_ZN7rocprim17ROCPRIM_400000_NS6detail17trampoline_kernelINS0_14default_configENS1_20scan_config_selectorIiEEZZNS1_9scan_implILNS1_25lookback_scan_determinismE0ELb0ELb0ES3_N6thrust23THRUST_200600_302600_NS6detail15normal_iteratorINS9_10device_ptrIiEEEESE_iNS9_4plusIvEEiEEDaPvRmT3_T4_T5_mT6_P12ihipStream_tbENKUlT_T0_E_clISt17integral_constantIbLb1EEST_IbLb0EEEEDaSP_SQ_EUlSP_E_NS1_11comp_targetILNS1_3genE10ELNS1_11target_archE1201ELNS1_3gpuE5ELNS1_3repE0EEENS1_30default_config_static_selectorELNS0_4arch9wavefront6targetE1EEEvT1_,@function
_ZN7rocprim17ROCPRIM_400000_NS6detail17trampoline_kernelINS0_14default_configENS1_20scan_config_selectorIiEEZZNS1_9scan_implILNS1_25lookback_scan_determinismE0ELb0ELb0ES3_N6thrust23THRUST_200600_302600_NS6detail15normal_iteratorINS9_10device_ptrIiEEEESE_iNS9_4plusIvEEiEEDaPvRmT3_T4_T5_mT6_P12ihipStream_tbENKUlT_T0_E_clISt17integral_constantIbLb1EEST_IbLb0EEEEDaSP_SQ_EUlSP_E_NS1_11comp_targetILNS1_3genE10ELNS1_11target_archE1201ELNS1_3gpuE5ELNS1_3repE0EEENS1_30default_config_static_selectorELNS0_4arch9wavefront6targetE1EEEvT1_: ; @_ZN7rocprim17ROCPRIM_400000_NS6detail17trampoline_kernelINS0_14default_configENS1_20scan_config_selectorIiEEZZNS1_9scan_implILNS1_25lookback_scan_determinismE0ELb0ELb0ES3_N6thrust23THRUST_200600_302600_NS6detail15normal_iteratorINS9_10device_ptrIiEEEESE_iNS9_4plusIvEEiEEDaPvRmT3_T4_T5_mT6_P12ihipStream_tbENKUlT_T0_E_clISt17integral_constantIbLb1EEST_IbLb0EEEEDaSP_SQ_EUlSP_E_NS1_11comp_targetILNS1_3genE10ELNS1_11target_archE1201ELNS1_3gpuE5ELNS1_3repE0EEENS1_30default_config_static_selectorELNS0_4arch9wavefront6targetE1EEEvT1_
; %bb.0:
	.section	.rodata,"a",@progbits
	.p2align	6, 0x0
	.amdhsa_kernel _ZN7rocprim17ROCPRIM_400000_NS6detail17trampoline_kernelINS0_14default_configENS1_20scan_config_selectorIiEEZZNS1_9scan_implILNS1_25lookback_scan_determinismE0ELb0ELb0ES3_N6thrust23THRUST_200600_302600_NS6detail15normal_iteratorINS9_10device_ptrIiEEEESE_iNS9_4plusIvEEiEEDaPvRmT3_T4_T5_mT6_P12ihipStream_tbENKUlT_T0_E_clISt17integral_constantIbLb1EEST_IbLb0EEEEDaSP_SQ_EUlSP_E_NS1_11comp_targetILNS1_3genE10ELNS1_11target_archE1201ELNS1_3gpuE5ELNS1_3repE0EEENS1_30default_config_static_selectorELNS0_4arch9wavefront6targetE1EEEvT1_
		.amdhsa_group_segment_fixed_size 0
		.amdhsa_private_segment_fixed_size 0
		.amdhsa_kernarg_size 96
		.amdhsa_user_sgpr_count 6
		.amdhsa_user_sgpr_private_segment_buffer 1
		.amdhsa_user_sgpr_dispatch_ptr 0
		.amdhsa_user_sgpr_queue_ptr 0
		.amdhsa_user_sgpr_kernarg_segment_ptr 1
		.amdhsa_user_sgpr_dispatch_id 0
		.amdhsa_user_sgpr_flat_scratch_init 0
		.amdhsa_user_sgpr_kernarg_preload_length 0
		.amdhsa_user_sgpr_kernarg_preload_offset 0
		.amdhsa_user_sgpr_private_segment_size 0
		.amdhsa_uses_dynamic_stack 0
		.amdhsa_system_sgpr_private_segment_wavefront_offset 0
		.amdhsa_system_sgpr_workgroup_id_x 1
		.amdhsa_system_sgpr_workgroup_id_y 0
		.amdhsa_system_sgpr_workgroup_id_z 0
		.amdhsa_system_sgpr_workgroup_info 0
		.amdhsa_system_vgpr_workitem_id 0
		.amdhsa_next_free_vgpr 1
		.amdhsa_next_free_sgpr 0
		.amdhsa_accum_offset 4
		.amdhsa_reserve_vcc 0
		.amdhsa_reserve_flat_scratch 0
		.amdhsa_float_round_mode_32 0
		.amdhsa_float_round_mode_16_64 0
		.amdhsa_float_denorm_mode_32 3
		.amdhsa_float_denorm_mode_16_64 3
		.amdhsa_dx10_clamp 1
		.amdhsa_ieee_mode 1
		.amdhsa_fp16_overflow 0
		.amdhsa_tg_split 0
		.amdhsa_exception_fp_ieee_invalid_op 0
		.amdhsa_exception_fp_denorm_src 0
		.amdhsa_exception_fp_ieee_div_zero 0
		.amdhsa_exception_fp_ieee_overflow 0
		.amdhsa_exception_fp_ieee_underflow 0
		.amdhsa_exception_fp_ieee_inexact 0
		.amdhsa_exception_int_div_zero 0
	.end_amdhsa_kernel
	.section	.text._ZN7rocprim17ROCPRIM_400000_NS6detail17trampoline_kernelINS0_14default_configENS1_20scan_config_selectorIiEEZZNS1_9scan_implILNS1_25lookback_scan_determinismE0ELb0ELb0ES3_N6thrust23THRUST_200600_302600_NS6detail15normal_iteratorINS9_10device_ptrIiEEEESE_iNS9_4plusIvEEiEEDaPvRmT3_T4_T5_mT6_P12ihipStream_tbENKUlT_T0_E_clISt17integral_constantIbLb1EEST_IbLb0EEEEDaSP_SQ_EUlSP_E_NS1_11comp_targetILNS1_3genE10ELNS1_11target_archE1201ELNS1_3gpuE5ELNS1_3repE0EEENS1_30default_config_static_selectorELNS0_4arch9wavefront6targetE1EEEvT1_,"axG",@progbits,_ZN7rocprim17ROCPRIM_400000_NS6detail17trampoline_kernelINS0_14default_configENS1_20scan_config_selectorIiEEZZNS1_9scan_implILNS1_25lookback_scan_determinismE0ELb0ELb0ES3_N6thrust23THRUST_200600_302600_NS6detail15normal_iteratorINS9_10device_ptrIiEEEESE_iNS9_4plusIvEEiEEDaPvRmT3_T4_T5_mT6_P12ihipStream_tbENKUlT_T0_E_clISt17integral_constantIbLb1EEST_IbLb0EEEEDaSP_SQ_EUlSP_E_NS1_11comp_targetILNS1_3genE10ELNS1_11target_archE1201ELNS1_3gpuE5ELNS1_3repE0EEENS1_30default_config_static_selectorELNS0_4arch9wavefront6targetE1EEEvT1_,comdat
.Lfunc_end1381:
	.size	_ZN7rocprim17ROCPRIM_400000_NS6detail17trampoline_kernelINS0_14default_configENS1_20scan_config_selectorIiEEZZNS1_9scan_implILNS1_25lookback_scan_determinismE0ELb0ELb0ES3_N6thrust23THRUST_200600_302600_NS6detail15normal_iteratorINS9_10device_ptrIiEEEESE_iNS9_4plusIvEEiEEDaPvRmT3_T4_T5_mT6_P12ihipStream_tbENKUlT_T0_E_clISt17integral_constantIbLb1EEST_IbLb0EEEEDaSP_SQ_EUlSP_E_NS1_11comp_targetILNS1_3genE10ELNS1_11target_archE1201ELNS1_3gpuE5ELNS1_3repE0EEENS1_30default_config_static_selectorELNS0_4arch9wavefront6targetE1EEEvT1_, .Lfunc_end1381-_ZN7rocprim17ROCPRIM_400000_NS6detail17trampoline_kernelINS0_14default_configENS1_20scan_config_selectorIiEEZZNS1_9scan_implILNS1_25lookback_scan_determinismE0ELb0ELb0ES3_N6thrust23THRUST_200600_302600_NS6detail15normal_iteratorINS9_10device_ptrIiEEEESE_iNS9_4plusIvEEiEEDaPvRmT3_T4_T5_mT6_P12ihipStream_tbENKUlT_T0_E_clISt17integral_constantIbLb1EEST_IbLb0EEEEDaSP_SQ_EUlSP_E_NS1_11comp_targetILNS1_3genE10ELNS1_11target_archE1201ELNS1_3gpuE5ELNS1_3repE0EEENS1_30default_config_static_selectorELNS0_4arch9wavefront6targetE1EEEvT1_
                                        ; -- End function
	.section	.AMDGPU.csdata,"",@progbits
; Kernel info:
; codeLenInByte = 0
; NumSgprs: 4
; NumVgprs: 0
; NumAgprs: 0
; TotalNumVgprs: 0
; ScratchSize: 0
; MemoryBound: 0
; FloatMode: 240
; IeeeMode: 1
; LDSByteSize: 0 bytes/workgroup (compile time only)
; SGPRBlocks: 0
; VGPRBlocks: 0
; NumSGPRsForWavesPerEU: 4
; NumVGPRsForWavesPerEU: 1
; AccumOffset: 4
; Occupancy: 8
; WaveLimiterHint : 0
; COMPUTE_PGM_RSRC2:SCRATCH_EN: 0
; COMPUTE_PGM_RSRC2:USER_SGPR: 6
; COMPUTE_PGM_RSRC2:TRAP_HANDLER: 0
; COMPUTE_PGM_RSRC2:TGID_X_EN: 1
; COMPUTE_PGM_RSRC2:TGID_Y_EN: 0
; COMPUTE_PGM_RSRC2:TGID_Z_EN: 0
; COMPUTE_PGM_RSRC2:TIDIG_COMP_CNT: 0
; COMPUTE_PGM_RSRC3_GFX90A:ACCUM_OFFSET: 0
; COMPUTE_PGM_RSRC3_GFX90A:TG_SPLIT: 0
	.section	.text._ZN7rocprim17ROCPRIM_400000_NS6detail17trampoline_kernelINS0_14default_configENS1_20scan_config_selectorIiEEZZNS1_9scan_implILNS1_25lookback_scan_determinismE0ELb0ELb0ES3_N6thrust23THRUST_200600_302600_NS6detail15normal_iteratorINS9_10device_ptrIiEEEESE_iNS9_4plusIvEEiEEDaPvRmT3_T4_T5_mT6_P12ihipStream_tbENKUlT_T0_E_clISt17integral_constantIbLb1EEST_IbLb0EEEEDaSP_SQ_EUlSP_E_NS1_11comp_targetILNS1_3genE10ELNS1_11target_archE1200ELNS1_3gpuE4ELNS1_3repE0EEENS1_30default_config_static_selectorELNS0_4arch9wavefront6targetE1EEEvT1_,"axG",@progbits,_ZN7rocprim17ROCPRIM_400000_NS6detail17trampoline_kernelINS0_14default_configENS1_20scan_config_selectorIiEEZZNS1_9scan_implILNS1_25lookback_scan_determinismE0ELb0ELb0ES3_N6thrust23THRUST_200600_302600_NS6detail15normal_iteratorINS9_10device_ptrIiEEEESE_iNS9_4plusIvEEiEEDaPvRmT3_T4_T5_mT6_P12ihipStream_tbENKUlT_T0_E_clISt17integral_constantIbLb1EEST_IbLb0EEEEDaSP_SQ_EUlSP_E_NS1_11comp_targetILNS1_3genE10ELNS1_11target_archE1200ELNS1_3gpuE4ELNS1_3repE0EEENS1_30default_config_static_selectorELNS0_4arch9wavefront6targetE1EEEvT1_,comdat
	.protected	_ZN7rocprim17ROCPRIM_400000_NS6detail17trampoline_kernelINS0_14default_configENS1_20scan_config_selectorIiEEZZNS1_9scan_implILNS1_25lookback_scan_determinismE0ELb0ELb0ES3_N6thrust23THRUST_200600_302600_NS6detail15normal_iteratorINS9_10device_ptrIiEEEESE_iNS9_4plusIvEEiEEDaPvRmT3_T4_T5_mT6_P12ihipStream_tbENKUlT_T0_E_clISt17integral_constantIbLb1EEST_IbLb0EEEEDaSP_SQ_EUlSP_E_NS1_11comp_targetILNS1_3genE10ELNS1_11target_archE1200ELNS1_3gpuE4ELNS1_3repE0EEENS1_30default_config_static_selectorELNS0_4arch9wavefront6targetE1EEEvT1_ ; -- Begin function _ZN7rocprim17ROCPRIM_400000_NS6detail17trampoline_kernelINS0_14default_configENS1_20scan_config_selectorIiEEZZNS1_9scan_implILNS1_25lookback_scan_determinismE0ELb0ELb0ES3_N6thrust23THRUST_200600_302600_NS6detail15normal_iteratorINS9_10device_ptrIiEEEESE_iNS9_4plusIvEEiEEDaPvRmT3_T4_T5_mT6_P12ihipStream_tbENKUlT_T0_E_clISt17integral_constantIbLb1EEST_IbLb0EEEEDaSP_SQ_EUlSP_E_NS1_11comp_targetILNS1_3genE10ELNS1_11target_archE1200ELNS1_3gpuE4ELNS1_3repE0EEENS1_30default_config_static_selectorELNS0_4arch9wavefront6targetE1EEEvT1_
	.globl	_ZN7rocprim17ROCPRIM_400000_NS6detail17trampoline_kernelINS0_14default_configENS1_20scan_config_selectorIiEEZZNS1_9scan_implILNS1_25lookback_scan_determinismE0ELb0ELb0ES3_N6thrust23THRUST_200600_302600_NS6detail15normal_iteratorINS9_10device_ptrIiEEEESE_iNS9_4plusIvEEiEEDaPvRmT3_T4_T5_mT6_P12ihipStream_tbENKUlT_T0_E_clISt17integral_constantIbLb1EEST_IbLb0EEEEDaSP_SQ_EUlSP_E_NS1_11comp_targetILNS1_3genE10ELNS1_11target_archE1200ELNS1_3gpuE4ELNS1_3repE0EEENS1_30default_config_static_selectorELNS0_4arch9wavefront6targetE1EEEvT1_
	.p2align	8
	.type	_ZN7rocprim17ROCPRIM_400000_NS6detail17trampoline_kernelINS0_14default_configENS1_20scan_config_selectorIiEEZZNS1_9scan_implILNS1_25lookback_scan_determinismE0ELb0ELb0ES3_N6thrust23THRUST_200600_302600_NS6detail15normal_iteratorINS9_10device_ptrIiEEEESE_iNS9_4plusIvEEiEEDaPvRmT3_T4_T5_mT6_P12ihipStream_tbENKUlT_T0_E_clISt17integral_constantIbLb1EEST_IbLb0EEEEDaSP_SQ_EUlSP_E_NS1_11comp_targetILNS1_3genE10ELNS1_11target_archE1200ELNS1_3gpuE4ELNS1_3repE0EEENS1_30default_config_static_selectorELNS0_4arch9wavefront6targetE1EEEvT1_,@function
_ZN7rocprim17ROCPRIM_400000_NS6detail17trampoline_kernelINS0_14default_configENS1_20scan_config_selectorIiEEZZNS1_9scan_implILNS1_25lookback_scan_determinismE0ELb0ELb0ES3_N6thrust23THRUST_200600_302600_NS6detail15normal_iteratorINS9_10device_ptrIiEEEESE_iNS9_4plusIvEEiEEDaPvRmT3_T4_T5_mT6_P12ihipStream_tbENKUlT_T0_E_clISt17integral_constantIbLb1EEST_IbLb0EEEEDaSP_SQ_EUlSP_E_NS1_11comp_targetILNS1_3genE10ELNS1_11target_archE1200ELNS1_3gpuE4ELNS1_3repE0EEENS1_30default_config_static_selectorELNS0_4arch9wavefront6targetE1EEEvT1_: ; @_ZN7rocprim17ROCPRIM_400000_NS6detail17trampoline_kernelINS0_14default_configENS1_20scan_config_selectorIiEEZZNS1_9scan_implILNS1_25lookback_scan_determinismE0ELb0ELb0ES3_N6thrust23THRUST_200600_302600_NS6detail15normal_iteratorINS9_10device_ptrIiEEEESE_iNS9_4plusIvEEiEEDaPvRmT3_T4_T5_mT6_P12ihipStream_tbENKUlT_T0_E_clISt17integral_constantIbLb1EEST_IbLb0EEEEDaSP_SQ_EUlSP_E_NS1_11comp_targetILNS1_3genE10ELNS1_11target_archE1200ELNS1_3gpuE4ELNS1_3repE0EEENS1_30default_config_static_selectorELNS0_4arch9wavefront6targetE1EEEvT1_
; %bb.0:
	.section	.rodata,"a",@progbits
	.p2align	6, 0x0
	.amdhsa_kernel _ZN7rocprim17ROCPRIM_400000_NS6detail17trampoline_kernelINS0_14default_configENS1_20scan_config_selectorIiEEZZNS1_9scan_implILNS1_25lookback_scan_determinismE0ELb0ELb0ES3_N6thrust23THRUST_200600_302600_NS6detail15normal_iteratorINS9_10device_ptrIiEEEESE_iNS9_4plusIvEEiEEDaPvRmT3_T4_T5_mT6_P12ihipStream_tbENKUlT_T0_E_clISt17integral_constantIbLb1EEST_IbLb0EEEEDaSP_SQ_EUlSP_E_NS1_11comp_targetILNS1_3genE10ELNS1_11target_archE1200ELNS1_3gpuE4ELNS1_3repE0EEENS1_30default_config_static_selectorELNS0_4arch9wavefront6targetE1EEEvT1_
		.amdhsa_group_segment_fixed_size 0
		.amdhsa_private_segment_fixed_size 0
		.amdhsa_kernarg_size 96
		.amdhsa_user_sgpr_count 6
		.amdhsa_user_sgpr_private_segment_buffer 1
		.amdhsa_user_sgpr_dispatch_ptr 0
		.amdhsa_user_sgpr_queue_ptr 0
		.amdhsa_user_sgpr_kernarg_segment_ptr 1
		.amdhsa_user_sgpr_dispatch_id 0
		.amdhsa_user_sgpr_flat_scratch_init 0
		.amdhsa_user_sgpr_kernarg_preload_length 0
		.amdhsa_user_sgpr_kernarg_preload_offset 0
		.amdhsa_user_sgpr_private_segment_size 0
		.amdhsa_uses_dynamic_stack 0
		.amdhsa_system_sgpr_private_segment_wavefront_offset 0
		.amdhsa_system_sgpr_workgroup_id_x 1
		.amdhsa_system_sgpr_workgroup_id_y 0
		.amdhsa_system_sgpr_workgroup_id_z 0
		.amdhsa_system_sgpr_workgroup_info 0
		.amdhsa_system_vgpr_workitem_id 0
		.amdhsa_next_free_vgpr 1
		.amdhsa_next_free_sgpr 0
		.amdhsa_accum_offset 4
		.amdhsa_reserve_vcc 0
		.amdhsa_reserve_flat_scratch 0
		.amdhsa_float_round_mode_32 0
		.amdhsa_float_round_mode_16_64 0
		.amdhsa_float_denorm_mode_32 3
		.amdhsa_float_denorm_mode_16_64 3
		.amdhsa_dx10_clamp 1
		.amdhsa_ieee_mode 1
		.amdhsa_fp16_overflow 0
		.amdhsa_tg_split 0
		.amdhsa_exception_fp_ieee_invalid_op 0
		.amdhsa_exception_fp_denorm_src 0
		.amdhsa_exception_fp_ieee_div_zero 0
		.amdhsa_exception_fp_ieee_overflow 0
		.amdhsa_exception_fp_ieee_underflow 0
		.amdhsa_exception_fp_ieee_inexact 0
		.amdhsa_exception_int_div_zero 0
	.end_amdhsa_kernel
	.section	.text._ZN7rocprim17ROCPRIM_400000_NS6detail17trampoline_kernelINS0_14default_configENS1_20scan_config_selectorIiEEZZNS1_9scan_implILNS1_25lookback_scan_determinismE0ELb0ELb0ES3_N6thrust23THRUST_200600_302600_NS6detail15normal_iteratorINS9_10device_ptrIiEEEESE_iNS9_4plusIvEEiEEDaPvRmT3_T4_T5_mT6_P12ihipStream_tbENKUlT_T0_E_clISt17integral_constantIbLb1EEST_IbLb0EEEEDaSP_SQ_EUlSP_E_NS1_11comp_targetILNS1_3genE10ELNS1_11target_archE1200ELNS1_3gpuE4ELNS1_3repE0EEENS1_30default_config_static_selectorELNS0_4arch9wavefront6targetE1EEEvT1_,"axG",@progbits,_ZN7rocprim17ROCPRIM_400000_NS6detail17trampoline_kernelINS0_14default_configENS1_20scan_config_selectorIiEEZZNS1_9scan_implILNS1_25lookback_scan_determinismE0ELb0ELb0ES3_N6thrust23THRUST_200600_302600_NS6detail15normal_iteratorINS9_10device_ptrIiEEEESE_iNS9_4plusIvEEiEEDaPvRmT3_T4_T5_mT6_P12ihipStream_tbENKUlT_T0_E_clISt17integral_constantIbLb1EEST_IbLb0EEEEDaSP_SQ_EUlSP_E_NS1_11comp_targetILNS1_3genE10ELNS1_11target_archE1200ELNS1_3gpuE4ELNS1_3repE0EEENS1_30default_config_static_selectorELNS0_4arch9wavefront6targetE1EEEvT1_,comdat
.Lfunc_end1382:
	.size	_ZN7rocprim17ROCPRIM_400000_NS6detail17trampoline_kernelINS0_14default_configENS1_20scan_config_selectorIiEEZZNS1_9scan_implILNS1_25lookback_scan_determinismE0ELb0ELb0ES3_N6thrust23THRUST_200600_302600_NS6detail15normal_iteratorINS9_10device_ptrIiEEEESE_iNS9_4plusIvEEiEEDaPvRmT3_T4_T5_mT6_P12ihipStream_tbENKUlT_T0_E_clISt17integral_constantIbLb1EEST_IbLb0EEEEDaSP_SQ_EUlSP_E_NS1_11comp_targetILNS1_3genE10ELNS1_11target_archE1200ELNS1_3gpuE4ELNS1_3repE0EEENS1_30default_config_static_selectorELNS0_4arch9wavefront6targetE1EEEvT1_, .Lfunc_end1382-_ZN7rocprim17ROCPRIM_400000_NS6detail17trampoline_kernelINS0_14default_configENS1_20scan_config_selectorIiEEZZNS1_9scan_implILNS1_25lookback_scan_determinismE0ELb0ELb0ES3_N6thrust23THRUST_200600_302600_NS6detail15normal_iteratorINS9_10device_ptrIiEEEESE_iNS9_4plusIvEEiEEDaPvRmT3_T4_T5_mT6_P12ihipStream_tbENKUlT_T0_E_clISt17integral_constantIbLb1EEST_IbLb0EEEEDaSP_SQ_EUlSP_E_NS1_11comp_targetILNS1_3genE10ELNS1_11target_archE1200ELNS1_3gpuE4ELNS1_3repE0EEENS1_30default_config_static_selectorELNS0_4arch9wavefront6targetE1EEEvT1_
                                        ; -- End function
	.section	.AMDGPU.csdata,"",@progbits
; Kernel info:
; codeLenInByte = 0
; NumSgprs: 4
; NumVgprs: 0
; NumAgprs: 0
; TotalNumVgprs: 0
; ScratchSize: 0
; MemoryBound: 0
; FloatMode: 240
; IeeeMode: 1
; LDSByteSize: 0 bytes/workgroup (compile time only)
; SGPRBlocks: 0
; VGPRBlocks: 0
; NumSGPRsForWavesPerEU: 4
; NumVGPRsForWavesPerEU: 1
; AccumOffset: 4
; Occupancy: 8
; WaveLimiterHint : 0
; COMPUTE_PGM_RSRC2:SCRATCH_EN: 0
; COMPUTE_PGM_RSRC2:USER_SGPR: 6
; COMPUTE_PGM_RSRC2:TRAP_HANDLER: 0
; COMPUTE_PGM_RSRC2:TGID_X_EN: 1
; COMPUTE_PGM_RSRC2:TGID_Y_EN: 0
; COMPUTE_PGM_RSRC2:TGID_Z_EN: 0
; COMPUTE_PGM_RSRC2:TIDIG_COMP_CNT: 0
; COMPUTE_PGM_RSRC3_GFX90A:ACCUM_OFFSET: 0
; COMPUTE_PGM_RSRC3_GFX90A:TG_SPLIT: 0
	.section	.text._ZN7rocprim17ROCPRIM_400000_NS6detail17trampoline_kernelINS0_14default_configENS1_20scan_config_selectorIiEEZZNS1_9scan_implILNS1_25lookback_scan_determinismE0ELb0ELb0ES3_N6thrust23THRUST_200600_302600_NS6detail15normal_iteratorINS9_10device_ptrIiEEEESE_iNS9_4plusIvEEiEEDaPvRmT3_T4_T5_mT6_P12ihipStream_tbENKUlT_T0_E_clISt17integral_constantIbLb1EEST_IbLb0EEEEDaSP_SQ_EUlSP_E_NS1_11comp_targetILNS1_3genE9ELNS1_11target_archE1100ELNS1_3gpuE3ELNS1_3repE0EEENS1_30default_config_static_selectorELNS0_4arch9wavefront6targetE1EEEvT1_,"axG",@progbits,_ZN7rocprim17ROCPRIM_400000_NS6detail17trampoline_kernelINS0_14default_configENS1_20scan_config_selectorIiEEZZNS1_9scan_implILNS1_25lookback_scan_determinismE0ELb0ELb0ES3_N6thrust23THRUST_200600_302600_NS6detail15normal_iteratorINS9_10device_ptrIiEEEESE_iNS9_4plusIvEEiEEDaPvRmT3_T4_T5_mT6_P12ihipStream_tbENKUlT_T0_E_clISt17integral_constantIbLb1EEST_IbLb0EEEEDaSP_SQ_EUlSP_E_NS1_11comp_targetILNS1_3genE9ELNS1_11target_archE1100ELNS1_3gpuE3ELNS1_3repE0EEENS1_30default_config_static_selectorELNS0_4arch9wavefront6targetE1EEEvT1_,comdat
	.protected	_ZN7rocprim17ROCPRIM_400000_NS6detail17trampoline_kernelINS0_14default_configENS1_20scan_config_selectorIiEEZZNS1_9scan_implILNS1_25lookback_scan_determinismE0ELb0ELb0ES3_N6thrust23THRUST_200600_302600_NS6detail15normal_iteratorINS9_10device_ptrIiEEEESE_iNS9_4plusIvEEiEEDaPvRmT3_T4_T5_mT6_P12ihipStream_tbENKUlT_T0_E_clISt17integral_constantIbLb1EEST_IbLb0EEEEDaSP_SQ_EUlSP_E_NS1_11comp_targetILNS1_3genE9ELNS1_11target_archE1100ELNS1_3gpuE3ELNS1_3repE0EEENS1_30default_config_static_selectorELNS0_4arch9wavefront6targetE1EEEvT1_ ; -- Begin function _ZN7rocprim17ROCPRIM_400000_NS6detail17trampoline_kernelINS0_14default_configENS1_20scan_config_selectorIiEEZZNS1_9scan_implILNS1_25lookback_scan_determinismE0ELb0ELb0ES3_N6thrust23THRUST_200600_302600_NS6detail15normal_iteratorINS9_10device_ptrIiEEEESE_iNS9_4plusIvEEiEEDaPvRmT3_T4_T5_mT6_P12ihipStream_tbENKUlT_T0_E_clISt17integral_constantIbLb1EEST_IbLb0EEEEDaSP_SQ_EUlSP_E_NS1_11comp_targetILNS1_3genE9ELNS1_11target_archE1100ELNS1_3gpuE3ELNS1_3repE0EEENS1_30default_config_static_selectorELNS0_4arch9wavefront6targetE1EEEvT1_
	.globl	_ZN7rocprim17ROCPRIM_400000_NS6detail17trampoline_kernelINS0_14default_configENS1_20scan_config_selectorIiEEZZNS1_9scan_implILNS1_25lookback_scan_determinismE0ELb0ELb0ES3_N6thrust23THRUST_200600_302600_NS6detail15normal_iteratorINS9_10device_ptrIiEEEESE_iNS9_4plusIvEEiEEDaPvRmT3_T4_T5_mT6_P12ihipStream_tbENKUlT_T0_E_clISt17integral_constantIbLb1EEST_IbLb0EEEEDaSP_SQ_EUlSP_E_NS1_11comp_targetILNS1_3genE9ELNS1_11target_archE1100ELNS1_3gpuE3ELNS1_3repE0EEENS1_30default_config_static_selectorELNS0_4arch9wavefront6targetE1EEEvT1_
	.p2align	8
	.type	_ZN7rocprim17ROCPRIM_400000_NS6detail17trampoline_kernelINS0_14default_configENS1_20scan_config_selectorIiEEZZNS1_9scan_implILNS1_25lookback_scan_determinismE0ELb0ELb0ES3_N6thrust23THRUST_200600_302600_NS6detail15normal_iteratorINS9_10device_ptrIiEEEESE_iNS9_4plusIvEEiEEDaPvRmT3_T4_T5_mT6_P12ihipStream_tbENKUlT_T0_E_clISt17integral_constantIbLb1EEST_IbLb0EEEEDaSP_SQ_EUlSP_E_NS1_11comp_targetILNS1_3genE9ELNS1_11target_archE1100ELNS1_3gpuE3ELNS1_3repE0EEENS1_30default_config_static_selectorELNS0_4arch9wavefront6targetE1EEEvT1_,@function
_ZN7rocprim17ROCPRIM_400000_NS6detail17trampoline_kernelINS0_14default_configENS1_20scan_config_selectorIiEEZZNS1_9scan_implILNS1_25lookback_scan_determinismE0ELb0ELb0ES3_N6thrust23THRUST_200600_302600_NS6detail15normal_iteratorINS9_10device_ptrIiEEEESE_iNS9_4plusIvEEiEEDaPvRmT3_T4_T5_mT6_P12ihipStream_tbENKUlT_T0_E_clISt17integral_constantIbLb1EEST_IbLb0EEEEDaSP_SQ_EUlSP_E_NS1_11comp_targetILNS1_3genE9ELNS1_11target_archE1100ELNS1_3gpuE3ELNS1_3repE0EEENS1_30default_config_static_selectorELNS0_4arch9wavefront6targetE1EEEvT1_: ; @_ZN7rocprim17ROCPRIM_400000_NS6detail17trampoline_kernelINS0_14default_configENS1_20scan_config_selectorIiEEZZNS1_9scan_implILNS1_25lookback_scan_determinismE0ELb0ELb0ES3_N6thrust23THRUST_200600_302600_NS6detail15normal_iteratorINS9_10device_ptrIiEEEESE_iNS9_4plusIvEEiEEDaPvRmT3_T4_T5_mT6_P12ihipStream_tbENKUlT_T0_E_clISt17integral_constantIbLb1EEST_IbLb0EEEEDaSP_SQ_EUlSP_E_NS1_11comp_targetILNS1_3genE9ELNS1_11target_archE1100ELNS1_3gpuE3ELNS1_3repE0EEENS1_30default_config_static_selectorELNS0_4arch9wavefront6targetE1EEEvT1_
; %bb.0:
	.section	.rodata,"a",@progbits
	.p2align	6, 0x0
	.amdhsa_kernel _ZN7rocprim17ROCPRIM_400000_NS6detail17trampoline_kernelINS0_14default_configENS1_20scan_config_selectorIiEEZZNS1_9scan_implILNS1_25lookback_scan_determinismE0ELb0ELb0ES3_N6thrust23THRUST_200600_302600_NS6detail15normal_iteratorINS9_10device_ptrIiEEEESE_iNS9_4plusIvEEiEEDaPvRmT3_T4_T5_mT6_P12ihipStream_tbENKUlT_T0_E_clISt17integral_constantIbLb1EEST_IbLb0EEEEDaSP_SQ_EUlSP_E_NS1_11comp_targetILNS1_3genE9ELNS1_11target_archE1100ELNS1_3gpuE3ELNS1_3repE0EEENS1_30default_config_static_selectorELNS0_4arch9wavefront6targetE1EEEvT1_
		.amdhsa_group_segment_fixed_size 0
		.amdhsa_private_segment_fixed_size 0
		.amdhsa_kernarg_size 96
		.amdhsa_user_sgpr_count 6
		.amdhsa_user_sgpr_private_segment_buffer 1
		.amdhsa_user_sgpr_dispatch_ptr 0
		.amdhsa_user_sgpr_queue_ptr 0
		.amdhsa_user_sgpr_kernarg_segment_ptr 1
		.amdhsa_user_sgpr_dispatch_id 0
		.amdhsa_user_sgpr_flat_scratch_init 0
		.amdhsa_user_sgpr_kernarg_preload_length 0
		.amdhsa_user_sgpr_kernarg_preload_offset 0
		.amdhsa_user_sgpr_private_segment_size 0
		.amdhsa_uses_dynamic_stack 0
		.amdhsa_system_sgpr_private_segment_wavefront_offset 0
		.amdhsa_system_sgpr_workgroup_id_x 1
		.amdhsa_system_sgpr_workgroup_id_y 0
		.amdhsa_system_sgpr_workgroup_id_z 0
		.amdhsa_system_sgpr_workgroup_info 0
		.amdhsa_system_vgpr_workitem_id 0
		.amdhsa_next_free_vgpr 1
		.amdhsa_next_free_sgpr 0
		.amdhsa_accum_offset 4
		.amdhsa_reserve_vcc 0
		.amdhsa_reserve_flat_scratch 0
		.amdhsa_float_round_mode_32 0
		.amdhsa_float_round_mode_16_64 0
		.amdhsa_float_denorm_mode_32 3
		.amdhsa_float_denorm_mode_16_64 3
		.amdhsa_dx10_clamp 1
		.amdhsa_ieee_mode 1
		.amdhsa_fp16_overflow 0
		.amdhsa_tg_split 0
		.amdhsa_exception_fp_ieee_invalid_op 0
		.amdhsa_exception_fp_denorm_src 0
		.amdhsa_exception_fp_ieee_div_zero 0
		.amdhsa_exception_fp_ieee_overflow 0
		.amdhsa_exception_fp_ieee_underflow 0
		.amdhsa_exception_fp_ieee_inexact 0
		.amdhsa_exception_int_div_zero 0
	.end_amdhsa_kernel
	.section	.text._ZN7rocprim17ROCPRIM_400000_NS6detail17trampoline_kernelINS0_14default_configENS1_20scan_config_selectorIiEEZZNS1_9scan_implILNS1_25lookback_scan_determinismE0ELb0ELb0ES3_N6thrust23THRUST_200600_302600_NS6detail15normal_iteratorINS9_10device_ptrIiEEEESE_iNS9_4plusIvEEiEEDaPvRmT3_T4_T5_mT6_P12ihipStream_tbENKUlT_T0_E_clISt17integral_constantIbLb1EEST_IbLb0EEEEDaSP_SQ_EUlSP_E_NS1_11comp_targetILNS1_3genE9ELNS1_11target_archE1100ELNS1_3gpuE3ELNS1_3repE0EEENS1_30default_config_static_selectorELNS0_4arch9wavefront6targetE1EEEvT1_,"axG",@progbits,_ZN7rocprim17ROCPRIM_400000_NS6detail17trampoline_kernelINS0_14default_configENS1_20scan_config_selectorIiEEZZNS1_9scan_implILNS1_25lookback_scan_determinismE0ELb0ELb0ES3_N6thrust23THRUST_200600_302600_NS6detail15normal_iteratorINS9_10device_ptrIiEEEESE_iNS9_4plusIvEEiEEDaPvRmT3_T4_T5_mT6_P12ihipStream_tbENKUlT_T0_E_clISt17integral_constantIbLb1EEST_IbLb0EEEEDaSP_SQ_EUlSP_E_NS1_11comp_targetILNS1_3genE9ELNS1_11target_archE1100ELNS1_3gpuE3ELNS1_3repE0EEENS1_30default_config_static_selectorELNS0_4arch9wavefront6targetE1EEEvT1_,comdat
.Lfunc_end1383:
	.size	_ZN7rocprim17ROCPRIM_400000_NS6detail17trampoline_kernelINS0_14default_configENS1_20scan_config_selectorIiEEZZNS1_9scan_implILNS1_25lookback_scan_determinismE0ELb0ELb0ES3_N6thrust23THRUST_200600_302600_NS6detail15normal_iteratorINS9_10device_ptrIiEEEESE_iNS9_4plusIvEEiEEDaPvRmT3_T4_T5_mT6_P12ihipStream_tbENKUlT_T0_E_clISt17integral_constantIbLb1EEST_IbLb0EEEEDaSP_SQ_EUlSP_E_NS1_11comp_targetILNS1_3genE9ELNS1_11target_archE1100ELNS1_3gpuE3ELNS1_3repE0EEENS1_30default_config_static_selectorELNS0_4arch9wavefront6targetE1EEEvT1_, .Lfunc_end1383-_ZN7rocprim17ROCPRIM_400000_NS6detail17trampoline_kernelINS0_14default_configENS1_20scan_config_selectorIiEEZZNS1_9scan_implILNS1_25lookback_scan_determinismE0ELb0ELb0ES3_N6thrust23THRUST_200600_302600_NS6detail15normal_iteratorINS9_10device_ptrIiEEEESE_iNS9_4plusIvEEiEEDaPvRmT3_T4_T5_mT6_P12ihipStream_tbENKUlT_T0_E_clISt17integral_constantIbLb1EEST_IbLb0EEEEDaSP_SQ_EUlSP_E_NS1_11comp_targetILNS1_3genE9ELNS1_11target_archE1100ELNS1_3gpuE3ELNS1_3repE0EEENS1_30default_config_static_selectorELNS0_4arch9wavefront6targetE1EEEvT1_
                                        ; -- End function
	.section	.AMDGPU.csdata,"",@progbits
; Kernel info:
; codeLenInByte = 0
; NumSgprs: 4
; NumVgprs: 0
; NumAgprs: 0
; TotalNumVgprs: 0
; ScratchSize: 0
; MemoryBound: 0
; FloatMode: 240
; IeeeMode: 1
; LDSByteSize: 0 bytes/workgroup (compile time only)
; SGPRBlocks: 0
; VGPRBlocks: 0
; NumSGPRsForWavesPerEU: 4
; NumVGPRsForWavesPerEU: 1
; AccumOffset: 4
; Occupancy: 8
; WaveLimiterHint : 0
; COMPUTE_PGM_RSRC2:SCRATCH_EN: 0
; COMPUTE_PGM_RSRC2:USER_SGPR: 6
; COMPUTE_PGM_RSRC2:TRAP_HANDLER: 0
; COMPUTE_PGM_RSRC2:TGID_X_EN: 1
; COMPUTE_PGM_RSRC2:TGID_Y_EN: 0
; COMPUTE_PGM_RSRC2:TGID_Z_EN: 0
; COMPUTE_PGM_RSRC2:TIDIG_COMP_CNT: 0
; COMPUTE_PGM_RSRC3_GFX90A:ACCUM_OFFSET: 0
; COMPUTE_PGM_RSRC3_GFX90A:TG_SPLIT: 0
	.section	.text._ZN7rocprim17ROCPRIM_400000_NS6detail17trampoline_kernelINS0_14default_configENS1_20scan_config_selectorIiEEZZNS1_9scan_implILNS1_25lookback_scan_determinismE0ELb0ELb0ES3_N6thrust23THRUST_200600_302600_NS6detail15normal_iteratorINS9_10device_ptrIiEEEESE_iNS9_4plusIvEEiEEDaPvRmT3_T4_T5_mT6_P12ihipStream_tbENKUlT_T0_E_clISt17integral_constantIbLb1EEST_IbLb0EEEEDaSP_SQ_EUlSP_E_NS1_11comp_targetILNS1_3genE8ELNS1_11target_archE1030ELNS1_3gpuE2ELNS1_3repE0EEENS1_30default_config_static_selectorELNS0_4arch9wavefront6targetE1EEEvT1_,"axG",@progbits,_ZN7rocprim17ROCPRIM_400000_NS6detail17trampoline_kernelINS0_14default_configENS1_20scan_config_selectorIiEEZZNS1_9scan_implILNS1_25lookback_scan_determinismE0ELb0ELb0ES3_N6thrust23THRUST_200600_302600_NS6detail15normal_iteratorINS9_10device_ptrIiEEEESE_iNS9_4plusIvEEiEEDaPvRmT3_T4_T5_mT6_P12ihipStream_tbENKUlT_T0_E_clISt17integral_constantIbLb1EEST_IbLb0EEEEDaSP_SQ_EUlSP_E_NS1_11comp_targetILNS1_3genE8ELNS1_11target_archE1030ELNS1_3gpuE2ELNS1_3repE0EEENS1_30default_config_static_selectorELNS0_4arch9wavefront6targetE1EEEvT1_,comdat
	.protected	_ZN7rocprim17ROCPRIM_400000_NS6detail17trampoline_kernelINS0_14default_configENS1_20scan_config_selectorIiEEZZNS1_9scan_implILNS1_25lookback_scan_determinismE0ELb0ELb0ES3_N6thrust23THRUST_200600_302600_NS6detail15normal_iteratorINS9_10device_ptrIiEEEESE_iNS9_4plusIvEEiEEDaPvRmT3_T4_T5_mT6_P12ihipStream_tbENKUlT_T0_E_clISt17integral_constantIbLb1EEST_IbLb0EEEEDaSP_SQ_EUlSP_E_NS1_11comp_targetILNS1_3genE8ELNS1_11target_archE1030ELNS1_3gpuE2ELNS1_3repE0EEENS1_30default_config_static_selectorELNS0_4arch9wavefront6targetE1EEEvT1_ ; -- Begin function _ZN7rocprim17ROCPRIM_400000_NS6detail17trampoline_kernelINS0_14default_configENS1_20scan_config_selectorIiEEZZNS1_9scan_implILNS1_25lookback_scan_determinismE0ELb0ELb0ES3_N6thrust23THRUST_200600_302600_NS6detail15normal_iteratorINS9_10device_ptrIiEEEESE_iNS9_4plusIvEEiEEDaPvRmT3_T4_T5_mT6_P12ihipStream_tbENKUlT_T0_E_clISt17integral_constantIbLb1EEST_IbLb0EEEEDaSP_SQ_EUlSP_E_NS1_11comp_targetILNS1_3genE8ELNS1_11target_archE1030ELNS1_3gpuE2ELNS1_3repE0EEENS1_30default_config_static_selectorELNS0_4arch9wavefront6targetE1EEEvT1_
	.globl	_ZN7rocprim17ROCPRIM_400000_NS6detail17trampoline_kernelINS0_14default_configENS1_20scan_config_selectorIiEEZZNS1_9scan_implILNS1_25lookback_scan_determinismE0ELb0ELb0ES3_N6thrust23THRUST_200600_302600_NS6detail15normal_iteratorINS9_10device_ptrIiEEEESE_iNS9_4plusIvEEiEEDaPvRmT3_T4_T5_mT6_P12ihipStream_tbENKUlT_T0_E_clISt17integral_constantIbLb1EEST_IbLb0EEEEDaSP_SQ_EUlSP_E_NS1_11comp_targetILNS1_3genE8ELNS1_11target_archE1030ELNS1_3gpuE2ELNS1_3repE0EEENS1_30default_config_static_selectorELNS0_4arch9wavefront6targetE1EEEvT1_
	.p2align	8
	.type	_ZN7rocprim17ROCPRIM_400000_NS6detail17trampoline_kernelINS0_14default_configENS1_20scan_config_selectorIiEEZZNS1_9scan_implILNS1_25lookback_scan_determinismE0ELb0ELb0ES3_N6thrust23THRUST_200600_302600_NS6detail15normal_iteratorINS9_10device_ptrIiEEEESE_iNS9_4plusIvEEiEEDaPvRmT3_T4_T5_mT6_P12ihipStream_tbENKUlT_T0_E_clISt17integral_constantIbLb1EEST_IbLb0EEEEDaSP_SQ_EUlSP_E_NS1_11comp_targetILNS1_3genE8ELNS1_11target_archE1030ELNS1_3gpuE2ELNS1_3repE0EEENS1_30default_config_static_selectorELNS0_4arch9wavefront6targetE1EEEvT1_,@function
_ZN7rocprim17ROCPRIM_400000_NS6detail17trampoline_kernelINS0_14default_configENS1_20scan_config_selectorIiEEZZNS1_9scan_implILNS1_25lookback_scan_determinismE0ELb0ELb0ES3_N6thrust23THRUST_200600_302600_NS6detail15normal_iteratorINS9_10device_ptrIiEEEESE_iNS9_4plusIvEEiEEDaPvRmT3_T4_T5_mT6_P12ihipStream_tbENKUlT_T0_E_clISt17integral_constantIbLb1EEST_IbLb0EEEEDaSP_SQ_EUlSP_E_NS1_11comp_targetILNS1_3genE8ELNS1_11target_archE1030ELNS1_3gpuE2ELNS1_3repE0EEENS1_30default_config_static_selectorELNS0_4arch9wavefront6targetE1EEEvT1_: ; @_ZN7rocprim17ROCPRIM_400000_NS6detail17trampoline_kernelINS0_14default_configENS1_20scan_config_selectorIiEEZZNS1_9scan_implILNS1_25lookback_scan_determinismE0ELb0ELb0ES3_N6thrust23THRUST_200600_302600_NS6detail15normal_iteratorINS9_10device_ptrIiEEEESE_iNS9_4plusIvEEiEEDaPvRmT3_T4_T5_mT6_P12ihipStream_tbENKUlT_T0_E_clISt17integral_constantIbLb1EEST_IbLb0EEEEDaSP_SQ_EUlSP_E_NS1_11comp_targetILNS1_3genE8ELNS1_11target_archE1030ELNS1_3gpuE2ELNS1_3repE0EEENS1_30default_config_static_selectorELNS0_4arch9wavefront6targetE1EEEvT1_
; %bb.0:
	.section	.rodata,"a",@progbits
	.p2align	6, 0x0
	.amdhsa_kernel _ZN7rocprim17ROCPRIM_400000_NS6detail17trampoline_kernelINS0_14default_configENS1_20scan_config_selectorIiEEZZNS1_9scan_implILNS1_25lookback_scan_determinismE0ELb0ELb0ES3_N6thrust23THRUST_200600_302600_NS6detail15normal_iteratorINS9_10device_ptrIiEEEESE_iNS9_4plusIvEEiEEDaPvRmT3_T4_T5_mT6_P12ihipStream_tbENKUlT_T0_E_clISt17integral_constantIbLb1EEST_IbLb0EEEEDaSP_SQ_EUlSP_E_NS1_11comp_targetILNS1_3genE8ELNS1_11target_archE1030ELNS1_3gpuE2ELNS1_3repE0EEENS1_30default_config_static_selectorELNS0_4arch9wavefront6targetE1EEEvT1_
		.amdhsa_group_segment_fixed_size 0
		.amdhsa_private_segment_fixed_size 0
		.amdhsa_kernarg_size 96
		.amdhsa_user_sgpr_count 6
		.amdhsa_user_sgpr_private_segment_buffer 1
		.amdhsa_user_sgpr_dispatch_ptr 0
		.amdhsa_user_sgpr_queue_ptr 0
		.amdhsa_user_sgpr_kernarg_segment_ptr 1
		.amdhsa_user_sgpr_dispatch_id 0
		.amdhsa_user_sgpr_flat_scratch_init 0
		.amdhsa_user_sgpr_kernarg_preload_length 0
		.amdhsa_user_sgpr_kernarg_preload_offset 0
		.amdhsa_user_sgpr_private_segment_size 0
		.amdhsa_uses_dynamic_stack 0
		.amdhsa_system_sgpr_private_segment_wavefront_offset 0
		.amdhsa_system_sgpr_workgroup_id_x 1
		.amdhsa_system_sgpr_workgroup_id_y 0
		.amdhsa_system_sgpr_workgroup_id_z 0
		.amdhsa_system_sgpr_workgroup_info 0
		.amdhsa_system_vgpr_workitem_id 0
		.amdhsa_next_free_vgpr 1
		.amdhsa_next_free_sgpr 0
		.amdhsa_accum_offset 4
		.amdhsa_reserve_vcc 0
		.amdhsa_reserve_flat_scratch 0
		.amdhsa_float_round_mode_32 0
		.amdhsa_float_round_mode_16_64 0
		.amdhsa_float_denorm_mode_32 3
		.amdhsa_float_denorm_mode_16_64 3
		.amdhsa_dx10_clamp 1
		.amdhsa_ieee_mode 1
		.amdhsa_fp16_overflow 0
		.amdhsa_tg_split 0
		.amdhsa_exception_fp_ieee_invalid_op 0
		.amdhsa_exception_fp_denorm_src 0
		.amdhsa_exception_fp_ieee_div_zero 0
		.amdhsa_exception_fp_ieee_overflow 0
		.amdhsa_exception_fp_ieee_underflow 0
		.amdhsa_exception_fp_ieee_inexact 0
		.amdhsa_exception_int_div_zero 0
	.end_amdhsa_kernel
	.section	.text._ZN7rocprim17ROCPRIM_400000_NS6detail17trampoline_kernelINS0_14default_configENS1_20scan_config_selectorIiEEZZNS1_9scan_implILNS1_25lookback_scan_determinismE0ELb0ELb0ES3_N6thrust23THRUST_200600_302600_NS6detail15normal_iteratorINS9_10device_ptrIiEEEESE_iNS9_4plusIvEEiEEDaPvRmT3_T4_T5_mT6_P12ihipStream_tbENKUlT_T0_E_clISt17integral_constantIbLb1EEST_IbLb0EEEEDaSP_SQ_EUlSP_E_NS1_11comp_targetILNS1_3genE8ELNS1_11target_archE1030ELNS1_3gpuE2ELNS1_3repE0EEENS1_30default_config_static_selectorELNS0_4arch9wavefront6targetE1EEEvT1_,"axG",@progbits,_ZN7rocprim17ROCPRIM_400000_NS6detail17trampoline_kernelINS0_14default_configENS1_20scan_config_selectorIiEEZZNS1_9scan_implILNS1_25lookback_scan_determinismE0ELb0ELb0ES3_N6thrust23THRUST_200600_302600_NS6detail15normal_iteratorINS9_10device_ptrIiEEEESE_iNS9_4plusIvEEiEEDaPvRmT3_T4_T5_mT6_P12ihipStream_tbENKUlT_T0_E_clISt17integral_constantIbLb1EEST_IbLb0EEEEDaSP_SQ_EUlSP_E_NS1_11comp_targetILNS1_3genE8ELNS1_11target_archE1030ELNS1_3gpuE2ELNS1_3repE0EEENS1_30default_config_static_selectorELNS0_4arch9wavefront6targetE1EEEvT1_,comdat
.Lfunc_end1384:
	.size	_ZN7rocprim17ROCPRIM_400000_NS6detail17trampoline_kernelINS0_14default_configENS1_20scan_config_selectorIiEEZZNS1_9scan_implILNS1_25lookback_scan_determinismE0ELb0ELb0ES3_N6thrust23THRUST_200600_302600_NS6detail15normal_iteratorINS9_10device_ptrIiEEEESE_iNS9_4plusIvEEiEEDaPvRmT3_T4_T5_mT6_P12ihipStream_tbENKUlT_T0_E_clISt17integral_constantIbLb1EEST_IbLb0EEEEDaSP_SQ_EUlSP_E_NS1_11comp_targetILNS1_3genE8ELNS1_11target_archE1030ELNS1_3gpuE2ELNS1_3repE0EEENS1_30default_config_static_selectorELNS0_4arch9wavefront6targetE1EEEvT1_, .Lfunc_end1384-_ZN7rocprim17ROCPRIM_400000_NS6detail17trampoline_kernelINS0_14default_configENS1_20scan_config_selectorIiEEZZNS1_9scan_implILNS1_25lookback_scan_determinismE0ELb0ELb0ES3_N6thrust23THRUST_200600_302600_NS6detail15normal_iteratorINS9_10device_ptrIiEEEESE_iNS9_4plusIvEEiEEDaPvRmT3_T4_T5_mT6_P12ihipStream_tbENKUlT_T0_E_clISt17integral_constantIbLb1EEST_IbLb0EEEEDaSP_SQ_EUlSP_E_NS1_11comp_targetILNS1_3genE8ELNS1_11target_archE1030ELNS1_3gpuE2ELNS1_3repE0EEENS1_30default_config_static_selectorELNS0_4arch9wavefront6targetE1EEEvT1_
                                        ; -- End function
	.section	.AMDGPU.csdata,"",@progbits
; Kernel info:
; codeLenInByte = 0
; NumSgprs: 4
; NumVgprs: 0
; NumAgprs: 0
; TotalNumVgprs: 0
; ScratchSize: 0
; MemoryBound: 0
; FloatMode: 240
; IeeeMode: 1
; LDSByteSize: 0 bytes/workgroup (compile time only)
; SGPRBlocks: 0
; VGPRBlocks: 0
; NumSGPRsForWavesPerEU: 4
; NumVGPRsForWavesPerEU: 1
; AccumOffset: 4
; Occupancy: 8
; WaveLimiterHint : 0
; COMPUTE_PGM_RSRC2:SCRATCH_EN: 0
; COMPUTE_PGM_RSRC2:USER_SGPR: 6
; COMPUTE_PGM_RSRC2:TRAP_HANDLER: 0
; COMPUTE_PGM_RSRC2:TGID_X_EN: 1
; COMPUTE_PGM_RSRC2:TGID_Y_EN: 0
; COMPUTE_PGM_RSRC2:TGID_Z_EN: 0
; COMPUTE_PGM_RSRC2:TIDIG_COMP_CNT: 0
; COMPUTE_PGM_RSRC3_GFX90A:ACCUM_OFFSET: 0
; COMPUTE_PGM_RSRC3_GFX90A:TG_SPLIT: 0
	.section	.text._ZN7rocprim17ROCPRIM_400000_NS6detail17trampoline_kernelINS0_14default_configENS1_20scan_config_selectorIiEEZZNS1_9scan_implILNS1_25lookback_scan_determinismE0ELb0ELb0ES3_N6thrust23THRUST_200600_302600_NS6detail15normal_iteratorINS9_10device_ptrIiEEEESE_iNS9_4plusIvEEiEEDaPvRmT3_T4_T5_mT6_P12ihipStream_tbENKUlT_T0_E_clISt17integral_constantIbLb1EEST_IbLb0EEEEDaSP_SQ_EUlSP_E0_NS1_11comp_targetILNS1_3genE0ELNS1_11target_archE4294967295ELNS1_3gpuE0ELNS1_3repE0EEENS1_30default_config_static_selectorELNS0_4arch9wavefront6targetE1EEEvT1_,"axG",@progbits,_ZN7rocprim17ROCPRIM_400000_NS6detail17trampoline_kernelINS0_14default_configENS1_20scan_config_selectorIiEEZZNS1_9scan_implILNS1_25lookback_scan_determinismE0ELb0ELb0ES3_N6thrust23THRUST_200600_302600_NS6detail15normal_iteratorINS9_10device_ptrIiEEEESE_iNS9_4plusIvEEiEEDaPvRmT3_T4_T5_mT6_P12ihipStream_tbENKUlT_T0_E_clISt17integral_constantIbLb1EEST_IbLb0EEEEDaSP_SQ_EUlSP_E0_NS1_11comp_targetILNS1_3genE0ELNS1_11target_archE4294967295ELNS1_3gpuE0ELNS1_3repE0EEENS1_30default_config_static_selectorELNS0_4arch9wavefront6targetE1EEEvT1_,comdat
	.protected	_ZN7rocprim17ROCPRIM_400000_NS6detail17trampoline_kernelINS0_14default_configENS1_20scan_config_selectorIiEEZZNS1_9scan_implILNS1_25lookback_scan_determinismE0ELb0ELb0ES3_N6thrust23THRUST_200600_302600_NS6detail15normal_iteratorINS9_10device_ptrIiEEEESE_iNS9_4plusIvEEiEEDaPvRmT3_T4_T5_mT6_P12ihipStream_tbENKUlT_T0_E_clISt17integral_constantIbLb1EEST_IbLb0EEEEDaSP_SQ_EUlSP_E0_NS1_11comp_targetILNS1_3genE0ELNS1_11target_archE4294967295ELNS1_3gpuE0ELNS1_3repE0EEENS1_30default_config_static_selectorELNS0_4arch9wavefront6targetE1EEEvT1_ ; -- Begin function _ZN7rocprim17ROCPRIM_400000_NS6detail17trampoline_kernelINS0_14default_configENS1_20scan_config_selectorIiEEZZNS1_9scan_implILNS1_25lookback_scan_determinismE0ELb0ELb0ES3_N6thrust23THRUST_200600_302600_NS6detail15normal_iteratorINS9_10device_ptrIiEEEESE_iNS9_4plusIvEEiEEDaPvRmT3_T4_T5_mT6_P12ihipStream_tbENKUlT_T0_E_clISt17integral_constantIbLb1EEST_IbLb0EEEEDaSP_SQ_EUlSP_E0_NS1_11comp_targetILNS1_3genE0ELNS1_11target_archE4294967295ELNS1_3gpuE0ELNS1_3repE0EEENS1_30default_config_static_selectorELNS0_4arch9wavefront6targetE1EEEvT1_
	.globl	_ZN7rocprim17ROCPRIM_400000_NS6detail17trampoline_kernelINS0_14default_configENS1_20scan_config_selectorIiEEZZNS1_9scan_implILNS1_25lookback_scan_determinismE0ELb0ELb0ES3_N6thrust23THRUST_200600_302600_NS6detail15normal_iteratorINS9_10device_ptrIiEEEESE_iNS9_4plusIvEEiEEDaPvRmT3_T4_T5_mT6_P12ihipStream_tbENKUlT_T0_E_clISt17integral_constantIbLb1EEST_IbLb0EEEEDaSP_SQ_EUlSP_E0_NS1_11comp_targetILNS1_3genE0ELNS1_11target_archE4294967295ELNS1_3gpuE0ELNS1_3repE0EEENS1_30default_config_static_selectorELNS0_4arch9wavefront6targetE1EEEvT1_
	.p2align	8
	.type	_ZN7rocprim17ROCPRIM_400000_NS6detail17trampoline_kernelINS0_14default_configENS1_20scan_config_selectorIiEEZZNS1_9scan_implILNS1_25lookback_scan_determinismE0ELb0ELb0ES3_N6thrust23THRUST_200600_302600_NS6detail15normal_iteratorINS9_10device_ptrIiEEEESE_iNS9_4plusIvEEiEEDaPvRmT3_T4_T5_mT6_P12ihipStream_tbENKUlT_T0_E_clISt17integral_constantIbLb1EEST_IbLb0EEEEDaSP_SQ_EUlSP_E0_NS1_11comp_targetILNS1_3genE0ELNS1_11target_archE4294967295ELNS1_3gpuE0ELNS1_3repE0EEENS1_30default_config_static_selectorELNS0_4arch9wavefront6targetE1EEEvT1_,@function
_ZN7rocprim17ROCPRIM_400000_NS6detail17trampoline_kernelINS0_14default_configENS1_20scan_config_selectorIiEEZZNS1_9scan_implILNS1_25lookback_scan_determinismE0ELb0ELb0ES3_N6thrust23THRUST_200600_302600_NS6detail15normal_iteratorINS9_10device_ptrIiEEEESE_iNS9_4plusIvEEiEEDaPvRmT3_T4_T5_mT6_P12ihipStream_tbENKUlT_T0_E_clISt17integral_constantIbLb1EEST_IbLb0EEEEDaSP_SQ_EUlSP_E0_NS1_11comp_targetILNS1_3genE0ELNS1_11target_archE4294967295ELNS1_3gpuE0ELNS1_3repE0EEENS1_30default_config_static_selectorELNS0_4arch9wavefront6targetE1EEEvT1_: ; @_ZN7rocprim17ROCPRIM_400000_NS6detail17trampoline_kernelINS0_14default_configENS1_20scan_config_selectorIiEEZZNS1_9scan_implILNS1_25lookback_scan_determinismE0ELb0ELb0ES3_N6thrust23THRUST_200600_302600_NS6detail15normal_iteratorINS9_10device_ptrIiEEEESE_iNS9_4plusIvEEiEEDaPvRmT3_T4_T5_mT6_P12ihipStream_tbENKUlT_T0_E_clISt17integral_constantIbLb1EEST_IbLb0EEEEDaSP_SQ_EUlSP_E0_NS1_11comp_targetILNS1_3genE0ELNS1_11target_archE4294967295ELNS1_3gpuE0ELNS1_3repE0EEENS1_30default_config_static_selectorELNS0_4arch9wavefront6targetE1EEEvT1_
; %bb.0:
	.section	.rodata,"a",@progbits
	.p2align	6, 0x0
	.amdhsa_kernel _ZN7rocprim17ROCPRIM_400000_NS6detail17trampoline_kernelINS0_14default_configENS1_20scan_config_selectorIiEEZZNS1_9scan_implILNS1_25lookback_scan_determinismE0ELb0ELb0ES3_N6thrust23THRUST_200600_302600_NS6detail15normal_iteratorINS9_10device_ptrIiEEEESE_iNS9_4plusIvEEiEEDaPvRmT3_T4_T5_mT6_P12ihipStream_tbENKUlT_T0_E_clISt17integral_constantIbLb1EEST_IbLb0EEEEDaSP_SQ_EUlSP_E0_NS1_11comp_targetILNS1_3genE0ELNS1_11target_archE4294967295ELNS1_3gpuE0ELNS1_3repE0EEENS1_30default_config_static_selectorELNS0_4arch9wavefront6targetE1EEEvT1_
		.amdhsa_group_segment_fixed_size 0
		.amdhsa_private_segment_fixed_size 0
		.amdhsa_kernarg_size 32
		.amdhsa_user_sgpr_count 6
		.amdhsa_user_sgpr_private_segment_buffer 1
		.amdhsa_user_sgpr_dispatch_ptr 0
		.amdhsa_user_sgpr_queue_ptr 0
		.amdhsa_user_sgpr_kernarg_segment_ptr 1
		.amdhsa_user_sgpr_dispatch_id 0
		.amdhsa_user_sgpr_flat_scratch_init 0
		.amdhsa_user_sgpr_kernarg_preload_length 0
		.amdhsa_user_sgpr_kernarg_preload_offset 0
		.amdhsa_user_sgpr_private_segment_size 0
		.amdhsa_uses_dynamic_stack 0
		.amdhsa_system_sgpr_private_segment_wavefront_offset 0
		.amdhsa_system_sgpr_workgroup_id_x 1
		.amdhsa_system_sgpr_workgroup_id_y 0
		.amdhsa_system_sgpr_workgroup_id_z 0
		.amdhsa_system_sgpr_workgroup_info 0
		.amdhsa_system_vgpr_workitem_id 0
		.amdhsa_next_free_vgpr 1
		.amdhsa_next_free_sgpr 0
		.amdhsa_accum_offset 4
		.amdhsa_reserve_vcc 0
		.amdhsa_reserve_flat_scratch 0
		.amdhsa_float_round_mode_32 0
		.amdhsa_float_round_mode_16_64 0
		.amdhsa_float_denorm_mode_32 3
		.amdhsa_float_denorm_mode_16_64 3
		.amdhsa_dx10_clamp 1
		.amdhsa_ieee_mode 1
		.amdhsa_fp16_overflow 0
		.amdhsa_tg_split 0
		.amdhsa_exception_fp_ieee_invalid_op 0
		.amdhsa_exception_fp_denorm_src 0
		.amdhsa_exception_fp_ieee_div_zero 0
		.amdhsa_exception_fp_ieee_overflow 0
		.amdhsa_exception_fp_ieee_underflow 0
		.amdhsa_exception_fp_ieee_inexact 0
		.amdhsa_exception_int_div_zero 0
	.end_amdhsa_kernel
	.section	.text._ZN7rocprim17ROCPRIM_400000_NS6detail17trampoline_kernelINS0_14default_configENS1_20scan_config_selectorIiEEZZNS1_9scan_implILNS1_25lookback_scan_determinismE0ELb0ELb0ES3_N6thrust23THRUST_200600_302600_NS6detail15normal_iteratorINS9_10device_ptrIiEEEESE_iNS9_4plusIvEEiEEDaPvRmT3_T4_T5_mT6_P12ihipStream_tbENKUlT_T0_E_clISt17integral_constantIbLb1EEST_IbLb0EEEEDaSP_SQ_EUlSP_E0_NS1_11comp_targetILNS1_3genE0ELNS1_11target_archE4294967295ELNS1_3gpuE0ELNS1_3repE0EEENS1_30default_config_static_selectorELNS0_4arch9wavefront6targetE1EEEvT1_,"axG",@progbits,_ZN7rocprim17ROCPRIM_400000_NS6detail17trampoline_kernelINS0_14default_configENS1_20scan_config_selectorIiEEZZNS1_9scan_implILNS1_25lookback_scan_determinismE0ELb0ELb0ES3_N6thrust23THRUST_200600_302600_NS6detail15normal_iteratorINS9_10device_ptrIiEEEESE_iNS9_4plusIvEEiEEDaPvRmT3_T4_T5_mT6_P12ihipStream_tbENKUlT_T0_E_clISt17integral_constantIbLb1EEST_IbLb0EEEEDaSP_SQ_EUlSP_E0_NS1_11comp_targetILNS1_3genE0ELNS1_11target_archE4294967295ELNS1_3gpuE0ELNS1_3repE0EEENS1_30default_config_static_selectorELNS0_4arch9wavefront6targetE1EEEvT1_,comdat
.Lfunc_end1385:
	.size	_ZN7rocprim17ROCPRIM_400000_NS6detail17trampoline_kernelINS0_14default_configENS1_20scan_config_selectorIiEEZZNS1_9scan_implILNS1_25lookback_scan_determinismE0ELb0ELb0ES3_N6thrust23THRUST_200600_302600_NS6detail15normal_iteratorINS9_10device_ptrIiEEEESE_iNS9_4plusIvEEiEEDaPvRmT3_T4_T5_mT6_P12ihipStream_tbENKUlT_T0_E_clISt17integral_constantIbLb1EEST_IbLb0EEEEDaSP_SQ_EUlSP_E0_NS1_11comp_targetILNS1_3genE0ELNS1_11target_archE4294967295ELNS1_3gpuE0ELNS1_3repE0EEENS1_30default_config_static_selectorELNS0_4arch9wavefront6targetE1EEEvT1_, .Lfunc_end1385-_ZN7rocprim17ROCPRIM_400000_NS6detail17trampoline_kernelINS0_14default_configENS1_20scan_config_selectorIiEEZZNS1_9scan_implILNS1_25lookback_scan_determinismE0ELb0ELb0ES3_N6thrust23THRUST_200600_302600_NS6detail15normal_iteratorINS9_10device_ptrIiEEEESE_iNS9_4plusIvEEiEEDaPvRmT3_T4_T5_mT6_P12ihipStream_tbENKUlT_T0_E_clISt17integral_constantIbLb1EEST_IbLb0EEEEDaSP_SQ_EUlSP_E0_NS1_11comp_targetILNS1_3genE0ELNS1_11target_archE4294967295ELNS1_3gpuE0ELNS1_3repE0EEENS1_30default_config_static_selectorELNS0_4arch9wavefront6targetE1EEEvT1_
                                        ; -- End function
	.section	.AMDGPU.csdata,"",@progbits
; Kernel info:
; codeLenInByte = 0
; NumSgprs: 4
; NumVgprs: 0
; NumAgprs: 0
; TotalNumVgprs: 0
; ScratchSize: 0
; MemoryBound: 0
; FloatMode: 240
; IeeeMode: 1
; LDSByteSize: 0 bytes/workgroup (compile time only)
; SGPRBlocks: 0
; VGPRBlocks: 0
; NumSGPRsForWavesPerEU: 4
; NumVGPRsForWavesPerEU: 1
; AccumOffset: 4
; Occupancy: 8
; WaveLimiterHint : 0
; COMPUTE_PGM_RSRC2:SCRATCH_EN: 0
; COMPUTE_PGM_RSRC2:USER_SGPR: 6
; COMPUTE_PGM_RSRC2:TRAP_HANDLER: 0
; COMPUTE_PGM_RSRC2:TGID_X_EN: 1
; COMPUTE_PGM_RSRC2:TGID_Y_EN: 0
; COMPUTE_PGM_RSRC2:TGID_Z_EN: 0
; COMPUTE_PGM_RSRC2:TIDIG_COMP_CNT: 0
; COMPUTE_PGM_RSRC3_GFX90A:ACCUM_OFFSET: 0
; COMPUTE_PGM_RSRC3_GFX90A:TG_SPLIT: 0
	.section	.text._ZN7rocprim17ROCPRIM_400000_NS6detail17trampoline_kernelINS0_14default_configENS1_20scan_config_selectorIiEEZZNS1_9scan_implILNS1_25lookback_scan_determinismE0ELb0ELb0ES3_N6thrust23THRUST_200600_302600_NS6detail15normal_iteratorINS9_10device_ptrIiEEEESE_iNS9_4plusIvEEiEEDaPvRmT3_T4_T5_mT6_P12ihipStream_tbENKUlT_T0_E_clISt17integral_constantIbLb1EEST_IbLb0EEEEDaSP_SQ_EUlSP_E0_NS1_11comp_targetILNS1_3genE5ELNS1_11target_archE942ELNS1_3gpuE9ELNS1_3repE0EEENS1_30default_config_static_selectorELNS0_4arch9wavefront6targetE1EEEvT1_,"axG",@progbits,_ZN7rocprim17ROCPRIM_400000_NS6detail17trampoline_kernelINS0_14default_configENS1_20scan_config_selectorIiEEZZNS1_9scan_implILNS1_25lookback_scan_determinismE0ELb0ELb0ES3_N6thrust23THRUST_200600_302600_NS6detail15normal_iteratorINS9_10device_ptrIiEEEESE_iNS9_4plusIvEEiEEDaPvRmT3_T4_T5_mT6_P12ihipStream_tbENKUlT_T0_E_clISt17integral_constantIbLb1EEST_IbLb0EEEEDaSP_SQ_EUlSP_E0_NS1_11comp_targetILNS1_3genE5ELNS1_11target_archE942ELNS1_3gpuE9ELNS1_3repE0EEENS1_30default_config_static_selectorELNS0_4arch9wavefront6targetE1EEEvT1_,comdat
	.protected	_ZN7rocprim17ROCPRIM_400000_NS6detail17trampoline_kernelINS0_14default_configENS1_20scan_config_selectorIiEEZZNS1_9scan_implILNS1_25lookback_scan_determinismE0ELb0ELb0ES3_N6thrust23THRUST_200600_302600_NS6detail15normal_iteratorINS9_10device_ptrIiEEEESE_iNS9_4plusIvEEiEEDaPvRmT3_T4_T5_mT6_P12ihipStream_tbENKUlT_T0_E_clISt17integral_constantIbLb1EEST_IbLb0EEEEDaSP_SQ_EUlSP_E0_NS1_11comp_targetILNS1_3genE5ELNS1_11target_archE942ELNS1_3gpuE9ELNS1_3repE0EEENS1_30default_config_static_selectorELNS0_4arch9wavefront6targetE1EEEvT1_ ; -- Begin function _ZN7rocprim17ROCPRIM_400000_NS6detail17trampoline_kernelINS0_14default_configENS1_20scan_config_selectorIiEEZZNS1_9scan_implILNS1_25lookback_scan_determinismE0ELb0ELb0ES3_N6thrust23THRUST_200600_302600_NS6detail15normal_iteratorINS9_10device_ptrIiEEEESE_iNS9_4plusIvEEiEEDaPvRmT3_T4_T5_mT6_P12ihipStream_tbENKUlT_T0_E_clISt17integral_constantIbLb1EEST_IbLb0EEEEDaSP_SQ_EUlSP_E0_NS1_11comp_targetILNS1_3genE5ELNS1_11target_archE942ELNS1_3gpuE9ELNS1_3repE0EEENS1_30default_config_static_selectorELNS0_4arch9wavefront6targetE1EEEvT1_
	.globl	_ZN7rocprim17ROCPRIM_400000_NS6detail17trampoline_kernelINS0_14default_configENS1_20scan_config_selectorIiEEZZNS1_9scan_implILNS1_25lookback_scan_determinismE0ELb0ELb0ES3_N6thrust23THRUST_200600_302600_NS6detail15normal_iteratorINS9_10device_ptrIiEEEESE_iNS9_4plusIvEEiEEDaPvRmT3_T4_T5_mT6_P12ihipStream_tbENKUlT_T0_E_clISt17integral_constantIbLb1EEST_IbLb0EEEEDaSP_SQ_EUlSP_E0_NS1_11comp_targetILNS1_3genE5ELNS1_11target_archE942ELNS1_3gpuE9ELNS1_3repE0EEENS1_30default_config_static_selectorELNS0_4arch9wavefront6targetE1EEEvT1_
	.p2align	8
	.type	_ZN7rocprim17ROCPRIM_400000_NS6detail17trampoline_kernelINS0_14default_configENS1_20scan_config_selectorIiEEZZNS1_9scan_implILNS1_25lookback_scan_determinismE0ELb0ELb0ES3_N6thrust23THRUST_200600_302600_NS6detail15normal_iteratorINS9_10device_ptrIiEEEESE_iNS9_4plusIvEEiEEDaPvRmT3_T4_T5_mT6_P12ihipStream_tbENKUlT_T0_E_clISt17integral_constantIbLb1EEST_IbLb0EEEEDaSP_SQ_EUlSP_E0_NS1_11comp_targetILNS1_3genE5ELNS1_11target_archE942ELNS1_3gpuE9ELNS1_3repE0EEENS1_30default_config_static_selectorELNS0_4arch9wavefront6targetE1EEEvT1_,@function
_ZN7rocprim17ROCPRIM_400000_NS6detail17trampoline_kernelINS0_14default_configENS1_20scan_config_selectorIiEEZZNS1_9scan_implILNS1_25lookback_scan_determinismE0ELb0ELb0ES3_N6thrust23THRUST_200600_302600_NS6detail15normal_iteratorINS9_10device_ptrIiEEEESE_iNS9_4plusIvEEiEEDaPvRmT3_T4_T5_mT6_P12ihipStream_tbENKUlT_T0_E_clISt17integral_constantIbLb1EEST_IbLb0EEEEDaSP_SQ_EUlSP_E0_NS1_11comp_targetILNS1_3genE5ELNS1_11target_archE942ELNS1_3gpuE9ELNS1_3repE0EEENS1_30default_config_static_selectorELNS0_4arch9wavefront6targetE1EEEvT1_: ; @_ZN7rocprim17ROCPRIM_400000_NS6detail17trampoline_kernelINS0_14default_configENS1_20scan_config_selectorIiEEZZNS1_9scan_implILNS1_25lookback_scan_determinismE0ELb0ELb0ES3_N6thrust23THRUST_200600_302600_NS6detail15normal_iteratorINS9_10device_ptrIiEEEESE_iNS9_4plusIvEEiEEDaPvRmT3_T4_T5_mT6_P12ihipStream_tbENKUlT_T0_E_clISt17integral_constantIbLb1EEST_IbLb0EEEEDaSP_SQ_EUlSP_E0_NS1_11comp_targetILNS1_3genE5ELNS1_11target_archE942ELNS1_3gpuE9ELNS1_3repE0EEENS1_30default_config_static_selectorELNS0_4arch9wavefront6targetE1EEEvT1_
; %bb.0:
	.section	.rodata,"a",@progbits
	.p2align	6, 0x0
	.amdhsa_kernel _ZN7rocprim17ROCPRIM_400000_NS6detail17trampoline_kernelINS0_14default_configENS1_20scan_config_selectorIiEEZZNS1_9scan_implILNS1_25lookback_scan_determinismE0ELb0ELb0ES3_N6thrust23THRUST_200600_302600_NS6detail15normal_iteratorINS9_10device_ptrIiEEEESE_iNS9_4plusIvEEiEEDaPvRmT3_T4_T5_mT6_P12ihipStream_tbENKUlT_T0_E_clISt17integral_constantIbLb1EEST_IbLb0EEEEDaSP_SQ_EUlSP_E0_NS1_11comp_targetILNS1_3genE5ELNS1_11target_archE942ELNS1_3gpuE9ELNS1_3repE0EEENS1_30default_config_static_selectorELNS0_4arch9wavefront6targetE1EEEvT1_
		.amdhsa_group_segment_fixed_size 0
		.amdhsa_private_segment_fixed_size 0
		.amdhsa_kernarg_size 32
		.amdhsa_user_sgpr_count 6
		.amdhsa_user_sgpr_private_segment_buffer 1
		.amdhsa_user_sgpr_dispatch_ptr 0
		.amdhsa_user_sgpr_queue_ptr 0
		.amdhsa_user_sgpr_kernarg_segment_ptr 1
		.amdhsa_user_sgpr_dispatch_id 0
		.amdhsa_user_sgpr_flat_scratch_init 0
		.amdhsa_user_sgpr_kernarg_preload_length 0
		.amdhsa_user_sgpr_kernarg_preload_offset 0
		.amdhsa_user_sgpr_private_segment_size 0
		.amdhsa_uses_dynamic_stack 0
		.amdhsa_system_sgpr_private_segment_wavefront_offset 0
		.amdhsa_system_sgpr_workgroup_id_x 1
		.amdhsa_system_sgpr_workgroup_id_y 0
		.amdhsa_system_sgpr_workgroup_id_z 0
		.amdhsa_system_sgpr_workgroup_info 0
		.amdhsa_system_vgpr_workitem_id 0
		.amdhsa_next_free_vgpr 1
		.amdhsa_next_free_sgpr 0
		.amdhsa_accum_offset 4
		.amdhsa_reserve_vcc 0
		.amdhsa_reserve_flat_scratch 0
		.amdhsa_float_round_mode_32 0
		.amdhsa_float_round_mode_16_64 0
		.amdhsa_float_denorm_mode_32 3
		.amdhsa_float_denorm_mode_16_64 3
		.amdhsa_dx10_clamp 1
		.amdhsa_ieee_mode 1
		.amdhsa_fp16_overflow 0
		.amdhsa_tg_split 0
		.amdhsa_exception_fp_ieee_invalid_op 0
		.amdhsa_exception_fp_denorm_src 0
		.amdhsa_exception_fp_ieee_div_zero 0
		.amdhsa_exception_fp_ieee_overflow 0
		.amdhsa_exception_fp_ieee_underflow 0
		.amdhsa_exception_fp_ieee_inexact 0
		.amdhsa_exception_int_div_zero 0
	.end_amdhsa_kernel
	.section	.text._ZN7rocprim17ROCPRIM_400000_NS6detail17trampoline_kernelINS0_14default_configENS1_20scan_config_selectorIiEEZZNS1_9scan_implILNS1_25lookback_scan_determinismE0ELb0ELb0ES3_N6thrust23THRUST_200600_302600_NS6detail15normal_iteratorINS9_10device_ptrIiEEEESE_iNS9_4plusIvEEiEEDaPvRmT3_T4_T5_mT6_P12ihipStream_tbENKUlT_T0_E_clISt17integral_constantIbLb1EEST_IbLb0EEEEDaSP_SQ_EUlSP_E0_NS1_11comp_targetILNS1_3genE5ELNS1_11target_archE942ELNS1_3gpuE9ELNS1_3repE0EEENS1_30default_config_static_selectorELNS0_4arch9wavefront6targetE1EEEvT1_,"axG",@progbits,_ZN7rocprim17ROCPRIM_400000_NS6detail17trampoline_kernelINS0_14default_configENS1_20scan_config_selectorIiEEZZNS1_9scan_implILNS1_25lookback_scan_determinismE0ELb0ELb0ES3_N6thrust23THRUST_200600_302600_NS6detail15normal_iteratorINS9_10device_ptrIiEEEESE_iNS9_4plusIvEEiEEDaPvRmT3_T4_T5_mT6_P12ihipStream_tbENKUlT_T0_E_clISt17integral_constantIbLb1EEST_IbLb0EEEEDaSP_SQ_EUlSP_E0_NS1_11comp_targetILNS1_3genE5ELNS1_11target_archE942ELNS1_3gpuE9ELNS1_3repE0EEENS1_30default_config_static_selectorELNS0_4arch9wavefront6targetE1EEEvT1_,comdat
.Lfunc_end1386:
	.size	_ZN7rocprim17ROCPRIM_400000_NS6detail17trampoline_kernelINS0_14default_configENS1_20scan_config_selectorIiEEZZNS1_9scan_implILNS1_25lookback_scan_determinismE0ELb0ELb0ES3_N6thrust23THRUST_200600_302600_NS6detail15normal_iteratorINS9_10device_ptrIiEEEESE_iNS9_4plusIvEEiEEDaPvRmT3_T4_T5_mT6_P12ihipStream_tbENKUlT_T0_E_clISt17integral_constantIbLb1EEST_IbLb0EEEEDaSP_SQ_EUlSP_E0_NS1_11comp_targetILNS1_3genE5ELNS1_11target_archE942ELNS1_3gpuE9ELNS1_3repE0EEENS1_30default_config_static_selectorELNS0_4arch9wavefront6targetE1EEEvT1_, .Lfunc_end1386-_ZN7rocprim17ROCPRIM_400000_NS6detail17trampoline_kernelINS0_14default_configENS1_20scan_config_selectorIiEEZZNS1_9scan_implILNS1_25lookback_scan_determinismE0ELb0ELb0ES3_N6thrust23THRUST_200600_302600_NS6detail15normal_iteratorINS9_10device_ptrIiEEEESE_iNS9_4plusIvEEiEEDaPvRmT3_T4_T5_mT6_P12ihipStream_tbENKUlT_T0_E_clISt17integral_constantIbLb1EEST_IbLb0EEEEDaSP_SQ_EUlSP_E0_NS1_11comp_targetILNS1_3genE5ELNS1_11target_archE942ELNS1_3gpuE9ELNS1_3repE0EEENS1_30default_config_static_selectorELNS0_4arch9wavefront6targetE1EEEvT1_
                                        ; -- End function
	.section	.AMDGPU.csdata,"",@progbits
; Kernel info:
; codeLenInByte = 0
; NumSgprs: 4
; NumVgprs: 0
; NumAgprs: 0
; TotalNumVgprs: 0
; ScratchSize: 0
; MemoryBound: 0
; FloatMode: 240
; IeeeMode: 1
; LDSByteSize: 0 bytes/workgroup (compile time only)
; SGPRBlocks: 0
; VGPRBlocks: 0
; NumSGPRsForWavesPerEU: 4
; NumVGPRsForWavesPerEU: 1
; AccumOffset: 4
; Occupancy: 8
; WaveLimiterHint : 0
; COMPUTE_PGM_RSRC2:SCRATCH_EN: 0
; COMPUTE_PGM_RSRC2:USER_SGPR: 6
; COMPUTE_PGM_RSRC2:TRAP_HANDLER: 0
; COMPUTE_PGM_RSRC2:TGID_X_EN: 1
; COMPUTE_PGM_RSRC2:TGID_Y_EN: 0
; COMPUTE_PGM_RSRC2:TGID_Z_EN: 0
; COMPUTE_PGM_RSRC2:TIDIG_COMP_CNT: 0
; COMPUTE_PGM_RSRC3_GFX90A:ACCUM_OFFSET: 0
; COMPUTE_PGM_RSRC3_GFX90A:TG_SPLIT: 0
	.section	.text._ZN7rocprim17ROCPRIM_400000_NS6detail17trampoline_kernelINS0_14default_configENS1_20scan_config_selectorIiEEZZNS1_9scan_implILNS1_25lookback_scan_determinismE0ELb0ELb0ES3_N6thrust23THRUST_200600_302600_NS6detail15normal_iteratorINS9_10device_ptrIiEEEESE_iNS9_4plusIvEEiEEDaPvRmT3_T4_T5_mT6_P12ihipStream_tbENKUlT_T0_E_clISt17integral_constantIbLb1EEST_IbLb0EEEEDaSP_SQ_EUlSP_E0_NS1_11comp_targetILNS1_3genE4ELNS1_11target_archE910ELNS1_3gpuE8ELNS1_3repE0EEENS1_30default_config_static_selectorELNS0_4arch9wavefront6targetE1EEEvT1_,"axG",@progbits,_ZN7rocprim17ROCPRIM_400000_NS6detail17trampoline_kernelINS0_14default_configENS1_20scan_config_selectorIiEEZZNS1_9scan_implILNS1_25lookback_scan_determinismE0ELb0ELb0ES3_N6thrust23THRUST_200600_302600_NS6detail15normal_iteratorINS9_10device_ptrIiEEEESE_iNS9_4plusIvEEiEEDaPvRmT3_T4_T5_mT6_P12ihipStream_tbENKUlT_T0_E_clISt17integral_constantIbLb1EEST_IbLb0EEEEDaSP_SQ_EUlSP_E0_NS1_11comp_targetILNS1_3genE4ELNS1_11target_archE910ELNS1_3gpuE8ELNS1_3repE0EEENS1_30default_config_static_selectorELNS0_4arch9wavefront6targetE1EEEvT1_,comdat
	.protected	_ZN7rocprim17ROCPRIM_400000_NS6detail17trampoline_kernelINS0_14default_configENS1_20scan_config_selectorIiEEZZNS1_9scan_implILNS1_25lookback_scan_determinismE0ELb0ELb0ES3_N6thrust23THRUST_200600_302600_NS6detail15normal_iteratorINS9_10device_ptrIiEEEESE_iNS9_4plusIvEEiEEDaPvRmT3_T4_T5_mT6_P12ihipStream_tbENKUlT_T0_E_clISt17integral_constantIbLb1EEST_IbLb0EEEEDaSP_SQ_EUlSP_E0_NS1_11comp_targetILNS1_3genE4ELNS1_11target_archE910ELNS1_3gpuE8ELNS1_3repE0EEENS1_30default_config_static_selectorELNS0_4arch9wavefront6targetE1EEEvT1_ ; -- Begin function _ZN7rocprim17ROCPRIM_400000_NS6detail17trampoline_kernelINS0_14default_configENS1_20scan_config_selectorIiEEZZNS1_9scan_implILNS1_25lookback_scan_determinismE0ELb0ELb0ES3_N6thrust23THRUST_200600_302600_NS6detail15normal_iteratorINS9_10device_ptrIiEEEESE_iNS9_4plusIvEEiEEDaPvRmT3_T4_T5_mT6_P12ihipStream_tbENKUlT_T0_E_clISt17integral_constantIbLb1EEST_IbLb0EEEEDaSP_SQ_EUlSP_E0_NS1_11comp_targetILNS1_3genE4ELNS1_11target_archE910ELNS1_3gpuE8ELNS1_3repE0EEENS1_30default_config_static_selectorELNS0_4arch9wavefront6targetE1EEEvT1_
	.globl	_ZN7rocprim17ROCPRIM_400000_NS6detail17trampoline_kernelINS0_14default_configENS1_20scan_config_selectorIiEEZZNS1_9scan_implILNS1_25lookback_scan_determinismE0ELb0ELb0ES3_N6thrust23THRUST_200600_302600_NS6detail15normal_iteratorINS9_10device_ptrIiEEEESE_iNS9_4plusIvEEiEEDaPvRmT3_T4_T5_mT6_P12ihipStream_tbENKUlT_T0_E_clISt17integral_constantIbLb1EEST_IbLb0EEEEDaSP_SQ_EUlSP_E0_NS1_11comp_targetILNS1_3genE4ELNS1_11target_archE910ELNS1_3gpuE8ELNS1_3repE0EEENS1_30default_config_static_selectorELNS0_4arch9wavefront6targetE1EEEvT1_
	.p2align	8
	.type	_ZN7rocprim17ROCPRIM_400000_NS6detail17trampoline_kernelINS0_14default_configENS1_20scan_config_selectorIiEEZZNS1_9scan_implILNS1_25lookback_scan_determinismE0ELb0ELb0ES3_N6thrust23THRUST_200600_302600_NS6detail15normal_iteratorINS9_10device_ptrIiEEEESE_iNS9_4plusIvEEiEEDaPvRmT3_T4_T5_mT6_P12ihipStream_tbENKUlT_T0_E_clISt17integral_constantIbLb1EEST_IbLb0EEEEDaSP_SQ_EUlSP_E0_NS1_11comp_targetILNS1_3genE4ELNS1_11target_archE910ELNS1_3gpuE8ELNS1_3repE0EEENS1_30default_config_static_selectorELNS0_4arch9wavefront6targetE1EEEvT1_,@function
_ZN7rocprim17ROCPRIM_400000_NS6detail17trampoline_kernelINS0_14default_configENS1_20scan_config_selectorIiEEZZNS1_9scan_implILNS1_25lookback_scan_determinismE0ELb0ELb0ES3_N6thrust23THRUST_200600_302600_NS6detail15normal_iteratorINS9_10device_ptrIiEEEESE_iNS9_4plusIvEEiEEDaPvRmT3_T4_T5_mT6_P12ihipStream_tbENKUlT_T0_E_clISt17integral_constantIbLb1EEST_IbLb0EEEEDaSP_SQ_EUlSP_E0_NS1_11comp_targetILNS1_3genE4ELNS1_11target_archE910ELNS1_3gpuE8ELNS1_3repE0EEENS1_30default_config_static_selectorELNS0_4arch9wavefront6targetE1EEEvT1_: ; @_ZN7rocprim17ROCPRIM_400000_NS6detail17trampoline_kernelINS0_14default_configENS1_20scan_config_selectorIiEEZZNS1_9scan_implILNS1_25lookback_scan_determinismE0ELb0ELb0ES3_N6thrust23THRUST_200600_302600_NS6detail15normal_iteratorINS9_10device_ptrIiEEEESE_iNS9_4plusIvEEiEEDaPvRmT3_T4_T5_mT6_P12ihipStream_tbENKUlT_T0_E_clISt17integral_constantIbLb1EEST_IbLb0EEEEDaSP_SQ_EUlSP_E0_NS1_11comp_targetILNS1_3genE4ELNS1_11target_archE910ELNS1_3gpuE8ELNS1_3repE0EEENS1_30default_config_static_selectorELNS0_4arch9wavefront6targetE1EEEvT1_
; %bb.0:
	s_load_dwordx4 s[20:23], s[4:5], 0x0
	v_lshlrev_b32_e32 v20, 2, v0
	s_waitcnt lgkmcnt(0)
	s_load_dword s23, s[20:21], 0x0
	v_cmp_gt_u32_e32 vcc, s22, v0
	s_waitcnt lgkmcnt(0)
	v_mov_b32_e32 v1, s23
	s_and_saveexec_b64 s[0:1], vcc
	s_cbranch_execz .LBB1387_2
; %bb.1:
	global_load_dword v1, v20, s[20:21]
.LBB1387_2:
	s_or_b64 exec, exec, s[0:1]
	v_or_b32_e32 v2, 0x80, v0
	v_cmp_gt_u32_e64 s[0:1], s22, v2
	v_mov_b32_e32 v2, s23
	s_and_saveexec_b64 s[2:3], s[0:1]
	s_cbranch_execz .LBB1387_4
; %bb.3:
	global_load_dword v2, v20, s[20:21] offset:512
.LBB1387_4:
	s_or_b64 exec, exec, s[2:3]
	v_or_b32_e32 v3, 0x100, v0
	v_cmp_gt_u32_e64 s[2:3], s22, v3
	v_mov_b32_e32 v3, s23
	s_and_saveexec_b64 s[6:7], s[2:3]
	s_cbranch_execz .LBB1387_6
; %bb.5:
	global_load_dword v3, v20, s[20:21] offset:1024
.LBB1387_6:
	;; [unrolled: 9-line block ×7, first 2 shown]
	s_or_b64 exec, exec, s[14:15]
	v_or_b32_e32 v10, 0x400, v0
	v_cmp_gt_u32_e64 s[14:15], s22, v10
	v_mov_b32_e32 v9, s23
	s_and_saveexec_b64 s[16:17], s[14:15]
	s_cbranch_execz .LBB1387_18
; %bb.17:
	v_lshlrev_b32_e32 v9, 2, v10
	global_load_dword v9, v9, s[20:21]
.LBB1387_18:
	s_or_b64 exec, exec, s[16:17]
	v_or_b32_e32 v11, 0x480, v0
	v_cmp_gt_u32_e64 s[16:17], s22, v11
	v_mov_b32_e32 v10, s23
	s_and_saveexec_b64 s[22:23], s[16:17]
	s_cbranch_execz .LBB1387_20
; %bb.19:
	v_lshlrev_b32_e32 v10, 2, v11
	global_load_dword v10, v10, s[20:21]
.LBB1387_20:
	s_or_b64 exec, exec, s[22:23]
	s_waitcnt vmcnt(0)
	ds_write2st64_b32 v20, v1, v2 offset1:2
	ds_write2st64_b32 v20, v3, v4 offset0:4 offset1:6
	ds_write2st64_b32 v20, v5, v6 offset0:8 offset1:10
	;; [unrolled: 1-line block ×4, first 2 shown]
	v_mad_u32_u24 v1, v0, 36, v20
	s_waitcnt lgkmcnt(0)
	s_barrier
	ds_read2_b64 v[6:9], v1 offset1:1
	ds_read2_b64 v[2:5], v1 offset0:2 offset1:3
	ds_read_b64 v[18:19], v1 offset:32
	v_lshrrev_b32_e32 v21, 3, v0
	v_and_b32_e32 v21, 12, v21
	s_waitcnt lgkmcnt(2)
	v_add_u32_e32 v1, v7, v6
	v_add_u32_e32 v14, v1, v8
	v_add_u32_e32 v15, v14, v9
	s_waitcnt lgkmcnt(1)
	v_add_u32_e32 v10, v15, v2
	v_add_u32_e32 v11, v10, v3
	;; [unrolled: 1-line block ×4, first 2 shown]
	s_waitcnt lgkmcnt(0)
	v_add_u32_e32 v16, v13, v18
	v_add_u32_e32 v17, v16, v19
	;; [unrolled: 1-line block ×3, first 2 shown]
	v_cmp_gt_u32_e64 s[20:21], 64, v0
	s_barrier
	ds_write_b32 v21, v17
	s_waitcnt lgkmcnt(0)
	s_barrier
	s_and_saveexec_b64 s[22:23], s[20:21]
	s_cbranch_execz .LBB1387_22
; %bb.21:
	v_lshlrev_b32_e32 v21, 1, v0
	v_lshrrev_b32_e32 v22, 4, v0
	v_add_lshl_u32 v21, v22, v21, 2
	ds_read2_b32 v[22:23], v21 offset1:1
	v_mbcnt_lo_u32_b32 v24, -1, 0
	v_mbcnt_hi_u32_b32 v24, -1, v24
	v_and_b32_e32 v25, 15, v24
	v_cmp_ne_u32_e64 s[20:21], 0, v25
	s_waitcnt lgkmcnt(0)
	v_add_u32_e32 v23, v23, v22
	; wave barrier
	s_nop 1
	v_mov_b32_dpp v26, v23 row_shr:1 row_mask:0xf bank_mask:0xf
	v_cndmask_b32_e64 v26, 0, v26, s[20:21]
	v_add_u32_e32 v23, v26, v23
	v_cmp_lt_u32_e64 s[20:21], 1, v25
	s_nop 0
	v_mov_b32_dpp v26, v23 row_shr:2 row_mask:0xf bank_mask:0xf
	v_cndmask_b32_e64 v26, 0, v26, s[20:21]
	v_add_u32_e32 v23, v23, v26
	v_cmp_lt_u32_e64 s[20:21], 3, v25
	;; [unrolled: 5-line block ×3, first 2 shown]
	s_nop 0
	v_mov_b32_dpp v26, v23 row_shr:8 row_mask:0xf bank_mask:0xf
	v_cndmask_b32_e64 v25, 0, v26, s[20:21]
	v_add_u32_e32 v23, v23, v25
	v_bfe_i32 v26, v24, 4, 1
	v_cmp_lt_u32_e64 s[20:21], 31, v24
	v_mov_b32_dpp v25, v23 row_bcast:15 row_mask:0xf bank_mask:0xf
	v_and_b32_e32 v25, v26, v25
	v_add_u32_e32 v23, v23, v25
	v_and_b32_e32 v26, 64, v24
	s_nop 0
	v_mov_b32_dpp v25, v23 row_bcast:31 row_mask:0xf bank_mask:0xf
	v_cndmask_b32_e64 v25, 0, v25, s[20:21]
	v_add_u32_e32 v23, v23, v25
	v_add_u32_e32 v25, -1, v24
	v_cmp_lt_i32_e64 s[20:21], v25, v26
	v_cndmask_b32_e64 v24, v25, v24, s[20:21]
	v_lshlrev_b32_e32 v24, 2, v24
	ds_bpermute_b32 v23, v24, v23
	v_cmp_eq_u32_e64 s[20:21], 0, v0
	s_waitcnt lgkmcnt(0)
	v_add_u32_e32 v22, v23, v22
	v_cndmask_b32_e64 v22, v22, v17, s[20:21]
	ds_write_b32 v21, v22
	; wave barrier
	ds_read_b32 v23, v21 offset:4
	s_waitcnt lgkmcnt(0)
	v_add_u32_e32 v22, v23, v22
	ds_write_b32 v21, v22 offset:4
.LBB1387_22:
	s_or_b64 exec, exec, s[22:23]
	s_load_dwordx2 s[20:21], s[4:5], 0x18
	v_cmp_ne_u32_e64 s[4:5], 0, v0
	v_mov_b32_e32 v22, v17
	s_waitcnt lgkmcnt(0)
	s_barrier
	s_and_saveexec_b64 s[22:23], s[4:5]
	s_cbranch_execz .LBB1387_24
; %bb.23:
	v_add_u32_e32 v21, -1, v0
	v_lshrrev_b32_e32 v22, 5, v21
	v_add_lshl_u32 v21, v22, v21, 2
	ds_read_b32 v22, v21
.LBB1387_24:
	s_or_b64 exec, exec, s[22:23]
	v_mul_u32_u24_e32 v21, 36, v0
	v_mov_b32_e32 v0, v6
	s_and_saveexec_b64 s[22:23], s[4:5]
	s_cbranch_execz .LBB1387_26
; %bb.25:
	s_waitcnt lgkmcnt(0)
	v_add_u32_e32 v0, v22, v6
	v_add_u32_e32 v1, v0, v7
	;; [unrolled: 1-line block ×10, first 2 shown]
	;;#ASMSTART
	;;#ASMEND
.LBB1387_26:
	s_or_b64 exec, exec, s[22:23]
	v_add_u32_e32 v2, v20, v21
	s_waitcnt lgkmcnt(0)
	s_barrier
	ds_write2_b64 v2, v[0:1], v[14:15] offset1:1
	ds_write2_b64 v2, v[10:11], v[12:13] offset0:2 offset1:3
	ds_write_b64 v2, v[16:17] offset:32
	s_waitcnt lgkmcnt(0)
	s_barrier
	ds_read2st64_b32 v[8:9], v20 offset0:2 offset1:4
	ds_read2st64_b32 v[6:7], v20 offset0:6 offset1:8
	;; [unrolled: 1-line block ×4, first 2 shown]
	ds_read_b32 v10, v20 offset:4608
	v_mov_b32_e32 v1, s21
	v_add_co_u32_e64 v0, s[4:5], s20, v20
	v_addc_co_u32_e64 v1, s[4:5], 0, v1, s[4:5]
	s_and_saveexec_b64 s[4:5], vcc
	s_cbranch_execnz .LBB1387_37
; %bb.27:
	s_or_b64 exec, exec, s[4:5]
	s_and_saveexec_b64 s[4:5], s[0:1]
	s_cbranch_execnz .LBB1387_38
.LBB1387_28:
	s_or_b64 exec, exec, s[4:5]
	s_and_saveexec_b64 s[0:1], s[2:3]
	s_cbranch_execnz .LBB1387_39
.LBB1387_29:
	s_or_b64 exec, exec, s[0:1]
	s_and_saveexec_b64 s[0:1], s[18:19]
	s_cbranch_execnz .LBB1387_40
.LBB1387_30:
	s_or_b64 exec, exec, s[0:1]
	s_and_saveexec_b64 s[0:1], s[6:7]
	s_cbranch_execnz .LBB1387_41
.LBB1387_31:
	s_or_b64 exec, exec, s[0:1]
	s_and_saveexec_b64 s[0:1], s[8:9]
	s_cbranch_execnz .LBB1387_42
.LBB1387_32:
	s_or_b64 exec, exec, s[0:1]
	s_and_saveexec_b64 s[0:1], s[10:11]
	s_cbranch_execnz .LBB1387_43
.LBB1387_33:
	s_or_b64 exec, exec, s[0:1]
	s_and_saveexec_b64 s[0:1], s[12:13]
	s_cbranch_execnz .LBB1387_44
.LBB1387_34:
	s_or_b64 exec, exec, s[0:1]
	s_and_saveexec_b64 s[0:1], s[14:15]
	s_cbranch_execnz .LBB1387_45
.LBB1387_35:
	s_or_b64 exec, exec, s[0:1]
	s_and_saveexec_b64 s[0:1], s[16:17]
	s_cbranch_execnz .LBB1387_46
.LBB1387_36:
	s_endpgm
.LBB1387_37:
	ds_read_b32 v11, v20
	s_waitcnt lgkmcnt(0)
	global_store_dword v[0:1], v11, off
	s_or_b64 exec, exec, s[4:5]
	s_and_saveexec_b64 s[4:5], s[0:1]
	s_cbranch_execz .LBB1387_28
.LBB1387_38:
	s_waitcnt lgkmcnt(4)
	global_store_dword v[0:1], v8, off offset:512
	s_or_b64 exec, exec, s[4:5]
	s_and_saveexec_b64 s[0:1], s[2:3]
	s_cbranch_execz .LBB1387_29
.LBB1387_39:
	s_waitcnt lgkmcnt(4)
	global_store_dword v[0:1], v9, off offset:1024
	s_or_b64 exec, exec, s[0:1]
	s_and_saveexec_b64 s[0:1], s[18:19]
	s_cbranch_execz .LBB1387_30
.LBB1387_40:
	s_waitcnt lgkmcnt(3)
	global_store_dword v[0:1], v6, off offset:1536
	s_or_b64 exec, exec, s[0:1]
	s_and_saveexec_b64 s[0:1], s[6:7]
	s_cbranch_execz .LBB1387_31
.LBB1387_41:
	s_waitcnt lgkmcnt(3)
	global_store_dword v[0:1], v7, off offset:2048
	s_or_b64 exec, exec, s[0:1]
	s_and_saveexec_b64 s[0:1], s[8:9]
	s_cbranch_execz .LBB1387_32
.LBB1387_42:
	s_waitcnt lgkmcnt(2)
	global_store_dword v[0:1], v4, off offset:2560
	s_or_b64 exec, exec, s[0:1]
	s_and_saveexec_b64 s[0:1], s[10:11]
	s_cbranch_execz .LBB1387_33
.LBB1387_43:
	s_waitcnt lgkmcnt(2)
	global_store_dword v[0:1], v5, off offset:3072
	s_or_b64 exec, exec, s[0:1]
	s_and_saveexec_b64 s[0:1], s[12:13]
	s_cbranch_execz .LBB1387_34
.LBB1387_44:
	s_waitcnt lgkmcnt(1)
	global_store_dword v[0:1], v2, off offset:3584
	s_or_b64 exec, exec, s[0:1]
	s_and_saveexec_b64 s[0:1], s[14:15]
	s_cbranch_execz .LBB1387_35
.LBB1387_45:
	s_waitcnt lgkmcnt(2)
	v_add_co_u32_e32 v4, vcc, 0x1000, v0
	v_addc_co_u32_e32 v5, vcc, 0, v1, vcc
	s_waitcnt lgkmcnt(1)
	global_store_dword v[4:5], v3, off
	s_or_b64 exec, exec, s[0:1]
	s_and_saveexec_b64 s[0:1], s[16:17]
	s_cbranch_execz .LBB1387_36
.LBB1387_46:
	v_add_co_u32_e32 v0, vcc, 0x1000, v0
	v_addc_co_u32_e32 v1, vcc, 0, v1, vcc
	s_waitcnt lgkmcnt(0)
	global_store_dword v[0:1], v10, off offset:512
	s_endpgm
	.section	.rodata,"a",@progbits
	.p2align	6, 0x0
	.amdhsa_kernel _ZN7rocprim17ROCPRIM_400000_NS6detail17trampoline_kernelINS0_14default_configENS1_20scan_config_selectorIiEEZZNS1_9scan_implILNS1_25lookback_scan_determinismE0ELb0ELb0ES3_N6thrust23THRUST_200600_302600_NS6detail15normal_iteratorINS9_10device_ptrIiEEEESE_iNS9_4plusIvEEiEEDaPvRmT3_T4_T5_mT6_P12ihipStream_tbENKUlT_T0_E_clISt17integral_constantIbLb1EEST_IbLb0EEEEDaSP_SQ_EUlSP_E0_NS1_11comp_targetILNS1_3genE4ELNS1_11target_archE910ELNS1_3gpuE8ELNS1_3repE0EEENS1_30default_config_static_selectorELNS0_4arch9wavefront6targetE1EEEvT1_
		.amdhsa_group_segment_fixed_size 5120
		.amdhsa_private_segment_fixed_size 0
		.amdhsa_kernarg_size 32
		.amdhsa_user_sgpr_count 6
		.amdhsa_user_sgpr_private_segment_buffer 1
		.amdhsa_user_sgpr_dispatch_ptr 0
		.amdhsa_user_sgpr_queue_ptr 0
		.amdhsa_user_sgpr_kernarg_segment_ptr 1
		.amdhsa_user_sgpr_dispatch_id 0
		.amdhsa_user_sgpr_flat_scratch_init 0
		.amdhsa_user_sgpr_kernarg_preload_length 0
		.amdhsa_user_sgpr_kernarg_preload_offset 0
		.amdhsa_user_sgpr_private_segment_size 0
		.amdhsa_uses_dynamic_stack 0
		.amdhsa_system_sgpr_private_segment_wavefront_offset 0
		.amdhsa_system_sgpr_workgroup_id_x 1
		.amdhsa_system_sgpr_workgroup_id_y 0
		.amdhsa_system_sgpr_workgroup_id_z 0
		.amdhsa_system_sgpr_workgroup_info 0
		.amdhsa_system_vgpr_workitem_id 0
		.amdhsa_next_free_vgpr 27
		.amdhsa_next_free_sgpr 24
		.amdhsa_accum_offset 28
		.amdhsa_reserve_vcc 1
		.amdhsa_reserve_flat_scratch 0
		.amdhsa_float_round_mode_32 0
		.amdhsa_float_round_mode_16_64 0
		.amdhsa_float_denorm_mode_32 3
		.amdhsa_float_denorm_mode_16_64 3
		.amdhsa_dx10_clamp 1
		.amdhsa_ieee_mode 1
		.amdhsa_fp16_overflow 0
		.amdhsa_tg_split 0
		.amdhsa_exception_fp_ieee_invalid_op 0
		.amdhsa_exception_fp_denorm_src 0
		.amdhsa_exception_fp_ieee_div_zero 0
		.amdhsa_exception_fp_ieee_overflow 0
		.amdhsa_exception_fp_ieee_underflow 0
		.amdhsa_exception_fp_ieee_inexact 0
		.amdhsa_exception_int_div_zero 0
	.end_amdhsa_kernel
	.section	.text._ZN7rocprim17ROCPRIM_400000_NS6detail17trampoline_kernelINS0_14default_configENS1_20scan_config_selectorIiEEZZNS1_9scan_implILNS1_25lookback_scan_determinismE0ELb0ELb0ES3_N6thrust23THRUST_200600_302600_NS6detail15normal_iteratorINS9_10device_ptrIiEEEESE_iNS9_4plusIvEEiEEDaPvRmT3_T4_T5_mT6_P12ihipStream_tbENKUlT_T0_E_clISt17integral_constantIbLb1EEST_IbLb0EEEEDaSP_SQ_EUlSP_E0_NS1_11comp_targetILNS1_3genE4ELNS1_11target_archE910ELNS1_3gpuE8ELNS1_3repE0EEENS1_30default_config_static_selectorELNS0_4arch9wavefront6targetE1EEEvT1_,"axG",@progbits,_ZN7rocprim17ROCPRIM_400000_NS6detail17trampoline_kernelINS0_14default_configENS1_20scan_config_selectorIiEEZZNS1_9scan_implILNS1_25lookback_scan_determinismE0ELb0ELb0ES3_N6thrust23THRUST_200600_302600_NS6detail15normal_iteratorINS9_10device_ptrIiEEEESE_iNS9_4plusIvEEiEEDaPvRmT3_T4_T5_mT6_P12ihipStream_tbENKUlT_T0_E_clISt17integral_constantIbLb1EEST_IbLb0EEEEDaSP_SQ_EUlSP_E0_NS1_11comp_targetILNS1_3genE4ELNS1_11target_archE910ELNS1_3gpuE8ELNS1_3repE0EEENS1_30default_config_static_selectorELNS0_4arch9wavefront6targetE1EEEvT1_,comdat
.Lfunc_end1387:
	.size	_ZN7rocprim17ROCPRIM_400000_NS6detail17trampoline_kernelINS0_14default_configENS1_20scan_config_selectorIiEEZZNS1_9scan_implILNS1_25lookback_scan_determinismE0ELb0ELb0ES3_N6thrust23THRUST_200600_302600_NS6detail15normal_iteratorINS9_10device_ptrIiEEEESE_iNS9_4plusIvEEiEEDaPvRmT3_T4_T5_mT6_P12ihipStream_tbENKUlT_T0_E_clISt17integral_constantIbLb1EEST_IbLb0EEEEDaSP_SQ_EUlSP_E0_NS1_11comp_targetILNS1_3genE4ELNS1_11target_archE910ELNS1_3gpuE8ELNS1_3repE0EEENS1_30default_config_static_selectorELNS0_4arch9wavefront6targetE1EEEvT1_, .Lfunc_end1387-_ZN7rocprim17ROCPRIM_400000_NS6detail17trampoline_kernelINS0_14default_configENS1_20scan_config_selectorIiEEZZNS1_9scan_implILNS1_25lookback_scan_determinismE0ELb0ELb0ES3_N6thrust23THRUST_200600_302600_NS6detail15normal_iteratorINS9_10device_ptrIiEEEESE_iNS9_4plusIvEEiEEDaPvRmT3_T4_T5_mT6_P12ihipStream_tbENKUlT_T0_E_clISt17integral_constantIbLb1EEST_IbLb0EEEEDaSP_SQ_EUlSP_E0_NS1_11comp_targetILNS1_3genE4ELNS1_11target_archE910ELNS1_3gpuE8ELNS1_3repE0EEENS1_30default_config_static_selectorELNS0_4arch9wavefront6targetE1EEEvT1_
                                        ; -- End function
	.section	.AMDGPU.csdata,"",@progbits
; Kernel info:
; codeLenInByte = 1556
; NumSgprs: 28
; NumVgprs: 27
; NumAgprs: 0
; TotalNumVgprs: 27
; ScratchSize: 0
; MemoryBound: 0
; FloatMode: 240
; IeeeMode: 1
; LDSByteSize: 5120 bytes/workgroup (compile time only)
; SGPRBlocks: 3
; VGPRBlocks: 3
; NumSGPRsForWavesPerEU: 28
; NumVGPRsForWavesPerEU: 27
; AccumOffset: 28
; Occupancy: 6
; WaveLimiterHint : 0
; COMPUTE_PGM_RSRC2:SCRATCH_EN: 0
; COMPUTE_PGM_RSRC2:USER_SGPR: 6
; COMPUTE_PGM_RSRC2:TRAP_HANDLER: 0
; COMPUTE_PGM_RSRC2:TGID_X_EN: 1
; COMPUTE_PGM_RSRC2:TGID_Y_EN: 0
; COMPUTE_PGM_RSRC2:TGID_Z_EN: 0
; COMPUTE_PGM_RSRC2:TIDIG_COMP_CNT: 0
; COMPUTE_PGM_RSRC3_GFX90A:ACCUM_OFFSET: 6
; COMPUTE_PGM_RSRC3_GFX90A:TG_SPLIT: 0
	.section	.text._ZN7rocprim17ROCPRIM_400000_NS6detail17trampoline_kernelINS0_14default_configENS1_20scan_config_selectorIiEEZZNS1_9scan_implILNS1_25lookback_scan_determinismE0ELb0ELb0ES3_N6thrust23THRUST_200600_302600_NS6detail15normal_iteratorINS9_10device_ptrIiEEEESE_iNS9_4plusIvEEiEEDaPvRmT3_T4_T5_mT6_P12ihipStream_tbENKUlT_T0_E_clISt17integral_constantIbLb1EEST_IbLb0EEEEDaSP_SQ_EUlSP_E0_NS1_11comp_targetILNS1_3genE3ELNS1_11target_archE908ELNS1_3gpuE7ELNS1_3repE0EEENS1_30default_config_static_selectorELNS0_4arch9wavefront6targetE1EEEvT1_,"axG",@progbits,_ZN7rocprim17ROCPRIM_400000_NS6detail17trampoline_kernelINS0_14default_configENS1_20scan_config_selectorIiEEZZNS1_9scan_implILNS1_25lookback_scan_determinismE0ELb0ELb0ES3_N6thrust23THRUST_200600_302600_NS6detail15normal_iteratorINS9_10device_ptrIiEEEESE_iNS9_4plusIvEEiEEDaPvRmT3_T4_T5_mT6_P12ihipStream_tbENKUlT_T0_E_clISt17integral_constantIbLb1EEST_IbLb0EEEEDaSP_SQ_EUlSP_E0_NS1_11comp_targetILNS1_3genE3ELNS1_11target_archE908ELNS1_3gpuE7ELNS1_3repE0EEENS1_30default_config_static_selectorELNS0_4arch9wavefront6targetE1EEEvT1_,comdat
	.protected	_ZN7rocprim17ROCPRIM_400000_NS6detail17trampoline_kernelINS0_14default_configENS1_20scan_config_selectorIiEEZZNS1_9scan_implILNS1_25lookback_scan_determinismE0ELb0ELb0ES3_N6thrust23THRUST_200600_302600_NS6detail15normal_iteratorINS9_10device_ptrIiEEEESE_iNS9_4plusIvEEiEEDaPvRmT3_T4_T5_mT6_P12ihipStream_tbENKUlT_T0_E_clISt17integral_constantIbLb1EEST_IbLb0EEEEDaSP_SQ_EUlSP_E0_NS1_11comp_targetILNS1_3genE3ELNS1_11target_archE908ELNS1_3gpuE7ELNS1_3repE0EEENS1_30default_config_static_selectorELNS0_4arch9wavefront6targetE1EEEvT1_ ; -- Begin function _ZN7rocprim17ROCPRIM_400000_NS6detail17trampoline_kernelINS0_14default_configENS1_20scan_config_selectorIiEEZZNS1_9scan_implILNS1_25lookback_scan_determinismE0ELb0ELb0ES3_N6thrust23THRUST_200600_302600_NS6detail15normal_iteratorINS9_10device_ptrIiEEEESE_iNS9_4plusIvEEiEEDaPvRmT3_T4_T5_mT6_P12ihipStream_tbENKUlT_T0_E_clISt17integral_constantIbLb1EEST_IbLb0EEEEDaSP_SQ_EUlSP_E0_NS1_11comp_targetILNS1_3genE3ELNS1_11target_archE908ELNS1_3gpuE7ELNS1_3repE0EEENS1_30default_config_static_selectorELNS0_4arch9wavefront6targetE1EEEvT1_
	.globl	_ZN7rocprim17ROCPRIM_400000_NS6detail17trampoline_kernelINS0_14default_configENS1_20scan_config_selectorIiEEZZNS1_9scan_implILNS1_25lookback_scan_determinismE0ELb0ELb0ES3_N6thrust23THRUST_200600_302600_NS6detail15normal_iteratorINS9_10device_ptrIiEEEESE_iNS9_4plusIvEEiEEDaPvRmT3_T4_T5_mT6_P12ihipStream_tbENKUlT_T0_E_clISt17integral_constantIbLb1EEST_IbLb0EEEEDaSP_SQ_EUlSP_E0_NS1_11comp_targetILNS1_3genE3ELNS1_11target_archE908ELNS1_3gpuE7ELNS1_3repE0EEENS1_30default_config_static_selectorELNS0_4arch9wavefront6targetE1EEEvT1_
	.p2align	8
	.type	_ZN7rocprim17ROCPRIM_400000_NS6detail17trampoline_kernelINS0_14default_configENS1_20scan_config_selectorIiEEZZNS1_9scan_implILNS1_25lookback_scan_determinismE0ELb0ELb0ES3_N6thrust23THRUST_200600_302600_NS6detail15normal_iteratorINS9_10device_ptrIiEEEESE_iNS9_4plusIvEEiEEDaPvRmT3_T4_T5_mT6_P12ihipStream_tbENKUlT_T0_E_clISt17integral_constantIbLb1EEST_IbLb0EEEEDaSP_SQ_EUlSP_E0_NS1_11comp_targetILNS1_3genE3ELNS1_11target_archE908ELNS1_3gpuE7ELNS1_3repE0EEENS1_30default_config_static_selectorELNS0_4arch9wavefront6targetE1EEEvT1_,@function
_ZN7rocprim17ROCPRIM_400000_NS6detail17trampoline_kernelINS0_14default_configENS1_20scan_config_selectorIiEEZZNS1_9scan_implILNS1_25lookback_scan_determinismE0ELb0ELb0ES3_N6thrust23THRUST_200600_302600_NS6detail15normal_iteratorINS9_10device_ptrIiEEEESE_iNS9_4plusIvEEiEEDaPvRmT3_T4_T5_mT6_P12ihipStream_tbENKUlT_T0_E_clISt17integral_constantIbLb1EEST_IbLb0EEEEDaSP_SQ_EUlSP_E0_NS1_11comp_targetILNS1_3genE3ELNS1_11target_archE908ELNS1_3gpuE7ELNS1_3repE0EEENS1_30default_config_static_selectorELNS0_4arch9wavefront6targetE1EEEvT1_: ; @_ZN7rocprim17ROCPRIM_400000_NS6detail17trampoline_kernelINS0_14default_configENS1_20scan_config_selectorIiEEZZNS1_9scan_implILNS1_25lookback_scan_determinismE0ELb0ELb0ES3_N6thrust23THRUST_200600_302600_NS6detail15normal_iteratorINS9_10device_ptrIiEEEESE_iNS9_4plusIvEEiEEDaPvRmT3_T4_T5_mT6_P12ihipStream_tbENKUlT_T0_E_clISt17integral_constantIbLb1EEST_IbLb0EEEEDaSP_SQ_EUlSP_E0_NS1_11comp_targetILNS1_3genE3ELNS1_11target_archE908ELNS1_3gpuE7ELNS1_3repE0EEENS1_30default_config_static_selectorELNS0_4arch9wavefront6targetE1EEEvT1_
; %bb.0:
	.section	.rodata,"a",@progbits
	.p2align	6, 0x0
	.amdhsa_kernel _ZN7rocprim17ROCPRIM_400000_NS6detail17trampoline_kernelINS0_14default_configENS1_20scan_config_selectorIiEEZZNS1_9scan_implILNS1_25lookback_scan_determinismE0ELb0ELb0ES3_N6thrust23THRUST_200600_302600_NS6detail15normal_iteratorINS9_10device_ptrIiEEEESE_iNS9_4plusIvEEiEEDaPvRmT3_T4_T5_mT6_P12ihipStream_tbENKUlT_T0_E_clISt17integral_constantIbLb1EEST_IbLb0EEEEDaSP_SQ_EUlSP_E0_NS1_11comp_targetILNS1_3genE3ELNS1_11target_archE908ELNS1_3gpuE7ELNS1_3repE0EEENS1_30default_config_static_selectorELNS0_4arch9wavefront6targetE1EEEvT1_
		.amdhsa_group_segment_fixed_size 0
		.amdhsa_private_segment_fixed_size 0
		.amdhsa_kernarg_size 32
		.amdhsa_user_sgpr_count 6
		.amdhsa_user_sgpr_private_segment_buffer 1
		.amdhsa_user_sgpr_dispatch_ptr 0
		.amdhsa_user_sgpr_queue_ptr 0
		.amdhsa_user_sgpr_kernarg_segment_ptr 1
		.amdhsa_user_sgpr_dispatch_id 0
		.amdhsa_user_sgpr_flat_scratch_init 0
		.amdhsa_user_sgpr_kernarg_preload_length 0
		.amdhsa_user_sgpr_kernarg_preload_offset 0
		.amdhsa_user_sgpr_private_segment_size 0
		.amdhsa_uses_dynamic_stack 0
		.amdhsa_system_sgpr_private_segment_wavefront_offset 0
		.amdhsa_system_sgpr_workgroup_id_x 1
		.amdhsa_system_sgpr_workgroup_id_y 0
		.amdhsa_system_sgpr_workgroup_id_z 0
		.amdhsa_system_sgpr_workgroup_info 0
		.amdhsa_system_vgpr_workitem_id 0
		.amdhsa_next_free_vgpr 1
		.amdhsa_next_free_sgpr 0
		.amdhsa_accum_offset 4
		.amdhsa_reserve_vcc 0
		.amdhsa_reserve_flat_scratch 0
		.amdhsa_float_round_mode_32 0
		.amdhsa_float_round_mode_16_64 0
		.amdhsa_float_denorm_mode_32 3
		.amdhsa_float_denorm_mode_16_64 3
		.amdhsa_dx10_clamp 1
		.amdhsa_ieee_mode 1
		.amdhsa_fp16_overflow 0
		.amdhsa_tg_split 0
		.amdhsa_exception_fp_ieee_invalid_op 0
		.amdhsa_exception_fp_denorm_src 0
		.amdhsa_exception_fp_ieee_div_zero 0
		.amdhsa_exception_fp_ieee_overflow 0
		.amdhsa_exception_fp_ieee_underflow 0
		.amdhsa_exception_fp_ieee_inexact 0
		.amdhsa_exception_int_div_zero 0
	.end_amdhsa_kernel
	.section	.text._ZN7rocprim17ROCPRIM_400000_NS6detail17trampoline_kernelINS0_14default_configENS1_20scan_config_selectorIiEEZZNS1_9scan_implILNS1_25lookback_scan_determinismE0ELb0ELb0ES3_N6thrust23THRUST_200600_302600_NS6detail15normal_iteratorINS9_10device_ptrIiEEEESE_iNS9_4plusIvEEiEEDaPvRmT3_T4_T5_mT6_P12ihipStream_tbENKUlT_T0_E_clISt17integral_constantIbLb1EEST_IbLb0EEEEDaSP_SQ_EUlSP_E0_NS1_11comp_targetILNS1_3genE3ELNS1_11target_archE908ELNS1_3gpuE7ELNS1_3repE0EEENS1_30default_config_static_selectorELNS0_4arch9wavefront6targetE1EEEvT1_,"axG",@progbits,_ZN7rocprim17ROCPRIM_400000_NS6detail17trampoline_kernelINS0_14default_configENS1_20scan_config_selectorIiEEZZNS1_9scan_implILNS1_25lookback_scan_determinismE0ELb0ELb0ES3_N6thrust23THRUST_200600_302600_NS6detail15normal_iteratorINS9_10device_ptrIiEEEESE_iNS9_4plusIvEEiEEDaPvRmT3_T4_T5_mT6_P12ihipStream_tbENKUlT_T0_E_clISt17integral_constantIbLb1EEST_IbLb0EEEEDaSP_SQ_EUlSP_E0_NS1_11comp_targetILNS1_3genE3ELNS1_11target_archE908ELNS1_3gpuE7ELNS1_3repE0EEENS1_30default_config_static_selectorELNS0_4arch9wavefront6targetE1EEEvT1_,comdat
.Lfunc_end1388:
	.size	_ZN7rocprim17ROCPRIM_400000_NS6detail17trampoline_kernelINS0_14default_configENS1_20scan_config_selectorIiEEZZNS1_9scan_implILNS1_25lookback_scan_determinismE0ELb0ELb0ES3_N6thrust23THRUST_200600_302600_NS6detail15normal_iteratorINS9_10device_ptrIiEEEESE_iNS9_4plusIvEEiEEDaPvRmT3_T4_T5_mT6_P12ihipStream_tbENKUlT_T0_E_clISt17integral_constantIbLb1EEST_IbLb0EEEEDaSP_SQ_EUlSP_E0_NS1_11comp_targetILNS1_3genE3ELNS1_11target_archE908ELNS1_3gpuE7ELNS1_3repE0EEENS1_30default_config_static_selectorELNS0_4arch9wavefront6targetE1EEEvT1_, .Lfunc_end1388-_ZN7rocprim17ROCPRIM_400000_NS6detail17trampoline_kernelINS0_14default_configENS1_20scan_config_selectorIiEEZZNS1_9scan_implILNS1_25lookback_scan_determinismE0ELb0ELb0ES3_N6thrust23THRUST_200600_302600_NS6detail15normal_iteratorINS9_10device_ptrIiEEEESE_iNS9_4plusIvEEiEEDaPvRmT3_T4_T5_mT6_P12ihipStream_tbENKUlT_T0_E_clISt17integral_constantIbLb1EEST_IbLb0EEEEDaSP_SQ_EUlSP_E0_NS1_11comp_targetILNS1_3genE3ELNS1_11target_archE908ELNS1_3gpuE7ELNS1_3repE0EEENS1_30default_config_static_selectorELNS0_4arch9wavefront6targetE1EEEvT1_
                                        ; -- End function
	.section	.AMDGPU.csdata,"",@progbits
; Kernel info:
; codeLenInByte = 0
; NumSgprs: 4
; NumVgprs: 0
; NumAgprs: 0
; TotalNumVgprs: 0
; ScratchSize: 0
; MemoryBound: 0
; FloatMode: 240
; IeeeMode: 1
; LDSByteSize: 0 bytes/workgroup (compile time only)
; SGPRBlocks: 0
; VGPRBlocks: 0
; NumSGPRsForWavesPerEU: 4
; NumVGPRsForWavesPerEU: 1
; AccumOffset: 4
; Occupancy: 8
; WaveLimiterHint : 0
; COMPUTE_PGM_RSRC2:SCRATCH_EN: 0
; COMPUTE_PGM_RSRC2:USER_SGPR: 6
; COMPUTE_PGM_RSRC2:TRAP_HANDLER: 0
; COMPUTE_PGM_RSRC2:TGID_X_EN: 1
; COMPUTE_PGM_RSRC2:TGID_Y_EN: 0
; COMPUTE_PGM_RSRC2:TGID_Z_EN: 0
; COMPUTE_PGM_RSRC2:TIDIG_COMP_CNT: 0
; COMPUTE_PGM_RSRC3_GFX90A:ACCUM_OFFSET: 0
; COMPUTE_PGM_RSRC3_GFX90A:TG_SPLIT: 0
	.section	.text._ZN7rocprim17ROCPRIM_400000_NS6detail17trampoline_kernelINS0_14default_configENS1_20scan_config_selectorIiEEZZNS1_9scan_implILNS1_25lookback_scan_determinismE0ELb0ELb0ES3_N6thrust23THRUST_200600_302600_NS6detail15normal_iteratorINS9_10device_ptrIiEEEESE_iNS9_4plusIvEEiEEDaPvRmT3_T4_T5_mT6_P12ihipStream_tbENKUlT_T0_E_clISt17integral_constantIbLb1EEST_IbLb0EEEEDaSP_SQ_EUlSP_E0_NS1_11comp_targetILNS1_3genE2ELNS1_11target_archE906ELNS1_3gpuE6ELNS1_3repE0EEENS1_30default_config_static_selectorELNS0_4arch9wavefront6targetE1EEEvT1_,"axG",@progbits,_ZN7rocprim17ROCPRIM_400000_NS6detail17trampoline_kernelINS0_14default_configENS1_20scan_config_selectorIiEEZZNS1_9scan_implILNS1_25lookback_scan_determinismE0ELb0ELb0ES3_N6thrust23THRUST_200600_302600_NS6detail15normal_iteratorINS9_10device_ptrIiEEEESE_iNS9_4plusIvEEiEEDaPvRmT3_T4_T5_mT6_P12ihipStream_tbENKUlT_T0_E_clISt17integral_constantIbLb1EEST_IbLb0EEEEDaSP_SQ_EUlSP_E0_NS1_11comp_targetILNS1_3genE2ELNS1_11target_archE906ELNS1_3gpuE6ELNS1_3repE0EEENS1_30default_config_static_selectorELNS0_4arch9wavefront6targetE1EEEvT1_,comdat
	.protected	_ZN7rocprim17ROCPRIM_400000_NS6detail17trampoline_kernelINS0_14default_configENS1_20scan_config_selectorIiEEZZNS1_9scan_implILNS1_25lookback_scan_determinismE0ELb0ELb0ES3_N6thrust23THRUST_200600_302600_NS6detail15normal_iteratorINS9_10device_ptrIiEEEESE_iNS9_4plusIvEEiEEDaPvRmT3_T4_T5_mT6_P12ihipStream_tbENKUlT_T0_E_clISt17integral_constantIbLb1EEST_IbLb0EEEEDaSP_SQ_EUlSP_E0_NS1_11comp_targetILNS1_3genE2ELNS1_11target_archE906ELNS1_3gpuE6ELNS1_3repE0EEENS1_30default_config_static_selectorELNS0_4arch9wavefront6targetE1EEEvT1_ ; -- Begin function _ZN7rocprim17ROCPRIM_400000_NS6detail17trampoline_kernelINS0_14default_configENS1_20scan_config_selectorIiEEZZNS1_9scan_implILNS1_25lookback_scan_determinismE0ELb0ELb0ES3_N6thrust23THRUST_200600_302600_NS6detail15normal_iteratorINS9_10device_ptrIiEEEESE_iNS9_4plusIvEEiEEDaPvRmT3_T4_T5_mT6_P12ihipStream_tbENKUlT_T0_E_clISt17integral_constantIbLb1EEST_IbLb0EEEEDaSP_SQ_EUlSP_E0_NS1_11comp_targetILNS1_3genE2ELNS1_11target_archE906ELNS1_3gpuE6ELNS1_3repE0EEENS1_30default_config_static_selectorELNS0_4arch9wavefront6targetE1EEEvT1_
	.globl	_ZN7rocprim17ROCPRIM_400000_NS6detail17trampoline_kernelINS0_14default_configENS1_20scan_config_selectorIiEEZZNS1_9scan_implILNS1_25lookback_scan_determinismE0ELb0ELb0ES3_N6thrust23THRUST_200600_302600_NS6detail15normal_iteratorINS9_10device_ptrIiEEEESE_iNS9_4plusIvEEiEEDaPvRmT3_T4_T5_mT6_P12ihipStream_tbENKUlT_T0_E_clISt17integral_constantIbLb1EEST_IbLb0EEEEDaSP_SQ_EUlSP_E0_NS1_11comp_targetILNS1_3genE2ELNS1_11target_archE906ELNS1_3gpuE6ELNS1_3repE0EEENS1_30default_config_static_selectorELNS0_4arch9wavefront6targetE1EEEvT1_
	.p2align	8
	.type	_ZN7rocprim17ROCPRIM_400000_NS6detail17trampoline_kernelINS0_14default_configENS1_20scan_config_selectorIiEEZZNS1_9scan_implILNS1_25lookback_scan_determinismE0ELb0ELb0ES3_N6thrust23THRUST_200600_302600_NS6detail15normal_iteratorINS9_10device_ptrIiEEEESE_iNS9_4plusIvEEiEEDaPvRmT3_T4_T5_mT6_P12ihipStream_tbENKUlT_T0_E_clISt17integral_constantIbLb1EEST_IbLb0EEEEDaSP_SQ_EUlSP_E0_NS1_11comp_targetILNS1_3genE2ELNS1_11target_archE906ELNS1_3gpuE6ELNS1_3repE0EEENS1_30default_config_static_selectorELNS0_4arch9wavefront6targetE1EEEvT1_,@function
_ZN7rocprim17ROCPRIM_400000_NS6detail17trampoline_kernelINS0_14default_configENS1_20scan_config_selectorIiEEZZNS1_9scan_implILNS1_25lookback_scan_determinismE0ELb0ELb0ES3_N6thrust23THRUST_200600_302600_NS6detail15normal_iteratorINS9_10device_ptrIiEEEESE_iNS9_4plusIvEEiEEDaPvRmT3_T4_T5_mT6_P12ihipStream_tbENKUlT_T0_E_clISt17integral_constantIbLb1EEST_IbLb0EEEEDaSP_SQ_EUlSP_E0_NS1_11comp_targetILNS1_3genE2ELNS1_11target_archE906ELNS1_3gpuE6ELNS1_3repE0EEENS1_30default_config_static_selectorELNS0_4arch9wavefront6targetE1EEEvT1_: ; @_ZN7rocprim17ROCPRIM_400000_NS6detail17trampoline_kernelINS0_14default_configENS1_20scan_config_selectorIiEEZZNS1_9scan_implILNS1_25lookback_scan_determinismE0ELb0ELb0ES3_N6thrust23THRUST_200600_302600_NS6detail15normal_iteratorINS9_10device_ptrIiEEEESE_iNS9_4plusIvEEiEEDaPvRmT3_T4_T5_mT6_P12ihipStream_tbENKUlT_T0_E_clISt17integral_constantIbLb1EEST_IbLb0EEEEDaSP_SQ_EUlSP_E0_NS1_11comp_targetILNS1_3genE2ELNS1_11target_archE906ELNS1_3gpuE6ELNS1_3repE0EEENS1_30default_config_static_selectorELNS0_4arch9wavefront6targetE1EEEvT1_
; %bb.0:
	.section	.rodata,"a",@progbits
	.p2align	6, 0x0
	.amdhsa_kernel _ZN7rocprim17ROCPRIM_400000_NS6detail17trampoline_kernelINS0_14default_configENS1_20scan_config_selectorIiEEZZNS1_9scan_implILNS1_25lookback_scan_determinismE0ELb0ELb0ES3_N6thrust23THRUST_200600_302600_NS6detail15normal_iteratorINS9_10device_ptrIiEEEESE_iNS9_4plusIvEEiEEDaPvRmT3_T4_T5_mT6_P12ihipStream_tbENKUlT_T0_E_clISt17integral_constantIbLb1EEST_IbLb0EEEEDaSP_SQ_EUlSP_E0_NS1_11comp_targetILNS1_3genE2ELNS1_11target_archE906ELNS1_3gpuE6ELNS1_3repE0EEENS1_30default_config_static_selectorELNS0_4arch9wavefront6targetE1EEEvT1_
		.amdhsa_group_segment_fixed_size 0
		.amdhsa_private_segment_fixed_size 0
		.amdhsa_kernarg_size 32
		.amdhsa_user_sgpr_count 6
		.amdhsa_user_sgpr_private_segment_buffer 1
		.amdhsa_user_sgpr_dispatch_ptr 0
		.amdhsa_user_sgpr_queue_ptr 0
		.amdhsa_user_sgpr_kernarg_segment_ptr 1
		.amdhsa_user_sgpr_dispatch_id 0
		.amdhsa_user_sgpr_flat_scratch_init 0
		.amdhsa_user_sgpr_kernarg_preload_length 0
		.amdhsa_user_sgpr_kernarg_preload_offset 0
		.amdhsa_user_sgpr_private_segment_size 0
		.amdhsa_uses_dynamic_stack 0
		.amdhsa_system_sgpr_private_segment_wavefront_offset 0
		.amdhsa_system_sgpr_workgroup_id_x 1
		.amdhsa_system_sgpr_workgroup_id_y 0
		.amdhsa_system_sgpr_workgroup_id_z 0
		.amdhsa_system_sgpr_workgroup_info 0
		.amdhsa_system_vgpr_workitem_id 0
		.amdhsa_next_free_vgpr 1
		.amdhsa_next_free_sgpr 0
		.amdhsa_accum_offset 4
		.amdhsa_reserve_vcc 0
		.amdhsa_reserve_flat_scratch 0
		.amdhsa_float_round_mode_32 0
		.amdhsa_float_round_mode_16_64 0
		.amdhsa_float_denorm_mode_32 3
		.amdhsa_float_denorm_mode_16_64 3
		.amdhsa_dx10_clamp 1
		.amdhsa_ieee_mode 1
		.amdhsa_fp16_overflow 0
		.amdhsa_tg_split 0
		.amdhsa_exception_fp_ieee_invalid_op 0
		.amdhsa_exception_fp_denorm_src 0
		.amdhsa_exception_fp_ieee_div_zero 0
		.amdhsa_exception_fp_ieee_overflow 0
		.amdhsa_exception_fp_ieee_underflow 0
		.amdhsa_exception_fp_ieee_inexact 0
		.amdhsa_exception_int_div_zero 0
	.end_amdhsa_kernel
	.section	.text._ZN7rocprim17ROCPRIM_400000_NS6detail17trampoline_kernelINS0_14default_configENS1_20scan_config_selectorIiEEZZNS1_9scan_implILNS1_25lookback_scan_determinismE0ELb0ELb0ES3_N6thrust23THRUST_200600_302600_NS6detail15normal_iteratorINS9_10device_ptrIiEEEESE_iNS9_4plusIvEEiEEDaPvRmT3_T4_T5_mT6_P12ihipStream_tbENKUlT_T0_E_clISt17integral_constantIbLb1EEST_IbLb0EEEEDaSP_SQ_EUlSP_E0_NS1_11comp_targetILNS1_3genE2ELNS1_11target_archE906ELNS1_3gpuE6ELNS1_3repE0EEENS1_30default_config_static_selectorELNS0_4arch9wavefront6targetE1EEEvT1_,"axG",@progbits,_ZN7rocprim17ROCPRIM_400000_NS6detail17trampoline_kernelINS0_14default_configENS1_20scan_config_selectorIiEEZZNS1_9scan_implILNS1_25lookback_scan_determinismE0ELb0ELb0ES3_N6thrust23THRUST_200600_302600_NS6detail15normal_iteratorINS9_10device_ptrIiEEEESE_iNS9_4plusIvEEiEEDaPvRmT3_T4_T5_mT6_P12ihipStream_tbENKUlT_T0_E_clISt17integral_constantIbLb1EEST_IbLb0EEEEDaSP_SQ_EUlSP_E0_NS1_11comp_targetILNS1_3genE2ELNS1_11target_archE906ELNS1_3gpuE6ELNS1_3repE0EEENS1_30default_config_static_selectorELNS0_4arch9wavefront6targetE1EEEvT1_,comdat
.Lfunc_end1389:
	.size	_ZN7rocprim17ROCPRIM_400000_NS6detail17trampoline_kernelINS0_14default_configENS1_20scan_config_selectorIiEEZZNS1_9scan_implILNS1_25lookback_scan_determinismE0ELb0ELb0ES3_N6thrust23THRUST_200600_302600_NS6detail15normal_iteratorINS9_10device_ptrIiEEEESE_iNS9_4plusIvEEiEEDaPvRmT3_T4_T5_mT6_P12ihipStream_tbENKUlT_T0_E_clISt17integral_constantIbLb1EEST_IbLb0EEEEDaSP_SQ_EUlSP_E0_NS1_11comp_targetILNS1_3genE2ELNS1_11target_archE906ELNS1_3gpuE6ELNS1_3repE0EEENS1_30default_config_static_selectorELNS0_4arch9wavefront6targetE1EEEvT1_, .Lfunc_end1389-_ZN7rocprim17ROCPRIM_400000_NS6detail17trampoline_kernelINS0_14default_configENS1_20scan_config_selectorIiEEZZNS1_9scan_implILNS1_25lookback_scan_determinismE0ELb0ELb0ES3_N6thrust23THRUST_200600_302600_NS6detail15normal_iteratorINS9_10device_ptrIiEEEESE_iNS9_4plusIvEEiEEDaPvRmT3_T4_T5_mT6_P12ihipStream_tbENKUlT_T0_E_clISt17integral_constantIbLb1EEST_IbLb0EEEEDaSP_SQ_EUlSP_E0_NS1_11comp_targetILNS1_3genE2ELNS1_11target_archE906ELNS1_3gpuE6ELNS1_3repE0EEENS1_30default_config_static_selectorELNS0_4arch9wavefront6targetE1EEEvT1_
                                        ; -- End function
	.section	.AMDGPU.csdata,"",@progbits
; Kernel info:
; codeLenInByte = 0
; NumSgprs: 4
; NumVgprs: 0
; NumAgprs: 0
; TotalNumVgprs: 0
; ScratchSize: 0
; MemoryBound: 0
; FloatMode: 240
; IeeeMode: 1
; LDSByteSize: 0 bytes/workgroup (compile time only)
; SGPRBlocks: 0
; VGPRBlocks: 0
; NumSGPRsForWavesPerEU: 4
; NumVGPRsForWavesPerEU: 1
; AccumOffset: 4
; Occupancy: 8
; WaveLimiterHint : 0
; COMPUTE_PGM_RSRC2:SCRATCH_EN: 0
; COMPUTE_PGM_RSRC2:USER_SGPR: 6
; COMPUTE_PGM_RSRC2:TRAP_HANDLER: 0
; COMPUTE_PGM_RSRC2:TGID_X_EN: 1
; COMPUTE_PGM_RSRC2:TGID_Y_EN: 0
; COMPUTE_PGM_RSRC2:TGID_Z_EN: 0
; COMPUTE_PGM_RSRC2:TIDIG_COMP_CNT: 0
; COMPUTE_PGM_RSRC3_GFX90A:ACCUM_OFFSET: 0
; COMPUTE_PGM_RSRC3_GFX90A:TG_SPLIT: 0
	.section	.text._ZN7rocprim17ROCPRIM_400000_NS6detail17trampoline_kernelINS0_14default_configENS1_20scan_config_selectorIiEEZZNS1_9scan_implILNS1_25lookback_scan_determinismE0ELb0ELb0ES3_N6thrust23THRUST_200600_302600_NS6detail15normal_iteratorINS9_10device_ptrIiEEEESE_iNS9_4plusIvEEiEEDaPvRmT3_T4_T5_mT6_P12ihipStream_tbENKUlT_T0_E_clISt17integral_constantIbLb1EEST_IbLb0EEEEDaSP_SQ_EUlSP_E0_NS1_11comp_targetILNS1_3genE10ELNS1_11target_archE1201ELNS1_3gpuE5ELNS1_3repE0EEENS1_30default_config_static_selectorELNS0_4arch9wavefront6targetE1EEEvT1_,"axG",@progbits,_ZN7rocprim17ROCPRIM_400000_NS6detail17trampoline_kernelINS0_14default_configENS1_20scan_config_selectorIiEEZZNS1_9scan_implILNS1_25lookback_scan_determinismE0ELb0ELb0ES3_N6thrust23THRUST_200600_302600_NS6detail15normal_iteratorINS9_10device_ptrIiEEEESE_iNS9_4plusIvEEiEEDaPvRmT3_T4_T5_mT6_P12ihipStream_tbENKUlT_T0_E_clISt17integral_constantIbLb1EEST_IbLb0EEEEDaSP_SQ_EUlSP_E0_NS1_11comp_targetILNS1_3genE10ELNS1_11target_archE1201ELNS1_3gpuE5ELNS1_3repE0EEENS1_30default_config_static_selectorELNS0_4arch9wavefront6targetE1EEEvT1_,comdat
	.protected	_ZN7rocprim17ROCPRIM_400000_NS6detail17trampoline_kernelINS0_14default_configENS1_20scan_config_selectorIiEEZZNS1_9scan_implILNS1_25lookback_scan_determinismE0ELb0ELb0ES3_N6thrust23THRUST_200600_302600_NS6detail15normal_iteratorINS9_10device_ptrIiEEEESE_iNS9_4plusIvEEiEEDaPvRmT3_T4_T5_mT6_P12ihipStream_tbENKUlT_T0_E_clISt17integral_constantIbLb1EEST_IbLb0EEEEDaSP_SQ_EUlSP_E0_NS1_11comp_targetILNS1_3genE10ELNS1_11target_archE1201ELNS1_3gpuE5ELNS1_3repE0EEENS1_30default_config_static_selectorELNS0_4arch9wavefront6targetE1EEEvT1_ ; -- Begin function _ZN7rocprim17ROCPRIM_400000_NS6detail17trampoline_kernelINS0_14default_configENS1_20scan_config_selectorIiEEZZNS1_9scan_implILNS1_25lookback_scan_determinismE0ELb0ELb0ES3_N6thrust23THRUST_200600_302600_NS6detail15normal_iteratorINS9_10device_ptrIiEEEESE_iNS9_4plusIvEEiEEDaPvRmT3_T4_T5_mT6_P12ihipStream_tbENKUlT_T0_E_clISt17integral_constantIbLb1EEST_IbLb0EEEEDaSP_SQ_EUlSP_E0_NS1_11comp_targetILNS1_3genE10ELNS1_11target_archE1201ELNS1_3gpuE5ELNS1_3repE0EEENS1_30default_config_static_selectorELNS0_4arch9wavefront6targetE1EEEvT1_
	.globl	_ZN7rocprim17ROCPRIM_400000_NS6detail17trampoline_kernelINS0_14default_configENS1_20scan_config_selectorIiEEZZNS1_9scan_implILNS1_25lookback_scan_determinismE0ELb0ELb0ES3_N6thrust23THRUST_200600_302600_NS6detail15normal_iteratorINS9_10device_ptrIiEEEESE_iNS9_4plusIvEEiEEDaPvRmT3_T4_T5_mT6_P12ihipStream_tbENKUlT_T0_E_clISt17integral_constantIbLb1EEST_IbLb0EEEEDaSP_SQ_EUlSP_E0_NS1_11comp_targetILNS1_3genE10ELNS1_11target_archE1201ELNS1_3gpuE5ELNS1_3repE0EEENS1_30default_config_static_selectorELNS0_4arch9wavefront6targetE1EEEvT1_
	.p2align	8
	.type	_ZN7rocprim17ROCPRIM_400000_NS6detail17trampoline_kernelINS0_14default_configENS1_20scan_config_selectorIiEEZZNS1_9scan_implILNS1_25lookback_scan_determinismE0ELb0ELb0ES3_N6thrust23THRUST_200600_302600_NS6detail15normal_iteratorINS9_10device_ptrIiEEEESE_iNS9_4plusIvEEiEEDaPvRmT3_T4_T5_mT6_P12ihipStream_tbENKUlT_T0_E_clISt17integral_constantIbLb1EEST_IbLb0EEEEDaSP_SQ_EUlSP_E0_NS1_11comp_targetILNS1_3genE10ELNS1_11target_archE1201ELNS1_3gpuE5ELNS1_3repE0EEENS1_30default_config_static_selectorELNS0_4arch9wavefront6targetE1EEEvT1_,@function
_ZN7rocprim17ROCPRIM_400000_NS6detail17trampoline_kernelINS0_14default_configENS1_20scan_config_selectorIiEEZZNS1_9scan_implILNS1_25lookback_scan_determinismE0ELb0ELb0ES3_N6thrust23THRUST_200600_302600_NS6detail15normal_iteratorINS9_10device_ptrIiEEEESE_iNS9_4plusIvEEiEEDaPvRmT3_T4_T5_mT6_P12ihipStream_tbENKUlT_T0_E_clISt17integral_constantIbLb1EEST_IbLb0EEEEDaSP_SQ_EUlSP_E0_NS1_11comp_targetILNS1_3genE10ELNS1_11target_archE1201ELNS1_3gpuE5ELNS1_3repE0EEENS1_30default_config_static_selectorELNS0_4arch9wavefront6targetE1EEEvT1_: ; @_ZN7rocprim17ROCPRIM_400000_NS6detail17trampoline_kernelINS0_14default_configENS1_20scan_config_selectorIiEEZZNS1_9scan_implILNS1_25lookback_scan_determinismE0ELb0ELb0ES3_N6thrust23THRUST_200600_302600_NS6detail15normal_iteratorINS9_10device_ptrIiEEEESE_iNS9_4plusIvEEiEEDaPvRmT3_T4_T5_mT6_P12ihipStream_tbENKUlT_T0_E_clISt17integral_constantIbLb1EEST_IbLb0EEEEDaSP_SQ_EUlSP_E0_NS1_11comp_targetILNS1_3genE10ELNS1_11target_archE1201ELNS1_3gpuE5ELNS1_3repE0EEENS1_30default_config_static_selectorELNS0_4arch9wavefront6targetE1EEEvT1_
; %bb.0:
	.section	.rodata,"a",@progbits
	.p2align	6, 0x0
	.amdhsa_kernel _ZN7rocprim17ROCPRIM_400000_NS6detail17trampoline_kernelINS0_14default_configENS1_20scan_config_selectorIiEEZZNS1_9scan_implILNS1_25lookback_scan_determinismE0ELb0ELb0ES3_N6thrust23THRUST_200600_302600_NS6detail15normal_iteratorINS9_10device_ptrIiEEEESE_iNS9_4plusIvEEiEEDaPvRmT3_T4_T5_mT6_P12ihipStream_tbENKUlT_T0_E_clISt17integral_constantIbLb1EEST_IbLb0EEEEDaSP_SQ_EUlSP_E0_NS1_11comp_targetILNS1_3genE10ELNS1_11target_archE1201ELNS1_3gpuE5ELNS1_3repE0EEENS1_30default_config_static_selectorELNS0_4arch9wavefront6targetE1EEEvT1_
		.amdhsa_group_segment_fixed_size 0
		.amdhsa_private_segment_fixed_size 0
		.amdhsa_kernarg_size 32
		.amdhsa_user_sgpr_count 6
		.amdhsa_user_sgpr_private_segment_buffer 1
		.amdhsa_user_sgpr_dispatch_ptr 0
		.amdhsa_user_sgpr_queue_ptr 0
		.amdhsa_user_sgpr_kernarg_segment_ptr 1
		.amdhsa_user_sgpr_dispatch_id 0
		.amdhsa_user_sgpr_flat_scratch_init 0
		.amdhsa_user_sgpr_kernarg_preload_length 0
		.amdhsa_user_sgpr_kernarg_preload_offset 0
		.amdhsa_user_sgpr_private_segment_size 0
		.amdhsa_uses_dynamic_stack 0
		.amdhsa_system_sgpr_private_segment_wavefront_offset 0
		.amdhsa_system_sgpr_workgroup_id_x 1
		.amdhsa_system_sgpr_workgroup_id_y 0
		.amdhsa_system_sgpr_workgroup_id_z 0
		.amdhsa_system_sgpr_workgroup_info 0
		.amdhsa_system_vgpr_workitem_id 0
		.amdhsa_next_free_vgpr 1
		.amdhsa_next_free_sgpr 0
		.amdhsa_accum_offset 4
		.amdhsa_reserve_vcc 0
		.amdhsa_reserve_flat_scratch 0
		.amdhsa_float_round_mode_32 0
		.amdhsa_float_round_mode_16_64 0
		.amdhsa_float_denorm_mode_32 3
		.amdhsa_float_denorm_mode_16_64 3
		.amdhsa_dx10_clamp 1
		.amdhsa_ieee_mode 1
		.amdhsa_fp16_overflow 0
		.amdhsa_tg_split 0
		.amdhsa_exception_fp_ieee_invalid_op 0
		.amdhsa_exception_fp_denorm_src 0
		.amdhsa_exception_fp_ieee_div_zero 0
		.amdhsa_exception_fp_ieee_overflow 0
		.amdhsa_exception_fp_ieee_underflow 0
		.amdhsa_exception_fp_ieee_inexact 0
		.amdhsa_exception_int_div_zero 0
	.end_amdhsa_kernel
	.section	.text._ZN7rocprim17ROCPRIM_400000_NS6detail17trampoline_kernelINS0_14default_configENS1_20scan_config_selectorIiEEZZNS1_9scan_implILNS1_25lookback_scan_determinismE0ELb0ELb0ES3_N6thrust23THRUST_200600_302600_NS6detail15normal_iteratorINS9_10device_ptrIiEEEESE_iNS9_4plusIvEEiEEDaPvRmT3_T4_T5_mT6_P12ihipStream_tbENKUlT_T0_E_clISt17integral_constantIbLb1EEST_IbLb0EEEEDaSP_SQ_EUlSP_E0_NS1_11comp_targetILNS1_3genE10ELNS1_11target_archE1201ELNS1_3gpuE5ELNS1_3repE0EEENS1_30default_config_static_selectorELNS0_4arch9wavefront6targetE1EEEvT1_,"axG",@progbits,_ZN7rocprim17ROCPRIM_400000_NS6detail17trampoline_kernelINS0_14default_configENS1_20scan_config_selectorIiEEZZNS1_9scan_implILNS1_25lookback_scan_determinismE0ELb0ELb0ES3_N6thrust23THRUST_200600_302600_NS6detail15normal_iteratorINS9_10device_ptrIiEEEESE_iNS9_4plusIvEEiEEDaPvRmT3_T4_T5_mT6_P12ihipStream_tbENKUlT_T0_E_clISt17integral_constantIbLb1EEST_IbLb0EEEEDaSP_SQ_EUlSP_E0_NS1_11comp_targetILNS1_3genE10ELNS1_11target_archE1201ELNS1_3gpuE5ELNS1_3repE0EEENS1_30default_config_static_selectorELNS0_4arch9wavefront6targetE1EEEvT1_,comdat
.Lfunc_end1390:
	.size	_ZN7rocprim17ROCPRIM_400000_NS6detail17trampoline_kernelINS0_14default_configENS1_20scan_config_selectorIiEEZZNS1_9scan_implILNS1_25lookback_scan_determinismE0ELb0ELb0ES3_N6thrust23THRUST_200600_302600_NS6detail15normal_iteratorINS9_10device_ptrIiEEEESE_iNS9_4plusIvEEiEEDaPvRmT3_T4_T5_mT6_P12ihipStream_tbENKUlT_T0_E_clISt17integral_constantIbLb1EEST_IbLb0EEEEDaSP_SQ_EUlSP_E0_NS1_11comp_targetILNS1_3genE10ELNS1_11target_archE1201ELNS1_3gpuE5ELNS1_3repE0EEENS1_30default_config_static_selectorELNS0_4arch9wavefront6targetE1EEEvT1_, .Lfunc_end1390-_ZN7rocprim17ROCPRIM_400000_NS6detail17trampoline_kernelINS0_14default_configENS1_20scan_config_selectorIiEEZZNS1_9scan_implILNS1_25lookback_scan_determinismE0ELb0ELb0ES3_N6thrust23THRUST_200600_302600_NS6detail15normal_iteratorINS9_10device_ptrIiEEEESE_iNS9_4plusIvEEiEEDaPvRmT3_T4_T5_mT6_P12ihipStream_tbENKUlT_T0_E_clISt17integral_constantIbLb1EEST_IbLb0EEEEDaSP_SQ_EUlSP_E0_NS1_11comp_targetILNS1_3genE10ELNS1_11target_archE1201ELNS1_3gpuE5ELNS1_3repE0EEENS1_30default_config_static_selectorELNS0_4arch9wavefront6targetE1EEEvT1_
                                        ; -- End function
	.section	.AMDGPU.csdata,"",@progbits
; Kernel info:
; codeLenInByte = 0
; NumSgprs: 4
; NumVgprs: 0
; NumAgprs: 0
; TotalNumVgprs: 0
; ScratchSize: 0
; MemoryBound: 0
; FloatMode: 240
; IeeeMode: 1
; LDSByteSize: 0 bytes/workgroup (compile time only)
; SGPRBlocks: 0
; VGPRBlocks: 0
; NumSGPRsForWavesPerEU: 4
; NumVGPRsForWavesPerEU: 1
; AccumOffset: 4
; Occupancy: 8
; WaveLimiterHint : 0
; COMPUTE_PGM_RSRC2:SCRATCH_EN: 0
; COMPUTE_PGM_RSRC2:USER_SGPR: 6
; COMPUTE_PGM_RSRC2:TRAP_HANDLER: 0
; COMPUTE_PGM_RSRC2:TGID_X_EN: 1
; COMPUTE_PGM_RSRC2:TGID_Y_EN: 0
; COMPUTE_PGM_RSRC2:TGID_Z_EN: 0
; COMPUTE_PGM_RSRC2:TIDIG_COMP_CNT: 0
; COMPUTE_PGM_RSRC3_GFX90A:ACCUM_OFFSET: 0
; COMPUTE_PGM_RSRC3_GFX90A:TG_SPLIT: 0
	.section	.text._ZN7rocprim17ROCPRIM_400000_NS6detail17trampoline_kernelINS0_14default_configENS1_20scan_config_selectorIiEEZZNS1_9scan_implILNS1_25lookback_scan_determinismE0ELb0ELb0ES3_N6thrust23THRUST_200600_302600_NS6detail15normal_iteratorINS9_10device_ptrIiEEEESE_iNS9_4plusIvEEiEEDaPvRmT3_T4_T5_mT6_P12ihipStream_tbENKUlT_T0_E_clISt17integral_constantIbLb1EEST_IbLb0EEEEDaSP_SQ_EUlSP_E0_NS1_11comp_targetILNS1_3genE10ELNS1_11target_archE1200ELNS1_3gpuE4ELNS1_3repE0EEENS1_30default_config_static_selectorELNS0_4arch9wavefront6targetE1EEEvT1_,"axG",@progbits,_ZN7rocprim17ROCPRIM_400000_NS6detail17trampoline_kernelINS0_14default_configENS1_20scan_config_selectorIiEEZZNS1_9scan_implILNS1_25lookback_scan_determinismE0ELb0ELb0ES3_N6thrust23THRUST_200600_302600_NS6detail15normal_iteratorINS9_10device_ptrIiEEEESE_iNS9_4plusIvEEiEEDaPvRmT3_T4_T5_mT6_P12ihipStream_tbENKUlT_T0_E_clISt17integral_constantIbLb1EEST_IbLb0EEEEDaSP_SQ_EUlSP_E0_NS1_11comp_targetILNS1_3genE10ELNS1_11target_archE1200ELNS1_3gpuE4ELNS1_3repE0EEENS1_30default_config_static_selectorELNS0_4arch9wavefront6targetE1EEEvT1_,comdat
	.protected	_ZN7rocprim17ROCPRIM_400000_NS6detail17trampoline_kernelINS0_14default_configENS1_20scan_config_selectorIiEEZZNS1_9scan_implILNS1_25lookback_scan_determinismE0ELb0ELb0ES3_N6thrust23THRUST_200600_302600_NS6detail15normal_iteratorINS9_10device_ptrIiEEEESE_iNS9_4plusIvEEiEEDaPvRmT3_T4_T5_mT6_P12ihipStream_tbENKUlT_T0_E_clISt17integral_constantIbLb1EEST_IbLb0EEEEDaSP_SQ_EUlSP_E0_NS1_11comp_targetILNS1_3genE10ELNS1_11target_archE1200ELNS1_3gpuE4ELNS1_3repE0EEENS1_30default_config_static_selectorELNS0_4arch9wavefront6targetE1EEEvT1_ ; -- Begin function _ZN7rocprim17ROCPRIM_400000_NS6detail17trampoline_kernelINS0_14default_configENS1_20scan_config_selectorIiEEZZNS1_9scan_implILNS1_25lookback_scan_determinismE0ELb0ELb0ES3_N6thrust23THRUST_200600_302600_NS6detail15normal_iteratorINS9_10device_ptrIiEEEESE_iNS9_4plusIvEEiEEDaPvRmT3_T4_T5_mT6_P12ihipStream_tbENKUlT_T0_E_clISt17integral_constantIbLb1EEST_IbLb0EEEEDaSP_SQ_EUlSP_E0_NS1_11comp_targetILNS1_3genE10ELNS1_11target_archE1200ELNS1_3gpuE4ELNS1_3repE0EEENS1_30default_config_static_selectorELNS0_4arch9wavefront6targetE1EEEvT1_
	.globl	_ZN7rocprim17ROCPRIM_400000_NS6detail17trampoline_kernelINS0_14default_configENS1_20scan_config_selectorIiEEZZNS1_9scan_implILNS1_25lookback_scan_determinismE0ELb0ELb0ES3_N6thrust23THRUST_200600_302600_NS6detail15normal_iteratorINS9_10device_ptrIiEEEESE_iNS9_4plusIvEEiEEDaPvRmT3_T4_T5_mT6_P12ihipStream_tbENKUlT_T0_E_clISt17integral_constantIbLb1EEST_IbLb0EEEEDaSP_SQ_EUlSP_E0_NS1_11comp_targetILNS1_3genE10ELNS1_11target_archE1200ELNS1_3gpuE4ELNS1_3repE0EEENS1_30default_config_static_selectorELNS0_4arch9wavefront6targetE1EEEvT1_
	.p2align	8
	.type	_ZN7rocprim17ROCPRIM_400000_NS6detail17trampoline_kernelINS0_14default_configENS1_20scan_config_selectorIiEEZZNS1_9scan_implILNS1_25lookback_scan_determinismE0ELb0ELb0ES3_N6thrust23THRUST_200600_302600_NS6detail15normal_iteratorINS9_10device_ptrIiEEEESE_iNS9_4plusIvEEiEEDaPvRmT3_T4_T5_mT6_P12ihipStream_tbENKUlT_T0_E_clISt17integral_constantIbLb1EEST_IbLb0EEEEDaSP_SQ_EUlSP_E0_NS1_11comp_targetILNS1_3genE10ELNS1_11target_archE1200ELNS1_3gpuE4ELNS1_3repE0EEENS1_30default_config_static_selectorELNS0_4arch9wavefront6targetE1EEEvT1_,@function
_ZN7rocprim17ROCPRIM_400000_NS6detail17trampoline_kernelINS0_14default_configENS1_20scan_config_selectorIiEEZZNS1_9scan_implILNS1_25lookback_scan_determinismE0ELb0ELb0ES3_N6thrust23THRUST_200600_302600_NS6detail15normal_iteratorINS9_10device_ptrIiEEEESE_iNS9_4plusIvEEiEEDaPvRmT3_T4_T5_mT6_P12ihipStream_tbENKUlT_T0_E_clISt17integral_constantIbLb1EEST_IbLb0EEEEDaSP_SQ_EUlSP_E0_NS1_11comp_targetILNS1_3genE10ELNS1_11target_archE1200ELNS1_3gpuE4ELNS1_3repE0EEENS1_30default_config_static_selectorELNS0_4arch9wavefront6targetE1EEEvT1_: ; @_ZN7rocprim17ROCPRIM_400000_NS6detail17trampoline_kernelINS0_14default_configENS1_20scan_config_selectorIiEEZZNS1_9scan_implILNS1_25lookback_scan_determinismE0ELb0ELb0ES3_N6thrust23THRUST_200600_302600_NS6detail15normal_iteratorINS9_10device_ptrIiEEEESE_iNS9_4plusIvEEiEEDaPvRmT3_T4_T5_mT6_P12ihipStream_tbENKUlT_T0_E_clISt17integral_constantIbLb1EEST_IbLb0EEEEDaSP_SQ_EUlSP_E0_NS1_11comp_targetILNS1_3genE10ELNS1_11target_archE1200ELNS1_3gpuE4ELNS1_3repE0EEENS1_30default_config_static_selectorELNS0_4arch9wavefront6targetE1EEEvT1_
; %bb.0:
	.section	.rodata,"a",@progbits
	.p2align	6, 0x0
	.amdhsa_kernel _ZN7rocprim17ROCPRIM_400000_NS6detail17trampoline_kernelINS0_14default_configENS1_20scan_config_selectorIiEEZZNS1_9scan_implILNS1_25lookback_scan_determinismE0ELb0ELb0ES3_N6thrust23THRUST_200600_302600_NS6detail15normal_iteratorINS9_10device_ptrIiEEEESE_iNS9_4plusIvEEiEEDaPvRmT3_T4_T5_mT6_P12ihipStream_tbENKUlT_T0_E_clISt17integral_constantIbLb1EEST_IbLb0EEEEDaSP_SQ_EUlSP_E0_NS1_11comp_targetILNS1_3genE10ELNS1_11target_archE1200ELNS1_3gpuE4ELNS1_3repE0EEENS1_30default_config_static_selectorELNS0_4arch9wavefront6targetE1EEEvT1_
		.amdhsa_group_segment_fixed_size 0
		.amdhsa_private_segment_fixed_size 0
		.amdhsa_kernarg_size 32
		.amdhsa_user_sgpr_count 6
		.amdhsa_user_sgpr_private_segment_buffer 1
		.amdhsa_user_sgpr_dispatch_ptr 0
		.amdhsa_user_sgpr_queue_ptr 0
		.amdhsa_user_sgpr_kernarg_segment_ptr 1
		.amdhsa_user_sgpr_dispatch_id 0
		.amdhsa_user_sgpr_flat_scratch_init 0
		.amdhsa_user_sgpr_kernarg_preload_length 0
		.amdhsa_user_sgpr_kernarg_preload_offset 0
		.amdhsa_user_sgpr_private_segment_size 0
		.amdhsa_uses_dynamic_stack 0
		.amdhsa_system_sgpr_private_segment_wavefront_offset 0
		.amdhsa_system_sgpr_workgroup_id_x 1
		.amdhsa_system_sgpr_workgroup_id_y 0
		.amdhsa_system_sgpr_workgroup_id_z 0
		.amdhsa_system_sgpr_workgroup_info 0
		.amdhsa_system_vgpr_workitem_id 0
		.amdhsa_next_free_vgpr 1
		.amdhsa_next_free_sgpr 0
		.amdhsa_accum_offset 4
		.amdhsa_reserve_vcc 0
		.amdhsa_reserve_flat_scratch 0
		.amdhsa_float_round_mode_32 0
		.amdhsa_float_round_mode_16_64 0
		.amdhsa_float_denorm_mode_32 3
		.amdhsa_float_denorm_mode_16_64 3
		.amdhsa_dx10_clamp 1
		.amdhsa_ieee_mode 1
		.amdhsa_fp16_overflow 0
		.amdhsa_tg_split 0
		.amdhsa_exception_fp_ieee_invalid_op 0
		.amdhsa_exception_fp_denorm_src 0
		.amdhsa_exception_fp_ieee_div_zero 0
		.amdhsa_exception_fp_ieee_overflow 0
		.amdhsa_exception_fp_ieee_underflow 0
		.amdhsa_exception_fp_ieee_inexact 0
		.amdhsa_exception_int_div_zero 0
	.end_amdhsa_kernel
	.section	.text._ZN7rocprim17ROCPRIM_400000_NS6detail17trampoline_kernelINS0_14default_configENS1_20scan_config_selectorIiEEZZNS1_9scan_implILNS1_25lookback_scan_determinismE0ELb0ELb0ES3_N6thrust23THRUST_200600_302600_NS6detail15normal_iteratorINS9_10device_ptrIiEEEESE_iNS9_4plusIvEEiEEDaPvRmT3_T4_T5_mT6_P12ihipStream_tbENKUlT_T0_E_clISt17integral_constantIbLb1EEST_IbLb0EEEEDaSP_SQ_EUlSP_E0_NS1_11comp_targetILNS1_3genE10ELNS1_11target_archE1200ELNS1_3gpuE4ELNS1_3repE0EEENS1_30default_config_static_selectorELNS0_4arch9wavefront6targetE1EEEvT1_,"axG",@progbits,_ZN7rocprim17ROCPRIM_400000_NS6detail17trampoline_kernelINS0_14default_configENS1_20scan_config_selectorIiEEZZNS1_9scan_implILNS1_25lookback_scan_determinismE0ELb0ELb0ES3_N6thrust23THRUST_200600_302600_NS6detail15normal_iteratorINS9_10device_ptrIiEEEESE_iNS9_4plusIvEEiEEDaPvRmT3_T4_T5_mT6_P12ihipStream_tbENKUlT_T0_E_clISt17integral_constantIbLb1EEST_IbLb0EEEEDaSP_SQ_EUlSP_E0_NS1_11comp_targetILNS1_3genE10ELNS1_11target_archE1200ELNS1_3gpuE4ELNS1_3repE0EEENS1_30default_config_static_selectorELNS0_4arch9wavefront6targetE1EEEvT1_,comdat
.Lfunc_end1391:
	.size	_ZN7rocprim17ROCPRIM_400000_NS6detail17trampoline_kernelINS0_14default_configENS1_20scan_config_selectorIiEEZZNS1_9scan_implILNS1_25lookback_scan_determinismE0ELb0ELb0ES3_N6thrust23THRUST_200600_302600_NS6detail15normal_iteratorINS9_10device_ptrIiEEEESE_iNS9_4plusIvEEiEEDaPvRmT3_T4_T5_mT6_P12ihipStream_tbENKUlT_T0_E_clISt17integral_constantIbLb1EEST_IbLb0EEEEDaSP_SQ_EUlSP_E0_NS1_11comp_targetILNS1_3genE10ELNS1_11target_archE1200ELNS1_3gpuE4ELNS1_3repE0EEENS1_30default_config_static_selectorELNS0_4arch9wavefront6targetE1EEEvT1_, .Lfunc_end1391-_ZN7rocprim17ROCPRIM_400000_NS6detail17trampoline_kernelINS0_14default_configENS1_20scan_config_selectorIiEEZZNS1_9scan_implILNS1_25lookback_scan_determinismE0ELb0ELb0ES3_N6thrust23THRUST_200600_302600_NS6detail15normal_iteratorINS9_10device_ptrIiEEEESE_iNS9_4plusIvEEiEEDaPvRmT3_T4_T5_mT6_P12ihipStream_tbENKUlT_T0_E_clISt17integral_constantIbLb1EEST_IbLb0EEEEDaSP_SQ_EUlSP_E0_NS1_11comp_targetILNS1_3genE10ELNS1_11target_archE1200ELNS1_3gpuE4ELNS1_3repE0EEENS1_30default_config_static_selectorELNS0_4arch9wavefront6targetE1EEEvT1_
                                        ; -- End function
	.section	.AMDGPU.csdata,"",@progbits
; Kernel info:
; codeLenInByte = 0
; NumSgprs: 4
; NumVgprs: 0
; NumAgprs: 0
; TotalNumVgprs: 0
; ScratchSize: 0
; MemoryBound: 0
; FloatMode: 240
; IeeeMode: 1
; LDSByteSize: 0 bytes/workgroup (compile time only)
; SGPRBlocks: 0
; VGPRBlocks: 0
; NumSGPRsForWavesPerEU: 4
; NumVGPRsForWavesPerEU: 1
; AccumOffset: 4
; Occupancy: 8
; WaveLimiterHint : 0
; COMPUTE_PGM_RSRC2:SCRATCH_EN: 0
; COMPUTE_PGM_RSRC2:USER_SGPR: 6
; COMPUTE_PGM_RSRC2:TRAP_HANDLER: 0
; COMPUTE_PGM_RSRC2:TGID_X_EN: 1
; COMPUTE_PGM_RSRC2:TGID_Y_EN: 0
; COMPUTE_PGM_RSRC2:TGID_Z_EN: 0
; COMPUTE_PGM_RSRC2:TIDIG_COMP_CNT: 0
; COMPUTE_PGM_RSRC3_GFX90A:ACCUM_OFFSET: 0
; COMPUTE_PGM_RSRC3_GFX90A:TG_SPLIT: 0
	.section	.text._ZN7rocprim17ROCPRIM_400000_NS6detail17trampoline_kernelINS0_14default_configENS1_20scan_config_selectorIiEEZZNS1_9scan_implILNS1_25lookback_scan_determinismE0ELb0ELb0ES3_N6thrust23THRUST_200600_302600_NS6detail15normal_iteratorINS9_10device_ptrIiEEEESE_iNS9_4plusIvEEiEEDaPvRmT3_T4_T5_mT6_P12ihipStream_tbENKUlT_T0_E_clISt17integral_constantIbLb1EEST_IbLb0EEEEDaSP_SQ_EUlSP_E0_NS1_11comp_targetILNS1_3genE9ELNS1_11target_archE1100ELNS1_3gpuE3ELNS1_3repE0EEENS1_30default_config_static_selectorELNS0_4arch9wavefront6targetE1EEEvT1_,"axG",@progbits,_ZN7rocprim17ROCPRIM_400000_NS6detail17trampoline_kernelINS0_14default_configENS1_20scan_config_selectorIiEEZZNS1_9scan_implILNS1_25lookback_scan_determinismE0ELb0ELb0ES3_N6thrust23THRUST_200600_302600_NS6detail15normal_iteratorINS9_10device_ptrIiEEEESE_iNS9_4plusIvEEiEEDaPvRmT3_T4_T5_mT6_P12ihipStream_tbENKUlT_T0_E_clISt17integral_constantIbLb1EEST_IbLb0EEEEDaSP_SQ_EUlSP_E0_NS1_11comp_targetILNS1_3genE9ELNS1_11target_archE1100ELNS1_3gpuE3ELNS1_3repE0EEENS1_30default_config_static_selectorELNS0_4arch9wavefront6targetE1EEEvT1_,comdat
	.protected	_ZN7rocprim17ROCPRIM_400000_NS6detail17trampoline_kernelINS0_14default_configENS1_20scan_config_selectorIiEEZZNS1_9scan_implILNS1_25lookback_scan_determinismE0ELb0ELb0ES3_N6thrust23THRUST_200600_302600_NS6detail15normal_iteratorINS9_10device_ptrIiEEEESE_iNS9_4plusIvEEiEEDaPvRmT3_T4_T5_mT6_P12ihipStream_tbENKUlT_T0_E_clISt17integral_constantIbLb1EEST_IbLb0EEEEDaSP_SQ_EUlSP_E0_NS1_11comp_targetILNS1_3genE9ELNS1_11target_archE1100ELNS1_3gpuE3ELNS1_3repE0EEENS1_30default_config_static_selectorELNS0_4arch9wavefront6targetE1EEEvT1_ ; -- Begin function _ZN7rocprim17ROCPRIM_400000_NS6detail17trampoline_kernelINS0_14default_configENS1_20scan_config_selectorIiEEZZNS1_9scan_implILNS1_25lookback_scan_determinismE0ELb0ELb0ES3_N6thrust23THRUST_200600_302600_NS6detail15normal_iteratorINS9_10device_ptrIiEEEESE_iNS9_4plusIvEEiEEDaPvRmT3_T4_T5_mT6_P12ihipStream_tbENKUlT_T0_E_clISt17integral_constantIbLb1EEST_IbLb0EEEEDaSP_SQ_EUlSP_E0_NS1_11comp_targetILNS1_3genE9ELNS1_11target_archE1100ELNS1_3gpuE3ELNS1_3repE0EEENS1_30default_config_static_selectorELNS0_4arch9wavefront6targetE1EEEvT1_
	.globl	_ZN7rocprim17ROCPRIM_400000_NS6detail17trampoline_kernelINS0_14default_configENS1_20scan_config_selectorIiEEZZNS1_9scan_implILNS1_25lookback_scan_determinismE0ELb0ELb0ES3_N6thrust23THRUST_200600_302600_NS6detail15normal_iteratorINS9_10device_ptrIiEEEESE_iNS9_4plusIvEEiEEDaPvRmT3_T4_T5_mT6_P12ihipStream_tbENKUlT_T0_E_clISt17integral_constantIbLb1EEST_IbLb0EEEEDaSP_SQ_EUlSP_E0_NS1_11comp_targetILNS1_3genE9ELNS1_11target_archE1100ELNS1_3gpuE3ELNS1_3repE0EEENS1_30default_config_static_selectorELNS0_4arch9wavefront6targetE1EEEvT1_
	.p2align	8
	.type	_ZN7rocprim17ROCPRIM_400000_NS6detail17trampoline_kernelINS0_14default_configENS1_20scan_config_selectorIiEEZZNS1_9scan_implILNS1_25lookback_scan_determinismE0ELb0ELb0ES3_N6thrust23THRUST_200600_302600_NS6detail15normal_iteratorINS9_10device_ptrIiEEEESE_iNS9_4plusIvEEiEEDaPvRmT3_T4_T5_mT6_P12ihipStream_tbENKUlT_T0_E_clISt17integral_constantIbLb1EEST_IbLb0EEEEDaSP_SQ_EUlSP_E0_NS1_11comp_targetILNS1_3genE9ELNS1_11target_archE1100ELNS1_3gpuE3ELNS1_3repE0EEENS1_30default_config_static_selectorELNS0_4arch9wavefront6targetE1EEEvT1_,@function
_ZN7rocprim17ROCPRIM_400000_NS6detail17trampoline_kernelINS0_14default_configENS1_20scan_config_selectorIiEEZZNS1_9scan_implILNS1_25lookback_scan_determinismE0ELb0ELb0ES3_N6thrust23THRUST_200600_302600_NS6detail15normal_iteratorINS9_10device_ptrIiEEEESE_iNS9_4plusIvEEiEEDaPvRmT3_T4_T5_mT6_P12ihipStream_tbENKUlT_T0_E_clISt17integral_constantIbLb1EEST_IbLb0EEEEDaSP_SQ_EUlSP_E0_NS1_11comp_targetILNS1_3genE9ELNS1_11target_archE1100ELNS1_3gpuE3ELNS1_3repE0EEENS1_30default_config_static_selectorELNS0_4arch9wavefront6targetE1EEEvT1_: ; @_ZN7rocprim17ROCPRIM_400000_NS6detail17trampoline_kernelINS0_14default_configENS1_20scan_config_selectorIiEEZZNS1_9scan_implILNS1_25lookback_scan_determinismE0ELb0ELb0ES3_N6thrust23THRUST_200600_302600_NS6detail15normal_iteratorINS9_10device_ptrIiEEEESE_iNS9_4plusIvEEiEEDaPvRmT3_T4_T5_mT6_P12ihipStream_tbENKUlT_T0_E_clISt17integral_constantIbLb1EEST_IbLb0EEEEDaSP_SQ_EUlSP_E0_NS1_11comp_targetILNS1_3genE9ELNS1_11target_archE1100ELNS1_3gpuE3ELNS1_3repE0EEENS1_30default_config_static_selectorELNS0_4arch9wavefront6targetE1EEEvT1_
; %bb.0:
	.section	.rodata,"a",@progbits
	.p2align	6, 0x0
	.amdhsa_kernel _ZN7rocprim17ROCPRIM_400000_NS6detail17trampoline_kernelINS0_14default_configENS1_20scan_config_selectorIiEEZZNS1_9scan_implILNS1_25lookback_scan_determinismE0ELb0ELb0ES3_N6thrust23THRUST_200600_302600_NS6detail15normal_iteratorINS9_10device_ptrIiEEEESE_iNS9_4plusIvEEiEEDaPvRmT3_T4_T5_mT6_P12ihipStream_tbENKUlT_T0_E_clISt17integral_constantIbLb1EEST_IbLb0EEEEDaSP_SQ_EUlSP_E0_NS1_11comp_targetILNS1_3genE9ELNS1_11target_archE1100ELNS1_3gpuE3ELNS1_3repE0EEENS1_30default_config_static_selectorELNS0_4arch9wavefront6targetE1EEEvT1_
		.amdhsa_group_segment_fixed_size 0
		.amdhsa_private_segment_fixed_size 0
		.amdhsa_kernarg_size 32
		.amdhsa_user_sgpr_count 6
		.amdhsa_user_sgpr_private_segment_buffer 1
		.amdhsa_user_sgpr_dispatch_ptr 0
		.amdhsa_user_sgpr_queue_ptr 0
		.amdhsa_user_sgpr_kernarg_segment_ptr 1
		.amdhsa_user_sgpr_dispatch_id 0
		.amdhsa_user_sgpr_flat_scratch_init 0
		.amdhsa_user_sgpr_kernarg_preload_length 0
		.amdhsa_user_sgpr_kernarg_preload_offset 0
		.amdhsa_user_sgpr_private_segment_size 0
		.amdhsa_uses_dynamic_stack 0
		.amdhsa_system_sgpr_private_segment_wavefront_offset 0
		.amdhsa_system_sgpr_workgroup_id_x 1
		.amdhsa_system_sgpr_workgroup_id_y 0
		.amdhsa_system_sgpr_workgroup_id_z 0
		.amdhsa_system_sgpr_workgroup_info 0
		.amdhsa_system_vgpr_workitem_id 0
		.amdhsa_next_free_vgpr 1
		.amdhsa_next_free_sgpr 0
		.amdhsa_accum_offset 4
		.amdhsa_reserve_vcc 0
		.amdhsa_reserve_flat_scratch 0
		.amdhsa_float_round_mode_32 0
		.amdhsa_float_round_mode_16_64 0
		.amdhsa_float_denorm_mode_32 3
		.amdhsa_float_denorm_mode_16_64 3
		.amdhsa_dx10_clamp 1
		.amdhsa_ieee_mode 1
		.amdhsa_fp16_overflow 0
		.amdhsa_tg_split 0
		.amdhsa_exception_fp_ieee_invalid_op 0
		.amdhsa_exception_fp_denorm_src 0
		.amdhsa_exception_fp_ieee_div_zero 0
		.amdhsa_exception_fp_ieee_overflow 0
		.amdhsa_exception_fp_ieee_underflow 0
		.amdhsa_exception_fp_ieee_inexact 0
		.amdhsa_exception_int_div_zero 0
	.end_amdhsa_kernel
	.section	.text._ZN7rocprim17ROCPRIM_400000_NS6detail17trampoline_kernelINS0_14default_configENS1_20scan_config_selectorIiEEZZNS1_9scan_implILNS1_25lookback_scan_determinismE0ELb0ELb0ES3_N6thrust23THRUST_200600_302600_NS6detail15normal_iteratorINS9_10device_ptrIiEEEESE_iNS9_4plusIvEEiEEDaPvRmT3_T4_T5_mT6_P12ihipStream_tbENKUlT_T0_E_clISt17integral_constantIbLb1EEST_IbLb0EEEEDaSP_SQ_EUlSP_E0_NS1_11comp_targetILNS1_3genE9ELNS1_11target_archE1100ELNS1_3gpuE3ELNS1_3repE0EEENS1_30default_config_static_selectorELNS0_4arch9wavefront6targetE1EEEvT1_,"axG",@progbits,_ZN7rocprim17ROCPRIM_400000_NS6detail17trampoline_kernelINS0_14default_configENS1_20scan_config_selectorIiEEZZNS1_9scan_implILNS1_25lookback_scan_determinismE0ELb0ELb0ES3_N6thrust23THRUST_200600_302600_NS6detail15normal_iteratorINS9_10device_ptrIiEEEESE_iNS9_4plusIvEEiEEDaPvRmT3_T4_T5_mT6_P12ihipStream_tbENKUlT_T0_E_clISt17integral_constantIbLb1EEST_IbLb0EEEEDaSP_SQ_EUlSP_E0_NS1_11comp_targetILNS1_3genE9ELNS1_11target_archE1100ELNS1_3gpuE3ELNS1_3repE0EEENS1_30default_config_static_selectorELNS0_4arch9wavefront6targetE1EEEvT1_,comdat
.Lfunc_end1392:
	.size	_ZN7rocprim17ROCPRIM_400000_NS6detail17trampoline_kernelINS0_14default_configENS1_20scan_config_selectorIiEEZZNS1_9scan_implILNS1_25lookback_scan_determinismE0ELb0ELb0ES3_N6thrust23THRUST_200600_302600_NS6detail15normal_iteratorINS9_10device_ptrIiEEEESE_iNS9_4plusIvEEiEEDaPvRmT3_T4_T5_mT6_P12ihipStream_tbENKUlT_T0_E_clISt17integral_constantIbLb1EEST_IbLb0EEEEDaSP_SQ_EUlSP_E0_NS1_11comp_targetILNS1_3genE9ELNS1_11target_archE1100ELNS1_3gpuE3ELNS1_3repE0EEENS1_30default_config_static_selectorELNS0_4arch9wavefront6targetE1EEEvT1_, .Lfunc_end1392-_ZN7rocprim17ROCPRIM_400000_NS6detail17trampoline_kernelINS0_14default_configENS1_20scan_config_selectorIiEEZZNS1_9scan_implILNS1_25lookback_scan_determinismE0ELb0ELb0ES3_N6thrust23THRUST_200600_302600_NS6detail15normal_iteratorINS9_10device_ptrIiEEEESE_iNS9_4plusIvEEiEEDaPvRmT3_T4_T5_mT6_P12ihipStream_tbENKUlT_T0_E_clISt17integral_constantIbLb1EEST_IbLb0EEEEDaSP_SQ_EUlSP_E0_NS1_11comp_targetILNS1_3genE9ELNS1_11target_archE1100ELNS1_3gpuE3ELNS1_3repE0EEENS1_30default_config_static_selectorELNS0_4arch9wavefront6targetE1EEEvT1_
                                        ; -- End function
	.section	.AMDGPU.csdata,"",@progbits
; Kernel info:
; codeLenInByte = 0
; NumSgprs: 4
; NumVgprs: 0
; NumAgprs: 0
; TotalNumVgprs: 0
; ScratchSize: 0
; MemoryBound: 0
; FloatMode: 240
; IeeeMode: 1
; LDSByteSize: 0 bytes/workgroup (compile time only)
; SGPRBlocks: 0
; VGPRBlocks: 0
; NumSGPRsForWavesPerEU: 4
; NumVGPRsForWavesPerEU: 1
; AccumOffset: 4
; Occupancy: 8
; WaveLimiterHint : 0
; COMPUTE_PGM_RSRC2:SCRATCH_EN: 0
; COMPUTE_PGM_RSRC2:USER_SGPR: 6
; COMPUTE_PGM_RSRC2:TRAP_HANDLER: 0
; COMPUTE_PGM_RSRC2:TGID_X_EN: 1
; COMPUTE_PGM_RSRC2:TGID_Y_EN: 0
; COMPUTE_PGM_RSRC2:TGID_Z_EN: 0
; COMPUTE_PGM_RSRC2:TIDIG_COMP_CNT: 0
; COMPUTE_PGM_RSRC3_GFX90A:ACCUM_OFFSET: 0
; COMPUTE_PGM_RSRC3_GFX90A:TG_SPLIT: 0
	.section	.text._ZN7rocprim17ROCPRIM_400000_NS6detail17trampoline_kernelINS0_14default_configENS1_20scan_config_selectorIiEEZZNS1_9scan_implILNS1_25lookback_scan_determinismE0ELb0ELb0ES3_N6thrust23THRUST_200600_302600_NS6detail15normal_iteratorINS9_10device_ptrIiEEEESE_iNS9_4plusIvEEiEEDaPvRmT3_T4_T5_mT6_P12ihipStream_tbENKUlT_T0_E_clISt17integral_constantIbLb1EEST_IbLb0EEEEDaSP_SQ_EUlSP_E0_NS1_11comp_targetILNS1_3genE8ELNS1_11target_archE1030ELNS1_3gpuE2ELNS1_3repE0EEENS1_30default_config_static_selectorELNS0_4arch9wavefront6targetE1EEEvT1_,"axG",@progbits,_ZN7rocprim17ROCPRIM_400000_NS6detail17trampoline_kernelINS0_14default_configENS1_20scan_config_selectorIiEEZZNS1_9scan_implILNS1_25lookback_scan_determinismE0ELb0ELb0ES3_N6thrust23THRUST_200600_302600_NS6detail15normal_iteratorINS9_10device_ptrIiEEEESE_iNS9_4plusIvEEiEEDaPvRmT3_T4_T5_mT6_P12ihipStream_tbENKUlT_T0_E_clISt17integral_constantIbLb1EEST_IbLb0EEEEDaSP_SQ_EUlSP_E0_NS1_11comp_targetILNS1_3genE8ELNS1_11target_archE1030ELNS1_3gpuE2ELNS1_3repE0EEENS1_30default_config_static_selectorELNS0_4arch9wavefront6targetE1EEEvT1_,comdat
	.protected	_ZN7rocprim17ROCPRIM_400000_NS6detail17trampoline_kernelINS0_14default_configENS1_20scan_config_selectorIiEEZZNS1_9scan_implILNS1_25lookback_scan_determinismE0ELb0ELb0ES3_N6thrust23THRUST_200600_302600_NS6detail15normal_iteratorINS9_10device_ptrIiEEEESE_iNS9_4plusIvEEiEEDaPvRmT3_T4_T5_mT6_P12ihipStream_tbENKUlT_T0_E_clISt17integral_constantIbLb1EEST_IbLb0EEEEDaSP_SQ_EUlSP_E0_NS1_11comp_targetILNS1_3genE8ELNS1_11target_archE1030ELNS1_3gpuE2ELNS1_3repE0EEENS1_30default_config_static_selectorELNS0_4arch9wavefront6targetE1EEEvT1_ ; -- Begin function _ZN7rocprim17ROCPRIM_400000_NS6detail17trampoline_kernelINS0_14default_configENS1_20scan_config_selectorIiEEZZNS1_9scan_implILNS1_25lookback_scan_determinismE0ELb0ELb0ES3_N6thrust23THRUST_200600_302600_NS6detail15normal_iteratorINS9_10device_ptrIiEEEESE_iNS9_4plusIvEEiEEDaPvRmT3_T4_T5_mT6_P12ihipStream_tbENKUlT_T0_E_clISt17integral_constantIbLb1EEST_IbLb0EEEEDaSP_SQ_EUlSP_E0_NS1_11comp_targetILNS1_3genE8ELNS1_11target_archE1030ELNS1_3gpuE2ELNS1_3repE0EEENS1_30default_config_static_selectorELNS0_4arch9wavefront6targetE1EEEvT1_
	.globl	_ZN7rocprim17ROCPRIM_400000_NS6detail17trampoline_kernelINS0_14default_configENS1_20scan_config_selectorIiEEZZNS1_9scan_implILNS1_25lookback_scan_determinismE0ELb0ELb0ES3_N6thrust23THRUST_200600_302600_NS6detail15normal_iteratorINS9_10device_ptrIiEEEESE_iNS9_4plusIvEEiEEDaPvRmT3_T4_T5_mT6_P12ihipStream_tbENKUlT_T0_E_clISt17integral_constantIbLb1EEST_IbLb0EEEEDaSP_SQ_EUlSP_E0_NS1_11comp_targetILNS1_3genE8ELNS1_11target_archE1030ELNS1_3gpuE2ELNS1_3repE0EEENS1_30default_config_static_selectorELNS0_4arch9wavefront6targetE1EEEvT1_
	.p2align	8
	.type	_ZN7rocprim17ROCPRIM_400000_NS6detail17trampoline_kernelINS0_14default_configENS1_20scan_config_selectorIiEEZZNS1_9scan_implILNS1_25lookback_scan_determinismE0ELb0ELb0ES3_N6thrust23THRUST_200600_302600_NS6detail15normal_iteratorINS9_10device_ptrIiEEEESE_iNS9_4plusIvEEiEEDaPvRmT3_T4_T5_mT6_P12ihipStream_tbENKUlT_T0_E_clISt17integral_constantIbLb1EEST_IbLb0EEEEDaSP_SQ_EUlSP_E0_NS1_11comp_targetILNS1_3genE8ELNS1_11target_archE1030ELNS1_3gpuE2ELNS1_3repE0EEENS1_30default_config_static_selectorELNS0_4arch9wavefront6targetE1EEEvT1_,@function
_ZN7rocprim17ROCPRIM_400000_NS6detail17trampoline_kernelINS0_14default_configENS1_20scan_config_selectorIiEEZZNS1_9scan_implILNS1_25lookback_scan_determinismE0ELb0ELb0ES3_N6thrust23THRUST_200600_302600_NS6detail15normal_iteratorINS9_10device_ptrIiEEEESE_iNS9_4plusIvEEiEEDaPvRmT3_T4_T5_mT6_P12ihipStream_tbENKUlT_T0_E_clISt17integral_constantIbLb1EEST_IbLb0EEEEDaSP_SQ_EUlSP_E0_NS1_11comp_targetILNS1_3genE8ELNS1_11target_archE1030ELNS1_3gpuE2ELNS1_3repE0EEENS1_30default_config_static_selectorELNS0_4arch9wavefront6targetE1EEEvT1_: ; @_ZN7rocprim17ROCPRIM_400000_NS6detail17trampoline_kernelINS0_14default_configENS1_20scan_config_selectorIiEEZZNS1_9scan_implILNS1_25lookback_scan_determinismE0ELb0ELb0ES3_N6thrust23THRUST_200600_302600_NS6detail15normal_iteratorINS9_10device_ptrIiEEEESE_iNS9_4plusIvEEiEEDaPvRmT3_T4_T5_mT6_P12ihipStream_tbENKUlT_T0_E_clISt17integral_constantIbLb1EEST_IbLb0EEEEDaSP_SQ_EUlSP_E0_NS1_11comp_targetILNS1_3genE8ELNS1_11target_archE1030ELNS1_3gpuE2ELNS1_3repE0EEENS1_30default_config_static_selectorELNS0_4arch9wavefront6targetE1EEEvT1_
; %bb.0:
	.section	.rodata,"a",@progbits
	.p2align	6, 0x0
	.amdhsa_kernel _ZN7rocprim17ROCPRIM_400000_NS6detail17trampoline_kernelINS0_14default_configENS1_20scan_config_selectorIiEEZZNS1_9scan_implILNS1_25lookback_scan_determinismE0ELb0ELb0ES3_N6thrust23THRUST_200600_302600_NS6detail15normal_iteratorINS9_10device_ptrIiEEEESE_iNS9_4plusIvEEiEEDaPvRmT3_T4_T5_mT6_P12ihipStream_tbENKUlT_T0_E_clISt17integral_constantIbLb1EEST_IbLb0EEEEDaSP_SQ_EUlSP_E0_NS1_11comp_targetILNS1_3genE8ELNS1_11target_archE1030ELNS1_3gpuE2ELNS1_3repE0EEENS1_30default_config_static_selectorELNS0_4arch9wavefront6targetE1EEEvT1_
		.amdhsa_group_segment_fixed_size 0
		.amdhsa_private_segment_fixed_size 0
		.amdhsa_kernarg_size 32
		.amdhsa_user_sgpr_count 6
		.amdhsa_user_sgpr_private_segment_buffer 1
		.amdhsa_user_sgpr_dispatch_ptr 0
		.amdhsa_user_sgpr_queue_ptr 0
		.amdhsa_user_sgpr_kernarg_segment_ptr 1
		.amdhsa_user_sgpr_dispatch_id 0
		.amdhsa_user_sgpr_flat_scratch_init 0
		.amdhsa_user_sgpr_kernarg_preload_length 0
		.amdhsa_user_sgpr_kernarg_preload_offset 0
		.amdhsa_user_sgpr_private_segment_size 0
		.amdhsa_uses_dynamic_stack 0
		.amdhsa_system_sgpr_private_segment_wavefront_offset 0
		.amdhsa_system_sgpr_workgroup_id_x 1
		.amdhsa_system_sgpr_workgroup_id_y 0
		.amdhsa_system_sgpr_workgroup_id_z 0
		.amdhsa_system_sgpr_workgroup_info 0
		.amdhsa_system_vgpr_workitem_id 0
		.amdhsa_next_free_vgpr 1
		.amdhsa_next_free_sgpr 0
		.amdhsa_accum_offset 4
		.amdhsa_reserve_vcc 0
		.amdhsa_reserve_flat_scratch 0
		.amdhsa_float_round_mode_32 0
		.amdhsa_float_round_mode_16_64 0
		.amdhsa_float_denorm_mode_32 3
		.amdhsa_float_denorm_mode_16_64 3
		.amdhsa_dx10_clamp 1
		.amdhsa_ieee_mode 1
		.amdhsa_fp16_overflow 0
		.amdhsa_tg_split 0
		.amdhsa_exception_fp_ieee_invalid_op 0
		.amdhsa_exception_fp_denorm_src 0
		.amdhsa_exception_fp_ieee_div_zero 0
		.amdhsa_exception_fp_ieee_overflow 0
		.amdhsa_exception_fp_ieee_underflow 0
		.amdhsa_exception_fp_ieee_inexact 0
		.amdhsa_exception_int_div_zero 0
	.end_amdhsa_kernel
	.section	.text._ZN7rocprim17ROCPRIM_400000_NS6detail17trampoline_kernelINS0_14default_configENS1_20scan_config_selectorIiEEZZNS1_9scan_implILNS1_25lookback_scan_determinismE0ELb0ELb0ES3_N6thrust23THRUST_200600_302600_NS6detail15normal_iteratorINS9_10device_ptrIiEEEESE_iNS9_4plusIvEEiEEDaPvRmT3_T4_T5_mT6_P12ihipStream_tbENKUlT_T0_E_clISt17integral_constantIbLb1EEST_IbLb0EEEEDaSP_SQ_EUlSP_E0_NS1_11comp_targetILNS1_3genE8ELNS1_11target_archE1030ELNS1_3gpuE2ELNS1_3repE0EEENS1_30default_config_static_selectorELNS0_4arch9wavefront6targetE1EEEvT1_,"axG",@progbits,_ZN7rocprim17ROCPRIM_400000_NS6detail17trampoline_kernelINS0_14default_configENS1_20scan_config_selectorIiEEZZNS1_9scan_implILNS1_25lookback_scan_determinismE0ELb0ELb0ES3_N6thrust23THRUST_200600_302600_NS6detail15normal_iteratorINS9_10device_ptrIiEEEESE_iNS9_4plusIvEEiEEDaPvRmT3_T4_T5_mT6_P12ihipStream_tbENKUlT_T0_E_clISt17integral_constantIbLb1EEST_IbLb0EEEEDaSP_SQ_EUlSP_E0_NS1_11comp_targetILNS1_3genE8ELNS1_11target_archE1030ELNS1_3gpuE2ELNS1_3repE0EEENS1_30default_config_static_selectorELNS0_4arch9wavefront6targetE1EEEvT1_,comdat
.Lfunc_end1393:
	.size	_ZN7rocprim17ROCPRIM_400000_NS6detail17trampoline_kernelINS0_14default_configENS1_20scan_config_selectorIiEEZZNS1_9scan_implILNS1_25lookback_scan_determinismE0ELb0ELb0ES3_N6thrust23THRUST_200600_302600_NS6detail15normal_iteratorINS9_10device_ptrIiEEEESE_iNS9_4plusIvEEiEEDaPvRmT3_T4_T5_mT6_P12ihipStream_tbENKUlT_T0_E_clISt17integral_constantIbLb1EEST_IbLb0EEEEDaSP_SQ_EUlSP_E0_NS1_11comp_targetILNS1_3genE8ELNS1_11target_archE1030ELNS1_3gpuE2ELNS1_3repE0EEENS1_30default_config_static_selectorELNS0_4arch9wavefront6targetE1EEEvT1_, .Lfunc_end1393-_ZN7rocprim17ROCPRIM_400000_NS6detail17trampoline_kernelINS0_14default_configENS1_20scan_config_selectorIiEEZZNS1_9scan_implILNS1_25lookback_scan_determinismE0ELb0ELb0ES3_N6thrust23THRUST_200600_302600_NS6detail15normal_iteratorINS9_10device_ptrIiEEEESE_iNS9_4plusIvEEiEEDaPvRmT3_T4_T5_mT6_P12ihipStream_tbENKUlT_T0_E_clISt17integral_constantIbLb1EEST_IbLb0EEEEDaSP_SQ_EUlSP_E0_NS1_11comp_targetILNS1_3genE8ELNS1_11target_archE1030ELNS1_3gpuE2ELNS1_3repE0EEENS1_30default_config_static_selectorELNS0_4arch9wavefront6targetE1EEEvT1_
                                        ; -- End function
	.section	.AMDGPU.csdata,"",@progbits
; Kernel info:
; codeLenInByte = 0
; NumSgprs: 4
; NumVgprs: 0
; NumAgprs: 0
; TotalNumVgprs: 0
; ScratchSize: 0
; MemoryBound: 0
; FloatMode: 240
; IeeeMode: 1
; LDSByteSize: 0 bytes/workgroup (compile time only)
; SGPRBlocks: 0
; VGPRBlocks: 0
; NumSGPRsForWavesPerEU: 4
; NumVGPRsForWavesPerEU: 1
; AccumOffset: 4
; Occupancy: 8
; WaveLimiterHint : 0
; COMPUTE_PGM_RSRC2:SCRATCH_EN: 0
; COMPUTE_PGM_RSRC2:USER_SGPR: 6
; COMPUTE_PGM_RSRC2:TRAP_HANDLER: 0
; COMPUTE_PGM_RSRC2:TGID_X_EN: 1
; COMPUTE_PGM_RSRC2:TGID_Y_EN: 0
; COMPUTE_PGM_RSRC2:TGID_Z_EN: 0
; COMPUTE_PGM_RSRC2:TIDIG_COMP_CNT: 0
; COMPUTE_PGM_RSRC3_GFX90A:ACCUM_OFFSET: 0
; COMPUTE_PGM_RSRC3_GFX90A:TG_SPLIT: 0
	.section	.text._ZN7rocprim17ROCPRIM_400000_NS6detail17trampoline_kernelINS0_14default_configENS1_20scan_config_selectorIiEEZZNS1_9scan_implILNS1_25lookback_scan_determinismE0ELb0ELb0ES3_N6thrust23THRUST_200600_302600_NS6detail15normal_iteratorINS9_10device_ptrIiEEEESE_iNS9_4plusIvEEiEEDaPvRmT3_T4_T5_mT6_P12ihipStream_tbENKUlT_T0_E_clISt17integral_constantIbLb0EEST_IbLb1EEEEDaSP_SQ_EUlSP_E_NS1_11comp_targetILNS1_3genE0ELNS1_11target_archE4294967295ELNS1_3gpuE0ELNS1_3repE0EEENS1_30default_config_static_selectorELNS0_4arch9wavefront6targetE1EEEvT1_,"axG",@progbits,_ZN7rocprim17ROCPRIM_400000_NS6detail17trampoline_kernelINS0_14default_configENS1_20scan_config_selectorIiEEZZNS1_9scan_implILNS1_25lookback_scan_determinismE0ELb0ELb0ES3_N6thrust23THRUST_200600_302600_NS6detail15normal_iteratorINS9_10device_ptrIiEEEESE_iNS9_4plusIvEEiEEDaPvRmT3_T4_T5_mT6_P12ihipStream_tbENKUlT_T0_E_clISt17integral_constantIbLb0EEST_IbLb1EEEEDaSP_SQ_EUlSP_E_NS1_11comp_targetILNS1_3genE0ELNS1_11target_archE4294967295ELNS1_3gpuE0ELNS1_3repE0EEENS1_30default_config_static_selectorELNS0_4arch9wavefront6targetE1EEEvT1_,comdat
	.protected	_ZN7rocprim17ROCPRIM_400000_NS6detail17trampoline_kernelINS0_14default_configENS1_20scan_config_selectorIiEEZZNS1_9scan_implILNS1_25lookback_scan_determinismE0ELb0ELb0ES3_N6thrust23THRUST_200600_302600_NS6detail15normal_iteratorINS9_10device_ptrIiEEEESE_iNS9_4plusIvEEiEEDaPvRmT3_T4_T5_mT6_P12ihipStream_tbENKUlT_T0_E_clISt17integral_constantIbLb0EEST_IbLb1EEEEDaSP_SQ_EUlSP_E_NS1_11comp_targetILNS1_3genE0ELNS1_11target_archE4294967295ELNS1_3gpuE0ELNS1_3repE0EEENS1_30default_config_static_selectorELNS0_4arch9wavefront6targetE1EEEvT1_ ; -- Begin function _ZN7rocprim17ROCPRIM_400000_NS6detail17trampoline_kernelINS0_14default_configENS1_20scan_config_selectorIiEEZZNS1_9scan_implILNS1_25lookback_scan_determinismE0ELb0ELb0ES3_N6thrust23THRUST_200600_302600_NS6detail15normal_iteratorINS9_10device_ptrIiEEEESE_iNS9_4plusIvEEiEEDaPvRmT3_T4_T5_mT6_P12ihipStream_tbENKUlT_T0_E_clISt17integral_constantIbLb0EEST_IbLb1EEEEDaSP_SQ_EUlSP_E_NS1_11comp_targetILNS1_3genE0ELNS1_11target_archE4294967295ELNS1_3gpuE0ELNS1_3repE0EEENS1_30default_config_static_selectorELNS0_4arch9wavefront6targetE1EEEvT1_
	.globl	_ZN7rocprim17ROCPRIM_400000_NS6detail17trampoline_kernelINS0_14default_configENS1_20scan_config_selectorIiEEZZNS1_9scan_implILNS1_25lookback_scan_determinismE0ELb0ELb0ES3_N6thrust23THRUST_200600_302600_NS6detail15normal_iteratorINS9_10device_ptrIiEEEESE_iNS9_4plusIvEEiEEDaPvRmT3_T4_T5_mT6_P12ihipStream_tbENKUlT_T0_E_clISt17integral_constantIbLb0EEST_IbLb1EEEEDaSP_SQ_EUlSP_E_NS1_11comp_targetILNS1_3genE0ELNS1_11target_archE4294967295ELNS1_3gpuE0ELNS1_3repE0EEENS1_30default_config_static_selectorELNS0_4arch9wavefront6targetE1EEEvT1_
	.p2align	8
	.type	_ZN7rocprim17ROCPRIM_400000_NS6detail17trampoline_kernelINS0_14default_configENS1_20scan_config_selectorIiEEZZNS1_9scan_implILNS1_25lookback_scan_determinismE0ELb0ELb0ES3_N6thrust23THRUST_200600_302600_NS6detail15normal_iteratorINS9_10device_ptrIiEEEESE_iNS9_4plusIvEEiEEDaPvRmT3_T4_T5_mT6_P12ihipStream_tbENKUlT_T0_E_clISt17integral_constantIbLb0EEST_IbLb1EEEEDaSP_SQ_EUlSP_E_NS1_11comp_targetILNS1_3genE0ELNS1_11target_archE4294967295ELNS1_3gpuE0ELNS1_3repE0EEENS1_30default_config_static_selectorELNS0_4arch9wavefront6targetE1EEEvT1_,@function
_ZN7rocprim17ROCPRIM_400000_NS6detail17trampoline_kernelINS0_14default_configENS1_20scan_config_selectorIiEEZZNS1_9scan_implILNS1_25lookback_scan_determinismE0ELb0ELb0ES3_N6thrust23THRUST_200600_302600_NS6detail15normal_iteratorINS9_10device_ptrIiEEEESE_iNS9_4plusIvEEiEEDaPvRmT3_T4_T5_mT6_P12ihipStream_tbENKUlT_T0_E_clISt17integral_constantIbLb0EEST_IbLb1EEEEDaSP_SQ_EUlSP_E_NS1_11comp_targetILNS1_3genE0ELNS1_11target_archE4294967295ELNS1_3gpuE0ELNS1_3repE0EEENS1_30default_config_static_selectorELNS0_4arch9wavefront6targetE1EEEvT1_: ; @_ZN7rocprim17ROCPRIM_400000_NS6detail17trampoline_kernelINS0_14default_configENS1_20scan_config_selectorIiEEZZNS1_9scan_implILNS1_25lookback_scan_determinismE0ELb0ELb0ES3_N6thrust23THRUST_200600_302600_NS6detail15normal_iteratorINS9_10device_ptrIiEEEESE_iNS9_4plusIvEEiEEDaPvRmT3_T4_T5_mT6_P12ihipStream_tbENKUlT_T0_E_clISt17integral_constantIbLb0EEST_IbLb1EEEEDaSP_SQ_EUlSP_E_NS1_11comp_targetILNS1_3genE0ELNS1_11target_archE4294967295ELNS1_3gpuE0ELNS1_3repE0EEENS1_30default_config_static_selectorELNS0_4arch9wavefront6targetE1EEEvT1_
; %bb.0:
	.section	.rodata,"a",@progbits
	.p2align	6, 0x0
	.amdhsa_kernel _ZN7rocprim17ROCPRIM_400000_NS6detail17trampoline_kernelINS0_14default_configENS1_20scan_config_selectorIiEEZZNS1_9scan_implILNS1_25lookback_scan_determinismE0ELb0ELb0ES3_N6thrust23THRUST_200600_302600_NS6detail15normal_iteratorINS9_10device_ptrIiEEEESE_iNS9_4plusIvEEiEEDaPvRmT3_T4_T5_mT6_P12ihipStream_tbENKUlT_T0_E_clISt17integral_constantIbLb0EEST_IbLb1EEEEDaSP_SQ_EUlSP_E_NS1_11comp_targetILNS1_3genE0ELNS1_11target_archE4294967295ELNS1_3gpuE0ELNS1_3repE0EEENS1_30default_config_static_selectorELNS0_4arch9wavefront6targetE1EEEvT1_
		.amdhsa_group_segment_fixed_size 0
		.amdhsa_private_segment_fixed_size 0
		.amdhsa_kernarg_size 96
		.amdhsa_user_sgpr_count 6
		.amdhsa_user_sgpr_private_segment_buffer 1
		.amdhsa_user_sgpr_dispatch_ptr 0
		.amdhsa_user_sgpr_queue_ptr 0
		.amdhsa_user_sgpr_kernarg_segment_ptr 1
		.amdhsa_user_sgpr_dispatch_id 0
		.amdhsa_user_sgpr_flat_scratch_init 0
		.amdhsa_user_sgpr_kernarg_preload_length 0
		.amdhsa_user_sgpr_kernarg_preload_offset 0
		.amdhsa_user_sgpr_private_segment_size 0
		.amdhsa_uses_dynamic_stack 0
		.amdhsa_system_sgpr_private_segment_wavefront_offset 0
		.amdhsa_system_sgpr_workgroup_id_x 1
		.amdhsa_system_sgpr_workgroup_id_y 0
		.amdhsa_system_sgpr_workgroup_id_z 0
		.amdhsa_system_sgpr_workgroup_info 0
		.amdhsa_system_vgpr_workitem_id 0
		.amdhsa_next_free_vgpr 1
		.amdhsa_next_free_sgpr 0
		.amdhsa_accum_offset 4
		.amdhsa_reserve_vcc 0
		.amdhsa_reserve_flat_scratch 0
		.amdhsa_float_round_mode_32 0
		.amdhsa_float_round_mode_16_64 0
		.amdhsa_float_denorm_mode_32 3
		.amdhsa_float_denorm_mode_16_64 3
		.amdhsa_dx10_clamp 1
		.amdhsa_ieee_mode 1
		.amdhsa_fp16_overflow 0
		.amdhsa_tg_split 0
		.amdhsa_exception_fp_ieee_invalid_op 0
		.amdhsa_exception_fp_denorm_src 0
		.amdhsa_exception_fp_ieee_div_zero 0
		.amdhsa_exception_fp_ieee_overflow 0
		.amdhsa_exception_fp_ieee_underflow 0
		.amdhsa_exception_fp_ieee_inexact 0
		.amdhsa_exception_int_div_zero 0
	.end_amdhsa_kernel
	.section	.text._ZN7rocprim17ROCPRIM_400000_NS6detail17trampoline_kernelINS0_14default_configENS1_20scan_config_selectorIiEEZZNS1_9scan_implILNS1_25lookback_scan_determinismE0ELb0ELb0ES3_N6thrust23THRUST_200600_302600_NS6detail15normal_iteratorINS9_10device_ptrIiEEEESE_iNS9_4plusIvEEiEEDaPvRmT3_T4_T5_mT6_P12ihipStream_tbENKUlT_T0_E_clISt17integral_constantIbLb0EEST_IbLb1EEEEDaSP_SQ_EUlSP_E_NS1_11comp_targetILNS1_3genE0ELNS1_11target_archE4294967295ELNS1_3gpuE0ELNS1_3repE0EEENS1_30default_config_static_selectorELNS0_4arch9wavefront6targetE1EEEvT1_,"axG",@progbits,_ZN7rocprim17ROCPRIM_400000_NS6detail17trampoline_kernelINS0_14default_configENS1_20scan_config_selectorIiEEZZNS1_9scan_implILNS1_25lookback_scan_determinismE0ELb0ELb0ES3_N6thrust23THRUST_200600_302600_NS6detail15normal_iteratorINS9_10device_ptrIiEEEESE_iNS9_4plusIvEEiEEDaPvRmT3_T4_T5_mT6_P12ihipStream_tbENKUlT_T0_E_clISt17integral_constantIbLb0EEST_IbLb1EEEEDaSP_SQ_EUlSP_E_NS1_11comp_targetILNS1_3genE0ELNS1_11target_archE4294967295ELNS1_3gpuE0ELNS1_3repE0EEENS1_30default_config_static_selectorELNS0_4arch9wavefront6targetE1EEEvT1_,comdat
.Lfunc_end1394:
	.size	_ZN7rocprim17ROCPRIM_400000_NS6detail17trampoline_kernelINS0_14default_configENS1_20scan_config_selectorIiEEZZNS1_9scan_implILNS1_25lookback_scan_determinismE0ELb0ELb0ES3_N6thrust23THRUST_200600_302600_NS6detail15normal_iteratorINS9_10device_ptrIiEEEESE_iNS9_4plusIvEEiEEDaPvRmT3_T4_T5_mT6_P12ihipStream_tbENKUlT_T0_E_clISt17integral_constantIbLb0EEST_IbLb1EEEEDaSP_SQ_EUlSP_E_NS1_11comp_targetILNS1_3genE0ELNS1_11target_archE4294967295ELNS1_3gpuE0ELNS1_3repE0EEENS1_30default_config_static_selectorELNS0_4arch9wavefront6targetE1EEEvT1_, .Lfunc_end1394-_ZN7rocprim17ROCPRIM_400000_NS6detail17trampoline_kernelINS0_14default_configENS1_20scan_config_selectorIiEEZZNS1_9scan_implILNS1_25lookback_scan_determinismE0ELb0ELb0ES3_N6thrust23THRUST_200600_302600_NS6detail15normal_iteratorINS9_10device_ptrIiEEEESE_iNS9_4plusIvEEiEEDaPvRmT3_T4_T5_mT6_P12ihipStream_tbENKUlT_T0_E_clISt17integral_constantIbLb0EEST_IbLb1EEEEDaSP_SQ_EUlSP_E_NS1_11comp_targetILNS1_3genE0ELNS1_11target_archE4294967295ELNS1_3gpuE0ELNS1_3repE0EEENS1_30default_config_static_selectorELNS0_4arch9wavefront6targetE1EEEvT1_
                                        ; -- End function
	.section	.AMDGPU.csdata,"",@progbits
; Kernel info:
; codeLenInByte = 0
; NumSgprs: 4
; NumVgprs: 0
; NumAgprs: 0
; TotalNumVgprs: 0
; ScratchSize: 0
; MemoryBound: 0
; FloatMode: 240
; IeeeMode: 1
; LDSByteSize: 0 bytes/workgroup (compile time only)
; SGPRBlocks: 0
; VGPRBlocks: 0
; NumSGPRsForWavesPerEU: 4
; NumVGPRsForWavesPerEU: 1
; AccumOffset: 4
; Occupancy: 8
; WaveLimiterHint : 0
; COMPUTE_PGM_RSRC2:SCRATCH_EN: 0
; COMPUTE_PGM_RSRC2:USER_SGPR: 6
; COMPUTE_PGM_RSRC2:TRAP_HANDLER: 0
; COMPUTE_PGM_RSRC2:TGID_X_EN: 1
; COMPUTE_PGM_RSRC2:TGID_Y_EN: 0
; COMPUTE_PGM_RSRC2:TGID_Z_EN: 0
; COMPUTE_PGM_RSRC2:TIDIG_COMP_CNT: 0
; COMPUTE_PGM_RSRC3_GFX90A:ACCUM_OFFSET: 0
; COMPUTE_PGM_RSRC3_GFX90A:TG_SPLIT: 0
	.section	.text._ZN7rocprim17ROCPRIM_400000_NS6detail17trampoline_kernelINS0_14default_configENS1_20scan_config_selectorIiEEZZNS1_9scan_implILNS1_25lookback_scan_determinismE0ELb0ELb0ES3_N6thrust23THRUST_200600_302600_NS6detail15normal_iteratorINS9_10device_ptrIiEEEESE_iNS9_4plusIvEEiEEDaPvRmT3_T4_T5_mT6_P12ihipStream_tbENKUlT_T0_E_clISt17integral_constantIbLb0EEST_IbLb1EEEEDaSP_SQ_EUlSP_E_NS1_11comp_targetILNS1_3genE5ELNS1_11target_archE942ELNS1_3gpuE9ELNS1_3repE0EEENS1_30default_config_static_selectorELNS0_4arch9wavefront6targetE1EEEvT1_,"axG",@progbits,_ZN7rocprim17ROCPRIM_400000_NS6detail17trampoline_kernelINS0_14default_configENS1_20scan_config_selectorIiEEZZNS1_9scan_implILNS1_25lookback_scan_determinismE0ELb0ELb0ES3_N6thrust23THRUST_200600_302600_NS6detail15normal_iteratorINS9_10device_ptrIiEEEESE_iNS9_4plusIvEEiEEDaPvRmT3_T4_T5_mT6_P12ihipStream_tbENKUlT_T0_E_clISt17integral_constantIbLb0EEST_IbLb1EEEEDaSP_SQ_EUlSP_E_NS1_11comp_targetILNS1_3genE5ELNS1_11target_archE942ELNS1_3gpuE9ELNS1_3repE0EEENS1_30default_config_static_selectorELNS0_4arch9wavefront6targetE1EEEvT1_,comdat
	.protected	_ZN7rocprim17ROCPRIM_400000_NS6detail17trampoline_kernelINS0_14default_configENS1_20scan_config_selectorIiEEZZNS1_9scan_implILNS1_25lookback_scan_determinismE0ELb0ELb0ES3_N6thrust23THRUST_200600_302600_NS6detail15normal_iteratorINS9_10device_ptrIiEEEESE_iNS9_4plusIvEEiEEDaPvRmT3_T4_T5_mT6_P12ihipStream_tbENKUlT_T0_E_clISt17integral_constantIbLb0EEST_IbLb1EEEEDaSP_SQ_EUlSP_E_NS1_11comp_targetILNS1_3genE5ELNS1_11target_archE942ELNS1_3gpuE9ELNS1_3repE0EEENS1_30default_config_static_selectorELNS0_4arch9wavefront6targetE1EEEvT1_ ; -- Begin function _ZN7rocprim17ROCPRIM_400000_NS6detail17trampoline_kernelINS0_14default_configENS1_20scan_config_selectorIiEEZZNS1_9scan_implILNS1_25lookback_scan_determinismE0ELb0ELb0ES3_N6thrust23THRUST_200600_302600_NS6detail15normal_iteratorINS9_10device_ptrIiEEEESE_iNS9_4plusIvEEiEEDaPvRmT3_T4_T5_mT6_P12ihipStream_tbENKUlT_T0_E_clISt17integral_constantIbLb0EEST_IbLb1EEEEDaSP_SQ_EUlSP_E_NS1_11comp_targetILNS1_3genE5ELNS1_11target_archE942ELNS1_3gpuE9ELNS1_3repE0EEENS1_30default_config_static_selectorELNS0_4arch9wavefront6targetE1EEEvT1_
	.globl	_ZN7rocprim17ROCPRIM_400000_NS6detail17trampoline_kernelINS0_14default_configENS1_20scan_config_selectorIiEEZZNS1_9scan_implILNS1_25lookback_scan_determinismE0ELb0ELb0ES3_N6thrust23THRUST_200600_302600_NS6detail15normal_iteratorINS9_10device_ptrIiEEEESE_iNS9_4plusIvEEiEEDaPvRmT3_T4_T5_mT6_P12ihipStream_tbENKUlT_T0_E_clISt17integral_constantIbLb0EEST_IbLb1EEEEDaSP_SQ_EUlSP_E_NS1_11comp_targetILNS1_3genE5ELNS1_11target_archE942ELNS1_3gpuE9ELNS1_3repE0EEENS1_30default_config_static_selectorELNS0_4arch9wavefront6targetE1EEEvT1_
	.p2align	8
	.type	_ZN7rocprim17ROCPRIM_400000_NS6detail17trampoline_kernelINS0_14default_configENS1_20scan_config_selectorIiEEZZNS1_9scan_implILNS1_25lookback_scan_determinismE0ELb0ELb0ES3_N6thrust23THRUST_200600_302600_NS6detail15normal_iteratorINS9_10device_ptrIiEEEESE_iNS9_4plusIvEEiEEDaPvRmT3_T4_T5_mT6_P12ihipStream_tbENKUlT_T0_E_clISt17integral_constantIbLb0EEST_IbLb1EEEEDaSP_SQ_EUlSP_E_NS1_11comp_targetILNS1_3genE5ELNS1_11target_archE942ELNS1_3gpuE9ELNS1_3repE0EEENS1_30default_config_static_selectorELNS0_4arch9wavefront6targetE1EEEvT1_,@function
_ZN7rocprim17ROCPRIM_400000_NS6detail17trampoline_kernelINS0_14default_configENS1_20scan_config_selectorIiEEZZNS1_9scan_implILNS1_25lookback_scan_determinismE0ELb0ELb0ES3_N6thrust23THRUST_200600_302600_NS6detail15normal_iteratorINS9_10device_ptrIiEEEESE_iNS9_4plusIvEEiEEDaPvRmT3_T4_T5_mT6_P12ihipStream_tbENKUlT_T0_E_clISt17integral_constantIbLb0EEST_IbLb1EEEEDaSP_SQ_EUlSP_E_NS1_11comp_targetILNS1_3genE5ELNS1_11target_archE942ELNS1_3gpuE9ELNS1_3repE0EEENS1_30default_config_static_selectorELNS0_4arch9wavefront6targetE1EEEvT1_: ; @_ZN7rocprim17ROCPRIM_400000_NS6detail17trampoline_kernelINS0_14default_configENS1_20scan_config_selectorIiEEZZNS1_9scan_implILNS1_25lookback_scan_determinismE0ELb0ELb0ES3_N6thrust23THRUST_200600_302600_NS6detail15normal_iteratorINS9_10device_ptrIiEEEESE_iNS9_4plusIvEEiEEDaPvRmT3_T4_T5_mT6_P12ihipStream_tbENKUlT_T0_E_clISt17integral_constantIbLb0EEST_IbLb1EEEEDaSP_SQ_EUlSP_E_NS1_11comp_targetILNS1_3genE5ELNS1_11target_archE942ELNS1_3gpuE9ELNS1_3repE0EEENS1_30default_config_static_selectorELNS0_4arch9wavefront6targetE1EEEvT1_
; %bb.0:
	.section	.rodata,"a",@progbits
	.p2align	6, 0x0
	.amdhsa_kernel _ZN7rocprim17ROCPRIM_400000_NS6detail17trampoline_kernelINS0_14default_configENS1_20scan_config_selectorIiEEZZNS1_9scan_implILNS1_25lookback_scan_determinismE0ELb0ELb0ES3_N6thrust23THRUST_200600_302600_NS6detail15normal_iteratorINS9_10device_ptrIiEEEESE_iNS9_4plusIvEEiEEDaPvRmT3_T4_T5_mT6_P12ihipStream_tbENKUlT_T0_E_clISt17integral_constantIbLb0EEST_IbLb1EEEEDaSP_SQ_EUlSP_E_NS1_11comp_targetILNS1_3genE5ELNS1_11target_archE942ELNS1_3gpuE9ELNS1_3repE0EEENS1_30default_config_static_selectorELNS0_4arch9wavefront6targetE1EEEvT1_
		.amdhsa_group_segment_fixed_size 0
		.amdhsa_private_segment_fixed_size 0
		.amdhsa_kernarg_size 96
		.amdhsa_user_sgpr_count 6
		.amdhsa_user_sgpr_private_segment_buffer 1
		.amdhsa_user_sgpr_dispatch_ptr 0
		.amdhsa_user_sgpr_queue_ptr 0
		.amdhsa_user_sgpr_kernarg_segment_ptr 1
		.amdhsa_user_sgpr_dispatch_id 0
		.amdhsa_user_sgpr_flat_scratch_init 0
		.amdhsa_user_sgpr_kernarg_preload_length 0
		.amdhsa_user_sgpr_kernarg_preload_offset 0
		.amdhsa_user_sgpr_private_segment_size 0
		.amdhsa_uses_dynamic_stack 0
		.amdhsa_system_sgpr_private_segment_wavefront_offset 0
		.amdhsa_system_sgpr_workgroup_id_x 1
		.amdhsa_system_sgpr_workgroup_id_y 0
		.amdhsa_system_sgpr_workgroup_id_z 0
		.amdhsa_system_sgpr_workgroup_info 0
		.amdhsa_system_vgpr_workitem_id 0
		.amdhsa_next_free_vgpr 1
		.amdhsa_next_free_sgpr 0
		.amdhsa_accum_offset 4
		.amdhsa_reserve_vcc 0
		.amdhsa_reserve_flat_scratch 0
		.amdhsa_float_round_mode_32 0
		.amdhsa_float_round_mode_16_64 0
		.amdhsa_float_denorm_mode_32 3
		.amdhsa_float_denorm_mode_16_64 3
		.amdhsa_dx10_clamp 1
		.amdhsa_ieee_mode 1
		.amdhsa_fp16_overflow 0
		.amdhsa_tg_split 0
		.amdhsa_exception_fp_ieee_invalid_op 0
		.amdhsa_exception_fp_denorm_src 0
		.amdhsa_exception_fp_ieee_div_zero 0
		.amdhsa_exception_fp_ieee_overflow 0
		.amdhsa_exception_fp_ieee_underflow 0
		.amdhsa_exception_fp_ieee_inexact 0
		.amdhsa_exception_int_div_zero 0
	.end_amdhsa_kernel
	.section	.text._ZN7rocprim17ROCPRIM_400000_NS6detail17trampoline_kernelINS0_14default_configENS1_20scan_config_selectorIiEEZZNS1_9scan_implILNS1_25lookback_scan_determinismE0ELb0ELb0ES3_N6thrust23THRUST_200600_302600_NS6detail15normal_iteratorINS9_10device_ptrIiEEEESE_iNS9_4plusIvEEiEEDaPvRmT3_T4_T5_mT6_P12ihipStream_tbENKUlT_T0_E_clISt17integral_constantIbLb0EEST_IbLb1EEEEDaSP_SQ_EUlSP_E_NS1_11comp_targetILNS1_3genE5ELNS1_11target_archE942ELNS1_3gpuE9ELNS1_3repE0EEENS1_30default_config_static_selectorELNS0_4arch9wavefront6targetE1EEEvT1_,"axG",@progbits,_ZN7rocprim17ROCPRIM_400000_NS6detail17trampoline_kernelINS0_14default_configENS1_20scan_config_selectorIiEEZZNS1_9scan_implILNS1_25lookback_scan_determinismE0ELb0ELb0ES3_N6thrust23THRUST_200600_302600_NS6detail15normal_iteratorINS9_10device_ptrIiEEEESE_iNS9_4plusIvEEiEEDaPvRmT3_T4_T5_mT6_P12ihipStream_tbENKUlT_T0_E_clISt17integral_constantIbLb0EEST_IbLb1EEEEDaSP_SQ_EUlSP_E_NS1_11comp_targetILNS1_3genE5ELNS1_11target_archE942ELNS1_3gpuE9ELNS1_3repE0EEENS1_30default_config_static_selectorELNS0_4arch9wavefront6targetE1EEEvT1_,comdat
.Lfunc_end1395:
	.size	_ZN7rocprim17ROCPRIM_400000_NS6detail17trampoline_kernelINS0_14default_configENS1_20scan_config_selectorIiEEZZNS1_9scan_implILNS1_25lookback_scan_determinismE0ELb0ELb0ES3_N6thrust23THRUST_200600_302600_NS6detail15normal_iteratorINS9_10device_ptrIiEEEESE_iNS9_4plusIvEEiEEDaPvRmT3_T4_T5_mT6_P12ihipStream_tbENKUlT_T0_E_clISt17integral_constantIbLb0EEST_IbLb1EEEEDaSP_SQ_EUlSP_E_NS1_11comp_targetILNS1_3genE5ELNS1_11target_archE942ELNS1_3gpuE9ELNS1_3repE0EEENS1_30default_config_static_selectorELNS0_4arch9wavefront6targetE1EEEvT1_, .Lfunc_end1395-_ZN7rocprim17ROCPRIM_400000_NS6detail17trampoline_kernelINS0_14default_configENS1_20scan_config_selectorIiEEZZNS1_9scan_implILNS1_25lookback_scan_determinismE0ELb0ELb0ES3_N6thrust23THRUST_200600_302600_NS6detail15normal_iteratorINS9_10device_ptrIiEEEESE_iNS9_4plusIvEEiEEDaPvRmT3_T4_T5_mT6_P12ihipStream_tbENKUlT_T0_E_clISt17integral_constantIbLb0EEST_IbLb1EEEEDaSP_SQ_EUlSP_E_NS1_11comp_targetILNS1_3genE5ELNS1_11target_archE942ELNS1_3gpuE9ELNS1_3repE0EEENS1_30default_config_static_selectorELNS0_4arch9wavefront6targetE1EEEvT1_
                                        ; -- End function
	.section	.AMDGPU.csdata,"",@progbits
; Kernel info:
; codeLenInByte = 0
; NumSgprs: 4
; NumVgprs: 0
; NumAgprs: 0
; TotalNumVgprs: 0
; ScratchSize: 0
; MemoryBound: 0
; FloatMode: 240
; IeeeMode: 1
; LDSByteSize: 0 bytes/workgroup (compile time only)
; SGPRBlocks: 0
; VGPRBlocks: 0
; NumSGPRsForWavesPerEU: 4
; NumVGPRsForWavesPerEU: 1
; AccumOffset: 4
; Occupancy: 8
; WaveLimiterHint : 0
; COMPUTE_PGM_RSRC2:SCRATCH_EN: 0
; COMPUTE_PGM_RSRC2:USER_SGPR: 6
; COMPUTE_PGM_RSRC2:TRAP_HANDLER: 0
; COMPUTE_PGM_RSRC2:TGID_X_EN: 1
; COMPUTE_PGM_RSRC2:TGID_Y_EN: 0
; COMPUTE_PGM_RSRC2:TGID_Z_EN: 0
; COMPUTE_PGM_RSRC2:TIDIG_COMP_CNT: 0
; COMPUTE_PGM_RSRC3_GFX90A:ACCUM_OFFSET: 0
; COMPUTE_PGM_RSRC3_GFX90A:TG_SPLIT: 0
	.section	.text._ZN7rocprim17ROCPRIM_400000_NS6detail17trampoline_kernelINS0_14default_configENS1_20scan_config_selectorIiEEZZNS1_9scan_implILNS1_25lookback_scan_determinismE0ELb0ELb0ES3_N6thrust23THRUST_200600_302600_NS6detail15normal_iteratorINS9_10device_ptrIiEEEESE_iNS9_4plusIvEEiEEDaPvRmT3_T4_T5_mT6_P12ihipStream_tbENKUlT_T0_E_clISt17integral_constantIbLb0EEST_IbLb1EEEEDaSP_SQ_EUlSP_E_NS1_11comp_targetILNS1_3genE4ELNS1_11target_archE910ELNS1_3gpuE8ELNS1_3repE0EEENS1_30default_config_static_selectorELNS0_4arch9wavefront6targetE1EEEvT1_,"axG",@progbits,_ZN7rocprim17ROCPRIM_400000_NS6detail17trampoline_kernelINS0_14default_configENS1_20scan_config_selectorIiEEZZNS1_9scan_implILNS1_25lookback_scan_determinismE0ELb0ELb0ES3_N6thrust23THRUST_200600_302600_NS6detail15normal_iteratorINS9_10device_ptrIiEEEESE_iNS9_4plusIvEEiEEDaPvRmT3_T4_T5_mT6_P12ihipStream_tbENKUlT_T0_E_clISt17integral_constantIbLb0EEST_IbLb1EEEEDaSP_SQ_EUlSP_E_NS1_11comp_targetILNS1_3genE4ELNS1_11target_archE910ELNS1_3gpuE8ELNS1_3repE0EEENS1_30default_config_static_selectorELNS0_4arch9wavefront6targetE1EEEvT1_,comdat
	.protected	_ZN7rocprim17ROCPRIM_400000_NS6detail17trampoline_kernelINS0_14default_configENS1_20scan_config_selectorIiEEZZNS1_9scan_implILNS1_25lookback_scan_determinismE0ELb0ELb0ES3_N6thrust23THRUST_200600_302600_NS6detail15normal_iteratorINS9_10device_ptrIiEEEESE_iNS9_4plusIvEEiEEDaPvRmT3_T4_T5_mT6_P12ihipStream_tbENKUlT_T0_E_clISt17integral_constantIbLb0EEST_IbLb1EEEEDaSP_SQ_EUlSP_E_NS1_11comp_targetILNS1_3genE4ELNS1_11target_archE910ELNS1_3gpuE8ELNS1_3repE0EEENS1_30default_config_static_selectorELNS0_4arch9wavefront6targetE1EEEvT1_ ; -- Begin function _ZN7rocprim17ROCPRIM_400000_NS6detail17trampoline_kernelINS0_14default_configENS1_20scan_config_selectorIiEEZZNS1_9scan_implILNS1_25lookback_scan_determinismE0ELb0ELb0ES3_N6thrust23THRUST_200600_302600_NS6detail15normal_iteratorINS9_10device_ptrIiEEEESE_iNS9_4plusIvEEiEEDaPvRmT3_T4_T5_mT6_P12ihipStream_tbENKUlT_T0_E_clISt17integral_constantIbLb0EEST_IbLb1EEEEDaSP_SQ_EUlSP_E_NS1_11comp_targetILNS1_3genE4ELNS1_11target_archE910ELNS1_3gpuE8ELNS1_3repE0EEENS1_30default_config_static_selectorELNS0_4arch9wavefront6targetE1EEEvT1_
	.globl	_ZN7rocprim17ROCPRIM_400000_NS6detail17trampoline_kernelINS0_14default_configENS1_20scan_config_selectorIiEEZZNS1_9scan_implILNS1_25lookback_scan_determinismE0ELb0ELb0ES3_N6thrust23THRUST_200600_302600_NS6detail15normal_iteratorINS9_10device_ptrIiEEEESE_iNS9_4plusIvEEiEEDaPvRmT3_T4_T5_mT6_P12ihipStream_tbENKUlT_T0_E_clISt17integral_constantIbLb0EEST_IbLb1EEEEDaSP_SQ_EUlSP_E_NS1_11comp_targetILNS1_3genE4ELNS1_11target_archE910ELNS1_3gpuE8ELNS1_3repE0EEENS1_30default_config_static_selectorELNS0_4arch9wavefront6targetE1EEEvT1_
	.p2align	8
	.type	_ZN7rocprim17ROCPRIM_400000_NS6detail17trampoline_kernelINS0_14default_configENS1_20scan_config_selectorIiEEZZNS1_9scan_implILNS1_25lookback_scan_determinismE0ELb0ELb0ES3_N6thrust23THRUST_200600_302600_NS6detail15normal_iteratorINS9_10device_ptrIiEEEESE_iNS9_4plusIvEEiEEDaPvRmT3_T4_T5_mT6_P12ihipStream_tbENKUlT_T0_E_clISt17integral_constantIbLb0EEST_IbLb1EEEEDaSP_SQ_EUlSP_E_NS1_11comp_targetILNS1_3genE4ELNS1_11target_archE910ELNS1_3gpuE8ELNS1_3repE0EEENS1_30default_config_static_selectorELNS0_4arch9wavefront6targetE1EEEvT1_,@function
_ZN7rocprim17ROCPRIM_400000_NS6detail17trampoline_kernelINS0_14default_configENS1_20scan_config_selectorIiEEZZNS1_9scan_implILNS1_25lookback_scan_determinismE0ELb0ELb0ES3_N6thrust23THRUST_200600_302600_NS6detail15normal_iteratorINS9_10device_ptrIiEEEESE_iNS9_4plusIvEEiEEDaPvRmT3_T4_T5_mT6_P12ihipStream_tbENKUlT_T0_E_clISt17integral_constantIbLb0EEST_IbLb1EEEEDaSP_SQ_EUlSP_E_NS1_11comp_targetILNS1_3genE4ELNS1_11target_archE910ELNS1_3gpuE8ELNS1_3repE0EEENS1_30default_config_static_selectorELNS0_4arch9wavefront6targetE1EEEvT1_: ; @_ZN7rocprim17ROCPRIM_400000_NS6detail17trampoline_kernelINS0_14default_configENS1_20scan_config_selectorIiEEZZNS1_9scan_implILNS1_25lookback_scan_determinismE0ELb0ELb0ES3_N6thrust23THRUST_200600_302600_NS6detail15normal_iteratorINS9_10device_ptrIiEEEESE_iNS9_4plusIvEEiEEDaPvRmT3_T4_T5_mT6_P12ihipStream_tbENKUlT_T0_E_clISt17integral_constantIbLb0EEST_IbLb1EEEEDaSP_SQ_EUlSP_E_NS1_11comp_targetILNS1_3genE4ELNS1_11target_archE910ELNS1_3gpuE8ELNS1_3repE0EEENS1_30default_config_static_selectorELNS0_4arch9wavefront6targetE1EEEvT1_
; %bb.0:
	s_load_dwordx2 s[6:7], s[4:5], 0x28
	v_cmp_ne_u32_e64 s[0:1], 0, v0
	v_cmp_eq_u32_e64 s[2:3], 0, v0
	s_and_saveexec_b64 s[8:9], s[2:3]
	s_cbranch_execz .LBB1396_4
; %bb.1:
	s_mov_b64 s[12:13], exec
	v_mbcnt_lo_u32_b32 v1, s12, 0
	v_mbcnt_hi_u32_b32 v1, s13, v1
	v_cmp_eq_u32_e32 vcc, 0, v1
                                        ; implicit-def: $vgpr2
	s_and_saveexec_b64 s[10:11], vcc
	s_cbranch_execz .LBB1396_3
; %bb.2:
	s_load_dwordx2 s[14:15], s[4:5], 0x58
	s_bcnt1_i32_b64 s12, s[12:13]
	v_mov_b32_e32 v2, 0
	v_mov_b32_e32 v3, s12
	s_waitcnt lgkmcnt(0)
	global_atomic_add v2, v2, v3, s[14:15] glc
.LBB1396_3:
	s_or_b64 exec, exec, s[10:11]
	s_waitcnt vmcnt(0)
	v_readfirstlane_b32 s10, v2
	v_add_u32_e32 v1, s10, v1
	v_mov_b32_e32 v2, 0
	ds_write_b32 v2, v1
.LBB1396_4:
	s_or_b64 exec, exec, s[8:9]
	s_load_dwordx8 s[16:23], s[4:5], 0x0
	s_load_dword s24, s[4:5], 0x30
	s_load_dwordx8 s[8:15], s[4:5], 0x38
	v_mov_b32_e32 v1, 0
	s_waitcnt lgkmcnt(0)
	s_barrier
	ds_read_b32 v1, v1
	s_lshl_b64 s[18:19], s[18:19], 2
	s_add_u32 s25, s16, s18
	s_addc_u32 s26, s17, s19
	s_add_i32 s16, s24, -1
	s_mul_i32 s17, s16, 0x500
	s_sub_u32 s30, s22, s17
	s_waitcnt lgkmcnt(0)
	v_readfirstlane_b32 s33, v1
	s_subb_u32 s31, s23, 0
	s_mul_i32 s4, s33, 0x500
	s_mov_b32 s5, 0
	s_cmp_lg_u32 s33, s16
	s_cselect_b64 s[16:17], -1, 0
	s_lshl_b64 s[22:23], s[4:5], 2
	s_add_u32 s24, s25, s22
	s_addc_u32 s25, s26, s23
	s_mov_b64 s[4:5], -1
	s_and_b64 vcc, exec, s[16:17]
	v_lshlrev_b32_e32 v22, 2, v0
	s_barrier
	s_cbranch_vccz .LBB1396_6
; %bb.5:
	v_mov_b32_e32 v1, s25
	v_add_co_u32_e32 v2, vcc, s24, v22
	v_addc_co_u32_e32 v3, vcc, 0, v1, vcc
	flat_load_dword v1, v[2:3]
	flat_load_dword v4, v[2:3] offset:512
	flat_load_dword v5, v[2:3] offset:1024
	;; [unrolled: 1-line block ×7, first 2 shown]
	v_add_co_u32_e32 v2, vcc, 0x1000, v2
	v_addc_co_u32_e32 v3, vcc, 0, v3, vcc
	flat_load_dword v11, v[2:3]
	flat_load_dword v12, v[2:3] offset:512
	s_mov_b64 s[4:5], 0
	s_waitcnt vmcnt(0) lgkmcnt(0)
	ds_write2st64_b32 v22, v1, v4 offset1:2
	ds_write2st64_b32 v22, v5, v6 offset0:4 offset1:6
	ds_write2st64_b32 v22, v7, v8 offset0:8 offset1:10
	;; [unrolled: 1-line block ×4, first 2 shown]
	s_waitcnt lgkmcnt(0)
	s_barrier
.LBB1396_6:
	s_andn2_b64 vcc, exec, s[4:5]
	v_cmp_gt_u32_e64 s[4:5], s30, v0
	s_cbranch_vccnz .LBB1396_28
; %bb.7:
	v_pk_mov_b32 v[2:3], s[24:25], s[24:25] op_sel:[0,1]
	flat_load_dword v1, v[2:3]
	s_waitcnt vmcnt(0) lgkmcnt(0)
	v_mov_b32_e32 v2, v1
	v_mov_b32_e32 v3, v1
	v_mov_b32_e32 v4, v1
	v_mov_b32_e32 v5, v1
	v_mov_b32_e32 v6, v1
	v_mov_b32_e32 v7, v1
	v_mov_b32_e32 v8, v1
	v_mov_b32_e32 v9, v1
	v_mov_b32_e32 v10, v1
	s_and_saveexec_b64 s[26:27], s[4:5]
	s_cbranch_execz .LBB1396_9
; %bb.8:
	v_mov_b32_e32 v11, s25
	v_add_co_u32_e32 v10, vcc, s24, v22
	v_addc_co_u32_e32 v11, vcc, 0, v11, vcc
	flat_load_dword v10, v[10:11]
.LBB1396_9:
	s_or_b64 exec, exec, s[26:27]
	v_or_b32_e32 v11, 0x80, v0
	v_cmp_gt_u32_e32 vcc, s30, v11
	s_and_saveexec_b64 s[4:5], vcc
	s_cbranch_execz .LBB1396_11
; %bb.10:
	v_mov_b32_e32 v1, s25
	v_add_co_u32_e32 v12, vcc, s24, v22
	v_addc_co_u32_e32 v13, vcc, 0, v1, vcc
	flat_load_dword v1, v[12:13] offset:512
.LBB1396_11:
	s_or_b64 exec, exec, s[4:5]
	v_or_b32_e32 v11, 0x100, v0
	v_cmp_gt_u32_e32 vcc, s30, v11
	s_and_saveexec_b64 s[4:5], vcc
	s_cbranch_execz .LBB1396_13
; %bb.12:
	v_mov_b32_e32 v2, s25
	v_add_co_u32_e32 v12, vcc, s24, v22
	v_addc_co_u32_e32 v13, vcc, 0, v2, vcc
	flat_load_dword v2, v[12:13] offset:1024
.LBB1396_13:
	;; [unrolled: 11-line block ×7, first 2 shown]
	s_or_b64 exec, exec, s[4:5]
	v_or_b32_e32 v11, 0x400, v0
	v_cmp_gt_u32_e32 vcc, s30, v11
	s_and_saveexec_b64 s[4:5], vcc
	s_cbranch_execz .LBB1396_25
; %bb.24:
	v_lshlrev_b32_e32 v8, 2, v11
	v_mov_b32_e32 v11, s25
	v_add_co_u32_e32 v12, vcc, s24, v8
	v_addc_co_u32_e32 v13, vcc, 0, v11, vcc
	flat_load_dword v8, v[12:13]
.LBB1396_25:
	s_or_b64 exec, exec, s[4:5]
	v_or_b32_e32 v11, 0x480, v0
	v_cmp_gt_u32_e32 vcc, s30, v11
	s_and_saveexec_b64 s[4:5], vcc
	s_cbranch_execz .LBB1396_27
; %bb.26:
	v_lshlrev_b32_e32 v9, 2, v11
	v_mov_b32_e32 v11, s25
	v_add_co_u32_e32 v12, vcc, s24, v9
	v_addc_co_u32_e32 v13, vcc, 0, v11, vcc
	flat_load_dword v9, v[12:13]
.LBB1396_27:
	s_or_b64 exec, exec, s[4:5]
	s_waitcnt vmcnt(0) lgkmcnt(0)
	ds_write2st64_b32 v22, v10, v1 offset1:2
	ds_write2st64_b32 v22, v2, v3 offset0:4 offset1:6
	ds_write2st64_b32 v22, v4, v5 offset0:8 offset1:10
	;; [unrolled: 1-line block ×4, first 2 shown]
	s_waitcnt lgkmcnt(0)
	s_barrier
.LBB1396_28:
	v_mul_u32_u24_e32 v23, 10, v0
	v_lshlrev_b32_e32 v1, 2, v23
	ds_read2_b64 v[2:5], v1 offset1:1
	ds_read2_b64 v[16:19], v1 offset0:2 offset1:3
	ds_read_b64 v[20:21], v1 offset:32
	s_cmp_lg_u32 s33, 0
	v_lshrrev_b32_e32 v24, 5, v0
	v_cmp_gt_u32_e32 vcc, 64, v0
	s_waitcnt lgkmcnt(0)
	s_barrier
	s_cbranch_scc0 .LBB1396_53
; %bb.29:
	v_add_u32_e32 v6, v3, v2
	v_add3_u32 v6, v6, v4, v5
	v_add3_u32 v6, v6, v16, v17
	;; [unrolled: 1-line block ×4, first 2 shown]
	v_add_lshl_u32 v7, v24, v0, 2
	ds_write_b32 v7, v6
	s_waitcnt lgkmcnt(0)
	s_barrier
	s_and_saveexec_b64 s[24:25], vcc
	s_cbranch_execz .LBB1396_31
; %bb.30:
	v_lshlrev_b32_e32 v7, 1, v0
	v_lshrrev_b32_e32 v8, 4, v0
	v_add_lshl_u32 v7, v8, v7, 2
	ds_read2_b32 v[8:9], v7 offset1:1
	v_mbcnt_lo_u32_b32 v10, -1, 0
	v_mbcnt_hi_u32_b32 v10, -1, v10
	v_and_b32_e32 v11, 15, v10
	v_cmp_ne_u32_e64 s[4:5], 0, v11
	s_waitcnt lgkmcnt(0)
	v_add_u32_e32 v9, v9, v8
	; wave barrier
	s_nop 1
	v_mov_b32_dpp v12, v9 row_shr:1 row_mask:0xf bank_mask:0xf
	v_cndmask_b32_e64 v12, 0, v12, s[4:5]
	v_add_u32_e32 v9, v12, v9
	v_cmp_lt_u32_e64 s[4:5], 1, v11
	s_nop 0
	v_mov_b32_dpp v12, v9 row_shr:2 row_mask:0xf bank_mask:0xf
	v_cndmask_b32_e64 v12, 0, v12, s[4:5]
	v_add_u32_e32 v9, v9, v12
	v_cmp_lt_u32_e64 s[4:5], 3, v11
	;; [unrolled: 5-line block ×3, first 2 shown]
	s_nop 0
	v_mov_b32_dpp v12, v9 row_shr:8 row_mask:0xf bank_mask:0xf
	v_cndmask_b32_e64 v11, 0, v12, s[4:5]
	v_add_u32_e32 v9, v9, v11
	v_bfe_i32 v12, v10, 4, 1
	v_cmp_lt_u32_e64 s[4:5], 31, v10
	v_mov_b32_dpp v11, v9 row_bcast:15 row_mask:0xf bank_mask:0xf
	v_and_b32_e32 v11, v12, v11
	v_add_u32_e32 v9, v9, v11
	v_and_b32_e32 v12, 64, v10
	s_nop 0
	v_mov_b32_dpp v11, v9 row_bcast:31 row_mask:0xf bank_mask:0xf
	v_cndmask_b32_e64 v11, 0, v11, s[4:5]
	v_add_u32_e32 v9, v9, v11
	v_add_u32_e32 v11, -1, v10
	v_cmp_lt_i32_e64 s[4:5], v11, v12
	v_cndmask_b32_e64 v10, v11, v10, s[4:5]
	v_lshlrev_b32_e32 v10, 2, v10
	ds_bpermute_b32 v9, v10, v9
	s_waitcnt lgkmcnt(0)
	v_add_u32_e32 v8, v9, v8
	v_cndmask_b32_e64 v6, v8, v6, s[2:3]
	ds_write_b32 v7, v6
	; wave barrier
	ds_read_b32 v8, v7 offset:4
	s_waitcnt lgkmcnt(0)
	v_add_u32_e32 v6, v8, v6
	ds_write_b32 v7, v6 offset:4
.LBB1396_31:
	s_or_b64 exec, exec, s[24:25]
	v_mov_b32_e32 v25, 0
	s_waitcnt lgkmcnt(0)
	s_barrier
	s_and_saveexec_b64 s[4:5], s[0:1]
	s_cbranch_execz .LBB1396_33
; %bb.32:
	v_add_u32_e32 v6, -1, v0
	v_lshrrev_b32_e32 v7, 5, v6
	v_add_lshl_u32 v6, v7, v6, 2
	ds_read_b32 v25, v6
.LBB1396_33:
	s_or_b64 exec, exec, s[4:5]
	s_and_saveexec_b64 s[24:25], vcc
	s_cbranch_execz .LBB1396_52
; %bb.34:
	v_mov_b32_e32 v13, 0
	ds_read_b32 v6, v13 offset:520
	v_mbcnt_lo_u32_b32 v7, -1, 0
	v_mbcnt_hi_u32_b32 v9, -1, v7
	s_mov_b32 s29, 0
	v_cmp_eq_u32_e64 s[4:5], 0, v9
	s_and_saveexec_b64 s[26:27], s[4:5]
	s_cbranch_execz .LBB1396_36
; %bb.35:
	s_add_i32 s28, s33, 64
	s_lshl_b64 s[28:29], s[28:29], 3
	s_add_u32 s28, s6, s28
	v_mov_b32_e32 v7, 1
	s_addc_u32 s29, s7, s29
	s_waitcnt lgkmcnt(0)
	global_store_dwordx2 v13, v[6:7], s[28:29]
.LBB1396_36:
	s_or_b64 exec, exec, s[26:27]
	v_xad_u32 v8, v9, -1, s33
	v_add_u32_e32 v12, 64, v8
	v_lshlrev_b64 v[10:11], 3, v[12:13]
	v_mov_b32_e32 v7, s7
	v_add_co_u32_e32 v14, vcc, s6, v10
	v_addc_co_u32_e32 v15, vcc, v7, v11, vcc
	global_load_dwordx2 v[10:11], v[14:15], off glc
	s_waitcnt vmcnt(0)
	v_cmp_eq_u16_sdwa s[28:29], v11, v13 src0_sel:BYTE_0 src1_sel:DWORD
	s_and_saveexec_b64 s[26:27], s[28:29]
	s_cbranch_execz .LBB1396_40
; %bb.37:
	s_mov_b64 s[28:29], 0
	v_mov_b32_e32 v7, 0
.LBB1396_38:                            ; =>This Inner Loop Header: Depth=1
	global_load_dwordx2 v[10:11], v[14:15], off glc
	s_waitcnt vmcnt(0)
	v_cmp_ne_u16_sdwa s[34:35], v11, v7 src0_sel:BYTE_0 src1_sel:DWORD
	s_or_b64 s[28:29], s[34:35], s[28:29]
	s_andn2_b64 exec, exec, s[28:29]
	s_cbranch_execnz .LBB1396_38
; %bb.39:
	s_or_b64 exec, exec, s[28:29]
.LBB1396_40:
	s_or_b64 exec, exec, s[26:27]
	v_and_b32_e32 v26, 63, v9
	v_mov_b32_e32 v7, 2
	v_cmp_ne_u32_e32 vcc, 63, v26
	v_cmp_eq_u16_sdwa s[26:27], v11, v7 src0_sel:BYTE_0 src1_sel:DWORD
	v_lshlrev_b64 v[12:13], v9, -1
	v_addc_co_u32_e32 v27, vcc, 0, v9, vcc
	v_and_b32_e32 v14, s27, v13
	v_lshlrev_b32_e32 v27, 2, v27
	v_or_b32_e32 v14, 0x80000000, v14
	ds_bpermute_b32 v28, v27, v10
	v_and_b32_e32 v15, s26, v12
	v_ffbl_b32_e32 v14, v14
	v_add_u32_e32 v14, 32, v14
	v_ffbl_b32_e32 v15, v15
	v_min_u32_e32 v14, v15, v14
	v_cmp_lt_u32_e32 vcc, v26, v14
	s_waitcnt lgkmcnt(0)
	v_cndmask_b32_e32 v15, 0, v28, vcc
	v_cmp_gt_u32_e32 vcc, 62, v26
	v_add_u32_e32 v10, v15, v10
	v_cndmask_b32_e64 v15, 0, 1, vcc
	v_lshlrev_b32_e32 v15, 1, v15
	v_add_lshl_u32 v28, v15, v9, 2
	ds_bpermute_b32 v15, v28, v10
	v_add_u32_e32 v29, 2, v26
	v_cmp_le_u32_e32 vcc, v29, v14
	v_add_u32_e32 v31, 4, v26
	v_add_u32_e32 v33, 8, v26
	s_waitcnt lgkmcnt(0)
	v_cndmask_b32_e32 v15, 0, v15, vcc
	v_cmp_gt_u32_e32 vcc, 60, v26
	v_add_u32_e32 v10, v10, v15
	v_cndmask_b32_e64 v15, 0, 1, vcc
	v_lshlrev_b32_e32 v15, 2, v15
	v_add_lshl_u32 v30, v15, v9, 2
	ds_bpermute_b32 v15, v30, v10
	v_cmp_le_u32_e32 vcc, v31, v14
	v_add_u32_e32 v36, 16, v26
	v_add_u32_e32 v38, 32, v26
	s_waitcnt lgkmcnt(0)
	v_cndmask_b32_e32 v15, 0, v15, vcc
	v_cmp_gt_u32_e32 vcc, 56, v26
	v_add_u32_e32 v10, v10, v15
	v_cndmask_b32_e64 v15, 0, 1, vcc
	v_lshlrev_b32_e32 v15, 3, v15
	v_add_lshl_u32 v32, v15, v9, 2
	ds_bpermute_b32 v15, v32, v10
	v_cmp_le_u32_e32 vcc, v33, v14
	s_waitcnt lgkmcnt(0)
	v_cndmask_b32_e32 v15, 0, v15, vcc
	v_cmp_gt_u32_e32 vcc, 48, v26
	v_add_u32_e32 v10, v10, v15
	v_cndmask_b32_e64 v15, 0, 1, vcc
	v_lshlrev_b32_e32 v15, 4, v15
	v_add_lshl_u32 v35, v15, v9, 2
	ds_bpermute_b32 v15, v35, v10
	v_cmp_le_u32_e32 vcc, v36, v14
	;; [unrolled: 9-line block ×3, first 2 shown]
	s_waitcnt lgkmcnt(0)
	v_cndmask_b32_e32 v9, 0, v9, vcc
	v_add_u32_e32 v10, v10, v9
	v_mov_b32_e32 v9, 0
	s_branch .LBB1396_42
.LBB1396_41:                            ;   in Loop: Header=BB1396_42 Depth=1
	s_or_b64 exec, exec, s[26:27]
	v_cmp_eq_u16_sdwa s[26:27], v11, v7 src0_sel:BYTE_0 src1_sel:DWORD
	v_and_b32_e32 v14, s27, v13
	v_or_b32_e32 v14, 0x80000000, v14
	ds_bpermute_b32 v39, v27, v10
	v_and_b32_e32 v15, s26, v12
	v_ffbl_b32_e32 v14, v14
	v_add_u32_e32 v14, 32, v14
	v_ffbl_b32_e32 v15, v15
	v_min_u32_e32 v14, v15, v14
	v_cmp_lt_u32_e32 vcc, v26, v14
	s_waitcnt lgkmcnt(0)
	v_cndmask_b32_e32 v15, 0, v39, vcc
	v_add_u32_e32 v10, v15, v10
	ds_bpermute_b32 v15, v28, v10
	v_cmp_le_u32_e32 vcc, v29, v14
	v_subrev_u32_e32 v8, 64, v8
	s_waitcnt lgkmcnt(0)
	v_cndmask_b32_e32 v15, 0, v15, vcc
	v_add_u32_e32 v10, v10, v15
	ds_bpermute_b32 v15, v30, v10
	v_cmp_le_u32_e32 vcc, v31, v14
	s_waitcnt lgkmcnt(0)
	v_cndmask_b32_e32 v15, 0, v15, vcc
	v_add_u32_e32 v10, v10, v15
	ds_bpermute_b32 v15, v32, v10
	v_cmp_le_u32_e32 vcc, v33, v14
	s_waitcnt lgkmcnt(0)
	v_cndmask_b32_e32 v15, 0, v15, vcc
	v_add_u32_e32 v10, v10, v15
	ds_bpermute_b32 v15, v35, v10
	v_cmp_le_u32_e32 vcc, v36, v14
	s_waitcnt lgkmcnt(0)
	v_cndmask_b32_e32 v15, 0, v15, vcc
	v_add_u32_e32 v10, v10, v15
	ds_bpermute_b32 v15, v37, v10
	v_cmp_le_u32_e32 vcc, v38, v14
	s_waitcnt lgkmcnt(0)
	v_cndmask_b32_e32 v14, 0, v15, vcc
	v_add3_u32 v10, v14, v34, v10
.LBB1396_42:                            ; =>This Loop Header: Depth=1
                                        ;     Child Loop BB1396_45 Depth 2
	v_cmp_ne_u16_sdwa s[26:27], v11, v7 src0_sel:BYTE_0 src1_sel:DWORD
	v_cndmask_b32_e64 v11, 0, 1, s[26:27]
	;;#ASMSTART
	;;#ASMEND
	v_cmp_ne_u32_e32 vcc, 0, v11
	s_cmp_lg_u64 vcc, exec
	v_mov_b32_e32 v34, v10
	s_cbranch_scc1 .LBB1396_47
; %bb.43:                               ;   in Loop: Header=BB1396_42 Depth=1
	v_lshlrev_b64 v[10:11], 3, v[8:9]
	v_mov_b32_e32 v15, s7
	v_add_co_u32_e32 v14, vcc, s6, v10
	v_addc_co_u32_e32 v15, vcc, v15, v11, vcc
	global_load_dwordx2 v[10:11], v[14:15], off glc
	s_waitcnt vmcnt(0)
	v_cmp_eq_u16_sdwa s[28:29], v11, v9 src0_sel:BYTE_0 src1_sel:DWORD
	s_and_saveexec_b64 s[26:27], s[28:29]
	s_cbranch_execz .LBB1396_41
; %bb.44:                               ;   in Loop: Header=BB1396_42 Depth=1
	s_mov_b64 s[28:29], 0
.LBB1396_45:                            ;   Parent Loop BB1396_42 Depth=1
                                        ; =>  This Inner Loop Header: Depth=2
	global_load_dwordx2 v[10:11], v[14:15], off glc
	s_waitcnt vmcnt(0)
	v_cmp_ne_u16_sdwa s[34:35], v11, v9 src0_sel:BYTE_0 src1_sel:DWORD
	s_or_b64 s[28:29], s[34:35], s[28:29]
	s_andn2_b64 exec, exec, s[28:29]
	s_cbranch_execnz .LBB1396_45
; %bb.46:                               ;   in Loop: Header=BB1396_42 Depth=1
	s_or_b64 exec, exec, s[28:29]
	s_branch .LBB1396_41
.LBB1396_47:                            ;   in Loop: Header=BB1396_42 Depth=1
                                        ; implicit-def: $vgpr10
                                        ; implicit-def: $vgpr11
	s_cbranch_execz .LBB1396_42
; %bb.48:
	s_and_saveexec_b64 s[26:27], s[4:5]
	s_cbranch_execz .LBB1396_50
; %bb.49:
	s_add_i32 s4, s33, 64
	s_mov_b32 s5, 0
	s_lshl_b64 s[4:5], s[4:5], 3
	s_add_u32 s4, s6, s4
	v_add_u32_e32 v6, v34, v6
	v_mov_b32_e32 v7, 2
	s_addc_u32 s5, s7, s5
	v_mov_b32_e32 v8, 0
	global_store_dwordx2 v8, v[6:7], s[4:5]
.LBB1396_50:
	s_or_b64 exec, exec, s[26:27]
	s_and_b64 exec, exec, s[2:3]
	s_cbranch_execz .LBB1396_52
; %bb.51:
	v_mov_b32_e32 v6, 0
	ds_write_b32 v6, v34
.LBB1396_52:
	s_or_b64 exec, exec, s[24:25]
	v_mov_b32_e32 v6, 0
	s_waitcnt lgkmcnt(0)
	s_barrier
	ds_read_b32 v6, v6
	s_waitcnt lgkmcnt(0)
	v_add3_u32 v6, v25, v2, v6
	v_add_u32_e32 v7, v6, v3
	v_add_u32_e32 v8, v7, v4
	;; [unrolled: 1-line block ×9, first 2 shown]
	s_branch .LBB1396_65
.LBB1396_53:
                                        ; implicit-def: $vgpr6_vgpr7_vgpr8_vgpr9_vgpr10_vgpr11_vgpr12_vgpr13_vgpr14_vgpr15
	s_cbranch_execz .LBB1396_65
; %bb.54:
	s_cmp_lg_u64 s[12:13], 0
	s_cselect_b64 s[4:5], -1, 0
	s_and_b64 s[12:13], s[2:3], s[4:5]
	v_mov_b32_e32 v12, v3
	v_mov_b32_e32 v13, v4
	;; [unrolled: 1-line block ×3, first 2 shown]
	s_and_saveexec_b64 s[4:5], s[12:13]
	s_cbranch_execz .LBB1396_56
; %bb.55:
	v_mov_b32_e32 v6, 0
	global_load_dword v6, v6, s[8:9]
	v_mov_b32_e32 v12, v3
	v_mov_b32_e32 v13, v4
	;; [unrolled: 1-line block ×3, first 2 shown]
	s_waitcnt vmcnt(0)
	v_add_u32_e32 v2, v6, v2
.LBB1396_56:
	s_or_b64 exec, exec, s[4:5]
	v_add_u32_e32 v3, v12, v2
	v_add_u32_e32 v4, v3, v13
	;; [unrolled: 1-line block ×9, first 2 shown]
	v_add_lshl_u32 v15, v24, v0, 2
	v_cmp_gt_u32_e32 vcc, 64, v0
	ds_write_b32 v15, v11
	s_waitcnt lgkmcnt(0)
	s_barrier
	s_and_saveexec_b64 s[4:5], vcc
	s_cbranch_execz .LBB1396_58
; %bb.57:
	v_lshlrev_b32_e32 v15, 1, v0
	v_lshrrev_b32_e32 v24, 4, v0
	v_add_lshl_u32 v15, v24, v15, 2
	ds_read2_b32 v[24:25], v15 offset1:1
	v_mbcnt_lo_u32_b32 v26, -1, 0
	v_mbcnt_hi_u32_b32 v26, -1, v26
	v_and_b32_e32 v27, 15, v26
	v_cmp_ne_u32_e32 vcc, 0, v27
	s_waitcnt lgkmcnt(0)
	v_add_u32_e32 v25, v25, v24
	; wave barrier
	s_nop 1
	v_mov_b32_dpp v28, v25 row_shr:1 row_mask:0xf bank_mask:0xf
	v_cndmask_b32_e32 v28, 0, v28, vcc
	v_add_u32_e32 v25, v28, v25
	v_cmp_lt_u32_e32 vcc, 1, v27
	s_nop 0
	v_mov_b32_dpp v28, v25 row_shr:2 row_mask:0xf bank_mask:0xf
	v_cndmask_b32_e32 v28, 0, v28, vcc
	v_add_u32_e32 v25, v25, v28
	v_cmp_lt_u32_e32 vcc, 3, v27
	;; [unrolled: 5-line block ×3, first 2 shown]
	s_nop 0
	v_mov_b32_dpp v28, v25 row_shr:8 row_mask:0xf bank_mask:0xf
	v_cndmask_b32_e32 v27, 0, v28, vcc
	v_add_u32_e32 v25, v25, v27
	v_bfe_i32 v28, v26, 4, 1
	v_cmp_lt_u32_e32 vcc, 31, v26
	v_mov_b32_dpp v27, v25 row_bcast:15 row_mask:0xf bank_mask:0xf
	v_and_b32_e32 v27, v28, v27
	v_add_u32_e32 v25, v25, v27
	v_and_b32_e32 v28, 64, v26
	s_nop 0
	v_mov_b32_dpp v27, v25 row_bcast:31 row_mask:0xf bank_mask:0xf
	v_cndmask_b32_e32 v27, 0, v27, vcc
	v_add_u32_e32 v25, v25, v27
	v_add_u32_e32 v27, -1, v26
	v_cmp_lt_i32_e32 vcc, v27, v28
	v_cndmask_b32_e32 v26, v27, v26, vcc
	v_lshlrev_b32_e32 v26, 2, v26
	ds_bpermute_b32 v25, v26, v25
	s_waitcnt lgkmcnt(0)
	v_add_u32_e32 v24, v25, v24
	v_cndmask_b32_e64 v24, v24, v11, s[2:3]
	ds_write_b32 v15, v24
	; wave barrier
	ds_read_b32 v25, v15 offset:4
	s_waitcnt lgkmcnt(0)
	v_add_u32_e32 v24, v25, v24
	ds_write_b32 v15, v24 offset:4
.LBB1396_58:
	s_or_b64 exec, exec, s[4:5]
	v_mov_b32_e32 v15, v11
	s_waitcnt lgkmcnt(0)
	s_barrier
	s_and_saveexec_b64 s[2:3], s[0:1]
	s_cbranch_execz .LBB1396_60
; %bb.59:
	v_add_u32_e32 v15, -1, v0
	v_lshrrev_b32_e32 v24, 5, v15
	v_add_lshl_u32 v15, v24, v15, 2
	ds_read_b32 v15, v15
.LBB1396_60:
	s_or_b64 exec, exec, s[2:3]
	s_and_saveexec_b64 s[2:3], s[0:1]
	s_cbranch_execz .LBB1396_62
; %bb.61:
	s_waitcnt lgkmcnt(0)
	v_add_u32_e32 v2, v15, v2
	v_add_u32_e32 v3, v2, v12
	;; [unrolled: 1-line block ×10, first 2 shown]
	;;#ASMSTART
	;;#ASMEND
.LBB1396_62:
	s_or_b64 exec, exec, s[2:3]
	s_movk_i32 s0, 0x7f
	v_cmp_eq_u32_e32 vcc, s0, v0
	s_and_saveexec_b64 s[0:1], vcc
	s_cbranch_execz .LBB1396_64
; %bb.63:
	v_mov_b32_e32 v14, 0
	v_mov_b32_e32 v13, 2
	;; [unrolled: 1-line block ×3, first 2 shown]
	global_store_dwordx2 v14, v[12:13], s[6:7] offset:512
.LBB1396_64:
	s_or_b64 exec, exec, s[0:1]
	s_waitcnt lgkmcnt(0)
	v_pk_mov_b32 v[14:15], v[10:11], v[10:11] op_sel:[0,1]
	v_pk_mov_b32 v[12:13], v[8:9], v[8:9] op_sel:[0,1]
	;; [unrolled: 1-line block ×5, first 2 shown]
.LBB1396_65:
	s_add_u32 s0, s20, s18
	s_addc_u32 s1, s21, s19
	s_add_u32 s2, s0, s22
	s_addc_u32 s3, s1, s23
	s_mov_b64 s[0:1], -1
	s_and_b64 vcc, exec, s[16:17]
	s_barrier
	s_cbranch_vccz .LBB1396_67
; %bb.66:
	ds_write2_b64 v1, v[6:7], v[8:9] offset1:1
	ds_write2_b64 v1, v[10:11], v[12:13] offset0:2 offset1:3
	ds_write_b64 v1, v[14:15] offset:32
	s_waitcnt lgkmcnt(0)
	s_barrier
	ds_read2st64_b32 v[2:3], v22 offset1:2
	ds_read2st64_b32 v[4:5], v22 offset0:4 offset1:6
	ds_read2st64_b32 v[16:17], v22 offset0:8 offset1:10
	;; [unrolled: 1-line block ×4, first 2 shown]
	v_mov_b32_e32 v25, s3
	v_add_co_u32_e32 v24, vcc, s2, v22
	v_addc_co_u32_e32 v25, vcc, 0, v25, vcc
	s_waitcnt lgkmcnt(4)
	flat_store_dword v[24:25], v2
	flat_store_dword v[24:25], v3 offset:512
	s_waitcnt lgkmcnt(0)
	flat_store_dword v[24:25], v4 offset:1024
	flat_store_dword v[24:25], v5 offset:1536
	;; [unrolled: 1-line block ×6, first 2 shown]
	v_add_co_u32_e32 v2, vcc, 0x1000, v24
	v_addc_co_u32_e32 v3, vcc, 0, v25, vcc
	flat_store_dword v[2:3], v20
	flat_store_dword v[2:3], v21 offset:512
	s_mov_b64 s[0:1], 0
.LBB1396_67:
	s_andn2_b64 vcc, exec, s[0:1]
	s_cbranch_vccnz .LBB1396_123
; %bb.68:
	ds_write2_b64 v1, v[6:7], v[8:9] offset1:1
	ds_write2_b64 v1, v[10:11], v[12:13] offset0:2 offset1:3
	ds_write_b64 v1, v[14:15] offset:32
	s_waitcnt lgkmcnt(0)
	s_barrier
	ds_read2st64_b32 v[2:3], v22 offset1:2
	ds_read2st64_b32 v[6:7], v22 offset0:4 offset1:6
	ds_read2st64_b32 v[4:5], v22 offset0:8 offset1:10
	;; [unrolled: 1-line block ×4, first 2 shown]
	v_mov_b32_e32 v13, s3
	v_add_co_u32_e32 v12, vcc, s2, v22
	v_addc_co_u32_e32 v13, vcc, 0, v13, vcc
	v_mov_b32_e32 v1, 0
	v_cmp_gt_u32_e32 vcc, s30, v0
	s_and_saveexec_b64 s[0:1], vcc
	s_cbranch_execz .LBB1396_70
; %bb.69:
	s_waitcnt lgkmcnt(0)
	flat_store_dword v[12:13], v2
.LBB1396_70:
	s_or_b64 exec, exec, s[0:1]
	v_or_b32_e32 v14, 0x80, v0
	v_cmp_gt_u32_e32 vcc, s30, v14
	s_and_saveexec_b64 s[0:1], vcc
	s_cbranch_execz .LBB1396_72
; %bb.71:
	s_waitcnt lgkmcnt(0)
	flat_store_dword v[12:13], v3 offset:512
.LBB1396_72:
	s_or_b64 exec, exec, s[0:1]
	v_or_b32_e32 v14, 0x100, v0
	v_cmp_gt_u32_e32 vcc, s30, v14
	s_and_saveexec_b64 s[0:1], vcc
	s_cbranch_execz .LBB1396_74
; %bb.73:
	s_waitcnt lgkmcnt(0)
	flat_store_dword v[12:13], v6 offset:1024
.LBB1396_74:
	;; [unrolled: 9-line block ×7, first 2 shown]
	s_or_b64 exec, exec, s[0:1]
	v_or_b32_e32 v14, 0x400, v0
	v_cmp_gt_u32_e32 vcc, s30, v14
	s_and_saveexec_b64 s[0:1], vcc
	s_cbranch_execz .LBB1396_86
; %bb.85:
	v_add_co_u32_e32 v14, vcc, 0x1000, v12
	v_addc_co_u32_e32 v15, vcc, 0, v13, vcc
	s_waitcnt lgkmcnt(0)
	flat_store_dword v[14:15], v10
.LBB1396_86:
	s_or_b64 exec, exec, s[0:1]
	v_or_b32_e32 v14, 0x480, v0
	v_cmp_gt_u32_e32 vcc, s30, v14
	s_and_saveexec_b64 s[0:1], vcc
	s_cbranch_execz .LBB1396_88
; %bb.87:
	v_add_co_u32_e32 v12, vcc, 0x1000, v12
	v_addc_co_u32_e32 v13, vcc, 0, v13, vcc
	s_waitcnt lgkmcnt(0)
	flat_store_dword v[12:13], v11 offset:512
.LBB1396_88:
	s_or_b64 exec, exec, s[0:1]
	v_cmp_lt_u64_e64 s[0:1], s[14:15], 2
	s_and_b64 vcc, exec, s[0:1]
	s_cbranch_vccnz .LBB1396_123
; %bb.89:
	s_add_u32 s0, s30, -1
	s_addc_u32 s1, s31, -1
	s_add_u32 s2, 0, 0x99986000
	s_addc_u32 s3, 0, 0x59
	s_add_i32 s3, s3, 0x19999940
	s_mul_hi_u32 s7, s2, -10
	s_sub_i32 s7, s7, s2
	s_mul_i32 s8, s3, -10
	s_mul_i32 s4, s2, -10
	s_add_i32 s7, s7, s8
	s_mul_hi_u32 s5, s3, s4
	s_mul_i32 s6, s3, s4
	s_mul_i32 s9, s2, s7
	s_mul_hi_u32 s4, s2, s4
	s_mul_hi_u32 s8, s2, s7
	s_add_u32 s4, s4, s9
	s_addc_u32 s8, 0, s8
	s_add_u32 s4, s4, s6
	s_mul_hi_u32 s9, s3, s7
	s_addc_u32 s4, s8, s5
	s_addc_u32 s5, s9, 0
	s_mul_i32 s6, s3, s7
	s_add_u32 s4, s4, s6
	v_mov_b32_e32 v12, s4
	s_addc_u32 s5, 0, s5
	v_add_co_u32_e32 v12, vcc, s2, v12
	s_cmp_lg_u64 vcc, 0
	s_addc_u32 s2, s3, s5
	v_readfirstlane_b32 s5, v12
	s_mul_i32 s4, s0, s2
	s_mul_hi_u32 s6, s0, s5
	s_mul_hi_u32 s3, s0, s2
	s_add_u32 s4, s6, s4
	s_addc_u32 s3, 0, s3
	s_mul_hi_u32 s7, s1, s5
	s_mul_i32 s5, s1, s5
	s_add_u32 s4, s4, s5
	s_mul_hi_u32 s6, s1, s2
	s_addc_u32 s3, s3, s7
	s_addc_u32 s4, s6, 0
	s_mul_i32 s2, s1, s2
	s_add_u32 s2, s3, s2
	s_addc_u32 s3, 0, s4
	s_add_u32 s4, s2, 1
	s_addc_u32 s5, s3, 0
	s_add_u32 s6, s2, 2
	s_mul_i32 s8, s3, 10
	s_mul_hi_u32 s9, s2, 10
	s_addc_u32 s7, s3, 0
	s_add_i32 s9, s9, s8
	s_mul_i32 s8, s2, 10
	v_mov_b32_e32 v12, s8
	v_sub_co_u32_e32 v12, vcc, s0, v12
	s_cmp_lg_u64 vcc, 0
	s_subb_u32 s8, s1, s9
	v_subrev_co_u32_e32 v13, vcc, 10, v12
	s_cmp_lg_u64 vcc, 0
	s_subb_u32 s9, s8, 0
	v_readfirstlane_b32 s12, v13
	s_cmp_gt_u32 s12, 9
	s_cselect_b32 s12, -1, 0
	s_cmp_eq_u32 s9, 0
	s_cselect_b32 s9, s12, -1
	s_cmp_lg_u32 s9, 0
	s_cselect_b32 s4, s6, s4
	v_readfirstlane_b32 s6, v12
	s_cselect_b32 s5, s7, s5
	s_cmp_gt_u32 s6, 9
	s_cselect_b32 s6, -1, 0
	s_cmp_eq_u32 s8, 0
	s_cselect_b32 s6, s6, -1
	s_cmp_lg_u32 s6, 0
	s_cselect_b32 s3, s5, s3
	s_cselect_b32 s2, s4, s2
	v_cmp_eq_u64_e32 vcc, s[2:3], v[0:1]
	s_and_saveexec_b64 s[2:3], vcc
	s_cbranch_execz .LBB1396_123
; %bb.90:
	v_mul_hi_u32_u24_e32 v1, 10, v0
	v_mov_b32_e32 v12, s1
	v_sub_co_u32_e32 v0, vcc, s0, v23
	v_subb_co_u32_e32 v1, vcc, v12, v1, vcc
	v_cmp_lt_i64_e32 vcc, 4, v[0:1]
	s_and_saveexec_b64 s[0:1], vcc
	s_xor_b64 s[0:1], exec, s[0:1]
	s_cbranch_execz .LBB1396_108
; %bb.91:
	v_cmp_lt_i64_e32 vcc, 6, v[0:1]
	s_and_saveexec_b64 s[2:3], vcc
	s_xor_b64 s[2:3], exec, s[2:3]
	s_cbranch_execz .LBB1396_101
; %bb.92:
	;; [unrolled: 5-line block ×4, first 2 shown]
	v_mov_b32_e32 v0, 0
	s_waitcnt lgkmcnt(0)
	global_store_dword v0, v11, s[10:11]
                                        ; implicit-def: $vgpr10_vgpr11
.LBB1396_95:
	s_andn2_saveexec_b64 s[6:7], s[6:7]
	s_cbranch_execz .LBB1396_97
; %bb.96:
	v_mov_b32_e32 v0, 0
	s_waitcnt lgkmcnt(0)
	global_store_dword v0, v10, s[10:11]
.LBB1396_97:
	s_or_b64 exec, exec, s[6:7]
                                        ; implicit-def: $vgpr8_vgpr9
.LBB1396_98:
	s_andn2_saveexec_b64 s[4:5], s[4:5]
	s_cbranch_execz .LBB1396_100
; %bb.99:
	v_mov_b32_e32 v0, 0
	s_waitcnt lgkmcnt(0)
	global_store_dword v0, v9, s[10:11]
.LBB1396_100:
	s_or_b64 exec, exec, s[4:5]
                                        ; implicit-def: $vgpr4_vgpr5
                                        ; implicit-def: $vgpr0_vgpr1
                                        ; implicit-def: $vgpr8_vgpr9
.LBB1396_101:
	s_andn2_saveexec_b64 s[2:3], s[2:3]
	s_cbranch_execz .LBB1396_107
; %bb.102:
	v_cmp_lt_i64_e32 vcc, 5, v[0:1]
	s_and_saveexec_b64 s[4:5], vcc
	s_xor_b64 s[4:5], exec, s[4:5]
	s_cbranch_execz .LBB1396_104
; %bb.103:
	v_mov_b32_e32 v0, 0
	s_waitcnt lgkmcnt(0)
	global_store_dword v0, v8, s[10:11]
                                        ; implicit-def: $vgpr4_vgpr5
.LBB1396_104:
	s_andn2_saveexec_b64 s[4:5], s[4:5]
	s_cbranch_execz .LBB1396_106
; %bb.105:
	v_mov_b32_e32 v0, 0
	s_waitcnt lgkmcnt(0)
	global_store_dword v0, v5, s[10:11]
.LBB1396_106:
	s_or_b64 exec, exec, s[4:5]
.LBB1396_107:
	s_or_b64 exec, exec, s[2:3]
                                        ; implicit-def: $vgpr0_vgpr1
                                        ; implicit-def: $vgpr6_vgpr7
                                        ; implicit-def: $vgpr2_vgpr3
                                        ; implicit-def: $vgpr4_vgpr5
.LBB1396_108:
	s_andn2_saveexec_b64 s[0:1], s[0:1]
	s_cbranch_execz .LBB1396_123
; %bb.109:
	v_cmp_lt_i64_e32 vcc, 2, v[0:1]
	s_and_saveexec_b64 s[0:1], vcc
	s_xor_b64 s[0:1], exec, s[0:1]
	s_cbranch_execz .LBB1396_115
; %bb.110:
	v_cmp_lt_i64_e32 vcc, 3, v[0:1]
	s_and_saveexec_b64 s[2:3], vcc
	s_xor_b64 s[2:3], exec, s[2:3]
	s_cbranch_execz .LBB1396_112
; %bb.111:
	v_mov_b32_e32 v0, 0
	s_waitcnt lgkmcnt(0)
	global_store_dword v0, v4, s[10:11]
                                        ; implicit-def: $vgpr6_vgpr7
.LBB1396_112:
	s_andn2_saveexec_b64 s[2:3], s[2:3]
	s_cbranch_execz .LBB1396_114
; %bb.113:
	v_mov_b32_e32 v0, 0
	s_waitcnt lgkmcnt(0)
	global_store_dword v0, v7, s[10:11]
.LBB1396_114:
	s_or_b64 exec, exec, s[2:3]
                                        ; implicit-def: $vgpr0_vgpr1
                                        ; implicit-def: $vgpr6_vgpr7
                                        ; implicit-def: $vgpr2_vgpr3
.LBB1396_115:
	s_andn2_saveexec_b64 s[0:1], s[0:1]
	s_cbranch_execz .LBB1396_123
; %bb.116:
	v_cmp_lt_i64_e32 vcc, 1, v[0:1]
	s_and_saveexec_b64 s[0:1], vcc
	s_xor_b64 s[0:1], exec, s[0:1]
	s_cbranch_execz .LBB1396_118
; %bb.117:
	v_mov_b32_e32 v0, 0
	s_waitcnt lgkmcnt(0)
	global_store_dword v0, v6, s[10:11]
                                        ; implicit-def: $vgpr2_vgpr3
                                        ; implicit-def: $vgpr0_vgpr1
.LBB1396_118:
	s_andn2_saveexec_b64 s[0:1], s[0:1]
	s_cbranch_execz .LBB1396_123
; %bb.119:
	v_cmp_ne_u64_e32 vcc, 1, v[0:1]
	s_and_saveexec_b64 s[0:1], vcc
	s_xor_b64 s[0:1], exec, s[0:1]
	s_cbranch_execz .LBB1396_121
; %bb.120:
	v_mov_b32_e32 v0, 0
	s_waitcnt lgkmcnt(0)
	global_store_dword v0, v2, s[10:11]
                                        ; implicit-def: $vgpr2_vgpr3
.LBB1396_121:
	s_andn2_saveexec_b64 s[0:1], s[0:1]
	s_cbranch_execz .LBB1396_123
; %bb.122:
	v_mov_b32_e32 v0, 0
	s_waitcnt lgkmcnt(0)
	global_store_dword v0, v3, s[10:11]
.LBB1396_123:
	s_endpgm
	.section	.rodata,"a",@progbits
	.p2align	6, 0x0
	.amdhsa_kernel _ZN7rocprim17ROCPRIM_400000_NS6detail17trampoline_kernelINS0_14default_configENS1_20scan_config_selectorIiEEZZNS1_9scan_implILNS1_25lookback_scan_determinismE0ELb0ELb0ES3_N6thrust23THRUST_200600_302600_NS6detail15normal_iteratorINS9_10device_ptrIiEEEESE_iNS9_4plusIvEEiEEDaPvRmT3_T4_T5_mT6_P12ihipStream_tbENKUlT_T0_E_clISt17integral_constantIbLb0EEST_IbLb1EEEEDaSP_SQ_EUlSP_E_NS1_11comp_targetILNS1_3genE4ELNS1_11target_archE910ELNS1_3gpuE8ELNS1_3repE0EEENS1_30default_config_static_selectorELNS0_4arch9wavefront6targetE1EEEvT1_
		.amdhsa_group_segment_fixed_size 5120
		.amdhsa_private_segment_fixed_size 0
		.amdhsa_kernarg_size 96
		.amdhsa_user_sgpr_count 6
		.amdhsa_user_sgpr_private_segment_buffer 1
		.amdhsa_user_sgpr_dispatch_ptr 0
		.amdhsa_user_sgpr_queue_ptr 0
		.amdhsa_user_sgpr_kernarg_segment_ptr 1
		.amdhsa_user_sgpr_dispatch_id 0
		.amdhsa_user_sgpr_flat_scratch_init 0
		.amdhsa_user_sgpr_kernarg_preload_length 0
		.amdhsa_user_sgpr_kernarg_preload_offset 0
		.amdhsa_user_sgpr_private_segment_size 0
		.amdhsa_uses_dynamic_stack 0
		.amdhsa_system_sgpr_private_segment_wavefront_offset 0
		.amdhsa_system_sgpr_workgroup_id_x 1
		.amdhsa_system_sgpr_workgroup_id_y 0
		.amdhsa_system_sgpr_workgroup_id_z 0
		.amdhsa_system_sgpr_workgroup_info 0
		.amdhsa_system_vgpr_workitem_id 0
		.amdhsa_next_free_vgpr 40
		.amdhsa_next_free_sgpr 36
		.amdhsa_accum_offset 40
		.amdhsa_reserve_vcc 1
		.amdhsa_reserve_flat_scratch 0
		.amdhsa_float_round_mode_32 0
		.amdhsa_float_round_mode_16_64 0
		.amdhsa_float_denorm_mode_32 3
		.amdhsa_float_denorm_mode_16_64 3
		.amdhsa_dx10_clamp 1
		.amdhsa_ieee_mode 1
		.amdhsa_fp16_overflow 0
		.amdhsa_tg_split 0
		.amdhsa_exception_fp_ieee_invalid_op 0
		.amdhsa_exception_fp_denorm_src 0
		.amdhsa_exception_fp_ieee_div_zero 0
		.amdhsa_exception_fp_ieee_overflow 0
		.amdhsa_exception_fp_ieee_underflow 0
		.amdhsa_exception_fp_ieee_inexact 0
		.amdhsa_exception_int_div_zero 0
	.end_amdhsa_kernel
	.section	.text._ZN7rocprim17ROCPRIM_400000_NS6detail17trampoline_kernelINS0_14default_configENS1_20scan_config_selectorIiEEZZNS1_9scan_implILNS1_25lookback_scan_determinismE0ELb0ELb0ES3_N6thrust23THRUST_200600_302600_NS6detail15normal_iteratorINS9_10device_ptrIiEEEESE_iNS9_4plusIvEEiEEDaPvRmT3_T4_T5_mT6_P12ihipStream_tbENKUlT_T0_E_clISt17integral_constantIbLb0EEST_IbLb1EEEEDaSP_SQ_EUlSP_E_NS1_11comp_targetILNS1_3genE4ELNS1_11target_archE910ELNS1_3gpuE8ELNS1_3repE0EEENS1_30default_config_static_selectorELNS0_4arch9wavefront6targetE1EEEvT1_,"axG",@progbits,_ZN7rocprim17ROCPRIM_400000_NS6detail17trampoline_kernelINS0_14default_configENS1_20scan_config_selectorIiEEZZNS1_9scan_implILNS1_25lookback_scan_determinismE0ELb0ELb0ES3_N6thrust23THRUST_200600_302600_NS6detail15normal_iteratorINS9_10device_ptrIiEEEESE_iNS9_4plusIvEEiEEDaPvRmT3_T4_T5_mT6_P12ihipStream_tbENKUlT_T0_E_clISt17integral_constantIbLb0EEST_IbLb1EEEEDaSP_SQ_EUlSP_E_NS1_11comp_targetILNS1_3genE4ELNS1_11target_archE910ELNS1_3gpuE8ELNS1_3repE0EEENS1_30default_config_static_selectorELNS0_4arch9wavefront6targetE1EEEvT1_,comdat
.Lfunc_end1396:
	.size	_ZN7rocprim17ROCPRIM_400000_NS6detail17trampoline_kernelINS0_14default_configENS1_20scan_config_selectorIiEEZZNS1_9scan_implILNS1_25lookback_scan_determinismE0ELb0ELb0ES3_N6thrust23THRUST_200600_302600_NS6detail15normal_iteratorINS9_10device_ptrIiEEEESE_iNS9_4plusIvEEiEEDaPvRmT3_T4_T5_mT6_P12ihipStream_tbENKUlT_T0_E_clISt17integral_constantIbLb0EEST_IbLb1EEEEDaSP_SQ_EUlSP_E_NS1_11comp_targetILNS1_3genE4ELNS1_11target_archE910ELNS1_3gpuE8ELNS1_3repE0EEENS1_30default_config_static_selectorELNS0_4arch9wavefront6targetE1EEEvT1_, .Lfunc_end1396-_ZN7rocprim17ROCPRIM_400000_NS6detail17trampoline_kernelINS0_14default_configENS1_20scan_config_selectorIiEEZZNS1_9scan_implILNS1_25lookback_scan_determinismE0ELb0ELb0ES3_N6thrust23THRUST_200600_302600_NS6detail15normal_iteratorINS9_10device_ptrIiEEEESE_iNS9_4plusIvEEiEEDaPvRmT3_T4_T5_mT6_P12ihipStream_tbENKUlT_T0_E_clISt17integral_constantIbLb0EEST_IbLb1EEEEDaSP_SQ_EUlSP_E_NS1_11comp_targetILNS1_3genE4ELNS1_11target_archE910ELNS1_3gpuE8ELNS1_3repE0EEENS1_30default_config_static_selectorELNS0_4arch9wavefront6targetE1EEEvT1_
                                        ; -- End function
	.section	.AMDGPU.csdata,"",@progbits
; Kernel info:
; codeLenInByte = 4564
; NumSgprs: 40
; NumVgprs: 40
; NumAgprs: 0
; TotalNumVgprs: 40
; ScratchSize: 0
; MemoryBound: 0
; FloatMode: 240
; IeeeMode: 1
; LDSByteSize: 5120 bytes/workgroup (compile time only)
; SGPRBlocks: 4
; VGPRBlocks: 4
; NumSGPRsForWavesPerEU: 40
; NumVGPRsForWavesPerEU: 40
; AccumOffset: 40
; Occupancy: 6
; WaveLimiterHint : 1
; COMPUTE_PGM_RSRC2:SCRATCH_EN: 0
; COMPUTE_PGM_RSRC2:USER_SGPR: 6
; COMPUTE_PGM_RSRC2:TRAP_HANDLER: 0
; COMPUTE_PGM_RSRC2:TGID_X_EN: 1
; COMPUTE_PGM_RSRC2:TGID_Y_EN: 0
; COMPUTE_PGM_RSRC2:TGID_Z_EN: 0
; COMPUTE_PGM_RSRC2:TIDIG_COMP_CNT: 0
; COMPUTE_PGM_RSRC3_GFX90A:ACCUM_OFFSET: 9
; COMPUTE_PGM_RSRC3_GFX90A:TG_SPLIT: 0
	.section	.text._ZN7rocprim17ROCPRIM_400000_NS6detail17trampoline_kernelINS0_14default_configENS1_20scan_config_selectorIiEEZZNS1_9scan_implILNS1_25lookback_scan_determinismE0ELb0ELb0ES3_N6thrust23THRUST_200600_302600_NS6detail15normal_iteratorINS9_10device_ptrIiEEEESE_iNS9_4plusIvEEiEEDaPvRmT3_T4_T5_mT6_P12ihipStream_tbENKUlT_T0_E_clISt17integral_constantIbLb0EEST_IbLb1EEEEDaSP_SQ_EUlSP_E_NS1_11comp_targetILNS1_3genE3ELNS1_11target_archE908ELNS1_3gpuE7ELNS1_3repE0EEENS1_30default_config_static_selectorELNS0_4arch9wavefront6targetE1EEEvT1_,"axG",@progbits,_ZN7rocprim17ROCPRIM_400000_NS6detail17trampoline_kernelINS0_14default_configENS1_20scan_config_selectorIiEEZZNS1_9scan_implILNS1_25lookback_scan_determinismE0ELb0ELb0ES3_N6thrust23THRUST_200600_302600_NS6detail15normal_iteratorINS9_10device_ptrIiEEEESE_iNS9_4plusIvEEiEEDaPvRmT3_T4_T5_mT6_P12ihipStream_tbENKUlT_T0_E_clISt17integral_constantIbLb0EEST_IbLb1EEEEDaSP_SQ_EUlSP_E_NS1_11comp_targetILNS1_3genE3ELNS1_11target_archE908ELNS1_3gpuE7ELNS1_3repE0EEENS1_30default_config_static_selectorELNS0_4arch9wavefront6targetE1EEEvT1_,comdat
	.protected	_ZN7rocprim17ROCPRIM_400000_NS6detail17trampoline_kernelINS0_14default_configENS1_20scan_config_selectorIiEEZZNS1_9scan_implILNS1_25lookback_scan_determinismE0ELb0ELb0ES3_N6thrust23THRUST_200600_302600_NS6detail15normal_iteratorINS9_10device_ptrIiEEEESE_iNS9_4plusIvEEiEEDaPvRmT3_T4_T5_mT6_P12ihipStream_tbENKUlT_T0_E_clISt17integral_constantIbLb0EEST_IbLb1EEEEDaSP_SQ_EUlSP_E_NS1_11comp_targetILNS1_3genE3ELNS1_11target_archE908ELNS1_3gpuE7ELNS1_3repE0EEENS1_30default_config_static_selectorELNS0_4arch9wavefront6targetE1EEEvT1_ ; -- Begin function _ZN7rocprim17ROCPRIM_400000_NS6detail17trampoline_kernelINS0_14default_configENS1_20scan_config_selectorIiEEZZNS1_9scan_implILNS1_25lookback_scan_determinismE0ELb0ELb0ES3_N6thrust23THRUST_200600_302600_NS6detail15normal_iteratorINS9_10device_ptrIiEEEESE_iNS9_4plusIvEEiEEDaPvRmT3_T4_T5_mT6_P12ihipStream_tbENKUlT_T0_E_clISt17integral_constantIbLb0EEST_IbLb1EEEEDaSP_SQ_EUlSP_E_NS1_11comp_targetILNS1_3genE3ELNS1_11target_archE908ELNS1_3gpuE7ELNS1_3repE0EEENS1_30default_config_static_selectorELNS0_4arch9wavefront6targetE1EEEvT1_
	.globl	_ZN7rocprim17ROCPRIM_400000_NS6detail17trampoline_kernelINS0_14default_configENS1_20scan_config_selectorIiEEZZNS1_9scan_implILNS1_25lookback_scan_determinismE0ELb0ELb0ES3_N6thrust23THRUST_200600_302600_NS6detail15normal_iteratorINS9_10device_ptrIiEEEESE_iNS9_4plusIvEEiEEDaPvRmT3_T4_T5_mT6_P12ihipStream_tbENKUlT_T0_E_clISt17integral_constantIbLb0EEST_IbLb1EEEEDaSP_SQ_EUlSP_E_NS1_11comp_targetILNS1_3genE3ELNS1_11target_archE908ELNS1_3gpuE7ELNS1_3repE0EEENS1_30default_config_static_selectorELNS0_4arch9wavefront6targetE1EEEvT1_
	.p2align	8
	.type	_ZN7rocprim17ROCPRIM_400000_NS6detail17trampoline_kernelINS0_14default_configENS1_20scan_config_selectorIiEEZZNS1_9scan_implILNS1_25lookback_scan_determinismE0ELb0ELb0ES3_N6thrust23THRUST_200600_302600_NS6detail15normal_iteratorINS9_10device_ptrIiEEEESE_iNS9_4plusIvEEiEEDaPvRmT3_T4_T5_mT6_P12ihipStream_tbENKUlT_T0_E_clISt17integral_constantIbLb0EEST_IbLb1EEEEDaSP_SQ_EUlSP_E_NS1_11comp_targetILNS1_3genE3ELNS1_11target_archE908ELNS1_3gpuE7ELNS1_3repE0EEENS1_30default_config_static_selectorELNS0_4arch9wavefront6targetE1EEEvT1_,@function
_ZN7rocprim17ROCPRIM_400000_NS6detail17trampoline_kernelINS0_14default_configENS1_20scan_config_selectorIiEEZZNS1_9scan_implILNS1_25lookback_scan_determinismE0ELb0ELb0ES3_N6thrust23THRUST_200600_302600_NS6detail15normal_iteratorINS9_10device_ptrIiEEEESE_iNS9_4plusIvEEiEEDaPvRmT3_T4_T5_mT6_P12ihipStream_tbENKUlT_T0_E_clISt17integral_constantIbLb0EEST_IbLb1EEEEDaSP_SQ_EUlSP_E_NS1_11comp_targetILNS1_3genE3ELNS1_11target_archE908ELNS1_3gpuE7ELNS1_3repE0EEENS1_30default_config_static_selectorELNS0_4arch9wavefront6targetE1EEEvT1_: ; @_ZN7rocprim17ROCPRIM_400000_NS6detail17trampoline_kernelINS0_14default_configENS1_20scan_config_selectorIiEEZZNS1_9scan_implILNS1_25lookback_scan_determinismE0ELb0ELb0ES3_N6thrust23THRUST_200600_302600_NS6detail15normal_iteratorINS9_10device_ptrIiEEEESE_iNS9_4plusIvEEiEEDaPvRmT3_T4_T5_mT6_P12ihipStream_tbENKUlT_T0_E_clISt17integral_constantIbLb0EEST_IbLb1EEEEDaSP_SQ_EUlSP_E_NS1_11comp_targetILNS1_3genE3ELNS1_11target_archE908ELNS1_3gpuE7ELNS1_3repE0EEENS1_30default_config_static_selectorELNS0_4arch9wavefront6targetE1EEEvT1_
; %bb.0:
	.section	.rodata,"a",@progbits
	.p2align	6, 0x0
	.amdhsa_kernel _ZN7rocprim17ROCPRIM_400000_NS6detail17trampoline_kernelINS0_14default_configENS1_20scan_config_selectorIiEEZZNS1_9scan_implILNS1_25lookback_scan_determinismE0ELb0ELb0ES3_N6thrust23THRUST_200600_302600_NS6detail15normal_iteratorINS9_10device_ptrIiEEEESE_iNS9_4plusIvEEiEEDaPvRmT3_T4_T5_mT6_P12ihipStream_tbENKUlT_T0_E_clISt17integral_constantIbLb0EEST_IbLb1EEEEDaSP_SQ_EUlSP_E_NS1_11comp_targetILNS1_3genE3ELNS1_11target_archE908ELNS1_3gpuE7ELNS1_3repE0EEENS1_30default_config_static_selectorELNS0_4arch9wavefront6targetE1EEEvT1_
		.amdhsa_group_segment_fixed_size 0
		.amdhsa_private_segment_fixed_size 0
		.amdhsa_kernarg_size 96
		.amdhsa_user_sgpr_count 6
		.amdhsa_user_sgpr_private_segment_buffer 1
		.amdhsa_user_sgpr_dispatch_ptr 0
		.amdhsa_user_sgpr_queue_ptr 0
		.amdhsa_user_sgpr_kernarg_segment_ptr 1
		.amdhsa_user_sgpr_dispatch_id 0
		.amdhsa_user_sgpr_flat_scratch_init 0
		.amdhsa_user_sgpr_kernarg_preload_length 0
		.amdhsa_user_sgpr_kernarg_preload_offset 0
		.amdhsa_user_sgpr_private_segment_size 0
		.amdhsa_uses_dynamic_stack 0
		.amdhsa_system_sgpr_private_segment_wavefront_offset 0
		.amdhsa_system_sgpr_workgroup_id_x 1
		.amdhsa_system_sgpr_workgroup_id_y 0
		.amdhsa_system_sgpr_workgroup_id_z 0
		.amdhsa_system_sgpr_workgroup_info 0
		.amdhsa_system_vgpr_workitem_id 0
		.amdhsa_next_free_vgpr 1
		.amdhsa_next_free_sgpr 0
		.amdhsa_accum_offset 4
		.amdhsa_reserve_vcc 0
		.amdhsa_reserve_flat_scratch 0
		.amdhsa_float_round_mode_32 0
		.amdhsa_float_round_mode_16_64 0
		.amdhsa_float_denorm_mode_32 3
		.amdhsa_float_denorm_mode_16_64 3
		.amdhsa_dx10_clamp 1
		.amdhsa_ieee_mode 1
		.amdhsa_fp16_overflow 0
		.amdhsa_tg_split 0
		.amdhsa_exception_fp_ieee_invalid_op 0
		.amdhsa_exception_fp_denorm_src 0
		.amdhsa_exception_fp_ieee_div_zero 0
		.amdhsa_exception_fp_ieee_overflow 0
		.amdhsa_exception_fp_ieee_underflow 0
		.amdhsa_exception_fp_ieee_inexact 0
		.amdhsa_exception_int_div_zero 0
	.end_amdhsa_kernel
	.section	.text._ZN7rocprim17ROCPRIM_400000_NS6detail17trampoline_kernelINS0_14default_configENS1_20scan_config_selectorIiEEZZNS1_9scan_implILNS1_25lookback_scan_determinismE0ELb0ELb0ES3_N6thrust23THRUST_200600_302600_NS6detail15normal_iteratorINS9_10device_ptrIiEEEESE_iNS9_4plusIvEEiEEDaPvRmT3_T4_T5_mT6_P12ihipStream_tbENKUlT_T0_E_clISt17integral_constantIbLb0EEST_IbLb1EEEEDaSP_SQ_EUlSP_E_NS1_11comp_targetILNS1_3genE3ELNS1_11target_archE908ELNS1_3gpuE7ELNS1_3repE0EEENS1_30default_config_static_selectorELNS0_4arch9wavefront6targetE1EEEvT1_,"axG",@progbits,_ZN7rocprim17ROCPRIM_400000_NS6detail17trampoline_kernelINS0_14default_configENS1_20scan_config_selectorIiEEZZNS1_9scan_implILNS1_25lookback_scan_determinismE0ELb0ELb0ES3_N6thrust23THRUST_200600_302600_NS6detail15normal_iteratorINS9_10device_ptrIiEEEESE_iNS9_4plusIvEEiEEDaPvRmT3_T4_T5_mT6_P12ihipStream_tbENKUlT_T0_E_clISt17integral_constantIbLb0EEST_IbLb1EEEEDaSP_SQ_EUlSP_E_NS1_11comp_targetILNS1_3genE3ELNS1_11target_archE908ELNS1_3gpuE7ELNS1_3repE0EEENS1_30default_config_static_selectorELNS0_4arch9wavefront6targetE1EEEvT1_,comdat
.Lfunc_end1397:
	.size	_ZN7rocprim17ROCPRIM_400000_NS6detail17trampoline_kernelINS0_14default_configENS1_20scan_config_selectorIiEEZZNS1_9scan_implILNS1_25lookback_scan_determinismE0ELb0ELb0ES3_N6thrust23THRUST_200600_302600_NS6detail15normal_iteratorINS9_10device_ptrIiEEEESE_iNS9_4plusIvEEiEEDaPvRmT3_T4_T5_mT6_P12ihipStream_tbENKUlT_T0_E_clISt17integral_constantIbLb0EEST_IbLb1EEEEDaSP_SQ_EUlSP_E_NS1_11comp_targetILNS1_3genE3ELNS1_11target_archE908ELNS1_3gpuE7ELNS1_3repE0EEENS1_30default_config_static_selectorELNS0_4arch9wavefront6targetE1EEEvT1_, .Lfunc_end1397-_ZN7rocprim17ROCPRIM_400000_NS6detail17trampoline_kernelINS0_14default_configENS1_20scan_config_selectorIiEEZZNS1_9scan_implILNS1_25lookback_scan_determinismE0ELb0ELb0ES3_N6thrust23THRUST_200600_302600_NS6detail15normal_iteratorINS9_10device_ptrIiEEEESE_iNS9_4plusIvEEiEEDaPvRmT3_T4_T5_mT6_P12ihipStream_tbENKUlT_T0_E_clISt17integral_constantIbLb0EEST_IbLb1EEEEDaSP_SQ_EUlSP_E_NS1_11comp_targetILNS1_3genE3ELNS1_11target_archE908ELNS1_3gpuE7ELNS1_3repE0EEENS1_30default_config_static_selectorELNS0_4arch9wavefront6targetE1EEEvT1_
                                        ; -- End function
	.section	.AMDGPU.csdata,"",@progbits
; Kernel info:
; codeLenInByte = 0
; NumSgprs: 4
; NumVgprs: 0
; NumAgprs: 0
; TotalNumVgprs: 0
; ScratchSize: 0
; MemoryBound: 0
; FloatMode: 240
; IeeeMode: 1
; LDSByteSize: 0 bytes/workgroup (compile time only)
; SGPRBlocks: 0
; VGPRBlocks: 0
; NumSGPRsForWavesPerEU: 4
; NumVGPRsForWavesPerEU: 1
; AccumOffset: 4
; Occupancy: 8
; WaveLimiterHint : 0
; COMPUTE_PGM_RSRC2:SCRATCH_EN: 0
; COMPUTE_PGM_RSRC2:USER_SGPR: 6
; COMPUTE_PGM_RSRC2:TRAP_HANDLER: 0
; COMPUTE_PGM_RSRC2:TGID_X_EN: 1
; COMPUTE_PGM_RSRC2:TGID_Y_EN: 0
; COMPUTE_PGM_RSRC2:TGID_Z_EN: 0
; COMPUTE_PGM_RSRC2:TIDIG_COMP_CNT: 0
; COMPUTE_PGM_RSRC3_GFX90A:ACCUM_OFFSET: 0
; COMPUTE_PGM_RSRC3_GFX90A:TG_SPLIT: 0
	.section	.text._ZN7rocprim17ROCPRIM_400000_NS6detail17trampoline_kernelINS0_14default_configENS1_20scan_config_selectorIiEEZZNS1_9scan_implILNS1_25lookback_scan_determinismE0ELb0ELb0ES3_N6thrust23THRUST_200600_302600_NS6detail15normal_iteratorINS9_10device_ptrIiEEEESE_iNS9_4plusIvEEiEEDaPvRmT3_T4_T5_mT6_P12ihipStream_tbENKUlT_T0_E_clISt17integral_constantIbLb0EEST_IbLb1EEEEDaSP_SQ_EUlSP_E_NS1_11comp_targetILNS1_3genE2ELNS1_11target_archE906ELNS1_3gpuE6ELNS1_3repE0EEENS1_30default_config_static_selectorELNS0_4arch9wavefront6targetE1EEEvT1_,"axG",@progbits,_ZN7rocprim17ROCPRIM_400000_NS6detail17trampoline_kernelINS0_14default_configENS1_20scan_config_selectorIiEEZZNS1_9scan_implILNS1_25lookback_scan_determinismE0ELb0ELb0ES3_N6thrust23THRUST_200600_302600_NS6detail15normal_iteratorINS9_10device_ptrIiEEEESE_iNS9_4plusIvEEiEEDaPvRmT3_T4_T5_mT6_P12ihipStream_tbENKUlT_T0_E_clISt17integral_constantIbLb0EEST_IbLb1EEEEDaSP_SQ_EUlSP_E_NS1_11comp_targetILNS1_3genE2ELNS1_11target_archE906ELNS1_3gpuE6ELNS1_3repE0EEENS1_30default_config_static_selectorELNS0_4arch9wavefront6targetE1EEEvT1_,comdat
	.protected	_ZN7rocprim17ROCPRIM_400000_NS6detail17trampoline_kernelINS0_14default_configENS1_20scan_config_selectorIiEEZZNS1_9scan_implILNS1_25lookback_scan_determinismE0ELb0ELb0ES3_N6thrust23THRUST_200600_302600_NS6detail15normal_iteratorINS9_10device_ptrIiEEEESE_iNS9_4plusIvEEiEEDaPvRmT3_T4_T5_mT6_P12ihipStream_tbENKUlT_T0_E_clISt17integral_constantIbLb0EEST_IbLb1EEEEDaSP_SQ_EUlSP_E_NS1_11comp_targetILNS1_3genE2ELNS1_11target_archE906ELNS1_3gpuE6ELNS1_3repE0EEENS1_30default_config_static_selectorELNS0_4arch9wavefront6targetE1EEEvT1_ ; -- Begin function _ZN7rocprim17ROCPRIM_400000_NS6detail17trampoline_kernelINS0_14default_configENS1_20scan_config_selectorIiEEZZNS1_9scan_implILNS1_25lookback_scan_determinismE0ELb0ELb0ES3_N6thrust23THRUST_200600_302600_NS6detail15normal_iteratorINS9_10device_ptrIiEEEESE_iNS9_4plusIvEEiEEDaPvRmT3_T4_T5_mT6_P12ihipStream_tbENKUlT_T0_E_clISt17integral_constantIbLb0EEST_IbLb1EEEEDaSP_SQ_EUlSP_E_NS1_11comp_targetILNS1_3genE2ELNS1_11target_archE906ELNS1_3gpuE6ELNS1_3repE0EEENS1_30default_config_static_selectorELNS0_4arch9wavefront6targetE1EEEvT1_
	.globl	_ZN7rocprim17ROCPRIM_400000_NS6detail17trampoline_kernelINS0_14default_configENS1_20scan_config_selectorIiEEZZNS1_9scan_implILNS1_25lookback_scan_determinismE0ELb0ELb0ES3_N6thrust23THRUST_200600_302600_NS6detail15normal_iteratorINS9_10device_ptrIiEEEESE_iNS9_4plusIvEEiEEDaPvRmT3_T4_T5_mT6_P12ihipStream_tbENKUlT_T0_E_clISt17integral_constantIbLb0EEST_IbLb1EEEEDaSP_SQ_EUlSP_E_NS1_11comp_targetILNS1_3genE2ELNS1_11target_archE906ELNS1_3gpuE6ELNS1_3repE0EEENS1_30default_config_static_selectorELNS0_4arch9wavefront6targetE1EEEvT1_
	.p2align	8
	.type	_ZN7rocprim17ROCPRIM_400000_NS6detail17trampoline_kernelINS0_14default_configENS1_20scan_config_selectorIiEEZZNS1_9scan_implILNS1_25lookback_scan_determinismE0ELb0ELb0ES3_N6thrust23THRUST_200600_302600_NS6detail15normal_iteratorINS9_10device_ptrIiEEEESE_iNS9_4plusIvEEiEEDaPvRmT3_T4_T5_mT6_P12ihipStream_tbENKUlT_T0_E_clISt17integral_constantIbLb0EEST_IbLb1EEEEDaSP_SQ_EUlSP_E_NS1_11comp_targetILNS1_3genE2ELNS1_11target_archE906ELNS1_3gpuE6ELNS1_3repE0EEENS1_30default_config_static_selectorELNS0_4arch9wavefront6targetE1EEEvT1_,@function
_ZN7rocprim17ROCPRIM_400000_NS6detail17trampoline_kernelINS0_14default_configENS1_20scan_config_selectorIiEEZZNS1_9scan_implILNS1_25lookback_scan_determinismE0ELb0ELb0ES3_N6thrust23THRUST_200600_302600_NS6detail15normal_iteratorINS9_10device_ptrIiEEEESE_iNS9_4plusIvEEiEEDaPvRmT3_T4_T5_mT6_P12ihipStream_tbENKUlT_T0_E_clISt17integral_constantIbLb0EEST_IbLb1EEEEDaSP_SQ_EUlSP_E_NS1_11comp_targetILNS1_3genE2ELNS1_11target_archE906ELNS1_3gpuE6ELNS1_3repE0EEENS1_30default_config_static_selectorELNS0_4arch9wavefront6targetE1EEEvT1_: ; @_ZN7rocprim17ROCPRIM_400000_NS6detail17trampoline_kernelINS0_14default_configENS1_20scan_config_selectorIiEEZZNS1_9scan_implILNS1_25lookback_scan_determinismE0ELb0ELb0ES3_N6thrust23THRUST_200600_302600_NS6detail15normal_iteratorINS9_10device_ptrIiEEEESE_iNS9_4plusIvEEiEEDaPvRmT3_T4_T5_mT6_P12ihipStream_tbENKUlT_T0_E_clISt17integral_constantIbLb0EEST_IbLb1EEEEDaSP_SQ_EUlSP_E_NS1_11comp_targetILNS1_3genE2ELNS1_11target_archE906ELNS1_3gpuE6ELNS1_3repE0EEENS1_30default_config_static_selectorELNS0_4arch9wavefront6targetE1EEEvT1_
; %bb.0:
	.section	.rodata,"a",@progbits
	.p2align	6, 0x0
	.amdhsa_kernel _ZN7rocprim17ROCPRIM_400000_NS6detail17trampoline_kernelINS0_14default_configENS1_20scan_config_selectorIiEEZZNS1_9scan_implILNS1_25lookback_scan_determinismE0ELb0ELb0ES3_N6thrust23THRUST_200600_302600_NS6detail15normal_iteratorINS9_10device_ptrIiEEEESE_iNS9_4plusIvEEiEEDaPvRmT3_T4_T5_mT6_P12ihipStream_tbENKUlT_T0_E_clISt17integral_constantIbLb0EEST_IbLb1EEEEDaSP_SQ_EUlSP_E_NS1_11comp_targetILNS1_3genE2ELNS1_11target_archE906ELNS1_3gpuE6ELNS1_3repE0EEENS1_30default_config_static_selectorELNS0_4arch9wavefront6targetE1EEEvT1_
		.amdhsa_group_segment_fixed_size 0
		.amdhsa_private_segment_fixed_size 0
		.amdhsa_kernarg_size 96
		.amdhsa_user_sgpr_count 6
		.amdhsa_user_sgpr_private_segment_buffer 1
		.amdhsa_user_sgpr_dispatch_ptr 0
		.amdhsa_user_sgpr_queue_ptr 0
		.amdhsa_user_sgpr_kernarg_segment_ptr 1
		.amdhsa_user_sgpr_dispatch_id 0
		.amdhsa_user_sgpr_flat_scratch_init 0
		.amdhsa_user_sgpr_kernarg_preload_length 0
		.amdhsa_user_sgpr_kernarg_preload_offset 0
		.amdhsa_user_sgpr_private_segment_size 0
		.amdhsa_uses_dynamic_stack 0
		.amdhsa_system_sgpr_private_segment_wavefront_offset 0
		.amdhsa_system_sgpr_workgroup_id_x 1
		.amdhsa_system_sgpr_workgroup_id_y 0
		.amdhsa_system_sgpr_workgroup_id_z 0
		.amdhsa_system_sgpr_workgroup_info 0
		.amdhsa_system_vgpr_workitem_id 0
		.amdhsa_next_free_vgpr 1
		.amdhsa_next_free_sgpr 0
		.amdhsa_accum_offset 4
		.amdhsa_reserve_vcc 0
		.amdhsa_reserve_flat_scratch 0
		.amdhsa_float_round_mode_32 0
		.amdhsa_float_round_mode_16_64 0
		.amdhsa_float_denorm_mode_32 3
		.amdhsa_float_denorm_mode_16_64 3
		.amdhsa_dx10_clamp 1
		.amdhsa_ieee_mode 1
		.amdhsa_fp16_overflow 0
		.amdhsa_tg_split 0
		.amdhsa_exception_fp_ieee_invalid_op 0
		.amdhsa_exception_fp_denorm_src 0
		.amdhsa_exception_fp_ieee_div_zero 0
		.amdhsa_exception_fp_ieee_overflow 0
		.amdhsa_exception_fp_ieee_underflow 0
		.amdhsa_exception_fp_ieee_inexact 0
		.amdhsa_exception_int_div_zero 0
	.end_amdhsa_kernel
	.section	.text._ZN7rocprim17ROCPRIM_400000_NS6detail17trampoline_kernelINS0_14default_configENS1_20scan_config_selectorIiEEZZNS1_9scan_implILNS1_25lookback_scan_determinismE0ELb0ELb0ES3_N6thrust23THRUST_200600_302600_NS6detail15normal_iteratorINS9_10device_ptrIiEEEESE_iNS9_4plusIvEEiEEDaPvRmT3_T4_T5_mT6_P12ihipStream_tbENKUlT_T0_E_clISt17integral_constantIbLb0EEST_IbLb1EEEEDaSP_SQ_EUlSP_E_NS1_11comp_targetILNS1_3genE2ELNS1_11target_archE906ELNS1_3gpuE6ELNS1_3repE0EEENS1_30default_config_static_selectorELNS0_4arch9wavefront6targetE1EEEvT1_,"axG",@progbits,_ZN7rocprim17ROCPRIM_400000_NS6detail17trampoline_kernelINS0_14default_configENS1_20scan_config_selectorIiEEZZNS1_9scan_implILNS1_25lookback_scan_determinismE0ELb0ELb0ES3_N6thrust23THRUST_200600_302600_NS6detail15normal_iteratorINS9_10device_ptrIiEEEESE_iNS9_4plusIvEEiEEDaPvRmT3_T4_T5_mT6_P12ihipStream_tbENKUlT_T0_E_clISt17integral_constantIbLb0EEST_IbLb1EEEEDaSP_SQ_EUlSP_E_NS1_11comp_targetILNS1_3genE2ELNS1_11target_archE906ELNS1_3gpuE6ELNS1_3repE0EEENS1_30default_config_static_selectorELNS0_4arch9wavefront6targetE1EEEvT1_,comdat
.Lfunc_end1398:
	.size	_ZN7rocprim17ROCPRIM_400000_NS6detail17trampoline_kernelINS0_14default_configENS1_20scan_config_selectorIiEEZZNS1_9scan_implILNS1_25lookback_scan_determinismE0ELb0ELb0ES3_N6thrust23THRUST_200600_302600_NS6detail15normal_iteratorINS9_10device_ptrIiEEEESE_iNS9_4plusIvEEiEEDaPvRmT3_T4_T5_mT6_P12ihipStream_tbENKUlT_T0_E_clISt17integral_constantIbLb0EEST_IbLb1EEEEDaSP_SQ_EUlSP_E_NS1_11comp_targetILNS1_3genE2ELNS1_11target_archE906ELNS1_3gpuE6ELNS1_3repE0EEENS1_30default_config_static_selectorELNS0_4arch9wavefront6targetE1EEEvT1_, .Lfunc_end1398-_ZN7rocprim17ROCPRIM_400000_NS6detail17trampoline_kernelINS0_14default_configENS1_20scan_config_selectorIiEEZZNS1_9scan_implILNS1_25lookback_scan_determinismE0ELb0ELb0ES3_N6thrust23THRUST_200600_302600_NS6detail15normal_iteratorINS9_10device_ptrIiEEEESE_iNS9_4plusIvEEiEEDaPvRmT3_T4_T5_mT6_P12ihipStream_tbENKUlT_T0_E_clISt17integral_constantIbLb0EEST_IbLb1EEEEDaSP_SQ_EUlSP_E_NS1_11comp_targetILNS1_3genE2ELNS1_11target_archE906ELNS1_3gpuE6ELNS1_3repE0EEENS1_30default_config_static_selectorELNS0_4arch9wavefront6targetE1EEEvT1_
                                        ; -- End function
	.section	.AMDGPU.csdata,"",@progbits
; Kernel info:
; codeLenInByte = 0
; NumSgprs: 4
; NumVgprs: 0
; NumAgprs: 0
; TotalNumVgprs: 0
; ScratchSize: 0
; MemoryBound: 0
; FloatMode: 240
; IeeeMode: 1
; LDSByteSize: 0 bytes/workgroup (compile time only)
; SGPRBlocks: 0
; VGPRBlocks: 0
; NumSGPRsForWavesPerEU: 4
; NumVGPRsForWavesPerEU: 1
; AccumOffset: 4
; Occupancy: 8
; WaveLimiterHint : 0
; COMPUTE_PGM_RSRC2:SCRATCH_EN: 0
; COMPUTE_PGM_RSRC2:USER_SGPR: 6
; COMPUTE_PGM_RSRC2:TRAP_HANDLER: 0
; COMPUTE_PGM_RSRC2:TGID_X_EN: 1
; COMPUTE_PGM_RSRC2:TGID_Y_EN: 0
; COMPUTE_PGM_RSRC2:TGID_Z_EN: 0
; COMPUTE_PGM_RSRC2:TIDIG_COMP_CNT: 0
; COMPUTE_PGM_RSRC3_GFX90A:ACCUM_OFFSET: 0
; COMPUTE_PGM_RSRC3_GFX90A:TG_SPLIT: 0
	.section	.text._ZN7rocprim17ROCPRIM_400000_NS6detail17trampoline_kernelINS0_14default_configENS1_20scan_config_selectorIiEEZZNS1_9scan_implILNS1_25lookback_scan_determinismE0ELb0ELb0ES3_N6thrust23THRUST_200600_302600_NS6detail15normal_iteratorINS9_10device_ptrIiEEEESE_iNS9_4plusIvEEiEEDaPvRmT3_T4_T5_mT6_P12ihipStream_tbENKUlT_T0_E_clISt17integral_constantIbLb0EEST_IbLb1EEEEDaSP_SQ_EUlSP_E_NS1_11comp_targetILNS1_3genE10ELNS1_11target_archE1201ELNS1_3gpuE5ELNS1_3repE0EEENS1_30default_config_static_selectorELNS0_4arch9wavefront6targetE1EEEvT1_,"axG",@progbits,_ZN7rocprim17ROCPRIM_400000_NS6detail17trampoline_kernelINS0_14default_configENS1_20scan_config_selectorIiEEZZNS1_9scan_implILNS1_25lookback_scan_determinismE0ELb0ELb0ES3_N6thrust23THRUST_200600_302600_NS6detail15normal_iteratorINS9_10device_ptrIiEEEESE_iNS9_4plusIvEEiEEDaPvRmT3_T4_T5_mT6_P12ihipStream_tbENKUlT_T0_E_clISt17integral_constantIbLb0EEST_IbLb1EEEEDaSP_SQ_EUlSP_E_NS1_11comp_targetILNS1_3genE10ELNS1_11target_archE1201ELNS1_3gpuE5ELNS1_3repE0EEENS1_30default_config_static_selectorELNS0_4arch9wavefront6targetE1EEEvT1_,comdat
	.protected	_ZN7rocprim17ROCPRIM_400000_NS6detail17trampoline_kernelINS0_14default_configENS1_20scan_config_selectorIiEEZZNS1_9scan_implILNS1_25lookback_scan_determinismE0ELb0ELb0ES3_N6thrust23THRUST_200600_302600_NS6detail15normal_iteratorINS9_10device_ptrIiEEEESE_iNS9_4plusIvEEiEEDaPvRmT3_T4_T5_mT6_P12ihipStream_tbENKUlT_T0_E_clISt17integral_constantIbLb0EEST_IbLb1EEEEDaSP_SQ_EUlSP_E_NS1_11comp_targetILNS1_3genE10ELNS1_11target_archE1201ELNS1_3gpuE5ELNS1_3repE0EEENS1_30default_config_static_selectorELNS0_4arch9wavefront6targetE1EEEvT1_ ; -- Begin function _ZN7rocprim17ROCPRIM_400000_NS6detail17trampoline_kernelINS0_14default_configENS1_20scan_config_selectorIiEEZZNS1_9scan_implILNS1_25lookback_scan_determinismE0ELb0ELb0ES3_N6thrust23THRUST_200600_302600_NS6detail15normal_iteratorINS9_10device_ptrIiEEEESE_iNS9_4plusIvEEiEEDaPvRmT3_T4_T5_mT6_P12ihipStream_tbENKUlT_T0_E_clISt17integral_constantIbLb0EEST_IbLb1EEEEDaSP_SQ_EUlSP_E_NS1_11comp_targetILNS1_3genE10ELNS1_11target_archE1201ELNS1_3gpuE5ELNS1_3repE0EEENS1_30default_config_static_selectorELNS0_4arch9wavefront6targetE1EEEvT1_
	.globl	_ZN7rocprim17ROCPRIM_400000_NS6detail17trampoline_kernelINS0_14default_configENS1_20scan_config_selectorIiEEZZNS1_9scan_implILNS1_25lookback_scan_determinismE0ELb0ELb0ES3_N6thrust23THRUST_200600_302600_NS6detail15normal_iteratorINS9_10device_ptrIiEEEESE_iNS9_4plusIvEEiEEDaPvRmT3_T4_T5_mT6_P12ihipStream_tbENKUlT_T0_E_clISt17integral_constantIbLb0EEST_IbLb1EEEEDaSP_SQ_EUlSP_E_NS1_11comp_targetILNS1_3genE10ELNS1_11target_archE1201ELNS1_3gpuE5ELNS1_3repE0EEENS1_30default_config_static_selectorELNS0_4arch9wavefront6targetE1EEEvT1_
	.p2align	8
	.type	_ZN7rocprim17ROCPRIM_400000_NS6detail17trampoline_kernelINS0_14default_configENS1_20scan_config_selectorIiEEZZNS1_9scan_implILNS1_25lookback_scan_determinismE0ELb0ELb0ES3_N6thrust23THRUST_200600_302600_NS6detail15normal_iteratorINS9_10device_ptrIiEEEESE_iNS9_4plusIvEEiEEDaPvRmT3_T4_T5_mT6_P12ihipStream_tbENKUlT_T0_E_clISt17integral_constantIbLb0EEST_IbLb1EEEEDaSP_SQ_EUlSP_E_NS1_11comp_targetILNS1_3genE10ELNS1_11target_archE1201ELNS1_3gpuE5ELNS1_3repE0EEENS1_30default_config_static_selectorELNS0_4arch9wavefront6targetE1EEEvT1_,@function
_ZN7rocprim17ROCPRIM_400000_NS6detail17trampoline_kernelINS0_14default_configENS1_20scan_config_selectorIiEEZZNS1_9scan_implILNS1_25lookback_scan_determinismE0ELb0ELb0ES3_N6thrust23THRUST_200600_302600_NS6detail15normal_iteratorINS9_10device_ptrIiEEEESE_iNS9_4plusIvEEiEEDaPvRmT3_T4_T5_mT6_P12ihipStream_tbENKUlT_T0_E_clISt17integral_constantIbLb0EEST_IbLb1EEEEDaSP_SQ_EUlSP_E_NS1_11comp_targetILNS1_3genE10ELNS1_11target_archE1201ELNS1_3gpuE5ELNS1_3repE0EEENS1_30default_config_static_selectorELNS0_4arch9wavefront6targetE1EEEvT1_: ; @_ZN7rocprim17ROCPRIM_400000_NS6detail17trampoline_kernelINS0_14default_configENS1_20scan_config_selectorIiEEZZNS1_9scan_implILNS1_25lookback_scan_determinismE0ELb0ELb0ES3_N6thrust23THRUST_200600_302600_NS6detail15normal_iteratorINS9_10device_ptrIiEEEESE_iNS9_4plusIvEEiEEDaPvRmT3_T4_T5_mT6_P12ihipStream_tbENKUlT_T0_E_clISt17integral_constantIbLb0EEST_IbLb1EEEEDaSP_SQ_EUlSP_E_NS1_11comp_targetILNS1_3genE10ELNS1_11target_archE1201ELNS1_3gpuE5ELNS1_3repE0EEENS1_30default_config_static_selectorELNS0_4arch9wavefront6targetE1EEEvT1_
; %bb.0:
	.section	.rodata,"a",@progbits
	.p2align	6, 0x0
	.amdhsa_kernel _ZN7rocprim17ROCPRIM_400000_NS6detail17trampoline_kernelINS0_14default_configENS1_20scan_config_selectorIiEEZZNS1_9scan_implILNS1_25lookback_scan_determinismE0ELb0ELb0ES3_N6thrust23THRUST_200600_302600_NS6detail15normal_iteratorINS9_10device_ptrIiEEEESE_iNS9_4plusIvEEiEEDaPvRmT3_T4_T5_mT6_P12ihipStream_tbENKUlT_T0_E_clISt17integral_constantIbLb0EEST_IbLb1EEEEDaSP_SQ_EUlSP_E_NS1_11comp_targetILNS1_3genE10ELNS1_11target_archE1201ELNS1_3gpuE5ELNS1_3repE0EEENS1_30default_config_static_selectorELNS0_4arch9wavefront6targetE1EEEvT1_
		.amdhsa_group_segment_fixed_size 0
		.amdhsa_private_segment_fixed_size 0
		.amdhsa_kernarg_size 96
		.amdhsa_user_sgpr_count 6
		.amdhsa_user_sgpr_private_segment_buffer 1
		.amdhsa_user_sgpr_dispatch_ptr 0
		.amdhsa_user_sgpr_queue_ptr 0
		.amdhsa_user_sgpr_kernarg_segment_ptr 1
		.amdhsa_user_sgpr_dispatch_id 0
		.amdhsa_user_sgpr_flat_scratch_init 0
		.amdhsa_user_sgpr_kernarg_preload_length 0
		.amdhsa_user_sgpr_kernarg_preload_offset 0
		.amdhsa_user_sgpr_private_segment_size 0
		.amdhsa_uses_dynamic_stack 0
		.amdhsa_system_sgpr_private_segment_wavefront_offset 0
		.amdhsa_system_sgpr_workgroup_id_x 1
		.amdhsa_system_sgpr_workgroup_id_y 0
		.amdhsa_system_sgpr_workgroup_id_z 0
		.amdhsa_system_sgpr_workgroup_info 0
		.amdhsa_system_vgpr_workitem_id 0
		.amdhsa_next_free_vgpr 1
		.amdhsa_next_free_sgpr 0
		.amdhsa_accum_offset 4
		.amdhsa_reserve_vcc 0
		.amdhsa_reserve_flat_scratch 0
		.amdhsa_float_round_mode_32 0
		.amdhsa_float_round_mode_16_64 0
		.amdhsa_float_denorm_mode_32 3
		.amdhsa_float_denorm_mode_16_64 3
		.amdhsa_dx10_clamp 1
		.amdhsa_ieee_mode 1
		.amdhsa_fp16_overflow 0
		.amdhsa_tg_split 0
		.amdhsa_exception_fp_ieee_invalid_op 0
		.amdhsa_exception_fp_denorm_src 0
		.amdhsa_exception_fp_ieee_div_zero 0
		.amdhsa_exception_fp_ieee_overflow 0
		.amdhsa_exception_fp_ieee_underflow 0
		.amdhsa_exception_fp_ieee_inexact 0
		.amdhsa_exception_int_div_zero 0
	.end_amdhsa_kernel
	.section	.text._ZN7rocprim17ROCPRIM_400000_NS6detail17trampoline_kernelINS0_14default_configENS1_20scan_config_selectorIiEEZZNS1_9scan_implILNS1_25lookback_scan_determinismE0ELb0ELb0ES3_N6thrust23THRUST_200600_302600_NS6detail15normal_iteratorINS9_10device_ptrIiEEEESE_iNS9_4plusIvEEiEEDaPvRmT3_T4_T5_mT6_P12ihipStream_tbENKUlT_T0_E_clISt17integral_constantIbLb0EEST_IbLb1EEEEDaSP_SQ_EUlSP_E_NS1_11comp_targetILNS1_3genE10ELNS1_11target_archE1201ELNS1_3gpuE5ELNS1_3repE0EEENS1_30default_config_static_selectorELNS0_4arch9wavefront6targetE1EEEvT1_,"axG",@progbits,_ZN7rocprim17ROCPRIM_400000_NS6detail17trampoline_kernelINS0_14default_configENS1_20scan_config_selectorIiEEZZNS1_9scan_implILNS1_25lookback_scan_determinismE0ELb0ELb0ES3_N6thrust23THRUST_200600_302600_NS6detail15normal_iteratorINS9_10device_ptrIiEEEESE_iNS9_4plusIvEEiEEDaPvRmT3_T4_T5_mT6_P12ihipStream_tbENKUlT_T0_E_clISt17integral_constantIbLb0EEST_IbLb1EEEEDaSP_SQ_EUlSP_E_NS1_11comp_targetILNS1_3genE10ELNS1_11target_archE1201ELNS1_3gpuE5ELNS1_3repE0EEENS1_30default_config_static_selectorELNS0_4arch9wavefront6targetE1EEEvT1_,comdat
.Lfunc_end1399:
	.size	_ZN7rocprim17ROCPRIM_400000_NS6detail17trampoline_kernelINS0_14default_configENS1_20scan_config_selectorIiEEZZNS1_9scan_implILNS1_25lookback_scan_determinismE0ELb0ELb0ES3_N6thrust23THRUST_200600_302600_NS6detail15normal_iteratorINS9_10device_ptrIiEEEESE_iNS9_4plusIvEEiEEDaPvRmT3_T4_T5_mT6_P12ihipStream_tbENKUlT_T0_E_clISt17integral_constantIbLb0EEST_IbLb1EEEEDaSP_SQ_EUlSP_E_NS1_11comp_targetILNS1_3genE10ELNS1_11target_archE1201ELNS1_3gpuE5ELNS1_3repE0EEENS1_30default_config_static_selectorELNS0_4arch9wavefront6targetE1EEEvT1_, .Lfunc_end1399-_ZN7rocprim17ROCPRIM_400000_NS6detail17trampoline_kernelINS0_14default_configENS1_20scan_config_selectorIiEEZZNS1_9scan_implILNS1_25lookback_scan_determinismE0ELb0ELb0ES3_N6thrust23THRUST_200600_302600_NS6detail15normal_iteratorINS9_10device_ptrIiEEEESE_iNS9_4plusIvEEiEEDaPvRmT3_T4_T5_mT6_P12ihipStream_tbENKUlT_T0_E_clISt17integral_constantIbLb0EEST_IbLb1EEEEDaSP_SQ_EUlSP_E_NS1_11comp_targetILNS1_3genE10ELNS1_11target_archE1201ELNS1_3gpuE5ELNS1_3repE0EEENS1_30default_config_static_selectorELNS0_4arch9wavefront6targetE1EEEvT1_
                                        ; -- End function
	.section	.AMDGPU.csdata,"",@progbits
; Kernel info:
; codeLenInByte = 0
; NumSgprs: 4
; NumVgprs: 0
; NumAgprs: 0
; TotalNumVgprs: 0
; ScratchSize: 0
; MemoryBound: 0
; FloatMode: 240
; IeeeMode: 1
; LDSByteSize: 0 bytes/workgroup (compile time only)
; SGPRBlocks: 0
; VGPRBlocks: 0
; NumSGPRsForWavesPerEU: 4
; NumVGPRsForWavesPerEU: 1
; AccumOffset: 4
; Occupancy: 8
; WaveLimiterHint : 0
; COMPUTE_PGM_RSRC2:SCRATCH_EN: 0
; COMPUTE_PGM_RSRC2:USER_SGPR: 6
; COMPUTE_PGM_RSRC2:TRAP_HANDLER: 0
; COMPUTE_PGM_RSRC2:TGID_X_EN: 1
; COMPUTE_PGM_RSRC2:TGID_Y_EN: 0
; COMPUTE_PGM_RSRC2:TGID_Z_EN: 0
; COMPUTE_PGM_RSRC2:TIDIG_COMP_CNT: 0
; COMPUTE_PGM_RSRC3_GFX90A:ACCUM_OFFSET: 0
; COMPUTE_PGM_RSRC3_GFX90A:TG_SPLIT: 0
	.section	.text._ZN7rocprim17ROCPRIM_400000_NS6detail17trampoline_kernelINS0_14default_configENS1_20scan_config_selectorIiEEZZNS1_9scan_implILNS1_25lookback_scan_determinismE0ELb0ELb0ES3_N6thrust23THRUST_200600_302600_NS6detail15normal_iteratorINS9_10device_ptrIiEEEESE_iNS9_4plusIvEEiEEDaPvRmT3_T4_T5_mT6_P12ihipStream_tbENKUlT_T0_E_clISt17integral_constantIbLb0EEST_IbLb1EEEEDaSP_SQ_EUlSP_E_NS1_11comp_targetILNS1_3genE10ELNS1_11target_archE1200ELNS1_3gpuE4ELNS1_3repE0EEENS1_30default_config_static_selectorELNS0_4arch9wavefront6targetE1EEEvT1_,"axG",@progbits,_ZN7rocprim17ROCPRIM_400000_NS6detail17trampoline_kernelINS0_14default_configENS1_20scan_config_selectorIiEEZZNS1_9scan_implILNS1_25lookback_scan_determinismE0ELb0ELb0ES3_N6thrust23THRUST_200600_302600_NS6detail15normal_iteratorINS9_10device_ptrIiEEEESE_iNS9_4plusIvEEiEEDaPvRmT3_T4_T5_mT6_P12ihipStream_tbENKUlT_T0_E_clISt17integral_constantIbLb0EEST_IbLb1EEEEDaSP_SQ_EUlSP_E_NS1_11comp_targetILNS1_3genE10ELNS1_11target_archE1200ELNS1_3gpuE4ELNS1_3repE0EEENS1_30default_config_static_selectorELNS0_4arch9wavefront6targetE1EEEvT1_,comdat
	.protected	_ZN7rocprim17ROCPRIM_400000_NS6detail17trampoline_kernelINS0_14default_configENS1_20scan_config_selectorIiEEZZNS1_9scan_implILNS1_25lookback_scan_determinismE0ELb0ELb0ES3_N6thrust23THRUST_200600_302600_NS6detail15normal_iteratorINS9_10device_ptrIiEEEESE_iNS9_4plusIvEEiEEDaPvRmT3_T4_T5_mT6_P12ihipStream_tbENKUlT_T0_E_clISt17integral_constantIbLb0EEST_IbLb1EEEEDaSP_SQ_EUlSP_E_NS1_11comp_targetILNS1_3genE10ELNS1_11target_archE1200ELNS1_3gpuE4ELNS1_3repE0EEENS1_30default_config_static_selectorELNS0_4arch9wavefront6targetE1EEEvT1_ ; -- Begin function _ZN7rocprim17ROCPRIM_400000_NS6detail17trampoline_kernelINS0_14default_configENS1_20scan_config_selectorIiEEZZNS1_9scan_implILNS1_25lookback_scan_determinismE0ELb0ELb0ES3_N6thrust23THRUST_200600_302600_NS6detail15normal_iteratorINS9_10device_ptrIiEEEESE_iNS9_4plusIvEEiEEDaPvRmT3_T4_T5_mT6_P12ihipStream_tbENKUlT_T0_E_clISt17integral_constantIbLb0EEST_IbLb1EEEEDaSP_SQ_EUlSP_E_NS1_11comp_targetILNS1_3genE10ELNS1_11target_archE1200ELNS1_3gpuE4ELNS1_3repE0EEENS1_30default_config_static_selectorELNS0_4arch9wavefront6targetE1EEEvT1_
	.globl	_ZN7rocprim17ROCPRIM_400000_NS6detail17trampoline_kernelINS0_14default_configENS1_20scan_config_selectorIiEEZZNS1_9scan_implILNS1_25lookback_scan_determinismE0ELb0ELb0ES3_N6thrust23THRUST_200600_302600_NS6detail15normal_iteratorINS9_10device_ptrIiEEEESE_iNS9_4plusIvEEiEEDaPvRmT3_T4_T5_mT6_P12ihipStream_tbENKUlT_T0_E_clISt17integral_constantIbLb0EEST_IbLb1EEEEDaSP_SQ_EUlSP_E_NS1_11comp_targetILNS1_3genE10ELNS1_11target_archE1200ELNS1_3gpuE4ELNS1_3repE0EEENS1_30default_config_static_selectorELNS0_4arch9wavefront6targetE1EEEvT1_
	.p2align	8
	.type	_ZN7rocprim17ROCPRIM_400000_NS6detail17trampoline_kernelINS0_14default_configENS1_20scan_config_selectorIiEEZZNS1_9scan_implILNS1_25lookback_scan_determinismE0ELb0ELb0ES3_N6thrust23THRUST_200600_302600_NS6detail15normal_iteratorINS9_10device_ptrIiEEEESE_iNS9_4plusIvEEiEEDaPvRmT3_T4_T5_mT6_P12ihipStream_tbENKUlT_T0_E_clISt17integral_constantIbLb0EEST_IbLb1EEEEDaSP_SQ_EUlSP_E_NS1_11comp_targetILNS1_3genE10ELNS1_11target_archE1200ELNS1_3gpuE4ELNS1_3repE0EEENS1_30default_config_static_selectorELNS0_4arch9wavefront6targetE1EEEvT1_,@function
_ZN7rocprim17ROCPRIM_400000_NS6detail17trampoline_kernelINS0_14default_configENS1_20scan_config_selectorIiEEZZNS1_9scan_implILNS1_25lookback_scan_determinismE0ELb0ELb0ES3_N6thrust23THRUST_200600_302600_NS6detail15normal_iteratorINS9_10device_ptrIiEEEESE_iNS9_4plusIvEEiEEDaPvRmT3_T4_T5_mT6_P12ihipStream_tbENKUlT_T0_E_clISt17integral_constantIbLb0EEST_IbLb1EEEEDaSP_SQ_EUlSP_E_NS1_11comp_targetILNS1_3genE10ELNS1_11target_archE1200ELNS1_3gpuE4ELNS1_3repE0EEENS1_30default_config_static_selectorELNS0_4arch9wavefront6targetE1EEEvT1_: ; @_ZN7rocprim17ROCPRIM_400000_NS6detail17trampoline_kernelINS0_14default_configENS1_20scan_config_selectorIiEEZZNS1_9scan_implILNS1_25lookback_scan_determinismE0ELb0ELb0ES3_N6thrust23THRUST_200600_302600_NS6detail15normal_iteratorINS9_10device_ptrIiEEEESE_iNS9_4plusIvEEiEEDaPvRmT3_T4_T5_mT6_P12ihipStream_tbENKUlT_T0_E_clISt17integral_constantIbLb0EEST_IbLb1EEEEDaSP_SQ_EUlSP_E_NS1_11comp_targetILNS1_3genE10ELNS1_11target_archE1200ELNS1_3gpuE4ELNS1_3repE0EEENS1_30default_config_static_selectorELNS0_4arch9wavefront6targetE1EEEvT1_
; %bb.0:
	.section	.rodata,"a",@progbits
	.p2align	6, 0x0
	.amdhsa_kernel _ZN7rocprim17ROCPRIM_400000_NS6detail17trampoline_kernelINS0_14default_configENS1_20scan_config_selectorIiEEZZNS1_9scan_implILNS1_25lookback_scan_determinismE0ELb0ELb0ES3_N6thrust23THRUST_200600_302600_NS6detail15normal_iteratorINS9_10device_ptrIiEEEESE_iNS9_4plusIvEEiEEDaPvRmT3_T4_T5_mT6_P12ihipStream_tbENKUlT_T0_E_clISt17integral_constantIbLb0EEST_IbLb1EEEEDaSP_SQ_EUlSP_E_NS1_11comp_targetILNS1_3genE10ELNS1_11target_archE1200ELNS1_3gpuE4ELNS1_3repE0EEENS1_30default_config_static_selectorELNS0_4arch9wavefront6targetE1EEEvT1_
		.amdhsa_group_segment_fixed_size 0
		.amdhsa_private_segment_fixed_size 0
		.amdhsa_kernarg_size 96
		.amdhsa_user_sgpr_count 6
		.amdhsa_user_sgpr_private_segment_buffer 1
		.amdhsa_user_sgpr_dispatch_ptr 0
		.amdhsa_user_sgpr_queue_ptr 0
		.amdhsa_user_sgpr_kernarg_segment_ptr 1
		.amdhsa_user_sgpr_dispatch_id 0
		.amdhsa_user_sgpr_flat_scratch_init 0
		.amdhsa_user_sgpr_kernarg_preload_length 0
		.amdhsa_user_sgpr_kernarg_preload_offset 0
		.amdhsa_user_sgpr_private_segment_size 0
		.amdhsa_uses_dynamic_stack 0
		.amdhsa_system_sgpr_private_segment_wavefront_offset 0
		.amdhsa_system_sgpr_workgroup_id_x 1
		.amdhsa_system_sgpr_workgroup_id_y 0
		.amdhsa_system_sgpr_workgroup_id_z 0
		.amdhsa_system_sgpr_workgroup_info 0
		.amdhsa_system_vgpr_workitem_id 0
		.amdhsa_next_free_vgpr 1
		.amdhsa_next_free_sgpr 0
		.amdhsa_accum_offset 4
		.amdhsa_reserve_vcc 0
		.amdhsa_reserve_flat_scratch 0
		.amdhsa_float_round_mode_32 0
		.amdhsa_float_round_mode_16_64 0
		.amdhsa_float_denorm_mode_32 3
		.amdhsa_float_denorm_mode_16_64 3
		.amdhsa_dx10_clamp 1
		.amdhsa_ieee_mode 1
		.amdhsa_fp16_overflow 0
		.amdhsa_tg_split 0
		.amdhsa_exception_fp_ieee_invalid_op 0
		.amdhsa_exception_fp_denorm_src 0
		.amdhsa_exception_fp_ieee_div_zero 0
		.amdhsa_exception_fp_ieee_overflow 0
		.amdhsa_exception_fp_ieee_underflow 0
		.amdhsa_exception_fp_ieee_inexact 0
		.amdhsa_exception_int_div_zero 0
	.end_amdhsa_kernel
	.section	.text._ZN7rocprim17ROCPRIM_400000_NS6detail17trampoline_kernelINS0_14default_configENS1_20scan_config_selectorIiEEZZNS1_9scan_implILNS1_25lookback_scan_determinismE0ELb0ELb0ES3_N6thrust23THRUST_200600_302600_NS6detail15normal_iteratorINS9_10device_ptrIiEEEESE_iNS9_4plusIvEEiEEDaPvRmT3_T4_T5_mT6_P12ihipStream_tbENKUlT_T0_E_clISt17integral_constantIbLb0EEST_IbLb1EEEEDaSP_SQ_EUlSP_E_NS1_11comp_targetILNS1_3genE10ELNS1_11target_archE1200ELNS1_3gpuE4ELNS1_3repE0EEENS1_30default_config_static_selectorELNS0_4arch9wavefront6targetE1EEEvT1_,"axG",@progbits,_ZN7rocprim17ROCPRIM_400000_NS6detail17trampoline_kernelINS0_14default_configENS1_20scan_config_selectorIiEEZZNS1_9scan_implILNS1_25lookback_scan_determinismE0ELb0ELb0ES3_N6thrust23THRUST_200600_302600_NS6detail15normal_iteratorINS9_10device_ptrIiEEEESE_iNS9_4plusIvEEiEEDaPvRmT3_T4_T5_mT6_P12ihipStream_tbENKUlT_T0_E_clISt17integral_constantIbLb0EEST_IbLb1EEEEDaSP_SQ_EUlSP_E_NS1_11comp_targetILNS1_3genE10ELNS1_11target_archE1200ELNS1_3gpuE4ELNS1_3repE0EEENS1_30default_config_static_selectorELNS0_4arch9wavefront6targetE1EEEvT1_,comdat
.Lfunc_end1400:
	.size	_ZN7rocprim17ROCPRIM_400000_NS6detail17trampoline_kernelINS0_14default_configENS1_20scan_config_selectorIiEEZZNS1_9scan_implILNS1_25lookback_scan_determinismE0ELb0ELb0ES3_N6thrust23THRUST_200600_302600_NS6detail15normal_iteratorINS9_10device_ptrIiEEEESE_iNS9_4plusIvEEiEEDaPvRmT3_T4_T5_mT6_P12ihipStream_tbENKUlT_T0_E_clISt17integral_constantIbLb0EEST_IbLb1EEEEDaSP_SQ_EUlSP_E_NS1_11comp_targetILNS1_3genE10ELNS1_11target_archE1200ELNS1_3gpuE4ELNS1_3repE0EEENS1_30default_config_static_selectorELNS0_4arch9wavefront6targetE1EEEvT1_, .Lfunc_end1400-_ZN7rocprim17ROCPRIM_400000_NS6detail17trampoline_kernelINS0_14default_configENS1_20scan_config_selectorIiEEZZNS1_9scan_implILNS1_25lookback_scan_determinismE0ELb0ELb0ES3_N6thrust23THRUST_200600_302600_NS6detail15normal_iteratorINS9_10device_ptrIiEEEESE_iNS9_4plusIvEEiEEDaPvRmT3_T4_T5_mT6_P12ihipStream_tbENKUlT_T0_E_clISt17integral_constantIbLb0EEST_IbLb1EEEEDaSP_SQ_EUlSP_E_NS1_11comp_targetILNS1_3genE10ELNS1_11target_archE1200ELNS1_3gpuE4ELNS1_3repE0EEENS1_30default_config_static_selectorELNS0_4arch9wavefront6targetE1EEEvT1_
                                        ; -- End function
	.section	.AMDGPU.csdata,"",@progbits
; Kernel info:
; codeLenInByte = 0
; NumSgprs: 4
; NumVgprs: 0
; NumAgprs: 0
; TotalNumVgprs: 0
; ScratchSize: 0
; MemoryBound: 0
; FloatMode: 240
; IeeeMode: 1
; LDSByteSize: 0 bytes/workgroup (compile time only)
; SGPRBlocks: 0
; VGPRBlocks: 0
; NumSGPRsForWavesPerEU: 4
; NumVGPRsForWavesPerEU: 1
; AccumOffset: 4
; Occupancy: 8
; WaveLimiterHint : 0
; COMPUTE_PGM_RSRC2:SCRATCH_EN: 0
; COMPUTE_PGM_RSRC2:USER_SGPR: 6
; COMPUTE_PGM_RSRC2:TRAP_HANDLER: 0
; COMPUTE_PGM_RSRC2:TGID_X_EN: 1
; COMPUTE_PGM_RSRC2:TGID_Y_EN: 0
; COMPUTE_PGM_RSRC2:TGID_Z_EN: 0
; COMPUTE_PGM_RSRC2:TIDIG_COMP_CNT: 0
; COMPUTE_PGM_RSRC3_GFX90A:ACCUM_OFFSET: 0
; COMPUTE_PGM_RSRC3_GFX90A:TG_SPLIT: 0
	.section	.text._ZN7rocprim17ROCPRIM_400000_NS6detail17trampoline_kernelINS0_14default_configENS1_20scan_config_selectorIiEEZZNS1_9scan_implILNS1_25lookback_scan_determinismE0ELb0ELb0ES3_N6thrust23THRUST_200600_302600_NS6detail15normal_iteratorINS9_10device_ptrIiEEEESE_iNS9_4plusIvEEiEEDaPvRmT3_T4_T5_mT6_P12ihipStream_tbENKUlT_T0_E_clISt17integral_constantIbLb0EEST_IbLb1EEEEDaSP_SQ_EUlSP_E_NS1_11comp_targetILNS1_3genE9ELNS1_11target_archE1100ELNS1_3gpuE3ELNS1_3repE0EEENS1_30default_config_static_selectorELNS0_4arch9wavefront6targetE1EEEvT1_,"axG",@progbits,_ZN7rocprim17ROCPRIM_400000_NS6detail17trampoline_kernelINS0_14default_configENS1_20scan_config_selectorIiEEZZNS1_9scan_implILNS1_25lookback_scan_determinismE0ELb0ELb0ES3_N6thrust23THRUST_200600_302600_NS6detail15normal_iteratorINS9_10device_ptrIiEEEESE_iNS9_4plusIvEEiEEDaPvRmT3_T4_T5_mT6_P12ihipStream_tbENKUlT_T0_E_clISt17integral_constantIbLb0EEST_IbLb1EEEEDaSP_SQ_EUlSP_E_NS1_11comp_targetILNS1_3genE9ELNS1_11target_archE1100ELNS1_3gpuE3ELNS1_3repE0EEENS1_30default_config_static_selectorELNS0_4arch9wavefront6targetE1EEEvT1_,comdat
	.protected	_ZN7rocprim17ROCPRIM_400000_NS6detail17trampoline_kernelINS0_14default_configENS1_20scan_config_selectorIiEEZZNS1_9scan_implILNS1_25lookback_scan_determinismE0ELb0ELb0ES3_N6thrust23THRUST_200600_302600_NS6detail15normal_iteratorINS9_10device_ptrIiEEEESE_iNS9_4plusIvEEiEEDaPvRmT3_T4_T5_mT6_P12ihipStream_tbENKUlT_T0_E_clISt17integral_constantIbLb0EEST_IbLb1EEEEDaSP_SQ_EUlSP_E_NS1_11comp_targetILNS1_3genE9ELNS1_11target_archE1100ELNS1_3gpuE3ELNS1_3repE0EEENS1_30default_config_static_selectorELNS0_4arch9wavefront6targetE1EEEvT1_ ; -- Begin function _ZN7rocprim17ROCPRIM_400000_NS6detail17trampoline_kernelINS0_14default_configENS1_20scan_config_selectorIiEEZZNS1_9scan_implILNS1_25lookback_scan_determinismE0ELb0ELb0ES3_N6thrust23THRUST_200600_302600_NS6detail15normal_iteratorINS9_10device_ptrIiEEEESE_iNS9_4plusIvEEiEEDaPvRmT3_T4_T5_mT6_P12ihipStream_tbENKUlT_T0_E_clISt17integral_constantIbLb0EEST_IbLb1EEEEDaSP_SQ_EUlSP_E_NS1_11comp_targetILNS1_3genE9ELNS1_11target_archE1100ELNS1_3gpuE3ELNS1_3repE0EEENS1_30default_config_static_selectorELNS0_4arch9wavefront6targetE1EEEvT1_
	.globl	_ZN7rocprim17ROCPRIM_400000_NS6detail17trampoline_kernelINS0_14default_configENS1_20scan_config_selectorIiEEZZNS1_9scan_implILNS1_25lookback_scan_determinismE0ELb0ELb0ES3_N6thrust23THRUST_200600_302600_NS6detail15normal_iteratorINS9_10device_ptrIiEEEESE_iNS9_4plusIvEEiEEDaPvRmT3_T4_T5_mT6_P12ihipStream_tbENKUlT_T0_E_clISt17integral_constantIbLb0EEST_IbLb1EEEEDaSP_SQ_EUlSP_E_NS1_11comp_targetILNS1_3genE9ELNS1_11target_archE1100ELNS1_3gpuE3ELNS1_3repE0EEENS1_30default_config_static_selectorELNS0_4arch9wavefront6targetE1EEEvT1_
	.p2align	8
	.type	_ZN7rocprim17ROCPRIM_400000_NS6detail17trampoline_kernelINS0_14default_configENS1_20scan_config_selectorIiEEZZNS1_9scan_implILNS1_25lookback_scan_determinismE0ELb0ELb0ES3_N6thrust23THRUST_200600_302600_NS6detail15normal_iteratorINS9_10device_ptrIiEEEESE_iNS9_4plusIvEEiEEDaPvRmT3_T4_T5_mT6_P12ihipStream_tbENKUlT_T0_E_clISt17integral_constantIbLb0EEST_IbLb1EEEEDaSP_SQ_EUlSP_E_NS1_11comp_targetILNS1_3genE9ELNS1_11target_archE1100ELNS1_3gpuE3ELNS1_3repE0EEENS1_30default_config_static_selectorELNS0_4arch9wavefront6targetE1EEEvT1_,@function
_ZN7rocprim17ROCPRIM_400000_NS6detail17trampoline_kernelINS0_14default_configENS1_20scan_config_selectorIiEEZZNS1_9scan_implILNS1_25lookback_scan_determinismE0ELb0ELb0ES3_N6thrust23THRUST_200600_302600_NS6detail15normal_iteratorINS9_10device_ptrIiEEEESE_iNS9_4plusIvEEiEEDaPvRmT3_T4_T5_mT6_P12ihipStream_tbENKUlT_T0_E_clISt17integral_constantIbLb0EEST_IbLb1EEEEDaSP_SQ_EUlSP_E_NS1_11comp_targetILNS1_3genE9ELNS1_11target_archE1100ELNS1_3gpuE3ELNS1_3repE0EEENS1_30default_config_static_selectorELNS0_4arch9wavefront6targetE1EEEvT1_: ; @_ZN7rocprim17ROCPRIM_400000_NS6detail17trampoline_kernelINS0_14default_configENS1_20scan_config_selectorIiEEZZNS1_9scan_implILNS1_25lookback_scan_determinismE0ELb0ELb0ES3_N6thrust23THRUST_200600_302600_NS6detail15normal_iteratorINS9_10device_ptrIiEEEESE_iNS9_4plusIvEEiEEDaPvRmT3_T4_T5_mT6_P12ihipStream_tbENKUlT_T0_E_clISt17integral_constantIbLb0EEST_IbLb1EEEEDaSP_SQ_EUlSP_E_NS1_11comp_targetILNS1_3genE9ELNS1_11target_archE1100ELNS1_3gpuE3ELNS1_3repE0EEENS1_30default_config_static_selectorELNS0_4arch9wavefront6targetE1EEEvT1_
; %bb.0:
	.section	.rodata,"a",@progbits
	.p2align	6, 0x0
	.amdhsa_kernel _ZN7rocprim17ROCPRIM_400000_NS6detail17trampoline_kernelINS0_14default_configENS1_20scan_config_selectorIiEEZZNS1_9scan_implILNS1_25lookback_scan_determinismE0ELb0ELb0ES3_N6thrust23THRUST_200600_302600_NS6detail15normal_iteratorINS9_10device_ptrIiEEEESE_iNS9_4plusIvEEiEEDaPvRmT3_T4_T5_mT6_P12ihipStream_tbENKUlT_T0_E_clISt17integral_constantIbLb0EEST_IbLb1EEEEDaSP_SQ_EUlSP_E_NS1_11comp_targetILNS1_3genE9ELNS1_11target_archE1100ELNS1_3gpuE3ELNS1_3repE0EEENS1_30default_config_static_selectorELNS0_4arch9wavefront6targetE1EEEvT1_
		.amdhsa_group_segment_fixed_size 0
		.amdhsa_private_segment_fixed_size 0
		.amdhsa_kernarg_size 96
		.amdhsa_user_sgpr_count 6
		.amdhsa_user_sgpr_private_segment_buffer 1
		.amdhsa_user_sgpr_dispatch_ptr 0
		.amdhsa_user_sgpr_queue_ptr 0
		.amdhsa_user_sgpr_kernarg_segment_ptr 1
		.amdhsa_user_sgpr_dispatch_id 0
		.amdhsa_user_sgpr_flat_scratch_init 0
		.amdhsa_user_sgpr_kernarg_preload_length 0
		.amdhsa_user_sgpr_kernarg_preload_offset 0
		.amdhsa_user_sgpr_private_segment_size 0
		.amdhsa_uses_dynamic_stack 0
		.amdhsa_system_sgpr_private_segment_wavefront_offset 0
		.amdhsa_system_sgpr_workgroup_id_x 1
		.amdhsa_system_sgpr_workgroup_id_y 0
		.amdhsa_system_sgpr_workgroup_id_z 0
		.amdhsa_system_sgpr_workgroup_info 0
		.amdhsa_system_vgpr_workitem_id 0
		.amdhsa_next_free_vgpr 1
		.amdhsa_next_free_sgpr 0
		.amdhsa_accum_offset 4
		.amdhsa_reserve_vcc 0
		.amdhsa_reserve_flat_scratch 0
		.amdhsa_float_round_mode_32 0
		.amdhsa_float_round_mode_16_64 0
		.amdhsa_float_denorm_mode_32 3
		.amdhsa_float_denorm_mode_16_64 3
		.amdhsa_dx10_clamp 1
		.amdhsa_ieee_mode 1
		.amdhsa_fp16_overflow 0
		.amdhsa_tg_split 0
		.amdhsa_exception_fp_ieee_invalid_op 0
		.amdhsa_exception_fp_denorm_src 0
		.amdhsa_exception_fp_ieee_div_zero 0
		.amdhsa_exception_fp_ieee_overflow 0
		.amdhsa_exception_fp_ieee_underflow 0
		.amdhsa_exception_fp_ieee_inexact 0
		.amdhsa_exception_int_div_zero 0
	.end_amdhsa_kernel
	.section	.text._ZN7rocprim17ROCPRIM_400000_NS6detail17trampoline_kernelINS0_14default_configENS1_20scan_config_selectorIiEEZZNS1_9scan_implILNS1_25lookback_scan_determinismE0ELb0ELb0ES3_N6thrust23THRUST_200600_302600_NS6detail15normal_iteratorINS9_10device_ptrIiEEEESE_iNS9_4plusIvEEiEEDaPvRmT3_T4_T5_mT6_P12ihipStream_tbENKUlT_T0_E_clISt17integral_constantIbLb0EEST_IbLb1EEEEDaSP_SQ_EUlSP_E_NS1_11comp_targetILNS1_3genE9ELNS1_11target_archE1100ELNS1_3gpuE3ELNS1_3repE0EEENS1_30default_config_static_selectorELNS0_4arch9wavefront6targetE1EEEvT1_,"axG",@progbits,_ZN7rocprim17ROCPRIM_400000_NS6detail17trampoline_kernelINS0_14default_configENS1_20scan_config_selectorIiEEZZNS1_9scan_implILNS1_25lookback_scan_determinismE0ELb0ELb0ES3_N6thrust23THRUST_200600_302600_NS6detail15normal_iteratorINS9_10device_ptrIiEEEESE_iNS9_4plusIvEEiEEDaPvRmT3_T4_T5_mT6_P12ihipStream_tbENKUlT_T0_E_clISt17integral_constantIbLb0EEST_IbLb1EEEEDaSP_SQ_EUlSP_E_NS1_11comp_targetILNS1_3genE9ELNS1_11target_archE1100ELNS1_3gpuE3ELNS1_3repE0EEENS1_30default_config_static_selectorELNS0_4arch9wavefront6targetE1EEEvT1_,comdat
.Lfunc_end1401:
	.size	_ZN7rocprim17ROCPRIM_400000_NS6detail17trampoline_kernelINS0_14default_configENS1_20scan_config_selectorIiEEZZNS1_9scan_implILNS1_25lookback_scan_determinismE0ELb0ELb0ES3_N6thrust23THRUST_200600_302600_NS6detail15normal_iteratorINS9_10device_ptrIiEEEESE_iNS9_4plusIvEEiEEDaPvRmT3_T4_T5_mT6_P12ihipStream_tbENKUlT_T0_E_clISt17integral_constantIbLb0EEST_IbLb1EEEEDaSP_SQ_EUlSP_E_NS1_11comp_targetILNS1_3genE9ELNS1_11target_archE1100ELNS1_3gpuE3ELNS1_3repE0EEENS1_30default_config_static_selectorELNS0_4arch9wavefront6targetE1EEEvT1_, .Lfunc_end1401-_ZN7rocprim17ROCPRIM_400000_NS6detail17trampoline_kernelINS0_14default_configENS1_20scan_config_selectorIiEEZZNS1_9scan_implILNS1_25lookback_scan_determinismE0ELb0ELb0ES3_N6thrust23THRUST_200600_302600_NS6detail15normal_iteratorINS9_10device_ptrIiEEEESE_iNS9_4plusIvEEiEEDaPvRmT3_T4_T5_mT6_P12ihipStream_tbENKUlT_T0_E_clISt17integral_constantIbLb0EEST_IbLb1EEEEDaSP_SQ_EUlSP_E_NS1_11comp_targetILNS1_3genE9ELNS1_11target_archE1100ELNS1_3gpuE3ELNS1_3repE0EEENS1_30default_config_static_selectorELNS0_4arch9wavefront6targetE1EEEvT1_
                                        ; -- End function
	.section	.AMDGPU.csdata,"",@progbits
; Kernel info:
; codeLenInByte = 0
; NumSgprs: 4
; NumVgprs: 0
; NumAgprs: 0
; TotalNumVgprs: 0
; ScratchSize: 0
; MemoryBound: 0
; FloatMode: 240
; IeeeMode: 1
; LDSByteSize: 0 bytes/workgroup (compile time only)
; SGPRBlocks: 0
; VGPRBlocks: 0
; NumSGPRsForWavesPerEU: 4
; NumVGPRsForWavesPerEU: 1
; AccumOffset: 4
; Occupancy: 8
; WaveLimiterHint : 0
; COMPUTE_PGM_RSRC2:SCRATCH_EN: 0
; COMPUTE_PGM_RSRC2:USER_SGPR: 6
; COMPUTE_PGM_RSRC2:TRAP_HANDLER: 0
; COMPUTE_PGM_RSRC2:TGID_X_EN: 1
; COMPUTE_PGM_RSRC2:TGID_Y_EN: 0
; COMPUTE_PGM_RSRC2:TGID_Z_EN: 0
; COMPUTE_PGM_RSRC2:TIDIG_COMP_CNT: 0
; COMPUTE_PGM_RSRC3_GFX90A:ACCUM_OFFSET: 0
; COMPUTE_PGM_RSRC3_GFX90A:TG_SPLIT: 0
	.section	.text._ZN7rocprim17ROCPRIM_400000_NS6detail17trampoline_kernelINS0_14default_configENS1_20scan_config_selectorIiEEZZNS1_9scan_implILNS1_25lookback_scan_determinismE0ELb0ELb0ES3_N6thrust23THRUST_200600_302600_NS6detail15normal_iteratorINS9_10device_ptrIiEEEESE_iNS9_4plusIvEEiEEDaPvRmT3_T4_T5_mT6_P12ihipStream_tbENKUlT_T0_E_clISt17integral_constantIbLb0EEST_IbLb1EEEEDaSP_SQ_EUlSP_E_NS1_11comp_targetILNS1_3genE8ELNS1_11target_archE1030ELNS1_3gpuE2ELNS1_3repE0EEENS1_30default_config_static_selectorELNS0_4arch9wavefront6targetE1EEEvT1_,"axG",@progbits,_ZN7rocprim17ROCPRIM_400000_NS6detail17trampoline_kernelINS0_14default_configENS1_20scan_config_selectorIiEEZZNS1_9scan_implILNS1_25lookback_scan_determinismE0ELb0ELb0ES3_N6thrust23THRUST_200600_302600_NS6detail15normal_iteratorINS9_10device_ptrIiEEEESE_iNS9_4plusIvEEiEEDaPvRmT3_T4_T5_mT6_P12ihipStream_tbENKUlT_T0_E_clISt17integral_constantIbLb0EEST_IbLb1EEEEDaSP_SQ_EUlSP_E_NS1_11comp_targetILNS1_3genE8ELNS1_11target_archE1030ELNS1_3gpuE2ELNS1_3repE0EEENS1_30default_config_static_selectorELNS0_4arch9wavefront6targetE1EEEvT1_,comdat
	.protected	_ZN7rocprim17ROCPRIM_400000_NS6detail17trampoline_kernelINS0_14default_configENS1_20scan_config_selectorIiEEZZNS1_9scan_implILNS1_25lookback_scan_determinismE0ELb0ELb0ES3_N6thrust23THRUST_200600_302600_NS6detail15normal_iteratorINS9_10device_ptrIiEEEESE_iNS9_4plusIvEEiEEDaPvRmT3_T4_T5_mT6_P12ihipStream_tbENKUlT_T0_E_clISt17integral_constantIbLb0EEST_IbLb1EEEEDaSP_SQ_EUlSP_E_NS1_11comp_targetILNS1_3genE8ELNS1_11target_archE1030ELNS1_3gpuE2ELNS1_3repE0EEENS1_30default_config_static_selectorELNS0_4arch9wavefront6targetE1EEEvT1_ ; -- Begin function _ZN7rocprim17ROCPRIM_400000_NS6detail17trampoline_kernelINS0_14default_configENS1_20scan_config_selectorIiEEZZNS1_9scan_implILNS1_25lookback_scan_determinismE0ELb0ELb0ES3_N6thrust23THRUST_200600_302600_NS6detail15normal_iteratorINS9_10device_ptrIiEEEESE_iNS9_4plusIvEEiEEDaPvRmT3_T4_T5_mT6_P12ihipStream_tbENKUlT_T0_E_clISt17integral_constantIbLb0EEST_IbLb1EEEEDaSP_SQ_EUlSP_E_NS1_11comp_targetILNS1_3genE8ELNS1_11target_archE1030ELNS1_3gpuE2ELNS1_3repE0EEENS1_30default_config_static_selectorELNS0_4arch9wavefront6targetE1EEEvT1_
	.globl	_ZN7rocprim17ROCPRIM_400000_NS6detail17trampoline_kernelINS0_14default_configENS1_20scan_config_selectorIiEEZZNS1_9scan_implILNS1_25lookback_scan_determinismE0ELb0ELb0ES3_N6thrust23THRUST_200600_302600_NS6detail15normal_iteratorINS9_10device_ptrIiEEEESE_iNS9_4plusIvEEiEEDaPvRmT3_T4_T5_mT6_P12ihipStream_tbENKUlT_T0_E_clISt17integral_constantIbLb0EEST_IbLb1EEEEDaSP_SQ_EUlSP_E_NS1_11comp_targetILNS1_3genE8ELNS1_11target_archE1030ELNS1_3gpuE2ELNS1_3repE0EEENS1_30default_config_static_selectorELNS0_4arch9wavefront6targetE1EEEvT1_
	.p2align	8
	.type	_ZN7rocprim17ROCPRIM_400000_NS6detail17trampoline_kernelINS0_14default_configENS1_20scan_config_selectorIiEEZZNS1_9scan_implILNS1_25lookback_scan_determinismE0ELb0ELb0ES3_N6thrust23THRUST_200600_302600_NS6detail15normal_iteratorINS9_10device_ptrIiEEEESE_iNS9_4plusIvEEiEEDaPvRmT3_T4_T5_mT6_P12ihipStream_tbENKUlT_T0_E_clISt17integral_constantIbLb0EEST_IbLb1EEEEDaSP_SQ_EUlSP_E_NS1_11comp_targetILNS1_3genE8ELNS1_11target_archE1030ELNS1_3gpuE2ELNS1_3repE0EEENS1_30default_config_static_selectorELNS0_4arch9wavefront6targetE1EEEvT1_,@function
_ZN7rocprim17ROCPRIM_400000_NS6detail17trampoline_kernelINS0_14default_configENS1_20scan_config_selectorIiEEZZNS1_9scan_implILNS1_25lookback_scan_determinismE0ELb0ELb0ES3_N6thrust23THRUST_200600_302600_NS6detail15normal_iteratorINS9_10device_ptrIiEEEESE_iNS9_4plusIvEEiEEDaPvRmT3_T4_T5_mT6_P12ihipStream_tbENKUlT_T0_E_clISt17integral_constantIbLb0EEST_IbLb1EEEEDaSP_SQ_EUlSP_E_NS1_11comp_targetILNS1_3genE8ELNS1_11target_archE1030ELNS1_3gpuE2ELNS1_3repE0EEENS1_30default_config_static_selectorELNS0_4arch9wavefront6targetE1EEEvT1_: ; @_ZN7rocprim17ROCPRIM_400000_NS6detail17trampoline_kernelINS0_14default_configENS1_20scan_config_selectorIiEEZZNS1_9scan_implILNS1_25lookback_scan_determinismE0ELb0ELb0ES3_N6thrust23THRUST_200600_302600_NS6detail15normal_iteratorINS9_10device_ptrIiEEEESE_iNS9_4plusIvEEiEEDaPvRmT3_T4_T5_mT6_P12ihipStream_tbENKUlT_T0_E_clISt17integral_constantIbLb0EEST_IbLb1EEEEDaSP_SQ_EUlSP_E_NS1_11comp_targetILNS1_3genE8ELNS1_11target_archE1030ELNS1_3gpuE2ELNS1_3repE0EEENS1_30default_config_static_selectorELNS0_4arch9wavefront6targetE1EEEvT1_
; %bb.0:
	.section	.rodata,"a",@progbits
	.p2align	6, 0x0
	.amdhsa_kernel _ZN7rocprim17ROCPRIM_400000_NS6detail17trampoline_kernelINS0_14default_configENS1_20scan_config_selectorIiEEZZNS1_9scan_implILNS1_25lookback_scan_determinismE0ELb0ELb0ES3_N6thrust23THRUST_200600_302600_NS6detail15normal_iteratorINS9_10device_ptrIiEEEESE_iNS9_4plusIvEEiEEDaPvRmT3_T4_T5_mT6_P12ihipStream_tbENKUlT_T0_E_clISt17integral_constantIbLb0EEST_IbLb1EEEEDaSP_SQ_EUlSP_E_NS1_11comp_targetILNS1_3genE8ELNS1_11target_archE1030ELNS1_3gpuE2ELNS1_3repE0EEENS1_30default_config_static_selectorELNS0_4arch9wavefront6targetE1EEEvT1_
		.amdhsa_group_segment_fixed_size 0
		.amdhsa_private_segment_fixed_size 0
		.amdhsa_kernarg_size 96
		.amdhsa_user_sgpr_count 6
		.amdhsa_user_sgpr_private_segment_buffer 1
		.amdhsa_user_sgpr_dispatch_ptr 0
		.amdhsa_user_sgpr_queue_ptr 0
		.amdhsa_user_sgpr_kernarg_segment_ptr 1
		.amdhsa_user_sgpr_dispatch_id 0
		.amdhsa_user_sgpr_flat_scratch_init 0
		.amdhsa_user_sgpr_kernarg_preload_length 0
		.amdhsa_user_sgpr_kernarg_preload_offset 0
		.amdhsa_user_sgpr_private_segment_size 0
		.amdhsa_uses_dynamic_stack 0
		.amdhsa_system_sgpr_private_segment_wavefront_offset 0
		.amdhsa_system_sgpr_workgroup_id_x 1
		.amdhsa_system_sgpr_workgroup_id_y 0
		.amdhsa_system_sgpr_workgroup_id_z 0
		.amdhsa_system_sgpr_workgroup_info 0
		.amdhsa_system_vgpr_workitem_id 0
		.amdhsa_next_free_vgpr 1
		.amdhsa_next_free_sgpr 0
		.amdhsa_accum_offset 4
		.amdhsa_reserve_vcc 0
		.amdhsa_reserve_flat_scratch 0
		.amdhsa_float_round_mode_32 0
		.amdhsa_float_round_mode_16_64 0
		.amdhsa_float_denorm_mode_32 3
		.amdhsa_float_denorm_mode_16_64 3
		.amdhsa_dx10_clamp 1
		.amdhsa_ieee_mode 1
		.amdhsa_fp16_overflow 0
		.amdhsa_tg_split 0
		.amdhsa_exception_fp_ieee_invalid_op 0
		.amdhsa_exception_fp_denorm_src 0
		.amdhsa_exception_fp_ieee_div_zero 0
		.amdhsa_exception_fp_ieee_overflow 0
		.amdhsa_exception_fp_ieee_underflow 0
		.amdhsa_exception_fp_ieee_inexact 0
		.amdhsa_exception_int_div_zero 0
	.end_amdhsa_kernel
	.section	.text._ZN7rocprim17ROCPRIM_400000_NS6detail17trampoline_kernelINS0_14default_configENS1_20scan_config_selectorIiEEZZNS1_9scan_implILNS1_25lookback_scan_determinismE0ELb0ELb0ES3_N6thrust23THRUST_200600_302600_NS6detail15normal_iteratorINS9_10device_ptrIiEEEESE_iNS9_4plusIvEEiEEDaPvRmT3_T4_T5_mT6_P12ihipStream_tbENKUlT_T0_E_clISt17integral_constantIbLb0EEST_IbLb1EEEEDaSP_SQ_EUlSP_E_NS1_11comp_targetILNS1_3genE8ELNS1_11target_archE1030ELNS1_3gpuE2ELNS1_3repE0EEENS1_30default_config_static_selectorELNS0_4arch9wavefront6targetE1EEEvT1_,"axG",@progbits,_ZN7rocprim17ROCPRIM_400000_NS6detail17trampoline_kernelINS0_14default_configENS1_20scan_config_selectorIiEEZZNS1_9scan_implILNS1_25lookback_scan_determinismE0ELb0ELb0ES3_N6thrust23THRUST_200600_302600_NS6detail15normal_iteratorINS9_10device_ptrIiEEEESE_iNS9_4plusIvEEiEEDaPvRmT3_T4_T5_mT6_P12ihipStream_tbENKUlT_T0_E_clISt17integral_constantIbLb0EEST_IbLb1EEEEDaSP_SQ_EUlSP_E_NS1_11comp_targetILNS1_3genE8ELNS1_11target_archE1030ELNS1_3gpuE2ELNS1_3repE0EEENS1_30default_config_static_selectorELNS0_4arch9wavefront6targetE1EEEvT1_,comdat
.Lfunc_end1402:
	.size	_ZN7rocprim17ROCPRIM_400000_NS6detail17trampoline_kernelINS0_14default_configENS1_20scan_config_selectorIiEEZZNS1_9scan_implILNS1_25lookback_scan_determinismE0ELb0ELb0ES3_N6thrust23THRUST_200600_302600_NS6detail15normal_iteratorINS9_10device_ptrIiEEEESE_iNS9_4plusIvEEiEEDaPvRmT3_T4_T5_mT6_P12ihipStream_tbENKUlT_T0_E_clISt17integral_constantIbLb0EEST_IbLb1EEEEDaSP_SQ_EUlSP_E_NS1_11comp_targetILNS1_3genE8ELNS1_11target_archE1030ELNS1_3gpuE2ELNS1_3repE0EEENS1_30default_config_static_selectorELNS0_4arch9wavefront6targetE1EEEvT1_, .Lfunc_end1402-_ZN7rocprim17ROCPRIM_400000_NS6detail17trampoline_kernelINS0_14default_configENS1_20scan_config_selectorIiEEZZNS1_9scan_implILNS1_25lookback_scan_determinismE0ELb0ELb0ES3_N6thrust23THRUST_200600_302600_NS6detail15normal_iteratorINS9_10device_ptrIiEEEESE_iNS9_4plusIvEEiEEDaPvRmT3_T4_T5_mT6_P12ihipStream_tbENKUlT_T0_E_clISt17integral_constantIbLb0EEST_IbLb1EEEEDaSP_SQ_EUlSP_E_NS1_11comp_targetILNS1_3genE8ELNS1_11target_archE1030ELNS1_3gpuE2ELNS1_3repE0EEENS1_30default_config_static_selectorELNS0_4arch9wavefront6targetE1EEEvT1_
                                        ; -- End function
	.section	.AMDGPU.csdata,"",@progbits
; Kernel info:
; codeLenInByte = 0
; NumSgprs: 4
; NumVgprs: 0
; NumAgprs: 0
; TotalNumVgprs: 0
; ScratchSize: 0
; MemoryBound: 0
; FloatMode: 240
; IeeeMode: 1
; LDSByteSize: 0 bytes/workgroup (compile time only)
; SGPRBlocks: 0
; VGPRBlocks: 0
; NumSGPRsForWavesPerEU: 4
; NumVGPRsForWavesPerEU: 1
; AccumOffset: 4
; Occupancy: 8
; WaveLimiterHint : 0
; COMPUTE_PGM_RSRC2:SCRATCH_EN: 0
; COMPUTE_PGM_RSRC2:USER_SGPR: 6
; COMPUTE_PGM_RSRC2:TRAP_HANDLER: 0
; COMPUTE_PGM_RSRC2:TGID_X_EN: 1
; COMPUTE_PGM_RSRC2:TGID_Y_EN: 0
; COMPUTE_PGM_RSRC2:TGID_Z_EN: 0
; COMPUTE_PGM_RSRC2:TIDIG_COMP_CNT: 0
; COMPUTE_PGM_RSRC3_GFX90A:ACCUM_OFFSET: 0
; COMPUTE_PGM_RSRC3_GFX90A:TG_SPLIT: 0
	.section	.text._ZN7rocprim17ROCPRIM_400000_NS6detail17trampoline_kernelINS0_14default_configENS1_20scan_config_selectorIiEEZZNS1_9scan_implILNS1_25lookback_scan_determinismE0ELb0ELb0ES3_N6thrust23THRUST_200600_302600_NS6detail15normal_iteratorINS9_10device_ptrIiEEEESE_iNS9_4plusIvEEiEEDaPvRmT3_T4_T5_mT6_P12ihipStream_tbENKUlT_T0_E_clISt17integral_constantIbLb0EEST_IbLb1EEEEDaSP_SQ_EUlSP_E0_NS1_11comp_targetILNS1_3genE0ELNS1_11target_archE4294967295ELNS1_3gpuE0ELNS1_3repE0EEENS1_30default_config_static_selectorELNS0_4arch9wavefront6targetE1EEEvT1_,"axG",@progbits,_ZN7rocprim17ROCPRIM_400000_NS6detail17trampoline_kernelINS0_14default_configENS1_20scan_config_selectorIiEEZZNS1_9scan_implILNS1_25lookback_scan_determinismE0ELb0ELb0ES3_N6thrust23THRUST_200600_302600_NS6detail15normal_iteratorINS9_10device_ptrIiEEEESE_iNS9_4plusIvEEiEEDaPvRmT3_T4_T5_mT6_P12ihipStream_tbENKUlT_T0_E_clISt17integral_constantIbLb0EEST_IbLb1EEEEDaSP_SQ_EUlSP_E0_NS1_11comp_targetILNS1_3genE0ELNS1_11target_archE4294967295ELNS1_3gpuE0ELNS1_3repE0EEENS1_30default_config_static_selectorELNS0_4arch9wavefront6targetE1EEEvT1_,comdat
	.protected	_ZN7rocprim17ROCPRIM_400000_NS6detail17trampoline_kernelINS0_14default_configENS1_20scan_config_selectorIiEEZZNS1_9scan_implILNS1_25lookback_scan_determinismE0ELb0ELb0ES3_N6thrust23THRUST_200600_302600_NS6detail15normal_iteratorINS9_10device_ptrIiEEEESE_iNS9_4plusIvEEiEEDaPvRmT3_T4_T5_mT6_P12ihipStream_tbENKUlT_T0_E_clISt17integral_constantIbLb0EEST_IbLb1EEEEDaSP_SQ_EUlSP_E0_NS1_11comp_targetILNS1_3genE0ELNS1_11target_archE4294967295ELNS1_3gpuE0ELNS1_3repE0EEENS1_30default_config_static_selectorELNS0_4arch9wavefront6targetE1EEEvT1_ ; -- Begin function _ZN7rocprim17ROCPRIM_400000_NS6detail17trampoline_kernelINS0_14default_configENS1_20scan_config_selectorIiEEZZNS1_9scan_implILNS1_25lookback_scan_determinismE0ELb0ELb0ES3_N6thrust23THRUST_200600_302600_NS6detail15normal_iteratorINS9_10device_ptrIiEEEESE_iNS9_4plusIvEEiEEDaPvRmT3_T4_T5_mT6_P12ihipStream_tbENKUlT_T0_E_clISt17integral_constantIbLb0EEST_IbLb1EEEEDaSP_SQ_EUlSP_E0_NS1_11comp_targetILNS1_3genE0ELNS1_11target_archE4294967295ELNS1_3gpuE0ELNS1_3repE0EEENS1_30default_config_static_selectorELNS0_4arch9wavefront6targetE1EEEvT1_
	.globl	_ZN7rocprim17ROCPRIM_400000_NS6detail17trampoline_kernelINS0_14default_configENS1_20scan_config_selectorIiEEZZNS1_9scan_implILNS1_25lookback_scan_determinismE0ELb0ELb0ES3_N6thrust23THRUST_200600_302600_NS6detail15normal_iteratorINS9_10device_ptrIiEEEESE_iNS9_4plusIvEEiEEDaPvRmT3_T4_T5_mT6_P12ihipStream_tbENKUlT_T0_E_clISt17integral_constantIbLb0EEST_IbLb1EEEEDaSP_SQ_EUlSP_E0_NS1_11comp_targetILNS1_3genE0ELNS1_11target_archE4294967295ELNS1_3gpuE0ELNS1_3repE0EEENS1_30default_config_static_selectorELNS0_4arch9wavefront6targetE1EEEvT1_
	.p2align	8
	.type	_ZN7rocprim17ROCPRIM_400000_NS6detail17trampoline_kernelINS0_14default_configENS1_20scan_config_selectorIiEEZZNS1_9scan_implILNS1_25lookback_scan_determinismE0ELb0ELb0ES3_N6thrust23THRUST_200600_302600_NS6detail15normal_iteratorINS9_10device_ptrIiEEEESE_iNS9_4plusIvEEiEEDaPvRmT3_T4_T5_mT6_P12ihipStream_tbENKUlT_T0_E_clISt17integral_constantIbLb0EEST_IbLb1EEEEDaSP_SQ_EUlSP_E0_NS1_11comp_targetILNS1_3genE0ELNS1_11target_archE4294967295ELNS1_3gpuE0ELNS1_3repE0EEENS1_30default_config_static_selectorELNS0_4arch9wavefront6targetE1EEEvT1_,@function
_ZN7rocprim17ROCPRIM_400000_NS6detail17trampoline_kernelINS0_14default_configENS1_20scan_config_selectorIiEEZZNS1_9scan_implILNS1_25lookback_scan_determinismE0ELb0ELb0ES3_N6thrust23THRUST_200600_302600_NS6detail15normal_iteratorINS9_10device_ptrIiEEEESE_iNS9_4plusIvEEiEEDaPvRmT3_T4_T5_mT6_P12ihipStream_tbENKUlT_T0_E_clISt17integral_constantIbLb0EEST_IbLb1EEEEDaSP_SQ_EUlSP_E0_NS1_11comp_targetILNS1_3genE0ELNS1_11target_archE4294967295ELNS1_3gpuE0ELNS1_3repE0EEENS1_30default_config_static_selectorELNS0_4arch9wavefront6targetE1EEEvT1_: ; @_ZN7rocprim17ROCPRIM_400000_NS6detail17trampoline_kernelINS0_14default_configENS1_20scan_config_selectorIiEEZZNS1_9scan_implILNS1_25lookback_scan_determinismE0ELb0ELb0ES3_N6thrust23THRUST_200600_302600_NS6detail15normal_iteratorINS9_10device_ptrIiEEEESE_iNS9_4plusIvEEiEEDaPvRmT3_T4_T5_mT6_P12ihipStream_tbENKUlT_T0_E_clISt17integral_constantIbLb0EEST_IbLb1EEEEDaSP_SQ_EUlSP_E0_NS1_11comp_targetILNS1_3genE0ELNS1_11target_archE4294967295ELNS1_3gpuE0ELNS1_3repE0EEENS1_30default_config_static_selectorELNS0_4arch9wavefront6targetE1EEEvT1_
; %bb.0:
	.section	.rodata,"a",@progbits
	.p2align	6, 0x0
	.amdhsa_kernel _ZN7rocprim17ROCPRIM_400000_NS6detail17trampoline_kernelINS0_14default_configENS1_20scan_config_selectorIiEEZZNS1_9scan_implILNS1_25lookback_scan_determinismE0ELb0ELb0ES3_N6thrust23THRUST_200600_302600_NS6detail15normal_iteratorINS9_10device_ptrIiEEEESE_iNS9_4plusIvEEiEEDaPvRmT3_T4_T5_mT6_P12ihipStream_tbENKUlT_T0_E_clISt17integral_constantIbLb0EEST_IbLb1EEEEDaSP_SQ_EUlSP_E0_NS1_11comp_targetILNS1_3genE0ELNS1_11target_archE4294967295ELNS1_3gpuE0ELNS1_3repE0EEENS1_30default_config_static_selectorELNS0_4arch9wavefront6targetE1EEEvT1_
		.amdhsa_group_segment_fixed_size 0
		.amdhsa_private_segment_fixed_size 0
		.amdhsa_kernarg_size 32
		.amdhsa_user_sgpr_count 6
		.amdhsa_user_sgpr_private_segment_buffer 1
		.amdhsa_user_sgpr_dispatch_ptr 0
		.amdhsa_user_sgpr_queue_ptr 0
		.amdhsa_user_sgpr_kernarg_segment_ptr 1
		.amdhsa_user_sgpr_dispatch_id 0
		.amdhsa_user_sgpr_flat_scratch_init 0
		.amdhsa_user_sgpr_kernarg_preload_length 0
		.amdhsa_user_sgpr_kernarg_preload_offset 0
		.amdhsa_user_sgpr_private_segment_size 0
		.amdhsa_uses_dynamic_stack 0
		.amdhsa_system_sgpr_private_segment_wavefront_offset 0
		.amdhsa_system_sgpr_workgroup_id_x 1
		.amdhsa_system_sgpr_workgroup_id_y 0
		.amdhsa_system_sgpr_workgroup_id_z 0
		.amdhsa_system_sgpr_workgroup_info 0
		.amdhsa_system_vgpr_workitem_id 0
		.amdhsa_next_free_vgpr 1
		.amdhsa_next_free_sgpr 0
		.amdhsa_accum_offset 4
		.amdhsa_reserve_vcc 0
		.amdhsa_reserve_flat_scratch 0
		.amdhsa_float_round_mode_32 0
		.amdhsa_float_round_mode_16_64 0
		.amdhsa_float_denorm_mode_32 3
		.amdhsa_float_denorm_mode_16_64 3
		.amdhsa_dx10_clamp 1
		.amdhsa_ieee_mode 1
		.amdhsa_fp16_overflow 0
		.amdhsa_tg_split 0
		.amdhsa_exception_fp_ieee_invalid_op 0
		.amdhsa_exception_fp_denorm_src 0
		.amdhsa_exception_fp_ieee_div_zero 0
		.amdhsa_exception_fp_ieee_overflow 0
		.amdhsa_exception_fp_ieee_underflow 0
		.amdhsa_exception_fp_ieee_inexact 0
		.amdhsa_exception_int_div_zero 0
	.end_amdhsa_kernel
	.section	.text._ZN7rocprim17ROCPRIM_400000_NS6detail17trampoline_kernelINS0_14default_configENS1_20scan_config_selectorIiEEZZNS1_9scan_implILNS1_25lookback_scan_determinismE0ELb0ELb0ES3_N6thrust23THRUST_200600_302600_NS6detail15normal_iteratorINS9_10device_ptrIiEEEESE_iNS9_4plusIvEEiEEDaPvRmT3_T4_T5_mT6_P12ihipStream_tbENKUlT_T0_E_clISt17integral_constantIbLb0EEST_IbLb1EEEEDaSP_SQ_EUlSP_E0_NS1_11comp_targetILNS1_3genE0ELNS1_11target_archE4294967295ELNS1_3gpuE0ELNS1_3repE0EEENS1_30default_config_static_selectorELNS0_4arch9wavefront6targetE1EEEvT1_,"axG",@progbits,_ZN7rocprim17ROCPRIM_400000_NS6detail17trampoline_kernelINS0_14default_configENS1_20scan_config_selectorIiEEZZNS1_9scan_implILNS1_25lookback_scan_determinismE0ELb0ELb0ES3_N6thrust23THRUST_200600_302600_NS6detail15normal_iteratorINS9_10device_ptrIiEEEESE_iNS9_4plusIvEEiEEDaPvRmT3_T4_T5_mT6_P12ihipStream_tbENKUlT_T0_E_clISt17integral_constantIbLb0EEST_IbLb1EEEEDaSP_SQ_EUlSP_E0_NS1_11comp_targetILNS1_3genE0ELNS1_11target_archE4294967295ELNS1_3gpuE0ELNS1_3repE0EEENS1_30default_config_static_selectorELNS0_4arch9wavefront6targetE1EEEvT1_,comdat
.Lfunc_end1403:
	.size	_ZN7rocprim17ROCPRIM_400000_NS6detail17trampoline_kernelINS0_14default_configENS1_20scan_config_selectorIiEEZZNS1_9scan_implILNS1_25lookback_scan_determinismE0ELb0ELb0ES3_N6thrust23THRUST_200600_302600_NS6detail15normal_iteratorINS9_10device_ptrIiEEEESE_iNS9_4plusIvEEiEEDaPvRmT3_T4_T5_mT6_P12ihipStream_tbENKUlT_T0_E_clISt17integral_constantIbLb0EEST_IbLb1EEEEDaSP_SQ_EUlSP_E0_NS1_11comp_targetILNS1_3genE0ELNS1_11target_archE4294967295ELNS1_3gpuE0ELNS1_3repE0EEENS1_30default_config_static_selectorELNS0_4arch9wavefront6targetE1EEEvT1_, .Lfunc_end1403-_ZN7rocprim17ROCPRIM_400000_NS6detail17trampoline_kernelINS0_14default_configENS1_20scan_config_selectorIiEEZZNS1_9scan_implILNS1_25lookback_scan_determinismE0ELb0ELb0ES3_N6thrust23THRUST_200600_302600_NS6detail15normal_iteratorINS9_10device_ptrIiEEEESE_iNS9_4plusIvEEiEEDaPvRmT3_T4_T5_mT6_P12ihipStream_tbENKUlT_T0_E_clISt17integral_constantIbLb0EEST_IbLb1EEEEDaSP_SQ_EUlSP_E0_NS1_11comp_targetILNS1_3genE0ELNS1_11target_archE4294967295ELNS1_3gpuE0ELNS1_3repE0EEENS1_30default_config_static_selectorELNS0_4arch9wavefront6targetE1EEEvT1_
                                        ; -- End function
	.section	.AMDGPU.csdata,"",@progbits
; Kernel info:
; codeLenInByte = 0
; NumSgprs: 4
; NumVgprs: 0
; NumAgprs: 0
; TotalNumVgprs: 0
; ScratchSize: 0
; MemoryBound: 0
; FloatMode: 240
; IeeeMode: 1
; LDSByteSize: 0 bytes/workgroup (compile time only)
; SGPRBlocks: 0
; VGPRBlocks: 0
; NumSGPRsForWavesPerEU: 4
; NumVGPRsForWavesPerEU: 1
; AccumOffset: 4
; Occupancy: 8
; WaveLimiterHint : 0
; COMPUTE_PGM_RSRC2:SCRATCH_EN: 0
; COMPUTE_PGM_RSRC2:USER_SGPR: 6
; COMPUTE_PGM_RSRC2:TRAP_HANDLER: 0
; COMPUTE_PGM_RSRC2:TGID_X_EN: 1
; COMPUTE_PGM_RSRC2:TGID_Y_EN: 0
; COMPUTE_PGM_RSRC2:TGID_Z_EN: 0
; COMPUTE_PGM_RSRC2:TIDIG_COMP_CNT: 0
; COMPUTE_PGM_RSRC3_GFX90A:ACCUM_OFFSET: 0
; COMPUTE_PGM_RSRC3_GFX90A:TG_SPLIT: 0
	.section	.text._ZN7rocprim17ROCPRIM_400000_NS6detail17trampoline_kernelINS0_14default_configENS1_20scan_config_selectorIiEEZZNS1_9scan_implILNS1_25lookback_scan_determinismE0ELb0ELb0ES3_N6thrust23THRUST_200600_302600_NS6detail15normal_iteratorINS9_10device_ptrIiEEEESE_iNS9_4plusIvEEiEEDaPvRmT3_T4_T5_mT6_P12ihipStream_tbENKUlT_T0_E_clISt17integral_constantIbLb0EEST_IbLb1EEEEDaSP_SQ_EUlSP_E0_NS1_11comp_targetILNS1_3genE5ELNS1_11target_archE942ELNS1_3gpuE9ELNS1_3repE0EEENS1_30default_config_static_selectorELNS0_4arch9wavefront6targetE1EEEvT1_,"axG",@progbits,_ZN7rocprim17ROCPRIM_400000_NS6detail17trampoline_kernelINS0_14default_configENS1_20scan_config_selectorIiEEZZNS1_9scan_implILNS1_25lookback_scan_determinismE0ELb0ELb0ES3_N6thrust23THRUST_200600_302600_NS6detail15normal_iteratorINS9_10device_ptrIiEEEESE_iNS9_4plusIvEEiEEDaPvRmT3_T4_T5_mT6_P12ihipStream_tbENKUlT_T0_E_clISt17integral_constantIbLb0EEST_IbLb1EEEEDaSP_SQ_EUlSP_E0_NS1_11comp_targetILNS1_3genE5ELNS1_11target_archE942ELNS1_3gpuE9ELNS1_3repE0EEENS1_30default_config_static_selectorELNS0_4arch9wavefront6targetE1EEEvT1_,comdat
	.protected	_ZN7rocprim17ROCPRIM_400000_NS6detail17trampoline_kernelINS0_14default_configENS1_20scan_config_selectorIiEEZZNS1_9scan_implILNS1_25lookback_scan_determinismE0ELb0ELb0ES3_N6thrust23THRUST_200600_302600_NS6detail15normal_iteratorINS9_10device_ptrIiEEEESE_iNS9_4plusIvEEiEEDaPvRmT3_T4_T5_mT6_P12ihipStream_tbENKUlT_T0_E_clISt17integral_constantIbLb0EEST_IbLb1EEEEDaSP_SQ_EUlSP_E0_NS1_11comp_targetILNS1_3genE5ELNS1_11target_archE942ELNS1_3gpuE9ELNS1_3repE0EEENS1_30default_config_static_selectorELNS0_4arch9wavefront6targetE1EEEvT1_ ; -- Begin function _ZN7rocprim17ROCPRIM_400000_NS6detail17trampoline_kernelINS0_14default_configENS1_20scan_config_selectorIiEEZZNS1_9scan_implILNS1_25lookback_scan_determinismE0ELb0ELb0ES3_N6thrust23THRUST_200600_302600_NS6detail15normal_iteratorINS9_10device_ptrIiEEEESE_iNS9_4plusIvEEiEEDaPvRmT3_T4_T5_mT6_P12ihipStream_tbENKUlT_T0_E_clISt17integral_constantIbLb0EEST_IbLb1EEEEDaSP_SQ_EUlSP_E0_NS1_11comp_targetILNS1_3genE5ELNS1_11target_archE942ELNS1_3gpuE9ELNS1_3repE0EEENS1_30default_config_static_selectorELNS0_4arch9wavefront6targetE1EEEvT1_
	.globl	_ZN7rocprim17ROCPRIM_400000_NS6detail17trampoline_kernelINS0_14default_configENS1_20scan_config_selectorIiEEZZNS1_9scan_implILNS1_25lookback_scan_determinismE0ELb0ELb0ES3_N6thrust23THRUST_200600_302600_NS6detail15normal_iteratorINS9_10device_ptrIiEEEESE_iNS9_4plusIvEEiEEDaPvRmT3_T4_T5_mT6_P12ihipStream_tbENKUlT_T0_E_clISt17integral_constantIbLb0EEST_IbLb1EEEEDaSP_SQ_EUlSP_E0_NS1_11comp_targetILNS1_3genE5ELNS1_11target_archE942ELNS1_3gpuE9ELNS1_3repE0EEENS1_30default_config_static_selectorELNS0_4arch9wavefront6targetE1EEEvT1_
	.p2align	8
	.type	_ZN7rocprim17ROCPRIM_400000_NS6detail17trampoline_kernelINS0_14default_configENS1_20scan_config_selectorIiEEZZNS1_9scan_implILNS1_25lookback_scan_determinismE0ELb0ELb0ES3_N6thrust23THRUST_200600_302600_NS6detail15normal_iteratorINS9_10device_ptrIiEEEESE_iNS9_4plusIvEEiEEDaPvRmT3_T4_T5_mT6_P12ihipStream_tbENKUlT_T0_E_clISt17integral_constantIbLb0EEST_IbLb1EEEEDaSP_SQ_EUlSP_E0_NS1_11comp_targetILNS1_3genE5ELNS1_11target_archE942ELNS1_3gpuE9ELNS1_3repE0EEENS1_30default_config_static_selectorELNS0_4arch9wavefront6targetE1EEEvT1_,@function
_ZN7rocprim17ROCPRIM_400000_NS6detail17trampoline_kernelINS0_14default_configENS1_20scan_config_selectorIiEEZZNS1_9scan_implILNS1_25lookback_scan_determinismE0ELb0ELb0ES3_N6thrust23THRUST_200600_302600_NS6detail15normal_iteratorINS9_10device_ptrIiEEEESE_iNS9_4plusIvEEiEEDaPvRmT3_T4_T5_mT6_P12ihipStream_tbENKUlT_T0_E_clISt17integral_constantIbLb0EEST_IbLb1EEEEDaSP_SQ_EUlSP_E0_NS1_11comp_targetILNS1_3genE5ELNS1_11target_archE942ELNS1_3gpuE9ELNS1_3repE0EEENS1_30default_config_static_selectorELNS0_4arch9wavefront6targetE1EEEvT1_: ; @_ZN7rocprim17ROCPRIM_400000_NS6detail17trampoline_kernelINS0_14default_configENS1_20scan_config_selectorIiEEZZNS1_9scan_implILNS1_25lookback_scan_determinismE0ELb0ELb0ES3_N6thrust23THRUST_200600_302600_NS6detail15normal_iteratorINS9_10device_ptrIiEEEESE_iNS9_4plusIvEEiEEDaPvRmT3_T4_T5_mT6_P12ihipStream_tbENKUlT_T0_E_clISt17integral_constantIbLb0EEST_IbLb1EEEEDaSP_SQ_EUlSP_E0_NS1_11comp_targetILNS1_3genE5ELNS1_11target_archE942ELNS1_3gpuE9ELNS1_3repE0EEENS1_30default_config_static_selectorELNS0_4arch9wavefront6targetE1EEEvT1_
; %bb.0:
	.section	.rodata,"a",@progbits
	.p2align	6, 0x0
	.amdhsa_kernel _ZN7rocprim17ROCPRIM_400000_NS6detail17trampoline_kernelINS0_14default_configENS1_20scan_config_selectorIiEEZZNS1_9scan_implILNS1_25lookback_scan_determinismE0ELb0ELb0ES3_N6thrust23THRUST_200600_302600_NS6detail15normal_iteratorINS9_10device_ptrIiEEEESE_iNS9_4plusIvEEiEEDaPvRmT3_T4_T5_mT6_P12ihipStream_tbENKUlT_T0_E_clISt17integral_constantIbLb0EEST_IbLb1EEEEDaSP_SQ_EUlSP_E0_NS1_11comp_targetILNS1_3genE5ELNS1_11target_archE942ELNS1_3gpuE9ELNS1_3repE0EEENS1_30default_config_static_selectorELNS0_4arch9wavefront6targetE1EEEvT1_
		.amdhsa_group_segment_fixed_size 0
		.amdhsa_private_segment_fixed_size 0
		.amdhsa_kernarg_size 32
		.amdhsa_user_sgpr_count 6
		.amdhsa_user_sgpr_private_segment_buffer 1
		.amdhsa_user_sgpr_dispatch_ptr 0
		.amdhsa_user_sgpr_queue_ptr 0
		.amdhsa_user_sgpr_kernarg_segment_ptr 1
		.amdhsa_user_sgpr_dispatch_id 0
		.amdhsa_user_sgpr_flat_scratch_init 0
		.amdhsa_user_sgpr_kernarg_preload_length 0
		.amdhsa_user_sgpr_kernarg_preload_offset 0
		.amdhsa_user_sgpr_private_segment_size 0
		.amdhsa_uses_dynamic_stack 0
		.amdhsa_system_sgpr_private_segment_wavefront_offset 0
		.amdhsa_system_sgpr_workgroup_id_x 1
		.amdhsa_system_sgpr_workgroup_id_y 0
		.amdhsa_system_sgpr_workgroup_id_z 0
		.amdhsa_system_sgpr_workgroup_info 0
		.amdhsa_system_vgpr_workitem_id 0
		.amdhsa_next_free_vgpr 1
		.amdhsa_next_free_sgpr 0
		.amdhsa_accum_offset 4
		.amdhsa_reserve_vcc 0
		.amdhsa_reserve_flat_scratch 0
		.amdhsa_float_round_mode_32 0
		.amdhsa_float_round_mode_16_64 0
		.amdhsa_float_denorm_mode_32 3
		.amdhsa_float_denorm_mode_16_64 3
		.amdhsa_dx10_clamp 1
		.amdhsa_ieee_mode 1
		.amdhsa_fp16_overflow 0
		.amdhsa_tg_split 0
		.amdhsa_exception_fp_ieee_invalid_op 0
		.amdhsa_exception_fp_denorm_src 0
		.amdhsa_exception_fp_ieee_div_zero 0
		.amdhsa_exception_fp_ieee_overflow 0
		.amdhsa_exception_fp_ieee_underflow 0
		.amdhsa_exception_fp_ieee_inexact 0
		.amdhsa_exception_int_div_zero 0
	.end_amdhsa_kernel
	.section	.text._ZN7rocprim17ROCPRIM_400000_NS6detail17trampoline_kernelINS0_14default_configENS1_20scan_config_selectorIiEEZZNS1_9scan_implILNS1_25lookback_scan_determinismE0ELb0ELb0ES3_N6thrust23THRUST_200600_302600_NS6detail15normal_iteratorINS9_10device_ptrIiEEEESE_iNS9_4plusIvEEiEEDaPvRmT3_T4_T5_mT6_P12ihipStream_tbENKUlT_T0_E_clISt17integral_constantIbLb0EEST_IbLb1EEEEDaSP_SQ_EUlSP_E0_NS1_11comp_targetILNS1_3genE5ELNS1_11target_archE942ELNS1_3gpuE9ELNS1_3repE0EEENS1_30default_config_static_selectorELNS0_4arch9wavefront6targetE1EEEvT1_,"axG",@progbits,_ZN7rocprim17ROCPRIM_400000_NS6detail17trampoline_kernelINS0_14default_configENS1_20scan_config_selectorIiEEZZNS1_9scan_implILNS1_25lookback_scan_determinismE0ELb0ELb0ES3_N6thrust23THRUST_200600_302600_NS6detail15normal_iteratorINS9_10device_ptrIiEEEESE_iNS9_4plusIvEEiEEDaPvRmT3_T4_T5_mT6_P12ihipStream_tbENKUlT_T0_E_clISt17integral_constantIbLb0EEST_IbLb1EEEEDaSP_SQ_EUlSP_E0_NS1_11comp_targetILNS1_3genE5ELNS1_11target_archE942ELNS1_3gpuE9ELNS1_3repE0EEENS1_30default_config_static_selectorELNS0_4arch9wavefront6targetE1EEEvT1_,comdat
.Lfunc_end1404:
	.size	_ZN7rocprim17ROCPRIM_400000_NS6detail17trampoline_kernelINS0_14default_configENS1_20scan_config_selectorIiEEZZNS1_9scan_implILNS1_25lookback_scan_determinismE0ELb0ELb0ES3_N6thrust23THRUST_200600_302600_NS6detail15normal_iteratorINS9_10device_ptrIiEEEESE_iNS9_4plusIvEEiEEDaPvRmT3_T4_T5_mT6_P12ihipStream_tbENKUlT_T0_E_clISt17integral_constantIbLb0EEST_IbLb1EEEEDaSP_SQ_EUlSP_E0_NS1_11comp_targetILNS1_3genE5ELNS1_11target_archE942ELNS1_3gpuE9ELNS1_3repE0EEENS1_30default_config_static_selectorELNS0_4arch9wavefront6targetE1EEEvT1_, .Lfunc_end1404-_ZN7rocprim17ROCPRIM_400000_NS6detail17trampoline_kernelINS0_14default_configENS1_20scan_config_selectorIiEEZZNS1_9scan_implILNS1_25lookback_scan_determinismE0ELb0ELb0ES3_N6thrust23THRUST_200600_302600_NS6detail15normal_iteratorINS9_10device_ptrIiEEEESE_iNS9_4plusIvEEiEEDaPvRmT3_T4_T5_mT6_P12ihipStream_tbENKUlT_T0_E_clISt17integral_constantIbLb0EEST_IbLb1EEEEDaSP_SQ_EUlSP_E0_NS1_11comp_targetILNS1_3genE5ELNS1_11target_archE942ELNS1_3gpuE9ELNS1_3repE0EEENS1_30default_config_static_selectorELNS0_4arch9wavefront6targetE1EEEvT1_
                                        ; -- End function
	.section	.AMDGPU.csdata,"",@progbits
; Kernel info:
; codeLenInByte = 0
; NumSgprs: 4
; NumVgprs: 0
; NumAgprs: 0
; TotalNumVgprs: 0
; ScratchSize: 0
; MemoryBound: 0
; FloatMode: 240
; IeeeMode: 1
; LDSByteSize: 0 bytes/workgroup (compile time only)
; SGPRBlocks: 0
; VGPRBlocks: 0
; NumSGPRsForWavesPerEU: 4
; NumVGPRsForWavesPerEU: 1
; AccumOffset: 4
; Occupancy: 8
; WaveLimiterHint : 0
; COMPUTE_PGM_RSRC2:SCRATCH_EN: 0
; COMPUTE_PGM_RSRC2:USER_SGPR: 6
; COMPUTE_PGM_RSRC2:TRAP_HANDLER: 0
; COMPUTE_PGM_RSRC2:TGID_X_EN: 1
; COMPUTE_PGM_RSRC2:TGID_Y_EN: 0
; COMPUTE_PGM_RSRC2:TGID_Z_EN: 0
; COMPUTE_PGM_RSRC2:TIDIG_COMP_CNT: 0
; COMPUTE_PGM_RSRC3_GFX90A:ACCUM_OFFSET: 0
; COMPUTE_PGM_RSRC3_GFX90A:TG_SPLIT: 0
	.section	.text._ZN7rocprim17ROCPRIM_400000_NS6detail17trampoline_kernelINS0_14default_configENS1_20scan_config_selectorIiEEZZNS1_9scan_implILNS1_25lookback_scan_determinismE0ELb0ELb0ES3_N6thrust23THRUST_200600_302600_NS6detail15normal_iteratorINS9_10device_ptrIiEEEESE_iNS9_4plusIvEEiEEDaPvRmT3_T4_T5_mT6_P12ihipStream_tbENKUlT_T0_E_clISt17integral_constantIbLb0EEST_IbLb1EEEEDaSP_SQ_EUlSP_E0_NS1_11comp_targetILNS1_3genE4ELNS1_11target_archE910ELNS1_3gpuE8ELNS1_3repE0EEENS1_30default_config_static_selectorELNS0_4arch9wavefront6targetE1EEEvT1_,"axG",@progbits,_ZN7rocprim17ROCPRIM_400000_NS6detail17trampoline_kernelINS0_14default_configENS1_20scan_config_selectorIiEEZZNS1_9scan_implILNS1_25lookback_scan_determinismE0ELb0ELb0ES3_N6thrust23THRUST_200600_302600_NS6detail15normal_iteratorINS9_10device_ptrIiEEEESE_iNS9_4plusIvEEiEEDaPvRmT3_T4_T5_mT6_P12ihipStream_tbENKUlT_T0_E_clISt17integral_constantIbLb0EEST_IbLb1EEEEDaSP_SQ_EUlSP_E0_NS1_11comp_targetILNS1_3genE4ELNS1_11target_archE910ELNS1_3gpuE8ELNS1_3repE0EEENS1_30default_config_static_selectorELNS0_4arch9wavefront6targetE1EEEvT1_,comdat
	.protected	_ZN7rocprim17ROCPRIM_400000_NS6detail17trampoline_kernelINS0_14default_configENS1_20scan_config_selectorIiEEZZNS1_9scan_implILNS1_25lookback_scan_determinismE0ELb0ELb0ES3_N6thrust23THRUST_200600_302600_NS6detail15normal_iteratorINS9_10device_ptrIiEEEESE_iNS9_4plusIvEEiEEDaPvRmT3_T4_T5_mT6_P12ihipStream_tbENKUlT_T0_E_clISt17integral_constantIbLb0EEST_IbLb1EEEEDaSP_SQ_EUlSP_E0_NS1_11comp_targetILNS1_3genE4ELNS1_11target_archE910ELNS1_3gpuE8ELNS1_3repE0EEENS1_30default_config_static_selectorELNS0_4arch9wavefront6targetE1EEEvT1_ ; -- Begin function _ZN7rocprim17ROCPRIM_400000_NS6detail17trampoline_kernelINS0_14default_configENS1_20scan_config_selectorIiEEZZNS1_9scan_implILNS1_25lookback_scan_determinismE0ELb0ELb0ES3_N6thrust23THRUST_200600_302600_NS6detail15normal_iteratorINS9_10device_ptrIiEEEESE_iNS9_4plusIvEEiEEDaPvRmT3_T4_T5_mT6_P12ihipStream_tbENKUlT_T0_E_clISt17integral_constantIbLb0EEST_IbLb1EEEEDaSP_SQ_EUlSP_E0_NS1_11comp_targetILNS1_3genE4ELNS1_11target_archE910ELNS1_3gpuE8ELNS1_3repE0EEENS1_30default_config_static_selectorELNS0_4arch9wavefront6targetE1EEEvT1_
	.globl	_ZN7rocprim17ROCPRIM_400000_NS6detail17trampoline_kernelINS0_14default_configENS1_20scan_config_selectorIiEEZZNS1_9scan_implILNS1_25lookback_scan_determinismE0ELb0ELb0ES3_N6thrust23THRUST_200600_302600_NS6detail15normal_iteratorINS9_10device_ptrIiEEEESE_iNS9_4plusIvEEiEEDaPvRmT3_T4_T5_mT6_P12ihipStream_tbENKUlT_T0_E_clISt17integral_constantIbLb0EEST_IbLb1EEEEDaSP_SQ_EUlSP_E0_NS1_11comp_targetILNS1_3genE4ELNS1_11target_archE910ELNS1_3gpuE8ELNS1_3repE0EEENS1_30default_config_static_selectorELNS0_4arch9wavefront6targetE1EEEvT1_
	.p2align	8
	.type	_ZN7rocprim17ROCPRIM_400000_NS6detail17trampoline_kernelINS0_14default_configENS1_20scan_config_selectorIiEEZZNS1_9scan_implILNS1_25lookback_scan_determinismE0ELb0ELb0ES3_N6thrust23THRUST_200600_302600_NS6detail15normal_iteratorINS9_10device_ptrIiEEEESE_iNS9_4plusIvEEiEEDaPvRmT3_T4_T5_mT6_P12ihipStream_tbENKUlT_T0_E_clISt17integral_constantIbLb0EEST_IbLb1EEEEDaSP_SQ_EUlSP_E0_NS1_11comp_targetILNS1_3genE4ELNS1_11target_archE910ELNS1_3gpuE8ELNS1_3repE0EEENS1_30default_config_static_selectorELNS0_4arch9wavefront6targetE1EEEvT1_,@function
_ZN7rocprim17ROCPRIM_400000_NS6detail17trampoline_kernelINS0_14default_configENS1_20scan_config_selectorIiEEZZNS1_9scan_implILNS1_25lookback_scan_determinismE0ELb0ELb0ES3_N6thrust23THRUST_200600_302600_NS6detail15normal_iteratorINS9_10device_ptrIiEEEESE_iNS9_4plusIvEEiEEDaPvRmT3_T4_T5_mT6_P12ihipStream_tbENKUlT_T0_E_clISt17integral_constantIbLb0EEST_IbLb1EEEEDaSP_SQ_EUlSP_E0_NS1_11comp_targetILNS1_3genE4ELNS1_11target_archE910ELNS1_3gpuE8ELNS1_3repE0EEENS1_30default_config_static_selectorELNS0_4arch9wavefront6targetE1EEEvT1_: ; @_ZN7rocprim17ROCPRIM_400000_NS6detail17trampoline_kernelINS0_14default_configENS1_20scan_config_selectorIiEEZZNS1_9scan_implILNS1_25lookback_scan_determinismE0ELb0ELb0ES3_N6thrust23THRUST_200600_302600_NS6detail15normal_iteratorINS9_10device_ptrIiEEEESE_iNS9_4plusIvEEiEEDaPvRmT3_T4_T5_mT6_P12ihipStream_tbENKUlT_T0_E_clISt17integral_constantIbLb0EEST_IbLb1EEEEDaSP_SQ_EUlSP_E0_NS1_11comp_targetILNS1_3genE4ELNS1_11target_archE910ELNS1_3gpuE8ELNS1_3repE0EEENS1_30default_config_static_selectorELNS0_4arch9wavefront6targetE1EEEvT1_
; %bb.0:
	s_load_dwordx4 s[20:23], s[4:5], 0x0
	v_lshlrev_b32_e32 v20, 2, v0
	s_waitcnt lgkmcnt(0)
	s_load_dword s23, s[20:21], 0x0
	v_cmp_gt_u32_e32 vcc, s22, v0
	s_waitcnt lgkmcnt(0)
	v_mov_b32_e32 v1, s23
	s_and_saveexec_b64 s[0:1], vcc
	s_cbranch_execz .LBB1405_2
; %bb.1:
	global_load_dword v1, v20, s[20:21]
.LBB1405_2:
	s_or_b64 exec, exec, s[0:1]
	v_or_b32_e32 v2, 0x80, v0
	v_cmp_gt_u32_e64 s[0:1], s22, v2
	v_mov_b32_e32 v2, s23
	s_and_saveexec_b64 s[2:3], s[0:1]
	s_cbranch_execz .LBB1405_4
; %bb.3:
	global_load_dword v2, v20, s[20:21] offset:512
.LBB1405_4:
	s_or_b64 exec, exec, s[2:3]
	v_or_b32_e32 v3, 0x100, v0
	v_cmp_gt_u32_e64 s[2:3], s22, v3
	v_mov_b32_e32 v3, s23
	s_and_saveexec_b64 s[6:7], s[2:3]
	s_cbranch_execz .LBB1405_6
; %bb.5:
	global_load_dword v3, v20, s[20:21] offset:1024
.LBB1405_6:
	;; [unrolled: 9-line block ×7, first 2 shown]
	s_or_b64 exec, exec, s[14:15]
	v_or_b32_e32 v10, 0x400, v0
	v_cmp_gt_u32_e64 s[14:15], s22, v10
	v_mov_b32_e32 v9, s23
	s_and_saveexec_b64 s[16:17], s[14:15]
	s_cbranch_execz .LBB1405_18
; %bb.17:
	v_lshlrev_b32_e32 v9, 2, v10
	global_load_dword v9, v9, s[20:21]
.LBB1405_18:
	s_or_b64 exec, exec, s[16:17]
	v_or_b32_e32 v11, 0x480, v0
	v_cmp_gt_u32_e64 s[16:17], s22, v11
	v_mov_b32_e32 v10, s23
	s_and_saveexec_b64 s[22:23], s[16:17]
	s_cbranch_execz .LBB1405_20
; %bb.19:
	v_lshlrev_b32_e32 v10, 2, v11
	global_load_dword v10, v10, s[20:21]
.LBB1405_20:
	s_or_b64 exec, exec, s[22:23]
	s_waitcnt vmcnt(0)
	ds_write2st64_b32 v20, v1, v2 offset1:2
	ds_write2st64_b32 v20, v3, v4 offset0:4 offset1:6
	ds_write2st64_b32 v20, v5, v6 offset0:8 offset1:10
	;; [unrolled: 1-line block ×4, first 2 shown]
	v_mad_u32_u24 v1, v0, 36, v20
	s_waitcnt lgkmcnt(0)
	s_barrier
	ds_read2_b64 v[6:9], v1 offset1:1
	ds_read2_b64 v[2:5], v1 offset0:2 offset1:3
	ds_read_b64 v[18:19], v1 offset:32
	v_lshrrev_b32_e32 v21, 3, v0
	v_and_b32_e32 v21, 12, v21
	s_waitcnt lgkmcnt(2)
	v_add_u32_e32 v1, v7, v6
	v_add_u32_e32 v14, v1, v8
	;; [unrolled: 1-line block ×3, first 2 shown]
	s_waitcnt lgkmcnt(1)
	v_add_u32_e32 v10, v15, v2
	v_add_u32_e32 v11, v10, v3
	;; [unrolled: 1-line block ×4, first 2 shown]
	s_waitcnt lgkmcnt(0)
	v_add_u32_e32 v16, v13, v18
	v_add_u32_e32 v17, v16, v19
	;; [unrolled: 1-line block ×3, first 2 shown]
	v_cmp_gt_u32_e64 s[20:21], 64, v0
	s_barrier
	ds_write_b32 v21, v17
	s_waitcnt lgkmcnt(0)
	s_barrier
	s_and_saveexec_b64 s[22:23], s[20:21]
	s_cbranch_execz .LBB1405_22
; %bb.21:
	v_lshlrev_b32_e32 v21, 1, v0
	v_lshrrev_b32_e32 v22, 4, v0
	v_add_lshl_u32 v21, v22, v21, 2
	ds_read2_b32 v[22:23], v21 offset1:1
	v_mbcnt_lo_u32_b32 v24, -1, 0
	v_mbcnt_hi_u32_b32 v24, -1, v24
	v_and_b32_e32 v25, 15, v24
	v_cmp_ne_u32_e64 s[20:21], 0, v25
	s_waitcnt lgkmcnt(0)
	v_add_u32_e32 v23, v23, v22
	; wave barrier
	s_nop 1
	v_mov_b32_dpp v26, v23 row_shr:1 row_mask:0xf bank_mask:0xf
	v_cndmask_b32_e64 v26, 0, v26, s[20:21]
	v_add_u32_e32 v23, v26, v23
	v_cmp_lt_u32_e64 s[20:21], 1, v25
	s_nop 0
	v_mov_b32_dpp v26, v23 row_shr:2 row_mask:0xf bank_mask:0xf
	v_cndmask_b32_e64 v26, 0, v26, s[20:21]
	v_add_u32_e32 v23, v23, v26
	v_cmp_lt_u32_e64 s[20:21], 3, v25
	;; [unrolled: 5-line block ×3, first 2 shown]
	s_nop 0
	v_mov_b32_dpp v26, v23 row_shr:8 row_mask:0xf bank_mask:0xf
	v_cndmask_b32_e64 v25, 0, v26, s[20:21]
	v_add_u32_e32 v23, v23, v25
	v_bfe_i32 v26, v24, 4, 1
	v_cmp_lt_u32_e64 s[20:21], 31, v24
	v_mov_b32_dpp v25, v23 row_bcast:15 row_mask:0xf bank_mask:0xf
	v_and_b32_e32 v25, v26, v25
	v_add_u32_e32 v23, v23, v25
	v_and_b32_e32 v26, 64, v24
	s_nop 0
	v_mov_b32_dpp v25, v23 row_bcast:31 row_mask:0xf bank_mask:0xf
	v_cndmask_b32_e64 v25, 0, v25, s[20:21]
	v_add_u32_e32 v23, v23, v25
	v_add_u32_e32 v25, -1, v24
	v_cmp_lt_i32_e64 s[20:21], v25, v26
	v_cndmask_b32_e64 v24, v25, v24, s[20:21]
	v_lshlrev_b32_e32 v24, 2, v24
	ds_bpermute_b32 v23, v24, v23
	v_cmp_eq_u32_e64 s[20:21], 0, v0
	s_waitcnt lgkmcnt(0)
	v_add_u32_e32 v22, v23, v22
	v_cndmask_b32_e64 v22, v22, v17, s[20:21]
	ds_write_b32 v21, v22
	; wave barrier
	ds_read_b32 v23, v21 offset:4
	s_waitcnt lgkmcnt(0)
	v_add_u32_e32 v22, v23, v22
	ds_write_b32 v21, v22 offset:4
.LBB1405_22:
	s_or_b64 exec, exec, s[22:23]
	s_load_dwordx2 s[20:21], s[4:5], 0x18
	v_cmp_ne_u32_e64 s[4:5], 0, v0
	v_mov_b32_e32 v22, v17
	s_waitcnt lgkmcnt(0)
	s_barrier
	s_and_saveexec_b64 s[22:23], s[4:5]
	s_cbranch_execz .LBB1405_24
; %bb.23:
	v_add_u32_e32 v21, -1, v0
	v_lshrrev_b32_e32 v22, 5, v21
	v_add_lshl_u32 v21, v22, v21, 2
	ds_read_b32 v22, v21
.LBB1405_24:
	s_or_b64 exec, exec, s[22:23]
	v_mul_u32_u24_e32 v21, 36, v0
	v_mov_b32_e32 v0, v6
	s_and_saveexec_b64 s[22:23], s[4:5]
	s_cbranch_execz .LBB1405_26
; %bb.25:
	s_waitcnt lgkmcnt(0)
	v_add_u32_e32 v0, v22, v6
	v_add_u32_e32 v1, v0, v7
	;; [unrolled: 1-line block ×10, first 2 shown]
	;;#ASMSTART
	;;#ASMEND
.LBB1405_26:
	s_or_b64 exec, exec, s[22:23]
	v_add_u32_e32 v2, v20, v21
	s_waitcnt lgkmcnt(0)
	s_barrier
	ds_write2_b64 v2, v[0:1], v[14:15] offset1:1
	ds_write2_b64 v2, v[10:11], v[12:13] offset0:2 offset1:3
	ds_write_b64 v2, v[16:17] offset:32
	s_waitcnt lgkmcnt(0)
	s_barrier
	ds_read2st64_b32 v[8:9], v20 offset0:2 offset1:4
	ds_read2st64_b32 v[6:7], v20 offset0:6 offset1:8
	;; [unrolled: 1-line block ×4, first 2 shown]
	ds_read_b32 v10, v20 offset:4608
	v_mov_b32_e32 v1, s21
	v_add_co_u32_e64 v0, s[4:5], s20, v20
	v_addc_co_u32_e64 v1, s[4:5], 0, v1, s[4:5]
	s_and_saveexec_b64 s[4:5], vcc
	s_cbranch_execnz .LBB1405_37
; %bb.27:
	s_or_b64 exec, exec, s[4:5]
	s_and_saveexec_b64 s[4:5], s[0:1]
	s_cbranch_execnz .LBB1405_38
.LBB1405_28:
	s_or_b64 exec, exec, s[4:5]
	s_and_saveexec_b64 s[0:1], s[2:3]
	s_cbranch_execnz .LBB1405_39
.LBB1405_29:
	s_or_b64 exec, exec, s[0:1]
	s_and_saveexec_b64 s[0:1], s[18:19]
	s_cbranch_execnz .LBB1405_40
.LBB1405_30:
	s_or_b64 exec, exec, s[0:1]
	s_and_saveexec_b64 s[0:1], s[6:7]
	s_cbranch_execnz .LBB1405_41
.LBB1405_31:
	s_or_b64 exec, exec, s[0:1]
	s_and_saveexec_b64 s[0:1], s[8:9]
	s_cbranch_execnz .LBB1405_42
.LBB1405_32:
	s_or_b64 exec, exec, s[0:1]
	s_and_saveexec_b64 s[0:1], s[10:11]
	s_cbranch_execnz .LBB1405_43
.LBB1405_33:
	s_or_b64 exec, exec, s[0:1]
	s_and_saveexec_b64 s[0:1], s[12:13]
	s_cbranch_execnz .LBB1405_44
.LBB1405_34:
	s_or_b64 exec, exec, s[0:1]
	s_and_saveexec_b64 s[0:1], s[14:15]
	s_cbranch_execnz .LBB1405_45
.LBB1405_35:
	s_or_b64 exec, exec, s[0:1]
	s_and_saveexec_b64 s[0:1], s[16:17]
	s_cbranch_execnz .LBB1405_46
.LBB1405_36:
	s_endpgm
.LBB1405_37:
	ds_read_b32 v11, v20
	s_waitcnt lgkmcnt(0)
	global_store_dword v[0:1], v11, off
	s_or_b64 exec, exec, s[4:5]
	s_and_saveexec_b64 s[4:5], s[0:1]
	s_cbranch_execz .LBB1405_28
.LBB1405_38:
	s_waitcnt lgkmcnt(4)
	global_store_dword v[0:1], v8, off offset:512
	s_or_b64 exec, exec, s[4:5]
	s_and_saveexec_b64 s[0:1], s[2:3]
	s_cbranch_execz .LBB1405_29
.LBB1405_39:
	s_waitcnt lgkmcnt(4)
	global_store_dword v[0:1], v9, off offset:1024
	s_or_b64 exec, exec, s[0:1]
	s_and_saveexec_b64 s[0:1], s[18:19]
	s_cbranch_execz .LBB1405_30
.LBB1405_40:
	s_waitcnt lgkmcnt(3)
	global_store_dword v[0:1], v6, off offset:1536
	s_or_b64 exec, exec, s[0:1]
	s_and_saveexec_b64 s[0:1], s[6:7]
	s_cbranch_execz .LBB1405_31
.LBB1405_41:
	s_waitcnt lgkmcnt(3)
	global_store_dword v[0:1], v7, off offset:2048
	s_or_b64 exec, exec, s[0:1]
	s_and_saveexec_b64 s[0:1], s[8:9]
	s_cbranch_execz .LBB1405_32
.LBB1405_42:
	s_waitcnt lgkmcnt(2)
	global_store_dword v[0:1], v4, off offset:2560
	s_or_b64 exec, exec, s[0:1]
	s_and_saveexec_b64 s[0:1], s[10:11]
	s_cbranch_execz .LBB1405_33
.LBB1405_43:
	s_waitcnt lgkmcnt(2)
	global_store_dword v[0:1], v5, off offset:3072
	s_or_b64 exec, exec, s[0:1]
	s_and_saveexec_b64 s[0:1], s[12:13]
	s_cbranch_execz .LBB1405_34
.LBB1405_44:
	s_waitcnt lgkmcnt(1)
	global_store_dword v[0:1], v2, off offset:3584
	s_or_b64 exec, exec, s[0:1]
	s_and_saveexec_b64 s[0:1], s[14:15]
	s_cbranch_execz .LBB1405_35
.LBB1405_45:
	s_waitcnt lgkmcnt(2)
	v_add_co_u32_e32 v4, vcc, 0x1000, v0
	v_addc_co_u32_e32 v5, vcc, 0, v1, vcc
	s_waitcnt lgkmcnt(1)
	global_store_dword v[4:5], v3, off
	s_or_b64 exec, exec, s[0:1]
	s_and_saveexec_b64 s[0:1], s[16:17]
	s_cbranch_execz .LBB1405_36
.LBB1405_46:
	v_add_co_u32_e32 v0, vcc, 0x1000, v0
	v_addc_co_u32_e32 v1, vcc, 0, v1, vcc
	s_waitcnt lgkmcnt(0)
	global_store_dword v[0:1], v10, off offset:512
	s_endpgm
	.section	.rodata,"a",@progbits
	.p2align	6, 0x0
	.amdhsa_kernel _ZN7rocprim17ROCPRIM_400000_NS6detail17trampoline_kernelINS0_14default_configENS1_20scan_config_selectorIiEEZZNS1_9scan_implILNS1_25lookback_scan_determinismE0ELb0ELb0ES3_N6thrust23THRUST_200600_302600_NS6detail15normal_iteratorINS9_10device_ptrIiEEEESE_iNS9_4plusIvEEiEEDaPvRmT3_T4_T5_mT6_P12ihipStream_tbENKUlT_T0_E_clISt17integral_constantIbLb0EEST_IbLb1EEEEDaSP_SQ_EUlSP_E0_NS1_11comp_targetILNS1_3genE4ELNS1_11target_archE910ELNS1_3gpuE8ELNS1_3repE0EEENS1_30default_config_static_selectorELNS0_4arch9wavefront6targetE1EEEvT1_
		.amdhsa_group_segment_fixed_size 5120
		.amdhsa_private_segment_fixed_size 0
		.amdhsa_kernarg_size 32
		.amdhsa_user_sgpr_count 6
		.amdhsa_user_sgpr_private_segment_buffer 1
		.amdhsa_user_sgpr_dispatch_ptr 0
		.amdhsa_user_sgpr_queue_ptr 0
		.amdhsa_user_sgpr_kernarg_segment_ptr 1
		.amdhsa_user_sgpr_dispatch_id 0
		.amdhsa_user_sgpr_flat_scratch_init 0
		.amdhsa_user_sgpr_kernarg_preload_length 0
		.amdhsa_user_sgpr_kernarg_preload_offset 0
		.amdhsa_user_sgpr_private_segment_size 0
		.amdhsa_uses_dynamic_stack 0
		.amdhsa_system_sgpr_private_segment_wavefront_offset 0
		.amdhsa_system_sgpr_workgroup_id_x 1
		.amdhsa_system_sgpr_workgroup_id_y 0
		.amdhsa_system_sgpr_workgroup_id_z 0
		.amdhsa_system_sgpr_workgroup_info 0
		.amdhsa_system_vgpr_workitem_id 0
		.amdhsa_next_free_vgpr 27
		.amdhsa_next_free_sgpr 24
		.amdhsa_accum_offset 28
		.amdhsa_reserve_vcc 1
		.amdhsa_reserve_flat_scratch 0
		.amdhsa_float_round_mode_32 0
		.amdhsa_float_round_mode_16_64 0
		.amdhsa_float_denorm_mode_32 3
		.amdhsa_float_denorm_mode_16_64 3
		.amdhsa_dx10_clamp 1
		.amdhsa_ieee_mode 1
		.amdhsa_fp16_overflow 0
		.amdhsa_tg_split 0
		.amdhsa_exception_fp_ieee_invalid_op 0
		.amdhsa_exception_fp_denorm_src 0
		.amdhsa_exception_fp_ieee_div_zero 0
		.amdhsa_exception_fp_ieee_overflow 0
		.amdhsa_exception_fp_ieee_underflow 0
		.amdhsa_exception_fp_ieee_inexact 0
		.amdhsa_exception_int_div_zero 0
	.end_amdhsa_kernel
	.section	.text._ZN7rocprim17ROCPRIM_400000_NS6detail17trampoline_kernelINS0_14default_configENS1_20scan_config_selectorIiEEZZNS1_9scan_implILNS1_25lookback_scan_determinismE0ELb0ELb0ES3_N6thrust23THRUST_200600_302600_NS6detail15normal_iteratorINS9_10device_ptrIiEEEESE_iNS9_4plusIvEEiEEDaPvRmT3_T4_T5_mT6_P12ihipStream_tbENKUlT_T0_E_clISt17integral_constantIbLb0EEST_IbLb1EEEEDaSP_SQ_EUlSP_E0_NS1_11comp_targetILNS1_3genE4ELNS1_11target_archE910ELNS1_3gpuE8ELNS1_3repE0EEENS1_30default_config_static_selectorELNS0_4arch9wavefront6targetE1EEEvT1_,"axG",@progbits,_ZN7rocprim17ROCPRIM_400000_NS6detail17trampoline_kernelINS0_14default_configENS1_20scan_config_selectorIiEEZZNS1_9scan_implILNS1_25lookback_scan_determinismE0ELb0ELb0ES3_N6thrust23THRUST_200600_302600_NS6detail15normal_iteratorINS9_10device_ptrIiEEEESE_iNS9_4plusIvEEiEEDaPvRmT3_T4_T5_mT6_P12ihipStream_tbENKUlT_T0_E_clISt17integral_constantIbLb0EEST_IbLb1EEEEDaSP_SQ_EUlSP_E0_NS1_11comp_targetILNS1_3genE4ELNS1_11target_archE910ELNS1_3gpuE8ELNS1_3repE0EEENS1_30default_config_static_selectorELNS0_4arch9wavefront6targetE1EEEvT1_,comdat
.Lfunc_end1405:
	.size	_ZN7rocprim17ROCPRIM_400000_NS6detail17trampoline_kernelINS0_14default_configENS1_20scan_config_selectorIiEEZZNS1_9scan_implILNS1_25lookback_scan_determinismE0ELb0ELb0ES3_N6thrust23THRUST_200600_302600_NS6detail15normal_iteratorINS9_10device_ptrIiEEEESE_iNS9_4plusIvEEiEEDaPvRmT3_T4_T5_mT6_P12ihipStream_tbENKUlT_T0_E_clISt17integral_constantIbLb0EEST_IbLb1EEEEDaSP_SQ_EUlSP_E0_NS1_11comp_targetILNS1_3genE4ELNS1_11target_archE910ELNS1_3gpuE8ELNS1_3repE0EEENS1_30default_config_static_selectorELNS0_4arch9wavefront6targetE1EEEvT1_, .Lfunc_end1405-_ZN7rocprim17ROCPRIM_400000_NS6detail17trampoline_kernelINS0_14default_configENS1_20scan_config_selectorIiEEZZNS1_9scan_implILNS1_25lookback_scan_determinismE0ELb0ELb0ES3_N6thrust23THRUST_200600_302600_NS6detail15normal_iteratorINS9_10device_ptrIiEEEESE_iNS9_4plusIvEEiEEDaPvRmT3_T4_T5_mT6_P12ihipStream_tbENKUlT_T0_E_clISt17integral_constantIbLb0EEST_IbLb1EEEEDaSP_SQ_EUlSP_E0_NS1_11comp_targetILNS1_3genE4ELNS1_11target_archE910ELNS1_3gpuE8ELNS1_3repE0EEENS1_30default_config_static_selectorELNS0_4arch9wavefront6targetE1EEEvT1_
                                        ; -- End function
	.section	.AMDGPU.csdata,"",@progbits
; Kernel info:
; codeLenInByte = 1556
; NumSgprs: 28
; NumVgprs: 27
; NumAgprs: 0
; TotalNumVgprs: 27
; ScratchSize: 0
; MemoryBound: 0
; FloatMode: 240
; IeeeMode: 1
; LDSByteSize: 5120 bytes/workgroup (compile time only)
; SGPRBlocks: 3
; VGPRBlocks: 3
; NumSGPRsForWavesPerEU: 28
; NumVGPRsForWavesPerEU: 27
; AccumOffset: 28
; Occupancy: 6
; WaveLimiterHint : 0
; COMPUTE_PGM_RSRC2:SCRATCH_EN: 0
; COMPUTE_PGM_RSRC2:USER_SGPR: 6
; COMPUTE_PGM_RSRC2:TRAP_HANDLER: 0
; COMPUTE_PGM_RSRC2:TGID_X_EN: 1
; COMPUTE_PGM_RSRC2:TGID_Y_EN: 0
; COMPUTE_PGM_RSRC2:TGID_Z_EN: 0
; COMPUTE_PGM_RSRC2:TIDIG_COMP_CNT: 0
; COMPUTE_PGM_RSRC3_GFX90A:ACCUM_OFFSET: 6
; COMPUTE_PGM_RSRC3_GFX90A:TG_SPLIT: 0
	.section	.text._ZN7rocprim17ROCPRIM_400000_NS6detail17trampoline_kernelINS0_14default_configENS1_20scan_config_selectorIiEEZZNS1_9scan_implILNS1_25lookback_scan_determinismE0ELb0ELb0ES3_N6thrust23THRUST_200600_302600_NS6detail15normal_iteratorINS9_10device_ptrIiEEEESE_iNS9_4plusIvEEiEEDaPvRmT3_T4_T5_mT6_P12ihipStream_tbENKUlT_T0_E_clISt17integral_constantIbLb0EEST_IbLb1EEEEDaSP_SQ_EUlSP_E0_NS1_11comp_targetILNS1_3genE3ELNS1_11target_archE908ELNS1_3gpuE7ELNS1_3repE0EEENS1_30default_config_static_selectorELNS0_4arch9wavefront6targetE1EEEvT1_,"axG",@progbits,_ZN7rocprim17ROCPRIM_400000_NS6detail17trampoline_kernelINS0_14default_configENS1_20scan_config_selectorIiEEZZNS1_9scan_implILNS1_25lookback_scan_determinismE0ELb0ELb0ES3_N6thrust23THRUST_200600_302600_NS6detail15normal_iteratorINS9_10device_ptrIiEEEESE_iNS9_4plusIvEEiEEDaPvRmT3_T4_T5_mT6_P12ihipStream_tbENKUlT_T0_E_clISt17integral_constantIbLb0EEST_IbLb1EEEEDaSP_SQ_EUlSP_E0_NS1_11comp_targetILNS1_3genE3ELNS1_11target_archE908ELNS1_3gpuE7ELNS1_3repE0EEENS1_30default_config_static_selectorELNS0_4arch9wavefront6targetE1EEEvT1_,comdat
	.protected	_ZN7rocprim17ROCPRIM_400000_NS6detail17trampoline_kernelINS0_14default_configENS1_20scan_config_selectorIiEEZZNS1_9scan_implILNS1_25lookback_scan_determinismE0ELb0ELb0ES3_N6thrust23THRUST_200600_302600_NS6detail15normal_iteratorINS9_10device_ptrIiEEEESE_iNS9_4plusIvEEiEEDaPvRmT3_T4_T5_mT6_P12ihipStream_tbENKUlT_T0_E_clISt17integral_constantIbLb0EEST_IbLb1EEEEDaSP_SQ_EUlSP_E0_NS1_11comp_targetILNS1_3genE3ELNS1_11target_archE908ELNS1_3gpuE7ELNS1_3repE0EEENS1_30default_config_static_selectorELNS0_4arch9wavefront6targetE1EEEvT1_ ; -- Begin function _ZN7rocprim17ROCPRIM_400000_NS6detail17trampoline_kernelINS0_14default_configENS1_20scan_config_selectorIiEEZZNS1_9scan_implILNS1_25lookback_scan_determinismE0ELb0ELb0ES3_N6thrust23THRUST_200600_302600_NS6detail15normal_iteratorINS9_10device_ptrIiEEEESE_iNS9_4plusIvEEiEEDaPvRmT3_T4_T5_mT6_P12ihipStream_tbENKUlT_T0_E_clISt17integral_constantIbLb0EEST_IbLb1EEEEDaSP_SQ_EUlSP_E0_NS1_11comp_targetILNS1_3genE3ELNS1_11target_archE908ELNS1_3gpuE7ELNS1_3repE0EEENS1_30default_config_static_selectorELNS0_4arch9wavefront6targetE1EEEvT1_
	.globl	_ZN7rocprim17ROCPRIM_400000_NS6detail17trampoline_kernelINS0_14default_configENS1_20scan_config_selectorIiEEZZNS1_9scan_implILNS1_25lookback_scan_determinismE0ELb0ELb0ES3_N6thrust23THRUST_200600_302600_NS6detail15normal_iteratorINS9_10device_ptrIiEEEESE_iNS9_4plusIvEEiEEDaPvRmT3_T4_T5_mT6_P12ihipStream_tbENKUlT_T0_E_clISt17integral_constantIbLb0EEST_IbLb1EEEEDaSP_SQ_EUlSP_E0_NS1_11comp_targetILNS1_3genE3ELNS1_11target_archE908ELNS1_3gpuE7ELNS1_3repE0EEENS1_30default_config_static_selectorELNS0_4arch9wavefront6targetE1EEEvT1_
	.p2align	8
	.type	_ZN7rocprim17ROCPRIM_400000_NS6detail17trampoline_kernelINS0_14default_configENS1_20scan_config_selectorIiEEZZNS1_9scan_implILNS1_25lookback_scan_determinismE0ELb0ELb0ES3_N6thrust23THRUST_200600_302600_NS6detail15normal_iteratorINS9_10device_ptrIiEEEESE_iNS9_4plusIvEEiEEDaPvRmT3_T4_T5_mT6_P12ihipStream_tbENKUlT_T0_E_clISt17integral_constantIbLb0EEST_IbLb1EEEEDaSP_SQ_EUlSP_E0_NS1_11comp_targetILNS1_3genE3ELNS1_11target_archE908ELNS1_3gpuE7ELNS1_3repE0EEENS1_30default_config_static_selectorELNS0_4arch9wavefront6targetE1EEEvT1_,@function
_ZN7rocprim17ROCPRIM_400000_NS6detail17trampoline_kernelINS0_14default_configENS1_20scan_config_selectorIiEEZZNS1_9scan_implILNS1_25lookback_scan_determinismE0ELb0ELb0ES3_N6thrust23THRUST_200600_302600_NS6detail15normal_iteratorINS9_10device_ptrIiEEEESE_iNS9_4plusIvEEiEEDaPvRmT3_T4_T5_mT6_P12ihipStream_tbENKUlT_T0_E_clISt17integral_constantIbLb0EEST_IbLb1EEEEDaSP_SQ_EUlSP_E0_NS1_11comp_targetILNS1_3genE3ELNS1_11target_archE908ELNS1_3gpuE7ELNS1_3repE0EEENS1_30default_config_static_selectorELNS0_4arch9wavefront6targetE1EEEvT1_: ; @_ZN7rocprim17ROCPRIM_400000_NS6detail17trampoline_kernelINS0_14default_configENS1_20scan_config_selectorIiEEZZNS1_9scan_implILNS1_25lookback_scan_determinismE0ELb0ELb0ES3_N6thrust23THRUST_200600_302600_NS6detail15normal_iteratorINS9_10device_ptrIiEEEESE_iNS9_4plusIvEEiEEDaPvRmT3_T4_T5_mT6_P12ihipStream_tbENKUlT_T0_E_clISt17integral_constantIbLb0EEST_IbLb1EEEEDaSP_SQ_EUlSP_E0_NS1_11comp_targetILNS1_3genE3ELNS1_11target_archE908ELNS1_3gpuE7ELNS1_3repE0EEENS1_30default_config_static_selectorELNS0_4arch9wavefront6targetE1EEEvT1_
; %bb.0:
	.section	.rodata,"a",@progbits
	.p2align	6, 0x0
	.amdhsa_kernel _ZN7rocprim17ROCPRIM_400000_NS6detail17trampoline_kernelINS0_14default_configENS1_20scan_config_selectorIiEEZZNS1_9scan_implILNS1_25lookback_scan_determinismE0ELb0ELb0ES3_N6thrust23THRUST_200600_302600_NS6detail15normal_iteratorINS9_10device_ptrIiEEEESE_iNS9_4plusIvEEiEEDaPvRmT3_T4_T5_mT6_P12ihipStream_tbENKUlT_T0_E_clISt17integral_constantIbLb0EEST_IbLb1EEEEDaSP_SQ_EUlSP_E0_NS1_11comp_targetILNS1_3genE3ELNS1_11target_archE908ELNS1_3gpuE7ELNS1_3repE0EEENS1_30default_config_static_selectorELNS0_4arch9wavefront6targetE1EEEvT1_
		.amdhsa_group_segment_fixed_size 0
		.amdhsa_private_segment_fixed_size 0
		.amdhsa_kernarg_size 32
		.amdhsa_user_sgpr_count 6
		.amdhsa_user_sgpr_private_segment_buffer 1
		.amdhsa_user_sgpr_dispatch_ptr 0
		.amdhsa_user_sgpr_queue_ptr 0
		.amdhsa_user_sgpr_kernarg_segment_ptr 1
		.amdhsa_user_sgpr_dispatch_id 0
		.amdhsa_user_sgpr_flat_scratch_init 0
		.amdhsa_user_sgpr_kernarg_preload_length 0
		.amdhsa_user_sgpr_kernarg_preload_offset 0
		.amdhsa_user_sgpr_private_segment_size 0
		.amdhsa_uses_dynamic_stack 0
		.amdhsa_system_sgpr_private_segment_wavefront_offset 0
		.amdhsa_system_sgpr_workgroup_id_x 1
		.amdhsa_system_sgpr_workgroup_id_y 0
		.amdhsa_system_sgpr_workgroup_id_z 0
		.amdhsa_system_sgpr_workgroup_info 0
		.amdhsa_system_vgpr_workitem_id 0
		.amdhsa_next_free_vgpr 1
		.amdhsa_next_free_sgpr 0
		.amdhsa_accum_offset 4
		.amdhsa_reserve_vcc 0
		.amdhsa_reserve_flat_scratch 0
		.amdhsa_float_round_mode_32 0
		.amdhsa_float_round_mode_16_64 0
		.amdhsa_float_denorm_mode_32 3
		.amdhsa_float_denorm_mode_16_64 3
		.amdhsa_dx10_clamp 1
		.amdhsa_ieee_mode 1
		.amdhsa_fp16_overflow 0
		.amdhsa_tg_split 0
		.amdhsa_exception_fp_ieee_invalid_op 0
		.amdhsa_exception_fp_denorm_src 0
		.amdhsa_exception_fp_ieee_div_zero 0
		.amdhsa_exception_fp_ieee_overflow 0
		.amdhsa_exception_fp_ieee_underflow 0
		.amdhsa_exception_fp_ieee_inexact 0
		.amdhsa_exception_int_div_zero 0
	.end_amdhsa_kernel
	.section	.text._ZN7rocprim17ROCPRIM_400000_NS6detail17trampoline_kernelINS0_14default_configENS1_20scan_config_selectorIiEEZZNS1_9scan_implILNS1_25lookback_scan_determinismE0ELb0ELb0ES3_N6thrust23THRUST_200600_302600_NS6detail15normal_iteratorINS9_10device_ptrIiEEEESE_iNS9_4plusIvEEiEEDaPvRmT3_T4_T5_mT6_P12ihipStream_tbENKUlT_T0_E_clISt17integral_constantIbLb0EEST_IbLb1EEEEDaSP_SQ_EUlSP_E0_NS1_11comp_targetILNS1_3genE3ELNS1_11target_archE908ELNS1_3gpuE7ELNS1_3repE0EEENS1_30default_config_static_selectorELNS0_4arch9wavefront6targetE1EEEvT1_,"axG",@progbits,_ZN7rocprim17ROCPRIM_400000_NS6detail17trampoline_kernelINS0_14default_configENS1_20scan_config_selectorIiEEZZNS1_9scan_implILNS1_25lookback_scan_determinismE0ELb0ELb0ES3_N6thrust23THRUST_200600_302600_NS6detail15normal_iteratorINS9_10device_ptrIiEEEESE_iNS9_4plusIvEEiEEDaPvRmT3_T4_T5_mT6_P12ihipStream_tbENKUlT_T0_E_clISt17integral_constantIbLb0EEST_IbLb1EEEEDaSP_SQ_EUlSP_E0_NS1_11comp_targetILNS1_3genE3ELNS1_11target_archE908ELNS1_3gpuE7ELNS1_3repE0EEENS1_30default_config_static_selectorELNS0_4arch9wavefront6targetE1EEEvT1_,comdat
.Lfunc_end1406:
	.size	_ZN7rocprim17ROCPRIM_400000_NS6detail17trampoline_kernelINS0_14default_configENS1_20scan_config_selectorIiEEZZNS1_9scan_implILNS1_25lookback_scan_determinismE0ELb0ELb0ES3_N6thrust23THRUST_200600_302600_NS6detail15normal_iteratorINS9_10device_ptrIiEEEESE_iNS9_4plusIvEEiEEDaPvRmT3_T4_T5_mT6_P12ihipStream_tbENKUlT_T0_E_clISt17integral_constantIbLb0EEST_IbLb1EEEEDaSP_SQ_EUlSP_E0_NS1_11comp_targetILNS1_3genE3ELNS1_11target_archE908ELNS1_3gpuE7ELNS1_3repE0EEENS1_30default_config_static_selectorELNS0_4arch9wavefront6targetE1EEEvT1_, .Lfunc_end1406-_ZN7rocprim17ROCPRIM_400000_NS6detail17trampoline_kernelINS0_14default_configENS1_20scan_config_selectorIiEEZZNS1_9scan_implILNS1_25lookback_scan_determinismE0ELb0ELb0ES3_N6thrust23THRUST_200600_302600_NS6detail15normal_iteratorINS9_10device_ptrIiEEEESE_iNS9_4plusIvEEiEEDaPvRmT3_T4_T5_mT6_P12ihipStream_tbENKUlT_T0_E_clISt17integral_constantIbLb0EEST_IbLb1EEEEDaSP_SQ_EUlSP_E0_NS1_11comp_targetILNS1_3genE3ELNS1_11target_archE908ELNS1_3gpuE7ELNS1_3repE0EEENS1_30default_config_static_selectorELNS0_4arch9wavefront6targetE1EEEvT1_
                                        ; -- End function
	.section	.AMDGPU.csdata,"",@progbits
; Kernel info:
; codeLenInByte = 0
; NumSgprs: 4
; NumVgprs: 0
; NumAgprs: 0
; TotalNumVgprs: 0
; ScratchSize: 0
; MemoryBound: 0
; FloatMode: 240
; IeeeMode: 1
; LDSByteSize: 0 bytes/workgroup (compile time only)
; SGPRBlocks: 0
; VGPRBlocks: 0
; NumSGPRsForWavesPerEU: 4
; NumVGPRsForWavesPerEU: 1
; AccumOffset: 4
; Occupancy: 8
; WaveLimiterHint : 0
; COMPUTE_PGM_RSRC2:SCRATCH_EN: 0
; COMPUTE_PGM_RSRC2:USER_SGPR: 6
; COMPUTE_PGM_RSRC2:TRAP_HANDLER: 0
; COMPUTE_PGM_RSRC2:TGID_X_EN: 1
; COMPUTE_PGM_RSRC2:TGID_Y_EN: 0
; COMPUTE_PGM_RSRC2:TGID_Z_EN: 0
; COMPUTE_PGM_RSRC2:TIDIG_COMP_CNT: 0
; COMPUTE_PGM_RSRC3_GFX90A:ACCUM_OFFSET: 0
; COMPUTE_PGM_RSRC3_GFX90A:TG_SPLIT: 0
	.section	.text._ZN7rocprim17ROCPRIM_400000_NS6detail17trampoline_kernelINS0_14default_configENS1_20scan_config_selectorIiEEZZNS1_9scan_implILNS1_25lookback_scan_determinismE0ELb0ELb0ES3_N6thrust23THRUST_200600_302600_NS6detail15normal_iteratorINS9_10device_ptrIiEEEESE_iNS9_4plusIvEEiEEDaPvRmT3_T4_T5_mT6_P12ihipStream_tbENKUlT_T0_E_clISt17integral_constantIbLb0EEST_IbLb1EEEEDaSP_SQ_EUlSP_E0_NS1_11comp_targetILNS1_3genE2ELNS1_11target_archE906ELNS1_3gpuE6ELNS1_3repE0EEENS1_30default_config_static_selectorELNS0_4arch9wavefront6targetE1EEEvT1_,"axG",@progbits,_ZN7rocprim17ROCPRIM_400000_NS6detail17trampoline_kernelINS0_14default_configENS1_20scan_config_selectorIiEEZZNS1_9scan_implILNS1_25lookback_scan_determinismE0ELb0ELb0ES3_N6thrust23THRUST_200600_302600_NS6detail15normal_iteratorINS9_10device_ptrIiEEEESE_iNS9_4plusIvEEiEEDaPvRmT3_T4_T5_mT6_P12ihipStream_tbENKUlT_T0_E_clISt17integral_constantIbLb0EEST_IbLb1EEEEDaSP_SQ_EUlSP_E0_NS1_11comp_targetILNS1_3genE2ELNS1_11target_archE906ELNS1_3gpuE6ELNS1_3repE0EEENS1_30default_config_static_selectorELNS0_4arch9wavefront6targetE1EEEvT1_,comdat
	.protected	_ZN7rocprim17ROCPRIM_400000_NS6detail17trampoline_kernelINS0_14default_configENS1_20scan_config_selectorIiEEZZNS1_9scan_implILNS1_25lookback_scan_determinismE0ELb0ELb0ES3_N6thrust23THRUST_200600_302600_NS6detail15normal_iteratorINS9_10device_ptrIiEEEESE_iNS9_4plusIvEEiEEDaPvRmT3_T4_T5_mT6_P12ihipStream_tbENKUlT_T0_E_clISt17integral_constantIbLb0EEST_IbLb1EEEEDaSP_SQ_EUlSP_E0_NS1_11comp_targetILNS1_3genE2ELNS1_11target_archE906ELNS1_3gpuE6ELNS1_3repE0EEENS1_30default_config_static_selectorELNS0_4arch9wavefront6targetE1EEEvT1_ ; -- Begin function _ZN7rocprim17ROCPRIM_400000_NS6detail17trampoline_kernelINS0_14default_configENS1_20scan_config_selectorIiEEZZNS1_9scan_implILNS1_25lookback_scan_determinismE0ELb0ELb0ES3_N6thrust23THRUST_200600_302600_NS6detail15normal_iteratorINS9_10device_ptrIiEEEESE_iNS9_4plusIvEEiEEDaPvRmT3_T4_T5_mT6_P12ihipStream_tbENKUlT_T0_E_clISt17integral_constantIbLb0EEST_IbLb1EEEEDaSP_SQ_EUlSP_E0_NS1_11comp_targetILNS1_3genE2ELNS1_11target_archE906ELNS1_3gpuE6ELNS1_3repE0EEENS1_30default_config_static_selectorELNS0_4arch9wavefront6targetE1EEEvT1_
	.globl	_ZN7rocprim17ROCPRIM_400000_NS6detail17trampoline_kernelINS0_14default_configENS1_20scan_config_selectorIiEEZZNS1_9scan_implILNS1_25lookback_scan_determinismE0ELb0ELb0ES3_N6thrust23THRUST_200600_302600_NS6detail15normal_iteratorINS9_10device_ptrIiEEEESE_iNS9_4plusIvEEiEEDaPvRmT3_T4_T5_mT6_P12ihipStream_tbENKUlT_T0_E_clISt17integral_constantIbLb0EEST_IbLb1EEEEDaSP_SQ_EUlSP_E0_NS1_11comp_targetILNS1_3genE2ELNS1_11target_archE906ELNS1_3gpuE6ELNS1_3repE0EEENS1_30default_config_static_selectorELNS0_4arch9wavefront6targetE1EEEvT1_
	.p2align	8
	.type	_ZN7rocprim17ROCPRIM_400000_NS6detail17trampoline_kernelINS0_14default_configENS1_20scan_config_selectorIiEEZZNS1_9scan_implILNS1_25lookback_scan_determinismE0ELb0ELb0ES3_N6thrust23THRUST_200600_302600_NS6detail15normal_iteratorINS9_10device_ptrIiEEEESE_iNS9_4plusIvEEiEEDaPvRmT3_T4_T5_mT6_P12ihipStream_tbENKUlT_T0_E_clISt17integral_constantIbLb0EEST_IbLb1EEEEDaSP_SQ_EUlSP_E0_NS1_11comp_targetILNS1_3genE2ELNS1_11target_archE906ELNS1_3gpuE6ELNS1_3repE0EEENS1_30default_config_static_selectorELNS0_4arch9wavefront6targetE1EEEvT1_,@function
_ZN7rocprim17ROCPRIM_400000_NS6detail17trampoline_kernelINS0_14default_configENS1_20scan_config_selectorIiEEZZNS1_9scan_implILNS1_25lookback_scan_determinismE0ELb0ELb0ES3_N6thrust23THRUST_200600_302600_NS6detail15normal_iteratorINS9_10device_ptrIiEEEESE_iNS9_4plusIvEEiEEDaPvRmT3_T4_T5_mT6_P12ihipStream_tbENKUlT_T0_E_clISt17integral_constantIbLb0EEST_IbLb1EEEEDaSP_SQ_EUlSP_E0_NS1_11comp_targetILNS1_3genE2ELNS1_11target_archE906ELNS1_3gpuE6ELNS1_3repE0EEENS1_30default_config_static_selectorELNS0_4arch9wavefront6targetE1EEEvT1_: ; @_ZN7rocprim17ROCPRIM_400000_NS6detail17trampoline_kernelINS0_14default_configENS1_20scan_config_selectorIiEEZZNS1_9scan_implILNS1_25lookback_scan_determinismE0ELb0ELb0ES3_N6thrust23THRUST_200600_302600_NS6detail15normal_iteratorINS9_10device_ptrIiEEEESE_iNS9_4plusIvEEiEEDaPvRmT3_T4_T5_mT6_P12ihipStream_tbENKUlT_T0_E_clISt17integral_constantIbLb0EEST_IbLb1EEEEDaSP_SQ_EUlSP_E0_NS1_11comp_targetILNS1_3genE2ELNS1_11target_archE906ELNS1_3gpuE6ELNS1_3repE0EEENS1_30default_config_static_selectorELNS0_4arch9wavefront6targetE1EEEvT1_
; %bb.0:
	.section	.rodata,"a",@progbits
	.p2align	6, 0x0
	.amdhsa_kernel _ZN7rocprim17ROCPRIM_400000_NS6detail17trampoline_kernelINS0_14default_configENS1_20scan_config_selectorIiEEZZNS1_9scan_implILNS1_25lookback_scan_determinismE0ELb0ELb0ES3_N6thrust23THRUST_200600_302600_NS6detail15normal_iteratorINS9_10device_ptrIiEEEESE_iNS9_4plusIvEEiEEDaPvRmT3_T4_T5_mT6_P12ihipStream_tbENKUlT_T0_E_clISt17integral_constantIbLb0EEST_IbLb1EEEEDaSP_SQ_EUlSP_E0_NS1_11comp_targetILNS1_3genE2ELNS1_11target_archE906ELNS1_3gpuE6ELNS1_3repE0EEENS1_30default_config_static_selectorELNS0_4arch9wavefront6targetE1EEEvT1_
		.amdhsa_group_segment_fixed_size 0
		.amdhsa_private_segment_fixed_size 0
		.amdhsa_kernarg_size 32
		.amdhsa_user_sgpr_count 6
		.amdhsa_user_sgpr_private_segment_buffer 1
		.amdhsa_user_sgpr_dispatch_ptr 0
		.amdhsa_user_sgpr_queue_ptr 0
		.amdhsa_user_sgpr_kernarg_segment_ptr 1
		.amdhsa_user_sgpr_dispatch_id 0
		.amdhsa_user_sgpr_flat_scratch_init 0
		.amdhsa_user_sgpr_kernarg_preload_length 0
		.amdhsa_user_sgpr_kernarg_preload_offset 0
		.amdhsa_user_sgpr_private_segment_size 0
		.amdhsa_uses_dynamic_stack 0
		.amdhsa_system_sgpr_private_segment_wavefront_offset 0
		.amdhsa_system_sgpr_workgroup_id_x 1
		.amdhsa_system_sgpr_workgroup_id_y 0
		.amdhsa_system_sgpr_workgroup_id_z 0
		.amdhsa_system_sgpr_workgroup_info 0
		.amdhsa_system_vgpr_workitem_id 0
		.amdhsa_next_free_vgpr 1
		.amdhsa_next_free_sgpr 0
		.amdhsa_accum_offset 4
		.amdhsa_reserve_vcc 0
		.amdhsa_reserve_flat_scratch 0
		.amdhsa_float_round_mode_32 0
		.amdhsa_float_round_mode_16_64 0
		.amdhsa_float_denorm_mode_32 3
		.amdhsa_float_denorm_mode_16_64 3
		.amdhsa_dx10_clamp 1
		.amdhsa_ieee_mode 1
		.amdhsa_fp16_overflow 0
		.amdhsa_tg_split 0
		.amdhsa_exception_fp_ieee_invalid_op 0
		.amdhsa_exception_fp_denorm_src 0
		.amdhsa_exception_fp_ieee_div_zero 0
		.amdhsa_exception_fp_ieee_overflow 0
		.amdhsa_exception_fp_ieee_underflow 0
		.amdhsa_exception_fp_ieee_inexact 0
		.amdhsa_exception_int_div_zero 0
	.end_amdhsa_kernel
	.section	.text._ZN7rocprim17ROCPRIM_400000_NS6detail17trampoline_kernelINS0_14default_configENS1_20scan_config_selectorIiEEZZNS1_9scan_implILNS1_25lookback_scan_determinismE0ELb0ELb0ES3_N6thrust23THRUST_200600_302600_NS6detail15normal_iteratorINS9_10device_ptrIiEEEESE_iNS9_4plusIvEEiEEDaPvRmT3_T4_T5_mT6_P12ihipStream_tbENKUlT_T0_E_clISt17integral_constantIbLb0EEST_IbLb1EEEEDaSP_SQ_EUlSP_E0_NS1_11comp_targetILNS1_3genE2ELNS1_11target_archE906ELNS1_3gpuE6ELNS1_3repE0EEENS1_30default_config_static_selectorELNS0_4arch9wavefront6targetE1EEEvT1_,"axG",@progbits,_ZN7rocprim17ROCPRIM_400000_NS6detail17trampoline_kernelINS0_14default_configENS1_20scan_config_selectorIiEEZZNS1_9scan_implILNS1_25lookback_scan_determinismE0ELb0ELb0ES3_N6thrust23THRUST_200600_302600_NS6detail15normal_iteratorINS9_10device_ptrIiEEEESE_iNS9_4plusIvEEiEEDaPvRmT3_T4_T5_mT6_P12ihipStream_tbENKUlT_T0_E_clISt17integral_constantIbLb0EEST_IbLb1EEEEDaSP_SQ_EUlSP_E0_NS1_11comp_targetILNS1_3genE2ELNS1_11target_archE906ELNS1_3gpuE6ELNS1_3repE0EEENS1_30default_config_static_selectorELNS0_4arch9wavefront6targetE1EEEvT1_,comdat
.Lfunc_end1407:
	.size	_ZN7rocprim17ROCPRIM_400000_NS6detail17trampoline_kernelINS0_14default_configENS1_20scan_config_selectorIiEEZZNS1_9scan_implILNS1_25lookback_scan_determinismE0ELb0ELb0ES3_N6thrust23THRUST_200600_302600_NS6detail15normal_iteratorINS9_10device_ptrIiEEEESE_iNS9_4plusIvEEiEEDaPvRmT3_T4_T5_mT6_P12ihipStream_tbENKUlT_T0_E_clISt17integral_constantIbLb0EEST_IbLb1EEEEDaSP_SQ_EUlSP_E0_NS1_11comp_targetILNS1_3genE2ELNS1_11target_archE906ELNS1_3gpuE6ELNS1_3repE0EEENS1_30default_config_static_selectorELNS0_4arch9wavefront6targetE1EEEvT1_, .Lfunc_end1407-_ZN7rocprim17ROCPRIM_400000_NS6detail17trampoline_kernelINS0_14default_configENS1_20scan_config_selectorIiEEZZNS1_9scan_implILNS1_25lookback_scan_determinismE0ELb0ELb0ES3_N6thrust23THRUST_200600_302600_NS6detail15normal_iteratorINS9_10device_ptrIiEEEESE_iNS9_4plusIvEEiEEDaPvRmT3_T4_T5_mT6_P12ihipStream_tbENKUlT_T0_E_clISt17integral_constantIbLb0EEST_IbLb1EEEEDaSP_SQ_EUlSP_E0_NS1_11comp_targetILNS1_3genE2ELNS1_11target_archE906ELNS1_3gpuE6ELNS1_3repE0EEENS1_30default_config_static_selectorELNS0_4arch9wavefront6targetE1EEEvT1_
                                        ; -- End function
	.section	.AMDGPU.csdata,"",@progbits
; Kernel info:
; codeLenInByte = 0
; NumSgprs: 4
; NumVgprs: 0
; NumAgprs: 0
; TotalNumVgprs: 0
; ScratchSize: 0
; MemoryBound: 0
; FloatMode: 240
; IeeeMode: 1
; LDSByteSize: 0 bytes/workgroup (compile time only)
; SGPRBlocks: 0
; VGPRBlocks: 0
; NumSGPRsForWavesPerEU: 4
; NumVGPRsForWavesPerEU: 1
; AccumOffset: 4
; Occupancy: 8
; WaveLimiterHint : 0
; COMPUTE_PGM_RSRC2:SCRATCH_EN: 0
; COMPUTE_PGM_RSRC2:USER_SGPR: 6
; COMPUTE_PGM_RSRC2:TRAP_HANDLER: 0
; COMPUTE_PGM_RSRC2:TGID_X_EN: 1
; COMPUTE_PGM_RSRC2:TGID_Y_EN: 0
; COMPUTE_PGM_RSRC2:TGID_Z_EN: 0
; COMPUTE_PGM_RSRC2:TIDIG_COMP_CNT: 0
; COMPUTE_PGM_RSRC3_GFX90A:ACCUM_OFFSET: 0
; COMPUTE_PGM_RSRC3_GFX90A:TG_SPLIT: 0
	.section	.text._ZN7rocprim17ROCPRIM_400000_NS6detail17trampoline_kernelINS0_14default_configENS1_20scan_config_selectorIiEEZZNS1_9scan_implILNS1_25lookback_scan_determinismE0ELb0ELb0ES3_N6thrust23THRUST_200600_302600_NS6detail15normal_iteratorINS9_10device_ptrIiEEEESE_iNS9_4plusIvEEiEEDaPvRmT3_T4_T5_mT6_P12ihipStream_tbENKUlT_T0_E_clISt17integral_constantIbLb0EEST_IbLb1EEEEDaSP_SQ_EUlSP_E0_NS1_11comp_targetILNS1_3genE10ELNS1_11target_archE1201ELNS1_3gpuE5ELNS1_3repE0EEENS1_30default_config_static_selectorELNS0_4arch9wavefront6targetE1EEEvT1_,"axG",@progbits,_ZN7rocprim17ROCPRIM_400000_NS6detail17trampoline_kernelINS0_14default_configENS1_20scan_config_selectorIiEEZZNS1_9scan_implILNS1_25lookback_scan_determinismE0ELb0ELb0ES3_N6thrust23THRUST_200600_302600_NS6detail15normal_iteratorINS9_10device_ptrIiEEEESE_iNS9_4plusIvEEiEEDaPvRmT3_T4_T5_mT6_P12ihipStream_tbENKUlT_T0_E_clISt17integral_constantIbLb0EEST_IbLb1EEEEDaSP_SQ_EUlSP_E0_NS1_11comp_targetILNS1_3genE10ELNS1_11target_archE1201ELNS1_3gpuE5ELNS1_3repE0EEENS1_30default_config_static_selectorELNS0_4arch9wavefront6targetE1EEEvT1_,comdat
	.protected	_ZN7rocprim17ROCPRIM_400000_NS6detail17trampoline_kernelINS0_14default_configENS1_20scan_config_selectorIiEEZZNS1_9scan_implILNS1_25lookback_scan_determinismE0ELb0ELb0ES3_N6thrust23THRUST_200600_302600_NS6detail15normal_iteratorINS9_10device_ptrIiEEEESE_iNS9_4plusIvEEiEEDaPvRmT3_T4_T5_mT6_P12ihipStream_tbENKUlT_T0_E_clISt17integral_constantIbLb0EEST_IbLb1EEEEDaSP_SQ_EUlSP_E0_NS1_11comp_targetILNS1_3genE10ELNS1_11target_archE1201ELNS1_3gpuE5ELNS1_3repE0EEENS1_30default_config_static_selectorELNS0_4arch9wavefront6targetE1EEEvT1_ ; -- Begin function _ZN7rocprim17ROCPRIM_400000_NS6detail17trampoline_kernelINS0_14default_configENS1_20scan_config_selectorIiEEZZNS1_9scan_implILNS1_25lookback_scan_determinismE0ELb0ELb0ES3_N6thrust23THRUST_200600_302600_NS6detail15normal_iteratorINS9_10device_ptrIiEEEESE_iNS9_4plusIvEEiEEDaPvRmT3_T4_T5_mT6_P12ihipStream_tbENKUlT_T0_E_clISt17integral_constantIbLb0EEST_IbLb1EEEEDaSP_SQ_EUlSP_E0_NS1_11comp_targetILNS1_3genE10ELNS1_11target_archE1201ELNS1_3gpuE5ELNS1_3repE0EEENS1_30default_config_static_selectorELNS0_4arch9wavefront6targetE1EEEvT1_
	.globl	_ZN7rocprim17ROCPRIM_400000_NS6detail17trampoline_kernelINS0_14default_configENS1_20scan_config_selectorIiEEZZNS1_9scan_implILNS1_25lookback_scan_determinismE0ELb0ELb0ES3_N6thrust23THRUST_200600_302600_NS6detail15normal_iteratorINS9_10device_ptrIiEEEESE_iNS9_4plusIvEEiEEDaPvRmT3_T4_T5_mT6_P12ihipStream_tbENKUlT_T0_E_clISt17integral_constantIbLb0EEST_IbLb1EEEEDaSP_SQ_EUlSP_E0_NS1_11comp_targetILNS1_3genE10ELNS1_11target_archE1201ELNS1_3gpuE5ELNS1_3repE0EEENS1_30default_config_static_selectorELNS0_4arch9wavefront6targetE1EEEvT1_
	.p2align	8
	.type	_ZN7rocprim17ROCPRIM_400000_NS6detail17trampoline_kernelINS0_14default_configENS1_20scan_config_selectorIiEEZZNS1_9scan_implILNS1_25lookback_scan_determinismE0ELb0ELb0ES3_N6thrust23THRUST_200600_302600_NS6detail15normal_iteratorINS9_10device_ptrIiEEEESE_iNS9_4plusIvEEiEEDaPvRmT3_T4_T5_mT6_P12ihipStream_tbENKUlT_T0_E_clISt17integral_constantIbLb0EEST_IbLb1EEEEDaSP_SQ_EUlSP_E0_NS1_11comp_targetILNS1_3genE10ELNS1_11target_archE1201ELNS1_3gpuE5ELNS1_3repE0EEENS1_30default_config_static_selectorELNS0_4arch9wavefront6targetE1EEEvT1_,@function
_ZN7rocprim17ROCPRIM_400000_NS6detail17trampoline_kernelINS0_14default_configENS1_20scan_config_selectorIiEEZZNS1_9scan_implILNS1_25lookback_scan_determinismE0ELb0ELb0ES3_N6thrust23THRUST_200600_302600_NS6detail15normal_iteratorINS9_10device_ptrIiEEEESE_iNS9_4plusIvEEiEEDaPvRmT3_T4_T5_mT6_P12ihipStream_tbENKUlT_T0_E_clISt17integral_constantIbLb0EEST_IbLb1EEEEDaSP_SQ_EUlSP_E0_NS1_11comp_targetILNS1_3genE10ELNS1_11target_archE1201ELNS1_3gpuE5ELNS1_3repE0EEENS1_30default_config_static_selectorELNS0_4arch9wavefront6targetE1EEEvT1_: ; @_ZN7rocprim17ROCPRIM_400000_NS6detail17trampoline_kernelINS0_14default_configENS1_20scan_config_selectorIiEEZZNS1_9scan_implILNS1_25lookback_scan_determinismE0ELb0ELb0ES3_N6thrust23THRUST_200600_302600_NS6detail15normal_iteratorINS9_10device_ptrIiEEEESE_iNS9_4plusIvEEiEEDaPvRmT3_T4_T5_mT6_P12ihipStream_tbENKUlT_T0_E_clISt17integral_constantIbLb0EEST_IbLb1EEEEDaSP_SQ_EUlSP_E0_NS1_11comp_targetILNS1_3genE10ELNS1_11target_archE1201ELNS1_3gpuE5ELNS1_3repE0EEENS1_30default_config_static_selectorELNS0_4arch9wavefront6targetE1EEEvT1_
; %bb.0:
	.section	.rodata,"a",@progbits
	.p2align	6, 0x0
	.amdhsa_kernel _ZN7rocprim17ROCPRIM_400000_NS6detail17trampoline_kernelINS0_14default_configENS1_20scan_config_selectorIiEEZZNS1_9scan_implILNS1_25lookback_scan_determinismE0ELb0ELb0ES3_N6thrust23THRUST_200600_302600_NS6detail15normal_iteratorINS9_10device_ptrIiEEEESE_iNS9_4plusIvEEiEEDaPvRmT3_T4_T5_mT6_P12ihipStream_tbENKUlT_T0_E_clISt17integral_constantIbLb0EEST_IbLb1EEEEDaSP_SQ_EUlSP_E0_NS1_11comp_targetILNS1_3genE10ELNS1_11target_archE1201ELNS1_3gpuE5ELNS1_3repE0EEENS1_30default_config_static_selectorELNS0_4arch9wavefront6targetE1EEEvT1_
		.amdhsa_group_segment_fixed_size 0
		.amdhsa_private_segment_fixed_size 0
		.amdhsa_kernarg_size 32
		.amdhsa_user_sgpr_count 6
		.amdhsa_user_sgpr_private_segment_buffer 1
		.amdhsa_user_sgpr_dispatch_ptr 0
		.amdhsa_user_sgpr_queue_ptr 0
		.amdhsa_user_sgpr_kernarg_segment_ptr 1
		.amdhsa_user_sgpr_dispatch_id 0
		.amdhsa_user_sgpr_flat_scratch_init 0
		.amdhsa_user_sgpr_kernarg_preload_length 0
		.amdhsa_user_sgpr_kernarg_preload_offset 0
		.amdhsa_user_sgpr_private_segment_size 0
		.amdhsa_uses_dynamic_stack 0
		.amdhsa_system_sgpr_private_segment_wavefront_offset 0
		.amdhsa_system_sgpr_workgroup_id_x 1
		.amdhsa_system_sgpr_workgroup_id_y 0
		.amdhsa_system_sgpr_workgroup_id_z 0
		.amdhsa_system_sgpr_workgroup_info 0
		.amdhsa_system_vgpr_workitem_id 0
		.amdhsa_next_free_vgpr 1
		.amdhsa_next_free_sgpr 0
		.amdhsa_accum_offset 4
		.amdhsa_reserve_vcc 0
		.amdhsa_reserve_flat_scratch 0
		.amdhsa_float_round_mode_32 0
		.amdhsa_float_round_mode_16_64 0
		.amdhsa_float_denorm_mode_32 3
		.amdhsa_float_denorm_mode_16_64 3
		.amdhsa_dx10_clamp 1
		.amdhsa_ieee_mode 1
		.amdhsa_fp16_overflow 0
		.amdhsa_tg_split 0
		.amdhsa_exception_fp_ieee_invalid_op 0
		.amdhsa_exception_fp_denorm_src 0
		.amdhsa_exception_fp_ieee_div_zero 0
		.amdhsa_exception_fp_ieee_overflow 0
		.amdhsa_exception_fp_ieee_underflow 0
		.amdhsa_exception_fp_ieee_inexact 0
		.amdhsa_exception_int_div_zero 0
	.end_amdhsa_kernel
	.section	.text._ZN7rocprim17ROCPRIM_400000_NS6detail17trampoline_kernelINS0_14default_configENS1_20scan_config_selectorIiEEZZNS1_9scan_implILNS1_25lookback_scan_determinismE0ELb0ELb0ES3_N6thrust23THRUST_200600_302600_NS6detail15normal_iteratorINS9_10device_ptrIiEEEESE_iNS9_4plusIvEEiEEDaPvRmT3_T4_T5_mT6_P12ihipStream_tbENKUlT_T0_E_clISt17integral_constantIbLb0EEST_IbLb1EEEEDaSP_SQ_EUlSP_E0_NS1_11comp_targetILNS1_3genE10ELNS1_11target_archE1201ELNS1_3gpuE5ELNS1_3repE0EEENS1_30default_config_static_selectorELNS0_4arch9wavefront6targetE1EEEvT1_,"axG",@progbits,_ZN7rocprim17ROCPRIM_400000_NS6detail17trampoline_kernelINS0_14default_configENS1_20scan_config_selectorIiEEZZNS1_9scan_implILNS1_25lookback_scan_determinismE0ELb0ELb0ES3_N6thrust23THRUST_200600_302600_NS6detail15normal_iteratorINS9_10device_ptrIiEEEESE_iNS9_4plusIvEEiEEDaPvRmT3_T4_T5_mT6_P12ihipStream_tbENKUlT_T0_E_clISt17integral_constantIbLb0EEST_IbLb1EEEEDaSP_SQ_EUlSP_E0_NS1_11comp_targetILNS1_3genE10ELNS1_11target_archE1201ELNS1_3gpuE5ELNS1_3repE0EEENS1_30default_config_static_selectorELNS0_4arch9wavefront6targetE1EEEvT1_,comdat
.Lfunc_end1408:
	.size	_ZN7rocprim17ROCPRIM_400000_NS6detail17trampoline_kernelINS0_14default_configENS1_20scan_config_selectorIiEEZZNS1_9scan_implILNS1_25lookback_scan_determinismE0ELb0ELb0ES3_N6thrust23THRUST_200600_302600_NS6detail15normal_iteratorINS9_10device_ptrIiEEEESE_iNS9_4plusIvEEiEEDaPvRmT3_T4_T5_mT6_P12ihipStream_tbENKUlT_T0_E_clISt17integral_constantIbLb0EEST_IbLb1EEEEDaSP_SQ_EUlSP_E0_NS1_11comp_targetILNS1_3genE10ELNS1_11target_archE1201ELNS1_3gpuE5ELNS1_3repE0EEENS1_30default_config_static_selectorELNS0_4arch9wavefront6targetE1EEEvT1_, .Lfunc_end1408-_ZN7rocprim17ROCPRIM_400000_NS6detail17trampoline_kernelINS0_14default_configENS1_20scan_config_selectorIiEEZZNS1_9scan_implILNS1_25lookback_scan_determinismE0ELb0ELb0ES3_N6thrust23THRUST_200600_302600_NS6detail15normal_iteratorINS9_10device_ptrIiEEEESE_iNS9_4plusIvEEiEEDaPvRmT3_T4_T5_mT6_P12ihipStream_tbENKUlT_T0_E_clISt17integral_constantIbLb0EEST_IbLb1EEEEDaSP_SQ_EUlSP_E0_NS1_11comp_targetILNS1_3genE10ELNS1_11target_archE1201ELNS1_3gpuE5ELNS1_3repE0EEENS1_30default_config_static_selectorELNS0_4arch9wavefront6targetE1EEEvT1_
                                        ; -- End function
	.section	.AMDGPU.csdata,"",@progbits
; Kernel info:
; codeLenInByte = 0
; NumSgprs: 4
; NumVgprs: 0
; NumAgprs: 0
; TotalNumVgprs: 0
; ScratchSize: 0
; MemoryBound: 0
; FloatMode: 240
; IeeeMode: 1
; LDSByteSize: 0 bytes/workgroup (compile time only)
; SGPRBlocks: 0
; VGPRBlocks: 0
; NumSGPRsForWavesPerEU: 4
; NumVGPRsForWavesPerEU: 1
; AccumOffset: 4
; Occupancy: 8
; WaveLimiterHint : 0
; COMPUTE_PGM_RSRC2:SCRATCH_EN: 0
; COMPUTE_PGM_RSRC2:USER_SGPR: 6
; COMPUTE_PGM_RSRC2:TRAP_HANDLER: 0
; COMPUTE_PGM_RSRC2:TGID_X_EN: 1
; COMPUTE_PGM_RSRC2:TGID_Y_EN: 0
; COMPUTE_PGM_RSRC2:TGID_Z_EN: 0
; COMPUTE_PGM_RSRC2:TIDIG_COMP_CNT: 0
; COMPUTE_PGM_RSRC3_GFX90A:ACCUM_OFFSET: 0
; COMPUTE_PGM_RSRC3_GFX90A:TG_SPLIT: 0
	.section	.text._ZN7rocprim17ROCPRIM_400000_NS6detail17trampoline_kernelINS0_14default_configENS1_20scan_config_selectorIiEEZZNS1_9scan_implILNS1_25lookback_scan_determinismE0ELb0ELb0ES3_N6thrust23THRUST_200600_302600_NS6detail15normal_iteratorINS9_10device_ptrIiEEEESE_iNS9_4plusIvEEiEEDaPvRmT3_T4_T5_mT6_P12ihipStream_tbENKUlT_T0_E_clISt17integral_constantIbLb0EEST_IbLb1EEEEDaSP_SQ_EUlSP_E0_NS1_11comp_targetILNS1_3genE10ELNS1_11target_archE1200ELNS1_3gpuE4ELNS1_3repE0EEENS1_30default_config_static_selectorELNS0_4arch9wavefront6targetE1EEEvT1_,"axG",@progbits,_ZN7rocprim17ROCPRIM_400000_NS6detail17trampoline_kernelINS0_14default_configENS1_20scan_config_selectorIiEEZZNS1_9scan_implILNS1_25lookback_scan_determinismE0ELb0ELb0ES3_N6thrust23THRUST_200600_302600_NS6detail15normal_iteratorINS9_10device_ptrIiEEEESE_iNS9_4plusIvEEiEEDaPvRmT3_T4_T5_mT6_P12ihipStream_tbENKUlT_T0_E_clISt17integral_constantIbLb0EEST_IbLb1EEEEDaSP_SQ_EUlSP_E0_NS1_11comp_targetILNS1_3genE10ELNS1_11target_archE1200ELNS1_3gpuE4ELNS1_3repE0EEENS1_30default_config_static_selectorELNS0_4arch9wavefront6targetE1EEEvT1_,comdat
	.protected	_ZN7rocprim17ROCPRIM_400000_NS6detail17trampoline_kernelINS0_14default_configENS1_20scan_config_selectorIiEEZZNS1_9scan_implILNS1_25lookback_scan_determinismE0ELb0ELb0ES3_N6thrust23THRUST_200600_302600_NS6detail15normal_iteratorINS9_10device_ptrIiEEEESE_iNS9_4plusIvEEiEEDaPvRmT3_T4_T5_mT6_P12ihipStream_tbENKUlT_T0_E_clISt17integral_constantIbLb0EEST_IbLb1EEEEDaSP_SQ_EUlSP_E0_NS1_11comp_targetILNS1_3genE10ELNS1_11target_archE1200ELNS1_3gpuE4ELNS1_3repE0EEENS1_30default_config_static_selectorELNS0_4arch9wavefront6targetE1EEEvT1_ ; -- Begin function _ZN7rocprim17ROCPRIM_400000_NS6detail17trampoline_kernelINS0_14default_configENS1_20scan_config_selectorIiEEZZNS1_9scan_implILNS1_25lookback_scan_determinismE0ELb0ELb0ES3_N6thrust23THRUST_200600_302600_NS6detail15normal_iteratorINS9_10device_ptrIiEEEESE_iNS9_4plusIvEEiEEDaPvRmT3_T4_T5_mT6_P12ihipStream_tbENKUlT_T0_E_clISt17integral_constantIbLb0EEST_IbLb1EEEEDaSP_SQ_EUlSP_E0_NS1_11comp_targetILNS1_3genE10ELNS1_11target_archE1200ELNS1_3gpuE4ELNS1_3repE0EEENS1_30default_config_static_selectorELNS0_4arch9wavefront6targetE1EEEvT1_
	.globl	_ZN7rocprim17ROCPRIM_400000_NS6detail17trampoline_kernelINS0_14default_configENS1_20scan_config_selectorIiEEZZNS1_9scan_implILNS1_25lookback_scan_determinismE0ELb0ELb0ES3_N6thrust23THRUST_200600_302600_NS6detail15normal_iteratorINS9_10device_ptrIiEEEESE_iNS9_4plusIvEEiEEDaPvRmT3_T4_T5_mT6_P12ihipStream_tbENKUlT_T0_E_clISt17integral_constantIbLb0EEST_IbLb1EEEEDaSP_SQ_EUlSP_E0_NS1_11comp_targetILNS1_3genE10ELNS1_11target_archE1200ELNS1_3gpuE4ELNS1_3repE0EEENS1_30default_config_static_selectorELNS0_4arch9wavefront6targetE1EEEvT1_
	.p2align	8
	.type	_ZN7rocprim17ROCPRIM_400000_NS6detail17trampoline_kernelINS0_14default_configENS1_20scan_config_selectorIiEEZZNS1_9scan_implILNS1_25lookback_scan_determinismE0ELb0ELb0ES3_N6thrust23THRUST_200600_302600_NS6detail15normal_iteratorINS9_10device_ptrIiEEEESE_iNS9_4plusIvEEiEEDaPvRmT3_T4_T5_mT6_P12ihipStream_tbENKUlT_T0_E_clISt17integral_constantIbLb0EEST_IbLb1EEEEDaSP_SQ_EUlSP_E0_NS1_11comp_targetILNS1_3genE10ELNS1_11target_archE1200ELNS1_3gpuE4ELNS1_3repE0EEENS1_30default_config_static_selectorELNS0_4arch9wavefront6targetE1EEEvT1_,@function
_ZN7rocprim17ROCPRIM_400000_NS6detail17trampoline_kernelINS0_14default_configENS1_20scan_config_selectorIiEEZZNS1_9scan_implILNS1_25lookback_scan_determinismE0ELb0ELb0ES3_N6thrust23THRUST_200600_302600_NS6detail15normal_iteratorINS9_10device_ptrIiEEEESE_iNS9_4plusIvEEiEEDaPvRmT3_T4_T5_mT6_P12ihipStream_tbENKUlT_T0_E_clISt17integral_constantIbLb0EEST_IbLb1EEEEDaSP_SQ_EUlSP_E0_NS1_11comp_targetILNS1_3genE10ELNS1_11target_archE1200ELNS1_3gpuE4ELNS1_3repE0EEENS1_30default_config_static_selectorELNS0_4arch9wavefront6targetE1EEEvT1_: ; @_ZN7rocprim17ROCPRIM_400000_NS6detail17trampoline_kernelINS0_14default_configENS1_20scan_config_selectorIiEEZZNS1_9scan_implILNS1_25lookback_scan_determinismE0ELb0ELb0ES3_N6thrust23THRUST_200600_302600_NS6detail15normal_iteratorINS9_10device_ptrIiEEEESE_iNS9_4plusIvEEiEEDaPvRmT3_T4_T5_mT6_P12ihipStream_tbENKUlT_T0_E_clISt17integral_constantIbLb0EEST_IbLb1EEEEDaSP_SQ_EUlSP_E0_NS1_11comp_targetILNS1_3genE10ELNS1_11target_archE1200ELNS1_3gpuE4ELNS1_3repE0EEENS1_30default_config_static_selectorELNS0_4arch9wavefront6targetE1EEEvT1_
; %bb.0:
	.section	.rodata,"a",@progbits
	.p2align	6, 0x0
	.amdhsa_kernel _ZN7rocprim17ROCPRIM_400000_NS6detail17trampoline_kernelINS0_14default_configENS1_20scan_config_selectorIiEEZZNS1_9scan_implILNS1_25lookback_scan_determinismE0ELb0ELb0ES3_N6thrust23THRUST_200600_302600_NS6detail15normal_iteratorINS9_10device_ptrIiEEEESE_iNS9_4plusIvEEiEEDaPvRmT3_T4_T5_mT6_P12ihipStream_tbENKUlT_T0_E_clISt17integral_constantIbLb0EEST_IbLb1EEEEDaSP_SQ_EUlSP_E0_NS1_11comp_targetILNS1_3genE10ELNS1_11target_archE1200ELNS1_3gpuE4ELNS1_3repE0EEENS1_30default_config_static_selectorELNS0_4arch9wavefront6targetE1EEEvT1_
		.amdhsa_group_segment_fixed_size 0
		.amdhsa_private_segment_fixed_size 0
		.amdhsa_kernarg_size 32
		.amdhsa_user_sgpr_count 6
		.amdhsa_user_sgpr_private_segment_buffer 1
		.amdhsa_user_sgpr_dispatch_ptr 0
		.amdhsa_user_sgpr_queue_ptr 0
		.amdhsa_user_sgpr_kernarg_segment_ptr 1
		.amdhsa_user_sgpr_dispatch_id 0
		.amdhsa_user_sgpr_flat_scratch_init 0
		.amdhsa_user_sgpr_kernarg_preload_length 0
		.amdhsa_user_sgpr_kernarg_preload_offset 0
		.amdhsa_user_sgpr_private_segment_size 0
		.amdhsa_uses_dynamic_stack 0
		.amdhsa_system_sgpr_private_segment_wavefront_offset 0
		.amdhsa_system_sgpr_workgroup_id_x 1
		.amdhsa_system_sgpr_workgroup_id_y 0
		.amdhsa_system_sgpr_workgroup_id_z 0
		.amdhsa_system_sgpr_workgroup_info 0
		.amdhsa_system_vgpr_workitem_id 0
		.amdhsa_next_free_vgpr 1
		.amdhsa_next_free_sgpr 0
		.amdhsa_accum_offset 4
		.amdhsa_reserve_vcc 0
		.amdhsa_reserve_flat_scratch 0
		.amdhsa_float_round_mode_32 0
		.amdhsa_float_round_mode_16_64 0
		.amdhsa_float_denorm_mode_32 3
		.amdhsa_float_denorm_mode_16_64 3
		.amdhsa_dx10_clamp 1
		.amdhsa_ieee_mode 1
		.amdhsa_fp16_overflow 0
		.amdhsa_tg_split 0
		.amdhsa_exception_fp_ieee_invalid_op 0
		.amdhsa_exception_fp_denorm_src 0
		.amdhsa_exception_fp_ieee_div_zero 0
		.amdhsa_exception_fp_ieee_overflow 0
		.amdhsa_exception_fp_ieee_underflow 0
		.amdhsa_exception_fp_ieee_inexact 0
		.amdhsa_exception_int_div_zero 0
	.end_amdhsa_kernel
	.section	.text._ZN7rocprim17ROCPRIM_400000_NS6detail17trampoline_kernelINS0_14default_configENS1_20scan_config_selectorIiEEZZNS1_9scan_implILNS1_25lookback_scan_determinismE0ELb0ELb0ES3_N6thrust23THRUST_200600_302600_NS6detail15normal_iteratorINS9_10device_ptrIiEEEESE_iNS9_4plusIvEEiEEDaPvRmT3_T4_T5_mT6_P12ihipStream_tbENKUlT_T0_E_clISt17integral_constantIbLb0EEST_IbLb1EEEEDaSP_SQ_EUlSP_E0_NS1_11comp_targetILNS1_3genE10ELNS1_11target_archE1200ELNS1_3gpuE4ELNS1_3repE0EEENS1_30default_config_static_selectorELNS0_4arch9wavefront6targetE1EEEvT1_,"axG",@progbits,_ZN7rocprim17ROCPRIM_400000_NS6detail17trampoline_kernelINS0_14default_configENS1_20scan_config_selectorIiEEZZNS1_9scan_implILNS1_25lookback_scan_determinismE0ELb0ELb0ES3_N6thrust23THRUST_200600_302600_NS6detail15normal_iteratorINS9_10device_ptrIiEEEESE_iNS9_4plusIvEEiEEDaPvRmT3_T4_T5_mT6_P12ihipStream_tbENKUlT_T0_E_clISt17integral_constantIbLb0EEST_IbLb1EEEEDaSP_SQ_EUlSP_E0_NS1_11comp_targetILNS1_3genE10ELNS1_11target_archE1200ELNS1_3gpuE4ELNS1_3repE0EEENS1_30default_config_static_selectorELNS0_4arch9wavefront6targetE1EEEvT1_,comdat
.Lfunc_end1409:
	.size	_ZN7rocprim17ROCPRIM_400000_NS6detail17trampoline_kernelINS0_14default_configENS1_20scan_config_selectorIiEEZZNS1_9scan_implILNS1_25lookback_scan_determinismE0ELb0ELb0ES3_N6thrust23THRUST_200600_302600_NS6detail15normal_iteratorINS9_10device_ptrIiEEEESE_iNS9_4plusIvEEiEEDaPvRmT3_T4_T5_mT6_P12ihipStream_tbENKUlT_T0_E_clISt17integral_constantIbLb0EEST_IbLb1EEEEDaSP_SQ_EUlSP_E0_NS1_11comp_targetILNS1_3genE10ELNS1_11target_archE1200ELNS1_3gpuE4ELNS1_3repE0EEENS1_30default_config_static_selectorELNS0_4arch9wavefront6targetE1EEEvT1_, .Lfunc_end1409-_ZN7rocprim17ROCPRIM_400000_NS6detail17trampoline_kernelINS0_14default_configENS1_20scan_config_selectorIiEEZZNS1_9scan_implILNS1_25lookback_scan_determinismE0ELb0ELb0ES3_N6thrust23THRUST_200600_302600_NS6detail15normal_iteratorINS9_10device_ptrIiEEEESE_iNS9_4plusIvEEiEEDaPvRmT3_T4_T5_mT6_P12ihipStream_tbENKUlT_T0_E_clISt17integral_constantIbLb0EEST_IbLb1EEEEDaSP_SQ_EUlSP_E0_NS1_11comp_targetILNS1_3genE10ELNS1_11target_archE1200ELNS1_3gpuE4ELNS1_3repE0EEENS1_30default_config_static_selectorELNS0_4arch9wavefront6targetE1EEEvT1_
                                        ; -- End function
	.section	.AMDGPU.csdata,"",@progbits
; Kernel info:
; codeLenInByte = 0
; NumSgprs: 4
; NumVgprs: 0
; NumAgprs: 0
; TotalNumVgprs: 0
; ScratchSize: 0
; MemoryBound: 0
; FloatMode: 240
; IeeeMode: 1
; LDSByteSize: 0 bytes/workgroup (compile time only)
; SGPRBlocks: 0
; VGPRBlocks: 0
; NumSGPRsForWavesPerEU: 4
; NumVGPRsForWavesPerEU: 1
; AccumOffset: 4
; Occupancy: 8
; WaveLimiterHint : 0
; COMPUTE_PGM_RSRC2:SCRATCH_EN: 0
; COMPUTE_PGM_RSRC2:USER_SGPR: 6
; COMPUTE_PGM_RSRC2:TRAP_HANDLER: 0
; COMPUTE_PGM_RSRC2:TGID_X_EN: 1
; COMPUTE_PGM_RSRC2:TGID_Y_EN: 0
; COMPUTE_PGM_RSRC2:TGID_Z_EN: 0
; COMPUTE_PGM_RSRC2:TIDIG_COMP_CNT: 0
; COMPUTE_PGM_RSRC3_GFX90A:ACCUM_OFFSET: 0
; COMPUTE_PGM_RSRC3_GFX90A:TG_SPLIT: 0
	.section	.text._ZN7rocprim17ROCPRIM_400000_NS6detail17trampoline_kernelINS0_14default_configENS1_20scan_config_selectorIiEEZZNS1_9scan_implILNS1_25lookback_scan_determinismE0ELb0ELb0ES3_N6thrust23THRUST_200600_302600_NS6detail15normal_iteratorINS9_10device_ptrIiEEEESE_iNS9_4plusIvEEiEEDaPvRmT3_T4_T5_mT6_P12ihipStream_tbENKUlT_T0_E_clISt17integral_constantIbLb0EEST_IbLb1EEEEDaSP_SQ_EUlSP_E0_NS1_11comp_targetILNS1_3genE9ELNS1_11target_archE1100ELNS1_3gpuE3ELNS1_3repE0EEENS1_30default_config_static_selectorELNS0_4arch9wavefront6targetE1EEEvT1_,"axG",@progbits,_ZN7rocprim17ROCPRIM_400000_NS6detail17trampoline_kernelINS0_14default_configENS1_20scan_config_selectorIiEEZZNS1_9scan_implILNS1_25lookback_scan_determinismE0ELb0ELb0ES3_N6thrust23THRUST_200600_302600_NS6detail15normal_iteratorINS9_10device_ptrIiEEEESE_iNS9_4plusIvEEiEEDaPvRmT3_T4_T5_mT6_P12ihipStream_tbENKUlT_T0_E_clISt17integral_constantIbLb0EEST_IbLb1EEEEDaSP_SQ_EUlSP_E0_NS1_11comp_targetILNS1_3genE9ELNS1_11target_archE1100ELNS1_3gpuE3ELNS1_3repE0EEENS1_30default_config_static_selectorELNS0_4arch9wavefront6targetE1EEEvT1_,comdat
	.protected	_ZN7rocprim17ROCPRIM_400000_NS6detail17trampoline_kernelINS0_14default_configENS1_20scan_config_selectorIiEEZZNS1_9scan_implILNS1_25lookback_scan_determinismE0ELb0ELb0ES3_N6thrust23THRUST_200600_302600_NS6detail15normal_iteratorINS9_10device_ptrIiEEEESE_iNS9_4plusIvEEiEEDaPvRmT3_T4_T5_mT6_P12ihipStream_tbENKUlT_T0_E_clISt17integral_constantIbLb0EEST_IbLb1EEEEDaSP_SQ_EUlSP_E0_NS1_11comp_targetILNS1_3genE9ELNS1_11target_archE1100ELNS1_3gpuE3ELNS1_3repE0EEENS1_30default_config_static_selectorELNS0_4arch9wavefront6targetE1EEEvT1_ ; -- Begin function _ZN7rocprim17ROCPRIM_400000_NS6detail17trampoline_kernelINS0_14default_configENS1_20scan_config_selectorIiEEZZNS1_9scan_implILNS1_25lookback_scan_determinismE0ELb0ELb0ES3_N6thrust23THRUST_200600_302600_NS6detail15normal_iteratorINS9_10device_ptrIiEEEESE_iNS9_4plusIvEEiEEDaPvRmT3_T4_T5_mT6_P12ihipStream_tbENKUlT_T0_E_clISt17integral_constantIbLb0EEST_IbLb1EEEEDaSP_SQ_EUlSP_E0_NS1_11comp_targetILNS1_3genE9ELNS1_11target_archE1100ELNS1_3gpuE3ELNS1_3repE0EEENS1_30default_config_static_selectorELNS0_4arch9wavefront6targetE1EEEvT1_
	.globl	_ZN7rocprim17ROCPRIM_400000_NS6detail17trampoline_kernelINS0_14default_configENS1_20scan_config_selectorIiEEZZNS1_9scan_implILNS1_25lookback_scan_determinismE0ELb0ELb0ES3_N6thrust23THRUST_200600_302600_NS6detail15normal_iteratorINS9_10device_ptrIiEEEESE_iNS9_4plusIvEEiEEDaPvRmT3_T4_T5_mT6_P12ihipStream_tbENKUlT_T0_E_clISt17integral_constantIbLb0EEST_IbLb1EEEEDaSP_SQ_EUlSP_E0_NS1_11comp_targetILNS1_3genE9ELNS1_11target_archE1100ELNS1_3gpuE3ELNS1_3repE0EEENS1_30default_config_static_selectorELNS0_4arch9wavefront6targetE1EEEvT1_
	.p2align	8
	.type	_ZN7rocprim17ROCPRIM_400000_NS6detail17trampoline_kernelINS0_14default_configENS1_20scan_config_selectorIiEEZZNS1_9scan_implILNS1_25lookback_scan_determinismE0ELb0ELb0ES3_N6thrust23THRUST_200600_302600_NS6detail15normal_iteratorINS9_10device_ptrIiEEEESE_iNS9_4plusIvEEiEEDaPvRmT3_T4_T5_mT6_P12ihipStream_tbENKUlT_T0_E_clISt17integral_constantIbLb0EEST_IbLb1EEEEDaSP_SQ_EUlSP_E0_NS1_11comp_targetILNS1_3genE9ELNS1_11target_archE1100ELNS1_3gpuE3ELNS1_3repE0EEENS1_30default_config_static_selectorELNS0_4arch9wavefront6targetE1EEEvT1_,@function
_ZN7rocprim17ROCPRIM_400000_NS6detail17trampoline_kernelINS0_14default_configENS1_20scan_config_selectorIiEEZZNS1_9scan_implILNS1_25lookback_scan_determinismE0ELb0ELb0ES3_N6thrust23THRUST_200600_302600_NS6detail15normal_iteratorINS9_10device_ptrIiEEEESE_iNS9_4plusIvEEiEEDaPvRmT3_T4_T5_mT6_P12ihipStream_tbENKUlT_T0_E_clISt17integral_constantIbLb0EEST_IbLb1EEEEDaSP_SQ_EUlSP_E0_NS1_11comp_targetILNS1_3genE9ELNS1_11target_archE1100ELNS1_3gpuE3ELNS1_3repE0EEENS1_30default_config_static_selectorELNS0_4arch9wavefront6targetE1EEEvT1_: ; @_ZN7rocprim17ROCPRIM_400000_NS6detail17trampoline_kernelINS0_14default_configENS1_20scan_config_selectorIiEEZZNS1_9scan_implILNS1_25lookback_scan_determinismE0ELb0ELb0ES3_N6thrust23THRUST_200600_302600_NS6detail15normal_iteratorINS9_10device_ptrIiEEEESE_iNS9_4plusIvEEiEEDaPvRmT3_T4_T5_mT6_P12ihipStream_tbENKUlT_T0_E_clISt17integral_constantIbLb0EEST_IbLb1EEEEDaSP_SQ_EUlSP_E0_NS1_11comp_targetILNS1_3genE9ELNS1_11target_archE1100ELNS1_3gpuE3ELNS1_3repE0EEENS1_30default_config_static_selectorELNS0_4arch9wavefront6targetE1EEEvT1_
; %bb.0:
	.section	.rodata,"a",@progbits
	.p2align	6, 0x0
	.amdhsa_kernel _ZN7rocprim17ROCPRIM_400000_NS6detail17trampoline_kernelINS0_14default_configENS1_20scan_config_selectorIiEEZZNS1_9scan_implILNS1_25lookback_scan_determinismE0ELb0ELb0ES3_N6thrust23THRUST_200600_302600_NS6detail15normal_iteratorINS9_10device_ptrIiEEEESE_iNS9_4plusIvEEiEEDaPvRmT3_T4_T5_mT6_P12ihipStream_tbENKUlT_T0_E_clISt17integral_constantIbLb0EEST_IbLb1EEEEDaSP_SQ_EUlSP_E0_NS1_11comp_targetILNS1_3genE9ELNS1_11target_archE1100ELNS1_3gpuE3ELNS1_3repE0EEENS1_30default_config_static_selectorELNS0_4arch9wavefront6targetE1EEEvT1_
		.amdhsa_group_segment_fixed_size 0
		.amdhsa_private_segment_fixed_size 0
		.amdhsa_kernarg_size 32
		.amdhsa_user_sgpr_count 6
		.amdhsa_user_sgpr_private_segment_buffer 1
		.amdhsa_user_sgpr_dispatch_ptr 0
		.amdhsa_user_sgpr_queue_ptr 0
		.amdhsa_user_sgpr_kernarg_segment_ptr 1
		.amdhsa_user_sgpr_dispatch_id 0
		.amdhsa_user_sgpr_flat_scratch_init 0
		.amdhsa_user_sgpr_kernarg_preload_length 0
		.amdhsa_user_sgpr_kernarg_preload_offset 0
		.amdhsa_user_sgpr_private_segment_size 0
		.amdhsa_uses_dynamic_stack 0
		.amdhsa_system_sgpr_private_segment_wavefront_offset 0
		.amdhsa_system_sgpr_workgroup_id_x 1
		.amdhsa_system_sgpr_workgroup_id_y 0
		.amdhsa_system_sgpr_workgroup_id_z 0
		.amdhsa_system_sgpr_workgroup_info 0
		.amdhsa_system_vgpr_workitem_id 0
		.amdhsa_next_free_vgpr 1
		.amdhsa_next_free_sgpr 0
		.amdhsa_accum_offset 4
		.amdhsa_reserve_vcc 0
		.amdhsa_reserve_flat_scratch 0
		.amdhsa_float_round_mode_32 0
		.amdhsa_float_round_mode_16_64 0
		.amdhsa_float_denorm_mode_32 3
		.amdhsa_float_denorm_mode_16_64 3
		.amdhsa_dx10_clamp 1
		.amdhsa_ieee_mode 1
		.amdhsa_fp16_overflow 0
		.amdhsa_tg_split 0
		.amdhsa_exception_fp_ieee_invalid_op 0
		.amdhsa_exception_fp_denorm_src 0
		.amdhsa_exception_fp_ieee_div_zero 0
		.amdhsa_exception_fp_ieee_overflow 0
		.amdhsa_exception_fp_ieee_underflow 0
		.amdhsa_exception_fp_ieee_inexact 0
		.amdhsa_exception_int_div_zero 0
	.end_amdhsa_kernel
	.section	.text._ZN7rocprim17ROCPRIM_400000_NS6detail17trampoline_kernelINS0_14default_configENS1_20scan_config_selectorIiEEZZNS1_9scan_implILNS1_25lookback_scan_determinismE0ELb0ELb0ES3_N6thrust23THRUST_200600_302600_NS6detail15normal_iteratorINS9_10device_ptrIiEEEESE_iNS9_4plusIvEEiEEDaPvRmT3_T4_T5_mT6_P12ihipStream_tbENKUlT_T0_E_clISt17integral_constantIbLb0EEST_IbLb1EEEEDaSP_SQ_EUlSP_E0_NS1_11comp_targetILNS1_3genE9ELNS1_11target_archE1100ELNS1_3gpuE3ELNS1_3repE0EEENS1_30default_config_static_selectorELNS0_4arch9wavefront6targetE1EEEvT1_,"axG",@progbits,_ZN7rocprim17ROCPRIM_400000_NS6detail17trampoline_kernelINS0_14default_configENS1_20scan_config_selectorIiEEZZNS1_9scan_implILNS1_25lookback_scan_determinismE0ELb0ELb0ES3_N6thrust23THRUST_200600_302600_NS6detail15normal_iteratorINS9_10device_ptrIiEEEESE_iNS9_4plusIvEEiEEDaPvRmT3_T4_T5_mT6_P12ihipStream_tbENKUlT_T0_E_clISt17integral_constantIbLb0EEST_IbLb1EEEEDaSP_SQ_EUlSP_E0_NS1_11comp_targetILNS1_3genE9ELNS1_11target_archE1100ELNS1_3gpuE3ELNS1_3repE0EEENS1_30default_config_static_selectorELNS0_4arch9wavefront6targetE1EEEvT1_,comdat
.Lfunc_end1410:
	.size	_ZN7rocprim17ROCPRIM_400000_NS6detail17trampoline_kernelINS0_14default_configENS1_20scan_config_selectorIiEEZZNS1_9scan_implILNS1_25lookback_scan_determinismE0ELb0ELb0ES3_N6thrust23THRUST_200600_302600_NS6detail15normal_iteratorINS9_10device_ptrIiEEEESE_iNS9_4plusIvEEiEEDaPvRmT3_T4_T5_mT6_P12ihipStream_tbENKUlT_T0_E_clISt17integral_constantIbLb0EEST_IbLb1EEEEDaSP_SQ_EUlSP_E0_NS1_11comp_targetILNS1_3genE9ELNS1_11target_archE1100ELNS1_3gpuE3ELNS1_3repE0EEENS1_30default_config_static_selectorELNS0_4arch9wavefront6targetE1EEEvT1_, .Lfunc_end1410-_ZN7rocprim17ROCPRIM_400000_NS6detail17trampoline_kernelINS0_14default_configENS1_20scan_config_selectorIiEEZZNS1_9scan_implILNS1_25lookback_scan_determinismE0ELb0ELb0ES3_N6thrust23THRUST_200600_302600_NS6detail15normal_iteratorINS9_10device_ptrIiEEEESE_iNS9_4plusIvEEiEEDaPvRmT3_T4_T5_mT6_P12ihipStream_tbENKUlT_T0_E_clISt17integral_constantIbLb0EEST_IbLb1EEEEDaSP_SQ_EUlSP_E0_NS1_11comp_targetILNS1_3genE9ELNS1_11target_archE1100ELNS1_3gpuE3ELNS1_3repE0EEENS1_30default_config_static_selectorELNS0_4arch9wavefront6targetE1EEEvT1_
                                        ; -- End function
	.section	.AMDGPU.csdata,"",@progbits
; Kernel info:
; codeLenInByte = 0
; NumSgprs: 4
; NumVgprs: 0
; NumAgprs: 0
; TotalNumVgprs: 0
; ScratchSize: 0
; MemoryBound: 0
; FloatMode: 240
; IeeeMode: 1
; LDSByteSize: 0 bytes/workgroup (compile time only)
; SGPRBlocks: 0
; VGPRBlocks: 0
; NumSGPRsForWavesPerEU: 4
; NumVGPRsForWavesPerEU: 1
; AccumOffset: 4
; Occupancy: 8
; WaveLimiterHint : 0
; COMPUTE_PGM_RSRC2:SCRATCH_EN: 0
; COMPUTE_PGM_RSRC2:USER_SGPR: 6
; COMPUTE_PGM_RSRC2:TRAP_HANDLER: 0
; COMPUTE_PGM_RSRC2:TGID_X_EN: 1
; COMPUTE_PGM_RSRC2:TGID_Y_EN: 0
; COMPUTE_PGM_RSRC2:TGID_Z_EN: 0
; COMPUTE_PGM_RSRC2:TIDIG_COMP_CNT: 0
; COMPUTE_PGM_RSRC3_GFX90A:ACCUM_OFFSET: 0
; COMPUTE_PGM_RSRC3_GFX90A:TG_SPLIT: 0
	.section	.text._ZN7rocprim17ROCPRIM_400000_NS6detail17trampoline_kernelINS0_14default_configENS1_20scan_config_selectorIiEEZZNS1_9scan_implILNS1_25lookback_scan_determinismE0ELb0ELb0ES3_N6thrust23THRUST_200600_302600_NS6detail15normal_iteratorINS9_10device_ptrIiEEEESE_iNS9_4plusIvEEiEEDaPvRmT3_T4_T5_mT6_P12ihipStream_tbENKUlT_T0_E_clISt17integral_constantIbLb0EEST_IbLb1EEEEDaSP_SQ_EUlSP_E0_NS1_11comp_targetILNS1_3genE8ELNS1_11target_archE1030ELNS1_3gpuE2ELNS1_3repE0EEENS1_30default_config_static_selectorELNS0_4arch9wavefront6targetE1EEEvT1_,"axG",@progbits,_ZN7rocprim17ROCPRIM_400000_NS6detail17trampoline_kernelINS0_14default_configENS1_20scan_config_selectorIiEEZZNS1_9scan_implILNS1_25lookback_scan_determinismE0ELb0ELb0ES3_N6thrust23THRUST_200600_302600_NS6detail15normal_iteratorINS9_10device_ptrIiEEEESE_iNS9_4plusIvEEiEEDaPvRmT3_T4_T5_mT6_P12ihipStream_tbENKUlT_T0_E_clISt17integral_constantIbLb0EEST_IbLb1EEEEDaSP_SQ_EUlSP_E0_NS1_11comp_targetILNS1_3genE8ELNS1_11target_archE1030ELNS1_3gpuE2ELNS1_3repE0EEENS1_30default_config_static_selectorELNS0_4arch9wavefront6targetE1EEEvT1_,comdat
	.protected	_ZN7rocprim17ROCPRIM_400000_NS6detail17trampoline_kernelINS0_14default_configENS1_20scan_config_selectorIiEEZZNS1_9scan_implILNS1_25lookback_scan_determinismE0ELb0ELb0ES3_N6thrust23THRUST_200600_302600_NS6detail15normal_iteratorINS9_10device_ptrIiEEEESE_iNS9_4plusIvEEiEEDaPvRmT3_T4_T5_mT6_P12ihipStream_tbENKUlT_T0_E_clISt17integral_constantIbLb0EEST_IbLb1EEEEDaSP_SQ_EUlSP_E0_NS1_11comp_targetILNS1_3genE8ELNS1_11target_archE1030ELNS1_3gpuE2ELNS1_3repE0EEENS1_30default_config_static_selectorELNS0_4arch9wavefront6targetE1EEEvT1_ ; -- Begin function _ZN7rocprim17ROCPRIM_400000_NS6detail17trampoline_kernelINS0_14default_configENS1_20scan_config_selectorIiEEZZNS1_9scan_implILNS1_25lookback_scan_determinismE0ELb0ELb0ES3_N6thrust23THRUST_200600_302600_NS6detail15normal_iteratorINS9_10device_ptrIiEEEESE_iNS9_4plusIvEEiEEDaPvRmT3_T4_T5_mT6_P12ihipStream_tbENKUlT_T0_E_clISt17integral_constantIbLb0EEST_IbLb1EEEEDaSP_SQ_EUlSP_E0_NS1_11comp_targetILNS1_3genE8ELNS1_11target_archE1030ELNS1_3gpuE2ELNS1_3repE0EEENS1_30default_config_static_selectorELNS0_4arch9wavefront6targetE1EEEvT1_
	.globl	_ZN7rocprim17ROCPRIM_400000_NS6detail17trampoline_kernelINS0_14default_configENS1_20scan_config_selectorIiEEZZNS1_9scan_implILNS1_25lookback_scan_determinismE0ELb0ELb0ES3_N6thrust23THRUST_200600_302600_NS6detail15normal_iteratorINS9_10device_ptrIiEEEESE_iNS9_4plusIvEEiEEDaPvRmT3_T4_T5_mT6_P12ihipStream_tbENKUlT_T0_E_clISt17integral_constantIbLb0EEST_IbLb1EEEEDaSP_SQ_EUlSP_E0_NS1_11comp_targetILNS1_3genE8ELNS1_11target_archE1030ELNS1_3gpuE2ELNS1_3repE0EEENS1_30default_config_static_selectorELNS0_4arch9wavefront6targetE1EEEvT1_
	.p2align	8
	.type	_ZN7rocprim17ROCPRIM_400000_NS6detail17trampoline_kernelINS0_14default_configENS1_20scan_config_selectorIiEEZZNS1_9scan_implILNS1_25lookback_scan_determinismE0ELb0ELb0ES3_N6thrust23THRUST_200600_302600_NS6detail15normal_iteratorINS9_10device_ptrIiEEEESE_iNS9_4plusIvEEiEEDaPvRmT3_T4_T5_mT6_P12ihipStream_tbENKUlT_T0_E_clISt17integral_constantIbLb0EEST_IbLb1EEEEDaSP_SQ_EUlSP_E0_NS1_11comp_targetILNS1_3genE8ELNS1_11target_archE1030ELNS1_3gpuE2ELNS1_3repE0EEENS1_30default_config_static_selectorELNS0_4arch9wavefront6targetE1EEEvT1_,@function
_ZN7rocprim17ROCPRIM_400000_NS6detail17trampoline_kernelINS0_14default_configENS1_20scan_config_selectorIiEEZZNS1_9scan_implILNS1_25lookback_scan_determinismE0ELb0ELb0ES3_N6thrust23THRUST_200600_302600_NS6detail15normal_iteratorINS9_10device_ptrIiEEEESE_iNS9_4plusIvEEiEEDaPvRmT3_T4_T5_mT6_P12ihipStream_tbENKUlT_T0_E_clISt17integral_constantIbLb0EEST_IbLb1EEEEDaSP_SQ_EUlSP_E0_NS1_11comp_targetILNS1_3genE8ELNS1_11target_archE1030ELNS1_3gpuE2ELNS1_3repE0EEENS1_30default_config_static_selectorELNS0_4arch9wavefront6targetE1EEEvT1_: ; @_ZN7rocprim17ROCPRIM_400000_NS6detail17trampoline_kernelINS0_14default_configENS1_20scan_config_selectorIiEEZZNS1_9scan_implILNS1_25lookback_scan_determinismE0ELb0ELb0ES3_N6thrust23THRUST_200600_302600_NS6detail15normal_iteratorINS9_10device_ptrIiEEEESE_iNS9_4plusIvEEiEEDaPvRmT3_T4_T5_mT6_P12ihipStream_tbENKUlT_T0_E_clISt17integral_constantIbLb0EEST_IbLb1EEEEDaSP_SQ_EUlSP_E0_NS1_11comp_targetILNS1_3genE8ELNS1_11target_archE1030ELNS1_3gpuE2ELNS1_3repE0EEENS1_30default_config_static_selectorELNS0_4arch9wavefront6targetE1EEEvT1_
; %bb.0:
	.section	.rodata,"a",@progbits
	.p2align	6, 0x0
	.amdhsa_kernel _ZN7rocprim17ROCPRIM_400000_NS6detail17trampoline_kernelINS0_14default_configENS1_20scan_config_selectorIiEEZZNS1_9scan_implILNS1_25lookback_scan_determinismE0ELb0ELb0ES3_N6thrust23THRUST_200600_302600_NS6detail15normal_iteratorINS9_10device_ptrIiEEEESE_iNS9_4plusIvEEiEEDaPvRmT3_T4_T5_mT6_P12ihipStream_tbENKUlT_T0_E_clISt17integral_constantIbLb0EEST_IbLb1EEEEDaSP_SQ_EUlSP_E0_NS1_11comp_targetILNS1_3genE8ELNS1_11target_archE1030ELNS1_3gpuE2ELNS1_3repE0EEENS1_30default_config_static_selectorELNS0_4arch9wavefront6targetE1EEEvT1_
		.amdhsa_group_segment_fixed_size 0
		.amdhsa_private_segment_fixed_size 0
		.amdhsa_kernarg_size 32
		.amdhsa_user_sgpr_count 6
		.amdhsa_user_sgpr_private_segment_buffer 1
		.amdhsa_user_sgpr_dispatch_ptr 0
		.amdhsa_user_sgpr_queue_ptr 0
		.amdhsa_user_sgpr_kernarg_segment_ptr 1
		.amdhsa_user_sgpr_dispatch_id 0
		.amdhsa_user_sgpr_flat_scratch_init 0
		.amdhsa_user_sgpr_kernarg_preload_length 0
		.amdhsa_user_sgpr_kernarg_preload_offset 0
		.amdhsa_user_sgpr_private_segment_size 0
		.amdhsa_uses_dynamic_stack 0
		.amdhsa_system_sgpr_private_segment_wavefront_offset 0
		.amdhsa_system_sgpr_workgroup_id_x 1
		.amdhsa_system_sgpr_workgroup_id_y 0
		.amdhsa_system_sgpr_workgroup_id_z 0
		.amdhsa_system_sgpr_workgroup_info 0
		.amdhsa_system_vgpr_workitem_id 0
		.amdhsa_next_free_vgpr 1
		.amdhsa_next_free_sgpr 0
		.amdhsa_accum_offset 4
		.amdhsa_reserve_vcc 0
		.amdhsa_reserve_flat_scratch 0
		.amdhsa_float_round_mode_32 0
		.amdhsa_float_round_mode_16_64 0
		.amdhsa_float_denorm_mode_32 3
		.amdhsa_float_denorm_mode_16_64 3
		.amdhsa_dx10_clamp 1
		.amdhsa_ieee_mode 1
		.amdhsa_fp16_overflow 0
		.amdhsa_tg_split 0
		.amdhsa_exception_fp_ieee_invalid_op 0
		.amdhsa_exception_fp_denorm_src 0
		.amdhsa_exception_fp_ieee_div_zero 0
		.amdhsa_exception_fp_ieee_overflow 0
		.amdhsa_exception_fp_ieee_underflow 0
		.amdhsa_exception_fp_ieee_inexact 0
		.amdhsa_exception_int_div_zero 0
	.end_amdhsa_kernel
	.section	.text._ZN7rocprim17ROCPRIM_400000_NS6detail17trampoline_kernelINS0_14default_configENS1_20scan_config_selectorIiEEZZNS1_9scan_implILNS1_25lookback_scan_determinismE0ELb0ELb0ES3_N6thrust23THRUST_200600_302600_NS6detail15normal_iteratorINS9_10device_ptrIiEEEESE_iNS9_4plusIvEEiEEDaPvRmT3_T4_T5_mT6_P12ihipStream_tbENKUlT_T0_E_clISt17integral_constantIbLb0EEST_IbLb1EEEEDaSP_SQ_EUlSP_E0_NS1_11comp_targetILNS1_3genE8ELNS1_11target_archE1030ELNS1_3gpuE2ELNS1_3repE0EEENS1_30default_config_static_selectorELNS0_4arch9wavefront6targetE1EEEvT1_,"axG",@progbits,_ZN7rocprim17ROCPRIM_400000_NS6detail17trampoline_kernelINS0_14default_configENS1_20scan_config_selectorIiEEZZNS1_9scan_implILNS1_25lookback_scan_determinismE0ELb0ELb0ES3_N6thrust23THRUST_200600_302600_NS6detail15normal_iteratorINS9_10device_ptrIiEEEESE_iNS9_4plusIvEEiEEDaPvRmT3_T4_T5_mT6_P12ihipStream_tbENKUlT_T0_E_clISt17integral_constantIbLb0EEST_IbLb1EEEEDaSP_SQ_EUlSP_E0_NS1_11comp_targetILNS1_3genE8ELNS1_11target_archE1030ELNS1_3gpuE2ELNS1_3repE0EEENS1_30default_config_static_selectorELNS0_4arch9wavefront6targetE1EEEvT1_,comdat
.Lfunc_end1411:
	.size	_ZN7rocprim17ROCPRIM_400000_NS6detail17trampoline_kernelINS0_14default_configENS1_20scan_config_selectorIiEEZZNS1_9scan_implILNS1_25lookback_scan_determinismE0ELb0ELb0ES3_N6thrust23THRUST_200600_302600_NS6detail15normal_iteratorINS9_10device_ptrIiEEEESE_iNS9_4plusIvEEiEEDaPvRmT3_T4_T5_mT6_P12ihipStream_tbENKUlT_T0_E_clISt17integral_constantIbLb0EEST_IbLb1EEEEDaSP_SQ_EUlSP_E0_NS1_11comp_targetILNS1_3genE8ELNS1_11target_archE1030ELNS1_3gpuE2ELNS1_3repE0EEENS1_30default_config_static_selectorELNS0_4arch9wavefront6targetE1EEEvT1_, .Lfunc_end1411-_ZN7rocprim17ROCPRIM_400000_NS6detail17trampoline_kernelINS0_14default_configENS1_20scan_config_selectorIiEEZZNS1_9scan_implILNS1_25lookback_scan_determinismE0ELb0ELb0ES3_N6thrust23THRUST_200600_302600_NS6detail15normal_iteratorINS9_10device_ptrIiEEEESE_iNS9_4plusIvEEiEEDaPvRmT3_T4_T5_mT6_P12ihipStream_tbENKUlT_T0_E_clISt17integral_constantIbLb0EEST_IbLb1EEEEDaSP_SQ_EUlSP_E0_NS1_11comp_targetILNS1_3genE8ELNS1_11target_archE1030ELNS1_3gpuE2ELNS1_3repE0EEENS1_30default_config_static_selectorELNS0_4arch9wavefront6targetE1EEEvT1_
                                        ; -- End function
	.section	.AMDGPU.csdata,"",@progbits
; Kernel info:
; codeLenInByte = 0
; NumSgprs: 4
; NumVgprs: 0
; NumAgprs: 0
; TotalNumVgprs: 0
; ScratchSize: 0
; MemoryBound: 0
; FloatMode: 240
; IeeeMode: 1
; LDSByteSize: 0 bytes/workgroup (compile time only)
; SGPRBlocks: 0
; VGPRBlocks: 0
; NumSGPRsForWavesPerEU: 4
; NumVGPRsForWavesPerEU: 1
; AccumOffset: 4
; Occupancy: 8
; WaveLimiterHint : 0
; COMPUTE_PGM_RSRC2:SCRATCH_EN: 0
; COMPUTE_PGM_RSRC2:USER_SGPR: 6
; COMPUTE_PGM_RSRC2:TRAP_HANDLER: 0
; COMPUTE_PGM_RSRC2:TGID_X_EN: 1
; COMPUTE_PGM_RSRC2:TGID_Y_EN: 0
; COMPUTE_PGM_RSRC2:TGID_Z_EN: 0
; COMPUTE_PGM_RSRC2:TIDIG_COMP_CNT: 0
; COMPUTE_PGM_RSRC3_GFX90A:ACCUM_OFFSET: 0
; COMPUTE_PGM_RSRC3_GFX90A:TG_SPLIT: 0
	.section	.text._ZN7rocprim17ROCPRIM_400000_NS6detail31init_lookback_scan_state_kernelINS1_19lookback_scan_stateIfLb0ELb1EEENS1_16block_id_wrapperIjLb0EEEEEvT_jT0_jPNS7_10value_typeE,"axG",@progbits,_ZN7rocprim17ROCPRIM_400000_NS6detail31init_lookback_scan_state_kernelINS1_19lookback_scan_stateIfLb0ELb1EEENS1_16block_id_wrapperIjLb0EEEEEvT_jT0_jPNS7_10value_typeE,comdat
	.protected	_ZN7rocprim17ROCPRIM_400000_NS6detail31init_lookback_scan_state_kernelINS1_19lookback_scan_stateIfLb0ELb1EEENS1_16block_id_wrapperIjLb0EEEEEvT_jT0_jPNS7_10value_typeE ; -- Begin function _ZN7rocprim17ROCPRIM_400000_NS6detail31init_lookback_scan_state_kernelINS1_19lookback_scan_stateIfLb0ELb1EEENS1_16block_id_wrapperIjLb0EEEEEvT_jT0_jPNS7_10value_typeE
	.globl	_ZN7rocprim17ROCPRIM_400000_NS6detail31init_lookback_scan_state_kernelINS1_19lookback_scan_stateIfLb0ELb1EEENS1_16block_id_wrapperIjLb0EEEEEvT_jT0_jPNS7_10value_typeE
	.p2align	8
	.type	_ZN7rocprim17ROCPRIM_400000_NS6detail31init_lookback_scan_state_kernelINS1_19lookback_scan_stateIfLb0ELb1EEENS1_16block_id_wrapperIjLb0EEEEEvT_jT0_jPNS7_10value_typeE,@function
_ZN7rocprim17ROCPRIM_400000_NS6detail31init_lookback_scan_state_kernelINS1_19lookback_scan_stateIfLb0ELb1EEENS1_16block_id_wrapperIjLb0EEEEEvT_jT0_jPNS7_10value_typeE: ; @_ZN7rocprim17ROCPRIM_400000_NS6detail31init_lookback_scan_state_kernelINS1_19lookback_scan_stateIfLb0ELb1EEENS1_16block_id_wrapperIjLb0EEEEEvT_jT0_jPNS7_10value_typeE
; %bb.0:
	s_load_dword s7, s[4:5], 0x2c
	s_load_dwordx2 s[2:3], s[4:5], 0x18
	s_load_dwordx2 s[0:1], s[4:5], 0x0
	s_load_dword s8, s[4:5], 0x8
	s_waitcnt lgkmcnt(0)
	s_and_b32 s7, s7, 0xffff
	s_mul_i32 s6, s6, s7
	s_cmp_eq_u64 s[2:3], 0
	v_add_u32_e32 v0, s6, v0
	s_cbranch_scc1 .LBB1412_6
; %bb.1:
	s_load_dword s6, s[4:5], 0x10
	s_mov_b32 s7, 0
	s_waitcnt lgkmcnt(0)
	s_cmp_lt_u32 s6, s8
	s_cselect_b32 s4, s6, 0
	v_cmp_eq_u32_e32 vcc, s4, v0
	s_and_saveexec_b64 s[4:5], vcc
	s_cbranch_execz .LBB1412_5
; %bb.2:
	s_add_i32 s6, s6, 64
	s_lshl_b64 s[6:7], s[6:7], 3
	s_add_u32 s6, s0, s6
	s_addc_u32 s7, s1, s7
	v_mov_b32_e32 v4, 0
	global_load_dwordx2 v[2:3], v4, s[6:7] glc
	s_waitcnt vmcnt(0)
	v_and_b32_e32 v5, 0xff, v3
	v_cmp_ne_u64_e32 vcc, 0, v[4:5]
	s_cbranch_vccnz .LBB1412_4
.LBB1412_3:                             ; =>This Inner Loop Header: Depth=1
	global_load_dwordx2 v[2:3], v4, s[6:7] glc
	s_waitcnt vmcnt(0)
	v_and_b32_e32 v5, 0xff, v3
	v_cmp_eq_u64_e32 vcc, 0, v[4:5]
	s_cbranch_vccnz .LBB1412_3
.LBB1412_4:
	v_mov_b32_e32 v1, 0
	global_store_dword v1, v2, s[2:3]
.LBB1412_5:
	s_or_b64 exec, exec, s[4:5]
.LBB1412_6:
	v_cmp_gt_u32_e32 vcc, s8, v0
	s_and_saveexec_b64 s[2:3], vcc
	s_cbranch_execnz .LBB1412_9
; %bb.7:
	s_or_b64 exec, exec, s[2:3]
	v_cmp_gt_u32_e32 vcc, 64, v0
	s_and_saveexec_b64 s[2:3], vcc
	s_cbranch_execnz .LBB1412_10
.LBB1412_8:
	s_endpgm
.LBB1412_9:
	v_add_u32_e32 v2, 64, v0
	v_mov_b32_e32 v3, 0
	v_lshlrev_b64 v[4:5], 3, v[2:3]
	v_mov_b32_e32 v1, s1
	v_add_co_u32_e32 v4, vcc, s0, v4
	v_addc_co_u32_e32 v5, vcc, v1, v5, vcc
	v_mov_b32_e32 v2, v3
	global_store_dwordx2 v[4:5], v[2:3], off
	s_or_b64 exec, exec, s[2:3]
	v_cmp_gt_u32_e32 vcc, 64, v0
	s_and_saveexec_b64 s[2:3], vcc
	s_cbranch_execz .LBB1412_8
.LBB1412_10:
	v_mov_b32_e32 v1, 0
	v_lshlrev_b64 v[2:3], 3, v[0:1]
	v_mov_b32_e32 v0, s1
	v_add_co_u32_e32 v2, vcc, s0, v2
	v_addc_co_u32_e32 v3, vcc, v0, v3, vcc
	v_mov_b32_e32 v5, 0xff
	v_mov_b32_e32 v4, v1
	global_store_dwordx2 v[2:3], v[4:5], off
	s_endpgm
	.section	.rodata,"a",@progbits
	.p2align	6, 0x0
	.amdhsa_kernel _ZN7rocprim17ROCPRIM_400000_NS6detail31init_lookback_scan_state_kernelINS1_19lookback_scan_stateIfLb0ELb1EEENS1_16block_id_wrapperIjLb0EEEEEvT_jT0_jPNS7_10value_typeE
		.amdhsa_group_segment_fixed_size 0
		.amdhsa_private_segment_fixed_size 0
		.amdhsa_kernarg_size 288
		.amdhsa_user_sgpr_count 6
		.amdhsa_user_sgpr_private_segment_buffer 1
		.amdhsa_user_sgpr_dispatch_ptr 0
		.amdhsa_user_sgpr_queue_ptr 0
		.amdhsa_user_sgpr_kernarg_segment_ptr 1
		.amdhsa_user_sgpr_dispatch_id 0
		.amdhsa_user_sgpr_flat_scratch_init 0
		.amdhsa_user_sgpr_kernarg_preload_length 0
		.amdhsa_user_sgpr_kernarg_preload_offset 0
		.amdhsa_user_sgpr_private_segment_size 0
		.amdhsa_uses_dynamic_stack 0
		.amdhsa_system_sgpr_private_segment_wavefront_offset 0
		.amdhsa_system_sgpr_workgroup_id_x 1
		.amdhsa_system_sgpr_workgroup_id_y 0
		.amdhsa_system_sgpr_workgroup_id_z 0
		.amdhsa_system_sgpr_workgroup_info 0
		.amdhsa_system_vgpr_workitem_id 0
		.amdhsa_next_free_vgpr 6
		.amdhsa_next_free_sgpr 9
		.amdhsa_accum_offset 8
		.amdhsa_reserve_vcc 1
		.amdhsa_reserve_flat_scratch 0
		.amdhsa_float_round_mode_32 0
		.amdhsa_float_round_mode_16_64 0
		.amdhsa_float_denorm_mode_32 3
		.amdhsa_float_denorm_mode_16_64 3
		.amdhsa_dx10_clamp 1
		.amdhsa_ieee_mode 1
		.amdhsa_fp16_overflow 0
		.amdhsa_tg_split 0
		.amdhsa_exception_fp_ieee_invalid_op 0
		.amdhsa_exception_fp_denorm_src 0
		.amdhsa_exception_fp_ieee_div_zero 0
		.amdhsa_exception_fp_ieee_overflow 0
		.amdhsa_exception_fp_ieee_underflow 0
		.amdhsa_exception_fp_ieee_inexact 0
		.amdhsa_exception_int_div_zero 0
	.end_amdhsa_kernel
	.section	.text._ZN7rocprim17ROCPRIM_400000_NS6detail31init_lookback_scan_state_kernelINS1_19lookback_scan_stateIfLb0ELb1EEENS1_16block_id_wrapperIjLb0EEEEEvT_jT0_jPNS7_10value_typeE,"axG",@progbits,_ZN7rocprim17ROCPRIM_400000_NS6detail31init_lookback_scan_state_kernelINS1_19lookback_scan_stateIfLb0ELb1EEENS1_16block_id_wrapperIjLb0EEEEEvT_jT0_jPNS7_10value_typeE,comdat
.Lfunc_end1412:
	.size	_ZN7rocprim17ROCPRIM_400000_NS6detail31init_lookback_scan_state_kernelINS1_19lookback_scan_stateIfLb0ELb1EEENS1_16block_id_wrapperIjLb0EEEEEvT_jT0_jPNS7_10value_typeE, .Lfunc_end1412-_ZN7rocprim17ROCPRIM_400000_NS6detail31init_lookback_scan_state_kernelINS1_19lookback_scan_stateIfLb0ELb1EEENS1_16block_id_wrapperIjLb0EEEEEvT_jT0_jPNS7_10value_typeE
                                        ; -- End function
	.section	.AMDGPU.csdata,"",@progbits
; Kernel info:
; codeLenInByte = 324
; NumSgprs: 13
; NumVgprs: 6
; NumAgprs: 0
; TotalNumVgprs: 6
; ScratchSize: 0
; MemoryBound: 0
; FloatMode: 240
; IeeeMode: 1
; LDSByteSize: 0 bytes/workgroup (compile time only)
; SGPRBlocks: 1
; VGPRBlocks: 0
; NumSGPRsForWavesPerEU: 13
; NumVGPRsForWavesPerEU: 6
; AccumOffset: 8
; Occupancy: 8
; WaveLimiterHint : 0
; COMPUTE_PGM_RSRC2:SCRATCH_EN: 0
; COMPUTE_PGM_RSRC2:USER_SGPR: 6
; COMPUTE_PGM_RSRC2:TRAP_HANDLER: 0
; COMPUTE_PGM_RSRC2:TGID_X_EN: 1
; COMPUTE_PGM_RSRC2:TGID_Y_EN: 0
; COMPUTE_PGM_RSRC2:TGID_Z_EN: 0
; COMPUTE_PGM_RSRC2:TIDIG_COMP_CNT: 0
; COMPUTE_PGM_RSRC3_GFX90A:ACCUM_OFFSET: 1
; COMPUTE_PGM_RSRC3_GFX90A:TG_SPLIT: 0
	.section	.text._ZN7rocprim17ROCPRIM_400000_NS6detail17trampoline_kernelINS0_14default_configENS1_20scan_config_selectorIfEEZZNS1_9scan_implILNS1_25lookback_scan_determinismE0ELb0ELb0ES3_N6thrust23THRUST_200600_302600_NS6detail15normal_iteratorINS9_10device_ptrIfEEEENSB_INSC_IiEEEEfNS9_4plusIvEEfEEDaPvRmT3_T4_T5_mT6_P12ihipStream_tbENKUlT_T0_E_clISt17integral_constantIbLb0EESW_EEDaSR_SS_EUlSR_E_NS1_11comp_targetILNS1_3genE0ELNS1_11target_archE4294967295ELNS1_3gpuE0ELNS1_3repE0EEENS1_30default_config_static_selectorELNS0_4arch9wavefront6targetE1EEEvT1_,"axG",@progbits,_ZN7rocprim17ROCPRIM_400000_NS6detail17trampoline_kernelINS0_14default_configENS1_20scan_config_selectorIfEEZZNS1_9scan_implILNS1_25lookback_scan_determinismE0ELb0ELb0ES3_N6thrust23THRUST_200600_302600_NS6detail15normal_iteratorINS9_10device_ptrIfEEEENSB_INSC_IiEEEEfNS9_4plusIvEEfEEDaPvRmT3_T4_T5_mT6_P12ihipStream_tbENKUlT_T0_E_clISt17integral_constantIbLb0EESW_EEDaSR_SS_EUlSR_E_NS1_11comp_targetILNS1_3genE0ELNS1_11target_archE4294967295ELNS1_3gpuE0ELNS1_3repE0EEENS1_30default_config_static_selectorELNS0_4arch9wavefront6targetE1EEEvT1_,comdat
	.protected	_ZN7rocprim17ROCPRIM_400000_NS6detail17trampoline_kernelINS0_14default_configENS1_20scan_config_selectorIfEEZZNS1_9scan_implILNS1_25lookback_scan_determinismE0ELb0ELb0ES3_N6thrust23THRUST_200600_302600_NS6detail15normal_iteratorINS9_10device_ptrIfEEEENSB_INSC_IiEEEEfNS9_4plusIvEEfEEDaPvRmT3_T4_T5_mT6_P12ihipStream_tbENKUlT_T0_E_clISt17integral_constantIbLb0EESW_EEDaSR_SS_EUlSR_E_NS1_11comp_targetILNS1_3genE0ELNS1_11target_archE4294967295ELNS1_3gpuE0ELNS1_3repE0EEENS1_30default_config_static_selectorELNS0_4arch9wavefront6targetE1EEEvT1_ ; -- Begin function _ZN7rocprim17ROCPRIM_400000_NS6detail17trampoline_kernelINS0_14default_configENS1_20scan_config_selectorIfEEZZNS1_9scan_implILNS1_25lookback_scan_determinismE0ELb0ELb0ES3_N6thrust23THRUST_200600_302600_NS6detail15normal_iteratorINS9_10device_ptrIfEEEENSB_INSC_IiEEEEfNS9_4plusIvEEfEEDaPvRmT3_T4_T5_mT6_P12ihipStream_tbENKUlT_T0_E_clISt17integral_constantIbLb0EESW_EEDaSR_SS_EUlSR_E_NS1_11comp_targetILNS1_3genE0ELNS1_11target_archE4294967295ELNS1_3gpuE0ELNS1_3repE0EEENS1_30default_config_static_selectorELNS0_4arch9wavefront6targetE1EEEvT1_
	.globl	_ZN7rocprim17ROCPRIM_400000_NS6detail17trampoline_kernelINS0_14default_configENS1_20scan_config_selectorIfEEZZNS1_9scan_implILNS1_25lookback_scan_determinismE0ELb0ELb0ES3_N6thrust23THRUST_200600_302600_NS6detail15normal_iteratorINS9_10device_ptrIfEEEENSB_INSC_IiEEEEfNS9_4plusIvEEfEEDaPvRmT3_T4_T5_mT6_P12ihipStream_tbENKUlT_T0_E_clISt17integral_constantIbLb0EESW_EEDaSR_SS_EUlSR_E_NS1_11comp_targetILNS1_3genE0ELNS1_11target_archE4294967295ELNS1_3gpuE0ELNS1_3repE0EEENS1_30default_config_static_selectorELNS0_4arch9wavefront6targetE1EEEvT1_
	.p2align	8
	.type	_ZN7rocprim17ROCPRIM_400000_NS6detail17trampoline_kernelINS0_14default_configENS1_20scan_config_selectorIfEEZZNS1_9scan_implILNS1_25lookback_scan_determinismE0ELb0ELb0ES3_N6thrust23THRUST_200600_302600_NS6detail15normal_iteratorINS9_10device_ptrIfEEEENSB_INSC_IiEEEEfNS9_4plusIvEEfEEDaPvRmT3_T4_T5_mT6_P12ihipStream_tbENKUlT_T0_E_clISt17integral_constantIbLb0EESW_EEDaSR_SS_EUlSR_E_NS1_11comp_targetILNS1_3genE0ELNS1_11target_archE4294967295ELNS1_3gpuE0ELNS1_3repE0EEENS1_30default_config_static_selectorELNS0_4arch9wavefront6targetE1EEEvT1_,@function
_ZN7rocprim17ROCPRIM_400000_NS6detail17trampoline_kernelINS0_14default_configENS1_20scan_config_selectorIfEEZZNS1_9scan_implILNS1_25lookback_scan_determinismE0ELb0ELb0ES3_N6thrust23THRUST_200600_302600_NS6detail15normal_iteratorINS9_10device_ptrIfEEEENSB_INSC_IiEEEEfNS9_4plusIvEEfEEDaPvRmT3_T4_T5_mT6_P12ihipStream_tbENKUlT_T0_E_clISt17integral_constantIbLb0EESW_EEDaSR_SS_EUlSR_E_NS1_11comp_targetILNS1_3genE0ELNS1_11target_archE4294967295ELNS1_3gpuE0ELNS1_3repE0EEENS1_30default_config_static_selectorELNS0_4arch9wavefront6targetE1EEEvT1_: ; @_ZN7rocprim17ROCPRIM_400000_NS6detail17trampoline_kernelINS0_14default_configENS1_20scan_config_selectorIfEEZZNS1_9scan_implILNS1_25lookback_scan_determinismE0ELb0ELb0ES3_N6thrust23THRUST_200600_302600_NS6detail15normal_iteratorINS9_10device_ptrIfEEEENSB_INSC_IiEEEEfNS9_4plusIvEEfEEDaPvRmT3_T4_T5_mT6_P12ihipStream_tbENKUlT_T0_E_clISt17integral_constantIbLb0EESW_EEDaSR_SS_EUlSR_E_NS1_11comp_targetILNS1_3genE0ELNS1_11target_archE4294967295ELNS1_3gpuE0ELNS1_3repE0EEENS1_30default_config_static_selectorELNS0_4arch9wavefront6targetE1EEEvT1_
; %bb.0:
	.section	.rodata,"a",@progbits
	.p2align	6, 0x0
	.amdhsa_kernel _ZN7rocprim17ROCPRIM_400000_NS6detail17trampoline_kernelINS0_14default_configENS1_20scan_config_selectorIfEEZZNS1_9scan_implILNS1_25lookback_scan_determinismE0ELb0ELb0ES3_N6thrust23THRUST_200600_302600_NS6detail15normal_iteratorINS9_10device_ptrIfEEEENSB_INSC_IiEEEEfNS9_4plusIvEEfEEDaPvRmT3_T4_T5_mT6_P12ihipStream_tbENKUlT_T0_E_clISt17integral_constantIbLb0EESW_EEDaSR_SS_EUlSR_E_NS1_11comp_targetILNS1_3genE0ELNS1_11target_archE4294967295ELNS1_3gpuE0ELNS1_3repE0EEENS1_30default_config_static_selectorELNS0_4arch9wavefront6targetE1EEEvT1_
		.amdhsa_group_segment_fixed_size 0
		.amdhsa_private_segment_fixed_size 0
		.amdhsa_kernarg_size 96
		.amdhsa_user_sgpr_count 6
		.amdhsa_user_sgpr_private_segment_buffer 1
		.amdhsa_user_sgpr_dispatch_ptr 0
		.amdhsa_user_sgpr_queue_ptr 0
		.amdhsa_user_sgpr_kernarg_segment_ptr 1
		.amdhsa_user_sgpr_dispatch_id 0
		.amdhsa_user_sgpr_flat_scratch_init 0
		.amdhsa_user_sgpr_kernarg_preload_length 0
		.amdhsa_user_sgpr_kernarg_preload_offset 0
		.amdhsa_user_sgpr_private_segment_size 0
		.amdhsa_uses_dynamic_stack 0
		.amdhsa_system_sgpr_private_segment_wavefront_offset 0
		.amdhsa_system_sgpr_workgroup_id_x 1
		.amdhsa_system_sgpr_workgroup_id_y 0
		.amdhsa_system_sgpr_workgroup_id_z 0
		.amdhsa_system_sgpr_workgroup_info 0
		.amdhsa_system_vgpr_workitem_id 0
		.amdhsa_next_free_vgpr 1
		.amdhsa_next_free_sgpr 0
		.amdhsa_accum_offset 4
		.amdhsa_reserve_vcc 0
		.amdhsa_reserve_flat_scratch 0
		.amdhsa_float_round_mode_32 0
		.amdhsa_float_round_mode_16_64 0
		.amdhsa_float_denorm_mode_32 3
		.amdhsa_float_denorm_mode_16_64 3
		.amdhsa_dx10_clamp 1
		.amdhsa_ieee_mode 1
		.amdhsa_fp16_overflow 0
		.amdhsa_tg_split 0
		.amdhsa_exception_fp_ieee_invalid_op 0
		.amdhsa_exception_fp_denorm_src 0
		.amdhsa_exception_fp_ieee_div_zero 0
		.amdhsa_exception_fp_ieee_overflow 0
		.amdhsa_exception_fp_ieee_underflow 0
		.amdhsa_exception_fp_ieee_inexact 0
		.amdhsa_exception_int_div_zero 0
	.end_amdhsa_kernel
	.section	.text._ZN7rocprim17ROCPRIM_400000_NS6detail17trampoline_kernelINS0_14default_configENS1_20scan_config_selectorIfEEZZNS1_9scan_implILNS1_25lookback_scan_determinismE0ELb0ELb0ES3_N6thrust23THRUST_200600_302600_NS6detail15normal_iteratorINS9_10device_ptrIfEEEENSB_INSC_IiEEEEfNS9_4plusIvEEfEEDaPvRmT3_T4_T5_mT6_P12ihipStream_tbENKUlT_T0_E_clISt17integral_constantIbLb0EESW_EEDaSR_SS_EUlSR_E_NS1_11comp_targetILNS1_3genE0ELNS1_11target_archE4294967295ELNS1_3gpuE0ELNS1_3repE0EEENS1_30default_config_static_selectorELNS0_4arch9wavefront6targetE1EEEvT1_,"axG",@progbits,_ZN7rocprim17ROCPRIM_400000_NS6detail17trampoline_kernelINS0_14default_configENS1_20scan_config_selectorIfEEZZNS1_9scan_implILNS1_25lookback_scan_determinismE0ELb0ELb0ES3_N6thrust23THRUST_200600_302600_NS6detail15normal_iteratorINS9_10device_ptrIfEEEENSB_INSC_IiEEEEfNS9_4plusIvEEfEEDaPvRmT3_T4_T5_mT6_P12ihipStream_tbENKUlT_T0_E_clISt17integral_constantIbLb0EESW_EEDaSR_SS_EUlSR_E_NS1_11comp_targetILNS1_3genE0ELNS1_11target_archE4294967295ELNS1_3gpuE0ELNS1_3repE0EEENS1_30default_config_static_selectorELNS0_4arch9wavefront6targetE1EEEvT1_,comdat
.Lfunc_end1413:
	.size	_ZN7rocprim17ROCPRIM_400000_NS6detail17trampoline_kernelINS0_14default_configENS1_20scan_config_selectorIfEEZZNS1_9scan_implILNS1_25lookback_scan_determinismE0ELb0ELb0ES3_N6thrust23THRUST_200600_302600_NS6detail15normal_iteratorINS9_10device_ptrIfEEEENSB_INSC_IiEEEEfNS9_4plusIvEEfEEDaPvRmT3_T4_T5_mT6_P12ihipStream_tbENKUlT_T0_E_clISt17integral_constantIbLb0EESW_EEDaSR_SS_EUlSR_E_NS1_11comp_targetILNS1_3genE0ELNS1_11target_archE4294967295ELNS1_3gpuE0ELNS1_3repE0EEENS1_30default_config_static_selectorELNS0_4arch9wavefront6targetE1EEEvT1_, .Lfunc_end1413-_ZN7rocprim17ROCPRIM_400000_NS6detail17trampoline_kernelINS0_14default_configENS1_20scan_config_selectorIfEEZZNS1_9scan_implILNS1_25lookback_scan_determinismE0ELb0ELb0ES3_N6thrust23THRUST_200600_302600_NS6detail15normal_iteratorINS9_10device_ptrIfEEEENSB_INSC_IiEEEEfNS9_4plusIvEEfEEDaPvRmT3_T4_T5_mT6_P12ihipStream_tbENKUlT_T0_E_clISt17integral_constantIbLb0EESW_EEDaSR_SS_EUlSR_E_NS1_11comp_targetILNS1_3genE0ELNS1_11target_archE4294967295ELNS1_3gpuE0ELNS1_3repE0EEENS1_30default_config_static_selectorELNS0_4arch9wavefront6targetE1EEEvT1_
                                        ; -- End function
	.section	.AMDGPU.csdata,"",@progbits
; Kernel info:
; codeLenInByte = 0
; NumSgprs: 4
; NumVgprs: 0
; NumAgprs: 0
; TotalNumVgprs: 0
; ScratchSize: 0
; MemoryBound: 0
; FloatMode: 240
; IeeeMode: 1
; LDSByteSize: 0 bytes/workgroup (compile time only)
; SGPRBlocks: 0
; VGPRBlocks: 0
; NumSGPRsForWavesPerEU: 4
; NumVGPRsForWavesPerEU: 1
; AccumOffset: 4
; Occupancy: 8
; WaveLimiterHint : 0
; COMPUTE_PGM_RSRC2:SCRATCH_EN: 0
; COMPUTE_PGM_RSRC2:USER_SGPR: 6
; COMPUTE_PGM_RSRC2:TRAP_HANDLER: 0
; COMPUTE_PGM_RSRC2:TGID_X_EN: 1
; COMPUTE_PGM_RSRC2:TGID_Y_EN: 0
; COMPUTE_PGM_RSRC2:TGID_Z_EN: 0
; COMPUTE_PGM_RSRC2:TIDIG_COMP_CNT: 0
; COMPUTE_PGM_RSRC3_GFX90A:ACCUM_OFFSET: 0
; COMPUTE_PGM_RSRC3_GFX90A:TG_SPLIT: 0
	.section	.text._ZN7rocprim17ROCPRIM_400000_NS6detail17trampoline_kernelINS0_14default_configENS1_20scan_config_selectorIfEEZZNS1_9scan_implILNS1_25lookback_scan_determinismE0ELb0ELb0ES3_N6thrust23THRUST_200600_302600_NS6detail15normal_iteratorINS9_10device_ptrIfEEEENSB_INSC_IiEEEEfNS9_4plusIvEEfEEDaPvRmT3_T4_T5_mT6_P12ihipStream_tbENKUlT_T0_E_clISt17integral_constantIbLb0EESW_EEDaSR_SS_EUlSR_E_NS1_11comp_targetILNS1_3genE5ELNS1_11target_archE942ELNS1_3gpuE9ELNS1_3repE0EEENS1_30default_config_static_selectorELNS0_4arch9wavefront6targetE1EEEvT1_,"axG",@progbits,_ZN7rocprim17ROCPRIM_400000_NS6detail17trampoline_kernelINS0_14default_configENS1_20scan_config_selectorIfEEZZNS1_9scan_implILNS1_25lookback_scan_determinismE0ELb0ELb0ES3_N6thrust23THRUST_200600_302600_NS6detail15normal_iteratorINS9_10device_ptrIfEEEENSB_INSC_IiEEEEfNS9_4plusIvEEfEEDaPvRmT3_T4_T5_mT6_P12ihipStream_tbENKUlT_T0_E_clISt17integral_constantIbLb0EESW_EEDaSR_SS_EUlSR_E_NS1_11comp_targetILNS1_3genE5ELNS1_11target_archE942ELNS1_3gpuE9ELNS1_3repE0EEENS1_30default_config_static_selectorELNS0_4arch9wavefront6targetE1EEEvT1_,comdat
	.protected	_ZN7rocprim17ROCPRIM_400000_NS6detail17trampoline_kernelINS0_14default_configENS1_20scan_config_selectorIfEEZZNS1_9scan_implILNS1_25lookback_scan_determinismE0ELb0ELb0ES3_N6thrust23THRUST_200600_302600_NS6detail15normal_iteratorINS9_10device_ptrIfEEEENSB_INSC_IiEEEEfNS9_4plusIvEEfEEDaPvRmT3_T4_T5_mT6_P12ihipStream_tbENKUlT_T0_E_clISt17integral_constantIbLb0EESW_EEDaSR_SS_EUlSR_E_NS1_11comp_targetILNS1_3genE5ELNS1_11target_archE942ELNS1_3gpuE9ELNS1_3repE0EEENS1_30default_config_static_selectorELNS0_4arch9wavefront6targetE1EEEvT1_ ; -- Begin function _ZN7rocprim17ROCPRIM_400000_NS6detail17trampoline_kernelINS0_14default_configENS1_20scan_config_selectorIfEEZZNS1_9scan_implILNS1_25lookback_scan_determinismE0ELb0ELb0ES3_N6thrust23THRUST_200600_302600_NS6detail15normal_iteratorINS9_10device_ptrIfEEEENSB_INSC_IiEEEEfNS9_4plusIvEEfEEDaPvRmT3_T4_T5_mT6_P12ihipStream_tbENKUlT_T0_E_clISt17integral_constantIbLb0EESW_EEDaSR_SS_EUlSR_E_NS1_11comp_targetILNS1_3genE5ELNS1_11target_archE942ELNS1_3gpuE9ELNS1_3repE0EEENS1_30default_config_static_selectorELNS0_4arch9wavefront6targetE1EEEvT1_
	.globl	_ZN7rocprim17ROCPRIM_400000_NS6detail17trampoline_kernelINS0_14default_configENS1_20scan_config_selectorIfEEZZNS1_9scan_implILNS1_25lookback_scan_determinismE0ELb0ELb0ES3_N6thrust23THRUST_200600_302600_NS6detail15normal_iteratorINS9_10device_ptrIfEEEENSB_INSC_IiEEEEfNS9_4plusIvEEfEEDaPvRmT3_T4_T5_mT6_P12ihipStream_tbENKUlT_T0_E_clISt17integral_constantIbLb0EESW_EEDaSR_SS_EUlSR_E_NS1_11comp_targetILNS1_3genE5ELNS1_11target_archE942ELNS1_3gpuE9ELNS1_3repE0EEENS1_30default_config_static_selectorELNS0_4arch9wavefront6targetE1EEEvT1_
	.p2align	8
	.type	_ZN7rocprim17ROCPRIM_400000_NS6detail17trampoline_kernelINS0_14default_configENS1_20scan_config_selectorIfEEZZNS1_9scan_implILNS1_25lookback_scan_determinismE0ELb0ELb0ES3_N6thrust23THRUST_200600_302600_NS6detail15normal_iteratorINS9_10device_ptrIfEEEENSB_INSC_IiEEEEfNS9_4plusIvEEfEEDaPvRmT3_T4_T5_mT6_P12ihipStream_tbENKUlT_T0_E_clISt17integral_constantIbLb0EESW_EEDaSR_SS_EUlSR_E_NS1_11comp_targetILNS1_3genE5ELNS1_11target_archE942ELNS1_3gpuE9ELNS1_3repE0EEENS1_30default_config_static_selectorELNS0_4arch9wavefront6targetE1EEEvT1_,@function
_ZN7rocprim17ROCPRIM_400000_NS6detail17trampoline_kernelINS0_14default_configENS1_20scan_config_selectorIfEEZZNS1_9scan_implILNS1_25lookback_scan_determinismE0ELb0ELb0ES3_N6thrust23THRUST_200600_302600_NS6detail15normal_iteratorINS9_10device_ptrIfEEEENSB_INSC_IiEEEEfNS9_4plusIvEEfEEDaPvRmT3_T4_T5_mT6_P12ihipStream_tbENKUlT_T0_E_clISt17integral_constantIbLb0EESW_EEDaSR_SS_EUlSR_E_NS1_11comp_targetILNS1_3genE5ELNS1_11target_archE942ELNS1_3gpuE9ELNS1_3repE0EEENS1_30default_config_static_selectorELNS0_4arch9wavefront6targetE1EEEvT1_: ; @_ZN7rocprim17ROCPRIM_400000_NS6detail17trampoline_kernelINS0_14default_configENS1_20scan_config_selectorIfEEZZNS1_9scan_implILNS1_25lookback_scan_determinismE0ELb0ELb0ES3_N6thrust23THRUST_200600_302600_NS6detail15normal_iteratorINS9_10device_ptrIfEEEENSB_INSC_IiEEEEfNS9_4plusIvEEfEEDaPvRmT3_T4_T5_mT6_P12ihipStream_tbENKUlT_T0_E_clISt17integral_constantIbLb0EESW_EEDaSR_SS_EUlSR_E_NS1_11comp_targetILNS1_3genE5ELNS1_11target_archE942ELNS1_3gpuE9ELNS1_3repE0EEENS1_30default_config_static_selectorELNS0_4arch9wavefront6targetE1EEEvT1_
; %bb.0:
	.section	.rodata,"a",@progbits
	.p2align	6, 0x0
	.amdhsa_kernel _ZN7rocprim17ROCPRIM_400000_NS6detail17trampoline_kernelINS0_14default_configENS1_20scan_config_selectorIfEEZZNS1_9scan_implILNS1_25lookback_scan_determinismE0ELb0ELb0ES3_N6thrust23THRUST_200600_302600_NS6detail15normal_iteratorINS9_10device_ptrIfEEEENSB_INSC_IiEEEEfNS9_4plusIvEEfEEDaPvRmT3_T4_T5_mT6_P12ihipStream_tbENKUlT_T0_E_clISt17integral_constantIbLb0EESW_EEDaSR_SS_EUlSR_E_NS1_11comp_targetILNS1_3genE5ELNS1_11target_archE942ELNS1_3gpuE9ELNS1_3repE0EEENS1_30default_config_static_selectorELNS0_4arch9wavefront6targetE1EEEvT1_
		.amdhsa_group_segment_fixed_size 0
		.amdhsa_private_segment_fixed_size 0
		.amdhsa_kernarg_size 96
		.amdhsa_user_sgpr_count 6
		.amdhsa_user_sgpr_private_segment_buffer 1
		.amdhsa_user_sgpr_dispatch_ptr 0
		.amdhsa_user_sgpr_queue_ptr 0
		.amdhsa_user_sgpr_kernarg_segment_ptr 1
		.amdhsa_user_sgpr_dispatch_id 0
		.amdhsa_user_sgpr_flat_scratch_init 0
		.amdhsa_user_sgpr_kernarg_preload_length 0
		.amdhsa_user_sgpr_kernarg_preload_offset 0
		.amdhsa_user_sgpr_private_segment_size 0
		.amdhsa_uses_dynamic_stack 0
		.amdhsa_system_sgpr_private_segment_wavefront_offset 0
		.amdhsa_system_sgpr_workgroup_id_x 1
		.amdhsa_system_sgpr_workgroup_id_y 0
		.amdhsa_system_sgpr_workgroup_id_z 0
		.amdhsa_system_sgpr_workgroup_info 0
		.amdhsa_system_vgpr_workitem_id 0
		.amdhsa_next_free_vgpr 1
		.amdhsa_next_free_sgpr 0
		.amdhsa_accum_offset 4
		.amdhsa_reserve_vcc 0
		.amdhsa_reserve_flat_scratch 0
		.amdhsa_float_round_mode_32 0
		.amdhsa_float_round_mode_16_64 0
		.amdhsa_float_denorm_mode_32 3
		.amdhsa_float_denorm_mode_16_64 3
		.amdhsa_dx10_clamp 1
		.amdhsa_ieee_mode 1
		.amdhsa_fp16_overflow 0
		.amdhsa_tg_split 0
		.amdhsa_exception_fp_ieee_invalid_op 0
		.amdhsa_exception_fp_denorm_src 0
		.amdhsa_exception_fp_ieee_div_zero 0
		.amdhsa_exception_fp_ieee_overflow 0
		.amdhsa_exception_fp_ieee_underflow 0
		.amdhsa_exception_fp_ieee_inexact 0
		.amdhsa_exception_int_div_zero 0
	.end_amdhsa_kernel
	.section	.text._ZN7rocprim17ROCPRIM_400000_NS6detail17trampoline_kernelINS0_14default_configENS1_20scan_config_selectorIfEEZZNS1_9scan_implILNS1_25lookback_scan_determinismE0ELb0ELb0ES3_N6thrust23THRUST_200600_302600_NS6detail15normal_iteratorINS9_10device_ptrIfEEEENSB_INSC_IiEEEEfNS9_4plusIvEEfEEDaPvRmT3_T4_T5_mT6_P12ihipStream_tbENKUlT_T0_E_clISt17integral_constantIbLb0EESW_EEDaSR_SS_EUlSR_E_NS1_11comp_targetILNS1_3genE5ELNS1_11target_archE942ELNS1_3gpuE9ELNS1_3repE0EEENS1_30default_config_static_selectorELNS0_4arch9wavefront6targetE1EEEvT1_,"axG",@progbits,_ZN7rocprim17ROCPRIM_400000_NS6detail17trampoline_kernelINS0_14default_configENS1_20scan_config_selectorIfEEZZNS1_9scan_implILNS1_25lookback_scan_determinismE0ELb0ELb0ES3_N6thrust23THRUST_200600_302600_NS6detail15normal_iteratorINS9_10device_ptrIfEEEENSB_INSC_IiEEEEfNS9_4plusIvEEfEEDaPvRmT3_T4_T5_mT6_P12ihipStream_tbENKUlT_T0_E_clISt17integral_constantIbLb0EESW_EEDaSR_SS_EUlSR_E_NS1_11comp_targetILNS1_3genE5ELNS1_11target_archE942ELNS1_3gpuE9ELNS1_3repE0EEENS1_30default_config_static_selectorELNS0_4arch9wavefront6targetE1EEEvT1_,comdat
.Lfunc_end1414:
	.size	_ZN7rocprim17ROCPRIM_400000_NS6detail17trampoline_kernelINS0_14default_configENS1_20scan_config_selectorIfEEZZNS1_9scan_implILNS1_25lookback_scan_determinismE0ELb0ELb0ES3_N6thrust23THRUST_200600_302600_NS6detail15normal_iteratorINS9_10device_ptrIfEEEENSB_INSC_IiEEEEfNS9_4plusIvEEfEEDaPvRmT3_T4_T5_mT6_P12ihipStream_tbENKUlT_T0_E_clISt17integral_constantIbLb0EESW_EEDaSR_SS_EUlSR_E_NS1_11comp_targetILNS1_3genE5ELNS1_11target_archE942ELNS1_3gpuE9ELNS1_3repE0EEENS1_30default_config_static_selectorELNS0_4arch9wavefront6targetE1EEEvT1_, .Lfunc_end1414-_ZN7rocprim17ROCPRIM_400000_NS6detail17trampoline_kernelINS0_14default_configENS1_20scan_config_selectorIfEEZZNS1_9scan_implILNS1_25lookback_scan_determinismE0ELb0ELb0ES3_N6thrust23THRUST_200600_302600_NS6detail15normal_iteratorINS9_10device_ptrIfEEEENSB_INSC_IiEEEEfNS9_4plusIvEEfEEDaPvRmT3_T4_T5_mT6_P12ihipStream_tbENKUlT_T0_E_clISt17integral_constantIbLb0EESW_EEDaSR_SS_EUlSR_E_NS1_11comp_targetILNS1_3genE5ELNS1_11target_archE942ELNS1_3gpuE9ELNS1_3repE0EEENS1_30default_config_static_selectorELNS0_4arch9wavefront6targetE1EEEvT1_
                                        ; -- End function
	.section	.AMDGPU.csdata,"",@progbits
; Kernel info:
; codeLenInByte = 0
; NumSgprs: 4
; NumVgprs: 0
; NumAgprs: 0
; TotalNumVgprs: 0
; ScratchSize: 0
; MemoryBound: 0
; FloatMode: 240
; IeeeMode: 1
; LDSByteSize: 0 bytes/workgroup (compile time only)
; SGPRBlocks: 0
; VGPRBlocks: 0
; NumSGPRsForWavesPerEU: 4
; NumVGPRsForWavesPerEU: 1
; AccumOffset: 4
; Occupancy: 8
; WaveLimiterHint : 0
; COMPUTE_PGM_RSRC2:SCRATCH_EN: 0
; COMPUTE_PGM_RSRC2:USER_SGPR: 6
; COMPUTE_PGM_RSRC2:TRAP_HANDLER: 0
; COMPUTE_PGM_RSRC2:TGID_X_EN: 1
; COMPUTE_PGM_RSRC2:TGID_Y_EN: 0
; COMPUTE_PGM_RSRC2:TGID_Z_EN: 0
; COMPUTE_PGM_RSRC2:TIDIG_COMP_CNT: 0
; COMPUTE_PGM_RSRC3_GFX90A:ACCUM_OFFSET: 0
; COMPUTE_PGM_RSRC3_GFX90A:TG_SPLIT: 0
	.section	.text._ZN7rocprim17ROCPRIM_400000_NS6detail17trampoline_kernelINS0_14default_configENS1_20scan_config_selectorIfEEZZNS1_9scan_implILNS1_25lookback_scan_determinismE0ELb0ELb0ES3_N6thrust23THRUST_200600_302600_NS6detail15normal_iteratorINS9_10device_ptrIfEEEENSB_INSC_IiEEEEfNS9_4plusIvEEfEEDaPvRmT3_T4_T5_mT6_P12ihipStream_tbENKUlT_T0_E_clISt17integral_constantIbLb0EESW_EEDaSR_SS_EUlSR_E_NS1_11comp_targetILNS1_3genE4ELNS1_11target_archE910ELNS1_3gpuE8ELNS1_3repE0EEENS1_30default_config_static_selectorELNS0_4arch9wavefront6targetE1EEEvT1_,"axG",@progbits,_ZN7rocprim17ROCPRIM_400000_NS6detail17trampoline_kernelINS0_14default_configENS1_20scan_config_selectorIfEEZZNS1_9scan_implILNS1_25lookback_scan_determinismE0ELb0ELb0ES3_N6thrust23THRUST_200600_302600_NS6detail15normal_iteratorINS9_10device_ptrIfEEEENSB_INSC_IiEEEEfNS9_4plusIvEEfEEDaPvRmT3_T4_T5_mT6_P12ihipStream_tbENKUlT_T0_E_clISt17integral_constantIbLb0EESW_EEDaSR_SS_EUlSR_E_NS1_11comp_targetILNS1_3genE4ELNS1_11target_archE910ELNS1_3gpuE8ELNS1_3repE0EEENS1_30default_config_static_selectorELNS0_4arch9wavefront6targetE1EEEvT1_,comdat
	.protected	_ZN7rocprim17ROCPRIM_400000_NS6detail17trampoline_kernelINS0_14default_configENS1_20scan_config_selectorIfEEZZNS1_9scan_implILNS1_25lookback_scan_determinismE0ELb0ELb0ES3_N6thrust23THRUST_200600_302600_NS6detail15normal_iteratorINS9_10device_ptrIfEEEENSB_INSC_IiEEEEfNS9_4plusIvEEfEEDaPvRmT3_T4_T5_mT6_P12ihipStream_tbENKUlT_T0_E_clISt17integral_constantIbLb0EESW_EEDaSR_SS_EUlSR_E_NS1_11comp_targetILNS1_3genE4ELNS1_11target_archE910ELNS1_3gpuE8ELNS1_3repE0EEENS1_30default_config_static_selectorELNS0_4arch9wavefront6targetE1EEEvT1_ ; -- Begin function _ZN7rocprim17ROCPRIM_400000_NS6detail17trampoline_kernelINS0_14default_configENS1_20scan_config_selectorIfEEZZNS1_9scan_implILNS1_25lookback_scan_determinismE0ELb0ELb0ES3_N6thrust23THRUST_200600_302600_NS6detail15normal_iteratorINS9_10device_ptrIfEEEENSB_INSC_IiEEEEfNS9_4plusIvEEfEEDaPvRmT3_T4_T5_mT6_P12ihipStream_tbENKUlT_T0_E_clISt17integral_constantIbLb0EESW_EEDaSR_SS_EUlSR_E_NS1_11comp_targetILNS1_3genE4ELNS1_11target_archE910ELNS1_3gpuE8ELNS1_3repE0EEENS1_30default_config_static_selectorELNS0_4arch9wavefront6targetE1EEEvT1_
	.globl	_ZN7rocprim17ROCPRIM_400000_NS6detail17trampoline_kernelINS0_14default_configENS1_20scan_config_selectorIfEEZZNS1_9scan_implILNS1_25lookback_scan_determinismE0ELb0ELb0ES3_N6thrust23THRUST_200600_302600_NS6detail15normal_iteratorINS9_10device_ptrIfEEEENSB_INSC_IiEEEEfNS9_4plusIvEEfEEDaPvRmT3_T4_T5_mT6_P12ihipStream_tbENKUlT_T0_E_clISt17integral_constantIbLb0EESW_EEDaSR_SS_EUlSR_E_NS1_11comp_targetILNS1_3genE4ELNS1_11target_archE910ELNS1_3gpuE8ELNS1_3repE0EEENS1_30default_config_static_selectorELNS0_4arch9wavefront6targetE1EEEvT1_
	.p2align	8
	.type	_ZN7rocprim17ROCPRIM_400000_NS6detail17trampoline_kernelINS0_14default_configENS1_20scan_config_selectorIfEEZZNS1_9scan_implILNS1_25lookback_scan_determinismE0ELb0ELb0ES3_N6thrust23THRUST_200600_302600_NS6detail15normal_iteratorINS9_10device_ptrIfEEEENSB_INSC_IiEEEEfNS9_4plusIvEEfEEDaPvRmT3_T4_T5_mT6_P12ihipStream_tbENKUlT_T0_E_clISt17integral_constantIbLb0EESW_EEDaSR_SS_EUlSR_E_NS1_11comp_targetILNS1_3genE4ELNS1_11target_archE910ELNS1_3gpuE8ELNS1_3repE0EEENS1_30default_config_static_selectorELNS0_4arch9wavefront6targetE1EEEvT1_,@function
_ZN7rocprim17ROCPRIM_400000_NS6detail17trampoline_kernelINS0_14default_configENS1_20scan_config_selectorIfEEZZNS1_9scan_implILNS1_25lookback_scan_determinismE0ELb0ELb0ES3_N6thrust23THRUST_200600_302600_NS6detail15normal_iteratorINS9_10device_ptrIfEEEENSB_INSC_IiEEEEfNS9_4plusIvEEfEEDaPvRmT3_T4_T5_mT6_P12ihipStream_tbENKUlT_T0_E_clISt17integral_constantIbLb0EESW_EEDaSR_SS_EUlSR_E_NS1_11comp_targetILNS1_3genE4ELNS1_11target_archE910ELNS1_3gpuE8ELNS1_3repE0EEENS1_30default_config_static_selectorELNS0_4arch9wavefront6targetE1EEEvT1_: ; @_ZN7rocprim17ROCPRIM_400000_NS6detail17trampoline_kernelINS0_14default_configENS1_20scan_config_selectorIfEEZZNS1_9scan_implILNS1_25lookback_scan_determinismE0ELb0ELb0ES3_N6thrust23THRUST_200600_302600_NS6detail15normal_iteratorINS9_10device_ptrIfEEEENSB_INSC_IiEEEEfNS9_4plusIvEEfEEDaPvRmT3_T4_T5_mT6_P12ihipStream_tbENKUlT_T0_E_clISt17integral_constantIbLb0EESW_EEDaSR_SS_EUlSR_E_NS1_11comp_targetILNS1_3genE4ELNS1_11target_archE910ELNS1_3gpuE8ELNS1_3repE0EEENS1_30default_config_static_selectorELNS0_4arch9wavefront6targetE1EEEvT1_
; %bb.0:
	s_load_dwordx8 s[12:19], s[4:5], 0x0
	s_load_dword s1, s[4:5], 0x30
	s_mul_i32 s0, s6, 0x700
	v_lshlrev_b32_e32 v32, 2, v0
	s_waitcnt lgkmcnt(0)
	s_lshl_b64 s[20:21], s[14:15], 2
	s_add_u32 s2, s12, s20
	s_addc_u32 s3, s13, s21
	s_add_i32 s7, s1, -1
	s_mul_i32 s8, s7, 0x700
	s_sub_u32 s28, s18, s8
	s_subb_u32 s29, s19, 0
	s_mov_b32 s1, 0
	s_cmp_lg_u32 s6, s7
	s_cselect_b64 s[18:19], -1, 0
	s_lshl_b64 s[22:23], s[0:1], 2
	s_add_u32 s2, s2, s22
	s_addc_u32 s3, s3, s23
	s_mov_b64 s[0:1], -1
	s_and_b64 vcc, exec, s[18:19]
	s_cbranch_vccz .LBB1415_2
; %bb.1:
	v_mov_b32_e32 v1, s3
	v_add_co_u32_e32 v2, vcc, s2, v32
	v_addc_co_u32_e32 v3, vcc, 0, v1, vcc
	flat_load_dword v1, v[2:3]
	flat_load_dword v4, v[2:3] offset:512
	flat_load_dword v5, v[2:3] offset:1024
	;; [unrolled: 1-line block ×7, first 2 shown]
	v_add_co_u32_e32 v2, vcc, 0x1000, v2
	v_addc_co_u32_e32 v3, vcc, 0, v3, vcc
	flat_load_dword v11, v[2:3]
	flat_load_dword v12, v[2:3] offset:512
	flat_load_dword v13, v[2:3] offset:1024
	;; [unrolled: 1-line block ×5, first 2 shown]
	s_mov_b64 s[0:1], 0
	s_waitcnt vmcnt(0) lgkmcnt(0)
	ds_write2st64_b32 v32, v1, v4 offset1:2
	ds_write2st64_b32 v32, v5, v6 offset0:4 offset1:6
	ds_write2st64_b32 v32, v7, v8 offset0:8 offset1:10
	;; [unrolled: 1-line block ×6, first 2 shown]
	s_waitcnt lgkmcnt(0)
	s_barrier
.LBB1415_2:
	s_load_dwordx2 s[24:25], s[4:5], 0x28
	s_andn2_b64 vcc, exec, s[0:1]
	v_cmp_gt_u32_e64 s[0:1], s28, v0
	s_cbranch_vccnz .LBB1415_32
; %bb.3:
	v_pk_mov_b32 v[2:3], s[2:3], s[2:3] op_sel:[0,1]
	flat_load_dword v1, v[2:3]
	s_waitcnt vmcnt(0) lgkmcnt(0)
	v_mov_b32_e32 v2, v1
	v_mov_b32_e32 v3, v1
	v_mov_b32_e32 v4, v1
	v_mov_b32_e32 v5, v1
	v_mov_b32_e32 v6, v1
	v_mov_b32_e32 v7, v1
	v_mov_b32_e32 v8, v1
	v_mov_b32_e32 v9, v1
	v_mov_b32_e32 v10, v1
	v_mov_b32_e32 v11, v1
	v_mov_b32_e32 v12, v1
	v_mov_b32_e32 v13, v1
	v_pk_mov_b32 v[16:17], v[14:15], v[14:15] op_sel:[0,1]
	v_pk_mov_b32 v[14:15], v[12:13], v[12:13] op_sel:[0,1]
	;; [unrolled: 1-line block ×8, first 2 shown]
	s_and_saveexec_b64 s[8:9], s[0:1]
	s_cbranch_execz .LBB1415_5
; %bb.4:
	v_mov_b32_e32 v3, s3
	v_add_co_u32_e32 v2, vcc, s2, v32
	v_addc_co_u32_e32 v3, vcc, 0, v3, vcc
	flat_load_dword v18, v[2:3]
	v_mov_b32_e32 v2, v1
	v_mov_b32_e32 v3, v1
	;; [unrolled: 1-line block ×12, first 2 shown]
	v_pk_mov_b32 v[16:17], v[14:15], v[14:15] op_sel:[0,1]
	v_pk_mov_b32 v[14:15], v[12:13], v[12:13] op_sel:[0,1]
	v_pk_mov_b32 v[12:13], v[10:11], v[10:11] op_sel:[0,1]
	v_pk_mov_b32 v[10:11], v[8:9], v[8:9] op_sel:[0,1]
	v_pk_mov_b32 v[8:9], v[6:7], v[6:7] op_sel:[0,1]
	v_pk_mov_b32 v[6:7], v[4:5], v[4:5] op_sel:[0,1]
	v_pk_mov_b32 v[4:5], v[2:3], v[2:3] op_sel:[0,1]
	v_pk_mov_b32 v[2:3], v[0:1], v[0:1] op_sel:[0,1]
	s_waitcnt vmcnt(0) lgkmcnt(0)
	v_mov_b32_e32 v1, v18
.LBB1415_5:
	s_or_b64 exec, exec, s[8:9]
	v_or_b32_e32 v2, 0x80, v0
	v_cmp_gt_u32_e32 vcc, s28, v2
	s_and_saveexec_b64 s[0:1], vcc
	s_cbranch_execz .LBB1415_7
; %bb.6:
	v_mov_b32_e32 v3, s3
	v_add_co_u32_e32 v2, vcc, s2, v32
	v_addc_co_u32_e32 v3, vcc, 0, v3, vcc
	flat_load_dword v3, v[2:3] offset:512
.LBB1415_7:
	s_or_b64 exec, exec, s[0:1]
	v_or_b32_e32 v2, 0x100, v0
	v_cmp_gt_u32_e32 vcc, s28, v2
	s_and_saveexec_b64 s[0:1], vcc
	s_cbranch_execz .LBB1415_9
; %bb.8:
	v_mov_b32_e32 v2, s3
	v_add_co_u32_e32 v16, vcc, s2, v32
	v_addc_co_u32_e32 v17, vcc, 0, v2, vcc
	flat_load_dword v4, v[16:17] offset:1024
.LBB1415_9:
	;; [unrolled: 11-line block ×7, first 2 shown]
	s_or_b64 exec, exec, s[0:1]
	v_or_b32_e32 v2, 0x400, v0
	v_cmp_gt_u32_e32 vcc, s28, v2
	s_and_saveexec_b64 s[0:1], vcc
	s_cbranch_execz .LBB1415_21
; %bb.20:
	v_lshlrev_b32_e32 v2, 2, v2
	v_mov_b32_e32 v10, s3
	v_add_co_u32_e32 v16, vcc, s2, v2
	v_addc_co_u32_e32 v17, vcc, 0, v10, vcc
	flat_load_dword v10, v[16:17]
.LBB1415_21:
	s_or_b64 exec, exec, s[0:1]
	v_or_b32_e32 v2, 0x480, v0
	v_cmp_gt_u32_e32 vcc, s28, v2
	s_and_saveexec_b64 s[0:1], vcc
	s_cbranch_execz .LBB1415_23
; %bb.22:
	v_lshlrev_b32_e32 v2, 2, v2
	v_mov_b32_e32 v11, s3
	v_add_co_u32_e32 v16, vcc, s2, v2
	v_addc_co_u32_e32 v17, vcc, 0, v11, vcc
	flat_load_dword v11, v[16:17]
.LBB1415_23:
	;; [unrolled: 12-line block ×6, first 2 shown]
	s_or_b64 exec, exec, s[0:1]
	s_waitcnt vmcnt(0) lgkmcnt(0)
	ds_write2st64_b32 v32, v1, v3 offset1:2
	ds_write2st64_b32 v32, v4, v5 offset0:4 offset1:6
	ds_write2st64_b32 v32, v6, v7 offset0:8 offset1:10
	;; [unrolled: 1-line block ×6, first 2 shown]
	s_waitcnt lgkmcnt(0)
	s_barrier
.LBB1415_32:
	v_mul_u32_u24_e32 v33, 14, v0
	v_lshlrev_b32_e32 v34, 2, v33
	s_waitcnt lgkmcnt(0)
	ds_read2_b64 v[2:5], v34 offset1:1
	ds_read2_b64 v[26:29], v34 offset0:2 offset1:3
	ds_read2_b64 v[22:25], v34 offset0:4 offset1:5
	ds_read_b64 v[30:31], v34 offset:48
	s_cmp_lg_u32 s6, 0
	v_lshrrev_b32_e32 v1, 5, v0
	v_cmp_gt_u32_e32 vcc, 64, v0
	s_waitcnt lgkmcnt(0)
	s_barrier
	s_cbranch_scc0 .LBB1415_57
; %bb.33:
	v_add_f32_e32 v6, v2, v3
	v_add_f32_e32 v6, v4, v6
	;; [unrolled: 1-line block ×13, first 2 shown]
	v_add_lshl_u32 v6, v1, v0, 2
	ds_write_b32 v6, v16
	s_waitcnt lgkmcnt(0)
	s_barrier
	s_and_saveexec_b64 s[10:11], vcc
	s_cbranch_execz .LBB1415_35
; %bb.34:
	v_lshlrev_b32_e32 v6, 1, v0
	v_lshrrev_b32_e32 v7, 4, v0
	v_add_lshl_u32 v8, v7, v6, 2
	ds_read2_b32 v[6:7], v8 offset1:1
	v_mbcnt_lo_u32_b32 v9, -1, 0
	v_mbcnt_hi_u32_b32 v9, -1, v9
	v_and_b32_e32 v10, 15, v9
	v_cmp_eq_u32_e64 s[0:1], 0, v10
	s_waitcnt lgkmcnt(0)
	v_add_f32_e32 v7, v6, v7
	v_cmp_lt_u32_e64 s[2:3], 3, v10
	v_cmp_lt_u32_e64 s[8:9], 31, v9
	v_mov_b32_dpp v11, v7 row_shr:1 row_mask:0xf bank_mask:0xf
	v_add_f32_e32 v11, v7, v11
	v_cndmask_b32_e64 v7, v11, v7, s[0:1]
	v_cmp_lt_u32_e64 s[0:1], 1, v10
	s_nop 0
	v_mov_b32_dpp v11, v7 row_shr:2 row_mask:0xf bank_mask:0xf
	v_add_f32_e32 v11, v7, v11
	v_cndmask_b32_e64 v11, v7, v11, s[0:1]
	; wave barrier
	s_nop 1
	v_mov_b32_dpp v12, v11 row_shr:4 row_mask:0xf bank_mask:0xf
	v_add_f32_e32 v12, v11, v12
	v_cndmask_b32_e64 v11, v11, v12, s[2:3]
	v_cmp_lt_u32_e64 s[2:3], 7, v10
	s_nop 0
	v_mov_b32_dpp v12, v11 row_shr:8 row_mask:0xf bank_mask:0xf
	v_add_f32_e32 v12, v11, v12
	v_cndmask_b32_e64 v10, v11, v12, s[2:3]
	v_and_b32_e32 v12, 16, v9
	v_cmp_eq_u32_e64 s[2:3], 0, v12
	v_mov_b32_dpp v11, v10 row_bcast:15 row_mask:0xf bank_mask:0xf
	v_add_f32_e32 v11, v10, v11
	v_cndmask_b32_e64 v10, v11, v10, s[2:3]
	v_cmp_lt_u32_e64 s[2:3], 15, v9
	s_or_b64 s[0:1], s[2:3], s[0:1]
	v_mov_b32_dpp v11, v10 row_bcast:31 row_mask:0xf bank_mask:0xf
	v_add_f32_e32 v11, v10, v11
	v_cndmask_b32_e64 v10, v10, v11, s[8:9]
	v_cndmask_b32_e64 v7, v7, v10, s[0:1]
	v_add_u32_e32 v10, -1, v9
	v_and_b32_e32 v11, 64, v9
	v_cmp_lt_i32_e64 s[0:1], v10, v11
	v_cndmask_b32_e64 v9, v10, v9, s[0:1]
	v_lshlrev_b32_e32 v9, 2, v9
	ds_bpermute_b32 v7, v9, v7
	v_cmp_eq_u32_e64 s[0:1], 0, v0
	s_waitcnt lgkmcnt(0)
	v_add_f32_e32 v6, v6, v7
	v_cndmask_b32_e64 v6, v6, v16, s[0:1]
	ds_write_b32 v8, v6
	; wave barrier
	ds_read_b32 v7, v8 offset:4
	s_waitcnt lgkmcnt(0)
	v_add_f32_e32 v6, v6, v7
	ds_write_b32 v8, v6 offset:4
.LBB1415_35:
	s_or_b64 exec, exec, s[10:11]
	v_cmp_eq_u32_e64 s[0:1], 0, v0
	v_cmp_ne_u32_e64 s[2:3], 0, v0
	s_waitcnt lgkmcnt(0)
	s_barrier
	s_and_saveexec_b64 s[8:9], s[2:3]
	s_cbranch_execz .LBB1415_37
; %bb.36:
	v_add_u32_e32 v6, -1, v0
	v_lshrrev_b32_e32 v7, 5, v6
	v_add_lshl_u32 v6, v7, v6, 2
	ds_read_b32 v16, v6
.LBB1415_37:
	s_or_b64 exec, exec, s[8:9]
	s_and_saveexec_b64 s[26:27], vcc
	s_cbranch_execz .LBB1415_56
; %bb.38:
	v_mov_b32_e32 v13, 0
	ds_read_b32 v6, v13 offset:520
	v_mbcnt_lo_u32_b32 v7, -1, 0
	v_mbcnt_hi_u32_b32 v9, -1, v7
	s_mov_b32 s11, 0
	v_cmp_eq_u32_e64 s[2:3], 0, v9
	s_and_saveexec_b64 s[8:9], s[2:3]
	s_cbranch_execz .LBB1415_40
; %bb.39:
	s_add_i32 s10, s6, 64
	s_lshl_b64 s[10:11], s[10:11], 3
	s_add_u32 s10, s24, s10
	v_mov_b32_e32 v7, 1
	s_addc_u32 s11, s25, s11
	s_waitcnt lgkmcnt(0)
	global_store_dwordx2 v13, v[6:7], s[10:11]
.LBB1415_40:
	s_or_b64 exec, exec, s[8:9]
	v_xad_u32 v8, v9, -1, s6
	v_add_u32_e32 v12, 64, v8
	v_lshlrev_b64 v[10:11], 3, v[12:13]
	v_mov_b32_e32 v7, s25
	v_add_co_u32_e32 v14, vcc, s24, v10
	v_addc_co_u32_e32 v15, vcc, v7, v11, vcc
	global_load_dwordx2 v[10:11], v[14:15], off glc
	s_waitcnt vmcnt(0)
	v_cmp_eq_u16_sdwa s[10:11], v11, v13 src0_sel:BYTE_0 src1_sel:DWORD
	s_and_saveexec_b64 s[8:9], s[10:11]
	s_cbranch_execz .LBB1415_44
; %bb.41:
	s_mov_b64 s[10:11], 0
	v_mov_b32_e32 v7, 0
.LBB1415_42:                            ; =>This Inner Loop Header: Depth=1
	global_load_dwordx2 v[10:11], v[14:15], off glc
	s_waitcnt vmcnt(0)
	v_cmp_ne_u16_sdwa s[12:13], v11, v7 src0_sel:BYTE_0 src1_sel:DWORD
	s_or_b64 s[10:11], s[12:13], s[10:11]
	s_andn2_b64 exec, exec, s[10:11]
	s_cbranch_execnz .LBB1415_42
; %bb.43:
	s_or_b64 exec, exec, s[10:11]
.LBB1415_44:
	s_or_b64 exec, exec, s[8:9]
	v_and_b32_e32 v17, 63, v9
	v_cmp_ne_u32_e32 vcc, 63, v17
	v_addc_co_u32_e32 v18, vcc, 0, v9, vcc
	v_mov_b32_e32 v7, 2
	v_lshlrev_b32_e32 v18, 2, v18
	v_cmp_eq_u16_sdwa s[8:9], v11, v7 src0_sel:BYTE_0 src1_sel:DWORD
	v_lshlrev_b64 v[12:13], v9, -1
	ds_bpermute_b32 v19, v18, v10
	v_and_b32_e32 v14, s9, v13
	v_or_b32_e32 v14, 0x80000000, v14
	v_and_b32_e32 v15, s8, v12
	v_ffbl_b32_e32 v14, v14
	v_add_u32_e32 v14, 32, v14
	v_ffbl_b32_e32 v15, v15
	v_cmp_gt_u32_e64 s[8:9], 62, v17
	v_min_u32_e32 v14, v15, v14
	s_waitcnt lgkmcnt(0)
	v_add_f32_e32 v15, v10, v19
	v_cndmask_b32_e64 v19, 0, 1, s[8:9]
	v_cmp_lt_u32_e32 vcc, v17, v14
	v_lshlrev_b32_e32 v19, 1, v19
	v_cndmask_b32_e32 v15, v10, v15, vcc
	v_add_lshl_u32 v19, v19, v9, 2
	ds_bpermute_b32 v21, v19, v15
	v_add_u32_e32 v20, 2, v17
	v_cmp_gt_u32_e64 s[8:9], v20, v14
	v_cmp_gt_u32_e64 s[10:11], 56, v17
	v_add_u32_e32 v35, 4, v17
	s_waitcnt lgkmcnt(0)
	v_add_f32_e32 v21, v15, v21
	v_cndmask_b32_e64 v15, v21, v15, s[8:9]
	v_cmp_gt_u32_e64 s[8:9], 60, v17
	v_cndmask_b32_e64 v21, 0, 1, s[8:9]
	v_lshlrev_b32_e32 v21, 2, v21
	v_add_lshl_u32 v21, v21, v9, 2
	ds_bpermute_b32 v36, v21, v15
	v_cmp_gt_u32_e64 s[8:9], v35, v14
	v_add_u32_e32 v37, 8, v17
	v_cmp_gt_u32_e64 s[12:13], 48, v17
	v_cmp_gt_u32_e64 s[14:15], 32, v17
	s_waitcnt lgkmcnt(0)
	v_add_f32_e32 v40, v15, v36
	v_cndmask_b32_e64 v36, 0, 1, s[10:11]
	v_lshlrev_b32_e32 v36, 3, v36
	v_cndmask_b32_e64 v38, v40, v15, s[8:9]
	v_add_lshl_u32 v36, v36, v9, 2
	ds_bpermute_b32 v39, v36, v38
	v_cmp_gt_u32_e64 s[10:11], v37, v14
	v_cndmask_b32_e32 v10, v10, v15, vcc
	v_cndmask_b32_e64 v10, v40, v10, s[8:9]
	s_waitcnt lgkmcnt(0)
	v_add_f32_e32 v43, v38, v39
	v_cndmask_b32_e64 v41, v43, v38, s[10:11]
	v_cndmask_b32_e64 v38, 0, 1, s[12:13]
	v_lshlrev_b32_e32 v38, 4, v38
	v_add_lshl_u32 v38, v38, v9, 2
	ds_bpermute_b32 v42, v38, v41
	v_add_u32_e32 v39, 16, v17
	v_cmp_gt_u32_e64 s[12:13], v39, v14
	v_cndmask_b32_e64 v10, v43, v10, s[10:11]
	s_waitcnt lgkmcnt(0)
	v_add_f32_e32 v44, v41, v42
	v_cndmask_b32_e64 v45, v44, v41, s[12:13]
	v_cndmask_b32_e64 v41, 0, 1, s[14:15]
	v_lshlrev_b32_e32 v41, 5, v41
	v_add_lshl_u32 v41, v41, v9, 2
	ds_bpermute_b32 v9, v41, v45
	v_add_u32_e32 v42, 32, v17
	v_cndmask_b32_e64 v10, v44, v10, s[12:13]
	v_cmp_gt_u32_e32 vcc, v42, v14
	s_waitcnt lgkmcnt(0)
	v_add_f32_e32 v9, v45, v9
	v_cndmask_b32_e32 v10, v9, v10, vcc
	v_mov_b32_e32 v9, 0
	s_branch .LBB1415_46
.LBB1415_45:                            ;   in Loop: Header=BB1415_46 Depth=1
	s_or_b64 exec, exec, s[8:9]
	v_cmp_eq_u16_sdwa s[8:9], v11, v7 src0_sel:BYTE_0 src1_sel:DWORD
	v_and_b32_e32 v14, s9, v13
	ds_bpermute_b32 v43, v18, v10
	v_or_b32_e32 v14, 0x80000000, v14
	v_and_b32_e32 v15, s8, v12
	v_ffbl_b32_e32 v14, v14
	v_add_u32_e32 v14, 32, v14
	v_ffbl_b32_e32 v15, v15
	v_min_u32_e32 v14, v15, v14
	s_waitcnt lgkmcnt(0)
	v_add_f32_e32 v15, v10, v43
	v_cmp_lt_u32_e32 vcc, v17, v14
	v_cndmask_b32_e32 v15, v10, v15, vcc
	ds_bpermute_b32 v43, v19, v15
	v_cmp_gt_u32_e64 s[8:9], v20, v14
	v_cmp_gt_u32_e64 s[10:11], v37, v14
	;; [unrolled: 1-line block ×3, first 2 shown]
	v_subrev_u32_e32 v8, 64, v8
	s_waitcnt lgkmcnt(0)
	v_add_f32_e32 v43, v15, v43
	v_cndmask_b32_e64 v15, v43, v15, s[8:9]
	ds_bpermute_b32 v43, v21, v15
	v_cmp_gt_u32_e64 s[8:9], v35, v14
	v_cndmask_b32_e32 v10, v10, v15, vcc
	v_cmp_gt_u32_e32 vcc, v42, v14
	s_waitcnt lgkmcnt(0)
	v_add_f32_e32 v43, v15, v43
	v_cndmask_b32_e64 v44, v43, v15, s[8:9]
	ds_bpermute_b32 v45, v36, v44
	v_cndmask_b32_e64 v10, v43, v10, s[8:9]
	s_waitcnt lgkmcnt(0)
	v_add_f32_e32 v45, v44, v45
	v_cndmask_b32_e64 v44, v45, v44, s[10:11]
	ds_bpermute_b32 v46, v38, v44
	v_cndmask_b32_e64 v10, v45, v10, s[10:11]
	;; [unrolled: 5-line block ×3, first 2 shown]
	s_waitcnt lgkmcnt(0)
	v_add_f32_e32 v15, v44, v47
	v_cndmask_b32_e32 v10, v15, v10, vcc
	v_add_f32_e32 v10, v40, v10
.LBB1415_46:                            ; =>This Loop Header: Depth=1
                                        ;     Child Loop BB1415_49 Depth 2
	v_cmp_ne_u16_sdwa s[8:9], v11, v7 src0_sel:BYTE_0 src1_sel:DWORD
	v_cndmask_b32_e64 v11, 0, 1, s[8:9]
	;;#ASMSTART
	;;#ASMEND
	v_cmp_ne_u32_e32 vcc, 0, v11
	s_cmp_lg_u64 vcc, exec
	v_mov_b32_e32 v40, v10
	s_cbranch_scc1 .LBB1415_51
; %bb.47:                               ;   in Loop: Header=BB1415_46 Depth=1
	v_lshlrev_b64 v[10:11], 3, v[8:9]
	v_mov_b32_e32 v15, s25
	v_add_co_u32_e32 v14, vcc, s24, v10
	v_addc_co_u32_e32 v15, vcc, v15, v11, vcc
	global_load_dwordx2 v[10:11], v[14:15], off glc
	s_waitcnt vmcnt(0)
	v_cmp_eq_u16_sdwa s[10:11], v11, v9 src0_sel:BYTE_0 src1_sel:DWORD
	s_and_saveexec_b64 s[8:9], s[10:11]
	s_cbranch_execz .LBB1415_45
; %bb.48:                               ;   in Loop: Header=BB1415_46 Depth=1
	s_mov_b64 s[10:11], 0
.LBB1415_49:                            ;   Parent Loop BB1415_46 Depth=1
                                        ; =>  This Inner Loop Header: Depth=2
	global_load_dwordx2 v[10:11], v[14:15], off glc
	s_waitcnt vmcnt(0)
	v_cmp_ne_u16_sdwa s[12:13], v11, v9 src0_sel:BYTE_0 src1_sel:DWORD
	s_or_b64 s[10:11], s[12:13], s[10:11]
	s_andn2_b64 exec, exec, s[10:11]
	s_cbranch_execnz .LBB1415_49
; %bb.50:                               ;   in Loop: Header=BB1415_46 Depth=1
	s_or_b64 exec, exec, s[10:11]
	s_branch .LBB1415_45
.LBB1415_51:                            ;   in Loop: Header=BB1415_46 Depth=1
                                        ; implicit-def: $vgpr10
                                        ; implicit-def: $vgpr11
	s_cbranch_execz .LBB1415_46
; %bb.52:
	s_and_saveexec_b64 s[8:9], s[2:3]
	s_cbranch_execz .LBB1415_54
; %bb.53:
	s_add_i32 s2, s6, 64
	s_mov_b32 s3, 0
	s_lshl_b64 s[2:3], s[2:3], 3
	s_add_u32 s2, s24, s2
	v_add_f32_e32 v6, v6, v40
	v_mov_b32_e32 v7, 2
	s_addc_u32 s3, s25, s3
	v_mov_b32_e32 v8, 0
	global_store_dwordx2 v8, v[6:7], s[2:3]
.LBB1415_54:
	s_or_b64 exec, exec, s[8:9]
	s_and_b64 exec, exec, s[0:1]
	s_cbranch_execz .LBB1415_56
; %bb.55:
	v_mov_b32_e32 v6, 0
	ds_write_b32 v6, v40
.LBB1415_56:
	s_or_b64 exec, exec, s[26:27]
	v_mov_b32_e32 v6, 0
	s_waitcnt lgkmcnt(0)
	s_barrier
	ds_read_b32 v6, v6
	v_add_f32_e32 v7, v2, v16
	v_cndmask_b32_e64 v7, v7, v2, s[0:1]
	s_waitcnt lgkmcnt(0)
	v_add_f32_e32 v6, v7, v6
	v_add_f32_e32 v7, v3, v6
	;; [unrolled: 1-line block ×14, first 2 shown]
	s_load_dwordx8 s[8:15], s[4:5], 0x38
	s_branch .LBB1415_69
.LBB1415_57:
                                        ; implicit-def: $vgpr6_vgpr7_vgpr8_vgpr9_vgpr10_vgpr11_vgpr12_vgpr13_vgpr14_vgpr15_vgpr16_vgpr17_vgpr18_vgpr19_vgpr20_vgpr21
	s_load_dwordx8 s[8:15], s[4:5], 0x38
	s_cbranch_execz .LBB1415_69
; %bb.58:
	s_waitcnt lgkmcnt(0)
	s_cmp_lg_u64 s[12:13], 0
	s_cselect_b64 s[2:3], -1, 0
	v_cmp_eq_u32_e64 s[0:1], 0, v0
	v_cmp_ne_u32_e32 vcc, 0, v0
	s_and_b64 s[4:5], s[0:1], s[2:3]
	s_and_saveexec_b64 s[2:3], s[4:5]
	s_cbranch_execz .LBB1415_60
; %bb.59:
	v_mov_b32_e32 v6, 0
	global_load_dword v6, v6, s[8:9]
	s_waitcnt vmcnt(0)
	v_add_f32_e32 v2, v2, v6
.LBB1415_60:
	s_or_b64 exec, exec, s[2:3]
	v_add_f32_e32 v16, v2, v3
	v_add_f32_e32 v17, v4, v16
	;; [unrolled: 1-line block ×13, first 2 shown]
	v_add_lshl_u32 v1, v1, v0, 2
	v_cmp_gt_u32_e64 s[2:3], 64, v0
	ds_write_b32 v1, v15
	s_waitcnt lgkmcnt(0)
	s_barrier
	s_and_saveexec_b64 s[8:9], s[2:3]
	s_cbranch_execz .LBB1415_62
; %bb.61:
	v_lshlrev_b32_e32 v1, 1, v0
	v_lshrrev_b32_e32 v19, 4, v0
	v_add_lshl_u32 v1, v19, v1, 2
	ds_read2_b32 v[20:21], v1 offset1:1
	v_mbcnt_lo_u32_b32 v19, -1, 0
	v_mbcnt_hi_u32_b32 v19, -1, v19
	v_and_b32_e32 v35, 15, v19
	v_cmp_eq_u32_e64 s[2:3], 0, v35
	s_waitcnt lgkmcnt(0)
	v_add_f32_e32 v21, v20, v21
	v_cmp_lt_u32_e64 s[4:5], 3, v35
	v_cmp_lt_u32_e64 s[6:7], 31, v19
	v_mov_b32_dpp v36, v21 row_shr:1 row_mask:0xf bank_mask:0xf
	v_add_f32_e32 v36, v21, v36
	v_cndmask_b32_e64 v21, v36, v21, s[2:3]
	v_cmp_lt_u32_e64 s[2:3], 1, v35
	s_nop 0
	v_mov_b32_dpp v36, v21 row_shr:2 row_mask:0xf bank_mask:0xf
	v_add_f32_e32 v36, v21, v36
	v_cndmask_b32_e64 v36, v21, v36, s[2:3]
	; wave barrier
	s_nop 1
	v_mov_b32_dpp v37, v36 row_shr:4 row_mask:0xf bank_mask:0xf
	v_add_f32_e32 v37, v36, v37
	v_cndmask_b32_e64 v36, v36, v37, s[4:5]
	v_cmp_lt_u32_e64 s[4:5], 7, v35
	s_nop 0
	v_mov_b32_dpp v37, v36 row_shr:8 row_mask:0xf bank_mask:0xf
	v_add_f32_e32 v37, v36, v37
	v_cndmask_b32_e64 v35, v36, v37, s[4:5]
	v_and_b32_e32 v37, 16, v19
	v_cmp_eq_u32_e64 s[4:5], 0, v37
	v_mov_b32_dpp v36, v35 row_bcast:15 row_mask:0xf bank_mask:0xf
	v_add_f32_e32 v36, v35, v36
	v_cndmask_b32_e64 v35, v36, v35, s[4:5]
	v_cmp_lt_u32_e64 s[4:5], 15, v19
	s_or_b64 s[2:3], s[4:5], s[2:3]
	v_mov_b32_dpp v36, v35 row_bcast:31 row_mask:0xf bank_mask:0xf
	v_add_f32_e32 v36, v35, v36
	v_cndmask_b32_e64 v35, v35, v36, s[6:7]
	v_cndmask_b32_e64 v21, v21, v35, s[2:3]
	v_add_u32_e32 v35, -1, v19
	v_and_b32_e32 v36, 64, v19
	v_cmp_lt_i32_e64 s[2:3], v35, v36
	v_cndmask_b32_e64 v19, v35, v19, s[2:3]
	v_lshlrev_b32_e32 v19, 2, v19
	ds_bpermute_b32 v19, v19, v21
	s_waitcnt lgkmcnt(0)
	v_add_f32_e32 v19, v20, v19
	v_cndmask_b32_e64 v19, v19, v15, s[0:1]
	ds_write_b32 v1, v19
	; wave barrier
	ds_read_b32 v20, v1 offset:4
	s_waitcnt lgkmcnt(0)
	v_add_f32_e32 v19, v19, v20
	ds_write_b32 v1, v19 offset:4
.LBB1415_62:
	s_or_b64 exec, exec, s[8:9]
	v_mov_b32_e32 v1, v15
	s_waitcnt lgkmcnt(0)
	s_barrier
	s_and_saveexec_b64 s[0:1], vcc
	s_cbranch_execz .LBB1415_64
; %bb.63:
	v_add_u32_e32 v1, -1, v0
	v_lshrrev_b32_e32 v19, 5, v1
	v_add_lshl_u32 v1, v19, v1, 2
	ds_read_b32 v1, v1
.LBB1415_64:
	s_or_b64 exec, exec, s[0:1]
	s_and_saveexec_b64 s[0:1], vcc
	s_cbranch_execz .LBB1415_66
; %bb.65:
	s_waitcnt lgkmcnt(0)
	v_add_f32_e32 v2, v2, v1
	v_add_f32_e32 v16, v3, v2
	;; [unrolled: 1-line block ×14, first 2 shown]
	;;#ASMSTART
	;;#ASMEND
.LBB1415_66:
	s_or_b64 exec, exec, s[0:1]
	s_movk_i32 s0, 0x7f
	v_cmp_eq_u32_e32 vcc, s0, v0
	s_and_saveexec_b64 s[0:1], vcc
	s_cbranch_execz .LBB1415_68
; %bb.67:
	s_waitcnt lgkmcnt(0)
	v_mov_b32_e32 v1, 0
	v_mov_b32_e32 v5, 2
	;; [unrolled: 1-line block ×3, first 2 shown]
	global_store_dwordx2 v1, v[4:5], s[24:25] offset:512
.LBB1415_68:
	s_or_b64 exec, exec, s[0:1]
	v_mov_b32_e32 v3, v16
	v_mov_b32_e32 v4, v17
	;; [unrolled: 1-line block ×3, first 2 shown]
	v_pk_mov_b32 v[20:21], v[16:17], v[16:17] op_sel:[0,1]
	v_pk_mov_b32 v[18:19], v[14:15], v[14:15] op_sel:[0,1]
	;; [unrolled: 1-line block ×8, first 2 shown]
.LBB1415_69:
	s_add_u32 s0, s16, s20
	s_addc_u32 s1, s17, s21
	s_add_u32 s2, s0, s22
	s_addc_u32 s3, s1, s23
	s_mov_b64 s[0:1], -1
	s_and_b64 vcc, exec, s[18:19]
	s_waitcnt lgkmcnt(0)
	s_barrier
	s_cbranch_vccz .LBB1415_71
; %bb.70:
	v_mov_b32_e32 v1, s3
	v_add_co_u32_e32 v30, vcc, s2, v32
	ds_write2_b64 v34, v[6:7], v[8:9] offset1:1
	ds_write2_b64 v34, v[10:11], v[12:13] offset0:2 offset1:3
	ds_write2_b64 v34, v[14:15], v[16:17] offset0:4 offset1:5
	ds_write_b64 v34, v[18:19] offset:48
	s_waitcnt lgkmcnt(0)
	s_barrier
	ds_read2st64_b32 v[2:3], v32 offset1:2
	ds_read2st64_b32 v[4:5], v32 offset0:4 offset1:6
	ds_read2st64_b32 v[20:21], v32 offset0:8 offset1:10
	;; [unrolled: 1-line block ×6, first 2 shown]
	v_addc_co_u32_e32 v31, vcc, 0, v1, vcc
	s_waitcnt lgkmcnt(6)
	v_cvt_i32_f32_e32 v1, v2
	v_cvt_i32_f32_e32 v2, v3
	s_waitcnt lgkmcnt(5)
	v_cvt_i32_f32_e32 v3, v4
	v_cvt_i32_f32_e32 v4, v5
	flat_store_dword v[30:31], v1
	flat_store_dword v[30:31], v2 offset:512
	flat_store_dword v[30:31], v3 offset:1024
	;; [unrolled: 1-line block ×3, first 2 shown]
	s_waitcnt lgkmcnt(0)
	v_cvt_i32_f32_e32 v1, v20
	v_cvt_i32_f32_e32 v2, v21
	;; [unrolled: 1-line block ×4, first 2 shown]
	flat_store_dword v[30:31], v1 offset:2048
	flat_store_dword v[30:31], v2 offset:2560
	;; [unrolled: 1-line block ×4, first 2 shown]
	v_cvt_i32_f32_e32 v1, v24
	s_movk_i32 s0, 0x1000
	v_cvt_i32_f32_e32 v4, v25
	v_add_co_u32_e32 v2, vcc, s0, v30
	v_addc_co_u32_e32 v3, vcc, 0, v31, vcc
	flat_store_dword v[2:3], v1
	flat_store_dword v[2:3], v4 offset:512
	v_cvt_i32_f32_e32 v1, v26
	v_cvt_i32_f32_e32 v4, v27
	;; [unrolled: 1-line block ×4, first 2 shown]
	flat_store_dword v[2:3], v1 offset:1024
	flat_store_dword v[2:3], v4 offset:1536
	;; [unrolled: 1-line block ×4, first 2 shown]
	s_mov_b64 s[0:1], 0
.LBB1415_71:
	s_andn2_b64 vcc, exec, s[0:1]
	s_cbranch_vccnz .LBB1415_151
; %bb.72:
	s_movk_i32 s0, 0xffcc
	ds_write2_b64 v34, v[6:7], v[8:9] offset1:1
	ds_write2_b64 v34, v[10:11], v[12:13] offset0:2 offset1:3
	ds_write2_b64 v34, v[14:15], v[16:17] offset0:4 offset1:5
	ds_write_b64 v34, v[18:19] offset:48
	v_mad_i32_i24 v14, v0, s0, v34
	s_waitcnt lgkmcnt(0)
	s_barrier
	ds_read2st64_b32 v[4:5], v14 offset1:2
	ds_read2st64_b32 v[6:7], v14 offset0:4 offset1:6
	ds_read2st64_b32 v[8:9], v14 offset0:8 offset1:10
	;; [unrolled: 1-line block ×6, first 2 shown]
	v_mov_b32_e32 v17, s3
	v_add_co_u32_e32 v16, vcc, s2, v32
	v_addc_co_u32_e32 v17, vcc, 0, v17, vcc
	v_mov_b32_e32 v1, 0
	v_cmp_gt_u32_e32 vcc, s28, v0
	s_and_saveexec_b64 s[0:1], vcc
	s_cbranch_execz .LBB1415_74
; %bb.73:
	s_waitcnt lgkmcnt(0)
	v_cvt_i32_f32_e32 v18, v4
	flat_store_dword v[16:17], v18
.LBB1415_74:
	s_or_b64 exec, exec, s[0:1]
	v_or_b32_e32 v18, 0x80, v0
	v_cmp_gt_u32_e32 vcc, s28, v18
	s_and_saveexec_b64 s[0:1], vcc
	s_cbranch_execz .LBB1415_76
; %bb.75:
	s_waitcnt lgkmcnt(0)
	v_cvt_i32_f32_e32 v18, v5
	flat_store_dword v[16:17], v18 offset:512
.LBB1415_76:
	s_or_b64 exec, exec, s[0:1]
	v_or_b32_e32 v18, 0x100, v0
	v_cmp_gt_u32_e32 vcc, s28, v18
	s_and_saveexec_b64 s[0:1], vcc
	s_cbranch_execz .LBB1415_78
; %bb.77:
	s_waitcnt lgkmcnt(0)
	v_cvt_i32_f32_e32 v18, v6
	flat_store_dword v[16:17], v18 offset:1024
.LBB1415_78:
	;; [unrolled: 10-line block ×7, first 2 shown]
	s_or_b64 exec, exec, s[0:1]
	v_or_b32_e32 v18, 0x400, v0
	v_cmp_gt_u32_e32 vcc, s28, v18
	s_and_saveexec_b64 s[0:1], vcc
	s_cbranch_execz .LBB1415_90
; %bb.89:
	s_waitcnt lgkmcnt(0)
	v_cvt_i32_f32_e32 v20, v12
	v_add_co_u32_e32 v18, vcc, 0x1000, v16
	v_addc_co_u32_e32 v19, vcc, 0, v17, vcc
	flat_store_dword v[18:19], v20
.LBB1415_90:
	s_or_b64 exec, exec, s[0:1]
	v_or_b32_e32 v18, 0x480, v0
	v_cmp_gt_u32_e32 vcc, s28, v18
	s_and_saveexec_b64 s[0:1], vcc
	s_cbranch_execz .LBB1415_92
; %bb.91:
	s_waitcnt lgkmcnt(0)
	v_cvt_i32_f32_e32 v20, v13
	v_add_co_u32_e32 v18, vcc, 0x1000, v16
	v_addc_co_u32_e32 v19, vcc, 0, v17, vcc
	flat_store_dword v[18:19], v20 offset:512
.LBB1415_92:
	s_or_b64 exec, exec, s[0:1]
	v_or_b32_e32 v18, 0x500, v0
	v_cmp_gt_u32_e32 vcc, s28, v18
	s_and_saveexec_b64 s[0:1], vcc
	s_cbranch_execz .LBB1415_94
; %bb.93:
	s_waitcnt lgkmcnt(0)
	v_cvt_i32_f32_e32 v20, v10
	v_add_co_u32_e32 v18, vcc, 0x1000, v16
	v_addc_co_u32_e32 v19, vcc, 0, v17, vcc
	flat_store_dword v[18:19], v20 offset:1024
.LBB1415_94:
	;; [unrolled: 12-line block ×5, first 2 shown]
	s_or_b64 exec, exec, s[0:1]
	v_cmp_lt_u64_e64 s[0:1], s[14:15], 2
	s_and_b64 vcc, exec, s[0:1]
	s_cbranch_vccnz .LBB1415_151
; %bb.101:
	s_add_u32 s0, s28, -1
	s_addc_u32 s1, s29, -1
	s_add_u32 s2, 0, 0x49240800
	s_addc_u32 s3, 0, 50
	s_add_i32 s3, s3, 0x12492460
	s_mul_hi_u32 s7, s2, -14
	s_sub_i32 s7, s7, s2
	s_mul_i32 s8, s3, -14
	s_mul_i32 s4, s2, -14
	s_add_i32 s7, s7, s8
	s_mul_hi_u32 s5, s3, s4
	s_mul_i32 s6, s3, s4
	s_mul_i32 s9, s2, s7
	s_mul_hi_u32 s4, s2, s4
	s_mul_hi_u32 s8, s2, s7
	s_add_u32 s4, s4, s9
	s_addc_u32 s8, 0, s8
	s_add_u32 s4, s4, s6
	s_mul_hi_u32 s9, s3, s7
	s_addc_u32 s4, s8, s5
	s_addc_u32 s5, s9, 0
	s_mul_i32 s6, s3, s7
	s_add_u32 s4, s4, s6
	v_mov_b32_e32 v16, s4
	s_addc_u32 s5, 0, s5
	v_add_co_u32_e32 v16, vcc, s2, v16
	s_cmp_lg_u64 vcc, 0
	s_addc_u32 s2, s3, s5
	v_readfirstlane_b32 s5, v16
	s_mul_i32 s4, s0, s2
	s_mul_hi_u32 s6, s0, s5
	s_mul_hi_u32 s3, s0, s2
	s_add_u32 s4, s6, s4
	s_addc_u32 s3, 0, s3
	s_mul_hi_u32 s7, s1, s5
	s_mul_i32 s5, s1, s5
	s_add_u32 s4, s4, s5
	s_mul_hi_u32 s6, s1, s2
	s_addc_u32 s3, s3, s7
	s_addc_u32 s4, s6, 0
	s_mul_i32 s2, s1, s2
	s_add_u32 s2, s3, s2
	s_addc_u32 s3, 0, s4
	s_add_u32 s4, s2, 1
	s_addc_u32 s5, s3, 0
	s_add_u32 s6, s2, 2
	s_mul_i32 s8, s3, 14
	s_mul_hi_u32 s9, s2, 14
	s_addc_u32 s7, s3, 0
	s_add_i32 s9, s9, s8
	s_mul_i32 s8, s2, 14
	v_mov_b32_e32 v16, s8
	v_sub_co_u32_e32 v16, vcc, s0, v16
	s_cmp_lg_u64 vcc, 0
	s_subb_u32 s8, s1, s9
	v_subrev_co_u32_e32 v17, vcc, 14, v16
	s_cmp_lg_u64 vcc, 0
	s_subb_u32 s9, s8, 0
	v_readfirstlane_b32 s12, v17
	s_cmp_gt_u32 s12, 13
	s_cselect_b32 s12, -1, 0
	s_cmp_eq_u32 s9, 0
	s_cselect_b32 s9, s12, -1
	s_cmp_lg_u32 s9, 0
	s_cselect_b32 s4, s6, s4
	v_readfirstlane_b32 s6, v16
	s_cselect_b32 s5, s7, s5
	s_cmp_gt_u32 s6, 13
	s_cselect_b32 s6, -1, 0
	s_cmp_eq_u32 s8, 0
	s_cselect_b32 s6, s6, -1
	s_cmp_lg_u32 s6, 0
	s_cselect_b32 s3, s5, s3
	s_cselect_b32 s2, s4, s2
	v_cmp_eq_u64_e32 vcc, s[2:3], v[0:1]
	s_and_saveexec_b64 s[2:3], vcc
	s_cbranch_execz .LBB1415_151
; %bb.102:
	v_mul_hi_u32_u24_e32 v1, 14, v0
	v_mov_b32_e32 v16, s1
	v_sub_co_u32_e32 v0, vcc, s0, v33
	v_subb_co_u32_e32 v1, vcc, v16, v1, vcc
	v_cmp_lt_i64_e32 vcc, 6, v[0:1]
	s_and_saveexec_b64 s[0:1], vcc
	s_xor_b64 s[0:1], exec, s[0:1]
	s_cbranch_execz .LBB1415_128
; %bb.103:
	v_cmp_lt_i64_e32 vcc, 9, v[0:1]
	s_and_saveexec_b64 s[2:3], vcc
	s_xor_b64 s[2:3], exec, s[2:3]
	s_cbranch_execz .LBB1415_117
; %bb.104:
	;; [unrolled: 5-line block ×4, first 2 shown]
	v_mov_b32_e32 v0, 0
	s_waitcnt lgkmcnt(0)
	global_store_dword v0, v15, s[10:11]
                                        ; implicit-def: $vgpr14_vgpr15
.LBB1415_107:
	s_andn2_saveexec_b64 s[6:7], s[6:7]
	s_cbranch_execz .LBB1415_109
; %bb.108:
	v_mov_b32_e32 v0, 0
	s_waitcnt lgkmcnt(0)
	global_store_dword v0, v14, s[10:11]
.LBB1415_109:
	s_or_b64 exec, exec, s[6:7]
                                        ; implicit-def: $vgpr10_vgpr11
                                        ; implicit-def: $vgpr0_vgpr1
.LBB1415_110:
	s_andn2_saveexec_b64 s[4:5], s[4:5]
	s_cbranch_execz .LBB1415_116
; %bb.111:
	v_cmp_lt_i64_e32 vcc, 10, v[0:1]
	s_and_saveexec_b64 s[6:7], vcc
	s_xor_b64 s[6:7], exec, s[6:7]
	s_cbranch_execz .LBB1415_113
; %bb.112:
	v_mov_b32_e32 v0, 0
	s_waitcnt lgkmcnt(0)
	global_store_dword v0, v11, s[10:11]
                                        ; implicit-def: $vgpr10_vgpr11
.LBB1415_113:
	s_andn2_saveexec_b64 s[6:7], s[6:7]
	s_cbranch_execz .LBB1415_115
; %bb.114:
	v_mov_b32_e32 v0, 0
	s_waitcnt lgkmcnt(0)
	global_store_dword v0, v10, s[10:11]
.LBB1415_115:
	s_or_b64 exec, exec, s[6:7]
.LBB1415_116:
	s_or_b64 exec, exec, s[4:5]
                                        ; implicit-def: $vgpr2_vgpr3
                                        ; implicit-def: $vgpr0_vgpr1
                                        ; implicit-def: $vgpr12_vgpr13
.LBB1415_117:
	s_andn2_saveexec_b64 s[2:3], s[2:3]
	s_cbranch_execz .LBB1415_127
; %bb.118:
	v_cmp_lt_i64_e32 vcc, 7, v[0:1]
	s_and_saveexec_b64 s[4:5], vcc
	s_xor_b64 s[4:5], exec, s[4:5]
	s_cbranch_execz .LBB1415_124
; %bb.119:
	v_cmp_lt_i64_e32 vcc, 8, v[0:1]
	s_and_saveexec_b64 s[6:7], vcc
	s_xor_b64 s[6:7], exec, s[6:7]
	s_cbranch_execz .LBB1415_121
; %bb.120:
	v_mov_b32_e32 v0, 0
	s_waitcnt lgkmcnt(0)
	global_store_dword v0, v13, s[10:11]
                                        ; implicit-def: $vgpr12_vgpr13
.LBB1415_121:
	s_andn2_saveexec_b64 s[6:7], s[6:7]
	s_cbranch_execz .LBB1415_123
; %bb.122:
	v_mov_b32_e32 v0, 0
	s_waitcnt lgkmcnt(0)
	global_store_dword v0, v12, s[10:11]
.LBB1415_123:
	s_or_b64 exec, exec, s[6:7]
                                        ; implicit-def: $vgpr2_vgpr3
.LBB1415_124:
	s_andn2_saveexec_b64 s[4:5], s[4:5]
	s_cbranch_execz .LBB1415_126
; %bb.125:
	v_mov_b32_e32 v0, 0
	s_waitcnt lgkmcnt(0)
	global_store_dword v0, v3, s[10:11]
.LBB1415_126:
	s_or_b64 exec, exec, s[4:5]
.LBB1415_127:
	s_or_b64 exec, exec, s[2:3]
                                        ; implicit-def: $vgpr0_vgpr1
                                        ; implicit-def: $vgpr8_vgpr9
                                        ; implicit-def: $vgpr4_vgpr5
                                        ; implicit-def: $vgpr6_vgpr7
                                        ; implicit-def: $vgpr2_vgpr3
.LBB1415_128:
	s_andn2_saveexec_b64 s[0:1], s[0:1]
	s_cbranch_execz .LBB1415_151
; %bb.129:
	v_cmp_lt_i64_e32 vcc, 3, v[0:1]
	s_and_saveexec_b64 s[0:1], vcc
	s_xor_b64 s[0:1], exec, s[0:1]
	s_cbranch_execz .LBB1415_139
; %bb.130:
	v_cmp_lt_i64_e32 vcc, 4, v[0:1]
	s_and_saveexec_b64 s[2:3], vcc
	s_xor_b64 s[2:3], exec, s[2:3]
	;; [unrolled: 5-line block ×3, first 2 shown]
	s_cbranch_execz .LBB1415_133
; %bb.132:
	v_mov_b32_e32 v0, 0
	s_waitcnt lgkmcnt(0)
	global_store_dword v0, v2, s[10:11]
                                        ; implicit-def: $vgpr8_vgpr9
.LBB1415_133:
	s_andn2_saveexec_b64 s[4:5], s[4:5]
	s_cbranch_execz .LBB1415_135
; %bb.134:
	v_mov_b32_e32 v0, 0
	s_waitcnt lgkmcnt(0)
	global_store_dword v0, v9, s[10:11]
.LBB1415_135:
	s_or_b64 exec, exec, s[4:5]
                                        ; implicit-def: $vgpr8_vgpr9
.LBB1415_136:
	s_andn2_saveexec_b64 s[2:3], s[2:3]
	s_cbranch_execz .LBB1415_138
; %bb.137:
	v_mov_b32_e32 v0, 0
	s_waitcnt lgkmcnt(0)
	global_store_dword v0, v8, s[10:11]
.LBB1415_138:
	s_or_b64 exec, exec, s[2:3]
                                        ; implicit-def: $vgpr0_vgpr1
                                        ; implicit-def: $vgpr4_vgpr5
                                        ; implicit-def: $vgpr6_vgpr7
.LBB1415_139:
	s_andn2_saveexec_b64 s[0:1], s[0:1]
	s_cbranch_execz .LBB1415_151
; %bb.140:
	v_cmp_lt_i64_e32 vcc, 1, v[0:1]
	s_and_saveexec_b64 s[0:1], vcc
	s_xor_b64 s[0:1], exec, s[0:1]
	s_cbranch_execz .LBB1415_146
; %bb.141:
	v_cmp_lt_i64_e32 vcc, 2, v[0:1]
	s_and_saveexec_b64 s[2:3], vcc
	s_xor_b64 s[2:3], exec, s[2:3]
	s_cbranch_execz .LBB1415_143
; %bb.142:
	v_mov_b32_e32 v0, 0
	s_waitcnt lgkmcnt(0)
	global_store_dword v0, v7, s[10:11]
                                        ; implicit-def: $vgpr6_vgpr7
.LBB1415_143:
	s_andn2_saveexec_b64 s[2:3], s[2:3]
	s_cbranch_execz .LBB1415_145
; %bb.144:
	v_mov_b32_e32 v0, 0
	s_waitcnt lgkmcnt(0)
	global_store_dword v0, v6, s[10:11]
.LBB1415_145:
	s_or_b64 exec, exec, s[2:3]
                                        ; implicit-def: $vgpr4_vgpr5
                                        ; implicit-def: $vgpr0_vgpr1
.LBB1415_146:
	s_andn2_saveexec_b64 s[0:1], s[0:1]
	s_cbranch_execz .LBB1415_151
; %bb.147:
	v_cmp_ne_u64_e32 vcc, 1, v[0:1]
	s_and_saveexec_b64 s[0:1], vcc
	s_xor_b64 s[0:1], exec, s[0:1]
	s_cbranch_execz .LBB1415_149
; %bb.148:
	v_mov_b32_e32 v0, 0
	s_waitcnt lgkmcnt(0)
	global_store_dword v0, v4, s[10:11]
                                        ; implicit-def: $vgpr4_vgpr5
.LBB1415_149:
	s_andn2_saveexec_b64 s[0:1], s[0:1]
	s_cbranch_execz .LBB1415_151
; %bb.150:
	v_mov_b32_e32 v0, 0
	s_waitcnt lgkmcnt(0)
	global_store_dword v0, v5, s[10:11]
.LBB1415_151:
	s_endpgm
	.section	.rodata,"a",@progbits
	.p2align	6, 0x0
	.amdhsa_kernel _ZN7rocprim17ROCPRIM_400000_NS6detail17trampoline_kernelINS0_14default_configENS1_20scan_config_selectorIfEEZZNS1_9scan_implILNS1_25lookback_scan_determinismE0ELb0ELb0ES3_N6thrust23THRUST_200600_302600_NS6detail15normal_iteratorINS9_10device_ptrIfEEEENSB_INSC_IiEEEEfNS9_4plusIvEEfEEDaPvRmT3_T4_T5_mT6_P12ihipStream_tbENKUlT_T0_E_clISt17integral_constantIbLb0EESW_EEDaSR_SS_EUlSR_E_NS1_11comp_targetILNS1_3genE4ELNS1_11target_archE910ELNS1_3gpuE8ELNS1_3repE0EEENS1_30default_config_static_selectorELNS0_4arch9wavefront6targetE1EEEvT1_
		.amdhsa_group_segment_fixed_size 7168
		.amdhsa_private_segment_fixed_size 0
		.amdhsa_kernarg_size 96
		.amdhsa_user_sgpr_count 6
		.amdhsa_user_sgpr_private_segment_buffer 1
		.amdhsa_user_sgpr_dispatch_ptr 0
		.amdhsa_user_sgpr_queue_ptr 0
		.amdhsa_user_sgpr_kernarg_segment_ptr 1
		.amdhsa_user_sgpr_dispatch_id 0
		.amdhsa_user_sgpr_flat_scratch_init 0
		.amdhsa_user_sgpr_kernarg_preload_length 0
		.amdhsa_user_sgpr_kernarg_preload_offset 0
		.amdhsa_user_sgpr_private_segment_size 0
		.amdhsa_uses_dynamic_stack 0
		.amdhsa_system_sgpr_private_segment_wavefront_offset 0
		.amdhsa_system_sgpr_workgroup_id_x 1
		.amdhsa_system_sgpr_workgroup_id_y 0
		.amdhsa_system_sgpr_workgroup_id_z 0
		.amdhsa_system_sgpr_workgroup_info 0
		.amdhsa_system_vgpr_workitem_id 0
		.amdhsa_next_free_vgpr 48
		.amdhsa_next_free_sgpr 30
		.amdhsa_accum_offset 48
		.amdhsa_reserve_vcc 1
		.amdhsa_reserve_flat_scratch 0
		.amdhsa_float_round_mode_32 0
		.amdhsa_float_round_mode_16_64 0
		.amdhsa_float_denorm_mode_32 3
		.amdhsa_float_denorm_mode_16_64 3
		.amdhsa_dx10_clamp 1
		.amdhsa_ieee_mode 1
		.amdhsa_fp16_overflow 0
		.amdhsa_tg_split 0
		.amdhsa_exception_fp_ieee_invalid_op 0
		.amdhsa_exception_fp_denorm_src 0
		.amdhsa_exception_fp_ieee_div_zero 0
		.amdhsa_exception_fp_ieee_overflow 0
		.amdhsa_exception_fp_ieee_underflow 0
		.amdhsa_exception_fp_ieee_inexact 0
		.amdhsa_exception_int_div_zero 0
	.end_amdhsa_kernel
	.section	.text._ZN7rocprim17ROCPRIM_400000_NS6detail17trampoline_kernelINS0_14default_configENS1_20scan_config_selectorIfEEZZNS1_9scan_implILNS1_25lookback_scan_determinismE0ELb0ELb0ES3_N6thrust23THRUST_200600_302600_NS6detail15normal_iteratorINS9_10device_ptrIfEEEENSB_INSC_IiEEEEfNS9_4plusIvEEfEEDaPvRmT3_T4_T5_mT6_P12ihipStream_tbENKUlT_T0_E_clISt17integral_constantIbLb0EESW_EEDaSR_SS_EUlSR_E_NS1_11comp_targetILNS1_3genE4ELNS1_11target_archE910ELNS1_3gpuE8ELNS1_3repE0EEENS1_30default_config_static_selectorELNS0_4arch9wavefront6targetE1EEEvT1_,"axG",@progbits,_ZN7rocprim17ROCPRIM_400000_NS6detail17trampoline_kernelINS0_14default_configENS1_20scan_config_selectorIfEEZZNS1_9scan_implILNS1_25lookback_scan_determinismE0ELb0ELb0ES3_N6thrust23THRUST_200600_302600_NS6detail15normal_iteratorINS9_10device_ptrIfEEEENSB_INSC_IiEEEEfNS9_4plusIvEEfEEDaPvRmT3_T4_T5_mT6_P12ihipStream_tbENKUlT_T0_E_clISt17integral_constantIbLb0EESW_EEDaSR_SS_EUlSR_E_NS1_11comp_targetILNS1_3genE4ELNS1_11target_archE910ELNS1_3gpuE8ELNS1_3repE0EEENS1_30default_config_static_selectorELNS0_4arch9wavefront6targetE1EEEvT1_,comdat
.Lfunc_end1415:
	.size	_ZN7rocprim17ROCPRIM_400000_NS6detail17trampoline_kernelINS0_14default_configENS1_20scan_config_selectorIfEEZZNS1_9scan_implILNS1_25lookback_scan_determinismE0ELb0ELb0ES3_N6thrust23THRUST_200600_302600_NS6detail15normal_iteratorINS9_10device_ptrIfEEEENSB_INSC_IiEEEEfNS9_4plusIvEEfEEDaPvRmT3_T4_T5_mT6_P12ihipStream_tbENKUlT_T0_E_clISt17integral_constantIbLb0EESW_EEDaSR_SS_EUlSR_E_NS1_11comp_targetILNS1_3genE4ELNS1_11target_archE910ELNS1_3gpuE8ELNS1_3repE0EEENS1_30default_config_static_selectorELNS0_4arch9wavefront6targetE1EEEvT1_, .Lfunc_end1415-_ZN7rocprim17ROCPRIM_400000_NS6detail17trampoline_kernelINS0_14default_configENS1_20scan_config_selectorIfEEZZNS1_9scan_implILNS1_25lookback_scan_determinismE0ELb0ELb0ES3_N6thrust23THRUST_200600_302600_NS6detail15normal_iteratorINS9_10device_ptrIfEEEENSB_INSC_IiEEEEfNS9_4plusIvEEfEEDaPvRmT3_T4_T5_mT6_P12ihipStream_tbENKUlT_T0_E_clISt17integral_constantIbLb0EESW_EEDaSR_SS_EUlSR_E_NS1_11comp_targetILNS1_3genE4ELNS1_11target_archE910ELNS1_3gpuE8ELNS1_3repE0EEENS1_30default_config_static_selectorELNS0_4arch9wavefront6targetE1EEEvT1_
                                        ; -- End function
	.section	.AMDGPU.csdata,"",@progbits
; Kernel info:
; codeLenInByte = 5816
; NumSgprs: 34
; NumVgprs: 48
; NumAgprs: 0
; TotalNumVgprs: 48
; ScratchSize: 0
; MemoryBound: 0
; FloatMode: 240
; IeeeMode: 1
; LDSByteSize: 7168 bytes/workgroup (compile time only)
; SGPRBlocks: 4
; VGPRBlocks: 5
; NumSGPRsForWavesPerEU: 34
; NumVGPRsForWavesPerEU: 48
; AccumOffset: 48
; Occupancy: 5
; WaveLimiterHint : 1
; COMPUTE_PGM_RSRC2:SCRATCH_EN: 0
; COMPUTE_PGM_RSRC2:USER_SGPR: 6
; COMPUTE_PGM_RSRC2:TRAP_HANDLER: 0
; COMPUTE_PGM_RSRC2:TGID_X_EN: 1
; COMPUTE_PGM_RSRC2:TGID_Y_EN: 0
; COMPUTE_PGM_RSRC2:TGID_Z_EN: 0
; COMPUTE_PGM_RSRC2:TIDIG_COMP_CNT: 0
; COMPUTE_PGM_RSRC3_GFX90A:ACCUM_OFFSET: 11
; COMPUTE_PGM_RSRC3_GFX90A:TG_SPLIT: 0
	.section	.text._ZN7rocprim17ROCPRIM_400000_NS6detail17trampoline_kernelINS0_14default_configENS1_20scan_config_selectorIfEEZZNS1_9scan_implILNS1_25lookback_scan_determinismE0ELb0ELb0ES3_N6thrust23THRUST_200600_302600_NS6detail15normal_iteratorINS9_10device_ptrIfEEEENSB_INSC_IiEEEEfNS9_4plusIvEEfEEDaPvRmT3_T4_T5_mT6_P12ihipStream_tbENKUlT_T0_E_clISt17integral_constantIbLb0EESW_EEDaSR_SS_EUlSR_E_NS1_11comp_targetILNS1_3genE3ELNS1_11target_archE908ELNS1_3gpuE7ELNS1_3repE0EEENS1_30default_config_static_selectorELNS0_4arch9wavefront6targetE1EEEvT1_,"axG",@progbits,_ZN7rocprim17ROCPRIM_400000_NS6detail17trampoline_kernelINS0_14default_configENS1_20scan_config_selectorIfEEZZNS1_9scan_implILNS1_25lookback_scan_determinismE0ELb0ELb0ES3_N6thrust23THRUST_200600_302600_NS6detail15normal_iteratorINS9_10device_ptrIfEEEENSB_INSC_IiEEEEfNS9_4plusIvEEfEEDaPvRmT3_T4_T5_mT6_P12ihipStream_tbENKUlT_T0_E_clISt17integral_constantIbLb0EESW_EEDaSR_SS_EUlSR_E_NS1_11comp_targetILNS1_3genE3ELNS1_11target_archE908ELNS1_3gpuE7ELNS1_3repE0EEENS1_30default_config_static_selectorELNS0_4arch9wavefront6targetE1EEEvT1_,comdat
	.protected	_ZN7rocprim17ROCPRIM_400000_NS6detail17trampoline_kernelINS0_14default_configENS1_20scan_config_selectorIfEEZZNS1_9scan_implILNS1_25lookback_scan_determinismE0ELb0ELb0ES3_N6thrust23THRUST_200600_302600_NS6detail15normal_iteratorINS9_10device_ptrIfEEEENSB_INSC_IiEEEEfNS9_4plusIvEEfEEDaPvRmT3_T4_T5_mT6_P12ihipStream_tbENKUlT_T0_E_clISt17integral_constantIbLb0EESW_EEDaSR_SS_EUlSR_E_NS1_11comp_targetILNS1_3genE3ELNS1_11target_archE908ELNS1_3gpuE7ELNS1_3repE0EEENS1_30default_config_static_selectorELNS0_4arch9wavefront6targetE1EEEvT1_ ; -- Begin function _ZN7rocprim17ROCPRIM_400000_NS6detail17trampoline_kernelINS0_14default_configENS1_20scan_config_selectorIfEEZZNS1_9scan_implILNS1_25lookback_scan_determinismE0ELb0ELb0ES3_N6thrust23THRUST_200600_302600_NS6detail15normal_iteratorINS9_10device_ptrIfEEEENSB_INSC_IiEEEEfNS9_4plusIvEEfEEDaPvRmT3_T4_T5_mT6_P12ihipStream_tbENKUlT_T0_E_clISt17integral_constantIbLb0EESW_EEDaSR_SS_EUlSR_E_NS1_11comp_targetILNS1_3genE3ELNS1_11target_archE908ELNS1_3gpuE7ELNS1_3repE0EEENS1_30default_config_static_selectorELNS0_4arch9wavefront6targetE1EEEvT1_
	.globl	_ZN7rocprim17ROCPRIM_400000_NS6detail17trampoline_kernelINS0_14default_configENS1_20scan_config_selectorIfEEZZNS1_9scan_implILNS1_25lookback_scan_determinismE0ELb0ELb0ES3_N6thrust23THRUST_200600_302600_NS6detail15normal_iteratorINS9_10device_ptrIfEEEENSB_INSC_IiEEEEfNS9_4plusIvEEfEEDaPvRmT3_T4_T5_mT6_P12ihipStream_tbENKUlT_T0_E_clISt17integral_constantIbLb0EESW_EEDaSR_SS_EUlSR_E_NS1_11comp_targetILNS1_3genE3ELNS1_11target_archE908ELNS1_3gpuE7ELNS1_3repE0EEENS1_30default_config_static_selectorELNS0_4arch9wavefront6targetE1EEEvT1_
	.p2align	8
	.type	_ZN7rocprim17ROCPRIM_400000_NS6detail17trampoline_kernelINS0_14default_configENS1_20scan_config_selectorIfEEZZNS1_9scan_implILNS1_25lookback_scan_determinismE0ELb0ELb0ES3_N6thrust23THRUST_200600_302600_NS6detail15normal_iteratorINS9_10device_ptrIfEEEENSB_INSC_IiEEEEfNS9_4plusIvEEfEEDaPvRmT3_T4_T5_mT6_P12ihipStream_tbENKUlT_T0_E_clISt17integral_constantIbLb0EESW_EEDaSR_SS_EUlSR_E_NS1_11comp_targetILNS1_3genE3ELNS1_11target_archE908ELNS1_3gpuE7ELNS1_3repE0EEENS1_30default_config_static_selectorELNS0_4arch9wavefront6targetE1EEEvT1_,@function
_ZN7rocprim17ROCPRIM_400000_NS6detail17trampoline_kernelINS0_14default_configENS1_20scan_config_selectorIfEEZZNS1_9scan_implILNS1_25lookback_scan_determinismE0ELb0ELb0ES3_N6thrust23THRUST_200600_302600_NS6detail15normal_iteratorINS9_10device_ptrIfEEEENSB_INSC_IiEEEEfNS9_4plusIvEEfEEDaPvRmT3_T4_T5_mT6_P12ihipStream_tbENKUlT_T0_E_clISt17integral_constantIbLb0EESW_EEDaSR_SS_EUlSR_E_NS1_11comp_targetILNS1_3genE3ELNS1_11target_archE908ELNS1_3gpuE7ELNS1_3repE0EEENS1_30default_config_static_selectorELNS0_4arch9wavefront6targetE1EEEvT1_: ; @_ZN7rocprim17ROCPRIM_400000_NS6detail17trampoline_kernelINS0_14default_configENS1_20scan_config_selectorIfEEZZNS1_9scan_implILNS1_25lookback_scan_determinismE0ELb0ELb0ES3_N6thrust23THRUST_200600_302600_NS6detail15normal_iteratorINS9_10device_ptrIfEEEENSB_INSC_IiEEEEfNS9_4plusIvEEfEEDaPvRmT3_T4_T5_mT6_P12ihipStream_tbENKUlT_T0_E_clISt17integral_constantIbLb0EESW_EEDaSR_SS_EUlSR_E_NS1_11comp_targetILNS1_3genE3ELNS1_11target_archE908ELNS1_3gpuE7ELNS1_3repE0EEENS1_30default_config_static_selectorELNS0_4arch9wavefront6targetE1EEEvT1_
; %bb.0:
	.section	.rodata,"a",@progbits
	.p2align	6, 0x0
	.amdhsa_kernel _ZN7rocprim17ROCPRIM_400000_NS6detail17trampoline_kernelINS0_14default_configENS1_20scan_config_selectorIfEEZZNS1_9scan_implILNS1_25lookback_scan_determinismE0ELb0ELb0ES3_N6thrust23THRUST_200600_302600_NS6detail15normal_iteratorINS9_10device_ptrIfEEEENSB_INSC_IiEEEEfNS9_4plusIvEEfEEDaPvRmT3_T4_T5_mT6_P12ihipStream_tbENKUlT_T0_E_clISt17integral_constantIbLb0EESW_EEDaSR_SS_EUlSR_E_NS1_11comp_targetILNS1_3genE3ELNS1_11target_archE908ELNS1_3gpuE7ELNS1_3repE0EEENS1_30default_config_static_selectorELNS0_4arch9wavefront6targetE1EEEvT1_
		.amdhsa_group_segment_fixed_size 0
		.amdhsa_private_segment_fixed_size 0
		.amdhsa_kernarg_size 96
		.amdhsa_user_sgpr_count 6
		.amdhsa_user_sgpr_private_segment_buffer 1
		.amdhsa_user_sgpr_dispatch_ptr 0
		.amdhsa_user_sgpr_queue_ptr 0
		.amdhsa_user_sgpr_kernarg_segment_ptr 1
		.amdhsa_user_sgpr_dispatch_id 0
		.amdhsa_user_sgpr_flat_scratch_init 0
		.amdhsa_user_sgpr_kernarg_preload_length 0
		.amdhsa_user_sgpr_kernarg_preload_offset 0
		.amdhsa_user_sgpr_private_segment_size 0
		.amdhsa_uses_dynamic_stack 0
		.amdhsa_system_sgpr_private_segment_wavefront_offset 0
		.amdhsa_system_sgpr_workgroup_id_x 1
		.amdhsa_system_sgpr_workgroup_id_y 0
		.amdhsa_system_sgpr_workgroup_id_z 0
		.amdhsa_system_sgpr_workgroup_info 0
		.amdhsa_system_vgpr_workitem_id 0
		.amdhsa_next_free_vgpr 1
		.amdhsa_next_free_sgpr 0
		.amdhsa_accum_offset 4
		.amdhsa_reserve_vcc 0
		.amdhsa_reserve_flat_scratch 0
		.amdhsa_float_round_mode_32 0
		.amdhsa_float_round_mode_16_64 0
		.amdhsa_float_denorm_mode_32 3
		.amdhsa_float_denorm_mode_16_64 3
		.amdhsa_dx10_clamp 1
		.amdhsa_ieee_mode 1
		.amdhsa_fp16_overflow 0
		.amdhsa_tg_split 0
		.amdhsa_exception_fp_ieee_invalid_op 0
		.amdhsa_exception_fp_denorm_src 0
		.amdhsa_exception_fp_ieee_div_zero 0
		.amdhsa_exception_fp_ieee_overflow 0
		.amdhsa_exception_fp_ieee_underflow 0
		.amdhsa_exception_fp_ieee_inexact 0
		.amdhsa_exception_int_div_zero 0
	.end_amdhsa_kernel
	.section	.text._ZN7rocprim17ROCPRIM_400000_NS6detail17trampoline_kernelINS0_14default_configENS1_20scan_config_selectorIfEEZZNS1_9scan_implILNS1_25lookback_scan_determinismE0ELb0ELb0ES3_N6thrust23THRUST_200600_302600_NS6detail15normal_iteratorINS9_10device_ptrIfEEEENSB_INSC_IiEEEEfNS9_4plusIvEEfEEDaPvRmT3_T4_T5_mT6_P12ihipStream_tbENKUlT_T0_E_clISt17integral_constantIbLb0EESW_EEDaSR_SS_EUlSR_E_NS1_11comp_targetILNS1_3genE3ELNS1_11target_archE908ELNS1_3gpuE7ELNS1_3repE0EEENS1_30default_config_static_selectorELNS0_4arch9wavefront6targetE1EEEvT1_,"axG",@progbits,_ZN7rocprim17ROCPRIM_400000_NS6detail17trampoline_kernelINS0_14default_configENS1_20scan_config_selectorIfEEZZNS1_9scan_implILNS1_25lookback_scan_determinismE0ELb0ELb0ES3_N6thrust23THRUST_200600_302600_NS6detail15normal_iteratorINS9_10device_ptrIfEEEENSB_INSC_IiEEEEfNS9_4plusIvEEfEEDaPvRmT3_T4_T5_mT6_P12ihipStream_tbENKUlT_T0_E_clISt17integral_constantIbLb0EESW_EEDaSR_SS_EUlSR_E_NS1_11comp_targetILNS1_3genE3ELNS1_11target_archE908ELNS1_3gpuE7ELNS1_3repE0EEENS1_30default_config_static_selectorELNS0_4arch9wavefront6targetE1EEEvT1_,comdat
.Lfunc_end1416:
	.size	_ZN7rocprim17ROCPRIM_400000_NS6detail17trampoline_kernelINS0_14default_configENS1_20scan_config_selectorIfEEZZNS1_9scan_implILNS1_25lookback_scan_determinismE0ELb0ELb0ES3_N6thrust23THRUST_200600_302600_NS6detail15normal_iteratorINS9_10device_ptrIfEEEENSB_INSC_IiEEEEfNS9_4plusIvEEfEEDaPvRmT3_T4_T5_mT6_P12ihipStream_tbENKUlT_T0_E_clISt17integral_constantIbLb0EESW_EEDaSR_SS_EUlSR_E_NS1_11comp_targetILNS1_3genE3ELNS1_11target_archE908ELNS1_3gpuE7ELNS1_3repE0EEENS1_30default_config_static_selectorELNS0_4arch9wavefront6targetE1EEEvT1_, .Lfunc_end1416-_ZN7rocprim17ROCPRIM_400000_NS6detail17trampoline_kernelINS0_14default_configENS1_20scan_config_selectorIfEEZZNS1_9scan_implILNS1_25lookback_scan_determinismE0ELb0ELb0ES3_N6thrust23THRUST_200600_302600_NS6detail15normal_iteratorINS9_10device_ptrIfEEEENSB_INSC_IiEEEEfNS9_4plusIvEEfEEDaPvRmT3_T4_T5_mT6_P12ihipStream_tbENKUlT_T0_E_clISt17integral_constantIbLb0EESW_EEDaSR_SS_EUlSR_E_NS1_11comp_targetILNS1_3genE3ELNS1_11target_archE908ELNS1_3gpuE7ELNS1_3repE0EEENS1_30default_config_static_selectorELNS0_4arch9wavefront6targetE1EEEvT1_
                                        ; -- End function
	.section	.AMDGPU.csdata,"",@progbits
; Kernel info:
; codeLenInByte = 0
; NumSgprs: 4
; NumVgprs: 0
; NumAgprs: 0
; TotalNumVgprs: 0
; ScratchSize: 0
; MemoryBound: 0
; FloatMode: 240
; IeeeMode: 1
; LDSByteSize: 0 bytes/workgroup (compile time only)
; SGPRBlocks: 0
; VGPRBlocks: 0
; NumSGPRsForWavesPerEU: 4
; NumVGPRsForWavesPerEU: 1
; AccumOffset: 4
; Occupancy: 8
; WaveLimiterHint : 0
; COMPUTE_PGM_RSRC2:SCRATCH_EN: 0
; COMPUTE_PGM_RSRC2:USER_SGPR: 6
; COMPUTE_PGM_RSRC2:TRAP_HANDLER: 0
; COMPUTE_PGM_RSRC2:TGID_X_EN: 1
; COMPUTE_PGM_RSRC2:TGID_Y_EN: 0
; COMPUTE_PGM_RSRC2:TGID_Z_EN: 0
; COMPUTE_PGM_RSRC2:TIDIG_COMP_CNT: 0
; COMPUTE_PGM_RSRC3_GFX90A:ACCUM_OFFSET: 0
; COMPUTE_PGM_RSRC3_GFX90A:TG_SPLIT: 0
	.section	.text._ZN7rocprim17ROCPRIM_400000_NS6detail17trampoline_kernelINS0_14default_configENS1_20scan_config_selectorIfEEZZNS1_9scan_implILNS1_25lookback_scan_determinismE0ELb0ELb0ES3_N6thrust23THRUST_200600_302600_NS6detail15normal_iteratorINS9_10device_ptrIfEEEENSB_INSC_IiEEEEfNS9_4plusIvEEfEEDaPvRmT3_T4_T5_mT6_P12ihipStream_tbENKUlT_T0_E_clISt17integral_constantIbLb0EESW_EEDaSR_SS_EUlSR_E_NS1_11comp_targetILNS1_3genE2ELNS1_11target_archE906ELNS1_3gpuE6ELNS1_3repE0EEENS1_30default_config_static_selectorELNS0_4arch9wavefront6targetE1EEEvT1_,"axG",@progbits,_ZN7rocprim17ROCPRIM_400000_NS6detail17trampoline_kernelINS0_14default_configENS1_20scan_config_selectorIfEEZZNS1_9scan_implILNS1_25lookback_scan_determinismE0ELb0ELb0ES3_N6thrust23THRUST_200600_302600_NS6detail15normal_iteratorINS9_10device_ptrIfEEEENSB_INSC_IiEEEEfNS9_4plusIvEEfEEDaPvRmT3_T4_T5_mT6_P12ihipStream_tbENKUlT_T0_E_clISt17integral_constantIbLb0EESW_EEDaSR_SS_EUlSR_E_NS1_11comp_targetILNS1_3genE2ELNS1_11target_archE906ELNS1_3gpuE6ELNS1_3repE0EEENS1_30default_config_static_selectorELNS0_4arch9wavefront6targetE1EEEvT1_,comdat
	.protected	_ZN7rocprim17ROCPRIM_400000_NS6detail17trampoline_kernelINS0_14default_configENS1_20scan_config_selectorIfEEZZNS1_9scan_implILNS1_25lookback_scan_determinismE0ELb0ELb0ES3_N6thrust23THRUST_200600_302600_NS6detail15normal_iteratorINS9_10device_ptrIfEEEENSB_INSC_IiEEEEfNS9_4plusIvEEfEEDaPvRmT3_T4_T5_mT6_P12ihipStream_tbENKUlT_T0_E_clISt17integral_constantIbLb0EESW_EEDaSR_SS_EUlSR_E_NS1_11comp_targetILNS1_3genE2ELNS1_11target_archE906ELNS1_3gpuE6ELNS1_3repE0EEENS1_30default_config_static_selectorELNS0_4arch9wavefront6targetE1EEEvT1_ ; -- Begin function _ZN7rocprim17ROCPRIM_400000_NS6detail17trampoline_kernelINS0_14default_configENS1_20scan_config_selectorIfEEZZNS1_9scan_implILNS1_25lookback_scan_determinismE0ELb0ELb0ES3_N6thrust23THRUST_200600_302600_NS6detail15normal_iteratorINS9_10device_ptrIfEEEENSB_INSC_IiEEEEfNS9_4plusIvEEfEEDaPvRmT3_T4_T5_mT6_P12ihipStream_tbENKUlT_T0_E_clISt17integral_constantIbLb0EESW_EEDaSR_SS_EUlSR_E_NS1_11comp_targetILNS1_3genE2ELNS1_11target_archE906ELNS1_3gpuE6ELNS1_3repE0EEENS1_30default_config_static_selectorELNS0_4arch9wavefront6targetE1EEEvT1_
	.globl	_ZN7rocprim17ROCPRIM_400000_NS6detail17trampoline_kernelINS0_14default_configENS1_20scan_config_selectorIfEEZZNS1_9scan_implILNS1_25lookback_scan_determinismE0ELb0ELb0ES3_N6thrust23THRUST_200600_302600_NS6detail15normal_iteratorINS9_10device_ptrIfEEEENSB_INSC_IiEEEEfNS9_4plusIvEEfEEDaPvRmT3_T4_T5_mT6_P12ihipStream_tbENKUlT_T0_E_clISt17integral_constantIbLb0EESW_EEDaSR_SS_EUlSR_E_NS1_11comp_targetILNS1_3genE2ELNS1_11target_archE906ELNS1_3gpuE6ELNS1_3repE0EEENS1_30default_config_static_selectorELNS0_4arch9wavefront6targetE1EEEvT1_
	.p2align	8
	.type	_ZN7rocprim17ROCPRIM_400000_NS6detail17trampoline_kernelINS0_14default_configENS1_20scan_config_selectorIfEEZZNS1_9scan_implILNS1_25lookback_scan_determinismE0ELb0ELb0ES3_N6thrust23THRUST_200600_302600_NS6detail15normal_iteratorINS9_10device_ptrIfEEEENSB_INSC_IiEEEEfNS9_4plusIvEEfEEDaPvRmT3_T4_T5_mT6_P12ihipStream_tbENKUlT_T0_E_clISt17integral_constantIbLb0EESW_EEDaSR_SS_EUlSR_E_NS1_11comp_targetILNS1_3genE2ELNS1_11target_archE906ELNS1_3gpuE6ELNS1_3repE0EEENS1_30default_config_static_selectorELNS0_4arch9wavefront6targetE1EEEvT1_,@function
_ZN7rocprim17ROCPRIM_400000_NS6detail17trampoline_kernelINS0_14default_configENS1_20scan_config_selectorIfEEZZNS1_9scan_implILNS1_25lookback_scan_determinismE0ELb0ELb0ES3_N6thrust23THRUST_200600_302600_NS6detail15normal_iteratorINS9_10device_ptrIfEEEENSB_INSC_IiEEEEfNS9_4plusIvEEfEEDaPvRmT3_T4_T5_mT6_P12ihipStream_tbENKUlT_T0_E_clISt17integral_constantIbLb0EESW_EEDaSR_SS_EUlSR_E_NS1_11comp_targetILNS1_3genE2ELNS1_11target_archE906ELNS1_3gpuE6ELNS1_3repE0EEENS1_30default_config_static_selectorELNS0_4arch9wavefront6targetE1EEEvT1_: ; @_ZN7rocprim17ROCPRIM_400000_NS6detail17trampoline_kernelINS0_14default_configENS1_20scan_config_selectorIfEEZZNS1_9scan_implILNS1_25lookback_scan_determinismE0ELb0ELb0ES3_N6thrust23THRUST_200600_302600_NS6detail15normal_iteratorINS9_10device_ptrIfEEEENSB_INSC_IiEEEEfNS9_4plusIvEEfEEDaPvRmT3_T4_T5_mT6_P12ihipStream_tbENKUlT_T0_E_clISt17integral_constantIbLb0EESW_EEDaSR_SS_EUlSR_E_NS1_11comp_targetILNS1_3genE2ELNS1_11target_archE906ELNS1_3gpuE6ELNS1_3repE0EEENS1_30default_config_static_selectorELNS0_4arch9wavefront6targetE1EEEvT1_
; %bb.0:
	.section	.rodata,"a",@progbits
	.p2align	6, 0x0
	.amdhsa_kernel _ZN7rocprim17ROCPRIM_400000_NS6detail17trampoline_kernelINS0_14default_configENS1_20scan_config_selectorIfEEZZNS1_9scan_implILNS1_25lookback_scan_determinismE0ELb0ELb0ES3_N6thrust23THRUST_200600_302600_NS6detail15normal_iteratorINS9_10device_ptrIfEEEENSB_INSC_IiEEEEfNS9_4plusIvEEfEEDaPvRmT3_T4_T5_mT6_P12ihipStream_tbENKUlT_T0_E_clISt17integral_constantIbLb0EESW_EEDaSR_SS_EUlSR_E_NS1_11comp_targetILNS1_3genE2ELNS1_11target_archE906ELNS1_3gpuE6ELNS1_3repE0EEENS1_30default_config_static_selectorELNS0_4arch9wavefront6targetE1EEEvT1_
		.amdhsa_group_segment_fixed_size 0
		.amdhsa_private_segment_fixed_size 0
		.amdhsa_kernarg_size 96
		.amdhsa_user_sgpr_count 6
		.amdhsa_user_sgpr_private_segment_buffer 1
		.amdhsa_user_sgpr_dispatch_ptr 0
		.amdhsa_user_sgpr_queue_ptr 0
		.amdhsa_user_sgpr_kernarg_segment_ptr 1
		.amdhsa_user_sgpr_dispatch_id 0
		.amdhsa_user_sgpr_flat_scratch_init 0
		.amdhsa_user_sgpr_kernarg_preload_length 0
		.amdhsa_user_sgpr_kernarg_preload_offset 0
		.amdhsa_user_sgpr_private_segment_size 0
		.amdhsa_uses_dynamic_stack 0
		.amdhsa_system_sgpr_private_segment_wavefront_offset 0
		.amdhsa_system_sgpr_workgroup_id_x 1
		.amdhsa_system_sgpr_workgroup_id_y 0
		.amdhsa_system_sgpr_workgroup_id_z 0
		.amdhsa_system_sgpr_workgroup_info 0
		.amdhsa_system_vgpr_workitem_id 0
		.amdhsa_next_free_vgpr 1
		.amdhsa_next_free_sgpr 0
		.amdhsa_accum_offset 4
		.amdhsa_reserve_vcc 0
		.amdhsa_reserve_flat_scratch 0
		.amdhsa_float_round_mode_32 0
		.amdhsa_float_round_mode_16_64 0
		.amdhsa_float_denorm_mode_32 3
		.amdhsa_float_denorm_mode_16_64 3
		.amdhsa_dx10_clamp 1
		.amdhsa_ieee_mode 1
		.amdhsa_fp16_overflow 0
		.amdhsa_tg_split 0
		.amdhsa_exception_fp_ieee_invalid_op 0
		.amdhsa_exception_fp_denorm_src 0
		.amdhsa_exception_fp_ieee_div_zero 0
		.amdhsa_exception_fp_ieee_overflow 0
		.amdhsa_exception_fp_ieee_underflow 0
		.amdhsa_exception_fp_ieee_inexact 0
		.amdhsa_exception_int_div_zero 0
	.end_amdhsa_kernel
	.section	.text._ZN7rocprim17ROCPRIM_400000_NS6detail17trampoline_kernelINS0_14default_configENS1_20scan_config_selectorIfEEZZNS1_9scan_implILNS1_25lookback_scan_determinismE0ELb0ELb0ES3_N6thrust23THRUST_200600_302600_NS6detail15normal_iteratorINS9_10device_ptrIfEEEENSB_INSC_IiEEEEfNS9_4plusIvEEfEEDaPvRmT3_T4_T5_mT6_P12ihipStream_tbENKUlT_T0_E_clISt17integral_constantIbLb0EESW_EEDaSR_SS_EUlSR_E_NS1_11comp_targetILNS1_3genE2ELNS1_11target_archE906ELNS1_3gpuE6ELNS1_3repE0EEENS1_30default_config_static_selectorELNS0_4arch9wavefront6targetE1EEEvT1_,"axG",@progbits,_ZN7rocprim17ROCPRIM_400000_NS6detail17trampoline_kernelINS0_14default_configENS1_20scan_config_selectorIfEEZZNS1_9scan_implILNS1_25lookback_scan_determinismE0ELb0ELb0ES3_N6thrust23THRUST_200600_302600_NS6detail15normal_iteratorINS9_10device_ptrIfEEEENSB_INSC_IiEEEEfNS9_4plusIvEEfEEDaPvRmT3_T4_T5_mT6_P12ihipStream_tbENKUlT_T0_E_clISt17integral_constantIbLb0EESW_EEDaSR_SS_EUlSR_E_NS1_11comp_targetILNS1_3genE2ELNS1_11target_archE906ELNS1_3gpuE6ELNS1_3repE0EEENS1_30default_config_static_selectorELNS0_4arch9wavefront6targetE1EEEvT1_,comdat
.Lfunc_end1417:
	.size	_ZN7rocprim17ROCPRIM_400000_NS6detail17trampoline_kernelINS0_14default_configENS1_20scan_config_selectorIfEEZZNS1_9scan_implILNS1_25lookback_scan_determinismE0ELb0ELb0ES3_N6thrust23THRUST_200600_302600_NS6detail15normal_iteratorINS9_10device_ptrIfEEEENSB_INSC_IiEEEEfNS9_4plusIvEEfEEDaPvRmT3_T4_T5_mT6_P12ihipStream_tbENKUlT_T0_E_clISt17integral_constantIbLb0EESW_EEDaSR_SS_EUlSR_E_NS1_11comp_targetILNS1_3genE2ELNS1_11target_archE906ELNS1_3gpuE6ELNS1_3repE0EEENS1_30default_config_static_selectorELNS0_4arch9wavefront6targetE1EEEvT1_, .Lfunc_end1417-_ZN7rocprim17ROCPRIM_400000_NS6detail17trampoline_kernelINS0_14default_configENS1_20scan_config_selectorIfEEZZNS1_9scan_implILNS1_25lookback_scan_determinismE0ELb0ELb0ES3_N6thrust23THRUST_200600_302600_NS6detail15normal_iteratorINS9_10device_ptrIfEEEENSB_INSC_IiEEEEfNS9_4plusIvEEfEEDaPvRmT3_T4_T5_mT6_P12ihipStream_tbENKUlT_T0_E_clISt17integral_constantIbLb0EESW_EEDaSR_SS_EUlSR_E_NS1_11comp_targetILNS1_3genE2ELNS1_11target_archE906ELNS1_3gpuE6ELNS1_3repE0EEENS1_30default_config_static_selectorELNS0_4arch9wavefront6targetE1EEEvT1_
                                        ; -- End function
	.section	.AMDGPU.csdata,"",@progbits
; Kernel info:
; codeLenInByte = 0
; NumSgprs: 4
; NumVgprs: 0
; NumAgprs: 0
; TotalNumVgprs: 0
; ScratchSize: 0
; MemoryBound: 0
; FloatMode: 240
; IeeeMode: 1
; LDSByteSize: 0 bytes/workgroup (compile time only)
; SGPRBlocks: 0
; VGPRBlocks: 0
; NumSGPRsForWavesPerEU: 4
; NumVGPRsForWavesPerEU: 1
; AccumOffset: 4
; Occupancy: 8
; WaveLimiterHint : 0
; COMPUTE_PGM_RSRC2:SCRATCH_EN: 0
; COMPUTE_PGM_RSRC2:USER_SGPR: 6
; COMPUTE_PGM_RSRC2:TRAP_HANDLER: 0
; COMPUTE_PGM_RSRC2:TGID_X_EN: 1
; COMPUTE_PGM_RSRC2:TGID_Y_EN: 0
; COMPUTE_PGM_RSRC2:TGID_Z_EN: 0
; COMPUTE_PGM_RSRC2:TIDIG_COMP_CNT: 0
; COMPUTE_PGM_RSRC3_GFX90A:ACCUM_OFFSET: 0
; COMPUTE_PGM_RSRC3_GFX90A:TG_SPLIT: 0
	.section	.text._ZN7rocprim17ROCPRIM_400000_NS6detail17trampoline_kernelINS0_14default_configENS1_20scan_config_selectorIfEEZZNS1_9scan_implILNS1_25lookback_scan_determinismE0ELb0ELb0ES3_N6thrust23THRUST_200600_302600_NS6detail15normal_iteratorINS9_10device_ptrIfEEEENSB_INSC_IiEEEEfNS9_4plusIvEEfEEDaPvRmT3_T4_T5_mT6_P12ihipStream_tbENKUlT_T0_E_clISt17integral_constantIbLb0EESW_EEDaSR_SS_EUlSR_E_NS1_11comp_targetILNS1_3genE10ELNS1_11target_archE1201ELNS1_3gpuE5ELNS1_3repE0EEENS1_30default_config_static_selectorELNS0_4arch9wavefront6targetE1EEEvT1_,"axG",@progbits,_ZN7rocprim17ROCPRIM_400000_NS6detail17trampoline_kernelINS0_14default_configENS1_20scan_config_selectorIfEEZZNS1_9scan_implILNS1_25lookback_scan_determinismE0ELb0ELb0ES3_N6thrust23THRUST_200600_302600_NS6detail15normal_iteratorINS9_10device_ptrIfEEEENSB_INSC_IiEEEEfNS9_4plusIvEEfEEDaPvRmT3_T4_T5_mT6_P12ihipStream_tbENKUlT_T0_E_clISt17integral_constantIbLb0EESW_EEDaSR_SS_EUlSR_E_NS1_11comp_targetILNS1_3genE10ELNS1_11target_archE1201ELNS1_3gpuE5ELNS1_3repE0EEENS1_30default_config_static_selectorELNS0_4arch9wavefront6targetE1EEEvT1_,comdat
	.protected	_ZN7rocprim17ROCPRIM_400000_NS6detail17trampoline_kernelINS0_14default_configENS1_20scan_config_selectorIfEEZZNS1_9scan_implILNS1_25lookback_scan_determinismE0ELb0ELb0ES3_N6thrust23THRUST_200600_302600_NS6detail15normal_iteratorINS9_10device_ptrIfEEEENSB_INSC_IiEEEEfNS9_4plusIvEEfEEDaPvRmT3_T4_T5_mT6_P12ihipStream_tbENKUlT_T0_E_clISt17integral_constantIbLb0EESW_EEDaSR_SS_EUlSR_E_NS1_11comp_targetILNS1_3genE10ELNS1_11target_archE1201ELNS1_3gpuE5ELNS1_3repE0EEENS1_30default_config_static_selectorELNS0_4arch9wavefront6targetE1EEEvT1_ ; -- Begin function _ZN7rocprim17ROCPRIM_400000_NS6detail17trampoline_kernelINS0_14default_configENS1_20scan_config_selectorIfEEZZNS1_9scan_implILNS1_25lookback_scan_determinismE0ELb0ELb0ES3_N6thrust23THRUST_200600_302600_NS6detail15normal_iteratorINS9_10device_ptrIfEEEENSB_INSC_IiEEEEfNS9_4plusIvEEfEEDaPvRmT3_T4_T5_mT6_P12ihipStream_tbENKUlT_T0_E_clISt17integral_constantIbLb0EESW_EEDaSR_SS_EUlSR_E_NS1_11comp_targetILNS1_3genE10ELNS1_11target_archE1201ELNS1_3gpuE5ELNS1_3repE0EEENS1_30default_config_static_selectorELNS0_4arch9wavefront6targetE1EEEvT1_
	.globl	_ZN7rocprim17ROCPRIM_400000_NS6detail17trampoline_kernelINS0_14default_configENS1_20scan_config_selectorIfEEZZNS1_9scan_implILNS1_25lookback_scan_determinismE0ELb0ELb0ES3_N6thrust23THRUST_200600_302600_NS6detail15normal_iteratorINS9_10device_ptrIfEEEENSB_INSC_IiEEEEfNS9_4plusIvEEfEEDaPvRmT3_T4_T5_mT6_P12ihipStream_tbENKUlT_T0_E_clISt17integral_constantIbLb0EESW_EEDaSR_SS_EUlSR_E_NS1_11comp_targetILNS1_3genE10ELNS1_11target_archE1201ELNS1_3gpuE5ELNS1_3repE0EEENS1_30default_config_static_selectorELNS0_4arch9wavefront6targetE1EEEvT1_
	.p2align	8
	.type	_ZN7rocprim17ROCPRIM_400000_NS6detail17trampoline_kernelINS0_14default_configENS1_20scan_config_selectorIfEEZZNS1_9scan_implILNS1_25lookback_scan_determinismE0ELb0ELb0ES3_N6thrust23THRUST_200600_302600_NS6detail15normal_iteratorINS9_10device_ptrIfEEEENSB_INSC_IiEEEEfNS9_4plusIvEEfEEDaPvRmT3_T4_T5_mT6_P12ihipStream_tbENKUlT_T0_E_clISt17integral_constantIbLb0EESW_EEDaSR_SS_EUlSR_E_NS1_11comp_targetILNS1_3genE10ELNS1_11target_archE1201ELNS1_3gpuE5ELNS1_3repE0EEENS1_30default_config_static_selectorELNS0_4arch9wavefront6targetE1EEEvT1_,@function
_ZN7rocprim17ROCPRIM_400000_NS6detail17trampoline_kernelINS0_14default_configENS1_20scan_config_selectorIfEEZZNS1_9scan_implILNS1_25lookback_scan_determinismE0ELb0ELb0ES3_N6thrust23THRUST_200600_302600_NS6detail15normal_iteratorINS9_10device_ptrIfEEEENSB_INSC_IiEEEEfNS9_4plusIvEEfEEDaPvRmT3_T4_T5_mT6_P12ihipStream_tbENKUlT_T0_E_clISt17integral_constantIbLb0EESW_EEDaSR_SS_EUlSR_E_NS1_11comp_targetILNS1_3genE10ELNS1_11target_archE1201ELNS1_3gpuE5ELNS1_3repE0EEENS1_30default_config_static_selectorELNS0_4arch9wavefront6targetE1EEEvT1_: ; @_ZN7rocprim17ROCPRIM_400000_NS6detail17trampoline_kernelINS0_14default_configENS1_20scan_config_selectorIfEEZZNS1_9scan_implILNS1_25lookback_scan_determinismE0ELb0ELb0ES3_N6thrust23THRUST_200600_302600_NS6detail15normal_iteratorINS9_10device_ptrIfEEEENSB_INSC_IiEEEEfNS9_4plusIvEEfEEDaPvRmT3_T4_T5_mT6_P12ihipStream_tbENKUlT_T0_E_clISt17integral_constantIbLb0EESW_EEDaSR_SS_EUlSR_E_NS1_11comp_targetILNS1_3genE10ELNS1_11target_archE1201ELNS1_3gpuE5ELNS1_3repE0EEENS1_30default_config_static_selectorELNS0_4arch9wavefront6targetE1EEEvT1_
; %bb.0:
	.section	.rodata,"a",@progbits
	.p2align	6, 0x0
	.amdhsa_kernel _ZN7rocprim17ROCPRIM_400000_NS6detail17trampoline_kernelINS0_14default_configENS1_20scan_config_selectorIfEEZZNS1_9scan_implILNS1_25lookback_scan_determinismE0ELb0ELb0ES3_N6thrust23THRUST_200600_302600_NS6detail15normal_iteratorINS9_10device_ptrIfEEEENSB_INSC_IiEEEEfNS9_4plusIvEEfEEDaPvRmT3_T4_T5_mT6_P12ihipStream_tbENKUlT_T0_E_clISt17integral_constantIbLb0EESW_EEDaSR_SS_EUlSR_E_NS1_11comp_targetILNS1_3genE10ELNS1_11target_archE1201ELNS1_3gpuE5ELNS1_3repE0EEENS1_30default_config_static_selectorELNS0_4arch9wavefront6targetE1EEEvT1_
		.amdhsa_group_segment_fixed_size 0
		.amdhsa_private_segment_fixed_size 0
		.amdhsa_kernarg_size 96
		.amdhsa_user_sgpr_count 6
		.amdhsa_user_sgpr_private_segment_buffer 1
		.amdhsa_user_sgpr_dispatch_ptr 0
		.amdhsa_user_sgpr_queue_ptr 0
		.amdhsa_user_sgpr_kernarg_segment_ptr 1
		.amdhsa_user_sgpr_dispatch_id 0
		.amdhsa_user_sgpr_flat_scratch_init 0
		.amdhsa_user_sgpr_kernarg_preload_length 0
		.amdhsa_user_sgpr_kernarg_preload_offset 0
		.amdhsa_user_sgpr_private_segment_size 0
		.amdhsa_uses_dynamic_stack 0
		.amdhsa_system_sgpr_private_segment_wavefront_offset 0
		.amdhsa_system_sgpr_workgroup_id_x 1
		.amdhsa_system_sgpr_workgroup_id_y 0
		.amdhsa_system_sgpr_workgroup_id_z 0
		.amdhsa_system_sgpr_workgroup_info 0
		.amdhsa_system_vgpr_workitem_id 0
		.amdhsa_next_free_vgpr 1
		.amdhsa_next_free_sgpr 0
		.amdhsa_accum_offset 4
		.amdhsa_reserve_vcc 0
		.amdhsa_reserve_flat_scratch 0
		.amdhsa_float_round_mode_32 0
		.amdhsa_float_round_mode_16_64 0
		.amdhsa_float_denorm_mode_32 3
		.amdhsa_float_denorm_mode_16_64 3
		.amdhsa_dx10_clamp 1
		.amdhsa_ieee_mode 1
		.amdhsa_fp16_overflow 0
		.amdhsa_tg_split 0
		.amdhsa_exception_fp_ieee_invalid_op 0
		.amdhsa_exception_fp_denorm_src 0
		.amdhsa_exception_fp_ieee_div_zero 0
		.amdhsa_exception_fp_ieee_overflow 0
		.amdhsa_exception_fp_ieee_underflow 0
		.amdhsa_exception_fp_ieee_inexact 0
		.amdhsa_exception_int_div_zero 0
	.end_amdhsa_kernel
	.section	.text._ZN7rocprim17ROCPRIM_400000_NS6detail17trampoline_kernelINS0_14default_configENS1_20scan_config_selectorIfEEZZNS1_9scan_implILNS1_25lookback_scan_determinismE0ELb0ELb0ES3_N6thrust23THRUST_200600_302600_NS6detail15normal_iteratorINS9_10device_ptrIfEEEENSB_INSC_IiEEEEfNS9_4plusIvEEfEEDaPvRmT3_T4_T5_mT6_P12ihipStream_tbENKUlT_T0_E_clISt17integral_constantIbLb0EESW_EEDaSR_SS_EUlSR_E_NS1_11comp_targetILNS1_3genE10ELNS1_11target_archE1201ELNS1_3gpuE5ELNS1_3repE0EEENS1_30default_config_static_selectorELNS0_4arch9wavefront6targetE1EEEvT1_,"axG",@progbits,_ZN7rocprim17ROCPRIM_400000_NS6detail17trampoline_kernelINS0_14default_configENS1_20scan_config_selectorIfEEZZNS1_9scan_implILNS1_25lookback_scan_determinismE0ELb0ELb0ES3_N6thrust23THRUST_200600_302600_NS6detail15normal_iteratorINS9_10device_ptrIfEEEENSB_INSC_IiEEEEfNS9_4plusIvEEfEEDaPvRmT3_T4_T5_mT6_P12ihipStream_tbENKUlT_T0_E_clISt17integral_constantIbLb0EESW_EEDaSR_SS_EUlSR_E_NS1_11comp_targetILNS1_3genE10ELNS1_11target_archE1201ELNS1_3gpuE5ELNS1_3repE0EEENS1_30default_config_static_selectorELNS0_4arch9wavefront6targetE1EEEvT1_,comdat
.Lfunc_end1418:
	.size	_ZN7rocprim17ROCPRIM_400000_NS6detail17trampoline_kernelINS0_14default_configENS1_20scan_config_selectorIfEEZZNS1_9scan_implILNS1_25lookback_scan_determinismE0ELb0ELb0ES3_N6thrust23THRUST_200600_302600_NS6detail15normal_iteratorINS9_10device_ptrIfEEEENSB_INSC_IiEEEEfNS9_4plusIvEEfEEDaPvRmT3_T4_T5_mT6_P12ihipStream_tbENKUlT_T0_E_clISt17integral_constantIbLb0EESW_EEDaSR_SS_EUlSR_E_NS1_11comp_targetILNS1_3genE10ELNS1_11target_archE1201ELNS1_3gpuE5ELNS1_3repE0EEENS1_30default_config_static_selectorELNS0_4arch9wavefront6targetE1EEEvT1_, .Lfunc_end1418-_ZN7rocprim17ROCPRIM_400000_NS6detail17trampoline_kernelINS0_14default_configENS1_20scan_config_selectorIfEEZZNS1_9scan_implILNS1_25lookback_scan_determinismE0ELb0ELb0ES3_N6thrust23THRUST_200600_302600_NS6detail15normal_iteratorINS9_10device_ptrIfEEEENSB_INSC_IiEEEEfNS9_4plusIvEEfEEDaPvRmT3_T4_T5_mT6_P12ihipStream_tbENKUlT_T0_E_clISt17integral_constantIbLb0EESW_EEDaSR_SS_EUlSR_E_NS1_11comp_targetILNS1_3genE10ELNS1_11target_archE1201ELNS1_3gpuE5ELNS1_3repE0EEENS1_30default_config_static_selectorELNS0_4arch9wavefront6targetE1EEEvT1_
                                        ; -- End function
	.section	.AMDGPU.csdata,"",@progbits
; Kernel info:
; codeLenInByte = 0
; NumSgprs: 4
; NumVgprs: 0
; NumAgprs: 0
; TotalNumVgprs: 0
; ScratchSize: 0
; MemoryBound: 0
; FloatMode: 240
; IeeeMode: 1
; LDSByteSize: 0 bytes/workgroup (compile time only)
; SGPRBlocks: 0
; VGPRBlocks: 0
; NumSGPRsForWavesPerEU: 4
; NumVGPRsForWavesPerEU: 1
; AccumOffset: 4
; Occupancy: 8
; WaveLimiterHint : 0
; COMPUTE_PGM_RSRC2:SCRATCH_EN: 0
; COMPUTE_PGM_RSRC2:USER_SGPR: 6
; COMPUTE_PGM_RSRC2:TRAP_HANDLER: 0
; COMPUTE_PGM_RSRC2:TGID_X_EN: 1
; COMPUTE_PGM_RSRC2:TGID_Y_EN: 0
; COMPUTE_PGM_RSRC2:TGID_Z_EN: 0
; COMPUTE_PGM_RSRC2:TIDIG_COMP_CNT: 0
; COMPUTE_PGM_RSRC3_GFX90A:ACCUM_OFFSET: 0
; COMPUTE_PGM_RSRC3_GFX90A:TG_SPLIT: 0
	.section	.text._ZN7rocprim17ROCPRIM_400000_NS6detail17trampoline_kernelINS0_14default_configENS1_20scan_config_selectorIfEEZZNS1_9scan_implILNS1_25lookback_scan_determinismE0ELb0ELb0ES3_N6thrust23THRUST_200600_302600_NS6detail15normal_iteratorINS9_10device_ptrIfEEEENSB_INSC_IiEEEEfNS9_4plusIvEEfEEDaPvRmT3_T4_T5_mT6_P12ihipStream_tbENKUlT_T0_E_clISt17integral_constantIbLb0EESW_EEDaSR_SS_EUlSR_E_NS1_11comp_targetILNS1_3genE10ELNS1_11target_archE1200ELNS1_3gpuE4ELNS1_3repE0EEENS1_30default_config_static_selectorELNS0_4arch9wavefront6targetE1EEEvT1_,"axG",@progbits,_ZN7rocprim17ROCPRIM_400000_NS6detail17trampoline_kernelINS0_14default_configENS1_20scan_config_selectorIfEEZZNS1_9scan_implILNS1_25lookback_scan_determinismE0ELb0ELb0ES3_N6thrust23THRUST_200600_302600_NS6detail15normal_iteratorINS9_10device_ptrIfEEEENSB_INSC_IiEEEEfNS9_4plusIvEEfEEDaPvRmT3_T4_T5_mT6_P12ihipStream_tbENKUlT_T0_E_clISt17integral_constantIbLb0EESW_EEDaSR_SS_EUlSR_E_NS1_11comp_targetILNS1_3genE10ELNS1_11target_archE1200ELNS1_3gpuE4ELNS1_3repE0EEENS1_30default_config_static_selectorELNS0_4arch9wavefront6targetE1EEEvT1_,comdat
	.protected	_ZN7rocprim17ROCPRIM_400000_NS6detail17trampoline_kernelINS0_14default_configENS1_20scan_config_selectorIfEEZZNS1_9scan_implILNS1_25lookback_scan_determinismE0ELb0ELb0ES3_N6thrust23THRUST_200600_302600_NS6detail15normal_iteratorINS9_10device_ptrIfEEEENSB_INSC_IiEEEEfNS9_4plusIvEEfEEDaPvRmT3_T4_T5_mT6_P12ihipStream_tbENKUlT_T0_E_clISt17integral_constantIbLb0EESW_EEDaSR_SS_EUlSR_E_NS1_11comp_targetILNS1_3genE10ELNS1_11target_archE1200ELNS1_3gpuE4ELNS1_3repE0EEENS1_30default_config_static_selectorELNS0_4arch9wavefront6targetE1EEEvT1_ ; -- Begin function _ZN7rocprim17ROCPRIM_400000_NS6detail17trampoline_kernelINS0_14default_configENS1_20scan_config_selectorIfEEZZNS1_9scan_implILNS1_25lookback_scan_determinismE0ELb0ELb0ES3_N6thrust23THRUST_200600_302600_NS6detail15normal_iteratorINS9_10device_ptrIfEEEENSB_INSC_IiEEEEfNS9_4plusIvEEfEEDaPvRmT3_T4_T5_mT6_P12ihipStream_tbENKUlT_T0_E_clISt17integral_constantIbLb0EESW_EEDaSR_SS_EUlSR_E_NS1_11comp_targetILNS1_3genE10ELNS1_11target_archE1200ELNS1_3gpuE4ELNS1_3repE0EEENS1_30default_config_static_selectorELNS0_4arch9wavefront6targetE1EEEvT1_
	.globl	_ZN7rocprim17ROCPRIM_400000_NS6detail17trampoline_kernelINS0_14default_configENS1_20scan_config_selectorIfEEZZNS1_9scan_implILNS1_25lookback_scan_determinismE0ELb0ELb0ES3_N6thrust23THRUST_200600_302600_NS6detail15normal_iteratorINS9_10device_ptrIfEEEENSB_INSC_IiEEEEfNS9_4plusIvEEfEEDaPvRmT3_T4_T5_mT6_P12ihipStream_tbENKUlT_T0_E_clISt17integral_constantIbLb0EESW_EEDaSR_SS_EUlSR_E_NS1_11comp_targetILNS1_3genE10ELNS1_11target_archE1200ELNS1_3gpuE4ELNS1_3repE0EEENS1_30default_config_static_selectorELNS0_4arch9wavefront6targetE1EEEvT1_
	.p2align	8
	.type	_ZN7rocprim17ROCPRIM_400000_NS6detail17trampoline_kernelINS0_14default_configENS1_20scan_config_selectorIfEEZZNS1_9scan_implILNS1_25lookback_scan_determinismE0ELb0ELb0ES3_N6thrust23THRUST_200600_302600_NS6detail15normal_iteratorINS9_10device_ptrIfEEEENSB_INSC_IiEEEEfNS9_4plusIvEEfEEDaPvRmT3_T4_T5_mT6_P12ihipStream_tbENKUlT_T0_E_clISt17integral_constantIbLb0EESW_EEDaSR_SS_EUlSR_E_NS1_11comp_targetILNS1_3genE10ELNS1_11target_archE1200ELNS1_3gpuE4ELNS1_3repE0EEENS1_30default_config_static_selectorELNS0_4arch9wavefront6targetE1EEEvT1_,@function
_ZN7rocprim17ROCPRIM_400000_NS6detail17trampoline_kernelINS0_14default_configENS1_20scan_config_selectorIfEEZZNS1_9scan_implILNS1_25lookback_scan_determinismE0ELb0ELb0ES3_N6thrust23THRUST_200600_302600_NS6detail15normal_iteratorINS9_10device_ptrIfEEEENSB_INSC_IiEEEEfNS9_4plusIvEEfEEDaPvRmT3_T4_T5_mT6_P12ihipStream_tbENKUlT_T0_E_clISt17integral_constantIbLb0EESW_EEDaSR_SS_EUlSR_E_NS1_11comp_targetILNS1_3genE10ELNS1_11target_archE1200ELNS1_3gpuE4ELNS1_3repE0EEENS1_30default_config_static_selectorELNS0_4arch9wavefront6targetE1EEEvT1_: ; @_ZN7rocprim17ROCPRIM_400000_NS6detail17trampoline_kernelINS0_14default_configENS1_20scan_config_selectorIfEEZZNS1_9scan_implILNS1_25lookback_scan_determinismE0ELb0ELb0ES3_N6thrust23THRUST_200600_302600_NS6detail15normal_iteratorINS9_10device_ptrIfEEEENSB_INSC_IiEEEEfNS9_4plusIvEEfEEDaPvRmT3_T4_T5_mT6_P12ihipStream_tbENKUlT_T0_E_clISt17integral_constantIbLb0EESW_EEDaSR_SS_EUlSR_E_NS1_11comp_targetILNS1_3genE10ELNS1_11target_archE1200ELNS1_3gpuE4ELNS1_3repE0EEENS1_30default_config_static_selectorELNS0_4arch9wavefront6targetE1EEEvT1_
; %bb.0:
	.section	.rodata,"a",@progbits
	.p2align	6, 0x0
	.amdhsa_kernel _ZN7rocprim17ROCPRIM_400000_NS6detail17trampoline_kernelINS0_14default_configENS1_20scan_config_selectorIfEEZZNS1_9scan_implILNS1_25lookback_scan_determinismE0ELb0ELb0ES3_N6thrust23THRUST_200600_302600_NS6detail15normal_iteratorINS9_10device_ptrIfEEEENSB_INSC_IiEEEEfNS9_4plusIvEEfEEDaPvRmT3_T4_T5_mT6_P12ihipStream_tbENKUlT_T0_E_clISt17integral_constantIbLb0EESW_EEDaSR_SS_EUlSR_E_NS1_11comp_targetILNS1_3genE10ELNS1_11target_archE1200ELNS1_3gpuE4ELNS1_3repE0EEENS1_30default_config_static_selectorELNS0_4arch9wavefront6targetE1EEEvT1_
		.amdhsa_group_segment_fixed_size 0
		.amdhsa_private_segment_fixed_size 0
		.amdhsa_kernarg_size 96
		.amdhsa_user_sgpr_count 6
		.amdhsa_user_sgpr_private_segment_buffer 1
		.amdhsa_user_sgpr_dispatch_ptr 0
		.amdhsa_user_sgpr_queue_ptr 0
		.amdhsa_user_sgpr_kernarg_segment_ptr 1
		.amdhsa_user_sgpr_dispatch_id 0
		.amdhsa_user_sgpr_flat_scratch_init 0
		.amdhsa_user_sgpr_kernarg_preload_length 0
		.amdhsa_user_sgpr_kernarg_preload_offset 0
		.amdhsa_user_sgpr_private_segment_size 0
		.amdhsa_uses_dynamic_stack 0
		.amdhsa_system_sgpr_private_segment_wavefront_offset 0
		.amdhsa_system_sgpr_workgroup_id_x 1
		.amdhsa_system_sgpr_workgroup_id_y 0
		.amdhsa_system_sgpr_workgroup_id_z 0
		.amdhsa_system_sgpr_workgroup_info 0
		.amdhsa_system_vgpr_workitem_id 0
		.amdhsa_next_free_vgpr 1
		.amdhsa_next_free_sgpr 0
		.amdhsa_accum_offset 4
		.amdhsa_reserve_vcc 0
		.amdhsa_reserve_flat_scratch 0
		.amdhsa_float_round_mode_32 0
		.amdhsa_float_round_mode_16_64 0
		.amdhsa_float_denorm_mode_32 3
		.amdhsa_float_denorm_mode_16_64 3
		.amdhsa_dx10_clamp 1
		.amdhsa_ieee_mode 1
		.amdhsa_fp16_overflow 0
		.amdhsa_tg_split 0
		.amdhsa_exception_fp_ieee_invalid_op 0
		.amdhsa_exception_fp_denorm_src 0
		.amdhsa_exception_fp_ieee_div_zero 0
		.amdhsa_exception_fp_ieee_overflow 0
		.amdhsa_exception_fp_ieee_underflow 0
		.amdhsa_exception_fp_ieee_inexact 0
		.amdhsa_exception_int_div_zero 0
	.end_amdhsa_kernel
	.section	.text._ZN7rocprim17ROCPRIM_400000_NS6detail17trampoline_kernelINS0_14default_configENS1_20scan_config_selectorIfEEZZNS1_9scan_implILNS1_25lookback_scan_determinismE0ELb0ELb0ES3_N6thrust23THRUST_200600_302600_NS6detail15normal_iteratorINS9_10device_ptrIfEEEENSB_INSC_IiEEEEfNS9_4plusIvEEfEEDaPvRmT3_T4_T5_mT6_P12ihipStream_tbENKUlT_T0_E_clISt17integral_constantIbLb0EESW_EEDaSR_SS_EUlSR_E_NS1_11comp_targetILNS1_3genE10ELNS1_11target_archE1200ELNS1_3gpuE4ELNS1_3repE0EEENS1_30default_config_static_selectorELNS0_4arch9wavefront6targetE1EEEvT1_,"axG",@progbits,_ZN7rocprim17ROCPRIM_400000_NS6detail17trampoline_kernelINS0_14default_configENS1_20scan_config_selectorIfEEZZNS1_9scan_implILNS1_25lookback_scan_determinismE0ELb0ELb0ES3_N6thrust23THRUST_200600_302600_NS6detail15normal_iteratorINS9_10device_ptrIfEEEENSB_INSC_IiEEEEfNS9_4plusIvEEfEEDaPvRmT3_T4_T5_mT6_P12ihipStream_tbENKUlT_T0_E_clISt17integral_constantIbLb0EESW_EEDaSR_SS_EUlSR_E_NS1_11comp_targetILNS1_3genE10ELNS1_11target_archE1200ELNS1_3gpuE4ELNS1_3repE0EEENS1_30default_config_static_selectorELNS0_4arch9wavefront6targetE1EEEvT1_,comdat
.Lfunc_end1419:
	.size	_ZN7rocprim17ROCPRIM_400000_NS6detail17trampoline_kernelINS0_14default_configENS1_20scan_config_selectorIfEEZZNS1_9scan_implILNS1_25lookback_scan_determinismE0ELb0ELb0ES3_N6thrust23THRUST_200600_302600_NS6detail15normal_iteratorINS9_10device_ptrIfEEEENSB_INSC_IiEEEEfNS9_4plusIvEEfEEDaPvRmT3_T4_T5_mT6_P12ihipStream_tbENKUlT_T0_E_clISt17integral_constantIbLb0EESW_EEDaSR_SS_EUlSR_E_NS1_11comp_targetILNS1_3genE10ELNS1_11target_archE1200ELNS1_3gpuE4ELNS1_3repE0EEENS1_30default_config_static_selectorELNS0_4arch9wavefront6targetE1EEEvT1_, .Lfunc_end1419-_ZN7rocprim17ROCPRIM_400000_NS6detail17trampoline_kernelINS0_14default_configENS1_20scan_config_selectorIfEEZZNS1_9scan_implILNS1_25lookback_scan_determinismE0ELb0ELb0ES3_N6thrust23THRUST_200600_302600_NS6detail15normal_iteratorINS9_10device_ptrIfEEEENSB_INSC_IiEEEEfNS9_4plusIvEEfEEDaPvRmT3_T4_T5_mT6_P12ihipStream_tbENKUlT_T0_E_clISt17integral_constantIbLb0EESW_EEDaSR_SS_EUlSR_E_NS1_11comp_targetILNS1_3genE10ELNS1_11target_archE1200ELNS1_3gpuE4ELNS1_3repE0EEENS1_30default_config_static_selectorELNS0_4arch9wavefront6targetE1EEEvT1_
                                        ; -- End function
	.section	.AMDGPU.csdata,"",@progbits
; Kernel info:
; codeLenInByte = 0
; NumSgprs: 4
; NumVgprs: 0
; NumAgprs: 0
; TotalNumVgprs: 0
; ScratchSize: 0
; MemoryBound: 0
; FloatMode: 240
; IeeeMode: 1
; LDSByteSize: 0 bytes/workgroup (compile time only)
; SGPRBlocks: 0
; VGPRBlocks: 0
; NumSGPRsForWavesPerEU: 4
; NumVGPRsForWavesPerEU: 1
; AccumOffset: 4
; Occupancy: 8
; WaveLimiterHint : 0
; COMPUTE_PGM_RSRC2:SCRATCH_EN: 0
; COMPUTE_PGM_RSRC2:USER_SGPR: 6
; COMPUTE_PGM_RSRC2:TRAP_HANDLER: 0
; COMPUTE_PGM_RSRC2:TGID_X_EN: 1
; COMPUTE_PGM_RSRC2:TGID_Y_EN: 0
; COMPUTE_PGM_RSRC2:TGID_Z_EN: 0
; COMPUTE_PGM_RSRC2:TIDIG_COMP_CNT: 0
; COMPUTE_PGM_RSRC3_GFX90A:ACCUM_OFFSET: 0
; COMPUTE_PGM_RSRC3_GFX90A:TG_SPLIT: 0
	.section	.text._ZN7rocprim17ROCPRIM_400000_NS6detail17trampoline_kernelINS0_14default_configENS1_20scan_config_selectorIfEEZZNS1_9scan_implILNS1_25lookback_scan_determinismE0ELb0ELb0ES3_N6thrust23THRUST_200600_302600_NS6detail15normal_iteratorINS9_10device_ptrIfEEEENSB_INSC_IiEEEEfNS9_4plusIvEEfEEDaPvRmT3_T4_T5_mT6_P12ihipStream_tbENKUlT_T0_E_clISt17integral_constantIbLb0EESW_EEDaSR_SS_EUlSR_E_NS1_11comp_targetILNS1_3genE9ELNS1_11target_archE1100ELNS1_3gpuE3ELNS1_3repE0EEENS1_30default_config_static_selectorELNS0_4arch9wavefront6targetE1EEEvT1_,"axG",@progbits,_ZN7rocprim17ROCPRIM_400000_NS6detail17trampoline_kernelINS0_14default_configENS1_20scan_config_selectorIfEEZZNS1_9scan_implILNS1_25lookback_scan_determinismE0ELb0ELb0ES3_N6thrust23THRUST_200600_302600_NS6detail15normal_iteratorINS9_10device_ptrIfEEEENSB_INSC_IiEEEEfNS9_4plusIvEEfEEDaPvRmT3_T4_T5_mT6_P12ihipStream_tbENKUlT_T0_E_clISt17integral_constantIbLb0EESW_EEDaSR_SS_EUlSR_E_NS1_11comp_targetILNS1_3genE9ELNS1_11target_archE1100ELNS1_3gpuE3ELNS1_3repE0EEENS1_30default_config_static_selectorELNS0_4arch9wavefront6targetE1EEEvT1_,comdat
	.protected	_ZN7rocprim17ROCPRIM_400000_NS6detail17trampoline_kernelINS0_14default_configENS1_20scan_config_selectorIfEEZZNS1_9scan_implILNS1_25lookback_scan_determinismE0ELb0ELb0ES3_N6thrust23THRUST_200600_302600_NS6detail15normal_iteratorINS9_10device_ptrIfEEEENSB_INSC_IiEEEEfNS9_4plusIvEEfEEDaPvRmT3_T4_T5_mT6_P12ihipStream_tbENKUlT_T0_E_clISt17integral_constantIbLb0EESW_EEDaSR_SS_EUlSR_E_NS1_11comp_targetILNS1_3genE9ELNS1_11target_archE1100ELNS1_3gpuE3ELNS1_3repE0EEENS1_30default_config_static_selectorELNS0_4arch9wavefront6targetE1EEEvT1_ ; -- Begin function _ZN7rocprim17ROCPRIM_400000_NS6detail17trampoline_kernelINS0_14default_configENS1_20scan_config_selectorIfEEZZNS1_9scan_implILNS1_25lookback_scan_determinismE0ELb0ELb0ES3_N6thrust23THRUST_200600_302600_NS6detail15normal_iteratorINS9_10device_ptrIfEEEENSB_INSC_IiEEEEfNS9_4plusIvEEfEEDaPvRmT3_T4_T5_mT6_P12ihipStream_tbENKUlT_T0_E_clISt17integral_constantIbLb0EESW_EEDaSR_SS_EUlSR_E_NS1_11comp_targetILNS1_3genE9ELNS1_11target_archE1100ELNS1_3gpuE3ELNS1_3repE0EEENS1_30default_config_static_selectorELNS0_4arch9wavefront6targetE1EEEvT1_
	.globl	_ZN7rocprim17ROCPRIM_400000_NS6detail17trampoline_kernelINS0_14default_configENS1_20scan_config_selectorIfEEZZNS1_9scan_implILNS1_25lookback_scan_determinismE0ELb0ELb0ES3_N6thrust23THRUST_200600_302600_NS6detail15normal_iteratorINS9_10device_ptrIfEEEENSB_INSC_IiEEEEfNS9_4plusIvEEfEEDaPvRmT3_T4_T5_mT6_P12ihipStream_tbENKUlT_T0_E_clISt17integral_constantIbLb0EESW_EEDaSR_SS_EUlSR_E_NS1_11comp_targetILNS1_3genE9ELNS1_11target_archE1100ELNS1_3gpuE3ELNS1_3repE0EEENS1_30default_config_static_selectorELNS0_4arch9wavefront6targetE1EEEvT1_
	.p2align	8
	.type	_ZN7rocprim17ROCPRIM_400000_NS6detail17trampoline_kernelINS0_14default_configENS1_20scan_config_selectorIfEEZZNS1_9scan_implILNS1_25lookback_scan_determinismE0ELb0ELb0ES3_N6thrust23THRUST_200600_302600_NS6detail15normal_iteratorINS9_10device_ptrIfEEEENSB_INSC_IiEEEEfNS9_4plusIvEEfEEDaPvRmT3_T4_T5_mT6_P12ihipStream_tbENKUlT_T0_E_clISt17integral_constantIbLb0EESW_EEDaSR_SS_EUlSR_E_NS1_11comp_targetILNS1_3genE9ELNS1_11target_archE1100ELNS1_3gpuE3ELNS1_3repE0EEENS1_30default_config_static_selectorELNS0_4arch9wavefront6targetE1EEEvT1_,@function
_ZN7rocprim17ROCPRIM_400000_NS6detail17trampoline_kernelINS0_14default_configENS1_20scan_config_selectorIfEEZZNS1_9scan_implILNS1_25lookback_scan_determinismE0ELb0ELb0ES3_N6thrust23THRUST_200600_302600_NS6detail15normal_iteratorINS9_10device_ptrIfEEEENSB_INSC_IiEEEEfNS9_4plusIvEEfEEDaPvRmT3_T4_T5_mT6_P12ihipStream_tbENKUlT_T0_E_clISt17integral_constantIbLb0EESW_EEDaSR_SS_EUlSR_E_NS1_11comp_targetILNS1_3genE9ELNS1_11target_archE1100ELNS1_3gpuE3ELNS1_3repE0EEENS1_30default_config_static_selectorELNS0_4arch9wavefront6targetE1EEEvT1_: ; @_ZN7rocprim17ROCPRIM_400000_NS6detail17trampoline_kernelINS0_14default_configENS1_20scan_config_selectorIfEEZZNS1_9scan_implILNS1_25lookback_scan_determinismE0ELb0ELb0ES3_N6thrust23THRUST_200600_302600_NS6detail15normal_iteratorINS9_10device_ptrIfEEEENSB_INSC_IiEEEEfNS9_4plusIvEEfEEDaPvRmT3_T4_T5_mT6_P12ihipStream_tbENKUlT_T0_E_clISt17integral_constantIbLb0EESW_EEDaSR_SS_EUlSR_E_NS1_11comp_targetILNS1_3genE9ELNS1_11target_archE1100ELNS1_3gpuE3ELNS1_3repE0EEENS1_30default_config_static_selectorELNS0_4arch9wavefront6targetE1EEEvT1_
; %bb.0:
	.section	.rodata,"a",@progbits
	.p2align	6, 0x0
	.amdhsa_kernel _ZN7rocprim17ROCPRIM_400000_NS6detail17trampoline_kernelINS0_14default_configENS1_20scan_config_selectorIfEEZZNS1_9scan_implILNS1_25lookback_scan_determinismE0ELb0ELb0ES3_N6thrust23THRUST_200600_302600_NS6detail15normal_iteratorINS9_10device_ptrIfEEEENSB_INSC_IiEEEEfNS9_4plusIvEEfEEDaPvRmT3_T4_T5_mT6_P12ihipStream_tbENKUlT_T0_E_clISt17integral_constantIbLb0EESW_EEDaSR_SS_EUlSR_E_NS1_11comp_targetILNS1_3genE9ELNS1_11target_archE1100ELNS1_3gpuE3ELNS1_3repE0EEENS1_30default_config_static_selectorELNS0_4arch9wavefront6targetE1EEEvT1_
		.amdhsa_group_segment_fixed_size 0
		.amdhsa_private_segment_fixed_size 0
		.amdhsa_kernarg_size 96
		.amdhsa_user_sgpr_count 6
		.amdhsa_user_sgpr_private_segment_buffer 1
		.amdhsa_user_sgpr_dispatch_ptr 0
		.amdhsa_user_sgpr_queue_ptr 0
		.amdhsa_user_sgpr_kernarg_segment_ptr 1
		.amdhsa_user_sgpr_dispatch_id 0
		.amdhsa_user_sgpr_flat_scratch_init 0
		.amdhsa_user_sgpr_kernarg_preload_length 0
		.amdhsa_user_sgpr_kernarg_preload_offset 0
		.amdhsa_user_sgpr_private_segment_size 0
		.amdhsa_uses_dynamic_stack 0
		.amdhsa_system_sgpr_private_segment_wavefront_offset 0
		.amdhsa_system_sgpr_workgroup_id_x 1
		.amdhsa_system_sgpr_workgroup_id_y 0
		.amdhsa_system_sgpr_workgroup_id_z 0
		.amdhsa_system_sgpr_workgroup_info 0
		.amdhsa_system_vgpr_workitem_id 0
		.amdhsa_next_free_vgpr 1
		.amdhsa_next_free_sgpr 0
		.amdhsa_accum_offset 4
		.amdhsa_reserve_vcc 0
		.amdhsa_reserve_flat_scratch 0
		.amdhsa_float_round_mode_32 0
		.amdhsa_float_round_mode_16_64 0
		.amdhsa_float_denorm_mode_32 3
		.amdhsa_float_denorm_mode_16_64 3
		.amdhsa_dx10_clamp 1
		.amdhsa_ieee_mode 1
		.amdhsa_fp16_overflow 0
		.amdhsa_tg_split 0
		.amdhsa_exception_fp_ieee_invalid_op 0
		.amdhsa_exception_fp_denorm_src 0
		.amdhsa_exception_fp_ieee_div_zero 0
		.amdhsa_exception_fp_ieee_overflow 0
		.amdhsa_exception_fp_ieee_underflow 0
		.amdhsa_exception_fp_ieee_inexact 0
		.amdhsa_exception_int_div_zero 0
	.end_amdhsa_kernel
	.section	.text._ZN7rocprim17ROCPRIM_400000_NS6detail17trampoline_kernelINS0_14default_configENS1_20scan_config_selectorIfEEZZNS1_9scan_implILNS1_25lookback_scan_determinismE0ELb0ELb0ES3_N6thrust23THRUST_200600_302600_NS6detail15normal_iteratorINS9_10device_ptrIfEEEENSB_INSC_IiEEEEfNS9_4plusIvEEfEEDaPvRmT3_T4_T5_mT6_P12ihipStream_tbENKUlT_T0_E_clISt17integral_constantIbLb0EESW_EEDaSR_SS_EUlSR_E_NS1_11comp_targetILNS1_3genE9ELNS1_11target_archE1100ELNS1_3gpuE3ELNS1_3repE0EEENS1_30default_config_static_selectorELNS0_4arch9wavefront6targetE1EEEvT1_,"axG",@progbits,_ZN7rocprim17ROCPRIM_400000_NS6detail17trampoline_kernelINS0_14default_configENS1_20scan_config_selectorIfEEZZNS1_9scan_implILNS1_25lookback_scan_determinismE0ELb0ELb0ES3_N6thrust23THRUST_200600_302600_NS6detail15normal_iteratorINS9_10device_ptrIfEEEENSB_INSC_IiEEEEfNS9_4plusIvEEfEEDaPvRmT3_T4_T5_mT6_P12ihipStream_tbENKUlT_T0_E_clISt17integral_constantIbLb0EESW_EEDaSR_SS_EUlSR_E_NS1_11comp_targetILNS1_3genE9ELNS1_11target_archE1100ELNS1_3gpuE3ELNS1_3repE0EEENS1_30default_config_static_selectorELNS0_4arch9wavefront6targetE1EEEvT1_,comdat
.Lfunc_end1420:
	.size	_ZN7rocprim17ROCPRIM_400000_NS6detail17trampoline_kernelINS0_14default_configENS1_20scan_config_selectorIfEEZZNS1_9scan_implILNS1_25lookback_scan_determinismE0ELb0ELb0ES3_N6thrust23THRUST_200600_302600_NS6detail15normal_iteratorINS9_10device_ptrIfEEEENSB_INSC_IiEEEEfNS9_4plusIvEEfEEDaPvRmT3_T4_T5_mT6_P12ihipStream_tbENKUlT_T0_E_clISt17integral_constantIbLb0EESW_EEDaSR_SS_EUlSR_E_NS1_11comp_targetILNS1_3genE9ELNS1_11target_archE1100ELNS1_3gpuE3ELNS1_3repE0EEENS1_30default_config_static_selectorELNS0_4arch9wavefront6targetE1EEEvT1_, .Lfunc_end1420-_ZN7rocprim17ROCPRIM_400000_NS6detail17trampoline_kernelINS0_14default_configENS1_20scan_config_selectorIfEEZZNS1_9scan_implILNS1_25lookback_scan_determinismE0ELb0ELb0ES3_N6thrust23THRUST_200600_302600_NS6detail15normal_iteratorINS9_10device_ptrIfEEEENSB_INSC_IiEEEEfNS9_4plusIvEEfEEDaPvRmT3_T4_T5_mT6_P12ihipStream_tbENKUlT_T0_E_clISt17integral_constantIbLb0EESW_EEDaSR_SS_EUlSR_E_NS1_11comp_targetILNS1_3genE9ELNS1_11target_archE1100ELNS1_3gpuE3ELNS1_3repE0EEENS1_30default_config_static_selectorELNS0_4arch9wavefront6targetE1EEEvT1_
                                        ; -- End function
	.section	.AMDGPU.csdata,"",@progbits
; Kernel info:
; codeLenInByte = 0
; NumSgprs: 4
; NumVgprs: 0
; NumAgprs: 0
; TotalNumVgprs: 0
; ScratchSize: 0
; MemoryBound: 0
; FloatMode: 240
; IeeeMode: 1
; LDSByteSize: 0 bytes/workgroup (compile time only)
; SGPRBlocks: 0
; VGPRBlocks: 0
; NumSGPRsForWavesPerEU: 4
; NumVGPRsForWavesPerEU: 1
; AccumOffset: 4
; Occupancy: 8
; WaveLimiterHint : 0
; COMPUTE_PGM_RSRC2:SCRATCH_EN: 0
; COMPUTE_PGM_RSRC2:USER_SGPR: 6
; COMPUTE_PGM_RSRC2:TRAP_HANDLER: 0
; COMPUTE_PGM_RSRC2:TGID_X_EN: 1
; COMPUTE_PGM_RSRC2:TGID_Y_EN: 0
; COMPUTE_PGM_RSRC2:TGID_Z_EN: 0
; COMPUTE_PGM_RSRC2:TIDIG_COMP_CNT: 0
; COMPUTE_PGM_RSRC3_GFX90A:ACCUM_OFFSET: 0
; COMPUTE_PGM_RSRC3_GFX90A:TG_SPLIT: 0
	.section	.text._ZN7rocprim17ROCPRIM_400000_NS6detail17trampoline_kernelINS0_14default_configENS1_20scan_config_selectorIfEEZZNS1_9scan_implILNS1_25lookback_scan_determinismE0ELb0ELb0ES3_N6thrust23THRUST_200600_302600_NS6detail15normal_iteratorINS9_10device_ptrIfEEEENSB_INSC_IiEEEEfNS9_4plusIvEEfEEDaPvRmT3_T4_T5_mT6_P12ihipStream_tbENKUlT_T0_E_clISt17integral_constantIbLb0EESW_EEDaSR_SS_EUlSR_E_NS1_11comp_targetILNS1_3genE8ELNS1_11target_archE1030ELNS1_3gpuE2ELNS1_3repE0EEENS1_30default_config_static_selectorELNS0_4arch9wavefront6targetE1EEEvT1_,"axG",@progbits,_ZN7rocprim17ROCPRIM_400000_NS6detail17trampoline_kernelINS0_14default_configENS1_20scan_config_selectorIfEEZZNS1_9scan_implILNS1_25lookback_scan_determinismE0ELb0ELb0ES3_N6thrust23THRUST_200600_302600_NS6detail15normal_iteratorINS9_10device_ptrIfEEEENSB_INSC_IiEEEEfNS9_4plusIvEEfEEDaPvRmT3_T4_T5_mT6_P12ihipStream_tbENKUlT_T0_E_clISt17integral_constantIbLb0EESW_EEDaSR_SS_EUlSR_E_NS1_11comp_targetILNS1_3genE8ELNS1_11target_archE1030ELNS1_3gpuE2ELNS1_3repE0EEENS1_30default_config_static_selectorELNS0_4arch9wavefront6targetE1EEEvT1_,comdat
	.protected	_ZN7rocprim17ROCPRIM_400000_NS6detail17trampoline_kernelINS0_14default_configENS1_20scan_config_selectorIfEEZZNS1_9scan_implILNS1_25lookback_scan_determinismE0ELb0ELb0ES3_N6thrust23THRUST_200600_302600_NS6detail15normal_iteratorINS9_10device_ptrIfEEEENSB_INSC_IiEEEEfNS9_4plusIvEEfEEDaPvRmT3_T4_T5_mT6_P12ihipStream_tbENKUlT_T0_E_clISt17integral_constantIbLb0EESW_EEDaSR_SS_EUlSR_E_NS1_11comp_targetILNS1_3genE8ELNS1_11target_archE1030ELNS1_3gpuE2ELNS1_3repE0EEENS1_30default_config_static_selectorELNS0_4arch9wavefront6targetE1EEEvT1_ ; -- Begin function _ZN7rocprim17ROCPRIM_400000_NS6detail17trampoline_kernelINS0_14default_configENS1_20scan_config_selectorIfEEZZNS1_9scan_implILNS1_25lookback_scan_determinismE0ELb0ELb0ES3_N6thrust23THRUST_200600_302600_NS6detail15normal_iteratorINS9_10device_ptrIfEEEENSB_INSC_IiEEEEfNS9_4plusIvEEfEEDaPvRmT3_T4_T5_mT6_P12ihipStream_tbENKUlT_T0_E_clISt17integral_constantIbLb0EESW_EEDaSR_SS_EUlSR_E_NS1_11comp_targetILNS1_3genE8ELNS1_11target_archE1030ELNS1_3gpuE2ELNS1_3repE0EEENS1_30default_config_static_selectorELNS0_4arch9wavefront6targetE1EEEvT1_
	.globl	_ZN7rocprim17ROCPRIM_400000_NS6detail17trampoline_kernelINS0_14default_configENS1_20scan_config_selectorIfEEZZNS1_9scan_implILNS1_25lookback_scan_determinismE0ELb0ELb0ES3_N6thrust23THRUST_200600_302600_NS6detail15normal_iteratorINS9_10device_ptrIfEEEENSB_INSC_IiEEEEfNS9_4plusIvEEfEEDaPvRmT3_T4_T5_mT6_P12ihipStream_tbENKUlT_T0_E_clISt17integral_constantIbLb0EESW_EEDaSR_SS_EUlSR_E_NS1_11comp_targetILNS1_3genE8ELNS1_11target_archE1030ELNS1_3gpuE2ELNS1_3repE0EEENS1_30default_config_static_selectorELNS0_4arch9wavefront6targetE1EEEvT1_
	.p2align	8
	.type	_ZN7rocprim17ROCPRIM_400000_NS6detail17trampoline_kernelINS0_14default_configENS1_20scan_config_selectorIfEEZZNS1_9scan_implILNS1_25lookback_scan_determinismE0ELb0ELb0ES3_N6thrust23THRUST_200600_302600_NS6detail15normal_iteratorINS9_10device_ptrIfEEEENSB_INSC_IiEEEEfNS9_4plusIvEEfEEDaPvRmT3_T4_T5_mT6_P12ihipStream_tbENKUlT_T0_E_clISt17integral_constantIbLb0EESW_EEDaSR_SS_EUlSR_E_NS1_11comp_targetILNS1_3genE8ELNS1_11target_archE1030ELNS1_3gpuE2ELNS1_3repE0EEENS1_30default_config_static_selectorELNS0_4arch9wavefront6targetE1EEEvT1_,@function
_ZN7rocprim17ROCPRIM_400000_NS6detail17trampoline_kernelINS0_14default_configENS1_20scan_config_selectorIfEEZZNS1_9scan_implILNS1_25lookback_scan_determinismE0ELb0ELb0ES3_N6thrust23THRUST_200600_302600_NS6detail15normal_iteratorINS9_10device_ptrIfEEEENSB_INSC_IiEEEEfNS9_4plusIvEEfEEDaPvRmT3_T4_T5_mT6_P12ihipStream_tbENKUlT_T0_E_clISt17integral_constantIbLb0EESW_EEDaSR_SS_EUlSR_E_NS1_11comp_targetILNS1_3genE8ELNS1_11target_archE1030ELNS1_3gpuE2ELNS1_3repE0EEENS1_30default_config_static_selectorELNS0_4arch9wavefront6targetE1EEEvT1_: ; @_ZN7rocprim17ROCPRIM_400000_NS6detail17trampoline_kernelINS0_14default_configENS1_20scan_config_selectorIfEEZZNS1_9scan_implILNS1_25lookback_scan_determinismE0ELb0ELb0ES3_N6thrust23THRUST_200600_302600_NS6detail15normal_iteratorINS9_10device_ptrIfEEEENSB_INSC_IiEEEEfNS9_4plusIvEEfEEDaPvRmT3_T4_T5_mT6_P12ihipStream_tbENKUlT_T0_E_clISt17integral_constantIbLb0EESW_EEDaSR_SS_EUlSR_E_NS1_11comp_targetILNS1_3genE8ELNS1_11target_archE1030ELNS1_3gpuE2ELNS1_3repE0EEENS1_30default_config_static_selectorELNS0_4arch9wavefront6targetE1EEEvT1_
; %bb.0:
	.section	.rodata,"a",@progbits
	.p2align	6, 0x0
	.amdhsa_kernel _ZN7rocprim17ROCPRIM_400000_NS6detail17trampoline_kernelINS0_14default_configENS1_20scan_config_selectorIfEEZZNS1_9scan_implILNS1_25lookback_scan_determinismE0ELb0ELb0ES3_N6thrust23THRUST_200600_302600_NS6detail15normal_iteratorINS9_10device_ptrIfEEEENSB_INSC_IiEEEEfNS9_4plusIvEEfEEDaPvRmT3_T4_T5_mT6_P12ihipStream_tbENKUlT_T0_E_clISt17integral_constantIbLb0EESW_EEDaSR_SS_EUlSR_E_NS1_11comp_targetILNS1_3genE8ELNS1_11target_archE1030ELNS1_3gpuE2ELNS1_3repE0EEENS1_30default_config_static_selectorELNS0_4arch9wavefront6targetE1EEEvT1_
		.amdhsa_group_segment_fixed_size 0
		.amdhsa_private_segment_fixed_size 0
		.amdhsa_kernarg_size 96
		.amdhsa_user_sgpr_count 6
		.amdhsa_user_sgpr_private_segment_buffer 1
		.amdhsa_user_sgpr_dispatch_ptr 0
		.amdhsa_user_sgpr_queue_ptr 0
		.amdhsa_user_sgpr_kernarg_segment_ptr 1
		.amdhsa_user_sgpr_dispatch_id 0
		.amdhsa_user_sgpr_flat_scratch_init 0
		.amdhsa_user_sgpr_kernarg_preload_length 0
		.amdhsa_user_sgpr_kernarg_preload_offset 0
		.amdhsa_user_sgpr_private_segment_size 0
		.amdhsa_uses_dynamic_stack 0
		.amdhsa_system_sgpr_private_segment_wavefront_offset 0
		.amdhsa_system_sgpr_workgroup_id_x 1
		.amdhsa_system_sgpr_workgroup_id_y 0
		.amdhsa_system_sgpr_workgroup_id_z 0
		.amdhsa_system_sgpr_workgroup_info 0
		.amdhsa_system_vgpr_workitem_id 0
		.amdhsa_next_free_vgpr 1
		.amdhsa_next_free_sgpr 0
		.amdhsa_accum_offset 4
		.amdhsa_reserve_vcc 0
		.amdhsa_reserve_flat_scratch 0
		.amdhsa_float_round_mode_32 0
		.amdhsa_float_round_mode_16_64 0
		.amdhsa_float_denorm_mode_32 3
		.amdhsa_float_denorm_mode_16_64 3
		.amdhsa_dx10_clamp 1
		.amdhsa_ieee_mode 1
		.amdhsa_fp16_overflow 0
		.amdhsa_tg_split 0
		.amdhsa_exception_fp_ieee_invalid_op 0
		.amdhsa_exception_fp_denorm_src 0
		.amdhsa_exception_fp_ieee_div_zero 0
		.amdhsa_exception_fp_ieee_overflow 0
		.amdhsa_exception_fp_ieee_underflow 0
		.amdhsa_exception_fp_ieee_inexact 0
		.amdhsa_exception_int_div_zero 0
	.end_amdhsa_kernel
	.section	.text._ZN7rocprim17ROCPRIM_400000_NS6detail17trampoline_kernelINS0_14default_configENS1_20scan_config_selectorIfEEZZNS1_9scan_implILNS1_25lookback_scan_determinismE0ELb0ELb0ES3_N6thrust23THRUST_200600_302600_NS6detail15normal_iteratorINS9_10device_ptrIfEEEENSB_INSC_IiEEEEfNS9_4plusIvEEfEEDaPvRmT3_T4_T5_mT6_P12ihipStream_tbENKUlT_T0_E_clISt17integral_constantIbLb0EESW_EEDaSR_SS_EUlSR_E_NS1_11comp_targetILNS1_3genE8ELNS1_11target_archE1030ELNS1_3gpuE2ELNS1_3repE0EEENS1_30default_config_static_selectorELNS0_4arch9wavefront6targetE1EEEvT1_,"axG",@progbits,_ZN7rocprim17ROCPRIM_400000_NS6detail17trampoline_kernelINS0_14default_configENS1_20scan_config_selectorIfEEZZNS1_9scan_implILNS1_25lookback_scan_determinismE0ELb0ELb0ES3_N6thrust23THRUST_200600_302600_NS6detail15normal_iteratorINS9_10device_ptrIfEEEENSB_INSC_IiEEEEfNS9_4plusIvEEfEEDaPvRmT3_T4_T5_mT6_P12ihipStream_tbENKUlT_T0_E_clISt17integral_constantIbLb0EESW_EEDaSR_SS_EUlSR_E_NS1_11comp_targetILNS1_3genE8ELNS1_11target_archE1030ELNS1_3gpuE2ELNS1_3repE0EEENS1_30default_config_static_selectorELNS0_4arch9wavefront6targetE1EEEvT1_,comdat
.Lfunc_end1421:
	.size	_ZN7rocprim17ROCPRIM_400000_NS6detail17trampoline_kernelINS0_14default_configENS1_20scan_config_selectorIfEEZZNS1_9scan_implILNS1_25lookback_scan_determinismE0ELb0ELb0ES3_N6thrust23THRUST_200600_302600_NS6detail15normal_iteratorINS9_10device_ptrIfEEEENSB_INSC_IiEEEEfNS9_4plusIvEEfEEDaPvRmT3_T4_T5_mT6_P12ihipStream_tbENKUlT_T0_E_clISt17integral_constantIbLb0EESW_EEDaSR_SS_EUlSR_E_NS1_11comp_targetILNS1_3genE8ELNS1_11target_archE1030ELNS1_3gpuE2ELNS1_3repE0EEENS1_30default_config_static_selectorELNS0_4arch9wavefront6targetE1EEEvT1_, .Lfunc_end1421-_ZN7rocprim17ROCPRIM_400000_NS6detail17trampoline_kernelINS0_14default_configENS1_20scan_config_selectorIfEEZZNS1_9scan_implILNS1_25lookback_scan_determinismE0ELb0ELb0ES3_N6thrust23THRUST_200600_302600_NS6detail15normal_iteratorINS9_10device_ptrIfEEEENSB_INSC_IiEEEEfNS9_4plusIvEEfEEDaPvRmT3_T4_T5_mT6_P12ihipStream_tbENKUlT_T0_E_clISt17integral_constantIbLb0EESW_EEDaSR_SS_EUlSR_E_NS1_11comp_targetILNS1_3genE8ELNS1_11target_archE1030ELNS1_3gpuE2ELNS1_3repE0EEENS1_30default_config_static_selectorELNS0_4arch9wavefront6targetE1EEEvT1_
                                        ; -- End function
	.section	.AMDGPU.csdata,"",@progbits
; Kernel info:
; codeLenInByte = 0
; NumSgprs: 4
; NumVgprs: 0
; NumAgprs: 0
; TotalNumVgprs: 0
; ScratchSize: 0
; MemoryBound: 0
; FloatMode: 240
; IeeeMode: 1
; LDSByteSize: 0 bytes/workgroup (compile time only)
; SGPRBlocks: 0
; VGPRBlocks: 0
; NumSGPRsForWavesPerEU: 4
; NumVGPRsForWavesPerEU: 1
; AccumOffset: 4
; Occupancy: 8
; WaveLimiterHint : 0
; COMPUTE_PGM_RSRC2:SCRATCH_EN: 0
; COMPUTE_PGM_RSRC2:USER_SGPR: 6
; COMPUTE_PGM_RSRC2:TRAP_HANDLER: 0
; COMPUTE_PGM_RSRC2:TGID_X_EN: 1
; COMPUTE_PGM_RSRC2:TGID_Y_EN: 0
; COMPUTE_PGM_RSRC2:TGID_Z_EN: 0
; COMPUTE_PGM_RSRC2:TIDIG_COMP_CNT: 0
; COMPUTE_PGM_RSRC3_GFX90A:ACCUM_OFFSET: 0
; COMPUTE_PGM_RSRC3_GFX90A:TG_SPLIT: 0
	.section	.text._ZN7rocprim17ROCPRIM_400000_NS6detail17trampoline_kernelINS0_14default_configENS1_25transform_config_selectorIfLb1EEEZNS1_14transform_implILb1ES3_S5_PfS7_NS0_8identityIfEEEE10hipError_tT2_T3_mT4_P12ihipStream_tbEUlT_E_NS1_11comp_targetILNS1_3genE0ELNS1_11target_archE4294967295ELNS1_3gpuE0ELNS1_3repE0EEENS1_30default_config_static_selectorELNS0_4arch9wavefront6targetE1EEEvT1_,"axG",@progbits,_ZN7rocprim17ROCPRIM_400000_NS6detail17trampoline_kernelINS0_14default_configENS1_25transform_config_selectorIfLb1EEEZNS1_14transform_implILb1ES3_S5_PfS7_NS0_8identityIfEEEE10hipError_tT2_T3_mT4_P12ihipStream_tbEUlT_E_NS1_11comp_targetILNS1_3genE0ELNS1_11target_archE4294967295ELNS1_3gpuE0ELNS1_3repE0EEENS1_30default_config_static_selectorELNS0_4arch9wavefront6targetE1EEEvT1_,comdat
	.protected	_ZN7rocprim17ROCPRIM_400000_NS6detail17trampoline_kernelINS0_14default_configENS1_25transform_config_selectorIfLb1EEEZNS1_14transform_implILb1ES3_S5_PfS7_NS0_8identityIfEEEE10hipError_tT2_T3_mT4_P12ihipStream_tbEUlT_E_NS1_11comp_targetILNS1_3genE0ELNS1_11target_archE4294967295ELNS1_3gpuE0ELNS1_3repE0EEENS1_30default_config_static_selectorELNS0_4arch9wavefront6targetE1EEEvT1_ ; -- Begin function _ZN7rocprim17ROCPRIM_400000_NS6detail17trampoline_kernelINS0_14default_configENS1_25transform_config_selectorIfLb1EEEZNS1_14transform_implILb1ES3_S5_PfS7_NS0_8identityIfEEEE10hipError_tT2_T3_mT4_P12ihipStream_tbEUlT_E_NS1_11comp_targetILNS1_3genE0ELNS1_11target_archE4294967295ELNS1_3gpuE0ELNS1_3repE0EEENS1_30default_config_static_selectorELNS0_4arch9wavefront6targetE1EEEvT1_
	.globl	_ZN7rocprim17ROCPRIM_400000_NS6detail17trampoline_kernelINS0_14default_configENS1_25transform_config_selectorIfLb1EEEZNS1_14transform_implILb1ES3_S5_PfS7_NS0_8identityIfEEEE10hipError_tT2_T3_mT4_P12ihipStream_tbEUlT_E_NS1_11comp_targetILNS1_3genE0ELNS1_11target_archE4294967295ELNS1_3gpuE0ELNS1_3repE0EEENS1_30default_config_static_selectorELNS0_4arch9wavefront6targetE1EEEvT1_
	.p2align	8
	.type	_ZN7rocprim17ROCPRIM_400000_NS6detail17trampoline_kernelINS0_14default_configENS1_25transform_config_selectorIfLb1EEEZNS1_14transform_implILb1ES3_S5_PfS7_NS0_8identityIfEEEE10hipError_tT2_T3_mT4_P12ihipStream_tbEUlT_E_NS1_11comp_targetILNS1_3genE0ELNS1_11target_archE4294967295ELNS1_3gpuE0ELNS1_3repE0EEENS1_30default_config_static_selectorELNS0_4arch9wavefront6targetE1EEEvT1_,@function
_ZN7rocprim17ROCPRIM_400000_NS6detail17trampoline_kernelINS0_14default_configENS1_25transform_config_selectorIfLb1EEEZNS1_14transform_implILb1ES3_S5_PfS7_NS0_8identityIfEEEE10hipError_tT2_T3_mT4_P12ihipStream_tbEUlT_E_NS1_11comp_targetILNS1_3genE0ELNS1_11target_archE4294967295ELNS1_3gpuE0ELNS1_3repE0EEENS1_30default_config_static_selectorELNS0_4arch9wavefront6targetE1EEEvT1_: ; @_ZN7rocprim17ROCPRIM_400000_NS6detail17trampoline_kernelINS0_14default_configENS1_25transform_config_selectorIfLb1EEEZNS1_14transform_implILb1ES3_S5_PfS7_NS0_8identityIfEEEE10hipError_tT2_T3_mT4_P12ihipStream_tbEUlT_E_NS1_11comp_targetILNS1_3genE0ELNS1_11target_archE4294967295ELNS1_3gpuE0ELNS1_3repE0EEENS1_30default_config_static_selectorELNS0_4arch9wavefront6targetE1EEEvT1_
; %bb.0:
	.section	.rodata,"a",@progbits
	.p2align	6, 0x0
	.amdhsa_kernel _ZN7rocprim17ROCPRIM_400000_NS6detail17trampoline_kernelINS0_14default_configENS1_25transform_config_selectorIfLb1EEEZNS1_14transform_implILb1ES3_S5_PfS7_NS0_8identityIfEEEE10hipError_tT2_T3_mT4_P12ihipStream_tbEUlT_E_NS1_11comp_targetILNS1_3genE0ELNS1_11target_archE4294967295ELNS1_3gpuE0ELNS1_3repE0EEENS1_30default_config_static_selectorELNS0_4arch9wavefront6targetE1EEEvT1_
		.amdhsa_group_segment_fixed_size 0
		.amdhsa_private_segment_fixed_size 0
		.amdhsa_kernarg_size 40
		.amdhsa_user_sgpr_count 6
		.amdhsa_user_sgpr_private_segment_buffer 1
		.amdhsa_user_sgpr_dispatch_ptr 0
		.amdhsa_user_sgpr_queue_ptr 0
		.amdhsa_user_sgpr_kernarg_segment_ptr 1
		.amdhsa_user_sgpr_dispatch_id 0
		.amdhsa_user_sgpr_flat_scratch_init 0
		.amdhsa_user_sgpr_kernarg_preload_length 0
		.amdhsa_user_sgpr_kernarg_preload_offset 0
		.amdhsa_user_sgpr_private_segment_size 0
		.amdhsa_uses_dynamic_stack 0
		.amdhsa_system_sgpr_private_segment_wavefront_offset 0
		.amdhsa_system_sgpr_workgroup_id_x 1
		.amdhsa_system_sgpr_workgroup_id_y 0
		.amdhsa_system_sgpr_workgroup_id_z 0
		.amdhsa_system_sgpr_workgroup_info 0
		.amdhsa_system_vgpr_workitem_id 0
		.amdhsa_next_free_vgpr 1
		.amdhsa_next_free_sgpr 0
		.amdhsa_accum_offset 4
		.amdhsa_reserve_vcc 0
		.amdhsa_reserve_flat_scratch 0
		.amdhsa_float_round_mode_32 0
		.amdhsa_float_round_mode_16_64 0
		.amdhsa_float_denorm_mode_32 3
		.amdhsa_float_denorm_mode_16_64 3
		.amdhsa_dx10_clamp 1
		.amdhsa_ieee_mode 1
		.amdhsa_fp16_overflow 0
		.amdhsa_tg_split 0
		.amdhsa_exception_fp_ieee_invalid_op 0
		.amdhsa_exception_fp_denorm_src 0
		.amdhsa_exception_fp_ieee_div_zero 0
		.amdhsa_exception_fp_ieee_overflow 0
		.amdhsa_exception_fp_ieee_underflow 0
		.amdhsa_exception_fp_ieee_inexact 0
		.amdhsa_exception_int_div_zero 0
	.end_amdhsa_kernel
	.section	.text._ZN7rocprim17ROCPRIM_400000_NS6detail17trampoline_kernelINS0_14default_configENS1_25transform_config_selectorIfLb1EEEZNS1_14transform_implILb1ES3_S5_PfS7_NS0_8identityIfEEEE10hipError_tT2_T3_mT4_P12ihipStream_tbEUlT_E_NS1_11comp_targetILNS1_3genE0ELNS1_11target_archE4294967295ELNS1_3gpuE0ELNS1_3repE0EEENS1_30default_config_static_selectorELNS0_4arch9wavefront6targetE1EEEvT1_,"axG",@progbits,_ZN7rocprim17ROCPRIM_400000_NS6detail17trampoline_kernelINS0_14default_configENS1_25transform_config_selectorIfLb1EEEZNS1_14transform_implILb1ES3_S5_PfS7_NS0_8identityIfEEEE10hipError_tT2_T3_mT4_P12ihipStream_tbEUlT_E_NS1_11comp_targetILNS1_3genE0ELNS1_11target_archE4294967295ELNS1_3gpuE0ELNS1_3repE0EEENS1_30default_config_static_selectorELNS0_4arch9wavefront6targetE1EEEvT1_,comdat
.Lfunc_end1422:
	.size	_ZN7rocprim17ROCPRIM_400000_NS6detail17trampoline_kernelINS0_14default_configENS1_25transform_config_selectorIfLb1EEEZNS1_14transform_implILb1ES3_S5_PfS7_NS0_8identityIfEEEE10hipError_tT2_T3_mT4_P12ihipStream_tbEUlT_E_NS1_11comp_targetILNS1_3genE0ELNS1_11target_archE4294967295ELNS1_3gpuE0ELNS1_3repE0EEENS1_30default_config_static_selectorELNS0_4arch9wavefront6targetE1EEEvT1_, .Lfunc_end1422-_ZN7rocprim17ROCPRIM_400000_NS6detail17trampoline_kernelINS0_14default_configENS1_25transform_config_selectorIfLb1EEEZNS1_14transform_implILb1ES3_S5_PfS7_NS0_8identityIfEEEE10hipError_tT2_T3_mT4_P12ihipStream_tbEUlT_E_NS1_11comp_targetILNS1_3genE0ELNS1_11target_archE4294967295ELNS1_3gpuE0ELNS1_3repE0EEENS1_30default_config_static_selectorELNS0_4arch9wavefront6targetE1EEEvT1_
                                        ; -- End function
	.section	.AMDGPU.csdata,"",@progbits
; Kernel info:
; codeLenInByte = 0
; NumSgprs: 4
; NumVgprs: 0
; NumAgprs: 0
; TotalNumVgprs: 0
; ScratchSize: 0
; MemoryBound: 0
; FloatMode: 240
; IeeeMode: 1
; LDSByteSize: 0 bytes/workgroup (compile time only)
; SGPRBlocks: 0
; VGPRBlocks: 0
; NumSGPRsForWavesPerEU: 4
; NumVGPRsForWavesPerEU: 1
; AccumOffset: 4
; Occupancy: 8
; WaveLimiterHint : 0
; COMPUTE_PGM_RSRC2:SCRATCH_EN: 0
; COMPUTE_PGM_RSRC2:USER_SGPR: 6
; COMPUTE_PGM_RSRC2:TRAP_HANDLER: 0
; COMPUTE_PGM_RSRC2:TGID_X_EN: 1
; COMPUTE_PGM_RSRC2:TGID_Y_EN: 0
; COMPUTE_PGM_RSRC2:TGID_Z_EN: 0
; COMPUTE_PGM_RSRC2:TIDIG_COMP_CNT: 0
; COMPUTE_PGM_RSRC3_GFX90A:ACCUM_OFFSET: 0
; COMPUTE_PGM_RSRC3_GFX90A:TG_SPLIT: 0
	.section	.text._ZN7rocprim17ROCPRIM_400000_NS6detail17trampoline_kernelINS0_14default_configENS1_25transform_config_selectorIfLb1EEEZNS1_14transform_implILb1ES3_S5_PfS7_NS0_8identityIfEEEE10hipError_tT2_T3_mT4_P12ihipStream_tbEUlT_E_NS1_11comp_targetILNS1_3genE10ELNS1_11target_archE1201ELNS1_3gpuE5ELNS1_3repE0EEENS1_30default_config_static_selectorELNS0_4arch9wavefront6targetE1EEEvT1_,"axG",@progbits,_ZN7rocprim17ROCPRIM_400000_NS6detail17trampoline_kernelINS0_14default_configENS1_25transform_config_selectorIfLb1EEEZNS1_14transform_implILb1ES3_S5_PfS7_NS0_8identityIfEEEE10hipError_tT2_T3_mT4_P12ihipStream_tbEUlT_E_NS1_11comp_targetILNS1_3genE10ELNS1_11target_archE1201ELNS1_3gpuE5ELNS1_3repE0EEENS1_30default_config_static_selectorELNS0_4arch9wavefront6targetE1EEEvT1_,comdat
	.protected	_ZN7rocprim17ROCPRIM_400000_NS6detail17trampoline_kernelINS0_14default_configENS1_25transform_config_selectorIfLb1EEEZNS1_14transform_implILb1ES3_S5_PfS7_NS0_8identityIfEEEE10hipError_tT2_T3_mT4_P12ihipStream_tbEUlT_E_NS1_11comp_targetILNS1_3genE10ELNS1_11target_archE1201ELNS1_3gpuE5ELNS1_3repE0EEENS1_30default_config_static_selectorELNS0_4arch9wavefront6targetE1EEEvT1_ ; -- Begin function _ZN7rocprim17ROCPRIM_400000_NS6detail17trampoline_kernelINS0_14default_configENS1_25transform_config_selectorIfLb1EEEZNS1_14transform_implILb1ES3_S5_PfS7_NS0_8identityIfEEEE10hipError_tT2_T3_mT4_P12ihipStream_tbEUlT_E_NS1_11comp_targetILNS1_3genE10ELNS1_11target_archE1201ELNS1_3gpuE5ELNS1_3repE0EEENS1_30default_config_static_selectorELNS0_4arch9wavefront6targetE1EEEvT1_
	.globl	_ZN7rocprim17ROCPRIM_400000_NS6detail17trampoline_kernelINS0_14default_configENS1_25transform_config_selectorIfLb1EEEZNS1_14transform_implILb1ES3_S5_PfS7_NS0_8identityIfEEEE10hipError_tT2_T3_mT4_P12ihipStream_tbEUlT_E_NS1_11comp_targetILNS1_3genE10ELNS1_11target_archE1201ELNS1_3gpuE5ELNS1_3repE0EEENS1_30default_config_static_selectorELNS0_4arch9wavefront6targetE1EEEvT1_
	.p2align	8
	.type	_ZN7rocprim17ROCPRIM_400000_NS6detail17trampoline_kernelINS0_14default_configENS1_25transform_config_selectorIfLb1EEEZNS1_14transform_implILb1ES3_S5_PfS7_NS0_8identityIfEEEE10hipError_tT2_T3_mT4_P12ihipStream_tbEUlT_E_NS1_11comp_targetILNS1_3genE10ELNS1_11target_archE1201ELNS1_3gpuE5ELNS1_3repE0EEENS1_30default_config_static_selectorELNS0_4arch9wavefront6targetE1EEEvT1_,@function
_ZN7rocprim17ROCPRIM_400000_NS6detail17trampoline_kernelINS0_14default_configENS1_25transform_config_selectorIfLb1EEEZNS1_14transform_implILb1ES3_S5_PfS7_NS0_8identityIfEEEE10hipError_tT2_T3_mT4_P12ihipStream_tbEUlT_E_NS1_11comp_targetILNS1_3genE10ELNS1_11target_archE1201ELNS1_3gpuE5ELNS1_3repE0EEENS1_30default_config_static_selectorELNS0_4arch9wavefront6targetE1EEEvT1_: ; @_ZN7rocprim17ROCPRIM_400000_NS6detail17trampoline_kernelINS0_14default_configENS1_25transform_config_selectorIfLb1EEEZNS1_14transform_implILb1ES3_S5_PfS7_NS0_8identityIfEEEE10hipError_tT2_T3_mT4_P12ihipStream_tbEUlT_E_NS1_11comp_targetILNS1_3genE10ELNS1_11target_archE1201ELNS1_3gpuE5ELNS1_3repE0EEENS1_30default_config_static_selectorELNS0_4arch9wavefront6targetE1EEEvT1_
; %bb.0:
	.section	.rodata,"a",@progbits
	.p2align	6, 0x0
	.amdhsa_kernel _ZN7rocprim17ROCPRIM_400000_NS6detail17trampoline_kernelINS0_14default_configENS1_25transform_config_selectorIfLb1EEEZNS1_14transform_implILb1ES3_S5_PfS7_NS0_8identityIfEEEE10hipError_tT2_T3_mT4_P12ihipStream_tbEUlT_E_NS1_11comp_targetILNS1_3genE10ELNS1_11target_archE1201ELNS1_3gpuE5ELNS1_3repE0EEENS1_30default_config_static_selectorELNS0_4arch9wavefront6targetE1EEEvT1_
		.amdhsa_group_segment_fixed_size 0
		.amdhsa_private_segment_fixed_size 0
		.amdhsa_kernarg_size 40
		.amdhsa_user_sgpr_count 6
		.amdhsa_user_sgpr_private_segment_buffer 1
		.amdhsa_user_sgpr_dispatch_ptr 0
		.amdhsa_user_sgpr_queue_ptr 0
		.amdhsa_user_sgpr_kernarg_segment_ptr 1
		.amdhsa_user_sgpr_dispatch_id 0
		.amdhsa_user_sgpr_flat_scratch_init 0
		.amdhsa_user_sgpr_kernarg_preload_length 0
		.amdhsa_user_sgpr_kernarg_preload_offset 0
		.amdhsa_user_sgpr_private_segment_size 0
		.amdhsa_uses_dynamic_stack 0
		.amdhsa_system_sgpr_private_segment_wavefront_offset 0
		.amdhsa_system_sgpr_workgroup_id_x 1
		.amdhsa_system_sgpr_workgroup_id_y 0
		.amdhsa_system_sgpr_workgroup_id_z 0
		.amdhsa_system_sgpr_workgroup_info 0
		.amdhsa_system_vgpr_workitem_id 0
		.amdhsa_next_free_vgpr 1
		.amdhsa_next_free_sgpr 0
		.amdhsa_accum_offset 4
		.amdhsa_reserve_vcc 0
		.amdhsa_reserve_flat_scratch 0
		.amdhsa_float_round_mode_32 0
		.amdhsa_float_round_mode_16_64 0
		.amdhsa_float_denorm_mode_32 3
		.amdhsa_float_denorm_mode_16_64 3
		.amdhsa_dx10_clamp 1
		.amdhsa_ieee_mode 1
		.amdhsa_fp16_overflow 0
		.amdhsa_tg_split 0
		.amdhsa_exception_fp_ieee_invalid_op 0
		.amdhsa_exception_fp_denorm_src 0
		.amdhsa_exception_fp_ieee_div_zero 0
		.amdhsa_exception_fp_ieee_overflow 0
		.amdhsa_exception_fp_ieee_underflow 0
		.amdhsa_exception_fp_ieee_inexact 0
		.amdhsa_exception_int_div_zero 0
	.end_amdhsa_kernel
	.section	.text._ZN7rocprim17ROCPRIM_400000_NS6detail17trampoline_kernelINS0_14default_configENS1_25transform_config_selectorIfLb1EEEZNS1_14transform_implILb1ES3_S5_PfS7_NS0_8identityIfEEEE10hipError_tT2_T3_mT4_P12ihipStream_tbEUlT_E_NS1_11comp_targetILNS1_3genE10ELNS1_11target_archE1201ELNS1_3gpuE5ELNS1_3repE0EEENS1_30default_config_static_selectorELNS0_4arch9wavefront6targetE1EEEvT1_,"axG",@progbits,_ZN7rocprim17ROCPRIM_400000_NS6detail17trampoline_kernelINS0_14default_configENS1_25transform_config_selectorIfLb1EEEZNS1_14transform_implILb1ES3_S5_PfS7_NS0_8identityIfEEEE10hipError_tT2_T3_mT4_P12ihipStream_tbEUlT_E_NS1_11comp_targetILNS1_3genE10ELNS1_11target_archE1201ELNS1_3gpuE5ELNS1_3repE0EEENS1_30default_config_static_selectorELNS0_4arch9wavefront6targetE1EEEvT1_,comdat
.Lfunc_end1423:
	.size	_ZN7rocprim17ROCPRIM_400000_NS6detail17trampoline_kernelINS0_14default_configENS1_25transform_config_selectorIfLb1EEEZNS1_14transform_implILb1ES3_S5_PfS7_NS0_8identityIfEEEE10hipError_tT2_T3_mT4_P12ihipStream_tbEUlT_E_NS1_11comp_targetILNS1_3genE10ELNS1_11target_archE1201ELNS1_3gpuE5ELNS1_3repE0EEENS1_30default_config_static_selectorELNS0_4arch9wavefront6targetE1EEEvT1_, .Lfunc_end1423-_ZN7rocprim17ROCPRIM_400000_NS6detail17trampoline_kernelINS0_14default_configENS1_25transform_config_selectorIfLb1EEEZNS1_14transform_implILb1ES3_S5_PfS7_NS0_8identityIfEEEE10hipError_tT2_T3_mT4_P12ihipStream_tbEUlT_E_NS1_11comp_targetILNS1_3genE10ELNS1_11target_archE1201ELNS1_3gpuE5ELNS1_3repE0EEENS1_30default_config_static_selectorELNS0_4arch9wavefront6targetE1EEEvT1_
                                        ; -- End function
	.section	.AMDGPU.csdata,"",@progbits
; Kernel info:
; codeLenInByte = 0
; NumSgprs: 4
; NumVgprs: 0
; NumAgprs: 0
; TotalNumVgprs: 0
; ScratchSize: 0
; MemoryBound: 0
; FloatMode: 240
; IeeeMode: 1
; LDSByteSize: 0 bytes/workgroup (compile time only)
; SGPRBlocks: 0
; VGPRBlocks: 0
; NumSGPRsForWavesPerEU: 4
; NumVGPRsForWavesPerEU: 1
; AccumOffset: 4
; Occupancy: 8
; WaveLimiterHint : 0
; COMPUTE_PGM_RSRC2:SCRATCH_EN: 0
; COMPUTE_PGM_RSRC2:USER_SGPR: 6
; COMPUTE_PGM_RSRC2:TRAP_HANDLER: 0
; COMPUTE_PGM_RSRC2:TGID_X_EN: 1
; COMPUTE_PGM_RSRC2:TGID_Y_EN: 0
; COMPUTE_PGM_RSRC2:TGID_Z_EN: 0
; COMPUTE_PGM_RSRC2:TIDIG_COMP_CNT: 0
; COMPUTE_PGM_RSRC3_GFX90A:ACCUM_OFFSET: 0
; COMPUTE_PGM_RSRC3_GFX90A:TG_SPLIT: 0
	.section	.text._ZN7rocprim17ROCPRIM_400000_NS6detail17trampoline_kernelINS0_14default_configENS1_25transform_config_selectorIfLb1EEEZNS1_14transform_implILb1ES3_S5_PfS7_NS0_8identityIfEEEE10hipError_tT2_T3_mT4_P12ihipStream_tbEUlT_E_NS1_11comp_targetILNS1_3genE5ELNS1_11target_archE942ELNS1_3gpuE9ELNS1_3repE0EEENS1_30default_config_static_selectorELNS0_4arch9wavefront6targetE1EEEvT1_,"axG",@progbits,_ZN7rocprim17ROCPRIM_400000_NS6detail17trampoline_kernelINS0_14default_configENS1_25transform_config_selectorIfLb1EEEZNS1_14transform_implILb1ES3_S5_PfS7_NS0_8identityIfEEEE10hipError_tT2_T3_mT4_P12ihipStream_tbEUlT_E_NS1_11comp_targetILNS1_3genE5ELNS1_11target_archE942ELNS1_3gpuE9ELNS1_3repE0EEENS1_30default_config_static_selectorELNS0_4arch9wavefront6targetE1EEEvT1_,comdat
	.protected	_ZN7rocprim17ROCPRIM_400000_NS6detail17trampoline_kernelINS0_14default_configENS1_25transform_config_selectorIfLb1EEEZNS1_14transform_implILb1ES3_S5_PfS7_NS0_8identityIfEEEE10hipError_tT2_T3_mT4_P12ihipStream_tbEUlT_E_NS1_11comp_targetILNS1_3genE5ELNS1_11target_archE942ELNS1_3gpuE9ELNS1_3repE0EEENS1_30default_config_static_selectorELNS0_4arch9wavefront6targetE1EEEvT1_ ; -- Begin function _ZN7rocprim17ROCPRIM_400000_NS6detail17trampoline_kernelINS0_14default_configENS1_25transform_config_selectorIfLb1EEEZNS1_14transform_implILb1ES3_S5_PfS7_NS0_8identityIfEEEE10hipError_tT2_T3_mT4_P12ihipStream_tbEUlT_E_NS1_11comp_targetILNS1_3genE5ELNS1_11target_archE942ELNS1_3gpuE9ELNS1_3repE0EEENS1_30default_config_static_selectorELNS0_4arch9wavefront6targetE1EEEvT1_
	.globl	_ZN7rocprim17ROCPRIM_400000_NS6detail17trampoline_kernelINS0_14default_configENS1_25transform_config_selectorIfLb1EEEZNS1_14transform_implILb1ES3_S5_PfS7_NS0_8identityIfEEEE10hipError_tT2_T3_mT4_P12ihipStream_tbEUlT_E_NS1_11comp_targetILNS1_3genE5ELNS1_11target_archE942ELNS1_3gpuE9ELNS1_3repE0EEENS1_30default_config_static_selectorELNS0_4arch9wavefront6targetE1EEEvT1_
	.p2align	8
	.type	_ZN7rocprim17ROCPRIM_400000_NS6detail17trampoline_kernelINS0_14default_configENS1_25transform_config_selectorIfLb1EEEZNS1_14transform_implILb1ES3_S5_PfS7_NS0_8identityIfEEEE10hipError_tT2_T3_mT4_P12ihipStream_tbEUlT_E_NS1_11comp_targetILNS1_3genE5ELNS1_11target_archE942ELNS1_3gpuE9ELNS1_3repE0EEENS1_30default_config_static_selectorELNS0_4arch9wavefront6targetE1EEEvT1_,@function
_ZN7rocprim17ROCPRIM_400000_NS6detail17trampoline_kernelINS0_14default_configENS1_25transform_config_selectorIfLb1EEEZNS1_14transform_implILb1ES3_S5_PfS7_NS0_8identityIfEEEE10hipError_tT2_T3_mT4_P12ihipStream_tbEUlT_E_NS1_11comp_targetILNS1_3genE5ELNS1_11target_archE942ELNS1_3gpuE9ELNS1_3repE0EEENS1_30default_config_static_selectorELNS0_4arch9wavefront6targetE1EEEvT1_: ; @_ZN7rocprim17ROCPRIM_400000_NS6detail17trampoline_kernelINS0_14default_configENS1_25transform_config_selectorIfLb1EEEZNS1_14transform_implILb1ES3_S5_PfS7_NS0_8identityIfEEEE10hipError_tT2_T3_mT4_P12ihipStream_tbEUlT_E_NS1_11comp_targetILNS1_3genE5ELNS1_11target_archE942ELNS1_3gpuE9ELNS1_3repE0EEENS1_30default_config_static_selectorELNS0_4arch9wavefront6targetE1EEEvT1_
; %bb.0:
	.section	.rodata,"a",@progbits
	.p2align	6, 0x0
	.amdhsa_kernel _ZN7rocprim17ROCPRIM_400000_NS6detail17trampoline_kernelINS0_14default_configENS1_25transform_config_selectorIfLb1EEEZNS1_14transform_implILb1ES3_S5_PfS7_NS0_8identityIfEEEE10hipError_tT2_T3_mT4_P12ihipStream_tbEUlT_E_NS1_11comp_targetILNS1_3genE5ELNS1_11target_archE942ELNS1_3gpuE9ELNS1_3repE0EEENS1_30default_config_static_selectorELNS0_4arch9wavefront6targetE1EEEvT1_
		.amdhsa_group_segment_fixed_size 0
		.amdhsa_private_segment_fixed_size 0
		.amdhsa_kernarg_size 40
		.amdhsa_user_sgpr_count 6
		.amdhsa_user_sgpr_private_segment_buffer 1
		.amdhsa_user_sgpr_dispatch_ptr 0
		.amdhsa_user_sgpr_queue_ptr 0
		.amdhsa_user_sgpr_kernarg_segment_ptr 1
		.amdhsa_user_sgpr_dispatch_id 0
		.amdhsa_user_sgpr_flat_scratch_init 0
		.amdhsa_user_sgpr_kernarg_preload_length 0
		.amdhsa_user_sgpr_kernarg_preload_offset 0
		.amdhsa_user_sgpr_private_segment_size 0
		.amdhsa_uses_dynamic_stack 0
		.amdhsa_system_sgpr_private_segment_wavefront_offset 0
		.amdhsa_system_sgpr_workgroup_id_x 1
		.amdhsa_system_sgpr_workgroup_id_y 0
		.amdhsa_system_sgpr_workgroup_id_z 0
		.amdhsa_system_sgpr_workgroup_info 0
		.amdhsa_system_vgpr_workitem_id 0
		.amdhsa_next_free_vgpr 1
		.amdhsa_next_free_sgpr 0
		.amdhsa_accum_offset 4
		.amdhsa_reserve_vcc 0
		.amdhsa_reserve_flat_scratch 0
		.amdhsa_float_round_mode_32 0
		.amdhsa_float_round_mode_16_64 0
		.amdhsa_float_denorm_mode_32 3
		.amdhsa_float_denorm_mode_16_64 3
		.amdhsa_dx10_clamp 1
		.amdhsa_ieee_mode 1
		.amdhsa_fp16_overflow 0
		.amdhsa_tg_split 0
		.amdhsa_exception_fp_ieee_invalid_op 0
		.amdhsa_exception_fp_denorm_src 0
		.amdhsa_exception_fp_ieee_div_zero 0
		.amdhsa_exception_fp_ieee_overflow 0
		.amdhsa_exception_fp_ieee_underflow 0
		.amdhsa_exception_fp_ieee_inexact 0
		.amdhsa_exception_int_div_zero 0
	.end_amdhsa_kernel
	.section	.text._ZN7rocprim17ROCPRIM_400000_NS6detail17trampoline_kernelINS0_14default_configENS1_25transform_config_selectorIfLb1EEEZNS1_14transform_implILb1ES3_S5_PfS7_NS0_8identityIfEEEE10hipError_tT2_T3_mT4_P12ihipStream_tbEUlT_E_NS1_11comp_targetILNS1_3genE5ELNS1_11target_archE942ELNS1_3gpuE9ELNS1_3repE0EEENS1_30default_config_static_selectorELNS0_4arch9wavefront6targetE1EEEvT1_,"axG",@progbits,_ZN7rocprim17ROCPRIM_400000_NS6detail17trampoline_kernelINS0_14default_configENS1_25transform_config_selectorIfLb1EEEZNS1_14transform_implILb1ES3_S5_PfS7_NS0_8identityIfEEEE10hipError_tT2_T3_mT4_P12ihipStream_tbEUlT_E_NS1_11comp_targetILNS1_3genE5ELNS1_11target_archE942ELNS1_3gpuE9ELNS1_3repE0EEENS1_30default_config_static_selectorELNS0_4arch9wavefront6targetE1EEEvT1_,comdat
.Lfunc_end1424:
	.size	_ZN7rocprim17ROCPRIM_400000_NS6detail17trampoline_kernelINS0_14default_configENS1_25transform_config_selectorIfLb1EEEZNS1_14transform_implILb1ES3_S5_PfS7_NS0_8identityIfEEEE10hipError_tT2_T3_mT4_P12ihipStream_tbEUlT_E_NS1_11comp_targetILNS1_3genE5ELNS1_11target_archE942ELNS1_3gpuE9ELNS1_3repE0EEENS1_30default_config_static_selectorELNS0_4arch9wavefront6targetE1EEEvT1_, .Lfunc_end1424-_ZN7rocprim17ROCPRIM_400000_NS6detail17trampoline_kernelINS0_14default_configENS1_25transform_config_selectorIfLb1EEEZNS1_14transform_implILb1ES3_S5_PfS7_NS0_8identityIfEEEE10hipError_tT2_T3_mT4_P12ihipStream_tbEUlT_E_NS1_11comp_targetILNS1_3genE5ELNS1_11target_archE942ELNS1_3gpuE9ELNS1_3repE0EEENS1_30default_config_static_selectorELNS0_4arch9wavefront6targetE1EEEvT1_
                                        ; -- End function
	.section	.AMDGPU.csdata,"",@progbits
; Kernel info:
; codeLenInByte = 0
; NumSgprs: 4
; NumVgprs: 0
; NumAgprs: 0
; TotalNumVgprs: 0
; ScratchSize: 0
; MemoryBound: 0
; FloatMode: 240
; IeeeMode: 1
; LDSByteSize: 0 bytes/workgroup (compile time only)
; SGPRBlocks: 0
; VGPRBlocks: 0
; NumSGPRsForWavesPerEU: 4
; NumVGPRsForWavesPerEU: 1
; AccumOffset: 4
; Occupancy: 8
; WaveLimiterHint : 0
; COMPUTE_PGM_RSRC2:SCRATCH_EN: 0
; COMPUTE_PGM_RSRC2:USER_SGPR: 6
; COMPUTE_PGM_RSRC2:TRAP_HANDLER: 0
; COMPUTE_PGM_RSRC2:TGID_X_EN: 1
; COMPUTE_PGM_RSRC2:TGID_Y_EN: 0
; COMPUTE_PGM_RSRC2:TGID_Z_EN: 0
; COMPUTE_PGM_RSRC2:TIDIG_COMP_CNT: 0
; COMPUTE_PGM_RSRC3_GFX90A:ACCUM_OFFSET: 0
; COMPUTE_PGM_RSRC3_GFX90A:TG_SPLIT: 0
	.section	.text._ZN7rocprim17ROCPRIM_400000_NS6detail17trampoline_kernelINS0_14default_configENS1_25transform_config_selectorIfLb1EEEZNS1_14transform_implILb1ES3_S5_PfS7_NS0_8identityIfEEEE10hipError_tT2_T3_mT4_P12ihipStream_tbEUlT_E_NS1_11comp_targetILNS1_3genE4ELNS1_11target_archE910ELNS1_3gpuE8ELNS1_3repE0EEENS1_30default_config_static_selectorELNS0_4arch9wavefront6targetE1EEEvT1_,"axG",@progbits,_ZN7rocprim17ROCPRIM_400000_NS6detail17trampoline_kernelINS0_14default_configENS1_25transform_config_selectorIfLb1EEEZNS1_14transform_implILb1ES3_S5_PfS7_NS0_8identityIfEEEE10hipError_tT2_T3_mT4_P12ihipStream_tbEUlT_E_NS1_11comp_targetILNS1_3genE4ELNS1_11target_archE910ELNS1_3gpuE8ELNS1_3repE0EEENS1_30default_config_static_selectorELNS0_4arch9wavefront6targetE1EEEvT1_,comdat
	.protected	_ZN7rocprim17ROCPRIM_400000_NS6detail17trampoline_kernelINS0_14default_configENS1_25transform_config_selectorIfLb1EEEZNS1_14transform_implILb1ES3_S5_PfS7_NS0_8identityIfEEEE10hipError_tT2_T3_mT4_P12ihipStream_tbEUlT_E_NS1_11comp_targetILNS1_3genE4ELNS1_11target_archE910ELNS1_3gpuE8ELNS1_3repE0EEENS1_30default_config_static_selectorELNS0_4arch9wavefront6targetE1EEEvT1_ ; -- Begin function _ZN7rocprim17ROCPRIM_400000_NS6detail17trampoline_kernelINS0_14default_configENS1_25transform_config_selectorIfLb1EEEZNS1_14transform_implILb1ES3_S5_PfS7_NS0_8identityIfEEEE10hipError_tT2_T3_mT4_P12ihipStream_tbEUlT_E_NS1_11comp_targetILNS1_3genE4ELNS1_11target_archE910ELNS1_3gpuE8ELNS1_3repE0EEENS1_30default_config_static_selectorELNS0_4arch9wavefront6targetE1EEEvT1_
	.globl	_ZN7rocprim17ROCPRIM_400000_NS6detail17trampoline_kernelINS0_14default_configENS1_25transform_config_selectorIfLb1EEEZNS1_14transform_implILb1ES3_S5_PfS7_NS0_8identityIfEEEE10hipError_tT2_T3_mT4_P12ihipStream_tbEUlT_E_NS1_11comp_targetILNS1_3genE4ELNS1_11target_archE910ELNS1_3gpuE8ELNS1_3repE0EEENS1_30default_config_static_selectorELNS0_4arch9wavefront6targetE1EEEvT1_
	.p2align	8
	.type	_ZN7rocprim17ROCPRIM_400000_NS6detail17trampoline_kernelINS0_14default_configENS1_25transform_config_selectorIfLb1EEEZNS1_14transform_implILb1ES3_S5_PfS7_NS0_8identityIfEEEE10hipError_tT2_T3_mT4_P12ihipStream_tbEUlT_E_NS1_11comp_targetILNS1_3genE4ELNS1_11target_archE910ELNS1_3gpuE8ELNS1_3repE0EEENS1_30default_config_static_selectorELNS0_4arch9wavefront6targetE1EEEvT1_,@function
_ZN7rocprim17ROCPRIM_400000_NS6detail17trampoline_kernelINS0_14default_configENS1_25transform_config_selectorIfLb1EEEZNS1_14transform_implILb1ES3_S5_PfS7_NS0_8identityIfEEEE10hipError_tT2_T3_mT4_P12ihipStream_tbEUlT_E_NS1_11comp_targetILNS1_3genE4ELNS1_11target_archE910ELNS1_3gpuE8ELNS1_3repE0EEENS1_30default_config_static_selectorELNS0_4arch9wavefront6targetE1EEEvT1_: ; @_ZN7rocprim17ROCPRIM_400000_NS6detail17trampoline_kernelINS0_14default_configENS1_25transform_config_selectorIfLb1EEEZNS1_14transform_implILb1ES3_S5_PfS7_NS0_8identityIfEEEE10hipError_tT2_T3_mT4_P12ihipStream_tbEUlT_E_NS1_11comp_targetILNS1_3genE4ELNS1_11target_archE910ELNS1_3gpuE8ELNS1_3repE0EEENS1_30default_config_static_selectorELNS0_4arch9wavefront6targetE1EEEvT1_
; %bb.0:
	s_load_dwordx8 s[8:15], s[4:5], 0x0
	s_load_dword s2, s[4:5], 0x28
	s_waitcnt lgkmcnt(0)
	s_lshl_b64 s[0:1], s[10:11], 2
	s_add_u32 s3, s8, s0
	s_addc_u32 s4, s9, s1
	s_add_u32 s13, s14, s0
	s_addc_u32 s14, s15, s1
	s_lshl_b32 s0, s6, 12
	s_mov_b32 s1, 0
	s_add_i32 s2, s2, -1
	s_lshl_b64 s[8:9], s[0:1], 2
	s_add_u32 s10, s3, s8
	s_addc_u32 s11, s4, s9
	s_cmp_lg_u32 s6, s2
	s_mov_b64 s[2:3], -1
	s_cbranch_scc0 .LBB1425_2
; %bb.1:
	v_lshlrev_b32_e32 v1, 4, v0
	global_load_dwordx4 v[2:5], v1, s[10:11]
	s_add_u32 s2, s13, s8
	s_addc_u32 s3, s14, s9
	s_waitcnt vmcnt(0)
	global_store_dwordx4 v1, v[2:5], s[2:3]
	s_mov_b64 s[2:3], 0
.LBB1425_2:
	s_andn2_b64 vcc, exec, s[2:3]
	s_cbranch_vccnz .LBB1425_16
; %bb.3:
	s_sub_i32 s6, s12, s0
	v_cmp_gt_u32_e32 vcc, s6, v0
	v_lshlrev_b32_e32 v1, 2, v0
                                        ; implicit-def: $vgpr2_vgpr3_vgpr4_vgpr5
	s_and_saveexec_b64 s[0:1], vcc
	s_cbranch_execz .LBB1425_5
; %bb.4:
	global_load_dword v2, v1, s[10:11]
.LBB1425_5:
	s_or_b64 exec, exec, s[0:1]
	v_or_b32_e32 v6, 0x400, v0
	v_cmp_gt_u32_e64 s[4:5], s6, v6
	s_and_saveexec_b64 s[0:1], s[4:5]
	s_cbranch_execz .LBB1425_7
; %bb.6:
	v_lshlrev_b32_e32 v3, 2, v6
	global_load_dword v3, v3, s[10:11]
.LBB1425_7:
	s_or_b64 exec, exec, s[0:1]
	v_or_b32_e32 v6, 0x800, v0
	v_cmp_gt_u32_e64 s[0:1], s6, v6
	s_and_saveexec_b64 s[2:3], s[0:1]
	s_cbranch_execz .LBB1425_9
; %bb.8:
	v_lshlrev_b32_e32 v4, 2, v6
	global_load_dword v4, v4, s[10:11]
.LBB1425_9:
	;; [unrolled: 9-line block ×3, first 2 shown]
	s_or_b64 exec, exec, s[6:7]
	s_add_u32 s6, s13, s8
	s_addc_u32 s7, s14, s9
	v_mov_b32_e32 v6, s7
	v_add_co_u32_e64 v0, s[6:7], s6, v1
	v_addc_co_u32_e64 v1, s[6:7], 0, v6, s[6:7]
	s_and_saveexec_b64 s[6:7], vcc
	s_cbranch_execnz .LBB1425_17
; %bb.12:
	s_or_b64 exec, exec, s[6:7]
	s_and_saveexec_b64 s[6:7], s[4:5]
	s_cbranch_execnz .LBB1425_18
.LBB1425_13:
	s_or_b64 exec, exec, s[6:7]
	s_and_saveexec_b64 s[4:5], s[0:1]
	s_cbranch_execnz .LBB1425_19
.LBB1425_14:
	s_or_b64 exec, exec, s[4:5]
	s_and_saveexec_b64 s[0:1], s[2:3]
	s_cbranch_execz .LBB1425_16
.LBB1425_15:
	v_add_co_u32_e32 v0, vcc, 0x3000, v0
	s_waitcnt vmcnt(0)
	v_cndmask_b32_e64 v2, v5, v5, s[2:3]
	v_addc_co_u32_e32 v1, vcc, 0, v1, vcc
	global_store_dword v[0:1], v2, off
.LBB1425_16:
	s_endpgm
.LBB1425_17:
	s_waitcnt vmcnt(0)
	global_store_dword v[0:1], v2, off
	s_or_b64 exec, exec, s[6:7]
	s_and_saveexec_b64 s[6:7], s[4:5]
	s_cbranch_execz .LBB1425_13
.LBB1425_18:
	v_add_co_u32_e32 v6, vcc, 0x1000, v0
	v_addc_co_u32_e32 v7, vcc, 0, v1, vcc
	s_waitcnt vmcnt(0)
	global_store_dword v[6:7], v3, off
	s_or_b64 exec, exec, s[6:7]
	s_and_saveexec_b64 s[4:5], s[0:1]
	s_cbranch_execz .LBB1425_14
.LBB1425_19:
	s_waitcnt vmcnt(0)
	v_add_co_u32_e32 v2, vcc, 0x2000, v0
	v_cndmask_b32_e64 v4, v4, v4, s[0:1]
	v_addc_co_u32_e32 v3, vcc, 0, v1, vcc
	global_store_dword v[2:3], v4, off
	s_or_b64 exec, exec, s[4:5]
	s_and_saveexec_b64 s[0:1], s[2:3]
	s_cbranch_execnz .LBB1425_15
	s_branch .LBB1425_16
	.section	.rodata,"a",@progbits
	.p2align	6, 0x0
	.amdhsa_kernel _ZN7rocprim17ROCPRIM_400000_NS6detail17trampoline_kernelINS0_14default_configENS1_25transform_config_selectorIfLb1EEEZNS1_14transform_implILb1ES3_S5_PfS7_NS0_8identityIfEEEE10hipError_tT2_T3_mT4_P12ihipStream_tbEUlT_E_NS1_11comp_targetILNS1_3genE4ELNS1_11target_archE910ELNS1_3gpuE8ELNS1_3repE0EEENS1_30default_config_static_selectorELNS0_4arch9wavefront6targetE1EEEvT1_
		.amdhsa_group_segment_fixed_size 0
		.amdhsa_private_segment_fixed_size 0
		.amdhsa_kernarg_size 296
		.amdhsa_user_sgpr_count 6
		.amdhsa_user_sgpr_private_segment_buffer 1
		.amdhsa_user_sgpr_dispatch_ptr 0
		.amdhsa_user_sgpr_queue_ptr 0
		.amdhsa_user_sgpr_kernarg_segment_ptr 1
		.amdhsa_user_sgpr_dispatch_id 0
		.amdhsa_user_sgpr_flat_scratch_init 0
		.amdhsa_user_sgpr_kernarg_preload_length 0
		.amdhsa_user_sgpr_kernarg_preload_offset 0
		.amdhsa_user_sgpr_private_segment_size 0
		.amdhsa_uses_dynamic_stack 0
		.amdhsa_system_sgpr_private_segment_wavefront_offset 0
		.amdhsa_system_sgpr_workgroup_id_x 1
		.amdhsa_system_sgpr_workgroup_id_y 0
		.amdhsa_system_sgpr_workgroup_id_z 0
		.amdhsa_system_sgpr_workgroup_info 0
		.amdhsa_system_vgpr_workitem_id 0
		.amdhsa_next_free_vgpr 8
		.amdhsa_next_free_sgpr 16
		.amdhsa_accum_offset 8
		.amdhsa_reserve_vcc 1
		.amdhsa_reserve_flat_scratch 0
		.amdhsa_float_round_mode_32 0
		.amdhsa_float_round_mode_16_64 0
		.amdhsa_float_denorm_mode_32 3
		.amdhsa_float_denorm_mode_16_64 3
		.amdhsa_dx10_clamp 1
		.amdhsa_ieee_mode 1
		.amdhsa_fp16_overflow 0
		.amdhsa_tg_split 0
		.amdhsa_exception_fp_ieee_invalid_op 0
		.amdhsa_exception_fp_denorm_src 0
		.amdhsa_exception_fp_ieee_div_zero 0
		.amdhsa_exception_fp_ieee_overflow 0
		.amdhsa_exception_fp_ieee_underflow 0
		.amdhsa_exception_fp_ieee_inexact 0
		.amdhsa_exception_int_div_zero 0
	.end_amdhsa_kernel
	.section	.text._ZN7rocprim17ROCPRIM_400000_NS6detail17trampoline_kernelINS0_14default_configENS1_25transform_config_selectorIfLb1EEEZNS1_14transform_implILb1ES3_S5_PfS7_NS0_8identityIfEEEE10hipError_tT2_T3_mT4_P12ihipStream_tbEUlT_E_NS1_11comp_targetILNS1_3genE4ELNS1_11target_archE910ELNS1_3gpuE8ELNS1_3repE0EEENS1_30default_config_static_selectorELNS0_4arch9wavefront6targetE1EEEvT1_,"axG",@progbits,_ZN7rocprim17ROCPRIM_400000_NS6detail17trampoline_kernelINS0_14default_configENS1_25transform_config_selectorIfLb1EEEZNS1_14transform_implILb1ES3_S5_PfS7_NS0_8identityIfEEEE10hipError_tT2_T3_mT4_P12ihipStream_tbEUlT_E_NS1_11comp_targetILNS1_3genE4ELNS1_11target_archE910ELNS1_3gpuE8ELNS1_3repE0EEENS1_30default_config_static_selectorELNS0_4arch9wavefront6targetE1EEEvT1_,comdat
.Lfunc_end1425:
	.size	_ZN7rocprim17ROCPRIM_400000_NS6detail17trampoline_kernelINS0_14default_configENS1_25transform_config_selectorIfLb1EEEZNS1_14transform_implILb1ES3_S5_PfS7_NS0_8identityIfEEEE10hipError_tT2_T3_mT4_P12ihipStream_tbEUlT_E_NS1_11comp_targetILNS1_3genE4ELNS1_11target_archE910ELNS1_3gpuE8ELNS1_3repE0EEENS1_30default_config_static_selectorELNS0_4arch9wavefront6targetE1EEEvT1_, .Lfunc_end1425-_ZN7rocprim17ROCPRIM_400000_NS6detail17trampoline_kernelINS0_14default_configENS1_25transform_config_selectorIfLb1EEEZNS1_14transform_implILb1ES3_S5_PfS7_NS0_8identityIfEEEE10hipError_tT2_T3_mT4_P12ihipStream_tbEUlT_E_NS1_11comp_targetILNS1_3genE4ELNS1_11target_archE910ELNS1_3gpuE8ELNS1_3repE0EEENS1_30default_config_static_selectorELNS0_4arch9wavefront6targetE1EEEvT1_
                                        ; -- End function
	.section	.AMDGPU.csdata,"",@progbits
; Kernel info:
; codeLenInByte = 488
; NumSgprs: 20
; NumVgprs: 8
; NumAgprs: 0
; TotalNumVgprs: 8
; ScratchSize: 0
; MemoryBound: 1
; FloatMode: 240
; IeeeMode: 1
; LDSByteSize: 0 bytes/workgroup (compile time only)
; SGPRBlocks: 2
; VGPRBlocks: 0
; NumSGPRsForWavesPerEU: 20
; NumVGPRsForWavesPerEU: 8
; AccumOffset: 8
; Occupancy: 8
; WaveLimiterHint : 0
; COMPUTE_PGM_RSRC2:SCRATCH_EN: 0
; COMPUTE_PGM_RSRC2:USER_SGPR: 6
; COMPUTE_PGM_RSRC2:TRAP_HANDLER: 0
; COMPUTE_PGM_RSRC2:TGID_X_EN: 1
; COMPUTE_PGM_RSRC2:TGID_Y_EN: 0
; COMPUTE_PGM_RSRC2:TGID_Z_EN: 0
; COMPUTE_PGM_RSRC2:TIDIG_COMP_CNT: 0
; COMPUTE_PGM_RSRC3_GFX90A:ACCUM_OFFSET: 1
; COMPUTE_PGM_RSRC3_GFX90A:TG_SPLIT: 0
	.section	.text._ZN7rocprim17ROCPRIM_400000_NS6detail17trampoline_kernelINS0_14default_configENS1_25transform_config_selectorIfLb1EEEZNS1_14transform_implILb1ES3_S5_PfS7_NS0_8identityIfEEEE10hipError_tT2_T3_mT4_P12ihipStream_tbEUlT_E_NS1_11comp_targetILNS1_3genE3ELNS1_11target_archE908ELNS1_3gpuE7ELNS1_3repE0EEENS1_30default_config_static_selectorELNS0_4arch9wavefront6targetE1EEEvT1_,"axG",@progbits,_ZN7rocprim17ROCPRIM_400000_NS6detail17trampoline_kernelINS0_14default_configENS1_25transform_config_selectorIfLb1EEEZNS1_14transform_implILb1ES3_S5_PfS7_NS0_8identityIfEEEE10hipError_tT2_T3_mT4_P12ihipStream_tbEUlT_E_NS1_11comp_targetILNS1_3genE3ELNS1_11target_archE908ELNS1_3gpuE7ELNS1_3repE0EEENS1_30default_config_static_selectorELNS0_4arch9wavefront6targetE1EEEvT1_,comdat
	.protected	_ZN7rocprim17ROCPRIM_400000_NS6detail17trampoline_kernelINS0_14default_configENS1_25transform_config_selectorIfLb1EEEZNS1_14transform_implILb1ES3_S5_PfS7_NS0_8identityIfEEEE10hipError_tT2_T3_mT4_P12ihipStream_tbEUlT_E_NS1_11comp_targetILNS1_3genE3ELNS1_11target_archE908ELNS1_3gpuE7ELNS1_3repE0EEENS1_30default_config_static_selectorELNS0_4arch9wavefront6targetE1EEEvT1_ ; -- Begin function _ZN7rocprim17ROCPRIM_400000_NS6detail17trampoline_kernelINS0_14default_configENS1_25transform_config_selectorIfLb1EEEZNS1_14transform_implILb1ES3_S5_PfS7_NS0_8identityIfEEEE10hipError_tT2_T3_mT4_P12ihipStream_tbEUlT_E_NS1_11comp_targetILNS1_3genE3ELNS1_11target_archE908ELNS1_3gpuE7ELNS1_3repE0EEENS1_30default_config_static_selectorELNS0_4arch9wavefront6targetE1EEEvT1_
	.globl	_ZN7rocprim17ROCPRIM_400000_NS6detail17trampoline_kernelINS0_14default_configENS1_25transform_config_selectorIfLb1EEEZNS1_14transform_implILb1ES3_S5_PfS7_NS0_8identityIfEEEE10hipError_tT2_T3_mT4_P12ihipStream_tbEUlT_E_NS1_11comp_targetILNS1_3genE3ELNS1_11target_archE908ELNS1_3gpuE7ELNS1_3repE0EEENS1_30default_config_static_selectorELNS0_4arch9wavefront6targetE1EEEvT1_
	.p2align	8
	.type	_ZN7rocprim17ROCPRIM_400000_NS6detail17trampoline_kernelINS0_14default_configENS1_25transform_config_selectorIfLb1EEEZNS1_14transform_implILb1ES3_S5_PfS7_NS0_8identityIfEEEE10hipError_tT2_T3_mT4_P12ihipStream_tbEUlT_E_NS1_11comp_targetILNS1_3genE3ELNS1_11target_archE908ELNS1_3gpuE7ELNS1_3repE0EEENS1_30default_config_static_selectorELNS0_4arch9wavefront6targetE1EEEvT1_,@function
_ZN7rocprim17ROCPRIM_400000_NS6detail17trampoline_kernelINS0_14default_configENS1_25transform_config_selectorIfLb1EEEZNS1_14transform_implILb1ES3_S5_PfS7_NS0_8identityIfEEEE10hipError_tT2_T3_mT4_P12ihipStream_tbEUlT_E_NS1_11comp_targetILNS1_3genE3ELNS1_11target_archE908ELNS1_3gpuE7ELNS1_3repE0EEENS1_30default_config_static_selectorELNS0_4arch9wavefront6targetE1EEEvT1_: ; @_ZN7rocprim17ROCPRIM_400000_NS6detail17trampoline_kernelINS0_14default_configENS1_25transform_config_selectorIfLb1EEEZNS1_14transform_implILb1ES3_S5_PfS7_NS0_8identityIfEEEE10hipError_tT2_T3_mT4_P12ihipStream_tbEUlT_E_NS1_11comp_targetILNS1_3genE3ELNS1_11target_archE908ELNS1_3gpuE7ELNS1_3repE0EEENS1_30default_config_static_selectorELNS0_4arch9wavefront6targetE1EEEvT1_
; %bb.0:
	.section	.rodata,"a",@progbits
	.p2align	6, 0x0
	.amdhsa_kernel _ZN7rocprim17ROCPRIM_400000_NS6detail17trampoline_kernelINS0_14default_configENS1_25transform_config_selectorIfLb1EEEZNS1_14transform_implILb1ES3_S5_PfS7_NS0_8identityIfEEEE10hipError_tT2_T3_mT4_P12ihipStream_tbEUlT_E_NS1_11comp_targetILNS1_3genE3ELNS1_11target_archE908ELNS1_3gpuE7ELNS1_3repE0EEENS1_30default_config_static_selectorELNS0_4arch9wavefront6targetE1EEEvT1_
		.amdhsa_group_segment_fixed_size 0
		.amdhsa_private_segment_fixed_size 0
		.amdhsa_kernarg_size 40
		.amdhsa_user_sgpr_count 6
		.amdhsa_user_sgpr_private_segment_buffer 1
		.amdhsa_user_sgpr_dispatch_ptr 0
		.amdhsa_user_sgpr_queue_ptr 0
		.amdhsa_user_sgpr_kernarg_segment_ptr 1
		.amdhsa_user_sgpr_dispatch_id 0
		.amdhsa_user_sgpr_flat_scratch_init 0
		.amdhsa_user_sgpr_kernarg_preload_length 0
		.amdhsa_user_sgpr_kernarg_preload_offset 0
		.amdhsa_user_sgpr_private_segment_size 0
		.amdhsa_uses_dynamic_stack 0
		.amdhsa_system_sgpr_private_segment_wavefront_offset 0
		.amdhsa_system_sgpr_workgroup_id_x 1
		.amdhsa_system_sgpr_workgroup_id_y 0
		.amdhsa_system_sgpr_workgroup_id_z 0
		.amdhsa_system_sgpr_workgroup_info 0
		.amdhsa_system_vgpr_workitem_id 0
		.amdhsa_next_free_vgpr 1
		.amdhsa_next_free_sgpr 0
		.amdhsa_accum_offset 4
		.amdhsa_reserve_vcc 0
		.amdhsa_reserve_flat_scratch 0
		.amdhsa_float_round_mode_32 0
		.amdhsa_float_round_mode_16_64 0
		.amdhsa_float_denorm_mode_32 3
		.amdhsa_float_denorm_mode_16_64 3
		.amdhsa_dx10_clamp 1
		.amdhsa_ieee_mode 1
		.amdhsa_fp16_overflow 0
		.amdhsa_tg_split 0
		.amdhsa_exception_fp_ieee_invalid_op 0
		.amdhsa_exception_fp_denorm_src 0
		.amdhsa_exception_fp_ieee_div_zero 0
		.amdhsa_exception_fp_ieee_overflow 0
		.amdhsa_exception_fp_ieee_underflow 0
		.amdhsa_exception_fp_ieee_inexact 0
		.amdhsa_exception_int_div_zero 0
	.end_amdhsa_kernel
	.section	.text._ZN7rocprim17ROCPRIM_400000_NS6detail17trampoline_kernelINS0_14default_configENS1_25transform_config_selectorIfLb1EEEZNS1_14transform_implILb1ES3_S5_PfS7_NS0_8identityIfEEEE10hipError_tT2_T3_mT4_P12ihipStream_tbEUlT_E_NS1_11comp_targetILNS1_3genE3ELNS1_11target_archE908ELNS1_3gpuE7ELNS1_3repE0EEENS1_30default_config_static_selectorELNS0_4arch9wavefront6targetE1EEEvT1_,"axG",@progbits,_ZN7rocprim17ROCPRIM_400000_NS6detail17trampoline_kernelINS0_14default_configENS1_25transform_config_selectorIfLb1EEEZNS1_14transform_implILb1ES3_S5_PfS7_NS0_8identityIfEEEE10hipError_tT2_T3_mT4_P12ihipStream_tbEUlT_E_NS1_11comp_targetILNS1_3genE3ELNS1_11target_archE908ELNS1_3gpuE7ELNS1_3repE0EEENS1_30default_config_static_selectorELNS0_4arch9wavefront6targetE1EEEvT1_,comdat
.Lfunc_end1426:
	.size	_ZN7rocprim17ROCPRIM_400000_NS6detail17trampoline_kernelINS0_14default_configENS1_25transform_config_selectorIfLb1EEEZNS1_14transform_implILb1ES3_S5_PfS7_NS0_8identityIfEEEE10hipError_tT2_T3_mT4_P12ihipStream_tbEUlT_E_NS1_11comp_targetILNS1_3genE3ELNS1_11target_archE908ELNS1_3gpuE7ELNS1_3repE0EEENS1_30default_config_static_selectorELNS0_4arch9wavefront6targetE1EEEvT1_, .Lfunc_end1426-_ZN7rocprim17ROCPRIM_400000_NS6detail17trampoline_kernelINS0_14default_configENS1_25transform_config_selectorIfLb1EEEZNS1_14transform_implILb1ES3_S5_PfS7_NS0_8identityIfEEEE10hipError_tT2_T3_mT4_P12ihipStream_tbEUlT_E_NS1_11comp_targetILNS1_3genE3ELNS1_11target_archE908ELNS1_3gpuE7ELNS1_3repE0EEENS1_30default_config_static_selectorELNS0_4arch9wavefront6targetE1EEEvT1_
                                        ; -- End function
	.section	.AMDGPU.csdata,"",@progbits
; Kernel info:
; codeLenInByte = 0
; NumSgprs: 4
; NumVgprs: 0
; NumAgprs: 0
; TotalNumVgprs: 0
; ScratchSize: 0
; MemoryBound: 0
; FloatMode: 240
; IeeeMode: 1
; LDSByteSize: 0 bytes/workgroup (compile time only)
; SGPRBlocks: 0
; VGPRBlocks: 0
; NumSGPRsForWavesPerEU: 4
; NumVGPRsForWavesPerEU: 1
; AccumOffset: 4
; Occupancy: 8
; WaveLimiterHint : 0
; COMPUTE_PGM_RSRC2:SCRATCH_EN: 0
; COMPUTE_PGM_RSRC2:USER_SGPR: 6
; COMPUTE_PGM_RSRC2:TRAP_HANDLER: 0
; COMPUTE_PGM_RSRC2:TGID_X_EN: 1
; COMPUTE_PGM_RSRC2:TGID_Y_EN: 0
; COMPUTE_PGM_RSRC2:TGID_Z_EN: 0
; COMPUTE_PGM_RSRC2:TIDIG_COMP_CNT: 0
; COMPUTE_PGM_RSRC3_GFX90A:ACCUM_OFFSET: 0
; COMPUTE_PGM_RSRC3_GFX90A:TG_SPLIT: 0
	.section	.text._ZN7rocprim17ROCPRIM_400000_NS6detail17trampoline_kernelINS0_14default_configENS1_25transform_config_selectorIfLb1EEEZNS1_14transform_implILb1ES3_S5_PfS7_NS0_8identityIfEEEE10hipError_tT2_T3_mT4_P12ihipStream_tbEUlT_E_NS1_11comp_targetILNS1_3genE2ELNS1_11target_archE906ELNS1_3gpuE6ELNS1_3repE0EEENS1_30default_config_static_selectorELNS0_4arch9wavefront6targetE1EEEvT1_,"axG",@progbits,_ZN7rocprim17ROCPRIM_400000_NS6detail17trampoline_kernelINS0_14default_configENS1_25transform_config_selectorIfLb1EEEZNS1_14transform_implILb1ES3_S5_PfS7_NS0_8identityIfEEEE10hipError_tT2_T3_mT4_P12ihipStream_tbEUlT_E_NS1_11comp_targetILNS1_3genE2ELNS1_11target_archE906ELNS1_3gpuE6ELNS1_3repE0EEENS1_30default_config_static_selectorELNS0_4arch9wavefront6targetE1EEEvT1_,comdat
	.protected	_ZN7rocprim17ROCPRIM_400000_NS6detail17trampoline_kernelINS0_14default_configENS1_25transform_config_selectorIfLb1EEEZNS1_14transform_implILb1ES3_S5_PfS7_NS0_8identityIfEEEE10hipError_tT2_T3_mT4_P12ihipStream_tbEUlT_E_NS1_11comp_targetILNS1_3genE2ELNS1_11target_archE906ELNS1_3gpuE6ELNS1_3repE0EEENS1_30default_config_static_selectorELNS0_4arch9wavefront6targetE1EEEvT1_ ; -- Begin function _ZN7rocprim17ROCPRIM_400000_NS6detail17trampoline_kernelINS0_14default_configENS1_25transform_config_selectorIfLb1EEEZNS1_14transform_implILb1ES3_S5_PfS7_NS0_8identityIfEEEE10hipError_tT2_T3_mT4_P12ihipStream_tbEUlT_E_NS1_11comp_targetILNS1_3genE2ELNS1_11target_archE906ELNS1_3gpuE6ELNS1_3repE0EEENS1_30default_config_static_selectorELNS0_4arch9wavefront6targetE1EEEvT1_
	.globl	_ZN7rocprim17ROCPRIM_400000_NS6detail17trampoline_kernelINS0_14default_configENS1_25transform_config_selectorIfLb1EEEZNS1_14transform_implILb1ES3_S5_PfS7_NS0_8identityIfEEEE10hipError_tT2_T3_mT4_P12ihipStream_tbEUlT_E_NS1_11comp_targetILNS1_3genE2ELNS1_11target_archE906ELNS1_3gpuE6ELNS1_3repE0EEENS1_30default_config_static_selectorELNS0_4arch9wavefront6targetE1EEEvT1_
	.p2align	8
	.type	_ZN7rocprim17ROCPRIM_400000_NS6detail17trampoline_kernelINS0_14default_configENS1_25transform_config_selectorIfLb1EEEZNS1_14transform_implILb1ES3_S5_PfS7_NS0_8identityIfEEEE10hipError_tT2_T3_mT4_P12ihipStream_tbEUlT_E_NS1_11comp_targetILNS1_3genE2ELNS1_11target_archE906ELNS1_3gpuE6ELNS1_3repE0EEENS1_30default_config_static_selectorELNS0_4arch9wavefront6targetE1EEEvT1_,@function
_ZN7rocprim17ROCPRIM_400000_NS6detail17trampoline_kernelINS0_14default_configENS1_25transform_config_selectorIfLb1EEEZNS1_14transform_implILb1ES3_S5_PfS7_NS0_8identityIfEEEE10hipError_tT2_T3_mT4_P12ihipStream_tbEUlT_E_NS1_11comp_targetILNS1_3genE2ELNS1_11target_archE906ELNS1_3gpuE6ELNS1_3repE0EEENS1_30default_config_static_selectorELNS0_4arch9wavefront6targetE1EEEvT1_: ; @_ZN7rocprim17ROCPRIM_400000_NS6detail17trampoline_kernelINS0_14default_configENS1_25transform_config_selectorIfLb1EEEZNS1_14transform_implILb1ES3_S5_PfS7_NS0_8identityIfEEEE10hipError_tT2_T3_mT4_P12ihipStream_tbEUlT_E_NS1_11comp_targetILNS1_3genE2ELNS1_11target_archE906ELNS1_3gpuE6ELNS1_3repE0EEENS1_30default_config_static_selectorELNS0_4arch9wavefront6targetE1EEEvT1_
; %bb.0:
	.section	.rodata,"a",@progbits
	.p2align	6, 0x0
	.amdhsa_kernel _ZN7rocprim17ROCPRIM_400000_NS6detail17trampoline_kernelINS0_14default_configENS1_25transform_config_selectorIfLb1EEEZNS1_14transform_implILb1ES3_S5_PfS7_NS0_8identityIfEEEE10hipError_tT2_T3_mT4_P12ihipStream_tbEUlT_E_NS1_11comp_targetILNS1_3genE2ELNS1_11target_archE906ELNS1_3gpuE6ELNS1_3repE0EEENS1_30default_config_static_selectorELNS0_4arch9wavefront6targetE1EEEvT1_
		.amdhsa_group_segment_fixed_size 0
		.amdhsa_private_segment_fixed_size 0
		.amdhsa_kernarg_size 40
		.amdhsa_user_sgpr_count 6
		.amdhsa_user_sgpr_private_segment_buffer 1
		.amdhsa_user_sgpr_dispatch_ptr 0
		.amdhsa_user_sgpr_queue_ptr 0
		.amdhsa_user_sgpr_kernarg_segment_ptr 1
		.amdhsa_user_sgpr_dispatch_id 0
		.amdhsa_user_sgpr_flat_scratch_init 0
		.amdhsa_user_sgpr_kernarg_preload_length 0
		.amdhsa_user_sgpr_kernarg_preload_offset 0
		.amdhsa_user_sgpr_private_segment_size 0
		.amdhsa_uses_dynamic_stack 0
		.amdhsa_system_sgpr_private_segment_wavefront_offset 0
		.amdhsa_system_sgpr_workgroup_id_x 1
		.amdhsa_system_sgpr_workgroup_id_y 0
		.amdhsa_system_sgpr_workgroup_id_z 0
		.amdhsa_system_sgpr_workgroup_info 0
		.amdhsa_system_vgpr_workitem_id 0
		.amdhsa_next_free_vgpr 1
		.amdhsa_next_free_sgpr 0
		.amdhsa_accum_offset 4
		.amdhsa_reserve_vcc 0
		.amdhsa_reserve_flat_scratch 0
		.amdhsa_float_round_mode_32 0
		.amdhsa_float_round_mode_16_64 0
		.amdhsa_float_denorm_mode_32 3
		.amdhsa_float_denorm_mode_16_64 3
		.amdhsa_dx10_clamp 1
		.amdhsa_ieee_mode 1
		.amdhsa_fp16_overflow 0
		.amdhsa_tg_split 0
		.amdhsa_exception_fp_ieee_invalid_op 0
		.amdhsa_exception_fp_denorm_src 0
		.amdhsa_exception_fp_ieee_div_zero 0
		.amdhsa_exception_fp_ieee_overflow 0
		.amdhsa_exception_fp_ieee_underflow 0
		.amdhsa_exception_fp_ieee_inexact 0
		.amdhsa_exception_int_div_zero 0
	.end_amdhsa_kernel
	.section	.text._ZN7rocprim17ROCPRIM_400000_NS6detail17trampoline_kernelINS0_14default_configENS1_25transform_config_selectorIfLb1EEEZNS1_14transform_implILb1ES3_S5_PfS7_NS0_8identityIfEEEE10hipError_tT2_T3_mT4_P12ihipStream_tbEUlT_E_NS1_11comp_targetILNS1_3genE2ELNS1_11target_archE906ELNS1_3gpuE6ELNS1_3repE0EEENS1_30default_config_static_selectorELNS0_4arch9wavefront6targetE1EEEvT1_,"axG",@progbits,_ZN7rocprim17ROCPRIM_400000_NS6detail17trampoline_kernelINS0_14default_configENS1_25transform_config_selectorIfLb1EEEZNS1_14transform_implILb1ES3_S5_PfS7_NS0_8identityIfEEEE10hipError_tT2_T3_mT4_P12ihipStream_tbEUlT_E_NS1_11comp_targetILNS1_3genE2ELNS1_11target_archE906ELNS1_3gpuE6ELNS1_3repE0EEENS1_30default_config_static_selectorELNS0_4arch9wavefront6targetE1EEEvT1_,comdat
.Lfunc_end1427:
	.size	_ZN7rocprim17ROCPRIM_400000_NS6detail17trampoline_kernelINS0_14default_configENS1_25transform_config_selectorIfLb1EEEZNS1_14transform_implILb1ES3_S5_PfS7_NS0_8identityIfEEEE10hipError_tT2_T3_mT4_P12ihipStream_tbEUlT_E_NS1_11comp_targetILNS1_3genE2ELNS1_11target_archE906ELNS1_3gpuE6ELNS1_3repE0EEENS1_30default_config_static_selectorELNS0_4arch9wavefront6targetE1EEEvT1_, .Lfunc_end1427-_ZN7rocprim17ROCPRIM_400000_NS6detail17trampoline_kernelINS0_14default_configENS1_25transform_config_selectorIfLb1EEEZNS1_14transform_implILb1ES3_S5_PfS7_NS0_8identityIfEEEE10hipError_tT2_T3_mT4_P12ihipStream_tbEUlT_E_NS1_11comp_targetILNS1_3genE2ELNS1_11target_archE906ELNS1_3gpuE6ELNS1_3repE0EEENS1_30default_config_static_selectorELNS0_4arch9wavefront6targetE1EEEvT1_
                                        ; -- End function
	.section	.AMDGPU.csdata,"",@progbits
; Kernel info:
; codeLenInByte = 0
; NumSgprs: 4
; NumVgprs: 0
; NumAgprs: 0
; TotalNumVgprs: 0
; ScratchSize: 0
; MemoryBound: 0
; FloatMode: 240
; IeeeMode: 1
; LDSByteSize: 0 bytes/workgroup (compile time only)
; SGPRBlocks: 0
; VGPRBlocks: 0
; NumSGPRsForWavesPerEU: 4
; NumVGPRsForWavesPerEU: 1
; AccumOffset: 4
; Occupancy: 8
; WaveLimiterHint : 0
; COMPUTE_PGM_RSRC2:SCRATCH_EN: 0
; COMPUTE_PGM_RSRC2:USER_SGPR: 6
; COMPUTE_PGM_RSRC2:TRAP_HANDLER: 0
; COMPUTE_PGM_RSRC2:TGID_X_EN: 1
; COMPUTE_PGM_RSRC2:TGID_Y_EN: 0
; COMPUTE_PGM_RSRC2:TGID_Z_EN: 0
; COMPUTE_PGM_RSRC2:TIDIG_COMP_CNT: 0
; COMPUTE_PGM_RSRC3_GFX90A:ACCUM_OFFSET: 0
; COMPUTE_PGM_RSRC3_GFX90A:TG_SPLIT: 0
	.section	.text._ZN7rocprim17ROCPRIM_400000_NS6detail17trampoline_kernelINS0_14default_configENS1_25transform_config_selectorIfLb1EEEZNS1_14transform_implILb1ES3_S5_PfS7_NS0_8identityIfEEEE10hipError_tT2_T3_mT4_P12ihipStream_tbEUlT_E_NS1_11comp_targetILNS1_3genE9ELNS1_11target_archE1100ELNS1_3gpuE3ELNS1_3repE0EEENS1_30default_config_static_selectorELNS0_4arch9wavefront6targetE1EEEvT1_,"axG",@progbits,_ZN7rocprim17ROCPRIM_400000_NS6detail17trampoline_kernelINS0_14default_configENS1_25transform_config_selectorIfLb1EEEZNS1_14transform_implILb1ES3_S5_PfS7_NS0_8identityIfEEEE10hipError_tT2_T3_mT4_P12ihipStream_tbEUlT_E_NS1_11comp_targetILNS1_3genE9ELNS1_11target_archE1100ELNS1_3gpuE3ELNS1_3repE0EEENS1_30default_config_static_selectorELNS0_4arch9wavefront6targetE1EEEvT1_,comdat
	.protected	_ZN7rocprim17ROCPRIM_400000_NS6detail17trampoline_kernelINS0_14default_configENS1_25transform_config_selectorIfLb1EEEZNS1_14transform_implILb1ES3_S5_PfS7_NS0_8identityIfEEEE10hipError_tT2_T3_mT4_P12ihipStream_tbEUlT_E_NS1_11comp_targetILNS1_3genE9ELNS1_11target_archE1100ELNS1_3gpuE3ELNS1_3repE0EEENS1_30default_config_static_selectorELNS0_4arch9wavefront6targetE1EEEvT1_ ; -- Begin function _ZN7rocprim17ROCPRIM_400000_NS6detail17trampoline_kernelINS0_14default_configENS1_25transform_config_selectorIfLb1EEEZNS1_14transform_implILb1ES3_S5_PfS7_NS0_8identityIfEEEE10hipError_tT2_T3_mT4_P12ihipStream_tbEUlT_E_NS1_11comp_targetILNS1_3genE9ELNS1_11target_archE1100ELNS1_3gpuE3ELNS1_3repE0EEENS1_30default_config_static_selectorELNS0_4arch9wavefront6targetE1EEEvT1_
	.globl	_ZN7rocprim17ROCPRIM_400000_NS6detail17trampoline_kernelINS0_14default_configENS1_25transform_config_selectorIfLb1EEEZNS1_14transform_implILb1ES3_S5_PfS7_NS0_8identityIfEEEE10hipError_tT2_T3_mT4_P12ihipStream_tbEUlT_E_NS1_11comp_targetILNS1_3genE9ELNS1_11target_archE1100ELNS1_3gpuE3ELNS1_3repE0EEENS1_30default_config_static_selectorELNS0_4arch9wavefront6targetE1EEEvT1_
	.p2align	8
	.type	_ZN7rocprim17ROCPRIM_400000_NS6detail17trampoline_kernelINS0_14default_configENS1_25transform_config_selectorIfLb1EEEZNS1_14transform_implILb1ES3_S5_PfS7_NS0_8identityIfEEEE10hipError_tT2_T3_mT4_P12ihipStream_tbEUlT_E_NS1_11comp_targetILNS1_3genE9ELNS1_11target_archE1100ELNS1_3gpuE3ELNS1_3repE0EEENS1_30default_config_static_selectorELNS0_4arch9wavefront6targetE1EEEvT1_,@function
_ZN7rocprim17ROCPRIM_400000_NS6detail17trampoline_kernelINS0_14default_configENS1_25transform_config_selectorIfLb1EEEZNS1_14transform_implILb1ES3_S5_PfS7_NS0_8identityIfEEEE10hipError_tT2_T3_mT4_P12ihipStream_tbEUlT_E_NS1_11comp_targetILNS1_3genE9ELNS1_11target_archE1100ELNS1_3gpuE3ELNS1_3repE0EEENS1_30default_config_static_selectorELNS0_4arch9wavefront6targetE1EEEvT1_: ; @_ZN7rocprim17ROCPRIM_400000_NS6detail17trampoline_kernelINS0_14default_configENS1_25transform_config_selectorIfLb1EEEZNS1_14transform_implILb1ES3_S5_PfS7_NS0_8identityIfEEEE10hipError_tT2_T3_mT4_P12ihipStream_tbEUlT_E_NS1_11comp_targetILNS1_3genE9ELNS1_11target_archE1100ELNS1_3gpuE3ELNS1_3repE0EEENS1_30default_config_static_selectorELNS0_4arch9wavefront6targetE1EEEvT1_
; %bb.0:
	.section	.rodata,"a",@progbits
	.p2align	6, 0x0
	.amdhsa_kernel _ZN7rocprim17ROCPRIM_400000_NS6detail17trampoline_kernelINS0_14default_configENS1_25transform_config_selectorIfLb1EEEZNS1_14transform_implILb1ES3_S5_PfS7_NS0_8identityIfEEEE10hipError_tT2_T3_mT4_P12ihipStream_tbEUlT_E_NS1_11comp_targetILNS1_3genE9ELNS1_11target_archE1100ELNS1_3gpuE3ELNS1_3repE0EEENS1_30default_config_static_selectorELNS0_4arch9wavefront6targetE1EEEvT1_
		.amdhsa_group_segment_fixed_size 0
		.amdhsa_private_segment_fixed_size 0
		.amdhsa_kernarg_size 40
		.amdhsa_user_sgpr_count 6
		.amdhsa_user_sgpr_private_segment_buffer 1
		.amdhsa_user_sgpr_dispatch_ptr 0
		.amdhsa_user_sgpr_queue_ptr 0
		.amdhsa_user_sgpr_kernarg_segment_ptr 1
		.amdhsa_user_sgpr_dispatch_id 0
		.amdhsa_user_sgpr_flat_scratch_init 0
		.amdhsa_user_sgpr_kernarg_preload_length 0
		.amdhsa_user_sgpr_kernarg_preload_offset 0
		.amdhsa_user_sgpr_private_segment_size 0
		.amdhsa_uses_dynamic_stack 0
		.amdhsa_system_sgpr_private_segment_wavefront_offset 0
		.amdhsa_system_sgpr_workgroup_id_x 1
		.amdhsa_system_sgpr_workgroup_id_y 0
		.amdhsa_system_sgpr_workgroup_id_z 0
		.amdhsa_system_sgpr_workgroup_info 0
		.amdhsa_system_vgpr_workitem_id 0
		.amdhsa_next_free_vgpr 1
		.amdhsa_next_free_sgpr 0
		.amdhsa_accum_offset 4
		.amdhsa_reserve_vcc 0
		.amdhsa_reserve_flat_scratch 0
		.amdhsa_float_round_mode_32 0
		.amdhsa_float_round_mode_16_64 0
		.amdhsa_float_denorm_mode_32 3
		.amdhsa_float_denorm_mode_16_64 3
		.amdhsa_dx10_clamp 1
		.amdhsa_ieee_mode 1
		.amdhsa_fp16_overflow 0
		.amdhsa_tg_split 0
		.amdhsa_exception_fp_ieee_invalid_op 0
		.amdhsa_exception_fp_denorm_src 0
		.amdhsa_exception_fp_ieee_div_zero 0
		.amdhsa_exception_fp_ieee_overflow 0
		.amdhsa_exception_fp_ieee_underflow 0
		.amdhsa_exception_fp_ieee_inexact 0
		.amdhsa_exception_int_div_zero 0
	.end_amdhsa_kernel
	.section	.text._ZN7rocprim17ROCPRIM_400000_NS6detail17trampoline_kernelINS0_14default_configENS1_25transform_config_selectorIfLb1EEEZNS1_14transform_implILb1ES3_S5_PfS7_NS0_8identityIfEEEE10hipError_tT2_T3_mT4_P12ihipStream_tbEUlT_E_NS1_11comp_targetILNS1_3genE9ELNS1_11target_archE1100ELNS1_3gpuE3ELNS1_3repE0EEENS1_30default_config_static_selectorELNS0_4arch9wavefront6targetE1EEEvT1_,"axG",@progbits,_ZN7rocprim17ROCPRIM_400000_NS6detail17trampoline_kernelINS0_14default_configENS1_25transform_config_selectorIfLb1EEEZNS1_14transform_implILb1ES3_S5_PfS7_NS0_8identityIfEEEE10hipError_tT2_T3_mT4_P12ihipStream_tbEUlT_E_NS1_11comp_targetILNS1_3genE9ELNS1_11target_archE1100ELNS1_3gpuE3ELNS1_3repE0EEENS1_30default_config_static_selectorELNS0_4arch9wavefront6targetE1EEEvT1_,comdat
.Lfunc_end1428:
	.size	_ZN7rocprim17ROCPRIM_400000_NS6detail17trampoline_kernelINS0_14default_configENS1_25transform_config_selectorIfLb1EEEZNS1_14transform_implILb1ES3_S5_PfS7_NS0_8identityIfEEEE10hipError_tT2_T3_mT4_P12ihipStream_tbEUlT_E_NS1_11comp_targetILNS1_3genE9ELNS1_11target_archE1100ELNS1_3gpuE3ELNS1_3repE0EEENS1_30default_config_static_selectorELNS0_4arch9wavefront6targetE1EEEvT1_, .Lfunc_end1428-_ZN7rocprim17ROCPRIM_400000_NS6detail17trampoline_kernelINS0_14default_configENS1_25transform_config_selectorIfLb1EEEZNS1_14transform_implILb1ES3_S5_PfS7_NS0_8identityIfEEEE10hipError_tT2_T3_mT4_P12ihipStream_tbEUlT_E_NS1_11comp_targetILNS1_3genE9ELNS1_11target_archE1100ELNS1_3gpuE3ELNS1_3repE0EEENS1_30default_config_static_selectorELNS0_4arch9wavefront6targetE1EEEvT1_
                                        ; -- End function
	.section	.AMDGPU.csdata,"",@progbits
; Kernel info:
; codeLenInByte = 0
; NumSgprs: 4
; NumVgprs: 0
; NumAgprs: 0
; TotalNumVgprs: 0
; ScratchSize: 0
; MemoryBound: 0
; FloatMode: 240
; IeeeMode: 1
; LDSByteSize: 0 bytes/workgroup (compile time only)
; SGPRBlocks: 0
; VGPRBlocks: 0
; NumSGPRsForWavesPerEU: 4
; NumVGPRsForWavesPerEU: 1
; AccumOffset: 4
; Occupancy: 8
; WaveLimiterHint : 0
; COMPUTE_PGM_RSRC2:SCRATCH_EN: 0
; COMPUTE_PGM_RSRC2:USER_SGPR: 6
; COMPUTE_PGM_RSRC2:TRAP_HANDLER: 0
; COMPUTE_PGM_RSRC2:TGID_X_EN: 1
; COMPUTE_PGM_RSRC2:TGID_Y_EN: 0
; COMPUTE_PGM_RSRC2:TGID_Z_EN: 0
; COMPUTE_PGM_RSRC2:TIDIG_COMP_CNT: 0
; COMPUTE_PGM_RSRC3_GFX90A:ACCUM_OFFSET: 0
; COMPUTE_PGM_RSRC3_GFX90A:TG_SPLIT: 0
	.section	.text._ZN7rocprim17ROCPRIM_400000_NS6detail17trampoline_kernelINS0_14default_configENS1_25transform_config_selectorIfLb1EEEZNS1_14transform_implILb1ES3_S5_PfS7_NS0_8identityIfEEEE10hipError_tT2_T3_mT4_P12ihipStream_tbEUlT_E_NS1_11comp_targetILNS1_3genE8ELNS1_11target_archE1030ELNS1_3gpuE2ELNS1_3repE0EEENS1_30default_config_static_selectorELNS0_4arch9wavefront6targetE1EEEvT1_,"axG",@progbits,_ZN7rocprim17ROCPRIM_400000_NS6detail17trampoline_kernelINS0_14default_configENS1_25transform_config_selectorIfLb1EEEZNS1_14transform_implILb1ES3_S5_PfS7_NS0_8identityIfEEEE10hipError_tT2_T3_mT4_P12ihipStream_tbEUlT_E_NS1_11comp_targetILNS1_3genE8ELNS1_11target_archE1030ELNS1_3gpuE2ELNS1_3repE0EEENS1_30default_config_static_selectorELNS0_4arch9wavefront6targetE1EEEvT1_,comdat
	.protected	_ZN7rocprim17ROCPRIM_400000_NS6detail17trampoline_kernelINS0_14default_configENS1_25transform_config_selectorIfLb1EEEZNS1_14transform_implILb1ES3_S5_PfS7_NS0_8identityIfEEEE10hipError_tT2_T3_mT4_P12ihipStream_tbEUlT_E_NS1_11comp_targetILNS1_3genE8ELNS1_11target_archE1030ELNS1_3gpuE2ELNS1_3repE0EEENS1_30default_config_static_selectorELNS0_4arch9wavefront6targetE1EEEvT1_ ; -- Begin function _ZN7rocprim17ROCPRIM_400000_NS6detail17trampoline_kernelINS0_14default_configENS1_25transform_config_selectorIfLb1EEEZNS1_14transform_implILb1ES3_S5_PfS7_NS0_8identityIfEEEE10hipError_tT2_T3_mT4_P12ihipStream_tbEUlT_E_NS1_11comp_targetILNS1_3genE8ELNS1_11target_archE1030ELNS1_3gpuE2ELNS1_3repE0EEENS1_30default_config_static_selectorELNS0_4arch9wavefront6targetE1EEEvT1_
	.globl	_ZN7rocprim17ROCPRIM_400000_NS6detail17trampoline_kernelINS0_14default_configENS1_25transform_config_selectorIfLb1EEEZNS1_14transform_implILb1ES3_S5_PfS7_NS0_8identityIfEEEE10hipError_tT2_T3_mT4_P12ihipStream_tbEUlT_E_NS1_11comp_targetILNS1_3genE8ELNS1_11target_archE1030ELNS1_3gpuE2ELNS1_3repE0EEENS1_30default_config_static_selectorELNS0_4arch9wavefront6targetE1EEEvT1_
	.p2align	8
	.type	_ZN7rocprim17ROCPRIM_400000_NS6detail17trampoline_kernelINS0_14default_configENS1_25transform_config_selectorIfLb1EEEZNS1_14transform_implILb1ES3_S5_PfS7_NS0_8identityIfEEEE10hipError_tT2_T3_mT4_P12ihipStream_tbEUlT_E_NS1_11comp_targetILNS1_3genE8ELNS1_11target_archE1030ELNS1_3gpuE2ELNS1_3repE0EEENS1_30default_config_static_selectorELNS0_4arch9wavefront6targetE1EEEvT1_,@function
_ZN7rocprim17ROCPRIM_400000_NS6detail17trampoline_kernelINS0_14default_configENS1_25transform_config_selectorIfLb1EEEZNS1_14transform_implILb1ES3_S5_PfS7_NS0_8identityIfEEEE10hipError_tT2_T3_mT4_P12ihipStream_tbEUlT_E_NS1_11comp_targetILNS1_3genE8ELNS1_11target_archE1030ELNS1_3gpuE2ELNS1_3repE0EEENS1_30default_config_static_selectorELNS0_4arch9wavefront6targetE1EEEvT1_: ; @_ZN7rocprim17ROCPRIM_400000_NS6detail17trampoline_kernelINS0_14default_configENS1_25transform_config_selectorIfLb1EEEZNS1_14transform_implILb1ES3_S5_PfS7_NS0_8identityIfEEEE10hipError_tT2_T3_mT4_P12ihipStream_tbEUlT_E_NS1_11comp_targetILNS1_3genE8ELNS1_11target_archE1030ELNS1_3gpuE2ELNS1_3repE0EEENS1_30default_config_static_selectorELNS0_4arch9wavefront6targetE1EEEvT1_
; %bb.0:
	.section	.rodata,"a",@progbits
	.p2align	6, 0x0
	.amdhsa_kernel _ZN7rocprim17ROCPRIM_400000_NS6detail17trampoline_kernelINS0_14default_configENS1_25transform_config_selectorIfLb1EEEZNS1_14transform_implILb1ES3_S5_PfS7_NS0_8identityIfEEEE10hipError_tT2_T3_mT4_P12ihipStream_tbEUlT_E_NS1_11comp_targetILNS1_3genE8ELNS1_11target_archE1030ELNS1_3gpuE2ELNS1_3repE0EEENS1_30default_config_static_selectorELNS0_4arch9wavefront6targetE1EEEvT1_
		.amdhsa_group_segment_fixed_size 0
		.amdhsa_private_segment_fixed_size 0
		.amdhsa_kernarg_size 40
		.amdhsa_user_sgpr_count 6
		.amdhsa_user_sgpr_private_segment_buffer 1
		.amdhsa_user_sgpr_dispatch_ptr 0
		.amdhsa_user_sgpr_queue_ptr 0
		.amdhsa_user_sgpr_kernarg_segment_ptr 1
		.amdhsa_user_sgpr_dispatch_id 0
		.amdhsa_user_sgpr_flat_scratch_init 0
		.amdhsa_user_sgpr_kernarg_preload_length 0
		.amdhsa_user_sgpr_kernarg_preload_offset 0
		.amdhsa_user_sgpr_private_segment_size 0
		.amdhsa_uses_dynamic_stack 0
		.amdhsa_system_sgpr_private_segment_wavefront_offset 0
		.amdhsa_system_sgpr_workgroup_id_x 1
		.amdhsa_system_sgpr_workgroup_id_y 0
		.amdhsa_system_sgpr_workgroup_id_z 0
		.amdhsa_system_sgpr_workgroup_info 0
		.amdhsa_system_vgpr_workitem_id 0
		.amdhsa_next_free_vgpr 1
		.amdhsa_next_free_sgpr 0
		.amdhsa_accum_offset 4
		.amdhsa_reserve_vcc 0
		.amdhsa_reserve_flat_scratch 0
		.amdhsa_float_round_mode_32 0
		.amdhsa_float_round_mode_16_64 0
		.amdhsa_float_denorm_mode_32 3
		.amdhsa_float_denorm_mode_16_64 3
		.amdhsa_dx10_clamp 1
		.amdhsa_ieee_mode 1
		.amdhsa_fp16_overflow 0
		.amdhsa_tg_split 0
		.amdhsa_exception_fp_ieee_invalid_op 0
		.amdhsa_exception_fp_denorm_src 0
		.amdhsa_exception_fp_ieee_div_zero 0
		.amdhsa_exception_fp_ieee_overflow 0
		.amdhsa_exception_fp_ieee_underflow 0
		.amdhsa_exception_fp_ieee_inexact 0
		.amdhsa_exception_int_div_zero 0
	.end_amdhsa_kernel
	.section	.text._ZN7rocprim17ROCPRIM_400000_NS6detail17trampoline_kernelINS0_14default_configENS1_25transform_config_selectorIfLb1EEEZNS1_14transform_implILb1ES3_S5_PfS7_NS0_8identityIfEEEE10hipError_tT2_T3_mT4_P12ihipStream_tbEUlT_E_NS1_11comp_targetILNS1_3genE8ELNS1_11target_archE1030ELNS1_3gpuE2ELNS1_3repE0EEENS1_30default_config_static_selectorELNS0_4arch9wavefront6targetE1EEEvT1_,"axG",@progbits,_ZN7rocprim17ROCPRIM_400000_NS6detail17trampoline_kernelINS0_14default_configENS1_25transform_config_selectorIfLb1EEEZNS1_14transform_implILb1ES3_S5_PfS7_NS0_8identityIfEEEE10hipError_tT2_T3_mT4_P12ihipStream_tbEUlT_E_NS1_11comp_targetILNS1_3genE8ELNS1_11target_archE1030ELNS1_3gpuE2ELNS1_3repE0EEENS1_30default_config_static_selectorELNS0_4arch9wavefront6targetE1EEEvT1_,comdat
.Lfunc_end1429:
	.size	_ZN7rocprim17ROCPRIM_400000_NS6detail17trampoline_kernelINS0_14default_configENS1_25transform_config_selectorIfLb1EEEZNS1_14transform_implILb1ES3_S5_PfS7_NS0_8identityIfEEEE10hipError_tT2_T3_mT4_P12ihipStream_tbEUlT_E_NS1_11comp_targetILNS1_3genE8ELNS1_11target_archE1030ELNS1_3gpuE2ELNS1_3repE0EEENS1_30default_config_static_selectorELNS0_4arch9wavefront6targetE1EEEvT1_, .Lfunc_end1429-_ZN7rocprim17ROCPRIM_400000_NS6detail17trampoline_kernelINS0_14default_configENS1_25transform_config_selectorIfLb1EEEZNS1_14transform_implILb1ES3_S5_PfS7_NS0_8identityIfEEEE10hipError_tT2_T3_mT4_P12ihipStream_tbEUlT_E_NS1_11comp_targetILNS1_3genE8ELNS1_11target_archE1030ELNS1_3gpuE2ELNS1_3repE0EEENS1_30default_config_static_selectorELNS0_4arch9wavefront6targetE1EEEvT1_
                                        ; -- End function
	.section	.AMDGPU.csdata,"",@progbits
; Kernel info:
; codeLenInByte = 0
; NumSgprs: 4
; NumVgprs: 0
; NumAgprs: 0
; TotalNumVgprs: 0
; ScratchSize: 0
; MemoryBound: 0
; FloatMode: 240
; IeeeMode: 1
; LDSByteSize: 0 bytes/workgroup (compile time only)
; SGPRBlocks: 0
; VGPRBlocks: 0
; NumSGPRsForWavesPerEU: 4
; NumVGPRsForWavesPerEU: 1
; AccumOffset: 4
; Occupancy: 8
; WaveLimiterHint : 0
; COMPUTE_PGM_RSRC2:SCRATCH_EN: 0
; COMPUTE_PGM_RSRC2:USER_SGPR: 6
; COMPUTE_PGM_RSRC2:TRAP_HANDLER: 0
; COMPUTE_PGM_RSRC2:TGID_X_EN: 1
; COMPUTE_PGM_RSRC2:TGID_Y_EN: 0
; COMPUTE_PGM_RSRC2:TGID_Z_EN: 0
; COMPUTE_PGM_RSRC2:TIDIG_COMP_CNT: 0
; COMPUTE_PGM_RSRC3_GFX90A:ACCUM_OFFSET: 0
; COMPUTE_PGM_RSRC3_GFX90A:TG_SPLIT: 0
	.section	.text._ZN7rocprim17ROCPRIM_400000_NS6detail17trampoline_kernelINS0_14default_configENS1_20scan_config_selectorIfEEZZNS1_9scan_implILNS1_25lookback_scan_determinismE0ELb0ELb0ES3_N6thrust23THRUST_200600_302600_NS6detail15normal_iteratorINS9_10device_ptrIfEEEENSB_INSC_IiEEEEfNS9_4plusIvEEfEEDaPvRmT3_T4_T5_mT6_P12ihipStream_tbENKUlT_T0_E_clISt17integral_constantIbLb0EESW_EEDaSR_SS_EUlSR_E0_NS1_11comp_targetILNS1_3genE0ELNS1_11target_archE4294967295ELNS1_3gpuE0ELNS1_3repE0EEENS1_30default_config_static_selectorELNS0_4arch9wavefront6targetE1EEEvT1_,"axG",@progbits,_ZN7rocprim17ROCPRIM_400000_NS6detail17trampoline_kernelINS0_14default_configENS1_20scan_config_selectorIfEEZZNS1_9scan_implILNS1_25lookback_scan_determinismE0ELb0ELb0ES3_N6thrust23THRUST_200600_302600_NS6detail15normal_iteratorINS9_10device_ptrIfEEEENSB_INSC_IiEEEEfNS9_4plusIvEEfEEDaPvRmT3_T4_T5_mT6_P12ihipStream_tbENKUlT_T0_E_clISt17integral_constantIbLb0EESW_EEDaSR_SS_EUlSR_E0_NS1_11comp_targetILNS1_3genE0ELNS1_11target_archE4294967295ELNS1_3gpuE0ELNS1_3repE0EEENS1_30default_config_static_selectorELNS0_4arch9wavefront6targetE1EEEvT1_,comdat
	.protected	_ZN7rocprim17ROCPRIM_400000_NS6detail17trampoline_kernelINS0_14default_configENS1_20scan_config_selectorIfEEZZNS1_9scan_implILNS1_25lookback_scan_determinismE0ELb0ELb0ES3_N6thrust23THRUST_200600_302600_NS6detail15normal_iteratorINS9_10device_ptrIfEEEENSB_INSC_IiEEEEfNS9_4plusIvEEfEEDaPvRmT3_T4_T5_mT6_P12ihipStream_tbENKUlT_T0_E_clISt17integral_constantIbLb0EESW_EEDaSR_SS_EUlSR_E0_NS1_11comp_targetILNS1_3genE0ELNS1_11target_archE4294967295ELNS1_3gpuE0ELNS1_3repE0EEENS1_30default_config_static_selectorELNS0_4arch9wavefront6targetE1EEEvT1_ ; -- Begin function _ZN7rocprim17ROCPRIM_400000_NS6detail17trampoline_kernelINS0_14default_configENS1_20scan_config_selectorIfEEZZNS1_9scan_implILNS1_25lookback_scan_determinismE0ELb0ELb0ES3_N6thrust23THRUST_200600_302600_NS6detail15normal_iteratorINS9_10device_ptrIfEEEENSB_INSC_IiEEEEfNS9_4plusIvEEfEEDaPvRmT3_T4_T5_mT6_P12ihipStream_tbENKUlT_T0_E_clISt17integral_constantIbLb0EESW_EEDaSR_SS_EUlSR_E0_NS1_11comp_targetILNS1_3genE0ELNS1_11target_archE4294967295ELNS1_3gpuE0ELNS1_3repE0EEENS1_30default_config_static_selectorELNS0_4arch9wavefront6targetE1EEEvT1_
	.globl	_ZN7rocprim17ROCPRIM_400000_NS6detail17trampoline_kernelINS0_14default_configENS1_20scan_config_selectorIfEEZZNS1_9scan_implILNS1_25lookback_scan_determinismE0ELb0ELb0ES3_N6thrust23THRUST_200600_302600_NS6detail15normal_iteratorINS9_10device_ptrIfEEEENSB_INSC_IiEEEEfNS9_4plusIvEEfEEDaPvRmT3_T4_T5_mT6_P12ihipStream_tbENKUlT_T0_E_clISt17integral_constantIbLb0EESW_EEDaSR_SS_EUlSR_E0_NS1_11comp_targetILNS1_3genE0ELNS1_11target_archE4294967295ELNS1_3gpuE0ELNS1_3repE0EEENS1_30default_config_static_selectorELNS0_4arch9wavefront6targetE1EEEvT1_
	.p2align	8
	.type	_ZN7rocprim17ROCPRIM_400000_NS6detail17trampoline_kernelINS0_14default_configENS1_20scan_config_selectorIfEEZZNS1_9scan_implILNS1_25lookback_scan_determinismE0ELb0ELb0ES3_N6thrust23THRUST_200600_302600_NS6detail15normal_iteratorINS9_10device_ptrIfEEEENSB_INSC_IiEEEEfNS9_4plusIvEEfEEDaPvRmT3_T4_T5_mT6_P12ihipStream_tbENKUlT_T0_E_clISt17integral_constantIbLb0EESW_EEDaSR_SS_EUlSR_E0_NS1_11comp_targetILNS1_3genE0ELNS1_11target_archE4294967295ELNS1_3gpuE0ELNS1_3repE0EEENS1_30default_config_static_selectorELNS0_4arch9wavefront6targetE1EEEvT1_,@function
_ZN7rocprim17ROCPRIM_400000_NS6detail17trampoline_kernelINS0_14default_configENS1_20scan_config_selectorIfEEZZNS1_9scan_implILNS1_25lookback_scan_determinismE0ELb0ELb0ES3_N6thrust23THRUST_200600_302600_NS6detail15normal_iteratorINS9_10device_ptrIfEEEENSB_INSC_IiEEEEfNS9_4plusIvEEfEEDaPvRmT3_T4_T5_mT6_P12ihipStream_tbENKUlT_T0_E_clISt17integral_constantIbLb0EESW_EEDaSR_SS_EUlSR_E0_NS1_11comp_targetILNS1_3genE0ELNS1_11target_archE4294967295ELNS1_3gpuE0ELNS1_3repE0EEENS1_30default_config_static_selectorELNS0_4arch9wavefront6targetE1EEEvT1_: ; @_ZN7rocprim17ROCPRIM_400000_NS6detail17trampoline_kernelINS0_14default_configENS1_20scan_config_selectorIfEEZZNS1_9scan_implILNS1_25lookback_scan_determinismE0ELb0ELb0ES3_N6thrust23THRUST_200600_302600_NS6detail15normal_iteratorINS9_10device_ptrIfEEEENSB_INSC_IiEEEEfNS9_4plusIvEEfEEDaPvRmT3_T4_T5_mT6_P12ihipStream_tbENKUlT_T0_E_clISt17integral_constantIbLb0EESW_EEDaSR_SS_EUlSR_E0_NS1_11comp_targetILNS1_3genE0ELNS1_11target_archE4294967295ELNS1_3gpuE0ELNS1_3repE0EEENS1_30default_config_static_selectorELNS0_4arch9wavefront6targetE1EEEvT1_
; %bb.0:
	.section	.rodata,"a",@progbits
	.p2align	6, 0x0
	.amdhsa_kernel _ZN7rocprim17ROCPRIM_400000_NS6detail17trampoline_kernelINS0_14default_configENS1_20scan_config_selectorIfEEZZNS1_9scan_implILNS1_25lookback_scan_determinismE0ELb0ELb0ES3_N6thrust23THRUST_200600_302600_NS6detail15normal_iteratorINS9_10device_ptrIfEEEENSB_INSC_IiEEEEfNS9_4plusIvEEfEEDaPvRmT3_T4_T5_mT6_P12ihipStream_tbENKUlT_T0_E_clISt17integral_constantIbLb0EESW_EEDaSR_SS_EUlSR_E0_NS1_11comp_targetILNS1_3genE0ELNS1_11target_archE4294967295ELNS1_3gpuE0ELNS1_3repE0EEENS1_30default_config_static_selectorELNS0_4arch9wavefront6targetE1EEEvT1_
		.amdhsa_group_segment_fixed_size 0
		.amdhsa_private_segment_fixed_size 0
		.amdhsa_kernarg_size 32
		.amdhsa_user_sgpr_count 6
		.amdhsa_user_sgpr_private_segment_buffer 1
		.amdhsa_user_sgpr_dispatch_ptr 0
		.amdhsa_user_sgpr_queue_ptr 0
		.amdhsa_user_sgpr_kernarg_segment_ptr 1
		.amdhsa_user_sgpr_dispatch_id 0
		.amdhsa_user_sgpr_flat_scratch_init 0
		.amdhsa_user_sgpr_kernarg_preload_length 0
		.amdhsa_user_sgpr_kernarg_preload_offset 0
		.amdhsa_user_sgpr_private_segment_size 0
		.amdhsa_uses_dynamic_stack 0
		.amdhsa_system_sgpr_private_segment_wavefront_offset 0
		.amdhsa_system_sgpr_workgroup_id_x 1
		.amdhsa_system_sgpr_workgroup_id_y 0
		.amdhsa_system_sgpr_workgroup_id_z 0
		.amdhsa_system_sgpr_workgroup_info 0
		.amdhsa_system_vgpr_workitem_id 0
		.amdhsa_next_free_vgpr 1
		.amdhsa_next_free_sgpr 0
		.amdhsa_accum_offset 4
		.amdhsa_reserve_vcc 0
		.amdhsa_reserve_flat_scratch 0
		.amdhsa_float_round_mode_32 0
		.amdhsa_float_round_mode_16_64 0
		.amdhsa_float_denorm_mode_32 3
		.amdhsa_float_denorm_mode_16_64 3
		.amdhsa_dx10_clamp 1
		.amdhsa_ieee_mode 1
		.amdhsa_fp16_overflow 0
		.amdhsa_tg_split 0
		.amdhsa_exception_fp_ieee_invalid_op 0
		.amdhsa_exception_fp_denorm_src 0
		.amdhsa_exception_fp_ieee_div_zero 0
		.amdhsa_exception_fp_ieee_overflow 0
		.amdhsa_exception_fp_ieee_underflow 0
		.amdhsa_exception_fp_ieee_inexact 0
		.amdhsa_exception_int_div_zero 0
	.end_amdhsa_kernel
	.section	.text._ZN7rocprim17ROCPRIM_400000_NS6detail17trampoline_kernelINS0_14default_configENS1_20scan_config_selectorIfEEZZNS1_9scan_implILNS1_25lookback_scan_determinismE0ELb0ELb0ES3_N6thrust23THRUST_200600_302600_NS6detail15normal_iteratorINS9_10device_ptrIfEEEENSB_INSC_IiEEEEfNS9_4plusIvEEfEEDaPvRmT3_T4_T5_mT6_P12ihipStream_tbENKUlT_T0_E_clISt17integral_constantIbLb0EESW_EEDaSR_SS_EUlSR_E0_NS1_11comp_targetILNS1_3genE0ELNS1_11target_archE4294967295ELNS1_3gpuE0ELNS1_3repE0EEENS1_30default_config_static_selectorELNS0_4arch9wavefront6targetE1EEEvT1_,"axG",@progbits,_ZN7rocprim17ROCPRIM_400000_NS6detail17trampoline_kernelINS0_14default_configENS1_20scan_config_selectorIfEEZZNS1_9scan_implILNS1_25lookback_scan_determinismE0ELb0ELb0ES3_N6thrust23THRUST_200600_302600_NS6detail15normal_iteratorINS9_10device_ptrIfEEEENSB_INSC_IiEEEEfNS9_4plusIvEEfEEDaPvRmT3_T4_T5_mT6_P12ihipStream_tbENKUlT_T0_E_clISt17integral_constantIbLb0EESW_EEDaSR_SS_EUlSR_E0_NS1_11comp_targetILNS1_3genE0ELNS1_11target_archE4294967295ELNS1_3gpuE0ELNS1_3repE0EEENS1_30default_config_static_selectorELNS0_4arch9wavefront6targetE1EEEvT1_,comdat
.Lfunc_end1430:
	.size	_ZN7rocprim17ROCPRIM_400000_NS6detail17trampoline_kernelINS0_14default_configENS1_20scan_config_selectorIfEEZZNS1_9scan_implILNS1_25lookback_scan_determinismE0ELb0ELb0ES3_N6thrust23THRUST_200600_302600_NS6detail15normal_iteratorINS9_10device_ptrIfEEEENSB_INSC_IiEEEEfNS9_4plusIvEEfEEDaPvRmT3_T4_T5_mT6_P12ihipStream_tbENKUlT_T0_E_clISt17integral_constantIbLb0EESW_EEDaSR_SS_EUlSR_E0_NS1_11comp_targetILNS1_3genE0ELNS1_11target_archE4294967295ELNS1_3gpuE0ELNS1_3repE0EEENS1_30default_config_static_selectorELNS0_4arch9wavefront6targetE1EEEvT1_, .Lfunc_end1430-_ZN7rocprim17ROCPRIM_400000_NS6detail17trampoline_kernelINS0_14default_configENS1_20scan_config_selectorIfEEZZNS1_9scan_implILNS1_25lookback_scan_determinismE0ELb0ELb0ES3_N6thrust23THRUST_200600_302600_NS6detail15normal_iteratorINS9_10device_ptrIfEEEENSB_INSC_IiEEEEfNS9_4plusIvEEfEEDaPvRmT3_T4_T5_mT6_P12ihipStream_tbENKUlT_T0_E_clISt17integral_constantIbLb0EESW_EEDaSR_SS_EUlSR_E0_NS1_11comp_targetILNS1_3genE0ELNS1_11target_archE4294967295ELNS1_3gpuE0ELNS1_3repE0EEENS1_30default_config_static_selectorELNS0_4arch9wavefront6targetE1EEEvT1_
                                        ; -- End function
	.section	.AMDGPU.csdata,"",@progbits
; Kernel info:
; codeLenInByte = 0
; NumSgprs: 4
; NumVgprs: 0
; NumAgprs: 0
; TotalNumVgprs: 0
; ScratchSize: 0
; MemoryBound: 0
; FloatMode: 240
; IeeeMode: 1
; LDSByteSize: 0 bytes/workgroup (compile time only)
; SGPRBlocks: 0
; VGPRBlocks: 0
; NumSGPRsForWavesPerEU: 4
; NumVGPRsForWavesPerEU: 1
; AccumOffset: 4
; Occupancy: 8
; WaveLimiterHint : 0
; COMPUTE_PGM_RSRC2:SCRATCH_EN: 0
; COMPUTE_PGM_RSRC2:USER_SGPR: 6
; COMPUTE_PGM_RSRC2:TRAP_HANDLER: 0
; COMPUTE_PGM_RSRC2:TGID_X_EN: 1
; COMPUTE_PGM_RSRC2:TGID_Y_EN: 0
; COMPUTE_PGM_RSRC2:TGID_Z_EN: 0
; COMPUTE_PGM_RSRC2:TIDIG_COMP_CNT: 0
; COMPUTE_PGM_RSRC3_GFX90A:ACCUM_OFFSET: 0
; COMPUTE_PGM_RSRC3_GFX90A:TG_SPLIT: 0
	.section	.text._ZN7rocprim17ROCPRIM_400000_NS6detail17trampoline_kernelINS0_14default_configENS1_20scan_config_selectorIfEEZZNS1_9scan_implILNS1_25lookback_scan_determinismE0ELb0ELb0ES3_N6thrust23THRUST_200600_302600_NS6detail15normal_iteratorINS9_10device_ptrIfEEEENSB_INSC_IiEEEEfNS9_4plusIvEEfEEDaPvRmT3_T4_T5_mT6_P12ihipStream_tbENKUlT_T0_E_clISt17integral_constantIbLb0EESW_EEDaSR_SS_EUlSR_E0_NS1_11comp_targetILNS1_3genE5ELNS1_11target_archE942ELNS1_3gpuE9ELNS1_3repE0EEENS1_30default_config_static_selectorELNS0_4arch9wavefront6targetE1EEEvT1_,"axG",@progbits,_ZN7rocprim17ROCPRIM_400000_NS6detail17trampoline_kernelINS0_14default_configENS1_20scan_config_selectorIfEEZZNS1_9scan_implILNS1_25lookback_scan_determinismE0ELb0ELb0ES3_N6thrust23THRUST_200600_302600_NS6detail15normal_iteratorINS9_10device_ptrIfEEEENSB_INSC_IiEEEEfNS9_4plusIvEEfEEDaPvRmT3_T4_T5_mT6_P12ihipStream_tbENKUlT_T0_E_clISt17integral_constantIbLb0EESW_EEDaSR_SS_EUlSR_E0_NS1_11comp_targetILNS1_3genE5ELNS1_11target_archE942ELNS1_3gpuE9ELNS1_3repE0EEENS1_30default_config_static_selectorELNS0_4arch9wavefront6targetE1EEEvT1_,comdat
	.protected	_ZN7rocprim17ROCPRIM_400000_NS6detail17trampoline_kernelINS0_14default_configENS1_20scan_config_selectorIfEEZZNS1_9scan_implILNS1_25lookback_scan_determinismE0ELb0ELb0ES3_N6thrust23THRUST_200600_302600_NS6detail15normal_iteratorINS9_10device_ptrIfEEEENSB_INSC_IiEEEEfNS9_4plusIvEEfEEDaPvRmT3_T4_T5_mT6_P12ihipStream_tbENKUlT_T0_E_clISt17integral_constantIbLb0EESW_EEDaSR_SS_EUlSR_E0_NS1_11comp_targetILNS1_3genE5ELNS1_11target_archE942ELNS1_3gpuE9ELNS1_3repE0EEENS1_30default_config_static_selectorELNS0_4arch9wavefront6targetE1EEEvT1_ ; -- Begin function _ZN7rocprim17ROCPRIM_400000_NS6detail17trampoline_kernelINS0_14default_configENS1_20scan_config_selectorIfEEZZNS1_9scan_implILNS1_25lookback_scan_determinismE0ELb0ELb0ES3_N6thrust23THRUST_200600_302600_NS6detail15normal_iteratorINS9_10device_ptrIfEEEENSB_INSC_IiEEEEfNS9_4plusIvEEfEEDaPvRmT3_T4_T5_mT6_P12ihipStream_tbENKUlT_T0_E_clISt17integral_constantIbLb0EESW_EEDaSR_SS_EUlSR_E0_NS1_11comp_targetILNS1_3genE5ELNS1_11target_archE942ELNS1_3gpuE9ELNS1_3repE0EEENS1_30default_config_static_selectorELNS0_4arch9wavefront6targetE1EEEvT1_
	.globl	_ZN7rocprim17ROCPRIM_400000_NS6detail17trampoline_kernelINS0_14default_configENS1_20scan_config_selectorIfEEZZNS1_9scan_implILNS1_25lookback_scan_determinismE0ELb0ELb0ES3_N6thrust23THRUST_200600_302600_NS6detail15normal_iteratorINS9_10device_ptrIfEEEENSB_INSC_IiEEEEfNS9_4plusIvEEfEEDaPvRmT3_T4_T5_mT6_P12ihipStream_tbENKUlT_T0_E_clISt17integral_constantIbLb0EESW_EEDaSR_SS_EUlSR_E0_NS1_11comp_targetILNS1_3genE5ELNS1_11target_archE942ELNS1_3gpuE9ELNS1_3repE0EEENS1_30default_config_static_selectorELNS0_4arch9wavefront6targetE1EEEvT1_
	.p2align	8
	.type	_ZN7rocprim17ROCPRIM_400000_NS6detail17trampoline_kernelINS0_14default_configENS1_20scan_config_selectorIfEEZZNS1_9scan_implILNS1_25lookback_scan_determinismE0ELb0ELb0ES3_N6thrust23THRUST_200600_302600_NS6detail15normal_iteratorINS9_10device_ptrIfEEEENSB_INSC_IiEEEEfNS9_4plusIvEEfEEDaPvRmT3_T4_T5_mT6_P12ihipStream_tbENKUlT_T0_E_clISt17integral_constantIbLb0EESW_EEDaSR_SS_EUlSR_E0_NS1_11comp_targetILNS1_3genE5ELNS1_11target_archE942ELNS1_3gpuE9ELNS1_3repE0EEENS1_30default_config_static_selectorELNS0_4arch9wavefront6targetE1EEEvT1_,@function
_ZN7rocprim17ROCPRIM_400000_NS6detail17trampoline_kernelINS0_14default_configENS1_20scan_config_selectorIfEEZZNS1_9scan_implILNS1_25lookback_scan_determinismE0ELb0ELb0ES3_N6thrust23THRUST_200600_302600_NS6detail15normal_iteratorINS9_10device_ptrIfEEEENSB_INSC_IiEEEEfNS9_4plusIvEEfEEDaPvRmT3_T4_T5_mT6_P12ihipStream_tbENKUlT_T0_E_clISt17integral_constantIbLb0EESW_EEDaSR_SS_EUlSR_E0_NS1_11comp_targetILNS1_3genE5ELNS1_11target_archE942ELNS1_3gpuE9ELNS1_3repE0EEENS1_30default_config_static_selectorELNS0_4arch9wavefront6targetE1EEEvT1_: ; @_ZN7rocprim17ROCPRIM_400000_NS6detail17trampoline_kernelINS0_14default_configENS1_20scan_config_selectorIfEEZZNS1_9scan_implILNS1_25lookback_scan_determinismE0ELb0ELb0ES3_N6thrust23THRUST_200600_302600_NS6detail15normal_iteratorINS9_10device_ptrIfEEEENSB_INSC_IiEEEEfNS9_4plusIvEEfEEDaPvRmT3_T4_T5_mT6_P12ihipStream_tbENKUlT_T0_E_clISt17integral_constantIbLb0EESW_EEDaSR_SS_EUlSR_E0_NS1_11comp_targetILNS1_3genE5ELNS1_11target_archE942ELNS1_3gpuE9ELNS1_3repE0EEENS1_30default_config_static_selectorELNS0_4arch9wavefront6targetE1EEEvT1_
; %bb.0:
	.section	.rodata,"a",@progbits
	.p2align	6, 0x0
	.amdhsa_kernel _ZN7rocprim17ROCPRIM_400000_NS6detail17trampoline_kernelINS0_14default_configENS1_20scan_config_selectorIfEEZZNS1_9scan_implILNS1_25lookback_scan_determinismE0ELb0ELb0ES3_N6thrust23THRUST_200600_302600_NS6detail15normal_iteratorINS9_10device_ptrIfEEEENSB_INSC_IiEEEEfNS9_4plusIvEEfEEDaPvRmT3_T4_T5_mT6_P12ihipStream_tbENKUlT_T0_E_clISt17integral_constantIbLb0EESW_EEDaSR_SS_EUlSR_E0_NS1_11comp_targetILNS1_3genE5ELNS1_11target_archE942ELNS1_3gpuE9ELNS1_3repE0EEENS1_30default_config_static_selectorELNS0_4arch9wavefront6targetE1EEEvT1_
		.amdhsa_group_segment_fixed_size 0
		.amdhsa_private_segment_fixed_size 0
		.amdhsa_kernarg_size 32
		.amdhsa_user_sgpr_count 6
		.amdhsa_user_sgpr_private_segment_buffer 1
		.amdhsa_user_sgpr_dispatch_ptr 0
		.amdhsa_user_sgpr_queue_ptr 0
		.amdhsa_user_sgpr_kernarg_segment_ptr 1
		.amdhsa_user_sgpr_dispatch_id 0
		.amdhsa_user_sgpr_flat_scratch_init 0
		.amdhsa_user_sgpr_kernarg_preload_length 0
		.amdhsa_user_sgpr_kernarg_preload_offset 0
		.amdhsa_user_sgpr_private_segment_size 0
		.amdhsa_uses_dynamic_stack 0
		.amdhsa_system_sgpr_private_segment_wavefront_offset 0
		.amdhsa_system_sgpr_workgroup_id_x 1
		.amdhsa_system_sgpr_workgroup_id_y 0
		.amdhsa_system_sgpr_workgroup_id_z 0
		.amdhsa_system_sgpr_workgroup_info 0
		.amdhsa_system_vgpr_workitem_id 0
		.amdhsa_next_free_vgpr 1
		.amdhsa_next_free_sgpr 0
		.amdhsa_accum_offset 4
		.amdhsa_reserve_vcc 0
		.amdhsa_reserve_flat_scratch 0
		.amdhsa_float_round_mode_32 0
		.amdhsa_float_round_mode_16_64 0
		.amdhsa_float_denorm_mode_32 3
		.amdhsa_float_denorm_mode_16_64 3
		.amdhsa_dx10_clamp 1
		.amdhsa_ieee_mode 1
		.amdhsa_fp16_overflow 0
		.amdhsa_tg_split 0
		.amdhsa_exception_fp_ieee_invalid_op 0
		.amdhsa_exception_fp_denorm_src 0
		.amdhsa_exception_fp_ieee_div_zero 0
		.amdhsa_exception_fp_ieee_overflow 0
		.amdhsa_exception_fp_ieee_underflow 0
		.amdhsa_exception_fp_ieee_inexact 0
		.amdhsa_exception_int_div_zero 0
	.end_amdhsa_kernel
	.section	.text._ZN7rocprim17ROCPRIM_400000_NS6detail17trampoline_kernelINS0_14default_configENS1_20scan_config_selectorIfEEZZNS1_9scan_implILNS1_25lookback_scan_determinismE0ELb0ELb0ES3_N6thrust23THRUST_200600_302600_NS6detail15normal_iteratorINS9_10device_ptrIfEEEENSB_INSC_IiEEEEfNS9_4plusIvEEfEEDaPvRmT3_T4_T5_mT6_P12ihipStream_tbENKUlT_T0_E_clISt17integral_constantIbLb0EESW_EEDaSR_SS_EUlSR_E0_NS1_11comp_targetILNS1_3genE5ELNS1_11target_archE942ELNS1_3gpuE9ELNS1_3repE0EEENS1_30default_config_static_selectorELNS0_4arch9wavefront6targetE1EEEvT1_,"axG",@progbits,_ZN7rocprim17ROCPRIM_400000_NS6detail17trampoline_kernelINS0_14default_configENS1_20scan_config_selectorIfEEZZNS1_9scan_implILNS1_25lookback_scan_determinismE0ELb0ELb0ES3_N6thrust23THRUST_200600_302600_NS6detail15normal_iteratorINS9_10device_ptrIfEEEENSB_INSC_IiEEEEfNS9_4plusIvEEfEEDaPvRmT3_T4_T5_mT6_P12ihipStream_tbENKUlT_T0_E_clISt17integral_constantIbLb0EESW_EEDaSR_SS_EUlSR_E0_NS1_11comp_targetILNS1_3genE5ELNS1_11target_archE942ELNS1_3gpuE9ELNS1_3repE0EEENS1_30default_config_static_selectorELNS0_4arch9wavefront6targetE1EEEvT1_,comdat
.Lfunc_end1431:
	.size	_ZN7rocprim17ROCPRIM_400000_NS6detail17trampoline_kernelINS0_14default_configENS1_20scan_config_selectorIfEEZZNS1_9scan_implILNS1_25lookback_scan_determinismE0ELb0ELb0ES3_N6thrust23THRUST_200600_302600_NS6detail15normal_iteratorINS9_10device_ptrIfEEEENSB_INSC_IiEEEEfNS9_4plusIvEEfEEDaPvRmT3_T4_T5_mT6_P12ihipStream_tbENKUlT_T0_E_clISt17integral_constantIbLb0EESW_EEDaSR_SS_EUlSR_E0_NS1_11comp_targetILNS1_3genE5ELNS1_11target_archE942ELNS1_3gpuE9ELNS1_3repE0EEENS1_30default_config_static_selectorELNS0_4arch9wavefront6targetE1EEEvT1_, .Lfunc_end1431-_ZN7rocprim17ROCPRIM_400000_NS6detail17trampoline_kernelINS0_14default_configENS1_20scan_config_selectorIfEEZZNS1_9scan_implILNS1_25lookback_scan_determinismE0ELb0ELb0ES3_N6thrust23THRUST_200600_302600_NS6detail15normal_iteratorINS9_10device_ptrIfEEEENSB_INSC_IiEEEEfNS9_4plusIvEEfEEDaPvRmT3_T4_T5_mT6_P12ihipStream_tbENKUlT_T0_E_clISt17integral_constantIbLb0EESW_EEDaSR_SS_EUlSR_E0_NS1_11comp_targetILNS1_3genE5ELNS1_11target_archE942ELNS1_3gpuE9ELNS1_3repE0EEENS1_30default_config_static_selectorELNS0_4arch9wavefront6targetE1EEEvT1_
                                        ; -- End function
	.section	.AMDGPU.csdata,"",@progbits
; Kernel info:
; codeLenInByte = 0
; NumSgprs: 4
; NumVgprs: 0
; NumAgprs: 0
; TotalNumVgprs: 0
; ScratchSize: 0
; MemoryBound: 0
; FloatMode: 240
; IeeeMode: 1
; LDSByteSize: 0 bytes/workgroup (compile time only)
; SGPRBlocks: 0
; VGPRBlocks: 0
; NumSGPRsForWavesPerEU: 4
; NumVGPRsForWavesPerEU: 1
; AccumOffset: 4
; Occupancy: 8
; WaveLimiterHint : 0
; COMPUTE_PGM_RSRC2:SCRATCH_EN: 0
; COMPUTE_PGM_RSRC2:USER_SGPR: 6
; COMPUTE_PGM_RSRC2:TRAP_HANDLER: 0
; COMPUTE_PGM_RSRC2:TGID_X_EN: 1
; COMPUTE_PGM_RSRC2:TGID_Y_EN: 0
; COMPUTE_PGM_RSRC2:TGID_Z_EN: 0
; COMPUTE_PGM_RSRC2:TIDIG_COMP_CNT: 0
; COMPUTE_PGM_RSRC3_GFX90A:ACCUM_OFFSET: 0
; COMPUTE_PGM_RSRC3_GFX90A:TG_SPLIT: 0
	.section	.text._ZN7rocprim17ROCPRIM_400000_NS6detail17trampoline_kernelINS0_14default_configENS1_20scan_config_selectorIfEEZZNS1_9scan_implILNS1_25lookback_scan_determinismE0ELb0ELb0ES3_N6thrust23THRUST_200600_302600_NS6detail15normal_iteratorINS9_10device_ptrIfEEEENSB_INSC_IiEEEEfNS9_4plusIvEEfEEDaPvRmT3_T4_T5_mT6_P12ihipStream_tbENKUlT_T0_E_clISt17integral_constantIbLb0EESW_EEDaSR_SS_EUlSR_E0_NS1_11comp_targetILNS1_3genE4ELNS1_11target_archE910ELNS1_3gpuE8ELNS1_3repE0EEENS1_30default_config_static_selectorELNS0_4arch9wavefront6targetE1EEEvT1_,"axG",@progbits,_ZN7rocprim17ROCPRIM_400000_NS6detail17trampoline_kernelINS0_14default_configENS1_20scan_config_selectorIfEEZZNS1_9scan_implILNS1_25lookback_scan_determinismE0ELb0ELb0ES3_N6thrust23THRUST_200600_302600_NS6detail15normal_iteratorINS9_10device_ptrIfEEEENSB_INSC_IiEEEEfNS9_4plusIvEEfEEDaPvRmT3_T4_T5_mT6_P12ihipStream_tbENKUlT_T0_E_clISt17integral_constantIbLb0EESW_EEDaSR_SS_EUlSR_E0_NS1_11comp_targetILNS1_3genE4ELNS1_11target_archE910ELNS1_3gpuE8ELNS1_3repE0EEENS1_30default_config_static_selectorELNS0_4arch9wavefront6targetE1EEEvT1_,comdat
	.protected	_ZN7rocprim17ROCPRIM_400000_NS6detail17trampoline_kernelINS0_14default_configENS1_20scan_config_selectorIfEEZZNS1_9scan_implILNS1_25lookback_scan_determinismE0ELb0ELb0ES3_N6thrust23THRUST_200600_302600_NS6detail15normal_iteratorINS9_10device_ptrIfEEEENSB_INSC_IiEEEEfNS9_4plusIvEEfEEDaPvRmT3_T4_T5_mT6_P12ihipStream_tbENKUlT_T0_E_clISt17integral_constantIbLb0EESW_EEDaSR_SS_EUlSR_E0_NS1_11comp_targetILNS1_3genE4ELNS1_11target_archE910ELNS1_3gpuE8ELNS1_3repE0EEENS1_30default_config_static_selectorELNS0_4arch9wavefront6targetE1EEEvT1_ ; -- Begin function _ZN7rocprim17ROCPRIM_400000_NS6detail17trampoline_kernelINS0_14default_configENS1_20scan_config_selectorIfEEZZNS1_9scan_implILNS1_25lookback_scan_determinismE0ELb0ELb0ES3_N6thrust23THRUST_200600_302600_NS6detail15normal_iteratorINS9_10device_ptrIfEEEENSB_INSC_IiEEEEfNS9_4plusIvEEfEEDaPvRmT3_T4_T5_mT6_P12ihipStream_tbENKUlT_T0_E_clISt17integral_constantIbLb0EESW_EEDaSR_SS_EUlSR_E0_NS1_11comp_targetILNS1_3genE4ELNS1_11target_archE910ELNS1_3gpuE8ELNS1_3repE0EEENS1_30default_config_static_selectorELNS0_4arch9wavefront6targetE1EEEvT1_
	.globl	_ZN7rocprim17ROCPRIM_400000_NS6detail17trampoline_kernelINS0_14default_configENS1_20scan_config_selectorIfEEZZNS1_9scan_implILNS1_25lookback_scan_determinismE0ELb0ELb0ES3_N6thrust23THRUST_200600_302600_NS6detail15normal_iteratorINS9_10device_ptrIfEEEENSB_INSC_IiEEEEfNS9_4plusIvEEfEEDaPvRmT3_T4_T5_mT6_P12ihipStream_tbENKUlT_T0_E_clISt17integral_constantIbLb0EESW_EEDaSR_SS_EUlSR_E0_NS1_11comp_targetILNS1_3genE4ELNS1_11target_archE910ELNS1_3gpuE8ELNS1_3repE0EEENS1_30default_config_static_selectorELNS0_4arch9wavefront6targetE1EEEvT1_
	.p2align	8
	.type	_ZN7rocprim17ROCPRIM_400000_NS6detail17trampoline_kernelINS0_14default_configENS1_20scan_config_selectorIfEEZZNS1_9scan_implILNS1_25lookback_scan_determinismE0ELb0ELb0ES3_N6thrust23THRUST_200600_302600_NS6detail15normal_iteratorINS9_10device_ptrIfEEEENSB_INSC_IiEEEEfNS9_4plusIvEEfEEDaPvRmT3_T4_T5_mT6_P12ihipStream_tbENKUlT_T0_E_clISt17integral_constantIbLb0EESW_EEDaSR_SS_EUlSR_E0_NS1_11comp_targetILNS1_3genE4ELNS1_11target_archE910ELNS1_3gpuE8ELNS1_3repE0EEENS1_30default_config_static_selectorELNS0_4arch9wavefront6targetE1EEEvT1_,@function
_ZN7rocprim17ROCPRIM_400000_NS6detail17trampoline_kernelINS0_14default_configENS1_20scan_config_selectorIfEEZZNS1_9scan_implILNS1_25lookback_scan_determinismE0ELb0ELb0ES3_N6thrust23THRUST_200600_302600_NS6detail15normal_iteratorINS9_10device_ptrIfEEEENSB_INSC_IiEEEEfNS9_4plusIvEEfEEDaPvRmT3_T4_T5_mT6_P12ihipStream_tbENKUlT_T0_E_clISt17integral_constantIbLb0EESW_EEDaSR_SS_EUlSR_E0_NS1_11comp_targetILNS1_3genE4ELNS1_11target_archE910ELNS1_3gpuE8ELNS1_3repE0EEENS1_30default_config_static_selectorELNS0_4arch9wavefront6targetE1EEEvT1_: ; @_ZN7rocprim17ROCPRIM_400000_NS6detail17trampoline_kernelINS0_14default_configENS1_20scan_config_selectorIfEEZZNS1_9scan_implILNS1_25lookback_scan_determinismE0ELb0ELb0ES3_N6thrust23THRUST_200600_302600_NS6detail15normal_iteratorINS9_10device_ptrIfEEEENSB_INSC_IiEEEEfNS9_4plusIvEEfEEDaPvRmT3_T4_T5_mT6_P12ihipStream_tbENKUlT_T0_E_clISt17integral_constantIbLb0EESW_EEDaSR_SS_EUlSR_E0_NS1_11comp_targetILNS1_3genE4ELNS1_11target_archE910ELNS1_3gpuE8ELNS1_3repE0EEENS1_30default_config_static_selectorELNS0_4arch9wavefront6targetE1EEEvT1_
; %bb.0:
	s_load_dwordx4 s[28:31], s[4:5], 0x0
	v_lshlrev_b32_e32 v30, 2, v0
	s_waitcnt lgkmcnt(0)
	s_load_dword s31, s[28:29], 0x0
	v_cmp_gt_u32_e32 vcc, s30, v0
	s_waitcnt lgkmcnt(0)
	v_mov_b32_e32 v1, s31
	s_and_saveexec_b64 s[0:1], vcc
	s_cbranch_execz .LBB1432_2
; %bb.1:
	global_load_dword v1, v30, s[28:29]
.LBB1432_2:
	s_or_b64 exec, exec, s[0:1]
	v_or_b32_e32 v2, 0x80, v0
	v_cmp_gt_u32_e64 s[0:1], s30, v2
	v_mov_b32_e32 v2, s31
	s_and_saveexec_b64 s[2:3], s[0:1]
	s_cbranch_execz .LBB1432_4
; %bb.3:
	global_load_dword v2, v30, s[28:29] offset:512
.LBB1432_4:
	s_or_b64 exec, exec, s[2:3]
	v_or_b32_e32 v3, 0x100, v0
	v_cmp_gt_u32_e64 s[2:3], s30, v3
	v_mov_b32_e32 v3, s31
	s_and_saveexec_b64 s[6:7], s[2:3]
	s_cbranch_execz .LBB1432_6
; %bb.5:
	global_load_dword v3, v30, s[28:29] offset:1024
.LBB1432_6:
	;; [unrolled: 9-line block ×7, first 2 shown]
	s_or_b64 exec, exec, s[14:15]
	v_or_b32_e32 v10, 0x400, v0
	v_cmp_gt_u32_e64 s[14:15], s30, v10
	v_mov_b32_e32 v9, s31
	s_and_saveexec_b64 s[16:17], s[14:15]
	s_cbranch_execz .LBB1432_18
; %bb.17:
	v_lshlrev_b32_e32 v9, 2, v10
	global_load_dword v9, v9, s[28:29]
.LBB1432_18:
	s_or_b64 exec, exec, s[16:17]
	v_or_b32_e32 v11, 0x480, v0
	v_cmp_gt_u32_e64 s[16:17], s30, v11
	v_mov_b32_e32 v10, s31
	s_and_saveexec_b64 s[18:19], s[16:17]
	s_cbranch_execz .LBB1432_20
; %bb.19:
	v_lshlrev_b32_e32 v10, 2, v11
	global_load_dword v10, v10, s[28:29]
.LBB1432_20:
	s_or_b64 exec, exec, s[18:19]
	v_or_b32_e32 v12, 0x500, v0
	v_cmp_gt_u32_e64 s[18:19], s30, v12
	v_mov_b32_e32 v11, s31
	s_and_saveexec_b64 s[20:21], s[18:19]
	s_cbranch_execz .LBB1432_22
; %bb.21:
	v_lshlrev_b32_e32 v11, 2, v12
	global_load_dword v11, v11, s[28:29]
.LBB1432_22:
	s_or_b64 exec, exec, s[20:21]
	v_or_b32_e32 v13, 0x580, v0
	v_cmp_gt_u32_e64 s[20:21], s30, v13
	v_mov_b32_e32 v12, s31
	s_and_saveexec_b64 s[22:23], s[20:21]
	s_cbranch_execz .LBB1432_24
; %bb.23:
	v_lshlrev_b32_e32 v12, 2, v13
	global_load_dword v12, v12, s[28:29]
.LBB1432_24:
	s_or_b64 exec, exec, s[22:23]
	v_or_b32_e32 v14, 0x600, v0
	v_cmp_gt_u32_e64 s[22:23], s30, v14
	v_mov_b32_e32 v13, s31
	s_and_saveexec_b64 s[24:25], s[22:23]
	s_cbranch_execz .LBB1432_26
; %bb.25:
	v_lshlrev_b32_e32 v13, 2, v14
	global_load_dword v13, v13, s[28:29]
.LBB1432_26:
	s_or_b64 exec, exec, s[24:25]
	v_or_b32_e32 v15, 0x680, v0
	v_cmp_gt_u32_e64 s[24:25], s30, v15
	v_mov_b32_e32 v14, s31
	s_and_saveexec_b64 s[30:31], s[24:25]
	s_cbranch_execz .LBB1432_28
; %bb.27:
	v_lshlrev_b32_e32 v14, 2, v15
	global_load_dword v14, v14, s[28:29]
.LBB1432_28:
	s_or_b64 exec, exec, s[30:31]
	s_waitcnt vmcnt(0)
	ds_write2st64_b32 v30, v1, v2 offset1:2
	ds_write2st64_b32 v30, v3, v4 offset0:4 offset1:6
	ds_write2st64_b32 v30, v5, v6 offset0:8 offset1:10
	;; [unrolled: 1-line block ×6, first 2 shown]
	v_mad_u32_u24 v1, v0, 52, v30
	s_waitcnt lgkmcnt(0)
	s_barrier
	ds_read2_b64 v[10:13], v1 offset1:1
	ds_read2_b64 v[6:9], v1 offset0:2 offset1:3
	ds_read2_b64 v[2:5], v1 offset0:4 offset1:5
	ds_read_b64 v[28:29], v1 offset:48
	v_lshrrev_b32_e32 v18, 3, v0
	s_waitcnt lgkmcnt(3)
	v_add_f32_e32 v19, v10, v11
	v_add_f32_e32 v24, v19, v12
	v_add_f32_e32 v25, v24, v13
	s_waitcnt lgkmcnt(2)
	v_add_f32_e32 v16, v25, v6
	v_add_f32_e32 v17, v16, v7
	v_add_f32_e32 v22, v17, v8
	v_add_f32_e32 v23, v22, v9
	s_waitcnt lgkmcnt(1)
	v_add_f32_e32 v14, v23, v2
	;; [unrolled: 5-line block ×3, first 2 shown]
	v_and_b32_e32 v18, 12, v18
	v_add_f32_e32 v27, v26, v29
	v_add_u32_e32 v18, v30, v18
	v_cmp_gt_u32_e64 s[28:29], 64, v0
	s_barrier
	ds_write_b32 v18, v27
	s_waitcnt lgkmcnt(0)
	s_barrier
	s_and_saveexec_b64 s[36:37], s[28:29]
	s_cbranch_execz .LBB1432_30
; %bb.29:
	v_lshlrev_b32_e32 v18, 1, v0
	v_lshrrev_b32_e32 v31, 4, v0
	v_add_lshl_u32 v18, v31, v18, 2
	ds_read2_b32 v[32:33], v18 offset1:1
	v_mbcnt_lo_u32_b32 v31, -1, 0
	v_mbcnt_hi_u32_b32 v31, -1, v31
	v_and_b32_e32 v34, 15, v31
	v_cmp_eq_u32_e64 s[28:29], 0, v34
	s_waitcnt lgkmcnt(0)
	v_add_f32_e32 v33, v32, v33
	v_cmp_lt_u32_e64 s[30:31], 3, v34
	v_cmp_lt_u32_e64 s[34:35], 31, v31
	v_mov_b32_dpp v35, v33 row_shr:1 row_mask:0xf bank_mask:0xf
	v_add_f32_e32 v35, v33, v35
	v_cndmask_b32_e64 v33, v35, v33, s[28:29]
	v_cmp_lt_u32_e64 s[28:29], 1, v34
	s_nop 0
	v_mov_b32_dpp v35, v33 row_shr:2 row_mask:0xf bank_mask:0xf
	v_add_f32_e32 v35, v33, v35
	v_cndmask_b32_e64 v35, v33, v35, s[28:29]
	; wave barrier
	s_nop 1
	v_mov_b32_dpp v36, v35 row_shr:4 row_mask:0xf bank_mask:0xf
	v_add_f32_e32 v36, v35, v36
	v_cndmask_b32_e64 v35, v35, v36, s[30:31]
	v_cmp_lt_u32_e64 s[30:31], 7, v34
	s_nop 0
	v_mov_b32_dpp v36, v35 row_shr:8 row_mask:0xf bank_mask:0xf
	v_add_f32_e32 v36, v35, v36
	v_cndmask_b32_e64 v34, v35, v36, s[30:31]
	v_and_b32_e32 v36, 16, v31
	v_cmp_eq_u32_e64 s[30:31], 0, v36
	v_mov_b32_dpp v35, v34 row_bcast:15 row_mask:0xf bank_mask:0xf
	v_add_f32_e32 v35, v34, v35
	v_cndmask_b32_e64 v34, v35, v34, s[30:31]
	v_cmp_lt_u32_e64 s[30:31], 15, v31
	s_or_b64 s[28:29], s[30:31], s[28:29]
	v_mov_b32_dpp v35, v34 row_bcast:31 row_mask:0xf bank_mask:0xf
	v_add_f32_e32 v35, v34, v35
	v_cndmask_b32_e64 v34, v34, v35, s[34:35]
	v_cndmask_b32_e64 v33, v33, v34, s[28:29]
	v_add_u32_e32 v34, -1, v31
	v_and_b32_e32 v35, 64, v31
	v_cmp_lt_i32_e64 s[28:29], v34, v35
	v_cndmask_b32_e64 v31, v34, v31, s[28:29]
	v_lshlrev_b32_e32 v31, 2, v31
	ds_bpermute_b32 v31, v31, v33
	v_cmp_eq_u32_e64 s[28:29], 0, v0
	s_waitcnt lgkmcnt(0)
	v_add_f32_e32 v31, v32, v31
	v_cndmask_b32_e64 v31, v31, v27, s[28:29]
	ds_write_b32 v18, v31
	; wave barrier
	ds_read_b32 v32, v18 offset:4
	s_waitcnt lgkmcnt(0)
	v_add_f32_e32 v31, v31, v32
	ds_write_b32 v18, v31 offset:4
.LBB1432_30:
	s_or_b64 exec, exec, s[36:37]
	s_load_dwordx2 s[28:29], s[4:5], 0x18
	v_cmp_ne_u32_e64 s[4:5], 0, v0
	v_mov_b32_e32 v31, v27
	s_waitcnt lgkmcnt(0)
	s_barrier
	s_and_saveexec_b64 s[30:31], s[4:5]
	s_cbranch_execz .LBB1432_32
; %bb.31:
	v_add_u32_e32 v18, -1, v0
	v_lshrrev_b32_e32 v31, 5, v18
	v_add_lshl_u32 v18, v31, v18, 2
	ds_read_b32 v31, v18
.LBB1432_32:
	s_or_b64 exec, exec, s[30:31]
	v_mov_b32_e32 v18, v10
	s_and_saveexec_b64 s[30:31], s[4:5]
	s_cbranch_execz .LBB1432_34
; %bb.33:
	s_waitcnt lgkmcnt(0)
	v_add_f32_e32 v18, v10, v31
	v_add_f32_e32 v19, v11, v18
	v_add_f32_e32 v24, v12, v19
	v_add_f32_e32 v25, v13, v24
	v_add_f32_e32 v16, v6, v25
	v_add_f32_e32 v17, v7, v16
	v_add_f32_e32 v22, v8, v17
	v_add_f32_e32 v23, v9, v22
	v_add_f32_e32 v14, v2, v23
	v_add_f32_e32 v15, v3, v14
	v_add_f32_e32 v20, v4, v15
	v_add_f32_e32 v21, v5, v20
	v_add_f32_e32 v26, v28, v21
	v_add_f32_e32 v27, v29, v26
	;;#ASMSTART
	;;#ASMEND
.LBB1432_34:
	s_or_b64 exec, exec, s[30:31]
	s_movk_i32 s4, 0xffcc
	v_mad_i32_i24 v0, v0, s4, v1
	s_waitcnt lgkmcnt(0)
	s_barrier
	ds_write2_b64 v1, v[18:19], v[24:25] offset1:1
	ds_write2_b64 v1, v[16:17], v[22:23] offset0:2 offset1:3
	ds_write2_b64 v1, v[14:15], v[20:21] offset0:4 offset1:5
	ds_write_b64 v1, v[26:27] offset:48
	s_waitcnt lgkmcnt(0)
	s_barrier
	ds_read2st64_b32 v[12:13], v0 offset0:2 offset1:4
	ds_read2st64_b32 v[10:11], v0 offset0:6 offset1:8
	;; [unrolled: 1-line block ×4, first 2 shown]
	ds_read_b32 v14, v30 offset:4096
	ds_read2st64_b32 v[4:5], v0 offset0:20 offset1:22
	ds_read2st64_b32 v[2:3], v0 offset0:24 offset1:26
	v_mov_b32_e32 v1, s29
	v_add_co_u32_e64 v0, s[4:5], s28, v30
	v_addc_co_u32_e64 v1, s[4:5], 0, v1, s[4:5]
	s_and_saveexec_b64 s[4:5], vcc
	s_cbranch_execnz .LBB1432_49
; %bb.35:
	s_or_b64 exec, exec, s[4:5]
	s_and_saveexec_b64 s[4:5], s[0:1]
	s_cbranch_execnz .LBB1432_50
.LBB1432_36:
	s_or_b64 exec, exec, s[4:5]
	s_and_saveexec_b64 s[0:1], s[2:3]
	s_cbranch_execnz .LBB1432_51
.LBB1432_37:
	s_or_b64 exec, exec, s[0:1]
	s_and_saveexec_b64 s[0:1], s[26:27]
	s_cbranch_execnz .LBB1432_52
.LBB1432_38:
	s_or_b64 exec, exec, s[0:1]
	s_and_saveexec_b64 s[0:1], s[6:7]
	s_cbranch_execnz .LBB1432_53
.LBB1432_39:
	s_or_b64 exec, exec, s[0:1]
	s_and_saveexec_b64 s[0:1], s[8:9]
	s_cbranch_execnz .LBB1432_54
.LBB1432_40:
	s_or_b64 exec, exec, s[0:1]
	s_and_saveexec_b64 s[0:1], s[10:11]
	s_cbranch_execnz .LBB1432_55
.LBB1432_41:
	s_or_b64 exec, exec, s[0:1]
	s_and_saveexec_b64 s[0:1], s[12:13]
	s_cbranch_execnz .LBB1432_56
.LBB1432_42:
	s_or_b64 exec, exec, s[0:1]
	s_and_saveexec_b64 s[0:1], s[14:15]
	s_cbranch_execnz .LBB1432_57
.LBB1432_43:
	s_or_b64 exec, exec, s[0:1]
	s_and_saveexec_b64 s[0:1], s[16:17]
	s_cbranch_execnz .LBB1432_58
.LBB1432_44:
	s_or_b64 exec, exec, s[0:1]
	s_and_saveexec_b64 s[0:1], s[18:19]
	s_cbranch_execnz .LBB1432_59
.LBB1432_45:
	s_or_b64 exec, exec, s[0:1]
	s_and_saveexec_b64 s[0:1], s[20:21]
	s_cbranch_execnz .LBB1432_60
.LBB1432_46:
	s_or_b64 exec, exec, s[0:1]
	s_and_saveexec_b64 s[0:1], s[22:23]
	s_cbranch_execnz .LBB1432_61
.LBB1432_47:
	s_or_b64 exec, exec, s[0:1]
	s_and_saveexec_b64 s[0:1], s[24:25]
	s_cbranch_execnz .LBB1432_62
.LBB1432_48:
	s_endpgm
.LBB1432_49:
	ds_read_b32 v15, v30
	s_waitcnt lgkmcnt(0)
	v_cvt_i32_f32_e32 v15, v15
	global_store_dword v[0:1], v15, off
	s_or_b64 exec, exec, s[4:5]
	s_and_saveexec_b64 s[4:5], s[0:1]
	s_cbranch_execz .LBB1432_36
.LBB1432_50:
	s_waitcnt lgkmcnt(6)
	v_cvt_i32_f32_e32 v12, v12
	global_store_dword v[0:1], v12, off offset:512
	s_or_b64 exec, exec, s[4:5]
	s_and_saveexec_b64 s[0:1], s[2:3]
	s_cbranch_execz .LBB1432_37
.LBB1432_51:
	s_waitcnt lgkmcnt(6)
	v_cvt_i32_f32_e32 v12, v13
	global_store_dword v[0:1], v12, off offset:1024
	s_or_b64 exec, exec, s[0:1]
	s_and_saveexec_b64 s[0:1], s[26:27]
	s_cbranch_execz .LBB1432_38
.LBB1432_52:
	s_waitcnt lgkmcnt(5)
	v_cvt_i32_f32_e32 v10, v10
	global_store_dword v[0:1], v10, off offset:1536
	s_or_b64 exec, exec, s[0:1]
	s_and_saveexec_b64 s[0:1], s[6:7]
	s_cbranch_execz .LBB1432_39
.LBB1432_53:
	s_waitcnt lgkmcnt(5)
	v_cvt_i32_f32_e32 v10, v11
	global_store_dword v[0:1], v10, off offset:2048
	s_or_b64 exec, exec, s[0:1]
	s_and_saveexec_b64 s[0:1], s[8:9]
	s_cbranch_execz .LBB1432_40
.LBB1432_54:
	s_waitcnt lgkmcnt(4)
	v_cvt_i32_f32_e32 v8, v8
	global_store_dword v[0:1], v8, off offset:2560
	s_or_b64 exec, exec, s[0:1]
	s_and_saveexec_b64 s[0:1], s[10:11]
	s_cbranch_execz .LBB1432_41
.LBB1432_55:
	s_waitcnt lgkmcnt(4)
	v_cvt_i32_f32_e32 v8, v9
	global_store_dword v[0:1], v8, off offset:3072
	s_or_b64 exec, exec, s[0:1]
	s_and_saveexec_b64 s[0:1], s[12:13]
	s_cbranch_execz .LBB1432_42
.LBB1432_56:
	s_waitcnt lgkmcnt(3)
	v_cvt_i32_f32_e32 v6, v6
	global_store_dword v[0:1], v6, off offset:3584
	s_or_b64 exec, exec, s[0:1]
	s_and_saveexec_b64 s[0:1], s[14:15]
	s_cbranch_execz .LBB1432_43
.LBB1432_57:
	s_waitcnt lgkmcnt(2)
	v_cvt_i32_f32_e32 v6, v14
	v_add_co_u32_e32 v8, vcc, 0x1000, v0
	v_addc_co_u32_e32 v9, vcc, 0, v1, vcc
	global_store_dword v[8:9], v6, off
	s_or_b64 exec, exec, s[0:1]
	s_and_saveexec_b64 s[0:1], s[16:17]
	s_cbranch_execz .LBB1432_44
.LBB1432_58:
	s_waitcnt lgkmcnt(3)
	v_cvt_i32_f32_e32 v8, v7
	v_add_co_u32_e32 v6, vcc, 0x1000, v0
	v_addc_co_u32_e32 v7, vcc, 0, v1, vcc
	global_store_dword v[6:7], v8, off offset:512
	s_or_b64 exec, exec, s[0:1]
	s_and_saveexec_b64 s[0:1], s[18:19]
	s_cbranch_execz .LBB1432_45
.LBB1432_59:
	s_waitcnt lgkmcnt(1)
	v_cvt_i32_f32_e32 v4, v4
	v_add_co_u32_e32 v6, vcc, 0x1000, v0
	v_addc_co_u32_e32 v7, vcc, 0, v1, vcc
	global_store_dword v[6:7], v4, off offset:1024
	s_or_b64 exec, exec, s[0:1]
	s_and_saveexec_b64 s[0:1], s[20:21]
	s_cbranch_execz .LBB1432_46
.LBB1432_60:
	s_waitcnt lgkmcnt(1)
	v_cvt_i32_f32_e32 v6, v5
	v_add_co_u32_e32 v4, vcc, 0x1000, v0
	v_addc_co_u32_e32 v5, vcc, 0, v1, vcc
	global_store_dword v[4:5], v6, off offset:1536
	s_or_b64 exec, exec, s[0:1]
	s_and_saveexec_b64 s[0:1], s[22:23]
	s_cbranch_execz .LBB1432_47
.LBB1432_61:
	s_waitcnt lgkmcnt(0)
	v_cvt_i32_f32_e32 v2, v2
	v_add_co_u32_e32 v4, vcc, 0x1000, v0
	v_addc_co_u32_e32 v5, vcc, 0, v1, vcc
	global_store_dword v[4:5], v2, off offset:2048
	s_or_b64 exec, exec, s[0:1]
	s_and_saveexec_b64 s[0:1], s[24:25]
	s_cbranch_execz .LBB1432_48
.LBB1432_62:
	s_waitcnt lgkmcnt(0)
	v_cvt_i32_f32_e32 v2, v3
	v_add_co_u32_e32 v0, vcc, 0x1000, v0
	v_addc_co_u32_e32 v1, vcc, 0, v1, vcc
	global_store_dword v[0:1], v2, off offset:2560
	s_endpgm
	.section	.rodata,"a",@progbits
	.p2align	6, 0x0
	.amdhsa_kernel _ZN7rocprim17ROCPRIM_400000_NS6detail17trampoline_kernelINS0_14default_configENS1_20scan_config_selectorIfEEZZNS1_9scan_implILNS1_25lookback_scan_determinismE0ELb0ELb0ES3_N6thrust23THRUST_200600_302600_NS6detail15normal_iteratorINS9_10device_ptrIfEEEENSB_INSC_IiEEEEfNS9_4plusIvEEfEEDaPvRmT3_T4_T5_mT6_P12ihipStream_tbENKUlT_T0_E_clISt17integral_constantIbLb0EESW_EEDaSR_SS_EUlSR_E0_NS1_11comp_targetILNS1_3genE4ELNS1_11target_archE910ELNS1_3gpuE8ELNS1_3repE0EEENS1_30default_config_static_selectorELNS0_4arch9wavefront6targetE1EEEvT1_
		.amdhsa_group_segment_fixed_size 7168
		.amdhsa_private_segment_fixed_size 0
		.amdhsa_kernarg_size 32
		.amdhsa_user_sgpr_count 6
		.amdhsa_user_sgpr_private_segment_buffer 1
		.amdhsa_user_sgpr_dispatch_ptr 0
		.amdhsa_user_sgpr_queue_ptr 0
		.amdhsa_user_sgpr_kernarg_segment_ptr 1
		.amdhsa_user_sgpr_dispatch_id 0
		.amdhsa_user_sgpr_flat_scratch_init 0
		.amdhsa_user_sgpr_kernarg_preload_length 0
		.amdhsa_user_sgpr_kernarg_preload_offset 0
		.amdhsa_user_sgpr_private_segment_size 0
		.amdhsa_uses_dynamic_stack 0
		.amdhsa_system_sgpr_private_segment_wavefront_offset 0
		.amdhsa_system_sgpr_workgroup_id_x 1
		.amdhsa_system_sgpr_workgroup_id_y 0
		.amdhsa_system_sgpr_workgroup_id_z 0
		.amdhsa_system_sgpr_workgroup_info 0
		.amdhsa_system_vgpr_workitem_id 0
		.amdhsa_next_free_vgpr 37
		.amdhsa_next_free_sgpr 38
		.amdhsa_accum_offset 40
		.amdhsa_reserve_vcc 1
		.amdhsa_reserve_flat_scratch 0
		.amdhsa_float_round_mode_32 0
		.amdhsa_float_round_mode_16_64 0
		.amdhsa_float_denorm_mode_32 3
		.amdhsa_float_denorm_mode_16_64 3
		.amdhsa_dx10_clamp 1
		.amdhsa_ieee_mode 1
		.amdhsa_fp16_overflow 0
		.amdhsa_tg_split 0
		.amdhsa_exception_fp_ieee_invalid_op 0
		.amdhsa_exception_fp_denorm_src 0
		.amdhsa_exception_fp_ieee_div_zero 0
		.amdhsa_exception_fp_ieee_overflow 0
		.amdhsa_exception_fp_ieee_underflow 0
		.amdhsa_exception_fp_ieee_inexact 0
		.amdhsa_exception_int_div_zero 0
	.end_amdhsa_kernel
	.section	.text._ZN7rocprim17ROCPRIM_400000_NS6detail17trampoline_kernelINS0_14default_configENS1_20scan_config_selectorIfEEZZNS1_9scan_implILNS1_25lookback_scan_determinismE0ELb0ELb0ES3_N6thrust23THRUST_200600_302600_NS6detail15normal_iteratorINS9_10device_ptrIfEEEENSB_INSC_IiEEEEfNS9_4plusIvEEfEEDaPvRmT3_T4_T5_mT6_P12ihipStream_tbENKUlT_T0_E_clISt17integral_constantIbLb0EESW_EEDaSR_SS_EUlSR_E0_NS1_11comp_targetILNS1_3genE4ELNS1_11target_archE910ELNS1_3gpuE8ELNS1_3repE0EEENS1_30default_config_static_selectorELNS0_4arch9wavefront6targetE1EEEvT1_,"axG",@progbits,_ZN7rocprim17ROCPRIM_400000_NS6detail17trampoline_kernelINS0_14default_configENS1_20scan_config_selectorIfEEZZNS1_9scan_implILNS1_25lookback_scan_determinismE0ELb0ELb0ES3_N6thrust23THRUST_200600_302600_NS6detail15normal_iteratorINS9_10device_ptrIfEEEENSB_INSC_IiEEEEfNS9_4plusIvEEfEEDaPvRmT3_T4_T5_mT6_P12ihipStream_tbENKUlT_T0_E_clISt17integral_constantIbLb0EESW_EEDaSR_SS_EUlSR_E0_NS1_11comp_targetILNS1_3genE4ELNS1_11target_archE910ELNS1_3gpuE8ELNS1_3repE0EEENS1_30default_config_static_selectorELNS0_4arch9wavefront6targetE1EEEvT1_,comdat
.Lfunc_end1432:
	.size	_ZN7rocprim17ROCPRIM_400000_NS6detail17trampoline_kernelINS0_14default_configENS1_20scan_config_selectorIfEEZZNS1_9scan_implILNS1_25lookback_scan_determinismE0ELb0ELb0ES3_N6thrust23THRUST_200600_302600_NS6detail15normal_iteratorINS9_10device_ptrIfEEEENSB_INSC_IiEEEEfNS9_4plusIvEEfEEDaPvRmT3_T4_T5_mT6_P12ihipStream_tbENKUlT_T0_E_clISt17integral_constantIbLb0EESW_EEDaSR_SS_EUlSR_E0_NS1_11comp_targetILNS1_3genE4ELNS1_11target_archE910ELNS1_3gpuE8ELNS1_3repE0EEENS1_30default_config_static_selectorELNS0_4arch9wavefront6targetE1EEEvT1_, .Lfunc_end1432-_ZN7rocprim17ROCPRIM_400000_NS6detail17trampoline_kernelINS0_14default_configENS1_20scan_config_selectorIfEEZZNS1_9scan_implILNS1_25lookback_scan_determinismE0ELb0ELb0ES3_N6thrust23THRUST_200600_302600_NS6detail15normal_iteratorINS9_10device_ptrIfEEEENSB_INSC_IiEEEEfNS9_4plusIvEEfEEDaPvRmT3_T4_T5_mT6_P12ihipStream_tbENKUlT_T0_E_clISt17integral_constantIbLb0EESW_EEDaSR_SS_EUlSR_E0_NS1_11comp_targetILNS1_3genE4ELNS1_11target_archE910ELNS1_3gpuE8ELNS1_3repE0EEENS1_30default_config_static_selectorELNS0_4arch9wavefront6targetE1EEEvT1_
                                        ; -- End function
	.section	.AMDGPU.csdata,"",@progbits
; Kernel info:
; codeLenInByte = 2084
; NumSgprs: 42
; NumVgprs: 37
; NumAgprs: 0
; TotalNumVgprs: 37
; ScratchSize: 0
; MemoryBound: 0
; FloatMode: 240
; IeeeMode: 1
; LDSByteSize: 7168 bytes/workgroup (compile time only)
; SGPRBlocks: 5
; VGPRBlocks: 4
; NumSGPRsForWavesPerEU: 42
; NumVGPRsForWavesPerEU: 37
; AccumOffset: 40
; Occupancy: 5
; WaveLimiterHint : 0
; COMPUTE_PGM_RSRC2:SCRATCH_EN: 0
; COMPUTE_PGM_RSRC2:USER_SGPR: 6
; COMPUTE_PGM_RSRC2:TRAP_HANDLER: 0
; COMPUTE_PGM_RSRC2:TGID_X_EN: 1
; COMPUTE_PGM_RSRC2:TGID_Y_EN: 0
; COMPUTE_PGM_RSRC2:TGID_Z_EN: 0
; COMPUTE_PGM_RSRC2:TIDIG_COMP_CNT: 0
; COMPUTE_PGM_RSRC3_GFX90A:ACCUM_OFFSET: 9
; COMPUTE_PGM_RSRC3_GFX90A:TG_SPLIT: 0
	.section	.text._ZN7rocprim17ROCPRIM_400000_NS6detail17trampoline_kernelINS0_14default_configENS1_20scan_config_selectorIfEEZZNS1_9scan_implILNS1_25lookback_scan_determinismE0ELb0ELb0ES3_N6thrust23THRUST_200600_302600_NS6detail15normal_iteratorINS9_10device_ptrIfEEEENSB_INSC_IiEEEEfNS9_4plusIvEEfEEDaPvRmT3_T4_T5_mT6_P12ihipStream_tbENKUlT_T0_E_clISt17integral_constantIbLb0EESW_EEDaSR_SS_EUlSR_E0_NS1_11comp_targetILNS1_3genE3ELNS1_11target_archE908ELNS1_3gpuE7ELNS1_3repE0EEENS1_30default_config_static_selectorELNS0_4arch9wavefront6targetE1EEEvT1_,"axG",@progbits,_ZN7rocprim17ROCPRIM_400000_NS6detail17trampoline_kernelINS0_14default_configENS1_20scan_config_selectorIfEEZZNS1_9scan_implILNS1_25lookback_scan_determinismE0ELb0ELb0ES3_N6thrust23THRUST_200600_302600_NS6detail15normal_iteratorINS9_10device_ptrIfEEEENSB_INSC_IiEEEEfNS9_4plusIvEEfEEDaPvRmT3_T4_T5_mT6_P12ihipStream_tbENKUlT_T0_E_clISt17integral_constantIbLb0EESW_EEDaSR_SS_EUlSR_E0_NS1_11comp_targetILNS1_3genE3ELNS1_11target_archE908ELNS1_3gpuE7ELNS1_3repE0EEENS1_30default_config_static_selectorELNS0_4arch9wavefront6targetE1EEEvT1_,comdat
	.protected	_ZN7rocprim17ROCPRIM_400000_NS6detail17trampoline_kernelINS0_14default_configENS1_20scan_config_selectorIfEEZZNS1_9scan_implILNS1_25lookback_scan_determinismE0ELb0ELb0ES3_N6thrust23THRUST_200600_302600_NS6detail15normal_iteratorINS9_10device_ptrIfEEEENSB_INSC_IiEEEEfNS9_4plusIvEEfEEDaPvRmT3_T4_T5_mT6_P12ihipStream_tbENKUlT_T0_E_clISt17integral_constantIbLb0EESW_EEDaSR_SS_EUlSR_E0_NS1_11comp_targetILNS1_3genE3ELNS1_11target_archE908ELNS1_3gpuE7ELNS1_3repE0EEENS1_30default_config_static_selectorELNS0_4arch9wavefront6targetE1EEEvT1_ ; -- Begin function _ZN7rocprim17ROCPRIM_400000_NS6detail17trampoline_kernelINS0_14default_configENS1_20scan_config_selectorIfEEZZNS1_9scan_implILNS1_25lookback_scan_determinismE0ELb0ELb0ES3_N6thrust23THRUST_200600_302600_NS6detail15normal_iteratorINS9_10device_ptrIfEEEENSB_INSC_IiEEEEfNS9_4plusIvEEfEEDaPvRmT3_T4_T5_mT6_P12ihipStream_tbENKUlT_T0_E_clISt17integral_constantIbLb0EESW_EEDaSR_SS_EUlSR_E0_NS1_11comp_targetILNS1_3genE3ELNS1_11target_archE908ELNS1_3gpuE7ELNS1_3repE0EEENS1_30default_config_static_selectorELNS0_4arch9wavefront6targetE1EEEvT1_
	.globl	_ZN7rocprim17ROCPRIM_400000_NS6detail17trampoline_kernelINS0_14default_configENS1_20scan_config_selectorIfEEZZNS1_9scan_implILNS1_25lookback_scan_determinismE0ELb0ELb0ES3_N6thrust23THRUST_200600_302600_NS6detail15normal_iteratorINS9_10device_ptrIfEEEENSB_INSC_IiEEEEfNS9_4plusIvEEfEEDaPvRmT3_T4_T5_mT6_P12ihipStream_tbENKUlT_T0_E_clISt17integral_constantIbLb0EESW_EEDaSR_SS_EUlSR_E0_NS1_11comp_targetILNS1_3genE3ELNS1_11target_archE908ELNS1_3gpuE7ELNS1_3repE0EEENS1_30default_config_static_selectorELNS0_4arch9wavefront6targetE1EEEvT1_
	.p2align	8
	.type	_ZN7rocprim17ROCPRIM_400000_NS6detail17trampoline_kernelINS0_14default_configENS1_20scan_config_selectorIfEEZZNS1_9scan_implILNS1_25lookback_scan_determinismE0ELb0ELb0ES3_N6thrust23THRUST_200600_302600_NS6detail15normal_iteratorINS9_10device_ptrIfEEEENSB_INSC_IiEEEEfNS9_4plusIvEEfEEDaPvRmT3_T4_T5_mT6_P12ihipStream_tbENKUlT_T0_E_clISt17integral_constantIbLb0EESW_EEDaSR_SS_EUlSR_E0_NS1_11comp_targetILNS1_3genE3ELNS1_11target_archE908ELNS1_3gpuE7ELNS1_3repE0EEENS1_30default_config_static_selectorELNS0_4arch9wavefront6targetE1EEEvT1_,@function
_ZN7rocprim17ROCPRIM_400000_NS6detail17trampoline_kernelINS0_14default_configENS1_20scan_config_selectorIfEEZZNS1_9scan_implILNS1_25lookback_scan_determinismE0ELb0ELb0ES3_N6thrust23THRUST_200600_302600_NS6detail15normal_iteratorINS9_10device_ptrIfEEEENSB_INSC_IiEEEEfNS9_4plusIvEEfEEDaPvRmT3_T4_T5_mT6_P12ihipStream_tbENKUlT_T0_E_clISt17integral_constantIbLb0EESW_EEDaSR_SS_EUlSR_E0_NS1_11comp_targetILNS1_3genE3ELNS1_11target_archE908ELNS1_3gpuE7ELNS1_3repE0EEENS1_30default_config_static_selectorELNS0_4arch9wavefront6targetE1EEEvT1_: ; @_ZN7rocprim17ROCPRIM_400000_NS6detail17trampoline_kernelINS0_14default_configENS1_20scan_config_selectorIfEEZZNS1_9scan_implILNS1_25lookback_scan_determinismE0ELb0ELb0ES3_N6thrust23THRUST_200600_302600_NS6detail15normal_iteratorINS9_10device_ptrIfEEEENSB_INSC_IiEEEEfNS9_4plusIvEEfEEDaPvRmT3_T4_T5_mT6_P12ihipStream_tbENKUlT_T0_E_clISt17integral_constantIbLb0EESW_EEDaSR_SS_EUlSR_E0_NS1_11comp_targetILNS1_3genE3ELNS1_11target_archE908ELNS1_3gpuE7ELNS1_3repE0EEENS1_30default_config_static_selectorELNS0_4arch9wavefront6targetE1EEEvT1_
; %bb.0:
	.section	.rodata,"a",@progbits
	.p2align	6, 0x0
	.amdhsa_kernel _ZN7rocprim17ROCPRIM_400000_NS6detail17trampoline_kernelINS0_14default_configENS1_20scan_config_selectorIfEEZZNS1_9scan_implILNS1_25lookback_scan_determinismE0ELb0ELb0ES3_N6thrust23THRUST_200600_302600_NS6detail15normal_iteratorINS9_10device_ptrIfEEEENSB_INSC_IiEEEEfNS9_4plusIvEEfEEDaPvRmT3_T4_T5_mT6_P12ihipStream_tbENKUlT_T0_E_clISt17integral_constantIbLb0EESW_EEDaSR_SS_EUlSR_E0_NS1_11comp_targetILNS1_3genE3ELNS1_11target_archE908ELNS1_3gpuE7ELNS1_3repE0EEENS1_30default_config_static_selectorELNS0_4arch9wavefront6targetE1EEEvT1_
		.amdhsa_group_segment_fixed_size 0
		.amdhsa_private_segment_fixed_size 0
		.amdhsa_kernarg_size 32
		.amdhsa_user_sgpr_count 6
		.amdhsa_user_sgpr_private_segment_buffer 1
		.amdhsa_user_sgpr_dispatch_ptr 0
		.amdhsa_user_sgpr_queue_ptr 0
		.amdhsa_user_sgpr_kernarg_segment_ptr 1
		.amdhsa_user_sgpr_dispatch_id 0
		.amdhsa_user_sgpr_flat_scratch_init 0
		.amdhsa_user_sgpr_kernarg_preload_length 0
		.amdhsa_user_sgpr_kernarg_preload_offset 0
		.amdhsa_user_sgpr_private_segment_size 0
		.amdhsa_uses_dynamic_stack 0
		.amdhsa_system_sgpr_private_segment_wavefront_offset 0
		.amdhsa_system_sgpr_workgroup_id_x 1
		.amdhsa_system_sgpr_workgroup_id_y 0
		.amdhsa_system_sgpr_workgroup_id_z 0
		.amdhsa_system_sgpr_workgroup_info 0
		.amdhsa_system_vgpr_workitem_id 0
		.amdhsa_next_free_vgpr 1
		.amdhsa_next_free_sgpr 0
		.amdhsa_accum_offset 4
		.amdhsa_reserve_vcc 0
		.amdhsa_reserve_flat_scratch 0
		.amdhsa_float_round_mode_32 0
		.amdhsa_float_round_mode_16_64 0
		.amdhsa_float_denorm_mode_32 3
		.amdhsa_float_denorm_mode_16_64 3
		.amdhsa_dx10_clamp 1
		.amdhsa_ieee_mode 1
		.amdhsa_fp16_overflow 0
		.amdhsa_tg_split 0
		.amdhsa_exception_fp_ieee_invalid_op 0
		.amdhsa_exception_fp_denorm_src 0
		.amdhsa_exception_fp_ieee_div_zero 0
		.amdhsa_exception_fp_ieee_overflow 0
		.amdhsa_exception_fp_ieee_underflow 0
		.amdhsa_exception_fp_ieee_inexact 0
		.amdhsa_exception_int_div_zero 0
	.end_amdhsa_kernel
	.section	.text._ZN7rocprim17ROCPRIM_400000_NS6detail17trampoline_kernelINS0_14default_configENS1_20scan_config_selectorIfEEZZNS1_9scan_implILNS1_25lookback_scan_determinismE0ELb0ELb0ES3_N6thrust23THRUST_200600_302600_NS6detail15normal_iteratorINS9_10device_ptrIfEEEENSB_INSC_IiEEEEfNS9_4plusIvEEfEEDaPvRmT3_T4_T5_mT6_P12ihipStream_tbENKUlT_T0_E_clISt17integral_constantIbLb0EESW_EEDaSR_SS_EUlSR_E0_NS1_11comp_targetILNS1_3genE3ELNS1_11target_archE908ELNS1_3gpuE7ELNS1_3repE0EEENS1_30default_config_static_selectorELNS0_4arch9wavefront6targetE1EEEvT1_,"axG",@progbits,_ZN7rocprim17ROCPRIM_400000_NS6detail17trampoline_kernelINS0_14default_configENS1_20scan_config_selectorIfEEZZNS1_9scan_implILNS1_25lookback_scan_determinismE0ELb0ELb0ES3_N6thrust23THRUST_200600_302600_NS6detail15normal_iteratorINS9_10device_ptrIfEEEENSB_INSC_IiEEEEfNS9_4plusIvEEfEEDaPvRmT3_T4_T5_mT6_P12ihipStream_tbENKUlT_T0_E_clISt17integral_constantIbLb0EESW_EEDaSR_SS_EUlSR_E0_NS1_11comp_targetILNS1_3genE3ELNS1_11target_archE908ELNS1_3gpuE7ELNS1_3repE0EEENS1_30default_config_static_selectorELNS0_4arch9wavefront6targetE1EEEvT1_,comdat
.Lfunc_end1433:
	.size	_ZN7rocprim17ROCPRIM_400000_NS6detail17trampoline_kernelINS0_14default_configENS1_20scan_config_selectorIfEEZZNS1_9scan_implILNS1_25lookback_scan_determinismE0ELb0ELb0ES3_N6thrust23THRUST_200600_302600_NS6detail15normal_iteratorINS9_10device_ptrIfEEEENSB_INSC_IiEEEEfNS9_4plusIvEEfEEDaPvRmT3_T4_T5_mT6_P12ihipStream_tbENKUlT_T0_E_clISt17integral_constantIbLb0EESW_EEDaSR_SS_EUlSR_E0_NS1_11comp_targetILNS1_3genE3ELNS1_11target_archE908ELNS1_3gpuE7ELNS1_3repE0EEENS1_30default_config_static_selectorELNS0_4arch9wavefront6targetE1EEEvT1_, .Lfunc_end1433-_ZN7rocprim17ROCPRIM_400000_NS6detail17trampoline_kernelINS0_14default_configENS1_20scan_config_selectorIfEEZZNS1_9scan_implILNS1_25lookback_scan_determinismE0ELb0ELb0ES3_N6thrust23THRUST_200600_302600_NS6detail15normal_iteratorINS9_10device_ptrIfEEEENSB_INSC_IiEEEEfNS9_4plusIvEEfEEDaPvRmT3_T4_T5_mT6_P12ihipStream_tbENKUlT_T0_E_clISt17integral_constantIbLb0EESW_EEDaSR_SS_EUlSR_E0_NS1_11comp_targetILNS1_3genE3ELNS1_11target_archE908ELNS1_3gpuE7ELNS1_3repE0EEENS1_30default_config_static_selectorELNS0_4arch9wavefront6targetE1EEEvT1_
                                        ; -- End function
	.section	.AMDGPU.csdata,"",@progbits
; Kernel info:
; codeLenInByte = 0
; NumSgprs: 4
; NumVgprs: 0
; NumAgprs: 0
; TotalNumVgprs: 0
; ScratchSize: 0
; MemoryBound: 0
; FloatMode: 240
; IeeeMode: 1
; LDSByteSize: 0 bytes/workgroup (compile time only)
; SGPRBlocks: 0
; VGPRBlocks: 0
; NumSGPRsForWavesPerEU: 4
; NumVGPRsForWavesPerEU: 1
; AccumOffset: 4
; Occupancy: 8
; WaveLimiterHint : 0
; COMPUTE_PGM_RSRC2:SCRATCH_EN: 0
; COMPUTE_PGM_RSRC2:USER_SGPR: 6
; COMPUTE_PGM_RSRC2:TRAP_HANDLER: 0
; COMPUTE_PGM_RSRC2:TGID_X_EN: 1
; COMPUTE_PGM_RSRC2:TGID_Y_EN: 0
; COMPUTE_PGM_RSRC2:TGID_Z_EN: 0
; COMPUTE_PGM_RSRC2:TIDIG_COMP_CNT: 0
; COMPUTE_PGM_RSRC3_GFX90A:ACCUM_OFFSET: 0
; COMPUTE_PGM_RSRC3_GFX90A:TG_SPLIT: 0
	.section	.text._ZN7rocprim17ROCPRIM_400000_NS6detail17trampoline_kernelINS0_14default_configENS1_20scan_config_selectorIfEEZZNS1_9scan_implILNS1_25lookback_scan_determinismE0ELb0ELb0ES3_N6thrust23THRUST_200600_302600_NS6detail15normal_iteratorINS9_10device_ptrIfEEEENSB_INSC_IiEEEEfNS9_4plusIvEEfEEDaPvRmT3_T4_T5_mT6_P12ihipStream_tbENKUlT_T0_E_clISt17integral_constantIbLb0EESW_EEDaSR_SS_EUlSR_E0_NS1_11comp_targetILNS1_3genE2ELNS1_11target_archE906ELNS1_3gpuE6ELNS1_3repE0EEENS1_30default_config_static_selectorELNS0_4arch9wavefront6targetE1EEEvT1_,"axG",@progbits,_ZN7rocprim17ROCPRIM_400000_NS6detail17trampoline_kernelINS0_14default_configENS1_20scan_config_selectorIfEEZZNS1_9scan_implILNS1_25lookback_scan_determinismE0ELb0ELb0ES3_N6thrust23THRUST_200600_302600_NS6detail15normal_iteratorINS9_10device_ptrIfEEEENSB_INSC_IiEEEEfNS9_4plusIvEEfEEDaPvRmT3_T4_T5_mT6_P12ihipStream_tbENKUlT_T0_E_clISt17integral_constantIbLb0EESW_EEDaSR_SS_EUlSR_E0_NS1_11comp_targetILNS1_3genE2ELNS1_11target_archE906ELNS1_3gpuE6ELNS1_3repE0EEENS1_30default_config_static_selectorELNS0_4arch9wavefront6targetE1EEEvT1_,comdat
	.protected	_ZN7rocprim17ROCPRIM_400000_NS6detail17trampoline_kernelINS0_14default_configENS1_20scan_config_selectorIfEEZZNS1_9scan_implILNS1_25lookback_scan_determinismE0ELb0ELb0ES3_N6thrust23THRUST_200600_302600_NS6detail15normal_iteratorINS9_10device_ptrIfEEEENSB_INSC_IiEEEEfNS9_4plusIvEEfEEDaPvRmT3_T4_T5_mT6_P12ihipStream_tbENKUlT_T0_E_clISt17integral_constantIbLb0EESW_EEDaSR_SS_EUlSR_E0_NS1_11comp_targetILNS1_3genE2ELNS1_11target_archE906ELNS1_3gpuE6ELNS1_3repE0EEENS1_30default_config_static_selectorELNS0_4arch9wavefront6targetE1EEEvT1_ ; -- Begin function _ZN7rocprim17ROCPRIM_400000_NS6detail17trampoline_kernelINS0_14default_configENS1_20scan_config_selectorIfEEZZNS1_9scan_implILNS1_25lookback_scan_determinismE0ELb0ELb0ES3_N6thrust23THRUST_200600_302600_NS6detail15normal_iteratorINS9_10device_ptrIfEEEENSB_INSC_IiEEEEfNS9_4plusIvEEfEEDaPvRmT3_T4_T5_mT6_P12ihipStream_tbENKUlT_T0_E_clISt17integral_constantIbLb0EESW_EEDaSR_SS_EUlSR_E0_NS1_11comp_targetILNS1_3genE2ELNS1_11target_archE906ELNS1_3gpuE6ELNS1_3repE0EEENS1_30default_config_static_selectorELNS0_4arch9wavefront6targetE1EEEvT1_
	.globl	_ZN7rocprim17ROCPRIM_400000_NS6detail17trampoline_kernelINS0_14default_configENS1_20scan_config_selectorIfEEZZNS1_9scan_implILNS1_25lookback_scan_determinismE0ELb0ELb0ES3_N6thrust23THRUST_200600_302600_NS6detail15normal_iteratorINS9_10device_ptrIfEEEENSB_INSC_IiEEEEfNS9_4plusIvEEfEEDaPvRmT3_T4_T5_mT6_P12ihipStream_tbENKUlT_T0_E_clISt17integral_constantIbLb0EESW_EEDaSR_SS_EUlSR_E0_NS1_11comp_targetILNS1_3genE2ELNS1_11target_archE906ELNS1_3gpuE6ELNS1_3repE0EEENS1_30default_config_static_selectorELNS0_4arch9wavefront6targetE1EEEvT1_
	.p2align	8
	.type	_ZN7rocprim17ROCPRIM_400000_NS6detail17trampoline_kernelINS0_14default_configENS1_20scan_config_selectorIfEEZZNS1_9scan_implILNS1_25lookback_scan_determinismE0ELb0ELb0ES3_N6thrust23THRUST_200600_302600_NS6detail15normal_iteratorINS9_10device_ptrIfEEEENSB_INSC_IiEEEEfNS9_4plusIvEEfEEDaPvRmT3_T4_T5_mT6_P12ihipStream_tbENKUlT_T0_E_clISt17integral_constantIbLb0EESW_EEDaSR_SS_EUlSR_E0_NS1_11comp_targetILNS1_3genE2ELNS1_11target_archE906ELNS1_3gpuE6ELNS1_3repE0EEENS1_30default_config_static_selectorELNS0_4arch9wavefront6targetE1EEEvT1_,@function
_ZN7rocprim17ROCPRIM_400000_NS6detail17trampoline_kernelINS0_14default_configENS1_20scan_config_selectorIfEEZZNS1_9scan_implILNS1_25lookback_scan_determinismE0ELb0ELb0ES3_N6thrust23THRUST_200600_302600_NS6detail15normal_iteratorINS9_10device_ptrIfEEEENSB_INSC_IiEEEEfNS9_4plusIvEEfEEDaPvRmT3_T4_T5_mT6_P12ihipStream_tbENKUlT_T0_E_clISt17integral_constantIbLb0EESW_EEDaSR_SS_EUlSR_E0_NS1_11comp_targetILNS1_3genE2ELNS1_11target_archE906ELNS1_3gpuE6ELNS1_3repE0EEENS1_30default_config_static_selectorELNS0_4arch9wavefront6targetE1EEEvT1_: ; @_ZN7rocprim17ROCPRIM_400000_NS6detail17trampoline_kernelINS0_14default_configENS1_20scan_config_selectorIfEEZZNS1_9scan_implILNS1_25lookback_scan_determinismE0ELb0ELb0ES3_N6thrust23THRUST_200600_302600_NS6detail15normal_iteratorINS9_10device_ptrIfEEEENSB_INSC_IiEEEEfNS9_4plusIvEEfEEDaPvRmT3_T4_T5_mT6_P12ihipStream_tbENKUlT_T0_E_clISt17integral_constantIbLb0EESW_EEDaSR_SS_EUlSR_E0_NS1_11comp_targetILNS1_3genE2ELNS1_11target_archE906ELNS1_3gpuE6ELNS1_3repE0EEENS1_30default_config_static_selectorELNS0_4arch9wavefront6targetE1EEEvT1_
; %bb.0:
	.section	.rodata,"a",@progbits
	.p2align	6, 0x0
	.amdhsa_kernel _ZN7rocprim17ROCPRIM_400000_NS6detail17trampoline_kernelINS0_14default_configENS1_20scan_config_selectorIfEEZZNS1_9scan_implILNS1_25lookback_scan_determinismE0ELb0ELb0ES3_N6thrust23THRUST_200600_302600_NS6detail15normal_iteratorINS9_10device_ptrIfEEEENSB_INSC_IiEEEEfNS9_4plusIvEEfEEDaPvRmT3_T4_T5_mT6_P12ihipStream_tbENKUlT_T0_E_clISt17integral_constantIbLb0EESW_EEDaSR_SS_EUlSR_E0_NS1_11comp_targetILNS1_3genE2ELNS1_11target_archE906ELNS1_3gpuE6ELNS1_3repE0EEENS1_30default_config_static_selectorELNS0_4arch9wavefront6targetE1EEEvT1_
		.amdhsa_group_segment_fixed_size 0
		.amdhsa_private_segment_fixed_size 0
		.amdhsa_kernarg_size 32
		.amdhsa_user_sgpr_count 6
		.amdhsa_user_sgpr_private_segment_buffer 1
		.amdhsa_user_sgpr_dispatch_ptr 0
		.amdhsa_user_sgpr_queue_ptr 0
		.amdhsa_user_sgpr_kernarg_segment_ptr 1
		.amdhsa_user_sgpr_dispatch_id 0
		.amdhsa_user_sgpr_flat_scratch_init 0
		.amdhsa_user_sgpr_kernarg_preload_length 0
		.amdhsa_user_sgpr_kernarg_preload_offset 0
		.amdhsa_user_sgpr_private_segment_size 0
		.amdhsa_uses_dynamic_stack 0
		.amdhsa_system_sgpr_private_segment_wavefront_offset 0
		.amdhsa_system_sgpr_workgroup_id_x 1
		.amdhsa_system_sgpr_workgroup_id_y 0
		.amdhsa_system_sgpr_workgroup_id_z 0
		.amdhsa_system_sgpr_workgroup_info 0
		.amdhsa_system_vgpr_workitem_id 0
		.amdhsa_next_free_vgpr 1
		.amdhsa_next_free_sgpr 0
		.amdhsa_accum_offset 4
		.amdhsa_reserve_vcc 0
		.amdhsa_reserve_flat_scratch 0
		.amdhsa_float_round_mode_32 0
		.amdhsa_float_round_mode_16_64 0
		.amdhsa_float_denorm_mode_32 3
		.amdhsa_float_denorm_mode_16_64 3
		.amdhsa_dx10_clamp 1
		.amdhsa_ieee_mode 1
		.amdhsa_fp16_overflow 0
		.amdhsa_tg_split 0
		.amdhsa_exception_fp_ieee_invalid_op 0
		.amdhsa_exception_fp_denorm_src 0
		.amdhsa_exception_fp_ieee_div_zero 0
		.amdhsa_exception_fp_ieee_overflow 0
		.amdhsa_exception_fp_ieee_underflow 0
		.amdhsa_exception_fp_ieee_inexact 0
		.amdhsa_exception_int_div_zero 0
	.end_amdhsa_kernel
	.section	.text._ZN7rocprim17ROCPRIM_400000_NS6detail17trampoline_kernelINS0_14default_configENS1_20scan_config_selectorIfEEZZNS1_9scan_implILNS1_25lookback_scan_determinismE0ELb0ELb0ES3_N6thrust23THRUST_200600_302600_NS6detail15normal_iteratorINS9_10device_ptrIfEEEENSB_INSC_IiEEEEfNS9_4plusIvEEfEEDaPvRmT3_T4_T5_mT6_P12ihipStream_tbENKUlT_T0_E_clISt17integral_constantIbLb0EESW_EEDaSR_SS_EUlSR_E0_NS1_11comp_targetILNS1_3genE2ELNS1_11target_archE906ELNS1_3gpuE6ELNS1_3repE0EEENS1_30default_config_static_selectorELNS0_4arch9wavefront6targetE1EEEvT1_,"axG",@progbits,_ZN7rocprim17ROCPRIM_400000_NS6detail17trampoline_kernelINS0_14default_configENS1_20scan_config_selectorIfEEZZNS1_9scan_implILNS1_25lookback_scan_determinismE0ELb0ELb0ES3_N6thrust23THRUST_200600_302600_NS6detail15normal_iteratorINS9_10device_ptrIfEEEENSB_INSC_IiEEEEfNS9_4plusIvEEfEEDaPvRmT3_T4_T5_mT6_P12ihipStream_tbENKUlT_T0_E_clISt17integral_constantIbLb0EESW_EEDaSR_SS_EUlSR_E0_NS1_11comp_targetILNS1_3genE2ELNS1_11target_archE906ELNS1_3gpuE6ELNS1_3repE0EEENS1_30default_config_static_selectorELNS0_4arch9wavefront6targetE1EEEvT1_,comdat
.Lfunc_end1434:
	.size	_ZN7rocprim17ROCPRIM_400000_NS6detail17trampoline_kernelINS0_14default_configENS1_20scan_config_selectorIfEEZZNS1_9scan_implILNS1_25lookback_scan_determinismE0ELb0ELb0ES3_N6thrust23THRUST_200600_302600_NS6detail15normal_iteratorINS9_10device_ptrIfEEEENSB_INSC_IiEEEEfNS9_4plusIvEEfEEDaPvRmT3_T4_T5_mT6_P12ihipStream_tbENKUlT_T0_E_clISt17integral_constantIbLb0EESW_EEDaSR_SS_EUlSR_E0_NS1_11comp_targetILNS1_3genE2ELNS1_11target_archE906ELNS1_3gpuE6ELNS1_3repE0EEENS1_30default_config_static_selectorELNS0_4arch9wavefront6targetE1EEEvT1_, .Lfunc_end1434-_ZN7rocprim17ROCPRIM_400000_NS6detail17trampoline_kernelINS0_14default_configENS1_20scan_config_selectorIfEEZZNS1_9scan_implILNS1_25lookback_scan_determinismE0ELb0ELb0ES3_N6thrust23THRUST_200600_302600_NS6detail15normal_iteratorINS9_10device_ptrIfEEEENSB_INSC_IiEEEEfNS9_4plusIvEEfEEDaPvRmT3_T4_T5_mT6_P12ihipStream_tbENKUlT_T0_E_clISt17integral_constantIbLb0EESW_EEDaSR_SS_EUlSR_E0_NS1_11comp_targetILNS1_3genE2ELNS1_11target_archE906ELNS1_3gpuE6ELNS1_3repE0EEENS1_30default_config_static_selectorELNS0_4arch9wavefront6targetE1EEEvT1_
                                        ; -- End function
	.section	.AMDGPU.csdata,"",@progbits
; Kernel info:
; codeLenInByte = 0
; NumSgprs: 4
; NumVgprs: 0
; NumAgprs: 0
; TotalNumVgprs: 0
; ScratchSize: 0
; MemoryBound: 0
; FloatMode: 240
; IeeeMode: 1
; LDSByteSize: 0 bytes/workgroup (compile time only)
; SGPRBlocks: 0
; VGPRBlocks: 0
; NumSGPRsForWavesPerEU: 4
; NumVGPRsForWavesPerEU: 1
; AccumOffset: 4
; Occupancy: 8
; WaveLimiterHint : 0
; COMPUTE_PGM_RSRC2:SCRATCH_EN: 0
; COMPUTE_PGM_RSRC2:USER_SGPR: 6
; COMPUTE_PGM_RSRC2:TRAP_HANDLER: 0
; COMPUTE_PGM_RSRC2:TGID_X_EN: 1
; COMPUTE_PGM_RSRC2:TGID_Y_EN: 0
; COMPUTE_PGM_RSRC2:TGID_Z_EN: 0
; COMPUTE_PGM_RSRC2:TIDIG_COMP_CNT: 0
; COMPUTE_PGM_RSRC3_GFX90A:ACCUM_OFFSET: 0
; COMPUTE_PGM_RSRC3_GFX90A:TG_SPLIT: 0
	.section	.text._ZN7rocprim17ROCPRIM_400000_NS6detail17trampoline_kernelINS0_14default_configENS1_20scan_config_selectorIfEEZZNS1_9scan_implILNS1_25lookback_scan_determinismE0ELb0ELb0ES3_N6thrust23THRUST_200600_302600_NS6detail15normal_iteratorINS9_10device_ptrIfEEEENSB_INSC_IiEEEEfNS9_4plusIvEEfEEDaPvRmT3_T4_T5_mT6_P12ihipStream_tbENKUlT_T0_E_clISt17integral_constantIbLb0EESW_EEDaSR_SS_EUlSR_E0_NS1_11comp_targetILNS1_3genE10ELNS1_11target_archE1201ELNS1_3gpuE5ELNS1_3repE0EEENS1_30default_config_static_selectorELNS0_4arch9wavefront6targetE1EEEvT1_,"axG",@progbits,_ZN7rocprim17ROCPRIM_400000_NS6detail17trampoline_kernelINS0_14default_configENS1_20scan_config_selectorIfEEZZNS1_9scan_implILNS1_25lookback_scan_determinismE0ELb0ELb0ES3_N6thrust23THRUST_200600_302600_NS6detail15normal_iteratorINS9_10device_ptrIfEEEENSB_INSC_IiEEEEfNS9_4plusIvEEfEEDaPvRmT3_T4_T5_mT6_P12ihipStream_tbENKUlT_T0_E_clISt17integral_constantIbLb0EESW_EEDaSR_SS_EUlSR_E0_NS1_11comp_targetILNS1_3genE10ELNS1_11target_archE1201ELNS1_3gpuE5ELNS1_3repE0EEENS1_30default_config_static_selectorELNS0_4arch9wavefront6targetE1EEEvT1_,comdat
	.protected	_ZN7rocprim17ROCPRIM_400000_NS6detail17trampoline_kernelINS0_14default_configENS1_20scan_config_selectorIfEEZZNS1_9scan_implILNS1_25lookback_scan_determinismE0ELb0ELb0ES3_N6thrust23THRUST_200600_302600_NS6detail15normal_iteratorINS9_10device_ptrIfEEEENSB_INSC_IiEEEEfNS9_4plusIvEEfEEDaPvRmT3_T4_T5_mT6_P12ihipStream_tbENKUlT_T0_E_clISt17integral_constantIbLb0EESW_EEDaSR_SS_EUlSR_E0_NS1_11comp_targetILNS1_3genE10ELNS1_11target_archE1201ELNS1_3gpuE5ELNS1_3repE0EEENS1_30default_config_static_selectorELNS0_4arch9wavefront6targetE1EEEvT1_ ; -- Begin function _ZN7rocprim17ROCPRIM_400000_NS6detail17trampoline_kernelINS0_14default_configENS1_20scan_config_selectorIfEEZZNS1_9scan_implILNS1_25lookback_scan_determinismE0ELb0ELb0ES3_N6thrust23THRUST_200600_302600_NS6detail15normal_iteratorINS9_10device_ptrIfEEEENSB_INSC_IiEEEEfNS9_4plusIvEEfEEDaPvRmT3_T4_T5_mT6_P12ihipStream_tbENKUlT_T0_E_clISt17integral_constantIbLb0EESW_EEDaSR_SS_EUlSR_E0_NS1_11comp_targetILNS1_3genE10ELNS1_11target_archE1201ELNS1_3gpuE5ELNS1_3repE0EEENS1_30default_config_static_selectorELNS0_4arch9wavefront6targetE1EEEvT1_
	.globl	_ZN7rocprim17ROCPRIM_400000_NS6detail17trampoline_kernelINS0_14default_configENS1_20scan_config_selectorIfEEZZNS1_9scan_implILNS1_25lookback_scan_determinismE0ELb0ELb0ES3_N6thrust23THRUST_200600_302600_NS6detail15normal_iteratorINS9_10device_ptrIfEEEENSB_INSC_IiEEEEfNS9_4plusIvEEfEEDaPvRmT3_T4_T5_mT6_P12ihipStream_tbENKUlT_T0_E_clISt17integral_constantIbLb0EESW_EEDaSR_SS_EUlSR_E0_NS1_11comp_targetILNS1_3genE10ELNS1_11target_archE1201ELNS1_3gpuE5ELNS1_3repE0EEENS1_30default_config_static_selectorELNS0_4arch9wavefront6targetE1EEEvT1_
	.p2align	8
	.type	_ZN7rocprim17ROCPRIM_400000_NS6detail17trampoline_kernelINS0_14default_configENS1_20scan_config_selectorIfEEZZNS1_9scan_implILNS1_25lookback_scan_determinismE0ELb0ELb0ES3_N6thrust23THRUST_200600_302600_NS6detail15normal_iteratorINS9_10device_ptrIfEEEENSB_INSC_IiEEEEfNS9_4plusIvEEfEEDaPvRmT3_T4_T5_mT6_P12ihipStream_tbENKUlT_T0_E_clISt17integral_constantIbLb0EESW_EEDaSR_SS_EUlSR_E0_NS1_11comp_targetILNS1_3genE10ELNS1_11target_archE1201ELNS1_3gpuE5ELNS1_3repE0EEENS1_30default_config_static_selectorELNS0_4arch9wavefront6targetE1EEEvT1_,@function
_ZN7rocprim17ROCPRIM_400000_NS6detail17trampoline_kernelINS0_14default_configENS1_20scan_config_selectorIfEEZZNS1_9scan_implILNS1_25lookback_scan_determinismE0ELb0ELb0ES3_N6thrust23THRUST_200600_302600_NS6detail15normal_iteratorINS9_10device_ptrIfEEEENSB_INSC_IiEEEEfNS9_4plusIvEEfEEDaPvRmT3_T4_T5_mT6_P12ihipStream_tbENKUlT_T0_E_clISt17integral_constantIbLb0EESW_EEDaSR_SS_EUlSR_E0_NS1_11comp_targetILNS1_3genE10ELNS1_11target_archE1201ELNS1_3gpuE5ELNS1_3repE0EEENS1_30default_config_static_selectorELNS0_4arch9wavefront6targetE1EEEvT1_: ; @_ZN7rocprim17ROCPRIM_400000_NS6detail17trampoline_kernelINS0_14default_configENS1_20scan_config_selectorIfEEZZNS1_9scan_implILNS1_25lookback_scan_determinismE0ELb0ELb0ES3_N6thrust23THRUST_200600_302600_NS6detail15normal_iteratorINS9_10device_ptrIfEEEENSB_INSC_IiEEEEfNS9_4plusIvEEfEEDaPvRmT3_T4_T5_mT6_P12ihipStream_tbENKUlT_T0_E_clISt17integral_constantIbLb0EESW_EEDaSR_SS_EUlSR_E0_NS1_11comp_targetILNS1_3genE10ELNS1_11target_archE1201ELNS1_3gpuE5ELNS1_3repE0EEENS1_30default_config_static_selectorELNS0_4arch9wavefront6targetE1EEEvT1_
; %bb.0:
	.section	.rodata,"a",@progbits
	.p2align	6, 0x0
	.amdhsa_kernel _ZN7rocprim17ROCPRIM_400000_NS6detail17trampoline_kernelINS0_14default_configENS1_20scan_config_selectorIfEEZZNS1_9scan_implILNS1_25lookback_scan_determinismE0ELb0ELb0ES3_N6thrust23THRUST_200600_302600_NS6detail15normal_iteratorINS9_10device_ptrIfEEEENSB_INSC_IiEEEEfNS9_4plusIvEEfEEDaPvRmT3_T4_T5_mT6_P12ihipStream_tbENKUlT_T0_E_clISt17integral_constantIbLb0EESW_EEDaSR_SS_EUlSR_E0_NS1_11comp_targetILNS1_3genE10ELNS1_11target_archE1201ELNS1_3gpuE5ELNS1_3repE0EEENS1_30default_config_static_selectorELNS0_4arch9wavefront6targetE1EEEvT1_
		.amdhsa_group_segment_fixed_size 0
		.amdhsa_private_segment_fixed_size 0
		.amdhsa_kernarg_size 32
		.amdhsa_user_sgpr_count 6
		.amdhsa_user_sgpr_private_segment_buffer 1
		.amdhsa_user_sgpr_dispatch_ptr 0
		.amdhsa_user_sgpr_queue_ptr 0
		.amdhsa_user_sgpr_kernarg_segment_ptr 1
		.amdhsa_user_sgpr_dispatch_id 0
		.amdhsa_user_sgpr_flat_scratch_init 0
		.amdhsa_user_sgpr_kernarg_preload_length 0
		.amdhsa_user_sgpr_kernarg_preload_offset 0
		.amdhsa_user_sgpr_private_segment_size 0
		.amdhsa_uses_dynamic_stack 0
		.amdhsa_system_sgpr_private_segment_wavefront_offset 0
		.amdhsa_system_sgpr_workgroup_id_x 1
		.amdhsa_system_sgpr_workgroup_id_y 0
		.amdhsa_system_sgpr_workgroup_id_z 0
		.amdhsa_system_sgpr_workgroup_info 0
		.amdhsa_system_vgpr_workitem_id 0
		.amdhsa_next_free_vgpr 1
		.amdhsa_next_free_sgpr 0
		.amdhsa_accum_offset 4
		.amdhsa_reserve_vcc 0
		.amdhsa_reserve_flat_scratch 0
		.amdhsa_float_round_mode_32 0
		.amdhsa_float_round_mode_16_64 0
		.amdhsa_float_denorm_mode_32 3
		.amdhsa_float_denorm_mode_16_64 3
		.amdhsa_dx10_clamp 1
		.amdhsa_ieee_mode 1
		.amdhsa_fp16_overflow 0
		.amdhsa_tg_split 0
		.amdhsa_exception_fp_ieee_invalid_op 0
		.amdhsa_exception_fp_denorm_src 0
		.amdhsa_exception_fp_ieee_div_zero 0
		.amdhsa_exception_fp_ieee_overflow 0
		.amdhsa_exception_fp_ieee_underflow 0
		.amdhsa_exception_fp_ieee_inexact 0
		.amdhsa_exception_int_div_zero 0
	.end_amdhsa_kernel
	.section	.text._ZN7rocprim17ROCPRIM_400000_NS6detail17trampoline_kernelINS0_14default_configENS1_20scan_config_selectorIfEEZZNS1_9scan_implILNS1_25lookback_scan_determinismE0ELb0ELb0ES3_N6thrust23THRUST_200600_302600_NS6detail15normal_iteratorINS9_10device_ptrIfEEEENSB_INSC_IiEEEEfNS9_4plusIvEEfEEDaPvRmT3_T4_T5_mT6_P12ihipStream_tbENKUlT_T0_E_clISt17integral_constantIbLb0EESW_EEDaSR_SS_EUlSR_E0_NS1_11comp_targetILNS1_3genE10ELNS1_11target_archE1201ELNS1_3gpuE5ELNS1_3repE0EEENS1_30default_config_static_selectorELNS0_4arch9wavefront6targetE1EEEvT1_,"axG",@progbits,_ZN7rocprim17ROCPRIM_400000_NS6detail17trampoline_kernelINS0_14default_configENS1_20scan_config_selectorIfEEZZNS1_9scan_implILNS1_25lookback_scan_determinismE0ELb0ELb0ES3_N6thrust23THRUST_200600_302600_NS6detail15normal_iteratorINS9_10device_ptrIfEEEENSB_INSC_IiEEEEfNS9_4plusIvEEfEEDaPvRmT3_T4_T5_mT6_P12ihipStream_tbENKUlT_T0_E_clISt17integral_constantIbLb0EESW_EEDaSR_SS_EUlSR_E0_NS1_11comp_targetILNS1_3genE10ELNS1_11target_archE1201ELNS1_3gpuE5ELNS1_3repE0EEENS1_30default_config_static_selectorELNS0_4arch9wavefront6targetE1EEEvT1_,comdat
.Lfunc_end1435:
	.size	_ZN7rocprim17ROCPRIM_400000_NS6detail17trampoline_kernelINS0_14default_configENS1_20scan_config_selectorIfEEZZNS1_9scan_implILNS1_25lookback_scan_determinismE0ELb0ELb0ES3_N6thrust23THRUST_200600_302600_NS6detail15normal_iteratorINS9_10device_ptrIfEEEENSB_INSC_IiEEEEfNS9_4plusIvEEfEEDaPvRmT3_T4_T5_mT6_P12ihipStream_tbENKUlT_T0_E_clISt17integral_constantIbLb0EESW_EEDaSR_SS_EUlSR_E0_NS1_11comp_targetILNS1_3genE10ELNS1_11target_archE1201ELNS1_3gpuE5ELNS1_3repE0EEENS1_30default_config_static_selectorELNS0_4arch9wavefront6targetE1EEEvT1_, .Lfunc_end1435-_ZN7rocprim17ROCPRIM_400000_NS6detail17trampoline_kernelINS0_14default_configENS1_20scan_config_selectorIfEEZZNS1_9scan_implILNS1_25lookback_scan_determinismE0ELb0ELb0ES3_N6thrust23THRUST_200600_302600_NS6detail15normal_iteratorINS9_10device_ptrIfEEEENSB_INSC_IiEEEEfNS9_4plusIvEEfEEDaPvRmT3_T4_T5_mT6_P12ihipStream_tbENKUlT_T0_E_clISt17integral_constantIbLb0EESW_EEDaSR_SS_EUlSR_E0_NS1_11comp_targetILNS1_3genE10ELNS1_11target_archE1201ELNS1_3gpuE5ELNS1_3repE0EEENS1_30default_config_static_selectorELNS0_4arch9wavefront6targetE1EEEvT1_
                                        ; -- End function
	.section	.AMDGPU.csdata,"",@progbits
; Kernel info:
; codeLenInByte = 0
; NumSgprs: 4
; NumVgprs: 0
; NumAgprs: 0
; TotalNumVgprs: 0
; ScratchSize: 0
; MemoryBound: 0
; FloatMode: 240
; IeeeMode: 1
; LDSByteSize: 0 bytes/workgroup (compile time only)
; SGPRBlocks: 0
; VGPRBlocks: 0
; NumSGPRsForWavesPerEU: 4
; NumVGPRsForWavesPerEU: 1
; AccumOffset: 4
; Occupancy: 8
; WaveLimiterHint : 0
; COMPUTE_PGM_RSRC2:SCRATCH_EN: 0
; COMPUTE_PGM_RSRC2:USER_SGPR: 6
; COMPUTE_PGM_RSRC2:TRAP_HANDLER: 0
; COMPUTE_PGM_RSRC2:TGID_X_EN: 1
; COMPUTE_PGM_RSRC2:TGID_Y_EN: 0
; COMPUTE_PGM_RSRC2:TGID_Z_EN: 0
; COMPUTE_PGM_RSRC2:TIDIG_COMP_CNT: 0
; COMPUTE_PGM_RSRC3_GFX90A:ACCUM_OFFSET: 0
; COMPUTE_PGM_RSRC3_GFX90A:TG_SPLIT: 0
	.section	.text._ZN7rocprim17ROCPRIM_400000_NS6detail17trampoline_kernelINS0_14default_configENS1_20scan_config_selectorIfEEZZNS1_9scan_implILNS1_25lookback_scan_determinismE0ELb0ELb0ES3_N6thrust23THRUST_200600_302600_NS6detail15normal_iteratorINS9_10device_ptrIfEEEENSB_INSC_IiEEEEfNS9_4plusIvEEfEEDaPvRmT3_T4_T5_mT6_P12ihipStream_tbENKUlT_T0_E_clISt17integral_constantIbLb0EESW_EEDaSR_SS_EUlSR_E0_NS1_11comp_targetILNS1_3genE10ELNS1_11target_archE1200ELNS1_3gpuE4ELNS1_3repE0EEENS1_30default_config_static_selectorELNS0_4arch9wavefront6targetE1EEEvT1_,"axG",@progbits,_ZN7rocprim17ROCPRIM_400000_NS6detail17trampoline_kernelINS0_14default_configENS1_20scan_config_selectorIfEEZZNS1_9scan_implILNS1_25lookback_scan_determinismE0ELb0ELb0ES3_N6thrust23THRUST_200600_302600_NS6detail15normal_iteratorINS9_10device_ptrIfEEEENSB_INSC_IiEEEEfNS9_4plusIvEEfEEDaPvRmT3_T4_T5_mT6_P12ihipStream_tbENKUlT_T0_E_clISt17integral_constantIbLb0EESW_EEDaSR_SS_EUlSR_E0_NS1_11comp_targetILNS1_3genE10ELNS1_11target_archE1200ELNS1_3gpuE4ELNS1_3repE0EEENS1_30default_config_static_selectorELNS0_4arch9wavefront6targetE1EEEvT1_,comdat
	.protected	_ZN7rocprim17ROCPRIM_400000_NS6detail17trampoline_kernelINS0_14default_configENS1_20scan_config_selectorIfEEZZNS1_9scan_implILNS1_25lookback_scan_determinismE0ELb0ELb0ES3_N6thrust23THRUST_200600_302600_NS6detail15normal_iteratorINS9_10device_ptrIfEEEENSB_INSC_IiEEEEfNS9_4plusIvEEfEEDaPvRmT3_T4_T5_mT6_P12ihipStream_tbENKUlT_T0_E_clISt17integral_constantIbLb0EESW_EEDaSR_SS_EUlSR_E0_NS1_11comp_targetILNS1_3genE10ELNS1_11target_archE1200ELNS1_3gpuE4ELNS1_3repE0EEENS1_30default_config_static_selectorELNS0_4arch9wavefront6targetE1EEEvT1_ ; -- Begin function _ZN7rocprim17ROCPRIM_400000_NS6detail17trampoline_kernelINS0_14default_configENS1_20scan_config_selectorIfEEZZNS1_9scan_implILNS1_25lookback_scan_determinismE0ELb0ELb0ES3_N6thrust23THRUST_200600_302600_NS6detail15normal_iteratorINS9_10device_ptrIfEEEENSB_INSC_IiEEEEfNS9_4plusIvEEfEEDaPvRmT3_T4_T5_mT6_P12ihipStream_tbENKUlT_T0_E_clISt17integral_constantIbLb0EESW_EEDaSR_SS_EUlSR_E0_NS1_11comp_targetILNS1_3genE10ELNS1_11target_archE1200ELNS1_3gpuE4ELNS1_3repE0EEENS1_30default_config_static_selectorELNS0_4arch9wavefront6targetE1EEEvT1_
	.globl	_ZN7rocprim17ROCPRIM_400000_NS6detail17trampoline_kernelINS0_14default_configENS1_20scan_config_selectorIfEEZZNS1_9scan_implILNS1_25lookback_scan_determinismE0ELb0ELb0ES3_N6thrust23THRUST_200600_302600_NS6detail15normal_iteratorINS9_10device_ptrIfEEEENSB_INSC_IiEEEEfNS9_4plusIvEEfEEDaPvRmT3_T4_T5_mT6_P12ihipStream_tbENKUlT_T0_E_clISt17integral_constantIbLb0EESW_EEDaSR_SS_EUlSR_E0_NS1_11comp_targetILNS1_3genE10ELNS1_11target_archE1200ELNS1_3gpuE4ELNS1_3repE0EEENS1_30default_config_static_selectorELNS0_4arch9wavefront6targetE1EEEvT1_
	.p2align	8
	.type	_ZN7rocprim17ROCPRIM_400000_NS6detail17trampoline_kernelINS0_14default_configENS1_20scan_config_selectorIfEEZZNS1_9scan_implILNS1_25lookback_scan_determinismE0ELb0ELb0ES3_N6thrust23THRUST_200600_302600_NS6detail15normal_iteratorINS9_10device_ptrIfEEEENSB_INSC_IiEEEEfNS9_4plusIvEEfEEDaPvRmT3_T4_T5_mT6_P12ihipStream_tbENKUlT_T0_E_clISt17integral_constantIbLb0EESW_EEDaSR_SS_EUlSR_E0_NS1_11comp_targetILNS1_3genE10ELNS1_11target_archE1200ELNS1_3gpuE4ELNS1_3repE0EEENS1_30default_config_static_selectorELNS0_4arch9wavefront6targetE1EEEvT1_,@function
_ZN7rocprim17ROCPRIM_400000_NS6detail17trampoline_kernelINS0_14default_configENS1_20scan_config_selectorIfEEZZNS1_9scan_implILNS1_25lookback_scan_determinismE0ELb0ELb0ES3_N6thrust23THRUST_200600_302600_NS6detail15normal_iteratorINS9_10device_ptrIfEEEENSB_INSC_IiEEEEfNS9_4plusIvEEfEEDaPvRmT3_T4_T5_mT6_P12ihipStream_tbENKUlT_T0_E_clISt17integral_constantIbLb0EESW_EEDaSR_SS_EUlSR_E0_NS1_11comp_targetILNS1_3genE10ELNS1_11target_archE1200ELNS1_3gpuE4ELNS1_3repE0EEENS1_30default_config_static_selectorELNS0_4arch9wavefront6targetE1EEEvT1_: ; @_ZN7rocprim17ROCPRIM_400000_NS6detail17trampoline_kernelINS0_14default_configENS1_20scan_config_selectorIfEEZZNS1_9scan_implILNS1_25lookback_scan_determinismE0ELb0ELb0ES3_N6thrust23THRUST_200600_302600_NS6detail15normal_iteratorINS9_10device_ptrIfEEEENSB_INSC_IiEEEEfNS9_4plusIvEEfEEDaPvRmT3_T4_T5_mT6_P12ihipStream_tbENKUlT_T0_E_clISt17integral_constantIbLb0EESW_EEDaSR_SS_EUlSR_E0_NS1_11comp_targetILNS1_3genE10ELNS1_11target_archE1200ELNS1_3gpuE4ELNS1_3repE0EEENS1_30default_config_static_selectorELNS0_4arch9wavefront6targetE1EEEvT1_
; %bb.0:
	.section	.rodata,"a",@progbits
	.p2align	6, 0x0
	.amdhsa_kernel _ZN7rocprim17ROCPRIM_400000_NS6detail17trampoline_kernelINS0_14default_configENS1_20scan_config_selectorIfEEZZNS1_9scan_implILNS1_25lookback_scan_determinismE0ELb0ELb0ES3_N6thrust23THRUST_200600_302600_NS6detail15normal_iteratorINS9_10device_ptrIfEEEENSB_INSC_IiEEEEfNS9_4plusIvEEfEEDaPvRmT3_T4_T5_mT6_P12ihipStream_tbENKUlT_T0_E_clISt17integral_constantIbLb0EESW_EEDaSR_SS_EUlSR_E0_NS1_11comp_targetILNS1_3genE10ELNS1_11target_archE1200ELNS1_3gpuE4ELNS1_3repE0EEENS1_30default_config_static_selectorELNS0_4arch9wavefront6targetE1EEEvT1_
		.amdhsa_group_segment_fixed_size 0
		.amdhsa_private_segment_fixed_size 0
		.amdhsa_kernarg_size 32
		.amdhsa_user_sgpr_count 6
		.amdhsa_user_sgpr_private_segment_buffer 1
		.amdhsa_user_sgpr_dispatch_ptr 0
		.amdhsa_user_sgpr_queue_ptr 0
		.amdhsa_user_sgpr_kernarg_segment_ptr 1
		.amdhsa_user_sgpr_dispatch_id 0
		.amdhsa_user_sgpr_flat_scratch_init 0
		.amdhsa_user_sgpr_kernarg_preload_length 0
		.amdhsa_user_sgpr_kernarg_preload_offset 0
		.amdhsa_user_sgpr_private_segment_size 0
		.amdhsa_uses_dynamic_stack 0
		.amdhsa_system_sgpr_private_segment_wavefront_offset 0
		.amdhsa_system_sgpr_workgroup_id_x 1
		.amdhsa_system_sgpr_workgroup_id_y 0
		.amdhsa_system_sgpr_workgroup_id_z 0
		.amdhsa_system_sgpr_workgroup_info 0
		.amdhsa_system_vgpr_workitem_id 0
		.amdhsa_next_free_vgpr 1
		.amdhsa_next_free_sgpr 0
		.amdhsa_accum_offset 4
		.amdhsa_reserve_vcc 0
		.amdhsa_reserve_flat_scratch 0
		.amdhsa_float_round_mode_32 0
		.amdhsa_float_round_mode_16_64 0
		.amdhsa_float_denorm_mode_32 3
		.amdhsa_float_denorm_mode_16_64 3
		.amdhsa_dx10_clamp 1
		.amdhsa_ieee_mode 1
		.amdhsa_fp16_overflow 0
		.amdhsa_tg_split 0
		.amdhsa_exception_fp_ieee_invalid_op 0
		.amdhsa_exception_fp_denorm_src 0
		.amdhsa_exception_fp_ieee_div_zero 0
		.amdhsa_exception_fp_ieee_overflow 0
		.amdhsa_exception_fp_ieee_underflow 0
		.amdhsa_exception_fp_ieee_inexact 0
		.amdhsa_exception_int_div_zero 0
	.end_amdhsa_kernel
	.section	.text._ZN7rocprim17ROCPRIM_400000_NS6detail17trampoline_kernelINS0_14default_configENS1_20scan_config_selectorIfEEZZNS1_9scan_implILNS1_25lookback_scan_determinismE0ELb0ELb0ES3_N6thrust23THRUST_200600_302600_NS6detail15normal_iteratorINS9_10device_ptrIfEEEENSB_INSC_IiEEEEfNS9_4plusIvEEfEEDaPvRmT3_T4_T5_mT6_P12ihipStream_tbENKUlT_T0_E_clISt17integral_constantIbLb0EESW_EEDaSR_SS_EUlSR_E0_NS1_11comp_targetILNS1_3genE10ELNS1_11target_archE1200ELNS1_3gpuE4ELNS1_3repE0EEENS1_30default_config_static_selectorELNS0_4arch9wavefront6targetE1EEEvT1_,"axG",@progbits,_ZN7rocprim17ROCPRIM_400000_NS6detail17trampoline_kernelINS0_14default_configENS1_20scan_config_selectorIfEEZZNS1_9scan_implILNS1_25lookback_scan_determinismE0ELb0ELb0ES3_N6thrust23THRUST_200600_302600_NS6detail15normal_iteratorINS9_10device_ptrIfEEEENSB_INSC_IiEEEEfNS9_4plusIvEEfEEDaPvRmT3_T4_T5_mT6_P12ihipStream_tbENKUlT_T0_E_clISt17integral_constantIbLb0EESW_EEDaSR_SS_EUlSR_E0_NS1_11comp_targetILNS1_3genE10ELNS1_11target_archE1200ELNS1_3gpuE4ELNS1_3repE0EEENS1_30default_config_static_selectorELNS0_4arch9wavefront6targetE1EEEvT1_,comdat
.Lfunc_end1436:
	.size	_ZN7rocprim17ROCPRIM_400000_NS6detail17trampoline_kernelINS0_14default_configENS1_20scan_config_selectorIfEEZZNS1_9scan_implILNS1_25lookback_scan_determinismE0ELb0ELb0ES3_N6thrust23THRUST_200600_302600_NS6detail15normal_iteratorINS9_10device_ptrIfEEEENSB_INSC_IiEEEEfNS9_4plusIvEEfEEDaPvRmT3_T4_T5_mT6_P12ihipStream_tbENKUlT_T0_E_clISt17integral_constantIbLb0EESW_EEDaSR_SS_EUlSR_E0_NS1_11comp_targetILNS1_3genE10ELNS1_11target_archE1200ELNS1_3gpuE4ELNS1_3repE0EEENS1_30default_config_static_selectorELNS0_4arch9wavefront6targetE1EEEvT1_, .Lfunc_end1436-_ZN7rocprim17ROCPRIM_400000_NS6detail17trampoline_kernelINS0_14default_configENS1_20scan_config_selectorIfEEZZNS1_9scan_implILNS1_25lookback_scan_determinismE0ELb0ELb0ES3_N6thrust23THRUST_200600_302600_NS6detail15normal_iteratorINS9_10device_ptrIfEEEENSB_INSC_IiEEEEfNS9_4plusIvEEfEEDaPvRmT3_T4_T5_mT6_P12ihipStream_tbENKUlT_T0_E_clISt17integral_constantIbLb0EESW_EEDaSR_SS_EUlSR_E0_NS1_11comp_targetILNS1_3genE10ELNS1_11target_archE1200ELNS1_3gpuE4ELNS1_3repE0EEENS1_30default_config_static_selectorELNS0_4arch9wavefront6targetE1EEEvT1_
                                        ; -- End function
	.section	.AMDGPU.csdata,"",@progbits
; Kernel info:
; codeLenInByte = 0
; NumSgprs: 4
; NumVgprs: 0
; NumAgprs: 0
; TotalNumVgprs: 0
; ScratchSize: 0
; MemoryBound: 0
; FloatMode: 240
; IeeeMode: 1
; LDSByteSize: 0 bytes/workgroup (compile time only)
; SGPRBlocks: 0
; VGPRBlocks: 0
; NumSGPRsForWavesPerEU: 4
; NumVGPRsForWavesPerEU: 1
; AccumOffset: 4
; Occupancy: 8
; WaveLimiterHint : 0
; COMPUTE_PGM_RSRC2:SCRATCH_EN: 0
; COMPUTE_PGM_RSRC2:USER_SGPR: 6
; COMPUTE_PGM_RSRC2:TRAP_HANDLER: 0
; COMPUTE_PGM_RSRC2:TGID_X_EN: 1
; COMPUTE_PGM_RSRC2:TGID_Y_EN: 0
; COMPUTE_PGM_RSRC2:TGID_Z_EN: 0
; COMPUTE_PGM_RSRC2:TIDIG_COMP_CNT: 0
; COMPUTE_PGM_RSRC3_GFX90A:ACCUM_OFFSET: 0
; COMPUTE_PGM_RSRC3_GFX90A:TG_SPLIT: 0
	.section	.text._ZN7rocprim17ROCPRIM_400000_NS6detail17trampoline_kernelINS0_14default_configENS1_20scan_config_selectorIfEEZZNS1_9scan_implILNS1_25lookback_scan_determinismE0ELb0ELb0ES3_N6thrust23THRUST_200600_302600_NS6detail15normal_iteratorINS9_10device_ptrIfEEEENSB_INSC_IiEEEEfNS9_4plusIvEEfEEDaPvRmT3_T4_T5_mT6_P12ihipStream_tbENKUlT_T0_E_clISt17integral_constantIbLb0EESW_EEDaSR_SS_EUlSR_E0_NS1_11comp_targetILNS1_3genE9ELNS1_11target_archE1100ELNS1_3gpuE3ELNS1_3repE0EEENS1_30default_config_static_selectorELNS0_4arch9wavefront6targetE1EEEvT1_,"axG",@progbits,_ZN7rocprim17ROCPRIM_400000_NS6detail17trampoline_kernelINS0_14default_configENS1_20scan_config_selectorIfEEZZNS1_9scan_implILNS1_25lookback_scan_determinismE0ELb0ELb0ES3_N6thrust23THRUST_200600_302600_NS6detail15normal_iteratorINS9_10device_ptrIfEEEENSB_INSC_IiEEEEfNS9_4plusIvEEfEEDaPvRmT3_T4_T5_mT6_P12ihipStream_tbENKUlT_T0_E_clISt17integral_constantIbLb0EESW_EEDaSR_SS_EUlSR_E0_NS1_11comp_targetILNS1_3genE9ELNS1_11target_archE1100ELNS1_3gpuE3ELNS1_3repE0EEENS1_30default_config_static_selectorELNS0_4arch9wavefront6targetE1EEEvT1_,comdat
	.protected	_ZN7rocprim17ROCPRIM_400000_NS6detail17trampoline_kernelINS0_14default_configENS1_20scan_config_selectorIfEEZZNS1_9scan_implILNS1_25lookback_scan_determinismE0ELb0ELb0ES3_N6thrust23THRUST_200600_302600_NS6detail15normal_iteratorINS9_10device_ptrIfEEEENSB_INSC_IiEEEEfNS9_4plusIvEEfEEDaPvRmT3_T4_T5_mT6_P12ihipStream_tbENKUlT_T0_E_clISt17integral_constantIbLb0EESW_EEDaSR_SS_EUlSR_E0_NS1_11comp_targetILNS1_3genE9ELNS1_11target_archE1100ELNS1_3gpuE3ELNS1_3repE0EEENS1_30default_config_static_selectorELNS0_4arch9wavefront6targetE1EEEvT1_ ; -- Begin function _ZN7rocprim17ROCPRIM_400000_NS6detail17trampoline_kernelINS0_14default_configENS1_20scan_config_selectorIfEEZZNS1_9scan_implILNS1_25lookback_scan_determinismE0ELb0ELb0ES3_N6thrust23THRUST_200600_302600_NS6detail15normal_iteratorINS9_10device_ptrIfEEEENSB_INSC_IiEEEEfNS9_4plusIvEEfEEDaPvRmT3_T4_T5_mT6_P12ihipStream_tbENKUlT_T0_E_clISt17integral_constantIbLb0EESW_EEDaSR_SS_EUlSR_E0_NS1_11comp_targetILNS1_3genE9ELNS1_11target_archE1100ELNS1_3gpuE3ELNS1_3repE0EEENS1_30default_config_static_selectorELNS0_4arch9wavefront6targetE1EEEvT1_
	.globl	_ZN7rocprim17ROCPRIM_400000_NS6detail17trampoline_kernelINS0_14default_configENS1_20scan_config_selectorIfEEZZNS1_9scan_implILNS1_25lookback_scan_determinismE0ELb0ELb0ES3_N6thrust23THRUST_200600_302600_NS6detail15normal_iteratorINS9_10device_ptrIfEEEENSB_INSC_IiEEEEfNS9_4plusIvEEfEEDaPvRmT3_T4_T5_mT6_P12ihipStream_tbENKUlT_T0_E_clISt17integral_constantIbLb0EESW_EEDaSR_SS_EUlSR_E0_NS1_11comp_targetILNS1_3genE9ELNS1_11target_archE1100ELNS1_3gpuE3ELNS1_3repE0EEENS1_30default_config_static_selectorELNS0_4arch9wavefront6targetE1EEEvT1_
	.p2align	8
	.type	_ZN7rocprim17ROCPRIM_400000_NS6detail17trampoline_kernelINS0_14default_configENS1_20scan_config_selectorIfEEZZNS1_9scan_implILNS1_25lookback_scan_determinismE0ELb0ELb0ES3_N6thrust23THRUST_200600_302600_NS6detail15normal_iteratorINS9_10device_ptrIfEEEENSB_INSC_IiEEEEfNS9_4plusIvEEfEEDaPvRmT3_T4_T5_mT6_P12ihipStream_tbENKUlT_T0_E_clISt17integral_constantIbLb0EESW_EEDaSR_SS_EUlSR_E0_NS1_11comp_targetILNS1_3genE9ELNS1_11target_archE1100ELNS1_3gpuE3ELNS1_3repE0EEENS1_30default_config_static_selectorELNS0_4arch9wavefront6targetE1EEEvT1_,@function
_ZN7rocprim17ROCPRIM_400000_NS6detail17trampoline_kernelINS0_14default_configENS1_20scan_config_selectorIfEEZZNS1_9scan_implILNS1_25lookback_scan_determinismE0ELb0ELb0ES3_N6thrust23THRUST_200600_302600_NS6detail15normal_iteratorINS9_10device_ptrIfEEEENSB_INSC_IiEEEEfNS9_4plusIvEEfEEDaPvRmT3_T4_T5_mT6_P12ihipStream_tbENKUlT_T0_E_clISt17integral_constantIbLb0EESW_EEDaSR_SS_EUlSR_E0_NS1_11comp_targetILNS1_3genE9ELNS1_11target_archE1100ELNS1_3gpuE3ELNS1_3repE0EEENS1_30default_config_static_selectorELNS0_4arch9wavefront6targetE1EEEvT1_: ; @_ZN7rocprim17ROCPRIM_400000_NS6detail17trampoline_kernelINS0_14default_configENS1_20scan_config_selectorIfEEZZNS1_9scan_implILNS1_25lookback_scan_determinismE0ELb0ELb0ES3_N6thrust23THRUST_200600_302600_NS6detail15normal_iteratorINS9_10device_ptrIfEEEENSB_INSC_IiEEEEfNS9_4plusIvEEfEEDaPvRmT3_T4_T5_mT6_P12ihipStream_tbENKUlT_T0_E_clISt17integral_constantIbLb0EESW_EEDaSR_SS_EUlSR_E0_NS1_11comp_targetILNS1_3genE9ELNS1_11target_archE1100ELNS1_3gpuE3ELNS1_3repE0EEENS1_30default_config_static_selectorELNS0_4arch9wavefront6targetE1EEEvT1_
; %bb.0:
	.section	.rodata,"a",@progbits
	.p2align	6, 0x0
	.amdhsa_kernel _ZN7rocprim17ROCPRIM_400000_NS6detail17trampoline_kernelINS0_14default_configENS1_20scan_config_selectorIfEEZZNS1_9scan_implILNS1_25lookback_scan_determinismE0ELb0ELb0ES3_N6thrust23THRUST_200600_302600_NS6detail15normal_iteratorINS9_10device_ptrIfEEEENSB_INSC_IiEEEEfNS9_4plusIvEEfEEDaPvRmT3_T4_T5_mT6_P12ihipStream_tbENKUlT_T0_E_clISt17integral_constantIbLb0EESW_EEDaSR_SS_EUlSR_E0_NS1_11comp_targetILNS1_3genE9ELNS1_11target_archE1100ELNS1_3gpuE3ELNS1_3repE0EEENS1_30default_config_static_selectorELNS0_4arch9wavefront6targetE1EEEvT1_
		.amdhsa_group_segment_fixed_size 0
		.amdhsa_private_segment_fixed_size 0
		.amdhsa_kernarg_size 32
		.amdhsa_user_sgpr_count 6
		.amdhsa_user_sgpr_private_segment_buffer 1
		.amdhsa_user_sgpr_dispatch_ptr 0
		.amdhsa_user_sgpr_queue_ptr 0
		.amdhsa_user_sgpr_kernarg_segment_ptr 1
		.amdhsa_user_sgpr_dispatch_id 0
		.amdhsa_user_sgpr_flat_scratch_init 0
		.amdhsa_user_sgpr_kernarg_preload_length 0
		.amdhsa_user_sgpr_kernarg_preload_offset 0
		.amdhsa_user_sgpr_private_segment_size 0
		.amdhsa_uses_dynamic_stack 0
		.amdhsa_system_sgpr_private_segment_wavefront_offset 0
		.amdhsa_system_sgpr_workgroup_id_x 1
		.amdhsa_system_sgpr_workgroup_id_y 0
		.amdhsa_system_sgpr_workgroup_id_z 0
		.amdhsa_system_sgpr_workgroup_info 0
		.amdhsa_system_vgpr_workitem_id 0
		.amdhsa_next_free_vgpr 1
		.amdhsa_next_free_sgpr 0
		.amdhsa_accum_offset 4
		.amdhsa_reserve_vcc 0
		.amdhsa_reserve_flat_scratch 0
		.amdhsa_float_round_mode_32 0
		.amdhsa_float_round_mode_16_64 0
		.amdhsa_float_denorm_mode_32 3
		.amdhsa_float_denorm_mode_16_64 3
		.amdhsa_dx10_clamp 1
		.amdhsa_ieee_mode 1
		.amdhsa_fp16_overflow 0
		.amdhsa_tg_split 0
		.amdhsa_exception_fp_ieee_invalid_op 0
		.amdhsa_exception_fp_denorm_src 0
		.amdhsa_exception_fp_ieee_div_zero 0
		.amdhsa_exception_fp_ieee_overflow 0
		.amdhsa_exception_fp_ieee_underflow 0
		.amdhsa_exception_fp_ieee_inexact 0
		.amdhsa_exception_int_div_zero 0
	.end_amdhsa_kernel
	.section	.text._ZN7rocprim17ROCPRIM_400000_NS6detail17trampoline_kernelINS0_14default_configENS1_20scan_config_selectorIfEEZZNS1_9scan_implILNS1_25lookback_scan_determinismE0ELb0ELb0ES3_N6thrust23THRUST_200600_302600_NS6detail15normal_iteratorINS9_10device_ptrIfEEEENSB_INSC_IiEEEEfNS9_4plusIvEEfEEDaPvRmT3_T4_T5_mT6_P12ihipStream_tbENKUlT_T0_E_clISt17integral_constantIbLb0EESW_EEDaSR_SS_EUlSR_E0_NS1_11comp_targetILNS1_3genE9ELNS1_11target_archE1100ELNS1_3gpuE3ELNS1_3repE0EEENS1_30default_config_static_selectorELNS0_4arch9wavefront6targetE1EEEvT1_,"axG",@progbits,_ZN7rocprim17ROCPRIM_400000_NS6detail17trampoline_kernelINS0_14default_configENS1_20scan_config_selectorIfEEZZNS1_9scan_implILNS1_25lookback_scan_determinismE0ELb0ELb0ES3_N6thrust23THRUST_200600_302600_NS6detail15normal_iteratorINS9_10device_ptrIfEEEENSB_INSC_IiEEEEfNS9_4plusIvEEfEEDaPvRmT3_T4_T5_mT6_P12ihipStream_tbENKUlT_T0_E_clISt17integral_constantIbLb0EESW_EEDaSR_SS_EUlSR_E0_NS1_11comp_targetILNS1_3genE9ELNS1_11target_archE1100ELNS1_3gpuE3ELNS1_3repE0EEENS1_30default_config_static_selectorELNS0_4arch9wavefront6targetE1EEEvT1_,comdat
.Lfunc_end1437:
	.size	_ZN7rocprim17ROCPRIM_400000_NS6detail17trampoline_kernelINS0_14default_configENS1_20scan_config_selectorIfEEZZNS1_9scan_implILNS1_25lookback_scan_determinismE0ELb0ELb0ES3_N6thrust23THRUST_200600_302600_NS6detail15normal_iteratorINS9_10device_ptrIfEEEENSB_INSC_IiEEEEfNS9_4plusIvEEfEEDaPvRmT3_T4_T5_mT6_P12ihipStream_tbENKUlT_T0_E_clISt17integral_constantIbLb0EESW_EEDaSR_SS_EUlSR_E0_NS1_11comp_targetILNS1_3genE9ELNS1_11target_archE1100ELNS1_3gpuE3ELNS1_3repE0EEENS1_30default_config_static_selectorELNS0_4arch9wavefront6targetE1EEEvT1_, .Lfunc_end1437-_ZN7rocprim17ROCPRIM_400000_NS6detail17trampoline_kernelINS0_14default_configENS1_20scan_config_selectorIfEEZZNS1_9scan_implILNS1_25lookback_scan_determinismE0ELb0ELb0ES3_N6thrust23THRUST_200600_302600_NS6detail15normal_iteratorINS9_10device_ptrIfEEEENSB_INSC_IiEEEEfNS9_4plusIvEEfEEDaPvRmT3_T4_T5_mT6_P12ihipStream_tbENKUlT_T0_E_clISt17integral_constantIbLb0EESW_EEDaSR_SS_EUlSR_E0_NS1_11comp_targetILNS1_3genE9ELNS1_11target_archE1100ELNS1_3gpuE3ELNS1_3repE0EEENS1_30default_config_static_selectorELNS0_4arch9wavefront6targetE1EEEvT1_
                                        ; -- End function
	.section	.AMDGPU.csdata,"",@progbits
; Kernel info:
; codeLenInByte = 0
; NumSgprs: 4
; NumVgprs: 0
; NumAgprs: 0
; TotalNumVgprs: 0
; ScratchSize: 0
; MemoryBound: 0
; FloatMode: 240
; IeeeMode: 1
; LDSByteSize: 0 bytes/workgroup (compile time only)
; SGPRBlocks: 0
; VGPRBlocks: 0
; NumSGPRsForWavesPerEU: 4
; NumVGPRsForWavesPerEU: 1
; AccumOffset: 4
; Occupancy: 8
; WaveLimiterHint : 0
; COMPUTE_PGM_RSRC2:SCRATCH_EN: 0
; COMPUTE_PGM_RSRC2:USER_SGPR: 6
; COMPUTE_PGM_RSRC2:TRAP_HANDLER: 0
; COMPUTE_PGM_RSRC2:TGID_X_EN: 1
; COMPUTE_PGM_RSRC2:TGID_Y_EN: 0
; COMPUTE_PGM_RSRC2:TGID_Z_EN: 0
; COMPUTE_PGM_RSRC2:TIDIG_COMP_CNT: 0
; COMPUTE_PGM_RSRC3_GFX90A:ACCUM_OFFSET: 0
; COMPUTE_PGM_RSRC3_GFX90A:TG_SPLIT: 0
	.section	.text._ZN7rocprim17ROCPRIM_400000_NS6detail17trampoline_kernelINS0_14default_configENS1_20scan_config_selectorIfEEZZNS1_9scan_implILNS1_25lookback_scan_determinismE0ELb0ELb0ES3_N6thrust23THRUST_200600_302600_NS6detail15normal_iteratorINS9_10device_ptrIfEEEENSB_INSC_IiEEEEfNS9_4plusIvEEfEEDaPvRmT3_T4_T5_mT6_P12ihipStream_tbENKUlT_T0_E_clISt17integral_constantIbLb0EESW_EEDaSR_SS_EUlSR_E0_NS1_11comp_targetILNS1_3genE8ELNS1_11target_archE1030ELNS1_3gpuE2ELNS1_3repE0EEENS1_30default_config_static_selectorELNS0_4arch9wavefront6targetE1EEEvT1_,"axG",@progbits,_ZN7rocprim17ROCPRIM_400000_NS6detail17trampoline_kernelINS0_14default_configENS1_20scan_config_selectorIfEEZZNS1_9scan_implILNS1_25lookback_scan_determinismE0ELb0ELb0ES3_N6thrust23THRUST_200600_302600_NS6detail15normal_iteratorINS9_10device_ptrIfEEEENSB_INSC_IiEEEEfNS9_4plusIvEEfEEDaPvRmT3_T4_T5_mT6_P12ihipStream_tbENKUlT_T0_E_clISt17integral_constantIbLb0EESW_EEDaSR_SS_EUlSR_E0_NS1_11comp_targetILNS1_3genE8ELNS1_11target_archE1030ELNS1_3gpuE2ELNS1_3repE0EEENS1_30default_config_static_selectorELNS0_4arch9wavefront6targetE1EEEvT1_,comdat
	.protected	_ZN7rocprim17ROCPRIM_400000_NS6detail17trampoline_kernelINS0_14default_configENS1_20scan_config_selectorIfEEZZNS1_9scan_implILNS1_25lookback_scan_determinismE0ELb0ELb0ES3_N6thrust23THRUST_200600_302600_NS6detail15normal_iteratorINS9_10device_ptrIfEEEENSB_INSC_IiEEEEfNS9_4plusIvEEfEEDaPvRmT3_T4_T5_mT6_P12ihipStream_tbENKUlT_T0_E_clISt17integral_constantIbLb0EESW_EEDaSR_SS_EUlSR_E0_NS1_11comp_targetILNS1_3genE8ELNS1_11target_archE1030ELNS1_3gpuE2ELNS1_3repE0EEENS1_30default_config_static_selectorELNS0_4arch9wavefront6targetE1EEEvT1_ ; -- Begin function _ZN7rocprim17ROCPRIM_400000_NS6detail17trampoline_kernelINS0_14default_configENS1_20scan_config_selectorIfEEZZNS1_9scan_implILNS1_25lookback_scan_determinismE0ELb0ELb0ES3_N6thrust23THRUST_200600_302600_NS6detail15normal_iteratorINS9_10device_ptrIfEEEENSB_INSC_IiEEEEfNS9_4plusIvEEfEEDaPvRmT3_T4_T5_mT6_P12ihipStream_tbENKUlT_T0_E_clISt17integral_constantIbLb0EESW_EEDaSR_SS_EUlSR_E0_NS1_11comp_targetILNS1_3genE8ELNS1_11target_archE1030ELNS1_3gpuE2ELNS1_3repE0EEENS1_30default_config_static_selectorELNS0_4arch9wavefront6targetE1EEEvT1_
	.globl	_ZN7rocprim17ROCPRIM_400000_NS6detail17trampoline_kernelINS0_14default_configENS1_20scan_config_selectorIfEEZZNS1_9scan_implILNS1_25lookback_scan_determinismE0ELb0ELb0ES3_N6thrust23THRUST_200600_302600_NS6detail15normal_iteratorINS9_10device_ptrIfEEEENSB_INSC_IiEEEEfNS9_4plusIvEEfEEDaPvRmT3_T4_T5_mT6_P12ihipStream_tbENKUlT_T0_E_clISt17integral_constantIbLb0EESW_EEDaSR_SS_EUlSR_E0_NS1_11comp_targetILNS1_3genE8ELNS1_11target_archE1030ELNS1_3gpuE2ELNS1_3repE0EEENS1_30default_config_static_selectorELNS0_4arch9wavefront6targetE1EEEvT1_
	.p2align	8
	.type	_ZN7rocprim17ROCPRIM_400000_NS6detail17trampoline_kernelINS0_14default_configENS1_20scan_config_selectorIfEEZZNS1_9scan_implILNS1_25lookback_scan_determinismE0ELb0ELb0ES3_N6thrust23THRUST_200600_302600_NS6detail15normal_iteratorINS9_10device_ptrIfEEEENSB_INSC_IiEEEEfNS9_4plusIvEEfEEDaPvRmT3_T4_T5_mT6_P12ihipStream_tbENKUlT_T0_E_clISt17integral_constantIbLb0EESW_EEDaSR_SS_EUlSR_E0_NS1_11comp_targetILNS1_3genE8ELNS1_11target_archE1030ELNS1_3gpuE2ELNS1_3repE0EEENS1_30default_config_static_selectorELNS0_4arch9wavefront6targetE1EEEvT1_,@function
_ZN7rocprim17ROCPRIM_400000_NS6detail17trampoline_kernelINS0_14default_configENS1_20scan_config_selectorIfEEZZNS1_9scan_implILNS1_25lookback_scan_determinismE0ELb0ELb0ES3_N6thrust23THRUST_200600_302600_NS6detail15normal_iteratorINS9_10device_ptrIfEEEENSB_INSC_IiEEEEfNS9_4plusIvEEfEEDaPvRmT3_T4_T5_mT6_P12ihipStream_tbENKUlT_T0_E_clISt17integral_constantIbLb0EESW_EEDaSR_SS_EUlSR_E0_NS1_11comp_targetILNS1_3genE8ELNS1_11target_archE1030ELNS1_3gpuE2ELNS1_3repE0EEENS1_30default_config_static_selectorELNS0_4arch9wavefront6targetE1EEEvT1_: ; @_ZN7rocprim17ROCPRIM_400000_NS6detail17trampoline_kernelINS0_14default_configENS1_20scan_config_selectorIfEEZZNS1_9scan_implILNS1_25lookback_scan_determinismE0ELb0ELb0ES3_N6thrust23THRUST_200600_302600_NS6detail15normal_iteratorINS9_10device_ptrIfEEEENSB_INSC_IiEEEEfNS9_4plusIvEEfEEDaPvRmT3_T4_T5_mT6_P12ihipStream_tbENKUlT_T0_E_clISt17integral_constantIbLb0EESW_EEDaSR_SS_EUlSR_E0_NS1_11comp_targetILNS1_3genE8ELNS1_11target_archE1030ELNS1_3gpuE2ELNS1_3repE0EEENS1_30default_config_static_selectorELNS0_4arch9wavefront6targetE1EEEvT1_
; %bb.0:
	.section	.rodata,"a",@progbits
	.p2align	6, 0x0
	.amdhsa_kernel _ZN7rocprim17ROCPRIM_400000_NS6detail17trampoline_kernelINS0_14default_configENS1_20scan_config_selectorIfEEZZNS1_9scan_implILNS1_25lookback_scan_determinismE0ELb0ELb0ES3_N6thrust23THRUST_200600_302600_NS6detail15normal_iteratorINS9_10device_ptrIfEEEENSB_INSC_IiEEEEfNS9_4plusIvEEfEEDaPvRmT3_T4_T5_mT6_P12ihipStream_tbENKUlT_T0_E_clISt17integral_constantIbLb0EESW_EEDaSR_SS_EUlSR_E0_NS1_11comp_targetILNS1_3genE8ELNS1_11target_archE1030ELNS1_3gpuE2ELNS1_3repE0EEENS1_30default_config_static_selectorELNS0_4arch9wavefront6targetE1EEEvT1_
		.amdhsa_group_segment_fixed_size 0
		.amdhsa_private_segment_fixed_size 0
		.amdhsa_kernarg_size 32
		.amdhsa_user_sgpr_count 6
		.amdhsa_user_sgpr_private_segment_buffer 1
		.amdhsa_user_sgpr_dispatch_ptr 0
		.amdhsa_user_sgpr_queue_ptr 0
		.amdhsa_user_sgpr_kernarg_segment_ptr 1
		.amdhsa_user_sgpr_dispatch_id 0
		.amdhsa_user_sgpr_flat_scratch_init 0
		.amdhsa_user_sgpr_kernarg_preload_length 0
		.amdhsa_user_sgpr_kernarg_preload_offset 0
		.amdhsa_user_sgpr_private_segment_size 0
		.amdhsa_uses_dynamic_stack 0
		.amdhsa_system_sgpr_private_segment_wavefront_offset 0
		.amdhsa_system_sgpr_workgroup_id_x 1
		.amdhsa_system_sgpr_workgroup_id_y 0
		.amdhsa_system_sgpr_workgroup_id_z 0
		.amdhsa_system_sgpr_workgroup_info 0
		.amdhsa_system_vgpr_workitem_id 0
		.amdhsa_next_free_vgpr 1
		.amdhsa_next_free_sgpr 0
		.amdhsa_accum_offset 4
		.amdhsa_reserve_vcc 0
		.amdhsa_reserve_flat_scratch 0
		.amdhsa_float_round_mode_32 0
		.amdhsa_float_round_mode_16_64 0
		.amdhsa_float_denorm_mode_32 3
		.amdhsa_float_denorm_mode_16_64 3
		.amdhsa_dx10_clamp 1
		.amdhsa_ieee_mode 1
		.amdhsa_fp16_overflow 0
		.amdhsa_tg_split 0
		.amdhsa_exception_fp_ieee_invalid_op 0
		.amdhsa_exception_fp_denorm_src 0
		.amdhsa_exception_fp_ieee_div_zero 0
		.amdhsa_exception_fp_ieee_overflow 0
		.amdhsa_exception_fp_ieee_underflow 0
		.amdhsa_exception_fp_ieee_inexact 0
		.amdhsa_exception_int_div_zero 0
	.end_amdhsa_kernel
	.section	.text._ZN7rocprim17ROCPRIM_400000_NS6detail17trampoline_kernelINS0_14default_configENS1_20scan_config_selectorIfEEZZNS1_9scan_implILNS1_25lookback_scan_determinismE0ELb0ELb0ES3_N6thrust23THRUST_200600_302600_NS6detail15normal_iteratorINS9_10device_ptrIfEEEENSB_INSC_IiEEEEfNS9_4plusIvEEfEEDaPvRmT3_T4_T5_mT6_P12ihipStream_tbENKUlT_T0_E_clISt17integral_constantIbLb0EESW_EEDaSR_SS_EUlSR_E0_NS1_11comp_targetILNS1_3genE8ELNS1_11target_archE1030ELNS1_3gpuE2ELNS1_3repE0EEENS1_30default_config_static_selectorELNS0_4arch9wavefront6targetE1EEEvT1_,"axG",@progbits,_ZN7rocprim17ROCPRIM_400000_NS6detail17trampoline_kernelINS0_14default_configENS1_20scan_config_selectorIfEEZZNS1_9scan_implILNS1_25lookback_scan_determinismE0ELb0ELb0ES3_N6thrust23THRUST_200600_302600_NS6detail15normal_iteratorINS9_10device_ptrIfEEEENSB_INSC_IiEEEEfNS9_4plusIvEEfEEDaPvRmT3_T4_T5_mT6_P12ihipStream_tbENKUlT_T0_E_clISt17integral_constantIbLb0EESW_EEDaSR_SS_EUlSR_E0_NS1_11comp_targetILNS1_3genE8ELNS1_11target_archE1030ELNS1_3gpuE2ELNS1_3repE0EEENS1_30default_config_static_selectorELNS0_4arch9wavefront6targetE1EEEvT1_,comdat
.Lfunc_end1438:
	.size	_ZN7rocprim17ROCPRIM_400000_NS6detail17trampoline_kernelINS0_14default_configENS1_20scan_config_selectorIfEEZZNS1_9scan_implILNS1_25lookback_scan_determinismE0ELb0ELb0ES3_N6thrust23THRUST_200600_302600_NS6detail15normal_iteratorINS9_10device_ptrIfEEEENSB_INSC_IiEEEEfNS9_4plusIvEEfEEDaPvRmT3_T4_T5_mT6_P12ihipStream_tbENKUlT_T0_E_clISt17integral_constantIbLb0EESW_EEDaSR_SS_EUlSR_E0_NS1_11comp_targetILNS1_3genE8ELNS1_11target_archE1030ELNS1_3gpuE2ELNS1_3repE0EEENS1_30default_config_static_selectorELNS0_4arch9wavefront6targetE1EEEvT1_, .Lfunc_end1438-_ZN7rocprim17ROCPRIM_400000_NS6detail17trampoline_kernelINS0_14default_configENS1_20scan_config_selectorIfEEZZNS1_9scan_implILNS1_25lookback_scan_determinismE0ELb0ELb0ES3_N6thrust23THRUST_200600_302600_NS6detail15normal_iteratorINS9_10device_ptrIfEEEENSB_INSC_IiEEEEfNS9_4plusIvEEfEEDaPvRmT3_T4_T5_mT6_P12ihipStream_tbENKUlT_T0_E_clISt17integral_constantIbLb0EESW_EEDaSR_SS_EUlSR_E0_NS1_11comp_targetILNS1_3genE8ELNS1_11target_archE1030ELNS1_3gpuE2ELNS1_3repE0EEENS1_30default_config_static_selectorELNS0_4arch9wavefront6targetE1EEEvT1_
                                        ; -- End function
	.section	.AMDGPU.csdata,"",@progbits
; Kernel info:
; codeLenInByte = 0
; NumSgprs: 4
; NumVgprs: 0
; NumAgprs: 0
; TotalNumVgprs: 0
; ScratchSize: 0
; MemoryBound: 0
; FloatMode: 240
; IeeeMode: 1
; LDSByteSize: 0 bytes/workgroup (compile time only)
; SGPRBlocks: 0
; VGPRBlocks: 0
; NumSGPRsForWavesPerEU: 4
; NumVGPRsForWavesPerEU: 1
; AccumOffset: 4
; Occupancy: 8
; WaveLimiterHint : 0
; COMPUTE_PGM_RSRC2:SCRATCH_EN: 0
; COMPUTE_PGM_RSRC2:USER_SGPR: 6
; COMPUTE_PGM_RSRC2:TRAP_HANDLER: 0
; COMPUTE_PGM_RSRC2:TGID_X_EN: 1
; COMPUTE_PGM_RSRC2:TGID_Y_EN: 0
; COMPUTE_PGM_RSRC2:TGID_Z_EN: 0
; COMPUTE_PGM_RSRC2:TIDIG_COMP_CNT: 0
; COMPUTE_PGM_RSRC3_GFX90A:ACCUM_OFFSET: 0
; COMPUTE_PGM_RSRC3_GFX90A:TG_SPLIT: 0
	.section	.text._ZN7rocprim17ROCPRIM_400000_NS6detail31init_lookback_scan_state_kernelINS1_19lookback_scan_stateIfLb1ELb1EEENS1_16block_id_wrapperIjLb1EEEEEvT_jT0_jPNS7_10value_typeE,"axG",@progbits,_ZN7rocprim17ROCPRIM_400000_NS6detail31init_lookback_scan_state_kernelINS1_19lookback_scan_stateIfLb1ELb1EEENS1_16block_id_wrapperIjLb1EEEEEvT_jT0_jPNS7_10value_typeE,comdat
	.protected	_ZN7rocprim17ROCPRIM_400000_NS6detail31init_lookback_scan_state_kernelINS1_19lookback_scan_stateIfLb1ELb1EEENS1_16block_id_wrapperIjLb1EEEEEvT_jT0_jPNS7_10value_typeE ; -- Begin function _ZN7rocprim17ROCPRIM_400000_NS6detail31init_lookback_scan_state_kernelINS1_19lookback_scan_stateIfLb1ELb1EEENS1_16block_id_wrapperIjLb1EEEEEvT_jT0_jPNS7_10value_typeE
	.globl	_ZN7rocprim17ROCPRIM_400000_NS6detail31init_lookback_scan_state_kernelINS1_19lookback_scan_stateIfLb1ELb1EEENS1_16block_id_wrapperIjLb1EEEEEvT_jT0_jPNS7_10value_typeE
	.p2align	8
	.type	_ZN7rocprim17ROCPRIM_400000_NS6detail31init_lookback_scan_state_kernelINS1_19lookback_scan_stateIfLb1ELb1EEENS1_16block_id_wrapperIjLb1EEEEEvT_jT0_jPNS7_10value_typeE,@function
_ZN7rocprim17ROCPRIM_400000_NS6detail31init_lookback_scan_state_kernelINS1_19lookback_scan_stateIfLb1ELb1EEENS1_16block_id_wrapperIjLb1EEEEEvT_jT0_jPNS7_10value_typeE: ; @_ZN7rocprim17ROCPRIM_400000_NS6detail31init_lookback_scan_state_kernelINS1_19lookback_scan_stateIfLb1ELb1EEENS1_16block_id_wrapperIjLb1EEEEEvT_jT0_jPNS7_10value_typeE
; %bb.0:
	s_load_dword s7, s[4:5], 0x34
	s_load_dwordx2 s[2:3], s[4:5], 0x20
	s_load_dwordx2 s[0:1], s[4:5], 0x0
	s_load_dword s10, s[4:5], 0x8
	s_waitcnt lgkmcnt(0)
	s_and_b32 s7, s7, 0xffff
	s_mul_i32 s6, s6, s7
	s_cmp_eq_u64 s[2:3], 0
	v_add_u32_e32 v0, s6, v0
	s_cbranch_scc1 .LBB1439_9
; %bb.1:
	s_load_dword s8, s[4:5], 0x18
	s_mov_b32 s9, 0
	s_waitcnt lgkmcnt(0)
	s_cmp_lt_u32 s8, s10
	s_cselect_b32 s6, s8, 0
	v_cmp_eq_u32_e32 vcc, s6, v0
	s_and_saveexec_b64 s[6:7], vcc
	s_cbranch_execz .LBB1439_8
; %bb.2:
	s_add_i32 s8, s8, 64
	s_lshl_b64 s[8:9], s[8:9], 3
	s_add_u32 s8, s0, s8
	s_addc_u32 s9, s1, s9
	v_mov_b32_e32 v2, 0
	global_load_dwordx2 v[4:5], v2, s[8:9] glc
	s_waitcnt vmcnt(0)
	v_and_b32_e32 v3, 0xff, v5
	v_cmp_ne_u64_e32 vcc, 0, v[2:3]
	s_cbranch_vccnz .LBB1439_7
; %bb.3:
	s_mov_b32 s11, 1
.LBB1439_4:                             ; =>This Loop Header: Depth=1
                                        ;     Child Loop BB1439_5 Depth 2
	s_max_u32 s12, s11, 1
.LBB1439_5:                             ;   Parent Loop BB1439_4 Depth=1
                                        ; =>  This Inner Loop Header: Depth=2
	s_add_i32 s12, s12, -1
	s_cmp_eq_u32 s12, 0
	s_sleep 1
	s_cbranch_scc0 .LBB1439_5
; %bb.6:                                ;   in Loop: Header=BB1439_4 Depth=1
	global_load_dwordx2 v[4:5], v2, s[8:9] glc
	s_cmp_lt_u32 s11, 32
	s_cselect_b64 s[12:13], -1, 0
	s_cmp_lg_u64 s[12:13], 0
	s_addc_u32 s11, s11, 0
	s_waitcnt vmcnt(0)
	v_and_b32_e32 v3, 0xff, v5
	v_cmp_ne_u64_e32 vcc, 0, v[2:3]
	s_cbranch_vccz .LBB1439_4
.LBB1439_7:
	v_mov_b32_e32 v1, 0
	global_store_dword v1, v4, s[2:3]
.LBB1439_8:
	s_or_b64 exec, exec, s[6:7]
.LBB1439_9:
	v_cmp_eq_u32_e32 vcc, 0, v0
	s_and_saveexec_b64 s[2:3], vcc
	s_cbranch_execnz .LBB1439_13
; %bb.10:
	s_or_b64 exec, exec, s[2:3]
	v_cmp_gt_u32_e32 vcc, s10, v0
	s_and_saveexec_b64 s[2:3], vcc
	s_cbranch_execnz .LBB1439_14
.LBB1439_11:
	s_or_b64 exec, exec, s[2:3]
	v_cmp_gt_u32_e32 vcc, 64, v0
	s_and_saveexec_b64 s[2:3], vcc
	s_cbranch_execnz .LBB1439_15
.LBB1439_12:
	s_endpgm
.LBB1439_13:
	s_load_dwordx2 s[4:5], s[4:5], 0x10
	v_mov_b32_e32 v1, 0
	s_waitcnt lgkmcnt(0)
	global_store_dword v1, v1, s[4:5]
	s_or_b64 exec, exec, s[2:3]
	v_cmp_gt_u32_e32 vcc, s10, v0
	s_and_saveexec_b64 s[2:3], vcc
	s_cbranch_execz .LBB1439_11
.LBB1439_14:
	v_add_u32_e32 v2, 64, v0
	v_mov_b32_e32 v3, 0
	v_lshlrev_b64 v[4:5], 3, v[2:3]
	v_mov_b32_e32 v1, s1
	v_add_co_u32_e32 v4, vcc, s0, v4
	v_addc_co_u32_e32 v5, vcc, v1, v5, vcc
	v_mov_b32_e32 v2, v3
	global_store_dwordx2 v[4:5], v[2:3], off
	s_or_b64 exec, exec, s[2:3]
	v_cmp_gt_u32_e32 vcc, 64, v0
	s_and_saveexec_b64 s[2:3], vcc
	s_cbranch_execz .LBB1439_12
.LBB1439_15:
	v_mov_b32_e32 v1, 0
	v_lshlrev_b64 v[2:3], 3, v[0:1]
	v_mov_b32_e32 v0, s1
	v_add_co_u32_e32 v2, vcc, s0, v2
	v_addc_co_u32_e32 v3, vcc, v0, v3, vcc
	v_mov_b32_e32 v5, 0xff
	v_mov_b32_e32 v4, v1
	global_store_dwordx2 v[2:3], v[4:5], off
	s_endpgm
	.section	.rodata,"a",@progbits
	.p2align	6, 0x0
	.amdhsa_kernel _ZN7rocprim17ROCPRIM_400000_NS6detail31init_lookback_scan_state_kernelINS1_19lookback_scan_stateIfLb1ELb1EEENS1_16block_id_wrapperIjLb1EEEEEvT_jT0_jPNS7_10value_typeE
		.amdhsa_group_segment_fixed_size 0
		.amdhsa_private_segment_fixed_size 0
		.amdhsa_kernarg_size 296
		.amdhsa_user_sgpr_count 6
		.amdhsa_user_sgpr_private_segment_buffer 1
		.amdhsa_user_sgpr_dispatch_ptr 0
		.amdhsa_user_sgpr_queue_ptr 0
		.amdhsa_user_sgpr_kernarg_segment_ptr 1
		.amdhsa_user_sgpr_dispatch_id 0
		.amdhsa_user_sgpr_flat_scratch_init 0
		.amdhsa_user_sgpr_kernarg_preload_length 0
		.amdhsa_user_sgpr_kernarg_preload_offset 0
		.amdhsa_user_sgpr_private_segment_size 0
		.amdhsa_uses_dynamic_stack 0
		.amdhsa_system_sgpr_private_segment_wavefront_offset 0
		.amdhsa_system_sgpr_workgroup_id_x 1
		.amdhsa_system_sgpr_workgroup_id_y 0
		.amdhsa_system_sgpr_workgroup_id_z 0
		.amdhsa_system_sgpr_workgroup_info 0
		.amdhsa_system_vgpr_workitem_id 0
		.amdhsa_next_free_vgpr 6
		.amdhsa_next_free_sgpr 14
		.amdhsa_accum_offset 8
		.amdhsa_reserve_vcc 1
		.amdhsa_reserve_flat_scratch 0
		.amdhsa_float_round_mode_32 0
		.amdhsa_float_round_mode_16_64 0
		.amdhsa_float_denorm_mode_32 3
		.amdhsa_float_denorm_mode_16_64 3
		.amdhsa_dx10_clamp 1
		.amdhsa_ieee_mode 1
		.amdhsa_fp16_overflow 0
		.amdhsa_tg_split 0
		.amdhsa_exception_fp_ieee_invalid_op 0
		.amdhsa_exception_fp_denorm_src 0
		.amdhsa_exception_fp_ieee_div_zero 0
		.amdhsa_exception_fp_ieee_overflow 0
		.amdhsa_exception_fp_ieee_underflow 0
		.amdhsa_exception_fp_ieee_inexact 0
		.amdhsa_exception_int_div_zero 0
	.end_amdhsa_kernel
	.section	.text._ZN7rocprim17ROCPRIM_400000_NS6detail31init_lookback_scan_state_kernelINS1_19lookback_scan_stateIfLb1ELb1EEENS1_16block_id_wrapperIjLb1EEEEEvT_jT0_jPNS7_10value_typeE,"axG",@progbits,_ZN7rocprim17ROCPRIM_400000_NS6detail31init_lookback_scan_state_kernelINS1_19lookback_scan_stateIfLb1ELb1EEENS1_16block_id_wrapperIjLb1EEEEEvT_jT0_jPNS7_10value_typeE,comdat
.Lfunc_end1439:
	.size	_ZN7rocprim17ROCPRIM_400000_NS6detail31init_lookback_scan_state_kernelINS1_19lookback_scan_stateIfLb1ELb1EEENS1_16block_id_wrapperIjLb1EEEEEvT_jT0_jPNS7_10value_typeE, .Lfunc_end1439-_ZN7rocprim17ROCPRIM_400000_NS6detail31init_lookback_scan_state_kernelINS1_19lookback_scan_stateIfLb1ELb1EEENS1_16block_id_wrapperIjLb1EEEEEvT_jT0_jPNS7_10value_typeE
                                        ; -- End function
	.section	.AMDGPU.csdata,"",@progbits
; Kernel info:
; codeLenInByte = 420
; NumSgprs: 18
; NumVgprs: 6
; NumAgprs: 0
; TotalNumVgprs: 6
; ScratchSize: 0
; MemoryBound: 0
; FloatMode: 240
; IeeeMode: 1
; LDSByteSize: 0 bytes/workgroup (compile time only)
; SGPRBlocks: 2
; VGPRBlocks: 0
; NumSGPRsForWavesPerEU: 18
; NumVGPRsForWavesPerEU: 6
; AccumOffset: 8
; Occupancy: 8
; WaveLimiterHint : 0
; COMPUTE_PGM_RSRC2:SCRATCH_EN: 0
; COMPUTE_PGM_RSRC2:USER_SGPR: 6
; COMPUTE_PGM_RSRC2:TRAP_HANDLER: 0
; COMPUTE_PGM_RSRC2:TGID_X_EN: 1
; COMPUTE_PGM_RSRC2:TGID_Y_EN: 0
; COMPUTE_PGM_RSRC2:TGID_Z_EN: 0
; COMPUTE_PGM_RSRC2:TIDIG_COMP_CNT: 0
; COMPUTE_PGM_RSRC3_GFX90A:ACCUM_OFFSET: 1
; COMPUTE_PGM_RSRC3_GFX90A:TG_SPLIT: 0
	.section	.text._ZN7rocprim17ROCPRIM_400000_NS6detail17trampoline_kernelINS0_14default_configENS1_20scan_config_selectorIfEEZZNS1_9scan_implILNS1_25lookback_scan_determinismE0ELb0ELb0ES3_N6thrust23THRUST_200600_302600_NS6detail15normal_iteratorINS9_10device_ptrIfEEEENSB_INSC_IiEEEEfNS9_4plusIvEEfEEDaPvRmT3_T4_T5_mT6_P12ihipStream_tbENKUlT_T0_E_clISt17integral_constantIbLb1EESW_EEDaSR_SS_EUlSR_E_NS1_11comp_targetILNS1_3genE0ELNS1_11target_archE4294967295ELNS1_3gpuE0ELNS1_3repE0EEENS1_30default_config_static_selectorELNS0_4arch9wavefront6targetE1EEEvT1_,"axG",@progbits,_ZN7rocprim17ROCPRIM_400000_NS6detail17trampoline_kernelINS0_14default_configENS1_20scan_config_selectorIfEEZZNS1_9scan_implILNS1_25lookback_scan_determinismE0ELb0ELb0ES3_N6thrust23THRUST_200600_302600_NS6detail15normal_iteratorINS9_10device_ptrIfEEEENSB_INSC_IiEEEEfNS9_4plusIvEEfEEDaPvRmT3_T4_T5_mT6_P12ihipStream_tbENKUlT_T0_E_clISt17integral_constantIbLb1EESW_EEDaSR_SS_EUlSR_E_NS1_11comp_targetILNS1_3genE0ELNS1_11target_archE4294967295ELNS1_3gpuE0ELNS1_3repE0EEENS1_30default_config_static_selectorELNS0_4arch9wavefront6targetE1EEEvT1_,comdat
	.protected	_ZN7rocprim17ROCPRIM_400000_NS6detail17trampoline_kernelINS0_14default_configENS1_20scan_config_selectorIfEEZZNS1_9scan_implILNS1_25lookback_scan_determinismE0ELb0ELb0ES3_N6thrust23THRUST_200600_302600_NS6detail15normal_iteratorINS9_10device_ptrIfEEEENSB_INSC_IiEEEEfNS9_4plusIvEEfEEDaPvRmT3_T4_T5_mT6_P12ihipStream_tbENKUlT_T0_E_clISt17integral_constantIbLb1EESW_EEDaSR_SS_EUlSR_E_NS1_11comp_targetILNS1_3genE0ELNS1_11target_archE4294967295ELNS1_3gpuE0ELNS1_3repE0EEENS1_30default_config_static_selectorELNS0_4arch9wavefront6targetE1EEEvT1_ ; -- Begin function _ZN7rocprim17ROCPRIM_400000_NS6detail17trampoline_kernelINS0_14default_configENS1_20scan_config_selectorIfEEZZNS1_9scan_implILNS1_25lookback_scan_determinismE0ELb0ELb0ES3_N6thrust23THRUST_200600_302600_NS6detail15normal_iteratorINS9_10device_ptrIfEEEENSB_INSC_IiEEEEfNS9_4plusIvEEfEEDaPvRmT3_T4_T5_mT6_P12ihipStream_tbENKUlT_T0_E_clISt17integral_constantIbLb1EESW_EEDaSR_SS_EUlSR_E_NS1_11comp_targetILNS1_3genE0ELNS1_11target_archE4294967295ELNS1_3gpuE0ELNS1_3repE0EEENS1_30default_config_static_selectorELNS0_4arch9wavefront6targetE1EEEvT1_
	.globl	_ZN7rocprim17ROCPRIM_400000_NS6detail17trampoline_kernelINS0_14default_configENS1_20scan_config_selectorIfEEZZNS1_9scan_implILNS1_25lookback_scan_determinismE0ELb0ELb0ES3_N6thrust23THRUST_200600_302600_NS6detail15normal_iteratorINS9_10device_ptrIfEEEENSB_INSC_IiEEEEfNS9_4plusIvEEfEEDaPvRmT3_T4_T5_mT6_P12ihipStream_tbENKUlT_T0_E_clISt17integral_constantIbLb1EESW_EEDaSR_SS_EUlSR_E_NS1_11comp_targetILNS1_3genE0ELNS1_11target_archE4294967295ELNS1_3gpuE0ELNS1_3repE0EEENS1_30default_config_static_selectorELNS0_4arch9wavefront6targetE1EEEvT1_
	.p2align	8
	.type	_ZN7rocprim17ROCPRIM_400000_NS6detail17trampoline_kernelINS0_14default_configENS1_20scan_config_selectorIfEEZZNS1_9scan_implILNS1_25lookback_scan_determinismE0ELb0ELb0ES3_N6thrust23THRUST_200600_302600_NS6detail15normal_iteratorINS9_10device_ptrIfEEEENSB_INSC_IiEEEEfNS9_4plusIvEEfEEDaPvRmT3_T4_T5_mT6_P12ihipStream_tbENKUlT_T0_E_clISt17integral_constantIbLb1EESW_EEDaSR_SS_EUlSR_E_NS1_11comp_targetILNS1_3genE0ELNS1_11target_archE4294967295ELNS1_3gpuE0ELNS1_3repE0EEENS1_30default_config_static_selectorELNS0_4arch9wavefront6targetE1EEEvT1_,@function
_ZN7rocprim17ROCPRIM_400000_NS6detail17trampoline_kernelINS0_14default_configENS1_20scan_config_selectorIfEEZZNS1_9scan_implILNS1_25lookback_scan_determinismE0ELb0ELb0ES3_N6thrust23THRUST_200600_302600_NS6detail15normal_iteratorINS9_10device_ptrIfEEEENSB_INSC_IiEEEEfNS9_4plusIvEEfEEDaPvRmT3_T4_T5_mT6_P12ihipStream_tbENKUlT_T0_E_clISt17integral_constantIbLb1EESW_EEDaSR_SS_EUlSR_E_NS1_11comp_targetILNS1_3genE0ELNS1_11target_archE4294967295ELNS1_3gpuE0ELNS1_3repE0EEENS1_30default_config_static_selectorELNS0_4arch9wavefront6targetE1EEEvT1_: ; @_ZN7rocprim17ROCPRIM_400000_NS6detail17trampoline_kernelINS0_14default_configENS1_20scan_config_selectorIfEEZZNS1_9scan_implILNS1_25lookback_scan_determinismE0ELb0ELb0ES3_N6thrust23THRUST_200600_302600_NS6detail15normal_iteratorINS9_10device_ptrIfEEEENSB_INSC_IiEEEEfNS9_4plusIvEEfEEDaPvRmT3_T4_T5_mT6_P12ihipStream_tbENKUlT_T0_E_clISt17integral_constantIbLb1EESW_EEDaSR_SS_EUlSR_E_NS1_11comp_targetILNS1_3genE0ELNS1_11target_archE4294967295ELNS1_3gpuE0ELNS1_3repE0EEENS1_30default_config_static_selectorELNS0_4arch9wavefront6targetE1EEEvT1_
; %bb.0:
	.section	.rodata,"a",@progbits
	.p2align	6, 0x0
	.amdhsa_kernel _ZN7rocprim17ROCPRIM_400000_NS6detail17trampoline_kernelINS0_14default_configENS1_20scan_config_selectorIfEEZZNS1_9scan_implILNS1_25lookback_scan_determinismE0ELb0ELb0ES3_N6thrust23THRUST_200600_302600_NS6detail15normal_iteratorINS9_10device_ptrIfEEEENSB_INSC_IiEEEEfNS9_4plusIvEEfEEDaPvRmT3_T4_T5_mT6_P12ihipStream_tbENKUlT_T0_E_clISt17integral_constantIbLb1EESW_EEDaSR_SS_EUlSR_E_NS1_11comp_targetILNS1_3genE0ELNS1_11target_archE4294967295ELNS1_3gpuE0ELNS1_3repE0EEENS1_30default_config_static_selectorELNS0_4arch9wavefront6targetE1EEEvT1_
		.amdhsa_group_segment_fixed_size 0
		.amdhsa_private_segment_fixed_size 0
		.amdhsa_kernarg_size 96
		.amdhsa_user_sgpr_count 6
		.amdhsa_user_sgpr_private_segment_buffer 1
		.amdhsa_user_sgpr_dispatch_ptr 0
		.amdhsa_user_sgpr_queue_ptr 0
		.amdhsa_user_sgpr_kernarg_segment_ptr 1
		.amdhsa_user_sgpr_dispatch_id 0
		.amdhsa_user_sgpr_flat_scratch_init 0
		.amdhsa_user_sgpr_kernarg_preload_length 0
		.amdhsa_user_sgpr_kernarg_preload_offset 0
		.amdhsa_user_sgpr_private_segment_size 0
		.amdhsa_uses_dynamic_stack 0
		.amdhsa_system_sgpr_private_segment_wavefront_offset 0
		.amdhsa_system_sgpr_workgroup_id_x 1
		.amdhsa_system_sgpr_workgroup_id_y 0
		.amdhsa_system_sgpr_workgroup_id_z 0
		.amdhsa_system_sgpr_workgroup_info 0
		.amdhsa_system_vgpr_workitem_id 0
		.amdhsa_next_free_vgpr 1
		.amdhsa_next_free_sgpr 0
		.amdhsa_accum_offset 4
		.amdhsa_reserve_vcc 0
		.amdhsa_reserve_flat_scratch 0
		.amdhsa_float_round_mode_32 0
		.amdhsa_float_round_mode_16_64 0
		.amdhsa_float_denorm_mode_32 3
		.amdhsa_float_denorm_mode_16_64 3
		.amdhsa_dx10_clamp 1
		.amdhsa_ieee_mode 1
		.amdhsa_fp16_overflow 0
		.amdhsa_tg_split 0
		.amdhsa_exception_fp_ieee_invalid_op 0
		.amdhsa_exception_fp_denorm_src 0
		.amdhsa_exception_fp_ieee_div_zero 0
		.amdhsa_exception_fp_ieee_overflow 0
		.amdhsa_exception_fp_ieee_underflow 0
		.amdhsa_exception_fp_ieee_inexact 0
		.amdhsa_exception_int_div_zero 0
	.end_amdhsa_kernel
	.section	.text._ZN7rocprim17ROCPRIM_400000_NS6detail17trampoline_kernelINS0_14default_configENS1_20scan_config_selectorIfEEZZNS1_9scan_implILNS1_25lookback_scan_determinismE0ELb0ELb0ES3_N6thrust23THRUST_200600_302600_NS6detail15normal_iteratorINS9_10device_ptrIfEEEENSB_INSC_IiEEEEfNS9_4plusIvEEfEEDaPvRmT3_T4_T5_mT6_P12ihipStream_tbENKUlT_T0_E_clISt17integral_constantIbLb1EESW_EEDaSR_SS_EUlSR_E_NS1_11comp_targetILNS1_3genE0ELNS1_11target_archE4294967295ELNS1_3gpuE0ELNS1_3repE0EEENS1_30default_config_static_selectorELNS0_4arch9wavefront6targetE1EEEvT1_,"axG",@progbits,_ZN7rocprim17ROCPRIM_400000_NS6detail17trampoline_kernelINS0_14default_configENS1_20scan_config_selectorIfEEZZNS1_9scan_implILNS1_25lookback_scan_determinismE0ELb0ELb0ES3_N6thrust23THRUST_200600_302600_NS6detail15normal_iteratorINS9_10device_ptrIfEEEENSB_INSC_IiEEEEfNS9_4plusIvEEfEEDaPvRmT3_T4_T5_mT6_P12ihipStream_tbENKUlT_T0_E_clISt17integral_constantIbLb1EESW_EEDaSR_SS_EUlSR_E_NS1_11comp_targetILNS1_3genE0ELNS1_11target_archE4294967295ELNS1_3gpuE0ELNS1_3repE0EEENS1_30default_config_static_selectorELNS0_4arch9wavefront6targetE1EEEvT1_,comdat
.Lfunc_end1440:
	.size	_ZN7rocprim17ROCPRIM_400000_NS6detail17trampoline_kernelINS0_14default_configENS1_20scan_config_selectorIfEEZZNS1_9scan_implILNS1_25lookback_scan_determinismE0ELb0ELb0ES3_N6thrust23THRUST_200600_302600_NS6detail15normal_iteratorINS9_10device_ptrIfEEEENSB_INSC_IiEEEEfNS9_4plusIvEEfEEDaPvRmT3_T4_T5_mT6_P12ihipStream_tbENKUlT_T0_E_clISt17integral_constantIbLb1EESW_EEDaSR_SS_EUlSR_E_NS1_11comp_targetILNS1_3genE0ELNS1_11target_archE4294967295ELNS1_3gpuE0ELNS1_3repE0EEENS1_30default_config_static_selectorELNS0_4arch9wavefront6targetE1EEEvT1_, .Lfunc_end1440-_ZN7rocprim17ROCPRIM_400000_NS6detail17trampoline_kernelINS0_14default_configENS1_20scan_config_selectorIfEEZZNS1_9scan_implILNS1_25lookback_scan_determinismE0ELb0ELb0ES3_N6thrust23THRUST_200600_302600_NS6detail15normal_iteratorINS9_10device_ptrIfEEEENSB_INSC_IiEEEEfNS9_4plusIvEEfEEDaPvRmT3_T4_T5_mT6_P12ihipStream_tbENKUlT_T0_E_clISt17integral_constantIbLb1EESW_EEDaSR_SS_EUlSR_E_NS1_11comp_targetILNS1_3genE0ELNS1_11target_archE4294967295ELNS1_3gpuE0ELNS1_3repE0EEENS1_30default_config_static_selectorELNS0_4arch9wavefront6targetE1EEEvT1_
                                        ; -- End function
	.section	.AMDGPU.csdata,"",@progbits
; Kernel info:
; codeLenInByte = 0
; NumSgprs: 4
; NumVgprs: 0
; NumAgprs: 0
; TotalNumVgprs: 0
; ScratchSize: 0
; MemoryBound: 0
; FloatMode: 240
; IeeeMode: 1
; LDSByteSize: 0 bytes/workgroup (compile time only)
; SGPRBlocks: 0
; VGPRBlocks: 0
; NumSGPRsForWavesPerEU: 4
; NumVGPRsForWavesPerEU: 1
; AccumOffset: 4
; Occupancy: 8
; WaveLimiterHint : 0
; COMPUTE_PGM_RSRC2:SCRATCH_EN: 0
; COMPUTE_PGM_RSRC2:USER_SGPR: 6
; COMPUTE_PGM_RSRC2:TRAP_HANDLER: 0
; COMPUTE_PGM_RSRC2:TGID_X_EN: 1
; COMPUTE_PGM_RSRC2:TGID_Y_EN: 0
; COMPUTE_PGM_RSRC2:TGID_Z_EN: 0
; COMPUTE_PGM_RSRC2:TIDIG_COMP_CNT: 0
; COMPUTE_PGM_RSRC3_GFX90A:ACCUM_OFFSET: 0
; COMPUTE_PGM_RSRC3_GFX90A:TG_SPLIT: 0
	.section	.text._ZN7rocprim17ROCPRIM_400000_NS6detail17trampoline_kernelINS0_14default_configENS1_20scan_config_selectorIfEEZZNS1_9scan_implILNS1_25lookback_scan_determinismE0ELb0ELb0ES3_N6thrust23THRUST_200600_302600_NS6detail15normal_iteratorINS9_10device_ptrIfEEEENSB_INSC_IiEEEEfNS9_4plusIvEEfEEDaPvRmT3_T4_T5_mT6_P12ihipStream_tbENKUlT_T0_E_clISt17integral_constantIbLb1EESW_EEDaSR_SS_EUlSR_E_NS1_11comp_targetILNS1_3genE5ELNS1_11target_archE942ELNS1_3gpuE9ELNS1_3repE0EEENS1_30default_config_static_selectorELNS0_4arch9wavefront6targetE1EEEvT1_,"axG",@progbits,_ZN7rocprim17ROCPRIM_400000_NS6detail17trampoline_kernelINS0_14default_configENS1_20scan_config_selectorIfEEZZNS1_9scan_implILNS1_25lookback_scan_determinismE0ELb0ELb0ES3_N6thrust23THRUST_200600_302600_NS6detail15normal_iteratorINS9_10device_ptrIfEEEENSB_INSC_IiEEEEfNS9_4plusIvEEfEEDaPvRmT3_T4_T5_mT6_P12ihipStream_tbENKUlT_T0_E_clISt17integral_constantIbLb1EESW_EEDaSR_SS_EUlSR_E_NS1_11comp_targetILNS1_3genE5ELNS1_11target_archE942ELNS1_3gpuE9ELNS1_3repE0EEENS1_30default_config_static_selectorELNS0_4arch9wavefront6targetE1EEEvT1_,comdat
	.protected	_ZN7rocprim17ROCPRIM_400000_NS6detail17trampoline_kernelINS0_14default_configENS1_20scan_config_selectorIfEEZZNS1_9scan_implILNS1_25lookback_scan_determinismE0ELb0ELb0ES3_N6thrust23THRUST_200600_302600_NS6detail15normal_iteratorINS9_10device_ptrIfEEEENSB_INSC_IiEEEEfNS9_4plusIvEEfEEDaPvRmT3_T4_T5_mT6_P12ihipStream_tbENKUlT_T0_E_clISt17integral_constantIbLb1EESW_EEDaSR_SS_EUlSR_E_NS1_11comp_targetILNS1_3genE5ELNS1_11target_archE942ELNS1_3gpuE9ELNS1_3repE0EEENS1_30default_config_static_selectorELNS0_4arch9wavefront6targetE1EEEvT1_ ; -- Begin function _ZN7rocprim17ROCPRIM_400000_NS6detail17trampoline_kernelINS0_14default_configENS1_20scan_config_selectorIfEEZZNS1_9scan_implILNS1_25lookback_scan_determinismE0ELb0ELb0ES3_N6thrust23THRUST_200600_302600_NS6detail15normal_iteratorINS9_10device_ptrIfEEEENSB_INSC_IiEEEEfNS9_4plusIvEEfEEDaPvRmT3_T4_T5_mT6_P12ihipStream_tbENKUlT_T0_E_clISt17integral_constantIbLb1EESW_EEDaSR_SS_EUlSR_E_NS1_11comp_targetILNS1_3genE5ELNS1_11target_archE942ELNS1_3gpuE9ELNS1_3repE0EEENS1_30default_config_static_selectorELNS0_4arch9wavefront6targetE1EEEvT1_
	.globl	_ZN7rocprim17ROCPRIM_400000_NS6detail17trampoline_kernelINS0_14default_configENS1_20scan_config_selectorIfEEZZNS1_9scan_implILNS1_25lookback_scan_determinismE0ELb0ELb0ES3_N6thrust23THRUST_200600_302600_NS6detail15normal_iteratorINS9_10device_ptrIfEEEENSB_INSC_IiEEEEfNS9_4plusIvEEfEEDaPvRmT3_T4_T5_mT6_P12ihipStream_tbENKUlT_T0_E_clISt17integral_constantIbLb1EESW_EEDaSR_SS_EUlSR_E_NS1_11comp_targetILNS1_3genE5ELNS1_11target_archE942ELNS1_3gpuE9ELNS1_3repE0EEENS1_30default_config_static_selectorELNS0_4arch9wavefront6targetE1EEEvT1_
	.p2align	8
	.type	_ZN7rocprim17ROCPRIM_400000_NS6detail17trampoline_kernelINS0_14default_configENS1_20scan_config_selectorIfEEZZNS1_9scan_implILNS1_25lookback_scan_determinismE0ELb0ELb0ES3_N6thrust23THRUST_200600_302600_NS6detail15normal_iteratorINS9_10device_ptrIfEEEENSB_INSC_IiEEEEfNS9_4plusIvEEfEEDaPvRmT3_T4_T5_mT6_P12ihipStream_tbENKUlT_T0_E_clISt17integral_constantIbLb1EESW_EEDaSR_SS_EUlSR_E_NS1_11comp_targetILNS1_3genE5ELNS1_11target_archE942ELNS1_3gpuE9ELNS1_3repE0EEENS1_30default_config_static_selectorELNS0_4arch9wavefront6targetE1EEEvT1_,@function
_ZN7rocprim17ROCPRIM_400000_NS6detail17trampoline_kernelINS0_14default_configENS1_20scan_config_selectorIfEEZZNS1_9scan_implILNS1_25lookback_scan_determinismE0ELb0ELb0ES3_N6thrust23THRUST_200600_302600_NS6detail15normal_iteratorINS9_10device_ptrIfEEEENSB_INSC_IiEEEEfNS9_4plusIvEEfEEDaPvRmT3_T4_T5_mT6_P12ihipStream_tbENKUlT_T0_E_clISt17integral_constantIbLb1EESW_EEDaSR_SS_EUlSR_E_NS1_11comp_targetILNS1_3genE5ELNS1_11target_archE942ELNS1_3gpuE9ELNS1_3repE0EEENS1_30default_config_static_selectorELNS0_4arch9wavefront6targetE1EEEvT1_: ; @_ZN7rocprim17ROCPRIM_400000_NS6detail17trampoline_kernelINS0_14default_configENS1_20scan_config_selectorIfEEZZNS1_9scan_implILNS1_25lookback_scan_determinismE0ELb0ELb0ES3_N6thrust23THRUST_200600_302600_NS6detail15normal_iteratorINS9_10device_ptrIfEEEENSB_INSC_IiEEEEfNS9_4plusIvEEfEEDaPvRmT3_T4_T5_mT6_P12ihipStream_tbENKUlT_T0_E_clISt17integral_constantIbLb1EESW_EEDaSR_SS_EUlSR_E_NS1_11comp_targetILNS1_3genE5ELNS1_11target_archE942ELNS1_3gpuE9ELNS1_3repE0EEENS1_30default_config_static_selectorELNS0_4arch9wavefront6targetE1EEEvT1_
; %bb.0:
	.section	.rodata,"a",@progbits
	.p2align	6, 0x0
	.amdhsa_kernel _ZN7rocprim17ROCPRIM_400000_NS6detail17trampoline_kernelINS0_14default_configENS1_20scan_config_selectorIfEEZZNS1_9scan_implILNS1_25lookback_scan_determinismE0ELb0ELb0ES3_N6thrust23THRUST_200600_302600_NS6detail15normal_iteratorINS9_10device_ptrIfEEEENSB_INSC_IiEEEEfNS9_4plusIvEEfEEDaPvRmT3_T4_T5_mT6_P12ihipStream_tbENKUlT_T0_E_clISt17integral_constantIbLb1EESW_EEDaSR_SS_EUlSR_E_NS1_11comp_targetILNS1_3genE5ELNS1_11target_archE942ELNS1_3gpuE9ELNS1_3repE0EEENS1_30default_config_static_selectorELNS0_4arch9wavefront6targetE1EEEvT1_
		.amdhsa_group_segment_fixed_size 0
		.amdhsa_private_segment_fixed_size 0
		.amdhsa_kernarg_size 96
		.amdhsa_user_sgpr_count 6
		.amdhsa_user_sgpr_private_segment_buffer 1
		.amdhsa_user_sgpr_dispatch_ptr 0
		.amdhsa_user_sgpr_queue_ptr 0
		.amdhsa_user_sgpr_kernarg_segment_ptr 1
		.amdhsa_user_sgpr_dispatch_id 0
		.amdhsa_user_sgpr_flat_scratch_init 0
		.amdhsa_user_sgpr_kernarg_preload_length 0
		.amdhsa_user_sgpr_kernarg_preload_offset 0
		.amdhsa_user_sgpr_private_segment_size 0
		.amdhsa_uses_dynamic_stack 0
		.amdhsa_system_sgpr_private_segment_wavefront_offset 0
		.amdhsa_system_sgpr_workgroup_id_x 1
		.amdhsa_system_sgpr_workgroup_id_y 0
		.amdhsa_system_sgpr_workgroup_id_z 0
		.amdhsa_system_sgpr_workgroup_info 0
		.amdhsa_system_vgpr_workitem_id 0
		.amdhsa_next_free_vgpr 1
		.amdhsa_next_free_sgpr 0
		.amdhsa_accum_offset 4
		.amdhsa_reserve_vcc 0
		.amdhsa_reserve_flat_scratch 0
		.amdhsa_float_round_mode_32 0
		.amdhsa_float_round_mode_16_64 0
		.amdhsa_float_denorm_mode_32 3
		.amdhsa_float_denorm_mode_16_64 3
		.amdhsa_dx10_clamp 1
		.amdhsa_ieee_mode 1
		.amdhsa_fp16_overflow 0
		.amdhsa_tg_split 0
		.amdhsa_exception_fp_ieee_invalid_op 0
		.amdhsa_exception_fp_denorm_src 0
		.amdhsa_exception_fp_ieee_div_zero 0
		.amdhsa_exception_fp_ieee_overflow 0
		.amdhsa_exception_fp_ieee_underflow 0
		.amdhsa_exception_fp_ieee_inexact 0
		.amdhsa_exception_int_div_zero 0
	.end_amdhsa_kernel
	.section	.text._ZN7rocprim17ROCPRIM_400000_NS6detail17trampoline_kernelINS0_14default_configENS1_20scan_config_selectorIfEEZZNS1_9scan_implILNS1_25lookback_scan_determinismE0ELb0ELb0ES3_N6thrust23THRUST_200600_302600_NS6detail15normal_iteratorINS9_10device_ptrIfEEEENSB_INSC_IiEEEEfNS9_4plusIvEEfEEDaPvRmT3_T4_T5_mT6_P12ihipStream_tbENKUlT_T0_E_clISt17integral_constantIbLb1EESW_EEDaSR_SS_EUlSR_E_NS1_11comp_targetILNS1_3genE5ELNS1_11target_archE942ELNS1_3gpuE9ELNS1_3repE0EEENS1_30default_config_static_selectorELNS0_4arch9wavefront6targetE1EEEvT1_,"axG",@progbits,_ZN7rocprim17ROCPRIM_400000_NS6detail17trampoline_kernelINS0_14default_configENS1_20scan_config_selectorIfEEZZNS1_9scan_implILNS1_25lookback_scan_determinismE0ELb0ELb0ES3_N6thrust23THRUST_200600_302600_NS6detail15normal_iteratorINS9_10device_ptrIfEEEENSB_INSC_IiEEEEfNS9_4plusIvEEfEEDaPvRmT3_T4_T5_mT6_P12ihipStream_tbENKUlT_T0_E_clISt17integral_constantIbLb1EESW_EEDaSR_SS_EUlSR_E_NS1_11comp_targetILNS1_3genE5ELNS1_11target_archE942ELNS1_3gpuE9ELNS1_3repE0EEENS1_30default_config_static_selectorELNS0_4arch9wavefront6targetE1EEEvT1_,comdat
.Lfunc_end1441:
	.size	_ZN7rocprim17ROCPRIM_400000_NS6detail17trampoline_kernelINS0_14default_configENS1_20scan_config_selectorIfEEZZNS1_9scan_implILNS1_25lookback_scan_determinismE0ELb0ELb0ES3_N6thrust23THRUST_200600_302600_NS6detail15normal_iteratorINS9_10device_ptrIfEEEENSB_INSC_IiEEEEfNS9_4plusIvEEfEEDaPvRmT3_T4_T5_mT6_P12ihipStream_tbENKUlT_T0_E_clISt17integral_constantIbLb1EESW_EEDaSR_SS_EUlSR_E_NS1_11comp_targetILNS1_3genE5ELNS1_11target_archE942ELNS1_3gpuE9ELNS1_3repE0EEENS1_30default_config_static_selectorELNS0_4arch9wavefront6targetE1EEEvT1_, .Lfunc_end1441-_ZN7rocprim17ROCPRIM_400000_NS6detail17trampoline_kernelINS0_14default_configENS1_20scan_config_selectorIfEEZZNS1_9scan_implILNS1_25lookback_scan_determinismE0ELb0ELb0ES3_N6thrust23THRUST_200600_302600_NS6detail15normal_iteratorINS9_10device_ptrIfEEEENSB_INSC_IiEEEEfNS9_4plusIvEEfEEDaPvRmT3_T4_T5_mT6_P12ihipStream_tbENKUlT_T0_E_clISt17integral_constantIbLb1EESW_EEDaSR_SS_EUlSR_E_NS1_11comp_targetILNS1_3genE5ELNS1_11target_archE942ELNS1_3gpuE9ELNS1_3repE0EEENS1_30default_config_static_selectorELNS0_4arch9wavefront6targetE1EEEvT1_
                                        ; -- End function
	.section	.AMDGPU.csdata,"",@progbits
; Kernel info:
; codeLenInByte = 0
; NumSgprs: 4
; NumVgprs: 0
; NumAgprs: 0
; TotalNumVgprs: 0
; ScratchSize: 0
; MemoryBound: 0
; FloatMode: 240
; IeeeMode: 1
; LDSByteSize: 0 bytes/workgroup (compile time only)
; SGPRBlocks: 0
; VGPRBlocks: 0
; NumSGPRsForWavesPerEU: 4
; NumVGPRsForWavesPerEU: 1
; AccumOffset: 4
; Occupancy: 8
; WaveLimiterHint : 0
; COMPUTE_PGM_RSRC2:SCRATCH_EN: 0
; COMPUTE_PGM_RSRC2:USER_SGPR: 6
; COMPUTE_PGM_RSRC2:TRAP_HANDLER: 0
; COMPUTE_PGM_RSRC2:TGID_X_EN: 1
; COMPUTE_PGM_RSRC2:TGID_Y_EN: 0
; COMPUTE_PGM_RSRC2:TGID_Z_EN: 0
; COMPUTE_PGM_RSRC2:TIDIG_COMP_CNT: 0
; COMPUTE_PGM_RSRC3_GFX90A:ACCUM_OFFSET: 0
; COMPUTE_PGM_RSRC3_GFX90A:TG_SPLIT: 0
	.section	.text._ZN7rocprim17ROCPRIM_400000_NS6detail17trampoline_kernelINS0_14default_configENS1_20scan_config_selectorIfEEZZNS1_9scan_implILNS1_25lookback_scan_determinismE0ELb0ELb0ES3_N6thrust23THRUST_200600_302600_NS6detail15normal_iteratorINS9_10device_ptrIfEEEENSB_INSC_IiEEEEfNS9_4plusIvEEfEEDaPvRmT3_T4_T5_mT6_P12ihipStream_tbENKUlT_T0_E_clISt17integral_constantIbLb1EESW_EEDaSR_SS_EUlSR_E_NS1_11comp_targetILNS1_3genE4ELNS1_11target_archE910ELNS1_3gpuE8ELNS1_3repE0EEENS1_30default_config_static_selectorELNS0_4arch9wavefront6targetE1EEEvT1_,"axG",@progbits,_ZN7rocprim17ROCPRIM_400000_NS6detail17trampoline_kernelINS0_14default_configENS1_20scan_config_selectorIfEEZZNS1_9scan_implILNS1_25lookback_scan_determinismE0ELb0ELb0ES3_N6thrust23THRUST_200600_302600_NS6detail15normal_iteratorINS9_10device_ptrIfEEEENSB_INSC_IiEEEEfNS9_4plusIvEEfEEDaPvRmT3_T4_T5_mT6_P12ihipStream_tbENKUlT_T0_E_clISt17integral_constantIbLb1EESW_EEDaSR_SS_EUlSR_E_NS1_11comp_targetILNS1_3genE4ELNS1_11target_archE910ELNS1_3gpuE8ELNS1_3repE0EEENS1_30default_config_static_selectorELNS0_4arch9wavefront6targetE1EEEvT1_,comdat
	.protected	_ZN7rocprim17ROCPRIM_400000_NS6detail17trampoline_kernelINS0_14default_configENS1_20scan_config_selectorIfEEZZNS1_9scan_implILNS1_25lookback_scan_determinismE0ELb0ELb0ES3_N6thrust23THRUST_200600_302600_NS6detail15normal_iteratorINS9_10device_ptrIfEEEENSB_INSC_IiEEEEfNS9_4plusIvEEfEEDaPvRmT3_T4_T5_mT6_P12ihipStream_tbENKUlT_T0_E_clISt17integral_constantIbLb1EESW_EEDaSR_SS_EUlSR_E_NS1_11comp_targetILNS1_3genE4ELNS1_11target_archE910ELNS1_3gpuE8ELNS1_3repE0EEENS1_30default_config_static_selectorELNS0_4arch9wavefront6targetE1EEEvT1_ ; -- Begin function _ZN7rocprim17ROCPRIM_400000_NS6detail17trampoline_kernelINS0_14default_configENS1_20scan_config_selectorIfEEZZNS1_9scan_implILNS1_25lookback_scan_determinismE0ELb0ELb0ES3_N6thrust23THRUST_200600_302600_NS6detail15normal_iteratorINS9_10device_ptrIfEEEENSB_INSC_IiEEEEfNS9_4plusIvEEfEEDaPvRmT3_T4_T5_mT6_P12ihipStream_tbENKUlT_T0_E_clISt17integral_constantIbLb1EESW_EEDaSR_SS_EUlSR_E_NS1_11comp_targetILNS1_3genE4ELNS1_11target_archE910ELNS1_3gpuE8ELNS1_3repE0EEENS1_30default_config_static_selectorELNS0_4arch9wavefront6targetE1EEEvT1_
	.globl	_ZN7rocprim17ROCPRIM_400000_NS6detail17trampoline_kernelINS0_14default_configENS1_20scan_config_selectorIfEEZZNS1_9scan_implILNS1_25lookback_scan_determinismE0ELb0ELb0ES3_N6thrust23THRUST_200600_302600_NS6detail15normal_iteratorINS9_10device_ptrIfEEEENSB_INSC_IiEEEEfNS9_4plusIvEEfEEDaPvRmT3_T4_T5_mT6_P12ihipStream_tbENKUlT_T0_E_clISt17integral_constantIbLb1EESW_EEDaSR_SS_EUlSR_E_NS1_11comp_targetILNS1_3genE4ELNS1_11target_archE910ELNS1_3gpuE8ELNS1_3repE0EEENS1_30default_config_static_selectorELNS0_4arch9wavefront6targetE1EEEvT1_
	.p2align	8
	.type	_ZN7rocprim17ROCPRIM_400000_NS6detail17trampoline_kernelINS0_14default_configENS1_20scan_config_selectorIfEEZZNS1_9scan_implILNS1_25lookback_scan_determinismE0ELb0ELb0ES3_N6thrust23THRUST_200600_302600_NS6detail15normal_iteratorINS9_10device_ptrIfEEEENSB_INSC_IiEEEEfNS9_4plusIvEEfEEDaPvRmT3_T4_T5_mT6_P12ihipStream_tbENKUlT_T0_E_clISt17integral_constantIbLb1EESW_EEDaSR_SS_EUlSR_E_NS1_11comp_targetILNS1_3genE4ELNS1_11target_archE910ELNS1_3gpuE8ELNS1_3repE0EEENS1_30default_config_static_selectorELNS0_4arch9wavefront6targetE1EEEvT1_,@function
_ZN7rocprim17ROCPRIM_400000_NS6detail17trampoline_kernelINS0_14default_configENS1_20scan_config_selectorIfEEZZNS1_9scan_implILNS1_25lookback_scan_determinismE0ELb0ELb0ES3_N6thrust23THRUST_200600_302600_NS6detail15normal_iteratorINS9_10device_ptrIfEEEENSB_INSC_IiEEEEfNS9_4plusIvEEfEEDaPvRmT3_T4_T5_mT6_P12ihipStream_tbENKUlT_T0_E_clISt17integral_constantIbLb1EESW_EEDaSR_SS_EUlSR_E_NS1_11comp_targetILNS1_3genE4ELNS1_11target_archE910ELNS1_3gpuE8ELNS1_3repE0EEENS1_30default_config_static_selectorELNS0_4arch9wavefront6targetE1EEEvT1_: ; @_ZN7rocprim17ROCPRIM_400000_NS6detail17trampoline_kernelINS0_14default_configENS1_20scan_config_selectorIfEEZZNS1_9scan_implILNS1_25lookback_scan_determinismE0ELb0ELb0ES3_N6thrust23THRUST_200600_302600_NS6detail15normal_iteratorINS9_10device_ptrIfEEEENSB_INSC_IiEEEEfNS9_4plusIvEEfEEDaPvRmT3_T4_T5_mT6_P12ihipStream_tbENKUlT_T0_E_clISt17integral_constantIbLb1EESW_EEDaSR_SS_EUlSR_E_NS1_11comp_targetILNS1_3genE4ELNS1_11target_archE910ELNS1_3gpuE8ELNS1_3repE0EEENS1_30default_config_static_selectorELNS0_4arch9wavefront6targetE1EEEvT1_
; %bb.0:
	s_load_dwordx2 s[14:15], s[4:5], 0x28
	v_cmp_ne_u32_e64 s[0:1], 0, v0
	v_cmp_eq_u32_e64 s[2:3], 0, v0
	s_and_saveexec_b64 s[6:7], s[2:3]
	s_cbranch_execz .LBB1442_4
; %bb.1:
	s_mov_b64 s[10:11], exec
	v_mbcnt_lo_u32_b32 v1, s10, 0
	v_mbcnt_hi_u32_b32 v1, s11, v1
	v_cmp_eq_u32_e32 vcc, 0, v1
                                        ; implicit-def: $vgpr2
	s_and_saveexec_b64 s[8:9], vcc
	s_cbranch_execz .LBB1442_3
; %bb.2:
	s_load_dwordx2 s[12:13], s[4:5], 0x58
	s_bcnt1_i32_b64 s10, s[10:11]
	v_mov_b32_e32 v2, 0
	v_mov_b32_e32 v3, s10
	s_waitcnt lgkmcnt(0)
	global_atomic_add v2, v2, v3, s[12:13] glc
.LBB1442_3:
	s_or_b64 exec, exec, s[8:9]
	s_waitcnt vmcnt(0)
	v_readfirstlane_b32 s8, v2
	v_add_u32_e32 v1, s8, v1
	v_mov_b32_e32 v2, 0
	ds_write_b32 v2, v1
.LBB1442_4:
	s_or_b64 exec, exec, s[6:7]
	s_load_dwordx8 s[24:31], s[4:5], 0x0
	s_load_dword s6, s[4:5], 0x30
	s_load_dwordx8 s[16:23], s[4:5], 0x38
	v_mov_b32_e32 v1, 0
	s_waitcnt lgkmcnt(0)
	s_barrier
	ds_read_b32 v1, v1
	s_lshl_b64 s[26:27], s[26:27], 2
	s_add_u32 s7, s24, s26
	s_addc_u32 s8, s25, s27
	s_add_i32 s6, s6, -1
	s_mul_i32 s9, s6, 0x700
	s_sub_u32 s33, s30, s9
	s_waitcnt lgkmcnt(0)
	v_readfirstlane_b32 s37, v1
	s_subb_u32 s36, s31, 0
	s_mul_i32 s4, s37, 0x700
	s_mov_b32 s5, 0
	s_cmp_lg_u32 s37, s6
	s_cselect_b64 s[24:25], -1, 0
	s_lshl_b64 s[30:31], s[4:5], 2
	s_add_u32 s6, s7, s30
	s_addc_u32 s7, s8, s31
	s_mov_b64 s[4:5], -1
	s_and_b64 vcc, exec, s[24:25]
	v_lshlrev_b32_e32 v32, 2, v0
	s_barrier
	s_cbranch_vccz .LBB1442_6
; %bb.5:
	v_mov_b32_e32 v1, s7
	v_add_co_u32_e32 v2, vcc, s6, v32
	v_addc_co_u32_e32 v3, vcc, 0, v1, vcc
	flat_load_dword v1, v[2:3]
	flat_load_dword v4, v[2:3] offset:512
	flat_load_dword v5, v[2:3] offset:1024
	;; [unrolled: 1-line block ×7, first 2 shown]
	v_add_co_u32_e32 v2, vcc, 0x1000, v2
	v_addc_co_u32_e32 v3, vcc, 0, v3, vcc
	flat_load_dword v11, v[2:3]
	flat_load_dword v12, v[2:3] offset:512
	flat_load_dword v13, v[2:3] offset:1024
	flat_load_dword v14, v[2:3] offset:1536
	flat_load_dword v15, v[2:3] offset:2048
	flat_load_dword v16, v[2:3] offset:2560
	s_mov_b64 s[4:5], 0
	s_waitcnt vmcnt(0) lgkmcnt(0)
	ds_write2st64_b32 v32, v1, v4 offset1:2
	ds_write2st64_b32 v32, v5, v6 offset0:4 offset1:6
	ds_write2st64_b32 v32, v7, v8 offset0:8 offset1:10
	;; [unrolled: 1-line block ×6, first 2 shown]
	s_waitcnt lgkmcnt(0)
	s_barrier
.LBB1442_6:
	s_andn2_b64 vcc, exec, s[4:5]
	v_cmp_gt_u32_e64 s[4:5], s33, v0
	s_cbranch_vccnz .LBB1442_36
; %bb.7:
	v_pk_mov_b32 v[2:3], s[6:7], s[6:7] op_sel:[0,1]
	flat_load_dword v1, v[2:3]
	s_waitcnt vmcnt(0) lgkmcnt(0)
	v_mov_b32_e32 v2, v1
	v_mov_b32_e32 v3, v1
	v_mov_b32_e32 v4, v1
	v_mov_b32_e32 v5, v1
	v_mov_b32_e32 v6, v1
	v_mov_b32_e32 v7, v1
	v_mov_b32_e32 v8, v1
	v_mov_b32_e32 v9, v1
	v_mov_b32_e32 v10, v1
	v_mov_b32_e32 v11, v1
	v_mov_b32_e32 v12, v1
	v_mov_b32_e32 v13, v1
	v_pk_mov_b32 v[16:17], v[14:15], v[14:15] op_sel:[0,1]
	v_pk_mov_b32 v[14:15], v[12:13], v[12:13] op_sel:[0,1]
	v_pk_mov_b32 v[12:13], v[10:11], v[10:11] op_sel:[0,1]
	v_pk_mov_b32 v[10:11], v[8:9], v[8:9] op_sel:[0,1]
	v_pk_mov_b32 v[8:9], v[6:7], v[6:7] op_sel:[0,1]
	v_pk_mov_b32 v[6:7], v[4:5], v[4:5] op_sel:[0,1]
	v_pk_mov_b32 v[4:5], v[2:3], v[2:3] op_sel:[0,1]
	v_pk_mov_b32 v[2:3], v[0:1], v[0:1] op_sel:[0,1]
	s_and_saveexec_b64 s[8:9], s[4:5]
	s_cbranch_execz .LBB1442_9
; %bb.8:
	v_mov_b32_e32 v3, s7
	v_add_co_u32_e32 v2, vcc, s6, v32
	v_addc_co_u32_e32 v3, vcc, 0, v3, vcc
	flat_load_dword v18, v[2:3]
	v_mov_b32_e32 v2, v1
	v_mov_b32_e32 v3, v1
	;; [unrolled: 1-line block ×12, first 2 shown]
	v_pk_mov_b32 v[16:17], v[14:15], v[14:15] op_sel:[0,1]
	v_pk_mov_b32 v[14:15], v[12:13], v[12:13] op_sel:[0,1]
	;; [unrolled: 1-line block ×8, first 2 shown]
	s_waitcnt vmcnt(0) lgkmcnt(0)
	v_mov_b32_e32 v1, v18
.LBB1442_9:
	s_or_b64 exec, exec, s[8:9]
	v_or_b32_e32 v2, 0x80, v0
	v_cmp_gt_u32_e32 vcc, s33, v2
	s_and_saveexec_b64 s[4:5], vcc
	s_cbranch_execz .LBB1442_11
; %bb.10:
	v_mov_b32_e32 v3, s7
	v_add_co_u32_e32 v2, vcc, s6, v32
	v_addc_co_u32_e32 v3, vcc, 0, v3, vcc
	flat_load_dword v3, v[2:3] offset:512
.LBB1442_11:
	s_or_b64 exec, exec, s[4:5]
	v_or_b32_e32 v2, 0x100, v0
	v_cmp_gt_u32_e32 vcc, s33, v2
	s_and_saveexec_b64 s[4:5], vcc
	s_cbranch_execz .LBB1442_13
; %bb.12:
	v_mov_b32_e32 v2, s7
	v_add_co_u32_e32 v16, vcc, s6, v32
	v_addc_co_u32_e32 v17, vcc, 0, v2, vcc
	flat_load_dword v4, v[16:17] offset:1024
.LBB1442_13:
	;; [unrolled: 11-line block ×7, first 2 shown]
	s_or_b64 exec, exec, s[4:5]
	v_or_b32_e32 v2, 0x400, v0
	v_cmp_gt_u32_e32 vcc, s33, v2
	s_and_saveexec_b64 s[4:5], vcc
	s_cbranch_execz .LBB1442_25
; %bb.24:
	v_lshlrev_b32_e32 v2, 2, v2
	v_mov_b32_e32 v10, s7
	v_add_co_u32_e32 v16, vcc, s6, v2
	v_addc_co_u32_e32 v17, vcc, 0, v10, vcc
	flat_load_dword v10, v[16:17]
.LBB1442_25:
	s_or_b64 exec, exec, s[4:5]
	v_or_b32_e32 v2, 0x480, v0
	v_cmp_gt_u32_e32 vcc, s33, v2
	s_and_saveexec_b64 s[4:5], vcc
	s_cbranch_execz .LBB1442_27
; %bb.26:
	v_lshlrev_b32_e32 v2, 2, v2
	v_mov_b32_e32 v11, s7
	v_add_co_u32_e32 v16, vcc, s6, v2
	v_addc_co_u32_e32 v17, vcc, 0, v11, vcc
	flat_load_dword v11, v[16:17]
.LBB1442_27:
	;; [unrolled: 12-line block ×6, first 2 shown]
	s_or_b64 exec, exec, s[4:5]
	s_waitcnt vmcnt(0) lgkmcnt(0)
	ds_write2st64_b32 v32, v1, v3 offset1:2
	ds_write2st64_b32 v32, v4, v5 offset0:4 offset1:6
	ds_write2st64_b32 v32, v6, v7 offset0:8 offset1:10
	;; [unrolled: 1-line block ×6, first 2 shown]
	s_waitcnt lgkmcnt(0)
	s_barrier
.LBB1442_36:
	v_mul_u32_u24_e32 v33, 14, v0
	v_lshlrev_b32_e32 v34, 2, v33
	ds_read2_b64 v[2:5], v34 offset1:1
	ds_read2_b64 v[26:29], v34 offset0:2 offset1:3
	ds_read2_b64 v[22:25], v34 offset0:4 offset1:5
	ds_read_b64 v[30:31], v34 offset:48
	s_cmp_lg_u32 s37, 0
	v_lshrrev_b32_e32 v1, 5, v0
	v_cmp_gt_u32_e32 vcc, 64, v0
	s_waitcnt lgkmcnt(0)
	s_barrier
	s_cbranch_scc0 .LBB1442_65
; %bb.37:
	v_add_f32_e32 v6, v2, v3
	v_add_f32_e32 v6, v4, v6
	;; [unrolled: 1-line block ×13, first 2 shown]
	v_add_lshl_u32 v6, v1, v0, 2
	ds_write_b32 v6, v16
	s_waitcnt lgkmcnt(0)
	s_barrier
	s_and_saveexec_b64 s[10:11], vcc
	s_cbranch_execz .LBB1442_39
; %bb.38:
	v_lshlrev_b32_e32 v6, 1, v0
	v_lshrrev_b32_e32 v7, 4, v0
	v_add_lshl_u32 v8, v7, v6, 2
	ds_read2_b32 v[6:7], v8 offset1:1
	v_mbcnt_lo_u32_b32 v9, -1, 0
	v_mbcnt_hi_u32_b32 v9, -1, v9
	v_and_b32_e32 v10, 15, v9
	v_cmp_eq_u32_e64 s[4:5], 0, v10
	s_waitcnt lgkmcnt(0)
	v_add_f32_e32 v7, v6, v7
	v_cmp_lt_u32_e64 s[6:7], 3, v10
	v_cmp_lt_u32_e64 s[8:9], 31, v9
	v_mov_b32_dpp v11, v7 row_shr:1 row_mask:0xf bank_mask:0xf
	v_add_f32_e32 v11, v7, v11
	v_cndmask_b32_e64 v7, v11, v7, s[4:5]
	v_cmp_lt_u32_e64 s[4:5], 1, v10
	s_nop 0
	v_mov_b32_dpp v11, v7 row_shr:2 row_mask:0xf bank_mask:0xf
	v_add_f32_e32 v11, v7, v11
	v_cndmask_b32_e64 v11, v7, v11, s[4:5]
	; wave barrier
	s_nop 1
	v_mov_b32_dpp v12, v11 row_shr:4 row_mask:0xf bank_mask:0xf
	v_add_f32_e32 v12, v11, v12
	v_cndmask_b32_e64 v11, v11, v12, s[6:7]
	v_cmp_lt_u32_e64 s[6:7], 7, v10
	s_nop 0
	v_mov_b32_dpp v12, v11 row_shr:8 row_mask:0xf bank_mask:0xf
	v_add_f32_e32 v12, v11, v12
	v_cndmask_b32_e64 v10, v11, v12, s[6:7]
	v_and_b32_e32 v12, 16, v9
	v_cmp_eq_u32_e64 s[6:7], 0, v12
	v_mov_b32_dpp v11, v10 row_bcast:15 row_mask:0xf bank_mask:0xf
	v_add_f32_e32 v11, v10, v11
	v_cndmask_b32_e64 v10, v11, v10, s[6:7]
	v_cmp_lt_u32_e64 s[6:7], 15, v9
	s_or_b64 s[4:5], s[6:7], s[4:5]
	v_mov_b32_dpp v11, v10 row_bcast:31 row_mask:0xf bank_mask:0xf
	v_add_f32_e32 v11, v10, v11
	v_cndmask_b32_e64 v10, v10, v11, s[8:9]
	v_cndmask_b32_e64 v7, v7, v10, s[4:5]
	v_add_u32_e32 v10, -1, v9
	v_and_b32_e32 v11, 64, v9
	v_cmp_lt_i32_e64 s[4:5], v10, v11
	v_cndmask_b32_e64 v9, v10, v9, s[4:5]
	v_lshlrev_b32_e32 v9, 2, v9
	ds_bpermute_b32 v7, v9, v7
	s_waitcnt lgkmcnt(0)
	v_add_f32_e32 v6, v6, v7
	v_cndmask_b32_e64 v6, v6, v16, s[2:3]
	ds_write_b32 v8, v6
	; wave barrier
	ds_read_b32 v7, v8 offset:4
	s_waitcnt lgkmcnt(0)
	v_add_f32_e32 v6, v6, v7
	ds_write_b32 v8, v6 offset:4
.LBB1442_39:
	s_or_b64 exec, exec, s[10:11]
	s_waitcnt lgkmcnt(0)
	s_barrier
	s_and_saveexec_b64 s[4:5], s[0:1]
	s_cbranch_execz .LBB1442_41
; %bb.40:
	v_add_u32_e32 v6, -1, v0
	v_lshrrev_b32_e32 v7, 5, v6
	v_add_lshl_u32 v6, v7, v6, 2
	ds_read_b32 v16, v6
.LBB1442_41:
	s_or_b64 exec, exec, s[4:5]
	s_and_saveexec_b64 s[34:35], vcc
	s_cbranch_execz .LBB1442_64
; %bb.42:
	v_mov_b32_e32 v15, 0
	ds_read_b32 v6, v15 offset:520
	v_mbcnt_lo_u32_b32 v7, -1, 0
	v_mbcnt_hi_u32_b32 v9, -1, v7
	s_mov_b32 s9, 0
	v_cmp_eq_u32_e64 s[4:5], 0, v9
	s_and_saveexec_b64 s[6:7], s[4:5]
	s_cbranch_execz .LBB1442_44
; %bb.43:
	s_add_i32 s8, s37, 64
	s_lshl_b64 s[8:9], s[8:9], 3
	s_add_u32 s8, s14, s8
	v_mov_b32_e32 v7, 1
	s_addc_u32 s9, s15, s9
	s_waitcnt lgkmcnt(0)
	global_store_dwordx2 v15, v[6:7], s[8:9]
.LBB1442_44:
	s_or_b64 exec, exec, s[6:7]
	v_xad_u32 v8, v9, -1, s37
	v_add_u32_e32 v14, 64, v8
	v_lshlrev_b64 v[10:11], 3, v[14:15]
	v_mov_b32_e32 v7, s15
	v_add_co_u32_e32 v10, vcc, s14, v10
	v_addc_co_u32_e32 v11, vcc, v7, v11, vcc
	global_load_dwordx2 v[12:13], v[10:11], off glc
	s_waitcnt vmcnt(0)
	v_cmp_eq_u16_sdwa s[8:9], v13, v15 src0_sel:BYTE_0 src1_sel:DWORD
	s_and_saveexec_b64 s[6:7], s[8:9]
	s_cbranch_execz .LBB1442_50
; %bb.45:
	s_mov_b32 s10, 1
	s_mov_b64 s[8:9], 0
	v_mov_b32_e32 v7, 0
.LBB1442_46:                            ; =>This Loop Header: Depth=1
                                        ;     Child Loop BB1442_47 Depth 2
	s_max_u32 s11, s10, 1
.LBB1442_47:                            ;   Parent Loop BB1442_46 Depth=1
                                        ; =>  This Inner Loop Header: Depth=2
	s_add_i32 s11, s11, -1
	s_cmp_eq_u32 s11, 0
	s_sleep 1
	s_cbranch_scc0 .LBB1442_47
; %bb.48:                               ;   in Loop: Header=BB1442_46 Depth=1
	global_load_dwordx2 v[12:13], v[10:11], off glc
	s_cmp_lt_u32 s10, 32
	s_cselect_b64 s[12:13], -1, 0
	s_cmp_lg_u64 s[12:13], 0
	s_addc_u32 s10, s10, 0
	s_waitcnt vmcnt(0)
	v_cmp_ne_u16_sdwa s[12:13], v13, v7 src0_sel:BYTE_0 src1_sel:DWORD
	s_or_b64 s[8:9], s[12:13], s[8:9]
	s_andn2_b64 exec, exec, s[8:9]
	s_cbranch_execnz .LBB1442_46
; %bb.49:
	s_or_b64 exec, exec, s[8:9]
.LBB1442_50:
	s_or_b64 exec, exec, s[6:7]
	v_and_b32_e32 v17, 63, v9
	v_cmp_ne_u32_e32 vcc, 63, v17
	v_addc_co_u32_e32 v18, vcc, 0, v9, vcc
	v_mov_b32_e32 v7, 2
	v_lshlrev_b32_e32 v18, 2, v18
	v_cmp_eq_u16_sdwa s[6:7], v13, v7 src0_sel:BYTE_0 src1_sel:DWORD
	v_lshlrev_b64 v[10:11], v9, -1
	ds_bpermute_b32 v19, v18, v12
	v_and_b32_e32 v14, s7, v11
	v_or_b32_e32 v14, 0x80000000, v14
	v_and_b32_e32 v15, s6, v10
	v_ffbl_b32_e32 v14, v14
	v_add_u32_e32 v14, 32, v14
	v_ffbl_b32_e32 v15, v15
	v_cmp_gt_u32_e64 s[6:7], 62, v17
	v_min_u32_e32 v14, v15, v14
	s_waitcnt lgkmcnt(0)
	v_add_f32_e32 v15, v12, v19
	v_cndmask_b32_e64 v19, 0, 1, s[6:7]
	v_cmp_lt_u32_e32 vcc, v17, v14
	v_lshlrev_b32_e32 v19, 1, v19
	v_cndmask_b32_e32 v15, v12, v15, vcc
	v_add_lshl_u32 v19, v19, v9, 2
	ds_bpermute_b32 v21, v19, v15
	v_add_u32_e32 v20, 2, v17
	v_cmp_gt_u32_e64 s[6:7], v20, v14
	v_cmp_gt_u32_e64 s[8:9], 56, v17
	v_add_u32_e32 v35, 4, v17
	s_waitcnt lgkmcnt(0)
	v_add_f32_e32 v21, v15, v21
	v_cndmask_b32_e64 v15, v21, v15, s[6:7]
	v_cmp_gt_u32_e64 s[6:7], 60, v17
	v_cndmask_b32_e64 v21, 0, 1, s[6:7]
	v_lshlrev_b32_e32 v21, 2, v21
	v_add_lshl_u32 v21, v21, v9, 2
	ds_bpermute_b32 v36, v21, v15
	v_cmp_gt_u32_e64 s[6:7], v35, v14
	v_add_u32_e32 v37, 8, v17
	v_cmp_gt_u32_e64 s[10:11], 48, v17
	v_cmp_gt_u32_e64 s[12:13], 32, v17
	s_waitcnt lgkmcnt(0)
	v_add_f32_e32 v40, v15, v36
	v_cndmask_b32_e64 v36, 0, 1, s[8:9]
	v_lshlrev_b32_e32 v36, 3, v36
	v_cndmask_b32_e64 v38, v40, v15, s[6:7]
	v_add_lshl_u32 v36, v36, v9, 2
	ds_bpermute_b32 v39, v36, v38
	v_cmp_gt_u32_e64 s[8:9], v37, v14
	v_cndmask_b32_e32 v12, v12, v15, vcc
	v_cndmask_b32_e64 v12, v40, v12, s[6:7]
	s_waitcnt lgkmcnt(0)
	v_add_f32_e32 v43, v38, v39
	v_cndmask_b32_e64 v41, v43, v38, s[8:9]
	v_cndmask_b32_e64 v38, 0, 1, s[10:11]
	v_lshlrev_b32_e32 v38, 4, v38
	v_add_lshl_u32 v38, v38, v9, 2
	ds_bpermute_b32 v42, v38, v41
	v_add_u32_e32 v39, 16, v17
	v_cmp_gt_u32_e64 s[10:11], v39, v14
	v_cndmask_b32_e64 v12, v43, v12, s[8:9]
	s_waitcnt lgkmcnt(0)
	v_add_f32_e32 v44, v41, v42
	v_cndmask_b32_e64 v45, v44, v41, s[10:11]
	v_cndmask_b32_e64 v41, 0, 1, s[12:13]
	v_lshlrev_b32_e32 v41, 5, v41
	v_add_lshl_u32 v41, v41, v9, 2
	ds_bpermute_b32 v9, v41, v45
	v_add_u32_e32 v42, 32, v17
	v_cndmask_b32_e64 v12, v44, v12, s[10:11]
	v_cmp_gt_u32_e32 vcc, v42, v14
	s_waitcnt lgkmcnt(0)
	v_add_f32_e32 v9, v45, v9
	v_cndmask_b32_e32 v12, v9, v12, vcc
	v_mov_b32_e32 v9, 0
	s_branch .LBB1442_52
.LBB1442_51:                            ;   in Loop: Header=BB1442_52 Depth=1
	s_or_b64 exec, exec, s[6:7]
	v_cmp_eq_u16_sdwa s[6:7], v13, v7 src0_sel:BYTE_0 src1_sel:DWORD
	v_and_b32_e32 v14, s7, v11
	ds_bpermute_b32 v43, v18, v12
	v_or_b32_e32 v14, 0x80000000, v14
	v_and_b32_e32 v15, s6, v10
	v_ffbl_b32_e32 v14, v14
	v_add_u32_e32 v14, 32, v14
	v_ffbl_b32_e32 v15, v15
	v_min_u32_e32 v14, v15, v14
	s_waitcnt lgkmcnt(0)
	v_add_f32_e32 v15, v12, v43
	v_cmp_lt_u32_e32 vcc, v17, v14
	v_cndmask_b32_e32 v15, v12, v15, vcc
	ds_bpermute_b32 v43, v19, v15
	v_cmp_gt_u32_e64 s[6:7], v20, v14
	v_cmp_gt_u32_e64 s[8:9], v37, v14
	;; [unrolled: 1-line block ×3, first 2 shown]
	v_subrev_u32_e32 v8, 64, v8
	s_waitcnt lgkmcnt(0)
	v_add_f32_e32 v43, v15, v43
	v_cndmask_b32_e64 v15, v43, v15, s[6:7]
	ds_bpermute_b32 v43, v21, v15
	v_cmp_gt_u32_e64 s[6:7], v35, v14
	v_cndmask_b32_e32 v12, v12, v15, vcc
	v_cmp_gt_u32_e32 vcc, v42, v14
	s_waitcnt lgkmcnt(0)
	v_add_f32_e32 v43, v15, v43
	v_cndmask_b32_e64 v44, v43, v15, s[6:7]
	ds_bpermute_b32 v45, v36, v44
	v_cndmask_b32_e64 v12, v43, v12, s[6:7]
	s_waitcnt lgkmcnt(0)
	v_add_f32_e32 v45, v44, v45
	v_cndmask_b32_e64 v44, v45, v44, s[8:9]
	ds_bpermute_b32 v46, v38, v44
	v_cndmask_b32_e64 v12, v45, v12, s[8:9]
	;; [unrolled: 5-line block ×3, first 2 shown]
	s_waitcnt lgkmcnt(0)
	v_add_f32_e32 v15, v44, v47
	v_cndmask_b32_e32 v12, v15, v12, vcc
	v_add_f32_e32 v12, v40, v12
.LBB1442_52:                            ; =>This Loop Header: Depth=1
                                        ;     Child Loop BB1442_55 Depth 2
                                        ;       Child Loop BB1442_56 Depth 3
	v_cmp_ne_u16_sdwa s[6:7], v13, v7 src0_sel:BYTE_0 src1_sel:DWORD
	v_cndmask_b32_e64 v13, 0, 1, s[6:7]
	;;#ASMSTART
	;;#ASMEND
	v_cmp_ne_u32_e32 vcc, 0, v13
	s_cmp_lg_u64 vcc, exec
	v_mov_b32_e32 v40, v12
	s_cbranch_scc1 .LBB1442_59
; %bb.53:                               ;   in Loop: Header=BB1442_52 Depth=1
	v_lshlrev_b64 v[12:13], 3, v[8:9]
	v_mov_b32_e32 v15, s15
	v_add_co_u32_e32 v14, vcc, s14, v12
	v_addc_co_u32_e32 v15, vcc, v15, v13, vcc
	global_load_dwordx2 v[12:13], v[14:15], off glc
	s_waitcnt vmcnt(0)
	v_cmp_eq_u16_sdwa s[8:9], v13, v9 src0_sel:BYTE_0 src1_sel:DWORD
	s_and_saveexec_b64 s[6:7], s[8:9]
	s_cbranch_execz .LBB1442_51
; %bb.54:                               ;   in Loop: Header=BB1442_52 Depth=1
	s_mov_b32 s10, 1
	s_mov_b64 s[8:9], 0
.LBB1442_55:                            ;   Parent Loop BB1442_52 Depth=1
                                        ; =>  This Loop Header: Depth=2
                                        ;       Child Loop BB1442_56 Depth 3
	s_max_u32 s11, s10, 1
.LBB1442_56:                            ;   Parent Loop BB1442_52 Depth=1
                                        ;     Parent Loop BB1442_55 Depth=2
                                        ; =>    This Inner Loop Header: Depth=3
	s_add_i32 s11, s11, -1
	s_cmp_eq_u32 s11, 0
	s_sleep 1
	s_cbranch_scc0 .LBB1442_56
; %bb.57:                               ;   in Loop: Header=BB1442_55 Depth=2
	global_load_dwordx2 v[12:13], v[14:15], off glc
	s_cmp_lt_u32 s10, 32
	s_cselect_b64 s[12:13], -1, 0
	s_cmp_lg_u64 s[12:13], 0
	s_addc_u32 s10, s10, 0
	s_waitcnt vmcnt(0)
	v_cmp_ne_u16_sdwa s[12:13], v13, v9 src0_sel:BYTE_0 src1_sel:DWORD
	s_or_b64 s[8:9], s[12:13], s[8:9]
	s_andn2_b64 exec, exec, s[8:9]
	s_cbranch_execnz .LBB1442_55
; %bb.58:                               ;   in Loop: Header=BB1442_52 Depth=1
	s_or_b64 exec, exec, s[8:9]
	s_branch .LBB1442_51
.LBB1442_59:                            ;   in Loop: Header=BB1442_52 Depth=1
                                        ; implicit-def: $vgpr12
                                        ; implicit-def: $vgpr13
	s_cbranch_execz .LBB1442_52
; %bb.60:
	s_and_saveexec_b64 s[6:7], s[4:5]
	s_cbranch_execz .LBB1442_62
; %bb.61:
	s_add_i32 s4, s37, 64
	s_mov_b32 s5, 0
	s_lshl_b64 s[4:5], s[4:5], 3
	s_add_u32 s4, s14, s4
	v_add_f32_e32 v6, v6, v40
	v_mov_b32_e32 v7, 2
	s_addc_u32 s5, s15, s5
	v_mov_b32_e32 v8, 0
	global_store_dwordx2 v8, v[6:7], s[4:5]
.LBB1442_62:
	s_or_b64 exec, exec, s[6:7]
	s_and_b64 exec, exec, s[2:3]
	s_cbranch_execz .LBB1442_64
; %bb.63:
	v_mov_b32_e32 v6, 0
	ds_write_b32 v6, v40
.LBB1442_64:
	s_or_b64 exec, exec, s[34:35]
	v_mov_b32_e32 v6, 0
	s_waitcnt lgkmcnt(0)
	s_barrier
	ds_read_b32 v6, v6
	v_add_f32_e32 v7, v2, v16
	v_cndmask_b32_e64 v7, v7, v2, s[2:3]
	s_waitcnt lgkmcnt(0)
	v_add_f32_e32 v6, v7, v6
	v_add_f32_e32 v7, v3, v6
	v_add_f32_e32 v8, v4, v7
	v_add_f32_e32 v9, v5, v8
	v_add_f32_e32 v10, v26, v9
	v_add_f32_e32 v11, v27, v10
	v_add_f32_e32 v12, v28, v11
	v_add_f32_e32 v13, v29, v12
	v_add_f32_e32 v14, v22, v13
	v_add_f32_e32 v15, v23, v14
	v_add_f32_e32 v16, v24, v15
	v_add_f32_e32 v17, v25, v16
	v_add_f32_e32 v18, v30, v17
	v_add_f32_e32 v19, v31, v18
	s_branch .LBB1442_77
.LBB1442_65:
                                        ; implicit-def: $vgpr6_vgpr7_vgpr8_vgpr9_vgpr10_vgpr11_vgpr12_vgpr13_vgpr14_vgpr15_vgpr16_vgpr17_vgpr18_vgpr19_vgpr20_vgpr21
	s_cbranch_execz .LBB1442_77
; %bb.66:
	s_cmp_lg_u64 s[20:21], 0
	s_cselect_b64 s[4:5], -1, 0
	s_and_b64 s[6:7], s[2:3], s[4:5]
	s_and_saveexec_b64 s[4:5], s[6:7]
	s_cbranch_execz .LBB1442_68
; %bb.67:
	v_mov_b32_e32 v6, 0
	global_load_dword v6, v6, s[16:17]
	s_waitcnt vmcnt(0)
	v_add_f32_e32 v2, v2, v6
.LBB1442_68:
	s_or_b64 exec, exec, s[4:5]
	v_add_f32_e32 v16, v2, v3
	v_add_f32_e32 v17, v4, v16
	;; [unrolled: 1-line block ×13, first 2 shown]
	v_add_lshl_u32 v1, v1, v0, 2
	v_cmp_gt_u32_e32 vcc, 64, v0
	ds_write_b32 v1, v15
	s_waitcnt lgkmcnt(0)
	s_barrier
	s_and_saveexec_b64 s[8:9], vcc
	s_cbranch_execz .LBB1442_70
; %bb.69:
	v_lshlrev_b32_e32 v1, 1, v0
	v_lshrrev_b32_e32 v19, 4, v0
	v_add_lshl_u32 v1, v19, v1, 2
	ds_read2_b32 v[20:21], v1 offset1:1
	v_mbcnt_lo_u32_b32 v19, -1, 0
	v_mbcnt_hi_u32_b32 v19, -1, v19
	v_and_b32_e32 v35, 15, v19
	v_cmp_eq_u32_e32 vcc, 0, v35
	s_waitcnt lgkmcnt(0)
	v_add_f32_e32 v21, v20, v21
	v_cmp_lt_u32_e64 s[4:5], 3, v35
	v_cmp_lt_u32_e64 s[6:7], 31, v19
	v_mov_b32_dpp v36, v21 row_shr:1 row_mask:0xf bank_mask:0xf
	v_add_f32_e32 v36, v21, v36
	v_cndmask_b32_e32 v21, v36, v21, vcc
	v_cmp_lt_u32_e32 vcc, 1, v35
	s_nop 0
	v_mov_b32_dpp v36, v21 row_shr:2 row_mask:0xf bank_mask:0xf
	v_add_f32_e32 v36, v21, v36
	v_cndmask_b32_e32 v36, v21, v36, vcc
	; wave barrier
	s_nop 1
	v_mov_b32_dpp v37, v36 row_shr:4 row_mask:0xf bank_mask:0xf
	v_add_f32_e32 v37, v36, v37
	v_cndmask_b32_e64 v36, v36, v37, s[4:5]
	v_cmp_lt_u32_e64 s[4:5], 7, v35
	s_nop 0
	v_mov_b32_dpp v37, v36 row_shr:8 row_mask:0xf bank_mask:0xf
	v_add_f32_e32 v37, v36, v37
	v_cndmask_b32_e64 v35, v36, v37, s[4:5]
	v_and_b32_e32 v37, 16, v19
	v_cmp_eq_u32_e64 s[4:5], 0, v37
	v_mov_b32_dpp v36, v35 row_bcast:15 row_mask:0xf bank_mask:0xf
	v_add_f32_e32 v36, v35, v36
	v_cndmask_b32_e64 v35, v36, v35, s[4:5]
	v_cmp_lt_u32_e64 s[4:5], 15, v19
	s_or_b64 vcc, s[4:5], vcc
	v_mov_b32_dpp v36, v35 row_bcast:31 row_mask:0xf bank_mask:0xf
	v_add_f32_e32 v36, v35, v36
	v_cndmask_b32_e64 v35, v35, v36, s[6:7]
	v_cndmask_b32_e32 v21, v21, v35, vcc
	v_add_u32_e32 v35, -1, v19
	v_and_b32_e32 v36, 64, v19
	v_cmp_lt_i32_e32 vcc, v35, v36
	v_cndmask_b32_e32 v19, v35, v19, vcc
	v_lshlrev_b32_e32 v19, 2, v19
	ds_bpermute_b32 v19, v19, v21
	s_waitcnt lgkmcnt(0)
	v_add_f32_e32 v19, v20, v19
	v_cndmask_b32_e64 v19, v19, v15, s[2:3]
	ds_write_b32 v1, v19
	; wave barrier
	ds_read_b32 v20, v1 offset:4
	s_waitcnt lgkmcnt(0)
	v_add_f32_e32 v19, v19, v20
	ds_write_b32 v1, v19 offset:4
.LBB1442_70:
	s_or_b64 exec, exec, s[8:9]
	v_mov_b32_e32 v1, v15
	s_waitcnt lgkmcnt(0)
	s_barrier
	s_and_saveexec_b64 s[2:3], s[0:1]
	s_cbranch_execz .LBB1442_72
; %bb.71:
	v_add_u32_e32 v1, -1, v0
	v_lshrrev_b32_e32 v19, 5, v1
	v_add_lshl_u32 v1, v19, v1, 2
	ds_read_b32 v1, v1
.LBB1442_72:
	s_or_b64 exec, exec, s[2:3]
	s_and_saveexec_b64 s[2:3], s[0:1]
	s_cbranch_execz .LBB1442_74
; %bb.73:
	s_waitcnt lgkmcnt(0)
	v_add_f32_e32 v2, v2, v1
	v_add_f32_e32 v16, v3, v2
	;; [unrolled: 1-line block ×14, first 2 shown]
	;;#ASMSTART
	;;#ASMEND
.LBB1442_74:
	s_or_b64 exec, exec, s[2:3]
	s_movk_i32 s0, 0x7f
	v_cmp_eq_u32_e32 vcc, s0, v0
	s_and_saveexec_b64 s[0:1], vcc
	s_cbranch_execz .LBB1442_76
; %bb.75:
	s_waitcnt lgkmcnt(0)
	v_mov_b32_e32 v1, 0
	v_mov_b32_e32 v5, 2
	;; [unrolled: 1-line block ×3, first 2 shown]
	global_store_dwordx2 v1, v[4:5], s[14:15] offset:512
.LBB1442_76:
	s_or_b64 exec, exec, s[0:1]
	v_mov_b32_e32 v3, v16
	v_mov_b32_e32 v4, v17
	;; [unrolled: 1-line block ×3, first 2 shown]
	v_pk_mov_b32 v[20:21], v[16:17], v[16:17] op_sel:[0,1]
	v_pk_mov_b32 v[18:19], v[14:15], v[14:15] op_sel:[0,1]
	;; [unrolled: 1-line block ×8, first 2 shown]
.LBB1442_77:
	s_add_u32 s0, s28, s26
	s_addc_u32 s1, s29, s27
	s_add_u32 s2, s0, s30
	s_addc_u32 s3, s1, s31
	s_mov_b64 s[0:1], -1
	s_and_b64 vcc, exec, s[24:25]
	s_waitcnt lgkmcnt(0)
	s_barrier
	s_cbranch_vccz .LBB1442_79
; %bb.78:
	v_mov_b32_e32 v1, s3
	v_add_co_u32_e32 v30, vcc, s2, v32
	ds_write2_b64 v34, v[6:7], v[8:9] offset1:1
	ds_write2_b64 v34, v[10:11], v[12:13] offset0:2 offset1:3
	ds_write2_b64 v34, v[14:15], v[16:17] offset0:4 offset1:5
	ds_write_b64 v34, v[18:19] offset:48
	s_waitcnt lgkmcnt(0)
	s_barrier
	ds_read2st64_b32 v[2:3], v32 offset1:2
	ds_read2st64_b32 v[4:5], v32 offset0:4 offset1:6
	ds_read2st64_b32 v[20:21], v32 offset0:8 offset1:10
	;; [unrolled: 1-line block ×6, first 2 shown]
	v_addc_co_u32_e32 v31, vcc, 0, v1, vcc
	s_waitcnt lgkmcnt(6)
	v_cvt_i32_f32_e32 v1, v2
	v_cvt_i32_f32_e32 v2, v3
	s_waitcnt lgkmcnt(5)
	v_cvt_i32_f32_e32 v3, v4
	v_cvt_i32_f32_e32 v4, v5
	flat_store_dword v[30:31], v1
	flat_store_dword v[30:31], v2 offset:512
	flat_store_dword v[30:31], v3 offset:1024
	;; [unrolled: 1-line block ×3, first 2 shown]
	s_waitcnt lgkmcnt(0)
	v_cvt_i32_f32_e32 v1, v20
	v_cvt_i32_f32_e32 v2, v21
	;; [unrolled: 1-line block ×4, first 2 shown]
	flat_store_dword v[30:31], v1 offset:2048
	flat_store_dword v[30:31], v2 offset:2560
	;; [unrolled: 1-line block ×4, first 2 shown]
	v_cvt_i32_f32_e32 v1, v24
	s_movk_i32 s0, 0x1000
	v_cvt_i32_f32_e32 v4, v25
	v_add_co_u32_e32 v2, vcc, s0, v30
	v_addc_co_u32_e32 v3, vcc, 0, v31, vcc
	flat_store_dword v[2:3], v1
	flat_store_dword v[2:3], v4 offset:512
	v_cvt_i32_f32_e32 v1, v26
	v_cvt_i32_f32_e32 v4, v27
	;; [unrolled: 1-line block ×4, first 2 shown]
	flat_store_dword v[2:3], v1 offset:1024
	flat_store_dword v[2:3], v4 offset:1536
	;; [unrolled: 1-line block ×4, first 2 shown]
	s_mov_b64 s[0:1], 0
.LBB1442_79:
	s_andn2_b64 vcc, exec, s[0:1]
	s_cbranch_vccnz .LBB1442_159
; %bb.80:
	s_movk_i32 s0, 0xffcc
	ds_write2_b64 v34, v[6:7], v[8:9] offset1:1
	ds_write2_b64 v34, v[10:11], v[12:13] offset0:2 offset1:3
	ds_write2_b64 v34, v[14:15], v[16:17] offset0:4 offset1:5
	ds_write_b64 v34, v[18:19] offset:48
	v_mad_i32_i24 v14, v0, s0, v34
	s_waitcnt lgkmcnt(0)
	s_barrier
	ds_read2st64_b32 v[4:5], v14 offset1:2
	ds_read2st64_b32 v[6:7], v14 offset0:4 offset1:6
	ds_read2st64_b32 v[8:9], v14 offset0:8 offset1:10
	;; [unrolled: 1-line block ×6, first 2 shown]
	v_mov_b32_e32 v17, s3
	v_add_co_u32_e32 v16, vcc, s2, v32
	v_addc_co_u32_e32 v17, vcc, 0, v17, vcc
	v_mov_b32_e32 v1, 0
	v_cmp_gt_u32_e32 vcc, s33, v0
	s_and_saveexec_b64 s[0:1], vcc
	s_cbranch_execz .LBB1442_82
; %bb.81:
	s_waitcnt lgkmcnt(0)
	v_cvt_i32_f32_e32 v18, v4
	flat_store_dword v[16:17], v18
.LBB1442_82:
	s_or_b64 exec, exec, s[0:1]
	v_or_b32_e32 v18, 0x80, v0
	v_cmp_gt_u32_e32 vcc, s33, v18
	s_and_saveexec_b64 s[0:1], vcc
	s_cbranch_execz .LBB1442_84
; %bb.83:
	s_waitcnt lgkmcnt(0)
	v_cvt_i32_f32_e32 v18, v5
	flat_store_dword v[16:17], v18 offset:512
.LBB1442_84:
	s_or_b64 exec, exec, s[0:1]
	v_or_b32_e32 v18, 0x100, v0
	v_cmp_gt_u32_e32 vcc, s33, v18
	s_and_saveexec_b64 s[0:1], vcc
	s_cbranch_execz .LBB1442_86
; %bb.85:
	s_waitcnt lgkmcnt(0)
	v_cvt_i32_f32_e32 v18, v6
	flat_store_dword v[16:17], v18 offset:1024
.LBB1442_86:
	;; [unrolled: 10-line block ×7, first 2 shown]
	s_or_b64 exec, exec, s[0:1]
	v_or_b32_e32 v18, 0x400, v0
	v_cmp_gt_u32_e32 vcc, s33, v18
	s_and_saveexec_b64 s[0:1], vcc
	s_cbranch_execz .LBB1442_98
; %bb.97:
	s_waitcnt lgkmcnt(0)
	v_cvt_i32_f32_e32 v20, v12
	v_add_co_u32_e32 v18, vcc, 0x1000, v16
	v_addc_co_u32_e32 v19, vcc, 0, v17, vcc
	flat_store_dword v[18:19], v20
.LBB1442_98:
	s_or_b64 exec, exec, s[0:1]
	v_or_b32_e32 v18, 0x480, v0
	v_cmp_gt_u32_e32 vcc, s33, v18
	s_and_saveexec_b64 s[0:1], vcc
	s_cbranch_execz .LBB1442_100
; %bb.99:
	s_waitcnt lgkmcnt(0)
	v_cvt_i32_f32_e32 v20, v13
	v_add_co_u32_e32 v18, vcc, 0x1000, v16
	v_addc_co_u32_e32 v19, vcc, 0, v17, vcc
	flat_store_dword v[18:19], v20 offset:512
.LBB1442_100:
	s_or_b64 exec, exec, s[0:1]
	v_or_b32_e32 v18, 0x500, v0
	v_cmp_gt_u32_e32 vcc, s33, v18
	s_and_saveexec_b64 s[0:1], vcc
	s_cbranch_execz .LBB1442_102
; %bb.101:
	s_waitcnt lgkmcnt(0)
	v_cvt_i32_f32_e32 v20, v10
	v_add_co_u32_e32 v18, vcc, 0x1000, v16
	v_addc_co_u32_e32 v19, vcc, 0, v17, vcc
	flat_store_dword v[18:19], v20 offset:1024
.LBB1442_102:
	;; [unrolled: 12-line block ×5, first 2 shown]
	s_or_b64 exec, exec, s[0:1]
	v_cmp_lt_u64_e64 s[0:1], s[22:23], 2
	s_and_b64 vcc, exec, s[0:1]
	s_cbranch_vccnz .LBB1442_159
; %bb.109:
	s_add_u32 s0, s33, -1
	s_addc_u32 s1, s36, -1
	s_add_u32 s2, 0, 0x49240800
	s_addc_u32 s3, 0, 50
	s_add_i32 s3, s3, 0x12492460
	s_mul_hi_u32 s7, s2, -14
	s_sub_i32 s7, s7, s2
	s_mul_i32 s8, s3, -14
	s_mul_i32 s4, s2, -14
	s_add_i32 s7, s7, s8
	s_mul_hi_u32 s5, s3, s4
	s_mul_i32 s6, s3, s4
	s_mul_i32 s9, s2, s7
	s_mul_hi_u32 s4, s2, s4
	s_mul_hi_u32 s8, s2, s7
	s_add_u32 s4, s4, s9
	s_addc_u32 s8, 0, s8
	s_add_u32 s4, s4, s6
	s_mul_hi_u32 s9, s3, s7
	s_addc_u32 s4, s8, s5
	s_addc_u32 s5, s9, 0
	s_mul_i32 s6, s3, s7
	s_add_u32 s4, s4, s6
	v_mov_b32_e32 v16, s4
	s_addc_u32 s5, 0, s5
	v_add_co_u32_e32 v16, vcc, s2, v16
	s_cmp_lg_u64 vcc, 0
	s_addc_u32 s2, s3, s5
	v_readfirstlane_b32 s5, v16
	s_mul_i32 s4, s0, s2
	s_mul_hi_u32 s6, s0, s5
	s_mul_hi_u32 s3, s0, s2
	s_add_u32 s4, s6, s4
	s_addc_u32 s3, 0, s3
	s_mul_hi_u32 s7, s1, s5
	s_mul_i32 s5, s1, s5
	s_add_u32 s4, s4, s5
	s_mul_hi_u32 s6, s1, s2
	s_addc_u32 s3, s3, s7
	s_addc_u32 s4, s6, 0
	s_mul_i32 s2, s1, s2
	s_add_u32 s2, s3, s2
	s_addc_u32 s3, 0, s4
	s_add_u32 s4, s2, 1
	s_addc_u32 s5, s3, 0
	s_add_u32 s6, s2, 2
	s_mul_i32 s8, s3, 14
	s_mul_hi_u32 s9, s2, 14
	s_addc_u32 s7, s3, 0
	s_add_i32 s9, s9, s8
	s_mul_i32 s8, s2, 14
	v_mov_b32_e32 v16, s8
	v_sub_co_u32_e32 v16, vcc, s0, v16
	s_cmp_lg_u64 vcc, 0
	s_subb_u32 s8, s1, s9
	v_subrev_co_u32_e32 v17, vcc, 14, v16
	s_cmp_lg_u64 vcc, 0
	s_subb_u32 s9, s8, 0
	v_readfirstlane_b32 s10, v17
	s_cmp_gt_u32 s10, 13
	s_cselect_b32 s10, -1, 0
	s_cmp_eq_u32 s9, 0
	s_cselect_b32 s9, s10, -1
	s_cmp_lg_u32 s9, 0
	s_cselect_b32 s4, s6, s4
	v_readfirstlane_b32 s6, v16
	s_cselect_b32 s5, s7, s5
	s_cmp_gt_u32 s6, 13
	s_cselect_b32 s6, -1, 0
	s_cmp_eq_u32 s8, 0
	s_cselect_b32 s6, s6, -1
	s_cmp_lg_u32 s6, 0
	s_cselect_b32 s3, s5, s3
	s_cselect_b32 s2, s4, s2
	v_cmp_eq_u64_e32 vcc, s[2:3], v[0:1]
	s_and_saveexec_b64 s[2:3], vcc
	s_cbranch_execz .LBB1442_159
; %bb.110:
	v_mul_hi_u32_u24_e32 v1, 14, v0
	v_mov_b32_e32 v16, s1
	v_sub_co_u32_e32 v0, vcc, s0, v33
	v_subb_co_u32_e32 v1, vcc, v16, v1, vcc
	v_cmp_lt_i64_e32 vcc, 6, v[0:1]
	s_and_saveexec_b64 s[0:1], vcc
	s_xor_b64 s[0:1], exec, s[0:1]
	s_cbranch_execz .LBB1442_136
; %bb.111:
	v_cmp_lt_i64_e32 vcc, 9, v[0:1]
	s_and_saveexec_b64 s[2:3], vcc
	s_xor_b64 s[2:3], exec, s[2:3]
	s_cbranch_execz .LBB1442_125
; %bb.112:
	;; [unrolled: 5-line block ×4, first 2 shown]
	v_mov_b32_e32 v0, 0
	s_waitcnt lgkmcnt(0)
	global_store_dword v0, v15, s[18:19]
                                        ; implicit-def: $vgpr14_vgpr15
.LBB1442_115:
	s_andn2_saveexec_b64 s[6:7], s[6:7]
	s_cbranch_execz .LBB1442_117
; %bb.116:
	v_mov_b32_e32 v0, 0
	s_waitcnt lgkmcnt(0)
	global_store_dword v0, v14, s[18:19]
.LBB1442_117:
	s_or_b64 exec, exec, s[6:7]
                                        ; implicit-def: $vgpr10_vgpr11
                                        ; implicit-def: $vgpr0_vgpr1
.LBB1442_118:
	s_andn2_saveexec_b64 s[4:5], s[4:5]
	s_cbranch_execz .LBB1442_124
; %bb.119:
	v_cmp_lt_i64_e32 vcc, 10, v[0:1]
	s_and_saveexec_b64 s[6:7], vcc
	s_xor_b64 s[6:7], exec, s[6:7]
	s_cbranch_execz .LBB1442_121
; %bb.120:
	v_mov_b32_e32 v0, 0
	s_waitcnt lgkmcnt(0)
	global_store_dword v0, v11, s[18:19]
                                        ; implicit-def: $vgpr10_vgpr11
.LBB1442_121:
	s_andn2_saveexec_b64 s[6:7], s[6:7]
	s_cbranch_execz .LBB1442_123
; %bb.122:
	v_mov_b32_e32 v0, 0
	s_waitcnt lgkmcnt(0)
	global_store_dword v0, v10, s[18:19]
.LBB1442_123:
	s_or_b64 exec, exec, s[6:7]
.LBB1442_124:
	s_or_b64 exec, exec, s[4:5]
                                        ; implicit-def: $vgpr2_vgpr3
                                        ; implicit-def: $vgpr0_vgpr1
                                        ; implicit-def: $vgpr12_vgpr13
.LBB1442_125:
	s_andn2_saveexec_b64 s[2:3], s[2:3]
	s_cbranch_execz .LBB1442_135
; %bb.126:
	v_cmp_lt_i64_e32 vcc, 7, v[0:1]
	s_and_saveexec_b64 s[4:5], vcc
	s_xor_b64 s[4:5], exec, s[4:5]
	s_cbranch_execz .LBB1442_132
; %bb.127:
	v_cmp_lt_i64_e32 vcc, 8, v[0:1]
	s_and_saveexec_b64 s[6:7], vcc
	s_xor_b64 s[6:7], exec, s[6:7]
	s_cbranch_execz .LBB1442_129
; %bb.128:
	v_mov_b32_e32 v0, 0
	s_waitcnt lgkmcnt(0)
	global_store_dword v0, v13, s[18:19]
                                        ; implicit-def: $vgpr12_vgpr13
.LBB1442_129:
	s_andn2_saveexec_b64 s[6:7], s[6:7]
	s_cbranch_execz .LBB1442_131
; %bb.130:
	v_mov_b32_e32 v0, 0
	s_waitcnt lgkmcnt(0)
	global_store_dword v0, v12, s[18:19]
.LBB1442_131:
	s_or_b64 exec, exec, s[6:7]
                                        ; implicit-def: $vgpr2_vgpr3
.LBB1442_132:
	s_andn2_saveexec_b64 s[4:5], s[4:5]
	s_cbranch_execz .LBB1442_134
; %bb.133:
	v_mov_b32_e32 v0, 0
	s_waitcnt lgkmcnt(0)
	global_store_dword v0, v3, s[18:19]
.LBB1442_134:
	s_or_b64 exec, exec, s[4:5]
.LBB1442_135:
	s_or_b64 exec, exec, s[2:3]
                                        ; implicit-def: $vgpr0_vgpr1
                                        ; implicit-def: $vgpr8_vgpr9
                                        ; implicit-def: $vgpr4_vgpr5
                                        ; implicit-def: $vgpr6_vgpr7
                                        ; implicit-def: $vgpr2_vgpr3
.LBB1442_136:
	s_andn2_saveexec_b64 s[0:1], s[0:1]
	s_cbranch_execz .LBB1442_159
; %bb.137:
	v_cmp_lt_i64_e32 vcc, 3, v[0:1]
	s_and_saveexec_b64 s[0:1], vcc
	s_xor_b64 s[0:1], exec, s[0:1]
	s_cbranch_execz .LBB1442_147
; %bb.138:
	v_cmp_lt_i64_e32 vcc, 4, v[0:1]
	s_and_saveexec_b64 s[2:3], vcc
	s_xor_b64 s[2:3], exec, s[2:3]
	;; [unrolled: 5-line block ×3, first 2 shown]
	s_cbranch_execz .LBB1442_141
; %bb.140:
	v_mov_b32_e32 v0, 0
	s_waitcnt lgkmcnt(0)
	global_store_dword v0, v2, s[18:19]
                                        ; implicit-def: $vgpr8_vgpr9
.LBB1442_141:
	s_andn2_saveexec_b64 s[4:5], s[4:5]
	s_cbranch_execz .LBB1442_143
; %bb.142:
	v_mov_b32_e32 v0, 0
	s_waitcnt lgkmcnt(0)
	global_store_dword v0, v9, s[18:19]
.LBB1442_143:
	s_or_b64 exec, exec, s[4:5]
                                        ; implicit-def: $vgpr8_vgpr9
.LBB1442_144:
	s_andn2_saveexec_b64 s[2:3], s[2:3]
	s_cbranch_execz .LBB1442_146
; %bb.145:
	v_mov_b32_e32 v0, 0
	s_waitcnt lgkmcnt(0)
	global_store_dword v0, v8, s[18:19]
.LBB1442_146:
	s_or_b64 exec, exec, s[2:3]
                                        ; implicit-def: $vgpr0_vgpr1
                                        ; implicit-def: $vgpr4_vgpr5
                                        ; implicit-def: $vgpr6_vgpr7
.LBB1442_147:
	s_andn2_saveexec_b64 s[0:1], s[0:1]
	s_cbranch_execz .LBB1442_159
; %bb.148:
	v_cmp_lt_i64_e32 vcc, 1, v[0:1]
	s_and_saveexec_b64 s[0:1], vcc
	s_xor_b64 s[0:1], exec, s[0:1]
	s_cbranch_execz .LBB1442_154
; %bb.149:
	v_cmp_lt_i64_e32 vcc, 2, v[0:1]
	s_and_saveexec_b64 s[2:3], vcc
	s_xor_b64 s[2:3], exec, s[2:3]
	s_cbranch_execz .LBB1442_151
; %bb.150:
	v_mov_b32_e32 v0, 0
	s_waitcnt lgkmcnt(0)
	global_store_dword v0, v7, s[18:19]
                                        ; implicit-def: $vgpr6_vgpr7
.LBB1442_151:
	s_andn2_saveexec_b64 s[2:3], s[2:3]
	s_cbranch_execz .LBB1442_153
; %bb.152:
	v_mov_b32_e32 v0, 0
	s_waitcnt lgkmcnt(0)
	global_store_dword v0, v6, s[18:19]
.LBB1442_153:
	s_or_b64 exec, exec, s[2:3]
                                        ; implicit-def: $vgpr4_vgpr5
                                        ; implicit-def: $vgpr0_vgpr1
.LBB1442_154:
	s_andn2_saveexec_b64 s[0:1], s[0:1]
	s_cbranch_execz .LBB1442_159
; %bb.155:
	v_cmp_ne_u64_e32 vcc, 1, v[0:1]
	s_and_saveexec_b64 s[0:1], vcc
	s_xor_b64 s[0:1], exec, s[0:1]
	s_cbranch_execz .LBB1442_157
; %bb.156:
	v_mov_b32_e32 v0, 0
	s_waitcnt lgkmcnt(0)
	global_store_dword v0, v4, s[18:19]
                                        ; implicit-def: $vgpr4_vgpr5
.LBB1442_157:
	s_andn2_saveexec_b64 s[0:1], s[0:1]
	s_cbranch_execz .LBB1442_159
; %bb.158:
	v_mov_b32_e32 v0, 0
	s_waitcnt lgkmcnt(0)
	global_store_dword v0, v5, s[18:19]
.LBB1442_159:
	s_endpgm
	.section	.rodata,"a",@progbits
	.p2align	6, 0x0
	.amdhsa_kernel _ZN7rocprim17ROCPRIM_400000_NS6detail17trampoline_kernelINS0_14default_configENS1_20scan_config_selectorIfEEZZNS1_9scan_implILNS1_25lookback_scan_determinismE0ELb0ELb0ES3_N6thrust23THRUST_200600_302600_NS6detail15normal_iteratorINS9_10device_ptrIfEEEENSB_INSC_IiEEEEfNS9_4plusIvEEfEEDaPvRmT3_T4_T5_mT6_P12ihipStream_tbENKUlT_T0_E_clISt17integral_constantIbLb1EESW_EEDaSR_SS_EUlSR_E_NS1_11comp_targetILNS1_3genE4ELNS1_11target_archE910ELNS1_3gpuE8ELNS1_3repE0EEENS1_30default_config_static_selectorELNS0_4arch9wavefront6targetE1EEEvT1_
		.amdhsa_group_segment_fixed_size 7168
		.amdhsa_private_segment_fixed_size 0
		.amdhsa_kernarg_size 96
		.amdhsa_user_sgpr_count 6
		.amdhsa_user_sgpr_private_segment_buffer 1
		.amdhsa_user_sgpr_dispatch_ptr 0
		.amdhsa_user_sgpr_queue_ptr 0
		.amdhsa_user_sgpr_kernarg_segment_ptr 1
		.amdhsa_user_sgpr_dispatch_id 0
		.amdhsa_user_sgpr_flat_scratch_init 0
		.amdhsa_user_sgpr_kernarg_preload_length 0
		.amdhsa_user_sgpr_kernarg_preload_offset 0
		.amdhsa_user_sgpr_private_segment_size 0
		.amdhsa_uses_dynamic_stack 0
		.amdhsa_system_sgpr_private_segment_wavefront_offset 0
		.amdhsa_system_sgpr_workgroup_id_x 1
		.amdhsa_system_sgpr_workgroup_id_y 0
		.amdhsa_system_sgpr_workgroup_id_z 0
		.amdhsa_system_sgpr_workgroup_info 0
		.amdhsa_system_vgpr_workitem_id 0
		.amdhsa_next_free_vgpr 48
		.amdhsa_next_free_sgpr 38
		.amdhsa_accum_offset 48
		.amdhsa_reserve_vcc 1
		.amdhsa_reserve_flat_scratch 0
		.amdhsa_float_round_mode_32 0
		.amdhsa_float_round_mode_16_64 0
		.amdhsa_float_denorm_mode_32 3
		.amdhsa_float_denorm_mode_16_64 3
		.amdhsa_dx10_clamp 1
		.amdhsa_ieee_mode 1
		.amdhsa_fp16_overflow 0
		.amdhsa_tg_split 0
		.amdhsa_exception_fp_ieee_invalid_op 0
		.amdhsa_exception_fp_denorm_src 0
		.amdhsa_exception_fp_ieee_div_zero 0
		.amdhsa_exception_fp_ieee_overflow 0
		.amdhsa_exception_fp_ieee_underflow 0
		.amdhsa_exception_fp_ieee_inexact 0
		.amdhsa_exception_int_div_zero 0
	.end_amdhsa_kernel
	.section	.text._ZN7rocprim17ROCPRIM_400000_NS6detail17trampoline_kernelINS0_14default_configENS1_20scan_config_selectorIfEEZZNS1_9scan_implILNS1_25lookback_scan_determinismE0ELb0ELb0ES3_N6thrust23THRUST_200600_302600_NS6detail15normal_iteratorINS9_10device_ptrIfEEEENSB_INSC_IiEEEEfNS9_4plusIvEEfEEDaPvRmT3_T4_T5_mT6_P12ihipStream_tbENKUlT_T0_E_clISt17integral_constantIbLb1EESW_EEDaSR_SS_EUlSR_E_NS1_11comp_targetILNS1_3genE4ELNS1_11target_archE910ELNS1_3gpuE8ELNS1_3repE0EEENS1_30default_config_static_selectorELNS0_4arch9wavefront6targetE1EEEvT1_,"axG",@progbits,_ZN7rocprim17ROCPRIM_400000_NS6detail17trampoline_kernelINS0_14default_configENS1_20scan_config_selectorIfEEZZNS1_9scan_implILNS1_25lookback_scan_determinismE0ELb0ELb0ES3_N6thrust23THRUST_200600_302600_NS6detail15normal_iteratorINS9_10device_ptrIfEEEENSB_INSC_IiEEEEfNS9_4plusIvEEfEEDaPvRmT3_T4_T5_mT6_P12ihipStream_tbENKUlT_T0_E_clISt17integral_constantIbLb1EESW_EEDaSR_SS_EUlSR_E_NS1_11comp_targetILNS1_3genE4ELNS1_11target_archE910ELNS1_3gpuE8ELNS1_3repE0EEENS1_30default_config_static_selectorELNS0_4arch9wavefront6targetE1EEEvT1_,comdat
.Lfunc_end1442:
	.size	_ZN7rocprim17ROCPRIM_400000_NS6detail17trampoline_kernelINS0_14default_configENS1_20scan_config_selectorIfEEZZNS1_9scan_implILNS1_25lookback_scan_determinismE0ELb0ELb0ES3_N6thrust23THRUST_200600_302600_NS6detail15normal_iteratorINS9_10device_ptrIfEEEENSB_INSC_IiEEEEfNS9_4plusIvEEfEEDaPvRmT3_T4_T5_mT6_P12ihipStream_tbENKUlT_T0_E_clISt17integral_constantIbLb1EESW_EEDaSR_SS_EUlSR_E_NS1_11comp_targetILNS1_3genE4ELNS1_11target_archE910ELNS1_3gpuE8ELNS1_3repE0EEENS1_30default_config_static_selectorELNS0_4arch9wavefront6targetE1EEEvT1_, .Lfunc_end1442-_ZN7rocprim17ROCPRIM_400000_NS6detail17trampoline_kernelINS0_14default_configENS1_20scan_config_selectorIfEEZZNS1_9scan_implILNS1_25lookback_scan_determinismE0ELb0ELb0ES3_N6thrust23THRUST_200600_302600_NS6detail15normal_iteratorINS9_10device_ptrIfEEEENSB_INSC_IiEEEEfNS9_4plusIvEEfEEDaPvRmT3_T4_T5_mT6_P12ihipStream_tbENKUlT_T0_E_clISt17integral_constantIbLb1EESW_EEDaSR_SS_EUlSR_E_NS1_11comp_targetILNS1_3genE4ELNS1_11target_archE910ELNS1_3gpuE8ELNS1_3repE0EEENS1_30default_config_static_selectorELNS0_4arch9wavefront6targetE1EEEvT1_
                                        ; -- End function
	.section	.AMDGPU.csdata,"",@progbits
; Kernel info:
; codeLenInByte = 5960
; NumSgprs: 42
; NumVgprs: 48
; NumAgprs: 0
; TotalNumVgprs: 48
; ScratchSize: 0
; MemoryBound: 0
; FloatMode: 240
; IeeeMode: 1
; LDSByteSize: 7168 bytes/workgroup (compile time only)
; SGPRBlocks: 5
; VGPRBlocks: 5
; NumSGPRsForWavesPerEU: 42
; NumVGPRsForWavesPerEU: 48
; AccumOffset: 48
; Occupancy: 5
; WaveLimiterHint : 1
; COMPUTE_PGM_RSRC2:SCRATCH_EN: 0
; COMPUTE_PGM_RSRC2:USER_SGPR: 6
; COMPUTE_PGM_RSRC2:TRAP_HANDLER: 0
; COMPUTE_PGM_RSRC2:TGID_X_EN: 1
; COMPUTE_PGM_RSRC2:TGID_Y_EN: 0
; COMPUTE_PGM_RSRC2:TGID_Z_EN: 0
; COMPUTE_PGM_RSRC2:TIDIG_COMP_CNT: 0
; COMPUTE_PGM_RSRC3_GFX90A:ACCUM_OFFSET: 11
; COMPUTE_PGM_RSRC3_GFX90A:TG_SPLIT: 0
	.section	.text._ZN7rocprim17ROCPRIM_400000_NS6detail17trampoline_kernelINS0_14default_configENS1_20scan_config_selectorIfEEZZNS1_9scan_implILNS1_25lookback_scan_determinismE0ELb0ELb0ES3_N6thrust23THRUST_200600_302600_NS6detail15normal_iteratorINS9_10device_ptrIfEEEENSB_INSC_IiEEEEfNS9_4plusIvEEfEEDaPvRmT3_T4_T5_mT6_P12ihipStream_tbENKUlT_T0_E_clISt17integral_constantIbLb1EESW_EEDaSR_SS_EUlSR_E_NS1_11comp_targetILNS1_3genE3ELNS1_11target_archE908ELNS1_3gpuE7ELNS1_3repE0EEENS1_30default_config_static_selectorELNS0_4arch9wavefront6targetE1EEEvT1_,"axG",@progbits,_ZN7rocprim17ROCPRIM_400000_NS6detail17trampoline_kernelINS0_14default_configENS1_20scan_config_selectorIfEEZZNS1_9scan_implILNS1_25lookback_scan_determinismE0ELb0ELb0ES3_N6thrust23THRUST_200600_302600_NS6detail15normal_iteratorINS9_10device_ptrIfEEEENSB_INSC_IiEEEEfNS9_4plusIvEEfEEDaPvRmT3_T4_T5_mT6_P12ihipStream_tbENKUlT_T0_E_clISt17integral_constantIbLb1EESW_EEDaSR_SS_EUlSR_E_NS1_11comp_targetILNS1_3genE3ELNS1_11target_archE908ELNS1_3gpuE7ELNS1_3repE0EEENS1_30default_config_static_selectorELNS0_4arch9wavefront6targetE1EEEvT1_,comdat
	.protected	_ZN7rocprim17ROCPRIM_400000_NS6detail17trampoline_kernelINS0_14default_configENS1_20scan_config_selectorIfEEZZNS1_9scan_implILNS1_25lookback_scan_determinismE0ELb0ELb0ES3_N6thrust23THRUST_200600_302600_NS6detail15normal_iteratorINS9_10device_ptrIfEEEENSB_INSC_IiEEEEfNS9_4plusIvEEfEEDaPvRmT3_T4_T5_mT6_P12ihipStream_tbENKUlT_T0_E_clISt17integral_constantIbLb1EESW_EEDaSR_SS_EUlSR_E_NS1_11comp_targetILNS1_3genE3ELNS1_11target_archE908ELNS1_3gpuE7ELNS1_3repE0EEENS1_30default_config_static_selectorELNS0_4arch9wavefront6targetE1EEEvT1_ ; -- Begin function _ZN7rocprim17ROCPRIM_400000_NS6detail17trampoline_kernelINS0_14default_configENS1_20scan_config_selectorIfEEZZNS1_9scan_implILNS1_25lookback_scan_determinismE0ELb0ELb0ES3_N6thrust23THRUST_200600_302600_NS6detail15normal_iteratorINS9_10device_ptrIfEEEENSB_INSC_IiEEEEfNS9_4plusIvEEfEEDaPvRmT3_T4_T5_mT6_P12ihipStream_tbENKUlT_T0_E_clISt17integral_constantIbLb1EESW_EEDaSR_SS_EUlSR_E_NS1_11comp_targetILNS1_3genE3ELNS1_11target_archE908ELNS1_3gpuE7ELNS1_3repE0EEENS1_30default_config_static_selectorELNS0_4arch9wavefront6targetE1EEEvT1_
	.globl	_ZN7rocprim17ROCPRIM_400000_NS6detail17trampoline_kernelINS0_14default_configENS1_20scan_config_selectorIfEEZZNS1_9scan_implILNS1_25lookback_scan_determinismE0ELb0ELb0ES3_N6thrust23THRUST_200600_302600_NS6detail15normal_iteratorINS9_10device_ptrIfEEEENSB_INSC_IiEEEEfNS9_4plusIvEEfEEDaPvRmT3_T4_T5_mT6_P12ihipStream_tbENKUlT_T0_E_clISt17integral_constantIbLb1EESW_EEDaSR_SS_EUlSR_E_NS1_11comp_targetILNS1_3genE3ELNS1_11target_archE908ELNS1_3gpuE7ELNS1_3repE0EEENS1_30default_config_static_selectorELNS0_4arch9wavefront6targetE1EEEvT1_
	.p2align	8
	.type	_ZN7rocprim17ROCPRIM_400000_NS6detail17trampoline_kernelINS0_14default_configENS1_20scan_config_selectorIfEEZZNS1_9scan_implILNS1_25lookback_scan_determinismE0ELb0ELb0ES3_N6thrust23THRUST_200600_302600_NS6detail15normal_iteratorINS9_10device_ptrIfEEEENSB_INSC_IiEEEEfNS9_4plusIvEEfEEDaPvRmT3_T4_T5_mT6_P12ihipStream_tbENKUlT_T0_E_clISt17integral_constantIbLb1EESW_EEDaSR_SS_EUlSR_E_NS1_11comp_targetILNS1_3genE3ELNS1_11target_archE908ELNS1_3gpuE7ELNS1_3repE0EEENS1_30default_config_static_selectorELNS0_4arch9wavefront6targetE1EEEvT1_,@function
_ZN7rocprim17ROCPRIM_400000_NS6detail17trampoline_kernelINS0_14default_configENS1_20scan_config_selectorIfEEZZNS1_9scan_implILNS1_25lookback_scan_determinismE0ELb0ELb0ES3_N6thrust23THRUST_200600_302600_NS6detail15normal_iteratorINS9_10device_ptrIfEEEENSB_INSC_IiEEEEfNS9_4plusIvEEfEEDaPvRmT3_T4_T5_mT6_P12ihipStream_tbENKUlT_T0_E_clISt17integral_constantIbLb1EESW_EEDaSR_SS_EUlSR_E_NS1_11comp_targetILNS1_3genE3ELNS1_11target_archE908ELNS1_3gpuE7ELNS1_3repE0EEENS1_30default_config_static_selectorELNS0_4arch9wavefront6targetE1EEEvT1_: ; @_ZN7rocprim17ROCPRIM_400000_NS6detail17trampoline_kernelINS0_14default_configENS1_20scan_config_selectorIfEEZZNS1_9scan_implILNS1_25lookback_scan_determinismE0ELb0ELb0ES3_N6thrust23THRUST_200600_302600_NS6detail15normal_iteratorINS9_10device_ptrIfEEEENSB_INSC_IiEEEEfNS9_4plusIvEEfEEDaPvRmT3_T4_T5_mT6_P12ihipStream_tbENKUlT_T0_E_clISt17integral_constantIbLb1EESW_EEDaSR_SS_EUlSR_E_NS1_11comp_targetILNS1_3genE3ELNS1_11target_archE908ELNS1_3gpuE7ELNS1_3repE0EEENS1_30default_config_static_selectorELNS0_4arch9wavefront6targetE1EEEvT1_
; %bb.0:
	.section	.rodata,"a",@progbits
	.p2align	6, 0x0
	.amdhsa_kernel _ZN7rocprim17ROCPRIM_400000_NS6detail17trampoline_kernelINS0_14default_configENS1_20scan_config_selectorIfEEZZNS1_9scan_implILNS1_25lookback_scan_determinismE0ELb0ELb0ES3_N6thrust23THRUST_200600_302600_NS6detail15normal_iteratorINS9_10device_ptrIfEEEENSB_INSC_IiEEEEfNS9_4plusIvEEfEEDaPvRmT3_T4_T5_mT6_P12ihipStream_tbENKUlT_T0_E_clISt17integral_constantIbLb1EESW_EEDaSR_SS_EUlSR_E_NS1_11comp_targetILNS1_3genE3ELNS1_11target_archE908ELNS1_3gpuE7ELNS1_3repE0EEENS1_30default_config_static_selectorELNS0_4arch9wavefront6targetE1EEEvT1_
		.amdhsa_group_segment_fixed_size 0
		.amdhsa_private_segment_fixed_size 0
		.amdhsa_kernarg_size 96
		.amdhsa_user_sgpr_count 6
		.amdhsa_user_sgpr_private_segment_buffer 1
		.amdhsa_user_sgpr_dispatch_ptr 0
		.amdhsa_user_sgpr_queue_ptr 0
		.amdhsa_user_sgpr_kernarg_segment_ptr 1
		.amdhsa_user_sgpr_dispatch_id 0
		.amdhsa_user_sgpr_flat_scratch_init 0
		.amdhsa_user_sgpr_kernarg_preload_length 0
		.amdhsa_user_sgpr_kernarg_preload_offset 0
		.amdhsa_user_sgpr_private_segment_size 0
		.amdhsa_uses_dynamic_stack 0
		.amdhsa_system_sgpr_private_segment_wavefront_offset 0
		.amdhsa_system_sgpr_workgroup_id_x 1
		.amdhsa_system_sgpr_workgroup_id_y 0
		.amdhsa_system_sgpr_workgroup_id_z 0
		.amdhsa_system_sgpr_workgroup_info 0
		.amdhsa_system_vgpr_workitem_id 0
		.amdhsa_next_free_vgpr 1
		.amdhsa_next_free_sgpr 0
		.amdhsa_accum_offset 4
		.amdhsa_reserve_vcc 0
		.amdhsa_reserve_flat_scratch 0
		.amdhsa_float_round_mode_32 0
		.amdhsa_float_round_mode_16_64 0
		.amdhsa_float_denorm_mode_32 3
		.amdhsa_float_denorm_mode_16_64 3
		.amdhsa_dx10_clamp 1
		.amdhsa_ieee_mode 1
		.amdhsa_fp16_overflow 0
		.amdhsa_tg_split 0
		.amdhsa_exception_fp_ieee_invalid_op 0
		.amdhsa_exception_fp_denorm_src 0
		.amdhsa_exception_fp_ieee_div_zero 0
		.amdhsa_exception_fp_ieee_overflow 0
		.amdhsa_exception_fp_ieee_underflow 0
		.amdhsa_exception_fp_ieee_inexact 0
		.amdhsa_exception_int_div_zero 0
	.end_amdhsa_kernel
	.section	.text._ZN7rocprim17ROCPRIM_400000_NS6detail17trampoline_kernelINS0_14default_configENS1_20scan_config_selectorIfEEZZNS1_9scan_implILNS1_25lookback_scan_determinismE0ELb0ELb0ES3_N6thrust23THRUST_200600_302600_NS6detail15normal_iteratorINS9_10device_ptrIfEEEENSB_INSC_IiEEEEfNS9_4plusIvEEfEEDaPvRmT3_T4_T5_mT6_P12ihipStream_tbENKUlT_T0_E_clISt17integral_constantIbLb1EESW_EEDaSR_SS_EUlSR_E_NS1_11comp_targetILNS1_3genE3ELNS1_11target_archE908ELNS1_3gpuE7ELNS1_3repE0EEENS1_30default_config_static_selectorELNS0_4arch9wavefront6targetE1EEEvT1_,"axG",@progbits,_ZN7rocprim17ROCPRIM_400000_NS6detail17trampoline_kernelINS0_14default_configENS1_20scan_config_selectorIfEEZZNS1_9scan_implILNS1_25lookback_scan_determinismE0ELb0ELb0ES3_N6thrust23THRUST_200600_302600_NS6detail15normal_iteratorINS9_10device_ptrIfEEEENSB_INSC_IiEEEEfNS9_4plusIvEEfEEDaPvRmT3_T4_T5_mT6_P12ihipStream_tbENKUlT_T0_E_clISt17integral_constantIbLb1EESW_EEDaSR_SS_EUlSR_E_NS1_11comp_targetILNS1_3genE3ELNS1_11target_archE908ELNS1_3gpuE7ELNS1_3repE0EEENS1_30default_config_static_selectorELNS0_4arch9wavefront6targetE1EEEvT1_,comdat
.Lfunc_end1443:
	.size	_ZN7rocprim17ROCPRIM_400000_NS6detail17trampoline_kernelINS0_14default_configENS1_20scan_config_selectorIfEEZZNS1_9scan_implILNS1_25lookback_scan_determinismE0ELb0ELb0ES3_N6thrust23THRUST_200600_302600_NS6detail15normal_iteratorINS9_10device_ptrIfEEEENSB_INSC_IiEEEEfNS9_4plusIvEEfEEDaPvRmT3_T4_T5_mT6_P12ihipStream_tbENKUlT_T0_E_clISt17integral_constantIbLb1EESW_EEDaSR_SS_EUlSR_E_NS1_11comp_targetILNS1_3genE3ELNS1_11target_archE908ELNS1_3gpuE7ELNS1_3repE0EEENS1_30default_config_static_selectorELNS0_4arch9wavefront6targetE1EEEvT1_, .Lfunc_end1443-_ZN7rocprim17ROCPRIM_400000_NS6detail17trampoline_kernelINS0_14default_configENS1_20scan_config_selectorIfEEZZNS1_9scan_implILNS1_25lookback_scan_determinismE0ELb0ELb0ES3_N6thrust23THRUST_200600_302600_NS6detail15normal_iteratorINS9_10device_ptrIfEEEENSB_INSC_IiEEEEfNS9_4plusIvEEfEEDaPvRmT3_T4_T5_mT6_P12ihipStream_tbENKUlT_T0_E_clISt17integral_constantIbLb1EESW_EEDaSR_SS_EUlSR_E_NS1_11comp_targetILNS1_3genE3ELNS1_11target_archE908ELNS1_3gpuE7ELNS1_3repE0EEENS1_30default_config_static_selectorELNS0_4arch9wavefront6targetE1EEEvT1_
                                        ; -- End function
	.section	.AMDGPU.csdata,"",@progbits
; Kernel info:
; codeLenInByte = 0
; NumSgprs: 4
; NumVgprs: 0
; NumAgprs: 0
; TotalNumVgprs: 0
; ScratchSize: 0
; MemoryBound: 0
; FloatMode: 240
; IeeeMode: 1
; LDSByteSize: 0 bytes/workgroup (compile time only)
; SGPRBlocks: 0
; VGPRBlocks: 0
; NumSGPRsForWavesPerEU: 4
; NumVGPRsForWavesPerEU: 1
; AccumOffset: 4
; Occupancy: 8
; WaveLimiterHint : 0
; COMPUTE_PGM_RSRC2:SCRATCH_EN: 0
; COMPUTE_PGM_RSRC2:USER_SGPR: 6
; COMPUTE_PGM_RSRC2:TRAP_HANDLER: 0
; COMPUTE_PGM_RSRC2:TGID_X_EN: 1
; COMPUTE_PGM_RSRC2:TGID_Y_EN: 0
; COMPUTE_PGM_RSRC2:TGID_Z_EN: 0
; COMPUTE_PGM_RSRC2:TIDIG_COMP_CNT: 0
; COMPUTE_PGM_RSRC3_GFX90A:ACCUM_OFFSET: 0
; COMPUTE_PGM_RSRC3_GFX90A:TG_SPLIT: 0
	.section	.text._ZN7rocprim17ROCPRIM_400000_NS6detail17trampoline_kernelINS0_14default_configENS1_20scan_config_selectorIfEEZZNS1_9scan_implILNS1_25lookback_scan_determinismE0ELb0ELb0ES3_N6thrust23THRUST_200600_302600_NS6detail15normal_iteratorINS9_10device_ptrIfEEEENSB_INSC_IiEEEEfNS9_4plusIvEEfEEDaPvRmT3_T4_T5_mT6_P12ihipStream_tbENKUlT_T0_E_clISt17integral_constantIbLb1EESW_EEDaSR_SS_EUlSR_E_NS1_11comp_targetILNS1_3genE2ELNS1_11target_archE906ELNS1_3gpuE6ELNS1_3repE0EEENS1_30default_config_static_selectorELNS0_4arch9wavefront6targetE1EEEvT1_,"axG",@progbits,_ZN7rocprim17ROCPRIM_400000_NS6detail17trampoline_kernelINS0_14default_configENS1_20scan_config_selectorIfEEZZNS1_9scan_implILNS1_25lookback_scan_determinismE0ELb0ELb0ES3_N6thrust23THRUST_200600_302600_NS6detail15normal_iteratorINS9_10device_ptrIfEEEENSB_INSC_IiEEEEfNS9_4plusIvEEfEEDaPvRmT3_T4_T5_mT6_P12ihipStream_tbENKUlT_T0_E_clISt17integral_constantIbLb1EESW_EEDaSR_SS_EUlSR_E_NS1_11comp_targetILNS1_3genE2ELNS1_11target_archE906ELNS1_3gpuE6ELNS1_3repE0EEENS1_30default_config_static_selectorELNS0_4arch9wavefront6targetE1EEEvT1_,comdat
	.protected	_ZN7rocprim17ROCPRIM_400000_NS6detail17trampoline_kernelINS0_14default_configENS1_20scan_config_selectorIfEEZZNS1_9scan_implILNS1_25lookback_scan_determinismE0ELb0ELb0ES3_N6thrust23THRUST_200600_302600_NS6detail15normal_iteratorINS9_10device_ptrIfEEEENSB_INSC_IiEEEEfNS9_4plusIvEEfEEDaPvRmT3_T4_T5_mT6_P12ihipStream_tbENKUlT_T0_E_clISt17integral_constantIbLb1EESW_EEDaSR_SS_EUlSR_E_NS1_11comp_targetILNS1_3genE2ELNS1_11target_archE906ELNS1_3gpuE6ELNS1_3repE0EEENS1_30default_config_static_selectorELNS0_4arch9wavefront6targetE1EEEvT1_ ; -- Begin function _ZN7rocprim17ROCPRIM_400000_NS6detail17trampoline_kernelINS0_14default_configENS1_20scan_config_selectorIfEEZZNS1_9scan_implILNS1_25lookback_scan_determinismE0ELb0ELb0ES3_N6thrust23THRUST_200600_302600_NS6detail15normal_iteratorINS9_10device_ptrIfEEEENSB_INSC_IiEEEEfNS9_4plusIvEEfEEDaPvRmT3_T4_T5_mT6_P12ihipStream_tbENKUlT_T0_E_clISt17integral_constantIbLb1EESW_EEDaSR_SS_EUlSR_E_NS1_11comp_targetILNS1_3genE2ELNS1_11target_archE906ELNS1_3gpuE6ELNS1_3repE0EEENS1_30default_config_static_selectorELNS0_4arch9wavefront6targetE1EEEvT1_
	.globl	_ZN7rocprim17ROCPRIM_400000_NS6detail17trampoline_kernelINS0_14default_configENS1_20scan_config_selectorIfEEZZNS1_9scan_implILNS1_25lookback_scan_determinismE0ELb0ELb0ES3_N6thrust23THRUST_200600_302600_NS6detail15normal_iteratorINS9_10device_ptrIfEEEENSB_INSC_IiEEEEfNS9_4plusIvEEfEEDaPvRmT3_T4_T5_mT6_P12ihipStream_tbENKUlT_T0_E_clISt17integral_constantIbLb1EESW_EEDaSR_SS_EUlSR_E_NS1_11comp_targetILNS1_3genE2ELNS1_11target_archE906ELNS1_3gpuE6ELNS1_3repE0EEENS1_30default_config_static_selectorELNS0_4arch9wavefront6targetE1EEEvT1_
	.p2align	8
	.type	_ZN7rocprim17ROCPRIM_400000_NS6detail17trampoline_kernelINS0_14default_configENS1_20scan_config_selectorIfEEZZNS1_9scan_implILNS1_25lookback_scan_determinismE0ELb0ELb0ES3_N6thrust23THRUST_200600_302600_NS6detail15normal_iteratorINS9_10device_ptrIfEEEENSB_INSC_IiEEEEfNS9_4plusIvEEfEEDaPvRmT3_T4_T5_mT6_P12ihipStream_tbENKUlT_T0_E_clISt17integral_constantIbLb1EESW_EEDaSR_SS_EUlSR_E_NS1_11comp_targetILNS1_3genE2ELNS1_11target_archE906ELNS1_3gpuE6ELNS1_3repE0EEENS1_30default_config_static_selectorELNS0_4arch9wavefront6targetE1EEEvT1_,@function
_ZN7rocprim17ROCPRIM_400000_NS6detail17trampoline_kernelINS0_14default_configENS1_20scan_config_selectorIfEEZZNS1_9scan_implILNS1_25lookback_scan_determinismE0ELb0ELb0ES3_N6thrust23THRUST_200600_302600_NS6detail15normal_iteratorINS9_10device_ptrIfEEEENSB_INSC_IiEEEEfNS9_4plusIvEEfEEDaPvRmT3_T4_T5_mT6_P12ihipStream_tbENKUlT_T0_E_clISt17integral_constantIbLb1EESW_EEDaSR_SS_EUlSR_E_NS1_11comp_targetILNS1_3genE2ELNS1_11target_archE906ELNS1_3gpuE6ELNS1_3repE0EEENS1_30default_config_static_selectorELNS0_4arch9wavefront6targetE1EEEvT1_: ; @_ZN7rocprim17ROCPRIM_400000_NS6detail17trampoline_kernelINS0_14default_configENS1_20scan_config_selectorIfEEZZNS1_9scan_implILNS1_25lookback_scan_determinismE0ELb0ELb0ES3_N6thrust23THRUST_200600_302600_NS6detail15normal_iteratorINS9_10device_ptrIfEEEENSB_INSC_IiEEEEfNS9_4plusIvEEfEEDaPvRmT3_T4_T5_mT6_P12ihipStream_tbENKUlT_T0_E_clISt17integral_constantIbLb1EESW_EEDaSR_SS_EUlSR_E_NS1_11comp_targetILNS1_3genE2ELNS1_11target_archE906ELNS1_3gpuE6ELNS1_3repE0EEENS1_30default_config_static_selectorELNS0_4arch9wavefront6targetE1EEEvT1_
; %bb.0:
	.section	.rodata,"a",@progbits
	.p2align	6, 0x0
	.amdhsa_kernel _ZN7rocprim17ROCPRIM_400000_NS6detail17trampoline_kernelINS0_14default_configENS1_20scan_config_selectorIfEEZZNS1_9scan_implILNS1_25lookback_scan_determinismE0ELb0ELb0ES3_N6thrust23THRUST_200600_302600_NS6detail15normal_iteratorINS9_10device_ptrIfEEEENSB_INSC_IiEEEEfNS9_4plusIvEEfEEDaPvRmT3_T4_T5_mT6_P12ihipStream_tbENKUlT_T0_E_clISt17integral_constantIbLb1EESW_EEDaSR_SS_EUlSR_E_NS1_11comp_targetILNS1_3genE2ELNS1_11target_archE906ELNS1_3gpuE6ELNS1_3repE0EEENS1_30default_config_static_selectorELNS0_4arch9wavefront6targetE1EEEvT1_
		.amdhsa_group_segment_fixed_size 0
		.amdhsa_private_segment_fixed_size 0
		.amdhsa_kernarg_size 96
		.amdhsa_user_sgpr_count 6
		.amdhsa_user_sgpr_private_segment_buffer 1
		.amdhsa_user_sgpr_dispatch_ptr 0
		.amdhsa_user_sgpr_queue_ptr 0
		.amdhsa_user_sgpr_kernarg_segment_ptr 1
		.amdhsa_user_sgpr_dispatch_id 0
		.amdhsa_user_sgpr_flat_scratch_init 0
		.amdhsa_user_sgpr_kernarg_preload_length 0
		.amdhsa_user_sgpr_kernarg_preload_offset 0
		.amdhsa_user_sgpr_private_segment_size 0
		.amdhsa_uses_dynamic_stack 0
		.amdhsa_system_sgpr_private_segment_wavefront_offset 0
		.amdhsa_system_sgpr_workgroup_id_x 1
		.amdhsa_system_sgpr_workgroup_id_y 0
		.amdhsa_system_sgpr_workgroup_id_z 0
		.amdhsa_system_sgpr_workgroup_info 0
		.amdhsa_system_vgpr_workitem_id 0
		.amdhsa_next_free_vgpr 1
		.amdhsa_next_free_sgpr 0
		.amdhsa_accum_offset 4
		.amdhsa_reserve_vcc 0
		.amdhsa_reserve_flat_scratch 0
		.amdhsa_float_round_mode_32 0
		.amdhsa_float_round_mode_16_64 0
		.amdhsa_float_denorm_mode_32 3
		.amdhsa_float_denorm_mode_16_64 3
		.amdhsa_dx10_clamp 1
		.amdhsa_ieee_mode 1
		.amdhsa_fp16_overflow 0
		.amdhsa_tg_split 0
		.amdhsa_exception_fp_ieee_invalid_op 0
		.amdhsa_exception_fp_denorm_src 0
		.amdhsa_exception_fp_ieee_div_zero 0
		.amdhsa_exception_fp_ieee_overflow 0
		.amdhsa_exception_fp_ieee_underflow 0
		.amdhsa_exception_fp_ieee_inexact 0
		.amdhsa_exception_int_div_zero 0
	.end_amdhsa_kernel
	.section	.text._ZN7rocprim17ROCPRIM_400000_NS6detail17trampoline_kernelINS0_14default_configENS1_20scan_config_selectorIfEEZZNS1_9scan_implILNS1_25lookback_scan_determinismE0ELb0ELb0ES3_N6thrust23THRUST_200600_302600_NS6detail15normal_iteratorINS9_10device_ptrIfEEEENSB_INSC_IiEEEEfNS9_4plusIvEEfEEDaPvRmT3_T4_T5_mT6_P12ihipStream_tbENKUlT_T0_E_clISt17integral_constantIbLb1EESW_EEDaSR_SS_EUlSR_E_NS1_11comp_targetILNS1_3genE2ELNS1_11target_archE906ELNS1_3gpuE6ELNS1_3repE0EEENS1_30default_config_static_selectorELNS0_4arch9wavefront6targetE1EEEvT1_,"axG",@progbits,_ZN7rocprim17ROCPRIM_400000_NS6detail17trampoline_kernelINS0_14default_configENS1_20scan_config_selectorIfEEZZNS1_9scan_implILNS1_25lookback_scan_determinismE0ELb0ELb0ES3_N6thrust23THRUST_200600_302600_NS6detail15normal_iteratorINS9_10device_ptrIfEEEENSB_INSC_IiEEEEfNS9_4plusIvEEfEEDaPvRmT3_T4_T5_mT6_P12ihipStream_tbENKUlT_T0_E_clISt17integral_constantIbLb1EESW_EEDaSR_SS_EUlSR_E_NS1_11comp_targetILNS1_3genE2ELNS1_11target_archE906ELNS1_3gpuE6ELNS1_3repE0EEENS1_30default_config_static_selectorELNS0_4arch9wavefront6targetE1EEEvT1_,comdat
.Lfunc_end1444:
	.size	_ZN7rocprim17ROCPRIM_400000_NS6detail17trampoline_kernelINS0_14default_configENS1_20scan_config_selectorIfEEZZNS1_9scan_implILNS1_25lookback_scan_determinismE0ELb0ELb0ES3_N6thrust23THRUST_200600_302600_NS6detail15normal_iteratorINS9_10device_ptrIfEEEENSB_INSC_IiEEEEfNS9_4plusIvEEfEEDaPvRmT3_T4_T5_mT6_P12ihipStream_tbENKUlT_T0_E_clISt17integral_constantIbLb1EESW_EEDaSR_SS_EUlSR_E_NS1_11comp_targetILNS1_3genE2ELNS1_11target_archE906ELNS1_3gpuE6ELNS1_3repE0EEENS1_30default_config_static_selectorELNS0_4arch9wavefront6targetE1EEEvT1_, .Lfunc_end1444-_ZN7rocprim17ROCPRIM_400000_NS6detail17trampoline_kernelINS0_14default_configENS1_20scan_config_selectorIfEEZZNS1_9scan_implILNS1_25lookback_scan_determinismE0ELb0ELb0ES3_N6thrust23THRUST_200600_302600_NS6detail15normal_iteratorINS9_10device_ptrIfEEEENSB_INSC_IiEEEEfNS9_4plusIvEEfEEDaPvRmT3_T4_T5_mT6_P12ihipStream_tbENKUlT_T0_E_clISt17integral_constantIbLb1EESW_EEDaSR_SS_EUlSR_E_NS1_11comp_targetILNS1_3genE2ELNS1_11target_archE906ELNS1_3gpuE6ELNS1_3repE0EEENS1_30default_config_static_selectorELNS0_4arch9wavefront6targetE1EEEvT1_
                                        ; -- End function
	.section	.AMDGPU.csdata,"",@progbits
; Kernel info:
; codeLenInByte = 0
; NumSgprs: 4
; NumVgprs: 0
; NumAgprs: 0
; TotalNumVgprs: 0
; ScratchSize: 0
; MemoryBound: 0
; FloatMode: 240
; IeeeMode: 1
; LDSByteSize: 0 bytes/workgroup (compile time only)
; SGPRBlocks: 0
; VGPRBlocks: 0
; NumSGPRsForWavesPerEU: 4
; NumVGPRsForWavesPerEU: 1
; AccumOffset: 4
; Occupancy: 8
; WaveLimiterHint : 0
; COMPUTE_PGM_RSRC2:SCRATCH_EN: 0
; COMPUTE_PGM_RSRC2:USER_SGPR: 6
; COMPUTE_PGM_RSRC2:TRAP_HANDLER: 0
; COMPUTE_PGM_RSRC2:TGID_X_EN: 1
; COMPUTE_PGM_RSRC2:TGID_Y_EN: 0
; COMPUTE_PGM_RSRC2:TGID_Z_EN: 0
; COMPUTE_PGM_RSRC2:TIDIG_COMP_CNT: 0
; COMPUTE_PGM_RSRC3_GFX90A:ACCUM_OFFSET: 0
; COMPUTE_PGM_RSRC3_GFX90A:TG_SPLIT: 0
	.section	.text._ZN7rocprim17ROCPRIM_400000_NS6detail17trampoline_kernelINS0_14default_configENS1_20scan_config_selectorIfEEZZNS1_9scan_implILNS1_25lookback_scan_determinismE0ELb0ELb0ES3_N6thrust23THRUST_200600_302600_NS6detail15normal_iteratorINS9_10device_ptrIfEEEENSB_INSC_IiEEEEfNS9_4plusIvEEfEEDaPvRmT3_T4_T5_mT6_P12ihipStream_tbENKUlT_T0_E_clISt17integral_constantIbLb1EESW_EEDaSR_SS_EUlSR_E_NS1_11comp_targetILNS1_3genE10ELNS1_11target_archE1201ELNS1_3gpuE5ELNS1_3repE0EEENS1_30default_config_static_selectorELNS0_4arch9wavefront6targetE1EEEvT1_,"axG",@progbits,_ZN7rocprim17ROCPRIM_400000_NS6detail17trampoline_kernelINS0_14default_configENS1_20scan_config_selectorIfEEZZNS1_9scan_implILNS1_25lookback_scan_determinismE0ELb0ELb0ES3_N6thrust23THRUST_200600_302600_NS6detail15normal_iteratorINS9_10device_ptrIfEEEENSB_INSC_IiEEEEfNS9_4plusIvEEfEEDaPvRmT3_T4_T5_mT6_P12ihipStream_tbENKUlT_T0_E_clISt17integral_constantIbLb1EESW_EEDaSR_SS_EUlSR_E_NS1_11comp_targetILNS1_3genE10ELNS1_11target_archE1201ELNS1_3gpuE5ELNS1_3repE0EEENS1_30default_config_static_selectorELNS0_4arch9wavefront6targetE1EEEvT1_,comdat
	.protected	_ZN7rocprim17ROCPRIM_400000_NS6detail17trampoline_kernelINS0_14default_configENS1_20scan_config_selectorIfEEZZNS1_9scan_implILNS1_25lookback_scan_determinismE0ELb0ELb0ES3_N6thrust23THRUST_200600_302600_NS6detail15normal_iteratorINS9_10device_ptrIfEEEENSB_INSC_IiEEEEfNS9_4plusIvEEfEEDaPvRmT3_T4_T5_mT6_P12ihipStream_tbENKUlT_T0_E_clISt17integral_constantIbLb1EESW_EEDaSR_SS_EUlSR_E_NS1_11comp_targetILNS1_3genE10ELNS1_11target_archE1201ELNS1_3gpuE5ELNS1_3repE0EEENS1_30default_config_static_selectorELNS0_4arch9wavefront6targetE1EEEvT1_ ; -- Begin function _ZN7rocprim17ROCPRIM_400000_NS6detail17trampoline_kernelINS0_14default_configENS1_20scan_config_selectorIfEEZZNS1_9scan_implILNS1_25lookback_scan_determinismE0ELb0ELb0ES3_N6thrust23THRUST_200600_302600_NS6detail15normal_iteratorINS9_10device_ptrIfEEEENSB_INSC_IiEEEEfNS9_4plusIvEEfEEDaPvRmT3_T4_T5_mT6_P12ihipStream_tbENKUlT_T0_E_clISt17integral_constantIbLb1EESW_EEDaSR_SS_EUlSR_E_NS1_11comp_targetILNS1_3genE10ELNS1_11target_archE1201ELNS1_3gpuE5ELNS1_3repE0EEENS1_30default_config_static_selectorELNS0_4arch9wavefront6targetE1EEEvT1_
	.globl	_ZN7rocprim17ROCPRIM_400000_NS6detail17trampoline_kernelINS0_14default_configENS1_20scan_config_selectorIfEEZZNS1_9scan_implILNS1_25lookback_scan_determinismE0ELb0ELb0ES3_N6thrust23THRUST_200600_302600_NS6detail15normal_iteratorINS9_10device_ptrIfEEEENSB_INSC_IiEEEEfNS9_4plusIvEEfEEDaPvRmT3_T4_T5_mT6_P12ihipStream_tbENKUlT_T0_E_clISt17integral_constantIbLb1EESW_EEDaSR_SS_EUlSR_E_NS1_11comp_targetILNS1_3genE10ELNS1_11target_archE1201ELNS1_3gpuE5ELNS1_3repE0EEENS1_30default_config_static_selectorELNS0_4arch9wavefront6targetE1EEEvT1_
	.p2align	8
	.type	_ZN7rocprim17ROCPRIM_400000_NS6detail17trampoline_kernelINS0_14default_configENS1_20scan_config_selectorIfEEZZNS1_9scan_implILNS1_25lookback_scan_determinismE0ELb0ELb0ES3_N6thrust23THRUST_200600_302600_NS6detail15normal_iteratorINS9_10device_ptrIfEEEENSB_INSC_IiEEEEfNS9_4plusIvEEfEEDaPvRmT3_T4_T5_mT6_P12ihipStream_tbENKUlT_T0_E_clISt17integral_constantIbLb1EESW_EEDaSR_SS_EUlSR_E_NS1_11comp_targetILNS1_3genE10ELNS1_11target_archE1201ELNS1_3gpuE5ELNS1_3repE0EEENS1_30default_config_static_selectorELNS0_4arch9wavefront6targetE1EEEvT1_,@function
_ZN7rocprim17ROCPRIM_400000_NS6detail17trampoline_kernelINS0_14default_configENS1_20scan_config_selectorIfEEZZNS1_9scan_implILNS1_25lookback_scan_determinismE0ELb0ELb0ES3_N6thrust23THRUST_200600_302600_NS6detail15normal_iteratorINS9_10device_ptrIfEEEENSB_INSC_IiEEEEfNS9_4plusIvEEfEEDaPvRmT3_T4_T5_mT6_P12ihipStream_tbENKUlT_T0_E_clISt17integral_constantIbLb1EESW_EEDaSR_SS_EUlSR_E_NS1_11comp_targetILNS1_3genE10ELNS1_11target_archE1201ELNS1_3gpuE5ELNS1_3repE0EEENS1_30default_config_static_selectorELNS0_4arch9wavefront6targetE1EEEvT1_: ; @_ZN7rocprim17ROCPRIM_400000_NS6detail17trampoline_kernelINS0_14default_configENS1_20scan_config_selectorIfEEZZNS1_9scan_implILNS1_25lookback_scan_determinismE0ELb0ELb0ES3_N6thrust23THRUST_200600_302600_NS6detail15normal_iteratorINS9_10device_ptrIfEEEENSB_INSC_IiEEEEfNS9_4plusIvEEfEEDaPvRmT3_T4_T5_mT6_P12ihipStream_tbENKUlT_T0_E_clISt17integral_constantIbLb1EESW_EEDaSR_SS_EUlSR_E_NS1_11comp_targetILNS1_3genE10ELNS1_11target_archE1201ELNS1_3gpuE5ELNS1_3repE0EEENS1_30default_config_static_selectorELNS0_4arch9wavefront6targetE1EEEvT1_
; %bb.0:
	.section	.rodata,"a",@progbits
	.p2align	6, 0x0
	.amdhsa_kernel _ZN7rocprim17ROCPRIM_400000_NS6detail17trampoline_kernelINS0_14default_configENS1_20scan_config_selectorIfEEZZNS1_9scan_implILNS1_25lookback_scan_determinismE0ELb0ELb0ES3_N6thrust23THRUST_200600_302600_NS6detail15normal_iteratorINS9_10device_ptrIfEEEENSB_INSC_IiEEEEfNS9_4plusIvEEfEEDaPvRmT3_T4_T5_mT6_P12ihipStream_tbENKUlT_T0_E_clISt17integral_constantIbLb1EESW_EEDaSR_SS_EUlSR_E_NS1_11comp_targetILNS1_3genE10ELNS1_11target_archE1201ELNS1_3gpuE5ELNS1_3repE0EEENS1_30default_config_static_selectorELNS0_4arch9wavefront6targetE1EEEvT1_
		.amdhsa_group_segment_fixed_size 0
		.amdhsa_private_segment_fixed_size 0
		.amdhsa_kernarg_size 96
		.amdhsa_user_sgpr_count 6
		.amdhsa_user_sgpr_private_segment_buffer 1
		.amdhsa_user_sgpr_dispatch_ptr 0
		.amdhsa_user_sgpr_queue_ptr 0
		.amdhsa_user_sgpr_kernarg_segment_ptr 1
		.amdhsa_user_sgpr_dispatch_id 0
		.amdhsa_user_sgpr_flat_scratch_init 0
		.amdhsa_user_sgpr_kernarg_preload_length 0
		.amdhsa_user_sgpr_kernarg_preload_offset 0
		.amdhsa_user_sgpr_private_segment_size 0
		.amdhsa_uses_dynamic_stack 0
		.amdhsa_system_sgpr_private_segment_wavefront_offset 0
		.amdhsa_system_sgpr_workgroup_id_x 1
		.amdhsa_system_sgpr_workgroup_id_y 0
		.amdhsa_system_sgpr_workgroup_id_z 0
		.amdhsa_system_sgpr_workgroup_info 0
		.amdhsa_system_vgpr_workitem_id 0
		.amdhsa_next_free_vgpr 1
		.amdhsa_next_free_sgpr 0
		.amdhsa_accum_offset 4
		.amdhsa_reserve_vcc 0
		.amdhsa_reserve_flat_scratch 0
		.amdhsa_float_round_mode_32 0
		.amdhsa_float_round_mode_16_64 0
		.amdhsa_float_denorm_mode_32 3
		.amdhsa_float_denorm_mode_16_64 3
		.amdhsa_dx10_clamp 1
		.amdhsa_ieee_mode 1
		.amdhsa_fp16_overflow 0
		.amdhsa_tg_split 0
		.amdhsa_exception_fp_ieee_invalid_op 0
		.amdhsa_exception_fp_denorm_src 0
		.amdhsa_exception_fp_ieee_div_zero 0
		.amdhsa_exception_fp_ieee_overflow 0
		.amdhsa_exception_fp_ieee_underflow 0
		.amdhsa_exception_fp_ieee_inexact 0
		.amdhsa_exception_int_div_zero 0
	.end_amdhsa_kernel
	.section	.text._ZN7rocprim17ROCPRIM_400000_NS6detail17trampoline_kernelINS0_14default_configENS1_20scan_config_selectorIfEEZZNS1_9scan_implILNS1_25lookback_scan_determinismE0ELb0ELb0ES3_N6thrust23THRUST_200600_302600_NS6detail15normal_iteratorINS9_10device_ptrIfEEEENSB_INSC_IiEEEEfNS9_4plusIvEEfEEDaPvRmT3_T4_T5_mT6_P12ihipStream_tbENKUlT_T0_E_clISt17integral_constantIbLb1EESW_EEDaSR_SS_EUlSR_E_NS1_11comp_targetILNS1_3genE10ELNS1_11target_archE1201ELNS1_3gpuE5ELNS1_3repE0EEENS1_30default_config_static_selectorELNS0_4arch9wavefront6targetE1EEEvT1_,"axG",@progbits,_ZN7rocprim17ROCPRIM_400000_NS6detail17trampoline_kernelINS0_14default_configENS1_20scan_config_selectorIfEEZZNS1_9scan_implILNS1_25lookback_scan_determinismE0ELb0ELb0ES3_N6thrust23THRUST_200600_302600_NS6detail15normal_iteratorINS9_10device_ptrIfEEEENSB_INSC_IiEEEEfNS9_4plusIvEEfEEDaPvRmT3_T4_T5_mT6_P12ihipStream_tbENKUlT_T0_E_clISt17integral_constantIbLb1EESW_EEDaSR_SS_EUlSR_E_NS1_11comp_targetILNS1_3genE10ELNS1_11target_archE1201ELNS1_3gpuE5ELNS1_3repE0EEENS1_30default_config_static_selectorELNS0_4arch9wavefront6targetE1EEEvT1_,comdat
.Lfunc_end1445:
	.size	_ZN7rocprim17ROCPRIM_400000_NS6detail17trampoline_kernelINS0_14default_configENS1_20scan_config_selectorIfEEZZNS1_9scan_implILNS1_25lookback_scan_determinismE0ELb0ELb0ES3_N6thrust23THRUST_200600_302600_NS6detail15normal_iteratorINS9_10device_ptrIfEEEENSB_INSC_IiEEEEfNS9_4plusIvEEfEEDaPvRmT3_T4_T5_mT6_P12ihipStream_tbENKUlT_T0_E_clISt17integral_constantIbLb1EESW_EEDaSR_SS_EUlSR_E_NS1_11comp_targetILNS1_3genE10ELNS1_11target_archE1201ELNS1_3gpuE5ELNS1_3repE0EEENS1_30default_config_static_selectorELNS0_4arch9wavefront6targetE1EEEvT1_, .Lfunc_end1445-_ZN7rocprim17ROCPRIM_400000_NS6detail17trampoline_kernelINS0_14default_configENS1_20scan_config_selectorIfEEZZNS1_9scan_implILNS1_25lookback_scan_determinismE0ELb0ELb0ES3_N6thrust23THRUST_200600_302600_NS6detail15normal_iteratorINS9_10device_ptrIfEEEENSB_INSC_IiEEEEfNS9_4plusIvEEfEEDaPvRmT3_T4_T5_mT6_P12ihipStream_tbENKUlT_T0_E_clISt17integral_constantIbLb1EESW_EEDaSR_SS_EUlSR_E_NS1_11comp_targetILNS1_3genE10ELNS1_11target_archE1201ELNS1_3gpuE5ELNS1_3repE0EEENS1_30default_config_static_selectorELNS0_4arch9wavefront6targetE1EEEvT1_
                                        ; -- End function
	.section	.AMDGPU.csdata,"",@progbits
; Kernel info:
; codeLenInByte = 0
; NumSgprs: 4
; NumVgprs: 0
; NumAgprs: 0
; TotalNumVgprs: 0
; ScratchSize: 0
; MemoryBound: 0
; FloatMode: 240
; IeeeMode: 1
; LDSByteSize: 0 bytes/workgroup (compile time only)
; SGPRBlocks: 0
; VGPRBlocks: 0
; NumSGPRsForWavesPerEU: 4
; NumVGPRsForWavesPerEU: 1
; AccumOffset: 4
; Occupancy: 8
; WaveLimiterHint : 0
; COMPUTE_PGM_RSRC2:SCRATCH_EN: 0
; COMPUTE_PGM_RSRC2:USER_SGPR: 6
; COMPUTE_PGM_RSRC2:TRAP_HANDLER: 0
; COMPUTE_PGM_RSRC2:TGID_X_EN: 1
; COMPUTE_PGM_RSRC2:TGID_Y_EN: 0
; COMPUTE_PGM_RSRC2:TGID_Z_EN: 0
; COMPUTE_PGM_RSRC2:TIDIG_COMP_CNT: 0
; COMPUTE_PGM_RSRC3_GFX90A:ACCUM_OFFSET: 0
; COMPUTE_PGM_RSRC3_GFX90A:TG_SPLIT: 0
	.section	.text._ZN7rocprim17ROCPRIM_400000_NS6detail17trampoline_kernelINS0_14default_configENS1_20scan_config_selectorIfEEZZNS1_9scan_implILNS1_25lookback_scan_determinismE0ELb0ELb0ES3_N6thrust23THRUST_200600_302600_NS6detail15normal_iteratorINS9_10device_ptrIfEEEENSB_INSC_IiEEEEfNS9_4plusIvEEfEEDaPvRmT3_T4_T5_mT6_P12ihipStream_tbENKUlT_T0_E_clISt17integral_constantIbLb1EESW_EEDaSR_SS_EUlSR_E_NS1_11comp_targetILNS1_3genE10ELNS1_11target_archE1200ELNS1_3gpuE4ELNS1_3repE0EEENS1_30default_config_static_selectorELNS0_4arch9wavefront6targetE1EEEvT1_,"axG",@progbits,_ZN7rocprim17ROCPRIM_400000_NS6detail17trampoline_kernelINS0_14default_configENS1_20scan_config_selectorIfEEZZNS1_9scan_implILNS1_25lookback_scan_determinismE0ELb0ELb0ES3_N6thrust23THRUST_200600_302600_NS6detail15normal_iteratorINS9_10device_ptrIfEEEENSB_INSC_IiEEEEfNS9_4plusIvEEfEEDaPvRmT3_T4_T5_mT6_P12ihipStream_tbENKUlT_T0_E_clISt17integral_constantIbLb1EESW_EEDaSR_SS_EUlSR_E_NS1_11comp_targetILNS1_3genE10ELNS1_11target_archE1200ELNS1_3gpuE4ELNS1_3repE0EEENS1_30default_config_static_selectorELNS0_4arch9wavefront6targetE1EEEvT1_,comdat
	.protected	_ZN7rocprim17ROCPRIM_400000_NS6detail17trampoline_kernelINS0_14default_configENS1_20scan_config_selectorIfEEZZNS1_9scan_implILNS1_25lookback_scan_determinismE0ELb0ELb0ES3_N6thrust23THRUST_200600_302600_NS6detail15normal_iteratorINS9_10device_ptrIfEEEENSB_INSC_IiEEEEfNS9_4plusIvEEfEEDaPvRmT3_T4_T5_mT6_P12ihipStream_tbENKUlT_T0_E_clISt17integral_constantIbLb1EESW_EEDaSR_SS_EUlSR_E_NS1_11comp_targetILNS1_3genE10ELNS1_11target_archE1200ELNS1_3gpuE4ELNS1_3repE0EEENS1_30default_config_static_selectorELNS0_4arch9wavefront6targetE1EEEvT1_ ; -- Begin function _ZN7rocprim17ROCPRIM_400000_NS6detail17trampoline_kernelINS0_14default_configENS1_20scan_config_selectorIfEEZZNS1_9scan_implILNS1_25lookback_scan_determinismE0ELb0ELb0ES3_N6thrust23THRUST_200600_302600_NS6detail15normal_iteratorINS9_10device_ptrIfEEEENSB_INSC_IiEEEEfNS9_4plusIvEEfEEDaPvRmT3_T4_T5_mT6_P12ihipStream_tbENKUlT_T0_E_clISt17integral_constantIbLb1EESW_EEDaSR_SS_EUlSR_E_NS1_11comp_targetILNS1_3genE10ELNS1_11target_archE1200ELNS1_3gpuE4ELNS1_3repE0EEENS1_30default_config_static_selectorELNS0_4arch9wavefront6targetE1EEEvT1_
	.globl	_ZN7rocprim17ROCPRIM_400000_NS6detail17trampoline_kernelINS0_14default_configENS1_20scan_config_selectorIfEEZZNS1_9scan_implILNS1_25lookback_scan_determinismE0ELb0ELb0ES3_N6thrust23THRUST_200600_302600_NS6detail15normal_iteratorINS9_10device_ptrIfEEEENSB_INSC_IiEEEEfNS9_4plusIvEEfEEDaPvRmT3_T4_T5_mT6_P12ihipStream_tbENKUlT_T0_E_clISt17integral_constantIbLb1EESW_EEDaSR_SS_EUlSR_E_NS1_11comp_targetILNS1_3genE10ELNS1_11target_archE1200ELNS1_3gpuE4ELNS1_3repE0EEENS1_30default_config_static_selectorELNS0_4arch9wavefront6targetE1EEEvT1_
	.p2align	8
	.type	_ZN7rocprim17ROCPRIM_400000_NS6detail17trampoline_kernelINS0_14default_configENS1_20scan_config_selectorIfEEZZNS1_9scan_implILNS1_25lookback_scan_determinismE0ELb0ELb0ES3_N6thrust23THRUST_200600_302600_NS6detail15normal_iteratorINS9_10device_ptrIfEEEENSB_INSC_IiEEEEfNS9_4plusIvEEfEEDaPvRmT3_T4_T5_mT6_P12ihipStream_tbENKUlT_T0_E_clISt17integral_constantIbLb1EESW_EEDaSR_SS_EUlSR_E_NS1_11comp_targetILNS1_3genE10ELNS1_11target_archE1200ELNS1_3gpuE4ELNS1_3repE0EEENS1_30default_config_static_selectorELNS0_4arch9wavefront6targetE1EEEvT1_,@function
_ZN7rocprim17ROCPRIM_400000_NS6detail17trampoline_kernelINS0_14default_configENS1_20scan_config_selectorIfEEZZNS1_9scan_implILNS1_25lookback_scan_determinismE0ELb0ELb0ES3_N6thrust23THRUST_200600_302600_NS6detail15normal_iteratorINS9_10device_ptrIfEEEENSB_INSC_IiEEEEfNS9_4plusIvEEfEEDaPvRmT3_T4_T5_mT6_P12ihipStream_tbENKUlT_T0_E_clISt17integral_constantIbLb1EESW_EEDaSR_SS_EUlSR_E_NS1_11comp_targetILNS1_3genE10ELNS1_11target_archE1200ELNS1_3gpuE4ELNS1_3repE0EEENS1_30default_config_static_selectorELNS0_4arch9wavefront6targetE1EEEvT1_: ; @_ZN7rocprim17ROCPRIM_400000_NS6detail17trampoline_kernelINS0_14default_configENS1_20scan_config_selectorIfEEZZNS1_9scan_implILNS1_25lookback_scan_determinismE0ELb0ELb0ES3_N6thrust23THRUST_200600_302600_NS6detail15normal_iteratorINS9_10device_ptrIfEEEENSB_INSC_IiEEEEfNS9_4plusIvEEfEEDaPvRmT3_T4_T5_mT6_P12ihipStream_tbENKUlT_T0_E_clISt17integral_constantIbLb1EESW_EEDaSR_SS_EUlSR_E_NS1_11comp_targetILNS1_3genE10ELNS1_11target_archE1200ELNS1_3gpuE4ELNS1_3repE0EEENS1_30default_config_static_selectorELNS0_4arch9wavefront6targetE1EEEvT1_
; %bb.0:
	.section	.rodata,"a",@progbits
	.p2align	6, 0x0
	.amdhsa_kernel _ZN7rocprim17ROCPRIM_400000_NS6detail17trampoline_kernelINS0_14default_configENS1_20scan_config_selectorIfEEZZNS1_9scan_implILNS1_25lookback_scan_determinismE0ELb0ELb0ES3_N6thrust23THRUST_200600_302600_NS6detail15normal_iteratorINS9_10device_ptrIfEEEENSB_INSC_IiEEEEfNS9_4plusIvEEfEEDaPvRmT3_T4_T5_mT6_P12ihipStream_tbENKUlT_T0_E_clISt17integral_constantIbLb1EESW_EEDaSR_SS_EUlSR_E_NS1_11comp_targetILNS1_3genE10ELNS1_11target_archE1200ELNS1_3gpuE4ELNS1_3repE0EEENS1_30default_config_static_selectorELNS0_4arch9wavefront6targetE1EEEvT1_
		.amdhsa_group_segment_fixed_size 0
		.amdhsa_private_segment_fixed_size 0
		.amdhsa_kernarg_size 96
		.amdhsa_user_sgpr_count 6
		.amdhsa_user_sgpr_private_segment_buffer 1
		.amdhsa_user_sgpr_dispatch_ptr 0
		.amdhsa_user_sgpr_queue_ptr 0
		.amdhsa_user_sgpr_kernarg_segment_ptr 1
		.amdhsa_user_sgpr_dispatch_id 0
		.amdhsa_user_sgpr_flat_scratch_init 0
		.amdhsa_user_sgpr_kernarg_preload_length 0
		.amdhsa_user_sgpr_kernarg_preload_offset 0
		.amdhsa_user_sgpr_private_segment_size 0
		.amdhsa_uses_dynamic_stack 0
		.amdhsa_system_sgpr_private_segment_wavefront_offset 0
		.amdhsa_system_sgpr_workgroup_id_x 1
		.amdhsa_system_sgpr_workgroup_id_y 0
		.amdhsa_system_sgpr_workgroup_id_z 0
		.amdhsa_system_sgpr_workgroup_info 0
		.amdhsa_system_vgpr_workitem_id 0
		.amdhsa_next_free_vgpr 1
		.amdhsa_next_free_sgpr 0
		.amdhsa_accum_offset 4
		.amdhsa_reserve_vcc 0
		.amdhsa_reserve_flat_scratch 0
		.amdhsa_float_round_mode_32 0
		.amdhsa_float_round_mode_16_64 0
		.amdhsa_float_denorm_mode_32 3
		.amdhsa_float_denorm_mode_16_64 3
		.amdhsa_dx10_clamp 1
		.amdhsa_ieee_mode 1
		.amdhsa_fp16_overflow 0
		.amdhsa_tg_split 0
		.amdhsa_exception_fp_ieee_invalid_op 0
		.amdhsa_exception_fp_denorm_src 0
		.amdhsa_exception_fp_ieee_div_zero 0
		.amdhsa_exception_fp_ieee_overflow 0
		.amdhsa_exception_fp_ieee_underflow 0
		.amdhsa_exception_fp_ieee_inexact 0
		.amdhsa_exception_int_div_zero 0
	.end_amdhsa_kernel
	.section	.text._ZN7rocprim17ROCPRIM_400000_NS6detail17trampoline_kernelINS0_14default_configENS1_20scan_config_selectorIfEEZZNS1_9scan_implILNS1_25lookback_scan_determinismE0ELb0ELb0ES3_N6thrust23THRUST_200600_302600_NS6detail15normal_iteratorINS9_10device_ptrIfEEEENSB_INSC_IiEEEEfNS9_4plusIvEEfEEDaPvRmT3_T4_T5_mT6_P12ihipStream_tbENKUlT_T0_E_clISt17integral_constantIbLb1EESW_EEDaSR_SS_EUlSR_E_NS1_11comp_targetILNS1_3genE10ELNS1_11target_archE1200ELNS1_3gpuE4ELNS1_3repE0EEENS1_30default_config_static_selectorELNS0_4arch9wavefront6targetE1EEEvT1_,"axG",@progbits,_ZN7rocprim17ROCPRIM_400000_NS6detail17trampoline_kernelINS0_14default_configENS1_20scan_config_selectorIfEEZZNS1_9scan_implILNS1_25lookback_scan_determinismE0ELb0ELb0ES3_N6thrust23THRUST_200600_302600_NS6detail15normal_iteratorINS9_10device_ptrIfEEEENSB_INSC_IiEEEEfNS9_4plusIvEEfEEDaPvRmT3_T4_T5_mT6_P12ihipStream_tbENKUlT_T0_E_clISt17integral_constantIbLb1EESW_EEDaSR_SS_EUlSR_E_NS1_11comp_targetILNS1_3genE10ELNS1_11target_archE1200ELNS1_3gpuE4ELNS1_3repE0EEENS1_30default_config_static_selectorELNS0_4arch9wavefront6targetE1EEEvT1_,comdat
.Lfunc_end1446:
	.size	_ZN7rocprim17ROCPRIM_400000_NS6detail17trampoline_kernelINS0_14default_configENS1_20scan_config_selectorIfEEZZNS1_9scan_implILNS1_25lookback_scan_determinismE0ELb0ELb0ES3_N6thrust23THRUST_200600_302600_NS6detail15normal_iteratorINS9_10device_ptrIfEEEENSB_INSC_IiEEEEfNS9_4plusIvEEfEEDaPvRmT3_T4_T5_mT6_P12ihipStream_tbENKUlT_T0_E_clISt17integral_constantIbLb1EESW_EEDaSR_SS_EUlSR_E_NS1_11comp_targetILNS1_3genE10ELNS1_11target_archE1200ELNS1_3gpuE4ELNS1_3repE0EEENS1_30default_config_static_selectorELNS0_4arch9wavefront6targetE1EEEvT1_, .Lfunc_end1446-_ZN7rocprim17ROCPRIM_400000_NS6detail17trampoline_kernelINS0_14default_configENS1_20scan_config_selectorIfEEZZNS1_9scan_implILNS1_25lookback_scan_determinismE0ELb0ELb0ES3_N6thrust23THRUST_200600_302600_NS6detail15normal_iteratorINS9_10device_ptrIfEEEENSB_INSC_IiEEEEfNS9_4plusIvEEfEEDaPvRmT3_T4_T5_mT6_P12ihipStream_tbENKUlT_T0_E_clISt17integral_constantIbLb1EESW_EEDaSR_SS_EUlSR_E_NS1_11comp_targetILNS1_3genE10ELNS1_11target_archE1200ELNS1_3gpuE4ELNS1_3repE0EEENS1_30default_config_static_selectorELNS0_4arch9wavefront6targetE1EEEvT1_
                                        ; -- End function
	.section	.AMDGPU.csdata,"",@progbits
; Kernel info:
; codeLenInByte = 0
; NumSgprs: 4
; NumVgprs: 0
; NumAgprs: 0
; TotalNumVgprs: 0
; ScratchSize: 0
; MemoryBound: 0
; FloatMode: 240
; IeeeMode: 1
; LDSByteSize: 0 bytes/workgroup (compile time only)
; SGPRBlocks: 0
; VGPRBlocks: 0
; NumSGPRsForWavesPerEU: 4
; NumVGPRsForWavesPerEU: 1
; AccumOffset: 4
; Occupancy: 8
; WaveLimiterHint : 0
; COMPUTE_PGM_RSRC2:SCRATCH_EN: 0
; COMPUTE_PGM_RSRC2:USER_SGPR: 6
; COMPUTE_PGM_RSRC2:TRAP_HANDLER: 0
; COMPUTE_PGM_RSRC2:TGID_X_EN: 1
; COMPUTE_PGM_RSRC2:TGID_Y_EN: 0
; COMPUTE_PGM_RSRC2:TGID_Z_EN: 0
; COMPUTE_PGM_RSRC2:TIDIG_COMP_CNT: 0
; COMPUTE_PGM_RSRC3_GFX90A:ACCUM_OFFSET: 0
; COMPUTE_PGM_RSRC3_GFX90A:TG_SPLIT: 0
	.section	.text._ZN7rocprim17ROCPRIM_400000_NS6detail17trampoline_kernelINS0_14default_configENS1_20scan_config_selectorIfEEZZNS1_9scan_implILNS1_25lookback_scan_determinismE0ELb0ELb0ES3_N6thrust23THRUST_200600_302600_NS6detail15normal_iteratorINS9_10device_ptrIfEEEENSB_INSC_IiEEEEfNS9_4plusIvEEfEEDaPvRmT3_T4_T5_mT6_P12ihipStream_tbENKUlT_T0_E_clISt17integral_constantIbLb1EESW_EEDaSR_SS_EUlSR_E_NS1_11comp_targetILNS1_3genE9ELNS1_11target_archE1100ELNS1_3gpuE3ELNS1_3repE0EEENS1_30default_config_static_selectorELNS0_4arch9wavefront6targetE1EEEvT1_,"axG",@progbits,_ZN7rocprim17ROCPRIM_400000_NS6detail17trampoline_kernelINS0_14default_configENS1_20scan_config_selectorIfEEZZNS1_9scan_implILNS1_25lookback_scan_determinismE0ELb0ELb0ES3_N6thrust23THRUST_200600_302600_NS6detail15normal_iteratorINS9_10device_ptrIfEEEENSB_INSC_IiEEEEfNS9_4plusIvEEfEEDaPvRmT3_T4_T5_mT6_P12ihipStream_tbENKUlT_T0_E_clISt17integral_constantIbLb1EESW_EEDaSR_SS_EUlSR_E_NS1_11comp_targetILNS1_3genE9ELNS1_11target_archE1100ELNS1_3gpuE3ELNS1_3repE0EEENS1_30default_config_static_selectorELNS0_4arch9wavefront6targetE1EEEvT1_,comdat
	.protected	_ZN7rocprim17ROCPRIM_400000_NS6detail17trampoline_kernelINS0_14default_configENS1_20scan_config_selectorIfEEZZNS1_9scan_implILNS1_25lookback_scan_determinismE0ELb0ELb0ES3_N6thrust23THRUST_200600_302600_NS6detail15normal_iteratorINS9_10device_ptrIfEEEENSB_INSC_IiEEEEfNS9_4plusIvEEfEEDaPvRmT3_T4_T5_mT6_P12ihipStream_tbENKUlT_T0_E_clISt17integral_constantIbLb1EESW_EEDaSR_SS_EUlSR_E_NS1_11comp_targetILNS1_3genE9ELNS1_11target_archE1100ELNS1_3gpuE3ELNS1_3repE0EEENS1_30default_config_static_selectorELNS0_4arch9wavefront6targetE1EEEvT1_ ; -- Begin function _ZN7rocprim17ROCPRIM_400000_NS6detail17trampoline_kernelINS0_14default_configENS1_20scan_config_selectorIfEEZZNS1_9scan_implILNS1_25lookback_scan_determinismE0ELb0ELb0ES3_N6thrust23THRUST_200600_302600_NS6detail15normal_iteratorINS9_10device_ptrIfEEEENSB_INSC_IiEEEEfNS9_4plusIvEEfEEDaPvRmT3_T4_T5_mT6_P12ihipStream_tbENKUlT_T0_E_clISt17integral_constantIbLb1EESW_EEDaSR_SS_EUlSR_E_NS1_11comp_targetILNS1_3genE9ELNS1_11target_archE1100ELNS1_3gpuE3ELNS1_3repE0EEENS1_30default_config_static_selectorELNS0_4arch9wavefront6targetE1EEEvT1_
	.globl	_ZN7rocprim17ROCPRIM_400000_NS6detail17trampoline_kernelINS0_14default_configENS1_20scan_config_selectorIfEEZZNS1_9scan_implILNS1_25lookback_scan_determinismE0ELb0ELb0ES3_N6thrust23THRUST_200600_302600_NS6detail15normal_iteratorINS9_10device_ptrIfEEEENSB_INSC_IiEEEEfNS9_4plusIvEEfEEDaPvRmT3_T4_T5_mT6_P12ihipStream_tbENKUlT_T0_E_clISt17integral_constantIbLb1EESW_EEDaSR_SS_EUlSR_E_NS1_11comp_targetILNS1_3genE9ELNS1_11target_archE1100ELNS1_3gpuE3ELNS1_3repE0EEENS1_30default_config_static_selectorELNS0_4arch9wavefront6targetE1EEEvT1_
	.p2align	8
	.type	_ZN7rocprim17ROCPRIM_400000_NS6detail17trampoline_kernelINS0_14default_configENS1_20scan_config_selectorIfEEZZNS1_9scan_implILNS1_25lookback_scan_determinismE0ELb0ELb0ES3_N6thrust23THRUST_200600_302600_NS6detail15normal_iteratorINS9_10device_ptrIfEEEENSB_INSC_IiEEEEfNS9_4plusIvEEfEEDaPvRmT3_T4_T5_mT6_P12ihipStream_tbENKUlT_T0_E_clISt17integral_constantIbLb1EESW_EEDaSR_SS_EUlSR_E_NS1_11comp_targetILNS1_3genE9ELNS1_11target_archE1100ELNS1_3gpuE3ELNS1_3repE0EEENS1_30default_config_static_selectorELNS0_4arch9wavefront6targetE1EEEvT1_,@function
_ZN7rocprim17ROCPRIM_400000_NS6detail17trampoline_kernelINS0_14default_configENS1_20scan_config_selectorIfEEZZNS1_9scan_implILNS1_25lookback_scan_determinismE0ELb0ELb0ES3_N6thrust23THRUST_200600_302600_NS6detail15normal_iteratorINS9_10device_ptrIfEEEENSB_INSC_IiEEEEfNS9_4plusIvEEfEEDaPvRmT3_T4_T5_mT6_P12ihipStream_tbENKUlT_T0_E_clISt17integral_constantIbLb1EESW_EEDaSR_SS_EUlSR_E_NS1_11comp_targetILNS1_3genE9ELNS1_11target_archE1100ELNS1_3gpuE3ELNS1_3repE0EEENS1_30default_config_static_selectorELNS0_4arch9wavefront6targetE1EEEvT1_: ; @_ZN7rocprim17ROCPRIM_400000_NS6detail17trampoline_kernelINS0_14default_configENS1_20scan_config_selectorIfEEZZNS1_9scan_implILNS1_25lookback_scan_determinismE0ELb0ELb0ES3_N6thrust23THRUST_200600_302600_NS6detail15normal_iteratorINS9_10device_ptrIfEEEENSB_INSC_IiEEEEfNS9_4plusIvEEfEEDaPvRmT3_T4_T5_mT6_P12ihipStream_tbENKUlT_T0_E_clISt17integral_constantIbLb1EESW_EEDaSR_SS_EUlSR_E_NS1_11comp_targetILNS1_3genE9ELNS1_11target_archE1100ELNS1_3gpuE3ELNS1_3repE0EEENS1_30default_config_static_selectorELNS0_4arch9wavefront6targetE1EEEvT1_
; %bb.0:
	.section	.rodata,"a",@progbits
	.p2align	6, 0x0
	.amdhsa_kernel _ZN7rocprim17ROCPRIM_400000_NS6detail17trampoline_kernelINS0_14default_configENS1_20scan_config_selectorIfEEZZNS1_9scan_implILNS1_25lookback_scan_determinismE0ELb0ELb0ES3_N6thrust23THRUST_200600_302600_NS6detail15normal_iteratorINS9_10device_ptrIfEEEENSB_INSC_IiEEEEfNS9_4plusIvEEfEEDaPvRmT3_T4_T5_mT6_P12ihipStream_tbENKUlT_T0_E_clISt17integral_constantIbLb1EESW_EEDaSR_SS_EUlSR_E_NS1_11comp_targetILNS1_3genE9ELNS1_11target_archE1100ELNS1_3gpuE3ELNS1_3repE0EEENS1_30default_config_static_selectorELNS0_4arch9wavefront6targetE1EEEvT1_
		.amdhsa_group_segment_fixed_size 0
		.amdhsa_private_segment_fixed_size 0
		.amdhsa_kernarg_size 96
		.amdhsa_user_sgpr_count 6
		.amdhsa_user_sgpr_private_segment_buffer 1
		.amdhsa_user_sgpr_dispatch_ptr 0
		.amdhsa_user_sgpr_queue_ptr 0
		.amdhsa_user_sgpr_kernarg_segment_ptr 1
		.amdhsa_user_sgpr_dispatch_id 0
		.amdhsa_user_sgpr_flat_scratch_init 0
		.amdhsa_user_sgpr_kernarg_preload_length 0
		.amdhsa_user_sgpr_kernarg_preload_offset 0
		.amdhsa_user_sgpr_private_segment_size 0
		.amdhsa_uses_dynamic_stack 0
		.amdhsa_system_sgpr_private_segment_wavefront_offset 0
		.amdhsa_system_sgpr_workgroup_id_x 1
		.amdhsa_system_sgpr_workgroup_id_y 0
		.amdhsa_system_sgpr_workgroup_id_z 0
		.amdhsa_system_sgpr_workgroup_info 0
		.amdhsa_system_vgpr_workitem_id 0
		.amdhsa_next_free_vgpr 1
		.amdhsa_next_free_sgpr 0
		.amdhsa_accum_offset 4
		.amdhsa_reserve_vcc 0
		.amdhsa_reserve_flat_scratch 0
		.amdhsa_float_round_mode_32 0
		.amdhsa_float_round_mode_16_64 0
		.amdhsa_float_denorm_mode_32 3
		.amdhsa_float_denorm_mode_16_64 3
		.amdhsa_dx10_clamp 1
		.amdhsa_ieee_mode 1
		.amdhsa_fp16_overflow 0
		.amdhsa_tg_split 0
		.amdhsa_exception_fp_ieee_invalid_op 0
		.amdhsa_exception_fp_denorm_src 0
		.amdhsa_exception_fp_ieee_div_zero 0
		.amdhsa_exception_fp_ieee_overflow 0
		.amdhsa_exception_fp_ieee_underflow 0
		.amdhsa_exception_fp_ieee_inexact 0
		.amdhsa_exception_int_div_zero 0
	.end_amdhsa_kernel
	.section	.text._ZN7rocprim17ROCPRIM_400000_NS6detail17trampoline_kernelINS0_14default_configENS1_20scan_config_selectorIfEEZZNS1_9scan_implILNS1_25lookback_scan_determinismE0ELb0ELb0ES3_N6thrust23THRUST_200600_302600_NS6detail15normal_iteratorINS9_10device_ptrIfEEEENSB_INSC_IiEEEEfNS9_4plusIvEEfEEDaPvRmT3_T4_T5_mT6_P12ihipStream_tbENKUlT_T0_E_clISt17integral_constantIbLb1EESW_EEDaSR_SS_EUlSR_E_NS1_11comp_targetILNS1_3genE9ELNS1_11target_archE1100ELNS1_3gpuE3ELNS1_3repE0EEENS1_30default_config_static_selectorELNS0_4arch9wavefront6targetE1EEEvT1_,"axG",@progbits,_ZN7rocprim17ROCPRIM_400000_NS6detail17trampoline_kernelINS0_14default_configENS1_20scan_config_selectorIfEEZZNS1_9scan_implILNS1_25lookback_scan_determinismE0ELb0ELb0ES3_N6thrust23THRUST_200600_302600_NS6detail15normal_iteratorINS9_10device_ptrIfEEEENSB_INSC_IiEEEEfNS9_4plusIvEEfEEDaPvRmT3_T4_T5_mT6_P12ihipStream_tbENKUlT_T0_E_clISt17integral_constantIbLb1EESW_EEDaSR_SS_EUlSR_E_NS1_11comp_targetILNS1_3genE9ELNS1_11target_archE1100ELNS1_3gpuE3ELNS1_3repE0EEENS1_30default_config_static_selectorELNS0_4arch9wavefront6targetE1EEEvT1_,comdat
.Lfunc_end1447:
	.size	_ZN7rocprim17ROCPRIM_400000_NS6detail17trampoline_kernelINS0_14default_configENS1_20scan_config_selectorIfEEZZNS1_9scan_implILNS1_25lookback_scan_determinismE0ELb0ELb0ES3_N6thrust23THRUST_200600_302600_NS6detail15normal_iteratorINS9_10device_ptrIfEEEENSB_INSC_IiEEEEfNS9_4plusIvEEfEEDaPvRmT3_T4_T5_mT6_P12ihipStream_tbENKUlT_T0_E_clISt17integral_constantIbLb1EESW_EEDaSR_SS_EUlSR_E_NS1_11comp_targetILNS1_3genE9ELNS1_11target_archE1100ELNS1_3gpuE3ELNS1_3repE0EEENS1_30default_config_static_selectorELNS0_4arch9wavefront6targetE1EEEvT1_, .Lfunc_end1447-_ZN7rocprim17ROCPRIM_400000_NS6detail17trampoline_kernelINS0_14default_configENS1_20scan_config_selectorIfEEZZNS1_9scan_implILNS1_25lookback_scan_determinismE0ELb0ELb0ES3_N6thrust23THRUST_200600_302600_NS6detail15normal_iteratorINS9_10device_ptrIfEEEENSB_INSC_IiEEEEfNS9_4plusIvEEfEEDaPvRmT3_T4_T5_mT6_P12ihipStream_tbENKUlT_T0_E_clISt17integral_constantIbLb1EESW_EEDaSR_SS_EUlSR_E_NS1_11comp_targetILNS1_3genE9ELNS1_11target_archE1100ELNS1_3gpuE3ELNS1_3repE0EEENS1_30default_config_static_selectorELNS0_4arch9wavefront6targetE1EEEvT1_
                                        ; -- End function
	.section	.AMDGPU.csdata,"",@progbits
; Kernel info:
; codeLenInByte = 0
; NumSgprs: 4
; NumVgprs: 0
; NumAgprs: 0
; TotalNumVgprs: 0
; ScratchSize: 0
; MemoryBound: 0
; FloatMode: 240
; IeeeMode: 1
; LDSByteSize: 0 bytes/workgroup (compile time only)
; SGPRBlocks: 0
; VGPRBlocks: 0
; NumSGPRsForWavesPerEU: 4
; NumVGPRsForWavesPerEU: 1
; AccumOffset: 4
; Occupancy: 8
; WaveLimiterHint : 0
; COMPUTE_PGM_RSRC2:SCRATCH_EN: 0
; COMPUTE_PGM_RSRC2:USER_SGPR: 6
; COMPUTE_PGM_RSRC2:TRAP_HANDLER: 0
; COMPUTE_PGM_RSRC2:TGID_X_EN: 1
; COMPUTE_PGM_RSRC2:TGID_Y_EN: 0
; COMPUTE_PGM_RSRC2:TGID_Z_EN: 0
; COMPUTE_PGM_RSRC2:TIDIG_COMP_CNT: 0
; COMPUTE_PGM_RSRC3_GFX90A:ACCUM_OFFSET: 0
; COMPUTE_PGM_RSRC3_GFX90A:TG_SPLIT: 0
	.section	.text._ZN7rocprim17ROCPRIM_400000_NS6detail17trampoline_kernelINS0_14default_configENS1_20scan_config_selectorIfEEZZNS1_9scan_implILNS1_25lookback_scan_determinismE0ELb0ELb0ES3_N6thrust23THRUST_200600_302600_NS6detail15normal_iteratorINS9_10device_ptrIfEEEENSB_INSC_IiEEEEfNS9_4plusIvEEfEEDaPvRmT3_T4_T5_mT6_P12ihipStream_tbENKUlT_T0_E_clISt17integral_constantIbLb1EESW_EEDaSR_SS_EUlSR_E_NS1_11comp_targetILNS1_3genE8ELNS1_11target_archE1030ELNS1_3gpuE2ELNS1_3repE0EEENS1_30default_config_static_selectorELNS0_4arch9wavefront6targetE1EEEvT1_,"axG",@progbits,_ZN7rocprim17ROCPRIM_400000_NS6detail17trampoline_kernelINS0_14default_configENS1_20scan_config_selectorIfEEZZNS1_9scan_implILNS1_25lookback_scan_determinismE0ELb0ELb0ES3_N6thrust23THRUST_200600_302600_NS6detail15normal_iteratorINS9_10device_ptrIfEEEENSB_INSC_IiEEEEfNS9_4plusIvEEfEEDaPvRmT3_T4_T5_mT6_P12ihipStream_tbENKUlT_T0_E_clISt17integral_constantIbLb1EESW_EEDaSR_SS_EUlSR_E_NS1_11comp_targetILNS1_3genE8ELNS1_11target_archE1030ELNS1_3gpuE2ELNS1_3repE0EEENS1_30default_config_static_selectorELNS0_4arch9wavefront6targetE1EEEvT1_,comdat
	.protected	_ZN7rocprim17ROCPRIM_400000_NS6detail17trampoline_kernelINS0_14default_configENS1_20scan_config_selectorIfEEZZNS1_9scan_implILNS1_25lookback_scan_determinismE0ELb0ELb0ES3_N6thrust23THRUST_200600_302600_NS6detail15normal_iteratorINS9_10device_ptrIfEEEENSB_INSC_IiEEEEfNS9_4plusIvEEfEEDaPvRmT3_T4_T5_mT6_P12ihipStream_tbENKUlT_T0_E_clISt17integral_constantIbLb1EESW_EEDaSR_SS_EUlSR_E_NS1_11comp_targetILNS1_3genE8ELNS1_11target_archE1030ELNS1_3gpuE2ELNS1_3repE0EEENS1_30default_config_static_selectorELNS0_4arch9wavefront6targetE1EEEvT1_ ; -- Begin function _ZN7rocprim17ROCPRIM_400000_NS6detail17trampoline_kernelINS0_14default_configENS1_20scan_config_selectorIfEEZZNS1_9scan_implILNS1_25lookback_scan_determinismE0ELb0ELb0ES3_N6thrust23THRUST_200600_302600_NS6detail15normal_iteratorINS9_10device_ptrIfEEEENSB_INSC_IiEEEEfNS9_4plusIvEEfEEDaPvRmT3_T4_T5_mT6_P12ihipStream_tbENKUlT_T0_E_clISt17integral_constantIbLb1EESW_EEDaSR_SS_EUlSR_E_NS1_11comp_targetILNS1_3genE8ELNS1_11target_archE1030ELNS1_3gpuE2ELNS1_3repE0EEENS1_30default_config_static_selectorELNS0_4arch9wavefront6targetE1EEEvT1_
	.globl	_ZN7rocprim17ROCPRIM_400000_NS6detail17trampoline_kernelINS0_14default_configENS1_20scan_config_selectorIfEEZZNS1_9scan_implILNS1_25lookback_scan_determinismE0ELb0ELb0ES3_N6thrust23THRUST_200600_302600_NS6detail15normal_iteratorINS9_10device_ptrIfEEEENSB_INSC_IiEEEEfNS9_4plusIvEEfEEDaPvRmT3_T4_T5_mT6_P12ihipStream_tbENKUlT_T0_E_clISt17integral_constantIbLb1EESW_EEDaSR_SS_EUlSR_E_NS1_11comp_targetILNS1_3genE8ELNS1_11target_archE1030ELNS1_3gpuE2ELNS1_3repE0EEENS1_30default_config_static_selectorELNS0_4arch9wavefront6targetE1EEEvT1_
	.p2align	8
	.type	_ZN7rocprim17ROCPRIM_400000_NS6detail17trampoline_kernelINS0_14default_configENS1_20scan_config_selectorIfEEZZNS1_9scan_implILNS1_25lookback_scan_determinismE0ELb0ELb0ES3_N6thrust23THRUST_200600_302600_NS6detail15normal_iteratorINS9_10device_ptrIfEEEENSB_INSC_IiEEEEfNS9_4plusIvEEfEEDaPvRmT3_T4_T5_mT6_P12ihipStream_tbENKUlT_T0_E_clISt17integral_constantIbLb1EESW_EEDaSR_SS_EUlSR_E_NS1_11comp_targetILNS1_3genE8ELNS1_11target_archE1030ELNS1_3gpuE2ELNS1_3repE0EEENS1_30default_config_static_selectorELNS0_4arch9wavefront6targetE1EEEvT1_,@function
_ZN7rocprim17ROCPRIM_400000_NS6detail17trampoline_kernelINS0_14default_configENS1_20scan_config_selectorIfEEZZNS1_9scan_implILNS1_25lookback_scan_determinismE0ELb0ELb0ES3_N6thrust23THRUST_200600_302600_NS6detail15normal_iteratorINS9_10device_ptrIfEEEENSB_INSC_IiEEEEfNS9_4plusIvEEfEEDaPvRmT3_T4_T5_mT6_P12ihipStream_tbENKUlT_T0_E_clISt17integral_constantIbLb1EESW_EEDaSR_SS_EUlSR_E_NS1_11comp_targetILNS1_3genE8ELNS1_11target_archE1030ELNS1_3gpuE2ELNS1_3repE0EEENS1_30default_config_static_selectorELNS0_4arch9wavefront6targetE1EEEvT1_: ; @_ZN7rocprim17ROCPRIM_400000_NS6detail17trampoline_kernelINS0_14default_configENS1_20scan_config_selectorIfEEZZNS1_9scan_implILNS1_25lookback_scan_determinismE0ELb0ELb0ES3_N6thrust23THRUST_200600_302600_NS6detail15normal_iteratorINS9_10device_ptrIfEEEENSB_INSC_IiEEEEfNS9_4plusIvEEfEEDaPvRmT3_T4_T5_mT6_P12ihipStream_tbENKUlT_T0_E_clISt17integral_constantIbLb1EESW_EEDaSR_SS_EUlSR_E_NS1_11comp_targetILNS1_3genE8ELNS1_11target_archE1030ELNS1_3gpuE2ELNS1_3repE0EEENS1_30default_config_static_selectorELNS0_4arch9wavefront6targetE1EEEvT1_
; %bb.0:
	.section	.rodata,"a",@progbits
	.p2align	6, 0x0
	.amdhsa_kernel _ZN7rocprim17ROCPRIM_400000_NS6detail17trampoline_kernelINS0_14default_configENS1_20scan_config_selectorIfEEZZNS1_9scan_implILNS1_25lookback_scan_determinismE0ELb0ELb0ES3_N6thrust23THRUST_200600_302600_NS6detail15normal_iteratorINS9_10device_ptrIfEEEENSB_INSC_IiEEEEfNS9_4plusIvEEfEEDaPvRmT3_T4_T5_mT6_P12ihipStream_tbENKUlT_T0_E_clISt17integral_constantIbLb1EESW_EEDaSR_SS_EUlSR_E_NS1_11comp_targetILNS1_3genE8ELNS1_11target_archE1030ELNS1_3gpuE2ELNS1_3repE0EEENS1_30default_config_static_selectorELNS0_4arch9wavefront6targetE1EEEvT1_
		.amdhsa_group_segment_fixed_size 0
		.amdhsa_private_segment_fixed_size 0
		.amdhsa_kernarg_size 96
		.amdhsa_user_sgpr_count 6
		.amdhsa_user_sgpr_private_segment_buffer 1
		.amdhsa_user_sgpr_dispatch_ptr 0
		.amdhsa_user_sgpr_queue_ptr 0
		.amdhsa_user_sgpr_kernarg_segment_ptr 1
		.amdhsa_user_sgpr_dispatch_id 0
		.amdhsa_user_sgpr_flat_scratch_init 0
		.amdhsa_user_sgpr_kernarg_preload_length 0
		.amdhsa_user_sgpr_kernarg_preload_offset 0
		.amdhsa_user_sgpr_private_segment_size 0
		.amdhsa_uses_dynamic_stack 0
		.amdhsa_system_sgpr_private_segment_wavefront_offset 0
		.amdhsa_system_sgpr_workgroup_id_x 1
		.amdhsa_system_sgpr_workgroup_id_y 0
		.amdhsa_system_sgpr_workgroup_id_z 0
		.amdhsa_system_sgpr_workgroup_info 0
		.amdhsa_system_vgpr_workitem_id 0
		.amdhsa_next_free_vgpr 1
		.amdhsa_next_free_sgpr 0
		.amdhsa_accum_offset 4
		.amdhsa_reserve_vcc 0
		.amdhsa_reserve_flat_scratch 0
		.amdhsa_float_round_mode_32 0
		.amdhsa_float_round_mode_16_64 0
		.amdhsa_float_denorm_mode_32 3
		.amdhsa_float_denorm_mode_16_64 3
		.amdhsa_dx10_clamp 1
		.amdhsa_ieee_mode 1
		.amdhsa_fp16_overflow 0
		.amdhsa_tg_split 0
		.amdhsa_exception_fp_ieee_invalid_op 0
		.amdhsa_exception_fp_denorm_src 0
		.amdhsa_exception_fp_ieee_div_zero 0
		.amdhsa_exception_fp_ieee_overflow 0
		.amdhsa_exception_fp_ieee_underflow 0
		.amdhsa_exception_fp_ieee_inexact 0
		.amdhsa_exception_int_div_zero 0
	.end_amdhsa_kernel
	.section	.text._ZN7rocprim17ROCPRIM_400000_NS6detail17trampoline_kernelINS0_14default_configENS1_20scan_config_selectorIfEEZZNS1_9scan_implILNS1_25lookback_scan_determinismE0ELb0ELb0ES3_N6thrust23THRUST_200600_302600_NS6detail15normal_iteratorINS9_10device_ptrIfEEEENSB_INSC_IiEEEEfNS9_4plusIvEEfEEDaPvRmT3_T4_T5_mT6_P12ihipStream_tbENKUlT_T0_E_clISt17integral_constantIbLb1EESW_EEDaSR_SS_EUlSR_E_NS1_11comp_targetILNS1_3genE8ELNS1_11target_archE1030ELNS1_3gpuE2ELNS1_3repE0EEENS1_30default_config_static_selectorELNS0_4arch9wavefront6targetE1EEEvT1_,"axG",@progbits,_ZN7rocprim17ROCPRIM_400000_NS6detail17trampoline_kernelINS0_14default_configENS1_20scan_config_selectorIfEEZZNS1_9scan_implILNS1_25lookback_scan_determinismE0ELb0ELb0ES3_N6thrust23THRUST_200600_302600_NS6detail15normal_iteratorINS9_10device_ptrIfEEEENSB_INSC_IiEEEEfNS9_4plusIvEEfEEDaPvRmT3_T4_T5_mT6_P12ihipStream_tbENKUlT_T0_E_clISt17integral_constantIbLb1EESW_EEDaSR_SS_EUlSR_E_NS1_11comp_targetILNS1_3genE8ELNS1_11target_archE1030ELNS1_3gpuE2ELNS1_3repE0EEENS1_30default_config_static_selectorELNS0_4arch9wavefront6targetE1EEEvT1_,comdat
.Lfunc_end1448:
	.size	_ZN7rocprim17ROCPRIM_400000_NS6detail17trampoline_kernelINS0_14default_configENS1_20scan_config_selectorIfEEZZNS1_9scan_implILNS1_25lookback_scan_determinismE0ELb0ELb0ES3_N6thrust23THRUST_200600_302600_NS6detail15normal_iteratorINS9_10device_ptrIfEEEENSB_INSC_IiEEEEfNS9_4plusIvEEfEEDaPvRmT3_T4_T5_mT6_P12ihipStream_tbENKUlT_T0_E_clISt17integral_constantIbLb1EESW_EEDaSR_SS_EUlSR_E_NS1_11comp_targetILNS1_3genE8ELNS1_11target_archE1030ELNS1_3gpuE2ELNS1_3repE0EEENS1_30default_config_static_selectorELNS0_4arch9wavefront6targetE1EEEvT1_, .Lfunc_end1448-_ZN7rocprim17ROCPRIM_400000_NS6detail17trampoline_kernelINS0_14default_configENS1_20scan_config_selectorIfEEZZNS1_9scan_implILNS1_25lookback_scan_determinismE0ELb0ELb0ES3_N6thrust23THRUST_200600_302600_NS6detail15normal_iteratorINS9_10device_ptrIfEEEENSB_INSC_IiEEEEfNS9_4plusIvEEfEEDaPvRmT3_T4_T5_mT6_P12ihipStream_tbENKUlT_T0_E_clISt17integral_constantIbLb1EESW_EEDaSR_SS_EUlSR_E_NS1_11comp_targetILNS1_3genE8ELNS1_11target_archE1030ELNS1_3gpuE2ELNS1_3repE0EEENS1_30default_config_static_selectorELNS0_4arch9wavefront6targetE1EEEvT1_
                                        ; -- End function
	.section	.AMDGPU.csdata,"",@progbits
; Kernel info:
; codeLenInByte = 0
; NumSgprs: 4
; NumVgprs: 0
; NumAgprs: 0
; TotalNumVgprs: 0
; ScratchSize: 0
; MemoryBound: 0
; FloatMode: 240
; IeeeMode: 1
; LDSByteSize: 0 bytes/workgroup (compile time only)
; SGPRBlocks: 0
; VGPRBlocks: 0
; NumSGPRsForWavesPerEU: 4
; NumVGPRsForWavesPerEU: 1
; AccumOffset: 4
; Occupancy: 8
; WaveLimiterHint : 0
; COMPUTE_PGM_RSRC2:SCRATCH_EN: 0
; COMPUTE_PGM_RSRC2:USER_SGPR: 6
; COMPUTE_PGM_RSRC2:TRAP_HANDLER: 0
; COMPUTE_PGM_RSRC2:TGID_X_EN: 1
; COMPUTE_PGM_RSRC2:TGID_Y_EN: 0
; COMPUTE_PGM_RSRC2:TGID_Z_EN: 0
; COMPUTE_PGM_RSRC2:TIDIG_COMP_CNT: 0
; COMPUTE_PGM_RSRC3_GFX90A:ACCUM_OFFSET: 0
; COMPUTE_PGM_RSRC3_GFX90A:TG_SPLIT: 0
	.section	.text._ZN7rocprim17ROCPRIM_400000_NS6detail17trampoline_kernelINS0_14default_configENS1_20scan_config_selectorIfEEZZNS1_9scan_implILNS1_25lookback_scan_determinismE0ELb0ELb0ES3_N6thrust23THRUST_200600_302600_NS6detail15normal_iteratorINS9_10device_ptrIfEEEENSB_INSC_IiEEEEfNS9_4plusIvEEfEEDaPvRmT3_T4_T5_mT6_P12ihipStream_tbENKUlT_T0_E_clISt17integral_constantIbLb1EESW_EEDaSR_SS_EUlSR_E0_NS1_11comp_targetILNS1_3genE0ELNS1_11target_archE4294967295ELNS1_3gpuE0ELNS1_3repE0EEENS1_30default_config_static_selectorELNS0_4arch9wavefront6targetE1EEEvT1_,"axG",@progbits,_ZN7rocprim17ROCPRIM_400000_NS6detail17trampoline_kernelINS0_14default_configENS1_20scan_config_selectorIfEEZZNS1_9scan_implILNS1_25lookback_scan_determinismE0ELb0ELb0ES3_N6thrust23THRUST_200600_302600_NS6detail15normal_iteratorINS9_10device_ptrIfEEEENSB_INSC_IiEEEEfNS9_4plusIvEEfEEDaPvRmT3_T4_T5_mT6_P12ihipStream_tbENKUlT_T0_E_clISt17integral_constantIbLb1EESW_EEDaSR_SS_EUlSR_E0_NS1_11comp_targetILNS1_3genE0ELNS1_11target_archE4294967295ELNS1_3gpuE0ELNS1_3repE0EEENS1_30default_config_static_selectorELNS0_4arch9wavefront6targetE1EEEvT1_,comdat
	.protected	_ZN7rocprim17ROCPRIM_400000_NS6detail17trampoline_kernelINS0_14default_configENS1_20scan_config_selectorIfEEZZNS1_9scan_implILNS1_25lookback_scan_determinismE0ELb0ELb0ES3_N6thrust23THRUST_200600_302600_NS6detail15normal_iteratorINS9_10device_ptrIfEEEENSB_INSC_IiEEEEfNS9_4plusIvEEfEEDaPvRmT3_T4_T5_mT6_P12ihipStream_tbENKUlT_T0_E_clISt17integral_constantIbLb1EESW_EEDaSR_SS_EUlSR_E0_NS1_11comp_targetILNS1_3genE0ELNS1_11target_archE4294967295ELNS1_3gpuE0ELNS1_3repE0EEENS1_30default_config_static_selectorELNS0_4arch9wavefront6targetE1EEEvT1_ ; -- Begin function _ZN7rocprim17ROCPRIM_400000_NS6detail17trampoline_kernelINS0_14default_configENS1_20scan_config_selectorIfEEZZNS1_9scan_implILNS1_25lookback_scan_determinismE0ELb0ELb0ES3_N6thrust23THRUST_200600_302600_NS6detail15normal_iteratorINS9_10device_ptrIfEEEENSB_INSC_IiEEEEfNS9_4plusIvEEfEEDaPvRmT3_T4_T5_mT6_P12ihipStream_tbENKUlT_T0_E_clISt17integral_constantIbLb1EESW_EEDaSR_SS_EUlSR_E0_NS1_11comp_targetILNS1_3genE0ELNS1_11target_archE4294967295ELNS1_3gpuE0ELNS1_3repE0EEENS1_30default_config_static_selectorELNS0_4arch9wavefront6targetE1EEEvT1_
	.globl	_ZN7rocprim17ROCPRIM_400000_NS6detail17trampoline_kernelINS0_14default_configENS1_20scan_config_selectorIfEEZZNS1_9scan_implILNS1_25lookback_scan_determinismE0ELb0ELb0ES3_N6thrust23THRUST_200600_302600_NS6detail15normal_iteratorINS9_10device_ptrIfEEEENSB_INSC_IiEEEEfNS9_4plusIvEEfEEDaPvRmT3_T4_T5_mT6_P12ihipStream_tbENKUlT_T0_E_clISt17integral_constantIbLb1EESW_EEDaSR_SS_EUlSR_E0_NS1_11comp_targetILNS1_3genE0ELNS1_11target_archE4294967295ELNS1_3gpuE0ELNS1_3repE0EEENS1_30default_config_static_selectorELNS0_4arch9wavefront6targetE1EEEvT1_
	.p2align	8
	.type	_ZN7rocprim17ROCPRIM_400000_NS6detail17trampoline_kernelINS0_14default_configENS1_20scan_config_selectorIfEEZZNS1_9scan_implILNS1_25lookback_scan_determinismE0ELb0ELb0ES3_N6thrust23THRUST_200600_302600_NS6detail15normal_iteratorINS9_10device_ptrIfEEEENSB_INSC_IiEEEEfNS9_4plusIvEEfEEDaPvRmT3_T4_T5_mT6_P12ihipStream_tbENKUlT_T0_E_clISt17integral_constantIbLb1EESW_EEDaSR_SS_EUlSR_E0_NS1_11comp_targetILNS1_3genE0ELNS1_11target_archE4294967295ELNS1_3gpuE0ELNS1_3repE0EEENS1_30default_config_static_selectorELNS0_4arch9wavefront6targetE1EEEvT1_,@function
_ZN7rocprim17ROCPRIM_400000_NS6detail17trampoline_kernelINS0_14default_configENS1_20scan_config_selectorIfEEZZNS1_9scan_implILNS1_25lookback_scan_determinismE0ELb0ELb0ES3_N6thrust23THRUST_200600_302600_NS6detail15normal_iteratorINS9_10device_ptrIfEEEENSB_INSC_IiEEEEfNS9_4plusIvEEfEEDaPvRmT3_T4_T5_mT6_P12ihipStream_tbENKUlT_T0_E_clISt17integral_constantIbLb1EESW_EEDaSR_SS_EUlSR_E0_NS1_11comp_targetILNS1_3genE0ELNS1_11target_archE4294967295ELNS1_3gpuE0ELNS1_3repE0EEENS1_30default_config_static_selectorELNS0_4arch9wavefront6targetE1EEEvT1_: ; @_ZN7rocprim17ROCPRIM_400000_NS6detail17trampoline_kernelINS0_14default_configENS1_20scan_config_selectorIfEEZZNS1_9scan_implILNS1_25lookback_scan_determinismE0ELb0ELb0ES3_N6thrust23THRUST_200600_302600_NS6detail15normal_iteratorINS9_10device_ptrIfEEEENSB_INSC_IiEEEEfNS9_4plusIvEEfEEDaPvRmT3_T4_T5_mT6_P12ihipStream_tbENKUlT_T0_E_clISt17integral_constantIbLb1EESW_EEDaSR_SS_EUlSR_E0_NS1_11comp_targetILNS1_3genE0ELNS1_11target_archE4294967295ELNS1_3gpuE0ELNS1_3repE0EEENS1_30default_config_static_selectorELNS0_4arch9wavefront6targetE1EEEvT1_
; %bb.0:
	.section	.rodata,"a",@progbits
	.p2align	6, 0x0
	.amdhsa_kernel _ZN7rocprim17ROCPRIM_400000_NS6detail17trampoline_kernelINS0_14default_configENS1_20scan_config_selectorIfEEZZNS1_9scan_implILNS1_25lookback_scan_determinismE0ELb0ELb0ES3_N6thrust23THRUST_200600_302600_NS6detail15normal_iteratorINS9_10device_ptrIfEEEENSB_INSC_IiEEEEfNS9_4plusIvEEfEEDaPvRmT3_T4_T5_mT6_P12ihipStream_tbENKUlT_T0_E_clISt17integral_constantIbLb1EESW_EEDaSR_SS_EUlSR_E0_NS1_11comp_targetILNS1_3genE0ELNS1_11target_archE4294967295ELNS1_3gpuE0ELNS1_3repE0EEENS1_30default_config_static_selectorELNS0_4arch9wavefront6targetE1EEEvT1_
		.amdhsa_group_segment_fixed_size 0
		.amdhsa_private_segment_fixed_size 0
		.amdhsa_kernarg_size 32
		.amdhsa_user_sgpr_count 6
		.amdhsa_user_sgpr_private_segment_buffer 1
		.amdhsa_user_sgpr_dispatch_ptr 0
		.amdhsa_user_sgpr_queue_ptr 0
		.amdhsa_user_sgpr_kernarg_segment_ptr 1
		.amdhsa_user_sgpr_dispatch_id 0
		.amdhsa_user_sgpr_flat_scratch_init 0
		.amdhsa_user_sgpr_kernarg_preload_length 0
		.amdhsa_user_sgpr_kernarg_preload_offset 0
		.amdhsa_user_sgpr_private_segment_size 0
		.amdhsa_uses_dynamic_stack 0
		.amdhsa_system_sgpr_private_segment_wavefront_offset 0
		.amdhsa_system_sgpr_workgroup_id_x 1
		.amdhsa_system_sgpr_workgroup_id_y 0
		.amdhsa_system_sgpr_workgroup_id_z 0
		.amdhsa_system_sgpr_workgroup_info 0
		.amdhsa_system_vgpr_workitem_id 0
		.amdhsa_next_free_vgpr 1
		.amdhsa_next_free_sgpr 0
		.amdhsa_accum_offset 4
		.amdhsa_reserve_vcc 0
		.amdhsa_reserve_flat_scratch 0
		.amdhsa_float_round_mode_32 0
		.amdhsa_float_round_mode_16_64 0
		.amdhsa_float_denorm_mode_32 3
		.amdhsa_float_denorm_mode_16_64 3
		.amdhsa_dx10_clamp 1
		.amdhsa_ieee_mode 1
		.amdhsa_fp16_overflow 0
		.amdhsa_tg_split 0
		.amdhsa_exception_fp_ieee_invalid_op 0
		.amdhsa_exception_fp_denorm_src 0
		.amdhsa_exception_fp_ieee_div_zero 0
		.amdhsa_exception_fp_ieee_overflow 0
		.amdhsa_exception_fp_ieee_underflow 0
		.amdhsa_exception_fp_ieee_inexact 0
		.amdhsa_exception_int_div_zero 0
	.end_amdhsa_kernel
	.section	.text._ZN7rocprim17ROCPRIM_400000_NS6detail17trampoline_kernelINS0_14default_configENS1_20scan_config_selectorIfEEZZNS1_9scan_implILNS1_25lookback_scan_determinismE0ELb0ELb0ES3_N6thrust23THRUST_200600_302600_NS6detail15normal_iteratorINS9_10device_ptrIfEEEENSB_INSC_IiEEEEfNS9_4plusIvEEfEEDaPvRmT3_T4_T5_mT6_P12ihipStream_tbENKUlT_T0_E_clISt17integral_constantIbLb1EESW_EEDaSR_SS_EUlSR_E0_NS1_11comp_targetILNS1_3genE0ELNS1_11target_archE4294967295ELNS1_3gpuE0ELNS1_3repE0EEENS1_30default_config_static_selectorELNS0_4arch9wavefront6targetE1EEEvT1_,"axG",@progbits,_ZN7rocprim17ROCPRIM_400000_NS6detail17trampoline_kernelINS0_14default_configENS1_20scan_config_selectorIfEEZZNS1_9scan_implILNS1_25lookback_scan_determinismE0ELb0ELb0ES3_N6thrust23THRUST_200600_302600_NS6detail15normal_iteratorINS9_10device_ptrIfEEEENSB_INSC_IiEEEEfNS9_4plusIvEEfEEDaPvRmT3_T4_T5_mT6_P12ihipStream_tbENKUlT_T0_E_clISt17integral_constantIbLb1EESW_EEDaSR_SS_EUlSR_E0_NS1_11comp_targetILNS1_3genE0ELNS1_11target_archE4294967295ELNS1_3gpuE0ELNS1_3repE0EEENS1_30default_config_static_selectorELNS0_4arch9wavefront6targetE1EEEvT1_,comdat
.Lfunc_end1449:
	.size	_ZN7rocprim17ROCPRIM_400000_NS6detail17trampoline_kernelINS0_14default_configENS1_20scan_config_selectorIfEEZZNS1_9scan_implILNS1_25lookback_scan_determinismE0ELb0ELb0ES3_N6thrust23THRUST_200600_302600_NS6detail15normal_iteratorINS9_10device_ptrIfEEEENSB_INSC_IiEEEEfNS9_4plusIvEEfEEDaPvRmT3_T4_T5_mT6_P12ihipStream_tbENKUlT_T0_E_clISt17integral_constantIbLb1EESW_EEDaSR_SS_EUlSR_E0_NS1_11comp_targetILNS1_3genE0ELNS1_11target_archE4294967295ELNS1_3gpuE0ELNS1_3repE0EEENS1_30default_config_static_selectorELNS0_4arch9wavefront6targetE1EEEvT1_, .Lfunc_end1449-_ZN7rocprim17ROCPRIM_400000_NS6detail17trampoline_kernelINS0_14default_configENS1_20scan_config_selectorIfEEZZNS1_9scan_implILNS1_25lookback_scan_determinismE0ELb0ELb0ES3_N6thrust23THRUST_200600_302600_NS6detail15normal_iteratorINS9_10device_ptrIfEEEENSB_INSC_IiEEEEfNS9_4plusIvEEfEEDaPvRmT3_T4_T5_mT6_P12ihipStream_tbENKUlT_T0_E_clISt17integral_constantIbLb1EESW_EEDaSR_SS_EUlSR_E0_NS1_11comp_targetILNS1_3genE0ELNS1_11target_archE4294967295ELNS1_3gpuE0ELNS1_3repE0EEENS1_30default_config_static_selectorELNS0_4arch9wavefront6targetE1EEEvT1_
                                        ; -- End function
	.section	.AMDGPU.csdata,"",@progbits
; Kernel info:
; codeLenInByte = 0
; NumSgprs: 4
; NumVgprs: 0
; NumAgprs: 0
; TotalNumVgprs: 0
; ScratchSize: 0
; MemoryBound: 0
; FloatMode: 240
; IeeeMode: 1
; LDSByteSize: 0 bytes/workgroup (compile time only)
; SGPRBlocks: 0
; VGPRBlocks: 0
; NumSGPRsForWavesPerEU: 4
; NumVGPRsForWavesPerEU: 1
; AccumOffset: 4
; Occupancy: 8
; WaveLimiterHint : 0
; COMPUTE_PGM_RSRC2:SCRATCH_EN: 0
; COMPUTE_PGM_RSRC2:USER_SGPR: 6
; COMPUTE_PGM_RSRC2:TRAP_HANDLER: 0
; COMPUTE_PGM_RSRC2:TGID_X_EN: 1
; COMPUTE_PGM_RSRC2:TGID_Y_EN: 0
; COMPUTE_PGM_RSRC2:TGID_Z_EN: 0
; COMPUTE_PGM_RSRC2:TIDIG_COMP_CNT: 0
; COMPUTE_PGM_RSRC3_GFX90A:ACCUM_OFFSET: 0
; COMPUTE_PGM_RSRC3_GFX90A:TG_SPLIT: 0
	.section	.text._ZN7rocprim17ROCPRIM_400000_NS6detail17trampoline_kernelINS0_14default_configENS1_20scan_config_selectorIfEEZZNS1_9scan_implILNS1_25lookback_scan_determinismE0ELb0ELb0ES3_N6thrust23THRUST_200600_302600_NS6detail15normal_iteratorINS9_10device_ptrIfEEEENSB_INSC_IiEEEEfNS9_4plusIvEEfEEDaPvRmT3_T4_T5_mT6_P12ihipStream_tbENKUlT_T0_E_clISt17integral_constantIbLb1EESW_EEDaSR_SS_EUlSR_E0_NS1_11comp_targetILNS1_3genE5ELNS1_11target_archE942ELNS1_3gpuE9ELNS1_3repE0EEENS1_30default_config_static_selectorELNS0_4arch9wavefront6targetE1EEEvT1_,"axG",@progbits,_ZN7rocprim17ROCPRIM_400000_NS6detail17trampoline_kernelINS0_14default_configENS1_20scan_config_selectorIfEEZZNS1_9scan_implILNS1_25lookback_scan_determinismE0ELb0ELb0ES3_N6thrust23THRUST_200600_302600_NS6detail15normal_iteratorINS9_10device_ptrIfEEEENSB_INSC_IiEEEEfNS9_4plusIvEEfEEDaPvRmT3_T4_T5_mT6_P12ihipStream_tbENKUlT_T0_E_clISt17integral_constantIbLb1EESW_EEDaSR_SS_EUlSR_E0_NS1_11comp_targetILNS1_3genE5ELNS1_11target_archE942ELNS1_3gpuE9ELNS1_3repE0EEENS1_30default_config_static_selectorELNS0_4arch9wavefront6targetE1EEEvT1_,comdat
	.protected	_ZN7rocprim17ROCPRIM_400000_NS6detail17trampoline_kernelINS0_14default_configENS1_20scan_config_selectorIfEEZZNS1_9scan_implILNS1_25lookback_scan_determinismE0ELb0ELb0ES3_N6thrust23THRUST_200600_302600_NS6detail15normal_iteratorINS9_10device_ptrIfEEEENSB_INSC_IiEEEEfNS9_4plusIvEEfEEDaPvRmT3_T4_T5_mT6_P12ihipStream_tbENKUlT_T0_E_clISt17integral_constantIbLb1EESW_EEDaSR_SS_EUlSR_E0_NS1_11comp_targetILNS1_3genE5ELNS1_11target_archE942ELNS1_3gpuE9ELNS1_3repE0EEENS1_30default_config_static_selectorELNS0_4arch9wavefront6targetE1EEEvT1_ ; -- Begin function _ZN7rocprim17ROCPRIM_400000_NS6detail17trampoline_kernelINS0_14default_configENS1_20scan_config_selectorIfEEZZNS1_9scan_implILNS1_25lookback_scan_determinismE0ELb0ELb0ES3_N6thrust23THRUST_200600_302600_NS6detail15normal_iteratorINS9_10device_ptrIfEEEENSB_INSC_IiEEEEfNS9_4plusIvEEfEEDaPvRmT3_T4_T5_mT6_P12ihipStream_tbENKUlT_T0_E_clISt17integral_constantIbLb1EESW_EEDaSR_SS_EUlSR_E0_NS1_11comp_targetILNS1_3genE5ELNS1_11target_archE942ELNS1_3gpuE9ELNS1_3repE0EEENS1_30default_config_static_selectorELNS0_4arch9wavefront6targetE1EEEvT1_
	.globl	_ZN7rocprim17ROCPRIM_400000_NS6detail17trampoline_kernelINS0_14default_configENS1_20scan_config_selectorIfEEZZNS1_9scan_implILNS1_25lookback_scan_determinismE0ELb0ELb0ES3_N6thrust23THRUST_200600_302600_NS6detail15normal_iteratorINS9_10device_ptrIfEEEENSB_INSC_IiEEEEfNS9_4plusIvEEfEEDaPvRmT3_T4_T5_mT6_P12ihipStream_tbENKUlT_T0_E_clISt17integral_constantIbLb1EESW_EEDaSR_SS_EUlSR_E0_NS1_11comp_targetILNS1_3genE5ELNS1_11target_archE942ELNS1_3gpuE9ELNS1_3repE0EEENS1_30default_config_static_selectorELNS0_4arch9wavefront6targetE1EEEvT1_
	.p2align	8
	.type	_ZN7rocprim17ROCPRIM_400000_NS6detail17trampoline_kernelINS0_14default_configENS1_20scan_config_selectorIfEEZZNS1_9scan_implILNS1_25lookback_scan_determinismE0ELb0ELb0ES3_N6thrust23THRUST_200600_302600_NS6detail15normal_iteratorINS9_10device_ptrIfEEEENSB_INSC_IiEEEEfNS9_4plusIvEEfEEDaPvRmT3_T4_T5_mT6_P12ihipStream_tbENKUlT_T0_E_clISt17integral_constantIbLb1EESW_EEDaSR_SS_EUlSR_E0_NS1_11comp_targetILNS1_3genE5ELNS1_11target_archE942ELNS1_3gpuE9ELNS1_3repE0EEENS1_30default_config_static_selectorELNS0_4arch9wavefront6targetE1EEEvT1_,@function
_ZN7rocprim17ROCPRIM_400000_NS6detail17trampoline_kernelINS0_14default_configENS1_20scan_config_selectorIfEEZZNS1_9scan_implILNS1_25lookback_scan_determinismE0ELb0ELb0ES3_N6thrust23THRUST_200600_302600_NS6detail15normal_iteratorINS9_10device_ptrIfEEEENSB_INSC_IiEEEEfNS9_4plusIvEEfEEDaPvRmT3_T4_T5_mT6_P12ihipStream_tbENKUlT_T0_E_clISt17integral_constantIbLb1EESW_EEDaSR_SS_EUlSR_E0_NS1_11comp_targetILNS1_3genE5ELNS1_11target_archE942ELNS1_3gpuE9ELNS1_3repE0EEENS1_30default_config_static_selectorELNS0_4arch9wavefront6targetE1EEEvT1_: ; @_ZN7rocprim17ROCPRIM_400000_NS6detail17trampoline_kernelINS0_14default_configENS1_20scan_config_selectorIfEEZZNS1_9scan_implILNS1_25lookback_scan_determinismE0ELb0ELb0ES3_N6thrust23THRUST_200600_302600_NS6detail15normal_iteratorINS9_10device_ptrIfEEEENSB_INSC_IiEEEEfNS9_4plusIvEEfEEDaPvRmT3_T4_T5_mT6_P12ihipStream_tbENKUlT_T0_E_clISt17integral_constantIbLb1EESW_EEDaSR_SS_EUlSR_E0_NS1_11comp_targetILNS1_3genE5ELNS1_11target_archE942ELNS1_3gpuE9ELNS1_3repE0EEENS1_30default_config_static_selectorELNS0_4arch9wavefront6targetE1EEEvT1_
; %bb.0:
	.section	.rodata,"a",@progbits
	.p2align	6, 0x0
	.amdhsa_kernel _ZN7rocprim17ROCPRIM_400000_NS6detail17trampoline_kernelINS0_14default_configENS1_20scan_config_selectorIfEEZZNS1_9scan_implILNS1_25lookback_scan_determinismE0ELb0ELb0ES3_N6thrust23THRUST_200600_302600_NS6detail15normal_iteratorINS9_10device_ptrIfEEEENSB_INSC_IiEEEEfNS9_4plusIvEEfEEDaPvRmT3_T4_T5_mT6_P12ihipStream_tbENKUlT_T0_E_clISt17integral_constantIbLb1EESW_EEDaSR_SS_EUlSR_E0_NS1_11comp_targetILNS1_3genE5ELNS1_11target_archE942ELNS1_3gpuE9ELNS1_3repE0EEENS1_30default_config_static_selectorELNS0_4arch9wavefront6targetE1EEEvT1_
		.amdhsa_group_segment_fixed_size 0
		.amdhsa_private_segment_fixed_size 0
		.amdhsa_kernarg_size 32
		.amdhsa_user_sgpr_count 6
		.amdhsa_user_sgpr_private_segment_buffer 1
		.amdhsa_user_sgpr_dispatch_ptr 0
		.amdhsa_user_sgpr_queue_ptr 0
		.amdhsa_user_sgpr_kernarg_segment_ptr 1
		.amdhsa_user_sgpr_dispatch_id 0
		.amdhsa_user_sgpr_flat_scratch_init 0
		.amdhsa_user_sgpr_kernarg_preload_length 0
		.amdhsa_user_sgpr_kernarg_preload_offset 0
		.amdhsa_user_sgpr_private_segment_size 0
		.amdhsa_uses_dynamic_stack 0
		.amdhsa_system_sgpr_private_segment_wavefront_offset 0
		.amdhsa_system_sgpr_workgroup_id_x 1
		.amdhsa_system_sgpr_workgroup_id_y 0
		.amdhsa_system_sgpr_workgroup_id_z 0
		.amdhsa_system_sgpr_workgroup_info 0
		.amdhsa_system_vgpr_workitem_id 0
		.amdhsa_next_free_vgpr 1
		.amdhsa_next_free_sgpr 0
		.amdhsa_accum_offset 4
		.amdhsa_reserve_vcc 0
		.amdhsa_reserve_flat_scratch 0
		.amdhsa_float_round_mode_32 0
		.amdhsa_float_round_mode_16_64 0
		.amdhsa_float_denorm_mode_32 3
		.amdhsa_float_denorm_mode_16_64 3
		.amdhsa_dx10_clamp 1
		.amdhsa_ieee_mode 1
		.amdhsa_fp16_overflow 0
		.amdhsa_tg_split 0
		.amdhsa_exception_fp_ieee_invalid_op 0
		.amdhsa_exception_fp_denorm_src 0
		.amdhsa_exception_fp_ieee_div_zero 0
		.amdhsa_exception_fp_ieee_overflow 0
		.amdhsa_exception_fp_ieee_underflow 0
		.amdhsa_exception_fp_ieee_inexact 0
		.amdhsa_exception_int_div_zero 0
	.end_amdhsa_kernel
	.section	.text._ZN7rocprim17ROCPRIM_400000_NS6detail17trampoline_kernelINS0_14default_configENS1_20scan_config_selectorIfEEZZNS1_9scan_implILNS1_25lookback_scan_determinismE0ELb0ELb0ES3_N6thrust23THRUST_200600_302600_NS6detail15normal_iteratorINS9_10device_ptrIfEEEENSB_INSC_IiEEEEfNS9_4plusIvEEfEEDaPvRmT3_T4_T5_mT6_P12ihipStream_tbENKUlT_T0_E_clISt17integral_constantIbLb1EESW_EEDaSR_SS_EUlSR_E0_NS1_11comp_targetILNS1_3genE5ELNS1_11target_archE942ELNS1_3gpuE9ELNS1_3repE0EEENS1_30default_config_static_selectorELNS0_4arch9wavefront6targetE1EEEvT1_,"axG",@progbits,_ZN7rocprim17ROCPRIM_400000_NS6detail17trampoline_kernelINS0_14default_configENS1_20scan_config_selectorIfEEZZNS1_9scan_implILNS1_25lookback_scan_determinismE0ELb0ELb0ES3_N6thrust23THRUST_200600_302600_NS6detail15normal_iteratorINS9_10device_ptrIfEEEENSB_INSC_IiEEEEfNS9_4plusIvEEfEEDaPvRmT3_T4_T5_mT6_P12ihipStream_tbENKUlT_T0_E_clISt17integral_constantIbLb1EESW_EEDaSR_SS_EUlSR_E0_NS1_11comp_targetILNS1_3genE5ELNS1_11target_archE942ELNS1_3gpuE9ELNS1_3repE0EEENS1_30default_config_static_selectorELNS0_4arch9wavefront6targetE1EEEvT1_,comdat
.Lfunc_end1450:
	.size	_ZN7rocprim17ROCPRIM_400000_NS6detail17trampoline_kernelINS0_14default_configENS1_20scan_config_selectorIfEEZZNS1_9scan_implILNS1_25lookback_scan_determinismE0ELb0ELb0ES3_N6thrust23THRUST_200600_302600_NS6detail15normal_iteratorINS9_10device_ptrIfEEEENSB_INSC_IiEEEEfNS9_4plusIvEEfEEDaPvRmT3_T4_T5_mT6_P12ihipStream_tbENKUlT_T0_E_clISt17integral_constantIbLb1EESW_EEDaSR_SS_EUlSR_E0_NS1_11comp_targetILNS1_3genE5ELNS1_11target_archE942ELNS1_3gpuE9ELNS1_3repE0EEENS1_30default_config_static_selectorELNS0_4arch9wavefront6targetE1EEEvT1_, .Lfunc_end1450-_ZN7rocprim17ROCPRIM_400000_NS6detail17trampoline_kernelINS0_14default_configENS1_20scan_config_selectorIfEEZZNS1_9scan_implILNS1_25lookback_scan_determinismE0ELb0ELb0ES3_N6thrust23THRUST_200600_302600_NS6detail15normal_iteratorINS9_10device_ptrIfEEEENSB_INSC_IiEEEEfNS9_4plusIvEEfEEDaPvRmT3_T4_T5_mT6_P12ihipStream_tbENKUlT_T0_E_clISt17integral_constantIbLb1EESW_EEDaSR_SS_EUlSR_E0_NS1_11comp_targetILNS1_3genE5ELNS1_11target_archE942ELNS1_3gpuE9ELNS1_3repE0EEENS1_30default_config_static_selectorELNS0_4arch9wavefront6targetE1EEEvT1_
                                        ; -- End function
	.section	.AMDGPU.csdata,"",@progbits
; Kernel info:
; codeLenInByte = 0
; NumSgprs: 4
; NumVgprs: 0
; NumAgprs: 0
; TotalNumVgprs: 0
; ScratchSize: 0
; MemoryBound: 0
; FloatMode: 240
; IeeeMode: 1
; LDSByteSize: 0 bytes/workgroup (compile time only)
; SGPRBlocks: 0
; VGPRBlocks: 0
; NumSGPRsForWavesPerEU: 4
; NumVGPRsForWavesPerEU: 1
; AccumOffset: 4
; Occupancy: 8
; WaveLimiterHint : 0
; COMPUTE_PGM_RSRC2:SCRATCH_EN: 0
; COMPUTE_PGM_RSRC2:USER_SGPR: 6
; COMPUTE_PGM_RSRC2:TRAP_HANDLER: 0
; COMPUTE_PGM_RSRC2:TGID_X_EN: 1
; COMPUTE_PGM_RSRC2:TGID_Y_EN: 0
; COMPUTE_PGM_RSRC2:TGID_Z_EN: 0
; COMPUTE_PGM_RSRC2:TIDIG_COMP_CNT: 0
; COMPUTE_PGM_RSRC3_GFX90A:ACCUM_OFFSET: 0
; COMPUTE_PGM_RSRC3_GFX90A:TG_SPLIT: 0
	.section	.text._ZN7rocprim17ROCPRIM_400000_NS6detail17trampoline_kernelINS0_14default_configENS1_20scan_config_selectorIfEEZZNS1_9scan_implILNS1_25lookback_scan_determinismE0ELb0ELb0ES3_N6thrust23THRUST_200600_302600_NS6detail15normal_iteratorINS9_10device_ptrIfEEEENSB_INSC_IiEEEEfNS9_4plusIvEEfEEDaPvRmT3_T4_T5_mT6_P12ihipStream_tbENKUlT_T0_E_clISt17integral_constantIbLb1EESW_EEDaSR_SS_EUlSR_E0_NS1_11comp_targetILNS1_3genE4ELNS1_11target_archE910ELNS1_3gpuE8ELNS1_3repE0EEENS1_30default_config_static_selectorELNS0_4arch9wavefront6targetE1EEEvT1_,"axG",@progbits,_ZN7rocprim17ROCPRIM_400000_NS6detail17trampoline_kernelINS0_14default_configENS1_20scan_config_selectorIfEEZZNS1_9scan_implILNS1_25lookback_scan_determinismE0ELb0ELb0ES3_N6thrust23THRUST_200600_302600_NS6detail15normal_iteratorINS9_10device_ptrIfEEEENSB_INSC_IiEEEEfNS9_4plusIvEEfEEDaPvRmT3_T4_T5_mT6_P12ihipStream_tbENKUlT_T0_E_clISt17integral_constantIbLb1EESW_EEDaSR_SS_EUlSR_E0_NS1_11comp_targetILNS1_3genE4ELNS1_11target_archE910ELNS1_3gpuE8ELNS1_3repE0EEENS1_30default_config_static_selectorELNS0_4arch9wavefront6targetE1EEEvT1_,comdat
	.protected	_ZN7rocprim17ROCPRIM_400000_NS6detail17trampoline_kernelINS0_14default_configENS1_20scan_config_selectorIfEEZZNS1_9scan_implILNS1_25lookback_scan_determinismE0ELb0ELb0ES3_N6thrust23THRUST_200600_302600_NS6detail15normal_iteratorINS9_10device_ptrIfEEEENSB_INSC_IiEEEEfNS9_4plusIvEEfEEDaPvRmT3_T4_T5_mT6_P12ihipStream_tbENKUlT_T0_E_clISt17integral_constantIbLb1EESW_EEDaSR_SS_EUlSR_E0_NS1_11comp_targetILNS1_3genE4ELNS1_11target_archE910ELNS1_3gpuE8ELNS1_3repE0EEENS1_30default_config_static_selectorELNS0_4arch9wavefront6targetE1EEEvT1_ ; -- Begin function _ZN7rocprim17ROCPRIM_400000_NS6detail17trampoline_kernelINS0_14default_configENS1_20scan_config_selectorIfEEZZNS1_9scan_implILNS1_25lookback_scan_determinismE0ELb0ELb0ES3_N6thrust23THRUST_200600_302600_NS6detail15normal_iteratorINS9_10device_ptrIfEEEENSB_INSC_IiEEEEfNS9_4plusIvEEfEEDaPvRmT3_T4_T5_mT6_P12ihipStream_tbENKUlT_T0_E_clISt17integral_constantIbLb1EESW_EEDaSR_SS_EUlSR_E0_NS1_11comp_targetILNS1_3genE4ELNS1_11target_archE910ELNS1_3gpuE8ELNS1_3repE0EEENS1_30default_config_static_selectorELNS0_4arch9wavefront6targetE1EEEvT1_
	.globl	_ZN7rocprim17ROCPRIM_400000_NS6detail17trampoline_kernelINS0_14default_configENS1_20scan_config_selectorIfEEZZNS1_9scan_implILNS1_25lookback_scan_determinismE0ELb0ELb0ES3_N6thrust23THRUST_200600_302600_NS6detail15normal_iteratorINS9_10device_ptrIfEEEENSB_INSC_IiEEEEfNS9_4plusIvEEfEEDaPvRmT3_T4_T5_mT6_P12ihipStream_tbENKUlT_T0_E_clISt17integral_constantIbLb1EESW_EEDaSR_SS_EUlSR_E0_NS1_11comp_targetILNS1_3genE4ELNS1_11target_archE910ELNS1_3gpuE8ELNS1_3repE0EEENS1_30default_config_static_selectorELNS0_4arch9wavefront6targetE1EEEvT1_
	.p2align	8
	.type	_ZN7rocprim17ROCPRIM_400000_NS6detail17trampoline_kernelINS0_14default_configENS1_20scan_config_selectorIfEEZZNS1_9scan_implILNS1_25lookback_scan_determinismE0ELb0ELb0ES3_N6thrust23THRUST_200600_302600_NS6detail15normal_iteratorINS9_10device_ptrIfEEEENSB_INSC_IiEEEEfNS9_4plusIvEEfEEDaPvRmT3_T4_T5_mT6_P12ihipStream_tbENKUlT_T0_E_clISt17integral_constantIbLb1EESW_EEDaSR_SS_EUlSR_E0_NS1_11comp_targetILNS1_3genE4ELNS1_11target_archE910ELNS1_3gpuE8ELNS1_3repE0EEENS1_30default_config_static_selectorELNS0_4arch9wavefront6targetE1EEEvT1_,@function
_ZN7rocprim17ROCPRIM_400000_NS6detail17trampoline_kernelINS0_14default_configENS1_20scan_config_selectorIfEEZZNS1_9scan_implILNS1_25lookback_scan_determinismE0ELb0ELb0ES3_N6thrust23THRUST_200600_302600_NS6detail15normal_iteratorINS9_10device_ptrIfEEEENSB_INSC_IiEEEEfNS9_4plusIvEEfEEDaPvRmT3_T4_T5_mT6_P12ihipStream_tbENKUlT_T0_E_clISt17integral_constantIbLb1EESW_EEDaSR_SS_EUlSR_E0_NS1_11comp_targetILNS1_3genE4ELNS1_11target_archE910ELNS1_3gpuE8ELNS1_3repE0EEENS1_30default_config_static_selectorELNS0_4arch9wavefront6targetE1EEEvT1_: ; @_ZN7rocprim17ROCPRIM_400000_NS6detail17trampoline_kernelINS0_14default_configENS1_20scan_config_selectorIfEEZZNS1_9scan_implILNS1_25lookback_scan_determinismE0ELb0ELb0ES3_N6thrust23THRUST_200600_302600_NS6detail15normal_iteratorINS9_10device_ptrIfEEEENSB_INSC_IiEEEEfNS9_4plusIvEEfEEDaPvRmT3_T4_T5_mT6_P12ihipStream_tbENKUlT_T0_E_clISt17integral_constantIbLb1EESW_EEDaSR_SS_EUlSR_E0_NS1_11comp_targetILNS1_3genE4ELNS1_11target_archE910ELNS1_3gpuE8ELNS1_3repE0EEENS1_30default_config_static_selectorELNS0_4arch9wavefront6targetE1EEEvT1_
; %bb.0:
	s_load_dwordx4 s[28:31], s[4:5], 0x0
	v_lshlrev_b32_e32 v30, 2, v0
	s_waitcnt lgkmcnt(0)
	s_load_dword s31, s[28:29], 0x0
	v_cmp_gt_u32_e32 vcc, s30, v0
	s_waitcnt lgkmcnt(0)
	v_mov_b32_e32 v1, s31
	s_and_saveexec_b64 s[0:1], vcc
	s_cbranch_execz .LBB1451_2
; %bb.1:
	global_load_dword v1, v30, s[28:29]
.LBB1451_2:
	s_or_b64 exec, exec, s[0:1]
	v_or_b32_e32 v2, 0x80, v0
	v_cmp_gt_u32_e64 s[0:1], s30, v2
	v_mov_b32_e32 v2, s31
	s_and_saveexec_b64 s[2:3], s[0:1]
	s_cbranch_execz .LBB1451_4
; %bb.3:
	global_load_dword v2, v30, s[28:29] offset:512
.LBB1451_4:
	s_or_b64 exec, exec, s[2:3]
	v_or_b32_e32 v3, 0x100, v0
	v_cmp_gt_u32_e64 s[2:3], s30, v3
	v_mov_b32_e32 v3, s31
	s_and_saveexec_b64 s[6:7], s[2:3]
	s_cbranch_execz .LBB1451_6
; %bb.5:
	global_load_dword v3, v30, s[28:29] offset:1024
.LBB1451_6:
	;; [unrolled: 9-line block ×7, first 2 shown]
	s_or_b64 exec, exec, s[14:15]
	v_or_b32_e32 v10, 0x400, v0
	v_cmp_gt_u32_e64 s[14:15], s30, v10
	v_mov_b32_e32 v9, s31
	s_and_saveexec_b64 s[16:17], s[14:15]
	s_cbranch_execz .LBB1451_18
; %bb.17:
	v_lshlrev_b32_e32 v9, 2, v10
	global_load_dword v9, v9, s[28:29]
.LBB1451_18:
	s_or_b64 exec, exec, s[16:17]
	v_or_b32_e32 v11, 0x480, v0
	v_cmp_gt_u32_e64 s[16:17], s30, v11
	v_mov_b32_e32 v10, s31
	s_and_saveexec_b64 s[18:19], s[16:17]
	s_cbranch_execz .LBB1451_20
; %bb.19:
	v_lshlrev_b32_e32 v10, 2, v11
	global_load_dword v10, v10, s[28:29]
.LBB1451_20:
	;; [unrolled: 10-line block ×6, first 2 shown]
	s_or_b64 exec, exec, s[30:31]
	s_waitcnt vmcnt(0)
	ds_write2st64_b32 v30, v1, v2 offset1:2
	ds_write2st64_b32 v30, v3, v4 offset0:4 offset1:6
	ds_write2st64_b32 v30, v5, v6 offset0:8 offset1:10
	;; [unrolled: 1-line block ×6, first 2 shown]
	v_mad_u32_u24 v1, v0, 52, v30
	s_waitcnt lgkmcnt(0)
	s_barrier
	ds_read2_b64 v[10:13], v1 offset1:1
	ds_read2_b64 v[6:9], v1 offset0:2 offset1:3
	ds_read2_b64 v[2:5], v1 offset0:4 offset1:5
	ds_read_b64 v[28:29], v1 offset:48
	v_lshrrev_b32_e32 v18, 3, v0
	s_waitcnt lgkmcnt(3)
	v_add_f32_e32 v19, v10, v11
	v_add_f32_e32 v24, v19, v12
	v_add_f32_e32 v25, v24, v13
	s_waitcnt lgkmcnt(2)
	v_add_f32_e32 v16, v25, v6
	v_add_f32_e32 v17, v16, v7
	v_add_f32_e32 v22, v17, v8
	v_add_f32_e32 v23, v22, v9
	s_waitcnt lgkmcnt(1)
	v_add_f32_e32 v14, v23, v2
	;; [unrolled: 5-line block ×3, first 2 shown]
	v_and_b32_e32 v18, 12, v18
	v_add_f32_e32 v27, v26, v29
	v_add_u32_e32 v18, v30, v18
	v_cmp_gt_u32_e64 s[28:29], 64, v0
	s_barrier
	ds_write_b32 v18, v27
	s_waitcnt lgkmcnt(0)
	s_barrier
	s_and_saveexec_b64 s[36:37], s[28:29]
	s_cbranch_execz .LBB1451_30
; %bb.29:
	v_lshlrev_b32_e32 v18, 1, v0
	v_lshrrev_b32_e32 v31, 4, v0
	v_add_lshl_u32 v18, v31, v18, 2
	ds_read2_b32 v[32:33], v18 offset1:1
	v_mbcnt_lo_u32_b32 v31, -1, 0
	v_mbcnt_hi_u32_b32 v31, -1, v31
	v_and_b32_e32 v34, 15, v31
	v_cmp_eq_u32_e64 s[28:29], 0, v34
	s_waitcnt lgkmcnt(0)
	v_add_f32_e32 v33, v32, v33
	v_cmp_lt_u32_e64 s[30:31], 3, v34
	v_cmp_lt_u32_e64 s[34:35], 31, v31
	v_mov_b32_dpp v35, v33 row_shr:1 row_mask:0xf bank_mask:0xf
	v_add_f32_e32 v35, v33, v35
	v_cndmask_b32_e64 v33, v35, v33, s[28:29]
	v_cmp_lt_u32_e64 s[28:29], 1, v34
	s_nop 0
	v_mov_b32_dpp v35, v33 row_shr:2 row_mask:0xf bank_mask:0xf
	v_add_f32_e32 v35, v33, v35
	v_cndmask_b32_e64 v35, v33, v35, s[28:29]
	; wave barrier
	s_nop 1
	v_mov_b32_dpp v36, v35 row_shr:4 row_mask:0xf bank_mask:0xf
	v_add_f32_e32 v36, v35, v36
	v_cndmask_b32_e64 v35, v35, v36, s[30:31]
	v_cmp_lt_u32_e64 s[30:31], 7, v34
	s_nop 0
	v_mov_b32_dpp v36, v35 row_shr:8 row_mask:0xf bank_mask:0xf
	v_add_f32_e32 v36, v35, v36
	v_cndmask_b32_e64 v34, v35, v36, s[30:31]
	v_and_b32_e32 v36, 16, v31
	v_cmp_eq_u32_e64 s[30:31], 0, v36
	v_mov_b32_dpp v35, v34 row_bcast:15 row_mask:0xf bank_mask:0xf
	v_add_f32_e32 v35, v34, v35
	v_cndmask_b32_e64 v34, v35, v34, s[30:31]
	v_cmp_lt_u32_e64 s[30:31], 15, v31
	s_or_b64 s[28:29], s[30:31], s[28:29]
	v_mov_b32_dpp v35, v34 row_bcast:31 row_mask:0xf bank_mask:0xf
	v_add_f32_e32 v35, v34, v35
	v_cndmask_b32_e64 v34, v34, v35, s[34:35]
	v_cndmask_b32_e64 v33, v33, v34, s[28:29]
	v_add_u32_e32 v34, -1, v31
	v_and_b32_e32 v35, 64, v31
	v_cmp_lt_i32_e64 s[28:29], v34, v35
	v_cndmask_b32_e64 v31, v34, v31, s[28:29]
	v_lshlrev_b32_e32 v31, 2, v31
	ds_bpermute_b32 v31, v31, v33
	v_cmp_eq_u32_e64 s[28:29], 0, v0
	s_waitcnt lgkmcnt(0)
	v_add_f32_e32 v31, v32, v31
	v_cndmask_b32_e64 v31, v31, v27, s[28:29]
	ds_write_b32 v18, v31
	; wave barrier
	ds_read_b32 v32, v18 offset:4
	s_waitcnt lgkmcnt(0)
	v_add_f32_e32 v31, v31, v32
	ds_write_b32 v18, v31 offset:4
.LBB1451_30:
	s_or_b64 exec, exec, s[36:37]
	s_load_dwordx2 s[28:29], s[4:5], 0x18
	v_cmp_ne_u32_e64 s[4:5], 0, v0
	v_mov_b32_e32 v31, v27
	s_waitcnt lgkmcnt(0)
	s_barrier
	s_and_saveexec_b64 s[30:31], s[4:5]
	s_cbranch_execz .LBB1451_32
; %bb.31:
	v_add_u32_e32 v18, -1, v0
	v_lshrrev_b32_e32 v31, 5, v18
	v_add_lshl_u32 v18, v31, v18, 2
	ds_read_b32 v31, v18
.LBB1451_32:
	s_or_b64 exec, exec, s[30:31]
	v_mov_b32_e32 v18, v10
	s_and_saveexec_b64 s[30:31], s[4:5]
	s_cbranch_execz .LBB1451_34
; %bb.33:
	s_waitcnt lgkmcnt(0)
	v_add_f32_e32 v18, v10, v31
	v_add_f32_e32 v19, v11, v18
	;; [unrolled: 1-line block ×14, first 2 shown]
	;;#ASMSTART
	;;#ASMEND
.LBB1451_34:
	s_or_b64 exec, exec, s[30:31]
	s_movk_i32 s4, 0xffcc
	v_mad_i32_i24 v0, v0, s4, v1
	s_waitcnt lgkmcnt(0)
	s_barrier
	ds_write2_b64 v1, v[18:19], v[24:25] offset1:1
	ds_write2_b64 v1, v[16:17], v[22:23] offset0:2 offset1:3
	ds_write2_b64 v1, v[14:15], v[20:21] offset0:4 offset1:5
	ds_write_b64 v1, v[26:27] offset:48
	s_waitcnt lgkmcnt(0)
	s_barrier
	ds_read2st64_b32 v[12:13], v0 offset0:2 offset1:4
	ds_read2st64_b32 v[10:11], v0 offset0:6 offset1:8
	;; [unrolled: 1-line block ×4, first 2 shown]
	ds_read_b32 v14, v30 offset:4096
	ds_read2st64_b32 v[4:5], v0 offset0:20 offset1:22
	ds_read2st64_b32 v[2:3], v0 offset0:24 offset1:26
	v_mov_b32_e32 v1, s29
	v_add_co_u32_e64 v0, s[4:5], s28, v30
	v_addc_co_u32_e64 v1, s[4:5], 0, v1, s[4:5]
	s_and_saveexec_b64 s[4:5], vcc
	s_cbranch_execnz .LBB1451_49
; %bb.35:
	s_or_b64 exec, exec, s[4:5]
	s_and_saveexec_b64 s[4:5], s[0:1]
	s_cbranch_execnz .LBB1451_50
.LBB1451_36:
	s_or_b64 exec, exec, s[4:5]
	s_and_saveexec_b64 s[0:1], s[2:3]
	s_cbranch_execnz .LBB1451_51
.LBB1451_37:
	s_or_b64 exec, exec, s[0:1]
	s_and_saveexec_b64 s[0:1], s[26:27]
	s_cbranch_execnz .LBB1451_52
.LBB1451_38:
	s_or_b64 exec, exec, s[0:1]
	s_and_saveexec_b64 s[0:1], s[6:7]
	s_cbranch_execnz .LBB1451_53
.LBB1451_39:
	s_or_b64 exec, exec, s[0:1]
	s_and_saveexec_b64 s[0:1], s[8:9]
	s_cbranch_execnz .LBB1451_54
.LBB1451_40:
	s_or_b64 exec, exec, s[0:1]
	s_and_saveexec_b64 s[0:1], s[10:11]
	s_cbranch_execnz .LBB1451_55
.LBB1451_41:
	s_or_b64 exec, exec, s[0:1]
	s_and_saveexec_b64 s[0:1], s[12:13]
	s_cbranch_execnz .LBB1451_56
.LBB1451_42:
	s_or_b64 exec, exec, s[0:1]
	s_and_saveexec_b64 s[0:1], s[14:15]
	s_cbranch_execnz .LBB1451_57
.LBB1451_43:
	s_or_b64 exec, exec, s[0:1]
	s_and_saveexec_b64 s[0:1], s[16:17]
	s_cbranch_execnz .LBB1451_58
.LBB1451_44:
	s_or_b64 exec, exec, s[0:1]
	s_and_saveexec_b64 s[0:1], s[18:19]
	s_cbranch_execnz .LBB1451_59
.LBB1451_45:
	s_or_b64 exec, exec, s[0:1]
	s_and_saveexec_b64 s[0:1], s[20:21]
	s_cbranch_execnz .LBB1451_60
.LBB1451_46:
	s_or_b64 exec, exec, s[0:1]
	s_and_saveexec_b64 s[0:1], s[22:23]
	s_cbranch_execnz .LBB1451_61
.LBB1451_47:
	s_or_b64 exec, exec, s[0:1]
	s_and_saveexec_b64 s[0:1], s[24:25]
	s_cbranch_execnz .LBB1451_62
.LBB1451_48:
	s_endpgm
.LBB1451_49:
	ds_read_b32 v15, v30
	s_waitcnt lgkmcnt(0)
	v_cvt_i32_f32_e32 v15, v15
	global_store_dword v[0:1], v15, off
	s_or_b64 exec, exec, s[4:5]
	s_and_saveexec_b64 s[4:5], s[0:1]
	s_cbranch_execz .LBB1451_36
.LBB1451_50:
	s_waitcnt lgkmcnt(6)
	v_cvt_i32_f32_e32 v12, v12
	global_store_dword v[0:1], v12, off offset:512
	s_or_b64 exec, exec, s[4:5]
	s_and_saveexec_b64 s[0:1], s[2:3]
	s_cbranch_execz .LBB1451_37
.LBB1451_51:
	s_waitcnt lgkmcnt(6)
	v_cvt_i32_f32_e32 v12, v13
	global_store_dword v[0:1], v12, off offset:1024
	s_or_b64 exec, exec, s[0:1]
	s_and_saveexec_b64 s[0:1], s[26:27]
	s_cbranch_execz .LBB1451_38
.LBB1451_52:
	s_waitcnt lgkmcnt(5)
	v_cvt_i32_f32_e32 v10, v10
	global_store_dword v[0:1], v10, off offset:1536
	s_or_b64 exec, exec, s[0:1]
	s_and_saveexec_b64 s[0:1], s[6:7]
	s_cbranch_execz .LBB1451_39
.LBB1451_53:
	s_waitcnt lgkmcnt(5)
	v_cvt_i32_f32_e32 v10, v11
	global_store_dword v[0:1], v10, off offset:2048
	s_or_b64 exec, exec, s[0:1]
	s_and_saveexec_b64 s[0:1], s[8:9]
	s_cbranch_execz .LBB1451_40
.LBB1451_54:
	s_waitcnt lgkmcnt(4)
	v_cvt_i32_f32_e32 v8, v8
	global_store_dword v[0:1], v8, off offset:2560
	s_or_b64 exec, exec, s[0:1]
	s_and_saveexec_b64 s[0:1], s[10:11]
	s_cbranch_execz .LBB1451_41
.LBB1451_55:
	s_waitcnt lgkmcnt(4)
	v_cvt_i32_f32_e32 v8, v9
	global_store_dword v[0:1], v8, off offset:3072
	s_or_b64 exec, exec, s[0:1]
	s_and_saveexec_b64 s[0:1], s[12:13]
	s_cbranch_execz .LBB1451_42
.LBB1451_56:
	s_waitcnt lgkmcnt(3)
	v_cvt_i32_f32_e32 v6, v6
	global_store_dword v[0:1], v6, off offset:3584
	s_or_b64 exec, exec, s[0:1]
	s_and_saveexec_b64 s[0:1], s[14:15]
	s_cbranch_execz .LBB1451_43
.LBB1451_57:
	s_waitcnt lgkmcnt(2)
	v_cvt_i32_f32_e32 v6, v14
	v_add_co_u32_e32 v8, vcc, 0x1000, v0
	v_addc_co_u32_e32 v9, vcc, 0, v1, vcc
	global_store_dword v[8:9], v6, off
	s_or_b64 exec, exec, s[0:1]
	s_and_saveexec_b64 s[0:1], s[16:17]
	s_cbranch_execz .LBB1451_44
.LBB1451_58:
	s_waitcnt lgkmcnt(3)
	v_cvt_i32_f32_e32 v8, v7
	v_add_co_u32_e32 v6, vcc, 0x1000, v0
	v_addc_co_u32_e32 v7, vcc, 0, v1, vcc
	global_store_dword v[6:7], v8, off offset:512
	s_or_b64 exec, exec, s[0:1]
	s_and_saveexec_b64 s[0:1], s[18:19]
	s_cbranch_execz .LBB1451_45
.LBB1451_59:
	s_waitcnt lgkmcnt(1)
	v_cvt_i32_f32_e32 v4, v4
	v_add_co_u32_e32 v6, vcc, 0x1000, v0
	v_addc_co_u32_e32 v7, vcc, 0, v1, vcc
	global_store_dword v[6:7], v4, off offset:1024
	s_or_b64 exec, exec, s[0:1]
	s_and_saveexec_b64 s[0:1], s[20:21]
	s_cbranch_execz .LBB1451_46
.LBB1451_60:
	s_waitcnt lgkmcnt(1)
	v_cvt_i32_f32_e32 v6, v5
	v_add_co_u32_e32 v4, vcc, 0x1000, v0
	v_addc_co_u32_e32 v5, vcc, 0, v1, vcc
	global_store_dword v[4:5], v6, off offset:1536
	s_or_b64 exec, exec, s[0:1]
	s_and_saveexec_b64 s[0:1], s[22:23]
	s_cbranch_execz .LBB1451_47
.LBB1451_61:
	s_waitcnt lgkmcnt(0)
	v_cvt_i32_f32_e32 v2, v2
	v_add_co_u32_e32 v4, vcc, 0x1000, v0
	v_addc_co_u32_e32 v5, vcc, 0, v1, vcc
	global_store_dword v[4:5], v2, off offset:2048
	s_or_b64 exec, exec, s[0:1]
	s_and_saveexec_b64 s[0:1], s[24:25]
	s_cbranch_execz .LBB1451_48
.LBB1451_62:
	s_waitcnt lgkmcnt(0)
	v_cvt_i32_f32_e32 v2, v3
	v_add_co_u32_e32 v0, vcc, 0x1000, v0
	v_addc_co_u32_e32 v1, vcc, 0, v1, vcc
	global_store_dword v[0:1], v2, off offset:2560
	s_endpgm
	.section	.rodata,"a",@progbits
	.p2align	6, 0x0
	.amdhsa_kernel _ZN7rocprim17ROCPRIM_400000_NS6detail17trampoline_kernelINS0_14default_configENS1_20scan_config_selectorIfEEZZNS1_9scan_implILNS1_25lookback_scan_determinismE0ELb0ELb0ES3_N6thrust23THRUST_200600_302600_NS6detail15normal_iteratorINS9_10device_ptrIfEEEENSB_INSC_IiEEEEfNS9_4plusIvEEfEEDaPvRmT3_T4_T5_mT6_P12ihipStream_tbENKUlT_T0_E_clISt17integral_constantIbLb1EESW_EEDaSR_SS_EUlSR_E0_NS1_11comp_targetILNS1_3genE4ELNS1_11target_archE910ELNS1_3gpuE8ELNS1_3repE0EEENS1_30default_config_static_selectorELNS0_4arch9wavefront6targetE1EEEvT1_
		.amdhsa_group_segment_fixed_size 7168
		.amdhsa_private_segment_fixed_size 0
		.amdhsa_kernarg_size 32
		.amdhsa_user_sgpr_count 6
		.amdhsa_user_sgpr_private_segment_buffer 1
		.amdhsa_user_sgpr_dispatch_ptr 0
		.amdhsa_user_sgpr_queue_ptr 0
		.amdhsa_user_sgpr_kernarg_segment_ptr 1
		.amdhsa_user_sgpr_dispatch_id 0
		.amdhsa_user_sgpr_flat_scratch_init 0
		.amdhsa_user_sgpr_kernarg_preload_length 0
		.amdhsa_user_sgpr_kernarg_preload_offset 0
		.amdhsa_user_sgpr_private_segment_size 0
		.amdhsa_uses_dynamic_stack 0
		.amdhsa_system_sgpr_private_segment_wavefront_offset 0
		.amdhsa_system_sgpr_workgroup_id_x 1
		.amdhsa_system_sgpr_workgroup_id_y 0
		.amdhsa_system_sgpr_workgroup_id_z 0
		.amdhsa_system_sgpr_workgroup_info 0
		.amdhsa_system_vgpr_workitem_id 0
		.amdhsa_next_free_vgpr 37
		.amdhsa_next_free_sgpr 38
		.amdhsa_accum_offset 40
		.amdhsa_reserve_vcc 1
		.amdhsa_reserve_flat_scratch 0
		.amdhsa_float_round_mode_32 0
		.amdhsa_float_round_mode_16_64 0
		.amdhsa_float_denorm_mode_32 3
		.amdhsa_float_denorm_mode_16_64 3
		.amdhsa_dx10_clamp 1
		.amdhsa_ieee_mode 1
		.amdhsa_fp16_overflow 0
		.amdhsa_tg_split 0
		.amdhsa_exception_fp_ieee_invalid_op 0
		.amdhsa_exception_fp_denorm_src 0
		.amdhsa_exception_fp_ieee_div_zero 0
		.amdhsa_exception_fp_ieee_overflow 0
		.amdhsa_exception_fp_ieee_underflow 0
		.amdhsa_exception_fp_ieee_inexact 0
		.amdhsa_exception_int_div_zero 0
	.end_amdhsa_kernel
	.section	.text._ZN7rocprim17ROCPRIM_400000_NS6detail17trampoline_kernelINS0_14default_configENS1_20scan_config_selectorIfEEZZNS1_9scan_implILNS1_25lookback_scan_determinismE0ELb0ELb0ES3_N6thrust23THRUST_200600_302600_NS6detail15normal_iteratorINS9_10device_ptrIfEEEENSB_INSC_IiEEEEfNS9_4plusIvEEfEEDaPvRmT3_T4_T5_mT6_P12ihipStream_tbENKUlT_T0_E_clISt17integral_constantIbLb1EESW_EEDaSR_SS_EUlSR_E0_NS1_11comp_targetILNS1_3genE4ELNS1_11target_archE910ELNS1_3gpuE8ELNS1_3repE0EEENS1_30default_config_static_selectorELNS0_4arch9wavefront6targetE1EEEvT1_,"axG",@progbits,_ZN7rocprim17ROCPRIM_400000_NS6detail17trampoline_kernelINS0_14default_configENS1_20scan_config_selectorIfEEZZNS1_9scan_implILNS1_25lookback_scan_determinismE0ELb0ELb0ES3_N6thrust23THRUST_200600_302600_NS6detail15normal_iteratorINS9_10device_ptrIfEEEENSB_INSC_IiEEEEfNS9_4plusIvEEfEEDaPvRmT3_T4_T5_mT6_P12ihipStream_tbENKUlT_T0_E_clISt17integral_constantIbLb1EESW_EEDaSR_SS_EUlSR_E0_NS1_11comp_targetILNS1_3genE4ELNS1_11target_archE910ELNS1_3gpuE8ELNS1_3repE0EEENS1_30default_config_static_selectorELNS0_4arch9wavefront6targetE1EEEvT1_,comdat
.Lfunc_end1451:
	.size	_ZN7rocprim17ROCPRIM_400000_NS6detail17trampoline_kernelINS0_14default_configENS1_20scan_config_selectorIfEEZZNS1_9scan_implILNS1_25lookback_scan_determinismE0ELb0ELb0ES3_N6thrust23THRUST_200600_302600_NS6detail15normal_iteratorINS9_10device_ptrIfEEEENSB_INSC_IiEEEEfNS9_4plusIvEEfEEDaPvRmT3_T4_T5_mT6_P12ihipStream_tbENKUlT_T0_E_clISt17integral_constantIbLb1EESW_EEDaSR_SS_EUlSR_E0_NS1_11comp_targetILNS1_3genE4ELNS1_11target_archE910ELNS1_3gpuE8ELNS1_3repE0EEENS1_30default_config_static_selectorELNS0_4arch9wavefront6targetE1EEEvT1_, .Lfunc_end1451-_ZN7rocprim17ROCPRIM_400000_NS6detail17trampoline_kernelINS0_14default_configENS1_20scan_config_selectorIfEEZZNS1_9scan_implILNS1_25lookback_scan_determinismE0ELb0ELb0ES3_N6thrust23THRUST_200600_302600_NS6detail15normal_iteratorINS9_10device_ptrIfEEEENSB_INSC_IiEEEEfNS9_4plusIvEEfEEDaPvRmT3_T4_T5_mT6_P12ihipStream_tbENKUlT_T0_E_clISt17integral_constantIbLb1EESW_EEDaSR_SS_EUlSR_E0_NS1_11comp_targetILNS1_3genE4ELNS1_11target_archE910ELNS1_3gpuE8ELNS1_3repE0EEENS1_30default_config_static_selectorELNS0_4arch9wavefront6targetE1EEEvT1_
                                        ; -- End function
	.section	.AMDGPU.csdata,"",@progbits
; Kernel info:
; codeLenInByte = 2084
; NumSgprs: 42
; NumVgprs: 37
; NumAgprs: 0
; TotalNumVgprs: 37
; ScratchSize: 0
; MemoryBound: 0
; FloatMode: 240
; IeeeMode: 1
; LDSByteSize: 7168 bytes/workgroup (compile time only)
; SGPRBlocks: 5
; VGPRBlocks: 4
; NumSGPRsForWavesPerEU: 42
; NumVGPRsForWavesPerEU: 37
; AccumOffset: 40
; Occupancy: 5
; WaveLimiterHint : 0
; COMPUTE_PGM_RSRC2:SCRATCH_EN: 0
; COMPUTE_PGM_RSRC2:USER_SGPR: 6
; COMPUTE_PGM_RSRC2:TRAP_HANDLER: 0
; COMPUTE_PGM_RSRC2:TGID_X_EN: 1
; COMPUTE_PGM_RSRC2:TGID_Y_EN: 0
; COMPUTE_PGM_RSRC2:TGID_Z_EN: 0
; COMPUTE_PGM_RSRC2:TIDIG_COMP_CNT: 0
; COMPUTE_PGM_RSRC3_GFX90A:ACCUM_OFFSET: 9
; COMPUTE_PGM_RSRC3_GFX90A:TG_SPLIT: 0
	.section	.text._ZN7rocprim17ROCPRIM_400000_NS6detail17trampoline_kernelINS0_14default_configENS1_20scan_config_selectorIfEEZZNS1_9scan_implILNS1_25lookback_scan_determinismE0ELb0ELb0ES3_N6thrust23THRUST_200600_302600_NS6detail15normal_iteratorINS9_10device_ptrIfEEEENSB_INSC_IiEEEEfNS9_4plusIvEEfEEDaPvRmT3_T4_T5_mT6_P12ihipStream_tbENKUlT_T0_E_clISt17integral_constantIbLb1EESW_EEDaSR_SS_EUlSR_E0_NS1_11comp_targetILNS1_3genE3ELNS1_11target_archE908ELNS1_3gpuE7ELNS1_3repE0EEENS1_30default_config_static_selectorELNS0_4arch9wavefront6targetE1EEEvT1_,"axG",@progbits,_ZN7rocprim17ROCPRIM_400000_NS6detail17trampoline_kernelINS0_14default_configENS1_20scan_config_selectorIfEEZZNS1_9scan_implILNS1_25lookback_scan_determinismE0ELb0ELb0ES3_N6thrust23THRUST_200600_302600_NS6detail15normal_iteratorINS9_10device_ptrIfEEEENSB_INSC_IiEEEEfNS9_4plusIvEEfEEDaPvRmT3_T4_T5_mT6_P12ihipStream_tbENKUlT_T0_E_clISt17integral_constantIbLb1EESW_EEDaSR_SS_EUlSR_E0_NS1_11comp_targetILNS1_3genE3ELNS1_11target_archE908ELNS1_3gpuE7ELNS1_3repE0EEENS1_30default_config_static_selectorELNS0_4arch9wavefront6targetE1EEEvT1_,comdat
	.protected	_ZN7rocprim17ROCPRIM_400000_NS6detail17trampoline_kernelINS0_14default_configENS1_20scan_config_selectorIfEEZZNS1_9scan_implILNS1_25lookback_scan_determinismE0ELb0ELb0ES3_N6thrust23THRUST_200600_302600_NS6detail15normal_iteratorINS9_10device_ptrIfEEEENSB_INSC_IiEEEEfNS9_4plusIvEEfEEDaPvRmT3_T4_T5_mT6_P12ihipStream_tbENKUlT_T0_E_clISt17integral_constantIbLb1EESW_EEDaSR_SS_EUlSR_E0_NS1_11comp_targetILNS1_3genE3ELNS1_11target_archE908ELNS1_3gpuE7ELNS1_3repE0EEENS1_30default_config_static_selectorELNS0_4arch9wavefront6targetE1EEEvT1_ ; -- Begin function _ZN7rocprim17ROCPRIM_400000_NS6detail17trampoline_kernelINS0_14default_configENS1_20scan_config_selectorIfEEZZNS1_9scan_implILNS1_25lookback_scan_determinismE0ELb0ELb0ES3_N6thrust23THRUST_200600_302600_NS6detail15normal_iteratorINS9_10device_ptrIfEEEENSB_INSC_IiEEEEfNS9_4plusIvEEfEEDaPvRmT3_T4_T5_mT6_P12ihipStream_tbENKUlT_T0_E_clISt17integral_constantIbLb1EESW_EEDaSR_SS_EUlSR_E0_NS1_11comp_targetILNS1_3genE3ELNS1_11target_archE908ELNS1_3gpuE7ELNS1_3repE0EEENS1_30default_config_static_selectorELNS0_4arch9wavefront6targetE1EEEvT1_
	.globl	_ZN7rocprim17ROCPRIM_400000_NS6detail17trampoline_kernelINS0_14default_configENS1_20scan_config_selectorIfEEZZNS1_9scan_implILNS1_25lookback_scan_determinismE0ELb0ELb0ES3_N6thrust23THRUST_200600_302600_NS6detail15normal_iteratorINS9_10device_ptrIfEEEENSB_INSC_IiEEEEfNS9_4plusIvEEfEEDaPvRmT3_T4_T5_mT6_P12ihipStream_tbENKUlT_T0_E_clISt17integral_constantIbLb1EESW_EEDaSR_SS_EUlSR_E0_NS1_11comp_targetILNS1_3genE3ELNS1_11target_archE908ELNS1_3gpuE7ELNS1_3repE0EEENS1_30default_config_static_selectorELNS0_4arch9wavefront6targetE1EEEvT1_
	.p2align	8
	.type	_ZN7rocprim17ROCPRIM_400000_NS6detail17trampoline_kernelINS0_14default_configENS1_20scan_config_selectorIfEEZZNS1_9scan_implILNS1_25lookback_scan_determinismE0ELb0ELb0ES3_N6thrust23THRUST_200600_302600_NS6detail15normal_iteratorINS9_10device_ptrIfEEEENSB_INSC_IiEEEEfNS9_4plusIvEEfEEDaPvRmT3_T4_T5_mT6_P12ihipStream_tbENKUlT_T0_E_clISt17integral_constantIbLb1EESW_EEDaSR_SS_EUlSR_E0_NS1_11comp_targetILNS1_3genE3ELNS1_11target_archE908ELNS1_3gpuE7ELNS1_3repE0EEENS1_30default_config_static_selectorELNS0_4arch9wavefront6targetE1EEEvT1_,@function
_ZN7rocprim17ROCPRIM_400000_NS6detail17trampoline_kernelINS0_14default_configENS1_20scan_config_selectorIfEEZZNS1_9scan_implILNS1_25lookback_scan_determinismE0ELb0ELb0ES3_N6thrust23THRUST_200600_302600_NS6detail15normal_iteratorINS9_10device_ptrIfEEEENSB_INSC_IiEEEEfNS9_4plusIvEEfEEDaPvRmT3_T4_T5_mT6_P12ihipStream_tbENKUlT_T0_E_clISt17integral_constantIbLb1EESW_EEDaSR_SS_EUlSR_E0_NS1_11comp_targetILNS1_3genE3ELNS1_11target_archE908ELNS1_3gpuE7ELNS1_3repE0EEENS1_30default_config_static_selectorELNS0_4arch9wavefront6targetE1EEEvT1_: ; @_ZN7rocprim17ROCPRIM_400000_NS6detail17trampoline_kernelINS0_14default_configENS1_20scan_config_selectorIfEEZZNS1_9scan_implILNS1_25lookback_scan_determinismE0ELb0ELb0ES3_N6thrust23THRUST_200600_302600_NS6detail15normal_iteratorINS9_10device_ptrIfEEEENSB_INSC_IiEEEEfNS9_4plusIvEEfEEDaPvRmT3_T4_T5_mT6_P12ihipStream_tbENKUlT_T0_E_clISt17integral_constantIbLb1EESW_EEDaSR_SS_EUlSR_E0_NS1_11comp_targetILNS1_3genE3ELNS1_11target_archE908ELNS1_3gpuE7ELNS1_3repE0EEENS1_30default_config_static_selectorELNS0_4arch9wavefront6targetE1EEEvT1_
; %bb.0:
	.section	.rodata,"a",@progbits
	.p2align	6, 0x0
	.amdhsa_kernel _ZN7rocprim17ROCPRIM_400000_NS6detail17trampoline_kernelINS0_14default_configENS1_20scan_config_selectorIfEEZZNS1_9scan_implILNS1_25lookback_scan_determinismE0ELb0ELb0ES3_N6thrust23THRUST_200600_302600_NS6detail15normal_iteratorINS9_10device_ptrIfEEEENSB_INSC_IiEEEEfNS9_4plusIvEEfEEDaPvRmT3_T4_T5_mT6_P12ihipStream_tbENKUlT_T0_E_clISt17integral_constantIbLb1EESW_EEDaSR_SS_EUlSR_E0_NS1_11comp_targetILNS1_3genE3ELNS1_11target_archE908ELNS1_3gpuE7ELNS1_3repE0EEENS1_30default_config_static_selectorELNS0_4arch9wavefront6targetE1EEEvT1_
		.amdhsa_group_segment_fixed_size 0
		.amdhsa_private_segment_fixed_size 0
		.amdhsa_kernarg_size 32
		.amdhsa_user_sgpr_count 6
		.amdhsa_user_sgpr_private_segment_buffer 1
		.amdhsa_user_sgpr_dispatch_ptr 0
		.amdhsa_user_sgpr_queue_ptr 0
		.amdhsa_user_sgpr_kernarg_segment_ptr 1
		.amdhsa_user_sgpr_dispatch_id 0
		.amdhsa_user_sgpr_flat_scratch_init 0
		.amdhsa_user_sgpr_kernarg_preload_length 0
		.amdhsa_user_sgpr_kernarg_preload_offset 0
		.amdhsa_user_sgpr_private_segment_size 0
		.amdhsa_uses_dynamic_stack 0
		.amdhsa_system_sgpr_private_segment_wavefront_offset 0
		.amdhsa_system_sgpr_workgroup_id_x 1
		.amdhsa_system_sgpr_workgroup_id_y 0
		.amdhsa_system_sgpr_workgroup_id_z 0
		.amdhsa_system_sgpr_workgroup_info 0
		.amdhsa_system_vgpr_workitem_id 0
		.amdhsa_next_free_vgpr 1
		.amdhsa_next_free_sgpr 0
		.amdhsa_accum_offset 4
		.amdhsa_reserve_vcc 0
		.amdhsa_reserve_flat_scratch 0
		.amdhsa_float_round_mode_32 0
		.amdhsa_float_round_mode_16_64 0
		.amdhsa_float_denorm_mode_32 3
		.amdhsa_float_denorm_mode_16_64 3
		.amdhsa_dx10_clamp 1
		.amdhsa_ieee_mode 1
		.amdhsa_fp16_overflow 0
		.amdhsa_tg_split 0
		.amdhsa_exception_fp_ieee_invalid_op 0
		.amdhsa_exception_fp_denorm_src 0
		.amdhsa_exception_fp_ieee_div_zero 0
		.amdhsa_exception_fp_ieee_overflow 0
		.amdhsa_exception_fp_ieee_underflow 0
		.amdhsa_exception_fp_ieee_inexact 0
		.amdhsa_exception_int_div_zero 0
	.end_amdhsa_kernel
	.section	.text._ZN7rocprim17ROCPRIM_400000_NS6detail17trampoline_kernelINS0_14default_configENS1_20scan_config_selectorIfEEZZNS1_9scan_implILNS1_25lookback_scan_determinismE0ELb0ELb0ES3_N6thrust23THRUST_200600_302600_NS6detail15normal_iteratorINS9_10device_ptrIfEEEENSB_INSC_IiEEEEfNS9_4plusIvEEfEEDaPvRmT3_T4_T5_mT6_P12ihipStream_tbENKUlT_T0_E_clISt17integral_constantIbLb1EESW_EEDaSR_SS_EUlSR_E0_NS1_11comp_targetILNS1_3genE3ELNS1_11target_archE908ELNS1_3gpuE7ELNS1_3repE0EEENS1_30default_config_static_selectorELNS0_4arch9wavefront6targetE1EEEvT1_,"axG",@progbits,_ZN7rocprim17ROCPRIM_400000_NS6detail17trampoline_kernelINS0_14default_configENS1_20scan_config_selectorIfEEZZNS1_9scan_implILNS1_25lookback_scan_determinismE0ELb0ELb0ES3_N6thrust23THRUST_200600_302600_NS6detail15normal_iteratorINS9_10device_ptrIfEEEENSB_INSC_IiEEEEfNS9_4plusIvEEfEEDaPvRmT3_T4_T5_mT6_P12ihipStream_tbENKUlT_T0_E_clISt17integral_constantIbLb1EESW_EEDaSR_SS_EUlSR_E0_NS1_11comp_targetILNS1_3genE3ELNS1_11target_archE908ELNS1_3gpuE7ELNS1_3repE0EEENS1_30default_config_static_selectorELNS0_4arch9wavefront6targetE1EEEvT1_,comdat
.Lfunc_end1452:
	.size	_ZN7rocprim17ROCPRIM_400000_NS6detail17trampoline_kernelINS0_14default_configENS1_20scan_config_selectorIfEEZZNS1_9scan_implILNS1_25lookback_scan_determinismE0ELb0ELb0ES3_N6thrust23THRUST_200600_302600_NS6detail15normal_iteratorINS9_10device_ptrIfEEEENSB_INSC_IiEEEEfNS9_4plusIvEEfEEDaPvRmT3_T4_T5_mT6_P12ihipStream_tbENKUlT_T0_E_clISt17integral_constantIbLb1EESW_EEDaSR_SS_EUlSR_E0_NS1_11comp_targetILNS1_3genE3ELNS1_11target_archE908ELNS1_3gpuE7ELNS1_3repE0EEENS1_30default_config_static_selectorELNS0_4arch9wavefront6targetE1EEEvT1_, .Lfunc_end1452-_ZN7rocprim17ROCPRIM_400000_NS6detail17trampoline_kernelINS0_14default_configENS1_20scan_config_selectorIfEEZZNS1_9scan_implILNS1_25lookback_scan_determinismE0ELb0ELb0ES3_N6thrust23THRUST_200600_302600_NS6detail15normal_iteratorINS9_10device_ptrIfEEEENSB_INSC_IiEEEEfNS9_4plusIvEEfEEDaPvRmT3_T4_T5_mT6_P12ihipStream_tbENKUlT_T0_E_clISt17integral_constantIbLb1EESW_EEDaSR_SS_EUlSR_E0_NS1_11comp_targetILNS1_3genE3ELNS1_11target_archE908ELNS1_3gpuE7ELNS1_3repE0EEENS1_30default_config_static_selectorELNS0_4arch9wavefront6targetE1EEEvT1_
                                        ; -- End function
	.section	.AMDGPU.csdata,"",@progbits
; Kernel info:
; codeLenInByte = 0
; NumSgprs: 4
; NumVgprs: 0
; NumAgprs: 0
; TotalNumVgprs: 0
; ScratchSize: 0
; MemoryBound: 0
; FloatMode: 240
; IeeeMode: 1
; LDSByteSize: 0 bytes/workgroup (compile time only)
; SGPRBlocks: 0
; VGPRBlocks: 0
; NumSGPRsForWavesPerEU: 4
; NumVGPRsForWavesPerEU: 1
; AccumOffset: 4
; Occupancy: 8
; WaveLimiterHint : 0
; COMPUTE_PGM_RSRC2:SCRATCH_EN: 0
; COMPUTE_PGM_RSRC2:USER_SGPR: 6
; COMPUTE_PGM_RSRC2:TRAP_HANDLER: 0
; COMPUTE_PGM_RSRC2:TGID_X_EN: 1
; COMPUTE_PGM_RSRC2:TGID_Y_EN: 0
; COMPUTE_PGM_RSRC2:TGID_Z_EN: 0
; COMPUTE_PGM_RSRC2:TIDIG_COMP_CNT: 0
; COMPUTE_PGM_RSRC3_GFX90A:ACCUM_OFFSET: 0
; COMPUTE_PGM_RSRC3_GFX90A:TG_SPLIT: 0
	.section	.text._ZN7rocprim17ROCPRIM_400000_NS6detail17trampoline_kernelINS0_14default_configENS1_20scan_config_selectorIfEEZZNS1_9scan_implILNS1_25lookback_scan_determinismE0ELb0ELb0ES3_N6thrust23THRUST_200600_302600_NS6detail15normal_iteratorINS9_10device_ptrIfEEEENSB_INSC_IiEEEEfNS9_4plusIvEEfEEDaPvRmT3_T4_T5_mT6_P12ihipStream_tbENKUlT_T0_E_clISt17integral_constantIbLb1EESW_EEDaSR_SS_EUlSR_E0_NS1_11comp_targetILNS1_3genE2ELNS1_11target_archE906ELNS1_3gpuE6ELNS1_3repE0EEENS1_30default_config_static_selectorELNS0_4arch9wavefront6targetE1EEEvT1_,"axG",@progbits,_ZN7rocprim17ROCPRIM_400000_NS6detail17trampoline_kernelINS0_14default_configENS1_20scan_config_selectorIfEEZZNS1_9scan_implILNS1_25lookback_scan_determinismE0ELb0ELb0ES3_N6thrust23THRUST_200600_302600_NS6detail15normal_iteratorINS9_10device_ptrIfEEEENSB_INSC_IiEEEEfNS9_4plusIvEEfEEDaPvRmT3_T4_T5_mT6_P12ihipStream_tbENKUlT_T0_E_clISt17integral_constantIbLb1EESW_EEDaSR_SS_EUlSR_E0_NS1_11comp_targetILNS1_3genE2ELNS1_11target_archE906ELNS1_3gpuE6ELNS1_3repE0EEENS1_30default_config_static_selectorELNS0_4arch9wavefront6targetE1EEEvT1_,comdat
	.protected	_ZN7rocprim17ROCPRIM_400000_NS6detail17trampoline_kernelINS0_14default_configENS1_20scan_config_selectorIfEEZZNS1_9scan_implILNS1_25lookback_scan_determinismE0ELb0ELb0ES3_N6thrust23THRUST_200600_302600_NS6detail15normal_iteratorINS9_10device_ptrIfEEEENSB_INSC_IiEEEEfNS9_4plusIvEEfEEDaPvRmT3_T4_T5_mT6_P12ihipStream_tbENKUlT_T0_E_clISt17integral_constantIbLb1EESW_EEDaSR_SS_EUlSR_E0_NS1_11comp_targetILNS1_3genE2ELNS1_11target_archE906ELNS1_3gpuE6ELNS1_3repE0EEENS1_30default_config_static_selectorELNS0_4arch9wavefront6targetE1EEEvT1_ ; -- Begin function _ZN7rocprim17ROCPRIM_400000_NS6detail17trampoline_kernelINS0_14default_configENS1_20scan_config_selectorIfEEZZNS1_9scan_implILNS1_25lookback_scan_determinismE0ELb0ELb0ES3_N6thrust23THRUST_200600_302600_NS6detail15normal_iteratorINS9_10device_ptrIfEEEENSB_INSC_IiEEEEfNS9_4plusIvEEfEEDaPvRmT3_T4_T5_mT6_P12ihipStream_tbENKUlT_T0_E_clISt17integral_constantIbLb1EESW_EEDaSR_SS_EUlSR_E0_NS1_11comp_targetILNS1_3genE2ELNS1_11target_archE906ELNS1_3gpuE6ELNS1_3repE0EEENS1_30default_config_static_selectorELNS0_4arch9wavefront6targetE1EEEvT1_
	.globl	_ZN7rocprim17ROCPRIM_400000_NS6detail17trampoline_kernelINS0_14default_configENS1_20scan_config_selectorIfEEZZNS1_9scan_implILNS1_25lookback_scan_determinismE0ELb0ELb0ES3_N6thrust23THRUST_200600_302600_NS6detail15normal_iteratorINS9_10device_ptrIfEEEENSB_INSC_IiEEEEfNS9_4plusIvEEfEEDaPvRmT3_T4_T5_mT6_P12ihipStream_tbENKUlT_T0_E_clISt17integral_constantIbLb1EESW_EEDaSR_SS_EUlSR_E0_NS1_11comp_targetILNS1_3genE2ELNS1_11target_archE906ELNS1_3gpuE6ELNS1_3repE0EEENS1_30default_config_static_selectorELNS0_4arch9wavefront6targetE1EEEvT1_
	.p2align	8
	.type	_ZN7rocprim17ROCPRIM_400000_NS6detail17trampoline_kernelINS0_14default_configENS1_20scan_config_selectorIfEEZZNS1_9scan_implILNS1_25lookback_scan_determinismE0ELb0ELb0ES3_N6thrust23THRUST_200600_302600_NS6detail15normal_iteratorINS9_10device_ptrIfEEEENSB_INSC_IiEEEEfNS9_4plusIvEEfEEDaPvRmT3_T4_T5_mT6_P12ihipStream_tbENKUlT_T0_E_clISt17integral_constantIbLb1EESW_EEDaSR_SS_EUlSR_E0_NS1_11comp_targetILNS1_3genE2ELNS1_11target_archE906ELNS1_3gpuE6ELNS1_3repE0EEENS1_30default_config_static_selectorELNS0_4arch9wavefront6targetE1EEEvT1_,@function
_ZN7rocprim17ROCPRIM_400000_NS6detail17trampoline_kernelINS0_14default_configENS1_20scan_config_selectorIfEEZZNS1_9scan_implILNS1_25lookback_scan_determinismE0ELb0ELb0ES3_N6thrust23THRUST_200600_302600_NS6detail15normal_iteratorINS9_10device_ptrIfEEEENSB_INSC_IiEEEEfNS9_4plusIvEEfEEDaPvRmT3_T4_T5_mT6_P12ihipStream_tbENKUlT_T0_E_clISt17integral_constantIbLb1EESW_EEDaSR_SS_EUlSR_E0_NS1_11comp_targetILNS1_3genE2ELNS1_11target_archE906ELNS1_3gpuE6ELNS1_3repE0EEENS1_30default_config_static_selectorELNS0_4arch9wavefront6targetE1EEEvT1_: ; @_ZN7rocprim17ROCPRIM_400000_NS6detail17trampoline_kernelINS0_14default_configENS1_20scan_config_selectorIfEEZZNS1_9scan_implILNS1_25lookback_scan_determinismE0ELb0ELb0ES3_N6thrust23THRUST_200600_302600_NS6detail15normal_iteratorINS9_10device_ptrIfEEEENSB_INSC_IiEEEEfNS9_4plusIvEEfEEDaPvRmT3_T4_T5_mT6_P12ihipStream_tbENKUlT_T0_E_clISt17integral_constantIbLb1EESW_EEDaSR_SS_EUlSR_E0_NS1_11comp_targetILNS1_3genE2ELNS1_11target_archE906ELNS1_3gpuE6ELNS1_3repE0EEENS1_30default_config_static_selectorELNS0_4arch9wavefront6targetE1EEEvT1_
; %bb.0:
	.section	.rodata,"a",@progbits
	.p2align	6, 0x0
	.amdhsa_kernel _ZN7rocprim17ROCPRIM_400000_NS6detail17trampoline_kernelINS0_14default_configENS1_20scan_config_selectorIfEEZZNS1_9scan_implILNS1_25lookback_scan_determinismE0ELb0ELb0ES3_N6thrust23THRUST_200600_302600_NS6detail15normal_iteratorINS9_10device_ptrIfEEEENSB_INSC_IiEEEEfNS9_4plusIvEEfEEDaPvRmT3_T4_T5_mT6_P12ihipStream_tbENKUlT_T0_E_clISt17integral_constantIbLb1EESW_EEDaSR_SS_EUlSR_E0_NS1_11comp_targetILNS1_3genE2ELNS1_11target_archE906ELNS1_3gpuE6ELNS1_3repE0EEENS1_30default_config_static_selectorELNS0_4arch9wavefront6targetE1EEEvT1_
		.amdhsa_group_segment_fixed_size 0
		.amdhsa_private_segment_fixed_size 0
		.amdhsa_kernarg_size 32
		.amdhsa_user_sgpr_count 6
		.amdhsa_user_sgpr_private_segment_buffer 1
		.amdhsa_user_sgpr_dispatch_ptr 0
		.amdhsa_user_sgpr_queue_ptr 0
		.amdhsa_user_sgpr_kernarg_segment_ptr 1
		.amdhsa_user_sgpr_dispatch_id 0
		.amdhsa_user_sgpr_flat_scratch_init 0
		.amdhsa_user_sgpr_kernarg_preload_length 0
		.amdhsa_user_sgpr_kernarg_preload_offset 0
		.amdhsa_user_sgpr_private_segment_size 0
		.amdhsa_uses_dynamic_stack 0
		.amdhsa_system_sgpr_private_segment_wavefront_offset 0
		.amdhsa_system_sgpr_workgroup_id_x 1
		.amdhsa_system_sgpr_workgroup_id_y 0
		.amdhsa_system_sgpr_workgroup_id_z 0
		.amdhsa_system_sgpr_workgroup_info 0
		.amdhsa_system_vgpr_workitem_id 0
		.amdhsa_next_free_vgpr 1
		.amdhsa_next_free_sgpr 0
		.amdhsa_accum_offset 4
		.amdhsa_reserve_vcc 0
		.amdhsa_reserve_flat_scratch 0
		.amdhsa_float_round_mode_32 0
		.amdhsa_float_round_mode_16_64 0
		.amdhsa_float_denorm_mode_32 3
		.amdhsa_float_denorm_mode_16_64 3
		.amdhsa_dx10_clamp 1
		.amdhsa_ieee_mode 1
		.amdhsa_fp16_overflow 0
		.amdhsa_tg_split 0
		.amdhsa_exception_fp_ieee_invalid_op 0
		.amdhsa_exception_fp_denorm_src 0
		.amdhsa_exception_fp_ieee_div_zero 0
		.amdhsa_exception_fp_ieee_overflow 0
		.amdhsa_exception_fp_ieee_underflow 0
		.amdhsa_exception_fp_ieee_inexact 0
		.amdhsa_exception_int_div_zero 0
	.end_amdhsa_kernel
	.section	.text._ZN7rocprim17ROCPRIM_400000_NS6detail17trampoline_kernelINS0_14default_configENS1_20scan_config_selectorIfEEZZNS1_9scan_implILNS1_25lookback_scan_determinismE0ELb0ELb0ES3_N6thrust23THRUST_200600_302600_NS6detail15normal_iteratorINS9_10device_ptrIfEEEENSB_INSC_IiEEEEfNS9_4plusIvEEfEEDaPvRmT3_T4_T5_mT6_P12ihipStream_tbENKUlT_T0_E_clISt17integral_constantIbLb1EESW_EEDaSR_SS_EUlSR_E0_NS1_11comp_targetILNS1_3genE2ELNS1_11target_archE906ELNS1_3gpuE6ELNS1_3repE0EEENS1_30default_config_static_selectorELNS0_4arch9wavefront6targetE1EEEvT1_,"axG",@progbits,_ZN7rocprim17ROCPRIM_400000_NS6detail17trampoline_kernelINS0_14default_configENS1_20scan_config_selectorIfEEZZNS1_9scan_implILNS1_25lookback_scan_determinismE0ELb0ELb0ES3_N6thrust23THRUST_200600_302600_NS6detail15normal_iteratorINS9_10device_ptrIfEEEENSB_INSC_IiEEEEfNS9_4plusIvEEfEEDaPvRmT3_T4_T5_mT6_P12ihipStream_tbENKUlT_T0_E_clISt17integral_constantIbLb1EESW_EEDaSR_SS_EUlSR_E0_NS1_11comp_targetILNS1_3genE2ELNS1_11target_archE906ELNS1_3gpuE6ELNS1_3repE0EEENS1_30default_config_static_selectorELNS0_4arch9wavefront6targetE1EEEvT1_,comdat
.Lfunc_end1453:
	.size	_ZN7rocprim17ROCPRIM_400000_NS6detail17trampoline_kernelINS0_14default_configENS1_20scan_config_selectorIfEEZZNS1_9scan_implILNS1_25lookback_scan_determinismE0ELb0ELb0ES3_N6thrust23THRUST_200600_302600_NS6detail15normal_iteratorINS9_10device_ptrIfEEEENSB_INSC_IiEEEEfNS9_4plusIvEEfEEDaPvRmT3_T4_T5_mT6_P12ihipStream_tbENKUlT_T0_E_clISt17integral_constantIbLb1EESW_EEDaSR_SS_EUlSR_E0_NS1_11comp_targetILNS1_3genE2ELNS1_11target_archE906ELNS1_3gpuE6ELNS1_3repE0EEENS1_30default_config_static_selectorELNS0_4arch9wavefront6targetE1EEEvT1_, .Lfunc_end1453-_ZN7rocprim17ROCPRIM_400000_NS6detail17trampoline_kernelINS0_14default_configENS1_20scan_config_selectorIfEEZZNS1_9scan_implILNS1_25lookback_scan_determinismE0ELb0ELb0ES3_N6thrust23THRUST_200600_302600_NS6detail15normal_iteratorINS9_10device_ptrIfEEEENSB_INSC_IiEEEEfNS9_4plusIvEEfEEDaPvRmT3_T4_T5_mT6_P12ihipStream_tbENKUlT_T0_E_clISt17integral_constantIbLb1EESW_EEDaSR_SS_EUlSR_E0_NS1_11comp_targetILNS1_3genE2ELNS1_11target_archE906ELNS1_3gpuE6ELNS1_3repE0EEENS1_30default_config_static_selectorELNS0_4arch9wavefront6targetE1EEEvT1_
                                        ; -- End function
	.section	.AMDGPU.csdata,"",@progbits
; Kernel info:
; codeLenInByte = 0
; NumSgprs: 4
; NumVgprs: 0
; NumAgprs: 0
; TotalNumVgprs: 0
; ScratchSize: 0
; MemoryBound: 0
; FloatMode: 240
; IeeeMode: 1
; LDSByteSize: 0 bytes/workgroup (compile time only)
; SGPRBlocks: 0
; VGPRBlocks: 0
; NumSGPRsForWavesPerEU: 4
; NumVGPRsForWavesPerEU: 1
; AccumOffset: 4
; Occupancy: 8
; WaveLimiterHint : 0
; COMPUTE_PGM_RSRC2:SCRATCH_EN: 0
; COMPUTE_PGM_RSRC2:USER_SGPR: 6
; COMPUTE_PGM_RSRC2:TRAP_HANDLER: 0
; COMPUTE_PGM_RSRC2:TGID_X_EN: 1
; COMPUTE_PGM_RSRC2:TGID_Y_EN: 0
; COMPUTE_PGM_RSRC2:TGID_Z_EN: 0
; COMPUTE_PGM_RSRC2:TIDIG_COMP_CNT: 0
; COMPUTE_PGM_RSRC3_GFX90A:ACCUM_OFFSET: 0
; COMPUTE_PGM_RSRC3_GFX90A:TG_SPLIT: 0
	.section	.text._ZN7rocprim17ROCPRIM_400000_NS6detail17trampoline_kernelINS0_14default_configENS1_20scan_config_selectorIfEEZZNS1_9scan_implILNS1_25lookback_scan_determinismE0ELb0ELb0ES3_N6thrust23THRUST_200600_302600_NS6detail15normal_iteratorINS9_10device_ptrIfEEEENSB_INSC_IiEEEEfNS9_4plusIvEEfEEDaPvRmT3_T4_T5_mT6_P12ihipStream_tbENKUlT_T0_E_clISt17integral_constantIbLb1EESW_EEDaSR_SS_EUlSR_E0_NS1_11comp_targetILNS1_3genE10ELNS1_11target_archE1201ELNS1_3gpuE5ELNS1_3repE0EEENS1_30default_config_static_selectorELNS0_4arch9wavefront6targetE1EEEvT1_,"axG",@progbits,_ZN7rocprim17ROCPRIM_400000_NS6detail17trampoline_kernelINS0_14default_configENS1_20scan_config_selectorIfEEZZNS1_9scan_implILNS1_25lookback_scan_determinismE0ELb0ELb0ES3_N6thrust23THRUST_200600_302600_NS6detail15normal_iteratorINS9_10device_ptrIfEEEENSB_INSC_IiEEEEfNS9_4plusIvEEfEEDaPvRmT3_T4_T5_mT6_P12ihipStream_tbENKUlT_T0_E_clISt17integral_constantIbLb1EESW_EEDaSR_SS_EUlSR_E0_NS1_11comp_targetILNS1_3genE10ELNS1_11target_archE1201ELNS1_3gpuE5ELNS1_3repE0EEENS1_30default_config_static_selectorELNS0_4arch9wavefront6targetE1EEEvT1_,comdat
	.protected	_ZN7rocprim17ROCPRIM_400000_NS6detail17trampoline_kernelINS0_14default_configENS1_20scan_config_selectorIfEEZZNS1_9scan_implILNS1_25lookback_scan_determinismE0ELb0ELb0ES3_N6thrust23THRUST_200600_302600_NS6detail15normal_iteratorINS9_10device_ptrIfEEEENSB_INSC_IiEEEEfNS9_4plusIvEEfEEDaPvRmT3_T4_T5_mT6_P12ihipStream_tbENKUlT_T0_E_clISt17integral_constantIbLb1EESW_EEDaSR_SS_EUlSR_E0_NS1_11comp_targetILNS1_3genE10ELNS1_11target_archE1201ELNS1_3gpuE5ELNS1_3repE0EEENS1_30default_config_static_selectorELNS0_4arch9wavefront6targetE1EEEvT1_ ; -- Begin function _ZN7rocprim17ROCPRIM_400000_NS6detail17trampoline_kernelINS0_14default_configENS1_20scan_config_selectorIfEEZZNS1_9scan_implILNS1_25lookback_scan_determinismE0ELb0ELb0ES3_N6thrust23THRUST_200600_302600_NS6detail15normal_iteratorINS9_10device_ptrIfEEEENSB_INSC_IiEEEEfNS9_4plusIvEEfEEDaPvRmT3_T4_T5_mT6_P12ihipStream_tbENKUlT_T0_E_clISt17integral_constantIbLb1EESW_EEDaSR_SS_EUlSR_E0_NS1_11comp_targetILNS1_3genE10ELNS1_11target_archE1201ELNS1_3gpuE5ELNS1_3repE0EEENS1_30default_config_static_selectorELNS0_4arch9wavefront6targetE1EEEvT1_
	.globl	_ZN7rocprim17ROCPRIM_400000_NS6detail17trampoline_kernelINS0_14default_configENS1_20scan_config_selectorIfEEZZNS1_9scan_implILNS1_25lookback_scan_determinismE0ELb0ELb0ES3_N6thrust23THRUST_200600_302600_NS6detail15normal_iteratorINS9_10device_ptrIfEEEENSB_INSC_IiEEEEfNS9_4plusIvEEfEEDaPvRmT3_T4_T5_mT6_P12ihipStream_tbENKUlT_T0_E_clISt17integral_constantIbLb1EESW_EEDaSR_SS_EUlSR_E0_NS1_11comp_targetILNS1_3genE10ELNS1_11target_archE1201ELNS1_3gpuE5ELNS1_3repE0EEENS1_30default_config_static_selectorELNS0_4arch9wavefront6targetE1EEEvT1_
	.p2align	8
	.type	_ZN7rocprim17ROCPRIM_400000_NS6detail17trampoline_kernelINS0_14default_configENS1_20scan_config_selectorIfEEZZNS1_9scan_implILNS1_25lookback_scan_determinismE0ELb0ELb0ES3_N6thrust23THRUST_200600_302600_NS6detail15normal_iteratorINS9_10device_ptrIfEEEENSB_INSC_IiEEEEfNS9_4plusIvEEfEEDaPvRmT3_T4_T5_mT6_P12ihipStream_tbENKUlT_T0_E_clISt17integral_constantIbLb1EESW_EEDaSR_SS_EUlSR_E0_NS1_11comp_targetILNS1_3genE10ELNS1_11target_archE1201ELNS1_3gpuE5ELNS1_3repE0EEENS1_30default_config_static_selectorELNS0_4arch9wavefront6targetE1EEEvT1_,@function
_ZN7rocprim17ROCPRIM_400000_NS6detail17trampoline_kernelINS0_14default_configENS1_20scan_config_selectorIfEEZZNS1_9scan_implILNS1_25lookback_scan_determinismE0ELb0ELb0ES3_N6thrust23THRUST_200600_302600_NS6detail15normal_iteratorINS9_10device_ptrIfEEEENSB_INSC_IiEEEEfNS9_4plusIvEEfEEDaPvRmT3_T4_T5_mT6_P12ihipStream_tbENKUlT_T0_E_clISt17integral_constantIbLb1EESW_EEDaSR_SS_EUlSR_E0_NS1_11comp_targetILNS1_3genE10ELNS1_11target_archE1201ELNS1_3gpuE5ELNS1_3repE0EEENS1_30default_config_static_selectorELNS0_4arch9wavefront6targetE1EEEvT1_: ; @_ZN7rocprim17ROCPRIM_400000_NS6detail17trampoline_kernelINS0_14default_configENS1_20scan_config_selectorIfEEZZNS1_9scan_implILNS1_25lookback_scan_determinismE0ELb0ELb0ES3_N6thrust23THRUST_200600_302600_NS6detail15normal_iteratorINS9_10device_ptrIfEEEENSB_INSC_IiEEEEfNS9_4plusIvEEfEEDaPvRmT3_T4_T5_mT6_P12ihipStream_tbENKUlT_T0_E_clISt17integral_constantIbLb1EESW_EEDaSR_SS_EUlSR_E0_NS1_11comp_targetILNS1_3genE10ELNS1_11target_archE1201ELNS1_3gpuE5ELNS1_3repE0EEENS1_30default_config_static_selectorELNS0_4arch9wavefront6targetE1EEEvT1_
; %bb.0:
	.section	.rodata,"a",@progbits
	.p2align	6, 0x0
	.amdhsa_kernel _ZN7rocprim17ROCPRIM_400000_NS6detail17trampoline_kernelINS0_14default_configENS1_20scan_config_selectorIfEEZZNS1_9scan_implILNS1_25lookback_scan_determinismE0ELb0ELb0ES3_N6thrust23THRUST_200600_302600_NS6detail15normal_iteratorINS9_10device_ptrIfEEEENSB_INSC_IiEEEEfNS9_4plusIvEEfEEDaPvRmT3_T4_T5_mT6_P12ihipStream_tbENKUlT_T0_E_clISt17integral_constantIbLb1EESW_EEDaSR_SS_EUlSR_E0_NS1_11comp_targetILNS1_3genE10ELNS1_11target_archE1201ELNS1_3gpuE5ELNS1_3repE0EEENS1_30default_config_static_selectorELNS0_4arch9wavefront6targetE1EEEvT1_
		.amdhsa_group_segment_fixed_size 0
		.amdhsa_private_segment_fixed_size 0
		.amdhsa_kernarg_size 32
		.amdhsa_user_sgpr_count 6
		.amdhsa_user_sgpr_private_segment_buffer 1
		.amdhsa_user_sgpr_dispatch_ptr 0
		.amdhsa_user_sgpr_queue_ptr 0
		.amdhsa_user_sgpr_kernarg_segment_ptr 1
		.amdhsa_user_sgpr_dispatch_id 0
		.amdhsa_user_sgpr_flat_scratch_init 0
		.amdhsa_user_sgpr_kernarg_preload_length 0
		.amdhsa_user_sgpr_kernarg_preload_offset 0
		.amdhsa_user_sgpr_private_segment_size 0
		.amdhsa_uses_dynamic_stack 0
		.amdhsa_system_sgpr_private_segment_wavefront_offset 0
		.amdhsa_system_sgpr_workgroup_id_x 1
		.amdhsa_system_sgpr_workgroup_id_y 0
		.amdhsa_system_sgpr_workgroup_id_z 0
		.amdhsa_system_sgpr_workgroup_info 0
		.amdhsa_system_vgpr_workitem_id 0
		.amdhsa_next_free_vgpr 1
		.amdhsa_next_free_sgpr 0
		.amdhsa_accum_offset 4
		.amdhsa_reserve_vcc 0
		.amdhsa_reserve_flat_scratch 0
		.amdhsa_float_round_mode_32 0
		.amdhsa_float_round_mode_16_64 0
		.amdhsa_float_denorm_mode_32 3
		.amdhsa_float_denorm_mode_16_64 3
		.amdhsa_dx10_clamp 1
		.amdhsa_ieee_mode 1
		.amdhsa_fp16_overflow 0
		.amdhsa_tg_split 0
		.amdhsa_exception_fp_ieee_invalid_op 0
		.amdhsa_exception_fp_denorm_src 0
		.amdhsa_exception_fp_ieee_div_zero 0
		.amdhsa_exception_fp_ieee_overflow 0
		.amdhsa_exception_fp_ieee_underflow 0
		.amdhsa_exception_fp_ieee_inexact 0
		.amdhsa_exception_int_div_zero 0
	.end_amdhsa_kernel
	.section	.text._ZN7rocprim17ROCPRIM_400000_NS6detail17trampoline_kernelINS0_14default_configENS1_20scan_config_selectorIfEEZZNS1_9scan_implILNS1_25lookback_scan_determinismE0ELb0ELb0ES3_N6thrust23THRUST_200600_302600_NS6detail15normal_iteratorINS9_10device_ptrIfEEEENSB_INSC_IiEEEEfNS9_4plusIvEEfEEDaPvRmT3_T4_T5_mT6_P12ihipStream_tbENKUlT_T0_E_clISt17integral_constantIbLb1EESW_EEDaSR_SS_EUlSR_E0_NS1_11comp_targetILNS1_3genE10ELNS1_11target_archE1201ELNS1_3gpuE5ELNS1_3repE0EEENS1_30default_config_static_selectorELNS0_4arch9wavefront6targetE1EEEvT1_,"axG",@progbits,_ZN7rocprim17ROCPRIM_400000_NS6detail17trampoline_kernelINS0_14default_configENS1_20scan_config_selectorIfEEZZNS1_9scan_implILNS1_25lookback_scan_determinismE0ELb0ELb0ES3_N6thrust23THRUST_200600_302600_NS6detail15normal_iteratorINS9_10device_ptrIfEEEENSB_INSC_IiEEEEfNS9_4plusIvEEfEEDaPvRmT3_T4_T5_mT6_P12ihipStream_tbENKUlT_T0_E_clISt17integral_constantIbLb1EESW_EEDaSR_SS_EUlSR_E0_NS1_11comp_targetILNS1_3genE10ELNS1_11target_archE1201ELNS1_3gpuE5ELNS1_3repE0EEENS1_30default_config_static_selectorELNS0_4arch9wavefront6targetE1EEEvT1_,comdat
.Lfunc_end1454:
	.size	_ZN7rocprim17ROCPRIM_400000_NS6detail17trampoline_kernelINS0_14default_configENS1_20scan_config_selectorIfEEZZNS1_9scan_implILNS1_25lookback_scan_determinismE0ELb0ELb0ES3_N6thrust23THRUST_200600_302600_NS6detail15normal_iteratorINS9_10device_ptrIfEEEENSB_INSC_IiEEEEfNS9_4plusIvEEfEEDaPvRmT3_T4_T5_mT6_P12ihipStream_tbENKUlT_T0_E_clISt17integral_constantIbLb1EESW_EEDaSR_SS_EUlSR_E0_NS1_11comp_targetILNS1_3genE10ELNS1_11target_archE1201ELNS1_3gpuE5ELNS1_3repE0EEENS1_30default_config_static_selectorELNS0_4arch9wavefront6targetE1EEEvT1_, .Lfunc_end1454-_ZN7rocprim17ROCPRIM_400000_NS6detail17trampoline_kernelINS0_14default_configENS1_20scan_config_selectorIfEEZZNS1_9scan_implILNS1_25lookback_scan_determinismE0ELb0ELb0ES3_N6thrust23THRUST_200600_302600_NS6detail15normal_iteratorINS9_10device_ptrIfEEEENSB_INSC_IiEEEEfNS9_4plusIvEEfEEDaPvRmT3_T4_T5_mT6_P12ihipStream_tbENKUlT_T0_E_clISt17integral_constantIbLb1EESW_EEDaSR_SS_EUlSR_E0_NS1_11comp_targetILNS1_3genE10ELNS1_11target_archE1201ELNS1_3gpuE5ELNS1_3repE0EEENS1_30default_config_static_selectorELNS0_4arch9wavefront6targetE1EEEvT1_
                                        ; -- End function
	.section	.AMDGPU.csdata,"",@progbits
; Kernel info:
; codeLenInByte = 0
; NumSgprs: 4
; NumVgprs: 0
; NumAgprs: 0
; TotalNumVgprs: 0
; ScratchSize: 0
; MemoryBound: 0
; FloatMode: 240
; IeeeMode: 1
; LDSByteSize: 0 bytes/workgroup (compile time only)
; SGPRBlocks: 0
; VGPRBlocks: 0
; NumSGPRsForWavesPerEU: 4
; NumVGPRsForWavesPerEU: 1
; AccumOffset: 4
; Occupancy: 8
; WaveLimiterHint : 0
; COMPUTE_PGM_RSRC2:SCRATCH_EN: 0
; COMPUTE_PGM_RSRC2:USER_SGPR: 6
; COMPUTE_PGM_RSRC2:TRAP_HANDLER: 0
; COMPUTE_PGM_RSRC2:TGID_X_EN: 1
; COMPUTE_PGM_RSRC2:TGID_Y_EN: 0
; COMPUTE_PGM_RSRC2:TGID_Z_EN: 0
; COMPUTE_PGM_RSRC2:TIDIG_COMP_CNT: 0
; COMPUTE_PGM_RSRC3_GFX90A:ACCUM_OFFSET: 0
; COMPUTE_PGM_RSRC3_GFX90A:TG_SPLIT: 0
	.section	.text._ZN7rocprim17ROCPRIM_400000_NS6detail17trampoline_kernelINS0_14default_configENS1_20scan_config_selectorIfEEZZNS1_9scan_implILNS1_25lookback_scan_determinismE0ELb0ELb0ES3_N6thrust23THRUST_200600_302600_NS6detail15normal_iteratorINS9_10device_ptrIfEEEENSB_INSC_IiEEEEfNS9_4plusIvEEfEEDaPvRmT3_T4_T5_mT6_P12ihipStream_tbENKUlT_T0_E_clISt17integral_constantIbLb1EESW_EEDaSR_SS_EUlSR_E0_NS1_11comp_targetILNS1_3genE10ELNS1_11target_archE1200ELNS1_3gpuE4ELNS1_3repE0EEENS1_30default_config_static_selectorELNS0_4arch9wavefront6targetE1EEEvT1_,"axG",@progbits,_ZN7rocprim17ROCPRIM_400000_NS6detail17trampoline_kernelINS0_14default_configENS1_20scan_config_selectorIfEEZZNS1_9scan_implILNS1_25lookback_scan_determinismE0ELb0ELb0ES3_N6thrust23THRUST_200600_302600_NS6detail15normal_iteratorINS9_10device_ptrIfEEEENSB_INSC_IiEEEEfNS9_4plusIvEEfEEDaPvRmT3_T4_T5_mT6_P12ihipStream_tbENKUlT_T0_E_clISt17integral_constantIbLb1EESW_EEDaSR_SS_EUlSR_E0_NS1_11comp_targetILNS1_3genE10ELNS1_11target_archE1200ELNS1_3gpuE4ELNS1_3repE0EEENS1_30default_config_static_selectorELNS0_4arch9wavefront6targetE1EEEvT1_,comdat
	.protected	_ZN7rocprim17ROCPRIM_400000_NS6detail17trampoline_kernelINS0_14default_configENS1_20scan_config_selectorIfEEZZNS1_9scan_implILNS1_25lookback_scan_determinismE0ELb0ELb0ES3_N6thrust23THRUST_200600_302600_NS6detail15normal_iteratorINS9_10device_ptrIfEEEENSB_INSC_IiEEEEfNS9_4plusIvEEfEEDaPvRmT3_T4_T5_mT6_P12ihipStream_tbENKUlT_T0_E_clISt17integral_constantIbLb1EESW_EEDaSR_SS_EUlSR_E0_NS1_11comp_targetILNS1_3genE10ELNS1_11target_archE1200ELNS1_3gpuE4ELNS1_3repE0EEENS1_30default_config_static_selectorELNS0_4arch9wavefront6targetE1EEEvT1_ ; -- Begin function _ZN7rocprim17ROCPRIM_400000_NS6detail17trampoline_kernelINS0_14default_configENS1_20scan_config_selectorIfEEZZNS1_9scan_implILNS1_25lookback_scan_determinismE0ELb0ELb0ES3_N6thrust23THRUST_200600_302600_NS6detail15normal_iteratorINS9_10device_ptrIfEEEENSB_INSC_IiEEEEfNS9_4plusIvEEfEEDaPvRmT3_T4_T5_mT6_P12ihipStream_tbENKUlT_T0_E_clISt17integral_constantIbLb1EESW_EEDaSR_SS_EUlSR_E0_NS1_11comp_targetILNS1_3genE10ELNS1_11target_archE1200ELNS1_3gpuE4ELNS1_3repE0EEENS1_30default_config_static_selectorELNS0_4arch9wavefront6targetE1EEEvT1_
	.globl	_ZN7rocprim17ROCPRIM_400000_NS6detail17trampoline_kernelINS0_14default_configENS1_20scan_config_selectorIfEEZZNS1_9scan_implILNS1_25lookback_scan_determinismE0ELb0ELb0ES3_N6thrust23THRUST_200600_302600_NS6detail15normal_iteratorINS9_10device_ptrIfEEEENSB_INSC_IiEEEEfNS9_4plusIvEEfEEDaPvRmT3_T4_T5_mT6_P12ihipStream_tbENKUlT_T0_E_clISt17integral_constantIbLb1EESW_EEDaSR_SS_EUlSR_E0_NS1_11comp_targetILNS1_3genE10ELNS1_11target_archE1200ELNS1_3gpuE4ELNS1_3repE0EEENS1_30default_config_static_selectorELNS0_4arch9wavefront6targetE1EEEvT1_
	.p2align	8
	.type	_ZN7rocprim17ROCPRIM_400000_NS6detail17trampoline_kernelINS0_14default_configENS1_20scan_config_selectorIfEEZZNS1_9scan_implILNS1_25lookback_scan_determinismE0ELb0ELb0ES3_N6thrust23THRUST_200600_302600_NS6detail15normal_iteratorINS9_10device_ptrIfEEEENSB_INSC_IiEEEEfNS9_4plusIvEEfEEDaPvRmT3_T4_T5_mT6_P12ihipStream_tbENKUlT_T0_E_clISt17integral_constantIbLb1EESW_EEDaSR_SS_EUlSR_E0_NS1_11comp_targetILNS1_3genE10ELNS1_11target_archE1200ELNS1_3gpuE4ELNS1_3repE0EEENS1_30default_config_static_selectorELNS0_4arch9wavefront6targetE1EEEvT1_,@function
_ZN7rocprim17ROCPRIM_400000_NS6detail17trampoline_kernelINS0_14default_configENS1_20scan_config_selectorIfEEZZNS1_9scan_implILNS1_25lookback_scan_determinismE0ELb0ELb0ES3_N6thrust23THRUST_200600_302600_NS6detail15normal_iteratorINS9_10device_ptrIfEEEENSB_INSC_IiEEEEfNS9_4plusIvEEfEEDaPvRmT3_T4_T5_mT6_P12ihipStream_tbENKUlT_T0_E_clISt17integral_constantIbLb1EESW_EEDaSR_SS_EUlSR_E0_NS1_11comp_targetILNS1_3genE10ELNS1_11target_archE1200ELNS1_3gpuE4ELNS1_3repE0EEENS1_30default_config_static_selectorELNS0_4arch9wavefront6targetE1EEEvT1_: ; @_ZN7rocprim17ROCPRIM_400000_NS6detail17trampoline_kernelINS0_14default_configENS1_20scan_config_selectorIfEEZZNS1_9scan_implILNS1_25lookback_scan_determinismE0ELb0ELb0ES3_N6thrust23THRUST_200600_302600_NS6detail15normal_iteratorINS9_10device_ptrIfEEEENSB_INSC_IiEEEEfNS9_4plusIvEEfEEDaPvRmT3_T4_T5_mT6_P12ihipStream_tbENKUlT_T0_E_clISt17integral_constantIbLb1EESW_EEDaSR_SS_EUlSR_E0_NS1_11comp_targetILNS1_3genE10ELNS1_11target_archE1200ELNS1_3gpuE4ELNS1_3repE0EEENS1_30default_config_static_selectorELNS0_4arch9wavefront6targetE1EEEvT1_
; %bb.0:
	.section	.rodata,"a",@progbits
	.p2align	6, 0x0
	.amdhsa_kernel _ZN7rocprim17ROCPRIM_400000_NS6detail17trampoline_kernelINS0_14default_configENS1_20scan_config_selectorIfEEZZNS1_9scan_implILNS1_25lookback_scan_determinismE0ELb0ELb0ES3_N6thrust23THRUST_200600_302600_NS6detail15normal_iteratorINS9_10device_ptrIfEEEENSB_INSC_IiEEEEfNS9_4plusIvEEfEEDaPvRmT3_T4_T5_mT6_P12ihipStream_tbENKUlT_T0_E_clISt17integral_constantIbLb1EESW_EEDaSR_SS_EUlSR_E0_NS1_11comp_targetILNS1_3genE10ELNS1_11target_archE1200ELNS1_3gpuE4ELNS1_3repE0EEENS1_30default_config_static_selectorELNS0_4arch9wavefront6targetE1EEEvT1_
		.amdhsa_group_segment_fixed_size 0
		.amdhsa_private_segment_fixed_size 0
		.amdhsa_kernarg_size 32
		.amdhsa_user_sgpr_count 6
		.amdhsa_user_sgpr_private_segment_buffer 1
		.amdhsa_user_sgpr_dispatch_ptr 0
		.amdhsa_user_sgpr_queue_ptr 0
		.amdhsa_user_sgpr_kernarg_segment_ptr 1
		.amdhsa_user_sgpr_dispatch_id 0
		.amdhsa_user_sgpr_flat_scratch_init 0
		.amdhsa_user_sgpr_kernarg_preload_length 0
		.amdhsa_user_sgpr_kernarg_preload_offset 0
		.amdhsa_user_sgpr_private_segment_size 0
		.amdhsa_uses_dynamic_stack 0
		.amdhsa_system_sgpr_private_segment_wavefront_offset 0
		.amdhsa_system_sgpr_workgroup_id_x 1
		.amdhsa_system_sgpr_workgroup_id_y 0
		.amdhsa_system_sgpr_workgroup_id_z 0
		.amdhsa_system_sgpr_workgroup_info 0
		.amdhsa_system_vgpr_workitem_id 0
		.amdhsa_next_free_vgpr 1
		.amdhsa_next_free_sgpr 0
		.amdhsa_accum_offset 4
		.amdhsa_reserve_vcc 0
		.amdhsa_reserve_flat_scratch 0
		.amdhsa_float_round_mode_32 0
		.amdhsa_float_round_mode_16_64 0
		.amdhsa_float_denorm_mode_32 3
		.amdhsa_float_denorm_mode_16_64 3
		.amdhsa_dx10_clamp 1
		.amdhsa_ieee_mode 1
		.amdhsa_fp16_overflow 0
		.amdhsa_tg_split 0
		.amdhsa_exception_fp_ieee_invalid_op 0
		.amdhsa_exception_fp_denorm_src 0
		.amdhsa_exception_fp_ieee_div_zero 0
		.amdhsa_exception_fp_ieee_overflow 0
		.amdhsa_exception_fp_ieee_underflow 0
		.amdhsa_exception_fp_ieee_inexact 0
		.amdhsa_exception_int_div_zero 0
	.end_amdhsa_kernel
	.section	.text._ZN7rocprim17ROCPRIM_400000_NS6detail17trampoline_kernelINS0_14default_configENS1_20scan_config_selectorIfEEZZNS1_9scan_implILNS1_25lookback_scan_determinismE0ELb0ELb0ES3_N6thrust23THRUST_200600_302600_NS6detail15normal_iteratorINS9_10device_ptrIfEEEENSB_INSC_IiEEEEfNS9_4plusIvEEfEEDaPvRmT3_T4_T5_mT6_P12ihipStream_tbENKUlT_T0_E_clISt17integral_constantIbLb1EESW_EEDaSR_SS_EUlSR_E0_NS1_11comp_targetILNS1_3genE10ELNS1_11target_archE1200ELNS1_3gpuE4ELNS1_3repE0EEENS1_30default_config_static_selectorELNS0_4arch9wavefront6targetE1EEEvT1_,"axG",@progbits,_ZN7rocprim17ROCPRIM_400000_NS6detail17trampoline_kernelINS0_14default_configENS1_20scan_config_selectorIfEEZZNS1_9scan_implILNS1_25lookback_scan_determinismE0ELb0ELb0ES3_N6thrust23THRUST_200600_302600_NS6detail15normal_iteratorINS9_10device_ptrIfEEEENSB_INSC_IiEEEEfNS9_4plusIvEEfEEDaPvRmT3_T4_T5_mT6_P12ihipStream_tbENKUlT_T0_E_clISt17integral_constantIbLb1EESW_EEDaSR_SS_EUlSR_E0_NS1_11comp_targetILNS1_3genE10ELNS1_11target_archE1200ELNS1_3gpuE4ELNS1_3repE0EEENS1_30default_config_static_selectorELNS0_4arch9wavefront6targetE1EEEvT1_,comdat
.Lfunc_end1455:
	.size	_ZN7rocprim17ROCPRIM_400000_NS6detail17trampoline_kernelINS0_14default_configENS1_20scan_config_selectorIfEEZZNS1_9scan_implILNS1_25lookback_scan_determinismE0ELb0ELb0ES3_N6thrust23THRUST_200600_302600_NS6detail15normal_iteratorINS9_10device_ptrIfEEEENSB_INSC_IiEEEEfNS9_4plusIvEEfEEDaPvRmT3_T4_T5_mT6_P12ihipStream_tbENKUlT_T0_E_clISt17integral_constantIbLb1EESW_EEDaSR_SS_EUlSR_E0_NS1_11comp_targetILNS1_3genE10ELNS1_11target_archE1200ELNS1_3gpuE4ELNS1_3repE0EEENS1_30default_config_static_selectorELNS0_4arch9wavefront6targetE1EEEvT1_, .Lfunc_end1455-_ZN7rocprim17ROCPRIM_400000_NS6detail17trampoline_kernelINS0_14default_configENS1_20scan_config_selectorIfEEZZNS1_9scan_implILNS1_25lookback_scan_determinismE0ELb0ELb0ES3_N6thrust23THRUST_200600_302600_NS6detail15normal_iteratorINS9_10device_ptrIfEEEENSB_INSC_IiEEEEfNS9_4plusIvEEfEEDaPvRmT3_T4_T5_mT6_P12ihipStream_tbENKUlT_T0_E_clISt17integral_constantIbLb1EESW_EEDaSR_SS_EUlSR_E0_NS1_11comp_targetILNS1_3genE10ELNS1_11target_archE1200ELNS1_3gpuE4ELNS1_3repE0EEENS1_30default_config_static_selectorELNS0_4arch9wavefront6targetE1EEEvT1_
                                        ; -- End function
	.section	.AMDGPU.csdata,"",@progbits
; Kernel info:
; codeLenInByte = 0
; NumSgprs: 4
; NumVgprs: 0
; NumAgprs: 0
; TotalNumVgprs: 0
; ScratchSize: 0
; MemoryBound: 0
; FloatMode: 240
; IeeeMode: 1
; LDSByteSize: 0 bytes/workgroup (compile time only)
; SGPRBlocks: 0
; VGPRBlocks: 0
; NumSGPRsForWavesPerEU: 4
; NumVGPRsForWavesPerEU: 1
; AccumOffset: 4
; Occupancy: 8
; WaveLimiterHint : 0
; COMPUTE_PGM_RSRC2:SCRATCH_EN: 0
; COMPUTE_PGM_RSRC2:USER_SGPR: 6
; COMPUTE_PGM_RSRC2:TRAP_HANDLER: 0
; COMPUTE_PGM_RSRC2:TGID_X_EN: 1
; COMPUTE_PGM_RSRC2:TGID_Y_EN: 0
; COMPUTE_PGM_RSRC2:TGID_Z_EN: 0
; COMPUTE_PGM_RSRC2:TIDIG_COMP_CNT: 0
; COMPUTE_PGM_RSRC3_GFX90A:ACCUM_OFFSET: 0
; COMPUTE_PGM_RSRC3_GFX90A:TG_SPLIT: 0
	.section	.text._ZN7rocprim17ROCPRIM_400000_NS6detail17trampoline_kernelINS0_14default_configENS1_20scan_config_selectorIfEEZZNS1_9scan_implILNS1_25lookback_scan_determinismE0ELb0ELb0ES3_N6thrust23THRUST_200600_302600_NS6detail15normal_iteratorINS9_10device_ptrIfEEEENSB_INSC_IiEEEEfNS9_4plusIvEEfEEDaPvRmT3_T4_T5_mT6_P12ihipStream_tbENKUlT_T0_E_clISt17integral_constantIbLb1EESW_EEDaSR_SS_EUlSR_E0_NS1_11comp_targetILNS1_3genE9ELNS1_11target_archE1100ELNS1_3gpuE3ELNS1_3repE0EEENS1_30default_config_static_selectorELNS0_4arch9wavefront6targetE1EEEvT1_,"axG",@progbits,_ZN7rocprim17ROCPRIM_400000_NS6detail17trampoline_kernelINS0_14default_configENS1_20scan_config_selectorIfEEZZNS1_9scan_implILNS1_25lookback_scan_determinismE0ELb0ELb0ES3_N6thrust23THRUST_200600_302600_NS6detail15normal_iteratorINS9_10device_ptrIfEEEENSB_INSC_IiEEEEfNS9_4plusIvEEfEEDaPvRmT3_T4_T5_mT6_P12ihipStream_tbENKUlT_T0_E_clISt17integral_constantIbLb1EESW_EEDaSR_SS_EUlSR_E0_NS1_11comp_targetILNS1_3genE9ELNS1_11target_archE1100ELNS1_3gpuE3ELNS1_3repE0EEENS1_30default_config_static_selectorELNS0_4arch9wavefront6targetE1EEEvT1_,comdat
	.protected	_ZN7rocprim17ROCPRIM_400000_NS6detail17trampoline_kernelINS0_14default_configENS1_20scan_config_selectorIfEEZZNS1_9scan_implILNS1_25lookback_scan_determinismE0ELb0ELb0ES3_N6thrust23THRUST_200600_302600_NS6detail15normal_iteratorINS9_10device_ptrIfEEEENSB_INSC_IiEEEEfNS9_4plusIvEEfEEDaPvRmT3_T4_T5_mT6_P12ihipStream_tbENKUlT_T0_E_clISt17integral_constantIbLb1EESW_EEDaSR_SS_EUlSR_E0_NS1_11comp_targetILNS1_3genE9ELNS1_11target_archE1100ELNS1_3gpuE3ELNS1_3repE0EEENS1_30default_config_static_selectorELNS0_4arch9wavefront6targetE1EEEvT1_ ; -- Begin function _ZN7rocprim17ROCPRIM_400000_NS6detail17trampoline_kernelINS0_14default_configENS1_20scan_config_selectorIfEEZZNS1_9scan_implILNS1_25lookback_scan_determinismE0ELb0ELb0ES3_N6thrust23THRUST_200600_302600_NS6detail15normal_iteratorINS9_10device_ptrIfEEEENSB_INSC_IiEEEEfNS9_4plusIvEEfEEDaPvRmT3_T4_T5_mT6_P12ihipStream_tbENKUlT_T0_E_clISt17integral_constantIbLb1EESW_EEDaSR_SS_EUlSR_E0_NS1_11comp_targetILNS1_3genE9ELNS1_11target_archE1100ELNS1_3gpuE3ELNS1_3repE0EEENS1_30default_config_static_selectorELNS0_4arch9wavefront6targetE1EEEvT1_
	.globl	_ZN7rocprim17ROCPRIM_400000_NS6detail17trampoline_kernelINS0_14default_configENS1_20scan_config_selectorIfEEZZNS1_9scan_implILNS1_25lookback_scan_determinismE0ELb0ELb0ES3_N6thrust23THRUST_200600_302600_NS6detail15normal_iteratorINS9_10device_ptrIfEEEENSB_INSC_IiEEEEfNS9_4plusIvEEfEEDaPvRmT3_T4_T5_mT6_P12ihipStream_tbENKUlT_T0_E_clISt17integral_constantIbLb1EESW_EEDaSR_SS_EUlSR_E0_NS1_11comp_targetILNS1_3genE9ELNS1_11target_archE1100ELNS1_3gpuE3ELNS1_3repE0EEENS1_30default_config_static_selectorELNS0_4arch9wavefront6targetE1EEEvT1_
	.p2align	8
	.type	_ZN7rocprim17ROCPRIM_400000_NS6detail17trampoline_kernelINS0_14default_configENS1_20scan_config_selectorIfEEZZNS1_9scan_implILNS1_25lookback_scan_determinismE0ELb0ELb0ES3_N6thrust23THRUST_200600_302600_NS6detail15normal_iteratorINS9_10device_ptrIfEEEENSB_INSC_IiEEEEfNS9_4plusIvEEfEEDaPvRmT3_T4_T5_mT6_P12ihipStream_tbENKUlT_T0_E_clISt17integral_constantIbLb1EESW_EEDaSR_SS_EUlSR_E0_NS1_11comp_targetILNS1_3genE9ELNS1_11target_archE1100ELNS1_3gpuE3ELNS1_3repE0EEENS1_30default_config_static_selectorELNS0_4arch9wavefront6targetE1EEEvT1_,@function
_ZN7rocprim17ROCPRIM_400000_NS6detail17trampoline_kernelINS0_14default_configENS1_20scan_config_selectorIfEEZZNS1_9scan_implILNS1_25lookback_scan_determinismE0ELb0ELb0ES3_N6thrust23THRUST_200600_302600_NS6detail15normal_iteratorINS9_10device_ptrIfEEEENSB_INSC_IiEEEEfNS9_4plusIvEEfEEDaPvRmT3_T4_T5_mT6_P12ihipStream_tbENKUlT_T0_E_clISt17integral_constantIbLb1EESW_EEDaSR_SS_EUlSR_E0_NS1_11comp_targetILNS1_3genE9ELNS1_11target_archE1100ELNS1_3gpuE3ELNS1_3repE0EEENS1_30default_config_static_selectorELNS0_4arch9wavefront6targetE1EEEvT1_: ; @_ZN7rocprim17ROCPRIM_400000_NS6detail17trampoline_kernelINS0_14default_configENS1_20scan_config_selectorIfEEZZNS1_9scan_implILNS1_25lookback_scan_determinismE0ELb0ELb0ES3_N6thrust23THRUST_200600_302600_NS6detail15normal_iteratorINS9_10device_ptrIfEEEENSB_INSC_IiEEEEfNS9_4plusIvEEfEEDaPvRmT3_T4_T5_mT6_P12ihipStream_tbENKUlT_T0_E_clISt17integral_constantIbLb1EESW_EEDaSR_SS_EUlSR_E0_NS1_11comp_targetILNS1_3genE9ELNS1_11target_archE1100ELNS1_3gpuE3ELNS1_3repE0EEENS1_30default_config_static_selectorELNS0_4arch9wavefront6targetE1EEEvT1_
; %bb.0:
	.section	.rodata,"a",@progbits
	.p2align	6, 0x0
	.amdhsa_kernel _ZN7rocprim17ROCPRIM_400000_NS6detail17trampoline_kernelINS0_14default_configENS1_20scan_config_selectorIfEEZZNS1_9scan_implILNS1_25lookback_scan_determinismE0ELb0ELb0ES3_N6thrust23THRUST_200600_302600_NS6detail15normal_iteratorINS9_10device_ptrIfEEEENSB_INSC_IiEEEEfNS9_4plusIvEEfEEDaPvRmT3_T4_T5_mT6_P12ihipStream_tbENKUlT_T0_E_clISt17integral_constantIbLb1EESW_EEDaSR_SS_EUlSR_E0_NS1_11comp_targetILNS1_3genE9ELNS1_11target_archE1100ELNS1_3gpuE3ELNS1_3repE0EEENS1_30default_config_static_selectorELNS0_4arch9wavefront6targetE1EEEvT1_
		.amdhsa_group_segment_fixed_size 0
		.amdhsa_private_segment_fixed_size 0
		.amdhsa_kernarg_size 32
		.amdhsa_user_sgpr_count 6
		.amdhsa_user_sgpr_private_segment_buffer 1
		.amdhsa_user_sgpr_dispatch_ptr 0
		.amdhsa_user_sgpr_queue_ptr 0
		.amdhsa_user_sgpr_kernarg_segment_ptr 1
		.amdhsa_user_sgpr_dispatch_id 0
		.amdhsa_user_sgpr_flat_scratch_init 0
		.amdhsa_user_sgpr_kernarg_preload_length 0
		.amdhsa_user_sgpr_kernarg_preload_offset 0
		.amdhsa_user_sgpr_private_segment_size 0
		.amdhsa_uses_dynamic_stack 0
		.amdhsa_system_sgpr_private_segment_wavefront_offset 0
		.amdhsa_system_sgpr_workgroup_id_x 1
		.amdhsa_system_sgpr_workgroup_id_y 0
		.amdhsa_system_sgpr_workgroup_id_z 0
		.amdhsa_system_sgpr_workgroup_info 0
		.amdhsa_system_vgpr_workitem_id 0
		.amdhsa_next_free_vgpr 1
		.amdhsa_next_free_sgpr 0
		.amdhsa_accum_offset 4
		.amdhsa_reserve_vcc 0
		.amdhsa_reserve_flat_scratch 0
		.amdhsa_float_round_mode_32 0
		.amdhsa_float_round_mode_16_64 0
		.amdhsa_float_denorm_mode_32 3
		.amdhsa_float_denorm_mode_16_64 3
		.amdhsa_dx10_clamp 1
		.amdhsa_ieee_mode 1
		.amdhsa_fp16_overflow 0
		.amdhsa_tg_split 0
		.amdhsa_exception_fp_ieee_invalid_op 0
		.amdhsa_exception_fp_denorm_src 0
		.amdhsa_exception_fp_ieee_div_zero 0
		.amdhsa_exception_fp_ieee_overflow 0
		.amdhsa_exception_fp_ieee_underflow 0
		.amdhsa_exception_fp_ieee_inexact 0
		.amdhsa_exception_int_div_zero 0
	.end_amdhsa_kernel
	.section	.text._ZN7rocprim17ROCPRIM_400000_NS6detail17trampoline_kernelINS0_14default_configENS1_20scan_config_selectorIfEEZZNS1_9scan_implILNS1_25lookback_scan_determinismE0ELb0ELb0ES3_N6thrust23THRUST_200600_302600_NS6detail15normal_iteratorINS9_10device_ptrIfEEEENSB_INSC_IiEEEEfNS9_4plusIvEEfEEDaPvRmT3_T4_T5_mT6_P12ihipStream_tbENKUlT_T0_E_clISt17integral_constantIbLb1EESW_EEDaSR_SS_EUlSR_E0_NS1_11comp_targetILNS1_3genE9ELNS1_11target_archE1100ELNS1_3gpuE3ELNS1_3repE0EEENS1_30default_config_static_selectorELNS0_4arch9wavefront6targetE1EEEvT1_,"axG",@progbits,_ZN7rocprim17ROCPRIM_400000_NS6detail17trampoline_kernelINS0_14default_configENS1_20scan_config_selectorIfEEZZNS1_9scan_implILNS1_25lookback_scan_determinismE0ELb0ELb0ES3_N6thrust23THRUST_200600_302600_NS6detail15normal_iteratorINS9_10device_ptrIfEEEENSB_INSC_IiEEEEfNS9_4plusIvEEfEEDaPvRmT3_T4_T5_mT6_P12ihipStream_tbENKUlT_T0_E_clISt17integral_constantIbLb1EESW_EEDaSR_SS_EUlSR_E0_NS1_11comp_targetILNS1_3genE9ELNS1_11target_archE1100ELNS1_3gpuE3ELNS1_3repE0EEENS1_30default_config_static_selectorELNS0_4arch9wavefront6targetE1EEEvT1_,comdat
.Lfunc_end1456:
	.size	_ZN7rocprim17ROCPRIM_400000_NS6detail17trampoline_kernelINS0_14default_configENS1_20scan_config_selectorIfEEZZNS1_9scan_implILNS1_25lookback_scan_determinismE0ELb0ELb0ES3_N6thrust23THRUST_200600_302600_NS6detail15normal_iteratorINS9_10device_ptrIfEEEENSB_INSC_IiEEEEfNS9_4plusIvEEfEEDaPvRmT3_T4_T5_mT6_P12ihipStream_tbENKUlT_T0_E_clISt17integral_constantIbLb1EESW_EEDaSR_SS_EUlSR_E0_NS1_11comp_targetILNS1_3genE9ELNS1_11target_archE1100ELNS1_3gpuE3ELNS1_3repE0EEENS1_30default_config_static_selectorELNS0_4arch9wavefront6targetE1EEEvT1_, .Lfunc_end1456-_ZN7rocprim17ROCPRIM_400000_NS6detail17trampoline_kernelINS0_14default_configENS1_20scan_config_selectorIfEEZZNS1_9scan_implILNS1_25lookback_scan_determinismE0ELb0ELb0ES3_N6thrust23THRUST_200600_302600_NS6detail15normal_iteratorINS9_10device_ptrIfEEEENSB_INSC_IiEEEEfNS9_4plusIvEEfEEDaPvRmT3_T4_T5_mT6_P12ihipStream_tbENKUlT_T0_E_clISt17integral_constantIbLb1EESW_EEDaSR_SS_EUlSR_E0_NS1_11comp_targetILNS1_3genE9ELNS1_11target_archE1100ELNS1_3gpuE3ELNS1_3repE0EEENS1_30default_config_static_selectorELNS0_4arch9wavefront6targetE1EEEvT1_
                                        ; -- End function
	.section	.AMDGPU.csdata,"",@progbits
; Kernel info:
; codeLenInByte = 0
; NumSgprs: 4
; NumVgprs: 0
; NumAgprs: 0
; TotalNumVgprs: 0
; ScratchSize: 0
; MemoryBound: 0
; FloatMode: 240
; IeeeMode: 1
; LDSByteSize: 0 bytes/workgroup (compile time only)
; SGPRBlocks: 0
; VGPRBlocks: 0
; NumSGPRsForWavesPerEU: 4
; NumVGPRsForWavesPerEU: 1
; AccumOffset: 4
; Occupancy: 8
; WaveLimiterHint : 0
; COMPUTE_PGM_RSRC2:SCRATCH_EN: 0
; COMPUTE_PGM_RSRC2:USER_SGPR: 6
; COMPUTE_PGM_RSRC2:TRAP_HANDLER: 0
; COMPUTE_PGM_RSRC2:TGID_X_EN: 1
; COMPUTE_PGM_RSRC2:TGID_Y_EN: 0
; COMPUTE_PGM_RSRC2:TGID_Z_EN: 0
; COMPUTE_PGM_RSRC2:TIDIG_COMP_CNT: 0
; COMPUTE_PGM_RSRC3_GFX90A:ACCUM_OFFSET: 0
; COMPUTE_PGM_RSRC3_GFX90A:TG_SPLIT: 0
	.section	.text._ZN7rocprim17ROCPRIM_400000_NS6detail17trampoline_kernelINS0_14default_configENS1_20scan_config_selectorIfEEZZNS1_9scan_implILNS1_25lookback_scan_determinismE0ELb0ELb0ES3_N6thrust23THRUST_200600_302600_NS6detail15normal_iteratorINS9_10device_ptrIfEEEENSB_INSC_IiEEEEfNS9_4plusIvEEfEEDaPvRmT3_T4_T5_mT6_P12ihipStream_tbENKUlT_T0_E_clISt17integral_constantIbLb1EESW_EEDaSR_SS_EUlSR_E0_NS1_11comp_targetILNS1_3genE8ELNS1_11target_archE1030ELNS1_3gpuE2ELNS1_3repE0EEENS1_30default_config_static_selectorELNS0_4arch9wavefront6targetE1EEEvT1_,"axG",@progbits,_ZN7rocprim17ROCPRIM_400000_NS6detail17trampoline_kernelINS0_14default_configENS1_20scan_config_selectorIfEEZZNS1_9scan_implILNS1_25lookback_scan_determinismE0ELb0ELb0ES3_N6thrust23THRUST_200600_302600_NS6detail15normal_iteratorINS9_10device_ptrIfEEEENSB_INSC_IiEEEEfNS9_4plusIvEEfEEDaPvRmT3_T4_T5_mT6_P12ihipStream_tbENKUlT_T0_E_clISt17integral_constantIbLb1EESW_EEDaSR_SS_EUlSR_E0_NS1_11comp_targetILNS1_3genE8ELNS1_11target_archE1030ELNS1_3gpuE2ELNS1_3repE0EEENS1_30default_config_static_selectorELNS0_4arch9wavefront6targetE1EEEvT1_,comdat
	.protected	_ZN7rocprim17ROCPRIM_400000_NS6detail17trampoline_kernelINS0_14default_configENS1_20scan_config_selectorIfEEZZNS1_9scan_implILNS1_25lookback_scan_determinismE0ELb0ELb0ES3_N6thrust23THRUST_200600_302600_NS6detail15normal_iteratorINS9_10device_ptrIfEEEENSB_INSC_IiEEEEfNS9_4plusIvEEfEEDaPvRmT3_T4_T5_mT6_P12ihipStream_tbENKUlT_T0_E_clISt17integral_constantIbLb1EESW_EEDaSR_SS_EUlSR_E0_NS1_11comp_targetILNS1_3genE8ELNS1_11target_archE1030ELNS1_3gpuE2ELNS1_3repE0EEENS1_30default_config_static_selectorELNS0_4arch9wavefront6targetE1EEEvT1_ ; -- Begin function _ZN7rocprim17ROCPRIM_400000_NS6detail17trampoline_kernelINS0_14default_configENS1_20scan_config_selectorIfEEZZNS1_9scan_implILNS1_25lookback_scan_determinismE0ELb0ELb0ES3_N6thrust23THRUST_200600_302600_NS6detail15normal_iteratorINS9_10device_ptrIfEEEENSB_INSC_IiEEEEfNS9_4plusIvEEfEEDaPvRmT3_T4_T5_mT6_P12ihipStream_tbENKUlT_T0_E_clISt17integral_constantIbLb1EESW_EEDaSR_SS_EUlSR_E0_NS1_11comp_targetILNS1_3genE8ELNS1_11target_archE1030ELNS1_3gpuE2ELNS1_3repE0EEENS1_30default_config_static_selectorELNS0_4arch9wavefront6targetE1EEEvT1_
	.globl	_ZN7rocprim17ROCPRIM_400000_NS6detail17trampoline_kernelINS0_14default_configENS1_20scan_config_selectorIfEEZZNS1_9scan_implILNS1_25lookback_scan_determinismE0ELb0ELb0ES3_N6thrust23THRUST_200600_302600_NS6detail15normal_iteratorINS9_10device_ptrIfEEEENSB_INSC_IiEEEEfNS9_4plusIvEEfEEDaPvRmT3_T4_T5_mT6_P12ihipStream_tbENKUlT_T0_E_clISt17integral_constantIbLb1EESW_EEDaSR_SS_EUlSR_E0_NS1_11comp_targetILNS1_3genE8ELNS1_11target_archE1030ELNS1_3gpuE2ELNS1_3repE0EEENS1_30default_config_static_selectorELNS0_4arch9wavefront6targetE1EEEvT1_
	.p2align	8
	.type	_ZN7rocprim17ROCPRIM_400000_NS6detail17trampoline_kernelINS0_14default_configENS1_20scan_config_selectorIfEEZZNS1_9scan_implILNS1_25lookback_scan_determinismE0ELb0ELb0ES3_N6thrust23THRUST_200600_302600_NS6detail15normal_iteratorINS9_10device_ptrIfEEEENSB_INSC_IiEEEEfNS9_4plusIvEEfEEDaPvRmT3_T4_T5_mT6_P12ihipStream_tbENKUlT_T0_E_clISt17integral_constantIbLb1EESW_EEDaSR_SS_EUlSR_E0_NS1_11comp_targetILNS1_3genE8ELNS1_11target_archE1030ELNS1_3gpuE2ELNS1_3repE0EEENS1_30default_config_static_selectorELNS0_4arch9wavefront6targetE1EEEvT1_,@function
_ZN7rocprim17ROCPRIM_400000_NS6detail17trampoline_kernelINS0_14default_configENS1_20scan_config_selectorIfEEZZNS1_9scan_implILNS1_25lookback_scan_determinismE0ELb0ELb0ES3_N6thrust23THRUST_200600_302600_NS6detail15normal_iteratorINS9_10device_ptrIfEEEENSB_INSC_IiEEEEfNS9_4plusIvEEfEEDaPvRmT3_T4_T5_mT6_P12ihipStream_tbENKUlT_T0_E_clISt17integral_constantIbLb1EESW_EEDaSR_SS_EUlSR_E0_NS1_11comp_targetILNS1_3genE8ELNS1_11target_archE1030ELNS1_3gpuE2ELNS1_3repE0EEENS1_30default_config_static_selectorELNS0_4arch9wavefront6targetE1EEEvT1_: ; @_ZN7rocprim17ROCPRIM_400000_NS6detail17trampoline_kernelINS0_14default_configENS1_20scan_config_selectorIfEEZZNS1_9scan_implILNS1_25lookback_scan_determinismE0ELb0ELb0ES3_N6thrust23THRUST_200600_302600_NS6detail15normal_iteratorINS9_10device_ptrIfEEEENSB_INSC_IiEEEEfNS9_4plusIvEEfEEDaPvRmT3_T4_T5_mT6_P12ihipStream_tbENKUlT_T0_E_clISt17integral_constantIbLb1EESW_EEDaSR_SS_EUlSR_E0_NS1_11comp_targetILNS1_3genE8ELNS1_11target_archE1030ELNS1_3gpuE2ELNS1_3repE0EEENS1_30default_config_static_selectorELNS0_4arch9wavefront6targetE1EEEvT1_
; %bb.0:
	.section	.rodata,"a",@progbits
	.p2align	6, 0x0
	.amdhsa_kernel _ZN7rocprim17ROCPRIM_400000_NS6detail17trampoline_kernelINS0_14default_configENS1_20scan_config_selectorIfEEZZNS1_9scan_implILNS1_25lookback_scan_determinismE0ELb0ELb0ES3_N6thrust23THRUST_200600_302600_NS6detail15normal_iteratorINS9_10device_ptrIfEEEENSB_INSC_IiEEEEfNS9_4plusIvEEfEEDaPvRmT3_T4_T5_mT6_P12ihipStream_tbENKUlT_T0_E_clISt17integral_constantIbLb1EESW_EEDaSR_SS_EUlSR_E0_NS1_11comp_targetILNS1_3genE8ELNS1_11target_archE1030ELNS1_3gpuE2ELNS1_3repE0EEENS1_30default_config_static_selectorELNS0_4arch9wavefront6targetE1EEEvT1_
		.amdhsa_group_segment_fixed_size 0
		.amdhsa_private_segment_fixed_size 0
		.amdhsa_kernarg_size 32
		.amdhsa_user_sgpr_count 6
		.amdhsa_user_sgpr_private_segment_buffer 1
		.amdhsa_user_sgpr_dispatch_ptr 0
		.amdhsa_user_sgpr_queue_ptr 0
		.amdhsa_user_sgpr_kernarg_segment_ptr 1
		.amdhsa_user_sgpr_dispatch_id 0
		.amdhsa_user_sgpr_flat_scratch_init 0
		.amdhsa_user_sgpr_kernarg_preload_length 0
		.amdhsa_user_sgpr_kernarg_preload_offset 0
		.amdhsa_user_sgpr_private_segment_size 0
		.amdhsa_uses_dynamic_stack 0
		.amdhsa_system_sgpr_private_segment_wavefront_offset 0
		.amdhsa_system_sgpr_workgroup_id_x 1
		.amdhsa_system_sgpr_workgroup_id_y 0
		.amdhsa_system_sgpr_workgroup_id_z 0
		.amdhsa_system_sgpr_workgroup_info 0
		.amdhsa_system_vgpr_workitem_id 0
		.amdhsa_next_free_vgpr 1
		.amdhsa_next_free_sgpr 0
		.amdhsa_accum_offset 4
		.amdhsa_reserve_vcc 0
		.amdhsa_reserve_flat_scratch 0
		.amdhsa_float_round_mode_32 0
		.amdhsa_float_round_mode_16_64 0
		.amdhsa_float_denorm_mode_32 3
		.amdhsa_float_denorm_mode_16_64 3
		.amdhsa_dx10_clamp 1
		.amdhsa_ieee_mode 1
		.amdhsa_fp16_overflow 0
		.amdhsa_tg_split 0
		.amdhsa_exception_fp_ieee_invalid_op 0
		.amdhsa_exception_fp_denorm_src 0
		.amdhsa_exception_fp_ieee_div_zero 0
		.amdhsa_exception_fp_ieee_overflow 0
		.amdhsa_exception_fp_ieee_underflow 0
		.amdhsa_exception_fp_ieee_inexact 0
		.amdhsa_exception_int_div_zero 0
	.end_amdhsa_kernel
	.section	.text._ZN7rocprim17ROCPRIM_400000_NS6detail17trampoline_kernelINS0_14default_configENS1_20scan_config_selectorIfEEZZNS1_9scan_implILNS1_25lookback_scan_determinismE0ELb0ELb0ES3_N6thrust23THRUST_200600_302600_NS6detail15normal_iteratorINS9_10device_ptrIfEEEENSB_INSC_IiEEEEfNS9_4plusIvEEfEEDaPvRmT3_T4_T5_mT6_P12ihipStream_tbENKUlT_T0_E_clISt17integral_constantIbLb1EESW_EEDaSR_SS_EUlSR_E0_NS1_11comp_targetILNS1_3genE8ELNS1_11target_archE1030ELNS1_3gpuE2ELNS1_3repE0EEENS1_30default_config_static_selectorELNS0_4arch9wavefront6targetE1EEEvT1_,"axG",@progbits,_ZN7rocprim17ROCPRIM_400000_NS6detail17trampoline_kernelINS0_14default_configENS1_20scan_config_selectorIfEEZZNS1_9scan_implILNS1_25lookback_scan_determinismE0ELb0ELb0ES3_N6thrust23THRUST_200600_302600_NS6detail15normal_iteratorINS9_10device_ptrIfEEEENSB_INSC_IiEEEEfNS9_4plusIvEEfEEDaPvRmT3_T4_T5_mT6_P12ihipStream_tbENKUlT_T0_E_clISt17integral_constantIbLb1EESW_EEDaSR_SS_EUlSR_E0_NS1_11comp_targetILNS1_3genE8ELNS1_11target_archE1030ELNS1_3gpuE2ELNS1_3repE0EEENS1_30default_config_static_selectorELNS0_4arch9wavefront6targetE1EEEvT1_,comdat
.Lfunc_end1457:
	.size	_ZN7rocprim17ROCPRIM_400000_NS6detail17trampoline_kernelINS0_14default_configENS1_20scan_config_selectorIfEEZZNS1_9scan_implILNS1_25lookback_scan_determinismE0ELb0ELb0ES3_N6thrust23THRUST_200600_302600_NS6detail15normal_iteratorINS9_10device_ptrIfEEEENSB_INSC_IiEEEEfNS9_4plusIvEEfEEDaPvRmT3_T4_T5_mT6_P12ihipStream_tbENKUlT_T0_E_clISt17integral_constantIbLb1EESW_EEDaSR_SS_EUlSR_E0_NS1_11comp_targetILNS1_3genE8ELNS1_11target_archE1030ELNS1_3gpuE2ELNS1_3repE0EEENS1_30default_config_static_selectorELNS0_4arch9wavefront6targetE1EEEvT1_, .Lfunc_end1457-_ZN7rocprim17ROCPRIM_400000_NS6detail17trampoline_kernelINS0_14default_configENS1_20scan_config_selectorIfEEZZNS1_9scan_implILNS1_25lookback_scan_determinismE0ELb0ELb0ES3_N6thrust23THRUST_200600_302600_NS6detail15normal_iteratorINS9_10device_ptrIfEEEENSB_INSC_IiEEEEfNS9_4plusIvEEfEEDaPvRmT3_T4_T5_mT6_P12ihipStream_tbENKUlT_T0_E_clISt17integral_constantIbLb1EESW_EEDaSR_SS_EUlSR_E0_NS1_11comp_targetILNS1_3genE8ELNS1_11target_archE1030ELNS1_3gpuE2ELNS1_3repE0EEENS1_30default_config_static_selectorELNS0_4arch9wavefront6targetE1EEEvT1_
                                        ; -- End function
	.section	.AMDGPU.csdata,"",@progbits
; Kernel info:
; codeLenInByte = 0
; NumSgprs: 4
; NumVgprs: 0
; NumAgprs: 0
; TotalNumVgprs: 0
; ScratchSize: 0
; MemoryBound: 0
; FloatMode: 240
; IeeeMode: 1
; LDSByteSize: 0 bytes/workgroup (compile time only)
; SGPRBlocks: 0
; VGPRBlocks: 0
; NumSGPRsForWavesPerEU: 4
; NumVGPRsForWavesPerEU: 1
; AccumOffset: 4
; Occupancy: 8
; WaveLimiterHint : 0
; COMPUTE_PGM_RSRC2:SCRATCH_EN: 0
; COMPUTE_PGM_RSRC2:USER_SGPR: 6
; COMPUTE_PGM_RSRC2:TRAP_HANDLER: 0
; COMPUTE_PGM_RSRC2:TGID_X_EN: 1
; COMPUTE_PGM_RSRC2:TGID_Y_EN: 0
; COMPUTE_PGM_RSRC2:TGID_Z_EN: 0
; COMPUTE_PGM_RSRC2:TIDIG_COMP_CNT: 0
; COMPUTE_PGM_RSRC3_GFX90A:ACCUM_OFFSET: 0
; COMPUTE_PGM_RSRC3_GFX90A:TG_SPLIT: 0
	.section	.text._ZN7rocprim17ROCPRIM_400000_NS6detail31init_lookback_scan_state_kernelINS1_19lookback_scan_stateIfLb1ELb1EEENS1_16block_id_wrapperIjLb0EEEEEvT_jT0_jPNS7_10value_typeE,"axG",@progbits,_ZN7rocprim17ROCPRIM_400000_NS6detail31init_lookback_scan_state_kernelINS1_19lookback_scan_stateIfLb1ELb1EEENS1_16block_id_wrapperIjLb0EEEEEvT_jT0_jPNS7_10value_typeE,comdat
	.protected	_ZN7rocprim17ROCPRIM_400000_NS6detail31init_lookback_scan_state_kernelINS1_19lookback_scan_stateIfLb1ELb1EEENS1_16block_id_wrapperIjLb0EEEEEvT_jT0_jPNS7_10value_typeE ; -- Begin function _ZN7rocprim17ROCPRIM_400000_NS6detail31init_lookback_scan_state_kernelINS1_19lookback_scan_stateIfLb1ELb1EEENS1_16block_id_wrapperIjLb0EEEEEvT_jT0_jPNS7_10value_typeE
	.globl	_ZN7rocprim17ROCPRIM_400000_NS6detail31init_lookback_scan_state_kernelINS1_19lookback_scan_stateIfLb1ELb1EEENS1_16block_id_wrapperIjLb0EEEEEvT_jT0_jPNS7_10value_typeE
	.p2align	8
	.type	_ZN7rocprim17ROCPRIM_400000_NS6detail31init_lookback_scan_state_kernelINS1_19lookback_scan_stateIfLb1ELb1EEENS1_16block_id_wrapperIjLb0EEEEEvT_jT0_jPNS7_10value_typeE,@function
_ZN7rocprim17ROCPRIM_400000_NS6detail31init_lookback_scan_state_kernelINS1_19lookback_scan_stateIfLb1ELb1EEENS1_16block_id_wrapperIjLb0EEEEEvT_jT0_jPNS7_10value_typeE: ; @_ZN7rocprim17ROCPRIM_400000_NS6detail31init_lookback_scan_state_kernelINS1_19lookback_scan_stateIfLb1ELb1EEENS1_16block_id_wrapperIjLb0EEEEEvT_jT0_jPNS7_10value_typeE
; %bb.0:
	s_load_dword s7, s[4:5], 0x2c
	s_load_dwordx2 s[2:3], s[4:5], 0x18
	s_load_dwordx2 s[0:1], s[4:5], 0x0
	s_load_dword s8, s[4:5], 0x8
	s_waitcnt lgkmcnt(0)
	s_and_b32 s7, s7, 0xffff
	s_mul_i32 s6, s6, s7
	s_cmp_eq_u64 s[2:3], 0
	v_add_u32_e32 v0, s6, v0
	s_cbranch_scc1 .LBB1458_9
; %bb.1:
	s_load_dword s6, s[4:5], 0x10
	s_mov_b32 s7, 0
	s_waitcnt lgkmcnt(0)
	s_cmp_lt_u32 s6, s8
	s_cselect_b32 s4, s6, 0
	v_cmp_eq_u32_e32 vcc, s4, v0
	s_and_saveexec_b64 s[4:5], vcc
	s_cbranch_execz .LBB1458_8
; %bb.2:
	s_add_i32 s6, s6, 64
	s_lshl_b64 s[6:7], s[6:7], 3
	s_add_u32 s6, s0, s6
	s_addc_u32 s7, s1, s7
	v_mov_b32_e32 v2, 0
	global_load_dwordx2 v[4:5], v2, s[6:7] glc
	s_waitcnt vmcnt(0)
	v_and_b32_e32 v3, 0xff, v5
	v_cmp_ne_u64_e32 vcc, 0, v[2:3]
	s_cbranch_vccnz .LBB1458_7
; %bb.3:
	s_mov_b32 s9, 1
.LBB1458_4:                             ; =>This Loop Header: Depth=1
                                        ;     Child Loop BB1458_5 Depth 2
	s_max_u32 s10, s9, 1
.LBB1458_5:                             ;   Parent Loop BB1458_4 Depth=1
                                        ; =>  This Inner Loop Header: Depth=2
	s_add_i32 s10, s10, -1
	s_cmp_eq_u32 s10, 0
	s_sleep 1
	s_cbranch_scc0 .LBB1458_5
; %bb.6:                                ;   in Loop: Header=BB1458_4 Depth=1
	global_load_dwordx2 v[4:5], v2, s[6:7] glc
	s_cmp_lt_u32 s9, 32
	s_cselect_b64 s[10:11], -1, 0
	s_cmp_lg_u64 s[10:11], 0
	s_addc_u32 s9, s9, 0
	s_waitcnt vmcnt(0)
	v_and_b32_e32 v3, 0xff, v5
	v_cmp_ne_u64_e32 vcc, 0, v[2:3]
	s_cbranch_vccz .LBB1458_4
.LBB1458_7:
	v_mov_b32_e32 v1, 0
	global_store_dword v1, v4, s[2:3]
.LBB1458_8:
	s_or_b64 exec, exec, s[4:5]
.LBB1458_9:
	v_cmp_gt_u32_e32 vcc, s8, v0
	s_and_saveexec_b64 s[2:3], vcc
	s_cbranch_execnz .LBB1458_12
; %bb.10:
	s_or_b64 exec, exec, s[2:3]
	v_cmp_gt_u32_e32 vcc, 64, v0
	s_and_saveexec_b64 s[2:3], vcc
	s_cbranch_execnz .LBB1458_13
.LBB1458_11:
	s_endpgm
.LBB1458_12:
	v_add_u32_e32 v2, 64, v0
	v_mov_b32_e32 v3, 0
	v_lshlrev_b64 v[4:5], 3, v[2:3]
	v_mov_b32_e32 v1, s1
	v_add_co_u32_e32 v4, vcc, s0, v4
	v_addc_co_u32_e32 v5, vcc, v1, v5, vcc
	v_mov_b32_e32 v2, v3
	global_store_dwordx2 v[4:5], v[2:3], off
	s_or_b64 exec, exec, s[2:3]
	v_cmp_gt_u32_e32 vcc, 64, v0
	s_and_saveexec_b64 s[2:3], vcc
	s_cbranch_execz .LBB1458_11
.LBB1458_13:
	v_mov_b32_e32 v1, 0
	v_lshlrev_b64 v[2:3], 3, v[0:1]
	v_mov_b32_e32 v0, s1
	v_add_co_u32_e32 v2, vcc, s0, v2
	v_addc_co_u32_e32 v3, vcc, v0, v3, vcc
	v_mov_b32_e32 v5, 0xff
	v_mov_b32_e32 v4, v1
	global_store_dwordx2 v[2:3], v[4:5], off
	s_endpgm
	.section	.rodata,"a",@progbits
	.p2align	6, 0x0
	.amdhsa_kernel _ZN7rocprim17ROCPRIM_400000_NS6detail31init_lookback_scan_state_kernelINS1_19lookback_scan_stateIfLb1ELb1EEENS1_16block_id_wrapperIjLb0EEEEEvT_jT0_jPNS7_10value_typeE
		.amdhsa_group_segment_fixed_size 0
		.amdhsa_private_segment_fixed_size 0
		.amdhsa_kernarg_size 288
		.amdhsa_user_sgpr_count 6
		.amdhsa_user_sgpr_private_segment_buffer 1
		.amdhsa_user_sgpr_dispatch_ptr 0
		.amdhsa_user_sgpr_queue_ptr 0
		.amdhsa_user_sgpr_kernarg_segment_ptr 1
		.amdhsa_user_sgpr_dispatch_id 0
		.amdhsa_user_sgpr_flat_scratch_init 0
		.amdhsa_user_sgpr_kernarg_preload_length 0
		.amdhsa_user_sgpr_kernarg_preload_offset 0
		.amdhsa_user_sgpr_private_segment_size 0
		.amdhsa_uses_dynamic_stack 0
		.amdhsa_system_sgpr_private_segment_wavefront_offset 0
		.amdhsa_system_sgpr_workgroup_id_x 1
		.amdhsa_system_sgpr_workgroup_id_y 0
		.amdhsa_system_sgpr_workgroup_id_z 0
		.amdhsa_system_sgpr_workgroup_info 0
		.amdhsa_system_vgpr_workitem_id 0
		.amdhsa_next_free_vgpr 6
		.amdhsa_next_free_sgpr 12
		.amdhsa_accum_offset 8
		.amdhsa_reserve_vcc 1
		.amdhsa_reserve_flat_scratch 0
		.amdhsa_float_round_mode_32 0
		.amdhsa_float_round_mode_16_64 0
		.amdhsa_float_denorm_mode_32 3
		.amdhsa_float_denorm_mode_16_64 3
		.amdhsa_dx10_clamp 1
		.amdhsa_ieee_mode 1
		.amdhsa_fp16_overflow 0
		.amdhsa_tg_split 0
		.amdhsa_exception_fp_ieee_invalid_op 0
		.amdhsa_exception_fp_denorm_src 0
		.amdhsa_exception_fp_ieee_div_zero 0
		.amdhsa_exception_fp_ieee_overflow 0
		.amdhsa_exception_fp_ieee_underflow 0
		.amdhsa_exception_fp_ieee_inexact 0
		.amdhsa_exception_int_div_zero 0
	.end_amdhsa_kernel
	.section	.text._ZN7rocprim17ROCPRIM_400000_NS6detail31init_lookback_scan_state_kernelINS1_19lookback_scan_stateIfLb1ELb1EEENS1_16block_id_wrapperIjLb0EEEEEvT_jT0_jPNS7_10value_typeE,"axG",@progbits,_ZN7rocprim17ROCPRIM_400000_NS6detail31init_lookback_scan_state_kernelINS1_19lookback_scan_stateIfLb1ELb1EEENS1_16block_id_wrapperIjLb0EEEEEvT_jT0_jPNS7_10value_typeE,comdat
.Lfunc_end1458:
	.size	_ZN7rocprim17ROCPRIM_400000_NS6detail31init_lookback_scan_state_kernelINS1_19lookback_scan_stateIfLb1ELb1EEENS1_16block_id_wrapperIjLb0EEEEEvT_jT0_jPNS7_10value_typeE, .Lfunc_end1458-_ZN7rocprim17ROCPRIM_400000_NS6detail31init_lookback_scan_state_kernelINS1_19lookback_scan_stateIfLb1ELb1EEENS1_16block_id_wrapperIjLb0EEEEEvT_jT0_jPNS7_10value_typeE
                                        ; -- End function
	.section	.AMDGPU.csdata,"",@progbits
; Kernel info:
; codeLenInByte = 364
; NumSgprs: 16
; NumVgprs: 6
; NumAgprs: 0
; TotalNumVgprs: 6
; ScratchSize: 0
; MemoryBound: 0
; FloatMode: 240
; IeeeMode: 1
; LDSByteSize: 0 bytes/workgroup (compile time only)
; SGPRBlocks: 1
; VGPRBlocks: 0
; NumSGPRsForWavesPerEU: 16
; NumVGPRsForWavesPerEU: 6
; AccumOffset: 8
; Occupancy: 8
; WaveLimiterHint : 0
; COMPUTE_PGM_RSRC2:SCRATCH_EN: 0
; COMPUTE_PGM_RSRC2:USER_SGPR: 6
; COMPUTE_PGM_RSRC2:TRAP_HANDLER: 0
; COMPUTE_PGM_RSRC2:TGID_X_EN: 1
; COMPUTE_PGM_RSRC2:TGID_Y_EN: 0
; COMPUTE_PGM_RSRC2:TGID_Z_EN: 0
; COMPUTE_PGM_RSRC2:TIDIG_COMP_CNT: 0
; COMPUTE_PGM_RSRC3_GFX90A:ACCUM_OFFSET: 1
; COMPUTE_PGM_RSRC3_GFX90A:TG_SPLIT: 0
	.section	.text._ZN7rocprim17ROCPRIM_400000_NS6detail17trampoline_kernelINS0_14default_configENS1_20scan_config_selectorIfEEZZNS1_9scan_implILNS1_25lookback_scan_determinismE0ELb0ELb0ES3_N6thrust23THRUST_200600_302600_NS6detail15normal_iteratorINS9_10device_ptrIfEEEENSB_INSC_IiEEEEfNS9_4plusIvEEfEEDaPvRmT3_T4_T5_mT6_P12ihipStream_tbENKUlT_T0_E_clISt17integral_constantIbLb1EESV_IbLb0EEEEDaSR_SS_EUlSR_E_NS1_11comp_targetILNS1_3genE0ELNS1_11target_archE4294967295ELNS1_3gpuE0ELNS1_3repE0EEENS1_30default_config_static_selectorELNS0_4arch9wavefront6targetE1EEEvT1_,"axG",@progbits,_ZN7rocprim17ROCPRIM_400000_NS6detail17trampoline_kernelINS0_14default_configENS1_20scan_config_selectorIfEEZZNS1_9scan_implILNS1_25lookback_scan_determinismE0ELb0ELb0ES3_N6thrust23THRUST_200600_302600_NS6detail15normal_iteratorINS9_10device_ptrIfEEEENSB_INSC_IiEEEEfNS9_4plusIvEEfEEDaPvRmT3_T4_T5_mT6_P12ihipStream_tbENKUlT_T0_E_clISt17integral_constantIbLb1EESV_IbLb0EEEEDaSR_SS_EUlSR_E_NS1_11comp_targetILNS1_3genE0ELNS1_11target_archE4294967295ELNS1_3gpuE0ELNS1_3repE0EEENS1_30default_config_static_selectorELNS0_4arch9wavefront6targetE1EEEvT1_,comdat
	.protected	_ZN7rocprim17ROCPRIM_400000_NS6detail17trampoline_kernelINS0_14default_configENS1_20scan_config_selectorIfEEZZNS1_9scan_implILNS1_25lookback_scan_determinismE0ELb0ELb0ES3_N6thrust23THRUST_200600_302600_NS6detail15normal_iteratorINS9_10device_ptrIfEEEENSB_INSC_IiEEEEfNS9_4plusIvEEfEEDaPvRmT3_T4_T5_mT6_P12ihipStream_tbENKUlT_T0_E_clISt17integral_constantIbLb1EESV_IbLb0EEEEDaSR_SS_EUlSR_E_NS1_11comp_targetILNS1_3genE0ELNS1_11target_archE4294967295ELNS1_3gpuE0ELNS1_3repE0EEENS1_30default_config_static_selectorELNS0_4arch9wavefront6targetE1EEEvT1_ ; -- Begin function _ZN7rocprim17ROCPRIM_400000_NS6detail17trampoline_kernelINS0_14default_configENS1_20scan_config_selectorIfEEZZNS1_9scan_implILNS1_25lookback_scan_determinismE0ELb0ELb0ES3_N6thrust23THRUST_200600_302600_NS6detail15normal_iteratorINS9_10device_ptrIfEEEENSB_INSC_IiEEEEfNS9_4plusIvEEfEEDaPvRmT3_T4_T5_mT6_P12ihipStream_tbENKUlT_T0_E_clISt17integral_constantIbLb1EESV_IbLb0EEEEDaSR_SS_EUlSR_E_NS1_11comp_targetILNS1_3genE0ELNS1_11target_archE4294967295ELNS1_3gpuE0ELNS1_3repE0EEENS1_30default_config_static_selectorELNS0_4arch9wavefront6targetE1EEEvT1_
	.globl	_ZN7rocprim17ROCPRIM_400000_NS6detail17trampoline_kernelINS0_14default_configENS1_20scan_config_selectorIfEEZZNS1_9scan_implILNS1_25lookback_scan_determinismE0ELb0ELb0ES3_N6thrust23THRUST_200600_302600_NS6detail15normal_iteratorINS9_10device_ptrIfEEEENSB_INSC_IiEEEEfNS9_4plusIvEEfEEDaPvRmT3_T4_T5_mT6_P12ihipStream_tbENKUlT_T0_E_clISt17integral_constantIbLb1EESV_IbLb0EEEEDaSR_SS_EUlSR_E_NS1_11comp_targetILNS1_3genE0ELNS1_11target_archE4294967295ELNS1_3gpuE0ELNS1_3repE0EEENS1_30default_config_static_selectorELNS0_4arch9wavefront6targetE1EEEvT1_
	.p2align	8
	.type	_ZN7rocprim17ROCPRIM_400000_NS6detail17trampoline_kernelINS0_14default_configENS1_20scan_config_selectorIfEEZZNS1_9scan_implILNS1_25lookback_scan_determinismE0ELb0ELb0ES3_N6thrust23THRUST_200600_302600_NS6detail15normal_iteratorINS9_10device_ptrIfEEEENSB_INSC_IiEEEEfNS9_4plusIvEEfEEDaPvRmT3_T4_T5_mT6_P12ihipStream_tbENKUlT_T0_E_clISt17integral_constantIbLb1EESV_IbLb0EEEEDaSR_SS_EUlSR_E_NS1_11comp_targetILNS1_3genE0ELNS1_11target_archE4294967295ELNS1_3gpuE0ELNS1_3repE0EEENS1_30default_config_static_selectorELNS0_4arch9wavefront6targetE1EEEvT1_,@function
_ZN7rocprim17ROCPRIM_400000_NS6detail17trampoline_kernelINS0_14default_configENS1_20scan_config_selectorIfEEZZNS1_9scan_implILNS1_25lookback_scan_determinismE0ELb0ELb0ES3_N6thrust23THRUST_200600_302600_NS6detail15normal_iteratorINS9_10device_ptrIfEEEENSB_INSC_IiEEEEfNS9_4plusIvEEfEEDaPvRmT3_T4_T5_mT6_P12ihipStream_tbENKUlT_T0_E_clISt17integral_constantIbLb1EESV_IbLb0EEEEDaSR_SS_EUlSR_E_NS1_11comp_targetILNS1_3genE0ELNS1_11target_archE4294967295ELNS1_3gpuE0ELNS1_3repE0EEENS1_30default_config_static_selectorELNS0_4arch9wavefront6targetE1EEEvT1_: ; @_ZN7rocprim17ROCPRIM_400000_NS6detail17trampoline_kernelINS0_14default_configENS1_20scan_config_selectorIfEEZZNS1_9scan_implILNS1_25lookback_scan_determinismE0ELb0ELb0ES3_N6thrust23THRUST_200600_302600_NS6detail15normal_iteratorINS9_10device_ptrIfEEEENSB_INSC_IiEEEEfNS9_4plusIvEEfEEDaPvRmT3_T4_T5_mT6_P12ihipStream_tbENKUlT_T0_E_clISt17integral_constantIbLb1EESV_IbLb0EEEEDaSR_SS_EUlSR_E_NS1_11comp_targetILNS1_3genE0ELNS1_11target_archE4294967295ELNS1_3gpuE0ELNS1_3repE0EEENS1_30default_config_static_selectorELNS0_4arch9wavefront6targetE1EEEvT1_
; %bb.0:
	.section	.rodata,"a",@progbits
	.p2align	6, 0x0
	.amdhsa_kernel _ZN7rocprim17ROCPRIM_400000_NS6detail17trampoline_kernelINS0_14default_configENS1_20scan_config_selectorIfEEZZNS1_9scan_implILNS1_25lookback_scan_determinismE0ELb0ELb0ES3_N6thrust23THRUST_200600_302600_NS6detail15normal_iteratorINS9_10device_ptrIfEEEENSB_INSC_IiEEEEfNS9_4plusIvEEfEEDaPvRmT3_T4_T5_mT6_P12ihipStream_tbENKUlT_T0_E_clISt17integral_constantIbLb1EESV_IbLb0EEEEDaSR_SS_EUlSR_E_NS1_11comp_targetILNS1_3genE0ELNS1_11target_archE4294967295ELNS1_3gpuE0ELNS1_3repE0EEENS1_30default_config_static_selectorELNS0_4arch9wavefront6targetE1EEEvT1_
		.amdhsa_group_segment_fixed_size 0
		.amdhsa_private_segment_fixed_size 0
		.amdhsa_kernarg_size 96
		.amdhsa_user_sgpr_count 6
		.amdhsa_user_sgpr_private_segment_buffer 1
		.amdhsa_user_sgpr_dispatch_ptr 0
		.amdhsa_user_sgpr_queue_ptr 0
		.amdhsa_user_sgpr_kernarg_segment_ptr 1
		.amdhsa_user_sgpr_dispatch_id 0
		.amdhsa_user_sgpr_flat_scratch_init 0
		.amdhsa_user_sgpr_kernarg_preload_length 0
		.amdhsa_user_sgpr_kernarg_preload_offset 0
		.amdhsa_user_sgpr_private_segment_size 0
		.amdhsa_uses_dynamic_stack 0
		.amdhsa_system_sgpr_private_segment_wavefront_offset 0
		.amdhsa_system_sgpr_workgroup_id_x 1
		.amdhsa_system_sgpr_workgroup_id_y 0
		.amdhsa_system_sgpr_workgroup_id_z 0
		.amdhsa_system_sgpr_workgroup_info 0
		.amdhsa_system_vgpr_workitem_id 0
		.amdhsa_next_free_vgpr 1
		.amdhsa_next_free_sgpr 0
		.amdhsa_accum_offset 4
		.amdhsa_reserve_vcc 0
		.amdhsa_reserve_flat_scratch 0
		.amdhsa_float_round_mode_32 0
		.amdhsa_float_round_mode_16_64 0
		.amdhsa_float_denorm_mode_32 3
		.amdhsa_float_denorm_mode_16_64 3
		.amdhsa_dx10_clamp 1
		.amdhsa_ieee_mode 1
		.amdhsa_fp16_overflow 0
		.amdhsa_tg_split 0
		.amdhsa_exception_fp_ieee_invalid_op 0
		.amdhsa_exception_fp_denorm_src 0
		.amdhsa_exception_fp_ieee_div_zero 0
		.amdhsa_exception_fp_ieee_overflow 0
		.amdhsa_exception_fp_ieee_underflow 0
		.amdhsa_exception_fp_ieee_inexact 0
		.amdhsa_exception_int_div_zero 0
	.end_amdhsa_kernel
	.section	.text._ZN7rocprim17ROCPRIM_400000_NS6detail17trampoline_kernelINS0_14default_configENS1_20scan_config_selectorIfEEZZNS1_9scan_implILNS1_25lookback_scan_determinismE0ELb0ELb0ES3_N6thrust23THRUST_200600_302600_NS6detail15normal_iteratorINS9_10device_ptrIfEEEENSB_INSC_IiEEEEfNS9_4plusIvEEfEEDaPvRmT3_T4_T5_mT6_P12ihipStream_tbENKUlT_T0_E_clISt17integral_constantIbLb1EESV_IbLb0EEEEDaSR_SS_EUlSR_E_NS1_11comp_targetILNS1_3genE0ELNS1_11target_archE4294967295ELNS1_3gpuE0ELNS1_3repE0EEENS1_30default_config_static_selectorELNS0_4arch9wavefront6targetE1EEEvT1_,"axG",@progbits,_ZN7rocprim17ROCPRIM_400000_NS6detail17trampoline_kernelINS0_14default_configENS1_20scan_config_selectorIfEEZZNS1_9scan_implILNS1_25lookback_scan_determinismE0ELb0ELb0ES3_N6thrust23THRUST_200600_302600_NS6detail15normal_iteratorINS9_10device_ptrIfEEEENSB_INSC_IiEEEEfNS9_4plusIvEEfEEDaPvRmT3_T4_T5_mT6_P12ihipStream_tbENKUlT_T0_E_clISt17integral_constantIbLb1EESV_IbLb0EEEEDaSR_SS_EUlSR_E_NS1_11comp_targetILNS1_3genE0ELNS1_11target_archE4294967295ELNS1_3gpuE0ELNS1_3repE0EEENS1_30default_config_static_selectorELNS0_4arch9wavefront6targetE1EEEvT1_,comdat
.Lfunc_end1459:
	.size	_ZN7rocprim17ROCPRIM_400000_NS6detail17trampoline_kernelINS0_14default_configENS1_20scan_config_selectorIfEEZZNS1_9scan_implILNS1_25lookback_scan_determinismE0ELb0ELb0ES3_N6thrust23THRUST_200600_302600_NS6detail15normal_iteratorINS9_10device_ptrIfEEEENSB_INSC_IiEEEEfNS9_4plusIvEEfEEDaPvRmT3_T4_T5_mT6_P12ihipStream_tbENKUlT_T0_E_clISt17integral_constantIbLb1EESV_IbLb0EEEEDaSR_SS_EUlSR_E_NS1_11comp_targetILNS1_3genE0ELNS1_11target_archE4294967295ELNS1_3gpuE0ELNS1_3repE0EEENS1_30default_config_static_selectorELNS0_4arch9wavefront6targetE1EEEvT1_, .Lfunc_end1459-_ZN7rocprim17ROCPRIM_400000_NS6detail17trampoline_kernelINS0_14default_configENS1_20scan_config_selectorIfEEZZNS1_9scan_implILNS1_25lookback_scan_determinismE0ELb0ELb0ES3_N6thrust23THRUST_200600_302600_NS6detail15normal_iteratorINS9_10device_ptrIfEEEENSB_INSC_IiEEEEfNS9_4plusIvEEfEEDaPvRmT3_T4_T5_mT6_P12ihipStream_tbENKUlT_T0_E_clISt17integral_constantIbLb1EESV_IbLb0EEEEDaSR_SS_EUlSR_E_NS1_11comp_targetILNS1_3genE0ELNS1_11target_archE4294967295ELNS1_3gpuE0ELNS1_3repE0EEENS1_30default_config_static_selectorELNS0_4arch9wavefront6targetE1EEEvT1_
                                        ; -- End function
	.section	.AMDGPU.csdata,"",@progbits
; Kernel info:
; codeLenInByte = 0
; NumSgprs: 4
; NumVgprs: 0
; NumAgprs: 0
; TotalNumVgprs: 0
; ScratchSize: 0
; MemoryBound: 0
; FloatMode: 240
; IeeeMode: 1
; LDSByteSize: 0 bytes/workgroup (compile time only)
; SGPRBlocks: 0
; VGPRBlocks: 0
; NumSGPRsForWavesPerEU: 4
; NumVGPRsForWavesPerEU: 1
; AccumOffset: 4
; Occupancy: 8
; WaveLimiterHint : 0
; COMPUTE_PGM_RSRC2:SCRATCH_EN: 0
; COMPUTE_PGM_RSRC2:USER_SGPR: 6
; COMPUTE_PGM_RSRC2:TRAP_HANDLER: 0
; COMPUTE_PGM_RSRC2:TGID_X_EN: 1
; COMPUTE_PGM_RSRC2:TGID_Y_EN: 0
; COMPUTE_PGM_RSRC2:TGID_Z_EN: 0
; COMPUTE_PGM_RSRC2:TIDIG_COMP_CNT: 0
; COMPUTE_PGM_RSRC3_GFX90A:ACCUM_OFFSET: 0
; COMPUTE_PGM_RSRC3_GFX90A:TG_SPLIT: 0
	.section	.text._ZN7rocprim17ROCPRIM_400000_NS6detail17trampoline_kernelINS0_14default_configENS1_20scan_config_selectorIfEEZZNS1_9scan_implILNS1_25lookback_scan_determinismE0ELb0ELb0ES3_N6thrust23THRUST_200600_302600_NS6detail15normal_iteratorINS9_10device_ptrIfEEEENSB_INSC_IiEEEEfNS9_4plusIvEEfEEDaPvRmT3_T4_T5_mT6_P12ihipStream_tbENKUlT_T0_E_clISt17integral_constantIbLb1EESV_IbLb0EEEEDaSR_SS_EUlSR_E_NS1_11comp_targetILNS1_3genE5ELNS1_11target_archE942ELNS1_3gpuE9ELNS1_3repE0EEENS1_30default_config_static_selectorELNS0_4arch9wavefront6targetE1EEEvT1_,"axG",@progbits,_ZN7rocprim17ROCPRIM_400000_NS6detail17trampoline_kernelINS0_14default_configENS1_20scan_config_selectorIfEEZZNS1_9scan_implILNS1_25lookback_scan_determinismE0ELb0ELb0ES3_N6thrust23THRUST_200600_302600_NS6detail15normal_iteratorINS9_10device_ptrIfEEEENSB_INSC_IiEEEEfNS9_4plusIvEEfEEDaPvRmT3_T4_T5_mT6_P12ihipStream_tbENKUlT_T0_E_clISt17integral_constantIbLb1EESV_IbLb0EEEEDaSR_SS_EUlSR_E_NS1_11comp_targetILNS1_3genE5ELNS1_11target_archE942ELNS1_3gpuE9ELNS1_3repE0EEENS1_30default_config_static_selectorELNS0_4arch9wavefront6targetE1EEEvT1_,comdat
	.protected	_ZN7rocprim17ROCPRIM_400000_NS6detail17trampoline_kernelINS0_14default_configENS1_20scan_config_selectorIfEEZZNS1_9scan_implILNS1_25lookback_scan_determinismE0ELb0ELb0ES3_N6thrust23THRUST_200600_302600_NS6detail15normal_iteratorINS9_10device_ptrIfEEEENSB_INSC_IiEEEEfNS9_4plusIvEEfEEDaPvRmT3_T4_T5_mT6_P12ihipStream_tbENKUlT_T0_E_clISt17integral_constantIbLb1EESV_IbLb0EEEEDaSR_SS_EUlSR_E_NS1_11comp_targetILNS1_3genE5ELNS1_11target_archE942ELNS1_3gpuE9ELNS1_3repE0EEENS1_30default_config_static_selectorELNS0_4arch9wavefront6targetE1EEEvT1_ ; -- Begin function _ZN7rocprim17ROCPRIM_400000_NS6detail17trampoline_kernelINS0_14default_configENS1_20scan_config_selectorIfEEZZNS1_9scan_implILNS1_25lookback_scan_determinismE0ELb0ELb0ES3_N6thrust23THRUST_200600_302600_NS6detail15normal_iteratorINS9_10device_ptrIfEEEENSB_INSC_IiEEEEfNS9_4plusIvEEfEEDaPvRmT3_T4_T5_mT6_P12ihipStream_tbENKUlT_T0_E_clISt17integral_constantIbLb1EESV_IbLb0EEEEDaSR_SS_EUlSR_E_NS1_11comp_targetILNS1_3genE5ELNS1_11target_archE942ELNS1_3gpuE9ELNS1_3repE0EEENS1_30default_config_static_selectorELNS0_4arch9wavefront6targetE1EEEvT1_
	.globl	_ZN7rocprim17ROCPRIM_400000_NS6detail17trampoline_kernelINS0_14default_configENS1_20scan_config_selectorIfEEZZNS1_9scan_implILNS1_25lookback_scan_determinismE0ELb0ELb0ES3_N6thrust23THRUST_200600_302600_NS6detail15normal_iteratorINS9_10device_ptrIfEEEENSB_INSC_IiEEEEfNS9_4plusIvEEfEEDaPvRmT3_T4_T5_mT6_P12ihipStream_tbENKUlT_T0_E_clISt17integral_constantIbLb1EESV_IbLb0EEEEDaSR_SS_EUlSR_E_NS1_11comp_targetILNS1_3genE5ELNS1_11target_archE942ELNS1_3gpuE9ELNS1_3repE0EEENS1_30default_config_static_selectorELNS0_4arch9wavefront6targetE1EEEvT1_
	.p2align	8
	.type	_ZN7rocprim17ROCPRIM_400000_NS6detail17trampoline_kernelINS0_14default_configENS1_20scan_config_selectorIfEEZZNS1_9scan_implILNS1_25lookback_scan_determinismE0ELb0ELb0ES3_N6thrust23THRUST_200600_302600_NS6detail15normal_iteratorINS9_10device_ptrIfEEEENSB_INSC_IiEEEEfNS9_4plusIvEEfEEDaPvRmT3_T4_T5_mT6_P12ihipStream_tbENKUlT_T0_E_clISt17integral_constantIbLb1EESV_IbLb0EEEEDaSR_SS_EUlSR_E_NS1_11comp_targetILNS1_3genE5ELNS1_11target_archE942ELNS1_3gpuE9ELNS1_3repE0EEENS1_30default_config_static_selectorELNS0_4arch9wavefront6targetE1EEEvT1_,@function
_ZN7rocprim17ROCPRIM_400000_NS6detail17trampoline_kernelINS0_14default_configENS1_20scan_config_selectorIfEEZZNS1_9scan_implILNS1_25lookback_scan_determinismE0ELb0ELb0ES3_N6thrust23THRUST_200600_302600_NS6detail15normal_iteratorINS9_10device_ptrIfEEEENSB_INSC_IiEEEEfNS9_4plusIvEEfEEDaPvRmT3_T4_T5_mT6_P12ihipStream_tbENKUlT_T0_E_clISt17integral_constantIbLb1EESV_IbLb0EEEEDaSR_SS_EUlSR_E_NS1_11comp_targetILNS1_3genE5ELNS1_11target_archE942ELNS1_3gpuE9ELNS1_3repE0EEENS1_30default_config_static_selectorELNS0_4arch9wavefront6targetE1EEEvT1_: ; @_ZN7rocprim17ROCPRIM_400000_NS6detail17trampoline_kernelINS0_14default_configENS1_20scan_config_selectorIfEEZZNS1_9scan_implILNS1_25lookback_scan_determinismE0ELb0ELb0ES3_N6thrust23THRUST_200600_302600_NS6detail15normal_iteratorINS9_10device_ptrIfEEEENSB_INSC_IiEEEEfNS9_4plusIvEEfEEDaPvRmT3_T4_T5_mT6_P12ihipStream_tbENKUlT_T0_E_clISt17integral_constantIbLb1EESV_IbLb0EEEEDaSR_SS_EUlSR_E_NS1_11comp_targetILNS1_3genE5ELNS1_11target_archE942ELNS1_3gpuE9ELNS1_3repE0EEENS1_30default_config_static_selectorELNS0_4arch9wavefront6targetE1EEEvT1_
; %bb.0:
	.section	.rodata,"a",@progbits
	.p2align	6, 0x0
	.amdhsa_kernel _ZN7rocprim17ROCPRIM_400000_NS6detail17trampoline_kernelINS0_14default_configENS1_20scan_config_selectorIfEEZZNS1_9scan_implILNS1_25lookback_scan_determinismE0ELb0ELb0ES3_N6thrust23THRUST_200600_302600_NS6detail15normal_iteratorINS9_10device_ptrIfEEEENSB_INSC_IiEEEEfNS9_4plusIvEEfEEDaPvRmT3_T4_T5_mT6_P12ihipStream_tbENKUlT_T0_E_clISt17integral_constantIbLb1EESV_IbLb0EEEEDaSR_SS_EUlSR_E_NS1_11comp_targetILNS1_3genE5ELNS1_11target_archE942ELNS1_3gpuE9ELNS1_3repE0EEENS1_30default_config_static_selectorELNS0_4arch9wavefront6targetE1EEEvT1_
		.amdhsa_group_segment_fixed_size 0
		.amdhsa_private_segment_fixed_size 0
		.amdhsa_kernarg_size 96
		.amdhsa_user_sgpr_count 6
		.amdhsa_user_sgpr_private_segment_buffer 1
		.amdhsa_user_sgpr_dispatch_ptr 0
		.amdhsa_user_sgpr_queue_ptr 0
		.amdhsa_user_sgpr_kernarg_segment_ptr 1
		.amdhsa_user_sgpr_dispatch_id 0
		.amdhsa_user_sgpr_flat_scratch_init 0
		.amdhsa_user_sgpr_kernarg_preload_length 0
		.amdhsa_user_sgpr_kernarg_preload_offset 0
		.amdhsa_user_sgpr_private_segment_size 0
		.amdhsa_uses_dynamic_stack 0
		.amdhsa_system_sgpr_private_segment_wavefront_offset 0
		.amdhsa_system_sgpr_workgroup_id_x 1
		.amdhsa_system_sgpr_workgroup_id_y 0
		.amdhsa_system_sgpr_workgroup_id_z 0
		.amdhsa_system_sgpr_workgroup_info 0
		.amdhsa_system_vgpr_workitem_id 0
		.amdhsa_next_free_vgpr 1
		.amdhsa_next_free_sgpr 0
		.amdhsa_accum_offset 4
		.amdhsa_reserve_vcc 0
		.amdhsa_reserve_flat_scratch 0
		.amdhsa_float_round_mode_32 0
		.amdhsa_float_round_mode_16_64 0
		.amdhsa_float_denorm_mode_32 3
		.amdhsa_float_denorm_mode_16_64 3
		.amdhsa_dx10_clamp 1
		.amdhsa_ieee_mode 1
		.amdhsa_fp16_overflow 0
		.amdhsa_tg_split 0
		.amdhsa_exception_fp_ieee_invalid_op 0
		.amdhsa_exception_fp_denorm_src 0
		.amdhsa_exception_fp_ieee_div_zero 0
		.amdhsa_exception_fp_ieee_overflow 0
		.amdhsa_exception_fp_ieee_underflow 0
		.amdhsa_exception_fp_ieee_inexact 0
		.amdhsa_exception_int_div_zero 0
	.end_amdhsa_kernel
	.section	.text._ZN7rocprim17ROCPRIM_400000_NS6detail17trampoline_kernelINS0_14default_configENS1_20scan_config_selectorIfEEZZNS1_9scan_implILNS1_25lookback_scan_determinismE0ELb0ELb0ES3_N6thrust23THRUST_200600_302600_NS6detail15normal_iteratorINS9_10device_ptrIfEEEENSB_INSC_IiEEEEfNS9_4plusIvEEfEEDaPvRmT3_T4_T5_mT6_P12ihipStream_tbENKUlT_T0_E_clISt17integral_constantIbLb1EESV_IbLb0EEEEDaSR_SS_EUlSR_E_NS1_11comp_targetILNS1_3genE5ELNS1_11target_archE942ELNS1_3gpuE9ELNS1_3repE0EEENS1_30default_config_static_selectorELNS0_4arch9wavefront6targetE1EEEvT1_,"axG",@progbits,_ZN7rocprim17ROCPRIM_400000_NS6detail17trampoline_kernelINS0_14default_configENS1_20scan_config_selectorIfEEZZNS1_9scan_implILNS1_25lookback_scan_determinismE0ELb0ELb0ES3_N6thrust23THRUST_200600_302600_NS6detail15normal_iteratorINS9_10device_ptrIfEEEENSB_INSC_IiEEEEfNS9_4plusIvEEfEEDaPvRmT3_T4_T5_mT6_P12ihipStream_tbENKUlT_T0_E_clISt17integral_constantIbLb1EESV_IbLb0EEEEDaSR_SS_EUlSR_E_NS1_11comp_targetILNS1_3genE5ELNS1_11target_archE942ELNS1_3gpuE9ELNS1_3repE0EEENS1_30default_config_static_selectorELNS0_4arch9wavefront6targetE1EEEvT1_,comdat
.Lfunc_end1460:
	.size	_ZN7rocprim17ROCPRIM_400000_NS6detail17trampoline_kernelINS0_14default_configENS1_20scan_config_selectorIfEEZZNS1_9scan_implILNS1_25lookback_scan_determinismE0ELb0ELb0ES3_N6thrust23THRUST_200600_302600_NS6detail15normal_iteratorINS9_10device_ptrIfEEEENSB_INSC_IiEEEEfNS9_4plusIvEEfEEDaPvRmT3_T4_T5_mT6_P12ihipStream_tbENKUlT_T0_E_clISt17integral_constantIbLb1EESV_IbLb0EEEEDaSR_SS_EUlSR_E_NS1_11comp_targetILNS1_3genE5ELNS1_11target_archE942ELNS1_3gpuE9ELNS1_3repE0EEENS1_30default_config_static_selectorELNS0_4arch9wavefront6targetE1EEEvT1_, .Lfunc_end1460-_ZN7rocprim17ROCPRIM_400000_NS6detail17trampoline_kernelINS0_14default_configENS1_20scan_config_selectorIfEEZZNS1_9scan_implILNS1_25lookback_scan_determinismE0ELb0ELb0ES3_N6thrust23THRUST_200600_302600_NS6detail15normal_iteratorINS9_10device_ptrIfEEEENSB_INSC_IiEEEEfNS9_4plusIvEEfEEDaPvRmT3_T4_T5_mT6_P12ihipStream_tbENKUlT_T0_E_clISt17integral_constantIbLb1EESV_IbLb0EEEEDaSR_SS_EUlSR_E_NS1_11comp_targetILNS1_3genE5ELNS1_11target_archE942ELNS1_3gpuE9ELNS1_3repE0EEENS1_30default_config_static_selectorELNS0_4arch9wavefront6targetE1EEEvT1_
                                        ; -- End function
	.section	.AMDGPU.csdata,"",@progbits
; Kernel info:
; codeLenInByte = 0
; NumSgprs: 4
; NumVgprs: 0
; NumAgprs: 0
; TotalNumVgprs: 0
; ScratchSize: 0
; MemoryBound: 0
; FloatMode: 240
; IeeeMode: 1
; LDSByteSize: 0 bytes/workgroup (compile time only)
; SGPRBlocks: 0
; VGPRBlocks: 0
; NumSGPRsForWavesPerEU: 4
; NumVGPRsForWavesPerEU: 1
; AccumOffset: 4
; Occupancy: 8
; WaveLimiterHint : 0
; COMPUTE_PGM_RSRC2:SCRATCH_EN: 0
; COMPUTE_PGM_RSRC2:USER_SGPR: 6
; COMPUTE_PGM_RSRC2:TRAP_HANDLER: 0
; COMPUTE_PGM_RSRC2:TGID_X_EN: 1
; COMPUTE_PGM_RSRC2:TGID_Y_EN: 0
; COMPUTE_PGM_RSRC2:TGID_Z_EN: 0
; COMPUTE_PGM_RSRC2:TIDIG_COMP_CNT: 0
; COMPUTE_PGM_RSRC3_GFX90A:ACCUM_OFFSET: 0
; COMPUTE_PGM_RSRC3_GFX90A:TG_SPLIT: 0
	.section	.text._ZN7rocprim17ROCPRIM_400000_NS6detail17trampoline_kernelINS0_14default_configENS1_20scan_config_selectorIfEEZZNS1_9scan_implILNS1_25lookback_scan_determinismE0ELb0ELb0ES3_N6thrust23THRUST_200600_302600_NS6detail15normal_iteratorINS9_10device_ptrIfEEEENSB_INSC_IiEEEEfNS9_4plusIvEEfEEDaPvRmT3_T4_T5_mT6_P12ihipStream_tbENKUlT_T0_E_clISt17integral_constantIbLb1EESV_IbLb0EEEEDaSR_SS_EUlSR_E_NS1_11comp_targetILNS1_3genE4ELNS1_11target_archE910ELNS1_3gpuE8ELNS1_3repE0EEENS1_30default_config_static_selectorELNS0_4arch9wavefront6targetE1EEEvT1_,"axG",@progbits,_ZN7rocprim17ROCPRIM_400000_NS6detail17trampoline_kernelINS0_14default_configENS1_20scan_config_selectorIfEEZZNS1_9scan_implILNS1_25lookback_scan_determinismE0ELb0ELb0ES3_N6thrust23THRUST_200600_302600_NS6detail15normal_iteratorINS9_10device_ptrIfEEEENSB_INSC_IiEEEEfNS9_4plusIvEEfEEDaPvRmT3_T4_T5_mT6_P12ihipStream_tbENKUlT_T0_E_clISt17integral_constantIbLb1EESV_IbLb0EEEEDaSR_SS_EUlSR_E_NS1_11comp_targetILNS1_3genE4ELNS1_11target_archE910ELNS1_3gpuE8ELNS1_3repE0EEENS1_30default_config_static_selectorELNS0_4arch9wavefront6targetE1EEEvT1_,comdat
	.protected	_ZN7rocprim17ROCPRIM_400000_NS6detail17trampoline_kernelINS0_14default_configENS1_20scan_config_selectorIfEEZZNS1_9scan_implILNS1_25lookback_scan_determinismE0ELb0ELb0ES3_N6thrust23THRUST_200600_302600_NS6detail15normal_iteratorINS9_10device_ptrIfEEEENSB_INSC_IiEEEEfNS9_4plusIvEEfEEDaPvRmT3_T4_T5_mT6_P12ihipStream_tbENKUlT_T0_E_clISt17integral_constantIbLb1EESV_IbLb0EEEEDaSR_SS_EUlSR_E_NS1_11comp_targetILNS1_3genE4ELNS1_11target_archE910ELNS1_3gpuE8ELNS1_3repE0EEENS1_30default_config_static_selectorELNS0_4arch9wavefront6targetE1EEEvT1_ ; -- Begin function _ZN7rocprim17ROCPRIM_400000_NS6detail17trampoline_kernelINS0_14default_configENS1_20scan_config_selectorIfEEZZNS1_9scan_implILNS1_25lookback_scan_determinismE0ELb0ELb0ES3_N6thrust23THRUST_200600_302600_NS6detail15normal_iteratorINS9_10device_ptrIfEEEENSB_INSC_IiEEEEfNS9_4plusIvEEfEEDaPvRmT3_T4_T5_mT6_P12ihipStream_tbENKUlT_T0_E_clISt17integral_constantIbLb1EESV_IbLb0EEEEDaSR_SS_EUlSR_E_NS1_11comp_targetILNS1_3genE4ELNS1_11target_archE910ELNS1_3gpuE8ELNS1_3repE0EEENS1_30default_config_static_selectorELNS0_4arch9wavefront6targetE1EEEvT1_
	.globl	_ZN7rocprim17ROCPRIM_400000_NS6detail17trampoline_kernelINS0_14default_configENS1_20scan_config_selectorIfEEZZNS1_9scan_implILNS1_25lookback_scan_determinismE0ELb0ELb0ES3_N6thrust23THRUST_200600_302600_NS6detail15normal_iteratorINS9_10device_ptrIfEEEENSB_INSC_IiEEEEfNS9_4plusIvEEfEEDaPvRmT3_T4_T5_mT6_P12ihipStream_tbENKUlT_T0_E_clISt17integral_constantIbLb1EESV_IbLb0EEEEDaSR_SS_EUlSR_E_NS1_11comp_targetILNS1_3genE4ELNS1_11target_archE910ELNS1_3gpuE8ELNS1_3repE0EEENS1_30default_config_static_selectorELNS0_4arch9wavefront6targetE1EEEvT1_
	.p2align	8
	.type	_ZN7rocprim17ROCPRIM_400000_NS6detail17trampoline_kernelINS0_14default_configENS1_20scan_config_selectorIfEEZZNS1_9scan_implILNS1_25lookback_scan_determinismE0ELb0ELb0ES3_N6thrust23THRUST_200600_302600_NS6detail15normal_iteratorINS9_10device_ptrIfEEEENSB_INSC_IiEEEEfNS9_4plusIvEEfEEDaPvRmT3_T4_T5_mT6_P12ihipStream_tbENKUlT_T0_E_clISt17integral_constantIbLb1EESV_IbLb0EEEEDaSR_SS_EUlSR_E_NS1_11comp_targetILNS1_3genE4ELNS1_11target_archE910ELNS1_3gpuE8ELNS1_3repE0EEENS1_30default_config_static_selectorELNS0_4arch9wavefront6targetE1EEEvT1_,@function
_ZN7rocprim17ROCPRIM_400000_NS6detail17trampoline_kernelINS0_14default_configENS1_20scan_config_selectorIfEEZZNS1_9scan_implILNS1_25lookback_scan_determinismE0ELb0ELb0ES3_N6thrust23THRUST_200600_302600_NS6detail15normal_iteratorINS9_10device_ptrIfEEEENSB_INSC_IiEEEEfNS9_4plusIvEEfEEDaPvRmT3_T4_T5_mT6_P12ihipStream_tbENKUlT_T0_E_clISt17integral_constantIbLb1EESV_IbLb0EEEEDaSR_SS_EUlSR_E_NS1_11comp_targetILNS1_3genE4ELNS1_11target_archE910ELNS1_3gpuE8ELNS1_3repE0EEENS1_30default_config_static_selectorELNS0_4arch9wavefront6targetE1EEEvT1_: ; @_ZN7rocprim17ROCPRIM_400000_NS6detail17trampoline_kernelINS0_14default_configENS1_20scan_config_selectorIfEEZZNS1_9scan_implILNS1_25lookback_scan_determinismE0ELb0ELb0ES3_N6thrust23THRUST_200600_302600_NS6detail15normal_iteratorINS9_10device_ptrIfEEEENSB_INSC_IiEEEEfNS9_4plusIvEEfEEDaPvRmT3_T4_T5_mT6_P12ihipStream_tbENKUlT_T0_E_clISt17integral_constantIbLb1EESV_IbLb0EEEEDaSR_SS_EUlSR_E_NS1_11comp_targetILNS1_3genE4ELNS1_11target_archE910ELNS1_3gpuE8ELNS1_3repE0EEENS1_30default_config_static_selectorELNS0_4arch9wavefront6targetE1EEEvT1_
; %bb.0:
	s_load_dwordx8 s[12:19], s[4:5], 0x0
	s_load_dword s1, s[4:5], 0x30
	s_mul_i32 s0, s6, 0x700
	v_lshlrev_b32_e32 v32, 2, v0
	s_waitcnt lgkmcnt(0)
	s_lshl_b64 s[20:21], s[14:15], 2
	s_add_u32 s2, s12, s20
	s_addc_u32 s3, s13, s21
	s_add_i32 s7, s1, -1
	s_mul_i32 s8, s7, 0x700
	s_sub_u32 s28, s18, s8
	s_subb_u32 s29, s19, 0
	s_mov_b32 s1, 0
	s_cmp_lg_u32 s6, s7
	s_cselect_b64 s[18:19], -1, 0
	s_lshl_b64 s[22:23], s[0:1], 2
	s_add_u32 s2, s2, s22
	s_addc_u32 s3, s3, s23
	s_mov_b64 s[0:1], -1
	s_and_b64 vcc, exec, s[18:19]
	s_cbranch_vccz .LBB1461_2
; %bb.1:
	v_mov_b32_e32 v1, s3
	v_add_co_u32_e32 v2, vcc, s2, v32
	v_addc_co_u32_e32 v3, vcc, 0, v1, vcc
	flat_load_dword v1, v[2:3]
	flat_load_dword v4, v[2:3] offset:512
	flat_load_dword v5, v[2:3] offset:1024
	;; [unrolled: 1-line block ×7, first 2 shown]
	v_add_co_u32_e32 v2, vcc, 0x1000, v2
	v_addc_co_u32_e32 v3, vcc, 0, v3, vcc
	flat_load_dword v11, v[2:3]
	flat_load_dword v12, v[2:3] offset:512
	flat_load_dword v13, v[2:3] offset:1024
	;; [unrolled: 1-line block ×5, first 2 shown]
	s_mov_b64 s[0:1], 0
	s_waitcnt vmcnt(0) lgkmcnt(0)
	ds_write2st64_b32 v32, v1, v4 offset1:2
	ds_write2st64_b32 v32, v5, v6 offset0:4 offset1:6
	ds_write2st64_b32 v32, v7, v8 offset0:8 offset1:10
	;; [unrolled: 1-line block ×6, first 2 shown]
	s_waitcnt lgkmcnt(0)
	s_barrier
.LBB1461_2:
	s_load_dwordx2 s[24:25], s[4:5], 0x28
	s_andn2_b64 vcc, exec, s[0:1]
	v_cmp_gt_u32_e64 s[0:1], s28, v0
	s_cbranch_vccnz .LBB1461_32
; %bb.3:
	v_pk_mov_b32 v[2:3], s[2:3], s[2:3] op_sel:[0,1]
	flat_load_dword v1, v[2:3]
	s_waitcnt vmcnt(0) lgkmcnt(0)
	v_mov_b32_e32 v2, v1
	v_mov_b32_e32 v3, v1
	;; [unrolled: 1-line block ×12, first 2 shown]
	v_pk_mov_b32 v[16:17], v[14:15], v[14:15] op_sel:[0,1]
	v_pk_mov_b32 v[14:15], v[12:13], v[12:13] op_sel:[0,1]
	;; [unrolled: 1-line block ×8, first 2 shown]
	s_and_saveexec_b64 s[8:9], s[0:1]
	s_cbranch_execz .LBB1461_5
; %bb.4:
	v_mov_b32_e32 v3, s3
	v_add_co_u32_e32 v2, vcc, s2, v32
	v_addc_co_u32_e32 v3, vcc, 0, v3, vcc
	flat_load_dword v18, v[2:3]
	v_mov_b32_e32 v2, v1
	v_mov_b32_e32 v3, v1
	;; [unrolled: 1-line block ×12, first 2 shown]
	v_pk_mov_b32 v[16:17], v[14:15], v[14:15] op_sel:[0,1]
	v_pk_mov_b32 v[14:15], v[12:13], v[12:13] op_sel:[0,1]
	;; [unrolled: 1-line block ×8, first 2 shown]
	s_waitcnt vmcnt(0) lgkmcnt(0)
	v_mov_b32_e32 v1, v18
.LBB1461_5:
	s_or_b64 exec, exec, s[8:9]
	v_or_b32_e32 v2, 0x80, v0
	v_cmp_gt_u32_e32 vcc, s28, v2
	s_and_saveexec_b64 s[0:1], vcc
	s_cbranch_execz .LBB1461_7
; %bb.6:
	v_mov_b32_e32 v3, s3
	v_add_co_u32_e32 v2, vcc, s2, v32
	v_addc_co_u32_e32 v3, vcc, 0, v3, vcc
	flat_load_dword v3, v[2:3] offset:512
.LBB1461_7:
	s_or_b64 exec, exec, s[0:1]
	v_or_b32_e32 v2, 0x100, v0
	v_cmp_gt_u32_e32 vcc, s28, v2
	s_and_saveexec_b64 s[0:1], vcc
	s_cbranch_execz .LBB1461_9
; %bb.8:
	v_mov_b32_e32 v2, s3
	v_add_co_u32_e32 v16, vcc, s2, v32
	v_addc_co_u32_e32 v17, vcc, 0, v2, vcc
	flat_load_dword v4, v[16:17] offset:1024
.LBB1461_9:
	;; [unrolled: 11-line block ×7, first 2 shown]
	s_or_b64 exec, exec, s[0:1]
	v_or_b32_e32 v2, 0x400, v0
	v_cmp_gt_u32_e32 vcc, s28, v2
	s_and_saveexec_b64 s[0:1], vcc
	s_cbranch_execz .LBB1461_21
; %bb.20:
	v_lshlrev_b32_e32 v2, 2, v2
	v_mov_b32_e32 v10, s3
	v_add_co_u32_e32 v16, vcc, s2, v2
	v_addc_co_u32_e32 v17, vcc, 0, v10, vcc
	flat_load_dword v10, v[16:17]
.LBB1461_21:
	s_or_b64 exec, exec, s[0:1]
	v_or_b32_e32 v2, 0x480, v0
	v_cmp_gt_u32_e32 vcc, s28, v2
	s_and_saveexec_b64 s[0:1], vcc
	s_cbranch_execz .LBB1461_23
; %bb.22:
	v_lshlrev_b32_e32 v2, 2, v2
	v_mov_b32_e32 v11, s3
	v_add_co_u32_e32 v16, vcc, s2, v2
	v_addc_co_u32_e32 v17, vcc, 0, v11, vcc
	flat_load_dword v11, v[16:17]
.LBB1461_23:
	;; [unrolled: 12-line block ×6, first 2 shown]
	s_or_b64 exec, exec, s[0:1]
	s_waitcnt vmcnt(0) lgkmcnt(0)
	ds_write2st64_b32 v32, v1, v3 offset1:2
	ds_write2st64_b32 v32, v4, v5 offset0:4 offset1:6
	ds_write2st64_b32 v32, v6, v7 offset0:8 offset1:10
	;; [unrolled: 1-line block ×6, first 2 shown]
	s_waitcnt lgkmcnt(0)
	s_barrier
.LBB1461_32:
	v_mul_u32_u24_e32 v33, 14, v0
	v_lshlrev_b32_e32 v34, 2, v33
	s_waitcnt lgkmcnt(0)
	ds_read2_b64 v[2:5], v34 offset1:1
	ds_read2_b64 v[26:29], v34 offset0:2 offset1:3
	ds_read2_b64 v[22:25], v34 offset0:4 offset1:5
	ds_read_b64 v[30:31], v34 offset:48
	s_cmp_lg_u32 s6, 0
	v_lshrrev_b32_e32 v1, 5, v0
	v_cmp_gt_u32_e32 vcc, 64, v0
	s_waitcnt lgkmcnt(0)
	s_barrier
	s_cbranch_scc0 .LBB1461_61
; %bb.33:
	v_add_f32_e32 v6, v2, v3
	v_add_f32_e32 v6, v4, v6
	;; [unrolled: 1-line block ×13, first 2 shown]
	v_add_lshl_u32 v6, v1, v0, 2
	ds_write_b32 v6, v16
	s_waitcnt lgkmcnt(0)
	s_barrier
	s_and_saveexec_b64 s[10:11], vcc
	s_cbranch_execz .LBB1461_35
; %bb.34:
	v_lshlrev_b32_e32 v6, 1, v0
	v_lshrrev_b32_e32 v7, 4, v0
	v_add_lshl_u32 v8, v7, v6, 2
	ds_read2_b32 v[6:7], v8 offset1:1
	v_mbcnt_lo_u32_b32 v9, -1, 0
	v_mbcnt_hi_u32_b32 v9, -1, v9
	v_and_b32_e32 v10, 15, v9
	v_cmp_eq_u32_e64 s[0:1], 0, v10
	s_waitcnt lgkmcnt(0)
	v_add_f32_e32 v7, v6, v7
	v_cmp_lt_u32_e64 s[2:3], 3, v10
	v_cmp_lt_u32_e64 s[8:9], 31, v9
	v_mov_b32_dpp v11, v7 row_shr:1 row_mask:0xf bank_mask:0xf
	v_add_f32_e32 v11, v7, v11
	v_cndmask_b32_e64 v7, v11, v7, s[0:1]
	v_cmp_lt_u32_e64 s[0:1], 1, v10
	s_nop 0
	v_mov_b32_dpp v11, v7 row_shr:2 row_mask:0xf bank_mask:0xf
	v_add_f32_e32 v11, v7, v11
	v_cndmask_b32_e64 v11, v7, v11, s[0:1]
	; wave barrier
	s_nop 1
	v_mov_b32_dpp v12, v11 row_shr:4 row_mask:0xf bank_mask:0xf
	v_add_f32_e32 v12, v11, v12
	v_cndmask_b32_e64 v11, v11, v12, s[2:3]
	v_cmp_lt_u32_e64 s[2:3], 7, v10
	s_nop 0
	v_mov_b32_dpp v12, v11 row_shr:8 row_mask:0xf bank_mask:0xf
	v_add_f32_e32 v12, v11, v12
	v_cndmask_b32_e64 v10, v11, v12, s[2:3]
	v_and_b32_e32 v12, 16, v9
	v_cmp_eq_u32_e64 s[2:3], 0, v12
	v_mov_b32_dpp v11, v10 row_bcast:15 row_mask:0xf bank_mask:0xf
	v_add_f32_e32 v11, v10, v11
	v_cndmask_b32_e64 v10, v11, v10, s[2:3]
	v_cmp_lt_u32_e64 s[2:3], 15, v9
	s_or_b64 s[0:1], s[2:3], s[0:1]
	v_mov_b32_dpp v11, v10 row_bcast:31 row_mask:0xf bank_mask:0xf
	v_add_f32_e32 v11, v10, v11
	v_cndmask_b32_e64 v10, v10, v11, s[8:9]
	v_cndmask_b32_e64 v7, v7, v10, s[0:1]
	v_add_u32_e32 v10, -1, v9
	v_and_b32_e32 v11, 64, v9
	v_cmp_lt_i32_e64 s[0:1], v10, v11
	v_cndmask_b32_e64 v9, v10, v9, s[0:1]
	v_lshlrev_b32_e32 v9, 2, v9
	ds_bpermute_b32 v7, v9, v7
	v_cmp_eq_u32_e64 s[0:1], 0, v0
	s_waitcnt lgkmcnt(0)
	v_add_f32_e32 v6, v6, v7
	v_cndmask_b32_e64 v6, v6, v16, s[0:1]
	ds_write_b32 v8, v6
	; wave barrier
	ds_read_b32 v7, v8 offset:4
	s_waitcnt lgkmcnt(0)
	v_add_f32_e32 v6, v6, v7
	ds_write_b32 v8, v6 offset:4
.LBB1461_35:
	s_or_b64 exec, exec, s[10:11]
	v_cmp_eq_u32_e64 s[0:1], 0, v0
	v_cmp_ne_u32_e64 s[2:3], 0, v0
	s_waitcnt lgkmcnt(0)
	s_barrier
	s_and_saveexec_b64 s[8:9], s[2:3]
	s_cbranch_execz .LBB1461_37
; %bb.36:
	v_add_u32_e32 v6, -1, v0
	v_lshrrev_b32_e32 v7, 5, v6
	v_add_lshl_u32 v6, v7, v6, 2
	ds_read_b32 v16, v6
.LBB1461_37:
	s_or_b64 exec, exec, s[8:9]
	s_and_saveexec_b64 s[26:27], vcc
	s_cbranch_execz .LBB1461_60
; %bb.38:
	v_mov_b32_e32 v15, 0
	ds_read_b32 v6, v15 offset:520
	v_mbcnt_lo_u32_b32 v7, -1, 0
	v_mbcnt_hi_u32_b32 v9, -1, v7
	s_mov_b32 s11, 0
	v_cmp_eq_u32_e64 s[2:3], 0, v9
	s_and_saveexec_b64 s[8:9], s[2:3]
	s_cbranch_execz .LBB1461_40
; %bb.39:
	s_add_i32 s10, s6, 64
	s_lshl_b64 s[10:11], s[10:11], 3
	s_add_u32 s10, s24, s10
	v_mov_b32_e32 v7, 1
	s_addc_u32 s11, s25, s11
	s_waitcnt lgkmcnt(0)
	global_store_dwordx2 v15, v[6:7], s[10:11]
.LBB1461_40:
	s_or_b64 exec, exec, s[8:9]
	v_xad_u32 v8, v9, -1, s6
	v_add_u32_e32 v14, 64, v8
	v_lshlrev_b64 v[10:11], 3, v[14:15]
	v_mov_b32_e32 v7, s25
	v_add_co_u32_e32 v10, vcc, s24, v10
	v_addc_co_u32_e32 v11, vcc, v7, v11, vcc
	global_load_dwordx2 v[12:13], v[10:11], off glc
	s_waitcnt vmcnt(0)
	v_cmp_eq_u16_sdwa s[10:11], v13, v15 src0_sel:BYTE_0 src1_sel:DWORD
	s_and_saveexec_b64 s[8:9], s[10:11]
	s_cbranch_execz .LBB1461_46
; %bb.41:
	s_mov_b32 s7, 1
	s_mov_b64 s[10:11], 0
	v_mov_b32_e32 v7, 0
.LBB1461_42:                            ; =>This Loop Header: Depth=1
                                        ;     Child Loop BB1461_43 Depth 2
	s_max_u32 s12, s7, 1
.LBB1461_43:                            ;   Parent Loop BB1461_42 Depth=1
                                        ; =>  This Inner Loop Header: Depth=2
	s_add_i32 s12, s12, -1
	s_cmp_eq_u32 s12, 0
	s_sleep 1
	s_cbranch_scc0 .LBB1461_43
; %bb.44:                               ;   in Loop: Header=BB1461_42 Depth=1
	global_load_dwordx2 v[12:13], v[10:11], off glc
	s_cmp_lt_u32 s7, 32
	s_cselect_b64 s[12:13], -1, 0
	s_cmp_lg_u64 s[12:13], 0
	s_addc_u32 s7, s7, 0
	s_waitcnt vmcnt(0)
	v_cmp_ne_u16_sdwa s[12:13], v13, v7 src0_sel:BYTE_0 src1_sel:DWORD
	s_or_b64 s[10:11], s[12:13], s[10:11]
	s_andn2_b64 exec, exec, s[10:11]
	s_cbranch_execnz .LBB1461_42
; %bb.45:
	s_or_b64 exec, exec, s[10:11]
.LBB1461_46:
	s_or_b64 exec, exec, s[8:9]
	v_and_b32_e32 v17, 63, v9
	v_cmp_ne_u32_e32 vcc, 63, v17
	v_addc_co_u32_e32 v18, vcc, 0, v9, vcc
	v_mov_b32_e32 v7, 2
	v_lshlrev_b32_e32 v18, 2, v18
	v_cmp_eq_u16_sdwa s[8:9], v13, v7 src0_sel:BYTE_0 src1_sel:DWORD
	v_lshlrev_b64 v[10:11], v9, -1
	ds_bpermute_b32 v19, v18, v12
	v_and_b32_e32 v14, s9, v11
	v_or_b32_e32 v14, 0x80000000, v14
	v_and_b32_e32 v15, s8, v10
	v_ffbl_b32_e32 v14, v14
	v_add_u32_e32 v14, 32, v14
	v_ffbl_b32_e32 v15, v15
	v_cmp_gt_u32_e64 s[8:9], 62, v17
	v_min_u32_e32 v14, v15, v14
	s_waitcnt lgkmcnt(0)
	v_add_f32_e32 v15, v12, v19
	v_cndmask_b32_e64 v19, 0, 1, s[8:9]
	v_cmp_lt_u32_e32 vcc, v17, v14
	v_lshlrev_b32_e32 v19, 1, v19
	v_cndmask_b32_e32 v15, v12, v15, vcc
	v_add_lshl_u32 v19, v19, v9, 2
	ds_bpermute_b32 v21, v19, v15
	v_add_u32_e32 v20, 2, v17
	v_cmp_gt_u32_e64 s[8:9], v20, v14
	v_cmp_gt_u32_e64 s[10:11], 56, v17
	v_add_u32_e32 v35, 4, v17
	s_waitcnt lgkmcnt(0)
	v_add_f32_e32 v21, v15, v21
	v_cndmask_b32_e64 v15, v21, v15, s[8:9]
	v_cmp_gt_u32_e64 s[8:9], 60, v17
	v_cndmask_b32_e64 v21, 0, 1, s[8:9]
	v_lshlrev_b32_e32 v21, 2, v21
	v_add_lshl_u32 v21, v21, v9, 2
	ds_bpermute_b32 v36, v21, v15
	v_cmp_gt_u32_e64 s[8:9], v35, v14
	v_add_u32_e32 v37, 8, v17
	v_cmp_gt_u32_e64 s[12:13], 48, v17
	v_cmp_gt_u32_e64 s[14:15], 32, v17
	s_waitcnt lgkmcnt(0)
	v_add_f32_e32 v40, v15, v36
	v_cndmask_b32_e64 v36, 0, 1, s[10:11]
	v_lshlrev_b32_e32 v36, 3, v36
	v_cndmask_b32_e64 v38, v40, v15, s[8:9]
	v_add_lshl_u32 v36, v36, v9, 2
	ds_bpermute_b32 v39, v36, v38
	v_cmp_gt_u32_e64 s[10:11], v37, v14
	v_cndmask_b32_e32 v12, v12, v15, vcc
	v_cndmask_b32_e64 v12, v40, v12, s[8:9]
	s_waitcnt lgkmcnt(0)
	v_add_f32_e32 v43, v38, v39
	v_cndmask_b32_e64 v41, v43, v38, s[10:11]
	v_cndmask_b32_e64 v38, 0, 1, s[12:13]
	v_lshlrev_b32_e32 v38, 4, v38
	v_add_lshl_u32 v38, v38, v9, 2
	ds_bpermute_b32 v42, v38, v41
	v_add_u32_e32 v39, 16, v17
	v_cmp_gt_u32_e64 s[12:13], v39, v14
	v_cndmask_b32_e64 v12, v43, v12, s[10:11]
	s_waitcnt lgkmcnt(0)
	v_add_f32_e32 v44, v41, v42
	v_cndmask_b32_e64 v45, v44, v41, s[12:13]
	v_cndmask_b32_e64 v41, 0, 1, s[14:15]
	v_lshlrev_b32_e32 v41, 5, v41
	v_add_lshl_u32 v41, v41, v9, 2
	ds_bpermute_b32 v9, v41, v45
	v_add_u32_e32 v42, 32, v17
	v_cndmask_b32_e64 v12, v44, v12, s[12:13]
	v_cmp_gt_u32_e32 vcc, v42, v14
	s_waitcnt lgkmcnt(0)
	v_add_f32_e32 v9, v45, v9
	v_cndmask_b32_e32 v12, v9, v12, vcc
	v_mov_b32_e32 v9, 0
	s_branch .LBB1461_48
.LBB1461_47:                            ;   in Loop: Header=BB1461_48 Depth=1
	s_or_b64 exec, exec, s[8:9]
	v_cmp_eq_u16_sdwa s[8:9], v13, v7 src0_sel:BYTE_0 src1_sel:DWORD
	v_and_b32_e32 v14, s9, v11
	ds_bpermute_b32 v43, v18, v12
	v_or_b32_e32 v14, 0x80000000, v14
	v_and_b32_e32 v15, s8, v10
	v_ffbl_b32_e32 v14, v14
	v_add_u32_e32 v14, 32, v14
	v_ffbl_b32_e32 v15, v15
	v_min_u32_e32 v14, v15, v14
	s_waitcnt lgkmcnt(0)
	v_add_f32_e32 v15, v12, v43
	v_cmp_lt_u32_e32 vcc, v17, v14
	v_cndmask_b32_e32 v15, v12, v15, vcc
	ds_bpermute_b32 v43, v19, v15
	v_cmp_gt_u32_e64 s[8:9], v20, v14
	v_cmp_gt_u32_e64 s[10:11], v37, v14
	v_cmp_gt_u32_e64 s[12:13], v39, v14
	v_subrev_u32_e32 v8, 64, v8
	s_waitcnt lgkmcnt(0)
	v_add_f32_e32 v43, v15, v43
	v_cndmask_b32_e64 v15, v43, v15, s[8:9]
	ds_bpermute_b32 v43, v21, v15
	v_cmp_gt_u32_e64 s[8:9], v35, v14
	v_cndmask_b32_e32 v12, v12, v15, vcc
	v_cmp_gt_u32_e32 vcc, v42, v14
	s_waitcnt lgkmcnt(0)
	v_add_f32_e32 v43, v15, v43
	v_cndmask_b32_e64 v44, v43, v15, s[8:9]
	ds_bpermute_b32 v45, v36, v44
	v_cndmask_b32_e64 v12, v43, v12, s[8:9]
	s_waitcnt lgkmcnt(0)
	v_add_f32_e32 v45, v44, v45
	v_cndmask_b32_e64 v44, v45, v44, s[10:11]
	ds_bpermute_b32 v46, v38, v44
	v_cndmask_b32_e64 v12, v45, v12, s[10:11]
	;; [unrolled: 5-line block ×3, first 2 shown]
	s_waitcnt lgkmcnt(0)
	v_add_f32_e32 v15, v44, v47
	v_cndmask_b32_e32 v12, v15, v12, vcc
	v_add_f32_e32 v12, v40, v12
.LBB1461_48:                            ; =>This Loop Header: Depth=1
                                        ;     Child Loop BB1461_51 Depth 2
                                        ;       Child Loop BB1461_52 Depth 3
	v_cmp_ne_u16_sdwa s[8:9], v13, v7 src0_sel:BYTE_0 src1_sel:DWORD
	v_cndmask_b32_e64 v13, 0, 1, s[8:9]
	;;#ASMSTART
	;;#ASMEND
	v_cmp_ne_u32_e32 vcc, 0, v13
	s_cmp_lg_u64 vcc, exec
	v_mov_b32_e32 v40, v12
	s_cbranch_scc1 .LBB1461_55
; %bb.49:                               ;   in Loop: Header=BB1461_48 Depth=1
	v_lshlrev_b64 v[12:13], 3, v[8:9]
	v_mov_b32_e32 v15, s25
	v_add_co_u32_e32 v14, vcc, s24, v12
	v_addc_co_u32_e32 v15, vcc, v15, v13, vcc
	global_load_dwordx2 v[12:13], v[14:15], off glc
	s_waitcnt vmcnt(0)
	v_cmp_eq_u16_sdwa s[10:11], v13, v9 src0_sel:BYTE_0 src1_sel:DWORD
	s_and_saveexec_b64 s[8:9], s[10:11]
	s_cbranch_execz .LBB1461_47
; %bb.50:                               ;   in Loop: Header=BB1461_48 Depth=1
	s_mov_b32 s7, 1
	s_mov_b64 s[10:11], 0
.LBB1461_51:                            ;   Parent Loop BB1461_48 Depth=1
                                        ; =>  This Loop Header: Depth=2
                                        ;       Child Loop BB1461_52 Depth 3
	s_max_u32 s12, s7, 1
.LBB1461_52:                            ;   Parent Loop BB1461_48 Depth=1
                                        ;     Parent Loop BB1461_51 Depth=2
                                        ; =>    This Inner Loop Header: Depth=3
	s_add_i32 s12, s12, -1
	s_cmp_eq_u32 s12, 0
	s_sleep 1
	s_cbranch_scc0 .LBB1461_52
; %bb.53:                               ;   in Loop: Header=BB1461_51 Depth=2
	global_load_dwordx2 v[12:13], v[14:15], off glc
	s_cmp_lt_u32 s7, 32
	s_cselect_b64 s[12:13], -1, 0
	s_cmp_lg_u64 s[12:13], 0
	s_addc_u32 s7, s7, 0
	s_waitcnt vmcnt(0)
	v_cmp_ne_u16_sdwa s[12:13], v13, v9 src0_sel:BYTE_0 src1_sel:DWORD
	s_or_b64 s[10:11], s[12:13], s[10:11]
	s_andn2_b64 exec, exec, s[10:11]
	s_cbranch_execnz .LBB1461_51
; %bb.54:                               ;   in Loop: Header=BB1461_48 Depth=1
	s_or_b64 exec, exec, s[10:11]
	s_branch .LBB1461_47
.LBB1461_55:                            ;   in Loop: Header=BB1461_48 Depth=1
                                        ; implicit-def: $vgpr12
                                        ; implicit-def: $vgpr13
	s_cbranch_execz .LBB1461_48
; %bb.56:
	s_and_saveexec_b64 s[8:9], s[2:3]
	s_cbranch_execz .LBB1461_58
; %bb.57:
	s_add_i32 s2, s6, 64
	s_mov_b32 s3, 0
	s_lshl_b64 s[2:3], s[2:3], 3
	s_add_u32 s2, s24, s2
	v_add_f32_e32 v6, v6, v40
	v_mov_b32_e32 v7, 2
	s_addc_u32 s3, s25, s3
	v_mov_b32_e32 v8, 0
	global_store_dwordx2 v8, v[6:7], s[2:3]
.LBB1461_58:
	s_or_b64 exec, exec, s[8:9]
	s_and_b64 exec, exec, s[0:1]
	s_cbranch_execz .LBB1461_60
; %bb.59:
	v_mov_b32_e32 v6, 0
	ds_write_b32 v6, v40
.LBB1461_60:
	s_or_b64 exec, exec, s[26:27]
	v_mov_b32_e32 v6, 0
	s_waitcnt lgkmcnt(0)
	s_barrier
	ds_read_b32 v6, v6
	v_add_f32_e32 v7, v2, v16
	v_cndmask_b32_e64 v7, v7, v2, s[0:1]
	s_waitcnt lgkmcnt(0)
	v_add_f32_e32 v6, v7, v6
	v_add_f32_e32 v7, v3, v6
	;; [unrolled: 1-line block ×14, first 2 shown]
	s_load_dwordx8 s[8:15], s[4:5], 0x38
	s_branch .LBB1461_73
.LBB1461_61:
                                        ; implicit-def: $vgpr6_vgpr7_vgpr8_vgpr9_vgpr10_vgpr11_vgpr12_vgpr13_vgpr14_vgpr15_vgpr16_vgpr17_vgpr18_vgpr19_vgpr20_vgpr21
	s_load_dwordx8 s[8:15], s[4:5], 0x38
	s_cbranch_execz .LBB1461_73
; %bb.62:
	s_waitcnt lgkmcnt(0)
	s_cmp_lg_u64 s[12:13], 0
	s_cselect_b64 s[2:3], -1, 0
	v_cmp_eq_u32_e64 s[0:1], 0, v0
	v_cmp_ne_u32_e32 vcc, 0, v0
	s_and_b64 s[4:5], s[0:1], s[2:3]
	s_and_saveexec_b64 s[2:3], s[4:5]
	s_cbranch_execz .LBB1461_64
; %bb.63:
	v_mov_b32_e32 v6, 0
	global_load_dword v6, v6, s[8:9]
	s_waitcnt vmcnt(0)
	v_add_f32_e32 v2, v2, v6
.LBB1461_64:
	s_or_b64 exec, exec, s[2:3]
	v_add_f32_e32 v16, v2, v3
	v_add_f32_e32 v17, v4, v16
	;; [unrolled: 1-line block ×13, first 2 shown]
	v_add_lshl_u32 v1, v1, v0, 2
	v_cmp_gt_u32_e64 s[2:3], 64, v0
	ds_write_b32 v1, v15
	s_waitcnt lgkmcnt(0)
	s_barrier
	s_and_saveexec_b64 s[8:9], s[2:3]
	s_cbranch_execz .LBB1461_66
; %bb.65:
	v_lshlrev_b32_e32 v1, 1, v0
	v_lshrrev_b32_e32 v19, 4, v0
	v_add_lshl_u32 v1, v19, v1, 2
	ds_read2_b32 v[20:21], v1 offset1:1
	v_mbcnt_lo_u32_b32 v19, -1, 0
	v_mbcnt_hi_u32_b32 v19, -1, v19
	v_and_b32_e32 v35, 15, v19
	v_cmp_eq_u32_e64 s[2:3], 0, v35
	s_waitcnt lgkmcnt(0)
	v_add_f32_e32 v21, v20, v21
	v_cmp_lt_u32_e64 s[4:5], 3, v35
	v_cmp_lt_u32_e64 s[6:7], 31, v19
	v_mov_b32_dpp v36, v21 row_shr:1 row_mask:0xf bank_mask:0xf
	v_add_f32_e32 v36, v21, v36
	v_cndmask_b32_e64 v21, v36, v21, s[2:3]
	v_cmp_lt_u32_e64 s[2:3], 1, v35
	s_nop 0
	v_mov_b32_dpp v36, v21 row_shr:2 row_mask:0xf bank_mask:0xf
	v_add_f32_e32 v36, v21, v36
	v_cndmask_b32_e64 v36, v21, v36, s[2:3]
	; wave barrier
	s_nop 1
	v_mov_b32_dpp v37, v36 row_shr:4 row_mask:0xf bank_mask:0xf
	v_add_f32_e32 v37, v36, v37
	v_cndmask_b32_e64 v36, v36, v37, s[4:5]
	v_cmp_lt_u32_e64 s[4:5], 7, v35
	s_nop 0
	v_mov_b32_dpp v37, v36 row_shr:8 row_mask:0xf bank_mask:0xf
	v_add_f32_e32 v37, v36, v37
	v_cndmask_b32_e64 v35, v36, v37, s[4:5]
	v_and_b32_e32 v37, 16, v19
	v_cmp_eq_u32_e64 s[4:5], 0, v37
	v_mov_b32_dpp v36, v35 row_bcast:15 row_mask:0xf bank_mask:0xf
	v_add_f32_e32 v36, v35, v36
	v_cndmask_b32_e64 v35, v36, v35, s[4:5]
	v_cmp_lt_u32_e64 s[4:5], 15, v19
	s_or_b64 s[2:3], s[4:5], s[2:3]
	v_mov_b32_dpp v36, v35 row_bcast:31 row_mask:0xf bank_mask:0xf
	v_add_f32_e32 v36, v35, v36
	v_cndmask_b32_e64 v35, v35, v36, s[6:7]
	v_cndmask_b32_e64 v21, v21, v35, s[2:3]
	v_add_u32_e32 v35, -1, v19
	v_and_b32_e32 v36, 64, v19
	v_cmp_lt_i32_e64 s[2:3], v35, v36
	v_cndmask_b32_e64 v19, v35, v19, s[2:3]
	v_lshlrev_b32_e32 v19, 2, v19
	ds_bpermute_b32 v19, v19, v21
	s_waitcnt lgkmcnt(0)
	v_add_f32_e32 v19, v20, v19
	v_cndmask_b32_e64 v19, v19, v15, s[0:1]
	ds_write_b32 v1, v19
	; wave barrier
	ds_read_b32 v20, v1 offset:4
	s_waitcnt lgkmcnt(0)
	v_add_f32_e32 v19, v19, v20
	ds_write_b32 v1, v19 offset:4
.LBB1461_66:
	s_or_b64 exec, exec, s[8:9]
	v_mov_b32_e32 v1, v15
	s_waitcnt lgkmcnt(0)
	s_barrier
	s_and_saveexec_b64 s[0:1], vcc
	s_cbranch_execz .LBB1461_68
; %bb.67:
	v_add_u32_e32 v1, -1, v0
	v_lshrrev_b32_e32 v19, 5, v1
	v_add_lshl_u32 v1, v19, v1, 2
	ds_read_b32 v1, v1
.LBB1461_68:
	s_or_b64 exec, exec, s[0:1]
	s_and_saveexec_b64 s[0:1], vcc
	s_cbranch_execz .LBB1461_70
; %bb.69:
	s_waitcnt lgkmcnt(0)
	v_add_f32_e32 v2, v2, v1
	v_add_f32_e32 v16, v3, v2
	;; [unrolled: 1-line block ×14, first 2 shown]
	;;#ASMSTART
	;;#ASMEND
.LBB1461_70:
	s_or_b64 exec, exec, s[0:1]
	s_movk_i32 s0, 0x7f
	v_cmp_eq_u32_e32 vcc, s0, v0
	s_and_saveexec_b64 s[0:1], vcc
	s_cbranch_execz .LBB1461_72
; %bb.71:
	s_waitcnt lgkmcnt(0)
	v_mov_b32_e32 v1, 0
	v_mov_b32_e32 v5, 2
	;; [unrolled: 1-line block ×3, first 2 shown]
	global_store_dwordx2 v1, v[4:5], s[24:25] offset:512
.LBB1461_72:
	s_or_b64 exec, exec, s[0:1]
	v_mov_b32_e32 v3, v16
	v_mov_b32_e32 v4, v17
	;; [unrolled: 1-line block ×3, first 2 shown]
	v_pk_mov_b32 v[20:21], v[16:17], v[16:17] op_sel:[0,1]
	v_pk_mov_b32 v[18:19], v[14:15], v[14:15] op_sel:[0,1]
	;; [unrolled: 1-line block ×8, first 2 shown]
.LBB1461_73:
	s_add_u32 s0, s16, s20
	s_addc_u32 s1, s17, s21
	s_add_u32 s2, s0, s22
	s_addc_u32 s3, s1, s23
	s_mov_b64 s[0:1], -1
	s_and_b64 vcc, exec, s[18:19]
	s_waitcnt lgkmcnt(0)
	s_barrier
	s_cbranch_vccz .LBB1461_75
; %bb.74:
	v_mov_b32_e32 v1, s3
	v_add_co_u32_e32 v30, vcc, s2, v32
	ds_write2_b64 v34, v[6:7], v[8:9] offset1:1
	ds_write2_b64 v34, v[10:11], v[12:13] offset0:2 offset1:3
	ds_write2_b64 v34, v[14:15], v[16:17] offset0:4 offset1:5
	ds_write_b64 v34, v[18:19] offset:48
	s_waitcnt lgkmcnt(0)
	s_barrier
	ds_read2st64_b32 v[2:3], v32 offset1:2
	ds_read2st64_b32 v[4:5], v32 offset0:4 offset1:6
	ds_read2st64_b32 v[20:21], v32 offset0:8 offset1:10
	;; [unrolled: 1-line block ×6, first 2 shown]
	v_addc_co_u32_e32 v31, vcc, 0, v1, vcc
	s_waitcnt lgkmcnt(6)
	v_cvt_i32_f32_e32 v1, v2
	v_cvt_i32_f32_e32 v2, v3
	s_waitcnt lgkmcnt(5)
	v_cvt_i32_f32_e32 v3, v4
	v_cvt_i32_f32_e32 v4, v5
	flat_store_dword v[30:31], v1
	flat_store_dword v[30:31], v2 offset:512
	flat_store_dword v[30:31], v3 offset:1024
	;; [unrolled: 1-line block ×3, first 2 shown]
	s_waitcnt lgkmcnt(0)
	v_cvt_i32_f32_e32 v1, v20
	v_cvt_i32_f32_e32 v2, v21
	;; [unrolled: 1-line block ×4, first 2 shown]
	flat_store_dword v[30:31], v1 offset:2048
	flat_store_dword v[30:31], v2 offset:2560
	;; [unrolled: 1-line block ×4, first 2 shown]
	v_cvt_i32_f32_e32 v1, v24
	s_movk_i32 s0, 0x1000
	v_cvt_i32_f32_e32 v4, v25
	v_add_co_u32_e32 v2, vcc, s0, v30
	v_addc_co_u32_e32 v3, vcc, 0, v31, vcc
	flat_store_dword v[2:3], v1
	flat_store_dword v[2:3], v4 offset:512
	v_cvt_i32_f32_e32 v1, v26
	v_cvt_i32_f32_e32 v4, v27
	;; [unrolled: 1-line block ×4, first 2 shown]
	flat_store_dword v[2:3], v1 offset:1024
	flat_store_dword v[2:3], v4 offset:1536
	;; [unrolled: 1-line block ×4, first 2 shown]
	s_mov_b64 s[0:1], 0
.LBB1461_75:
	s_andn2_b64 vcc, exec, s[0:1]
	s_cbranch_vccnz .LBB1461_155
; %bb.76:
	s_movk_i32 s0, 0xffcc
	ds_write2_b64 v34, v[6:7], v[8:9] offset1:1
	ds_write2_b64 v34, v[10:11], v[12:13] offset0:2 offset1:3
	ds_write2_b64 v34, v[14:15], v[16:17] offset0:4 offset1:5
	ds_write_b64 v34, v[18:19] offset:48
	v_mad_i32_i24 v14, v0, s0, v34
	s_waitcnt lgkmcnt(0)
	s_barrier
	ds_read2st64_b32 v[4:5], v14 offset1:2
	ds_read2st64_b32 v[6:7], v14 offset0:4 offset1:6
	ds_read2st64_b32 v[8:9], v14 offset0:8 offset1:10
	;; [unrolled: 1-line block ×6, first 2 shown]
	v_mov_b32_e32 v17, s3
	v_add_co_u32_e32 v16, vcc, s2, v32
	v_addc_co_u32_e32 v17, vcc, 0, v17, vcc
	v_mov_b32_e32 v1, 0
	v_cmp_gt_u32_e32 vcc, s28, v0
	s_and_saveexec_b64 s[0:1], vcc
	s_cbranch_execz .LBB1461_78
; %bb.77:
	s_waitcnt lgkmcnt(0)
	v_cvt_i32_f32_e32 v18, v4
	flat_store_dword v[16:17], v18
.LBB1461_78:
	s_or_b64 exec, exec, s[0:1]
	v_or_b32_e32 v18, 0x80, v0
	v_cmp_gt_u32_e32 vcc, s28, v18
	s_and_saveexec_b64 s[0:1], vcc
	s_cbranch_execz .LBB1461_80
; %bb.79:
	s_waitcnt lgkmcnt(0)
	v_cvt_i32_f32_e32 v18, v5
	flat_store_dword v[16:17], v18 offset:512
.LBB1461_80:
	s_or_b64 exec, exec, s[0:1]
	v_or_b32_e32 v18, 0x100, v0
	v_cmp_gt_u32_e32 vcc, s28, v18
	s_and_saveexec_b64 s[0:1], vcc
	s_cbranch_execz .LBB1461_82
; %bb.81:
	s_waitcnt lgkmcnt(0)
	v_cvt_i32_f32_e32 v18, v6
	flat_store_dword v[16:17], v18 offset:1024
.LBB1461_82:
	;; [unrolled: 10-line block ×7, first 2 shown]
	s_or_b64 exec, exec, s[0:1]
	v_or_b32_e32 v18, 0x400, v0
	v_cmp_gt_u32_e32 vcc, s28, v18
	s_and_saveexec_b64 s[0:1], vcc
	s_cbranch_execz .LBB1461_94
; %bb.93:
	s_waitcnt lgkmcnt(0)
	v_cvt_i32_f32_e32 v20, v12
	v_add_co_u32_e32 v18, vcc, 0x1000, v16
	v_addc_co_u32_e32 v19, vcc, 0, v17, vcc
	flat_store_dword v[18:19], v20
.LBB1461_94:
	s_or_b64 exec, exec, s[0:1]
	v_or_b32_e32 v18, 0x480, v0
	v_cmp_gt_u32_e32 vcc, s28, v18
	s_and_saveexec_b64 s[0:1], vcc
	s_cbranch_execz .LBB1461_96
; %bb.95:
	s_waitcnt lgkmcnt(0)
	v_cvt_i32_f32_e32 v20, v13
	v_add_co_u32_e32 v18, vcc, 0x1000, v16
	v_addc_co_u32_e32 v19, vcc, 0, v17, vcc
	flat_store_dword v[18:19], v20 offset:512
.LBB1461_96:
	s_or_b64 exec, exec, s[0:1]
	v_or_b32_e32 v18, 0x500, v0
	v_cmp_gt_u32_e32 vcc, s28, v18
	s_and_saveexec_b64 s[0:1], vcc
	s_cbranch_execz .LBB1461_98
; %bb.97:
	s_waitcnt lgkmcnt(0)
	v_cvt_i32_f32_e32 v20, v10
	v_add_co_u32_e32 v18, vcc, 0x1000, v16
	v_addc_co_u32_e32 v19, vcc, 0, v17, vcc
	flat_store_dword v[18:19], v20 offset:1024
.LBB1461_98:
	;; [unrolled: 12-line block ×5, first 2 shown]
	s_or_b64 exec, exec, s[0:1]
	v_cmp_lt_u64_e64 s[0:1], s[14:15], 2
	s_and_b64 vcc, exec, s[0:1]
	s_cbranch_vccnz .LBB1461_155
; %bb.105:
	s_add_u32 s0, s28, -1
	s_addc_u32 s1, s29, -1
	s_add_u32 s2, 0, 0x49240800
	s_addc_u32 s3, 0, 50
	s_add_i32 s3, s3, 0x12492460
	s_mul_hi_u32 s7, s2, -14
	s_sub_i32 s7, s7, s2
	s_mul_i32 s8, s3, -14
	s_mul_i32 s4, s2, -14
	s_add_i32 s7, s7, s8
	s_mul_hi_u32 s5, s3, s4
	s_mul_i32 s6, s3, s4
	s_mul_i32 s9, s2, s7
	s_mul_hi_u32 s4, s2, s4
	s_mul_hi_u32 s8, s2, s7
	s_add_u32 s4, s4, s9
	s_addc_u32 s8, 0, s8
	s_add_u32 s4, s4, s6
	s_mul_hi_u32 s9, s3, s7
	s_addc_u32 s4, s8, s5
	s_addc_u32 s5, s9, 0
	s_mul_i32 s6, s3, s7
	s_add_u32 s4, s4, s6
	v_mov_b32_e32 v16, s4
	s_addc_u32 s5, 0, s5
	v_add_co_u32_e32 v16, vcc, s2, v16
	s_cmp_lg_u64 vcc, 0
	s_addc_u32 s2, s3, s5
	v_readfirstlane_b32 s5, v16
	s_mul_i32 s4, s0, s2
	s_mul_hi_u32 s6, s0, s5
	s_mul_hi_u32 s3, s0, s2
	s_add_u32 s4, s6, s4
	s_addc_u32 s3, 0, s3
	s_mul_hi_u32 s7, s1, s5
	s_mul_i32 s5, s1, s5
	s_add_u32 s4, s4, s5
	s_mul_hi_u32 s6, s1, s2
	s_addc_u32 s3, s3, s7
	s_addc_u32 s4, s6, 0
	s_mul_i32 s2, s1, s2
	s_add_u32 s2, s3, s2
	s_addc_u32 s3, 0, s4
	s_add_u32 s4, s2, 1
	s_addc_u32 s5, s3, 0
	s_add_u32 s6, s2, 2
	s_mul_i32 s8, s3, 14
	s_mul_hi_u32 s9, s2, 14
	s_addc_u32 s7, s3, 0
	s_add_i32 s9, s9, s8
	s_mul_i32 s8, s2, 14
	v_mov_b32_e32 v16, s8
	v_sub_co_u32_e32 v16, vcc, s0, v16
	s_cmp_lg_u64 vcc, 0
	s_subb_u32 s8, s1, s9
	v_subrev_co_u32_e32 v17, vcc, 14, v16
	s_cmp_lg_u64 vcc, 0
	s_subb_u32 s9, s8, 0
	v_readfirstlane_b32 s12, v17
	s_cmp_gt_u32 s12, 13
	s_cselect_b32 s12, -1, 0
	s_cmp_eq_u32 s9, 0
	s_cselect_b32 s9, s12, -1
	s_cmp_lg_u32 s9, 0
	s_cselect_b32 s4, s6, s4
	v_readfirstlane_b32 s6, v16
	s_cselect_b32 s5, s7, s5
	s_cmp_gt_u32 s6, 13
	s_cselect_b32 s6, -1, 0
	s_cmp_eq_u32 s8, 0
	s_cselect_b32 s6, s6, -1
	s_cmp_lg_u32 s6, 0
	s_cselect_b32 s3, s5, s3
	s_cselect_b32 s2, s4, s2
	v_cmp_eq_u64_e32 vcc, s[2:3], v[0:1]
	s_and_saveexec_b64 s[2:3], vcc
	s_cbranch_execz .LBB1461_155
; %bb.106:
	v_mul_hi_u32_u24_e32 v1, 14, v0
	v_mov_b32_e32 v16, s1
	v_sub_co_u32_e32 v0, vcc, s0, v33
	v_subb_co_u32_e32 v1, vcc, v16, v1, vcc
	v_cmp_lt_i64_e32 vcc, 6, v[0:1]
	s_and_saveexec_b64 s[0:1], vcc
	s_xor_b64 s[0:1], exec, s[0:1]
	s_cbranch_execz .LBB1461_132
; %bb.107:
	v_cmp_lt_i64_e32 vcc, 9, v[0:1]
	s_and_saveexec_b64 s[2:3], vcc
	s_xor_b64 s[2:3], exec, s[2:3]
	s_cbranch_execz .LBB1461_121
; %bb.108:
	;; [unrolled: 5-line block ×4, first 2 shown]
	v_mov_b32_e32 v0, 0
	s_waitcnt lgkmcnt(0)
	global_store_dword v0, v15, s[10:11]
                                        ; implicit-def: $vgpr14_vgpr15
.LBB1461_111:
	s_andn2_saveexec_b64 s[6:7], s[6:7]
	s_cbranch_execz .LBB1461_113
; %bb.112:
	v_mov_b32_e32 v0, 0
	s_waitcnt lgkmcnt(0)
	global_store_dword v0, v14, s[10:11]
.LBB1461_113:
	s_or_b64 exec, exec, s[6:7]
                                        ; implicit-def: $vgpr10_vgpr11
                                        ; implicit-def: $vgpr0_vgpr1
.LBB1461_114:
	s_andn2_saveexec_b64 s[4:5], s[4:5]
	s_cbranch_execz .LBB1461_120
; %bb.115:
	v_cmp_lt_i64_e32 vcc, 10, v[0:1]
	s_and_saveexec_b64 s[6:7], vcc
	s_xor_b64 s[6:7], exec, s[6:7]
	s_cbranch_execz .LBB1461_117
; %bb.116:
	v_mov_b32_e32 v0, 0
	s_waitcnt lgkmcnt(0)
	global_store_dword v0, v11, s[10:11]
                                        ; implicit-def: $vgpr10_vgpr11
.LBB1461_117:
	s_andn2_saveexec_b64 s[6:7], s[6:7]
	s_cbranch_execz .LBB1461_119
; %bb.118:
	v_mov_b32_e32 v0, 0
	s_waitcnt lgkmcnt(0)
	global_store_dword v0, v10, s[10:11]
.LBB1461_119:
	s_or_b64 exec, exec, s[6:7]
.LBB1461_120:
	s_or_b64 exec, exec, s[4:5]
                                        ; implicit-def: $vgpr2_vgpr3
                                        ; implicit-def: $vgpr0_vgpr1
                                        ; implicit-def: $vgpr12_vgpr13
.LBB1461_121:
	s_andn2_saveexec_b64 s[2:3], s[2:3]
	s_cbranch_execz .LBB1461_131
; %bb.122:
	v_cmp_lt_i64_e32 vcc, 7, v[0:1]
	s_and_saveexec_b64 s[4:5], vcc
	s_xor_b64 s[4:5], exec, s[4:5]
	s_cbranch_execz .LBB1461_128
; %bb.123:
	v_cmp_lt_i64_e32 vcc, 8, v[0:1]
	s_and_saveexec_b64 s[6:7], vcc
	s_xor_b64 s[6:7], exec, s[6:7]
	s_cbranch_execz .LBB1461_125
; %bb.124:
	v_mov_b32_e32 v0, 0
	s_waitcnt lgkmcnt(0)
	global_store_dword v0, v13, s[10:11]
                                        ; implicit-def: $vgpr12_vgpr13
.LBB1461_125:
	s_andn2_saveexec_b64 s[6:7], s[6:7]
	s_cbranch_execz .LBB1461_127
; %bb.126:
	v_mov_b32_e32 v0, 0
	s_waitcnt lgkmcnt(0)
	global_store_dword v0, v12, s[10:11]
.LBB1461_127:
	s_or_b64 exec, exec, s[6:7]
                                        ; implicit-def: $vgpr2_vgpr3
.LBB1461_128:
	s_andn2_saveexec_b64 s[4:5], s[4:5]
	s_cbranch_execz .LBB1461_130
; %bb.129:
	v_mov_b32_e32 v0, 0
	s_waitcnt lgkmcnt(0)
	global_store_dword v0, v3, s[10:11]
.LBB1461_130:
	s_or_b64 exec, exec, s[4:5]
.LBB1461_131:
	s_or_b64 exec, exec, s[2:3]
                                        ; implicit-def: $vgpr0_vgpr1
                                        ; implicit-def: $vgpr8_vgpr9
                                        ; implicit-def: $vgpr4_vgpr5
                                        ; implicit-def: $vgpr6_vgpr7
                                        ; implicit-def: $vgpr2_vgpr3
.LBB1461_132:
	s_andn2_saveexec_b64 s[0:1], s[0:1]
	s_cbranch_execz .LBB1461_155
; %bb.133:
	v_cmp_lt_i64_e32 vcc, 3, v[0:1]
	s_and_saveexec_b64 s[0:1], vcc
	s_xor_b64 s[0:1], exec, s[0:1]
	s_cbranch_execz .LBB1461_143
; %bb.134:
	v_cmp_lt_i64_e32 vcc, 4, v[0:1]
	s_and_saveexec_b64 s[2:3], vcc
	s_xor_b64 s[2:3], exec, s[2:3]
	;; [unrolled: 5-line block ×3, first 2 shown]
	s_cbranch_execz .LBB1461_137
; %bb.136:
	v_mov_b32_e32 v0, 0
	s_waitcnt lgkmcnt(0)
	global_store_dword v0, v2, s[10:11]
                                        ; implicit-def: $vgpr8_vgpr9
.LBB1461_137:
	s_andn2_saveexec_b64 s[4:5], s[4:5]
	s_cbranch_execz .LBB1461_139
; %bb.138:
	v_mov_b32_e32 v0, 0
	s_waitcnt lgkmcnt(0)
	global_store_dword v0, v9, s[10:11]
.LBB1461_139:
	s_or_b64 exec, exec, s[4:5]
                                        ; implicit-def: $vgpr8_vgpr9
.LBB1461_140:
	s_andn2_saveexec_b64 s[2:3], s[2:3]
	s_cbranch_execz .LBB1461_142
; %bb.141:
	v_mov_b32_e32 v0, 0
	s_waitcnt lgkmcnt(0)
	global_store_dword v0, v8, s[10:11]
.LBB1461_142:
	s_or_b64 exec, exec, s[2:3]
                                        ; implicit-def: $vgpr0_vgpr1
                                        ; implicit-def: $vgpr4_vgpr5
                                        ; implicit-def: $vgpr6_vgpr7
.LBB1461_143:
	s_andn2_saveexec_b64 s[0:1], s[0:1]
	s_cbranch_execz .LBB1461_155
; %bb.144:
	v_cmp_lt_i64_e32 vcc, 1, v[0:1]
	s_and_saveexec_b64 s[0:1], vcc
	s_xor_b64 s[0:1], exec, s[0:1]
	s_cbranch_execz .LBB1461_150
; %bb.145:
	v_cmp_lt_i64_e32 vcc, 2, v[0:1]
	s_and_saveexec_b64 s[2:3], vcc
	s_xor_b64 s[2:3], exec, s[2:3]
	s_cbranch_execz .LBB1461_147
; %bb.146:
	v_mov_b32_e32 v0, 0
	s_waitcnt lgkmcnt(0)
	global_store_dword v0, v7, s[10:11]
                                        ; implicit-def: $vgpr6_vgpr7
.LBB1461_147:
	s_andn2_saveexec_b64 s[2:3], s[2:3]
	s_cbranch_execz .LBB1461_149
; %bb.148:
	v_mov_b32_e32 v0, 0
	s_waitcnt lgkmcnt(0)
	global_store_dword v0, v6, s[10:11]
.LBB1461_149:
	s_or_b64 exec, exec, s[2:3]
                                        ; implicit-def: $vgpr4_vgpr5
                                        ; implicit-def: $vgpr0_vgpr1
.LBB1461_150:
	s_andn2_saveexec_b64 s[0:1], s[0:1]
	s_cbranch_execz .LBB1461_155
; %bb.151:
	v_cmp_ne_u64_e32 vcc, 1, v[0:1]
	s_and_saveexec_b64 s[0:1], vcc
	s_xor_b64 s[0:1], exec, s[0:1]
	s_cbranch_execz .LBB1461_153
; %bb.152:
	v_mov_b32_e32 v0, 0
	s_waitcnt lgkmcnt(0)
	global_store_dword v0, v4, s[10:11]
                                        ; implicit-def: $vgpr4_vgpr5
.LBB1461_153:
	s_andn2_saveexec_b64 s[0:1], s[0:1]
	s_cbranch_execz .LBB1461_155
; %bb.154:
	v_mov_b32_e32 v0, 0
	s_waitcnt lgkmcnt(0)
	global_store_dword v0, v5, s[10:11]
.LBB1461_155:
	s_endpgm
	.section	.rodata,"a",@progbits
	.p2align	6, 0x0
	.amdhsa_kernel _ZN7rocprim17ROCPRIM_400000_NS6detail17trampoline_kernelINS0_14default_configENS1_20scan_config_selectorIfEEZZNS1_9scan_implILNS1_25lookback_scan_determinismE0ELb0ELb0ES3_N6thrust23THRUST_200600_302600_NS6detail15normal_iteratorINS9_10device_ptrIfEEEENSB_INSC_IiEEEEfNS9_4plusIvEEfEEDaPvRmT3_T4_T5_mT6_P12ihipStream_tbENKUlT_T0_E_clISt17integral_constantIbLb1EESV_IbLb0EEEEDaSR_SS_EUlSR_E_NS1_11comp_targetILNS1_3genE4ELNS1_11target_archE910ELNS1_3gpuE8ELNS1_3repE0EEENS1_30default_config_static_selectorELNS0_4arch9wavefront6targetE1EEEvT1_
		.amdhsa_group_segment_fixed_size 7168
		.amdhsa_private_segment_fixed_size 0
		.amdhsa_kernarg_size 96
		.amdhsa_user_sgpr_count 6
		.amdhsa_user_sgpr_private_segment_buffer 1
		.amdhsa_user_sgpr_dispatch_ptr 0
		.amdhsa_user_sgpr_queue_ptr 0
		.amdhsa_user_sgpr_kernarg_segment_ptr 1
		.amdhsa_user_sgpr_dispatch_id 0
		.amdhsa_user_sgpr_flat_scratch_init 0
		.amdhsa_user_sgpr_kernarg_preload_length 0
		.amdhsa_user_sgpr_kernarg_preload_offset 0
		.amdhsa_user_sgpr_private_segment_size 0
		.amdhsa_uses_dynamic_stack 0
		.amdhsa_system_sgpr_private_segment_wavefront_offset 0
		.amdhsa_system_sgpr_workgroup_id_x 1
		.amdhsa_system_sgpr_workgroup_id_y 0
		.amdhsa_system_sgpr_workgroup_id_z 0
		.amdhsa_system_sgpr_workgroup_info 0
		.amdhsa_system_vgpr_workitem_id 0
		.amdhsa_next_free_vgpr 48
		.amdhsa_next_free_sgpr 30
		.amdhsa_accum_offset 48
		.amdhsa_reserve_vcc 1
		.amdhsa_reserve_flat_scratch 0
		.amdhsa_float_round_mode_32 0
		.amdhsa_float_round_mode_16_64 0
		.amdhsa_float_denorm_mode_32 3
		.amdhsa_float_denorm_mode_16_64 3
		.amdhsa_dx10_clamp 1
		.amdhsa_ieee_mode 1
		.amdhsa_fp16_overflow 0
		.amdhsa_tg_split 0
		.amdhsa_exception_fp_ieee_invalid_op 0
		.amdhsa_exception_fp_denorm_src 0
		.amdhsa_exception_fp_ieee_div_zero 0
		.amdhsa_exception_fp_ieee_overflow 0
		.amdhsa_exception_fp_ieee_underflow 0
		.amdhsa_exception_fp_ieee_inexact 0
		.amdhsa_exception_int_div_zero 0
	.end_amdhsa_kernel
	.section	.text._ZN7rocprim17ROCPRIM_400000_NS6detail17trampoline_kernelINS0_14default_configENS1_20scan_config_selectorIfEEZZNS1_9scan_implILNS1_25lookback_scan_determinismE0ELb0ELb0ES3_N6thrust23THRUST_200600_302600_NS6detail15normal_iteratorINS9_10device_ptrIfEEEENSB_INSC_IiEEEEfNS9_4plusIvEEfEEDaPvRmT3_T4_T5_mT6_P12ihipStream_tbENKUlT_T0_E_clISt17integral_constantIbLb1EESV_IbLb0EEEEDaSR_SS_EUlSR_E_NS1_11comp_targetILNS1_3genE4ELNS1_11target_archE910ELNS1_3gpuE8ELNS1_3repE0EEENS1_30default_config_static_selectorELNS0_4arch9wavefront6targetE1EEEvT1_,"axG",@progbits,_ZN7rocprim17ROCPRIM_400000_NS6detail17trampoline_kernelINS0_14default_configENS1_20scan_config_selectorIfEEZZNS1_9scan_implILNS1_25lookback_scan_determinismE0ELb0ELb0ES3_N6thrust23THRUST_200600_302600_NS6detail15normal_iteratorINS9_10device_ptrIfEEEENSB_INSC_IiEEEEfNS9_4plusIvEEfEEDaPvRmT3_T4_T5_mT6_P12ihipStream_tbENKUlT_T0_E_clISt17integral_constantIbLb1EESV_IbLb0EEEEDaSR_SS_EUlSR_E_NS1_11comp_targetILNS1_3genE4ELNS1_11target_archE910ELNS1_3gpuE8ELNS1_3repE0EEENS1_30default_config_static_selectorELNS0_4arch9wavefront6targetE1EEEvT1_,comdat
.Lfunc_end1461:
	.size	_ZN7rocprim17ROCPRIM_400000_NS6detail17trampoline_kernelINS0_14default_configENS1_20scan_config_selectorIfEEZZNS1_9scan_implILNS1_25lookback_scan_determinismE0ELb0ELb0ES3_N6thrust23THRUST_200600_302600_NS6detail15normal_iteratorINS9_10device_ptrIfEEEENSB_INSC_IiEEEEfNS9_4plusIvEEfEEDaPvRmT3_T4_T5_mT6_P12ihipStream_tbENKUlT_T0_E_clISt17integral_constantIbLb1EESV_IbLb0EEEEDaSR_SS_EUlSR_E_NS1_11comp_targetILNS1_3genE4ELNS1_11target_archE910ELNS1_3gpuE8ELNS1_3repE0EEENS1_30default_config_static_selectorELNS0_4arch9wavefront6targetE1EEEvT1_, .Lfunc_end1461-_ZN7rocprim17ROCPRIM_400000_NS6detail17trampoline_kernelINS0_14default_configENS1_20scan_config_selectorIfEEZZNS1_9scan_implILNS1_25lookback_scan_determinismE0ELb0ELb0ES3_N6thrust23THRUST_200600_302600_NS6detail15normal_iteratorINS9_10device_ptrIfEEEENSB_INSC_IiEEEEfNS9_4plusIvEEfEEDaPvRmT3_T4_T5_mT6_P12ihipStream_tbENKUlT_T0_E_clISt17integral_constantIbLb1EESV_IbLb0EEEEDaSR_SS_EUlSR_E_NS1_11comp_targetILNS1_3genE4ELNS1_11target_archE910ELNS1_3gpuE8ELNS1_3repE0EEENS1_30default_config_static_selectorELNS0_4arch9wavefront6targetE1EEEvT1_
                                        ; -- End function
	.section	.AMDGPU.csdata,"",@progbits
; Kernel info:
; codeLenInByte = 5896
; NumSgprs: 34
; NumVgprs: 48
; NumAgprs: 0
; TotalNumVgprs: 48
; ScratchSize: 0
; MemoryBound: 0
; FloatMode: 240
; IeeeMode: 1
; LDSByteSize: 7168 bytes/workgroup (compile time only)
; SGPRBlocks: 4
; VGPRBlocks: 5
; NumSGPRsForWavesPerEU: 34
; NumVGPRsForWavesPerEU: 48
; AccumOffset: 48
; Occupancy: 5
; WaveLimiterHint : 1
; COMPUTE_PGM_RSRC2:SCRATCH_EN: 0
; COMPUTE_PGM_RSRC2:USER_SGPR: 6
; COMPUTE_PGM_RSRC2:TRAP_HANDLER: 0
; COMPUTE_PGM_RSRC2:TGID_X_EN: 1
; COMPUTE_PGM_RSRC2:TGID_Y_EN: 0
; COMPUTE_PGM_RSRC2:TGID_Z_EN: 0
; COMPUTE_PGM_RSRC2:TIDIG_COMP_CNT: 0
; COMPUTE_PGM_RSRC3_GFX90A:ACCUM_OFFSET: 11
; COMPUTE_PGM_RSRC3_GFX90A:TG_SPLIT: 0
	.section	.text._ZN7rocprim17ROCPRIM_400000_NS6detail17trampoline_kernelINS0_14default_configENS1_20scan_config_selectorIfEEZZNS1_9scan_implILNS1_25lookback_scan_determinismE0ELb0ELb0ES3_N6thrust23THRUST_200600_302600_NS6detail15normal_iteratorINS9_10device_ptrIfEEEENSB_INSC_IiEEEEfNS9_4plusIvEEfEEDaPvRmT3_T4_T5_mT6_P12ihipStream_tbENKUlT_T0_E_clISt17integral_constantIbLb1EESV_IbLb0EEEEDaSR_SS_EUlSR_E_NS1_11comp_targetILNS1_3genE3ELNS1_11target_archE908ELNS1_3gpuE7ELNS1_3repE0EEENS1_30default_config_static_selectorELNS0_4arch9wavefront6targetE1EEEvT1_,"axG",@progbits,_ZN7rocprim17ROCPRIM_400000_NS6detail17trampoline_kernelINS0_14default_configENS1_20scan_config_selectorIfEEZZNS1_9scan_implILNS1_25lookback_scan_determinismE0ELb0ELb0ES3_N6thrust23THRUST_200600_302600_NS6detail15normal_iteratorINS9_10device_ptrIfEEEENSB_INSC_IiEEEEfNS9_4plusIvEEfEEDaPvRmT3_T4_T5_mT6_P12ihipStream_tbENKUlT_T0_E_clISt17integral_constantIbLb1EESV_IbLb0EEEEDaSR_SS_EUlSR_E_NS1_11comp_targetILNS1_3genE3ELNS1_11target_archE908ELNS1_3gpuE7ELNS1_3repE0EEENS1_30default_config_static_selectorELNS0_4arch9wavefront6targetE1EEEvT1_,comdat
	.protected	_ZN7rocprim17ROCPRIM_400000_NS6detail17trampoline_kernelINS0_14default_configENS1_20scan_config_selectorIfEEZZNS1_9scan_implILNS1_25lookback_scan_determinismE0ELb0ELb0ES3_N6thrust23THRUST_200600_302600_NS6detail15normal_iteratorINS9_10device_ptrIfEEEENSB_INSC_IiEEEEfNS9_4plusIvEEfEEDaPvRmT3_T4_T5_mT6_P12ihipStream_tbENKUlT_T0_E_clISt17integral_constantIbLb1EESV_IbLb0EEEEDaSR_SS_EUlSR_E_NS1_11comp_targetILNS1_3genE3ELNS1_11target_archE908ELNS1_3gpuE7ELNS1_3repE0EEENS1_30default_config_static_selectorELNS0_4arch9wavefront6targetE1EEEvT1_ ; -- Begin function _ZN7rocprim17ROCPRIM_400000_NS6detail17trampoline_kernelINS0_14default_configENS1_20scan_config_selectorIfEEZZNS1_9scan_implILNS1_25lookback_scan_determinismE0ELb0ELb0ES3_N6thrust23THRUST_200600_302600_NS6detail15normal_iteratorINS9_10device_ptrIfEEEENSB_INSC_IiEEEEfNS9_4plusIvEEfEEDaPvRmT3_T4_T5_mT6_P12ihipStream_tbENKUlT_T0_E_clISt17integral_constantIbLb1EESV_IbLb0EEEEDaSR_SS_EUlSR_E_NS1_11comp_targetILNS1_3genE3ELNS1_11target_archE908ELNS1_3gpuE7ELNS1_3repE0EEENS1_30default_config_static_selectorELNS0_4arch9wavefront6targetE1EEEvT1_
	.globl	_ZN7rocprim17ROCPRIM_400000_NS6detail17trampoline_kernelINS0_14default_configENS1_20scan_config_selectorIfEEZZNS1_9scan_implILNS1_25lookback_scan_determinismE0ELb0ELb0ES3_N6thrust23THRUST_200600_302600_NS6detail15normal_iteratorINS9_10device_ptrIfEEEENSB_INSC_IiEEEEfNS9_4plusIvEEfEEDaPvRmT3_T4_T5_mT6_P12ihipStream_tbENKUlT_T0_E_clISt17integral_constantIbLb1EESV_IbLb0EEEEDaSR_SS_EUlSR_E_NS1_11comp_targetILNS1_3genE3ELNS1_11target_archE908ELNS1_3gpuE7ELNS1_3repE0EEENS1_30default_config_static_selectorELNS0_4arch9wavefront6targetE1EEEvT1_
	.p2align	8
	.type	_ZN7rocprim17ROCPRIM_400000_NS6detail17trampoline_kernelINS0_14default_configENS1_20scan_config_selectorIfEEZZNS1_9scan_implILNS1_25lookback_scan_determinismE0ELb0ELb0ES3_N6thrust23THRUST_200600_302600_NS6detail15normal_iteratorINS9_10device_ptrIfEEEENSB_INSC_IiEEEEfNS9_4plusIvEEfEEDaPvRmT3_T4_T5_mT6_P12ihipStream_tbENKUlT_T0_E_clISt17integral_constantIbLb1EESV_IbLb0EEEEDaSR_SS_EUlSR_E_NS1_11comp_targetILNS1_3genE3ELNS1_11target_archE908ELNS1_3gpuE7ELNS1_3repE0EEENS1_30default_config_static_selectorELNS0_4arch9wavefront6targetE1EEEvT1_,@function
_ZN7rocprim17ROCPRIM_400000_NS6detail17trampoline_kernelINS0_14default_configENS1_20scan_config_selectorIfEEZZNS1_9scan_implILNS1_25lookback_scan_determinismE0ELb0ELb0ES3_N6thrust23THRUST_200600_302600_NS6detail15normal_iteratorINS9_10device_ptrIfEEEENSB_INSC_IiEEEEfNS9_4plusIvEEfEEDaPvRmT3_T4_T5_mT6_P12ihipStream_tbENKUlT_T0_E_clISt17integral_constantIbLb1EESV_IbLb0EEEEDaSR_SS_EUlSR_E_NS1_11comp_targetILNS1_3genE3ELNS1_11target_archE908ELNS1_3gpuE7ELNS1_3repE0EEENS1_30default_config_static_selectorELNS0_4arch9wavefront6targetE1EEEvT1_: ; @_ZN7rocprim17ROCPRIM_400000_NS6detail17trampoline_kernelINS0_14default_configENS1_20scan_config_selectorIfEEZZNS1_9scan_implILNS1_25lookback_scan_determinismE0ELb0ELb0ES3_N6thrust23THRUST_200600_302600_NS6detail15normal_iteratorINS9_10device_ptrIfEEEENSB_INSC_IiEEEEfNS9_4plusIvEEfEEDaPvRmT3_T4_T5_mT6_P12ihipStream_tbENKUlT_T0_E_clISt17integral_constantIbLb1EESV_IbLb0EEEEDaSR_SS_EUlSR_E_NS1_11comp_targetILNS1_3genE3ELNS1_11target_archE908ELNS1_3gpuE7ELNS1_3repE0EEENS1_30default_config_static_selectorELNS0_4arch9wavefront6targetE1EEEvT1_
; %bb.0:
	.section	.rodata,"a",@progbits
	.p2align	6, 0x0
	.amdhsa_kernel _ZN7rocprim17ROCPRIM_400000_NS6detail17trampoline_kernelINS0_14default_configENS1_20scan_config_selectorIfEEZZNS1_9scan_implILNS1_25lookback_scan_determinismE0ELb0ELb0ES3_N6thrust23THRUST_200600_302600_NS6detail15normal_iteratorINS9_10device_ptrIfEEEENSB_INSC_IiEEEEfNS9_4plusIvEEfEEDaPvRmT3_T4_T5_mT6_P12ihipStream_tbENKUlT_T0_E_clISt17integral_constantIbLb1EESV_IbLb0EEEEDaSR_SS_EUlSR_E_NS1_11comp_targetILNS1_3genE3ELNS1_11target_archE908ELNS1_3gpuE7ELNS1_3repE0EEENS1_30default_config_static_selectorELNS0_4arch9wavefront6targetE1EEEvT1_
		.amdhsa_group_segment_fixed_size 0
		.amdhsa_private_segment_fixed_size 0
		.amdhsa_kernarg_size 96
		.amdhsa_user_sgpr_count 6
		.amdhsa_user_sgpr_private_segment_buffer 1
		.amdhsa_user_sgpr_dispatch_ptr 0
		.amdhsa_user_sgpr_queue_ptr 0
		.amdhsa_user_sgpr_kernarg_segment_ptr 1
		.amdhsa_user_sgpr_dispatch_id 0
		.amdhsa_user_sgpr_flat_scratch_init 0
		.amdhsa_user_sgpr_kernarg_preload_length 0
		.amdhsa_user_sgpr_kernarg_preload_offset 0
		.amdhsa_user_sgpr_private_segment_size 0
		.amdhsa_uses_dynamic_stack 0
		.amdhsa_system_sgpr_private_segment_wavefront_offset 0
		.amdhsa_system_sgpr_workgroup_id_x 1
		.amdhsa_system_sgpr_workgroup_id_y 0
		.amdhsa_system_sgpr_workgroup_id_z 0
		.amdhsa_system_sgpr_workgroup_info 0
		.amdhsa_system_vgpr_workitem_id 0
		.amdhsa_next_free_vgpr 1
		.amdhsa_next_free_sgpr 0
		.amdhsa_accum_offset 4
		.amdhsa_reserve_vcc 0
		.amdhsa_reserve_flat_scratch 0
		.amdhsa_float_round_mode_32 0
		.amdhsa_float_round_mode_16_64 0
		.amdhsa_float_denorm_mode_32 3
		.amdhsa_float_denorm_mode_16_64 3
		.amdhsa_dx10_clamp 1
		.amdhsa_ieee_mode 1
		.amdhsa_fp16_overflow 0
		.amdhsa_tg_split 0
		.amdhsa_exception_fp_ieee_invalid_op 0
		.amdhsa_exception_fp_denorm_src 0
		.amdhsa_exception_fp_ieee_div_zero 0
		.amdhsa_exception_fp_ieee_overflow 0
		.amdhsa_exception_fp_ieee_underflow 0
		.amdhsa_exception_fp_ieee_inexact 0
		.amdhsa_exception_int_div_zero 0
	.end_amdhsa_kernel
	.section	.text._ZN7rocprim17ROCPRIM_400000_NS6detail17trampoline_kernelINS0_14default_configENS1_20scan_config_selectorIfEEZZNS1_9scan_implILNS1_25lookback_scan_determinismE0ELb0ELb0ES3_N6thrust23THRUST_200600_302600_NS6detail15normal_iteratorINS9_10device_ptrIfEEEENSB_INSC_IiEEEEfNS9_4plusIvEEfEEDaPvRmT3_T4_T5_mT6_P12ihipStream_tbENKUlT_T0_E_clISt17integral_constantIbLb1EESV_IbLb0EEEEDaSR_SS_EUlSR_E_NS1_11comp_targetILNS1_3genE3ELNS1_11target_archE908ELNS1_3gpuE7ELNS1_3repE0EEENS1_30default_config_static_selectorELNS0_4arch9wavefront6targetE1EEEvT1_,"axG",@progbits,_ZN7rocprim17ROCPRIM_400000_NS6detail17trampoline_kernelINS0_14default_configENS1_20scan_config_selectorIfEEZZNS1_9scan_implILNS1_25lookback_scan_determinismE0ELb0ELb0ES3_N6thrust23THRUST_200600_302600_NS6detail15normal_iteratorINS9_10device_ptrIfEEEENSB_INSC_IiEEEEfNS9_4plusIvEEfEEDaPvRmT3_T4_T5_mT6_P12ihipStream_tbENKUlT_T0_E_clISt17integral_constantIbLb1EESV_IbLb0EEEEDaSR_SS_EUlSR_E_NS1_11comp_targetILNS1_3genE3ELNS1_11target_archE908ELNS1_3gpuE7ELNS1_3repE0EEENS1_30default_config_static_selectorELNS0_4arch9wavefront6targetE1EEEvT1_,comdat
.Lfunc_end1462:
	.size	_ZN7rocprim17ROCPRIM_400000_NS6detail17trampoline_kernelINS0_14default_configENS1_20scan_config_selectorIfEEZZNS1_9scan_implILNS1_25lookback_scan_determinismE0ELb0ELb0ES3_N6thrust23THRUST_200600_302600_NS6detail15normal_iteratorINS9_10device_ptrIfEEEENSB_INSC_IiEEEEfNS9_4plusIvEEfEEDaPvRmT3_T4_T5_mT6_P12ihipStream_tbENKUlT_T0_E_clISt17integral_constantIbLb1EESV_IbLb0EEEEDaSR_SS_EUlSR_E_NS1_11comp_targetILNS1_3genE3ELNS1_11target_archE908ELNS1_3gpuE7ELNS1_3repE0EEENS1_30default_config_static_selectorELNS0_4arch9wavefront6targetE1EEEvT1_, .Lfunc_end1462-_ZN7rocprim17ROCPRIM_400000_NS6detail17trampoline_kernelINS0_14default_configENS1_20scan_config_selectorIfEEZZNS1_9scan_implILNS1_25lookback_scan_determinismE0ELb0ELb0ES3_N6thrust23THRUST_200600_302600_NS6detail15normal_iteratorINS9_10device_ptrIfEEEENSB_INSC_IiEEEEfNS9_4plusIvEEfEEDaPvRmT3_T4_T5_mT6_P12ihipStream_tbENKUlT_T0_E_clISt17integral_constantIbLb1EESV_IbLb0EEEEDaSR_SS_EUlSR_E_NS1_11comp_targetILNS1_3genE3ELNS1_11target_archE908ELNS1_3gpuE7ELNS1_3repE0EEENS1_30default_config_static_selectorELNS0_4arch9wavefront6targetE1EEEvT1_
                                        ; -- End function
	.section	.AMDGPU.csdata,"",@progbits
; Kernel info:
; codeLenInByte = 0
; NumSgprs: 4
; NumVgprs: 0
; NumAgprs: 0
; TotalNumVgprs: 0
; ScratchSize: 0
; MemoryBound: 0
; FloatMode: 240
; IeeeMode: 1
; LDSByteSize: 0 bytes/workgroup (compile time only)
; SGPRBlocks: 0
; VGPRBlocks: 0
; NumSGPRsForWavesPerEU: 4
; NumVGPRsForWavesPerEU: 1
; AccumOffset: 4
; Occupancy: 8
; WaveLimiterHint : 0
; COMPUTE_PGM_RSRC2:SCRATCH_EN: 0
; COMPUTE_PGM_RSRC2:USER_SGPR: 6
; COMPUTE_PGM_RSRC2:TRAP_HANDLER: 0
; COMPUTE_PGM_RSRC2:TGID_X_EN: 1
; COMPUTE_PGM_RSRC2:TGID_Y_EN: 0
; COMPUTE_PGM_RSRC2:TGID_Z_EN: 0
; COMPUTE_PGM_RSRC2:TIDIG_COMP_CNT: 0
; COMPUTE_PGM_RSRC3_GFX90A:ACCUM_OFFSET: 0
; COMPUTE_PGM_RSRC3_GFX90A:TG_SPLIT: 0
	.section	.text._ZN7rocprim17ROCPRIM_400000_NS6detail17trampoline_kernelINS0_14default_configENS1_20scan_config_selectorIfEEZZNS1_9scan_implILNS1_25lookback_scan_determinismE0ELb0ELb0ES3_N6thrust23THRUST_200600_302600_NS6detail15normal_iteratorINS9_10device_ptrIfEEEENSB_INSC_IiEEEEfNS9_4plusIvEEfEEDaPvRmT3_T4_T5_mT6_P12ihipStream_tbENKUlT_T0_E_clISt17integral_constantIbLb1EESV_IbLb0EEEEDaSR_SS_EUlSR_E_NS1_11comp_targetILNS1_3genE2ELNS1_11target_archE906ELNS1_3gpuE6ELNS1_3repE0EEENS1_30default_config_static_selectorELNS0_4arch9wavefront6targetE1EEEvT1_,"axG",@progbits,_ZN7rocprim17ROCPRIM_400000_NS6detail17trampoline_kernelINS0_14default_configENS1_20scan_config_selectorIfEEZZNS1_9scan_implILNS1_25lookback_scan_determinismE0ELb0ELb0ES3_N6thrust23THRUST_200600_302600_NS6detail15normal_iteratorINS9_10device_ptrIfEEEENSB_INSC_IiEEEEfNS9_4plusIvEEfEEDaPvRmT3_T4_T5_mT6_P12ihipStream_tbENKUlT_T0_E_clISt17integral_constantIbLb1EESV_IbLb0EEEEDaSR_SS_EUlSR_E_NS1_11comp_targetILNS1_3genE2ELNS1_11target_archE906ELNS1_3gpuE6ELNS1_3repE0EEENS1_30default_config_static_selectorELNS0_4arch9wavefront6targetE1EEEvT1_,comdat
	.protected	_ZN7rocprim17ROCPRIM_400000_NS6detail17trampoline_kernelINS0_14default_configENS1_20scan_config_selectorIfEEZZNS1_9scan_implILNS1_25lookback_scan_determinismE0ELb0ELb0ES3_N6thrust23THRUST_200600_302600_NS6detail15normal_iteratorINS9_10device_ptrIfEEEENSB_INSC_IiEEEEfNS9_4plusIvEEfEEDaPvRmT3_T4_T5_mT6_P12ihipStream_tbENKUlT_T0_E_clISt17integral_constantIbLb1EESV_IbLb0EEEEDaSR_SS_EUlSR_E_NS1_11comp_targetILNS1_3genE2ELNS1_11target_archE906ELNS1_3gpuE6ELNS1_3repE0EEENS1_30default_config_static_selectorELNS0_4arch9wavefront6targetE1EEEvT1_ ; -- Begin function _ZN7rocprim17ROCPRIM_400000_NS6detail17trampoline_kernelINS0_14default_configENS1_20scan_config_selectorIfEEZZNS1_9scan_implILNS1_25lookback_scan_determinismE0ELb0ELb0ES3_N6thrust23THRUST_200600_302600_NS6detail15normal_iteratorINS9_10device_ptrIfEEEENSB_INSC_IiEEEEfNS9_4plusIvEEfEEDaPvRmT3_T4_T5_mT6_P12ihipStream_tbENKUlT_T0_E_clISt17integral_constantIbLb1EESV_IbLb0EEEEDaSR_SS_EUlSR_E_NS1_11comp_targetILNS1_3genE2ELNS1_11target_archE906ELNS1_3gpuE6ELNS1_3repE0EEENS1_30default_config_static_selectorELNS0_4arch9wavefront6targetE1EEEvT1_
	.globl	_ZN7rocprim17ROCPRIM_400000_NS6detail17trampoline_kernelINS0_14default_configENS1_20scan_config_selectorIfEEZZNS1_9scan_implILNS1_25lookback_scan_determinismE0ELb0ELb0ES3_N6thrust23THRUST_200600_302600_NS6detail15normal_iteratorINS9_10device_ptrIfEEEENSB_INSC_IiEEEEfNS9_4plusIvEEfEEDaPvRmT3_T4_T5_mT6_P12ihipStream_tbENKUlT_T0_E_clISt17integral_constantIbLb1EESV_IbLb0EEEEDaSR_SS_EUlSR_E_NS1_11comp_targetILNS1_3genE2ELNS1_11target_archE906ELNS1_3gpuE6ELNS1_3repE0EEENS1_30default_config_static_selectorELNS0_4arch9wavefront6targetE1EEEvT1_
	.p2align	8
	.type	_ZN7rocprim17ROCPRIM_400000_NS6detail17trampoline_kernelINS0_14default_configENS1_20scan_config_selectorIfEEZZNS1_9scan_implILNS1_25lookback_scan_determinismE0ELb0ELb0ES3_N6thrust23THRUST_200600_302600_NS6detail15normal_iteratorINS9_10device_ptrIfEEEENSB_INSC_IiEEEEfNS9_4plusIvEEfEEDaPvRmT3_T4_T5_mT6_P12ihipStream_tbENKUlT_T0_E_clISt17integral_constantIbLb1EESV_IbLb0EEEEDaSR_SS_EUlSR_E_NS1_11comp_targetILNS1_3genE2ELNS1_11target_archE906ELNS1_3gpuE6ELNS1_3repE0EEENS1_30default_config_static_selectorELNS0_4arch9wavefront6targetE1EEEvT1_,@function
_ZN7rocprim17ROCPRIM_400000_NS6detail17trampoline_kernelINS0_14default_configENS1_20scan_config_selectorIfEEZZNS1_9scan_implILNS1_25lookback_scan_determinismE0ELb0ELb0ES3_N6thrust23THRUST_200600_302600_NS6detail15normal_iteratorINS9_10device_ptrIfEEEENSB_INSC_IiEEEEfNS9_4plusIvEEfEEDaPvRmT3_T4_T5_mT6_P12ihipStream_tbENKUlT_T0_E_clISt17integral_constantIbLb1EESV_IbLb0EEEEDaSR_SS_EUlSR_E_NS1_11comp_targetILNS1_3genE2ELNS1_11target_archE906ELNS1_3gpuE6ELNS1_3repE0EEENS1_30default_config_static_selectorELNS0_4arch9wavefront6targetE1EEEvT1_: ; @_ZN7rocprim17ROCPRIM_400000_NS6detail17trampoline_kernelINS0_14default_configENS1_20scan_config_selectorIfEEZZNS1_9scan_implILNS1_25lookback_scan_determinismE0ELb0ELb0ES3_N6thrust23THRUST_200600_302600_NS6detail15normal_iteratorINS9_10device_ptrIfEEEENSB_INSC_IiEEEEfNS9_4plusIvEEfEEDaPvRmT3_T4_T5_mT6_P12ihipStream_tbENKUlT_T0_E_clISt17integral_constantIbLb1EESV_IbLb0EEEEDaSR_SS_EUlSR_E_NS1_11comp_targetILNS1_3genE2ELNS1_11target_archE906ELNS1_3gpuE6ELNS1_3repE0EEENS1_30default_config_static_selectorELNS0_4arch9wavefront6targetE1EEEvT1_
; %bb.0:
	.section	.rodata,"a",@progbits
	.p2align	6, 0x0
	.amdhsa_kernel _ZN7rocprim17ROCPRIM_400000_NS6detail17trampoline_kernelINS0_14default_configENS1_20scan_config_selectorIfEEZZNS1_9scan_implILNS1_25lookback_scan_determinismE0ELb0ELb0ES3_N6thrust23THRUST_200600_302600_NS6detail15normal_iteratorINS9_10device_ptrIfEEEENSB_INSC_IiEEEEfNS9_4plusIvEEfEEDaPvRmT3_T4_T5_mT6_P12ihipStream_tbENKUlT_T0_E_clISt17integral_constantIbLb1EESV_IbLb0EEEEDaSR_SS_EUlSR_E_NS1_11comp_targetILNS1_3genE2ELNS1_11target_archE906ELNS1_3gpuE6ELNS1_3repE0EEENS1_30default_config_static_selectorELNS0_4arch9wavefront6targetE1EEEvT1_
		.amdhsa_group_segment_fixed_size 0
		.amdhsa_private_segment_fixed_size 0
		.amdhsa_kernarg_size 96
		.amdhsa_user_sgpr_count 6
		.amdhsa_user_sgpr_private_segment_buffer 1
		.amdhsa_user_sgpr_dispatch_ptr 0
		.amdhsa_user_sgpr_queue_ptr 0
		.amdhsa_user_sgpr_kernarg_segment_ptr 1
		.amdhsa_user_sgpr_dispatch_id 0
		.amdhsa_user_sgpr_flat_scratch_init 0
		.amdhsa_user_sgpr_kernarg_preload_length 0
		.amdhsa_user_sgpr_kernarg_preload_offset 0
		.amdhsa_user_sgpr_private_segment_size 0
		.amdhsa_uses_dynamic_stack 0
		.amdhsa_system_sgpr_private_segment_wavefront_offset 0
		.amdhsa_system_sgpr_workgroup_id_x 1
		.amdhsa_system_sgpr_workgroup_id_y 0
		.amdhsa_system_sgpr_workgroup_id_z 0
		.amdhsa_system_sgpr_workgroup_info 0
		.amdhsa_system_vgpr_workitem_id 0
		.amdhsa_next_free_vgpr 1
		.amdhsa_next_free_sgpr 0
		.amdhsa_accum_offset 4
		.amdhsa_reserve_vcc 0
		.amdhsa_reserve_flat_scratch 0
		.amdhsa_float_round_mode_32 0
		.amdhsa_float_round_mode_16_64 0
		.amdhsa_float_denorm_mode_32 3
		.amdhsa_float_denorm_mode_16_64 3
		.amdhsa_dx10_clamp 1
		.amdhsa_ieee_mode 1
		.amdhsa_fp16_overflow 0
		.amdhsa_tg_split 0
		.amdhsa_exception_fp_ieee_invalid_op 0
		.amdhsa_exception_fp_denorm_src 0
		.amdhsa_exception_fp_ieee_div_zero 0
		.amdhsa_exception_fp_ieee_overflow 0
		.amdhsa_exception_fp_ieee_underflow 0
		.amdhsa_exception_fp_ieee_inexact 0
		.amdhsa_exception_int_div_zero 0
	.end_amdhsa_kernel
	.section	.text._ZN7rocprim17ROCPRIM_400000_NS6detail17trampoline_kernelINS0_14default_configENS1_20scan_config_selectorIfEEZZNS1_9scan_implILNS1_25lookback_scan_determinismE0ELb0ELb0ES3_N6thrust23THRUST_200600_302600_NS6detail15normal_iteratorINS9_10device_ptrIfEEEENSB_INSC_IiEEEEfNS9_4plusIvEEfEEDaPvRmT3_T4_T5_mT6_P12ihipStream_tbENKUlT_T0_E_clISt17integral_constantIbLb1EESV_IbLb0EEEEDaSR_SS_EUlSR_E_NS1_11comp_targetILNS1_3genE2ELNS1_11target_archE906ELNS1_3gpuE6ELNS1_3repE0EEENS1_30default_config_static_selectorELNS0_4arch9wavefront6targetE1EEEvT1_,"axG",@progbits,_ZN7rocprim17ROCPRIM_400000_NS6detail17trampoline_kernelINS0_14default_configENS1_20scan_config_selectorIfEEZZNS1_9scan_implILNS1_25lookback_scan_determinismE0ELb0ELb0ES3_N6thrust23THRUST_200600_302600_NS6detail15normal_iteratorINS9_10device_ptrIfEEEENSB_INSC_IiEEEEfNS9_4plusIvEEfEEDaPvRmT3_T4_T5_mT6_P12ihipStream_tbENKUlT_T0_E_clISt17integral_constantIbLb1EESV_IbLb0EEEEDaSR_SS_EUlSR_E_NS1_11comp_targetILNS1_3genE2ELNS1_11target_archE906ELNS1_3gpuE6ELNS1_3repE0EEENS1_30default_config_static_selectorELNS0_4arch9wavefront6targetE1EEEvT1_,comdat
.Lfunc_end1463:
	.size	_ZN7rocprim17ROCPRIM_400000_NS6detail17trampoline_kernelINS0_14default_configENS1_20scan_config_selectorIfEEZZNS1_9scan_implILNS1_25lookback_scan_determinismE0ELb0ELb0ES3_N6thrust23THRUST_200600_302600_NS6detail15normal_iteratorINS9_10device_ptrIfEEEENSB_INSC_IiEEEEfNS9_4plusIvEEfEEDaPvRmT3_T4_T5_mT6_P12ihipStream_tbENKUlT_T0_E_clISt17integral_constantIbLb1EESV_IbLb0EEEEDaSR_SS_EUlSR_E_NS1_11comp_targetILNS1_3genE2ELNS1_11target_archE906ELNS1_3gpuE6ELNS1_3repE0EEENS1_30default_config_static_selectorELNS0_4arch9wavefront6targetE1EEEvT1_, .Lfunc_end1463-_ZN7rocprim17ROCPRIM_400000_NS6detail17trampoline_kernelINS0_14default_configENS1_20scan_config_selectorIfEEZZNS1_9scan_implILNS1_25lookback_scan_determinismE0ELb0ELb0ES3_N6thrust23THRUST_200600_302600_NS6detail15normal_iteratorINS9_10device_ptrIfEEEENSB_INSC_IiEEEEfNS9_4plusIvEEfEEDaPvRmT3_T4_T5_mT6_P12ihipStream_tbENKUlT_T0_E_clISt17integral_constantIbLb1EESV_IbLb0EEEEDaSR_SS_EUlSR_E_NS1_11comp_targetILNS1_3genE2ELNS1_11target_archE906ELNS1_3gpuE6ELNS1_3repE0EEENS1_30default_config_static_selectorELNS0_4arch9wavefront6targetE1EEEvT1_
                                        ; -- End function
	.section	.AMDGPU.csdata,"",@progbits
; Kernel info:
; codeLenInByte = 0
; NumSgprs: 4
; NumVgprs: 0
; NumAgprs: 0
; TotalNumVgprs: 0
; ScratchSize: 0
; MemoryBound: 0
; FloatMode: 240
; IeeeMode: 1
; LDSByteSize: 0 bytes/workgroup (compile time only)
; SGPRBlocks: 0
; VGPRBlocks: 0
; NumSGPRsForWavesPerEU: 4
; NumVGPRsForWavesPerEU: 1
; AccumOffset: 4
; Occupancy: 8
; WaveLimiterHint : 0
; COMPUTE_PGM_RSRC2:SCRATCH_EN: 0
; COMPUTE_PGM_RSRC2:USER_SGPR: 6
; COMPUTE_PGM_RSRC2:TRAP_HANDLER: 0
; COMPUTE_PGM_RSRC2:TGID_X_EN: 1
; COMPUTE_PGM_RSRC2:TGID_Y_EN: 0
; COMPUTE_PGM_RSRC2:TGID_Z_EN: 0
; COMPUTE_PGM_RSRC2:TIDIG_COMP_CNT: 0
; COMPUTE_PGM_RSRC3_GFX90A:ACCUM_OFFSET: 0
; COMPUTE_PGM_RSRC3_GFX90A:TG_SPLIT: 0
	.section	.text._ZN7rocprim17ROCPRIM_400000_NS6detail17trampoline_kernelINS0_14default_configENS1_20scan_config_selectorIfEEZZNS1_9scan_implILNS1_25lookback_scan_determinismE0ELb0ELb0ES3_N6thrust23THRUST_200600_302600_NS6detail15normal_iteratorINS9_10device_ptrIfEEEENSB_INSC_IiEEEEfNS9_4plusIvEEfEEDaPvRmT3_T4_T5_mT6_P12ihipStream_tbENKUlT_T0_E_clISt17integral_constantIbLb1EESV_IbLb0EEEEDaSR_SS_EUlSR_E_NS1_11comp_targetILNS1_3genE10ELNS1_11target_archE1201ELNS1_3gpuE5ELNS1_3repE0EEENS1_30default_config_static_selectorELNS0_4arch9wavefront6targetE1EEEvT1_,"axG",@progbits,_ZN7rocprim17ROCPRIM_400000_NS6detail17trampoline_kernelINS0_14default_configENS1_20scan_config_selectorIfEEZZNS1_9scan_implILNS1_25lookback_scan_determinismE0ELb0ELb0ES3_N6thrust23THRUST_200600_302600_NS6detail15normal_iteratorINS9_10device_ptrIfEEEENSB_INSC_IiEEEEfNS9_4plusIvEEfEEDaPvRmT3_T4_T5_mT6_P12ihipStream_tbENKUlT_T0_E_clISt17integral_constantIbLb1EESV_IbLb0EEEEDaSR_SS_EUlSR_E_NS1_11comp_targetILNS1_3genE10ELNS1_11target_archE1201ELNS1_3gpuE5ELNS1_3repE0EEENS1_30default_config_static_selectorELNS0_4arch9wavefront6targetE1EEEvT1_,comdat
	.protected	_ZN7rocprim17ROCPRIM_400000_NS6detail17trampoline_kernelINS0_14default_configENS1_20scan_config_selectorIfEEZZNS1_9scan_implILNS1_25lookback_scan_determinismE0ELb0ELb0ES3_N6thrust23THRUST_200600_302600_NS6detail15normal_iteratorINS9_10device_ptrIfEEEENSB_INSC_IiEEEEfNS9_4plusIvEEfEEDaPvRmT3_T4_T5_mT6_P12ihipStream_tbENKUlT_T0_E_clISt17integral_constantIbLb1EESV_IbLb0EEEEDaSR_SS_EUlSR_E_NS1_11comp_targetILNS1_3genE10ELNS1_11target_archE1201ELNS1_3gpuE5ELNS1_3repE0EEENS1_30default_config_static_selectorELNS0_4arch9wavefront6targetE1EEEvT1_ ; -- Begin function _ZN7rocprim17ROCPRIM_400000_NS6detail17trampoline_kernelINS0_14default_configENS1_20scan_config_selectorIfEEZZNS1_9scan_implILNS1_25lookback_scan_determinismE0ELb0ELb0ES3_N6thrust23THRUST_200600_302600_NS6detail15normal_iteratorINS9_10device_ptrIfEEEENSB_INSC_IiEEEEfNS9_4plusIvEEfEEDaPvRmT3_T4_T5_mT6_P12ihipStream_tbENKUlT_T0_E_clISt17integral_constantIbLb1EESV_IbLb0EEEEDaSR_SS_EUlSR_E_NS1_11comp_targetILNS1_3genE10ELNS1_11target_archE1201ELNS1_3gpuE5ELNS1_3repE0EEENS1_30default_config_static_selectorELNS0_4arch9wavefront6targetE1EEEvT1_
	.globl	_ZN7rocprim17ROCPRIM_400000_NS6detail17trampoline_kernelINS0_14default_configENS1_20scan_config_selectorIfEEZZNS1_9scan_implILNS1_25lookback_scan_determinismE0ELb0ELb0ES3_N6thrust23THRUST_200600_302600_NS6detail15normal_iteratorINS9_10device_ptrIfEEEENSB_INSC_IiEEEEfNS9_4plusIvEEfEEDaPvRmT3_T4_T5_mT6_P12ihipStream_tbENKUlT_T0_E_clISt17integral_constantIbLb1EESV_IbLb0EEEEDaSR_SS_EUlSR_E_NS1_11comp_targetILNS1_3genE10ELNS1_11target_archE1201ELNS1_3gpuE5ELNS1_3repE0EEENS1_30default_config_static_selectorELNS0_4arch9wavefront6targetE1EEEvT1_
	.p2align	8
	.type	_ZN7rocprim17ROCPRIM_400000_NS6detail17trampoline_kernelINS0_14default_configENS1_20scan_config_selectorIfEEZZNS1_9scan_implILNS1_25lookback_scan_determinismE0ELb0ELb0ES3_N6thrust23THRUST_200600_302600_NS6detail15normal_iteratorINS9_10device_ptrIfEEEENSB_INSC_IiEEEEfNS9_4plusIvEEfEEDaPvRmT3_T4_T5_mT6_P12ihipStream_tbENKUlT_T0_E_clISt17integral_constantIbLb1EESV_IbLb0EEEEDaSR_SS_EUlSR_E_NS1_11comp_targetILNS1_3genE10ELNS1_11target_archE1201ELNS1_3gpuE5ELNS1_3repE0EEENS1_30default_config_static_selectorELNS0_4arch9wavefront6targetE1EEEvT1_,@function
_ZN7rocprim17ROCPRIM_400000_NS6detail17trampoline_kernelINS0_14default_configENS1_20scan_config_selectorIfEEZZNS1_9scan_implILNS1_25lookback_scan_determinismE0ELb0ELb0ES3_N6thrust23THRUST_200600_302600_NS6detail15normal_iteratorINS9_10device_ptrIfEEEENSB_INSC_IiEEEEfNS9_4plusIvEEfEEDaPvRmT3_T4_T5_mT6_P12ihipStream_tbENKUlT_T0_E_clISt17integral_constantIbLb1EESV_IbLb0EEEEDaSR_SS_EUlSR_E_NS1_11comp_targetILNS1_3genE10ELNS1_11target_archE1201ELNS1_3gpuE5ELNS1_3repE0EEENS1_30default_config_static_selectorELNS0_4arch9wavefront6targetE1EEEvT1_: ; @_ZN7rocprim17ROCPRIM_400000_NS6detail17trampoline_kernelINS0_14default_configENS1_20scan_config_selectorIfEEZZNS1_9scan_implILNS1_25lookback_scan_determinismE0ELb0ELb0ES3_N6thrust23THRUST_200600_302600_NS6detail15normal_iteratorINS9_10device_ptrIfEEEENSB_INSC_IiEEEEfNS9_4plusIvEEfEEDaPvRmT3_T4_T5_mT6_P12ihipStream_tbENKUlT_T0_E_clISt17integral_constantIbLb1EESV_IbLb0EEEEDaSR_SS_EUlSR_E_NS1_11comp_targetILNS1_3genE10ELNS1_11target_archE1201ELNS1_3gpuE5ELNS1_3repE0EEENS1_30default_config_static_selectorELNS0_4arch9wavefront6targetE1EEEvT1_
; %bb.0:
	.section	.rodata,"a",@progbits
	.p2align	6, 0x0
	.amdhsa_kernel _ZN7rocprim17ROCPRIM_400000_NS6detail17trampoline_kernelINS0_14default_configENS1_20scan_config_selectorIfEEZZNS1_9scan_implILNS1_25lookback_scan_determinismE0ELb0ELb0ES3_N6thrust23THRUST_200600_302600_NS6detail15normal_iteratorINS9_10device_ptrIfEEEENSB_INSC_IiEEEEfNS9_4plusIvEEfEEDaPvRmT3_T4_T5_mT6_P12ihipStream_tbENKUlT_T0_E_clISt17integral_constantIbLb1EESV_IbLb0EEEEDaSR_SS_EUlSR_E_NS1_11comp_targetILNS1_3genE10ELNS1_11target_archE1201ELNS1_3gpuE5ELNS1_3repE0EEENS1_30default_config_static_selectorELNS0_4arch9wavefront6targetE1EEEvT1_
		.amdhsa_group_segment_fixed_size 0
		.amdhsa_private_segment_fixed_size 0
		.amdhsa_kernarg_size 96
		.amdhsa_user_sgpr_count 6
		.amdhsa_user_sgpr_private_segment_buffer 1
		.amdhsa_user_sgpr_dispatch_ptr 0
		.amdhsa_user_sgpr_queue_ptr 0
		.amdhsa_user_sgpr_kernarg_segment_ptr 1
		.amdhsa_user_sgpr_dispatch_id 0
		.amdhsa_user_sgpr_flat_scratch_init 0
		.amdhsa_user_sgpr_kernarg_preload_length 0
		.amdhsa_user_sgpr_kernarg_preload_offset 0
		.amdhsa_user_sgpr_private_segment_size 0
		.amdhsa_uses_dynamic_stack 0
		.amdhsa_system_sgpr_private_segment_wavefront_offset 0
		.amdhsa_system_sgpr_workgroup_id_x 1
		.amdhsa_system_sgpr_workgroup_id_y 0
		.amdhsa_system_sgpr_workgroup_id_z 0
		.amdhsa_system_sgpr_workgroup_info 0
		.amdhsa_system_vgpr_workitem_id 0
		.amdhsa_next_free_vgpr 1
		.amdhsa_next_free_sgpr 0
		.amdhsa_accum_offset 4
		.amdhsa_reserve_vcc 0
		.amdhsa_reserve_flat_scratch 0
		.amdhsa_float_round_mode_32 0
		.amdhsa_float_round_mode_16_64 0
		.amdhsa_float_denorm_mode_32 3
		.amdhsa_float_denorm_mode_16_64 3
		.amdhsa_dx10_clamp 1
		.amdhsa_ieee_mode 1
		.amdhsa_fp16_overflow 0
		.amdhsa_tg_split 0
		.amdhsa_exception_fp_ieee_invalid_op 0
		.amdhsa_exception_fp_denorm_src 0
		.amdhsa_exception_fp_ieee_div_zero 0
		.amdhsa_exception_fp_ieee_overflow 0
		.amdhsa_exception_fp_ieee_underflow 0
		.amdhsa_exception_fp_ieee_inexact 0
		.amdhsa_exception_int_div_zero 0
	.end_amdhsa_kernel
	.section	.text._ZN7rocprim17ROCPRIM_400000_NS6detail17trampoline_kernelINS0_14default_configENS1_20scan_config_selectorIfEEZZNS1_9scan_implILNS1_25lookback_scan_determinismE0ELb0ELb0ES3_N6thrust23THRUST_200600_302600_NS6detail15normal_iteratorINS9_10device_ptrIfEEEENSB_INSC_IiEEEEfNS9_4plusIvEEfEEDaPvRmT3_T4_T5_mT6_P12ihipStream_tbENKUlT_T0_E_clISt17integral_constantIbLb1EESV_IbLb0EEEEDaSR_SS_EUlSR_E_NS1_11comp_targetILNS1_3genE10ELNS1_11target_archE1201ELNS1_3gpuE5ELNS1_3repE0EEENS1_30default_config_static_selectorELNS0_4arch9wavefront6targetE1EEEvT1_,"axG",@progbits,_ZN7rocprim17ROCPRIM_400000_NS6detail17trampoline_kernelINS0_14default_configENS1_20scan_config_selectorIfEEZZNS1_9scan_implILNS1_25lookback_scan_determinismE0ELb0ELb0ES3_N6thrust23THRUST_200600_302600_NS6detail15normal_iteratorINS9_10device_ptrIfEEEENSB_INSC_IiEEEEfNS9_4plusIvEEfEEDaPvRmT3_T4_T5_mT6_P12ihipStream_tbENKUlT_T0_E_clISt17integral_constantIbLb1EESV_IbLb0EEEEDaSR_SS_EUlSR_E_NS1_11comp_targetILNS1_3genE10ELNS1_11target_archE1201ELNS1_3gpuE5ELNS1_3repE0EEENS1_30default_config_static_selectorELNS0_4arch9wavefront6targetE1EEEvT1_,comdat
.Lfunc_end1464:
	.size	_ZN7rocprim17ROCPRIM_400000_NS6detail17trampoline_kernelINS0_14default_configENS1_20scan_config_selectorIfEEZZNS1_9scan_implILNS1_25lookback_scan_determinismE0ELb0ELb0ES3_N6thrust23THRUST_200600_302600_NS6detail15normal_iteratorINS9_10device_ptrIfEEEENSB_INSC_IiEEEEfNS9_4plusIvEEfEEDaPvRmT3_T4_T5_mT6_P12ihipStream_tbENKUlT_T0_E_clISt17integral_constantIbLb1EESV_IbLb0EEEEDaSR_SS_EUlSR_E_NS1_11comp_targetILNS1_3genE10ELNS1_11target_archE1201ELNS1_3gpuE5ELNS1_3repE0EEENS1_30default_config_static_selectorELNS0_4arch9wavefront6targetE1EEEvT1_, .Lfunc_end1464-_ZN7rocprim17ROCPRIM_400000_NS6detail17trampoline_kernelINS0_14default_configENS1_20scan_config_selectorIfEEZZNS1_9scan_implILNS1_25lookback_scan_determinismE0ELb0ELb0ES3_N6thrust23THRUST_200600_302600_NS6detail15normal_iteratorINS9_10device_ptrIfEEEENSB_INSC_IiEEEEfNS9_4plusIvEEfEEDaPvRmT3_T4_T5_mT6_P12ihipStream_tbENKUlT_T0_E_clISt17integral_constantIbLb1EESV_IbLb0EEEEDaSR_SS_EUlSR_E_NS1_11comp_targetILNS1_3genE10ELNS1_11target_archE1201ELNS1_3gpuE5ELNS1_3repE0EEENS1_30default_config_static_selectorELNS0_4arch9wavefront6targetE1EEEvT1_
                                        ; -- End function
	.section	.AMDGPU.csdata,"",@progbits
; Kernel info:
; codeLenInByte = 0
; NumSgprs: 4
; NumVgprs: 0
; NumAgprs: 0
; TotalNumVgprs: 0
; ScratchSize: 0
; MemoryBound: 0
; FloatMode: 240
; IeeeMode: 1
; LDSByteSize: 0 bytes/workgroup (compile time only)
; SGPRBlocks: 0
; VGPRBlocks: 0
; NumSGPRsForWavesPerEU: 4
; NumVGPRsForWavesPerEU: 1
; AccumOffset: 4
; Occupancy: 8
; WaveLimiterHint : 0
; COMPUTE_PGM_RSRC2:SCRATCH_EN: 0
; COMPUTE_PGM_RSRC2:USER_SGPR: 6
; COMPUTE_PGM_RSRC2:TRAP_HANDLER: 0
; COMPUTE_PGM_RSRC2:TGID_X_EN: 1
; COMPUTE_PGM_RSRC2:TGID_Y_EN: 0
; COMPUTE_PGM_RSRC2:TGID_Z_EN: 0
; COMPUTE_PGM_RSRC2:TIDIG_COMP_CNT: 0
; COMPUTE_PGM_RSRC3_GFX90A:ACCUM_OFFSET: 0
; COMPUTE_PGM_RSRC3_GFX90A:TG_SPLIT: 0
	.section	.text._ZN7rocprim17ROCPRIM_400000_NS6detail17trampoline_kernelINS0_14default_configENS1_20scan_config_selectorIfEEZZNS1_9scan_implILNS1_25lookback_scan_determinismE0ELb0ELb0ES3_N6thrust23THRUST_200600_302600_NS6detail15normal_iteratorINS9_10device_ptrIfEEEENSB_INSC_IiEEEEfNS9_4plusIvEEfEEDaPvRmT3_T4_T5_mT6_P12ihipStream_tbENKUlT_T0_E_clISt17integral_constantIbLb1EESV_IbLb0EEEEDaSR_SS_EUlSR_E_NS1_11comp_targetILNS1_3genE10ELNS1_11target_archE1200ELNS1_3gpuE4ELNS1_3repE0EEENS1_30default_config_static_selectorELNS0_4arch9wavefront6targetE1EEEvT1_,"axG",@progbits,_ZN7rocprim17ROCPRIM_400000_NS6detail17trampoline_kernelINS0_14default_configENS1_20scan_config_selectorIfEEZZNS1_9scan_implILNS1_25lookback_scan_determinismE0ELb0ELb0ES3_N6thrust23THRUST_200600_302600_NS6detail15normal_iteratorINS9_10device_ptrIfEEEENSB_INSC_IiEEEEfNS9_4plusIvEEfEEDaPvRmT3_T4_T5_mT6_P12ihipStream_tbENKUlT_T0_E_clISt17integral_constantIbLb1EESV_IbLb0EEEEDaSR_SS_EUlSR_E_NS1_11comp_targetILNS1_3genE10ELNS1_11target_archE1200ELNS1_3gpuE4ELNS1_3repE0EEENS1_30default_config_static_selectorELNS0_4arch9wavefront6targetE1EEEvT1_,comdat
	.protected	_ZN7rocprim17ROCPRIM_400000_NS6detail17trampoline_kernelINS0_14default_configENS1_20scan_config_selectorIfEEZZNS1_9scan_implILNS1_25lookback_scan_determinismE0ELb0ELb0ES3_N6thrust23THRUST_200600_302600_NS6detail15normal_iteratorINS9_10device_ptrIfEEEENSB_INSC_IiEEEEfNS9_4plusIvEEfEEDaPvRmT3_T4_T5_mT6_P12ihipStream_tbENKUlT_T0_E_clISt17integral_constantIbLb1EESV_IbLb0EEEEDaSR_SS_EUlSR_E_NS1_11comp_targetILNS1_3genE10ELNS1_11target_archE1200ELNS1_3gpuE4ELNS1_3repE0EEENS1_30default_config_static_selectorELNS0_4arch9wavefront6targetE1EEEvT1_ ; -- Begin function _ZN7rocprim17ROCPRIM_400000_NS6detail17trampoline_kernelINS0_14default_configENS1_20scan_config_selectorIfEEZZNS1_9scan_implILNS1_25lookback_scan_determinismE0ELb0ELb0ES3_N6thrust23THRUST_200600_302600_NS6detail15normal_iteratorINS9_10device_ptrIfEEEENSB_INSC_IiEEEEfNS9_4plusIvEEfEEDaPvRmT3_T4_T5_mT6_P12ihipStream_tbENKUlT_T0_E_clISt17integral_constantIbLb1EESV_IbLb0EEEEDaSR_SS_EUlSR_E_NS1_11comp_targetILNS1_3genE10ELNS1_11target_archE1200ELNS1_3gpuE4ELNS1_3repE0EEENS1_30default_config_static_selectorELNS0_4arch9wavefront6targetE1EEEvT1_
	.globl	_ZN7rocprim17ROCPRIM_400000_NS6detail17trampoline_kernelINS0_14default_configENS1_20scan_config_selectorIfEEZZNS1_9scan_implILNS1_25lookback_scan_determinismE0ELb0ELb0ES3_N6thrust23THRUST_200600_302600_NS6detail15normal_iteratorINS9_10device_ptrIfEEEENSB_INSC_IiEEEEfNS9_4plusIvEEfEEDaPvRmT3_T4_T5_mT6_P12ihipStream_tbENKUlT_T0_E_clISt17integral_constantIbLb1EESV_IbLb0EEEEDaSR_SS_EUlSR_E_NS1_11comp_targetILNS1_3genE10ELNS1_11target_archE1200ELNS1_3gpuE4ELNS1_3repE0EEENS1_30default_config_static_selectorELNS0_4arch9wavefront6targetE1EEEvT1_
	.p2align	8
	.type	_ZN7rocprim17ROCPRIM_400000_NS6detail17trampoline_kernelINS0_14default_configENS1_20scan_config_selectorIfEEZZNS1_9scan_implILNS1_25lookback_scan_determinismE0ELb0ELb0ES3_N6thrust23THRUST_200600_302600_NS6detail15normal_iteratorINS9_10device_ptrIfEEEENSB_INSC_IiEEEEfNS9_4plusIvEEfEEDaPvRmT3_T4_T5_mT6_P12ihipStream_tbENKUlT_T0_E_clISt17integral_constantIbLb1EESV_IbLb0EEEEDaSR_SS_EUlSR_E_NS1_11comp_targetILNS1_3genE10ELNS1_11target_archE1200ELNS1_3gpuE4ELNS1_3repE0EEENS1_30default_config_static_selectorELNS0_4arch9wavefront6targetE1EEEvT1_,@function
_ZN7rocprim17ROCPRIM_400000_NS6detail17trampoline_kernelINS0_14default_configENS1_20scan_config_selectorIfEEZZNS1_9scan_implILNS1_25lookback_scan_determinismE0ELb0ELb0ES3_N6thrust23THRUST_200600_302600_NS6detail15normal_iteratorINS9_10device_ptrIfEEEENSB_INSC_IiEEEEfNS9_4plusIvEEfEEDaPvRmT3_T4_T5_mT6_P12ihipStream_tbENKUlT_T0_E_clISt17integral_constantIbLb1EESV_IbLb0EEEEDaSR_SS_EUlSR_E_NS1_11comp_targetILNS1_3genE10ELNS1_11target_archE1200ELNS1_3gpuE4ELNS1_3repE0EEENS1_30default_config_static_selectorELNS0_4arch9wavefront6targetE1EEEvT1_: ; @_ZN7rocprim17ROCPRIM_400000_NS6detail17trampoline_kernelINS0_14default_configENS1_20scan_config_selectorIfEEZZNS1_9scan_implILNS1_25lookback_scan_determinismE0ELb0ELb0ES3_N6thrust23THRUST_200600_302600_NS6detail15normal_iteratorINS9_10device_ptrIfEEEENSB_INSC_IiEEEEfNS9_4plusIvEEfEEDaPvRmT3_T4_T5_mT6_P12ihipStream_tbENKUlT_T0_E_clISt17integral_constantIbLb1EESV_IbLb0EEEEDaSR_SS_EUlSR_E_NS1_11comp_targetILNS1_3genE10ELNS1_11target_archE1200ELNS1_3gpuE4ELNS1_3repE0EEENS1_30default_config_static_selectorELNS0_4arch9wavefront6targetE1EEEvT1_
; %bb.0:
	.section	.rodata,"a",@progbits
	.p2align	6, 0x0
	.amdhsa_kernel _ZN7rocprim17ROCPRIM_400000_NS6detail17trampoline_kernelINS0_14default_configENS1_20scan_config_selectorIfEEZZNS1_9scan_implILNS1_25lookback_scan_determinismE0ELb0ELb0ES3_N6thrust23THRUST_200600_302600_NS6detail15normal_iteratorINS9_10device_ptrIfEEEENSB_INSC_IiEEEEfNS9_4plusIvEEfEEDaPvRmT3_T4_T5_mT6_P12ihipStream_tbENKUlT_T0_E_clISt17integral_constantIbLb1EESV_IbLb0EEEEDaSR_SS_EUlSR_E_NS1_11comp_targetILNS1_3genE10ELNS1_11target_archE1200ELNS1_3gpuE4ELNS1_3repE0EEENS1_30default_config_static_selectorELNS0_4arch9wavefront6targetE1EEEvT1_
		.amdhsa_group_segment_fixed_size 0
		.amdhsa_private_segment_fixed_size 0
		.amdhsa_kernarg_size 96
		.amdhsa_user_sgpr_count 6
		.amdhsa_user_sgpr_private_segment_buffer 1
		.amdhsa_user_sgpr_dispatch_ptr 0
		.amdhsa_user_sgpr_queue_ptr 0
		.amdhsa_user_sgpr_kernarg_segment_ptr 1
		.amdhsa_user_sgpr_dispatch_id 0
		.amdhsa_user_sgpr_flat_scratch_init 0
		.amdhsa_user_sgpr_kernarg_preload_length 0
		.amdhsa_user_sgpr_kernarg_preload_offset 0
		.amdhsa_user_sgpr_private_segment_size 0
		.amdhsa_uses_dynamic_stack 0
		.amdhsa_system_sgpr_private_segment_wavefront_offset 0
		.amdhsa_system_sgpr_workgroup_id_x 1
		.amdhsa_system_sgpr_workgroup_id_y 0
		.amdhsa_system_sgpr_workgroup_id_z 0
		.amdhsa_system_sgpr_workgroup_info 0
		.amdhsa_system_vgpr_workitem_id 0
		.amdhsa_next_free_vgpr 1
		.amdhsa_next_free_sgpr 0
		.amdhsa_accum_offset 4
		.amdhsa_reserve_vcc 0
		.amdhsa_reserve_flat_scratch 0
		.amdhsa_float_round_mode_32 0
		.amdhsa_float_round_mode_16_64 0
		.amdhsa_float_denorm_mode_32 3
		.amdhsa_float_denorm_mode_16_64 3
		.amdhsa_dx10_clamp 1
		.amdhsa_ieee_mode 1
		.amdhsa_fp16_overflow 0
		.amdhsa_tg_split 0
		.amdhsa_exception_fp_ieee_invalid_op 0
		.amdhsa_exception_fp_denorm_src 0
		.amdhsa_exception_fp_ieee_div_zero 0
		.amdhsa_exception_fp_ieee_overflow 0
		.amdhsa_exception_fp_ieee_underflow 0
		.amdhsa_exception_fp_ieee_inexact 0
		.amdhsa_exception_int_div_zero 0
	.end_amdhsa_kernel
	.section	.text._ZN7rocprim17ROCPRIM_400000_NS6detail17trampoline_kernelINS0_14default_configENS1_20scan_config_selectorIfEEZZNS1_9scan_implILNS1_25lookback_scan_determinismE0ELb0ELb0ES3_N6thrust23THRUST_200600_302600_NS6detail15normal_iteratorINS9_10device_ptrIfEEEENSB_INSC_IiEEEEfNS9_4plusIvEEfEEDaPvRmT3_T4_T5_mT6_P12ihipStream_tbENKUlT_T0_E_clISt17integral_constantIbLb1EESV_IbLb0EEEEDaSR_SS_EUlSR_E_NS1_11comp_targetILNS1_3genE10ELNS1_11target_archE1200ELNS1_3gpuE4ELNS1_3repE0EEENS1_30default_config_static_selectorELNS0_4arch9wavefront6targetE1EEEvT1_,"axG",@progbits,_ZN7rocprim17ROCPRIM_400000_NS6detail17trampoline_kernelINS0_14default_configENS1_20scan_config_selectorIfEEZZNS1_9scan_implILNS1_25lookback_scan_determinismE0ELb0ELb0ES3_N6thrust23THRUST_200600_302600_NS6detail15normal_iteratorINS9_10device_ptrIfEEEENSB_INSC_IiEEEEfNS9_4plusIvEEfEEDaPvRmT3_T4_T5_mT6_P12ihipStream_tbENKUlT_T0_E_clISt17integral_constantIbLb1EESV_IbLb0EEEEDaSR_SS_EUlSR_E_NS1_11comp_targetILNS1_3genE10ELNS1_11target_archE1200ELNS1_3gpuE4ELNS1_3repE0EEENS1_30default_config_static_selectorELNS0_4arch9wavefront6targetE1EEEvT1_,comdat
.Lfunc_end1465:
	.size	_ZN7rocprim17ROCPRIM_400000_NS6detail17trampoline_kernelINS0_14default_configENS1_20scan_config_selectorIfEEZZNS1_9scan_implILNS1_25lookback_scan_determinismE0ELb0ELb0ES3_N6thrust23THRUST_200600_302600_NS6detail15normal_iteratorINS9_10device_ptrIfEEEENSB_INSC_IiEEEEfNS9_4plusIvEEfEEDaPvRmT3_T4_T5_mT6_P12ihipStream_tbENKUlT_T0_E_clISt17integral_constantIbLb1EESV_IbLb0EEEEDaSR_SS_EUlSR_E_NS1_11comp_targetILNS1_3genE10ELNS1_11target_archE1200ELNS1_3gpuE4ELNS1_3repE0EEENS1_30default_config_static_selectorELNS0_4arch9wavefront6targetE1EEEvT1_, .Lfunc_end1465-_ZN7rocprim17ROCPRIM_400000_NS6detail17trampoline_kernelINS0_14default_configENS1_20scan_config_selectorIfEEZZNS1_9scan_implILNS1_25lookback_scan_determinismE0ELb0ELb0ES3_N6thrust23THRUST_200600_302600_NS6detail15normal_iteratorINS9_10device_ptrIfEEEENSB_INSC_IiEEEEfNS9_4plusIvEEfEEDaPvRmT3_T4_T5_mT6_P12ihipStream_tbENKUlT_T0_E_clISt17integral_constantIbLb1EESV_IbLb0EEEEDaSR_SS_EUlSR_E_NS1_11comp_targetILNS1_3genE10ELNS1_11target_archE1200ELNS1_3gpuE4ELNS1_3repE0EEENS1_30default_config_static_selectorELNS0_4arch9wavefront6targetE1EEEvT1_
                                        ; -- End function
	.section	.AMDGPU.csdata,"",@progbits
; Kernel info:
; codeLenInByte = 0
; NumSgprs: 4
; NumVgprs: 0
; NumAgprs: 0
; TotalNumVgprs: 0
; ScratchSize: 0
; MemoryBound: 0
; FloatMode: 240
; IeeeMode: 1
; LDSByteSize: 0 bytes/workgroup (compile time only)
; SGPRBlocks: 0
; VGPRBlocks: 0
; NumSGPRsForWavesPerEU: 4
; NumVGPRsForWavesPerEU: 1
; AccumOffset: 4
; Occupancy: 8
; WaveLimiterHint : 0
; COMPUTE_PGM_RSRC2:SCRATCH_EN: 0
; COMPUTE_PGM_RSRC2:USER_SGPR: 6
; COMPUTE_PGM_RSRC2:TRAP_HANDLER: 0
; COMPUTE_PGM_RSRC2:TGID_X_EN: 1
; COMPUTE_PGM_RSRC2:TGID_Y_EN: 0
; COMPUTE_PGM_RSRC2:TGID_Z_EN: 0
; COMPUTE_PGM_RSRC2:TIDIG_COMP_CNT: 0
; COMPUTE_PGM_RSRC3_GFX90A:ACCUM_OFFSET: 0
; COMPUTE_PGM_RSRC3_GFX90A:TG_SPLIT: 0
	.section	.text._ZN7rocprim17ROCPRIM_400000_NS6detail17trampoline_kernelINS0_14default_configENS1_20scan_config_selectorIfEEZZNS1_9scan_implILNS1_25lookback_scan_determinismE0ELb0ELb0ES3_N6thrust23THRUST_200600_302600_NS6detail15normal_iteratorINS9_10device_ptrIfEEEENSB_INSC_IiEEEEfNS9_4plusIvEEfEEDaPvRmT3_T4_T5_mT6_P12ihipStream_tbENKUlT_T0_E_clISt17integral_constantIbLb1EESV_IbLb0EEEEDaSR_SS_EUlSR_E_NS1_11comp_targetILNS1_3genE9ELNS1_11target_archE1100ELNS1_3gpuE3ELNS1_3repE0EEENS1_30default_config_static_selectorELNS0_4arch9wavefront6targetE1EEEvT1_,"axG",@progbits,_ZN7rocprim17ROCPRIM_400000_NS6detail17trampoline_kernelINS0_14default_configENS1_20scan_config_selectorIfEEZZNS1_9scan_implILNS1_25lookback_scan_determinismE0ELb0ELb0ES3_N6thrust23THRUST_200600_302600_NS6detail15normal_iteratorINS9_10device_ptrIfEEEENSB_INSC_IiEEEEfNS9_4plusIvEEfEEDaPvRmT3_T4_T5_mT6_P12ihipStream_tbENKUlT_T0_E_clISt17integral_constantIbLb1EESV_IbLb0EEEEDaSR_SS_EUlSR_E_NS1_11comp_targetILNS1_3genE9ELNS1_11target_archE1100ELNS1_3gpuE3ELNS1_3repE0EEENS1_30default_config_static_selectorELNS0_4arch9wavefront6targetE1EEEvT1_,comdat
	.protected	_ZN7rocprim17ROCPRIM_400000_NS6detail17trampoline_kernelINS0_14default_configENS1_20scan_config_selectorIfEEZZNS1_9scan_implILNS1_25lookback_scan_determinismE0ELb0ELb0ES3_N6thrust23THRUST_200600_302600_NS6detail15normal_iteratorINS9_10device_ptrIfEEEENSB_INSC_IiEEEEfNS9_4plusIvEEfEEDaPvRmT3_T4_T5_mT6_P12ihipStream_tbENKUlT_T0_E_clISt17integral_constantIbLb1EESV_IbLb0EEEEDaSR_SS_EUlSR_E_NS1_11comp_targetILNS1_3genE9ELNS1_11target_archE1100ELNS1_3gpuE3ELNS1_3repE0EEENS1_30default_config_static_selectorELNS0_4arch9wavefront6targetE1EEEvT1_ ; -- Begin function _ZN7rocprim17ROCPRIM_400000_NS6detail17trampoline_kernelINS0_14default_configENS1_20scan_config_selectorIfEEZZNS1_9scan_implILNS1_25lookback_scan_determinismE0ELb0ELb0ES3_N6thrust23THRUST_200600_302600_NS6detail15normal_iteratorINS9_10device_ptrIfEEEENSB_INSC_IiEEEEfNS9_4plusIvEEfEEDaPvRmT3_T4_T5_mT6_P12ihipStream_tbENKUlT_T0_E_clISt17integral_constantIbLb1EESV_IbLb0EEEEDaSR_SS_EUlSR_E_NS1_11comp_targetILNS1_3genE9ELNS1_11target_archE1100ELNS1_3gpuE3ELNS1_3repE0EEENS1_30default_config_static_selectorELNS0_4arch9wavefront6targetE1EEEvT1_
	.globl	_ZN7rocprim17ROCPRIM_400000_NS6detail17trampoline_kernelINS0_14default_configENS1_20scan_config_selectorIfEEZZNS1_9scan_implILNS1_25lookback_scan_determinismE0ELb0ELb0ES3_N6thrust23THRUST_200600_302600_NS6detail15normal_iteratorINS9_10device_ptrIfEEEENSB_INSC_IiEEEEfNS9_4plusIvEEfEEDaPvRmT3_T4_T5_mT6_P12ihipStream_tbENKUlT_T0_E_clISt17integral_constantIbLb1EESV_IbLb0EEEEDaSR_SS_EUlSR_E_NS1_11comp_targetILNS1_3genE9ELNS1_11target_archE1100ELNS1_3gpuE3ELNS1_3repE0EEENS1_30default_config_static_selectorELNS0_4arch9wavefront6targetE1EEEvT1_
	.p2align	8
	.type	_ZN7rocprim17ROCPRIM_400000_NS6detail17trampoline_kernelINS0_14default_configENS1_20scan_config_selectorIfEEZZNS1_9scan_implILNS1_25lookback_scan_determinismE0ELb0ELb0ES3_N6thrust23THRUST_200600_302600_NS6detail15normal_iteratorINS9_10device_ptrIfEEEENSB_INSC_IiEEEEfNS9_4plusIvEEfEEDaPvRmT3_T4_T5_mT6_P12ihipStream_tbENKUlT_T0_E_clISt17integral_constantIbLb1EESV_IbLb0EEEEDaSR_SS_EUlSR_E_NS1_11comp_targetILNS1_3genE9ELNS1_11target_archE1100ELNS1_3gpuE3ELNS1_3repE0EEENS1_30default_config_static_selectorELNS0_4arch9wavefront6targetE1EEEvT1_,@function
_ZN7rocprim17ROCPRIM_400000_NS6detail17trampoline_kernelINS0_14default_configENS1_20scan_config_selectorIfEEZZNS1_9scan_implILNS1_25lookback_scan_determinismE0ELb0ELb0ES3_N6thrust23THRUST_200600_302600_NS6detail15normal_iteratorINS9_10device_ptrIfEEEENSB_INSC_IiEEEEfNS9_4plusIvEEfEEDaPvRmT3_T4_T5_mT6_P12ihipStream_tbENKUlT_T0_E_clISt17integral_constantIbLb1EESV_IbLb0EEEEDaSR_SS_EUlSR_E_NS1_11comp_targetILNS1_3genE9ELNS1_11target_archE1100ELNS1_3gpuE3ELNS1_3repE0EEENS1_30default_config_static_selectorELNS0_4arch9wavefront6targetE1EEEvT1_: ; @_ZN7rocprim17ROCPRIM_400000_NS6detail17trampoline_kernelINS0_14default_configENS1_20scan_config_selectorIfEEZZNS1_9scan_implILNS1_25lookback_scan_determinismE0ELb0ELb0ES3_N6thrust23THRUST_200600_302600_NS6detail15normal_iteratorINS9_10device_ptrIfEEEENSB_INSC_IiEEEEfNS9_4plusIvEEfEEDaPvRmT3_T4_T5_mT6_P12ihipStream_tbENKUlT_T0_E_clISt17integral_constantIbLb1EESV_IbLb0EEEEDaSR_SS_EUlSR_E_NS1_11comp_targetILNS1_3genE9ELNS1_11target_archE1100ELNS1_3gpuE3ELNS1_3repE0EEENS1_30default_config_static_selectorELNS0_4arch9wavefront6targetE1EEEvT1_
; %bb.0:
	.section	.rodata,"a",@progbits
	.p2align	6, 0x0
	.amdhsa_kernel _ZN7rocprim17ROCPRIM_400000_NS6detail17trampoline_kernelINS0_14default_configENS1_20scan_config_selectorIfEEZZNS1_9scan_implILNS1_25lookback_scan_determinismE0ELb0ELb0ES3_N6thrust23THRUST_200600_302600_NS6detail15normal_iteratorINS9_10device_ptrIfEEEENSB_INSC_IiEEEEfNS9_4plusIvEEfEEDaPvRmT3_T4_T5_mT6_P12ihipStream_tbENKUlT_T0_E_clISt17integral_constantIbLb1EESV_IbLb0EEEEDaSR_SS_EUlSR_E_NS1_11comp_targetILNS1_3genE9ELNS1_11target_archE1100ELNS1_3gpuE3ELNS1_3repE0EEENS1_30default_config_static_selectorELNS0_4arch9wavefront6targetE1EEEvT1_
		.amdhsa_group_segment_fixed_size 0
		.amdhsa_private_segment_fixed_size 0
		.amdhsa_kernarg_size 96
		.amdhsa_user_sgpr_count 6
		.amdhsa_user_sgpr_private_segment_buffer 1
		.amdhsa_user_sgpr_dispatch_ptr 0
		.amdhsa_user_sgpr_queue_ptr 0
		.amdhsa_user_sgpr_kernarg_segment_ptr 1
		.amdhsa_user_sgpr_dispatch_id 0
		.amdhsa_user_sgpr_flat_scratch_init 0
		.amdhsa_user_sgpr_kernarg_preload_length 0
		.amdhsa_user_sgpr_kernarg_preload_offset 0
		.amdhsa_user_sgpr_private_segment_size 0
		.amdhsa_uses_dynamic_stack 0
		.amdhsa_system_sgpr_private_segment_wavefront_offset 0
		.amdhsa_system_sgpr_workgroup_id_x 1
		.amdhsa_system_sgpr_workgroup_id_y 0
		.amdhsa_system_sgpr_workgroup_id_z 0
		.amdhsa_system_sgpr_workgroup_info 0
		.amdhsa_system_vgpr_workitem_id 0
		.amdhsa_next_free_vgpr 1
		.amdhsa_next_free_sgpr 0
		.amdhsa_accum_offset 4
		.amdhsa_reserve_vcc 0
		.amdhsa_reserve_flat_scratch 0
		.amdhsa_float_round_mode_32 0
		.amdhsa_float_round_mode_16_64 0
		.amdhsa_float_denorm_mode_32 3
		.amdhsa_float_denorm_mode_16_64 3
		.amdhsa_dx10_clamp 1
		.amdhsa_ieee_mode 1
		.amdhsa_fp16_overflow 0
		.amdhsa_tg_split 0
		.amdhsa_exception_fp_ieee_invalid_op 0
		.amdhsa_exception_fp_denorm_src 0
		.amdhsa_exception_fp_ieee_div_zero 0
		.amdhsa_exception_fp_ieee_overflow 0
		.amdhsa_exception_fp_ieee_underflow 0
		.amdhsa_exception_fp_ieee_inexact 0
		.amdhsa_exception_int_div_zero 0
	.end_amdhsa_kernel
	.section	.text._ZN7rocprim17ROCPRIM_400000_NS6detail17trampoline_kernelINS0_14default_configENS1_20scan_config_selectorIfEEZZNS1_9scan_implILNS1_25lookback_scan_determinismE0ELb0ELb0ES3_N6thrust23THRUST_200600_302600_NS6detail15normal_iteratorINS9_10device_ptrIfEEEENSB_INSC_IiEEEEfNS9_4plusIvEEfEEDaPvRmT3_T4_T5_mT6_P12ihipStream_tbENKUlT_T0_E_clISt17integral_constantIbLb1EESV_IbLb0EEEEDaSR_SS_EUlSR_E_NS1_11comp_targetILNS1_3genE9ELNS1_11target_archE1100ELNS1_3gpuE3ELNS1_3repE0EEENS1_30default_config_static_selectorELNS0_4arch9wavefront6targetE1EEEvT1_,"axG",@progbits,_ZN7rocprim17ROCPRIM_400000_NS6detail17trampoline_kernelINS0_14default_configENS1_20scan_config_selectorIfEEZZNS1_9scan_implILNS1_25lookback_scan_determinismE0ELb0ELb0ES3_N6thrust23THRUST_200600_302600_NS6detail15normal_iteratorINS9_10device_ptrIfEEEENSB_INSC_IiEEEEfNS9_4plusIvEEfEEDaPvRmT3_T4_T5_mT6_P12ihipStream_tbENKUlT_T0_E_clISt17integral_constantIbLb1EESV_IbLb0EEEEDaSR_SS_EUlSR_E_NS1_11comp_targetILNS1_3genE9ELNS1_11target_archE1100ELNS1_3gpuE3ELNS1_3repE0EEENS1_30default_config_static_selectorELNS0_4arch9wavefront6targetE1EEEvT1_,comdat
.Lfunc_end1466:
	.size	_ZN7rocprim17ROCPRIM_400000_NS6detail17trampoline_kernelINS0_14default_configENS1_20scan_config_selectorIfEEZZNS1_9scan_implILNS1_25lookback_scan_determinismE0ELb0ELb0ES3_N6thrust23THRUST_200600_302600_NS6detail15normal_iteratorINS9_10device_ptrIfEEEENSB_INSC_IiEEEEfNS9_4plusIvEEfEEDaPvRmT3_T4_T5_mT6_P12ihipStream_tbENKUlT_T0_E_clISt17integral_constantIbLb1EESV_IbLb0EEEEDaSR_SS_EUlSR_E_NS1_11comp_targetILNS1_3genE9ELNS1_11target_archE1100ELNS1_3gpuE3ELNS1_3repE0EEENS1_30default_config_static_selectorELNS0_4arch9wavefront6targetE1EEEvT1_, .Lfunc_end1466-_ZN7rocprim17ROCPRIM_400000_NS6detail17trampoline_kernelINS0_14default_configENS1_20scan_config_selectorIfEEZZNS1_9scan_implILNS1_25lookback_scan_determinismE0ELb0ELb0ES3_N6thrust23THRUST_200600_302600_NS6detail15normal_iteratorINS9_10device_ptrIfEEEENSB_INSC_IiEEEEfNS9_4plusIvEEfEEDaPvRmT3_T4_T5_mT6_P12ihipStream_tbENKUlT_T0_E_clISt17integral_constantIbLb1EESV_IbLb0EEEEDaSR_SS_EUlSR_E_NS1_11comp_targetILNS1_3genE9ELNS1_11target_archE1100ELNS1_3gpuE3ELNS1_3repE0EEENS1_30default_config_static_selectorELNS0_4arch9wavefront6targetE1EEEvT1_
                                        ; -- End function
	.section	.AMDGPU.csdata,"",@progbits
; Kernel info:
; codeLenInByte = 0
; NumSgprs: 4
; NumVgprs: 0
; NumAgprs: 0
; TotalNumVgprs: 0
; ScratchSize: 0
; MemoryBound: 0
; FloatMode: 240
; IeeeMode: 1
; LDSByteSize: 0 bytes/workgroup (compile time only)
; SGPRBlocks: 0
; VGPRBlocks: 0
; NumSGPRsForWavesPerEU: 4
; NumVGPRsForWavesPerEU: 1
; AccumOffset: 4
; Occupancy: 8
; WaveLimiterHint : 0
; COMPUTE_PGM_RSRC2:SCRATCH_EN: 0
; COMPUTE_PGM_RSRC2:USER_SGPR: 6
; COMPUTE_PGM_RSRC2:TRAP_HANDLER: 0
; COMPUTE_PGM_RSRC2:TGID_X_EN: 1
; COMPUTE_PGM_RSRC2:TGID_Y_EN: 0
; COMPUTE_PGM_RSRC2:TGID_Z_EN: 0
; COMPUTE_PGM_RSRC2:TIDIG_COMP_CNT: 0
; COMPUTE_PGM_RSRC3_GFX90A:ACCUM_OFFSET: 0
; COMPUTE_PGM_RSRC3_GFX90A:TG_SPLIT: 0
	.section	.text._ZN7rocprim17ROCPRIM_400000_NS6detail17trampoline_kernelINS0_14default_configENS1_20scan_config_selectorIfEEZZNS1_9scan_implILNS1_25lookback_scan_determinismE0ELb0ELb0ES3_N6thrust23THRUST_200600_302600_NS6detail15normal_iteratorINS9_10device_ptrIfEEEENSB_INSC_IiEEEEfNS9_4plusIvEEfEEDaPvRmT3_T4_T5_mT6_P12ihipStream_tbENKUlT_T0_E_clISt17integral_constantIbLb1EESV_IbLb0EEEEDaSR_SS_EUlSR_E_NS1_11comp_targetILNS1_3genE8ELNS1_11target_archE1030ELNS1_3gpuE2ELNS1_3repE0EEENS1_30default_config_static_selectorELNS0_4arch9wavefront6targetE1EEEvT1_,"axG",@progbits,_ZN7rocprim17ROCPRIM_400000_NS6detail17trampoline_kernelINS0_14default_configENS1_20scan_config_selectorIfEEZZNS1_9scan_implILNS1_25lookback_scan_determinismE0ELb0ELb0ES3_N6thrust23THRUST_200600_302600_NS6detail15normal_iteratorINS9_10device_ptrIfEEEENSB_INSC_IiEEEEfNS9_4plusIvEEfEEDaPvRmT3_T4_T5_mT6_P12ihipStream_tbENKUlT_T0_E_clISt17integral_constantIbLb1EESV_IbLb0EEEEDaSR_SS_EUlSR_E_NS1_11comp_targetILNS1_3genE8ELNS1_11target_archE1030ELNS1_3gpuE2ELNS1_3repE0EEENS1_30default_config_static_selectorELNS0_4arch9wavefront6targetE1EEEvT1_,comdat
	.protected	_ZN7rocprim17ROCPRIM_400000_NS6detail17trampoline_kernelINS0_14default_configENS1_20scan_config_selectorIfEEZZNS1_9scan_implILNS1_25lookback_scan_determinismE0ELb0ELb0ES3_N6thrust23THRUST_200600_302600_NS6detail15normal_iteratorINS9_10device_ptrIfEEEENSB_INSC_IiEEEEfNS9_4plusIvEEfEEDaPvRmT3_T4_T5_mT6_P12ihipStream_tbENKUlT_T0_E_clISt17integral_constantIbLb1EESV_IbLb0EEEEDaSR_SS_EUlSR_E_NS1_11comp_targetILNS1_3genE8ELNS1_11target_archE1030ELNS1_3gpuE2ELNS1_3repE0EEENS1_30default_config_static_selectorELNS0_4arch9wavefront6targetE1EEEvT1_ ; -- Begin function _ZN7rocprim17ROCPRIM_400000_NS6detail17trampoline_kernelINS0_14default_configENS1_20scan_config_selectorIfEEZZNS1_9scan_implILNS1_25lookback_scan_determinismE0ELb0ELb0ES3_N6thrust23THRUST_200600_302600_NS6detail15normal_iteratorINS9_10device_ptrIfEEEENSB_INSC_IiEEEEfNS9_4plusIvEEfEEDaPvRmT3_T4_T5_mT6_P12ihipStream_tbENKUlT_T0_E_clISt17integral_constantIbLb1EESV_IbLb0EEEEDaSR_SS_EUlSR_E_NS1_11comp_targetILNS1_3genE8ELNS1_11target_archE1030ELNS1_3gpuE2ELNS1_3repE0EEENS1_30default_config_static_selectorELNS0_4arch9wavefront6targetE1EEEvT1_
	.globl	_ZN7rocprim17ROCPRIM_400000_NS6detail17trampoline_kernelINS0_14default_configENS1_20scan_config_selectorIfEEZZNS1_9scan_implILNS1_25lookback_scan_determinismE0ELb0ELb0ES3_N6thrust23THRUST_200600_302600_NS6detail15normal_iteratorINS9_10device_ptrIfEEEENSB_INSC_IiEEEEfNS9_4plusIvEEfEEDaPvRmT3_T4_T5_mT6_P12ihipStream_tbENKUlT_T0_E_clISt17integral_constantIbLb1EESV_IbLb0EEEEDaSR_SS_EUlSR_E_NS1_11comp_targetILNS1_3genE8ELNS1_11target_archE1030ELNS1_3gpuE2ELNS1_3repE0EEENS1_30default_config_static_selectorELNS0_4arch9wavefront6targetE1EEEvT1_
	.p2align	8
	.type	_ZN7rocprim17ROCPRIM_400000_NS6detail17trampoline_kernelINS0_14default_configENS1_20scan_config_selectorIfEEZZNS1_9scan_implILNS1_25lookback_scan_determinismE0ELb0ELb0ES3_N6thrust23THRUST_200600_302600_NS6detail15normal_iteratorINS9_10device_ptrIfEEEENSB_INSC_IiEEEEfNS9_4plusIvEEfEEDaPvRmT3_T4_T5_mT6_P12ihipStream_tbENKUlT_T0_E_clISt17integral_constantIbLb1EESV_IbLb0EEEEDaSR_SS_EUlSR_E_NS1_11comp_targetILNS1_3genE8ELNS1_11target_archE1030ELNS1_3gpuE2ELNS1_3repE0EEENS1_30default_config_static_selectorELNS0_4arch9wavefront6targetE1EEEvT1_,@function
_ZN7rocprim17ROCPRIM_400000_NS6detail17trampoline_kernelINS0_14default_configENS1_20scan_config_selectorIfEEZZNS1_9scan_implILNS1_25lookback_scan_determinismE0ELb0ELb0ES3_N6thrust23THRUST_200600_302600_NS6detail15normal_iteratorINS9_10device_ptrIfEEEENSB_INSC_IiEEEEfNS9_4plusIvEEfEEDaPvRmT3_T4_T5_mT6_P12ihipStream_tbENKUlT_T0_E_clISt17integral_constantIbLb1EESV_IbLb0EEEEDaSR_SS_EUlSR_E_NS1_11comp_targetILNS1_3genE8ELNS1_11target_archE1030ELNS1_3gpuE2ELNS1_3repE0EEENS1_30default_config_static_selectorELNS0_4arch9wavefront6targetE1EEEvT1_: ; @_ZN7rocprim17ROCPRIM_400000_NS6detail17trampoline_kernelINS0_14default_configENS1_20scan_config_selectorIfEEZZNS1_9scan_implILNS1_25lookback_scan_determinismE0ELb0ELb0ES3_N6thrust23THRUST_200600_302600_NS6detail15normal_iteratorINS9_10device_ptrIfEEEENSB_INSC_IiEEEEfNS9_4plusIvEEfEEDaPvRmT3_T4_T5_mT6_P12ihipStream_tbENKUlT_T0_E_clISt17integral_constantIbLb1EESV_IbLb0EEEEDaSR_SS_EUlSR_E_NS1_11comp_targetILNS1_3genE8ELNS1_11target_archE1030ELNS1_3gpuE2ELNS1_3repE0EEENS1_30default_config_static_selectorELNS0_4arch9wavefront6targetE1EEEvT1_
; %bb.0:
	.section	.rodata,"a",@progbits
	.p2align	6, 0x0
	.amdhsa_kernel _ZN7rocprim17ROCPRIM_400000_NS6detail17trampoline_kernelINS0_14default_configENS1_20scan_config_selectorIfEEZZNS1_9scan_implILNS1_25lookback_scan_determinismE0ELb0ELb0ES3_N6thrust23THRUST_200600_302600_NS6detail15normal_iteratorINS9_10device_ptrIfEEEENSB_INSC_IiEEEEfNS9_4plusIvEEfEEDaPvRmT3_T4_T5_mT6_P12ihipStream_tbENKUlT_T0_E_clISt17integral_constantIbLb1EESV_IbLb0EEEEDaSR_SS_EUlSR_E_NS1_11comp_targetILNS1_3genE8ELNS1_11target_archE1030ELNS1_3gpuE2ELNS1_3repE0EEENS1_30default_config_static_selectorELNS0_4arch9wavefront6targetE1EEEvT1_
		.amdhsa_group_segment_fixed_size 0
		.amdhsa_private_segment_fixed_size 0
		.amdhsa_kernarg_size 96
		.amdhsa_user_sgpr_count 6
		.amdhsa_user_sgpr_private_segment_buffer 1
		.amdhsa_user_sgpr_dispatch_ptr 0
		.amdhsa_user_sgpr_queue_ptr 0
		.amdhsa_user_sgpr_kernarg_segment_ptr 1
		.amdhsa_user_sgpr_dispatch_id 0
		.amdhsa_user_sgpr_flat_scratch_init 0
		.amdhsa_user_sgpr_kernarg_preload_length 0
		.amdhsa_user_sgpr_kernarg_preload_offset 0
		.amdhsa_user_sgpr_private_segment_size 0
		.amdhsa_uses_dynamic_stack 0
		.amdhsa_system_sgpr_private_segment_wavefront_offset 0
		.amdhsa_system_sgpr_workgroup_id_x 1
		.amdhsa_system_sgpr_workgroup_id_y 0
		.amdhsa_system_sgpr_workgroup_id_z 0
		.amdhsa_system_sgpr_workgroup_info 0
		.amdhsa_system_vgpr_workitem_id 0
		.amdhsa_next_free_vgpr 1
		.amdhsa_next_free_sgpr 0
		.amdhsa_accum_offset 4
		.amdhsa_reserve_vcc 0
		.amdhsa_reserve_flat_scratch 0
		.amdhsa_float_round_mode_32 0
		.amdhsa_float_round_mode_16_64 0
		.amdhsa_float_denorm_mode_32 3
		.amdhsa_float_denorm_mode_16_64 3
		.amdhsa_dx10_clamp 1
		.amdhsa_ieee_mode 1
		.amdhsa_fp16_overflow 0
		.amdhsa_tg_split 0
		.amdhsa_exception_fp_ieee_invalid_op 0
		.amdhsa_exception_fp_denorm_src 0
		.amdhsa_exception_fp_ieee_div_zero 0
		.amdhsa_exception_fp_ieee_overflow 0
		.amdhsa_exception_fp_ieee_underflow 0
		.amdhsa_exception_fp_ieee_inexact 0
		.amdhsa_exception_int_div_zero 0
	.end_amdhsa_kernel
	.section	.text._ZN7rocprim17ROCPRIM_400000_NS6detail17trampoline_kernelINS0_14default_configENS1_20scan_config_selectorIfEEZZNS1_9scan_implILNS1_25lookback_scan_determinismE0ELb0ELb0ES3_N6thrust23THRUST_200600_302600_NS6detail15normal_iteratorINS9_10device_ptrIfEEEENSB_INSC_IiEEEEfNS9_4plusIvEEfEEDaPvRmT3_T4_T5_mT6_P12ihipStream_tbENKUlT_T0_E_clISt17integral_constantIbLb1EESV_IbLb0EEEEDaSR_SS_EUlSR_E_NS1_11comp_targetILNS1_3genE8ELNS1_11target_archE1030ELNS1_3gpuE2ELNS1_3repE0EEENS1_30default_config_static_selectorELNS0_4arch9wavefront6targetE1EEEvT1_,"axG",@progbits,_ZN7rocprim17ROCPRIM_400000_NS6detail17trampoline_kernelINS0_14default_configENS1_20scan_config_selectorIfEEZZNS1_9scan_implILNS1_25lookback_scan_determinismE0ELb0ELb0ES3_N6thrust23THRUST_200600_302600_NS6detail15normal_iteratorINS9_10device_ptrIfEEEENSB_INSC_IiEEEEfNS9_4plusIvEEfEEDaPvRmT3_T4_T5_mT6_P12ihipStream_tbENKUlT_T0_E_clISt17integral_constantIbLb1EESV_IbLb0EEEEDaSR_SS_EUlSR_E_NS1_11comp_targetILNS1_3genE8ELNS1_11target_archE1030ELNS1_3gpuE2ELNS1_3repE0EEENS1_30default_config_static_selectorELNS0_4arch9wavefront6targetE1EEEvT1_,comdat
.Lfunc_end1467:
	.size	_ZN7rocprim17ROCPRIM_400000_NS6detail17trampoline_kernelINS0_14default_configENS1_20scan_config_selectorIfEEZZNS1_9scan_implILNS1_25lookback_scan_determinismE0ELb0ELb0ES3_N6thrust23THRUST_200600_302600_NS6detail15normal_iteratorINS9_10device_ptrIfEEEENSB_INSC_IiEEEEfNS9_4plusIvEEfEEDaPvRmT3_T4_T5_mT6_P12ihipStream_tbENKUlT_T0_E_clISt17integral_constantIbLb1EESV_IbLb0EEEEDaSR_SS_EUlSR_E_NS1_11comp_targetILNS1_3genE8ELNS1_11target_archE1030ELNS1_3gpuE2ELNS1_3repE0EEENS1_30default_config_static_selectorELNS0_4arch9wavefront6targetE1EEEvT1_, .Lfunc_end1467-_ZN7rocprim17ROCPRIM_400000_NS6detail17trampoline_kernelINS0_14default_configENS1_20scan_config_selectorIfEEZZNS1_9scan_implILNS1_25lookback_scan_determinismE0ELb0ELb0ES3_N6thrust23THRUST_200600_302600_NS6detail15normal_iteratorINS9_10device_ptrIfEEEENSB_INSC_IiEEEEfNS9_4plusIvEEfEEDaPvRmT3_T4_T5_mT6_P12ihipStream_tbENKUlT_T0_E_clISt17integral_constantIbLb1EESV_IbLb0EEEEDaSR_SS_EUlSR_E_NS1_11comp_targetILNS1_3genE8ELNS1_11target_archE1030ELNS1_3gpuE2ELNS1_3repE0EEENS1_30default_config_static_selectorELNS0_4arch9wavefront6targetE1EEEvT1_
                                        ; -- End function
	.section	.AMDGPU.csdata,"",@progbits
; Kernel info:
; codeLenInByte = 0
; NumSgprs: 4
; NumVgprs: 0
; NumAgprs: 0
; TotalNumVgprs: 0
; ScratchSize: 0
; MemoryBound: 0
; FloatMode: 240
; IeeeMode: 1
; LDSByteSize: 0 bytes/workgroup (compile time only)
; SGPRBlocks: 0
; VGPRBlocks: 0
; NumSGPRsForWavesPerEU: 4
; NumVGPRsForWavesPerEU: 1
; AccumOffset: 4
; Occupancy: 8
; WaveLimiterHint : 0
; COMPUTE_PGM_RSRC2:SCRATCH_EN: 0
; COMPUTE_PGM_RSRC2:USER_SGPR: 6
; COMPUTE_PGM_RSRC2:TRAP_HANDLER: 0
; COMPUTE_PGM_RSRC2:TGID_X_EN: 1
; COMPUTE_PGM_RSRC2:TGID_Y_EN: 0
; COMPUTE_PGM_RSRC2:TGID_Z_EN: 0
; COMPUTE_PGM_RSRC2:TIDIG_COMP_CNT: 0
; COMPUTE_PGM_RSRC3_GFX90A:ACCUM_OFFSET: 0
; COMPUTE_PGM_RSRC3_GFX90A:TG_SPLIT: 0
	.section	.text._ZN7rocprim17ROCPRIM_400000_NS6detail17trampoline_kernelINS0_14default_configENS1_20scan_config_selectorIfEEZZNS1_9scan_implILNS1_25lookback_scan_determinismE0ELb0ELb0ES3_N6thrust23THRUST_200600_302600_NS6detail15normal_iteratorINS9_10device_ptrIfEEEENSB_INSC_IiEEEEfNS9_4plusIvEEfEEDaPvRmT3_T4_T5_mT6_P12ihipStream_tbENKUlT_T0_E_clISt17integral_constantIbLb1EESV_IbLb0EEEEDaSR_SS_EUlSR_E0_NS1_11comp_targetILNS1_3genE0ELNS1_11target_archE4294967295ELNS1_3gpuE0ELNS1_3repE0EEENS1_30default_config_static_selectorELNS0_4arch9wavefront6targetE1EEEvT1_,"axG",@progbits,_ZN7rocprim17ROCPRIM_400000_NS6detail17trampoline_kernelINS0_14default_configENS1_20scan_config_selectorIfEEZZNS1_9scan_implILNS1_25lookback_scan_determinismE0ELb0ELb0ES3_N6thrust23THRUST_200600_302600_NS6detail15normal_iteratorINS9_10device_ptrIfEEEENSB_INSC_IiEEEEfNS9_4plusIvEEfEEDaPvRmT3_T4_T5_mT6_P12ihipStream_tbENKUlT_T0_E_clISt17integral_constantIbLb1EESV_IbLb0EEEEDaSR_SS_EUlSR_E0_NS1_11comp_targetILNS1_3genE0ELNS1_11target_archE4294967295ELNS1_3gpuE0ELNS1_3repE0EEENS1_30default_config_static_selectorELNS0_4arch9wavefront6targetE1EEEvT1_,comdat
	.protected	_ZN7rocprim17ROCPRIM_400000_NS6detail17trampoline_kernelINS0_14default_configENS1_20scan_config_selectorIfEEZZNS1_9scan_implILNS1_25lookback_scan_determinismE0ELb0ELb0ES3_N6thrust23THRUST_200600_302600_NS6detail15normal_iteratorINS9_10device_ptrIfEEEENSB_INSC_IiEEEEfNS9_4plusIvEEfEEDaPvRmT3_T4_T5_mT6_P12ihipStream_tbENKUlT_T0_E_clISt17integral_constantIbLb1EESV_IbLb0EEEEDaSR_SS_EUlSR_E0_NS1_11comp_targetILNS1_3genE0ELNS1_11target_archE4294967295ELNS1_3gpuE0ELNS1_3repE0EEENS1_30default_config_static_selectorELNS0_4arch9wavefront6targetE1EEEvT1_ ; -- Begin function _ZN7rocprim17ROCPRIM_400000_NS6detail17trampoline_kernelINS0_14default_configENS1_20scan_config_selectorIfEEZZNS1_9scan_implILNS1_25lookback_scan_determinismE0ELb0ELb0ES3_N6thrust23THRUST_200600_302600_NS6detail15normal_iteratorINS9_10device_ptrIfEEEENSB_INSC_IiEEEEfNS9_4plusIvEEfEEDaPvRmT3_T4_T5_mT6_P12ihipStream_tbENKUlT_T0_E_clISt17integral_constantIbLb1EESV_IbLb0EEEEDaSR_SS_EUlSR_E0_NS1_11comp_targetILNS1_3genE0ELNS1_11target_archE4294967295ELNS1_3gpuE0ELNS1_3repE0EEENS1_30default_config_static_selectorELNS0_4arch9wavefront6targetE1EEEvT1_
	.globl	_ZN7rocprim17ROCPRIM_400000_NS6detail17trampoline_kernelINS0_14default_configENS1_20scan_config_selectorIfEEZZNS1_9scan_implILNS1_25lookback_scan_determinismE0ELb0ELb0ES3_N6thrust23THRUST_200600_302600_NS6detail15normal_iteratorINS9_10device_ptrIfEEEENSB_INSC_IiEEEEfNS9_4plusIvEEfEEDaPvRmT3_T4_T5_mT6_P12ihipStream_tbENKUlT_T0_E_clISt17integral_constantIbLb1EESV_IbLb0EEEEDaSR_SS_EUlSR_E0_NS1_11comp_targetILNS1_3genE0ELNS1_11target_archE4294967295ELNS1_3gpuE0ELNS1_3repE0EEENS1_30default_config_static_selectorELNS0_4arch9wavefront6targetE1EEEvT1_
	.p2align	8
	.type	_ZN7rocprim17ROCPRIM_400000_NS6detail17trampoline_kernelINS0_14default_configENS1_20scan_config_selectorIfEEZZNS1_9scan_implILNS1_25lookback_scan_determinismE0ELb0ELb0ES3_N6thrust23THRUST_200600_302600_NS6detail15normal_iteratorINS9_10device_ptrIfEEEENSB_INSC_IiEEEEfNS9_4plusIvEEfEEDaPvRmT3_T4_T5_mT6_P12ihipStream_tbENKUlT_T0_E_clISt17integral_constantIbLb1EESV_IbLb0EEEEDaSR_SS_EUlSR_E0_NS1_11comp_targetILNS1_3genE0ELNS1_11target_archE4294967295ELNS1_3gpuE0ELNS1_3repE0EEENS1_30default_config_static_selectorELNS0_4arch9wavefront6targetE1EEEvT1_,@function
_ZN7rocprim17ROCPRIM_400000_NS6detail17trampoline_kernelINS0_14default_configENS1_20scan_config_selectorIfEEZZNS1_9scan_implILNS1_25lookback_scan_determinismE0ELb0ELb0ES3_N6thrust23THRUST_200600_302600_NS6detail15normal_iteratorINS9_10device_ptrIfEEEENSB_INSC_IiEEEEfNS9_4plusIvEEfEEDaPvRmT3_T4_T5_mT6_P12ihipStream_tbENKUlT_T0_E_clISt17integral_constantIbLb1EESV_IbLb0EEEEDaSR_SS_EUlSR_E0_NS1_11comp_targetILNS1_3genE0ELNS1_11target_archE4294967295ELNS1_3gpuE0ELNS1_3repE0EEENS1_30default_config_static_selectorELNS0_4arch9wavefront6targetE1EEEvT1_: ; @_ZN7rocprim17ROCPRIM_400000_NS6detail17trampoline_kernelINS0_14default_configENS1_20scan_config_selectorIfEEZZNS1_9scan_implILNS1_25lookback_scan_determinismE0ELb0ELb0ES3_N6thrust23THRUST_200600_302600_NS6detail15normal_iteratorINS9_10device_ptrIfEEEENSB_INSC_IiEEEEfNS9_4plusIvEEfEEDaPvRmT3_T4_T5_mT6_P12ihipStream_tbENKUlT_T0_E_clISt17integral_constantIbLb1EESV_IbLb0EEEEDaSR_SS_EUlSR_E0_NS1_11comp_targetILNS1_3genE0ELNS1_11target_archE4294967295ELNS1_3gpuE0ELNS1_3repE0EEENS1_30default_config_static_selectorELNS0_4arch9wavefront6targetE1EEEvT1_
; %bb.0:
	.section	.rodata,"a",@progbits
	.p2align	6, 0x0
	.amdhsa_kernel _ZN7rocprim17ROCPRIM_400000_NS6detail17trampoline_kernelINS0_14default_configENS1_20scan_config_selectorIfEEZZNS1_9scan_implILNS1_25lookback_scan_determinismE0ELb0ELb0ES3_N6thrust23THRUST_200600_302600_NS6detail15normal_iteratorINS9_10device_ptrIfEEEENSB_INSC_IiEEEEfNS9_4plusIvEEfEEDaPvRmT3_T4_T5_mT6_P12ihipStream_tbENKUlT_T0_E_clISt17integral_constantIbLb1EESV_IbLb0EEEEDaSR_SS_EUlSR_E0_NS1_11comp_targetILNS1_3genE0ELNS1_11target_archE4294967295ELNS1_3gpuE0ELNS1_3repE0EEENS1_30default_config_static_selectorELNS0_4arch9wavefront6targetE1EEEvT1_
		.amdhsa_group_segment_fixed_size 0
		.amdhsa_private_segment_fixed_size 0
		.amdhsa_kernarg_size 32
		.amdhsa_user_sgpr_count 6
		.amdhsa_user_sgpr_private_segment_buffer 1
		.amdhsa_user_sgpr_dispatch_ptr 0
		.amdhsa_user_sgpr_queue_ptr 0
		.amdhsa_user_sgpr_kernarg_segment_ptr 1
		.amdhsa_user_sgpr_dispatch_id 0
		.amdhsa_user_sgpr_flat_scratch_init 0
		.amdhsa_user_sgpr_kernarg_preload_length 0
		.amdhsa_user_sgpr_kernarg_preload_offset 0
		.amdhsa_user_sgpr_private_segment_size 0
		.amdhsa_uses_dynamic_stack 0
		.amdhsa_system_sgpr_private_segment_wavefront_offset 0
		.amdhsa_system_sgpr_workgroup_id_x 1
		.amdhsa_system_sgpr_workgroup_id_y 0
		.amdhsa_system_sgpr_workgroup_id_z 0
		.amdhsa_system_sgpr_workgroup_info 0
		.amdhsa_system_vgpr_workitem_id 0
		.amdhsa_next_free_vgpr 1
		.amdhsa_next_free_sgpr 0
		.amdhsa_accum_offset 4
		.amdhsa_reserve_vcc 0
		.amdhsa_reserve_flat_scratch 0
		.amdhsa_float_round_mode_32 0
		.amdhsa_float_round_mode_16_64 0
		.amdhsa_float_denorm_mode_32 3
		.amdhsa_float_denorm_mode_16_64 3
		.amdhsa_dx10_clamp 1
		.amdhsa_ieee_mode 1
		.amdhsa_fp16_overflow 0
		.amdhsa_tg_split 0
		.amdhsa_exception_fp_ieee_invalid_op 0
		.amdhsa_exception_fp_denorm_src 0
		.amdhsa_exception_fp_ieee_div_zero 0
		.amdhsa_exception_fp_ieee_overflow 0
		.amdhsa_exception_fp_ieee_underflow 0
		.amdhsa_exception_fp_ieee_inexact 0
		.amdhsa_exception_int_div_zero 0
	.end_amdhsa_kernel
	.section	.text._ZN7rocprim17ROCPRIM_400000_NS6detail17trampoline_kernelINS0_14default_configENS1_20scan_config_selectorIfEEZZNS1_9scan_implILNS1_25lookback_scan_determinismE0ELb0ELb0ES3_N6thrust23THRUST_200600_302600_NS6detail15normal_iteratorINS9_10device_ptrIfEEEENSB_INSC_IiEEEEfNS9_4plusIvEEfEEDaPvRmT3_T4_T5_mT6_P12ihipStream_tbENKUlT_T0_E_clISt17integral_constantIbLb1EESV_IbLb0EEEEDaSR_SS_EUlSR_E0_NS1_11comp_targetILNS1_3genE0ELNS1_11target_archE4294967295ELNS1_3gpuE0ELNS1_3repE0EEENS1_30default_config_static_selectorELNS0_4arch9wavefront6targetE1EEEvT1_,"axG",@progbits,_ZN7rocprim17ROCPRIM_400000_NS6detail17trampoline_kernelINS0_14default_configENS1_20scan_config_selectorIfEEZZNS1_9scan_implILNS1_25lookback_scan_determinismE0ELb0ELb0ES3_N6thrust23THRUST_200600_302600_NS6detail15normal_iteratorINS9_10device_ptrIfEEEENSB_INSC_IiEEEEfNS9_4plusIvEEfEEDaPvRmT3_T4_T5_mT6_P12ihipStream_tbENKUlT_T0_E_clISt17integral_constantIbLb1EESV_IbLb0EEEEDaSR_SS_EUlSR_E0_NS1_11comp_targetILNS1_3genE0ELNS1_11target_archE4294967295ELNS1_3gpuE0ELNS1_3repE0EEENS1_30default_config_static_selectorELNS0_4arch9wavefront6targetE1EEEvT1_,comdat
.Lfunc_end1468:
	.size	_ZN7rocprim17ROCPRIM_400000_NS6detail17trampoline_kernelINS0_14default_configENS1_20scan_config_selectorIfEEZZNS1_9scan_implILNS1_25lookback_scan_determinismE0ELb0ELb0ES3_N6thrust23THRUST_200600_302600_NS6detail15normal_iteratorINS9_10device_ptrIfEEEENSB_INSC_IiEEEEfNS9_4plusIvEEfEEDaPvRmT3_T4_T5_mT6_P12ihipStream_tbENKUlT_T0_E_clISt17integral_constantIbLb1EESV_IbLb0EEEEDaSR_SS_EUlSR_E0_NS1_11comp_targetILNS1_3genE0ELNS1_11target_archE4294967295ELNS1_3gpuE0ELNS1_3repE0EEENS1_30default_config_static_selectorELNS0_4arch9wavefront6targetE1EEEvT1_, .Lfunc_end1468-_ZN7rocprim17ROCPRIM_400000_NS6detail17trampoline_kernelINS0_14default_configENS1_20scan_config_selectorIfEEZZNS1_9scan_implILNS1_25lookback_scan_determinismE0ELb0ELb0ES3_N6thrust23THRUST_200600_302600_NS6detail15normal_iteratorINS9_10device_ptrIfEEEENSB_INSC_IiEEEEfNS9_4plusIvEEfEEDaPvRmT3_T4_T5_mT6_P12ihipStream_tbENKUlT_T0_E_clISt17integral_constantIbLb1EESV_IbLb0EEEEDaSR_SS_EUlSR_E0_NS1_11comp_targetILNS1_3genE0ELNS1_11target_archE4294967295ELNS1_3gpuE0ELNS1_3repE0EEENS1_30default_config_static_selectorELNS0_4arch9wavefront6targetE1EEEvT1_
                                        ; -- End function
	.section	.AMDGPU.csdata,"",@progbits
; Kernel info:
; codeLenInByte = 0
; NumSgprs: 4
; NumVgprs: 0
; NumAgprs: 0
; TotalNumVgprs: 0
; ScratchSize: 0
; MemoryBound: 0
; FloatMode: 240
; IeeeMode: 1
; LDSByteSize: 0 bytes/workgroup (compile time only)
; SGPRBlocks: 0
; VGPRBlocks: 0
; NumSGPRsForWavesPerEU: 4
; NumVGPRsForWavesPerEU: 1
; AccumOffset: 4
; Occupancy: 8
; WaveLimiterHint : 0
; COMPUTE_PGM_RSRC2:SCRATCH_EN: 0
; COMPUTE_PGM_RSRC2:USER_SGPR: 6
; COMPUTE_PGM_RSRC2:TRAP_HANDLER: 0
; COMPUTE_PGM_RSRC2:TGID_X_EN: 1
; COMPUTE_PGM_RSRC2:TGID_Y_EN: 0
; COMPUTE_PGM_RSRC2:TGID_Z_EN: 0
; COMPUTE_PGM_RSRC2:TIDIG_COMP_CNT: 0
; COMPUTE_PGM_RSRC3_GFX90A:ACCUM_OFFSET: 0
; COMPUTE_PGM_RSRC3_GFX90A:TG_SPLIT: 0
	.section	.text._ZN7rocprim17ROCPRIM_400000_NS6detail17trampoline_kernelINS0_14default_configENS1_20scan_config_selectorIfEEZZNS1_9scan_implILNS1_25lookback_scan_determinismE0ELb0ELb0ES3_N6thrust23THRUST_200600_302600_NS6detail15normal_iteratorINS9_10device_ptrIfEEEENSB_INSC_IiEEEEfNS9_4plusIvEEfEEDaPvRmT3_T4_T5_mT6_P12ihipStream_tbENKUlT_T0_E_clISt17integral_constantIbLb1EESV_IbLb0EEEEDaSR_SS_EUlSR_E0_NS1_11comp_targetILNS1_3genE5ELNS1_11target_archE942ELNS1_3gpuE9ELNS1_3repE0EEENS1_30default_config_static_selectorELNS0_4arch9wavefront6targetE1EEEvT1_,"axG",@progbits,_ZN7rocprim17ROCPRIM_400000_NS6detail17trampoline_kernelINS0_14default_configENS1_20scan_config_selectorIfEEZZNS1_9scan_implILNS1_25lookback_scan_determinismE0ELb0ELb0ES3_N6thrust23THRUST_200600_302600_NS6detail15normal_iteratorINS9_10device_ptrIfEEEENSB_INSC_IiEEEEfNS9_4plusIvEEfEEDaPvRmT3_T4_T5_mT6_P12ihipStream_tbENKUlT_T0_E_clISt17integral_constantIbLb1EESV_IbLb0EEEEDaSR_SS_EUlSR_E0_NS1_11comp_targetILNS1_3genE5ELNS1_11target_archE942ELNS1_3gpuE9ELNS1_3repE0EEENS1_30default_config_static_selectorELNS0_4arch9wavefront6targetE1EEEvT1_,comdat
	.protected	_ZN7rocprim17ROCPRIM_400000_NS6detail17trampoline_kernelINS0_14default_configENS1_20scan_config_selectorIfEEZZNS1_9scan_implILNS1_25lookback_scan_determinismE0ELb0ELb0ES3_N6thrust23THRUST_200600_302600_NS6detail15normal_iteratorINS9_10device_ptrIfEEEENSB_INSC_IiEEEEfNS9_4plusIvEEfEEDaPvRmT3_T4_T5_mT6_P12ihipStream_tbENKUlT_T0_E_clISt17integral_constantIbLb1EESV_IbLb0EEEEDaSR_SS_EUlSR_E0_NS1_11comp_targetILNS1_3genE5ELNS1_11target_archE942ELNS1_3gpuE9ELNS1_3repE0EEENS1_30default_config_static_selectorELNS0_4arch9wavefront6targetE1EEEvT1_ ; -- Begin function _ZN7rocprim17ROCPRIM_400000_NS6detail17trampoline_kernelINS0_14default_configENS1_20scan_config_selectorIfEEZZNS1_9scan_implILNS1_25lookback_scan_determinismE0ELb0ELb0ES3_N6thrust23THRUST_200600_302600_NS6detail15normal_iteratorINS9_10device_ptrIfEEEENSB_INSC_IiEEEEfNS9_4plusIvEEfEEDaPvRmT3_T4_T5_mT6_P12ihipStream_tbENKUlT_T0_E_clISt17integral_constantIbLb1EESV_IbLb0EEEEDaSR_SS_EUlSR_E0_NS1_11comp_targetILNS1_3genE5ELNS1_11target_archE942ELNS1_3gpuE9ELNS1_3repE0EEENS1_30default_config_static_selectorELNS0_4arch9wavefront6targetE1EEEvT1_
	.globl	_ZN7rocprim17ROCPRIM_400000_NS6detail17trampoline_kernelINS0_14default_configENS1_20scan_config_selectorIfEEZZNS1_9scan_implILNS1_25lookback_scan_determinismE0ELb0ELb0ES3_N6thrust23THRUST_200600_302600_NS6detail15normal_iteratorINS9_10device_ptrIfEEEENSB_INSC_IiEEEEfNS9_4plusIvEEfEEDaPvRmT3_T4_T5_mT6_P12ihipStream_tbENKUlT_T0_E_clISt17integral_constantIbLb1EESV_IbLb0EEEEDaSR_SS_EUlSR_E0_NS1_11comp_targetILNS1_3genE5ELNS1_11target_archE942ELNS1_3gpuE9ELNS1_3repE0EEENS1_30default_config_static_selectorELNS0_4arch9wavefront6targetE1EEEvT1_
	.p2align	8
	.type	_ZN7rocprim17ROCPRIM_400000_NS6detail17trampoline_kernelINS0_14default_configENS1_20scan_config_selectorIfEEZZNS1_9scan_implILNS1_25lookback_scan_determinismE0ELb0ELb0ES3_N6thrust23THRUST_200600_302600_NS6detail15normal_iteratorINS9_10device_ptrIfEEEENSB_INSC_IiEEEEfNS9_4plusIvEEfEEDaPvRmT3_T4_T5_mT6_P12ihipStream_tbENKUlT_T0_E_clISt17integral_constantIbLb1EESV_IbLb0EEEEDaSR_SS_EUlSR_E0_NS1_11comp_targetILNS1_3genE5ELNS1_11target_archE942ELNS1_3gpuE9ELNS1_3repE0EEENS1_30default_config_static_selectorELNS0_4arch9wavefront6targetE1EEEvT1_,@function
_ZN7rocprim17ROCPRIM_400000_NS6detail17trampoline_kernelINS0_14default_configENS1_20scan_config_selectorIfEEZZNS1_9scan_implILNS1_25lookback_scan_determinismE0ELb0ELb0ES3_N6thrust23THRUST_200600_302600_NS6detail15normal_iteratorINS9_10device_ptrIfEEEENSB_INSC_IiEEEEfNS9_4plusIvEEfEEDaPvRmT3_T4_T5_mT6_P12ihipStream_tbENKUlT_T0_E_clISt17integral_constantIbLb1EESV_IbLb0EEEEDaSR_SS_EUlSR_E0_NS1_11comp_targetILNS1_3genE5ELNS1_11target_archE942ELNS1_3gpuE9ELNS1_3repE0EEENS1_30default_config_static_selectorELNS0_4arch9wavefront6targetE1EEEvT1_: ; @_ZN7rocprim17ROCPRIM_400000_NS6detail17trampoline_kernelINS0_14default_configENS1_20scan_config_selectorIfEEZZNS1_9scan_implILNS1_25lookback_scan_determinismE0ELb0ELb0ES3_N6thrust23THRUST_200600_302600_NS6detail15normal_iteratorINS9_10device_ptrIfEEEENSB_INSC_IiEEEEfNS9_4plusIvEEfEEDaPvRmT3_T4_T5_mT6_P12ihipStream_tbENKUlT_T0_E_clISt17integral_constantIbLb1EESV_IbLb0EEEEDaSR_SS_EUlSR_E0_NS1_11comp_targetILNS1_3genE5ELNS1_11target_archE942ELNS1_3gpuE9ELNS1_3repE0EEENS1_30default_config_static_selectorELNS0_4arch9wavefront6targetE1EEEvT1_
; %bb.0:
	.section	.rodata,"a",@progbits
	.p2align	6, 0x0
	.amdhsa_kernel _ZN7rocprim17ROCPRIM_400000_NS6detail17trampoline_kernelINS0_14default_configENS1_20scan_config_selectorIfEEZZNS1_9scan_implILNS1_25lookback_scan_determinismE0ELb0ELb0ES3_N6thrust23THRUST_200600_302600_NS6detail15normal_iteratorINS9_10device_ptrIfEEEENSB_INSC_IiEEEEfNS9_4plusIvEEfEEDaPvRmT3_T4_T5_mT6_P12ihipStream_tbENKUlT_T0_E_clISt17integral_constantIbLb1EESV_IbLb0EEEEDaSR_SS_EUlSR_E0_NS1_11comp_targetILNS1_3genE5ELNS1_11target_archE942ELNS1_3gpuE9ELNS1_3repE0EEENS1_30default_config_static_selectorELNS0_4arch9wavefront6targetE1EEEvT1_
		.amdhsa_group_segment_fixed_size 0
		.amdhsa_private_segment_fixed_size 0
		.amdhsa_kernarg_size 32
		.amdhsa_user_sgpr_count 6
		.amdhsa_user_sgpr_private_segment_buffer 1
		.amdhsa_user_sgpr_dispatch_ptr 0
		.amdhsa_user_sgpr_queue_ptr 0
		.amdhsa_user_sgpr_kernarg_segment_ptr 1
		.amdhsa_user_sgpr_dispatch_id 0
		.amdhsa_user_sgpr_flat_scratch_init 0
		.amdhsa_user_sgpr_kernarg_preload_length 0
		.amdhsa_user_sgpr_kernarg_preload_offset 0
		.amdhsa_user_sgpr_private_segment_size 0
		.amdhsa_uses_dynamic_stack 0
		.amdhsa_system_sgpr_private_segment_wavefront_offset 0
		.amdhsa_system_sgpr_workgroup_id_x 1
		.amdhsa_system_sgpr_workgroup_id_y 0
		.amdhsa_system_sgpr_workgroup_id_z 0
		.amdhsa_system_sgpr_workgroup_info 0
		.amdhsa_system_vgpr_workitem_id 0
		.amdhsa_next_free_vgpr 1
		.amdhsa_next_free_sgpr 0
		.amdhsa_accum_offset 4
		.amdhsa_reserve_vcc 0
		.amdhsa_reserve_flat_scratch 0
		.amdhsa_float_round_mode_32 0
		.amdhsa_float_round_mode_16_64 0
		.amdhsa_float_denorm_mode_32 3
		.amdhsa_float_denorm_mode_16_64 3
		.amdhsa_dx10_clamp 1
		.amdhsa_ieee_mode 1
		.amdhsa_fp16_overflow 0
		.amdhsa_tg_split 0
		.amdhsa_exception_fp_ieee_invalid_op 0
		.amdhsa_exception_fp_denorm_src 0
		.amdhsa_exception_fp_ieee_div_zero 0
		.amdhsa_exception_fp_ieee_overflow 0
		.amdhsa_exception_fp_ieee_underflow 0
		.amdhsa_exception_fp_ieee_inexact 0
		.amdhsa_exception_int_div_zero 0
	.end_amdhsa_kernel
	.section	.text._ZN7rocprim17ROCPRIM_400000_NS6detail17trampoline_kernelINS0_14default_configENS1_20scan_config_selectorIfEEZZNS1_9scan_implILNS1_25lookback_scan_determinismE0ELb0ELb0ES3_N6thrust23THRUST_200600_302600_NS6detail15normal_iteratorINS9_10device_ptrIfEEEENSB_INSC_IiEEEEfNS9_4plusIvEEfEEDaPvRmT3_T4_T5_mT6_P12ihipStream_tbENKUlT_T0_E_clISt17integral_constantIbLb1EESV_IbLb0EEEEDaSR_SS_EUlSR_E0_NS1_11comp_targetILNS1_3genE5ELNS1_11target_archE942ELNS1_3gpuE9ELNS1_3repE0EEENS1_30default_config_static_selectorELNS0_4arch9wavefront6targetE1EEEvT1_,"axG",@progbits,_ZN7rocprim17ROCPRIM_400000_NS6detail17trampoline_kernelINS0_14default_configENS1_20scan_config_selectorIfEEZZNS1_9scan_implILNS1_25lookback_scan_determinismE0ELb0ELb0ES3_N6thrust23THRUST_200600_302600_NS6detail15normal_iteratorINS9_10device_ptrIfEEEENSB_INSC_IiEEEEfNS9_4plusIvEEfEEDaPvRmT3_T4_T5_mT6_P12ihipStream_tbENKUlT_T0_E_clISt17integral_constantIbLb1EESV_IbLb0EEEEDaSR_SS_EUlSR_E0_NS1_11comp_targetILNS1_3genE5ELNS1_11target_archE942ELNS1_3gpuE9ELNS1_3repE0EEENS1_30default_config_static_selectorELNS0_4arch9wavefront6targetE1EEEvT1_,comdat
.Lfunc_end1469:
	.size	_ZN7rocprim17ROCPRIM_400000_NS6detail17trampoline_kernelINS0_14default_configENS1_20scan_config_selectorIfEEZZNS1_9scan_implILNS1_25lookback_scan_determinismE0ELb0ELb0ES3_N6thrust23THRUST_200600_302600_NS6detail15normal_iteratorINS9_10device_ptrIfEEEENSB_INSC_IiEEEEfNS9_4plusIvEEfEEDaPvRmT3_T4_T5_mT6_P12ihipStream_tbENKUlT_T0_E_clISt17integral_constantIbLb1EESV_IbLb0EEEEDaSR_SS_EUlSR_E0_NS1_11comp_targetILNS1_3genE5ELNS1_11target_archE942ELNS1_3gpuE9ELNS1_3repE0EEENS1_30default_config_static_selectorELNS0_4arch9wavefront6targetE1EEEvT1_, .Lfunc_end1469-_ZN7rocprim17ROCPRIM_400000_NS6detail17trampoline_kernelINS0_14default_configENS1_20scan_config_selectorIfEEZZNS1_9scan_implILNS1_25lookback_scan_determinismE0ELb0ELb0ES3_N6thrust23THRUST_200600_302600_NS6detail15normal_iteratorINS9_10device_ptrIfEEEENSB_INSC_IiEEEEfNS9_4plusIvEEfEEDaPvRmT3_T4_T5_mT6_P12ihipStream_tbENKUlT_T0_E_clISt17integral_constantIbLb1EESV_IbLb0EEEEDaSR_SS_EUlSR_E0_NS1_11comp_targetILNS1_3genE5ELNS1_11target_archE942ELNS1_3gpuE9ELNS1_3repE0EEENS1_30default_config_static_selectorELNS0_4arch9wavefront6targetE1EEEvT1_
                                        ; -- End function
	.section	.AMDGPU.csdata,"",@progbits
; Kernel info:
; codeLenInByte = 0
; NumSgprs: 4
; NumVgprs: 0
; NumAgprs: 0
; TotalNumVgprs: 0
; ScratchSize: 0
; MemoryBound: 0
; FloatMode: 240
; IeeeMode: 1
; LDSByteSize: 0 bytes/workgroup (compile time only)
; SGPRBlocks: 0
; VGPRBlocks: 0
; NumSGPRsForWavesPerEU: 4
; NumVGPRsForWavesPerEU: 1
; AccumOffset: 4
; Occupancy: 8
; WaveLimiterHint : 0
; COMPUTE_PGM_RSRC2:SCRATCH_EN: 0
; COMPUTE_PGM_RSRC2:USER_SGPR: 6
; COMPUTE_PGM_RSRC2:TRAP_HANDLER: 0
; COMPUTE_PGM_RSRC2:TGID_X_EN: 1
; COMPUTE_PGM_RSRC2:TGID_Y_EN: 0
; COMPUTE_PGM_RSRC2:TGID_Z_EN: 0
; COMPUTE_PGM_RSRC2:TIDIG_COMP_CNT: 0
; COMPUTE_PGM_RSRC3_GFX90A:ACCUM_OFFSET: 0
; COMPUTE_PGM_RSRC3_GFX90A:TG_SPLIT: 0
	.section	.text._ZN7rocprim17ROCPRIM_400000_NS6detail17trampoline_kernelINS0_14default_configENS1_20scan_config_selectorIfEEZZNS1_9scan_implILNS1_25lookback_scan_determinismE0ELb0ELb0ES3_N6thrust23THRUST_200600_302600_NS6detail15normal_iteratorINS9_10device_ptrIfEEEENSB_INSC_IiEEEEfNS9_4plusIvEEfEEDaPvRmT3_T4_T5_mT6_P12ihipStream_tbENKUlT_T0_E_clISt17integral_constantIbLb1EESV_IbLb0EEEEDaSR_SS_EUlSR_E0_NS1_11comp_targetILNS1_3genE4ELNS1_11target_archE910ELNS1_3gpuE8ELNS1_3repE0EEENS1_30default_config_static_selectorELNS0_4arch9wavefront6targetE1EEEvT1_,"axG",@progbits,_ZN7rocprim17ROCPRIM_400000_NS6detail17trampoline_kernelINS0_14default_configENS1_20scan_config_selectorIfEEZZNS1_9scan_implILNS1_25lookback_scan_determinismE0ELb0ELb0ES3_N6thrust23THRUST_200600_302600_NS6detail15normal_iteratorINS9_10device_ptrIfEEEENSB_INSC_IiEEEEfNS9_4plusIvEEfEEDaPvRmT3_T4_T5_mT6_P12ihipStream_tbENKUlT_T0_E_clISt17integral_constantIbLb1EESV_IbLb0EEEEDaSR_SS_EUlSR_E0_NS1_11comp_targetILNS1_3genE4ELNS1_11target_archE910ELNS1_3gpuE8ELNS1_3repE0EEENS1_30default_config_static_selectorELNS0_4arch9wavefront6targetE1EEEvT1_,comdat
	.protected	_ZN7rocprim17ROCPRIM_400000_NS6detail17trampoline_kernelINS0_14default_configENS1_20scan_config_selectorIfEEZZNS1_9scan_implILNS1_25lookback_scan_determinismE0ELb0ELb0ES3_N6thrust23THRUST_200600_302600_NS6detail15normal_iteratorINS9_10device_ptrIfEEEENSB_INSC_IiEEEEfNS9_4plusIvEEfEEDaPvRmT3_T4_T5_mT6_P12ihipStream_tbENKUlT_T0_E_clISt17integral_constantIbLb1EESV_IbLb0EEEEDaSR_SS_EUlSR_E0_NS1_11comp_targetILNS1_3genE4ELNS1_11target_archE910ELNS1_3gpuE8ELNS1_3repE0EEENS1_30default_config_static_selectorELNS0_4arch9wavefront6targetE1EEEvT1_ ; -- Begin function _ZN7rocprim17ROCPRIM_400000_NS6detail17trampoline_kernelINS0_14default_configENS1_20scan_config_selectorIfEEZZNS1_9scan_implILNS1_25lookback_scan_determinismE0ELb0ELb0ES3_N6thrust23THRUST_200600_302600_NS6detail15normal_iteratorINS9_10device_ptrIfEEEENSB_INSC_IiEEEEfNS9_4plusIvEEfEEDaPvRmT3_T4_T5_mT6_P12ihipStream_tbENKUlT_T0_E_clISt17integral_constantIbLb1EESV_IbLb0EEEEDaSR_SS_EUlSR_E0_NS1_11comp_targetILNS1_3genE4ELNS1_11target_archE910ELNS1_3gpuE8ELNS1_3repE0EEENS1_30default_config_static_selectorELNS0_4arch9wavefront6targetE1EEEvT1_
	.globl	_ZN7rocprim17ROCPRIM_400000_NS6detail17trampoline_kernelINS0_14default_configENS1_20scan_config_selectorIfEEZZNS1_9scan_implILNS1_25lookback_scan_determinismE0ELb0ELb0ES3_N6thrust23THRUST_200600_302600_NS6detail15normal_iteratorINS9_10device_ptrIfEEEENSB_INSC_IiEEEEfNS9_4plusIvEEfEEDaPvRmT3_T4_T5_mT6_P12ihipStream_tbENKUlT_T0_E_clISt17integral_constantIbLb1EESV_IbLb0EEEEDaSR_SS_EUlSR_E0_NS1_11comp_targetILNS1_3genE4ELNS1_11target_archE910ELNS1_3gpuE8ELNS1_3repE0EEENS1_30default_config_static_selectorELNS0_4arch9wavefront6targetE1EEEvT1_
	.p2align	8
	.type	_ZN7rocprim17ROCPRIM_400000_NS6detail17trampoline_kernelINS0_14default_configENS1_20scan_config_selectorIfEEZZNS1_9scan_implILNS1_25lookback_scan_determinismE0ELb0ELb0ES3_N6thrust23THRUST_200600_302600_NS6detail15normal_iteratorINS9_10device_ptrIfEEEENSB_INSC_IiEEEEfNS9_4plusIvEEfEEDaPvRmT3_T4_T5_mT6_P12ihipStream_tbENKUlT_T0_E_clISt17integral_constantIbLb1EESV_IbLb0EEEEDaSR_SS_EUlSR_E0_NS1_11comp_targetILNS1_3genE4ELNS1_11target_archE910ELNS1_3gpuE8ELNS1_3repE0EEENS1_30default_config_static_selectorELNS0_4arch9wavefront6targetE1EEEvT1_,@function
_ZN7rocprim17ROCPRIM_400000_NS6detail17trampoline_kernelINS0_14default_configENS1_20scan_config_selectorIfEEZZNS1_9scan_implILNS1_25lookback_scan_determinismE0ELb0ELb0ES3_N6thrust23THRUST_200600_302600_NS6detail15normal_iteratorINS9_10device_ptrIfEEEENSB_INSC_IiEEEEfNS9_4plusIvEEfEEDaPvRmT3_T4_T5_mT6_P12ihipStream_tbENKUlT_T0_E_clISt17integral_constantIbLb1EESV_IbLb0EEEEDaSR_SS_EUlSR_E0_NS1_11comp_targetILNS1_3genE4ELNS1_11target_archE910ELNS1_3gpuE8ELNS1_3repE0EEENS1_30default_config_static_selectorELNS0_4arch9wavefront6targetE1EEEvT1_: ; @_ZN7rocprim17ROCPRIM_400000_NS6detail17trampoline_kernelINS0_14default_configENS1_20scan_config_selectorIfEEZZNS1_9scan_implILNS1_25lookback_scan_determinismE0ELb0ELb0ES3_N6thrust23THRUST_200600_302600_NS6detail15normal_iteratorINS9_10device_ptrIfEEEENSB_INSC_IiEEEEfNS9_4plusIvEEfEEDaPvRmT3_T4_T5_mT6_P12ihipStream_tbENKUlT_T0_E_clISt17integral_constantIbLb1EESV_IbLb0EEEEDaSR_SS_EUlSR_E0_NS1_11comp_targetILNS1_3genE4ELNS1_11target_archE910ELNS1_3gpuE8ELNS1_3repE0EEENS1_30default_config_static_selectorELNS0_4arch9wavefront6targetE1EEEvT1_
; %bb.0:
	s_load_dwordx4 s[28:31], s[4:5], 0x0
	v_lshlrev_b32_e32 v30, 2, v0
	s_waitcnt lgkmcnt(0)
	s_load_dword s31, s[28:29], 0x0
	v_cmp_gt_u32_e32 vcc, s30, v0
	s_waitcnt lgkmcnt(0)
	v_mov_b32_e32 v1, s31
	s_and_saveexec_b64 s[0:1], vcc
	s_cbranch_execz .LBB1470_2
; %bb.1:
	global_load_dword v1, v30, s[28:29]
.LBB1470_2:
	s_or_b64 exec, exec, s[0:1]
	v_or_b32_e32 v2, 0x80, v0
	v_cmp_gt_u32_e64 s[0:1], s30, v2
	v_mov_b32_e32 v2, s31
	s_and_saveexec_b64 s[2:3], s[0:1]
	s_cbranch_execz .LBB1470_4
; %bb.3:
	global_load_dword v2, v30, s[28:29] offset:512
.LBB1470_4:
	s_or_b64 exec, exec, s[2:3]
	v_or_b32_e32 v3, 0x100, v0
	v_cmp_gt_u32_e64 s[2:3], s30, v3
	v_mov_b32_e32 v3, s31
	s_and_saveexec_b64 s[6:7], s[2:3]
	s_cbranch_execz .LBB1470_6
; %bb.5:
	global_load_dword v3, v30, s[28:29] offset:1024
.LBB1470_6:
	s_or_b64 exec, exec, s[6:7]
	v_or_b32_e32 v4, 0x180, v0
	v_cmp_gt_u32_e64 s[26:27], s30, v4
	v_mov_b32_e32 v4, s31
	s_and_saveexec_b64 s[6:7], s[26:27]
	s_cbranch_execz .LBB1470_8
; %bb.7:
	global_load_dword v4, v30, s[28:29] offset:1536
.LBB1470_8:
	s_or_b64 exec, exec, s[6:7]
	v_or_b32_e32 v5, 0x200, v0
	v_cmp_gt_u32_e64 s[6:7], s30, v5
	v_mov_b32_e32 v5, s31
	s_and_saveexec_b64 s[8:9], s[6:7]
	s_cbranch_execz .LBB1470_10
; %bb.9:
	global_load_dword v5, v30, s[28:29] offset:2048
.LBB1470_10:
	s_or_b64 exec, exec, s[8:9]
	v_or_b32_e32 v6, 0x280, v0
	v_cmp_gt_u32_e64 s[8:9], s30, v6
	v_mov_b32_e32 v6, s31
	s_and_saveexec_b64 s[10:11], s[8:9]
	s_cbranch_execz .LBB1470_12
; %bb.11:
	global_load_dword v6, v30, s[28:29] offset:2560
.LBB1470_12:
	s_or_b64 exec, exec, s[10:11]
	v_or_b32_e32 v7, 0x300, v0
	v_cmp_gt_u32_e64 s[10:11], s30, v7
	v_mov_b32_e32 v7, s31
	s_and_saveexec_b64 s[12:13], s[10:11]
	s_cbranch_execz .LBB1470_14
; %bb.13:
	global_load_dword v7, v30, s[28:29] offset:3072
.LBB1470_14:
	s_or_b64 exec, exec, s[12:13]
	v_or_b32_e32 v8, 0x380, v0
	v_cmp_gt_u32_e64 s[12:13], s30, v8
	v_mov_b32_e32 v8, s31
	s_and_saveexec_b64 s[14:15], s[12:13]
	s_cbranch_execz .LBB1470_16
; %bb.15:
	global_load_dword v8, v30, s[28:29] offset:3584
.LBB1470_16:
	s_or_b64 exec, exec, s[14:15]
	v_or_b32_e32 v10, 0x400, v0
	v_cmp_gt_u32_e64 s[14:15], s30, v10
	v_mov_b32_e32 v9, s31
	s_and_saveexec_b64 s[16:17], s[14:15]
	s_cbranch_execz .LBB1470_18
; %bb.17:
	v_lshlrev_b32_e32 v9, 2, v10
	global_load_dword v9, v9, s[28:29]
.LBB1470_18:
	s_or_b64 exec, exec, s[16:17]
	v_or_b32_e32 v11, 0x480, v0
	v_cmp_gt_u32_e64 s[16:17], s30, v11
	v_mov_b32_e32 v10, s31
	s_and_saveexec_b64 s[18:19], s[16:17]
	s_cbranch_execz .LBB1470_20
; %bb.19:
	v_lshlrev_b32_e32 v10, 2, v11
	global_load_dword v10, v10, s[28:29]
.LBB1470_20:
	s_or_b64 exec, exec, s[18:19]
	v_or_b32_e32 v12, 0x500, v0
	v_cmp_gt_u32_e64 s[18:19], s30, v12
	v_mov_b32_e32 v11, s31
	s_and_saveexec_b64 s[20:21], s[18:19]
	s_cbranch_execz .LBB1470_22
; %bb.21:
	v_lshlrev_b32_e32 v11, 2, v12
	global_load_dword v11, v11, s[28:29]
.LBB1470_22:
	s_or_b64 exec, exec, s[20:21]
	v_or_b32_e32 v13, 0x580, v0
	v_cmp_gt_u32_e64 s[20:21], s30, v13
	v_mov_b32_e32 v12, s31
	s_and_saveexec_b64 s[22:23], s[20:21]
	s_cbranch_execz .LBB1470_24
; %bb.23:
	v_lshlrev_b32_e32 v12, 2, v13
	global_load_dword v12, v12, s[28:29]
.LBB1470_24:
	s_or_b64 exec, exec, s[22:23]
	v_or_b32_e32 v14, 0x600, v0
	v_cmp_gt_u32_e64 s[22:23], s30, v14
	v_mov_b32_e32 v13, s31
	s_and_saveexec_b64 s[24:25], s[22:23]
	s_cbranch_execz .LBB1470_26
; %bb.25:
	v_lshlrev_b32_e32 v13, 2, v14
	global_load_dword v13, v13, s[28:29]
.LBB1470_26:
	s_or_b64 exec, exec, s[24:25]
	v_or_b32_e32 v15, 0x680, v0
	v_cmp_gt_u32_e64 s[24:25], s30, v15
	v_mov_b32_e32 v14, s31
	s_and_saveexec_b64 s[30:31], s[24:25]
	s_cbranch_execz .LBB1470_28
; %bb.27:
	v_lshlrev_b32_e32 v14, 2, v15
	global_load_dword v14, v14, s[28:29]
.LBB1470_28:
	s_or_b64 exec, exec, s[30:31]
	s_waitcnt vmcnt(0)
	ds_write2st64_b32 v30, v1, v2 offset1:2
	ds_write2st64_b32 v30, v3, v4 offset0:4 offset1:6
	ds_write2st64_b32 v30, v5, v6 offset0:8 offset1:10
	;; [unrolled: 1-line block ×6, first 2 shown]
	v_mad_u32_u24 v1, v0, 52, v30
	s_waitcnt lgkmcnt(0)
	s_barrier
	ds_read2_b64 v[10:13], v1 offset1:1
	ds_read2_b64 v[6:9], v1 offset0:2 offset1:3
	ds_read2_b64 v[2:5], v1 offset0:4 offset1:5
	ds_read_b64 v[28:29], v1 offset:48
	v_lshrrev_b32_e32 v18, 3, v0
	s_waitcnt lgkmcnt(3)
	v_add_f32_e32 v19, v10, v11
	v_add_f32_e32 v24, v19, v12
	v_add_f32_e32 v25, v24, v13
	s_waitcnt lgkmcnt(2)
	v_add_f32_e32 v16, v25, v6
	v_add_f32_e32 v17, v16, v7
	v_add_f32_e32 v22, v17, v8
	v_add_f32_e32 v23, v22, v9
	s_waitcnt lgkmcnt(1)
	v_add_f32_e32 v14, v23, v2
	;; [unrolled: 5-line block ×3, first 2 shown]
	v_and_b32_e32 v18, 12, v18
	v_add_f32_e32 v27, v26, v29
	v_add_u32_e32 v18, v30, v18
	v_cmp_gt_u32_e64 s[28:29], 64, v0
	s_barrier
	ds_write_b32 v18, v27
	s_waitcnt lgkmcnt(0)
	s_barrier
	s_and_saveexec_b64 s[36:37], s[28:29]
	s_cbranch_execz .LBB1470_30
; %bb.29:
	v_lshlrev_b32_e32 v18, 1, v0
	v_lshrrev_b32_e32 v31, 4, v0
	v_add_lshl_u32 v18, v31, v18, 2
	ds_read2_b32 v[32:33], v18 offset1:1
	v_mbcnt_lo_u32_b32 v31, -1, 0
	v_mbcnt_hi_u32_b32 v31, -1, v31
	v_and_b32_e32 v34, 15, v31
	v_cmp_eq_u32_e64 s[28:29], 0, v34
	s_waitcnt lgkmcnt(0)
	v_add_f32_e32 v33, v32, v33
	v_cmp_lt_u32_e64 s[30:31], 3, v34
	v_cmp_lt_u32_e64 s[34:35], 31, v31
	v_mov_b32_dpp v35, v33 row_shr:1 row_mask:0xf bank_mask:0xf
	v_add_f32_e32 v35, v33, v35
	v_cndmask_b32_e64 v33, v35, v33, s[28:29]
	v_cmp_lt_u32_e64 s[28:29], 1, v34
	s_nop 0
	v_mov_b32_dpp v35, v33 row_shr:2 row_mask:0xf bank_mask:0xf
	v_add_f32_e32 v35, v33, v35
	v_cndmask_b32_e64 v35, v33, v35, s[28:29]
	; wave barrier
	s_nop 1
	v_mov_b32_dpp v36, v35 row_shr:4 row_mask:0xf bank_mask:0xf
	v_add_f32_e32 v36, v35, v36
	v_cndmask_b32_e64 v35, v35, v36, s[30:31]
	v_cmp_lt_u32_e64 s[30:31], 7, v34
	s_nop 0
	v_mov_b32_dpp v36, v35 row_shr:8 row_mask:0xf bank_mask:0xf
	v_add_f32_e32 v36, v35, v36
	v_cndmask_b32_e64 v34, v35, v36, s[30:31]
	v_and_b32_e32 v36, 16, v31
	v_cmp_eq_u32_e64 s[30:31], 0, v36
	v_mov_b32_dpp v35, v34 row_bcast:15 row_mask:0xf bank_mask:0xf
	v_add_f32_e32 v35, v34, v35
	v_cndmask_b32_e64 v34, v35, v34, s[30:31]
	v_cmp_lt_u32_e64 s[30:31], 15, v31
	s_or_b64 s[28:29], s[30:31], s[28:29]
	v_mov_b32_dpp v35, v34 row_bcast:31 row_mask:0xf bank_mask:0xf
	v_add_f32_e32 v35, v34, v35
	v_cndmask_b32_e64 v34, v34, v35, s[34:35]
	v_cndmask_b32_e64 v33, v33, v34, s[28:29]
	v_add_u32_e32 v34, -1, v31
	v_and_b32_e32 v35, 64, v31
	v_cmp_lt_i32_e64 s[28:29], v34, v35
	v_cndmask_b32_e64 v31, v34, v31, s[28:29]
	v_lshlrev_b32_e32 v31, 2, v31
	ds_bpermute_b32 v31, v31, v33
	v_cmp_eq_u32_e64 s[28:29], 0, v0
	s_waitcnt lgkmcnt(0)
	v_add_f32_e32 v31, v32, v31
	v_cndmask_b32_e64 v31, v31, v27, s[28:29]
	ds_write_b32 v18, v31
	; wave barrier
	ds_read_b32 v32, v18 offset:4
	s_waitcnt lgkmcnt(0)
	v_add_f32_e32 v31, v31, v32
	ds_write_b32 v18, v31 offset:4
.LBB1470_30:
	s_or_b64 exec, exec, s[36:37]
	s_load_dwordx2 s[28:29], s[4:5], 0x18
	v_cmp_ne_u32_e64 s[4:5], 0, v0
	v_mov_b32_e32 v31, v27
	s_waitcnt lgkmcnt(0)
	s_barrier
	s_and_saveexec_b64 s[30:31], s[4:5]
	s_cbranch_execz .LBB1470_32
; %bb.31:
	v_add_u32_e32 v18, -1, v0
	v_lshrrev_b32_e32 v31, 5, v18
	v_add_lshl_u32 v18, v31, v18, 2
	ds_read_b32 v31, v18
.LBB1470_32:
	s_or_b64 exec, exec, s[30:31]
	v_mov_b32_e32 v18, v10
	s_and_saveexec_b64 s[30:31], s[4:5]
	s_cbranch_execz .LBB1470_34
; %bb.33:
	s_waitcnt lgkmcnt(0)
	v_add_f32_e32 v18, v10, v31
	v_add_f32_e32 v19, v11, v18
	;; [unrolled: 1-line block ×14, first 2 shown]
	;;#ASMSTART
	;;#ASMEND
.LBB1470_34:
	s_or_b64 exec, exec, s[30:31]
	s_movk_i32 s4, 0xffcc
	v_mad_i32_i24 v0, v0, s4, v1
	s_waitcnt lgkmcnt(0)
	s_barrier
	ds_write2_b64 v1, v[18:19], v[24:25] offset1:1
	ds_write2_b64 v1, v[16:17], v[22:23] offset0:2 offset1:3
	ds_write2_b64 v1, v[14:15], v[20:21] offset0:4 offset1:5
	ds_write_b64 v1, v[26:27] offset:48
	s_waitcnt lgkmcnt(0)
	s_barrier
	ds_read2st64_b32 v[12:13], v0 offset0:2 offset1:4
	ds_read2st64_b32 v[10:11], v0 offset0:6 offset1:8
	;; [unrolled: 1-line block ×4, first 2 shown]
	ds_read_b32 v14, v30 offset:4096
	ds_read2st64_b32 v[4:5], v0 offset0:20 offset1:22
	ds_read2st64_b32 v[2:3], v0 offset0:24 offset1:26
	v_mov_b32_e32 v1, s29
	v_add_co_u32_e64 v0, s[4:5], s28, v30
	v_addc_co_u32_e64 v1, s[4:5], 0, v1, s[4:5]
	s_and_saveexec_b64 s[4:5], vcc
	s_cbranch_execnz .LBB1470_49
; %bb.35:
	s_or_b64 exec, exec, s[4:5]
	s_and_saveexec_b64 s[4:5], s[0:1]
	s_cbranch_execnz .LBB1470_50
.LBB1470_36:
	s_or_b64 exec, exec, s[4:5]
	s_and_saveexec_b64 s[0:1], s[2:3]
	s_cbranch_execnz .LBB1470_51
.LBB1470_37:
	s_or_b64 exec, exec, s[0:1]
	s_and_saveexec_b64 s[0:1], s[26:27]
	s_cbranch_execnz .LBB1470_52
.LBB1470_38:
	s_or_b64 exec, exec, s[0:1]
	s_and_saveexec_b64 s[0:1], s[6:7]
	s_cbranch_execnz .LBB1470_53
.LBB1470_39:
	s_or_b64 exec, exec, s[0:1]
	s_and_saveexec_b64 s[0:1], s[8:9]
	s_cbranch_execnz .LBB1470_54
.LBB1470_40:
	s_or_b64 exec, exec, s[0:1]
	s_and_saveexec_b64 s[0:1], s[10:11]
	s_cbranch_execnz .LBB1470_55
.LBB1470_41:
	s_or_b64 exec, exec, s[0:1]
	s_and_saveexec_b64 s[0:1], s[12:13]
	s_cbranch_execnz .LBB1470_56
.LBB1470_42:
	s_or_b64 exec, exec, s[0:1]
	s_and_saveexec_b64 s[0:1], s[14:15]
	s_cbranch_execnz .LBB1470_57
.LBB1470_43:
	s_or_b64 exec, exec, s[0:1]
	s_and_saveexec_b64 s[0:1], s[16:17]
	s_cbranch_execnz .LBB1470_58
.LBB1470_44:
	s_or_b64 exec, exec, s[0:1]
	s_and_saveexec_b64 s[0:1], s[18:19]
	s_cbranch_execnz .LBB1470_59
.LBB1470_45:
	s_or_b64 exec, exec, s[0:1]
	s_and_saveexec_b64 s[0:1], s[20:21]
	s_cbranch_execnz .LBB1470_60
.LBB1470_46:
	s_or_b64 exec, exec, s[0:1]
	s_and_saveexec_b64 s[0:1], s[22:23]
	s_cbranch_execnz .LBB1470_61
.LBB1470_47:
	s_or_b64 exec, exec, s[0:1]
	s_and_saveexec_b64 s[0:1], s[24:25]
	s_cbranch_execnz .LBB1470_62
.LBB1470_48:
	s_endpgm
.LBB1470_49:
	ds_read_b32 v15, v30
	s_waitcnt lgkmcnt(0)
	v_cvt_i32_f32_e32 v15, v15
	global_store_dword v[0:1], v15, off
	s_or_b64 exec, exec, s[4:5]
	s_and_saveexec_b64 s[4:5], s[0:1]
	s_cbranch_execz .LBB1470_36
.LBB1470_50:
	s_waitcnt lgkmcnt(6)
	v_cvt_i32_f32_e32 v12, v12
	global_store_dword v[0:1], v12, off offset:512
	s_or_b64 exec, exec, s[4:5]
	s_and_saveexec_b64 s[0:1], s[2:3]
	s_cbranch_execz .LBB1470_37
.LBB1470_51:
	s_waitcnt lgkmcnt(6)
	v_cvt_i32_f32_e32 v12, v13
	global_store_dword v[0:1], v12, off offset:1024
	s_or_b64 exec, exec, s[0:1]
	s_and_saveexec_b64 s[0:1], s[26:27]
	s_cbranch_execz .LBB1470_38
.LBB1470_52:
	s_waitcnt lgkmcnt(5)
	v_cvt_i32_f32_e32 v10, v10
	global_store_dword v[0:1], v10, off offset:1536
	s_or_b64 exec, exec, s[0:1]
	s_and_saveexec_b64 s[0:1], s[6:7]
	s_cbranch_execz .LBB1470_39
.LBB1470_53:
	s_waitcnt lgkmcnt(5)
	v_cvt_i32_f32_e32 v10, v11
	global_store_dword v[0:1], v10, off offset:2048
	s_or_b64 exec, exec, s[0:1]
	s_and_saveexec_b64 s[0:1], s[8:9]
	s_cbranch_execz .LBB1470_40
.LBB1470_54:
	s_waitcnt lgkmcnt(4)
	v_cvt_i32_f32_e32 v8, v8
	global_store_dword v[0:1], v8, off offset:2560
	s_or_b64 exec, exec, s[0:1]
	s_and_saveexec_b64 s[0:1], s[10:11]
	s_cbranch_execz .LBB1470_41
.LBB1470_55:
	s_waitcnt lgkmcnt(4)
	v_cvt_i32_f32_e32 v8, v9
	global_store_dword v[0:1], v8, off offset:3072
	s_or_b64 exec, exec, s[0:1]
	s_and_saveexec_b64 s[0:1], s[12:13]
	s_cbranch_execz .LBB1470_42
.LBB1470_56:
	s_waitcnt lgkmcnt(3)
	v_cvt_i32_f32_e32 v6, v6
	global_store_dword v[0:1], v6, off offset:3584
	s_or_b64 exec, exec, s[0:1]
	s_and_saveexec_b64 s[0:1], s[14:15]
	s_cbranch_execz .LBB1470_43
.LBB1470_57:
	s_waitcnt lgkmcnt(2)
	v_cvt_i32_f32_e32 v6, v14
	v_add_co_u32_e32 v8, vcc, 0x1000, v0
	v_addc_co_u32_e32 v9, vcc, 0, v1, vcc
	global_store_dword v[8:9], v6, off
	s_or_b64 exec, exec, s[0:1]
	s_and_saveexec_b64 s[0:1], s[16:17]
	s_cbranch_execz .LBB1470_44
.LBB1470_58:
	s_waitcnt lgkmcnt(3)
	v_cvt_i32_f32_e32 v8, v7
	v_add_co_u32_e32 v6, vcc, 0x1000, v0
	v_addc_co_u32_e32 v7, vcc, 0, v1, vcc
	global_store_dword v[6:7], v8, off offset:512
	s_or_b64 exec, exec, s[0:1]
	s_and_saveexec_b64 s[0:1], s[18:19]
	s_cbranch_execz .LBB1470_45
.LBB1470_59:
	s_waitcnt lgkmcnt(1)
	v_cvt_i32_f32_e32 v4, v4
	v_add_co_u32_e32 v6, vcc, 0x1000, v0
	v_addc_co_u32_e32 v7, vcc, 0, v1, vcc
	global_store_dword v[6:7], v4, off offset:1024
	s_or_b64 exec, exec, s[0:1]
	s_and_saveexec_b64 s[0:1], s[20:21]
	s_cbranch_execz .LBB1470_46
.LBB1470_60:
	s_waitcnt lgkmcnt(1)
	v_cvt_i32_f32_e32 v6, v5
	v_add_co_u32_e32 v4, vcc, 0x1000, v0
	v_addc_co_u32_e32 v5, vcc, 0, v1, vcc
	global_store_dword v[4:5], v6, off offset:1536
	s_or_b64 exec, exec, s[0:1]
	s_and_saveexec_b64 s[0:1], s[22:23]
	s_cbranch_execz .LBB1470_47
.LBB1470_61:
	s_waitcnt lgkmcnt(0)
	v_cvt_i32_f32_e32 v2, v2
	v_add_co_u32_e32 v4, vcc, 0x1000, v0
	v_addc_co_u32_e32 v5, vcc, 0, v1, vcc
	global_store_dword v[4:5], v2, off offset:2048
	s_or_b64 exec, exec, s[0:1]
	s_and_saveexec_b64 s[0:1], s[24:25]
	s_cbranch_execz .LBB1470_48
.LBB1470_62:
	s_waitcnt lgkmcnt(0)
	v_cvt_i32_f32_e32 v2, v3
	v_add_co_u32_e32 v0, vcc, 0x1000, v0
	v_addc_co_u32_e32 v1, vcc, 0, v1, vcc
	global_store_dword v[0:1], v2, off offset:2560
	s_endpgm
	.section	.rodata,"a",@progbits
	.p2align	6, 0x0
	.amdhsa_kernel _ZN7rocprim17ROCPRIM_400000_NS6detail17trampoline_kernelINS0_14default_configENS1_20scan_config_selectorIfEEZZNS1_9scan_implILNS1_25lookback_scan_determinismE0ELb0ELb0ES3_N6thrust23THRUST_200600_302600_NS6detail15normal_iteratorINS9_10device_ptrIfEEEENSB_INSC_IiEEEEfNS9_4plusIvEEfEEDaPvRmT3_T4_T5_mT6_P12ihipStream_tbENKUlT_T0_E_clISt17integral_constantIbLb1EESV_IbLb0EEEEDaSR_SS_EUlSR_E0_NS1_11comp_targetILNS1_3genE4ELNS1_11target_archE910ELNS1_3gpuE8ELNS1_3repE0EEENS1_30default_config_static_selectorELNS0_4arch9wavefront6targetE1EEEvT1_
		.amdhsa_group_segment_fixed_size 7168
		.amdhsa_private_segment_fixed_size 0
		.amdhsa_kernarg_size 32
		.amdhsa_user_sgpr_count 6
		.amdhsa_user_sgpr_private_segment_buffer 1
		.amdhsa_user_sgpr_dispatch_ptr 0
		.amdhsa_user_sgpr_queue_ptr 0
		.amdhsa_user_sgpr_kernarg_segment_ptr 1
		.amdhsa_user_sgpr_dispatch_id 0
		.amdhsa_user_sgpr_flat_scratch_init 0
		.amdhsa_user_sgpr_kernarg_preload_length 0
		.amdhsa_user_sgpr_kernarg_preload_offset 0
		.amdhsa_user_sgpr_private_segment_size 0
		.amdhsa_uses_dynamic_stack 0
		.amdhsa_system_sgpr_private_segment_wavefront_offset 0
		.amdhsa_system_sgpr_workgroup_id_x 1
		.amdhsa_system_sgpr_workgroup_id_y 0
		.amdhsa_system_sgpr_workgroup_id_z 0
		.amdhsa_system_sgpr_workgroup_info 0
		.amdhsa_system_vgpr_workitem_id 0
		.amdhsa_next_free_vgpr 37
		.amdhsa_next_free_sgpr 38
		.amdhsa_accum_offset 40
		.amdhsa_reserve_vcc 1
		.amdhsa_reserve_flat_scratch 0
		.amdhsa_float_round_mode_32 0
		.amdhsa_float_round_mode_16_64 0
		.amdhsa_float_denorm_mode_32 3
		.amdhsa_float_denorm_mode_16_64 3
		.amdhsa_dx10_clamp 1
		.amdhsa_ieee_mode 1
		.amdhsa_fp16_overflow 0
		.amdhsa_tg_split 0
		.amdhsa_exception_fp_ieee_invalid_op 0
		.amdhsa_exception_fp_denorm_src 0
		.amdhsa_exception_fp_ieee_div_zero 0
		.amdhsa_exception_fp_ieee_overflow 0
		.amdhsa_exception_fp_ieee_underflow 0
		.amdhsa_exception_fp_ieee_inexact 0
		.amdhsa_exception_int_div_zero 0
	.end_amdhsa_kernel
	.section	.text._ZN7rocprim17ROCPRIM_400000_NS6detail17trampoline_kernelINS0_14default_configENS1_20scan_config_selectorIfEEZZNS1_9scan_implILNS1_25lookback_scan_determinismE0ELb0ELb0ES3_N6thrust23THRUST_200600_302600_NS6detail15normal_iteratorINS9_10device_ptrIfEEEENSB_INSC_IiEEEEfNS9_4plusIvEEfEEDaPvRmT3_T4_T5_mT6_P12ihipStream_tbENKUlT_T0_E_clISt17integral_constantIbLb1EESV_IbLb0EEEEDaSR_SS_EUlSR_E0_NS1_11comp_targetILNS1_3genE4ELNS1_11target_archE910ELNS1_3gpuE8ELNS1_3repE0EEENS1_30default_config_static_selectorELNS0_4arch9wavefront6targetE1EEEvT1_,"axG",@progbits,_ZN7rocprim17ROCPRIM_400000_NS6detail17trampoline_kernelINS0_14default_configENS1_20scan_config_selectorIfEEZZNS1_9scan_implILNS1_25lookback_scan_determinismE0ELb0ELb0ES3_N6thrust23THRUST_200600_302600_NS6detail15normal_iteratorINS9_10device_ptrIfEEEENSB_INSC_IiEEEEfNS9_4plusIvEEfEEDaPvRmT3_T4_T5_mT6_P12ihipStream_tbENKUlT_T0_E_clISt17integral_constantIbLb1EESV_IbLb0EEEEDaSR_SS_EUlSR_E0_NS1_11comp_targetILNS1_3genE4ELNS1_11target_archE910ELNS1_3gpuE8ELNS1_3repE0EEENS1_30default_config_static_selectorELNS0_4arch9wavefront6targetE1EEEvT1_,comdat
.Lfunc_end1470:
	.size	_ZN7rocprim17ROCPRIM_400000_NS6detail17trampoline_kernelINS0_14default_configENS1_20scan_config_selectorIfEEZZNS1_9scan_implILNS1_25lookback_scan_determinismE0ELb0ELb0ES3_N6thrust23THRUST_200600_302600_NS6detail15normal_iteratorINS9_10device_ptrIfEEEENSB_INSC_IiEEEEfNS9_4plusIvEEfEEDaPvRmT3_T4_T5_mT6_P12ihipStream_tbENKUlT_T0_E_clISt17integral_constantIbLb1EESV_IbLb0EEEEDaSR_SS_EUlSR_E0_NS1_11comp_targetILNS1_3genE4ELNS1_11target_archE910ELNS1_3gpuE8ELNS1_3repE0EEENS1_30default_config_static_selectorELNS0_4arch9wavefront6targetE1EEEvT1_, .Lfunc_end1470-_ZN7rocprim17ROCPRIM_400000_NS6detail17trampoline_kernelINS0_14default_configENS1_20scan_config_selectorIfEEZZNS1_9scan_implILNS1_25lookback_scan_determinismE0ELb0ELb0ES3_N6thrust23THRUST_200600_302600_NS6detail15normal_iteratorINS9_10device_ptrIfEEEENSB_INSC_IiEEEEfNS9_4plusIvEEfEEDaPvRmT3_T4_T5_mT6_P12ihipStream_tbENKUlT_T0_E_clISt17integral_constantIbLb1EESV_IbLb0EEEEDaSR_SS_EUlSR_E0_NS1_11comp_targetILNS1_3genE4ELNS1_11target_archE910ELNS1_3gpuE8ELNS1_3repE0EEENS1_30default_config_static_selectorELNS0_4arch9wavefront6targetE1EEEvT1_
                                        ; -- End function
	.section	.AMDGPU.csdata,"",@progbits
; Kernel info:
; codeLenInByte = 2084
; NumSgprs: 42
; NumVgprs: 37
; NumAgprs: 0
; TotalNumVgprs: 37
; ScratchSize: 0
; MemoryBound: 0
; FloatMode: 240
; IeeeMode: 1
; LDSByteSize: 7168 bytes/workgroup (compile time only)
; SGPRBlocks: 5
; VGPRBlocks: 4
; NumSGPRsForWavesPerEU: 42
; NumVGPRsForWavesPerEU: 37
; AccumOffset: 40
; Occupancy: 5
; WaveLimiterHint : 0
; COMPUTE_PGM_RSRC2:SCRATCH_EN: 0
; COMPUTE_PGM_RSRC2:USER_SGPR: 6
; COMPUTE_PGM_RSRC2:TRAP_HANDLER: 0
; COMPUTE_PGM_RSRC2:TGID_X_EN: 1
; COMPUTE_PGM_RSRC2:TGID_Y_EN: 0
; COMPUTE_PGM_RSRC2:TGID_Z_EN: 0
; COMPUTE_PGM_RSRC2:TIDIG_COMP_CNT: 0
; COMPUTE_PGM_RSRC3_GFX90A:ACCUM_OFFSET: 9
; COMPUTE_PGM_RSRC3_GFX90A:TG_SPLIT: 0
	.section	.text._ZN7rocprim17ROCPRIM_400000_NS6detail17trampoline_kernelINS0_14default_configENS1_20scan_config_selectorIfEEZZNS1_9scan_implILNS1_25lookback_scan_determinismE0ELb0ELb0ES3_N6thrust23THRUST_200600_302600_NS6detail15normal_iteratorINS9_10device_ptrIfEEEENSB_INSC_IiEEEEfNS9_4plusIvEEfEEDaPvRmT3_T4_T5_mT6_P12ihipStream_tbENKUlT_T0_E_clISt17integral_constantIbLb1EESV_IbLb0EEEEDaSR_SS_EUlSR_E0_NS1_11comp_targetILNS1_3genE3ELNS1_11target_archE908ELNS1_3gpuE7ELNS1_3repE0EEENS1_30default_config_static_selectorELNS0_4arch9wavefront6targetE1EEEvT1_,"axG",@progbits,_ZN7rocprim17ROCPRIM_400000_NS6detail17trampoline_kernelINS0_14default_configENS1_20scan_config_selectorIfEEZZNS1_9scan_implILNS1_25lookback_scan_determinismE0ELb0ELb0ES3_N6thrust23THRUST_200600_302600_NS6detail15normal_iteratorINS9_10device_ptrIfEEEENSB_INSC_IiEEEEfNS9_4plusIvEEfEEDaPvRmT3_T4_T5_mT6_P12ihipStream_tbENKUlT_T0_E_clISt17integral_constantIbLb1EESV_IbLb0EEEEDaSR_SS_EUlSR_E0_NS1_11comp_targetILNS1_3genE3ELNS1_11target_archE908ELNS1_3gpuE7ELNS1_3repE0EEENS1_30default_config_static_selectorELNS0_4arch9wavefront6targetE1EEEvT1_,comdat
	.protected	_ZN7rocprim17ROCPRIM_400000_NS6detail17trampoline_kernelINS0_14default_configENS1_20scan_config_selectorIfEEZZNS1_9scan_implILNS1_25lookback_scan_determinismE0ELb0ELb0ES3_N6thrust23THRUST_200600_302600_NS6detail15normal_iteratorINS9_10device_ptrIfEEEENSB_INSC_IiEEEEfNS9_4plusIvEEfEEDaPvRmT3_T4_T5_mT6_P12ihipStream_tbENKUlT_T0_E_clISt17integral_constantIbLb1EESV_IbLb0EEEEDaSR_SS_EUlSR_E0_NS1_11comp_targetILNS1_3genE3ELNS1_11target_archE908ELNS1_3gpuE7ELNS1_3repE0EEENS1_30default_config_static_selectorELNS0_4arch9wavefront6targetE1EEEvT1_ ; -- Begin function _ZN7rocprim17ROCPRIM_400000_NS6detail17trampoline_kernelINS0_14default_configENS1_20scan_config_selectorIfEEZZNS1_9scan_implILNS1_25lookback_scan_determinismE0ELb0ELb0ES3_N6thrust23THRUST_200600_302600_NS6detail15normal_iteratorINS9_10device_ptrIfEEEENSB_INSC_IiEEEEfNS9_4plusIvEEfEEDaPvRmT3_T4_T5_mT6_P12ihipStream_tbENKUlT_T0_E_clISt17integral_constantIbLb1EESV_IbLb0EEEEDaSR_SS_EUlSR_E0_NS1_11comp_targetILNS1_3genE3ELNS1_11target_archE908ELNS1_3gpuE7ELNS1_3repE0EEENS1_30default_config_static_selectorELNS0_4arch9wavefront6targetE1EEEvT1_
	.globl	_ZN7rocprim17ROCPRIM_400000_NS6detail17trampoline_kernelINS0_14default_configENS1_20scan_config_selectorIfEEZZNS1_9scan_implILNS1_25lookback_scan_determinismE0ELb0ELb0ES3_N6thrust23THRUST_200600_302600_NS6detail15normal_iteratorINS9_10device_ptrIfEEEENSB_INSC_IiEEEEfNS9_4plusIvEEfEEDaPvRmT3_T4_T5_mT6_P12ihipStream_tbENKUlT_T0_E_clISt17integral_constantIbLb1EESV_IbLb0EEEEDaSR_SS_EUlSR_E0_NS1_11comp_targetILNS1_3genE3ELNS1_11target_archE908ELNS1_3gpuE7ELNS1_3repE0EEENS1_30default_config_static_selectorELNS0_4arch9wavefront6targetE1EEEvT1_
	.p2align	8
	.type	_ZN7rocprim17ROCPRIM_400000_NS6detail17trampoline_kernelINS0_14default_configENS1_20scan_config_selectorIfEEZZNS1_9scan_implILNS1_25lookback_scan_determinismE0ELb0ELb0ES3_N6thrust23THRUST_200600_302600_NS6detail15normal_iteratorINS9_10device_ptrIfEEEENSB_INSC_IiEEEEfNS9_4plusIvEEfEEDaPvRmT3_T4_T5_mT6_P12ihipStream_tbENKUlT_T0_E_clISt17integral_constantIbLb1EESV_IbLb0EEEEDaSR_SS_EUlSR_E0_NS1_11comp_targetILNS1_3genE3ELNS1_11target_archE908ELNS1_3gpuE7ELNS1_3repE0EEENS1_30default_config_static_selectorELNS0_4arch9wavefront6targetE1EEEvT1_,@function
_ZN7rocprim17ROCPRIM_400000_NS6detail17trampoline_kernelINS0_14default_configENS1_20scan_config_selectorIfEEZZNS1_9scan_implILNS1_25lookback_scan_determinismE0ELb0ELb0ES3_N6thrust23THRUST_200600_302600_NS6detail15normal_iteratorINS9_10device_ptrIfEEEENSB_INSC_IiEEEEfNS9_4plusIvEEfEEDaPvRmT3_T4_T5_mT6_P12ihipStream_tbENKUlT_T0_E_clISt17integral_constantIbLb1EESV_IbLb0EEEEDaSR_SS_EUlSR_E0_NS1_11comp_targetILNS1_3genE3ELNS1_11target_archE908ELNS1_3gpuE7ELNS1_3repE0EEENS1_30default_config_static_selectorELNS0_4arch9wavefront6targetE1EEEvT1_: ; @_ZN7rocprim17ROCPRIM_400000_NS6detail17trampoline_kernelINS0_14default_configENS1_20scan_config_selectorIfEEZZNS1_9scan_implILNS1_25lookback_scan_determinismE0ELb0ELb0ES3_N6thrust23THRUST_200600_302600_NS6detail15normal_iteratorINS9_10device_ptrIfEEEENSB_INSC_IiEEEEfNS9_4plusIvEEfEEDaPvRmT3_T4_T5_mT6_P12ihipStream_tbENKUlT_T0_E_clISt17integral_constantIbLb1EESV_IbLb0EEEEDaSR_SS_EUlSR_E0_NS1_11comp_targetILNS1_3genE3ELNS1_11target_archE908ELNS1_3gpuE7ELNS1_3repE0EEENS1_30default_config_static_selectorELNS0_4arch9wavefront6targetE1EEEvT1_
; %bb.0:
	.section	.rodata,"a",@progbits
	.p2align	6, 0x0
	.amdhsa_kernel _ZN7rocprim17ROCPRIM_400000_NS6detail17trampoline_kernelINS0_14default_configENS1_20scan_config_selectorIfEEZZNS1_9scan_implILNS1_25lookback_scan_determinismE0ELb0ELb0ES3_N6thrust23THRUST_200600_302600_NS6detail15normal_iteratorINS9_10device_ptrIfEEEENSB_INSC_IiEEEEfNS9_4plusIvEEfEEDaPvRmT3_T4_T5_mT6_P12ihipStream_tbENKUlT_T0_E_clISt17integral_constantIbLb1EESV_IbLb0EEEEDaSR_SS_EUlSR_E0_NS1_11comp_targetILNS1_3genE3ELNS1_11target_archE908ELNS1_3gpuE7ELNS1_3repE0EEENS1_30default_config_static_selectorELNS0_4arch9wavefront6targetE1EEEvT1_
		.amdhsa_group_segment_fixed_size 0
		.amdhsa_private_segment_fixed_size 0
		.amdhsa_kernarg_size 32
		.amdhsa_user_sgpr_count 6
		.amdhsa_user_sgpr_private_segment_buffer 1
		.amdhsa_user_sgpr_dispatch_ptr 0
		.amdhsa_user_sgpr_queue_ptr 0
		.amdhsa_user_sgpr_kernarg_segment_ptr 1
		.amdhsa_user_sgpr_dispatch_id 0
		.amdhsa_user_sgpr_flat_scratch_init 0
		.amdhsa_user_sgpr_kernarg_preload_length 0
		.amdhsa_user_sgpr_kernarg_preload_offset 0
		.amdhsa_user_sgpr_private_segment_size 0
		.amdhsa_uses_dynamic_stack 0
		.amdhsa_system_sgpr_private_segment_wavefront_offset 0
		.amdhsa_system_sgpr_workgroup_id_x 1
		.amdhsa_system_sgpr_workgroup_id_y 0
		.amdhsa_system_sgpr_workgroup_id_z 0
		.amdhsa_system_sgpr_workgroup_info 0
		.amdhsa_system_vgpr_workitem_id 0
		.amdhsa_next_free_vgpr 1
		.amdhsa_next_free_sgpr 0
		.amdhsa_accum_offset 4
		.amdhsa_reserve_vcc 0
		.amdhsa_reserve_flat_scratch 0
		.amdhsa_float_round_mode_32 0
		.amdhsa_float_round_mode_16_64 0
		.amdhsa_float_denorm_mode_32 3
		.amdhsa_float_denorm_mode_16_64 3
		.amdhsa_dx10_clamp 1
		.amdhsa_ieee_mode 1
		.amdhsa_fp16_overflow 0
		.amdhsa_tg_split 0
		.amdhsa_exception_fp_ieee_invalid_op 0
		.amdhsa_exception_fp_denorm_src 0
		.amdhsa_exception_fp_ieee_div_zero 0
		.amdhsa_exception_fp_ieee_overflow 0
		.amdhsa_exception_fp_ieee_underflow 0
		.amdhsa_exception_fp_ieee_inexact 0
		.amdhsa_exception_int_div_zero 0
	.end_amdhsa_kernel
	.section	.text._ZN7rocprim17ROCPRIM_400000_NS6detail17trampoline_kernelINS0_14default_configENS1_20scan_config_selectorIfEEZZNS1_9scan_implILNS1_25lookback_scan_determinismE0ELb0ELb0ES3_N6thrust23THRUST_200600_302600_NS6detail15normal_iteratorINS9_10device_ptrIfEEEENSB_INSC_IiEEEEfNS9_4plusIvEEfEEDaPvRmT3_T4_T5_mT6_P12ihipStream_tbENKUlT_T0_E_clISt17integral_constantIbLb1EESV_IbLb0EEEEDaSR_SS_EUlSR_E0_NS1_11comp_targetILNS1_3genE3ELNS1_11target_archE908ELNS1_3gpuE7ELNS1_3repE0EEENS1_30default_config_static_selectorELNS0_4arch9wavefront6targetE1EEEvT1_,"axG",@progbits,_ZN7rocprim17ROCPRIM_400000_NS6detail17trampoline_kernelINS0_14default_configENS1_20scan_config_selectorIfEEZZNS1_9scan_implILNS1_25lookback_scan_determinismE0ELb0ELb0ES3_N6thrust23THRUST_200600_302600_NS6detail15normal_iteratorINS9_10device_ptrIfEEEENSB_INSC_IiEEEEfNS9_4plusIvEEfEEDaPvRmT3_T4_T5_mT6_P12ihipStream_tbENKUlT_T0_E_clISt17integral_constantIbLb1EESV_IbLb0EEEEDaSR_SS_EUlSR_E0_NS1_11comp_targetILNS1_3genE3ELNS1_11target_archE908ELNS1_3gpuE7ELNS1_3repE0EEENS1_30default_config_static_selectorELNS0_4arch9wavefront6targetE1EEEvT1_,comdat
.Lfunc_end1471:
	.size	_ZN7rocprim17ROCPRIM_400000_NS6detail17trampoline_kernelINS0_14default_configENS1_20scan_config_selectorIfEEZZNS1_9scan_implILNS1_25lookback_scan_determinismE0ELb0ELb0ES3_N6thrust23THRUST_200600_302600_NS6detail15normal_iteratorINS9_10device_ptrIfEEEENSB_INSC_IiEEEEfNS9_4plusIvEEfEEDaPvRmT3_T4_T5_mT6_P12ihipStream_tbENKUlT_T0_E_clISt17integral_constantIbLb1EESV_IbLb0EEEEDaSR_SS_EUlSR_E0_NS1_11comp_targetILNS1_3genE3ELNS1_11target_archE908ELNS1_3gpuE7ELNS1_3repE0EEENS1_30default_config_static_selectorELNS0_4arch9wavefront6targetE1EEEvT1_, .Lfunc_end1471-_ZN7rocprim17ROCPRIM_400000_NS6detail17trampoline_kernelINS0_14default_configENS1_20scan_config_selectorIfEEZZNS1_9scan_implILNS1_25lookback_scan_determinismE0ELb0ELb0ES3_N6thrust23THRUST_200600_302600_NS6detail15normal_iteratorINS9_10device_ptrIfEEEENSB_INSC_IiEEEEfNS9_4plusIvEEfEEDaPvRmT3_T4_T5_mT6_P12ihipStream_tbENKUlT_T0_E_clISt17integral_constantIbLb1EESV_IbLb0EEEEDaSR_SS_EUlSR_E0_NS1_11comp_targetILNS1_3genE3ELNS1_11target_archE908ELNS1_3gpuE7ELNS1_3repE0EEENS1_30default_config_static_selectorELNS0_4arch9wavefront6targetE1EEEvT1_
                                        ; -- End function
	.section	.AMDGPU.csdata,"",@progbits
; Kernel info:
; codeLenInByte = 0
; NumSgprs: 4
; NumVgprs: 0
; NumAgprs: 0
; TotalNumVgprs: 0
; ScratchSize: 0
; MemoryBound: 0
; FloatMode: 240
; IeeeMode: 1
; LDSByteSize: 0 bytes/workgroup (compile time only)
; SGPRBlocks: 0
; VGPRBlocks: 0
; NumSGPRsForWavesPerEU: 4
; NumVGPRsForWavesPerEU: 1
; AccumOffset: 4
; Occupancy: 8
; WaveLimiterHint : 0
; COMPUTE_PGM_RSRC2:SCRATCH_EN: 0
; COMPUTE_PGM_RSRC2:USER_SGPR: 6
; COMPUTE_PGM_RSRC2:TRAP_HANDLER: 0
; COMPUTE_PGM_RSRC2:TGID_X_EN: 1
; COMPUTE_PGM_RSRC2:TGID_Y_EN: 0
; COMPUTE_PGM_RSRC2:TGID_Z_EN: 0
; COMPUTE_PGM_RSRC2:TIDIG_COMP_CNT: 0
; COMPUTE_PGM_RSRC3_GFX90A:ACCUM_OFFSET: 0
; COMPUTE_PGM_RSRC3_GFX90A:TG_SPLIT: 0
	.section	.text._ZN7rocprim17ROCPRIM_400000_NS6detail17trampoline_kernelINS0_14default_configENS1_20scan_config_selectorIfEEZZNS1_9scan_implILNS1_25lookback_scan_determinismE0ELb0ELb0ES3_N6thrust23THRUST_200600_302600_NS6detail15normal_iteratorINS9_10device_ptrIfEEEENSB_INSC_IiEEEEfNS9_4plusIvEEfEEDaPvRmT3_T4_T5_mT6_P12ihipStream_tbENKUlT_T0_E_clISt17integral_constantIbLb1EESV_IbLb0EEEEDaSR_SS_EUlSR_E0_NS1_11comp_targetILNS1_3genE2ELNS1_11target_archE906ELNS1_3gpuE6ELNS1_3repE0EEENS1_30default_config_static_selectorELNS0_4arch9wavefront6targetE1EEEvT1_,"axG",@progbits,_ZN7rocprim17ROCPRIM_400000_NS6detail17trampoline_kernelINS0_14default_configENS1_20scan_config_selectorIfEEZZNS1_9scan_implILNS1_25lookback_scan_determinismE0ELb0ELb0ES3_N6thrust23THRUST_200600_302600_NS6detail15normal_iteratorINS9_10device_ptrIfEEEENSB_INSC_IiEEEEfNS9_4plusIvEEfEEDaPvRmT3_T4_T5_mT6_P12ihipStream_tbENKUlT_T0_E_clISt17integral_constantIbLb1EESV_IbLb0EEEEDaSR_SS_EUlSR_E0_NS1_11comp_targetILNS1_3genE2ELNS1_11target_archE906ELNS1_3gpuE6ELNS1_3repE0EEENS1_30default_config_static_selectorELNS0_4arch9wavefront6targetE1EEEvT1_,comdat
	.protected	_ZN7rocprim17ROCPRIM_400000_NS6detail17trampoline_kernelINS0_14default_configENS1_20scan_config_selectorIfEEZZNS1_9scan_implILNS1_25lookback_scan_determinismE0ELb0ELb0ES3_N6thrust23THRUST_200600_302600_NS6detail15normal_iteratorINS9_10device_ptrIfEEEENSB_INSC_IiEEEEfNS9_4plusIvEEfEEDaPvRmT3_T4_T5_mT6_P12ihipStream_tbENKUlT_T0_E_clISt17integral_constantIbLb1EESV_IbLb0EEEEDaSR_SS_EUlSR_E0_NS1_11comp_targetILNS1_3genE2ELNS1_11target_archE906ELNS1_3gpuE6ELNS1_3repE0EEENS1_30default_config_static_selectorELNS0_4arch9wavefront6targetE1EEEvT1_ ; -- Begin function _ZN7rocprim17ROCPRIM_400000_NS6detail17trampoline_kernelINS0_14default_configENS1_20scan_config_selectorIfEEZZNS1_9scan_implILNS1_25lookback_scan_determinismE0ELb0ELb0ES3_N6thrust23THRUST_200600_302600_NS6detail15normal_iteratorINS9_10device_ptrIfEEEENSB_INSC_IiEEEEfNS9_4plusIvEEfEEDaPvRmT3_T4_T5_mT6_P12ihipStream_tbENKUlT_T0_E_clISt17integral_constantIbLb1EESV_IbLb0EEEEDaSR_SS_EUlSR_E0_NS1_11comp_targetILNS1_3genE2ELNS1_11target_archE906ELNS1_3gpuE6ELNS1_3repE0EEENS1_30default_config_static_selectorELNS0_4arch9wavefront6targetE1EEEvT1_
	.globl	_ZN7rocprim17ROCPRIM_400000_NS6detail17trampoline_kernelINS0_14default_configENS1_20scan_config_selectorIfEEZZNS1_9scan_implILNS1_25lookback_scan_determinismE0ELb0ELb0ES3_N6thrust23THRUST_200600_302600_NS6detail15normal_iteratorINS9_10device_ptrIfEEEENSB_INSC_IiEEEEfNS9_4plusIvEEfEEDaPvRmT3_T4_T5_mT6_P12ihipStream_tbENKUlT_T0_E_clISt17integral_constantIbLb1EESV_IbLb0EEEEDaSR_SS_EUlSR_E0_NS1_11comp_targetILNS1_3genE2ELNS1_11target_archE906ELNS1_3gpuE6ELNS1_3repE0EEENS1_30default_config_static_selectorELNS0_4arch9wavefront6targetE1EEEvT1_
	.p2align	8
	.type	_ZN7rocprim17ROCPRIM_400000_NS6detail17trampoline_kernelINS0_14default_configENS1_20scan_config_selectorIfEEZZNS1_9scan_implILNS1_25lookback_scan_determinismE0ELb0ELb0ES3_N6thrust23THRUST_200600_302600_NS6detail15normal_iteratorINS9_10device_ptrIfEEEENSB_INSC_IiEEEEfNS9_4plusIvEEfEEDaPvRmT3_T4_T5_mT6_P12ihipStream_tbENKUlT_T0_E_clISt17integral_constantIbLb1EESV_IbLb0EEEEDaSR_SS_EUlSR_E0_NS1_11comp_targetILNS1_3genE2ELNS1_11target_archE906ELNS1_3gpuE6ELNS1_3repE0EEENS1_30default_config_static_selectorELNS0_4arch9wavefront6targetE1EEEvT1_,@function
_ZN7rocprim17ROCPRIM_400000_NS6detail17trampoline_kernelINS0_14default_configENS1_20scan_config_selectorIfEEZZNS1_9scan_implILNS1_25lookback_scan_determinismE0ELb0ELb0ES3_N6thrust23THRUST_200600_302600_NS6detail15normal_iteratorINS9_10device_ptrIfEEEENSB_INSC_IiEEEEfNS9_4plusIvEEfEEDaPvRmT3_T4_T5_mT6_P12ihipStream_tbENKUlT_T0_E_clISt17integral_constantIbLb1EESV_IbLb0EEEEDaSR_SS_EUlSR_E0_NS1_11comp_targetILNS1_3genE2ELNS1_11target_archE906ELNS1_3gpuE6ELNS1_3repE0EEENS1_30default_config_static_selectorELNS0_4arch9wavefront6targetE1EEEvT1_: ; @_ZN7rocprim17ROCPRIM_400000_NS6detail17trampoline_kernelINS0_14default_configENS1_20scan_config_selectorIfEEZZNS1_9scan_implILNS1_25lookback_scan_determinismE0ELb0ELb0ES3_N6thrust23THRUST_200600_302600_NS6detail15normal_iteratorINS9_10device_ptrIfEEEENSB_INSC_IiEEEEfNS9_4plusIvEEfEEDaPvRmT3_T4_T5_mT6_P12ihipStream_tbENKUlT_T0_E_clISt17integral_constantIbLb1EESV_IbLb0EEEEDaSR_SS_EUlSR_E0_NS1_11comp_targetILNS1_3genE2ELNS1_11target_archE906ELNS1_3gpuE6ELNS1_3repE0EEENS1_30default_config_static_selectorELNS0_4arch9wavefront6targetE1EEEvT1_
; %bb.0:
	.section	.rodata,"a",@progbits
	.p2align	6, 0x0
	.amdhsa_kernel _ZN7rocprim17ROCPRIM_400000_NS6detail17trampoline_kernelINS0_14default_configENS1_20scan_config_selectorIfEEZZNS1_9scan_implILNS1_25lookback_scan_determinismE0ELb0ELb0ES3_N6thrust23THRUST_200600_302600_NS6detail15normal_iteratorINS9_10device_ptrIfEEEENSB_INSC_IiEEEEfNS9_4plusIvEEfEEDaPvRmT3_T4_T5_mT6_P12ihipStream_tbENKUlT_T0_E_clISt17integral_constantIbLb1EESV_IbLb0EEEEDaSR_SS_EUlSR_E0_NS1_11comp_targetILNS1_3genE2ELNS1_11target_archE906ELNS1_3gpuE6ELNS1_3repE0EEENS1_30default_config_static_selectorELNS0_4arch9wavefront6targetE1EEEvT1_
		.amdhsa_group_segment_fixed_size 0
		.amdhsa_private_segment_fixed_size 0
		.amdhsa_kernarg_size 32
		.amdhsa_user_sgpr_count 6
		.amdhsa_user_sgpr_private_segment_buffer 1
		.amdhsa_user_sgpr_dispatch_ptr 0
		.amdhsa_user_sgpr_queue_ptr 0
		.amdhsa_user_sgpr_kernarg_segment_ptr 1
		.amdhsa_user_sgpr_dispatch_id 0
		.amdhsa_user_sgpr_flat_scratch_init 0
		.amdhsa_user_sgpr_kernarg_preload_length 0
		.amdhsa_user_sgpr_kernarg_preload_offset 0
		.amdhsa_user_sgpr_private_segment_size 0
		.amdhsa_uses_dynamic_stack 0
		.amdhsa_system_sgpr_private_segment_wavefront_offset 0
		.amdhsa_system_sgpr_workgroup_id_x 1
		.amdhsa_system_sgpr_workgroup_id_y 0
		.amdhsa_system_sgpr_workgroup_id_z 0
		.amdhsa_system_sgpr_workgroup_info 0
		.amdhsa_system_vgpr_workitem_id 0
		.amdhsa_next_free_vgpr 1
		.amdhsa_next_free_sgpr 0
		.amdhsa_accum_offset 4
		.amdhsa_reserve_vcc 0
		.amdhsa_reserve_flat_scratch 0
		.amdhsa_float_round_mode_32 0
		.amdhsa_float_round_mode_16_64 0
		.amdhsa_float_denorm_mode_32 3
		.amdhsa_float_denorm_mode_16_64 3
		.amdhsa_dx10_clamp 1
		.amdhsa_ieee_mode 1
		.amdhsa_fp16_overflow 0
		.amdhsa_tg_split 0
		.amdhsa_exception_fp_ieee_invalid_op 0
		.amdhsa_exception_fp_denorm_src 0
		.amdhsa_exception_fp_ieee_div_zero 0
		.amdhsa_exception_fp_ieee_overflow 0
		.amdhsa_exception_fp_ieee_underflow 0
		.amdhsa_exception_fp_ieee_inexact 0
		.amdhsa_exception_int_div_zero 0
	.end_amdhsa_kernel
	.section	.text._ZN7rocprim17ROCPRIM_400000_NS6detail17trampoline_kernelINS0_14default_configENS1_20scan_config_selectorIfEEZZNS1_9scan_implILNS1_25lookback_scan_determinismE0ELb0ELb0ES3_N6thrust23THRUST_200600_302600_NS6detail15normal_iteratorINS9_10device_ptrIfEEEENSB_INSC_IiEEEEfNS9_4plusIvEEfEEDaPvRmT3_T4_T5_mT6_P12ihipStream_tbENKUlT_T0_E_clISt17integral_constantIbLb1EESV_IbLb0EEEEDaSR_SS_EUlSR_E0_NS1_11comp_targetILNS1_3genE2ELNS1_11target_archE906ELNS1_3gpuE6ELNS1_3repE0EEENS1_30default_config_static_selectorELNS0_4arch9wavefront6targetE1EEEvT1_,"axG",@progbits,_ZN7rocprim17ROCPRIM_400000_NS6detail17trampoline_kernelINS0_14default_configENS1_20scan_config_selectorIfEEZZNS1_9scan_implILNS1_25lookback_scan_determinismE0ELb0ELb0ES3_N6thrust23THRUST_200600_302600_NS6detail15normal_iteratorINS9_10device_ptrIfEEEENSB_INSC_IiEEEEfNS9_4plusIvEEfEEDaPvRmT3_T4_T5_mT6_P12ihipStream_tbENKUlT_T0_E_clISt17integral_constantIbLb1EESV_IbLb0EEEEDaSR_SS_EUlSR_E0_NS1_11comp_targetILNS1_3genE2ELNS1_11target_archE906ELNS1_3gpuE6ELNS1_3repE0EEENS1_30default_config_static_selectorELNS0_4arch9wavefront6targetE1EEEvT1_,comdat
.Lfunc_end1472:
	.size	_ZN7rocprim17ROCPRIM_400000_NS6detail17trampoline_kernelINS0_14default_configENS1_20scan_config_selectorIfEEZZNS1_9scan_implILNS1_25lookback_scan_determinismE0ELb0ELb0ES3_N6thrust23THRUST_200600_302600_NS6detail15normal_iteratorINS9_10device_ptrIfEEEENSB_INSC_IiEEEEfNS9_4plusIvEEfEEDaPvRmT3_T4_T5_mT6_P12ihipStream_tbENKUlT_T0_E_clISt17integral_constantIbLb1EESV_IbLb0EEEEDaSR_SS_EUlSR_E0_NS1_11comp_targetILNS1_3genE2ELNS1_11target_archE906ELNS1_3gpuE6ELNS1_3repE0EEENS1_30default_config_static_selectorELNS0_4arch9wavefront6targetE1EEEvT1_, .Lfunc_end1472-_ZN7rocprim17ROCPRIM_400000_NS6detail17trampoline_kernelINS0_14default_configENS1_20scan_config_selectorIfEEZZNS1_9scan_implILNS1_25lookback_scan_determinismE0ELb0ELb0ES3_N6thrust23THRUST_200600_302600_NS6detail15normal_iteratorINS9_10device_ptrIfEEEENSB_INSC_IiEEEEfNS9_4plusIvEEfEEDaPvRmT3_T4_T5_mT6_P12ihipStream_tbENKUlT_T0_E_clISt17integral_constantIbLb1EESV_IbLb0EEEEDaSR_SS_EUlSR_E0_NS1_11comp_targetILNS1_3genE2ELNS1_11target_archE906ELNS1_3gpuE6ELNS1_3repE0EEENS1_30default_config_static_selectorELNS0_4arch9wavefront6targetE1EEEvT1_
                                        ; -- End function
	.section	.AMDGPU.csdata,"",@progbits
; Kernel info:
; codeLenInByte = 0
; NumSgprs: 4
; NumVgprs: 0
; NumAgprs: 0
; TotalNumVgprs: 0
; ScratchSize: 0
; MemoryBound: 0
; FloatMode: 240
; IeeeMode: 1
; LDSByteSize: 0 bytes/workgroup (compile time only)
; SGPRBlocks: 0
; VGPRBlocks: 0
; NumSGPRsForWavesPerEU: 4
; NumVGPRsForWavesPerEU: 1
; AccumOffset: 4
; Occupancy: 8
; WaveLimiterHint : 0
; COMPUTE_PGM_RSRC2:SCRATCH_EN: 0
; COMPUTE_PGM_RSRC2:USER_SGPR: 6
; COMPUTE_PGM_RSRC2:TRAP_HANDLER: 0
; COMPUTE_PGM_RSRC2:TGID_X_EN: 1
; COMPUTE_PGM_RSRC2:TGID_Y_EN: 0
; COMPUTE_PGM_RSRC2:TGID_Z_EN: 0
; COMPUTE_PGM_RSRC2:TIDIG_COMP_CNT: 0
; COMPUTE_PGM_RSRC3_GFX90A:ACCUM_OFFSET: 0
; COMPUTE_PGM_RSRC3_GFX90A:TG_SPLIT: 0
	.section	.text._ZN7rocprim17ROCPRIM_400000_NS6detail17trampoline_kernelINS0_14default_configENS1_20scan_config_selectorIfEEZZNS1_9scan_implILNS1_25lookback_scan_determinismE0ELb0ELb0ES3_N6thrust23THRUST_200600_302600_NS6detail15normal_iteratorINS9_10device_ptrIfEEEENSB_INSC_IiEEEEfNS9_4plusIvEEfEEDaPvRmT3_T4_T5_mT6_P12ihipStream_tbENKUlT_T0_E_clISt17integral_constantIbLb1EESV_IbLb0EEEEDaSR_SS_EUlSR_E0_NS1_11comp_targetILNS1_3genE10ELNS1_11target_archE1201ELNS1_3gpuE5ELNS1_3repE0EEENS1_30default_config_static_selectorELNS0_4arch9wavefront6targetE1EEEvT1_,"axG",@progbits,_ZN7rocprim17ROCPRIM_400000_NS6detail17trampoline_kernelINS0_14default_configENS1_20scan_config_selectorIfEEZZNS1_9scan_implILNS1_25lookback_scan_determinismE0ELb0ELb0ES3_N6thrust23THRUST_200600_302600_NS6detail15normal_iteratorINS9_10device_ptrIfEEEENSB_INSC_IiEEEEfNS9_4plusIvEEfEEDaPvRmT3_T4_T5_mT6_P12ihipStream_tbENKUlT_T0_E_clISt17integral_constantIbLb1EESV_IbLb0EEEEDaSR_SS_EUlSR_E0_NS1_11comp_targetILNS1_3genE10ELNS1_11target_archE1201ELNS1_3gpuE5ELNS1_3repE0EEENS1_30default_config_static_selectorELNS0_4arch9wavefront6targetE1EEEvT1_,comdat
	.protected	_ZN7rocprim17ROCPRIM_400000_NS6detail17trampoline_kernelINS0_14default_configENS1_20scan_config_selectorIfEEZZNS1_9scan_implILNS1_25lookback_scan_determinismE0ELb0ELb0ES3_N6thrust23THRUST_200600_302600_NS6detail15normal_iteratorINS9_10device_ptrIfEEEENSB_INSC_IiEEEEfNS9_4plusIvEEfEEDaPvRmT3_T4_T5_mT6_P12ihipStream_tbENKUlT_T0_E_clISt17integral_constantIbLb1EESV_IbLb0EEEEDaSR_SS_EUlSR_E0_NS1_11comp_targetILNS1_3genE10ELNS1_11target_archE1201ELNS1_3gpuE5ELNS1_3repE0EEENS1_30default_config_static_selectorELNS0_4arch9wavefront6targetE1EEEvT1_ ; -- Begin function _ZN7rocprim17ROCPRIM_400000_NS6detail17trampoline_kernelINS0_14default_configENS1_20scan_config_selectorIfEEZZNS1_9scan_implILNS1_25lookback_scan_determinismE0ELb0ELb0ES3_N6thrust23THRUST_200600_302600_NS6detail15normal_iteratorINS9_10device_ptrIfEEEENSB_INSC_IiEEEEfNS9_4plusIvEEfEEDaPvRmT3_T4_T5_mT6_P12ihipStream_tbENKUlT_T0_E_clISt17integral_constantIbLb1EESV_IbLb0EEEEDaSR_SS_EUlSR_E0_NS1_11comp_targetILNS1_3genE10ELNS1_11target_archE1201ELNS1_3gpuE5ELNS1_3repE0EEENS1_30default_config_static_selectorELNS0_4arch9wavefront6targetE1EEEvT1_
	.globl	_ZN7rocprim17ROCPRIM_400000_NS6detail17trampoline_kernelINS0_14default_configENS1_20scan_config_selectorIfEEZZNS1_9scan_implILNS1_25lookback_scan_determinismE0ELb0ELb0ES3_N6thrust23THRUST_200600_302600_NS6detail15normal_iteratorINS9_10device_ptrIfEEEENSB_INSC_IiEEEEfNS9_4plusIvEEfEEDaPvRmT3_T4_T5_mT6_P12ihipStream_tbENKUlT_T0_E_clISt17integral_constantIbLb1EESV_IbLb0EEEEDaSR_SS_EUlSR_E0_NS1_11comp_targetILNS1_3genE10ELNS1_11target_archE1201ELNS1_3gpuE5ELNS1_3repE0EEENS1_30default_config_static_selectorELNS0_4arch9wavefront6targetE1EEEvT1_
	.p2align	8
	.type	_ZN7rocprim17ROCPRIM_400000_NS6detail17trampoline_kernelINS0_14default_configENS1_20scan_config_selectorIfEEZZNS1_9scan_implILNS1_25lookback_scan_determinismE0ELb0ELb0ES3_N6thrust23THRUST_200600_302600_NS6detail15normal_iteratorINS9_10device_ptrIfEEEENSB_INSC_IiEEEEfNS9_4plusIvEEfEEDaPvRmT3_T4_T5_mT6_P12ihipStream_tbENKUlT_T0_E_clISt17integral_constantIbLb1EESV_IbLb0EEEEDaSR_SS_EUlSR_E0_NS1_11comp_targetILNS1_3genE10ELNS1_11target_archE1201ELNS1_3gpuE5ELNS1_3repE0EEENS1_30default_config_static_selectorELNS0_4arch9wavefront6targetE1EEEvT1_,@function
_ZN7rocprim17ROCPRIM_400000_NS6detail17trampoline_kernelINS0_14default_configENS1_20scan_config_selectorIfEEZZNS1_9scan_implILNS1_25lookback_scan_determinismE0ELb0ELb0ES3_N6thrust23THRUST_200600_302600_NS6detail15normal_iteratorINS9_10device_ptrIfEEEENSB_INSC_IiEEEEfNS9_4plusIvEEfEEDaPvRmT3_T4_T5_mT6_P12ihipStream_tbENKUlT_T0_E_clISt17integral_constantIbLb1EESV_IbLb0EEEEDaSR_SS_EUlSR_E0_NS1_11comp_targetILNS1_3genE10ELNS1_11target_archE1201ELNS1_3gpuE5ELNS1_3repE0EEENS1_30default_config_static_selectorELNS0_4arch9wavefront6targetE1EEEvT1_: ; @_ZN7rocprim17ROCPRIM_400000_NS6detail17trampoline_kernelINS0_14default_configENS1_20scan_config_selectorIfEEZZNS1_9scan_implILNS1_25lookback_scan_determinismE0ELb0ELb0ES3_N6thrust23THRUST_200600_302600_NS6detail15normal_iteratorINS9_10device_ptrIfEEEENSB_INSC_IiEEEEfNS9_4plusIvEEfEEDaPvRmT3_T4_T5_mT6_P12ihipStream_tbENKUlT_T0_E_clISt17integral_constantIbLb1EESV_IbLb0EEEEDaSR_SS_EUlSR_E0_NS1_11comp_targetILNS1_3genE10ELNS1_11target_archE1201ELNS1_3gpuE5ELNS1_3repE0EEENS1_30default_config_static_selectorELNS0_4arch9wavefront6targetE1EEEvT1_
; %bb.0:
	.section	.rodata,"a",@progbits
	.p2align	6, 0x0
	.amdhsa_kernel _ZN7rocprim17ROCPRIM_400000_NS6detail17trampoline_kernelINS0_14default_configENS1_20scan_config_selectorIfEEZZNS1_9scan_implILNS1_25lookback_scan_determinismE0ELb0ELb0ES3_N6thrust23THRUST_200600_302600_NS6detail15normal_iteratorINS9_10device_ptrIfEEEENSB_INSC_IiEEEEfNS9_4plusIvEEfEEDaPvRmT3_T4_T5_mT6_P12ihipStream_tbENKUlT_T0_E_clISt17integral_constantIbLb1EESV_IbLb0EEEEDaSR_SS_EUlSR_E0_NS1_11comp_targetILNS1_3genE10ELNS1_11target_archE1201ELNS1_3gpuE5ELNS1_3repE0EEENS1_30default_config_static_selectorELNS0_4arch9wavefront6targetE1EEEvT1_
		.amdhsa_group_segment_fixed_size 0
		.amdhsa_private_segment_fixed_size 0
		.amdhsa_kernarg_size 32
		.amdhsa_user_sgpr_count 6
		.amdhsa_user_sgpr_private_segment_buffer 1
		.amdhsa_user_sgpr_dispatch_ptr 0
		.amdhsa_user_sgpr_queue_ptr 0
		.amdhsa_user_sgpr_kernarg_segment_ptr 1
		.amdhsa_user_sgpr_dispatch_id 0
		.amdhsa_user_sgpr_flat_scratch_init 0
		.amdhsa_user_sgpr_kernarg_preload_length 0
		.amdhsa_user_sgpr_kernarg_preload_offset 0
		.amdhsa_user_sgpr_private_segment_size 0
		.amdhsa_uses_dynamic_stack 0
		.amdhsa_system_sgpr_private_segment_wavefront_offset 0
		.amdhsa_system_sgpr_workgroup_id_x 1
		.amdhsa_system_sgpr_workgroup_id_y 0
		.amdhsa_system_sgpr_workgroup_id_z 0
		.amdhsa_system_sgpr_workgroup_info 0
		.amdhsa_system_vgpr_workitem_id 0
		.amdhsa_next_free_vgpr 1
		.amdhsa_next_free_sgpr 0
		.amdhsa_accum_offset 4
		.amdhsa_reserve_vcc 0
		.amdhsa_reserve_flat_scratch 0
		.amdhsa_float_round_mode_32 0
		.amdhsa_float_round_mode_16_64 0
		.amdhsa_float_denorm_mode_32 3
		.amdhsa_float_denorm_mode_16_64 3
		.amdhsa_dx10_clamp 1
		.amdhsa_ieee_mode 1
		.amdhsa_fp16_overflow 0
		.amdhsa_tg_split 0
		.amdhsa_exception_fp_ieee_invalid_op 0
		.amdhsa_exception_fp_denorm_src 0
		.amdhsa_exception_fp_ieee_div_zero 0
		.amdhsa_exception_fp_ieee_overflow 0
		.amdhsa_exception_fp_ieee_underflow 0
		.amdhsa_exception_fp_ieee_inexact 0
		.amdhsa_exception_int_div_zero 0
	.end_amdhsa_kernel
	.section	.text._ZN7rocprim17ROCPRIM_400000_NS6detail17trampoline_kernelINS0_14default_configENS1_20scan_config_selectorIfEEZZNS1_9scan_implILNS1_25lookback_scan_determinismE0ELb0ELb0ES3_N6thrust23THRUST_200600_302600_NS6detail15normal_iteratorINS9_10device_ptrIfEEEENSB_INSC_IiEEEEfNS9_4plusIvEEfEEDaPvRmT3_T4_T5_mT6_P12ihipStream_tbENKUlT_T0_E_clISt17integral_constantIbLb1EESV_IbLb0EEEEDaSR_SS_EUlSR_E0_NS1_11comp_targetILNS1_3genE10ELNS1_11target_archE1201ELNS1_3gpuE5ELNS1_3repE0EEENS1_30default_config_static_selectorELNS0_4arch9wavefront6targetE1EEEvT1_,"axG",@progbits,_ZN7rocprim17ROCPRIM_400000_NS6detail17trampoline_kernelINS0_14default_configENS1_20scan_config_selectorIfEEZZNS1_9scan_implILNS1_25lookback_scan_determinismE0ELb0ELb0ES3_N6thrust23THRUST_200600_302600_NS6detail15normal_iteratorINS9_10device_ptrIfEEEENSB_INSC_IiEEEEfNS9_4plusIvEEfEEDaPvRmT3_T4_T5_mT6_P12ihipStream_tbENKUlT_T0_E_clISt17integral_constantIbLb1EESV_IbLb0EEEEDaSR_SS_EUlSR_E0_NS1_11comp_targetILNS1_3genE10ELNS1_11target_archE1201ELNS1_3gpuE5ELNS1_3repE0EEENS1_30default_config_static_selectorELNS0_4arch9wavefront6targetE1EEEvT1_,comdat
.Lfunc_end1473:
	.size	_ZN7rocprim17ROCPRIM_400000_NS6detail17trampoline_kernelINS0_14default_configENS1_20scan_config_selectorIfEEZZNS1_9scan_implILNS1_25lookback_scan_determinismE0ELb0ELb0ES3_N6thrust23THRUST_200600_302600_NS6detail15normal_iteratorINS9_10device_ptrIfEEEENSB_INSC_IiEEEEfNS9_4plusIvEEfEEDaPvRmT3_T4_T5_mT6_P12ihipStream_tbENKUlT_T0_E_clISt17integral_constantIbLb1EESV_IbLb0EEEEDaSR_SS_EUlSR_E0_NS1_11comp_targetILNS1_3genE10ELNS1_11target_archE1201ELNS1_3gpuE5ELNS1_3repE0EEENS1_30default_config_static_selectorELNS0_4arch9wavefront6targetE1EEEvT1_, .Lfunc_end1473-_ZN7rocprim17ROCPRIM_400000_NS6detail17trampoline_kernelINS0_14default_configENS1_20scan_config_selectorIfEEZZNS1_9scan_implILNS1_25lookback_scan_determinismE0ELb0ELb0ES3_N6thrust23THRUST_200600_302600_NS6detail15normal_iteratorINS9_10device_ptrIfEEEENSB_INSC_IiEEEEfNS9_4plusIvEEfEEDaPvRmT3_T4_T5_mT6_P12ihipStream_tbENKUlT_T0_E_clISt17integral_constantIbLb1EESV_IbLb0EEEEDaSR_SS_EUlSR_E0_NS1_11comp_targetILNS1_3genE10ELNS1_11target_archE1201ELNS1_3gpuE5ELNS1_3repE0EEENS1_30default_config_static_selectorELNS0_4arch9wavefront6targetE1EEEvT1_
                                        ; -- End function
	.section	.AMDGPU.csdata,"",@progbits
; Kernel info:
; codeLenInByte = 0
; NumSgprs: 4
; NumVgprs: 0
; NumAgprs: 0
; TotalNumVgprs: 0
; ScratchSize: 0
; MemoryBound: 0
; FloatMode: 240
; IeeeMode: 1
; LDSByteSize: 0 bytes/workgroup (compile time only)
; SGPRBlocks: 0
; VGPRBlocks: 0
; NumSGPRsForWavesPerEU: 4
; NumVGPRsForWavesPerEU: 1
; AccumOffset: 4
; Occupancy: 8
; WaveLimiterHint : 0
; COMPUTE_PGM_RSRC2:SCRATCH_EN: 0
; COMPUTE_PGM_RSRC2:USER_SGPR: 6
; COMPUTE_PGM_RSRC2:TRAP_HANDLER: 0
; COMPUTE_PGM_RSRC2:TGID_X_EN: 1
; COMPUTE_PGM_RSRC2:TGID_Y_EN: 0
; COMPUTE_PGM_RSRC2:TGID_Z_EN: 0
; COMPUTE_PGM_RSRC2:TIDIG_COMP_CNT: 0
; COMPUTE_PGM_RSRC3_GFX90A:ACCUM_OFFSET: 0
; COMPUTE_PGM_RSRC3_GFX90A:TG_SPLIT: 0
	.section	.text._ZN7rocprim17ROCPRIM_400000_NS6detail17trampoline_kernelINS0_14default_configENS1_20scan_config_selectorIfEEZZNS1_9scan_implILNS1_25lookback_scan_determinismE0ELb0ELb0ES3_N6thrust23THRUST_200600_302600_NS6detail15normal_iteratorINS9_10device_ptrIfEEEENSB_INSC_IiEEEEfNS9_4plusIvEEfEEDaPvRmT3_T4_T5_mT6_P12ihipStream_tbENKUlT_T0_E_clISt17integral_constantIbLb1EESV_IbLb0EEEEDaSR_SS_EUlSR_E0_NS1_11comp_targetILNS1_3genE10ELNS1_11target_archE1200ELNS1_3gpuE4ELNS1_3repE0EEENS1_30default_config_static_selectorELNS0_4arch9wavefront6targetE1EEEvT1_,"axG",@progbits,_ZN7rocprim17ROCPRIM_400000_NS6detail17trampoline_kernelINS0_14default_configENS1_20scan_config_selectorIfEEZZNS1_9scan_implILNS1_25lookback_scan_determinismE0ELb0ELb0ES3_N6thrust23THRUST_200600_302600_NS6detail15normal_iteratorINS9_10device_ptrIfEEEENSB_INSC_IiEEEEfNS9_4plusIvEEfEEDaPvRmT3_T4_T5_mT6_P12ihipStream_tbENKUlT_T0_E_clISt17integral_constantIbLb1EESV_IbLb0EEEEDaSR_SS_EUlSR_E0_NS1_11comp_targetILNS1_3genE10ELNS1_11target_archE1200ELNS1_3gpuE4ELNS1_3repE0EEENS1_30default_config_static_selectorELNS0_4arch9wavefront6targetE1EEEvT1_,comdat
	.protected	_ZN7rocprim17ROCPRIM_400000_NS6detail17trampoline_kernelINS0_14default_configENS1_20scan_config_selectorIfEEZZNS1_9scan_implILNS1_25lookback_scan_determinismE0ELb0ELb0ES3_N6thrust23THRUST_200600_302600_NS6detail15normal_iteratorINS9_10device_ptrIfEEEENSB_INSC_IiEEEEfNS9_4plusIvEEfEEDaPvRmT3_T4_T5_mT6_P12ihipStream_tbENKUlT_T0_E_clISt17integral_constantIbLb1EESV_IbLb0EEEEDaSR_SS_EUlSR_E0_NS1_11comp_targetILNS1_3genE10ELNS1_11target_archE1200ELNS1_3gpuE4ELNS1_3repE0EEENS1_30default_config_static_selectorELNS0_4arch9wavefront6targetE1EEEvT1_ ; -- Begin function _ZN7rocprim17ROCPRIM_400000_NS6detail17trampoline_kernelINS0_14default_configENS1_20scan_config_selectorIfEEZZNS1_9scan_implILNS1_25lookback_scan_determinismE0ELb0ELb0ES3_N6thrust23THRUST_200600_302600_NS6detail15normal_iteratorINS9_10device_ptrIfEEEENSB_INSC_IiEEEEfNS9_4plusIvEEfEEDaPvRmT3_T4_T5_mT6_P12ihipStream_tbENKUlT_T0_E_clISt17integral_constantIbLb1EESV_IbLb0EEEEDaSR_SS_EUlSR_E0_NS1_11comp_targetILNS1_3genE10ELNS1_11target_archE1200ELNS1_3gpuE4ELNS1_3repE0EEENS1_30default_config_static_selectorELNS0_4arch9wavefront6targetE1EEEvT1_
	.globl	_ZN7rocprim17ROCPRIM_400000_NS6detail17trampoline_kernelINS0_14default_configENS1_20scan_config_selectorIfEEZZNS1_9scan_implILNS1_25lookback_scan_determinismE0ELb0ELb0ES3_N6thrust23THRUST_200600_302600_NS6detail15normal_iteratorINS9_10device_ptrIfEEEENSB_INSC_IiEEEEfNS9_4plusIvEEfEEDaPvRmT3_T4_T5_mT6_P12ihipStream_tbENKUlT_T0_E_clISt17integral_constantIbLb1EESV_IbLb0EEEEDaSR_SS_EUlSR_E0_NS1_11comp_targetILNS1_3genE10ELNS1_11target_archE1200ELNS1_3gpuE4ELNS1_3repE0EEENS1_30default_config_static_selectorELNS0_4arch9wavefront6targetE1EEEvT1_
	.p2align	8
	.type	_ZN7rocprim17ROCPRIM_400000_NS6detail17trampoline_kernelINS0_14default_configENS1_20scan_config_selectorIfEEZZNS1_9scan_implILNS1_25lookback_scan_determinismE0ELb0ELb0ES3_N6thrust23THRUST_200600_302600_NS6detail15normal_iteratorINS9_10device_ptrIfEEEENSB_INSC_IiEEEEfNS9_4plusIvEEfEEDaPvRmT3_T4_T5_mT6_P12ihipStream_tbENKUlT_T0_E_clISt17integral_constantIbLb1EESV_IbLb0EEEEDaSR_SS_EUlSR_E0_NS1_11comp_targetILNS1_3genE10ELNS1_11target_archE1200ELNS1_3gpuE4ELNS1_3repE0EEENS1_30default_config_static_selectorELNS0_4arch9wavefront6targetE1EEEvT1_,@function
_ZN7rocprim17ROCPRIM_400000_NS6detail17trampoline_kernelINS0_14default_configENS1_20scan_config_selectorIfEEZZNS1_9scan_implILNS1_25lookback_scan_determinismE0ELb0ELb0ES3_N6thrust23THRUST_200600_302600_NS6detail15normal_iteratorINS9_10device_ptrIfEEEENSB_INSC_IiEEEEfNS9_4plusIvEEfEEDaPvRmT3_T4_T5_mT6_P12ihipStream_tbENKUlT_T0_E_clISt17integral_constantIbLb1EESV_IbLb0EEEEDaSR_SS_EUlSR_E0_NS1_11comp_targetILNS1_3genE10ELNS1_11target_archE1200ELNS1_3gpuE4ELNS1_3repE0EEENS1_30default_config_static_selectorELNS0_4arch9wavefront6targetE1EEEvT1_: ; @_ZN7rocprim17ROCPRIM_400000_NS6detail17trampoline_kernelINS0_14default_configENS1_20scan_config_selectorIfEEZZNS1_9scan_implILNS1_25lookback_scan_determinismE0ELb0ELb0ES3_N6thrust23THRUST_200600_302600_NS6detail15normal_iteratorINS9_10device_ptrIfEEEENSB_INSC_IiEEEEfNS9_4plusIvEEfEEDaPvRmT3_T4_T5_mT6_P12ihipStream_tbENKUlT_T0_E_clISt17integral_constantIbLb1EESV_IbLb0EEEEDaSR_SS_EUlSR_E0_NS1_11comp_targetILNS1_3genE10ELNS1_11target_archE1200ELNS1_3gpuE4ELNS1_3repE0EEENS1_30default_config_static_selectorELNS0_4arch9wavefront6targetE1EEEvT1_
; %bb.0:
	.section	.rodata,"a",@progbits
	.p2align	6, 0x0
	.amdhsa_kernel _ZN7rocprim17ROCPRIM_400000_NS6detail17trampoline_kernelINS0_14default_configENS1_20scan_config_selectorIfEEZZNS1_9scan_implILNS1_25lookback_scan_determinismE0ELb0ELb0ES3_N6thrust23THRUST_200600_302600_NS6detail15normal_iteratorINS9_10device_ptrIfEEEENSB_INSC_IiEEEEfNS9_4plusIvEEfEEDaPvRmT3_T4_T5_mT6_P12ihipStream_tbENKUlT_T0_E_clISt17integral_constantIbLb1EESV_IbLb0EEEEDaSR_SS_EUlSR_E0_NS1_11comp_targetILNS1_3genE10ELNS1_11target_archE1200ELNS1_3gpuE4ELNS1_3repE0EEENS1_30default_config_static_selectorELNS0_4arch9wavefront6targetE1EEEvT1_
		.amdhsa_group_segment_fixed_size 0
		.amdhsa_private_segment_fixed_size 0
		.amdhsa_kernarg_size 32
		.amdhsa_user_sgpr_count 6
		.amdhsa_user_sgpr_private_segment_buffer 1
		.amdhsa_user_sgpr_dispatch_ptr 0
		.amdhsa_user_sgpr_queue_ptr 0
		.amdhsa_user_sgpr_kernarg_segment_ptr 1
		.amdhsa_user_sgpr_dispatch_id 0
		.amdhsa_user_sgpr_flat_scratch_init 0
		.amdhsa_user_sgpr_kernarg_preload_length 0
		.amdhsa_user_sgpr_kernarg_preload_offset 0
		.amdhsa_user_sgpr_private_segment_size 0
		.amdhsa_uses_dynamic_stack 0
		.amdhsa_system_sgpr_private_segment_wavefront_offset 0
		.amdhsa_system_sgpr_workgroup_id_x 1
		.amdhsa_system_sgpr_workgroup_id_y 0
		.amdhsa_system_sgpr_workgroup_id_z 0
		.amdhsa_system_sgpr_workgroup_info 0
		.amdhsa_system_vgpr_workitem_id 0
		.amdhsa_next_free_vgpr 1
		.amdhsa_next_free_sgpr 0
		.amdhsa_accum_offset 4
		.amdhsa_reserve_vcc 0
		.amdhsa_reserve_flat_scratch 0
		.amdhsa_float_round_mode_32 0
		.amdhsa_float_round_mode_16_64 0
		.amdhsa_float_denorm_mode_32 3
		.amdhsa_float_denorm_mode_16_64 3
		.amdhsa_dx10_clamp 1
		.amdhsa_ieee_mode 1
		.amdhsa_fp16_overflow 0
		.amdhsa_tg_split 0
		.amdhsa_exception_fp_ieee_invalid_op 0
		.amdhsa_exception_fp_denorm_src 0
		.amdhsa_exception_fp_ieee_div_zero 0
		.amdhsa_exception_fp_ieee_overflow 0
		.amdhsa_exception_fp_ieee_underflow 0
		.amdhsa_exception_fp_ieee_inexact 0
		.amdhsa_exception_int_div_zero 0
	.end_amdhsa_kernel
	.section	.text._ZN7rocprim17ROCPRIM_400000_NS6detail17trampoline_kernelINS0_14default_configENS1_20scan_config_selectorIfEEZZNS1_9scan_implILNS1_25lookback_scan_determinismE0ELb0ELb0ES3_N6thrust23THRUST_200600_302600_NS6detail15normal_iteratorINS9_10device_ptrIfEEEENSB_INSC_IiEEEEfNS9_4plusIvEEfEEDaPvRmT3_T4_T5_mT6_P12ihipStream_tbENKUlT_T0_E_clISt17integral_constantIbLb1EESV_IbLb0EEEEDaSR_SS_EUlSR_E0_NS1_11comp_targetILNS1_3genE10ELNS1_11target_archE1200ELNS1_3gpuE4ELNS1_3repE0EEENS1_30default_config_static_selectorELNS0_4arch9wavefront6targetE1EEEvT1_,"axG",@progbits,_ZN7rocprim17ROCPRIM_400000_NS6detail17trampoline_kernelINS0_14default_configENS1_20scan_config_selectorIfEEZZNS1_9scan_implILNS1_25lookback_scan_determinismE0ELb0ELb0ES3_N6thrust23THRUST_200600_302600_NS6detail15normal_iteratorINS9_10device_ptrIfEEEENSB_INSC_IiEEEEfNS9_4plusIvEEfEEDaPvRmT3_T4_T5_mT6_P12ihipStream_tbENKUlT_T0_E_clISt17integral_constantIbLb1EESV_IbLb0EEEEDaSR_SS_EUlSR_E0_NS1_11comp_targetILNS1_3genE10ELNS1_11target_archE1200ELNS1_3gpuE4ELNS1_3repE0EEENS1_30default_config_static_selectorELNS0_4arch9wavefront6targetE1EEEvT1_,comdat
.Lfunc_end1474:
	.size	_ZN7rocprim17ROCPRIM_400000_NS6detail17trampoline_kernelINS0_14default_configENS1_20scan_config_selectorIfEEZZNS1_9scan_implILNS1_25lookback_scan_determinismE0ELb0ELb0ES3_N6thrust23THRUST_200600_302600_NS6detail15normal_iteratorINS9_10device_ptrIfEEEENSB_INSC_IiEEEEfNS9_4plusIvEEfEEDaPvRmT3_T4_T5_mT6_P12ihipStream_tbENKUlT_T0_E_clISt17integral_constantIbLb1EESV_IbLb0EEEEDaSR_SS_EUlSR_E0_NS1_11comp_targetILNS1_3genE10ELNS1_11target_archE1200ELNS1_3gpuE4ELNS1_3repE0EEENS1_30default_config_static_selectorELNS0_4arch9wavefront6targetE1EEEvT1_, .Lfunc_end1474-_ZN7rocprim17ROCPRIM_400000_NS6detail17trampoline_kernelINS0_14default_configENS1_20scan_config_selectorIfEEZZNS1_9scan_implILNS1_25lookback_scan_determinismE0ELb0ELb0ES3_N6thrust23THRUST_200600_302600_NS6detail15normal_iteratorINS9_10device_ptrIfEEEENSB_INSC_IiEEEEfNS9_4plusIvEEfEEDaPvRmT3_T4_T5_mT6_P12ihipStream_tbENKUlT_T0_E_clISt17integral_constantIbLb1EESV_IbLb0EEEEDaSR_SS_EUlSR_E0_NS1_11comp_targetILNS1_3genE10ELNS1_11target_archE1200ELNS1_3gpuE4ELNS1_3repE0EEENS1_30default_config_static_selectorELNS0_4arch9wavefront6targetE1EEEvT1_
                                        ; -- End function
	.section	.AMDGPU.csdata,"",@progbits
; Kernel info:
; codeLenInByte = 0
; NumSgprs: 4
; NumVgprs: 0
; NumAgprs: 0
; TotalNumVgprs: 0
; ScratchSize: 0
; MemoryBound: 0
; FloatMode: 240
; IeeeMode: 1
; LDSByteSize: 0 bytes/workgroup (compile time only)
; SGPRBlocks: 0
; VGPRBlocks: 0
; NumSGPRsForWavesPerEU: 4
; NumVGPRsForWavesPerEU: 1
; AccumOffset: 4
; Occupancy: 8
; WaveLimiterHint : 0
; COMPUTE_PGM_RSRC2:SCRATCH_EN: 0
; COMPUTE_PGM_RSRC2:USER_SGPR: 6
; COMPUTE_PGM_RSRC2:TRAP_HANDLER: 0
; COMPUTE_PGM_RSRC2:TGID_X_EN: 1
; COMPUTE_PGM_RSRC2:TGID_Y_EN: 0
; COMPUTE_PGM_RSRC2:TGID_Z_EN: 0
; COMPUTE_PGM_RSRC2:TIDIG_COMP_CNT: 0
; COMPUTE_PGM_RSRC3_GFX90A:ACCUM_OFFSET: 0
; COMPUTE_PGM_RSRC3_GFX90A:TG_SPLIT: 0
	.section	.text._ZN7rocprim17ROCPRIM_400000_NS6detail17trampoline_kernelINS0_14default_configENS1_20scan_config_selectorIfEEZZNS1_9scan_implILNS1_25lookback_scan_determinismE0ELb0ELb0ES3_N6thrust23THRUST_200600_302600_NS6detail15normal_iteratorINS9_10device_ptrIfEEEENSB_INSC_IiEEEEfNS9_4plusIvEEfEEDaPvRmT3_T4_T5_mT6_P12ihipStream_tbENKUlT_T0_E_clISt17integral_constantIbLb1EESV_IbLb0EEEEDaSR_SS_EUlSR_E0_NS1_11comp_targetILNS1_3genE9ELNS1_11target_archE1100ELNS1_3gpuE3ELNS1_3repE0EEENS1_30default_config_static_selectorELNS0_4arch9wavefront6targetE1EEEvT1_,"axG",@progbits,_ZN7rocprim17ROCPRIM_400000_NS6detail17trampoline_kernelINS0_14default_configENS1_20scan_config_selectorIfEEZZNS1_9scan_implILNS1_25lookback_scan_determinismE0ELb0ELb0ES3_N6thrust23THRUST_200600_302600_NS6detail15normal_iteratorINS9_10device_ptrIfEEEENSB_INSC_IiEEEEfNS9_4plusIvEEfEEDaPvRmT3_T4_T5_mT6_P12ihipStream_tbENKUlT_T0_E_clISt17integral_constantIbLb1EESV_IbLb0EEEEDaSR_SS_EUlSR_E0_NS1_11comp_targetILNS1_3genE9ELNS1_11target_archE1100ELNS1_3gpuE3ELNS1_3repE0EEENS1_30default_config_static_selectorELNS0_4arch9wavefront6targetE1EEEvT1_,comdat
	.protected	_ZN7rocprim17ROCPRIM_400000_NS6detail17trampoline_kernelINS0_14default_configENS1_20scan_config_selectorIfEEZZNS1_9scan_implILNS1_25lookback_scan_determinismE0ELb0ELb0ES3_N6thrust23THRUST_200600_302600_NS6detail15normal_iteratorINS9_10device_ptrIfEEEENSB_INSC_IiEEEEfNS9_4plusIvEEfEEDaPvRmT3_T4_T5_mT6_P12ihipStream_tbENKUlT_T0_E_clISt17integral_constantIbLb1EESV_IbLb0EEEEDaSR_SS_EUlSR_E0_NS1_11comp_targetILNS1_3genE9ELNS1_11target_archE1100ELNS1_3gpuE3ELNS1_3repE0EEENS1_30default_config_static_selectorELNS0_4arch9wavefront6targetE1EEEvT1_ ; -- Begin function _ZN7rocprim17ROCPRIM_400000_NS6detail17trampoline_kernelINS0_14default_configENS1_20scan_config_selectorIfEEZZNS1_9scan_implILNS1_25lookback_scan_determinismE0ELb0ELb0ES3_N6thrust23THRUST_200600_302600_NS6detail15normal_iteratorINS9_10device_ptrIfEEEENSB_INSC_IiEEEEfNS9_4plusIvEEfEEDaPvRmT3_T4_T5_mT6_P12ihipStream_tbENKUlT_T0_E_clISt17integral_constantIbLb1EESV_IbLb0EEEEDaSR_SS_EUlSR_E0_NS1_11comp_targetILNS1_3genE9ELNS1_11target_archE1100ELNS1_3gpuE3ELNS1_3repE0EEENS1_30default_config_static_selectorELNS0_4arch9wavefront6targetE1EEEvT1_
	.globl	_ZN7rocprim17ROCPRIM_400000_NS6detail17trampoline_kernelINS0_14default_configENS1_20scan_config_selectorIfEEZZNS1_9scan_implILNS1_25lookback_scan_determinismE0ELb0ELb0ES3_N6thrust23THRUST_200600_302600_NS6detail15normal_iteratorINS9_10device_ptrIfEEEENSB_INSC_IiEEEEfNS9_4plusIvEEfEEDaPvRmT3_T4_T5_mT6_P12ihipStream_tbENKUlT_T0_E_clISt17integral_constantIbLb1EESV_IbLb0EEEEDaSR_SS_EUlSR_E0_NS1_11comp_targetILNS1_3genE9ELNS1_11target_archE1100ELNS1_3gpuE3ELNS1_3repE0EEENS1_30default_config_static_selectorELNS0_4arch9wavefront6targetE1EEEvT1_
	.p2align	8
	.type	_ZN7rocprim17ROCPRIM_400000_NS6detail17trampoline_kernelINS0_14default_configENS1_20scan_config_selectorIfEEZZNS1_9scan_implILNS1_25lookback_scan_determinismE0ELb0ELb0ES3_N6thrust23THRUST_200600_302600_NS6detail15normal_iteratorINS9_10device_ptrIfEEEENSB_INSC_IiEEEEfNS9_4plusIvEEfEEDaPvRmT3_T4_T5_mT6_P12ihipStream_tbENKUlT_T0_E_clISt17integral_constantIbLb1EESV_IbLb0EEEEDaSR_SS_EUlSR_E0_NS1_11comp_targetILNS1_3genE9ELNS1_11target_archE1100ELNS1_3gpuE3ELNS1_3repE0EEENS1_30default_config_static_selectorELNS0_4arch9wavefront6targetE1EEEvT1_,@function
_ZN7rocprim17ROCPRIM_400000_NS6detail17trampoline_kernelINS0_14default_configENS1_20scan_config_selectorIfEEZZNS1_9scan_implILNS1_25lookback_scan_determinismE0ELb0ELb0ES3_N6thrust23THRUST_200600_302600_NS6detail15normal_iteratorINS9_10device_ptrIfEEEENSB_INSC_IiEEEEfNS9_4plusIvEEfEEDaPvRmT3_T4_T5_mT6_P12ihipStream_tbENKUlT_T0_E_clISt17integral_constantIbLb1EESV_IbLb0EEEEDaSR_SS_EUlSR_E0_NS1_11comp_targetILNS1_3genE9ELNS1_11target_archE1100ELNS1_3gpuE3ELNS1_3repE0EEENS1_30default_config_static_selectorELNS0_4arch9wavefront6targetE1EEEvT1_: ; @_ZN7rocprim17ROCPRIM_400000_NS6detail17trampoline_kernelINS0_14default_configENS1_20scan_config_selectorIfEEZZNS1_9scan_implILNS1_25lookback_scan_determinismE0ELb0ELb0ES3_N6thrust23THRUST_200600_302600_NS6detail15normal_iteratorINS9_10device_ptrIfEEEENSB_INSC_IiEEEEfNS9_4plusIvEEfEEDaPvRmT3_T4_T5_mT6_P12ihipStream_tbENKUlT_T0_E_clISt17integral_constantIbLb1EESV_IbLb0EEEEDaSR_SS_EUlSR_E0_NS1_11comp_targetILNS1_3genE9ELNS1_11target_archE1100ELNS1_3gpuE3ELNS1_3repE0EEENS1_30default_config_static_selectorELNS0_4arch9wavefront6targetE1EEEvT1_
; %bb.0:
	.section	.rodata,"a",@progbits
	.p2align	6, 0x0
	.amdhsa_kernel _ZN7rocprim17ROCPRIM_400000_NS6detail17trampoline_kernelINS0_14default_configENS1_20scan_config_selectorIfEEZZNS1_9scan_implILNS1_25lookback_scan_determinismE0ELb0ELb0ES3_N6thrust23THRUST_200600_302600_NS6detail15normal_iteratorINS9_10device_ptrIfEEEENSB_INSC_IiEEEEfNS9_4plusIvEEfEEDaPvRmT3_T4_T5_mT6_P12ihipStream_tbENKUlT_T0_E_clISt17integral_constantIbLb1EESV_IbLb0EEEEDaSR_SS_EUlSR_E0_NS1_11comp_targetILNS1_3genE9ELNS1_11target_archE1100ELNS1_3gpuE3ELNS1_3repE0EEENS1_30default_config_static_selectorELNS0_4arch9wavefront6targetE1EEEvT1_
		.amdhsa_group_segment_fixed_size 0
		.amdhsa_private_segment_fixed_size 0
		.amdhsa_kernarg_size 32
		.amdhsa_user_sgpr_count 6
		.amdhsa_user_sgpr_private_segment_buffer 1
		.amdhsa_user_sgpr_dispatch_ptr 0
		.amdhsa_user_sgpr_queue_ptr 0
		.amdhsa_user_sgpr_kernarg_segment_ptr 1
		.amdhsa_user_sgpr_dispatch_id 0
		.amdhsa_user_sgpr_flat_scratch_init 0
		.amdhsa_user_sgpr_kernarg_preload_length 0
		.amdhsa_user_sgpr_kernarg_preload_offset 0
		.amdhsa_user_sgpr_private_segment_size 0
		.amdhsa_uses_dynamic_stack 0
		.amdhsa_system_sgpr_private_segment_wavefront_offset 0
		.amdhsa_system_sgpr_workgroup_id_x 1
		.amdhsa_system_sgpr_workgroup_id_y 0
		.amdhsa_system_sgpr_workgroup_id_z 0
		.amdhsa_system_sgpr_workgroup_info 0
		.amdhsa_system_vgpr_workitem_id 0
		.amdhsa_next_free_vgpr 1
		.amdhsa_next_free_sgpr 0
		.amdhsa_accum_offset 4
		.amdhsa_reserve_vcc 0
		.amdhsa_reserve_flat_scratch 0
		.amdhsa_float_round_mode_32 0
		.amdhsa_float_round_mode_16_64 0
		.amdhsa_float_denorm_mode_32 3
		.amdhsa_float_denorm_mode_16_64 3
		.amdhsa_dx10_clamp 1
		.amdhsa_ieee_mode 1
		.amdhsa_fp16_overflow 0
		.amdhsa_tg_split 0
		.amdhsa_exception_fp_ieee_invalid_op 0
		.amdhsa_exception_fp_denorm_src 0
		.amdhsa_exception_fp_ieee_div_zero 0
		.amdhsa_exception_fp_ieee_overflow 0
		.amdhsa_exception_fp_ieee_underflow 0
		.amdhsa_exception_fp_ieee_inexact 0
		.amdhsa_exception_int_div_zero 0
	.end_amdhsa_kernel
	.section	.text._ZN7rocprim17ROCPRIM_400000_NS6detail17trampoline_kernelINS0_14default_configENS1_20scan_config_selectorIfEEZZNS1_9scan_implILNS1_25lookback_scan_determinismE0ELb0ELb0ES3_N6thrust23THRUST_200600_302600_NS6detail15normal_iteratorINS9_10device_ptrIfEEEENSB_INSC_IiEEEEfNS9_4plusIvEEfEEDaPvRmT3_T4_T5_mT6_P12ihipStream_tbENKUlT_T0_E_clISt17integral_constantIbLb1EESV_IbLb0EEEEDaSR_SS_EUlSR_E0_NS1_11comp_targetILNS1_3genE9ELNS1_11target_archE1100ELNS1_3gpuE3ELNS1_3repE0EEENS1_30default_config_static_selectorELNS0_4arch9wavefront6targetE1EEEvT1_,"axG",@progbits,_ZN7rocprim17ROCPRIM_400000_NS6detail17trampoline_kernelINS0_14default_configENS1_20scan_config_selectorIfEEZZNS1_9scan_implILNS1_25lookback_scan_determinismE0ELb0ELb0ES3_N6thrust23THRUST_200600_302600_NS6detail15normal_iteratorINS9_10device_ptrIfEEEENSB_INSC_IiEEEEfNS9_4plusIvEEfEEDaPvRmT3_T4_T5_mT6_P12ihipStream_tbENKUlT_T0_E_clISt17integral_constantIbLb1EESV_IbLb0EEEEDaSR_SS_EUlSR_E0_NS1_11comp_targetILNS1_3genE9ELNS1_11target_archE1100ELNS1_3gpuE3ELNS1_3repE0EEENS1_30default_config_static_selectorELNS0_4arch9wavefront6targetE1EEEvT1_,comdat
.Lfunc_end1475:
	.size	_ZN7rocprim17ROCPRIM_400000_NS6detail17trampoline_kernelINS0_14default_configENS1_20scan_config_selectorIfEEZZNS1_9scan_implILNS1_25lookback_scan_determinismE0ELb0ELb0ES3_N6thrust23THRUST_200600_302600_NS6detail15normal_iteratorINS9_10device_ptrIfEEEENSB_INSC_IiEEEEfNS9_4plusIvEEfEEDaPvRmT3_T4_T5_mT6_P12ihipStream_tbENKUlT_T0_E_clISt17integral_constantIbLb1EESV_IbLb0EEEEDaSR_SS_EUlSR_E0_NS1_11comp_targetILNS1_3genE9ELNS1_11target_archE1100ELNS1_3gpuE3ELNS1_3repE0EEENS1_30default_config_static_selectorELNS0_4arch9wavefront6targetE1EEEvT1_, .Lfunc_end1475-_ZN7rocprim17ROCPRIM_400000_NS6detail17trampoline_kernelINS0_14default_configENS1_20scan_config_selectorIfEEZZNS1_9scan_implILNS1_25lookback_scan_determinismE0ELb0ELb0ES3_N6thrust23THRUST_200600_302600_NS6detail15normal_iteratorINS9_10device_ptrIfEEEENSB_INSC_IiEEEEfNS9_4plusIvEEfEEDaPvRmT3_T4_T5_mT6_P12ihipStream_tbENKUlT_T0_E_clISt17integral_constantIbLb1EESV_IbLb0EEEEDaSR_SS_EUlSR_E0_NS1_11comp_targetILNS1_3genE9ELNS1_11target_archE1100ELNS1_3gpuE3ELNS1_3repE0EEENS1_30default_config_static_selectorELNS0_4arch9wavefront6targetE1EEEvT1_
                                        ; -- End function
	.section	.AMDGPU.csdata,"",@progbits
; Kernel info:
; codeLenInByte = 0
; NumSgprs: 4
; NumVgprs: 0
; NumAgprs: 0
; TotalNumVgprs: 0
; ScratchSize: 0
; MemoryBound: 0
; FloatMode: 240
; IeeeMode: 1
; LDSByteSize: 0 bytes/workgroup (compile time only)
; SGPRBlocks: 0
; VGPRBlocks: 0
; NumSGPRsForWavesPerEU: 4
; NumVGPRsForWavesPerEU: 1
; AccumOffset: 4
; Occupancy: 8
; WaveLimiterHint : 0
; COMPUTE_PGM_RSRC2:SCRATCH_EN: 0
; COMPUTE_PGM_RSRC2:USER_SGPR: 6
; COMPUTE_PGM_RSRC2:TRAP_HANDLER: 0
; COMPUTE_PGM_RSRC2:TGID_X_EN: 1
; COMPUTE_PGM_RSRC2:TGID_Y_EN: 0
; COMPUTE_PGM_RSRC2:TGID_Z_EN: 0
; COMPUTE_PGM_RSRC2:TIDIG_COMP_CNT: 0
; COMPUTE_PGM_RSRC3_GFX90A:ACCUM_OFFSET: 0
; COMPUTE_PGM_RSRC3_GFX90A:TG_SPLIT: 0
	.section	.text._ZN7rocprim17ROCPRIM_400000_NS6detail17trampoline_kernelINS0_14default_configENS1_20scan_config_selectorIfEEZZNS1_9scan_implILNS1_25lookback_scan_determinismE0ELb0ELb0ES3_N6thrust23THRUST_200600_302600_NS6detail15normal_iteratorINS9_10device_ptrIfEEEENSB_INSC_IiEEEEfNS9_4plusIvEEfEEDaPvRmT3_T4_T5_mT6_P12ihipStream_tbENKUlT_T0_E_clISt17integral_constantIbLb1EESV_IbLb0EEEEDaSR_SS_EUlSR_E0_NS1_11comp_targetILNS1_3genE8ELNS1_11target_archE1030ELNS1_3gpuE2ELNS1_3repE0EEENS1_30default_config_static_selectorELNS0_4arch9wavefront6targetE1EEEvT1_,"axG",@progbits,_ZN7rocprim17ROCPRIM_400000_NS6detail17trampoline_kernelINS0_14default_configENS1_20scan_config_selectorIfEEZZNS1_9scan_implILNS1_25lookback_scan_determinismE0ELb0ELb0ES3_N6thrust23THRUST_200600_302600_NS6detail15normal_iteratorINS9_10device_ptrIfEEEENSB_INSC_IiEEEEfNS9_4plusIvEEfEEDaPvRmT3_T4_T5_mT6_P12ihipStream_tbENKUlT_T0_E_clISt17integral_constantIbLb1EESV_IbLb0EEEEDaSR_SS_EUlSR_E0_NS1_11comp_targetILNS1_3genE8ELNS1_11target_archE1030ELNS1_3gpuE2ELNS1_3repE0EEENS1_30default_config_static_selectorELNS0_4arch9wavefront6targetE1EEEvT1_,comdat
	.protected	_ZN7rocprim17ROCPRIM_400000_NS6detail17trampoline_kernelINS0_14default_configENS1_20scan_config_selectorIfEEZZNS1_9scan_implILNS1_25lookback_scan_determinismE0ELb0ELb0ES3_N6thrust23THRUST_200600_302600_NS6detail15normal_iteratorINS9_10device_ptrIfEEEENSB_INSC_IiEEEEfNS9_4plusIvEEfEEDaPvRmT3_T4_T5_mT6_P12ihipStream_tbENKUlT_T0_E_clISt17integral_constantIbLb1EESV_IbLb0EEEEDaSR_SS_EUlSR_E0_NS1_11comp_targetILNS1_3genE8ELNS1_11target_archE1030ELNS1_3gpuE2ELNS1_3repE0EEENS1_30default_config_static_selectorELNS0_4arch9wavefront6targetE1EEEvT1_ ; -- Begin function _ZN7rocprim17ROCPRIM_400000_NS6detail17trampoline_kernelINS0_14default_configENS1_20scan_config_selectorIfEEZZNS1_9scan_implILNS1_25lookback_scan_determinismE0ELb0ELb0ES3_N6thrust23THRUST_200600_302600_NS6detail15normal_iteratorINS9_10device_ptrIfEEEENSB_INSC_IiEEEEfNS9_4plusIvEEfEEDaPvRmT3_T4_T5_mT6_P12ihipStream_tbENKUlT_T0_E_clISt17integral_constantIbLb1EESV_IbLb0EEEEDaSR_SS_EUlSR_E0_NS1_11comp_targetILNS1_3genE8ELNS1_11target_archE1030ELNS1_3gpuE2ELNS1_3repE0EEENS1_30default_config_static_selectorELNS0_4arch9wavefront6targetE1EEEvT1_
	.globl	_ZN7rocprim17ROCPRIM_400000_NS6detail17trampoline_kernelINS0_14default_configENS1_20scan_config_selectorIfEEZZNS1_9scan_implILNS1_25lookback_scan_determinismE0ELb0ELb0ES3_N6thrust23THRUST_200600_302600_NS6detail15normal_iteratorINS9_10device_ptrIfEEEENSB_INSC_IiEEEEfNS9_4plusIvEEfEEDaPvRmT3_T4_T5_mT6_P12ihipStream_tbENKUlT_T0_E_clISt17integral_constantIbLb1EESV_IbLb0EEEEDaSR_SS_EUlSR_E0_NS1_11comp_targetILNS1_3genE8ELNS1_11target_archE1030ELNS1_3gpuE2ELNS1_3repE0EEENS1_30default_config_static_selectorELNS0_4arch9wavefront6targetE1EEEvT1_
	.p2align	8
	.type	_ZN7rocprim17ROCPRIM_400000_NS6detail17trampoline_kernelINS0_14default_configENS1_20scan_config_selectorIfEEZZNS1_9scan_implILNS1_25lookback_scan_determinismE0ELb0ELb0ES3_N6thrust23THRUST_200600_302600_NS6detail15normal_iteratorINS9_10device_ptrIfEEEENSB_INSC_IiEEEEfNS9_4plusIvEEfEEDaPvRmT3_T4_T5_mT6_P12ihipStream_tbENKUlT_T0_E_clISt17integral_constantIbLb1EESV_IbLb0EEEEDaSR_SS_EUlSR_E0_NS1_11comp_targetILNS1_3genE8ELNS1_11target_archE1030ELNS1_3gpuE2ELNS1_3repE0EEENS1_30default_config_static_selectorELNS0_4arch9wavefront6targetE1EEEvT1_,@function
_ZN7rocprim17ROCPRIM_400000_NS6detail17trampoline_kernelINS0_14default_configENS1_20scan_config_selectorIfEEZZNS1_9scan_implILNS1_25lookback_scan_determinismE0ELb0ELb0ES3_N6thrust23THRUST_200600_302600_NS6detail15normal_iteratorINS9_10device_ptrIfEEEENSB_INSC_IiEEEEfNS9_4plusIvEEfEEDaPvRmT3_T4_T5_mT6_P12ihipStream_tbENKUlT_T0_E_clISt17integral_constantIbLb1EESV_IbLb0EEEEDaSR_SS_EUlSR_E0_NS1_11comp_targetILNS1_3genE8ELNS1_11target_archE1030ELNS1_3gpuE2ELNS1_3repE0EEENS1_30default_config_static_selectorELNS0_4arch9wavefront6targetE1EEEvT1_: ; @_ZN7rocprim17ROCPRIM_400000_NS6detail17trampoline_kernelINS0_14default_configENS1_20scan_config_selectorIfEEZZNS1_9scan_implILNS1_25lookback_scan_determinismE0ELb0ELb0ES3_N6thrust23THRUST_200600_302600_NS6detail15normal_iteratorINS9_10device_ptrIfEEEENSB_INSC_IiEEEEfNS9_4plusIvEEfEEDaPvRmT3_T4_T5_mT6_P12ihipStream_tbENKUlT_T0_E_clISt17integral_constantIbLb1EESV_IbLb0EEEEDaSR_SS_EUlSR_E0_NS1_11comp_targetILNS1_3genE8ELNS1_11target_archE1030ELNS1_3gpuE2ELNS1_3repE0EEENS1_30default_config_static_selectorELNS0_4arch9wavefront6targetE1EEEvT1_
; %bb.0:
	.section	.rodata,"a",@progbits
	.p2align	6, 0x0
	.amdhsa_kernel _ZN7rocprim17ROCPRIM_400000_NS6detail17trampoline_kernelINS0_14default_configENS1_20scan_config_selectorIfEEZZNS1_9scan_implILNS1_25lookback_scan_determinismE0ELb0ELb0ES3_N6thrust23THRUST_200600_302600_NS6detail15normal_iteratorINS9_10device_ptrIfEEEENSB_INSC_IiEEEEfNS9_4plusIvEEfEEDaPvRmT3_T4_T5_mT6_P12ihipStream_tbENKUlT_T0_E_clISt17integral_constantIbLb1EESV_IbLb0EEEEDaSR_SS_EUlSR_E0_NS1_11comp_targetILNS1_3genE8ELNS1_11target_archE1030ELNS1_3gpuE2ELNS1_3repE0EEENS1_30default_config_static_selectorELNS0_4arch9wavefront6targetE1EEEvT1_
		.amdhsa_group_segment_fixed_size 0
		.amdhsa_private_segment_fixed_size 0
		.amdhsa_kernarg_size 32
		.amdhsa_user_sgpr_count 6
		.amdhsa_user_sgpr_private_segment_buffer 1
		.amdhsa_user_sgpr_dispatch_ptr 0
		.amdhsa_user_sgpr_queue_ptr 0
		.amdhsa_user_sgpr_kernarg_segment_ptr 1
		.amdhsa_user_sgpr_dispatch_id 0
		.amdhsa_user_sgpr_flat_scratch_init 0
		.amdhsa_user_sgpr_kernarg_preload_length 0
		.amdhsa_user_sgpr_kernarg_preload_offset 0
		.amdhsa_user_sgpr_private_segment_size 0
		.amdhsa_uses_dynamic_stack 0
		.amdhsa_system_sgpr_private_segment_wavefront_offset 0
		.amdhsa_system_sgpr_workgroup_id_x 1
		.amdhsa_system_sgpr_workgroup_id_y 0
		.amdhsa_system_sgpr_workgroup_id_z 0
		.amdhsa_system_sgpr_workgroup_info 0
		.amdhsa_system_vgpr_workitem_id 0
		.amdhsa_next_free_vgpr 1
		.amdhsa_next_free_sgpr 0
		.amdhsa_accum_offset 4
		.amdhsa_reserve_vcc 0
		.amdhsa_reserve_flat_scratch 0
		.amdhsa_float_round_mode_32 0
		.amdhsa_float_round_mode_16_64 0
		.amdhsa_float_denorm_mode_32 3
		.amdhsa_float_denorm_mode_16_64 3
		.amdhsa_dx10_clamp 1
		.amdhsa_ieee_mode 1
		.amdhsa_fp16_overflow 0
		.amdhsa_tg_split 0
		.amdhsa_exception_fp_ieee_invalid_op 0
		.amdhsa_exception_fp_denorm_src 0
		.amdhsa_exception_fp_ieee_div_zero 0
		.amdhsa_exception_fp_ieee_overflow 0
		.amdhsa_exception_fp_ieee_underflow 0
		.amdhsa_exception_fp_ieee_inexact 0
		.amdhsa_exception_int_div_zero 0
	.end_amdhsa_kernel
	.section	.text._ZN7rocprim17ROCPRIM_400000_NS6detail17trampoline_kernelINS0_14default_configENS1_20scan_config_selectorIfEEZZNS1_9scan_implILNS1_25lookback_scan_determinismE0ELb0ELb0ES3_N6thrust23THRUST_200600_302600_NS6detail15normal_iteratorINS9_10device_ptrIfEEEENSB_INSC_IiEEEEfNS9_4plusIvEEfEEDaPvRmT3_T4_T5_mT6_P12ihipStream_tbENKUlT_T0_E_clISt17integral_constantIbLb1EESV_IbLb0EEEEDaSR_SS_EUlSR_E0_NS1_11comp_targetILNS1_3genE8ELNS1_11target_archE1030ELNS1_3gpuE2ELNS1_3repE0EEENS1_30default_config_static_selectorELNS0_4arch9wavefront6targetE1EEEvT1_,"axG",@progbits,_ZN7rocprim17ROCPRIM_400000_NS6detail17trampoline_kernelINS0_14default_configENS1_20scan_config_selectorIfEEZZNS1_9scan_implILNS1_25lookback_scan_determinismE0ELb0ELb0ES3_N6thrust23THRUST_200600_302600_NS6detail15normal_iteratorINS9_10device_ptrIfEEEENSB_INSC_IiEEEEfNS9_4plusIvEEfEEDaPvRmT3_T4_T5_mT6_P12ihipStream_tbENKUlT_T0_E_clISt17integral_constantIbLb1EESV_IbLb0EEEEDaSR_SS_EUlSR_E0_NS1_11comp_targetILNS1_3genE8ELNS1_11target_archE1030ELNS1_3gpuE2ELNS1_3repE0EEENS1_30default_config_static_selectorELNS0_4arch9wavefront6targetE1EEEvT1_,comdat
.Lfunc_end1476:
	.size	_ZN7rocprim17ROCPRIM_400000_NS6detail17trampoline_kernelINS0_14default_configENS1_20scan_config_selectorIfEEZZNS1_9scan_implILNS1_25lookback_scan_determinismE0ELb0ELb0ES3_N6thrust23THRUST_200600_302600_NS6detail15normal_iteratorINS9_10device_ptrIfEEEENSB_INSC_IiEEEEfNS9_4plusIvEEfEEDaPvRmT3_T4_T5_mT6_P12ihipStream_tbENKUlT_T0_E_clISt17integral_constantIbLb1EESV_IbLb0EEEEDaSR_SS_EUlSR_E0_NS1_11comp_targetILNS1_3genE8ELNS1_11target_archE1030ELNS1_3gpuE2ELNS1_3repE0EEENS1_30default_config_static_selectorELNS0_4arch9wavefront6targetE1EEEvT1_, .Lfunc_end1476-_ZN7rocprim17ROCPRIM_400000_NS6detail17trampoline_kernelINS0_14default_configENS1_20scan_config_selectorIfEEZZNS1_9scan_implILNS1_25lookback_scan_determinismE0ELb0ELb0ES3_N6thrust23THRUST_200600_302600_NS6detail15normal_iteratorINS9_10device_ptrIfEEEENSB_INSC_IiEEEEfNS9_4plusIvEEfEEDaPvRmT3_T4_T5_mT6_P12ihipStream_tbENKUlT_T0_E_clISt17integral_constantIbLb1EESV_IbLb0EEEEDaSR_SS_EUlSR_E0_NS1_11comp_targetILNS1_3genE8ELNS1_11target_archE1030ELNS1_3gpuE2ELNS1_3repE0EEENS1_30default_config_static_selectorELNS0_4arch9wavefront6targetE1EEEvT1_
                                        ; -- End function
	.section	.AMDGPU.csdata,"",@progbits
; Kernel info:
; codeLenInByte = 0
; NumSgprs: 4
; NumVgprs: 0
; NumAgprs: 0
; TotalNumVgprs: 0
; ScratchSize: 0
; MemoryBound: 0
; FloatMode: 240
; IeeeMode: 1
; LDSByteSize: 0 bytes/workgroup (compile time only)
; SGPRBlocks: 0
; VGPRBlocks: 0
; NumSGPRsForWavesPerEU: 4
; NumVGPRsForWavesPerEU: 1
; AccumOffset: 4
; Occupancy: 8
; WaveLimiterHint : 0
; COMPUTE_PGM_RSRC2:SCRATCH_EN: 0
; COMPUTE_PGM_RSRC2:USER_SGPR: 6
; COMPUTE_PGM_RSRC2:TRAP_HANDLER: 0
; COMPUTE_PGM_RSRC2:TGID_X_EN: 1
; COMPUTE_PGM_RSRC2:TGID_Y_EN: 0
; COMPUTE_PGM_RSRC2:TGID_Z_EN: 0
; COMPUTE_PGM_RSRC2:TIDIG_COMP_CNT: 0
; COMPUTE_PGM_RSRC3_GFX90A:ACCUM_OFFSET: 0
; COMPUTE_PGM_RSRC3_GFX90A:TG_SPLIT: 0
	.section	.text._ZN7rocprim17ROCPRIM_400000_NS6detail31init_lookback_scan_state_kernelINS1_19lookback_scan_stateIfLb0ELb1EEENS1_16block_id_wrapperIjLb1EEEEEvT_jT0_jPNS7_10value_typeE,"axG",@progbits,_ZN7rocprim17ROCPRIM_400000_NS6detail31init_lookback_scan_state_kernelINS1_19lookback_scan_stateIfLb0ELb1EEENS1_16block_id_wrapperIjLb1EEEEEvT_jT0_jPNS7_10value_typeE,comdat
	.protected	_ZN7rocprim17ROCPRIM_400000_NS6detail31init_lookback_scan_state_kernelINS1_19lookback_scan_stateIfLb0ELb1EEENS1_16block_id_wrapperIjLb1EEEEEvT_jT0_jPNS7_10value_typeE ; -- Begin function _ZN7rocprim17ROCPRIM_400000_NS6detail31init_lookback_scan_state_kernelINS1_19lookback_scan_stateIfLb0ELb1EEENS1_16block_id_wrapperIjLb1EEEEEvT_jT0_jPNS7_10value_typeE
	.globl	_ZN7rocprim17ROCPRIM_400000_NS6detail31init_lookback_scan_state_kernelINS1_19lookback_scan_stateIfLb0ELb1EEENS1_16block_id_wrapperIjLb1EEEEEvT_jT0_jPNS7_10value_typeE
	.p2align	8
	.type	_ZN7rocprim17ROCPRIM_400000_NS6detail31init_lookback_scan_state_kernelINS1_19lookback_scan_stateIfLb0ELb1EEENS1_16block_id_wrapperIjLb1EEEEEvT_jT0_jPNS7_10value_typeE,@function
_ZN7rocprim17ROCPRIM_400000_NS6detail31init_lookback_scan_state_kernelINS1_19lookback_scan_stateIfLb0ELb1EEENS1_16block_id_wrapperIjLb1EEEEEvT_jT0_jPNS7_10value_typeE: ; @_ZN7rocprim17ROCPRIM_400000_NS6detail31init_lookback_scan_state_kernelINS1_19lookback_scan_stateIfLb0ELb1EEENS1_16block_id_wrapperIjLb1EEEEEvT_jT0_jPNS7_10value_typeE
; %bb.0:
	s_load_dword s7, s[4:5], 0x34
	s_load_dwordx2 s[2:3], s[4:5], 0x20
	s_load_dwordx2 s[0:1], s[4:5], 0x0
	s_load_dword s10, s[4:5], 0x8
	s_waitcnt lgkmcnt(0)
	s_and_b32 s7, s7, 0xffff
	s_mul_i32 s6, s6, s7
	s_cmp_eq_u64 s[2:3], 0
	v_add_u32_e32 v0, s6, v0
	s_cbranch_scc1 .LBB1477_6
; %bb.1:
	s_load_dword s8, s[4:5], 0x18
	s_mov_b32 s9, 0
	s_waitcnt lgkmcnt(0)
	s_cmp_lt_u32 s8, s10
	s_cselect_b32 s6, s8, 0
	v_cmp_eq_u32_e32 vcc, s6, v0
	s_and_saveexec_b64 s[6:7], vcc
	s_cbranch_execz .LBB1477_5
; %bb.2:
	s_add_i32 s8, s8, 64
	s_lshl_b64 s[8:9], s[8:9], 3
	s_add_u32 s8, s0, s8
	s_addc_u32 s9, s1, s9
	v_mov_b32_e32 v4, 0
	global_load_dwordx2 v[2:3], v4, s[8:9] glc
	s_waitcnt vmcnt(0)
	v_and_b32_e32 v5, 0xff, v3
	v_cmp_ne_u64_e32 vcc, 0, v[4:5]
	s_cbranch_vccnz .LBB1477_4
.LBB1477_3:                             ; =>This Inner Loop Header: Depth=1
	global_load_dwordx2 v[2:3], v4, s[8:9] glc
	s_waitcnt vmcnt(0)
	v_and_b32_e32 v5, 0xff, v3
	v_cmp_eq_u64_e32 vcc, 0, v[4:5]
	s_cbranch_vccnz .LBB1477_3
.LBB1477_4:
	v_mov_b32_e32 v1, 0
	global_store_dword v1, v2, s[2:3]
.LBB1477_5:
	s_or_b64 exec, exec, s[6:7]
.LBB1477_6:
	v_cmp_eq_u32_e32 vcc, 0, v0
	s_and_saveexec_b64 s[2:3], vcc
	s_cbranch_execnz .LBB1477_10
; %bb.7:
	s_or_b64 exec, exec, s[2:3]
	v_cmp_gt_u32_e32 vcc, s10, v0
	s_and_saveexec_b64 s[2:3], vcc
	s_cbranch_execnz .LBB1477_11
.LBB1477_8:
	s_or_b64 exec, exec, s[2:3]
	v_cmp_gt_u32_e32 vcc, 64, v0
	s_and_saveexec_b64 s[2:3], vcc
	s_cbranch_execnz .LBB1477_12
.LBB1477_9:
	s_endpgm
.LBB1477_10:
	s_load_dwordx2 s[4:5], s[4:5], 0x10
	v_mov_b32_e32 v1, 0
	s_waitcnt lgkmcnt(0)
	global_store_dword v1, v1, s[4:5]
	s_or_b64 exec, exec, s[2:3]
	v_cmp_gt_u32_e32 vcc, s10, v0
	s_and_saveexec_b64 s[2:3], vcc
	s_cbranch_execz .LBB1477_8
.LBB1477_11:
	v_add_u32_e32 v2, 64, v0
	v_mov_b32_e32 v3, 0
	v_lshlrev_b64 v[4:5], 3, v[2:3]
	v_mov_b32_e32 v1, s1
	v_add_co_u32_e32 v4, vcc, s0, v4
	v_addc_co_u32_e32 v5, vcc, v1, v5, vcc
	v_mov_b32_e32 v2, v3
	global_store_dwordx2 v[4:5], v[2:3], off
	s_or_b64 exec, exec, s[2:3]
	v_cmp_gt_u32_e32 vcc, 64, v0
	s_and_saveexec_b64 s[2:3], vcc
	s_cbranch_execz .LBB1477_9
.LBB1477_12:
	v_mov_b32_e32 v1, 0
	v_lshlrev_b64 v[2:3], 3, v[0:1]
	v_mov_b32_e32 v0, s1
	v_add_co_u32_e32 v2, vcc, s0, v2
	v_addc_co_u32_e32 v3, vcc, v0, v3, vcc
	v_mov_b32_e32 v5, 0xff
	v_mov_b32_e32 v4, v1
	global_store_dwordx2 v[2:3], v[4:5], off
	s_endpgm
	.section	.rodata,"a",@progbits
	.p2align	6, 0x0
	.amdhsa_kernel _ZN7rocprim17ROCPRIM_400000_NS6detail31init_lookback_scan_state_kernelINS1_19lookback_scan_stateIfLb0ELb1EEENS1_16block_id_wrapperIjLb1EEEEEvT_jT0_jPNS7_10value_typeE
		.amdhsa_group_segment_fixed_size 0
		.amdhsa_private_segment_fixed_size 0
		.amdhsa_kernarg_size 296
		.amdhsa_user_sgpr_count 6
		.amdhsa_user_sgpr_private_segment_buffer 1
		.amdhsa_user_sgpr_dispatch_ptr 0
		.amdhsa_user_sgpr_queue_ptr 0
		.amdhsa_user_sgpr_kernarg_segment_ptr 1
		.amdhsa_user_sgpr_dispatch_id 0
		.amdhsa_user_sgpr_flat_scratch_init 0
		.amdhsa_user_sgpr_kernarg_preload_length 0
		.amdhsa_user_sgpr_kernarg_preload_offset 0
		.amdhsa_user_sgpr_private_segment_size 0
		.amdhsa_uses_dynamic_stack 0
		.amdhsa_system_sgpr_private_segment_wavefront_offset 0
		.amdhsa_system_sgpr_workgroup_id_x 1
		.amdhsa_system_sgpr_workgroup_id_y 0
		.amdhsa_system_sgpr_workgroup_id_z 0
		.amdhsa_system_sgpr_workgroup_info 0
		.amdhsa_system_vgpr_workitem_id 0
		.amdhsa_next_free_vgpr 6
		.amdhsa_next_free_sgpr 11
		.amdhsa_accum_offset 8
		.amdhsa_reserve_vcc 1
		.amdhsa_reserve_flat_scratch 0
		.amdhsa_float_round_mode_32 0
		.amdhsa_float_round_mode_16_64 0
		.amdhsa_float_denorm_mode_32 3
		.amdhsa_float_denorm_mode_16_64 3
		.amdhsa_dx10_clamp 1
		.amdhsa_ieee_mode 1
		.amdhsa_fp16_overflow 0
		.amdhsa_tg_split 0
		.amdhsa_exception_fp_ieee_invalid_op 0
		.amdhsa_exception_fp_denorm_src 0
		.amdhsa_exception_fp_ieee_div_zero 0
		.amdhsa_exception_fp_ieee_overflow 0
		.amdhsa_exception_fp_ieee_underflow 0
		.amdhsa_exception_fp_ieee_inexact 0
		.amdhsa_exception_int_div_zero 0
	.end_amdhsa_kernel
	.section	.text._ZN7rocprim17ROCPRIM_400000_NS6detail31init_lookback_scan_state_kernelINS1_19lookback_scan_stateIfLb0ELb1EEENS1_16block_id_wrapperIjLb1EEEEEvT_jT0_jPNS7_10value_typeE,"axG",@progbits,_ZN7rocprim17ROCPRIM_400000_NS6detail31init_lookback_scan_state_kernelINS1_19lookback_scan_stateIfLb0ELb1EEENS1_16block_id_wrapperIjLb1EEEEEvT_jT0_jPNS7_10value_typeE,comdat
.Lfunc_end1477:
	.size	_ZN7rocprim17ROCPRIM_400000_NS6detail31init_lookback_scan_state_kernelINS1_19lookback_scan_stateIfLb0ELb1EEENS1_16block_id_wrapperIjLb1EEEEEvT_jT0_jPNS7_10value_typeE, .Lfunc_end1477-_ZN7rocprim17ROCPRIM_400000_NS6detail31init_lookback_scan_state_kernelINS1_19lookback_scan_stateIfLb0ELb1EEENS1_16block_id_wrapperIjLb1EEEEEvT_jT0_jPNS7_10value_typeE
                                        ; -- End function
	.section	.AMDGPU.csdata,"",@progbits
; Kernel info:
; codeLenInByte = 380
; NumSgprs: 15
; NumVgprs: 6
; NumAgprs: 0
; TotalNumVgprs: 6
; ScratchSize: 0
; MemoryBound: 0
; FloatMode: 240
; IeeeMode: 1
; LDSByteSize: 0 bytes/workgroup (compile time only)
; SGPRBlocks: 1
; VGPRBlocks: 0
; NumSGPRsForWavesPerEU: 15
; NumVGPRsForWavesPerEU: 6
; AccumOffset: 8
; Occupancy: 8
; WaveLimiterHint : 0
; COMPUTE_PGM_RSRC2:SCRATCH_EN: 0
; COMPUTE_PGM_RSRC2:USER_SGPR: 6
; COMPUTE_PGM_RSRC2:TRAP_HANDLER: 0
; COMPUTE_PGM_RSRC2:TGID_X_EN: 1
; COMPUTE_PGM_RSRC2:TGID_Y_EN: 0
; COMPUTE_PGM_RSRC2:TGID_Z_EN: 0
; COMPUTE_PGM_RSRC2:TIDIG_COMP_CNT: 0
; COMPUTE_PGM_RSRC3_GFX90A:ACCUM_OFFSET: 1
; COMPUTE_PGM_RSRC3_GFX90A:TG_SPLIT: 0
	.section	.text._ZN7rocprim17ROCPRIM_400000_NS6detail17trampoline_kernelINS0_14default_configENS1_20scan_config_selectorIfEEZZNS1_9scan_implILNS1_25lookback_scan_determinismE0ELb0ELb0ES3_N6thrust23THRUST_200600_302600_NS6detail15normal_iteratorINS9_10device_ptrIfEEEENSB_INSC_IiEEEEfNS9_4plusIvEEfEEDaPvRmT3_T4_T5_mT6_P12ihipStream_tbENKUlT_T0_E_clISt17integral_constantIbLb0EESV_IbLb1EEEEDaSR_SS_EUlSR_E_NS1_11comp_targetILNS1_3genE0ELNS1_11target_archE4294967295ELNS1_3gpuE0ELNS1_3repE0EEENS1_30default_config_static_selectorELNS0_4arch9wavefront6targetE1EEEvT1_,"axG",@progbits,_ZN7rocprim17ROCPRIM_400000_NS6detail17trampoline_kernelINS0_14default_configENS1_20scan_config_selectorIfEEZZNS1_9scan_implILNS1_25lookback_scan_determinismE0ELb0ELb0ES3_N6thrust23THRUST_200600_302600_NS6detail15normal_iteratorINS9_10device_ptrIfEEEENSB_INSC_IiEEEEfNS9_4plusIvEEfEEDaPvRmT3_T4_T5_mT6_P12ihipStream_tbENKUlT_T0_E_clISt17integral_constantIbLb0EESV_IbLb1EEEEDaSR_SS_EUlSR_E_NS1_11comp_targetILNS1_3genE0ELNS1_11target_archE4294967295ELNS1_3gpuE0ELNS1_3repE0EEENS1_30default_config_static_selectorELNS0_4arch9wavefront6targetE1EEEvT1_,comdat
	.protected	_ZN7rocprim17ROCPRIM_400000_NS6detail17trampoline_kernelINS0_14default_configENS1_20scan_config_selectorIfEEZZNS1_9scan_implILNS1_25lookback_scan_determinismE0ELb0ELb0ES3_N6thrust23THRUST_200600_302600_NS6detail15normal_iteratorINS9_10device_ptrIfEEEENSB_INSC_IiEEEEfNS9_4plusIvEEfEEDaPvRmT3_T4_T5_mT6_P12ihipStream_tbENKUlT_T0_E_clISt17integral_constantIbLb0EESV_IbLb1EEEEDaSR_SS_EUlSR_E_NS1_11comp_targetILNS1_3genE0ELNS1_11target_archE4294967295ELNS1_3gpuE0ELNS1_3repE0EEENS1_30default_config_static_selectorELNS0_4arch9wavefront6targetE1EEEvT1_ ; -- Begin function _ZN7rocprim17ROCPRIM_400000_NS6detail17trampoline_kernelINS0_14default_configENS1_20scan_config_selectorIfEEZZNS1_9scan_implILNS1_25lookback_scan_determinismE0ELb0ELb0ES3_N6thrust23THRUST_200600_302600_NS6detail15normal_iteratorINS9_10device_ptrIfEEEENSB_INSC_IiEEEEfNS9_4plusIvEEfEEDaPvRmT3_T4_T5_mT6_P12ihipStream_tbENKUlT_T0_E_clISt17integral_constantIbLb0EESV_IbLb1EEEEDaSR_SS_EUlSR_E_NS1_11comp_targetILNS1_3genE0ELNS1_11target_archE4294967295ELNS1_3gpuE0ELNS1_3repE0EEENS1_30default_config_static_selectorELNS0_4arch9wavefront6targetE1EEEvT1_
	.globl	_ZN7rocprim17ROCPRIM_400000_NS6detail17trampoline_kernelINS0_14default_configENS1_20scan_config_selectorIfEEZZNS1_9scan_implILNS1_25lookback_scan_determinismE0ELb0ELb0ES3_N6thrust23THRUST_200600_302600_NS6detail15normal_iteratorINS9_10device_ptrIfEEEENSB_INSC_IiEEEEfNS9_4plusIvEEfEEDaPvRmT3_T4_T5_mT6_P12ihipStream_tbENKUlT_T0_E_clISt17integral_constantIbLb0EESV_IbLb1EEEEDaSR_SS_EUlSR_E_NS1_11comp_targetILNS1_3genE0ELNS1_11target_archE4294967295ELNS1_3gpuE0ELNS1_3repE0EEENS1_30default_config_static_selectorELNS0_4arch9wavefront6targetE1EEEvT1_
	.p2align	8
	.type	_ZN7rocprim17ROCPRIM_400000_NS6detail17trampoline_kernelINS0_14default_configENS1_20scan_config_selectorIfEEZZNS1_9scan_implILNS1_25lookback_scan_determinismE0ELb0ELb0ES3_N6thrust23THRUST_200600_302600_NS6detail15normal_iteratorINS9_10device_ptrIfEEEENSB_INSC_IiEEEEfNS9_4plusIvEEfEEDaPvRmT3_T4_T5_mT6_P12ihipStream_tbENKUlT_T0_E_clISt17integral_constantIbLb0EESV_IbLb1EEEEDaSR_SS_EUlSR_E_NS1_11comp_targetILNS1_3genE0ELNS1_11target_archE4294967295ELNS1_3gpuE0ELNS1_3repE0EEENS1_30default_config_static_selectorELNS0_4arch9wavefront6targetE1EEEvT1_,@function
_ZN7rocprim17ROCPRIM_400000_NS6detail17trampoline_kernelINS0_14default_configENS1_20scan_config_selectorIfEEZZNS1_9scan_implILNS1_25lookback_scan_determinismE0ELb0ELb0ES3_N6thrust23THRUST_200600_302600_NS6detail15normal_iteratorINS9_10device_ptrIfEEEENSB_INSC_IiEEEEfNS9_4plusIvEEfEEDaPvRmT3_T4_T5_mT6_P12ihipStream_tbENKUlT_T0_E_clISt17integral_constantIbLb0EESV_IbLb1EEEEDaSR_SS_EUlSR_E_NS1_11comp_targetILNS1_3genE0ELNS1_11target_archE4294967295ELNS1_3gpuE0ELNS1_3repE0EEENS1_30default_config_static_selectorELNS0_4arch9wavefront6targetE1EEEvT1_: ; @_ZN7rocprim17ROCPRIM_400000_NS6detail17trampoline_kernelINS0_14default_configENS1_20scan_config_selectorIfEEZZNS1_9scan_implILNS1_25lookback_scan_determinismE0ELb0ELb0ES3_N6thrust23THRUST_200600_302600_NS6detail15normal_iteratorINS9_10device_ptrIfEEEENSB_INSC_IiEEEEfNS9_4plusIvEEfEEDaPvRmT3_T4_T5_mT6_P12ihipStream_tbENKUlT_T0_E_clISt17integral_constantIbLb0EESV_IbLb1EEEEDaSR_SS_EUlSR_E_NS1_11comp_targetILNS1_3genE0ELNS1_11target_archE4294967295ELNS1_3gpuE0ELNS1_3repE0EEENS1_30default_config_static_selectorELNS0_4arch9wavefront6targetE1EEEvT1_
; %bb.0:
	.section	.rodata,"a",@progbits
	.p2align	6, 0x0
	.amdhsa_kernel _ZN7rocprim17ROCPRIM_400000_NS6detail17trampoline_kernelINS0_14default_configENS1_20scan_config_selectorIfEEZZNS1_9scan_implILNS1_25lookback_scan_determinismE0ELb0ELb0ES3_N6thrust23THRUST_200600_302600_NS6detail15normal_iteratorINS9_10device_ptrIfEEEENSB_INSC_IiEEEEfNS9_4plusIvEEfEEDaPvRmT3_T4_T5_mT6_P12ihipStream_tbENKUlT_T0_E_clISt17integral_constantIbLb0EESV_IbLb1EEEEDaSR_SS_EUlSR_E_NS1_11comp_targetILNS1_3genE0ELNS1_11target_archE4294967295ELNS1_3gpuE0ELNS1_3repE0EEENS1_30default_config_static_selectorELNS0_4arch9wavefront6targetE1EEEvT1_
		.amdhsa_group_segment_fixed_size 0
		.amdhsa_private_segment_fixed_size 0
		.amdhsa_kernarg_size 96
		.amdhsa_user_sgpr_count 6
		.amdhsa_user_sgpr_private_segment_buffer 1
		.amdhsa_user_sgpr_dispatch_ptr 0
		.amdhsa_user_sgpr_queue_ptr 0
		.amdhsa_user_sgpr_kernarg_segment_ptr 1
		.amdhsa_user_sgpr_dispatch_id 0
		.amdhsa_user_sgpr_flat_scratch_init 0
		.amdhsa_user_sgpr_kernarg_preload_length 0
		.amdhsa_user_sgpr_kernarg_preload_offset 0
		.amdhsa_user_sgpr_private_segment_size 0
		.amdhsa_uses_dynamic_stack 0
		.amdhsa_system_sgpr_private_segment_wavefront_offset 0
		.amdhsa_system_sgpr_workgroup_id_x 1
		.amdhsa_system_sgpr_workgroup_id_y 0
		.amdhsa_system_sgpr_workgroup_id_z 0
		.amdhsa_system_sgpr_workgroup_info 0
		.amdhsa_system_vgpr_workitem_id 0
		.amdhsa_next_free_vgpr 1
		.amdhsa_next_free_sgpr 0
		.amdhsa_accum_offset 4
		.amdhsa_reserve_vcc 0
		.amdhsa_reserve_flat_scratch 0
		.amdhsa_float_round_mode_32 0
		.amdhsa_float_round_mode_16_64 0
		.amdhsa_float_denorm_mode_32 3
		.amdhsa_float_denorm_mode_16_64 3
		.amdhsa_dx10_clamp 1
		.amdhsa_ieee_mode 1
		.amdhsa_fp16_overflow 0
		.amdhsa_tg_split 0
		.amdhsa_exception_fp_ieee_invalid_op 0
		.amdhsa_exception_fp_denorm_src 0
		.amdhsa_exception_fp_ieee_div_zero 0
		.amdhsa_exception_fp_ieee_overflow 0
		.amdhsa_exception_fp_ieee_underflow 0
		.amdhsa_exception_fp_ieee_inexact 0
		.amdhsa_exception_int_div_zero 0
	.end_amdhsa_kernel
	.section	.text._ZN7rocprim17ROCPRIM_400000_NS6detail17trampoline_kernelINS0_14default_configENS1_20scan_config_selectorIfEEZZNS1_9scan_implILNS1_25lookback_scan_determinismE0ELb0ELb0ES3_N6thrust23THRUST_200600_302600_NS6detail15normal_iteratorINS9_10device_ptrIfEEEENSB_INSC_IiEEEEfNS9_4plusIvEEfEEDaPvRmT3_T4_T5_mT6_P12ihipStream_tbENKUlT_T0_E_clISt17integral_constantIbLb0EESV_IbLb1EEEEDaSR_SS_EUlSR_E_NS1_11comp_targetILNS1_3genE0ELNS1_11target_archE4294967295ELNS1_3gpuE0ELNS1_3repE0EEENS1_30default_config_static_selectorELNS0_4arch9wavefront6targetE1EEEvT1_,"axG",@progbits,_ZN7rocprim17ROCPRIM_400000_NS6detail17trampoline_kernelINS0_14default_configENS1_20scan_config_selectorIfEEZZNS1_9scan_implILNS1_25lookback_scan_determinismE0ELb0ELb0ES3_N6thrust23THRUST_200600_302600_NS6detail15normal_iteratorINS9_10device_ptrIfEEEENSB_INSC_IiEEEEfNS9_4plusIvEEfEEDaPvRmT3_T4_T5_mT6_P12ihipStream_tbENKUlT_T0_E_clISt17integral_constantIbLb0EESV_IbLb1EEEEDaSR_SS_EUlSR_E_NS1_11comp_targetILNS1_3genE0ELNS1_11target_archE4294967295ELNS1_3gpuE0ELNS1_3repE0EEENS1_30default_config_static_selectorELNS0_4arch9wavefront6targetE1EEEvT1_,comdat
.Lfunc_end1478:
	.size	_ZN7rocprim17ROCPRIM_400000_NS6detail17trampoline_kernelINS0_14default_configENS1_20scan_config_selectorIfEEZZNS1_9scan_implILNS1_25lookback_scan_determinismE0ELb0ELb0ES3_N6thrust23THRUST_200600_302600_NS6detail15normal_iteratorINS9_10device_ptrIfEEEENSB_INSC_IiEEEEfNS9_4plusIvEEfEEDaPvRmT3_T4_T5_mT6_P12ihipStream_tbENKUlT_T0_E_clISt17integral_constantIbLb0EESV_IbLb1EEEEDaSR_SS_EUlSR_E_NS1_11comp_targetILNS1_3genE0ELNS1_11target_archE4294967295ELNS1_3gpuE0ELNS1_3repE0EEENS1_30default_config_static_selectorELNS0_4arch9wavefront6targetE1EEEvT1_, .Lfunc_end1478-_ZN7rocprim17ROCPRIM_400000_NS6detail17trampoline_kernelINS0_14default_configENS1_20scan_config_selectorIfEEZZNS1_9scan_implILNS1_25lookback_scan_determinismE0ELb0ELb0ES3_N6thrust23THRUST_200600_302600_NS6detail15normal_iteratorINS9_10device_ptrIfEEEENSB_INSC_IiEEEEfNS9_4plusIvEEfEEDaPvRmT3_T4_T5_mT6_P12ihipStream_tbENKUlT_T0_E_clISt17integral_constantIbLb0EESV_IbLb1EEEEDaSR_SS_EUlSR_E_NS1_11comp_targetILNS1_3genE0ELNS1_11target_archE4294967295ELNS1_3gpuE0ELNS1_3repE0EEENS1_30default_config_static_selectorELNS0_4arch9wavefront6targetE1EEEvT1_
                                        ; -- End function
	.section	.AMDGPU.csdata,"",@progbits
; Kernel info:
; codeLenInByte = 0
; NumSgprs: 4
; NumVgprs: 0
; NumAgprs: 0
; TotalNumVgprs: 0
; ScratchSize: 0
; MemoryBound: 0
; FloatMode: 240
; IeeeMode: 1
; LDSByteSize: 0 bytes/workgroup (compile time only)
; SGPRBlocks: 0
; VGPRBlocks: 0
; NumSGPRsForWavesPerEU: 4
; NumVGPRsForWavesPerEU: 1
; AccumOffset: 4
; Occupancy: 8
; WaveLimiterHint : 0
; COMPUTE_PGM_RSRC2:SCRATCH_EN: 0
; COMPUTE_PGM_RSRC2:USER_SGPR: 6
; COMPUTE_PGM_RSRC2:TRAP_HANDLER: 0
; COMPUTE_PGM_RSRC2:TGID_X_EN: 1
; COMPUTE_PGM_RSRC2:TGID_Y_EN: 0
; COMPUTE_PGM_RSRC2:TGID_Z_EN: 0
; COMPUTE_PGM_RSRC2:TIDIG_COMP_CNT: 0
; COMPUTE_PGM_RSRC3_GFX90A:ACCUM_OFFSET: 0
; COMPUTE_PGM_RSRC3_GFX90A:TG_SPLIT: 0
	.section	.text._ZN7rocprim17ROCPRIM_400000_NS6detail17trampoline_kernelINS0_14default_configENS1_20scan_config_selectorIfEEZZNS1_9scan_implILNS1_25lookback_scan_determinismE0ELb0ELb0ES3_N6thrust23THRUST_200600_302600_NS6detail15normal_iteratorINS9_10device_ptrIfEEEENSB_INSC_IiEEEEfNS9_4plusIvEEfEEDaPvRmT3_T4_T5_mT6_P12ihipStream_tbENKUlT_T0_E_clISt17integral_constantIbLb0EESV_IbLb1EEEEDaSR_SS_EUlSR_E_NS1_11comp_targetILNS1_3genE5ELNS1_11target_archE942ELNS1_3gpuE9ELNS1_3repE0EEENS1_30default_config_static_selectorELNS0_4arch9wavefront6targetE1EEEvT1_,"axG",@progbits,_ZN7rocprim17ROCPRIM_400000_NS6detail17trampoline_kernelINS0_14default_configENS1_20scan_config_selectorIfEEZZNS1_9scan_implILNS1_25lookback_scan_determinismE0ELb0ELb0ES3_N6thrust23THRUST_200600_302600_NS6detail15normal_iteratorINS9_10device_ptrIfEEEENSB_INSC_IiEEEEfNS9_4plusIvEEfEEDaPvRmT3_T4_T5_mT6_P12ihipStream_tbENKUlT_T0_E_clISt17integral_constantIbLb0EESV_IbLb1EEEEDaSR_SS_EUlSR_E_NS1_11comp_targetILNS1_3genE5ELNS1_11target_archE942ELNS1_3gpuE9ELNS1_3repE0EEENS1_30default_config_static_selectorELNS0_4arch9wavefront6targetE1EEEvT1_,comdat
	.protected	_ZN7rocprim17ROCPRIM_400000_NS6detail17trampoline_kernelINS0_14default_configENS1_20scan_config_selectorIfEEZZNS1_9scan_implILNS1_25lookback_scan_determinismE0ELb0ELb0ES3_N6thrust23THRUST_200600_302600_NS6detail15normal_iteratorINS9_10device_ptrIfEEEENSB_INSC_IiEEEEfNS9_4plusIvEEfEEDaPvRmT3_T4_T5_mT6_P12ihipStream_tbENKUlT_T0_E_clISt17integral_constantIbLb0EESV_IbLb1EEEEDaSR_SS_EUlSR_E_NS1_11comp_targetILNS1_3genE5ELNS1_11target_archE942ELNS1_3gpuE9ELNS1_3repE0EEENS1_30default_config_static_selectorELNS0_4arch9wavefront6targetE1EEEvT1_ ; -- Begin function _ZN7rocprim17ROCPRIM_400000_NS6detail17trampoline_kernelINS0_14default_configENS1_20scan_config_selectorIfEEZZNS1_9scan_implILNS1_25lookback_scan_determinismE0ELb0ELb0ES3_N6thrust23THRUST_200600_302600_NS6detail15normal_iteratorINS9_10device_ptrIfEEEENSB_INSC_IiEEEEfNS9_4plusIvEEfEEDaPvRmT3_T4_T5_mT6_P12ihipStream_tbENKUlT_T0_E_clISt17integral_constantIbLb0EESV_IbLb1EEEEDaSR_SS_EUlSR_E_NS1_11comp_targetILNS1_3genE5ELNS1_11target_archE942ELNS1_3gpuE9ELNS1_3repE0EEENS1_30default_config_static_selectorELNS0_4arch9wavefront6targetE1EEEvT1_
	.globl	_ZN7rocprim17ROCPRIM_400000_NS6detail17trampoline_kernelINS0_14default_configENS1_20scan_config_selectorIfEEZZNS1_9scan_implILNS1_25lookback_scan_determinismE0ELb0ELb0ES3_N6thrust23THRUST_200600_302600_NS6detail15normal_iteratorINS9_10device_ptrIfEEEENSB_INSC_IiEEEEfNS9_4plusIvEEfEEDaPvRmT3_T4_T5_mT6_P12ihipStream_tbENKUlT_T0_E_clISt17integral_constantIbLb0EESV_IbLb1EEEEDaSR_SS_EUlSR_E_NS1_11comp_targetILNS1_3genE5ELNS1_11target_archE942ELNS1_3gpuE9ELNS1_3repE0EEENS1_30default_config_static_selectorELNS0_4arch9wavefront6targetE1EEEvT1_
	.p2align	8
	.type	_ZN7rocprim17ROCPRIM_400000_NS6detail17trampoline_kernelINS0_14default_configENS1_20scan_config_selectorIfEEZZNS1_9scan_implILNS1_25lookback_scan_determinismE0ELb0ELb0ES3_N6thrust23THRUST_200600_302600_NS6detail15normal_iteratorINS9_10device_ptrIfEEEENSB_INSC_IiEEEEfNS9_4plusIvEEfEEDaPvRmT3_T4_T5_mT6_P12ihipStream_tbENKUlT_T0_E_clISt17integral_constantIbLb0EESV_IbLb1EEEEDaSR_SS_EUlSR_E_NS1_11comp_targetILNS1_3genE5ELNS1_11target_archE942ELNS1_3gpuE9ELNS1_3repE0EEENS1_30default_config_static_selectorELNS0_4arch9wavefront6targetE1EEEvT1_,@function
_ZN7rocprim17ROCPRIM_400000_NS6detail17trampoline_kernelINS0_14default_configENS1_20scan_config_selectorIfEEZZNS1_9scan_implILNS1_25lookback_scan_determinismE0ELb0ELb0ES3_N6thrust23THRUST_200600_302600_NS6detail15normal_iteratorINS9_10device_ptrIfEEEENSB_INSC_IiEEEEfNS9_4plusIvEEfEEDaPvRmT3_T4_T5_mT6_P12ihipStream_tbENKUlT_T0_E_clISt17integral_constantIbLb0EESV_IbLb1EEEEDaSR_SS_EUlSR_E_NS1_11comp_targetILNS1_3genE5ELNS1_11target_archE942ELNS1_3gpuE9ELNS1_3repE0EEENS1_30default_config_static_selectorELNS0_4arch9wavefront6targetE1EEEvT1_: ; @_ZN7rocprim17ROCPRIM_400000_NS6detail17trampoline_kernelINS0_14default_configENS1_20scan_config_selectorIfEEZZNS1_9scan_implILNS1_25lookback_scan_determinismE0ELb0ELb0ES3_N6thrust23THRUST_200600_302600_NS6detail15normal_iteratorINS9_10device_ptrIfEEEENSB_INSC_IiEEEEfNS9_4plusIvEEfEEDaPvRmT3_T4_T5_mT6_P12ihipStream_tbENKUlT_T0_E_clISt17integral_constantIbLb0EESV_IbLb1EEEEDaSR_SS_EUlSR_E_NS1_11comp_targetILNS1_3genE5ELNS1_11target_archE942ELNS1_3gpuE9ELNS1_3repE0EEENS1_30default_config_static_selectorELNS0_4arch9wavefront6targetE1EEEvT1_
; %bb.0:
	.section	.rodata,"a",@progbits
	.p2align	6, 0x0
	.amdhsa_kernel _ZN7rocprim17ROCPRIM_400000_NS6detail17trampoline_kernelINS0_14default_configENS1_20scan_config_selectorIfEEZZNS1_9scan_implILNS1_25lookback_scan_determinismE0ELb0ELb0ES3_N6thrust23THRUST_200600_302600_NS6detail15normal_iteratorINS9_10device_ptrIfEEEENSB_INSC_IiEEEEfNS9_4plusIvEEfEEDaPvRmT3_T4_T5_mT6_P12ihipStream_tbENKUlT_T0_E_clISt17integral_constantIbLb0EESV_IbLb1EEEEDaSR_SS_EUlSR_E_NS1_11comp_targetILNS1_3genE5ELNS1_11target_archE942ELNS1_3gpuE9ELNS1_3repE0EEENS1_30default_config_static_selectorELNS0_4arch9wavefront6targetE1EEEvT1_
		.amdhsa_group_segment_fixed_size 0
		.amdhsa_private_segment_fixed_size 0
		.amdhsa_kernarg_size 96
		.amdhsa_user_sgpr_count 6
		.amdhsa_user_sgpr_private_segment_buffer 1
		.amdhsa_user_sgpr_dispatch_ptr 0
		.amdhsa_user_sgpr_queue_ptr 0
		.amdhsa_user_sgpr_kernarg_segment_ptr 1
		.amdhsa_user_sgpr_dispatch_id 0
		.amdhsa_user_sgpr_flat_scratch_init 0
		.amdhsa_user_sgpr_kernarg_preload_length 0
		.amdhsa_user_sgpr_kernarg_preload_offset 0
		.amdhsa_user_sgpr_private_segment_size 0
		.amdhsa_uses_dynamic_stack 0
		.amdhsa_system_sgpr_private_segment_wavefront_offset 0
		.amdhsa_system_sgpr_workgroup_id_x 1
		.amdhsa_system_sgpr_workgroup_id_y 0
		.amdhsa_system_sgpr_workgroup_id_z 0
		.amdhsa_system_sgpr_workgroup_info 0
		.amdhsa_system_vgpr_workitem_id 0
		.amdhsa_next_free_vgpr 1
		.amdhsa_next_free_sgpr 0
		.amdhsa_accum_offset 4
		.amdhsa_reserve_vcc 0
		.amdhsa_reserve_flat_scratch 0
		.amdhsa_float_round_mode_32 0
		.amdhsa_float_round_mode_16_64 0
		.amdhsa_float_denorm_mode_32 3
		.amdhsa_float_denorm_mode_16_64 3
		.amdhsa_dx10_clamp 1
		.amdhsa_ieee_mode 1
		.amdhsa_fp16_overflow 0
		.amdhsa_tg_split 0
		.amdhsa_exception_fp_ieee_invalid_op 0
		.amdhsa_exception_fp_denorm_src 0
		.amdhsa_exception_fp_ieee_div_zero 0
		.amdhsa_exception_fp_ieee_overflow 0
		.amdhsa_exception_fp_ieee_underflow 0
		.amdhsa_exception_fp_ieee_inexact 0
		.amdhsa_exception_int_div_zero 0
	.end_amdhsa_kernel
	.section	.text._ZN7rocprim17ROCPRIM_400000_NS6detail17trampoline_kernelINS0_14default_configENS1_20scan_config_selectorIfEEZZNS1_9scan_implILNS1_25lookback_scan_determinismE0ELb0ELb0ES3_N6thrust23THRUST_200600_302600_NS6detail15normal_iteratorINS9_10device_ptrIfEEEENSB_INSC_IiEEEEfNS9_4plusIvEEfEEDaPvRmT3_T4_T5_mT6_P12ihipStream_tbENKUlT_T0_E_clISt17integral_constantIbLb0EESV_IbLb1EEEEDaSR_SS_EUlSR_E_NS1_11comp_targetILNS1_3genE5ELNS1_11target_archE942ELNS1_3gpuE9ELNS1_3repE0EEENS1_30default_config_static_selectorELNS0_4arch9wavefront6targetE1EEEvT1_,"axG",@progbits,_ZN7rocprim17ROCPRIM_400000_NS6detail17trampoline_kernelINS0_14default_configENS1_20scan_config_selectorIfEEZZNS1_9scan_implILNS1_25lookback_scan_determinismE0ELb0ELb0ES3_N6thrust23THRUST_200600_302600_NS6detail15normal_iteratorINS9_10device_ptrIfEEEENSB_INSC_IiEEEEfNS9_4plusIvEEfEEDaPvRmT3_T4_T5_mT6_P12ihipStream_tbENKUlT_T0_E_clISt17integral_constantIbLb0EESV_IbLb1EEEEDaSR_SS_EUlSR_E_NS1_11comp_targetILNS1_3genE5ELNS1_11target_archE942ELNS1_3gpuE9ELNS1_3repE0EEENS1_30default_config_static_selectorELNS0_4arch9wavefront6targetE1EEEvT1_,comdat
.Lfunc_end1479:
	.size	_ZN7rocprim17ROCPRIM_400000_NS6detail17trampoline_kernelINS0_14default_configENS1_20scan_config_selectorIfEEZZNS1_9scan_implILNS1_25lookback_scan_determinismE0ELb0ELb0ES3_N6thrust23THRUST_200600_302600_NS6detail15normal_iteratorINS9_10device_ptrIfEEEENSB_INSC_IiEEEEfNS9_4plusIvEEfEEDaPvRmT3_T4_T5_mT6_P12ihipStream_tbENKUlT_T0_E_clISt17integral_constantIbLb0EESV_IbLb1EEEEDaSR_SS_EUlSR_E_NS1_11comp_targetILNS1_3genE5ELNS1_11target_archE942ELNS1_3gpuE9ELNS1_3repE0EEENS1_30default_config_static_selectorELNS0_4arch9wavefront6targetE1EEEvT1_, .Lfunc_end1479-_ZN7rocprim17ROCPRIM_400000_NS6detail17trampoline_kernelINS0_14default_configENS1_20scan_config_selectorIfEEZZNS1_9scan_implILNS1_25lookback_scan_determinismE0ELb0ELb0ES3_N6thrust23THRUST_200600_302600_NS6detail15normal_iteratorINS9_10device_ptrIfEEEENSB_INSC_IiEEEEfNS9_4plusIvEEfEEDaPvRmT3_T4_T5_mT6_P12ihipStream_tbENKUlT_T0_E_clISt17integral_constantIbLb0EESV_IbLb1EEEEDaSR_SS_EUlSR_E_NS1_11comp_targetILNS1_3genE5ELNS1_11target_archE942ELNS1_3gpuE9ELNS1_3repE0EEENS1_30default_config_static_selectorELNS0_4arch9wavefront6targetE1EEEvT1_
                                        ; -- End function
	.section	.AMDGPU.csdata,"",@progbits
; Kernel info:
; codeLenInByte = 0
; NumSgprs: 4
; NumVgprs: 0
; NumAgprs: 0
; TotalNumVgprs: 0
; ScratchSize: 0
; MemoryBound: 0
; FloatMode: 240
; IeeeMode: 1
; LDSByteSize: 0 bytes/workgroup (compile time only)
; SGPRBlocks: 0
; VGPRBlocks: 0
; NumSGPRsForWavesPerEU: 4
; NumVGPRsForWavesPerEU: 1
; AccumOffset: 4
; Occupancy: 8
; WaveLimiterHint : 0
; COMPUTE_PGM_RSRC2:SCRATCH_EN: 0
; COMPUTE_PGM_RSRC2:USER_SGPR: 6
; COMPUTE_PGM_RSRC2:TRAP_HANDLER: 0
; COMPUTE_PGM_RSRC2:TGID_X_EN: 1
; COMPUTE_PGM_RSRC2:TGID_Y_EN: 0
; COMPUTE_PGM_RSRC2:TGID_Z_EN: 0
; COMPUTE_PGM_RSRC2:TIDIG_COMP_CNT: 0
; COMPUTE_PGM_RSRC3_GFX90A:ACCUM_OFFSET: 0
; COMPUTE_PGM_RSRC3_GFX90A:TG_SPLIT: 0
	.section	.text._ZN7rocprim17ROCPRIM_400000_NS6detail17trampoline_kernelINS0_14default_configENS1_20scan_config_selectorIfEEZZNS1_9scan_implILNS1_25lookback_scan_determinismE0ELb0ELb0ES3_N6thrust23THRUST_200600_302600_NS6detail15normal_iteratorINS9_10device_ptrIfEEEENSB_INSC_IiEEEEfNS9_4plusIvEEfEEDaPvRmT3_T4_T5_mT6_P12ihipStream_tbENKUlT_T0_E_clISt17integral_constantIbLb0EESV_IbLb1EEEEDaSR_SS_EUlSR_E_NS1_11comp_targetILNS1_3genE4ELNS1_11target_archE910ELNS1_3gpuE8ELNS1_3repE0EEENS1_30default_config_static_selectorELNS0_4arch9wavefront6targetE1EEEvT1_,"axG",@progbits,_ZN7rocprim17ROCPRIM_400000_NS6detail17trampoline_kernelINS0_14default_configENS1_20scan_config_selectorIfEEZZNS1_9scan_implILNS1_25lookback_scan_determinismE0ELb0ELb0ES3_N6thrust23THRUST_200600_302600_NS6detail15normal_iteratorINS9_10device_ptrIfEEEENSB_INSC_IiEEEEfNS9_4plusIvEEfEEDaPvRmT3_T4_T5_mT6_P12ihipStream_tbENKUlT_T0_E_clISt17integral_constantIbLb0EESV_IbLb1EEEEDaSR_SS_EUlSR_E_NS1_11comp_targetILNS1_3genE4ELNS1_11target_archE910ELNS1_3gpuE8ELNS1_3repE0EEENS1_30default_config_static_selectorELNS0_4arch9wavefront6targetE1EEEvT1_,comdat
	.protected	_ZN7rocprim17ROCPRIM_400000_NS6detail17trampoline_kernelINS0_14default_configENS1_20scan_config_selectorIfEEZZNS1_9scan_implILNS1_25lookback_scan_determinismE0ELb0ELb0ES3_N6thrust23THRUST_200600_302600_NS6detail15normal_iteratorINS9_10device_ptrIfEEEENSB_INSC_IiEEEEfNS9_4plusIvEEfEEDaPvRmT3_T4_T5_mT6_P12ihipStream_tbENKUlT_T0_E_clISt17integral_constantIbLb0EESV_IbLb1EEEEDaSR_SS_EUlSR_E_NS1_11comp_targetILNS1_3genE4ELNS1_11target_archE910ELNS1_3gpuE8ELNS1_3repE0EEENS1_30default_config_static_selectorELNS0_4arch9wavefront6targetE1EEEvT1_ ; -- Begin function _ZN7rocprim17ROCPRIM_400000_NS6detail17trampoline_kernelINS0_14default_configENS1_20scan_config_selectorIfEEZZNS1_9scan_implILNS1_25lookback_scan_determinismE0ELb0ELb0ES3_N6thrust23THRUST_200600_302600_NS6detail15normal_iteratorINS9_10device_ptrIfEEEENSB_INSC_IiEEEEfNS9_4plusIvEEfEEDaPvRmT3_T4_T5_mT6_P12ihipStream_tbENKUlT_T0_E_clISt17integral_constantIbLb0EESV_IbLb1EEEEDaSR_SS_EUlSR_E_NS1_11comp_targetILNS1_3genE4ELNS1_11target_archE910ELNS1_3gpuE8ELNS1_3repE0EEENS1_30default_config_static_selectorELNS0_4arch9wavefront6targetE1EEEvT1_
	.globl	_ZN7rocprim17ROCPRIM_400000_NS6detail17trampoline_kernelINS0_14default_configENS1_20scan_config_selectorIfEEZZNS1_9scan_implILNS1_25lookback_scan_determinismE0ELb0ELb0ES3_N6thrust23THRUST_200600_302600_NS6detail15normal_iteratorINS9_10device_ptrIfEEEENSB_INSC_IiEEEEfNS9_4plusIvEEfEEDaPvRmT3_T4_T5_mT6_P12ihipStream_tbENKUlT_T0_E_clISt17integral_constantIbLb0EESV_IbLb1EEEEDaSR_SS_EUlSR_E_NS1_11comp_targetILNS1_3genE4ELNS1_11target_archE910ELNS1_3gpuE8ELNS1_3repE0EEENS1_30default_config_static_selectorELNS0_4arch9wavefront6targetE1EEEvT1_
	.p2align	8
	.type	_ZN7rocprim17ROCPRIM_400000_NS6detail17trampoline_kernelINS0_14default_configENS1_20scan_config_selectorIfEEZZNS1_9scan_implILNS1_25lookback_scan_determinismE0ELb0ELb0ES3_N6thrust23THRUST_200600_302600_NS6detail15normal_iteratorINS9_10device_ptrIfEEEENSB_INSC_IiEEEEfNS9_4plusIvEEfEEDaPvRmT3_T4_T5_mT6_P12ihipStream_tbENKUlT_T0_E_clISt17integral_constantIbLb0EESV_IbLb1EEEEDaSR_SS_EUlSR_E_NS1_11comp_targetILNS1_3genE4ELNS1_11target_archE910ELNS1_3gpuE8ELNS1_3repE0EEENS1_30default_config_static_selectorELNS0_4arch9wavefront6targetE1EEEvT1_,@function
_ZN7rocprim17ROCPRIM_400000_NS6detail17trampoline_kernelINS0_14default_configENS1_20scan_config_selectorIfEEZZNS1_9scan_implILNS1_25lookback_scan_determinismE0ELb0ELb0ES3_N6thrust23THRUST_200600_302600_NS6detail15normal_iteratorINS9_10device_ptrIfEEEENSB_INSC_IiEEEEfNS9_4plusIvEEfEEDaPvRmT3_T4_T5_mT6_P12ihipStream_tbENKUlT_T0_E_clISt17integral_constantIbLb0EESV_IbLb1EEEEDaSR_SS_EUlSR_E_NS1_11comp_targetILNS1_3genE4ELNS1_11target_archE910ELNS1_3gpuE8ELNS1_3repE0EEENS1_30default_config_static_selectorELNS0_4arch9wavefront6targetE1EEEvT1_: ; @_ZN7rocprim17ROCPRIM_400000_NS6detail17trampoline_kernelINS0_14default_configENS1_20scan_config_selectorIfEEZZNS1_9scan_implILNS1_25lookback_scan_determinismE0ELb0ELb0ES3_N6thrust23THRUST_200600_302600_NS6detail15normal_iteratorINS9_10device_ptrIfEEEENSB_INSC_IiEEEEfNS9_4plusIvEEfEEDaPvRmT3_T4_T5_mT6_P12ihipStream_tbENKUlT_T0_E_clISt17integral_constantIbLb0EESV_IbLb1EEEEDaSR_SS_EUlSR_E_NS1_11comp_targetILNS1_3genE4ELNS1_11target_archE910ELNS1_3gpuE8ELNS1_3repE0EEENS1_30default_config_static_selectorELNS0_4arch9wavefront6targetE1EEEvT1_
; %bb.0:
	s_load_dwordx2 s[14:15], s[4:5], 0x28
	v_cmp_ne_u32_e64 s[0:1], 0, v0
	v_cmp_eq_u32_e64 s[2:3], 0, v0
	s_and_saveexec_b64 s[6:7], s[2:3]
	s_cbranch_execz .LBB1480_4
; %bb.1:
	s_mov_b64 s[10:11], exec
	v_mbcnt_lo_u32_b32 v1, s10, 0
	v_mbcnt_hi_u32_b32 v1, s11, v1
	v_cmp_eq_u32_e32 vcc, 0, v1
                                        ; implicit-def: $vgpr2
	s_and_saveexec_b64 s[8:9], vcc
	s_cbranch_execz .LBB1480_3
; %bb.2:
	s_load_dwordx2 s[12:13], s[4:5], 0x58
	s_bcnt1_i32_b64 s10, s[10:11]
	v_mov_b32_e32 v2, 0
	v_mov_b32_e32 v3, s10
	s_waitcnt lgkmcnt(0)
	global_atomic_add v2, v2, v3, s[12:13] glc
.LBB1480_3:
	s_or_b64 exec, exec, s[8:9]
	s_waitcnt vmcnt(0)
	v_readfirstlane_b32 s8, v2
	v_add_u32_e32 v1, s8, v1
	v_mov_b32_e32 v2, 0
	ds_write_b32 v2, v1
.LBB1480_4:
	s_or_b64 exec, exec, s[6:7]
	s_load_dwordx8 s[24:31], s[4:5], 0x0
	s_load_dword s6, s[4:5], 0x30
	s_load_dwordx8 s[16:23], s[4:5], 0x38
	v_mov_b32_e32 v1, 0
	s_waitcnt lgkmcnt(0)
	s_barrier
	ds_read_b32 v1, v1
	s_lshl_b64 s[26:27], s[26:27], 2
	s_add_u32 s7, s24, s26
	s_addc_u32 s8, s25, s27
	s_add_i32 s6, s6, -1
	s_mul_i32 s9, s6, 0x700
	s_sub_u32 s33, s30, s9
	s_waitcnt lgkmcnt(0)
	v_readfirstlane_b32 s37, v1
	s_subb_u32 s36, s31, 0
	s_mul_i32 s4, s37, 0x700
	s_mov_b32 s5, 0
	s_cmp_lg_u32 s37, s6
	s_cselect_b64 s[24:25], -1, 0
	s_lshl_b64 s[30:31], s[4:5], 2
	s_add_u32 s6, s7, s30
	s_addc_u32 s7, s8, s31
	s_mov_b64 s[4:5], -1
	s_and_b64 vcc, exec, s[24:25]
	v_lshlrev_b32_e32 v32, 2, v0
	s_barrier
	s_cbranch_vccz .LBB1480_6
; %bb.5:
	v_mov_b32_e32 v1, s7
	v_add_co_u32_e32 v2, vcc, s6, v32
	v_addc_co_u32_e32 v3, vcc, 0, v1, vcc
	flat_load_dword v1, v[2:3]
	flat_load_dword v4, v[2:3] offset:512
	flat_load_dword v5, v[2:3] offset:1024
	;; [unrolled: 1-line block ×7, first 2 shown]
	v_add_co_u32_e32 v2, vcc, 0x1000, v2
	v_addc_co_u32_e32 v3, vcc, 0, v3, vcc
	flat_load_dword v11, v[2:3]
	flat_load_dword v12, v[2:3] offset:512
	flat_load_dword v13, v[2:3] offset:1024
	;; [unrolled: 1-line block ×5, first 2 shown]
	s_mov_b64 s[4:5], 0
	s_waitcnt vmcnt(0) lgkmcnt(0)
	ds_write2st64_b32 v32, v1, v4 offset1:2
	ds_write2st64_b32 v32, v5, v6 offset0:4 offset1:6
	ds_write2st64_b32 v32, v7, v8 offset0:8 offset1:10
	;; [unrolled: 1-line block ×6, first 2 shown]
	s_waitcnt lgkmcnt(0)
	s_barrier
.LBB1480_6:
	s_andn2_b64 vcc, exec, s[4:5]
	v_cmp_gt_u32_e64 s[4:5], s33, v0
	s_cbranch_vccnz .LBB1480_36
; %bb.7:
	v_pk_mov_b32 v[2:3], s[6:7], s[6:7] op_sel:[0,1]
	flat_load_dword v1, v[2:3]
	s_waitcnt vmcnt(0) lgkmcnt(0)
	v_mov_b32_e32 v2, v1
	v_mov_b32_e32 v3, v1
	;; [unrolled: 1-line block ×12, first 2 shown]
	v_pk_mov_b32 v[16:17], v[14:15], v[14:15] op_sel:[0,1]
	v_pk_mov_b32 v[14:15], v[12:13], v[12:13] op_sel:[0,1]
	;; [unrolled: 1-line block ×8, first 2 shown]
	s_and_saveexec_b64 s[8:9], s[4:5]
	s_cbranch_execz .LBB1480_9
; %bb.8:
	v_mov_b32_e32 v3, s7
	v_add_co_u32_e32 v2, vcc, s6, v32
	v_addc_co_u32_e32 v3, vcc, 0, v3, vcc
	flat_load_dword v18, v[2:3]
	v_mov_b32_e32 v2, v1
	v_mov_b32_e32 v3, v1
	;; [unrolled: 1-line block ×12, first 2 shown]
	v_pk_mov_b32 v[16:17], v[14:15], v[14:15] op_sel:[0,1]
	v_pk_mov_b32 v[14:15], v[12:13], v[12:13] op_sel:[0,1]
	v_pk_mov_b32 v[12:13], v[10:11], v[10:11] op_sel:[0,1]
	v_pk_mov_b32 v[10:11], v[8:9], v[8:9] op_sel:[0,1]
	v_pk_mov_b32 v[8:9], v[6:7], v[6:7] op_sel:[0,1]
	v_pk_mov_b32 v[6:7], v[4:5], v[4:5] op_sel:[0,1]
	v_pk_mov_b32 v[4:5], v[2:3], v[2:3] op_sel:[0,1]
	v_pk_mov_b32 v[2:3], v[0:1], v[0:1] op_sel:[0,1]
	s_waitcnt vmcnt(0) lgkmcnt(0)
	v_mov_b32_e32 v1, v18
.LBB1480_9:
	s_or_b64 exec, exec, s[8:9]
	v_or_b32_e32 v2, 0x80, v0
	v_cmp_gt_u32_e32 vcc, s33, v2
	s_and_saveexec_b64 s[4:5], vcc
	s_cbranch_execz .LBB1480_11
; %bb.10:
	v_mov_b32_e32 v3, s7
	v_add_co_u32_e32 v2, vcc, s6, v32
	v_addc_co_u32_e32 v3, vcc, 0, v3, vcc
	flat_load_dword v3, v[2:3] offset:512
.LBB1480_11:
	s_or_b64 exec, exec, s[4:5]
	v_or_b32_e32 v2, 0x100, v0
	v_cmp_gt_u32_e32 vcc, s33, v2
	s_and_saveexec_b64 s[4:5], vcc
	s_cbranch_execz .LBB1480_13
; %bb.12:
	v_mov_b32_e32 v2, s7
	v_add_co_u32_e32 v16, vcc, s6, v32
	v_addc_co_u32_e32 v17, vcc, 0, v2, vcc
	flat_load_dword v4, v[16:17] offset:1024
.LBB1480_13:
	;; [unrolled: 11-line block ×7, first 2 shown]
	s_or_b64 exec, exec, s[4:5]
	v_or_b32_e32 v2, 0x400, v0
	v_cmp_gt_u32_e32 vcc, s33, v2
	s_and_saveexec_b64 s[4:5], vcc
	s_cbranch_execz .LBB1480_25
; %bb.24:
	v_lshlrev_b32_e32 v2, 2, v2
	v_mov_b32_e32 v10, s7
	v_add_co_u32_e32 v16, vcc, s6, v2
	v_addc_co_u32_e32 v17, vcc, 0, v10, vcc
	flat_load_dword v10, v[16:17]
.LBB1480_25:
	s_or_b64 exec, exec, s[4:5]
	v_or_b32_e32 v2, 0x480, v0
	v_cmp_gt_u32_e32 vcc, s33, v2
	s_and_saveexec_b64 s[4:5], vcc
	s_cbranch_execz .LBB1480_27
; %bb.26:
	v_lshlrev_b32_e32 v2, 2, v2
	v_mov_b32_e32 v11, s7
	v_add_co_u32_e32 v16, vcc, s6, v2
	v_addc_co_u32_e32 v17, vcc, 0, v11, vcc
	flat_load_dword v11, v[16:17]
.LBB1480_27:
	;; [unrolled: 12-line block ×6, first 2 shown]
	s_or_b64 exec, exec, s[4:5]
	s_waitcnt vmcnt(0) lgkmcnt(0)
	ds_write2st64_b32 v32, v1, v3 offset1:2
	ds_write2st64_b32 v32, v4, v5 offset0:4 offset1:6
	ds_write2st64_b32 v32, v6, v7 offset0:8 offset1:10
	;; [unrolled: 1-line block ×6, first 2 shown]
	s_waitcnt lgkmcnt(0)
	s_barrier
.LBB1480_36:
	v_mul_u32_u24_e32 v33, 14, v0
	v_lshlrev_b32_e32 v34, 2, v33
	ds_read2_b64 v[2:5], v34 offset1:1
	ds_read2_b64 v[26:29], v34 offset0:2 offset1:3
	ds_read2_b64 v[22:25], v34 offset0:4 offset1:5
	ds_read_b64 v[30:31], v34 offset:48
	s_cmp_lg_u32 s37, 0
	v_lshrrev_b32_e32 v1, 5, v0
	v_cmp_gt_u32_e32 vcc, 64, v0
	s_waitcnt lgkmcnt(0)
	s_barrier
	s_cbranch_scc0 .LBB1480_61
; %bb.37:
	v_add_f32_e32 v6, v2, v3
	v_add_f32_e32 v6, v4, v6
	;; [unrolled: 1-line block ×13, first 2 shown]
	v_add_lshl_u32 v6, v1, v0, 2
	ds_write_b32 v6, v16
	s_waitcnt lgkmcnt(0)
	s_barrier
	s_and_saveexec_b64 s[10:11], vcc
	s_cbranch_execz .LBB1480_39
; %bb.38:
	v_lshlrev_b32_e32 v6, 1, v0
	v_lshrrev_b32_e32 v7, 4, v0
	v_add_lshl_u32 v8, v7, v6, 2
	ds_read2_b32 v[6:7], v8 offset1:1
	v_mbcnt_lo_u32_b32 v9, -1, 0
	v_mbcnt_hi_u32_b32 v9, -1, v9
	v_and_b32_e32 v10, 15, v9
	v_cmp_eq_u32_e64 s[4:5], 0, v10
	s_waitcnt lgkmcnt(0)
	v_add_f32_e32 v7, v6, v7
	v_cmp_lt_u32_e64 s[6:7], 3, v10
	v_cmp_lt_u32_e64 s[8:9], 31, v9
	v_mov_b32_dpp v11, v7 row_shr:1 row_mask:0xf bank_mask:0xf
	v_add_f32_e32 v11, v7, v11
	v_cndmask_b32_e64 v7, v11, v7, s[4:5]
	v_cmp_lt_u32_e64 s[4:5], 1, v10
	s_nop 0
	v_mov_b32_dpp v11, v7 row_shr:2 row_mask:0xf bank_mask:0xf
	v_add_f32_e32 v11, v7, v11
	v_cndmask_b32_e64 v11, v7, v11, s[4:5]
	; wave barrier
	s_nop 1
	v_mov_b32_dpp v12, v11 row_shr:4 row_mask:0xf bank_mask:0xf
	v_add_f32_e32 v12, v11, v12
	v_cndmask_b32_e64 v11, v11, v12, s[6:7]
	v_cmp_lt_u32_e64 s[6:7], 7, v10
	s_nop 0
	v_mov_b32_dpp v12, v11 row_shr:8 row_mask:0xf bank_mask:0xf
	v_add_f32_e32 v12, v11, v12
	v_cndmask_b32_e64 v10, v11, v12, s[6:7]
	v_and_b32_e32 v12, 16, v9
	v_cmp_eq_u32_e64 s[6:7], 0, v12
	v_mov_b32_dpp v11, v10 row_bcast:15 row_mask:0xf bank_mask:0xf
	v_add_f32_e32 v11, v10, v11
	v_cndmask_b32_e64 v10, v11, v10, s[6:7]
	v_cmp_lt_u32_e64 s[6:7], 15, v9
	s_or_b64 s[4:5], s[6:7], s[4:5]
	v_mov_b32_dpp v11, v10 row_bcast:31 row_mask:0xf bank_mask:0xf
	v_add_f32_e32 v11, v10, v11
	v_cndmask_b32_e64 v10, v10, v11, s[8:9]
	v_cndmask_b32_e64 v7, v7, v10, s[4:5]
	v_add_u32_e32 v10, -1, v9
	v_and_b32_e32 v11, 64, v9
	v_cmp_lt_i32_e64 s[4:5], v10, v11
	v_cndmask_b32_e64 v9, v10, v9, s[4:5]
	v_lshlrev_b32_e32 v9, 2, v9
	ds_bpermute_b32 v7, v9, v7
	s_waitcnt lgkmcnt(0)
	v_add_f32_e32 v6, v6, v7
	v_cndmask_b32_e64 v6, v6, v16, s[2:3]
	ds_write_b32 v8, v6
	; wave barrier
	ds_read_b32 v7, v8 offset:4
	s_waitcnt lgkmcnt(0)
	v_add_f32_e32 v6, v6, v7
	ds_write_b32 v8, v6 offset:4
.LBB1480_39:
	s_or_b64 exec, exec, s[10:11]
	s_waitcnt lgkmcnt(0)
	s_barrier
	s_and_saveexec_b64 s[4:5], s[0:1]
	s_cbranch_execz .LBB1480_41
; %bb.40:
	v_add_u32_e32 v6, -1, v0
	v_lshrrev_b32_e32 v7, 5, v6
	v_add_lshl_u32 v6, v7, v6, 2
	ds_read_b32 v16, v6
.LBB1480_41:
	s_or_b64 exec, exec, s[4:5]
	s_and_saveexec_b64 s[34:35], vcc
	s_cbranch_execz .LBB1480_60
; %bb.42:
	v_mov_b32_e32 v13, 0
	ds_read_b32 v6, v13 offset:520
	v_mbcnt_lo_u32_b32 v7, -1, 0
	v_mbcnt_hi_u32_b32 v9, -1, v7
	s_mov_b32 s9, 0
	v_cmp_eq_u32_e64 s[4:5], 0, v9
	s_and_saveexec_b64 s[6:7], s[4:5]
	s_cbranch_execz .LBB1480_44
; %bb.43:
	s_add_i32 s8, s37, 64
	s_lshl_b64 s[8:9], s[8:9], 3
	s_add_u32 s8, s14, s8
	v_mov_b32_e32 v7, 1
	s_addc_u32 s9, s15, s9
	s_waitcnt lgkmcnt(0)
	global_store_dwordx2 v13, v[6:7], s[8:9]
.LBB1480_44:
	s_or_b64 exec, exec, s[6:7]
	v_xad_u32 v8, v9, -1, s37
	v_add_u32_e32 v12, 64, v8
	v_lshlrev_b64 v[10:11], 3, v[12:13]
	v_mov_b32_e32 v7, s15
	v_add_co_u32_e32 v14, vcc, s14, v10
	v_addc_co_u32_e32 v15, vcc, v7, v11, vcc
	global_load_dwordx2 v[10:11], v[14:15], off glc
	s_waitcnt vmcnt(0)
	v_cmp_eq_u16_sdwa s[8:9], v11, v13 src0_sel:BYTE_0 src1_sel:DWORD
	s_and_saveexec_b64 s[6:7], s[8:9]
	s_cbranch_execz .LBB1480_48
; %bb.45:
	s_mov_b64 s[8:9], 0
	v_mov_b32_e32 v7, 0
.LBB1480_46:                            ; =>This Inner Loop Header: Depth=1
	global_load_dwordx2 v[10:11], v[14:15], off glc
	s_waitcnt vmcnt(0)
	v_cmp_ne_u16_sdwa s[10:11], v11, v7 src0_sel:BYTE_0 src1_sel:DWORD
	s_or_b64 s[8:9], s[10:11], s[8:9]
	s_andn2_b64 exec, exec, s[8:9]
	s_cbranch_execnz .LBB1480_46
; %bb.47:
	s_or_b64 exec, exec, s[8:9]
.LBB1480_48:
	s_or_b64 exec, exec, s[6:7]
	v_and_b32_e32 v17, 63, v9
	v_cmp_ne_u32_e32 vcc, 63, v17
	v_addc_co_u32_e32 v18, vcc, 0, v9, vcc
	v_mov_b32_e32 v7, 2
	v_lshlrev_b32_e32 v18, 2, v18
	v_cmp_eq_u16_sdwa s[6:7], v11, v7 src0_sel:BYTE_0 src1_sel:DWORD
	v_lshlrev_b64 v[12:13], v9, -1
	ds_bpermute_b32 v19, v18, v10
	v_and_b32_e32 v14, s7, v13
	v_or_b32_e32 v14, 0x80000000, v14
	v_and_b32_e32 v15, s6, v12
	v_ffbl_b32_e32 v14, v14
	v_add_u32_e32 v14, 32, v14
	v_ffbl_b32_e32 v15, v15
	v_cmp_gt_u32_e64 s[6:7], 62, v17
	v_min_u32_e32 v14, v15, v14
	s_waitcnt lgkmcnt(0)
	v_add_f32_e32 v15, v10, v19
	v_cndmask_b32_e64 v19, 0, 1, s[6:7]
	v_cmp_lt_u32_e32 vcc, v17, v14
	v_lshlrev_b32_e32 v19, 1, v19
	v_cndmask_b32_e32 v15, v10, v15, vcc
	v_add_lshl_u32 v19, v19, v9, 2
	ds_bpermute_b32 v21, v19, v15
	v_add_u32_e32 v20, 2, v17
	v_cmp_gt_u32_e64 s[6:7], v20, v14
	v_cmp_gt_u32_e64 s[8:9], 56, v17
	v_add_u32_e32 v35, 4, v17
	s_waitcnt lgkmcnt(0)
	v_add_f32_e32 v21, v15, v21
	v_cndmask_b32_e64 v15, v21, v15, s[6:7]
	v_cmp_gt_u32_e64 s[6:7], 60, v17
	v_cndmask_b32_e64 v21, 0, 1, s[6:7]
	v_lshlrev_b32_e32 v21, 2, v21
	v_add_lshl_u32 v21, v21, v9, 2
	ds_bpermute_b32 v36, v21, v15
	v_cmp_gt_u32_e64 s[6:7], v35, v14
	v_add_u32_e32 v37, 8, v17
	v_cmp_gt_u32_e64 s[10:11], 48, v17
	v_cmp_gt_u32_e64 s[12:13], 32, v17
	s_waitcnt lgkmcnt(0)
	v_add_f32_e32 v40, v15, v36
	v_cndmask_b32_e64 v36, 0, 1, s[8:9]
	v_lshlrev_b32_e32 v36, 3, v36
	v_cndmask_b32_e64 v38, v40, v15, s[6:7]
	v_add_lshl_u32 v36, v36, v9, 2
	ds_bpermute_b32 v39, v36, v38
	v_cmp_gt_u32_e64 s[8:9], v37, v14
	v_cndmask_b32_e32 v10, v10, v15, vcc
	v_cndmask_b32_e64 v10, v40, v10, s[6:7]
	s_waitcnt lgkmcnt(0)
	v_add_f32_e32 v43, v38, v39
	v_cndmask_b32_e64 v41, v43, v38, s[8:9]
	v_cndmask_b32_e64 v38, 0, 1, s[10:11]
	v_lshlrev_b32_e32 v38, 4, v38
	v_add_lshl_u32 v38, v38, v9, 2
	ds_bpermute_b32 v42, v38, v41
	v_add_u32_e32 v39, 16, v17
	v_cmp_gt_u32_e64 s[10:11], v39, v14
	v_cndmask_b32_e64 v10, v43, v10, s[8:9]
	s_waitcnt lgkmcnt(0)
	v_add_f32_e32 v44, v41, v42
	v_cndmask_b32_e64 v45, v44, v41, s[10:11]
	v_cndmask_b32_e64 v41, 0, 1, s[12:13]
	v_lshlrev_b32_e32 v41, 5, v41
	v_add_lshl_u32 v41, v41, v9, 2
	ds_bpermute_b32 v9, v41, v45
	v_add_u32_e32 v42, 32, v17
	v_cndmask_b32_e64 v10, v44, v10, s[10:11]
	v_cmp_gt_u32_e32 vcc, v42, v14
	s_waitcnt lgkmcnt(0)
	v_add_f32_e32 v9, v45, v9
	v_cndmask_b32_e32 v10, v9, v10, vcc
	v_mov_b32_e32 v9, 0
	s_branch .LBB1480_50
.LBB1480_49:                            ;   in Loop: Header=BB1480_50 Depth=1
	s_or_b64 exec, exec, s[6:7]
	v_cmp_eq_u16_sdwa s[6:7], v11, v7 src0_sel:BYTE_0 src1_sel:DWORD
	v_and_b32_e32 v14, s7, v13
	ds_bpermute_b32 v43, v18, v10
	v_or_b32_e32 v14, 0x80000000, v14
	v_and_b32_e32 v15, s6, v12
	v_ffbl_b32_e32 v14, v14
	v_add_u32_e32 v14, 32, v14
	v_ffbl_b32_e32 v15, v15
	v_min_u32_e32 v14, v15, v14
	s_waitcnt lgkmcnt(0)
	v_add_f32_e32 v15, v10, v43
	v_cmp_lt_u32_e32 vcc, v17, v14
	v_cndmask_b32_e32 v15, v10, v15, vcc
	ds_bpermute_b32 v43, v19, v15
	v_cmp_gt_u32_e64 s[6:7], v20, v14
	v_cmp_gt_u32_e64 s[8:9], v37, v14
	;; [unrolled: 1-line block ×3, first 2 shown]
	v_subrev_u32_e32 v8, 64, v8
	s_waitcnt lgkmcnt(0)
	v_add_f32_e32 v43, v15, v43
	v_cndmask_b32_e64 v15, v43, v15, s[6:7]
	ds_bpermute_b32 v43, v21, v15
	v_cmp_gt_u32_e64 s[6:7], v35, v14
	v_cndmask_b32_e32 v10, v10, v15, vcc
	v_cmp_gt_u32_e32 vcc, v42, v14
	s_waitcnt lgkmcnt(0)
	v_add_f32_e32 v43, v15, v43
	v_cndmask_b32_e64 v44, v43, v15, s[6:7]
	ds_bpermute_b32 v45, v36, v44
	v_cndmask_b32_e64 v10, v43, v10, s[6:7]
	s_waitcnt lgkmcnt(0)
	v_add_f32_e32 v45, v44, v45
	v_cndmask_b32_e64 v44, v45, v44, s[8:9]
	ds_bpermute_b32 v46, v38, v44
	v_cndmask_b32_e64 v10, v45, v10, s[8:9]
	s_waitcnt lgkmcnt(0)
	v_add_f32_e32 v46, v44, v46
	v_cndmask_b32_e64 v44, v46, v44, s[10:11]
	ds_bpermute_b32 v47, v41, v44
	v_cndmask_b32_e64 v10, v46, v10, s[10:11]
	s_waitcnt lgkmcnt(0)
	v_add_f32_e32 v15, v44, v47
	v_cndmask_b32_e32 v10, v15, v10, vcc
	v_add_f32_e32 v10, v40, v10
.LBB1480_50:                            ; =>This Loop Header: Depth=1
                                        ;     Child Loop BB1480_53 Depth 2
	v_cmp_ne_u16_sdwa s[6:7], v11, v7 src0_sel:BYTE_0 src1_sel:DWORD
	v_cndmask_b32_e64 v11, 0, 1, s[6:7]
	;;#ASMSTART
	;;#ASMEND
	v_cmp_ne_u32_e32 vcc, 0, v11
	s_cmp_lg_u64 vcc, exec
	v_mov_b32_e32 v40, v10
	s_cbranch_scc1 .LBB1480_55
; %bb.51:                               ;   in Loop: Header=BB1480_50 Depth=1
	v_lshlrev_b64 v[10:11], 3, v[8:9]
	v_mov_b32_e32 v15, s15
	v_add_co_u32_e32 v14, vcc, s14, v10
	v_addc_co_u32_e32 v15, vcc, v15, v11, vcc
	global_load_dwordx2 v[10:11], v[14:15], off glc
	s_waitcnt vmcnt(0)
	v_cmp_eq_u16_sdwa s[8:9], v11, v9 src0_sel:BYTE_0 src1_sel:DWORD
	s_and_saveexec_b64 s[6:7], s[8:9]
	s_cbranch_execz .LBB1480_49
; %bb.52:                               ;   in Loop: Header=BB1480_50 Depth=1
	s_mov_b64 s[8:9], 0
.LBB1480_53:                            ;   Parent Loop BB1480_50 Depth=1
                                        ; =>  This Inner Loop Header: Depth=2
	global_load_dwordx2 v[10:11], v[14:15], off glc
	s_waitcnt vmcnt(0)
	v_cmp_ne_u16_sdwa s[10:11], v11, v9 src0_sel:BYTE_0 src1_sel:DWORD
	s_or_b64 s[8:9], s[10:11], s[8:9]
	s_andn2_b64 exec, exec, s[8:9]
	s_cbranch_execnz .LBB1480_53
; %bb.54:                               ;   in Loop: Header=BB1480_50 Depth=1
	s_or_b64 exec, exec, s[8:9]
	s_branch .LBB1480_49
.LBB1480_55:                            ;   in Loop: Header=BB1480_50 Depth=1
                                        ; implicit-def: $vgpr10
                                        ; implicit-def: $vgpr11
	s_cbranch_execz .LBB1480_50
; %bb.56:
	s_and_saveexec_b64 s[6:7], s[4:5]
	s_cbranch_execz .LBB1480_58
; %bb.57:
	s_add_i32 s4, s37, 64
	s_mov_b32 s5, 0
	s_lshl_b64 s[4:5], s[4:5], 3
	s_add_u32 s4, s14, s4
	v_add_f32_e32 v6, v6, v40
	v_mov_b32_e32 v7, 2
	s_addc_u32 s5, s15, s5
	v_mov_b32_e32 v8, 0
	global_store_dwordx2 v8, v[6:7], s[4:5]
.LBB1480_58:
	s_or_b64 exec, exec, s[6:7]
	s_and_b64 exec, exec, s[2:3]
	s_cbranch_execz .LBB1480_60
; %bb.59:
	v_mov_b32_e32 v6, 0
	ds_write_b32 v6, v40
.LBB1480_60:
	s_or_b64 exec, exec, s[34:35]
	v_mov_b32_e32 v6, 0
	s_waitcnt lgkmcnt(0)
	s_barrier
	ds_read_b32 v6, v6
	v_add_f32_e32 v7, v2, v16
	v_cndmask_b32_e64 v7, v7, v2, s[2:3]
	s_waitcnt lgkmcnt(0)
	v_add_f32_e32 v6, v7, v6
	v_add_f32_e32 v7, v3, v6
	v_add_f32_e32 v8, v4, v7
	v_add_f32_e32 v9, v5, v8
	v_add_f32_e32 v10, v26, v9
	v_add_f32_e32 v11, v27, v10
	v_add_f32_e32 v12, v28, v11
	v_add_f32_e32 v13, v29, v12
	v_add_f32_e32 v14, v22, v13
	v_add_f32_e32 v15, v23, v14
	v_add_f32_e32 v16, v24, v15
	v_add_f32_e32 v17, v25, v16
	v_add_f32_e32 v18, v30, v17
	v_add_f32_e32 v19, v31, v18
	s_branch .LBB1480_73
.LBB1480_61:
                                        ; implicit-def: $vgpr6_vgpr7_vgpr8_vgpr9_vgpr10_vgpr11_vgpr12_vgpr13_vgpr14_vgpr15_vgpr16_vgpr17_vgpr18_vgpr19_vgpr20_vgpr21
	s_cbranch_execz .LBB1480_73
; %bb.62:
	s_cmp_lg_u64 s[20:21], 0
	s_cselect_b64 s[4:5], -1, 0
	s_and_b64 s[6:7], s[2:3], s[4:5]
	s_and_saveexec_b64 s[4:5], s[6:7]
	s_cbranch_execz .LBB1480_64
; %bb.63:
	v_mov_b32_e32 v6, 0
	global_load_dword v6, v6, s[16:17]
	s_waitcnt vmcnt(0)
	v_add_f32_e32 v2, v2, v6
.LBB1480_64:
	s_or_b64 exec, exec, s[4:5]
	v_add_f32_e32 v16, v2, v3
	v_add_f32_e32 v17, v4, v16
	;; [unrolled: 1-line block ×13, first 2 shown]
	v_add_lshl_u32 v1, v1, v0, 2
	v_cmp_gt_u32_e32 vcc, 64, v0
	ds_write_b32 v1, v15
	s_waitcnt lgkmcnt(0)
	s_barrier
	s_and_saveexec_b64 s[8:9], vcc
	s_cbranch_execz .LBB1480_66
; %bb.65:
	v_lshlrev_b32_e32 v1, 1, v0
	v_lshrrev_b32_e32 v19, 4, v0
	v_add_lshl_u32 v1, v19, v1, 2
	ds_read2_b32 v[20:21], v1 offset1:1
	v_mbcnt_lo_u32_b32 v19, -1, 0
	v_mbcnt_hi_u32_b32 v19, -1, v19
	v_and_b32_e32 v35, 15, v19
	v_cmp_eq_u32_e32 vcc, 0, v35
	s_waitcnt lgkmcnt(0)
	v_add_f32_e32 v21, v20, v21
	v_cmp_lt_u32_e64 s[4:5], 3, v35
	v_cmp_lt_u32_e64 s[6:7], 31, v19
	v_mov_b32_dpp v36, v21 row_shr:1 row_mask:0xf bank_mask:0xf
	v_add_f32_e32 v36, v21, v36
	v_cndmask_b32_e32 v21, v36, v21, vcc
	v_cmp_lt_u32_e32 vcc, 1, v35
	s_nop 0
	v_mov_b32_dpp v36, v21 row_shr:2 row_mask:0xf bank_mask:0xf
	v_add_f32_e32 v36, v21, v36
	v_cndmask_b32_e32 v36, v21, v36, vcc
	; wave barrier
	s_nop 1
	v_mov_b32_dpp v37, v36 row_shr:4 row_mask:0xf bank_mask:0xf
	v_add_f32_e32 v37, v36, v37
	v_cndmask_b32_e64 v36, v36, v37, s[4:5]
	v_cmp_lt_u32_e64 s[4:5], 7, v35
	s_nop 0
	v_mov_b32_dpp v37, v36 row_shr:8 row_mask:0xf bank_mask:0xf
	v_add_f32_e32 v37, v36, v37
	v_cndmask_b32_e64 v35, v36, v37, s[4:5]
	v_and_b32_e32 v37, 16, v19
	v_cmp_eq_u32_e64 s[4:5], 0, v37
	v_mov_b32_dpp v36, v35 row_bcast:15 row_mask:0xf bank_mask:0xf
	v_add_f32_e32 v36, v35, v36
	v_cndmask_b32_e64 v35, v36, v35, s[4:5]
	v_cmp_lt_u32_e64 s[4:5], 15, v19
	s_or_b64 vcc, s[4:5], vcc
	v_mov_b32_dpp v36, v35 row_bcast:31 row_mask:0xf bank_mask:0xf
	v_add_f32_e32 v36, v35, v36
	v_cndmask_b32_e64 v35, v35, v36, s[6:7]
	v_cndmask_b32_e32 v21, v21, v35, vcc
	v_add_u32_e32 v35, -1, v19
	v_and_b32_e32 v36, 64, v19
	v_cmp_lt_i32_e32 vcc, v35, v36
	v_cndmask_b32_e32 v19, v35, v19, vcc
	v_lshlrev_b32_e32 v19, 2, v19
	ds_bpermute_b32 v19, v19, v21
	s_waitcnt lgkmcnt(0)
	v_add_f32_e32 v19, v20, v19
	v_cndmask_b32_e64 v19, v19, v15, s[2:3]
	ds_write_b32 v1, v19
	; wave barrier
	ds_read_b32 v20, v1 offset:4
	s_waitcnt lgkmcnt(0)
	v_add_f32_e32 v19, v19, v20
	ds_write_b32 v1, v19 offset:4
.LBB1480_66:
	s_or_b64 exec, exec, s[8:9]
	v_mov_b32_e32 v1, v15
	s_waitcnt lgkmcnt(0)
	s_barrier
	s_and_saveexec_b64 s[2:3], s[0:1]
	s_cbranch_execz .LBB1480_68
; %bb.67:
	v_add_u32_e32 v1, -1, v0
	v_lshrrev_b32_e32 v19, 5, v1
	v_add_lshl_u32 v1, v19, v1, 2
	ds_read_b32 v1, v1
.LBB1480_68:
	s_or_b64 exec, exec, s[2:3]
	s_and_saveexec_b64 s[2:3], s[0:1]
	s_cbranch_execz .LBB1480_70
; %bb.69:
	s_waitcnt lgkmcnt(0)
	v_add_f32_e32 v2, v2, v1
	v_add_f32_e32 v16, v3, v2
	;; [unrolled: 1-line block ×14, first 2 shown]
	;;#ASMSTART
	;;#ASMEND
.LBB1480_70:
	s_or_b64 exec, exec, s[2:3]
	s_movk_i32 s0, 0x7f
	v_cmp_eq_u32_e32 vcc, s0, v0
	s_and_saveexec_b64 s[0:1], vcc
	s_cbranch_execz .LBB1480_72
; %bb.71:
	s_waitcnt lgkmcnt(0)
	v_mov_b32_e32 v1, 0
	v_mov_b32_e32 v5, 2
	v_mov_b32_e32 v4, v15
	global_store_dwordx2 v1, v[4:5], s[14:15] offset:512
.LBB1480_72:
	s_or_b64 exec, exec, s[0:1]
	v_mov_b32_e32 v3, v16
	v_mov_b32_e32 v4, v17
	;; [unrolled: 1-line block ×3, first 2 shown]
	v_pk_mov_b32 v[20:21], v[16:17], v[16:17] op_sel:[0,1]
	v_pk_mov_b32 v[18:19], v[14:15], v[14:15] op_sel:[0,1]
	;; [unrolled: 1-line block ×8, first 2 shown]
.LBB1480_73:
	s_add_u32 s0, s28, s26
	s_addc_u32 s1, s29, s27
	s_add_u32 s2, s0, s30
	s_addc_u32 s3, s1, s31
	s_mov_b64 s[0:1], -1
	s_and_b64 vcc, exec, s[24:25]
	s_waitcnt lgkmcnt(0)
	s_barrier
	s_cbranch_vccz .LBB1480_75
; %bb.74:
	v_mov_b32_e32 v1, s3
	v_add_co_u32_e32 v30, vcc, s2, v32
	ds_write2_b64 v34, v[6:7], v[8:9] offset1:1
	ds_write2_b64 v34, v[10:11], v[12:13] offset0:2 offset1:3
	ds_write2_b64 v34, v[14:15], v[16:17] offset0:4 offset1:5
	ds_write_b64 v34, v[18:19] offset:48
	s_waitcnt lgkmcnt(0)
	s_barrier
	ds_read2st64_b32 v[2:3], v32 offset1:2
	ds_read2st64_b32 v[4:5], v32 offset0:4 offset1:6
	ds_read2st64_b32 v[20:21], v32 offset0:8 offset1:10
	;; [unrolled: 1-line block ×6, first 2 shown]
	v_addc_co_u32_e32 v31, vcc, 0, v1, vcc
	s_waitcnt lgkmcnt(6)
	v_cvt_i32_f32_e32 v1, v2
	v_cvt_i32_f32_e32 v2, v3
	s_waitcnt lgkmcnt(5)
	v_cvt_i32_f32_e32 v3, v4
	v_cvt_i32_f32_e32 v4, v5
	flat_store_dword v[30:31], v1
	flat_store_dword v[30:31], v2 offset:512
	flat_store_dword v[30:31], v3 offset:1024
	;; [unrolled: 1-line block ×3, first 2 shown]
	s_waitcnt lgkmcnt(0)
	v_cvt_i32_f32_e32 v1, v20
	v_cvt_i32_f32_e32 v2, v21
	;; [unrolled: 1-line block ×4, first 2 shown]
	flat_store_dword v[30:31], v1 offset:2048
	flat_store_dword v[30:31], v2 offset:2560
	;; [unrolled: 1-line block ×4, first 2 shown]
	v_cvt_i32_f32_e32 v1, v24
	s_movk_i32 s0, 0x1000
	v_cvt_i32_f32_e32 v4, v25
	v_add_co_u32_e32 v2, vcc, s0, v30
	v_addc_co_u32_e32 v3, vcc, 0, v31, vcc
	flat_store_dword v[2:3], v1
	flat_store_dword v[2:3], v4 offset:512
	v_cvt_i32_f32_e32 v1, v26
	v_cvt_i32_f32_e32 v4, v27
	;; [unrolled: 1-line block ×4, first 2 shown]
	flat_store_dword v[2:3], v1 offset:1024
	flat_store_dword v[2:3], v4 offset:1536
	;; [unrolled: 1-line block ×4, first 2 shown]
	s_mov_b64 s[0:1], 0
.LBB1480_75:
	s_andn2_b64 vcc, exec, s[0:1]
	s_cbranch_vccnz .LBB1480_155
; %bb.76:
	s_movk_i32 s0, 0xffcc
	ds_write2_b64 v34, v[6:7], v[8:9] offset1:1
	ds_write2_b64 v34, v[10:11], v[12:13] offset0:2 offset1:3
	ds_write2_b64 v34, v[14:15], v[16:17] offset0:4 offset1:5
	ds_write_b64 v34, v[18:19] offset:48
	v_mad_i32_i24 v14, v0, s0, v34
	s_waitcnt lgkmcnt(0)
	s_barrier
	ds_read2st64_b32 v[4:5], v14 offset1:2
	ds_read2st64_b32 v[6:7], v14 offset0:4 offset1:6
	ds_read2st64_b32 v[8:9], v14 offset0:8 offset1:10
	;; [unrolled: 1-line block ×6, first 2 shown]
	v_mov_b32_e32 v17, s3
	v_add_co_u32_e32 v16, vcc, s2, v32
	v_addc_co_u32_e32 v17, vcc, 0, v17, vcc
	v_mov_b32_e32 v1, 0
	v_cmp_gt_u32_e32 vcc, s33, v0
	s_and_saveexec_b64 s[0:1], vcc
	s_cbranch_execz .LBB1480_78
; %bb.77:
	s_waitcnt lgkmcnt(0)
	v_cvt_i32_f32_e32 v18, v4
	flat_store_dword v[16:17], v18
.LBB1480_78:
	s_or_b64 exec, exec, s[0:1]
	v_or_b32_e32 v18, 0x80, v0
	v_cmp_gt_u32_e32 vcc, s33, v18
	s_and_saveexec_b64 s[0:1], vcc
	s_cbranch_execz .LBB1480_80
; %bb.79:
	s_waitcnt lgkmcnt(0)
	v_cvt_i32_f32_e32 v18, v5
	flat_store_dword v[16:17], v18 offset:512
.LBB1480_80:
	s_or_b64 exec, exec, s[0:1]
	v_or_b32_e32 v18, 0x100, v0
	v_cmp_gt_u32_e32 vcc, s33, v18
	s_and_saveexec_b64 s[0:1], vcc
	s_cbranch_execz .LBB1480_82
; %bb.81:
	s_waitcnt lgkmcnt(0)
	v_cvt_i32_f32_e32 v18, v6
	flat_store_dword v[16:17], v18 offset:1024
.LBB1480_82:
	;; [unrolled: 10-line block ×7, first 2 shown]
	s_or_b64 exec, exec, s[0:1]
	v_or_b32_e32 v18, 0x400, v0
	v_cmp_gt_u32_e32 vcc, s33, v18
	s_and_saveexec_b64 s[0:1], vcc
	s_cbranch_execz .LBB1480_94
; %bb.93:
	s_waitcnt lgkmcnt(0)
	v_cvt_i32_f32_e32 v20, v12
	v_add_co_u32_e32 v18, vcc, 0x1000, v16
	v_addc_co_u32_e32 v19, vcc, 0, v17, vcc
	flat_store_dword v[18:19], v20
.LBB1480_94:
	s_or_b64 exec, exec, s[0:1]
	v_or_b32_e32 v18, 0x480, v0
	v_cmp_gt_u32_e32 vcc, s33, v18
	s_and_saveexec_b64 s[0:1], vcc
	s_cbranch_execz .LBB1480_96
; %bb.95:
	s_waitcnt lgkmcnt(0)
	v_cvt_i32_f32_e32 v20, v13
	v_add_co_u32_e32 v18, vcc, 0x1000, v16
	v_addc_co_u32_e32 v19, vcc, 0, v17, vcc
	flat_store_dword v[18:19], v20 offset:512
.LBB1480_96:
	s_or_b64 exec, exec, s[0:1]
	v_or_b32_e32 v18, 0x500, v0
	v_cmp_gt_u32_e32 vcc, s33, v18
	s_and_saveexec_b64 s[0:1], vcc
	s_cbranch_execz .LBB1480_98
; %bb.97:
	s_waitcnt lgkmcnt(0)
	v_cvt_i32_f32_e32 v20, v10
	v_add_co_u32_e32 v18, vcc, 0x1000, v16
	v_addc_co_u32_e32 v19, vcc, 0, v17, vcc
	flat_store_dword v[18:19], v20 offset:1024
.LBB1480_98:
	;; [unrolled: 12-line block ×5, first 2 shown]
	s_or_b64 exec, exec, s[0:1]
	v_cmp_lt_u64_e64 s[0:1], s[22:23], 2
	s_and_b64 vcc, exec, s[0:1]
	s_cbranch_vccnz .LBB1480_155
; %bb.105:
	s_add_u32 s0, s33, -1
	s_addc_u32 s1, s36, -1
	s_add_u32 s2, 0, 0x49240800
	s_addc_u32 s3, 0, 50
	s_add_i32 s3, s3, 0x12492460
	s_mul_hi_u32 s7, s2, -14
	s_sub_i32 s7, s7, s2
	s_mul_i32 s8, s3, -14
	s_mul_i32 s4, s2, -14
	s_add_i32 s7, s7, s8
	s_mul_hi_u32 s5, s3, s4
	s_mul_i32 s6, s3, s4
	s_mul_i32 s9, s2, s7
	s_mul_hi_u32 s4, s2, s4
	s_mul_hi_u32 s8, s2, s7
	s_add_u32 s4, s4, s9
	s_addc_u32 s8, 0, s8
	s_add_u32 s4, s4, s6
	s_mul_hi_u32 s9, s3, s7
	s_addc_u32 s4, s8, s5
	s_addc_u32 s5, s9, 0
	s_mul_i32 s6, s3, s7
	s_add_u32 s4, s4, s6
	v_mov_b32_e32 v16, s4
	s_addc_u32 s5, 0, s5
	v_add_co_u32_e32 v16, vcc, s2, v16
	s_cmp_lg_u64 vcc, 0
	s_addc_u32 s2, s3, s5
	v_readfirstlane_b32 s5, v16
	s_mul_i32 s4, s0, s2
	s_mul_hi_u32 s6, s0, s5
	s_mul_hi_u32 s3, s0, s2
	s_add_u32 s4, s6, s4
	s_addc_u32 s3, 0, s3
	s_mul_hi_u32 s7, s1, s5
	s_mul_i32 s5, s1, s5
	s_add_u32 s4, s4, s5
	s_mul_hi_u32 s6, s1, s2
	s_addc_u32 s3, s3, s7
	s_addc_u32 s4, s6, 0
	s_mul_i32 s2, s1, s2
	s_add_u32 s2, s3, s2
	s_addc_u32 s3, 0, s4
	s_add_u32 s4, s2, 1
	s_addc_u32 s5, s3, 0
	s_add_u32 s6, s2, 2
	s_mul_i32 s8, s3, 14
	s_mul_hi_u32 s9, s2, 14
	s_addc_u32 s7, s3, 0
	s_add_i32 s9, s9, s8
	s_mul_i32 s8, s2, 14
	v_mov_b32_e32 v16, s8
	v_sub_co_u32_e32 v16, vcc, s0, v16
	s_cmp_lg_u64 vcc, 0
	s_subb_u32 s8, s1, s9
	v_subrev_co_u32_e32 v17, vcc, 14, v16
	s_cmp_lg_u64 vcc, 0
	s_subb_u32 s9, s8, 0
	v_readfirstlane_b32 s10, v17
	s_cmp_gt_u32 s10, 13
	s_cselect_b32 s10, -1, 0
	s_cmp_eq_u32 s9, 0
	s_cselect_b32 s9, s10, -1
	s_cmp_lg_u32 s9, 0
	s_cselect_b32 s4, s6, s4
	v_readfirstlane_b32 s6, v16
	s_cselect_b32 s5, s7, s5
	s_cmp_gt_u32 s6, 13
	s_cselect_b32 s6, -1, 0
	s_cmp_eq_u32 s8, 0
	s_cselect_b32 s6, s6, -1
	s_cmp_lg_u32 s6, 0
	s_cselect_b32 s3, s5, s3
	s_cselect_b32 s2, s4, s2
	v_cmp_eq_u64_e32 vcc, s[2:3], v[0:1]
	s_and_saveexec_b64 s[2:3], vcc
	s_cbranch_execz .LBB1480_155
; %bb.106:
	v_mul_hi_u32_u24_e32 v1, 14, v0
	v_mov_b32_e32 v16, s1
	v_sub_co_u32_e32 v0, vcc, s0, v33
	v_subb_co_u32_e32 v1, vcc, v16, v1, vcc
	v_cmp_lt_i64_e32 vcc, 6, v[0:1]
	s_and_saveexec_b64 s[0:1], vcc
	s_xor_b64 s[0:1], exec, s[0:1]
	s_cbranch_execz .LBB1480_132
; %bb.107:
	v_cmp_lt_i64_e32 vcc, 9, v[0:1]
	s_and_saveexec_b64 s[2:3], vcc
	s_xor_b64 s[2:3], exec, s[2:3]
	s_cbranch_execz .LBB1480_121
; %bb.108:
	;; [unrolled: 5-line block ×4, first 2 shown]
	v_mov_b32_e32 v0, 0
	s_waitcnt lgkmcnt(0)
	global_store_dword v0, v15, s[18:19]
                                        ; implicit-def: $vgpr14_vgpr15
.LBB1480_111:
	s_andn2_saveexec_b64 s[6:7], s[6:7]
	s_cbranch_execz .LBB1480_113
; %bb.112:
	v_mov_b32_e32 v0, 0
	s_waitcnt lgkmcnt(0)
	global_store_dword v0, v14, s[18:19]
.LBB1480_113:
	s_or_b64 exec, exec, s[6:7]
                                        ; implicit-def: $vgpr10_vgpr11
                                        ; implicit-def: $vgpr0_vgpr1
.LBB1480_114:
	s_andn2_saveexec_b64 s[4:5], s[4:5]
	s_cbranch_execz .LBB1480_120
; %bb.115:
	v_cmp_lt_i64_e32 vcc, 10, v[0:1]
	s_and_saveexec_b64 s[6:7], vcc
	s_xor_b64 s[6:7], exec, s[6:7]
	s_cbranch_execz .LBB1480_117
; %bb.116:
	v_mov_b32_e32 v0, 0
	s_waitcnt lgkmcnt(0)
	global_store_dword v0, v11, s[18:19]
                                        ; implicit-def: $vgpr10_vgpr11
.LBB1480_117:
	s_andn2_saveexec_b64 s[6:7], s[6:7]
	s_cbranch_execz .LBB1480_119
; %bb.118:
	v_mov_b32_e32 v0, 0
	s_waitcnt lgkmcnt(0)
	global_store_dword v0, v10, s[18:19]
.LBB1480_119:
	s_or_b64 exec, exec, s[6:7]
.LBB1480_120:
	s_or_b64 exec, exec, s[4:5]
                                        ; implicit-def: $vgpr2_vgpr3
                                        ; implicit-def: $vgpr0_vgpr1
                                        ; implicit-def: $vgpr12_vgpr13
.LBB1480_121:
	s_andn2_saveexec_b64 s[2:3], s[2:3]
	s_cbranch_execz .LBB1480_131
; %bb.122:
	v_cmp_lt_i64_e32 vcc, 7, v[0:1]
	s_and_saveexec_b64 s[4:5], vcc
	s_xor_b64 s[4:5], exec, s[4:5]
	s_cbranch_execz .LBB1480_128
; %bb.123:
	v_cmp_lt_i64_e32 vcc, 8, v[0:1]
	s_and_saveexec_b64 s[6:7], vcc
	s_xor_b64 s[6:7], exec, s[6:7]
	s_cbranch_execz .LBB1480_125
; %bb.124:
	v_mov_b32_e32 v0, 0
	s_waitcnt lgkmcnt(0)
	global_store_dword v0, v13, s[18:19]
                                        ; implicit-def: $vgpr12_vgpr13
.LBB1480_125:
	s_andn2_saveexec_b64 s[6:7], s[6:7]
	s_cbranch_execz .LBB1480_127
; %bb.126:
	v_mov_b32_e32 v0, 0
	s_waitcnt lgkmcnt(0)
	global_store_dword v0, v12, s[18:19]
.LBB1480_127:
	s_or_b64 exec, exec, s[6:7]
                                        ; implicit-def: $vgpr2_vgpr3
.LBB1480_128:
	s_andn2_saveexec_b64 s[4:5], s[4:5]
	s_cbranch_execz .LBB1480_130
; %bb.129:
	v_mov_b32_e32 v0, 0
	s_waitcnt lgkmcnt(0)
	global_store_dword v0, v3, s[18:19]
.LBB1480_130:
	s_or_b64 exec, exec, s[4:5]
.LBB1480_131:
	s_or_b64 exec, exec, s[2:3]
                                        ; implicit-def: $vgpr0_vgpr1
                                        ; implicit-def: $vgpr8_vgpr9
                                        ; implicit-def: $vgpr4_vgpr5
                                        ; implicit-def: $vgpr6_vgpr7
                                        ; implicit-def: $vgpr2_vgpr3
.LBB1480_132:
	s_andn2_saveexec_b64 s[0:1], s[0:1]
	s_cbranch_execz .LBB1480_155
; %bb.133:
	v_cmp_lt_i64_e32 vcc, 3, v[0:1]
	s_and_saveexec_b64 s[0:1], vcc
	s_xor_b64 s[0:1], exec, s[0:1]
	s_cbranch_execz .LBB1480_143
; %bb.134:
	v_cmp_lt_i64_e32 vcc, 4, v[0:1]
	s_and_saveexec_b64 s[2:3], vcc
	s_xor_b64 s[2:3], exec, s[2:3]
	;; [unrolled: 5-line block ×3, first 2 shown]
	s_cbranch_execz .LBB1480_137
; %bb.136:
	v_mov_b32_e32 v0, 0
	s_waitcnt lgkmcnt(0)
	global_store_dword v0, v2, s[18:19]
                                        ; implicit-def: $vgpr8_vgpr9
.LBB1480_137:
	s_andn2_saveexec_b64 s[4:5], s[4:5]
	s_cbranch_execz .LBB1480_139
; %bb.138:
	v_mov_b32_e32 v0, 0
	s_waitcnt lgkmcnt(0)
	global_store_dword v0, v9, s[18:19]
.LBB1480_139:
	s_or_b64 exec, exec, s[4:5]
                                        ; implicit-def: $vgpr8_vgpr9
.LBB1480_140:
	s_andn2_saveexec_b64 s[2:3], s[2:3]
	s_cbranch_execz .LBB1480_142
; %bb.141:
	v_mov_b32_e32 v0, 0
	s_waitcnt lgkmcnt(0)
	global_store_dword v0, v8, s[18:19]
.LBB1480_142:
	s_or_b64 exec, exec, s[2:3]
                                        ; implicit-def: $vgpr0_vgpr1
                                        ; implicit-def: $vgpr4_vgpr5
                                        ; implicit-def: $vgpr6_vgpr7
.LBB1480_143:
	s_andn2_saveexec_b64 s[0:1], s[0:1]
	s_cbranch_execz .LBB1480_155
; %bb.144:
	v_cmp_lt_i64_e32 vcc, 1, v[0:1]
	s_and_saveexec_b64 s[0:1], vcc
	s_xor_b64 s[0:1], exec, s[0:1]
	s_cbranch_execz .LBB1480_150
; %bb.145:
	v_cmp_lt_i64_e32 vcc, 2, v[0:1]
	s_and_saveexec_b64 s[2:3], vcc
	s_xor_b64 s[2:3], exec, s[2:3]
	s_cbranch_execz .LBB1480_147
; %bb.146:
	v_mov_b32_e32 v0, 0
	s_waitcnt lgkmcnt(0)
	global_store_dword v0, v7, s[18:19]
                                        ; implicit-def: $vgpr6_vgpr7
.LBB1480_147:
	s_andn2_saveexec_b64 s[2:3], s[2:3]
	s_cbranch_execz .LBB1480_149
; %bb.148:
	v_mov_b32_e32 v0, 0
	s_waitcnt lgkmcnt(0)
	global_store_dword v0, v6, s[18:19]
.LBB1480_149:
	s_or_b64 exec, exec, s[2:3]
                                        ; implicit-def: $vgpr4_vgpr5
                                        ; implicit-def: $vgpr0_vgpr1
.LBB1480_150:
	s_andn2_saveexec_b64 s[0:1], s[0:1]
	s_cbranch_execz .LBB1480_155
; %bb.151:
	v_cmp_ne_u64_e32 vcc, 1, v[0:1]
	s_and_saveexec_b64 s[0:1], vcc
	s_xor_b64 s[0:1], exec, s[0:1]
	s_cbranch_execz .LBB1480_153
; %bb.152:
	v_mov_b32_e32 v0, 0
	s_waitcnt lgkmcnt(0)
	global_store_dword v0, v4, s[18:19]
                                        ; implicit-def: $vgpr4_vgpr5
.LBB1480_153:
	s_andn2_saveexec_b64 s[0:1], s[0:1]
	s_cbranch_execz .LBB1480_155
; %bb.154:
	v_mov_b32_e32 v0, 0
	s_waitcnt lgkmcnt(0)
	global_store_dword v0, v5, s[18:19]
.LBB1480_155:
	s_endpgm
	.section	.rodata,"a",@progbits
	.p2align	6, 0x0
	.amdhsa_kernel _ZN7rocprim17ROCPRIM_400000_NS6detail17trampoline_kernelINS0_14default_configENS1_20scan_config_selectorIfEEZZNS1_9scan_implILNS1_25lookback_scan_determinismE0ELb0ELb0ES3_N6thrust23THRUST_200600_302600_NS6detail15normal_iteratorINS9_10device_ptrIfEEEENSB_INSC_IiEEEEfNS9_4plusIvEEfEEDaPvRmT3_T4_T5_mT6_P12ihipStream_tbENKUlT_T0_E_clISt17integral_constantIbLb0EESV_IbLb1EEEEDaSR_SS_EUlSR_E_NS1_11comp_targetILNS1_3genE4ELNS1_11target_archE910ELNS1_3gpuE8ELNS1_3repE0EEENS1_30default_config_static_selectorELNS0_4arch9wavefront6targetE1EEEvT1_
		.amdhsa_group_segment_fixed_size 7168
		.amdhsa_private_segment_fixed_size 0
		.amdhsa_kernarg_size 96
		.amdhsa_user_sgpr_count 6
		.amdhsa_user_sgpr_private_segment_buffer 1
		.amdhsa_user_sgpr_dispatch_ptr 0
		.amdhsa_user_sgpr_queue_ptr 0
		.amdhsa_user_sgpr_kernarg_segment_ptr 1
		.amdhsa_user_sgpr_dispatch_id 0
		.amdhsa_user_sgpr_flat_scratch_init 0
		.amdhsa_user_sgpr_kernarg_preload_length 0
		.amdhsa_user_sgpr_kernarg_preload_offset 0
		.amdhsa_user_sgpr_private_segment_size 0
		.amdhsa_uses_dynamic_stack 0
		.amdhsa_system_sgpr_private_segment_wavefront_offset 0
		.amdhsa_system_sgpr_workgroup_id_x 1
		.amdhsa_system_sgpr_workgroup_id_y 0
		.amdhsa_system_sgpr_workgroup_id_z 0
		.amdhsa_system_sgpr_workgroup_info 0
		.amdhsa_system_vgpr_workitem_id 0
		.amdhsa_next_free_vgpr 48
		.amdhsa_next_free_sgpr 38
		.amdhsa_accum_offset 48
		.amdhsa_reserve_vcc 1
		.amdhsa_reserve_flat_scratch 0
		.amdhsa_float_round_mode_32 0
		.amdhsa_float_round_mode_16_64 0
		.amdhsa_float_denorm_mode_32 3
		.amdhsa_float_denorm_mode_16_64 3
		.amdhsa_dx10_clamp 1
		.amdhsa_ieee_mode 1
		.amdhsa_fp16_overflow 0
		.amdhsa_tg_split 0
		.amdhsa_exception_fp_ieee_invalid_op 0
		.amdhsa_exception_fp_denorm_src 0
		.amdhsa_exception_fp_ieee_div_zero 0
		.amdhsa_exception_fp_ieee_overflow 0
		.amdhsa_exception_fp_ieee_underflow 0
		.amdhsa_exception_fp_ieee_inexact 0
		.amdhsa_exception_int_div_zero 0
	.end_amdhsa_kernel
	.section	.text._ZN7rocprim17ROCPRIM_400000_NS6detail17trampoline_kernelINS0_14default_configENS1_20scan_config_selectorIfEEZZNS1_9scan_implILNS1_25lookback_scan_determinismE0ELb0ELb0ES3_N6thrust23THRUST_200600_302600_NS6detail15normal_iteratorINS9_10device_ptrIfEEEENSB_INSC_IiEEEEfNS9_4plusIvEEfEEDaPvRmT3_T4_T5_mT6_P12ihipStream_tbENKUlT_T0_E_clISt17integral_constantIbLb0EESV_IbLb1EEEEDaSR_SS_EUlSR_E_NS1_11comp_targetILNS1_3genE4ELNS1_11target_archE910ELNS1_3gpuE8ELNS1_3repE0EEENS1_30default_config_static_selectorELNS0_4arch9wavefront6targetE1EEEvT1_,"axG",@progbits,_ZN7rocprim17ROCPRIM_400000_NS6detail17trampoline_kernelINS0_14default_configENS1_20scan_config_selectorIfEEZZNS1_9scan_implILNS1_25lookback_scan_determinismE0ELb0ELb0ES3_N6thrust23THRUST_200600_302600_NS6detail15normal_iteratorINS9_10device_ptrIfEEEENSB_INSC_IiEEEEfNS9_4plusIvEEfEEDaPvRmT3_T4_T5_mT6_P12ihipStream_tbENKUlT_T0_E_clISt17integral_constantIbLb0EESV_IbLb1EEEEDaSR_SS_EUlSR_E_NS1_11comp_targetILNS1_3genE4ELNS1_11target_archE910ELNS1_3gpuE8ELNS1_3repE0EEENS1_30default_config_static_selectorELNS0_4arch9wavefront6targetE1EEEvT1_,comdat
.Lfunc_end1480:
	.size	_ZN7rocprim17ROCPRIM_400000_NS6detail17trampoline_kernelINS0_14default_configENS1_20scan_config_selectorIfEEZZNS1_9scan_implILNS1_25lookback_scan_determinismE0ELb0ELb0ES3_N6thrust23THRUST_200600_302600_NS6detail15normal_iteratorINS9_10device_ptrIfEEEENSB_INSC_IiEEEEfNS9_4plusIvEEfEEDaPvRmT3_T4_T5_mT6_P12ihipStream_tbENKUlT_T0_E_clISt17integral_constantIbLb0EESV_IbLb1EEEEDaSR_SS_EUlSR_E_NS1_11comp_targetILNS1_3genE4ELNS1_11target_archE910ELNS1_3gpuE8ELNS1_3repE0EEENS1_30default_config_static_selectorELNS0_4arch9wavefront6targetE1EEEvT1_, .Lfunc_end1480-_ZN7rocprim17ROCPRIM_400000_NS6detail17trampoline_kernelINS0_14default_configENS1_20scan_config_selectorIfEEZZNS1_9scan_implILNS1_25lookback_scan_determinismE0ELb0ELb0ES3_N6thrust23THRUST_200600_302600_NS6detail15normal_iteratorINS9_10device_ptrIfEEEENSB_INSC_IiEEEEfNS9_4plusIvEEfEEDaPvRmT3_T4_T5_mT6_P12ihipStream_tbENKUlT_T0_E_clISt17integral_constantIbLb0EESV_IbLb1EEEEDaSR_SS_EUlSR_E_NS1_11comp_targetILNS1_3genE4ELNS1_11target_archE910ELNS1_3gpuE8ELNS1_3repE0EEENS1_30default_config_static_selectorELNS0_4arch9wavefront6targetE1EEEvT1_
                                        ; -- End function
	.section	.AMDGPU.csdata,"",@progbits
; Kernel info:
; codeLenInByte = 5880
; NumSgprs: 42
; NumVgprs: 48
; NumAgprs: 0
; TotalNumVgprs: 48
; ScratchSize: 0
; MemoryBound: 0
; FloatMode: 240
; IeeeMode: 1
; LDSByteSize: 7168 bytes/workgroup (compile time only)
; SGPRBlocks: 5
; VGPRBlocks: 5
; NumSGPRsForWavesPerEU: 42
; NumVGPRsForWavesPerEU: 48
; AccumOffset: 48
; Occupancy: 5
; WaveLimiterHint : 1
; COMPUTE_PGM_RSRC2:SCRATCH_EN: 0
; COMPUTE_PGM_RSRC2:USER_SGPR: 6
; COMPUTE_PGM_RSRC2:TRAP_HANDLER: 0
; COMPUTE_PGM_RSRC2:TGID_X_EN: 1
; COMPUTE_PGM_RSRC2:TGID_Y_EN: 0
; COMPUTE_PGM_RSRC2:TGID_Z_EN: 0
; COMPUTE_PGM_RSRC2:TIDIG_COMP_CNT: 0
; COMPUTE_PGM_RSRC3_GFX90A:ACCUM_OFFSET: 11
; COMPUTE_PGM_RSRC3_GFX90A:TG_SPLIT: 0
	.section	.text._ZN7rocprim17ROCPRIM_400000_NS6detail17trampoline_kernelINS0_14default_configENS1_20scan_config_selectorIfEEZZNS1_9scan_implILNS1_25lookback_scan_determinismE0ELb0ELb0ES3_N6thrust23THRUST_200600_302600_NS6detail15normal_iteratorINS9_10device_ptrIfEEEENSB_INSC_IiEEEEfNS9_4plusIvEEfEEDaPvRmT3_T4_T5_mT6_P12ihipStream_tbENKUlT_T0_E_clISt17integral_constantIbLb0EESV_IbLb1EEEEDaSR_SS_EUlSR_E_NS1_11comp_targetILNS1_3genE3ELNS1_11target_archE908ELNS1_3gpuE7ELNS1_3repE0EEENS1_30default_config_static_selectorELNS0_4arch9wavefront6targetE1EEEvT1_,"axG",@progbits,_ZN7rocprim17ROCPRIM_400000_NS6detail17trampoline_kernelINS0_14default_configENS1_20scan_config_selectorIfEEZZNS1_9scan_implILNS1_25lookback_scan_determinismE0ELb0ELb0ES3_N6thrust23THRUST_200600_302600_NS6detail15normal_iteratorINS9_10device_ptrIfEEEENSB_INSC_IiEEEEfNS9_4plusIvEEfEEDaPvRmT3_T4_T5_mT6_P12ihipStream_tbENKUlT_T0_E_clISt17integral_constantIbLb0EESV_IbLb1EEEEDaSR_SS_EUlSR_E_NS1_11comp_targetILNS1_3genE3ELNS1_11target_archE908ELNS1_3gpuE7ELNS1_3repE0EEENS1_30default_config_static_selectorELNS0_4arch9wavefront6targetE1EEEvT1_,comdat
	.protected	_ZN7rocprim17ROCPRIM_400000_NS6detail17trampoline_kernelINS0_14default_configENS1_20scan_config_selectorIfEEZZNS1_9scan_implILNS1_25lookback_scan_determinismE0ELb0ELb0ES3_N6thrust23THRUST_200600_302600_NS6detail15normal_iteratorINS9_10device_ptrIfEEEENSB_INSC_IiEEEEfNS9_4plusIvEEfEEDaPvRmT3_T4_T5_mT6_P12ihipStream_tbENKUlT_T0_E_clISt17integral_constantIbLb0EESV_IbLb1EEEEDaSR_SS_EUlSR_E_NS1_11comp_targetILNS1_3genE3ELNS1_11target_archE908ELNS1_3gpuE7ELNS1_3repE0EEENS1_30default_config_static_selectorELNS0_4arch9wavefront6targetE1EEEvT1_ ; -- Begin function _ZN7rocprim17ROCPRIM_400000_NS6detail17trampoline_kernelINS0_14default_configENS1_20scan_config_selectorIfEEZZNS1_9scan_implILNS1_25lookback_scan_determinismE0ELb0ELb0ES3_N6thrust23THRUST_200600_302600_NS6detail15normal_iteratorINS9_10device_ptrIfEEEENSB_INSC_IiEEEEfNS9_4plusIvEEfEEDaPvRmT3_T4_T5_mT6_P12ihipStream_tbENKUlT_T0_E_clISt17integral_constantIbLb0EESV_IbLb1EEEEDaSR_SS_EUlSR_E_NS1_11comp_targetILNS1_3genE3ELNS1_11target_archE908ELNS1_3gpuE7ELNS1_3repE0EEENS1_30default_config_static_selectorELNS0_4arch9wavefront6targetE1EEEvT1_
	.globl	_ZN7rocprim17ROCPRIM_400000_NS6detail17trampoline_kernelINS0_14default_configENS1_20scan_config_selectorIfEEZZNS1_9scan_implILNS1_25lookback_scan_determinismE0ELb0ELb0ES3_N6thrust23THRUST_200600_302600_NS6detail15normal_iteratorINS9_10device_ptrIfEEEENSB_INSC_IiEEEEfNS9_4plusIvEEfEEDaPvRmT3_T4_T5_mT6_P12ihipStream_tbENKUlT_T0_E_clISt17integral_constantIbLb0EESV_IbLb1EEEEDaSR_SS_EUlSR_E_NS1_11comp_targetILNS1_3genE3ELNS1_11target_archE908ELNS1_3gpuE7ELNS1_3repE0EEENS1_30default_config_static_selectorELNS0_4arch9wavefront6targetE1EEEvT1_
	.p2align	8
	.type	_ZN7rocprim17ROCPRIM_400000_NS6detail17trampoline_kernelINS0_14default_configENS1_20scan_config_selectorIfEEZZNS1_9scan_implILNS1_25lookback_scan_determinismE0ELb0ELb0ES3_N6thrust23THRUST_200600_302600_NS6detail15normal_iteratorINS9_10device_ptrIfEEEENSB_INSC_IiEEEEfNS9_4plusIvEEfEEDaPvRmT3_T4_T5_mT6_P12ihipStream_tbENKUlT_T0_E_clISt17integral_constantIbLb0EESV_IbLb1EEEEDaSR_SS_EUlSR_E_NS1_11comp_targetILNS1_3genE3ELNS1_11target_archE908ELNS1_3gpuE7ELNS1_3repE0EEENS1_30default_config_static_selectorELNS0_4arch9wavefront6targetE1EEEvT1_,@function
_ZN7rocprim17ROCPRIM_400000_NS6detail17trampoline_kernelINS0_14default_configENS1_20scan_config_selectorIfEEZZNS1_9scan_implILNS1_25lookback_scan_determinismE0ELb0ELb0ES3_N6thrust23THRUST_200600_302600_NS6detail15normal_iteratorINS9_10device_ptrIfEEEENSB_INSC_IiEEEEfNS9_4plusIvEEfEEDaPvRmT3_T4_T5_mT6_P12ihipStream_tbENKUlT_T0_E_clISt17integral_constantIbLb0EESV_IbLb1EEEEDaSR_SS_EUlSR_E_NS1_11comp_targetILNS1_3genE3ELNS1_11target_archE908ELNS1_3gpuE7ELNS1_3repE0EEENS1_30default_config_static_selectorELNS0_4arch9wavefront6targetE1EEEvT1_: ; @_ZN7rocprim17ROCPRIM_400000_NS6detail17trampoline_kernelINS0_14default_configENS1_20scan_config_selectorIfEEZZNS1_9scan_implILNS1_25lookback_scan_determinismE0ELb0ELb0ES3_N6thrust23THRUST_200600_302600_NS6detail15normal_iteratorINS9_10device_ptrIfEEEENSB_INSC_IiEEEEfNS9_4plusIvEEfEEDaPvRmT3_T4_T5_mT6_P12ihipStream_tbENKUlT_T0_E_clISt17integral_constantIbLb0EESV_IbLb1EEEEDaSR_SS_EUlSR_E_NS1_11comp_targetILNS1_3genE3ELNS1_11target_archE908ELNS1_3gpuE7ELNS1_3repE0EEENS1_30default_config_static_selectorELNS0_4arch9wavefront6targetE1EEEvT1_
; %bb.0:
	.section	.rodata,"a",@progbits
	.p2align	6, 0x0
	.amdhsa_kernel _ZN7rocprim17ROCPRIM_400000_NS6detail17trampoline_kernelINS0_14default_configENS1_20scan_config_selectorIfEEZZNS1_9scan_implILNS1_25lookback_scan_determinismE0ELb0ELb0ES3_N6thrust23THRUST_200600_302600_NS6detail15normal_iteratorINS9_10device_ptrIfEEEENSB_INSC_IiEEEEfNS9_4plusIvEEfEEDaPvRmT3_T4_T5_mT6_P12ihipStream_tbENKUlT_T0_E_clISt17integral_constantIbLb0EESV_IbLb1EEEEDaSR_SS_EUlSR_E_NS1_11comp_targetILNS1_3genE3ELNS1_11target_archE908ELNS1_3gpuE7ELNS1_3repE0EEENS1_30default_config_static_selectorELNS0_4arch9wavefront6targetE1EEEvT1_
		.amdhsa_group_segment_fixed_size 0
		.amdhsa_private_segment_fixed_size 0
		.amdhsa_kernarg_size 96
		.amdhsa_user_sgpr_count 6
		.amdhsa_user_sgpr_private_segment_buffer 1
		.amdhsa_user_sgpr_dispatch_ptr 0
		.amdhsa_user_sgpr_queue_ptr 0
		.amdhsa_user_sgpr_kernarg_segment_ptr 1
		.amdhsa_user_sgpr_dispatch_id 0
		.amdhsa_user_sgpr_flat_scratch_init 0
		.amdhsa_user_sgpr_kernarg_preload_length 0
		.amdhsa_user_sgpr_kernarg_preload_offset 0
		.amdhsa_user_sgpr_private_segment_size 0
		.amdhsa_uses_dynamic_stack 0
		.amdhsa_system_sgpr_private_segment_wavefront_offset 0
		.amdhsa_system_sgpr_workgroup_id_x 1
		.amdhsa_system_sgpr_workgroup_id_y 0
		.amdhsa_system_sgpr_workgroup_id_z 0
		.amdhsa_system_sgpr_workgroup_info 0
		.amdhsa_system_vgpr_workitem_id 0
		.amdhsa_next_free_vgpr 1
		.amdhsa_next_free_sgpr 0
		.amdhsa_accum_offset 4
		.amdhsa_reserve_vcc 0
		.amdhsa_reserve_flat_scratch 0
		.amdhsa_float_round_mode_32 0
		.amdhsa_float_round_mode_16_64 0
		.amdhsa_float_denorm_mode_32 3
		.amdhsa_float_denorm_mode_16_64 3
		.amdhsa_dx10_clamp 1
		.amdhsa_ieee_mode 1
		.amdhsa_fp16_overflow 0
		.amdhsa_tg_split 0
		.amdhsa_exception_fp_ieee_invalid_op 0
		.amdhsa_exception_fp_denorm_src 0
		.amdhsa_exception_fp_ieee_div_zero 0
		.amdhsa_exception_fp_ieee_overflow 0
		.amdhsa_exception_fp_ieee_underflow 0
		.amdhsa_exception_fp_ieee_inexact 0
		.amdhsa_exception_int_div_zero 0
	.end_amdhsa_kernel
	.section	.text._ZN7rocprim17ROCPRIM_400000_NS6detail17trampoline_kernelINS0_14default_configENS1_20scan_config_selectorIfEEZZNS1_9scan_implILNS1_25lookback_scan_determinismE0ELb0ELb0ES3_N6thrust23THRUST_200600_302600_NS6detail15normal_iteratorINS9_10device_ptrIfEEEENSB_INSC_IiEEEEfNS9_4plusIvEEfEEDaPvRmT3_T4_T5_mT6_P12ihipStream_tbENKUlT_T0_E_clISt17integral_constantIbLb0EESV_IbLb1EEEEDaSR_SS_EUlSR_E_NS1_11comp_targetILNS1_3genE3ELNS1_11target_archE908ELNS1_3gpuE7ELNS1_3repE0EEENS1_30default_config_static_selectorELNS0_4arch9wavefront6targetE1EEEvT1_,"axG",@progbits,_ZN7rocprim17ROCPRIM_400000_NS6detail17trampoline_kernelINS0_14default_configENS1_20scan_config_selectorIfEEZZNS1_9scan_implILNS1_25lookback_scan_determinismE0ELb0ELb0ES3_N6thrust23THRUST_200600_302600_NS6detail15normal_iteratorINS9_10device_ptrIfEEEENSB_INSC_IiEEEEfNS9_4plusIvEEfEEDaPvRmT3_T4_T5_mT6_P12ihipStream_tbENKUlT_T0_E_clISt17integral_constantIbLb0EESV_IbLb1EEEEDaSR_SS_EUlSR_E_NS1_11comp_targetILNS1_3genE3ELNS1_11target_archE908ELNS1_3gpuE7ELNS1_3repE0EEENS1_30default_config_static_selectorELNS0_4arch9wavefront6targetE1EEEvT1_,comdat
.Lfunc_end1481:
	.size	_ZN7rocprim17ROCPRIM_400000_NS6detail17trampoline_kernelINS0_14default_configENS1_20scan_config_selectorIfEEZZNS1_9scan_implILNS1_25lookback_scan_determinismE0ELb0ELb0ES3_N6thrust23THRUST_200600_302600_NS6detail15normal_iteratorINS9_10device_ptrIfEEEENSB_INSC_IiEEEEfNS9_4plusIvEEfEEDaPvRmT3_T4_T5_mT6_P12ihipStream_tbENKUlT_T0_E_clISt17integral_constantIbLb0EESV_IbLb1EEEEDaSR_SS_EUlSR_E_NS1_11comp_targetILNS1_3genE3ELNS1_11target_archE908ELNS1_3gpuE7ELNS1_3repE0EEENS1_30default_config_static_selectorELNS0_4arch9wavefront6targetE1EEEvT1_, .Lfunc_end1481-_ZN7rocprim17ROCPRIM_400000_NS6detail17trampoline_kernelINS0_14default_configENS1_20scan_config_selectorIfEEZZNS1_9scan_implILNS1_25lookback_scan_determinismE0ELb0ELb0ES3_N6thrust23THRUST_200600_302600_NS6detail15normal_iteratorINS9_10device_ptrIfEEEENSB_INSC_IiEEEEfNS9_4plusIvEEfEEDaPvRmT3_T4_T5_mT6_P12ihipStream_tbENKUlT_T0_E_clISt17integral_constantIbLb0EESV_IbLb1EEEEDaSR_SS_EUlSR_E_NS1_11comp_targetILNS1_3genE3ELNS1_11target_archE908ELNS1_3gpuE7ELNS1_3repE0EEENS1_30default_config_static_selectorELNS0_4arch9wavefront6targetE1EEEvT1_
                                        ; -- End function
	.section	.AMDGPU.csdata,"",@progbits
; Kernel info:
; codeLenInByte = 0
; NumSgprs: 4
; NumVgprs: 0
; NumAgprs: 0
; TotalNumVgprs: 0
; ScratchSize: 0
; MemoryBound: 0
; FloatMode: 240
; IeeeMode: 1
; LDSByteSize: 0 bytes/workgroup (compile time only)
; SGPRBlocks: 0
; VGPRBlocks: 0
; NumSGPRsForWavesPerEU: 4
; NumVGPRsForWavesPerEU: 1
; AccumOffset: 4
; Occupancy: 8
; WaveLimiterHint : 0
; COMPUTE_PGM_RSRC2:SCRATCH_EN: 0
; COMPUTE_PGM_RSRC2:USER_SGPR: 6
; COMPUTE_PGM_RSRC2:TRAP_HANDLER: 0
; COMPUTE_PGM_RSRC2:TGID_X_EN: 1
; COMPUTE_PGM_RSRC2:TGID_Y_EN: 0
; COMPUTE_PGM_RSRC2:TGID_Z_EN: 0
; COMPUTE_PGM_RSRC2:TIDIG_COMP_CNT: 0
; COMPUTE_PGM_RSRC3_GFX90A:ACCUM_OFFSET: 0
; COMPUTE_PGM_RSRC3_GFX90A:TG_SPLIT: 0
	.section	.text._ZN7rocprim17ROCPRIM_400000_NS6detail17trampoline_kernelINS0_14default_configENS1_20scan_config_selectorIfEEZZNS1_9scan_implILNS1_25lookback_scan_determinismE0ELb0ELb0ES3_N6thrust23THRUST_200600_302600_NS6detail15normal_iteratorINS9_10device_ptrIfEEEENSB_INSC_IiEEEEfNS9_4plusIvEEfEEDaPvRmT3_T4_T5_mT6_P12ihipStream_tbENKUlT_T0_E_clISt17integral_constantIbLb0EESV_IbLb1EEEEDaSR_SS_EUlSR_E_NS1_11comp_targetILNS1_3genE2ELNS1_11target_archE906ELNS1_3gpuE6ELNS1_3repE0EEENS1_30default_config_static_selectorELNS0_4arch9wavefront6targetE1EEEvT1_,"axG",@progbits,_ZN7rocprim17ROCPRIM_400000_NS6detail17trampoline_kernelINS0_14default_configENS1_20scan_config_selectorIfEEZZNS1_9scan_implILNS1_25lookback_scan_determinismE0ELb0ELb0ES3_N6thrust23THRUST_200600_302600_NS6detail15normal_iteratorINS9_10device_ptrIfEEEENSB_INSC_IiEEEEfNS9_4plusIvEEfEEDaPvRmT3_T4_T5_mT6_P12ihipStream_tbENKUlT_T0_E_clISt17integral_constantIbLb0EESV_IbLb1EEEEDaSR_SS_EUlSR_E_NS1_11comp_targetILNS1_3genE2ELNS1_11target_archE906ELNS1_3gpuE6ELNS1_3repE0EEENS1_30default_config_static_selectorELNS0_4arch9wavefront6targetE1EEEvT1_,comdat
	.protected	_ZN7rocprim17ROCPRIM_400000_NS6detail17trampoline_kernelINS0_14default_configENS1_20scan_config_selectorIfEEZZNS1_9scan_implILNS1_25lookback_scan_determinismE0ELb0ELb0ES3_N6thrust23THRUST_200600_302600_NS6detail15normal_iteratorINS9_10device_ptrIfEEEENSB_INSC_IiEEEEfNS9_4plusIvEEfEEDaPvRmT3_T4_T5_mT6_P12ihipStream_tbENKUlT_T0_E_clISt17integral_constantIbLb0EESV_IbLb1EEEEDaSR_SS_EUlSR_E_NS1_11comp_targetILNS1_3genE2ELNS1_11target_archE906ELNS1_3gpuE6ELNS1_3repE0EEENS1_30default_config_static_selectorELNS0_4arch9wavefront6targetE1EEEvT1_ ; -- Begin function _ZN7rocprim17ROCPRIM_400000_NS6detail17trampoline_kernelINS0_14default_configENS1_20scan_config_selectorIfEEZZNS1_9scan_implILNS1_25lookback_scan_determinismE0ELb0ELb0ES3_N6thrust23THRUST_200600_302600_NS6detail15normal_iteratorINS9_10device_ptrIfEEEENSB_INSC_IiEEEEfNS9_4plusIvEEfEEDaPvRmT3_T4_T5_mT6_P12ihipStream_tbENKUlT_T0_E_clISt17integral_constantIbLb0EESV_IbLb1EEEEDaSR_SS_EUlSR_E_NS1_11comp_targetILNS1_3genE2ELNS1_11target_archE906ELNS1_3gpuE6ELNS1_3repE0EEENS1_30default_config_static_selectorELNS0_4arch9wavefront6targetE1EEEvT1_
	.globl	_ZN7rocprim17ROCPRIM_400000_NS6detail17trampoline_kernelINS0_14default_configENS1_20scan_config_selectorIfEEZZNS1_9scan_implILNS1_25lookback_scan_determinismE0ELb0ELb0ES3_N6thrust23THRUST_200600_302600_NS6detail15normal_iteratorINS9_10device_ptrIfEEEENSB_INSC_IiEEEEfNS9_4plusIvEEfEEDaPvRmT3_T4_T5_mT6_P12ihipStream_tbENKUlT_T0_E_clISt17integral_constantIbLb0EESV_IbLb1EEEEDaSR_SS_EUlSR_E_NS1_11comp_targetILNS1_3genE2ELNS1_11target_archE906ELNS1_3gpuE6ELNS1_3repE0EEENS1_30default_config_static_selectorELNS0_4arch9wavefront6targetE1EEEvT1_
	.p2align	8
	.type	_ZN7rocprim17ROCPRIM_400000_NS6detail17trampoline_kernelINS0_14default_configENS1_20scan_config_selectorIfEEZZNS1_9scan_implILNS1_25lookback_scan_determinismE0ELb0ELb0ES3_N6thrust23THRUST_200600_302600_NS6detail15normal_iteratorINS9_10device_ptrIfEEEENSB_INSC_IiEEEEfNS9_4plusIvEEfEEDaPvRmT3_T4_T5_mT6_P12ihipStream_tbENKUlT_T0_E_clISt17integral_constantIbLb0EESV_IbLb1EEEEDaSR_SS_EUlSR_E_NS1_11comp_targetILNS1_3genE2ELNS1_11target_archE906ELNS1_3gpuE6ELNS1_3repE0EEENS1_30default_config_static_selectorELNS0_4arch9wavefront6targetE1EEEvT1_,@function
_ZN7rocprim17ROCPRIM_400000_NS6detail17trampoline_kernelINS0_14default_configENS1_20scan_config_selectorIfEEZZNS1_9scan_implILNS1_25lookback_scan_determinismE0ELb0ELb0ES3_N6thrust23THRUST_200600_302600_NS6detail15normal_iteratorINS9_10device_ptrIfEEEENSB_INSC_IiEEEEfNS9_4plusIvEEfEEDaPvRmT3_T4_T5_mT6_P12ihipStream_tbENKUlT_T0_E_clISt17integral_constantIbLb0EESV_IbLb1EEEEDaSR_SS_EUlSR_E_NS1_11comp_targetILNS1_3genE2ELNS1_11target_archE906ELNS1_3gpuE6ELNS1_3repE0EEENS1_30default_config_static_selectorELNS0_4arch9wavefront6targetE1EEEvT1_: ; @_ZN7rocprim17ROCPRIM_400000_NS6detail17trampoline_kernelINS0_14default_configENS1_20scan_config_selectorIfEEZZNS1_9scan_implILNS1_25lookback_scan_determinismE0ELb0ELb0ES3_N6thrust23THRUST_200600_302600_NS6detail15normal_iteratorINS9_10device_ptrIfEEEENSB_INSC_IiEEEEfNS9_4plusIvEEfEEDaPvRmT3_T4_T5_mT6_P12ihipStream_tbENKUlT_T0_E_clISt17integral_constantIbLb0EESV_IbLb1EEEEDaSR_SS_EUlSR_E_NS1_11comp_targetILNS1_3genE2ELNS1_11target_archE906ELNS1_3gpuE6ELNS1_3repE0EEENS1_30default_config_static_selectorELNS0_4arch9wavefront6targetE1EEEvT1_
; %bb.0:
	.section	.rodata,"a",@progbits
	.p2align	6, 0x0
	.amdhsa_kernel _ZN7rocprim17ROCPRIM_400000_NS6detail17trampoline_kernelINS0_14default_configENS1_20scan_config_selectorIfEEZZNS1_9scan_implILNS1_25lookback_scan_determinismE0ELb0ELb0ES3_N6thrust23THRUST_200600_302600_NS6detail15normal_iteratorINS9_10device_ptrIfEEEENSB_INSC_IiEEEEfNS9_4plusIvEEfEEDaPvRmT3_T4_T5_mT6_P12ihipStream_tbENKUlT_T0_E_clISt17integral_constantIbLb0EESV_IbLb1EEEEDaSR_SS_EUlSR_E_NS1_11comp_targetILNS1_3genE2ELNS1_11target_archE906ELNS1_3gpuE6ELNS1_3repE0EEENS1_30default_config_static_selectorELNS0_4arch9wavefront6targetE1EEEvT1_
		.amdhsa_group_segment_fixed_size 0
		.amdhsa_private_segment_fixed_size 0
		.amdhsa_kernarg_size 96
		.amdhsa_user_sgpr_count 6
		.amdhsa_user_sgpr_private_segment_buffer 1
		.amdhsa_user_sgpr_dispatch_ptr 0
		.amdhsa_user_sgpr_queue_ptr 0
		.amdhsa_user_sgpr_kernarg_segment_ptr 1
		.amdhsa_user_sgpr_dispatch_id 0
		.amdhsa_user_sgpr_flat_scratch_init 0
		.amdhsa_user_sgpr_kernarg_preload_length 0
		.amdhsa_user_sgpr_kernarg_preload_offset 0
		.amdhsa_user_sgpr_private_segment_size 0
		.amdhsa_uses_dynamic_stack 0
		.amdhsa_system_sgpr_private_segment_wavefront_offset 0
		.amdhsa_system_sgpr_workgroup_id_x 1
		.amdhsa_system_sgpr_workgroup_id_y 0
		.amdhsa_system_sgpr_workgroup_id_z 0
		.amdhsa_system_sgpr_workgroup_info 0
		.amdhsa_system_vgpr_workitem_id 0
		.amdhsa_next_free_vgpr 1
		.amdhsa_next_free_sgpr 0
		.amdhsa_accum_offset 4
		.amdhsa_reserve_vcc 0
		.amdhsa_reserve_flat_scratch 0
		.amdhsa_float_round_mode_32 0
		.amdhsa_float_round_mode_16_64 0
		.amdhsa_float_denorm_mode_32 3
		.amdhsa_float_denorm_mode_16_64 3
		.amdhsa_dx10_clamp 1
		.amdhsa_ieee_mode 1
		.amdhsa_fp16_overflow 0
		.amdhsa_tg_split 0
		.amdhsa_exception_fp_ieee_invalid_op 0
		.amdhsa_exception_fp_denorm_src 0
		.amdhsa_exception_fp_ieee_div_zero 0
		.amdhsa_exception_fp_ieee_overflow 0
		.amdhsa_exception_fp_ieee_underflow 0
		.amdhsa_exception_fp_ieee_inexact 0
		.amdhsa_exception_int_div_zero 0
	.end_amdhsa_kernel
	.section	.text._ZN7rocprim17ROCPRIM_400000_NS6detail17trampoline_kernelINS0_14default_configENS1_20scan_config_selectorIfEEZZNS1_9scan_implILNS1_25lookback_scan_determinismE0ELb0ELb0ES3_N6thrust23THRUST_200600_302600_NS6detail15normal_iteratorINS9_10device_ptrIfEEEENSB_INSC_IiEEEEfNS9_4plusIvEEfEEDaPvRmT3_T4_T5_mT6_P12ihipStream_tbENKUlT_T0_E_clISt17integral_constantIbLb0EESV_IbLb1EEEEDaSR_SS_EUlSR_E_NS1_11comp_targetILNS1_3genE2ELNS1_11target_archE906ELNS1_3gpuE6ELNS1_3repE0EEENS1_30default_config_static_selectorELNS0_4arch9wavefront6targetE1EEEvT1_,"axG",@progbits,_ZN7rocprim17ROCPRIM_400000_NS6detail17trampoline_kernelINS0_14default_configENS1_20scan_config_selectorIfEEZZNS1_9scan_implILNS1_25lookback_scan_determinismE0ELb0ELb0ES3_N6thrust23THRUST_200600_302600_NS6detail15normal_iteratorINS9_10device_ptrIfEEEENSB_INSC_IiEEEEfNS9_4plusIvEEfEEDaPvRmT3_T4_T5_mT6_P12ihipStream_tbENKUlT_T0_E_clISt17integral_constantIbLb0EESV_IbLb1EEEEDaSR_SS_EUlSR_E_NS1_11comp_targetILNS1_3genE2ELNS1_11target_archE906ELNS1_3gpuE6ELNS1_3repE0EEENS1_30default_config_static_selectorELNS0_4arch9wavefront6targetE1EEEvT1_,comdat
.Lfunc_end1482:
	.size	_ZN7rocprim17ROCPRIM_400000_NS6detail17trampoline_kernelINS0_14default_configENS1_20scan_config_selectorIfEEZZNS1_9scan_implILNS1_25lookback_scan_determinismE0ELb0ELb0ES3_N6thrust23THRUST_200600_302600_NS6detail15normal_iteratorINS9_10device_ptrIfEEEENSB_INSC_IiEEEEfNS9_4plusIvEEfEEDaPvRmT3_T4_T5_mT6_P12ihipStream_tbENKUlT_T0_E_clISt17integral_constantIbLb0EESV_IbLb1EEEEDaSR_SS_EUlSR_E_NS1_11comp_targetILNS1_3genE2ELNS1_11target_archE906ELNS1_3gpuE6ELNS1_3repE0EEENS1_30default_config_static_selectorELNS0_4arch9wavefront6targetE1EEEvT1_, .Lfunc_end1482-_ZN7rocprim17ROCPRIM_400000_NS6detail17trampoline_kernelINS0_14default_configENS1_20scan_config_selectorIfEEZZNS1_9scan_implILNS1_25lookback_scan_determinismE0ELb0ELb0ES3_N6thrust23THRUST_200600_302600_NS6detail15normal_iteratorINS9_10device_ptrIfEEEENSB_INSC_IiEEEEfNS9_4plusIvEEfEEDaPvRmT3_T4_T5_mT6_P12ihipStream_tbENKUlT_T0_E_clISt17integral_constantIbLb0EESV_IbLb1EEEEDaSR_SS_EUlSR_E_NS1_11comp_targetILNS1_3genE2ELNS1_11target_archE906ELNS1_3gpuE6ELNS1_3repE0EEENS1_30default_config_static_selectorELNS0_4arch9wavefront6targetE1EEEvT1_
                                        ; -- End function
	.section	.AMDGPU.csdata,"",@progbits
; Kernel info:
; codeLenInByte = 0
; NumSgprs: 4
; NumVgprs: 0
; NumAgprs: 0
; TotalNumVgprs: 0
; ScratchSize: 0
; MemoryBound: 0
; FloatMode: 240
; IeeeMode: 1
; LDSByteSize: 0 bytes/workgroup (compile time only)
; SGPRBlocks: 0
; VGPRBlocks: 0
; NumSGPRsForWavesPerEU: 4
; NumVGPRsForWavesPerEU: 1
; AccumOffset: 4
; Occupancy: 8
; WaveLimiterHint : 0
; COMPUTE_PGM_RSRC2:SCRATCH_EN: 0
; COMPUTE_PGM_RSRC2:USER_SGPR: 6
; COMPUTE_PGM_RSRC2:TRAP_HANDLER: 0
; COMPUTE_PGM_RSRC2:TGID_X_EN: 1
; COMPUTE_PGM_RSRC2:TGID_Y_EN: 0
; COMPUTE_PGM_RSRC2:TGID_Z_EN: 0
; COMPUTE_PGM_RSRC2:TIDIG_COMP_CNT: 0
; COMPUTE_PGM_RSRC3_GFX90A:ACCUM_OFFSET: 0
; COMPUTE_PGM_RSRC3_GFX90A:TG_SPLIT: 0
	.section	.text._ZN7rocprim17ROCPRIM_400000_NS6detail17trampoline_kernelINS0_14default_configENS1_20scan_config_selectorIfEEZZNS1_9scan_implILNS1_25lookback_scan_determinismE0ELb0ELb0ES3_N6thrust23THRUST_200600_302600_NS6detail15normal_iteratorINS9_10device_ptrIfEEEENSB_INSC_IiEEEEfNS9_4plusIvEEfEEDaPvRmT3_T4_T5_mT6_P12ihipStream_tbENKUlT_T0_E_clISt17integral_constantIbLb0EESV_IbLb1EEEEDaSR_SS_EUlSR_E_NS1_11comp_targetILNS1_3genE10ELNS1_11target_archE1201ELNS1_3gpuE5ELNS1_3repE0EEENS1_30default_config_static_selectorELNS0_4arch9wavefront6targetE1EEEvT1_,"axG",@progbits,_ZN7rocprim17ROCPRIM_400000_NS6detail17trampoline_kernelINS0_14default_configENS1_20scan_config_selectorIfEEZZNS1_9scan_implILNS1_25lookback_scan_determinismE0ELb0ELb0ES3_N6thrust23THRUST_200600_302600_NS6detail15normal_iteratorINS9_10device_ptrIfEEEENSB_INSC_IiEEEEfNS9_4plusIvEEfEEDaPvRmT3_T4_T5_mT6_P12ihipStream_tbENKUlT_T0_E_clISt17integral_constantIbLb0EESV_IbLb1EEEEDaSR_SS_EUlSR_E_NS1_11comp_targetILNS1_3genE10ELNS1_11target_archE1201ELNS1_3gpuE5ELNS1_3repE0EEENS1_30default_config_static_selectorELNS0_4arch9wavefront6targetE1EEEvT1_,comdat
	.protected	_ZN7rocprim17ROCPRIM_400000_NS6detail17trampoline_kernelINS0_14default_configENS1_20scan_config_selectorIfEEZZNS1_9scan_implILNS1_25lookback_scan_determinismE0ELb0ELb0ES3_N6thrust23THRUST_200600_302600_NS6detail15normal_iteratorINS9_10device_ptrIfEEEENSB_INSC_IiEEEEfNS9_4plusIvEEfEEDaPvRmT3_T4_T5_mT6_P12ihipStream_tbENKUlT_T0_E_clISt17integral_constantIbLb0EESV_IbLb1EEEEDaSR_SS_EUlSR_E_NS1_11comp_targetILNS1_3genE10ELNS1_11target_archE1201ELNS1_3gpuE5ELNS1_3repE0EEENS1_30default_config_static_selectorELNS0_4arch9wavefront6targetE1EEEvT1_ ; -- Begin function _ZN7rocprim17ROCPRIM_400000_NS6detail17trampoline_kernelINS0_14default_configENS1_20scan_config_selectorIfEEZZNS1_9scan_implILNS1_25lookback_scan_determinismE0ELb0ELb0ES3_N6thrust23THRUST_200600_302600_NS6detail15normal_iteratorINS9_10device_ptrIfEEEENSB_INSC_IiEEEEfNS9_4plusIvEEfEEDaPvRmT3_T4_T5_mT6_P12ihipStream_tbENKUlT_T0_E_clISt17integral_constantIbLb0EESV_IbLb1EEEEDaSR_SS_EUlSR_E_NS1_11comp_targetILNS1_3genE10ELNS1_11target_archE1201ELNS1_3gpuE5ELNS1_3repE0EEENS1_30default_config_static_selectorELNS0_4arch9wavefront6targetE1EEEvT1_
	.globl	_ZN7rocprim17ROCPRIM_400000_NS6detail17trampoline_kernelINS0_14default_configENS1_20scan_config_selectorIfEEZZNS1_9scan_implILNS1_25lookback_scan_determinismE0ELb0ELb0ES3_N6thrust23THRUST_200600_302600_NS6detail15normal_iteratorINS9_10device_ptrIfEEEENSB_INSC_IiEEEEfNS9_4plusIvEEfEEDaPvRmT3_T4_T5_mT6_P12ihipStream_tbENKUlT_T0_E_clISt17integral_constantIbLb0EESV_IbLb1EEEEDaSR_SS_EUlSR_E_NS1_11comp_targetILNS1_3genE10ELNS1_11target_archE1201ELNS1_3gpuE5ELNS1_3repE0EEENS1_30default_config_static_selectorELNS0_4arch9wavefront6targetE1EEEvT1_
	.p2align	8
	.type	_ZN7rocprim17ROCPRIM_400000_NS6detail17trampoline_kernelINS0_14default_configENS1_20scan_config_selectorIfEEZZNS1_9scan_implILNS1_25lookback_scan_determinismE0ELb0ELb0ES3_N6thrust23THRUST_200600_302600_NS6detail15normal_iteratorINS9_10device_ptrIfEEEENSB_INSC_IiEEEEfNS9_4plusIvEEfEEDaPvRmT3_T4_T5_mT6_P12ihipStream_tbENKUlT_T0_E_clISt17integral_constantIbLb0EESV_IbLb1EEEEDaSR_SS_EUlSR_E_NS1_11comp_targetILNS1_3genE10ELNS1_11target_archE1201ELNS1_3gpuE5ELNS1_3repE0EEENS1_30default_config_static_selectorELNS0_4arch9wavefront6targetE1EEEvT1_,@function
_ZN7rocprim17ROCPRIM_400000_NS6detail17trampoline_kernelINS0_14default_configENS1_20scan_config_selectorIfEEZZNS1_9scan_implILNS1_25lookback_scan_determinismE0ELb0ELb0ES3_N6thrust23THRUST_200600_302600_NS6detail15normal_iteratorINS9_10device_ptrIfEEEENSB_INSC_IiEEEEfNS9_4plusIvEEfEEDaPvRmT3_T4_T5_mT6_P12ihipStream_tbENKUlT_T0_E_clISt17integral_constantIbLb0EESV_IbLb1EEEEDaSR_SS_EUlSR_E_NS1_11comp_targetILNS1_3genE10ELNS1_11target_archE1201ELNS1_3gpuE5ELNS1_3repE0EEENS1_30default_config_static_selectorELNS0_4arch9wavefront6targetE1EEEvT1_: ; @_ZN7rocprim17ROCPRIM_400000_NS6detail17trampoline_kernelINS0_14default_configENS1_20scan_config_selectorIfEEZZNS1_9scan_implILNS1_25lookback_scan_determinismE0ELb0ELb0ES3_N6thrust23THRUST_200600_302600_NS6detail15normal_iteratorINS9_10device_ptrIfEEEENSB_INSC_IiEEEEfNS9_4plusIvEEfEEDaPvRmT3_T4_T5_mT6_P12ihipStream_tbENKUlT_T0_E_clISt17integral_constantIbLb0EESV_IbLb1EEEEDaSR_SS_EUlSR_E_NS1_11comp_targetILNS1_3genE10ELNS1_11target_archE1201ELNS1_3gpuE5ELNS1_3repE0EEENS1_30default_config_static_selectorELNS0_4arch9wavefront6targetE1EEEvT1_
; %bb.0:
	.section	.rodata,"a",@progbits
	.p2align	6, 0x0
	.amdhsa_kernel _ZN7rocprim17ROCPRIM_400000_NS6detail17trampoline_kernelINS0_14default_configENS1_20scan_config_selectorIfEEZZNS1_9scan_implILNS1_25lookback_scan_determinismE0ELb0ELb0ES3_N6thrust23THRUST_200600_302600_NS6detail15normal_iteratorINS9_10device_ptrIfEEEENSB_INSC_IiEEEEfNS9_4plusIvEEfEEDaPvRmT3_T4_T5_mT6_P12ihipStream_tbENKUlT_T0_E_clISt17integral_constantIbLb0EESV_IbLb1EEEEDaSR_SS_EUlSR_E_NS1_11comp_targetILNS1_3genE10ELNS1_11target_archE1201ELNS1_3gpuE5ELNS1_3repE0EEENS1_30default_config_static_selectorELNS0_4arch9wavefront6targetE1EEEvT1_
		.amdhsa_group_segment_fixed_size 0
		.amdhsa_private_segment_fixed_size 0
		.amdhsa_kernarg_size 96
		.amdhsa_user_sgpr_count 6
		.amdhsa_user_sgpr_private_segment_buffer 1
		.amdhsa_user_sgpr_dispatch_ptr 0
		.amdhsa_user_sgpr_queue_ptr 0
		.amdhsa_user_sgpr_kernarg_segment_ptr 1
		.amdhsa_user_sgpr_dispatch_id 0
		.amdhsa_user_sgpr_flat_scratch_init 0
		.amdhsa_user_sgpr_kernarg_preload_length 0
		.amdhsa_user_sgpr_kernarg_preload_offset 0
		.amdhsa_user_sgpr_private_segment_size 0
		.amdhsa_uses_dynamic_stack 0
		.amdhsa_system_sgpr_private_segment_wavefront_offset 0
		.amdhsa_system_sgpr_workgroup_id_x 1
		.amdhsa_system_sgpr_workgroup_id_y 0
		.amdhsa_system_sgpr_workgroup_id_z 0
		.amdhsa_system_sgpr_workgroup_info 0
		.amdhsa_system_vgpr_workitem_id 0
		.amdhsa_next_free_vgpr 1
		.amdhsa_next_free_sgpr 0
		.amdhsa_accum_offset 4
		.amdhsa_reserve_vcc 0
		.amdhsa_reserve_flat_scratch 0
		.amdhsa_float_round_mode_32 0
		.amdhsa_float_round_mode_16_64 0
		.amdhsa_float_denorm_mode_32 3
		.amdhsa_float_denorm_mode_16_64 3
		.amdhsa_dx10_clamp 1
		.amdhsa_ieee_mode 1
		.amdhsa_fp16_overflow 0
		.amdhsa_tg_split 0
		.amdhsa_exception_fp_ieee_invalid_op 0
		.amdhsa_exception_fp_denorm_src 0
		.amdhsa_exception_fp_ieee_div_zero 0
		.amdhsa_exception_fp_ieee_overflow 0
		.amdhsa_exception_fp_ieee_underflow 0
		.amdhsa_exception_fp_ieee_inexact 0
		.amdhsa_exception_int_div_zero 0
	.end_amdhsa_kernel
	.section	.text._ZN7rocprim17ROCPRIM_400000_NS6detail17trampoline_kernelINS0_14default_configENS1_20scan_config_selectorIfEEZZNS1_9scan_implILNS1_25lookback_scan_determinismE0ELb0ELb0ES3_N6thrust23THRUST_200600_302600_NS6detail15normal_iteratorINS9_10device_ptrIfEEEENSB_INSC_IiEEEEfNS9_4plusIvEEfEEDaPvRmT3_T4_T5_mT6_P12ihipStream_tbENKUlT_T0_E_clISt17integral_constantIbLb0EESV_IbLb1EEEEDaSR_SS_EUlSR_E_NS1_11comp_targetILNS1_3genE10ELNS1_11target_archE1201ELNS1_3gpuE5ELNS1_3repE0EEENS1_30default_config_static_selectorELNS0_4arch9wavefront6targetE1EEEvT1_,"axG",@progbits,_ZN7rocprim17ROCPRIM_400000_NS6detail17trampoline_kernelINS0_14default_configENS1_20scan_config_selectorIfEEZZNS1_9scan_implILNS1_25lookback_scan_determinismE0ELb0ELb0ES3_N6thrust23THRUST_200600_302600_NS6detail15normal_iteratorINS9_10device_ptrIfEEEENSB_INSC_IiEEEEfNS9_4plusIvEEfEEDaPvRmT3_T4_T5_mT6_P12ihipStream_tbENKUlT_T0_E_clISt17integral_constantIbLb0EESV_IbLb1EEEEDaSR_SS_EUlSR_E_NS1_11comp_targetILNS1_3genE10ELNS1_11target_archE1201ELNS1_3gpuE5ELNS1_3repE0EEENS1_30default_config_static_selectorELNS0_4arch9wavefront6targetE1EEEvT1_,comdat
.Lfunc_end1483:
	.size	_ZN7rocprim17ROCPRIM_400000_NS6detail17trampoline_kernelINS0_14default_configENS1_20scan_config_selectorIfEEZZNS1_9scan_implILNS1_25lookback_scan_determinismE0ELb0ELb0ES3_N6thrust23THRUST_200600_302600_NS6detail15normal_iteratorINS9_10device_ptrIfEEEENSB_INSC_IiEEEEfNS9_4plusIvEEfEEDaPvRmT3_T4_T5_mT6_P12ihipStream_tbENKUlT_T0_E_clISt17integral_constantIbLb0EESV_IbLb1EEEEDaSR_SS_EUlSR_E_NS1_11comp_targetILNS1_3genE10ELNS1_11target_archE1201ELNS1_3gpuE5ELNS1_3repE0EEENS1_30default_config_static_selectorELNS0_4arch9wavefront6targetE1EEEvT1_, .Lfunc_end1483-_ZN7rocprim17ROCPRIM_400000_NS6detail17trampoline_kernelINS0_14default_configENS1_20scan_config_selectorIfEEZZNS1_9scan_implILNS1_25lookback_scan_determinismE0ELb0ELb0ES3_N6thrust23THRUST_200600_302600_NS6detail15normal_iteratorINS9_10device_ptrIfEEEENSB_INSC_IiEEEEfNS9_4plusIvEEfEEDaPvRmT3_T4_T5_mT6_P12ihipStream_tbENKUlT_T0_E_clISt17integral_constantIbLb0EESV_IbLb1EEEEDaSR_SS_EUlSR_E_NS1_11comp_targetILNS1_3genE10ELNS1_11target_archE1201ELNS1_3gpuE5ELNS1_3repE0EEENS1_30default_config_static_selectorELNS0_4arch9wavefront6targetE1EEEvT1_
                                        ; -- End function
	.section	.AMDGPU.csdata,"",@progbits
; Kernel info:
; codeLenInByte = 0
; NumSgprs: 4
; NumVgprs: 0
; NumAgprs: 0
; TotalNumVgprs: 0
; ScratchSize: 0
; MemoryBound: 0
; FloatMode: 240
; IeeeMode: 1
; LDSByteSize: 0 bytes/workgroup (compile time only)
; SGPRBlocks: 0
; VGPRBlocks: 0
; NumSGPRsForWavesPerEU: 4
; NumVGPRsForWavesPerEU: 1
; AccumOffset: 4
; Occupancy: 8
; WaveLimiterHint : 0
; COMPUTE_PGM_RSRC2:SCRATCH_EN: 0
; COMPUTE_PGM_RSRC2:USER_SGPR: 6
; COMPUTE_PGM_RSRC2:TRAP_HANDLER: 0
; COMPUTE_PGM_RSRC2:TGID_X_EN: 1
; COMPUTE_PGM_RSRC2:TGID_Y_EN: 0
; COMPUTE_PGM_RSRC2:TGID_Z_EN: 0
; COMPUTE_PGM_RSRC2:TIDIG_COMP_CNT: 0
; COMPUTE_PGM_RSRC3_GFX90A:ACCUM_OFFSET: 0
; COMPUTE_PGM_RSRC3_GFX90A:TG_SPLIT: 0
	.section	.text._ZN7rocprim17ROCPRIM_400000_NS6detail17trampoline_kernelINS0_14default_configENS1_20scan_config_selectorIfEEZZNS1_9scan_implILNS1_25lookback_scan_determinismE0ELb0ELb0ES3_N6thrust23THRUST_200600_302600_NS6detail15normal_iteratorINS9_10device_ptrIfEEEENSB_INSC_IiEEEEfNS9_4plusIvEEfEEDaPvRmT3_T4_T5_mT6_P12ihipStream_tbENKUlT_T0_E_clISt17integral_constantIbLb0EESV_IbLb1EEEEDaSR_SS_EUlSR_E_NS1_11comp_targetILNS1_3genE10ELNS1_11target_archE1200ELNS1_3gpuE4ELNS1_3repE0EEENS1_30default_config_static_selectorELNS0_4arch9wavefront6targetE1EEEvT1_,"axG",@progbits,_ZN7rocprim17ROCPRIM_400000_NS6detail17trampoline_kernelINS0_14default_configENS1_20scan_config_selectorIfEEZZNS1_9scan_implILNS1_25lookback_scan_determinismE0ELb0ELb0ES3_N6thrust23THRUST_200600_302600_NS6detail15normal_iteratorINS9_10device_ptrIfEEEENSB_INSC_IiEEEEfNS9_4plusIvEEfEEDaPvRmT3_T4_T5_mT6_P12ihipStream_tbENKUlT_T0_E_clISt17integral_constantIbLb0EESV_IbLb1EEEEDaSR_SS_EUlSR_E_NS1_11comp_targetILNS1_3genE10ELNS1_11target_archE1200ELNS1_3gpuE4ELNS1_3repE0EEENS1_30default_config_static_selectorELNS0_4arch9wavefront6targetE1EEEvT1_,comdat
	.protected	_ZN7rocprim17ROCPRIM_400000_NS6detail17trampoline_kernelINS0_14default_configENS1_20scan_config_selectorIfEEZZNS1_9scan_implILNS1_25lookback_scan_determinismE0ELb0ELb0ES3_N6thrust23THRUST_200600_302600_NS6detail15normal_iteratorINS9_10device_ptrIfEEEENSB_INSC_IiEEEEfNS9_4plusIvEEfEEDaPvRmT3_T4_T5_mT6_P12ihipStream_tbENKUlT_T0_E_clISt17integral_constantIbLb0EESV_IbLb1EEEEDaSR_SS_EUlSR_E_NS1_11comp_targetILNS1_3genE10ELNS1_11target_archE1200ELNS1_3gpuE4ELNS1_3repE0EEENS1_30default_config_static_selectorELNS0_4arch9wavefront6targetE1EEEvT1_ ; -- Begin function _ZN7rocprim17ROCPRIM_400000_NS6detail17trampoline_kernelINS0_14default_configENS1_20scan_config_selectorIfEEZZNS1_9scan_implILNS1_25lookback_scan_determinismE0ELb0ELb0ES3_N6thrust23THRUST_200600_302600_NS6detail15normal_iteratorINS9_10device_ptrIfEEEENSB_INSC_IiEEEEfNS9_4plusIvEEfEEDaPvRmT3_T4_T5_mT6_P12ihipStream_tbENKUlT_T0_E_clISt17integral_constantIbLb0EESV_IbLb1EEEEDaSR_SS_EUlSR_E_NS1_11comp_targetILNS1_3genE10ELNS1_11target_archE1200ELNS1_3gpuE4ELNS1_3repE0EEENS1_30default_config_static_selectorELNS0_4arch9wavefront6targetE1EEEvT1_
	.globl	_ZN7rocprim17ROCPRIM_400000_NS6detail17trampoline_kernelINS0_14default_configENS1_20scan_config_selectorIfEEZZNS1_9scan_implILNS1_25lookback_scan_determinismE0ELb0ELb0ES3_N6thrust23THRUST_200600_302600_NS6detail15normal_iteratorINS9_10device_ptrIfEEEENSB_INSC_IiEEEEfNS9_4plusIvEEfEEDaPvRmT3_T4_T5_mT6_P12ihipStream_tbENKUlT_T0_E_clISt17integral_constantIbLb0EESV_IbLb1EEEEDaSR_SS_EUlSR_E_NS1_11comp_targetILNS1_3genE10ELNS1_11target_archE1200ELNS1_3gpuE4ELNS1_3repE0EEENS1_30default_config_static_selectorELNS0_4arch9wavefront6targetE1EEEvT1_
	.p2align	8
	.type	_ZN7rocprim17ROCPRIM_400000_NS6detail17trampoline_kernelINS0_14default_configENS1_20scan_config_selectorIfEEZZNS1_9scan_implILNS1_25lookback_scan_determinismE0ELb0ELb0ES3_N6thrust23THRUST_200600_302600_NS6detail15normal_iteratorINS9_10device_ptrIfEEEENSB_INSC_IiEEEEfNS9_4plusIvEEfEEDaPvRmT3_T4_T5_mT6_P12ihipStream_tbENKUlT_T0_E_clISt17integral_constantIbLb0EESV_IbLb1EEEEDaSR_SS_EUlSR_E_NS1_11comp_targetILNS1_3genE10ELNS1_11target_archE1200ELNS1_3gpuE4ELNS1_3repE0EEENS1_30default_config_static_selectorELNS0_4arch9wavefront6targetE1EEEvT1_,@function
_ZN7rocprim17ROCPRIM_400000_NS6detail17trampoline_kernelINS0_14default_configENS1_20scan_config_selectorIfEEZZNS1_9scan_implILNS1_25lookback_scan_determinismE0ELb0ELb0ES3_N6thrust23THRUST_200600_302600_NS6detail15normal_iteratorINS9_10device_ptrIfEEEENSB_INSC_IiEEEEfNS9_4plusIvEEfEEDaPvRmT3_T4_T5_mT6_P12ihipStream_tbENKUlT_T0_E_clISt17integral_constantIbLb0EESV_IbLb1EEEEDaSR_SS_EUlSR_E_NS1_11comp_targetILNS1_3genE10ELNS1_11target_archE1200ELNS1_3gpuE4ELNS1_3repE0EEENS1_30default_config_static_selectorELNS0_4arch9wavefront6targetE1EEEvT1_: ; @_ZN7rocprim17ROCPRIM_400000_NS6detail17trampoline_kernelINS0_14default_configENS1_20scan_config_selectorIfEEZZNS1_9scan_implILNS1_25lookback_scan_determinismE0ELb0ELb0ES3_N6thrust23THRUST_200600_302600_NS6detail15normal_iteratorINS9_10device_ptrIfEEEENSB_INSC_IiEEEEfNS9_4plusIvEEfEEDaPvRmT3_T4_T5_mT6_P12ihipStream_tbENKUlT_T0_E_clISt17integral_constantIbLb0EESV_IbLb1EEEEDaSR_SS_EUlSR_E_NS1_11comp_targetILNS1_3genE10ELNS1_11target_archE1200ELNS1_3gpuE4ELNS1_3repE0EEENS1_30default_config_static_selectorELNS0_4arch9wavefront6targetE1EEEvT1_
; %bb.0:
	.section	.rodata,"a",@progbits
	.p2align	6, 0x0
	.amdhsa_kernel _ZN7rocprim17ROCPRIM_400000_NS6detail17trampoline_kernelINS0_14default_configENS1_20scan_config_selectorIfEEZZNS1_9scan_implILNS1_25lookback_scan_determinismE0ELb0ELb0ES3_N6thrust23THRUST_200600_302600_NS6detail15normal_iteratorINS9_10device_ptrIfEEEENSB_INSC_IiEEEEfNS9_4plusIvEEfEEDaPvRmT3_T4_T5_mT6_P12ihipStream_tbENKUlT_T0_E_clISt17integral_constantIbLb0EESV_IbLb1EEEEDaSR_SS_EUlSR_E_NS1_11comp_targetILNS1_3genE10ELNS1_11target_archE1200ELNS1_3gpuE4ELNS1_3repE0EEENS1_30default_config_static_selectorELNS0_4arch9wavefront6targetE1EEEvT1_
		.amdhsa_group_segment_fixed_size 0
		.amdhsa_private_segment_fixed_size 0
		.amdhsa_kernarg_size 96
		.amdhsa_user_sgpr_count 6
		.amdhsa_user_sgpr_private_segment_buffer 1
		.amdhsa_user_sgpr_dispatch_ptr 0
		.amdhsa_user_sgpr_queue_ptr 0
		.amdhsa_user_sgpr_kernarg_segment_ptr 1
		.amdhsa_user_sgpr_dispatch_id 0
		.amdhsa_user_sgpr_flat_scratch_init 0
		.amdhsa_user_sgpr_kernarg_preload_length 0
		.amdhsa_user_sgpr_kernarg_preload_offset 0
		.amdhsa_user_sgpr_private_segment_size 0
		.amdhsa_uses_dynamic_stack 0
		.amdhsa_system_sgpr_private_segment_wavefront_offset 0
		.amdhsa_system_sgpr_workgroup_id_x 1
		.amdhsa_system_sgpr_workgroup_id_y 0
		.amdhsa_system_sgpr_workgroup_id_z 0
		.amdhsa_system_sgpr_workgroup_info 0
		.amdhsa_system_vgpr_workitem_id 0
		.amdhsa_next_free_vgpr 1
		.amdhsa_next_free_sgpr 0
		.amdhsa_accum_offset 4
		.amdhsa_reserve_vcc 0
		.amdhsa_reserve_flat_scratch 0
		.amdhsa_float_round_mode_32 0
		.amdhsa_float_round_mode_16_64 0
		.amdhsa_float_denorm_mode_32 3
		.amdhsa_float_denorm_mode_16_64 3
		.amdhsa_dx10_clamp 1
		.amdhsa_ieee_mode 1
		.amdhsa_fp16_overflow 0
		.amdhsa_tg_split 0
		.amdhsa_exception_fp_ieee_invalid_op 0
		.amdhsa_exception_fp_denorm_src 0
		.amdhsa_exception_fp_ieee_div_zero 0
		.amdhsa_exception_fp_ieee_overflow 0
		.amdhsa_exception_fp_ieee_underflow 0
		.amdhsa_exception_fp_ieee_inexact 0
		.amdhsa_exception_int_div_zero 0
	.end_amdhsa_kernel
	.section	.text._ZN7rocprim17ROCPRIM_400000_NS6detail17trampoline_kernelINS0_14default_configENS1_20scan_config_selectorIfEEZZNS1_9scan_implILNS1_25lookback_scan_determinismE0ELb0ELb0ES3_N6thrust23THRUST_200600_302600_NS6detail15normal_iteratorINS9_10device_ptrIfEEEENSB_INSC_IiEEEEfNS9_4plusIvEEfEEDaPvRmT3_T4_T5_mT6_P12ihipStream_tbENKUlT_T0_E_clISt17integral_constantIbLb0EESV_IbLb1EEEEDaSR_SS_EUlSR_E_NS1_11comp_targetILNS1_3genE10ELNS1_11target_archE1200ELNS1_3gpuE4ELNS1_3repE0EEENS1_30default_config_static_selectorELNS0_4arch9wavefront6targetE1EEEvT1_,"axG",@progbits,_ZN7rocprim17ROCPRIM_400000_NS6detail17trampoline_kernelINS0_14default_configENS1_20scan_config_selectorIfEEZZNS1_9scan_implILNS1_25lookback_scan_determinismE0ELb0ELb0ES3_N6thrust23THRUST_200600_302600_NS6detail15normal_iteratorINS9_10device_ptrIfEEEENSB_INSC_IiEEEEfNS9_4plusIvEEfEEDaPvRmT3_T4_T5_mT6_P12ihipStream_tbENKUlT_T0_E_clISt17integral_constantIbLb0EESV_IbLb1EEEEDaSR_SS_EUlSR_E_NS1_11comp_targetILNS1_3genE10ELNS1_11target_archE1200ELNS1_3gpuE4ELNS1_3repE0EEENS1_30default_config_static_selectorELNS0_4arch9wavefront6targetE1EEEvT1_,comdat
.Lfunc_end1484:
	.size	_ZN7rocprim17ROCPRIM_400000_NS6detail17trampoline_kernelINS0_14default_configENS1_20scan_config_selectorIfEEZZNS1_9scan_implILNS1_25lookback_scan_determinismE0ELb0ELb0ES3_N6thrust23THRUST_200600_302600_NS6detail15normal_iteratorINS9_10device_ptrIfEEEENSB_INSC_IiEEEEfNS9_4plusIvEEfEEDaPvRmT3_T4_T5_mT6_P12ihipStream_tbENKUlT_T0_E_clISt17integral_constantIbLb0EESV_IbLb1EEEEDaSR_SS_EUlSR_E_NS1_11comp_targetILNS1_3genE10ELNS1_11target_archE1200ELNS1_3gpuE4ELNS1_3repE0EEENS1_30default_config_static_selectorELNS0_4arch9wavefront6targetE1EEEvT1_, .Lfunc_end1484-_ZN7rocprim17ROCPRIM_400000_NS6detail17trampoline_kernelINS0_14default_configENS1_20scan_config_selectorIfEEZZNS1_9scan_implILNS1_25lookback_scan_determinismE0ELb0ELb0ES3_N6thrust23THRUST_200600_302600_NS6detail15normal_iteratorINS9_10device_ptrIfEEEENSB_INSC_IiEEEEfNS9_4plusIvEEfEEDaPvRmT3_T4_T5_mT6_P12ihipStream_tbENKUlT_T0_E_clISt17integral_constantIbLb0EESV_IbLb1EEEEDaSR_SS_EUlSR_E_NS1_11comp_targetILNS1_3genE10ELNS1_11target_archE1200ELNS1_3gpuE4ELNS1_3repE0EEENS1_30default_config_static_selectorELNS0_4arch9wavefront6targetE1EEEvT1_
                                        ; -- End function
	.section	.AMDGPU.csdata,"",@progbits
; Kernel info:
; codeLenInByte = 0
; NumSgprs: 4
; NumVgprs: 0
; NumAgprs: 0
; TotalNumVgprs: 0
; ScratchSize: 0
; MemoryBound: 0
; FloatMode: 240
; IeeeMode: 1
; LDSByteSize: 0 bytes/workgroup (compile time only)
; SGPRBlocks: 0
; VGPRBlocks: 0
; NumSGPRsForWavesPerEU: 4
; NumVGPRsForWavesPerEU: 1
; AccumOffset: 4
; Occupancy: 8
; WaveLimiterHint : 0
; COMPUTE_PGM_RSRC2:SCRATCH_EN: 0
; COMPUTE_PGM_RSRC2:USER_SGPR: 6
; COMPUTE_PGM_RSRC2:TRAP_HANDLER: 0
; COMPUTE_PGM_RSRC2:TGID_X_EN: 1
; COMPUTE_PGM_RSRC2:TGID_Y_EN: 0
; COMPUTE_PGM_RSRC2:TGID_Z_EN: 0
; COMPUTE_PGM_RSRC2:TIDIG_COMP_CNT: 0
; COMPUTE_PGM_RSRC3_GFX90A:ACCUM_OFFSET: 0
; COMPUTE_PGM_RSRC3_GFX90A:TG_SPLIT: 0
	.section	.text._ZN7rocprim17ROCPRIM_400000_NS6detail17trampoline_kernelINS0_14default_configENS1_20scan_config_selectorIfEEZZNS1_9scan_implILNS1_25lookback_scan_determinismE0ELb0ELb0ES3_N6thrust23THRUST_200600_302600_NS6detail15normal_iteratorINS9_10device_ptrIfEEEENSB_INSC_IiEEEEfNS9_4plusIvEEfEEDaPvRmT3_T4_T5_mT6_P12ihipStream_tbENKUlT_T0_E_clISt17integral_constantIbLb0EESV_IbLb1EEEEDaSR_SS_EUlSR_E_NS1_11comp_targetILNS1_3genE9ELNS1_11target_archE1100ELNS1_3gpuE3ELNS1_3repE0EEENS1_30default_config_static_selectorELNS0_4arch9wavefront6targetE1EEEvT1_,"axG",@progbits,_ZN7rocprim17ROCPRIM_400000_NS6detail17trampoline_kernelINS0_14default_configENS1_20scan_config_selectorIfEEZZNS1_9scan_implILNS1_25lookback_scan_determinismE0ELb0ELb0ES3_N6thrust23THRUST_200600_302600_NS6detail15normal_iteratorINS9_10device_ptrIfEEEENSB_INSC_IiEEEEfNS9_4plusIvEEfEEDaPvRmT3_T4_T5_mT6_P12ihipStream_tbENKUlT_T0_E_clISt17integral_constantIbLb0EESV_IbLb1EEEEDaSR_SS_EUlSR_E_NS1_11comp_targetILNS1_3genE9ELNS1_11target_archE1100ELNS1_3gpuE3ELNS1_3repE0EEENS1_30default_config_static_selectorELNS0_4arch9wavefront6targetE1EEEvT1_,comdat
	.protected	_ZN7rocprim17ROCPRIM_400000_NS6detail17trampoline_kernelINS0_14default_configENS1_20scan_config_selectorIfEEZZNS1_9scan_implILNS1_25lookback_scan_determinismE0ELb0ELb0ES3_N6thrust23THRUST_200600_302600_NS6detail15normal_iteratorINS9_10device_ptrIfEEEENSB_INSC_IiEEEEfNS9_4plusIvEEfEEDaPvRmT3_T4_T5_mT6_P12ihipStream_tbENKUlT_T0_E_clISt17integral_constantIbLb0EESV_IbLb1EEEEDaSR_SS_EUlSR_E_NS1_11comp_targetILNS1_3genE9ELNS1_11target_archE1100ELNS1_3gpuE3ELNS1_3repE0EEENS1_30default_config_static_selectorELNS0_4arch9wavefront6targetE1EEEvT1_ ; -- Begin function _ZN7rocprim17ROCPRIM_400000_NS6detail17trampoline_kernelINS0_14default_configENS1_20scan_config_selectorIfEEZZNS1_9scan_implILNS1_25lookback_scan_determinismE0ELb0ELb0ES3_N6thrust23THRUST_200600_302600_NS6detail15normal_iteratorINS9_10device_ptrIfEEEENSB_INSC_IiEEEEfNS9_4plusIvEEfEEDaPvRmT3_T4_T5_mT6_P12ihipStream_tbENKUlT_T0_E_clISt17integral_constantIbLb0EESV_IbLb1EEEEDaSR_SS_EUlSR_E_NS1_11comp_targetILNS1_3genE9ELNS1_11target_archE1100ELNS1_3gpuE3ELNS1_3repE0EEENS1_30default_config_static_selectorELNS0_4arch9wavefront6targetE1EEEvT1_
	.globl	_ZN7rocprim17ROCPRIM_400000_NS6detail17trampoline_kernelINS0_14default_configENS1_20scan_config_selectorIfEEZZNS1_9scan_implILNS1_25lookback_scan_determinismE0ELb0ELb0ES3_N6thrust23THRUST_200600_302600_NS6detail15normal_iteratorINS9_10device_ptrIfEEEENSB_INSC_IiEEEEfNS9_4plusIvEEfEEDaPvRmT3_T4_T5_mT6_P12ihipStream_tbENKUlT_T0_E_clISt17integral_constantIbLb0EESV_IbLb1EEEEDaSR_SS_EUlSR_E_NS1_11comp_targetILNS1_3genE9ELNS1_11target_archE1100ELNS1_3gpuE3ELNS1_3repE0EEENS1_30default_config_static_selectorELNS0_4arch9wavefront6targetE1EEEvT1_
	.p2align	8
	.type	_ZN7rocprim17ROCPRIM_400000_NS6detail17trampoline_kernelINS0_14default_configENS1_20scan_config_selectorIfEEZZNS1_9scan_implILNS1_25lookback_scan_determinismE0ELb0ELb0ES3_N6thrust23THRUST_200600_302600_NS6detail15normal_iteratorINS9_10device_ptrIfEEEENSB_INSC_IiEEEEfNS9_4plusIvEEfEEDaPvRmT3_T4_T5_mT6_P12ihipStream_tbENKUlT_T0_E_clISt17integral_constantIbLb0EESV_IbLb1EEEEDaSR_SS_EUlSR_E_NS1_11comp_targetILNS1_3genE9ELNS1_11target_archE1100ELNS1_3gpuE3ELNS1_3repE0EEENS1_30default_config_static_selectorELNS0_4arch9wavefront6targetE1EEEvT1_,@function
_ZN7rocprim17ROCPRIM_400000_NS6detail17trampoline_kernelINS0_14default_configENS1_20scan_config_selectorIfEEZZNS1_9scan_implILNS1_25lookback_scan_determinismE0ELb0ELb0ES3_N6thrust23THRUST_200600_302600_NS6detail15normal_iteratorINS9_10device_ptrIfEEEENSB_INSC_IiEEEEfNS9_4plusIvEEfEEDaPvRmT3_T4_T5_mT6_P12ihipStream_tbENKUlT_T0_E_clISt17integral_constantIbLb0EESV_IbLb1EEEEDaSR_SS_EUlSR_E_NS1_11comp_targetILNS1_3genE9ELNS1_11target_archE1100ELNS1_3gpuE3ELNS1_3repE0EEENS1_30default_config_static_selectorELNS0_4arch9wavefront6targetE1EEEvT1_: ; @_ZN7rocprim17ROCPRIM_400000_NS6detail17trampoline_kernelINS0_14default_configENS1_20scan_config_selectorIfEEZZNS1_9scan_implILNS1_25lookback_scan_determinismE0ELb0ELb0ES3_N6thrust23THRUST_200600_302600_NS6detail15normal_iteratorINS9_10device_ptrIfEEEENSB_INSC_IiEEEEfNS9_4plusIvEEfEEDaPvRmT3_T4_T5_mT6_P12ihipStream_tbENKUlT_T0_E_clISt17integral_constantIbLb0EESV_IbLb1EEEEDaSR_SS_EUlSR_E_NS1_11comp_targetILNS1_3genE9ELNS1_11target_archE1100ELNS1_3gpuE3ELNS1_3repE0EEENS1_30default_config_static_selectorELNS0_4arch9wavefront6targetE1EEEvT1_
; %bb.0:
	.section	.rodata,"a",@progbits
	.p2align	6, 0x0
	.amdhsa_kernel _ZN7rocprim17ROCPRIM_400000_NS6detail17trampoline_kernelINS0_14default_configENS1_20scan_config_selectorIfEEZZNS1_9scan_implILNS1_25lookback_scan_determinismE0ELb0ELb0ES3_N6thrust23THRUST_200600_302600_NS6detail15normal_iteratorINS9_10device_ptrIfEEEENSB_INSC_IiEEEEfNS9_4plusIvEEfEEDaPvRmT3_T4_T5_mT6_P12ihipStream_tbENKUlT_T0_E_clISt17integral_constantIbLb0EESV_IbLb1EEEEDaSR_SS_EUlSR_E_NS1_11comp_targetILNS1_3genE9ELNS1_11target_archE1100ELNS1_3gpuE3ELNS1_3repE0EEENS1_30default_config_static_selectorELNS0_4arch9wavefront6targetE1EEEvT1_
		.amdhsa_group_segment_fixed_size 0
		.amdhsa_private_segment_fixed_size 0
		.amdhsa_kernarg_size 96
		.amdhsa_user_sgpr_count 6
		.amdhsa_user_sgpr_private_segment_buffer 1
		.amdhsa_user_sgpr_dispatch_ptr 0
		.amdhsa_user_sgpr_queue_ptr 0
		.amdhsa_user_sgpr_kernarg_segment_ptr 1
		.amdhsa_user_sgpr_dispatch_id 0
		.amdhsa_user_sgpr_flat_scratch_init 0
		.amdhsa_user_sgpr_kernarg_preload_length 0
		.amdhsa_user_sgpr_kernarg_preload_offset 0
		.amdhsa_user_sgpr_private_segment_size 0
		.amdhsa_uses_dynamic_stack 0
		.amdhsa_system_sgpr_private_segment_wavefront_offset 0
		.amdhsa_system_sgpr_workgroup_id_x 1
		.amdhsa_system_sgpr_workgroup_id_y 0
		.amdhsa_system_sgpr_workgroup_id_z 0
		.amdhsa_system_sgpr_workgroup_info 0
		.amdhsa_system_vgpr_workitem_id 0
		.amdhsa_next_free_vgpr 1
		.amdhsa_next_free_sgpr 0
		.amdhsa_accum_offset 4
		.amdhsa_reserve_vcc 0
		.amdhsa_reserve_flat_scratch 0
		.amdhsa_float_round_mode_32 0
		.amdhsa_float_round_mode_16_64 0
		.amdhsa_float_denorm_mode_32 3
		.amdhsa_float_denorm_mode_16_64 3
		.amdhsa_dx10_clamp 1
		.amdhsa_ieee_mode 1
		.amdhsa_fp16_overflow 0
		.amdhsa_tg_split 0
		.amdhsa_exception_fp_ieee_invalid_op 0
		.amdhsa_exception_fp_denorm_src 0
		.amdhsa_exception_fp_ieee_div_zero 0
		.amdhsa_exception_fp_ieee_overflow 0
		.amdhsa_exception_fp_ieee_underflow 0
		.amdhsa_exception_fp_ieee_inexact 0
		.amdhsa_exception_int_div_zero 0
	.end_amdhsa_kernel
	.section	.text._ZN7rocprim17ROCPRIM_400000_NS6detail17trampoline_kernelINS0_14default_configENS1_20scan_config_selectorIfEEZZNS1_9scan_implILNS1_25lookback_scan_determinismE0ELb0ELb0ES3_N6thrust23THRUST_200600_302600_NS6detail15normal_iteratorINS9_10device_ptrIfEEEENSB_INSC_IiEEEEfNS9_4plusIvEEfEEDaPvRmT3_T4_T5_mT6_P12ihipStream_tbENKUlT_T0_E_clISt17integral_constantIbLb0EESV_IbLb1EEEEDaSR_SS_EUlSR_E_NS1_11comp_targetILNS1_3genE9ELNS1_11target_archE1100ELNS1_3gpuE3ELNS1_3repE0EEENS1_30default_config_static_selectorELNS0_4arch9wavefront6targetE1EEEvT1_,"axG",@progbits,_ZN7rocprim17ROCPRIM_400000_NS6detail17trampoline_kernelINS0_14default_configENS1_20scan_config_selectorIfEEZZNS1_9scan_implILNS1_25lookback_scan_determinismE0ELb0ELb0ES3_N6thrust23THRUST_200600_302600_NS6detail15normal_iteratorINS9_10device_ptrIfEEEENSB_INSC_IiEEEEfNS9_4plusIvEEfEEDaPvRmT3_T4_T5_mT6_P12ihipStream_tbENKUlT_T0_E_clISt17integral_constantIbLb0EESV_IbLb1EEEEDaSR_SS_EUlSR_E_NS1_11comp_targetILNS1_3genE9ELNS1_11target_archE1100ELNS1_3gpuE3ELNS1_3repE0EEENS1_30default_config_static_selectorELNS0_4arch9wavefront6targetE1EEEvT1_,comdat
.Lfunc_end1485:
	.size	_ZN7rocprim17ROCPRIM_400000_NS6detail17trampoline_kernelINS0_14default_configENS1_20scan_config_selectorIfEEZZNS1_9scan_implILNS1_25lookback_scan_determinismE0ELb0ELb0ES3_N6thrust23THRUST_200600_302600_NS6detail15normal_iteratorINS9_10device_ptrIfEEEENSB_INSC_IiEEEEfNS9_4plusIvEEfEEDaPvRmT3_T4_T5_mT6_P12ihipStream_tbENKUlT_T0_E_clISt17integral_constantIbLb0EESV_IbLb1EEEEDaSR_SS_EUlSR_E_NS1_11comp_targetILNS1_3genE9ELNS1_11target_archE1100ELNS1_3gpuE3ELNS1_3repE0EEENS1_30default_config_static_selectorELNS0_4arch9wavefront6targetE1EEEvT1_, .Lfunc_end1485-_ZN7rocprim17ROCPRIM_400000_NS6detail17trampoline_kernelINS0_14default_configENS1_20scan_config_selectorIfEEZZNS1_9scan_implILNS1_25lookback_scan_determinismE0ELb0ELb0ES3_N6thrust23THRUST_200600_302600_NS6detail15normal_iteratorINS9_10device_ptrIfEEEENSB_INSC_IiEEEEfNS9_4plusIvEEfEEDaPvRmT3_T4_T5_mT6_P12ihipStream_tbENKUlT_T0_E_clISt17integral_constantIbLb0EESV_IbLb1EEEEDaSR_SS_EUlSR_E_NS1_11comp_targetILNS1_3genE9ELNS1_11target_archE1100ELNS1_3gpuE3ELNS1_3repE0EEENS1_30default_config_static_selectorELNS0_4arch9wavefront6targetE1EEEvT1_
                                        ; -- End function
	.section	.AMDGPU.csdata,"",@progbits
; Kernel info:
; codeLenInByte = 0
; NumSgprs: 4
; NumVgprs: 0
; NumAgprs: 0
; TotalNumVgprs: 0
; ScratchSize: 0
; MemoryBound: 0
; FloatMode: 240
; IeeeMode: 1
; LDSByteSize: 0 bytes/workgroup (compile time only)
; SGPRBlocks: 0
; VGPRBlocks: 0
; NumSGPRsForWavesPerEU: 4
; NumVGPRsForWavesPerEU: 1
; AccumOffset: 4
; Occupancy: 8
; WaveLimiterHint : 0
; COMPUTE_PGM_RSRC2:SCRATCH_EN: 0
; COMPUTE_PGM_RSRC2:USER_SGPR: 6
; COMPUTE_PGM_RSRC2:TRAP_HANDLER: 0
; COMPUTE_PGM_RSRC2:TGID_X_EN: 1
; COMPUTE_PGM_RSRC2:TGID_Y_EN: 0
; COMPUTE_PGM_RSRC2:TGID_Z_EN: 0
; COMPUTE_PGM_RSRC2:TIDIG_COMP_CNT: 0
; COMPUTE_PGM_RSRC3_GFX90A:ACCUM_OFFSET: 0
; COMPUTE_PGM_RSRC3_GFX90A:TG_SPLIT: 0
	.section	.text._ZN7rocprim17ROCPRIM_400000_NS6detail17trampoline_kernelINS0_14default_configENS1_20scan_config_selectorIfEEZZNS1_9scan_implILNS1_25lookback_scan_determinismE0ELb0ELb0ES3_N6thrust23THRUST_200600_302600_NS6detail15normal_iteratorINS9_10device_ptrIfEEEENSB_INSC_IiEEEEfNS9_4plusIvEEfEEDaPvRmT3_T4_T5_mT6_P12ihipStream_tbENKUlT_T0_E_clISt17integral_constantIbLb0EESV_IbLb1EEEEDaSR_SS_EUlSR_E_NS1_11comp_targetILNS1_3genE8ELNS1_11target_archE1030ELNS1_3gpuE2ELNS1_3repE0EEENS1_30default_config_static_selectorELNS0_4arch9wavefront6targetE1EEEvT1_,"axG",@progbits,_ZN7rocprim17ROCPRIM_400000_NS6detail17trampoline_kernelINS0_14default_configENS1_20scan_config_selectorIfEEZZNS1_9scan_implILNS1_25lookback_scan_determinismE0ELb0ELb0ES3_N6thrust23THRUST_200600_302600_NS6detail15normal_iteratorINS9_10device_ptrIfEEEENSB_INSC_IiEEEEfNS9_4plusIvEEfEEDaPvRmT3_T4_T5_mT6_P12ihipStream_tbENKUlT_T0_E_clISt17integral_constantIbLb0EESV_IbLb1EEEEDaSR_SS_EUlSR_E_NS1_11comp_targetILNS1_3genE8ELNS1_11target_archE1030ELNS1_3gpuE2ELNS1_3repE0EEENS1_30default_config_static_selectorELNS0_4arch9wavefront6targetE1EEEvT1_,comdat
	.protected	_ZN7rocprim17ROCPRIM_400000_NS6detail17trampoline_kernelINS0_14default_configENS1_20scan_config_selectorIfEEZZNS1_9scan_implILNS1_25lookback_scan_determinismE0ELb0ELb0ES3_N6thrust23THRUST_200600_302600_NS6detail15normal_iteratorINS9_10device_ptrIfEEEENSB_INSC_IiEEEEfNS9_4plusIvEEfEEDaPvRmT3_T4_T5_mT6_P12ihipStream_tbENKUlT_T0_E_clISt17integral_constantIbLb0EESV_IbLb1EEEEDaSR_SS_EUlSR_E_NS1_11comp_targetILNS1_3genE8ELNS1_11target_archE1030ELNS1_3gpuE2ELNS1_3repE0EEENS1_30default_config_static_selectorELNS0_4arch9wavefront6targetE1EEEvT1_ ; -- Begin function _ZN7rocprim17ROCPRIM_400000_NS6detail17trampoline_kernelINS0_14default_configENS1_20scan_config_selectorIfEEZZNS1_9scan_implILNS1_25lookback_scan_determinismE0ELb0ELb0ES3_N6thrust23THRUST_200600_302600_NS6detail15normal_iteratorINS9_10device_ptrIfEEEENSB_INSC_IiEEEEfNS9_4plusIvEEfEEDaPvRmT3_T4_T5_mT6_P12ihipStream_tbENKUlT_T0_E_clISt17integral_constantIbLb0EESV_IbLb1EEEEDaSR_SS_EUlSR_E_NS1_11comp_targetILNS1_3genE8ELNS1_11target_archE1030ELNS1_3gpuE2ELNS1_3repE0EEENS1_30default_config_static_selectorELNS0_4arch9wavefront6targetE1EEEvT1_
	.globl	_ZN7rocprim17ROCPRIM_400000_NS6detail17trampoline_kernelINS0_14default_configENS1_20scan_config_selectorIfEEZZNS1_9scan_implILNS1_25lookback_scan_determinismE0ELb0ELb0ES3_N6thrust23THRUST_200600_302600_NS6detail15normal_iteratorINS9_10device_ptrIfEEEENSB_INSC_IiEEEEfNS9_4plusIvEEfEEDaPvRmT3_T4_T5_mT6_P12ihipStream_tbENKUlT_T0_E_clISt17integral_constantIbLb0EESV_IbLb1EEEEDaSR_SS_EUlSR_E_NS1_11comp_targetILNS1_3genE8ELNS1_11target_archE1030ELNS1_3gpuE2ELNS1_3repE0EEENS1_30default_config_static_selectorELNS0_4arch9wavefront6targetE1EEEvT1_
	.p2align	8
	.type	_ZN7rocprim17ROCPRIM_400000_NS6detail17trampoline_kernelINS0_14default_configENS1_20scan_config_selectorIfEEZZNS1_9scan_implILNS1_25lookback_scan_determinismE0ELb0ELb0ES3_N6thrust23THRUST_200600_302600_NS6detail15normal_iteratorINS9_10device_ptrIfEEEENSB_INSC_IiEEEEfNS9_4plusIvEEfEEDaPvRmT3_T4_T5_mT6_P12ihipStream_tbENKUlT_T0_E_clISt17integral_constantIbLb0EESV_IbLb1EEEEDaSR_SS_EUlSR_E_NS1_11comp_targetILNS1_3genE8ELNS1_11target_archE1030ELNS1_3gpuE2ELNS1_3repE0EEENS1_30default_config_static_selectorELNS0_4arch9wavefront6targetE1EEEvT1_,@function
_ZN7rocprim17ROCPRIM_400000_NS6detail17trampoline_kernelINS0_14default_configENS1_20scan_config_selectorIfEEZZNS1_9scan_implILNS1_25lookback_scan_determinismE0ELb0ELb0ES3_N6thrust23THRUST_200600_302600_NS6detail15normal_iteratorINS9_10device_ptrIfEEEENSB_INSC_IiEEEEfNS9_4plusIvEEfEEDaPvRmT3_T4_T5_mT6_P12ihipStream_tbENKUlT_T0_E_clISt17integral_constantIbLb0EESV_IbLb1EEEEDaSR_SS_EUlSR_E_NS1_11comp_targetILNS1_3genE8ELNS1_11target_archE1030ELNS1_3gpuE2ELNS1_3repE0EEENS1_30default_config_static_selectorELNS0_4arch9wavefront6targetE1EEEvT1_: ; @_ZN7rocprim17ROCPRIM_400000_NS6detail17trampoline_kernelINS0_14default_configENS1_20scan_config_selectorIfEEZZNS1_9scan_implILNS1_25lookback_scan_determinismE0ELb0ELb0ES3_N6thrust23THRUST_200600_302600_NS6detail15normal_iteratorINS9_10device_ptrIfEEEENSB_INSC_IiEEEEfNS9_4plusIvEEfEEDaPvRmT3_T4_T5_mT6_P12ihipStream_tbENKUlT_T0_E_clISt17integral_constantIbLb0EESV_IbLb1EEEEDaSR_SS_EUlSR_E_NS1_11comp_targetILNS1_3genE8ELNS1_11target_archE1030ELNS1_3gpuE2ELNS1_3repE0EEENS1_30default_config_static_selectorELNS0_4arch9wavefront6targetE1EEEvT1_
; %bb.0:
	.section	.rodata,"a",@progbits
	.p2align	6, 0x0
	.amdhsa_kernel _ZN7rocprim17ROCPRIM_400000_NS6detail17trampoline_kernelINS0_14default_configENS1_20scan_config_selectorIfEEZZNS1_9scan_implILNS1_25lookback_scan_determinismE0ELb0ELb0ES3_N6thrust23THRUST_200600_302600_NS6detail15normal_iteratorINS9_10device_ptrIfEEEENSB_INSC_IiEEEEfNS9_4plusIvEEfEEDaPvRmT3_T4_T5_mT6_P12ihipStream_tbENKUlT_T0_E_clISt17integral_constantIbLb0EESV_IbLb1EEEEDaSR_SS_EUlSR_E_NS1_11comp_targetILNS1_3genE8ELNS1_11target_archE1030ELNS1_3gpuE2ELNS1_3repE0EEENS1_30default_config_static_selectorELNS0_4arch9wavefront6targetE1EEEvT1_
		.amdhsa_group_segment_fixed_size 0
		.amdhsa_private_segment_fixed_size 0
		.amdhsa_kernarg_size 96
		.amdhsa_user_sgpr_count 6
		.amdhsa_user_sgpr_private_segment_buffer 1
		.amdhsa_user_sgpr_dispatch_ptr 0
		.amdhsa_user_sgpr_queue_ptr 0
		.amdhsa_user_sgpr_kernarg_segment_ptr 1
		.amdhsa_user_sgpr_dispatch_id 0
		.amdhsa_user_sgpr_flat_scratch_init 0
		.amdhsa_user_sgpr_kernarg_preload_length 0
		.amdhsa_user_sgpr_kernarg_preload_offset 0
		.amdhsa_user_sgpr_private_segment_size 0
		.amdhsa_uses_dynamic_stack 0
		.amdhsa_system_sgpr_private_segment_wavefront_offset 0
		.amdhsa_system_sgpr_workgroup_id_x 1
		.amdhsa_system_sgpr_workgroup_id_y 0
		.amdhsa_system_sgpr_workgroup_id_z 0
		.amdhsa_system_sgpr_workgroup_info 0
		.amdhsa_system_vgpr_workitem_id 0
		.amdhsa_next_free_vgpr 1
		.amdhsa_next_free_sgpr 0
		.amdhsa_accum_offset 4
		.amdhsa_reserve_vcc 0
		.amdhsa_reserve_flat_scratch 0
		.amdhsa_float_round_mode_32 0
		.amdhsa_float_round_mode_16_64 0
		.amdhsa_float_denorm_mode_32 3
		.amdhsa_float_denorm_mode_16_64 3
		.amdhsa_dx10_clamp 1
		.amdhsa_ieee_mode 1
		.amdhsa_fp16_overflow 0
		.amdhsa_tg_split 0
		.amdhsa_exception_fp_ieee_invalid_op 0
		.amdhsa_exception_fp_denorm_src 0
		.amdhsa_exception_fp_ieee_div_zero 0
		.amdhsa_exception_fp_ieee_overflow 0
		.amdhsa_exception_fp_ieee_underflow 0
		.amdhsa_exception_fp_ieee_inexact 0
		.amdhsa_exception_int_div_zero 0
	.end_amdhsa_kernel
	.section	.text._ZN7rocprim17ROCPRIM_400000_NS6detail17trampoline_kernelINS0_14default_configENS1_20scan_config_selectorIfEEZZNS1_9scan_implILNS1_25lookback_scan_determinismE0ELb0ELb0ES3_N6thrust23THRUST_200600_302600_NS6detail15normal_iteratorINS9_10device_ptrIfEEEENSB_INSC_IiEEEEfNS9_4plusIvEEfEEDaPvRmT3_T4_T5_mT6_P12ihipStream_tbENKUlT_T0_E_clISt17integral_constantIbLb0EESV_IbLb1EEEEDaSR_SS_EUlSR_E_NS1_11comp_targetILNS1_3genE8ELNS1_11target_archE1030ELNS1_3gpuE2ELNS1_3repE0EEENS1_30default_config_static_selectorELNS0_4arch9wavefront6targetE1EEEvT1_,"axG",@progbits,_ZN7rocprim17ROCPRIM_400000_NS6detail17trampoline_kernelINS0_14default_configENS1_20scan_config_selectorIfEEZZNS1_9scan_implILNS1_25lookback_scan_determinismE0ELb0ELb0ES3_N6thrust23THRUST_200600_302600_NS6detail15normal_iteratorINS9_10device_ptrIfEEEENSB_INSC_IiEEEEfNS9_4plusIvEEfEEDaPvRmT3_T4_T5_mT6_P12ihipStream_tbENKUlT_T0_E_clISt17integral_constantIbLb0EESV_IbLb1EEEEDaSR_SS_EUlSR_E_NS1_11comp_targetILNS1_3genE8ELNS1_11target_archE1030ELNS1_3gpuE2ELNS1_3repE0EEENS1_30default_config_static_selectorELNS0_4arch9wavefront6targetE1EEEvT1_,comdat
.Lfunc_end1486:
	.size	_ZN7rocprim17ROCPRIM_400000_NS6detail17trampoline_kernelINS0_14default_configENS1_20scan_config_selectorIfEEZZNS1_9scan_implILNS1_25lookback_scan_determinismE0ELb0ELb0ES3_N6thrust23THRUST_200600_302600_NS6detail15normal_iteratorINS9_10device_ptrIfEEEENSB_INSC_IiEEEEfNS9_4plusIvEEfEEDaPvRmT3_T4_T5_mT6_P12ihipStream_tbENKUlT_T0_E_clISt17integral_constantIbLb0EESV_IbLb1EEEEDaSR_SS_EUlSR_E_NS1_11comp_targetILNS1_3genE8ELNS1_11target_archE1030ELNS1_3gpuE2ELNS1_3repE0EEENS1_30default_config_static_selectorELNS0_4arch9wavefront6targetE1EEEvT1_, .Lfunc_end1486-_ZN7rocprim17ROCPRIM_400000_NS6detail17trampoline_kernelINS0_14default_configENS1_20scan_config_selectorIfEEZZNS1_9scan_implILNS1_25lookback_scan_determinismE0ELb0ELb0ES3_N6thrust23THRUST_200600_302600_NS6detail15normal_iteratorINS9_10device_ptrIfEEEENSB_INSC_IiEEEEfNS9_4plusIvEEfEEDaPvRmT3_T4_T5_mT6_P12ihipStream_tbENKUlT_T0_E_clISt17integral_constantIbLb0EESV_IbLb1EEEEDaSR_SS_EUlSR_E_NS1_11comp_targetILNS1_3genE8ELNS1_11target_archE1030ELNS1_3gpuE2ELNS1_3repE0EEENS1_30default_config_static_selectorELNS0_4arch9wavefront6targetE1EEEvT1_
                                        ; -- End function
	.section	.AMDGPU.csdata,"",@progbits
; Kernel info:
; codeLenInByte = 0
; NumSgprs: 4
; NumVgprs: 0
; NumAgprs: 0
; TotalNumVgprs: 0
; ScratchSize: 0
; MemoryBound: 0
; FloatMode: 240
; IeeeMode: 1
; LDSByteSize: 0 bytes/workgroup (compile time only)
; SGPRBlocks: 0
; VGPRBlocks: 0
; NumSGPRsForWavesPerEU: 4
; NumVGPRsForWavesPerEU: 1
; AccumOffset: 4
; Occupancy: 8
; WaveLimiterHint : 0
; COMPUTE_PGM_RSRC2:SCRATCH_EN: 0
; COMPUTE_PGM_RSRC2:USER_SGPR: 6
; COMPUTE_PGM_RSRC2:TRAP_HANDLER: 0
; COMPUTE_PGM_RSRC2:TGID_X_EN: 1
; COMPUTE_PGM_RSRC2:TGID_Y_EN: 0
; COMPUTE_PGM_RSRC2:TGID_Z_EN: 0
; COMPUTE_PGM_RSRC2:TIDIG_COMP_CNT: 0
; COMPUTE_PGM_RSRC3_GFX90A:ACCUM_OFFSET: 0
; COMPUTE_PGM_RSRC3_GFX90A:TG_SPLIT: 0
	.section	.text._ZN7rocprim17ROCPRIM_400000_NS6detail17trampoline_kernelINS0_14default_configENS1_20scan_config_selectorIfEEZZNS1_9scan_implILNS1_25lookback_scan_determinismE0ELb0ELb0ES3_N6thrust23THRUST_200600_302600_NS6detail15normal_iteratorINS9_10device_ptrIfEEEENSB_INSC_IiEEEEfNS9_4plusIvEEfEEDaPvRmT3_T4_T5_mT6_P12ihipStream_tbENKUlT_T0_E_clISt17integral_constantIbLb0EESV_IbLb1EEEEDaSR_SS_EUlSR_E0_NS1_11comp_targetILNS1_3genE0ELNS1_11target_archE4294967295ELNS1_3gpuE0ELNS1_3repE0EEENS1_30default_config_static_selectorELNS0_4arch9wavefront6targetE1EEEvT1_,"axG",@progbits,_ZN7rocprim17ROCPRIM_400000_NS6detail17trampoline_kernelINS0_14default_configENS1_20scan_config_selectorIfEEZZNS1_9scan_implILNS1_25lookback_scan_determinismE0ELb0ELb0ES3_N6thrust23THRUST_200600_302600_NS6detail15normal_iteratorINS9_10device_ptrIfEEEENSB_INSC_IiEEEEfNS9_4plusIvEEfEEDaPvRmT3_T4_T5_mT6_P12ihipStream_tbENKUlT_T0_E_clISt17integral_constantIbLb0EESV_IbLb1EEEEDaSR_SS_EUlSR_E0_NS1_11comp_targetILNS1_3genE0ELNS1_11target_archE4294967295ELNS1_3gpuE0ELNS1_3repE0EEENS1_30default_config_static_selectorELNS0_4arch9wavefront6targetE1EEEvT1_,comdat
	.protected	_ZN7rocprim17ROCPRIM_400000_NS6detail17trampoline_kernelINS0_14default_configENS1_20scan_config_selectorIfEEZZNS1_9scan_implILNS1_25lookback_scan_determinismE0ELb0ELb0ES3_N6thrust23THRUST_200600_302600_NS6detail15normal_iteratorINS9_10device_ptrIfEEEENSB_INSC_IiEEEEfNS9_4plusIvEEfEEDaPvRmT3_T4_T5_mT6_P12ihipStream_tbENKUlT_T0_E_clISt17integral_constantIbLb0EESV_IbLb1EEEEDaSR_SS_EUlSR_E0_NS1_11comp_targetILNS1_3genE0ELNS1_11target_archE4294967295ELNS1_3gpuE0ELNS1_3repE0EEENS1_30default_config_static_selectorELNS0_4arch9wavefront6targetE1EEEvT1_ ; -- Begin function _ZN7rocprim17ROCPRIM_400000_NS6detail17trampoline_kernelINS0_14default_configENS1_20scan_config_selectorIfEEZZNS1_9scan_implILNS1_25lookback_scan_determinismE0ELb0ELb0ES3_N6thrust23THRUST_200600_302600_NS6detail15normal_iteratorINS9_10device_ptrIfEEEENSB_INSC_IiEEEEfNS9_4plusIvEEfEEDaPvRmT3_T4_T5_mT6_P12ihipStream_tbENKUlT_T0_E_clISt17integral_constantIbLb0EESV_IbLb1EEEEDaSR_SS_EUlSR_E0_NS1_11comp_targetILNS1_3genE0ELNS1_11target_archE4294967295ELNS1_3gpuE0ELNS1_3repE0EEENS1_30default_config_static_selectorELNS0_4arch9wavefront6targetE1EEEvT1_
	.globl	_ZN7rocprim17ROCPRIM_400000_NS6detail17trampoline_kernelINS0_14default_configENS1_20scan_config_selectorIfEEZZNS1_9scan_implILNS1_25lookback_scan_determinismE0ELb0ELb0ES3_N6thrust23THRUST_200600_302600_NS6detail15normal_iteratorINS9_10device_ptrIfEEEENSB_INSC_IiEEEEfNS9_4plusIvEEfEEDaPvRmT3_T4_T5_mT6_P12ihipStream_tbENKUlT_T0_E_clISt17integral_constantIbLb0EESV_IbLb1EEEEDaSR_SS_EUlSR_E0_NS1_11comp_targetILNS1_3genE0ELNS1_11target_archE4294967295ELNS1_3gpuE0ELNS1_3repE0EEENS1_30default_config_static_selectorELNS0_4arch9wavefront6targetE1EEEvT1_
	.p2align	8
	.type	_ZN7rocprim17ROCPRIM_400000_NS6detail17trampoline_kernelINS0_14default_configENS1_20scan_config_selectorIfEEZZNS1_9scan_implILNS1_25lookback_scan_determinismE0ELb0ELb0ES3_N6thrust23THRUST_200600_302600_NS6detail15normal_iteratorINS9_10device_ptrIfEEEENSB_INSC_IiEEEEfNS9_4plusIvEEfEEDaPvRmT3_T4_T5_mT6_P12ihipStream_tbENKUlT_T0_E_clISt17integral_constantIbLb0EESV_IbLb1EEEEDaSR_SS_EUlSR_E0_NS1_11comp_targetILNS1_3genE0ELNS1_11target_archE4294967295ELNS1_3gpuE0ELNS1_3repE0EEENS1_30default_config_static_selectorELNS0_4arch9wavefront6targetE1EEEvT1_,@function
_ZN7rocprim17ROCPRIM_400000_NS6detail17trampoline_kernelINS0_14default_configENS1_20scan_config_selectorIfEEZZNS1_9scan_implILNS1_25lookback_scan_determinismE0ELb0ELb0ES3_N6thrust23THRUST_200600_302600_NS6detail15normal_iteratorINS9_10device_ptrIfEEEENSB_INSC_IiEEEEfNS9_4plusIvEEfEEDaPvRmT3_T4_T5_mT6_P12ihipStream_tbENKUlT_T0_E_clISt17integral_constantIbLb0EESV_IbLb1EEEEDaSR_SS_EUlSR_E0_NS1_11comp_targetILNS1_3genE0ELNS1_11target_archE4294967295ELNS1_3gpuE0ELNS1_3repE0EEENS1_30default_config_static_selectorELNS0_4arch9wavefront6targetE1EEEvT1_: ; @_ZN7rocprim17ROCPRIM_400000_NS6detail17trampoline_kernelINS0_14default_configENS1_20scan_config_selectorIfEEZZNS1_9scan_implILNS1_25lookback_scan_determinismE0ELb0ELb0ES3_N6thrust23THRUST_200600_302600_NS6detail15normal_iteratorINS9_10device_ptrIfEEEENSB_INSC_IiEEEEfNS9_4plusIvEEfEEDaPvRmT3_T4_T5_mT6_P12ihipStream_tbENKUlT_T0_E_clISt17integral_constantIbLb0EESV_IbLb1EEEEDaSR_SS_EUlSR_E0_NS1_11comp_targetILNS1_3genE0ELNS1_11target_archE4294967295ELNS1_3gpuE0ELNS1_3repE0EEENS1_30default_config_static_selectorELNS0_4arch9wavefront6targetE1EEEvT1_
; %bb.0:
	.section	.rodata,"a",@progbits
	.p2align	6, 0x0
	.amdhsa_kernel _ZN7rocprim17ROCPRIM_400000_NS6detail17trampoline_kernelINS0_14default_configENS1_20scan_config_selectorIfEEZZNS1_9scan_implILNS1_25lookback_scan_determinismE0ELb0ELb0ES3_N6thrust23THRUST_200600_302600_NS6detail15normal_iteratorINS9_10device_ptrIfEEEENSB_INSC_IiEEEEfNS9_4plusIvEEfEEDaPvRmT3_T4_T5_mT6_P12ihipStream_tbENKUlT_T0_E_clISt17integral_constantIbLb0EESV_IbLb1EEEEDaSR_SS_EUlSR_E0_NS1_11comp_targetILNS1_3genE0ELNS1_11target_archE4294967295ELNS1_3gpuE0ELNS1_3repE0EEENS1_30default_config_static_selectorELNS0_4arch9wavefront6targetE1EEEvT1_
		.amdhsa_group_segment_fixed_size 0
		.amdhsa_private_segment_fixed_size 0
		.amdhsa_kernarg_size 32
		.amdhsa_user_sgpr_count 6
		.amdhsa_user_sgpr_private_segment_buffer 1
		.amdhsa_user_sgpr_dispatch_ptr 0
		.amdhsa_user_sgpr_queue_ptr 0
		.amdhsa_user_sgpr_kernarg_segment_ptr 1
		.amdhsa_user_sgpr_dispatch_id 0
		.amdhsa_user_sgpr_flat_scratch_init 0
		.amdhsa_user_sgpr_kernarg_preload_length 0
		.amdhsa_user_sgpr_kernarg_preload_offset 0
		.amdhsa_user_sgpr_private_segment_size 0
		.amdhsa_uses_dynamic_stack 0
		.amdhsa_system_sgpr_private_segment_wavefront_offset 0
		.amdhsa_system_sgpr_workgroup_id_x 1
		.amdhsa_system_sgpr_workgroup_id_y 0
		.amdhsa_system_sgpr_workgroup_id_z 0
		.amdhsa_system_sgpr_workgroup_info 0
		.amdhsa_system_vgpr_workitem_id 0
		.amdhsa_next_free_vgpr 1
		.amdhsa_next_free_sgpr 0
		.amdhsa_accum_offset 4
		.amdhsa_reserve_vcc 0
		.amdhsa_reserve_flat_scratch 0
		.amdhsa_float_round_mode_32 0
		.amdhsa_float_round_mode_16_64 0
		.amdhsa_float_denorm_mode_32 3
		.amdhsa_float_denorm_mode_16_64 3
		.amdhsa_dx10_clamp 1
		.amdhsa_ieee_mode 1
		.amdhsa_fp16_overflow 0
		.amdhsa_tg_split 0
		.amdhsa_exception_fp_ieee_invalid_op 0
		.amdhsa_exception_fp_denorm_src 0
		.amdhsa_exception_fp_ieee_div_zero 0
		.amdhsa_exception_fp_ieee_overflow 0
		.amdhsa_exception_fp_ieee_underflow 0
		.amdhsa_exception_fp_ieee_inexact 0
		.amdhsa_exception_int_div_zero 0
	.end_amdhsa_kernel
	.section	.text._ZN7rocprim17ROCPRIM_400000_NS6detail17trampoline_kernelINS0_14default_configENS1_20scan_config_selectorIfEEZZNS1_9scan_implILNS1_25lookback_scan_determinismE0ELb0ELb0ES3_N6thrust23THRUST_200600_302600_NS6detail15normal_iteratorINS9_10device_ptrIfEEEENSB_INSC_IiEEEEfNS9_4plusIvEEfEEDaPvRmT3_T4_T5_mT6_P12ihipStream_tbENKUlT_T0_E_clISt17integral_constantIbLb0EESV_IbLb1EEEEDaSR_SS_EUlSR_E0_NS1_11comp_targetILNS1_3genE0ELNS1_11target_archE4294967295ELNS1_3gpuE0ELNS1_3repE0EEENS1_30default_config_static_selectorELNS0_4arch9wavefront6targetE1EEEvT1_,"axG",@progbits,_ZN7rocprim17ROCPRIM_400000_NS6detail17trampoline_kernelINS0_14default_configENS1_20scan_config_selectorIfEEZZNS1_9scan_implILNS1_25lookback_scan_determinismE0ELb0ELb0ES3_N6thrust23THRUST_200600_302600_NS6detail15normal_iteratorINS9_10device_ptrIfEEEENSB_INSC_IiEEEEfNS9_4plusIvEEfEEDaPvRmT3_T4_T5_mT6_P12ihipStream_tbENKUlT_T0_E_clISt17integral_constantIbLb0EESV_IbLb1EEEEDaSR_SS_EUlSR_E0_NS1_11comp_targetILNS1_3genE0ELNS1_11target_archE4294967295ELNS1_3gpuE0ELNS1_3repE0EEENS1_30default_config_static_selectorELNS0_4arch9wavefront6targetE1EEEvT1_,comdat
.Lfunc_end1487:
	.size	_ZN7rocprim17ROCPRIM_400000_NS6detail17trampoline_kernelINS0_14default_configENS1_20scan_config_selectorIfEEZZNS1_9scan_implILNS1_25lookback_scan_determinismE0ELb0ELb0ES3_N6thrust23THRUST_200600_302600_NS6detail15normal_iteratorINS9_10device_ptrIfEEEENSB_INSC_IiEEEEfNS9_4plusIvEEfEEDaPvRmT3_T4_T5_mT6_P12ihipStream_tbENKUlT_T0_E_clISt17integral_constantIbLb0EESV_IbLb1EEEEDaSR_SS_EUlSR_E0_NS1_11comp_targetILNS1_3genE0ELNS1_11target_archE4294967295ELNS1_3gpuE0ELNS1_3repE0EEENS1_30default_config_static_selectorELNS0_4arch9wavefront6targetE1EEEvT1_, .Lfunc_end1487-_ZN7rocprim17ROCPRIM_400000_NS6detail17trampoline_kernelINS0_14default_configENS1_20scan_config_selectorIfEEZZNS1_9scan_implILNS1_25lookback_scan_determinismE0ELb0ELb0ES3_N6thrust23THRUST_200600_302600_NS6detail15normal_iteratorINS9_10device_ptrIfEEEENSB_INSC_IiEEEEfNS9_4plusIvEEfEEDaPvRmT3_T4_T5_mT6_P12ihipStream_tbENKUlT_T0_E_clISt17integral_constantIbLb0EESV_IbLb1EEEEDaSR_SS_EUlSR_E0_NS1_11comp_targetILNS1_3genE0ELNS1_11target_archE4294967295ELNS1_3gpuE0ELNS1_3repE0EEENS1_30default_config_static_selectorELNS0_4arch9wavefront6targetE1EEEvT1_
                                        ; -- End function
	.section	.AMDGPU.csdata,"",@progbits
; Kernel info:
; codeLenInByte = 0
; NumSgprs: 4
; NumVgprs: 0
; NumAgprs: 0
; TotalNumVgprs: 0
; ScratchSize: 0
; MemoryBound: 0
; FloatMode: 240
; IeeeMode: 1
; LDSByteSize: 0 bytes/workgroup (compile time only)
; SGPRBlocks: 0
; VGPRBlocks: 0
; NumSGPRsForWavesPerEU: 4
; NumVGPRsForWavesPerEU: 1
; AccumOffset: 4
; Occupancy: 8
; WaveLimiterHint : 0
; COMPUTE_PGM_RSRC2:SCRATCH_EN: 0
; COMPUTE_PGM_RSRC2:USER_SGPR: 6
; COMPUTE_PGM_RSRC2:TRAP_HANDLER: 0
; COMPUTE_PGM_RSRC2:TGID_X_EN: 1
; COMPUTE_PGM_RSRC2:TGID_Y_EN: 0
; COMPUTE_PGM_RSRC2:TGID_Z_EN: 0
; COMPUTE_PGM_RSRC2:TIDIG_COMP_CNT: 0
; COMPUTE_PGM_RSRC3_GFX90A:ACCUM_OFFSET: 0
; COMPUTE_PGM_RSRC3_GFX90A:TG_SPLIT: 0
	.section	.text._ZN7rocprim17ROCPRIM_400000_NS6detail17trampoline_kernelINS0_14default_configENS1_20scan_config_selectorIfEEZZNS1_9scan_implILNS1_25lookback_scan_determinismE0ELb0ELb0ES3_N6thrust23THRUST_200600_302600_NS6detail15normal_iteratorINS9_10device_ptrIfEEEENSB_INSC_IiEEEEfNS9_4plusIvEEfEEDaPvRmT3_T4_T5_mT6_P12ihipStream_tbENKUlT_T0_E_clISt17integral_constantIbLb0EESV_IbLb1EEEEDaSR_SS_EUlSR_E0_NS1_11comp_targetILNS1_3genE5ELNS1_11target_archE942ELNS1_3gpuE9ELNS1_3repE0EEENS1_30default_config_static_selectorELNS0_4arch9wavefront6targetE1EEEvT1_,"axG",@progbits,_ZN7rocprim17ROCPRIM_400000_NS6detail17trampoline_kernelINS0_14default_configENS1_20scan_config_selectorIfEEZZNS1_9scan_implILNS1_25lookback_scan_determinismE0ELb0ELb0ES3_N6thrust23THRUST_200600_302600_NS6detail15normal_iteratorINS9_10device_ptrIfEEEENSB_INSC_IiEEEEfNS9_4plusIvEEfEEDaPvRmT3_T4_T5_mT6_P12ihipStream_tbENKUlT_T0_E_clISt17integral_constantIbLb0EESV_IbLb1EEEEDaSR_SS_EUlSR_E0_NS1_11comp_targetILNS1_3genE5ELNS1_11target_archE942ELNS1_3gpuE9ELNS1_3repE0EEENS1_30default_config_static_selectorELNS0_4arch9wavefront6targetE1EEEvT1_,comdat
	.protected	_ZN7rocprim17ROCPRIM_400000_NS6detail17trampoline_kernelINS0_14default_configENS1_20scan_config_selectorIfEEZZNS1_9scan_implILNS1_25lookback_scan_determinismE0ELb0ELb0ES3_N6thrust23THRUST_200600_302600_NS6detail15normal_iteratorINS9_10device_ptrIfEEEENSB_INSC_IiEEEEfNS9_4plusIvEEfEEDaPvRmT3_T4_T5_mT6_P12ihipStream_tbENKUlT_T0_E_clISt17integral_constantIbLb0EESV_IbLb1EEEEDaSR_SS_EUlSR_E0_NS1_11comp_targetILNS1_3genE5ELNS1_11target_archE942ELNS1_3gpuE9ELNS1_3repE0EEENS1_30default_config_static_selectorELNS0_4arch9wavefront6targetE1EEEvT1_ ; -- Begin function _ZN7rocprim17ROCPRIM_400000_NS6detail17trampoline_kernelINS0_14default_configENS1_20scan_config_selectorIfEEZZNS1_9scan_implILNS1_25lookback_scan_determinismE0ELb0ELb0ES3_N6thrust23THRUST_200600_302600_NS6detail15normal_iteratorINS9_10device_ptrIfEEEENSB_INSC_IiEEEEfNS9_4plusIvEEfEEDaPvRmT3_T4_T5_mT6_P12ihipStream_tbENKUlT_T0_E_clISt17integral_constantIbLb0EESV_IbLb1EEEEDaSR_SS_EUlSR_E0_NS1_11comp_targetILNS1_3genE5ELNS1_11target_archE942ELNS1_3gpuE9ELNS1_3repE0EEENS1_30default_config_static_selectorELNS0_4arch9wavefront6targetE1EEEvT1_
	.globl	_ZN7rocprim17ROCPRIM_400000_NS6detail17trampoline_kernelINS0_14default_configENS1_20scan_config_selectorIfEEZZNS1_9scan_implILNS1_25lookback_scan_determinismE0ELb0ELb0ES3_N6thrust23THRUST_200600_302600_NS6detail15normal_iteratorINS9_10device_ptrIfEEEENSB_INSC_IiEEEEfNS9_4plusIvEEfEEDaPvRmT3_T4_T5_mT6_P12ihipStream_tbENKUlT_T0_E_clISt17integral_constantIbLb0EESV_IbLb1EEEEDaSR_SS_EUlSR_E0_NS1_11comp_targetILNS1_3genE5ELNS1_11target_archE942ELNS1_3gpuE9ELNS1_3repE0EEENS1_30default_config_static_selectorELNS0_4arch9wavefront6targetE1EEEvT1_
	.p2align	8
	.type	_ZN7rocprim17ROCPRIM_400000_NS6detail17trampoline_kernelINS0_14default_configENS1_20scan_config_selectorIfEEZZNS1_9scan_implILNS1_25lookback_scan_determinismE0ELb0ELb0ES3_N6thrust23THRUST_200600_302600_NS6detail15normal_iteratorINS9_10device_ptrIfEEEENSB_INSC_IiEEEEfNS9_4plusIvEEfEEDaPvRmT3_T4_T5_mT6_P12ihipStream_tbENKUlT_T0_E_clISt17integral_constantIbLb0EESV_IbLb1EEEEDaSR_SS_EUlSR_E0_NS1_11comp_targetILNS1_3genE5ELNS1_11target_archE942ELNS1_3gpuE9ELNS1_3repE0EEENS1_30default_config_static_selectorELNS0_4arch9wavefront6targetE1EEEvT1_,@function
_ZN7rocprim17ROCPRIM_400000_NS6detail17trampoline_kernelINS0_14default_configENS1_20scan_config_selectorIfEEZZNS1_9scan_implILNS1_25lookback_scan_determinismE0ELb0ELb0ES3_N6thrust23THRUST_200600_302600_NS6detail15normal_iteratorINS9_10device_ptrIfEEEENSB_INSC_IiEEEEfNS9_4plusIvEEfEEDaPvRmT3_T4_T5_mT6_P12ihipStream_tbENKUlT_T0_E_clISt17integral_constantIbLb0EESV_IbLb1EEEEDaSR_SS_EUlSR_E0_NS1_11comp_targetILNS1_3genE5ELNS1_11target_archE942ELNS1_3gpuE9ELNS1_3repE0EEENS1_30default_config_static_selectorELNS0_4arch9wavefront6targetE1EEEvT1_: ; @_ZN7rocprim17ROCPRIM_400000_NS6detail17trampoline_kernelINS0_14default_configENS1_20scan_config_selectorIfEEZZNS1_9scan_implILNS1_25lookback_scan_determinismE0ELb0ELb0ES3_N6thrust23THRUST_200600_302600_NS6detail15normal_iteratorINS9_10device_ptrIfEEEENSB_INSC_IiEEEEfNS9_4plusIvEEfEEDaPvRmT3_T4_T5_mT6_P12ihipStream_tbENKUlT_T0_E_clISt17integral_constantIbLb0EESV_IbLb1EEEEDaSR_SS_EUlSR_E0_NS1_11comp_targetILNS1_3genE5ELNS1_11target_archE942ELNS1_3gpuE9ELNS1_3repE0EEENS1_30default_config_static_selectorELNS0_4arch9wavefront6targetE1EEEvT1_
; %bb.0:
	.section	.rodata,"a",@progbits
	.p2align	6, 0x0
	.amdhsa_kernel _ZN7rocprim17ROCPRIM_400000_NS6detail17trampoline_kernelINS0_14default_configENS1_20scan_config_selectorIfEEZZNS1_9scan_implILNS1_25lookback_scan_determinismE0ELb0ELb0ES3_N6thrust23THRUST_200600_302600_NS6detail15normal_iteratorINS9_10device_ptrIfEEEENSB_INSC_IiEEEEfNS9_4plusIvEEfEEDaPvRmT3_T4_T5_mT6_P12ihipStream_tbENKUlT_T0_E_clISt17integral_constantIbLb0EESV_IbLb1EEEEDaSR_SS_EUlSR_E0_NS1_11comp_targetILNS1_3genE5ELNS1_11target_archE942ELNS1_3gpuE9ELNS1_3repE0EEENS1_30default_config_static_selectorELNS0_4arch9wavefront6targetE1EEEvT1_
		.amdhsa_group_segment_fixed_size 0
		.amdhsa_private_segment_fixed_size 0
		.amdhsa_kernarg_size 32
		.amdhsa_user_sgpr_count 6
		.amdhsa_user_sgpr_private_segment_buffer 1
		.amdhsa_user_sgpr_dispatch_ptr 0
		.amdhsa_user_sgpr_queue_ptr 0
		.amdhsa_user_sgpr_kernarg_segment_ptr 1
		.amdhsa_user_sgpr_dispatch_id 0
		.amdhsa_user_sgpr_flat_scratch_init 0
		.amdhsa_user_sgpr_kernarg_preload_length 0
		.amdhsa_user_sgpr_kernarg_preload_offset 0
		.amdhsa_user_sgpr_private_segment_size 0
		.amdhsa_uses_dynamic_stack 0
		.amdhsa_system_sgpr_private_segment_wavefront_offset 0
		.amdhsa_system_sgpr_workgroup_id_x 1
		.amdhsa_system_sgpr_workgroup_id_y 0
		.amdhsa_system_sgpr_workgroup_id_z 0
		.amdhsa_system_sgpr_workgroup_info 0
		.amdhsa_system_vgpr_workitem_id 0
		.amdhsa_next_free_vgpr 1
		.amdhsa_next_free_sgpr 0
		.amdhsa_accum_offset 4
		.amdhsa_reserve_vcc 0
		.amdhsa_reserve_flat_scratch 0
		.amdhsa_float_round_mode_32 0
		.amdhsa_float_round_mode_16_64 0
		.amdhsa_float_denorm_mode_32 3
		.amdhsa_float_denorm_mode_16_64 3
		.amdhsa_dx10_clamp 1
		.amdhsa_ieee_mode 1
		.amdhsa_fp16_overflow 0
		.amdhsa_tg_split 0
		.amdhsa_exception_fp_ieee_invalid_op 0
		.amdhsa_exception_fp_denorm_src 0
		.amdhsa_exception_fp_ieee_div_zero 0
		.amdhsa_exception_fp_ieee_overflow 0
		.amdhsa_exception_fp_ieee_underflow 0
		.amdhsa_exception_fp_ieee_inexact 0
		.amdhsa_exception_int_div_zero 0
	.end_amdhsa_kernel
	.section	.text._ZN7rocprim17ROCPRIM_400000_NS6detail17trampoline_kernelINS0_14default_configENS1_20scan_config_selectorIfEEZZNS1_9scan_implILNS1_25lookback_scan_determinismE0ELb0ELb0ES3_N6thrust23THRUST_200600_302600_NS6detail15normal_iteratorINS9_10device_ptrIfEEEENSB_INSC_IiEEEEfNS9_4plusIvEEfEEDaPvRmT3_T4_T5_mT6_P12ihipStream_tbENKUlT_T0_E_clISt17integral_constantIbLb0EESV_IbLb1EEEEDaSR_SS_EUlSR_E0_NS1_11comp_targetILNS1_3genE5ELNS1_11target_archE942ELNS1_3gpuE9ELNS1_3repE0EEENS1_30default_config_static_selectorELNS0_4arch9wavefront6targetE1EEEvT1_,"axG",@progbits,_ZN7rocprim17ROCPRIM_400000_NS6detail17trampoline_kernelINS0_14default_configENS1_20scan_config_selectorIfEEZZNS1_9scan_implILNS1_25lookback_scan_determinismE0ELb0ELb0ES3_N6thrust23THRUST_200600_302600_NS6detail15normal_iteratorINS9_10device_ptrIfEEEENSB_INSC_IiEEEEfNS9_4plusIvEEfEEDaPvRmT3_T4_T5_mT6_P12ihipStream_tbENKUlT_T0_E_clISt17integral_constantIbLb0EESV_IbLb1EEEEDaSR_SS_EUlSR_E0_NS1_11comp_targetILNS1_3genE5ELNS1_11target_archE942ELNS1_3gpuE9ELNS1_3repE0EEENS1_30default_config_static_selectorELNS0_4arch9wavefront6targetE1EEEvT1_,comdat
.Lfunc_end1488:
	.size	_ZN7rocprim17ROCPRIM_400000_NS6detail17trampoline_kernelINS0_14default_configENS1_20scan_config_selectorIfEEZZNS1_9scan_implILNS1_25lookback_scan_determinismE0ELb0ELb0ES3_N6thrust23THRUST_200600_302600_NS6detail15normal_iteratorINS9_10device_ptrIfEEEENSB_INSC_IiEEEEfNS9_4plusIvEEfEEDaPvRmT3_T4_T5_mT6_P12ihipStream_tbENKUlT_T0_E_clISt17integral_constantIbLb0EESV_IbLb1EEEEDaSR_SS_EUlSR_E0_NS1_11comp_targetILNS1_3genE5ELNS1_11target_archE942ELNS1_3gpuE9ELNS1_3repE0EEENS1_30default_config_static_selectorELNS0_4arch9wavefront6targetE1EEEvT1_, .Lfunc_end1488-_ZN7rocprim17ROCPRIM_400000_NS6detail17trampoline_kernelINS0_14default_configENS1_20scan_config_selectorIfEEZZNS1_9scan_implILNS1_25lookback_scan_determinismE0ELb0ELb0ES3_N6thrust23THRUST_200600_302600_NS6detail15normal_iteratorINS9_10device_ptrIfEEEENSB_INSC_IiEEEEfNS9_4plusIvEEfEEDaPvRmT3_T4_T5_mT6_P12ihipStream_tbENKUlT_T0_E_clISt17integral_constantIbLb0EESV_IbLb1EEEEDaSR_SS_EUlSR_E0_NS1_11comp_targetILNS1_3genE5ELNS1_11target_archE942ELNS1_3gpuE9ELNS1_3repE0EEENS1_30default_config_static_selectorELNS0_4arch9wavefront6targetE1EEEvT1_
                                        ; -- End function
	.section	.AMDGPU.csdata,"",@progbits
; Kernel info:
; codeLenInByte = 0
; NumSgprs: 4
; NumVgprs: 0
; NumAgprs: 0
; TotalNumVgprs: 0
; ScratchSize: 0
; MemoryBound: 0
; FloatMode: 240
; IeeeMode: 1
; LDSByteSize: 0 bytes/workgroup (compile time only)
; SGPRBlocks: 0
; VGPRBlocks: 0
; NumSGPRsForWavesPerEU: 4
; NumVGPRsForWavesPerEU: 1
; AccumOffset: 4
; Occupancy: 8
; WaveLimiterHint : 0
; COMPUTE_PGM_RSRC2:SCRATCH_EN: 0
; COMPUTE_PGM_RSRC2:USER_SGPR: 6
; COMPUTE_PGM_RSRC2:TRAP_HANDLER: 0
; COMPUTE_PGM_RSRC2:TGID_X_EN: 1
; COMPUTE_PGM_RSRC2:TGID_Y_EN: 0
; COMPUTE_PGM_RSRC2:TGID_Z_EN: 0
; COMPUTE_PGM_RSRC2:TIDIG_COMP_CNT: 0
; COMPUTE_PGM_RSRC3_GFX90A:ACCUM_OFFSET: 0
; COMPUTE_PGM_RSRC3_GFX90A:TG_SPLIT: 0
	.section	.text._ZN7rocprim17ROCPRIM_400000_NS6detail17trampoline_kernelINS0_14default_configENS1_20scan_config_selectorIfEEZZNS1_9scan_implILNS1_25lookback_scan_determinismE0ELb0ELb0ES3_N6thrust23THRUST_200600_302600_NS6detail15normal_iteratorINS9_10device_ptrIfEEEENSB_INSC_IiEEEEfNS9_4plusIvEEfEEDaPvRmT3_T4_T5_mT6_P12ihipStream_tbENKUlT_T0_E_clISt17integral_constantIbLb0EESV_IbLb1EEEEDaSR_SS_EUlSR_E0_NS1_11comp_targetILNS1_3genE4ELNS1_11target_archE910ELNS1_3gpuE8ELNS1_3repE0EEENS1_30default_config_static_selectorELNS0_4arch9wavefront6targetE1EEEvT1_,"axG",@progbits,_ZN7rocprim17ROCPRIM_400000_NS6detail17trampoline_kernelINS0_14default_configENS1_20scan_config_selectorIfEEZZNS1_9scan_implILNS1_25lookback_scan_determinismE0ELb0ELb0ES3_N6thrust23THRUST_200600_302600_NS6detail15normal_iteratorINS9_10device_ptrIfEEEENSB_INSC_IiEEEEfNS9_4plusIvEEfEEDaPvRmT3_T4_T5_mT6_P12ihipStream_tbENKUlT_T0_E_clISt17integral_constantIbLb0EESV_IbLb1EEEEDaSR_SS_EUlSR_E0_NS1_11comp_targetILNS1_3genE4ELNS1_11target_archE910ELNS1_3gpuE8ELNS1_3repE0EEENS1_30default_config_static_selectorELNS0_4arch9wavefront6targetE1EEEvT1_,comdat
	.protected	_ZN7rocprim17ROCPRIM_400000_NS6detail17trampoline_kernelINS0_14default_configENS1_20scan_config_selectorIfEEZZNS1_9scan_implILNS1_25lookback_scan_determinismE0ELb0ELb0ES3_N6thrust23THRUST_200600_302600_NS6detail15normal_iteratorINS9_10device_ptrIfEEEENSB_INSC_IiEEEEfNS9_4plusIvEEfEEDaPvRmT3_T4_T5_mT6_P12ihipStream_tbENKUlT_T0_E_clISt17integral_constantIbLb0EESV_IbLb1EEEEDaSR_SS_EUlSR_E0_NS1_11comp_targetILNS1_3genE4ELNS1_11target_archE910ELNS1_3gpuE8ELNS1_3repE0EEENS1_30default_config_static_selectorELNS0_4arch9wavefront6targetE1EEEvT1_ ; -- Begin function _ZN7rocprim17ROCPRIM_400000_NS6detail17trampoline_kernelINS0_14default_configENS1_20scan_config_selectorIfEEZZNS1_9scan_implILNS1_25lookback_scan_determinismE0ELb0ELb0ES3_N6thrust23THRUST_200600_302600_NS6detail15normal_iteratorINS9_10device_ptrIfEEEENSB_INSC_IiEEEEfNS9_4plusIvEEfEEDaPvRmT3_T4_T5_mT6_P12ihipStream_tbENKUlT_T0_E_clISt17integral_constantIbLb0EESV_IbLb1EEEEDaSR_SS_EUlSR_E0_NS1_11comp_targetILNS1_3genE4ELNS1_11target_archE910ELNS1_3gpuE8ELNS1_3repE0EEENS1_30default_config_static_selectorELNS0_4arch9wavefront6targetE1EEEvT1_
	.globl	_ZN7rocprim17ROCPRIM_400000_NS6detail17trampoline_kernelINS0_14default_configENS1_20scan_config_selectorIfEEZZNS1_9scan_implILNS1_25lookback_scan_determinismE0ELb0ELb0ES3_N6thrust23THRUST_200600_302600_NS6detail15normal_iteratorINS9_10device_ptrIfEEEENSB_INSC_IiEEEEfNS9_4plusIvEEfEEDaPvRmT3_T4_T5_mT6_P12ihipStream_tbENKUlT_T0_E_clISt17integral_constantIbLb0EESV_IbLb1EEEEDaSR_SS_EUlSR_E0_NS1_11comp_targetILNS1_3genE4ELNS1_11target_archE910ELNS1_3gpuE8ELNS1_3repE0EEENS1_30default_config_static_selectorELNS0_4arch9wavefront6targetE1EEEvT1_
	.p2align	8
	.type	_ZN7rocprim17ROCPRIM_400000_NS6detail17trampoline_kernelINS0_14default_configENS1_20scan_config_selectorIfEEZZNS1_9scan_implILNS1_25lookback_scan_determinismE0ELb0ELb0ES3_N6thrust23THRUST_200600_302600_NS6detail15normal_iteratorINS9_10device_ptrIfEEEENSB_INSC_IiEEEEfNS9_4plusIvEEfEEDaPvRmT3_T4_T5_mT6_P12ihipStream_tbENKUlT_T0_E_clISt17integral_constantIbLb0EESV_IbLb1EEEEDaSR_SS_EUlSR_E0_NS1_11comp_targetILNS1_3genE4ELNS1_11target_archE910ELNS1_3gpuE8ELNS1_3repE0EEENS1_30default_config_static_selectorELNS0_4arch9wavefront6targetE1EEEvT1_,@function
_ZN7rocprim17ROCPRIM_400000_NS6detail17trampoline_kernelINS0_14default_configENS1_20scan_config_selectorIfEEZZNS1_9scan_implILNS1_25lookback_scan_determinismE0ELb0ELb0ES3_N6thrust23THRUST_200600_302600_NS6detail15normal_iteratorINS9_10device_ptrIfEEEENSB_INSC_IiEEEEfNS9_4plusIvEEfEEDaPvRmT3_T4_T5_mT6_P12ihipStream_tbENKUlT_T0_E_clISt17integral_constantIbLb0EESV_IbLb1EEEEDaSR_SS_EUlSR_E0_NS1_11comp_targetILNS1_3genE4ELNS1_11target_archE910ELNS1_3gpuE8ELNS1_3repE0EEENS1_30default_config_static_selectorELNS0_4arch9wavefront6targetE1EEEvT1_: ; @_ZN7rocprim17ROCPRIM_400000_NS6detail17trampoline_kernelINS0_14default_configENS1_20scan_config_selectorIfEEZZNS1_9scan_implILNS1_25lookback_scan_determinismE0ELb0ELb0ES3_N6thrust23THRUST_200600_302600_NS6detail15normal_iteratorINS9_10device_ptrIfEEEENSB_INSC_IiEEEEfNS9_4plusIvEEfEEDaPvRmT3_T4_T5_mT6_P12ihipStream_tbENKUlT_T0_E_clISt17integral_constantIbLb0EESV_IbLb1EEEEDaSR_SS_EUlSR_E0_NS1_11comp_targetILNS1_3genE4ELNS1_11target_archE910ELNS1_3gpuE8ELNS1_3repE0EEENS1_30default_config_static_selectorELNS0_4arch9wavefront6targetE1EEEvT1_
; %bb.0:
	s_load_dwordx4 s[28:31], s[4:5], 0x0
	v_lshlrev_b32_e32 v30, 2, v0
	s_waitcnt lgkmcnt(0)
	s_load_dword s31, s[28:29], 0x0
	v_cmp_gt_u32_e32 vcc, s30, v0
	s_waitcnt lgkmcnt(0)
	v_mov_b32_e32 v1, s31
	s_and_saveexec_b64 s[0:1], vcc
	s_cbranch_execz .LBB1489_2
; %bb.1:
	global_load_dword v1, v30, s[28:29]
.LBB1489_2:
	s_or_b64 exec, exec, s[0:1]
	v_or_b32_e32 v2, 0x80, v0
	v_cmp_gt_u32_e64 s[0:1], s30, v2
	v_mov_b32_e32 v2, s31
	s_and_saveexec_b64 s[2:3], s[0:1]
	s_cbranch_execz .LBB1489_4
; %bb.3:
	global_load_dword v2, v30, s[28:29] offset:512
.LBB1489_4:
	s_or_b64 exec, exec, s[2:3]
	v_or_b32_e32 v3, 0x100, v0
	v_cmp_gt_u32_e64 s[2:3], s30, v3
	v_mov_b32_e32 v3, s31
	s_and_saveexec_b64 s[6:7], s[2:3]
	s_cbranch_execz .LBB1489_6
; %bb.5:
	global_load_dword v3, v30, s[28:29] offset:1024
.LBB1489_6:
	;; [unrolled: 9-line block ×7, first 2 shown]
	s_or_b64 exec, exec, s[14:15]
	v_or_b32_e32 v10, 0x400, v0
	v_cmp_gt_u32_e64 s[14:15], s30, v10
	v_mov_b32_e32 v9, s31
	s_and_saveexec_b64 s[16:17], s[14:15]
	s_cbranch_execz .LBB1489_18
; %bb.17:
	v_lshlrev_b32_e32 v9, 2, v10
	global_load_dword v9, v9, s[28:29]
.LBB1489_18:
	s_or_b64 exec, exec, s[16:17]
	v_or_b32_e32 v11, 0x480, v0
	v_cmp_gt_u32_e64 s[16:17], s30, v11
	v_mov_b32_e32 v10, s31
	s_and_saveexec_b64 s[18:19], s[16:17]
	s_cbranch_execz .LBB1489_20
; %bb.19:
	v_lshlrev_b32_e32 v10, 2, v11
	global_load_dword v10, v10, s[28:29]
.LBB1489_20:
	;; [unrolled: 10-line block ×6, first 2 shown]
	s_or_b64 exec, exec, s[30:31]
	s_waitcnt vmcnt(0)
	ds_write2st64_b32 v30, v1, v2 offset1:2
	ds_write2st64_b32 v30, v3, v4 offset0:4 offset1:6
	ds_write2st64_b32 v30, v5, v6 offset0:8 offset1:10
	;; [unrolled: 1-line block ×6, first 2 shown]
	v_mad_u32_u24 v1, v0, 52, v30
	s_waitcnt lgkmcnt(0)
	s_barrier
	ds_read2_b64 v[10:13], v1 offset1:1
	ds_read2_b64 v[6:9], v1 offset0:2 offset1:3
	ds_read2_b64 v[2:5], v1 offset0:4 offset1:5
	ds_read_b64 v[28:29], v1 offset:48
	v_lshrrev_b32_e32 v18, 3, v0
	s_waitcnt lgkmcnt(3)
	v_add_f32_e32 v19, v10, v11
	v_add_f32_e32 v24, v19, v12
	v_add_f32_e32 v25, v24, v13
	s_waitcnt lgkmcnt(2)
	v_add_f32_e32 v16, v25, v6
	v_add_f32_e32 v17, v16, v7
	v_add_f32_e32 v22, v17, v8
	v_add_f32_e32 v23, v22, v9
	s_waitcnt lgkmcnt(1)
	v_add_f32_e32 v14, v23, v2
	;; [unrolled: 5-line block ×3, first 2 shown]
	v_and_b32_e32 v18, 12, v18
	v_add_f32_e32 v27, v26, v29
	v_add_u32_e32 v18, v30, v18
	v_cmp_gt_u32_e64 s[28:29], 64, v0
	s_barrier
	ds_write_b32 v18, v27
	s_waitcnt lgkmcnt(0)
	s_barrier
	s_and_saveexec_b64 s[36:37], s[28:29]
	s_cbranch_execz .LBB1489_30
; %bb.29:
	v_lshlrev_b32_e32 v18, 1, v0
	v_lshrrev_b32_e32 v31, 4, v0
	v_add_lshl_u32 v18, v31, v18, 2
	ds_read2_b32 v[32:33], v18 offset1:1
	v_mbcnt_lo_u32_b32 v31, -1, 0
	v_mbcnt_hi_u32_b32 v31, -1, v31
	v_and_b32_e32 v34, 15, v31
	v_cmp_eq_u32_e64 s[28:29], 0, v34
	s_waitcnt lgkmcnt(0)
	v_add_f32_e32 v33, v32, v33
	v_cmp_lt_u32_e64 s[30:31], 3, v34
	v_cmp_lt_u32_e64 s[34:35], 31, v31
	v_mov_b32_dpp v35, v33 row_shr:1 row_mask:0xf bank_mask:0xf
	v_add_f32_e32 v35, v33, v35
	v_cndmask_b32_e64 v33, v35, v33, s[28:29]
	v_cmp_lt_u32_e64 s[28:29], 1, v34
	s_nop 0
	v_mov_b32_dpp v35, v33 row_shr:2 row_mask:0xf bank_mask:0xf
	v_add_f32_e32 v35, v33, v35
	v_cndmask_b32_e64 v35, v33, v35, s[28:29]
	; wave barrier
	s_nop 1
	v_mov_b32_dpp v36, v35 row_shr:4 row_mask:0xf bank_mask:0xf
	v_add_f32_e32 v36, v35, v36
	v_cndmask_b32_e64 v35, v35, v36, s[30:31]
	v_cmp_lt_u32_e64 s[30:31], 7, v34
	s_nop 0
	v_mov_b32_dpp v36, v35 row_shr:8 row_mask:0xf bank_mask:0xf
	v_add_f32_e32 v36, v35, v36
	v_cndmask_b32_e64 v34, v35, v36, s[30:31]
	v_and_b32_e32 v36, 16, v31
	v_cmp_eq_u32_e64 s[30:31], 0, v36
	v_mov_b32_dpp v35, v34 row_bcast:15 row_mask:0xf bank_mask:0xf
	v_add_f32_e32 v35, v34, v35
	v_cndmask_b32_e64 v34, v35, v34, s[30:31]
	v_cmp_lt_u32_e64 s[30:31], 15, v31
	s_or_b64 s[28:29], s[30:31], s[28:29]
	v_mov_b32_dpp v35, v34 row_bcast:31 row_mask:0xf bank_mask:0xf
	v_add_f32_e32 v35, v34, v35
	v_cndmask_b32_e64 v34, v34, v35, s[34:35]
	v_cndmask_b32_e64 v33, v33, v34, s[28:29]
	v_add_u32_e32 v34, -1, v31
	v_and_b32_e32 v35, 64, v31
	v_cmp_lt_i32_e64 s[28:29], v34, v35
	v_cndmask_b32_e64 v31, v34, v31, s[28:29]
	v_lshlrev_b32_e32 v31, 2, v31
	ds_bpermute_b32 v31, v31, v33
	v_cmp_eq_u32_e64 s[28:29], 0, v0
	s_waitcnt lgkmcnt(0)
	v_add_f32_e32 v31, v32, v31
	v_cndmask_b32_e64 v31, v31, v27, s[28:29]
	ds_write_b32 v18, v31
	; wave barrier
	ds_read_b32 v32, v18 offset:4
	s_waitcnt lgkmcnt(0)
	v_add_f32_e32 v31, v31, v32
	ds_write_b32 v18, v31 offset:4
.LBB1489_30:
	s_or_b64 exec, exec, s[36:37]
	s_load_dwordx2 s[28:29], s[4:5], 0x18
	v_cmp_ne_u32_e64 s[4:5], 0, v0
	v_mov_b32_e32 v31, v27
	s_waitcnt lgkmcnt(0)
	s_barrier
	s_and_saveexec_b64 s[30:31], s[4:5]
	s_cbranch_execz .LBB1489_32
; %bb.31:
	v_add_u32_e32 v18, -1, v0
	v_lshrrev_b32_e32 v31, 5, v18
	v_add_lshl_u32 v18, v31, v18, 2
	ds_read_b32 v31, v18
.LBB1489_32:
	s_or_b64 exec, exec, s[30:31]
	v_mov_b32_e32 v18, v10
	s_and_saveexec_b64 s[30:31], s[4:5]
	s_cbranch_execz .LBB1489_34
; %bb.33:
	s_waitcnt lgkmcnt(0)
	v_add_f32_e32 v18, v10, v31
	v_add_f32_e32 v19, v11, v18
	;; [unrolled: 1-line block ×14, first 2 shown]
	;;#ASMSTART
	;;#ASMEND
.LBB1489_34:
	s_or_b64 exec, exec, s[30:31]
	s_movk_i32 s4, 0xffcc
	v_mad_i32_i24 v0, v0, s4, v1
	s_waitcnt lgkmcnt(0)
	s_barrier
	ds_write2_b64 v1, v[18:19], v[24:25] offset1:1
	ds_write2_b64 v1, v[16:17], v[22:23] offset0:2 offset1:3
	ds_write2_b64 v1, v[14:15], v[20:21] offset0:4 offset1:5
	ds_write_b64 v1, v[26:27] offset:48
	s_waitcnt lgkmcnt(0)
	s_barrier
	ds_read2st64_b32 v[12:13], v0 offset0:2 offset1:4
	ds_read2st64_b32 v[10:11], v0 offset0:6 offset1:8
	;; [unrolled: 1-line block ×4, first 2 shown]
	ds_read_b32 v14, v30 offset:4096
	ds_read2st64_b32 v[4:5], v0 offset0:20 offset1:22
	ds_read2st64_b32 v[2:3], v0 offset0:24 offset1:26
	v_mov_b32_e32 v1, s29
	v_add_co_u32_e64 v0, s[4:5], s28, v30
	v_addc_co_u32_e64 v1, s[4:5], 0, v1, s[4:5]
	s_and_saveexec_b64 s[4:5], vcc
	s_cbranch_execnz .LBB1489_49
; %bb.35:
	s_or_b64 exec, exec, s[4:5]
	s_and_saveexec_b64 s[4:5], s[0:1]
	s_cbranch_execnz .LBB1489_50
.LBB1489_36:
	s_or_b64 exec, exec, s[4:5]
	s_and_saveexec_b64 s[0:1], s[2:3]
	s_cbranch_execnz .LBB1489_51
.LBB1489_37:
	s_or_b64 exec, exec, s[0:1]
	s_and_saveexec_b64 s[0:1], s[26:27]
	s_cbranch_execnz .LBB1489_52
.LBB1489_38:
	s_or_b64 exec, exec, s[0:1]
	s_and_saveexec_b64 s[0:1], s[6:7]
	s_cbranch_execnz .LBB1489_53
.LBB1489_39:
	s_or_b64 exec, exec, s[0:1]
	s_and_saveexec_b64 s[0:1], s[8:9]
	s_cbranch_execnz .LBB1489_54
.LBB1489_40:
	s_or_b64 exec, exec, s[0:1]
	s_and_saveexec_b64 s[0:1], s[10:11]
	s_cbranch_execnz .LBB1489_55
.LBB1489_41:
	s_or_b64 exec, exec, s[0:1]
	s_and_saveexec_b64 s[0:1], s[12:13]
	s_cbranch_execnz .LBB1489_56
.LBB1489_42:
	s_or_b64 exec, exec, s[0:1]
	s_and_saveexec_b64 s[0:1], s[14:15]
	s_cbranch_execnz .LBB1489_57
.LBB1489_43:
	s_or_b64 exec, exec, s[0:1]
	s_and_saveexec_b64 s[0:1], s[16:17]
	s_cbranch_execnz .LBB1489_58
.LBB1489_44:
	s_or_b64 exec, exec, s[0:1]
	s_and_saveexec_b64 s[0:1], s[18:19]
	s_cbranch_execnz .LBB1489_59
.LBB1489_45:
	s_or_b64 exec, exec, s[0:1]
	s_and_saveexec_b64 s[0:1], s[20:21]
	s_cbranch_execnz .LBB1489_60
.LBB1489_46:
	s_or_b64 exec, exec, s[0:1]
	s_and_saveexec_b64 s[0:1], s[22:23]
	s_cbranch_execnz .LBB1489_61
.LBB1489_47:
	s_or_b64 exec, exec, s[0:1]
	s_and_saveexec_b64 s[0:1], s[24:25]
	s_cbranch_execnz .LBB1489_62
.LBB1489_48:
	s_endpgm
.LBB1489_49:
	ds_read_b32 v15, v30
	s_waitcnt lgkmcnt(0)
	v_cvt_i32_f32_e32 v15, v15
	global_store_dword v[0:1], v15, off
	s_or_b64 exec, exec, s[4:5]
	s_and_saveexec_b64 s[4:5], s[0:1]
	s_cbranch_execz .LBB1489_36
.LBB1489_50:
	s_waitcnt lgkmcnt(6)
	v_cvt_i32_f32_e32 v12, v12
	global_store_dword v[0:1], v12, off offset:512
	s_or_b64 exec, exec, s[4:5]
	s_and_saveexec_b64 s[0:1], s[2:3]
	s_cbranch_execz .LBB1489_37
.LBB1489_51:
	s_waitcnt lgkmcnt(6)
	v_cvt_i32_f32_e32 v12, v13
	global_store_dword v[0:1], v12, off offset:1024
	s_or_b64 exec, exec, s[0:1]
	s_and_saveexec_b64 s[0:1], s[26:27]
	s_cbranch_execz .LBB1489_38
.LBB1489_52:
	s_waitcnt lgkmcnt(5)
	v_cvt_i32_f32_e32 v10, v10
	global_store_dword v[0:1], v10, off offset:1536
	s_or_b64 exec, exec, s[0:1]
	s_and_saveexec_b64 s[0:1], s[6:7]
	s_cbranch_execz .LBB1489_39
.LBB1489_53:
	s_waitcnt lgkmcnt(5)
	v_cvt_i32_f32_e32 v10, v11
	global_store_dword v[0:1], v10, off offset:2048
	s_or_b64 exec, exec, s[0:1]
	s_and_saveexec_b64 s[0:1], s[8:9]
	s_cbranch_execz .LBB1489_40
.LBB1489_54:
	s_waitcnt lgkmcnt(4)
	v_cvt_i32_f32_e32 v8, v8
	global_store_dword v[0:1], v8, off offset:2560
	s_or_b64 exec, exec, s[0:1]
	s_and_saveexec_b64 s[0:1], s[10:11]
	s_cbranch_execz .LBB1489_41
.LBB1489_55:
	s_waitcnt lgkmcnt(4)
	v_cvt_i32_f32_e32 v8, v9
	global_store_dword v[0:1], v8, off offset:3072
	s_or_b64 exec, exec, s[0:1]
	s_and_saveexec_b64 s[0:1], s[12:13]
	s_cbranch_execz .LBB1489_42
.LBB1489_56:
	s_waitcnt lgkmcnt(3)
	v_cvt_i32_f32_e32 v6, v6
	global_store_dword v[0:1], v6, off offset:3584
	s_or_b64 exec, exec, s[0:1]
	s_and_saveexec_b64 s[0:1], s[14:15]
	s_cbranch_execz .LBB1489_43
.LBB1489_57:
	s_waitcnt lgkmcnt(2)
	v_cvt_i32_f32_e32 v6, v14
	v_add_co_u32_e32 v8, vcc, 0x1000, v0
	v_addc_co_u32_e32 v9, vcc, 0, v1, vcc
	global_store_dword v[8:9], v6, off
	s_or_b64 exec, exec, s[0:1]
	s_and_saveexec_b64 s[0:1], s[16:17]
	s_cbranch_execz .LBB1489_44
.LBB1489_58:
	s_waitcnt lgkmcnt(3)
	v_cvt_i32_f32_e32 v8, v7
	v_add_co_u32_e32 v6, vcc, 0x1000, v0
	v_addc_co_u32_e32 v7, vcc, 0, v1, vcc
	global_store_dword v[6:7], v8, off offset:512
	s_or_b64 exec, exec, s[0:1]
	s_and_saveexec_b64 s[0:1], s[18:19]
	s_cbranch_execz .LBB1489_45
.LBB1489_59:
	s_waitcnt lgkmcnt(1)
	v_cvt_i32_f32_e32 v4, v4
	v_add_co_u32_e32 v6, vcc, 0x1000, v0
	v_addc_co_u32_e32 v7, vcc, 0, v1, vcc
	global_store_dword v[6:7], v4, off offset:1024
	s_or_b64 exec, exec, s[0:1]
	s_and_saveexec_b64 s[0:1], s[20:21]
	s_cbranch_execz .LBB1489_46
.LBB1489_60:
	s_waitcnt lgkmcnt(1)
	v_cvt_i32_f32_e32 v6, v5
	v_add_co_u32_e32 v4, vcc, 0x1000, v0
	v_addc_co_u32_e32 v5, vcc, 0, v1, vcc
	global_store_dword v[4:5], v6, off offset:1536
	s_or_b64 exec, exec, s[0:1]
	s_and_saveexec_b64 s[0:1], s[22:23]
	s_cbranch_execz .LBB1489_47
.LBB1489_61:
	s_waitcnt lgkmcnt(0)
	v_cvt_i32_f32_e32 v2, v2
	v_add_co_u32_e32 v4, vcc, 0x1000, v0
	v_addc_co_u32_e32 v5, vcc, 0, v1, vcc
	global_store_dword v[4:5], v2, off offset:2048
	s_or_b64 exec, exec, s[0:1]
	s_and_saveexec_b64 s[0:1], s[24:25]
	s_cbranch_execz .LBB1489_48
.LBB1489_62:
	s_waitcnt lgkmcnt(0)
	v_cvt_i32_f32_e32 v2, v3
	v_add_co_u32_e32 v0, vcc, 0x1000, v0
	v_addc_co_u32_e32 v1, vcc, 0, v1, vcc
	global_store_dword v[0:1], v2, off offset:2560
	s_endpgm
	.section	.rodata,"a",@progbits
	.p2align	6, 0x0
	.amdhsa_kernel _ZN7rocprim17ROCPRIM_400000_NS6detail17trampoline_kernelINS0_14default_configENS1_20scan_config_selectorIfEEZZNS1_9scan_implILNS1_25lookback_scan_determinismE0ELb0ELb0ES3_N6thrust23THRUST_200600_302600_NS6detail15normal_iteratorINS9_10device_ptrIfEEEENSB_INSC_IiEEEEfNS9_4plusIvEEfEEDaPvRmT3_T4_T5_mT6_P12ihipStream_tbENKUlT_T0_E_clISt17integral_constantIbLb0EESV_IbLb1EEEEDaSR_SS_EUlSR_E0_NS1_11comp_targetILNS1_3genE4ELNS1_11target_archE910ELNS1_3gpuE8ELNS1_3repE0EEENS1_30default_config_static_selectorELNS0_4arch9wavefront6targetE1EEEvT1_
		.amdhsa_group_segment_fixed_size 7168
		.amdhsa_private_segment_fixed_size 0
		.amdhsa_kernarg_size 32
		.amdhsa_user_sgpr_count 6
		.amdhsa_user_sgpr_private_segment_buffer 1
		.amdhsa_user_sgpr_dispatch_ptr 0
		.amdhsa_user_sgpr_queue_ptr 0
		.amdhsa_user_sgpr_kernarg_segment_ptr 1
		.amdhsa_user_sgpr_dispatch_id 0
		.amdhsa_user_sgpr_flat_scratch_init 0
		.amdhsa_user_sgpr_kernarg_preload_length 0
		.amdhsa_user_sgpr_kernarg_preload_offset 0
		.amdhsa_user_sgpr_private_segment_size 0
		.amdhsa_uses_dynamic_stack 0
		.amdhsa_system_sgpr_private_segment_wavefront_offset 0
		.amdhsa_system_sgpr_workgroup_id_x 1
		.amdhsa_system_sgpr_workgroup_id_y 0
		.amdhsa_system_sgpr_workgroup_id_z 0
		.amdhsa_system_sgpr_workgroup_info 0
		.amdhsa_system_vgpr_workitem_id 0
		.amdhsa_next_free_vgpr 37
		.amdhsa_next_free_sgpr 38
		.amdhsa_accum_offset 40
		.amdhsa_reserve_vcc 1
		.amdhsa_reserve_flat_scratch 0
		.amdhsa_float_round_mode_32 0
		.amdhsa_float_round_mode_16_64 0
		.amdhsa_float_denorm_mode_32 3
		.amdhsa_float_denorm_mode_16_64 3
		.amdhsa_dx10_clamp 1
		.amdhsa_ieee_mode 1
		.amdhsa_fp16_overflow 0
		.amdhsa_tg_split 0
		.amdhsa_exception_fp_ieee_invalid_op 0
		.amdhsa_exception_fp_denorm_src 0
		.amdhsa_exception_fp_ieee_div_zero 0
		.amdhsa_exception_fp_ieee_overflow 0
		.amdhsa_exception_fp_ieee_underflow 0
		.amdhsa_exception_fp_ieee_inexact 0
		.amdhsa_exception_int_div_zero 0
	.end_amdhsa_kernel
	.section	.text._ZN7rocprim17ROCPRIM_400000_NS6detail17trampoline_kernelINS0_14default_configENS1_20scan_config_selectorIfEEZZNS1_9scan_implILNS1_25lookback_scan_determinismE0ELb0ELb0ES3_N6thrust23THRUST_200600_302600_NS6detail15normal_iteratorINS9_10device_ptrIfEEEENSB_INSC_IiEEEEfNS9_4plusIvEEfEEDaPvRmT3_T4_T5_mT6_P12ihipStream_tbENKUlT_T0_E_clISt17integral_constantIbLb0EESV_IbLb1EEEEDaSR_SS_EUlSR_E0_NS1_11comp_targetILNS1_3genE4ELNS1_11target_archE910ELNS1_3gpuE8ELNS1_3repE0EEENS1_30default_config_static_selectorELNS0_4arch9wavefront6targetE1EEEvT1_,"axG",@progbits,_ZN7rocprim17ROCPRIM_400000_NS6detail17trampoline_kernelINS0_14default_configENS1_20scan_config_selectorIfEEZZNS1_9scan_implILNS1_25lookback_scan_determinismE0ELb0ELb0ES3_N6thrust23THRUST_200600_302600_NS6detail15normal_iteratorINS9_10device_ptrIfEEEENSB_INSC_IiEEEEfNS9_4plusIvEEfEEDaPvRmT3_T4_T5_mT6_P12ihipStream_tbENKUlT_T0_E_clISt17integral_constantIbLb0EESV_IbLb1EEEEDaSR_SS_EUlSR_E0_NS1_11comp_targetILNS1_3genE4ELNS1_11target_archE910ELNS1_3gpuE8ELNS1_3repE0EEENS1_30default_config_static_selectorELNS0_4arch9wavefront6targetE1EEEvT1_,comdat
.Lfunc_end1489:
	.size	_ZN7rocprim17ROCPRIM_400000_NS6detail17trampoline_kernelINS0_14default_configENS1_20scan_config_selectorIfEEZZNS1_9scan_implILNS1_25lookback_scan_determinismE0ELb0ELb0ES3_N6thrust23THRUST_200600_302600_NS6detail15normal_iteratorINS9_10device_ptrIfEEEENSB_INSC_IiEEEEfNS9_4plusIvEEfEEDaPvRmT3_T4_T5_mT6_P12ihipStream_tbENKUlT_T0_E_clISt17integral_constantIbLb0EESV_IbLb1EEEEDaSR_SS_EUlSR_E0_NS1_11comp_targetILNS1_3genE4ELNS1_11target_archE910ELNS1_3gpuE8ELNS1_3repE0EEENS1_30default_config_static_selectorELNS0_4arch9wavefront6targetE1EEEvT1_, .Lfunc_end1489-_ZN7rocprim17ROCPRIM_400000_NS6detail17trampoline_kernelINS0_14default_configENS1_20scan_config_selectorIfEEZZNS1_9scan_implILNS1_25lookback_scan_determinismE0ELb0ELb0ES3_N6thrust23THRUST_200600_302600_NS6detail15normal_iteratorINS9_10device_ptrIfEEEENSB_INSC_IiEEEEfNS9_4plusIvEEfEEDaPvRmT3_T4_T5_mT6_P12ihipStream_tbENKUlT_T0_E_clISt17integral_constantIbLb0EESV_IbLb1EEEEDaSR_SS_EUlSR_E0_NS1_11comp_targetILNS1_3genE4ELNS1_11target_archE910ELNS1_3gpuE8ELNS1_3repE0EEENS1_30default_config_static_selectorELNS0_4arch9wavefront6targetE1EEEvT1_
                                        ; -- End function
	.section	.AMDGPU.csdata,"",@progbits
; Kernel info:
; codeLenInByte = 2084
; NumSgprs: 42
; NumVgprs: 37
; NumAgprs: 0
; TotalNumVgprs: 37
; ScratchSize: 0
; MemoryBound: 0
; FloatMode: 240
; IeeeMode: 1
; LDSByteSize: 7168 bytes/workgroup (compile time only)
; SGPRBlocks: 5
; VGPRBlocks: 4
; NumSGPRsForWavesPerEU: 42
; NumVGPRsForWavesPerEU: 37
; AccumOffset: 40
; Occupancy: 5
; WaveLimiterHint : 0
; COMPUTE_PGM_RSRC2:SCRATCH_EN: 0
; COMPUTE_PGM_RSRC2:USER_SGPR: 6
; COMPUTE_PGM_RSRC2:TRAP_HANDLER: 0
; COMPUTE_PGM_RSRC2:TGID_X_EN: 1
; COMPUTE_PGM_RSRC2:TGID_Y_EN: 0
; COMPUTE_PGM_RSRC2:TGID_Z_EN: 0
; COMPUTE_PGM_RSRC2:TIDIG_COMP_CNT: 0
; COMPUTE_PGM_RSRC3_GFX90A:ACCUM_OFFSET: 9
; COMPUTE_PGM_RSRC3_GFX90A:TG_SPLIT: 0
	.section	.text._ZN7rocprim17ROCPRIM_400000_NS6detail17trampoline_kernelINS0_14default_configENS1_20scan_config_selectorIfEEZZNS1_9scan_implILNS1_25lookback_scan_determinismE0ELb0ELb0ES3_N6thrust23THRUST_200600_302600_NS6detail15normal_iteratorINS9_10device_ptrIfEEEENSB_INSC_IiEEEEfNS9_4plusIvEEfEEDaPvRmT3_T4_T5_mT6_P12ihipStream_tbENKUlT_T0_E_clISt17integral_constantIbLb0EESV_IbLb1EEEEDaSR_SS_EUlSR_E0_NS1_11comp_targetILNS1_3genE3ELNS1_11target_archE908ELNS1_3gpuE7ELNS1_3repE0EEENS1_30default_config_static_selectorELNS0_4arch9wavefront6targetE1EEEvT1_,"axG",@progbits,_ZN7rocprim17ROCPRIM_400000_NS6detail17trampoline_kernelINS0_14default_configENS1_20scan_config_selectorIfEEZZNS1_9scan_implILNS1_25lookback_scan_determinismE0ELb0ELb0ES3_N6thrust23THRUST_200600_302600_NS6detail15normal_iteratorINS9_10device_ptrIfEEEENSB_INSC_IiEEEEfNS9_4plusIvEEfEEDaPvRmT3_T4_T5_mT6_P12ihipStream_tbENKUlT_T0_E_clISt17integral_constantIbLb0EESV_IbLb1EEEEDaSR_SS_EUlSR_E0_NS1_11comp_targetILNS1_3genE3ELNS1_11target_archE908ELNS1_3gpuE7ELNS1_3repE0EEENS1_30default_config_static_selectorELNS0_4arch9wavefront6targetE1EEEvT1_,comdat
	.protected	_ZN7rocprim17ROCPRIM_400000_NS6detail17trampoline_kernelINS0_14default_configENS1_20scan_config_selectorIfEEZZNS1_9scan_implILNS1_25lookback_scan_determinismE0ELb0ELb0ES3_N6thrust23THRUST_200600_302600_NS6detail15normal_iteratorINS9_10device_ptrIfEEEENSB_INSC_IiEEEEfNS9_4plusIvEEfEEDaPvRmT3_T4_T5_mT6_P12ihipStream_tbENKUlT_T0_E_clISt17integral_constantIbLb0EESV_IbLb1EEEEDaSR_SS_EUlSR_E0_NS1_11comp_targetILNS1_3genE3ELNS1_11target_archE908ELNS1_3gpuE7ELNS1_3repE0EEENS1_30default_config_static_selectorELNS0_4arch9wavefront6targetE1EEEvT1_ ; -- Begin function _ZN7rocprim17ROCPRIM_400000_NS6detail17trampoline_kernelINS0_14default_configENS1_20scan_config_selectorIfEEZZNS1_9scan_implILNS1_25lookback_scan_determinismE0ELb0ELb0ES3_N6thrust23THRUST_200600_302600_NS6detail15normal_iteratorINS9_10device_ptrIfEEEENSB_INSC_IiEEEEfNS9_4plusIvEEfEEDaPvRmT3_T4_T5_mT6_P12ihipStream_tbENKUlT_T0_E_clISt17integral_constantIbLb0EESV_IbLb1EEEEDaSR_SS_EUlSR_E0_NS1_11comp_targetILNS1_3genE3ELNS1_11target_archE908ELNS1_3gpuE7ELNS1_3repE0EEENS1_30default_config_static_selectorELNS0_4arch9wavefront6targetE1EEEvT1_
	.globl	_ZN7rocprim17ROCPRIM_400000_NS6detail17trampoline_kernelINS0_14default_configENS1_20scan_config_selectorIfEEZZNS1_9scan_implILNS1_25lookback_scan_determinismE0ELb0ELb0ES3_N6thrust23THRUST_200600_302600_NS6detail15normal_iteratorINS9_10device_ptrIfEEEENSB_INSC_IiEEEEfNS9_4plusIvEEfEEDaPvRmT3_T4_T5_mT6_P12ihipStream_tbENKUlT_T0_E_clISt17integral_constantIbLb0EESV_IbLb1EEEEDaSR_SS_EUlSR_E0_NS1_11comp_targetILNS1_3genE3ELNS1_11target_archE908ELNS1_3gpuE7ELNS1_3repE0EEENS1_30default_config_static_selectorELNS0_4arch9wavefront6targetE1EEEvT1_
	.p2align	8
	.type	_ZN7rocprim17ROCPRIM_400000_NS6detail17trampoline_kernelINS0_14default_configENS1_20scan_config_selectorIfEEZZNS1_9scan_implILNS1_25lookback_scan_determinismE0ELb0ELb0ES3_N6thrust23THRUST_200600_302600_NS6detail15normal_iteratorINS9_10device_ptrIfEEEENSB_INSC_IiEEEEfNS9_4plusIvEEfEEDaPvRmT3_T4_T5_mT6_P12ihipStream_tbENKUlT_T0_E_clISt17integral_constantIbLb0EESV_IbLb1EEEEDaSR_SS_EUlSR_E0_NS1_11comp_targetILNS1_3genE3ELNS1_11target_archE908ELNS1_3gpuE7ELNS1_3repE0EEENS1_30default_config_static_selectorELNS0_4arch9wavefront6targetE1EEEvT1_,@function
_ZN7rocprim17ROCPRIM_400000_NS6detail17trampoline_kernelINS0_14default_configENS1_20scan_config_selectorIfEEZZNS1_9scan_implILNS1_25lookback_scan_determinismE0ELb0ELb0ES3_N6thrust23THRUST_200600_302600_NS6detail15normal_iteratorINS9_10device_ptrIfEEEENSB_INSC_IiEEEEfNS9_4plusIvEEfEEDaPvRmT3_T4_T5_mT6_P12ihipStream_tbENKUlT_T0_E_clISt17integral_constantIbLb0EESV_IbLb1EEEEDaSR_SS_EUlSR_E0_NS1_11comp_targetILNS1_3genE3ELNS1_11target_archE908ELNS1_3gpuE7ELNS1_3repE0EEENS1_30default_config_static_selectorELNS0_4arch9wavefront6targetE1EEEvT1_: ; @_ZN7rocprim17ROCPRIM_400000_NS6detail17trampoline_kernelINS0_14default_configENS1_20scan_config_selectorIfEEZZNS1_9scan_implILNS1_25lookback_scan_determinismE0ELb0ELb0ES3_N6thrust23THRUST_200600_302600_NS6detail15normal_iteratorINS9_10device_ptrIfEEEENSB_INSC_IiEEEEfNS9_4plusIvEEfEEDaPvRmT3_T4_T5_mT6_P12ihipStream_tbENKUlT_T0_E_clISt17integral_constantIbLb0EESV_IbLb1EEEEDaSR_SS_EUlSR_E0_NS1_11comp_targetILNS1_3genE3ELNS1_11target_archE908ELNS1_3gpuE7ELNS1_3repE0EEENS1_30default_config_static_selectorELNS0_4arch9wavefront6targetE1EEEvT1_
; %bb.0:
	.section	.rodata,"a",@progbits
	.p2align	6, 0x0
	.amdhsa_kernel _ZN7rocprim17ROCPRIM_400000_NS6detail17trampoline_kernelINS0_14default_configENS1_20scan_config_selectorIfEEZZNS1_9scan_implILNS1_25lookback_scan_determinismE0ELb0ELb0ES3_N6thrust23THRUST_200600_302600_NS6detail15normal_iteratorINS9_10device_ptrIfEEEENSB_INSC_IiEEEEfNS9_4plusIvEEfEEDaPvRmT3_T4_T5_mT6_P12ihipStream_tbENKUlT_T0_E_clISt17integral_constantIbLb0EESV_IbLb1EEEEDaSR_SS_EUlSR_E0_NS1_11comp_targetILNS1_3genE3ELNS1_11target_archE908ELNS1_3gpuE7ELNS1_3repE0EEENS1_30default_config_static_selectorELNS0_4arch9wavefront6targetE1EEEvT1_
		.amdhsa_group_segment_fixed_size 0
		.amdhsa_private_segment_fixed_size 0
		.amdhsa_kernarg_size 32
		.amdhsa_user_sgpr_count 6
		.amdhsa_user_sgpr_private_segment_buffer 1
		.amdhsa_user_sgpr_dispatch_ptr 0
		.amdhsa_user_sgpr_queue_ptr 0
		.amdhsa_user_sgpr_kernarg_segment_ptr 1
		.amdhsa_user_sgpr_dispatch_id 0
		.amdhsa_user_sgpr_flat_scratch_init 0
		.amdhsa_user_sgpr_kernarg_preload_length 0
		.amdhsa_user_sgpr_kernarg_preload_offset 0
		.amdhsa_user_sgpr_private_segment_size 0
		.amdhsa_uses_dynamic_stack 0
		.amdhsa_system_sgpr_private_segment_wavefront_offset 0
		.amdhsa_system_sgpr_workgroup_id_x 1
		.amdhsa_system_sgpr_workgroup_id_y 0
		.amdhsa_system_sgpr_workgroup_id_z 0
		.amdhsa_system_sgpr_workgroup_info 0
		.amdhsa_system_vgpr_workitem_id 0
		.amdhsa_next_free_vgpr 1
		.amdhsa_next_free_sgpr 0
		.amdhsa_accum_offset 4
		.amdhsa_reserve_vcc 0
		.amdhsa_reserve_flat_scratch 0
		.amdhsa_float_round_mode_32 0
		.amdhsa_float_round_mode_16_64 0
		.amdhsa_float_denorm_mode_32 3
		.amdhsa_float_denorm_mode_16_64 3
		.amdhsa_dx10_clamp 1
		.amdhsa_ieee_mode 1
		.amdhsa_fp16_overflow 0
		.amdhsa_tg_split 0
		.amdhsa_exception_fp_ieee_invalid_op 0
		.amdhsa_exception_fp_denorm_src 0
		.amdhsa_exception_fp_ieee_div_zero 0
		.amdhsa_exception_fp_ieee_overflow 0
		.amdhsa_exception_fp_ieee_underflow 0
		.amdhsa_exception_fp_ieee_inexact 0
		.amdhsa_exception_int_div_zero 0
	.end_amdhsa_kernel
	.section	.text._ZN7rocprim17ROCPRIM_400000_NS6detail17trampoline_kernelINS0_14default_configENS1_20scan_config_selectorIfEEZZNS1_9scan_implILNS1_25lookback_scan_determinismE0ELb0ELb0ES3_N6thrust23THRUST_200600_302600_NS6detail15normal_iteratorINS9_10device_ptrIfEEEENSB_INSC_IiEEEEfNS9_4plusIvEEfEEDaPvRmT3_T4_T5_mT6_P12ihipStream_tbENKUlT_T0_E_clISt17integral_constantIbLb0EESV_IbLb1EEEEDaSR_SS_EUlSR_E0_NS1_11comp_targetILNS1_3genE3ELNS1_11target_archE908ELNS1_3gpuE7ELNS1_3repE0EEENS1_30default_config_static_selectorELNS0_4arch9wavefront6targetE1EEEvT1_,"axG",@progbits,_ZN7rocprim17ROCPRIM_400000_NS6detail17trampoline_kernelINS0_14default_configENS1_20scan_config_selectorIfEEZZNS1_9scan_implILNS1_25lookback_scan_determinismE0ELb0ELb0ES3_N6thrust23THRUST_200600_302600_NS6detail15normal_iteratorINS9_10device_ptrIfEEEENSB_INSC_IiEEEEfNS9_4plusIvEEfEEDaPvRmT3_T4_T5_mT6_P12ihipStream_tbENKUlT_T0_E_clISt17integral_constantIbLb0EESV_IbLb1EEEEDaSR_SS_EUlSR_E0_NS1_11comp_targetILNS1_3genE3ELNS1_11target_archE908ELNS1_3gpuE7ELNS1_3repE0EEENS1_30default_config_static_selectorELNS0_4arch9wavefront6targetE1EEEvT1_,comdat
.Lfunc_end1490:
	.size	_ZN7rocprim17ROCPRIM_400000_NS6detail17trampoline_kernelINS0_14default_configENS1_20scan_config_selectorIfEEZZNS1_9scan_implILNS1_25lookback_scan_determinismE0ELb0ELb0ES3_N6thrust23THRUST_200600_302600_NS6detail15normal_iteratorINS9_10device_ptrIfEEEENSB_INSC_IiEEEEfNS9_4plusIvEEfEEDaPvRmT3_T4_T5_mT6_P12ihipStream_tbENKUlT_T0_E_clISt17integral_constantIbLb0EESV_IbLb1EEEEDaSR_SS_EUlSR_E0_NS1_11comp_targetILNS1_3genE3ELNS1_11target_archE908ELNS1_3gpuE7ELNS1_3repE0EEENS1_30default_config_static_selectorELNS0_4arch9wavefront6targetE1EEEvT1_, .Lfunc_end1490-_ZN7rocprim17ROCPRIM_400000_NS6detail17trampoline_kernelINS0_14default_configENS1_20scan_config_selectorIfEEZZNS1_9scan_implILNS1_25lookback_scan_determinismE0ELb0ELb0ES3_N6thrust23THRUST_200600_302600_NS6detail15normal_iteratorINS9_10device_ptrIfEEEENSB_INSC_IiEEEEfNS9_4plusIvEEfEEDaPvRmT3_T4_T5_mT6_P12ihipStream_tbENKUlT_T0_E_clISt17integral_constantIbLb0EESV_IbLb1EEEEDaSR_SS_EUlSR_E0_NS1_11comp_targetILNS1_3genE3ELNS1_11target_archE908ELNS1_3gpuE7ELNS1_3repE0EEENS1_30default_config_static_selectorELNS0_4arch9wavefront6targetE1EEEvT1_
                                        ; -- End function
	.section	.AMDGPU.csdata,"",@progbits
; Kernel info:
; codeLenInByte = 0
; NumSgprs: 4
; NumVgprs: 0
; NumAgprs: 0
; TotalNumVgprs: 0
; ScratchSize: 0
; MemoryBound: 0
; FloatMode: 240
; IeeeMode: 1
; LDSByteSize: 0 bytes/workgroup (compile time only)
; SGPRBlocks: 0
; VGPRBlocks: 0
; NumSGPRsForWavesPerEU: 4
; NumVGPRsForWavesPerEU: 1
; AccumOffset: 4
; Occupancy: 8
; WaveLimiterHint : 0
; COMPUTE_PGM_RSRC2:SCRATCH_EN: 0
; COMPUTE_PGM_RSRC2:USER_SGPR: 6
; COMPUTE_PGM_RSRC2:TRAP_HANDLER: 0
; COMPUTE_PGM_RSRC2:TGID_X_EN: 1
; COMPUTE_PGM_RSRC2:TGID_Y_EN: 0
; COMPUTE_PGM_RSRC2:TGID_Z_EN: 0
; COMPUTE_PGM_RSRC2:TIDIG_COMP_CNT: 0
; COMPUTE_PGM_RSRC3_GFX90A:ACCUM_OFFSET: 0
; COMPUTE_PGM_RSRC3_GFX90A:TG_SPLIT: 0
	.section	.text._ZN7rocprim17ROCPRIM_400000_NS6detail17trampoline_kernelINS0_14default_configENS1_20scan_config_selectorIfEEZZNS1_9scan_implILNS1_25lookback_scan_determinismE0ELb0ELb0ES3_N6thrust23THRUST_200600_302600_NS6detail15normal_iteratorINS9_10device_ptrIfEEEENSB_INSC_IiEEEEfNS9_4plusIvEEfEEDaPvRmT3_T4_T5_mT6_P12ihipStream_tbENKUlT_T0_E_clISt17integral_constantIbLb0EESV_IbLb1EEEEDaSR_SS_EUlSR_E0_NS1_11comp_targetILNS1_3genE2ELNS1_11target_archE906ELNS1_3gpuE6ELNS1_3repE0EEENS1_30default_config_static_selectorELNS0_4arch9wavefront6targetE1EEEvT1_,"axG",@progbits,_ZN7rocprim17ROCPRIM_400000_NS6detail17trampoline_kernelINS0_14default_configENS1_20scan_config_selectorIfEEZZNS1_9scan_implILNS1_25lookback_scan_determinismE0ELb0ELb0ES3_N6thrust23THRUST_200600_302600_NS6detail15normal_iteratorINS9_10device_ptrIfEEEENSB_INSC_IiEEEEfNS9_4plusIvEEfEEDaPvRmT3_T4_T5_mT6_P12ihipStream_tbENKUlT_T0_E_clISt17integral_constantIbLb0EESV_IbLb1EEEEDaSR_SS_EUlSR_E0_NS1_11comp_targetILNS1_3genE2ELNS1_11target_archE906ELNS1_3gpuE6ELNS1_3repE0EEENS1_30default_config_static_selectorELNS0_4arch9wavefront6targetE1EEEvT1_,comdat
	.protected	_ZN7rocprim17ROCPRIM_400000_NS6detail17trampoline_kernelINS0_14default_configENS1_20scan_config_selectorIfEEZZNS1_9scan_implILNS1_25lookback_scan_determinismE0ELb0ELb0ES3_N6thrust23THRUST_200600_302600_NS6detail15normal_iteratorINS9_10device_ptrIfEEEENSB_INSC_IiEEEEfNS9_4plusIvEEfEEDaPvRmT3_T4_T5_mT6_P12ihipStream_tbENKUlT_T0_E_clISt17integral_constantIbLb0EESV_IbLb1EEEEDaSR_SS_EUlSR_E0_NS1_11comp_targetILNS1_3genE2ELNS1_11target_archE906ELNS1_3gpuE6ELNS1_3repE0EEENS1_30default_config_static_selectorELNS0_4arch9wavefront6targetE1EEEvT1_ ; -- Begin function _ZN7rocprim17ROCPRIM_400000_NS6detail17trampoline_kernelINS0_14default_configENS1_20scan_config_selectorIfEEZZNS1_9scan_implILNS1_25lookback_scan_determinismE0ELb0ELb0ES3_N6thrust23THRUST_200600_302600_NS6detail15normal_iteratorINS9_10device_ptrIfEEEENSB_INSC_IiEEEEfNS9_4plusIvEEfEEDaPvRmT3_T4_T5_mT6_P12ihipStream_tbENKUlT_T0_E_clISt17integral_constantIbLb0EESV_IbLb1EEEEDaSR_SS_EUlSR_E0_NS1_11comp_targetILNS1_3genE2ELNS1_11target_archE906ELNS1_3gpuE6ELNS1_3repE0EEENS1_30default_config_static_selectorELNS0_4arch9wavefront6targetE1EEEvT1_
	.globl	_ZN7rocprim17ROCPRIM_400000_NS6detail17trampoline_kernelINS0_14default_configENS1_20scan_config_selectorIfEEZZNS1_9scan_implILNS1_25lookback_scan_determinismE0ELb0ELb0ES3_N6thrust23THRUST_200600_302600_NS6detail15normal_iteratorINS9_10device_ptrIfEEEENSB_INSC_IiEEEEfNS9_4plusIvEEfEEDaPvRmT3_T4_T5_mT6_P12ihipStream_tbENKUlT_T0_E_clISt17integral_constantIbLb0EESV_IbLb1EEEEDaSR_SS_EUlSR_E0_NS1_11comp_targetILNS1_3genE2ELNS1_11target_archE906ELNS1_3gpuE6ELNS1_3repE0EEENS1_30default_config_static_selectorELNS0_4arch9wavefront6targetE1EEEvT1_
	.p2align	8
	.type	_ZN7rocprim17ROCPRIM_400000_NS6detail17trampoline_kernelINS0_14default_configENS1_20scan_config_selectorIfEEZZNS1_9scan_implILNS1_25lookback_scan_determinismE0ELb0ELb0ES3_N6thrust23THRUST_200600_302600_NS6detail15normal_iteratorINS9_10device_ptrIfEEEENSB_INSC_IiEEEEfNS9_4plusIvEEfEEDaPvRmT3_T4_T5_mT6_P12ihipStream_tbENKUlT_T0_E_clISt17integral_constantIbLb0EESV_IbLb1EEEEDaSR_SS_EUlSR_E0_NS1_11comp_targetILNS1_3genE2ELNS1_11target_archE906ELNS1_3gpuE6ELNS1_3repE0EEENS1_30default_config_static_selectorELNS0_4arch9wavefront6targetE1EEEvT1_,@function
_ZN7rocprim17ROCPRIM_400000_NS6detail17trampoline_kernelINS0_14default_configENS1_20scan_config_selectorIfEEZZNS1_9scan_implILNS1_25lookback_scan_determinismE0ELb0ELb0ES3_N6thrust23THRUST_200600_302600_NS6detail15normal_iteratorINS9_10device_ptrIfEEEENSB_INSC_IiEEEEfNS9_4plusIvEEfEEDaPvRmT3_T4_T5_mT6_P12ihipStream_tbENKUlT_T0_E_clISt17integral_constantIbLb0EESV_IbLb1EEEEDaSR_SS_EUlSR_E0_NS1_11comp_targetILNS1_3genE2ELNS1_11target_archE906ELNS1_3gpuE6ELNS1_3repE0EEENS1_30default_config_static_selectorELNS0_4arch9wavefront6targetE1EEEvT1_: ; @_ZN7rocprim17ROCPRIM_400000_NS6detail17trampoline_kernelINS0_14default_configENS1_20scan_config_selectorIfEEZZNS1_9scan_implILNS1_25lookback_scan_determinismE0ELb0ELb0ES3_N6thrust23THRUST_200600_302600_NS6detail15normal_iteratorINS9_10device_ptrIfEEEENSB_INSC_IiEEEEfNS9_4plusIvEEfEEDaPvRmT3_T4_T5_mT6_P12ihipStream_tbENKUlT_T0_E_clISt17integral_constantIbLb0EESV_IbLb1EEEEDaSR_SS_EUlSR_E0_NS1_11comp_targetILNS1_3genE2ELNS1_11target_archE906ELNS1_3gpuE6ELNS1_3repE0EEENS1_30default_config_static_selectorELNS0_4arch9wavefront6targetE1EEEvT1_
; %bb.0:
	.section	.rodata,"a",@progbits
	.p2align	6, 0x0
	.amdhsa_kernel _ZN7rocprim17ROCPRIM_400000_NS6detail17trampoline_kernelINS0_14default_configENS1_20scan_config_selectorIfEEZZNS1_9scan_implILNS1_25lookback_scan_determinismE0ELb0ELb0ES3_N6thrust23THRUST_200600_302600_NS6detail15normal_iteratorINS9_10device_ptrIfEEEENSB_INSC_IiEEEEfNS9_4plusIvEEfEEDaPvRmT3_T4_T5_mT6_P12ihipStream_tbENKUlT_T0_E_clISt17integral_constantIbLb0EESV_IbLb1EEEEDaSR_SS_EUlSR_E0_NS1_11comp_targetILNS1_3genE2ELNS1_11target_archE906ELNS1_3gpuE6ELNS1_3repE0EEENS1_30default_config_static_selectorELNS0_4arch9wavefront6targetE1EEEvT1_
		.amdhsa_group_segment_fixed_size 0
		.amdhsa_private_segment_fixed_size 0
		.amdhsa_kernarg_size 32
		.amdhsa_user_sgpr_count 6
		.amdhsa_user_sgpr_private_segment_buffer 1
		.amdhsa_user_sgpr_dispatch_ptr 0
		.amdhsa_user_sgpr_queue_ptr 0
		.amdhsa_user_sgpr_kernarg_segment_ptr 1
		.amdhsa_user_sgpr_dispatch_id 0
		.amdhsa_user_sgpr_flat_scratch_init 0
		.amdhsa_user_sgpr_kernarg_preload_length 0
		.amdhsa_user_sgpr_kernarg_preload_offset 0
		.amdhsa_user_sgpr_private_segment_size 0
		.amdhsa_uses_dynamic_stack 0
		.amdhsa_system_sgpr_private_segment_wavefront_offset 0
		.amdhsa_system_sgpr_workgroup_id_x 1
		.amdhsa_system_sgpr_workgroup_id_y 0
		.amdhsa_system_sgpr_workgroup_id_z 0
		.amdhsa_system_sgpr_workgroup_info 0
		.amdhsa_system_vgpr_workitem_id 0
		.amdhsa_next_free_vgpr 1
		.amdhsa_next_free_sgpr 0
		.amdhsa_accum_offset 4
		.amdhsa_reserve_vcc 0
		.amdhsa_reserve_flat_scratch 0
		.amdhsa_float_round_mode_32 0
		.amdhsa_float_round_mode_16_64 0
		.amdhsa_float_denorm_mode_32 3
		.amdhsa_float_denorm_mode_16_64 3
		.amdhsa_dx10_clamp 1
		.amdhsa_ieee_mode 1
		.amdhsa_fp16_overflow 0
		.amdhsa_tg_split 0
		.amdhsa_exception_fp_ieee_invalid_op 0
		.amdhsa_exception_fp_denorm_src 0
		.amdhsa_exception_fp_ieee_div_zero 0
		.amdhsa_exception_fp_ieee_overflow 0
		.amdhsa_exception_fp_ieee_underflow 0
		.amdhsa_exception_fp_ieee_inexact 0
		.amdhsa_exception_int_div_zero 0
	.end_amdhsa_kernel
	.section	.text._ZN7rocprim17ROCPRIM_400000_NS6detail17trampoline_kernelINS0_14default_configENS1_20scan_config_selectorIfEEZZNS1_9scan_implILNS1_25lookback_scan_determinismE0ELb0ELb0ES3_N6thrust23THRUST_200600_302600_NS6detail15normal_iteratorINS9_10device_ptrIfEEEENSB_INSC_IiEEEEfNS9_4plusIvEEfEEDaPvRmT3_T4_T5_mT6_P12ihipStream_tbENKUlT_T0_E_clISt17integral_constantIbLb0EESV_IbLb1EEEEDaSR_SS_EUlSR_E0_NS1_11comp_targetILNS1_3genE2ELNS1_11target_archE906ELNS1_3gpuE6ELNS1_3repE0EEENS1_30default_config_static_selectorELNS0_4arch9wavefront6targetE1EEEvT1_,"axG",@progbits,_ZN7rocprim17ROCPRIM_400000_NS6detail17trampoline_kernelINS0_14default_configENS1_20scan_config_selectorIfEEZZNS1_9scan_implILNS1_25lookback_scan_determinismE0ELb0ELb0ES3_N6thrust23THRUST_200600_302600_NS6detail15normal_iteratorINS9_10device_ptrIfEEEENSB_INSC_IiEEEEfNS9_4plusIvEEfEEDaPvRmT3_T4_T5_mT6_P12ihipStream_tbENKUlT_T0_E_clISt17integral_constantIbLb0EESV_IbLb1EEEEDaSR_SS_EUlSR_E0_NS1_11comp_targetILNS1_3genE2ELNS1_11target_archE906ELNS1_3gpuE6ELNS1_3repE0EEENS1_30default_config_static_selectorELNS0_4arch9wavefront6targetE1EEEvT1_,comdat
.Lfunc_end1491:
	.size	_ZN7rocprim17ROCPRIM_400000_NS6detail17trampoline_kernelINS0_14default_configENS1_20scan_config_selectorIfEEZZNS1_9scan_implILNS1_25lookback_scan_determinismE0ELb0ELb0ES3_N6thrust23THRUST_200600_302600_NS6detail15normal_iteratorINS9_10device_ptrIfEEEENSB_INSC_IiEEEEfNS9_4plusIvEEfEEDaPvRmT3_T4_T5_mT6_P12ihipStream_tbENKUlT_T0_E_clISt17integral_constantIbLb0EESV_IbLb1EEEEDaSR_SS_EUlSR_E0_NS1_11comp_targetILNS1_3genE2ELNS1_11target_archE906ELNS1_3gpuE6ELNS1_3repE0EEENS1_30default_config_static_selectorELNS0_4arch9wavefront6targetE1EEEvT1_, .Lfunc_end1491-_ZN7rocprim17ROCPRIM_400000_NS6detail17trampoline_kernelINS0_14default_configENS1_20scan_config_selectorIfEEZZNS1_9scan_implILNS1_25lookback_scan_determinismE0ELb0ELb0ES3_N6thrust23THRUST_200600_302600_NS6detail15normal_iteratorINS9_10device_ptrIfEEEENSB_INSC_IiEEEEfNS9_4plusIvEEfEEDaPvRmT3_T4_T5_mT6_P12ihipStream_tbENKUlT_T0_E_clISt17integral_constantIbLb0EESV_IbLb1EEEEDaSR_SS_EUlSR_E0_NS1_11comp_targetILNS1_3genE2ELNS1_11target_archE906ELNS1_3gpuE6ELNS1_3repE0EEENS1_30default_config_static_selectorELNS0_4arch9wavefront6targetE1EEEvT1_
                                        ; -- End function
	.section	.AMDGPU.csdata,"",@progbits
; Kernel info:
; codeLenInByte = 0
; NumSgprs: 4
; NumVgprs: 0
; NumAgprs: 0
; TotalNumVgprs: 0
; ScratchSize: 0
; MemoryBound: 0
; FloatMode: 240
; IeeeMode: 1
; LDSByteSize: 0 bytes/workgroup (compile time only)
; SGPRBlocks: 0
; VGPRBlocks: 0
; NumSGPRsForWavesPerEU: 4
; NumVGPRsForWavesPerEU: 1
; AccumOffset: 4
; Occupancy: 8
; WaveLimiterHint : 0
; COMPUTE_PGM_RSRC2:SCRATCH_EN: 0
; COMPUTE_PGM_RSRC2:USER_SGPR: 6
; COMPUTE_PGM_RSRC2:TRAP_HANDLER: 0
; COMPUTE_PGM_RSRC2:TGID_X_EN: 1
; COMPUTE_PGM_RSRC2:TGID_Y_EN: 0
; COMPUTE_PGM_RSRC2:TGID_Z_EN: 0
; COMPUTE_PGM_RSRC2:TIDIG_COMP_CNT: 0
; COMPUTE_PGM_RSRC3_GFX90A:ACCUM_OFFSET: 0
; COMPUTE_PGM_RSRC3_GFX90A:TG_SPLIT: 0
	.section	.text._ZN7rocprim17ROCPRIM_400000_NS6detail17trampoline_kernelINS0_14default_configENS1_20scan_config_selectorIfEEZZNS1_9scan_implILNS1_25lookback_scan_determinismE0ELb0ELb0ES3_N6thrust23THRUST_200600_302600_NS6detail15normal_iteratorINS9_10device_ptrIfEEEENSB_INSC_IiEEEEfNS9_4plusIvEEfEEDaPvRmT3_T4_T5_mT6_P12ihipStream_tbENKUlT_T0_E_clISt17integral_constantIbLb0EESV_IbLb1EEEEDaSR_SS_EUlSR_E0_NS1_11comp_targetILNS1_3genE10ELNS1_11target_archE1201ELNS1_3gpuE5ELNS1_3repE0EEENS1_30default_config_static_selectorELNS0_4arch9wavefront6targetE1EEEvT1_,"axG",@progbits,_ZN7rocprim17ROCPRIM_400000_NS6detail17trampoline_kernelINS0_14default_configENS1_20scan_config_selectorIfEEZZNS1_9scan_implILNS1_25lookback_scan_determinismE0ELb0ELb0ES3_N6thrust23THRUST_200600_302600_NS6detail15normal_iteratorINS9_10device_ptrIfEEEENSB_INSC_IiEEEEfNS9_4plusIvEEfEEDaPvRmT3_T4_T5_mT6_P12ihipStream_tbENKUlT_T0_E_clISt17integral_constantIbLb0EESV_IbLb1EEEEDaSR_SS_EUlSR_E0_NS1_11comp_targetILNS1_3genE10ELNS1_11target_archE1201ELNS1_3gpuE5ELNS1_3repE0EEENS1_30default_config_static_selectorELNS0_4arch9wavefront6targetE1EEEvT1_,comdat
	.protected	_ZN7rocprim17ROCPRIM_400000_NS6detail17trampoline_kernelINS0_14default_configENS1_20scan_config_selectorIfEEZZNS1_9scan_implILNS1_25lookback_scan_determinismE0ELb0ELb0ES3_N6thrust23THRUST_200600_302600_NS6detail15normal_iteratorINS9_10device_ptrIfEEEENSB_INSC_IiEEEEfNS9_4plusIvEEfEEDaPvRmT3_T4_T5_mT6_P12ihipStream_tbENKUlT_T0_E_clISt17integral_constantIbLb0EESV_IbLb1EEEEDaSR_SS_EUlSR_E0_NS1_11comp_targetILNS1_3genE10ELNS1_11target_archE1201ELNS1_3gpuE5ELNS1_3repE0EEENS1_30default_config_static_selectorELNS0_4arch9wavefront6targetE1EEEvT1_ ; -- Begin function _ZN7rocprim17ROCPRIM_400000_NS6detail17trampoline_kernelINS0_14default_configENS1_20scan_config_selectorIfEEZZNS1_9scan_implILNS1_25lookback_scan_determinismE0ELb0ELb0ES3_N6thrust23THRUST_200600_302600_NS6detail15normal_iteratorINS9_10device_ptrIfEEEENSB_INSC_IiEEEEfNS9_4plusIvEEfEEDaPvRmT3_T4_T5_mT6_P12ihipStream_tbENKUlT_T0_E_clISt17integral_constantIbLb0EESV_IbLb1EEEEDaSR_SS_EUlSR_E0_NS1_11comp_targetILNS1_3genE10ELNS1_11target_archE1201ELNS1_3gpuE5ELNS1_3repE0EEENS1_30default_config_static_selectorELNS0_4arch9wavefront6targetE1EEEvT1_
	.globl	_ZN7rocprim17ROCPRIM_400000_NS6detail17trampoline_kernelINS0_14default_configENS1_20scan_config_selectorIfEEZZNS1_9scan_implILNS1_25lookback_scan_determinismE0ELb0ELb0ES3_N6thrust23THRUST_200600_302600_NS6detail15normal_iteratorINS9_10device_ptrIfEEEENSB_INSC_IiEEEEfNS9_4plusIvEEfEEDaPvRmT3_T4_T5_mT6_P12ihipStream_tbENKUlT_T0_E_clISt17integral_constantIbLb0EESV_IbLb1EEEEDaSR_SS_EUlSR_E0_NS1_11comp_targetILNS1_3genE10ELNS1_11target_archE1201ELNS1_3gpuE5ELNS1_3repE0EEENS1_30default_config_static_selectorELNS0_4arch9wavefront6targetE1EEEvT1_
	.p2align	8
	.type	_ZN7rocprim17ROCPRIM_400000_NS6detail17trampoline_kernelINS0_14default_configENS1_20scan_config_selectorIfEEZZNS1_9scan_implILNS1_25lookback_scan_determinismE0ELb0ELb0ES3_N6thrust23THRUST_200600_302600_NS6detail15normal_iteratorINS9_10device_ptrIfEEEENSB_INSC_IiEEEEfNS9_4plusIvEEfEEDaPvRmT3_T4_T5_mT6_P12ihipStream_tbENKUlT_T0_E_clISt17integral_constantIbLb0EESV_IbLb1EEEEDaSR_SS_EUlSR_E0_NS1_11comp_targetILNS1_3genE10ELNS1_11target_archE1201ELNS1_3gpuE5ELNS1_3repE0EEENS1_30default_config_static_selectorELNS0_4arch9wavefront6targetE1EEEvT1_,@function
_ZN7rocprim17ROCPRIM_400000_NS6detail17trampoline_kernelINS0_14default_configENS1_20scan_config_selectorIfEEZZNS1_9scan_implILNS1_25lookback_scan_determinismE0ELb0ELb0ES3_N6thrust23THRUST_200600_302600_NS6detail15normal_iteratorINS9_10device_ptrIfEEEENSB_INSC_IiEEEEfNS9_4plusIvEEfEEDaPvRmT3_T4_T5_mT6_P12ihipStream_tbENKUlT_T0_E_clISt17integral_constantIbLb0EESV_IbLb1EEEEDaSR_SS_EUlSR_E0_NS1_11comp_targetILNS1_3genE10ELNS1_11target_archE1201ELNS1_3gpuE5ELNS1_3repE0EEENS1_30default_config_static_selectorELNS0_4arch9wavefront6targetE1EEEvT1_: ; @_ZN7rocprim17ROCPRIM_400000_NS6detail17trampoline_kernelINS0_14default_configENS1_20scan_config_selectorIfEEZZNS1_9scan_implILNS1_25lookback_scan_determinismE0ELb0ELb0ES3_N6thrust23THRUST_200600_302600_NS6detail15normal_iteratorINS9_10device_ptrIfEEEENSB_INSC_IiEEEEfNS9_4plusIvEEfEEDaPvRmT3_T4_T5_mT6_P12ihipStream_tbENKUlT_T0_E_clISt17integral_constantIbLb0EESV_IbLb1EEEEDaSR_SS_EUlSR_E0_NS1_11comp_targetILNS1_3genE10ELNS1_11target_archE1201ELNS1_3gpuE5ELNS1_3repE0EEENS1_30default_config_static_selectorELNS0_4arch9wavefront6targetE1EEEvT1_
; %bb.0:
	.section	.rodata,"a",@progbits
	.p2align	6, 0x0
	.amdhsa_kernel _ZN7rocprim17ROCPRIM_400000_NS6detail17trampoline_kernelINS0_14default_configENS1_20scan_config_selectorIfEEZZNS1_9scan_implILNS1_25lookback_scan_determinismE0ELb0ELb0ES3_N6thrust23THRUST_200600_302600_NS6detail15normal_iteratorINS9_10device_ptrIfEEEENSB_INSC_IiEEEEfNS9_4plusIvEEfEEDaPvRmT3_T4_T5_mT6_P12ihipStream_tbENKUlT_T0_E_clISt17integral_constantIbLb0EESV_IbLb1EEEEDaSR_SS_EUlSR_E0_NS1_11comp_targetILNS1_3genE10ELNS1_11target_archE1201ELNS1_3gpuE5ELNS1_3repE0EEENS1_30default_config_static_selectorELNS0_4arch9wavefront6targetE1EEEvT1_
		.amdhsa_group_segment_fixed_size 0
		.amdhsa_private_segment_fixed_size 0
		.amdhsa_kernarg_size 32
		.amdhsa_user_sgpr_count 6
		.amdhsa_user_sgpr_private_segment_buffer 1
		.amdhsa_user_sgpr_dispatch_ptr 0
		.amdhsa_user_sgpr_queue_ptr 0
		.amdhsa_user_sgpr_kernarg_segment_ptr 1
		.amdhsa_user_sgpr_dispatch_id 0
		.amdhsa_user_sgpr_flat_scratch_init 0
		.amdhsa_user_sgpr_kernarg_preload_length 0
		.amdhsa_user_sgpr_kernarg_preload_offset 0
		.amdhsa_user_sgpr_private_segment_size 0
		.amdhsa_uses_dynamic_stack 0
		.amdhsa_system_sgpr_private_segment_wavefront_offset 0
		.amdhsa_system_sgpr_workgroup_id_x 1
		.amdhsa_system_sgpr_workgroup_id_y 0
		.amdhsa_system_sgpr_workgroup_id_z 0
		.amdhsa_system_sgpr_workgroup_info 0
		.amdhsa_system_vgpr_workitem_id 0
		.amdhsa_next_free_vgpr 1
		.amdhsa_next_free_sgpr 0
		.amdhsa_accum_offset 4
		.amdhsa_reserve_vcc 0
		.amdhsa_reserve_flat_scratch 0
		.amdhsa_float_round_mode_32 0
		.amdhsa_float_round_mode_16_64 0
		.amdhsa_float_denorm_mode_32 3
		.amdhsa_float_denorm_mode_16_64 3
		.amdhsa_dx10_clamp 1
		.amdhsa_ieee_mode 1
		.amdhsa_fp16_overflow 0
		.amdhsa_tg_split 0
		.amdhsa_exception_fp_ieee_invalid_op 0
		.amdhsa_exception_fp_denorm_src 0
		.amdhsa_exception_fp_ieee_div_zero 0
		.amdhsa_exception_fp_ieee_overflow 0
		.amdhsa_exception_fp_ieee_underflow 0
		.amdhsa_exception_fp_ieee_inexact 0
		.amdhsa_exception_int_div_zero 0
	.end_amdhsa_kernel
	.section	.text._ZN7rocprim17ROCPRIM_400000_NS6detail17trampoline_kernelINS0_14default_configENS1_20scan_config_selectorIfEEZZNS1_9scan_implILNS1_25lookback_scan_determinismE0ELb0ELb0ES3_N6thrust23THRUST_200600_302600_NS6detail15normal_iteratorINS9_10device_ptrIfEEEENSB_INSC_IiEEEEfNS9_4plusIvEEfEEDaPvRmT3_T4_T5_mT6_P12ihipStream_tbENKUlT_T0_E_clISt17integral_constantIbLb0EESV_IbLb1EEEEDaSR_SS_EUlSR_E0_NS1_11comp_targetILNS1_3genE10ELNS1_11target_archE1201ELNS1_3gpuE5ELNS1_3repE0EEENS1_30default_config_static_selectorELNS0_4arch9wavefront6targetE1EEEvT1_,"axG",@progbits,_ZN7rocprim17ROCPRIM_400000_NS6detail17trampoline_kernelINS0_14default_configENS1_20scan_config_selectorIfEEZZNS1_9scan_implILNS1_25lookback_scan_determinismE0ELb0ELb0ES3_N6thrust23THRUST_200600_302600_NS6detail15normal_iteratorINS9_10device_ptrIfEEEENSB_INSC_IiEEEEfNS9_4plusIvEEfEEDaPvRmT3_T4_T5_mT6_P12ihipStream_tbENKUlT_T0_E_clISt17integral_constantIbLb0EESV_IbLb1EEEEDaSR_SS_EUlSR_E0_NS1_11comp_targetILNS1_3genE10ELNS1_11target_archE1201ELNS1_3gpuE5ELNS1_3repE0EEENS1_30default_config_static_selectorELNS0_4arch9wavefront6targetE1EEEvT1_,comdat
.Lfunc_end1492:
	.size	_ZN7rocprim17ROCPRIM_400000_NS6detail17trampoline_kernelINS0_14default_configENS1_20scan_config_selectorIfEEZZNS1_9scan_implILNS1_25lookback_scan_determinismE0ELb0ELb0ES3_N6thrust23THRUST_200600_302600_NS6detail15normal_iteratorINS9_10device_ptrIfEEEENSB_INSC_IiEEEEfNS9_4plusIvEEfEEDaPvRmT3_T4_T5_mT6_P12ihipStream_tbENKUlT_T0_E_clISt17integral_constantIbLb0EESV_IbLb1EEEEDaSR_SS_EUlSR_E0_NS1_11comp_targetILNS1_3genE10ELNS1_11target_archE1201ELNS1_3gpuE5ELNS1_3repE0EEENS1_30default_config_static_selectorELNS0_4arch9wavefront6targetE1EEEvT1_, .Lfunc_end1492-_ZN7rocprim17ROCPRIM_400000_NS6detail17trampoline_kernelINS0_14default_configENS1_20scan_config_selectorIfEEZZNS1_9scan_implILNS1_25lookback_scan_determinismE0ELb0ELb0ES3_N6thrust23THRUST_200600_302600_NS6detail15normal_iteratorINS9_10device_ptrIfEEEENSB_INSC_IiEEEEfNS9_4plusIvEEfEEDaPvRmT3_T4_T5_mT6_P12ihipStream_tbENKUlT_T0_E_clISt17integral_constantIbLb0EESV_IbLb1EEEEDaSR_SS_EUlSR_E0_NS1_11comp_targetILNS1_3genE10ELNS1_11target_archE1201ELNS1_3gpuE5ELNS1_3repE0EEENS1_30default_config_static_selectorELNS0_4arch9wavefront6targetE1EEEvT1_
                                        ; -- End function
	.section	.AMDGPU.csdata,"",@progbits
; Kernel info:
; codeLenInByte = 0
; NumSgprs: 4
; NumVgprs: 0
; NumAgprs: 0
; TotalNumVgprs: 0
; ScratchSize: 0
; MemoryBound: 0
; FloatMode: 240
; IeeeMode: 1
; LDSByteSize: 0 bytes/workgroup (compile time only)
; SGPRBlocks: 0
; VGPRBlocks: 0
; NumSGPRsForWavesPerEU: 4
; NumVGPRsForWavesPerEU: 1
; AccumOffset: 4
; Occupancy: 8
; WaveLimiterHint : 0
; COMPUTE_PGM_RSRC2:SCRATCH_EN: 0
; COMPUTE_PGM_RSRC2:USER_SGPR: 6
; COMPUTE_PGM_RSRC2:TRAP_HANDLER: 0
; COMPUTE_PGM_RSRC2:TGID_X_EN: 1
; COMPUTE_PGM_RSRC2:TGID_Y_EN: 0
; COMPUTE_PGM_RSRC2:TGID_Z_EN: 0
; COMPUTE_PGM_RSRC2:TIDIG_COMP_CNT: 0
; COMPUTE_PGM_RSRC3_GFX90A:ACCUM_OFFSET: 0
; COMPUTE_PGM_RSRC3_GFX90A:TG_SPLIT: 0
	.section	.text._ZN7rocprim17ROCPRIM_400000_NS6detail17trampoline_kernelINS0_14default_configENS1_20scan_config_selectorIfEEZZNS1_9scan_implILNS1_25lookback_scan_determinismE0ELb0ELb0ES3_N6thrust23THRUST_200600_302600_NS6detail15normal_iteratorINS9_10device_ptrIfEEEENSB_INSC_IiEEEEfNS9_4plusIvEEfEEDaPvRmT3_T4_T5_mT6_P12ihipStream_tbENKUlT_T0_E_clISt17integral_constantIbLb0EESV_IbLb1EEEEDaSR_SS_EUlSR_E0_NS1_11comp_targetILNS1_3genE10ELNS1_11target_archE1200ELNS1_3gpuE4ELNS1_3repE0EEENS1_30default_config_static_selectorELNS0_4arch9wavefront6targetE1EEEvT1_,"axG",@progbits,_ZN7rocprim17ROCPRIM_400000_NS6detail17trampoline_kernelINS0_14default_configENS1_20scan_config_selectorIfEEZZNS1_9scan_implILNS1_25lookback_scan_determinismE0ELb0ELb0ES3_N6thrust23THRUST_200600_302600_NS6detail15normal_iteratorINS9_10device_ptrIfEEEENSB_INSC_IiEEEEfNS9_4plusIvEEfEEDaPvRmT3_T4_T5_mT6_P12ihipStream_tbENKUlT_T0_E_clISt17integral_constantIbLb0EESV_IbLb1EEEEDaSR_SS_EUlSR_E0_NS1_11comp_targetILNS1_3genE10ELNS1_11target_archE1200ELNS1_3gpuE4ELNS1_3repE0EEENS1_30default_config_static_selectorELNS0_4arch9wavefront6targetE1EEEvT1_,comdat
	.protected	_ZN7rocprim17ROCPRIM_400000_NS6detail17trampoline_kernelINS0_14default_configENS1_20scan_config_selectorIfEEZZNS1_9scan_implILNS1_25lookback_scan_determinismE0ELb0ELb0ES3_N6thrust23THRUST_200600_302600_NS6detail15normal_iteratorINS9_10device_ptrIfEEEENSB_INSC_IiEEEEfNS9_4plusIvEEfEEDaPvRmT3_T4_T5_mT6_P12ihipStream_tbENKUlT_T0_E_clISt17integral_constantIbLb0EESV_IbLb1EEEEDaSR_SS_EUlSR_E0_NS1_11comp_targetILNS1_3genE10ELNS1_11target_archE1200ELNS1_3gpuE4ELNS1_3repE0EEENS1_30default_config_static_selectorELNS0_4arch9wavefront6targetE1EEEvT1_ ; -- Begin function _ZN7rocprim17ROCPRIM_400000_NS6detail17trampoline_kernelINS0_14default_configENS1_20scan_config_selectorIfEEZZNS1_9scan_implILNS1_25lookback_scan_determinismE0ELb0ELb0ES3_N6thrust23THRUST_200600_302600_NS6detail15normal_iteratorINS9_10device_ptrIfEEEENSB_INSC_IiEEEEfNS9_4plusIvEEfEEDaPvRmT3_T4_T5_mT6_P12ihipStream_tbENKUlT_T0_E_clISt17integral_constantIbLb0EESV_IbLb1EEEEDaSR_SS_EUlSR_E0_NS1_11comp_targetILNS1_3genE10ELNS1_11target_archE1200ELNS1_3gpuE4ELNS1_3repE0EEENS1_30default_config_static_selectorELNS0_4arch9wavefront6targetE1EEEvT1_
	.globl	_ZN7rocprim17ROCPRIM_400000_NS6detail17trampoline_kernelINS0_14default_configENS1_20scan_config_selectorIfEEZZNS1_9scan_implILNS1_25lookback_scan_determinismE0ELb0ELb0ES3_N6thrust23THRUST_200600_302600_NS6detail15normal_iteratorINS9_10device_ptrIfEEEENSB_INSC_IiEEEEfNS9_4plusIvEEfEEDaPvRmT3_T4_T5_mT6_P12ihipStream_tbENKUlT_T0_E_clISt17integral_constantIbLb0EESV_IbLb1EEEEDaSR_SS_EUlSR_E0_NS1_11comp_targetILNS1_3genE10ELNS1_11target_archE1200ELNS1_3gpuE4ELNS1_3repE0EEENS1_30default_config_static_selectorELNS0_4arch9wavefront6targetE1EEEvT1_
	.p2align	8
	.type	_ZN7rocprim17ROCPRIM_400000_NS6detail17trampoline_kernelINS0_14default_configENS1_20scan_config_selectorIfEEZZNS1_9scan_implILNS1_25lookback_scan_determinismE0ELb0ELb0ES3_N6thrust23THRUST_200600_302600_NS6detail15normal_iteratorINS9_10device_ptrIfEEEENSB_INSC_IiEEEEfNS9_4plusIvEEfEEDaPvRmT3_T4_T5_mT6_P12ihipStream_tbENKUlT_T0_E_clISt17integral_constantIbLb0EESV_IbLb1EEEEDaSR_SS_EUlSR_E0_NS1_11comp_targetILNS1_3genE10ELNS1_11target_archE1200ELNS1_3gpuE4ELNS1_3repE0EEENS1_30default_config_static_selectorELNS0_4arch9wavefront6targetE1EEEvT1_,@function
_ZN7rocprim17ROCPRIM_400000_NS6detail17trampoline_kernelINS0_14default_configENS1_20scan_config_selectorIfEEZZNS1_9scan_implILNS1_25lookback_scan_determinismE0ELb0ELb0ES3_N6thrust23THRUST_200600_302600_NS6detail15normal_iteratorINS9_10device_ptrIfEEEENSB_INSC_IiEEEEfNS9_4plusIvEEfEEDaPvRmT3_T4_T5_mT6_P12ihipStream_tbENKUlT_T0_E_clISt17integral_constantIbLb0EESV_IbLb1EEEEDaSR_SS_EUlSR_E0_NS1_11comp_targetILNS1_3genE10ELNS1_11target_archE1200ELNS1_3gpuE4ELNS1_3repE0EEENS1_30default_config_static_selectorELNS0_4arch9wavefront6targetE1EEEvT1_: ; @_ZN7rocprim17ROCPRIM_400000_NS6detail17trampoline_kernelINS0_14default_configENS1_20scan_config_selectorIfEEZZNS1_9scan_implILNS1_25lookback_scan_determinismE0ELb0ELb0ES3_N6thrust23THRUST_200600_302600_NS6detail15normal_iteratorINS9_10device_ptrIfEEEENSB_INSC_IiEEEEfNS9_4plusIvEEfEEDaPvRmT3_T4_T5_mT6_P12ihipStream_tbENKUlT_T0_E_clISt17integral_constantIbLb0EESV_IbLb1EEEEDaSR_SS_EUlSR_E0_NS1_11comp_targetILNS1_3genE10ELNS1_11target_archE1200ELNS1_3gpuE4ELNS1_3repE0EEENS1_30default_config_static_selectorELNS0_4arch9wavefront6targetE1EEEvT1_
; %bb.0:
	.section	.rodata,"a",@progbits
	.p2align	6, 0x0
	.amdhsa_kernel _ZN7rocprim17ROCPRIM_400000_NS6detail17trampoline_kernelINS0_14default_configENS1_20scan_config_selectorIfEEZZNS1_9scan_implILNS1_25lookback_scan_determinismE0ELb0ELb0ES3_N6thrust23THRUST_200600_302600_NS6detail15normal_iteratorINS9_10device_ptrIfEEEENSB_INSC_IiEEEEfNS9_4plusIvEEfEEDaPvRmT3_T4_T5_mT6_P12ihipStream_tbENKUlT_T0_E_clISt17integral_constantIbLb0EESV_IbLb1EEEEDaSR_SS_EUlSR_E0_NS1_11comp_targetILNS1_3genE10ELNS1_11target_archE1200ELNS1_3gpuE4ELNS1_3repE0EEENS1_30default_config_static_selectorELNS0_4arch9wavefront6targetE1EEEvT1_
		.amdhsa_group_segment_fixed_size 0
		.amdhsa_private_segment_fixed_size 0
		.amdhsa_kernarg_size 32
		.amdhsa_user_sgpr_count 6
		.amdhsa_user_sgpr_private_segment_buffer 1
		.amdhsa_user_sgpr_dispatch_ptr 0
		.amdhsa_user_sgpr_queue_ptr 0
		.amdhsa_user_sgpr_kernarg_segment_ptr 1
		.amdhsa_user_sgpr_dispatch_id 0
		.amdhsa_user_sgpr_flat_scratch_init 0
		.amdhsa_user_sgpr_kernarg_preload_length 0
		.amdhsa_user_sgpr_kernarg_preload_offset 0
		.amdhsa_user_sgpr_private_segment_size 0
		.amdhsa_uses_dynamic_stack 0
		.amdhsa_system_sgpr_private_segment_wavefront_offset 0
		.amdhsa_system_sgpr_workgroup_id_x 1
		.amdhsa_system_sgpr_workgroup_id_y 0
		.amdhsa_system_sgpr_workgroup_id_z 0
		.amdhsa_system_sgpr_workgroup_info 0
		.amdhsa_system_vgpr_workitem_id 0
		.amdhsa_next_free_vgpr 1
		.amdhsa_next_free_sgpr 0
		.amdhsa_accum_offset 4
		.amdhsa_reserve_vcc 0
		.amdhsa_reserve_flat_scratch 0
		.amdhsa_float_round_mode_32 0
		.amdhsa_float_round_mode_16_64 0
		.amdhsa_float_denorm_mode_32 3
		.amdhsa_float_denorm_mode_16_64 3
		.amdhsa_dx10_clamp 1
		.amdhsa_ieee_mode 1
		.amdhsa_fp16_overflow 0
		.amdhsa_tg_split 0
		.amdhsa_exception_fp_ieee_invalid_op 0
		.amdhsa_exception_fp_denorm_src 0
		.amdhsa_exception_fp_ieee_div_zero 0
		.amdhsa_exception_fp_ieee_overflow 0
		.amdhsa_exception_fp_ieee_underflow 0
		.amdhsa_exception_fp_ieee_inexact 0
		.amdhsa_exception_int_div_zero 0
	.end_amdhsa_kernel
	.section	.text._ZN7rocprim17ROCPRIM_400000_NS6detail17trampoline_kernelINS0_14default_configENS1_20scan_config_selectorIfEEZZNS1_9scan_implILNS1_25lookback_scan_determinismE0ELb0ELb0ES3_N6thrust23THRUST_200600_302600_NS6detail15normal_iteratorINS9_10device_ptrIfEEEENSB_INSC_IiEEEEfNS9_4plusIvEEfEEDaPvRmT3_T4_T5_mT6_P12ihipStream_tbENKUlT_T0_E_clISt17integral_constantIbLb0EESV_IbLb1EEEEDaSR_SS_EUlSR_E0_NS1_11comp_targetILNS1_3genE10ELNS1_11target_archE1200ELNS1_3gpuE4ELNS1_3repE0EEENS1_30default_config_static_selectorELNS0_4arch9wavefront6targetE1EEEvT1_,"axG",@progbits,_ZN7rocprim17ROCPRIM_400000_NS6detail17trampoline_kernelINS0_14default_configENS1_20scan_config_selectorIfEEZZNS1_9scan_implILNS1_25lookback_scan_determinismE0ELb0ELb0ES3_N6thrust23THRUST_200600_302600_NS6detail15normal_iteratorINS9_10device_ptrIfEEEENSB_INSC_IiEEEEfNS9_4plusIvEEfEEDaPvRmT3_T4_T5_mT6_P12ihipStream_tbENKUlT_T0_E_clISt17integral_constantIbLb0EESV_IbLb1EEEEDaSR_SS_EUlSR_E0_NS1_11comp_targetILNS1_3genE10ELNS1_11target_archE1200ELNS1_3gpuE4ELNS1_3repE0EEENS1_30default_config_static_selectorELNS0_4arch9wavefront6targetE1EEEvT1_,comdat
.Lfunc_end1493:
	.size	_ZN7rocprim17ROCPRIM_400000_NS6detail17trampoline_kernelINS0_14default_configENS1_20scan_config_selectorIfEEZZNS1_9scan_implILNS1_25lookback_scan_determinismE0ELb0ELb0ES3_N6thrust23THRUST_200600_302600_NS6detail15normal_iteratorINS9_10device_ptrIfEEEENSB_INSC_IiEEEEfNS9_4plusIvEEfEEDaPvRmT3_T4_T5_mT6_P12ihipStream_tbENKUlT_T0_E_clISt17integral_constantIbLb0EESV_IbLb1EEEEDaSR_SS_EUlSR_E0_NS1_11comp_targetILNS1_3genE10ELNS1_11target_archE1200ELNS1_3gpuE4ELNS1_3repE0EEENS1_30default_config_static_selectorELNS0_4arch9wavefront6targetE1EEEvT1_, .Lfunc_end1493-_ZN7rocprim17ROCPRIM_400000_NS6detail17trampoline_kernelINS0_14default_configENS1_20scan_config_selectorIfEEZZNS1_9scan_implILNS1_25lookback_scan_determinismE0ELb0ELb0ES3_N6thrust23THRUST_200600_302600_NS6detail15normal_iteratorINS9_10device_ptrIfEEEENSB_INSC_IiEEEEfNS9_4plusIvEEfEEDaPvRmT3_T4_T5_mT6_P12ihipStream_tbENKUlT_T0_E_clISt17integral_constantIbLb0EESV_IbLb1EEEEDaSR_SS_EUlSR_E0_NS1_11comp_targetILNS1_3genE10ELNS1_11target_archE1200ELNS1_3gpuE4ELNS1_3repE0EEENS1_30default_config_static_selectorELNS0_4arch9wavefront6targetE1EEEvT1_
                                        ; -- End function
	.section	.AMDGPU.csdata,"",@progbits
; Kernel info:
; codeLenInByte = 0
; NumSgprs: 4
; NumVgprs: 0
; NumAgprs: 0
; TotalNumVgprs: 0
; ScratchSize: 0
; MemoryBound: 0
; FloatMode: 240
; IeeeMode: 1
; LDSByteSize: 0 bytes/workgroup (compile time only)
; SGPRBlocks: 0
; VGPRBlocks: 0
; NumSGPRsForWavesPerEU: 4
; NumVGPRsForWavesPerEU: 1
; AccumOffset: 4
; Occupancy: 8
; WaveLimiterHint : 0
; COMPUTE_PGM_RSRC2:SCRATCH_EN: 0
; COMPUTE_PGM_RSRC2:USER_SGPR: 6
; COMPUTE_PGM_RSRC2:TRAP_HANDLER: 0
; COMPUTE_PGM_RSRC2:TGID_X_EN: 1
; COMPUTE_PGM_RSRC2:TGID_Y_EN: 0
; COMPUTE_PGM_RSRC2:TGID_Z_EN: 0
; COMPUTE_PGM_RSRC2:TIDIG_COMP_CNT: 0
; COMPUTE_PGM_RSRC3_GFX90A:ACCUM_OFFSET: 0
; COMPUTE_PGM_RSRC3_GFX90A:TG_SPLIT: 0
	.section	.text._ZN7rocprim17ROCPRIM_400000_NS6detail17trampoline_kernelINS0_14default_configENS1_20scan_config_selectorIfEEZZNS1_9scan_implILNS1_25lookback_scan_determinismE0ELb0ELb0ES3_N6thrust23THRUST_200600_302600_NS6detail15normal_iteratorINS9_10device_ptrIfEEEENSB_INSC_IiEEEEfNS9_4plusIvEEfEEDaPvRmT3_T4_T5_mT6_P12ihipStream_tbENKUlT_T0_E_clISt17integral_constantIbLb0EESV_IbLb1EEEEDaSR_SS_EUlSR_E0_NS1_11comp_targetILNS1_3genE9ELNS1_11target_archE1100ELNS1_3gpuE3ELNS1_3repE0EEENS1_30default_config_static_selectorELNS0_4arch9wavefront6targetE1EEEvT1_,"axG",@progbits,_ZN7rocprim17ROCPRIM_400000_NS6detail17trampoline_kernelINS0_14default_configENS1_20scan_config_selectorIfEEZZNS1_9scan_implILNS1_25lookback_scan_determinismE0ELb0ELb0ES3_N6thrust23THRUST_200600_302600_NS6detail15normal_iteratorINS9_10device_ptrIfEEEENSB_INSC_IiEEEEfNS9_4plusIvEEfEEDaPvRmT3_T4_T5_mT6_P12ihipStream_tbENKUlT_T0_E_clISt17integral_constantIbLb0EESV_IbLb1EEEEDaSR_SS_EUlSR_E0_NS1_11comp_targetILNS1_3genE9ELNS1_11target_archE1100ELNS1_3gpuE3ELNS1_3repE0EEENS1_30default_config_static_selectorELNS0_4arch9wavefront6targetE1EEEvT1_,comdat
	.protected	_ZN7rocprim17ROCPRIM_400000_NS6detail17trampoline_kernelINS0_14default_configENS1_20scan_config_selectorIfEEZZNS1_9scan_implILNS1_25lookback_scan_determinismE0ELb0ELb0ES3_N6thrust23THRUST_200600_302600_NS6detail15normal_iteratorINS9_10device_ptrIfEEEENSB_INSC_IiEEEEfNS9_4plusIvEEfEEDaPvRmT3_T4_T5_mT6_P12ihipStream_tbENKUlT_T0_E_clISt17integral_constantIbLb0EESV_IbLb1EEEEDaSR_SS_EUlSR_E0_NS1_11comp_targetILNS1_3genE9ELNS1_11target_archE1100ELNS1_3gpuE3ELNS1_3repE0EEENS1_30default_config_static_selectorELNS0_4arch9wavefront6targetE1EEEvT1_ ; -- Begin function _ZN7rocprim17ROCPRIM_400000_NS6detail17trampoline_kernelINS0_14default_configENS1_20scan_config_selectorIfEEZZNS1_9scan_implILNS1_25lookback_scan_determinismE0ELb0ELb0ES3_N6thrust23THRUST_200600_302600_NS6detail15normal_iteratorINS9_10device_ptrIfEEEENSB_INSC_IiEEEEfNS9_4plusIvEEfEEDaPvRmT3_T4_T5_mT6_P12ihipStream_tbENKUlT_T0_E_clISt17integral_constantIbLb0EESV_IbLb1EEEEDaSR_SS_EUlSR_E0_NS1_11comp_targetILNS1_3genE9ELNS1_11target_archE1100ELNS1_3gpuE3ELNS1_3repE0EEENS1_30default_config_static_selectorELNS0_4arch9wavefront6targetE1EEEvT1_
	.globl	_ZN7rocprim17ROCPRIM_400000_NS6detail17trampoline_kernelINS0_14default_configENS1_20scan_config_selectorIfEEZZNS1_9scan_implILNS1_25lookback_scan_determinismE0ELb0ELb0ES3_N6thrust23THRUST_200600_302600_NS6detail15normal_iteratorINS9_10device_ptrIfEEEENSB_INSC_IiEEEEfNS9_4plusIvEEfEEDaPvRmT3_T4_T5_mT6_P12ihipStream_tbENKUlT_T0_E_clISt17integral_constantIbLb0EESV_IbLb1EEEEDaSR_SS_EUlSR_E0_NS1_11comp_targetILNS1_3genE9ELNS1_11target_archE1100ELNS1_3gpuE3ELNS1_3repE0EEENS1_30default_config_static_selectorELNS0_4arch9wavefront6targetE1EEEvT1_
	.p2align	8
	.type	_ZN7rocprim17ROCPRIM_400000_NS6detail17trampoline_kernelINS0_14default_configENS1_20scan_config_selectorIfEEZZNS1_9scan_implILNS1_25lookback_scan_determinismE0ELb0ELb0ES3_N6thrust23THRUST_200600_302600_NS6detail15normal_iteratorINS9_10device_ptrIfEEEENSB_INSC_IiEEEEfNS9_4plusIvEEfEEDaPvRmT3_T4_T5_mT6_P12ihipStream_tbENKUlT_T0_E_clISt17integral_constantIbLb0EESV_IbLb1EEEEDaSR_SS_EUlSR_E0_NS1_11comp_targetILNS1_3genE9ELNS1_11target_archE1100ELNS1_3gpuE3ELNS1_3repE0EEENS1_30default_config_static_selectorELNS0_4arch9wavefront6targetE1EEEvT1_,@function
_ZN7rocprim17ROCPRIM_400000_NS6detail17trampoline_kernelINS0_14default_configENS1_20scan_config_selectorIfEEZZNS1_9scan_implILNS1_25lookback_scan_determinismE0ELb0ELb0ES3_N6thrust23THRUST_200600_302600_NS6detail15normal_iteratorINS9_10device_ptrIfEEEENSB_INSC_IiEEEEfNS9_4plusIvEEfEEDaPvRmT3_T4_T5_mT6_P12ihipStream_tbENKUlT_T0_E_clISt17integral_constantIbLb0EESV_IbLb1EEEEDaSR_SS_EUlSR_E0_NS1_11comp_targetILNS1_3genE9ELNS1_11target_archE1100ELNS1_3gpuE3ELNS1_3repE0EEENS1_30default_config_static_selectorELNS0_4arch9wavefront6targetE1EEEvT1_: ; @_ZN7rocprim17ROCPRIM_400000_NS6detail17trampoline_kernelINS0_14default_configENS1_20scan_config_selectorIfEEZZNS1_9scan_implILNS1_25lookback_scan_determinismE0ELb0ELb0ES3_N6thrust23THRUST_200600_302600_NS6detail15normal_iteratorINS9_10device_ptrIfEEEENSB_INSC_IiEEEEfNS9_4plusIvEEfEEDaPvRmT3_T4_T5_mT6_P12ihipStream_tbENKUlT_T0_E_clISt17integral_constantIbLb0EESV_IbLb1EEEEDaSR_SS_EUlSR_E0_NS1_11comp_targetILNS1_3genE9ELNS1_11target_archE1100ELNS1_3gpuE3ELNS1_3repE0EEENS1_30default_config_static_selectorELNS0_4arch9wavefront6targetE1EEEvT1_
; %bb.0:
	.section	.rodata,"a",@progbits
	.p2align	6, 0x0
	.amdhsa_kernel _ZN7rocprim17ROCPRIM_400000_NS6detail17trampoline_kernelINS0_14default_configENS1_20scan_config_selectorIfEEZZNS1_9scan_implILNS1_25lookback_scan_determinismE0ELb0ELb0ES3_N6thrust23THRUST_200600_302600_NS6detail15normal_iteratorINS9_10device_ptrIfEEEENSB_INSC_IiEEEEfNS9_4plusIvEEfEEDaPvRmT3_T4_T5_mT6_P12ihipStream_tbENKUlT_T0_E_clISt17integral_constantIbLb0EESV_IbLb1EEEEDaSR_SS_EUlSR_E0_NS1_11comp_targetILNS1_3genE9ELNS1_11target_archE1100ELNS1_3gpuE3ELNS1_3repE0EEENS1_30default_config_static_selectorELNS0_4arch9wavefront6targetE1EEEvT1_
		.amdhsa_group_segment_fixed_size 0
		.amdhsa_private_segment_fixed_size 0
		.amdhsa_kernarg_size 32
		.amdhsa_user_sgpr_count 6
		.amdhsa_user_sgpr_private_segment_buffer 1
		.amdhsa_user_sgpr_dispatch_ptr 0
		.amdhsa_user_sgpr_queue_ptr 0
		.amdhsa_user_sgpr_kernarg_segment_ptr 1
		.amdhsa_user_sgpr_dispatch_id 0
		.amdhsa_user_sgpr_flat_scratch_init 0
		.amdhsa_user_sgpr_kernarg_preload_length 0
		.amdhsa_user_sgpr_kernarg_preload_offset 0
		.amdhsa_user_sgpr_private_segment_size 0
		.amdhsa_uses_dynamic_stack 0
		.amdhsa_system_sgpr_private_segment_wavefront_offset 0
		.amdhsa_system_sgpr_workgroup_id_x 1
		.amdhsa_system_sgpr_workgroup_id_y 0
		.amdhsa_system_sgpr_workgroup_id_z 0
		.amdhsa_system_sgpr_workgroup_info 0
		.amdhsa_system_vgpr_workitem_id 0
		.amdhsa_next_free_vgpr 1
		.amdhsa_next_free_sgpr 0
		.amdhsa_accum_offset 4
		.amdhsa_reserve_vcc 0
		.amdhsa_reserve_flat_scratch 0
		.amdhsa_float_round_mode_32 0
		.amdhsa_float_round_mode_16_64 0
		.amdhsa_float_denorm_mode_32 3
		.amdhsa_float_denorm_mode_16_64 3
		.amdhsa_dx10_clamp 1
		.amdhsa_ieee_mode 1
		.amdhsa_fp16_overflow 0
		.amdhsa_tg_split 0
		.amdhsa_exception_fp_ieee_invalid_op 0
		.amdhsa_exception_fp_denorm_src 0
		.amdhsa_exception_fp_ieee_div_zero 0
		.amdhsa_exception_fp_ieee_overflow 0
		.amdhsa_exception_fp_ieee_underflow 0
		.amdhsa_exception_fp_ieee_inexact 0
		.amdhsa_exception_int_div_zero 0
	.end_amdhsa_kernel
	.section	.text._ZN7rocprim17ROCPRIM_400000_NS6detail17trampoline_kernelINS0_14default_configENS1_20scan_config_selectorIfEEZZNS1_9scan_implILNS1_25lookback_scan_determinismE0ELb0ELb0ES3_N6thrust23THRUST_200600_302600_NS6detail15normal_iteratorINS9_10device_ptrIfEEEENSB_INSC_IiEEEEfNS9_4plusIvEEfEEDaPvRmT3_T4_T5_mT6_P12ihipStream_tbENKUlT_T0_E_clISt17integral_constantIbLb0EESV_IbLb1EEEEDaSR_SS_EUlSR_E0_NS1_11comp_targetILNS1_3genE9ELNS1_11target_archE1100ELNS1_3gpuE3ELNS1_3repE0EEENS1_30default_config_static_selectorELNS0_4arch9wavefront6targetE1EEEvT1_,"axG",@progbits,_ZN7rocprim17ROCPRIM_400000_NS6detail17trampoline_kernelINS0_14default_configENS1_20scan_config_selectorIfEEZZNS1_9scan_implILNS1_25lookback_scan_determinismE0ELb0ELb0ES3_N6thrust23THRUST_200600_302600_NS6detail15normal_iteratorINS9_10device_ptrIfEEEENSB_INSC_IiEEEEfNS9_4plusIvEEfEEDaPvRmT3_T4_T5_mT6_P12ihipStream_tbENKUlT_T0_E_clISt17integral_constantIbLb0EESV_IbLb1EEEEDaSR_SS_EUlSR_E0_NS1_11comp_targetILNS1_3genE9ELNS1_11target_archE1100ELNS1_3gpuE3ELNS1_3repE0EEENS1_30default_config_static_selectorELNS0_4arch9wavefront6targetE1EEEvT1_,comdat
.Lfunc_end1494:
	.size	_ZN7rocprim17ROCPRIM_400000_NS6detail17trampoline_kernelINS0_14default_configENS1_20scan_config_selectorIfEEZZNS1_9scan_implILNS1_25lookback_scan_determinismE0ELb0ELb0ES3_N6thrust23THRUST_200600_302600_NS6detail15normal_iteratorINS9_10device_ptrIfEEEENSB_INSC_IiEEEEfNS9_4plusIvEEfEEDaPvRmT3_T4_T5_mT6_P12ihipStream_tbENKUlT_T0_E_clISt17integral_constantIbLb0EESV_IbLb1EEEEDaSR_SS_EUlSR_E0_NS1_11comp_targetILNS1_3genE9ELNS1_11target_archE1100ELNS1_3gpuE3ELNS1_3repE0EEENS1_30default_config_static_selectorELNS0_4arch9wavefront6targetE1EEEvT1_, .Lfunc_end1494-_ZN7rocprim17ROCPRIM_400000_NS6detail17trampoline_kernelINS0_14default_configENS1_20scan_config_selectorIfEEZZNS1_9scan_implILNS1_25lookback_scan_determinismE0ELb0ELb0ES3_N6thrust23THRUST_200600_302600_NS6detail15normal_iteratorINS9_10device_ptrIfEEEENSB_INSC_IiEEEEfNS9_4plusIvEEfEEDaPvRmT3_T4_T5_mT6_P12ihipStream_tbENKUlT_T0_E_clISt17integral_constantIbLb0EESV_IbLb1EEEEDaSR_SS_EUlSR_E0_NS1_11comp_targetILNS1_3genE9ELNS1_11target_archE1100ELNS1_3gpuE3ELNS1_3repE0EEENS1_30default_config_static_selectorELNS0_4arch9wavefront6targetE1EEEvT1_
                                        ; -- End function
	.section	.AMDGPU.csdata,"",@progbits
; Kernel info:
; codeLenInByte = 0
; NumSgprs: 4
; NumVgprs: 0
; NumAgprs: 0
; TotalNumVgprs: 0
; ScratchSize: 0
; MemoryBound: 0
; FloatMode: 240
; IeeeMode: 1
; LDSByteSize: 0 bytes/workgroup (compile time only)
; SGPRBlocks: 0
; VGPRBlocks: 0
; NumSGPRsForWavesPerEU: 4
; NumVGPRsForWavesPerEU: 1
; AccumOffset: 4
; Occupancy: 8
; WaveLimiterHint : 0
; COMPUTE_PGM_RSRC2:SCRATCH_EN: 0
; COMPUTE_PGM_RSRC2:USER_SGPR: 6
; COMPUTE_PGM_RSRC2:TRAP_HANDLER: 0
; COMPUTE_PGM_RSRC2:TGID_X_EN: 1
; COMPUTE_PGM_RSRC2:TGID_Y_EN: 0
; COMPUTE_PGM_RSRC2:TGID_Z_EN: 0
; COMPUTE_PGM_RSRC2:TIDIG_COMP_CNT: 0
; COMPUTE_PGM_RSRC3_GFX90A:ACCUM_OFFSET: 0
; COMPUTE_PGM_RSRC3_GFX90A:TG_SPLIT: 0
	.section	.text._ZN7rocprim17ROCPRIM_400000_NS6detail17trampoline_kernelINS0_14default_configENS1_20scan_config_selectorIfEEZZNS1_9scan_implILNS1_25lookback_scan_determinismE0ELb0ELb0ES3_N6thrust23THRUST_200600_302600_NS6detail15normal_iteratorINS9_10device_ptrIfEEEENSB_INSC_IiEEEEfNS9_4plusIvEEfEEDaPvRmT3_T4_T5_mT6_P12ihipStream_tbENKUlT_T0_E_clISt17integral_constantIbLb0EESV_IbLb1EEEEDaSR_SS_EUlSR_E0_NS1_11comp_targetILNS1_3genE8ELNS1_11target_archE1030ELNS1_3gpuE2ELNS1_3repE0EEENS1_30default_config_static_selectorELNS0_4arch9wavefront6targetE1EEEvT1_,"axG",@progbits,_ZN7rocprim17ROCPRIM_400000_NS6detail17trampoline_kernelINS0_14default_configENS1_20scan_config_selectorIfEEZZNS1_9scan_implILNS1_25lookback_scan_determinismE0ELb0ELb0ES3_N6thrust23THRUST_200600_302600_NS6detail15normal_iteratorINS9_10device_ptrIfEEEENSB_INSC_IiEEEEfNS9_4plusIvEEfEEDaPvRmT3_T4_T5_mT6_P12ihipStream_tbENKUlT_T0_E_clISt17integral_constantIbLb0EESV_IbLb1EEEEDaSR_SS_EUlSR_E0_NS1_11comp_targetILNS1_3genE8ELNS1_11target_archE1030ELNS1_3gpuE2ELNS1_3repE0EEENS1_30default_config_static_selectorELNS0_4arch9wavefront6targetE1EEEvT1_,comdat
	.protected	_ZN7rocprim17ROCPRIM_400000_NS6detail17trampoline_kernelINS0_14default_configENS1_20scan_config_selectorIfEEZZNS1_9scan_implILNS1_25lookback_scan_determinismE0ELb0ELb0ES3_N6thrust23THRUST_200600_302600_NS6detail15normal_iteratorINS9_10device_ptrIfEEEENSB_INSC_IiEEEEfNS9_4plusIvEEfEEDaPvRmT3_T4_T5_mT6_P12ihipStream_tbENKUlT_T0_E_clISt17integral_constantIbLb0EESV_IbLb1EEEEDaSR_SS_EUlSR_E0_NS1_11comp_targetILNS1_3genE8ELNS1_11target_archE1030ELNS1_3gpuE2ELNS1_3repE0EEENS1_30default_config_static_selectorELNS0_4arch9wavefront6targetE1EEEvT1_ ; -- Begin function _ZN7rocprim17ROCPRIM_400000_NS6detail17trampoline_kernelINS0_14default_configENS1_20scan_config_selectorIfEEZZNS1_9scan_implILNS1_25lookback_scan_determinismE0ELb0ELb0ES3_N6thrust23THRUST_200600_302600_NS6detail15normal_iteratorINS9_10device_ptrIfEEEENSB_INSC_IiEEEEfNS9_4plusIvEEfEEDaPvRmT3_T4_T5_mT6_P12ihipStream_tbENKUlT_T0_E_clISt17integral_constantIbLb0EESV_IbLb1EEEEDaSR_SS_EUlSR_E0_NS1_11comp_targetILNS1_3genE8ELNS1_11target_archE1030ELNS1_3gpuE2ELNS1_3repE0EEENS1_30default_config_static_selectorELNS0_4arch9wavefront6targetE1EEEvT1_
	.globl	_ZN7rocprim17ROCPRIM_400000_NS6detail17trampoline_kernelINS0_14default_configENS1_20scan_config_selectorIfEEZZNS1_9scan_implILNS1_25lookback_scan_determinismE0ELb0ELb0ES3_N6thrust23THRUST_200600_302600_NS6detail15normal_iteratorINS9_10device_ptrIfEEEENSB_INSC_IiEEEEfNS9_4plusIvEEfEEDaPvRmT3_T4_T5_mT6_P12ihipStream_tbENKUlT_T0_E_clISt17integral_constantIbLb0EESV_IbLb1EEEEDaSR_SS_EUlSR_E0_NS1_11comp_targetILNS1_3genE8ELNS1_11target_archE1030ELNS1_3gpuE2ELNS1_3repE0EEENS1_30default_config_static_selectorELNS0_4arch9wavefront6targetE1EEEvT1_
	.p2align	8
	.type	_ZN7rocprim17ROCPRIM_400000_NS6detail17trampoline_kernelINS0_14default_configENS1_20scan_config_selectorIfEEZZNS1_9scan_implILNS1_25lookback_scan_determinismE0ELb0ELb0ES3_N6thrust23THRUST_200600_302600_NS6detail15normal_iteratorINS9_10device_ptrIfEEEENSB_INSC_IiEEEEfNS9_4plusIvEEfEEDaPvRmT3_T4_T5_mT6_P12ihipStream_tbENKUlT_T0_E_clISt17integral_constantIbLb0EESV_IbLb1EEEEDaSR_SS_EUlSR_E0_NS1_11comp_targetILNS1_3genE8ELNS1_11target_archE1030ELNS1_3gpuE2ELNS1_3repE0EEENS1_30default_config_static_selectorELNS0_4arch9wavefront6targetE1EEEvT1_,@function
_ZN7rocprim17ROCPRIM_400000_NS6detail17trampoline_kernelINS0_14default_configENS1_20scan_config_selectorIfEEZZNS1_9scan_implILNS1_25lookback_scan_determinismE0ELb0ELb0ES3_N6thrust23THRUST_200600_302600_NS6detail15normal_iteratorINS9_10device_ptrIfEEEENSB_INSC_IiEEEEfNS9_4plusIvEEfEEDaPvRmT3_T4_T5_mT6_P12ihipStream_tbENKUlT_T0_E_clISt17integral_constantIbLb0EESV_IbLb1EEEEDaSR_SS_EUlSR_E0_NS1_11comp_targetILNS1_3genE8ELNS1_11target_archE1030ELNS1_3gpuE2ELNS1_3repE0EEENS1_30default_config_static_selectorELNS0_4arch9wavefront6targetE1EEEvT1_: ; @_ZN7rocprim17ROCPRIM_400000_NS6detail17trampoline_kernelINS0_14default_configENS1_20scan_config_selectorIfEEZZNS1_9scan_implILNS1_25lookback_scan_determinismE0ELb0ELb0ES3_N6thrust23THRUST_200600_302600_NS6detail15normal_iteratorINS9_10device_ptrIfEEEENSB_INSC_IiEEEEfNS9_4plusIvEEfEEDaPvRmT3_T4_T5_mT6_P12ihipStream_tbENKUlT_T0_E_clISt17integral_constantIbLb0EESV_IbLb1EEEEDaSR_SS_EUlSR_E0_NS1_11comp_targetILNS1_3genE8ELNS1_11target_archE1030ELNS1_3gpuE2ELNS1_3repE0EEENS1_30default_config_static_selectorELNS0_4arch9wavefront6targetE1EEEvT1_
; %bb.0:
	.section	.rodata,"a",@progbits
	.p2align	6, 0x0
	.amdhsa_kernel _ZN7rocprim17ROCPRIM_400000_NS6detail17trampoline_kernelINS0_14default_configENS1_20scan_config_selectorIfEEZZNS1_9scan_implILNS1_25lookback_scan_determinismE0ELb0ELb0ES3_N6thrust23THRUST_200600_302600_NS6detail15normal_iteratorINS9_10device_ptrIfEEEENSB_INSC_IiEEEEfNS9_4plusIvEEfEEDaPvRmT3_T4_T5_mT6_P12ihipStream_tbENKUlT_T0_E_clISt17integral_constantIbLb0EESV_IbLb1EEEEDaSR_SS_EUlSR_E0_NS1_11comp_targetILNS1_3genE8ELNS1_11target_archE1030ELNS1_3gpuE2ELNS1_3repE0EEENS1_30default_config_static_selectorELNS0_4arch9wavefront6targetE1EEEvT1_
		.amdhsa_group_segment_fixed_size 0
		.amdhsa_private_segment_fixed_size 0
		.amdhsa_kernarg_size 32
		.amdhsa_user_sgpr_count 6
		.amdhsa_user_sgpr_private_segment_buffer 1
		.amdhsa_user_sgpr_dispatch_ptr 0
		.amdhsa_user_sgpr_queue_ptr 0
		.amdhsa_user_sgpr_kernarg_segment_ptr 1
		.amdhsa_user_sgpr_dispatch_id 0
		.amdhsa_user_sgpr_flat_scratch_init 0
		.amdhsa_user_sgpr_kernarg_preload_length 0
		.amdhsa_user_sgpr_kernarg_preload_offset 0
		.amdhsa_user_sgpr_private_segment_size 0
		.amdhsa_uses_dynamic_stack 0
		.amdhsa_system_sgpr_private_segment_wavefront_offset 0
		.amdhsa_system_sgpr_workgroup_id_x 1
		.amdhsa_system_sgpr_workgroup_id_y 0
		.amdhsa_system_sgpr_workgroup_id_z 0
		.amdhsa_system_sgpr_workgroup_info 0
		.amdhsa_system_vgpr_workitem_id 0
		.amdhsa_next_free_vgpr 1
		.amdhsa_next_free_sgpr 0
		.amdhsa_accum_offset 4
		.amdhsa_reserve_vcc 0
		.amdhsa_reserve_flat_scratch 0
		.amdhsa_float_round_mode_32 0
		.amdhsa_float_round_mode_16_64 0
		.amdhsa_float_denorm_mode_32 3
		.amdhsa_float_denorm_mode_16_64 3
		.amdhsa_dx10_clamp 1
		.amdhsa_ieee_mode 1
		.amdhsa_fp16_overflow 0
		.amdhsa_tg_split 0
		.amdhsa_exception_fp_ieee_invalid_op 0
		.amdhsa_exception_fp_denorm_src 0
		.amdhsa_exception_fp_ieee_div_zero 0
		.amdhsa_exception_fp_ieee_overflow 0
		.amdhsa_exception_fp_ieee_underflow 0
		.amdhsa_exception_fp_ieee_inexact 0
		.amdhsa_exception_int_div_zero 0
	.end_amdhsa_kernel
	.section	.text._ZN7rocprim17ROCPRIM_400000_NS6detail17trampoline_kernelINS0_14default_configENS1_20scan_config_selectorIfEEZZNS1_9scan_implILNS1_25lookback_scan_determinismE0ELb0ELb0ES3_N6thrust23THRUST_200600_302600_NS6detail15normal_iteratorINS9_10device_ptrIfEEEENSB_INSC_IiEEEEfNS9_4plusIvEEfEEDaPvRmT3_T4_T5_mT6_P12ihipStream_tbENKUlT_T0_E_clISt17integral_constantIbLb0EESV_IbLb1EEEEDaSR_SS_EUlSR_E0_NS1_11comp_targetILNS1_3genE8ELNS1_11target_archE1030ELNS1_3gpuE2ELNS1_3repE0EEENS1_30default_config_static_selectorELNS0_4arch9wavefront6targetE1EEEvT1_,"axG",@progbits,_ZN7rocprim17ROCPRIM_400000_NS6detail17trampoline_kernelINS0_14default_configENS1_20scan_config_selectorIfEEZZNS1_9scan_implILNS1_25lookback_scan_determinismE0ELb0ELb0ES3_N6thrust23THRUST_200600_302600_NS6detail15normal_iteratorINS9_10device_ptrIfEEEENSB_INSC_IiEEEEfNS9_4plusIvEEfEEDaPvRmT3_T4_T5_mT6_P12ihipStream_tbENKUlT_T0_E_clISt17integral_constantIbLb0EESV_IbLb1EEEEDaSR_SS_EUlSR_E0_NS1_11comp_targetILNS1_3genE8ELNS1_11target_archE1030ELNS1_3gpuE2ELNS1_3repE0EEENS1_30default_config_static_selectorELNS0_4arch9wavefront6targetE1EEEvT1_,comdat
.Lfunc_end1495:
	.size	_ZN7rocprim17ROCPRIM_400000_NS6detail17trampoline_kernelINS0_14default_configENS1_20scan_config_selectorIfEEZZNS1_9scan_implILNS1_25lookback_scan_determinismE0ELb0ELb0ES3_N6thrust23THRUST_200600_302600_NS6detail15normal_iteratorINS9_10device_ptrIfEEEENSB_INSC_IiEEEEfNS9_4plusIvEEfEEDaPvRmT3_T4_T5_mT6_P12ihipStream_tbENKUlT_T0_E_clISt17integral_constantIbLb0EESV_IbLb1EEEEDaSR_SS_EUlSR_E0_NS1_11comp_targetILNS1_3genE8ELNS1_11target_archE1030ELNS1_3gpuE2ELNS1_3repE0EEENS1_30default_config_static_selectorELNS0_4arch9wavefront6targetE1EEEvT1_, .Lfunc_end1495-_ZN7rocprim17ROCPRIM_400000_NS6detail17trampoline_kernelINS0_14default_configENS1_20scan_config_selectorIfEEZZNS1_9scan_implILNS1_25lookback_scan_determinismE0ELb0ELb0ES3_N6thrust23THRUST_200600_302600_NS6detail15normal_iteratorINS9_10device_ptrIfEEEENSB_INSC_IiEEEEfNS9_4plusIvEEfEEDaPvRmT3_T4_T5_mT6_P12ihipStream_tbENKUlT_T0_E_clISt17integral_constantIbLb0EESV_IbLb1EEEEDaSR_SS_EUlSR_E0_NS1_11comp_targetILNS1_3genE8ELNS1_11target_archE1030ELNS1_3gpuE2ELNS1_3repE0EEENS1_30default_config_static_selectorELNS0_4arch9wavefront6targetE1EEEvT1_
                                        ; -- End function
	.section	.AMDGPU.csdata,"",@progbits
; Kernel info:
; codeLenInByte = 0
; NumSgprs: 4
; NumVgprs: 0
; NumAgprs: 0
; TotalNumVgprs: 0
; ScratchSize: 0
; MemoryBound: 0
; FloatMode: 240
; IeeeMode: 1
; LDSByteSize: 0 bytes/workgroup (compile time only)
; SGPRBlocks: 0
; VGPRBlocks: 0
; NumSGPRsForWavesPerEU: 4
; NumVGPRsForWavesPerEU: 1
; AccumOffset: 4
; Occupancy: 8
; WaveLimiterHint : 0
; COMPUTE_PGM_RSRC2:SCRATCH_EN: 0
; COMPUTE_PGM_RSRC2:USER_SGPR: 6
; COMPUTE_PGM_RSRC2:TRAP_HANDLER: 0
; COMPUTE_PGM_RSRC2:TGID_X_EN: 1
; COMPUTE_PGM_RSRC2:TGID_Y_EN: 0
; COMPUTE_PGM_RSRC2:TGID_Z_EN: 0
; COMPUTE_PGM_RSRC2:TIDIG_COMP_CNT: 0
; COMPUTE_PGM_RSRC3_GFX90A:ACCUM_OFFSET: 0
; COMPUTE_PGM_RSRC3_GFX90A:TG_SPLIT: 0
	.section	.text._ZN6thrust23THRUST_200600_302600_NS11hip_rocprim14__parallel_for6kernelILj256ENS1_11__transform17unary_transform_fINS0_10device_ptrIfEENS6_IiEENS4_14no_stencil_tagENS0_8identityIfEENS4_21always_true_predicateEEElLj1EEEvT0_T1_SF_,"axG",@progbits,_ZN6thrust23THRUST_200600_302600_NS11hip_rocprim14__parallel_for6kernelILj256ENS1_11__transform17unary_transform_fINS0_10device_ptrIfEENS6_IiEENS4_14no_stencil_tagENS0_8identityIfEENS4_21always_true_predicateEEElLj1EEEvT0_T1_SF_,comdat
	.protected	_ZN6thrust23THRUST_200600_302600_NS11hip_rocprim14__parallel_for6kernelILj256ENS1_11__transform17unary_transform_fINS0_10device_ptrIfEENS6_IiEENS4_14no_stencil_tagENS0_8identityIfEENS4_21always_true_predicateEEElLj1EEEvT0_T1_SF_ ; -- Begin function _ZN6thrust23THRUST_200600_302600_NS11hip_rocprim14__parallel_for6kernelILj256ENS1_11__transform17unary_transform_fINS0_10device_ptrIfEENS6_IiEENS4_14no_stencil_tagENS0_8identityIfEENS4_21always_true_predicateEEElLj1EEEvT0_T1_SF_
	.globl	_ZN6thrust23THRUST_200600_302600_NS11hip_rocprim14__parallel_for6kernelILj256ENS1_11__transform17unary_transform_fINS0_10device_ptrIfEENS6_IiEENS4_14no_stencil_tagENS0_8identityIfEENS4_21always_true_predicateEEElLj1EEEvT0_T1_SF_
	.p2align	8
	.type	_ZN6thrust23THRUST_200600_302600_NS11hip_rocprim14__parallel_for6kernelILj256ENS1_11__transform17unary_transform_fINS0_10device_ptrIfEENS6_IiEENS4_14no_stencil_tagENS0_8identityIfEENS4_21always_true_predicateEEElLj1EEEvT0_T1_SF_,@function
_ZN6thrust23THRUST_200600_302600_NS11hip_rocprim14__parallel_for6kernelILj256ENS1_11__transform17unary_transform_fINS0_10device_ptrIfEENS6_IiEENS4_14no_stencil_tagENS0_8identityIfEENS4_21always_true_predicateEEElLj1EEEvT0_T1_SF_: ; @_ZN6thrust23THRUST_200600_302600_NS11hip_rocprim14__parallel_for6kernelILj256ENS1_11__transform17unary_transform_fINS0_10device_ptrIfEENS6_IiEENS4_14no_stencil_tagENS0_8identityIfEENS4_21always_true_predicateEEElLj1EEEvT0_T1_SF_
; %bb.0:
	s_load_dwordx4 s[8:11], s[4:5], 0x18
	s_load_dwordx4 s[0:3], s[4:5], 0x0
	s_lshl_b32 s4, s6, 8
	v_mov_b32_e32 v2, 0x100
	v_mov_b32_e32 v3, 0
	s_waitcnt lgkmcnt(0)
	s_add_u32 s6, s4, s10
	s_addc_u32 s7, 0, s11
	s_sub_u32 s4, s8, s6
	s_subb_u32 s5, s9, s7
	v_cmp_lt_i64_e32 vcc, s[4:5], v[2:3]
	s_and_b64 s[8:9], vcc, exec
	s_cselect_b32 s8, s4, 0x100
	s_cmpk_lg_i32 s8, 0x100
	s_mov_b64 s[4:5], -1
	s_cbranch_scc1 .LBB1496_3
; %bb.1:
	s_andn2_b64 vcc, exec, s[4:5]
	s_cbranch_vccz .LBB1496_6
.LBB1496_2:
	s_endpgm
.LBB1496_3:
	v_cmp_gt_u32_e32 vcc, s8, v0
	s_and_saveexec_b64 s[4:5], vcc
	s_cbranch_execz .LBB1496_5
; %bb.4:
	v_mov_b32_e32 v1, s7
	v_add_co_u32_e32 v2, vcc, s6, v0
	v_addc_co_u32_e32 v3, vcc, 0, v1, vcc
	v_lshlrev_b64 v[2:3], 2, v[2:3]
	v_mov_b32_e32 v1, s1
	v_add_co_u32_e32 v4, vcc, s0, v2
	v_addc_co_u32_e32 v5, vcc, v1, v3, vcc
	flat_load_dword v1, v[4:5]
	v_mov_b32_e32 v4, s3
	v_add_co_u32_e32 v2, vcc, s2, v2
	v_addc_co_u32_e32 v3, vcc, v4, v3, vcc
	s_waitcnt vmcnt(0) lgkmcnt(0)
	v_cvt_i32_f32_e32 v1, v1
	flat_store_dword v[2:3], v1
.LBB1496_5:
	s_or_b64 exec, exec, s[4:5]
	s_cbranch_execnz .LBB1496_2
.LBB1496_6:
	v_mov_b32_e32 v1, s7
	v_add_co_u32_e32 v0, vcc, s6, v0
	v_addc_co_u32_e32 v1, vcc, 0, v1, vcc
	v_lshlrev_b64 v[0:1], 2, v[0:1]
	v_mov_b32_e32 v3, s1
	v_add_co_u32_e32 v2, vcc, s0, v0
	v_addc_co_u32_e32 v3, vcc, v3, v1, vcc
	flat_load_dword v2, v[2:3]
	v_mov_b32_e32 v3, s3
	v_add_co_u32_e32 v0, vcc, s2, v0
	v_addc_co_u32_e32 v1, vcc, v3, v1, vcc
	s_waitcnt vmcnt(0) lgkmcnt(0)
	v_cvt_i32_f32_e32 v2, v2
	flat_store_dword v[0:1], v2
	s_endpgm
	.section	.rodata,"a",@progbits
	.p2align	6, 0x0
	.amdhsa_kernel _ZN6thrust23THRUST_200600_302600_NS11hip_rocprim14__parallel_for6kernelILj256ENS1_11__transform17unary_transform_fINS0_10device_ptrIfEENS6_IiEENS4_14no_stencil_tagENS0_8identityIfEENS4_21always_true_predicateEEElLj1EEEvT0_T1_SF_
		.amdhsa_group_segment_fixed_size 0
		.amdhsa_private_segment_fixed_size 0
		.amdhsa_kernarg_size 40
		.amdhsa_user_sgpr_count 6
		.amdhsa_user_sgpr_private_segment_buffer 1
		.amdhsa_user_sgpr_dispatch_ptr 0
		.amdhsa_user_sgpr_queue_ptr 0
		.amdhsa_user_sgpr_kernarg_segment_ptr 1
		.amdhsa_user_sgpr_dispatch_id 0
		.amdhsa_user_sgpr_flat_scratch_init 0
		.amdhsa_user_sgpr_kernarg_preload_length 0
		.amdhsa_user_sgpr_kernarg_preload_offset 0
		.amdhsa_user_sgpr_private_segment_size 0
		.amdhsa_uses_dynamic_stack 0
		.amdhsa_system_sgpr_private_segment_wavefront_offset 0
		.amdhsa_system_sgpr_workgroup_id_x 1
		.amdhsa_system_sgpr_workgroup_id_y 0
		.amdhsa_system_sgpr_workgroup_id_z 0
		.amdhsa_system_sgpr_workgroup_info 0
		.amdhsa_system_vgpr_workitem_id 0
		.amdhsa_next_free_vgpr 6
		.amdhsa_next_free_sgpr 12
		.amdhsa_accum_offset 8
		.amdhsa_reserve_vcc 1
		.amdhsa_reserve_flat_scratch 0
		.amdhsa_float_round_mode_32 0
		.amdhsa_float_round_mode_16_64 0
		.amdhsa_float_denorm_mode_32 3
		.amdhsa_float_denorm_mode_16_64 3
		.amdhsa_dx10_clamp 1
		.amdhsa_ieee_mode 1
		.amdhsa_fp16_overflow 0
		.amdhsa_tg_split 0
		.amdhsa_exception_fp_ieee_invalid_op 0
		.amdhsa_exception_fp_denorm_src 0
		.amdhsa_exception_fp_ieee_div_zero 0
		.amdhsa_exception_fp_ieee_overflow 0
		.amdhsa_exception_fp_ieee_underflow 0
		.amdhsa_exception_fp_ieee_inexact 0
		.amdhsa_exception_int_div_zero 0
	.end_amdhsa_kernel
	.section	.text._ZN6thrust23THRUST_200600_302600_NS11hip_rocprim14__parallel_for6kernelILj256ENS1_11__transform17unary_transform_fINS0_10device_ptrIfEENS6_IiEENS4_14no_stencil_tagENS0_8identityIfEENS4_21always_true_predicateEEElLj1EEEvT0_T1_SF_,"axG",@progbits,_ZN6thrust23THRUST_200600_302600_NS11hip_rocprim14__parallel_for6kernelILj256ENS1_11__transform17unary_transform_fINS0_10device_ptrIfEENS6_IiEENS4_14no_stencil_tagENS0_8identityIfEENS4_21always_true_predicateEEElLj1EEEvT0_T1_SF_,comdat
.Lfunc_end1496:
	.size	_ZN6thrust23THRUST_200600_302600_NS11hip_rocprim14__parallel_for6kernelILj256ENS1_11__transform17unary_transform_fINS0_10device_ptrIfEENS6_IiEENS4_14no_stencil_tagENS0_8identityIfEENS4_21always_true_predicateEEElLj1EEEvT0_T1_SF_, .Lfunc_end1496-_ZN6thrust23THRUST_200600_302600_NS11hip_rocprim14__parallel_for6kernelILj256ENS1_11__transform17unary_transform_fINS0_10device_ptrIfEENS6_IiEENS4_14no_stencil_tagENS0_8identityIfEENS4_21always_true_predicateEEElLj1EEEvT0_T1_SF_
                                        ; -- End function
	.section	.AMDGPU.csdata,"",@progbits
; Kernel info:
; codeLenInByte = 252
; NumSgprs: 16
; NumVgprs: 6
; NumAgprs: 0
; TotalNumVgprs: 6
; ScratchSize: 0
; MemoryBound: 0
; FloatMode: 240
; IeeeMode: 1
; LDSByteSize: 0 bytes/workgroup (compile time only)
; SGPRBlocks: 1
; VGPRBlocks: 0
; NumSGPRsForWavesPerEU: 16
; NumVGPRsForWavesPerEU: 6
; AccumOffset: 8
; Occupancy: 8
; WaveLimiterHint : 0
; COMPUTE_PGM_RSRC2:SCRATCH_EN: 0
; COMPUTE_PGM_RSRC2:USER_SGPR: 6
; COMPUTE_PGM_RSRC2:TRAP_HANDLER: 0
; COMPUTE_PGM_RSRC2:TGID_X_EN: 1
; COMPUTE_PGM_RSRC2:TGID_Y_EN: 0
; COMPUTE_PGM_RSRC2:TGID_Z_EN: 0
; COMPUTE_PGM_RSRC2:TIDIG_COMP_CNT: 0
; COMPUTE_PGM_RSRC3_GFX90A:ACCUM_OFFSET: 1
; COMPUTE_PGM_RSRC3_GFX90A:TG_SPLIT: 0
	.section	.text._ZN7rocprim17ROCPRIM_400000_NS6detail17trampoline_kernelINS0_14default_configENS1_20scan_config_selectorIfEEZZNS1_9scan_implILNS1_25lookback_scan_determinismE0ELb0ELb0ES3_N6thrust23THRUST_200600_302600_NS6detail15normal_iteratorINS9_10device_ptrIfEEEESE_fNS9_4plusIiEEfEEDaPvRmT3_T4_T5_mT6_P12ihipStream_tbENKUlT_T0_E_clISt17integral_constantIbLb0EESU_EEDaSP_SQ_EUlSP_E_NS1_11comp_targetILNS1_3genE0ELNS1_11target_archE4294967295ELNS1_3gpuE0ELNS1_3repE0EEENS1_30default_config_static_selectorELNS0_4arch9wavefront6targetE1EEEvT1_,"axG",@progbits,_ZN7rocprim17ROCPRIM_400000_NS6detail17trampoline_kernelINS0_14default_configENS1_20scan_config_selectorIfEEZZNS1_9scan_implILNS1_25lookback_scan_determinismE0ELb0ELb0ES3_N6thrust23THRUST_200600_302600_NS6detail15normal_iteratorINS9_10device_ptrIfEEEESE_fNS9_4plusIiEEfEEDaPvRmT3_T4_T5_mT6_P12ihipStream_tbENKUlT_T0_E_clISt17integral_constantIbLb0EESU_EEDaSP_SQ_EUlSP_E_NS1_11comp_targetILNS1_3genE0ELNS1_11target_archE4294967295ELNS1_3gpuE0ELNS1_3repE0EEENS1_30default_config_static_selectorELNS0_4arch9wavefront6targetE1EEEvT1_,comdat
	.protected	_ZN7rocprim17ROCPRIM_400000_NS6detail17trampoline_kernelINS0_14default_configENS1_20scan_config_selectorIfEEZZNS1_9scan_implILNS1_25lookback_scan_determinismE0ELb0ELb0ES3_N6thrust23THRUST_200600_302600_NS6detail15normal_iteratorINS9_10device_ptrIfEEEESE_fNS9_4plusIiEEfEEDaPvRmT3_T4_T5_mT6_P12ihipStream_tbENKUlT_T0_E_clISt17integral_constantIbLb0EESU_EEDaSP_SQ_EUlSP_E_NS1_11comp_targetILNS1_3genE0ELNS1_11target_archE4294967295ELNS1_3gpuE0ELNS1_3repE0EEENS1_30default_config_static_selectorELNS0_4arch9wavefront6targetE1EEEvT1_ ; -- Begin function _ZN7rocprim17ROCPRIM_400000_NS6detail17trampoline_kernelINS0_14default_configENS1_20scan_config_selectorIfEEZZNS1_9scan_implILNS1_25lookback_scan_determinismE0ELb0ELb0ES3_N6thrust23THRUST_200600_302600_NS6detail15normal_iteratorINS9_10device_ptrIfEEEESE_fNS9_4plusIiEEfEEDaPvRmT3_T4_T5_mT6_P12ihipStream_tbENKUlT_T0_E_clISt17integral_constantIbLb0EESU_EEDaSP_SQ_EUlSP_E_NS1_11comp_targetILNS1_3genE0ELNS1_11target_archE4294967295ELNS1_3gpuE0ELNS1_3repE0EEENS1_30default_config_static_selectorELNS0_4arch9wavefront6targetE1EEEvT1_
	.globl	_ZN7rocprim17ROCPRIM_400000_NS6detail17trampoline_kernelINS0_14default_configENS1_20scan_config_selectorIfEEZZNS1_9scan_implILNS1_25lookback_scan_determinismE0ELb0ELb0ES3_N6thrust23THRUST_200600_302600_NS6detail15normal_iteratorINS9_10device_ptrIfEEEESE_fNS9_4plusIiEEfEEDaPvRmT3_T4_T5_mT6_P12ihipStream_tbENKUlT_T0_E_clISt17integral_constantIbLb0EESU_EEDaSP_SQ_EUlSP_E_NS1_11comp_targetILNS1_3genE0ELNS1_11target_archE4294967295ELNS1_3gpuE0ELNS1_3repE0EEENS1_30default_config_static_selectorELNS0_4arch9wavefront6targetE1EEEvT1_
	.p2align	8
	.type	_ZN7rocprim17ROCPRIM_400000_NS6detail17trampoline_kernelINS0_14default_configENS1_20scan_config_selectorIfEEZZNS1_9scan_implILNS1_25lookback_scan_determinismE0ELb0ELb0ES3_N6thrust23THRUST_200600_302600_NS6detail15normal_iteratorINS9_10device_ptrIfEEEESE_fNS9_4plusIiEEfEEDaPvRmT3_T4_T5_mT6_P12ihipStream_tbENKUlT_T0_E_clISt17integral_constantIbLb0EESU_EEDaSP_SQ_EUlSP_E_NS1_11comp_targetILNS1_3genE0ELNS1_11target_archE4294967295ELNS1_3gpuE0ELNS1_3repE0EEENS1_30default_config_static_selectorELNS0_4arch9wavefront6targetE1EEEvT1_,@function
_ZN7rocprim17ROCPRIM_400000_NS6detail17trampoline_kernelINS0_14default_configENS1_20scan_config_selectorIfEEZZNS1_9scan_implILNS1_25lookback_scan_determinismE0ELb0ELb0ES3_N6thrust23THRUST_200600_302600_NS6detail15normal_iteratorINS9_10device_ptrIfEEEESE_fNS9_4plusIiEEfEEDaPvRmT3_T4_T5_mT6_P12ihipStream_tbENKUlT_T0_E_clISt17integral_constantIbLb0EESU_EEDaSP_SQ_EUlSP_E_NS1_11comp_targetILNS1_3genE0ELNS1_11target_archE4294967295ELNS1_3gpuE0ELNS1_3repE0EEENS1_30default_config_static_selectorELNS0_4arch9wavefront6targetE1EEEvT1_: ; @_ZN7rocprim17ROCPRIM_400000_NS6detail17trampoline_kernelINS0_14default_configENS1_20scan_config_selectorIfEEZZNS1_9scan_implILNS1_25lookback_scan_determinismE0ELb0ELb0ES3_N6thrust23THRUST_200600_302600_NS6detail15normal_iteratorINS9_10device_ptrIfEEEESE_fNS9_4plusIiEEfEEDaPvRmT3_T4_T5_mT6_P12ihipStream_tbENKUlT_T0_E_clISt17integral_constantIbLb0EESU_EEDaSP_SQ_EUlSP_E_NS1_11comp_targetILNS1_3genE0ELNS1_11target_archE4294967295ELNS1_3gpuE0ELNS1_3repE0EEENS1_30default_config_static_selectorELNS0_4arch9wavefront6targetE1EEEvT1_
; %bb.0:
	.section	.rodata,"a",@progbits
	.p2align	6, 0x0
	.amdhsa_kernel _ZN7rocprim17ROCPRIM_400000_NS6detail17trampoline_kernelINS0_14default_configENS1_20scan_config_selectorIfEEZZNS1_9scan_implILNS1_25lookback_scan_determinismE0ELb0ELb0ES3_N6thrust23THRUST_200600_302600_NS6detail15normal_iteratorINS9_10device_ptrIfEEEESE_fNS9_4plusIiEEfEEDaPvRmT3_T4_T5_mT6_P12ihipStream_tbENKUlT_T0_E_clISt17integral_constantIbLb0EESU_EEDaSP_SQ_EUlSP_E_NS1_11comp_targetILNS1_3genE0ELNS1_11target_archE4294967295ELNS1_3gpuE0ELNS1_3repE0EEENS1_30default_config_static_selectorELNS0_4arch9wavefront6targetE1EEEvT1_
		.amdhsa_group_segment_fixed_size 0
		.amdhsa_private_segment_fixed_size 0
		.amdhsa_kernarg_size 96
		.amdhsa_user_sgpr_count 6
		.amdhsa_user_sgpr_private_segment_buffer 1
		.amdhsa_user_sgpr_dispatch_ptr 0
		.amdhsa_user_sgpr_queue_ptr 0
		.amdhsa_user_sgpr_kernarg_segment_ptr 1
		.amdhsa_user_sgpr_dispatch_id 0
		.amdhsa_user_sgpr_flat_scratch_init 0
		.amdhsa_user_sgpr_kernarg_preload_length 0
		.amdhsa_user_sgpr_kernarg_preload_offset 0
		.amdhsa_user_sgpr_private_segment_size 0
		.amdhsa_uses_dynamic_stack 0
		.amdhsa_system_sgpr_private_segment_wavefront_offset 0
		.amdhsa_system_sgpr_workgroup_id_x 1
		.amdhsa_system_sgpr_workgroup_id_y 0
		.amdhsa_system_sgpr_workgroup_id_z 0
		.amdhsa_system_sgpr_workgroup_info 0
		.amdhsa_system_vgpr_workitem_id 0
		.amdhsa_next_free_vgpr 1
		.amdhsa_next_free_sgpr 0
		.amdhsa_accum_offset 4
		.amdhsa_reserve_vcc 0
		.amdhsa_reserve_flat_scratch 0
		.amdhsa_float_round_mode_32 0
		.amdhsa_float_round_mode_16_64 0
		.amdhsa_float_denorm_mode_32 3
		.amdhsa_float_denorm_mode_16_64 3
		.amdhsa_dx10_clamp 1
		.amdhsa_ieee_mode 1
		.amdhsa_fp16_overflow 0
		.amdhsa_tg_split 0
		.amdhsa_exception_fp_ieee_invalid_op 0
		.amdhsa_exception_fp_denorm_src 0
		.amdhsa_exception_fp_ieee_div_zero 0
		.amdhsa_exception_fp_ieee_overflow 0
		.amdhsa_exception_fp_ieee_underflow 0
		.amdhsa_exception_fp_ieee_inexact 0
		.amdhsa_exception_int_div_zero 0
	.end_amdhsa_kernel
	.section	.text._ZN7rocprim17ROCPRIM_400000_NS6detail17trampoline_kernelINS0_14default_configENS1_20scan_config_selectorIfEEZZNS1_9scan_implILNS1_25lookback_scan_determinismE0ELb0ELb0ES3_N6thrust23THRUST_200600_302600_NS6detail15normal_iteratorINS9_10device_ptrIfEEEESE_fNS9_4plusIiEEfEEDaPvRmT3_T4_T5_mT6_P12ihipStream_tbENKUlT_T0_E_clISt17integral_constantIbLb0EESU_EEDaSP_SQ_EUlSP_E_NS1_11comp_targetILNS1_3genE0ELNS1_11target_archE4294967295ELNS1_3gpuE0ELNS1_3repE0EEENS1_30default_config_static_selectorELNS0_4arch9wavefront6targetE1EEEvT1_,"axG",@progbits,_ZN7rocprim17ROCPRIM_400000_NS6detail17trampoline_kernelINS0_14default_configENS1_20scan_config_selectorIfEEZZNS1_9scan_implILNS1_25lookback_scan_determinismE0ELb0ELb0ES3_N6thrust23THRUST_200600_302600_NS6detail15normal_iteratorINS9_10device_ptrIfEEEESE_fNS9_4plusIiEEfEEDaPvRmT3_T4_T5_mT6_P12ihipStream_tbENKUlT_T0_E_clISt17integral_constantIbLb0EESU_EEDaSP_SQ_EUlSP_E_NS1_11comp_targetILNS1_3genE0ELNS1_11target_archE4294967295ELNS1_3gpuE0ELNS1_3repE0EEENS1_30default_config_static_selectorELNS0_4arch9wavefront6targetE1EEEvT1_,comdat
.Lfunc_end1497:
	.size	_ZN7rocprim17ROCPRIM_400000_NS6detail17trampoline_kernelINS0_14default_configENS1_20scan_config_selectorIfEEZZNS1_9scan_implILNS1_25lookback_scan_determinismE0ELb0ELb0ES3_N6thrust23THRUST_200600_302600_NS6detail15normal_iteratorINS9_10device_ptrIfEEEESE_fNS9_4plusIiEEfEEDaPvRmT3_T4_T5_mT6_P12ihipStream_tbENKUlT_T0_E_clISt17integral_constantIbLb0EESU_EEDaSP_SQ_EUlSP_E_NS1_11comp_targetILNS1_3genE0ELNS1_11target_archE4294967295ELNS1_3gpuE0ELNS1_3repE0EEENS1_30default_config_static_selectorELNS0_4arch9wavefront6targetE1EEEvT1_, .Lfunc_end1497-_ZN7rocprim17ROCPRIM_400000_NS6detail17trampoline_kernelINS0_14default_configENS1_20scan_config_selectorIfEEZZNS1_9scan_implILNS1_25lookback_scan_determinismE0ELb0ELb0ES3_N6thrust23THRUST_200600_302600_NS6detail15normal_iteratorINS9_10device_ptrIfEEEESE_fNS9_4plusIiEEfEEDaPvRmT3_T4_T5_mT6_P12ihipStream_tbENKUlT_T0_E_clISt17integral_constantIbLb0EESU_EEDaSP_SQ_EUlSP_E_NS1_11comp_targetILNS1_3genE0ELNS1_11target_archE4294967295ELNS1_3gpuE0ELNS1_3repE0EEENS1_30default_config_static_selectorELNS0_4arch9wavefront6targetE1EEEvT1_
                                        ; -- End function
	.section	.AMDGPU.csdata,"",@progbits
; Kernel info:
; codeLenInByte = 0
; NumSgprs: 4
; NumVgprs: 0
; NumAgprs: 0
; TotalNumVgprs: 0
; ScratchSize: 0
; MemoryBound: 0
; FloatMode: 240
; IeeeMode: 1
; LDSByteSize: 0 bytes/workgroup (compile time only)
; SGPRBlocks: 0
; VGPRBlocks: 0
; NumSGPRsForWavesPerEU: 4
; NumVGPRsForWavesPerEU: 1
; AccumOffset: 4
; Occupancy: 8
; WaveLimiterHint : 0
; COMPUTE_PGM_RSRC2:SCRATCH_EN: 0
; COMPUTE_PGM_RSRC2:USER_SGPR: 6
; COMPUTE_PGM_RSRC2:TRAP_HANDLER: 0
; COMPUTE_PGM_RSRC2:TGID_X_EN: 1
; COMPUTE_PGM_RSRC2:TGID_Y_EN: 0
; COMPUTE_PGM_RSRC2:TGID_Z_EN: 0
; COMPUTE_PGM_RSRC2:TIDIG_COMP_CNT: 0
; COMPUTE_PGM_RSRC3_GFX90A:ACCUM_OFFSET: 0
; COMPUTE_PGM_RSRC3_GFX90A:TG_SPLIT: 0
	.section	.text._ZN7rocprim17ROCPRIM_400000_NS6detail17trampoline_kernelINS0_14default_configENS1_20scan_config_selectorIfEEZZNS1_9scan_implILNS1_25lookback_scan_determinismE0ELb0ELb0ES3_N6thrust23THRUST_200600_302600_NS6detail15normal_iteratorINS9_10device_ptrIfEEEESE_fNS9_4plusIiEEfEEDaPvRmT3_T4_T5_mT6_P12ihipStream_tbENKUlT_T0_E_clISt17integral_constantIbLb0EESU_EEDaSP_SQ_EUlSP_E_NS1_11comp_targetILNS1_3genE5ELNS1_11target_archE942ELNS1_3gpuE9ELNS1_3repE0EEENS1_30default_config_static_selectorELNS0_4arch9wavefront6targetE1EEEvT1_,"axG",@progbits,_ZN7rocprim17ROCPRIM_400000_NS6detail17trampoline_kernelINS0_14default_configENS1_20scan_config_selectorIfEEZZNS1_9scan_implILNS1_25lookback_scan_determinismE0ELb0ELb0ES3_N6thrust23THRUST_200600_302600_NS6detail15normal_iteratorINS9_10device_ptrIfEEEESE_fNS9_4plusIiEEfEEDaPvRmT3_T4_T5_mT6_P12ihipStream_tbENKUlT_T0_E_clISt17integral_constantIbLb0EESU_EEDaSP_SQ_EUlSP_E_NS1_11comp_targetILNS1_3genE5ELNS1_11target_archE942ELNS1_3gpuE9ELNS1_3repE0EEENS1_30default_config_static_selectorELNS0_4arch9wavefront6targetE1EEEvT1_,comdat
	.protected	_ZN7rocprim17ROCPRIM_400000_NS6detail17trampoline_kernelINS0_14default_configENS1_20scan_config_selectorIfEEZZNS1_9scan_implILNS1_25lookback_scan_determinismE0ELb0ELb0ES3_N6thrust23THRUST_200600_302600_NS6detail15normal_iteratorINS9_10device_ptrIfEEEESE_fNS9_4plusIiEEfEEDaPvRmT3_T4_T5_mT6_P12ihipStream_tbENKUlT_T0_E_clISt17integral_constantIbLb0EESU_EEDaSP_SQ_EUlSP_E_NS1_11comp_targetILNS1_3genE5ELNS1_11target_archE942ELNS1_3gpuE9ELNS1_3repE0EEENS1_30default_config_static_selectorELNS0_4arch9wavefront6targetE1EEEvT1_ ; -- Begin function _ZN7rocprim17ROCPRIM_400000_NS6detail17trampoline_kernelINS0_14default_configENS1_20scan_config_selectorIfEEZZNS1_9scan_implILNS1_25lookback_scan_determinismE0ELb0ELb0ES3_N6thrust23THRUST_200600_302600_NS6detail15normal_iteratorINS9_10device_ptrIfEEEESE_fNS9_4plusIiEEfEEDaPvRmT3_T4_T5_mT6_P12ihipStream_tbENKUlT_T0_E_clISt17integral_constantIbLb0EESU_EEDaSP_SQ_EUlSP_E_NS1_11comp_targetILNS1_3genE5ELNS1_11target_archE942ELNS1_3gpuE9ELNS1_3repE0EEENS1_30default_config_static_selectorELNS0_4arch9wavefront6targetE1EEEvT1_
	.globl	_ZN7rocprim17ROCPRIM_400000_NS6detail17trampoline_kernelINS0_14default_configENS1_20scan_config_selectorIfEEZZNS1_9scan_implILNS1_25lookback_scan_determinismE0ELb0ELb0ES3_N6thrust23THRUST_200600_302600_NS6detail15normal_iteratorINS9_10device_ptrIfEEEESE_fNS9_4plusIiEEfEEDaPvRmT3_T4_T5_mT6_P12ihipStream_tbENKUlT_T0_E_clISt17integral_constantIbLb0EESU_EEDaSP_SQ_EUlSP_E_NS1_11comp_targetILNS1_3genE5ELNS1_11target_archE942ELNS1_3gpuE9ELNS1_3repE0EEENS1_30default_config_static_selectorELNS0_4arch9wavefront6targetE1EEEvT1_
	.p2align	8
	.type	_ZN7rocprim17ROCPRIM_400000_NS6detail17trampoline_kernelINS0_14default_configENS1_20scan_config_selectorIfEEZZNS1_9scan_implILNS1_25lookback_scan_determinismE0ELb0ELb0ES3_N6thrust23THRUST_200600_302600_NS6detail15normal_iteratorINS9_10device_ptrIfEEEESE_fNS9_4plusIiEEfEEDaPvRmT3_T4_T5_mT6_P12ihipStream_tbENKUlT_T0_E_clISt17integral_constantIbLb0EESU_EEDaSP_SQ_EUlSP_E_NS1_11comp_targetILNS1_3genE5ELNS1_11target_archE942ELNS1_3gpuE9ELNS1_3repE0EEENS1_30default_config_static_selectorELNS0_4arch9wavefront6targetE1EEEvT1_,@function
_ZN7rocprim17ROCPRIM_400000_NS6detail17trampoline_kernelINS0_14default_configENS1_20scan_config_selectorIfEEZZNS1_9scan_implILNS1_25lookback_scan_determinismE0ELb0ELb0ES3_N6thrust23THRUST_200600_302600_NS6detail15normal_iteratorINS9_10device_ptrIfEEEESE_fNS9_4plusIiEEfEEDaPvRmT3_T4_T5_mT6_P12ihipStream_tbENKUlT_T0_E_clISt17integral_constantIbLb0EESU_EEDaSP_SQ_EUlSP_E_NS1_11comp_targetILNS1_3genE5ELNS1_11target_archE942ELNS1_3gpuE9ELNS1_3repE0EEENS1_30default_config_static_selectorELNS0_4arch9wavefront6targetE1EEEvT1_: ; @_ZN7rocprim17ROCPRIM_400000_NS6detail17trampoline_kernelINS0_14default_configENS1_20scan_config_selectorIfEEZZNS1_9scan_implILNS1_25lookback_scan_determinismE0ELb0ELb0ES3_N6thrust23THRUST_200600_302600_NS6detail15normal_iteratorINS9_10device_ptrIfEEEESE_fNS9_4plusIiEEfEEDaPvRmT3_T4_T5_mT6_P12ihipStream_tbENKUlT_T0_E_clISt17integral_constantIbLb0EESU_EEDaSP_SQ_EUlSP_E_NS1_11comp_targetILNS1_3genE5ELNS1_11target_archE942ELNS1_3gpuE9ELNS1_3repE0EEENS1_30default_config_static_selectorELNS0_4arch9wavefront6targetE1EEEvT1_
; %bb.0:
	.section	.rodata,"a",@progbits
	.p2align	6, 0x0
	.amdhsa_kernel _ZN7rocprim17ROCPRIM_400000_NS6detail17trampoline_kernelINS0_14default_configENS1_20scan_config_selectorIfEEZZNS1_9scan_implILNS1_25lookback_scan_determinismE0ELb0ELb0ES3_N6thrust23THRUST_200600_302600_NS6detail15normal_iteratorINS9_10device_ptrIfEEEESE_fNS9_4plusIiEEfEEDaPvRmT3_T4_T5_mT6_P12ihipStream_tbENKUlT_T0_E_clISt17integral_constantIbLb0EESU_EEDaSP_SQ_EUlSP_E_NS1_11comp_targetILNS1_3genE5ELNS1_11target_archE942ELNS1_3gpuE9ELNS1_3repE0EEENS1_30default_config_static_selectorELNS0_4arch9wavefront6targetE1EEEvT1_
		.amdhsa_group_segment_fixed_size 0
		.amdhsa_private_segment_fixed_size 0
		.amdhsa_kernarg_size 96
		.amdhsa_user_sgpr_count 6
		.amdhsa_user_sgpr_private_segment_buffer 1
		.amdhsa_user_sgpr_dispatch_ptr 0
		.amdhsa_user_sgpr_queue_ptr 0
		.amdhsa_user_sgpr_kernarg_segment_ptr 1
		.amdhsa_user_sgpr_dispatch_id 0
		.amdhsa_user_sgpr_flat_scratch_init 0
		.amdhsa_user_sgpr_kernarg_preload_length 0
		.amdhsa_user_sgpr_kernarg_preload_offset 0
		.amdhsa_user_sgpr_private_segment_size 0
		.amdhsa_uses_dynamic_stack 0
		.amdhsa_system_sgpr_private_segment_wavefront_offset 0
		.amdhsa_system_sgpr_workgroup_id_x 1
		.amdhsa_system_sgpr_workgroup_id_y 0
		.amdhsa_system_sgpr_workgroup_id_z 0
		.amdhsa_system_sgpr_workgroup_info 0
		.amdhsa_system_vgpr_workitem_id 0
		.amdhsa_next_free_vgpr 1
		.amdhsa_next_free_sgpr 0
		.amdhsa_accum_offset 4
		.amdhsa_reserve_vcc 0
		.amdhsa_reserve_flat_scratch 0
		.amdhsa_float_round_mode_32 0
		.amdhsa_float_round_mode_16_64 0
		.amdhsa_float_denorm_mode_32 3
		.amdhsa_float_denorm_mode_16_64 3
		.amdhsa_dx10_clamp 1
		.amdhsa_ieee_mode 1
		.amdhsa_fp16_overflow 0
		.amdhsa_tg_split 0
		.amdhsa_exception_fp_ieee_invalid_op 0
		.amdhsa_exception_fp_denorm_src 0
		.amdhsa_exception_fp_ieee_div_zero 0
		.amdhsa_exception_fp_ieee_overflow 0
		.amdhsa_exception_fp_ieee_underflow 0
		.amdhsa_exception_fp_ieee_inexact 0
		.amdhsa_exception_int_div_zero 0
	.end_amdhsa_kernel
	.section	.text._ZN7rocprim17ROCPRIM_400000_NS6detail17trampoline_kernelINS0_14default_configENS1_20scan_config_selectorIfEEZZNS1_9scan_implILNS1_25lookback_scan_determinismE0ELb0ELb0ES3_N6thrust23THRUST_200600_302600_NS6detail15normal_iteratorINS9_10device_ptrIfEEEESE_fNS9_4plusIiEEfEEDaPvRmT3_T4_T5_mT6_P12ihipStream_tbENKUlT_T0_E_clISt17integral_constantIbLb0EESU_EEDaSP_SQ_EUlSP_E_NS1_11comp_targetILNS1_3genE5ELNS1_11target_archE942ELNS1_3gpuE9ELNS1_3repE0EEENS1_30default_config_static_selectorELNS0_4arch9wavefront6targetE1EEEvT1_,"axG",@progbits,_ZN7rocprim17ROCPRIM_400000_NS6detail17trampoline_kernelINS0_14default_configENS1_20scan_config_selectorIfEEZZNS1_9scan_implILNS1_25lookback_scan_determinismE0ELb0ELb0ES3_N6thrust23THRUST_200600_302600_NS6detail15normal_iteratorINS9_10device_ptrIfEEEESE_fNS9_4plusIiEEfEEDaPvRmT3_T4_T5_mT6_P12ihipStream_tbENKUlT_T0_E_clISt17integral_constantIbLb0EESU_EEDaSP_SQ_EUlSP_E_NS1_11comp_targetILNS1_3genE5ELNS1_11target_archE942ELNS1_3gpuE9ELNS1_3repE0EEENS1_30default_config_static_selectorELNS0_4arch9wavefront6targetE1EEEvT1_,comdat
.Lfunc_end1498:
	.size	_ZN7rocprim17ROCPRIM_400000_NS6detail17trampoline_kernelINS0_14default_configENS1_20scan_config_selectorIfEEZZNS1_9scan_implILNS1_25lookback_scan_determinismE0ELb0ELb0ES3_N6thrust23THRUST_200600_302600_NS6detail15normal_iteratorINS9_10device_ptrIfEEEESE_fNS9_4plusIiEEfEEDaPvRmT3_T4_T5_mT6_P12ihipStream_tbENKUlT_T0_E_clISt17integral_constantIbLb0EESU_EEDaSP_SQ_EUlSP_E_NS1_11comp_targetILNS1_3genE5ELNS1_11target_archE942ELNS1_3gpuE9ELNS1_3repE0EEENS1_30default_config_static_selectorELNS0_4arch9wavefront6targetE1EEEvT1_, .Lfunc_end1498-_ZN7rocprim17ROCPRIM_400000_NS6detail17trampoline_kernelINS0_14default_configENS1_20scan_config_selectorIfEEZZNS1_9scan_implILNS1_25lookback_scan_determinismE0ELb0ELb0ES3_N6thrust23THRUST_200600_302600_NS6detail15normal_iteratorINS9_10device_ptrIfEEEESE_fNS9_4plusIiEEfEEDaPvRmT3_T4_T5_mT6_P12ihipStream_tbENKUlT_T0_E_clISt17integral_constantIbLb0EESU_EEDaSP_SQ_EUlSP_E_NS1_11comp_targetILNS1_3genE5ELNS1_11target_archE942ELNS1_3gpuE9ELNS1_3repE0EEENS1_30default_config_static_selectorELNS0_4arch9wavefront6targetE1EEEvT1_
                                        ; -- End function
	.section	.AMDGPU.csdata,"",@progbits
; Kernel info:
; codeLenInByte = 0
; NumSgprs: 4
; NumVgprs: 0
; NumAgprs: 0
; TotalNumVgprs: 0
; ScratchSize: 0
; MemoryBound: 0
; FloatMode: 240
; IeeeMode: 1
; LDSByteSize: 0 bytes/workgroup (compile time only)
; SGPRBlocks: 0
; VGPRBlocks: 0
; NumSGPRsForWavesPerEU: 4
; NumVGPRsForWavesPerEU: 1
; AccumOffset: 4
; Occupancy: 8
; WaveLimiterHint : 0
; COMPUTE_PGM_RSRC2:SCRATCH_EN: 0
; COMPUTE_PGM_RSRC2:USER_SGPR: 6
; COMPUTE_PGM_RSRC2:TRAP_HANDLER: 0
; COMPUTE_PGM_RSRC2:TGID_X_EN: 1
; COMPUTE_PGM_RSRC2:TGID_Y_EN: 0
; COMPUTE_PGM_RSRC2:TGID_Z_EN: 0
; COMPUTE_PGM_RSRC2:TIDIG_COMP_CNT: 0
; COMPUTE_PGM_RSRC3_GFX90A:ACCUM_OFFSET: 0
; COMPUTE_PGM_RSRC3_GFX90A:TG_SPLIT: 0
	.section	.text._ZN7rocprim17ROCPRIM_400000_NS6detail17trampoline_kernelINS0_14default_configENS1_20scan_config_selectorIfEEZZNS1_9scan_implILNS1_25lookback_scan_determinismE0ELb0ELb0ES3_N6thrust23THRUST_200600_302600_NS6detail15normal_iteratorINS9_10device_ptrIfEEEESE_fNS9_4plusIiEEfEEDaPvRmT3_T4_T5_mT6_P12ihipStream_tbENKUlT_T0_E_clISt17integral_constantIbLb0EESU_EEDaSP_SQ_EUlSP_E_NS1_11comp_targetILNS1_3genE4ELNS1_11target_archE910ELNS1_3gpuE8ELNS1_3repE0EEENS1_30default_config_static_selectorELNS0_4arch9wavefront6targetE1EEEvT1_,"axG",@progbits,_ZN7rocprim17ROCPRIM_400000_NS6detail17trampoline_kernelINS0_14default_configENS1_20scan_config_selectorIfEEZZNS1_9scan_implILNS1_25lookback_scan_determinismE0ELb0ELb0ES3_N6thrust23THRUST_200600_302600_NS6detail15normal_iteratorINS9_10device_ptrIfEEEESE_fNS9_4plusIiEEfEEDaPvRmT3_T4_T5_mT6_P12ihipStream_tbENKUlT_T0_E_clISt17integral_constantIbLb0EESU_EEDaSP_SQ_EUlSP_E_NS1_11comp_targetILNS1_3genE4ELNS1_11target_archE910ELNS1_3gpuE8ELNS1_3repE0EEENS1_30default_config_static_selectorELNS0_4arch9wavefront6targetE1EEEvT1_,comdat
	.protected	_ZN7rocprim17ROCPRIM_400000_NS6detail17trampoline_kernelINS0_14default_configENS1_20scan_config_selectorIfEEZZNS1_9scan_implILNS1_25lookback_scan_determinismE0ELb0ELb0ES3_N6thrust23THRUST_200600_302600_NS6detail15normal_iteratorINS9_10device_ptrIfEEEESE_fNS9_4plusIiEEfEEDaPvRmT3_T4_T5_mT6_P12ihipStream_tbENKUlT_T0_E_clISt17integral_constantIbLb0EESU_EEDaSP_SQ_EUlSP_E_NS1_11comp_targetILNS1_3genE4ELNS1_11target_archE910ELNS1_3gpuE8ELNS1_3repE0EEENS1_30default_config_static_selectorELNS0_4arch9wavefront6targetE1EEEvT1_ ; -- Begin function _ZN7rocprim17ROCPRIM_400000_NS6detail17trampoline_kernelINS0_14default_configENS1_20scan_config_selectorIfEEZZNS1_9scan_implILNS1_25lookback_scan_determinismE0ELb0ELb0ES3_N6thrust23THRUST_200600_302600_NS6detail15normal_iteratorINS9_10device_ptrIfEEEESE_fNS9_4plusIiEEfEEDaPvRmT3_T4_T5_mT6_P12ihipStream_tbENKUlT_T0_E_clISt17integral_constantIbLb0EESU_EEDaSP_SQ_EUlSP_E_NS1_11comp_targetILNS1_3genE4ELNS1_11target_archE910ELNS1_3gpuE8ELNS1_3repE0EEENS1_30default_config_static_selectorELNS0_4arch9wavefront6targetE1EEEvT1_
	.globl	_ZN7rocprim17ROCPRIM_400000_NS6detail17trampoline_kernelINS0_14default_configENS1_20scan_config_selectorIfEEZZNS1_9scan_implILNS1_25lookback_scan_determinismE0ELb0ELb0ES3_N6thrust23THRUST_200600_302600_NS6detail15normal_iteratorINS9_10device_ptrIfEEEESE_fNS9_4plusIiEEfEEDaPvRmT3_T4_T5_mT6_P12ihipStream_tbENKUlT_T0_E_clISt17integral_constantIbLb0EESU_EEDaSP_SQ_EUlSP_E_NS1_11comp_targetILNS1_3genE4ELNS1_11target_archE910ELNS1_3gpuE8ELNS1_3repE0EEENS1_30default_config_static_selectorELNS0_4arch9wavefront6targetE1EEEvT1_
	.p2align	8
	.type	_ZN7rocprim17ROCPRIM_400000_NS6detail17trampoline_kernelINS0_14default_configENS1_20scan_config_selectorIfEEZZNS1_9scan_implILNS1_25lookback_scan_determinismE0ELb0ELb0ES3_N6thrust23THRUST_200600_302600_NS6detail15normal_iteratorINS9_10device_ptrIfEEEESE_fNS9_4plusIiEEfEEDaPvRmT3_T4_T5_mT6_P12ihipStream_tbENKUlT_T0_E_clISt17integral_constantIbLb0EESU_EEDaSP_SQ_EUlSP_E_NS1_11comp_targetILNS1_3genE4ELNS1_11target_archE910ELNS1_3gpuE8ELNS1_3repE0EEENS1_30default_config_static_selectorELNS0_4arch9wavefront6targetE1EEEvT1_,@function
_ZN7rocprim17ROCPRIM_400000_NS6detail17trampoline_kernelINS0_14default_configENS1_20scan_config_selectorIfEEZZNS1_9scan_implILNS1_25lookback_scan_determinismE0ELb0ELb0ES3_N6thrust23THRUST_200600_302600_NS6detail15normal_iteratorINS9_10device_ptrIfEEEESE_fNS9_4plusIiEEfEEDaPvRmT3_T4_T5_mT6_P12ihipStream_tbENKUlT_T0_E_clISt17integral_constantIbLb0EESU_EEDaSP_SQ_EUlSP_E_NS1_11comp_targetILNS1_3genE4ELNS1_11target_archE910ELNS1_3gpuE8ELNS1_3repE0EEENS1_30default_config_static_selectorELNS0_4arch9wavefront6targetE1EEEvT1_: ; @_ZN7rocprim17ROCPRIM_400000_NS6detail17trampoline_kernelINS0_14default_configENS1_20scan_config_selectorIfEEZZNS1_9scan_implILNS1_25lookback_scan_determinismE0ELb0ELb0ES3_N6thrust23THRUST_200600_302600_NS6detail15normal_iteratorINS9_10device_ptrIfEEEESE_fNS9_4plusIiEEfEEDaPvRmT3_T4_T5_mT6_P12ihipStream_tbENKUlT_T0_E_clISt17integral_constantIbLb0EESU_EEDaSP_SQ_EUlSP_E_NS1_11comp_targetILNS1_3genE4ELNS1_11target_archE910ELNS1_3gpuE8ELNS1_3repE0EEENS1_30default_config_static_selectorELNS0_4arch9wavefront6targetE1EEEvT1_
; %bb.0:
	s_load_dwordx8 s[12:19], s[4:5], 0x0
	s_load_dword s1, s[4:5], 0x30
	s_mul_i32 s0, s6, 0x700
	v_lshlrev_b32_e32 v32, 2, v0
	s_waitcnt lgkmcnt(0)
	s_lshl_b64 s[14:15], s[14:15], 2
	s_add_u32 s2, s12, s14
	s_addc_u32 s3, s13, s15
	s_add_i32 s7, s1, -1
	s_mul_i32 s8, s7, 0x700
	s_sub_u32 s26, s18, s8
	s_subb_u32 s27, s19, 0
	s_mov_b32 s1, 0
	s_cmp_lg_u32 s6, s7
	s_cselect_b64 s[18:19], -1, 0
	s_lshl_b64 s[20:21], s[0:1], 2
	s_add_u32 s2, s2, s20
	s_addc_u32 s3, s3, s21
	s_mov_b64 s[0:1], -1
	s_and_b64 vcc, exec, s[18:19]
	s_cbranch_vccz .LBB1499_2
; %bb.1:
	v_mov_b32_e32 v1, s3
	v_add_co_u32_e32 v2, vcc, s2, v32
	v_addc_co_u32_e32 v3, vcc, 0, v1, vcc
	flat_load_dword v1, v[2:3]
	flat_load_dword v4, v[2:3] offset:512
	flat_load_dword v5, v[2:3] offset:1024
	;; [unrolled: 1-line block ×7, first 2 shown]
	v_add_co_u32_e32 v2, vcc, 0x1000, v2
	v_addc_co_u32_e32 v3, vcc, 0, v3, vcc
	flat_load_dword v11, v[2:3]
	flat_load_dword v12, v[2:3] offset:512
	flat_load_dword v13, v[2:3] offset:1024
	;; [unrolled: 1-line block ×5, first 2 shown]
	s_mov_b64 s[0:1], 0
	s_waitcnt vmcnt(0) lgkmcnt(0)
	ds_write2st64_b32 v32, v1, v4 offset1:2
	ds_write2st64_b32 v32, v5, v6 offset0:4 offset1:6
	ds_write2st64_b32 v32, v7, v8 offset0:8 offset1:10
	;; [unrolled: 1-line block ×6, first 2 shown]
	s_waitcnt lgkmcnt(0)
	s_barrier
.LBB1499_2:
	s_load_dwordx2 s[22:23], s[4:5], 0x28
	s_andn2_b64 vcc, exec, s[0:1]
	v_cmp_gt_u32_e64 s[0:1], s26, v0
	s_cbranch_vccnz .LBB1499_32
; %bb.3:
	v_pk_mov_b32 v[2:3], s[2:3], s[2:3] op_sel:[0,1]
	flat_load_dword v1, v[2:3]
	s_waitcnt vmcnt(0) lgkmcnt(0)
	v_mov_b32_e32 v2, v1
	v_mov_b32_e32 v3, v1
	;; [unrolled: 1-line block ×12, first 2 shown]
	v_pk_mov_b32 v[16:17], v[14:15], v[14:15] op_sel:[0,1]
	v_pk_mov_b32 v[14:15], v[12:13], v[12:13] op_sel:[0,1]
	v_pk_mov_b32 v[12:13], v[10:11], v[10:11] op_sel:[0,1]
	v_pk_mov_b32 v[10:11], v[8:9], v[8:9] op_sel:[0,1]
	v_pk_mov_b32 v[8:9], v[6:7], v[6:7] op_sel:[0,1]
	v_pk_mov_b32 v[6:7], v[4:5], v[4:5] op_sel:[0,1]
	v_pk_mov_b32 v[4:5], v[2:3], v[2:3] op_sel:[0,1]
	v_pk_mov_b32 v[2:3], v[0:1], v[0:1] op_sel:[0,1]
	s_and_saveexec_b64 s[8:9], s[0:1]
	s_cbranch_execz .LBB1499_5
; %bb.4:
	v_mov_b32_e32 v3, s3
	v_add_co_u32_e32 v2, vcc, s2, v32
	v_addc_co_u32_e32 v3, vcc, 0, v3, vcc
	flat_load_dword v18, v[2:3]
	v_mov_b32_e32 v2, v1
	v_mov_b32_e32 v3, v1
	;; [unrolled: 1-line block ×12, first 2 shown]
	v_pk_mov_b32 v[16:17], v[14:15], v[14:15] op_sel:[0,1]
	v_pk_mov_b32 v[14:15], v[12:13], v[12:13] op_sel:[0,1]
	;; [unrolled: 1-line block ×8, first 2 shown]
	s_waitcnt vmcnt(0) lgkmcnt(0)
	v_mov_b32_e32 v1, v18
.LBB1499_5:
	s_or_b64 exec, exec, s[8:9]
	v_or_b32_e32 v2, 0x80, v0
	v_cmp_gt_u32_e32 vcc, s26, v2
	s_and_saveexec_b64 s[0:1], vcc
	s_cbranch_execz .LBB1499_7
; %bb.6:
	v_mov_b32_e32 v3, s3
	v_add_co_u32_e32 v2, vcc, s2, v32
	v_addc_co_u32_e32 v3, vcc, 0, v3, vcc
	flat_load_dword v3, v[2:3] offset:512
.LBB1499_7:
	s_or_b64 exec, exec, s[0:1]
	v_or_b32_e32 v2, 0x100, v0
	v_cmp_gt_u32_e32 vcc, s26, v2
	s_and_saveexec_b64 s[0:1], vcc
	s_cbranch_execz .LBB1499_9
; %bb.8:
	v_mov_b32_e32 v2, s3
	v_add_co_u32_e32 v16, vcc, s2, v32
	v_addc_co_u32_e32 v17, vcc, 0, v2, vcc
	flat_load_dword v4, v[16:17] offset:1024
.LBB1499_9:
	;; [unrolled: 11-line block ×7, first 2 shown]
	s_or_b64 exec, exec, s[0:1]
	v_or_b32_e32 v2, 0x400, v0
	v_cmp_gt_u32_e32 vcc, s26, v2
	s_and_saveexec_b64 s[0:1], vcc
	s_cbranch_execz .LBB1499_21
; %bb.20:
	v_lshlrev_b32_e32 v2, 2, v2
	v_mov_b32_e32 v10, s3
	v_add_co_u32_e32 v16, vcc, s2, v2
	v_addc_co_u32_e32 v17, vcc, 0, v10, vcc
	flat_load_dword v10, v[16:17]
.LBB1499_21:
	s_or_b64 exec, exec, s[0:1]
	v_or_b32_e32 v2, 0x480, v0
	v_cmp_gt_u32_e32 vcc, s26, v2
	s_and_saveexec_b64 s[0:1], vcc
	s_cbranch_execz .LBB1499_23
; %bb.22:
	v_lshlrev_b32_e32 v2, 2, v2
	v_mov_b32_e32 v11, s3
	v_add_co_u32_e32 v16, vcc, s2, v2
	v_addc_co_u32_e32 v17, vcc, 0, v11, vcc
	flat_load_dword v11, v[16:17]
.LBB1499_23:
	;; [unrolled: 12-line block ×6, first 2 shown]
	s_or_b64 exec, exec, s[0:1]
	s_waitcnt vmcnt(0) lgkmcnt(0)
	ds_write2st64_b32 v32, v1, v3 offset1:2
	ds_write2st64_b32 v32, v4, v5 offset0:4 offset1:6
	ds_write2st64_b32 v32, v6, v7 offset0:8 offset1:10
	;; [unrolled: 1-line block ×6, first 2 shown]
	s_waitcnt lgkmcnt(0)
	s_barrier
.LBB1499_32:
	v_mul_u32_u24_e32 v33, 14, v0
	v_lshlrev_b32_e32 v1, 2, v33
	s_waitcnt lgkmcnt(0)
	ds_read2_b64 v[2:5], v1 offset1:1
	ds_read2_b64 v[26:29], v1 offset0:2 offset1:3
	ds_read2_b64 v[22:25], v1 offset0:4 offset1:5
	ds_read_b64 v[30:31], v1 offset:48
	s_cmp_lg_u32 s6, 0
	v_lshrrev_b32_e32 v34, 5, v0
	v_cmp_gt_u32_e32 vcc, 64, v0
	s_waitcnt lgkmcnt(0)
	s_barrier
	s_cbranch_scc0 .LBB1499_59
; %bb.33:
	v_cvt_i32_f32_e32 v20, v2
	v_cvt_i32_f32_e32 v16, v3
	;; [unrolled: 1-line block ×5, first 2 shown]
	v_add_u32_e32 v6, v16, v20
	v_cvt_f32_i32_e32 v6, v6
	v_cvt_i32_f32_e32 v21, v27
	v_cvt_i32_f32_e32 v35, v28
	;; [unrolled: 1-line block ×7, first 2 shown]
	v_add_u32_e32 v6, v6, v17
	v_cvt_f32_i32_e32 v6, v6
	v_cvt_i32_f32_e32 v40, v25
	v_cvt_i32_f32_e32 v41, v30
	;; [unrolled: 1-line block ×4, first 2 shown]
	v_add_u32_e32 v6, v6, v18
	v_cvt_f32_i32_e32 v6, v6
	v_cvt_i32_f32_e32 v6, v6
	v_add_u32_e32 v6, v6, v19
	v_cvt_f32_i32_e32 v6, v6
	v_cvt_i32_f32_e32 v6, v6
	;; [unrolled: 3-line block ×10, first 2 shown]
	v_add_u32_e32 v6, v6, v42
	v_cvt_f32_i32_e32 v43, v6
	v_add_lshl_u32 v6, v34, v0, 2
	ds_write_b32 v6, v43
	s_waitcnt lgkmcnt(0)
	s_barrier
	s_and_saveexec_b64 s[2:3], vcc
	s_cbranch_execz .LBB1499_37
; %bb.34:
	v_lshlrev_b32_e32 v6, 1, v0
	v_lshrrev_b32_e32 v7, 4, v0
	v_add_lshl_u32 v6, v7, v6, 2
	ds_read2_b32 v[8:9], v6 offset1:1
	v_mbcnt_lo_u32_b32 v11, -1, 0
	s_waitcnt lgkmcnt(0)
	v_cvt_i32_f32_e32 v7, v8
	v_cvt_i32_f32_e32 v8, v9
	v_add_u32_e32 v8, v8, v7
	v_cvt_f32_i32_e32 v8, v8
	v_cvt_i32_f32_e32 v10, v8
	s_nop 0
	v_mov_b32_dpp v9, v8 row_shr:1 row_mask:0xf bank_mask:0xf
	v_cvt_i32_f32_e32 v9, v9
	v_add_u32_e32 v9, v9, v10
	v_cvt_f32_i32_e32 v10, v9
	v_mbcnt_hi_u32_b32 v9, -1, v11
	v_and_b32_e32 v11, 15, v9
	v_cmp_eq_u32_e64 s[0:1], 0, v11
	v_cndmask_b32_e64 v10, v10, v8, s[0:1]
	v_cvt_i32_f32_e32 v13, v10
	v_cmp_lt_u32_e64 s[0:1], 1, v11
	v_mov_b32_dpp v12, v10 row_shr:2 row_mask:0xf bank_mask:0xf
	v_cvt_i32_f32_e32 v12, v12
	v_add_u32_e32 v12, v13, v12
	v_cvt_f32_i32_e32 v12, v12
	v_cndmask_b32_e64 v10, v10, v12, s[0:1]
	s_nop 1
	v_mov_b32_dpp v12, v10 row_shr:4 row_mask:0xf bank_mask:0xf
	v_cvt_i32_f32_e32 v13, v10
	v_cvt_i32_f32_e32 v12, v12
	v_cmp_lt_u32_e64 s[0:1], 3, v11
	v_add_u32_e32 v12, v13, v12
	v_cvt_f32_i32_e32 v12, v12
	v_cndmask_b32_e64 v10, v10, v12, s[0:1]
	s_nop 1
	v_mov_b32_dpp v12, v10 row_shr:8 row_mask:0xf bank_mask:0xf
	v_cvt_i32_f32_e32 v13, v10
	v_cvt_i32_f32_e32 v12, v12
	v_cmp_lt_u32_e64 s[0:1], 7, v11
	v_add_u32_e32 v12, v13, v12
	v_cvt_f32_i32_e32 v12, v12
	v_cndmask_b32_e64 v10, v10, v12, s[0:1]
	s_nop 1
	v_mov_b32_dpp v11, v10 row_bcast:15 row_mask:0xf bank_mask:0xf
	v_cvt_i32_f32_e32 v12, v10
	v_cvt_i32_f32_e32 v11, v11
	v_add_u32_e32 v11, v12, v11
	v_cvt_f32_i32_e32 v11, v11
	v_and_b32_e32 v12, 16, v9
	v_cmp_eq_u32_e64 s[0:1], 0, v12
	v_cndmask_b32_e64 v10, v11, v10, s[0:1]
	v_cmp_ne_u32_e64 s[0:1], 0, v9
	s_nop 0
	v_mov_b32_dpp v11, v10 row_bcast:31 row_mask:0xf bank_mask:0xf
	s_and_saveexec_b64 s[8:9], s[0:1]
; %bb.35:
	v_cvt_i32_f32_e32 v8, v10
	v_cvt_i32_f32_e32 v11, v11
	v_cmp_lt_u32_e64 s[0:1], 31, v9
	v_add_u32_e32 v8, v8, v11
	v_cvt_f32_i32_e32 v8, v8
	v_cndmask_b32_e64 v8, v10, v8, s[0:1]
; %bb.36:
	s_or_b64 exec, exec, s[8:9]
	v_add_u32_e32 v10, -1, v9
	v_and_b32_e32 v11, 64, v9
	v_cmp_lt_i32_e64 s[0:1], v10, v11
	v_cndmask_b32_e64 v9, v10, v9, s[0:1]
	v_lshlrev_b32_e32 v9, 2, v9
	ds_bpermute_b32 v8, v9, v8
	v_cmp_eq_u32_e64 s[0:1], 0, v0
	; wave barrier
	s_waitcnt lgkmcnt(0)
	v_cvt_i32_f32_e32 v8, v8
	v_add_u32_e32 v7, v7, v8
	v_cvt_f32_i32_e32 v7, v7
	v_cndmask_b32_e64 v7, v7, v43, s[0:1]
	ds_write_b32 v6, v7
	; wave barrier
	ds_read_b32 v8, v6 offset:4
	v_cvt_i32_f32_e32 v7, v7
	s_waitcnt lgkmcnt(0)
	v_cvt_i32_f32_e32 v8, v8
	v_add_u32_e32 v7, v8, v7
	v_cvt_f32_i32_e32 v7, v7
	ds_write_b32 v6, v7 offset:4
.LBB1499_37:
	s_or_b64 exec, exec, s[2:3]
	v_cmp_eq_u32_e64 s[0:1], 0, v0
	v_cmp_ne_u32_e64 s[2:3], 0, v0
	s_waitcnt lgkmcnt(0)
	s_barrier
	s_and_saveexec_b64 s[8:9], s[2:3]
	s_cbranch_execz .LBB1499_39
; %bb.38:
	v_add_u32_e32 v6, -1, v0
	v_lshrrev_b32_e32 v7, 5, v6
	v_add_lshl_u32 v6, v7, v6, 2
	ds_read_b32 v43, v6
.LBB1499_39:
	s_or_b64 exec, exec, s[8:9]
	s_and_saveexec_b64 s[24:25], vcc
	s_cbranch_execz .LBB1499_58
; %bb.40:
	v_mov_b32_e32 v13, 0
	ds_read_b32 v6, v13 offset:520
	v_mbcnt_lo_u32_b32 v7, -1, 0
	v_mbcnt_hi_u32_b32 v9, -1, v7
	s_mov_b32 s11, 0
	v_cmp_eq_u32_e64 s[2:3], 0, v9
	s_and_saveexec_b64 s[8:9], s[2:3]
	s_cbranch_execz .LBB1499_42
; %bb.41:
	s_add_i32 s10, s6, 64
	s_lshl_b64 s[10:11], s[10:11], 3
	s_add_u32 s10, s22, s10
	v_mov_b32_e32 v7, 1
	s_addc_u32 s11, s23, s11
	s_waitcnt lgkmcnt(0)
	global_store_dwordx2 v13, v[6:7], s[10:11]
.LBB1499_42:
	s_or_b64 exec, exec, s[8:9]
	v_xad_u32 v8, v9, -1, s6
	v_add_u32_e32 v12, 64, v8
	v_lshlrev_b64 v[10:11], 3, v[12:13]
	v_mov_b32_e32 v7, s23
	v_add_co_u32_e32 v14, vcc, s22, v10
	v_addc_co_u32_e32 v15, vcc, v7, v11, vcc
	global_load_dwordx2 v[10:11], v[14:15], off glc
	s_waitcnt vmcnt(0)
	v_cmp_eq_u16_sdwa s[10:11], v11, v13 src0_sel:BYTE_0 src1_sel:DWORD
	s_and_saveexec_b64 s[8:9], s[10:11]
	s_cbranch_execz .LBB1499_46
; %bb.43:
	s_mov_b64 s[10:11], 0
	v_mov_b32_e32 v7, 0
.LBB1499_44:                            ; =>This Inner Loop Header: Depth=1
	global_load_dwordx2 v[10:11], v[14:15], off glc
	s_waitcnt vmcnt(0)
	v_cmp_ne_u16_sdwa s[12:13], v11, v7 src0_sel:BYTE_0 src1_sel:DWORD
	s_or_b64 s[10:11], s[12:13], s[10:11]
	s_andn2_b64 exec, exec, s[10:11]
	s_cbranch_execnz .LBB1499_44
; %bb.45:
	s_or_b64 exec, exec, s[10:11]
.LBB1499_46:
	s_or_b64 exec, exec, s[8:9]
	v_and_b32_e32 v44, 63, v9
	v_cmp_ne_u32_e32 vcc, 63, v44
	v_addc_co_u32_e32 v12, vcc, 0, v9, vcc
	v_lshlrev_b32_e32 v45, 2, v12
	ds_bpermute_b32 v14, v45, v10
	v_cvt_i32_f32_e32 v47, v10
	v_mov_b32_e32 v7, 2
	v_cmp_eq_u16_sdwa s[8:9], v11, v7 src0_sel:BYTE_0 src1_sel:DWORD
	v_lshlrev_b64 v[12:13], v9, -1
	s_waitcnt lgkmcnt(0)
	v_cvt_i32_f32_e32 v14, v14
	v_and_b32_e32 v15, s9, v13
	v_or_b32_e32 v15, 0x80000000, v15
	v_and_b32_e32 v46, s8, v12
	v_add_u32_e32 v14, v14, v47
	v_ffbl_b32_e32 v15, v15
	v_cvt_f32_i32_e32 v14, v14
	v_add_u32_e32 v15, 32, v15
	v_ffbl_b32_e32 v46, v46
	v_cmp_gt_u32_e64 s[8:9], 62, v44
	v_min_u32_e32 v15, v46, v15
	v_cndmask_b32_e64 v46, 0, 1, s[8:9]
	v_cmp_lt_u32_e32 vcc, v44, v15
	v_lshlrev_b32_e32 v46, 1, v46
	v_cndmask_b32_e32 v14, v10, v14, vcc
	v_add_lshl_u32 v46, v46, v9, 2
	ds_bpermute_b32 v47, v46, v14
	v_cvt_i32_f32_e32 v48, v14
	v_cmp_gt_u32_e64 s[10:11], 48, v44
	v_cndmask_b32_e64 v56, 0, 1, s[10:11]
	v_cmp_gt_u32_e64 s[12:13], 32, v44
	s_waitcnt lgkmcnt(0)
	v_cvt_i32_f32_e32 v47, v47
	v_cndmask_b32_e64 v59, 0, 1, s[12:13]
	v_add_u32_e32 v47, v48, v47
	v_cvt_f32_i32_e32 v48, v47
	v_add_u32_e32 v47, 2, v44
	v_cmp_gt_u32_e64 s[8:9], v47, v15
	v_cndmask_b32_e64 v14, v48, v14, s[8:9]
	v_cmp_gt_u32_e64 s[8:9], 60, v44
	v_cndmask_b32_e64 v48, 0, 1, s[8:9]
	v_lshlrev_b32_e32 v48, 2, v48
	v_add_lshl_u32 v48, v48, v9, 2
	ds_bpermute_b32 v49, v48, v14
	v_cvt_i32_f32_e32 v50, v14
	v_cmp_gt_u32_e64 s[8:9], 56, v44
	v_cndmask_b32_e32 v10, v10, v14, vcc
	s_waitcnt lgkmcnt(0)
	v_cvt_i32_f32_e32 v51, v49
	v_add_u32_e32 v49, 4, v44
	v_add_u32_e32 v50, v50, v51
	v_cvt_f32_i32_e32 v54, v50
	v_cndmask_b32_e64 v50, 0, 1, s[8:9]
	v_cmp_gt_u32_e64 s[8:9], v49, v15
	v_lshlrev_b32_e32 v50, 3, v50
	v_cndmask_b32_e64 v53, v54, v14, s[8:9]
	v_add_lshl_u32 v50, v50, v9, 2
	ds_bpermute_b32 v51, v50, v53
	v_cvt_i32_f32_e32 v52, v53
	v_cndmask_b32_e64 v10, v54, v10, s[8:9]
	s_waitcnt lgkmcnt(0)
	v_cvt_i32_f32_e32 v55, v51
	v_add_u32_e32 v51, 8, v44
	v_cmp_gt_u32_e64 s[10:11], v51, v15
	v_add_u32_e32 v52, v52, v55
	v_cvt_f32_i32_e32 v57, v52
	v_lshlrev_b32_e32 v52, 4, v56
	v_add_lshl_u32 v52, v52, v9, 2
	v_cndmask_b32_e64 v56, v57, v53, s[10:11]
	ds_bpermute_b32 v53, v52, v56
	v_cvt_i32_f32_e32 v55, v56
	v_cndmask_b32_e64 v10, v57, v10, s[10:11]
	s_waitcnt lgkmcnt(0)
	v_cvt_i32_f32_e32 v58, v53
	v_add_u32_e32 v53, 16, v44
	v_cmp_gt_u32_e64 s[12:13], v53, v15
	v_add_u32_e32 v55, v55, v58
	v_cvt_f32_i32_e32 v58, v55
	v_lshlrev_b32_e32 v55, 5, v59
	v_add_lshl_u32 v55, v55, v9, 2
	v_cndmask_b32_e64 v9, v58, v56, s[12:13]
	ds_bpermute_b32 v56, v55, v9
	v_cvt_i32_f32_e32 v9, v9
	v_cndmask_b32_e64 v10, v58, v10, s[12:13]
	s_waitcnt lgkmcnt(0)
	v_cvt_i32_f32_e32 v59, v56
	v_add_u32_e32 v56, 32, v44
	v_cmp_gt_u32_e32 vcc, v56, v15
	v_add_u32_e32 v9, v9, v59
	v_cvt_f32_i32_e32 v9, v9
	v_cndmask_b32_e32 v10, v9, v10, vcc
	v_mov_b32_e32 v9, 0
	s_branch .LBB1499_48
.LBB1499_47:                            ;   in Loop: Header=BB1499_48 Depth=1
	s_or_b64 exec, exec, s[8:9]
	ds_bpermute_b32 v14, v45, v10
	v_cvt_i32_f32_e32 v15, v10
	v_cmp_eq_u16_sdwa s[8:9], v11, v7 src0_sel:BYTE_0 src1_sel:DWORD
	v_and_b32_e32 v57, s9, v13
	v_or_b32_e32 v57, 0x80000000, v57
	s_waitcnt lgkmcnt(0)
	v_cvt_i32_f32_e32 v14, v14
	v_and_b32_e32 v58, s8, v12
	v_ffbl_b32_e32 v57, v57
	v_ffbl_b32_e32 v58, v58
	v_add_u32_e32 v14, v14, v15
	v_cvt_f32_i32_e32 v14, v14
	v_add_u32_e32 v15, 32, v57
	v_min_u32_e32 v15, v58, v15
	v_cmp_lt_u32_e32 vcc, v44, v15
	v_cndmask_b32_e32 v14, v10, v14, vcc
	ds_bpermute_b32 v57, v46, v14
	v_cvt_i32_f32_e32 v58, v14
	v_cmp_gt_u32_e64 s[8:9], v47, v15
	v_cmp_gt_u32_e64 s[10:11], v51, v15
	;; [unrolled: 1-line block ×3, first 2 shown]
	s_waitcnt lgkmcnt(0)
	v_cvt_i32_f32_e32 v57, v57
	v_subrev_u32_e32 v8, 64, v8
	v_add_u32_e32 v57, v58, v57
	v_cvt_f32_i32_e32 v57, v57
	v_cndmask_b32_e64 v14, v57, v14, s[8:9]
	ds_bpermute_b32 v57, v48, v14
	v_cvt_i32_f32_e32 v58, v14
	v_cmp_gt_u32_e64 s[8:9], v49, v15
	v_cndmask_b32_e32 v10, v10, v14, vcc
	v_cmp_gt_u32_e32 vcc, v56, v15
	s_waitcnt lgkmcnt(0)
	v_cvt_i32_f32_e32 v57, v57
	v_add_u32_e32 v57, v58, v57
	v_cvt_f32_i32_e32 v57, v57
	v_cndmask_b32_e64 v58, v57, v14, s[8:9]
	ds_bpermute_b32 v59, v50, v58
	v_cvt_i32_f32_e32 v60, v58
	v_cndmask_b32_e64 v10, v57, v10, s[8:9]
	s_waitcnt lgkmcnt(0)
	v_cvt_i32_f32_e32 v59, v59
	v_add_u32_e32 v59, v60, v59
	v_cvt_f32_i32_e32 v59, v59
	v_cndmask_b32_e64 v58, v59, v58, s[10:11]
	ds_bpermute_b32 v60, v52, v58
	v_cvt_i32_f32_e32 v61, v58
	v_cndmask_b32_e64 v10, v59, v10, s[10:11]
	;; [unrolled: 8-line block ×3, first 2 shown]
	s_waitcnt lgkmcnt(0)
	v_cvt_i32_f32_e32 v61, v61
	v_add_u32_e32 v14, v58, v61
	v_cvt_f32_i32_e32 v14, v14
	v_cndmask_b32_e32 v10, v14, v10, vcc
	v_cvt_i32_f32_e32 v10, v10
	v_cvt_i32_f32_e32 v14, v54
	v_add_u32_e32 v10, v10, v14
	v_cvt_f32_i32_e32 v10, v10
.LBB1499_48:                            ; =>This Loop Header: Depth=1
                                        ;     Child Loop BB1499_51 Depth 2
	v_cmp_ne_u16_sdwa s[8:9], v11, v7 src0_sel:BYTE_0 src1_sel:DWORD
	v_cndmask_b32_e64 v11, 0, 1, s[8:9]
	;;#ASMSTART
	;;#ASMEND
	v_cmp_ne_u32_e32 vcc, 0, v11
	s_cmp_lg_u64 vcc, exec
	v_mov_b32_e32 v54, v10
	s_cbranch_scc1 .LBB1499_53
; %bb.49:                               ;   in Loop: Header=BB1499_48 Depth=1
	v_lshlrev_b64 v[10:11], 3, v[8:9]
	v_mov_b32_e32 v15, s23
	v_add_co_u32_e32 v14, vcc, s22, v10
	v_addc_co_u32_e32 v15, vcc, v15, v11, vcc
	global_load_dwordx2 v[10:11], v[14:15], off glc
	s_waitcnt vmcnt(0)
	v_cmp_eq_u16_sdwa s[10:11], v11, v9 src0_sel:BYTE_0 src1_sel:DWORD
	s_and_saveexec_b64 s[8:9], s[10:11]
	s_cbranch_execz .LBB1499_47
; %bb.50:                               ;   in Loop: Header=BB1499_48 Depth=1
	s_mov_b64 s[10:11], 0
.LBB1499_51:                            ;   Parent Loop BB1499_48 Depth=1
                                        ; =>  This Inner Loop Header: Depth=2
	global_load_dwordx2 v[10:11], v[14:15], off glc
	s_waitcnt vmcnt(0)
	v_cmp_ne_u16_sdwa s[12:13], v11, v9 src0_sel:BYTE_0 src1_sel:DWORD
	s_or_b64 s[10:11], s[12:13], s[10:11]
	s_andn2_b64 exec, exec, s[10:11]
	s_cbranch_execnz .LBB1499_51
; %bb.52:                               ;   in Loop: Header=BB1499_48 Depth=1
	s_or_b64 exec, exec, s[10:11]
	s_branch .LBB1499_47
.LBB1499_53:                            ;   in Loop: Header=BB1499_48 Depth=1
                                        ; implicit-def: $vgpr10
                                        ; implicit-def: $vgpr11
	s_cbranch_execz .LBB1499_48
; %bb.54:
	s_and_saveexec_b64 s[8:9], s[2:3]
	s_cbranch_execz .LBB1499_56
; %bb.55:
	v_cvt_i32_f32_e32 v7, v54
	v_cvt_i32_f32_e32 v6, v6
	s_add_i32 s2, s6, 64
	s_mov_b32 s3, 0
	s_lshl_b64 s[2:3], s[2:3], 3
	v_add_u32_e32 v6, v7, v6
	v_cvt_f32_i32_e32 v6, v6
	s_add_u32 s2, s22, s2
	s_addc_u32 s3, s23, s3
	v_mov_b32_e32 v8, 0
	v_mov_b32_e32 v7, 2
	global_store_dwordx2 v8, v[6:7], s[2:3]
.LBB1499_56:
	s_or_b64 exec, exec, s[8:9]
	s_and_b64 exec, exec, s[0:1]
	s_cbranch_execz .LBB1499_58
; %bb.57:
	v_mov_b32_e32 v6, 0
	ds_write_b32 v6, v54
.LBB1499_58:
	s_or_b64 exec, exec, s[24:25]
	s_waitcnt lgkmcnt(0)
	v_cvt_i32_f32_e32 v6, v43
	v_mov_b32_e32 v7, 0
	s_barrier
	v_add_u32_e32 v6, v6, v20
	ds_read_b32 v7, v7
	v_cvt_f32_i32_e32 v6, v6
	s_waitcnt lgkmcnt(0)
	v_cvt_i32_f32_e32 v7, v7
	v_cndmask_b32_e64 v6, v6, v2, s[0:1]
	v_cvt_i32_f32_e32 v6, v6
	v_add_u32_e32 v6, v7, v6
	v_cvt_f32_i32_e32 v6, v6
	v_cvt_i32_f32_e32 v7, v6
	v_add_u32_e32 v7, v7, v16
	v_cvt_f32_i32_e32 v7, v7
	;; [unrolled: 3-line block ×14, first 2 shown]
	s_load_dwordx8 s[4:11], s[4:5], 0x38
	s_branch .LBB1499_73
.LBB1499_59:
                                        ; implicit-def: $vgpr6_vgpr7_vgpr8_vgpr9_vgpr10_vgpr11_vgpr12_vgpr13_vgpr14_vgpr15_vgpr16_vgpr17_vgpr18_vgpr19_vgpr20_vgpr21
	s_load_dwordx8 s[4:11], s[4:5], 0x38
	s_cbranch_execz .LBB1499_73
; %bb.60:
	s_waitcnt lgkmcnt(0)
	s_cmp_lg_u64 s[8:9], 0
	s_cselect_b64 s[2:3], -1, 0
	v_cmp_eq_u32_e64 s[0:1], 0, v0
	v_cmp_ne_u32_e32 vcc, 0, v0
	s_and_b64 s[8:9], s[0:1], s[2:3]
	s_and_saveexec_b64 s[2:3], s[8:9]
	s_cbranch_execz .LBB1499_62
; %bb.61:
	v_mov_b32_e32 v6, 0
	global_load_dword v6, v6, s[4:5]
	v_cvt_i32_f32_e32 v2, v2
	s_waitcnt vmcnt(0)
	v_cvt_i32_f32_e32 v6, v6
	v_add_u32_e32 v2, v6, v2
	v_cvt_f32_i32_e32 v2, v2
.LBB1499_62:
	s_or_b64 exec, exec, s[2:3]
	v_cvt_i32_f32_e32 v18, v2
	v_cvt_i32_f32_e32 v16, v3
	;; [unrolled: 1-line block ×5, first 2 shown]
	v_add_u32_e32 v3, v16, v18
	v_cvt_f32_i32_e32 v3, v3
	v_cvt_i32_f32_e32 v21, v27
	v_cvt_i32_f32_e32 v26, v28
	;; [unrolled: 1-line block ×7, first 2 shown]
	v_add_u32_e32 v4, v4, v17
	v_cvt_f32_i32_e32 v4, v4
	v_cvt_i32_f32_e32 v25, v25
	v_cvt_i32_f32_e32 v28, v30
	;; [unrolled: 1-line block ×4, first 2 shown]
	v_add_lshl_u32 v30, v34, v0, 2
	v_cmp_gt_u32_e64 s[2:3], 64, v0
	v_add_u32_e32 v5, v5, v19
	v_cvt_f32_i32_e32 v5, v5
	v_cvt_i32_f32_e32 v6, v5
	v_add_u32_e32 v6, v6, v20
	v_cvt_f32_i32_e32 v6, v6
	v_cvt_i32_f32_e32 v7, v6
	;; [unrolled: 3-line block ×10, first 2 shown]
	v_add_u32_e32 v15, v15, v29
	v_cvt_f32_i32_e32 v15, v15
	ds_write_b32 v30, v15
	s_waitcnt lgkmcnt(0)
	s_barrier
	s_and_saveexec_b64 s[4:5], s[2:3]
	s_cbranch_execz .LBB1499_66
; %bb.63:
	v_lshlrev_b32_e32 v30, 1, v0
	v_lshrrev_b32_e32 v31, 4, v0
	v_add_lshl_u32 v30, v31, v30, 2
	ds_read2_b32 v[34:35], v30 offset1:1
	v_mbcnt_lo_u32_b32 v37, -1, 0
	s_waitcnt lgkmcnt(0)
	v_cvt_i32_f32_e32 v31, v34
	v_cvt_i32_f32_e32 v34, v35
	v_add_u32_e32 v34, v34, v31
	v_cvt_f32_i32_e32 v34, v34
	v_cvt_i32_f32_e32 v36, v34
	s_nop 0
	v_mov_b32_dpp v35, v34 row_shr:1 row_mask:0xf bank_mask:0xf
	v_cvt_i32_f32_e32 v35, v35
	v_add_u32_e32 v35, v35, v36
	v_cvt_f32_i32_e32 v36, v35
	v_mbcnt_hi_u32_b32 v35, -1, v37
	v_and_b32_e32 v37, 15, v35
	v_cmp_eq_u32_e64 s[2:3], 0, v37
	v_cndmask_b32_e64 v36, v36, v34, s[2:3]
	v_cvt_i32_f32_e32 v39, v36
	v_cmp_lt_u32_e64 s[2:3], 1, v37
	v_mov_b32_dpp v38, v36 row_shr:2 row_mask:0xf bank_mask:0xf
	v_cvt_i32_f32_e32 v38, v38
	v_add_u32_e32 v38, v39, v38
	v_cvt_f32_i32_e32 v38, v38
	v_cndmask_b32_e64 v36, v36, v38, s[2:3]
	s_nop 1
	v_mov_b32_dpp v38, v36 row_shr:4 row_mask:0xf bank_mask:0xf
	v_cvt_i32_f32_e32 v39, v36
	v_cvt_i32_f32_e32 v38, v38
	v_cmp_lt_u32_e64 s[2:3], 3, v37
	v_add_u32_e32 v38, v39, v38
	v_cvt_f32_i32_e32 v38, v38
	v_cndmask_b32_e64 v36, v36, v38, s[2:3]
	s_nop 1
	v_mov_b32_dpp v38, v36 row_shr:8 row_mask:0xf bank_mask:0xf
	v_cvt_i32_f32_e32 v39, v36
	v_cvt_i32_f32_e32 v38, v38
	v_cmp_lt_u32_e64 s[2:3], 7, v37
	v_add_u32_e32 v38, v39, v38
	v_cvt_f32_i32_e32 v38, v38
	v_cndmask_b32_e64 v36, v36, v38, s[2:3]
	s_nop 1
	v_mov_b32_dpp v37, v36 row_bcast:15 row_mask:0xf bank_mask:0xf
	v_cvt_i32_f32_e32 v38, v36
	v_cvt_i32_f32_e32 v37, v37
	v_add_u32_e32 v37, v38, v37
	v_cvt_f32_i32_e32 v37, v37
	v_and_b32_e32 v38, 16, v35
	v_cmp_eq_u32_e64 s[2:3], 0, v38
	v_cndmask_b32_e64 v36, v37, v36, s[2:3]
	v_cmp_ne_u32_e64 s[2:3], 0, v35
	s_nop 0
	v_mov_b32_dpp v37, v36 row_bcast:31 row_mask:0xf bank_mask:0xf
	s_and_saveexec_b64 s[8:9], s[2:3]
; %bb.64:
	v_cvt_i32_f32_e32 v34, v36
	v_cvt_i32_f32_e32 v37, v37
	v_cmp_lt_u32_e64 s[2:3], 31, v35
	v_add_u32_e32 v34, v34, v37
	v_cvt_f32_i32_e32 v34, v34
	v_cndmask_b32_e64 v34, v36, v34, s[2:3]
; %bb.65:
	s_or_b64 exec, exec, s[8:9]
	v_add_u32_e32 v36, -1, v35
	v_and_b32_e32 v37, 64, v35
	v_cmp_lt_i32_e64 s[2:3], v36, v37
	v_cndmask_b32_e64 v35, v36, v35, s[2:3]
	v_lshlrev_b32_e32 v35, 2, v35
	ds_bpermute_b32 v34, v35, v34
	; wave barrier
	s_waitcnt lgkmcnt(0)
	v_cvt_i32_f32_e32 v34, v34
	v_add_u32_e32 v31, v31, v34
	v_cvt_f32_i32_e32 v31, v31
	v_cndmask_b32_e64 v31, v31, v15, s[0:1]
	ds_write_b32 v30, v31
	; wave barrier
	ds_read_b32 v34, v30 offset:4
	v_cvt_i32_f32_e32 v31, v31
	s_waitcnt lgkmcnt(0)
	v_cvt_i32_f32_e32 v34, v34
	v_add_u32_e32 v31, v34, v31
	v_cvt_f32_i32_e32 v31, v31
	ds_write_b32 v30, v31 offset:4
.LBB1499_66:
	s_or_b64 exec, exec, s[4:5]
	v_mov_b32_e32 v30, v15
	s_waitcnt lgkmcnt(0)
	s_barrier
	s_and_saveexec_b64 s[0:1], vcc
	s_cbranch_execz .LBB1499_68
; %bb.67:
	v_add_u32_e32 v30, -1, v0
	v_lshrrev_b32_e32 v31, 5, v30
	v_add_lshl_u32 v30, v31, v30, 2
	ds_read_b32 v30, v30
.LBB1499_68:
	s_or_b64 exec, exec, s[0:1]
	s_and_saveexec_b64 s[0:1], vcc
	s_cbranch_execz .LBB1499_70
; %bb.69:
	s_waitcnt lgkmcnt(0)
	v_cvt_i32_f32_e32 v2, v30
	;;#ASMSTART
	;;#ASMEND
	v_add_u32_e32 v2, v2, v18
	v_cvt_f32_i32_e32 v2, v2
	v_cvt_i32_f32_e32 v3, v2
	v_add_u32_e32 v3, v3, v16
	v_cvt_f32_i32_e32 v3, v3
	v_cvt_i32_f32_e32 v4, v3
	;; [unrolled: 3-line block ×13, first 2 shown]
	v_add_u32_e32 v15, v15, v29
	v_cvt_f32_i32_e32 v15, v15
.LBB1499_70:
	s_or_b64 exec, exec, s[0:1]
	s_movk_i32 s0, 0x7f
	v_cmp_eq_u32_e32 vcc, s0, v0
	s_and_saveexec_b64 s[0:1], vcc
	s_cbranch_execz .LBB1499_72
; %bb.71:
	v_mov_b32_e32 v18, 0
	v_mov_b32_e32 v17, 2
	;; [unrolled: 1-line block ×3, first 2 shown]
	global_store_dwordx2 v18, v[16:17], s[22:23] offset:512
.LBB1499_72:
	s_or_b64 exec, exec, s[0:1]
	v_pk_mov_b32 v[20:21], v[16:17], v[16:17] op_sel:[0,1]
	v_pk_mov_b32 v[18:19], v[14:15], v[14:15] op_sel:[0,1]
	;; [unrolled: 1-line block ×8, first 2 shown]
.LBB1499_73:
	s_add_u32 s0, s16, s14
	s_addc_u32 s1, s17, s15
	s_add_u32 s2, s0, s20
	s_addc_u32 s3, s1, s21
	s_mov_b64 s[0:1], -1
	s_and_b64 vcc, exec, s[18:19]
	s_waitcnt lgkmcnt(0)
	s_barrier
	s_cbranch_vccz .LBB1499_75
; %bb.74:
	ds_write2_b64 v1, v[6:7], v[8:9] offset1:1
	ds_write2_b64 v1, v[10:11], v[12:13] offset0:2 offset1:3
	ds_write2_b64 v1, v[14:15], v[16:17] offset0:4 offset1:5
	ds_write_b64 v1, v[18:19] offset:48
	s_waitcnt lgkmcnt(0)
	s_barrier
	ds_read2st64_b32 v[2:3], v32 offset1:2
	ds_read2st64_b32 v[4:5], v32 offset0:4 offset1:6
	ds_read2st64_b32 v[20:21], v32 offset0:8 offset1:10
	;; [unrolled: 1-line block ×6, first 2 shown]
	v_mov_b32_e32 v31, s3
	v_add_co_u32_e32 v30, vcc, s2, v32
	v_addc_co_u32_e32 v31, vcc, 0, v31, vcc
	s_waitcnt lgkmcnt(6)
	flat_store_dword v[30:31], v2
	flat_store_dword v[30:31], v3 offset:512
	s_waitcnt lgkmcnt(0)
	flat_store_dword v[30:31], v4 offset:1024
	flat_store_dword v[30:31], v5 offset:1536
	flat_store_dword v[30:31], v20 offset:2048
	flat_store_dword v[30:31], v21 offset:2560
	flat_store_dword v[30:31], v22 offset:3072
	flat_store_dword v[30:31], v23 offset:3584
	v_add_co_u32_e32 v2, vcc, 0x1000, v30
	v_addc_co_u32_e32 v3, vcc, 0, v31, vcc
	flat_store_dword v[2:3], v24
	flat_store_dword v[2:3], v25 offset:512
	flat_store_dword v[2:3], v26 offset:1024
	flat_store_dword v[2:3], v27 offset:1536
	flat_store_dword v[2:3], v28 offset:2048
	flat_store_dword v[2:3], v29 offset:2560
	s_mov_b64 s[0:1], 0
.LBB1499_75:
	s_andn2_b64 vcc, exec, s[0:1]
	s_cbranch_vccnz .LBB1499_155
; %bb.76:
	ds_write2_b64 v1, v[6:7], v[8:9] offset1:1
	ds_write2_b64 v1, v[10:11], v[12:13] offset0:2 offset1:3
	ds_write2_b64 v1, v[14:15], v[16:17] offset0:4 offset1:5
	ds_write_b64 v1, v[18:19] offset:48
	s_waitcnt lgkmcnt(0)
	s_barrier
	ds_read2st64_b32 v[4:5], v32 offset1:2
	ds_read2st64_b32 v[6:7], v32 offset0:4 offset1:6
	ds_read2st64_b32 v[8:9], v32 offset0:8 offset1:10
	;; [unrolled: 1-line block ×6, first 2 shown]
	v_mov_b32_e32 v17, s3
	v_add_co_u32_e32 v16, vcc, s2, v32
	v_addc_co_u32_e32 v17, vcc, 0, v17, vcc
	v_mov_b32_e32 v1, 0
	v_cmp_gt_u32_e32 vcc, s26, v0
	s_and_saveexec_b64 s[0:1], vcc
	s_cbranch_execz .LBB1499_78
; %bb.77:
	s_waitcnt lgkmcnt(0)
	flat_store_dword v[16:17], v4
.LBB1499_78:
	s_or_b64 exec, exec, s[0:1]
	v_or_b32_e32 v18, 0x80, v0
	v_cmp_gt_u32_e32 vcc, s26, v18
	s_and_saveexec_b64 s[0:1], vcc
	s_cbranch_execz .LBB1499_80
; %bb.79:
	s_waitcnt lgkmcnt(0)
	flat_store_dword v[16:17], v5 offset:512
.LBB1499_80:
	s_or_b64 exec, exec, s[0:1]
	v_or_b32_e32 v18, 0x100, v0
	v_cmp_gt_u32_e32 vcc, s26, v18
	s_and_saveexec_b64 s[0:1], vcc
	s_cbranch_execz .LBB1499_82
; %bb.81:
	s_waitcnt lgkmcnt(0)
	flat_store_dword v[16:17], v6 offset:1024
.LBB1499_82:
	s_or_b64 exec, exec, s[0:1]
	v_or_b32_e32 v18, 0x180, v0
	v_cmp_gt_u32_e32 vcc, s26, v18
	s_and_saveexec_b64 s[0:1], vcc
	s_cbranch_execz .LBB1499_84
; %bb.83:
	s_waitcnt lgkmcnt(0)
	flat_store_dword v[16:17], v7 offset:1536
.LBB1499_84:
	s_or_b64 exec, exec, s[0:1]
	v_or_b32_e32 v18, 0x200, v0
	v_cmp_gt_u32_e32 vcc, s26, v18
	s_and_saveexec_b64 s[0:1], vcc
	s_cbranch_execz .LBB1499_86
; %bb.85:
	s_waitcnt lgkmcnt(0)
	flat_store_dword v[16:17], v8 offset:2048
.LBB1499_86:
	s_or_b64 exec, exec, s[0:1]
	v_or_b32_e32 v18, 0x280, v0
	v_cmp_gt_u32_e32 vcc, s26, v18
	s_and_saveexec_b64 s[0:1], vcc
	s_cbranch_execz .LBB1499_88
; %bb.87:
	s_waitcnt lgkmcnt(0)
	flat_store_dword v[16:17], v9 offset:2560
.LBB1499_88:
	s_or_b64 exec, exec, s[0:1]
	v_or_b32_e32 v18, 0x300, v0
	v_cmp_gt_u32_e32 vcc, s26, v18
	s_and_saveexec_b64 s[0:1], vcc
	s_cbranch_execz .LBB1499_90
; %bb.89:
	s_waitcnt lgkmcnt(0)
	flat_store_dword v[16:17], v2 offset:3072
.LBB1499_90:
	s_or_b64 exec, exec, s[0:1]
	v_or_b32_e32 v18, 0x380, v0
	v_cmp_gt_u32_e32 vcc, s26, v18
	s_and_saveexec_b64 s[0:1], vcc
	s_cbranch_execz .LBB1499_92
; %bb.91:
	s_waitcnt lgkmcnt(0)
	flat_store_dword v[16:17], v3 offset:3584
.LBB1499_92:
	s_or_b64 exec, exec, s[0:1]
	v_or_b32_e32 v18, 0x400, v0
	v_cmp_gt_u32_e32 vcc, s26, v18
	s_and_saveexec_b64 s[0:1], vcc
	s_cbranch_execz .LBB1499_94
; %bb.93:
	v_add_co_u32_e32 v18, vcc, 0x1000, v16
	v_addc_co_u32_e32 v19, vcc, 0, v17, vcc
	s_waitcnt lgkmcnt(0)
	flat_store_dword v[18:19], v12
.LBB1499_94:
	s_or_b64 exec, exec, s[0:1]
	v_or_b32_e32 v18, 0x480, v0
	v_cmp_gt_u32_e32 vcc, s26, v18
	s_and_saveexec_b64 s[0:1], vcc
	s_cbranch_execz .LBB1499_96
; %bb.95:
	v_add_co_u32_e32 v18, vcc, 0x1000, v16
	v_addc_co_u32_e32 v19, vcc, 0, v17, vcc
	s_waitcnt lgkmcnt(0)
	flat_store_dword v[18:19], v13 offset:512
.LBB1499_96:
	s_or_b64 exec, exec, s[0:1]
	v_or_b32_e32 v18, 0x500, v0
	v_cmp_gt_u32_e32 vcc, s26, v18
	s_and_saveexec_b64 s[0:1], vcc
	s_cbranch_execz .LBB1499_98
; %bb.97:
	v_add_co_u32_e32 v18, vcc, 0x1000, v16
	v_addc_co_u32_e32 v19, vcc, 0, v17, vcc
	s_waitcnt lgkmcnt(0)
	flat_store_dword v[18:19], v10 offset:1024
.LBB1499_98:
	;; [unrolled: 11-line block ×5, first 2 shown]
	s_or_b64 exec, exec, s[0:1]
	v_cmp_lt_u64_e64 s[0:1], s[10:11], 2
	s_and_b64 vcc, exec, s[0:1]
	s_cbranch_vccnz .LBB1499_155
; %bb.105:
	s_add_u32 s0, s26, -1
	s_addc_u32 s1, s27, -1
	s_add_u32 s2, 0, 0x49240800
	s_addc_u32 s3, 0, 50
	s_add_i32 s3, s3, 0x12492460
	s_mul_hi_u32 s9, s2, -14
	s_sub_i32 s9, s9, s2
	s_mul_i32 s10, s3, -14
	s_mul_i32 s4, s2, -14
	s_add_i32 s9, s9, s10
	s_mul_hi_u32 s5, s3, s4
	s_mul_i32 s8, s3, s4
	s_mul_i32 s11, s2, s9
	s_mul_hi_u32 s4, s2, s4
	s_mul_hi_u32 s10, s2, s9
	s_add_u32 s4, s4, s11
	s_addc_u32 s10, 0, s10
	s_add_u32 s4, s4, s8
	s_mul_hi_u32 s11, s3, s9
	s_addc_u32 s4, s10, s5
	s_addc_u32 s5, s11, 0
	s_mul_i32 s8, s3, s9
	s_add_u32 s4, s4, s8
	v_mov_b32_e32 v16, s4
	s_addc_u32 s5, 0, s5
	v_add_co_u32_e32 v16, vcc, s2, v16
	s_cmp_lg_u64 vcc, 0
	s_addc_u32 s2, s3, s5
	v_readfirstlane_b32 s5, v16
	s_mul_i32 s4, s0, s2
	s_mul_hi_u32 s8, s0, s5
	s_mul_hi_u32 s3, s0, s2
	s_add_u32 s4, s8, s4
	s_addc_u32 s3, 0, s3
	s_mul_hi_u32 s9, s1, s5
	s_mul_i32 s5, s1, s5
	s_add_u32 s4, s4, s5
	s_mul_hi_u32 s8, s1, s2
	s_addc_u32 s3, s3, s9
	s_addc_u32 s4, s8, 0
	s_mul_i32 s2, s1, s2
	s_add_u32 s2, s3, s2
	s_addc_u32 s3, 0, s4
	s_add_u32 s4, s2, 1
	s_addc_u32 s5, s3, 0
	s_add_u32 s8, s2, 2
	s_mul_i32 s10, s3, 14
	s_mul_hi_u32 s11, s2, 14
	s_addc_u32 s9, s3, 0
	s_add_i32 s11, s11, s10
	s_mul_i32 s10, s2, 14
	v_mov_b32_e32 v16, s10
	v_sub_co_u32_e32 v16, vcc, s0, v16
	s_cmp_lg_u64 vcc, 0
	s_subb_u32 s10, s1, s11
	v_subrev_co_u32_e32 v17, vcc, 14, v16
	s_cmp_lg_u64 vcc, 0
	s_subb_u32 s11, s10, 0
	v_readfirstlane_b32 s12, v17
	s_cmp_gt_u32 s12, 13
	s_cselect_b32 s12, -1, 0
	s_cmp_eq_u32 s11, 0
	s_cselect_b32 s11, s12, -1
	s_cmp_lg_u32 s11, 0
	s_cselect_b32 s4, s8, s4
	v_readfirstlane_b32 s8, v16
	s_cselect_b32 s5, s9, s5
	s_cmp_gt_u32 s8, 13
	s_cselect_b32 s8, -1, 0
	s_cmp_eq_u32 s10, 0
	s_cselect_b32 s8, s8, -1
	s_cmp_lg_u32 s8, 0
	s_cselect_b32 s3, s5, s3
	s_cselect_b32 s2, s4, s2
	v_cmp_eq_u64_e32 vcc, s[2:3], v[0:1]
	s_and_saveexec_b64 s[2:3], vcc
	s_cbranch_execz .LBB1499_155
; %bb.106:
	v_mul_hi_u32_u24_e32 v1, 14, v0
	v_mov_b32_e32 v16, s1
	v_sub_co_u32_e32 v0, vcc, s0, v33
	v_subb_co_u32_e32 v1, vcc, v16, v1, vcc
	v_cmp_lt_i64_e32 vcc, 6, v[0:1]
	s_and_saveexec_b64 s[0:1], vcc
	s_xor_b64 s[0:1], exec, s[0:1]
	s_cbranch_execz .LBB1499_132
; %bb.107:
	v_cmp_lt_i64_e32 vcc, 9, v[0:1]
	s_and_saveexec_b64 s[2:3], vcc
	s_xor_b64 s[2:3], exec, s[2:3]
	s_cbranch_execz .LBB1499_121
; %bb.108:
	;; [unrolled: 5-line block ×4, first 2 shown]
	v_mov_b32_e32 v0, 0
	s_waitcnt lgkmcnt(0)
	global_store_dword v0, v15, s[6:7]
                                        ; implicit-def: $vgpr14_vgpr15
.LBB1499_111:
	s_andn2_saveexec_b64 s[8:9], s[8:9]
	s_cbranch_execz .LBB1499_113
; %bb.112:
	v_mov_b32_e32 v0, 0
	s_waitcnt lgkmcnt(0)
	global_store_dword v0, v14, s[6:7]
.LBB1499_113:
	s_or_b64 exec, exec, s[8:9]
                                        ; implicit-def: $vgpr10_vgpr11
                                        ; implicit-def: $vgpr0_vgpr1
.LBB1499_114:
	s_andn2_saveexec_b64 s[4:5], s[4:5]
	s_cbranch_execz .LBB1499_120
; %bb.115:
	v_cmp_lt_i64_e32 vcc, 10, v[0:1]
	s_and_saveexec_b64 s[8:9], vcc
	s_xor_b64 s[8:9], exec, s[8:9]
	s_cbranch_execz .LBB1499_117
; %bb.116:
	v_mov_b32_e32 v0, 0
	s_waitcnt lgkmcnt(0)
	global_store_dword v0, v11, s[6:7]
                                        ; implicit-def: $vgpr10_vgpr11
.LBB1499_117:
	s_andn2_saveexec_b64 s[8:9], s[8:9]
	s_cbranch_execz .LBB1499_119
; %bb.118:
	v_mov_b32_e32 v0, 0
	s_waitcnt lgkmcnt(0)
	global_store_dword v0, v10, s[6:7]
.LBB1499_119:
	s_or_b64 exec, exec, s[8:9]
.LBB1499_120:
	s_or_b64 exec, exec, s[4:5]
                                        ; implicit-def: $vgpr2_vgpr3
                                        ; implicit-def: $vgpr0_vgpr1
                                        ; implicit-def: $vgpr12_vgpr13
.LBB1499_121:
	s_andn2_saveexec_b64 s[2:3], s[2:3]
	s_cbranch_execz .LBB1499_131
; %bb.122:
	v_cmp_lt_i64_e32 vcc, 7, v[0:1]
	s_and_saveexec_b64 s[4:5], vcc
	s_xor_b64 s[4:5], exec, s[4:5]
	s_cbranch_execz .LBB1499_128
; %bb.123:
	v_cmp_lt_i64_e32 vcc, 8, v[0:1]
	s_and_saveexec_b64 s[8:9], vcc
	s_xor_b64 s[8:9], exec, s[8:9]
	s_cbranch_execz .LBB1499_125
; %bb.124:
	v_mov_b32_e32 v0, 0
	s_waitcnt lgkmcnt(0)
	global_store_dword v0, v13, s[6:7]
                                        ; implicit-def: $vgpr12_vgpr13
.LBB1499_125:
	s_andn2_saveexec_b64 s[8:9], s[8:9]
	s_cbranch_execz .LBB1499_127
; %bb.126:
	v_mov_b32_e32 v0, 0
	s_waitcnt lgkmcnt(0)
	global_store_dword v0, v12, s[6:7]
.LBB1499_127:
	s_or_b64 exec, exec, s[8:9]
                                        ; implicit-def: $vgpr2_vgpr3
.LBB1499_128:
	s_andn2_saveexec_b64 s[4:5], s[4:5]
	s_cbranch_execz .LBB1499_130
; %bb.129:
	v_mov_b32_e32 v0, 0
	s_waitcnt lgkmcnt(0)
	global_store_dword v0, v3, s[6:7]
.LBB1499_130:
	s_or_b64 exec, exec, s[4:5]
.LBB1499_131:
	s_or_b64 exec, exec, s[2:3]
                                        ; implicit-def: $vgpr0_vgpr1
                                        ; implicit-def: $vgpr8_vgpr9
                                        ; implicit-def: $vgpr4_vgpr5
                                        ; implicit-def: $vgpr6_vgpr7
                                        ; implicit-def: $vgpr2_vgpr3
.LBB1499_132:
	s_andn2_saveexec_b64 s[0:1], s[0:1]
	s_cbranch_execz .LBB1499_155
; %bb.133:
	v_cmp_lt_i64_e32 vcc, 3, v[0:1]
	s_and_saveexec_b64 s[0:1], vcc
	s_xor_b64 s[0:1], exec, s[0:1]
	s_cbranch_execz .LBB1499_143
; %bb.134:
	v_cmp_lt_i64_e32 vcc, 4, v[0:1]
	s_and_saveexec_b64 s[2:3], vcc
	s_xor_b64 s[2:3], exec, s[2:3]
	;; [unrolled: 5-line block ×3, first 2 shown]
	s_cbranch_execz .LBB1499_137
; %bb.136:
	v_mov_b32_e32 v0, 0
	s_waitcnt lgkmcnt(0)
	global_store_dword v0, v2, s[6:7]
                                        ; implicit-def: $vgpr8_vgpr9
.LBB1499_137:
	s_andn2_saveexec_b64 s[4:5], s[4:5]
	s_cbranch_execz .LBB1499_139
; %bb.138:
	v_mov_b32_e32 v0, 0
	s_waitcnt lgkmcnt(0)
	global_store_dword v0, v9, s[6:7]
.LBB1499_139:
	s_or_b64 exec, exec, s[4:5]
                                        ; implicit-def: $vgpr8_vgpr9
.LBB1499_140:
	s_andn2_saveexec_b64 s[2:3], s[2:3]
	s_cbranch_execz .LBB1499_142
; %bb.141:
	v_mov_b32_e32 v0, 0
	s_waitcnt lgkmcnt(0)
	global_store_dword v0, v8, s[6:7]
.LBB1499_142:
	s_or_b64 exec, exec, s[2:3]
                                        ; implicit-def: $vgpr0_vgpr1
                                        ; implicit-def: $vgpr4_vgpr5
                                        ; implicit-def: $vgpr6_vgpr7
.LBB1499_143:
	s_andn2_saveexec_b64 s[0:1], s[0:1]
	s_cbranch_execz .LBB1499_155
; %bb.144:
	v_cmp_lt_i64_e32 vcc, 1, v[0:1]
	s_and_saveexec_b64 s[0:1], vcc
	s_xor_b64 s[0:1], exec, s[0:1]
	s_cbranch_execz .LBB1499_150
; %bb.145:
	v_cmp_lt_i64_e32 vcc, 2, v[0:1]
	s_and_saveexec_b64 s[2:3], vcc
	s_xor_b64 s[2:3], exec, s[2:3]
	s_cbranch_execz .LBB1499_147
; %bb.146:
	v_mov_b32_e32 v0, 0
	s_waitcnt lgkmcnt(0)
	global_store_dword v0, v7, s[6:7]
                                        ; implicit-def: $vgpr6_vgpr7
.LBB1499_147:
	s_andn2_saveexec_b64 s[2:3], s[2:3]
	s_cbranch_execz .LBB1499_149
; %bb.148:
	v_mov_b32_e32 v0, 0
	s_waitcnt lgkmcnt(0)
	global_store_dword v0, v6, s[6:7]
.LBB1499_149:
	s_or_b64 exec, exec, s[2:3]
                                        ; implicit-def: $vgpr4_vgpr5
                                        ; implicit-def: $vgpr0_vgpr1
.LBB1499_150:
	s_andn2_saveexec_b64 s[0:1], s[0:1]
	s_cbranch_execz .LBB1499_155
; %bb.151:
	v_cmp_ne_u64_e32 vcc, 1, v[0:1]
	s_and_saveexec_b64 s[0:1], vcc
	s_xor_b64 s[0:1], exec, s[0:1]
	s_cbranch_execz .LBB1499_153
; %bb.152:
	v_mov_b32_e32 v0, 0
	s_waitcnt lgkmcnt(0)
	global_store_dword v0, v4, s[6:7]
                                        ; implicit-def: $vgpr4_vgpr5
.LBB1499_153:
	s_andn2_saveexec_b64 s[0:1], s[0:1]
	s_cbranch_execz .LBB1499_155
; %bb.154:
	v_mov_b32_e32 v0, 0
	s_waitcnt lgkmcnt(0)
	global_store_dword v0, v5, s[6:7]
.LBB1499_155:
	s_endpgm
	.section	.rodata,"a",@progbits
	.p2align	6, 0x0
	.amdhsa_kernel _ZN7rocprim17ROCPRIM_400000_NS6detail17trampoline_kernelINS0_14default_configENS1_20scan_config_selectorIfEEZZNS1_9scan_implILNS1_25lookback_scan_determinismE0ELb0ELb0ES3_N6thrust23THRUST_200600_302600_NS6detail15normal_iteratorINS9_10device_ptrIfEEEESE_fNS9_4plusIiEEfEEDaPvRmT3_T4_T5_mT6_P12ihipStream_tbENKUlT_T0_E_clISt17integral_constantIbLb0EESU_EEDaSP_SQ_EUlSP_E_NS1_11comp_targetILNS1_3genE4ELNS1_11target_archE910ELNS1_3gpuE8ELNS1_3repE0EEENS1_30default_config_static_selectorELNS0_4arch9wavefront6targetE1EEEvT1_
		.amdhsa_group_segment_fixed_size 7168
		.amdhsa_private_segment_fixed_size 0
		.amdhsa_kernarg_size 96
		.amdhsa_user_sgpr_count 6
		.amdhsa_user_sgpr_private_segment_buffer 1
		.amdhsa_user_sgpr_dispatch_ptr 0
		.amdhsa_user_sgpr_queue_ptr 0
		.amdhsa_user_sgpr_kernarg_segment_ptr 1
		.amdhsa_user_sgpr_dispatch_id 0
		.amdhsa_user_sgpr_flat_scratch_init 0
		.amdhsa_user_sgpr_kernarg_preload_length 0
		.amdhsa_user_sgpr_kernarg_preload_offset 0
		.amdhsa_user_sgpr_private_segment_size 0
		.amdhsa_uses_dynamic_stack 0
		.amdhsa_system_sgpr_private_segment_wavefront_offset 0
		.amdhsa_system_sgpr_workgroup_id_x 1
		.amdhsa_system_sgpr_workgroup_id_y 0
		.amdhsa_system_sgpr_workgroup_id_z 0
		.amdhsa_system_sgpr_workgroup_info 0
		.amdhsa_system_vgpr_workitem_id 0
		.amdhsa_next_free_vgpr 62
		.amdhsa_next_free_sgpr 28
		.amdhsa_accum_offset 64
		.amdhsa_reserve_vcc 1
		.amdhsa_reserve_flat_scratch 0
		.amdhsa_float_round_mode_32 0
		.amdhsa_float_round_mode_16_64 0
		.amdhsa_float_denorm_mode_32 3
		.amdhsa_float_denorm_mode_16_64 3
		.amdhsa_dx10_clamp 1
		.amdhsa_ieee_mode 1
		.amdhsa_fp16_overflow 0
		.amdhsa_tg_split 0
		.amdhsa_exception_fp_ieee_invalid_op 0
		.amdhsa_exception_fp_denorm_src 0
		.amdhsa_exception_fp_ieee_div_zero 0
		.amdhsa_exception_fp_ieee_overflow 0
		.amdhsa_exception_fp_ieee_underflow 0
		.amdhsa_exception_fp_ieee_inexact 0
		.amdhsa_exception_int_div_zero 0
	.end_amdhsa_kernel
	.section	.text._ZN7rocprim17ROCPRIM_400000_NS6detail17trampoline_kernelINS0_14default_configENS1_20scan_config_selectorIfEEZZNS1_9scan_implILNS1_25lookback_scan_determinismE0ELb0ELb0ES3_N6thrust23THRUST_200600_302600_NS6detail15normal_iteratorINS9_10device_ptrIfEEEESE_fNS9_4plusIiEEfEEDaPvRmT3_T4_T5_mT6_P12ihipStream_tbENKUlT_T0_E_clISt17integral_constantIbLb0EESU_EEDaSP_SQ_EUlSP_E_NS1_11comp_targetILNS1_3genE4ELNS1_11target_archE910ELNS1_3gpuE8ELNS1_3repE0EEENS1_30default_config_static_selectorELNS0_4arch9wavefront6targetE1EEEvT1_,"axG",@progbits,_ZN7rocprim17ROCPRIM_400000_NS6detail17trampoline_kernelINS0_14default_configENS1_20scan_config_selectorIfEEZZNS1_9scan_implILNS1_25lookback_scan_determinismE0ELb0ELb0ES3_N6thrust23THRUST_200600_302600_NS6detail15normal_iteratorINS9_10device_ptrIfEEEESE_fNS9_4plusIiEEfEEDaPvRmT3_T4_T5_mT6_P12ihipStream_tbENKUlT_T0_E_clISt17integral_constantIbLb0EESU_EEDaSP_SQ_EUlSP_E_NS1_11comp_targetILNS1_3genE4ELNS1_11target_archE910ELNS1_3gpuE8ELNS1_3repE0EEENS1_30default_config_static_selectorELNS0_4arch9wavefront6targetE1EEEvT1_,comdat
.Lfunc_end1499:
	.size	_ZN7rocprim17ROCPRIM_400000_NS6detail17trampoline_kernelINS0_14default_configENS1_20scan_config_selectorIfEEZZNS1_9scan_implILNS1_25lookback_scan_determinismE0ELb0ELb0ES3_N6thrust23THRUST_200600_302600_NS6detail15normal_iteratorINS9_10device_ptrIfEEEESE_fNS9_4plusIiEEfEEDaPvRmT3_T4_T5_mT6_P12ihipStream_tbENKUlT_T0_E_clISt17integral_constantIbLb0EESU_EEDaSP_SQ_EUlSP_E_NS1_11comp_targetILNS1_3genE4ELNS1_11target_archE910ELNS1_3gpuE8ELNS1_3repE0EEENS1_30default_config_static_selectorELNS0_4arch9wavefront6targetE1EEEvT1_, .Lfunc_end1499-_ZN7rocprim17ROCPRIM_400000_NS6detail17trampoline_kernelINS0_14default_configENS1_20scan_config_selectorIfEEZZNS1_9scan_implILNS1_25lookback_scan_determinismE0ELb0ELb0ES3_N6thrust23THRUST_200600_302600_NS6detail15normal_iteratorINS9_10device_ptrIfEEEESE_fNS9_4plusIiEEfEEDaPvRmT3_T4_T5_mT6_P12ihipStream_tbENKUlT_T0_E_clISt17integral_constantIbLb0EESU_EEDaSP_SQ_EUlSP_E_NS1_11comp_targetILNS1_3genE4ELNS1_11target_archE910ELNS1_3gpuE8ELNS1_3repE0EEENS1_30default_config_static_selectorELNS0_4arch9wavefront6targetE1EEEvT1_
                                        ; -- End function
	.section	.AMDGPU.csdata,"",@progbits
; Kernel info:
; codeLenInByte = 6616
; NumSgprs: 32
; NumVgprs: 62
; NumAgprs: 0
; TotalNumVgprs: 62
; ScratchSize: 0
; MemoryBound: 0
; FloatMode: 240
; IeeeMode: 1
; LDSByteSize: 7168 bytes/workgroup (compile time only)
; SGPRBlocks: 3
; VGPRBlocks: 7
; NumSGPRsForWavesPerEU: 32
; NumVGPRsForWavesPerEU: 62
; AccumOffset: 64
; Occupancy: 5
; WaveLimiterHint : 1
; COMPUTE_PGM_RSRC2:SCRATCH_EN: 0
; COMPUTE_PGM_RSRC2:USER_SGPR: 6
; COMPUTE_PGM_RSRC2:TRAP_HANDLER: 0
; COMPUTE_PGM_RSRC2:TGID_X_EN: 1
; COMPUTE_PGM_RSRC2:TGID_Y_EN: 0
; COMPUTE_PGM_RSRC2:TGID_Z_EN: 0
; COMPUTE_PGM_RSRC2:TIDIG_COMP_CNT: 0
; COMPUTE_PGM_RSRC3_GFX90A:ACCUM_OFFSET: 15
; COMPUTE_PGM_RSRC3_GFX90A:TG_SPLIT: 0
	.section	.text._ZN7rocprim17ROCPRIM_400000_NS6detail17trampoline_kernelINS0_14default_configENS1_20scan_config_selectorIfEEZZNS1_9scan_implILNS1_25lookback_scan_determinismE0ELb0ELb0ES3_N6thrust23THRUST_200600_302600_NS6detail15normal_iteratorINS9_10device_ptrIfEEEESE_fNS9_4plusIiEEfEEDaPvRmT3_T4_T5_mT6_P12ihipStream_tbENKUlT_T0_E_clISt17integral_constantIbLb0EESU_EEDaSP_SQ_EUlSP_E_NS1_11comp_targetILNS1_3genE3ELNS1_11target_archE908ELNS1_3gpuE7ELNS1_3repE0EEENS1_30default_config_static_selectorELNS0_4arch9wavefront6targetE1EEEvT1_,"axG",@progbits,_ZN7rocprim17ROCPRIM_400000_NS6detail17trampoline_kernelINS0_14default_configENS1_20scan_config_selectorIfEEZZNS1_9scan_implILNS1_25lookback_scan_determinismE0ELb0ELb0ES3_N6thrust23THRUST_200600_302600_NS6detail15normal_iteratorINS9_10device_ptrIfEEEESE_fNS9_4plusIiEEfEEDaPvRmT3_T4_T5_mT6_P12ihipStream_tbENKUlT_T0_E_clISt17integral_constantIbLb0EESU_EEDaSP_SQ_EUlSP_E_NS1_11comp_targetILNS1_3genE3ELNS1_11target_archE908ELNS1_3gpuE7ELNS1_3repE0EEENS1_30default_config_static_selectorELNS0_4arch9wavefront6targetE1EEEvT1_,comdat
	.protected	_ZN7rocprim17ROCPRIM_400000_NS6detail17trampoline_kernelINS0_14default_configENS1_20scan_config_selectorIfEEZZNS1_9scan_implILNS1_25lookback_scan_determinismE0ELb0ELb0ES3_N6thrust23THRUST_200600_302600_NS6detail15normal_iteratorINS9_10device_ptrIfEEEESE_fNS9_4plusIiEEfEEDaPvRmT3_T4_T5_mT6_P12ihipStream_tbENKUlT_T0_E_clISt17integral_constantIbLb0EESU_EEDaSP_SQ_EUlSP_E_NS1_11comp_targetILNS1_3genE3ELNS1_11target_archE908ELNS1_3gpuE7ELNS1_3repE0EEENS1_30default_config_static_selectorELNS0_4arch9wavefront6targetE1EEEvT1_ ; -- Begin function _ZN7rocprim17ROCPRIM_400000_NS6detail17trampoline_kernelINS0_14default_configENS1_20scan_config_selectorIfEEZZNS1_9scan_implILNS1_25lookback_scan_determinismE0ELb0ELb0ES3_N6thrust23THRUST_200600_302600_NS6detail15normal_iteratorINS9_10device_ptrIfEEEESE_fNS9_4plusIiEEfEEDaPvRmT3_T4_T5_mT6_P12ihipStream_tbENKUlT_T0_E_clISt17integral_constantIbLb0EESU_EEDaSP_SQ_EUlSP_E_NS1_11comp_targetILNS1_3genE3ELNS1_11target_archE908ELNS1_3gpuE7ELNS1_3repE0EEENS1_30default_config_static_selectorELNS0_4arch9wavefront6targetE1EEEvT1_
	.globl	_ZN7rocprim17ROCPRIM_400000_NS6detail17trampoline_kernelINS0_14default_configENS1_20scan_config_selectorIfEEZZNS1_9scan_implILNS1_25lookback_scan_determinismE0ELb0ELb0ES3_N6thrust23THRUST_200600_302600_NS6detail15normal_iteratorINS9_10device_ptrIfEEEESE_fNS9_4plusIiEEfEEDaPvRmT3_T4_T5_mT6_P12ihipStream_tbENKUlT_T0_E_clISt17integral_constantIbLb0EESU_EEDaSP_SQ_EUlSP_E_NS1_11comp_targetILNS1_3genE3ELNS1_11target_archE908ELNS1_3gpuE7ELNS1_3repE0EEENS1_30default_config_static_selectorELNS0_4arch9wavefront6targetE1EEEvT1_
	.p2align	8
	.type	_ZN7rocprim17ROCPRIM_400000_NS6detail17trampoline_kernelINS0_14default_configENS1_20scan_config_selectorIfEEZZNS1_9scan_implILNS1_25lookback_scan_determinismE0ELb0ELb0ES3_N6thrust23THRUST_200600_302600_NS6detail15normal_iteratorINS9_10device_ptrIfEEEESE_fNS9_4plusIiEEfEEDaPvRmT3_T4_T5_mT6_P12ihipStream_tbENKUlT_T0_E_clISt17integral_constantIbLb0EESU_EEDaSP_SQ_EUlSP_E_NS1_11comp_targetILNS1_3genE3ELNS1_11target_archE908ELNS1_3gpuE7ELNS1_3repE0EEENS1_30default_config_static_selectorELNS0_4arch9wavefront6targetE1EEEvT1_,@function
_ZN7rocprim17ROCPRIM_400000_NS6detail17trampoline_kernelINS0_14default_configENS1_20scan_config_selectorIfEEZZNS1_9scan_implILNS1_25lookback_scan_determinismE0ELb0ELb0ES3_N6thrust23THRUST_200600_302600_NS6detail15normal_iteratorINS9_10device_ptrIfEEEESE_fNS9_4plusIiEEfEEDaPvRmT3_T4_T5_mT6_P12ihipStream_tbENKUlT_T0_E_clISt17integral_constantIbLb0EESU_EEDaSP_SQ_EUlSP_E_NS1_11comp_targetILNS1_3genE3ELNS1_11target_archE908ELNS1_3gpuE7ELNS1_3repE0EEENS1_30default_config_static_selectorELNS0_4arch9wavefront6targetE1EEEvT1_: ; @_ZN7rocprim17ROCPRIM_400000_NS6detail17trampoline_kernelINS0_14default_configENS1_20scan_config_selectorIfEEZZNS1_9scan_implILNS1_25lookback_scan_determinismE0ELb0ELb0ES3_N6thrust23THRUST_200600_302600_NS6detail15normal_iteratorINS9_10device_ptrIfEEEESE_fNS9_4plusIiEEfEEDaPvRmT3_T4_T5_mT6_P12ihipStream_tbENKUlT_T0_E_clISt17integral_constantIbLb0EESU_EEDaSP_SQ_EUlSP_E_NS1_11comp_targetILNS1_3genE3ELNS1_11target_archE908ELNS1_3gpuE7ELNS1_3repE0EEENS1_30default_config_static_selectorELNS0_4arch9wavefront6targetE1EEEvT1_
; %bb.0:
	.section	.rodata,"a",@progbits
	.p2align	6, 0x0
	.amdhsa_kernel _ZN7rocprim17ROCPRIM_400000_NS6detail17trampoline_kernelINS0_14default_configENS1_20scan_config_selectorIfEEZZNS1_9scan_implILNS1_25lookback_scan_determinismE0ELb0ELb0ES3_N6thrust23THRUST_200600_302600_NS6detail15normal_iteratorINS9_10device_ptrIfEEEESE_fNS9_4plusIiEEfEEDaPvRmT3_T4_T5_mT6_P12ihipStream_tbENKUlT_T0_E_clISt17integral_constantIbLb0EESU_EEDaSP_SQ_EUlSP_E_NS1_11comp_targetILNS1_3genE3ELNS1_11target_archE908ELNS1_3gpuE7ELNS1_3repE0EEENS1_30default_config_static_selectorELNS0_4arch9wavefront6targetE1EEEvT1_
		.amdhsa_group_segment_fixed_size 0
		.amdhsa_private_segment_fixed_size 0
		.amdhsa_kernarg_size 96
		.amdhsa_user_sgpr_count 6
		.amdhsa_user_sgpr_private_segment_buffer 1
		.amdhsa_user_sgpr_dispatch_ptr 0
		.amdhsa_user_sgpr_queue_ptr 0
		.amdhsa_user_sgpr_kernarg_segment_ptr 1
		.amdhsa_user_sgpr_dispatch_id 0
		.amdhsa_user_sgpr_flat_scratch_init 0
		.amdhsa_user_sgpr_kernarg_preload_length 0
		.amdhsa_user_sgpr_kernarg_preload_offset 0
		.amdhsa_user_sgpr_private_segment_size 0
		.amdhsa_uses_dynamic_stack 0
		.amdhsa_system_sgpr_private_segment_wavefront_offset 0
		.amdhsa_system_sgpr_workgroup_id_x 1
		.amdhsa_system_sgpr_workgroup_id_y 0
		.amdhsa_system_sgpr_workgroup_id_z 0
		.amdhsa_system_sgpr_workgroup_info 0
		.amdhsa_system_vgpr_workitem_id 0
		.amdhsa_next_free_vgpr 1
		.amdhsa_next_free_sgpr 0
		.amdhsa_accum_offset 4
		.amdhsa_reserve_vcc 0
		.amdhsa_reserve_flat_scratch 0
		.amdhsa_float_round_mode_32 0
		.amdhsa_float_round_mode_16_64 0
		.amdhsa_float_denorm_mode_32 3
		.amdhsa_float_denorm_mode_16_64 3
		.amdhsa_dx10_clamp 1
		.amdhsa_ieee_mode 1
		.amdhsa_fp16_overflow 0
		.amdhsa_tg_split 0
		.amdhsa_exception_fp_ieee_invalid_op 0
		.amdhsa_exception_fp_denorm_src 0
		.amdhsa_exception_fp_ieee_div_zero 0
		.amdhsa_exception_fp_ieee_overflow 0
		.amdhsa_exception_fp_ieee_underflow 0
		.amdhsa_exception_fp_ieee_inexact 0
		.amdhsa_exception_int_div_zero 0
	.end_amdhsa_kernel
	.section	.text._ZN7rocprim17ROCPRIM_400000_NS6detail17trampoline_kernelINS0_14default_configENS1_20scan_config_selectorIfEEZZNS1_9scan_implILNS1_25lookback_scan_determinismE0ELb0ELb0ES3_N6thrust23THRUST_200600_302600_NS6detail15normal_iteratorINS9_10device_ptrIfEEEESE_fNS9_4plusIiEEfEEDaPvRmT3_T4_T5_mT6_P12ihipStream_tbENKUlT_T0_E_clISt17integral_constantIbLb0EESU_EEDaSP_SQ_EUlSP_E_NS1_11comp_targetILNS1_3genE3ELNS1_11target_archE908ELNS1_3gpuE7ELNS1_3repE0EEENS1_30default_config_static_selectorELNS0_4arch9wavefront6targetE1EEEvT1_,"axG",@progbits,_ZN7rocprim17ROCPRIM_400000_NS6detail17trampoline_kernelINS0_14default_configENS1_20scan_config_selectorIfEEZZNS1_9scan_implILNS1_25lookback_scan_determinismE0ELb0ELb0ES3_N6thrust23THRUST_200600_302600_NS6detail15normal_iteratorINS9_10device_ptrIfEEEESE_fNS9_4plusIiEEfEEDaPvRmT3_T4_T5_mT6_P12ihipStream_tbENKUlT_T0_E_clISt17integral_constantIbLb0EESU_EEDaSP_SQ_EUlSP_E_NS1_11comp_targetILNS1_3genE3ELNS1_11target_archE908ELNS1_3gpuE7ELNS1_3repE0EEENS1_30default_config_static_selectorELNS0_4arch9wavefront6targetE1EEEvT1_,comdat
.Lfunc_end1500:
	.size	_ZN7rocprim17ROCPRIM_400000_NS6detail17trampoline_kernelINS0_14default_configENS1_20scan_config_selectorIfEEZZNS1_9scan_implILNS1_25lookback_scan_determinismE0ELb0ELb0ES3_N6thrust23THRUST_200600_302600_NS6detail15normal_iteratorINS9_10device_ptrIfEEEESE_fNS9_4plusIiEEfEEDaPvRmT3_T4_T5_mT6_P12ihipStream_tbENKUlT_T0_E_clISt17integral_constantIbLb0EESU_EEDaSP_SQ_EUlSP_E_NS1_11comp_targetILNS1_3genE3ELNS1_11target_archE908ELNS1_3gpuE7ELNS1_3repE0EEENS1_30default_config_static_selectorELNS0_4arch9wavefront6targetE1EEEvT1_, .Lfunc_end1500-_ZN7rocprim17ROCPRIM_400000_NS6detail17trampoline_kernelINS0_14default_configENS1_20scan_config_selectorIfEEZZNS1_9scan_implILNS1_25lookback_scan_determinismE0ELb0ELb0ES3_N6thrust23THRUST_200600_302600_NS6detail15normal_iteratorINS9_10device_ptrIfEEEESE_fNS9_4plusIiEEfEEDaPvRmT3_T4_T5_mT6_P12ihipStream_tbENKUlT_T0_E_clISt17integral_constantIbLb0EESU_EEDaSP_SQ_EUlSP_E_NS1_11comp_targetILNS1_3genE3ELNS1_11target_archE908ELNS1_3gpuE7ELNS1_3repE0EEENS1_30default_config_static_selectorELNS0_4arch9wavefront6targetE1EEEvT1_
                                        ; -- End function
	.section	.AMDGPU.csdata,"",@progbits
; Kernel info:
; codeLenInByte = 0
; NumSgprs: 4
; NumVgprs: 0
; NumAgprs: 0
; TotalNumVgprs: 0
; ScratchSize: 0
; MemoryBound: 0
; FloatMode: 240
; IeeeMode: 1
; LDSByteSize: 0 bytes/workgroup (compile time only)
; SGPRBlocks: 0
; VGPRBlocks: 0
; NumSGPRsForWavesPerEU: 4
; NumVGPRsForWavesPerEU: 1
; AccumOffset: 4
; Occupancy: 8
; WaveLimiterHint : 0
; COMPUTE_PGM_RSRC2:SCRATCH_EN: 0
; COMPUTE_PGM_RSRC2:USER_SGPR: 6
; COMPUTE_PGM_RSRC2:TRAP_HANDLER: 0
; COMPUTE_PGM_RSRC2:TGID_X_EN: 1
; COMPUTE_PGM_RSRC2:TGID_Y_EN: 0
; COMPUTE_PGM_RSRC2:TGID_Z_EN: 0
; COMPUTE_PGM_RSRC2:TIDIG_COMP_CNT: 0
; COMPUTE_PGM_RSRC3_GFX90A:ACCUM_OFFSET: 0
; COMPUTE_PGM_RSRC3_GFX90A:TG_SPLIT: 0
	.section	.text._ZN7rocprim17ROCPRIM_400000_NS6detail17trampoline_kernelINS0_14default_configENS1_20scan_config_selectorIfEEZZNS1_9scan_implILNS1_25lookback_scan_determinismE0ELb0ELb0ES3_N6thrust23THRUST_200600_302600_NS6detail15normal_iteratorINS9_10device_ptrIfEEEESE_fNS9_4plusIiEEfEEDaPvRmT3_T4_T5_mT6_P12ihipStream_tbENKUlT_T0_E_clISt17integral_constantIbLb0EESU_EEDaSP_SQ_EUlSP_E_NS1_11comp_targetILNS1_3genE2ELNS1_11target_archE906ELNS1_3gpuE6ELNS1_3repE0EEENS1_30default_config_static_selectorELNS0_4arch9wavefront6targetE1EEEvT1_,"axG",@progbits,_ZN7rocprim17ROCPRIM_400000_NS6detail17trampoline_kernelINS0_14default_configENS1_20scan_config_selectorIfEEZZNS1_9scan_implILNS1_25lookback_scan_determinismE0ELb0ELb0ES3_N6thrust23THRUST_200600_302600_NS6detail15normal_iteratorINS9_10device_ptrIfEEEESE_fNS9_4plusIiEEfEEDaPvRmT3_T4_T5_mT6_P12ihipStream_tbENKUlT_T0_E_clISt17integral_constantIbLb0EESU_EEDaSP_SQ_EUlSP_E_NS1_11comp_targetILNS1_3genE2ELNS1_11target_archE906ELNS1_3gpuE6ELNS1_3repE0EEENS1_30default_config_static_selectorELNS0_4arch9wavefront6targetE1EEEvT1_,comdat
	.protected	_ZN7rocprim17ROCPRIM_400000_NS6detail17trampoline_kernelINS0_14default_configENS1_20scan_config_selectorIfEEZZNS1_9scan_implILNS1_25lookback_scan_determinismE0ELb0ELb0ES3_N6thrust23THRUST_200600_302600_NS6detail15normal_iteratorINS9_10device_ptrIfEEEESE_fNS9_4plusIiEEfEEDaPvRmT3_T4_T5_mT6_P12ihipStream_tbENKUlT_T0_E_clISt17integral_constantIbLb0EESU_EEDaSP_SQ_EUlSP_E_NS1_11comp_targetILNS1_3genE2ELNS1_11target_archE906ELNS1_3gpuE6ELNS1_3repE0EEENS1_30default_config_static_selectorELNS0_4arch9wavefront6targetE1EEEvT1_ ; -- Begin function _ZN7rocprim17ROCPRIM_400000_NS6detail17trampoline_kernelINS0_14default_configENS1_20scan_config_selectorIfEEZZNS1_9scan_implILNS1_25lookback_scan_determinismE0ELb0ELb0ES3_N6thrust23THRUST_200600_302600_NS6detail15normal_iteratorINS9_10device_ptrIfEEEESE_fNS9_4plusIiEEfEEDaPvRmT3_T4_T5_mT6_P12ihipStream_tbENKUlT_T0_E_clISt17integral_constantIbLb0EESU_EEDaSP_SQ_EUlSP_E_NS1_11comp_targetILNS1_3genE2ELNS1_11target_archE906ELNS1_3gpuE6ELNS1_3repE0EEENS1_30default_config_static_selectorELNS0_4arch9wavefront6targetE1EEEvT1_
	.globl	_ZN7rocprim17ROCPRIM_400000_NS6detail17trampoline_kernelINS0_14default_configENS1_20scan_config_selectorIfEEZZNS1_9scan_implILNS1_25lookback_scan_determinismE0ELb0ELb0ES3_N6thrust23THRUST_200600_302600_NS6detail15normal_iteratorINS9_10device_ptrIfEEEESE_fNS9_4plusIiEEfEEDaPvRmT3_T4_T5_mT6_P12ihipStream_tbENKUlT_T0_E_clISt17integral_constantIbLb0EESU_EEDaSP_SQ_EUlSP_E_NS1_11comp_targetILNS1_3genE2ELNS1_11target_archE906ELNS1_3gpuE6ELNS1_3repE0EEENS1_30default_config_static_selectorELNS0_4arch9wavefront6targetE1EEEvT1_
	.p2align	8
	.type	_ZN7rocprim17ROCPRIM_400000_NS6detail17trampoline_kernelINS0_14default_configENS1_20scan_config_selectorIfEEZZNS1_9scan_implILNS1_25lookback_scan_determinismE0ELb0ELb0ES3_N6thrust23THRUST_200600_302600_NS6detail15normal_iteratorINS9_10device_ptrIfEEEESE_fNS9_4plusIiEEfEEDaPvRmT3_T4_T5_mT6_P12ihipStream_tbENKUlT_T0_E_clISt17integral_constantIbLb0EESU_EEDaSP_SQ_EUlSP_E_NS1_11comp_targetILNS1_3genE2ELNS1_11target_archE906ELNS1_3gpuE6ELNS1_3repE0EEENS1_30default_config_static_selectorELNS0_4arch9wavefront6targetE1EEEvT1_,@function
_ZN7rocprim17ROCPRIM_400000_NS6detail17trampoline_kernelINS0_14default_configENS1_20scan_config_selectorIfEEZZNS1_9scan_implILNS1_25lookback_scan_determinismE0ELb0ELb0ES3_N6thrust23THRUST_200600_302600_NS6detail15normal_iteratorINS9_10device_ptrIfEEEESE_fNS9_4plusIiEEfEEDaPvRmT3_T4_T5_mT6_P12ihipStream_tbENKUlT_T0_E_clISt17integral_constantIbLb0EESU_EEDaSP_SQ_EUlSP_E_NS1_11comp_targetILNS1_3genE2ELNS1_11target_archE906ELNS1_3gpuE6ELNS1_3repE0EEENS1_30default_config_static_selectorELNS0_4arch9wavefront6targetE1EEEvT1_: ; @_ZN7rocprim17ROCPRIM_400000_NS6detail17trampoline_kernelINS0_14default_configENS1_20scan_config_selectorIfEEZZNS1_9scan_implILNS1_25lookback_scan_determinismE0ELb0ELb0ES3_N6thrust23THRUST_200600_302600_NS6detail15normal_iteratorINS9_10device_ptrIfEEEESE_fNS9_4plusIiEEfEEDaPvRmT3_T4_T5_mT6_P12ihipStream_tbENKUlT_T0_E_clISt17integral_constantIbLb0EESU_EEDaSP_SQ_EUlSP_E_NS1_11comp_targetILNS1_3genE2ELNS1_11target_archE906ELNS1_3gpuE6ELNS1_3repE0EEENS1_30default_config_static_selectorELNS0_4arch9wavefront6targetE1EEEvT1_
; %bb.0:
	.section	.rodata,"a",@progbits
	.p2align	6, 0x0
	.amdhsa_kernel _ZN7rocprim17ROCPRIM_400000_NS6detail17trampoline_kernelINS0_14default_configENS1_20scan_config_selectorIfEEZZNS1_9scan_implILNS1_25lookback_scan_determinismE0ELb0ELb0ES3_N6thrust23THRUST_200600_302600_NS6detail15normal_iteratorINS9_10device_ptrIfEEEESE_fNS9_4plusIiEEfEEDaPvRmT3_T4_T5_mT6_P12ihipStream_tbENKUlT_T0_E_clISt17integral_constantIbLb0EESU_EEDaSP_SQ_EUlSP_E_NS1_11comp_targetILNS1_3genE2ELNS1_11target_archE906ELNS1_3gpuE6ELNS1_3repE0EEENS1_30default_config_static_selectorELNS0_4arch9wavefront6targetE1EEEvT1_
		.amdhsa_group_segment_fixed_size 0
		.amdhsa_private_segment_fixed_size 0
		.amdhsa_kernarg_size 96
		.amdhsa_user_sgpr_count 6
		.amdhsa_user_sgpr_private_segment_buffer 1
		.amdhsa_user_sgpr_dispatch_ptr 0
		.amdhsa_user_sgpr_queue_ptr 0
		.amdhsa_user_sgpr_kernarg_segment_ptr 1
		.amdhsa_user_sgpr_dispatch_id 0
		.amdhsa_user_sgpr_flat_scratch_init 0
		.amdhsa_user_sgpr_kernarg_preload_length 0
		.amdhsa_user_sgpr_kernarg_preload_offset 0
		.amdhsa_user_sgpr_private_segment_size 0
		.amdhsa_uses_dynamic_stack 0
		.amdhsa_system_sgpr_private_segment_wavefront_offset 0
		.amdhsa_system_sgpr_workgroup_id_x 1
		.amdhsa_system_sgpr_workgroup_id_y 0
		.amdhsa_system_sgpr_workgroup_id_z 0
		.amdhsa_system_sgpr_workgroup_info 0
		.amdhsa_system_vgpr_workitem_id 0
		.amdhsa_next_free_vgpr 1
		.amdhsa_next_free_sgpr 0
		.amdhsa_accum_offset 4
		.amdhsa_reserve_vcc 0
		.amdhsa_reserve_flat_scratch 0
		.amdhsa_float_round_mode_32 0
		.amdhsa_float_round_mode_16_64 0
		.amdhsa_float_denorm_mode_32 3
		.amdhsa_float_denorm_mode_16_64 3
		.amdhsa_dx10_clamp 1
		.amdhsa_ieee_mode 1
		.amdhsa_fp16_overflow 0
		.amdhsa_tg_split 0
		.amdhsa_exception_fp_ieee_invalid_op 0
		.amdhsa_exception_fp_denorm_src 0
		.amdhsa_exception_fp_ieee_div_zero 0
		.amdhsa_exception_fp_ieee_overflow 0
		.amdhsa_exception_fp_ieee_underflow 0
		.amdhsa_exception_fp_ieee_inexact 0
		.amdhsa_exception_int_div_zero 0
	.end_amdhsa_kernel
	.section	.text._ZN7rocprim17ROCPRIM_400000_NS6detail17trampoline_kernelINS0_14default_configENS1_20scan_config_selectorIfEEZZNS1_9scan_implILNS1_25lookback_scan_determinismE0ELb0ELb0ES3_N6thrust23THRUST_200600_302600_NS6detail15normal_iteratorINS9_10device_ptrIfEEEESE_fNS9_4plusIiEEfEEDaPvRmT3_T4_T5_mT6_P12ihipStream_tbENKUlT_T0_E_clISt17integral_constantIbLb0EESU_EEDaSP_SQ_EUlSP_E_NS1_11comp_targetILNS1_3genE2ELNS1_11target_archE906ELNS1_3gpuE6ELNS1_3repE0EEENS1_30default_config_static_selectorELNS0_4arch9wavefront6targetE1EEEvT1_,"axG",@progbits,_ZN7rocprim17ROCPRIM_400000_NS6detail17trampoline_kernelINS0_14default_configENS1_20scan_config_selectorIfEEZZNS1_9scan_implILNS1_25lookback_scan_determinismE0ELb0ELb0ES3_N6thrust23THRUST_200600_302600_NS6detail15normal_iteratorINS9_10device_ptrIfEEEESE_fNS9_4plusIiEEfEEDaPvRmT3_T4_T5_mT6_P12ihipStream_tbENKUlT_T0_E_clISt17integral_constantIbLb0EESU_EEDaSP_SQ_EUlSP_E_NS1_11comp_targetILNS1_3genE2ELNS1_11target_archE906ELNS1_3gpuE6ELNS1_3repE0EEENS1_30default_config_static_selectorELNS0_4arch9wavefront6targetE1EEEvT1_,comdat
.Lfunc_end1501:
	.size	_ZN7rocprim17ROCPRIM_400000_NS6detail17trampoline_kernelINS0_14default_configENS1_20scan_config_selectorIfEEZZNS1_9scan_implILNS1_25lookback_scan_determinismE0ELb0ELb0ES3_N6thrust23THRUST_200600_302600_NS6detail15normal_iteratorINS9_10device_ptrIfEEEESE_fNS9_4plusIiEEfEEDaPvRmT3_T4_T5_mT6_P12ihipStream_tbENKUlT_T0_E_clISt17integral_constantIbLb0EESU_EEDaSP_SQ_EUlSP_E_NS1_11comp_targetILNS1_3genE2ELNS1_11target_archE906ELNS1_3gpuE6ELNS1_3repE0EEENS1_30default_config_static_selectorELNS0_4arch9wavefront6targetE1EEEvT1_, .Lfunc_end1501-_ZN7rocprim17ROCPRIM_400000_NS6detail17trampoline_kernelINS0_14default_configENS1_20scan_config_selectorIfEEZZNS1_9scan_implILNS1_25lookback_scan_determinismE0ELb0ELb0ES3_N6thrust23THRUST_200600_302600_NS6detail15normal_iteratorINS9_10device_ptrIfEEEESE_fNS9_4plusIiEEfEEDaPvRmT3_T4_T5_mT6_P12ihipStream_tbENKUlT_T0_E_clISt17integral_constantIbLb0EESU_EEDaSP_SQ_EUlSP_E_NS1_11comp_targetILNS1_3genE2ELNS1_11target_archE906ELNS1_3gpuE6ELNS1_3repE0EEENS1_30default_config_static_selectorELNS0_4arch9wavefront6targetE1EEEvT1_
                                        ; -- End function
	.section	.AMDGPU.csdata,"",@progbits
; Kernel info:
; codeLenInByte = 0
; NumSgprs: 4
; NumVgprs: 0
; NumAgprs: 0
; TotalNumVgprs: 0
; ScratchSize: 0
; MemoryBound: 0
; FloatMode: 240
; IeeeMode: 1
; LDSByteSize: 0 bytes/workgroup (compile time only)
; SGPRBlocks: 0
; VGPRBlocks: 0
; NumSGPRsForWavesPerEU: 4
; NumVGPRsForWavesPerEU: 1
; AccumOffset: 4
; Occupancy: 8
; WaveLimiterHint : 0
; COMPUTE_PGM_RSRC2:SCRATCH_EN: 0
; COMPUTE_PGM_RSRC2:USER_SGPR: 6
; COMPUTE_PGM_RSRC2:TRAP_HANDLER: 0
; COMPUTE_PGM_RSRC2:TGID_X_EN: 1
; COMPUTE_PGM_RSRC2:TGID_Y_EN: 0
; COMPUTE_PGM_RSRC2:TGID_Z_EN: 0
; COMPUTE_PGM_RSRC2:TIDIG_COMP_CNT: 0
; COMPUTE_PGM_RSRC3_GFX90A:ACCUM_OFFSET: 0
; COMPUTE_PGM_RSRC3_GFX90A:TG_SPLIT: 0
	.section	.text._ZN7rocprim17ROCPRIM_400000_NS6detail17trampoline_kernelINS0_14default_configENS1_20scan_config_selectorIfEEZZNS1_9scan_implILNS1_25lookback_scan_determinismE0ELb0ELb0ES3_N6thrust23THRUST_200600_302600_NS6detail15normal_iteratorINS9_10device_ptrIfEEEESE_fNS9_4plusIiEEfEEDaPvRmT3_T4_T5_mT6_P12ihipStream_tbENKUlT_T0_E_clISt17integral_constantIbLb0EESU_EEDaSP_SQ_EUlSP_E_NS1_11comp_targetILNS1_3genE10ELNS1_11target_archE1201ELNS1_3gpuE5ELNS1_3repE0EEENS1_30default_config_static_selectorELNS0_4arch9wavefront6targetE1EEEvT1_,"axG",@progbits,_ZN7rocprim17ROCPRIM_400000_NS6detail17trampoline_kernelINS0_14default_configENS1_20scan_config_selectorIfEEZZNS1_9scan_implILNS1_25lookback_scan_determinismE0ELb0ELb0ES3_N6thrust23THRUST_200600_302600_NS6detail15normal_iteratorINS9_10device_ptrIfEEEESE_fNS9_4plusIiEEfEEDaPvRmT3_T4_T5_mT6_P12ihipStream_tbENKUlT_T0_E_clISt17integral_constantIbLb0EESU_EEDaSP_SQ_EUlSP_E_NS1_11comp_targetILNS1_3genE10ELNS1_11target_archE1201ELNS1_3gpuE5ELNS1_3repE0EEENS1_30default_config_static_selectorELNS0_4arch9wavefront6targetE1EEEvT1_,comdat
	.protected	_ZN7rocprim17ROCPRIM_400000_NS6detail17trampoline_kernelINS0_14default_configENS1_20scan_config_selectorIfEEZZNS1_9scan_implILNS1_25lookback_scan_determinismE0ELb0ELb0ES3_N6thrust23THRUST_200600_302600_NS6detail15normal_iteratorINS9_10device_ptrIfEEEESE_fNS9_4plusIiEEfEEDaPvRmT3_T4_T5_mT6_P12ihipStream_tbENKUlT_T0_E_clISt17integral_constantIbLb0EESU_EEDaSP_SQ_EUlSP_E_NS1_11comp_targetILNS1_3genE10ELNS1_11target_archE1201ELNS1_3gpuE5ELNS1_3repE0EEENS1_30default_config_static_selectorELNS0_4arch9wavefront6targetE1EEEvT1_ ; -- Begin function _ZN7rocprim17ROCPRIM_400000_NS6detail17trampoline_kernelINS0_14default_configENS1_20scan_config_selectorIfEEZZNS1_9scan_implILNS1_25lookback_scan_determinismE0ELb0ELb0ES3_N6thrust23THRUST_200600_302600_NS6detail15normal_iteratorINS9_10device_ptrIfEEEESE_fNS9_4plusIiEEfEEDaPvRmT3_T4_T5_mT6_P12ihipStream_tbENKUlT_T0_E_clISt17integral_constantIbLb0EESU_EEDaSP_SQ_EUlSP_E_NS1_11comp_targetILNS1_3genE10ELNS1_11target_archE1201ELNS1_3gpuE5ELNS1_3repE0EEENS1_30default_config_static_selectorELNS0_4arch9wavefront6targetE1EEEvT1_
	.globl	_ZN7rocprim17ROCPRIM_400000_NS6detail17trampoline_kernelINS0_14default_configENS1_20scan_config_selectorIfEEZZNS1_9scan_implILNS1_25lookback_scan_determinismE0ELb0ELb0ES3_N6thrust23THRUST_200600_302600_NS6detail15normal_iteratorINS9_10device_ptrIfEEEESE_fNS9_4plusIiEEfEEDaPvRmT3_T4_T5_mT6_P12ihipStream_tbENKUlT_T0_E_clISt17integral_constantIbLb0EESU_EEDaSP_SQ_EUlSP_E_NS1_11comp_targetILNS1_3genE10ELNS1_11target_archE1201ELNS1_3gpuE5ELNS1_3repE0EEENS1_30default_config_static_selectorELNS0_4arch9wavefront6targetE1EEEvT1_
	.p2align	8
	.type	_ZN7rocprim17ROCPRIM_400000_NS6detail17trampoline_kernelINS0_14default_configENS1_20scan_config_selectorIfEEZZNS1_9scan_implILNS1_25lookback_scan_determinismE0ELb0ELb0ES3_N6thrust23THRUST_200600_302600_NS6detail15normal_iteratorINS9_10device_ptrIfEEEESE_fNS9_4plusIiEEfEEDaPvRmT3_T4_T5_mT6_P12ihipStream_tbENKUlT_T0_E_clISt17integral_constantIbLb0EESU_EEDaSP_SQ_EUlSP_E_NS1_11comp_targetILNS1_3genE10ELNS1_11target_archE1201ELNS1_3gpuE5ELNS1_3repE0EEENS1_30default_config_static_selectorELNS0_4arch9wavefront6targetE1EEEvT1_,@function
_ZN7rocprim17ROCPRIM_400000_NS6detail17trampoline_kernelINS0_14default_configENS1_20scan_config_selectorIfEEZZNS1_9scan_implILNS1_25lookback_scan_determinismE0ELb0ELb0ES3_N6thrust23THRUST_200600_302600_NS6detail15normal_iteratorINS9_10device_ptrIfEEEESE_fNS9_4plusIiEEfEEDaPvRmT3_T4_T5_mT6_P12ihipStream_tbENKUlT_T0_E_clISt17integral_constantIbLb0EESU_EEDaSP_SQ_EUlSP_E_NS1_11comp_targetILNS1_3genE10ELNS1_11target_archE1201ELNS1_3gpuE5ELNS1_3repE0EEENS1_30default_config_static_selectorELNS0_4arch9wavefront6targetE1EEEvT1_: ; @_ZN7rocprim17ROCPRIM_400000_NS6detail17trampoline_kernelINS0_14default_configENS1_20scan_config_selectorIfEEZZNS1_9scan_implILNS1_25lookback_scan_determinismE0ELb0ELb0ES3_N6thrust23THRUST_200600_302600_NS6detail15normal_iteratorINS9_10device_ptrIfEEEESE_fNS9_4plusIiEEfEEDaPvRmT3_T4_T5_mT6_P12ihipStream_tbENKUlT_T0_E_clISt17integral_constantIbLb0EESU_EEDaSP_SQ_EUlSP_E_NS1_11comp_targetILNS1_3genE10ELNS1_11target_archE1201ELNS1_3gpuE5ELNS1_3repE0EEENS1_30default_config_static_selectorELNS0_4arch9wavefront6targetE1EEEvT1_
; %bb.0:
	.section	.rodata,"a",@progbits
	.p2align	6, 0x0
	.amdhsa_kernel _ZN7rocprim17ROCPRIM_400000_NS6detail17trampoline_kernelINS0_14default_configENS1_20scan_config_selectorIfEEZZNS1_9scan_implILNS1_25lookback_scan_determinismE0ELb0ELb0ES3_N6thrust23THRUST_200600_302600_NS6detail15normal_iteratorINS9_10device_ptrIfEEEESE_fNS9_4plusIiEEfEEDaPvRmT3_T4_T5_mT6_P12ihipStream_tbENKUlT_T0_E_clISt17integral_constantIbLb0EESU_EEDaSP_SQ_EUlSP_E_NS1_11comp_targetILNS1_3genE10ELNS1_11target_archE1201ELNS1_3gpuE5ELNS1_3repE0EEENS1_30default_config_static_selectorELNS0_4arch9wavefront6targetE1EEEvT1_
		.amdhsa_group_segment_fixed_size 0
		.amdhsa_private_segment_fixed_size 0
		.amdhsa_kernarg_size 96
		.amdhsa_user_sgpr_count 6
		.amdhsa_user_sgpr_private_segment_buffer 1
		.amdhsa_user_sgpr_dispatch_ptr 0
		.amdhsa_user_sgpr_queue_ptr 0
		.amdhsa_user_sgpr_kernarg_segment_ptr 1
		.amdhsa_user_sgpr_dispatch_id 0
		.amdhsa_user_sgpr_flat_scratch_init 0
		.amdhsa_user_sgpr_kernarg_preload_length 0
		.amdhsa_user_sgpr_kernarg_preload_offset 0
		.amdhsa_user_sgpr_private_segment_size 0
		.amdhsa_uses_dynamic_stack 0
		.amdhsa_system_sgpr_private_segment_wavefront_offset 0
		.amdhsa_system_sgpr_workgroup_id_x 1
		.amdhsa_system_sgpr_workgroup_id_y 0
		.amdhsa_system_sgpr_workgroup_id_z 0
		.amdhsa_system_sgpr_workgroup_info 0
		.amdhsa_system_vgpr_workitem_id 0
		.amdhsa_next_free_vgpr 1
		.amdhsa_next_free_sgpr 0
		.amdhsa_accum_offset 4
		.amdhsa_reserve_vcc 0
		.amdhsa_reserve_flat_scratch 0
		.amdhsa_float_round_mode_32 0
		.amdhsa_float_round_mode_16_64 0
		.amdhsa_float_denorm_mode_32 3
		.amdhsa_float_denorm_mode_16_64 3
		.amdhsa_dx10_clamp 1
		.amdhsa_ieee_mode 1
		.amdhsa_fp16_overflow 0
		.amdhsa_tg_split 0
		.amdhsa_exception_fp_ieee_invalid_op 0
		.amdhsa_exception_fp_denorm_src 0
		.amdhsa_exception_fp_ieee_div_zero 0
		.amdhsa_exception_fp_ieee_overflow 0
		.amdhsa_exception_fp_ieee_underflow 0
		.amdhsa_exception_fp_ieee_inexact 0
		.amdhsa_exception_int_div_zero 0
	.end_amdhsa_kernel
	.section	.text._ZN7rocprim17ROCPRIM_400000_NS6detail17trampoline_kernelINS0_14default_configENS1_20scan_config_selectorIfEEZZNS1_9scan_implILNS1_25lookback_scan_determinismE0ELb0ELb0ES3_N6thrust23THRUST_200600_302600_NS6detail15normal_iteratorINS9_10device_ptrIfEEEESE_fNS9_4plusIiEEfEEDaPvRmT3_T4_T5_mT6_P12ihipStream_tbENKUlT_T0_E_clISt17integral_constantIbLb0EESU_EEDaSP_SQ_EUlSP_E_NS1_11comp_targetILNS1_3genE10ELNS1_11target_archE1201ELNS1_3gpuE5ELNS1_3repE0EEENS1_30default_config_static_selectorELNS0_4arch9wavefront6targetE1EEEvT1_,"axG",@progbits,_ZN7rocprim17ROCPRIM_400000_NS6detail17trampoline_kernelINS0_14default_configENS1_20scan_config_selectorIfEEZZNS1_9scan_implILNS1_25lookback_scan_determinismE0ELb0ELb0ES3_N6thrust23THRUST_200600_302600_NS6detail15normal_iteratorINS9_10device_ptrIfEEEESE_fNS9_4plusIiEEfEEDaPvRmT3_T4_T5_mT6_P12ihipStream_tbENKUlT_T0_E_clISt17integral_constantIbLb0EESU_EEDaSP_SQ_EUlSP_E_NS1_11comp_targetILNS1_3genE10ELNS1_11target_archE1201ELNS1_3gpuE5ELNS1_3repE0EEENS1_30default_config_static_selectorELNS0_4arch9wavefront6targetE1EEEvT1_,comdat
.Lfunc_end1502:
	.size	_ZN7rocprim17ROCPRIM_400000_NS6detail17trampoline_kernelINS0_14default_configENS1_20scan_config_selectorIfEEZZNS1_9scan_implILNS1_25lookback_scan_determinismE0ELb0ELb0ES3_N6thrust23THRUST_200600_302600_NS6detail15normal_iteratorINS9_10device_ptrIfEEEESE_fNS9_4plusIiEEfEEDaPvRmT3_T4_T5_mT6_P12ihipStream_tbENKUlT_T0_E_clISt17integral_constantIbLb0EESU_EEDaSP_SQ_EUlSP_E_NS1_11comp_targetILNS1_3genE10ELNS1_11target_archE1201ELNS1_3gpuE5ELNS1_3repE0EEENS1_30default_config_static_selectorELNS0_4arch9wavefront6targetE1EEEvT1_, .Lfunc_end1502-_ZN7rocprim17ROCPRIM_400000_NS6detail17trampoline_kernelINS0_14default_configENS1_20scan_config_selectorIfEEZZNS1_9scan_implILNS1_25lookback_scan_determinismE0ELb0ELb0ES3_N6thrust23THRUST_200600_302600_NS6detail15normal_iteratorINS9_10device_ptrIfEEEESE_fNS9_4plusIiEEfEEDaPvRmT3_T4_T5_mT6_P12ihipStream_tbENKUlT_T0_E_clISt17integral_constantIbLb0EESU_EEDaSP_SQ_EUlSP_E_NS1_11comp_targetILNS1_3genE10ELNS1_11target_archE1201ELNS1_3gpuE5ELNS1_3repE0EEENS1_30default_config_static_selectorELNS0_4arch9wavefront6targetE1EEEvT1_
                                        ; -- End function
	.section	.AMDGPU.csdata,"",@progbits
; Kernel info:
; codeLenInByte = 0
; NumSgprs: 4
; NumVgprs: 0
; NumAgprs: 0
; TotalNumVgprs: 0
; ScratchSize: 0
; MemoryBound: 0
; FloatMode: 240
; IeeeMode: 1
; LDSByteSize: 0 bytes/workgroup (compile time only)
; SGPRBlocks: 0
; VGPRBlocks: 0
; NumSGPRsForWavesPerEU: 4
; NumVGPRsForWavesPerEU: 1
; AccumOffset: 4
; Occupancy: 8
; WaveLimiterHint : 0
; COMPUTE_PGM_RSRC2:SCRATCH_EN: 0
; COMPUTE_PGM_RSRC2:USER_SGPR: 6
; COMPUTE_PGM_RSRC2:TRAP_HANDLER: 0
; COMPUTE_PGM_RSRC2:TGID_X_EN: 1
; COMPUTE_PGM_RSRC2:TGID_Y_EN: 0
; COMPUTE_PGM_RSRC2:TGID_Z_EN: 0
; COMPUTE_PGM_RSRC2:TIDIG_COMP_CNT: 0
; COMPUTE_PGM_RSRC3_GFX90A:ACCUM_OFFSET: 0
; COMPUTE_PGM_RSRC3_GFX90A:TG_SPLIT: 0
	.section	.text._ZN7rocprim17ROCPRIM_400000_NS6detail17trampoline_kernelINS0_14default_configENS1_20scan_config_selectorIfEEZZNS1_9scan_implILNS1_25lookback_scan_determinismE0ELb0ELb0ES3_N6thrust23THRUST_200600_302600_NS6detail15normal_iteratorINS9_10device_ptrIfEEEESE_fNS9_4plusIiEEfEEDaPvRmT3_T4_T5_mT6_P12ihipStream_tbENKUlT_T0_E_clISt17integral_constantIbLb0EESU_EEDaSP_SQ_EUlSP_E_NS1_11comp_targetILNS1_3genE10ELNS1_11target_archE1200ELNS1_3gpuE4ELNS1_3repE0EEENS1_30default_config_static_selectorELNS0_4arch9wavefront6targetE1EEEvT1_,"axG",@progbits,_ZN7rocprim17ROCPRIM_400000_NS6detail17trampoline_kernelINS0_14default_configENS1_20scan_config_selectorIfEEZZNS1_9scan_implILNS1_25lookback_scan_determinismE0ELb0ELb0ES3_N6thrust23THRUST_200600_302600_NS6detail15normal_iteratorINS9_10device_ptrIfEEEESE_fNS9_4plusIiEEfEEDaPvRmT3_T4_T5_mT6_P12ihipStream_tbENKUlT_T0_E_clISt17integral_constantIbLb0EESU_EEDaSP_SQ_EUlSP_E_NS1_11comp_targetILNS1_3genE10ELNS1_11target_archE1200ELNS1_3gpuE4ELNS1_3repE0EEENS1_30default_config_static_selectorELNS0_4arch9wavefront6targetE1EEEvT1_,comdat
	.protected	_ZN7rocprim17ROCPRIM_400000_NS6detail17trampoline_kernelINS0_14default_configENS1_20scan_config_selectorIfEEZZNS1_9scan_implILNS1_25lookback_scan_determinismE0ELb0ELb0ES3_N6thrust23THRUST_200600_302600_NS6detail15normal_iteratorINS9_10device_ptrIfEEEESE_fNS9_4plusIiEEfEEDaPvRmT3_T4_T5_mT6_P12ihipStream_tbENKUlT_T0_E_clISt17integral_constantIbLb0EESU_EEDaSP_SQ_EUlSP_E_NS1_11comp_targetILNS1_3genE10ELNS1_11target_archE1200ELNS1_3gpuE4ELNS1_3repE0EEENS1_30default_config_static_selectorELNS0_4arch9wavefront6targetE1EEEvT1_ ; -- Begin function _ZN7rocprim17ROCPRIM_400000_NS6detail17trampoline_kernelINS0_14default_configENS1_20scan_config_selectorIfEEZZNS1_9scan_implILNS1_25lookback_scan_determinismE0ELb0ELb0ES3_N6thrust23THRUST_200600_302600_NS6detail15normal_iteratorINS9_10device_ptrIfEEEESE_fNS9_4plusIiEEfEEDaPvRmT3_T4_T5_mT6_P12ihipStream_tbENKUlT_T0_E_clISt17integral_constantIbLb0EESU_EEDaSP_SQ_EUlSP_E_NS1_11comp_targetILNS1_3genE10ELNS1_11target_archE1200ELNS1_3gpuE4ELNS1_3repE0EEENS1_30default_config_static_selectorELNS0_4arch9wavefront6targetE1EEEvT1_
	.globl	_ZN7rocprim17ROCPRIM_400000_NS6detail17trampoline_kernelINS0_14default_configENS1_20scan_config_selectorIfEEZZNS1_9scan_implILNS1_25lookback_scan_determinismE0ELb0ELb0ES3_N6thrust23THRUST_200600_302600_NS6detail15normal_iteratorINS9_10device_ptrIfEEEESE_fNS9_4plusIiEEfEEDaPvRmT3_T4_T5_mT6_P12ihipStream_tbENKUlT_T0_E_clISt17integral_constantIbLb0EESU_EEDaSP_SQ_EUlSP_E_NS1_11comp_targetILNS1_3genE10ELNS1_11target_archE1200ELNS1_3gpuE4ELNS1_3repE0EEENS1_30default_config_static_selectorELNS0_4arch9wavefront6targetE1EEEvT1_
	.p2align	8
	.type	_ZN7rocprim17ROCPRIM_400000_NS6detail17trampoline_kernelINS0_14default_configENS1_20scan_config_selectorIfEEZZNS1_9scan_implILNS1_25lookback_scan_determinismE0ELb0ELb0ES3_N6thrust23THRUST_200600_302600_NS6detail15normal_iteratorINS9_10device_ptrIfEEEESE_fNS9_4plusIiEEfEEDaPvRmT3_T4_T5_mT6_P12ihipStream_tbENKUlT_T0_E_clISt17integral_constantIbLb0EESU_EEDaSP_SQ_EUlSP_E_NS1_11comp_targetILNS1_3genE10ELNS1_11target_archE1200ELNS1_3gpuE4ELNS1_3repE0EEENS1_30default_config_static_selectorELNS0_4arch9wavefront6targetE1EEEvT1_,@function
_ZN7rocprim17ROCPRIM_400000_NS6detail17trampoline_kernelINS0_14default_configENS1_20scan_config_selectorIfEEZZNS1_9scan_implILNS1_25lookback_scan_determinismE0ELb0ELb0ES3_N6thrust23THRUST_200600_302600_NS6detail15normal_iteratorINS9_10device_ptrIfEEEESE_fNS9_4plusIiEEfEEDaPvRmT3_T4_T5_mT6_P12ihipStream_tbENKUlT_T0_E_clISt17integral_constantIbLb0EESU_EEDaSP_SQ_EUlSP_E_NS1_11comp_targetILNS1_3genE10ELNS1_11target_archE1200ELNS1_3gpuE4ELNS1_3repE0EEENS1_30default_config_static_selectorELNS0_4arch9wavefront6targetE1EEEvT1_: ; @_ZN7rocprim17ROCPRIM_400000_NS6detail17trampoline_kernelINS0_14default_configENS1_20scan_config_selectorIfEEZZNS1_9scan_implILNS1_25lookback_scan_determinismE0ELb0ELb0ES3_N6thrust23THRUST_200600_302600_NS6detail15normal_iteratorINS9_10device_ptrIfEEEESE_fNS9_4plusIiEEfEEDaPvRmT3_T4_T5_mT6_P12ihipStream_tbENKUlT_T0_E_clISt17integral_constantIbLb0EESU_EEDaSP_SQ_EUlSP_E_NS1_11comp_targetILNS1_3genE10ELNS1_11target_archE1200ELNS1_3gpuE4ELNS1_3repE0EEENS1_30default_config_static_selectorELNS0_4arch9wavefront6targetE1EEEvT1_
; %bb.0:
	.section	.rodata,"a",@progbits
	.p2align	6, 0x0
	.amdhsa_kernel _ZN7rocprim17ROCPRIM_400000_NS6detail17trampoline_kernelINS0_14default_configENS1_20scan_config_selectorIfEEZZNS1_9scan_implILNS1_25lookback_scan_determinismE0ELb0ELb0ES3_N6thrust23THRUST_200600_302600_NS6detail15normal_iteratorINS9_10device_ptrIfEEEESE_fNS9_4plusIiEEfEEDaPvRmT3_T4_T5_mT6_P12ihipStream_tbENKUlT_T0_E_clISt17integral_constantIbLb0EESU_EEDaSP_SQ_EUlSP_E_NS1_11comp_targetILNS1_3genE10ELNS1_11target_archE1200ELNS1_3gpuE4ELNS1_3repE0EEENS1_30default_config_static_selectorELNS0_4arch9wavefront6targetE1EEEvT1_
		.amdhsa_group_segment_fixed_size 0
		.amdhsa_private_segment_fixed_size 0
		.amdhsa_kernarg_size 96
		.amdhsa_user_sgpr_count 6
		.amdhsa_user_sgpr_private_segment_buffer 1
		.amdhsa_user_sgpr_dispatch_ptr 0
		.amdhsa_user_sgpr_queue_ptr 0
		.amdhsa_user_sgpr_kernarg_segment_ptr 1
		.amdhsa_user_sgpr_dispatch_id 0
		.amdhsa_user_sgpr_flat_scratch_init 0
		.amdhsa_user_sgpr_kernarg_preload_length 0
		.amdhsa_user_sgpr_kernarg_preload_offset 0
		.amdhsa_user_sgpr_private_segment_size 0
		.amdhsa_uses_dynamic_stack 0
		.amdhsa_system_sgpr_private_segment_wavefront_offset 0
		.amdhsa_system_sgpr_workgroup_id_x 1
		.amdhsa_system_sgpr_workgroup_id_y 0
		.amdhsa_system_sgpr_workgroup_id_z 0
		.amdhsa_system_sgpr_workgroup_info 0
		.amdhsa_system_vgpr_workitem_id 0
		.amdhsa_next_free_vgpr 1
		.amdhsa_next_free_sgpr 0
		.amdhsa_accum_offset 4
		.amdhsa_reserve_vcc 0
		.amdhsa_reserve_flat_scratch 0
		.amdhsa_float_round_mode_32 0
		.amdhsa_float_round_mode_16_64 0
		.amdhsa_float_denorm_mode_32 3
		.amdhsa_float_denorm_mode_16_64 3
		.amdhsa_dx10_clamp 1
		.amdhsa_ieee_mode 1
		.amdhsa_fp16_overflow 0
		.amdhsa_tg_split 0
		.amdhsa_exception_fp_ieee_invalid_op 0
		.amdhsa_exception_fp_denorm_src 0
		.amdhsa_exception_fp_ieee_div_zero 0
		.amdhsa_exception_fp_ieee_overflow 0
		.amdhsa_exception_fp_ieee_underflow 0
		.amdhsa_exception_fp_ieee_inexact 0
		.amdhsa_exception_int_div_zero 0
	.end_amdhsa_kernel
	.section	.text._ZN7rocprim17ROCPRIM_400000_NS6detail17trampoline_kernelINS0_14default_configENS1_20scan_config_selectorIfEEZZNS1_9scan_implILNS1_25lookback_scan_determinismE0ELb0ELb0ES3_N6thrust23THRUST_200600_302600_NS6detail15normal_iteratorINS9_10device_ptrIfEEEESE_fNS9_4plusIiEEfEEDaPvRmT3_T4_T5_mT6_P12ihipStream_tbENKUlT_T0_E_clISt17integral_constantIbLb0EESU_EEDaSP_SQ_EUlSP_E_NS1_11comp_targetILNS1_3genE10ELNS1_11target_archE1200ELNS1_3gpuE4ELNS1_3repE0EEENS1_30default_config_static_selectorELNS0_4arch9wavefront6targetE1EEEvT1_,"axG",@progbits,_ZN7rocprim17ROCPRIM_400000_NS6detail17trampoline_kernelINS0_14default_configENS1_20scan_config_selectorIfEEZZNS1_9scan_implILNS1_25lookback_scan_determinismE0ELb0ELb0ES3_N6thrust23THRUST_200600_302600_NS6detail15normal_iteratorINS9_10device_ptrIfEEEESE_fNS9_4plusIiEEfEEDaPvRmT3_T4_T5_mT6_P12ihipStream_tbENKUlT_T0_E_clISt17integral_constantIbLb0EESU_EEDaSP_SQ_EUlSP_E_NS1_11comp_targetILNS1_3genE10ELNS1_11target_archE1200ELNS1_3gpuE4ELNS1_3repE0EEENS1_30default_config_static_selectorELNS0_4arch9wavefront6targetE1EEEvT1_,comdat
.Lfunc_end1503:
	.size	_ZN7rocprim17ROCPRIM_400000_NS6detail17trampoline_kernelINS0_14default_configENS1_20scan_config_selectorIfEEZZNS1_9scan_implILNS1_25lookback_scan_determinismE0ELb0ELb0ES3_N6thrust23THRUST_200600_302600_NS6detail15normal_iteratorINS9_10device_ptrIfEEEESE_fNS9_4plusIiEEfEEDaPvRmT3_T4_T5_mT6_P12ihipStream_tbENKUlT_T0_E_clISt17integral_constantIbLb0EESU_EEDaSP_SQ_EUlSP_E_NS1_11comp_targetILNS1_3genE10ELNS1_11target_archE1200ELNS1_3gpuE4ELNS1_3repE0EEENS1_30default_config_static_selectorELNS0_4arch9wavefront6targetE1EEEvT1_, .Lfunc_end1503-_ZN7rocprim17ROCPRIM_400000_NS6detail17trampoline_kernelINS0_14default_configENS1_20scan_config_selectorIfEEZZNS1_9scan_implILNS1_25lookback_scan_determinismE0ELb0ELb0ES3_N6thrust23THRUST_200600_302600_NS6detail15normal_iteratorINS9_10device_ptrIfEEEESE_fNS9_4plusIiEEfEEDaPvRmT3_T4_T5_mT6_P12ihipStream_tbENKUlT_T0_E_clISt17integral_constantIbLb0EESU_EEDaSP_SQ_EUlSP_E_NS1_11comp_targetILNS1_3genE10ELNS1_11target_archE1200ELNS1_3gpuE4ELNS1_3repE0EEENS1_30default_config_static_selectorELNS0_4arch9wavefront6targetE1EEEvT1_
                                        ; -- End function
	.section	.AMDGPU.csdata,"",@progbits
; Kernel info:
; codeLenInByte = 0
; NumSgprs: 4
; NumVgprs: 0
; NumAgprs: 0
; TotalNumVgprs: 0
; ScratchSize: 0
; MemoryBound: 0
; FloatMode: 240
; IeeeMode: 1
; LDSByteSize: 0 bytes/workgroup (compile time only)
; SGPRBlocks: 0
; VGPRBlocks: 0
; NumSGPRsForWavesPerEU: 4
; NumVGPRsForWavesPerEU: 1
; AccumOffset: 4
; Occupancy: 8
; WaveLimiterHint : 0
; COMPUTE_PGM_RSRC2:SCRATCH_EN: 0
; COMPUTE_PGM_RSRC2:USER_SGPR: 6
; COMPUTE_PGM_RSRC2:TRAP_HANDLER: 0
; COMPUTE_PGM_RSRC2:TGID_X_EN: 1
; COMPUTE_PGM_RSRC2:TGID_Y_EN: 0
; COMPUTE_PGM_RSRC2:TGID_Z_EN: 0
; COMPUTE_PGM_RSRC2:TIDIG_COMP_CNT: 0
; COMPUTE_PGM_RSRC3_GFX90A:ACCUM_OFFSET: 0
; COMPUTE_PGM_RSRC3_GFX90A:TG_SPLIT: 0
	.section	.text._ZN7rocprim17ROCPRIM_400000_NS6detail17trampoline_kernelINS0_14default_configENS1_20scan_config_selectorIfEEZZNS1_9scan_implILNS1_25lookback_scan_determinismE0ELb0ELb0ES3_N6thrust23THRUST_200600_302600_NS6detail15normal_iteratorINS9_10device_ptrIfEEEESE_fNS9_4plusIiEEfEEDaPvRmT3_T4_T5_mT6_P12ihipStream_tbENKUlT_T0_E_clISt17integral_constantIbLb0EESU_EEDaSP_SQ_EUlSP_E_NS1_11comp_targetILNS1_3genE9ELNS1_11target_archE1100ELNS1_3gpuE3ELNS1_3repE0EEENS1_30default_config_static_selectorELNS0_4arch9wavefront6targetE1EEEvT1_,"axG",@progbits,_ZN7rocprim17ROCPRIM_400000_NS6detail17trampoline_kernelINS0_14default_configENS1_20scan_config_selectorIfEEZZNS1_9scan_implILNS1_25lookback_scan_determinismE0ELb0ELb0ES3_N6thrust23THRUST_200600_302600_NS6detail15normal_iteratorINS9_10device_ptrIfEEEESE_fNS9_4plusIiEEfEEDaPvRmT3_T4_T5_mT6_P12ihipStream_tbENKUlT_T0_E_clISt17integral_constantIbLb0EESU_EEDaSP_SQ_EUlSP_E_NS1_11comp_targetILNS1_3genE9ELNS1_11target_archE1100ELNS1_3gpuE3ELNS1_3repE0EEENS1_30default_config_static_selectorELNS0_4arch9wavefront6targetE1EEEvT1_,comdat
	.protected	_ZN7rocprim17ROCPRIM_400000_NS6detail17trampoline_kernelINS0_14default_configENS1_20scan_config_selectorIfEEZZNS1_9scan_implILNS1_25lookback_scan_determinismE0ELb0ELb0ES3_N6thrust23THRUST_200600_302600_NS6detail15normal_iteratorINS9_10device_ptrIfEEEESE_fNS9_4plusIiEEfEEDaPvRmT3_T4_T5_mT6_P12ihipStream_tbENKUlT_T0_E_clISt17integral_constantIbLb0EESU_EEDaSP_SQ_EUlSP_E_NS1_11comp_targetILNS1_3genE9ELNS1_11target_archE1100ELNS1_3gpuE3ELNS1_3repE0EEENS1_30default_config_static_selectorELNS0_4arch9wavefront6targetE1EEEvT1_ ; -- Begin function _ZN7rocprim17ROCPRIM_400000_NS6detail17trampoline_kernelINS0_14default_configENS1_20scan_config_selectorIfEEZZNS1_9scan_implILNS1_25lookback_scan_determinismE0ELb0ELb0ES3_N6thrust23THRUST_200600_302600_NS6detail15normal_iteratorINS9_10device_ptrIfEEEESE_fNS9_4plusIiEEfEEDaPvRmT3_T4_T5_mT6_P12ihipStream_tbENKUlT_T0_E_clISt17integral_constantIbLb0EESU_EEDaSP_SQ_EUlSP_E_NS1_11comp_targetILNS1_3genE9ELNS1_11target_archE1100ELNS1_3gpuE3ELNS1_3repE0EEENS1_30default_config_static_selectorELNS0_4arch9wavefront6targetE1EEEvT1_
	.globl	_ZN7rocprim17ROCPRIM_400000_NS6detail17trampoline_kernelINS0_14default_configENS1_20scan_config_selectorIfEEZZNS1_9scan_implILNS1_25lookback_scan_determinismE0ELb0ELb0ES3_N6thrust23THRUST_200600_302600_NS6detail15normal_iteratorINS9_10device_ptrIfEEEESE_fNS9_4plusIiEEfEEDaPvRmT3_T4_T5_mT6_P12ihipStream_tbENKUlT_T0_E_clISt17integral_constantIbLb0EESU_EEDaSP_SQ_EUlSP_E_NS1_11comp_targetILNS1_3genE9ELNS1_11target_archE1100ELNS1_3gpuE3ELNS1_3repE0EEENS1_30default_config_static_selectorELNS0_4arch9wavefront6targetE1EEEvT1_
	.p2align	8
	.type	_ZN7rocprim17ROCPRIM_400000_NS6detail17trampoline_kernelINS0_14default_configENS1_20scan_config_selectorIfEEZZNS1_9scan_implILNS1_25lookback_scan_determinismE0ELb0ELb0ES3_N6thrust23THRUST_200600_302600_NS6detail15normal_iteratorINS9_10device_ptrIfEEEESE_fNS9_4plusIiEEfEEDaPvRmT3_T4_T5_mT6_P12ihipStream_tbENKUlT_T0_E_clISt17integral_constantIbLb0EESU_EEDaSP_SQ_EUlSP_E_NS1_11comp_targetILNS1_3genE9ELNS1_11target_archE1100ELNS1_3gpuE3ELNS1_3repE0EEENS1_30default_config_static_selectorELNS0_4arch9wavefront6targetE1EEEvT1_,@function
_ZN7rocprim17ROCPRIM_400000_NS6detail17trampoline_kernelINS0_14default_configENS1_20scan_config_selectorIfEEZZNS1_9scan_implILNS1_25lookback_scan_determinismE0ELb0ELb0ES3_N6thrust23THRUST_200600_302600_NS6detail15normal_iteratorINS9_10device_ptrIfEEEESE_fNS9_4plusIiEEfEEDaPvRmT3_T4_T5_mT6_P12ihipStream_tbENKUlT_T0_E_clISt17integral_constantIbLb0EESU_EEDaSP_SQ_EUlSP_E_NS1_11comp_targetILNS1_3genE9ELNS1_11target_archE1100ELNS1_3gpuE3ELNS1_3repE0EEENS1_30default_config_static_selectorELNS0_4arch9wavefront6targetE1EEEvT1_: ; @_ZN7rocprim17ROCPRIM_400000_NS6detail17trampoline_kernelINS0_14default_configENS1_20scan_config_selectorIfEEZZNS1_9scan_implILNS1_25lookback_scan_determinismE0ELb0ELb0ES3_N6thrust23THRUST_200600_302600_NS6detail15normal_iteratorINS9_10device_ptrIfEEEESE_fNS9_4plusIiEEfEEDaPvRmT3_T4_T5_mT6_P12ihipStream_tbENKUlT_T0_E_clISt17integral_constantIbLb0EESU_EEDaSP_SQ_EUlSP_E_NS1_11comp_targetILNS1_3genE9ELNS1_11target_archE1100ELNS1_3gpuE3ELNS1_3repE0EEENS1_30default_config_static_selectorELNS0_4arch9wavefront6targetE1EEEvT1_
; %bb.0:
	.section	.rodata,"a",@progbits
	.p2align	6, 0x0
	.amdhsa_kernel _ZN7rocprim17ROCPRIM_400000_NS6detail17trampoline_kernelINS0_14default_configENS1_20scan_config_selectorIfEEZZNS1_9scan_implILNS1_25lookback_scan_determinismE0ELb0ELb0ES3_N6thrust23THRUST_200600_302600_NS6detail15normal_iteratorINS9_10device_ptrIfEEEESE_fNS9_4plusIiEEfEEDaPvRmT3_T4_T5_mT6_P12ihipStream_tbENKUlT_T0_E_clISt17integral_constantIbLb0EESU_EEDaSP_SQ_EUlSP_E_NS1_11comp_targetILNS1_3genE9ELNS1_11target_archE1100ELNS1_3gpuE3ELNS1_3repE0EEENS1_30default_config_static_selectorELNS0_4arch9wavefront6targetE1EEEvT1_
		.amdhsa_group_segment_fixed_size 0
		.amdhsa_private_segment_fixed_size 0
		.amdhsa_kernarg_size 96
		.amdhsa_user_sgpr_count 6
		.amdhsa_user_sgpr_private_segment_buffer 1
		.amdhsa_user_sgpr_dispatch_ptr 0
		.amdhsa_user_sgpr_queue_ptr 0
		.amdhsa_user_sgpr_kernarg_segment_ptr 1
		.amdhsa_user_sgpr_dispatch_id 0
		.amdhsa_user_sgpr_flat_scratch_init 0
		.amdhsa_user_sgpr_kernarg_preload_length 0
		.amdhsa_user_sgpr_kernarg_preload_offset 0
		.amdhsa_user_sgpr_private_segment_size 0
		.amdhsa_uses_dynamic_stack 0
		.amdhsa_system_sgpr_private_segment_wavefront_offset 0
		.amdhsa_system_sgpr_workgroup_id_x 1
		.amdhsa_system_sgpr_workgroup_id_y 0
		.amdhsa_system_sgpr_workgroup_id_z 0
		.amdhsa_system_sgpr_workgroup_info 0
		.amdhsa_system_vgpr_workitem_id 0
		.amdhsa_next_free_vgpr 1
		.amdhsa_next_free_sgpr 0
		.amdhsa_accum_offset 4
		.amdhsa_reserve_vcc 0
		.amdhsa_reserve_flat_scratch 0
		.amdhsa_float_round_mode_32 0
		.amdhsa_float_round_mode_16_64 0
		.amdhsa_float_denorm_mode_32 3
		.amdhsa_float_denorm_mode_16_64 3
		.amdhsa_dx10_clamp 1
		.amdhsa_ieee_mode 1
		.amdhsa_fp16_overflow 0
		.amdhsa_tg_split 0
		.amdhsa_exception_fp_ieee_invalid_op 0
		.amdhsa_exception_fp_denorm_src 0
		.amdhsa_exception_fp_ieee_div_zero 0
		.amdhsa_exception_fp_ieee_overflow 0
		.amdhsa_exception_fp_ieee_underflow 0
		.amdhsa_exception_fp_ieee_inexact 0
		.amdhsa_exception_int_div_zero 0
	.end_amdhsa_kernel
	.section	.text._ZN7rocprim17ROCPRIM_400000_NS6detail17trampoline_kernelINS0_14default_configENS1_20scan_config_selectorIfEEZZNS1_9scan_implILNS1_25lookback_scan_determinismE0ELb0ELb0ES3_N6thrust23THRUST_200600_302600_NS6detail15normal_iteratorINS9_10device_ptrIfEEEESE_fNS9_4plusIiEEfEEDaPvRmT3_T4_T5_mT6_P12ihipStream_tbENKUlT_T0_E_clISt17integral_constantIbLb0EESU_EEDaSP_SQ_EUlSP_E_NS1_11comp_targetILNS1_3genE9ELNS1_11target_archE1100ELNS1_3gpuE3ELNS1_3repE0EEENS1_30default_config_static_selectorELNS0_4arch9wavefront6targetE1EEEvT1_,"axG",@progbits,_ZN7rocprim17ROCPRIM_400000_NS6detail17trampoline_kernelINS0_14default_configENS1_20scan_config_selectorIfEEZZNS1_9scan_implILNS1_25lookback_scan_determinismE0ELb0ELb0ES3_N6thrust23THRUST_200600_302600_NS6detail15normal_iteratorINS9_10device_ptrIfEEEESE_fNS9_4plusIiEEfEEDaPvRmT3_T4_T5_mT6_P12ihipStream_tbENKUlT_T0_E_clISt17integral_constantIbLb0EESU_EEDaSP_SQ_EUlSP_E_NS1_11comp_targetILNS1_3genE9ELNS1_11target_archE1100ELNS1_3gpuE3ELNS1_3repE0EEENS1_30default_config_static_selectorELNS0_4arch9wavefront6targetE1EEEvT1_,comdat
.Lfunc_end1504:
	.size	_ZN7rocprim17ROCPRIM_400000_NS6detail17trampoline_kernelINS0_14default_configENS1_20scan_config_selectorIfEEZZNS1_9scan_implILNS1_25lookback_scan_determinismE0ELb0ELb0ES3_N6thrust23THRUST_200600_302600_NS6detail15normal_iteratorINS9_10device_ptrIfEEEESE_fNS9_4plusIiEEfEEDaPvRmT3_T4_T5_mT6_P12ihipStream_tbENKUlT_T0_E_clISt17integral_constantIbLb0EESU_EEDaSP_SQ_EUlSP_E_NS1_11comp_targetILNS1_3genE9ELNS1_11target_archE1100ELNS1_3gpuE3ELNS1_3repE0EEENS1_30default_config_static_selectorELNS0_4arch9wavefront6targetE1EEEvT1_, .Lfunc_end1504-_ZN7rocprim17ROCPRIM_400000_NS6detail17trampoline_kernelINS0_14default_configENS1_20scan_config_selectorIfEEZZNS1_9scan_implILNS1_25lookback_scan_determinismE0ELb0ELb0ES3_N6thrust23THRUST_200600_302600_NS6detail15normal_iteratorINS9_10device_ptrIfEEEESE_fNS9_4plusIiEEfEEDaPvRmT3_T4_T5_mT6_P12ihipStream_tbENKUlT_T0_E_clISt17integral_constantIbLb0EESU_EEDaSP_SQ_EUlSP_E_NS1_11comp_targetILNS1_3genE9ELNS1_11target_archE1100ELNS1_3gpuE3ELNS1_3repE0EEENS1_30default_config_static_selectorELNS0_4arch9wavefront6targetE1EEEvT1_
                                        ; -- End function
	.section	.AMDGPU.csdata,"",@progbits
; Kernel info:
; codeLenInByte = 0
; NumSgprs: 4
; NumVgprs: 0
; NumAgprs: 0
; TotalNumVgprs: 0
; ScratchSize: 0
; MemoryBound: 0
; FloatMode: 240
; IeeeMode: 1
; LDSByteSize: 0 bytes/workgroup (compile time only)
; SGPRBlocks: 0
; VGPRBlocks: 0
; NumSGPRsForWavesPerEU: 4
; NumVGPRsForWavesPerEU: 1
; AccumOffset: 4
; Occupancy: 8
; WaveLimiterHint : 0
; COMPUTE_PGM_RSRC2:SCRATCH_EN: 0
; COMPUTE_PGM_RSRC2:USER_SGPR: 6
; COMPUTE_PGM_RSRC2:TRAP_HANDLER: 0
; COMPUTE_PGM_RSRC2:TGID_X_EN: 1
; COMPUTE_PGM_RSRC2:TGID_Y_EN: 0
; COMPUTE_PGM_RSRC2:TGID_Z_EN: 0
; COMPUTE_PGM_RSRC2:TIDIG_COMP_CNT: 0
; COMPUTE_PGM_RSRC3_GFX90A:ACCUM_OFFSET: 0
; COMPUTE_PGM_RSRC3_GFX90A:TG_SPLIT: 0
	.section	.text._ZN7rocprim17ROCPRIM_400000_NS6detail17trampoline_kernelINS0_14default_configENS1_20scan_config_selectorIfEEZZNS1_9scan_implILNS1_25lookback_scan_determinismE0ELb0ELb0ES3_N6thrust23THRUST_200600_302600_NS6detail15normal_iteratorINS9_10device_ptrIfEEEESE_fNS9_4plusIiEEfEEDaPvRmT3_T4_T5_mT6_P12ihipStream_tbENKUlT_T0_E_clISt17integral_constantIbLb0EESU_EEDaSP_SQ_EUlSP_E_NS1_11comp_targetILNS1_3genE8ELNS1_11target_archE1030ELNS1_3gpuE2ELNS1_3repE0EEENS1_30default_config_static_selectorELNS0_4arch9wavefront6targetE1EEEvT1_,"axG",@progbits,_ZN7rocprim17ROCPRIM_400000_NS6detail17trampoline_kernelINS0_14default_configENS1_20scan_config_selectorIfEEZZNS1_9scan_implILNS1_25lookback_scan_determinismE0ELb0ELb0ES3_N6thrust23THRUST_200600_302600_NS6detail15normal_iteratorINS9_10device_ptrIfEEEESE_fNS9_4plusIiEEfEEDaPvRmT3_T4_T5_mT6_P12ihipStream_tbENKUlT_T0_E_clISt17integral_constantIbLb0EESU_EEDaSP_SQ_EUlSP_E_NS1_11comp_targetILNS1_3genE8ELNS1_11target_archE1030ELNS1_3gpuE2ELNS1_3repE0EEENS1_30default_config_static_selectorELNS0_4arch9wavefront6targetE1EEEvT1_,comdat
	.protected	_ZN7rocprim17ROCPRIM_400000_NS6detail17trampoline_kernelINS0_14default_configENS1_20scan_config_selectorIfEEZZNS1_9scan_implILNS1_25lookback_scan_determinismE0ELb0ELb0ES3_N6thrust23THRUST_200600_302600_NS6detail15normal_iteratorINS9_10device_ptrIfEEEESE_fNS9_4plusIiEEfEEDaPvRmT3_T4_T5_mT6_P12ihipStream_tbENKUlT_T0_E_clISt17integral_constantIbLb0EESU_EEDaSP_SQ_EUlSP_E_NS1_11comp_targetILNS1_3genE8ELNS1_11target_archE1030ELNS1_3gpuE2ELNS1_3repE0EEENS1_30default_config_static_selectorELNS0_4arch9wavefront6targetE1EEEvT1_ ; -- Begin function _ZN7rocprim17ROCPRIM_400000_NS6detail17trampoline_kernelINS0_14default_configENS1_20scan_config_selectorIfEEZZNS1_9scan_implILNS1_25lookback_scan_determinismE0ELb0ELb0ES3_N6thrust23THRUST_200600_302600_NS6detail15normal_iteratorINS9_10device_ptrIfEEEESE_fNS9_4plusIiEEfEEDaPvRmT3_T4_T5_mT6_P12ihipStream_tbENKUlT_T0_E_clISt17integral_constantIbLb0EESU_EEDaSP_SQ_EUlSP_E_NS1_11comp_targetILNS1_3genE8ELNS1_11target_archE1030ELNS1_3gpuE2ELNS1_3repE0EEENS1_30default_config_static_selectorELNS0_4arch9wavefront6targetE1EEEvT1_
	.globl	_ZN7rocprim17ROCPRIM_400000_NS6detail17trampoline_kernelINS0_14default_configENS1_20scan_config_selectorIfEEZZNS1_9scan_implILNS1_25lookback_scan_determinismE0ELb0ELb0ES3_N6thrust23THRUST_200600_302600_NS6detail15normal_iteratorINS9_10device_ptrIfEEEESE_fNS9_4plusIiEEfEEDaPvRmT3_T4_T5_mT6_P12ihipStream_tbENKUlT_T0_E_clISt17integral_constantIbLb0EESU_EEDaSP_SQ_EUlSP_E_NS1_11comp_targetILNS1_3genE8ELNS1_11target_archE1030ELNS1_3gpuE2ELNS1_3repE0EEENS1_30default_config_static_selectorELNS0_4arch9wavefront6targetE1EEEvT1_
	.p2align	8
	.type	_ZN7rocprim17ROCPRIM_400000_NS6detail17trampoline_kernelINS0_14default_configENS1_20scan_config_selectorIfEEZZNS1_9scan_implILNS1_25lookback_scan_determinismE0ELb0ELb0ES3_N6thrust23THRUST_200600_302600_NS6detail15normal_iteratorINS9_10device_ptrIfEEEESE_fNS9_4plusIiEEfEEDaPvRmT3_T4_T5_mT6_P12ihipStream_tbENKUlT_T0_E_clISt17integral_constantIbLb0EESU_EEDaSP_SQ_EUlSP_E_NS1_11comp_targetILNS1_3genE8ELNS1_11target_archE1030ELNS1_3gpuE2ELNS1_3repE0EEENS1_30default_config_static_selectorELNS0_4arch9wavefront6targetE1EEEvT1_,@function
_ZN7rocprim17ROCPRIM_400000_NS6detail17trampoline_kernelINS0_14default_configENS1_20scan_config_selectorIfEEZZNS1_9scan_implILNS1_25lookback_scan_determinismE0ELb0ELb0ES3_N6thrust23THRUST_200600_302600_NS6detail15normal_iteratorINS9_10device_ptrIfEEEESE_fNS9_4plusIiEEfEEDaPvRmT3_T4_T5_mT6_P12ihipStream_tbENKUlT_T0_E_clISt17integral_constantIbLb0EESU_EEDaSP_SQ_EUlSP_E_NS1_11comp_targetILNS1_3genE8ELNS1_11target_archE1030ELNS1_3gpuE2ELNS1_3repE0EEENS1_30default_config_static_selectorELNS0_4arch9wavefront6targetE1EEEvT1_: ; @_ZN7rocprim17ROCPRIM_400000_NS6detail17trampoline_kernelINS0_14default_configENS1_20scan_config_selectorIfEEZZNS1_9scan_implILNS1_25lookback_scan_determinismE0ELb0ELb0ES3_N6thrust23THRUST_200600_302600_NS6detail15normal_iteratorINS9_10device_ptrIfEEEESE_fNS9_4plusIiEEfEEDaPvRmT3_T4_T5_mT6_P12ihipStream_tbENKUlT_T0_E_clISt17integral_constantIbLb0EESU_EEDaSP_SQ_EUlSP_E_NS1_11comp_targetILNS1_3genE8ELNS1_11target_archE1030ELNS1_3gpuE2ELNS1_3repE0EEENS1_30default_config_static_selectorELNS0_4arch9wavefront6targetE1EEEvT1_
; %bb.0:
	.section	.rodata,"a",@progbits
	.p2align	6, 0x0
	.amdhsa_kernel _ZN7rocprim17ROCPRIM_400000_NS6detail17trampoline_kernelINS0_14default_configENS1_20scan_config_selectorIfEEZZNS1_9scan_implILNS1_25lookback_scan_determinismE0ELb0ELb0ES3_N6thrust23THRUST_200600_302600_NS6detail15normal_iteratorINS9_10device_ptrIfEEEESE_fNS9_4plusIiEEfEEDaPvRmT3_T4_T5_mT6_P12ihipStream_tbENKUlT_T0_E_clISt17integral_constantIbLb0EESU_EEDaSP_SQ_EUlSP_E_NS1_11comp_targetILNS1_3genE8ELNS1_11target_archE1030ELNS1_3gpuE2ELNS1_3repE0EEENS1_30default_config_static_selectorELNS0_4arch9wavefront6targetE1EEEvT1_
		.amdhsa_group_segment_fixed_size 0
		.amdhsa_private_segment_fixed_size 0
		.amdhsa_kernarg_size 96
		.amdhsa_user_sgpr_count 6
		.amdhsa_user_sgpr_private_segment_buffer 1
		.amdhsa_user_sgpr_dispatch_ptr 0
		.amdhsa_user_sgpr_queue_ptr 0
		.amdhsa_user_sgpr_kernarg_segment_ptr 1
		.amdhsa_user_sgpr_dispatch_id 0
		.amdhsa_user_sgpr_flat_scratch_init 0
		.amdhsa_user_sgpr_kernarg_preload_length 0
		.amdhsa_user_sgpr_kernarg_preload_offset 0
		.amdhsa_user_sgpr_private_segment_size 0
		.amdhsa_uses_dynamic_stack 0
		.amdhsa_system_sgpr_private_segment_wavefront_offset 0
		.amdhsa_system_sgpr_workgroup_id_x 1
		.amdhsa_system_sgpr_workgroup_id_y 0
		.amdhsa_system_sgpr_workgroup_id_z 0
		.amdhsa_system_sgpr_workgroup_info 0
		.amdhsa_system_vgpr_workitem_id 0
		.amdhsa_next_free_vgpr 1
		.amdhsa_next_free_sgpr 0
		.amdhsa_accum_offset 4
		.amdhsa_reserve_vcc 0
		.amdhsa_reserve_flat_scratch 0
		.amdhsa_float_round_mode_32 0
		.amdhsa_float_round_mode_16_64 0
		.amdhsa_float_denorm_mode_32 3
		.amdhsa_float_denorm_mode_16_64 3
		.amdhsa_dx10_clamp 1
		.amdhsa_ieee_mode 1
		.amdhsa_fp16_overflow 0
		.amdhsa_tg_split 0
		.amdhsa_exception_fp_ieee_invalid_op 0
		.amdhsa_exception_fp_denorm_src 0
		.amdhsa_exception_fp_ieee_div_zero 0
		.amdhsa_exception_fp_ieee_overflow 0
		.amdhsa_exception_fp_ieee_underflow 0
		.amdhsa_exception_fp_ieee_inexact 0
		.amdhsa_exception_int_div_zero 0
	.end_amdhsa_kernel
	.section	.text._ZN7rocprim17ROCPRIM_400000_NS6detail17trampoline_kernelINS0_14default_configENS1_20scan_config_selectorIfEEZZNS1_9scan_implILNS1_25lookback_scan_determinismE0ELb0ELb0ES3_N6thrust23THRUST_200600_302600_NS6detail15normal_iteratorINS9_10device_ptrIfEEEESE_fNS9_4plusIiEEfEEDaPvRmT3_T4_T5_mT6_P12ihipStream_tbENKUlT_T0_E_clISt17integral_constantIbLb0EESU_EEDaSP_SQ_EUlSP_E_NS1_11comp_targetILNS1_3genE8ELNS1_11target_archE1030ELNS1_3gpuE2ELNS1_3repE0EEENS1_30default_config_static_selectorELNS0_4arch9wavefront6targetE1EEEvT1_,"axG",@progbits,_ZN7rocprim17ROCPRIM_400000_NS6detail17trampoline_kernelINS0_14default_configENS1_20scan_config_selectorIfEEZZNS1_9scan_implILNS1_25lookback_scan_determinismE0ELb0ELb0ES3_N6thrust23THRUST_200600_302600_NS6detail15normal_iteratorINS9_10device_ptrIfEEEESE_fNS9_4plusIiEEfEEDaPvRmT3_T4_T5_mT6_P12ihipStream_tbENKUlT_T0_E_clISt17integral_constantIbLb0EESU_EEDaSP_SQ_EUlSP_E_NS1_11comp_targetILNS1_3genE8ELNS1_11target_archE1030ELNS1_3gpuE2ELNS1_3repE0EEENS1_30default_config_static_selectorELNS0_4arch9wavefront6targetE1EEEvT1_,comdat
.Lfunc_end1505:
	.size	_ZN7rocprim17ROCPRIM_400000_NS6detail17trampoline_kernelINS0_14default_configENS1_20scan_config_selectorIfEEZZNS1_9scan_implILNS1_25lookback_scan_determinismE0ELb0ELb0ES3_N6thrust23THRUST_200600_302600_NS6detail15normal_iteratorINS9_10device_ptrIfEEEESE_fNS9_4plusIiEEfEEDaPvRmT3_T4_T5_mT6_P12ihipStream_tbENKUlT_T0_E_clISt17integral_constantIbLb0EESU_EEDaSP_SQ_EUlSP_E_NS1_11comp_targetILNS1_3genE8ELNS1_11target_archE1030ELNS1_3gpuE2ELNS1_3repE0EEENS1_30default_config_static_selectorELNS0_4arch9wavefront6targetE1EEEvT1_, .Lfunc_end1505-_ZN7rocprim17ROCPRIM_400000_NS6detail17trampoline_kernelINS0_14default_configENS1_20scan_config_selectorIfEEZZNS1_9scan_implILNS1_25lookback_scan_determinismE0ELb0ELb0ES3_N6thrust23THRUST_200600_302600_NS6detail15normal_iteratorINS9_10device_ptrIfEEEESE_fNS9_4plusIiEEfEEDaPvRmT3_T4_T5_mT6_P12ihipStream_tbENKUlT_T0_E_clISt17integral_constantIbLb0EESU_EEDaSP_SQ_EUlSP_E_NS1_11comp_targetILNS1_3genE8ELNS1_11target_archE1030ELNS1_3gpuE2ELNS1_3repE0EEENS1_30default_config_static_selectorELNS0_4arch9wavefront6targetE1EEEvT1_
                                        ; -- End function
	.section	.AMDGPU.csdata,"",@progbits
; Kernel info:
; codeLenInByte = 0
; NumSgprs: 4
; NumVgprs: 0
; NumAgprs: 0
; TotalNumVgprs: 0
; ScratchSize: 0
; MemoryBound: 0
; FloatMode: 240
; IeeeMode: 1
; LDSByteSize: 0 bytes/workgroup (compile time only)
; SGPRBlocks: 0
; VGPRBlocks: 0
; NumSGPRsForWavesPerEU: 4
; NumVGPRsForWavesPerEU: 1
; AccumOffset: 4
; Occupancy: 8
; WaveLimiterHint : 0
; COMPUTE_PGM_RSRC2:SCRATCH_EN: 0
; COMPUTE_PGM_RSRC2:USER_SGPR: 6
; COMPUTE_PGM_RSRC2:TRAP_HANDLER: 0
; COMPUTE_PGM_RSRC2:TGID_X_EN: 1
; COMPUTE_PGM_RSRC2:TGID_Y_EN: 0
; COMPUTE_PGM_RSRC2:TGID_Z_EN: 0
; COMPUTE_PGM_RSRC2:TIDIG_COMP_CNT: 0
; COMPUTE_PGM_RSRC3_GFX90A:ACCUM_OFFSET: 0
; COMPUTE_PGM_RSRC3_GFX90A:TG_SPLIT: 0
	.section	.text._ZN7rocprim17ROCPRIM_400000_NS6detail17trampoline_kernelINS0_14default_configENS1_20scan_config_selectorIfEEZZNS1_9scan_implILNS1_25lookback_scan_determinismE0ELb0ELb0ES3_N6thrust23THRUST_200600_302600_NS6detail15normal_iteratorINS9_10device_ptrIfEEEESE_fNS9_4plusIiEEfEEDaPvRmT3_T4_T5_mT6_P12ihipStream_tbENKUlT_T0_E_clISt17integral_constantIbLb0EESU_EEDaSP_SQ_EUlSP_E0_NS1_11comp_targetILNS1_3genE0ELNS1_11target_archE4294967295ELNS1_3gpuE0ELNS1_3repE0EEENS1_30default_config_static_selectorELNS0_4arch9wavefront6targetE1EEEvT1_,"axG",@progbits,_ZN7rocprim17ROCPRIM_400000_NS6detail17trampoline_kernelINS0_14default_configENS1_20scan_config_selectorIfEEZZNS1_9scan_implILNS1_25lookback_scan_determinismE0ELb0ELb0ES3_N6thrust23THRUST_200600_302600_NS6detail15normal_iteratorINS9_10device_ptrIfEEEESE_fNS9_4plusIiEEfEEDaPvRmT3_T4_T5_mT6_P12ihipStream_tbENKUlT_T0_E_clISt17integral_constantIbLb0EESU_EEDaSP_SQ_EUlSP_E0_NS1_11comp_targetILNS1_3genE0ELNS1_11target_archE4294967295ELNS1_3gpuE0ELNS1_3repE0EEENS1_30default_config_static_selectorELNS0_4arch9wavefront6targetE1EEEvT1_,comdat
	.protected	_ZN7rocprim17ROCPRIM_400000_NS6detail17trampoline_kernelINS0_14default_configENS1_20scan_config_selectorIfEEZZNS1_9scan_implILNS1_25lookback_scan_determinismE0ELb0ELb0ES3_N6thrust23THRUST_200600_302600_NS6detail15normal_iteratorINS9_10device_ptrIfEEEESE_fNS9_4plusIiEEfEEDaPvRmT3_T4_T5_mT6_P12ihipStream_tbENKUlT_T0_E_clISt17integral_constantIbLb0EESU_EEDaSP_SQ_EUlSP_E0_NS1_11comp_targetILNS1_3genE0ELNS1_11target_archE4294967295ELNS1_3gpuE0ELNS1_3repE0EEENS1_30default_config_static_selectorELNS0_4arch9wavefront6targetE1EEEvT1_ ; -- Begin function _ZN7rocprim17ROCPRIM_400000_NS6detail17trampoline_kernelINS0_14default_configENS1_20scan_config_selectorIfEEZZNS1_9scan_implILNS1_25lookback_scan_determinismE0ELb0ELb0ES3_N6thrust23THRUST_200600_302600_NS6detail15normal_iteratorINS9_10device_ptrIfEEEESE_fNS9_4plusIiEEfEEDaPvRmT3_T4_T5_mT6_P12ihipStream_tbENKUlT_T0_E_clISt17integral_constantIbLb0EESU_EEDaSP_SQ_EUlSP_E0_NS1_11comp_targetILNS1_3genE0ELNS1_11target_archE4294967295ELNS1_3gpuE0ELNS1_3repE0EEENS1_30default_config_static_selectorELNS0_4arch9wavefront6targetE1EEEvT1_
	.globl	_ZN7rocprim17ROCPRIM_400000_NS6detail17trampoline_kernelINS0_14default_configENS1_20scan_config_selectorIfEEZZNS1_9scan_implILNS1_25lookback_scan_determinismE0ELb0ELb0ES3_N6thrust23THRUST_200600_302600_NS6detail15normal_iteratorINS9_10device_ptrIfEEEESE_fNS9_4plusIiEEfEEDaPvRmT3_T4_T5_mT6_P12ihipStream_tbENKUlT_T0_E_clISt17integral_constantIbLb0EESU_EEDaSP_SQ_EUlSP_E0_NS1_11comp_targetILNS1_3genE0ELNS1_11target_archE4294967295ELNS1_3gpuE0ELNS1_3repE0EEENS1_30default_config_static_selectorELNS0_4arch9wavefront6targetE1EEEvT1_
	.p2align	8
	.type	_ZN7rocprim17ROCPRIM_400000_NS6detail17trampoline_kernelINS0_14default_configENS1_20scan_config_selectorIfEEZZNS1_9scan_implILNS1_25lookback_scan_determinismE0ELb0ELb0ES3_N6thrust23THRUST_200600_302600_NS6detail15normal_iteratorINS9_10device_ptrIfEEEESE_fNS9_4plusIiEEfEEDaPvRmT3_T4_T5_mT6_P12ihipStream_tbENKUlT_T0_E_clISt17integral_constantIbLb0EESU_EEDaSP_SQ_EUlSP_E0_NS1_11comp_targetILNS1_3genE0ELNS1_11target_archE4294967295ELNS1_3gpuE0ELNS1_3repE0EEENS1_30default_config_static_selectorELNS0_4arch9wavefront6targetE1EEEvT1_,@function
_ZN7rocprim17ROCPRIM_400000_NS6detail17trampoline_kernelINS0_14default_configENS1_20scan_config_selectorIfEEZZNS1_9scan_implILNS1_25lookback_scan_determinismE0ELb0ELb0ES3_N6thrust23THRUST_200600_302600_NS6detail15normal_iteratorINS9_10device_ptrIfEEEESE_fNS9_4plusIiEEfEEDaPvRmT3_T4_T5_mT6_P12ihipStream_tbENKUlT_T0_E_clISt17integral_constantIbLb0EESU_EEDaSP_SQ_EUlSP_E0_NS1_11comp_targetILNS1_3genE0ELNS1_11target_archE4294967295ELNS1_3gpuE0ELNS1_3repE0EEENS1_30default_config_static_selectorELNS0_4arch9wavefront6targetE1EEEvT1_: ; @_ZN7rocprim17ROCPRIM_400000_NS6detail17trampoline_kernelINS0_14default_configENS1_20scan_config_selectorIfEEZZNS1_9scan_implILNS1_25lookback_scan_determinismE0ELb0ELb0ES3_N6thrust23THRUST_200600_302600_NS6detail15normal_iteratorINS9_10device_ptrIfEEEESE_fNS9_4plusIiEEfEEDaPvRmT3_T4_T5_mT6_P12ihipStream_tbENKUlT_T0_E_clISt17integral_constantIbLb0EESU_EEDaSP_SQ_EUlSP_E0_NS1_11comp_targetILNS1_3genE0ELNS1_11target_archE4294967295ELNS1_3gpuE0ELNS1_3repE0EEENS1_30default_config_static_selectorELNS0_4arch9wavefront6targetE1EEEvT1_
; %bb.0:
	.section	.rodata,"a",@progbits
	.p2align	6, 0x0
	.amdhsa_kernel _ZN7rocprim17ROCPRIM_400000_NS6detail17trampoline_kernelINS0_14default_configENS1_20scan_config_selectorIfEEZZNS1_9scan_implILNS1_25lookback_scan_determinismE0ELb0ELb0ES3_N6thrust23THRUST_200600_302600_NS6detail15normal_iteratorINS9_10device_ptrIfEEEESE_fNS9_4plusIiEEfEEDaPvRmT3_T4_T5_mT6_P12ihipStream_tbENKUlT_T0_E_clISt17integral_constantIbLb0EESU_EEDaSP_SQ_EUlSP_E0_NS1_11comp_targetILNS1_3genE0ELNS1_11target_archE4294967295ELNS1_3gpuE0ELNS1_3repE0EEENS1_30default_config_static_selectorELNS0_4arch9wavefront6targetE1EEEvT1_
		.amdhsa_group_segment_fixed_size 0
		.amdhsa_private_segment_fixed_size 0
		.amdhsa_kernarg_size 32
		.amdhsa_user_sgpr_count 6
		.amdhsa_user_sgpr_private_segment_buffer 1
		.amdhsa_user_sgpr_dispatch_ptr 0
		.amdhsa_user_sgpr_queue_ptr 0
		.amdhsa_user_sgpr_kernarg_segment_ptr 1
		.amdhsa_user_sgpr_dispatch_id 0
		.amdhsa_user_sgpr_flat_scratch_init 0
		.amdhsa_user_sgpr_kernarg_preload_length 0
		.amdhsa_user_sgpr_kernarg_preload_offset 0
		.amdhsa_user_sgpr_private_segment_size 0
		.amdhsa_uses_dynamic_stack 0
		.amdhsa_system_sgpr_private_segment_wavefront_offset 0
		.amdhsa_system_sgpr_workgroup_id_x 1
		.amdhsa_system_sgpr_workgroup_id_y 0
		.amdhsa_system_sgpr_workgroup_id_z 0
		.amdhsa_system_sgpr_workgroup_info 0
		.amdhsa_system_vgpr_workitem_id 0
		.amdhsa_next_free_vgpr 1
		.amdhsa_next_free_sgpr 0
		.amdhsa_accum_offset 4
		.amdhsa_reserve_vcc 0
		.amdhsa_reserve_flat_scratch 0
		.amdhsa_float_round_mode_32 0
		.amdhsa_float_round_mode_16_64 0
		.amdhsa_float_denorm_mode_32 3
		.amdhsa_float_denorm_mode_16_64 3
		.amdhsa_dx10_clamp 1
		.amdhsa_ieee_mode 1
		.amdhsa_fp16_overflow 0
		.amdhsa_tg_split 0
		.amdhsa_exception_fp_ieee_invalid_op 0
		.amdhsa_exception_fp_denorm_src 0
		.amdhsa_exception_fp_ieee_div_zero 0
		.amdhsa_exception_fp_ieee_overflow 0
		.amdhsa_exception_fp_ieee_underflow 0
		.amdhsa_exception_fp_ieee_inexact 0
		.amdhsa_exception_int_div_zero 0
	.end_amdhsa_kernel
	.section	.text._ZN7rocprim17ROCPRIM_400000_NS6detail17trampoline_kernelINS0_14default_configENS1_20scan_config_selectorIfEEZZNS1_9scan_implILNS1_25lookback_scan_determinismE0ELb0ELb0ES3_N6thrust23THRUST_200600_302600_NS6detail15normal_iteratorINS9_10device_ptrIfEEEESE_fNS9_4plusIiEEfEEDaPvRmT3_T4_T5_mT6_P12ihipStream_tbENKUlT_T0_E_clISt17integral_constantIbLb0EESU_EEDaSP_SQ_EUlSP_E0_NS1_11comp_targetILNS1_3genE0ELNS1_11target_archE4294967295ELNS1_3gpuE0ELNS1_3repE0EEENS1_30default_config_static_selectorELNS0_4arch9wavefront6targetE1EEEvT1_,"axG",@progbits,_ZN7rocprim17ROCPRIM_400000_NS6detail17trampoline_kernelINS0_14default_configENS1_20scan_config_selectorIfEEZZNS1_9scan_implILNS1_25lookback_scan_determinismE0ELb0ELb0ES3_N6thrust23THRUST_200600_302600_NS6detail15normal_iteratorINS9_10device_ptrIfEEEESE_fNS9_4plusIiEEfEEDaPvRmT3_T4_T5_mT6_P12ihipStream_tbENKUlT_T0_E_clISt17integral_constantIbLb0EESU_EEDaSP_SQ_EUlSP_E0_NS1_11comp_targetILNS1_3genE0ELNS1_11target_archE4294967295ELNS1_3gpuE0ELNS1_3repE0EEENS1_30default_config_static_selectorELNS0_4arch9wavefront6targetE1EEEvT1_,comdat
.Lfunc_end1506:
	.size	_ZN7rocprim17ROCPRIM_400000_NS6detail17trampoline_kernelINS0_14default_configENS1_20scan_config_selectorIfEEZZNS1_9scan_implILNS1_25lookback_scan_determinismE0ELb0ELb0ES3_N6thrust23THRUST_200600_302600_NS6detail15normal_iteratorINS9_10device_ptrIfEEEESE_fNS9_4plusIiEEfEEDaPvRmT3_T4_T5_mT6_P12ihipStream_tbENKUlT_T0_E_clISt17integral_constantIbLb0EESU_EEDaSP_SQ_EUlSP_E0_NS1_11comp_targetILNS1_3genE0ELNS1_11target_archE4294967295ELNS1_3gpuE0ELNS1_3repE0EEENS1_30default_config_static_selectorELNS0_4arch9wavefront6targetE1EEEvT1_, .Lfunc_end1506-_ZN7rocprim17ROCPRIM_400000_NS6detail17trampoline_kernelINS0_14default_configENS1_20scan_config_selectorIfEEZZNS1_9scan_implILNS1_25lookback_scan_determinismE0ELb0ELb0ES3_N6thrust23THRUST_200600_302600_NS6detail15normal_iteratorINS9_10device_ptrIfEEEESE_fNS9_4plusIiEEfEEDaPvRmT3_T4_T5_mT6_P12ihipStream_tbENKUlT_T0_E_clISt17integral_constantIbLb0EESU_EEDaSP_SQ_EUlSP_E0_NS1_11comp_targetILNS1_3genE0ELNS1_11target_archE4294967295ELNS1_3gpuE0ELNS1_3repE0EEENS1_30default_config_static_selectorELNS0_4arch9wavefront6targetE1EEEvT1_
                                        ; -- End function
	.section	.AMDGPU.csdata,"",@progbits
; Kernel info:
; codeLenInByte = 0
; NumSgprs: 4
; NumVgprs: 0
; NumAgprs: 0
; TotalNumVgprs: 0
; ScratchSize: 0
; MemoryBound: 0
; FloatMode: 240
; IeeeMode: 1
; LDSByteSize: 0 bytes/workgroup (compile time only)
; SGPRBlocks: 0
; VGPRBlocks: 0
; NumSGPRsForWavesPerEU: 4
; NumVGPRsForWavesPerEU: 1
; AccumOffset: 4
; Occupancy: 8
; WaveLimiterHint : 0
; COMPUTE_PGM_RSRC2:SCRATCH_EN: 0
; COMPUTE_PGM_RSRC2:USER_SGPR: 6
; COMPUTE_PGM_RSRC2:TRAP_HANDLER: 0
; COMPUTE_PGM_RSRC2:TGID_X_EN: 1
; COMPUTE_PGM_RSRC2:TGID_Y_EN: 0
; COMPUTE_PGM_RSRC2:TGID_Z_EN: 0
; COMPUTE_PGM_RSRC2:TIDIG_COMP_CNT: 0
; COMPUTE_PGM_RSRC3_GFX90A:ACCUM_OFFSET: 0
; COMPUTE_PGM_RSRC3_GFX90A:TG_SPLIT: 0
	.section	.text._ZN7rocprim17ROCPRIM_400000_NS6detail17trampoline_kernelINS0_14default_configENS1_20scan_config_selectorIfEEZZNS1_9scan_implILNS1_25lookback_scan_determinismE0ELb0ELb0ES3_N6thrust23THRUST_200600_302600_NS6detail15normal_iteratorINS9_10device_ptrIfEEEESE_fNS9_4plusIiEEfEEDaPvRmT3_T4_T5_mT6_P12ihipStream_tbENKUlT_T0_E_clISt17integral_constantIbLb0EESU_EEDaSP_SQ_EUlSP_E0_NS1_11comp_targetILNS1_3genE5ELNS1_11target_archE942ELNS1_3gpuE9ELNS1_3repE0EEENS1_30default_config_static_selectorELNS0_4arch9wavefront6targetE1EEEvT1_,"axG",@progbits,_ZN7rocprim17ROCPRIM_400000_NS6detail17trampoline_kernelINS0_14default_configENS1_20scan_config_selectorIfEEZZNS1_9scan_implILNS1_25lookback_scan_determinismE0ELb0ELb0ES3_N6thrust23THRUST_200600_302600_NS6detail15normal_iteratorINS9_10device_ptrIfEEEESE_fNS9_4plusIiEEfEEDaPvRmT3_T4_T5_mT6_P12ihipStream_tbENKUlT_T0_E_clISt17integral_constantIbLb0EESU_EEDaSP_SQ_EUlSP_E0_NS1_11comp_targetILNS1_3genE5ELNS1_11target_archE942ELNS1_3gpuE9ELNS1_3repE0EEENS1_30default_config_static_selectorELNS0_4arch9wavefront6targetE1EEEvT1_,comdat
	.protected	_ZN7rocprim17ROCPRIM_400000_NS6detail17trampoline_kernelINS0_14default_configENS1_20scan_config_selectorIfEEZZNS1_9scan_implILNS1_25lookback_scan_determinismE0ELb0ELb0ES3_N6thrust23THRUST_200600_302600_NS6detail15normal_iteratorINS9_10device_ptrIfEEEESE_fNS9_4plusIiEEfEEDaPvRmT3_T4_T5_mT6_P12ihipStream_tbENKUlT_T0_E_clISt17integral_constantIbLb0EESU_EEDaSP_SQ_EUlSP_E0_NS1_11comp_targetILNS1_3genE5ELNS1_11target_archE942ELNS1_3gpuE9ELNS1_3repE0EEENS1_30default_config_static_selectorELNS0_4arch9wavefront6targetE1EEEvT1_ ; -- Begin function _ZN7rocprim17ROCPRIM_400000_NS6detail17trampoline_kernelINS0_14default_configENS1_20scan_config_selectorIfEEZZNS1_9scan_implILNS1_25lookback_scan_determinismE0ELb0ELb0ES3_N6thrust23THRUST_200600_302600_NS6detail15normal_iteratorINS9_10device_ptrIfEEEESE_fNS9_4plusIiEEfEEDaPvRmT3_T4_T5_mT6_P12ihipStream_tbENKUlT_T0_E_clISt17integral_constantIbLb0EESU_EEDaSP_SQ_EUlSP_E0_NS1_11comp_targetILNS1_3genE5ELNS1_11target_archE942ELNS1_3gpuE9ELNS1_3repE0EEENS1_30default_config_static_selectorELNS0_4arch9wavefront6targetE1EEEvT1_
	.globl	_ZN7rocprim17ROCPRIM_400000_NS6detail17trampoline_kernelINS0_14default_configENS1_20scan_config_selectorIfEEZZNS1_9scan_implILNS1_25lookback_scan_determinismE0ELb0ELb0ES3_N6thrust23THRUST_200600_302600_NS6detail15normal_iteratorINS9_10device_ptrIfEEEESE_fNS9_4plusIiEEfEEDaPvRmT3_T4_T5_mT6_P12ihipStream_tbENKUlT_T0_E_clISt17integral_constantIbLb0EESU_EEDaSP_SQ_EUlSP_E0_NS1_11comp_targetILNS1_3genE5ELNS1_11target_archE942ELNS1_3gpuE9ELNS1_3repE0EEENS1_30default_config_static_selectorELNS0_4arch9wavefront6targetE1EEEvT1_
	.p2align	8
	.type	_ZN7rocprim17ROCPRIM_400000_NS6detail17trampoline_kernelINS0_14default_configENS1_20scan_config_selectorIfEEZZNS1_9scan_implILNS1_25lookback_scan_determinismE0ELb0ELb0ES3_N6thrust23THRUST_200600_302600_NS6detail15normal_iteratorINS9_10device_ptrIfEEEESE_fNS9_4plusIiEEfEEDaPvRmT3_T4_T5_mT6_P12ihipStream_tbENKUlT_T0_E_clISt17integral_constantIbLb0EESU_EEDaSP_SQ_EUlSP_E0_NS1_11comp_targetILNS1_3genE5ELNS1_11target_archE942ELNS1_3gpuE9ELNS1_3repE0EEENS1_30default_config_static_selectorELNS0_4arch9wavefront6targetE1EEEvT1_,@function
_ZN7rocprim17ROCPRIM_400000_NS6detail17trampoline_kernelINS0_14default_configENS1_20scan_config_selectorIfEEZZNS1_9scan_implILNS1_25lookback_scan_determinismE0ELb0ELb0ES3_N6thrust23THRUST_200600_302600_NS6detail15normal_iteratorINS9_10device_ptrIfEEEESE_fNS9_4plusIiEEfEEDaPvRmT3_T4_T5_mT6_P12ihipStream_tbENKUlT_T0_E_clISt17integral_constantIbLb0EESU_EEDaSP_SQ_EUlSP_E0_NS1_11comp_targetILNS1_3genE5ELNS1_11target_archE942ELNS1_3gpuE9ELNS1_3repE0EEENS1_30default_config_static_selectorELNS0_4arch9wavefront6targetE1EEEvT1_: ; @_ZN7rocprim17ROCPRIM_400000_NS6detail17trampoline_kernelINS0_14default_configENS1_20scan_config_selectorIfEEZZNS1_9scan_implILNS1_25lookback_scan_determinismE0ELb0ELb0ES3_N6thrust23THRUST_200600_302600_NS6detail15normal_iteratorINS9_10device_ptrIfEEEESE_fNS9_4plusIiEEfEEDaPvRmT3_T4_T5_mT6_P12ihipStream_tbENKUlT_T0_E_clISt17integral_constantIbLb0EESU_EEDaSP_SQ_EUlSP_E0_NS1_11comp_targetILNS1_3genE5ELNS1_11target_archE942ELNS1_3gpuE9ELNS1_3repE0EEENS1_30default_config_static_selectorELNS0_4arch9wavefront6targetE1EEEvT1_
; %bb.0:
	.section	.rodata,"a",@progbits
	.p2align	6, 0x0
	.amdhsa_kernel _ZN7rocprim17ROCPRIM_400000_NS6detail17trampoline_kernelINS0_14default_configENS1_20scan_config_selectorIfEEZZNS1_9scan_implILNS1_25lookback_scan_determinismE0ELb0ELb0ES3_N6thrust23THRUST_200600_302600_NS6detail15normal_iteratorINS9_10device_ptrIfEEEESE_fNS9_4plusIiEEfEEDaPvRmT3_T4_T5_mT6_P12ihipStream_tbENKUlT_T0_E_clISt17integral_constantIbLb0EESU_EEDaSP_SQ_EUlSP_E0_NS1_11comp_targetILNS1_3genE5ELNS1_11target_archE942ELNS1_3gpuE9ELNS1_3repE0EEENS1_30default_config_static_selectorELNS0_4arch9wavefront6targetE1EEEvT1_
		.amdhsa_group_segment_fixed_size 0
		.amdhsa_private_segment_fixed_size 0
		.amdhsa_kernarg_size 32
		.amdhsa_user_sgpr_count 6
		.amdhsa_user_sgpr_private_segment_buffer 1
		.amdhsa_user_sgpr_dispatch_ptr 0
		.amdhsa_user_sgpr_queue_ptr 0
		.amdhsa_user_sgpr_kernarg_segment_ptr 1
		.amdhsa_user_sgpr_dispatch_id 0
		.amdhsa_user_sgpr_flat_scratch_init 0
		.amdhsa_user_sgpr_kernarg_preload_length 0
		.amdhsa_user_sgpr_kernarg_preload_offset 0
		.amdhsa_user_sgpr_private_segment_size 0
		.amdhsa_uses_dynamic_stack 0
		.amdhsa_system_sgpr_private_segment_wavefront_offset 0
		.amdhsa_system_sgpr_workgroup_id_x 1
		.amdhsa_system_sgpr_workgroup_id_y 0
		.amdhsa_system_sgpr_workgroup_id_z 0
		.amdhsa_system_sgpr_workgroup_info 0
		.amdhsa_system_vgpr_workitem_id 0
		.amdhsa_next_free_vgpr 1
		.amdhsa_next_free_sgpr 0
		.amdhsa_accum_offset 4
		.amdhsa_reserve_vcc 0
		.amdhsa_reserve_flat_scratch 0
		.amdhsa_float_round_mode_32 0
		.amdhsa_float_round_mode_16_64 0
		.amdhsa_float_denorm_mode_32 3
		.amdhsa_float_denorm_mode_16_64 3
		.amdhsa_dx10_clamp 1
		.amdhsa_ieee_mode 1
		.amdhsa_fp16_overflow 0
		.amdhsa_tg_split 0
		.amdhsa_exception_fp_ieee_invalid_op 0
		.amdhsa_exception_fp_denorm_src 0
		.amdhsa_exception_fp_ieee_div_zero 0
		.amdhsa_exception_fp_ieee_overflow 0
		.amdhsa_exception_fp_ieee_underflow 0
		.amdhsa_exception_fp_ieee_inexact 0
		.amdhsa_exception_int_div_zero 0
	.end_amdhsa_kernel
	.section	.text._ZN7rocprim17ROCPRIM_400000_NS6detail17trampoline_kernelINS0_14default_configENS1_20scan_config_selectorIfEEZZNS1_9scan_implILNS1_25lookback_scan_determinismE0ELb0ELb0ES3_N6thrust23THRUST_200600_302600_NS6detail15normal_iteratorINS9_10device_ptrIfEEEESE_fNS9_4plusIiEEfEEDaPvRmT3_T4_T5_mT6_P12ihipStream_tbENKUlT_T0_E_clISt17integral_constantIbLb0EESU_EEDaSP_SQ_EUlSP_E0_NS1_11comp_targetILNS1_3genE5ELNS1_11target_archE942ELNS1_3gpuE9ELNS1_3repE0EEENS1_30default_config_static_selectorELNS0_4arch9wavefront6targetE1EEEvT1_,"axG",@progbits,_ZN7rocprim17ROCPRIM_400000_NS6detail17trampoline_kernelINS0_14default_configENS1_20scan_config_selectorIfEEZZNS1_9scan_implILNS1_25lookback_scan_determinismE0ELb0ELb0ES3_N6thrust23THRUST_200600_302600_NS6detail15normal_iteratorINS9_10device_ptrIfEEEESE_fNS9_4plusIiEEfEEDaPvRmT3_T4_T5_mT6_P12ihipStream_tbENKUlT_T0_E_clISt17integral_constantIbLb0EESU_EEDaSP_SQ_EUlSP_E0_NS1_11comp_targetILNS1_3genE5ELNS1_11target_archE942ELNS1_3gpuE9ELNS1_3repE0EEENS1_30default_config_static_selectorELNS0_4arch9wavefront6targetE1EEEvT1_,comdat
.Lfunc_end1507:
	.size	_ZN7rocprim17ROCPRIM_400000_NS6detail17trampoline_kernelINS0_14default_configENS1_20scan_config_selectorIfEEZZNS1_9scan_implILNS1_25lookback_scan_determinismE0ELb0ELb0ES3_N6thrust23THRUST_200600_302600_NS6detail15normal_iteratorINS9_10device_ptrIfEEEESE_fNS9_4plusIiEEfEEDaPvRmT3_T4_T5_mT6_P12ihipStream_tbENKUlT_T0_E_clISt17integral_constantIbLb0EESU_EEDaSP_SQ_EUlSP_E0_NS1_11comp_targetILNS1_3genE5ELNS1_11target_archE942ELNS1_3gpuE9ELNS1_3repE0EEENS1_30default_config_static_selectorELNS0_4arch9wavefront6targetE1EEEvT1_, .Lfunc_end1507-_ZN7rocprim17ROCPRIM_400000_NS6detail17trampoline_kernelINS0_14default_configENS1_20scan_config_selectorIfEEZZNS1_9scan_implILNS1_25lookback_scan_determinismE0ELb0ELb0ES3_N6thrust23THRUST_200600_302600_NS6detail15normal_iteratorINS9_10device_ptrIfEEEESE_fNS9_4plusIiEEfEEDaPvRmT3_T4_T5_mT6_P12ihipStream_tbENKUlT_T0_E_clISt17integral_constantIbLb0EESU_EEDaSP_SQ_EUlSP_E0_NS1_11comp_targetILNS1_3genE5ELNS1_11target_archE942ELNS1_3gpuE9ELNS1_3repE0EEENS1_30default_config_static_selectorELNS0_4arch9wavefront6targetE1EEEvT1_
                                        ; -- End function
	.section	.AMDGPU.csdata,"",@progbits
; Kernel info:
; codeLenInByte = 0
; NumSgprs: 4
; NumVgprs: 0
; NumAgprs: 0
; TotalNumVgprs: 0
; ScratchSize: 0
; MemoryBound: 0
; FloatMode: 240
; IeeeMode: 1
; LDSByteSize: 0 bytes/workgroup (compile time only)
; SGPRBlocks: 0
; VGPRBlocks: 0
; NumSGPRsForWavesPerEU: 4
; NumVGPRsForWavesPerEU: 1
; AccumOffset: 4
; Occupancy: 8
; WaveLimiterHint : 0
; COMPUTE_PGM_RSRC2:SCRATCH_EN: 0
; COMPUTE_PGM_RSRC2:USER_SGPR: 6
; COMPUTE_PGM_RSRC2:TRAP_HANDLER: 0
; COMPUTE_PGM_RSRC2:TGID_X_EN: 1
; COMPUTE_PGM_RSRC2:TGID_Y_EN: 0
; COMPUTE_PGM_RSRC2:TGID_Z_EN: 0
; COMPUTE_PGM_RSRC2:TIDIG_COMP_CNT: 0
; COMPUTE_PGM_RSRC3_GFX90A:ACCUM_OFFSET: 0
; COMPUTE_PGM_RSRC3_GFX90A:TG_SPLIT: 0
	.section	.text._ZN7rocprim17ROCPRIM_400000_NS6detail17trampoline_kernelINS0_14default_configENS1_20scan_config_selectorIfEEZZNS1_9scan_implILNS1_25lookback_scan_determinismE0ELb0ELb0ES3_N6thrust23THRUST_200600_302600_NS6detail15normal_iteratorINS9_10device_ptrIfEEEESE_fNS9_4plusIiEEfEEDaPvRmT3_T4_T5_mT6_P12ihipStream_tbENKUlT_T0_E_clISt17integral_constantIbLb0EESU_EEDaSP_SQ_EUlSP_E0_NS1_11comp_targetILNS1_3genE4ELNS1_11target_archE910ELNS1_3gpuE8ELNS1_3repE0EEENS1_30default_config_static_selectorELNS0_4arch9wavefront6targetE1EEEvT1_,"axG",@progbits,_ZN7rocprim17ROCPRIM_400000_NS6detail17trampoline_kernelINS0_14default_configENS1_20scan_config_selectorIfEEZZNS1_9scan_implILNS1_25lookback_scan_determinismE0ELb0ELb0ES3_N6thrust23THRUST_200600_302600_NS6detail15normal_iteratorINS9_10device_ptrIfEEEESE_fNS9_4plusIiEEfEEDaPvRmT3_T4_T5_mT6_P12ihipStream_tbENKUlT_T0_E_clISt17integral_constantIbLb0EESU_EEDaSP_SQ_EUlSP_E0_NS1_11comp_targetILNS1_3genE4ELNS1_11target_archE910ELNS1_3gpuE8ELNS1_3repE0EEENS1_30default_config_static_selectorELNS0_4arch9wavefront6targetE1EEEvT1_,comdat
	.protected	_ZN7rocprim17ROCPRIM_400000_NS6detail17trampoline_kernelINS0_14default_configENS1_20scan_config_selectorIfEEZZNS1_9scan_implILNS1_25lookback_scan_determinismE0ELb0ELb0ES3_N6thrust23THRUST_200600_302600_NS6detail15normal_iteratorINS9_10device_ptrIfEEEESE_fNS9_4plusIiEEfEEDaPvRmT3_T4_T5_mT6_P12ihipStream_tbENKUlT_T0_E_clISt17integral_constantIbLb0EESU_EEDaSP_SQ_EUlSP_E0_NS1_11comp_targetILNS1_3genE4ELNS1_11target_archE910ELNS1_3gpuE8ELNS1_3repE0EEENS1_30default_config_static_selectorELNS0_4arch9wavefront6targetE1EEEvT1_ ; -- Begin function _ZN7rocprim17ROCPRIM_400000_NS6detail17trampoline_kernelINS0_14default_configENS1_20scan_config_selectorIfEEZZNS1_9scan_implILNS1_25lookback_scan_determinismE0ELb0ELb0ES3_N6thrust23THRUST_200600_302600_NS6detail15normal_iteratorINS9_10device_ptrIfEEEESE_fNS9_4plusIiEEfEEDaPvRmT3_T4_T5_mT6_P12ihipStream_tbENKUlT_T0_E_clISt17integral_constantIbLb0EESU_EEDaSP_SQ_EUlSP_E0_NS1_11comp_targetILNS1_3genE4ELNS1_11target_archE910ELNS1_3gpuE8ELNS1_3repE0EEENS1_30default_config_static_selectorELNS0_4arch9wavefront6targetE1EEEvT1_
	.globl	_ZN7rocprim17ROCPRIM_400000_NS6detail17trampoline_kernelINS0_14default_configENS1_20scan_config_selectorIfEEZZNS1_9scan_implILNS1_25lookback_scan_determinismE0ELb0ELb0ES3_N6thrust23THRUST_200600_302600_NS6detail15normal_iteratorINS9_10device_ptrIfEEEESE_fNS9_4plusIiEEfEEDaPvRmT3_T4_T5_mT6_P12ihipStream_tbENKUlT_T0_E_clISt17integral_constantIbLb0EESU_EEDaSP_SQ_EUlSP_E0_NS1_11comp_targetILNS1_3genE4ELNS1_11target_archE910ELNS1_3gpuE8ELNS1_3repE0EEENS1_30default_config_static_selectorELNS0_4arch9wavefront6targetE1EEEvT1_
	.p2align	8
	.type	_ZN7rocprim17ROCPRIM_400000_NS6detail17trampoline_kernelINS0_14default_configENS1_20scan_config_selectorIfEEZZNS1_9scan_implILNS1_25lookback_scan_determinismE0ELb0ELb0ES3_N6thrust23THRUST_200600_302600_NS6detail15normal_iteratorINS9_10device_ptrIfEEEESE_fNS9_4plusIiEEfEEDaPvRmT3_T4_T5_mT6_P12ihipStream_tbENKUlT_T0_E_clISt17integral_constantIbLb0EESU_EEDaSP_SQ_EUlSP_E0_NS1_11comp_targetILNS1_3genE4ELNS1_11target_archE910ELNS1_3gpuE8ELNS1_3repE0EEENS1_30default_config_static_selectorELNS0_4arch9wavefront6targetE1EEEvT1_,@function
_ZN7rocprim17ROCPRIM_400000_NS6detail17trampoline_kernelINS0_14default_configENS1_20scan_config_selectorIfEEZZNS1_9scan_implILNS1_25lookback_scan_determinismE0ELb0ELb0ES3_N6thrust23THRUST_200600_302600_NS6detail15normal_iteratorINS9_10device_ptrIfEEEESE_fNS9_4plusIiEEfEEDaPvRmT3_T4_T5_mT6_P12ihipStream_tbENKUlT_T0_E_clISt17integral_constantIbLb0EESU_EEDaSP_SQ_EUlSP_E0_NS1_11comp_targetILNS1_3genE4ELNS1_11target_archE910ELNS1_3gpuE8ELNS1_3repE0EEENS1_30default_config_static_selectorELNS0_4arch9wavefront6targetE1EEEvT1_: ; @_ZN7rocprim17ROCPRIM_400000_NS6detail17trampoline_kernelINS0_14default_configENS1_20scan_config_selectorIfEEZZNS1_9scan_implILNS1_25lookback_scan_determinismE0ELb0ELb0ES3_N6thrust23THRUST_200600_302600_NS6detail15normal_iteratorINS9_10device_ptrIfEEEESE_fNS9_4plusIiEEfEEDaPvRmT3_T4_T5_mT6_P12ihipStream_tbENKUlT_T0_E_clISt17integral_constantIbLb0EESU_EEDaSP_SQ_EUlSP_E0_NS1_11comp_targetILNS1_3genE4ELNS1_11target_archE910ELNS1_3gpuE8ELNS1_3repE0EEENS1_30default_config_static_selectorELNS0_4arch9wavefront6targetE1EEEvT1_
; %bb.0:
	s_load_dwordx4 s[28:31], s[4:5], 0x0
	v_lshlrev_b32_e32 v16, 2, v0
	s_waitcnt lgkmcnt(0)
	s_load_dword s31, s[28:29], 0x0
	v_cmp_gt_u32_e32 vcc, s30, v0
	s_waitcnt lgkmcnt(0)
	v_mov_b32_e32 v1, s31
	s_and_saveexec_b64 s[0:1], vcc
	s_cbranch_execz .LBB1508_2
; %bb.1:
	global_load_dword v1, v16, s[28:29]
.LBB1508_2:
	s_or_b64 exec, exec, s[0:1]
	v_or_b32_e32 v2, 0x80, v0
	v_cmp_gt_u32_e64 s[0:1], s30, v2
	v_mov_b32_e32 v2, s31
	s_and_saveexec_b64 s[2:3], s[0:1]
	s_cbranch_execz .LBB1508_4
; %bb.3:
	global_load_dword v2, v16, s[28:29] offset:512
.LBB1508_4:
	s_or_b64 exec, exec, s[2:3]
	v_or_b32_e32 v3, 0x100, v0
	v_cmp_gt_u32_e64 s[2:3], s30, v3
	v_mov_b32_e32 v3, s31
	s_and_saveexec_b64 s[6:7], s[2:3]
	s_cbranch_execz .LBB1508_6
; %bb.5:
	global_load_dword v3, v16, s[28:29] offset:1024
.LBB1508_6:
	;; [unrolled: 9-line block ×7, first 2 shown]
	s_or_b64 exec, exec, s[14:15]
	v_or_b32_e32 v10, 0x400, v0
	v_cmp_gt_u32_e64 s[14:15], s30, v10
	v_mov_b32_e32 v9, s31
	s_and_saveexec_b64 s[16:17], s[14:15]
	s_cbranch_execz .LBB1508_18
; %bb.17:
	v_lshlrev_b32_e32 v9, 2, v10
	global_load_dword v9, v9, s[28:29]
.LBB1508_18:
	s_or_b64 exec, exec, s[16:17]
	v_or_b32_e32 v11, 0x480, v0
	v_cmp_gt_u32_e64 s[16:17], s30, v11
	v_mov_b32_e32 v10, s31
	s_and_saveexec_b64 s[18:19], s[16:17]
	s_cbranch_execz .LBB1508_20
; %bb.19:
	v_lshlrev_b32_e32 v10, 2, v11
	global_load_dword v10, v10, s[28:29]
.LBB1508_20:
	;; [unrolled: 10-line block ×6, first 2 shown]
	s_or_b64 exec, exec, s[30:31]
	s_waitcnt vmcnt(0)
	ds_write2st64_b32 v16, v1, v2 offset1:2
	ds_write2st64_b32 v16, v3, v4 offset0:4 offset1:6
	ds_write2st64_b32 v16, v5, v6 offset0:8 offset1:10
	;; [unrolled: 1-line block ×6, first 2 shown]
	v_mad_u32_u24 v14, v0, 52, v16
	s_waitcnt lgkmcnt(0)
	s_barrier
	ds_read2_b64 v[2:5], v14 offset1:1
	ds_read2_b64 v[6:9], v14 offset0:2 offset1:3
	ds_read2_b64 v[10:13], v14 offset0:4 offset1:5
	ds_read_b64 v[14:15], v14 offset:48
	s_load_dwordx2 s[28:29], s[4:5], 0x18
	s_waitcnt lgkmcnt(0)
	v_cvt_i32_f32_e32 v18, v2
	v_cvt_i32_f32_e32 v1, v3
	;; [unrolled: 1-line block ×5, first 2 shown]
	v_add_u32_e32 v3, v1, v18
	v_cvt_f32_i32_e32 v3, v3
	v_cvt_i32_f32_e32 v21, v7
	v_cvt_i32_f32_e32 v22, v8
	;; [unrolled: 1-line block ×7, first 2 shown]
	v_add_u32_e32 v4, v4, v17
	v_cvt_f32_i32_e32 v4, v4
	v_cvt_i32_f32_e32 v27, v13
	v_cvt_i32_f32_e32 v28, v14
	;; [unrolled: 1-line block ×4, first 2 shown]
	v_lshrrev_b32_e32 v30, 3, v0
	v_and_b32_e32 v30, 12, v30
	v_add_u32_e32 v30, v16, v30
	v_add_u32_e32 v5, v5, v19
	v_cvt_f32_i32_e32 v5, v5
	v_cmp_gt_u32_e64 s[4:5], 64, v0
	s_barrier
	v_cvt_i32_f32_e32 v6, v5
	v_add_u32_e32 v6, v6, v20
	v_cvt_f32_i32_e32 v6, v6
	v_cvt_i32_f32_e32 v7, v6
	v_add_u32_e32 v7, v7, v21
	v_cvt_f32_i32_e32 v7, v7
	;; [unrolled: 3-line block ×10, first 2 shown]
	ds_write_b32 v30, v15
	s_waitcnt lgkmcnt(0)
	s_barrier
	s_and_saveexec_b64 s[30:31], s[4:5]
	s_cbranch_execz .LBB1508_32
; %bb.29:
	v_lshlrev_b32_e32 v30, 1, v0
	v_lshrrev_b32_e32 v31, 4, v0
	v_add_lshl_u32 v30, v31, v30, 2
	ds_read2_b32 v[32:33], v30 offset1:1
	v_mbcnt_lo_u32_b32 v35, -1, 0
	s_waitcnt lgkmcnt(0)
	v_cvt_i32_f32_e32 v31, v32
	v_cvt_i32_f32_e32 v32, v33
	v_add_u32_e32 v32, v32, v31
	v_cvt_f32_i32_e32 v32, v32
	v_cvt_i32_f32_e32 v34, v32
	s_nop 0
	v_mov_b32_dpp v33, v32 row_shr:1 row_mask:0xf bank_mask:0xf
	v_cvt_i32_f32_e32 v33, v33
	v_add_u32_e32 v33, v33, v34
	v_cvt_f32_i32_e32 v34, v33
	v_mbcnt_hi_u32_b32 v33, -1, v35
	v_and_b32_e32 v35, 15, v33
	v_cmp_eq_u32_e64 s[4:5], 0, v35
	v_cndmask_b32_e64 v34, v34, v32, s[4:5]
	v_cvt_i32_f32_e32 v37, v34
	v_cmp_lt_u32_e64 s[4:5], 1, v35
	v_mov_b32_dpp v36, v34 row_shr:2 row_mask:0xf bank_mask:0xf
	v_cvt_i32_f32_e32 v36, v36
	v_add_u32_e32 v36, v37, v36
	v_cvt_f32_i32_e32 v36, v36
	v_cndmask_b32_e64 v34, v34, v36, s[4:5]
	s_nop 1
	v_mov_b32_dpp v36, v34 row_shr:4 row_mask:0xf bank_mask:0xf
	v_cvt_i32_f32_e32 v37, v34
	v_cvt_i32_f32_e32 v36, v36
	v_cmp_lt_u32_e64 s[4:5], 3, v35
	v_add_u32_e32 v36, v37, v36
	v_cvt_f32_i32_e32 v36, v36
	v_cndmask_b32_e64 v34, v34, v36, s[4:5]
	s_nop 1
	v_mov_b32_dpp v36, v34 row_shr:8 row_mask:0xf bank_mask:0xf
	v_cvt_i32_f32_e32 v37, v34
	v_cvt_i32_f32_e32 v36, v36
	v_cmp_lt_u32_e64 s[4:5], 7, v35
	v_add_u32_e32 v36, v37, v36
	v_cvt_f32_i32_e32 v36, v36
	v_cndmask_b32_e64 v34, v34, v36, s[4:5]
	s_nop 1
	v_mov_b32_dpp v35, v34 row_bcast:15 row_mask:0xf bank_mask:0xf
	v_cvt_i32_f32_e32 v36, v34
	v_cvt_i32_f32_e32 v35, v35
	v_add_u32_e32 v35, v36, v35
	v_cvt_f32_i32_e32 v35, v35
	v_and_b32_e32 v36, 16, v33
	v_cmp_eq_u32_e64 s[4:5], 0, v36
	v_cndmask_b32_e64 v34, v35, v34, s[4:5]
	v_cmp_ne_u32_e64 s[4:5], 0, v33
	s_nop 0
	v_mov_b32_dpp v35, v34 row_bcast:31 row_mask:0xf bank_mask:0xf
	s_and_saveexec_b64 s[34:35], s[4:5]
; %bb.30:
	v_cvt_i32_f32_e32 v32, v34
	v_cvt_i32_f32_e32 v35, v35
	v_cmp_lt_u32_e64 s[4:5], 31, v33
	v_add_u32_e32 v32, v32, v35
	v_cvt_f32_i32_e32 v32, v32
	v_cndmask_b32_e64 v32, v34, v32, s[4:5]
; %bb.31:
	s_or_b64 exec, exec, s[34:35]
	v_add_u32_e32 v34, -1, v33
	v_and_b32_e32 v35, 64, v33
	v_cmp_lt_i32_e64 s[4:5], v34, v35
	v_cndmask_b32_e64 v33, v34, v33, s[4:5]
	v_lshlrev_b32_e32 v33, 2, v33
	ds_bpermute_b32 v32, v33, v32
	v_cmp_eq_u32_e64 s[4:5], 0, v0
	; wave barrier
	s_waitcnt lgkmcnt(0)
	v_cvt_i32_f32_e32 v32, v32
	v_add_u32_e32 v31, v31, v32
	v_cvt_f32_i32_e32 v31, v31
	v_cndmask_b32_e64 v31, v31, v15, s[4:5]
	ds_write_b32 v30, v31
	; wave barrier
	ds_read_b32 v32, v30 offset:4
	v_cvt_i32_f32_e32 v31, v31
	s_waitcnt lgkmcnt(0)
	v_cvt_i32_f32_e32 v32, v32
	v_add_u32_e32 v31, v32, v31
	v_cvt_f32_i32_e32 v31, v31
	ds_write_b32 v30, v31 offset:4
.LBB1508_32:
	s_or_b64 exec, exec, s[30:31]
	v_mul_u32_u24_e32 v30, 52, v0
	v_cmp_ne_u32_e64 s[4:5], 0, v0
	v_mov_b32_e32 v31, v15
	s_waitcnt lgkmcnt(0)
	s_barrier
	s_and_saveexec_b64 s[30:31], s[4:5]
	s_cbranch_execz .LBB1508_34
; %bb.33:
	v_add_u32_e32 v0, -1, v0
	v_lshrrev_b32_e32 v31, 5, v0
	v_add_lshl_u32 v0, v31, v0, 2
	ds_read_b32 v31, v0
.LBB1508_34:
	s_or_b64 exec, exec, s[30:31]
	s_and_saveexec_b64 s[30:31], s[4:5]
	s_cbranch_execz .LBB1508_36
; %bb.35:
	s_waitcnt lgkmcnt(0)
	v_cvt_i32_f32_e32 v0, v31
	;;#ASMSTART
	;;#ASMEND
	v_add_u32_e32 v0, v0, v18
	v_cvt_f32_i32_e32 v2, v0
	v_cvt_i32_f32_e32 v0, v2
	v_add_u32_e32 v0, v0, v1
	v_cvt_f32_i32_e32 v3, v0
	v_cvt_i32_f32_e32 v0, v3
	;; [unrolled: 3-line block ×13, first 2 shown]
	v_add_u32_e32 v0, v0, v29
	v_cvt_f32_i32_e32 v15, v0
.LBB1508_36:
	s_or_b64 exec, exec, s[30:31]
	v_add_u32_e32 v0, v16, v30
	s_waitcnt lgkmcnt(0)
	s_barrier
	ds_write2_b64 v0, v[2:3], v[4:5] offset1:1
	ds_write2_b64 v0, v[6:7], v[8:9] offset0:2 offset1:3
	ds_write2_b64 v0, v[10:11], v[12:13] offset0:4 offset1:5
	ds_write_b64 v0, v[14:15] offset:48
	s_waitcnt lgkmcnt(0)
	s_barrier
	ds_read2st64_b32 v[12:13], v16 offset0:2 offset1:4
	ds_read2st64_b32 v[10:11], v16 offset0:6 offset1:8
	;; [unrolled: 1-line block ×6, first 2 shown]
	ds_read_b32 v14, v16 offset:6656
	v_mov_b32_e32 v1, s29
	v_add_co_u32_e64 v0, s[4:5], s28, v16
	v_addc_co_u32_e64 v1, s[4:5], 0, v1, s[4:5]
	s_and_saveexec_b64 s[4:5], vcc
	s_cbranch_execnz .LBB1508_51
; %bb.37:
	s_or_b64 exec, exec, s[4:5]
	s_and_saveexec_b64 s[4:5], s[0:1]
	s_cbranch_execnz .LBB1508_52
.LBB1508_38:
	s_or_b64 exec, exec, s[4:5]
	s_and_saveexec_b64 s[0:1], s[2:3]
	s_cbranch_execnz .LBB1508_53
.LBB1508_39:
	s_or_b64 exec, exec, s[0:1]
	s_and_saveexec_b64 s[0:1], s[26:27]
	s_cbranch_execnz .LBB1508_54
.LBB1508_40:
	s_or_b64 exec, exec, s[0:1]
	s_and_saveexec_b64 s[0:1], s[6:7]
	s_cbranch_execnz .LBB1508_55
.LBB1508_41:
	s_or_b64 exec, exec, s[0:1]
	s_and_saveexec_b64 s[0:1], s[8:9]
	s_cbranch_execnz .LBB1508_56
.LBB1508_42:
	s_or_b64 exec, exec, s[0:1]
	s_and_saveexec_b64 s[0:1], s[10:11]
	s_cbranch_execnz .LBB1508_57
.LBB1508_43:
	s_or_b64 exec, exec, s[0:1]
	s_and_saveexec_b64 s[0:1], s[12:13]
	s_cbranch_execnz .LBB1508_58
.LBB1508_44:
	s_or_b64 exec, exec, s[0:1]
	s_and_saveexec_b64 s[0:1], s[14:15]
	s_cbranch_execnz .LBB1508_59
.LBB1508_45:
	s_or_b64 exec, exec, s[0:1]
	s_and_saveexec_b64 s[0:1], s[16:17]
	s_cbranch_execnz .LBB1508_60
.LBB1508_46:
	s_or_b64 exec, exec, s[0:1]
	s_and_saveexec_b64 s[0:1], s[18:19]
	s_cbranch_execnz .LBB1508_61
.LBB1508_47:
	s_or_b64 exec, exec, s[0:1]
	s_and_saveexec_b64 s[0:1], s[20:21]
	s_cbranch_execnz .LBB1508_62
.LBB1508_48:
	s_or_b64 exec, exec, s[0:1]
	s_and_saveexec_b64 s[0:1], s[22:23]
	s_cbranch_execnz .LBB1508_63
.LBB1508_49:
	s_or_b64 exec, exec, s[0:1]
	s_and_saveexec_b64 s[0:1], s[24:25]
	s_cbranch_execnz .LBB1508_64
.LBB1508_50:
	s_endpgm
.LBB1508_51:
	ds_read_b32 v15, v16
	s_waitcnt lgkmcnt(0)
	global_store_dword v[0:1], v15, off
	s_or_b64 exec, exec, s[4:5]
	s_and_saveexec_b64 s[4:5], s[0:1]
	s_cbranch_execz .LBB1508_38
.LBB1508_52:
	s_waitcnt lgkmcnt(6)
	global_store_dword v[0:1], v12, off offset:512
	s_or_b64 exec, exec, s[4:5]
	s_and_saveexec_b64 s[0:1], s[2:3]
	s_cbranch_execz .LBB1508_39
.LBB1508_53:
	s_waitcnt lgkmcnt(6)
	global_store_dword v[0:1], v13, off offset:1024
	s_or_b64 exec, exec, s[0:1]
	s_and_saveexec_b64 s[0:1], s[26:27]
	s_cbranch_execz .LBB1508_40
.LBB1508_54:
	s_waitcnt lgkmcnt(5)
	global_store_dword v[0:1], v10, off offset:1536
	s_or_b64 exec, exec, s[0:1]
	s_and_saveexec_b64 s[0:1], s[6:7]
	s_cbranch_execz .LBB1508_41
.LBB1508_55:
	s_waitcnt lgkmcnt(5)
	global_store_dword v[0:1], v11, off offset:2048
	s_or_b64 exec, exec, s[0:1]
	s_and_saveexec_b64 s[0:1], s[8:9]
	s_cbranch_execz .LBB1508_42
.LBB1508_56:
	s_waitcnt lgkmcnt(4)
	global_store_dword v[0:1], v8, off offset:2560
	s_or_b64 exec, exec, s[0:1]
	s_and_saveexec_b64 s[0:1], s[10:11]
	s_cbranch_execz .LBB1508_43
.LBB1508_57:
	s_waitcnt lgkmcnt(4)
	global_store_dword v[0:1], v9, off offset:3072
	s_or_b64 exec, exec, s[0:1]
	s_and_saveexec_b64 s[0:1], s[12:13]
	s_cbranch_execz .LBB1508_44
.LBB1508_58:
	s_waitcnt lgkmcnt(3)
	global_store_dword v[0:1], v6, off offset:3584
	s_or_b64 exec, exec, s[0:1]
	s_and_saveexec_b64 s[0:1], s[14:15]
	s_cbranch_execz .LBB1508_45
.LBB1508_59:
	s_waitcnt lgkmcnt(4)
	v_add_co_u32_e32 v8, vcc, 0x1000, v0
	v_addc_co_u32_e32 v9, vcc, 0, v1, vcc
	s_waitcnt lgkmcnt(3)
	global_store_dword v[8:9], v7, off
	s_or_b64 exec, exec, s[0:1]
	s_and_saveexec_b64 s[0:1], s[16:17]
	s_cbranch_execz .LBB1508_46
.LBB1508_60:
	s_waitcnt lgkmcnt(3)
	v_add_co_u32_e32 v6, vcc, 0x1000, v0
	v_addc_co_u32_e32 v7, vcc, 0, v1, vcc
	s_waitcnt lgkmcnt(2)
	global_store_dword v[6:7], v4, off offset:512
	s_or_b64 exec, exec, s[0:1]
	s_and_saveexec_b64 s[0:1], s[18:19]
	s_cbranch_execz .LBB1508_47
.LBB1508_61:
	s_waitcnt lgkmcnt(3)
	v_add_co_u32_e32 v6, vcc, 0x1000, v0
	v_addc_co_u32_e32 v7, vcc, 0, v1, vcc
	s_waitcnt lgkmcnt(2)
	global_store_dword v[6:7], v5, off offset:1024
	s_or_b64 exec, exec, s[0:1]
	s_and_saveexec_b64 s[0:1], s[20:21]
	s_cbranch_execz .LBB1508_48
.LBB1508_62:
	s_waitcnt lgkmcnt(2)
	v_add_co_u32_e32 v4, vcc, 0x1000, v0
	v_addc_co_u32_e32 v5, vcc, 0, v1, vcc
	s_waitcnt lgkmcnt(1)
	global_store_dword v[4:5], v2, off offset:1536
	s_or_b64 exec, exec, s[0:1]
	s_and_saveexec_b64 s[0:1], s[22:23]
	s_cbranch_execz .LBB1508_49
.LBB1508_63:
	s_waitcnt lgkmcnt(2)
	v_add_co_u32_e32 v4, vcc, 0x1000, v0
	v_addc_co_u32_e32 v5, vcc, 0, v1, vcc
	s_waitcnt lgkmcnt(1)
	global_store_dword v[4:5], v3, off offset:2048
	s_or_b64 exec, exec, s[0:1]
	s_and_saveexec_b64 s[0:1], s[24:25]
	s_cbranch_execz .LBB1508_50
.LBB1508_64:
	v_add_co_u32_e32 v0, vcc, 0x1000, v0
	v_addc_co_u32_e32 v1, vcc, 0, v1, vcc
	s_waitcnt lgkmcnt(0)
	global_store_dword v[0:1], v14, off offset:2560
	s_endpgm
	.section	.rodata,"a",@progbits
	.p2align	6, 0x0
	.amdhsa_kernel _ZN7rocprim17ROCPRIM_400000_NS6detail17trampoline_kernelINS0_14default_configENS1_20scan_config_selectorIfEEZZNS1_9scan_implILNS1_25lookback_scan_determinismE0ELb0ELb0ES3_N6thrust23THRUST_200600_302600_NS6detail15normal_iteratorINS9_10device_ptrIfEEEESE_fNS9_4plusIiEEfEEDaPvRmT3_T4_T5_mT6_P12ihipStream_tbENKUlT_T0_E_clISt17integral_constantIbLb0EESU_EEDaSP_SQ_EUlSP_E0_NS1_11comp_targetILNS1_3genE4ELNS1_11target_archE910ELNS1_3gpuE8ELNS1_3repE0EEENS1_30default_config_static_selectorELNS0_4arch9wavefront6targetE1EEEvT1_
		.amdhsa_group_segment_fixed_size 7168
		.amdhsa_private_segment_fixed_size 0
		.amdhsa_kernarg_size 32
		.amdhsa_user_sgpr_count 6
		.amdhsa_user_sgpr_private_segment_buffer 1
		.amdhsa_user_sgpr_dispatch_ptr 0
		.amdhsa_user_sgpr_queue_ptr 0
		.amdhsa_user_sgpr_kernarg_segment_ptr 1
		.amdhsa_user_sgpr_dispatch_id 0
		.amdhsa_user_sgpr_flat_scratch_init 0
		.amdhsa_user_sgpr_kernarg_preload_length 0
		.amdhsa_user_sgpr_kernarg_preload_offset 0
		.amdhsa_user_sgpr_private_segment_size 0
		.amdhsa_uses_dynamic_stack 0
		.amdhsa_system_sgpr_private_segment_wavefront_offset 0
		.amdhsa_system_sgpr_workgroup_id_x 1
		.amdhsa_system_sgpr_workgroup_id_y 0
		.amdhsa_system_sgpr_workgroup_id_z 0
		.amdhsa_system_sgpr_workgroup_info 0
		.amdhsa_system_vgpr_workitem_id 0
		.amdhsa_next_free_vgpr 38
		.amdhsa_next_free_sgpr 36
		.amdhsa_accum_offset 40
		.amdhsa_reserve_vcc 1
		.amdhsa_reserve_flat_scratch 0
		.amdhsa_float_round_mode_32 0
		.amdhsa_float_round_mode_16_64 0
		.amdhsa_float_denorm_mode_32 3
		.amdhsa_float_denorm_mode_16_64 3
		.amdhsa_dx10_clamp 1
		.amdhsa_ieee_mode 1
		.amdhsa_fp16_overflow 0
		.amdhsa_tg_split 0
		.amdhsa_exception_fp_ieee_invalid_op 0
		.amdhsa_exception_fp_denorm_src 0
		.amdhsa_exception_fp_ieee_div_zero 0
		.amdhsa_exception_fp_ieee_overflow 0
		.amdhsa_exception_fp_ieee_underflow 0
		.amdhsa_exception_fp_ieee_inexact 0
		.amdhsa_exception_int_div_zero 0
	.end_amdhsa_kernel
	.section	.text._ZN7rocprim17ROCPRIM_400000_NS6detail17trampoline_kernelINS0_14default_configENS1_20scan_config_selectorIfEEZZNS1_9scan_implILNS1_25lookback_scan_determinismE0ELb0ELb0ES3_N6thrust23THRUST_200600_302600_NS6detail15normal_iteratorINS9_10device_ptrIfEEEESE_fNS9_4plusIiEEfEEDaPvRmT3_T4_T5_mT6_P12ihipStream_tbENKUlT_T0_E_clISt17integral_constantIbLb0EESU_EEDaSP_SQ_EUlSP_E0_NS1_11comp_targetILNS1_3genE4ELNS1_11target_archE910ELNS1_3gpuE8ELNS1_3repE0EEENS1_30default_config_static_selectorELNS0_4arch9wavefront6targetE1EEEvT1_,"axG",@progbits,_ZN7rocprim17ROCPRIM_400000_NS6detail17trampoline_kernelINS0_14default_configENS1_20scan_config_selectorIfEEZZNS1_9scan_implILNS1_25lookback_scan_determinismE0ELb0ELb0ES3_N6thrust23THRUST_200600_302600_NS6detail15normal_iteratorINS9_10device_ptrIfEEEESE_fNS9_4plusIiEEfEEDaPvRmT3_T4_T5_mT6_P12ihipStream_tbENKUlT_T0_E_clISt17integral_constantIbLb0EESU_EEDaSP_SQ_EUlSP_E0_NS1_11comp_targetILNS1_3genE4ELNS1_11target_archE910ELNS1_3gpuE8ELNS1_3repE0EEENS1_30default_config_static_selectorELNS0_4arch9wavefront6targetE1EEEvT1_,comdat
.Lfunc_end1508:
	.size	_ZN7rocprim17ROCPRIM_400000_NS6detail17trampoline_kernelINS0_14default_configENS1_20scan_config_selectorIfEEZZNS1_9scan_implILNS1_25lookback_scan_determinismE0ELb0ELb0ES3_N6thrust23THRUST_200600_302600_NS6detail15normal_iteratorINS9_10device_ptrIfEEEESE_fNS9_4plusIiEEfEEDaPvRmT3_T4_T5_mT6_P12ihipStream_tbENKUlT_T0_E_clISt17integral_constantIbLb0EESU_EEDaSP_SQ_EUlSP_E0_NS1_11comp_targetILNS1_3genE4ELNS1_11target_archE910ELNS1_3gpuE8ELNS1_3repE0EEENS1_30default_config_static_selectorELNS0_4arch9wavefront6targetE1EEEvT1_, .Lfunc_end1508-_ZN7rocprim17ROCPRIM_400000_NS6detail17trampoline_kernelINS0_14default_configENS1_20scan_config_selectorIfEEZZNS1_9scan_implILNS1_25lookback_scan_determinismE0ELb0ELb0ES3_N6thrust23THRUST_200600_302600_NS6detail15normal_iteratorINS9_10device_ptrIfEEEESE_fNS9_4plusIiEEfEEDaPvRmT3_T4_T5_mT6_P12ihipStream_tbENKUlT_T0_E_clISt17integral_constantIbLb0EESU_EEDaSP_SQ_EUlSP_E0_NS1_11comp_targetILNS1_3genE4ELNS1_11target_archE910ELNS1_3gpuE8ELNS1_3repE0EEENS1_30default_config_static_selectorELNS0_4arch9wavefront6targetE1EEEvT1_
                                        ; -- End function
	.section	.AMDGPU.csdata,"",@progbits
; Kernel info:
; codeLenInByte = 2404
; NumSgprs: 40
; NumVgprs: 38
; NumAgprs: 0
; TotalNumVgprs: 38
; ScratchSize: 0
; MemoryBound: 0
; FloatMode: 240
; IeeeMode: 1
; LDSByteSize: 7168 bytes/workgroup (compile time only)
; SGPRBlocks: 4
; VGPRBlocks: 4
; NumSGPRsForWavesPerEU: 40
; NumVGPRsForWavesPerEU: 38
; AccumOffset: 40
; Occupancy: 5
; WaveLimiterHint : 0
; COMPUTE_PGM_RSRC2:SCRATCH_EN: 0
; COMPUTE_PGM_RSRC2:USER_SGPR: 6
; COMPUTE_PGM_RSRC2:TRAP_HANDLER: 0
; COMPUTE_PGM_RSRC2:TGID_X_EN: 1
; COMPUTE_PGM_RSRC2:TGID_Y_EN: 0
; COMPUTE_PGM_RSRC2:TGID_Z_EN: 0
; COMPUTE_PGM_RSRC2:TIDIG_COMP_CNT: 0
; COMPUTE_PGM_RSRC3_GFX90A:ACCUM_OFFSET: 9
; COMPUTE_PGM_RSRC3_GFX90A:TG_SPLIT: 0
	.section	.text._ZN7rocprim17ROCPRIM_400000_NS6detail17trampoline_kernelINS0_14default_configENS1_20scan_config_selectorIfEEZZNS1_9scan_implILNS1_25lookback_scan_determinismE0ELb0ELb0ES3_N6thrust23THRUST_200600_302600_NS6detail15normal_iteratorINS9_10device_ptrIfEEEESE_fNS9_4plusIiEEfEEDaPvRmT3_T4_T5_mT6_P12ihipStream_tbENKUlT_T0_E_clISt17integral_constantIbLb0EESU_EEDaSP_SQ_EUlSP_E0_NS1_11comp_targetILNS1_3genE3ELNS1_11target_archE908ELNS1_3gpuE7ELNS1_3repE0EEENS1_30default_config_static_selectorELNS0_4arch9wavefront6targetE1EEEvT1_,"axG",@progbits,_ZN7rocprim17ROCPRIM_400000_NS6detail17trampoline_kernelINS0_14default_configENS1_20scan_config_selectorIfEEZZNS1_9scan_implILNS1_25lookback_scan_determinismE0ELb0ELb0ES3_N6thrust23THRUST_200600_302600_NS6detail15normal_iteratorINS9_10device_ptrIfEEEESE_fNS9_4plusIiEEfEEDaPvRmT3_T4_T5_mT6_P12ihipStream_tbENKUlT_T0_E_clISt17integral_constantIbLb0EESU_EEDaSP_SQ_EUlSP_E0_NS1_11comp_targetILNS1_3genE3ELNS1_11target_archE908ELNS1_3gpuE7ELNS1_3repE0EEENS1_30default_config_static_selectorELNS0_4arch9wavefront6targetE1EEEvT1_,comdat
	.protected	_ZN7rocprim17ROCPRIM_400000_NS6detail17trampoline_kernelINS0_14default_configENS1_20scan_config_selectorIfEEZZNS1_9scan_implILNS1_25lookback_scan_determinismE0ELb0ELb0ES3_N6thrust23THRUST_200600_302600_NS6detail15normal_iteratorINS9_10device_ptrIfEEEESE_fNS9_4plusIiEEfEEDaPvRmT3_T4_T5_mT6_P12ihipStream_tbENKUlT_T0_E_clISt17integral_constantIbLb0EESU_EEDaSP_SQ_EUlSP_E0_NS1_11comp_targetILNS1_3genE3ELNS1_11target_archE908ELNS1_3gpuE7ELNS1_3repE0EEENS1_30default_config_static_selectorELNS0_4arch9wavefront6targetE1EEEvT1_ ; -- Begin function _ZN7rocprim17ROCPRIM_400000_NS6detail17trampoline_kernelINS0_14default_configENS1_20scan_config_selectorIfEEZZNS1_9scan_implILNS1_25lookback_scan_determinismE0ELb0ELb0ES3_N6thrust23THRUST_200600_302600_NS6detail15normal_iteratorINS9_10device_ptrIfEEEESE_fNS9_4plusIiEEfEEDaPvRmT3_T4_T5_mT6_P12ihipStream_tbENKUlT_T0_E_clISt17integral_constantIbLb0EESU_EEDaSP_SQ_EUlSP_E0_NS1_11comp_targetILNS1_3genE3ELNS1_11target_archE908ELNS1_3gpuE7ELNS1_3repE0EEENS1_30default_config_static_selectorELNS0_4arch9wavefront6targetE1EEEvT1_
	.globl	_ZN7rocprim17ROCPRIM_400000_NS6detail17trampoline_kernelINS0_14default_configENS1_20scan_config_selectorIfEEZZNS1_9scan_implILNS1_25lookback_scan_determinismE0ELb0ELb0ES3_N6thrust23THRUST_200600_302600_NS6detail15normal_iteratorINS9_10device_ptrIfEEEESE_fNS9_4plusIiEEfEEDaPvRmT3_T4_T5_mT6_P12ihipStream_tbENKUlT_T0_E_clISt17integral_constantIbLb0EESU_EEDaSP_SQ_EUlSP_E0_NS1_11comp_targetILNS1_3genE3ELNS1_11target_archE908ELNS1_3gpuE7ELNS1_3repE0EEENS1_30default_config_static_selectorELNS0_4arch9wavefront6targetE1EEEvT1_
	.p2align	8
	.type	_ZN7rocprim17ROCPRIM_400000_NS6detail17trampoline_kernelINS0_14default_configENS1_20scan_config_selectorIfEEZZNS1_9scan_implILNS1_25lookback_scan_determinismE0ELb0ELb0ES3_N6thrust23THRUST_200600_302600_NS6detail15normal_iteratorINS9_10device_ptrIfEEEESE_fNS9_4plusIiEEfEEDaPvRmT3_T4_T5_mT6_P12ihipStream_tbENKUlT_T0_E_clISt17integral_constantIbLb0EESU_EEDaSP_SQ_EUlSP_E0_NS1_11comp_targetILNS1_3genE3ELNS1_11target_archE908ELNS1_3gpuE7ELNS1_3repE0EEENS1_30default_config_static_selectorELNS0_4arch9wavefront6targetE1EEEvT1_,@function
_ZN7rocprim17ROCPRIM_400000_NS6detail17trampoline_kernelINS0_14default_configENS1_20scan_config_selectorIfEEZZNS1_9scan_implILNS1_25lookback_scan_determinismE0ELb0ELb0ES3_N6thrust23THRUST_200600_302600_NS6detail15normal_iteratorINS9_10device_ptrIfEEEESE_fNS9_4plusIiEEfEEDaPvRmT3_T4_T5_mT6_P12ihipStream_tbENKUlT_T0_E_clISt17integral_constantIbLb0EESU_EEDaSP_SQ_EUlSP_E0_NS1_11comp_targetILNS1_3genE3ELNS1_11target_archE908ELNS1_3gpuE7ELNS1_3repE0EEENS1_30default_config_static_selectorELNS0_4arch9wavefront6targetE1EEEvT1_: ; @_ZN7rocprim17ROCPRIM_400000_NS6detail17trampoline_kernelINS0_14default_configENS1_20scan_config_selectorIfEEZZNS1_9scan_implILNS1_25lookback_scan_determinismE0ELb0ELb0ES3_N6thrust23THRUST_200600_302600_NS6detail15normal_iteratorINS9_10device_ptrIfEEEESE_fNS9_4plusIiEEfEEDaPvRmT3_T4_T5_mT6_P12ihipStream_tbENKUlT_T0_E_clISt17integral_constantIbLb0EESU_EEDaSP_SQ_EUlSP_E0_NS1_11comp_targetILNS1_3genE3ELNS1_11target_archE908ELNS1_3gpuE7ELNS1_3repE0EEENS1_30default_config_static_selectorELNS0_4arch9wavefront6targetE1EEEvT1_
; %bb.0:
	.section	.rodata,"a",@progbits
	.p2align	6, 0x0
	.amdhsa_kernel _ZN7rocprim17ROCPRIM_400000_NS6detail17trampoline_kernelINS0_14default_configENS1_20scan_config_selectorIfEEZZNS1_9scan_implILNS1_25lookback_scan_determinismE0ELb0ELb0ES3_N6thrust23THRUST_200600_302600_NS6detail15normal_iteratorINS9_10device_ptrIfEEEESE_fNS9_4plusIiEEfEEDaPvRmT3_T4_T5_mT6_P12ihipStream_tbENKUlT_T0_E_clISt17integral_constantIbLb0EESU_EEDaSP_SQ_EUlSP_E0_NS1_11comp_targetILNS1_3genE3ELNS1_11target_archE908ELNS1_3gpuE7ELNS1_3repE0EEENS1_30default_config_static_selectorELNS0_4arch9wavefront6targetE1EEEvT1_
		.amdhsa_group_segment_fixed_size 0
		.amdhsa_private_segment_fixed_size 0
		.amdhsa_kernarg_size 32
		.amdhsa_user_sgpr_count 6
		.amdhsa_user_sgpr_private_segment_buffer 1
		.amdhsa_user_sgpr_dispatch_ptr 0
		.amdhsa_user_sgpr_queue_ptr 0
		.amdhsa_user_sgpr_kernarg_segment_ptr 1
		.amdhsa_user_sgpr_dispatch_id 0
		.amdhsa_user_sgpr_flat_scratch_init 0
		.amdhsa_user_sgpr_kernarg_preload_length 0
		.amdhsa_user_sgpr_kernarg_preload_offset 0
		.amdhsa_user_sgpr_private_segment_size 0
		.amdhsa_uses_dynamic_stack 0
		.amdhsa_system_sgpr_private_segment_wavefront_offset 0
		.amdhsa_system_sgpr_workgroup_id_x 1
		.amdhsa_system_sgpr_workgroup_id_y 0
		.amdhsa_system_sgpr_workgroup_id_z 0
		.amdhsa_system_sgpr_workgroup_info 0
		.amdhsa_system_vgpr_workitem_id 0
		.amdhsa_next_free_vgpr 1
		.amdhsa_next_free_sgpr 0
		.amdhsa_accum_offset 4
		.amdhsa_reserve_vcc 0
		.amdhsa_reserve_flat_scratch 0
		.amdhsa_float_round_mode_32 0
		.amdhsa_float_round_mode_16_64 0
		.amdhsa_float_denorm_mode_32 3
		.amdhsa_float_denorm_mode_16_64 3
		.amdhsa_dx10_clamp 1
		.amdhsa_ieee_mode 1
		.amdhsa_fp16_overflow 0
		.amdhsa_tg_split 0
		.amdhsa_exception_fp_ieee_invalid_op 0
		.amdhsa_exception_fp_denorm_src 0
		.amdhsa_exception_fp_ieee_div_zero 0
		.amdhsa_exception_fp_ieee_overflow 0
		.amdhsa_exception_fp_ieee_underflow 0
		.amdhsa_exception_fp_ieee_inexact 0
		.amdhsa_exception_int_div_zero 0
	.end_amdhsa_kernel
	.section	.text._ZN7rocprim17ROCPRIM_400000_NS6detail17trampoline_kernelINS0_14default_configENS1_20scan_config_selectorIfEEZZNS1_9scan_implILNS1_25lookback_scan_determinismE0ELb0ELb0ES3_N6thrust23THRUST_200600_302600_NS6detail15normal_iteratorINS9_10device_ptrIfEEEESE_fNS9_4plusIiEEfEEDaPvRmT3_T4_T5_mT6_P12ihipStream_tbENKUlT_T0_E_clISt17integral_constantIbLb0EESU_EEDaSP_SQ_EUlSP_E0_NS1_11comp_targetILNS1_3genE3ELNS1_11target_archE908ELNS1_3gpuE7ELNS1_3repE0EEENS1_30default_config_static_selectorELNS0_4arch9wavefront6targetE1EEEvT1_,"axG",@progbits,_ZN7rocprim17ROCPRIM_400000_NS6detail17trampoline_kernelINS0_14default_configENS1_20scan_config_selectorIfEEZZNS1_9scan_implILNS1_25lookback_scan_determinismE0ELb0ELb0ES3_N6thrust23THRUST_200600_302600_NS6detail15normal_iteratorINS9_10device_ptrIfEEEESE_fNS9_4plusIiEEfEEDaPvRmT3_T4_T5_mT6_P12ihipStream_tbENKUlT_T0_E_clISt17integral_constantIbLb0EESU_EEDaSP_SQ_EUlSP_E0_NS1_11comp_targetILNS1_3genE3ELNS1_11target_archE908ELNS1_3gpuE7ELNS1_3repE0EEENS1_30default_config_static_selectorELNS0_4arch9wavefront6targetE1EEEvT1_,comdat
.Lfunc_end1509:
	.size	_ZN7rocprim17ROCPRIM_400000_NS6detail17trampoline_kernelINS0_14default_configENS1_20scan_config_selectorIfEEZZNS1_9scan_implILNS1_25lookback_scan_determinismE0ELb0ELb0ES3_N6thrust23THRUST_200600_302600_NS6detail15normal_iteratorINS9_10device_ptrIfEEEESE_fNS9_4plusIiEEfEEDaPvRmT3_T4_T5_mT6_P12ihipStream_tbENKUlT_T0_E_clISt17integral_constantIbLb0EESU_EEDaSP_SQ_EUlSP_E0_NS1_11comp_targetILNS1_3genE3ELNS1_11target_archE908ELNS1_3gpuE7ELNS1_3repE0EEENS1_30default_config_static_selectorELNS0_4arch9wavefront6targetE1EEEvT1_, .Lfunc_end1509-_ZN7rocprim17ROCPRIM_400000_NS6detail17trampoline_kernelINS0_14default_configENS1_20scan_config_selectorIfEEZZNS1_9scan_implILNS1_25lookback_scan_determinismE0ELb0ELb0ES3_N6thrust23THRUST_200600_302600_NS6detail15normal_iteratorINS9_10device_ptrIfEEEESE_fNS9_4plusIiEEfEEDaPvRmT3_T4_T5_mT6_P12ihipStream_tbENKUlT_T0_E_clISt17integral_constantIbLb0EESU_EEDaSP_SQ_EUlSP_E0_NS1_11comp_targetILNS1_3genE3ELNS1_11target_archE908ELNS1_3gpuE7ELNS1_3repE0EEENS1_30default_config_static_selectorELNS0_4arch9wavefront6targetE1EEEvT1_
                                        ; -- End function
	.section	.AMDGPU.csdata,"",@progbits
; Kernel info:
; codeLenInByte = 0
; NumSgprs: 4
; NumVgprs: 0
; NumAgprs: 0
; TotalNumVgprs: 0
; ScratchSize: 0
; MemoryBound: 0
; FloatMode: 240
; IeeeMode: 1
; LDSByteSize: 0 bytes/workgroup (compile time only)
; SGPRBlocks: 0
; VGPRBlocks: 0
; NumSGPRsForWavesPerEU: 4
; NumVGPRsForWavesPerEU: 1
; AccumOffset: 4
; Occupancy: 8
; WaveLimiterHint : 0
; COMPUTE_PGM_RSRC2:SCRATCH_EN: 0
; COMPUTE_PGM_RSRC2:USER_SGPR: 6
; COMPUTE_PGM_RSRC2:TRAP_HANDLER: 0
; COMPUTE_PGM_RSRC2:TGID_X_EN: 1
; COMPUTE_PGM_RSRC2:TGID_Y_EN: 0
; COMPUTE_PGM_RSRC2:TGID_Z_EN: 0
; COMPUTE_PGM_RSRC2:TIDIG_COMP_CNT: 0
; COMPUTE_PGM_RSRC3_GFX90A:ACCUM_OFFSET: 0
; COMPUTE_PGM_RSRC3_GFX90A:TG_SPLIT: 0
	.section	.text._ZN7rocprim17ROCPRIM_400000_NS6detail17trampoline_kernelINS0_14default_configENS1_20scan_config_selectorIfEEZZNS1_9scan_implILNS1_25lookback_scan_determinismE0ELb0ELb0ES3_N6thrust23THRUST_200600_302600_NS6detail15normal_iteratorINS9_10device_ptrIfEEEESE_fNS9_4plusIiEEfEEDaPvRmT3_T4_T5_mT6_P12ihipStream_tbENKUlT_T0_E_clISt17integral_constantIbLb0EESU_EEDaSP_SQ_EUlSP_E0_NS1_11comp_targetILNS1_3genE2ELNS1_11target_archE906ELNS1_3gpuE6ELNS1_3repE0EEENS1_30default_config_static_selectorELNS0_4arch9wavefront6targetE1EEEvT1_,"axG",@progbits,_ZN7rocprim17ROCPRIM_400000_NS6detail17trampoline_kernelINS0_14default_configENS1_20scan_config_selectorIfEEZZNS1_9scan_implILNS1_25lookback_scan_determinismE0ELb0ELb0ES3_N6thrust23THRUST_200600_302600_NS6detail15normal_iteratorINS9_10device_ptrIfEEEESE_fNS9_4plusIiEEfEEDaPvRmT3_T4_T5_mT6_P12ihipStream_tbENKUlT_T0_E_clISt17integral_constantIbLb0EESU_EEDaSP_SQ_EUlSP_E0_NS1_11comp_targetILNS1_3genE2ELNS1_11target_archE906ELNS1_3gpuE6ELNS1_3repE0EEENS1_30default_config_static_selectorELNS0_4arch9wavefront6targetE1EEEvT1_,comdat
	.protected	_ZN7rocprim17ROCPRIM_400000_NS6detail17trampoline_kernelINS0_14default_configENS1_20scan_config_selectorIfEEZZNS1_9scan_implILNS1_25lookback_scan_determinismE0ELb0ELb0ES3_N6thrust23THRUST_200600_302600_NS6detail15normal_iteratorINS9_10device_ptrIfEEEESE_fNS9_4plusIiEEfEEDaPvRmT3_T4_T5_mT6_P12ihipStream_tbENKUlT_T0_E_clISt17integral_constantIbLb0EESU_EEDaSP_SQ_EUlSP_E0_NS1_11comp_targetILNS1_3genE2ELNS1_11target_archE906ELNS1_3gpuE6ELNS1_3repE0EEENS1_30default_config_static_selectorELNS0_4arch9wavefront6targetE1EEEvT1_ ; -- Begin function _ZN7rocprim17ROCPRIM_400000_NS6detail17trampoline_kernelINS0_14default_configENS1_20scan_config_selectorIfEEZZNS1_9scan_implILNS1_25lookback_scan_determinismE0ELb0ELb0ES3_N6thrust23THRUST_200600_302600_NS6detail15normal_iteratorINS9_10device_ptrIfEEEESE_fNS9_4plusIiEEfEEDaPvRmT3_T4_T5_mT6_P12ihipStream_tbENKUlT_T0_E_clISt17integral_constantIbLb0EESU_EEDaSP_SQ_EUlSP_E0_NS1_11comp_targetILNS1_3genE2ELNS1_11target_archE906ELNS1_3gpuE6ELNS1_3repE0EEENS1_30default_config_static_selectorELNS0_4arch9wavefront6targetE1EEEvT1_
	.globl	_ZN7rocprim17ROCPRIM_400000_NS6detail17trampoline_kernelINS0_14default_configENS1_20scan_config_selectorIfEEZZNS1_9scan_implILNS1_25lookback_scan_determinismE0ELb0ELb0ES3_N6thrust23THRUST_200600_302600_NS6detail15normal_iteratorINS9_10device_ptrIfEEEESE_fNS9_4plusIiEEfEEDaPvRmT3_T4_T5_mT6_P12ihipStream_tbENKUlT_T0_E_clISt17integral_constantIbLb0EESU_EEDaSP_SQ_EUlSP_E0_NS1_11comp_targetILNS1_3genE2ELNS1_11target_archE906ELNS1_3gpuE6ELNS1_3repE0EEENS1_30default_config_static_selectorELNS0_4arch9wavefront6targetE1EEEvT1_
	.p2align	8
	.type	_ZN7rocprim17ROCPRIM_400000_NS6detail17trampoline_kernelINS0_14default_configENS1_20scan_config_selectorIfEEZZNS1_9scan_implILNS1_25lookback_scan_determinismE0ELb0ELb0ES3_N6thrust23THRUST_200600_302600_NS6detail15normal_iteratorINS9_10device_ptrIfEEEESE_fNS9_4plusIiEEfEEDaPvRmT3_T4_T5_mT6_P12ihipStream_tbENKUlT_T0_E_clISt17integral_constantIbLb0EESU_EEDaSP_SQ_EUlSP_E0_NS1_11comp_targetILNS1_3genE2ELNS1_11target_archE906ELNS1_3gpuE6ELNS1_3repE0EEENS1_30default_config_static_selectorELNS0_4arch9wavefront6targetE1EEEvT1_,@function
_ZN7rocprim17ROCPRIM_400000_NS6detail17trampoline_kernelINS0_14default_configENS1_20scan_config_selectorIfEEZZNS1_9scan_implILNS1_25lookback_scan_determinismE0ELb0ELb0ES3_N6thrust23THRUST_200600_302600_NS6detail15normal_iteratorINS9_10device_ptrIfEEEESE_fNS9_4plusIiEEfEEDaPvRmT3_T4_T5_mT6_P12ihipStream_tbENKUlT_T0_E_clISt17integral_constantIbLb0EESU_EEDaSP_SQ_EUlSP_E0_NS1_11comp_targetILNS1_3genE2ELNS1_11target_archE906ELNS1_3gpuE6ELNS1_3repE0EEENS1_30default_config_static_selectorELNS0_4arch9wavefront6targetE1EEEvT1_: ; @_ZN7rocprim17ROCPRIM_400000_NS6detail17trampoline_kernelINS0_14default_configENS1_20scan_config_selectorIfEEZZNS1_9scan_implILNS1_25lookback_scan_determinismE0ELb0ELb0ES3_N6thrust23THRUST_200600_302600_NS6detail15normal_iteratorINS9_10device_ptrIfEEEESE_fNS9_4plusIiEEfEEDaPvRmT3_T4_T5_mT6_P12ihipStream_tbENKUlT_T0_E_clISt17integral_constantIbLb0EESU_EEDaSP_SQ_EUlSP_E0_NS1_11comp_targetILNS1_3genE2ELNS1_11target_archE906ELNS1_3gpuE6ELNS1_3repE0EEENS1_30default_config_static_selectorELNS0_4arch9wavefront6targetE1EEEvT1_
; %bb.0:
	.section	.rodata,"a",@progbits
	.p2align	6, 0x0
	.amdhsa_kernel _ZN7rocprim17ROCPRIM_400000_NS6detail17trampoline_kernelINS0_14default_configENS1_20scan_config_selectorIfEEZZNS1_9scan_implILNS1_25lookback_scan_determinismE0ELb0ELb0ES3_N6thrust23THRUST_200600_302600_NS6detail15normal_iteratorINS9_10device_ptrIfEEEESE_fNS9_4plusIiEEfEEDaPvRmT3_T4_T5_mT6_P12ihipStream_tbENKUlT_T0_E_clISt17integral_constantIbLb0EESU_EEDaSP_SQ_EUlSP_E0_NS1_11comp_targetILNS1_3genE2ELNS1_11target_archE906ELNS1_3gpuE6ELNS1_3repE0EEENS1_30default_config_static_selectorELNS0_4arch9wavefront6targetE1EEEvT1_
		.amdhsa_group_segment_fixed_size 0
		.amdhsa_private_segment_fixed_size 0
		.amdhsa_kernarg_size 32
		.amdhsa_user_sgpr_count 6
		.amdhsa_user_sgpr_private_segment_buffer 1
		.amdhsa_user_sgpr_dispatch_ptr 0
		.amdhsa_user_sgpr_queue_ptr 0
		.amdhsa_user_sgpr_kernarg_segment_ptr 1
		.amdhsa_user_sgpr_dispatch_id 0
		.amdhsa_user_sgpr_flat_scratch_init 0
		.amdhsa_user_sgpr_kernarg_preload_length 0
		.amdhsa_user_sgpr_kernarg_preload_offset 0
		.amdhsa_user_sgpr_private_segment_size 0
		.amdhsa_uses_dynamic_stack 0
		.amdhsa_system_sgpr_private_segment_wavefront_offset 0
		.amdhsa_system_sgpr_workgroup_id_x 1
		.amdhsa_system_sgpr_workgroup_id_y 0
		.amdhsa_system_sgpr_workgroup_id_z 0
		.amdhsa_system_sgpr_workgroup_info 0
		.amdhsa_system_vgpr_workitem_id 0
		.amdhsa_next_free_vgpr 1
		.amdhsa_next_free_sgpr 0
		.amdhsa_accum_offset 4
		.amdhsa_reserve_vcc 0
		.amdhsa_reserve_flat_scratch 0
		.amdhsa_float_round_mode_32 0
		.amdhsa_float_round_mode_16_64 0
		.amdhsa_float_denorm_mode_32 3
		.amdhsa_float_denorm_mode_16_64 3
		.amdhsa_dx10_clamp 1
		.amdhsa_ieee_mode 1
		.amdhsa_fp16_overflow 0
		.amdhsa_tg_split 0
		.amdhsa_exception_fp_ieee_invalid_op 0
		.amdhsa_exception_fp_denorm_src 0
		.amdhsa_exception_fp_ieee_div_zero 0
		.amdhsa_exception_fp_ieee_overflow 0
		.amdhsa_exception_fp_ieee_underflow 0
		.amdhsa_exception_fp_ieee_inexact 0
		.amdhsa_exception_int_div_zero 0
	.end_amdhsa_kernel
	.section	.text._ZN7rocprim17ROCPRIM_400000_NS6detail17trampoline_kernelINS0_14default_configENS1_20scan_config_selectorIfEEZZNS1_9scan_implILNS1_25lookback_scan_determinismE0ELb0ELb0ES3_N6thrust23THRUST_200600_302600_NS6detail15normal_iteratorINS9_10device_ptrIfEEEESE_fNS9_4plusIiEEfEEDaPvRmT3_T4_T5_mT6_P12ihipStream_tbENKUlT_T0_E_clISt17integral_constantIbLb0EESU_EEDaSP_SQ_EUlSP_E0_NS1_11comp_targetILNS1_3genE2ELNS1_11target_archE906ELNS1_3gpuE6ELNS1_3repE0EEENS1_30default_config_static_selectorELNS0_4arch9wavefront6targetE1EEEvT1_,"axG",@progbits,_ZN7rocprim17ROCPRIM_400000_NS6detail17trampoline_kernelINS0_14default_configENS1_20scan_config_selectorIfEEZZNS1_9scan_implILNS1_25lookback_scan_determinismE0ELb0ELb0ES3_N6thrust23THRUST_200600_302600_NS6detail15normal_iteratorINS9_10device_ptrIfEEEESE_fNS9_4plusIiEEfEEDaPvRmT3_T4_T5_mT6_P12ihipStream_tbENKUlT_T0_E_clISt17integral_constantIbLb0EESU_EEDaSP_SQ_EUlSP_E0_NS1_11comp_targetILNS1_3genE2ELNS1_11target_archE906ELNS1_3gpuE6ELNS1_3repE0EEENS1_30default_config_static_selectorELNS0_4arch9wavefront6targetE1EEEvT1_,comdat
.Lfunc_end1510:
	.size	_ZN7rocprim17ROCPRIM_400000_NS6detail17trampoline_kernelINS0_14default_configENS1_20scan_config_selectorIfEEZZNS1_9scan_implILNS1_25lookback_scan_determinismE0ELb0ELb0ES3_N6thrust23THRUST_200600_302600_NS6detail15normal_iteratorINS9_10device_ptrIfEEEESE_fNS9_4plusIiEEfEEDaPvRmT3_T4_T5_mT6_P12ihipStream_tbENKUlT_T0_E_clISt17integral_constantIbLb0EESU_EEDaSP_SQ_EUlSP_E0_NS1_11comp_targetILNS1_3genE2ELNS1_11target_archE906ELNS1_3gpuE6ELNS1_3repE0EEENS1_30default_config_static_selectorELNS0_4arch9wavefront6targetE1EEEvT1_, .Lfunc_end1510-_ZN7rocprim17ROCPRIM_400000_NS6detail17trampoline_kernelINS0_14default_configENS1_20scan_config_selectorIfEEZZNS1_9scan_implILNS1_25lookback_scan_determinismE0ELb0ELb0ES3_N6thrust23THRUST_200600_302600_NS6detail15normal_iteratorINS9_10device_ptrIfEEEESE_fNS9_4plusIiEEfEEDaPvRmT3_T4_T5_mT6_P12ihipStream_tbENKUlT_T0_E_clISt17integral_constantIbLb0EESU_EEDaSP_SQ_EUlSP_E0_NS1_11comp_targetILNS1_3genE2ELNS1_11target_archE906ELNS1_3gpuE6ELNS1_3repE0EEENS1_30default_config_static_selectorELNS0_4arch9wavefront6targetE1EEEvT1_
                                        ; -- End function
	.section	.AMDGPU.csdata,"",@progbits
; Kernel info:
; codeLenInByte = 0
; NumSgprs: 4
; NumVgprs: 0
; NumAgprs: 0
; TotalNumVgprs: 0
; ScratchSize: 0
; MemoryBound: 0
; FloatMode: 240
; IeeeMode: 1
; LDSByteSize: 0 bytes/workgroup (compile time only)
; SGPRBlocks: 0
; VGPRBlocks: 0
; NumSGPRsForWavesPerEU: 4
; NumVGPRsForWavesPerEU: 1
; AccumOffset: 4
; Occupancy: 8
; WaveLimiterHint : 0
; COMPUTE_PGM_RSRC2:SCRATCH_EN: 0
; COMPUTE_PGM_RSRC2:USER_SGPR: 6
; COMPUTE_PGM_RSRC2:TRAP_HANDLER: 0
; COMPUTE_PGM_RSRC2:TGID_X_EN: 1
; COMPUTE_PGM_RSRC2:TGID_Y_EN: 0
; COMPUTE_PGM_RSRC2:TGID_Z_EN: 0
; COMPUTE_PGM_RSRC2:TIDIG_COMP_CNT: 0
; COMPUTE_PGM_RSRC3_GFX90A:ACCUM_OFFSET: 0
; COMPUTE_PGM_RSRC3_GFX90A:TG_SPLIT: 0
	.section	.text._ZN7rocprim17ROCPRIM_400000_NS6detail17trampoline_kernelINS0_14default_configENS1_20scan_config_selectorIfEEZZNS1_9scan_implILNS1_25lookback_scan_determinismE0ELb0ELb0ES3_N6thrust23THRUST_200600_302600_NS6detail15normal_iteratorINS9_10device_ptrIfEEEESE_fNS9_4plusIiEEfEEDaPvRmT3_T4_T5_mT6_P12ihipStream_tbENKUlT_T0_E_clISt17integral_constantIbLb0EESU_EEDaSP_SQ_EUlSP_E0_NS1_11comp_targetILNS1_3genE10ELNS1_11target_archE1201ELNS1_3gpuE5ELNS1_3repE0EEENS1_30default_config_static_selectorELNS0_4arch9wavefront6targetE1EEEvT1_,"axG",@progbits,_ZN7rocprim17ROCPRIM_400000_NS6detail17trampoline_kernelINS0_14default_configENS1_20scan_config_selectorIfEEZZNS1_9scan_implILNS1_25lookback_scan_determinismE0ELb0ELb0ES3_N6thrust23THRUST_200600_302600_NS6detail15normal_iteratorINS9_10device_ptrIfEEEESE_fNS9_4plusIiEEfEEDaPvRmT3_T4_T5_mT6_P12ihipStream_tbENKUlT_T0_E_clISt17integral_constantIbLb0EESU_EEDaSP_SQ_EUlSP_E0_NS1_11comp_targetILNS1_3genE10ELNS1_11target_archE1201ELNS1_3gpuE5ELNS1_3repE0EEENS1_30default_config_static_selectorELNS0_4arch9wavefront6targetE1EEEvT1_,comdat
	.protected	_ZN7rocprim17ROCPRIM_400000_NS6detail17trampoline_kernelINS0_14default_configENS1_20scan_config_selectorIfEEZZNS1_9scan_implILNS1_25lookback_scan_determinismE0ELb0ELb0ES3_N6thrust23THRUST_200600_302600_NS6detail15normal_iteratorINS9_10device_ptrIfEEEESE_fNS9_4plusIiEEfEEDaPvRmT3_T4_T5_mT6_P12ihipStream_tbENKUlT_T0_E_clISt17integral_constantIbLb0EESU_EEDaSP_SQ_EUlSP_E0_NS1_11comp_targetILNS1_3genE10ELNS1_11target_archE1201ELNS1_3gpuE5ELNS1_3repE0EEENS1_30default_config_static_selectorELNS0_4arch9wavefront6targetE1EEEvT1_ ; -- Begin function _ZN7rocprim17ROCPRIM_400000_NS6detail17trampoline_kernelINS0_14default_configENS1_20scan_config_selectorIfEEZZNS1_9scan_implILNS1_25lookback_scan_determinismE0ELb0ELb0ES3_N6thrust23THRUST_200600_302600_NS6detail15normal_iteratorINS9_10device_ptrIfEEEESE_fNS9_4plusIiEEfEEDaPvRmT3_T4_T5_mT6_P12ihipStream_tbENKUlT_T0_E_clISt17integral_constantIbLb0EESU_EEDaSP_SQ_EUlSP_E0_NS1_11comp_targetILNS1_3genE10ELNS1_11target_archE1201ELNS1_3gpuE5ELNS1_3repE0EEENS1_30default_config_static_selectorELNS0_4arch9wavefront6targetE1EEEvT1_
	.globl	_ZN7rocprim17ROCPRIM_400000_NS6detail17trampoline_kernelINS0_14default_configENS1_20scan_config_selectorIfEEZZNS1_9scan_implILNS1_25lookback_scan_determinismE0ELb0ELb0ES3_N6thrust23THRUST_200600_302600_NS6detail15normal_iteratorINS9_10device_ptrIfEEEESE_fNS9_4plusIiEEfEEDaPvRmT3_T4_T5_mT6_P12ihipStream_tbENKUlT_T0_E_clISt17integral_constantIbLb0EESU_EEDaSP_SQ_EUlSP_E0_NS1_11comp_targetILNS1_3genE10ELNS1_11target_archE1201ELNS1_3gpuE5ELNS1_3repE0EEENS1_30default_config_static_selectorELNS0_4arch9wavefront6targetE1EEEvT1_
	.p2align	8
	.type	_ZN7rocprim17ROCPRIM_400000_NS6detail17trampoline_kernelINS0_14default_configENS1_20scan_config_selectorIfEEZZNS1_9scan_implILNS1_25lookback_scan_determinismE0ELb0ELb0ES3_N6thrust23THRUST_200600_302600_NS6detail15normal_iteratorINS9_10device_ptrIfEEEESE_fNS9_4plusIiEEfEEDaPvRmT3_T4_T5_mT6_P12ihipStream_tbENKUlT_T0_E_clISt17integral_constantIbLb0EESU_EEDaSP_SQ_EUlSP_E0_NS1_11comp_targetILNS1_3genE10ELNS1_11target_archE1201ELNS1_3gpuE5ELNS1_3repE0EEENS1_30default_config_static_selectorELNS0_4arch9wavefront6targetE1EEEvT1_,@function
_ZN7rocprim17ROCPRIM_400000_NS6detail17trampoline_kernelINS0_14default_configENS1_20scan_config_selectorIfEEZZNS1_9scan_implILNS1_25lookback_scan_determinismE0ELb0ELb0ES3_N6thrust23THRUST_200600_302600_NS6detail15normal_iteratorINS9_10device_ptrIfEEEESE_fNS9_4plusIiEEfEEDaPvRmT3_T4_T5_mT6_P12ihipStream_tbENKUlT_T0_E_clISt17integral_constantIbLb0EESU_EEDaSP_SQ_EUlSP_E0_NS1_11comp_targetILNS1_3genE10ELNS1_11target_archE1201ELNS1_3gpuE5ELNS1_3repE0EEENS1_30default_config_static_selectorELNS0_4arch9wavefront6targetE1EEEvT1_: ; @_ZN7rocprim17ROCPRIM_400000_NS6detail17trampoline_kernelINS0_14default_configENS1_20scan_config_selectorIfEEZZNS1_9scan_implILNS1_25lookback_scan_determinismE0ELb0ELb0ES3_N6thrust23THRUST_200600_302600_NS6detail15normal_iteratorINS9_10device_ptrIfEEEESE_fNS9_4plusIiEEfEEDaPvRmT3_T4_T5_mT6_P12ihipStream_tbENKUlT_T0_E_clISt17integral_constantIbLb0EESU_EEDaSP_SQ_EUlSP_E0_NS1_11comp_targetILNS1_3genE10ELNS1_11target_archE1201ELNS1_3gpuE5ELNS1_3repE0EEENS1_30default_config_static_selectorELNS0_4arch9wavefront6targetE1EEEvT1_
; %bb.0:
	.section	.rodata,"a",@progbits
	.p2align	6, 0x0
	.amdhsa_kernel _ZN7rocprim17ROCPRIM_400000_NS6detail17trampoline_kernelINS0_14default_configENS1_20scan_config_selectorIfEEZZNS1_9scan_implILNS1_25lookback_scan_determinismE0ELb0ELb0ES3_N6thrust23THRUST_200600_302600_NS6detail15normal_iteratorINS9_10device_ptrIfEEEESE_fNS9_4plusIiEEfEEDaPvRmT3_T4_T5_mT6_P12ihipStream_tbENKUlT_T0_E_clISt17integral_constantIbLb0EESU_EEDaSP_SQ_EUlSP_E0_NS1_11comp_targetILNS1_3genE10ELNS1_11target_archE1201ELNS1_3gpuE5ELNS1_3repE0EEENS1_30default_config_static_selectorELNS0_4arch9wavefront6targetE1EEEvT1_
		.amdhsa_group_segment_fixed_size 0
		.amdhsa_private_segment_fixed_size 0
		.amdhsa_kernarg_size 32
		.amdhsa_user_sgpr_count 6
		.amdhsa_user_sgpr_private_segment_buffer 1
		.amdhsa_user_sgpr_dispatch_ptr 0
		.amdhsa_user_sgpr_queue_ptr 0
		.amdhsa_user_sgpr_kernarg_segment_ptr 1
		.amdhsa_user_sgpr_dispatch_id 0
		.amdhsa_user_sgpr_flat_scratch_init 0
		.amdhsa_user_sgpr_kernarg_preload_length 0
		.amdhsa_user_sgpr_kernarg_preload_offset 0
		.amdhsa_user_sgpr_private_segment_size 0
		.amdhsa_uses_dynamic_stack 0
		.amdhsa_system_sgpr_private_segment_wavefront_offset 0
		.amdhsa_system_sgpr_workgroup_id_x 1
		.amdhsa_system_sgpr_workgroup_id_y 0
		.amdhsa_system_sgpr_workgroup_id_z 0
		.amdhsa_system_sgpr_workgroup_info 0
		.amdhsa_system_vgpr_workitem_id 0
		.amdhsa_next_free_vgpr 1
		.amdhsa_next_free_sgpr 0
		.amdhsa_accum_offset 4
		.amdhsa_reserve_vcc 0
		.amdhsa_reserve_flat_scratch 0
		.amdhsa_float_round_mode_32 0
		.amdhsa_float_round_mode_16_64 0
		.amdhsa_float_denorm_mode_32 3
		.amdhsa_float_denorm_mode_16_64 3
		.amdhsa_dx10_clamp 1
		.amdhsa_ieee_mode 1
		.amdhsa_fp16_overflow 0
		.amdhsa_tg_split 0
		.amdhsa_exception_fp_ieee_invalid_op 0
		.amdhsa_exception_fp_denorm_src 0
		.amdhsa_exception_fp_ieee_div_zero 0
		.amdhsa_exception_fp_ieee_overflow 0
		.amdhsa_exception_fp_ieee_underflow 0
		.amdhsa_exception_fp_ieee_inexact 0
		.amdhsa_exception_int_div_zero 0
	.end_amdhsa_kernel
	.section	.text._ZN7rocprim17ROCPRIM_400000_NS6detail17trampoline_kernelINS0_14default_configENS1_20scan_config_selectorIfEEZZNS1_9scan_implILNS1_25lookback_scan_determinismE0ELb0ELb0ES3_N6thrust23THRUST_200600_302600_NS6detail15normal_iteratorINS9_10device_ptrIfEEEESE_fNS9_4plusIiEEfEEDaPvRmT3_T4_T5_mT6_P12ihipStream_tbENKUlT_T0_E_clISt17integral_constantIbLb0EESU_EEDaSP_SQ_EUlSP_E0_NS1_11comp_targetILNS1_3genE10ELNS1_11target_archE1201ELNS1_3gpuE5ELNS1_3repE0EEENS1_30default_config_static_selectorELNS0_4arch9wavefront6targetE1EEEvT1_,"axG",@progbits,_ZN7rocprim17ROCPRIM_400000_NS6detail17trampoline_kernelINS0_14default_configENS1_20scan_config_selectorIfEEZZNS1_9scan_implILNS1_25lookback_scan_determinismE0ELb0ELb0ES3_N6thrust23THRUST_200600_302600_NS6detail15normal_iteratorINS9_10device_ptrIfEEEESE_fNS9_4plusIiEEfEEDaPvRmT3_T4_T5_mT6_P12ihipStream_tbENKUlT_T0_E_clISt17integral_constantIbLb0EESU_EEDaSP_SQ_EUlSP_E0_NS1_11comp_targetILNS1_3genE10ELNS1_11target_archE1201ELNS1_3gpuE5ELNS1_3repE0EEENS1_30default_config_static_selectorELNS0_4arch9wavefront6targetE1EEEvT1_,comdat
.Lfunc_end1511:
	.size	_ZN7rocprim17ROCPRIM_400000_NS6detail17trampoline_kernelINS0_14default_configENS1_20scan_config_selectorIfEEZZNS1_9scan_implILNS1_25lookback_scan_determinismE0ELb0ELb0ES3_N6thrust23THRUST_200600_302600_NS6detail15normal_iteratorINS9_10device_ptrIfEEEESE_fNS9_4plusIiEEfEEDaPvRmT3_T4_T5_mT6_P12ihipStream_tbENKUlT_T0_E_clISt17integral_constantIbLb0EESU_EEDaSP_SQ_EUlSP_E0_NS1_11comp_targetILNS1_3genE10ELNS1_11target_archE1201ELNS1_3gpuE5ELNS1_3repE0EEENS1_30default_config_static_selectorELNS0_4arch9wavefront6targetE1EEEvT1_, .Lfunc_end1511-_ZN7rocprim17ROCPRIM_400000_NS6detail17trampoline_kernelINS0_14default_configENS1_20scan_config_selectorIfEEZZNS1_9scan_implILNS1_25lookback_scan_determinismE0ELb0ELb0ES3_N6thrust23THRUST_200600_302600_NS6detail15normal_iteratorINS9_10device_ptrIfEEEESE_fNS9_4plusIiEEfEEDaPvRmT3_T4_T5_mT6_P12ihipStream_tbENKUlT_T0_E_clISt17integral_constantIbLb0EESU_EEDaSP_SQ_EUlSP_E0_NS1_11comp_targetILNS1_3genE10ELNS1_11target_archE1201ELNS1_3gpuE5ELNS1_3repE0EEENS1_30default_config_static_selectorELNS0_4arch9wavefront6targetE1EEEvT1_
                                        ; -- End function
	.section	.AMDGPU.csdata,"",@progbits
; Kernel info:
; codeLenInByte = 0
; NumSgprs: 4
; NumVgprs: 0
; NumAgprs: 0
; TotalNumVgprs: 0
; ScratchSize: 0
; MemoryBound: 0
; FloatMode: 240
; IeeeMode: 1
; LDSByteSize: 0 bytes/workgroup (compile time only)
; SGPRBlocks: 0
; VGPRBlocks: 0
; NumSGPRsForWavesPerEU: 4
; NumVGPRsForWavesPerEU: 1
; AccumOffset: 4
; Occupancy: 8
; WaveLimiterHint : 0
; COMPUTE_PGM_RSRC2:SCRATCH_EN: 0
; COMPUTE_PGM_RSRC2:USER_SGPR: 6
; COMPUTE_PGM_RSRC2:TRAP_HANDLER: 0
; COMPUTE_PGM_RSRC2:TGID_X_EN: 1
; COMPUTE_PGM_RSRC2:TGID_Y_EN: 0
; COMPUTE_PGM_RSRC2:TGID_Z_EN: 0
; COMPUTE_PGM_RSRC2:TIDIG_COMP_CNT: 0
; COMPUTE_PGM_RSRC3_GFX90A:ACCUM_OFFSET: 0
; COMPUTE_PGM_RSRC3_GFX90A:TG_SPLIT: 0
	.section	.text._ZN7rocprim17ROCPRIM_400000_NS6detail17trampoline_kernelINS0_14default_configENS1_20scan_config_selectorIfEEZZNS1_9scan_implILNS1_25lookback_scan_determinismE0ELb0ELb0ES3_N6thrust23THRUST_200600_302600_NS6detail15normal_iteratorINS9_10device_ptrIfEEEESE_fNS9_4plusIiEEfEEDaPvRmT3_T4_T5_mT6_P12ihipStream_tbENKUlT_T0_E_clISt17integral_constantIbLb0EESU_EEDaSP_SQ_EUlSP_E0_NS1_11comp_targetILNS1_3genE10ELNS1_11target_archE1200ELNS1_3gpuE4ELNS1_3repE0EEENS1_30default_config_static_selectorELNS0_4arch9wavefront6targetE1EEEvT1_,"axG",@progbits,_ZN7rocprim17ROCPRIM_400000_NS6detail17trampoline_kernelINS0_14default_configENS1_20scan_config_selectorIfEEZZNS1_9scan_implILNS1_25lookback_scan_determinismE0ELb0ELb0ES3_N6thrust23THRUST_200600_302600_NS6detail15normal_iteratorINS9_10device_ptrIfEEEESE_fNS9_4plusIiEEfEEDaPvRmT3_T4_T5_mT6_P12ihipStream_tbENKUlT_T0_E_clISt17integral_constantIbLb0EESU_EEDaSP_SQ_EUlSP_E0_NS1_11comp_targetILNS1_3genE10ELNS1_11target_archE1200ELNS1_3gpuE4ELNS1_3repE0EEENS1_30default_config_static_selectorELNS0_4arch9wavefront6targetE1EEEvT1_,comdat
	.protected	_ZN7rocprim17ROCPRIM_400000_NS6detail17trampoline_kernelINS0_14default_configENS1_20scan_config_selectorIfEEZZNS1_9scan_implILNS1_25lookback_scan_determinismE0ELb0ELb0ES3_N6thrust23THRUST_200600_302600_NS6detail15normal_iteratorINS9_10device_ptrIfEEEESE_fNS9_4plusIiEEfEEDaPvRmT3_T4_T5_mT6_P12ihipStream_tbENKUlT_T0_E_clISt17integral_constantIbLb0EESU_EEDaSP_SQ_EUlSP_E0_NS1_11comp_targetILNS1_3genE10ELNS1_11target_archE1200ELNS1_3gpuE4ELNS1_3repE0EEENS1_30default_config_static_selectorELNS0_4arch9wavefront6targetE1EEEvT1_ ; -- Begin function _ZN7rocprim17ROCPRIM_400000_NS6detail17trampoline_kernelINS0_14default_configENS1_20scan_config_selectorIfEEZZNS1_9scan_implILNS1_25lookback_scan_determinismE0ELb0ELb0ES3_N6thrust23THRUST_200600_302600_NS6detail15normal_iteratorINS9_10device_ptrIfEEEESE_fNS9_4plusIiEEfEEDaPvRmT3_T4_T5_mT6_P12ihipStream_tbENKUlT_T0_E_clISt17integral_constantIbLb0EESU_EEDaSP_SQ_EUlSP_E0_NS1_11comp_targetILNS1_3genE10ELNS1_11target_archE1200ELNS1_3gpuE4ELNS1_3repE0EEENS1_30default_config_static_selectorELNS0_4arch9wavefront6targetE1EEEvT1_
	.globl	_ZN7rocprim17ROCPRIM_400000_NS6detail17trampoline_kernelINS0_14default_configENS1_20scan_config_selectorIfEEZZNS1_9scan_implILNS1_25lookback_scan_determinismE0ELb0ELb0ES3_N6thrust23THRUST_200600_302600_NS6detail15normal_iteratorINS9_10device_ptrIfEEEESE_fNS9_4plusIiEEfEEDaPvRmT3_T4_T5_mT6_P12ihipStream_tbENKUlT_T0_E_clISt17integral_constantIbLb0EESU_EEDaSP_SQ_EUlSP_E0_NS1_11comp_targetILNS1_3genE10ELNS1_11target_archE1200ELNS1_3gpuE4ELNS1_3repE0EEENS1_30default_config_static_selectorELNS0_4arch9wavefront6targetE1EEEvT1_
	.p2align	8
	.type	_ZN7rocprim17ROCPRIM_400000_NS6detail17trampoline_kernelINS0_14default_configENS1_20scan_config_selectorIfEEZZNS1_9scan_implILNS1_25lookback_scan_determinismE0ELb0ELb0ES3_N6thrust23THRUST_200600_302600_NS6detail15normal_iteratorINS9_10device_ptrIfEEEESE_fNS9_4plusIiEEfEEDaPvRmT3_T4_T5_mT6_P12ihipStream_tbENKUlT_T0_E_clISt17integral_constantIbLb0EESU_EEDaSP_SQ_EUlSP_E0_NS1_11comp_targetILNS1_3genE10ELNS1_11target_archE1200ELNS1_3gpuE4ELNS1_3repE0EEENS1_30default_config_static_selectorELNS0_4arch9wavefront6targetE1EEEvT1_,@function
_ZN7rocprim17ROCPRIM_400000_NS6detail17trampoline_kernelINS0_14default_configENS1_20scan_config_selectorIfEEZZNS1_9scan_implILNS1_25lookback_scan_determinismE0ELb0ELb0ES3_N6thrust23THRUST_200600_302600_NS6detail15normal_iteratorINS9_10device_ptrIfEEEESE_fNS9_4plusIiEEfEEDaPvRmT3_T4_T5_mT6_P12ihipStream_tbENKUlT_T0_E_clISt17integral_constantIbLb0EESU_EEDaSP_SQ_EUlSP_E0_NS1_11comp_targetILNS1_3genE10ELNS1_11target_archE1200ELNS1_3gpuE4ELNS1_3repE0EEENS1_30default_config_static_selectorELNS0_4arch9wavefront6targetE1EEEvT1_: ; @_ZN7rocprim17ROCPRIM_400000_NS6detail17trampoline_kernelINS0_14default_configENS1_20scan_config_selectorIfEEZZNS1_9scan_implILNS1_25lookback_scan_determinismE0ELb0ELb0ES3_N6thrust23THRUST_200600_302600_NS6detail15normal_iteratorINS9_10device_ptrIfEEEESE_fNS9_4plusIiEEfEEDaPvRmT3_T4_T5_mT6_P12ihipStream_tbENKUlT_T0_E_clISt17integral_constantIbLb0EESU_EEDaSP_SQ_EUlSP_E0_NS1_11comp_targetILNS1_3genE10ELNS1_11target_archE1200ELNS1_3gpuE4ELNS1_3repE0EEENS1_30default_config_static_selectorELNS0_4arch9wavefront6targetE1EEEvT1_
; %bb.0:
	.section	.rodata,"a",@progbits
	.p2align	6, 0x0
	.amdhsa_kernel _ZN7rocprim17ROCPRIM_400000_NS6detail17trampoline_kernelINS0_14default_configENS1_20scan_config_selectorIfEEZZNS1_9scan_implILNS1_25lookback_scan_determinismE0ELb0ELb0ES3_N6thrust23THRUST_200600_302600_NS6detail15normal_iteratorINS9_10device_ptrIfEEEESE_fNS9_4plusIiEEfEEDaPvRmT3_T4_T5_mT6_P12ihipStream_tbENKUlT_T0_E_clISt17integral_constantIbLb0EESU_EEDaSP_SQ_EUlSP_E0_NS1_11comp_targetILNS1_3genE10ELNS1_11target_archE1200ELNS1_3gpuE4ELNS1_3repE0EEENS1_30default_config_static_selectorELNS0_4arch9wavefront6targetE1EEEvT1_
		.amdhsa_group_segment_fixed_size 0
		.amdhsa_private_segment_fixed_size 0
		.amdhsa_kernarg_size 32
		.amdhsa_user_sgpr_count 6
		.amdhsa_user_sgpr_private_segment_buffer 1
		.amdhsa_user_sgpr_dispatch_ptr 0
		.amdhsa_user_sgpr_queue_ptr 0
		.amdhsa_user_sgpr_kernarg_segment_ptr 1
		.amdhsa_user_sgpr_dispatch_id 0
		.amdhsa_user_sgpr_flat_scratch_init 0
		.amdhsa_user_sgpr_kernarg_preload_length 0
		.amdhsa_user_sgpr_kernarg_preload_offset 0
		.amdhsa_user_sgpr_private_segment_size 0
		.amdhsa_uses_dynamic_stack 0
		.amdhsa_system_sgpr_private_segment_wavefront_offset 0
		.amdhsa_system_sgpr_workgroup_id_x 1
		.amdhsa_system_sgpr_workgroup_id_y 0
		.amdhsa_system_sgpr_workgroup_id_z 0
		.amdhsa_system_sgpr_workgroup_info 0
		.amdhsa_system_vgpr_workitem_id 0
		.amdhsa_next_free_vgpr 1
		.amdhsa_next_free_sgpr 0
		.amdhsa_accum_offset 4
		.amdhsa_reserve_vcc 0
		.amdhsa_reserve_flat_scratch 0
		.amdhsa_float_round_mode_32 0
		.amdhsa_float_round_mode_16_64 0
		.amdhsa_float_denorm_mode_32 3
		.amdhsa_float_denorm_mode_16_64 3
		.amdhsa_dx10_clamp 1
		.amdhsa_ieee_mode 1
		.amdhsa_fp16_overflow 0
		.amdhsa_tg_split 0
		.amdhsa_exception_fp_ieee_invalid_op 0
		.amdhsa_exception_fp_denorm_src 0
		.amdhsa_exception_fp_ieee_div_zero 0
		.amdhsa_exception_fp_ieee_overflow 0
		.amdhsa_exception_fp_ieee_underflow 0
		.amdhsa_exception_fp_ieee_inexact 0
		.amdhsa_exception_int_div_zero 0
	.end_amdhsa_kernel
	.section	.text._ZN7rocprim17ROCPRIM_400000_NS6detail17trampoline_kernelINS0_14default_configENS1_20scan_config_selectorIfEEZZNS1_9scan_implILNS1_25lookback_scan_determinismE0ELb0ELb0ES3_N6thrust23THRUST_200600_302600_NS6detail15normal_iteratorINS9_10device_ptrIfEEEESE_fNS9_4plusIiEEfEEDaPvRmT3_T4_T5_mT6_P12ihipStream_tbENKUlT_T0_E_clISt17integral_constantIbLb0EESU_EEDaSP_SQ_EUlSP_E0_NS1_11comp_targetILNS1_3genE10ELNS1_11target_archE1200ELNS1_3gpuE4ELNS1_3repE0EEENS1_30default_config_static_selectorELNS0_4arch9wavefront6targetE1EEEvT1_,"axG",@progbits,_ZN7rocprim17ROCPRIM_400000_NS6detail17trampoline_kernelINS0_14default_configENS1_20scan_config_selectorIfEEZZNS1_9scan_implILNS1_25lookback_scan_determinismE0ELb0ELb0ES3_N6thrust23THRUST_200600_302600_NS6detail15normal_iteratorINS9_10device_ptrIfEEEESE_fNS9_4plusIiEEfEEDaPvRmT3_T4_T5_mT6_P12ihipStream_tbENKUlT_T0_E_clISt17integral_constantIbLb0EESU_EEDaSP_SQ_EUlSP_E0_NS1_11comp_targetILNS1_3genE10ELNS1_11target_archE1200ELNS1_3gpuE4ELNS1_3repE0EEENS1_30default_config_static_selectorELNS0_4arch9wavefront6targetE1EEEvT1_,comdat
.Lfunc_end1512:
	.size	_ZN7rocprim17ROCPRIM_400000_NS6detail17trampoline_kernelINS0_14default_configENS1_20scan_config_selectorIfEEZZNS1_9scan_implILNS1_25lookback_scan_determinismE0ELb0ELb0ES3_N6thrust23THRUST_200600_302600_NS6detail15normal_iteratorINS9_10device_ptrIfEEEESE_fNS9_4plusIiEEfEEDaPvRmT3_T4_T5_mT6_P12ihipStream_tbENKUlT_T0_E_clISt17integral_constantIbLb0EESU_EEDaSP_SQ_EUlSP_E0_NS1_11comp_targetILNS1_3genE10ELNS1_11target_archE1200ELNS1_3gpuE4ELNS1_3repE0EEENS1_30default_config_static_selectorELNS0_4arch9wavefront6targetE1EEEvT1_, .Lfunc_end1512-_ZN7rocprim17ROCPRIM_400000_NS6detail17trampoline_kernelINS0_14default_configENS1_20scan_config_selectorIfEEZZNS1_9scan_implILNS1_25lookback_scan_determinismE0ELb0ELb0ES3_N6thrust23THRUST_200600_302600_NS6detail15normal_iteratorINS9_10device_ptrIfEEEESE_fNS9_4plusIiEEfEEDaPvRmT3_T4_T5_mT6_P12ihipStream_tbENKUlT_T0_E_clISt17integral_constantIbLb0EESU_EEDaSP_SQ_EUlSP_E0_NS1_11comp_targetILNS1_3genE10ELNS1_11target_archE1200ELNS1_3gpuE4ELNS1_3repE0EEENS1_30default_config_static_selectorELNS0_4arch9wavefront6targetE1EEEvT1_
                                        ; -- End function
	.section	.AMDGPU.csdata,"",@progbits
; Kernel info:
; codeLenInByte = 0
; NumSgprs: 4
; NumVgprs: 0
; NumAgprs: 0
; TotalNumVgprs: 0
; ScratchSize: 0
; MemoryBound: 0
; FloatMode: 240
; IeeeMode: 1
; LDSByteSize: 0 bytes/workgroup (compile time only)
; SGPRBlocks: 0
; VGPRBlocks: 0
; NumSGPRsForWavesPerEU: 4
; NumVGPRsForWavesPerEU: 1
; AccumOffset: 4
; Occupancy: 8
; WaveLimiterHint : 0
; COMPUTE_PGM_RSRC2:SCRATCH_EN: 0
; COMPUTE_PGM_RSRC2:USER_SGPR: 6
; COMPUTE_PGM_RSRC2:TRAP_HANDLER: 0
; COMPUTE_PGM_RSRC2:TGID_X_EN: 1
; COMPUTE_PGM_RSRC2:TGID_Y_EN: 0
; COMPUTE_PGM_RSRC2:TGID_Z_EN: 0
; COMPUTE_PGM_RSRC2:TIDIG_COMP_CNT: 0
; COMPUTE_PGM_RSRC3_GFX90A:ACCUM_OFFSET: 0
; COMPUTE_PGM_RSRC3_GFX90A:TG_SPLIT: 0
	.section	.text._ZN7rocprim17ROCPRIM_400000_NS6detail17trampoline_kernelINS0_14default_configENS1_20scan_config_selectorIfEEZZNS1_9scan_implILNS1_25lookback_scan_determinismE0ELb0ELb0ES3_N6thrust23THRUST_200600_302600_NS6detail15normal_iteratorINS9_10device_ptrIfEEEESE_fNS9_4plusIiEEfEEDaPvRmT3_T4_T5_mT6_P12ihipStream_tbENKUlT_T0_E_clISt17integral_constantIbLb0EESU_EEDaSP_SQ_EUlSP_E0_NS1_11comp_targetILNS1_3genE9ELNS1_11target_archE1100ELNS1_3gpuE3ELNS1_3repE0EEENS1_30default_config_static_selectorELNS0_4arch9wavefront6targetE1EEEvT1_,"axG",@progbits,_ZN7rocprim17ROCPRIM_400000_NS6detail17trampoline_kernelINS0_14default_configENS1_20scan_config_selectorIfEEZZNS1_9scan_implILNS1_25lookback_scan_determinismE0ELb0ELb0ES3_N6thrust23THRUST_200600_302600_NS6detail15normal_iteratorINS9_10device_ptrIfEEEESE_fNS9_4plusIiEEfEEDaPvRmT3_T4_T5_mT6_P12ihipStream_tbENKUlT_T0_E_clISt17integral_constantIbLb0EESU_EEDaSP_SQ_EUlSP_E0_NS1_11comp_targetILNS1_3genE9ELNS1_11target_archE1100ELNS1_3gpuE3ELNS1_3repE0EEENS1_30default_config_static_selectorELNS0_4arch9wavefront6targetE1EEEvT1_,comdat
	.protected	_ZN7rocprim17ROCPRIM_400000_NS6detail17trampoline_kernelINS0_14default_configENS1_20scan_config_selectorIfEEZZNS1_9scan_implILNS1_25lookback_scan_determinismE0ELb0ELb0ES3_N6thrust23THRUST_200600_302600_NS6detail15normal_iteratorINS9_10device_ptrIfEEEESE_fNS9_4plusIiEEfEEDaPvRmT3_T4_T5_mT6_P12ihipStream_tbENKUlT_T0_E_clISt17integral_constantIbLb0EESU_EEDaSP_SQ_EUlSP_E0_NS1_11comp_targetILNS1_3genE9ELNS1_11target_archE1100ELNS1_3gpuE3ELNS1_3repE0EEENS1_30default_config_static_selectorELNS0_4arch9wavefront6targetE1EEEvT1_ ; -- Begin function _ZN7rocprim17ROCPRIM_400000_NS6detail17trampoline_kernelINS0_14default_configENS1_20scan_config_selectorIfEEZZNS1_9scan_implILNS1_25lookback_scan_determinismE0ELb0ELb0ES3_N6thrust23THRUST_200600_302600_NS6detail15normal_iteratorINS9_10device_ptrIfEEEESE_fNS9_4plusIiEEfEEDaPvRmT3_T4_T5_mT6_P12ihipStream_tbENKUlT_T0_E_clISt17integral_constantIbLb0EESU_EEDaSP_SQ_EUlSP_E0_NS1_11comp_targetILNS1_3genE9ELNS1_11target_archE1100ELNS1_3gpuE3ELNS1_3repE0EEENS1_30default_config_static_selectorELNS0_4arch9wavefront6targetE1EEEvT1_
	.globl	_ZN7rocprim17ROCPRIM_400000_NS6detail17trampoline_kernelINS0_14default_configENS1_20scan_config_selectorIfEEZZNS1_9scan_implILNS1_25lookback_scan_determinismE0ELb0ELb0ES3_N6thrust23THRUST_200600_302600_NS6detail15normal_iteratorINS9_10device_ptrIfEEEESE_fNS9_4plusIiEEfEEDaPvRmT3_T4_T5_mT6_P12ihipStream_tbENKUlT_T0_E_clISt17integral_constantIbLb0EESU_EEDaSP_SQ_EUlSP_E0_NS1_11comp_targetILNS1_3genE9ELNS1_11target_archE1100ELNS1_3gpuE3ELNS1_3repE0EEENS1_30default_config_static_selectorELNS0_4arch9wavefront6targetE1EEEvT1_
	.p2align	8
	.type	_ZN7rocprim17ROCPRIM_400000_NS6detail17trampoline_kernelINS0_14default_configENS1_20scan_config_selectorIfEEZZNS1_9scan_implILNS1_25lookback_scan_determinismE0ELb0ELb0ES3_N6thrust23THRUST_200600_302600_NS6detail15normal_iteratorINS9_10device_ptrIfEEEESE_fNS9_4plusIiEEfEEDaPvRmT3_T4_T5_mT6_P12ihipStream_tbENKUlT_T0_E_clISt17integral_constantIbLb0EESU_EEDaSP_SQ_EUlSP_E0_NS1_11comp_targetILNS1_3genE9ELNS1_11target_archE1100ELNS1_3gpuE3ELNS1_3repE0EEENS1_30default_config_static_selectorELNS0_4arch9wavefront6targetE1EEEvT1_,@function
_ZN7rocprim17ROCPRIM_400000_NS6detail17trampoline_kernelINS0_14default_configENS1_20scan_config_selectorIfEEZZNS1_9scan_implILNS1_25lookback_scan_determinismE0ELb0ELb0ES3_N6thrust23THRUST_200600_302600_NS6detail15normal_iteratorINS9_10device_ptrIfEEEESE_fNS9_4plusIiEEfEEDaPvRmT3_T4_T5_mT6_P12ihipStream_tbENKUlT_T0_E_clISt17integral_constantIbLb0EESU_EEDaSP_SQ_EUlSP_E0_NS1_11comp_targetILNS1_3genE9ELNS1_11target_archE1100ELNS1_3gpuE3ELNS1_3repE0EEENS1_30default_config_static_selectorELNS0_4arch9wavefront6targetE1EEEvT1_: ; @_ZN7rocprim17ROCPRIM_400000_NS6detail17trampoline_kernelINS0_14default_configENS1_20scan_config_selectorIfEEZZNS1_9scan_implILNS1_25lookback_scan_determinismE0ELb0ELb0ES3_N6thrust23THRUST_200600_302600_NS6detail15normal_iteratorINS9_10device_ptrIfEEEESE_fNS9_4plusIiEEfEEDaPvRmT3_T4_T5_mT6_P12ihipStream_tbENKUlT_T0_E_clISt17integral_constantIbLb0EESU_EEDaSP_SQ_EUlSP_E0_NS1_11comp_targetILNS1_3genE9ELNS1_11target_archE1100ELNS1_3gpuE3ELNS1_3repE0EEENS1_30default_config_static_selectorELNS0_4arch9wavefront6targetE1EEEvT1_
; %bb.0:
	.section	.rodata,"a",@progbits
	.p2align	6, 0x0
	.amdhsa_kernel _ZN7rocprim17ROCPRIM_400000_NS6detail17trampoline_kernelINS0_14default_configENS1_20scan_config_selectorIfEEZZNS1_9scan_implILNS1_25lookback_scan_determinismE0ELb0ELb0ES3_N6thrust23THRUST_200600_302600_NS6detail15normal_iteratorINS9_10device_ptrIfEEEESE_fNS9_4plusIiEEfEEDaPvRmT3_T4_T5_mT6_P12ihipStream_tbENKUlT_T0_E_clISt17integral_constantIbLb0EESU_EEDaSP_SQ_EUlSP_E0_NS1_11comp_targetILNS1_3genE9ELNS1_11target_archE1100ELNS1_3gpuE3ELNS1_3repE0EEENS1_30default_config_static_selectorELNS0_4arch9wavefront6targetE1EEEvT1_
		.amdhsa_group_segment_fixed_size 0
		.amdhsa_private_segment_fixed_size 0
		.amdhsa_kernarg_size 32
		.amdhsa_user_sgpr_count 6
		.amdhsa_user_sgpr_private_segment_buffer 1
		.amdhsa_user_sgpr_dispatch_ptr 0
		.amdhsa_user_sgpr_queue_ptr 0
		.amdhsa_user_sgpr_kernarg_segment_ptr 1
		.amdhsa_user_sgpr_dispatch_id 0
		.amdhsa_user_sgpr_flat_scratch_init 0
		.amdhsa_user_sgpr_kernarg_preload_length 0
		.amdhsa_user_sgpr_kernarg_preload_offset 0
		.amdhsa_user_sgpr_private_segment_size 0
		.amdhsa_uses_dynamic_stack 0
		.amdhsa_system_sgpr_private_segment_wavefront_offset 0
		.amdhsa_system_sgpr_workgroup_id_x 1
		.amdhsa_system_sgpr_workgroup_id_y 0
		.amdhsa_system_sgpr_workgroup_id_z 0
		.amdhsa_system_sgpr_workgroup_info 0
		.amdhsa_system_vgpr_workitem_id 0
		.amdhsa_next_free_vgpr 1
		.amdhsa_next_free_sgpr 0
		.amdhsa_accum_offset 4
		.amdhsa_reserve_vcc 0
		.amdhsa_reserve_flat_scratch 0
		.amdhsa_float_round_mode_32 0
		.amdhsa_float_round_mode_16_64 0
		.amdhsa_float_denorm_mode_32 3
		.amdhsa_float_denorm_mode_16_64 3
		.amdhsa_dx10_clamp 1
		.amdhsa_ieee_mode 1
		.amdhsa_fp16_overflow 0
		.amdhsa_tg_split 0
		.amdhsa_exception_fp_ieee_invalid_op 0
		.amdhsa_exception_fp_denorm_src 0
		.amdhsa_exception_fp_ieee_div_zero 0
		.amdhsa_exception_fp_ieee_overflow 0
		.amdhsa_exception_fp_ieee_underflow 0
		.amdhsa_exception_fp_ieee_inexact 0
		.amdhsa_exception_int_div_zero 0
	.end_amdhsa_kernel
	.section	.text._ZN7rocprim17ROCPRIM_400000_NS6detail17trampoline_kernelINS0_14default_configENS1_20scan_config_selectorIfEEZZNS1_9scan_implILNS1_25lookback_scan_determinismE0ELb0ELb0ES3_N6thrust23THRUST_200600_302600_NS6detail15normal_iteratorINS9_10device_ptrIfEEEESE_fNS9_4plusIiEEfEEDaPvRmT3_T4_T5_mT6_P12ihipStream_tbENKUlT_T0_E_clISt17integral_constantIbLb0EESU_EEDaSP_SQ_EUlSP_E0_NS1_11comp_targetILNS1_3genE9ELNS1_11target_archE1100ELNS1_3gpuE3ELNS1_3repE0EEENS1_30default_config_static_selectorELNS0_4arch9wavefront6targetE1EEEvT1_,"axG",@progbits,_ZN7rocprim17ROCPRIM_400000_NS6detail17trampoline_kernelINS0_14default_configENS1_20scan_config_selectorIfEEZZNS1_9scan_implILNS1_25lookback_scan_determinismE0ELb0ELb0ES3_N6thrust23THRUST_200600_302600_NS6detail15normal_iteratorINS9_10device_ptrIfEEEESE_fNS9_4plusIiEEfEEDaPvRmT3_T4_T5_mT6_P12ihipStream_tbENKUlT_T0_E_clISt17integral_constantIbLb0EESU_EEDaSP_SQ_EUlSP_E0_NS1_11comp_targetILNS1_3genE9ELNS1_11target_archE1100ELNS1_3gpuE3ELNS1_3repE0EEENS1_30default_config_static_selectorELNS0_4arch9wavefront6targetE1EEEvT1_,comdat
.Lfunc_end1513:
	.size	_ZN7rocprim17ROCPRIM_400000_NS6detail17trampoline_kernelINS0_14default_configENS1_20scan_config_selectorIfEEZZNS1_9scan_implILNS1_25lookback_scan_determinismE0ELb0ELb0ES3_N6thrust23THRUST_200600_302600_NS6detail15normal_iteratorINS9_10device_ptrIfEEEESE_fNS9_4plusIiEEfEEDaPvRmT3_T4_T5_mT6_P12ihipStream_tbENKUlT_T0_E_clISt17integral_constantIbLb0EESU_EEDaSP_SQ_EUlSP_E0_NS1_11comp_targetILNS1_3genE9ELNS1_11target_archE1100ELNS1_3gpuE3ELNS1_3repE0EEENS1_30default_config_static_selectorELNS0_4arch9wavefront6targetE1EEEvT1_, .Lfunc_end1513-_ZN7rocprim17ROCPRIM_400000_NS6detail17trampoline_kernelINS0_14default_configENS1_20scan_config_selectorIfEEZZNS1_9scan_implILNS1_25lookback_scan_determinismE0ELb0ELb0ES3_N6thrust23THRUST_200600_302600_NS6detail15normal_iteratorINS9_10device_ptrIfEEEESE_fNS9_4plusIiEEfEEDaPvRmT3_T4_T5_mT6_P12ihipStream_tbENKUlT_T0_E_clISt17integral_constantIbLb0EESU_EEDaSP_SQ_EUlSP_E0_NS1_11comp_targetILNS1_3genE9ELNS1_11target_archE1100ELNS1_3gpuE3ELNS1_3repE0EEENS1_30default_config_static_selectorELNS0_4arch9wavefront6targetE1EEEvT1_
                                        ; -- End function
	.section	.AMDGPU.csdata,"",@progbits
; Kernel info:
; codeLenInByte = 0
; NumSgprs: 4
; NumVgprs: 0
; NumAgprs: 0
; TotalNumVgprs: 0
; ScratchSize: 0
; MemoryBound: 0
; FloatMode: 240
; IeeeMode: 1
; LDSByteSize: 0 bytes/workgroup (compile time only)
; SGPRBlocks: 0
; VGPRBlocks: 0
; NumSGPRsForWavesPerEU: 4
; NumVGPRsForWavesPerEU: 1
; AccumOffset: 4
; Occupancy: 8
; WaveLimiterHint : 0
; COMPUTE_PGM_RSRC2:SCRATCH_EN: 0
; COMPUTE_PGM_RSRC2:USER_SGPR: 6
; COMPUTE_PGM_RSRC2:TRAP_HANDLER: 0
; COMPUTE_PGM_RSRC2:TGID_X_EN: 1
; COMPUTE_PGM_RSRC2:TGID_Y_EN: 0
; COMPUTE_PGM_RSRC2:TGID_Z_EN: 0
; COMPUTE_PGM_RSRC2:TIDIG_COMP_CNT: 0
; COMPUTE_PGM_RSRC3_GFX90A:ACCUM_OFFSET: 0
; COMPUTE_PGM_RSRC3_GFX90A:TG_SPLIT: 0
	.section	.text._ZN7rocprim17ROCPRIM_400000_NS6detail17trampoline_kernelINS0_14default_configENS1_20scan_config_selectorIfEEZZNS1_9scan_implILNS1_25lookback_scan_determinismE0ELb0ELb0ES3_N6thrust23THRUST_200600_302600_NS6detail15normal_iteratorINS9_10device_ptrIfEEEESE_fNS9_4plusIiEEfEEDaPvRmT3_T4_T5_mT6_P12ihipStream_tbENKUlT_T0_E_clISt17integral_constantIbLb0EESU_EEDaSP_SQ_EUlSP_E0_NS1_11comp_targetILNS1_3genE8ELNS1_11target_archE1030ELNS1_3gpuE2ELNS1_3repE0EEENS1_30default_config_static_selectorELNS0_4arch9wavefront6targetE1EEEvT1_,"axG",@progbits,_ZN7rocprim17ROCPRIM_400000_NS6detail17trampoline_kernelINS0_14default_configENS1_20scan_config_selectorIfEEZZNS1_9scan_implILNS1_25lookback_scan_determinismE0ELb0ELb0ES3_N6thrust23THRUST_200600_302600_NS6detail15normal_iteratorINS9_10device_ptrIfEEEESE_fNS9_4plusIiEEfEEDaPvRmT3_T4_T5_mT6_P12ihipStream_tbENKUlT_T0_E_clISt17integral_constantIbLb0EESU_EEDaSP_SQ_EUlSP_E0_NS1_11comp_targetILNS1_3genE8ELNS1_11target_archE1030ELNS1_3gpuE2ELNS1_3repE0EEENS1_30default_config_static_selectorELNS0_4arch9wavefront6targetE1EEEvT1_,comdat
	.protected	_ZN7rocprim17ROCPRIM_400000_NS6detail17trampoline_kernelINS0_14default_configENS1_20scan_config_selectorIfEEZZNS1_9scan_implILNS1_25lookback_scan_determinismE0ELb0ELb0ES3_N6thrust23THRUST_200600_302600_NS6detail15normal_iteratorINS9_10device_ptrIfEEEESE_fNS9_4plusIiEEfEEDaPvRmT3_T4_T5_mT6_P12ihipStream_tbENKUlT_T0_E_clISt17integral_constantIbLb0EESU_EEDaSP_SQ_EUlSP_E0_NS1_11comp_targetILNS1_3genE8ELNS1_11target_archE1030ELNS1_3gpuE2ELNS1_3repE0EEENS1_30default_config_static_selectorELNS0_4arch9wavefront6targetE1EEEvT1_ ; -- Begin function _ZN7rocprim17ROCPRIM_400000_NS6detail17trampoline_kernelINS0_14default_configENS1_20scan_config_selectorIfEEZZNS1_9scan_implILNS1_25lookback_scan_determinismE0ELb0ELb0ES3_N6thrust23THRUST_200600_302600_NS6detail15normal_iteratorINS9_10device_ptrIfEEEESE_fNS9_4plusIiEEfEEDaPvRmT3_T4_T5_mT6_P12ihipStream_tbENKUlT_T0_E_clISt17integral_constantIbLb0EESU_EEDaSP_SQ_EUlSP_E0_NS1_11comp_targetILNS1_3genE8ELNS1_11target_archE1030ELNS1_3gpuE2ELNS1_3repE0EEENS1_30default_config_static_selectorELNS0_4arch9wavefront6targetE1EEEvT1_
	.globl	_ZN7rocprim17ROCPRIM_400000_NS6detail17trampoline_kernelINS0_14default_configENS1_20scan_config_selectorIfEEZZNS1_9scan_implILNS1_25lookback_scan_determinismE0ELb0ELb0ES3_N6thrust23THRUST_200600_302600_NS6detail15normal_iteratorINS9_10device_ptrIfEEEESE_fNS9_4plusIiEEfEEDaPvRmT3_T4_T5_mT6_P12ihipStream_tbENKUlT_T0_E_clISt17integral_constantIbLb0EESU_EEDaSP_SQ_EUlSP_E0_NS1_11comp_targetILNS1_3genE8ELNS1_11target_archE1030ELNS1_3gpuE2ELNS1_3repE0EEENS1_30default_config_static_selectorELNS0_4arch9wavefront6targetE1EEEvT1_
	.p2align	8
	.type	_ZN7rocprim17ROCPRIM_400000_NS6detail17trampoline_kernelINS0_14default_configENS1_20scan_config_selectorIfEEZZNS1_9scan_implILNS1_25lookback_scan_determinismE0ELb0ELb0ES3_N6thrust23THRUST_200600_302600_NS6detail15normal_iteratorINS9_10device_ptrIfEEEESE_fNS9_4plusIiEEfEEDaPvRmT3_T4_T5_mT6_P12ihipStream_tbENKUlT_T0_E_clISt17integral_constantIbLb0EESU_EEDaSP_SQ_EUlSP_E0_NS1_11comp_targetILNS1_3genE8ELNS1_11target_archE1030ELNS1_3gpuE2ELNS1_3repE0EEENS1_30default_config_static_selectorELNS0_4arch9wavefront6targetE1EEEvT1_,@function
_ZN7rocprim17ROCPRIM_400000_NS6detail17trampoline_kernelINS0_14default_configENS1_20scan_config_selectorIfEEZZNS1_9scan_implILNS1_25lookback_scan_determinismE0ELb0ELb0ES3_N6thrust23THRUST_200600_302600_NS6detail15normal_iteratorINS9_10device_ptrIfEEEESE_fNS9_4plusIiEEfEEDaPvRmT3_T4_T5_mT6_P12ihipStream_tbENKUlT_T0_E_clISt17integral_constantIbLb0EESU_EEDaSP_SQ_EUlSP_E0_NS1_11comp_targetILNS1_3genE8ELNS1_11target_archE1030ELNS1_3gpuE2ELNS1_3repE0EEENS1_30default_config_static_selectorELNS0_4arch9wavefront6targetE1EEEvT1_: ; @_ZN7rocprim17ROCPRIM_400000_NS6detail17trampoline_kernelINS0_14default_configENS1_20scan_config_selectorIfEEZZNS1_9scan_implILNS1_25lookback_scan_determinismE0ELb0ELb0ES3_N6thrust23THRUST_200600_302600_NS6detail15normal_iteratorINS9_10device_ptrIfEEEESE_fNS9_4plusIiEEfEEDaPvRmT3_T4_T5_mT6_P12ihipStream_tbENKUlT_T0_E_clISt17integral_constantIbLb0EESU_EEDaSP_SQ_EUlSP_E0_NS1_11comp_targetILNS1_3genE8ELNS1_11target_archE1030ELNS1_3gpuE2ELNS1_3repE0EEENS1_30default_config_static_selectorELNS0_4arch9wavefront6targetE1EEEvT1_
; %bb.0:
	.section	.rodata,"a",@progbits
	.p2align	6, 0x0
	.amdhsa_kernel _ZN7rocprim17ROCPRIM_400000_NS6detail17trampoline_kernelINS0_14default_configENS1_20scan_config_selectorIfEEZZNS1_9scan_implILNS1_25lookback_scan_determinismE0ELb0ELb0ES3_N6thrust23THRUST_200600_302600_NS6detail15normal_iteratorINS9_10device_ptrIfEEEESE_fNS9_4plusIiEEfEEDaPvRmT3_T4_T5_mT6_P12ihipStream_tbENKUlT_T0_E_clISt17integral_constantIbLb0EESU_EEDaSP_SQ_EUlSP_E0_NS1_11comp_targetILNS1_3genE8ELNS1_11target_archE1030ELNS1_3gpuE2ELNS1_3repE0EEENS1_30default_config_static_selectorELNS0_4arch9wavefront6targetE1EEEvT1_
		.amdhsa_group_segment_fixed_size 0
		.amdhsa_private_segment_fixed_size 0
		.amdhsa_kernarg_size 32
		.amdhsa_user_sgpr_count 6
		.amdhsa_user_sgpr_private_segment_buffer 1
		.amdhsa_user_sgpr_dispatch_ptr 0
		.amdhsa_user_sgpr_queue_ptr 0
		.amdhsa_user_sgpr_kernarg_segment_ptr 1
		.amdhsa_user_sgpr_dispatch_id 0
		.amdhsa_user_sgpr_flat_scratch_init 0
		.amdhsa_user_sgpr_kernarg_preload_length 0
		.amdhsa_user_sgpr_kernarg_preload_offset 0
		.amdhsa_user_sgpr_private_segment_size 0
		.amdhsa_uses_dynamic_stack 0
		.amdhsa_system_sgpr_private_segment_wavefront_offset 0
		.amdhsa_system_sgpr_workgroup_id_x 1
		.amdhsa_system_sgpr_workgroup_id_y 0
		.amdhsa_system_sgpr_workgroup_id_z 0
		.amdhsa_system_sgpr_workgroup_info 0
		.amdhsa_system_vgpr_workitem_id 0
		.amdhsa_next_free_vgpr 1
		.amdhsa_next_free_sgpr 0
		.amdhsa_accum_offset 4
		.amdhsa_reserve_vcc 0
		.amdhsa_reserve_flat_scratch 0
		.amdhsa_float_round_mode_32 0
		.amdhsa_float_round_mode_16_64 0
		.amdhsa_float_denorm_mode_32 3
		.amdhsa_float_denorm_mode_16_64 3
		.amdhsa_dx10_clamp 1
		.amdhsa_ieee_mode 1
		.amdhsa_fp16_overflow 0
		.amdhsa_tg_split 0
		.amdhsa_exception_fp_ieee_invalid_op 0
		.amdhsa_exception_fp_denorm_src 0
		.amdhsa_exception_fp_ieee_div_zero 0
		.amdhsa_exception_fp_ieee_overflow 0
		.amdhsa_exception_fp_ieee_underflow 0
		.amdhsa_exception_fp_ieee_inexact 0
		.amdhsa_exception_int_div_zero 0
	.end_amdhsa_kernel
	.section	.text._ZN7rocprim17ROCPRIM_400000_NS6detail17trampoline_kernelINS0_14default_configENS1_20scan_config_selectorIfEEZZNS1_9scan_implILNS1_25lookback_scan_determinismE0ELb0ELb0ES3_N6thrust23THRUST_200600_302600_NS6detail15normal_iteratorINS9_10device_ptrIfEEEESE_fNS9_4plusIiEEfEEDaPvRmT3_T4_T5_mT6_P12ihipStream_tbENKUlT_T0_E_clISt17integral_constantIbLb0EESU_EEDaSP_SQ_EUlSP_E0_NS1_11comp_targetILNS1_3genE8ELNS1_11target_archE1030ELNS1_3gpuE2ELNS1_3repE0EEENS1_30default_config_static_selectorELNS0_4arch9wavefront6targetE1EEEvT1_,"axG",@progbits,_ZN7rocprim17ROCPRIM_400000_NS6detail17trampoline_kernelINS0_14default_configENS1_20scan_config_selectorIfEEZZNS1_9scan_implILNS1_25lookback_scan_determinismE0ELb0ELb0ES3_N6thrust23THRUST_200600_302600_NS6detail15normal_iteratorINS9_10device_ptrIfEEEESE_fNS9_4plusIiEEfEEDaPvRmT3_T4_T5_mT6_P12ihipStream_tbENKUlT_T0_E_clISt17integral_constantIbLb0EESU_EEDaSP_SQ_EUlSP_E0_NS1_11comp_targetILNS1_3genE8ELNS1_11target_archE1030ELNS1_3gpuE2ELNS1_3repE0EEENS1_30default_config_static_selectorELNS0_4arch9wavefront6targetE1EEEvT1_,comdat
.Lfunc_end1514:
	.size	_ZN7rocprim17ROCPRIM_400000_NS6detail17trampoline_kernelINS0_14default_configENS1_20scan_config_selectorIfEEZZNS1_9scan_implILNS1_25lookback_scan_determinismE0ELb0ELb0ES3_N6thrust23THRUST_200600_302600_NS6detail15normal_iteratorINS9_10device_ptrIfEEEESE_fNS9_4plusIiEEfEEDaPvRmT3_T4_T5_mT6_P12ihipStream_tbENKUlT_T0_E_clISt17integral_constantIbLb0EESU_EEDaSP_SQ_EUlSP_E0_NS1_11comp_targetILNS1_3genE8ELNS1_11target_archE1030ELNS1_3gpuE2ELNS1_3repE0EEENS1_30default_config_static_selectorELNS0_4arch9wavefront6targetE1EEEvT1_, .Lfunc_end1514-_ZN7rocprim17ROCPRIM_400000_NS6detail17trampoline_kernelINS0_14default_configENS1_20scan_config_selectorIfEEZZNS1_9scan_implILNS1_25lookback_scan_determinismE0ELb0ELb0ES3_N6thrust23THRUST_200600_302600_NS6detail15normal_iteratorINS9_10device_ptrIfEEEESE_fNS9_4plusIiEEfEEDaPvRmT3_T4_T5_mT6_P12ihipStream_tbENKUlT_T0_E_clISt17integral_constantIbLb0EESU_EEDaSP_SQ_EUlSP_E0_NS1_11comp_targetILNS1_3genE8ELNS1_11target_archE1030ELNS1_3gpuE2ELNS1_3repE0EEENS1_30default_config_static_selectorELNS0_4arch9wavefront6targetE1EEEvT1_
                                        ; -- End function
	.section	.AMDGPU.csdata,"",@progbits
; Kernel info:
; codeLenInByte = 0
; NumSgprs: 4
; NumVgprs: 0
; NumAgprs: 0
; TotalNumVgprs: 0
; ScratchSize: 0
; MemoryBound: 0
; FloatMode: 240
; IeeeMode: 1
; LDSByteSize: 0 bytes/workgroup (compile time only)
; SGPRBlocks: 0
; VGPRBlocks: 0
; NumSGPRsForWavesPerEU: 4
; NumVGPRsForWavesPerEU: 1
; AccumOffset: 4
; Occupancy: 8
; WaveLimiterHint : 0
; COMPUTE_PGM_RSRC2:SCRATCH_EN: 0
; COMPUTE_PGM_RSRC2:USER_SGPR: 6
; COMPUTE_PGM_RSRC2:TRAP_HANDLER: 0
; COMPUTE_PGM_RSRC2:TGID_X_EN: 1
; COMPUTE_PGM_RSRC2:TGID_Y_EN: 0
; COMPUTE_PGM_RSRC2:TGID_Z_EN: 0
; COMPUTE_PGM_RSRC2:TIDIG_COMP_CNT: 0
; COMPUTE_PGM_RSRC3_GFX90A:ACCUM_OFFSET: 0
; COMPUTE_PGM_RSRC3_GFX90A:TG_SPLIT: 0
	.section	.text._ZN7rocprim17ROCPRIM_400000_NS6detail17trampoline_kernelINS0_14default_configENS1_20scan_config_selectorIfEEZZNS1_9scan_implILNS1_25lookback_scan_determinismE0ELb0ELb0ES3_N6thrust23THRUST_200600_302600_NS6detail15normal_iteratorINS9_10device_ptrIfEEEESE_fNS9_4plusIiEEfEEDaPvRmT3_T4_T5_mT6_P12ihipStream_tbENKUlT_T0_E_clISt17integral_constantIbLb1EESU_EEDaSP_SQ_EUlSP_E_NS1_11comp_targetILNS1_3genE0ELNS1_11target_archE4294967295ELNS1_3gpuE0ELNS1_3repE0EEENS1_30default_config_static_selectorELNS0_4arch9wavefront6targetE1EEEvT1_,"axG",@progbits,_ZN7rocprim17ROCPRIM_400000_NS6detail17trampoline_kernelINS0_14default_configENS1_20scan_config_selectorIfEEZZNS1_9scan_implILNS1_25lookback_scan_determinismE0ELb0ELb0ES3_N6thrust23THRUST_200600_302600_NS6detail15normal_iteratorINS9_10device_ptrIfEEEESE_fNS9_4plusIiEEfEEDaPvRmT3_T4_T5_mT6_P12ihipStream_tbENKUlT_T0_E_clISt17integral_constantIbLb1EESU_EEDaSP_SQ_EUlSP_E_NS1_11comp_targetILNS1_3genE0ELNS1_11target_archE4294967295ELNS1_3gpuE0ELNS1_3repE0EEENS1_30default_config_static_selectorELNS0_4arch9wavefront6targetE1EEEvT1_,comdat
	.protected	_ZN7rocprim17ROCPRIM_400000_NS6detail17trampoline_kernelINS0_14default_configENS1_20scan_config_selectorIfEEZZNS1_9scan_implILNS1_25lookback_scan_determinismE0ELb0ELb0ES3_N6thrust23THRUST_200600_302600_NS6detail15normal_iteratorINS9_10device_ptrIfEEEESE_fNS9_4plusIiEEfEEDaPvRmT3_T4_T5_mT6_P12ihipStream_tbENKUlT_T0_E_clISt17integral_constantIbLb1EESU_EEDaSP_SQ_EUlSP_E_NS1_11comp_targetILNS1_3genE0ELNS1_11target_archE4294967295ELNS1_3gpuE0ELNS1_3repE0EEENS1_30default_config_static_selectorELNS0_4arch9wavefront6targetE1EEEvT1_ ; -- Begin function _ZN7rocprim17ROCPRIM_400000_NS6detail17trampoline_kernelINS0_14default_configENS1_20scan_config_selectorIfEEZZNS1_9scan_implILNS1_25lookback_scan_determinismE0ELb0ELb0ES3_N6thrust23THRUST_200600_302600_NS6detail15normal_iteratorINS9_10device_ptrIfEEEESE_fNS9_4plusIiEEfEEDaPvRmT3_T4_T5_mT6_P12ihipStream_tbENKUlT_T0_E_clISt17integral_constantIbLb1EESU_EEDaSP_SQ_EUlSP_E_NS1_11comp_targetILNS1_3genE0ELNS1_11target_archE4294967295ELNS1_3gpuE0ELNS1_3repE0EEENS1_30default_config_static_selectorELNS0_4arch9wavefront6targetE1EEEvT1_
	.globl	_ZN7rocprim17ROCPRIM_400000_NS6detail17trampoline_kernelINS0_14default_configENS1_20scan_config_selectorIfEEZZNS1_9scan_implILNS1_25lookback_scan_determinismE0ELb0ELb0ES3_N6thrust23THRUST_200600_302600_NS6detail15normal_iteratorINS9_10device_ptrIfEEEESE_fNS9_4plusIiEEfEEDaPvRmT3_T4_T5_mT6_P12ihipStream_tbENKUlT_T0_E_clISt17integral_constantIbLb1EESU_EEDaSP_SQ_EUlSP_E_NS1_11comp_targetILNS1_3genE0ELNS1_11target_archE4294967295ELNS1_3gpuE0ELNS1_3repE0EEENS1_30default_config_static_selectorELNS0_4arch9wavefront6targetE1EEEvT1_
	.p2align	8
	.type	_ZN7rocprim17ROCPRIM_400000_NS6detail17trampoline_kernelINS0_14default_configENS1_20scan_config_selectorIfEEZZNS1_9scan_implILNS1_25lookback_scan_determinismE0ELb0ELb0ES3_N6thrust23THRUST_200600_302600_NS6detail15normal_iteratorINS9_10device_ptrIfEEEESE_fNS9_4plusIiEEfEEDaPvRmT3_T4_T5_mT6_P12ihipStream_tbENKUlT_T0_E_clISt17integral_constantIbLb1EESU_EEDaSP_SQ_EUlSP_E_NS1_11comp_targetILNS1_3genE0ELNS1_11target_archE4294967295ELNS1_3gpuE0ELNS1_3repE0EEENS1_30default_config_static_selectorELNS0_4arch9wavefront6targetE1EEEvT1_,@function
_ZN7rocprim17ROCPRIM_400000_NS6detail17trampoline_kernelINS0_14default_configENS1_20scan_config_selectorIfEEZZNS1_9scan_implILNS1_25lookback_scan_determinismE0ELb0ELb0ES3_N6thrust23THRUST_200600_302600_NS6detail15normal_iteratorINS9_10device_ptrIfEEEESE_fNS9_4plusIiEEfEEDaPvRmT3_T4_T5_mT6_P12ihipStream_tbENKUlT_T0_E_clISt17integral_constantIbLb1EESU_EEDaSP_SQ_EUlSP_E_NS1_11comp_targetILNS1_3genE0ELNS1_11target_archE4294967295ELNS1_3gpuE0ELNS1_3repE0EEENS1_30default_config_static_selectorELNS0_4arch9wavefront6targetE1EEEvT1_: ; @_ZN7rocprim17ROCPRIM_400000_NS6detail17trampoline_kernelINS0_14default_configENS1_20scan_config_selectorIfEEZZNS1_9scan_implILNS1_25lookback_scan_determinismE0ELb0ELb0ES3_N6thrust23THRUST_200600_302600_NS6detail15normal_iteratorINS9_10device_ptrIfEEEESE_fNS9_4plusIiEEfEEDaPvRmT3_T4_T5_mT6_P12ihipStream_tbENKUlT_T0_E_clISt17integral_constantIbLb1EESU_EEDaSP_SQ_EUlSP_E_NS1_11comp_targetILNS1_3genE0ELNS1_11target_archE4294967295ELNS1_3gpuE0ELNS1_3repE0EEENS1_30default_config_static_selectorELNS0_4arch9wavefront6targetE1EEEvT1_
; %bb.0:
	.section	.rodata,"a",@progbits
	.p2align	6, 0x0
	.amdhsa_kernel _ZN7rocprim17ROCPRIM_400000_NS6detail17trampoline_kernelINS0_14default_configENS1_20scan_config_selectorIfEEZZNS1_9scan_implILNS1_25lookback_scan_determinismE0ELb0ELb0ES3_N6thrust23THRUST_200600_302600_NS6detail15normal_iteratorINS9_10device_ptrIfEEEESE_fNS9_4plusIiEEfEEDaPvRmT3_T4_T5_mT6_P12ihipStream_tbENKUlT_T0_E_clISt17integral_constantIbLb1EESU_EEDaSP_SQ_EUlSP_E_NS1_11comp_targetILNS1_3genE0ELNS1_11target_archE4294967295ELNS1_3gpuE0ELNS1_3repE0EEENS1_30default_config_static_selectorELNS0_4arch9wavefront6targetE1EEEvT1_
		.amdhsa_group_segment_fixed_size 0
		.amdhsa_private_segment_fixed_size 0
		.amdhsa_kernarg_size 96
		.amdhsa_user_sgpr_count 6
		.amdhsa_user_sgpr_private_segment_buffer 1
		.amdhsa_user_sgpr_dispatch_ptr 0
		.amdhsa_user_sgpr_queue_ptr 0
		.amdhsa_user_sgpr_kernarg_segment_ptr 1
		.amdhsa_user_sgpr_dispatch_id 0
		.amdhsa_user_sgpr_flat_scratch_init 0
		.amdhsa_user_sgpr_kernarg_preload_length 0
		.amdhsa_user_sgpr_kernarg_preload_offset 0
		.amdhsa_user_sgpr_private_segment_size 0
		.amdhsa_uses_dynamic_stack 0
		.amdhsa_system_sgpr_private_segment_wavefront_offset 0
		.amdhsa_system_sgpr_workgroup_id_x 1
		.amdhsa_system_sgpr_workgroup_id_y 0
		.amdhsa_system_sgpr_workgroup_id_z 0
		.amdhsa_system_sgpr_workgroup_info 0
		.amdhsa_system_vgpr_workitem_id 0
		.amdhsa_next_free_vgpr 1
		.amdhsa_next_free_sgpr 0
		.amdhsa_accum_offset 4
		.amdhsa_reserve_vcc 0
		.amdhsa_reserve_flat_scratch 0
		.amdhsa_float_round_mode_32 0
		.amdhsa_float_round_mode_16_64 0
		.amdhsa_float_denorm_mode_32 3
		.amdhsa_float_denorm_mode_16_64 3
		.amdhsa_dx10_clamp 1
		.amdhsa_ieee_mode 1
		.amdhsa_fp16_overflow 0
		.amdhsa_tg_split 0
		.amdhsa_exception_fp_ieee_invalid_op 0
		.amdhsa_exception_fp_denorm_src 0
		.amdhsa_exception_fp_ieee_div_zero 0
		.amdhsa_exception_fp_ieee_overflow 0
		.amdhsa_exception_fp_ieee_underflow 0
		.amdhsa_exception_fp_ieee_inexact 0
		.amdhsa_exception_int_div_zero 0
	.end_amdhsa_kernel
	.section	.text._ZN7rocprim17ROCPRIM_400000_NS6detail17trampoline_kernelINS0_14default_configENS1_20scan_config_selectorIfEEZZNS1_9scan_implILNS1_25lookback_scan_determinismE0ELb0ELb0ES3_N6thrust23THRUST_200600_302600_NS6detail15normal_iteratorINS9_10device_ptrIfEEEESE_fNS9_4plusIiEEfEEDaPvRmT3_T4_T5_mT6_P12ihipStream_tbENKUlT_T0_E_clISt17integral_constantIbLb1EESU_EEDaSP_SQ_EUlSP_E_NS1_11comp_targetILNS1_3genE0ELNS1_11target_archE4294967295ELNS1_3gpuE0ELNS1_3repE0EEENS1_30default_config_static_selectorELNS0_4arch9wavefront6targetE1EEEvT1_,"axG",@progbits,_ZN7rocprim17ROCPRIM_400000_NS6detail17trampoline_kernelINS0_14default_configENS1_20scan_config_selectorIfEEZZNS1_9scan_implILNS1_25lookback_scan_determinismE0ELb0ELb0ES3_N6thrust23THRUST_200600_302600_NS6detail15normal_iteratorINS9_10device_ptrIfEEEESE_fNS9_4plusIiEEfEEDaPvRmT3_T4_T5_mT6_P12ihipStream_tbENKUlT_T0_E_clISt17integral_constantIbLb1EESU_EEDaSP_SQ_EUlSP_E_NS1_11comp_targetILNS1_3genE0ELNS1_11target_archE4294967295ELNS1_3gpuE0ELNS1_3repE0EEENS1_30default_config_static_selectorELNS0_4arch9wavefront6targetE1EEEvT1_,comdat
.Lfunc_end1515:
	.size	_ZN7rocprim17ROCPRIM_400000_NS6detail17trampoline_kernelINS0_14default_configENS1_20scan_config_selectorIfEEZZNS1_9scan_implILNS1_25lookback_scan_determinismE0ELb0ELb0ES3_N6thrust23THRUST_200600_302600_NS6detail15normal_iteratorINS9_10device_ptrIfEEEESE_fNS9_4plusIiEEfEEDaPvRmT3_T4_T5_mT6_P12ihipStream_tbENKUlT_T0_E_clISt17integral_constantIbLb1EESU_EEDaSP_SQ_EUlSP_E_NS1_11comp_targetILNS1_3genE0ELNS1_11target_archE4294967295ELNS1_3gpuE0ELNS1_3repE0EEENS1_30default_config_static_selectorELNS0_4arch9wavefront6targetE1EEEvT1_, .Lfunc_end1515-_ZN7rocprim17ROCPRIM_400000_NS6detail17trampoline_kernelINS0_14default_configENS1_20scan_config_selectorIfEEZZNS1_9scan_implILNS1_25lookback_scan_determinismE0ELb0ELb0ES3_N6thrust23THRUST_200600_302600_NS6detail15normal_iteratorINS9_10device_ptrIfEEEESE_fNS9_4plusIiEEfEEDaPvRmT3_T4_T5_mT6_P12ihipStream_tbENKUlT_T0_E_clISt17integral_constantIbLb1EESU_EEDaSP_SQ_EUlSP_E_NS1_11comp_targetILNS1_3genE0ELNS1_11target_archE4294967295ELNS1_3gpuE0ELNS1_3repE0EEENS1_30default_config_static_selectorELNS0_4arch9wavefront6targetE1EEEvT1_
                                        ; -- End function
	.section	.AMDGPU.csdata,"",@progbits
; Kernel info:
; codeLenInByte = 0
; NumSgprs: 4
; NumVgprs: 0
; NumAgprs: 0
; TotalNumVgprs: 0
; ScratchSize: 0
; MemoryBound: 0
; FloatMode: 240
; IeeeMode: 1
; LDSByteSize: 0 bytes/workgroup (compile time only)
; SGPRBlocks: 0
; VGPRBlocks: 0
; NumSGPRsForWavesPerEU: 4
; NumVGPRsForWavesPerEU: 1
; AccumOffset: 4
; Occupancy: 8
; WaveLimiterHint : 0
; COMPUTE_PGM_RSRC2:SCRATCH_EN: 0
; COMPUTE_PGM_RSRC2:USER_SGPR: 6
; COMPUTE_PGM_RSRC2:TRAP_HANDLER: 0
; COMPUTE_PGM_RSRC2:TGID_X_EN: 1
; COMPUTE_PGM_RSRC2:TGID_Y_EN: 0
; COMPUTE_PGM_RSRC2:TGID_Z_EN: 0
; COMPUTE_PGM_RSRC2:TIDIG_COMP_CNT: 0
; COMPUTE_PGM_RSRC3_GFX90A:ACCUM_OFFSET: 0
; COMPUTE_PGM_RSRC3_GFX90A:TG_SPLIT: 0
	.section	.text._ZN7rocprim17ROCPRIM_400000_NS6detail17trampoline_kernelINS0_14default_configENS1_20scan_config_selectorIfEEZZNS1_9scan_implILNS1_25lookback_scan_determinismE0ELb0ELb0ES3_N6thrust23THRUST_200600_302600_NS6detail15normal_iteratorINS9_10device_ptrIfEEEESE_fNS9_4plusIiEEfEEDaPvRmT3_T4_T5_mT6_P12ihipStream_tbENKUlT_T0_E_clISt17integral_constantIbLb1EESU_EEDaSP_SQ_EUlSP_E_NS1_11comp_targetILNS1_3genE5ELNS1_11target_archE942ELNS1_3gpuE9ELNS1_3repE0EEENS1_30default_config_static_selectorELNS0_4arch9wavefront6targetE1EEEvT1_,"axG",@progbits,_ZN7rocprim17ROCPRIM_400000_NS6detail17trampoline_kernelINS0_14default_configENS1_20scan_config_selectorIfEEZZNS1_9scan_implILNS1_25lookback_scan_determinismE0ELb0ELb0ES3_N6thrust23THRUST_200600_302600_NS6detail15normal_iteratorINS9_10device_ptrIfEEEESE_fNS9_4plusIiEEfEEDaPvRmT3_T4_T5_mT6_P12ihipStream_tbENKUlT_T0_E_clISt17integral_constantIbLb1EESU_EEDaSP_SQ_EUlSP_E_NS1_11comp_targetILNS1_3genE5ELNS1_11target_archE942ELNS1_3gpuE9ELNS1_3repE0EEENS1_30default_config_static_selectorELNS0_4arch9wavefront6targetE1EEEvT1_,comdat
	.protected	_ZN7rocprim17ROCPRIM_400000_NS6detail17trampoline_kernelINS0_14default_configENS1_20scan_config_selectorIfEEZZNS1_9scan_implILNS1_25lookback_scan_determinismE0ELb0ELb0ES3_N6thrust23THRUST_200600_302600_NS6detail15normal_iteratorINS9_10device_ptrIfEEEESE_fNS9_4plusIiEEfEEDaPvRmT3_T4_T5_mT6_P12ihipStream_tbENKUlT_T0_E_clISt17integral_constantIbLb1EESU_EEDaSP_SQ_EUlSP_E_NS1_11comp_targetILNS1_3genE5ELNS1_11target_archE942ELNS1_3gpuE9ELNS1_3repE0EEENS1_30default_config_static_selectorELNS0_4arch9wavefront6targetE1EEEvT1_ ; -- Begin function _ZN7rocprim17ROCPRIM_400000_NS6detail17trampoline_kernelINS0_14default_configENS1_20scan_config_selectorIfEEZZNS1_9scan_implILNS1_25lookback_scan_determinismE0ELb0ELb0ES3_N6thrust23THRUST_200600_302600_NS6detail15normal_iteratorINS9_10device_ptrIfEEEESE_fNS9_4plusIiEEfEEDaPvRmT3_T4_T5_mT6_P12ihipStream_tbENKUlT_T0_E_clISt17integral_constantIbLb1EESU_EEDaSP_SQ_EUlSP_E_NS1_11comp_targetILNS1_3genE5ELNS1_11target_archE942ELNS1_3gpuE9ELNS1_3repE0EEENS1_30default_config_static_selectorELNS0_4arch9wavefront6targetE1EEEvT1_
	.globl	_ZN7rocprim17ROCPRIM_400000_NS6detail17trampoline_kernelINS0_14default_configENS1_20scan_config_selectorIfEEZZNS1_9scan_implILNS1_25lookback_scan_determinismE0ELb0ELb0ES3_N6thrust23THRUST_200600_302600_NS6detail15normal_iteratorINS9_10device_ptrIfEEEESE_fNS9_4plusIiEEfEEDaPvRmT3_T4_T5_mT6_P12ihipStream_tbENKUlT_T0_E_clISt17integral_constantIbLb1EESU_EEDaSP_SQ_EUlSP_E_NS1_11comp_targetILNS1_3genE5ELNS1_11target_archE942ELNS1_3gpuE9ELNS1_3repE0EEENS1_30default_config_static_selectorELNS0_4arch9wavefront6targetE1EEEvT1_
	.p2align	8
	.type	_ZN7rocprim17ROCPRIM_400000_NS6detail17trampoline_kernelINS0_14default_configENS1_20scan_config_selectorIfEEZZNS1_9scan_implILNS1_25lookback_scan_determinismE0ELb0ELb0ES3_N6thrust23THRUST_200600_302600_NS6detail15normal_iteratorINS9_10device_ptrIfEEEESE_fNS9_4plusIiEEfEEDaPvRmT3_T4_T5_mT6_P12ihipStream_tbENKUlT_T0_E_clISt17integral_constantIbLb1EESU_EEDaSP_SQ_EUlSP_E_NS1_11comp_targetILNS1_3genE5ELNS1_11target_archE942ELNS1_3gpuE9ELNS1_3repE0EEENS1_30default_config_static_selectorELNS0_4arch9wavefront6targetE1EEEvT1_,@function
_ZN7rocprim17ROCPRIM_400000_NS6detail17trampoline_kernelINS0_14default_configENS1_20scan_config_selectorIfEEZZNS1_9scan_implILNS1_25lookback_scan_determinismE0ELb0ELb0ES3_N6thrust23THRUST_200600_302600_NS6detail15normal_iteratorINS9_10device_ptrIfEEEESE_fNS9_4plusIiEEfEEDaPvRmT3_T4_T5_mT6_P12ihipStream_tbENKUlT_T0_E_clISt17integral_constantIbLb1EESU_EEDaSP_SQ_EUlSP_E_NS1_11comp_targetILNS1_3genE5ELNS1_11target_archE942ELNS1_3gpuE9ELNS1_3repE0EEENS1_30default_config_static_selectorELNS0_4arch9wavefront6targetE1EEEvT1_: ; @_ZN7rocprim17ROCPRIM_400000_NS6detail17trampoline_kernelINS0_14default_configENS1_20scan_config_selectorIfEEZZNS1_9scan_implILNS1_25lookback_scan_determinismE0ELb0ELb0ES3_N6thrust23THRUST_200600_302600_NS6detail15normal_iteratorINS9_10device_ptrIfEEEESE_fNS9_4plusIiEEfEEDaPvRmT3_T4_T5_mT6_P12ihipStream_tbENKUlT_T0_E_clISt17integral_constantIbLb1EESU_EEDaSP_SQ_EUlSP_E_NS1_11comp_targetILNS1_3genE5ELNS1_11target_archE942ELNS1_3gpuE9ELNS1_3repE0EEENS1_30default_config_static_selectorELNS0_4arch9wavefront6targetE1EEEvT1_
; %bb.0:
	.section	.rodata,"a",@progbits
	.p2align	6, 0x0
	.amdhsa_kernel _ZN7rocprim17ROCPRIM_400000_NS6detail17trampoline_kernelINS0_14default_configENS1_20scan_config_selectorIfEEZZNS1_9scan_implILNS1_25lookback_scan_determinismE0ELb0ELb0ES3_N6thrust23THRUST_200600_302600_NS6detail15normal_iteratorINS9_10device_ptrIfEEEESE_fNS9_4plusIiEEfEEDaPvRmT3_T4_T5_mT6_P12ihipStream_tbENKUlT_T0_E_clISt17integral_constantIbLb1EESU_EEDaSP_SQ_EUlSP_E_NS1_11comp_targetILNS1_3genE5ELNS1_11target_archE942ELNS1_3gpuE9ELNS1_3repE0EEENS1_30default_config_static_selectorELNS0_4arch9wavefront6targetE1EEEvT1_
		.amdhsa_group_segment_fixed_size 0
		.amdhsa_private_segment_fixed_size 0
		.amdhsa_kernarg_size 96
		.amdhsa_user_sgpr_count 6
		.amdhsa_user_sgpr_private_segment_buffer 1
		.amdhsa_user_sgpr_dispatch_ptr 0
		.amdhsa_user_sgpr_queue_ptr 0
		.amdhsa_user_sgpr_kernarg_segment_ptr 1
		.amdhsa_user_sgpr_dispatch_id 0
		.amdhsa_user_sgpr_flat_scratch_init 0
		.amdhsa_user_sgpr_kernarg_preload_length 0
		.amdhsa_user_sgpr_kernarg_preload_offset 0
		.amdhsa_user_sgpr_private_segment_size 0
		.amdhsa_uses_dynamic_stack 0
		.amdhsa_system_sgpr_private_segment_wavefront_offset 0
		.amdhsa_system_sgpr_workgroup_id_x 1
		.amdhsa_system_sgpr_workgroup_id_y 0
		.amdhsa_system_sgpr_workgroup_id_z 0
		.amdhsa_system_sgpr_workgroup_info 0
		.amdhsa_system_vgpr_workitem_id 0
		.amdhsa_next_free_vgpr 1
		.amdhsa_next_free_sgpr 0
		.amdhsa_accum_offset 4
		.amdhsa_reserve_vcc 0
		.amdhsa_reserve_flat_scratch 0
		.amdhsa_float_round_mode_32 0
		.amdhsa_float_round_mode_16_64 0
		.amdhsa_float_denorm_mode_32 3
		.amdhsa_float_denorm_mode_16_64 3
		.amdhsa_dx10_clamp 1
		.amdhsa_ieee_mode 1
		.amdhsa_fp16_overflow 0
		.amdhsa_tg_split 0
		.amdhsa_exception_fp_ieee_invalid_op 0
		.amdhsa_exception_fp_denorm_src 0
		.amdhsa_exception_fp_ieee_div_zero 0
		.amdhsa_exception_fp_ieee_overflow 0
		.amdhsa_exception_fp_ieee_underflow 0
		.amdhsa_exception_fp_ieee_inexact 0
		.amdhsa_exception_int_div_zero 0
	.end_amdhsa_kernel
	.section	.text._ZN7rocprim17ROCPRIM_400000_NS6detail17trampoline_kernelINS0_14default_configENS1_20scan_config_selectorIfEEZZNS1_9scan_implILNS1_25lookback_scan_determinismE0ELb0ELb0ES3_N6thrust23THRUST_200600_302600_NS6detail15normal_iteratorINS9_10device_ptrIfEEEESE_fNS9_4plusIiEEfEEDaPvRmT3_T4_T5_mT6_P12ihipStream_tbENKUlT_T0_E_clISt17integral_constantIbLb1EESU_EEDaSP_SQ_EUlSP_E_NS1_11comp_targetILNS1_3genE5ELNS1_11target_archE942ELNS1_3gpuE9ELNS1_3repE0EEENS1_30default_config_static_selectorELNS0_4arch9wavefront6targetE1EEEvT1_,"axG",@progbits,_ZN7rocprim17ROCPRIM_400000_NS6detail17trampoline_kernelINS0_14default_configENS1_20scan_config_selectorIfEEZZNS1_9scan_implILNS1_25lookback_scan_determinismE0ELb0ELb0ES3_N6thrust23THRUST_200600_302600_NS6detail15normal_iteratorINS9_10device_ptrIfEEEESE_fNS9_4plusIiEEfEEDaPvRmT3_T4_T5_mT6_P12ihipStream_tbENKUlT_T0_E_clISt17integral_constantIbLb1EESU_EEDaSP_SQ_EUlSP_E_NS1_11comp_targetILNS1_3genE5ELNS1_11target_archE942ELNS1_3gpuE9ELNS1_3repE0EEENS1_30default_config_static_selectorELNS0_4arch9wavefront6targetE1EEEvT1_,comdat
.Lfunc_end1516:
	.size	_ZN7rocprim17ROCPRIM_400000_NS6detail17trampoline_kernelINS0_14default_configENS1_20scan_config_selectorIfEEZZNS1_9scan_implILNS1_25lookback_scan_determinismE0ELb0ELb0ES3_N6thrust23THRUST_200600_302600_NS6detail15normal_iteratorINS9_10device_ptrIfEEEESE_fNS9_4plusIiEEfEEDaPvRmT3_T4_T5_mT6_P12ihipStream_tbENKUlT_T0_E_clISt17integral_constantIbLb1EESU_EEDaSP_SQ_EUlSP_E_NS1_11comp_targetILNS1_3genE5ELNS1_11target_archE942ELNS1_3gpuE9ELNS1_3repE0EEENS1_30default_config_static_selectorELNS0_4arch9wavefront6targetE1EEEvT1_, .Lfunc_end1516-_ZN7rocprim17ROCPRIM_400000_NS6detail17trampoline_kernelINS0_14default_configENS1_20scan_config_selectorIfEEZZNS1_9scan_implILNS1_25lookback_scan_determinismE0ELb0ELb0ES3_N6thrust23THRUST_200600_302600_NS6detail15normal_iteratorINS9_10device_ptrIfEEEESE_fNS9_4plusIiEEfEEDaPvRmT3_T4_T5_mT6_P12ihipStream_tbENKUlT_T0_E_clISt17integral_constantIbLb1EESU_EEDaSP_SQ_EUlSP_E_NS1_11comp_targetILNS1_3genE5ELNS1_11target_archE942ELNS1_3gpuE9ELNS1_3repE0EEENS1_30default_config_static_selectorELNS0_4arch9wavefront6targetE1EEEvT1_
                                        ; -- End function
	.section	.AMDGPU.csdata,"",@progbits
; Kernel info:
; codeLenInByte = 0
; NumSgprs: 4
; NumVgprs: 0
; NumAgprs: 0
; TotalNumVgprs: 0
; ScratchSize: 0
; MemoryBound: 0
; FloatMode: 240
; IeeeMode: 1
; LDSByteSize: 0 bytes/workgroup (compile time only)
; SGPRBlocks: 0
; VGPRBlocks: 0
; NumSGPRsForWavesPerEU: 4
; NumVGPRsForWavesPerEU: 1
; AccumOffset: 4
; Occupancy: 8
; WaveLimiterHint : 0
; COMPUTE_PGM_RSRC2:SCRATCH_EN: 0
; COMPUTE_PGM_RSRC2:USER_SGPR: 6
; COMPUTE_PGM_RSRC2:TRAP_HANDLER: 0
; COMPUTE_PGM_RSRC2:TGID_X_EN: 1
; COMPUTE_PGM_RSRC2:TGID_Y_EN: 0
; COMPUTE_PGM_RSRC2:TGID_Z_EN: 0
; COMPUTE_PGM_RSRC2:TIDIG_COMP_CNT: 0
; COMPUTE_PGM_RSRC3_GFX90A:ACCUM_OFFSET: 0
; COMPUTE_PGM_RSRC3_GFX90A:TG_SPLIT: 0
	.section	.text._ZN7rocprim17ROCPRIM_400000_NS6detail17trampoline_kernelINS0_14default_configENS1_20scan_config_selectorIfEEZZNS1_9scan_implILNS1_25lookback_scan_determinismE0ELb0ELb0ES3_N6thrust23THRUST_200600_302600_NS6detail15normal_iteratorINS9_10device_ptrIfEEEESE_fNS9_4plusIiEEfEEDaPvRmT3_T4_T5_mT6_P12ihipStream_tbENKUlT_T0_E_clISt17integral_constantIbLb1EESU_EEDaSP_SQ_EUlSP_E_NS1_11comp_targetILNS1_3genE4ELNS1_11target_archE910ELNS1_3gpuE8ELNS1_3repE0EEENS1_30default_config_static_selectorELNS0_4arch9wavefront6targetE1EEEvT1_,"axG",@progbits,_ZN7rocprim17ROCPRIM_400000_NS6detail17trampoline_kernelINS0_14default_configENS1_20scan_config_selectorIfEEZZNS1_9scan_implILNS1_25lookback_scan_determinismE0ELb0ELb0ES3_N6thrust23THRUST_200600_302600_NS6detail15normal_iteratorINS9_10device_ptrIfEEEESE_fNS9_4plusIiEEfEEDaPvRmT3_T4_T5_mT6_P12ihipStream_tbENKUlT_T0_E_clISt17integral_constantIbLb1EESU_EEDaSP_SQ_EUlSP_E_NS1_11comp_targetILNS1_3genE4ELNS1_11target_archE910ELNS1_3gpuE8ELNS1_3repE0EEENS1_30default_config_static_selectorELNS0_4arch9wavefront6targetE1EEEvT1_,comdat
	.protected	_ZN7rocprim17ROCPRIM_400000_NS6detail17trampoline_kernelINS0_14default_configENS1_20scan_config_selectorIfEEZZNS1_9scan_implILNS1_25lookback_scan_determinismE0ELb0ELb0ES3_N6thrust23THRUST_200600_302600_NS6detail15normal_iteratorINS9_10device_ptrIfEEEESE_fNS9_4plusIiEEfEEDaPvRmT3_T4_T5_mT6_P12ihipStream_tbENKUlT_T0_E_clISt17integral_constantIbLb1EESU_EEDaSP_SQ_EUlSP_E_NS1_11comp_targetILNS1_3genE4ELNS1_11target_archE910ELNS1_3gpuE8ELNS1_3repE0EEENS1_30default_config_static_selectorELNS0_4arch9wavefront6targetE1EEEvT1_ ; -- Begin function _ZN7rocprim17ROCPRIM_400000_NS6detail17trampoline_kernelINS0_14default_configENS1_20scan_config_selectorIfEEZZNS1_9scan_implILNS1_25lookback_scan_determinismE0ELb0ELb0ES3_N6thrust23THRUST_200600_302600_NS6detail15normal_iteratorINS9_10device_ptrIfEEEESE_fNS9_4plusIiEEfEEDaPvRmT3_T4_T5_mT6_P12ihipStream_tbENKUlT_T0_E_clISt17integral_constantIbLb1EESU_EEDaSP_SQ_EUlSP_E_NS1_11comp_targetILNS1_3genE4ELNS1_11target_archE910ELNS1_3gpuE8ELNS1_3repE0EEENS1_30default_config_static_selectorELNS0_4arch9wavefront6targetE1EEEvT1_
	.globl	_ZN7rocprim17ROCPRIM_400000_NS6detail17trampoline_kernelINS0_14default_configENS1_20scan_config_selectorIfEEZZNS1_9scan_implILNS1_25lookback_scan_determinismE0ELb0ELb0ES3_N6thrust23THRUST_200600_302600_NS6detail15normal_iteratorINS9_10device_ptrIfEEEESE_fNS9_4plusIiEEfEEDaPvRmT3_T4_T5_mT6_P12ihipStream_tbENKUlT_T0_E_clISt17integral_constantIbLb1EESU_EEDaSP_SQ_EUlSP_E_NS1_11comp_targetILNS1_3genE4ELNS1_11target_archE910ELNS1_3gpuE8ELNS1_3repE0EEENS1_30default_config_static_selectorELNS0_4arch9wavefront6targetE1EEEvT1_
	.p2align	8
	.type	_ZN7rocprim17ROCPRIM_400000_NS6detail17trampoline_kernelINS0_14default_configENS1_20scan_config_selectorIfEEZZNS1_9scan_implILNS1_25lookback_scan_determinismE0ELb0ELb0ES3_N6thrust23THRUST_200600_302600_NS6detail15normal_iteratorINS9_10device_ptrIfEEEESE_fNS9_4plusIiEEfEEDaPvRmT3_T4_T5_mT6_P12ihipStream_tbENKUlT_T0_E_clISt17integral_constantIbLb1EESU_EEDaSP_SQ_EUlSP_E_NS1_11comp_targetILNS1_3genE4ELNS1_11target_archE910ELNS1_3gpuE8ELNS1_3repE0EEENS1_30default_config_static_selectorELNS0_4arch9wavefront6targetE1EEEvT1_,@function
_ZN7rocprim17ROCPRIM_400000_NS6detail17trampoline_kernelINS0_14default_configENS1_20scan_config_selectorIfEEZZNS1_9scan_implILNS1_25lookback_scan_determinismE0ELb0ELb0ES3_N6thrust23THRUST_200600_302600_NS6detail15normal_iteratorINS9_10device_ptrIfEEEESE_fNS9_4plusIiEEfEEDaPvRmT3_T4_T5_mT6_P12ihipStream_tbENKUlT_T0_E_clISt17integral_constantIbLb1EESU_EEDaSP_SQ_EUlSP_E_NS1_11comp_targetILNS1_3genE4ELNS1_11target_archE910ELNS1_3gpuE8ELNS1_3repE0EEENS1_30default_config_static_selectorELNS0_4arch9wavefront6targetE1EEEvT1_: ; @_ZN7rocprim17ROCPRIM_400000_NS6detail17trampoline_kernelINS0_14default_configENS1_20scan_config_selectorIfEEZZNS1_9scan_implILNS1_25lookback_scan_determinismE0ELb0ELb0ES3_N6thrust23THRUST_200600_302600_NS6detail15normal_iteratorINS9_10device_ptrIfEEEESE_fNS9_4plusIiEEfEEDaPvRmT3_T4_T5_mT6_P12ihipStream_tbENKUlT_T0_E_clISt17integral_constantIbLb1EESU_EEDaSP_SQ_EUlSP_E_NS1_11comp_targetILNS1_3genE4ELNS1_11target_archE910ELNS1_3gpuE8ELNS1_3repE0EEENS1_30default_config_static_selectorELNS0_4arch9wavefront6targetE1EEEvT1_
; %bb.0:
	s_load_dwordx2 s[28:29], s[4:5], 0x28
	v_cmp_ne_u32_e64 s[0:1], 0, v0
	v_cmp_eq_u32_e64 s[2:3], 0, v0
	s_and_saveexec_b64 s[6:7], s[2:3]
	s_cbranch_execz .LBB1517_4
; %bb.1:
	s_mov_b64 s[10:11], exec
	v_mbcnt_lo_u32_b32 v1, s10, 0
	v_mbcnt_hi_u32_b32 v1, s11, v1
	v_cmp_eq_u32_e32 vcc, 0, v1
                                        ; implicit-def: $vgpr2
	s_and_saveexec_b64 s[8:9], vcc
	s_cbranch_execz .LBB1517_3
; %bb.2:
	s_load_dwordx2 s[12:13], s[4:5], 0x58
	s_bcnt1_i32_b64 s10, s[10:11]
	v_mov_b32_e32 v2, 0
	v_mov_b32_e32 v3, s10
	s_waitcnt lgkmcnt(0)
	global_atomic_add v2, v2, v3, s[12:13] glc
.LBB1517_3:
	s_or_b64 exec, exec, s[8:9]
	s_waitcnt vmcnt(0)
	v_readfirstlane_b32 s8, v2
	v_add_u32_e32 v1, s8, v1
	v_mov_b32_e32 v2, 0
	ds_write_b32 v2, v1
.LBB1517_4:
	s_or_b64 exec, exec, s[6:7]
	s_load_dwordx8 s[20:27], s[4:5], 0x0
	s_load_dword s6, s[4:5], 0x30
	s_load_dwordx8 s[12:19], s[4:5], 0x38
	v_mov_b32_e32 v1, 0
	s_waitcnt lgkmcnt(0)
	s_barrier
	ds_read_b32 v1, v1
	s_lshl_b64 s[22:23], s[22:23], 2
	s_add_u32 s7, s20, s22
	s_addc_u32 s8, s21, s23
	s_add_i32 s6, s6, -1
	s_mul_i32 s9, s6, 0x700
	s_sub_u32 s33, s26, s9
	s_waitcnt lgkmcnt(0)
	v_readfirstlane_b32 s35, v1
	s_subb_u32 s34, s27, 0
	s_mul_i32 s4, s35, 0x700
	s_mov_b32 s5, 0
	s_cmp_lg_u32 s35, s6
	s_cselect_b64 s[20:21], -1, 0
	s_lshl_b64 s[26:27], s[4:5], 2
	s_add_u32 s6, s7, s26
	s_addc_u32 s7, s8, s27
	s_mov_b64 s[4:5], -1
	s_and_b64 vcc, exec, s[20:21]
	v_lshlrev_b32_e32 v32, 2, v0
	s_barrier
	s_cbranch_vccz .LBB1517_6
; %bb.5:
	v_mov_b32_e32 v1, s7
	v_add_co_u32_e32 v2, vcc, s6, v32
	v_addc_co_u32_e32 v3, vcc, 0, v1, vcc
	flat_load_dword v1, v[2:3]
	flat_load_dword v4, v[2:3] offset:512
	flat_load_dword v5, v[2:3] offset:1024
	;; [unrolled: 1-line block ×7, first 2 shown]
	v_add_co_u32_e32 v2, vcc, 0x1000, v2
	v_addc_co_u32_e32 v3, vcc, 0, v3, vcc
	flat_load_dword v11, v[2:3]
	flat_load_dword v12, v[2:3] offset:512
	flat_load_dword v13, v[2:3] offset:1024
	;; [unrolled: 1-line block ×5, first 2 shown]
	s_mov_b64 s[4:5], 0
	s_waitcnt vmcnt(0) lgkmcnt(0)
	ds_write2st64_b32 v32, v1, v4 offset1:2
	ds_write2st64_b32 v32, v5, v6 offset0:4 offset1:6
	ds_write2st64_b32 v32, v7, v8 offset0:8 offset1:10
	ds_write2st64_b32 v32, v9, v10 offset0:12 offset1:14
	ds_write2st64_b32 v32, v11, v12 offset0:16 offset1:18
	ds_write2st64_b32 v32, v13, v14 offset0:20 offset1:22
	ds_write2st64_b32 v32, v15, v16 offset0:24 offset1:26
	s_waitcnt lgkmcnt(0)
	s_barrier
.LBB1517_6:
	s_andn2_b64 vcc, exec, s[4:5]
	v_cmp_gt_u32_e64 s[4:5], s33, v0
	s_cbranch_vccnz .LBB1517_36
; %bb.7:
	v_pk_mov_b32 v[2:3], s[6:7], s[6:7] op_sel:[0,1]
	flat_load_dword v1, v[2:3]
	s_waitcnt vmcnt(0) lgkmcnt(0)
	v_mov_b32_e32 v2, v1
	v_mov_b32_e32 v3, v1
	;; [unrolled: 1-line block ×12, first 2 shown]
	v_pk_mov_b32 v[16:17], v[14:15], v[14:15] op_sel:[0,1]
	v_pk_mov_b32 v[14:15], v[12:13], v[12:13] op_sel:[0,1]
	;; [unrolled: 1-line block ×8, first 2 shown]
	s_and_saveexec_b64 s[8:9], s[4:5]
	s_cbranch_execz .LBB1517_9
; %bb.8:
	v_mov_b32_e32 v3, s7
	v_add_co_u32_e32 v2, vcc, s6, v32
	v_addc_co_u32_e32 v3, vcc, 0, v3, vcc
	flat_load_dword v18, v[2:3]
	v_mov_b32_e32 v2, v1
	v_mov_b32_e32 v3, v1
	;; [unrolled: 1-line block ×12, first 2 shown]
	v_pk_mov_b32 v[16:17], v[14:15], v[14:15] op_sel:[0,1]
	v_pk_mov_b32 v[14:15], v[12:13], v[12:13] op_sel:[0,1]
	v_pk_mov_b32 v[12:13], v[10:11], v[10:11] op_sel:[0,1]
	v_pk_mov_b32 v[10:11], v[8:9], v[8:9] op_sel:[0,1]
	v_pk_mov_b32 v[8:9], v[6:7], v[6:7] op_sel:[0,1]
	v_pk_mov_b32 v[6:7], v[4:5], v[4:5] op_sel:[0,1]
	v_pk_mov_b32 v[4:5], v[2:3], v[2:3] op_sel:[0,1]
	v_pk_mov_b32 v[2:3], v[0:1], v[0:1] op_sel:[0,1]
	s_waitcnt vmcnt(0) lgkmcnt(0)
	v_mov_b32_e32 v1, v18
.LBB1517_9:
	s_or_b64 exec, exec, s[8:9]
	v_or_b32_e32 v2, 0x80, v0
	v_cmp_gt_u32_e32 vcc, s33, v2
	s_and_saveexec_b64 s[4:5], vcc
	s_cbranch_execz .LBB1517_11
; %bb.10:
	v_mov_b32_e32 v3, s7
	v_add_co_u32_e32 v2, vcc, s6, v32
	v_addc_co_u32_e32 v3, vcc, 0, v3, vcc
	flat_load_dword v3, v[2:3] offset:512
.LBB1517_11:
	s_or_b64 exec, exec, s[4:5]
	v_or_b32_e32 v2, 0x100, v0
	v_cmp_gt_u32_e32 vcc, s33, v2
	s_and_saveexec_b64 s[4:5], vcc
	s_cbranch_execz .LBB1517_13
; %bb.12:
	v_mov_b32_e32 v2, s7
	v_add_co_u32_e32 v16, vcc, s6, v32
	v_addc_co_u32_e32 v17, vcc, 0, v2, vcc
	flat_load_dword v4, v[16:17] offset:1024
.LBB1517_13:
	;; [unrolled: 11-line block ×7, first 2 shown]
	s_or_b64 exec, exec, s[4:5]
	v_or_b32_e32 v2, 0x400, v0
	v_cmp_gt_u32_e32 vcc, s33, v2
	s_and_saveexec_b64 s[4:5], vcc
	s_cbranch_execz .LBB1517_25
; %bb.24:
	v_lshlrev_b32_e32 v2, 2, v2
	v_mov_b32_e32 v10, s7
	v_add_co_u32_e32 v16, vcc, s6, v2
	v_addc_co_u32_e32 v17, vcc, 0, v10, vcc
	flat_load_dword v10, v[16:17]
.LBB1517_25:
	s_or_b64 exec, exec, s[4:5]
	v_or_b32_e32 v2, 0x480, v0
	v_cmp_gt_u32_e32 vcc, s33, v2
	s_and_saveexec_b64 s[4:5], vcc
	s_cbranch_execz .LBB1517_27
; %bb.26:
	v_lshlrev_b32_e32 v2, 2, v2
	v_mov_b32_e32 v11, s7
	v_add_co_u32_e32 v16, vcc, s6, v2
	v_addc_co_u32_e32 v17, vcc, 0, v11, vcc
	flat_load_dword v11, v[16:17]
.LBB1517_27:
	;; [unrolled: 12-line block ×6, first 2 shown]
	s_or_b64 exec, exec, s[4:5]
	s_waitcnt vmcnt(0) lgkmcnt(0)
	ds_write2st64_b32 v32, v1, v3 offset1:2
	ds_write2st64_b32 v32, v4, v5 offset0:4 offset1:6
	ds_write2st64_b32 v32, v6, v7 offset0:8 offset1:10
	;; [unrolled: 1-line block ×6, first 2 shown]
	s_waitcnt lgkmcnt(0)
	s_barrier
.LBB1517_36:
	v_mul_u32_u24_e32 v33, 14, v0
	v_lshlrev_b32_e32 v1, 2, v33
	ds_read2_b64 v[2:5], v1 offset1:1
	ds_read2_b64 v[26:29], v1 offset0:2 offset1:3
	ds_read2_b64 v[22:25], v1 offset0:4 offset1:5
	ds_read_b64 v[30:31], v1 offset:48
	s_cmp_lg_u32 s35, 0
	v_lshrrev_b32_e32 v34, 5, v0
	v_cmp_gt_u32_e32 vcc, 64, v0
	s_waitcnt lgkmcnt(0)
	s_barrier
	s_cbranch_scc0 .LBB1517_67
; %bb.37:
	v_cvt_i32_f32_e32 v20, v2
	v_cvt_i32_f32_e32 v16, v3
	;; [unrolled: 1-line block ×5, first 2 shown]
	v_add_u32_e32 v6, v16, v20
	v_cvt_f32_i32_e32 v6, v6
	v_cvt_i32_f32_e32 v21, v27
	v_cvt_i32_f32_e32 v35, v28
	;; [unrolled: 1-line block ×7, first 2 shown]
	v_add_u32_e32 v6, v6, v17
	v_cvt_f32_i32_e32 v6, v6
	v_cvt_i32_f32_e32 v40, v25
	v_cvt_i32_f32_e32 v41, v30
	;; [unrolled: 1-line block ×4, first 2 shown]
	v_add_u32_e32 v6, v6, v18
	v_cvt_f32_i32_e32 v6, v6
	v_cvt_i32_f32_e32 v6, v6
	v_add_u32_e32 v6, v6, v19
	v_cvt_f32_i32_e32 v6, v6
	v_cvt_i32_f32_e32 v6, v6
	;; [unrolled: 3-line block ×10, first 2 shown]
	v_add_u32_e32 v6, v6, v42
	v_cvt_f32_i32_e32 v43, v6
	v_add_lshl_u32 v6, v34, v0, 2
	ds_write_b32 v6, v43
	s_waitcnt lgkmcnt(0)
	s_barrier
	s_and_saveexec_b64 s[6:7], vcc
	s_cbranch_execz .LBB1517_41
; %bb.38:
	v_lshlrev_b32_e32 v6, 1, v0
	v_lshrrev_b32_e32 v7, 4, v0
	v_add_lshl_u32 v6, v7, v6, 2
	ds_read2_b32 v[8:9], v6 offset1:1
	v_mbcnt_lo_u32_b32 v11, -1, 0
	s_waitcnt lgkmcnt(0)
	v_cvt_i32_f32_e32 v7, v8
	v_cvt_i32_f32_e32 v8, v9
	v_add_u32_e32 v8, v8, v7
	v_cvt_f32_i32_e32 v8, v8
	v_cvt_i32_f32_e32 v10, v8
	s_nop 0
	v_mov_b32_dpp v9, v8 row_shr:1 row_mask:0xf bank_mask:0xf
	v_cvt_i32_f32_e32 v9, v9
	v_add_u32_e32 v9, v9, v10
	v_cvt_f32_i32_e32 v10, v9
	v_mbcnt_hi_u32_b32 v9, -1, v11
	v_and_b32_e32 v11, 15, v9
	v_cmp_eq_u32_e64 s[4:5], 0, v11
	v_cndmask_b32_e64 v10, v10, v8, s[4:5]
	v_cvt_i32_f32_e32 v13, v10
	v_cmp_lt_u32_e64 s[4:5], 1, v11
	v_mov_b32_dpp v12, v10 row_shr:2 row_mask:0xf bank_mask:0xf
	v_cvt_i32_f32_e32 v12, v12
	v_add_u32_e32 v12, v13, v12
	v_cvt_f32_i32_e32 v12, v12
	v_cndmask_b32_e64 v10, v10, v12, s[4:5]
	s_nop 1
	v_mov_b32_dpp v12, v10 row_shr:4 row_mask:0xf bank_mask:0xf
	v_cvt_i32_f32_e32 v13, v10
	v_cvt_i32_f32_e32 v12, v12
	v_cmp_lt_u32_e64 s[4:5], 3, v11
	v_add_u32_e32 v12, v13, v12
	v_cvt_f32_i32_e32 v12, v12
	v_cndmask_b32_e64 v10, v10, v12, s[4:5]
	s_nop 1
	v_mov_b32_dpp v12, v10 row_shr:8 row_mask:0xf bank_mask:0xf
	v_cvt_i32_f32_e32 v13, v10
	v_cvt_i32_f32_e32 v12, v12
	v_cmp_lt_u32_e64 s[4:5], 7, v11
	v_add_u32_e32 v12, v13, v12
	v_cvt_f32_i32_e32 v12, v12
	v_cndmask_b32_e64 v10, v10, v12, s[4:5]
	s_nop 1
	v_mov_b32_dpp v11, v10 row_bcast:15 row_mask:0xf bank_mask:0xf
	v_cvt_i32_f32_e32 v12, v10
	v_cvt_i32_f32_e32 v11, v11
	v_add_u32_e32 v11, v12, v11
	v_cvt_f32_i32_e32 v11, v11
	v_and_b32_e32 v12, 16, v9
	v_cmp_eq_u32_e64 s[4:5], 0, v12
	v_cndmask_b32_e64 v10, v11, v10, s[4:5]
	v_cmp_ne_u32_e64 s[4:5], 0, v9
	s_nop 0
	v_mov_b32_dpp v11, v10 row_bcast:31 row_mask:0xf bank_mask:0xf
	s_and_saveexec_b64 s[8:9], s[4:5]
; %bb.39:
	v_cvt_i32_f32_e32 v8, v10
	v_cvt_i32_f32_e32 v11, v11
	v_cmp_lt_u32_e64 s[4:5], 31, v9
	v_add_u32_e32 v8, v8, v11
	v_cvt_f32_i32_e32 v8, v8
	v_cndmask_b32_e64 v8, v10, v8, s[4:5]
; %bb.40:
	s_or_b64 exec, exec, s[8:9]
	v_add_u32_e32 v10, -1, v9
	v_and_b32_e32 v11, 64, v9
	v_cmp_lt_i32_e64 s[4:5], v10, v11
	v_cndmask_b32_e64 v9, v10, v9, s[4:5]
	v_lshlrev_b32_e32 v9, 2, v9
	ds_bpermute_b32 v8, v9, v8
	; wave barrier
	s_waitcnt lgkmcnt(0)
	v_cvt_i32_f32_e32 v8, v8
	v_add_u32_e32 v7, v7, v8
	v_cvt_f32_i32_e32 v7, v7
	v_cndmask_b32_e64 v7, v7, v43, s[2:3]
	ds_write_b32 v6, v7
	; wave barrier
	ds_read_b32 v8, v6 offset:4
	v_cvt_i32_f32_e32 v7, v7
	s_waitcnt lgkmcnt(0)
	v_cvt_i32_f32_e32 v8, v8
	v_add_u32_e32 v7, v8, v7
	v_cvt_f32_i32_e32 v7, v7
	ds_write_b32 v6, v7 offset:4
.LBB1517_41:
	s_or_b64 exec, exec, s[6:7]
	s_waitcnt lgkmcnt(0)
	s_barrier
	s_and_saveexec_b64 s[4:5], s[0:1]
	s_cbranch_execz .LBB1517_43
; %bb.42:
	v_add_u32_e32 v6, -1, v0
	v_lshrrev_b32_e32 v7, 5, v6
	v_add_lshl_u32 v6, v7, v6, 2
	ds_read_b32 v43, v6
.LBB1517_43:
	s_or_b64 exec, exec, s[4:5]
	s_and_saveexec_b64 s[30:31], vcc
	s_cbranch_execz .LBB1517_66
; %bb.44:
	v_mov_b32_e32 v15, 0
	ds_read_b32 v6, v15 offset:520
	v_mbcnt_lo_u32_b32 v7, -1, 0
	v_mbcnt_hi_u32_b32 v9, -1, v7
	s_mov_b32 s9, 0
	v_cmp_eq_u32_e64 s[4:5], 0, v9
	s_and_saveexec_b64 s[6:7], s[4:5]
	s_cbranch_execz .LBB1517_46
; %bb.45:
	s_add_i32 s8, s35, 64
	s_lshl_b64 s[8:9], s[8:9], 3
	s_add_u32 s8, s28, s8
	v_mov_b32_e32 v7, 1
	s_addc_u32 s9, s29, s9
	s_waitcnt lgkmcnt(0)
	global_store_dwordx2 v15, v[6:7], s[8:9]
.LBB1517_46:
	s_or_b64 exec, exec, s[6:7]
	v_xad_u32 v8, v9, -1, s35
	v_add_u32_e32 v14, 64, v8
	v_lshlrev_b64 v[10:11], 3, v[14:15]
	v_mov_b32_e32 v7, s29
	v_add_co_u32_e32 v12, vcc, s28, v10
	v_addc_co_u32_e32 v13, vcc, v7, v11, vcc
	global_load_dwordx2 v[10:11], v[12:13], off glc
	s_waitcnt vmcnt(0)
	v_cmp_eq_u16_sdwa s[8:9], v11, v15 src0_sel:BYTE_0 src1_sel:DWORD
	s_and_saveexec_b64 s[6:7], s[8:9]
	s_cbranch_execz .LBB1517_52
; %bb.47:
	s_mov_b32 s10, 1
	s_mov_b64 s[8:9], 0
	v_mov_b32_e32 v7, 0
.LBB1517_48:                            ; =>This Loop Header: Depth=1
                                        ;     Child Loop BB1517_49 Depth 2
	s_max_u32 s11, s10, 1
.LBB1517_49:                            ;   Parent Loop BB1517_48 Depth=1
                                        ; =>  This Inner Loop Header: Depth=2
	s_add_i32 s11, s11, -1
	s_cmp_eq_u32 s11, 0
	s_sleep 1
	s_cbranch_scc0 .LBB1517_49
; %bb.50:                               ;   in Loop: Header=BB1517_48 Depth=1
	global_load_dwordx2 v[10:11], v[12:13], off glc
	s_cmp_lt_u32 s10, 32
	s_cselect_b64 s[36:37], -1, 0
	s_cmp_lg_u64 s[36:37], 0
	s_addc_u32 s10, s10, 0
	s_waitcnt vmcnt(0)
	v_cmp_ne_u16_sdwa s[36:37], v11, v7 src0_sel:BYTE_0 src1_sel:DWORD
	s_or_b64 s[8:9], s[36:37], s[8:9]
	s_andn2_b64 exec, exec, s[8:9]
	s_cbranch_execnz .LBB1517_48
; %bb.51:
	s_or_b64 exec, exec, s[8:9]
.LBB1517_52:
	s_or_b64 exec, exec, s[6:7]
	v_and_b32_e32 v44, 63, v9
	v_cmp_ne_u32_e32 vcc, 63, v44
	v_addc_co_u32_e32 v12, vcc, 0, v9, vcc
	v_lshlrev_b32_e32 v45, 2, v12
	ds_bpermute_b32 v14, v45, v10
	v_cvt_i32_f32_e32 v47, v10
	v_mov_b32_e32 v7, 2
	v_cmp_eq_u16_sdwa s[6:7], v11, v7 src0_sel:BYTE_0 src1_sel:DWORD
	v_lshlrev_b64 v[12:13], v9, -1
	s_waitcnt lgkmcnt(0)
	v_cvt_i32_f32_e32 v14, v14
	v_and_b32_e32 v15, s7, v13
	v_or_b32_e32 v15, 0x80000000, v15
	v_and_b32_e32 v46, s6, v12
	v_add_u32_e32 v14, v14, v47
	v_ffbl_b32_e32 v15, v15
	v_cvt_f32_i32_e32 v14, v14
	v_add_u32_e32 v15, 32, v15
	v_ffbl_b32_e32 v46, v46
	v_cmp_gt_u32_e64 s[6:7], 62, v44
	v_min_u32_e32 v15, v46, v15
	v_cndmask_b32_e64 v46, 0, 1, s[6:7]
	v_cmp_lt_u32_e32 vcc, v44, v15
	v_lshlrev_b32_e32 v46, 1, v46
	v_cndmask_b32_e32 v14, v10, v14, vcc
	v_add_lshl_u32 v46, v46, v9, 2
	ds_bpermute_b32 v47, v46, v14
	v_cvt_i32_f32_e32 v48, v14
	v_cmp_gt_u32_e64 s[8:9], 48, v44
	v_cndmask_b32_e64 v56, 0, 1, s[8:9]
	v_cmp_gt_u32_e64 s[10:11], 32, v44
	s_waitcnt lgkmcnt(0)
	v_cvt_i32_f32_e32 v47, v47
	v_cndmask_b32_e64 v59, 0, 1, s[10:11]
	v_add_u32_e32 v47, v48, v47
	v_cvt_f32_i32_e32 v48, v47
	v_add_u32_e32 v47, 2, v44
	v_cmp_gt_u32_e64 s[6:7], v47, v15
	v_cndmask_b32_e64 v14, v48, v14, s[6:7]
	v_cmp_gt_u32_e64 s[6:7], 60, v44
	v_cndmask_b32_e64 v48, 0, 1, s[6:7]
	v_lshlrev_b32_e32 v48, 2, v48
	v_add_lshl_u32 v48, v48, v9, 2
	ds_bpermute_b32 v49, v48, v14
	v_cvt_i32_f32_e32 v50, v14
	v_cmp_gt_u32_e64 s[6:7], 56, v44
	v_cndmask_b32_e32 v10, v10, v14, vcc
	s_waitcnt lgkmcnt(0)
	v_cvt_i32_f32_e32 v51, v49
	v_add_u32_e32 v49, 4, v44
	v_add_u32_e32 v50, v50, v51
	v_cvt_f32_i32_e32 v54, v50
	v_cndmask_b32_e64 v50, 0, 1, s[6:7]
	v_cmp_gt_u32_e64 s[6:7], v49, v15
	v_lshlrev_b32_e32 v50, 3, v50
	v_cndmask_b32_e64 v53, v54, v14, s[6:7]
	v_add_lshl_u32 v50, v50, v9, 2
	ds_bpermute_b32 v51, v50, v53
	v_cvt_i32_f32_e32 v52, v53
	v_cndmask_b32_e64 v10, v54, v10, s[6:7]
	s_waitcnt lgkmcnt(0)
	v_cvt_i32_f32_e32 v55, v51
	v_add_u32_e32 v51, 8, v44
	v_cmp_gt_u32_e64 s[8:9], v51, v15
	v_add_u32_e32 v52, v52, v55
	v_cvt_f32_i32_e32 v57, v52
	v_lshlrev_b32_e32 v52, 4, v56
	v_add_lshl_u32 v52, v52, v9, 2
	v_cndmask_b32_e64 v56, v57, v53, s[8:9]
	ds_bpermute_b32 v53, v52, v56
	v_cvt_i32_f32_e32 v55, v56
	v_cndmask_b32_e64 v10, v57, v10, s[8:9]
	s_waitcnt lgkmcnt(0)
	v_cvt_i32_f32_e32 v58, v53
	v_add_u32_e32 v53, 16, v44
	v_cmp_gt_u32_e64 s[10:11], v53, v15
	v_add_u32_e32 v55, v55, v58
	v_cvt_f32_i32_e32 v58, v55
	v_lshlrev_b32_e32 v55, 5, v59
	v_add_lshl_u32 v55, v55, v9, 2
	v_cndmask_b32_e64 v9, v58, v56, s[10:11]
	ds_bpermute_b32 v56, v55, v9
	v_cvt_i32_f32_e32 v9, v9
	v_cndmask_b32_e64 v10, v58, v10, s[10:11]
	s_waitcnt lgkmcnt(0)
	v_cvt_i32_f32_e32 v59, v56
	v_add_u32_e32 v56, 32, v44
	v_cmp_gt_u32_e32 vcc, v56, v15
	v_add_u32_e32 v9, v9, v59
	v_cvt_f32_i32_e32 v9, v9
	v_cndmask_b32_e32 v10, v9, v10, vcc
	v_mov_b32_e32 v9, 0
	s_branch .LBB1517_54
.LBB1517_53:                            ;   in Loop: Header=BB1517_54 Depth=1
	s_or_b64 exec, exec, s[6:7]
	ds_bpermute_b32 v14, v45, v10
	v_cvt_i32_f32_e32 v15, v10
	v_cmp_eq_u16_sdwa s[6:7], v11, v7 src0_sel:BYTE_0 src1_sel:DWORD
	v_and_b32_e32 v57, s7, v13
	v_or_b32_e32 v57, 0x80000000, v57
	s_waitcnt lgkmcnt(0)
	v_cvt_i32_f32_e32 v14, v14
	v_and_b32_e32 v58, s6, v12
	v_ffbl_b32_e32 v57, v57
	v_ffbl_b32_e32 v58, v58
	v_add_u32_e32 v14, v14, v15
	v_cvt_f32_i32_e32 v14, v14
	v_add_u32_e32 v15, 32, v57
	v_min_u32_e32 v15, v58, v15
	v_cmp_lt_u32_e32 vcc, v44, v15
	v_cndmask_b32_e32 v14, v10, v14, vcc
	ds_bpermute_b32 v57, v46, v14
	v_cvt_i32_f32_e32 v58, v14
	v_cmp_gt_u32_e64 s[6:7], v47, v15
	v_cmp_gt_u32_e64 s[8:9], v51, v15
	v_cmp_gt_u32_e64 s[10:11], v53, v15
	s_waitcnt lgkmcnt(0)
	v_cvt_i32_f32_e32 v57, v57
	v_subrev_u32_e32 v8, 64, v8
	v_add_u32_e32 v57, v58, v57
	v_cvt_f32_i32_e32 v57, v57
	v_cndmask_b32_e64 v14, v57, v14, s[6:7]
	ds_bpermute_b32 v57, v48, v14
	v_cvt_i32_f32_e32 v58, v14
	v_cmp_gt_u32_e64 s[6:7], v49, v15
	v_cndmask_b32_e32 v10, v10, v14, vcc
	v_cmp_gt_u32_e32 vcc, v56, v15
	s_waitcnt lgkmcnt(0)
	v_cvt_i32_f32_e32 v57, v57
	v_add_u32_e32 v57, v58, v57
	v_cvt_f32_i32_e32 v57, v57
	v_cndmask_b32_e64 v58, v57, v14, s[6:7]
	ds_bpermute_b32 v59, v50, v58
	v_cvt_i32_f32_e32 v60, v58
	v_cndmask_b32_e64 v10, v57, v10, s[6:7]
	s_waitcnt lgkmcnt(0)
	v_cvt_i32_f32_e32 v59, v59
	v_add_u32_e32 v59, v60, v59
	v_cvt_f32_i32_e32 v59, v59
	v_cndmask_b32_e64 v58, v59, v58, s[8:9]
	ds_bpermute_b32 v60, v52, v58
	v_cvt_i32_f32_e32 v61, v58
	v_cndmask_b32_e64 v10, v59, v10, s[8:9]
	;; [unrolled: 8-line block ×3, first 2 shown]
	s_waitcnt lgkmcnt(0)
	v_cvt_i32_f32_e32 v61, v61
	v_add_u32_e32 v14, v58, v61
	v_cvt_f32_i32_e32 v14, v14
	v_cndmask_b32_e32 v10, v14, v10, vcc
	v_cvt_i32_f32_e32 v10, v10
	v_cvt_i32_f32_e32 v14, v54
	v_add_u32_e32 v10, v10, v14
	v_cvt_f32_i32_e32 v10, v10
.LBB1517_54:                            ; =>This Loop Header: Depth=1
                                        ;     Child Loop BB1517_57 Depth 2
                                        ;       Child Loop BB1517_58 Depth 3
	v_cmp_ne_u16_sdwa s[6:7], v11, v7 src0_sel:BYTE_0 src1_sel:DWORD
	v_cndmask_b32_e64 v11, 0, 1, s[6:7]
	;;#ASMSTART
	;;#ASMEND
	v_cmp_ne_u32_e32 vcc, 0, v11
	s_cmp_lg_u64 vcc, exec
	v_mov_b32_e32 v54, v10
	s_cbranch_scc1 .LBB1517_61
; %bb.55:                               ;   in Loop: Header=BB1517_54 Depth=1
	v_lshlrev_b64 v[10:11], 3, v[8:9]
	v_mov_b32_e32 v15, s29
	v_add_co_u32_e32 v14, vcc, s28, v10
	v_addc_co_u32_e32 v15, vcc, v15, v11, vcc
	global_load_dwordx2 v[10:11], v[14:15], off glc
	s_waitcnt vmcnt(0)
	v_cmp_eq_u16_sdwa s[8:9], v11, v9 src0_sel:BYTE_0 src1_sel:DWORD
	s_and_saveexec_b64 s[6:7], s[8:9]
	s_cbranch_execz .LBB1517_53
; %bb.56:                               ;   in Loop: Header=BB1517_54 Depth=1
	s_mov_b32 s10, 1
	s_mov_b64 s[8:9], 0
.LBB1517_57:                            ;   Parent Loop BB1517_54 Depth=1
                                        ; =>  This Loop Header: Depth=2
                                        ;       Child Loop BB1517_58 Depth 3
	s_max_u32 s11, s10, 1
.LBB1517_58:                            ;   Parent Loop BB1517_54 Depth=1
                                        ;     Parent Loop BB1517_57 Depth=2
                                        ; =>    This Inner Loop Header: Depth=3
	s_add_i32 s11, s11, -1
	s_cmp_eq_u32 s11, 0
	s_sleep 1
	s_cbranch_scc0 .LBB1517_58
; %bb.59:                               ;   in Loop: Header=BB1517_57 Depth=2
	global_load_dwordx2 v[10:11], v[14:15], off glc
	s_cmp_lt_u32 s10, 32
	s_cselect_b64 s[36:37], -1, 0
	s_cmp_lg_u64 s[36:37], 0
	s_addc_u32 s10, s10, 0
	s_waitcnt vmcnt(0)
	v_cmp_ne_u16_sdwa s[36:37], v11, v9 src0_sel:BYTE_0 src1_sel:DWORD
	s_or_b64 s[8:9], s[36:37], s[8:9]
	s_andn2_b64 exec, exec, s[8:9]
	s_cbranch_execnz .LBB1517_57
; %bb.60:                               ;   in Loop: Header=BB1517_54 Depth=1
	s_or_b64 exec, exec, s[8:9]
	s_branch .LBB1517_53
.LBB1517_61:                            ;   in Loop: Header=BB1517_54 Depth=1
                                        ; implicit-def: $vgpr10
                                        ; implicit-def: $vgpr11
	s_cbranch_execz .LBB1517_54
; %bb.62:
	s_and_saveexec_b64 s[6:7], s[4:5]
	s_cbranch_execz .LBB1517_64
; %bb.63:
	v_cvt_i32_f32_e32 v7, v54
	v_cvt_i32_f32_e32 v6, v6
	s_add_i32 s4, s35, 64
	s_mov_b32 s5, 0
	s_lshl_b64 s[4:5], s[4:5], 3
	v_add_u32_e32 v6, v7, v6
	v_cvt_f32_i32_e32 v6, v6
	s_add_u32 s4, s28, s4
	s_addc_u32 s5, s29, s5
	v_mov_b32_e32 v8, 0
	v_mov_b32_e32 v7, 2
	global_store_dwordx2 v8, v[6:7], s[4:5]
.LBB1517_64:
	s_or_b64 exec, exec, s[6:7]
	s_and_b64 exec, exec, s[2:3]
	s_cbranch_execz .LBB1517_66
; %bb.65:
	v_mov_b32_e32 v6, 0
	ds_write_b32 v6, v54
.LBB1517_66:
	s_or_b64 exec, exec, s[30:31]
	s_waitcnt lgkmcnt(0)
	v_cvt_i32_f32_e32 v6, v43
	v_mov_b32_e32 v7, 0
	s_barrier
	v_add_u32_e32 v6, v6, v20
	ds_read_b32 v7, v7
	v_cvt_f32_i32_e32 v6, v6
	v_cndmask_b32_e64 v6, v6, v2, s[2:3]
	s_waitcnt lgkmcnt(0)
	v_cvt_i32_f32_e32 v7, v7
	v_cvt_i32_f32_e32 v6, v6
	v_add_u32_e32 v6, v7, v6
	v_cvt_f32_i32_e32 v6, v6
	v_cvt_i32_f32_e32 v7, v6
	v_add_u32_e32 v7, v7, v16
	v_cvt_f32_i32_e32 v7, v7
	;; [unrolled: 3-line block ×14, first 2 shown]
	s_branch .LBB1517_81
.LBB1517_67:
                                        ; implicit-def: $vgpr6_vgpr7_vgpr8_vgpr9_vgpr10_vgpr11_vgpr12_vgpr13_vgpr14_vgpr15_vgpr16_vgpr17_vgpr18_vgpr19_vgpr20_vgpr21
	s_cbranch_execz .LBB1517_81
; %bb.68:
	s_cmp_lg_u64 s[16:17], 0
	s_cselect_b64 s[4:5], -1, 0
	s_and_b64 s[6:7], s[2:3], s[4:5]
	s_and_saveexec_b64 s[4:5], s[6:7]
	s_cbranch_execz .LBB1517_70
; %bb.69:
	v_mov_b32_e32 v6, 0
	global_load_dword v6, v6, s[12:13]
	v_cvt_i32_f32_e32 v2, v2
	s_waitcnt vmcnt(0)
	v_cvt_i32_f32_e32 v6, v6
	v_add_u32_e32 v2, v6, v2
	v_cvt_f32_i32_e32 v2, v2
.LBB1517_70:
	s_or_b64 exec, exec, s[4:5]
	v_cvt_i32_f32_e32 v18, v2
	v_cvt_i32_f32_e32 v16, v3
	;; [unrolled: 1-line block ×5, first 2 shown]
	v_add_u32_e32 v3, v16, v18
	v_cvt_f32_i32_e32 v3, v3
	v_cvt_i32_f32_e32 v21, v27
	v_cvt_i32_f32_e32 v26, v28
	;; [unrolled: 1-line block ×7, first 2 shown]
	v_add_u32_e32 v4, v4, v17
	v_cvt_f32_i32_e32 v4, v4
	v_cvt_i32_f32_e32 v25, v25
	v_cvt_i32_f32_e32 v28, v30
	;; [unrolled: 1-line block ×4, first 2 shown]
	v_add_lshl_u32 v30, v34, v0, 2
	v_cmp_gt_u32_e32 vcc, 64, v0
	v_add_u32_e32 v5, v5, v19
	v_cvt_f32_i32_e32 v5, v5
	v_cvt_i32_f32_e32 v6, v5
	v_add_u32_e32 v6, v6, v20
	v_cvt_f32_i32_e32 v6, v6
	v_cvt_i32_f32_e32 v7, v6
	;; [unrolled: 3-line block ×10, first 2 shown]
	v_add_u32_e32 v15, v15, v29
	v_cvt_f32_i32_e32 v15, v15
	ds_write_b32 v30, v15
	s_waitcnt lgkmcnt(0)
	s_barrier
	s_and_saveexec_b64 s[4:5], vcc
	s_cbranch_execz .LBB1517_74
; %bb.71:
	v_lshlrev_b32_e32 v30, 1, v0
	v_lshrrev_b32_e32 v31, 4, v0
	v_add_lshl_u32 v30, v31, v30, 2
	ds_read2_b32 v[34:35], v30 offset1:1
	v_mbcnt_lo_u32_b32 v37, -1, 0
	s_waitcnt lgkmcnt(0)
	v_cvt_i32_f32_e32 v31, v34
	v_cvt_i32_f32_e32 v34, v35
	v_add_u32_e32 v34, v34, v31
	v_cvt_f32_i32_e32 v34, v34
	v_cvt_i32_f32_e32 v36, v34
	s_nop 0
	v_mov_b32_dpp v35, v34 row_shr:1 row_mask:0xf bank_mask:0xf
	v_cvt_i32_f32_e32 v35, v35
	v_add_u32_e32 v35, v35, v36
	v_cvt_f32_i32_e32 v36, v35
	v_mbcnt_hi_u32_b32 v35, -1, v37
	v_and_b32_e32 v37, 15, v35
	v_cmp_eq_u32_e32 vcc, 0, v37
	v_cndmask_b32_e32 v36, v36, v34, vcc
	v_cvt_i32_f32_e32 v39, v36
	v_cmp_lt_u32_e32 vcc, 1, v37
	v_mov_b32_dpp v38, v36 row_shr:2 row_mask:0xf bank_mask:0xf
	v_cvt_i32_f32_e32 v38, v38
	v_add_u32_e32 v38, v39, v38
	v_cvt_f32_i32_e32 v38, v38
	v_cndmask_b32_e32 v36, v36, v38, vcc
	s_nop 1
	v_mov_b32_dpp v38, v36 row_shr:4 row_mask:0xf bank_mask:0xf
	v_cvt_i32_f32_e32 v39, v36
	v_cvt_i32_f32_e32 v38, v38
	v_cmp_lt_u32_e32 vcc, 3, v37
	v_add_u32_e32 v38, v39, v38
	v_cvt_f32_i32_e32 v38, v38
	v_cndmask_b32_e32 v36, v36, v38, vcc
	s_nop 1
	v_mov_b32_dpp v38, v36 row_shr:8 row_mask:0xf bank_mask:0xf
	v_cvt_i32_f32_e32 v39, v36
	v_cvt_i32_f32_e32 v38, v38
	v_cmp_lt_u32_e32 vcc, 7, v37
	v_add_u32_e32 v38, v39, v38
	v_cvt_f32_i32_e32 v38, v38
	v_cndmask_b32_e32 v36, v36, v38, vcc
	s_nop 1
	v_mov_b32_dpp v37, v36 row_bcast:15 row_mask:0xf bank_mask:0xf
	v_cvt_i32_f32_e32 v38, v36
	v_cvt_i32_f32_e32 v37, v37
	v_add_u32_e32 v37, v38, v37
	v_cvt_f32_i32_e32 v37, v37
	v_and_b32_e32 v38, 16, v35
	v_cmp_eq_u32_e32 vcc, 0, v38
	v_cndmask_b32_e32 v36, v37, v36, vcc
	v_cmp_ne_u32_e32 vcc, 0, v35
	s_nop 0
	v_mov_b32_dpp v37, v36 row_bcast:31 row_mask:0xf bank_mask:0xf
	s_and_saveexec_b64 s[6:7], vcc
; %bb.72:
	v_cvt_i32_f32_e32 v34, v36
	v_cvt_i32_f32_e32 v37, v37
	v_cmp_lt_u32_e32 vcc, 31, v35
	v_add_u32_e32 v34, v34, v37
	v_cvt_f32_i32_e32 v34, v34
	v_cndmask_b32_e32 v34, v36, v34, vcc
; %bb.73:
	s_or_b64 exec, exec, s[6:7]
	v_add_u32_e32 v36, -1, v35
	v_and_b32_e32 v37, 64, v35
	v_cmp_lt_i32_e32 vcc, v36, v37
	v_cndmask_b32_e32 v35, v36, v35, vcc
	v_lshlrev_b32_e32 v35, 2, v35
	ds_bpermute_b32 v34, v35, v34
	; wave barrier
	s_waitcnt lgkmcnt(0)
	v_cvt_i32_f32_e32 v34, v34
	v_add_u32_e32 v31, v31, v34
	v_cvt_f32_i32_e32 v31, v31
	v_cndmask_b32_e64 v31, v31, v15, s[2:3]
	ds_write_b32 v30, v31
	; wave barrier
	ds_read_b32 v34, v30 offset:4
	v_cvt_i32_f32_e32 v31, v31
	s_waitcnt lgkmcnt(0)
	v_cvt_i32_f32_e32 v34, v34
	v_add_u32_e32 v31, v34, v31
	v_cvt_f32_i32_e32 v31, v31
	ds_write_b32 v30, v31 offset:4
.LBB1517_74:
	s_or_b64 exec, exec, s[4:5]
	v_mov_b32_e32 v30, v15
	s_waitcnt lgkmcnt(0)
	s_barrier
	s_and_saveexec_b64 s[2:3], s[0:1]
	s_cbranch_execz .LBB1517_76
; %bb.75:
	v_add_u32_e32 v30, -1, v0
	v_lshrrev_b32_e32 v31, 5, v30
	v_add_lshl_u32 v30, v31, v30, 2
	ds_read_b32 v30, v30
.LBB1517_76:
	s_or_b64 exec, exec, s[2:3]
	s_and_saveexec_b64 s[2:3], s[0:1]
	s_cbranch_execz .LBB1517_78
; %bb.77:
	s_waitcnt lgkmcnt(0)
	v_cvt_i32_f32_e32 v2, v30
	;;#ASMSTART
	;;#ASMEND
	v_add_u32_e32 v2, v2, v18
	v_cvt_f32_i32_e32 v2, v2
	v_cvt_i32_f32_e32 v3, v2
	v_add_u32_e32 v3, v3, v16
	v_cvt_f32_i32_e32 v3, v3
	v_cvt_i32_f32_e32 v4, v3
	;; [unrolled: 3-line block ×13, first 2 shown]
	v_add_u32_e32 v15, v15, v29
	v_cvt_f32_i32_e32 v15, v15
.LBB1517_78:
	s_or_b64 exec, exec, s[2:3]
	s_movk_i32 s0, 0x7f
	v_cmp_eq_u32_e32 vcc, s0, v0
	s_and_saveexec_b64 s[0:1], vcc
	s_cbranch_execz .LBB1517_80
; %bb.79:
	v_mov_b32_e32 v18, 0
	v_mov_b32_e32 v17, 2
	;; [unrolled: 1-line block ×3, first 2 shown]
	global_store_dwordx2 v18, v[16:17], s[28:29] offset:512
.LBB1517_80:
	s_or_b64 exec, exec, s[0:1]
	v_pk_mov_b32 v[20:21], v[16:17], v[16:17] op_sel:[0,1]
	v_pk_mov_b32 v[18:19], v[14:15], v[14:15] op_sel:[0,1]
	;; [unrolled: 1-line block ×8, first 2 shown]
.LBB1517_81:
	s_add_u32 s0, s24, s22
	s_addc_u32 s1, s25, s23
	s_add_u32 s2, s0, s26
	s_addc_u32 s3, s1, s27
	s_mov_b64 s[0:1], -1
	s_and_b64 vcc, exec, s[20:21]
	s_waitcnt lgkmcnt(0)
	s_barrier
	s_cbranch_vccz .LBB1517_83
; %bb.82:
	ds_write2_b64 v1, v[6:7], v[8:9] offset1:1
	ds_write2_b64 v1, v[10:11], v[12:13] offset0:2 offset1:3
	ds_write2_b64 v1, v[14:15], v[16:17] offset0:4 offset1:5
	ds_write_b64 v1, v[18:19] offset:48
	s_waitcnt lgkmcnt(0)
	s_barrier
	ds_read2st64_b32 v[2:3], v32 offset1:2
	ds_read2st64_b32 v[4:5], v32 offset0:4 offset1:6
	ds_read2st64_b32 v[20:21], v32 offset0:8 offset1:10
	;; [unrolled: 1-line block ×6, first 2 shown]
	v_mov_b32_e32 v31, s3
	v_add_co_u32_e32 v30, vcc, s2, v32
	v_addc_co_u32_e32 v31, vcc, 0, v31, vcc
	s_waitcnt lgkmcnt(6)
	flat_store_dword v[30:31], v2
	flat_store_dword v[30:31], v3 offset:512
	s_waitcnt lgkmcnt(0)
	flat_store_dword v[30:31], v4 offset:1024
	flat_store_dword v[30:31], v5 offset:1536
	;; [unrolled: 1-line block ×6, first 2 shown]
	v_add_co_u32_e32 v2, vcc, 0x1000, v30
	v_addc_co_u32_e32 v3, vcc, 0, v31, vcc
	flat_store_dword v[2:3], v24
	flat_store_dword v[2:3], v25 offset:512
	flat_store_dword v[2:3], v26 offset:1024
	;; [unrolled: 1-line block ×5, first 2 shown]
	s_mov_b64 s[0:1], 0
.LBB1517_83:
	s_andn2_b64 vcc, exec, s[0:1]
	s_cbranch_vccnz .LBB1517_163
; %bb.84:
	ds_write2_b64 v1, v[6:7], v[8:9] offset1:1
	ds_write2_b64 v1, v[10:11], v[12:13] offset0:2 offset1:3
	ds_write2_b64 v1, v[14:15], v[16:17] offset0:4 offset1:5
	ds_write_b64 v1, v[18:19] offset:48
	s_waitcnt lgkmcnt(0)
	s_barrier
	ds_read2st64_b32 v[4:5], v32 offset1:2
	ds_read2st64_b32 v[6:7], v32 offset0:4 offset1:6
	ds_read2st64_b32 v[8:9], v32 offset0:8 offset1:10
	;; [unrolled: 1-line block ×6, first 2 shown]
	v_mov_b32_e32 v17, s3
	v_add_co_u32_e32 v16, vcc, s2, v32
	v_addc_co_u32_e32 v17, vcc, 0, v17, vcc
	v_mov_b32_e32 v1, 0
	v_cmp_gt_u32_e32 vcc, s33, v0
	s_and_saveexec_b64 s[0:1], vcc
	s_cbranch_execz .LBB1517_86
; %bb.85:
	s_waitcnt lgkmcnt(0)
	flat_store_dword v[16:17], v4
.LBB1517_86:
	s_or_b64 exec, exec, s[0:1]
	v_or_b32_e32 v18, 0x80, v0
	v_cmp_gt_u32_e32 vcc, s33, v18
	s_and_saveexec_b64 s[0:1], vcc
	s_cbranch_execz .LBB1517_88
; %bb.87:
	s_waitcnt lgkmcnt(0)
	flat_store_dword v[16:17], v5 offset:512
.LBB1517_88:
	s_or_b64 exec, exec, s[0:1]
	v_or_b32_e32 v18, 0x100, v0
	v_cmp_gt_u32_e32 vcc, s33, v18
	s_and_saveexec_b64 s[0:1], vcc
	s_cbranch_execz .LBB1517_90
; %bb.89:
	s_waitcnt lgkmcnt(0)
	flat_store_dword v[16:17], v6 offset:1024
.LBB1517_90:
	;; [unrolled: 9-line block ×7, first 2 shown]
	s_or_b64 exec, exec, s[0:1]
	v_or_b32_e32 v18, 0x400, v0
	v_cmp_gt_u32_e32 vcc, s33, v18
	s_and_saveexec_b64 s[0:1], vcc
	s_cbranch_execz .LBB1517_102
; %bb.101:
	v_add_co_u32_e32 v18, vcc, 0x1000, v16
	v_addc_co_u32_e32 v19, vcc, 0, v17, vcc
	s_waitcnt lgkmcnt(0)
	flat_store_dword v[18:19], v12
.LBB1517_102:
	s_or_b64 exec, exec, s[0:1]
	v_or_b32_e32 v18, 0x480, v0
	v_cmp_gt_u32_e32 vcc, s33, v18
	s_and_saveexec_b64 s[0:1], vcc
	s_cbranch_execz .LBB1517_104
; %bb.103:
	v_add_co_u32_e32 v18, vcc, 0x1000, v16
	v_addc_co_u32_e32 v19, vcc, 0, v17, vcc
	s_waitcnt lgkmcnt(0)
	flat_store_dword v[18:19], v13 offset:512
.LBB1517_104:
	s_or_b64 exec, exec, s[0:1]
	v_or_b32_e32 v18, 0x500, v0
	v_cmp_gt_u32_e32 vcc, s33, v18
	s_and_saveexec_b64 s[0:1], vcc
	s_cbranch_execz .LBB1517_106
; %bb.105:
	v_add_co_u32_e32 v18, vcc, 0x1000, v16
	v_addc_co_u32_e32 v19, vcc, 0, v17, vcc
	s_waitcnt lgkmcnt(0)
	flat_store_dword v[18:19], v10 offset:1024
.LBB1517_106:
	;; [unrolled: 11-line block ×5, first 2 shown]
	s_or_b64 exec, exec, s[0:1]
	v_cmp_lt_u64_e64 s[0:1], s[18:19], 2
	s_and_b64 vcc, exec, s[0:1]
	s_cbranch_vccnz .LBB1517_163
; %bb.113:
	s_add_u32 s0, s33, -1
	s_addc_u32 s1, s34, -1
	s_add_u32 s2, 0, 0x49240800
	s_addc_u32 s3, 0, 50
	s_add_i32 s3, s3, 0x12492460
	s_mul_hi_u32 s7, s2, -14
	s_sub_i32 s7, s7, s2
	s_mul_i32 s8, s3, -14
	s_mul_i32 s4, s2, -14
	s_add_i32 s7, s7, s8
	s_mul_hi_u32 s5, s3, s4
	s_mul_i32 s6, s3, s4
	s_mul_i32 s9, s2, s7
	s_mul_hi_u32 s4, s2, s4
	s_mul_hi_u32 s8, s2, s7
	s_add_u32 s4, s4, s9
	s_addc_u32 s8, 0, s8
	s_add_u32 s4, s4, s6
	s_mul_hi_u32 s9, s3, s7
	s_addc_u32 s4, s8, s5
	s_addc_u32 s5, s9, 0
	s_mul_i32 s6, s3, s7
	s_add_u32 s4, s4, s6
	v_mov_b32_e32 v16, s4
	s_addc_u32 s5, 0, s5
	v_add_co_u32_e32 v16, vcc, s2, v16
	s_cmp_lg_u64 vcc, 0
	s_addc_u32 s2, s3, s5
	v_readfirstlane_b32 s5, v16
	s_mul_i32 s4, s0, s2
	s_mul_hi_u32 s6, s0, s5
	s_mul_hi_u32 s3, s0, s2
	s_add_u32 s4, s6, s4
	s_addc_u32 s3, 0, s3
	s_mul_hi_u32 s7, s1, s5
	s_mul_i32 s5, s1, s5
	s_add_u32 s4, s4, s5
	s_mul_hi_u32 s6, s1, s2
	s_addc_u32 s3, s3, s7
	s_addc_u32 s4, s6, 0
	s_mul_i32 s2, s1, s2
	s_add_u32 s2, s3, s2
	s_addc_u32 s3, 0, s4
	s_add_u32 s4, s2, 1
	s_addc_u32 s5, s3, 0
	s_add_u32 s6, s2, 2
	s_mul_i32 s8, s3, 14
	s_mul_hi_u32 s9, s2, 14
	s_addc_u32 s7, s3, 0
	s_add_i32 s9, s9, s8
	s_mul_i32 s8, s2, 14
	v_mov_b32_e32 v16, s8
	v_sub_co_u32_e32 v16, vcc, s0, v16
	s_cmp_lg_u64 vcc, 0
	s_subb_u32 s8, s1, s9
	v_subrev_co_u32_e32 v17, vcc, 14, v16
	s_cmp_lg_u64 vcc, 0
	s_subb_u32 s9, s8, 0
	v_readfirstlane_b32 s10, v17
	s_cmp_gt_u32 s10, 13
	s_cselect_b32 s10, -1, 0
	s_cmp_eq_u32 s9, 0
	s_cselect_b32 s9, s10, -1
	s_cmp_lg_u32 s9, 0
	s_cselect_b32 s4, s6, s4
	v_readfirstlane_b32 s6, v16
	s_cselect_b32 s5, s7, s5
	s_cmp_gt_u32 s6, 13
	s_cselect_b32 s6, -1, 0
	s_cmp_eq_u32 s8, 0
	s_cselect_b32 s6, s6, -1
	s_cmp_lg_u32 s6, 0
	s_cselect_b32 s3, s5, s3
	s_cselect_b32 s2, s4, s2
	v_cmp_eq_u64_e32 vcc, s[2:3], v[0:1]
	s_and_saveexec_b64 s[2:3], vcc
	s_cbranch_execz .LBB1517_163
; %bb.114:
	v_mul_hi_u32_u24_e32 v1, 14, v0
	v_mov_b32_e32 v16, s1
	v_sub_co_u32_e32 v0, vcc, s0, v33
	v_subb_co_u32_e32 v1, vcc, v16, v1, vcc
	v_cmp_lt_i64_e32 vcc, 6, v[0:1]
	s_and_saveexec_b64 s[0:1], vcc
	s_xor_b64 s[0:1], exec, s[0:1]
	s_cbranch_execz .LBB1517_140
; %bb.115:
	v_cmp_lt_i64_e32 vcc, 9, v[0:1]
	s_and_saveexec_b64 s[2:3], vcc
	s_xor_b64 s[2:3], exec, s[2:3]
	s_cbranch_execz .LBB1517_129
; %bb.116:
	;; [unrolled: 5-line block ×4, first 2 shown]
	v_mov_b32_e32 v0, 0
	s_waitcnt lgkmcnt(0)
	global_store_dword v0, v15, s[14:15]
                                        ; implicit-def: $vgpr14_vgpr15
.LBB1517_119:
	s_andn2_saveexec_b64 s[6:7], s[6:7]
	s_cbranch_execz .LBB1517_121
; %bb.120:
	v_mov_b32_e32 v0, 0
	s_waitcnt lgkmcnt(0)
	global_store_dword v0, v14, s[14:15]
.LBB1517_121:
	s_or_b64 exec, exec, s[6:7]
                                        ; implicit-def: $vgpr10_vgpr11
                                        ; implicit-def: $vgpr0_vgpr1
.LBB1517_122:
	s_andn2_saveexec_b64 s[4:5], s[4:5]
	s_cbranch_execz .LBB1517_128
; %bb.123:
	v_cmp_lt_i64_e32 vcc, 10, v[0:1]
	s_and_saveexec_b64 s[6:7], vcc
	s_xor_b64 s[6:7], exec, s[6:7]
	s_cbranch_execz .LBB1517_125
; %bb.124:
	v_mov_b32_e32 v0, 0
	s_waitcnt lgkmcnt(0)
	global_store_dword v0, v11, s[14:15]
                                        ; implicit-def: $vgpr10_vgpr11
.LBB1517_125:
	s_andn2_saveexec_b64 s[6:7], s[6:7]
	s_cbranch_execz .LBB1517_127
; %bb.126:
	v_mov_b32_e32 v0, 0
	s_waitcnt lgkmcnt(0)
	global_store_dword v0, v10, s[14:15]
.LBB1517_127:
	s_or_b64 exec, exec, s[6:7]
.LBB1517_128:
	s_or_b64 exec, exec, s[4:5]
                                        ; implicit-def: $vgpr2_vgpr3
                                        ; implicit-def: $vgpr0_vgpr1
                                        ; implicit-def: $vgpr12_vgpr13
.LBB1517_129:
	s_andn2_saveexec_b64 s[2:3], s[2:3]
	s_cbranch_execz .LBB1517_139
; %bb.130:
	v_cmp_lt_i64_e32 vcc, 7, v[0:1]
	s_and_saveexec_b64 s[4:5], vcc
	s_xor_b64 s[4:5], exec, s[4:5]
	s_cbranch_execz .LBB1517_136
; %bb.131:
	v_cmp_lt_i64_e32 vcc, 8, v[0:1]
	s_and_saveexec_b64 s[6:7], vcc
	s_xor_b64 s[6:7], exec, s[6:7]
	s_cbranch_execz .LBB1517_133
; %bb.132:
	v_mov_b32_e32 v0, 0
	s_waitcnt lgkmcnt(0)
	global_store_dword v0, v13, s[14:15]
                                        ; implicit-def: $vgpr12_vgpr13
.LBB1517_133:
	s_andn2_saveexec_b64 s[6:7], s[6:7]
	s_cbranch_execz .LBB1517_135
; %bb.134:
	v_mov_b32_e32 v0, 0
	s_waitcnt lgkmcnt(0)
	global_store_dword v0, v12, s[14:15]
.LBB1517_135:
	s_or_b64 exec, exec, s[6:7]
                                        ; implicit-def: $vgpr2_vgpr3
.LBB1517_136:
	s_andn2_saveexec_b64 s[4:5], s[4:5]
	s_cbranch_execz .LBB1517_138
; %bb.137:
	v_mov_b32_e32 v0, 0
	s_waitcnt lgkmcnt(0)
	global_store_dword v0, v3, s[14:15]
.LBB1517_138:
	s_or_b64 exec, exec, s[4:5]
.LBB1517_139:
	s_or_b64 exec, exec, s[2:3]
                                        ; implicit-def: $vgpr0_vgpr1
                                        ; implicit-def: $vgpr8_vgpr9
                                        ; implicit-def: $vgpr4_vgpr5
                                        ; implicit-def: $vgpr6_vgpr7
                                        ; implicit-def: $vgpr2_vgpr3
.LBB1517_140:
	s_andn2_saveexec_b64 s[0:1], s[0:1]
	s_cbranch_execz .LBB1517_163
; %bb.141:
	v_cmp_lt_i64_e32 vcc, 3, v[0:1]
	s_and_saveexec_b64 s[0:1], vcc
	s_xor_b64 s[0:1], exec, s[0:1]
	s_cbranch_execz .LBB1517_151
; %bb.142:
	v_cmp_lt_i64_e32 vcc, 4, v[0:1]
	s_and_saveexec_b64 s[2:3], vcc
	s_xor_b64 s[2:3], exec, s[2:3]
	;; [unrolled: 5-line block ×3, first 2 shown]
	s_cbranch_execz .LBB1517_145
; %bb.144:
	v_mov_b32_e32 v0, 0
	s_waitcnt lgkmcnt(0)
	global_store_dword v0, v2, s[14:15]
                                        ; implicit-def: $vgpr8_vgpr9
.LBB1517_145:
	s_andn2_saveexec_b64 s[4:5], s[4:5]
	s_cbranch_execz .LBB1517_147
; %bb.146:
	v_mov_b32_e32 v0, 0
	s_waitcnt lgkmcnt(0)
	global_store_dword v0, v9, s[14:15]
.LBB1517_147:
	s_or_b64 exec, exec, s[4:5]
                                        ; implicit-def: $vgpr8_vgpr9
.LBB1517_148:
	s_andn2_saveexec_b64 s[2:3], s[2:3]
	s_cbranch_execz .LBB1517_150
; %bb.149:
	v_mov_b32_e32 v0, 0
	s_waitcnt lgkmcnt(0)
	global_store_dword v0, v8, s[14:15]
.LBB1517_150:
	s_or_b64 exec, exec, s[2:3]
                                        ; implicit-def: $vgpr0_vgpr1
                                        ; implicit-def: $vgpr4_vgpr5
                                        ; implicit-def: $vgpr6_vgpr7
.LBB1517_151:
	s_andn2_saveexec_b64 s[0:1], s[0:1]
	s_cbranch_execz .LBB1517_163
; %bb.152:
	v_cmp_lt_i64_e32 vcc, 1, v[0:1]
	s_and_saveexec_b64 s[0:1], vcc
	s_xor_b64 s[0:1], exec, s[0:1]
	s_cbranch_execz .LBB1517_158
; %bb.153:
	v_cmp_lt_i64_e32 vcc, 2, v[0:1]
	s_and_saveexec_b64 s[2:3], vcc
	s_xor_b64 s[2:3], exec, s[2:3]
	s_cbranch_execz .LBB1517_155
; %bb.154:
	v_mov_b32_e32 v0, 0
	s_waitcnt lgkmcnt(0)
	global_store_dword v0, v7, s[14:15]
                                        ; implicit-def: $vgpr6_vgpr7
.LBB1517_155:
	s_andn2_saveexec_b64 s[2:3], s[2:3]
	s_cbranch_execz .LBB1517_157
; %bb.156:
	v_mov_b32_e32 v0, 0
	s_waitcnt lgkmcnt(0)
	global_store_dword v0, v6, s[14:15]
.LBB1517_157:
	s_or_b64 exec, exec, s[2:3]
                                        ; implicit-def: $vgpr4_vgpr5
                                        ; implicit-def: $vgpr0_vgpr1
.LBB1517_158:
	s_andn2_saveexec_b64 s[0:1], s[0:1]
	s_cbranch_execz .LBB1517_163
; %bb.159:
	v_cmp_ne_u64_e32 vcc, 1, v[0:1]
	s_and_saveexec_b64 s[0:1], vcc
	s_xor_b64 s[0:1], exec, s[0:1]
	s_cbranch_execz .LBB1517_161
; %bb.160:
	v_mov_b32_e32 v0, 0
	s_waitcnt lgkmcnt(0)
	global_store_dword v0, v4, s[14:15]
                                        ; implicit-def: $vgpr4_vgpr5
.LBB1517_161:
	s_andn2_saveexec_b64 s[0:1], s[0:1]
	s_cbranch_execz .LBB1517_163
; %bb.162:
	v_mov_b32_e32 v0, 0
	s_waitcnt lgkmcnt(0)
	global_store_dword v0, v5, s[14:15]
.LBB1517_163:
	s_endpgm
	.section	.rodata,"a",@progbits
	.p2align	6, 0x0
	.amdhsa_kernel _ZN7rocprim17ROCPRIM_400000_NS6detail17trampoline_kernelINS0_14default_configENS1_20scan_config_selectorIfEEZZNS1_9scan_implILNS1_25lookback_scan_determinismE0ELb0ELb0ES3_N6thrust23THRUST_200600_302600_NS6detail15normal_iteratorINS9_10device_ptrIfEEEESE_fNS9_4plusIiEEfEEDaPvRmT3_T4_T5_mT6_P12ihipStream_tbENKUlT_T0_E_clISt17integral_constantIbLb1EESU_EEDaSP_SQ_EUlSP_E_NS1_11comp_targetILNS1_3genE4ELNS1_11target_archE910ELNS1_3gpuE8ELNS1_3repE0EEENS1_30default_config_static_selectorELNS0_4arch9wavefront6targetE1EEEvT1_
		.amdhsa_group_segment_fixed_size 7168
		.amdhsa_private_segment_fixed_size 0
		.amdhsa_kernarg_size 96
		.amdhsa_user_sgpr_count 6
		.amdhsa_user_sgpr_private_segment_buffer 1
		.amdhsa_user_sgpr_dispatch_ptr 0
		.amdhsa_user_sgpr_queue_ptr 0
		.amdhsa_user_sgpr_kernarg_segment_ptr 1
		.amdhsa_user_sgpr_dispatch_id 0
		.amdhsa_user_sgpr_flat_scratch_init 0
		.amdhsa_user_sgpr_kernarg_preload_length 0
		.amdhsa_user_sgpr_kernarg_preload_offset 0
		.amdhsa_user_sgpr_private_segment_size 0
		.amdhsa_uses_dynamic_stack 0
		.amdhsa_system_sgpr_private_segment_wavefront_offset 0
		.amdhsa_system_sgpr_workgroup_id_x 1
		.amdhsa_system_sgpr_workgroup_id_y 0
		.amdhsa_system_sgpr_workgroup_id_z 0
		.amdhsa_system_sgpr_workgroup_info 0
		.amdhsa_system_vgpr_workitem_id 0
		.amdhsa_next_free_vgpr 62
		.amdhsa_next_free_sgpr 38
		.amdhsa_accum_offset 64
		.amdhsa_reserve_vcc 1
		.amdhsa_reserve_flat_scratch 0
		.amdhsa_float_round_mode_32 0
		.amdhsa_float_round_mode_16_64 0
		.amdhsa_float_denorm_mode_32 3
		.amdhsa_float_denorm_mode_16_64 3
		.amdhsa_dx10_clamp 1
		.amdhsa_ieee_mode 1
		.amdhsa_fp16_overflow 0
		.amdhsa_tg_split 0
		.amdhsa_exception_fp_ieee_invalid_op 0
		.amdhsa_exception_fp_denorm_src 0
		.amdhsa_exception_fp_ieee_div_zero 0
		.amdhsa_exception_fp_ieee_overflow 0
		.amdhsa_exception_fp_ieee_underflow 0
		.amdhsa_exception_fp_ieee_inexact 0
		.amdhsa_exception_int_div_zero 0
	.end_amdhsa_kernel
	.section	.text._ZN7rocprim17ROCPRIM_400000_NS6detail17trampoline_kernelINS0_14default_configENS1_20scan_config_selectorIfEEZZNS1_9scan_implILNS1_25lookback_scan_determinismE0ELb0ELb0ES3_N6thrust23THRUST_200600_302600_NS6detail15normal_iteratorINS9_10device_ptrIfEEEESE_fNS9_4plusIiEEfEEDaPvRmT3_T4_T5_mT6_P12ihipStream_tbENKUlT_T0_E_clISt17integral_constantIbLb1EESU_EEDaSP_SQ_EUlSP_E_NS1_11comp_targetILNS1_3genE4ELNS1_11target_archE910ELNS1_3gpuE8ELNS1_3repE0EEENS1_30default_config_static_selectorELNS0_4arch9wavefront6targetE1EEEvT1_,"axG",@progbits,_ZN7rocprim17ROCPRIM_400000_NS6detail17trampoline_kernelINS0_14default_configENS1_20scan_config_selectorIfEEZZNS1_9scan_implILNS1_25lookback_scan_determinismE0ELb0ELb0ES3_N6thrust23THRUST_200600_302600_NS6detail15normal_iteratorINS9_10device_ptrIfEEEESE_fNS9_4plusIiEEfEEDaPvRmT3_T4_T5_mT6_P12ihipStream_tbENKUlT_T0_E_clISt17integral_constantIbLb1EESU_EEDaSP_SQ_EUlSP_E_NS1_11comp_targetILNS1_3genE4ELNS1_11target_archE910ELNS1_3gpuE8ELNS1_3repE0EEENS1_30default_config_static_selectorELNS0_4arch9wavefront6targetE1EEEvT1_,comdat
.Lfunc_end1517:
	.size	_ZN7rocprim17ROCPRIM_400000_NS6detail17trampoline_kernelINS0_14default_configENS1_20scan_config_selectorIfEEZZNS1_9scan_implILNS1_25lookback_scan_determinismE0ELb0ELb0ES3_N6thrust23THRUST_200600_302600_NS6detail15normal_iteratorINS9_10device_ptrIfEEEESE_fNS9_4plusIiEEfEEDaPvRmT3_T4_T5_mT6_P12ihipStream_tbENKUlT_T0_E_clISt17integral_constantIbLb1EESU_EEDaSP_SQ_EUlSP_E_NS1_11comp_targetILNS1_3genE4ELNS1_11target_archE910ELNS1_3gpuE8ELNS1_3repE0EEENS1_30default_config_static_selectorELNS0_4arch9wavefront6targetE1EEEvT1_, .Lfunc_end1517-_ZN7rocprim17ROCPRIM_400000_NS6detail17trampoline_kernelINS0_14default_configENS1_20scan_config_selectorIfEEZZNS1_9scan_implILNS1_25lookback_scan_determinismE0ELb0ELb0ES3_N6thrust23THRUST_200600_302600_NS6detail15normal_iteratorINS9_10device_ptrIfEEEESE_fNS9_4plusIiEEfEEDaPvRmT3_T4_T5_mT6_P12ihipStream_tbENKUlT_T0_E_clISt17integral_constantIbLb1EESU_EEDaSP_SQ_EUlSP_E_NS1_11comp_targetILNS1_3genE4ELNS1_11target_archE910ELNS1_3gpuE8ELNS1_3repE0EEENS1_30default_config_static_selectorELNS0_4arch9wavefront6targetE1EEEvT1_
                                        ; -- End function
	.section	.AMDGPU.csdata,"",@progbits
; Kernel info:
; codeLenInByte = 6728
; NumSgprs: 42
; NumVgprs: 62
; NumAgprs: 0
; TotalNumVgprs: 62
; ScratchSize: 0
; MemoryBound: 0
; FloatMode: 240
; IeeeMode: 1
; LDSByteSize: 7168 bytes/workgroup (compile time only)
; SGPRBlocks: 5
; VGPRBlocks: 7
; NumSGPRsForWavesPerEU: 42
; NumVGPRsForWavesPerEU: 62
; AccumOffset: 64
; Occupancy: 5
; WaveLimiterHint : 1
; COMPUTE_PGM_RSRC2:SCRATCH_EN: 0
; COMPUTE_PGM_RSRC2:USER_SGPR: 6
; COMPUTE_PGM_RSRC2:TRAP_HANDLER: 0
; COMPUTE_PGM_RSRC2:TGID_X_EN: 1
; COMPUTE_PGM_RSRC2:TGID_Y_EN: 0
; COMPUTE_PGM_RSRC2:TGID_Z_EN: 0
; COMPUTE_PGM_RSRC2:TIDIG_COMP_CNT: 0
; COMPUTE_PGM_RSRC3_GFX90A:ACCUM_OFFSET: 15
; COMPUTE_PGM_RSRC3_GFX90A:TG_SPLIT: 0
	.section	.text._ZN7rocprim17ROCPRIM_400000_NS6detail17trampoline_kernelINS0_14default_configENS1_20scan_config_selectorIfEEZZNS1_9scan_implILNS1_25lookback_scan_determinismE0ELb0ELb0ES3_N6thrust23THRUST_200600_302600_NS6detail15normal_iteratorINS9_10device_ptrIfEEEESE_fNS9_4plusIiEEfEEDaPvRmT3_T4_T5_mT6_P12ihipStream_tbENKUlT_T0_E_clISt17integral_constantIbLb1EESU_EEDaSP_SQ_EUlSP_E_NS1_11comp_targetILNS1_3genE3ELNS1_11target_archE908ELNS1_3gpuE7ELNS1_3repE0EEENS1_30default_config_static_selectorELNS0_4arch9wavefront6targetE1EEEvT1_,"axG",@progbits,_ZN7rocprim17ROCPRIM_400000_NS6detail17trampoline_kernelINS0_14default_configENS1_20scan_config_selectorIfEEZZNS1_9scan_implILNS1_25lookback_scan_determinismE0ELb0ELb0ES3_N6thrust23THRUST_200600_302600_NS6detail15normal_iteratorINS9_10device_ptrIfEEEESE_fNS9_4plusIiEEfEEDaPvRmT3_T4_T5_mT6_P12ihipStream_tbENKUlT_T0_E_clISt17integral_constantIbLb1EESU_EEDaSP_SQ_EUlSP_E_NS1_11comp_targetILNS1_3genE3ELNS1_11target_archE908ELNS1_3gpuE7ELNS1_3repE0EEENS1_30default_config_static_selectorELNS0_4arch9wavefront6targetE1EEEvT1_,comdat
	.protected	_ZN7rocprim17ROCPRIM_400000_NS6detail17trampoline_kernelINS0_14default_configENS1_20scan_config_selectorIfEEZZNS1_9scan_implILNS1_25lookback_scan_determinismE0ELb0ELb0ES3_N6thrust23THRUST_200600_302600_NS6detail15normal_iteratorINS9_10device_ptrIfEEEESE_fNS9_4plusIiEEfEEDaPvRmT3_T4_T5_mT6_P12ihipStream_tbENKUlT_T0_E_clISt17integral_constantIbLb1EESU_EEDaSP_SQ_EUlSP_E_NS1_11comp_targetILNS1_3genE3ELNS1_11target_archE908ELNS1_3gpuE7ELNS1_3repE0EEENS1_30default_config_static_selectorELNS0_4arch9wavefront6targetE1EEEvT1_ ; -- Begin function _ZN7rocprim17ROCPRIM_400000_NS6detail17trampoline_kernelINS0_14default_configENS1_20scan_config_selectorIfEEZZNS1_9scan_implILNS1_25lookback_scan_determinismE0ELb0ELb0ES3_N6thrust23THRUST_200600_302600_NS6detail15normal_iteratorINS9_10device_ptrIfEEEESE_fNS9_4plusIiEEfEEDaPvRmT3_T4_T5_mT6_P12ihipStream_tbENKUlT_T0_E_clISt17integral_constantIbLb1EESU_EEDaSP_SQ_EUlSP_E_NS1_11comp_targetILNS1_3genE3ELNS1_11target_archE908ELNS1_3gpuE7ELNS1_3repE0EEENS1_30default_config_static_selectorELNS0_4arch9wavefront6targetE1EEEvT1_
	.globl	_ZN7rocprim17ROCPRIM_400000_NS6detail17trampoline_kernelINS0_14default_configENS1_20scan_config_selectorIfEEZZNS1_9scan_implILNS1_25lookback_scan_determinismE0ELb0ELb0ES3_N6thrust23THRUST_200600_302600_NS6detail15normal_iteratorINS9_10device_ptrIfEEEESE_fNS9_4plusIiEEfEEDaPvRmT3_T4_T5_mT6_P12ihipStream_tbENKUlT_T0_E_clISt17integral_constantIbLb1EESU_EEDaSP_SQ_EUlSP_E_NS1_11comp_targetILNS1_3genE3ELNS1_11target_archE908ELNS1_3gpuE7ELNS1_3repE0EEENS1_30default_config_static_selectorELNS0_4arch9wavefront6targetE1EEEvT1_
	.p2align	8
	.type	_ZN7rocprim17ROCPRIM_400000_NS6detail17trampoline_kernelINS0_14default_configENS1_20scan_config_selectorIfEEZZNS1_9scan_implILNS1_25lookback_scan_determinismE0ELb0ELb0ES3_N6thrust23THRUST_200600_302600_NS6detail15normal_iteratorINS9_10device_ptrIfEEEESE_fNS9_4plusIiEEfEEDaPvRmT3_T4_T5_mT6_P12ihipStream_tbENKUlT_T0_E_clISt17integral_constantIbLb1EESU_EEDaSP_SQ_EUlSP_E_NS1_11comp_targetILNS1_3genE3ELNS1_11target_archE908ELNS1_3gpuE7ELNS1_3repE0EEENS1_30default_config_static_selectorELNS0_4arch9wavefront6targetE1EEEvT1_,@function
_ZN7rocprim17ROCPRIM_400000_NS6detail17trampoline_kernelINS0_14default_configENS1_20scan_config_selectorIfEEZZNS1_9scan_implILNS1_25lookback_scan_determinismE0ELb0ELb0ES3_N6thrust23THRUST_200600_302600_NS6detail15normal_iteratorINS9_10device_ptrIfEEEESE_fNS9_4plusIiEEfEEDaPvRmT3_T4_T5_mT6_P12ihipStream_tbENKUlT_T0_E_clISt17integral_constantIbLb1EESU_EEDaSP_SQ_EUlSP_E_NS1_11comp_targetILNS1_3genE3ELNS1_11target_archE908ELNS1_3gpuE7ELNS1_3repE0EEENS1_30default_config_static_selectorELNS0_4arch9wavefront6targetE1EEEvT1_: ; @_ZN7rocprim17ROCPRIM_400000_NS6detail17trampoline_kernelINS0_14default_configENS1_20scan_config_selectorIfEEZZNS1_9scan_implILNS1_25lookback_scan_determinismE0ELb0ELb0ES3_N6thrust23THRUST_200600_302600_NS6detail15normal_iteratorINS9_10device_ptrIfEEEESE_fNS9_4plusIiEEfEEDaPvRmT3_T4_T5_mT6_P12ihipStream_tbENKUlT_T0_E_clISt17integral_constantIbLb1EESU_EEDaSP_SQ_EUlSP_E_NS1_11comp_targetILNS1_3genE3ELNS1_11target_archE908ELNS1_3gpuE7ELNS1_3repE0EEENS1_30default_config_static_selectorELNS0_4arch9wavefront6targetE1EEEvT1_
; %bb.0:
	.section	.rodata,"a",@progbits
	.p2align	6, 0x0
	.amdhsa_kernel _ZN7rocprim17ROCPRIM_400000_NS6detail17trampoline_kernelINS0_14default_configENS1_20scan_config_selectorIfEEZZNS1_9scan_implILNS1_25lookback_scan_determinismE0ELb0ELb0ES3_N6thrust23THRUST_200600_302600_NS6detail15normal_iteratorINS9_10device_ptrIfEEEESE_fNS9_4plusIiEEfEEDaPvRmT3_T4_T5_mT6_P12ihipStream_tbENKUlT_T0_E_clISt17integral_constantIbLb1EESU_EEDaSP_SQ_EUlSP_E_NS1_11comp_targetILNS1_3genE3ELNS1_11target_archE908ELNS1_3gpuE7ELNS1_3repE0EEENS1_30default_config_static_selectorELNS0_4arch9wavefront6targetE1EEEvT1_
		.amdhsa_group_segment_fixed_size 0
		.amdhsa_private_segment_fixed_size 0
		.amdhsa_kernarg_size 96
		.amdhsa_user_sgpr_count 6
		.amdhsa_user_sgpr_private_segment_buffer 1
		.amdhsa_user_sgpr_dispatch_ptr 0
		.amdhsa_user_sgpr_queue_ptr 0
		.amdhsa_user_sgpr_kernarg_segment_ptr 1
		.amdhsa_user_sgpr_dispatch_id 0
		.amdhsa_user_sgpr_flat_scratch_init 0
		.amdhsa_user_sgpr_kernarg_preload_length 0
		.amdhsa_user_sgpr_kernarg_preload_offset 0
		.amdhsa_user_sgpr_private_segment_size 0
		.amdhsa_uses_dynamic_stack 0
		.amdhsa_system_sgpr_private_segment_wavefront_offset 0
		.amdhsa_system_sgpr_workgroup_id_x 1
		.amdhsa_system_sgpr_workgroup_id_y 0
		.amdhsa_system_sgpr_workgroup_id_z 0
		.amdhsa_system_sgpr_workgroup_info 0
		.amdhsa_system_vgpr_workitem_id 0
		.amdhsa_next_free_vgpr 1
		.amdhsa_next_free_sgpr 0
		.amdhsa_accum_offset 4
		.amdhsa_reserve_vcc 0
		.amdhsa_reserve_flat_scratch 0
		.amdhsa_float_round_mode_32 0
		.amdhsa_float_round_mode_16_64 0
		.amdhsa_float_denorm_mode_32 3
		.amdhsa_float_denorm_mode_16_64 3
		.amdhsa_dx10_clamp 1
		.amdhsa_ieee_mode 1
		.amdhsa_fp16_overflow 0
		.amdhsa_tg_split 0
		.amdhsa_exception_fp_ieee_invalid_op 0
		.amdhsa_exception_fp_denorm_src 0
		.amdhsa_exception_fp_ieee_div_zero 0
		.amdhsa_exception_fp_ieee_overflow 0
		.amdhsa_exception_fp_ieee_underflow 0
		.amdhsa_exception_fp_ieee_inexact 0
		.amdhsa_exception_int_div_zero 0
	.end_amdhsa_kernel
	.section	.text._ZN7rocprim17ROCPRIM_400000_NS6detail17trampoline_kernelINS0_14default_configENS1_20scan_config_selectorIfEEZZNS1_9scan_implILNS1_25lookback_scan_determinismE0ELb0ELb0ES3_N6thrust23THRUST_200600_302600_NS6detail15normal_iteratorINS9_10device_ptrIfEEEESE_fNS9_4plusIiEEfEEDaPvRmT3_T4_T5_mT6_P12ihipStream_tbENKUlT_T0_E_clISt17integral_constantIbLb1EESU_EEDaSP_SQ_EUlSP_E_NS1_11comp_targetILNS1_3genE3ELNS1_11target_archE908ELNS1_3gpuE7ELNS1_3repE0EEENS1_30default_config_static_selectorELNS0_4arch9wavefront6targetE1EEEvT1_,"axG",@progbits,_ZN7rocprim17ROCPRIM_400000_NS6detail17trampoline_kernelINS0_14default_configENS1_20scan_config_selectorIfEEZZNS1_9scan_implILNS1_25lookback_scan_determinismE0ELb0ELb0ES3_N6thrust23THRUST_200600_302600_NS6detail15normal_iteratorINS9_10device_ptrIfEEEESE_fNS9_4plusIiEEfEEDaPvRmT3_T4_T5_mT6_P12ihipStream_tbENKUlT_T0_E_clISt17integral_constantIbLb1EESU_EEDaSP_SQ_EUlSP_E_NS1_11comp_targetILNS1_3genE3ELNS1_11target_archE908ELNS1_3gpuE7ELNS1_3repE0EEENS1_30default_config_static_selectorELNS0_4arch9wavefront6targetE1EEEvT1_,comdat
.Lfunc_end1518:
	.size	_ZN7rocprim17ROCPRIM_400000_NS6detail17trampoline_kernelINS0_14default_configENS1_20scan_config_selectorIfEEZZNS1_9scan_implILNS1_25lookback_scan_determinismE0ELb0ELb0ES3_N6thrust23THRUST_200600_302600_NS6detail15normal_iteratorINS9_10device_ptrIfEEEESE_fNS9_4plusIiEEfEEDaPvRmT3_T4_T5_mT6_P12ihipStream_tbENKUlT_T0_E_clISt17integral_constantIbLb1EESU_EEDaSP_SQ_EUlSP_E_NS1_11comp_targetILNS1_3genE3ELNS1_11target_archE908ELNS1_3gpuE7ELNS1_3repE0EEENS1_30default_config_static_selectorELNS0_4arch9wavefront6targetE1EEEvT1_, .Lfunc_end1518-_ZN7rocprim17ROCPRIM_400000_NS6detail17trampoline_kernelINS0_14default_configENS1_20scan_config_selectorIfEEZZNS1_9scan_implILNS1_25lookback_scan_determinismE0ELb0ELb0ES3_N6thrust23THRUST_200600_302600_NS6detail15normal_iteratorINS9_10device_ptrIfEEEESE_fNS9_4plusIiEEfEEDaPvRmT3_T4_T5_mT6_P12ihipStream_tbENKUlT_T0_E_clISt17integral_constantIbLb1EESU_EEDaSP_SQ_EUlSP_E_NS1_11comp_targetILNS1_3genE3ELNS1_11target_archE908ELNS1_3gpuE7ELNS1_3repE0EEENS1_30default_config_static_selectorELNS0_4arch9wavefront6targetE1EEEvT1_
                                        ; -- End function
	.section	.AMDGPU.csdata,"",@progbits
; Kernel info:
; codeLenInByte = 0
; NumSgprs: 4
; NumVgprs: 0
; NumAgprs: 0
; TotalNumVgprs: 0
; ScratchSize: 0
; MemoryBound: 0
; FloatMode: 240
; IeeeMode: 1
; LDSByteSize: 0 bytes/workgroup (compile time only)
; SGPRBlocks: 0
; VGPRBlocks: 0
; NumSGPRsForWavesPerEU: 4
; NumVGPRsForWavesPerEU: 1
; AccumOffset: 4
; Occupancy: 8
; WaveLimiterHint : 0
; COMPUTE_PGM_RSRC2:SCRATCH_EN: 0
; COMPUTE_PGM_RSRC2:USER_SGPR: 6
; COMPUTE_PGM_RSRC2:TRAP_HANDLER: 0
; COMPUTE_PGM_RSRC2:TGID_X_EN: 1
; COMPUTE_PGM_RSRC2:TGID_Y_EN: 0
; COMPUTE_PGM_RSRC2:TGID_Z_EN: 0
; COMPUTE_PGM_RSRC2:TIDIG_COMP_CNT: 0
; COMPUTE_PGM_RSRC3_GFX90A:ACCUM_OFFSET: 0
; COMPUTE_PGM_RSRC3_GFX90A:TG_SPLIT: 0
	.section	.text._ZN7rocprim17ROCPRIM_400000_NS6detail17trampoline_kernelINS0_14default_configENS1_20scan_config_selectorIfEEZZNS1_9scan_implILNS1_25lookback_scan_determinismE0ELb0ELb0ES3_N6thrust23THRUST_200600_302600_NS6detail15normal_iteratorINS9_10device_ptrIfEEEESE_fNS9_4plusIiEEfEEDaPvRmT3_T4_T5_mT6_P12ihipStream_tbENKUlT_T0_E_clISt17integral_constantIbLb1EESU_EEDaSP_SQ_EUlSP_E_NS1_11comp_targetILNS1_3genE2ELNS1_11target_archE906ELNS1_3gpuE6ELNS1_3repE0EEENS1_30default_config_static_selectorELNS0_4arch9wavefront6targetE1EEEvT1_,"axG",@progbits,_ZN7rocprim17ROCPRIM_400000_NS6detail17trampoline_kernelINS0_14default_configENS1_20scan_config_selectorIfEEZZNS1_9scan_implILNS1_25lookback_scan_determinismE0ELb0ELb0ES3_N6thrust23THRUST_200600_302600_NS6detail15normal_iteratorINS9_10device_ptrIfEEEESE_fNS9_4plusIiEEfEEDaPvRmT3_T4_T5_mT6_P12ihipStream_tbENKUlT_T0_E_clISt17integral_constantIbLb1EESU_EEDaSP_SQ_EUlSP_E_NS1_11comp_targetILNS1_3genE2ELNS1_11target_archE906ELNS1_3gpuE6ELNS1_3repE0EEENS1_30default_config_static_selectorELNS0_4arch9wavefront6targetE1EEEvT1_,comdat
	.protected	_ZN7rocprim17ROCPRIM_400000_NS6detail17trampoline_kernelINS0_14default_configENS1_20scan_config_selectorIfEEZZNS1_9scan_implILNS1_25lookback_scan_determinismE0ELb0ELb0ES3_N6thrust23THRUST_200600_302600_NS6detail15normal_iteratorINS9_10device_ptrIfEEEESE_fNS9_4plusIiEEfEEDaPvRmT3_T4_T5_mT6_P12ihipStream_tbENKUlT_T0_E_clISt17integral_constantIbLb1EESU_EEDaSP_SQ_EUlSP_E_NS1_11comp_targetILNS1_3genE2ELNS1_11target_archE906ELNS1_3gpuE6ELNS1_3repE0EEENS1_30default_config_static_selectorELNS0_4arch9wavefront6targetE1EEEvT1_ ; -- Begin function _ZN7rocprim17ROCPRIM_400000_NS6detail17trampoline_kernelINS0_14default_configENS1_20scan_config_selectorIfEEZZNS1_9scan_implILNS1_25lookback_scan_determinismE0ELb0ELb0ES3_N6thrust23THRUST_200600_302600_NS6detail15normal_iteratorINS9_10device_ptrIfEEEESE_fNS9_4plusIiEEfEEDaPvRmT3_T4_T5_mT6_P12ihipStream_tbENKUlT_T0_E_clISt17integral_constantIbLb1EESU_EEDaSP_SQ_EUlSP_E_NS1_11comp_targetILNS1_3genE2ELNS1_11target_archE906ELNS1_3gpuE6ELNS1_3repE0EEENS1_30default_config_static_selectorELNS0_4arch9wavefront6targetE1EEEvT1_
	.globl	_ZN7rocprim17ROCPRIM_400000_NS6detail17trampoline_kernelINS0_14default_configENS1_20scan_config_selectorIfEEZZNS1_9scan_implILNS1_25lookback_scan_determinismE0ELb0ELb0ES3_N6thrust23THRUST_200600_302600_NS6detail15normal_iteratorINS9_10device_ptrIfEEEESE_fNS9_4plusIiEEfEEDaPvRmT3_T4_T5_mT6_P12ihipStream_tbENKUlT_T0_E_clISt17integral_constantIbLb1EESU_EEDaSP_SQ_EUlSP_E_NS1_11comp_targetILNS1_3genE2ELNS1_11target_archE906ELNS1_3gpuE6ELNS1_3repE0EEENS1_30default_config_static_selectorELNS0_4arch9wavefront6targetE1EEEvT1_
	.p2align	8
	.type	_ZN7rocprim17ROCPRIM_400000_NS6detail17trampoline_kernelINS0_14default_configENS1_20scan_config_selectorIfEEZZNS1_9scan_implILNS1_25lookback_scan_determinismE0ELb0ELb0ES3_N6thrust23THRUST_200600_302600_NS6detail15normal_iteratorINS9_10device_ptrIfEEEESE_fNS9_4plusIiEEfEEDaPvRmT3_T4_T5_mT6_P12ihipStream_tbENKUlT_T0_E_clISt17integral_constantIbLb1EESU_EEDaSP_SQ_EUlSP_E_NS1_11comp_targetILNS1_3genE2ELNS1_11target_archE906ELNS1_3gpuE6ELNS1_3repE0EEENS1_30default_config_static_selectorELNS0_4arch9wavefront6targetE1EEEvT1_,@function
_ZN7rocprim17ROCPRIM_400000_NS6detail17trampoline_kernelINS0_14default_configENS1_20scan_config_selectorIfEEZZNS1_9scan_implILNS1_25lookback_scan_determinismE0ELb0ELb0ES3_N6thrust23THRUST_200600_302600_NS6detail15normal_iteratorINS9_10device_ptrIfEEEESE_fNS9_4plusIiEEfEEDaPvRmT3_T4_T5_mT6_P12ihipStream_tbENKUlT_T0_E_clISt17integral_constantIbLb1EESU_EEDaSP_SQ_EUlSP_E_NS1_11comp_targetILNS1_3genE2ELNS1_11target_archE906ELNS1_3gpuE6ELNS1_3repE0EEENS1_30default_config_static_selectorELNS0_4arch9wavefront6targetE1EEEvT1_: ; @_ZN7rocprim17ROCPRIM_400000_NS6detail17trampoline_kernelINS0_14default_configENS1_20scan_config_selectorIfEEZZNS1_9scan_implILNS1_25lookback_scan_determinismE0ELb0ELb0ES3_N6thrust23THRUST_200600_302600_NS6detail15normal_iteratorINS9_10device_ptrIfEEEESE_fNS9_4plusIiEEfEEDaPvRmT3_T4_T5_mT6_P12ihipStream_tbENKUlT_T0_E_clISt17integral_constantIbLb1EESU_EEDaSP_SQ_EUlSP_E_NS1_11comp_targetILNS1_3genE2ELNS1_11target_archE906ELNS1_3gpuE6ELNS1_3repE0EEENS1_30default_config_static_selectorELNS0_4arch9wavefront6targetE1EEEvT1_
; %bb.0:
	.section	.rodata,"a",@progbits
	.p2align	6, 0x0
	.amdhsa_kernel _ZN7rocprim17ROCPRIM_400000_NS6detail17trampoline_kernelINS0_14default_configENS1_20scan_config_selectorIfEEZZNS1_9scan_implILNS1_25lookback_scan_determinismE0ELb0ELb0ES3_N6thrust23THRUST_200600_302600_NS6detail15normal_iteratorINS9_10device_ptrIfEEEESE_fNS9_4plusIiEEfEEDaPvRmT3_T4_T5_mT6_P12ihipStream_tbENKUlT_T0_E_clISt17integral_constantIbLb1EESU_EEDaSP_SQ_EUlSP_E_NS1_11comp_targetILNS1_3genE2ELNS1_11target_archE906ELNS1_3gpuE6ELNS1_3repE0EEENS1_30default_config_static_selectorELNS0_4arch9wavefront6targetE1EEEvT1_
		.amdhsa_group_segment_fixed_size 0
		.amdhsa_private_segment_fixed_size 0
		.amdhsa_kernarg_size 96
		.amdhsa_user_sgpr_count 6
		.amdhsa_user_sgpr_private_segment_buffer 1
		.amdhsa_user_sgpr_dispatch_ptr 0
		.amdhsa_user_sgpr_queue_ptr 0
		.amdhsa_user_sgpr_kernarg_segment_ptr 1
		.amdhsa_user_sgpr_dispatch_id 0
		.amdhsa_user_sgpr_flat_scratch_init 0
		.amdhsa_user_sgpr_kernarg_preload_length 0
		.amdhsa_user_sgpr_kernarg_preload_offset 0
		.amdhsa_user_sgpr_private_segment_size 0
		.amdhsa_uses_dynamic_stack 0
		.amdhsa_system_sgpr_private_segment_wavefront_offset 0
		.amdhsa_system_sgpr_workgroup_id_x 1
		.amdhsa_system_sgpr_workgroup_id_y 0
		.amdhsa_system_sgpr_workgroup_id_z 0
		.amdhsa_system_sgpr_workgroup_info 0
		.amdhsa_system_vgpr_workitem_id 0
		.amdhsa_next_free_vgpr 1
		.amdhsa_next_free_sgpr 0
		.amdhsa_accum_offset 4
		.amdhsa_reserve_vcc 0
		.amdhsa_reserve_flat_scratch 0
		.amdhsa_float_round_mode_32 0
		.amdhsa_float_round_mode_16_64 0
		.amdhsa_float_denorm_mode_32 3
		.amdhsa_float_denorm_mode_16_64 3
		.amdhsa_dx10_clamp 1
		.amdhsa_ieee_mode 1
		.amdhsa_fp16_overflow 0
		.amdhsa_tg_split 0
		.amdhsa_exception_fp_ieee_invalid_op 0
		.amdhsa_exception_fp_denorm_src 0
		.amdhsa_exception_fp_ieee_div_zero 0
		.amdhsa_exception_fp_ieee_overflow 0
		.amdhsa_exception_fp_ieee_underflow 0
		.amdhsa_exception_fp_ieee_inexact 0
		.amdhsa_exception_int_div_zero 0
	.end_amdhsa_kernel
	.section	.text._ZN7rocprim17ROCPRIM_400000_NS6detail17trampoline_kernelINS0_14default_configENS1_20scan_config_selectorIfEEZZNS1_9scan_implILNS1_25lookback_scan_determinismE0ELb0ELb0ES3_N6thrust23THRUST_200600_302600_NS6detail15normal_iteratorINS9_10device_ptrIfEEEESE_fNS9_4plusIiEEfEEDaPvRmT3_T4_T5_mT6_P12ihipStream_tbENKUlT_T0_E_clISt17integral_constantIbLb1EESU_EEDaSP_SQ_EUlSP_E_NS1_11comp_targetILNS1_3genE2ELNS1_11target_archE906ELNS1_3gpuE6ELNS1_3repE0EEENS1_30default_config_static_selectorELNS0_4arch9wavefront6targetE1EEEvT1_,"axG",@progbits,_ZN7rocprim17ROCPRIM_400000_NS6detail17trampoline_kernelINS0_14default_configENS1_20scan_config_selectorIfEEZZNS1_9scan_implILNS1_25lookback_scan_determinismE0ELb0ELb0ES3_N6thrust23THRUST_200600_302600_NS6detail15normal_iteratorINS9_10device_ptrIfEEEESE_fNS9_4plusIiEEfEEDaPvRmT3_T4_T5_mT6_P12ihipStream_tbENKUlT_T0_E_clISt17integral_constantIbLb1EESU_EEDaSP_SQ_EUlSP_E_NS1_11comp_targetILNS1_3genE2ELNS1_11target_archE906ELNS1_3gpuE6ELNS1_3repE0EEENS1_30default_config_static_selectorELNS0_4arch9wavefront6targetE1EEEvT1_,comdat
.Lfunc_end1519:
	.size	_ZN7rocprim17ROCPRIM_400000_NS6detail17trampoline_kernelINS0_14default_configENS1_20scan_config_selectorIfEEZZNS1_9scan_implILNS1_25lookback_scan_determinismE0ELb0ELb0ES3_N6thrust23THRUST_200600_302600_NS6detail15normal_iteratorINS9_10device_ptrIfEEEESE_fNS9_4plusIiEEfEEDaPvRmT3_T4_T5_mT6_P12ihipStream_tbENKUlT_T0_E_clISt17integral_constantIbLb1EESU_EEDaSP_SQ_EUlSP_E_NS1_11comp_targetILNS1_3genE2ELNS1_11target_archE906ELNS1_3gpuE6ELNS1_3repE0EEENS1_30default_config_static_selectorELNS0_4arch9wavefront6targetE1EEEvT1_, .Lfunc_end1519-_ZN7rocprim17ROCPRIM_400000_NS6detail17trampoline_kernelINS0_14default_configENS1_20scan_config_selectorIfEEZZNS1_9scan_implILNS1_25lookback_scan_determinismE0ELb0ELb0ES3_N6thrust23THRUST_200600_302600_NS6detail15normal_iteratorINS9_10device_ptrIfEEEESE_fNS9_4plusIiEEfEEDaPvRmT3_T4_T5_mT6_P12ihipStream_tbENKUlT_T0_E_clISt17integral_constantIbLb1EESU_EEDaSP_SQ_EUlSP_E_NS1_11comp_targetILNS1_3genE2ELNS1_11target_archE906ELNS1_3gpuE6ELNS1_3repE0EEENS1_30default_config_static_selectorELNS0_4arch9wavefront6targetE1EEEvT1_
                                        ; -- End function
	.section	.AMDGPU.csdata,"",@progbits
; Kernel info:
; codeLenInByte = 0
; NumSgprs: 4
; NumVgprs: 0
; NumAgprs: 0
; TotalNumVgprs: 0
; ScratchSize: 0
; MemoryBound: 0
; FloatMode: 240
; IeeeMode: 1
; LDSByteSize: 0 bytes/workgroup (compile time only)
; SGPRBlocks: 0
; VGPRBlocks: 0
; NumSGPRsForWavesPerEU: 4
; NumVGPRsForWavesPerEU: 1
; AccumOffset: 4
; Occupancy: 8
; WaveLimiterHint : 0
; COMPUTE_PGM_RSRC2:SCRATCH_EN: 0
; COMPUTE_PGM_RSRC2:USER_SGPR: 6
; COMPUTE_PGM_RSRC2:TRAP_HANDLER: 0
; COMPUTE_PGM_RSRC2:TGID_X_EN: 1
; COMPUTE_PGM_RSRC2:TGID_Y_EN: 0
; COMPUTE_PGM_RSRC2:TGID_Z_EN: 0
; COMPUTE_PGM_RSRC2:TIDIG_COMP_CNT: 0
; COMPUTE_PGM_RSRC3_GFX90A:ACCUM_OFFSET: 0
; COMPUTE_PGM_RSRC3_GFX90A:TG_SPLIT: 0
	.section	.text._ZN7rocprim17ROCPRIM_400000_NS6detail17trampoline_kernelINS0_14default_configENS1_20scan_config_selectorIfEEZZNS1_9scan_implILNS1_25lookback_scan_determinismE0ELb0ELb0ES3_N6thrust23THRUST_200600_302600_NS6detail15normal_iteratorINS9_10device_ptrIfEEEESE_fNS9_4plusIiEEfEEDaPvRmT3_T4_T5_mT6_P12ihipStream_tbENKUlT_T0_E_clISt17integral_constantIbLb1EESU_EEDaSP_SQ_EUlSP_E_NS1_11comp_targetILNS1_3genE10ELNS1_11target_archE1201ELNS1_3gpuE5ELNS1_3repE0EEENS1_30default_config_static_selectorELNS0_4arch9wavefront6targetE1EEEvT1_,"axG",@progbits,_ZN7rocprim17ROCPRIM_400000_NS6detail17trampoline_kernelINS0_14default_configENS1_20scan_config_selectorIfEEZZNS1_9scan_implILNS1_25lookback_scan_determinismE0ELb0ELb0ES3_N6thrust23THRUST_200600_302600_NS6detail15normal_iteratorINS9_10device_ptrIfEEEESE_fNS9_4plusIiEEfEEDaPvRmT3_T4_T5_mT6_P12ihipStream_tbENKUlT_T0_E_clISt17integral_constantIbLb1EESU_EEDaSP_SQ_EUlSP_E_NS1_11comp_targetILNS1_3genE10ELNS1_11target_archE1201ELNS1_3gpuE5ELNS1_3repE0EEENS1_30default_config_static_selectorELNS0_4arch9wavefront6targetE1EEEvT1_,comdat
	.protected	_ZN7rocprim17ROCPRIM_400000_NS6detail17trampoline_kernelINS0_14default_configENS1_20scan_config_selectorIfEEZZNS1_9scan_implILNS1_25lookback_scan_determinismE0ELb0ELb0ES3_N6thrust23THRUST_200600_302600_NS6detail15normal_iteratorINS9_10device_ptrIfEEEESE_fNS9_4plusIiEEfEEDaPvRmT3_T4_T5_mT6_P12ihipStream_tbENKUlT_T0_E_clISt17integral_constantIbLb1EESU_EEDaSP_SQ_EUlSP_E_NS1_11comp_targetILNS1_3genE10ELNS1_11target_archE1201ELNS1_3gpuE5ELNS1_3repE0EEENS1_30default_config_static_selectorELNS0_4arch9wavefront6targetE1EEEvT1_ ; -- Begin function _ZN7rocprim17ROCPRIM_400000_NS6detail17trampoline_kernelINS0_14default_configENS1_20scan_config_selectorIfEEZZNS1_9scan_implILNS1_25lookback_scan_determinismE0ELb0ELb0ES3_N6thrust23THRUST_200600_302600_NS6detail15normal_iteratorINS9_10device_ptrIfEEEESE_fNS9_4plusIiEEfEEDaPvRmT3_T4_T5_mT6_P12ihipStream_tbENKUlT_T0_E_clISt17integral_constantIbLb1EESU_EEDaSP_SQ_EUlSP_E_NS1_11comp_targetILNS1_3genE10ELNS1_11target_archE1201ELNS1_3gpuE5ELNS1_3repE0EEENS1_30default_config_static_selectorELNS0_4arch9wavefront6targetE1EEEvT1_
	.globl	_ZN7rocprim17ROCPRIM_400000_NS6detail17trampoline_kernelINS0_14default_configENS1_20scan_config_selectorIfEEZZNS1_9scan_implILNS1_25lookback_scan_determinismE0ELb0ELb0ES3_N6thrust23THRUST_200600_302600_NS6detail15normal_iteratorINS9_10device_ptrIfEEEESE_fNS9_4plusIiEEfEEDaPvRmT3_T4_T5_mT6_P12ihipStream_tbENKUlT_T0_E_clISt17integral_constantIbLb1EESU_EEDaSP_SQ_EUlSP_E_NS1_11comp_targetILNS1_3genE10ELNS1_11target_archE1201ELNS1_3gpuE5ELNS1_3repE0EEENS1_30default_config_static_selectorELNS0_4arch9wavefront6targetE1EEEvT1_
	.p2align	8
	.type	_ZN7rocprim17ROCPRIM_400000_NS6detail17trampoline_kernelINS0_14default_configENS1_20scan_config_selectorIfEEZZNS1_9scan_implILNS1_25lookback_scan_determinismE0ELb0ELb0ES3_N6thrust23THRUST_200600_302600_NS6detail15normal_iteratorINS9_10device_ptrIfEEEESE_fNS9_4plusIiEEfEEDaPvRmT3_T4_T5_mT6_P12ihipStream_tbENKUlT_T0_E_clISt17integral_constantIbLb1EESU_EEDaSP_SQ_EUlSP_E_NS1_11comp_targetILNS1_3genE10ELNS1_11target_archE1201ELNS1_3gpuE5ELNS1_3repE0EEENS1_30default_config_static_selectorELNS0_4arch9wavefront6targetE1EEEvT1_,@function
_ZN7rocprim17ROCPRIM_400000_NS6detail17trampoline_kernelINS0_14default_configENS1_20scan_config_selectorIfEEZZNS1_9scan_implILNS1_25lookback_scan_determinismE0ELb0ELb0ES3_N6thrust23THRUST_200600_302600_NS6detail15normal_iteratorINS9_10device_ptrIfEEEESE_fNS9_4plusIiEEfEEDaPvRmT3_T4_T5_mT6_P12ihipStream_tbENKUlT_T0_E_clISt17integral_constantIbLb1EESU_EEDaSP_SQ_EUlSP_E_NS1_11comp_targetILNS1_3genE10ELNS1_11target_archE1201ELNS1_3gpuE5ELNS1_3repE0EEENS1_30default_config_static_selectorELNS0_4arch9wavefront6targetE1EEEvT1_: ; @_ZN7rocprim17ROCPRIM_400000_NS6detail17trampoline_kernelINS0_14default_configENS1_20scan_config_selectorIfEEZZNS1_9scan_implILNS1_25lookback_scan_determinismE0ELb0ELb0ES3_N6thrust23THRUST_200600_302600_NS6detail15normal_iteratorINS9_10device_ptrIfEEEESE_fNS9_4plusIiEEfEEDaPvRmT3_T4_T5_mT6_P12ihipStream_tbENKUlT_T0_E_clISt17integral_constantIbLb1EESU_EEDaSP_SQ_EUlSP_E_NS1_11comp_targetILNS1_3genE10ELNS1_11target_archE1201ELNS1_3gpuE5ELNS1_3repE0EEENS1_30default_config_static_selectorELNS0_4arch9wavefront6targetE1EEEvT1_
; %bb.0:
	.section	.rodata,"a",@progbits
	.p2align	6, 0x0
	.amdhsa_kernel _ZN7rocprim17ROCPRIM_400000_NS6detail17trampoline_kernelINS0_14default_configENS1_20scan_config_selectorIfEEZZNS1_9scan_implILNS1_25lookback_scan_determinismE0ELb0ELb0ES3_N6thrust23THRUST_200600_302600_NS6detail15normal_iteratorINS9_10device_ptrIfEEEESE_fNS9_4plusIiEEfEEDaPvRmT3_T4_T5_mT6_P12ihipStream_tbENKUlT_T0_E_clISt17integral_constantIbLb1EESU_EEDaSP_SQ_EUlSP_E_NS1_11comp_targetILNS1_3genE10ELNS1_11target_archE1201ELNS1_3gpuE5ELNS1_3repE0EEENS1_30default_config_static_selectorELNS0_4arch9wavefront6targetE1EEEvT1_
		.amdhsa_group_segment_fixed_size 0
		.amdhsa_private_segment_fixed_size 0
		.amdhsa_kernarg_size 96
		.amdhsa_user_sgpr_count 6
		.amdhsa_user_sgpr_private_segment_buffer 1
		.amdhsa_user_sgpr_dispatch_ptr 0
		.amdhsa_user_sgpr_queue_ptr 0
		.amdhsa_user_sgpr_kernarg_segment_ptr 1
		.amdhsa_user_sgpr_dispatch_id 0
		.amdhsa_user_sgpr_flat_scratch_init 0
		.amdhsa_user_sgpr_kernarg_preload_length 0
		.amdhsa_user_sgpr_kernarg_preload_offset 0
		.amdhsa_user_sgpr_private_segment_size 0
		.amdhsa_uses_dynamic_stack 0
		.amdhsa_system_sgpr_private_segment_wavefront_offset 0
		.amdhsa_system_sgpr_workgroup_id_x 1
		.amdhsa_system_sgpr_workgroup_id_y 0
		.amdhsa_system_sgpr_workgroup_id_z 0
		.amdhsa_system_sgpr_workgroup_info 0
		.amdhsa_system_vgpr_workitem_id 0
		.amdhsa_next_free_vgpr 1
		.amdhsa_next_free_sgpr 0
		.amdhsa_accum_offset 4
		.amdhsa_reserve_vcc 0
		.amdhsa_reserve_flat_scratch 0
		.amdhsa_float_round_mode_32 0
		.amdhsa_float_round_mode_16_64 0
		.amdhsa_float_denorm_mode_32 3
		.amdhsa_float_denorm_mode_16_64 3
		.amdhsa_dx10_clamp 1
		.amdhsa_ieee_mode 1
		.amdhsa_fp16_overflow 0
		.amdhsa_tg_split 0
		.amdhsa_exception_fp_ieee_invalid_op 0
		.amdhsa_exception_fp_denorm_src 0
		.amdhsa_exception_fp_ieee_div_zero 0
		.amdhsa_exception_fp_ieee_overflow 0
		.amdhsa_exception_fp_ieee_underflow 0
		.amdhsa_exception_fp_ieee_inexact 0
		.amdhsa_exception_int_div_zero 0
	.end_amdhsa_kernel
	.section	.text._ZN7rocprim17ROCPRIM_400000_NS6detail17trampoline_kernelINS0_14default_configENS1_20scan_config_selectorIfEEZZNS1_9scan_implILNS1_25lookback_scan_determinismE0ELb0ELb0ES3_N6thrust23THRUST_200600_302600_NS6detail15normal_iteratorINS9_10device_ptrIfEEEESE_fNS9_4plusIiEEfEEDaPvRmT3_T4_T5_mT6_P12ihipStream_tbENKUlT_T0_E_clISt17integral_constantIbLb1EESU_EEDaSP_SQ_EUlSP_E_NS1_11comp_targetILNS1_3genE10ELNS1_11target_archE1201ELNS1_3gpuE5ELNS1_3repE0EEENS1_30default_config_static_selectorELNS0_4arch9wavefront6targetE1EEEvT1_,"axG",@progbits,_ZN7rocprim17ROCPRIM_400000_NS6detail17trampoline_kernelINS0_14default_configENS1_20scan_config_selectorIfEEZZNS1_9scan_implILNS1_25lookback_scan_determinismE0ELb0ELb0ES3_N6thrust23THRUST_200600_302600_NS6detail15normal_iteratorINS9_10device_ptrIfEEEESE_fNS9_4plusIiEEfEEDaPvRmT3_T4_T5_mT6_P12ihipStream_tbENKUlT_T0_E_clISt17integral_constantIbLb1EESU_EEDaSP_SQ_EUlSP_E_NS1_11comp_targetILNS1_3genE10ELNS1_11target_archE1201ELNS1_3gpuE5ELNS1_3repE0EEENS1_30default_config_static_selectorELNS0_4arch9wavefront6targetE1EEEvT1_,comdat
.Lfunc_end1520:
	.size	_ZN7rocprim17ROCPRIM_400000_NS6detail17trampoline_kernelINS0_14default_configENS1_20scan_config_selectorIfEEZZNS1_9scan_implILNS1_25lookback_scan_determinismE0ELb0ELb0ES3_N6thrust23THRUST_200600_302600_NS6detail15normal_iteratorINS9_10device_ptrIfEEEESE_fNS9_4plusIiEEfEEDaPvRmT3_T4_T5_mT6_P12ihipStream_tbENKUlT_T0_E_clISt17integral_constantIbLb1EESU_EEDaSP_SQ_EUlSP_E_NS1_11comp_targetILNS1_3genE10ELNS1_11target_archE1201ELNS1_3gpuE5ELNS1_3repE0EEENS1_30default_config_static_selectorELNS0_4arch9wavefront6targetE1EEEvT1_, .Lfunc_end1520-_ZN7rocprim17ROCPRIM_400000_NS6detail17trampoline_kernelINS0_14default_configENS1_20scan_config_selectorIfEEZZNS1_9scan_implILNS1_25lookback_scan_determinismE0ELb0ELb0ES3_N6thrust23THRUST_200600_302600_NS6detail15normal_iteratorINS9_10device_ptrIfEEEESE_fNS9_4plusIiEEfEEDaPvRmT3_T4_T5_mT6_P12ihipStream_tbENKUlT_T0_E_clISt17integral_constantIbLb1EESU_EEDaSP_SQ_EUlSP_E_NS1_11comp_targetILNS1_3genE10ELNS1_11target_archE1201ELNS1_3gpuE5ELNS1_3repE0EEENS1_30default_config_static_selectorELNS0_4arch9wavefront6targetE1EEEvT1_
                                        ; -- End function
	.section	.AMDGPU.csdata,"",@progbits
; Kernel info:
; codeLenInByte = 0
; NumSgprs: 4
; NumVgprs: 0
; NumAgprs: 0
; TotalNumVgprs: 0
; ScratchSize: 0
; MemoryBound: 0
; FloatMode: 240
; IeeeMode: 1
; LDSByteSize: 0 bytes/workgroup (compile time only)
; SGPRBlocks: 0
; VGPRBlocks: 0
; NumSGPRsForWavesPerEU: 4
; NumVGPRsForWavesPerEU: 1
; AccumOffset: 4
; Occupancy: 8
; WaveLimiterHint : 0
; COMPUTE_PGM_RSRC2:SCRATCH_EN: 0
; COMPUTE_PGM_RSRC2:USER_SGPR: 6
; COMPUTE_PGM_RSRC2:TRAP_HANDLER: 0
; COMPUTE_PGM_RSRC2:TGID_X_EN: 1
; COMPUTE_PGM_RSRC2:TGID_Y_EN: 0
; COMPUTE_PGM_RSRC2:TGID_Z_EN: 0
; COMPUTE_PGM_RSRC2:TIDIG_COMP_CNT: 0
; COMPUTE_PGM_RSRC3_GFX90A:ACCUM_OFFSET: 0
; COMPUTE_PGM_RSRC3_GFX90A:TG_SPLIT: 0
	.section	.text._ZN7rocprim17ROCPRIM_400000_NS6detail17trampoline_kernelINS0_14default_configENS1_20scan_config_selectorIfEEZZNS1_9scan_implILNS1_25lookback_scan_determinismE0ELb0ELb0ES3_N6thrust23THRUST_200600_302600_NS6detail15normal_iteratorINS9_10device_ptrIfEEEESE_fNS9_4plusIiEEfEEDaPvRmT3_T4_T5_mT6_P12ihipStream_tbENKUlT_T0_E_clISt17integral_constantIbLb1EESU_EEDaSP_SQ_EUlSP_E_NS1_11comp_targetILNS1_3genE10ELNS1_11target_archE1200ELNS1_3gpuE4ELNS1_3repE0EEENS1_30default_config_static_selectorELNS0_4arch9wavefront6targetE1EEEvT1_,"axG",@progbits,_ZN7rocprim17ROCPRIM_400000_NS6detail17trampoline_kernelINS0_14default_configENS1_20scan_config_selectorIfEEZZNS1_9scan_implILNS1_25lookback_scan_determinismE0ELb0ELb0ES3_N6thrust23THRUST_200600_302600_NS6detail15normal_iteratorINS9_10device_ptrIfEEEESE_fNS9_4plusIiEEfEEDaPvRmT3_T4_T5_mT6_P12ihipStream_tbENKUlT_T0_E_clISt17integral_constantIbLb1EESU_EEDaSP_SQ_EUlSP_E_NS1_11comp_targetILNS1_3genE10ELNS1_11target_archE1200ELNS1_3gpuE4ELNS1_3repE0EEENS1_30default_config_static_selectorELNS0_4arch9wavefront6targetE1EEEvT1_,comdat
	.protected	_ZN7rocprim17ROCPRIM_400000_NS6detail17trampoline_kernelINS0_14default_configENS1_20scan_config_selectorIfEEZZNS1_9scan_implILNS1_25lookback_scan_determinismE0ELb0ELb0ES3_N6thrust23THRUST_200600_302600_NS6detail15normal_iteratorINS9_10device_ptrIfEEEESE_fNS9_4plusIiEEfEEDaPvRmT3_T4_T5_mT6_P12ihipStream_tbENKUlT_T0_E_clISt17integral_constantIbLb1EESU_EEDaSP_SQ_EUlSP_E_NS1_11comp_targetILNS1_3genE10ELNS1_11target_archE1200ELNS1_3gpuE4ELNS1_3repE0EEENS1_30default_config_static_selectorELNS0_4arch9wavefront6targetE1EEEvT1_ ; -- Begin function _ZN7rocprim17ROCPRIM_400000_NS6detail17trampoline_kernelINS0_14default_configENS1_20scan_config_selectorIfEEZZNS1_9scan_implILNS1_25lookback_scan_determinismE0ELb0ELb0ES3_N6thrust23THRUST_200600_302600_NS6detail15normal_iteratorINS9_10device_ptrIfEEEESE_fNS9_4plusIiEEfEEDaPvRmT3_T4_T5_mT6_P12ihipStream_tbENKUlT_T0_E_clISt17integral_constantIbLb1EESU_EEDaSP_SQ_EUlSP_E_NS1_11comp_targetILNS1_3genE10ELNS1_11target_archE1200ELNS1_3gpuE4ELNS1_3repE0EEENS1_30default_config_static_selectorELNS0_4arch9wavefront6targetE1EEEvT1_
	.globl	_ZN7rocprim17ROCPRIM_400000_NS6detail17trampoline_kernelINS0_14default_configENS1_20scan_config_selectorIfEEZZNS1_9scan_implILNS1_25lookback_scan_determinismE0ELb0ELb0ES3_N6thrust23THRUST_200600_302600_NS6detail15normal_iteratorINS9_10device_ptrIfEEEESE_fNS9_4plusIiEEfEEDaPvRmT3_T4_T5_mT6_P12ihipStream_tbENKUlT_T0_E_clISt17integral_constantIbLb1EESU_EEDaSP_SQ_EUlSP_E_NS1_11comp_targetILNS1_3genE10ELNS1_11target_archE1200ELNS1_3gpuE4ELNS1_3repE0EEENS1_30default_config_static_selectorELNS0_4arch9wavefront6targetE1EEEvT1_
	.p2align	8
	.type	_ZN7rocprim17ROCPRIM_400000_NS6detail17trampoline_kernelINS0_14default_configENS1_20scan_config_selectorIfEEZZNS1_9scan_implILNS1_25lookback_scan_determinismE0ELb0ELb0ES3_N6thrust23THRUST_200600_302600_NS6detail15normal_iteratorINS9_10device_ptrIfEEEESE_fNS9_4plusIiEEfEEDaPvRmT3_T4_T5_mT6_P12ihipStream_tbENKUlT_T0_E_clISt17integral_constantIbLb1EESU_EEDaSP_SQ_EUlSP_E_NS1_11comp_targetILNS1_3genE10ELNS1_11target_archE1200ELNS1_3gpuE4ELNS1_3repE0EEENS1_30default_config_static_selectorELNS0_4arch9wavefront6targetE1EEEvT1_,@function
_ZN7rocprim17ROCPRIM_400000_NS6detail17trampoline_kernelINS0_14default_configENS1_20scan_config_selectorIfEEZZNS1_9scan_implILNS1_25lookback_scan_determinismE0ELb0ELb0ES3_N6thrust23THRUST_200600_302600_NS6detail15normal_iteratorINS9_10device_ptrIfEEEESE_fNS9_4plusIiEEfEEDaPvRmT3_T4_T5_mT6_P12ihipStream_tbENKUlT_T0_E_clISt17integral_constantIbLb1EESU_EEDaSP_SQ_EUlSP_E_NS1_11comp_targetILNS1_3genE10ELNS1_11target_archE1200ELNS1_3gpuE4ELNS1_3repE0EEENS1_30default_config_static_selectorELNS0_4arch9wavefront6targetE1EEEvT1_: ; @_ZN7rocprim17ROCPRIM_400000_NS6detail17trampoline_kernelINS0_14default_configENS1_20scan_config_selectorIfEEZZNS1_9scan_implILNS1_25lookback_scan_determinismE0ELb0ELb0ES3_N6thrust23THRUST_200600_302600_NS6detail15normal_iteratorINS9_10device_ptrIfEEEESE_fNS9_4plusIiEEfEEDaPvRmT3_T4_T5_mT6_P12ihipStream_tbENKUlT_T0_E_clISt17integral_constantIbLb1EESU_EEDaSP_SQ_EUlSP_E_NS1_11comp_targetILNS1_3genE10ELNS1_11target_archE1200ELNS1_3gpuE4ELNS1_3repE0EEENS1_30default_config_static_selectorELNS0_4arch9wavefront6targetE1EEEvT1_
; %bb.0:
	.section	.rodata,"a",@progbits
	.p2align	6, 0x0
	.amdhsa_kernel _ZN7rocprim17ROCPRIM_400000_NS6detail17trampoline_kernelINS0_14default_configENS1_20scan_config_selectorIfEEZZNS1_9scan_implILNS1_25lookback_scan_determinismE0ELb0ELb0ES3_N6thrust23THRUST_200600_302600_NS6detail15normal_iteratorINS9_10device_ptrIfEEEESE_fNS9_4plusIiEEfEEDaPvRmT3_T4_T5_mT6_P12ihipStream_tbENKUlT_T0_E_clISt17integral_constantIbLb1EESU_EEDaSP_SQ_EUlSP_E_NS1_11comp_targetILNS1_3genE10ELNS1_11target_archE1200ELNS1_3gpuE4ELNS1_3repE0EEENS1_30default_config_static_selectorELNS0_4arch9wavefront6targetE1EEEvT1_
		.amdhsa_group_segment_fixed_size 0
		.amdhsa_private_segment_fixed_size 0
		.amdhsa_kernarg_size 96
		.amdhsa_user_sgpr_count 6
		.amdhsa_user_sgpr_private_segment_buffer 1
		.amdhsa_user_sgpr_dispatch_ptr 0
		.amdhsa_user_sgpr_queue_ptr 0
		.amdhsa_user_sgpr_kernarg_segment_ptr 1
		.amdhsa_user_sgpr_dispatch_id 0
		.amdhsa_user_sgpr_flat_scratch_init 0
		.amdhsa_user_sgpr_kernarg_preload_length 0
		.amdhsa_user_sgpr_kernarg_preload_offset 0
		.amdhsa_user_sgpr_private_segment_size 0
		.amdhsa_uses_dynamic_stack 0
		.amdhsa_system_sgpr_private_segment_wavefront_offset 0
		.amdhsa_system_sgpr_workgroup_id_x 1
		.amdhsa_system_sgpr_workgroup_id_y 0
		.amdhsa_system_sgpr_workgroup_id_z 0
		.amdhsa_system_sgpr_workgroup_info 0
		.amdhsa_system_vgpr_workitem_id 0
		.amdhsa_next_free_vgpr 1
		.amdhsa_next_free_sgpr 0
		.amdhsa_accum_offset 4
		.amdhsa_reserve_vcc 0
		.amdhsa_reserve_flat_scratch 0
		.amdhsa_float_round_mode_32 0
		.amdhsa_float_round_mode_16_64 0
		.amdhsa_float_denorm_mode_32 3
		.amdhsa_float_denorm_mode_16_64 3
		.amdhsa_dx10_clamp 1
		.amdhsa_ieee_mode 1
		.amdhsa_fp16_overflow 0
		.amdhsa_tg_split 0
		.amdhsa_exception_fp_ieee_invalid_op 0
		.amdhsa_exception_fp_denorm_src 0
		.amdhsa_exception_fp_ieee_div_zero 0
		.amdhsa_exception_fp_ieee_overflow 0
		.amdhsa_exception_fp_ieee_underflow 0
		.amdhsa_exception_fp_ieee_inexact 0
		.amdhsa_exception_int_div_zero 0
	.end_amdhsa_kernel
	.section	.text._ZN7rocprim17ROCPRIM_400000_NS6detail17trampoline_kernelINS0_14default_configENS1_20scan_config_selectorIfEEZZNS1_9scan_implILNS1_25lookback_scan_determinismE0ELb0ELb0ES3_N6thrust23THRUST_200600_302600_NS6detail15normal_iteratorINS9_10device_ptrIfEEEESE_fNS9_4plusIiEEfEEDaPvRmT3_T4_T5_mT6_P12ihipStream_tbENKUlT_T0_E_clISt17integral_constantIbLb1EESU_EEDaSP_SQ_EUlSP_E_NS1_11comp_targetILNS1_3genE10ELNS1_11target_archE1200ELNS1_3gpuE4ELNS1_3repE0EEENS1_30default_config_static_selectorELNS0_4arch9wavefront6targetE1EEEvT1_,"axG",@progbits,_ZN7rocprim17ROCPRIM_400000_NS6detail17trampoline_kernelINS0_14default_configENS1_20scan_config_selectorIfEEZZNS1_9scan_implILNS1_25lookback_scan_determinismE0ELb0ELb0ES3_N6thrust23THRUST_200600_302600_NS6detail15normal_iteratorINS9_10device_ptrIfEEEESE_fNS9_4plusIiEEfEEDaPvRmT3_T4_T5_mT6_P12ihipStream_tbENKUlT_T0_E_clISt17integral_constantIbLb1EESU_EEDaSP_SQ_EUlSP_E_NS1_11comp_targetILNS1_3genE10ELNS1_11target_archE1200ELNS1_3gpuE4ELNS1_3repE0EEENS1_30default_config_static_selectorELNS0_4arch9wavefront6targetE1EEEvT1_,comdat
.Lfunc_end1521:
	.size	_ZN7rocprim17ROCPRIM_400000_NS6detail17trampoline_kernelINS0_14default_configENS1_20scan_config_selectorIfEEZZNS1_9scan_implILNS1_25lookback_scan_determinismE0ELb0ELb0ES3_N6thrust23THRUST_200600_302600_NS6detail15normal_iteratorINS9_10device_ptrIfEEEESE_fNS9_4plusIiEEfEEDaPvRmT3_T4_T5_mT6_P12ihipStream_tbENKUlT_T0_E_clISt17integral_constantIbLb1EESU_EEDaSP_SQ_EUlSP_E_NS1_11comp_targetILNS1_3genE10ELNS1_11target_archE1200ELNS1_3gpuE4ELNS1_3repE0EEENS1_30default_config_static_selectorELNS0_4arch9wavefront6targetE1EEEvT1_, .Lfunc_end1521-_ZN7rocprim17ROCPRIM_400000_NS6detail17trampoline_kernelINS0_14default_configENS1_20scan_config_selectorIfEEZZNS1_9scan_implILNS1_25lookback_scan_determinismE0ELb0ELb0ES3_N6thrust23THRUST_200600_302600_NS6detail15normal_iteratorINS9_10device_ptrIfEEEESE_fNS9_4plusIiEEfEEDaPvRmT3_T4_T5_mT6_P12ihipStream_tbENKUlT_T0_E_clISt17integral_constantIbLb1EESU_EEDaSP_SQ_EUlSP_E_NS1_11comp_targetILNS1_3genE10ELNS1_11target_archE1200ELNS1_3gpuE4ELNS1_3repE0EEENS1_30default_config_static_selectorELNS0_4arch9wavefront6targetE1EEEvT1_
                                        ; -- End function
	.section	.AMDGPU.csdata,"",@progbits
; Kernel info:
; codeLenInByte = 0
; NumSgprs: 4
; NumVgprs: 0
; NumAgprs: 0
; TotalNumVgprs: 0
; ScratchSize: 0
; MemoryBound: 0
; FloatMode: 240
; IeeeMode: 1
; LDSByteSize: 0 bytes/workgroup (compile time only)
; SGPRBlocks: 0
; VGPRBlocks: 0
; NumSGPRsForWavesPerEU: 4
; NumVGPRsForWavesPerEU: 1
; AccumOffset: 4
; Occupancy: 8
; WaveLimiterHint : 0
; COMPUTE_PGM_RSRC2:SCRATCH_EN: 0
; COMPUTE_PGM_RSRC2:USER_SGPR: 6
; COMPUTE_PGM_RSRC2:TRAP_HANDLER: 0
; COMPUTE_PGM_RSRC2:TGID_X_EN: 1
; COMPUTE_PGM_RSRC2:TGID_Y_EN: 0
; COMPUTE_PGM_RSRC2:TGID_Z_EN: 0
; COMPUTE_PGM_RSRC2:TIDIG_COMP_CNT: 0
; COMPUTE_PGM_RSRC3_GFX90A:ACCUM_OFFSET: 0
; COMPUTE_PGM_RSRC3_GFX90A:TG_SPLIT: 0
	.section	.text._ZN7rocprim17ROCPRIM_400000_NS6detail17trampoline_kernelINS0_14default_configENS1_20scan_config_selectorIfEEZZNS1_9scan_implILNS1_25lookback_scan_determinismE0ELb0ELb0ES3_N6thrust23THRUST_200600_302600_NS6detail15normal_iteratorINS9_10device_ptrIfEEEESE_fNS9_4plusIiEEfEEDaPvRmT3_T4_T5_mT6_P12ihipStream_tbENKUlT_T0_E_clISt17integral_constantIbLb1EESU_EEDaSP_SQ_EUlSP_E_NS1_11comp_targetILNS1_3genE9ELNS1_11target_archE1100ELNS1_3gpuE3ELNS1_3repE0EEENS1_30default_config_static_selectorELNS0_4arch9wavefront6targetE1EEEvT1_,"axG",@progbits,_ZN7rocprim17ROCPRIM_400000_NS6detail17trampoline_kernelINS0_14default_configENS1_20scan_config_selectorIfEEZZNS1_9scan_implILNS1_25lookback_scan_determinismE0ELb0ELb0ES3_N6thrust23THRUST_200600_302600_NS6detail15normal_iteratorINS9_10device_ptrIfEEEESE_fNS9_4plusIiEEfEEDaPvRmT3_T4_T5_mT6_P12ihipStream_tbENKUlT_T0_E_clISt17integral_constantIbLb1EESU_EEDaSP_SQ_EUlSP_E_NS1_11comp_targetILNS1_3genE9ELNS1_11target_archE1100ELNS1_3gpuE3ELNS1_3repE0EEENS1_30default_config_static_selectorELNS0_4arch9wavefront6targetE1EEEvT1_,comdat
	.protected	_ZN7rocprim17ROCPRIM_400000_NS6detail17trampoline_kernelINS0_14default_configENS1_20scan_config_selectorIfEEZZNS1_9scan_implILNS1_25lookback_scan_determinismE0ELb0ELb0ES3_N6thrust23THRUST_200600_302600_NS6detail15normal_iteratorINS9_10device_ptrIfEEEESE_fNS9_4plusIiEEfEEDaPvRmT3_T4_T5_mT6_P12ihipStream_tbENKUlT_T0_E_clISt17integral_constantIbLb1EESU_EEDaSP_SQ_EUlSP_E_NS1_11comp_targetILNS1_3genE9ELNS1_11target_archE1100ELNS1_3gpuE3ELNS1_3repE0EEENS1_30default_config_static_selectorELNS0_4arch9wavefront6targetE1EEEvT1_ ; -- Begin function _ZN7rocprim17ROCPRIM_400000_NS6detail17trampoline_kernelINS0_14default_configENS1_20scan_config_selectorIfEEZZNS1_9scan_implILNS1_25lookback_scan_determinismE0ELb0ELb0ES3_N6thrust23THRUST_200600_302600_NS6detail15normal_iteratorINS9_10device_ptrIfEEEESE_fNS9_4plusIiEEfEEDaPvRmT3_T4_T5_mT6_P12ihipStream_tbENKUlT_T0_E_clISt17integral_constantIbLb1EESU_EEDaSP_SQ_EUlSP_E_NS1_11comp_targetILNS1_3genE9ELNS1_11target_archE1100ELNS1_3gpuE3ELNS1_3repE0EEENS1_30default_config_static_selectorELNS0_4arch9wavefront6targetE1EEEvT1_
	.globl	_ZN7rocprim17ROCPRIM_400000_NS6detail17trampoline_kernelINS0_14default_configENS1_20scan_config_selectorIfEEZZNS1_9scan_implILNS1_25lookback_scan_determinismE0ELb0ELb0ES3_N6thrust23THRUST_200600_302600_NS6detail15normal_iteratorINS9_10device_ptrIfEEEESE_fNS9_4plusIiEEfEEDaPvRmT3_T4_T5_mT6_P12ihipStream_tbENKUlT_T0_E_clISt17integral_constantIbLb1EESU_EEDaSP_SQ_EUlSP_E_NS1_11comp_targetILNS1_3genE9ELNS1_11target_archE1100ELNS1_3gpuE3ELNS1_3repE0EEENS1_30default_config_static_selectorELNS0_4arch9wavefront6targetE1EEEvT1_
	.p2align	8
	.type	_ZN7rocprim17ROCPRIM_400000_NS6detail17trampoline_kernelINS0_14default_configENS1_20scan_config_selectorIfEEZZNS1_9scan_implILNS1_25lookback_scan_determinismE0ELb0ELb0ES3_N6thrust23THRUST_200600_302600_NS6detail15normal_iteratorINS9_10device_ptrIfEEEESE_fNS9_4plusIiEEfEEDaPvRmT3_T4_T5_mT6_P12ihipStream_tbENKUlT_T0_E_clISt17integral_constantIbLb1EESU_EEDaSP_SQ_EUlSP_E_NS1_11comp_targetILNS1_3genE9ELNS1_11target_archE1100ELNS1_3gpuE3ELNS1_3repE0EEENS1_30default_config_static_selectorELNS0_4arch9wavefront6targetE1EEEvT1_,@function
_ZN7rocprim17ROCPRIM_400000_NS6detail17trampoline_kernelINS0_14default_configENS1_20scan_config_selectorIfEEZZNS1_9scan_implILNS1_25lookback_scan_determinismE0ELb0ELb0ES3_N6thrust23THRUST_200600_302600_NS6detail15normal_iteratorINS9_10device_ptrIfEEEESE_fNS9_4plusIiEEfEEDaPvRmT3_T4_T5_mT6_P12ihipStream_tbENKUlT_T0_E_clISt17integral_constantIbLb1EESU_EEDaSP_SQ_EUlSP_E_NS1_11comp_targetILNS1_3genE9ELNS1_11target_archE1100ELNS1_3gpuE3ELNS1_3repE0EEENS1_30default_config_static_selectorELNS0_4arch9wavefront6targetE1EEEvT1_: ; @_ZN7rocprim17ROCPRIM_400000_NS6detail17trampoline_kernelINS0_14default_configENS1_20scan_config_selectorIfEEZZNS1_9scan_implILNS1_25lookback_scan_determinismE0ELb0ELb0ES3_N6thrust23THRUST_200600_302600_NS6detail15normal_iteratorINS9_10device_ptrIfEEEESE_fNS9_4plusIiEEfEEDaPvRmT3_T4_T5_mT6_P12ihipStream_tbENKUlT_T0_E_clISt17integral_constantIbLb1EESU_EEDaSP_SQ_EUlSP_E_NS1_11comp_targetILNS1_3genE9ELNS1_11target_archE1100ELNS1_3gpuE3ELNS1_3repE0EEENS1_30default_config_static_selectorELNS0_4arch9wavefront6targetE1EEEvT1_
; %bb.0:
	.section	.rodata,"a",@progbits
	.p2align	6, 0x0
	.amdhsa_kernel _ZN7rocprim17ROCPRIM_400000_NS6detail17trampoline_kernelINS0_14default_configENS1_20scan_config_selectorIfEEZZNS1_9scan_implILNS1_25lookback_scan_determinismE0ELb0ELb0ES3_N6thrust23THRUST_200600_302600_NS6detail15normal_iteratorINS9_10device_ptrIfEEEESE_fNS9_4plusIiEEfEEDaPvRmT3_T4_T5_mT6_P12ihipStream_tbENKUlT_T0_E_clISt17integral_constantIbLb1EESU_EEDaSP_SQ_EUlSP_E_NS1_11comp_targetILNS1_3genE9ELNS1_11target_archE1100ELNS1_3gpuE3ELNS1_3repE0EEENS1_30default_config_static_selectorELNS0_4arch9wavefront6targetE1EEEvT1_
		.amdhsa_group_segment_fixed_size 0
		.amdhsa_private_segment_fixed_size 0
		.amdhsa_kernarg_size 96
		.amdhsa_user_sgpr_count 6
		.amdhsa_user_sgpr_private_segment_buffer 1
		.amdhsa_user_sgpr_dispatch_ptr 0
		.amdhsa_user_sgpr_queue_ptr 0
		.amdhsa_user_sgpr_kernarg_segment_ptr 1
		.amdhsa_user_sgpr_dispatch_id 0
		.amdhsa_user_sgpr_flat_scratch_init 0
		.amdhsa_user_sgpr_kernarg_preload_length 0
		.amdhsa_user_sgpr_kernarg_preload_offset 0
		.amdhsa_user_sgpr_private_segment_size 0
		.amdhsa_uses_dynamic_stack 0
		.amdhsa_system_sgpr_private_segment_wavefront_offset 0
		.amdhsa_system_sgpr_workgroup_id_x 1
		.amdhsa_system_sgpr_workgroup_id_y 0
		.amdhsa_system_sgpr_workgroup_id_z 0
		.amdhsa_system_sgpr_workgroup_info 0
		.amdhsa_system_vgpr_workitem_id 0
		.amdhsa_next_free_vgpr 1
		.amdhsa_next_free_sgpr 0
		.amdhsa_accum_offset 4
		.amdhsa_reserve_vcc 0
		.amdhsa_reserve_flat_scratch 0
		.amdhsa_float_round_mode_32 0
		.amdhsa_float_round_mode_16_64 0
		.amdhsa_float_denorm_mode_32 3
		.amdhsa_float_denorm_mode_16_64 3
		.amdhsa_dx10_clamp 1
		.amdhsa_ieee_mode 1
		.amdhsa_fp16_overflow 0
		.amdhsa_tg_split 0
		.amdhsa_exception_fp_ieee_invalid_op 0
		.amdhsa_exception_fp_denorm_src 0
		.amdhsa_exception_fp_ieee_div_zero 0
		.amdhsa_exception_fp_ieee_overflow 0
		.amdhsa_exception_fp_ieee_underflow 0
		.amdhsa_exception_fp_ieee_inexact 0
		.amdhsa_exception_int_div_zero 0
	.end_amdhsa_kernel
	.section	.text._ZN7rocprim17ROCPRIM_400000_NS6detail17trampoline_kernelINS0_14default_configENS1_20scan_config_selectorIfEEZZNS1_9scan_implILNS1_25lookback_scan_determinismE0ELb0ELb0ES3_N6thrust23THRUST_200600_302600_NS6detail15normal_iteratorINS9_10device_ptrIfEEEESE_fNS9_4plusIiEEfEEDaPvRmT3_T4_T5_mT6_P12ihipStream_tbENKUlT_T0_E_clISt17integral_constantIbLb1EESU_EEDaSP_SQ_EUlSP_E_NS1_11comp_targetILNS1_3genE9ELNS1_11target_archE1100ELNS1_3gpuE3ELNS1_3repE0EEENS1_30default_config_static_selectorELNS0_4arch9wavefront6targetE1EEEvT1_,"axG",@progbits,_ZN7rocprim17ROCPRIM_400000_NS6detail17trampoline_kernelINS0_14default_configENS1_20scan_config_selectorIfEEZZNS1_9scan_implILNS1_25lookback_scan_determinismE0ELb0ELb0ES3_N6thrust23THRUST_200600_302600_NS6detail15normal_iteratorINS9_10device_ptrIfEEEESE_fNS9_4plusIiEEfEEDaPvRmT3_T4_T5_mT6_P12ihipStream_tbENKUlT_T0_E_clISt17integral_constantIbLb1EESU_EEDaSP_SQ_EUlSP_E_NS1_11comp_targetILNS1_3genE9ELNS1_11target_archE1100ELNS1_3gpuE3ELNS1_3repE0EEENS1_30default_config_static_selectorELNS0_4arch9wavefront6targetE1EEEvT1_,comdat
.Lfunc_end1522:
	.size	_ZN7rocprim17ROCPRIM_400000_NS6detail17trampoline_kernelINS0_14default_configENS1_20scan_config_selectorIfEEZZNS1_9scan_implILNS1_25lookback_scan_determinismE0ELb0ELb0ES3_N6thrust23THRUST_200600_302600_NS6detail15normal_iteratorINS9_10device_ptrIfEEEESE_fNS9_4plusIiEEfEEDaPvRmT3_T4_T5_mT6_P12ihipStream_tbENKUlT_T0_E_clISt17integral_constantIbLb1EESU_EEDaSP_SQ_EUlSP_E_NS1_11comp_targetILNS1_3genE9ELNS1_11target_archE1100ELNS1_3gpuE3ELNS1_3repE0EEENS1_30default_config_static_selectorELNS0_4arch9wavefront6targetE1EEEvT1_, .Lfunc_end1522-_ZN7rocprim17ROCPRIM_400000_NS6detail17trampoline_kernelINS0_14default_configENS1_20scan_config_selectorIfEEZZNS1_9scan_implILNS1_25lookback_scan_determinismE0ELb0ELb0ES3_N6thrust23THRUST_200600_302600_NS6detail15normal_iteratorINS9_10device_ptrIfEEEESE_fNS9_4plusIiEEfEEDaPvRmT3_T4_T5_mT6_P12ihipStream_tbENKUlT_T0_E_clISt17integral_constantIbLb1EESU_EEDaSP_SQ_EUlSP_E_NS1_11comp_targetILNS1_3genE9ELNS1_11target_archE1100ELNS1_3gpuE3ELNS1_3repE0EEENS1_30default_config_static_selectorELNS0_4arch9wavefront6targetE1EEEvT1_
                                        ; -- End function
	.section	.AMDGPU.csdata,"",@progbits
; Kernel info:
; codeLenInByte = 0
; NumSgprs: 4
; NumVgprs: 0
; NumAgprs: 0
; TotalNumVgprs: 0
; ScratchSize: 0
; MemoryBound: 0
; FloatMode: 240
; IeeeMode: 1
; LDSByteSize: 0 bytes/workgroup (compile time only)
; SGPRBlocks: 0
; VGPRBlocks: 0
; NumSGPRsForWavesPerEU: 4
; NumVGPRsForWavesPerEU: 1
; AccumOffset: 4
; Occupancy: 8
; WaveLimiterHint : 0
; COMPUTE_PGM_RSRC2:SCRATCH_EN: 0
; COMPUTE_PGM_RSRC2:USER_SGPR: 6
; COMPUTE_PGM_RSRC2:TRAP_HANDLER: 0
; COMPUTE_PGM_RSRC2:TGID_X_EN: 1
; COMPUTE_PGM_RSRC2:TGID_Y_EN: 0
; COMPUTE_PGM_RSRC2:TGID_Z_EN: 0
; COMPUTE_PGM_RSRC2:TIDIG_COMP_CNT: 0
; COMPUTE_PGM_RSRC3_GFX90A:ACCUM_OFFSET: 0
; COMPUTE_PGM_RSRC3_GFX90A:TG_SPLIT: 0
	.section	.text._ZN7rocprim17ROCPRIM_400000_NS6detail17trampoline_kernelINS0_14default_configENS1_20scan_config_selectorIfEEZZNS1_9scan_implILNS1_25lookback_scan_determinismE0ELb0ELb0ES3_N6thrust23THRUST_200600_302600_NS6detail15normal_iteratorINS9_10device_ptrIfEEEESE_fNS9_4plusIiEEfEEDaPvRmT3_T4_T5_mT6_P12ihipStream_tbENKUlT_T0_E_clISt17integral_constantIbLb1EESU_EEDaSP_SQ_EUlSP_E_NS1_11comp_targetILNS1_3genE8ELNS1_11target_archE1030ELNS1_3gpuE2ELNS1_3repE0EEENS1_30default_config_static_selectorELNS0_4arch9wavefront6targetE1EEEvT1_,"axG",@progbits,_ZN7rocprim17ROCPRIM_400000_NS6detail17trampoline_kernelINS0_14default_configENS1_20scan_config_selectorIfEEZZNS1_9scan_implILNS1_25lookback_scan_determinismE0ELb0ELb0ES3_N6thrust23THRUST_200600_302600_NS6detail15normal_iteratorINS9_10device_ptrIfEEEESE_fNS9_4plusIiEEfEEDaPvRmT3_T4_T5_mT6_P12ihipStream_tbENKUlT_T0_E_clISt17integral_constantIbLb1EESU_EEDaSP_SQ_EUlSP_E_NS1_11comp_targetILNS1_3genE8ELNS1_11target_archE1030ELNS1_3gpuE2ELNS1_3repE0EEENS1_30default_config_static_selectorELNS0_4arch9wavefront6targetE1EEEvT1_,comdat
	.protected	_ZN7rocprim17ROCPRIM_400000_NS6detail17trampoline_kernelINS0_14default_configENS1_20scan_config_selectorIfEEZZNS1_9scan_implILNS1_25lookback_scan_determinismE0ELb0ELb0ES3_N6thrust23THRUST_200600_302600_NS6detail15normal_iteratorINS9_10device_ptrIfEEEESE_fNS9_4plusIiEEfEEDaPvRmT3_T4_T5_mT6_P12ihipStream_tbENKUlT_T0_E_clISt17integral_constantIbLb1EESU_EEDaSP_SQ_EUlSP_E_NS1_11comp_targetILNS1_3genE8ELNS1_11target_archE1030ELNS1_3gpuE2ELNS1_3repE0EEENS1_30default_config_static_selectorELNS0_4arch9wavefront6targetE1EEEvT1_ ; -- Begin function _ZN7rocprim17ROCPRIM_400000_NS6detail17trampoline_kernelINS0_14default_configENS1_20scan_config_selectorIfEEZZNS1_9scan_implILNS1_25lookback_scan_determinismE0ELb0ELb0ES3_N6thrust23THRUST_200600_302600_NS6detail15normal_iteratorINS9_10device_ptrIfEEEESE_fNS9_4plusIiEEfEEDaPvRmT3_T4_T5_mT6_P12ihipStream_tbENKUlT_T0_E_clISt17integral_constantIbLb1EESU_EEDaSP_SQ_EUlSP_E_NS1_11comp_targetILNS1_3genE8ELNS1_11target_archE1030ELNS1_3gpuE2ELNS1_3repE0EEENS1_30default_config_static_selectorELNS0_4arch9wavefront6targetE1EEEvT1_
	.globl	_ZN7rocprim17ROCPRIM_400000_NS6detail17trampoline_kernelINS0_14default_configENS1_20scan_config_selectorIfEEZZNS1_9scan_implILNS1_25lookback_scan_determinismE0ELb0ELb0ES3_N6thrust23THRUST_200600_302600_NS6detail15normal_iteratorINS9_10device_ptrIfEEEESE_fNS9_4plusIiEEfEEDaPvRmT3_T4_T5_mT6_P12ihipStream_tbENKUlT_T0_E_clISt17integral_constantIbLb1EESU_EEDaSP_SQ_EUlSP_E_NS1_11comp_targetILNS1_3genE8ELNS1_11target_archE1030ELNS1_3gpuE2ELNS1_3repE0EEENS1_30default_config_static_selectorELNS0_4arch9wavefront6targetE1EEEvT1_
	.p2align	8
	.type	_ZN7rocprim17ROCPRIM_400000_NS6detail17trampoline_kernelINS0_14default_configENS1_20scan_config_selectorIfEEZZNS1_9scan_implILNS1_25lookback_scan_determinismE0ELb0ELb0ES3_N6thrust23THRUST_200600_302600_NS6detail15normal_iteratorINS9_10device_ptrIfEEEESE_fNS9_4plusIiEEfEEDaPvRmT3_T4_T5_mT6_P12ihipStream_tbENKUlT_T0_E_clISt17integral_constantIbLb1EESU_EEDaSP_SQ_EUlSP_E_NS1_11comp_targetILNS1_3genE8ELNS1_11target_archE1030ELNS1_3gpuE2ELNS1_3repE0EEENS1_30default_config_static_selectorELNS0_4arch9wavefront6targetE1EEEvT1_,@function
_ZN7rocprim17ROCPRIM_400000_NS6detail17trampoline_kernelINS0_14default_configENS1_20scan_config_selectorIfEEZZNS1_9scan_implILNS1_25lookback_scan_determinismE0ELb0ELb0ES3_N6thrust23THRUST_200600_302600_NS6detail15normal_iteratorINS9_10device_ptrIfEEEESE_fNS9_4plusIiEEfEEDaPvRmT3_T4_T5_mT6_P12ihipStream_tbENKUlT_T0_E_clISt17integral_constantIbLb1EESU_EEDaSP_SQ_EUlSP_E_NS1_11comp_targetILNS1_3genE8ELNS1_11target_archE1030ELNS1_3gpuE2ELNS1_3repE0EEENS1_30default_config_static_selectorELNS0_4arch9wavefront6targetE1EEEvT1_: ; @_ZN7rocprim17ROCPRIM_400000_NS6detail17trampoline_kernelINS0_14default_configENS1_20scan_config_selectorIfEEZZNS1_9scan_implILNS1_25lookback_scan_determinismE0ELb0ELb0ES3_N6thrust23THRUST_200600_302600_NS6detail15normal_iteratorINS9_10device_ptrIfEEEESE_fNS9_4plusIiEEfEEDaPvRmT3_T4_T5_mT6_P12ihipStream_tbENKUlT_T0_E_clISt17integral_constantIbLb1EESU_EEDaSP_SQ_EUlSP_E_NS1_11comp_targetILNS1_3genE8ELNS1_11target_archE1030ELNS1_3gpuE2ELNS1_3repE0EEENS1_30default_config_static_selectorELNS0_4arch9wavefront6targetE1EEEvT1_
; %bb.0:
	.section	.rodata,"a",@progbits
	.p2align	6, 0x0
	.amdhsa_kernel _ZN7rocprim17ROCPRIM_400000_NS6detail17trampoline_kernelINS0_14default_configENS1_20scan_config_selectorIfEEZZNS1_9scan_implILNS1_25lookback_scan_determinismE0ELb0ELb0ES3_N6thrust23THRUST_200600_302600_NS6detail15normal_iteratorINS9_10device_ptrIfEEEESE_fNS9_4plusIiEEfEEDaPvRmT3_T4_T5_mT6_P12ihipStream_tbENKUlT_T0_E_clISt17integral_constantIbLb1EESU_EEDaSP_SQ_EUlSP_E_NS1_11comp_targetILNS1_3genE8ELNS1_11target_archE1030ELNS1_3gpuE2ELNS1_3repE0EEENS1_30default_config_static_selectorELNS0_4arch9wavefront6targetE1EEEvT1_
		.amdhsa_group_segment_fixed_size 0
		.amdhsa_private_segment_fixed_size 0
		.amdhsa_kernarg_size 96
		.amdhsa_user_sgpr_count 6
		.amdhsa_user_sgpr_private_segment_buffer 1
		.amdhsa_user_sgpr_dispatch_ptr 0
		.amdhsa_user_sgpr_queue_ptr 0
		.amdhsa_user_sgpr_kernarg_segment_ptr 1
		.amdhsa_user_sgpr_dispatch_id 0
		.amdhsa_user_sgpr_flat_scratch_init 0
		.amdhsa_user_sgpr_kernarg_preload_length 0
		.amdhsa_user_sgpr_kernarg_preload_offset 0
		.amdhsa_user_sgpr_private_segment_size 0
		.amdhsa_uses_dynamic_stack 0
		.amdhsa_system_sgpr_private_segment_wavefront_offset 0
		.amdhsa_system_sgpr_workgroup_id_x 1
		.amdhsa_system_sgpr_workgroup_id_y 0
		.amdhsa_system_sgpr_workgroup_id_z 0
		.amdhsa_system_sgpr_workgroup_info 0
		.amdhsa_system_vgpr_workitem_id 0
		.amdhsa_next_free_vgpr 1
		.amdhsa_next_free_sgpr 0
		.amdhsa_accum_offset 4
		.amdhsa_reserve_vcc 0
		.amdhsa_reserve_flat_scratch 0
		.amdhsa_float_round_mode_32 0
		.amdhsa_float_round_mode_16_64 0
		.amdhsa_float_denorm_mode_32 3
		.amdhsa_float_denorm_mode_16_64 3
		.amdhsa_dx10_clamp 1
		.amdhsa_ieee_mode 1
		.amdhsa_fp16_overflow 0
		.amdhsa_tg_split 0
		.amdhsa_exception_fp_ieee_invalid_op 0
		.amdhsa_exception_fp_denorm_src 0
		.amdhsa_exception_fp_ieee_div_zero 0
		.amdhsa_exception_fp_ieee_overflow 0
		.amdhsa_exception_fp_ieee_underflow 0
		.amdhsa_exception_fp_ieee_inexact 0
		.amdhsa_exception_int_div_zero 0
	.end_amdhsa_kernel
	.section	.text._ZN7rocprim17ROCPRIM_400000_NS6detail17trampoline_kernelINS0_14default_configENS1_20scan_config_selectorIfEEZZNS1_9scan_implILNS1_25lookback_scan_determinismE0ELb0ELb0ES3_N6thrust23THRUST_200600_302600_NS6detail15normal_iteratorINS9_10device_ptrIfEEEESE_fNS9_4plusIiEEfEEDaPvRmT3_T4_T5_mT6_P12ihipStream_tbENKUlT_T0_E_clISt17integral_constantIbLb1EESU_EEDaSP_SQ_EUlSP_E_NS1_11comp_targetILNS1_3genE8ELNS1_11target_archE1030ELNS1_3gpuE2ELNS1_3repE0EEENS1_30default_config_static_selectorELNS0_4arch9wavefront6targetE1EEEvT1_,"axG",@progbits,_ZN7rocprim17ROCPRIM_400000_NS6detail17trampoline_kernelINS0_14default_configENS1_20scan_config_selectorIfEEZZNS1_9scan_implILNS1_25lookback_scan_determinismE0ELb0ELb0ES3_N6thrust23THRUST_200600_302600_NS6detail15normal_iteratorINS9_10device_ptrIfEEEESE_fNS9_4plusIiEEfEEDaPvRmT3_T4_T5_mT6_P12ihipStream_tbENKUlT_T0_E_clISt17integral_constantIbLb1EESU_EEDaSP_SQ_EUlSP_E_NS1_11comp_targetILNS1_3genE8ELNS1_11target_archE1030ELNS1_3gpuE2ELNS1_3repE0EEENS1_30default_config_static_selectorELNS0_4arch9wavefront6targetE1EEEvT1_,comdat
.Lfunc_end1523:
	.size	_ZN7rocprim17ROCPRIM_400000_NS6detail17trampoline_kernelINS0_14default_configENS1_20scan_config_selectorIfEEZZNS1_9scan_implILNS1_25lookback_scan_determinismE0ELb0ELb0ES3_N6thrust23THRUST_200600_302600_NS6detail15normal_iteratorINS9_10device_ptrIfEEEESE_fNS9_4plusIiEEfEEDaPvRmT3_T4_T5_mT6_P12ihipStream_tbENKUlT_T0_E_clISt17integral_constantIbLb1EESU_EEDaSP_SQ_EUlSP_E_NS1_11comp_targetILNS1_3genE8ELNS1_11target_archE1030ELNS1_3gpuE2ELNS1_3repE0EEENS1_30default_config_static_selectorELNS0_4arch9wavefront6targetE1EEEvT1_, .Lfunc_end1523-_ZN7rocprim17ROCPRIM_400000_NS6detail17trampoline_kernelINS0_14default_configENS1_20scan_config_selectorIfEEZZNS1_9scan_implILNS1_25lookback_scan_determinismE0ELb0ELb0ES3_N6thrust23THRUST_200600_302600_NS6detail15normal_iteratorINS9_10device_ptrIfEEEESE_fNS9_4plusIiEEfEEDaPvRmT3_T4_T5_mT6_P12ihipStream_tbENKUlT_T0_E_clISt17integral_constantIbLb1EESU_EEDaSP_SQ_EUlSP_E_NS1_11comp_targetILNS1_3genE8ELNS1_11target_archE1030ELNS1_3gpuE2ELNS1_3repE0EEENS1_30default_config_static_selectorELNS0_4arch9wavefront6targetE1EEEvT1_
                                        ; -- End function
	.section	.AMDGPU.csdata,"",@progbits
; Kernel info:
; codeLenInByte = 0
; NumSgprs: 4
; NumVgprs: 0
; NumAgprs: 0
; TotalNumVgprs: 0
; ScratchSize: 0
; MemoryBound: 0
; FloatMode: 240
; IeeeMode: 1
; LDSByteSize: 0 bytes/workgroup (compile time only)
; SGPRBlocks: 0
; VGPRBlocks: 0
; NumSGPRsForWavesPerEU: 4
; NumVGPRsForWavesPerEU: 1
; AccumOffset: 4
; Occupancy: 8
; WaveLimiterHint : 0
; COMPUTE_PGM_RSRC2:SCRATCH_EN: 0
; COMPUTE_PGM_RSRC2:USER_SGPR: 6
; COMPUTE_PGM_RSRC2:TRAP_HANDLER: 0
; COMPUTE_PGM_RSRC2:TGID_X_EN: 1
; COMPUTE_PGM_RSRC2:TGID_Y_EN: 0
; COMPUTE_PGM_RSRC2:TGID_Z_EN: 0
; COMPUTE_PGM_RSRC2:TIDIG_COMP_CNT: 0
; COMPUTE_PGM_RSRC3_GFX90A:ACCUM_OFFSET: 0
; COMPUTE_PGM_RSRC3_GFX90A:TG_SPLIT: 0
	.section	.text._ZN7rocprim17ROCPRIM_400000_NS6detail17trampoline_kernelINS0_14default_configENS1_20scan_config_selectorIfEEZZNS1_9scan_implILNS1_25lookback_scan_determinismE0ELb0ELb0ES3_N6thrust23THRUST_200600_302600_NS6detail15normal_iteratorINS9_10device_ptrIfEEEESE_fNS9_4plusIiEEfEEDaPvRmT3_T4_T5_mT6_P12ihipStream_tbENKUlT_T0_E_clISt17integral_constantIbLb1EESU_EEDaSP_SQ_EUlSP_E0_NS1_11comp_targetILNS1_3genE0ELNS1_11target_archE4294967295ELNS1_3gpuE0ELNS1_3repE0EEENS1_30default_config_static_selectorELNS0_4arch9wavefront6targetE1EEEvT1_,"axG",@progbits,_ZN7rocprim17ROCPRIM_400000_NS6detail17trampoline_kernelINS0_14default_configENS1_20scan_config_selectorIfEEZZNS1_9scan_implILNS1_25lookback_scan_determinismE0ELb0ELb0ES3_N6thrust23THRUST_200600_302600_NS6detail15normal_iteratorINS9_10device_ptrIfEEEESE_fNS9_4plusIiEEfEEDaPvRmT3_T4_T5_mT6_P12ihipStream_tbENKUlT_T0_E_clISt17integral_constantIbLb1EESU_EEDaSP_SQ_EUlSP_E0_NS1_11comp_targetILNS1_3genE0ELNS1_11target_archE4294967295ELNS1_3gpuE0ELNS1_3repE0EEENS1_30default_config_static_selectorELNS0_4arch9wavefront6targetE1EEEvT1_,comdat
	.protected	_ZN7rocprim17ROCPRIM_400000_NS6detail17trampoline_kernelINS0_14default_configENS1_20scan_config_selectorIfEEZZNS1_9scan_implILNS1_25lookback_scan_determinismE0ELb0ELb0ES3_N6thrust23THRUST_200600_302600_NS6detail15normal_iteratorINS9_10device_ptrIfEEEESE_fNS9_4plusIiEEfEEDaPvRmT3_T4_T5_mT6_P12ihipStream_tbENKUlT_T0_E_clISt17integral_constantIbLb1EESU_EEDaSP_SQ_EUlSP_E0_NS1_11comp_targetILNS1_3genE0ELNS1_11target_archE4294967295ELNS1_3gpuE0ELNS1_3repE0EEENS1_30default_config_static_selectorELNS0_4arch9wavefront6targetE1EEEvT1_ ; -- Begin function _ZN7rocprim17ROCPRIM_400000_NS6detail17trampoline_kernelINS0_14default_configENS1_20scan_config_selectorIfEEZZNS1_9scan_implILNS1_25lookback_scan_determinismE0ELb0ELb0ES3_N6thrust23THRUST_200600_302600_NS6detail15normal_iteratorINS9_10device_ptrIfEEEESE_fNS9_4plusIiEEfEEDaPvRmT3_T4_T5_mT6_P12ihipStream_tbENKUlT_T0_E_clISt17integral_constantIbLb1EESU_EEDaSP_SQ_EUlSP_E0_NS1_11comp_targetILNS1_3genE0ELNS1_11target_archE4294967295ELNS1_3gpuE0ELNS1_3repE0EEENS1_30default_config_static_selectorELNS0_4arch9wavefront6targetE1EEEvT1_
	.globl	_ZN7rocprim17ROCPRIM_400000_NS6detail17trampoline_kernelINS0_14default_configENS1_20scan_config_selectorIfEEZZNS1_9scan_implILNS1_25lookback_scan_determinismE0ELb0ELb0ES3_N6thrust23THRUST_200600_302600_NS6detail15normal_iteratorINS9_10device_ptrIfEEEESE_fNS9_4plusIiEEfEEDaPvRmT3_T4_T5_mT6_P12ihipStream_tbENKUlT_T0_E_clISt17integral_constantIbLb1EESU_EEDaSP_SQ_EUlSP_E0_NS1_11comp_targetILNS1_3genE0ELNS1_11target_archE4294967295ELNS1_3gpuE0ELNS1_3repE0EEENS1_30default_config_static_selectorELNS0_4arch9wavefront6targetE1EEEvT1_
	.p2align	8
	.type	_ZN7rocprim17ROCPRIM_400000_NS6detail17trampoline_kernelINS0_14default_configENS1_20scan_config_selectorIfEEZZNS1_9scan_implILNS1_25lookback_scan_determinismE0ELb0ELb0ES3_N6thrust23THRUST_200600_302600_NS6detail15normal_iteratorINS9_10device_ptrIfEEEESE_fNS9_4plusIiEEfEEDaPvRmT3_T4_T5_mT6_P12ihipStream_tbENKUlT_T0_E_clISt17integral_constantIbLb1EESU_EEDaSP_SQ_EUlSP_E0_NS1_11comp_targetILNS1_3genE0ELNS1_11target_archE4294967295ELNS1_3gpuE0ELNS1_3repE0EEENS1_30default_config_static_selectorELNS0_4arch9wavefront6targetE1EEEvT1_,@function
_ZN7rocprim17ROCPRIM_400000_NS6detail17trampoline_kernelINS0_14default_configENS1_20scan_config_selectorIfEEZZNS1_9scan_implILNS1_25lookback_scan_determinismE0ELb0ELb0ES3_N6thrust23THRUST_200600_302600_NS6detail15normal_iteratorINS9_10device_ptrIfEEEESE_fNS9_4plusIiEEfEEDaPvRmT3_T4_T5_mT6_P12ihipStream_tbENKUlT_T0_E_clISt17integral_constantIbLb1EESU_EEDaSP_SQ_EUlSP_E0_NS1_11comp_targetILNS1_3genE0ELNS1_11target_archE4294967295ELNS1_3gpuE0ELNS1_3repE0EEENS1_30default_config_static_selectorELNS0_4arch9wavefront6targetE1EEEvT1_: ; @_ZN7rocprim17ROCPRIM_400000_NS6detail17trampoline_kernelINS0_14default_configENS1_20scan_config_selectorIfEEZZNS1_9scan_implILNS1_25lookback_scan_determinismE0ELb0ELb0ES3_N6thrust23THRUST_200600_302600_NS6detail15normal_iteratorINS9_10device_ptrIfEEEESE_fNS9_4plusIiEEfEEDaPvRmT3_T4_T5_mT6_P12ihipStream_tbENKUlT_T0_E_clISt17integral_constantIbLb1EESU_EEDaSP_SQ_EUlSP_E0_NS1_11comp_targetILNS1_3genE0ELNS1_11target_archE4294967295ELNS1_3gpuE0ELNS1_3repE0EEENS1_30default_config_static_selectorELNS0_4arch9wavefront6targetE1EEEvT1_
; %bb.0:
	.section	.rodata,"a",@progbits
	.p2align	6, 0x0
	.amdhsa_kernel _ZN7rocprim17ROCPRIM_400000_NS6detail17trampoline_kernelINS0_14default_configENS1_20scan_config_selectorIfEEZZNS1_9scan_implILNS1_25lookback_scan_determinismE0ELb0ELb0ES3_N6thrust23THRUST_200600_302600_NS6detail15normal_iteratorINS9_10device_ptrIfEEEESE_fNS9_4plusIiEEfEEDaPvRmT3_T4_T5_mT6_P12ihipStream_tbENKUlT_T0_E_clISt17integral_constantIbLb1EESU_EEDaSP_SQ_EUlSP_E0_NS1_11comp_targetILNS1_3genE0ELNS1_11target_archE4294967295ELNS1_3gpuE0ELNS1_3repE0EEENS1_30default_config_static_selectorELNS0_4arch9wavefront6targetE1EEEvT1_
		.amdhsa_group_segment_fixed_size 0
		.amdhsa_private_segment_fixed_size 0
		.amdhsa_kernarg_size 32
		.amdhsa_user_sgpr_count 6
		.amdhsa_user_sgpr_private_segment_buffer 1
		.amdhsa_user_sgpr_dispatch_ptr 0
		.amdhsa_user_sgpr_queue_ptr 0
		.amdhsa_user_sgpr_kernarg_segment_ptr 1
		.amdhsa_user_sgpr_dispatch_id 0
		.amdhsa_user_sgpr_flat_scratch_init 0
		.amdhsa_user_sgpr_kernarg_preload_length 0
		.amdhsa_user_sgpr_kernarg_preload_offset 0
		.amdhsa_user_sgpr_private_segment_size 0
		.amdhsa_uses_dynamic_stack 0
		.amdhsa_system_sgpr_private_segment_wavefront_offset 0
		.amdhsa_system_sgpr_workgroup_id_x 1
		.amdhsa_system_sgpr_workgroup_id_y 0
		.amdhsa_system_sgpr_workgroup_id_z 0
		.amdhsa_system_sgpr_workgroup_info 0
		.amdhsa_system_vgpr_workitem_id 0
		.amdhsa_next_free_vgpr 1
		.amdhsa_next_free_sgpr 0
		.amdhsa_accum_offset 4
		.amdhsa_reserve_vcc 0
		.amdhsa_reserve_flat_scratch 0
		.amdhsa_float_round_mode_32 0
		.amdhsa_float_round_mode_16_64 0
		.amdhsa_float_denorm_mode_32 3
		.amdhsa_float_denorm_mode_16_64 3
		.amdhsa_dx10_clamp 1
		.amdhsa_ieee_mode 1
		.amdhsa_fp16_overflow 0
		.amdhsa_tg_split 0
		.amdhsa_exception_fp_ieee_invalid_op 0
		.amdhsa_exception_fp_denorm_src 0
		.amdhsa_exception_fp_ieee_div_zero 0
		.amdhsa_exception_fp_ieee_overflow 0
		.amdhsa_exception_fp_ieee_underflow 0
		.amdhsa_exception_fp_ieee_inexact 0
		.amdhsa_exception_int_div_zero 0
	.end_amdhsa_kernel
	.section	.text._ZN7rocprim17ROCPRIM_400000_NS6detail17trampoline_kernelINS0_14default_configENS1_20scan_config_selectorIfEEZZNS1_9scan_implILNS1_25lookback_scan_determinismE0ELb0ELb0ES3_N6thrust23THRUST_200600_302600_NS6detail15normal_iteratorINS9_10device_ptrIfEEEESE_fNS9_4plusIiEEfEEDaPvRmT3_T4_T5_mT6_P12ihipStream_tbENKUlT_T0_E_clISt17integral_constantIbLb1EESU_EEDaSP_SQ_EUlSP_E0_NS1_11comp_targetILNS1_3genE0ELNS1_11target_archE4294967295ELNS1_3gpuE0ELNS1_3repE0EEENS1_30default_config_static_selectorELNS0_4arch9wavefront6targetE1EEEvT1_,"axG",@progbits,_ZN7rocprim17ROCPRIM_400000_NS6detail17trampoline_kernelINS0_14default_configENS1_20scan_config_selectorIfEEZZNS1_9scan_implILNS1_25lookback_scan_determinismE0ELb0ELb0ES3_N6thrust23THRUST_200600_302600_NS6detail15normal_iteratorINS9_10device_ptrIfEEEESE_fNS9_4plusIiEEfEEDaPvRmT3_T4_T5_mT6_P12ihipStream_tbENKUlT_T0_E_clISt17integral_constantIbLb1EESU_EEDaSP_SQ_EUlSP_E0_NS1_11comp_targetILNS1_3genE0ELNS1_11target_archE4294967295ELNS1_3gpuE0ELNS1_3repE0EEENS1_30default_config_static_selectorELNS0_4arch9wavefront6targetE1EEEvT1_,comdat
.Lfunc_end1524:
	.size	_ZN7rocprim17ROCPRIM_400000_NS6detail17trampoline_kernelINS0_14default_configENS1_20scan_config_selectorIfEEZZNS1_9scan_implILNS1_25lookback_scan_determinismE0ELb0ELb0ES3_N6thrust23THRUST_200600_302600_NS6detail15normal_iteratorINS9_10device_ptrIfEEEESE_fNS9_4plusIiEEfEEDaPvRmT3_T4_T5_mT6_P12ihipStream_tbENKUlT_T0_E_clISt17integral_constantIbLb1EESU_EEDaSP_SQ_EUlSP_E0_NS1_11comp_targetILNS1_3genE0ELNS1_11target_archE4294967295ELNS1_3gpuE0ELNS1_3repE0EEENS1_30default_config_static_selectorELNS0_4arch9wavefront6targetE1EEEvT1_, .Lfunc_end1524-_ZN7rocprim17ROCPRIM_400000_NS6detail17trampoline_kernelINS0_14default_configENS1_20scan_config_selectorIfEEZZNS1_9scan_implILNS1_25lookback_scan_determinismE0ELb0ELb0ES3_N6thrust23THRUST_200600_302600_NS6detail15normal_iteratorINS9_10device_ptrIfEEEESE_fNS9_4plusIiEEfEEDaPvRmT3_T4_T5_mT6_P12ihipStream_tbENKUlT_T0_E_clISt17integral_constantIbLb1EESU_EEDaSP_SQ_EUlSP_E0_NS1_11comp_targetILNS1_3genE0ELNS1_11target_archE4294967295ELNS1_3gpuE0ELNS1_3repE0EEENS1_30default_config_static_selectorELNS0_4arch9wavefront6targetE1EEEvT1_
                                        ; -- End function
	.section	.AMDGPU.csdata,"",@progbits
; Kernel info:
; codeLenInByte = 0
; NumSgprs: 4
; NumVgprs: 0
; NumAgprs: 0
; TotalNumVgprs: 0
; ScratchSize: 0
; MemoryBound: 0
; FloatMode: 240
; IeeeMode: 1
; LDSByteSize: 0 bytes/workgroup (compile time only)
; SGPRBlocks: 0
; VGPRBlocks: 0
; NumSGPRsForWavesPerEU: 4
; NumVGPRsForWavesPerEU: 1
; AccumOffset: 4
; Occupancy: 8
; WaveLimiterHint : 0
; COMPUTE_PGM_RSRC2:SCRATCH_EN: 0
; COMPUTE_PGM_RSRC2:USER_SGPR: 6
; COMPUTE_PGM_RSRC2:TRAP_HANDLER: 0
; COMPUTE_PGM_RSRC2:TGID_X_EN: 1
; COMPUTE_PGM_RSRC2:TGID_Y_EN: 0
; COMPUTE_PGM_RSRC2:TGID_Z_EN: 0
; COMPUTE_PGM_RSRC2:TIDIG_COMP_CNT: 0
; COMPUTE_PGM_RSRC3_GFX90A:ACCUM_OFFSET: 0
; COMPUTE_PGM_RSRC3_GFX90A:TG_SPLIT: 0
	.section	.text._ZN7rocprim17ROCPRIM_400000_NS6detail17trampoline_kernelINS0_14default_configENS1_20scan_config_selectorIfEEZZNS1_9scan_implILNS1_25lookback_scan_determinismE0ELb0ELb0ES3_N6thrust23THRUST_200600_302600_NS6detail15normal_iteratorINS9_10device_ptrIfEEEESE_fNS9_4plusIiEEfEEDaPvRmT3_T4_T5_mT6_P12ihipStream_tbENKUlT_T0_E_clISt17integral_constantIbLb1EESU_EEDaSP_SQ_EUlSP_E0_NS1_11comp_targetILNS1_3genE5ELNS1_11target_archE942ELNS1_3gpuE9ELNS1_3repE0EEENS1_30default_config_static_selectorELNS0_4arch9wavefront6targetE1EEEvT1_,"axG",@progbits,_ZN7rocprim17ROCPRIM_400000_NS6detail17trampoline_kernelINS0_14default_configENS1_20scan_config_selectorIfEEZZNS1_9scan_implILNS1_25lookback_scan_determinismE0ELb0ELb0ES3_N6thrust23THRUST_200600_302600_NS6detail15normal_iteratorINS9_10device_ptrIfEEEESE_fNS9_4plusIiEEfEEDaPvRmT3_T4_T5_mT6_P12ihipStream_tbENKUlT_T0_E_clISt17integral_constantIbLb1EESU_EEDaSP_SQ_EUlSP_E0_NS1_11comp_targetILNS1_3genE5ELNS1_11target_archE942ELNS1_3gpuE9ELNS1_3repE0EEENS1_30default_config_static_selectorELNS0_4arch9wavefront6targetE1EEEvT1_,comdat
	.protected	_ZN7rocprim17ROCPRIM_400000_NS6detail17trampoline_kernelINS0_14default_configENS1_20scan_config_selectorIfEEZZNS1_9scan_implILNS1_25lookback_scan_determinismE0ELb0ELb0ES3_N6thrust23THRUST_200600_302600_NS6detail15normal_iteratorINS9_10device_ptrIfEEEESE_fNS9_4plusIiEEfEEDaPvRmT3_T4_T5_mT6_P12ihipStream_tbENKUlT_T0_E_clISt17integral_constantIbLb1EESU_EEDaSP_SQ_EUlSP_E0_NS1_11comp_targetILNS1_3genE5ELNS1_11target_archE942ELNS1_3gpuE9ELNS1_3repE0EEENS1_30default_config_static_selectorELNS0_4arch9wavefront6targetE1EEEvT1_ ; -- Begin function _ZN7rocprim17ROCPRIM_400000_NS6detail17trampoline_kernelINS0_14default_configENS1_20scan_config_selectorIfEEZZNS1_9scan_implILNS1_25lookback_scan_determinismE0ELb0ELb0ES3_N6thrust23THRUST_200600_302600_NS6detail15normal_iteratorINS9_10device_ptrIfEEEESE_fNS9_4plusIiEEfEEDaPvRmT3_T4_T5_mT6_P12ihipStream_tbENKUlT_T0_E_clISt17integral_constantIbLb1EESU_EEDaSP_SQ_EUlSP_E0_NS1_11comp_targetILNS1_3genE5ELNS1_11target_archE942ELNS1_3gpuE9ELNS1_3repE0EEENS1_30default_config_static_selectorELNS0_4arch9wavefront6targetE1EEEvT1_
	.globl	_ZN7rocprim17ROCPRIM_400000_NS6detail17trampoline_kernelINS0_14default_configENS1_20scan_config_selectorIfEEZZNS1_9scan_implILNS1_25lookback_scan_determinismE0ELb0ELb0ES3_N6thrust23THRUST_200600_302600_NS6detail15normal_iteratorINS9_10device_ptrIfEEEESE_fNS9_4plusIiEEfEEDaPvRmT3_T4_T5_mT6_P12ihipStream_tbENKUlT_T0_E_clISt17integral_constantIbLb1EESU_EEDaSP_SQ_EUlSP_E0_NS1_11comp_targetILNS1_3genE5ELNS1_11target_archE942ELNS1_3gpuE9ELNS1_3repE0EEENS1_30default_config_static_selectorELNS0_4arch9wavefront6targetE1EEEvT1_
	.p2align	8
	.type	_ZN7rocprim17ROCPRIM_400000_NS6detail17trampoline_kernelINS0_14default_configENS1_20scan_config_selectorIfEEZZNS1_9scan_implILNS1_25lookback_scan_determinismE0ELb0ELb0ES3_N6thrust23THRUST_200600_302600_NS6detail15normal_iteratorINS9_10device_ptrIfEEEESE_fNS9_4plusIiEEfEEDaPvRmT3_T4_T5_mT6_P12ihipStream_tbENKUlT_T0_E_clISt17integral_constantIbLb1EESU_EEDaSP_SQ_EUlSP_E0_NS1_11comp_targetILNS1_3genE5ELNS1_11target_archE942ELNS1_3gpuE9ELNS1_3repE0EEENS1_30default_config_static_selectorELNS0_4arch9wavefront6targetE1EEEvT1_,@function
_ZN7rocprim17ROCPRIM_400000_NS6detail17trampoline_kernelINS0_14default_configENS1_20scan_config_selectorIfEEZZNS1_9scan_implILNS1_25lookback_scan_determinismE0ELb0ELb0ES3_N6thrust23THRUST_200600_302600_NS6detail15normal_iteratorINS9_10device_ptrIfEEEESE_fNS9_4plusIiEEfEEDaPvRmT3_T4_T5_mT6_P12ihipStream_tbENKUlT_T0_E_clISt17integral_constantIbLb1EESU_EEDaSP_SQ_EUlSP_E0_NS1_11comp_targetILNS1_3genE5ELNS1_11target_archE942ELNS1_3gpuE9ELNS1_3repE0EEENS1_30default_config_static_selectorELNS0_4arch9wavefront6targetE1EEEvT1_: ; @_ZN7rocprim17ROCPRIM_400000_NS6detail17trampoline_kernelINS0_14default_configENS1_20scan_config_selectorIfEEZZNS1_9scan_implILNS1_25lookback_scan_determinismE0ELb0ELb0ES3_N6thrust23THRUST_200600_302600_NS6detail15normal_iteratorINS9_10device_ptrIfEEEESE_fNS9_4plusIiEEfEEDaPvRmT3_T4_T5_mT6_P12ihipStream_tbENKUlT_T0_E_clISt17integral_constantIbLb1EESU_EEDaSP_SQ_EUlSP_E0_NS1_11comp_targetILNS1_3genE5ELNS1_11target_archE942ELNS1_3gpuE9ELNS1_3repE0EEENS1_30default_config_static_selectorELNS0_4arch9wavefront6targetE1EEEvT1_
; %bb.0:
	.section	.rodata,"a",@progbits
	.p2align	6, 0x0
	.amdhsa_kernel _ZN7rocprim17ROCPRIM_400000_NS6detail17trampoline_kernelINS0_14default_configENS1_20scan_config_selectorIfEEZZNS1_9scan_implILNS1_25lookback_scan_determinismE0ELb0ELb0ES3_N6thrust23THRUST_200600_302600_NS6detail15normal_iteratorINS9_10device_ptrIfEEEESE_fNS9_4plusIiEEfEEDaPvRmT3_T4_T5_mT6_P12ihipStream_tbENKUlT_T0_E_clISt17integral_constantIbLb1EESU_EEDaSP_SQ_EUlSP_E0_NS1_11comp_targetILNS1_3genE5ELNS1_11target_archE942ELNS1_3gpuE9ELNS1_3repE0EEENS1_30default_config_static_selectorELNS0_4arch9wavefront6targetE1EEEvT1_
		.amdhsa_group_segment_fixed_size 0
		.amdhsa_private_segment_fixed_size 0
		.amdhsa_kernarg_size 32
		.amdhsa_user_sgpr_count 6
		.amdhsa_user_sgpr_private_segment_buffer 1
		.amdhsa_user_sgpr_dispatch_ptr 0
		.amdhsa_user_sgpr_queue_ptr 0
		.amdhsa_user_sgpr_kernarg_segment_ptr 1
		.amdhsa_user_sgpr_dispatch_id 0
		.amdhsa_user_sgpr_flat_scratch_init 0
		.amdhsa_user_sgpr_kernarg_preload_length 0
		.amdhsa_user_sgpr_kernarg_preload_offset 0
		.amdhsa_user_sgpr_private_segment_size 0
		.amdhsa_uses_dynamic_stack 0
		.amdhsa_system_sgpr_private_segment_wavefront_offset 0
		.amdhsa_system_sgpr_workgroup_id_x 1
		.amdhsa_system_sgpr_workgroup_id_y 0
		.amdhsa_system_sgpr_workgroup_id_z 0
		.amdhsa_system_sgpr_workgroup_info 0
		.amdhsa_system_vgpr_workitem_id 0
		.amdhsa_next_free_vgpr 1
		.amdhsa_next_free_sgpr 0
		.amdhsa_accum_offset 4
		.amdhsa_reserve_vcc 0
		.amdhsa_reserve_flat_scratch 0
		.amdhsa_float_round_mode_32 0
		.amdhsa_float_round_mode_16_64 0
		.amdhsa_float_denorm_mode_32 3
		.amdhsa_float_denorm_mode_16_64 3
		.amdhsa_dx10_clamp 1
		.amdhsa_ieee_mode 1
		.amdhsa_fp16_overflow 0
		.amdhsa_tg_split 0
		.amdhsa_exception_fp_ieee_invalid_op 0
		.amdhsa_exception_fp_denorm_src 0
		.amdhsa_exception_fp_ieee_div_zero 0
		.amdhsa_exception_fp_ieee_overflow 0
		.amdhsa_exception_fp_ieee_underflow 0
		.amdhsa_exception_fp_ieee_inexact 0
		.amdhsa_exception_int_div_zero 0
	.end_amdhsa_kernel
	.section	.text._ZN7rocprim17ROCPRIM_400000_NS6detail17trampoline_kernelINS0_14default_configENS1_20scan_config_selectorIfEEZZNS1_9scan_implILNS1_25lookback_scan_determinismE0ELb0ELb0ES3_N6thrust23THRUST_200600_302600_NS6detail15normal_iteratorINS9_10device_ptrIfEEEESE_fNS9_4plusIiEEfEEDaPvRmT3_T4_T5_mT6_P12ihipStream_tbENKUlT_T0_E_clISt17integral_constantIbLb1EESU_EEDaSP_SQ_EUlSP_E0_NS1_11comp_targetILNS1_3genE5ELNS1_11target_archE942ELNS1_3gpuE9ELNS1_3repE0EEENS1_30default_config_static_selectorELNS0_4arch9wavefront6targetE1EEEvT1_,"axG",@progbits,_ZN7rocprim17ROCPRIM_400000_NS6detail17trampoline_kernelINS0_14default_configENS1_20scan_config_selectorIfEEZZNS1_9scan_implILNS1_25lookback_scan_determinismE0ELb0ELb0ES3_N6thrust23THRUST_200600_302600_NS6detail15normal_iteratorINS9_10device_ptrIfEEEESE_fNS9_4plusIiEEfEEDaPvRmT3_T4_T5_mT6_P12ihipStream_tbENKUlT_T0_E_clISt17integral_constantIbLb1EESU_EEDaSP_SQ_EUlSP_E0_NS1_11comp_targetILNS1_3genE5ELNS1_11target_archE942ELNS1_3gpuE9ELNS1_3repE0EEENS1_30default_config_static_selectorELNS0_4arch9wavefront6targetE1EEEvT1_,comdat
.Lfunc_end1525:
	.size	_ZN7rocprim17ROCPRIM_400000_NS6detail17trampoline_kernelINS0_14default_configENS1_20scan_config_selectorIfEEZZNS1_9scan_implILNS1_25lookback_scan_determinismE0ELb0ELb0ES3_N6thrust23THRUST_200600_302600_NS6detail15normal_iteratorINS9_10device_ptrIfEEEESE_fNS9_4plusIiEEfEEDaPvRmT3_T4_T5_mT6_P12ihipStream_tbENKUlT_T0_E_clISt17integral_constantIbLb1EESU_EEDaSP_SQ_EUlSP_E0_NS1_11comp_targetILNS1_3genE5ELNS1_11target_archE942ELNS1_3gpuE9ELNS1_3repE0EEENS1_30default_config_static_selectorELNS0_4arch9wavefront6targetE1EEEvT1_, .Lfunc_end1525-_ZN7rocprim17ROCPRIM_400000_NS6detail17trampoline_kernelINS0_14default_configENS1_20scan_config_selectorIfEEZZNS1_9scan_implILNS1_25lookback_scan_determinismE0ELb0ELb0ES3_N6thrust23THRUST_200600_302600_NS6detail15normal_iteratorINS9_10device_ptrIfEEEESE_fNS9_4plusIiEEfEEDaPvRmT3_T4_T5_mT6_P12ihipStream_tbENKUlT_T0_E_clISt17integral_constantIbLb1EESU_EEDaSP_SQ_EUlSP_E0_NS1_11comp_targetILNS1_3genE5ELNS1_11target_archE942ELNS1_3gpuE9ELNS1_3repE0EEENS1_30default_config_static_selectorELNS0_4arch9wavefront6targetE1EEEvT1_
                                        ; -- End function
	.section	.AMDGPU.csdata,"",@progbits
; Kernel info:
; codeLenInByte = 0
; NumSgprs: 4
; NumVgprs: 0
; NumAgprs: 0
; TotalNumVgprs: 0
; ScratchSize: 0
; MemoryBound: 0
; FloatMode: 240
; IeeeMode: 1
; LDSByteSize: 0 bytes/workgroup (compile time only)
; SGPRBlocks: 0
; VGPRBlocks: 0
; NumSGPRsForWavesPerEU: 4
; NumVGPRsForWavesPerEU: 1
; AccumOffset: 4
; Occupancy: 8
; WaveLimiterHint : 0
; COMPUTE_PGM_RSRC2:SCRATCH_EN: 0
; COMPUTE_PGM_RSRC2:USER_SGPR: 6
; COMPUTE_PGM_RSRC2:TRAP_HANDLER: 0
; COMPUTE_PGM_RSRC2:TGID_X_EN: 1
; COMPUTE_PGM_RSRC2:TGID_Y_EN: 0
; COMPUTE_PGM_RSRC2:TGID_Z_EN: 0
; COMPUTE_PGM_RSRC2:TIDIG_COMP_CNT: 0
; COMPUTE_PGM_RSRC3_GFX90A:ACCUM_OFFSET: 0
; COMPUTE_PGM_RSRC3_GFX90A:TG_SPLIT: 0
	.section	.text._ZN7rocprim17ROCPRIM_400000_NS6detail17trampoline_kernelINS0_14default_configENS1_20scan_config_selectorIfEEZZNS1_9scan_implILNS1_25lookback_scan_determinismE0ELb0ELb0ES3_N6thrust23THRUST_200600_302600_NS6detail15normal_iteratorINS9_10device_ptrIfEEEESE_fNS9_4plusIiEEfEEDaPvRmT3_T4_T5_mT6_P12ihipStream_tbENKUlT_T0_E_clISt17integral_constantIbLb1EESU_EEDaSP_SQ_EUlSP_E0_NS1_11comp_targetILNS1_3genE4ELNS1_11target_archE910ELNS1_3gpuE8ELNS1_3repE0EEENS1_30default_config_static_selectorELNS0_4arch9wavefront6targetE1EEEvT1_,"axG",@progbits,_ZN7rocprim17ROCPRIM_400000_NS6detail17trampoline_kernelINS0_14default_configENS1_20scan_config_selectorIfEEZZNS1_9scan_implILNS1_25lookback_scan_determinismE0ELb0ELb0ES3_N6thrust23THRUST_200600_302600_NS6detail15normal_iteratorINS9_10device_ptrIfEEEESE_fNS9_4plusIiEEfEEDaPvRmT3_T4_T5_mT6_P12ihipStream_tbENKUlT_T0_E_clISt17integral_constantIbLb1EESU_EEDaSP_SQ_EUlSP_E0_NS1_11comp_targetILNS1_3genE4ELNS1_11target_archE910ELNS1_3gpuE8ELNS1_3repE0EEENS1_30default_config_static_selectorELNS0_4arch9wavefront6targetE1EEEvT1_,comdat
	.protected	_ZN7rocprim17ROCPRIM_400000_NS6detail17trampoline_kernelINS0_14default_configENS1_20scan_config_selectorIfEEZZNS1_9scan_implILNS1_25lookback_scan_determinismE0ELb0ELb0ES3_N6thrust23THRUST_200600_302600_NS6detail15normal_iteratorINS9_10device_ptrIfEEEESE_fNS9_4plusIiEEfEEDaPvRmT3_T4_T5_mT6_P12ihipStream_tbENKUlT_T0_E_clISt17integral_constantIbLb1EESU_EEDaSP_SQ_EUlSP_E0_NS1_11comp_targetILNS1_3genE4ELNS1_11target_archE910ELNS1_3gpuE8ELNS1_3repE0EEENS1_30default_config_static_selectorELNS0_4arch9wavefront6targetE1EEEvT1_ ; -- Begin function _ZN7rocprim17ROCPRIM_400000_NS6detail17trampoline_kernelINS0_14default_configENS1_20scan_config_selectorIfEEZZNS1_9scan_implILNS1_25lookback_scan_determinismE0ELb0ELb0ES3_N6thrust23THRUST_200600_302600_NS6detail15normal_iteratorINS9_10device_ptrIfEEEESE_fNS9_4plusIiEEfEEDaPvRmT3_T4_T5_mT6_P12ihipStream_tbENKUlT_T0_E_clISt17integral_constantIbLb1EESU_EEDaSP_SQ_EUlSP_E0_NS1_11comp_targetILNS1_3genE4ELNS1_11target_archE910ELNS1_3gpuE8ELNS1_3repE0EEENS1_30default_config_static_selectorELNS0_4arch9wavefront6targetE1EEEvT1_
	.globl	_ZN7rocprim17ROCPRIM_400000_NS6detail17trampoline_kernelINS0_14default_configENS1_20scan_config_selectorIfEEZZNS1_9scan_implILNS1_25lookback_scan_determinismE0ELb0ELb0ES3_N6thrust23THRUST_200600_302600_NS6detail15normal_iteratorINS9_10device_ptrIfEEEESE_fNS9_4plusIiEEfEEDaPvRmT3_T4_T5_mT6_P12ihipStream_tbENKUlT_T0_E_clISt17integral_constantIbLb1EESU_EEDaSP_SQ_EUlSP_E0_NS1_11comp_targetILNS1_3genE4ELNS1_11target_archE910ELNS1_3gpuE8ELNS1_3repE0EEENS1_30default_config_static_selectorELNS0_4arch9wavefront6targetE1EEEvT1_
	.p2align	8
	.type	_ZN7rocprim17ROCPRIM_400000_NS6detail17trampoline_kernelINS0_14default_configENS1_20scan_config_selectorIfEEZZNS1_9scan_implILNS1_25lookback_scan_determinismE0ELb0ELb0ES3_N6thrust23THRUST_200600_302600_NS6detail15normal_iteratorINS9_10device_ptrIfEEEESE_fNS9_4plusIiEEfEEDaPvRmT3_T4_T5_mT6_P12ihipStream_tbENKUlT_T0_E_clISt17integral_constantIbLb1EESU_EEDaSP_SQ_EUlSP_E0_NS1_11comp_targetILNS1_3genE4ELNS1_11target_archE910ELNS1_3gpuE8ELNS1_3repE0EEENS1_30default_config_static_selectorELNS0_4arch9wavefront6targetE1EEEvT1_,@function
_ZN7rocprim17ROCPRIM_400000_NS6detail17trampoline_kernelINS0_14default_configENS1_20scan_config_selectorIfEEZZNS1_9scan_implILNS1_25lookback_scan_determinismE0ELb0ELb0ES3_N6thrust23THRUST_200600_302600_NS6detail15normal_iteratorINS9_10device_ptrIfEEEESE_fNS9_4plusIiEEfEEDaPvRmT3_T4_T5_mT6_P12ihipStream_tbENKUlT_T0_E_clISt17integral_constantIbLb1EESU_EEDaSP_SQ_EUlSP_E0_NS1_11comp_targetILNS1_3genE4ELNS1_11target_archE910ELNS1_3gpuE8ELNS1_3repE0EEENS1_30default_config_static_selectorELNS0_4arch9wavefront6targetE1EEEvT1_: ; @_ZN7rocprim17ROCPRIM_400000_NS6detail17trampoline_kernelINS0_14default_configENS1_20scan_config_selectorIfEEZZNS1_9scan_implILNS1_25lookback_scan_determinismE0ELb0ELb0ES3_N6thrust23THRUST_200600_302600_NS6detail15normal_iteratorINS9_10device_ptrIfEEEESE_fNS9_4plusIiEEfEEDaPvRmT3_T4_T5_mT6_P12ihipStream_tbENKUlT_T0_E_clISt17integral_constantIbLb1EESU_EEDaSP_SQ_EUlSP_E0_NS1_11comp_targetILNS1_3genE4ELNS1_11target_archE910ELNS1_3gpuE8ELNS1_3repE0EEENS1_30default_config_static_selectorELNS0_4arch9wavefront6targetE1EEEvT1_
; %bb.0:
	s_load_dwordx4 s[28:31], s[4:5], 0x0
	v_lshlrev_b32_e32 v16, 2, v0
	s_waitcnt lgkmcnt(0)
	s_load_dword s31, s[28:29], 0x0
	v_cmp_gt_u32_e32 vcc, s30, v0
	s_waitcnt lgkmcnt(0)
	v_mov_b32_e32 v1, s31
	s_and_saveexec_b64 s[0:1], vcc
	s_cbranch_execz .LBB1526_2
; %bb.1:
	global_load_dword v1, v16, s[28:29]
.LBB1526_2:
	s_or_b64 exec, exec, s[0:1]
	v_or_b32_e32 v2, 0x80, v0
	v_cmp_gt_u32_e64 s[0:1], s30, v2
	v_mov_b32_e32 v2, s31
	s_and_saveexec_b64 s[2:3], s[0:1]
	s_cbranch_execz .LBB1526_4
; %bb.3:
	global_load_dword v2, v16, s[28:29] offset:512
.LBB1526_4:
	s_or_b64 exec, exec, s[2:3]
	v_or_b32_e32 v3, 0x100, v0
	v_cmp_gt_u32_e64 s[2:3], s30, v3
	v_mov_b32_e32 v3, s31
	s_and_saveexec_b64 s[6:7], s[2:3]
	s_cbranch_execz .LBB1526_6
; %bb.5:
	global_load_dword v3, v16, s[28:29] offset:1024
.LBB1526_6:
	;; [unrolled: 9-line block ×7, first 2 shown]
	s_or_b64 exec, exec, s[14:15]
	v_or_b32_e32 v10, 0x400, v0
	v_cmp_gt_u32_e64 s[14:15], s30, v10
	v_mov_b32_e32 v9, s31
	s_and_saveexec_b64 s[16:17], s[14:15]
	s_cbranch_execz .LBB1526_18
; %bb.17:
	v_lshlrev_b32_e32 v9, 2, v10
	global_load_dword v9, v9, s[28:29]
.LBB1526_18:
	s_or_b64 exec, exec, s[16:17]
	v_or_b32_e32 v11, 0x480, v0
	v_cmp_gt_u32_e64 s[16:17], s30, v11
	v_mov_b32_e32 v10, s31
	s_and_saveexec_b64 s[18:19], s[16:17]
	s_cbranch_execz .LBB1526_20
; %bb.19:
	v_lshlrev_b32_e32 v10, 2, v11
	global_load_dword v10, v10, s[28:29]
.LBB1526_20:
	;; [unrolled: 10-line block ×6, first 2 shown]
	s_or_b64 exec, exec, s[30:31]
	s_waitcnt vmcnt(0)
	ds_write2st64_b32 v16, v1, v2 offset1:2
	ds_write2st64_b32 v16, v3, v4 offset0:4 offset1:6
	ds_write2st64_b32 v16, v5, v6 offset0:8 offset1:10
	;; [unrolled: 1-line block ×6, first 2 shown]
	v_mad_u32_u24 v14, v0, 52, v16
	s_waitcnt lgkmcnt(0)
	s_barrier
	ds_read2_b64 v[2:5], v14 offset1:1
	ds_read2_b64 v[6:9], v14 offset0:2 offset1:3
	ds_read2_b64 v[10:13], v14 offset0:4 offset1:5
	ds_read_b64 v[14:15], v14 offset:48
	s_load_dwordx2 s[28:29], s[4:5], 0x18
	s_waitcnt lgkmcnt(0)
	v_cvt_i32_f32_e32 v18, v2
	v_cvt_i32_f32_e32 v1, v3
	;; [unrolled: 1-line block ×5, first 2 shown]
	v_add_u32_e32 v3, v1, v18
	v_cvt_f32_i32_e32 v3, v3
	v_cvt_i32_f32_e32 v21, v7
	v_cvt_i32_f32_e32 v22, v8
	;; [unrolled: 1-line block ×7, first 2 shown]
	v_add_u32_e32 v4, v4, v17
	v_cvt_f32_i32_e32 v4, v4
	v_cvt_i32_f32_e32 v27, v13
	v_cvt_i32_f32_e32 v28, v14
	;; [unrolled: 1-line block ×4, first 2 shown]
	v_lshrrev_b32_e32 v30, 3, v0
	v_and_b32_e32 v30, 12, v30
	v_add_u32_e32 v30, v16, v30
	v_add_u32_e32 v5, v5, v19
	v_cvt_f32_i32_e32 v5, v5
	v_cmp_gt_u32_e64 s[4:5], 64, v0
	s_barrier
	v_cvt_i32_f32_e32 v6, v5
	v_add_u32_e32 v6, v6, v20
	v_cvt_f32_i32_e32 v6, v6
	v_cvt_i32_f32_e32 v7, v6
	v_add_u32_e32 v7, v7, v21
	v_cvt_f32_i32_e32 v7, v7
	;; [unrolled: 3-line block ×10, first 2 shown]
	ds_write_b32 v30, v15
	s_waitcnt lgkmcnt(0)
	s_barrier
	s_and_saveexec_b64 s[30:31], s[4:5]
	s_cbranch_execz .LBB1526_32
; %bb.29:
	v_lshlrev_b32_e32 v30, 1, v0
	v_lshrrev_b32_e32 v31, 4, v0
	v_add_lshl_u32 v30, v31, v30, 2
	ds_read2_b32 v[32:33], v30 offset1:1
	v_mbcnt_lo_u32_b32 v35, -1, 0
	s_waitcnt lgkmcnt(0)
	v_cvt_i32_f32_e32 v31, v32
	v_cvt_i32_f32_e32 v32, v33
	v_add_u32_e32 v32, v32, v31
	v_cvt_f32_i32_e32 v32, v32
	v_cvt_i32_f32_e32 v34, v32
	s_nop 0
	v_mov_b32_dpp v33, v32 row_shr:1 row_mask:0xf bank_mask:0xf
	v_cvt_i32_f32_e32 v33, v33
	v_add_u32_e32 v33, v33, v34
	v_cvt_f32_i32_e32 v34, v33
	v_mbcnt_hi_u32_b32 v33, -1, v35
	v_and_b32_e32 v35, 15, v33
	v_cmp_eq_u32_e64 s[4:5], 0, v35
	v_cndmask_b32_e64 v34, v34, v32, s[4:5]
	v_cvt_i32_f32_e32 v37, v34
	v_cmp_lt_u32_e64 s[4:5], 1, v35
	v_mov_b32_dpp v36, v34 row_shr:2 row_mask:0xf bank_mask:0xf
	v_cvt_i32_f32_e32 v36, v36
	v_add_u32_e32 v36, v37, v36
	v_cvt_f32_i32_e32 v36, v36
	v_cndmask_b32_e64 v34, v34, v36, s[4:5]
	s_nop 1
	v_mov_b32_dpp v36, v34 row_shr:4 row_mask:0xf bank_mask:0xf
	v_cvt_i32_f32_e32 v37, v34
	v_cvt_i32_f32_e32 v36, v36
	v_cmp_lt_u32_e64 s[4:5], 3, v35
	v_add_u32_e32 v36, v37, v36
	v_cvt_f32_i32_e32 v36, v36
	v_cndmask_b32_e64 v34, v34, v36, s[4:5]
	s_nop 1
	v_mov_b32_dpp v36, v34 row_shr:8 row_mask:0xf bank_mask:0xf
	v_cvt_i32_f32_e32 v37, v34
	v_cvt_i32_f32_e32 v36, v36
	v_cmp_lt_u32_e64 s[4:5], 7, v35
	v_add_u32_e32 v36, v37, v36
	v_cvt_f32_i32_e32 v36, v36
	v_cndmask_b32_e64 v34, v34, v36, s[4:5]
	s_nop 1
	v_mov_b32_dpp v35, v34 row_bcast:15 row_mask:0xf bank_mask:0xf
	v_cvt_i32_f32_e32 v36, v34
	v_cvt_i32_f32_e32 v35, v35
	v_add_u32_e32 v35, v36, v35
	v_cvt_f32_i32_e32 v35, v35
	v_and_b32_e32 v36, 16, v33
	v_cmp_eq_u32_e64 s[4:5], 0, v36
	v_cndmask_b32_e64 v34, v35, v34, s[4:5]
	v_cmp_ne_u32_e64 s[4:5], 0, v33
	s_nop 0
	v_mov_b32_dpp v35, v34 row_bcast:31 row_mask:0xf bank_mask:0xf
	s_and_saveexec_b64 s[34:35], s[4:5]
; %bb.30:
	v_cvt_i32_f32_e32 v32, v34
	v_cvt_i32_f32_e32 v35, v35
	v_cmp_lt_u32_e64 s[4:5], 31, v33
	v_add_u32_e32 v32, v32, v35
	v_cvt_f32_i32_e32 v32, v32
	v_cndmask_b32_e64 v32, v34, v32, s[4:5]
; %bb.31:
	s_or_b64 exec, exec, s[34:35]
	v_add_u32_e32 v34, -1, v33
	v_and_b32_e32 v35, 64, v33
	v_cmp_lt_i32_e64 s[4:5], v34, v35
	v_cndmask_b32_e64 v33, v34, v33, s[4:5]
	v_lshlrev_b32_e32 v33, 2, v33
	ds_bpermute_b32 v32, v33, v32
	v_cmp_eq_u32_e64 s[4:5], 0, v0
	; wave barrier
	s_waitcnt lgkmcnt(0)
	v_cvt_i32_f32_e32 v32, v32
	v_add_u32_e32 v31, v31, v32
	v_cvt_f32_i32_e32 v31, v31
	v_cndmask_b32_e64 v31, v31, v15, s[4:5]
	ds_write_b32 v30, v31
	; wave barrier
	ds_read_b32 v32, v30 offset:4
	v_cvt_i32_f32_e32 v31, v31
	s_waitcnt lgkmcnt(0)
	v_cvt_i32_f32_e32 v32, v32
	v_add_u32_e32 v31, v32, v31
	v_cvt_f32_i32_e32 v31, v31
	ds_write_b32 v30, v31 offset:4
.LBB1526_32:
	s_or_b64 exec, exec, s[30:31]
	v_mul_u32_u24_e32 v30, 52, v0
	v_cmp_ne_u32_e64 s[4:5], 0, v0
	v_mov_b32_e32 v31, v15
	s_waitcnt lgkmcnt(0)
	s_barrier
	s_and_saveexec_b64 s[30:31], s[4:5]
	s_cbranch_execz .LBB1526_34
; %bb.33:
	v_add_u32_e32 v0, -1, v0
	v_lshrrev_b32_e32 v31, 5, v0
	v_add_lshl_u32 v0, v31, v0, 2
	ds_read_b32 v31, v0
.LBB1526_34:
	s_or_b64 exec, exec, s[30:31]
	s_and_saveexec_b64 s[30:31], s[4:5]
	s_cbranch_execz .LBB1526_36
; %bb.35:
	s_waitcnt lgkmcnt(0)
	v_cvt_i32_f32_e32 v0, v31
	;;#ASMSTART
	;;#ASMEND
	v_add_u32_e32 v0, v0, v18
	v_cvt_f32_i32_e32 v2, v0
	v_cvt_i32_f32_e32 v0, v2
	v_add_u32_e32 v0, v0, v1
	v_cvt_f32_i32_e32 v3, v0
	v_cvt_i32_f32_e32 v0, v3
	;; [unrolled: 3-line block ×13, first 2 shown]
	v_add_u32_e32 v0, v0, v29
	v_cvt_f32_i32_e32 v15, v0
.LBB1526_36:
	s_or_b64 exec, exec, s[30:31]
	v_add_u32_e32 v0, v16, v30
	s_waitcnt lgkmcnt(0)
	s_barrier
	ds_write2_b64 v0, v[2:3], v[4:5] offset1:1
	ds_write2_b64 v0, v[6:7], v[8:9] offset0:2 offset1:3
	ds_write2_b64 v0, v[10:11], v[12:13] offset0:4 offset1:5
	ds_write_b64 v0, v[14:15] offset:48
	s_waitcnt lgkmcnt(0)
	s_barrier
	ds_read2st64_b32 v[12:13], v16 offset0:2 offset1:4
	ds_read2st64_b32 v[10:11], v16 offset0:6 offset1:8
	;; [unrolled: 1-line block ×6, first 2 shown]
	ds_read_b32 v14, v16 offset:6656
	v_mov_b32_e32 v1, s29
	v_add_co_u32_e64 v0, s[4:5], s28, v16
	v_addc_co_u32_e64 v1, s[4:5], 0, v1, s[4:5]
	s_and_saveexec_b64 s[4:5], vcc
	s_cbranch_execnz .LBB1526_51
; %bb.37:
	s_or_b64 exec, exec, s[4:5]
	s_and_saveexec_b64 s[4:5], s[0:1]
	s_cbranch_execnz .LBB1526_52
.LBB1526_38:
	s_or_b64 exec, exec, s[4:5]
	s_and_saveexec_b64 s[0:1], s[2:3]
	s_cbranch_execnz .LBB1526_53
.LBB1526_39:
	s_or_b64 exec, exec, s[0:1]
	s_and_saveexec_b64 s[0:1], s[26:27]
	s_cbranch_execnz .LBB1526_54
.LBB1526_40:
	s_or_b64 exec, exec, s[0:1]
	s_and_saveexec_b64 s[0:1], s[6:7]
	s_cbranch_execnz .LBB1526_55
.LBB1526_41:
	s_or_b64 exec, exec, s[0:1]
	s_and_saveexec_b64 s[0:1], s[8:9]
	s_cbranch_execnz .LBB1526_56
.LBB1526_42:
	s_or_b64 exec, exec, s[0:1]
	s_and_saveexec_b64 s[0:1], s[10:11]
	s_cbranch_execnz .LBB1526_57
.LBB1526_43:
	s_or_b64 exec, exec, s[0:1]
	s_and_saveexec_b64 s[0:1], s[12:13]
	s_cbranch_execnz .LBB1526_58
.LBB1526_44:
	s_or_b64 exec, exec, s[0:1]
	s_and_saveexec_b64 s[0:1], s[14:15]
	s_cbranch_execnz .LBB1526_59
.LBB1526_45:
	s_or_b64 exec, exec, s[0:1]
	s_and_saveexec_b64 s[0:1], s[16:17]
	s_cbranch_execnz .LBB1526_60
.LBB1526_46:
	s_or_b64 exec, exec, s[0:1]
	s_and_saveexec_b64 s[0:1], s[18:19]
	s_cbranch_execnz .LBB1526_61
.LBB1526_47:
	s_or_b64 exec, exec, s[0:1]
	s_and_saveexec_b64 s[0:1], s[20:21]
	s_cbranch_execnz .LBB1526_62
.LBB1526_48:
	s_or_b64 exec, exec, s[0:1]
	s_and_saveexec_b64 s[0:1], s[22:23]
	s_cbranch_execnz .LBB1526_63
.LBB1526_49:
	s_or_b64 exec, exec, s[0:1]
	s_and_saveexec_b64 s[0:1], s[24:25]
	s_cbranch_execnz .LBB1526_64
.LBB1526_50:
	s_endpgm
.LBB1526_51:
	ds_read_b32 v15, v16
	s_waitcnt lgkmcnt(0)
	global_store_dword v[0:1], v15, off
	s_or_b64 exec, exec, s[4:5]
	s_and_saveexec_b64 s[4:5], s[0:1]
	s_cbranch_execz .LBB1526_38
.LBB1526_52:
	s_waitcnt lgkmcnt(6)
	global_store_dword v[0:1], v12, off offset:512
	s_or_b64 exec, exec, s[4:5]
	s_and_saveexec_b64 s[0:1], s[2:3]
	s_cbranch_execz .LBB1526_39
.LBB1526_53:
	s_waitcnt lgkmcnt(6)
	global_store_dword v[0:1], v13, off offset:1024
	s_or_b64 exec, exec, s[0:1]
	s_and_saveexec_b64 s[0:1], s[26:27]
	s_cbranch_execz .LBB1526_40
.LBB1526_54:
	s_waitcnt lgkmcnt(5)
	global_store_dword v[0:1], v10, off offset:1536
	s_or_b64 exec, exec, s[0:1]
	s_and_saveexec_b64 s[0:1], s[6:7]
	s_cbranch_execz .LBB1526_41
.LBB1526_55:
	s_waitcnt lgkmcnt(5)
	global_store_dword v[0:1], v11, off offset:2048
	s_or_b64 exec, exec, s[0:1]
	s_and_saveexec_b64 s[0:1], s[8:9]
	s_cbranch_execz .LBB1526_42
.LBB1526_56:
	s_waitcnt lgkmcnt(4)
	global_store_dword v[0:1], v8, off offset:2560
	s_or_b64 exec, exec, s[0:1]
	s_and_saveexec_b64 s[0:1], s[10:11]
	s_cbranch_execz .LBB1526_43
.LBB1526_57:
	s_waitcnt lgkmcnt(4)
	global_store_dword v[0:1], v9, off offset:3072
	s_or_b64 exec, exec, s[0:1]
	s_and_saveexec_b64 s[0:1], s[12:13]
	s_cbranch_execz .LBB1526_44
.LBB1526_58:
	s_waitcnt lgkmcnt(3)
	global_store_dword v[0:1], v6, off offset:3584
	s_or_b64 exec, exec, s[0:1]
	s_and_saveexec_b64 s[0:1], s[14:15]
	s_cbranch_execz .LBB1526_45
.LBB1526_59:
	s_waitcnt lgkmcnt(4)
	v_add_co_u32_e32 v8, vcc, 0x1000, v0
	v_addc_co_u32_e32 v9, vcc, 0, v1, vcc
	s_waitcnt lgkmcnt(3)
	global_store_dword v[8:9], v7, off
	s_or_b64 exec, exec, s[0:1]
	s_and_saveexec_b64 s[0:1], s[16:17]
	s_cbranch_execz .LBB1526_46
.LBB1526_60:
	s_waitcnt lgkmcnt(3)
	v_add_co_u32_e32 v6, vcc, 0x1000, v0
	v_addc_co_u32_e32 v7, vcc, 0, v1, vcc
	s_waitcnt lgkmcnt(2)
	global_store_dword v[6:7], v4, off offset:512
	s_or_b64 exec, exec, s[0:1]
	s_and_saveexec_b64 s[0:1], s[18:19]
	s_cbranch_execz .LBB1526_47
.LBB1526_61:
	s_waitcnt lgkmcnt(3)
	v_add_co_u32_e32 v6, vcc, 0x1000, v0
	v_addc_co_u32_e32 v7, vcc, 0, v1, vcc
	s_waitcnt lgkmcnt(2)
	global_store_dword v[6:7], v5, off offset:1024
	s_or_b64 exec, exec, s[0:1]
	s_and_saveexec_b64 s[0:1], s[20:21]
	s_cbranch_execz .LBB1526_48
.LBB1526_62:
	s_waitcnt lgkmcnt(2)
	v_add_co_u32_e32 v4, vcc, 0x1000, v0
	v_addc_co_u32_e32 v5, vcc, 0, v1, vcc
	s_waitcnt lgkmcnt(1)
	global_store_dword v[4:5], v2, off offset:1536
	s_or_b64 exec, exec, s[0:1]
	s_and_saveexec_b64 s[0:1], s[22:23]
	s_cbranch_execz .LBB1526_49
.LBB1526_63:
	s_waitcnt lgkmcnt(2)
	v_add_co_u32_e32 v4, vcc, 0x1000, v0
	v_addc_co_u32_e32 v5, vcc, 0, v1, vcc
	s_waitcnt lgkmcnt(1)
	global_store_dword v[4:5], v3, off offset:2048
	s_or_b64 exec, exec, s[0:1]
	s_and_saveexec_b64 s[0:1], s[24:25]
	s_cbranch_execz .LBB1526_50
.LBB1526_64:
	v_add_co_u32_e32 v0, vcc, 0x1000, v0
	v_addc_co_u32_e32 v1, vcc, 0, v1, vcc
	s_waitcnt lgkmcnt(0)
	global_store_dword v[0:1], v14, off offset:2560
	s_endpgm
	.section	.rodata,"a",@progbits
	.p2align	6, 0x0
	.amdhsa_kernel _ZN7rocprim17ROCPRIM_400000_NS6detail17trampoline_kernelINS0_14default_configENS1_20scan_config_selectorIfEEZZNS1_9scan_implILNS1_25lookback_scan_determinismE0ELb0ELb0ES3_N6thrust23THRUST_200600_302600_NS6detail15normal_iteratorINS9_10device_ptrIfEEEESE_fNS9_4plusIiEEfEEDaPvRmT3_T4_T5_mT6_P12ihipStream_tbENKUlT_T0_E_clISt17integral_constantIbLb1EESU_EEDaSP_SQ_EUlSP_E0_NS1_11comp_targetILNS1_3genE4ELNS1_11target_archE910ELNS1_3gpuE8ELNS1_3repE0EEENS1_30default_config_static_selectorELNS0_4arch9wavefront6targetE1EEEvT1_
		.amdhsa_group_segment_fixed_size 7168
		.amdhsa_private_segment_fixed_size 0
		.amdhsa_kernarg_size 32
		.amdhsa_user_sgpr_count 6
		.amdhsa_user_sgpr_private_segment_buffer 1
		.amdhsa_user_sgpr_dispatch_ptr 0
		.amdhsa_user_sgpr_queue_ptr 0
		.amdhsa_user_sgpr_kernarg_segment_ptr 1
		.amdhsa_user_sgpr_dispatch_id 0
		.amdhsa_user_sgpr_flat_scratch_init 0
		.amdhsa_user_sgpr_kernarg_preload_length 0
		.amdhsa_user_sgpr_kernarg_preload_offset 0
		.amdhsa_user_sgpr_private_segment_size 0
		.amdhsa_uses_dynamic_stack 0
		.amdhsa_system_sgpr_private_segment_wavefront_offset 0
		.amdhsa_system_sgpr_workgroup_id_x 1
		.amdhsa_system_sgpr_workgroup_id_y 0
		.amdhsa_system_sgpr_workgroup_id_z 0
		.amdhsa_system_sgpr_workgroup_info 0
		.amdhsa_system_vgpr_workitem_id 0
		.amdhsa_next_free_vgpr 38
		.amdhsa_next_free_sgpr 36
		.amdhsa_accum_offset 40
		.amdhsa_reserve_vcc 1
		.amdhsa_reserve_flat_scratch 0
		.amdhsa_float_round_mode_32 0
		.amdhsa_float_round_mode_16_64 0
		.amdhsa_float_denorm_mode_32 3
		.amdhsa_float_denorm_mode_16_64 3
		.amdhsa_dx10_clamp 1
		.amdhsa_ieee_mode 1
		.amdhsa_fp16_overflow 0
		.amdhsa_tg_split 0
		.amdhsa_exception_fp_ieee_invalid_op 0
		.amdhsa_exception_fp_denorm_src 0
		.amdhsa_exception_fp_ieee_div_zero 0
		.amdhsa_exception_fp_ieee_overflow 0
		.amdhsa_exception_fp_ieee_underflow 0
		.amdhsa_exception_fp_ieee_inexact 0
		.amdhsa_exception_int_div_zero 0
	.end_amdhsa_kernel
	.section	.text._ZN7rocprim17ROCPRIM_400000_NS6detail17trampoline_kernelINS0_14default_configENS1_20scan_config_selectorIfEEZZNS1_9scan_implILNS1_25lookback_scan_determinismE0ELb0ELb0ES3_N6thrust23THRUST_200600_302600_NS6detail15normal_iteratorINS9_10device_ptrIfEEEESE_fNS9_4plusIiEEfEEDaPvRmT3_T4_T5_mT6_P12ihipStream_tbENKUlT_T0_E_clISt17integral_constantIbLb1EESU_EEDaSP_SQ_EUlSP_E0_NS1_11comp_targetILNS1_3genE4ELNS1_11target_archE910ELNS1_3gpuE8ELNS1_3repE0EEENS1_30default_config_static_selectorELNS0_4arch9wavefront6targetE1EEEvT1_,"axG",@progbits,_ZN7rocprim17ROCPRIM_400000_NS6detail17trampoline_kernelINS0_14default_configENS1_20scan_config_selectorIfEEZZNS1_9scan_implILNS1_25lookback_scan_determinismE0ELb0ELb0ES3_N6thrust23THRUST_200600_302600_NS6detail15normal_iteratorINS9_10device_ptrIfEEEESE_fNS9_4plusIiEEfEEDaPvRmT3_T4_T5_mT6_P12ihipStream_tbENKUlT_T0_E_clISt17integral_constantIbLb1EESU_EEDaSP_SQ_EUlSP_E0_NS1_11comp_targetILNS1_3genE4ELNS1_11target_archE910ELNS1_3gpuE8ELNS1_3repE0EEENS1_30default_config_static_selectorELNS0_4arch9wavefront6targetE1EEEvT1_,comdat
.Lfunc_end1526:
	.size	_ZN7rocprim17ROCPRIM_400000_NS6detail17trampoline_kernelINS0_14default_configENS1_20scan_config_selectorIfEEZZNS1_9scan_implILNS1_25lookback_scan_determinismE0ELb0ELb0ES3_N6thrust23THRUST_200600_302600_NS6detail15normal_iteratorINS9_10device_ptrIfEEEESE_fNS9_4plusIiEEfEEDaPvRmT3_T4_T5_mT6_P12ihipStream_tbENKUlT_T0_E_clISt17integral_constantIbLb1EESU_EEDaSP_SQ_EUlSP_E0_NS1_11comp_targetILNS1_3genE4ELNS1_11target_archE910ELNS1_3gpuE8ELNS1_3repE0EEENS1_30default_config_static_selectorELNS0_4arch9wavefront6targetE1EEEvT1_, .Lfunc_end1526-_ZN7rocprim17ROCPRIM_400000_NS6detail17trampoline_kernelINS0_14default_configENS1_20scan_config_selectorIfEEZZNS1_9scan_implILNS1_25lookback_scan_determinismE0ELb0ELb0ES3_N6thrust23THRUST_200600_302600_NS6detail15normal_iteratorINS9_10device_ptrIfEEEESE_fNS9_4plusIiEEfEEDaPvRmT3_T4_T5_mT6_P12ihipStream_tbENKUlT_T0_E_clISt17integral_constantIbLb1EESU_EEDaSP_SQ_EUlSP_E0_NS1_11comp_targetILNS1_3genE4ELNS1_11target_archE910ELNS1_3gpuE8ELNS1_3repE0EEENS1_30default_config_static_selectorELNS0_4arch9wavefront6targetE1EEEvT1_
                                        ; -- End function
	.section	.AMDGPU.csdata,"",@progbits
; Kernel info:
; codeLenInByte = 2404
; NumSgprs: 40
; NumVgprs: 38
; NumAgprs: 0
; TotalNumVgprs: 38
; ScratchSize: 0
; MemoryBound: 0
; FloatMode: 240
; IeeeMode: 1
; LDSByteSize: 7168 bytes/workgroup (compile time only)
; SGPRBlocks: 4
; VGPRBlocks: 4
; NumSGPRsForWavesPerEU: 40
; NumVGPRsForWavesPerEU: 38
; AccumOffset: 40
; Occupancy: 5
; WaveLimiterHint : 0
; COMPUTE_PGM_RSRC2:SCRATCH_EN: 0
; COMPUTE_PGM_RSRC2:USER_SGPR: 6
; COMPUTE_PGM_RSRC2:TRAP_HANDLER: 0
; COMPUTE_PGM_RSRC2:TGID_X_EN: 1
; COMPUTE_PGM_RSRC2:TGID_Y_EN: 0
; COMPUTE_PGM_RSRC2:TGID_Z_EN: 0
; COMPUTE_PGM_RSRC2:TIDIG_COMP_CNT: 0
; COMPUTE_PGM_RSRC3_GFX90A:ACCUM_OFFSET: 9
; COMPUTE_PGM_RSRC3_GFX90A:TG_SPLIT: 0
	.section	.text._ZN7rocprim17ROCPRIM_400000_NS6detail17trampoline_kernelINS0_14default_configENS1_20scan_config_selectorIfEEZZNS1_9scan_implILNS1_25lookback_scan_determinismE0ELb0ELb0ES3_N6thrust23THRUST_200600_302600_NS6detail15normal_iteratorINS9_10device_ptrIfEEEESE_fNS9_4plusIiEEfEEDaPvRmT3_T4_T5_mT6_P12ihipStream_tbENKUlT_T0_E_clISt17integral_constantIbLb1EESU_EEDaSP_SQ_EUlSP_E0_NS1_11comp_targetILNS1_3genE3ELNS1_11target_archE908ELNS1_3gpuE7ELNS1_3repE0EEENS1_30default_config_static_selectorELNS0_4arch9wavefront6targetE1EEEvT1_,"axG",@progbits,_ZN7rocprim17ROCPRIM_400000_NS6detail17trampoline_kernelINS0_14default_configENS1_20scan_config_selectorIfEEZZNS1_9scan_implILNS1_25lookback_scan_determinismE0ELb0ELb0ES3_N6thrust23THRUST_200600_302600_NS6detail15normal_iteratorINS9_10device_ptrIfEEEESE_fNS9_4plusIiEEfEEDaPvRmT3_T4_T5_mT6_P12ihipStream_tbENKUlT_T0_E_clISt17integral_constantIbLb1EESU_EEDaSP_SQ_EUlSP_E0_NS1_11comp_targetILNS1_3genE3ELNS1_11target_archE908ELNS1_3gpuE7ELNS1_3repE0EEENS1_30default_config_static_selectorELNS0_4arch9wavefront6targetE1EEEvT1_,comdat
	.protected	_ZN7rocprim17ROCPRIM_400000_NS6detail17trampoline_kernelINS0_14default_configENS1_20scan_config_selectorIfEEZZNS1_9scan_implILNS1_25lookback_scan_determinismE0ELb0ELb0ES3_N6thrust23THRUST_200600_302600_NS6detail15normal_iteratorINS9_10device_ptrIfEEEESE_fNS9_4plusIiEEfEEDaPvRmT3_T4_T5_mT6_P12ihipStream_tbENKUlT_T0_E_clISt17integral_constantIbLb1EESU_EEDaSP_SQ_EUlSP_E0_NS1_11comp_targetILNS1_3genE3ELNS1_11target_archE908ELNS1_3gpuE7ELNS1_3repE0EEENS1_30default_config_static_selectorELNS0_4arch9wavefront6targetE1EEEvT1_ ; -- Begin function _ZN7rocprim17ROCPRIM_400000_NS6detail17trampoline_kernelINS0_14default_configENS1_20scan_config_selectorIfEEZZNS1_9scan_implILNS1_25lookback_scan_determinismE0ELb0ELb0ES3_N6thrust23THRUST_200600_302600_NS6detail15normal_iteratorINS9_10device_ptrIfEEEESE_fNS9_4plusIiEEfEEDaPvRmT3_T4_T5_mT6_P12ihipStream_tbENKUlT_T0_E_clISt17integral_constantIbLb1EESU_EEDaSP_SQ_EUlSP_E0_NS1_11comp_targetILNS1_3genE3ELNS1_11target_archE908ELNS1_3gpuE7ELNS1_3repE0EEENS1_30default_config_static_selectorELNS0_4arch9wavefront6targetE1EEEvT1_
	.globl	_ZN7rocprim17ROCPRIM_400000_NS6detail17trampoline_kernelINS0_14default_configENS1_20scan_config_selectorIfEEZZNS1_9scan_implILNS1_25lookback_scan_determinismE0ELb0ELb0ES3_N6thrust23THRUST_200600_302600_NS6detail15normal_iteratorINS9_10device_ptrIfEEEESE_fNS9_4plusIiEEfEEDaPvRmT3_T4_T5_mT6_P12ihipStream_tbENKUlT_T0_E_clISt17integral_constantIbLb1EESU_EEDaSP_SQ_EUlSP_E0_NS1_11comp_targetILNS1_3genE3ELNS1_11target_archE908ELNS1_3gpuE7ELNS1_3repE0EEENS1_30default_config_static_selectorELNS0_4arch9wavefront6targetE1EEEvT1_
	.p2align	8
	.type	_ZN7rocprim17ROCPRIM_400000_NS6detail17trampoline_kernelINS0_14default_configENS1_20scan_config_selectorIfEEZZNS1_9scan_implILNS1_25lookback_scan_determinismE0ELb0ELb0ES3_N6thrust23THRUST_200600_302600_NS6detail15normal_iteratorINS9_10device_ptrIfEEEESE_fNS9_4plusIiEEfEEDaPvRmT3_T4_T5_mT6_P12ihipStream_tbENKUlT_T0_E_clISt17integral_constantIbLb1EESU_EEDaSP_SQ_EUlSP_E0_NS1_11comp_targetILNS1_3genE3ELNS1_11target_archE908ELNS1_3gpuE7ELNS1_3repE0EEENS1_30default_config_static_selectorELNS0_4arch9wavefront6targetE1EEEvT1_,@function
_ZN7rocprim17ROCPRIM_400000_NS6detail17trampoline_kernelINS0_14default_configENS1_20scan_config_selectorIfEEZZNS1_9scan_implILNS1_25lookback_scan_determinismE0ELb0ELb0ES3_N6thrust23THRUST_200600_302600_NS6detail15normal_iteratorINS9_10device_ptrIfEEEESE_fNS9_4plusIiEEfEEDaPvRmT3_T4_T5_mT6_P12ihipStream_tbENKUlT_T0_E_clISt17integral_constantIbLb1EESU_EEDaSP_SQ_EUlSP_E0_NS1_11comp_targetILNS1_3genE3ELNS1_11target_archE908ELNS1_3gpuE7ELNS1_3repE0EEENS1_30default_config_static_selectorELNS0_4arch9wavefront6targetE1EEEvT1_: ; @_ZN7rocprim17ROCPRIM_400000_NS6detail17trampoline_kernelINS0_14default_configENS1_20scan_config_selectorIfEEZZNS1_9scan_implILNS1_25lookback_scan_determinismE0ELb0ELb0ES3_N6thrust23THRUST_200600_302600_NS6detail15normal_iteratorINS9_10device_ptrIfEEEESE_fNS9_4plusIiEEfEEDaPvRmT3_T4_T5_mT6_P12ihipStream_tbENKUlT_T0_E_clISt17integral_constantIbLb1EESU_EEDaSP_SQ_EUlSP_E0_NS1_11comp_targetILNS1_3genE3ELNS1_11target_archE908ELNS1_3gpuE7ELNS1_3repE0EEENS1_30default_config_static_selectorELNS0_4arch9wavefront6targetE1EEEvT1_
; %bb.0:
	.section	.rodata,"a",@progbits
	.p2align	6, 0x0
	.amdhsa_kernel _ZN7rocprim17ROCPRIM_400000_NS6detail17trampoline_kernelINS0_14default_configENS1_20scan_config_selectorIfEEZZNS1_9scan_implILNS1_25lookback_scan_determinismE0ELb0ELb0ES3_N6thrust23THRUST_200600_302600_NS6detail15normal_iteratorINS9_10device_ptrIfEEEESE_fNS9_4plusIiEEfEEDaPvRmT3_T4_T5_mT6_P12ihipStream_tbENKUlT_T0_E_clISt17integral_constantIbLb1EESU_EEDaSP_SQ_EUlSP_E0_NS1_11comp_targetILNS1_3genE3ELNS1_11target_archE908ELNS1_3gpuE7ELNS1_3repE0EEENS1_30default_config_static_selectorELNS0_4arch9wavefront6targetE1EEEvT1_
		.amdhsa_group_segment_fixed_size 0
		.amdhsa_private_segment_fixed_size 0
		.amdhsa_kernarg_size 32
		.amdhsa_user_sgpr_count 6
		.amdhsa_user_sgpr_private_segment_buffer 1
		.amdhsa_user_sgpr_dispatch_ptr 0
		.amdhsa_user_sgpr_queue_ptr 0
		.amdhsa_user_sgpr_kernarg_segment_ptr 1
		.amdhsa_user_sgpr_dispatch_id 0
		.amdhsa_user_sgpr_flat_scratch_init 0
		.amdhsa_user_sgpr_kernarg_preload_length 0
		.amdhsa_user_sgpr_kernarg_preload_offset 0
		.amdhsa_user_sgpr_private_segment_size 0
		.amdhsa_uses_dynamic_stack 0
		.amdhsa_system_sgpr_private_segment_wavefront_offset 0
		.amdhsa_system_sgpr_workgroup_id_x 1
		.amdhsa_system_sgpr_workgroup_id_y 0
		.amdhsa_system_sgpr_workgroup_id_z 0
		.amdhsa_system_sgpr_workgroup_info 0
		.amdhsa_system_vgpr_workitem_id 0
		.amdhsa_next_free_vgpr 1
		.amdhsa_next_free_sgpr 0
		.amdhsa_accum_offset 4
		.amdhsa_reserve_vcc 0
		.amdhsa_reserve_flat_scratch 0
		.amdhsa_float_round_mode_32 0
		.amdhsa_float_round_mode_16_64 0
		.amdhsa_float_denorm_mode_32 3
		.amdhsa_float_denorm_mode_16_64 3
		.amdhsa_dx10_clamp 1
		.amdhsa_ieee_mode 1
		.amdhsa_fp16_overflow 0
		.amdhsa_tg_split 0
		.amdhsa_exception_fp_ieee_invalid_op 0
		.amdhsa_exception_fp_denorm_src 0
		.amdhsa_exception_fp_ieee_div_zero 0
		.amdhsa_exception_fp_ieee_overflow 0
		.amdhsa_exception_fp_ieee_underflow 0
		.amdhsa_exception_fp_ieee_inexact 0
		.amdhsa_exception_int_div_zero 0
	.end_amdhsa_kernel
	.section	.text._ZN7rocprim17ROCPRIM_400000_NS6detail17trampoline_kernelINS0_14default_configENS1_20scan_config_selectorIfEEZZNS1_9scan_implILNS1_25lookback_scan_determinismE0ELb0ELb0ES3_N6thrust23THRUST_200600_302600_NS6detail15normal_iteratorINS9_10device_ptrIfEEEESE_fNS9_4plusIiEEfEEDaPvRmT3_T4_T5_mT6_P12ihipStream_tbENKUlT_T0_E_clISt17integral_constantIbLb1EESU_EEDaSP_SQ_EUlSP_E0_NS1_11comp_targetILNS1_3genE3ELNS1_11target_archE908ELNS1_3gpuE7ELNS1_3repE0EEENS1_30default_config_static_selectorELNS0_4arch9wavefront6targetE1EEEvT1_,"axG",@progbits,_ZN7rocprim17ROCPRIM_400000_NS6detail17trampoline_kernelINS0_14default_configENS1_20scan_config_selectorIfEEZZNS1_9scan_implILNS1_25lookback_scan_determinismE0ELb0ELb0ES3_N6thrust23THRUST_200600_302600_NS6detail15normal_iteratorINS9_10device_ptrIfEEEESE_fNS9_4plusIiEEfEEDaPvRmT3_T4_T5_mT6_P12ihipStream_tbENKUlT_T0_E_clISt17integral_constantIbLb1EESU_EEDaSP_SQ_EUlSP_E0_NS1_11comp_targetILNS1_3genE3ELNS1_11target_archE908ELNS1_3gpuE7ELNS1_3repE0EEENS1_30default_config_static_selectorELNS0_4arch9wavefront6targetE1EEEvT1_,comdat
.Lfunc_end1527:
	.size	_ZN7rocprim17ROCPRIM_400000_NS6detail17trampoline_kernelINS0_14default_configENS1_20scan_config_selectorIfEEZZNS1_9scan_implILNS1_25lookback_scan_determinismE0ELb0ELb0ES3_N6thrust23THRUST_200600_302600_NS6detail15normal_iteratorINS9_10device_ptrIfEEEESE_fNS9_4plusIiEEfEEDaPvRmT3_T4_T5_mT6_P12ihipStream_tbENKUlT_T0_E_clISt17integral_constantIbLb1EESU_EEDaSP_SQ_EUlSP_E0_NS1_11comp_targetILNS1_3genE3ELNS1_11target_archE908ELNS1_3gpuE7ELNS1_3repE0EEENS1_30default_config_static_selectorELNS0_4arch9wavefront6targetE1EEEvT1_, .Lfunc_end1527-_ZN7rocprim17ROCPRIM_400000_NS6detail17trampoline_kernelINS0_14default_configENS1_20scan_config_selectorIfEEZZNS1_9scan_implILNS1_25lookback_scan_determinismE0ELb0ELb0ES3_N6thrust23THRUST_200600_302600_NS6detail15normal_iteratorINS9_10device_ptrIfEEEESE_fNS9_4plusIiEEfEEDaPvRmT3_T4_T5_mT6_P12ihipStream_tbENKUlT_T0_E_clISt17integral_constantIbLb1EESU_EEDaSP_SQ_EUlSP_E0_NS1_11comp_targetILNS1_3genE3ELNS1_11target_archE908ELNS1_3gpuE7ELNS1_3repE0EEENS1_30default_config_static_selectorELNS0_4arch9wavefront6targetE1EEEvT1_
                                        ; -- End function
	.section	.AMDGPU.csdata,"",@progbits
; Kernel info:
; codeLenInByte = 0
; NumSgprs: 4
; NumVgprs: 0
; NumAgprs: 0
; TotalNumVgprs: 0
; ScratchSize: 0
; MemoryBound: 0
; FloatMode: 240
; IeeeMode: 1
; LDSByteSize: 0 bytes/workgroup (compile time only)
; SGPRBlocks: 0
; VGPRBlocks: 0
; NumSGPRsForWavesPerEU: 4
; NumVGPRsForWavesPerEU: 1
; AccumOffset: 4
; Occupancy: 8
; WaveLimiterHint : 0
; COMPUTE_PGM_RSRC2:SCRATCH_EN: 0
; COMPUTE_PGM_RSRC2:USER_SGPR: 6
; COMPUTE_PGM_RSRC2:TRAP_HANDLER: 0
; COMPUTE_PGM_RSRC2:TGID_X_EN: 1
; COMPUTE_PGM_RSRC2:TGID_Y_EN: 0
; COMPUTE_PGM_RSRC2:TGID_Z_EN: 0
; COMPUTE_PGM_RSRC2:TIDIG_COMP_CNT: 0
; COMPUTE_PGM_RSRC3_GFX90A:ACCUM_OFFSET: 0
; COMPUTE_PGM_RSRC3_GFX90A:TG_SPLIT: 0
	.section	.text._ZN7rocprim17ROCPRIM_400000_NS6detail17trampoline_kernelINS0_14default_configENS1_20scan_config_selectorIfEEZZNS1_9scan_implILNS1_25lookback_scan_determinismE0ELb0ELb0ES3_N6thrust23THRUST_200600_302600_NS6detail15normal_iteratorINS9_10device_ptrIfEEEESE_fNS9_4plusIiEEfEEDaPvRmT3_T4_T5_mT6_P12ihipStream_tbENKUlT_T0_E_clISt17integral_constantIbLb1EESU_EEDaSP_SQ_EUlSP_E0_NS1_11comp_targetILNS1_3genE2ELNS1_11target_archE906ELNS1_3gpuE6ELNS1_3repE0EEENS1_30default_config_static_selectorELNS0_4arch9wavefront6targetE1EEEvT1_,"axG",@progbits,_ZN7rocprim17ROCPRIM_400000_NS6detail17trampoline_kernelINS0_14default_configENS1_20scan_config_selectorIfEEZZNS1_9scan_implILNS1_25lookback_scan_determinismE0ELb0ELb0ES3_N6thrust23THRUST_200600_302600_NS6detail15normal_iteratorINS9_10device_ptrIfEEEESE_fNS9_4plusIiEEfEEDaPvRmT3_T4_T5_mT6_P12ihipStream_tbENKUlT_T0_E_clISt17integral_constantIbLb1EESU_EEDaSP_SQ_EUlSP_E0_NS1_11comp_targetILNS1_3genE2ELNS1_11target_archE906ELNS1_3gpuE6ELNS1_3repE0EEENS1_30default_config_static_selectorELNS0_4arch9wavefront6targetE1EEEvT1_,comdat
	.protected	_ZN7rocprim17ROCPRIM_400000_NS6detail17trampoline_kernelINS0_14default_configENS1_20scan_config_selectorIfEEZZNS1_9scan_implILNS1_25lookback_scan_determinismE0ELb0ELb0ES3_N6thrust23THRUST_200600_302600_NS6detail15normal_iteratorINS9_10device_ptrIfEEEESE_fNS9_4plusIiEEfEEDaPvRmT3_T4_T5_mT6_P12ihipStream_tbENKUlT_T0_E_clISt17integral_constantIbLb1EESU_EEDaSP_SQ_EUlSP_E0_NS1_11comp_targetILNS1_3genE2ELNS1_11target_archE906ELNS1_3gpuE6ELNS1_3repE0EEENS1_30default_config_static_selectorELNS0_4arch9wavefront6targetE1EEEvT1_ ; -- Begin function _ZN7rocprim17ROCPRIM_400000_NS6detail17trampoline_kernelINS0_14default_configENS1_20scan_config_selectorIfEEZZNS1_9scan_implILNS1_25lookback_scan_determinismE0ELb0ELb0ES3_N6thrust23THRUST_200600_302600_NS6detail15normal_iteratorINS9_10device_ptrIfEEEESE_fNS9_4plusIiEEfEEDaPvRmT3_T4_T5_mT6_P12ihipStream_tbENKUlT_T0_E_clISt17integral_constantIbLb1EESU_EEDaSP_SQ_EUlSP_E0_NS1_11comp_targetILNS1_3genE2ELNS1_11target_archE906ELNS1_3gpuE6ELNS1_3repE0EEENS1_30default_config_static_selectorELNS0_4arch9wavefront6targetE1EEEvT1_
	.globl	_ZN7rocprim17ROCPRIM_400000_NS6detail17trampoline_kernelINS0_14default_configENS1_20scan_config_selectorIfEEZZNS1_9scan_implILNS1_25lookback_scan_determinismE0ELb0ELb0ES3_N6thrust23THRUST_200600_302600_NS6detail15normal_iteratorINS9_10device_ptrIfEEEESE_fNS9_4plusIiEEfEEDaPvRmT3_T4_T5_mT6_P12ihipStream_tbENKUlT_T0_E_clISt17integral_constantIbLb1EESU_EEDaSP_SQ_EUlSP_E0_NS1_11comp_targetILNS1_3genE2ELNS1_11target_archE906ELNS1_3gpuE6ELNS1_3repE0EEENS1_30default_config_static_selectorELNS0_4arch9wavefront6targetE1EEEvT1_
	.p2align	8
	.type	_ZN7rocprim17ROCPRIM_400000_NS6detail17trampoline_kernelINS0_14default_configENS1_20scan_config_selectorIfEEZZNS1_9scan_implILNS1_25lookback_scan_determinismE0ELb0ELb0ES3_N6thrust23THRUST_200600_302600_NS6detail15normal_iteratorINS9_10device_ptrIfEEEESE_fNS9_4plusIiEEfEEDaPvRmT3_T4_T5_mT6_P12ihipStream_tbENKUlT_T0_E_clISt17integral_constantIbLb1EESU_EEDaSP_SQ_EUlSP_E0_NS1_11comp_targetILNS1_3genE2ELNS1_11target_archE906ELNS1_3gpuE6ELNS1_3repE0EEENS1_30default_config_static_selectorELNS0_4arch9wavefront6targetE1EEEvT1_,@function
_ZN7rocprim17ROCPRIM_400000_NS6detail17trampoline_kernelINS0_14default_configENS1_20scan_config_selectorIfEEZZNS1_9scan_implILNS1_25lookback_scan_determinismE0ELb0ELb0ES3_N6thrust23THRUST_200600_302600_NS6detail15normal_iteratorINS9_10device_ptrIfEEEESE_fNS9_4plusIiEEfEEDaPvRmT3_T4_T5_mT6_P12ihipStream_tbENKUlT_T0_E_clISt17integral_constantIbLb1EESU_EEDaSP_SQ_EUlSP_E0_NS1_11comp_targetILNS1_3genE2ELNS1_11target_archE906ELNS1_3gpuE6ELNS1_3repE0EEENS1_30default_config_static_selectorELNS0_4arch9wavefront6targetE1EEEvT1_: ; @_ZN7rocprim17ROCPRIM_400000_NS6detail17trampoline_kernelINS0_14default_configENS1_20scan_config_selectorIfEEZZNS1_9scan_implILNS1_25lookback_scan_determinismE0ELb0ELb0ES3_N6thrust23THRUST_200600_302600_NS6detail15normal_iteratorINS9_10device_ptrIfEEEESE_fNS9_4plusIiEEfEEDaPvRmT3_T4_T5_mT6_P12ihipStream_tbENKUlT_T0_E_clISt17integral_constantIbLb1EESU_EEDaSP_SQ_EUlSP_E0_NS1_11comp_targetILNS1_3genE2ELNS1_11target_archE906ELNS1_3gpuE6ELNS1_3repE0EEENS1_30default_config_static_selectorELNS0_4arch9wavefront6targetE1EEEvT1_
; %bb.0:
	.section	.rodata,"a",@progbits
	.p2align	6, 0x0
	.amdhsa_kernel _ZN7rocprim17ROCPRIM_400000_NS6detail17trampoline_kernelINS0_14default_configENS1_20scan_config_selectorIfEEZZNS1_9scan_implILNS1_25lookback_scan_determinismE0ELb0ELb0ES3_N6thrust23THRUST_200600_302600_NS6detail15normal_iteratorINS9_10device_ptrIfEEEESE_fNS9_4plusIiEEfEEDaPvRmT3_T4_T5_mT6_P12ihipStream_tbENKUlT_T0_E_clISt17integral_constantIbLb1EESU_EEDaSP_SQ_EUlSP_E0_NS1_11comp_targetILNS1_3genE2ELNS1_11target_archE906ELNS1_3gpuE6ELNS1_3repE0EEENS1_30default_config_static_selectorELNS0_4arch9wavefront6targetE1EEEvT1_
		.amdhsa_group_segment_fixed_size 0
		.amdhsa_private_segment_fixed_size 0
		.amdhsa_kernarg_size 32
		.amdhsa_user_sgpr_count 6
		.amdhsa_user_sgpr_private_segment_buffer 1
		.amdhsa_user_sgpr_dispatch_ptr 0
		.amdhsa_user_sgpr_queue_ptr 0
		.amdhsa_user_sgpr_kernarg_segment_ptr 1
		.amdhsa_user_sgpr_dispatch_id 0
		.amdhsa_user_sgpr_flat_scratch_init 0
		.amdhsa_user_sgpr_kernarg_preload_length 0
		.amdhsa_user_sgpr_kernarg_preload_offset 0
		.amdhsa_user_sgpr_private_segment_size 0
		.amdhsa_uses_dynamic_stack 0
		.amdhsa_system_sgpr_private_segment_wavefront_offset 0
		.amdhsa_system_sgpr_workgroup_id_x 1
		.amdhsa_system_sgpr_workgroup_id_y 0
		.amdhsa_system_sgpr_workgroup_id_z 0
		.amdhsa_system_sgpr_workgroup_info 0
		.amdhsa_system_vgpr_workitem_id 0
		.amdhsa_next_free_vgpr 1
		.amdhsa_next_free_sgpr 0
		.amdhsa_accum_offset 4
		.amdhsa_reserve_vcc 0
		.amdhsa_reserve_flat_scratch 0
		.amdhsa_float_round_mode_32 0
		.amdhsa_float_round_mode_16_64 0
		.amdhsa_float_denorm_mode_32 3
		.amdhsa_float_denorm_mode_16_64 3
		.amdhsa_dx10_clamp 1
		.amdhsa_ieee_mode 1
		.amdhsa_fp16_overflow 0
		.amdhsa_tg_split 0
		.amdhsa_exception_fp_ieee_invalid_op 0
		.amdhsa_exception_fp_denorm_src 0
		.amdhsa_exception_fp_ieee_div_zero 0
		.amdhsa_exception_fp_ieee_overflow 0
		.amdhsa_exception_fp_ieee_underflow 0
		.amdhsa_exception_fp_ieee_inexact 0
		.amdhsa_exception_int_div_zero 0
	.end_amdhsa_kernel
	.section	.text._ZN7rocprim17ROCPRIM_400000_NS6detail17trampoline_kernelINS0_14default_configENS1_20scan_config_selectorIfEEZZNS1_9scan_implILNS1_25lookback_scan_determinismE0ELb0ELb0ES3_N6thrust23THRUST_200600_302600_NS6detail15normal_iteratorINS9_10device_ptrIfEEEESE_fNS9_4plusIiEEfEEDaPvRmT3_T4_T5_mT6_P12ihipStream_tbENKUlT_T0_E_clISt17integral_constantIbLb1EESU_EEDaSP_SQ_EUlSP_E0_NS1_11comp_targetILNS1_3genE2ELNS1_11target_archE906ELNS1_3gpuE6ELNS1_3repE0EEENS1_30default_config_static_selectorELNS0_4arch9wavefront6targetE1EEEvT1_,"axG",@progbits,_ZN7rocprim17ROCPRIM_400000_NS6detail17trampoline_kernelINS0_14default_configENS1_20scan_config_selectorIfEEZZNS1_9scan_implILNS1_25lookback_scan_determinismE0ELb0ELb0ES3_N6thrust23THRUST_200600_302600_NS6detail15normal_iteratorINS9_10device_ptrIfEEEESE_fNS9_4plusIiEEfEEDaPvRmT3_T4_T5_mT6_P12ihipStream_tbENKUlT_T0_E_clISt17integral_constantIbLb1EESU_EEDaSP_SQ_EUlSP_E0_NS1_11comp_targetILNS1_3genE2ELNS1_11target_archE906ELNS1_3gpuE6ELNS1_3repE0EEENS1_30default_config_static_selectorELNS0_4arch9wavefront6targetE1EEEvT1_,comdat
.Lfunc_end1528:
	.size	_ZN7rocprim17ROCPRIM_400000_NS6detail17trampoline_kernelINS0_14default_configENS1_20scan_config_selectorIfEEZZNS1_9scan_implILNS1_25lookback_scan_determinismE0ELb0ELb0ES3_N6thrust23THRUST_200600_302600_NS6detail15normal_iteratorINS9_10device_ptrIfEEEESE_fNS9_4plusIiEEfEEDaPvRmT3_T4_T5_mT6_P12ihipStream_tbENKUlT_T0_E_clISt17integral_constantIbLb1EESU_EEDaSP_SQ_EUlSP_E0_NS1_11comp_targetILNS1_3genE2ELNS1_11target_archE906ELNS1_3gpuE6ELNS1_3repE0EEENS1_30default_config_static_selectorELNS0_4arch9wavefront6targetE1EEEvT1_, .Lfunc_end1528-_ZN7rocprim17ROCPRIM_400000_NS6detail17trampoline_kernelINS0_14default_configENS1_20scan_config_selectorIfEEZZNS1_9scan_implILNS1_25lookback_scan_determinismE0ELb0ELb0ES3_N6thrust23THRUST_200600_302600_NS6detail15normal_iteratorINS9_10device_ptrIfEEEESE_fNS9_4plusIiEEfEEDaPvRmT3_T4_T5_mT6_P12ihipStream_tbENKUlT_T0_E_clISt17integral_constantIbLb1EESU_EEDaSP_SQ_EUlSP_E0_NS1_11comp_targetILNS1_3genE2ELNS1_11target_archE906ELNS1_3gpuE6ELNS1_3repE0EEENS1_30default_config_static_selectorELNS0_4arch9wavefront6targetE1EEEvT1_
                                        ; -- End function
	.section	.AMDGPU.csdata,"",@progbits
; Kernel info:
; codeLenInByte = 0
; NumSgprs: 4
; NumVgprs: 0
; NumAgprs: 0
; TotalNumVgprs: 0
; ScratchSize: 0
; MemoryBound: 0
; FloatMode: 240
; IeeeMode: 1
; LDSByteSize: 0 bytes/workgroup (compile time only)
; SGPRBlocks: 0
; VGPRBlocks: 0
; NumSGPRsForWavesPerEU: 4
; NumVGPRsForWavesPerEU: 1
; AccumOffset: 4
; Occupancy: 8
; WaveLimiterHint : 0
; COMPUTE_PGM_RSRC2:SCRATCH_EN: 0
; COMPUTE_PGM_RSRC2:USER_SGPR: 6
; COMPUTE_PGM_RSRC2:TRAP_HANDLER: 0
; COMPUTE_PGM_RSRC2:TGID_X_EN: 1
; COMPUTE_PGM_RSRC2:TGID_Y_EN: 0
; COMPUTE_PGM_RSRC2:TGID_Z_EN: 0
; COMPUTE_PGM_RSRC2:TIDIG_COMP_CNT: 0
; COMPUTE_PGM_RSRC3_GFX90A:ACCUM_OFFSET: 0
; COMPUTE_PGM_RSRC3_GFX90A:TG_SPLIT: 0
	.section	.text._ZN7rocprim17ROCPRIM_400000_NS6detail17trampoline_kernelINS0_14default_configENS1_20scan_config_selectorIfEEZZNS1_9scan_implILNS1_25lookback_scan_determinismE0ELb0ELb0ES3_N6thrust23THRUST_200600_302600_NS6detail15normal_iteratorINS9_10device_ptrIfEEEESE_fNS9_4plusIiEEfEEDaPvRmT3_T4_T5_mT6_P12ihipStream_tbENKUlT_T0_E_clISt17integral_constantIbLb1EESU_EEDaSP_SQ_EUlSP_E0_NS1_11comp_targetILNS1_3genE10ELNS1_11target_archE1201ELNS1_3gpuE5ELNS1_3repE0EEENS1_30default_config_static_selectorELNS0_4arch9wavefront6targetE1EEEvT1_,"axG",@progbits,_ZN7rocprim17ROCPRIM_400000_NS6detail17trampoline_kernelINS0_14default_configENS1_20scan_config_selectorIfEEZZNS1_9scan_implILNS1_25lookback_scan_determinismE0ELb0ELb0ES3_N6thrust23THRUST_200600_302600_NS6detail15normal_iteratorINS9_10device_ptrIfEEEESE_fNS9_4plusIiEEfEEDaPvRmT3_T4_T5_mT6_P12ihipStream_tbENKUlT_T0_E_clISt17integral_constantIbLb1EESU_EEDaSP_SQ_EUlSP_E0_NS1_11comp_targetILNS1_3genE10ELNS1_11target_archE1201ELNS1_3gpuE5ELNS1_3repE0EEENS1_30default_config_static_selectorELNS0_4arch9wavefront6targetE1EEEvT1_,comdat
	.protected	_ZN7rocprim17ROCPRIM_400000_NS6detail17trampoline_kernelINS0_14default_configENS1_20scan_config_selectorIfEEZZNS1_9scan_implILNS1_25lookback_scan_determinismE0ELb0ELb0ES3_N6thrust23THRUST_200600_302600_NS6detail15normal_iteratorINS9_10device_ptrIfEEEESE_fNS9_4plusIiEEfEEDaPvRmT3_T4_T5_mT6_P12ihipStream_tbENKUlT_T0_E_clISt17integral_constantIbLb1EESU_EEDaSP_SQ_EUlSP_E0_NS1_11comp_targetILNS1_3genE10ELNS1_11target_archE1201ELNS1_3gpuE5ELNS1_3repE0EEENS1_30default_config_static_selectorELNS0_4arch9wavefront6targetE1EEEvT1_ ; -- Begin function _ZN7rocprim17ROCPRIM_400000_NS6detail17trampoline_kernelINS0_14default_configENS1_20scan_config_selectorIfEEZZNS1_9scan_implILNS1_25lookback_scan_determinismE0ELb0ELb0ES3_N6thrust23THRUST_200600_302600_NS6detail15normal_iteratorINS9_10device_ptrIfEEEESE_fNS9_4plusIiEEfEEDaPvRmT3_T4_T5_mT6_P12ihipStream_tbENKUlT_T0_E_clISt17integral_constantIbLb1EESU_EEDaSP_SQ_EUlSP_E0_NS1_11comp_targetILNS1_3genE10ELNS1_11target_archE1201ELNS1_3gpuE5ELNS1_3repE0EEENS1_30default_config_static_selectorELNS0_4arch9wavefront6targetE1EEEvT1_
	.globl	_ZN7rocprim17ROCPRIM_400000_NS6detail17trampoline_kernelINS0_14default_configENS1_20scan_config_selectorIfEEZZNS1_9scan_implILNS1_25lookback_scan_determinismE0ELb0ELb0ES3_N6thrust23THRUST_200600_302600_NS6detail15normal_iteratorINS9_10device_ptrIfEEEESE_fNS9_4plusIiEEfEEDaPvRmT3_T4_T5_mT6_P12ihipStream_tbENKUlT_T0_E_clISt17integral_constantIbLb1EESU_EEDaSP_SQ_EUlSP_E0_NS1_11comp_targetILNS1_3genE10ELNS1_11target_archE1201ELNS1_3gpuE5ELNS1_3repE0EEENS1_30default_config_static_selectorELNS0_4arch9wavefront6targetE1EEEvT1_
	.p2align	8
	.type	_ZN7rocprim17ROCPRIM_400000_NS6detail17trampoline_kernelINS0_14default_configENS1_20scan_config_selectorIfEEZZNS1_9scan_implILNS1_25lookback_scan_determinismE0ELb0ELb0ES3_N6thrust23THRUST_200600_302600_NS6detail15normal_iteratorINS9_10device_ptrIfEEEESE_fNS9_4plusIiEEfEEDaPvRmT3_T4_T5_mT6_P12ihipStream_tbENKUlT_T0_E_clISt17integral_constantIbLb1EESU_EEDaSP_SQ_EUlSP_E0_NS1_11comp_targetILNS1_3genE10ELNS1_11target_archE1201ELNS1_3gpuE5ELNS1_3repE0EEENS1_30default_config_static_selectorELNS0_4arch9wavefront6targetE1EEEvT1_,@function
_ZN7rocprim17ROCPRIM_400000_NS6detail17trampoline_kernelINS0_14default_configENS1_20scan_config_selectorIfEEZZNS1_9scan_implILNS1_25lookback_scan_determinismE0ELb0ELb0ES3_N6thrust23THRUST_200600_302600_NS6detail15normal_iteratorINS9_10device_ptrIfEEEESE_fNS9_4plusIiEEfEEDaPvRmT3_T4_T5_mT6_P12ihipStream_tbENKUlT_T0_E_clISt17integral_constantIbLb1EESU_EEDaSP_SQ_EUlSP_E0_NS1_11comp_targetILNS1_3genE10ELNS1_11target_archE1201ELNS1_3gpuE5ELNS1_3repE0EEENS1_30default_config_static_selectorELNS0_4arch9wavefront6targetE1EEEvT1_: ; @_ZN7rocprim17ROCPRIM_400000_NS6detail17trampoline_kernelINS0_14default_configENS1_20scan_config_selectorIfEEZZNS1_9scan_implILNS1_25lookback_scan_determinismE0ELb0ELb0ES3_N6thrust23THRUST_200600_302600_NS6detail15normal_iteratorINS9_10device_ptrIfEEEESE_fNS9_4plusIiEEfEEDaPvRmT3_T4_T5_mT6_P12ihipStream_tbENKUlT_T0_E_clISt17integral_constantIbLb1EESU_EEDaSP_SQ_EUlSP_E0_NS1_11comp_targetILNS1_3genE10ELNS1_11target_archE1201ELNS1_3gpuE5ELNS1_3repE0EEENS1_30default_config_static_selectorELNS0_4arch9wavefront6targetE1EEEvT1_
; %bb.0:
	.section	.rodata,"a",@progbits
	.p2align	6, 0x0
	.amdhsa_kernel _ZN7rocprim17ROCPRIM_400000_NS6detail17trampoline_kernelINS0_14default_configENS1_20scan_config_selectorIfEEZZNS1_9scan_implILNS1_25lookback_scan_determinismE0ELb0ELb0ES3_N6thrust23THRUST_200600_302600_NS6detail15normal_iteratorINS9_10device_ptrIfEEEESE_fNS9_4plusIiEEfEEDaPvRmT3_T4_T5_mT6_P12ihipStream_tbENKUlT_T0_E_clISt17integral_constantIbLb1EESU_EEDaSP_SQ_EUlSP_E0_NS1_11comp_targetILNS1_3genE10ELNS1_11target_archE1201ELNS1_3gpuE5ELNS1_3repE0EEENS1_30default_config_static_selectorELNS0_4arch9wavefront6targetE1EEEvT1_
		.amdhsa_group_segment_fixed_size 0
		.amdhsa_private_segment_fixed_size 0
		.amdhsa_kernarg_size 32
		.amdhsa_user_sgpr_count 6
		.amdhsa_user_sgpr_private_segment_buffer 1
		.amdhsa_user_sgpr_dispatch_ptr 0
		.amdhsa_user_sgpr_queue_ptr 0
		.amdhsa_user_sgpr_kernarg_segment_ptr 1
		.amdhsa_user_sgpr_dispatch_id 0
		.amdhsa_user_sgpr_flat_scratch_init 0
		.amdhsa_user_sgpr_kernarg_preload_length 0
		.amdhsa_user_sgpr_kernarg_preload_offset 0
		.amdhsa_user_sgpr_private_segment_size 0
		.amdhsa_uses_dynamic_stack 0
		.amdhsa_system_sgpr_private_segment_wavefront_offset 0
		.amdhsa_system_sgpr_workgroup_id_x 1
		.amdhsa_system_sgpr_workgroup_id_y 0
		.amdhsa_system_sgpr_workgroup_id_z 0
		.amdhsa_system_sgpr_workgroup_info 0
		.amdhsa_system_vgpr_workitem_id 0
		.amdhsa_next_free_vgpr 1
		.amdhsa_next_free_sgpr 0
		.amdhsa_accum_offset 4
		.amdhsa_reserve_vcc 0
		.amdhsa_reserve_flat_scratch 0
		.amdhsa_float_round_mode_32 0
		.amdhsa_float_round_mode_16_64 0
		.amdhsa_float_denorm_mode_32 3
		.amdhsa_float_denorm_mode_16_64 3
		.amdhsa_dx10_clamp 1
		.amdhsa_ieee_mode 1
		.amdhsa_fp16_overflow 0
		.amdhsa_tg_split 0
		.amdhsa_exception_fp_ieee_invalid_op 0
		.amdhsa_exception_fp_denorm_src 0
		.amdhsa_exception_fp_ieee_div_zero 0
		.amdhsa_exception_fp_ieee_overflow 0
		.amdhsa_exception_fp_ieee_underflow 0
		.amdhsa_exception_fp_ieee_inexact 0
		.amdhsa_exception_int_div_zero 0
	.end_amdhsa_kernel
	.section	.text._ZN7rocprim17ROCPRIM_400000_NS6detail17trampoline_kernelINS0_14default_configENS1_20scan_config_selectorIfEEZZNS1_9scan_implILNS1_25lookback_scan_determinismE0ELb0ELb0ES3_N6thrust23THRUST_200600_302600_NS6detail15normal_iteratorINS9_10device_ptrIfEEEESE_fNS9_4plusIiEEfEEDaPvRmT3_T4_T5_mT6_P12ihipStream_tbENKUlT_T0_E_clISt17integral_constantIbLb1EESU_EEDaSP_SQ_EUlSP_E0_NS1_11comp_targetILNS1_3genE10ELNS1_11target_archE1201ELNS1_3gpuE5ELNS1_3repE0EEENS1_30default_config_static_selectorELNS0_4arch9wavefront6targetE1EEEvT1_,"axG",@progbits,_ZN7rocprim17ROCPRIM_400000_NS6detail17trampoline_kernelINS0_14default_configENS1_20scan_config_selectorIfEEZZNS1_9scan_implILNS1_25lookback_scan_determinismE0ELb0ELb0ES3_N6thrust23THRUST_200600_302600_NS6detail15normal_iteratorINS9_10device_ptrIfEEEESE_fNS9_4plusIiEEfEEDaPvRmT3_T4_T5_mT6_P12ihipStream_tbENKUlT_T0_E_clISt17integral_constantIbLb1EESU_EEDaSP_SQ_EUlSP_E0_NS1_11comp_targetILNS1_3genE10ELNS1_11target_archE1201ELNS1_3gpuE5ELNS1_3repE0EEENS1_30default_config_static_selectorELNS0_4arch9wavefront6targetE1EEEvT1_,comdat
.Lfunc_end1529:
	.size	_ZN7rocprim17ROCPRIM_400000_NS6detail17trampoline_kernelINS0_14default_configENS1_20scan_config_selectorIfEEZZNS1_9scan_implILNS1_25lookback_scan_determinismE0ELb0ELb0ES3_N6thrust23THRUST_200600_302600_NS6detail15normal_iteratorINS9_10device_ptrIfEEEESE_fNS9_4plusIiEEfEEDaPvRmT3_T4_T5_mT6_P12ihipStream_tbENKUlT_T0_E_clISt17integral_constantIbLb1EESU_EEDaSP_SQ_EUlSP_E0_NS1_11comp_targetILNS1_3genE10ELNS1_11target_archE1201ELNS1_3gpuE5ELNS1_3repE0EEENS1_30default_config_static_selectorELNS0_4arch9wavefront6targetE1EEEvT1_, .Lfunc_end1529-_ZN7rocprim17ROCPRIM_400000_NS6detail17trampoline_kernelINS0_14default_configENS1_20scan_config_selectorIfEEZZNS1_9scan_implILNS1_25lookback_scan_determinismE0ELb0ELb0ES3_N6thrust23THRUST_200600_302600_NS6detail15normal_iteratorINS9_10device_ptrIfEEEESE_fNS9_4plusIiEEfEEDaPvRmT3_T4_T5_mT6_P12ihipStream_tbENKUlT_T0_E_clISt17integral_constantIbLb1EESU_EEDaSP_SQ_EUlSP_E0_NS1_11comp_targetILNS1_3genE10ELNS1_11target_archE1201ELNS1_3gpuE5ELNS1_3repE0EEENS1_30default_config_static_selectorELNS0_4arch9wavefront6targetE1EEEvT1_
                                        ; -- End function
	.section	.AMDGPU.csdata,"",@progbits
; Kernel info:
; codeLenInByte = 0
; NumSgprs: 4
; NumVgprs: 0
; NumAgprs: 0
; TotalNumVgprs: 0
; ScratchSize: 0
; MemoryBound: 0
; FloatMode: 240
; IeeeMode: 1
; LDSByteSize: 0 bytes/workgroup (compile time only)
; SGPRBlocks: 0
; VGPRBlocks: 0
; NumSGPRsForWavesPerEU: 4
; NumVGPRsForWavesPerEU: 1
; AccumOffset: 4
; Occupancy: 8
; WaveLimiterHint : 0
; COMPUTE_PGM_RSRC2:SCRATCH_EN: 0
; COMPUTE_PGM_RSRC2:USER_SGPR: 6
; COMPUTE_PGM_RSRC2:TRAP_HANDLER: 0
; COMPUTE_PGM_RSRC2:TGID_X_EN: 1
; COMPUTE_PGM_RSRC2:TGID_Y_EN: 0
; COMPUTE_PGM_RSRC2:TGID_Z_EN: 0
; COMPUTE_PGM_RSRC2:TIDIG_COMP_CNT: 0
; COMPUTE_PGM_RSRC3_GFX90A:ACCUM_OFFSET: 0
; COMPUTE_PGM_RSRC3_GFX90A:TG_SPLIT: 0
	.section	.text._ZN7rocprim17ROCPRIM_400000_NS6detail17trampoline_kernelINS0_14default_configENS1_20scan_config_selectorIfEEZZNS1_9scan_implILNS1_25lookback_scan_determinismE0ELb0ELb0ES3_N6thrust23THRUST_200600_302600_NS6detail15normal_iteratorINS9_10device_ptrIfEEEESE_fNS9_4plusIiEEfEEDaPvRmT3_T4_T5_mT6_P12ihipStream_tbENKUlT_T0_E_clISt17integral_constantIbLb1EESU_EEDaSP_SQ_EUlSP_E0_NS1_11comp_targetILNS1_3genE10ELNS1_11target_archE1200ELNS1_3gpuE4ELNS1_3repE0EEENS1_30default_config_static_selectorELNS0_4arch9wavefront6targetE1EEEvT1_,"axG",@progbits,_ZN7rocprim17ROCPRIM_400000_NS6detail17trampoline_kernelINS0_14default_configENS1_20scan_config_selectorIfEEZZNS1_9scan_implILNS1_25lookback_scan_determinismE0ELb0ELb0ES3_N6thrust23THRUST_200600_302600_NS6detail15normal_iteratorINS9_10device_ptrIfEEEESE_fNS9_4plusIiEEfEEDaPvRmT3_T4_T5_mT6_P12ihipStream_tbENKUlT_T0_E_clISt17integral_constantIbLb1EESU_EEDaSP_SQ_EUlSP_E0_NS1_11comp_targetILNS1_3genE10ELNS1_11target_archE1200ELNS1_3gpuE4ELNS1_3repE0EEENS1_30default_config_static_selectorELNS0_4arch9wavefront6targetE1EEEvT1_,comdat
	.protected	_ZN7rocprim17ROCPRIM_400000_NS6detail17trampoline_kernelINS0_14default_configENS1_20scan_config_selectorIfEEZZNS1_9scan_implILNS1_25lookback_scan_determinismE0ELb0ELb0ES3_N6thrust23THRUST_200600_302600_NS6detail15normal_iteratorINS9_10device_ptrIfEEEESE_fNS9_4plusIiEEfEEDaPvRmT3_T4_T5_mT6_P12ihipStream_tbENKUlT_T0_E_clISt17integral_constantIbLb1EESU_EEDaSP_SQ_EUlSP_E0_NS1_11comp_targetILNS1_3genE10ELNS1_11target_archE1200ELNS1_3gpuE4ELNS1_3repE0EEENS1_30default_config_static_selectorELNS0_4arch9wavefront6targetE1EEEvT1_ ; -- Begin function _ZN7rocprim17ROCPRIM_400000_NS6detail17trampoline_kernelINS0_14default_configENS1_20scan_config_selectorIfEEZZNS1_9scan_implILNS1_25lookback_scan_determinismE0ELb0ELb0ES3_N6thrust23THRUST_200600_302600_NS6detail15normal_iteratorINS9_10device_ptrIfEEEESE_fNS9_4plusIiEEfEEDaPvRmT3_T4_T5_mT6_P12ihipStream_tbENKUlT_T0_E_clISt17integral_constantIbLb1EESU_EEDaSP_SQ_EUlSP_E0_NS1_11comp_targetILNS1_3genE10ELNS1_11target_archE1200ELNS1_3gpuE4ELNS1_3repE0EEENS1_30default_config_static_selectorELNS0_4arch9wavefront6targetE1EEEvT1_
	.globl	_ZN7rocprim17ROCPRIM_400000_NS6detail17trampoline_kernelINS0_14default_configENS1_20scan_config_selectorIfEEZZNS1_9scan_implILNS1_25lookback_scan_determinismE0ELb0ELb0ES3_N6thrust23THRUST_200600_302600_NS6detail15normal_iteratorINS9_10device_ptrIfEEEESE_fNS9_4plusIiEEfEEDaPvRmT3_T4_T5_mT6_P12ihipStream_tbENKUlT_T0_E_clISt17integral_constantIbLb1EESU_EEDaSP_SQ_EUlSP_E0_NS1_11comp_targetILNS1_3genE10ELNS1_11target_archE1200ELNS1_3gpuE4ELNS1_3repE0EEENS1_30default_config_static_selectorELNS0_4arch9wavefront6targetE1EEEvT1_
	.p2align	8
	.type	_ZN7rocprim17ROCPRIM_400000_NS6detail17trampoline_kernelINS0_14default_configENS1_20scan_config_selectorIfEEZZNS1_9scan_implILNS1_25lookback_scan_determinismE0ELb0ELb0ES3_N6thrust23THRUST_200600_302600_NS6detail15normal_iteratorINS9_10device_ptrIfEEEESE_fNS9_4plusIiEEfEEDaPvRmT3_T4_T5_mT6_P12ihipStream_tbENKUlT_T0_E_clISt17integral_constantIbLb1EESU_EEDaSP_SQ_EUlSP_E0_NS1_11comp_targetILNS1_3genE10ELNS1_11target_archE1200ELNS1_3gpuE4ELNS1_3repE0EEENS1_30default_config_static_selectorELNS0_4arch9wavefront6targetE1EEEvT1_,@function
_ZN7rocprim17ROCPRIM_400000_NS6detail17trampoline_kernelINS0_14default_configENS1_20scan_config_selectorIfEEZZNS1_9scan_implILNS1_25lookback_scan_determinismE0ELb0ELb0ES3_N6thrust23THRUST_200600_302600_NS6detail15normal_iteratorINS9_10device_ptrIfEEEESE_fNS9_4plusIiEEfEEDaPvRmT3_T4_T5_mT6_P12ihipStream_tbENKUlT_T0_E_clISt17integral_constantIbLb1EESU_EEDaSP_SQ_EUlSP_E0_NS1_11comp_targetILNS1_3genE10ELNS1_11target_archE1200ELNS1_3gpuE4ELNS1_3repE0EEENS1_30default_config_static_selectorELNS0_4arch9wavefront6targetE1EEEvT1_: ; @_ZN7rocprim17ROCPRIM_400000_NS6detail17trampoline_kernelINS0_14default_configENS1_20scan_config_selectorIfEEZZNS1_9scan_implILNS1_25lookback_scan_determinismE0ELb0ELb0ES3_N6thrust23THRUST_200600_302600_NS6detail15normal_iteratorINS9_10device_ptrIfEEEESE_fNS9_4plusIiEEfEEDaPvRmT3_T4_T5_mT6_P12ihipStream_tbENKUlT_T0_E_clISt17integral_constantIbLb1EESU_EEDaSP_SQ_EUlSP_E0_NS1_11comp_targetILNS1_3genE10ELNS1_11target_archE1200ELNS1_3gpuE4ELNS1_3repE0EEENS1_30default_config_static_selectorELNS0_4arch9wavefront6targetE1EEEvT1_
; %bb.0:
	.section	.rodata,"a",@progbits
	.p2align	6, 0x0
	.amdhsa_kernel _ZN7rocprim17ROCPRIM_400000_NS6detail17trampoline_kernelINS0_14default_configENS1_20scan_config_selectorIfEEZZNS1_9scan_implILNS1_25lookback_scan_determinismE0ELb0ELb0ES3_N6thrust23THRUST_200600_302600_NS6detail15normal_iteratorINS9_10device_ptrIfEEEESE_fNS9_4plusIiEEfEEDaPvRmT3_T4_T5_mT6_P12ihipStream_tbENKUlT_T0_E_clISt17integral_constantIbLb1EESU_EEDaSP_SQ_EUlSP_E0_NS1_11comp_targetILNS1_3genE10ELNS1_11target_archE1200ELNS1_3gpuE4ELNS1_3repE0EEENS1_30default_config_static_selectorELNS0_4arch9wavefront6targetE1EEEvT1_
		.amdhsa_group_segment_fixed_size 0
		.amdhsa_private_segment_fixed_size 0
		.amdhsa_kernarg_size 32
		.amdhsa_user_sgpr_count 6
		.amdhsa_user_sgpr_private_segment_buffer 1
		.amdhsa_user_sgpr_dispatch_ptr 0
		.amdhsa_user_sgpr_queue_ptr 0
		.amdhsa_user_sgpr_kernarg_segment_ptr 1
		.amdhsa_user_sgpr_dispatch_id 0
		.amdhsa_user_sgpr_flat_scratch_init 0
		.amdhsa_user_sgpr_kernarg_preload_length 0
		.amdhsa_user_sgpr_kernarg_preload_offset 0
		.amdhsa_user_sgpr_private_segment_size 0
		.amdhsa_uses_dynamic_stack 0
		.amdhsa_system_sgpr_private_segment_wavefront_offset 0
		.amdhsa_system_sgpr_workgroup_id_x 1
		.amdhsa_system_sgpr_workgroup_id_y 0
		.amdhsa_system_sgpr_workgroup_id_z 0
		.amdhsa_system_sgpr_workgroup_info 0
		.amdhsa_system_vgpr_workitem_id 0
		.amdhsa_next_free_vgpr 1
		.amdhsa_next_free_sgpr 0
		.amdhsa_accum_offset 4
		.amdhsa_reserve_vcc 0
		.amdhsa_reserve_flat_scratch 0
		.amdhsa_float_round_mode_32 0
		.amdhsa_float_round_mode_16_64 0
		.amdhsa_float_denorm_mode_32 3
		.amdhsa_float_denorm_mode_16_64 3
		.amdhsa_dx10_clamp 1
		.amdhsa_ieee_mode 1
		.amdhsa_fp16_overflow 0
		.amdhsa_tg_split 0
		.amdhsa_exception_fp_ieee_invalid_op 0
		.amdhsa_exception_fp_denorm_src 0
		.amdhsa_exception_fp_ieee_div_zero 0
		.amdhsa_exception_fp_ieee_overflow 0
		.amdhsa_exception_fp_ieee_underflow 0
		.amdhsa_exception_fp_ieee_inexact 0
		.amdhsa_exception_int_div_zero 0
	.end_amdhsa_kernel
	.section	.text._ZN7rocprim17ROCPRIM_400000_NS6detail17trampoline_kernelINS0_14default_configENS1_20scan_config_selectorIfEEZZNS1_9scan_implILNS1_25lookback_scan_determinismE0ELb0ELb0ES3_N6thrust23THRUST_200600_302600_NS6detail15normal_iteratorINS9_10device_ptrIfEEEESE_fNS9_4plusIiEEfEEDaPvRmT3_T4_T5_mT6_P12ihipStream_tbENKUlT_T0_E_clISt17integral_constantIbLb1EESU_EEDaSP_SQ_EUlSP_E0_NS1_11comp_targetILNS1_3genE10ELNS1_11target_archE1200ELNS1_3gpuE4ELNS1_3repE0EEENS1_30default_config_static_selectorELNS0_4arch9wavefront6targetE1EEEvT1_,"axG",@progbits,_ZN7rocprim17ROCPRIM_400000_NS6detail17trampoline_kernelINS0_14default_configENS1_20scan_config_selectorIfEEZZNS1_9scan_implILNS1_25lookback_scan_determinismE0ELb0ELb0ES3_N6thrust23THRUST_200600_302600_NS6detail15normal_iteratorINS9_10device_ptrIfEEEESE_fNS9_4plusIiEEfEEDaPvRmT3_T4_T5_mT6_P12ihipStream_tbENKUlT_T0_E_clISt17integral_constantIbLb1EESU_EEDaSP_SQ_EUlSP_E0_NS1_11comp_targetILNS1_3genE10ELNS1_11target_archE1200ELNS1_3gpuE4ELNS1_3repE0EEENS1_30default_config_static_selectorELNS0_4arch9wavefront6targetE1EEEvT1_,comdat
.Lfunc_end1530:
	.size	_ZN7rocprim17ROCPRIM_400000_NS6detail17trampoline_kernelINS0_14default_configENS1_20scan_config_selectorIfEEZZNS1_9scan_implILNS1_25lookback_scan_determinismE0ELb0ELb0ES3_N6thrust23THRUST_200600_302600_NS6detail15normal_iteratorINS9_10device_ptrIfEEEESE_fNS9_4plusIiEEfEEDaPvRmT3_T4_T5_mT6_P12ihipStream_tbENKUlT_T0_E_clISt17integral_constantIbLb1EESU_EEDaSP_SQ_EUlSP_E0_NS1_11comp_targetILNS1_3genE10ELNS1_11target_archE1200ELNS1_3gpuE4ELNS1_3repE0EEENS1_30default_config_static_selectorELNS0_4arch9wavefront6targetE1EEEvT1_, .Lfunc_end1530-_ZN7rocprim17ROCPRIM_400000_NS6detail17trampoline_kernelINS0_14default_configENS1_20scan_config_selectorIfEEZZNS1_9scan_implILNS1_25lookback_scan_determinismE0ELb0ELb0ES3_N6thrust23THRUST_200600_302600_NS6detail15normal_iteratorINS9_10device_ptrIfEEEESE_fNS9_4plusIiEEfEEDaPvRmT3_T4_T5_mT6_P12ihipStream_tbENKUlT_T0_E_clISt17integral_constantIbLb1EESU_EEDaSP_SQ_EUlSP_E0_NS1_11comp_targetILNS1_3genE10ELNS1_11target_archE1200ELNS1_3gpuE4ELNS1_3repE0EEENS1_30default_config_static_selectorELNS0_4arch9wavefront6targetE1EEEvT1_
                                        ; -- End function
	.section	.AMDGPU.csdata,"",@progbits
; Kernel info:
; codeLenInByte = 0
; NumSgprs: 4
; NumVgprs: 0
; NumAgprs: 0
; TotalNumVgprs: 0
; ScratchSize: 0
; MemoryBound: 0
; FloatMode: 240
; IeeeMode: 1
; LDSByteSize: 0 bytes/workgroup (compile time only)
; SGPRBlocks: 0
; VGPRBlocks: 0
; NumSGPRsForWavesPerEU: 4
; NumVGPRsForWavesPerEU: 1
; AccumOffset: 4
; Occupancy: 8
; WaveLimiterHint : 0
; COMPUTE_PGM_RSRC2:SCRATCH_EN: 0
; COMPUTE_PGM_RSRC2:USER_SGPR: 6
; COMPUTE_PGM_RSRC2:TRAP_HANDLER: 0
; COMPUTE_PGM_RSRC2:TGID_X_EN: 1
; COMPUTE_PGM_RSRC2:TGID_Y_EN: 0
; COMPUTE_PGM_RSRC2:TGID_Z_EN: 0
; COMPUTE_PGM_RSRC2:TIDIG_COMP_CNT: 0
; COMPUTE_PGM_RSRC3_GFX90A:ACCUM_OFFSET: 0
; COMPUTE_PGM_RSRC3_GFX90A:TG_SPLIT: 0
	.section	.text._ZN7rocprim17ROCPRIM_400000_NS6detail17trampoline_kernelINS0_14default_configENS1_20scan_config_selectorIfEEZZNS1_9scan_implILNS1_25lookback_scan_determinismE0ELb0ELb0ES3_N6thrust23THRUST_200600_302600_NS6detail15normal_iteratorINS9_10device_ptrIfEEEESE_fNS9_4plusIiEEfEEDaPvRmT3_T4_T5_mT6_P12ihipStream_tbENKUlT_T0_E_clISt17integral_constantIbLb1EESU_EEDaSP_SQ_EUlSP_E0_NS1_11comp_targetILNS1_3genE9ELNS1_11target_archE1100ELNS1_3gpuE3ELNS1_3repE0EEENS1_30default_config_static_selectorELNS0_4arch9wavefront6targetE1EEEvT1_,"axG",@progbits,_ZN7rocprim17ROCPRIM_400000_NS6detail17trampoline_kernelINS0_14default_configENS1_20scan_config_selectorIfEEZZNS1_9scan_implILNS1_25lookback_scan_determinismE0ELb0ELb0ES3_N6thrust23THRUST_200600_302600_NS6detail15normal_iteratorINS9_10device_ptrIfEEEESE_fNS9_4plusIiEEfEEDaPvRmT3_T4_T5_mT6_P12ihipStream_tbENKUlT_T0_E_clISt17integral_constantIbLb1EESU_EEDaSP_SQ_EUlSP_E0_NS1_11comp_targetILNS1_3genE9ELNS1_11target_archE1100ELNS1_3gpuE3ELNS1_3repE0EEENS1_30default_config_static_selectorELNS0_4arch9wavefront6targetE1EEEvT1_,comdat
	.protected	_ZN7rocprim17ROCPRIM_400000_NS6detail17trampoline_kernelINS0_14default_configENS1_20scan_config_selectorIfEEZZNS1_9scan_implILNS1_25lookback_scan_determinismE0ELb0ELb0ES3_N6thrust23THRUST_200600_302600_NS6detail15normal_iteratorINS9_10device_ptrIfEEEESE_fNS9_4plusIiEEfEEDaPvRmT3_T4_T5_mT6_P12ihipStream_tbENKUlT_T0_E_clISt17integral_constantIbLb1EESU_EEDaSP_SQ_EUlSP_E0_NS1_11comp_targetILNS1_3genE9ELNS1_11target_archE1100ELNS1_3gpuE3ELNS1_3repE0EEENS1_30default_config_static_selectorELNS0_4arch9wavefront6targetE1EEEvT1_ ; -- Begin function _ZN7rocprim17ROCPRIM_400000_NS6detail17trampoline_kernelINS0_14default_configENS1_20scan_config_selectorIfEEZZNS1_9scan_implILNS1_25lookback_scan_determinismE0ELb0ELb0ES3_N6thrust23THRUST_200600_302600_NS6detail15normal_iteratorINS9_10device_ptrIfEEEESE_fNS9_4plusIiEEfEEDaPvRmT3_T4_T5_mT6_P12ihipStream_tbENKUlT_T0_E_clISt17integral_constantIbLb1EESU_EEDaSP_SQ_EUlSP_E0_NS1_11comp_targetILNS1_3genE9ELNS1_11target_archE1100ELNS1_3gpuE3ELNS1_3repE0EEENS1_30default_config_static_selectorELNS0_4arch9wavefront6targetE1EEEvT1_
	.globl	_ZN7rocprim17ROCPRIM_400000_NS6detail17trampoline_kernelINS0_14default_configENS1_20scan_config_selectorIfEEZZNS1_9scan_implILNS1_25lookback_scan_determinismE0ELb0ELb0ES3_N6thrust23THRUST_200600_302600_NS6detail15normal_iteratorINS9_10device_ptrIfEEEESE_fNS9_4plusIiEEfEEDaPvRmT3_T4_T5_mT6_P12ihipStream_tbENKUlT_T0_E_clISt17integral_constantIbLb1EESU_EEDaSP_SQ_EUlSP_E0_NS1_11comp_targetILNS1_3genE9ELNS1_11target_archE1100ELNS1_3gpuE3ELNS1_3repE0EEENS1_30default_config_static_selectorELNS0_4arch9wavefront6targetE1EEEvT1_
	.p2align	8
	.type	_ZN7rocprim17ROCPRIM_400000_NS6detail17trampoline_kernelINS0_14default_configENS1_20scan_config_selectorIfEEZZNS1_9scan_implILNS1_25lookback_scan_determinismE0ELb0ELb0ES3_N6thrust23THRUST_200600_302600_NS6detail15normal_iteratorINS9_10device_ptrIfEEEESE_fNS9_4plusIiEEfEEDaPvRmT3_T4_T5_mT6_P12ihipStream_tbENKUlT_T0_E_clISt17integral_constantIbLb1EESU_EEDaSP_SQ_EUlSP_E0_NS1_11comp_targetILNS1_3genE9ELNS1_11target_archE1100ELNS1_3gpuE3ELNS1_3repE0EEENS1_30default_config_static_selectorELNS0_4arch9wavefront6targetE1EEEvT1_,@function
_ZN7rocprim17ROCPRIM_400000_NS6detail17trampoline_kernelINS0_14default_configENS1_20scan_config_selectorIfEEZZNS1_9scan_implILNS1_25lookback_scan_determinismE0ELb0ELb0ES3_N6thrust23THRUST_200600_302600_NS6detail15normal_iteratorINS9_10device_ptrIfEEEESE_fNS9_4plusIiEEfEEDaPvRmT3_T4_T5_mT6_P12ihipStream_tbENKUlT_T0_E_clISt17integral_constantIbLb1EESU_EEDaSP_SQ_EUlSP_E0_NS1_11comp_targetILNS1_3genE9ELNS1_11target_archE1100ELNS1_3gpuE3ELNS1_3repE0EEENS1_30default_config_static_selectorELNS0_4arch9wavefront6targetE1EEEvT1_: ; @_ZN7rocprim17ROCPRIM_400000_NS6detail17trampoline_kernelINS0_14default_configENS1_20scan_config_selectorIfEEZZNS1_9scan_implILNS1_25lookback_scan_determinismE0ELb0ELb0ES3_N6thrust23THRUST_200600_302600_NS6detail15normal_iteratorINS9_10device_ptrIfEEEESE_fNS9_4plusIiEEfEEDaPvRmT3_T4_T5_mT6_P12ihipStream_tbENKUlT_T0_E_clISt17integral_constantIbLb1EESU_EEDaSP_SQ_EUlSP_E0_NS1_11comp_targetILNS1_3genE9ELNS1_11target_archE1100ELNS1_3gpuE3ELNS1_3repE0EEENS1_30default_config_static_selectorELNS0_4arch9wavefront6targetE1EEEvT1_
; %bb.0:
	.section	.rodata,"a",@progbits
	.p2align	6, 0x0
	.amdhsa_kernel _ZN7rocprim17ROCPRIM_400000_NS6detail17trampoline_kernelINS0_14default_configENS1_20scan_config_selectorIfEEZZNS1_9scan_implILNS1_25lookback_scan_determinismE0ELb0ELb0ES3_N6thrust23THRUST_200600_302600_NS6detail15normal_iteratorINS9_10device_ptrIfEEEESE_fNS9_4plusIiEEfEEDaPvRmT3_T4_T5_mT6_P12ihipStream_tbENKUlT_T0_E_clISt17integral_constantIbLb1EESU_EEDaSP_SQ_EUlSP_E0_NS1_11comp_targetILNS1_3genE9ELNS1_11target_archE1100ELNS1_3gpuE3ELNS1_3repE0EEENS1_30default_config_static_selectorELNS0_4arch9wavefront6targetE1EEEvT1_
		.amdhsa_group_segment_fixed_size 0
		.amdhsa_private_segment_fixed_size 0
		.amdhsa_kernarg_size 32
		.amdhsa_user_sgpr_count 6
		.amdhsa_user_sgpr_private_segment_buffer 1
		.amdhsa_user_sgpr_dispatch_ptr 0
		.amdhsa_user_sgpr_queue_ptr 0
		.amdhsa_user_sgpr_kernarg_segment_ptr 1
		.amdhsa_user_sgpr_dispatch_id 0
		.amdhsa_user_sgpr_flat_scratch_init 0
		.amdhsa_user_sgpr_kernarg_preload_length 0
		.amdhsa_user_sgpr_kernarg_preload_offset 0
		.amdhsa_user_sgpr_private_segment_size 0
		.amdhsa_uses_dynamic_stack 0
		.amdhsa_system_sgpr_private_segment_wavefront_offset 0
		.amdhsa_system_sgpr_workgroup_id_x 1
		.amdhsa_system_sgpr_workgroup_id_y 0
		.amdhsa_system_sgpr_workgroup_id_z 0
		.amdhsa_system_sgpr_workgroup_info 0
		.amdhsa_system_vgpr_workitem_id 0
		.amdhsa_next_free_vgpr 1
		.amdhsa_next_free_sgpr 0
		.amdhsa_accum_offset 4
		.amdhsa_reserve_vcc 0
		.amdhsa_reserve_flat_scratch 0
		.amdhsa_float_round_mode_32 0
		.amdhsa_float_round_mode_16_64 0
		.amdhsa_float_denorm_mode_32 3
		.amdhsa_float_denorm_mode_16_64 3
		.amdhsa_dx10_clamp 1
		.amdhsa_ieee_mode 1
		.amdhsa_fp16_overflow 0
		.amdhsa_tg_split 0
		.amdhsa_exception_fp_ieee_invalid_op 0
		.amdhsa_exception_fp_denorm_src 0
		.amdhsa_exception_fp_ieee_div_zero 0
		.amdhsa_exception_fp_ieee_overflow 0
		.amdhsa_exception_fp_ieee_underflow 0
		.amdhsa_exception_fp_ieee_inexact 0
		.amdhsa_exception_int_div_zero 0
	.end_amdhsa_kernel
	.section	.text._ZN7rocprim17ROCPRIM_400000_NS6detail17trampoline_kernelINS0_14default_configENS1_20scan_config_selectorIfEEZZNS1_9scan_implILNS1_25lookback_scan_determinismE0ELb0ELb0ES3_N6thrust23THRUST_200600_302600_NS6detail15normal_iteratorINS9_10device_ptrIfEEEESE_fNS9_4plusIiEEfEEDaPvRmT3_T4_T5_mT6_P12ihipStream_tbENKUlT_T0_E_clISt17integral_constantIbLb1EESU_EEDaSP_SQ_EUlSP_E0_NS1_11comp_targetILNS1_3genE9ELNS1_11target_archE1100ELNS1_3gpuE3ELNS1_3repE0EEENS1_30default_config_static_selectorELNS0_4arch9wavefront6targetE1EEEvT1_,"axG",@progbits,_ZN7rocprim17ROCPRIM_400000_NS6detail17trampoline_kernelINS0_14default_configENS1_20scan_config_selectorIfEEZZNS1_9scan_implILNS1_25lookback_scan_determinismE0ELb0ELb0ES3_N6thrust23THRUST_200600_302600_NS6detail15normal_iteratorINS9_10device_ptrIfEEEESE_fNS9_4plusIiEEfEEDaPvRmT3_T4_T5_mT6_P12ihipStream_tbENKUlT_T0_E_clISt17integral_constantIbLb1EESU_EEDaSP_SQ_EUlSP_E0_NS1_11comp_targetILNS1_3genE9ELNS1_11target_archE1100ELNS1_3gpuE3ELNS1_3repE0EEENS1_30default_config_static_selectorELNS0_4arch9wavefront6targetE1EEEvT1_,comdat
.Lfunc_end1531:
	.size	_ZN7rocprim17ROCPRIM_400000_NS6detail17trampoline_kernelINS0_14default_configENS1_20scan_config_selectorIfEEZZNS1_9scan_implILNS1_25lookback_scan_determinismE0ELb0ELb0ES3_N6thrust23THRUST_200600_302600_NS6detail15normal_iteratorINS9_10device_ptrIfEEEESE_fNS9_4plusIiEEfEEDaPvRmT3_T4_T5_mT6_P12ihipStream_tbENKUlT_T0_E_clISt17integral_constantIbLb1EESU_EEDaSP_SQ_EUlSP_E0_NS1_11comp_targetILNS1_3genE9ELNS1_11target_archE1100ELNS1_3gpuE3ELNS1_3repE0EEENS1_30default_config_static_selectorELNS0_4arch9wavefront6targetE1EEEvT1_, .Lfunc_end1531-_ZN7rocprim17ROCPRIM_400000_NS6detail17trampoline_kernelINS0_14default_configENS1_20scan_config_selectorIfEEZZNS1_9scan_implILNS1_25lookback_scan_determinismE0ELb0ELb0ES3_N6thrust23THRUST_200600_302600_NS6detail15normal_iteratorINS9_10device_ptrIfEEEESE_fNS9_4plusIiEEfEEDaPvRmT3_T4_T5_mT6_P12ihipStream_tbENKUlT_T0_E_clISt17integral_constantIbLb1EESU_EEDaSP_SQ_EUlSP_E0_NS1_11comp_targetILNS1_3genE9ELNS1_11target_archE1100ELNS1_3gpuE3ELNS1_3repE0EEENS1_30default_config_static_selectorELNS0_4arch9wavefront6targetE1EEEvT1_
                                        ; -- End function
	.section	.AMDGPU.csdata,"",@progbits
; Kernel info:
; codeLenInByte = 0
; NumSgprs: 4
; NumVgprs: 0
; NumAgprs: 0
; TotalNumVgprs: 0
; ScratchSize: 0
; MemoryBound: 0
; FloatMode: 240
; IeeeMode: 1
; LDSByteSize: 0 bytes/workgroup (compile time only)
; SGPRBlocks: 0
; VGPRBlocks: 0
; NumSGPRsForWavesPerEU: 4
; NumVGPRsForWavesPerEU: 1
; AccumOffset: 4
; Occupancy: 8
; WaveLimiterHint : 0
; COMPUTE_PGM_RSRC2:SCRATCH_EN: 0
; COMPUTE_PGM_RSRC2:USER_SGPR: 6
; COMPUTE_PGM_RSRC2:TRAP_HANDLER: 0
; COMPUTE_PGM_RSRC2:TGID_X_EN: 1
; COMPUTE_PGM_RSRC2:TGID_Y_EN: 0
; COMPUTE_PGM_RSRC2:TGID_Z_EN: 0
; COMPUTE_PGM_RSRC2:TIDIG_COMP_CNT: 0
; COMPUTE_PGM_RSRC3_GFX90A:ACCUM_OFFSET: 0
; COMPUTE_PGM_RSRC3_GFX90A:TG_SPLIT: 0
	.section	.text._ZN7rocprim17ROCPRIM_400000_NS6detail17trampoline_kernelINS0_14default_configENS1_20scan_config_selectorIfEEZZNS1_9scan_implILNS1_25lookback_scan_determinismE0ELb0ELb0ES3_N6thrust23THRUST_200600_302600_NS6detail15normal_iteratorINS9_10device_ptrIfEEEESE_fNS9_4plusIiEEfEEDaPvRmT3_T4_T5_mT6_P12ihipStream_tbENKUlT_T0_E_clISt17integral_constantIbLb1EESU_EEDaSP_SQ_EUlSP_E0_NS1_11comp_targetILNS1_3genE8ELNS1_11target_archE1030ELNS1_3gpuE2ELNS1_3repE0EEENS1_30default_config_static_selectorELNS0_4arch9wavefront6targetE1EEEvT1_,"axG",@progbits,_ZN7rocprim17ROCPRIM_400000_NS6detail17trampoline_kernelINS0_14default_configENS1_20scan_config_selectorIfEEZZNS1_9scan_implILNS1_25lookback_scan_determinismE0ELb0ELb0ES3_N6thrust23THRUST_200600_302600_NS6detail15normal_iteratorINS9_10device_ptrIfEEEESE_fNS9_4plusIiEEfEEDaPvRmT3_T4_T5_mT6_P12ihipStream_tbENKUlT_T0_E_clISt17integral_constantIbLb1EESU_EEDaSP_SQ_EUlSP_E0_NS1_11comp_targetILNS1_3genE8ELNS1_11target_archE1030ELNS1_3gpuE2ELNS1_3repE0EEENS1_30default_config_static_selectorELNS0_4arch9wavefront6targetE1EEEvT1_,comdat
	.protected	_ZN7rocprim17ROCPRIM_400000_NS6detail17trampoline_kernelINS0_14default_configENS1_20scan_config_selectorIfEEZZNS1_9scan_implILNS1_25lookback_scan_determinismE0ELb0ELb0ES3_N6thrust23THRUST_200600_302600_NS6detail15normal_iteratorINS9_10device_ptrIfEEEESE_fNS9_4plusIiEEfEEDaPvRmT3_T4_T5_mT6_P12ihipStream_tbENKUlT_T0_E_clISt17integral_constantIbLb1EESU_EEDaSP_SQ_EUlSP_E0_NS1_11comp_targetILNS1_3genE8ELNS1_11target_archE1030ELNS1_3gpuE2ELNS1_3repE0EEENS1_30default_config_static_selectorELNS0_4arch9wavefront6targetE1EEEvT1_ ; -- Begin function _ZN7rocprim17ROCPRIM_400000_NS6detail17trampoline_kernelINS0_14default_configENS1_20scan_config_selectorIfEEZZNS1_9scan_implILNS1_25lookback_scan_determinismE0ELb0ELb0ES3_N6thrust23THRUST_200600_302600_NS6detail15normal_iteratorINS9_10device_ptrIfEEEESE_fNS9_4plusIiEEfEEDaPvRmT3_T4_T5_mT6_P12ihipStream_tbENKUlT_T0_E_clISt17integral_constantIbLb1EESU_EEDaSP_SQ_EUlSP_E0_NS1_11comp_targetILNS1_3genE8ELNS1_11target_archE1030ELNS1_3gpuE2ELNS1_3repE0EEENS1_30default_config_static_selectorELNS0_4arch9wavefront6targetE1EEEvT1_
	.globl	_ZN7rocprim17ROCPRIM_400000_NS6detail17trampoline_kernelINS0_14default_configENS1_20scan_config_selectorIfEEZZNS1_9scan_implILNS1_25lookback_scan_determinismE0ELb0ELb0ES3_N6thrust23THRUST_200600_302600_NS6detail15normal_iteratorINS9_10device_ptrIfEEEESE_fNS9_4plusIiEEfEEDaPvRmT3_T4_T5_mT6_P12ihipStream_tbENKUlT_T0_E_clISt17integral_constantIbLb1EESU_EEDaSP_SQ_EUlSP_E0_NS1_11comp_targetILNS1_3genE8ELNS1_11target_archE1030ELNS1_3gpuE2ELNS1_3repE0EEENS1_30default_config_static_selectorELNS0_4arch9wavefront6targetE1EEEvT1_
	.p2align	8
	.type	_ZN7rocprim17ROCPRIM_400000_NS6detail17trampoline_kernelINS0_14default_configENS1_20scan_config_selectorIfEEZZNS1_9scan_implILNS1_25lookback_scan_determinismE0ELb0ELb0ES3_N6thrust23THRUST_200600_302600_NS6detail15normal_iteratorINS9_10device_ptrIfEEEESE_fNS9_4plusIiEEfEEDaPvRmT3_T4_T5_mT6_P12ihipStream_tbENKUlT_T0_E_clISt17integral_constantIbLb1EESU_EEDaSP_SQ_EUlSP_E0_NS1_11comp_targetILNS1_3genE8ELNS1_11target_archE1030ELNS1_3gpuE2ELNS1_3repE0EEENS1_30default_config_static_selectorELNS0_4arch9wavefront6targetE1EEEvT1_,@function
_ZN7rocprim17ROCPRIM_400000_NS6detail17trampoline_kernelINS0_14default_configENS1_20scan_config_selectorIfEEZZNS1_9scan_implILNS1_25lookback_scan_determinismE0ELb0ELb0ES3_N6thrust23THRUST_200600_302600_NS6detail15normal_iteratorINS9_10device_ptrIfEEEESE_fNS9_4plusIiEEfEEDaPvRmT3_T4_T5_mT6_P12ihipStream_tbENKUlT_T0_E_clISt17integral_constantIbLb1EESU_EEDaSP_SQ_EUlSP_E0_NS1_11comp_targetILNS1_3genE8ELNS1_11target_archE1030ELNS1_3gpuE2ELNS1_3repE0EEENS1_30default_config_static_selectorELNS0_4arch9wavefront6targetE1EEEvT1_: ; @_ZN7rocprim17ROCPRIM_400000_NS6detail17trampoline_kernelINS0_14default_configENS1_20scan_config_selectorIfEEZZNS1_9scan_implILNS1_25lookback_scan_determinismE0ELb0ELb0ES3_N6thrust23THRUST_200600_302600_NS6detail15normal_iteratorINS9_10device_ptrIfEEEESE_fNS9_4plusIiEEfEEDaPvRmT3_T4_T5_mT6_P12ihipStream_tbENKUlT_T0_E_clISt17integral_constantIbLb1EESU_EEDaSP_SQ_EUlSP_E0_NS1_11comp_targetILNS1_3genE8ELNS1_11target_archE1030ELNS1_3gpuE2ELNS1_3repE0EEENS1_30default_config_static_selectorELNS0_4arch9wavefront6targetE1EEEvT1_
; %bb.0:
	.section	.rodata,"a",@progbits
	.p2align	6, 0x0
	.amdhsa_kernel _ZN7rocprim17ROCPRIM_400000_NS6detail17trampoline_kernelINS0_14default_configENS1_20scan_config_selectorIfEEZZNS1_9scan_implILNS1_25lookback_scan_determinismE0ELb0ELb0ES3_N6thrust23THRUST_200600_302600_NS6detail15normal_iteratorINS9_10device_ptrIfEEEESE_fNS9_4plusIiEEfEEDaPvRmT3_T4_T5_mT6_P12ihipStream_tbENKUlT_T0_E_clISt17integral_constantIbLb1EESU_EEDaSP_SQ_EUlSP_E0_NS1_11comp_targetILNS1_3genE8ELNS1_11target_archE1030ELNS1_3gpuE2ELNS1_3repE0EEENS1_30default_config_static_selectorELNS0_4arch9wavefront6targetE1EEEvT1_
		.amdhsa_group_segment_fixed_size 0
		.amdhsa_private_segment_fixed_size 0
		.amdhsa_kernarg_size 32
		.amdhsa_user_sgpr_count 6
		.amdhsa_user_sgpr_private_segment_buffer 1
		.amdhsa_user_sgpr_dispatch_ptr 0
		.amdhsa_user_sgpr_queue_ptr 0
		.amdhsa_user_sgpr_kernarg_segment_ptr 1
		.amdhsa_user_sgpr_dispatch_id 0
		.amdhsa_user_sgpr_flat_scratch_init 0
		.amdhsa_user_sgpr_kernarg_preload_length 0
		.amdhsa_user_sgpr_kernarg_preload_offset 0
		.amdhsa_user_sgpr_private_segment_size 0
		.amdhsa_uses_dynamic_stack 0
		.amdhsa_system_sgpr_private_segment_wavefront_offset 0
		.amdhsa_system_sgpr_workgroup_id_x 1
		.amdhsa_system_sgpr_workgroup_id_y 0
		.amdhsa_system_sgpr_workgroup_id_z 0
		.amdhsa_system_sgpr_workgroup_info 0
		.amdhsa_system_vgpr_workitem_id 0
		.amdhsa_next_free_vgpr 1
		.amdhsa_next_free_sgpr 0
		.amdhsa_accum_offset 4
		.amdhsa_reserve_vcc 0
		.amdhsa_reserve_flat_scratch 0
		.amdhsa_float_round_mode_32 0
		.amdhsa_float_round_mode_16_64 0
		.amdhsa_float_denorm_mode_32 3
		.amdhsa_float_denorm_mode_16_64 3
		.amdhsa_dx10_clamp 1
		.amdhsa_ieee_mode 1
		.amdhsa_fp16_overflow 0
		.amdhsa_tg_split 0
		.amdhsa_exception_fp_ieee_invalid_op 0
		.amdhsa_exception_fp_denorm_src 0
		.amdhsa_exception_fp_ieee_div_zero 0
		.amdhsa_exception_fp_ieee_overflow 0
		.amdhsa_exception_fp_ieee_underflow 0
		.amdhsa_exception_fp_ieee_inexact 0
		.amdhsa_exception_int_div_zero 0
	.end_amdhsa_kernel
	.section	.text._ZN7rocprim17ROCPRIM_400000_NS6detail17trampoline_kernelINS0_14default_configENS1_20scan_config_selectorIfEEZZNS1_9scan_implILNS1_25lookback_scan_determinismE0ELb0ELb0ES3_N6thrust23THRUST_200600_302600_NS6detail15normal_iteratorINS9_10device_ptrIfEEEESE_fNS9_4plusIiEEfEEDaPvRmT3_T4_T5_mT6_P12ihipStream_tbENKUlT_T0_E_clISt17integral_constantIbLb1EESU_EEDaSP_SQ_EUlSP_E0_NS1_11comp_targetILNS1_3genE8ELNS1_11target_archE1030ELNS1_3gpuE2ELNS1_3repE0EEENS1_30default_config_static_selectorELNS0_4arch9wavefront6targetE1EEEvT1_,"axG",@progbits,_ZN7rocprim17ROCPRIM_400000_NS6detail17trampoline_kernelINS0_14default_configENS1_20scan_config_selectorIfEEZZNS1_9scan_implILNS1_25lookback_scan_determinismE0ELb0ELb0ES3_N6thrust23THRUST_200600_302600_NS6detail15normal_iteratorINS9_10device_ptrIfEEEESE_fNS9_4plusIiEEfEEDaPvRmT3_T4_T5_mT6_P12ihipStream_tbENKUlT_T0_E_clISt17integral_constantIbLb1EESU_EEDaSP_SQ_EUlSP_E0_NS1_11comp_targetILNS1_3genE8ELNS1_11target_archE1030ELNS1_3gpuE2ELNS1_3repE0EEENS1_30default_config_static_selectorELNS0_4arch9wavefront6targetE1EEEvT1_,comdat
.Lfunc_end1532:
	.size	_ZN7rocprim17ROCPRIM_400000_NS6detail17trampoline_kernelINS0_14default_configENS1_20scan_config_selectorIfEEZZNS1_9scan_implILNS1_25lookback_scan_determinismE0ELb0ELb0ES3_N6thrust23THRUST_200600_302600_NS6detail15normal_iteratorINS9_10device_ptrIfEEEESE_fNS9_4plusIiEEfEEDaPvRmT3_T4_T5_mT6_P12ihipStream_tbENKUlT_T0_E_clISt17integral_constantIbLb1EESU_EEDaSP_SQ_EUlSP_E0_NS1_11comp_targetILNS1_3genE8ELNS1_11target_archE1030ELNS1_3gpuE2ELNS1_3repE0EEENS1_30default_config_static_selectorELNS0_4arch9wavefront6targetE1EEEvT1_, .Lfunc_end1532-_ZN7rocprim17ROCPRIM_400000_NS6detail17trampoline_kernelINS0_14default_configENS1_20scan_config_selectorIfEEZZNS1_9scan_implILNS1_25lookback_scan_determinismE0ELb0ELb0ES3_N6thrust23THRUST_200600_302600_NS6detail15normal_iteratorINS9_10device_ptrIfEEEESE_fNS9_4plusIiEEfEEDaPvRmT3_T4_T5_mT6_P12ihipStream_tbENKUlT_T0_E_clISt17integral_constantIbLb1EESU_EEDaSP_SQ_EUlSP_E0_NS1_11comp_targetILNS1_3genE8ELNS1_11target_archE1030ELNS1_3gpuE2ELNS1_3repE0EEENS1_30default_config_static_selectorELNS0_4arch9wavefront6targetE1EEEvT1_
                                        ; -- End function
	.section	.AMDGPU.csdata,"",@progbits
; Kernel info:
; codeLenInByte = 0
; NumSgprs: 4
; NumVgprs: 0
; NumAgprs: 0
; TotalNumVgprs: 0
; ScratchSize: 0
; MemoryBound: 0
; FloatMode: 240
; IeeeMode: 1
; LDSByteSize: 0 bytes/workgroup (compile time only)
; SGPRBlocks: 0
; VGPRBlocks: 0
; NumSGPRsForWavesPerEU: 4
; NumVGPRsForWavesPerEU: 1
; AccumOffset: 4
; Occupancy: 8
; WaveLimiterHint : 0
; COMPUTE_PGM_RSRC2:SCRATCH_EN: 0
; COMPUTE_PGM_RSRC2:USER_SGPR: 6
; COMPUTE_PGM_RSRC2:TRAP_HANDLER: 0
; COMPUTE_PGM_RSRC2:TGID_X_EN: 1
; COMPUTE_PGM_RSRC2:TGID_Y_EN: 0
; COMPUTE_PGM_RSRC2:TGID_Z_EN: 0
; COMPUTE_PGM_RSRC2:TIDIG_COMP_CNT: 0
; COMPUTE_PGM_RSRC3_GFX90A:ACCUM_OFFSET: 0
; COMPUTE_PGM_RSRC3_GFX90A:TG_SPLIT: 0
	.section	.text._ZN7rocprim17ROCPRIM_400000_NS6detail17trampoline_kernelINS0_14default_configENS1_20scan_config_selectorIfEEZZNS1_9scan_implILNS1_25lookback_scan_determinismE0ELb0ELb0ES3_N6thrust23THRUST_200600_302600_NS6detail15normal_iteratorINS9_10device_ptrIfEEEESE_fNS9_4plusIiEEfEEDaPvRmT3_T4_T5_mT6_P12ihipStream_tbENKUlT_T0_E_clISt17integral_constantIbLb1EEST_IbLb0EEEEDaSP_SQ_EUlSP_E_NS1_11comp_targetILNS1_3genE0ELNS1_11target_archE4294967295ELNS1_3gpuE0ELNS1_3repE0EEENS1_30default_config_static_selectorELNS0_4arch9wavefront6targetE1EEEvT1_,"axG",@progbits,_ZN7rocprim17ROCPRIM_400000_NS6detail17trampoline_kernelINS0_14default_configENS1_20scan_config_selectorIfEEZZNS1_9scan_implILNS1_25lookback_scan_determinismE0ELb0ELb0ES3_N6thrust23THRUST_200600_302600_NS6detail15normal_iteratorINS9_10device_ptrIfEEEESE_fNS9_4plusIiEEfEEDaPvRmT3_T4_T5_mT6_P12ihipStream_tbENKUlT_T0_E_clISt17integral_constantIbLb1EEST_IbLb0EEEEDaSP_SQ_EUlSP_E_NS1_11comp_targetILNS1_3genE0ELNS1_11target_archE4294967295ELNS1_3gpuE0ELNS1_3repE0EEENS1_30default_config_static_selectorELNS0_4arch9wavefront6targetE1EEEvT1_,comdat
	.protected	_ZN7rocprim17ROCPRIM_400000_NS6detail17trampoline_kernelINS0_14default_configENS1_20scan_config_selectorIfEEZZNS1_9scan_implILNS1_25lookback_scan_determinismE0ELb0ELb0ES3_N6thrust23THRUST_200600_302600_NS6detail15normal_iteratorINS9_10device_ptrIfEEEESE_fNS9_4plusIiEEfEEDaPvRmT3_T4_T5_mT6_P12ihipStream_tbENKUlT_T0_E_clISt17integral_constantIbLb1EEST_IbLb0EEEEDaSP_SQ_EUlSP_E_NS1_11comp_targetILNS1_3genE0ELNS1_11target_archE4294967295ELNS1_3gpuE0ELNS1_3repE0EEENS1_30default_config_static_selectorELNS0_4arch9wavefront6targetE1EEEvT1_ ; -- Begin function _ZN7rocprim17ROCPRIM_400000_NS6detail17trampoline_kernelINS0_14default_configENS1_20scan_config_selectorIfEEZZNS1_9scan_implILNS1_25lookback_scan_determinismE0ELb0ELb0ES3_N6thrust23THRUST_200600_302600_NS6detail15normal_iteratorINS9_10device_ptrIfEEEESE_fNS9_4plusIiEEfEEDaPvRmT3_T4_T5_mT6_P12ihipStream_tbENKUlT_T0_E_clISt17integral_constantIbLb1EEST_IbLb0EEEEDaSP_SQ_EUlSP_E_NS1_11comp_targetILNS1_3genE0ELNS1_11target_archE4294967295ELNS1_3gpuE0ELNS1_3repE0EEENS1_30default_config_static_selectorELNS0_4arch9wavefront6targetE1EEEvT1_
	.globl	_ZN7rocprim17ROCPRIM_400000_NS6detail17trampoline_kernelINS0_14default_configENS1_20scan_config_selectorIfEEZZNS1_9scan_implILNS1_25lookback_scan_determinismE0ELb0ELb0ES3_N6thrust23THRUST_200600_302600_NS6detail15normal_iteratorINS9_10device_ptrIfEEEESE_fNS9_4plusIiEEfEEDaPvRmT3_T4_T5_mT6_P12ihipStream_tbENKUlT_T0_E_clISt17integral_constantIbLb1EEST_IbLb0EEEEDaSP_SQ_EUlSP_E_NS1_11comp_targetILNS1_3genE0ELNS1_11target_archE4294967295ELNS1_3gpuE0ELNS1_3repE0EEENS1_30default_config_static_selectorELNS0_4arch9wavefront6targetE1EEEvT1_
	.p2align	8
	.type	_ZN7rocprim17ROCPRIM_400000_NS6detail17trampoline_kernelINS0_14default_configENS1_20scan_config_selectorIfEEZZNS1_9scan_implILNS1_25lookback_scan_determinismE0ELb0ELb0ES3_N6thrust23THRUST_200600_302600_NS6detail15normal_iteratorINS9_10device_ptrIfEEEESE_fNS9_4plusIiEEfEEDaPvRmT3_T4_T5_mT6_P12ihipStream_tbENKUlT_T0_E_clISt17integral_constantIbLb1EEST_IbLb0EEEEDaSP_SQ_EUlSP_E_NS1_11comp_targetILNS1_3genE0ELNS1_11target_archE4294967295ELNS1_3gpuE0ELNS1_3repE0EEENS1_30default_config_static_selectorELNS0_4arch9wavefront6targetE1EEEvT1_,@function
_ZN7rocprim17ROCPRIM_400000_NS6detail17trampoline_kernelINS0_14default_configENS1_20scan_config_selectorIfEEZZNS1_9scan_implILNS1_25lookback_scan_determinismE0ELb0ELb0ES3_N6thrust23THRUST_200600_302600_NS6detail15normal_iteratorINS9_10device_ptrIfEEEESE_fNS9_4plusIiEEfEEDaPvRmT3_T4_T5_mT6_P12ihipStream_tbENKUlT_T0_E_clISt17integral_constantIbLb1EEST_IbLb0EEEEDaSP_SQ_EUlSP_E_NS1_11comp_targetILNS1_3genE0ELNS1_11target_archE4294967295ELNS1_3gpuE0ELNS1_3repE0EEENS1_30default_config_static_selectorELNS0_4arch9wavefront6targetE1EEEvT1_: ; @_ZN7rocprim17ROCPRIM_400000_NS6detail17trampoline_kernelINS0_14default_configENS1_20scan_config_selectorIfEEZZNS1_9scan_implILNS1_25lookback_scan_determinismE0ELb0ELb0ES3_N6thrust23THRUST_200600_302600_NS6detail15normal_iteratorINS9_10device_ptrIfEEEESE_fNS9_4plusIiEEfEEDaPvRmT3_T4_T5_mT6_P12ihipStream_tbENKUlT_T0_E_clISt17integral_constantIbLb1EEST_IbLb0EEEEDaSP_SQ_EUlSP_E_NS1_11comp_targetILNS1_3genE0ELNS1_11target_archE4294967295ELNS1_3gpuE0ELNS1_3repE0EEENS1_30default_config_static_selectorELNS0_4arch9wavefront6targetE1EEEvT1_
; %bb.0:
	.section	.rodata,"a",@progbits
	.p2align	6, 0x0
	.amdhsa_kernel _ZN7rocprim17ROCPRIM_400000_NS6detail17trampoline_kernelINS0_14default_configENS1_20scan_config_selectorIfEEZZNS1_9scan_implILNS1_25lookback_scan_determinismE0ELb0ELb0ES3_N6thrust23THRUST_200600_302600_NS6detail15normal_iteratorINS9_10device_ptrIfEEEESE_fNS9_4plusIiEEfEEDaPvRmT3_T4_T5_mT6_P12ihipStream_tbENKUlT_T0_E_clISt17integral_constantIbLb1EEST_IbLb0EEEEDaSP_SQ_EUlSP_E_NS1_11comp_targetILNS1_3genE0ELNS1_11target_archE4294967295ELNS1_3gpuE0ELNS1_3repE0EEENS1_30default_config_static_selectorELNS0_4arch9wavefront6targetE1EEEvT1_
		.amdhsa_group_segment_fixed_size 0
		.amdhsa_private_segment_fixed_size 0
		.amdhsa_kernarg_size 96
		.amdhsa_user_sgpr_count 6
		.amdhsa_user_sgpr_private_segment_buffer 1
		.amdhsa_user_sgpr_dispatch_ptr 0
		.amdhsa_user_sgpr_queue_ptr 0
		.amdhsa_user_sgpr_kernarg_segment_ptr 1
		.amdhsa_user_sgpr_dispatch_id 0
		.amdhsa_user_sgpr_flat_scratch_init 0
		.amdhsa_user_sgpr_kernarg_preload_length 0
		.amdhsa_user_sgpr_kernarg_preload_offset 0
		.amdhsa_user_sgpr_private_segment_size 0
		.amdhsa_uses_dynamic_stack 0
		.amdhsa_system_sgpr_private_segment_wavefront_offset 0
		.amdhsa_system_sgpr_workgroup_id_x 1
		.amdhsa_system_sgpr_workgroup_id_y 0
		.amdhsa_system_sgpr_workgroup_id_z 0
		.amdhsa_system_sgpr_workgroup_info 0
		.amdhsa_system_vgpr_workitem_id 0
		.amdhsa_next_free_vgpr 1
		.amdhsa_next_free_sgpr 0
		.amdhsa_accum_offset 4
		.amdhsa_reserve_vcc 0
		.amdhsa_reserve_flat_scratch 0
		.amdhsa_float_round_mode_32 0
		.amdhsa_float_round_mode_16_64 0
		.amdhsa_float_denorm_mode_32 3
		.amdhsa_float_denorm_mode_16_64 3
		.amdhsa_dx10_clamp 1
		.amdhsa_ieee_mode 1
		.amdhsa_fp16_overflow 0
		.amdhsa_tg_split 0
		.amdhsa_exception_fp_ieee_invalid_op 0
		.amdhsa_exception_fp_denorm_src 0
		.amdhsa_exception_fp_ieee_div_zero 0
		.amdhsa_exception_fp_ieee_overflow 0
		.amdhsa_exception_fp_ieee_underflow 0
		.amdhsa_exception_fp_ieee_inexact 0
		.amdhsa_exception_int_div_zero 0
	.end_amdhsa_kernel
	.section	.text._ZN7rocprim17ROCPRIM_400000_NS6detail17trampoline_kernelINS0_14default_configENS1_20scan_config_selectorIfEEZZNS1_9scan_implILNS1_25lookback_scan_determinismE0ELb0ELb0ES3_N6thrust23THRUST_200600_302600_NS6detail15normal_iteratorINS9_10device_ptrIfEEEESE_fNS9_4plusIiEEfEEDaPvRmT3_T4_T5_mT6_P12ihipStream_tbENKUlT_T0_E_clISt17integral_constantIbLb1EEST_IbLb0EEEEDaSP_SQ_EUlSP_E_NS1_11comp_targetILNS1_3genE0ELNS1_11target_archE4294967295ELNS1_3gpuE0ELNS1_3repE0EEENS1_30default_config_static_selectorELNS0_4arch9wavefront6targetE1EEEvT1_,"axG",@progbits,_ZN7rocprim17ROCPRIM_400000_NS6detail17trampoline_kernelINS0_14default_configENS1_20scan_config_selectorIfEEZZNS1_9scan_implILNS1_25lookback_scan_determinismE0ELb0ELb0ES3_N6thrust23THRUST_200600_302600_NS6detail15normal_iteratorINS9_10device_ptrIfEEEESE_fNS9_4plusIiEEfEEDaPvRmT3_T4_T5_mT6_P12ihipStream_tbENKUlT_T0_E_clISt17integral_constantIbLb1EEST_IbLb0EEEEDaSP_SQ_EUlSP_E_NS1_11comp_targetILNS1_3genE0ELNS1_11target_archE4294967295ELNS1_3gpuE0ELNS1_3repE0EEENS1_30default_config_static_selectorELNS0_4arch9wavefront6targetE1EEEvT1_,comdat
.Lfunc_end1533:
	.size	_ZN7rocprim17ROCPRIM_400000_NS6detail17trampoline_kernelINS0_14default_configENS1_20scan_config_selectorIfEEZZNS1_9scan_implILNS1_25lookback_scan_determinismE0ELb0ELb0ES3_N6thrust23THRUST_200600_302600_NS6detail15normal_iteratorINS9_10device_ptrIfEEEESE_fNS9_4plusIiEEfEEDaPvRmT3_T4_T5_mT6_P12ihipStream_tbENKUlT_T0_E_clISt17integral_constantIbLb1EEST_IbLb0EEEEDaSP_SQ_EUlSP_E_NS1_11comp_targetILNS1_3genE0ELNS1_11target_archE4294967295ELNS1_3gpuE0ELNS1_3repE0EEENS1_30default_config_static_selectorELNS0_4arch9wavefront6targetE1EEEvT1_, .Lfunc_end1533-_ZN7rocprim17ROCPRIM_400000_NS6detail17trampoline_kernelINS0_14default_configENS1_20scan_config_selectorIfEEZZNS1_9scan_implILNS1_25lookback_scan_determinismE0ELb0ELb0ES3_N6thrust23THRUST_200600_302600_NS6detail15normal_iteratorINS9_10device_ptrIfEEEESE_fNS9_4plusIiEEfEEDaPvRmT3_T4_T5_mT6_P12ihipStream_tbENKUlT_T0_E_clISt17integral_constantIbLb1EEST_IbLb0EEEEDaSP_SQ_EUlSP_E_NS1_11comp_targetILNS1_3genE0ELNS1_11target_archE4294967295ELNS1_3gpuE0ELNS1_3repE0EEENS1_30default_config_static_selectorELNS0_4arch9wavefront6targetE1EEEvT1_
                                        ; -- End function
	.section	.AMDGPU.csdata,"",@progbits
; Kernel info:
; codeLenInByte = 0
; NumSgprs: 4
; NumVgprs: 0
; NumAgprs: 0
; TotalNumVgprs: 0
; ScratchSize: 0
; MemoryBound: 0
; FloatMode: 240
; IeeeMode: 1
; LDSByteSize: 0 bytes/workgroup (compile time only)
; SGPRBlocks: 0
; VGPRBlocks: 0
; NumSGPRsForWavesPerEU: 4
; NumVGPRsForWavesPerEU: 1
; AccumOffset: 4
; Occupancy: 8
; WaveLimiterHint : 0
; COMPUTE_PGM_RSRC2:SCRATCH_EN: 0
; COMPUTE_PGM_RSRC2:USER_SGPR: 6
; COMPUTE_PGM_RSRC2:TRAP_HANDLER: 0
; COMPUTE_PGM_RSRC2:TGID_X_EN: 1
; COMPUTE_PGM_RSRC2:TGID_Y_EN: 0
; COMPUTE_PGM_RSRC2:TGID_Z_EN: 0
; COMPUTE_PGM_RSRC2:TIDIG_COMP_CNT: 0
; COMPUTE_PGM_RSRC3_GFX90A:ACCUM_OFFSET: 0
; COMPUTE_PGM_RSRC3_GFX90A:TG_SPLIT: 0
	.section	.text._ZN7rocprim17ROCPRIM_400000_NS6detail17trampoline_kernelINS0_14default_configENS1_20scan_config_selectorIfEEZZNS1_9scan_implILNS1_25lookback_scan_determinismE0ELb0ELb0ES3_N6thrust23THRUST_200600_302600_NS6detail15normal_iteratorINS9_10device_ptrIfEEEESE_fNS9_4plusIiEEfEEDaPvRmT3_T4_T5_mT6_P12ihipStream_tbENKUlT_T0_E_clISt17integral_constantIbLb1EEST_IbLb0EEEEDaSP_SQ_EUlSP_E_NS1_11comp_targetILNS1_3genE5ELNS1_11target_archE942ELNS1_3gpuE9ELNS1_3repE0EEENS1_30default_config_static_selectorELNS0_4arch9wavefront6targetE1EEEvT1_,"axG",@progbits,_ZN7rocprim17ROCPRIM_400000_NS6detail17trampoline_kernelINS0_14default_configENS1_20scan_config_selectorIfEEZZNS1_9scan_implILNS1_25lookback_scan_determinismE0ELb0ELb0ES3_N6thrust23THRUST_200600_302600_NS6detail15normal_iteratorINS9_10device_ptrIfEEEESE_fNS9_4plusIiEEfEEDaPvRmT3_T4_T5_mT6_P12ihipStream_tbENKUlT_T0_E_clISt17integral_constantIbLb1EEST_IbLb0EEEEDaSP_SQ_EUlSP_E_NS1_11comp_targetILNS1_3genE5ELNS1_11target_archE942ELNS1_3gpuE9ELNS1_3repE0EEENS1_30default_config_static_selectorELNS0_4arch9wavefront6targetE1EEEvT1_,comdat
	.protected	_ZN7rocprim17ROCPRIM_400000_NS6detail17trampoline_kernelINS0_14default_configENS1_20scan_config_selectorIfEEZZNS1_9scan_implILNS1_25lookback_scan_determinismE0ELb0ELb0ES3_N6thrust23THRUST_200600_302600_NS6detail15normal_iteratorINS9_10device_ptrIfEEEESE_fNS9_4plusIiEEfEEDaPvRmT3_T4_T5_mT6_P12ihipStream_tbENKUlT_T0_E_clISt17integral_constantIbLb1EEST_IbLb0EEEEDaSP_SQ_EUlSP_E_NS1_11comp_targetILNS1_3genE5ELNS1_11target_archE942ELNS1_3gpuE9ELNS1_3repE0EEENS1_30default_config_static_selectorELNS0_4arch9wavefront6targetE1EEEvT1_ ; -- Begin function _ZN7rocprim17ROCPRIM_400000_NS6detail17trampoline_kernelINS0_14default_configENS1_20scan_config_selectorIfEEZZNS1_9scan_implILNS1_25lookback_scan_determinismE0ELb0ELb0ES3_N6thrust23THRUST_200600_302600_NS6detail15normal_iteratorINS9_10device_ptrIfEEEESE_fNS9_4plusIiEEfEEDaPvRmT3_T4_T5_mT6_P12ihipStream_tbENKUlT_T0_E_clISt17integral_constantIbLb1EEST_IbLb0EEEEDaSP_SQ_EUlSP_E_NS1_11comp_targetILNS1_3genE5ELNS1_11target_archE942ELNS1_3gpuE9ELNS1_3repE0EEENS1_30default_config_static_selectorELNS0_4arch9wavefront6targetE1EEEvT1_
	.globl	_ZN7rocprim17ROCPRIM_400000_NS6detail17trampoline_kernelINS0_14default_configENS1_20scan_config_selectorIfEEZZNS1_9scan_implILNS1_25lookback_scan_determinismE0ELb0ELb0ES3_N6thrust23THRUST_200600_302600_NS6detail15normal_iteratorINS9_10device_ptrIfEEEESE_fNS9_4plusIiEEfEEDaPvRmT3_T4_T5_mT6_P12ihipStream_tbENKUlT_T0_E_clISt17integral_constantIbLb1EEST_IbLb0EEEEDaSP_SQ_EUlSP_E_NS1_11comp_targetILNS1_3genE5ELNS1_11target_archE942ELNS1_3gpuE9ELNS1_3repE0EEENS1_30default_config_static_selectorELNS0_4arch9wavefront6targetE1EEEvT1_
	.p2align	8
	.type	_ZN7rocprim17ROCPRIM_400000_NS6detail17trampoline_kernelINS0_14default_configENS1_20scan_config_selectorIfEEZZNS1_9scan_implILNS1_25lookback_scan_determinismE0ELb0ELb0ES3_N6thrust23THRUST_200600_302600_NS6detail15normal_iteratorINS9_10device_ptrIfEEEESE_fNS9_4plusIiEEfEEDaPvRmT3_T4_T5_mT6_P12ihipStream_tbENKUlT_T0_E_clISt17integral_constantIbLb1EEST_IbLb0EEEEDaSP_SQ_EUlSP_E_NS1_11comp_targetILNS1_3genE5ELNS1_11target_archE942ELNS1_3gpuE9ELNS1_3repE0EEENS1_30default_config_static_selectorELNS0_4arch9wavefront6targetE1EEEvT1_,@function
_ZN7rocprim17ROCPRIM_400000_NS6detail17trampoline_kernelINS0_14default_configENS1_20scan_config_selectorIfEEZZNS1_9scan_implILNS1_25lookback_scan_determinismE0ELb0ELb0ES3_N6thrust23THRUST_200600_302600_NS6detail15normal_iteratorINS9_10device_ptrIfEEEESE_fNS9_4plusIiEEfEEDaPvRmT3_T4_T5_mT6_P12ihipStream_tbENKUlT_T0_E_clISt17integral_constantIbLb1EEST_IbLb0EEEEDaSP_SQ_EUlSP_E_NS1_11comp_targetILNS1_3genE5ELNS1_11target_archE942ELNS1_3gpuE9ELNS1_3repE0EEENS1_30default_config_static_selectorELNS0_4arch9wavefront6targetE1EEEvT1_: ; @_ZN7rocprim17ROCPRIM_400000_NS6detail17trampoline_kernelINS0_14default_configENS1_20scan_config_selectorIfEEZZNS1_9scan_implILNS1_25lookback_scan_determinismE0ELb0ELb0ES3_N6thrust23THRUST_200600_302600_NS6detail15normal_iteratorINS9_10device_ptrIfEEEESE_fNS9_4plusIiEEfEEDaPvRmT3_T4_T5_mT6_P12ihipStream_tbENKUlT_T0_E_clISt17integral_constantIbLb1EEST_IbLb0EEEEDaSP_SQ_EUlSP_E_NS1_11comp_targetILNS1_3genE5ELNS1_11target_archE942ELNS1_3gpuE9ELNS1_3repE0EEENS1_30default_config_static_selectorELNS0_4arch9wavefront6targetE1EEEvT1_
; %bb.0:
	.section	.rodata,"a",@progbits
	.p2align	6, 0x0
	.amdhsa_kernel _ZN7rocprim17ROCPRIM_400000_NS6detail17trampoline_kernelINS0_14default_configENS1_20scan_config_selectorIfEEZZNS1_9scan_implILNS1_25lookback_scan_determinismE0ELb0ELb0ES3_N6thrust23THRUST_200600_302600_NS6detail15normal_iteratorINS9_10device_ptrIfEEEESE_fNS9_4plusIiEEfEEDaPvRmT3_T4_T5_mT6_P12ihipStream_tbENKUlT_T0_E_clISt17integral_constantIbLb1EEST_IbLb0EEEEDaSP_SQ_EUlSP_E_NS1_11comp_targetILNS1_3genE5ELNS1_11target_archE942ELNS1_3gpuE9ELNS1_3repE0EEENS1_30default_config_static_selectorELNS0_4arch9wavefront6targetE1EEEvT1_
		.amdhsa_group_segment_fixed_size 0
		.amdhsa_private_segment_fixed_size 0
		.amdhsa_kernarg_size 96
		.amdhsa_user_sgpr_count 6
		.amdhsa_user_sgpr_private_segment_buffer 1
		.amdhsa_user_sgpr_dispatch_ptr 0
		.amdhsa_user_sgpr_queue_ptr 0
		.amdhsa_user_sgpr_kernarg_segment_ptr 1
		.amdhsa_user_sgpr_dispatch_id 0
		.amdhsa_user_sgpr_flat_scratch_init 0
		.amdhsa_user_sgpr_kernarg_preload_length 0
		.amdhsa_user_sgpr_kernarg_preload_offset 0
		.amdhsa_user_sgpr_private_segment_size 0
		.amdhsa_uses_dynamic_stack 0
		.amdhsa_system_sgpr_private_segment_wavefront_offset 0
		.amdhsa_system_sgpr_workgroup_id_x 1
		.amdhsa_system_sgpr_workgroup_id_y 0
		.amdhsa_system_sgpr_workgroup_id_z 0
		.amdhsa_system_sgpr_workgroup_info 0
		.amdhsa_system_vgpr_workitem_id 0
		.amdhsa_next_free_vgpr 1
		.amdhsa_next_free_sgpr 0
		.amdhsa_accum_offset 4
		.amdhsa_reserve_vcc 0
		.amdhsa_reserve_flat_scratch 0
		.amdhsa_float_round_mode_32 0
		.amdhsa_float_round_mode_16_64 0
		.amdhsa_float_denorm_mode_32 3
		.amdhsa_float_denorm_mode_16_64 3
		.amdhsa_dx10_clamp 1
		.amdhsa_ieee_mode 1
		.amdhsa_fp16_overflow 0
		.amdhsa_tg_split 0
		.amdhsa_exception_fp_ieee_invalid_op 0
		.amdhsa_exception_fp_denorm_src 0
		.amdhsa_exception_fp_ieee_div_zero 0
		.amdhsa_exception_fp_ieee_overflow 0
		.amdhsa_exception_fp_ieee_underflow 0
		.amdhsa_exception_fp_ieee_inexact 0
		.amdhsa_exception_int_div_zero 0
	.end_amdhsa_kernel
	.section	.text._ZN7rocprim17ROCPRIM_400000_NS6detail17trampoline_kernelINS0_14default_configENS1_20scan_config_selectorIfEEZZNS1_9scan_implILNS1_25lookback_scan_determinismE0ELb0ELb0ES3_N6thrust23THRUST_200600_302600_NS6detail15normal_iteratorINS9_10device_ptrIfEEEESE_fNS9_4plusIiEEfEEDaPvRmT3_T4_T5_mT6_P12ihipStream_tbENKUlT_T0_E_clISt17integral_constantIbLb1EEST_IbLb0EEEEDaSP_SQ_EUlSP_E_NS1_11comp_targetILNS1_3genE5ELNS1_11target_archE942ELNS1_3gpuE9ELNS1_3repE0EEENS1_30default_config_static_selectorELNS0_4arch9wavefront6targetE1EEEvT1_,"axG",@progbits,_ZN7rocprim17ROCPRIM_400000_NS6detail17trampoline_kernelINS0_14default_configENS1_20scan_config_selectorIfEEZZNS1_9scan_implILNS1_25lookback_scan_determinismE0ELb0ELb0ES3_N6thrust23THRUST_200600_302600_NS6detail15normal_iteratorINS9_10device_ptrIfEEEESE_fNS9_4plusIiEEfEEDaPvRmT3_T4_T5_mT6_P12ihipStream_tbENKUlT_T0_E_clISt17integral_constantIbLb1EEST_IbLb0EEEEDaSP_SQ_EUlSP_E_NS1_11comp_targetILNS1_3genE5ELNS1_11target_archE942ELNS1_3gpuE9ELNS1_3repE0EEENS1_30default_config_static_selectorELNS0_4arch9wavefront6targetE1EEEvT1_,comdat
.Lfunc_end1534:
	.size	_ZN7rocprim17ROCPRIM_400000_NS6detail17trampoline_kernelINS0_14default_configENS1_20scan_config_selectorIfEEZZNS1_9scan_implILNS1_25lookback_scan_determinismE0ELb0ELb0ES3_N6thrust23THRUST_200600_302600_NS6detail15normal_iteratorINS9_10device_ptrIfEEEESE_fNS9_4plusIiEEfEEDaPvRmT3_T4_T5_mT6_P12ihipStream_tbENKUlT_T0_E_clISt17integral_constantIbLb1EEST_IbLb0EEEEDaSP_SQ_EUlSP_E_NS1_11comp_targetILNS1_3genE5ELNS1_11target_archE942ELNS1_3gpuE9ELNS1_3repE0EEENS1_30default_config_static_selectorELNS0_4arch9wavefront6targetE1EEEvT1_, .Lfunc_end1534-_ZN7rocprim17ROCPRIM_400000_NS6detail17trampoline_kernelINS0_14default_configENS1_20scan_config_selectorIfEEZZNS1_9scan_implILNS1_25lookback_scan_determinismE0ELb0ELb0ES3_N6thrust23THRUST_200600_302600_NS6detail15normal_iteratorINS9_10device_ptrIfEEEESE_fNS9_4plusIiEEfEEDaPvRmT3_T4_T5_mT6_P12ihipStream_tbENKUlT_T0_E_clISt17integral_constantIbLb1EEST_IbLb0EEEEDaSP_SQ_EUlSP_E_NS1_11comp_targetILNS1_3genE5ELNS1_11target_archE942ELNS1_3gpuE9ELNS1_3repE0EEENS1_30default_config_static_selectorELNS0_4arch9wavefront6targetE1EEEvT1_
                                        ; -- End function
	.section	.AMDGPU.csdata,"",@progbits
; Kernel info:
; codeLenInByte = 0
; NumSgprs: 4
; NumVgprs: 0
; NumAgprs: 0
; TotalNumVgprs: 0
; ScratchSize: 0
; MemoryBound: 0
; FloatMode: 240
; IeeeMode: 1
; LDSByteSize: 0 bytes/workgroup (compile time only)
; SGPRBlocks: 0
; VGPRBlocks: 0
; NumSGPRsForWavesPerEU: 4
; NumVGPRsForWavesPerEU: 1
; AccumOffset: 4
; Occupancy: 8
; WaveLimiterHint : 0
; COMPUTE_PGM_RSRC2:SCRATCH_EN: 0
; COMPUTE_PGM_RSRC2:USER_SGPR: 6
; COMPUTE_PGM_RSRC2:TRAP_HANDLER: 0
; COMPUTE_PGM_RSRC2:TGID_X_EN: 1
; COMPUTE_PGM_RSRC2:TGID_Y_EN: 0
; COMPUTE_PGM_RSRC2:TGID_Z_EN: 0
; COMPUTE_PGM_RSRC2:TIDIG_COMP_CNT: 0
; COMPUTE_PGM_RSRC3_GFX90A:ACCUM_OFFSET: 0
; COMPUTE_PGM_RSRC3_GFX90A:TG_SPLIT: 0
	.section	.text._ZN7rocprim17ROCPRIM_400000_NS6detail17trampoline_kernelINS0_14default_configENS1_20scan_config_selectorIfEEZZNS1_9scan_implILNS1_25lookback_scan_determinismE0ELb0ELb0ES3_N6thrust23THRUST_200600_302600_NS6detail15normal_iteratorINS9_10device_ptrIfEEEESE_fNS9_4plusIiEEfEEDaPvRmT3_T4_T5_mT6_P12ihipStream_tbENKUlT_T0_E_clISt17integral_constantIbLb1EEST_IbLb0EEEEDaSP_SQ_EUlSP_E_NS1_11comp_targetILNS1_3genE4ELNS1_11target_archE910ELNS1_3gpuE8ELNS1_3repE0EEENS1_30default_config_static_selectorELNS0_4arch9wavefront6targetE1EEEvT1_,"axG",@progbits,_ZN7rocprim17ROCPRIM_400000_NS6detail17trampoline_kernelINS0_14default_configENS1_20scan_config_selectorIfEEZZNS1_9scan_implILNS1_25lookback_scan_determinismE0ELb0ELb0ES3_N6thrust23THRUST_200600_302600_NS6detail15normal_iteratorINS9_10device_ptrIfEEEESE_fNS9_4plusIiEEfEEDaPvRmT3_T4_T5_mT6_P12ihipStream_tbENKUlT_T0_E_clISt17integral_constantIbLb1EEST_IbLb0EEEEDaSP_SQ_EUlSP_E_NS1_11comp_targetILNS1_3genE4ELNS1_11target_archE910ELNS1_3gpuE8ELNS1_3repE0EEENS1_30default_config_static_selectorELNS0_4arch9wavefront6targetE1EEEvT1_,comdat
	.protected	_ZN7rocprim17ROCPRIM_400000_NS6detail17trampoline_kernelINS0_14default_configENS1_20scan_config_selectorIfEEZZNS1_9scan_implILNS1_25lookback_scan_determinismE0ELb0ELb0ES3_N6thrust23THRUST_200600_302600_NS6detail15normal_iteratorINS9_10device_ptrIfEEEESE_fNS9_4plusIiEEfEEDaPvRmT3_T4_T5_mT6_P12ihipStream_tbENKUlT_T0_E_clISt17integral_constantIbLb1EEST_IbLb0EEEEDaSP_SQ_EUlSP_E_NS1_11comp_targetILNS1_3genE4ELNS1_11target_archE910ELNS1_3gpuE8ELNS1_3repE0EEENS1_30default_config_static_selectorELNS0_4arch9wavefront6targetE1EEEvT1_ ; -- Begin function _ZN7rocprim17ROCPRIM_400000_NS6detail17trampoline_kernelINS0_14default_configENS1_20scan_config_selectorIfEEZZNS1_9scan_implILNS1_25lookback_scan_determinismE0ELb0ELb0ES3_N6thrust23THRUST_200600_302600_NS6detail15normal_iteratorINS9_10device_ptrIfEEEESE_fNS9_4plusIiEEfEEDaPvRmT3_T4_T5_mT6_P12ihipStream_tbENKUlT_T0_E_clISt17integral_constantIbLb1EEST_IbLb0EEEEDaSP_SQ_EUlSP_E_NS1_11comp_targetILNS1_3genE4ELNS1_11target_archE910ELNS1_3gpuE8ELNS1_3repE0EEENS1_30default_config_static_selectorELNS0_4arch9wavefront6targetE1EEEvT1_
	.globl	_ZN7rocprim17ROCPRIM_400000_NS6detail17trampoline_kernelINS0_14default_configENS1_20scan_config_selectorIfEEZZNS1_9scan_implILNS1_25lookback_scan_determinismE0ELb0ELb0ES3_N6thrust23THRUST_200600_302600_NS6detail15normal_iteratorINS9_10device_ptrIfEEEESE_fNS9_4plusIiEEfEEDaPvRmT3_T4_T5_mT6_P12ihipStream_tbENKUlT_T0_E_clISt17integral_constantIbLb1EEST_IbLb0EEEEDaSP_SQ_EUlSP_E_NS1_11comp_targetILNS1_3genE4ELNS1_11target_archE910ELNS1_3gpuE8ELNS1_3repE0EEENS1_30default_config_static_selectorELNS0_4arch9wavefront6targetE1EEEvT1_
	.p2align	8
	.type	_ZN7rocprim17ROCPRIM_400000_NS6detail17trampoline_kernelINS0_14default_configENS1_20scan_config_selectorIfEEZZNS1_9scan_implILNS1_25lookback_scan_determinismE0ELb0ELb0ES3_N6thrust23THRUST_200600_302600_NS6detail15normal_iteratorINS9_10device_ptrIfEEEESE_fNS9_4plusIiEEfEEDaPvRmT3_T4_T5_mT6_P12ihipStream_tbENKUlT_T0_E_clISt17integral_constantIbLb1EEST_IbLb0EEEEDaSP_SQ_EUlSP_E_NS1_11comp_targetILNS1_3genE4ELNS1_11target_archE910ELNS1_3gpuE8ELNS1_3repE0EEENS1_30default_config_static_selectorELNS0_4arch9wavefront6targetE1EEEvT1_,@function
_ZN7rocprim17ROCPRIM_400000_NS6detail17trampoline_kernelINS0_14default_configENS1_20scan_config_selectorIfEEZZNS1_9scan_implILNS1_25lookback_scan_determinismE0ELb0ELb0ES3_N6thrust23THRUST_200600_302600_NS6detail15normal_iteratorINS9_10device_ptrIfEEEESE_fNS9_4plusIiEEfEEDaPvRmT3_T4_T5_mT6_P12ihipStream_tbENKUlT_T0_E_clISt17integral_constantIbLb1EEST_IbLb0EEEEDaSP_SQ_EUlSP_E_NS1_11comp_targetILNS1_3genE4ELNS1_11target_archE910ELNS1_3gpuE8ELNS1_3repE0EEENS1_30default_config_static_selectorELNS0_4arch9wavefront6targetE1EEEvT1_: ; @_ZN7rocprim17ROCPRIM_400000_NS6detail17trampoline_kernelINS0_14default_configENS1_20scan_config_selectorIfEEZZNS1_9scan_implILNS1_25lookback_scan_determinismE0ELb0ELb0ES3_N6thrust23THRUST_200600_302600_NS6detail15normal_iteratorINS9_10device_ptrIfEEEESE_fNS9_4plusIiEEfEEDaPvRmT3_T4_T5_mT6_P12ihipStream_tbENKUlT_T0_E_clISt17integral_constantIbLb1EEST_IbLb0EEEEDaSP_SQ_EUlSP_E_NS1_11comp_targetILNS1_3genE4ELNS1_11target_archE910ELNS1_3gpuE8ELNS1_3repE0EEENS1_30default_config_static_selectorELNS0_4arch9wavefront6targetE1EEEvT1_
; %bb.0:
	s_load_dwordx8 s[12:19], s[4:5], 0x0
	s_load_dword s1, s[4:5], 0x30
	s_mul_i32 s0, s6, 0x700
	v_lshlrev_b32_e32 v32, 2, v0
	s_waitcnt lgkmcnt(0)
	s_lshl_b64 s[14:15], s[14:15], 2
	s_add_u32 s2, s12, s14
	s_addc_u32 s3, s13, s15
	s_add_i32 s7, s1, -1
	s_mul_i32 s8, s7, 0x700
	s_sub_u32 s26, s18, s8
	s_subb_u32 s27, s19, 0
	s_mov_b32 s1, 0
	s_cmp_lg_u32 s6, s7
	s_cselect_b64 s[18:19], -1, 0
	s_lshl_b64 s[20:21], s[0:1], 2
	s_add_u32 s2, s2, s20
	s_addc_u32 s3, s3, s21
	s_mov_b64 s[0:1], -1
	s_and_b64 vcc, exec, s[18:19]
	s_cbranch_vccz .LBB1535_2
; %bb.1:
	v_mov_b32_e32 v1, s3
	v_add_co_u32_e32 v2, vcc, s2, v32
	v_addc_co_u32_e32 v3, vcc, 0, v1, vcc
	flat_load_dword v1, v[2:3]
	flat_load_dword v4, v[2:3] offset:512
	flat_load_dword v5, v[2:3] offset:1024
	;; [unrolled: 1-line block ×7, first 2 shown]
	v_add_co_u32_e32 v2, vcc, 0x1000, v2
	v_addc_co_u32_e32 v3, vcc, 0, v3, vcc
	flat_load_dword v11, v[2:3]
	flat_load_dword v12, v[2:3] offset:512
	flat_load_dword v13, v[2:3] offset:1024
	;; [unrolled: 1-line block ×5, first 2 shown]
	s_mov_b64 s[0:1], 0
	s_waitcnt vmcnt(0) lgkmcnt(0)
	ds_write2st64_b32 v32, v1, v4 offset1:2
	ds_write2st64_b32 v32, v5, v6 offset0:4 offset1:6
	ds_write2st64_b32 v32, v7, v8 offset0:8 offset1:10
	;; [unrolled: 1-line block ×6, first 2 shown]
	s_waitcnt lgkmcnt(0)
	s_barrier
.LBB1535_2:
	s_load_dwordx2 s[22:23], s[4:5], 0x28
	s_andn2_b64 vcc, exec, s[0:1]
	v_cmp_gt_u32_e64 s[0:1], s26, v0
	s_cbranch_vccnz .LBB1535_32
; %bb.3:
	v_pk_mov_b32 v[2:3], s[2:3], s[2:3] op_sel:[0,1]
	flat_load_dword v1, v[2:3]
	s_waitcnt vmcnt(0) lgkmcnt(0)
	v_mov_b32_e32 v2, v1
	v_mov_b32_e32 v3, v1
	;; [unrolled: 1-line block ×12, first 2 shown]
	v_pk_mov_b32 v[16:17], v[14:15], v[14:15] op_sel:[0,1]
	v_pk_mov_b32 v[14:15], v[12:13], v[12:13] op_sel:[0,1]
	;; [unrolled: 1-line block ×8, first 2 shown]
	s_and_saveexec_b64 s[8:9], s[0:1]
	s_cbranch_execz .LBB1535_5
; %bb.4:
	v_mov_b32_e32 v3, s3
	v_add_co_u32_e32 v2, vcc, s2, v32
	v_addc_co_u32_e32 v3, vcc, 0, v3, vcc
	flat_load_dword v18, v[2:3]
	v_mov_b32_e32 v2, v1
	v_mov_b32_e32 v3, v1
	;; [unrolled: 1-line block ×12, first 2 shown]
	v_pk_mov_b32 v[16:17], v[14:15], v[14:15] op_sel:[0,1]
	v_pk_mov_b32 v[14:15], v[12:13], v[12:13] op_sel:[0,1]
	;; [unrolled: 1-line block ×8, first 2 shown]
	s_waitcnt vmcnt(0) lgkmcnt(0)
	v_mov_b32_e32 v1, v18
.LBB1535_5:
	s_or_b64 exec, exec, s[8:9]
	v_or_b32_e32 v2, 0x80, v0
	v_cmp_gt_u32_e32 vcc, s26, v2
	s_and_saveexec_b64 s[0:1], vcc
	s_cbranch_execz .LBB1535_7
; %bb.6:
	v_mov_b32_e32 v3, s3
	v_add_co_u32_e32 v2, vcc, s2, v32
	v_addc_co_u32_e32 v3, vcc, 0, v3, vcc
	flat_load_dword v3, v[2:3] offset:512
.LBB1535_7:
	s_or_b64 exec, exec, s[0:1]
	v_or_b32_e32 v2, 0x100, v0
	v_cmp_gt_u32_e32 vcc, s26, v2
	s_and_saveexec_b64 s[0:1], vcc
	s_cbranch_execz .LBB1535_9
; %bb.8:
	v_mov_b32_e32 v2, s3
	v_add_co_u32_e32 v16, vcc, s2, v32
	v_addc_co_u32_e32 v17, vcc, 0, v2, vcc
	flat_load_dword v4, v[16:17] offset:1024
.LBB1535_9:
	;; [unrolled: 11-line block ×7, first 2 shown]
	s_or_b64 exec, exec, s[0:1]
	v_or_b32_e32 v2, 0x400, v0
	v_cmp_gt_u32_e32 vcc, s26, v2
	s_and_saveexec_b64 s[0:1], vcc
	s_cbranch_execz .LBB1535_21
; %bb.20:
	v_lshlrev_b32_e32 v2, 2, v2
	v_mov_b32_e32 v10, s3
	v_add_co_u32_e32 v16, vcc, s2, v2
	v_addc_co_u32_e32 v17, vcc, 0, v10, vcc
	flat_load_dword v10, v[16:17]
.LBB1535_21:
	s_or_b64 exec, exec, s[0:1]
	v_or_b32_e32 v2, 0x480, v0
	v_cmp_gt_u32_e32 vcc, s26, v2
	s_and_saveexec_b64 s[0:1], vcc
	s_cbranch_execz .LBB1535_23
; %bb.22:
	v_lshlrev_b32_e32 v2, 2, v2
	v_mov_b32_e32 v11, s3
	v_add_co_u32_e32 v16, vcc, s2, v2
	v_addc_co_u32_e32 v17, vcc, 0, v11, vcc
	flat_load_dword v11, v[16:17]
.LBB1535_23:
	;; [unrolled: 12-line block ×6, first 2 shown]
	s_or_b64 exec, exec, s[0:1]
	s_waitcnt vmcnt(0) lgkmcnt(0)
	ds_write2st64_b32 v32, v1, v3 offset1:2
	ds_write2st64_b32 v32, v4, v5 offset0:4 offset1:6
	ds_write2st64_b32 v32, v6, v7 offset0:8 offset1:10
	;; [unrolled: 1-line block ×6, first 2 shown]
	s_waitcnt lgkmcnt(0)
	s_barrier
.LBB1535_32:
	v_mul_u32_u24_e32 v33, 14, v0
	v_lshlrev_b32_e32 v1, 2, v33
	s_waitcnt lgkmcnt(0)
	ds_read2_b64 v[2:5], v1 offset1:1
	ds_read2_b64 v[26:29], v1 offset0:2 offset1:3
	ds_read2_b64 v[22:25], v1 offset0:4 offset1:5
	ds_read_b64 v[30:31], v1 offset:48
	s_cmp_lg_u32 s6, 0
	v_lshrrev_b32_e32 v34, 5, v0
	v_cmp_gt_u32_e32 vcc, 64, v0
	s_waitcnt lgkmcnt(0)
	s_barrier
	s_cbranch_scc0 .LBB1535_63
; %bb.33:
	v_cvt_i32_f32_e32 v20, v2
	v_cvt_i32_f32_e32 v16, v3
	;; [unrolled: 1-line block ×5, first 2 shown]
	v_add_u32_e32 v6, v16, v20
	v_cvt_f32_i32_e32 v6, v6
	v_cvt_i32_f32_e32 v21, v27
	v_cvt_i32_f32_e32 v35, v28
	v_cvt_i32_f32_e32 v36, v29
	v_cvt_i32_f32_e32 v6, v6
	v_cvt_i32_f32_e32 v37, v22
	v_cvt_i32_f32_e32 v38, v23
	v_cvt_i32_f32_e32 v39, v24
	v_add_u32_e32 v6, v6, v17
	v_cvt_f32_i32_e32 v6, v6
	v_cvt_i32_f32_e32 v40, v25
	v_cvt_i32_f32_e32 v41, v30
	;; [unrolled: 1-line block ×4, first 2 shown]
	v_add_u32_e32 v6, v6, v18
	v_cvt_f32_i32_e32 v6, v6
	v_cvt_i32_f32_e32 v6, v6
	v_add_u32_e32 v6, v6, v19
	v_cvt_f32_i32_e32 v6, v6
	v_cvt_i32_f32_e32 v6, v6
	;; [unrolled: 3-line block ×10, first 2 shown]
	v_add_u32_e32 v6, v6, v42
	v_cvt_f32_i32_e32 v43, v6
	v_add_lshl_u32 v6, v34, v0, 2
	ds_write_b32 v6, v43
	s_waitcnt lgkmcnt(0)
	s_barrier
	s_and_saveexec_b64 s[2:3], vcc
	s_cbranch_execz .LBB1535_37
; %bb.34:
	v_lshlrev_b32_e32 v6, 1, v0
	v_lshrrev_b32_e32 v7, 4, v0
	v_add_lshl_u32 v6, v7, v6, 2
	ds_read2_b32 v[8:9], v6 offset1:1
	v_mbcnt_lo_u32_b32 v11, -1, 0
	s_waitcnt lgkmcnt(0)
	v_cvt_i32_f32_e32 v7, v8
	v_cvt_i32_f32_e32 v8, v9
	v_add_u32_e32 v8, v8, v7
	v_cvt_f32_i32_e32 v8, v8
	v_cvt_i32_f32_e32 v10, v8
	s_nop 0
	v_mov_b32_dpp v9, v8 row_shr:1 row_mask:0xf bank_mask:0xf
	v_cvt_i32_f32_e32 v9, v9
	v_add_u32_e32 v9, v9, v10
	v_cvt_f32_i32_e32 v10, v9
	v_mbcnt_hi_u32_b32 v9, -1, v11
	v_and_b32_e32 v11, 15, v9
	v_cmp_eq_u32_e64 s[0:1], 0, v11
	v_cndmask_b32_e64 v10, v10, v8, s[0:1]
	v_cvt_i32_f32_e32 v13, v10
	v_cmp_lt_u32_e64 s[0:1], 1, v11
	v_mov_b32_dpp v12, v10 row_shr:2 row_mask:0xf bank_mask:0xf
	v_cvt_i32_f32_e32 v12, v12
	v_add_u32_e32 v12, v13, v12
	v_cvt_f32_i32_e32 v12, v12
	v_cndmask_b32_e64 v10, v10, v12, s[0:1]
	s_nop 1
	v_mov_b32_dpp v12, v10 row_shr:4 row_mask:0xf bank_mask:0xf
	v_cvt_i32_f32_e32 v13, v10
	v_cvt_i32_f32_e32 v12, v12
	v_cmp_lt_u32_e64 s[0:1], 3, v11
	v_add_u32_e32 v12, v13, v12
	v_cvt_f32_i32_e32 v12, v12
	v_cndmask_b32_e64 v10, v10, v12, s[0:1]
	s_nop 1
	v_mov_b32_dpp v12, v10 row_shr:8 row_mask:0xf bank_mask:0xf
	v_cvt_i32_f32_e32 v13, v10
	v_cvt_i32_f32_e32 v12, v12
	v_cmp_lt_u32_e64 s[0:1], 7, v11
	v_add_u32_e32 v12, v13, v12
	v_cvt_f32_i32_e32 v12, v12
	v_cndmask_b32_e64 v10, v10, v12, s[0:1]
	s_nop 1
	v_mov_b32_dpp v11, v10 row_bcast:15 row_mask:0xf bank_mask:0xf
	v_cvt_i32_f32_e32 v12, v10
	v_cvt_i32_f32_e32 v11, v11
	v_add_u32_e32 v11, v12, v11
	v_cvt_f32_i32_e32 v11, v11
	v_and_b32_e32 v12, 16, v9
	v_cmp_eq_u32_e64 s[0:1], 0, v12
	v_cndmask_b32_e64 v10, v11, v10, s[0:1]
	v_cmp_ne_u32_e64 s[0:1], 0, v9
	s_nop 0
	v_mov_b32_dpp v11, v10 row_bcast:31 row_mask:0xf bank_mask:0xf
	s_and_saveexec_b64 s[8:9], s[0:1]
; %bb.35:
	v_cvt_i32_f32_e32 v8, v10
	v_cvt_i32_f32_e32 v11, v11
	v_cmp_lt_u32_e64 s[0:1], 31, v9
	v_add_u32_e32 v8, v8, v11
	v_cvt_f32_i32_e32 v8, v8
	v_cndmask_b32_e64 v8, v10, v8, s[0:1]
; %bb.36:
	s_or_b64 exec, exec, s[8:9]
	v_add_u32_e32 v10, -1, v9
	v_and_b32_e32 v11, 64, v9
	v_cmp_lt_i32_e64 s[0:1], v10, v11
	v_cndmask_b32_e64 v9, v10, v9, s[0:1]
	v_lshlrev_b32_e32 v9, 2, v9
	ds_bpermute_b32 v8, v9, v8
	v_cmp_eq_u32_e64 s[0:1], 0, v0
	; wave barrier
	s_waitcnt lgkmcnt(0)
	v_cvt_i32_f32_e32 v8, v8
	v_add_u32_e32 v7, v7, v8
	v_cvt_f32_i32_e32 v7, v7
	v_cndmask_b32_e64 v7, v7, v43, s[0:1]
	ds_write_b32 v6, v7
	; wave barrier
	ds_read_b32 v8, v6 offset:4
	v_cvt_i32_f32_e32 v7, v7
	s_waitcnt lgkmcnt(0)
	v_cvt_i32_f32_e32 v8, v8
	v_add_u32_e32 v7, v8, v7
	v_cvt_f32_i32_e32 v7, v7
	ds_write_b32 v6, v7 offset:4
.LBB1535_37:
	s_or_b64 exec, exec, s[2:3]
	v_cmp_eq_u32_e64 s[0:1], 0, v0
	v_cmp_ne_u32_e64 s[2:3], 0, v0
	s_waitcnt lgkmcnt(0)
	s_barrier
	s_and_saveexec_b64 s[8:9], s[2:3]
	s_cbranch_execz .LBB1535_39
; %bb.38:
	v_add_u32_e32 v6, -1, v0
	v_lshrrev_b32_e32 v7, 5, v6
	v_add_lshl_u32 v6, v7, v6, 2
	ds_read_b32 v43, v6
.LBB1535_39:
	s_or_b64 exec, exec, s[8:9]
	s_and_saveexec_b64 s[24:25], vcc
	s_cbranch_execz .LBB1535_62
; %bb.40:
	v_mov_b32_e32 v15, 0
	ds_read_b32 v6, v15 offset:520
	v_mbcnt_lo_u32_b32 v7, -1, 0
	v_mbcnt_hi_u32_b32 v9, -1, v7
	s_mov_b32 s11, 0
	v_cmp_eq_u32_e64 s[2:3], 0, v9
	s_and_saveexec_b64 s[8:9], s[2:3]
	s_cbranch_execz .LBB1535_42
; %bb.41:
	s_add_i32 s10, s6, 64
	s_lshl_b64 s[10:11], s[10:11], 3
	s_add_u32 s10, s22, s10
	v_mov_b32_e32 v7, 1
	s_addc_u32 s11, s23, s11
	s_waitcnt lgkmcnt(0)
	global_store_dwordx2 v15, v[6:7], s[10:11]
.LBB1535_42:
	s_or_b64 exec, exec, s[8:9]
	v_xad_u32 v8, v9, -1, s6
	v_add_u32_e32 v14, 64, v8
	v_lshlrev_b64 v[10:11], 3, v[14:15]
	v_mov_b32_e32 v7, s23
	v_add_co_u32_e32 v12, vcc, s22, v10
	v_addc_co_u32_e32 v13, vcc, v7, v11, vcc
	global_load_dwordx2 v[10:11], v[12:13], off glc
	s_waitcnt vmcnt(0)
	v_cmp_eq_u16_sdwa s[10:11], v11, v15 src0_sel:BYTE_0 src1_sel:DWORD
	s_and_saveexec_b64 s[8:9], s[10:11]
	s_cbranch_execz .LBB1535_48
; %bb.43:
	s_mov_b32 s7, 1
	s_mov_b64 s[10:11], 0
	v_mov_b32_e32 v7, 0
.LBB1535_44:                            ; =>This Loop Header: Depth=1
                                        ;     Child Loop BB1535_45 Depth 2
	s_max_u32 s12, s7, 1
.LBB1535_45:                            ;   Parent Loop BB1535_44 Depth=1
                                        ; =>  This Inner Loop Header: Depth=2
	s_add_i32 s12, s12, -1
	s_cmp_eq_u32 s12, 0
	s_sleep 1
	s_cbranch_scc0 .LBB1535_45
; %bb.46:                               ;   in Loop: Header=BB1535_44 Depth=1
	global_load_dwordx2 v[10:11], v[12:13], off glc
	s_cmp_lt_u32 s7, 32
	s_cselect_b64 s[12:13], -1, 0
	s_cmp_lg_u64 s[12:13], 0
	s_addc_u32 s7, s7, 0
	s_waitcnt vmcnt(0)
	v_cmp_ne_u16_sdwa s[12:13], v11, v7 src0_sel:BYTE_0 src1_sel:DWORD
	s_or_b64 s[10:11], s[12:13], s[10:11]
	s_andn2_b64 exec, exec, s[10:11]
	s_cbranch_execnz .LBB1535_44
; %bb.47:
	s_or_b64 exec, exec, s[10:11]
.LBB1535_48:
	s_or_b64 exec, exec, s[8:9]
	v_and_b32_e32 v44, 63, v9
	v_cmp_ne_u32_e32 vcc, 63, v44
	v_addc_co_u32_e32 v12, vcc, 0, v9, vcc
	v_lshlrev_b32_e32 v45, 2, v12
	ds_bpermute_b32 v14, v45, v10
	v_cvt_i32_f32_e32 v47, v10
	v_mov_b32_e32 v7, 2
	v_cmp_eq_u16_sdwa s[8:9], v11, v7 src0_sel:BYTE_0 src1_sel:DWORD
	v_lshlrev_b64 v[12:13], v9, -1
	s_waitcnt lgkmcnt(0)
	v_cvt_i32_f32_e32 v14, v14
	v_and_b32_e32 v15, s9, v13
	v_or_b32_e32 v15, 0x80000000, v15
	v_and_b32_e32 v46, s8, v12
	v_add_u32_e32 v14, v14, v47
	v_ffbl_b32_e32 v15, v15
	v_cvt_f32_i32_e32 v14, v14
	v_add_u32_e32 v15, 32, v15
	v_ffbl_b32_e32 v46, v46
	v_cmp_gt_u32_e64 s[8:9], 62, v44
	v_min_u32_e32 v15, v46, v15
	v_cndmask_b32_e64 v46, 0, 1, s[8:9]
	v_cmp_lt_u32_e32 vcc, v44, v15
	v_lshlrev_b32_e32 v46, 1, v46
	v_cndmask_b32_e32 v14, v10, v14, vcc
	v_add_lshl_u32 v46, v46, v9, 2
	ds_bpermute_b32 v47, v46, v14
	v_cvt_i32_f32_e32 v48, v14
	v_cmp_gt_u32_e64 s[10:11], 48, v44
	v_cndmask_b32_e64 v56, 0, 1, s[10:11]
	v_cmp_gt_u32_e64 s[12:13], 32, v44
	s_waitcnt lgkmcnt(0)
	v_cvt_i32_f32_e32 v47, v47
	v_cndmask_b32_e64 v59, 0, 1, s[12:13]
	v_add_u32_e32 v47, v48, v47
	v_cvt_f32_i32_e32 v48, v47
	v_add_u32_e32 v47, 2, v44
	v_cmp_gt_u32_e64 s[8:9], v47, v15
	v_cndmask_b32_e64 v14, v48, v14, s[8:9]
	v_cmp_gt_u32_e64 s[8:9], 60, v44
	v_cndmask_b32_e64 v48, 0, 1, s[8:9]
	v_lshlrev_b32_e32 v48, 2, v48
	v_add_lshl_u32 v48, v48, v9, 2
	ds_bpermute_b32 v49, v48, v14
	v_cvt_i32_f32_e32 v50, v14
	v_cmp_gt_u32_e64 s[8:9], 56, v44
	v_cndmask_b32_e32 v10, v10, v14, vcc
	s_waitcnt lgkmcnt(0)
	v_cvt_i32_f32_e32 v51, v49
	v_add_u32_e32 v49, 4, v44
	v_add_u32_e32 v50, v50, v51
	v_cvt_f32_i32_e32 v54, v50
	v_cndmask_b32_e64 v50, 0, 1, s[8:9]
	v_cmp_gt_u32_e64 s[8:9], v49, v15
	v_lshlrev_b32_e32 v50, 3, v50
	v_cndmask_b32_e64 v53, v54, v14, s[8:9]
	v_add_lshl_u32 v50, v50, v9, 2
	ds_bpermute_b32 v51, v50, v53
	v_cvt_i32_f32_e32 v52, v53
	v_cndmask_b32_e64 v10, v54, v10, s[8:9]
	s_waitcnt lgkmcnt(0)
	v_cvt_i32_f32_e32 v55, v51
	v_add_u32_e32 v51, 8, v44
	v_cmp_gt_u32_e64 s[10:11], v51, v15
	v_add_u32_e32 v52, v52, v55
	v_cvt_f32_i32_e32 v57, v52
	v_lshlrev_b32_e32 v52, 4, v56
	v_add_lshl_u32 v52, v52, v9, 2
	v_cndmask_b32_e64 v56, v57, v53, s[10:11]
	ds_bpermute_b32 v53, v52, v56
	v_cvt_i32_f32_e32 v55, v56
	v_cndmask_b32_e64 v10, v57, v10, s[10:11]
	s_waitcnt lgkmcnt(0)
	v_cvt_i32_f32_e32 v58, v53
	v_add_u32_e32 v53, 16, v44
	v_cmp_gt_u32_e64 s[12:13], v53, v15
	v_add_u32_e32 v55, v55, v58
	v_cvt_f32_i32_e32 v58, v55
	v_lshlrev_b32_e32 v55, 5, v59
	v_add_lshl_u32 v55, v55, v9, 2
	v_cndmask_b32_e64 v9, v58, v56, s[12:13]
	ds_bpermute_b32 v56, v55, v9
	v_cvt_i32_f32_e32 v9, v9
	v_cndmask_b32_e64 v10, v58, v10, s[12:13]
	s_waitcnt lgkmcnt(0)
	v_cvt_i32_f32_e32 v59, v56
	v_add_u32_e32 v56, 32, v44
	v_cmp_gt_u32_e32 vcc, v56, v15
	v_add_u32_e32 v9, v9, v59
	v_cvt_f32_i32_e32 v9, v9
	v_cndmask_b32_e32 v10, v9, v10, vcc
	v_mov_b32_e32 v9, 0
	s_branch .LBB1535_50
.LBB1535_49:                            ;   in Loop: Header=BB1535_50 Depth=1
	s_or_b64 exec, exec, s[8:9]
	ds_bpermute_b32 v14, v45, v10
	v_cvt_i32_f32_e32 v15, v10
	v_cmp_eq_u16_sdwa s[8:9], v11, v7 src0_sel:BYTE_0 src1_sel:DWORD
	v_and_b32_e32 v57, s9, v13
	v_or_b32_e32 v57, 0x80000000, v57
	s_waitcnt lgkmcnt(0)
	v_cvt_i32_f32_e32 v14, v14
	v_and_b32_e32 v58, s8, v12
	v_ffbl_b32_e32 v57, v57
	v_ffbl_b32_e32 v58, v58
	v_add_u32_e32 v14, v14, v15
	v_cvt_f32_i32_e32 v14, v14
	v_add_u32_e32 v15, 32, v57
	v_min_u32_e32 v15, v58, v15
	v_cmp_lt_u32_e32 vcc, v44, v15
	v_cndmask_b32_e32 v14, v10, v14, vcc
	ds_bpermute_b32 v57, v46, v14
	v_cvt_i32_f32_e32 v58, v14
	v_cmp_gt_u32_e64 s[8:9], v47, v15
	v_cmp_gt_u32_e64 s[10:11], v51, v15
	;; [unrolled: 1-line block ×3, first 2 shown]
	s_waitcnt lgkmcnt(0)
	v_cvt_i32_f32_e32 v57, v57
	v_subrev_u32_e32 v8, 64, v8
	v_add_u32_e32 v57, v58, v57
	v_cvt_f32_i32_e32 v57, v57
	v_cndmask_b32_e64 v14, v57, v14, s[8:9]
	ds_bpermute_b32 v57, v48, v14
	v_cvt_i32_f32_e32 v58, v14
	v_cmp_gt_u32_e64 s[8:9], v49, v15
	v_cndmask_b32_e32 v10, v10, v14, vcc
	v_cmp_gt_u32_e32 vcc, v56, v15
	s_waitcnt lgkmcnt(0)
	v_cvt_i32_f32_e32 v57, v57
	v_add_u32_e32 v57, v58, v57
	v_cvt_f32_i32_e32 v57, v57
	v_cndmask_b32_e64 v58, v57, v14, s[8:9]
	ds_bpermute_b32 v59, v50, v58
	v_cvt_i32_f32_e32 v60, v58
	v_cndmask_b32_e64 v10, v57, v10, s[8:9]
	s_waitcnt lgkmcnt(0)
	v_cvt_i32_f32_e32 v59, v59
	v_add_u32_e32 v59, v60, v59
	v_cvt_f32_i32_e32 v59, v59
	v_cndmask_b32_e64 v58, v59, v58, s[10:11]
	ds_bpermute_b32 v60, v52, v58
	v_cvt_i32_f32_e32 v61, v58
	v_cndmask_b32_e64 v10, v59, v10, s[10:11]
	s_waitcnt lgkmcnt(0)
	v_cvt_i32_f32_e32 v60, v60
	v_add_u32_e32 v60, v61, v60
	v_cvt_f32_i32_e32 v60, v60
	v_cndmask_b32_e64 v58, v60, v58, s[12:13]
	ds_bpermute_b32 v61, v55, v58
	v_cvt_i32_f32_e32 v58, v58
	v_cndmask_b32_e64 v10, v60, v10, s[12:13]
	s_waitcnt lgkmcnt(0)
	v_cvt_i32_f32_e32 v61, v61
	v_add_u32_e32 v14, v58, v61
	v_cvt_f32_i32_e32 v14, v14
	v_cndmask_b32_e32 v10, v14, v10, vcc
	v_cvt_i32_f32_e32 v10, v10
	v_cvt_i32_f32_e32 v14, v54
	v_add_u32_e32 v10, v10, v14
	v_cvt_f32_i32_e32 v10, v10
.LBB1535_50:                            ; =>This Loop Header: Depth=1
                                        ;     Child Loop BB1535_53 Depth 2
                                        ;       Child Loop BB1535_54 Depth 3
	v_cmp_ne_u16_sdwa s[8:9], v11, v7 src0_sel:BYTE_0 src1_sel:DWORD
	v_cndmask_b32_e64 v11, 0, 1, s[8:9]
	;;#ASMSTART
	;;#ASMEND
	v_cmp_ne_u32_e32 vcc, 0, v11
	s_cmp_lg_u64 vcc, exec
	v_mov_b32_e32 v54, v10
	s_cbranch_scc1 .LBB1535_57
; %bb.51:                               ;   in Loop: Header=BB1535_50 Depth=1
	v_lshlrev_b64 v[10:11], 3, v[8:9]
	v_mov_b32_e32 v15, s23
	v_add_co_u32_e32 v14, vcc, s22, v10
	v_addc_co_u32_e32 v15, vcc, v15, v11, vcc
	global_load_dwordx2 v[10:11], v[14:15], off glc
	s_waitcnt vmcnt(0)
	v_cmp_eq_u16_sdwa s[10:11], v11, v9 src0_sel:BYTE_0 src1_sel:DWORD
	s_and_saveexec_b64 s[8:9], s[10:11]
	s_cbranch_execz .LBB1535_49
; %bb.52:                               ;   in Loop: Header=BB1535_50 Depth=1
	s_mov_b32 s7, 1
	s_mov_b64 s[10:11], 0
.LBB1535_53:                            ;   Parent Loop BB1535_50 Depth=1
                                        ; =>  This Loop Header: Depth=2
                                        ;       Child Loop BB1535_54 Depth 3
	s_max_u32 s12, s7, 1
.LBB1535_54:                            ;   Parent Loop BB1535_50 Depth=1
                                        ;     Parent Loop BB1535_53 Depth=2
                                        ; =>    This Inner Loop Header: Depth=3
	s_add_i32 s12, s12, -1
	s_cmp_eq_u32 s12, 0
	s_sleep 1
	s_cbranch_scc0 .LBB1535_54
; %bb.55:                               ;   in Loop: Header=BB1535_53 Depth=2
	global_load_dwordx2 v[10:11], v[14:15], off glc
	s_cmp_lt_u32 s7, 32
	s_cselect_b64 s[12:13], -1, 0
	s_cmp_lg_u64 s[12:13], 0
	s_addc_u32 s7, s7, 0
	s_waitcnt vmcnt(0)
	v_cmp_ne_u16_sdwa s[12:13], v11, v9 src0_sel:BYTE_0 src1_sel:DWORD
	s_or_b64 s[10:11], s[12:13], s[10:11]
	s_andn2_b64 exec, exec, s[10:11]
	s_cbranch_execnz .LBB1535_53
; %bb.56:                               ;   in Loop: Header=BB1535_50 Depth=1
	s_or_b64 exec, exec, s[10:11]
	s_branch .LBB1535_49
.LBB1535_57:                            ;   in Loop: Header=BB1535_50 Depth=1
                                        ; implicit-def: $vgpr10
                                        ; implicit-def: $vgpr11
	s_cbranch_execz .LBB1535_50
; %bb.58:
	s_and_saveexec_b64 s[8:9], s[2:3]
	s_cbranch_execz .LBB1535_60
; %bb.59:
	v_cvt_i32_f32_e32 v7, v54
	v_cvt_i32_f32_e32 v6, v6
	s_add_i32 s2, s6, 64
	s_mov_b32 s3, 0
	s_lshl_b64 s[2:3], s[2:3], 3
	v_add_u32_e32 v6, v7, v6
	v_cvt_f32_i32_e32 v6, v6
	s_add_u32 s2, s22, s2
	s_addc_u32 s3, s23, s3
	v_mov_b32_e32 v8, 0
	v_mov_b32_e32 v7, 2
	global_store_dwordx2 v8, v[6:7], s[2:3]
.LBB1535_60:
	s_or_b64 exec, exec, s[8:9]
	s_and_b64 exec, exec, s[0:1]
	s_cbranch_execz .LBB1535_62
; %bb.61:
	v_mov_b32_e32 v6, 0
	ds_write_b32 v6, v54
.LBB1535_62:
	s_or_b64 exec, exec, s[24:25]
	s_waitcnt lgkmcnt(0)
	v_cvt_i32_f32_e32 v6, v43
	v_mov_b32_e32 v7, 0
	s_barrier
	v_add_u32_e32 v6, v6, v20
	ds_read_b32 v7, v7
	v_cvt_f32_i32_e32 v6, v6
	s_waitcnt lgkmcnt(0)
	v_cvt_i32_f32_e32 v7, v7
	v_cndmask_b32_e64 v6, v6, v2, s[0:1]
	v_cvt_i32_f32_e32 v6, v6
	v_add_u32_e32 v6, v7, v6
	v_cvt_f32_i32_e32 v6, v6
	v_cvt_i32_f32_e32 v7, v6
	v_add_u32_e32 v7, v7, v16
	v_cvt_f32_i32_e32 v7, v7
	;; [unrolled: 3-line block ×14, first 2 shown]
	s_load_dwordx8 s[4:11], s[4:5], 0x38
	s_branch .LBB1535_77
.LBB1535_63:
                                        ; implicit-def: $vgpr6_vgpr7_vgpr8_vgpr9_vgpr10_vgpr11_vgpr12_vgpr13_vgpr14_vgpr15_vgpr16_vgpr17_vgpr18_vgpr19_vgpr20_vgpr21
	s_load_dwordx8 s[4:11], s[4:5], 0x38
	s_cbranch_execz .LBB1535_77
; %bb.64:
	s_waitcnt lgkmcnt(0)
	s_cmp_lg_u64 s[8:9], 0
	s_cselect_b64 s[2:3], -1, 0
	v_cmp_eq_u32_e64 s[0:1], 0, v0
	v_cmp_ne_u32_e32 vcc, 0, v0
	s_and_b64 s[8:9], s[0:1], s[2:3]
	s_and_saveexec_b64 s[2:3], s[8:9]
	s_cbranch_execz .LBB1535_66
; %bb.65:
	v_mov_b32_e32 v6, 0
	global_load_dword v6, v6, s[4:5]
	v_cvt_i32_f32_e32 v2, v2
	s_waitcnt vmcnt(0)
	v_cvt_i32_f32_e32 v6, v6
	v_add_u32_e32 v2, v6, v2
	v_cvt_f32_i32_e32 v2, v2
.LBB1535_66:
	s_or_b64 exec, exec, s[2:3]
	v_cvt_i32_f32_e32 v18, v2
	v_cvt_i32_f32_e32 v16, v3
	;; [unrolled: 1-line block ×5, first 2 shown]
	v_add_u32_e32 v3, v16, v18
	v_cvt_f32_i32_e32 v3, v3
	v_cvt_i32_f32_e32 v21, v27
	v_cvt_i32_f32_e32 v26, v28
	;; [unrolled: 1-line block ×7, first 2 shown]
	v_add_u32_e32 v4, v4, v17
	v_cvt_f32_i32_e32 v4, v4
	v_cvt_i32_f32_e32 v25, v25
	v_cvt_i32_f32_e32 v28, v30
	;; [unrolled: 1-line block ×4, first 2 shown]
	v_add_lshl_u32 v30, v34, v0, 2
	v_cmp_gt_u32_e64 s[2:3], 64, v0
	v_add_u32_e32 v5, v5, v19
	v_cvt_f32_i32_e32 v5, v5
	v_cvt_i32_f32_e32 v6, v5
	v_add_u32_e32 v6, v6, v20
	v_cvt_f32_i32_e32 v6, v6
	v_cvt_i32_f32_e32 v7, v6
	;; [unrolled: 3-line block ×10, first 2 shown]
	v_add_u32_e32 v15, v15, v29
	v_cvt_f32_i32_e32 v15, v15
	ds_write_b32 v30, v15
	s_waitcnt lgkmcnt(0)
	s_barrier
	s_and_saveexec_b64 s[4:5], s[2:3]
	s_cbranch_execz .LBB1535_70
; %bb.67:
	v_lshlrev_b32_e32 v30, 1, v0
	v_lshrrev_b32_e32 v31, 4, v0
	v_add_lshl_u32 v30, v31, v30, 2
	ds_read2_b32 v[34:35], v30 offset1:1
	v_mbcnt_lo_u32_b32 v37, -1, 0
	s_waitcnt lgkmcnt(0)
	v_cvt_i32_f32_e32 v31, v34
	v_cvt_i32_f32_e32 v34, v35
	v_add_u32_e32 v34, v34, v31
	v_cvt_f32_i32_e32 v34, v34
	v_cvt_i32_f32_e32 v36, v34
	s_nop 0
	v_mov_b32_dpp v35, v34 row_shr:1 row_mask:0xf bank_mask:0xf
	v_cvt_i32_f32_e32 v35, v35
	v_add_u32_e32 v35, v35, v36
	v_cvt_f32_i32_e32 v36, v35
	v_mbcnt_hi_u32_b32 v35, -1, v37
	v_and_b32_e32 v37, 15, v35
	v_cmp_eq_u32_e64 s[2:3], 0, v37
	v_cndmask_b32_e64 v36, v36, v34, s[2:3]
	v_cvt_i32_f32_e32 v39, v36
	v_cmp_lt_u32_e64 s[2:3], 1, v37
	v_mov_b32_dpp v38, v36 row_shr:2 row_mask:0xf bank_mask:0xf
	v_cvt_i32_f32_e32 v38, v38
	v_add_u32_e32 v38, v39, v38
	v_cvt_f32_i32_e32 v38, v38
	v_cndmask_b32_e64 v36, v36, v38, s[2:3]
	s_nop 1
	v_mov_b32_dpp v38, v36 row_shr:4 row_mask:0xf bank_mask:0xf
	v_cvt_i32_f32_e32 v39, v36
	v_cvt_i32_f32_e32 v38, v38
	v_cmp_lt_u32_e64 s[2:3], 3, v37
	v_add_u32_e32 v38, v39, v38
	v_cvt_f32_i32_e32 v38, v38
	v_cndmask_b32_e64 v36, v36, v38, s[2:3]
	s_nop 1
	v_mov_b32_dpp v38, v36 row_shr:8 row_mask:0xf bank_mask:0xf
	v_cvt_i32_f32_e32 v39, v36
	v_cvt_i32_f32_e32 v38, v38
	v_cmp_lt_u32_e64 s[2:3], 7, v37
	v_add_u32_e32 v38, v39, v38
	v_cvt_f32_i32_e32 v38, v38
	v_cndmask_b32_e64 v36, v36, v38, s[2:3]
	s_nop 1
	v_mov_b32_dpp v37, v36 row_bcast:15 row_mask:0xf bank_mask:0xf
	v_cvt_i32_f32_e32 v38, v36
	v_cvt_i32_f32_e32 v37, v37
	v_add_u32_e32 v37, v38, v37
	v_cvt_f32_i32_e32 v37, v37
	v_and_b32_e32 v38, 16, v35
	v_cmp_eq_u32_e64 s[2:3], 0, v38
	v_cndmask_b32_e64 v36, v37, v36, s[2:3]
	v_cmp_ne_u32_e64 s[2:3], 0, v35
	s_nop 0
	v_mov_b32_dpp v37, v36 row_bcast:31 row_mask:0xf bank_mask:0xf
	s_and_saveexec_b64 s[8:9], s[2:3]
; %bb.68:
	v_cvt_i32_f32_e32 v34, v36
	v_cvt_i32_f32_e32 v37, v37
	v_cmp_lt_u32_e64 s[2:3], 31, v35
	v_add_u32_e32 v34, v34, v37
	v_cvt_f32_i32_e32 v34, v34
	v_cndmask_b32_e64 v34, v36, v34, s[2:3]
; %bb.69:
	s_or_b64 exec, exec, s[8:9]
	v_add_u32_e32 v36, -1, v35
	v_and_b32_e32 v37, 64, v35
	v_cmp_lt_i32_e64 s[2:3], v36, v37
	v_cndmask_b32_e64 v35, v36, v35, s[2:3]
	v_lshlrev_b32_e32 v35, 2, v35
	ds_bpermute_b32 v34, v35, v34
	; wave barrier
	s_waitcnt lgkmcnt(0)
	v_cvt_i32_f32_e32 v34, v34
	v_add_u32_e32 v31, v31, v34
	v_cvt_f32_i32_e32 v31, v31
	v_cndmask_b32_e64 v31, v31, v15, s[0:1]
	ds_write_b32 v30, v31
	; wave barrier
	ds_read_b32 v34, v30 offset:4
	v_cvt_i32_f32_e32 v31, v31
	s_waitcnt lgkmcnt(0)
	v_cvt_i32_f32_e32 v34, v34
	v_add_u32_e32 v31, v34, v31
	v_cvt_f32_i32_e32 v31, v31
	ds_write_b32 v30, v31 offset:4
.LBB1535_70:
	s_or_b64 exec, exec, s[4:5]
	v_mov_b32_e32 v30, v15
	s_waitcnt lgkmcnt(0)
	s_barrier
	s_and_saveexec_b64 s[0:1], vcc
	s_cbranch_execz .LBB1535_72
; %bb.71:
	v_add_u32_e32 v30, -1, v0
	v_lshrrev_b32_e32 v31, 5, v30
	v_add_lshl_u32 v30, v31, v30, 2
	ds_read_b32 v30, v30
.LBB1535_72:
	s_or_b64 exec, exec, s[0:1]
	s_and_saveexec_b64 s[0:1], vcc
	s_cbranch_execz .LBB1535_74
; %bb.73:
	s_waitcnt lgkmcnt(0)
	v_cvt_i32_f32_e32 v2, v30
	;;#ASMSTART
	;;#ASMEND
	v_add_u32_e32 v2, v2, v18
	v_cvt_f32_i32_e32 v2, v2
	v_cvt_i32_f32_e32 v3, v2
	v_add_u32_e32 v3, v3, v16
	v_cvt_f32_i32_e32 v3, v3
	v_cvt_i32_f32_e32 v4, v3
	;; [unrolled: 3-line block ×13, first 2 shown]
	v_add_u32_e32 v15, v15, v29
	v_cvt_f32_i32_e32 v15, v15
.LBB1535_74:
	s_or_b64 exec, exec, s[0:1]
	s_movk_i32 s0, 0x7f
	v_cmp_eq_u32_e32 vcc, s0, v0
	s_and_saveexec_b64 s[0:1], vcc
	s_cbranch_execz .LBB1535_76
; %bb.75:
	v_mov_b32_e32 v18, 0
	v_mov_b32_e32 v17, 2
	;; [unrolled: 1-line block ×3, first 2 shown]
	global_store_dwordx2 v18, v[16:17], s[22:23] offset:512
.LBB1535_76:
	s_or_b64 exec, exec, s[0:1]
	v_pk_mov_b32 v[20:21], v[16:17], v[16:17] op_sel:[0,1]
	v_pk_mov_b32 v[18:19], v[14:15], v[14:15] op_sel:[0,1]
	;; [unrolled: 1-line block ×8, first 2 shown]
.LBB1535_77:
	s_add_u32 s0, s16, s14
	s_addc_u32 s1, s17, s15
	s_add_u32 s2, s0, s20
	s_addc_u32 s3, s1, s21
	s_mov_b64 s[0:1], -1
	s_and_b64 vcc, exec, s[18:19]
	s_waitcnt lgkmcnt(0)
	s_barrier
	s_cbranch_vccz .LBB1535_79
; %bb.78:
	ds_write2_b64 v1, v[6:7], v[8:9] offset1:1
	ds_write2_b64 v1, v[10:11], v[12:13] offset0:2 offset1:3
	ds_write2_b64 v1, v[14:15], v[16:17] offset0:4 offset1:5
	ds_write_b64 v1, v[18:19] offset:48
	s_waitcnt lgkmcnt(0)
	s_barrier
	ds_read2st64_b32 v[2:3], v32 offset1:2
	ds_read2st64_b32 v[4:5], v32 offset0:4 offset1:6
	ds_read2st64_b32 v[20:21], v32 offset0:8 offset1:10
	;; [unrolled: 1-line block ×6, first 2 shown]
	v_mov_b32_e32 v31, s3
	v_add_co_u32_e32 v30, vcc, s2, v32
	v_addc_co_u32_e32 v31, vcc, 0, v31, vcc
	s_waitcnt lgkmcnt(6)
	flat_store_dword v[30:31], v2
	flat_store_dword v[30:31], v3 offset:512
	s_waitcnt lgkmcnt(0)
	flat_store_dword v[30:31], v4 offset:1024
	flat_store_dword v[30:31], v5 offset:1536
	flat_store_dword v[30:31], v20 offset:2048
	flat_store_dword v[30:31], v21 offset:2560
	flat_store_dword v[30:31], v22 offset:3072
	flat_store_dword v[30:31], v23 offset:3584
	v_add_co_u32_e32 v2, vcc, 0x1000, v30
	v_addc_co_u32_e32 v3, vcc, 0, v31, vcc
	flat_store_dword v[2:3], v24
	flat_store_dword v[2:3], v25 offset:512
	flat_store_dword v[2:3], v26 offset:1024
	flat_store_dword v[2:3], v27 offset:1536
	flat_store_dword v[2:3], v28 offset:2048
	flat_store_dword v[2:3], v29 offset:2560
	s_mov_b64 s[0:1], 0
.LBB1535_79:
	s_andn2_b64 vcc, exec, s[0:1]
	s_cbranch_vccnz .LBB1535_159
; %bb.80:
	ds_write2_b64 v1, v[6:7], v[8:9] offset1:1
	ds_write2_b64 v1, v[10:11], v[12:13] offset0:2 offset1:3
	ds_write2_b64 v1, v[14:15], v[16:17] offset0:4 offset1:5
	ds_write_b64 v1, v[18:19] offset:48
	s_waitcnt lgkmcnt(0)
	s_barrier
	ds_read2st64_b32 v[4:5], v32 offset1:2
	ds_read2st64_b32 v[6:7], v32 offset0:4 offset1:6
	ds_read2st64_b32 v[8:9], v32 offset0:8 offset1:10
	;; [unrolled: 1-line block ×6, first 2 shown]
	v_mov_b32_e32 v17, s3
	v_add_co_u32_e32 v16, vcc, s2, v32
	v_addc_co_u32_e32 v17, vcc, 0, v17, vcc
	v_mov_b32_e32 v1, 0
	v_cmp_gt_u32_e32 vcc, s26, v0
	s_and_saveexec_b64 s[0:1], vcc
	s_cbranch_execz .LBB1535_82
; %bb.81:
	s_waitcnt lgkmcnt(0)
	flat_store_dword v[16:17], v4
.LBB1535_82:
	s_or_b64 exec, exec, s[0:1]
	v_or_b32_e32 v18, 0x80, v0
	v_cmp_gt_u32_e32 vcc, s26, v18
	s_and_saveexec_b64 s[0:1], vcc
	s_cbranch_execz .LBB1535_84
; %bb.83:
	s_waitcnt lgkmcnt(0)
	flat_store_dword v[16:17], v5 offset:512
.LBB1535_84:
	s_or_b64 exec, exec, s[0:1]
	v_or_b32_e32 v18, 0x100, v0
	v_cmp_gt_u32_e32 vcc, s26, v18
	s_and_saveexec_b64 s[0:1], vcc
	s_cbranch_execz .LBB1535_86
; %bb.85:
	s_waitcnt lgkmcnt(0)
	flat_store_dword v[16:17], v6 offset:1024
.LBB1535_86:
	;; [unrolled: 9-line block ×7, first 2 shown]
	s_or_b64 exec, exec, s[0:1]
	v_or_b32_e32 v18, 0x400, v0
	v_cmp_gt_u32_e32 vcc, s26, v18
	s_and_saveexec_b64 s[0:1], vcc
	s_cbranch_execz .LBB1535_98
; %bb.97:
	v_add_co_u32_e32 v18, vcc, 0x1000, v16
	v_addc_co_u32_e32 v19, vcc, 0, v17, vcc
	s_waitcnt lgkmcnt(0)
	flat_store_dword v[18:19], v12
.LBB1535_98:
	s_or_b64 exec, exec, s[0:1]
	v_or_b32_e32 v18, 0x480, v0
	v_cmp_gt_u32_e32 vcc, s26, v18
	s_and_saveexec_b64 s[0:1], vcc
	s_cbranch_execz .LBB1535_100
; %bb.99:
	v_add_co_u32_e32 v18, vcc, 0x1000, v16
	v_addc_co_u32_e32 v19, vcc, 0, v17, vcc
	s_waitcnt lgkmcnt(0)
	flat_store_dword v[18:19], v13 offset:512
.LBB1535_100:
	s_or_b64 exec, exec, s[0:1]
	v_or_b32_e32 v18, 0x500, v0
	v_cmp_gt_u32_e32 vcc, s26, v18
	s_and_saveexec_b64 s[0:1], vcc
	s_cbranch_execz .LBB1535_102
; %bb.101:
	v_add_co_u32_e32 v18, vcc, 0x1000, v16
	v_addc_co_u32_e32 v19, vcc, 0, v17, vcc
	s_waitcnt lgkmcnt(0)
	flat_store_dword v[18:19], v10 offset:1024
.LBB1535_102:
	s_or_b64 exec, exec, s[0:1]
	v_or_b32_e32 v18, 0x580, v0
	v_cmp_gt_u32_e32 vcc, s26, v18
	s_and_saveexec_b64 s[0:1], vcc
	s_cbranch_execz .LBB1535_104
; %bb.103:
	v_add_co_u32_e32 v18, vcc, 0x1000, v16
	v_addc_co_u32_e32 v19, vcc, 0, v17, vcc
	s_waitcnt lgkmcnt(0)
	flat_store_dword v[18:19], v11 offset:1536
.LBB1535_104:
	s_or_b64 exec, exec, s[0:1]
	v_or_b32_e32 v18, 0x600, v0
	v_cmp_gt_u32_e32 vcc, s26, v18
	s_and_saveexec_b64 s[0:1], vcc
	s_cbranch_execz .LBB1535_106
; %bb.105:
	v_add_co_u32_e32 v18, vcc, 0x1000, v16
	v_addc_co_u32_e32 v19, vcc, 0, v17, vcc
	s_waitcnt lgkmcnt(0)
	flat_store_dword v[18:19], v14 offset:2048
.LBB1535_106:
	s_or_b64 exec, exec, s[0:1]
	v_or_b32_e32 v18, 0x680, v0
	v_cmp_gt_u32_e32 vcc, s26, v18
	s_and_saveexec_b64 s[0:1], vcc
	s_cbranch_execz .LBB1535_108
; %bb.107:
	v_add_co_u32_e32 v16, vcc, 0x1000, v16
	v_addc_co_u32_e32 v17, vcc, 0, v17, vcc
	s_waitcnt lgkmcnt(0)
	flat_store_dword v[16:17], v15 offset:2560
.LBB1535_108:
	s_or_b64 exec, exec, s[0:1]
	v_cmp_lt_u64_e64 s[0:1], s[10:11], 2
	s_and_b64 vcc, exec, s[0:1]
	s_cbranch_vccnz .LBB1535_159
; %bb.109:
	s_add_u32 s0, s26, -1
	s_addc_u32 s1, s27, -1
	s_add_u32 s2, 0, 0x49240800
	s_addc_u32 s3, 0, 50
	s_add_i32 s3, s3, 0x12492460
	s_mul_hi_u32 s9, s2, -14
	s_sub_i32 s9, s9, s2
	s_mul_i32 s10, s3, -14
	s_mul_i32 s4, s2, -14
	s_add_i32 s9, s9, s10
	s_mul_hi_u32 s5, s3, s4
	s_mul_i32 s8, s3, s4
	s_mul_i32 s11, s2, s9
	s_mul_hi_u32 s4, s2, s4
	s_mul_hi_u32 s10, s2, s9
	s_add_u32 s4, s4, s11
	s_addc_u32 s10, 0, s10
	s_add_u32 s4, s4, s8
	s_mul_hi_u32 s11, s3, s9
	s_addc_u32 s4, s10, s5
	s_addc_u32 s5, s11, 0
	s_mul_i32 s8, s3, s9
	s_add_u32 s4, s4, s8
	v_mov_b32_e32 v16, s4
	s_addc_u32 s5, 0, s5
	v_add_co_u32_e32 v16, vcc, s2, v16
	s_cmp_lg_u64 vcc, 0
	s_addc_u32 s2, s3, s5
	v_readfirstlane_b32 s5, v16
	s_mul_i32 s4, s0, s2
	s_mul_hi_u32 s8, s0, s5
	s_mul_hi_u32 s3, s0, s2
	s_add_u32 s4, s8, s4
	s_addc_u32 s3, 0, s3
	s_mul_hi_u32 s9, s1, s5
	s_mul_i32 s5, s1, s5
	s_add_u32 s4, s4, s5
	s_mul_hi_u32 s8, s1, s2
	s_addc_u32 s3, s3, s9
	s_addc_u32 s4, s8, 0
	s_mul_i32 s2, s1, s2
	s_add_u32 s2, s3, s2
	s_addc_u32 s3, 0, s4
	s_add_u32 s4, s2, 1
	s_addc_u32 s5, s3, 0
	s_add_u32 s8, s2, 2
	s_mul_i32 s10, s3, 14
	s_mul_hi_u32 s11, s2, 14
	s_addc_u32 s9, s3, 0
	s_add_i32 s11, s11, s10
	s_mul_i32 s10, s2, 14
	v_mov_b32_e32 v16, s10
	v_sub_co_u32_e32 v16, vcc, s0, v16
	s_cmp_lg_u64 vcc, 0
	s_subb_u32 s10, s1, s11
	v_subrev_co_u32_e32 v17, vcc, 14, v16
	s_cmp_lg_u64 vcc, 0
	s_subb_u32 s11, s10, 0
	v_readfirstlane_b32 s12, v17
	s_cmp_gt_u32 s12, 13
	s_cselect_b32 s12, -1, 0
	s_cmp_eq_u32 s11, 0
	s_cselect_b32 s11, s12, -1
	s_cmp_lg_u32 s11, 0
	s_cselect_b32 s4, s8, s4
	v_readfirstlane_b32 s8, v16
	s_cselect_b32 s5, s9, s5
	s_cmp_gt_u32 s8, 13
	s_cselect_b32 s8, -1, 0
	s_cmp_eq_u32 s10, 0
	s_cselect_b32 s8, s8, -1
	s_cmp_lg_u32 s8, 0
	s_cselect_b32 s3, s5, s3
	s_cselect_b32 s2, s4, s2
	v_cmp_eq_u64_e32 vcc, s[2:3], v[0:1]
	s_and_saveexec_b64 s[2:3], vcc
	s_cbranch_execz .LBB1535_159
; %bb.110:
	v_mul_hi_u32_u24_e32 v1, 14, v0
	v_mov_b32_e32 v16, s1
	v_sub_co_u32_e32 v0, vcc, s0, v33
	v_subb_co_u32_e32 v1, vcc, v16, v1, vcc
	v_cmp_lt_i64_e32 vcc, 6, v[0:1]
	s_and_saveexec_b64 s[0:1], vcc
	s_xor_b64 s[0:1], exec, s[0:1]
	s_cbranch_execz .LBB1535_136
; %bb.111:
	v_cmp_lt_i64_e32 vcc, 9, v[0:1]
	s_and_saveexec_b64 s[2:3], vcc
	s_xor_b64 s[2:3], exec, s[2:3]
	s_cbranch_execz .LBB1535_125
; %bb.112:
	;; [unrolled: 5-line block ×4, first 2 shown]
	v_mov_b32_e32 v0, 0
	s_waitcnt lgkmcnt(0)
	global_store_dword v0, v15, s[6:7]
                                        ; implicit-def: $vgpr14_vgpr15
.LBB1535_115:
	s_andn2_saveexec_b64 s[8:9], s[8:9]
	s_cbranch_execz .LBB1535_117
; %bb.116:
	v_mov_b32_e32 v0, 0
	s_waitcnt lgkmcnt(0)
	global_store_dword v0, v14, s[6:7]
.LBB1535_117:
	s_or_b64 exec, exec, s[8:9]
                                        ; implicit-def: $vgpr10_vgpr11
                                        ; implicit-def: $vgpr0_vgpr1
.LBB1535_118:
	s_andn2_saveexec_b64 s[4:5], s[4:5]
	s_cbranch_execz .LBB1535_124
; %bb.119:
	v_cmp_lt_i64_e32 vcc, 10, v[0:1]
	s_and_saveexec_b64 s[8:9], vcc
	s_xor_b64 s[8:9], exec, s[8:9]
	s_cbranch_execz .LBB1535_121
; %bb.120:
	v_mov_b32_e32 v0, 0
	s_waitcnt lgkmcnt(0)
	global_store_dword v0, v11, s[6:7]
                                        ; implicit-def: $vgpr10_vgpr11
.LBB1535_121:
	s_andn2_saveexec_b64 s[8:9], s[8:9]
	s_cbranch_execz .LBB1535_123
; %bb.122:
	v_mov_b32_e32 v0, 0
	s_waitcnt lgkmcnt(0)
	global_store_dword v0, v10, s[6:7]
.LBB1535_123:
	s_or_b64 exec, exec, s[8:9]
.LBB1535_124:
	s_or_b64 exec, exec, s[4:5]
                                        ; implicit-def: $vgpr2_vgpr3
                                        ; implicit-def: $vgpr0_vgpr1
                                        ; implicit-def: $vgpr12_vgpr13
.LBB1535_125:
	s_andn2_saveexec_b64 s[2:3], s[2:3]
	s_cbranch_execz .LBB1535_135
; %bb.126:
	v_cmp_lt_i64_e32 vcc, 7, v[0:1]
	s_and_saveexec_b64 s[4:5], vcc
	s_xor_b64 s[4:5], exec, s[4:5]
	s_cbranch_execz .LBB1535_132
; %bb.127:
	v_cmp_lt_i64_e32 vcc, 8, v[0:1]
	s_and_saveexec_b64 s[8:9], vcc
	s_xor_b64 s[8:9], exec, s[8:9]
	s_cbranch_execz .LBB1535_129
; %bb.128:
	v_mov_b32_e32 v0, 0
	s_waitcnt lgkmcnt(0)
	global_store_dword v0, v13, s[6:7]
                                        ; implicit-def: $vgpr12_vgpr13
.LBB1535_129:
	s_andn2_saveexec_b64 s[8:9], s[8:9]
	s_cbranch_execz .LBB1535_131
; %bb.130:
	v_mov_b32_e32 v0, 0
	s_waitcnt lgkmcnt(0)
	global_store_dword v0, v12, s[6:7]
.LBB1535_131:
	s_or_b64 exec, exec, s[8:9]
                                        ; implicit-def: $vgpr2_vgpr3
.LBB1535_132:
	s_andn2_saveexec_b64 s[4:5], s[4:5]
	s_cbranch_execz .LBB1535_134
; %bb.133:
	v_mov_b32_e32 v0, 0
	s_waitcnt lgkmcnt(0)
	global_store_dword v0, v3, s[6:7]
.LBB1535_134:
	s_or_b64 exec, exec, s[4:5]
.LBB1535_135:
	s_or_b64 exec, exec, s[2:3]
                                        ; implicit-def: $vgpr0_vgpr1
                                        ; implicit-def: $vgpr8_vgpr9
                                        ; implicit-def: $vgpr4_vgpr5
                                        ; implicit-def: $vgpr6_vgpr7
                                        ; implicit-def: $vgpr2_vgpr3
.LBB1535_136:
	s_andn2_saveexec_b64 s[0:1], s[0:1]
	s_cbranch_execz .LBB1535_159
; %bb.137:
	v_cmp_lt_i64_e32 vcc, 3, v[0:1]
	s_and_saveexec_b64 s[0:1], vcc
	s_xor_b64 s[0:1], exec, s[0:1]
	s_cbranch_execz .LBB1535_147
; %bb.138:
	v_cmp_lt_i64_e32 vcc, 4, v[0:1]
	s_and_saveexec_b64 s[2:3], vcc
	s_xor_b64 s[2:3], exec, s[2:3]
	;; [unrolled: 5-line block ×3, first 2 shown]
	s_cbranch_execz .LBB1535_141
; %bb.140:
	v_mov_b32_e32 v0, 0
	s_waitcnt lgkmcnt(0)
	global_store_dword v0, v2, s[6:7]
                                        ; implicit-def: $vgpr8_vgpr9
.LBB1535_141:
	s_andn2_saveexec_b64 s[4:5], s[4:5]
	s_cbranch_execz .LBB1535_143
; %bb.142:
	v_mov_b32_e32 v0, 0
	s_waitcnt lgkmcnt(0)
	global_store_dword v0, v9, s[6:7]
.LBB1535_143:
	s_or_b64 exec, exec, s[4:5]
                                        ; implicit-def: $vgpr8_vgpr9
.LBB1535_144:
	s_andn2_saveexec_b64 s[2:3], s[2:3]
	s_cbranch_execz .LBB1535_146
; %bb.145:
	v_mov_b32_e32 v0, 0
	s_waitcnt lgkmcnt(0)
	global_store_dword v0, v8, s[6:7]
.LBB1535_146:
	s_or_b64 exec, exec, s[2:3]
                                        ; implicit-def: $vgpr0_vgpr1
                                        ; implicit-def: $vgpr4_vgpr5
                                        ; implicit-def: $vgpr6_vgpr7
.LBB1535_147:
	s_andn2_saveexec_b64 s[0:1], s[0:1]
	s_cbranch_execz .LBB1535_159
; %bb.148:
	v_cmp_lt_i64_e32 vcc, 1, v[0:1]
	s_and_saveexec_b64 s[0:1], vcc
	s_xor_b64 s[0:1], exec, s[0:1]
	s_cbranch_execz .LBB1535_154
; %bb.149:
	v_cmp_lt_i64_e32 vcc, 2, v[0:1]
	s_and_saveexec_b64 s[2:3], vcc
	s_xor_b64 s[2:3], exec, s[2:3]
	s_cbranch_execz .LBB1535_151
; %bb.150:
	v_mov_b32_e32 v0, 0
	s_waitcnt lgkmcnt(0)
	global_store_dword v0, v7, s[6:7]
                                        ; implicit-def: $vgpr6_vgpr7
.LBB1535_151:
	s_andn2_saveexec_b64 s[2:3], s[2:3]
	s_cbranch_execz .LBB1535_153
; %bb.152:
	v_mov_b32_e32 v0, 0
	s_waitcnt lgkmcnt(0)
	global_store_dword v0, v6, s[6:7]
.LBB1535_153:
	s_or_b64 exec, exec, s[2:3]
                                        ; implicit-def: $vgpr4_vgpr5
                                        ; implicit-def: $vgpr0_vgpr1
.LBB1535_154:
	s_andn2_saveexec_b64 s[0:1], s[0:1]
	s_cbranch_execz .LBB1535_159
; %bb.155:
	v_cmp_ne_u64_e32 vcc, 1, v[0:1]
	s_and_saveexec_b64 s[0:1], vcc
	s_xor_b64 s[0:1], exec, s[0:1]
	s_cbranch_execz .LBB1535_157
; %bb.156:
	v_mov_b32_e32 v0, 0
	s_waitcnt lgkmcnt(0)
	global_store_dword v0, v4, s[6:7]
                                        ; implicit-def: $vgpr4_vgpr5
.LBB1535_157:
	s_andn2_saveexec_b64 s[0:1], s[0:1]
	s_cbranch_execz .LBB1535_159
; %bb.158:
	v_mov_b32_e32 v0, 0
	s_waitcnt lgkmcnt(0)
	global_store_dword v0, v5, s[6:7]
.LBB1535_159:
	s_endpgm
	.section	.rodata,"a",@progbits
	.p2align	6, 0x0
	.amdhsa_kernel _ZN7rocprim17ROCPRIM_400000_NS6detail17trampoline_kernelINS0_14default_configENS1_20scan_config_selectorIfEEZZNS1_9scan_implILNS1_25lookback_scan_determinismE0ELb0ELb0ES3_N6thrust23THRUST_200600_302600_NS6detail15normal_iteratorINS9_10device_ptrIfEEEESE_fNS9_4plusIiEEfEEDaPvRmT3_T4_T5_mT6_P12ihipStream_tbENKUlT_T0_E_clISt17integral_constantIbLb1EEST_IbLb0EEEEDaSP_SQ_EUlSP_E_NS1_11comp_targetILNS1_3genE4ELNS1_11target_archE910ELNS1_3gpuE8ELNS1_3repE0EEENS1_30default_config_static_selectorELNS0_4arch9wavefront6targetE1EEEvT1_
		.amdhsa_group_segment_fixed_size 7168
		.amdhsa_private_segment_fixed_size 0
		.amdhsa_kernarg_size 96
		.amdhsa_user_sgpr_count 6
		.amdhsa_user_sgpr_private_segment_buffer 1
		.amdhsa_user_sgpr_dispatch_ptr 0
		.amdhsa_user_sgpr_queue_ptr 0
		.amdhsa_user_sgpr_kernarg_segment_ptr 1
		.amdhsa_user_sgpr_dispatch_id 0
		.amdhsa_user_sgpr_flat_scratch_init 0
		.amdhsa_user_sgpr_kernarg_preload_length 0
		.amdhsa_user_sgpr_kernarg_preload_offset 0
		.amdhsa_user_sgpr_private_segment_size 0
		.amdhsa_uses_dynamic_stack 0
		.amdhsa_system_sgpr_private_segment_wavefront_offset 0
		.amdhsa_system_sgpr_workgroup_id_x 1
		.amdhsa_system_sgpr_workgroup_id_y 0
		.amdhsa_system_sgpr_workgroup_id_z 0
		.amdhsa_system_sgpr_workgroup_info 0
		.amdhsa_system_vgpr_workitem_id 0
		.amdhsa_next_free_vgpr 62
		.amdhsa_next_free_sgpr 28
		.amdhsa_accum_offset 64
		.amdhsa_reserve_vcc 1
		.amdhsa_reserve_flat_scratch 0
		.amdhsa_float_round_mode_32 0
		.amdhsa_float_round_mode_16_64 0
		.amdhsa_float_denorm_mode_32 3
		.amdhsa_float_denorm_mode_16_64 3
		.amdhsa_dx10_clamp 1
		.amdhsa_ieee_mode 1
		.amdhsa_fp16_overflow 0
		.amdhsa_tg_split 0
		.amdhsa_exception_fp_ieee_invalid_op 0
		.amdhsa_exception_fp_denorm_src 0
		.amdhsa_exception_fp_ieee_div_zero 0
		.amdhsa_exception_fp_ieee_overflow 0
		.amdhsa_exception_fp_ieee_underflow 0
		.amdhsa_exception_fp_ieee_inexact 0
		.amdhsa_exception_int_div_zero 0
	.end_amdhsa_kernel
	.section	.text._ZN7rocprim17ROCPRIM_400000_NS6detail17trampoline_kernelINS0_14default_configENS1_20scan_config_selectorIfEEZZNS1_9scan_implILNS1_25lookback_scan_determinismE0ELb0ELb0ES3_N6thrust23THRUST_200600_302600_NS6detail15normal_iteratorINS9_10device_ptrIfEEEESE_fNS9_4plusIiEEfEEDaPvRmT3_T4_T5_mT6_P12ihipStream_tbENKUlT_T0_E_clISt17integral_constantIbLb1EEST_IbLb0EEEEDaSP_SQ_EUlSP_E_NS1_11comp_targetILNS1_3genE4ELNS1_11target_archE910ELNS1_3gpuE8ELNS1_3repE0EEENS1_30default_config_static_selectorELNS0_4arch9wavefront6targetE1EEEvT1_,"axG",@progbits,_ZN7rocprim17ROCPRIM_400000_NS6detail17trampoline_kernelINS0_14default_configENS1_20scan_config_selectorIfEEZZNS1_9scan_implILNS1_25lookback_scan_determinismE0ELb0ELb0ES3_N6thrust23THRUST_200600_302600_NS6detail15normal_iteratorINS9_10device_ptrIfEEEESE_fNS9_4plusIiEEfEEDaPvRmT3_T4_T5_mT6_P12ihipStream_tbENKUlT_T0_E_clISt17integral_constantIbLb1EEST_IbLb0EEEEDaSP_SQ_EUlSP_E_NS1_11comp_targetILNS1_3genE4ELNS1_11target_archE910ELNS1_3gpuE8ELNS1_3repE0EEENS1_30default_config_static_selectorELNS0_4arch9wavefront6targetE1EEEvT1_,comdat
.Lfunc_end1535:
	.size	_ZN7rocprim17ROCPRIM_400000_NS6detail17trampoline_kernelINS0_14default_configENS1_20scan_config_selectorIfEEZZNS1_9scan_implILNS1_25lookback_scan_determinismE0ELb0ELb0ES3_N6thrust23THRUST_200600_302600_NS6detail15normal_iteratorINS9_10device_ptrIfEEEESE_fNS9_4plusIiEEfEEDaPvRmT3_T4_T5_mT6_P12ihipStream_tbENKUlT_T0_E_clISt17integral_constantIbLb1EEST_IbLb0EEEEDaSP_SQ_EUlSP_E_NS1_11comp_targetILNS1_3genE4ELNS1_11target_archE910ELNS1_3gpuE8ELNS1_3repE0EEENS1_30default_config_static_selectorELNS0_4arch9wavefront6targetE1EEEvT1_, .Lfunc_end1535-_ZN7rocprim17ROCPRIM_400000_NS6detail17trampoline_kernelINS0_14default_configENS1_20scan_config_selectorIfEEZZNS1_9scan_implILNS1_25lookback_scan_determinismE0ELb0ELb0ES3_N6thrust23THRUST_200600_302600_NS6detail15normal_iteratorINS9_10device_ptrIfEEEESE_fNS9_4plusIiEEfEEDaPvRmT3_T4_T5_mT6_P12ihipStream_tbENKUlT_T0_E_clISt17integral_constantIbLb1EEST_IbLb0EEEEDaSP_SQ_EUlSP_E_NS1_11comp_targetILNS1_3genE4ELNS1_11target_archE910ELNS1_3gpuE8ELNS1_3repE0EEENS1_30default_config_static_selectorELNS0_4arch9wavefront6targetE1EEEvT1_
                                        ; -- End function
	.section	.AMDGPU.csdata,"",@progbits
; Kernel info:
; codeLenInByte = 6696
; NumSgprs: 32
; NumVgprs: 62
; NumAgprs: 0
; TotalNumVgprs: 62
; ScratchSize: 0
; MemoryBound: 0
; FloatMode: 240
; IeeeMode: 1
; LDSByteSize: 7168 bytes/workgroup (compile time only)
; SGPRBlocks: 3
; VGPRBlocks: 7
; NumSGPRsForWavesPerEU: 32
; NumVGPRsForWavesPerEU: 62
; AccumOffset: 64
; Occupancy: 5
; WaveLimiterHint : 1
; COMPUTE_PGM_RSRC2:SCRATCH_EN: 0
; COMPUTE_PGM_RSRC2:USER_SGPR: 6
; COMPUTE_PGM_RSRC2:TRAP_HANDLER: 0
; COMPUTE_PGM_RSRC2:TGID_X_EN: 1
; COMPUTE_PGM_RSRC2:TGID_Y_EN: 0
; COMPUTE_PGM_RSRC2:TGID_Z_EN: 0
; COMPUTE_PGM_RSRC2:TIDIG_COMP_CNT: 0
; COMPUTE_PGM_RSRC3_GFX90A:ACCUM_OFFSET: 15
; COMPUTE_PGM_RSRC3_GFX90A:TG_SPLIT: 0
	.section	.text._ZN7rocprim17ROCPRIM_400000_NS6detail17trampoline_kernelINS0_14default_configENS1_20scan_config_selectorIfEEZZNS1_9scan_implILNS1_25lookback_scan_determinismE0ELb0ELb0ES3_N6thrust23THRUST_200600_302600_NS6detail15normal_iteratorINS9_10device_ptrIfEEEESE_fNS9_4plusIiEEfEEDaPvRmT3_T4_T5_mT6_P12ihipStream_tbENKUlT_T0_E_clISt17integral_constantIbLb1EEST_IbLb0EEEEDaSP_SQ_EUlSP_E_NS1_11comp_targetILNS1_3genE3ELNS1_11target_archE908ELNS1_3gpuE7ELNS1_3repE0EEENS1_30default_config_static_selectorELNS0_4arch9wavefront6targetE1EEEvT1_,"axG",@progbits,_ZN7rocprim17ROCPRIM_400000_NS6detail17trampoline_kernelINS0_14default_configENS1_20scan_config_selectorIfEEZZNS1_9scan_implILNS1_25lookback_scan_determinismE0ELb0ELb0ES3_N6thrust23THRUST_200600_302600_NS6detail15normal_iteratorINS9_10device_ptrIfEEEESE_fNS9_4plusIiEEfEEDaPvRmT3_T4_T5_mT6_P12ihipStream_tbENKUlT_T0_E_clISt17integral_constantIbLb1EEST_IbLb0EEEEDaSP_SQ_EUlSP_E_NS1_11comp_targetILNS1_3genE3ELNS1_11target_archE908ELNS1_3gpuE7ELNS1_3repE0EEENS1_30default_config_static_selectorELNS0_4arch9wavefront6targetE1EEEvT1_,comdat
	.protected	_ZN7rocprim17ROCPRIM_400000_NS6detail17trampoline_kernelINS0_14default_configENS1_20scan_config_selectorIfEEZZNS1_9scan_implILNS1_25lookback_scan_determinismE0ELb0ELb0ES3_N6thrust23THRUST_200600_302600_NS6detail15normal_iteratorINS9_10device_ptrIfEEEESE_fNS9_4plusIiEEfEEDaPvRmT3_T4_T5_mT6_P12ihipStream_tbENKUlT_T0_E_clISt17integral_constantIbLb1EEST_IbLb0EEEEDaSP_SQ_EUlSP_E_NS1_11comp_targetILNS1_3genE3ELNS1_11target_archE908ELNS1_3gpuE7ELNS1_3repE0EEENS1_30default_config_static_selectorELNS0_4arch9wavefront6targetE1EEEvT1_ ; -- Begin function _ZN7rocprim17ROCPRIM_400000_NS6detail17trampoline_kernelINS0_14default_configENS1_20scan_config_selectorIfEEZZNS1_9scan_implILNS1_25lookback_scan_determinismE0ELb0ELb0ES3_N6thrust23THRUST_200600_302600_NS6detail15normal_iteratorINS9_10device_ptrIfEEEESE_fNS9_4plusIiEEfEEDaPvRmT3_T4_T5_mT6_P12ihipStream_tbENKUlT_T0_E_clISt17integral_constantIbLb1EEST_IbLb0EEEEDaSP_SQ_EUlSP_E_NS1_11comp_targetILNS1_3genE3ELNS1_11target_archE908ELNS1_3gpuE7ELNS1_3repE0EEENS1_30default_config_static_selectorELNS0_4arch9wavefront6targetE1EEEvT1_
	.globl	_ZN7rocprim17ROCPRIM_400000_NS6detail17trampoline_kernelINS0_14default_configENS1_20scan_config_selectorIfEEZZNS1_9scan_implILNS1_25lookback_scan_determinismE0ELb0ELb0ES3_N6thrust23THRUST_200600_302600_NS6detail15normal_iteratorINS9_10device_ptrIfEEEESE_fNS9_4plusIiEEfEEDaPvRmT3_T4_T5_mT6_P12ihipStream_tbENKUlT_T0_E_clISt17integral_constantIbLb1EEST_IbLb0EEEEDaSP_SQ_EUlSP_E_NS1_11comp_targetILNS1_3genE3ELNS1_11target_archE908ELNS1_3gpuE7ELNS1_3repE0EEENS1_30default_config_static_selectorELNS0_4arch9wavefront6targetE1EEEvT1_
	.p2align	8
	.type	_ZN7rocprim17ROCPRIM_400000_NS6detail17trampoline_kernelINS0_14default_configENS1_20scan_config_selectorIfEEZZNS1_9scan_implILNS1_25lookback_scan_determinismE0ELb0ELb0ES3_N6thrust23THRUST_200600_302600_NS6detail15normal_iteratorINS9_10device_ptrIfEEEESE_fNS9_4plusIiEEfEEDaPvRmT3_T4_T5_mT6_P12ihipStream_tbENKUlT_T0_E_clISt17integral_constantIbLb1EEST_IbLb0EEEEDaSP_SQ_EUlSP_E_NS1_11comp_targetILNS1_3genE3ELNS1_11target_archE908ELNS1_3gpuE7ELNS1_3repE0EEENS1_30default_config_static_selectorELNS0_4arch9wavefront6targetE1EEEvT1_,@function
_ZN7rocprim17ROCPRIM_400000_NS6detail17trampoline_kernelINS0_14default_configENS1_20scan_config_selectorIfEEZZNS1_9scan_implILNS1_25lookback_scan_determinismE0ELb0ELb0ES3_N6thrust23THRUST_200600_302600_NS6detail15normal_iteratorINS9_10device_ptrIfEEEESE_fNS9_4plusIiEEfEEDaPvRmT3_T4_T5_mT6_P12ihipStream_tbENKUlT_T0_E_clISt17integral_constantIbLb1EEST_IbLb0EEEEDaSP_SQ_EUlSP_E_NS1_11comp_targetILNS1_3genE3ELNS1_11target_archE908ELNS1_3gpuE7ELNS1_3repE0EEENS1_30default_config_static_selectorELNS0_4arch9wavefront6targetE1EEEvT1_: ; @_ZN7rocprim17ROCPRIM_400000_NS6detail17trampoline_kernelINS0_14default_configENS1_20scan_config_selectorIfEEZZNS1_9scan_implILNS1_25lookback_scan_determinismE0ELb0ELb0ES3_N6thrust23THRUST_200600_302600_NS6detail15normal_iteratorINS9_10device_ptrIfEEEESE_fNS9_4plusIiEEfEEDaPvRmT3_T4_T5_mT6_P12ihipStream_tbENKUlT_T0_E_clISt17integral_constantIbLb1EEST_IbLb0EEEEDaSP_SQ_EUlSP_E_NS1_11comp_targetILNS1_3genE3ELNS1_11target_archE908ELNS1_3gpuE7ELNS1_3repE0EEENS1_30default_config_static_selectorELNS0_4arch9wavefront6targetE1EEEvT1_
; %bb.0:
	.section	.rodata,"a",@progbits
	.p2align	6, 0x0
	.amdhsa_kernel _ZN7rocprim17ROCPRIM_400000_NS6detail17trampoline_kernelINS0_14default_configENS1_20scan_config_selectorIfEEZZNS1_9scan_implILNS1_25lookback_scan_determinismE0ELb0ELb0ES3_N6thrust23THRUST_200600_302600_NS6detail15normal_iteratorINS9_10device_ptrIfEEEESE_fNS9_4plusIiEEfEEDaPvRmT3_T4_T5_mT6_P12ihipStream_tbENKUlT_T0_E_clISt17integral_constantIbLb1EEST_IbLb0EEEEDaSP_SQ_EUlSP_E_NS1_11comp_targetILNS1_3genE3ELNS1_11target_archE908ELNS1_3gpuE7ELNS1_3repE0EEENS1_30default_config_static_selectorELNS0_4arch9wavefront6targetE1EEEvT1_
		.amdhsa_group_segment_fixed_size 0
		.amdhsa_private_segment_fixed_size 0
		.amdhsa_kernarg_size 96
		.amdhsa_user_sgpr_count 6
		.amdhsa_user_sgpr_private_segment_buffer 1
		.amdhsa_user_sgpr_dispatch_ptr 0
		.amdhsa_user_sgpr_queue_ptr 0
		.amdhsa_user_sgpr_kernarg_segment_ptr 1
		.amdhsa_user_sgpr_dispatch_id 0
		.amdhsa_user_sgpr_flat_scratch_init 0
		.amdhsa_user_sgpr_kernarg_preload_length 0
		.amdhsa_user_sgpr_kernarg_preload_offset 0
		.amdhsa_user_sgpr_private_segment_size 0
		.amdhsa_uses_dynamic_stack 0
		.amdhsa_system_sgpr_private_segment_wavefront_offset 0
		.amdhsa_system_sgpr_workgroup_id_x 1
		.amdhsa_system_sgpr_workgroup_id_y 0
		.amdhsa_system_sgpr_workgroup_id_z 0
		.amdhsa_system_sgpr_workgroup_info 0
		.amdhsa_system_vgpr_workitem_id 0
		.amdhsa_next_free_vgpr 1
		.amdhsa_next_free_sgpr 0
		.amdhsa_accum_offset 4
		.amdhsa_reserve_vcc 0
		.amdhsa_reserve_flat_scratch 0
		.amdhsa_float_round_mode_32 0
		.amdhsa_float_round_mode_16_64 0
		.amdhsa_float_denorm_mode_32 3
		.amdhsa_float_denorm_mode_16_64 3
		.amdhsa_dx10_clamp 1
		.amdhsa_ieee_mode 1
		.amdhsa_fp16_overflow 0
		.amdhsa_tg_split 0
		.amdhsa_exception_fp_ieee_invalid_op 0
		.amdhsa_exception_fp_denorm_src 0
		.amdhsa_exception_fp_ieee_div_zero 0
		.amdhsa_exception_fp_ieee_overflow 0
		.amdhsa_exception_fp_ieee_underflow 0
		.amdhsa_exception_fp_ieee_inexact 0
		.amdhsa_exception_int_div_zero 0
	.end_amdhsa_kernel
	.section	.text._ZN7rocprim17ROCPRIM_400000_NS6detail17trampoline_kernelINS0_14default_configENS1_20scan_config_selectorIfEEZZNS1_9scan_implILNS1_25lookback_scan_determinismE0ELb0ELb0ES3_N6thrust23THRUST_200600_302600_NS6detail15normal_iteratorINS9_10device_ptrIfEEEESE_fNS9_4plusIiEEfEEDaPvRmT3_T4_T5_mT6_P12ihipStream_tbENKUlT_T0_E_clISt17integral_constantIbLb1EEST_IbLb0EEEEDaSP_SQ_EUlSP_E_NS1_11comp_targetILNS1_3genE3ELNS1_11target_archE908ELNS1_3gpuE7ELNS1_3repE0EEENS1_30default_config_static_selectorELNS0_4arch9wavefront6targetE1EEEvT1_,"axG",@progbits,_ZN7rocprim17ROCPRIM_400000_NS6detail17trampoline_kernelINS0_14default_configENS1_20scan_config_selectorIfEEZZNS1_9scan_implILNS1_25lookback_scan_determinismE0ELb0ELb0ES3_N6thrust23THRUST_200600_302600_NS6detail15normal_iteratorINS9_10device_ptrIfEEEESE_fNS9_4plusIiEEfEEDaPvRmT3_T4_T5_mT6_P12ihipStream_tbENKUlT_T0_E_clISt17integral_constantIbLb1EEST_IbLb0EEEEDaSP_SQ_EUlSP_E_NS1_11comp_targetILNS1_3genE3ELNS1_11target_archE908ELNS1_3gpuE7ELNS1_3repE0EEENS1_30default_config_static_selectorELNS0_4arch9wavefront6targetE1EEEvT1_,comdat
.Lfunc_end1536:
	.size	_ZN7rocprim17ROCPRIM_400000_NS6detail17trampoline_kernelINS0_14default_configENS1_20scan_config_selectorIfEEZZNS1_9scan_implILNS1_25lookback_scan_determinismE0ELb0ELb0ES3_N6thrust23THRUST_200600_302600_NS6detail15normal_iteratorINS9_10device_ptrIfEEEESE_fNS9_4plusIiEEfEEDaPvRmT3_T4_T5_mT6_P12ihipStream_tbENKUlT_T0_E_clISt17integral_constantIbLb1EEST_IbLb0EEEEDaSP_SQ_EUlSP_E_NS1_11comp_targetILNS1_3genE3ELNS1_11target_archE908ELNS1_3gpuE7ELNS1_3repE0EEENS1_30default_config_static_selectorELNS0_4arch9wavefront6targetE1EEEvT1_, .Lfunc_end1536-_ZN7rocprim17ROCPRIM_400000_NS6detail17trampoline_kernelINS0_14default_configENS1_20scan_config_selectorIfEEZZNS1_9scan_implILNS1_25lookback_scan_determinismE0ELb0ELb0ES3_N6thrust23THRUST_200600_302600_NS6detail15normal_iteratorINS9_10device_ptrIfEEEESE_fNS9_4plusIiEEfEEDaPvRmT3_T4_T5_mT6_P12ihipStream_tbENKUlT_T0_E_clISt17integral_constantIbLb1EEST_IbLb0EEEEDaSP_SQ_EUlSP_E_NS1_11comp_targetILNS1_3genE3ELNS1_11target_archE908ELNS1_3gpuE7ELNS1_3repE0EEENS1_30default_config_static_selectorELNS0_4arch9wavefront6targetE1EEEvT1_
                                        ; -- End function
	.section	.AMDGPU.csdata,"",@progbits
; Kernel info:
; codeLenInByte = 0
; NumSgprs: 4
; NumVgprs: 0
; NumAgprs: 0
; TotalNumVgprs: 0
; ScratchSize: 0
; MemoryBound: 0
; FloatMode: 240
; IeeeMode: 1
; LDSByteSize: 0 bytes/workgroup (compile time only)
; SGPRBlocks: 0
; VGPRBlocks: 0
; NumSGPRsForWavesPerEU: 4
; NumVGPRsForWavesPerEU: 1
; AccumOffset: 4
; Occupancy: 8
; WaveLimiterHint : 0
; COMPUTE_PGM_RSRC2:SCRATCH_EN: 0
; COMPUTE_PGM_RSRC2:USER_SGPR: 6
; COMPUTE_PGM_RSRC2:TRAP_HANDLER: 0
; COMPUTE_PGM_RSRC2:TGID_X_EN: 1
; COMPUTE_PGM_RSRC2:TGID_Y_EN: 0
; COMPUTE_PGM_RSRC2:TGID_Z_EN: 0
; COMPUTE_PGM_RSRC2:TIDIG_COMP_CNT: 0
; COMPUTE_PGM_RSRC3_GFX90A:ACCUM_OFFSET: 0
; COMPUTE_PGM_RSRC3_GFX90A:TG_SPLIT: 0
	.section	.text._ZN7rocprim17ROCPRIM_400000_NS6detail17trampoline_kernelINS0_14default_configENS1_20scan_config_selectorIfEEZZNS1_9scan_implILNS1_25lookback_scan_determinismE0ELb0ELb0ES3_N6thrust23THRUST_200600_302600_NS6detail15normal_iteratorINS9_10device_ptrIfEEEESE_fNS9_4plusIiEEfEEDaPvRmT3_T4_T5_mT6_P12ihipStream_tbENKUlT_T0_E_clISt17integral_constantIbLb1EEST_IbLb0EEEEDaSP_SQ_EUlSP_E_NS1_11comp_targetILNS1_3genE2ELNS1_11target_archE906ELNS1_3gpuE6ELNS1_3repE0EEENS1_30default_config_static_selectorELNS0_4arch9wavefront6targetE1EEEvT1_,"axG",@progbits,_ZN7rocprim17ROCPRIM_400000_NS6detail17trampoline_kernelINS0_14default_configENS1_20scan_config_selectorIfEEZZNS1_9scan_implILNS1_25lookback_scan_determinismE0ELb0ELb0ES3_N6thrust23THRUST_200600_302600_NS6detail15normal_iteratorINS9_10device_ptrIfEEEESE_fNS9_4plusIiEEfEEDaPvRmT3_T4_T5_mT6_P12ihipStream_tbENKUlT_T0_E_clISt17integral_constantIbLb1EEST_IbLb0EEEEDaSP_SQ_EUlSP_E_NS1_11comp_targetILNS1_3genE2ELNS1_11target_archE906ELNS1_3gpuE6ELNS1_3repE0EEENS1_30default_config_static_selectorELNS0_4arch9wavefront6targetE1EEEvT1_,comdat
	.protected	_ZN7rocprim17ROCPRIM_400000_NS6detail17trampoline_kernelINS0_14default_configENS1_20scan_config_selectorIfEEZZNS1_9scan_implILNS1_25lookback_scan_determinismE0ELb0ELb0ES3_N6thrust23THRUST_200600_302600_NS6detail15normal_iteratorINS9_10device_ptrIfEEEESE_fNS9_4plusIiEEfEEDaPvRmT3_T4_T5_mT6_P12ihipStream_tbENKUlT_T0_E_clISt17integral_constantIbLb1EEST_IbLb0EEEEDaSP_SQ_EUlSP_E_NS1_11comp_targetILNS1_3genE2ELNS1_11target_archE906ELNS1_3gpuE6ELNS1_3repE0EEENS1_30default_config_static_selectorELNS0_4arch9wavefront6targetE1EEEvT1_ ; -- Begin function _ZN7rocprim17ROCPRIM_400000_NS6detail17trampoline_kernelINS0_14default_configENS1_20scan_config_selectorIfEEZZNS1_9scan_implILNS1_25lookback_scan_determinismE0ELb0ELb0ES3_N6thrust23THRUST_200600_302600_NS6detail15normal_iteratorINS9_10device_ptrIfEEEESE_fNS9_4plusIiEEfEEDaPvRmT3_T4_T5_mT6_P12ihipStream_tbENKUlT_T0_E_clISt17integral_constantIbLb1EEST_IbLb0EEEEDaSP_SQ_EUlSP_E_NS1_11comp_targetILNS1_3genE2ELNS1_11target_archE906ELNS1_3gpuE6ELNS1_3repE0EEENS1_30default_config_static_selectorELNS0_4arch9wavefront6targetE1EEEvT1_
	.globl	_ZN7rocprim17ROCPRIM_400000_NS6detail17trampoline_kernelINS0_14default_configENS1_20scan_config_selectorIfEEZZNS1_9scan_implILNS1_25lookback_scan_determinismE0ELb0ELb0ES3_N6thrust23THRUST_200600_302600_NS6detail15normal_iteratorINS9_10device_ptrIfEEEESE_fNS9_4plusIiEEfEEDaPvRmT3_T4_T5_mT6_P12ihipStream_tbENKUlT_T0_E_clISt17integral_constantIbLb1EEST_IbLb0EEEEDaSP_SQ_EUlSP_E_NS1_11comp_targetILNS1_3genE2ELNS1_11target_archE906ELNS1_3gpuE6ELNS1_3repE0EEENS1_30default_config_static_selectorELNS0_4arch9wavefront6targetE1EEEvT1_
	.p2align	8
	.type	_ZN7rocprim17ROCPRIM_400000_NS6detail17trampoline_kernelINS0_14default_configENS1_20scan_config_selectorIfEEZZNS1_9scan_implILNS1_25lookback_scan_determinismE0ELb0ELb0ES3_N6thrust23THRUST_200600_302600_NS6detail15normal_iteratorINS9_10device_ptrIfEEEESE_fNS9_4plusIiEEfEEDaPvRmT3_T4_T5_mT6_P12ihipStream_tbENKUlT_T0_E_clISt17integral_constantIbLb1EEST_IbLb0EEEEDaSP_SQ_EUlSP_E_NS1_11comp_targetILNS1_3genE2ELNS1_11target_archE906ELNS1_3gpuE6ELNS1_3repE0EEENS1_30default_config_static_selectorELNS0_4arch9wavefront6targetE1EEEvT1_,@function
_ZN7rocprim17ROCPRIM_400000_NS6detail17trampoline_kernelINS0_14default_configENS1_20scan_config_selectorIfEEZZNS1_9scan_implILNS1_25lookback_scan_determinismE0ELb0ELb0ES3_N6thrust23THRUST_200600_302600_NS6detail15normal_iteratorINS9_10device_ptrIfEEEESE_fNS9_4plusIiEEfEEDaPvRmT3_T4_T5_mT6_P12ihipStream_tbENKUlT_T0_E_clISt17integral_constantIbLb1EEST_IbLb0EEEEDaSP_SQ_EUlSP_E_NS1_11comp_targetILNS1_3genE2ELNS1_11target_archE906ELNS1_3gpuE6ELNS1_3repE0EEENS1_30default_config_static_selectorELNS0_4arch9wavefront6targetE1EEEvT1_: ; @_ZN7rocprim17ROCPRIM_400000_NS6detail17trampoline_kernelINS0_14default_configENS1_20scan_config_selectorIfEEZZNS1_9scan_implILNS1_25lookback_scan_determinismE0ELb0ELb0ES3_N6thrust23THRUST_200600_302600_NS6detail15normal_iteratorINS9_10device_ptrIfEEEESE_fNS9_4plusIiEEfEEDaPvRmT3_T4_T5_mT6_P12ihipStream_tbENKUlT_T0_E_clISt17integral_constantIbLb1EEST_IbLb0EEEEDaSP_SQ_EUlSP_E_NS1_11comp_targetILNS1_3genE2ELNS1_11target_archE906ELNS1_3gpuE6ELNS1_3repE0EEENS1_30default_config_static_selectorELNS0_4arch9wavefront6targetE1EEEvT1_
; %bb.0:
	.section	.rodata,"a",@progbits
	.p2align	6, 0x0
	.amdhsa_kernel _ZN7rocprim17ROCPRIM_400000_NS6detail17trampoline_kernelINS0_14default_configENS1_20scan_config_selectorIfEEZZNS1_9scan_implILNS1_25lookback_scan_determinismE0ELb0ELb0ES3_N6thrust23THRUST_200600_302600_NS6detail15normal_iteratorINS9_10device_ptrIfEEEESE_fNS9_4plusIiEEfEEDaPvRmT3_T4_T5_mT6_P12ihipStream_tbENKUlT_T0_E_clISt17integral_constantIbLb1EEST_IbLb0EEEEDaSP_SQ_EUlSP_E_NS1_11comp_targetILNS1_3genE2ELNS1_11target_archE906ELNS1_3gpuE6ELNS1_3repE0EEENS1_30default_config_static_selectorELNS0_4arch9wavefront6targetE1EEEvT1_
		.amdhsa_group_segment_fixed_size 0
		.amdhsa_private_segment_fixed_size 0
		.amdhsa_kernarg_size 96
		.amdhsa_user_sgpr_count 6
		.amdhsa_user_sgpr_private_segment_buffer 1
		.amdhsa_user_sgpr_dispatch_ptr 0
		.amdhsa_user_sgpr_queue_ptr 0
		.amdhsa_user_sgpr_kernarg_segment_ptr 1
		.amdhsa_user_sgpr_dispatch_id 0
		.amdhsa_user_sgpr_flat_scratch_init 0
		.amdhsa_user_sgpr_kernarg_preload_length 0
		.amdhsa_user_sgpr_kernarg_preload_offset 0
		.amdhsa_user_sgpr_private_segment_size 0
		.amdhsa_uses_dynamic_stack 0
		.amdhsa_system_sgpr_private_segment_wavefront_offset 0
		.amdhsa_system_sgpr_workgroup_id_x 1
		.amdhsa_system_sgpr_workgroup_id_y 0
		.amdhsa_system_sgpr_workgroup_id_z 0
		.amdhsa_system_sgpr_workgroup_info 0
		.amdhsa_system_vgpr_workitem_id 0
		.amdhsa_next_free_vgpr 1
		.amdhsa_next_free_sgpr 0
		.amdhsa_accum_offset 4
		.amdhsa_reserve_vcc 0
		.amdhsa_reserve_flat_scratch 0
		.amdhsa_float_round_mode_32 0
		.amdhsa_float_round_mode_16_64 0
		.amdhsa_float_denorm_mode_32 3
		.amdhsa_float_denorm_mode_16_64 3
		.amdhsa_dx10_clamp 1
		.amdhsa_ieee_mode 1
		.amdhsa_fp16_overflow 0
		.amdhsa_tg_split 0
		.amdhsa_exception_fp_ieee_invalid_op 0
		.amdhsa_exception_fp_denorm_src 0
		.amdhsa_exception_fp_ieee_div_zero 0
		.amdhsa_exception_fp_ieee_overflow 0
		.amdhsa_exception_fp_ieee_underflow 0
		.amdhsa_exception_fp_ieee_inexact 0
		.amdhsa_exception_int_div_zero 0
	.end_amdhsa_kernel
	.section	.text._ZN7rocprim17ROCPRIM_400000_NS6detail17trampoline_kernelINS0_14default_configENS1_20scan_config_selectorIfEEZZNS1_9scan_implILNS1_25lookback_scan_determinismE0ELb0ELb0ES3_N6thrust23THRUST_200600_302600_NS6detail15normal_iteratorINS9_10device_ptrIfEEEESE_fNS9_4plusIiEEfEEDaPvRmT3_T4_T5_mT6_P12ihipStream_tbENKUlT_T0_E_clISt17integral_constantIbLb1EEST_IbLb0EEEEDaSP_SQ_EUlSP_E_NS1_11comp_targetILNS1_3genE2ELNS1_11target_archE906ELNS1_3gpuE6ELNS1_3repE0EEENS1_30default_config_static_selectorELNS0_4arch9wavefront6targetE1EEEvT1_,"axG",@progbits,_ZN7rocprim17ROCPRIM_400000_NS6detail17trampoline_kernelINS0_14default_configENS1_20scan_config_selectorIfEEZZNS1_9scan_implILNS1_25lookback_scan_determinismE0ELb0ELb0ES3_N6thrust23THRUST_200600_302600_NS6detail15normal_iteratorINS9_10device_ptrIfEEEESE_fNS9_4plusIiEEfEEDaPvRmT3_T4_T5_mT6_P12ihipStream_tbENKUlT_T0_E_clISt17integral_constantIbLb1EEST_IbLb0EEEEDaSP_SQ_EUlSP_E_NS1_11comp_targetILNS1_3genE2ELNS1_11target_archE906ELNS1_3gpuE6ELNS1_3repE0EEENS1_30default_config_static_selectorELNS0_4arch9wavefront6targetE1EEEvT1_,comdat
.Lfunc_end1537:
	.size	_ZN7rocprim17ROCPRIM_400000_NS6detail17trampoline_kernelINS0_14default_configENS1_20scan_config_selectorIfEEZZNS1_9scan_implILNS1_25lookback_scan_determinismE0ELb0ELb0ES3_N6thrust23THRUST_200600_302600_NS6detail15normal_iteratorINS9_10device_ptrIfEEEESE_fNS9_4plusIiEEfEEDaPvRmT3_T4_T5_mT6_P12ihipStream_tbENKUlT_T0_E_clISt17integral_constantIbLb1EEST_IbLb0EEEEDaSP_SQ_EUlSP_E_NS1_11comp_targetILNS1_3genE2ELNS1_11target_archE906ELNS1_3gpuE6ELNS1_3repE0EEENS1_30default_config_static_selectorELNS0_4arch9wavefront6targetE1EEEvT1_, .Lfunc_end1537-_ZN7rocprim17ROCPRIM_400000_NS6detail17trampoline_kernelINS0_14default_configENS1_20scan_config_selectorIfEEZZNS1_9scan_implILNS1_25lookback_scan_determinismE0ELb0ELb0ES3_N6thrust23THRUST_200600_302600_NS6detail15normal_iteratorINS9_10device_ptrIfEEEESE_fNS9_4plusIiEEfEEDaPvRmT3_T4_T5_mT6_P12ihipStream_tbENKUlT_T0_E_clISt17integral_constantIbLb1EEST_IbLb0EEEEDaSP_SQ_EUlSP_E_NS1_11comp_targetILNS1_3genE2ELNS1_11target_archE906ELNS1_3gpuE6ELNS1_3repE0EEENS1_30default_config_static_selectorELNS0_4arch9wavefront6targetE1EEEvT1_
                                        ; -- End function
	.section	.AMDGPU.csdata,"",@progbits
; Kernel info:
; codeLenInByte = 0
; NumSgprs: 4
; NumVgprs: 0
; NumAgprs: 0
; TotalNumVgprs: 0
; ScratchSize: 0
; MemoryBound: 0
; FloatMode: 240
; IeeeMode: 1
; LDSByteSize: 0 bytes/workgroup (compile time only)
; SGPRBlocks: 0
; VGPRBlocks: 0
; NumSGPRsForWavesPerEU: 4
; NumVGPRsForWavesPerEU: 1
; AccumOffset: 4
; Occupancy: 8
; WaveLimiterHint : 0
; COMPUTE_PGM_RSRC2:SCRATCH_EN: 0
; COMPUTE_PGM_RSRC2:USER_SGPR: 6
; COMPUTE_PGM_RSRC2:TRAP_HANDLER: 0
; COMPUTE_PGM_RSRC2:TGID_X_EN: 1
; COMPUTE_PGM_RSRC2:TGID_Y_EN: 0
; COMPUTE_PGM_RSRC2:TGID_Z_EN: 0
; COMPUTE_PGM_RSRC2:TIDIG_COMP_CNT: 0
; COMPUTE_PGM_RSRC3_GFX90A:ACCUM_OFFSET: 0
; COMPUTE_PGM_RSRC3_GFX90A:TG_SPLIT: 0
	.section	.text._ZN7rocprim17ROCPRIM_400000_NS6detail17trampoline_kernelINS0_14default_configENS1_20scan_config_selectorIfEEZZNS1_9scan_implILNS1_25lookback_scan_determinismE0ELb0ELb0ES3_N6thrust23THRUST_200600_302600_NS6detail15normal_iteratorINS9_10device_ptrIfEEEESE_fNS9_4plusIiEEfEEDaPvRmT3_T4_T5_mT6_P12ihipStream_tbENKUlT_T0_E_clISt17integral_constantIbLb1EEST_IbLb0EEEEDaSP_SQ_EUlSP_E_NS1_11comp_targetILNS1_3genE10ELNS1_11target_archE1201ELNS1_3gpuE5ELNS1_3repE0EEENS1_30default_config_static_selectorELNS0_4arch9wavefront6targetE1EEEvT1_,"axG",@progbits,_ZN7rocprim17ROCPRIM_400000_NS6detail17trampoline_kernelINS0_14default_configENS1_20scan_config_selectorIfEEZZNS1_9scan_implILNS1_25lookback_scan_determinismE0ELb0ELb0ES3_N6thrust23THRUST_200600_302600_NS6detail15normal_iteratorINS9_10device_ptrIfEEEESE_fNS9_4plusIiEEfEEDaPvRmT3_T4_T5_mT6_P12ihipStream_tbENKUlT_T0_E_clISt17integral_constantIbLb1EEST_IbLb0EEEEDaSP_SQ_EUlSP_E_NS1_11comp_targetILNS1_3genE10ELNS1_11target_archE1201ELNS1_3gpuE5ELNS1_3repE0EEENS1_30default_config_static_selectorELNS0_4arch9wavefront6targetE1EEEvT1_,comdat
	.protected	_ZN7rocprim17ROCPRIM_400000_NS6detail17trampoline_kernelINS0_14default_configENS1_20scan_config_selectorIfEEZZNS1_9scan_implILNS1_25lookback_scan_determinismE0ELb0ELb0ES3_N6thrust23THRUST_200600_302600_NS6detail15normal_iteratorINS9_10device_ptrIfEEEESE_fNS9_4plusIiEEfEEDaPvRmT3_T4_T5_mT6_P12ihipStream_tbENKUlT_T0_E_clISt17integral_constantIbLb1EEST_IbLb0EEEEDaSP_SQ_EUlSP_E_NS1_11comp_targetILNS1_3genE10ELNS1_11target_archE1201ELNS1_3gpuE5ELNS1_3repE0EEENS1_30default_config_static_selectorELNS0_4arch9wavefront6targetE1EEEvT1_ ; -- Begin function _ZN7rocprim17ROCPRIM_400000_NS6detail17trampoline_kernelINS0_14default_configENS1_20scan_config_selectorIfEEZZNS1_9scan_implILNS1_25lookback_scan_determinismE0ELb0ELb0ES3_N6thrust23THRUST_200600_302600_NS6detail15normal_iteratorINS9_10device_ptrIfEEEESE_fNS9_4plusIiEEfEEDaPvRmT3_T4_T5_mT6_P12ihipStream_tbENKUlT_T0_E_clISt17integral_constantIbLb1EEST_IbLb0EEEEDaSP_SQ_EUlSP_E_NS1_11comp_targetILNS1_3genE10ELNS1_11target_archE1201ELNS1_3gpuE5ELNS1_3repE0EEENS1_30default_config_static_selectorELNS0_4arch9wavefront6targetE1EEEvT1_
	.globl	_ZN7rocprim17ROCPRIM_400000_NS6detail17trampoline_kernelINS0_14default_configENS1_20scan_config_selectorIfEEZZNS1_9scan_implILNS1_25lookback_scan_determinismE0ELb0ELb0ES3_N6thrust23THRUST_200600_302600_NS6detail15normal_iteratorINS9_10device_ptrIfEEEESE_fNS9_4plusIiEEfEEDaPvRmT3_T4_T5_mT6_P12ihipStream_tbENKUlT_T0_E_clISt17integral_constantIbLb1EEST_IbLb0EEEEDaSP_SQ_EUlSP_E_NS1_11comp_targetILNS1_3genE10ELNS1_11target_archE1201ELNS1_3gpuE5ELNS1_3repE0EEENS1_30default_config_static_selectorELNS0_4arch9wavefront6targetE1EEEvT1_
	.p2align	8
	.type	_ZN7rocprim17ROCPRIM_400000_NS6detail17trampoline_kernelINS0_14default_configENS1_20scan_config_selectorIfEEZZNS1_9scan_implILNS1_25lookback_scan_determinismE0ELb0ELb0ES3_N6thrust23THRUST_200600_302600_NS6detail15normal_iteratorINS9_10device_ptrIfEEEESE_fNS9_4plusIiEEfEEDaPvRmT3_T4_T5_mT6_P12ihipStream_tbENKUlT_T0_E_clISt17integral_constantIbLb1EEST_IbLb0EEEEDaSP_SQ_EUlSP_E_NS1_11comp_targetILNS1_3genE10ELNS1_11target_archE1201ELNS1_3gpuE5ELNS1_3repE0EEENS1_30default_config_static_selectorELNS0_4arch9wavefront6targetE1EEEvT1_,@function
_ZN7rocprim17ROCPRIM_400000_NS6detail17trampoline_kernelINS0_14default_configENS1_20scan_config_selectorIfEEZZNS1_9scan_implILNS1_25lookback_scan_determinismE0ELb0ELb0ES3_N6thrust23THRUST_200600_302600_NS6detail15normal_iteratorINS9_10device_ptrIfEEEESE_fNS9_4plusIiEEfEEDaPvRmT3_T4_T5_mT6_P12ihipStream_tbENKUlT_T0_E_clISt17integral_constantIbLb1EEST_IbLb0EEEEDaSP_SQ_EUlSP_E_NS1_11comp_targetILNS1_3genE10ELNS1_11target_archE1201ELNS1_3gpuE5ELNS1_3repE0EEENS1_30default_config_static_selectorELNS0_4arch9wavefront6targetE1EEEvT1_: ; @_ZN7rocprim17ROCPRIM_400000_NS6detail17trampoline_kernelINS0_14default_configENS1_20scan_config_selectorIfEEZZNS1_9scan_implILNS1_25lookback_scan_determinismE0ELb0ELb0ES3_N6thrust23THRUST_200600_302600_NS6detail15normal_iteratorINS9_10device_ptrIfEEEESE_fNS9_4plusIiEEfEEDaPvRmT3_T4_T5_mT6_P12ihipStream_tbENKUlT_T0_E_clISt17integral_constantIbLb1EEST_IbLb0EEEEDaSP_SQ_EUlSP_E_NS1_11comp_targetILNS1_3genE10ELNS1_11target_archE1201ELNS1_3gpuE5ELNS1_3repE0EEENS1_30default_config_static_selectorELNS0_4arch9wavefront6targetE1EEEvT1_
; %bb.0:
	.section	.rodata,"a",@progbits
	.p2align	6, 0x0
	.amdhsa_kernel _ZN7rocprim17ROCPRIM_400000_NS6detail17trampoline_kernelINS0_14default_configENS1_20scan_config_selectorIfEEZZNS1_9scan_implILNS1_25lookback_scan_determinismE0ELb0ELb0ES3_N6thrust23THRUST_200600_302600_NS6detail15normal_iteratorINS9_10device_ptrIfEEEESE_fNS9_4plusIiEEfEEDaPvRmT3_T4_T5_mT6_P12ihipStream_tbENKUlT_T0_E_clISt17integral_constantIbLb1EEST_IbLb0EEEEDaSP_SQ_EUlSP_E_NS1_11comp_targetILNS1_3genE10ELNS1_11target_archE1201ELNS1_3gpuE5ELNS1_3repE0EEENS1_30default_config_static_selectorELNS0_4arch9wavefront6targetE1EEEvT1_
		.amdhsa_group_segment_fixed_size 0
		.amdhsa_private_segment_fixed_size 0
		.amdhsa_kernarg_size 96
		.amdhsa_user_sgpr_count 6
		.amdhsa_user_sgpr_private_segment_buffer 1
		.amdhsa_user_sgpr_dispatch_ptr 0
		.amdhsa_user_sgpr_queue_ptr 0
		.amdhsa_user_sgpr_kernarg_segment_ptr 1
		.amdhsa_user_sgpr_dispatch_id 0
		.amdhsa_user_sgpr_flat_scratch_init 0
		.amdhsa_user_sgpr_kernarg_preload_length 0
		.amdhsa_user_sgpr_kernarg_preload_offset 0
		.amdhsa_user_sgpr_private_segment_size 0
		.amdhsa_uses_dynamic_stack 0
		.amdhsa_system_sgpr_private_segment_wavefront_offset 0
		.amdhsa_system_sgpr_workgroup_id_x 1
		.amdhsa_system_sgpr_workgroup_id_y 0
		.amdhsa_system_sgpr_workgroup_id_z 0
		.amdhsa_system_sgpr_workgroup_info 0
		.amdhsa_system_vgpr_workitem_id 0
		.amdhsa_next_free_vgpr 1
		.amdhsa_next_free_sgpr 0
		.amdhsa_accum_offset 4
		.amdhsa_reserve_vcc 0
		.amdhsa_reserve_flat_scratch 0
		.amdhsa_float_round_mode_32 0
		.amdhsa_float_round_mode_16_64 0
		.amdhsa_float_denorm_mode_32 3
		.amdhsa_float_denorm_mode_16_64 3
		.amdhsa_dx10_clamp 1
		.amdhsa_ieee_mode 1
		.amdhsa_fp16_overflow 0
		.amdhsa_tg_split 0
		.amdhsa_exception_fp_ieee_invalid_op 0
		.amdhsa_exception_fp_denorm_src 0
		.amdhsa_exception_fp_ieee_div_zero 0
		.amdhsa_exception_fp_ieee_overflow 0
		.amdhsa_exception_fp_ieee_underflow 0
		.amdhsa_exception_fp_ieee_inexact 0
		.amdhsa_exception_int_div_zero 0
	.end_amdhsa_kernel
	.section	.text._ZN7rocprim17ROCPRIM_400000_NS6detail17trampoline_kernelINS0_14default_configENS1_20scan_config_selectorIfEEZZNS1_9scan_implILNS1_25lookback_scan_determinismE0ELb0ELb0ES3_N6thrust23THRUST_200600_302600_NS6detail15normal_iteratorINS9_10device_ptrIfEEEESE_fNS9_4plusIiEEfEEDaPvRmT3_T4_T5_mT6_P12ihipStream_tbENKUlT_T0_E_clISt17integral_constantIbLb1EEST_IbLb0EEEEDaSP_SQ_EUlSP_E_NS1_11comp_targetILNS1_3genE10ELNS1_11target_archE1201ELNS1_3gpuE5ELNS1_3repE0EEENS1_30default_config_static_selectorELNS0_4arch9wavefront6targetE1EEEvT1_,"axG",@progbits,_ZN7rocprim17ROCPRIM_400000_NS6detail17trampoline_kernelINS0_14default_configENS1_20scan_config_selectorIfEEZZNS1_9scan_implILNS1_25lookback_scan_determinismE0ELb0ELb0ES3_N6thrust23THRUST_200600_302600_NS6detail15normal_iteratorINS9_10device_ptrIfEEEESE_fNS9_4plusIiEEfEEDaPvRmT3_T4_T5_mT6_P12ihipStream_tbENKUlT_T0_E_clISt17integral_constantIbLb1EEST_IbLb0EEEEDaSP_SQ_EUlSP_E_NS1_11comp_targetILNS1_3genE10ELNS1_11target_archE1201ELNS1_3gpuE5ELNS1_3repE0EEENS1_30default_config_static_selectorELNS0_4arch9wavefront6targetE1EEEvT1_,comdat
.Lfunc_end1538:
	.size	_ZN7rocprim17ROCPRIM_400000_NS6detail17trampoline_kernelINS0_14default_configENS1_20scan_config_selectorIfEEZZNS1_9scan_implILNS1_25lookback_scan_determinismE0ELb0ELb0ES3_N6thrust23THRUST_200600_302600_NS6detail15normal_iteratorINS9_10device_ptrIfEEEESE_fNS9_4plusIiEEfEEDaPvRmT3_T4_T5_mT6_P12ihipStream_tbENKUlT_T0_E_clISt17integral_constantIbLb1EEST_IbLb0EEEEDaSP_SQ_EUlSP_E_NS1_11comp_targetILNS1_3genE10ELNS1_11target_archE1201ELNS1_3gpuE5ELNS1_3repE0EEENS1_30default_config_static_selectorELNS0_4arch9wavefront6targetE1EEEvT1_, .Lfunc_end1538-_ZN7rocprim17ROCPRIM_400000_NS6detail17trampoline_kernelINS0_14default_configENS1_20scan_config_selectorIfEEZZNS1_9scan_implILNS1_25lookback_scan_determinismE0ELb0ELb0ES3_N6thrust23THRUST_200600_302600_NS6detail15normal_iteratorINS9_10device_ptrIfEEEESE_fNS9_4plusIiEEfEEDaPvRmT3_T4_T5_mT6_P12ihipStream_tbENKUlT_T0_E_clISt17integral_constantIbLb1EEST_IbLb0EEEEDaSP_SQ_EUlSP_E_NS1_11comp_targetILNS1_3genE10ELNS1_11target_archE1201ELNS1_3gpuE5ELNS1_3repE0EEENS1_30default_config_static_selectorELNS0_4arch9wavefront6targetE1EEEvT1_
                                        ; -- End function
	.section	.AMDGPU.csdata,"",@progbits
; Kernel info:
; codeLenInByte = 0
; NumSgprs: 4
; NumVgprs: 0
; NumAgprs: 0
; TotalNumVgprs: 0
; ScratchSize: 0
; MemoryBound: 0
; FloatMode: 240
; IeeeMode: 1
; LDSByteSize: 0 bytes/workgroup (compile time only)
; SGPRBlocks: 0
; VGPRBlocks: 0
; NumSGPRsForWavesPerEU: 4
; NumVGPRsForWavesPerEU: 1
; AccumOffset: 4
; Occupancy: 8
; WaveLimiterHint : 0
; COMPUTE_PGM_RSRC2:SCRATCH_EN: 0
; COMPUTE_PGM_RSRC2:USER_SGPR: 6
; COMPUTE_PGM_RSRC2:TRAP_HANDLER: 0
; COMPUTE_PGM_RSRC2:TGID_X_EN: 1
; COMPUTE_PGM_RSRC2:TGID_Y_EN: 0
; COMPUTE_PGM_RSRC2:TGID_Z_EN: 0
; COMPUTE_PGM_RSRC2:TIDIG_COMP_CNT: 0
; COMPUTE_PGM_RSRC3_GFX90A:ACCUM_OFFSET: 0
; COMPUTE_PGM_RSRC3_GFX90A:TG_SPLIT: 0
	.section	.text._ZN7rocprim17ROCPRIM_400000_NS6detail17trampoline_kernelINS0_14default_configENS1_20scan_config_selectorIfEEZZNS1_9scan_implILNS1_25lookback_scan_determinismE0ELb0ELb0ES3_N6thrust23THRUST_200600_302600_NS6detail15normal_iteratorINS9_10device_ptrIfEEEESE_fNS9_4plusIiEEfEEDaPvRmT3_T4_T5_mT6_P12ihipStream_tbENKUlT_T0_E_clISt17integral_constantIbLb1EEST_IbLb0EEEEDaSP_SQ_EUlSP_E_NS1_11comp_targetILNS1_3genE10ELNS1_11target_archE1200ELNS1_3gpuE4ELNS1_3repE0EEENS1_30default_config_static_selectorELNS0_4arch9wavefront6targetE1EEEvT1_,"axG",@progbits,_ZN7rocprim17ROCPRIM_400000_NS6detail17trampoline_kernelINS0_14default_configENS1_20scan_config_selectorIfEEZZNS1_9scan_implILNS1_25lookback_scan_determinismE0ELb0ELb0ES3_N6thrust23THRUST_200600_302600_NS6detail15normal_iteratorINS9_10device_ptrIfEEEESE_fNS9_4plusIiEEfEEDaPvRmT3_T4_T5_mT6_P12ihipStream_tbENKUlT_T0_E_clISt17integral_constantIbLb1EEST_IbLb0EEEEDaSP_SQ_EUlSP_E_NS1_11comp_targetILNS1_3genE10ELNS1_11target_archE1200ELNS1_3gpuE4ELNS1_3repE0EEENS1_30default_config_static_selectorELNS0_4arch9wavefront6targetE1EEEvT1_,comdat
	.protected	_ZN7rocprim17ROCPRIM_400000_NS6detail17trampoline_kernelINS0_14default_configENS1_20scan_config_selectorIfEEZZNS1_9scan_implILNS1_25lookback_scan_determinismE0ELb0ELb0ES3_N6thrust23THRUST_200600_302600_NS6detail15normal_iteratorINS9_10device_ptrIfEEEESE_fNS9_4plusIiEEfEEDaPvRmT3_T4_T5_mT6_P12ihipStream_tbENKUlT_T0_E_clISt17integral_constantIbLb1EEST_IbLb0EEEEDaSP_SQ_EUlSP_E_NS1_11comp_targetILNS1_3genE10ELNS1_11target_archE1200ELNS1_3gpuE4ELNS1_3repE0EEENS1_30default_config_static_selectorELNS0_4arch9wavefront6targetE1EEEvT1_ ; -- Begin function _ZN7rocprim17ROCPRIM_400000_NS6detail17trampoline_kernelINS0_14default_configENS1_20scan_config_selectorIfEEZZNS1_9scan_implILNS1_25lookback_scan_determinismE0ELb0ELb0ES3_N6thrust23THRUST_200600_302600_NS6detail15normal_iteratorINS9_10device_ptrIfEEEESE_fNS9_4plusIiEEfEEDaPvRmT3_T4_T5_mT6_P12ihipStream_tbENKUlT_T0_E_clISt17integral_constantIbLb1EEST_IbLb0EEEEDaSP_SQ_EUlSP_E_NS1_11comp_targetILNS1_3genE10ELNS1_11target_archE1200ELNS1_3gpuE4ELNS1_3repE0EEENS1_30default_config_static_selectorELNS0_4arch9wavefront6targetE1EEEvT1_
	.globl	_ZN7rocprim17ROCPRIM_400000_NS6detail17trampoline_kernelINS0_14default_configENS1_20scan_config_selectorIfEEZZNS1_9scan_implILNS1_25lookback_scan_determinismE0ELb0ELb0ES3_N6thrust23THRUST_200600_302600_NS6detail15normal_iteratorINS9_10device_ptrIfEEEESE_fNS9_4plusIiEEfEEDaPvRmT3_T4_T5_mT6_P12ihipStream_tbENKUlT_T0_E_clISt17integral_constantIbLb1EEST_IbLb0EEEEDaSP_SQ_EUlSP_E_NS1_11comp_targetILNS1_3genE10ELNS1_11target_archE1200ELNS1_3gpuE4ELNS1_3repE0EEENS1_30default_config_static_selectorELNS0_4arch9wavefront6targetE1EEEvT1_
	.p2align	8
	.type	_ZN7rocprim17ROCPRIM_400000_NS6detail17trampoline_kernelINS0_14default_configENS1_20scan_config_selectorIfEEZZNS1_9scan_implILNS1_25lookback_scan_determinismE0ELb0ELb0ES3_N6thrust23THRUST_200600_302600_NS6detail15normal_iteratorINS9_10device_ptrIfEEEESE_fNS9_4plusIiEEfEEDaPvRmT3_T4_T5_mT6_P12ihipStream_tbENKUlT_T0_E_clISt17integral_constantIbLb1EEST_IbLb0EEEEDaSP_SQ_EUlSP_E_NS1_11comp_targetILNS1_3genE10ELNS1_11target_archE1200ELNS1_3gpuE4ELNS1_3repE0EEENS1_30default_config_static_selectorELNS0_4arch9wavefront6targetE1EEEvT1_,@function
_ZN7rocprim17ROCPRIM_400000_NS6detail17trampoline_kernelINS0_14default_configENS1_20scan_config_selectorIfEEZZNS1_9scan_implILNS1_25lookback_scan_determinismE0ELb0ELb0ES3_N6thrust23THRUST_200600_302600_NS6detail15normal_iteratorINS9_10device_ptrIfEEEESE_fNS9_4plusIiEEfEEDaPvRmT3_T4_T5_mT6_P12ihipStream_tbENKUlT_T0_E_clISt17integral_constantIbLb1EEST_IbLb0EEEEDaSP_SQ_EUlSP_E_NS1_11comp_targetILNS1_3genE10ELNS1_11target_archE1200ELNS1_3gpuE4ELNS1_3repE0EEENS1_30default_config_static_selectorELNS0_4arch9wavefront6targetE1EEEvT1_: ; @_ZN7rocprim17ROCPRIM_400000_NS6detail17trampoline_kernelINS0_14default_configENS1_20scan_config_selectorIfEEZZNS1_9scan_implILNS1_25lookback_scan_determinismE0ELb0ELb0ES3_N6thrust23THRUST_200600_302600_NS6detail15normal_iteratorINS9_10device_ptrIfEEEESE_fNS9_4plusIiEEfEEDaPvRmT3_T4_T5_mT6_P12ihipStream_tbENKUlT_T0_E_clISt17integral_constantIbLb1EEST_IbLb0EEEEDaSP_SQ_EUlSP_E_NS1_11comp_targetILNS1_3genE10ELNS1_11target_archE1200ELNS1_3gpuE4ELNS1_3repE0EEENS1_30default_config_static_selectorELNS0_4arch9wavefront6targetE1EEEvT1_
; %bb.0:
	.section	.rodata,"a",@progbits
	.p2align	6, 0x0
	.amdhsa_kernel _ZN7rocprim17ROCPRIM_400000_NS6detail17trampoline_kernelINS0_14default_configENS1_20scan_config_selectorIfEEZZNS1_9scan_implILNS1_25lookback_scan_determinismE0ELb0ELb0ES3_N6thrust23THRUST_200600_302600_NS6detail15normal_iteratorINS9_10device_ptrIfEEEESE_fNS9_4plusIiEEfEEDaPvRmT3_T4_T5_mT6_P12ihipStream_tbENKUlT_T0_E_clISt17integral_constantIbLb1EEST_IbLb0EEEEDaSP_SQ_EUlSP_E_NS1_11comp_targetILNS1_3genE10ELNS1_11target_archE1200ELNS1_3gpuE4ELNS1_3repE0EEENS1_30default_config_static_selectorELNS0_4arch9wavefront6targetE1EEEvT1_
		.amdhsa_group_segment_fixed_size 0
		.amdhsa_private_segment_fixed_size 0
		.amdhsa_kernarg_size 96
		.amdhsa_user_sgpr_count 6
		.amdhsa_user_sgpr_private_segment_buffer 1
		.amdhsa_user_sgpr_dispatch_ptr 0
		.amdhsa_user_sgpr_queue_ptr 0
		.amdhsa_user_sgpr_kernarg_segment_ptr 1
		.amdhsa_user_sgpr_dispatch_id 0
		.amdhsa_user_sgpr_flat_scratch_init 0
		.amdhsa_user_sgpr_kernarg_preload_length 0
		.amdhsa_user_sgpr_kernarg_preload_offset 0
		.amdhsa_user_sgpr_private_segment_size 0
		.amdhsa_uses_dynamic_stack 0
		.amdhsa_system_sgpr_private_segment_wavefront_offset 0
		.amdhsa_system_sgpr_workgroup_id_x 1
		.amdhsa_system_sgpr_workgroup_id_y 0
		.amdhsa_system_sgpr_workgroup_id_z 0
		.amdhsa_system_sgpr_workgroup_info 0
		.amdhsa_system_vgpr_workitem_id 0
		.amdhsa_next_free_vgpr 1
		.amdhsa_next_free_sgpr 0
		.amdhsa_accum_offset 4
		.amdhsa_reserve_vcc 0
		.amdhsa_reserve_flat_scratch 0
		.amdhsa_float_round_mode_32 0
		.amdhsa_float_round_mode_16_64 0
		.amdhsa_float_denorm_mode_32 3
		.amdhsa_float_denorm_mode_16_64 3
		.amdhsa_dx10_clamp 1
		.amdhsa_ieee_mode 1
		.amdhsa_fp16_overflow 0
		.amdhsa_tg_split 0
		.amdhsa_exception_fp_ieee_invalid_op 0
		.amdhsa_exception_fp_denorm_src 0
		.amdhsa_exception_fp_ieee_div_zero 0
		.amdhsa_exception_fp_ieee_overflow 0
		.amdhsa_exception_fp_ieee_underflow 0
		.amdhsa_exception_fp_ieee_inexact 0
		.amdhsa_exception_int_div_zero 0
	.end_amdhsa_kernel
	.section	.text._ZN7rocprim17ROCPRIM_400000_NS6detail17trampoline_kernelINS0_14default_configENS1_20scan_config_selectorIfEEZZNS1_9scan_implILNS1_25lookback_scan_determinismE0ELb0ELb0ES3_N6thrust23THRUST_200600_302600_NS6detail15normal_iteratorINS9_10device_ptrIfEEEESE_fNS9_4plusIiEEfEEDaPvRmT3_T4_T5_mT6_P12ihipStream_tbENKUlT_T0_E_clISt17integral_constantIbLb1EEST_IbLb0EEEEDaSP_SQ_EUlSP_E_NS1_11comp_targetILNS1_3genE10ELNS1_11target_archE1200ELNS1_3gpuE4ELNS1_3repE0EEENS1_30default_config_static_selectorELNS0_4arch9wavefront6targetE1EEEvT1_,"axG",@progbits,_ZN7rocprim17ROCPRIM_400000_NS6detail17trampoline_kernelINS0_14default_configENS1_20scan_config_selectorIfEEZZNS1_9scan_implILNS1_25lookback_scan_determinismE0ELb0ELb0ES3_N6thrust23THRUST_200600_302600_NS6detail15normal_iteratorINS9_10device_ptrIfEEEESE_fNS9_4plusIiEEfEEDaPvRmT3_T4_T5_mT6_P12ihipStream_tbENKUlT_T0_E_clISt17integral_constantIbLb1EEST_IbLb0EEEEDaSP_SQ_EUlSP_E_NS1_11comp_targetILNS1_3genE10ELNS1_11target_archE1200ELNS1_3gpuE4ELNS1_3repE0EEENS1_30default_config_static_selectorELNS0_4arch9wavefront6targetE1EEEvT1_,comdat
.Lfunc_end1539:
	.size	_ZN7rocprim17ROCPRIM_400000_NS6detail17trampoline_kernelINS0_14default_configENS1_20scan_config_selectorIfEEZZNS1_9scan_implILNS1_25lookback_scan_determinismE0ELb0ELb0ES3_N6thrust23THRUST_200600_302600_NS6detail15normal_iteratorINS9_10device_ptrIfEEEESE_fNS9_4plusIiEEfEEDaPvRmT3_T4_T5_mT6_P12ihipStream_tbENKUlT_T0_E_clISt17integral_constantIbLb1EEST_IbLb0EEEEDaSP_SQ_EUlSP_E_NS1_11comp_targetILNS1_3genE10ELNS1_11target_archE1200ELNS1_3gpuE4ELNS1_3repE0EEENS1_30default_config_static_selectorELNS0_4arch9wavefront6targetE1EEEvT1_, .Lfunc_end1539-_ZN7rocprim17ROCPRIM_400000_NS6detail17trampoline_kernelINS0_14default_configENS1_20scan_config_selectorIfEEZZNS1_9scan_implILNS1_25lookback_scan_determinismE0ELb0ELb0ES3_N6thrust23THRUST_200600_302600_NS6detail15normal_iteratorINS9_10device_ptrIfEEEESE_fNS9_4plusIiEEfEEDaPvRmT3_T4_T5_mT6_P12ihipStream_tbENKUlT_T0_E_clISt17integral_constantIbLb1EEST_IbLb0EEEEDaSP_SQ_EUlSP_E_NS1_11comp_targetILNS1_3genE10ELNS1_11target_archE1200ELNS1_3gpuE4ELNS1_3repE0EEENS1_30default_config_static_selectorELNS0_4arch9wavefront6targetE1EEEvT1_
                                        ; -- End function
	.section	.AMDGPU.csdata,"",@progbits
; Kernel info:
; codeLenInByte = 0
; NumSgprs: 4
; NumVgprs: 0
; NumAgprs: 0
; TotalNumVgprs: 0
; ScratchSize: 0
; MemoryBound: 0
; FloatMode: 240
; IeeeMode: 1
; LDSByteSize: 0 bytes/workgroup (compile time only)
; SGPRBlocks: 0
; VGPRBlocks: 0
; NumSGPRsForWavesPerEU: 4
; NumVGPRsForWavesPerEU: 1
; AccumOffset: 4
; Occupancy: 8
; WaveLimiterHint : 0
; COMPUTE_PGM_RSRC2:SCRATCH_EN: 0
; COMPUTE_PGM_RSRC2:USER_SGPR: 6
; COMPUTE_PGM_RSRC2:TRAP_HANDLER: 0
; COMPUTE_PGM_RSRC2:TGID_X_EN: 1
; COMPUTE_PGM_RSRC2:TGID_Y_EN: 0
; COMPUTE_PGM_RSRC2:TGID_Z_EN: 0
; COMPUTE_PGM_RSRC2:TIDIG_COMP_CNT: 0
; COMPUTE_PGM_RSRC3_GFX90A:ACCUM_OFFSET: 0
; COMPUTE_PGM_RSRC3_GFX90A:TG_SPLIT: 0
	.section	.text._ZN7rocprim17ROCPRIM_400000_NS6detail17trampoline_kernelINS0_14default_configENS1_20scan_config_selectorIfEEZZNS1_9scan_implILNS1_25lookback_scan_determinismE0ELb0ELb0ES3_N6thrust23THRUST_200600_302600_NS6detail15normal_iteratorINS9_10device_ptrIfEEEESE_fNS9_4plusIiEEfEEDaPvRmT3_T4_T5_mT6_P12ihipStream_tbENKUlT_T0_E_clISt17integral_constantIbLb1EEST_IbLb0EEEEDaSP_SQ_EUlSP_E_NS1_11comp_targetILNS1_3genE9ELNS1_11target_archE1100ELNS1_3gpuE3ELNS1_3repE0EEENS1_30default_config_static_selectorELNS0_4arch9wavefront6targetE1EEEvT1_,"axG",@progbits,_ZN7rocprim17ROCPRIM_400000_NS6detail17trampoline_kernelINS0_14default_configENS1_20scan_config_selectorIfEEZZNS1_9scan_implILNS1_25lookback_scan_determinismE0ELb0ELb0ES3_N6thrust23THRUST_200600_302600_NS6detail15normal_iteratorINS9_10device_ptrIfEEEESE_fNS9_4plusIiEEfEEDaPvRmT3_T4_T5_mT6_P12ihipStream_tbENKUlT_T0_E_clISt17integral_constantIbLb1EEST_IbLb0EEEEDaSP_SQ_EUlSP_E_NS1_11comp_targetILNS1_3genE9ELNS1_11target_archE1100ELNS1_3gpuE3ELNS1_3repE0EEENS1_30default_config_static_selectorELNS0_4arch9wavefront6targetE1EEEvT1_,comdat
	.protected	_ZN7rocprim17ROCPRIM_400000_NS6detail17trampoline_kernelINS0_14default_configENS1_20scan_config_selectorIfEEZZNS1_9scan_implILNS1_25lookback_scan_determinismE0ELb0ELb0ES3_N6thrust23THRUST_200600_302600_NS6detail15normal_iteratorINS9_10device_ptrIfEEEESE_fNS9_4plusIiEEfEEDaPvRmT3_T4_T5_mT6_P12ihipStream_tbENKUlT_T0_E_clISt17integral_constantIbLb1EEST_IbLb0EEEEDaSP_SQ_EUlSP_E_NS1_11comp_targetILNS1_3genE9ELNS1_11target_archE1100ELNS1_3gpuE3ELNS1_3repE0EEENS1_30default_config_static_selectorELNS0_4arch9wavefront6targetE1EEEvT1_ ; -- Begin function _ZN7rocprim17ROCPRIM_400000_NS6detail17trampoline_kernelINS0_14default_configENS1_20scan_config_selectorIfEEZZNS1_9scan_implILNS1_25lookback_scan_determinismE0ELb0ELb0ES3_N6thrust23THRUST_200600_302600_NS6detail15normal_iteratorINS9_10device_ptrIfEEEESE_fNS9_4plusIiEEfEEDaPvRmT3_T4_T5_mT6_P12ihipStream_tbENKUlT_T0_E_clISt17integral_constantIbLb1EEST_IbLb0EEEEDaSP_SQ_EUlSP_E_NS1_11comp_targetILNS1_3genE9ELNS1_11target_archE1100ELNS1_3gpuE3ELNS1_3repE0EEENS1_30default_config_static_selectorELNS0_4arch9wavefront6targetE1EEEvT1_
	.globl	_ZN7rocprim17ROCPRIM_400000_NS6detail17trampoline_kernelINS0_14default_configENS1_20scan_config_selectorIfEEZZNS1_9scan_implILNS1_25lookback_scan_determinismE0ELb0ELb0ES3_N6thrust23THRUST_200600_302600_NS6detail15normal_iteratorINS9_10device_ptrIfEEEESE_fNS9_4plusIiEEfEEDaPvRmT3_T4_T5_mT6_P12ihipStream_tbENKUlT_T0_E_clISt17integral_constantIbLb1EEST_IbLb0EEEEDaSP_SQ_EUlSP_E_NS1_11comp_targetILNS1_3genE9ELNS1_11target_archE1100ELNS1_3gpuE3ELNS1_3repE0EEENS1_30default_config_static_selectorELNS0_4arch9wavefront6targetE1EEEvT1_
	.p2align	8
	.type	_ZN7rocprim17ROCPRIM_400000_NS6detail17trampoline_kernelINS0_14default_configENS1_20scan_config_selectorIfEEZZNS1_9scan_implILNS1_25lookback_scan_determinismE0ELb0ELb0ES3_N6thrust23THRUST_200600_302600_NS6detail15normal_iteratorINS9_10device_ptrIfEEEESE_fNS9_4plusIiEEfEEDaPvRmT3_T4_T5_mT6_P12ihipStream_tbENKUlT_T0_E_clISt17integral_constantIbLb1EEST_IbLb0EEEEDaSP_SQ_EUlSP_E_NS1_11comp_targetILNS1_3genE9ELNS1_11target_archE1100ELNS1_3gpuE3ELNS1_3repE0EEENS1_30default_config_static_selectorELNS0_4arch9wavefront6targetE1EEEvT1_,@function
_ZN7rocprim17ROCPRIM_400000_NS6detail17trampoline_kernelINS0_14default_configENS1_20scan_config_selectorIfEEZZNS1_9scan_implILNS1_25lookback_scan_determinismE0ELb0ELb0ES3_N6thrust23THRUST_200600_302600_NS6detail15normal_iteratorINS9_10device_ptrIfEEEESE_fNS9_4plusIiEEfEEDaPvRmT3_T4_T5_mT6_P12ihipStream_tbENKUlT_T0_E_clISt17integral_constantIbLb1EEST_IbLb0EEEEDaSP_SQ_EUlSP_E_NS1_11comp_targetILNS1_3genE9ELNS1_11target_archE1100ELNS1_3gpuE3ELNS1_3repE0EEENS1_30default_config_static_selectorELNS0_4arch9wavefront6targetE1EEEvT1_: ; @_ZN7rocprim17ROCPRIM_400000_NS6detail17trampoline_kernelINS0_14default_configENS1_20scan_config_selectorIfEEZZNS1_9scan_implILNS1_25lookback_scan_determinismE0ELb0ELb0ES3_N6thrust23THRUST_200600_302600_NS6detail15normal_iteratorINS9_10device_ptrIfEEEESE_fNS9_4plusIiEEfEEDaPvRmT3_T4_T5_mT6_P12ihipStream_tbENKUlT_T0_E_clISt17integral_constantIbLb1EEST_IbLb0EEEEDaSP_SQ_EUlSP_E_NS1_11comp_targetILNS1_3genE9ELNS1_11target_archE1100ELNS1_3gpuE3ELNS1_3repE0EEENS1_30default_config_static_selectorELNS0_4arch9wavefront6targetE1EEEvT1_
; %bb.0:
	.section	.rodata,"a",@progbits
	.p2align	6, 0x0
	.amdhsa_kernel _ZN7rocprim17ROCPRIM_400000_NS6detail17trampoline_kernelINS0_14default_configENS1_20scan_config_selectorIfEEZZNS1_9scan_implILNS1_25lookback_scan_determinismE0ELb0ELb0ES3_N6thrust23THRUST_200600_302600_NS6detail15normal_iteratorINS9_10device_ptrIfEEEESE_fNS9_4plusIiEEfEEDaPvRmT3_T4_T5_mT6_P12ihipStream_tbENKUlT_T0_E_clISt17integral_constantIbLb1EEST_IbLb0EEEEDaSP_SQ_EUlSP_E_NS1_11comp_targetILNS1_3genE9ELNS1_11target_archE1100ELNS1_3gpuE3ELNS1_3repE0EEENS1_30default_config_static_selectorELNS0_4arch9wavefront6targetE1EEEvT1_
		.amdhsa_group_segment_fixed_size 0
		.amdhsa_private_segment_fixed_size 0
		.amdhsa_kernarg_size 96
		.amdhsa_user_sgpr_count 6
		.amdhsa_user_sgpr_private_segment_buffer 1
		.amdhsa_user_sgpr_dispatch_ptr 0
		.amdhsa_user_sgpr_queue_ptr 0
		.amdhsa_user_sgpr_kernarg_segment_ptr 1
		.amdhsa_user_sgpr_dispatch_id 0
		.amdhsa_user_sgpr_flat_scratch_init 0
		.amdhsa_user_sgpr_kernarg_preload_length 0
		.amdhsa_user_sgpr_kernarg_preload_offset 0
		.amdhsa_user_sgpr_private_segment_size 0
		.amdhsa_uses_dynamic_stack 0
		.amdhsa_system_sgpr_private_segment_wavefront_offset 0
		.amdhsa_system_sgpr_workgroup_id_x 1
		.amdhsa_system_sgpr_workgroup_id_y 0
		.amdhsa_system_sgpr_workgroup_id_z 0
		.amdhsa_system_sgpr_workgroup_info 0
		.amdhsa_system_vgpr_workitem_id 0
		.amdhsa_next_free_vgpr 1
		.amdhsa_next_free_sgpr 0
		.amdhsa_accum_offset 4
		.amdhsa_reserve_vcc 0
		.amdhsa_reserve_flat_scratch 0
		.amdhsa_float_round_mode_32 0
		.amdhsa_float_round_mode_16_64 0
		.amdhsa_float_denorm_mode_32 3
		.amdhsa_float_denorm_mode_16_64 3
		.amdhsa_dx10_clamp 1
		.amdhsa_ieee_mode 1
		.amdhsa_fp16_overflow 0
		.amdhsa_tg_split 0
		.amdhsa_exception_fp_ieee_invalid_op 0
		.amdhsa_exception_fp_denorm_src 0
		.amdhsa_exception_fp_ieee_div_zero 0
		.amdhsa_exception_fp_ieee_overflow 0
		.amdhsa_exception_fp_ieee_underflow 0
		.amdhsa_exception_fp_ieee_inexact 0
		.amdhsa_exception_int_div_zero 0
	.end_amdhsa_kernel
	.section	.text._ZN7rocprim17ROCPRIM_400000_NS6detail17trampoline_kernelINS0_14default_configENS1_20scan_config_selectorIfEEZZNS1_9scan_implILNS1_25lookback_scan_determinismE0ELb0ELb0ES3_N6thrust23THRUST_200600_302600_NS6detail15normal_iteratorINS9_10device_ptrIfEEEESE_fNS9_4plusIiEEfEEDaPvRmT3_T4_T5_mT6_P12ihipStream_tbENKUlT_T0_E_clISt17integral_constantIbLb1EEST_IbLb0EEEEDaSP_SQ_EUlSP_E_NS1_11comp_targetILNS1_3genE9ELNS1_11target_archE1100ELNS1_3gpuE3ELNS1_3repE0EEENS1_30default_config_static_selectorELNS0_4arch9wavefront6targetE1EEEvT1_,"axG",@progbits,_ZN7rocprim17ROCPRIM_400000_NS6detail17trampoline_kernelINS0_14default_configENS1_20scan_config_selectorIfEEZZNS1_9scan_implILNS1_25lookback_scan_determinismE0ELb0ELb0ES3_N6thrust23THRUST_200600_302600_NS6detail15normal_iteratorINS9_10device_ptrIfEEEESE_fNS9_4plusIiEEfEEDaPvRmT3_T4_T5_mT6_P12ihipStream_tbENKUlT_T0_E_clISt17integral_constantIbLb1EEST_IbLb0EEEEDaSP_SQ_EUlSP_E_NS1_11comp_targetILNS1_3genE9ELNS1_11target_archE1100ELNS1_3gpuE3ELNS1_3repE0EEENS1_30default_config_static_selectorELNS0_4arch9wavefront6targetE1EEEvT1_,comdat
.Lfunc_end1540:
	.size	_ZN7rocprim17ROCPRIM_400000_NS6detail17trampoline_kernelINS0_14default_configENS1_20scan_config_selectorIfEEZZNS1_9scan_implILNS1_25lookback_scan_determinismE0ELb0ELb0ES3_N6thrust23THRUST_200600_302600_NS6detail15normal_iteratorINS9_10device_ptrIfEEEESE_fNS9_4plusIiEEfEEDaPvRmT3_T4_T5_mT6_P12ihipStream_tbENKUlT_T0_E_clISt17integral_constantIbLb1EEST_IbLb0EEEEDaSP_SQ_EUlSP_E_NS1_11comp_targetILNS1_3genE9ELNS1_11target_archE1100ELNS1_3gpuE3ELNS1_3repE0EEENS1_30default_config_static_selectorELNS0_4arch9wavefront6targetE1EEEvT1_, .Lfunc_end1540-_ZN7rocprim17ROCPRIM_400000_NS6detail17trampoline_kernelINS0_14default_configENS1_20scan_config_selectorIfEEZZNS1_9scan_implILNS1_25lookback_scan_determinismE0ELb0ELb0ES3_N6thrust23THRUST_200600_302600_NS6detail15normal_iteratorINS9_10device_ptrIfEEEESE_fNS9_4plusIiEEfEEDaPvRmT3_T4_T5_mT6_P12ihipStream_tbENKUlT_T0_E_clISt17integral_constantIbLb1EEST_IbLb0EEEEDaSP_SQ_EUlSP_E_NS1_11comp_targetILNS1_3genE9ELNS1_11target_archE1100ELNS1_3gpuE3ELNS1_3repE0EEENS1_30default_config_static_selectorELNS0_4arch9wavefront6targetE1EEEvT1_
                                        ; -- End function
	.section	.AMDGPU.csdata,"",@progbits
; Kernel info:
; codeLenInByte = 0
; NumSgprs: 4
; NumVgprs: 0
; NumAgprs: 0
; TotalNumVgprs: 0
; ScratchSize: 0
; MemoryBound: 0
; FloatMode: 240
; IeeeMode: 1
; LDSByteSize: 0 bytes/workgroup (compile time only)
; SGPRBlocks: 0
; VGPRBlocks: 0
; NumSGPRsForWavesPerEU: 4
; NumVGPRsForWavesPerEU: 1
; AccumOffset: 4
; Occupancy: 8
; WaveLimiterHint : 0
; COMPUTE_PGM_RSRC2:SCRATCH_EN: 0
; COMPUTE_PGM_RSRC2:USER_SGPR: 6
; COMPUTE_PGM_RSRC2:TRAP_HANDLER: 0
; COMPUTE_PGM_RSRC2:TGID_X_EN: 1
; COMPUTE_PGM_RSRC2:TGID_Y_EN: 0
; COMPUTE_PGM_RSRC2:TGID_Z_EN: 0
; COMPUTE_PGM_RSRC2:TIDIG_COMP_CNT: 0
; COMPUTE_PGM_RSRC3_GFX90A:ACCUM_OFFSET: 0
; COMPUTE_PGM_RSRC3_GFX90A:TG_SPLIT: 0
	.section	.text._ZN7rocprim17ROCPRIM_400000_NS6detail17trampoline_kernelINS0_14default_configENS1_20scan_config_selectorIfEEZZNS1_9scan_implILNS1_25lookback_scan_determinismE0ELb0ELb0ES3_N6thrust23THRUST_200600_302600_NS6detail15normal_iteratorINS9_10device_ptrIfEEEESE_fNS9_4plusIiEEfEEDaPvRmT3_T4_T5_mT6_P12ihipStream_tbENKUlT_T0_E_clISt17integral_constantIbLb1EEST_IbLb0EEEEDaSP_SQ_EUlSP_E_NS1_11comp_targetILNS1_3genE8ELNS1_11target_archE1030ELNS1_3gpuE2ELNS1_3repE0EEENS1_30default_config_static_selectorELNS0_4arch9wavefront6targetE1EEEvT1_,"axG",@progbits,_ZN7rocprim17ROCPRIM_400000_NS6detail17trampoline_kernelINS0_14default_configENS1_20scan_config_selectorIfEEZZNS1_9scan_implILNS1_25lookback_scan_determinismE0ELb0ELb0ES3_N6thrust23THRUST_200600_302600_NS6detail15normal_iteratorINS9_10device_ptrIfEEEESE_fNS9_4plusIiEEfEEDaPvRmT3_T4_T5_mT6_P12ihipStream_tbENKUlT_T0_E_clISt17integral_constantIbLb1EEST_IbLb0EEEEDaSP_SQ_EUlSP_E_NS1_11comp_targetILNS1_3genE8ELNS1_11target_archE1030ELNS1_3gpuE2ELNS1_3repE0EEENS1_30default_config_static_selectorELNS0_4arch9wavefront6targetE1EEEvT1_,comdat
	.protected	_ZN7rocprim17ROCPRIM_400000_NS6detail17trampoline_kernelINS0_14default_configENS1_20scan_config_selectorIfEEZZNS1_9scan_implILNS1_25lookback_scan_determinismE0ELb0ELb0ES3_N6thrust23THRUST_200600_302600_NS6detail15normal_iteratorINS9_10device_ptrIfEEEESE_fNS9_4plusIiEEfEEDaPvRmT3_T4_T5_mT6_P12ihipStream_tbENKUlT_T0_E_clISt17integral_constantIbLb1EEST_IbLb0EEEEDaSP_SQ_EUlSP_E_NS1_11comp_targetILNS1_3genE8ELNS1_11target_archE1030ELNS1_3gpuE2ELNS1_3repE0EEENS1_30default_config_static_selectorELNS0_4arch9wavefront6targetE1EEEvT1_ ; -- Begin function _ZN7rocprim17ROCPRIM_400000_NS6detail17trampoline_kernelINS0_14default_configENS1_20scan_config_selectorIfEEZZNS1_9scan_implILNS1_25lookback_scan_determinismE0ELb0ELb0ES3_N6thrust23THRUST_200600_302600_NS6detail15normal_iteratorINS9_10device_ptrIfEEEESE_fNS9_4plusIiEEfEEDaPvRmT3_T4_T5_mT6_P12ihipStream_tbENKUlT_T0_E_clISt17integral_constantIbLb1EEST_IbLb0EEEEDaSP_SQ_EUlSP_E_NS1_11comp_targetILNS1_3genE8ELNS1_11target_archE1030ELNS1_3gpuE2ELNS1_3repE0EEENS1_30default_config_static_selectorELNS0_4arch9wavefront6targetE1EEEvT1_
	.globl	_ZN7rocprim17ROCPRIM_400000_NS6detail17trampoline_kernelINS0_14default_configENS1_20scan_config_selectorIfEEZZNS1_9scan_implILNS1_25lookback_scan_determinismE0ELb0ELb0ES3_N6thrust23THRUST_200600_302600_NS6detail15normal_iteratorINS9_10device_ptrIfEEEESE_fNS9_4plusIiEEfEEDaPvRmT3_T4_T5_mT6_P12ihipStream_tbENKUlT_T0_E_clISt17integral_constantIbLb1EEST_IbLb0EEEEDaSP_SQ_EUlSP_E_NS1_11comp_targetILNS1_3genE8ELNS1_11target_archE1030ELNS1_3gpuE2ELNS1_3repE0EEENS1_30default_config_static_selectorELNS0_4arch9wavefront6targetE1EEEvT1_
	.p2align	8
	.type	_ZN7rocprim17ROCPRIM_400000_NS6detail17trampoline_kernelINS0_14default_configENS1_20scan_config_selectorIfEEZZNS1_9scan_implILNS1_25lookback_scan_determinismE0ELb0ELb0ES3_N6thrust23THRUST_200600_302600_NS6detail15normal_iteratorINS9_10device_ptrIfEEEESE_fNS9_4plusIiEEfEEDaPvRmT3_T4_T5_mT6_P12ihipStream_tbENKUlT_T0_E_clISt17integral_constantIbLb1EEST_IbLb0EEEEDaSP_SQ_EUlSP_E_NS1_11comp_targetILNS1_3genE8ELNS1_11target_archE1030ELNS1_3gpuE2ELNS1_3repE0EEENS1_30default_config_static_selectorELNS0_4arch9wavefront6targetE1EEEvT1_,@function
_ZN7rocprim17ROCPRIM_400000_NS6detail17trampoline_kernelINS0_14default_configENS1_20scan_config_selectorIfEEZZNS1_9scan_implILNS1_25lookback_scan_determinismE0ELb0ELb0ES3_N6thrust23THRUST_200600_302600_NS6detail15normal_iteratorINS9_10device_ptrIfEEEESE_fNS9_4plusIiEEfEEDaPvRmT3_T4_T5_mT6_P12ihipStream_tbENKUlT_T0_E_clISt17integral_constantIbLb1EEST_IbLb0EEEEDaSP_SQ_EUlSP_E_NS1_11comp_targetILNS1_3genE8ELNS1_11target_archE1030ELNS1_3gpuE2ELNS1_3repE0EEENS1_30default_config_static_selectorELNS0_4arch9wavefront6targetE1EEEvT1_: ; @_ZN7rocprim17ROCPRIM_400000_NS6detail17trampoline_kernelINS0_14default_configENS1_20scan_config_selectorIfEEZZNS1_9scan_implILNS1_25lookback_scan_determinismE0ELb0ELb0ES3_N6thrust23THRUST_200600_302600_NS6detail15normal_iteratorINS9_10device_ptrIfEEEESE_fNS9_4plusIiEEfEEDaPvRmT3_T4_T5_mT6_P12ihipStream_tbENKUlT_T0_E_clISt17integral_constantIbLb1EEST_IbLb0EEEEDaSP_SQ_EUlSP_E_NS1_11comp_targetILNS1_3genE8ELNS1_11target_archE1030ELNS1_3gpuE2ELNS1_3repE0EEENS1_30default_config_static_selectorELNS0_4arch9wavefront6targetE1EEEvT1_
; %bb.0:
	.section	.rodata,"a",@progbits
	.p2align	6, 0x0
	.amdhsa_kernel _ZN7rocprim17ROCPRIM_400000_NS6detail17trampoline_kernelINS0_14default_configENS1_20scan_config_selectorIfEEZZNS1_9scan_implILNS1_25lookback_scan_determinismE0ELb0ELb0ES3_N6thrust23THRUST_200600_302600_NS6detail15normal_iteratorINS9_10device_ptrIfEEEESE_fNS9_4plusIiEEfEEDaPvRmT3_T4_T5_mT6_P12ihipStream_tbENKUlT_T0_E_clISt17integral_constantIbLb1EEST_IbLb0EEEEDaSP_SQ_EUlSP_E_NS1_11comp_targetILNS1_3genE8ELNS1_11target_archE1030ELNS1_3gpuE2ELNS1_3repE0EEENS1_30default_config_static_selectorELNS0_4arch9wavefront6targetE1EEEvT1_
		.amdhsa_group_segment_fixed_size 0
		.amdhsa_private_segment_fixed_size 0
		.amdhsa_kernarg_size 96
		.amdhsa_user_sgpr_count 6
		.amdhsa_user_sgpr_private_segment_buffer 1
		.amdhsa_user_sgpr_dispatch_ptr 0
		.amdhsa_user_sgpr_queue_ptr 0
		.amdhsa_user_sgpr_kernarg_segment_ptr 1
		.amdhsa_user_sgpr_dispatch_id 0
		.amdhsa_user_sgpr_flat_scratch_init 0
		.amdhsa_user_sgpr_kernarg_preload_length 0
		.amdhsa_user_sgpr_kernarg_preload_offset 0
		.amdhsa_user_sgpr_private_segment_size 0
		.amdhsa_uses_dynamic_stack 0
		.amdhsa_system_sgpr_private_segment_wavefront_offset 0
		.amdhsa_system_sgpr_workgroup_id_x 1
		.amdhsa_system_sgpr_workgroup_id_y 0
		.amdhsa_system_sgpr_workgroup_id_z 0
		.amdhsa_system_sgpr_workgroup_info 0
		.amdhsa_system_vgpr_workitem_id 0
		.amdhsa_next_free_vgpr 1
		.amdhsa_next_free_sgpr 0
		.amdhsa_accum_offset 4
		.amdhsa_reserve_vcc 0
		.amdhsa_reserve_flat_scratch 0
		.amdhsa_float_round_mode_32 0
		.amdhsa_float_round_mode_16_64 0
		.amdhsa_float_denorm_mode_32 3
		.amdhsa_float_denorm_mode_16_64 3
		.amdhsa_dx10_clamp 1
		.amdhsa_ieee_mode 1
		.amdhsa_fp16_overflow 0
		.amdhsa_tg_split 0
		.amdhsa_exception_fp_ieee_invalid_op 0
		.amdhsa_exception_fp_denorm_src 0
		.amdhsa_exception_fp_ieee_div_zero 0
		.amdhsa_exception_fp_ieee_overflow 0
		.amdhsa_exception_fp_ieee_underflow 0
		.amdhsa_exception_fp_ieee_inexact 0
		.amdhsa_exception_int_div_zero 0
	.end_amdhsa_kernel
	.section	.text._ZN7rocprim17ROCPRIM_400000_NS6detail17trampoline_kernelINS0_14default_configENS1_20scan_config_selectorIfEEZZNS1_9scan_implILNS1_25lookback_scan_determinismE0ELb0ELb0ES3_N6thrust23THRUST_200600_302600_NS6detail15normal_iteratorINS9_10device_ptrIfEEEESE_fNS9_4plusIiEEfEEDaPvRmT3_T4_T5_mT6_P12ihipStream_tbENKUlT_T0_E_clISt17integral_constantIbLb1EEST_IbLb0EEEEDaSP_SQ_EUlSP_E_NS1_11comp_targetILNS1_3genE8ELNS1_11target_archE1030ELNS1_3gpuE2ELNS1_3repE0EEENS1_30default_config_static_selectorELNS0_4arch9wavefront6targetE1EEEvT1_,"axG",@progbits,_ZN7rocprim17ROCPRIM_400000_NS6detail17trampoline_kernelINS0_14default_configENS1_20scan_config_selectorIfEEZZNS1_9scan_implILNS1_25lookback_scan_determinismE0ELb0ELb0ES3_N6thrust23THRUST_200600_302600_NS6detail15normal_iteratorINS9_10device_ptrIfEEEESE_fNS9_4plusIiEEfEEDaPvRmT3_T4_T5_mT6_P12ihipStream_tbENKUlT_T0_E_clISt17integral_constantIbLb1EEST_IbLb0EEEEDaSP_SQ_EUlSP_E_NS1_11comp_targetILNS1_3genE8ELNS1_11target_archE1030ELNS1_3gpuE2ELNS1_3repE0EEENS1_30default_config_static_selectorELNS0_4arch9wavefront6targetE1EEEvT1_,comdat
.Lfunc_end1541:
	.size	_ZN7rocprim17ROCPRIM_400000_NS6detail17trampoline_kernelINS0_14default_configENS1_20scan_config_selectorIfEEZZNS1_9scan_implILNS1_25lookback_scan_determinismE0ELb0ELb0ES3_N6thrust23THRUST_200600_302600_NS6detail15normal_iteratorINS9_10device_ptrIfEEEESE_fNS9_4plusIiEEfEEDaPvRmT3_T4_T5_mT6_P12ihipStream_tbENKUlT_T0_E_clISt17integral_constantIbLb1EEST_IbLb0EEEEDaSP_SQ_EUlSP_E_NS1_11comp_targetILNS1_3genE8ELNS1_11target_archE1030ELNS1_3gpuE2ELNS1_3repE0EEENS1_30default_config_static_selectorELNS0_4arch9wavefront6targetE1EEEvT1_, .Lfunc_end1541-_ZN7rocprim17ROCPRIM_400000_NS6detail17trampoline_kernelINS0_14default_configENS1_20scan_config_selectorIfEEZZNS1_9scan_implILNS1_25lookback_scan_determinismE0ELb0ELb0ES3_N6thrust23THRUST_200600_302600_NS6detail15normal_iteratorINS9_10device_ptrIfEEEESE_fNS9_4plusIiEEfEEDaPvRmT3_T4_T5_mT6_P12ihipStream_tbENKUlT_T0_E_clISt17integral_constantIbLb1EEST_IbLb0EEEEDaSP_SQ_EUlSP_E_NS1_11comp_targetILNS1_3genE8ELNS1_11target_archE1030ELNS1_3gpuE2ELNS1_3repE0EEENS1_30default_config_static_selectorELNS0_4arch9wavefront6targetE1EEEvT1_
                                        ; -- End function
	.section	.AMDGPU.csdata,"",@progbits
; Kernel info:
; codeLenInByte = 0
; NumSgprs: 4
; NumVgprs: 0
; NumAgprs: 0
; TotalNumVgprs: 0
; ScratchSize: 0
; MemoryBound: 0
; FloatMode: 240
; IeeeMode: 1
; LDSByteSize: 0 bytes/workgroup (compile time only)
; SGPRBlocks: 0
; VGPRBlocks: 0
; NumSGPRsForWavesPerEU: 4
; NumVGPRsForWavesPerEU: 1
; AccumOffset: 4
; Occupancy: 8
; WaveLimiterHint : 0
; COMPUTE_PGM_RSRC2:SCRATCH_EN: 0
; COMPUTE_PGM_RSRC2:USER_SGPR: 6
; COMPUTE_PGM_RSRC2:TRAP_HANDLER: 0
; COMPUTE_PGM_RSRC2:TGID_X_EN: 1
; COMPUTE_PGM_RSRC2:TGID_Y_EN: 0
; COMPUTE_PGM_RSRC2:TGID_Z_EN: 0
; COMPUTE_PGM_RSRC2:TIDIG_COMP_CNT: 0
; COMPUTE_PGM_RSRC3_GFX90A:ACCUM_OFFSET: 0
; COMPUTE_PGM_RSRC3_GFX90A:TG_SPLIT: 0
	.section	.text._ZN7rocprim17ROCPRIM_400000_NS6detail17trampoline_kernelINS0_14default_configENS1_20scan_config_selectorIfEEZZNS1_9scan_implILNS1_25lookback_scan_determinismE0ELb0ELb0ES3_N6thrust23THRUST_200600_302600_NS6detail15normal_iteratorINS9_10device_ptrIfEEEESE_fNS9_4plusIiEEfEEDaPvRmT3_T4_T5_mT6_P12ihipStream_tbENKUlT_T0_E_clISt17integral_constantIbLb1EEST_IbLb0EEEEDaSP_SQ_EUlSP_E0_NS1_11comp_targetILNS1_3genE0ELNS1_11target_archE4294967295ELNS1_3gpuE0ELNS1_3repE0EEENS1_30default_config_static_selectorELNS0_4arch9wavefront6targetE1EEEvT1_,"axG",@progbits,_ZN7rocprim17ROCPRIM_400000_NS6detail17trampoline_kernelINS0_14default_configENS1_20scan_config_selectorIfEEZZNS1_9scan_implILNS1_25lookback_scan_determinismE0ELb0ELb0ES3_N6thrust23THRUST_200600_302600_NS6detail15normal_iteratorINS9_10device_ptrIfEEEESE_fNS9_4plusIiEEfEEDaPvRmT3_T4_T5_mT6_P12ihipStream_tbENKUlT_T0_E_clISt17integral_constantIbLb1EEST_IbLb0EEEEDaSP_SQ_EUlSP_E0_NS1_11comp_targetILNS1_3genE0ELNS1_11target_archE4294967295ELNS1_3gpuE0ELNS1_3repE0EEENS1_30default_config_static_selectorELNS0_4arch9wavefront6targetE1EEEvT1_,comdat
	.protected	_ZN7rocprim17ROCPRIM_400000_NS6detail17trampoline_kernelINS0_14default_configENS1_20scan_config_selectorIfEEZZNS1_9scan_implILNS1_25lookback_scan_determinismE0ELb0ELb0ES3_N6thrust23THRUST_200600_302600_NS6detail15normal_iteratorINS9_10device_ptrIfEEEESE_fNS9_4plusIiEEfEEDaPvRmT3_T4_T5_mT6_P12ihipStream_tbENKUlT_T0_E_clISt17integral_constantIbLb1EEST_IbLb0EEEEDaSP_SQ_EUlSP_E0_NS1_11comp_targetILNS1_3genE0ELNS1_11target_archE4294967295ELNS1_3gpuE0ELNS1_3repE0EEENS1_30default_config_static_selectorELNS0_4arch9wavefront6targetE1EEEvT1_ ; -- Begin function _ZN7rocprim17ROCPRIM_400000_NS6detail17trampoline_kernelINS0_14default_configENS1_20scan_config_selectorIfEEZZNS1_9scan_implILNS1_25lookback_scan_determinismE0ELb0ELb0ES3_N6thrust23THRUST_200600_302600_NS6detail15normal_iteratorINS9_10device_ptrIfEEEESE_fNS9_4plusIiEEfEEDaPvRmT3_T4_T5_mT6_P12ihipStream_tbENKUlT_T0_E_clISt17integral_constantIbLb1EEST_IbLb0EEEEDaSP_SQ_EUlSP_E0_NS1_11comp_targetILNS1_3genE0ELNS1_11target_archE4294967295ELNS1_3gpuE0ELNS1_3repE0EEENS1_30default_config_static_selectorELNS0_4arch9wavefront6targetE1EEEvT1_
	.globl	_ZN7rocprim17ROCPRIM_400000_NS6detail17trampoline_kernelINS0_14default_configENS1_20scan_config_selectorIfEEZZNS1_9scan_implILNS1_25lookback_scan_determinismE0ELb0ELb0ES3_N6thrust23THRUST_200600_302600_NS6detail15normal_iteratorINS9_10device_ptrIfEEEESE_fNS9_4plusIiEEfEEDaPvRmT3_T4_T5_mT6_P12ihipStream_tbENKUlT_T0_E_clISt17integral_constantIbLb1EEST_IbLb0EEEEDaSP_SQ_EUlSP_E0_NS1_11comp_targetILNS1_3genE0ELNS1_11target_archE4294967295ELNS1_3gpuE0ELNS1_3repE0EEENS1_30default_config_static_selectorELNS0_4arch9wavefront6targetE1EEEvT1_
	.p2align	8
	.type	_ZN7rocprim17ROCPRIM_400000_NS6detail17trampoline_kernelINS0_14default_configENS1_20scan_config_selectorIfEEZZNS1_9scan_implILNS1_25lookback_scan_determinismE0ELb0ELb0ES3_N6thrust23THRUST_200600_302600_NS6detail15normal_iteratorINS9_10device_ptrIfEEEESE_fNS9_4plusIiEEfEEDaPvRmT3_T4_T5_mT6_P12ihipStream_tbENKUlT_T0_E_clISt17integral_constantIbLb1EEST_IbLb0EEEEDaSP_SQ_EUlSP_E0_NS1_11comp_targetILNS1_3genE0ELNS1_11target_archE4294967295ELNS1_3gpuE0ELNS1_3repE0EEENS1_30default_config_static_selectorELNS0_4arch9wavefront6targetE1EEEvT1_,@function
_ZN7rocprim17ROCPRIM_400000_NS6detail17trampoline_kernelINS0_14default_configENS1_20scan_config_selectorIfEEZZNS1_9scan_implILNS1_25lookback_scan_determinismE0ELb0ELb0ES3_N6thrust23THRUST_200600_302600_NS6detail15normal_iteratorINS9_10device_ptrIfEEEESE_fNS9_4plusIiEEfEEDaPvRmT3_T4_T5_mT6_P12ihipStream_tbENKUlT_T0_E_clISt17integral_constantIbLb1EEST_IbLb0EEEEDaSP_SQ_EUlSP_E0_NS1_11comp_targetILNS1_3genE0ELNS1_11target_archE4294967295ELNS1_3gpuE0ELNS1_3repE0EEENS1_30default_config_static_selectorELNS0_4arch9wavefront6targetE1EEEvT1_: ; @_ZN7rocprim17ROCPRIM_400000_NS6detail17trampoline_kernelINS0_14default_configENS1_20scan_config_selectorIfEEZZNS1_9scan_implILNS1_25lookback_scan_determinismE0ELb0ELb0ES3_N6thrust23THRUST_200600_302600_NS6detail15normal_iteratorINS9_10device_ptrIfEEEESE_fNS9_4plusIiEEfEEDaPvRmT3_T4_T5_mT6_P12ihipStream_tbENKUlT_T0_E_clISt17integral_constantIbLb1EEST_IbLb0EEEEDaSP_SQ_EUlSP_E0_NS1_11comp_targetILNS1_3genE0ELNS1_11target_archE4294967295ELNS1_3gpuE0ELNS1_3repE0EEENS1_30default_config_static_selectorELNS0_4arch9wavefront6targetE1EEEvT1_
; %bb.0:
	.section	.rodata,"a",@progbits
	.p2align	6, 0x0
	.amdhsa_kernel _ZN7rocprim17ROCPRIM_400000_NS6detail17trampoline_kernelINS0_14default_configENS1_20scan_config_selectorIfEEZZNS1_9scan_implILNS1_25lookback_scan_determinismE0ELb0ELb0ES3_N6thrust23THRUST_200600_302600_NS6detail15normal_iteratorINS9_10device_ptrIfEEEESE_fNS9_4plusIiEEfEEDaPvRmT3_T4_T5_mT6_P12ihipStream_tbENKUlT_T0_E_clISt17integral_constantIbLb1EEST_IbLb0EEEEDaSP_SQ_EUlSP_E0_NS1_11comp_targetILNS1_3genE0ELNS1_11target_archE4294967295ELNS1_3gpuE0ELNS1_3repE0EEENS1_30default_config_static_selectorELNS0_4arch9wavefront6targetE1EEEvT1_
		.amdhsa_group_segment_fixed_size 0
		.amdhsa_private_segment_fixed_size 0
		.amdhsa_kernarg_size 32
		.amdhsa_user_sgpr_count 6
		.amdhsa_user_sgpr_private_segment_buffer 1
		.amdhsa_user_sgpr_dispatch_ptr 0
		.amdhsa_user_sgpr_queue_ptr 0
		.amdhsa_user_sgpr_kernarg_segment_ptr 1
		.amdhsa_user_sgpr_dispatch_id 0
		.amdhsa_user_sgpr_flat_scratch_init 0
		.amdhsa_user_sgpr_kernarg_preload_length 0
		.amdhsa_user_sgpr_kernarg_preload_offset 0
		.amdhsa_user_sgpr_private_segment_size 0
		.amdhsa_uses_dynamic_stack 0
		.amdhsa_system_sgpr_private_segment_wavefront_offset 0
		.amdhsa_system_sgpr_workgroup_id_x 1
		.amdhsa_system_sgpr_workgroup_id_y 0
		.amdhsa_system_sgpr_workgroup_id_z 0
		.amdhsa_system_sgpr_workgroup_info 0
		.amdhsa_system_vgpr_workitem_id 0
		.amdhsa_next_free_vgpr 1
		.amdhsa_next_free_sgpr 0
		.amdhsa_accum_offset 4
		.amdhsa_reserve_vcc 0
		.amdhsa_reserve_flat_scratch 0
		.amdhsa_float_round_mode_32 0
		.amdhsa_float_round_mode_16_64 0
		.amdhsa_float_denorm_mode_32 3
		.amdhsa_float_denorm_mode_16_64 3
		.amdhsa_dx10_clamp 1
		.amdhsa_ieee_mode 1
		.amdhsa_fp16_overflow 0
		.amdhsa_tg_split 0
		.amdhsa_exception_fp_ieee_invalid_op 0
		.amdhsa_exception_fp_denorm_src 0
		.amdhsa_exception_fp_ieee_div_zero 0
		.amdhsa_exception_fp_ieee_overflow 0
		.amdhsa_exception_fp_ieee_underflow 0
		.amdhsa_exception_fp_ieee_inexact 0
		.amdhsa_exception_int_div_zero 0
	.end_amdhsa_kernel
	.section	.text._ZN7rocprim17ROCPRIM_400000_NS6detail17trampoline_kernelINS0_14default_configENS1_20scan_config_selectorIfEEZZNS1_9scan_implILNS1_25lookback_scan_determinismE0ELb0ELb0ES3_N6thrust23THRUST_200600_302600_NS6detail15normal_iteratorINS9_10device_ptrIfEEEESE_fNS9_4plusIiEEfEEDaPvRmT3_T4_T5_mT6_P12ihipStream_tbENKUlT_T0_E_clISt17integral_constantIbLb1EEST_IbLb0EEEEDaSP_SQ_EUlSP_E0_NS1_11comp_targetILNS1_3genE0ELNS1_11target_archE4294967295ELNS1_3gpuE0ELNS1_3repE0EEENS1_30default_config_static_selectorELNS0_4arch9wavefront6targetE1EEEvT1_,"axG",@progbits,_ZN7rocprim17ROCPRIM_400000_NS6detail17trampoline_kernelINS0_14default_configENS1_20scan_config_selectorIfEEZZNS1_9scan_implILNS1_25lookback_scan_determinismE0ELb0ELb0ES3_N6thrust23THRUST_200600_302600_NS6detail15normal_iteratorINS9_10device_ptrIfEEEESE_fNS9_4plusIiEEfEEDaPvRmT3_T4_T5_mT6_P12ihipStream_tbENKUlT_T0_E_clISt17integral_constantIbLb1EEST_IbLb0EEEEDaSP_SQ_EUlSP_E0_NS1_11comp_targetILNS1_3genE0ELNS1_11target_archE4294967295ELNS1_3gpuE0ELNS1_3repE0EEENS1_30default_config_static_selectorELNS0_4arch9wavefront6targetE1EEEvT1_,comdat
.Lfunc_end1542:
	.size	_ZN7rocprim17ROCPRIM_400000_NS6detail17trampoline_kernelINS0_14default_configENS1_20scan_config_selectorIfEEZZNS1_9scan_implILNS1_25lookback_scan_determinismE0ELb0ELb0ES3_N6thrust23THRUST_200600_302600_NS6detail15normal_iteratorINS9_10device_ptrIfEEEESE_fNS9_4plusIiEEfEEDaPvRmT3_T4_T5_mT6_P12ihipStream_tbENKUlT_T0_E_clISt17integral_constantIbLb1EEST_IbLb0EEEEDaSP_SQ_EUlSP_E0_NS1_11comp_targetILNS1_3genE0ELNS1_11target_archE4294967295ELNS1_3gpuE0ELNS1_3repE0EEENS1_30default_config_static_selectorELNS0_4arch9wavefront6targetE1EEEvT1_, .Lfunc_end1542-_ZN7rocprim17ROCPRIM_400000_NS6detail17trampoline_kernelINS0_14default_configENS1_20scan_config_selectorIfEEZZNS1_9scan_implILNS1_25lookback_scan_determinismE0ELb0ELb0ES3_N6thrust23THRUST_200600_302600_NS6detail15normal_iteratorINS9_10device_ptrIfEEEESE_fNS9_4plusIiEEfEEDaPvRmT3_T4_T5_mT6_P12ihipStream_tbENKUlT_T0_E_clISt17integral_constantIbLb1EEST_IbLb0EEEEDaSP_SQ_EUlSP_E0_NS1_11comp_targetILNS1_3genE0ELNS1_11target_archE4294967295ELNS1_3gpuE0ELNS1_3repE0EEENS1_30default_config_static_selectorELNS0_4arch9wavefront6targetE1EEEvT1_
                                        ; -- End function
	.section	.AMDGPU.csdata,"",@progbits
; Kernel info:
; codeLenInByte = 0
; NumSgprs: 4
; NumVgprs: 0
; NumAgprs: 0
; TotalNumVgprs: 0
; ScratchSize: 0
; MemoryBound: 0
; FloatMode: 240
; IeeeMode: 1
; LDSByteSize: 0 bytes/workgroup (compile time only)
; SGPRBlocks: 0
; VGPRBlocks: 0
; NumSGPRsForWavesPerEU: 4
; NumVGPRsForWavesPerEU: 1
; AccumOffset: 4
; Occupancy: 8
; WaveLimiterHint : 0
; COMPUTE_PGM_RSRC2:SCRATCH_EN: 0
; COMPUTE_PGM_RSRC2:USER_SGPR: 6
; COMPUTE_PGM_RSRC2:TRAP_HANDLER: 0
; COMPUTE_PGM_RSRC2:TGID_X_EN: 1
; COMPUTE_PGM_RSRC2:TGID_Y_EN: 0
; COMPUTE_PGM_RSRC2:TGID_Z_EN: 0
; COMPUTE_PGM_RSRC2:TIDIG_COMP_CNT: 0
; COMPUTE_PGM_RSRC3_GFX90A:ACCUM_OFFSET: 0
; COMPUTE_PGM_RSRC3_GFX90A:TG_SPLIT: 0
	.section	.text._ZN7rocprim17ROCPRIM_400000_NS6detail17trampoline_kernelINS0_14default_configENS1_20scan_config_selectorIfEEZZNS1_9scan_implILNS1_25lookback_scan_determinismE0ELb0ELb0ES3_N6thrust23THRUST_200600_302600_NS6detail15normal_iteratorINS9_10device_ptrIfEEEESE_fNS9_4plusIiEEfEEDaPvRmT3_T4_T5_mT6_P12ihipStream_tbENKUlT_T0_E_clISt17integral_constantIbLb1EEST_IbLb0EEEEDaSP_SQ_EUlSP_E0_NS1_11comp_targetILNS1_3genE5ELNS1_11target_archE942ELNS1_3gpuE9ELNS1_3repE0EEENS1_30default_config_static_selectorELNS0_4arch9wavefront6targetE1EEEvT1_,"axG",@progbits,_ZN7rocprim17ROCPRIM_400000_NS6detail17trampoline_kernelINS0_14default_configENS1_20scan_config_selectorIfEEZZNS1_9scan_implILNS1_25lookback_scan_determinismE0ELb0ELb0ES3_N6thrust23THRUST_200600_302600_NS6detail15normal_iteratorINS9_10device_ptrIfEEEESE_fNS9_4plusIiEEfEEDaPvRmT3_T4_T5_mT6_P12ihipStream_tbENKUlT_T0_E_clISt17integral_constantIbLb1EEST_IbLb0EEEEDaSP_SQ_EUlSP_E0_NS1_11comp_targetILNS1_3genE5ELNS1_11target_archE942ELNS1_3gpuE9ELNS1_3repE0EEENS1_30default_config_static_selectorELNS0_4arch9wavefront6targetE1EEEvT1_,comdat
	.protected	_ZN7rocprim17ROCPRIM_400000_NS6detail17trampoline_kernelINS0_14default_configENS1_20scan_config_selectorIfEEZZNS1_9scan_implILNS1_25lookback_scan_determinismE0ELb0ELb0ES3_N6thrust23THRUST_200600_302600_NS6detail15normal_iteratorINS9_10device_ptrIfEEEESE_fNS9_4plusIiEEfEEDaPvRmT3_T4_T5_mT6_P12ihipStream_tbENKUlT_T0_E_clISt17integral_constantIbLb1EEST_IbLb0EEEEDaSP_SQ_EUlSP_E0_NS1_11comp_targetILNS1_3genE5ELNS1_11target_archE942ELNS1_3gpuE9ELNS1_3repE0EEENS1_30default_config_static_selectorELNS0_4arch9wavefront6targetE1EEEvT1_ ; -- Begin function _ZN7rocprim17ROCPRIM_400000_NS6detail17trampoline_kernelINS0_14default_configENS1_20scan_config_selectorIfEEZZNS1_9scan_implILNS1_25lookback_scan_determinismE0ELb0ELb0ES3_N6thrust23THRUST_200600_302600_NS6detail15normal_iteratorINS9_10device_ptrIfEEEESE_fNS9_4plusIiEEfEEDaPvRmT3_T4_T5_mT6_P12ihipStream_tbENKUlT_T0_E_clISt17integral_constantIbLb1EEST_IbLb0EEEEDaSP_SQ_EUlSP_E0_NS1_11comp_targetILNS1_3genE5ELNS1_11target_archE942ELNS1_3gpuE9ELNS1_3repE0EEENS1_30default_config_static_selectorELNS0_4arch9wavefront6targetE1EEEvT1_
	.globl	_ZN7rocprim17ROCPRIM_400000_NS6detail17trampoline_kernelINS0_14default_configENS1_20scan_config_selectorIfEEZZNS1_9scan_implILNS1_25lookback_scan_determinismE0ELb0ELb0ES3_N6thrust23THRUST_200600_302600_NS6detail15normal_iteratorINS9_10device_ptrIfEEEESE_fNS9_4plusIiEEfEEDaPvRmT3_T4_T5_mT6_P12ihipStream_tbENKUlT_T0_E_clISt17integral_constantIbLb1EEST_IbLb0EEEEDaSP_SQ_EUlSP_E0_NS1_11comp_targetILNS1_3genE5ELNS1_11target_archE942ELNS1_3gpuE9ELNS1_3repE0EEENS1_30default_config_static_selectorELNS0_4arch9wavefront6targetE1EEEvT1_
	.p2align	8
	.type	_ZN7rocprim17ROCPRIM_400000_NS6detail17trampoline_kernelINS0_14default_configENS1_20scan_config_selectorIfEEZZNS1_9scan_implILNS1_25lookback_scan_determinismE0ELb0ELb0ES3_N6thrust23THRUST_200600_302600_NS6detail15normal_iteratorINS9_10device_ptrIfEEEESE_fNS9_4plusIiEEfEEDaPvRmT3_T4_T5_mT6_P12ihipStream_tbENKUlT_T0_E_clISt17integral_constantIbLb1EEST_IbLb0EEEEDaSP_SQ_EUlSP_E0_NS1_11comp_targetILNS1_3genE5ELNS1_11target_archE942ELNS1_3gpuE9ELNS1_3repE0EEENS1_30default_config_static_selectorELNS0_4arch9wavefront6targetE1EEEvT1_,@function
_ZN7rocprim17ROCPRIM_400000_NS6detail17trampoline_kernelINS0_14default_configENS1_20scan_config_selectorIfEEZZNS1_9scan_implILNS1_25lookback_scan_determinismE0ELb0ELb0ES3_N6thrust23THRUST_200600_302600_NS6detail15normal_iteratorINS9_10device_ptrIfEEEESE_fNS9_4plusIiEEfEEDaPvRmT3_T4_T5_mT6_P12ihipStream_tbENKUlT_T0_E_clISt17integral_constantIbLb1EEST_IbLb0EEEEDaSP_SQ_EUlSP_E0_NS1_11comp_targetILNS1_3genE5ELNS1_11target_archE942ELNS1_3gpuE9ELNS1_3repE0EEENS1_30default_config_static_selectorELNS0_4arch9wavefront6targetE1EEEvT1_: ; @_ZN7rocprim17ROCPRIM_400000_NS6detail17trampoline_kernelINS0_14default_configENS1_20scan_config_selectorIfEEZZNS1_9scan_implILNS1_25lookback_scan_determinismE0ELb0ELb0ES3_N6thrust23THRUST_200600_302600_NS6detail15normal_iteratorINS9_10device_ptrIfEEEESE_fNS9_4plusIiEEfEEDaPvRmT3_T4_T5_mT6_P12ihipStream_tbENKUlT_T0_E_clISt17integral_constantIbLb1EEST_IbLb0EEEEDaSP_SQ_EUlSP_E0_NS1_11comp_targetILNS1_3genE5ELNS1_11target_archE942ELNS1_3gpuE9ELNS1_3repE0EEENS1_30default_config_static_selectorELNS0_4arch9wavefront6targetE1EEEvT1_
; %bb.0:
	.section	.rodata,"a",@progbits
	.p2align	6, 0x0
	.amdhsa_kernel _ZN7rocprim17ROCPRIM_400000_NS6detail17trampoline_kernelINS0_14default_configENS1_20scan_config_selectorIfEEZZNS1_9scan_implILNS1_25lookback_scan_determinismE0ELb0ELb0ES3_N6thrust23THRUST_200600_302600_NS6detail15normal_iteratorINS9_10device_ptrIfEEEESE_fNS9_4plusIiEEfEEDaPvRmT3_T4_T5_mT6_P12ihipStream_tbENKUlT_T0_E_clISt17integral_constantIbLb1EEST_IbLb0EEEEDaSP_SQ_EUlSP_E0_NS1_11comp_targetILNS1_3genE5ELNS1_11target_archE942ELNS1_3gpuE9ELNS1_3repE0EEENS1_30default_config_static_selectorELNS0_4arch9wavefront6targetE1EEEvT1_
		.amdhsa_group_segment_fixed_size 0
		.amdhsa_private_segment_fixed_size 0
		.amdhsa_kernarg_size 32
		.amdhsa_user_sgpr_count 6
		.amdhsa_user_sgpr_private_segment_buffer 1
		.amdhsa_user_sgpr_dispatch_ptr 0
		.amdhsa_user_sgpr_queue_ptr 0
		.amdhsa_user_sgpr_kernarg_segment_ptr 1
		.amdhsa_user_sgpr_dispatch_id 0
		.amdhsa_user_sgpr_flat_scratch_init 0
		.amdhsa_user_sgpr_kernarg_preload_length 0
		.amdhsa_user_sgpr_kernarg_preload_offset 0
		.amdhsa_user_sgpr_private_segment_size 0
		.amdhsa_uses_dynamic_stack 0
		.amdhsa_system_sgpr_private_segment_wavefront_offset 0
		.amdhsa_system_sgpr_workgroup_id_x 1
		.amdhsa_system_sgpr_workgroup_id_y 0
		.amdhsa_system_sgpr_workgroup_id_z 0
		.amdhsa_system_sgpr_workgroup_info 0
		.amdhsa_system_vgpr_workitem_id 0
		.amdhsa_next_free_vgpr 1
		.amdhsa_next_free_sgpr 0
		.amdhsa_accum_offset 4
		.amdhsa_reserve_vcc 0
		.amdhsa_reserve_flat_scratch 0
		.amdhsa_float_round_mode_32 0
		.amdhsa_float_round_mode_16_64 0
		.amdhsa_float_denorm_mode_32 3
		.amdhsa_float_denorm_mode_16_64 3
		.amdhsa_dx10_clamp 1
		.amdhsa_ieee_mode 1
		.amdhsa_fp16_overflow 0
		.amdhsa_tg_split 0
		.amdhsa_exception_fp_ieee_invalid_op 0
		.amdhsa_exception_fp_denorm_src 0
		.amdhsa_exception_fp_ieee_div_zero 0
		.amdhsa_exception_fp_ieee_overflow 0
		.amdhsa_exception_fp_ieee_underflow 0
		.amdhsa_exception_fp_ieee_inexact 0
		.amdhsa_exception_int_div_zero 0
	.end_amdhsa_kernel
	.section	.text._ZN7rocprim17ROCPRIM_400000_NS6detail17trampoline_kernelINS0_14default_configENS1_20scan_config_selectorIfEEZZNS1_9scan_implILNS1_25lookback_scan_determinismE0ELb0ELb0ES3_N6thrust23THRUST_200600_302600_NS6detail15normal_iteratorINS9_10device_ptrIfEEEESE_fNS9_4plusIiEEfEEDaPvRmT3_T4_T5_mT6_P12ihipStream_tbENKUlT_T0_E_clISt17integral_constantIbLb1EEST_IbLb0EEEEDaSP_SQ_EUlSP_E0_NS1_11comp_targetILNS1_3genE5ELNS1_11target_archE942ELNS1_3gpuE9ELNS1_3repE0EEENS1_30default_config_static_selectorELNS0_4arch9wavefront6targetE1EEEvT1_,"axG",@progbits,_ZN7rocprim17ROCPRIM_400000_NS6detail17trampoline_kernelINS0_14default_configENS1_20scan_config_selectorIfEEZZNS1_9scan_implILNS1_25lookback_scan_determinismE0ELb0ELb0ES3_N6thrust23THRUST_200600_302600_NS6detail15normal_iteratorINS9_10device_ptrIfEEEESE_fNS9_4plusIiEEfEEDaPvRmT3_T4_T5_mT6_P12ihipStream_tbENKUlT_T0_E_clISt17integral_constantIbLb1EEST_IbLb0EEEEDaSP_SQ_EUlSP_E0_NS1_11comp_targetILNS1_3genE5ELNS1_11target_archE942ELNS1_3gpuE9ELNS1_3repE0EEENS1_30default_config_static_selectorELNS0_4arch9wavefront6targetE1EEEvT1_,comdat
.Lfunc_end1543:
	.size	_ZN7rocprim17ROCPRIM_400000_NS6detail17trampoline_kernelINS0_14default_configENS1_20scan_config_selectorIfEEZZNS1_9scan_implILNS1_25lookback_scan_determinismE0ELb0ELb0ES3_N6thrust23THRUST_200600_302600_NS6detail15normal_iteratorINS9_10device_ptrIfEEEESE_fNS9_4plusIiEEfEEDaPvRmT3_T4_T5_mT6_P12ihipStream_tbENKUlT_T0_E_clISt17integral_constantIbLb1EEST_IbLb0EEEEDaSP_SQ_EUlSP_E0_NS1_11comp_targetILNS1_3genE5ELNS1_11target_archE942ELNS1_3gpuE9ELNS1_3repE0EEENS1_30default_config_static_selectorELNS0_4arch9wavefront6targetE1EEEvT1_, .Lfunc_end1543-_ZN7rocprim17ROCPRIM_400000_NS6detail17trampoline_kernelINS0_14default_configENS1_20scan_config_selectorIfEEZZNS1_9scan_implILNS1_25lookback_scan_determinismE0ELb0ELb0ES3_N6thrust23THRUST_200600_302600_NS6detail15normal_iteratorINS9_10device_ptrIfEEEESE_fNS9_4plusIiEEfEEDaPvRmT3_T4_T5_mT6_P12ihipStream_tbENKUlT_T0_E_clISt17integral_constantIbLb1EEST_IbLb0EEEEDaSP_SQ_EUlSP_E0_NS1_11comp_targetILNS1_3genE5ELNS1_11target_archE942ELNS1_3gpuE9ELNS1_3repE0EEENS1_30default_config_static_selectorELNS0_4arch9wavefront6targetE1EEEvT1_
                                        ; -- End function
	.section	.AMDGPU.csdata,"",@progbits
; Kernel info:
; codeLenInByte = 0
; NumSgprs: 4
; NumVgprs: 0
; NumAgprs: 0
; TotalNumVgprs: 0
; ScratchSize: 0
; MemoryBound: 0
; FloatMode: 240
; IeeeMode: 1
; LDSByteSize: 0 bytes/workgroup (compile time only)
; SGPRBlocks: 0
; VGPRBlocks: 0
; NumSGPRsForWavesPerEU: 4
; NumVGPRsForWavesPerEU: 1
; AccumOffset: 4
; Occupancy: 8
; WaveLimiterHint : 0
; COMPUTE_PGM_RSRC2:SCRATCH_EN: 0
; COMPUTE_PGM_RSRC2:USER_SGPR: 6
; COMPUTE_PGM_RSRC2:TRAP_HANDLER: 0
; COMPUTE_PGM_RSRC2:TGID_X_EN: 1
; COMPUTE_PGM_RSRC2:TGID_Y_EN: 0
; COMPUTE_PGM_RSRC2:TGID_Z_EN: 0
; COMPUTE_PGM_RSRC2:TIDIG_COMP_CNT: 0
; COMPUTE_PGM_RSRC3_GFX90A:ACCUM_OFFSET: 0
; COMPUTE_PGM_RSRC3_GFX90A:TG_SPLIT: 0
	.section	.text._ZN7rocprim17ROCPRIM_400000_NS6detail17trampoline_kernelINS0_14default_configENS1_20scan_config_selectorIfEEZZNS1_9scan_implILNS1_25lookback_scan_determinismE0ELb0ELb0ES3_N6thrust23THRUST_200600_302600_NS6detail15normal_iteratorINS9_10device_ptrIfEEEESE_fNS9_4plusIiEEfEEDaPvRmT3_T4_T5_mT6_P12ihipStream_tbENKUlT_T0_E_clISt17integral_constantIbLb1EEST_IbLb0EEEEDaSP_SQ_EUlSP_E0_NS1_11comp_targetILNS1_3genE4ELNS1_11target_archE910ELNS1_3gpuE8ELNS1_3repE0EEENS1_30default_config_static_selectorELNS0_4arch9wavefront6targetE1EEEvT1_,"axG",@progbits,_ZN7rocprim17ROCPRIM_400000_NS6detail17trampoline_kernelINS0_14default_configENS1_20scan_config_selectorIfEEZZNS1_9scan_implILNS1_25lookback_scan_determinismE0ELb0ELb0ES3_N6thrust23THRUST_200600_302600_NS6detail15normal_iteratorINS9_10device_ptrIfEEEESE_fNS9_4plusIiEEfEEDaPvRmT3_T4_T5_mT6_P12ihipStream_tbENKUlT_T0_E_clISt17integral_constantIbLb1EEST_IbLb0EEEEDaSP_SQ_EUlSP_E0_NS1_11comp_targetILNS1_3genE4ELNS1_11target_archE910ELNS1_3gpuE8ELNS1_3repE0EEENS1_30default_config_static_selectorELNS0_4arch9wavefront6targetE1EEEvT1_,comdat
	.protected	_ZN7rocprim17ROCPRIM_400000_NS6detail17trampoline_kernelINS0_14default_configENS1_20scan_config_selectorIfEEZZNS1_9scan_implILNS1_25lookback_scan_determinismE0ELb0ELb0ES3_N6thrust23THRUST_200600_302600_NS6detail15normal_iteratorINS9_10device_ptrIfEEEESE_fNS9_4plusIiEEfEEDaPvRmT3_T4_T5_mT6_P12ihipStream_tbENKUlT_T0_E_clISt17integral_constantIbLb1EEST_IbLb0EEEEDaSP_SQ_EUlSP_E0_NS1_11comp_targetILNS1_3genE4ELNS1_11target_archE910ELNS1_3gpuE8ELNS1_3repE0EEENS1_30default_config_static_selectorELNS0_4arch9wavefront6targetE1EEEvT1_ ; -- Begin function _ZN7rocprim17ROCPRIM_400000_NS6detail17trampoline_kernelINS0_14default_configENS1_20scan_config_selectorIfEEZZNS1_9scan_implILNS1_25lookback_scan_determinismE0ELb0ELb0ES3_N6thrust23THRUST_200600_302600_NS6detail15normal_iteratorINS9_10device_ptrIfEEEESE_fNS9_4plusIiEEfEEDaPvRmT3_T4_T5_mT6_P12ihipStream_tbENKUlT_T0_E_clISt17integral_constantIbLb1EEST_IbLb0EEEEDaSP_SQ_EUlSP_E0_NS1_11comp_targetILNS1_3genE4ELNS1_11target_archE910ELNS1_3gpuE8ELNS1_3repE0EEENS1_30default_config_static_selectorELNS0_4arch9wavefront6targetE1EEEvT1_
	.globl	_ZN7rocprim17ROCPRIM_400000_NS6detail17trampoline_kernelINS0_14default_configENS1_20scan_config_selectorIfEEZZNS1_9scan_implILNS1_25lookback_scan_determinismE0ELb0ELb0ES3_N6thrust23THRUST_200600_302600_NS6detail15normal_iteratorINS9_10device_ptrIfEEEESE_fNS9_4plusIiEEfEEDaPvRmT3_T4_T5_mT6_P12ihipStream_tbENKUlT_T0_E_clISt17integral_constantIbLb1EEST_IbLb0EEEEDaSP_SQ_EUlSP_E0_NS1_11comp_targetILNS1_3genE4ELNS1_11target_archE910ELNS1_3gpuE8ELNS1_3repE0EEENS1_30default_config_static_selectorELNS0_4arch9wavefront6targetE1EEEvT1_
	.p2align	8
	.type	_ZN7rocprim17ROCPRIM_400000_NS6detail17trampoline_kernelINS0_14default_configENS1_20scan_config_selectorIfEEZZNS1_9scan_implILNS1_25lookback_scan_determinismE0ELb0ELb0ES3_N6thrust23THRUST_200600_302600_NS6detail15normal_iteratorINS9_10device_ptrIfEEEESE_fNS9_4plusIiEEfEEDaPvRmT3_T4_T5_mT6_P12ihipStream_tbENKUlT_T0_E_clISt17integral_constantIbLb1EEST_IbLb0EEEEDaSP_SQ_EUlSP_E0_NS1_11comp_targetILNS1_3genE4ELNS1_11target_archE910ELNS1_3gpuE8ELNS1_3repE0EEENS1_30default_config_static_selectorELNS0_4arch9wavefront6targetE1EEEvT1_,@function
_ZN7rocprim17ROCPRIM_400000_NS6detail17trampoline_kernelINS0_14default_configENS1_20scan_config_selectorIfEEZZNS1_9scan_implILNS1_25lookback_scan_determinismE0ELb0ELb0ES3_N6thrust23THRUST_200600_302600_NS6detail15normal_iteratorINS9_10device_ptrIfEEEESE_fNS9_4plusIiEEfEEDaPvRmT3_T4_T5_mT6_P12ihipStream_tbENKUlT_T0_E_clISt17integral_constantIbLb1EEST_IbLb0EEEEDaSP_SQ_EUlSP_E0_NS1_11comp_targetILNS1_3genE4ELNS1_11target_archE910ELNS1_3gpuE8ELNS1_3repE0EEENS1_30default_config_static_selectorELNS0_4arch9wavefront6targetE1EEEvT1_: ; @_ZN7rocprim17ROCPRIM_400000_NS6detail17trampoline_kernelINS0_14default_configENS1_20scan_config_selectorIfEEZZNS1_9scan_implILNS1_25lookback_scan_determinismE0ELb0ELb0ES3_N6thrust23THRUST_200600_302600_NS6detail15normal_iteratorINS9_10device_ptrIfEEEESE_fNS9_4plusIiEEfEEDaPvRmT3_T4_T5_mT6_P12ihipStream_tbENKUlT_T0_E_clISt17integral_constantIbLb1EEST_IbLb0EEEEDaSP_SQ_EUlSP_E0_NS1_11comp_targetILNS1_3genE4ELNS1_11target_archE910ELNS1_3gpuE8ELNS1_3repE0EEENS1_30default_config_static_selectorELNS0_4arch9wavefront6targetE1EEEvT1_
; %bb.0:
	s_load_dwordx4 s[28:31], s[4:5], 0x0
	v_lshlrev_b32_e32 v16, 2, v0
	s_waitcnt lgkmcnt(0)
	s_load_dword s31, s[28:29], 0x0
	v_cmp_gt_u32_e32 vcc, s30, v0
	s_waitcnt lgkmcnt(0)
	v_mov_b32_e32 v1, s31
	s_and_saveexec_b64 s[0:1], vcc
	s_cbranch_execz .LBB1544_2
; %bb.1:
	global_load_dword v1, v16, s[28:29]
.LBB1544_2:
	s_or_b64 exec, exec, s[0:1]
	v_or_b32_e32 v2, 0x80, v0
	v_cmp_gt_u32_e64 s[0:1], s30, v2
	v_mov_b32_e32 v2, s31
	s_and_saveexec_b64 s[2:3], s[0:1]
	s_cbranch_execz .LBB1544_4
; %bb.3:
	global_load_dword v2, v16, s[28:29] offset:512
.LBB1544_4:
	s_or_b64 exec, exec, s[2:3]
	v_or_b32_e32 v3, 0x100, v0
	v_cmp_gt_u32_e64 s[2:3], s30, v3
	v_mov_b32_e32 v3, s31
	s_and_saveexec_b64 s[6:7], s[2:3]
	s_cbranch_execz .LBB1544_6
; %bb.5:
	global_load_dword v3, v16, s[28:29] offset:1024
.LBB1544_6:
	;; [unrolled: 9-line block ×7, first 2 shown]
	s_or_b64 exec, exec, s[14:15]
	v_or_b32_e32 v10, 0x400, v0
	v_cmp_gt_u32_e64 s[14:15], s30, v10
	v_mov_b32_e32 v9, s31
	s_and_saveexec_b64 s[16:17], s[14:15]
	s_cbranch_execz .LBB1544_18
; %bb.17:
	v_lshlrev_b32_e32 v9, 2, v10
	global_load_dword v9, v9, s[28:29]
.LBB1544_18:
	s_or_b64 exec, exec, s[16:17]
	v_or_b32_e32 v11, 0x480, v0
	v_cmp_gt_u32_e64 s[16:17], s30, v11
	v_mov_b32_e32 v10, s31
	s_and_saveexec_b64 s[18:19], s[16:17]
	s_cbranch_execz .LBB1544_20
; %bb.19:
	v_lshlrev_b32_e32 v10, 2, v11
	global_load_dword v10, v10, s[28:29]
.LBB1544_20:
	;; [unrolled: 10-line block ×6, first 2 shown]
	s_or_b64 exec, exec, s[30:31]
	s_waitcnt vmcnt(0)
	ds_write2st64_b32 v16, v1, v2 offset1:2
	ds_write2st64_b32 v16, v3, v4 offset0:4 offset1:6
	ds_write2st64_b32 v16, v5, v6 offset0:8 offset1:10
	;; [unrolled: 1-line block ×6, first 2 shown]
	v_mad_u32_u24 v14, v0, 52, v16
	s_waitcnt lgkmcnt(0)
	s_barrier
	ds_read2_b64 v[2:5], v14 offset1:1
	ds_read2_b64 v[6:9], v14 offset0:2 offset1:3
	ds_read2_b64 v[10:13], v14 offset0:4 offset1:5
	ds_read_b64 v[14:15], v14 offset:48
	s_load_dwordx2 s[28:29], s[4:5], 0x18
	s_waitcnt lgkmcnt(0)
	v_cvt_i32_f32_e32 v18, v2
	v_cvt_i32_f32_e32 v1, v3
	;; [unrolled: 1-line block ×5, first 2 shown]
	v_add_u32_e32 v3, v1, v18
	v_cvt_f32_i32_e32 v3, v3
	v_cvt_i32_f32_e32 v21, v7
	v_cvt_i32_f32_e32 v22, v8
	;; [unrolled: 1-line block ×7, first 2 shown]
	v_add_u32_e32 v4, v4, v17
	v_cvt_f32_i32_e32 v4, v4
	v_cvt_i32_f32_e32 v27, v13
	v_cvt_i32_f32_e32 v28, v14
	;; [unrolled: 1-line block ×4, first 2 shown]
	v_lshrrev_b32_e32 v30, 3, v0
	v_and_b32_e32 v30, 12, v30
	v_add_u32_e32 v30, v16, v30
	v_add_u32_e32 v5, v5, v19
	v_cvt_f32_i32_e32 v5, v5
	v_cmp_gt_u32_e64 s[4:5], 64, v0
	s_barrier
	v_cvt_i32_f32_e32 v6, v5
	v_add_u32_e32 v6, v6, v20
	v_cvt_f32_i32_e32 v6, v6
	v_cvt_i32_f32_e32 v7, v6
	v_add_u32_e32 v7, v7, v21
	v_cvt_f32_i32_e32 v7, v7
	;; [unrolled: 3-line block ×10, first 2 shown]
	ds_write_b32 v30, v15
	s_waitcnt lgkmcnt(0)
	s_barrier
	s_and_saveexec_b64 s[30:31], s[4:5]
	s_cbranch_execz .LBB1544_32
; %bb.29:
	v_lshlrev_b32_e32 v30, 1, v0
	v_lshrrev_b32_e32 v31, 4, v0
	v_add_lshl_u32 v30, v31, v30, 2
	ds_read2_b32 v[32:33], v30 offset1:1
	v_mbcnt_lo_u32_b32 v35, -1, 0
	s_waitcnt lgkmcnt(0)
	v_cvt_i32_f32_e32 v31, v32
	v_cvt_i32_f32_e32 v32, v33
	v_add_u32_e32 v32, v32, v31
	v_cvt_f32_i32_e32 v32, v32
	v_cvt_i32_f32_e32 v34, v32
	s_nop 0
	v_mov_b32_dpp v33, v32 row_shr:1 row_mask:0xf bank_mask:0xf
	v_cvt_i32_f32_e32 v33, v33
	v_add_u32_e32 v33, v33, v34
	v_cvt_f32_i32_e32 v34, v33
	v_mbcnt_hi_u32_b32 v33, -1, v35
	v_and_b32_e32 v35, 15, v33
	v_cmp_eq_u32_e64 s[4:5], 0, v35
	v_cndmask_b32_e64 v34, v34, v32, s[4:5]
	v_cvt_i32_f32_e32 v37, v34
	v_cmp_lt_u32_e64 s[4:5], 1, v35
	v_mov_b32_dpp v36, v34 row_shr:2 row_mask:0xf bank_mask:0xf
	v_cvt_i32_f32_e32 v36, v36
	v_add_u32_e32 v36, v37, v36
	v_cvt_f32_i32_e32 v36, v36
	v_cndmask_b32_e64 v34, v34, v36, s[4:5]
	s_nop 1
	v_mov_b32_dpp v36, v34 row_shr:4 row_mask:0xf bank_mask:0xf
	v_cvt_i32_f32_e32 v37, v34
	v_cvt_i32_f32_e32 v36, v36
	v_cmp_lt_u32_e64 s[4:5], 3, v35
	v_add_u32_e32 v36, v37, v36
	v_cvt_f32_i32_e32 v36, v36
	v_cndmask_b32_e64 v34, v34, v36, s[4:5]
	s_nop 1
	v_mov_b32_dpp v36, v34 row_shr:8 row_mask:0xf bank_mask:0xf
	v_cvt_i32_f32_e32 v37, v34
	v_cvt_i32_f32_e32 v36, v36
	v_cmp_lt_u32_e64 s[4:5], 7, v35
	v_add_u32_e32 v36, v37, v36
	v_cvt_f32_i32_e32 v36, v36
	v_cndmask_b32_e64 v34, v34, v36, s[4:5]
	s_nop 1
	v_mov_b32_dpp v35, v34 row_bcast:15 row_mask:0xf bank_mask:0xf
	v_cvt_i32_f32_e32 v36, v34
	v_cvt_i32_f32_e32 v35, v35
	v_add_u32_e32 v35, v36, v35
	v_cvt_f32_i32_e32 v35, v35
	v_and_b32_e32 v36, 16, v33
	v_cmp_eq_u32_e64 s[4:5], 0, v36
	v_cndmask_b32_e64 v34, v35, v34, s[4:5]
	v_cmp_ne_u32_e64 s[4:5], 0, v33
	s_nop 0
	v_mov_b32_dpp v35, v34 row_bcast:31 row_mask:0xf bank_mask:0xf
	s_and_saveexec_b64 s[34:35], s[4:5]
; %bb.30:
	v_cvt_i32_f32_e32 v32, v34
	v_cvt_i32_f32_e32 v35, v35
	v_cmp_lt_u32_e64 s[4:5], 31, v33
	v_add_u32_e32 v32, v32, v35
	v_cvt_f32_i32_e32 v32, v32
	v_cndmask_b32_e64 v32, v34, v32, s[4:5]
; %bb.31:
	s_or_b64 exec, exec, s[34:35]
	v_add_u32_e32 v34, -1, v33
	v_and_b32_e32 v35, 64, v33
	v_cmp_lt_i32_e64 s[4:5], v34, v35
	v_cndmask_b32_e64 v33, v34, v33, s[4:5]
	v_lshlrev_b32_e32 v33, 2, v33
	ds_bpermute_b32 v32, v33, v32
	v_cmp_eq_u32_e64 s[4:5], 0, v0
	; wave barrier
	s_waitcnt lgkmcnt(0)
	v_cvt_i32_f32_e32 v32, v32
	v_add_u32_e32 v31, v31, v32
	v_cvt_f32_i32_e32 v31, v31
	v_cndmask_b32_e64 v31, v31, v15, s[4:5]
	ds_write_b32 v30, v31
	; wave barrier
	ds_read_b32 v32, v30 offset:4
	v_cvt_i32_f32_e32 v31, v31
	s_waitcnt lgkmcnt(0)
	v_cvt_i32_f32_e32 v32, v32
	v_add_u32_e32 v31, v32, v31
	v_cvt_f32_i32_e32 v31, v31
	ds_write_b32 v30, v31 offset:4
.LBB1544_32:
	s_or_b64 exec, exec, s[30:31]
	v_mul_u32_u24_e32 v30, 52, v0
	v_cmp_ne_u32_e64 s[4:5], 0, v0
	v_mov_b32_e32 v31, v15
	s_waitcnt lgkmcnt(0)
	s_barrier
	s_and_saveexec_b64 s[30:31], s[4:5]
	s_cbranch_execz .LBB1544_34
; %bb.33:
	v_add_u32_e32 v0, -1, v0
	v_lshrrev_b32_e32 v31, 5, v0
	v_add_lshl_u32 v0, v31, v0, 2
	ds_read_b32 v31, v0
.LBB1544_34:
	s_or_b64 exec, exec, s[30:31]
	s_and_saveexec_b64 s[30:31], s[4:5]
	s_cbranch_execz .LBB1544_36
; %bb.35:
	s_waitcnt lgkmcnt(0)
	v_cvt_i32_f32_e32 v0, v31
	;;#ASMSTART
	;;#ASMEND
	v_add_u32_e32 v0, v0, v18
	v_cvt_f32_i32_e32 v2, v0
	v_cvt_i32_f32_e32 v0, v2
	v_add_u32_e32 v0, v0, v1
	v_cvt_f32_i32_e32 v3, v0
	v_cvt_i32_f32_e32 v0, v3
	;; [unrolled: 3-line block ×13, first 2 shown]
	v_add_u32_e32 v0, v0, v29
	v_cvt_f32_i32_e32 v15, v0
.LBB1544_36:
	s_or_b64 exec, exec, s[30:31]
	v_add_u32_e32 v0, v16, v30
	s_waitcnt lgkmcnt(0)
	s_barrier
	ds_write2_b64 v0, v[2:3], v[4:5] offset1:1
	ds_write2_b64 v0, v[6:7], v[8:9] offset0:2 offset1:3
	ds_write2_b64 v0, v[10:11], v[12:13] offset0:4 offset1:5
	ds_write_b64 v0, v[14:15] offset:48
	s_waitcnt lgkmcnt(0)
	s_barrier
	ds_read2st64_b32 v[12:13], v16 offset0:2 offset1:4
	ds_read2st64_b32 v[10:11], v16 offset0:6 offset1:8
	ds_read2st64_b32 v[8:9], v16 offset0:10 offset1:12
	ds_read2st64_b32 v[6:7], v16 offset0:14 offset1:16
	ds_read2st64_b32 v[4:5], v16 offset0:18 offset1:20
	ds_read2st64_b32 v[2:3], v16 offset0:22 offset1:24
	ds_read_b32 v14, v16 offset:6656
	v_mov_b32_e32 v1, s29
	v_add_co_u32_e64 v0, s[4:5], s28, v16
	v_addc_co_u32_e64 v1, s[4:5], 0, v1, s[4:5]
	s_and_saveexec_b64 s[4:5], vcc
	s_cbranch_execnz .LBB1544_51
; %bb.37:
	s_or_b64 exec, exec, s[4:5]
	s_and_saveexec_b64 s[4:5], s[0:1]
	s_cbranch_execnz .LBB1544_52
.LBB1544_38:
	s_or_b64 exec, exec, s[4:5]
	s_and_saveexec_b64 s[0:1], s[2:3]
	s_cbranch_execnz .LBB1544_53
.LBB1544_39:
	s_or_b64 exec, exec, s[0:1]
	s_and_saveexec_b64 s[0:1], s[26:27]
	s_cbranch_execnz .LBB1544_54
.LBB1544_40:
	s_or_b64 exec, exec, s[0:1]
	s_and_saveexec_b64 s[0:1], s[6:7]
	s_cbranch_execnz .LBB1544_55
.LBB1544_41:
	s_or_b64 exec, exec, s[0:1]
	s_and_saveexec_b64 s[0:1], s[8:9]
	s_cbranch_execnz .LBB1544_56
.LBB1544_42:
	s_or_b64 exec, exec, s[0:1]
	s_and_saveexec_b64 s[0:1], s[10:11]
	s_cbranch_execnz .LBB1544_57
.LBB1544_43:
	s_or_b64 exec, exec, s[0:1]
	s_and_saveexec_b64 s[0:1], s[12:13]
	s_cbranch_execnz .LBB1544_58
.LBB1544_44:
	s_or_b64 exec, exec, s[0:1]
	s_and_saveexec_b64 s[0:1], s[14:15]
	s_cbranch_execnz .LBB1544_59
.LBB1544_45:
	s_or_b64 exec, exec, s[0:1]
	s_and_saveexec_b64 s[0:1], s[16:17]
	s_cbranch_execnz .LBB1544_60
.LBB1544_46:
	s_or_b64 exec, exec, s[0:1]
	s_and_saveexec_b64 s[0:1], s[18:19]
	s_cbranch_execnz .LBB1544_61
.LBB1544_47:
	s_or_b64 exec, exec, s[0:1]
	s_and_saveexec_b64 s[0:1], s[20:21]
	s_cbranch_execnz .LBB1544_62
.LBB1544_48:
	s_or_b64 exec, exec, s[0:1]
	s_and_saveexec_b64 s[0:1], s[22:23]
	s_cbranch_execnz .LBB1544_63
.LBB1544_49:
	s_or_b64 exec, exec, s[0:1]
	s_and_saveexec_b64 s[0:1], s[24:25]
	s_cbranch_execnz .LBB1544_64
.LBB1544_50:
	s_endpgm
.LBB1544_51:
	ds_read_b32 v15, v16
	s_waitcnt lgkmcnt(0)
	global_store_dword v[0:1], v15, off
	s_or_b64 exec, exec, s[4:5]
	s_and_saveexec_b64 s[4:5], s[0:1]
	s_cbranch_execz .LBB1544_38
.LBB1544_52:
	s_waitcnt lgkmcnt(6)
	global_store_dword v[0:1], v12, off offset:512
	s_or_b64 exec, exec, s[4:5]
	s_and_saveexec_b64 s[0:1], s[2:3]
	s_cbranch_execz .LBB1544_39
.LBB1544_53:
	s_waitcnt lgkmcnt(6)
	global_store_dword v[0:1], v13, off offset:1024
	s_or_b64 exec, exec, s[0:1]
	s_and_saveexec_b64 s[0:1], s[26:27]
	s_cbranch_execz .LBB1544_40
.LBB1544_54:
	s_waitcnt lgkmcnt(5)
	global_store_dword v[0:1], v10, off offset:1536
	s_or_b64 exec, exec, s[0:1]
	s_and_saveexec_b64 s[0:1], s[6:7]
	s_cbranch_execz .LBB1544_41
.LBB1544_55:
	s_waitcnt lgkmcnt(5)
	global_store_dword v[0:1], v11, off offset:2048
	s_or_b64 exec, exec, s[0:1]
	s_and_saveexec_b64 s[0:1], s[8:9]
	s_cbranch_execz .LBB1544_42
.LBB1544_56:
	s_waitcnt lgkmcnt(4)
	global_store_dword v[0:1], v8, off offset:2560
	s_or_b64 exec, exec, s[0:1]
	s_and_saveexec_b64 s[0:1], s[10:11]
	s_cbranch_execz .LBB1544_43
.LBB1544_57:
	s_waitcnt lgkmcnt(4)
	global_store_dword v[0:1], v9, off offset:3072
	s_or_b64 exec, exec, s[0:1]
	s_and_saveexec_b64 s[0:1], s[12:13]
	s_cbranch_execz .LBB1544_44
.LBB1544_58:
	s_waitcnt lgkmcnt(3)
	global_store_dword v[0:1], v6, off offset:3584
	s_or_b64 exec, exec, s[0:1]
	s_and_saveexec_b64 s[0:1], s[14:15]
	s_cbranch_execz .LBB1544_45
.LBB1544_59:
	s_waitcnt lgkmcnt(4)
	v_add_co_u32_e32 v8, vcc, 0x1000, v0
	v_addc_co_u32_e32 v9, vcc, 0, v1, vcc
	s_waitcnt lgkmcnt(3)
	global_store_dword v[8:9], v7, off
	s_or_b64 exec, exec, s[0:1]
	s_and_saveexec_b64 s[0:1], s[16:17]
	s_cbranch_execz .LBB1544_46
.LBB1544_60:
	s_waitcnt lgkmcnt(3)
	v_add_co_u32_e32 v6, vcc, 0x1000, v0
	v_addc_co_u32_e32 v7, vcc, 0, v1, vcc
	s_waitcnt lgkmcnt(2)
	global_store_dword v[6:7], v4, off offset:512
	s_or_b64 exec, exec, s[0:1]
	s_and_saveexec_b64 s[0:1], s[18:19]
	s_cbranch_execz .LBB1544_47
.LBB1544_61:
	s_waitcnt lgkmcnt(3)
	v_add_co_u32_e32 v6, vcc, 0x1000, v0
	v_addc_co_u32_e32 v7, vcc, 0, v1, vcc
	s_waitcnt lgkmcnt(2)
	global_store_dword v[6:7], v5, off offset:1024
	s_or_b64 exec, exec, s[0:1]
	s_and_saveexec_b64 s[0:1], s[20:21]
	s_cbranch_execz .LBB1544_48
.LBB1544_62:
	s_waitcnt lgkmcnt(2)
	v_add_co_u32_e32 v4, vcc, 0x1000, v0
	v_addc_co_u32_e32 v5, vcc, 0, v1, vcc
	s_waitcnt lgkmcnt(1)
	global_store_dword v[4:5], v2, off offset:1536
	s_or_b64 exec, exec, s[0:1]
	s_and_saveexec_b64 s[0:1], s[22:23]
	s_cbranch_execz .LBB1544_49
.LBB1544_63:
	s_waitcnt lgkmcnt(2)
	v_add_co_u32_e32 v4, vcc, 0x1000, v0
	v_addc_co_u32_e32 v5, vcc, 0, v1, vcc
	s_waitcnt lgkmcnt(1)
	global_store_dword v[4:5], v3, off offset:2048
	s_or_b64 exec, exec, s[0:1]
	s_and_saveexec_b64 s[0:1], s[24:25]
	s_cbranch_execz .LBB1544_50
.LBB1544_64:
	v_add_co_u32_e32 v0, vcc, 0x1000, v0
	v_addc_co_u32_e32 v1, vcc, 0, v1, vcc
	s_waitcnt lgkmcnt(0)
	global_store_dword v[0:1], v14, off offset:2560
	s_endpgm
	.section	.rodata,"a",@progbits
	.p2align	6, 0x0
	.amdhsa_kernel _ZN7rocprim17ROCPRIM_400000_NS6detail17trampoline_kernelINS0_14default_configENS1_20scan_config_selectorIfEEZZNS1_9scan_implILNS1_25lookback_scan_determinismE0ELb0ELb0ES3_N6thrust23THRUST_200600_302600_NS6detail15normal_iteratorINS9_10device_ptrIfEEEESE_fNS9_4plusIiEEfEEDaPvRmT3_T4_T5_mT6_P12ihipStream_tbENKUlT_T0_E_clISt17integral_constantIbLb1EEST_IbLb0EEEEDaSP_SQ_EUlSP_E0_NS1_11comp_targetILNS1_3genE4ELNS1_11target_archE910ELNS1_3gpuE8ELNS1_3repE0EEENS1_30default_config_static_selectorELNS0_4arch9wavefront6targetE1EEEvT1_
		.amdhsa_group_segment_fixed_size 7168
		.amdhsa_private_segment_fixed_size 0
		.amdhsa_kernarg_size 32
		.amdhsa_user_sgpr_count 6
		.amdhsa_user_sgpr_private_segment_buffer 1
		.amdhsa_user_sgpr_dispatch_ptr 0
		.amdhsa_user_sgpr_queue_ptr 0
		.amdhsa_user_sgpr_kernarg_segment_ptr 1
		.amdhsa_user_sgpr_dispatch_id 0
		.amdhsa_user_sgpr_flat_scratch_init 0
		.amdhsa_user_sgpr_kernarg_preload_length 0
		.amdhsa_user_sgpr_kernarg_preload_offset 0
		.amdhsa_user_sgpr_private_segment_size 0
		.amdhsa_uses_dynamic_stack 0
		.amdhsa_system_sgpr_private_segment_wavefront_offset 0
		.amdhsa_system_sgpr_workgroup_id_x 1
		.amdhsa_system_sgpr_workgroup_id_y 0
		.amdhsa_system_sgpr_workgroup_id_z 0
		.amdhsa_system_sgpr_workgroup_info 0
		.amdhsa_system_vgpr_workitem_id 0
		.amdhsa_next_free_vgpr 38
		.amdhsa_next_free_sgpr 36
		.amdhsa_accum_offset 40
		.amdhsa_reserve_vcc 1
		.amdhsa_reserve_flat_scratch 0
		.amdhsa_float_round_mode_32 0
		.amdhsa_float_round_mode_16_64 0
		.amdhsa_float_denorm_mode_32 3
		.amdhsa_float_denorm_mode_16_64 3
		.amdhsa_dx10_clamp 1
		.amdhsa_ieee_mode 1
		.amdhsa_fp16_overflow 0
		.amdhsa_tg_split 0
		.amdhsa_exception_fp_ieee_invalid_op 0
		.amdhsa_exception_fp_denorm_src 0
		.amdhsa_exception_fp_ieee_div_zero 0
		.amdhsa_exception_fp_ieee_overflow 0
		.amdhsa_exception_fp_ieee_underflow 0
		.amdhsa_exception_fp_ieee_inexact 0
		.amdhsa_exception_int_div_zero 0
	.end_amdhsa_kernel
	.section	.text._ZN7rocprim17ROCPRIM_400000_NS6detail17trampoline_kernelINS0_14default_configENS1_20scan_config_selectorIfEEZZNS1_9scan_implILNS1_25lookback_scan_determinismE0ELb0ELb0ES3_N6thrust23THRUST_200600_302600_NS6detail15normal_iteratorINS9_10device_ptrIfEEEESE_fNS9_4plusIiEEfEEDaPvRmT3_T4_T5_mT6_P12ihipStream_tbENKUlT_T0_E_clISt17integral_constantIbLb1EEST_IbLb0EEEEDaSP_SQ_EUlSP_E0_NS1_11comp_targetILNS1_3genE4ELNS1_11target_archE910ELNS1_3gpuE8ELNS1_3repE0EEENS1_30default_config_static_selectorELNS0_4arch9wavefront6targetE1EEEvT1_,"axG",@progbits,_ZN7rocprim17ROCPRIM_400000_NS6detail17trampoline_kernelINS0_14default_configENS1_20scan_config_selectorIfEEZZNS1_9scan_implILNS1_25lookback_scan_determinismE0ELb0ELb0ES3_N6thrust23THRUST_200600_302600_NS6detail15normal_iteratorINS9_10device_ptrIfEEEESE_fNS9_4plusIiEEfEEDaPvRmT3_T4_T5_mT6_P12ihipStream_tbENKUlT_T0_E_clISt17integral_constantIbLb1EEST_IbLb0EEEEDaSP_SQ_EUlSP_E0_NS1_11comp_targetILNS1_3genE4ELNS1_11target_archE910ELNS1_3gpuE8ELNS1_3repE0EEENS1_30default_config_static_selectorELNS0_4arch9wavefront6targetE1EEEvT1_,comdat
.Lfunc_end1544:
	.size	_ZN7rocprim17ROCPRIM_400000_NS6detail17trampoline_kernelINS0_14default_configENS1_20scan_config_selectorIfEEZZNS1_9scan_implILNS1_25lookback_scan_determinismE0ELb0ELb0ES3_N6thrust23THRUST_200600_302600_NS6detail15normal_iteratorINS9_10device_ptrIfEEEESE_fNS9_4plusIiEEfEEDaPvRmT3_T4_T5_mT6_P12ihipStream_tbENKUlT_T0_E_clISt17integral_constantIbLb1EEST_IbLb0EEEEDaSP_SQ_EUlSP_E0_NS1_11comp_targetILNS1_3genE4ELNS1_11target_archE910ELNS1_3gpuE8ELNS1_3repE0EEENS1_30default_config_static_selectorELNS0_4arch9wavefront6targetE1EEEvT1_, .Lfunc_end1544-_ZN7rocprim17ROCPRIM_400000_NS6detail17trampoline_kernelINS0_14default_configENS1_20scan_config_selectorIfEEZZNS1_9scan_implILNS1_25lookback_scan_determinismE0ELb0ELb0ES3_N6thrust23THRUST_200600_302600_NS6detail15normal_iteratorINS9_10device_ptrIfEEEESE_fNS9_4plusIiEEfEEDaPvRmT3_T4_T5_mT6_P12ihipStream_tbENKUlT_T0_E_clISt17integral_constantIbLb1EEST_IbLb0EEEEDaSP_SQ_EUlSP_E0_NS1_11comp_targetILNS1_3genE4ELNS1_11target_archE910ELNS1_3gpuE8ELNS1_3repE0EEENS1_30default_config_static_selectorELNS0_4arch9wavefront6targetE1EEEvT1_
                                        ; -- End function
	.section	.AMDGPU.csdata,"",@progbits
; Kernel info:
; codeLenInByte = 2404
; NumSgprs: 40
; NumVgprs: 38
; NumAgprs: 0
; TotalNumVgprs: 38
; ScratchSize: 0
; MemoryBound: 0
; FloatMode: 240
; IeeeMode: 1
; LDSByteSize: 7168 bytes/workgroup (compile time only)
; SGPRBlocks: 4
; VGPRBlocks: 4
; NumSGPRsForWavesPerEU: 40
; NumVGPRsForWavesPerEU: 38
; AccumOffset: 40
; Occupancy: 5
; WaveLimiterHint : 0
; COMPUTE_PGM_RSRC2:SCRATCH_EN: 0
; COMPUTE_PGM_RSRC2:USER_SGPR: 6
; COMPUTE_PGM_RSRC2:TRAP_HANDLER: 0
; COMPUTE_PGM_RSRC2:TGID_X_EN: 1
; COMPUTE_PGM_RSRC2:TGID_Y_EN: 0
; COMPUTE_PGM_RSRC2:TGID_Z_EN: 0
; COMPUTE_PGM_RSRC2:TIDIG_COMP_CNT: 0
; COMPUTE_PGM_RSRC3_GFX90A:ACCUM_OFFSET: 9
; COMPUTE_PGM_RSRC3_GFX90A:TG_SPLIT: 0
	.section	.text._ZN7rocprim17ROCPRIM_400000_NS6detail17trampoline_kernelINS0_14default_configENS1_20scan_config_selectorIfEEZZNS1_9scan_implILNS1_25lookback_scan_determinismE0ELb0ELb0ES3_N6thrust23THRUST_200600_302600_NS6detail15normal_iteratorINS9_10device_ptrIfEEEESE_fNS9_4plusIiEEfEEDaPvRmT3_T4_T5_mT6_P12ihipStream_tbENKUlT_T0_E_clISt17integral_constantIbLb1EEST_IbLb0EEEEDaSP_SQ_EUlSP_E0_NS1_11comp_targetILNS1_3genE3ELNS1_11target_archE908ELNS1_3gpuE7ELNS1_3repE0EEENS1_30default_config_static_selectorELNS0_4arch9wavefront6targetE1EEEvT1_,"axG",@progbits,_ZN7rocprim17ROCPRIM_400000_NS6detail17trampoline_kernelINS0_14default_configENS1_20scan_config_selectorIfEEZZNS1_9scan_implILNS1_25lookback_scan_determinismE0ELb0ELb0ES3_N6thrust23THRUST_200600_302600_NS6detail15normal_iteratorINS9_10device_ptrIfEEEESE_fNS9_4plusIiEEfEEDaPvRmT3_T4_T5_mT6_P12ihipStream_tbENKUlT_T0_E_clISt17integral_constantIbLb1EEST_IbLb0EEEEDaSP_SQ_EUlSP_E0_NS1_11comp_targetILNS1_3genE3ELNS1_11target_archE908ELNS1_3gpuE7ELNS1_3repE0EEENS1_30default_config_static_selectorELNS0_4arch9wavefront6targetE1EEEvT1_,comdat
	.protected	_ZN7rocprim17ROCPRIM_400000_NS6detail17trampoline_kernelINS0_14default_configENS1_20scan_config_selectorIfEEZZNS1_9scan_implILNS1_25lookback_scan_determinismE0ELb0ELb0ES3_N6thrust23THRUST_200600_302600_NS6detail15normal_iteratorINS9_10device_ptrIfEEEESE_fNS9_4plusIiEEfEEDaPvRmT3_T4_T5_mT6_P12ihipStream_tbENKUlT_T0_E_clISt17integral_constantIbLb1EEST_IbLb0EEEEDaSP_SQ_EUlSP_E0_NS1_11comp_targetILNS1_3genE3ELNS1_11target_archE908ELNS1_3gpuE7ELNS1_3repE0EEENS1_30default_config_static_selectorELNS0_4arch9wavefront6targetE1EEEvT1_ ; -- Begin function _ZN7rocprim17ROCPRIM_400000_NS6detail17trampoline_kernelINS0_14default_configENS1_20scan_config_selectorIfEEZZNS1_9scan_implILNS1_25lookback_scan_determinismE0ELb0ELb0ES3_N6thrust23THRUST_200600_302600_NS6detail15normal_iteratorINS9_10device_ptrIfEEEESE_fNS9_4plusIiEEfEEDaPvRmT3_T4_T5_mT6_P12ihipStream_tbENKUlT_T0_E_clISt17integral_constantIbLb1EEST_IbLb0EEEEDaSP_SQ_EUlSP_E0_NS1_11comp_targetILNS1_3genE3ELNS1_11target_archE908ELNS1_3gpuE7ELNS1_3repE0EEENS1_30default_config_static_selectorELNS0_4arch9wavefront6targetE1EEEvT1_
	.globl	_ZN7rocprim17ROCPRIM_400000_NS6detail17trampoline_kernelINS0_14default_configENS1_20scan_config_selectorIfEEZZNS1_9scan_implILNS1_25lookback_scan_determinismE0ELb0ELb0ES3_N6thrust23THRUST_200600_302600_NS6detail15normal_iteratorINS9_10device_ptrIfEEEESE_fNS9_4plusIiEEfEEDaPvRmT3_T4_T5_mT6_P12ihipStream_tbENKUlT_T0_E_clISt17integral_constantIbLb1EEST_IbLb0EEEEDaSP_SQ_EUlSP_E0_NS1_11comp_targetILNS1_3genE3ELNS1_11target_archE908ELNS1_3gpuE7ELNS1_3repE0EEENS1_30default_config_static_selectorELNS0_4arch9wavefront6targetE1EEEvT1_
	.p2align	8
	.type	_ZN7rocprim17ROCPRIM_400000_NS6detail17trampoline_kernelINS0_14default_configENS1_20scan_config_selectorIfEEZZNS1_9scan_implILNS1_25lookback_scan_determinismE0ELb0ELb0ES3_N6thrust23THRUST_200600_302600_NS6detail15normal_iteratorINS9_10device_ptrIfEEEESE_fNS9_4plusIiEEfEEDaPvRmT3_T4_T5_mT6_P12ihipStream_tbENKUlT_T0_E_clISt17integral_constantIbLb1EEST_IbLb0EEEEDaSP_SQ_EUlSP_E0_NS1_11comp_targetILNS1_3genE3ELNS1_11target_archE908ELNS1_3gpuE7ELNS1_3repE0EEENS1_30default_config_static_selectorELNS0_4arch9wavefront6targetE1EEEvT1_,@function
_ZN7rocprim17ROCPRIM_400000_NS6detail17trampoline_kernelINS0_14default_configENS1_20scan_config_selectorIfEEZZNS1_9scan_implILNS1_25lookback_scan_determinismE0ELb0ELb0ES3_N6thrust23THRUST_200600_302600_NS6detail15normal_iteratorINS9_10device_ptrIfEEEESE_fNS9_4plusIiEEfEEDaPvRmT3_T4_T5_mT6_P12ihipStream_tbENKUlT_T0_E_clISt17integral_constantIbLb1EEST_IbLb0EEEEDaSP_SQ_EUlSP_E0_NS1_11comp_targetILNS1_3genE3ELNS1_11target_archE908ELNS1_3gpuE7ELNS1_3repE0EEENS1_30default_config_static_selectorELNS0_4arch9wavefront6targetE1EEEvT1_: ; @_ZN7rocprim17ROCPRIM_400000_NS6detail17trampoline_kernelINS0_14default_configENS1_20scan_config_selectorIfEEZZNS1_9scan_implILNS1_25lookback_scan_determinismE0ELb0ELb0ES3_N6thrust23THRUST_200600_302600_NS6detail15normal_iteratorINS9_10device_ptrIfEEEESE_fNS9_4plusIiEEfEEDaPvRmT3_T4_T5_mT6_P12ihipStream_tbENKUlT_T0_E_clISt17integral_constantIbLb1EEST_IbLb0EEEEDaSP_SQ_EUlSP_E0_NS1_11comp_targetILNS1_3genE3ELNS1_11target_archE908ELNS1_3gpuE7ELNS1_3repE0EEENS1_30default_config_static_selectorELNS0_4arch9wavefront6targetE1EEEvT1_
; %bb.0:
	.section	.rodata,"a",@progbits
	.p2align	6, 0x0
	.amdhsa_kernel _ZN7rocprim17ROCPRIM_400000_NS6detail17trampoline_kernelINS0_14default_configENS1_20scan_config_selectorIfEEZZNS1_9scan_implILNS1_25lookback_scan_determinismE0ELb0ELb0ES3_N6thrust23THRUST_200600_302600_NS6detail15normal_iteratorINS9_10device_ptrIfEEEESE_fNS9_4plusIiEEfEEDaPvRmT3_T4_T5_mT6_P12ihipStream_tbENKUlT_T0_E_clISt17integral_constantIbLb1EEST_IbLb0EEEEDaSP_SQ_EUlSP_E0_NS1_11comp_targetILNS1_3genE3ELNS1_11target_archE908ELNS1_3gpuE7ELNS1_3repE0EEENS1_30default_config_static_selectorELNS0_4arch9wavefront6targetE1EEEvT1_
		.amdhsa_group_segment_fixed_size 0
		.amdhsa_private_segment_fixed_size 0
		.amdhsa_kernarg_size 32
		.amdhsa_user_sgpr_count 6
		.amdhsa_user_sgpr_private_segment_buffer 1
		.amdhsa_user_sgpr_dispatch_ptr 0
		.amdhsa_user_sgpr_queue_ptr 0
		.amdhsa_user_sgpr_kernarg_segment_ptr 1
		.amdhsa_user_sgpr_dispatch_id 0
		.amdhsa_user_sgpr_flat_scratch_init 0
		.amdhsa_user_sgpr_kernarg_preload_length 0
		.amdhsa_user_sgpr_kernarg_preload_offset 0
		.amdhsa_user_sgpr_private_segment_size 0
		.amdhsa_uses_dynamic_stack 0
		.amdhsa_system_sgpr_private_segment_wavefront_offset 0
		.amdhsa_system_sgpr_workgroup_id_x 1
		.amdhsa_system_sgpr_workgroup_id_y 0
		.amdhsa_system_sgpr_workgroup_id_z 0
		.amdhsa_system_sgpr_workgroup_info 0
		.amdhsa_system_vgpr_workitem_id 0
		.amdhsa_next_free_vgpr 1
		.amdhsa_next_free_sgpr 0
		.amdhsa_accum_offset 4
		.amdhsa_reserve_vcc 0
		.amdhsa_reserve_flat_scratch 0
		.amdhsa_float_round_mode_32 0
		.amdhsa_float_round_mode_16_64 0
		.amdhsa_float_denorm_mode_32 3
		.amdhsa_float_denorm_mode_16_64 3
		.amdhsa_dx10_clamp 1
		.amdhsa_ieee_mode 1
		.amdhsa_fp16_overflow 0
		.amdhsa_tg_split 0
		.amdhsa_exception_fp_ieee_invalid_op 0
		.amdhsa_exception_fp_denorm_src 0
		.amdhsa_exception_fp_ieee_div_zero 0
		.amdhsa_exception_fp_ieee_overflow 0
		.amdhsa_exception_fp_ieee_underflow 0
		.amdhsa_exception_fp_ieee_inexact 0
		.amdhsa_exception_int_div_zero 0
	.end_amdhsa_kernel
	.section	.text._ZN7rocprim17ROCPRIM_400000_NS6detail17trampoline_kernelINS0_14default_configENS1_20scan_config_selectorIfEEZZNS1_9scan_implILNS1_25lookback_scan_determinismE0ELb0ELb0ES3_N6thrust23THRUST_200600_302600_NS6detail15normal_iteratorINS9_10device_ptrIfEEEESE_fNS9_4plusIiEEfEEDaPvRmT3_T4_T5_mT6_P12ihipStream_tbENKUlT_T0_E_clISt17integral_constantIbLb1EEST_IbLb0EEEEDaSP_SQ_EUlSP_E0_NS1_11comp_targetILNS1_3genE3ELNS1_11target_archE908ELNS1_3gpuE7ELNS1_3repE0EEENS1_30default_config_static_selectorELNS0_4arch9wavefront6targetE1EEEvT1_,"axG",@progbits,_ZN7rocprim17ROCPRIM_400000_NS6detail17trampoline_kernelINS0_14default_configENS1_20scan_config_selectorIfEEZZNS1_9scan_implILNS1_25lookback_scan_determinismE0ELb0ELb0ES3_N6thrust23THRUST_200600_302600_NS6detail15normal_iteratorINS9_10device_ptrIfEEEESE_fNS9_4plusIiEEfEEDaPvRmT3_T4_T5_mT6_P12ihipStream_tbENKUlT_T0_E_clISt17integral_constantIbLb1EEST_IbLb0EEEEDaSP_SQ_EUlSP_E0_NS1_11comp_targetILNS1_3genE3ELNS1_11target_archE908ELNS1_3gpuE7ELNS1_3repE0EEENS1_30default_config_static_selectorELNS0_4arch9wavefront6targetE1EEEvT1_,comdat
.Lfunc_end1545:
	.size	_ZN7rocprim17ROCPRIM_400000_NS6detail17trampoline_kernelINS0_14default_configENS1_20scan_config_selectorIfEEZZNS1_9scan_implILNS1_25lookback_scan_determinismE0ELb0ELb0ES3_N6thrust23THRUST_200600_302600_NS6detail15normal_iteratorINS9_10device_ptrIfEEEESE_fNS9_4plusIiEEfEEDaPvRmT3_T4_T5_mT6_P12ihipStream_tbENKUlT_T0_E_clISt17integral_constantIbLb1EEST_IbLb0EEEEDaSP_SQ_EUlSP_E0_NS1_11comp_targetILNS1_3genE3ELNS1_11target_archE908ELNS1_3gpuE7ELNS1_3repE0EEENS1_30default_config_static_selectorELNS0_4arch9wavefront6targetE1EEEvT1_, .Lfunc_end1545-_ZN7rocprim17ROCPRIM_400000_NS6detail17trampoline_kernelINS0_14default_configENS1_20scan_config_selectorIfEEZZNS1_9scan_implILNS1_25lookback_scan_determinismE0ELb0ELb0ES3_N6thrust23THRUST_200600_302600_NS6detail15normal_iteratorINS9_10device_ptrIfEEEESE_fNS9_4plusIiEEfEEDaPvRmT3_T4_T5_mT6_P12ihipStream_tbENKUlT_T0_E_clISt17integral_constantIbLb1EEST_IbLb0EEEEDaSP_SQ_EUlSP_E0_NS1_11comp_targetILNS1_3genE3ELNS1_11target_archE908ELNS1_3gpuE7ELNS1_3repE0EEENS1_30default_config_static_selectorELNS0_4arch9wavefront6targetE1EEEvT1_
                                        ; -- End function
	.section	.AMDGPU.csdata,"",@progbits
; Kernel info:
; codeLenInByte = 0
; NumSgprs: 4
; NumVgprs: 0
; NumAgprs: 0
; TotalNumVgprs: 0
; ScratchSize: 0
; MemoryBound: 0
; FloatMode: 240
; IeeeMode: 1
; LDSByteSize: 0 bytes/workgroup (compile time only)
; SGPRBlocks: 0
; VGPRBlocks: 0
; NumSGPRsForWavesPerEU: 4
; NumVGPRsForWavesPerEU: 1
; AccumOffset: 4
; Occupancy: 8
; WaveLimiterHint : 0
; COMPUTE_PGM_RSRC2:SCRATCH_EN: 0
; COMPUTE_PGM_RSRC2:USER_SGPR: 6
; COMPUTE_PGM_RSRC2:TRAP_HANDLER: 0
; COMPUTE_PGM_RSRC2:TGID_X_EN: 1
; COMPUTE_PGM_RSRC2:TGID_Y_EN: 0
; COMPUTE_PGM_RSRC2:TGID_Z_EN: 0
; COMPUTE_PGM_RSRC2:TIDIG_COMP_CNT: 0
; COMPUTE_PGM_RSRC3_GFX90A:ACCUM_OFFSET: 0
; COMPUTE_PGM_RSRC3_GFX90A:TG_SPLIT: 0
	.section	.text._ZN7rocprim17ROCPRIM_400000_NS6detail17trampoline_kernelINS0_14default_configENS1_20scan_config_selectorIfEEZZNS1_9scan_implILNS1_25lookback_scan_determinismE0ELb0ELb0ES3_N6thrust23THRUST_200600_302600_NS6detail15normal_iteratorINS9_10device_ptrIfEEEESE_fNS9_4plusIiEEfEEDaPvRmT3_T4_T5_mT6_P12ihipStream_tbENKUlT_T0_E_clISt17integral_constantIbLb1EEST_IbLb0EEEEDaSP_SQ_EUlSP_E0_NS1_11comp_targetILNS1_3genE2ELNS1_11target_archE906ELNS1_3gpuE6ELNS1_3repE0EEENS1_30default_config_static_selectorELNS0_4arch9wavefront6targetE1EEEvT1_,"axG",@progbits,_ZN7rocprim17ROCPRIM_400000_NS6detail17trampoline_kernelINS0_14default_configENS1_20scan_config_selectorIfEEZZNS1_9scan_implILNS1_25lookback_scan_determinismE0ELb0ELb0ES3_N6thrust23THRUST_200600_302600_NS6detail15normal_iteratorINS9_10device_ptrIfEEEESE_fNS9_4plusIiEEfEEDaPvRmT3_T4_T5_mT6_P12ihipStream_tbENKUlT_T0_E_clISt17integral_constantIbLb1EEST_IbLb0EEEEDaSP_SQ_EUlSP_E0_NS1_11comp_targetILNS1_3genE2ELNS1_11target_archE906ELNS1_3gpuE6ELNS1_3repE0EEENS1_30default_config_static_selectorELNS0_4arch9wavefront6targetE1EEEvT1_,comdat
	.protected	_ZN7rocprim17ROCPRIM_400000_NS6detail17trampoline_kernelINS0_14default_configENS1_20scan_config_selectorIfEEZZNS1_9scan_implILNS1_25lookback_scan_determinismE0ELb0ELb0ES3_N6thrust23THRUST_200600_302600_NS6detail15normal_iteratorINS9_10device_ptrIfEEEESE_fNS9_4plusIiEEfEEDaPvRmT3_T4_T5_mT6_P12ihipStream_tbENKUlT_T0_E_clISt17integral_constantIbLb1EEST_IbLb0EEEEDaSP_SQ_EUlSP_E0_NS1_11comp_targetILNS1_3genE2ELNS1_11target_archE906ELNS1_3gpuE6ELNS1_3repE0EEENS1_30default_config_static_selectorELNS0_4arch9wavefront6targetE1EEEvT1_ ; -- Begin function _ZN7rocprim17ROCPRIM_400000_NS6detail17trampoline_kernelINS0_14default_configENS1_20scan_config_selectorIfEEZZNS1_9scan_implILNS1_25lookback_scan_determinismE0ELb0ELb0ES3_N6thrust23THRUST_200600_302600_NS6detail15normal_iteratorINS9_10device_ptrIfEEEESE_fNS9_4plusIiEEfEEDaPvRmT3_T4_T5_mT6_P12ihipStream_tbENKUlT_T0_E_clISt17integral_constantIbLb1EEST_IbLb0EEEEDaSP_SQ_EUlSP_E0_NS1_11comp_targetILNS1_3genE2ELNS1_11target_archE906ELNS1_3gpuE6ELNS1_3repE0EEENS1_30default_config_static_selectorELNS0_4arch9wavefront6targetE1EEEvT1_
	.globl	_ZN7rocprim17ROCPRIM_400000_NS6detail17trampoline_kernelINS0_14default_configENS1_20scan_config_selectorIfEEZZNS1_9scan_implILNS1_25lookback_scan_determinismE0ELb0ELb0ES3_N6thrust23THRUST_200600_302600_NS6detail15normal_iteratorINS9_10device_ptrIfEEEESE_fNS9_4plusIiEEfEEDaPvRmT3_T4_T5_mT6_P12ihipStream_tbENKUlT_T0_E_clISt17integral_constantIbLb1EEST_IbLb0EEEEDaSP_SQ_EUlSP_E0_NS1_11comp_targetILNS1_3genE2ELNS1_11target_archE906ELNS1_3gpuE6ELNS1_3repE0EEENS1_30default_config_static_selectorELNS0_4arch9wavefront6targetE1EEEvT1_
	.p2align	8
	.type	_ZN7rocprim17ROCPRIM_400000_NS6detail17trampoline_kernelINS0_14default_configENS1_20scan_config_selectorIfEEZZNS1_9scan_implILNS1_25lookback_scan_determinismE0ELb0ELb0ES3_N6thrust23THRUST_200600_302600_NS6detail15normal_iteratorINS9_10device_ptrIfEEEESE_fNS9_4plusIiEEfEEDaPvRmT3_T4_T5_mT6_P12ihipStream_tbENKUlT_T0_E_clISt17integral_constantIbLb1EEST_IbLb0EEEEDaSP_SQ_EUlSP_E0_NS1_11comp_targetILNS1_3genE2ELNS1_11target_archE906ELNS1_3gpuE6ELNS1_3repE0EEENS1_30default_config_static_selectorELNS0_4arch9wavefront6targetE1EEEvT1_,@function
_ZN7rocprim17ROCPRIM_400000_NS6detail17trampoline_kernelINS0_14default_configENS1_20scan_config_selectorIfEEZZNS1_9scan_implILNS1_25lookback_scan_determinismE0ELb0ELb0ES3_N6thrust23THRUST_200600_302600_NS6detail15normal_iteratorINS9_10device_ptrIfEEEESE_fNS9_4plusIiEEfEEDaPvRmT3_T4_T5_mT6_P12ihipStream_tbENKUlT_T0_E_clISt17integral_constantIbLb1EEST_IbLb0EEEEDaSP_SQ_EUlSP_E0_NS1_11comp_targetILNS1_3genE2ELNS1_11target_archE906ELNS1_3gpuE6ELNS1_3repE0EEENS1_30default_config_static_selectorELNS0_4arch9wavefront6targetE1EEEvT1_: ; @_ZN7rocprim17ROCPRIM_400000_NS6detail17trampoline_kernelINS0_14default_configENS1_20scan_config_selectorIfEEZZNS1_9scan_implILNS1_25lookback_scan_determinismE0ELb0ELb0ES3_N6thrust23THRUST_200600_302600_NS6detail15normal_iteratorINS9_10device_ptrIfEEEESE_fNS9_4plusIiEEfEEDaPvRmT3_T4_T5_mT6_P12ihipStream_tbENKUlT_T0_E_clISt17integral_constantIbLb1EEST_IbLb0EEEEDaSP_SQ_EUlSP_E0_NS1_11comp_targetILNS1_3genE2ELNS1_11target_archE906ELNS1_3gpuE6ELNS1_3repE0EEENS1_30default_config_static_selectorELNS0_4arch9wavefront6targetE1EEEvT1_
; %bb.0:
	.section	.rodata,"a",@progbits
	.p2align	6, 0x0
	.amdhsa_kernel _ZN7rocprim17ROCPRIM_400000_NS6detail17trampoline_kernelINS0_14default_configENS1_20scan_config_selectorIfEEZZNS1_9scan_implILNS1_25lookback_scan_determinismE0ELb0ELb0ES3_N6thrust23THRUST_200600_302600_NS6detail15normal_iteratorINS9_10device_ptrIfEEEESE_fNS9_4plusIiEEfEEDaPvRmT3_T4_T5_mT6_P12ihipStream_tbENKUlT_T0_E_clISt17integral_constantIbLb1EEST_IbLb0EEEEDaSP_SQ_EUlSP_E0_NS1_11comp_targetILNS1_3genE2ELNS1_11target_archE906ELNS1_3gpuE6ELNS1_3repE0EEENS1_30default_config_static_selectorELNS0_4arch9wavefront6targetE1EEEvT1_
		.amdhsa_group_segment_fixed_size 0
		.amdhsa_private_segment_fixed_size 0
		.amdhsa_kernarg_size 32
		.amdhsa_user_sgpr_count 6
		.amdhsa_user_sgpr_private_segment_buffer 1
		.amdhsa_user_sgpr_dispatch_ptr 0
		.amdhsa_user_sgpr_queue_ptr 0
		.amdhsa_user_sgpr_kernarg_segment_ptr 1
		.amdhsa_user_sgpr_dispatch_id 0
		.amdhsa_user_sgpr_flat_scratch_init 0
		.amdhsa_user_sgpr_kernarg_preload_length 0
		.amdhsa_user_sgpr_kernarg_preload_offset 0
		.amdhsa_user_sgpr_private_segment_size 0
		.amdhsa_uses_dynamic_stack 0
		.amdhsa_system_sgpr_private_segment_wavefront_offset 0
		.amdhsa_system_sgpr_workgroup_id_x 1
		.amdhsa_system_sgpr_workgroup_id_y 0
		.amdhsa_system_sgpr_workgroup_id_z 0
		.amdhsa_system_sgpr_workgroup_info 0
		.amdhsa_system_vgpr_workitem_id 0
		.amdhsa_next_free_vgpr 1
		.amdhsa_next_free_sgpr 0
		.amdhsa_accum_offset 4
		.amdhsa_reserve_vcc 0
		.amdhsa_reserve_flat_scratch 0
		.amdhsa_float_round_mode_32 0
		.amdhsa_float_round_mode_16_64 0
		.amdhsa_float_denorm_mode_32 3
		.amdhsa_float_denorm_mode_16_64 3
		.amdhsa_dx10_clamp 1
		.amdhsa_ieee_mode 1
		.amdhsa_fp16_overflow 0
		.amdhsa_tg_split 0
		.amdhsa_exception_fp_ieee_invalid_op 0
		.amdhsa_exception_fp_denorm_src 0
		.amdhsa_exception_fp_ieee_div_zero 0
		.amdhsa_exception_fp_ieee_overflow 0
		.amdhsa_exception_fp_ieee_underflow 0
		.amdhsa_exception_fp_ieee_inexact 0
		.amdhsa_exception_int_div_zero 0
	.end_amdhsa_kernel
	.section	.text._ZN7rocprim17ROCPRIM_400000_NS6detail17trampoline_kernelINS0_14default_configENS1_20scan_config_selectorIfEEZZNS1_9scan_implILNS1_25lookback_scan_determinismE0ELb0ELb0ES3_N6thrust23THRUST_200600_302600_NS6detail15normal_iteratorINS9_10device_ptrIfEEEESE_fNS9_4plusIiEEfEEDaPvRmT3_T4_T5_mT6_P12ihipStream_tbENKUlT_T0_E_clISt17integral_constantIbLb1EEST_IbLb0EEEEDaSP_SQ_EUlSP_E0_NS1_11comp_targetILNS1_3genE2ELNS1_11target_archE906ELNS1_3gpuE6ELNS1_3repE0EEENS1_30default_config_static_selectorELNS0_4arch9wavefront6targetE1EEEvT1_,"axG",@progbits,_ZN7rocprim17ROCPRIM_400000_NS6detail17trampoline_kernelINS0_14default_configENS1_20scan_config_selectorIfEEZZNS1_9scan_implILNS1_25lookback_scan_determinismE0ELb0ELb0ES3_N6thrust23THRUST_200600_302600_NS6detail15normal_iteratorINS9_10device_ptrIfEEEESE_fNS9_4plusIiEEfEEDaPvRmT3_T4_T5_mT6_P12ihipStream_tbENKUlT_T0_E_clISt17integral_constantIbLb1EEST_IbLb0EEEEDaSP_SQ_EUlSP_E0_NS1_11comp_targetILNS1_3genE2ELNS1_11target_archE906ELNS1_3gpuE6ELNS1_3repE0EEENS1_30default_config_static_selectorELNS0_4arch9wavefront6targetE1EEEvT1_,comdat
.Lfunc_end1546:
	.size	_ZN7rocprim17ROCPRIM_400000_NS6detail17trampoline_kernelINS0_14default_configENS1_20scan_config_selectorIfEEZZNS1_9scan_implILNS1_25lookback_scan_determinismE0ELb0ELb0ES3_N6thrust23THRUST_200600_302600_NS6detail15normal_iteratorINS9_10device_ptrIfEEEESE_fNS9_4plusIiEEfEEDaPvRmT3_T4_T5_mT6_P12ihipStream_tbENKUlT_T0_E_clISt17integral_constantIbLb1EEST_IbLb0EEEEDaSP_SQ_EUlSP_E0_NS1_11comp_targetILNS1_3genE2ELNS1_11target_archE906ELNS1_3gpuE6ELNS1_3repE0EEENS1_30default_config_static_selectorELNS0_4arch9wavefront6targetE1EEEvT1_, .Lfunc_end1546-_ZN7rocprim17ROCPRIM_400000_NS6detail17trampoline_kernelINS0_14default_configENS1_20scan_config_selectorIfEEZZNS1_9scan_implILNS1_25lookback_scan_determinismE0ELb0ELb0ES3_N6thrust23THRUST_200600_302600_NS6detail15normal_iteratorINS9_10device_ptrIfEEEESE_fNS9_4plusIiEEfEEDaPvRmT3_T4_T5_mT6_P12ihipStream_tbENKUlT_T0_E_clISt17integral_constantIbLb1EEST_IbLb0EEEEDaSP_SQ_EUlSP_E0_NS1_11comp_targetILNS1_3genE2ELNS1_11target_archE906ELNS1_3gpuE6ELNS1_3repE0EEENS1_30default_config_static_selectorELNS0_4arch9wavefront6targetE1EEEvT1_
                                        ; -- End function
	.section	.AMDGPU.csdata,"",@progbits
; Kernel info:
; codeLenInByte = 0
; NumSgprs: 4
; NumVgprs: 0
; NumAgprs: 0
; TotalNumVgprs: 0
; ScratchSize: 0
; MemoryBound: 0
; FloatMode: 240
; IeeeMode: 1
; LDSByteSize: 0 bytes/workgroup (compile time only)
; SGPRBlocks: 0
; VGPRBlocks: 0
; NumSGPRsForWavesPerEU: 4
; NumVGPRsForWavesPerEU: 1
; AccumOffset: 4
; Occupancy: 8
; WaveLimiterHint : 0
; COMPUTE_PGM_RSRC2:SCRATCH_EN: 0
; COMPUTE_PGM_RSRC2:USER_SGPR: 6
; COMPUTE_PGM_RSRC2:TRAP_HANDLER: 0
; COMPUTE_PGM_RSRC2:TGID_X_EN: 1
; COMPUTE_PGM_RSRC2:TGID_Y_EN: 0
; COMPUTE_PGM_RSRC2:TGID_Z_EN: 0
; COMPUTE_PGM_RSRC2:TIDIG_COMP_CNT: 0
; COMPUTE_PGM_RSRC3_GFX90A:ACCUM_OFFSET: 0
; COMPUTE_PGM_RSRC3_GFX90A:TG_SPLIT: 0
	.section	.text._ZN7rocprim17ROCPRIM_400000_NS6detail17trampoline_kernelINS0_14default_configENS1_20scan_config_selectorIfEEZZNS1_9scan_implILNS1_25lookback_scan_determinismE0ELb0ELb0ES3_N6thrust23THRUST_200600_302600_NS6detail15normal_iteratorINS9_10device_ptrIfEEEESE_fNS9_4plusIiEEfEEDaPvRmT3_T4_T5_mT6_P12ihipStream_tbENKUlT_T0_E_clISt17integral_constantIbLb1EEST_IbLb0EEEEDaSP_SQ_EUlSP_E0_NS1_11comp_targetILNS1_3genE10ELNS1_11target_archE1201ELNS1_3gpuE5ELNS1_3repE0EEENS1_30default_config_static_selectorELNS0_4arch9wavefront6targetE1EEEvT1_,"axG",@progbits,_ZN7rocprim17ROCPRIM_400000_NS6detail17trampoline_kernelINS0_14default_configENS1_20scan_config_selectorIfEEZZNS1_9scan_implILNS1_25lookback_scan_determinismE0ELb0ELb0ES3_N6thrust23THRUST_200600_302600_NS6detail15normal_iteratorINS9_10device_ptrIfEEEESE_fNS9_4plusIiEEfEEDaPvRmT3_T4_T5_mT6_P12ihipStream_tbENKUlT_T0_E_clISt17integral_constantIbLb1EEST_IbLb0EEEEDaSP_SQ_EUlSP_E0_NS1_11comp_targetILNS1_3genE10ELNS1_11target_archE1201ELNS1_3gpuE5ELNS1_3repE0EEENS1_30default_config_static_selectorELNS0_4arch9wavefront6targetE1EEEvT1_,comdat
	.protected	_ZN7rocprim17ROCPRIM_400000_NS6detail17trampoline_kernelINS0_14default_configENS1_20scan_config_selectorIfEEZZNS1_9scan_implILNS1_25lookback_scan_determinismE0ELb0ELb0ES3_N6thrust23THRUST_200600_302600_NS6detail15normal_iteratorINS9_10device_ptrIfEEEESE_fNS9_4plusIiEEfEEDaPvRmT3_T4_T5_mT6_P12ihipStream_tbENKUlT_T0_E_clISt17integral_constantIbLb1EEST_IbLb0EEEEDaSP_SQ_EUlSP_E0_NS1_11comp_targetILNS1_3genE10ELNS1_11target_archE1201ELNS1_3gpuE5ELNS1_3repE0EEENS1_30default_config_static_selectorELNS0_4arch9wavefront6targetE1EEEvT1_ ; -- Begin function _ZN7rocprim17ROCPRIM_400000_NS6detail17trampoline_kernelINS0_14default_configENS1_20scan_config_selectorIfEEZZNS1_9scan_implILNS1_25lookback_scan_determinismE0ELb0ELb0ES3_N6thrust23THRUST_200600_302600_NS6detail15normal_iteratorINS9_10device_ptrIfEEEESE_fNS9_4plusIiEEfEEDaPvRmT3_T4_T5_mT6_P12ihipStream_tbENKUlT_T0_E_clISt17integral_constantIbLb1EEST_IbLb0EEEEDaSP_SQ_EUlSP_E0_NS1_11comp_targetILNS1_3genE10ELNS1_11target_archE1201ELNS1_3gpuE5ELNS1_3repE0EEENS1_30default_config_static_selectorELNS0_4arch9wavefront6targetE1EEEvT1_
	.globl	_ZN7rocprim17ROCPRIM_400000_NS6detail17trampoline_kernelINS0_14default_configENS1_20scan_config_selectorIfEEZZNS1_9scan_implILNS1_25lookback_scan_determinismE0ELb0ELb0ES3_N6thrust23THRUST_200600_302600_NS6detail15normal_iteratorINS9_10device_ptrIfEEEESE_fNS9_4plusIiEEfEEDaPvRmT3_T4_T5_mT6_P12ihipStream_tbENKUlT_T0_E_clISt17integral_constantIbLb1EEST_IbLb0EEEEDaSP_SQ_EUlSP_E0_NS1_11comp_targetILNS1_3genE10ELNS1_11target_archE1201ELNS1_3gpuE5ELNS1_3repE0EEENS1_30default_config_static_selectorELNS0_4arch9wavefront6targetE1EEEvT1_
	.p2align	8
	.type	_ZN7rocprim17ROCPRIM_400000_NS6detail17trampoline_kernelINS0_14default_configENS1_20scan_config_selectorIfEEZZNS1_9scan_implILNS1_25lookback_scan_determinismE0ELb0ELb0ES3_N6thrust23THRUST_200600_302600_NS6detail15normal_iteratorINS9_10device_ptrIfEEEESE_fNS9_4plusIiEEfEEDaPvRmT3_T4_T5_mT6_P12ihipStream_tbENKUlT_T0_E_clISt17integral_constantIbLb1EEST_IbLb0EEEEDaSP_SQ_EUlSP_E0_NS1_11comp_targetILNS1_3genE10ELNS1_11target_archE1201ELNS1_3gpuE5ELNS1_3repE0EEENS1_30default_config_static_selectorELNS0_4arch9wavefront6targetE1EEEvT1_,@function
_ZN7rocprim17ROCPRIM_400000_NS6detail17trampoline_kernelINS0_14default_configENS1_20scan_config_selectorIfEEZZNS1_9scan_implILNS1_25lookback_scan_determinismE0ELb0ELb0ES3_N6thrust23THRUST_200600_302600_NS6detail15normal_iteratorINS9_10device_ptrIfEEEESE_fNS9_4plusIiEEfEEDaPvRmT3_T4_T5_mT6_P12ihipStream_tbENKUlT_T0_E_clISt17integral_constantIbLb1EEST_IbLb0EEEEDaSP_SQ_EUlSP_E0_NS1_11comp_targetILNS1_3genE10ELNS1_11target_archE1201ELNS1_3gpuE5ELNS1_3repE0EEENS1_30default_config_static_selectorELNS0_4arch9wavefront6targetE1EEEvT1_: ; @_ZN7rocprim17ROCPRIM_400000_NS6detail17trampoline_kernelINS0_14default_configENS1_20scan_config_selectorIfEEZZNS1_9scan_implILNS1_25lookback_scan_determinismE0ELb0ELb0ES3_N6thrust23THRUST_200600_302600_NS6detail15normal_iteratorINS9_10device_ptrIfEEEESE_fNS9_4plusIiEEfEEDaPvRmT3_T4_T5_mT6_P12ihipStream_tbENKUlT_T0_E_clISt17integral_constantIbLb1EEST_IbLb0EEEEDaSP_SQ_EUlSP_E0_NS1_11comp_targetILNS1_3genE10ELNS1_11target_archE1201ELNS1_3gpuE5ELNS1_3repE0EEENS1_30default_config_static_selectorELNS0_4arch9wavefront6targetE1EEEvT1_
; %bb.0:
	.section	.rodata,"a",@progbits
	.p2align	6, 0x0
	.amdhsa_kernel _ZN7rocprim17ROCPRIM_400000_NS6detail17trampoline_kernelINS0_14default_configENS1_20scan_config_selectorIfEEZZNS1_9scan_implILNS1_25lookback_scan_determinismE0ELb0ELb0ES3_N6thrust23THRUST_200600_302600_NS6detail15normal_iteratorINS9_10device_ptrIfEEEESE_fNS9_4plusIiEEfEEDaPvRmT3_T4_T5_mT6_P12ihipStream_tbENKUlT_T0_E_clISt17integral_constantIbLb1EEST_IbLb0EEEEDaSP_SQ_EUlSP_E0_NS1_11comp_targetILNS1_3genE10ELNS1_11target_archE1201ELNS1_3gpuE5ELNS1_3repE0EEENS1_30default_config_static_selectorELNS0_4arch9wavefront6targetE1EEEvT1_
		.amdhsa_group_segment_fixed_size 0
		.amdhsa_private_segment_fixed_size 0
		.amdhsa_kernarg_size 32
		.amdhsa_user_sgpr_count 6
		.amdhsa_user_sgpr_private_segment_buffer 1
		.amdhsa_user_sgpr_dispatch_ptr 0
		.amdhsa_user_sgpr_queue_ptr 0
		.amdhsa_user_sgpr_kernarg_segment_ptr 1
		.amdhsa_user_sgpr_dispatch_id 0
		.amdhsa_user_sgpr_flat_scratch_init 0
		.amdhsa_user_sgpr_kernarg_preload_length 0
		.amdhsa_user_sgpr_kernarg_preload_offset 0
		.amdhsa_user_sgpr_private_segment_size 0
		.amdhsa_uses_dynamic_stack 0
		.amdhsa_system_sgpr_private_segment_wavefront_offset 0
		.amdhsa_system_sgpr_workgroup_id_x 1
		.amdhsa_system_sgpr_workgroup_id_y 0
		.amdhsa_system_sgpr_workgroup_id_z 0
		.amdhsa_system_sgpr_workgroup_info 0
		.amdhsa_system_vgpr_workitem_id 0
		.amdhsa_next_free_vgpr 1
		.amdhsa_next_free_sgpr 0
		.amdhsa_accum_offset 4
		.amdhsa_reserve_vcc 0
		.amdhsa_reserve_flat_scratch 0
		.amdhsa_float_round_mode_32 0
		.amdhsa_float_round_mode_16_64 0
		.amdhsa_float_denorm_mode_32 3
		.amdhsa_float_denorm_mode_16_64 3
		.amdhsa_dx10_clamp 1
		.amdhsa_ieee_mode 1
		.amdhsa_fp16_overflow 0
		.amdhsa_tg_split 0
		.amdhsa_exception_fp_ieee_invalid_op 0
		.amdhsa_exception_fp_denorm_src 0
		.amdhsa_exception_fp_ieee_div_zero 0
		.amdhsa_exception_fp_ieee_overflow 0
		.amdhsa_exception_fp_ieee_underflow 0
		.amdhsa_exception_fp_ieee_inexact 0
		.amdhsa_exception_int_div_zero 0
	.end_amdhsa_kernel
	.section	.text._ZN7rocprim17ROCPRIM_400000_NS6detail17trampoline_kernelINS0_14default_configENS1_20scan_config_selectorIfEEZZNS1_9scan_implILNS1_25lookback_scan_determinismE0ELb0ELb0ES3_N6thrust23THRUST_200600_302600_NS6detail15normal_iteratorINS9_10device_ptrIfEEEESE_fNS9_4plusIiEEfEEDaPvRmT3_T4_T5_mT6_P12ihipStream_tbENKUlT_T0_E_clISt17integral_constantIbLb1EEST_IbLb0EEEEDaSP_SQ_EUlSP_E0_NS1_11comp_targetILNS1_3genE10ELNS1_11target_archE1201ELNS1_3gpuE5ELNS1_3repE0EEENS1_30default_config_static_selectorELNS0_4arch9wavefront6targetE1EEEvT1_,"axG",@progbits,_ZN7rocprim17ROCPRIM_400000_NS6detail17trampoline_kernelINS0_14default_configENS1_20scan_config_selectorIfEEZZNS1_9scan_implILNS1_25lookback_scan_determinismE0ELb0ELb0ES3_N6thrust23THRUST_200600_302600_NS6detail15normal_iteratorINS9_10device_ptrIfEEEESE_fNS9_4plusIiEEfEEDaPvRmT3_T4_T5_mT6_P12ihipStream_tbENKUlT_T0_E_clISt17integral_constantIbLb1EEST_IbLb0EEEEDaSP_SQ_EUlSP_E0_NS1_11comp_targetILNS1_3genE10ELNS1_11target_archE1201ELNS1_3gpuE5ELNS1_3repE0EEENS1_30default_config_static_selectorELNS0_4arch9wavefront6targetE1EEEvT1_,comdat
.Lfunc_end1547:
	.size	_ZN7rocprim17ROCPRIM_400000_NS6detail17trampoline_kernelINS0_14default_configENS1_20scan_config_selectorIfEEZZNS1_9scan_implILNS1_25lookback_scan_determinismE0ELb0ELb0ES3_N6thrust23THRUST_200600_302600_NS6detail15normal_iteratorINS9_10device_ptrIfEEEESE_fNS9_4plusIiEEfEEDaPvRmT3_T4_T5_mT6_P12ihipStream_tbENKUlT_T0_E_clISt17integral_constantIbLb1EEST_IbLb0EEEEDaSP_SQ_EUlSP_E0_NS1_11comp_targetILNS1_3genE10ELNS1_11target_archE1201ELNS1_3gpuE5ELNS1_3repE0EEENS1_30default_config_static_selectorELNS0_4arch9wavefront6targetE1EEEvT1_, .Lfunc_end1547-_ZN7rocprim17ROCPRIM_400000_NS6detail17trampoline_kernelINS0_14default_configENS1_20scan_config_selectorIfEEZZNS1_9scan_implILNS1_25lookback_scan_determinismE0ELb0ELb0ES3_N6thrust23THRUST_200600_302600_NS6detail15normal_iteratorINS9_10device_ptrIfEEEESE_fNS9_4plusIiEEfEEDaPvRmT3_T4_T5_mT6_P12ihipStream_tbENKUlT_T0_E_clISt17integral_constantIbLb1EEST_IbLb0EEEEDaSP_SQ_EUlSP_E0_NS1_11comp_targetILNS1_3genE10ELNS1_11target_archE1201ELNS1_3gpuE5ELNS1_3repE0EEENS1_30default_config_static_selectorELNS0_4arch9wavefront6targetE1EEEvT1_
                                        ; -- End function
	.section	.AMDGPU.csdata,"",@progbits
; Kernel info:
; codeLenInByte = 0
; NumSgprs: 4
; NumVgprs: 0
; NumAgprs: 0
; TotalNumVgprs: 0
; ScratchSize: 0
; MemoryBound: 0
; FloatMode: 240
; IeeeMode: 1
; LDSByteSize: 0 bytes/workgroup (compile time only)
; SGPRBlocks: 0
; VGPRBlocks: 0
; NumSGPRsForWavesPerEU: 4
; NumVGPRsForWavesPerEU: 1
; AccumOffset: 4
; Occupancy: 8
; WaveLimiterHint : 0
; COMPUTE_PGM_RSRC2:SCRATCH_EN: 0
; COMPUTE_PGM_RSRC2:USER_SGPR: 6
; COMPUTE_PGM_RSRC2:TRAP_HANDLER: 0
; COMPUTE_PGM_RSRC2:TGID_X_EN: 1
; COMPUTE_PGM_RSRC2:TGID_Y_EN: 0
; COMPUTE_PGM_RSRC2:TGID_Z_EN: 0
; COMPUTE_PGM_RSRC2:TIDIG_COMP_CNT: 0
; COMPUTE_PGM_RSRC3_GFX90A:ACCUM_OFFSET: 0
; COMPUTE_PGM_RSRC3_GFX90A:TG_SPLIT: 0
	.section	.text._ZN7rocprim17ROCPRIM_400000_NS6detail17trampoline_kernelINS0_14default_configENS1_20scan_config_selectorIfEEZZNS1_9scan_implILNS1_25lookback_scan_determinismE0ELb0ELb0ES3_N6thrust23THRUST_200600_302600_NS6detail15normal_iteratorINS9_10device_ptrIfEEEESE_fNS9_4plusIiEEfEEDaPvRmT3_T4_T5_mT6_P12ihipStream_tbENKUlT_T0_E_clISt17integral_constantIbLb1EEST_IbLb0EEEEDaSP_SQ_EUlSP_E0_NS1_11comp_targetILNS1_3genE10ELNS1_11target_archE1200ELNS1_3gpuE4ELNS1_3repE0EEENS1_30default_config_static_selectorELNS0_4arch9wavefront6targetE1EEEvT1_,"axG",@progbits,_ZN7rocprim17ROCPRIM_400000_NS6detail17trampoline_kernelINS0_14default_configENS1_20scan_config_selectorIfEEZZNS1_9scan_implILNS1_25lookback_scan_determinismE0ELb0ELb0ES3_N6thrust23THRUST_200600_302600_NS6detail15normal_iteratorINS9_10device_ptrIfEEEESE_fNS9_4plusIiEEfEEDaPvRmT3_T4_T5_mT6_P12ihipStream_tbENKUlT_T0_E_clISt17integral_constantIbLb1EEST_IbLb0EEEEDaSP_SQ_EUlSP_E0_NS1_11comp_targetILNS1_3genE10ELNS1_11target_archE1200ELNS1_3gpuE4ELNS1_3repE0EEENS1_30default_config_static_selectorELNS0_4arch9wavefront6targetE1EEEvT1_,comdat
	.protected	_ZN7rocprim17ROCPRIM_400000_NS6detail17trampoline_kernelINS0_14default_configENS1_20scan_config_selectorIfEEZZNS1_9scan_implILNS1_25lookback_scan_determinismE0ELb0ELb0ES3_N6thrust23THRUST_200600_302600_NS6detail15normal_iteratorINS9_10device_ptrIfEEEESE_fNS9_4plusIiEEfEEDaPvRmT3_T4_T5_mT6_P12ihipStream_tbENKUlT_T0_E_clISt17integral_constantIbLb1EEST_IbLb0EEEEDaSP_SQ_EUlSP_E0_NS1_11comp_targetILNS1_3genE10ELNS1_11target_archE1200ELNS1_3gpuE4ELNS1_3repE0EEENS1_30default_config_static_selectorELNS0_4arch9wavefront6targetE1EEEvT1_ ; -- Begin function _ZN7rocprim17ROCPRIM_400000_NS6detail17trampoline_kernelINS0_14default_configENS1_20scan_config_selectorIfEEZZNS1_9scan_implILNS1_25lookback_scan_determinismE0ELb0ELb0ES3_N6thrust23THRUST_200600_302600_NS6detail15normal_iteratorINS9_10device_ptrIfEEEESE_fNS9_4plusIiEEfEEDaPvRmT3_T4_T5_mT6_P12ihipStream_tbENKUlT_T0_E_clISt17integral_constantIbLb1EEST_IbLb0EEEEDaSP_SQ_EUlSP_E0_NS1_11comp_targetILNS1_3genE10ELNS1_11target_archE1200ELNS1_3gpuE4ELNS1_3repE0EEENS1_30default_config_static_selectorELNS0_4arch9wavefront6targetE1EEEvT1_
	.globl	_ZN7rocprim17ROCPRIM_400000_NS6detail17trampoline_kernelINS0_14default_configENS1_20scan_config_selectorIfEEZZNS1_9scan_implILNS1_25lookback_scan_determinismE0ELb0ELb0ES3_N6thrust23THRUST_200600_302600_NS6detail15normal_iteratorINS9_10device_ptrIfEEEESE_fNS9_4plusIiEEfEEDaPvRmT3_T4_T5_mT6_P12ihipStream_tbENKUlT_T0_E_clISt17integral_constantIbLb1EEST_IbLb0EEEEDaSP_SQ_EUlSP_E0_NS1_11comp_targetILNS1_3genE10ELNS1_11target_archE1200ELNS1_3gpuE4ELNS1_3repE0EEENS1_30default_config_static_selectorELNS0_4arch9wavefront6targetE1EEEvT1_
	.p2align	8
	.type	_ZN7rocprim17ROCPRIM_400000_NS6detail17trampoline_kernelINS0_14default_configENS1_20scan_config_selectorIfEEZZNS1_9scan_implILNS1_25lookback_scan_determinismE0ELb0ELb0ES3_N6thrust23THRUST_200600_302600_NS6detail15normal_iteratorINS9_10device_ptrIfEEEESE_fNS9_4plusIiEEfEEDaPvRmT3_T4_T5_mT6_P12ihipStream_tbENKUlT_T0_E_clISt17integral_constantIbLb1EEST_IbLb0EEEEDaSP_SQ_EUlSP_E0_NS1_11comp_targetILNS1_3genE10ELNS1_11target_archE1200ELNS1_3gpuE4ELNS1_3repE0EEENS1_30default_config_static_selectorELNS0_4arch9wavefront6targetE1EEEvT1_,@function
_ZN7rocprim17ROCPRIM_400000_NS6detail17trampoline_kernelINS0_14default_configENS1_20scan_config_selectorIfEEZZNS1_9scan_implILNS1_25lookback_scan_determinismE0ELb0ELb0ES3_N6thrust23THRUST_200600_302600_NS6detail15normal_iteratorINS9_10device_ptrIfEEEESE_fNS9_4plusIiEEfEEDaPvRmT3_T4_T5_mT6_P12ihipStream_tbENKUlT_T0_E_clISt17integral_constantIbLb1EEST_IbLb0EEEEDaSP_SQ_EUlSP_E0_NS1_11comp_targetILNS1_3genE10ELNS1_11target_archE1200ELNS1_3gpuE4ELNS1_3repE0EEENS1_30default_config_static_selectorELNS0_4arch9wavefront6targetE1EEEvT1_: ; @_ZN7rocprim17ROCPRIM_400000_NS6detail17trampoline_kernelINS0_14default_configENS1_20scan_config_selectorIfEEZZNS1_9scan_implILNS1_25lookback_scan_determinismE0ELb0ELb0ES3_N6thrust23THRUST_200600_302600_NS6detail15normal_iteratorINS9_10device_ptrIfEEEESE_fNS9_4plusIiEEfEEDaPvRmT3_T4_T5_mT6_P12ihipStream_tbENKUlT_T0_E_clISt17integral_constantIbLb1EEST_IbLb0EEEEDaSP_SQ_EUlSP_E0_NS1_11comp_targetILNS1_3genE10ELNS1_11target_archE1200ELNS1_3gpuE4ELNS1_3repE0EEENS1_30default_config_static_selectorELNS0_4arch9wavefront6targetE1EEEvT1_
; %bb.0:
	.section	.rodata,"a",@progbits
	.p2align	6, 0x0
	.amdhsa_kernel _ZN7rocprim17ROCPRIM_400000_NS6detail17trampoline_kernelINS0_14default_configENS1_20scan_config_selectorIfEEZZNS1_9scan_implILNS1_25lookback_scan_determinismE0ELb0ELb0ES3_N6thrust23THRUST_200600_302600_NS6detail15normal_iteratorINS9_10device_ptrIfEEEESE_fNS9_4plusIiEEfEEDaPvRmT3_T4_T5_mT6_P12ihipStream_tbENKUlT_T0_E_clISt17integral_constantIbLb1EEST_IbLb0EEEEDaSP_SQ_EUlSP_E0_NS1_11comp_targetILNS1_3genE10ELNS1_11target_archE1200ELNS1_3gpuE4ELNS1_3repE0EEENS1_30default_config_static_selectorELNS0_4arch9wavefront6targetE1EEEvT1_
		.amdhsa_group_segment_fixed_size 0
		.amdhsa_private_segment_fixed_size 0
		.amdhsa_kernarg_size 32
		.amdhsa_user_sgpr_count 6
		.amdhsa_user_sgpr_private_segment_buffer 1
		.amdhsa_user_sgpr_dispatch_ptr 0
		.amdhsa_user_sgpr_queue_ptr 0
		.amdhsa_user_sgpr_kernarg_segment_ptr 1
		.amdhsa_user_sgpr_dispatch_id 0
		.amdhsa_user_sgpr_flat_scratch_init 0
		.amdhsa_user_sgpr_kernarg_preload_length 0
		.amdhsa_user_sgpr_kernarg_preload_offset 0
		.amdhsa_user_sgpr_private_segment_size 0
		.amdhsa_uses_dynamic_stack 0
		.amdhsa_system_sgpr_private_segment_wavefront_offset 0
		.amdhsa_system_sgpr_workgroup_id_x 1
		.amdhsa_system_sgpr_workgroup_id_y 0
		.amdhsa_system_sgpr_workgroup_id_z 0
		.amdhsa_system_sgpr_workgroup_info 0
		.amdhsa_system_vgpr_workitem_id 0
		.amdhsa_next_free_vgpr 1
		.amdhsa_next_free_sgpr 0
		.amdhsa_accum_offset 4
		.amdhsa_reserve_vcc 0
		.amdhsa_reserve_flat_scratch 0
		.amdhsa_float_round_mode_32 0
		.amdhsa_float_round_mode_16_64 0
		.amdhsa_float_denorm_mode_32 3
		.amdhsa_float_denorm_mode_16_64 3
		.amdhsa_dx10_clamp 1
		.amdhsa_ieee_mode 1
		.amdhsa_fp16_overflow 0
		.amdhsa_tg_split 0
		.amdhsa_exception_fp_ieee_invalid_op 0
		.amdhsa_exception_fp_denorm_src 0
		.amdhsa_exception_fp_ieee_div_zero 0
		.amdhsa_exception_fp_ieee_overflow 0
		.amdhsa_exception_fp_ieee_underflow 0
		.amdhsa_exception_fp_ieee_inexact 0
		.amdhsa_exception_int_div_zero 0
	.end_amdhsa_kernel
	.section	.text._ZN7rocprim17ROCPRIM_400000_NS6detail17trampoline_kernelINS0_14default_configENS1_20scan_config_selectorIfEEZZNS1_9scan_implILNS1_25lookback_scan_determinismE0ELb0ELb0ES3_N6thrust23THRUST_200600_302600_NS6detail15normal_iteratorINS9_10device_ptrIfEEEESE_fNS9_4plusIiEEfEEDaPvRmT3_T4_T5_mT6_P12ihipStream_tbENKUlT_T0_E_clISt17integral_constantIbLb1EEST_IbLb0EEEEDaSP_SQ_EUlSP_E0_NS1_11comp_targetILNS1_3genE10ELNS1_11target_archE1200ELNS1_3gpuE4ELNS1_3repE0EEENS1_30default_config_static_selectorELNS0_4arch9wavefront6targetE1EEEvT1_,"axG",@progbits,_ZN7rocprim17ROCPRIM_400000_NS6detail17trampoline_kernelINS0_14default_configENS1_20scan_config_selectorIfEEZZNS1_9scan_implILNS1_25lookback_scan_determinismE0ELb0ELb0ES3_N6thrust23THRUST_200600_302600_NS6detail15normal_iteratorINS9_10device_ptrIfEEEESE_fNS9_4plusIiEEfEEDaPvRmT3_T4_T5_mT6_P12ihipStream_tbENKUlT_T0_E_clISt17integral_constantIbLb1EEST_IbLb0EEEEDaSP_SQ_EUlSP_E0_NS1_11comp_targetILNS1_3genE10ELNS1_11target_archE1200ELNS1_3gpuE4ELNS1_3repE0EEENS1_30default_config_static_selectorELNS0_4arch9wavefront6targetE1EEEvT1_,comdat
.Lfunc_end1548:
	.size	_ZN7rocprim17ROCPRIM_400000_NS6detail17trampoline_kernelINS0_14default_configENS1_20scan_config_selectorIfEEZZNS1_9scan_implILNS1_25lookback_scan_determinismE0ELb0ELb0ES3_N6thrust23THRUST_200600_302600_NS6detail15normal_iteratorINS9_10device_ptrIfEEEESE_fNS9_4plusIiEEfEEDaPvRmT3_T4_T5_mT6_P12ihipStream_tbENKUlT_T0_E_clISt17integral_constantIbLb1EEST_IbLb0EEEEDaSP_SQ_EUlSP_E0_NS1_11comp_targetILNS1_3genE10ELNS1_11target_archE1200ELNS1_3gpuE4ELNS1_3repE0EEENS1_30default_config_static_selectorELNS0_4arch9wavefront6targetE1EEEvT1_, .Lfunc_end1548-_ZN7rocprim17ROCPRIM_400000_NS6detail17trampoline_kernelINS0_14default_configENS1_20scan_config_selectorIfEEZZNS1_9scan_implILNS1_25lookback_scan_determinismE0ELb0ELb0ES3_N6thrust23THRUST_200600_302600_NS6detail15normal_iteratorINS9_10device_ptrIfEEEESE_fNS9_4plusIiEEfEEDaPvRmT3_T4_T5_mT6_P12ihipStream_tbENKUlT_T0_E_clISt17integral_constantIbLb1EEST_IbLb0EEEEDaSP_SQ_EUlSP_E0_NS1_11comp_targetILNS1_3genE10ELNS1_11target_archE1200ELNS1_3gpuE4ELNS1_3repE0EEENS1_30default_config_static_selectorELNS0_4arch9wavefront6targetE1EEEvT1_
                                        ; -- End function
	.section	.AMDGPU.csdata,"",@progbits
; Kernel info:
; codeLenInByte = 0
; NumSgprs: 4
; NumVgprs: 0
; NumAgprs: 0
; TotalNumVgprs: 0
; ScratchSize: 0
; MemoryBound: 0
; FloatMode: 240
; IeeeMode: 1
; LDSByteSize: 0 bytes/workgroup (compile time only)
; SGPRBlocks: 0
; VGPRBlocks: 0
; NumSGPRsForWavesPerEU: 4
; NumVGPRsForWavesPerEU: 1
; AccumOffset: 4
; Occupancy: 8
; WaveLimiterHint : 0
; COMPUTE_PGM_RSRC2:SCRATCH_EN: 0
; COMPUTE_PGM_RSRC2:USER_SGPR: 6
; COMPUTE_PGM_RSRC2:TRAP_HANDLER: 0
; COMPUTE_PGM_RSRC2:TGID_X_EN: 1
; COMPUTE_PGM_RSRC2:TGID_Y_EN: 0
; COMPUTE_PGM_RSRC2:TGID_Z_EN: 0
; COMPUTE_PGM_RSRC2:TIDIG_COMP_CNT: 0
; COMPUTE_PGM_RSRC3_GFX90A:ACCUM_OFFSET: 0
; COMPUTE_PGM_RSRC3_GFX90A:TG_SPLIT: 0
	.section	.text._ZN7rocprim17ROCPRIM_400000_NS6detail17trampoline_kernelINS0_14default_configENS1_20scan_config_selectorIfEEZZNS1_9scan_implILNS1_25lookback_scan_determinismE0ELb0ELb0ES3_N6thrust23THRUST_200600_302600_NS6detail15normal_iteratorINS9_10device_ptrIfEEEESE_fNS9_4plusIiEEfEEDaPvRmT3_T4_T5_mT6_P12ihipStream_tbENKUlT_T0_E_clISt17integral_constantIbLb1EEST_IbLb0EEEEDaSP_SQ_EUlSP_E0_NS1_11comp_targetILNS1_3genE9ELNS1_11target_archE1100ELNS1_3gpuE3ELNS1_3repE0EEENS1_30default_config_static_selectorELNS0_4arch9wavefront6targetE1EEEvT1_,"axG",@progbits,_ZN7rocprim17ROCPRIM_400000_NS6detail17trampoline_kernelINS0_14default_configENS1_20scan_config_selectorIfEEZZNS1_9scan_implILNS1_25lookback_scan_determinismE0ELb0ELb0ES3_N6thrust23THRUST_200600_302600_NS6detail15normal_iteratorINS9_10device_ptrIfEEEESE_fNS9_4plusIiEEfEEDaPvRmT3_T4_T5_mT6_P12ihipStream_tbENKUlT_T0_E_clISt17integral_constantIbLb1EEST_IbLb0EEEEDaSP_SQ_EUlSP_E0_NS1_11comp_targetILNS1_3genE9ELNS1_11target_archE1100ELNS1_3gpuE3ELNS1_3repE0EEENS1_30default_config_static_selectorELNS0_4arch9wavefront6targetE1EEEvT1_,comdat
	.protected	_ZN7rocprim17ROCPRIM_400000_NS6detail17trampoline_kernelINS0_14default_configENS1_20scan_config_selectorIfEEZZNS1_9scan_implILNS1_25lookback_scan_determinismE0ELb0ELb0ES3_N6thrust23THRUST_200600_302600_NS6detail15normal_iteratorINS9_10device_ptrIfEEEESE_fNS9_4plusIiEEfEEDaPvRmT3_T4_T5_mT6_P12ihipStream_tbENKUlT_T0_E_clISt17integral_constantIbLb1EEST_IbLb0EEEEDaSP_SQ_EUlSP_E0_NS1_11comp_targetILNS1_3genE9ELNS1_11target_archE1100ELNS1_3gpuE3ELNS1_3repE0EEENS1_30default_config_static_selectorELNS0_4arch9wavefront6targetE1EEEvT1_ ; -- Begin function _ZN7rocprim17ROCPRIM_400000_NS6detail17trampoline_kernelINS0_14default_configENS1_20scan_config_selectorIfEEZZNS1_9scan_implILNS1_25lookback_scan_determinismE0ELb0ELb0ES3_N6thrust23THRUST_200600_302600_NS6detail15normal_iteratorINS9_10device_ptrIfEEEESE_fNS9_4plusIiEEfEEDaPvRmT3_T4_T5_mT6_P12ihipStream_tbENKUlT_T0_E_clISt17integral_constantIbLb1EEST_IbLb0EEEEDaSP_SQ_EUlSP_E0_NS1_11comp_targetILNS1_3genE9ELNS1_11target_archE1100ELNS1_3gpuE3ELNS1_3repE0EEENS1_30default_config_static_selectorELNS0_4arch9wavefront6targetE1EEEvT1_
	.globl	_ZN7rocprim17ROCPRIM_400000_NS6detail17trampoline_kernelINS0_14default_configENS1_20scan_config_selectorIfEEZZNS1_9scan_implILNS1_25lookback_scan_determinismE0ELb0ELb0ES3_N6thrust23THRUST_200600_302600_NS6detail15normal_iteratorINS9_10device_ptrIfEEEESE_fNS9_4plusIiEEfEEDaPvRmT3_T4_T5_mT6_P12ihipStream_tbENKUlT_T0_E_clISt17integral_constantIbLb1EEST_IbLb0EEEEDaSP_SQ_EUlSP_E0_NS1_11comp_targetILNS1_3genE9ELNS1_11target_archE1100ELNS1_3gpuE3ELNS1_3repE0EEENS1_30default_config_static_selectorELNS0_4arch9wavefront6targetE1EEEvT1_
	.p2align	8
	.type	_ZN7rocprim17ROCPRIM_400000_NS6detail17trampoline_kernelINS0_14default_configENS1_20scan_config_selectorIfEEZZNS1_9scan_implILNS1_25lookback_scan_determinismE0ELb0ELb0ES3_N6thrust23THRUST_200600_302600_NS6detail15normal_iteratorINS9_10device_ptrIfEEEESE_fNS9_4plusIiEEfEEDaPvRmT3_T4_T5_mT6_P12ihipStream_tbENKUlT_T0_E_clISt17integral_constantIbLb1EEST_IbLb0EEEEDaSP_SQ_EUlSP_E0_NS1_11comp_targetILNS1_3genE9ELNS1_11target_archE1100ELNS1_3gpuE3ELNS1_3repE0EEENS1_30default_config_static_selectorELNS0_4arch9wavefront6targetE1EEEvT1_,@function
_ZN7rocprim17ROCPRIM_400000_NS6detail17trampoline_kernelINS0_14default_configENS1_20scan_config_selectorIfEEZZNS1_9scan_implILNS1_25lookback_scan_determinismE0ELb0ELb0ES3_N6thrust23THRUST_200600_302600_NS6detail15normal_iteratorINS9_10device_ptrIfEEEESE_fNS9_4plusIiEEfEEDaPvRmT3_T4_T5_mT6_P12ihipStream_tbENKUlT_T0_E_clISt17integral_constantIbLb1EEST_IbLb0EEEEDaSP_SQ_EUlSP_E0_NS1_11comp_targetILNS1_3genE9ELNS1_11target_archE1100ELNS1_3gpuE3ELNS1_3repE0EEENS1_30default_config_static_selectorELNS0_4arch9wavefront6targetE1EEEvT1_: ; @_ZN7rocprim17ROCPRIM_400000_NS6detail17trampoline_kernelINS0_14default_configENS1_20scan_config_selectorIfEEZZNS1_9scan_implILNS1_25lookback_scan_determinismE0ELb0ELb0ES3_N6thrust23THRUST_200600_302600_NS6detail15normal_iteratorINS9_10device_ptrIfEEEESE_fNS9_4plusIiEEfEEDaPvRmT3_T4_T5_mT6_P12ihipStream_tbENKUlT_T0_E_clISt17integral_constantIbLb1EEST_IbLb0EEEEDaSP_SQ_EUlSP_E0_NS1_11comp_targetILNS1_3genE9ELNS1_11target_archE1100ELNS1_3gpuE3ELNS1_3repE0EEENS1_30default_config_static_selectorELNS0_4arch9wavefront6targetE1EEEvT1_
; %bb.0:
	.section	.rodata,"a",@progbits
	.p2align	6, 0x0
	.amdhsa_kernel _ZN7rocprim17ROCPRIM_400000_NS6detail17trampoline_kernelINS0_14default_configENS1_20scan_config_selectorIfEEZZNS1_9scan_implILNS1_25lookback_scan_determinismE0ELb0ELb0ES3_N6thrust23THRUST_200600_302600_NS6detail15normal_iteratorINS9_10device_ptrIfEEEESE_fNS9_4plusIiEEfEEDaPvRmT3_T4_T5_mT6_P12ihipStream_tbENKUlT_T0_E_clISt17integral_constantIbLb1EEST_IbLb0EEEEDaSP_SQ_EUlSP_E0_NS1_11comp_targetILNS1_3genE9ELNS1_11target_archE1100ELNS1_3gpuE3ELNS1_3repE0EEENS1_30default_config_static_selectorELNS0_4arch9wavefront6targetE1EEEvT1_
		.amdhsa_group_segment_fixed_size 0
		.amdhsa_private_segment_fixed_size 0
		.amdhsa_kernarg_size 32
		.amdhsa_user_sgpr_count 6
		.amdhsa_user_sgpr_private_segment_buffer 1
		.amdhsa_user_sgpr_dispatch_ptr 0
		.amdhsa_user_sgpr_queue_ptr 0
		.amdhsa_user_sgpr_kernarg_segment_ptr 1
		.amdhsa_user_sgpr_dispatch_id 0
		.amdhsa_user_sgpr_flat_scratch_init 0
		.amdhsa_user_sgpr_kernarg_preload_length 0
		.amdhsa_user_sgpr_kernarg_preload_offset 0
		.amdhsa_user_sgpr_private_segment_size 0
		.amdhsa_uses_dynamic_stack 0
		.amdhsa_system_sgpr_private_segment_wavefront_offset 0
		.amdhsa_system_sgpr_workgroup_id_x 1
		.amdhsa_system_sgpr_workgroup_id_y 0
		.amdhsa_system_sgpr_workgroup_id_z 0
		.amdhsa_system_sgpr_workgroup_info 0
		.amdhsa_system_vgpr_workitem_id 0
		.amdhsa_next_free_vgpr 1
		.amdhsa_next_free_sgpr 0
		.amdhsa_accum_offset 4
		.amdhsa_reserve_vcc 0
		.amdhsa_reserve_flat_scratch 0
		.amdhsa_float_round_mode_32 0
		.amdhsa_float_round_mode_16_64 0
		.amdhsa_float_denorm_mode_32 3
		.amdhsa_float_denorm_mode_16_64 3
		.amdhsa_dx10_clamp 1
		.amdhsa_ieee_mode 1
		.amdhsa_fp16_overflow 0
		.amdhsa_tg_split 0
		.amdhsa_exception_fp_ieee_invalid_op 0
		.amdhsa_exception_fp_denorm_src 0
		.amdhsa_exception_fp_ieee_div_zero 0
		.amdhsa_exception_fp_ieee_overflow 0
		.amdhsa_exception_fp_ieee_underflow 0
		.amdhsa_exception_fp_ieee_inexact 0
		.amdhsa_exception_int_div_zero 0
	.end_amdhsa_kernel
	.section	.text._ZN7rocprim17ROCPRIM_400000_NS6detail17trampoline_kernelINS0_14default_configENS1_20scan_config_selectorIfEEZZNS1_9scan_implILNS1_25lookback_scan_determinismE0ELb0ELb0ES3_N6thrust23THRUST_200600_302600_NS6detail15normal_iteratorINS9_10device_ptrIfEEEESE_fNS9_4plusIiEEfEEDaPvRmT3_T4_T5_mT6_P12ihipStream_tbENKUlT_T0_E_clISt17integral_constantIbLb1EEST_IbLb0EEEEDaSP_SQ_EUlSP_E0_NS1_11comp_targetILNS1_3genE9ELNS1_11target_archE1100ELNS1_3gpuE3ELNS1_3repE0EEENS1_30default_config_static_selectorELNS0_4arch9wavefront6targetE1EEEvT1_,"axG",@progbits,_ZN7rocprim17ROCPRIM_400000_NS6detail17trampoline_kernelINS0_14default_configENS1_20scan_config_selectorIfEEZZNS1_9scan_implILNS1_25lookback_scan_determinismE0ELb0ELb0ES3_N6thrust23THRUST_200600_302600_NS6detail15normal_iteratorINS9_10device_ptrIfEEEESE_fNS9_4plusIiEEfEEDaPvRmT3_T4_T5_mT6_P12ihipStream_tbENKUlT_T0_E_clISt17integral_constantIbLb1EEST_IbLb0EEEEDaSP_SQ_EUlSP_E0_NS1_11comp_targetILNS1_3genE9ELNS1_11target_archE1100ELNS1_3gpuE3ELNS1_3repE0EEENS1_30default_config_static_selectorELNS0_4arch9wavefront6targetE1EEEvT1_,comdat
.Lfunc_end1549:
	.size	_ZN7rocprim17ROCPRIM_400000_NS6detail17trampoline_kernelINS0_14default_configENS1_20scan_config_selectorIfEEZZNS1_9scan_implILNS1_25lookback_scan_determinismE0ELb0ELb0ES3_N6thrust23THRUST_200600_302600_NS6detail15normal_iteratorINS9_10device_ptrIfEEEESE_fNS9_4plusIiEEfEEDaPvRmT3_T4_T5_mT6_P12ihipStream_tbENKUlT_T0_E_clISt17integral_constantIbLb1EEST_IbLb0EEEEDaSP_SQ_EUlSP_E0_NS1_11comp_targetILNS1_3genE9ELNS1_11target_archE1100ELNS1_3gpuE3ELNS1_3repE0EEENS1_30default_config_static_selectorELNS0_4arch9wavefront6targetE1EEEvT1_, .Lfunc_end1549-_ZN7rocprim17ROCPRIM_400000_NS6detail17trampoline_kernelINS0_14default_configENS1_20scan_config_selectorIfEEZZNS1_9scan_implILNS1_25lookback_scan_determinismE0ELb0ELb0ES3_N6thrust23THRUST_200600_302600_NS6detail15normal_iteratorINS9_10device_ptrIfEEEESE_fNS9_4plusIiEEfEEDaPvRmT3_T4_T5_mT6_P12ihipStream_tbENKUlT_T0_E_clISt17integral_constantIbLb1EEST_IbLb0EEEEDaSP_SQ_EUlSP_E0_NS1_11comp_targetILNS1_3genE9ELNS1_11target_archE1100ELNS1_3gpuE3ELNS1_3repE0EEENS1_30default_config_static_selectorELNS0_4arch9wavefront6targetE1EEEvT1_
                                        ; -- End function
	.section	.AMDGPU.csdata,"",@progbits
; Kernel info:
; codeLenInByte = 0
; NumSgprs: 4
; NumVgprs: 0
; NumAgprs: 0
; TotalNumVgprs: 0
; ScratchSize: 0
; MemoryBound: 0
; FloatMode: 240
; IeeeMode: 1
; LDSByteSize: 0 bytes/workgroup (compile time only)
; SGPRBlocks: 0
; VGPRBlocks: 0
; NumSGPRsForWavesPerEU: 4
; NumVGPRsForWavesPerEU: 1
; AccumOffset: 4
; Occupancy: 8
; WaveLimiterHint : 0
; COMPUTE_PGM_RSRC2:SCRATCH_EN: 0
; COMPUTE_PGM_RSRC2:USER_SGPR: 6
; COMPUTE_PGM_RSRC2:TRAP_HANDLER: 0
; COMPUTE_PGM_RSRC2:TGID_X_EN: 1
; COMPUTE_PGM_RSRC2:TGID_Y_EN: 0
; COMPUTE_PGM_RSRC2:TGID_Z_EN: 0
; COMPUTE_PGM_RSRC2:TIDIG_COMP_CNT: 0
; COMPUTE_PGM_RSRC3_GFX90A:ACCUM_OFFSET: 0
; COMPUTE_PGM_RSRC3_GFX90A:TG_SPLIT: 0
	.section	.text._ZN7rocprim17ROCPRIM_400000_NS6detail17trampoline_kernelINS0_14default_configENS1_20scan_config_selectorIfEEZZNS1_9scan_implILNS1_25lookback_scan_determinismE0ELb0ELb0ES3_N6thrust23THRUST_200600_302600_NS6detail15normal_iteratorINS9_10device_ptrIfEEEESE_fNS9_4plusIiEEfEEDaPvRmT3_T4_T5_mT6_P12ihipStream_tbENKUlT_T0_E_clISt17integral_constantIbLb1EEST_IbLb0EEEEDaSP_SQ_EUlSP_E0_NS1_11comp_targetILNS1_3genE8ELNS1_11target_archE1030ELNS1_3gpuE2ELNS1_3repE0EEENS1_30default_config_static_selectorELNS0_4arch9wavefront6targetE1EEEvT1_,"axG",@progbits,_ZN7rocprim17ROCPRIM_400000_NS6detail17trampoline_kernelINS0_14default_configENS1_20scan_config_selectorIfEEZZNS1_9scan_implILNS1_25lookback_scan_determinismE0ELb0ELb0ES3_N6thrust23THRUST_200600_302600_NS6detail15normal_iteratorINS9_10device_ptrIfEEEESE_fNS9_4plusIiEEfEEDaPvRmT3_T4_T5_mT6_P12ihipStream_tbENKUlT_T0_E_clISt17integral_constantIbLb1EEST_IbLb0EEEEDaSP_SQ_EUlSP_E0_NS1_11comp_targetILNS1_3genE8ELNS1_11target_archE1030ELNS1_3gpuE2ELNS1_3repE0EEENS1_30default_config_static_selectorELNS0_4arch9wavefront6targetE1EEEvT1_,comdat
	.protected	_ZN7rocprim17ROCPRIM_400000_NS6detail17trampoline_kernelINS0_14default_configENS1_20scan_config_selectorIfEEZZNS1_9scan_implILNS1_25lookback_scan_determinismE0ELb0ELb0ES3_N6thrust23THRUST_200600_302600_NS6detail15normal_iteratorINS9_10device_ptrIfEEEESE_fNS9_4plusIiEEfEEDaPvRmT3_T4_T5_mT6_P12ihipStream_tbENKUlT_T0_E_clISt17integral_constantIbLb1EEST_IbLb0EEEEDaSP_SQ_EUlSP_E0_NS1_11comp_targetILNS1_3genE8ELNS1_11target_archE1030ELNS1_3gpuE2ELNS1_3repE0EEENS1_30default_config_static_selectorELNS0_4arch9wavefront6targetE1EEEvT1_ ; -- Begin function _ZN7rocprim17ROCPRIM_400000_NS6detail17trampoline_kernelINS0_14default_configENS1_20scan_config_selectorIfEEZZNS1_9scan_implILNS1_25lookback_scan_determinismE0ELb0ELb0ES3_N6thrust23THRUST_200600_302600_NS6detail15normal_iteratorINS9_10device_ptrIfEEEESE_fNS9_4plusIiEEfEEDaPvRmT3_T4_T5_mT6_P12ihipStream_tbENKUlT_T0_E_clISt17integral_constantIbLb1EEST_IbLb0EEEEDaSP_SQ_EUlSP_E0_NS1_11comp_targetILNS1_3genE8ELNS1_11target_archE1030ELNS1_3gpuE2ELNS1_3repE0EEENS1_30default_config_static_selectorELNS0_4arch9wavefront6targetE1EEEvT1_
	.globl	_ZN7rocprim17ROCPRIM_400000_NS6detail17trampoline_kernelINS0_14default_configENS1_20scan_config_selectorIfEEZZNS1_9scan_implILNS1_25lookback_scan_determinismE0ELb0ELb0ES3_N6thrust23THRUST_200600_302600_NS6detail15normal_iteratorINS9_10device_ptrIfEEEESE_fNS9_4plusIiEEfEEDaPvRmT3_T4_T5_mT6_P12ihipStream_tbENKUlT_T0_E_clISt17integral_constantIbLb1EEST_IbLb0EEEEDaSP_SQ_EUlSP_E0_NS1_11comp_targetILNS1_3genE8ELNS1_11target_archE1030ELNS1_3gpuE2ELNS1_3repE0EEENS1_30default_config_static_selectorELNS0_4arch9wavefront6targetE1EEEvT1_
	.p2align	8
	.type	_ZN7rocprim17ROCPRIM_400000_NS6detail17trampoline_kernelINS0_14default_configENS1_20scan_config_selectorIfEEZZNS1_9scan_implILNS1_25lookback_scan_determinismE0ELb0ELb0ES3_N6thrust23THRUST_200600_302600_NS6detail15normal_iteratorINS9_10device_ptrIfEEEESE_fNS9_4plusIiEEfEEDaPvRmT3_T4_T5_mT6_P12ihipStream_tbENKUlT_T0_E_clISt17integral_constantIbLb1EEST_IbLb0EEEEDaSP_SQ_EUlSP_E0_NS1_11comp_targetILNS1_3genE8ELNS1_11target_archE1030ELNS1_3gpuE2ELNS1_3repE0EEENS1_30default_config_static_selectorELNS0_4arch9wavefront6targetE1EEEvT1_,@function
_ZN7rocprim17ROCPRIM_400000_NS6detail17trampoline_kernelINS0_14default_configENS1_20scan_config_selectorIfEEZZNS1_9scan_implILNS1_25lookback_scan_determinismE0ELb0ELb0ES3_N6thrust23THRUST_200600_302600_NS6detail15normal_iteratorINS9_10device_ptrIfEEEESE_fNS9_4plusIiEEfEEDaPvRmT3_T4_T5_mT6_P12ihipStream_tbENKUlT_T0_E_clISt17integral_constantIbLb1EEST_IbLb0EEEEDaSP_SQ_EUlSP_E0_NS1_11comp_targetILNS1_3genE8ELNS1_11target_archE1030ELNS1_3gpuE2ELNS1_3repE0EEENS1_30default_config_static_selectorELNS0_4arch9wavefront6targetE1EEEvT1_: ; @_ZN7rocprim17ROCPRIM_400000_NS6detail17trampoline_kernelINS0_14default_configENS1_20scan_config_selectorIfEEZZNS1_9scan_implILNS1_25lookback_scan_determinismE0ELb0ELb0ES3_N6thrust23THRUST_200600_302600_NS6detail15normal_iteratorINS9_10device_ptrIfEEEESE_fNS9_4plusIiEEfEEDaPvRmT3_T4_T5_mT6_P12ihipStream_tbENKUlT_T0_E_clISt17integral_constantIbLb1EEST_IbLb0EEEEDaSP_SQ_EUlSP_E0_NS1_11comp_targetILNS1_3genE8ELNS1_11target_archE1030ELNS1_3gpuE2ELNS1_3repE0EEENS1_30default_config_static_selectorELNS0_4arch9wavefront6targetE1EEEvT1_
; %bb.0:
	.section	.rodata,"a",@progbits
	.p2align	6, 0x0
	.amdhsa_kernel _ZN7rocprim17ROCPRIM_400000_NS6detail17trampoline_kernelINS0_14default_configENS1_20scan_config_selectorIfEEZZNS1_9scan_implILNS1_25lookback_scan_determinismE0ELb0ELb0ES3_N6thrust23THRUST_200600_302600_NS6detail15normal_iteratorINS9_10device_ptrIfEEEESE_fNS9_4plusIiEEfEEDaPvRmT3_T4_T5_mT6_P12ihipStream_tbENKUlT_T0_E_clISt17integral_constantIbLb1EEST_IbLb0EEEEDaSP_SQ_EUlSP_E0_NS1_11comp_targetILNS1_3genE8ELNS1_11target_archE1030ELNS1_3gpuE2ELNS1_3repE0EEENS1_30default_config_static_selectorELNS0_4arch9wavefront6targetE1EEEvT1_
		.amdhsa_group_segment_fixed_size 0
		.amdhsa_private_segment_fixed_size 0
		.amdhsa_kernarg_size 32
		.amdhsa_user_sgpr_count 6
		.amdhsa_user_sgpr_private_segment_buffer 1
		.amdhsa_user_sgpr_dispatch_ptr 0
		.amdhsa_user_sgpr_queue_ptr 0
		.amdhsa_user_sgpr_kernarg_segment_ptr 1
		.amdhsa_user_sgpr_dispatch_id 0
		.amdhsa_user_sgpr_flat_scratch_init 0
		.amdhsa_user_sgpr_kernarg_preload_length 0
		.amdhsa_user_sgpr_kernarg_preload_offset 0
		.amdhsa_user_sgpr_private_segment_size 0
		.amdhsa_uses_dynamic_stack 0
		.amdhsa_system_sgpr_private_segment_wavefront_offset 0
		.amdhsa_system_sgpr_workgroup_id_x 1
		.amdhsa_system_sgpr_workgroup_id_y 0
		.amdhsa_system_sgpr_workgroup_id_z 0
		.amdhsa_system_sgpr_workgroup_info 0
		.amdhsa_system_vgpr_workitem_id 0
		.amdhsa_next_free_vgpr 1
		.amdhsa_next_free_sgpr 0
		.amdhsa_accum_offset 4
		.amdhsa_reserve_vcc 0
		.amdhsa_reserve_flat_scratch 0
		.amdhsa_float_round_mode_32 0
		.amdhsa_float_round_mode_16_64 0
		.amdhsa_float_denorm_mode_32 3
		.amdhsa_float_denorm_mode_16_64 3
		.amdhsa_dx10_clamp 1
		.amdhsa_ieee_mode 1
		.amdhsa_fp16_overflow 0
		.amdhsa_tg_split 0
		.amdhsa_exception_fp_ieee_invalid_op 0
		.amdhsa_exception_fp_denorm_src 0
		.amdhsa_exception_fp_ieee_div_zero 0
		.amdhsa_exception_fp_ieee_overflow 0
		.amdhsa_exception_fp_ieee_underflow 0
		.amdhsa_exception_fp_ieee_inexact 0
		.amdhsa_exception_int_div_zero 0
	.end_amdhsa_kernel
	.section	.text._ZN7rocprim17ROCPRIM_400000_NS6detail17trampoline_kernelINS0_14default_configENS1_20scan_config_selectorIfEEZZNS1_9scan_implILNS1_25lookback_scan_determinismE0ELb0ELb0ES3_N6thrust23THRUST_200600_302600_NS6detail15normal_iteratorINS9_10device_ptrIfEEEESE_fNS9_4plusIiEEfEEDaPvRmT3_T4_T5_mT6_P12ihipStream_tbENKUlT_T0_E_clISt17integral_constantIbLb1EEST_IbLb0EEEEDaSP_SQ_EUlSP_E0_NS1_11comp_targetILNS1_3genE8ELNS1_11target_archE1030ELNS1_3gpuE2ELNS1_3repE0EEENS1_30default_config_static_selectorELNS0_4arch9wavefront6targetE1EEEvT1_,"axG",@progbits,_ZN7rocprim17ROCPRIM_400000_NS6detail17trampoline_kernelINS0_14default_configENS1_20scan_config_selectorIfEEZZNS1_9scan_implILNS1_25lookback_scan_determinismE0ELb0ELb0ES3_N6thrust23THRUST_200600_302600_NS6detail15normal_iteratorINS9_10device_ptrIfEEEESE_fNS9_4plusIiEEfEEDaPvRmT3_T4_T5_mT6_P12ihipStream_tbENKUlT_T0_E_clISt17integral_constantIbLb1EEST_IbLb0EEEEDaSP_SQ_EUlSP_E0_NS1_11comp_targetILNS1_3genE8ELNS1_11target_archE1030ELNS1_3gpuE2ELNS1_3repE0EEENS1_30default_config_static_selectorELNS0_4arch9wavefront6targetE1EEEvT1_,comdat
.Lfunc_end1550:
	.size	_ZN7rocprim17ROCPRIM_400000_NS6detail17trampoline_kernelINS0_14default_configENS1_20scan_config_selectorIfEEZZNS1_9scan_implILNS1_25lookback_scan_determinismE0ELb0ELb0ES3_N6thrust23THRUST_200600_302600_NS6detail15normal_iteratorINS9_10device_ptrIfEEEESE_fNS9_4plusIiEEfEEDaPvRmT3_T4_T5_mT6_P12ihipStream_tbENKUlT_T0_E_clISt17integral_constantIbLb1EEST_IbLb0EEEEDaSP_SQ_EUlSP_E0_NS1_11comp_targetILNS1_3genE8ELNS1_11target_archE1030ELNS1_3gpuE2ELNS1_3repE0EEENS1_30default_config_static_selectorELNS0_4arch9wavefront6targetE1EEEvT1_, .Lfunc_end1550-_ZN7rocprim17ROCPRIM_400000_NS6detail17trampoline_kernelINS0_14default_configENS1_20scan_config_selectorIfEEZZNS1_9scan_implILNS1_25lookback_scan_determinismE0ELb0ELb0ES3_N6thrust23THRUST_200600_302600_NS6detail15normal_iteratorINS9_10device_ptrIfEEEESE_fNS9_4plusIiEEfEEDaPvRmT3_T4_T5_mT6_P12ihipStream_tbENKUlT_T0_E_clISt17integral_constantIbLb1EEST_IbLb0EEEEDaSP_SQ_EUlSP_E0_NS1_11comp_targetILNS1_3genE8ELNS1_11target_archE1030ELNS1_3gpuE2ELNS1_3repE0EEENS1_30default_config_static_selectorELNS0_4arch9wavefront6targetE1EEEvT1_
                                        ; -- End function
	.section	.AMDGPU.csdata,"",@progbits
; Kernel info:
; codeLenInByte = 0
; NumSgprs: 4
; NumVgprs: 0
; NumAgprs: 0
; TotalNumVgprs: 0
; ScratchSize: 0
; MemoryBound: 0
; FloatMode: 240
; IeeeMode: 1
; LDSByteSize: 0 bytes/workgroup (compile time only)
; SGPRBlocks: 0
; VGPRBlocks: 0
; NumSGPRsForWavesPerEU: 4
; NumVGPRsForWavesPerEU: 1
; AccumOffset: 4
; Occupancy: 8
; WaveLimiterHint : 0
; COMPUTE_PGM_RSRC2:SCRATCH_EN: 0
; COMPUTE_PGM_RSRC2:USER_SGPR: 6
; COMPUTE_PGM_RSRC2:TRAP_HANDLER: 0
; COMPUTE_PGM_RSRC2:TGID_X_EN: 1
; COMPUTE_PGM_RSRC2:TGID_Y_EN: 0
; COMPUTE_PGM_RSRC2:TGID_Z_EN: 0
; COMPUTE_PGM_RSRC2:TIDIG_COMP_CNT: 0
; COMPUTE_PGM_RSRC3_GFX90A:ACCUM_OFFSET: 0
; COMPUTE_PGM_RSRC3_GFX90A:TG_SPLIT: 0
	.section	.text._ZN7rocprim17ROCPRIM_400000_NS6detail17trampoline_kernelINS0_14default_configENS1_20scan_config_selectorIfEEZZNS1_9scan_implILNS1_25lookback_scan_determinismE0ELb0ELb0ES3_N6thrust23THRUST_200600_302600_NS6detail15normal_iteratorINS9_10device_ptrIfEEEESE_fNS9_4plusIiEEfEEDaPvRmT3_T4_T5_mT6_P12ihipStream_tbENKUlT_T0_E_clISt17integral_constantIbLb0EEST_IbLb1EEEEDaSP_SQ_EUlSP_E_NS1_11comp_targetILNS1_3genE0ELNS1_11target_archE4294967295ELNS1_3gpuE0ELNS1_3repE0EEENS1_30default_config_static_selectorELNS0_4arch9wavefront6targetE1EEEvT1_,"axG",@progbits,_ZN7rocprim17ROCPRIM_400000_NS6detail17trampoline_kernelINS0_14default_configENS1_20scan_config_selectorIfEEZZNS1_9scan_implILNS1_25lookback_scan_determinismE0ELb0ELb0ES3_N6thrust23THRUST_200600_302600_NS6detail15normal_iteratorINS9_10device_ptrIfEEEESE_fNS9_4plusIiEEfEEDaPvRmT3_T4_T5_mT6_P12ihipStream_tbENKUlT_T0_E_clISt17integral_constantIbLb0EEST_IbLb1EEEEDaSP_SQ_EUlSP_E_NS1_11comp_targetILNS1_3genE0ELNS1_11target_archE4294967295ELNS1_3gpuE0ELNS1_3repE0EEENS1_30default_config_static_selectorELNS0_4arch9wavefront6targetE1EEEvT1_,comdat
	.protected	_ZN7rocprim17ROCPRIM_400000_NS6detail17trampoline_kernelINS0_14default_configENS1_20scan_config_selectorIfEEZZNS1_9scan_implILNS1_25lookback_scan_determinismE0ELb0ELb0ES3_N6thrust23THRUST_200600_302600_NS6detail15normal_iteratorINS9_10device_ptrIfEEEESE_fNS9_4plusIiEEfEEDaPvRmT3_T4_T5_mT6_P12ihipStream_tbENKUlT_T0_E_clISt17integral_constantIbLb0EEST_IbLb1EEEEDaSP_SQ_EUlSP_E_NS1_11comp_targetILNS1_3genE0ELNS1_11target_archE4294967295ELNS1_3gpuE0ELNS1_3repE0EEENS1_30default_config_static_selectorELNS0_4arch9wavefront6targetE1EEEvT1_ ; -- Begin function _ZN7rocprim17ROCPRIM_400000_NS6detail17trampoline_kernelINS0_14default_configENS1_20scan_config_selectorIfEEZZNS1_9scan_implILNS1_25lookback_scan_determinismE0ELb0ELb0ES3_N6thrust23THRUST_200600_302600_NS6detail15normal_iteratorINS9_10device_ptrIfEEEESE_fNS9_4plusIiEEfEEDaPvRmT3_T4_T5_mT6_P12ihipStream_tbENKUlT_T0_E_clISt17integral_constantIbLb0EEST_IbLb1EEEEDaSP_SQ_EUlSP_E_NS1_11comp_targetILNS1_3genE0ELNS1_11target_archE4294967295ELNS1_3gpuE0ELNS1_3repE0EEENS1_30default_config_static_selectorELNS0_4arch9wavefront6targetE1EEEvT1_
	.globl	_ZN7rocprim17ROCPRIM_400000_NS6detail17trampoline_kernelINS0_14default_configENS1_20scan_config_selectorIfEEZZNS1_9scan_implILNS1_25lookback_scan_determinismE0ELb0ELb0ES3_N6thrust23THRUST_200600_302600_NS6detail15normal_iteratorINS9_10device_ptrIfEEEESE_fNS9_4plusIiEEfEEDaPvRmT3_T4_T5_mT6_P12ihipStream_tbENKUlT_T0_E_clISt17integral_constantIbLb0EEST_IbLb1EEEEDaSP_SQ_EUlSP_E_NS1_11comp_targetILNS1_3genE0ELNS1_11target_archE4294967295ELNS1_3gpuE0ELNS1_3repE0EEENS1_30default_config_static_selectorELNS0_4arch9wavefront6targetE1EEEvT1_
	.p2align	8
	.type	_ZN7rocprim17ROCPRIM_400000_NS6detail17trampoline_kernelINS0_14default_configENS1_20scan_config_selectorIfEEZZNS1_9scan_implILNS1_25lookback_scan_determinismE0ELb0ELb0ES3_N6thrust23THRUST_200600_302600_NS6detail15normal_iteratorINS9_10device_ptrIfEEEESE_fNS9_4plusIiEEfEEDaPvRmT3_T4_T5_mT6_P12ihipStream_tbENKUlT_T0_E_clISt17integral_constantIbLb0EEST_IbLb1EEEEDaSP_SQ_EUlSP_E_NS1_11comp_targetILNS1_3genE0ELNS1_11target_archE4294967295ELNS1_3gpuE0ELNS1_3repE0EEENS1_30default_config_static_selectorELNS0_4arch9wavefront6targetE1EEEvT1_,@function
_ZN7rocprim17ROCPRIM_400000_NS6detail17trampoline_kernelINS0_14default_configENS1_20scan_config_selectorIfEEZZNS1_9scan_implILNS1_25lookback_scan_determinismE0ELb0ELb0ES3_N6thrust23THRUST_200600_302600_NS6detail15normal_iteratorINS9_10device_ptrIfEEEESE_fNS9_4plusIiEEfEEDaPvRmT3_T4_T5_mT6_P12ihipStream_tbENKUlT_T0_E_clISt17integral_constantIbLb0EEST_IbLb1EEEEDaSP_SQ_EUlSP_E_NS1_11comp_targetILNS1_3genE0ELNS1_11target_archE4294967295ELNS1_3gpuE0ELNS1_3repE0EEENS1_30default_config_static_selectorELNS0_4arch9wavefront6targetE1EEEvT1_: ; @_ZN7rocprim17ROCPRIM_400000_NS6detail17trampoline_kernelINS0_14default_configENS1_20scan_config_selectorIfEEZZNS1_9scan_implILNS1_25lookback_scan_determinismE0ELb0ELb0ES3_N6thrust23THRUST_200600_302600_NS6detail15normal_iteratorINS9_10device_ptrIfEEEESE_fNS9_4plusIiEEfEEDaPvRmT3_T4_T5_mT6_P12ihipStream_tbENKUlT_T0_E_clISt17integral_constantIbLb0EEST_IbLb1EEEEDaSP_SQ_EUlSP_E_NS1_11comp_targetILNS1_3genE0ELNS1_11target_archE4294967295ELNS1_3gpuE0ELNS1_3repE0EEENS1_30default_config_static_selectorELNS0_4arch9wavefront6targetE1EEEvT1_
; %bb.0:
	.section	.rodata,"a",@progbits
	.p2align	6, 0x0
	.amdhsa_kernel _ZN7rocprim17ROCPRIM_400000_NS6detail17trampoline_kernelINS0_14default_configENS1_20scan_config_selectorIfEEZZNS1_9scan_implILNS1_25lookback_scan_determinismE0ELb0ELb0ES3_N6thrust23THRUST_200600_302600_NS6detail15normal_iteratorINS9_10device_ptrIfEEEESE_fNS9_4plusIiEEfEEDaPvRmT3_T4_T5_mT6_P12ihipStream_tbENKUlT_T0_E_clISt17integral_constantIbLb0EEST_IbLb1EEEEDaSP_SQ_EUlSP_E_NS1_11comp_targetILNS1_3genE0ELNS1_11target_archE4294967295ELNS1_3gpuE0ELNS1_3repE0EEENS1_30default_config_static_selectorELNS0_4arch9wavefront6targetE1EEEvT1_
		.amdhsa_group_segment_fixed_size 0
		.amdhsa_private_segment_fixed_size 0
		.amdhsa_kernarg_size 96
		.amdhsa_user_sgpr_count 6
		.amdhsa_user_sgpr_private_segment_buffer 1
		.amdhsa_user_sgpr_dispatch_ptr 0
		.amdhsa_user_sgpr_queue_ptr 0
		.amdhsa_user_sgpr_kernarg_segment_ptr 1
		.amdhsa_user_sgpr_dispatch_id 0
		.amdhsa_user_sgpr_flat_scratch_init 0
		.amdhsa_user_sgpr_kernarg_preload_length 0
		.amdhsa_user_sgpr_kernarg_preload_offset 0
		.amdhsa_user_sgpr_private_segment_size 0
		.amdhsa_uses_dynamic_stack 0
		.amdhsa_system_sgpr_private_segment_wavefront_offset 0
		.amdhsa_system_sgpr_workgroup_id_x 1
		.amdhsa_system_sgpr_workgroup_id_y 0
		.amdhsa_system_sgpr_workgroup_id_z 0
		.amdhsa_system_sgpr_workgroup_info 0
		.amdhsa_system_vgpr_workitem_id 0
		.amdhsa_next_free_vgpr 1
		.amdhsa_next_free_sgpr 0
		.amdhsa_accum_offset 4
		.amdhsa_reserve_vcc 0
		.amdhsa_reserve_flat_scratch 0
		.amdhsa_float_round_mode_32 0
		.amdhsa_float_round_mode_16_64 0
		.amdhsa_float_denorm_mode_32 3
		.amdhsa_float_denorm_mode_16_64 3
		.amdhsa_dx10_clamp 1
		.amdhsa_ieee_mode 1
		.amdhsa_fp16_overflow 0
		.amdhsa_tg_split 0
		.amdhsa_exception_fp_ieee_invalid_op 0
		.amdhsa_exception_fp_denorm_src 0
		.amdhsa_exception_fp_ieee_div_zero 0
		.amdhsa_exception_fp_ieee_overflow 0
		.amdhsa_exception_fp_ieee_underflow 0
		.amdhsa_exception_fp_ieee_inexact 0
		.amdhsa_exception_int_div_zero 0
	.end_amdhsa_kernel
	.section	.text._ZN7rocprim17ROCPRIM_400000_NS6detail17trampoline_kernelINS0_14default_configENS1_20scan_config_selectorIfEEZZNS1_9scan_implILNS1_25lookback_scan_determinismE0ELb0ELb0ES3_N6thrust23THRUST_200600_302600_NS6detail15normal_iteratorINS9_10device_ptrIfEEEESE_fNS9_4plusIiEEfEEDaPvRmT3_T4_T5_mT6_P12ihipStream_tbENKUlT_T0_E_clISt17integral_constantIbLb0EEST_IbLb1EEEEDaSP_SQ_EUlSP_E_NS1_11comp_targetILNS1_3genE0ELNS1_11target_archE4294967295ELNS1_3gpuE0ELNS1_3repE0EEENS1_30default_config_static_selectorELNS0_4arch9wavefront6targetE1EEEvT1_,"axG",@progbits,_ZN7rocprim17ROCPRIM_400000_NS6detail17trampoline_kernelINS0_14default_configENS1_20scan_config_selectorIfEEZZNS1_9scan_implILNS1_25lookback_scan_determinismE0ELb0ELb0ES3_N6thrust23THRUST_200600_302600_NS6detail15normal_iteratorINS9_10device_ptrIfEEEESE_fNS9_4plusIiEEfEEDaPvRmT3_T4_T5_mT6_P12ihipStream_tbENKUlT_T0_E_clISt17integral_constantIbLb0EEST_IbLb1EEEEDaSP_SQ_EUlSP_E_NS1_11comp_targetILNS1_3genE0ELNS1_11target_archE4294967295ELNS1_3gpuE0ELNS1_3repE0EEENS1_30default_config_static_selectorELNS0_4arch9wavefront6targetE1EEEvT1_,comdat
.Lfunc_end1551:
	.size	_ZN7rocprim17ROCPRIM_400000_NS6detail17trampoline_kernelINS0_14default_configENS1_20scan_config_selectorIfEEZZNS1_9scan_implILNS1_25lookback_scan_determinismE0ELb0ELb0ES3_N6thrust23THRUST_200600_302600_NS6detail15normal_iteratorINS9_10device_ptrIfEEEESE_fNS9_4plusIiEEfEEDaPvRmT3_T4_T5_mT6_P12ihipStream_tbENKUlT_T0_E_clISt17integral_constantIbLb0EEST_IbLb1EEEEDaSP_SQ_EUlSP_E_NS1_11comp_targetILNS1_3genE0ELNS1_11target_archE4294967295ELNS1_3gpuE0ELNS1_3repE0EEENS1_30default_config_static_selectorELNS0_4arch9wavefront6targetE1EEEvT1_, .Lfunc_end1551-_ZN7rocprim17ROCPRIM_400000_NS6detail17trampoline_kernelINS0_14default_configENS1_20scan_config_selectorIfEEZZNS1_9scan_implILNS1_25lookback_scan_determinismE0ELb0ELb0ES3_N6thrust23THRUST_200600_302600_NS6detail15normal_iteratorINS9_10device_ptrIfEEEESE_fNS9_4plusIiEEfEEDaPvRmT3_T4_T5_mT6_P12ihipStream_tbENKUlT_T0_E_clISt17integral_constantIbLb0EEST_IbLb1EEEEDaSP_SQ_EUlSP_E_NS1_11comp_targetILNS1_3genE0ELNS1_11target_archE4294967295ELNS1_3gpuE0ELNS1_3repE0EEENS1_30default_config_static_selectorELNS0_4arch9wavefront6targetE1EEEvT1_
                                        ; -- End function
	.section	.AMDGPU.csdata,"",@progbits
; Kernel info:
; codeLenInByte = 0
; NumSgprs: 4
; NumVgprs: 0
; NumAgprs: 0
; TotalNumVgprs: 0
; ScratchSize: 0
; MemoryBound: 0
; FloatMode: 240
; IeeeMode: 1
; LDSByteSize: 0 bytes/workgroup (compile time only)
; SGPRBlocks: 0
; VGPRBlocks: 0
; NumSGPRsForWavesPerEU: 4
; NumVGPRsForWavesPerEU: 1
; AccumOffset: 4
; Occupancy: 8
; WaveLimiterHint : 0
; COMPUTE_PGM_RSRC2:SCRATCH_EN: 0
; COMPUTE_PGM_RSRC2:USER_SGPR: 6
; COMPUTE_PGM_RSRC2:TRAP_HANDLER: 0
; COMPUTE_PGM_RSRC2:TGID_X_EN: 1
; COMPUTE_PGM_RSRC2:TGID_Y_EN: 0
; COMPUTE_PGM_RSRC2:TGID_Z_EN: 0
; COMPUTE_PGM_RSRC2:TIDIG_COMP_CNT: 0
; COMPUTE_PGM_RSRC3_GFX90A:ACCUM_OFFSET: 0
; COMPUTE_PGM_RSRC3_GFX90A:TG_SPLIT: 0
	.section	.text._ZN7rocprim17ROCPRIM_400000_NS6detail17trampoline_kernelINS0_14default_configENS1_20scan_config_selectorIfEEZZNS1_9scan_implILNS1_25lookback_scan_determinismE0ELb0ELb0ES3_N6thrust23THRUST_200600_302600_NS6detail15normal_iteratorINS9_10device_ptrIfEEEESE_fNS9_4plusIiEEfEEDaPvRmT3_T4_T5_mT6_P12ihipStream_tbENKUlT_T0_E_clISt17integral_constantIbLb0EEST_IbLb1EEEEDaSP_SQ_EUlSP_E_NS1_11comp_targetILNS1_3genE5ELNS1_11target_archE942ELNS1_3gpuE9ELNS1_3repE0EEENS1_30default_config_static_selectorELNS0_4arch9wavefront6targetE1EEEvT1_,"axG",@progbits,_ZN7rocprim17ROCPRIM_400000_NS6detail17trampoline_kernelINS0_14default_configENS1_20scan_config_selectorIfEEZZNS1_9scan_implILNS1_25lookback_scan_determinismE0ELb0ELb0ES3_N6thrust23THRUST_200600_302600_NS6detail15normal_iteratorINS9_10device_ptrIfEEEESE_fNS9_4plusIiEEfEEDaPvRmT3_T4_T5_mT6_P12ihipStream_tbENKUlT_T0_E_clISt17integral_constantIbLb0EEST_IbLb1EEEEDaSP_SQ_EUlSP_E_NS1_11comp_targetILNS1_3genE5ELNS1_11target_archE942ELNS1_3gpuE9ELNS1_3repE0EEENS1_30default_config_static_selectorELNS0_4arch9wavefront6targetE1EEEvT1_,comdat
	.protected	_ZN7rocprim17ROCPRIM_400000_NS6detail17trampoline_kernelINS0_14default_configENS1_20scan_config_selectorIfEEZZNS1_9scan_implILNS1_25lookback_scan_determinismE0ELb0ELb0ES3_N6thrust23THRUST_200600_302600_NS6detail15normal_iteratorINS9_10device_ptrIfEEEESE_fNS9_4plusIiEEfEEDaPvRmT3_T4_T5_mT6_P12ihipStream_tbENKUlT_T0_E_clISt17integral_constantIbLb0EEST_IbLb1EEEEDaSP_SQ_EUlSP_E_NS1_11comp_targetILNS1_3genE5ELNS1_11target_archE942ELNS1_3gpuE9ELNS1_3repE0EEENS1_30default_config_static_selectorELNS0_4arch9wavefront6targetE1EEEvT1_ ; -- Begin function _ZN7rocprim17ROCPRIM_400000_NS6detail17trampoline_kernelINS0_14default_configENS1_20scan_config_selectorIfEEZZNS1_9scan_implILNS1_25lookback_scan_determinismE0ELb0ELb0ES3_N6thrust23THRUST_200600_302600_NS6detail15normal_iteratorINS9_10device_ptrIfEEEESE_fNS9_4plusIiEEfEEDaPvRmT3_T4_T5_mT6_P12ihipStream_tbENKUlT_T0_E_clISt17integral_constantIbLb0EEST_IbLb1EEEEDaSP_SQ_EUlSP_E_NS1_11comp_targetILNS1_3genE5ELNS1_11target_archE942ELNS1_3gpuE9ELNS1_3repE0EEENS1_30default_config_static_selectorELNS0_4arch9wavefront6targetE1EEEvT1_
	.globl	_ZN7rocprim17ROCPRIM_400000_NS6detail17trampoline_kernelINS0_14default_configENS1_20scan_config_selectorIfEEZZNS1_9scan_implILNS1_25lookback_scan_determinismE0ELb0ELb0ES3_N6thrust23THRUST_200600_302600_NS6detail15normal_iteratorINS9_10device_ptrIfEEEESE_fNS9_4plusIiEEfEEDaPvRmT3_T4_T5_mT6_P12ihipStream_tbENKUlT_T0_E_clISt17integral_constantIbLb0EEST_IbLb1EEEEDaSP_SQ_EUlSP_E_NS1_11comp_targetILNS1_3genE5ELNS1_11target_archE942ELNS1_3gpuE9ELNS1_3repE0EEENS1_30default_config_static_selectorELNS0_4arch9wavefront6targetE1EEEvT1_
	.p2align	8
	.type	_ZN7rocprim17ROCPRIM_400000_NS6detail17trampoline_kernelINS0_14default_configENS1_20scan_config_selectorIfEEZZNS1_9scan_implILNS1_25lookback_scan_determinismE0ELb0ELb0ES3_N6thrust23THRUST_200600_302600_NS6detail15normal_iteratorINS9_10device_ptrIfEEEESE_fNS9_4plusIiEEfEEDaPvRmT3_T4_T5_mT6_P12ihipStream_tbENKUlT_T0_E_clISt17integral_constantIbLb0EEST_IbLb1EEEEDaSP_SQ_EUlSP_E_NS1_11comp_targetILNS1_3genE5ELNS1_11target_archE942ELNS1_3gpuE9ELNS1_3repE0EEENS1_30default_config_static_selectorELNS0_4arch9wavefront6targetE1EEEvT1_,@function
_ZN7rocprim17ROCPRIM_400000_NS6detail17trampoline_kernelINS0_14default_configENS1_20scan_config_selectorIfEEZZNS1_9scan_implILNS1_25lookback_scan_determinismE0ELb0ELb0ES3_N6thrust23THRUST_200600_302600_NS6detail15normal_iteratorINS9_10device_ptrIfEEEESE_fNS9_4plusIiEEfEEDaPvRmT3_T4_T5_mT6_P12ihipStream_tbENKUlT_T0_E_clISt17integral_constantIbLb0EEST_IbLb1EEEEDaSP_SQ_EUlSP_E_NS1_11comp_targetILNS1_3genE5ELNS1_11target_archE942ELNS1_3gpuE9ELNS1_3repE0EEENS1_30default_config_static_selectorELNS0_4arch9wavefront6targetE1EEEvT1_: ; @_ZN7rocprim17ROCPRIM_400000_NS6detail17trampoline_kernelINS0_14default_configENS1_20scan_config_selectorIfEEZZNS1_9scan_implILNS1_25lookback_scan_determinismE0ELb0ELb0ES3_N6thrust23THRUST_200600_302600_NS6detail15normal_iteratorINS9_10device_ptrIfEEEESE_fNS9_4plusIiEEfEEDaPvRmT3_T4_T5_mT6_P12ihipStream_tbENKUlT_T0_E_clISt17integral_constantIbLb0EEST_IbLb1EEEEDaSP_SQ_EUlSP_E_NS1_11comp_targetILNS1_3genE5ELNS1_11target_archE942ELNS1_3gpuE9ELNS1_3repE0EEENS1_30default_config_static_selectorELNS0_4arch9wavefront6targetE1EEEvT1_
; %bb.0:
	.section	.rodata,"a",@progbits
	.p2align	6, 0x0
	.amdhsa_kernel _ZN7rocprim17ROCPRIM_400000_NS6detail17trampoline_kernelINS0_14default_configENS1_20scan_config_selectorIfEEZZNS1_9scan_implILNS1_25lookback_scan_determinismE0ELb0ELb0ES3_N6thrust23THRUST_200600_302600_NS6detail15normal_iteratorINS9_10device_ptrIfEEEESE_fNS9_4plusIiEEfEEDaPvRmT3_T4_T5_mT6_P12ihipStream_tbENKUlT_T0_E_clISt17integral_constantIbLb0EEST_IbLb1EEEEDaSP_SQ_EUlSP_E_NS1_11comp_targetILNS1_3genE5ELNS1_11target_archE942ELNS1_3gpuE9ELNS1_3repE0EEENS1_30default_config_static_selectorELNS0_4arch9wavefront6targetE1EEEvT1_
		.amdhsa_group_segment_fixed_size 0
		.amdhsa_private_segment_fixed_size 0
		.amdhsa_kernarg_size 96
		.amdhsa_user_sgpr_count 6
		.amdhsa_user_sgpr_private_segment_buffer 1
		.amdhsa_user_sgpr_dispatch_ptr 0
		.amdhsa_user_sgpr_queue_ptr 0
		.amdhsa_user_sgpr_kernarg_segment_ptr 1
		.amdhsa_user_sgpr_dispatch_id 0
		.amdhsa_user_sgpr_flat_scratch_init 0
		.amdhsa_user_sgpr_kernarg_preload_length 0
		.amdhsa_user_sgpr_kernarg_preload_offset 0
		.amdhsa_user_sgpr_private_segment_size 0
		.amdhsa_uses_dynamic_stack 0
		.amdhsa_system_sgpr_private_segment_wavefront_offset 0
		.amdhsa_system_sgpr_workgroup_id_x 1
		.amdhsa_system_sgpr_workgroup_id_y 0
		.amdhsa_system_sgpr_workgroup_id_z 0
		.amdhsa_system_sgpr_workgroup_info 0
		.amdhsa_system_vgpr_workitem_id 0
		.amdhsa_next_free_vgpr 1
		.amdhsa_next_free_sgpr 0
		.amdhsa_accum_offset 4
		.amdhsa_reserve_vcc 0
		.amdhsa_reserve_flat_scratch 0
		.amdhsa_float_round_mode_32 0
		.amdhsa_float_round_mode_16_64 0
		.amdhsa_float_denorm_mode_32 3
		.amdhsa_float_denorm_mode_16_64 3
		.amdhsa_dx10_clamp 1
		.amdhsa_ieee_mode 1
		.amdhsa_fp16_overflow 0
		.amdhsa_tg_split 0
		.amdhsa_exception_fp_ieee_invalid_op 0
		.amdhsa_exception_fp_denorm_src 0
		.amdhsa_exception_fp_ieee_div_zero 0
		.amdhsa_exception_fp_ieee_overflow 0
		.amdhsa_exception_fp_ieee_underflow 0
		.amdhsa_exception_fp_ieee_inexact 0
		.amdhsa_exception_int_div_zero 0
	.end_amdhsa_kernel
	.section	.text._ZN7rocprim17ROCPRIM_400000_NS6detail17trampoline_kernelINS0_14default_configENS1_20scan_config_selectorIfEEZZNS1_9scan_implILNS1_25lookback_scan_determinismE0ELb0ELb0ES3_N6thrust23THRUST_200600_302600_NS6detail15normal_iteratorINS9_10device_ptrIfEEEESE_fNS9_4plusIiEEfEEDaPvRmT3_T4_T5_mT6_P12ihipStream_tbENKUlT_T0_E_clISt17integral_constantIbLb0EEST_IbLb1EEEEDaSP_SQ_EUlSP_E_NS1_11comp_targetILNS1_3genE5ELNS1_11target_archE942ELNS1_3gpuE9ELNS1_3repE0EEENS1_30default_config_static_selectorELNS0_4arch9wavefront6targetE1EEEvT1_,"axG",@progbits,_ZN7rocprim17ROCPRIM_400000_NS6detail17trampoline_kernelINS0_14default_configENS1_20scan_config_selectorIfEEZZNS1_9scan_implILNS1_25lookback_scan_determinismE0ELb0ELb0ES3_N6thrust23THRUST_200600_302600_NS6detail15normal_iteratorINS9_10device_ptrIfEEEESE_fNS9_4plusIiEEfEEDaPvRmT3_T4_T5_mT6_P12ihipStream_tbENKUlT_T0_E_clISt17integral_constantIbLb0EEST_IbLb1EEEEDaSP_SQ_EUlSP_E_NS1_11comp_targetILNS1_3genE5ELNS1_11target_archE942ELNS1_3gpuE9ELNS1_3repE0EEENS1_30default_config_static_selectorELNS0_4arch9wavefront6targetE1EEEvT1_,comdat
.Lfunc_end1552:
	.size	_ZN7rocprim17ROCPRIM_400000_NS6detail17trampoline_kernelINS0_14default_configENS1_20scan_config_selectorIfEEZZNS1_9scan_implILNS1_25lookback_scan_determinismE0ELb0ELb0ES3_N6thrust23THRUST_200600_302600_NS6detail15normal_iteratorINS9_10device_ptrIfEEEESE_fNS9_4plusIiEEfEEDaPvRmT3_T4_T5_mT6_P12ihipStream_tbENKUlT_T0_E_clISt17integral_constantIbLb0EEST_IbLb1EEEEDaSP_SQ_EUlSP_E_NS1_11comp_targetILNS1_3genE5ELNS1_11target_archE942ELNS1_3gpuE9ELNS1_3repE0EEENS1_30default_config_static_selectorELNS0_4arch9wavefront6targetE1EEEvT1_, .Lfunc_end1552-_ZN7rocprim17ROCPRIM_400000_NS6detail17trampoline_kernelINS0_14default_configENS1_20scan_config_selectorIfEEZZNS1_9scan_implILNS1_25lookback_scan_determinismE0ELb0ELb0ES3_N6thrust23THRUST_200600_302600_NS6detail15normal_iteratorINS9_10device_ptrIfEEEESE_fNS9_4plusIiEEfEEDaPvRmT3_T4_T5_mT6_P12ihipStream_tbENKUlT_T0_E_clISt17integral_constantIbLb0EEST_IbLb1EEEEDaSP_SQ_EUlSP_E_NS1_11comp_targetILNS1_3genE5ELNS1_11target_archE942ELNS1_3gpuE9ELNS1_3repE0EEENS1_30default_config_static_selectorELNS0_4arch9wavefront6targetE1EEEvT1_
                                        ; -- End function
	.section	.AMDGPU.csdata,"",@progbits
; Kernel info:
; codeLenInByte = 0
; NumSgprs: 4
; NumVgprs: 0
; NumAgprs: 0
; TotalNumVgprs: 0
; ScratchSize: 0
; MemoryBound: 0
; FloatMode: 240
; IeeeMode: 1
; LDSByteSize: 0 bytes/workgroup (compile time only)
; SGPRBlocks: 0
; VGPRBlocks: 0
; NumSGPRsForWavesPerEU: 4
; NumVGPRsForWavesPerEU: 1
; AccumOffset: 4
; Occupancy: 8
; WaveLimiterHint : 0
; COMPUTE_PGM_RSRC2:SCRATCH_EN: 0
; COMPUTE_PGM_RSRC2:USER_SGPR: 6
; COMPUTE_PGM_RSRC2:TRAP_HANDLER: 0
; COMPUTE_PGM_RSRC2:TGID_X_EN: 1
; COMPUTE_PGM_RSRC2:TGID_Y_EN: 0
; COMPUTE_PGM_RSRC2:TGID_Z_EN: 0
; COMPUTE_PGM_RSRC2:TIDIG_COMP_CNT: 0
; COMPUTE_PGM_RSRC3_GFX90A:ACCUM_OFFSET: 0
; COMPUTE_PGM_RSRC3_GFX90A:TG_SPLIT: 0
	.section	.text._ZN7rocprim17ROCPRIM_400000_NS6detail17trampoline_kernelINS0_14default_configENS1_20scan_config_selectorIfEEZZNS1_9scan_implILNS1_25lookback_scan_determinismE0ELb0ELb0ES3_N6thrust23THRUST_200600_302600_NS6detail15normal_iteratorINS9_10device_ptrIfEEEESE_fNS9_4plusIiEEfEEDaPvRmT3_T4_T5_mT6_P12ihipStream_tbENKUlT_T0_E_clISt17integral_constantIbLb0EEST_IbLb1EEEEDaSP_SQ_EUlSP_E_NS1_11comp_targetILNS1_3genE4ELNS1_11target_archE910ELNS1_3gpuE8ELNS1_3repE0EEENS1_30default_config_static_selectorELNS0_4arch9wavefront6targetE1EEEvT1_,"axG",@progbits,_ZN7rocprim17ROCPRIM_400000_NS6detail17trampoline_kernelINS0_14default_configENS1_20scan_config_selectorIfEEZZNS1_9scan_implILNS1_25lookback_scan_determinismE0ELb0ELb0ES3_N6thrust23THRUST_200600_302600_NS6detail15normal_iteratorINS9_10device_ptrIfEEEESE_fNS9_4plusIiEEfEEDaPvRmT3_T4_T5_mT6_P12ihipStream_tbENKUlT_T0_E_clISt17integral_constantIbLb0EEST_IbLb1EEEEDaSP_SQ_EUlSP_E_NS1_11comp_targetILNS1_3genE4ELNS1_11target_archE910ELNS1_3gpuE8ELNS1_3repE0EEENS1_30default_config_static_selectorELNS0_4arch9wavefront6targetE1EEEvT1_,comdat
	.protected	_ZN7rocprim17ROCPRIM_400000_NS6detail17trampoline_kernelINS0_14default_configENS1_20scan_config_selectorIfEEZZNS1_9scan_implILNS1_25lookback_scan_determinismE0ELb0ELb0ES3_N6thrust23THRUST_200600_302600_NS6detail15normal_iteratorINS9_10device_ptrIfEEEESE_fNS9_4plusIiEEfEEDaPvRmT3_T4_T5_mT6_P12ihipStream_tbENKUlT_T0_E_clISt17integral_constantIbLb0EEST_IbLb1EEEEDaSP_SQ_EUlSP_E_NS1_11comp_targetILNS1_3genE4ELNS1_11target_archE910ELNS1_3gpuE8ELNS1_3repE0EEENS1_30default_config_static_selectorELNS0_4arch9wavefront6targetE1EEEvT1_ ; -- Begin function _ZN7rocprim17ROCPRIM_400000_NS6detail17trampoline_kernelINS0_14default_configENS1_20scan_config_selectorIfEEZZNS1_9scan_implILNS1_25lookback_scan_determinismE0ELb0ELb0ES3_N6thrust23THRUST_200600_302600_NS6detail15normal_iteratorINS9_10device_ptrIfEEEESE_fNS9_4plusIiEEfEEDaPvRmT3_T4_T5_mT6_P12ihipStream_tbENKUlT_T0_E_clISt17integral_constantIbLb0EEST_IbLb1EEEEDaSP_SQ_EUlSP_E_NS1_11comp_targetILNS1_3genE4ELNS1_11target_archE910ELNS1_3gpuE8ELNS1_3repE0EEENS1_30default_config_static_selectorELNS0_4arch9wavefront6targetE1EEEvT1_
	.globl	_ZN7rocprim17ROCPRIM_400000_NS6detail17trampoline_kernelINS0_14default_configENS1_20scan_config_selectorIfEEZZNS1_9scan_implILNS1_25lookback_scan_determinismE0ELb0ELb0ES3_N6thrust23THRUST_200600_302600_NS6detail15normal_iteratorINS9_10device_ptrIfEEEESE_fNS9_4plusIiEEfEEDaPvRmT3_T4_T5_mT6_P12ihipStream_tbENKUlT_T0_E_clISt17integral_constantIbLb0EEST_IbLb1EEEEDaSP_SQ_EUlSP_E_NS1_11comp_targetILNS1_3genE4ELNS1_11target_archE910ELNS1_3gpuE8ELNS1_3repE0EEENS1_30default_config_static_selectorELNS0_4arch9wavefront6targetE1EEEvT1_
	.p2align	8
	.type	_ZN7rocprim17ROCPRIM_400000_NS6detail17trampoline_kernelINS0_14default_configENS1_20scan_config_selectorIfEEZZNS1_9scan_implILNS1_25lookback_scan_determinismE0ELb0ELb0ES3_N6thrust23THRUST_200600_302600_NS6detail15normal_iteratorINS9_10device_ptrIfEEEESE_fNS9_4plusIiEEfEEDaPvRmT3_T4_T5_mT6_P12ihipStream_tbENKUlT_T0_E_clISt17integral_constantIbLb0EEST_IbLb1EEEEDaSP_SQ_EUlSP_E_NS1_11comp_targetILNS1_3genE4ELNS1_11target_archE910ELNS1_3gpuE8ELNS1_3repE0EEENS1_30default_config_static_selectorELNS0_4arch9wavefront6targetE1EEEvT1_,@function
_ZN7rocprim17ROCPRIM_400000_NS6detail17trampoline_kernelINS0_14default_configENS1_20scan_config_selectorIfEEZZNS1_9scan_implILNS1_25lookback_scan_determinismE0ELb0ELb0ES3_N6thrust23THRUST_200600_302600_NS6detail15normal_iteratorINS9_10device_ptrIfEEEESE_fNS9_4plusIiEEfEEDaPvRmT3_T4_T5_mT6_P12ihipStream_tbENKUlT_T0_E_clISt17integral_constantIbLb0EEST_IbLb1EEEEDaSP_SQ_EUlSP_E_NS1_11comp_targetILNS1_3genE4ELNS1_11target_archE910ELNS1_3gpuE8ELNS1_3repE0EEENS1_30default_config_static_selectorELNS0_4arch9wavefront6targetE1EEEvT1_: ; @_ZN7rocprim17ROCPRIM_400000_NS6detail17trampoline_kernelINS0_14default_configENS1_20scan_config_selectorIfEEZZNS1_9scan_implILNS1_25lookback_scan_determinismE0ELb0ELb0ES3_N6thrust23THRUST_200600_302600_NS6detail15normal_iteratorINS9_10device_ptrIfEEEESE_fNS9_4plusIiEEfEEDaPvRmT3_T4_T5_mT6_P12ihipStream_tbENKUlT_T0_E_clISt17integral_constantIbLb0EEST_IbLb1EEEEDaSP_SQ_EUlSP_E_NS1_11comp_targetILNS1_3genE4ELNS1_11target_archE910ELNS1_3gpuE8ELNS1_3repE0EEENS1_30default_config_static_selectorELNS0_4arch9wavefront6targetE1EEEvT1_
; %bb.0:
	s_load_dwordx2 s[28:29], s[4:5], 0x28
	v_cmp_ne_u32_e64 s[0:1], 0, v0
	v_cmp_eq_u32_e64 s[2:3], 0, v0
	s_and_saveexec_b64 s[6:7], s[2:3]
	s_cbranch_execz .LBB1553_4
; %bb.1:
	s_mov_b64 s[10:11], exec
	v_mbcnt_lo_u32_b32 v1, s10, 0
	v_mbcnt_hi_u32_b32 v1, s11, v1
	v_cmp_eq_u32_e32 vcc, 0, v1
                                        ; implicit-def: $vgpr2
	s_and_saveexec_b64 s[8:9], vcc
	s_cbranch_execz .LBB1553_3
; %bb.2:
	s_load_dwordx2 s[12:13], s[4:5], 0x58
	s_bcnt1_i32_b64 s10, s[10:11]
	v_mov_b32_e32 v2, 0
	v_mov_b32_e32 v3, s10
	s_waitcnt lgkmcnt(0)
	global_atomic_add v2, v2, v3, s[12:13] glc
.LBB1553_3:
	s_or_b64 exec, exec, s[8:9]
	s_waitcnt vmcnt(0)
	v_readfirstlane_b32 s8, v2
	v_add_u32_e32 v1, s8, v1
	v_mov_b32_e32 v2, 0
	ds_write_b32 v2, v1
.LBB1553_4:
	s_or_b64 exec, exec, s[6:7]
	s_load_dwordx8 s[20:27], s[4:5], 0x0
	s_load_dword s6, s[4:5], 0x30
	s_load_dwordx8 s[12:19], s[4:5], 0x38
	v_mov_b32_e32 v1, 0
	s_waitcnt lgkmcnt(0)
	s_barrier
	ds_read_b32 v1, v1
	s_lshl_b64 s[22:23], s[22:23], 2
	s_add_u32 s7, s20, s22
	s_addc_u32 s8, s21, s23
	s_add_i32 s6, s6, -1
	s_mul_i32 s9, s6, 0x700
	s_sub_u32 s33, s26, s9
	s_waitcnt lgkmcnt(0)
	v_readfirstlane_b32 s35, v1
	s_subb_u32 s34, s27, 0
	s_mul_i32 s4, s35, 0x700
	s_mov_b32 s5, 0
	s_cmp_lg_u32 s35, s6
	s_cselect_b64 s[20:21], -1, 0
	s_lshl_b64 s[26:27], s[4:5], 2
	s_add_u32 s6, s7, s26
	s_addc_u32 s7, s8, s27
	s_mov_b64 s[4:5], -1
	s_and_b64 vcc, exec, s[20:21]
	v_lshlrev_b32_e32 v32, 2, v0
	s_barrier
	s_cbranch_vccz .LBB1553_6
; %bb.5:
	v_mov_b32_e32 v1, s7
	v_add_co_u32_e32 v2, vcc, s6, v32
	v_addc_co_u32_e32 v3, vcc, 0, v1, vcc
	flat_load_dword v1, v[2:3]
	flat_load_dword v4, v[2:3] offset:512
	flat_load_dword v5, v[2:3] offset:1024
	;; [unrolled: 1-line block ×7, first 2 shown]
	v_add_co_u32_e32 v2, vcc, 0x1000, v2
	v_addc_co_u32_e32 v3, vcc, 0, v3, vcc
	flat_load_dword v11, v[2:3]
	flat_load_dword v12, v[2:3] offset:512
	flat_load_dword v13, v[2:3] offset:1024
	;; [unrolled: 1-line block ×5, first 2 shown]
	s_mov_b64 s[4:5], 0
	s_waitcnt vmcnt(0) lgkmcnt(0)
	ds_write2st64_b32 v32, v1, v4 offset1:2
	ds_write2st64_b32 v32, v5, v6 offset0:4 offset1:6
	ds_write2st64_b32 v32, v7, v8 offset0:8 offset1:10
	;; [unrolled: 1-line block ×6, first 2 shown]
	s_waitcnt lgkmcnt(0)
	s_barrier
.LBB1553_6:
	s_andn2_b64 vcc, exec, s[4:5]
	v_cmp_gt_u32_e64 s[4:5], s33, v0
	s_cbranch_vccnz .LBB1553_36
; %bb.7:
	v_pk_mov_b32 v[2:3], s[6:7], s[6:7] op_sel:[0,1]
	flat_load_dword v1, v[2:3]
	s_waitcnt vmcnt(0) lgkmcnt(0)
	v_mov_b32_e32 v2, v1
	v_mov_b32_e32 v3, v1
	;; [unrolled: 1-line block ×12, first 2 shown]
	v_pk_mov_b32 v[16:17], v[14:15], v[14:15] op_sel:[0,1]
	v_pk_mov_b32 v[14:15], v[12:13], v[12:13] op_sel:[0,1]
	;; [unrolled: 1-line block ×8, first 2 shown]
	s_and_saveexec_b64 s[8:9], s[4:5]
	s_cbranch_execz .LBB1553_9
; %bb.8:
	v_mov_b32_e32 v3, s7
	v_add_co_u32_e32 v2, vcc, s6, v32
	v_addc_co_u32_e32 v3, vcc, 0, v3, vcc
	flat_load_dword v18, v[2:3]
	v_mov_b32_e32 v2, v1
	v_mov_b32_e32 v3, v1
	;; [unrolled: 1-line block ×12, first 2 shown]
	v_pk_mov_b32 v[16:17], v[14:15], v[14:15] op_sel:[0,1]
	v_pk_mov_b32 v[14:15], v[12:13], v[12:13] op_sel:[0,1]
	;; [unrolled: 1-line block ×8, first 2 shown]
	s_waitcnt vmcnt(0) lgkmcnt(0)
	v_mov_b32_e32 v1, v18
.LBB1553_9:
	s_or_b64 exec, exec, s[8:9]
	v_or_b32_e32 v2, 0x80, v0
	v_cmp_gt_u32_e32 vcc, s33, v2
	s_and_saveexec_b64 s[4:5], vcc
	s_cbranch_execz .LBB1553_11
; %bb.10:
	v_mov_b32_e32 v3, s7
	v_add_co_u32_e32 v2, vcc, s6, v32
	v_addc_co_u32_e32 v3, vcc, 0, v3, vcc
	flat_load_dword v3, v[2:3] offset:512
.LBB1553_11:
	s_or_b64 exec, exec, s[4:5]
	v_or_b32_e32 v2, 0x100, v0
	v_cmp_gt_u32_e32 vcc, s33, v2
	s_and_saveexec_b64 s[4:5], vcc
	s_cbranch_execz .LBB1553_13
; %bb.12:
	v_mov_b32_e32 v2, s7
	v_add_co_u32_e32 v16, vcc, s6, v32
	v_addc_co_u32_e32 v17, vcc, 0, v2, vcc
	flat_load_dword v4, v[16:17] offset:1024
.LBB1553_13:
	;; [unrolled: 11-line block ×7, first 2 shown]
	s_or_b64 exec, exec, s[4:5]
	v_or_b32_e32 v2, 0x400, v0
	v_cmp_gt_u32_e32 vcc, s33, v2
	s_and_saveexec_b64 s[4:5], vcc
	s_cbranch_execz .LBB1553_25
; %bb.24:
	v_lshlrev_b32_e32 v2, 2, v2
	v_mov_b32_e32 v10, s7
	v_add_co_u32_e32 v16, vcc, s6, v2
	v_addc_co_u32_e32 v17, vcc, 0, v10, vcc
	flat_load_dword v10, v[16:17]
.LBB1553_25:
	s_or_b64 exec, exec, s[4:5]
	v_or_b32_e32 v2, 0x480, v0
	v_cmp_gt_u32_e32 vcc, s33, v2
	s_and_saveexec_b64 s[4:5], vcc
	s_cbranch_execz .LBB1553_27
; %bb.26:
	v_lshlrev_b32_e32 v2, 2, v2
	v_mov_b32_e32 v11, s7
	v_add_co_u32_e32 v16, vcc, s6, v2
	v_addc_co_u32_e32 v17, vcc, 0, v11, vcc
	flat_load_dword v11, v[16:17]
.LBB1553_27:
	;; [unrolled: 12-line block ×6, first 2 shown]
	s_or_b64 exec, exec, s[4:5]
	s_waitcnt vmcnt(0) lgkmcnt(0)
	ds_write2st64_b32 v32, v1, v3 offset1:2
	ds_write2st64_b32 v32, v4, v5 offset0:4 offset1:6
	ds_write2st64_b32 v32, v6, v7 offset0:8 offset1:10
	;; [unrolled: 1-line block ×6, first 2 shown]
	s_waitcnt lgkmcnt(0)
	s_barrier
.LBB1553_36:
	v_mul_u32_u24_e32 v33, 14, v0
	v_lshlrev_b32_e32 v1, 2, v33
	ds_read2_b64 v[2:5], v1 offset1:1
	ds_read2_b64 v[26:29], v1 offset0:2 offset1:3
	ds_read2_b64 v[22:25], v1 offset0:4 offset1:5
	ds_read_b64 v[30:31], v1 offset:48
	s_cmp_lg_u32 s35, 0
	v_lshrrev_b32_e32 v34, 5, v0
	v_cmp_gt_u32_e32 vcc, 64, v0
	s_waitcnt lgkmcnt(0)
	s_barrier
	s_cbranch_scc0 .LBB1553_63
; %bb.37:
	v_cvt_i32_f32_e32 v20, v2
	v_cvt_i32_f32_e32 v16, v3
	v_cvt_i32_f32_e32 v17, v4
	v_cvt_i32_f32_e32 v18, v5
	v_cvt_i32_f32_e32 v19, v26
	v_add_u32_e32 v6, v16, v20
	v_cvt_f32_i32_e32 v6, v6
	v_cvt_i32_f32_e32 v21, v27
	v_cvt_i32_f32_e32 v35, v28
	;; [unrolled: 1-line block ×7, first 2 shown]
	v_add_u32_e32 v6, v6, v17
	v_cvt_f32_i32_e32 v6, v6
	v_cvt_i32_f32_e32 v40, v25
	v_cvt_i32_f32_e32 v41, v30
	;; [unrolled: 1-line block ×4, first 2 shown]
	v_add_u32_e32 v6, v6, v18
	v_cvt_f32_i32_e32 v6, v6
	v_cvt_i32_f32_e32 v6, v6
	v_add_u32_e32 v6, v6, v19
	v_cvt_f32_i32_e32 v6, v6
	v_cvt_i32_f32_e32 v6, v6
	;; [unrolled: 3-line block ×10, first 2 shown]
	v_add_u32_e32 v6, v6, v42
	v_cvt_f32_i32_e32 v43, v6
	v_add_lshl_u32 v6, v34, v0, 2
	ds_write_b32 v6, v43
	s_waitcnt lgkmcnt(0)
	s_barrier
	s_and_saveexec_b64 s[6:7], vcc
	s_cbranch_execz .LBB1553_41
; %bb.38:
	v_lshlrev_b32_e32 v6, 1, v0
	v_lshrrev_b32_e32 v7, 4, v0
	v_add_lshl_u32 v6, v7, v6, 2
	ds_read2_b32 v[8:9], v6 offset1:1
	v_mbcnt_lo_u32_b32 v11, -1, 0
	s_waitcnt lgkmcnt(0)
	v_cvt_i32_f32_e32 v7, v8
	v_cvt_i32_f32_e32 v8, v9
	v_add_u32_e32 v8, v8, v7
	v_cvt_f32_i32_e32 v8, v8
	v_cvt_i32_f32_e32 v10, v8
	s_nop 0
	v_mov_b32_dpp v9, v8 row_shr:1 row_mask:0xf bank_mask:0xf
	v_cvt_i32_f32_e32 v9, v9
	v_add_u32_e32 v9, v9, v10
	v_cvt_f32_i32_e32 v10, v9
	v_mbcnt_hi_u32_b32 v9, -1, v11
	v_and_b32_e32 v11, 15, v9
	v_cmp_eq_u32_e64 s[4:5], 0, v11
	v_cndmask_b32_e64 v10, v10, v8, s[4:5]
	v_cvt_i32_f32_e32 v13, v10
	v_cmp_lt_u32_e64 s[4:5], 1, v11
	v_mov_b32_dpp v12, v10 row_shr:2 row_mask:0xf bank_mask:0xf
	v_cvt_i32_f32_e32 v12, v12
	v_add_u32_e32 v12, v13, v12
	v_cvt_f32_i32_e32 v12, v12
	v_cndmask_b32_e64 v10, v10, v12, s[4:5]
	s_nop 1
	v_mov_b32_dpp v12, v10 row_shr:4 row_mask:0xf bank_mask:0xf
	v_cvt_i32_f32_e32 v13, v10
	v_cvt_i32_f32_e32 v12, v12
	v_cmp_lt_u32_e64 s[4:5], 3, v11
	v_add_u32_e32 v12, v13, v12
	v_cvt_f32_i32_e32 v12, v12
	v_cndmask_b32_e64 v10, v10, v12, s[4:5]
	s_nop 1
	v_mov_b32_dpp v12, v10 row_shr:8 row_mask:0xf bank_mask:0xf
	v_cvt_i32_f32_e32 v13, v10
	v_cvt_i32_f32_e32 v12, v12
	v_cmp_lt_u32_e64 s[4:5], 7, v11
	v_add_u32_e32 v12, v13, v12
	v_cvt_f32_i32_e32 v12, v12
	v_cndmask_b32_e64 v10, v10, v12, s[4:5]
	s_nop 1
	v_mov_b32_dpp v11, v10 row_bcast:15 row_mask:0xf bank_mask:0xf
	v_cvt_i32_f32_e32 v12, v10
	v_cvt_i32_f32_e32 v11, v11
	v_add_u32_e32 v11, v12, v11
	v_cvt_f32_i32_e32 v11, v11
	v_and_b32_e32 v12, 16, v9
	v_cmp_eq_u32_e64 s[4:5], 0, v12
	v_cndmask_b32_e64 v10, v11, v10, s[4:5]
	v_cmp_ne_u32_e64 s[4:5], 0, v9
	s_nop 0
	v_mov_b32_dpp v11, v10 row_bcast:31 row_mask:0xf bank_mask:0xf
	s_and_saveexec_b64 s[8:9], s[4:5]
; %bb.39:
	v_cvt_i32_f32_e32 v8, v10
	v_cvt_i32_f32_e32 v11, v11
	v_cmp_lt_u32_e64 s[4:5], 31, v9
	v_add_u32_e32 v8, v8, v11
	v_cvt_f32_i32_e32 v8, v8
	v_cndmask_b32_e64 v8, v10, v8, s[4:5]
; %bb.40:
	s_or_b64 exec, exec, s[8:9]
	v_add_u32_e32 v10, -1, v9
	v_and_b32_e32 v11, 64, v9
	v_cmp_lt_i32_e64 s[4:5], v10, v11
	v_cndmask_b32_e64 v9, v10, v9, s[4:5]
	v_lshlrev_b32_e32 v9, 2, v9
	ds_bpermute_b32 v8, v9, v8
	; wave barrier
	s_waitcnt lgkmcnt(0)
	v_cvt_i32_f32_e32 v8, v8
	v_add_u32_e32 v7, v7, v8
	v_cvt_f32_i32_e32 v7, v7
	v_cndmask_b32_e64 v7, v7, v43, s[2:3]
	ds_write_b32 v6, v7
	; wave barrier
	ds_read_b32 v8, v6 offset:4
	v_cvt_i32_f32_e32 v7, v7
	s_waitcnt lgkmcnt(0)
	v_cvt_i32_f32_e32 v8, v8
	v_add_u32_e32 v7, v8, v7
	v_cvt_f32_i32_e32 v7, v7
	ds_write_b32 v6, v7 offset:4
.LBB1553_41:
	s_or_b64 exec, exec, s[6:7]
	s_waitcnt lgkmcnt(0)
	s_barrier
	s_and_saveexec_b64 s[4:5], s[0:1]
	s_cbranch_execz .LBB1553_43
; %bb.42:
	v_add_u32_e32 v6, -1, v0
	v_lshrrev_b32_e32 v7, 5, v6
	v_add_lshl_u32 v6, v7, v6, 2
	ds_read_b32 v43, v6
.LBB1553_43:
	s_or_b64 exec, exec, s[4:5]
	s_and_saveexec_b64 s[30:31], vcc
	s_cbranch_execz .LBB1553_62
; %bb.44:
	v_mov_b32_e32 v13, 0
	ds_read_b32 v6, v13 offset:520
	v_mbcnt_lo_u32_b32 v7, -1, 0
	v_mbcnt_hi_u32_b32 v9, -1, v7
	s_mov_b32 s9, 0
	v_cmp_eq_u32_e64 s[4:5], 0, v9
	s_and_saveexec_b64 s[6:7], s[4:5]
	s_cbranch_execz .LBB1553_46
; %bb.45:
	s_add_i32 s8, s35, 64
	s_lshl_b64 s[8:9], s[8:9], 3
	s_add_u32 s8, s28, s8
	v_mov_b32_e32 v7, 1
	s_addc_u32 s9, s29, s9
	s_waitcnt lgkmcnt(0)
	global_store_dwordx2 v13, v[6:7], s[8:9]
.LBB1553_46:
	s_or_b64 exec, exec, s[6:7]
	v_xad_u32 v8, v9, -1, s35
	v_add_u32_e32 v12, 64, v8
	v_lshlrev_b64 v[10:11], 3, v[12:13]
	v_mov_b32_e32 v7, s29
	v_add_co_u32_e32 v14, vcc, s28, v10
	v_addc_co_u32_e32 v15, vcc, v7, v11, vcc
	global_load_dwordx2 v[10:11], v[14:15], off glc
	s_waitcnt vmcnt(0)
	v_cmp_eq_u16_sdwa s[8:9], v11, v13 src0_sel:BYTE_0 src1_sel:DWORD
	s_and_saveexec_b64 s[6:7], s[8:9]
	s_cbranch_execz .LBB1553_50
; %bb.47:
	s_mov_b64 s[8:9], 0
	v_mov_b32_e32 v7, 0
.LBB1553_48:                            ; =>This Inner Loop Header: Depth=1
	global_load_dwordx2 v[10:11], v[14:15], off glc
	s_waitcnt vmcnt(0)
	v_cmp_ne_u16_sdwa s[10:11], v11, v7 src0_sel:BYTE_0 src1_sel:DWORD
	s_or_b64 s[8:9], s[10:11], s[8:9]
	s_andn2_b64 exec, exec, s[8:9]
	s_cbranch_execnz .LBB1553_48
; %bb.49:
	s_or_b64 exec, exec, s[8:9]
.LBB1553_50:
	s_or_b64 exec, exec, s[6:7]
	v_and_b32_e32 v44, 63, v9
	v_cmp_ne_u32_e32 vcc, 63, v44
	v_addc_co_u32_e32 v12, vcc, 0, v9, vcc
	v_lshlrev_b32_e32 v45, 2, v12
	ds_bpermute_b32 v14, v45, v10
	v_cvt_i32_f32_e32 v47, v10
	v_mov_b32_e32 v7, 2
	v_cmp_eq_u16_sdwa s[6:7], v11, v7 src0_sel:BYTE_0 src1_sel:DWORD
	v_lshlrev_b64 v[12:13], v9, -1
	s_waitcnt lgkmcnt(0)
	v_cvt_i32_f32_e32 v14, v14
	v_and_b32_e32 v15, s7, v13
	v_or_b32_e32 v15, 0x80000000, v15
	v_and_b32_e32 v46, s6, v12
	v_add_u32_e32 v14, v14, v47
	v_ffbl_b32_e32 v15, v15
	v_cvt_f32_i32_e32 v14, v14
	v_add_u32_e32 v15, 32, v15
	v_ffbl_b32_e32 v46, v46
	v_cmp_gt_u32_e64 s[6:7], 62, v44
	v_min_u32_e32 v15, v46, v15
	v_cndmask_b32_e64 v46, 0, 1, s[6:7]
	v_cmp_lt_u32_e32 vcc, v44, v15
	v_lshlrev_b32_e32 v46, 1, v46
	v_cndmask_b32_e32 v14, v10, v14, vcc
	v_add_lshl_u32 v46, v46, v9, 2
	ds_bpermute_b32 v47, v46, v14
	v_cvt_i32_f32_e32 v48, v14
	v_cmp_gt_u32_e64 s[8:9], 48, v44
	v_cndmask_b32_e64 v56, 0, 1, s[8:9]
	v_cmp_gt_u32_e64 s[10:11], 32, v44
	s_waitcnt lgkmcnt(0)
	v_cvt_i32_f32_e32 v47, v47
	v_cndmask_b32_e64 v59, 0, 1, s[10:11]
	v_add_u32_e32 v47, v48, v47
	v_cvt_f32_i32_e32 v48, v47
	v_add_u32_e32 v47, 2, v44
	v_cmp_gt_u32_e64 s[6:7], v47, v15
	v_cndmask_b32_e64 v14, v48, v14, s[6:7]
	v_cmp_gt_u32_e64 s[6:7], 60, v44
	v_cndmask_b32_e64 v48, 0, 1, s[6:7]
	v_lshlrev_b32_e32 v48, 2, v48
	v_add_lshl_u32 v48, v48, v9, 2
	ds_bpermute_b32 v49, v48, v14
	v_cvt_i32_f32_e32 v50, v14
	v_cmp_gt_u32_e64 s[6:7], 56, v44
	v_cndmask_b32_e32 v10, v10, v14, vcc
	s_waitcnt lgkmcnt(0)
	v_cvt_i32_f32_e32 v51, v49
	v_add_u32_e32 v49, 4, v44
	v_add_u32_e32 v50, v50, v51
	v_cvt_f32_i32_e32 v54, v50
	v_cndmask_b32_e64 v50, 0, 1, s[6:7]
	v_cmp_gt_u32_e64 s[6:7], v49, v15
	v_lshlrev_b32_e32 v50, 3, v50
	v_cndmask_b32_e64 v53, v54, v14, s[6:7]
	v_add_lshl_u32 v50, v50, v9, 2
	ds_bpermute_b32 v51, v50, v53
	v_cvt_i32_f32_e32 v52, v53
	v_cndmask_b32_e64 v10, v54, v10, s[6:7]
	s_waitcnt lgkmcnt(0)
	v_cvt_i32_f32_e32 v55, v51
	v_add_u32_e32 v51, 8, v44
	v_cmp_gt_u32_e64 s[8:9], v51, v15
	v_add_u32_e32 v52, v52, v55
	v_cvt_f32_i32_e32 v57, v52
	v_lshlrev_b32_e32 v52, 4, v56
	v_add_lshl_u32 v52, v52, v9, 2
	v_cndmask_b32_e64 v56, v57, v53, s[8:9]
	ds_bpermute_b32 v53, v52, v56
	v_cvt_i32_f32_e32 v55, v56
	v_cndmask_b32_e64 v10, v57, v10, s[8:9]
	s_waitcnt lgkmcnt(0)
	v_cvt_i32_f32_e32 v58, v53
	v_add_u32_e32 v53, 16, v44
	v_cmp_gt_u32_e64 s[10:11], v53, v15
	v_add_u32_e32 v55, v55, v58
	v_cvt_f32_i32_e32 v58, v55
	v_lshlrev_b32_e32 v55, 5, v59
	v_add_lshl_u32 v55, v55, v9, 2
	v_cndmask_b32_e64 v9, v58, v56, s[10:11]
	ds_bpermute_b32 v56, v55, v9
	v_cvt_i32_f32_e32 v9, v9
	v_cndmask_b32_e64 v10, v58, v10, s[10:11]
	s_waitcnt lgkmcnt(0)
	v_cvt_i32_f32_e32 v59, v56
	v_add_u32_e32 v56, 32, v44
	v_cmp_gt_u32_e32 vcc, v56, v15
	v_add_u32_e32 v9, v9, v59
	v_cvt_f32_i32_e32 v9, v9
	v_cndmask_b32_e32 v10, v9, v10, vcc
	v_mov_b32_e32 v9, 0
	s_branch .LBB1553_52
.LBB1553_51:                            ;   in Loop: Header=BB1553_52 Depth=1
	s_or_b64 exec, exec, s[6:7]
	ds_bpermute_b32 v14, v45, v10
	v_cvt_i32_f32_e32 v15, v10
	v_cmp_eq_u16_sdwa s[6:7], v11, v7 src0_sel:BYTE_0 src1_sel:DWORD
	v_and_b32_e32 v57, s7, v13
	v_or_b32_e32 v57, 0x80000000, v57
	s_waitcnt lgkmcnt(0)
	v_cvt_i32_f32_e32 v14, v14
	v_and_b32_e32 v58, s6, v12
	v_ffbl_b32_e32 v57, v57
	v_ffbl_b32_e32 v58, v58
	v_add_u32_e32 v14, v14, v15
	v_cvt_f32_i32_e32 v14, v14
	v_add_u32_e32 v15, 32, v57
	v_min_u32_e32 v15, v58, v15
	v_cmp_lt_u32_e32 vcc, v44, v15
	v_cndmask_b32_e32 v14, v10, v14, vcc
	ds_bpermute_b32 v57, v46, v14
	v_cvt_i32_f32_e32 v58, v14
	v_cmp_gt_u32_e64 s[6:7], v47, v15
	v_cmp_gt_u32_e64 s[8:9], v51, v15
	;; [unrolled: 1-line block ×3, first 2 shown]
	s_waitcnt lgkmcnt(0)
	v_cvt_i32_f32_e32 v57, v57
	v_subrev_u32_e32 v8, 64, v8
	v_add_u32_e32 v57, v58, v57
	v_cvt_f32_i32_e32 v57, v57
	v_cndmask_b32_e64 v14, v57, v14, s[6:7]
	ds_bpermute_b32 v57, v48, v14
	v_cvt_i32_f32_e32 v58, v14
	v_cmp_gt_u32_e64 s[6:7], v49, v15
	v_cndmask_b32_e32 v10, v10, v14, vcc
	v_cmp_gt_u32_e32 vcc, v56, v15
	s_waitcnt lgkmcnt(0)
	v_cvt_i32_f32_e32 v57, v57
	v_add_u32_e32 v57, v58, v57
	v_cvt_f32_i32_e32 v57, v57
	v_cndmask_b32_e64 v58, v57, v14, s[6:7]
	ds_bpermute_b32 v59, v50, v58
	v_cvt_i32_f32_e32 v60, v58
	v_cndmask_b32_e64 v10, v57, v10, s[6:7]
	s_waitcnt lgkmcnt(0)
	v_cvt_i32_f32_e32 v59, v59
	v_add_u32_e32 v59, v60, v59
	v_cvt_f32_i32_e32 v59, v59
	v_cndmask_b32_e64 v58, v59, v58, s[8:9]
	ds_bpermute_b32 v60, v52, v58
	v_cvt_i32_f32_e32 v61, v58
	v_cndmask_b32_e64 v10, v59, v10, s[8:9]
	;; [unrolled: 8-line block ×3, first 2 shown]
	s_waitcnt lgkmcnt(0)
	v_cvt_i32_f32_e32 v61, v61
	v_add_u32_e32 v14, v58, v61
	v_cvt_f32_i32_e32 v14, v14
	v_cndmask_b32_e32 v10, v14, v10, vcc
	v_cvt_i32_f32_e32 v10, v10
	v_cvt_i32_f32_e32 v14, v54
	v_add_u32_e32 v10, v10, v14
	v_cvt_f32_i32_e32 v10, v10
.LBB1553_52:                            ; =>This Loop Header: Depth=1
                                        ;     Child Loop BB1553_55 Depth 2
	v_cmp_ne_u16_sdwa s[6:7], v11, v7 src0_sel:BYTE_0 src1_sel:DWORD
	v_cndmask_b32_e64 v11, 0, 1, s[6:7]
	;;#ASMSTART
	;;#ASMEND
	v_cmp_ne_u32_e32 vcc, 0, v11
	s_cmp_lg_u64 vcc, exec
	v_mov_b32_e32 v54, v10
	s_cbranch_scc1 .LBB1553_57
; %bb.53:                               ;   in Loop: Header=BB1553_52 Depth=1
	v_lshlrev_b64 v[10:11], 3, v[8:9]
	v_mov_b32_e32 v15, s29
	v_add_co_u32_e32 v14, vcc, s28, v10
	v_addc_co_u32_e32 v15, vcc, v15, v11, vcc
	global_load_dwordx2 v[10:11], v[14:15], off glc
	s_waitcnt vmcnt(0)
	v_cmp_eq_u16_sdwa s[8:9], v11, v9 src0_sel:BYTE_0 src1_sel:DWORD
	s_and_saveexec_b64 s[6:7], s[8:9]
	s_cbranch_execz .LBB1553_51
; %bb.54:                               ;   in Loop: Header=BB1553_52 Depth=1
	s_mov_b64 s[8:9], 0
.LBB1553_55:                            ;   Parent Loop BB1553_52 Depth=1
                                        ; =>  This Inner Loop Header: Depth=2
	global_load_dwordx2 v[10:11], v[14:15], off glc
	s_waitcnt vmcnt(0)
	v_cmp_ne_u16_sdwa s[10:11], v11, v9 src0_sel:BYTE_0 src1_sel:DWORD
	s_or_b64 s[8:9], s[10:11], s[8:9]
	s_andn2_b64 exec, exec, s[8:9]
	s_cbranch_execnz .LBB1553_55
; %bb.56:                               ;   in Loop: Header=BB1553_52 Depth=1
	s_or_b64 exec, exec, s[8:9]
	s_branch .LBB1553_51
.LBB1553_57:                            ;   in Loop: Header=BB1553_52 Depth=1
                                        ; implicit-def: $vgpr10
                                        ; implicit-def: $vgpr11
	s_cbranch_execz .LBB1553_52
; %bb.58:
	s_and_saveexec_b64 s[6:7], s[4:5]
	s_cbranch_execz .LBB1553_60
; %bb.59:
	v_cvt_i32_f32_e32 v7, v54
	v_cvt_i32_f32_e32 v6, v6
	s_add_i32 s4, s35, 64
	s_mov_b32 s5, 0
	s_lshl_b64 s[4:5], s[4:5], 3
	v_add_u32_e32 v6, v7, v6
	v_cvt_f32_i32_e32 v6, v6
	s_add_u32 s4, s28, s4
	s_addc_u32 s5, s29, s5
	v_mov_b32_e32 v8, 0
	v_mov_b32_e32 v7, 2
	global_store_dwordx2 v8, v[6:7], s[4:5]
.LBB1553_60:
	s_or_b64 exec, exec, s[6:7]
	s_and_b64 exec, exec, s[2:3]
	s_cbranch_execz .LBB1553_62
; %bb.61:
	v_mov_b32_e32 v6, 0
	ds_write_b32 v6, v54
.LBB1553_62:
	s_or_b64 exec, exec, s[30:31]
	s_waitcnt lgkmcnt(0)
	v_cvt_i32_f32_e32 v6, v43
	v_mov_b32_e32 v7, 0
	s_barrier
	v_add_u32_e32 v6, v6, v20
	ds_read_b32 v7, v7
	v_cvt_f32_i32_e32 v6, v6
	v_cndmask_b32_e64 v6, v6, v2, s[2:3]
	s_waitcnt lgkmcnt(0)
	v_cvt_i32_f32_e32 v7, v7
	v_cvt_i32_f32_e32 v6, v6
	v_add_u32_e32 v6, v7, v6
	v_cvt_f32_i32_e32 v6, v6
	v_cvt_i32_f32_e32 v7, v6
	v_add_u32_e32 v7, v7, v16
	v_cvt_f32_i32_e32 v7, v7
	;; [unrolled: 3-line block ×14, first 2 shown]
	s_branch .LBB1553_77
.LBB1553_63:
                                        ; implicit-def: $vgpr6_vgpr7_vgpr8_vgpr9_vgpr10_vgpr11_vgpr12_vgpr13_vgpr14_vgpr15_vgpr16_vgpr17_vgpr18_vgpr19_vgpr20_vgpr21
	s_cbranch_execz .LBB1553_77
; %bb.64:
	s_cmp_lg_u64 s[16:17], 0
	s_cselect_b64 s[4:5], -1, 0
	s_and_b64 s[6:7], s[2:3], s[4:5]
	s_and_saveexec_b64 s[4:5], s[6:7]
	s_cbranch_execz .LBB1553_66
; %bb.65:
	v_mov_b32_e32 v6, 0
	global_load_dword v6, v6, s[12:13]
	v_cvt_i32_f32_e32 v2, v2
	s_waitcnt vmcnt(0)
	v_cvt_i32_f32_e32 v6, v6
	v_add_u32_e32 v2, v6, v2
	v_cvt_f32_i32_e32 v2, v2
.LBB1553_66:
	s_or_b64 exec, exec, s[4:5]
	v_cvt_i32_f32_e32 v18, v2
	v_cvt_i32_f32_e32 v16, v3
	;; [unrolled: 1-line block ×5, first 2 shown]
	v_add_u32_e32 v3, v16, v18
	v_cvt_f32_i32_e32 v3, v3
	v_cvt_i32_f32_e32 v21, v27
	v_cvt_i32_f32_e32 v26, v28
	;; [unrolled: 1-line block ×7, first 2 shown]
	v_add_u32_e32 v4, v4, v17
	v_cvt_f32_i32_e32 v4, v4
	v_cvt_i32_f32_e32 v25, v25
	v_cvt_i32_f32_e32 v28, v30
	;; [unrolled: 1-line block ×4, first 2 shown]
	v_add_lshl_u32 v30, v34, v0, 2
	v_cmp_gt_u32_e32 vcc, 64, v0
	v_add_u32_e32 v5, v5, v19
	v_cvt_f32_i32_e32 v5, v5
	v_cvt_i32_f32_e32 v6, v5
	v_add_u32_e32 v6, v6, v20
	v_cvt_f32_i32_e32 v6, v6
	v_cvt_i32_f32_e32 v7, v6
	;; [unrolled: 3-line block ×10, first 2 shown]
	v_add_u32_e32 v15, v15, v29
	v_cvt_f32_i32_e32 v15, v15
	ds_write_b32 v30, v15
	s_waitcnt lgkmcnt(0)
	s_barrier
	s_and_saveexec_b64 s[4:5], vcc
	s_cbranch_execz .LBB1553_70
; %bb.67:
	v_lshlrev_b32_e32 v30, 1, v0
	v_lshrrev_b32_e32 v31, 4, v0
	v_add_lshl_u32 v30, v31, v30, 2
	ds_read2_b32 v[34:35], v30 offset1:1
	v_mbcnt_lo_u32_b32 v37, -1, 0
	s_waitcnt lgkmcnt(0)
	v_cvt_i32_f32_e32 v31, v34
	v_cvt_i32_f32_e32 v34, v35
	v_add_u32_e32 v34, v34, v31
	v_cvt_f32_i32_e32 v34, v34
	v_cvt_i32_f32_e32 v36, v34
	s_nop 0
	v_mov_b32_dpp v35, v34 row_shr:1 row_mask:0xf bank_mask:0xf
	v_cvt_i32_f32_e32 v35, v35
	v_add_u32_e32 v35, v35, v36
	v_cvt_f32_i32_e32 v36, v35
	v_mbcnt_hi_u32_b32 v35, -1, v37
	v_and_b32_e32 v37, 15, v35
	v_cmp_eq_u32_e32 vcc, 0, v37
	v_cndmask_b32_e32 v36, v36, v34, vcc
	v_cvt_i32_f32_e32 v39, v36
	v_cmp_lt_u32_e32 vcc, 1, v37
	v_mov_b32_dpp v38, v36 row_shr:2 row_mask:0xf bank_mask:0xf
	v_cvt_i32_f32_e32 v38, v38
	v_add_u32_e32 v38, v39, v38
	v_cvt_f32_i32_e32 v38, v38
	v_cndmask_b32_e32 v36, v36, v38, vcc
	s_nop 1
	v_mov_b32_dpp v38, v36 row_shr:4 row_mask:0xf bank_mask:0xf
	v_cvt_i32_f32_e32 v39, v36
	v_cvt_i32_f32_e32 v38, v38
	v_cmp_lt_u32_e32 vcc, 3, v37
	v_add_u32_e32 v38, v39, v38
	v_cvt_f32_i32_e32 v38, v38
	v_cndmask_b32_e32 v36, v36, v38, vcc
	s_nop 1
	v_mov_b32_dpp v38, v36 row_shr:8 row_mask:0xf bank_mask:0xf
	v_cvt_i32_f32_e32 v39, v36
	v_cvt_i32_f32_e32 v38, v38
	v_cmp_lt_u32_e32 vcc, 7, v37
	v_add_u32_e32 v38, v39, v38
	v_cvt_f32_i32_e32 v38, v38
	v_cndmask_b32_e32 v36, v36, v38, vcc
	s_nop 1
	v_mov_b32_dpp v37, v36 row_bcast:15 row_mask:0xf bank_mask:0xf
	v_cvt_i32_f32_e32 v38, v36
	v_cvt_i32_f32_e32 v37, v37
	v_add_u32_e32 v37, v38, v37
	v_cvt_f32_i32_e32 v37, v37
	v_and_b32_e32 v38, 16, v35
	v_cmp_eq_u32_e32 vcc, 0, v38
	v_cndmask_b32_e32 v36, v37, v36, vcc
	v_cmp_ne_u32_e32 vcc, 0, v35
	s_nop 0
	v_mov_b32_dpp v37, v36 row_bcast:31 row_mask:0xf bank_mask:0xf
	s_and_saveexec_b64 s[6:7], vcc
; %bb.68:
	v_cvt_i32_f32_e32 v34, v36
	v_cvt_i32_f32_e32 v37, v37
	v_cmp_lt_u32_e32 vcc, 31, v35
	v_add_u32_e32 v34, v34, v37
	v_cvt_f32_i32_e32 v34, v34
	v_cndmask_b32_e32 v34, v36, v34, vcc
; %bb.69:
	s_or_b64 exec, exec, s[6:7]
	v_add_u32_e32 v36, -1, v35
	v_and_b32_e32 v37, 64, v35
	v_cmp_lt_i32_e32 vcc, v36, v37
	v_cndmask_b32_e32 v35, v36, v35, vcc
	v_lshlrev_b32_e32 v35, 2, v35
	ds_bpermute_b32 v34, v35, v34
	; wave barrier
	s_waitcnt lgkmcnt(0)
	v_cvt_i32_f32_e32 v34, v34
	v_add_u32_e32 v31, v31, v34
	v_cvt_f32_i32_e32 v31, v31
	v_cndmask_b32_e64 v31, v31, v15, s[2:3]
	ds_write_b32 v30, v31
	; wave barrier
	ds_read_b32 v34, v30 offset:4
	v_cvt_i32_f32_e32 v31, v31
	s_waitcnt lgkmcnt(0)
	v_cvt_i32_f32_e32 v34, v34
	v_add_u32_e32 v31, v34, v31
	v_cvt_f32_i32_e32 v31, v31
	ds_write_b32 v30, v31 offset:4
.LBB1553_70:
	s_or_b64 exec, exec, s[4:5]
	v_mov_b32_e32 v30, v15
	s_waitcnt lgkmcnt(0)
	s_barrier
	s_and_saveexec_b64 s[2:3], s[0:1]
	s_cbranch_execz .LBB1553_72
; %bb.71:
	v_add_u32_e32 v30, -1, v0
	v_lshrrev_b32_e32 v31, 5, v30
	v_add_lshl_u32 v30, v31, v30, 2
	ds_read_b32 v30, v30
.LBB1553_72:
	s_or_b64 exec, exec, s[2:3]
	s_and_saveexec_b64 s[2:3], s[0:1]
	s_cbranch_execz .LBB1553_74
; %bb.73:
	s_waitcnt lgkmcnt(0)
	v_cvt_i32_f32_e32 v2, v30
	;;#ASMSTART
	;;#ASMEND
	v_add_u32_e32 v2, v2, v18
	v_cvt_f32_i32_e32 v2, v2
	v_cvt_i32_f32_e32 v3, v2
	v_add_u32_e32 v3, v3, v16
	v_cvt_f32_i32_e32 v3, v3
	v_cvt_i32_f32_e32 v4, v3
	;; [unrolled: 3-line block ×13, first 2 shown]
	v_add_u32_e32 v15, v15, v29
	v_cvt_f32_i32_e32 v15, v15
.LBB1553_74:
	s_or_b64 exec, exec, s[2:3]
	s_movk_i32 s0, 0x7f
	v_cmp_eq_u32_e32 vcc, s0, v0
	s_and_saveexec_b64 s[0:1], vcc
	s_cbranch_execz .LBB1553_76
; %bb.75:
	v_mov_b32_e32 v18, 0
	v_mov_b32_e32 v17, 2
	;; [unrolled: 1-line block ×3, first 2 shown]
	global_store_dwordx2 v18, v[16:17], s[28:29] offset:512
.LBB1553_76:
	s_or_b64 exec, exec, s[0:1]
	v_pk_mov_b32 v[20:21], v[16:17], v[16:17] op_sel:[0,1]
	v_pk_mov_b32 v[18:19], v[14:15], v[14:15] op_sel:[0,1]
	;; [unrolled: 1-line block ×8, first 2 shown]
.LBB1553_77:
	s_add_u32 s0, s24, s22
	s_addc_u32 s1, s25, s23
	s_add_u32 s2, s0, s26
	s_addc_u32 s3, s1, s27
	s_mov_b64 s[0:1], -1
	s_and_b64 vcc, exec, s[20:21]
	s_waitcnt lgkmcnt(0)
	s_barrier
	s_cbranch_vccz .LBB1553_79
; %bb.78:
	ds_write2_b64 v1, v[6:7], v[8:9] offset1:1
	ds_write2_b64 v1, v[10:11], v[12:13] offset0:2 offset1:3
	ds_write2_b64 v1, v[14:15], v[16:17] offset0:4 offset1:5
	ds_write_b64 v1, v[18:19] offset:48
	s_waitcnt lgkmcnt(0)
	s_barrier
	ds_read2st64_b32 v[2:3], v32 offset1:2
	ds_read2st64_b32 v[4:5], v32 offset0:4 offset1:6
	ds_read2st64_b32 v[20:21], v32 offset0:8 offset1:10
	;; [unrolled: 1-line block ×6, first 2 shown]
	v_mov_b32_e32 v31, s3
	v_add_co_u32_e32 v30, vcc, s2, v32
	v_addc_co_u32_e32 v31, vcc, 0, v31, vcc
	s_waitcnt lgkmcnt(6)
	flat_store_dword v[30:31], v2
	flat_store_dword v[30:31], v3 offset:512
	s_waitcnt lgkmcnt(0)
	flat_store_dword v[30:31], v4 offset:1024
	flat_store_dword v[30:31], v5 offset:1536
	;; [unrolled: 1-line block ×6, first 2 shown]
	v_add_co_u32_e32 v2, vcc, 0x1000, v30
	v_addc_co_u32_e32 v3, vcc, 0, v31, vcc
	flat_store_dword v[2:3], v24
	flat_store_dword v[2:3], v25 offset:512
	flat_store_dword v[2:3], v26 offset:1024
	;; [unrolled: 1-line block ×5, first 2 shown]
	s_mov_b64 s[0:1], 0
.LBB1553_79:
	s_andn2_b64 vcc, exec, s[0:1]
	s_cbranch_vccnz .LBB1553_159
; %bb.80:
	ds_write2_b64 v1, v[6:7], v[8:9] offset1:1
	ds_write2_b64 v1, v[10:11], v[12:13] offset0:2 offset1:3
	ds_write2_b64 v1, v[14:15], v[16:17] offset0:4 offset1:5
	ds_write_b64 v1, v[18:19] offset:48
	s_waitcnt lgkmcnt(0)
	s_barrier
	ds_read2st64_b32 v[4:5], v32 offset1:2
	ds_read2st64_b32 v[6:7], v32 offset0:4 offset1:6
	ds_read2st64_b32 v[8:9], v32 offset0:8 offset1:10
	;; [unrolled: 1-line block ×6, first 2 shown]
	v_mov_b32_e32 v17, s3
	v_add_co_u32_e32 v16, vcc, s2, v32
	v_addc_co_u32_e32 v17, vcc, 0, v17, vcc
	v_mov_b32_e32 v1, 0
	v_cmp_gt_u32_e32 vcc, s33, v0
	s_and_saveexec_b64 s[0:1], vcc
	s_cbranch_execz .LBB1553_82
; %bb.81:
	s_waitcnt lgkmcnt(0)
	flat_store_dword v[16:17], v4
.LBB1553_82:
	s_or_b64 exec, exec, s[0:1]
	v_or_b32_e32 v18, 0x80, v0
	v_cmp_gt_u32_e32 vcc, s33, v18
	s_and_saveexec_b64 s[0:1], vcc
	s_cbranch_execz .LBB1553_84
; %bb.83:
	s_waitcnt lgkmcnt(0)
	flat_store_dword v[16:17], v5 offset:512
.LBB1553_84:
	s_or_b64 exec, exec, s[0:1]
	v_or_b32_e32 v18, 0x100, v0
	v_cmp_gt_u32_e32 vcc, s33, v18
	s_and_saveexec_b64 s[0:1], vcc
	s_cbranch_execz .LBB1553_86
; %bb.85:
	s_waitcnt lgkmcnt(0)
	flat_store_dword v[16:17], v6 offset:1024
.LBB1553_86:
	s_or_b64 exec, exec, s[0:1]
	v_or_b32_e32 v18, 0x180, v0
	v_cmp_gt_u32_e32 vcc, s33, v18
	s_and_saveexec_b64 s[0:1], vcc
	s_cbranch_execz .LBB1553_88
; %bb.87:
	s_waitcnt lgkmcnt(0)
	flat_store_dword v[16:17], v7 offset:1536
.LBB1553_88:
	s_or_b64 exec, exec, s[0:1]
	v_or_b32_e32 v18, 0x200, v0
	v_cmp_gt_u32_e32 vcc, s33, v18
	s_and_saveexec_b64 s[0:1], vcc
	s_cbranch_execz .LBB1553_90
; %bb.89:
	s_waitcnt lgkmcnt(0)
	flat_store_dword v[16:17], v8 offset:2048
.LBB1553_90:
	s_or_b64 exec, exec, s[0:1]
	v_or_b32_e32 v18, 0x280, v0
	v_cmp_gt_u32_e32 vcc, s33, v18
	s_and_saveexec_b64 s[0:1], vcc
	s_cbranch_execz .LBB1553_92
; %bb.91:
	s_waitcnt lgkmcnt(0)
	flat_store_dword v[16:17], v9 offset:2560
.LBB1553_92:
	s_or_b64 exec, exec, s[0:1]
	v_or_b32_e32 v18, 0x300, v0
	v_cmp_gt_u32_e32 vcc, s33, v18
	s_and_saveexec_b64 s[0:1], vcc
	s_cbranch_execz .LBB1553_94
; %bb.93:
	s_waitcnt lgkmcnt(0)
	flat_store_dword v[16:17], v2 offset:3072
.LBB1553_94:
	s_or_b64 exec, exec, s[0:1]
	v_or_b32_e32 v18, 0x380, v0
	v_cmp_gt_u32_e32 vcc, s33, v18
	s_and_saveexec_b64 s[0:1], vcc
	s_cbranch_execz .LBB1553_96
; %bb.95:
	s_waitcnt lgkmcnt(0)
	flat_store_dword v[16:17], v3 offset:3584
.LBB1553_96:
	s_or_b64 exec, exec, s[0:1]
	v_or_b32_e32 v18, 0x400, v0
	v_cmp_gt_u32_e32 vcc, s33, v18
	s_and_saveexec_b64 s[0:1], vcc
	s_cbranch_execz .LBB1553_98
; %bb.97:
	v_add_co_u32_e32 v18, vcc, 0x1000, v16
	v_addc_co_u32_e32 v19, vcc, 0, v17, vcc
	s_waitcnt lgkmcnt(0)
	flat_store_dword v[18:19], v12
.LBB1553_98:
	s_or_b64 exec, exec, s[0:1]
	v_or_b32_e32 v18, 0x480, v0
	v_cmp_gt_u32_e32 vcc, s33, v18
	s_and_saveexec_b64 s[0:1], vcc
	s_cbranch_execz .LBB1553_100
; %bb.99:
	v_add_co_u32_e32 v18, vcc, 0x1000, v16
	v_addc_co_u32_e32 v19, vcc, 0, v17, vcc
	s_waitcnt lgkmcnt(0)
	flat_store_dword v[18:19], v13 offset:512
.LBB1553_100:
	s_or_b64 exec, exec, s[0:1]
	v_or_b32_e32 v18, 0x500, v0
	v_cmp_gt_u32_e32 vcc, s33, v18
	s_and_saveexec_b64 s[0:1], vcc
	s_cbranch_execz .LBB1553_102
; %bb.101:
	v_add_co_u32_e32 v18, vcc, 0x1000, v16
	v_addc_co_u32_e32 v19, vcc, 0, v17, vcc
	s_waitcnt lgkmcnt(0)
	flat_store_dword v[18:19], v10 offset:1024
.LBB1553_102:
	;; [unrolled: 11-line block ×5, first 2 shown]
	s_or_b64 exec, exec, s[0:1]
	v_cmp_lt_u64_e64 s[0:1], s[18:19], 2
	s_and_b64 vcc, exec, s[0:1]
	s_cbranch_vccnz .LBB1553_159
; %bb.109:
	s_add_u32 s0, s33, -1
	s_addc_u32 s1, s34, -1
	s_add_u32 s2, 0, 0x49240800
	s_addc_u32 s3, 0, 50
	s_add_i32 s3, s3, 0x12492460
	s_mul_hi_u32 s7, s2, -14
	s_sub_i32 s7, s7, s2
	s_mul_i32 s8, s3, -14
	s_mul_i32 s4, s2, -14
	s_add_i32 s7, s7, s8
	s_mul_hi_u32 s5, s3, s4
	s_mul_i32 s6, s3, s4
	s_mul_i32 s9, s2, s7
	s_mul_hi_u32 s4, s2, s4
	s_mul_hi_u32 s8, s2, s7
	s_add_u32 s4, s4, s9
	s_addc_u32 s8, 0, s8
	s_add_u32 s4, s4, s6
	s_mul_hi_u32 s9, s3, s7
	s_addc_u32 s4, s8, s5
	s_addc_u32 s5, s9, 0
	s_mul_i32 s6, s3, s7
	s_add_u32 s4, s4, s6
	v_mov_b32_e32 v16, s4
	s_addc_u32 s5, 0, s5
	v_add_co_u32_e32 v16, vcc, s2, v16
	s_cmp_lg_u64 vcc, 0
	s_addc_u32 s2, s3, s5
	v_readfirstlane_b32 s5, v16
	s_mul_i32 s4, s0, s2
	s_mul_hi_u32 s6, s0, s5
	s_mul_hi_u32 s3, s0, s2
	s_add_u32 s4, s6, s4
	s_addc_u32 s3, 0, s3
	s_mul_hi_u32 s7, s1, s5
	s_mul_i32 s5, s1, s5
	s_add_u32 s4, s4, s5
	s_mul_hi_u32 s6, s1, s2
	s_addc_u32 s3, s3, s7
	s_addc_u32 s4, s6, 0
	s_mul_i32 s2, s1, s2
	s_add_u32 s2, s3, s2
	s_addc_u32 s3, 0, s4
	s_add_u32 s4, s2, 1
	s_addc_u32 s5, s3, 0
	s_add_u32 s6, s2, 2
	s_mul_i32 s8, s3, 14
	s_mul_hi_u32 s9, s2, 14
	s_addc_u32 s7, s3, 0
	s_add_i32 s9, s9, s8
	s_mul_i32 s8, s2, 14
	v_mov_b32_e32 v16, s8
	v_sub_co_u32_e32 v16, vcc, s0, v16
	s_cmp_lg_u64 vcc, 0
	s_subb_u32 s8, s1, s9
	v_subrev_co_u32_e32 v17, vcc, 14, v16
	s_cmp_lg_u64 vcc, 0
	s_subb_u32 s9, s8, 0
	v_readfirstlane_b32 s10, v17
	s_cmp_gt_u32 s10, 13
	s_cselect_b32 s10, -1, 0
	s_cmp_eq_u32 s9, 0
	s_cselect_b32 s9, s10, -1
	s_cmp_lg_u32 s9, 0
	s_cselect_b32 s4, s6, s4
	v_readfirstlane_b32 s6, v16
	s_cselect_b32 s5, s7, s5
	s_cmp_gt_u32 s6, 13
	s_cselect_b32 s6, -1, 0
	s_cmp_eq_u32 s8, 0
	s_cselect_b32 s6, s6, -1
	s_cmp_lg_u32 s6, 0
	s_cselect_b32 s3, s5, s3
	s_cselect_b32 s2, s4, s2
	v_cmp_eq_u64_e32 vcc, s[2:3], v[0:1]
	s_and_saveexec_b64 s[2:3], vcc
	s_cbranch_execz .LBB1553_159
; %bb.110:
	v_mul_hi_u32_u24_e32 v1, 14, v0
	v_mov_b32_e32 v16, s1
	v_sub_co_u32_e32 v0, vcc, s0, v33
	v_subb_co_u32_e32 v1, vcc, v16, v1, vcc
	v_cmp_lt_i64_e32 vcc, 6, v[0:1]
	s_and_saveexec_b64 s[0:1], vcc
	s_xor_b64 s[0:1], exec, s[0:1]
	s_cbranch_execz .LBB1553_136
; %bb.111:
	v_cmp_lt_i64_e32 vcc, 9, v[0:1]
	s_and_saveexec_b64 s[2:3], vcc
	s_xor_b64 s[2:3], exec, s[2:3]
	s_cbranch_execz .LBB1553_125
; %bb.112:
	;; [unrolled: 5-line block ×4, first 2 shown]
	v_mov_b32_e32 v0, 0
	s_waitcnt lgkmcnt(0)
	global_store_dword v0, v15, s[14:15]
                                        ; implicit-def: $vgpr14_vgpr15
.LBB1553_115:
	s_andn2_saveexec_b64 s[6:7], s[6:7]
	s_cbranch_execz .LBB1553_117
; %bb.116:
	v_mov_b32_e32 v0, 0
	s_waitcnt lgkmcnt(0)
	global_store_dword v0, v14, s[14:15]
.LBB1553_117:
	s_or_b64 exec, exec, s[6:7]
                                        ; implicit-def: $vgpr10_vgpr11
                                        ; implicit-def: $vgpr0_vgpr1
.LBB1553_118:
	s_andn2_saveexec_b64 s[4:5], s[4:5]
	s_cbranch_execz .LBB1553_124
; %bb.119:
	v_cmp_lt_i64_e32 vcc, 10, v[0:1]
	s_and_saveexec_b64 s[6:7], vcc
	s_xor_b64 s[6:7], exec, s[6:7]
	s_cbranch_execz .LBB1553_121
; %bb.120:
	v_mov_b32_e32 v0, 0
	s_waitcnt lgkmcnt(0)
	global_store_dword v0, v11, s[14:15]
                                        ; implicit-def: $vgpr10_vgpr11
.LBB1553_121:
	s_andn2_saveexec_b64 s[6:7], s[6:7]
	s_cbranch_execz .LBB1553_123
; %bb.122:
	v_mov_b32_e32 v0, 0
	s_waitcnt lgkmcnt(0)
	global_store_dword v0, v10, s[14:15]
.LBB1553_123:
	s_or_b64 exec, exec, s[6:7]
.LBB1553_124:
	s_or_b64 exec, exec, s[4:5]
                                        ; implicit-def: $vgpr2_vgpr3
                                        ; implicit-def: $vgpr0_vgpr1
                                        ; implicit-def: $vgpr12_vgpr13
.LBB1553_125:
	s_andn2_saveexec_b64 s[2:3], s[2:3]
	s_cbranch_execz .LBB1553_135
; %bb.126:
	v_cmp_lt_i64_e32 vcc, 7, v[0:1]
	s_and_saveexec_b64 s[4:5], vcc
	s_xor_b64 s[4:5], exec, s[4:5]
	s_cbranch_execz .LBB1553_132
; %bb.127:
	v_cmp_lt_i64_e32 vcc, 8, v[0:1]
	s_and_saveexec_b64 s[6:7], vcc
	s_xor_b64 s[6:7], exec, s[6:7]
	s_cbranch_execz .LBB1553_129
; %bb.128:
	v_mov_b32_e32 v0, 0
	s_waitcnt lgkmcnt(0)
	global_store_dword v0, v13, s[14:15]
                                        ; implicit-def: $vgpr12_vgpr13
.LBB1553_129:
	s_andn2_saveexec_b64 s[6:7], s[6:7]
	s_cbranch_execz .LBB1553_131
; %bb.130:
	v_mov_b32_e32 v0, 0
	s_waitcnt lgkmcnt(0)
	global_store_dword v0, v12, s[14:15]
.LBB1553_131:
	s_or_b64 exec, exec, s[6:7]
                                        ; implicit-def: $vgpr2_vgpr3
.LBB1553_132:
	s_andn2_saveexec_b64 s[4:5], s[4:5]
	s_cbranch_execz .LBB1553_134
; %bb.133:
	v_mov_b32_e32 v0, 0
	s_waitcnt lgkmcnt(0)
	global_store_dword v0, v3, s[14:15]
.LBB1553_134:
	s_or_b64 exec, exec, s[4:5]
.LBB1553_135:
	s_or_b64 exec, exec, s[2:3]
                                        ; implicit-def: $vgpr0_vgpr1
                                        ; implicit-def: $vgpr8_vgpr9
                                        ; implicit-def: $vgpr4_vgpr5
                                        ; implicit-def: $vgpr6_vgpr7
                                        ; implicit-def: $vgpr2_vgpr3
.LBB1553_136:
	s_andn2_saveexec_b64 s[0:1], s[0:1]
	s_cbranch_execz .LBB1553_159
; %bb.137:
	v_cmp_lt_i64_e32 vcc, 3, v[0:1]
	s_and_saveexec_b64 s[0:1], vcc
	s_xor_b64 s[0:1], exec, s[0:1]
	s_cbranch_execz .LBB1553_147
; %bb.138:
	v_cmp_lt_i64_e32 vcc, 4, v[0:1]
	s_and_saveexec_b64 s[2:3], vcc
	s_xor_b64 s[2:3], exec, s[2:3]
	;; [unrolled: 5-line block ×3, first 2 shown]
	s_cbranch_execz .LBB1553_141
; %bb.140:
	v_mov_b32_e32 v0, 0
	s_waitcnt lgkmcnt(0)
	global_store_dword v0, v2, s[14:15]
                                        ; implicit-def: $vgpr8_vgpr9
.LBB1553_141:
	s_andn2_saveexec_b64 s[4:5], s[4:5]
	s_cbranch_execz .LBB1553_143
; %bb.142:
	v_mov_b32_e32 v0, 0
	s_waitcnt lgkmcnt(0)
	global_store_dword v0, v9, s[14:15]
.LBB1553_143:
	s_or_b64 exec, exec, s[4:5]
                                        ; implicit-def: $vgpr8_vgpr9
.LBB1553_144:
	s_andn2_saveexec_b64 s[2:3], s[2:3]
	s_cbranch_execz .LBB1553_146
; %bb.145:
	v_mov_b32_e32 v0, 0
	s_waitcnt lgkmcnt(0)
	global_store_dword v0, v8, s[14:15]
.LBB1553_146:
	s_or_b64 exec, exec, s[2:3]
                                        ; implicit-def: $vgpr0_vgpr1
                                        ; implicit-def: $vgpr4_vgpr5
                                        ; implicit-def: $vgpr6_vgpr7
.LBB1553_147:
	s_andn2_saveexec_b64 s[0:1], s[0:1]
	s_cbranch_execz .LBB1553_159
; %bb.148:
	v_cmp_lt_i64_e32 vcc, 1, v[0:1]
	s_and_saveexec_b64 s[0:1], vcc
	s_xor_b64 s[0:1], exec, s[0:1]
	s_cbranch_execz .LBB1553_154
; %bb.149:
	v_cmp_lt_i64_e32 vcc, 2, v[0:1]
	s_and_saveexec_b64 s[2:3], vcc
	s_xor_b64 s[2:3], exec, s[2:3]
	s_cbranch_execz .LBB1553_151
; %bb.150:
	v_mov_b32_e32 v0, 0
	s_waitcnt lgkmcnt(0)
	global_store_dword v0, v7, s[14:15]
                                        ; implicit-def: $vgpr6_vgpr7
.LBB1553_151:
	s_andn2_saveexec_b64 s[2:3], s[2:3]
	s_cbranch_execz .LBB1553_153
; %bb.152:
	v_mov_b32_e32 v0, 0
	s_waitcnt lgkmcnt(0)
	global_store_dword v0, v6, s[14:15]
.LBB1553_153:
	s_or_b64 exec, exec, s[2:3]
                                        ; implicit-def: $vgpr4_vgpr5
                                        ; implicit-def: $vgpr0_vgpr1
.LBB1553_154:
	s_andn2_saveexec_b64 s[0:1], s[0:1]
	s_cbranch_execz .LBB1553_159
; %bb.155:
	v_cmp_ne_u64_e32 vcc, 1, v[0:1]
	s_and_saveexec_b64 s[0:1], vcc
	s_xor_b64 s[0:1], exec, s[0:1]
	s_cbranch_execz .LBB1553_157
; %bb.156:
	v_mov_b32_e32 v0, 0
	s_waitcnt lgkmcnt(0)
	global_store_dword v0, v4, s[14:15]
                                        ; implicit-def: $vgpr4_vgpr5
.LBB1553_157:
	s_andn2_saveexec_b64 s[0:1], s[0:1]
	s_cbranch_execz .LBB1553_159
; %bb.158:
	v_mov_b32_e32 v0, 0
	s_waitcnt lgkmcnt(0)
	global_store_dword v0, v5, s[14:15]
.LBB1553_159:
	s_endpgm
	.section	.rodata,"a",@progbits
	.p2align	6, 0x0
	.amdhsa_kernel _ZN7rocprim17ROCPRIM_400000_NS6detail17trampoline_kernelINS0_14default_configENS1_20scan_config_selectorIfEEZZNS1_9scan_implILNS1_25lookback_scan_determinismE0ELb0ELb0ES3_N6thrust23THRUST_200600_302600_NS6detail15normal_iteratorINS9_10device_ptrIfEEEESE_fNS9_4plusIiEEfEEDaPvRmT3_T4_T5_mT6_P12ihipStream_tbENKUlT_T0_E_clISt17integral_constantIbLb0EEST_IbLb1EEEEDaSP_SQ_EUlSP_E_NS1_11comp_targetILNS1_3genE4ELNS1_11target_archE910ELNS1_3gpuE8ELNS1_3repE0EEENS1_30default_config_static_selectorELNS0_4arch9wavefront6targetE1EEEvT1_
		.amdhsa_group_segment_fixed_size 7168
		.amdhsa_private_segment_fixed_size 0
		.amdhsa_kernarg_size 96
		.amdhsa_user_sgpr_count 6
		.amdhsa_user_sgpr_private_segment_buffer 1
		.amdhsa_user_sgpr_dispatch_ptr 0
		.amdhsa_user_sgpr_queue_ptr 0
		.amdhsa_user_sgpr_kernarg_segment_ptr 1
		.amdhsa_user_sgpr_dispatch_id 0
		.amdhsa_user_sgpr_flat_scratch_init 0
		.amdhsa_user_sgpr_kernarg_preload_length 0
		.amdhsa_user_sgpr_kernarg_preload_offset 0
		.amdhsa_user_sgpr_private_segment_size 0
		.amdhsa_uses_dynamic_stack 0
		.amdhsa_system_sgpr_private_segment_wavefront_offset 0
		.amdhsa_system_sgpr_workgroup_id_x 1
		.amdhsa_system_sgpr_workgroup_id_y 0
		.amdhsa_system_sgpr_workgroup_id_z 0
		.amdhsa_system_sgpr_workgroup_info 0
		.amdhsa_system_vgpr_workitem_id 0
		.amdhsa_next_free_vgpr 62
		.amdhsa_next_free_sgpr 36
		.amdhsa_accum_offset 64
		.amdhsa_reserve_vcc 1
		.amdhsa_reserve_flat_scratch 0
		.amdhsa_float_round_mode_32 0
		.amdhsa_float_round_mode_16_64 0
		.amdhsa_float_denorm_mode_32 3
		.amdhsa_float_denorm_mode_16_64 3
		.amdhsa_dx10_clamp 1
		.amdhsa_ieee_mode 1
		.amdhsa_fp16_overflow 0
		.amdhsa_tg_split 0
		.amdhsa_exception_fp_ieee_invalid_op 0
		.amdhsa_exception_fp_denorm_src 0
		.amdhsa_exception_fp_ieee_div_zero 0
		.amdhsa_exception_fp_ieee_overflow 0
		.amdhsa_exception_fp_ieee_underflow 0
		.amdhsa_exception_fp_ieee_inexact 0
		.amdhsa_exception_int_div_zero 0
	.end_amdhsa_kernel
	.section	.text._ZN7rocprim17ROCPRIM_400000_NS6detail17trampoline_kernelINS0_14default_configENS1_20scan_config_selectorIfEEZZNS1_9scan_implILNS1_25lookback_scan_determinismE0ELb0ELb0ES3_N6thrust23THRUST_200600_302600_NS6detail15normal_iteratorINS9_10device_ptrIfEEEESE_fNS9_4plusIiEEfEEDaPvRmT3_T4_T5_mT6_P12ihipStream_tbENKUlT_T0_E_clISt17integral_constantIbLb0EEST_IbLb1EEEEDaSP_SQ_EUlSP_E_NS1_11comp_targetILNS1_3genE4ELNS1_11target_archE910ELNS1_3gpuE8ELNS1_3repE0EEENS1_30default_config_static_selectorELNS0_4arch9wavefront6targetE1EEEvT1_,"axG",@progbits,_ZN7rocprim17ROCPRIM_400000_NS6detail17trampoline_kernelINS0_14default_configENS1_20scan_config_selectorIfEEZZNS1_9scan_implILNS1_25lookback_scan_determinismE0ELb0ELb0ES3_N6thrust23THRUST_200600_302600_NS6detail15normal_iteratorINS9_10device_ptrIfEEEESE_fNS9_4plusIiEEfEEDaPvRmT3_T4_T5_mT6_P12ihipStream_tbENKUlT_T0_E_clISt17integral_constantIbLb0EEST_IbLb1EEEEDaSP_SQ_EUlSP_E_NS1_11comp_targetILNS1_3genE4ELNS1_11target_archE910ELNS1_3gpuE8ELNS1_3repE0EEENS1_30default_config_static_selectorELNS0_4arch9wavefront6targetE1EEEvT1_,comdat
.Lfunc_end1553:
	.size	_ZN7rocprim17ROCPRIM_400000_NS6detail17trampoline_kernelINS0_14default_configENS1_20scan_config_selectorIfEEZZNS1_9scan_implILNS1_25lookback_scan_determinismE0ELb0ELb0ES3_N6thrust23THRUST_200600_302600_NS6detail15normal_iteratorINS9_10device_ptrIfEEEESE_fNS9_4plusIiEEfEEDaPvRmT3_T4_T5_mT6_P12ihipStream_tbENKUlT_T0_E_clISt17integral_constantIbLb0EEST_IbLb1EEEEDaSP_SQ_EUlSP_E_NS1_11comp_targetILNS1_3genE4ELNS1_11target_archE910ELNS1_3gpuE8ELNS1_3repE0EEENS1_30default_config_static_selectorELNS0_4arch9wavefront6targetE1EEEvT1_, .Lfunc_end1553-_ZN7rocprim17ROCPRIM_400000_NS6detail17trampoline_kernelINS0_14default_configENS1_20scan_config_selectorIfEEZZNS1_9scan_implILNS1_25lookback_scan_determinismE0ELb0ELb0ES3_N6thrust23THRUST_200600_302600_NS6detail15normal_iteratorINS9_10device_ptrIfEEEESE_fNS9_4plusIiEEfEEDaPvRmT3_T4_T5_mT6_P12ihipStream_tbENKUlT_T0_E_clISt17integral_constantIbLb0EEST_IbLb1EEEEDaSP_SQ_EUlSP_E_NS1_11comp_targetILNS1_3genE4ELNS1_11target_archE910ELNS1_3gpuE8ELNS1_3repE0EEENS1_30default_config_static_selectorELNS0_4arch9wavefront6targetE1EEEvT1_
                                        ; -- End function
	.section	.AMDGPU.csdata,"",@progbits
; Kernel info:
; codeLenInByte = 6648
; NumSgprs: 40
; NumVgprs: 62
; NumAgprs: 0
; TotalNumVgprs: 62
; ScratchSize: 0
; MemoryBound: 0
; FloatMode: 240
; IeeeMode: 1
; LDSByteSize: 7168 bytes/workgroup (compile time only)
; SGPRBlocks: 4
; VGPRBlocks: 7
; NumSGPRsForWavesPerEU: 40
; NumVGPRsForWavesPerEU: 62
; AccumOffset: 64
; Occupancy: 5
; WaveLimiterHint : 1
; COMPUTE_PGM_RSRC2:SCRATCH_EN: 0
; COMPUTE_PGM_RSRC2:USER_SGPR: 6
; COMPUTE_PGM_RSRC2:TRAP_HANDLER: 0
; COMPUTE_PGM_RSRC2:TGID_X_EN: 1
; COMPUTE_PGM_RSRC2:TGID_Y_EN: 0
; COMPUTE_PGM_RSRC2:TGID_Z_EN: 0
; COMPUTE_PGM_RSRC2:TIDIG_COMP_CNT: 0
; COMPUTE_PGM_RSRC3_GFX90A:ACCUM_OFFSET: 15
; COMPUTE_PGM_RSRC3_GFX90A:TG_SPLIT: 0
	.section	.text._ZN7rocprim17ROCPRIM_400000_NS6detail17trampoline_kernelINS0_14default_configENS1_20scan_config_selectorIfEEZZNS1_9scan_implILNS1_25lookback_scan_determinismE0ELb0ELb0ES3_N6thrust23THRUST_200600_302600_NS6detail15normal_iteratorINS9_10device_ptrIfEEEESE_fNS9_4plusIiEEfEEDaPvRmT3_T4_T5_mT6_P12ihipStream_tbENKUlT_T0_E_clISt17integral_constantIbLb0EEST_IbLb1EEEEDaSP_SQ_EUlSP_E_NS1_11comp_targetILNS1_3genE3ELNS1_11target_archE908ELNS1_3gpuE7ELNS1_3repE0EEENS1_30default_config_static_selectorELNS0_4arch9wavefront6targetE1EEEvT1_,"axG",@progbits,_ZN7rocprim17ROCPRIM_400000_NS6detail17trampoline_kernelINS0_14default_configENS1_20scan_config_selectorIfEEZZNS1_9scan_implILNS1_25lookback_scan_determinismE0ELb0ELb0ES3_N6thrust23THRUST_200600_302600_NS6detail15normal_iteratorINS9_10device_ptrIfEEEESE_fNS9_4plusIiEEfEEDaPvRmT3_T4_T5_mT6_P12ihipStream_tbENKUlT_T0_E_clISt17integral_constantIbLb0EEST_IbLb1EEEEDaSP_SQ_EUlSP_E_NS1_11comp_targetILNS1_3genE3ELNS1_11target_archE908ELNS1_3gpuE7ELNS1_3repE0EEENS1_30default_config_static_selectorELNS0_4arch9wavefront6targetE1EEEvT1_,comdat
	.protected	_ZN7rocprim17ROCPRIM_400000_NS6detail17trampoline_kernelINS0_14default_configENS1_20scan_config_selectorIfEEZZNS1_9scan_implILNS1_25lookback_scan_determinismE0ELb0ELb0ES3_N6thrust23THRUST_200600_302600_NS6detail15normal_iteratorINS9_10device_ptrIfEEEESE_fNS9_4plusIiEEfEEDaPvRmT3_T4_T5_mT6_P12ihipStream_tbENKUlT_T0_E_clISt17integral_constantIbLb0EEST_IbLb1EEEEDaSP_SQ_EUlSP_E_NS1_11comp_targetILNS1_3genE3ELNS1_11target_archE908ELNS1_3gpuE7ELNS1_3repE0EEENS1_30default_config_static_selectorELNS0_4arch9wavefront6targetE1EEEvT1_ ; -- Begin function _ZN7rocprim17ROCPRIM_400000_NS6detail17trampoline_kernelINS0_14default_configENS1_20scan_config_selectorIfEEZZNS1_9scan_implILNS1_25lookback_scan_determinismE0ELb0ELb0ES3_N6thrust23THRUST_200600_302600_NS6detail15normal_iteratorINS9_10device_ptrIfEEEESE_fNS9_4plusIiEEfEEDaPvRmT3_T4_T5_mT6_P12ihipStream_tbENKUlT_T0_E_clISt17integral_constantIbLb0EEST_IbLb1EEEEDaSP_SQ_EUlSP_E_NS1_11comp_targetILNS1_3genE3ELNS1_11target_archE908ELNS1_3gpuE7ELNS1_3repE0EEENS1_30default_config_static_selectorELNS0_4arch9wavefront6targetE1EEEvT1_
	.globl	_ZN7rocprim17ROCPRIM_400000_NS6detail17trampoline_kernelINS0_14default_configENS1_20scan_config_selectorIfEEZZNS1_9scan_implILNS1_25lookback_scan_determinismE0ELb0ELb0ES3_N6thrust23THRUST_200600_302600_NS6detail15normal_iteratorINS9_10device_ptrIfEEEESE_fNS9_4plusIiEEfEEDaPvRmT3_T4_T5_mT6_P12ihipStream_tbENKUlT_T0_E_clISt17integral_constantIbLb0EEST_IbLb1EEEEDaSP_SQ_EUlSP_E_NS1_11comp_targetILNS1_3genE3ELNS1_11target_archE908ELNS1_3gpuE7ELNS1_3repE0EEENS1_30default_config_static_selectorELNS0_4arch9wavefront6targetE1EEEvT1_
	.p2align	8
	.type	_ZN7rocprim17ROCPRIM_400000_NS6detail17trampoline_kernelINS0_14default_configENS1_20scan_config_selectorIfEEZZNS1_9scan_implILNS1_25lookback_scan_determinismE0ELb0ELb0ES3_N6thrust23THRUST_200600_302600_NS6detail15normal_iteratorINS9_10device_ptrIfEEEESE_fNS9_4plusIiEEfEEDaPvRmT3_T4_T5_mT6_P12ihipStream_tbENKUlT_T0_E_clISt17integral_constantIbLb0EEST_IbLb1EEEEDaSP_SQ_EUlSP_E_NS1_11comp_targetILNS1_3genE3ELNS1_11target_archE908ELNS1_3gpuE7ELNS1_3repE0EEENS1_30default_config_static_selectorELNS0_4arch9wavefront6targetE1EEEvT1_,@function
_ZN7rocprim17ROCPRIM_400000_NS6detail17trampoline_kernelINS0_14default_configENS1_20scan_config_selectorIfEEZZNS1_9scan_implILNS1_25lookback_scan_determinismE0ELb0ELb0ES3_N6thrust23THRUST_200600_302600_NS6detail15normal_iteratorINS9_10device_ptrIfEEEESE_fNS9_4plusIiEEfEEDaPvRmT3_T4_T5_mT6_P12ihipStream_tbENKUlT_T0_E_clISt17integral_constantIbLb0EEST_IbLb1EEEEDaSP_SQ_EUlSP_E_NS1_11comp_targetILNS1_3genE3ELNS1_11target_archE908ELNS1_3gpuE7ELNS1_3repE0EEENS1_30default_config_static_selectorELNS0_4arch9wavefront6targetE1EEEvT1_: ; @_ZN7rocprim17ROCPRIM_400000_NS6detail17trampoline_kernelINS0_14default_configENS1_20scan_config_selectorIfEEZZNS1_9scan_implILNS1_25lookback_scan_determinismE0ELb0ELb0ES3_N6thrust23THRUST_200600_302600_NS6detail15normal_iteratorINS9_10device_ptrIfEEEESE_fNS9_4plusIiEEfEEDaPvRmT3_T4_T5_mT6_P12ihipStream_tbENKUlT_T0_E_clISt17integral_constantIbLb0EEST_IbLb1EEEEDaSP_SQ_EUlSP_E_NS1_11comp_targetILNS1_3genE3ELNS1_11target_archE908ELNS1_3gpuE7ELNS1_3repE0EEENS1_30default_config_static_selectorELNS0_4arch9wavefront6targetE1EEEvT1_
; %bb.0:
	.section	.rodata,"a",@progbits
	.p2align	6, 0x0
	.amdhsa_kernel _ZN7rocprim17ROCPRIM_400000_NS6detail17trampoline_kernelINS0_14default_configENS1_20scan_config_selectorIfEEZZNS1_9scan_implILNS1_25lookback_scan_determinismE0ELb0ELb0ES3_N6thrust23THRUST_200600_302600_NS6detail15normal_iteratorINS9_10device_ptrIfEEEESE_fNS9_4plusIiEEfEEDaPvRmT3_T4_T5_mT6_P12ihipStream_tbENKUlT_T0_E_clISt17integral_constantIbLb0EEST_IbLb1EEEEDaSP_SQ_EUlSP_E_NS1_11comp_targetILNS1_3genE3ELNS1_11target_archE908ELNS1_3gpuE7ELNS1_3repE0EEENS1_30default_config_static_selectorELNS0_4arch9wavefront6targetE1EEEvT1_
		.amdhsa_group_segment_fixed_size 0
		.amdhsa_private_segment_fixed_size 0
		.amdhsa_kernarg_size 96
		.amdhsa_user_sgpr_count 6
		.amdhsa_user_sgpr_private_segment_buffer 1
		.amdhsa_user_sgpr_dispatch_ptr 0
		.amdhsa_user_sgpr_queue_ptr 0
		.amdhsa_user_sgpr_kernarg_segment_ptr 1
		.amdhsa_user_sgpr_dispatch_id 0
		.amdhsa_user_sgpr_flat_scratch_init 0
		.amdhsa_user_sgpr_kernarg_preload_length 0
		.amdhsa_user_sgpr_kernarg_preload_offset 0
		.amdhsa_user_sgpr_private_segment_size 0
		.amdhsa_uses_dynamic_stack 0
		.amdhsa_system_sgpr_private_segment_wavefront_offset 0
		.amdhsa_system_sgpr_workgroup_id_x 1
		.amdhsa_system_sgpr_workgroup_id_y 0
		.amdhsa_system_sgpr_workgroup_id_z 0
		.amdhsa_system_sgpr_workgroup_info 0
		.amdhsa_system_vgpr_workitem_id 0
		.amdhsa_next_free_vgpr 1
		.amdhsa_next_free_sgpr 0
		.amdhsa_accum_offset 4
		.amdhsa_reserve_vcc 0
		.amdhsa_reserve_flat_scratch 0
		.amdhsa_float_round_mode_32 0
		.amdhsa_float_round_mode_16_64 0
		.amdhsa_float_denorm_mode_32 3
		.amdhsa_float_denorm_mode_16_64 3
		.amdhsa_dx10_clamp 1
		.amdhsa_ieee_mode 1
		.amdhsa_fp16_overflow 0
		.amdhsa_tg_split 0
		.amdhsa_exception_fp_ieee_invalid_op 0
		.amdhsa_exception_fp_denorm_src 0
		.amdhsa_exception_fp_ieee_div_zero 0
		.amdhsa_exception_fp_ieee_overflow 0
		.amdhsa_exception_fp_ieee_underflow 0
		.amdhsa_exception_fp_ieee_inexact 0
		.amdhsa_exception_int_div_zero 0
	.end_amdhsa_kernel
	.section	.text._ZN7rocprim17ROCPRIM_400000_NS6detail17trampoline_kernelINS0_14default_configENS1_20scan_config_selectorIfEEZZNS1_9scan_implILNS1_25lookback_scan_determinismE0ELb0ELb0ES3_N6thrust23THRUST_200600_302600_NS6detail15normal_iteratorINS9_10device_ptrIfEEEESE_fNS9_4plusIiEEfEEDaPvRmT3_T4_T5_mT6_P12ihipStream_tbENKUlT_T0_E_clISt17integral_constantIbLb0EEST_IbLb1EEEEDaSP_SQ_EUlSP_E_NS1_11comp_targetILNS1_3genE3ELNS1_11target_archE908ELNS1_3gpuE7ELNS1_3repE0EEENS1_30default_config_static_selectorELNS0_4arch9wavefront6targetE1EEEvT1_,"axG",@progbits,_ZN7rocprim17ROCPRIM_400000_NS6detail17trampoline_kernelINS0_14default_configENS1_20scan_config_selectorIfEEZZNS1_9scan_implILNS1_25lookback_scan_determinismE0ELb0ELb0ES3_N6thrust23THRUST_200600_302600_NS6detail15normal_iteratorINS9_10device_ptrIfEEEESE_fNS9_4plusIiEEfEEDaPvRmT3_T4_T5_mT6_P12ihipStream_tbENKUlT_T0_E_clISt17integral_constantIbLb0EEST_IbLb1EEEEDaSP_SQ_EUlSP_E_NS1_11comp_targetILNS1_3genE3ELNS1_11target_archE908ELNS1_3gpuE7ELNS1_3repE0EEENS1_30default_config_static_selectorELNS0_4arch9wavefront6targetE1EEEvT1_,comdat
.Lfunc_end1554:
	.size	_ZN7rocprim17ROCPRIM_400000_NS6detail17trampoline_kernelINS0_14default_configENS1_20scan_config_selectorIfEEZZNS1_9scan_implILNS1_25lookback_scan_determinismE0ELb0ELb0ES3_N6thrust23THRUST_200600_302600_NS6detail15normal_iteratorINS9_10device_ptrIfEEEESE_fNS9_4plusIiEEfEEDaPvRmT3_T4_T5_mT6_P12ihipStream_tbENKUlT_T0_E_clISt17integral_constantIbLb0EEST_IbLb1EEEEDaSP_SQ_EUlSP_E_NS1_11comp_targetILNS1_3genE3ELNS1_11target_archE908ELNS1_3gpuE7ELNS1_3repE0EEENS1_30default_config_static_selectorELNS0_4arch9wavefront6targetE1EEEvT1_, .Lfunc_end1554-_ZN7rocprim17ROCPRIM_400000_NS6detail17trampoline_kernelINS0_14default_configENS1_20scan_config_selectorIfEEZZNS1_9scan_implILNS1_25lookback_scan_determinismE0ELb0ELb0ES3_N6thrust23THRUST_200600_302600_NS6detail15normal_iteratorINS9_10device_ptrIfEEEESE_fNS9_4plusIiEEfEEDaPvRmT3_T4_T5_mT6_P12ihipStream_tbENKUlT_T0_E_clISt17integral_constantIbLb0EEST_IbLb1EEEEDaSP_SQ_EUlSP_E_NS1_11comp_targetILNS1_3genE3ELNS1_11target_archE908ELNS1_3gpuE7ELNS1_3repE0EEENS1_30default_config_static_selectorELNS0_4arch9wavefront6targetE1EEEvT1_
                                        ; -- End function
	.section	.AMDGPU.csdata,"",@progbits
; Kernel info:
; codeLenInByte = 0
; NumSgprs: 4
; NumVgprs: 0
; NumAgprs: 0
; TotalNumVgprs: 0
; ScratchSize: 0
; MemoryBound: 0
; FloatMode: 240
; IeeeMode: 1
; LDSByteSize: 0 bytes/workgroup (compile time only)
; SGPRBlocks: 0
; VGPRBlocks: 0
; NumSGPRsForWavesPerEU: 4
; NumVGPRsForWavesPerEU: 1
; AccumOffset: 4
; Occupancy: 8
; WaveLimiterHint : 0
; COMPUTE_PGM_RSRC2:SCRATCH_EN: 0
; COMPUTE_PGM_RSRC2:USER_SGPR: 6
; COMPUTE_PGM_RSRC2:TRAP_HANDLER: 0
; COMPUTE_PGM_RSRC2:TGID_X_EN: 1
; COMPUTE_PGM_RSRC2:TGID_Y_EN: 0
; COMPUTE_PGM_RSRC2:TGID_Z_EN: 0
; COMPUTE_PGM_RSRC2:TIDIG_COMP_CNT: 0
; COMPUTE_PGM_RSRC3_GFX90A:ACCUM_OFFSET: 0
; COMPUTE_PGM_RSRC3_GFX90A:TG_SPLIT: 0
	.section	.text._ZN7rocprim17ROCPRIM_400000_NS6detail17trampoline_kernelINS0_14default_configENS1_20scan_config_selectorIfEEZZNS1_9scan_implILNS1_25lookback_scan_determinismE0ELb0ELb0ES3_N6thrust23THRUST_200600_302600_NS6detail15normal_iteratorINS9_10device_ptrIfEEEESE_fNS9_4plusIiEEfEEDaPvRmT3_T4_T5_mT6_P12ihipStream_tbENKUlT_T0_E_clISt17integral_constantIbLb0EEST_IbLb1EEEEDaSP_SQ_EUlSP_E_NS1_11comp_targetILNS1_3genE2ELNS1_11target_archE906ELNS1_3gpuE6ELNS1_3repE0EEENS1_30default_config_static_selectorELNS0_4arch9wavefront6targetE1EEEvT1_,"axG",@progbits,_ZN7rocprim17ROCPRIM_400000_NS6detail17trampoline_kernelINS0_14default_configENS1_20scan_config_selectorIfEEZZNS1_9scan_implILNS1_25lookback_scan_determinismE0ELb0ELb0ES3_N6thrust23THRUST_200600_302600_NS6detail15normal_iteratorINS9_10device_ptrIfEEEESE_fNS9_4plusIiEEfEEDaPvRmT3_T4_T5_mT6_P12ihipStream_tbENKUlT_T0_E_clISt17integral_constantIbLb0EEST_IbLb1EEEEDaSP_SQ_EUlSP_E_NS1_11comp_targetILNS1_3genE2ELNS1_11target_archE906ELNS1_3gpuE6ELNS1_3repE0EEENS1_30default_config_static_selectorELNS0_4arch9wavefront6targetE1EEEvT1_,comdat
	.protected	_ZN7rocprim17ROCPRIM_400000_NS6detail17trampoline_kernelINS0_14default_configENS1_20scan_config_selectorIfEEZZNS1_9scan_implILNS1_25lookback_scan_determinismE0ELb0ELb0ES3_N6thrust23THRUST_200600_302600_NS6detail15normal_iteratorINS9_10device_ptrIfEEEESE_fNS9_4plusIiEEfEEDaPvRmT3_T4_T5_mT6_P12ihipStream_tbENKUlT_T0_E_clISt17integral_constantIbLb0EEST_IbLb1EEEEDaSP_SQ_EUlSP_E_NS1_11comp_targetILNS1_3genE2ELNS1_11target_archE906ELNS1_3gpuE6ELNS1_3repE0EEENS1_30default_config_static_selectorELNS0_4arch9wavefront6targetE1EEEvT1_ ; -- Begin function _ZN7rocprim17ROCPRIM_400000_NS6detail17trampoline_kernelINS0_14default_configENS1_20scan_config_selectorIfEEZZNS1_9scan_implILNS1_25lookback_scan_determinismE0ELb0ELb0ES3_N6thrust23THRUST_200600_302600_NS6detail15normal_iteratorINS9_10device_ptrIfEEEESE_fNS9_4plusIiEEfEEDaPvRmT3_T4_T5_mT6_P12ihipStream_tbENKUlT_T0_E_clISt17integral_constantIbLb0EEST_IbLb1EEEEDaSP_SQ_EUlSP_E_NS1_11comp_targetILNS1_3genE2ELNS1_11target_archE906ELNS1_3gpuE6ELNS1_3repE0EEENS1_30default_config_static_selectorELNS0_4arch9wavefront6targetE1EEEvT1_
	.globl	_ZN7rocprim17ROCPRIM_400000_NS6detail17trampoline_kernelINS0_14default_configENS1_20scan_config_selectorIfEEZZNS1_9scan_implILNS1_25lookback_scan_determinismE0ELb0ELb0ES3_N6thrust23THRUST_200600_302600_NS6detail15normal_iteratorINS9_10device_ptrIfEEEESE_fNS9_4plusIiEEfEEDaPvRmT3_T4_T5_mT6_P12ihipStream_tbENKUlT_T0_E_clISt17integral_constantIbLb0EEST_IbLb1EEEEDaSP_SQ_EUlSP_E_NS1_11comp_targetILNS1_3genE2ELNS1_11target_archE906ELNS1_3gpuE6ELNS1_3repE0EEENS1_30default_config_static_selectorELNS0_4arch9wavefront6targetE1EEEvT1_
	.p2align	8
	.type	_ZN7rocprim17ROCPRIM_400000_NS6detail17trampoline_kernelINS0_14default_configENS1_20scan_config_selectorIfEEZZNS1_9scan_implILNS1_25lookback_scan_determinismE0ELb0ELb0ES3_N6thrust23THRUST_200600_302600_NS6detail15normal_iteratorINS9_10device_ptrIfEEEESE_fNS9_4plusIiEEfEEDaPvRmT3_T4_T5_mT6_P12ihipStream_tbENKUlT_T0_E_clISt17integral_constantIbLb0EEST_IbLb1EEEEDaSP_SQ_EUlSP_E_NS1_11comp_targetILNS1_3genE2ELNS1_11target_archE906ELNS1_3gpuE6ELNS1_3repE0EEENS1_30default_config_static_selectorELNS0_4arch9wavefront6targetE1EEEvT1_,@function
_ZN7rocprim17ROCPRIM_400000_NS6detail17trampoline_kernelINS0_14default_configENS1_20scan_config_selectorIfEEZZNS1_9scan_implILNS1_25lookback_scan_determinismE0ELb0ELb0ES3_N6thrust23THRUST_200600_302600_NS6detail15normal_iteratorINS9_10device_ptrIfEEEESE_fNS9_4plusIiEEfEEDaPvRmT3_T4_T5_mT6_P12ihipStream_tbENKUlT_T0_E_clISt17integral_constantIbLb0EEST_IbLb1EEEEDaSP_SQ_EUlSP_E_NS1_11comp_targetILNS1_3genE2ELNS1_11target_archE906ELNS1_3gpuE6ELNS1_3repE0EEENS1_30default_config_static_selectorELNS0_4arch9wavefront6targetE1EEEvT1_: ; @_ZN7rocprim17ROCPRIM_400000_NS6detail17trampoline_kernelINS0_14default_configENS1_20scan_config_selectorIfEEZZNS1_9scan_implILNS1_25lookback_scan_determinismE0ELb0ELb0ES3_N6thrust23THRUST_200600_302600_NS6detail15normal_iteratorINS9_10device_ptrIfEEEESE_fNS9_4plusIiEEfEEDaPvRmT3_T4_T5_mT6_P12ihipStream_tbENKUlT_T0_E_clISt17integral_constantIbLb0EEST_IbLb1EEEEDaSP_SQ_EUlSP_E_NS1_11comp_targetILNS1_3genE2ELNS1_11target_archE906ELNS1_3gpuE6ELNS1_3repE0EEENS1_30default_config_static_selectorELNS0_4arch9wavefront6targetE1EEEvT1_
; %bb.0:
	.section	.rodata,"a",@progbits
	.p2align	6, 0x0
	.amdhsa_kernel _ZN7rocprim17ROCPRIM_400000_NS6detail17trampoline_kernelINS0_14default_configENS1_20scan_config_selectorIfEEZZNS1_9scan_implILNS1_25lookback_scan_determinismE0ELb0ELb0ES3_N6thrust23THRUST_200600_302600_NS6detail15normal_iteratorINS9_10device_ptrIfEEEESE_fNS9_4plusIiEEfEEDaPvRmT3_T4_T5_mT6_P12ihipStream_tbENKUlT_T0_E_clISt17integral_constantIbLb0EEST_IbLb1EEEEDaSP_SQ_EUlSP_E_NS1_11comp_targetILNS1_3genE2ELNS1_11target_archE906ELNS1_3gpuE6ELNS1_3repE0EEENS1_30default_config_static_selectorELNS0_4arch9wavefront6targetE1EEEvT1_
		.amdhsa_group_segment_fixed_size 0
		.amdhsa_private_segment_fixed_size 0
		.amdhsa_kernarg_size 96
		.amdhsa_user_sgpr_count 6
		.amdhsa_user_sgpr_private_segment_buffer 1
		.amdhsa_user_sgpr_dispatch_ptr 0
		.amdhsa_user_sgpr_queue_ptr 0
		.amdhsa_user_sgpr_kernarg_segment_ptr 1
		.amdhsa_user_sgpr_dispatch_id 0
		.amdhsa_user_sgpr_flat_scratch_init 0
		.amdhsa_user_sgpr_kernarg_preload_length 0
		.amdhsa_user_sgpr_kernarg_preload_offset 0
		.amdhsa_user_sgpr_private_segment_size 0
		.amdhsa_uses_dynamic_stack 0
		.amdhsa_system_sgpr_private_segment_wavefront_offset 0
		.amdhsa_system_sgpr_workgroup_id_x 1
		.amdhsa_system_sgpr_workgroup_id_y 0
		.amdhsa_system_sgpr_workgroup_id_z 0
		.amdhsa_system_sgpr_workgroup_info 0
		.amdhsa_system_vgpr_workitem_id 0
		.amdhsa_next_free_vgpr 1
		.amdhsa_next_free_sgpr 0
		.amdhsa_accum_offset 4
		.amdhsa_reserve_vcc 0
		.amdhsa_reserve_flat_scratch 0
		.amdhsa_float_round_mode_32 0
		.amdhsa_float_round_mode_16_64 0
		.amdhsa_float_denorm_mode_32 3
		.amdhsa_float_denorm_mode_16_64 3
		.amdhsa_dx10_clamp 1
		.amdhsa_ieee_mode 1
		.amdhsa_fp16_overflow 0
		.amdhsa_tg_split 0
		.amdhsa_exception_fp_ieee_invalid_op 0
		.amdhsa_exception_fp_denorm_src 0
		.amdhsa_exception_fp_ieee_div_zero 0
		.amdhsa_exception_fp_ieee_overflow 0
		.amdhsa_exception_fp_ieee_underflow 0
		.amdhsa_exception_fp_ieee_inexact 0
		.amdhsa_exception_int_div_zero 0
	.end_amdhsa_kernel
	.section	.text._ZN7rocprim17ROCPRIM_400000_NS6detail17trampoline_kernelINS0_14default_configENS1_20scan_config_selectorIfEEZZNS1_9scan_implILNS1_25lookback_scan_determinismE0ELb0ELb0ES3_N6thrust23THRUST_200600_302600_NS6detail15normal_iteratorINS9_10device_ptrIfEEEESE_fNS9_4plusIiEEfEEDaPvRmT3_T4_T5_mT6_P12ihipStream_tbENKUlT_T0_E_clISt17integral_constantIbLb0EEST_IbLb1EEEEDaSP_SQ_EUlSP_E_NS1_11comp_targetILNS1_3genE2ELNS1_11target_archE906ELNS1_3gpuE6ELNS1_3repE0EEENS1_30default_config_static_selectorELNS0_4arch9wavefront6targetE1EEEvT1_,"axG",@progbits,_ZN7rocprim17ROCPRIM_400000_NS6detail17trampoline_kernelINS0_14default_configENS1_20scan_config_selectorIfEEZZNS1_9scan_implILNS1_25lookback_scan_determinismE0ELb0ELb0ES3_N6thrust23THRUST_200600_302600_NS6detail15normal_iteratorINS9_10device_ptrIfEEEESE_fNS9_4plusIiEEfEEDaPvRmT3_T4_T5_mT6_P12ihipStream_tbENKUlT_T0_E_clISt17integral_constantIbLb0EEST_IbLb1EEEEDaSP_SQ_EUlSP_E_NS1_11comp_targetILNS1_3genE2ELNS1_11target_archE906ELNS1_3gpuE6ELNS1_3repE0EEENS1_30default_config_static_selectorELNS0_4arch9wavefront6targetE1EEEvT1_,comdat
.Lfunc_end1555:
	.size	_ZN7rocprim17ROCPRIM_400000_NS6detail17trampoline_kernelINS0_14default_configENS1_20scan_config_selectorIfEEZZNS1_9scan_implILNS1_25lookback_scan_determinismE0ELb0ELb0ES3_N6thrust23THRUST_200600_302600_NS6detail15normal_iteratorINS9_10device_ptrIfEEEESE_fNS9_4plusIiEEfEEDaPvRmT3_T4_T5_mT6_P12ihipStream_tbENKUlT_T0_E_clISt17integral_constantIbLb0EEST_IbLb1EEEEDaSP_SQ_EUlSP_E_NS1_11comp_targetILNS1_3genE2ELNS1_11target_archE906ELNS1_3gpuE6ELNS1_3repE0EEENS1_30default_config_static_selectorELNS0_4arch9wavefront6targetE1EEEvT1_, .Lfunc_end1555-_ZN7rocprim17ROCPRIM_400000_NS6detail17trampoline_kernelINS0_14default_configENS1_20scan_config_selectorIfEEZZNS1_9scan_implILNS1_25lookback_scan_determinismE0ELb0ELb0ES3_N6thrust23THRUST_200600_302600_NS6detail15normal_iteratorINS9_10device_ptrIfEEEESE_fNS9_4plusIiEEfEEDaPvRmT3_T4_T5_mT6_P12ihipStream_tbENKUlT_T0_E_clISt17integral_constantIbLb0EEST_IbLb1EEEEDaSP_SQ_EUlSP_E_NS1_11comp_targetILNS1_3genE2ELNS1_11target_archE906ELNS1_3gpuE6ELNS1_3repE0EEENS1_30default_config_static_selectorELNS0_4arch9wavefront6targetE1EEEvT1_
                                        ; -- End function
	.section	.AMDGPU.csdata,"",@progbits
; Kernel info:
; codeLenInByte = 0
; NumSgprs: 4
; NumVgprs: 0
; NumAgprs: 0
; TotalNumVgprs: 0
; ScratchSize: 0
; MemoryBound: 0
; FloatMode: 240
; IeeeMode: 1
; LDSByteSize: 0 bytes/workgroup (compile time only)
; SGPRBlocks: 0
; VGPRBlocks: 0
; NumSGPRsForWavesPerEU: 4
; NumVGPRsForWavesPerEU: 1
; AccumOffset: 4
; Occupancy: 8
; WaveLimiterHint : 0
; COMPUTE_PGM_RSRC2:SCRATCH_EN: 0
; COMPUTE_PGM_RSRC2:USER_SGPR: 6
; COMPUTE_PGM_RSRC2:TRAP_HANDLER: 0
; COMPUTE_PGM_RSRC2:TGID_X_EN: 1
; COMPUTE_PGM_RSRC2:TGID_Y_EN: 0
; COMPUTE_PGM_RSRC2:TGID_Z_EN: 0
; COMPUTE_PGM_RSRC2:TIDIG_COMP_CNT: 0
; COMPUTE_PGM_RSRC3_GFX90A:ACCUM_OFFSET: 0
; COMPUTE_PGM_RSRC3_GFX90A:TG_SPLIT: 0
	.section	.text._ZN7rocprim17ROCPRIM_400000_NS6detail17trampoline_kernelINS0_14default_configENS1_20scan_config_selectorIfEEZZNS1_9scan_implILNS1_25lookback_scan_determinismE0ELb0ELb0ES3_N6thrust23THRUST_200600_302600_NS6detail15normal_iteratorINS9_10device_ptrIfEEEESE_fNS9_4plusIiEEfEEDaPvRmT3_T4_T5_mT6_P12ihipStream_tbENKUlT_T0_E_clISt17integral_constantIbLb0EEST_IbLb1EEEEDaSP_SQ_EUlSP_E_NS1_11comp_targetILNS1_3genE10ELNS1_11target_archE1201ELNS1_3gpuE5ELNS1_3repE0EEENS1_30default_config_static_selectorELNS0_4arch9wavefront6targetE1EEEvT1_,"axG",@progbits,_ZN7rocprim17ROCPRIM_400000_NS6detail17trampoline_kernelINS0_14default_configENS1_20scan_config_selectorIfEEZZNS1_9scan_implILNS1_25lookback_scan_determinismE0ELb0ELb0ES3_N6thrust23THRUST_200600_302600_NS6detail15normal_iteratorINS9_10device_ptrIfEEEESE_fNS9_4plusIiEEfEEDaPvRmT3_T4_T5_mT6_P12ihipStream_tbENKUlT_T0_E_clISt17integral_constantIbLb0EEST_IbLb1EEEEDaSP_SQ_EUlSP_E_NS1_11comp_targetILNS1_3genE10ELNS1_11target_archE1201ELNS1_3gpuE5ELNS1_3repE0EEENS1_30default_config_static_selectorELNS0_4arch9wavefront6targetE1EEEvT1_,comdat
	.protected	_ZN7rocprim17ROCPRIM_400000_NS6detail17trampoline_kernelINS0_14default_configENS1_20scan_config_selectorIfEEZZNS1_9scan_implILNS1_25lookback_scan_determinismE0ELb0ELb0ES3_N6thrust23THRUST_200600_302600_NS6detail15normal_iteratorINS9_10device_ptrIfEEEESE_fNS9_4plusIiEEfEEDaPvRmT3_T4_T5_mT6_P12ihipStream_tbENKUlT_T0_E_clISt17integral_constantIbLb0EEST_IbLb1EEEEDaSP_SQ_EUlSP_E_NS1_11comp_targetILNS1_3genE10ELNS1_11target_archE1201ELNS1_3gpuE5ELNS1_3repE0EEENS1_30default_config_static_selectorELNS0_4arch9wavefront6targetE1EEEvT1_ ; -- Begin function _ZN7rocprim17ROCPRIM_400000_NS6detail17trampoline_kernelINS0_14default_configENS1_20scan_config_selectorIfEEZZNS1_9scan_implILNS1_25lookback_scan_determinismE0ELb0ELb0ES3_N6thrust23THRUST_200600_302600_NS6detail15normal_iteratorINS9_10device_ptrIfEEEESE_fNS9_4plusIiEEfEEDaPvRmT3_T4_T5_mT6_P12ihipStream_tbENKUlT_T0_E_clISt17integral_constantIbLb0EEST_IbLb1EEEEDaSP_SQ_EUlSP_E_NS1_11comp_targetILNS1_3genE10ELNS1_11target_archE1201ELNS1_3gpuE5ELNS1_3repE0EEENS1_30default_config_static_selectorELNS0_4arch9wavefront6targetE1EEEvT1_
	.globl	_ZN7rocprim17ROCPRIM_400000_NS6detail17trampoline_kernelINS0_14default_configENS1_20scan_config_selectorIfEEZZNS1_9scan_implILNS1_25lookback_scan_determinismE0ELb0ELb0ES3_N6thrust23THRUST_200600_302600_NS6detail15normal_iteratorINS9_10device_ptrIfEEEESE_fNS9_4plusIiEEfEEDaPvRmT3_T4_T5_mT6_P12ihipStream_tbENKUlT_T0_E_clISt17integral_constantIbLb0EEST_IbLb1EEEEDaSP_SQ_EUlSP_E_NS1_11comp_targetILNS1_3genE10ELNS1_11target_archE1201ELNS1_3gpuE5ELNS1_3repE0EEENS1_30default_config_static_selectorELNS0_4arch9wavefront6targetE1EEEvT1_
	.p2align	8
	.type	_ZN7rocprim17ROCPRIM_400000_NS6detail17trampoline_kernelINS0_14default_configENS1_20scan_config_selectorIfEEZZNS1_9scan_implILNS1_25lookback_scan_determinismE0ELb0ELb0ES3_N6thrust23THRUST_200600_302600_NS6detail15normal_iteratorINS9_10device_ptrIfEEEESE_fNS9_4plusIiEEfEEDaPvRmT3_T4_T5_mT6_P12ihipStream_tbENKUlT_T0_E_clISt17integral_constantIbLb0EEST_IbLb1EEEEDaSP_SQ_EUlSP_E_NS1_11comp_targetILNS1_3genE10ELNS1_11target_archE1201ELNS1_3gpuE5ELNS1_3repE0EEENS1_30default_config_static_selectorELNS0_4arch9wavefront6targetE1EEEvT1_,@function
_ZN7rocprim17ROCPRIM_400000_NS6detail17trampoline_kernelINS0_14default_configENS1_20scan_config_selectorIfEEZZNS1_9scan_implILNS1_25lookback_scan_determinismE0ELb0ELb0ES3_N6thrust23THRUST_200600_302600_NS6detail15normal_iteratorINS9_10device_ptrIfEEEESE_fNS9_4plusIiEEfEEDaPvRmT3_T4_T5_mT6_P12ihipStream_tbENKUlT_T0_E_clISt17integral_constantIbLb0EEST_IbLb1EEEEDaSP_SQ_EUlSP_E_NS1_11comp_targetILNS1_3genE10ELNS1_11target_archE1201ELNS1_3gpuE5ELNS1_3repE0EEENS1_30default_config_static_selectorELNS0_4arch9wavefront6targetE1EEEvT1_: ; @_ZN7rocprim17ROCPRIM_400000_NS6detail17trampoline_kernelINS0_14default_configENS1_20scan_config_selectorIfEEZZNS1_9scan_implILNS1_25lookback_scan_determinismE0ELb0ELb0ES3_N6thrust23THRUST_200600_302600_NS6detail15normal_iteratorINS9_10device_ptrIfEEEESE_fNS9_4plusIiEEfEEDaPvRmT3_T4_T5_mT6_P12ihipStream_tbENKUlT_T0_E_clISt17integral_constantIbLb0EEST_IbLb1EEEEDaSP_SQ_EUlSP_E_NS1_11comp_targetILNS1_3genE10ELNS1_11target_archE1201ELNS1_3gpuE5ELNS1_3repE0EEENS1_30default_config_static_selectorELNS0_4arch9wavefront6targetE1EEEvT1_
; %bb.0:
	.section	.rodata,"a",@progbits
	.p2align	6, 0x0
	.amdhsa_kernel _ZN7rocprim17ROCPRIM_400000_NS6detail17trampoline_kernelINS0_14default_configENS1_20scan_config_selectorIfEEZZNS1_9scan_implILNS1_25lookback_scan_determinismE0ELb0ELb0ES3_N6thrust23THRUST_200600_302600_NS6detail15normal_iteratorINS9_10device_ptrIfEEEESE_fNS9_4plusIiEEfEEDaPvRmT3_T4_T5_mT6_P12ihipStream_tbENKUlT_T0_E_clISt17integral_constantIbLb0EEST_IbLb1EEEEDaSP_SQ_EUlSP_E_NS1_11comp_targetILNS1_3genE10ELNS1_11target_archE1201ELNS1_3gpuE5ELNS1_3repE0EEENS1_30default_config_static_selectorELNS0_4arch9wavefront6targetE1EEEvT1_
		.amdhsa_group_segment_fixed_size 0
		.amdhsa_private_segment_fixed_size 0
		.amdhsa_kernarg_size 96
		.amdhsa_user_sgpr_count 6
		.amdhsa_user_sgpr_private_segment_buffer 1
		.amdhsa_user_sgpr_dispatch_ptr 0
		.amdhsa_user_sgpr_queue_ptr 0
		.amdhsa_user_sgpr_kernarg_segment_ptr 1
		.amdhsa_user_sgpr_dispatch_id 0
		.amdhsa_user_sgpr_flat_scratch_init 0
		.amdhsa_user_sgpr_kernarg_preload_length 0
		.amdhsa_user_sgpr_kernarg_preload_offset 0
		.amdhsa_user_sgpr_private_segment_size 0
		.amdhsa_uses_dynamic_stack 0
		.amdhsa_system_sgpr_private_segment_wavefront_offset 0
		.amdhsa_system_sgpr_workgroup_id_x 1
		.amdhsa_system_sgpr_workgroup_id_y 0
		.amdhsa_system_sgpr_workgroup_id_z 0
		.amdhsa_system_sgpr_workgroup_info 0
		.amdhsa_system_vgpr_workitem_id 0
		.amdhsa_next_free_vgpr 1
		.amdhsa_next_free_sgpr 0
		.amdhsa_accum_offset 4
		.amdhsa_reserve_vcc 0
		.amdhsa_reserve_flat_scratch 0
		.amdhsa_float_round_mode_32 0
		.amdhsa_float_round_mode_16_64 0
		.amdhsa_float_denorm_mode_32 3
		.amdhsa_float_denorm_mode_16_64 3
		.amdhsa_dx10_clamp 1
		.amdhsa_ieee_mode 1
		.amdhsa_fp16_overflow 0
		.amdhsa_tg_split 0
		.amdhsa_exception_fp_ieee_invalid_op 0
		.amdhsa_exception_fp_denorm_src 0
		.amdhsa_exception_fp_ieee_div_zero 0
		.amdhsa_exception_fp_ieee_overflow 0
		.amdhsa_exception_fp_ieee_underflow 0
		.amdhsa_exception_fp_ieee_inexact 0
		.amdhsa_exception_int_div_zero 0
	.end_amdhsa_kernel
	.section	.text._ZN7rocprim17ROCPRIM_400000_NS6detail17trampoline_kernelINS0_14default_configENS1_20scan_config_selectorIfEEZZNS1_9scan_implILNS1_25lookback_scan_determinismE0ELb0ELb0ES3_N6thrust23THRUST_200600_302600_NS6detail15normal_iteratorINS9_10device_ptrIfEEEESE_fNS9_4plusIiEEfEEDaPvRmT3_T4_T5_mT6_P12ihipStream_tbENKUlT_T0_E_clISt17integral_constantIbLb0EEST_IbLb1EEEEDaSP_SQ_EUlSP_E_NS1_11comp_targetILNS1_3genE10ELNS1_11target_archE1201ELNS1_3gpuE5ELNS1_3repE0EEENS1_30default_config_static_selectorELNS0_4arch9wavefront6targetE1EEEvT1_,"axG",@progbits,_ZN7rocprim17ROCPRIM_400000_NS6detail17trampoline_kernelINS0_14default_configENS1_20scan_config_selectorIfEEZZNS1_9scan_implILNS1_25lookback_scan_determinismE0ELb0ELb0ES3_N6thrust23THRUST_200600_302600_NS6detail15normal_iteratorINS9_10device_ptrIfEEEESE_fNS9_4plusIiEEfEEDaPvRmT3_T4_T5_mT6_P12ihipStream_tbENKUlT_T0_E_clISt17integral_constantIbLb0EEST_IbLb1EEEEDaSP_SQ_EUlSP_E_NS1_11comp_targetILNS1_3genE10ELNS1_11target_archE1201ELNS1_3gpuE5ELNS1_3repE0EEENS1_30default_config_static_selectorELNS0_4arch9wavefront6targetE1EEEvT1_,comdat
.Lfunc_end1556:
	.size	_ZN7rocprim17ROCPRIM_400000_NS6detail17trampoline_kernelINS0_14default_configENS1_20scan_config_selectorIfEEZZNS1_9scan_implILNS1_25lookback_scan_determinismE0ELb0ELb0ES3_N6thrust23THRUST_200600_302600_NS6detail15normal_iteratorINS9_10device_ptrIfEEEESE_fNS9_4plusIiEEfEEDaPvRmT3_T4_T5_mT6_P12ihipStream_tbENKUlT_T0_E_clISt17integral_constantIbLb0EEST_IbLb1EEEEDaSP_SQ_EUlSP_E_NS1_11comp_targetILNS1_3genE10ELNS1_11target_archE1201ELNS1_3gpuE5ELNS1_3repE0EEENS1_30default_config_static_selectorELNS0_4arch9wavefront6targetE1EEEvT1_, .Lfunc_end1556-_ZN7rocprim17ROCPRIM_400000_NS6detail17trampoline_kernelINS0_14default_configENS1_20scan_config_selectorIfEEZZNS1_9scan_implILNS1_25lookback_scan_determinismE0ELb0ELb0ES3_N6thrust23THRUST_200600_302600_NS6detail15normal_iteratorINS9_10device_ptrIfEEEESE_fNS9_4plusIiEEfEEDaPvRmT3_T4_T5_mT6_P12ihipStream_tbENKUlT_T0_E_clISt17integral_constantIbLb0EEST_IbLb1EEEEDaSP_SQ_EUlSP_E_NS1_11comp_targetILNS1_3genE10ELNS1_11target_archE1201ELNS1_3gpuE5ELNS1_3repE0EEENS1_30default_config_static_selectorELNS0_4arch9wavefront6targetE1EEEvT1_
                                        ; -- End function
	.section	.AMDGPU.csdata,"",@progbits
; Kernel info:
; codeLenInByte = 0
; NumSgprs: 4
; NumVgprs: 0
; NumAgprs: 0
; TotalNumVgprs: 0
; ScratchSize: 0
; MemoryBound: 0
; FloatMode: 240
; IeeeMode: 1
; LDSByteSize: 0 bytes/workgroup (compile time only)
; SGPRBlocks: 0
; VGPRBlocks: 0
; NumSGPRsForWavesPerEU: 4
; NumVGPRsForWavesPerEU: 1
; AccumOffset: 4
; Occupancy: 8
; WaveLimiterHint : 0
; COMPUTE_PGM_RSRC2:SCRATCH_EN: 0
; COMPUTE_PGM_RSRC2:USER_SGPR: 6
; COMPUTE_PGM_RSRC2:TRAP_HANDLER: 0
; COMPUTE_PGM_RSRC2:TGID_X_EN: 1
; COMPUTE_PGM_RSRC2:TGID_Y_EN: 0
; COMPUTE_PGM_RSRC2:TGID_Z_EN: 0
; COMPUTE_PGM_RSRC2:TIDIG_COMP_CNT: 0
; COMPUTE_PGM_RSRC3_GFX90A:ACCUM_OFFSET: 0
; COMPUTE_PGM_RSRC3_GFX90A:TG_SPLIT: 0
	.section	.text._ZN7rocprim17ROCPRIM_400000_NS6detail17trampoline_kernelINS0_14default_configENS1_20scan_config_selectorIfEEZZNS1_9scan_implILNS1_25lookback_scan_determinismE0ELb0ELb0ES3_N6thrust23THRUST_200600_302600_NS6detail15normal_iteratorINS9_10device_ptrIfEEEESE_fNS9_4plusIiEEfEEDaPvRmT3_T4_T5_mT6_P12ihipStream_tbENKUlT_T0_E_clISt17integral_constantIbLb0EEST_IbLb1EEEEDaSP_SQ_EUlSP_E_NS1_11comp_targetILNS1_3genE10ELNS1_11target_archE1200ELNS1_3gpuE4ELNS1_3repE0EEENS1_30default_config_static_selectorELNS0_4arch9wavefront6targetE1EEEvT1_,"axG",@progbits,_ZN7rocprim17ROCPRIM_400000_NS6detail17trampoline_kernelINS0_14default_configENS1_20scan_config_selectorIfEEZZNS1_9scan_implILNS1_25lookback_scan_determinismE0ELb0ELb0ES3_N6thrust23THRUST_200600_302600_NS6detail15normal_iteratorINS9_10device_ptrIfEEEESE_fNS9_4plusIiEEfEEDaPvRmT3_T4_T5_mT6_P12ihipStream_tbENKUlT_T0_E_clISt17integral_constantIbLb0EEST_IbLb1EEEEDaSP_SQ_EUlSP_E_NS1_11comp_targetILNS1_3genE10ELNS1_11target_archE1200ELNS1_3gpuE4ELNS1_3repE0EEENS1_30default_config_static_selectorELNS0_4arch9wavefront6targetE1EEEvT1_,comdat
	.protected	_ZN7rocprim17ROCPRIM_400000_NS6detail17trampoline_kernelINS0_14default_configENS1_20scan_config_selectorIfEEZZNS1_9scan_implILNS1_25lookback_scan_determinismE0ELb0ELb0ES3_N6thrust23THRUST_200600_302600_NS6detail15normal_iteratorINS9_10device_ptrIfEEEESE_fNS9_4plusIiEEfEEDaPvRmT3_T4_T5_mT6_P12ihipStream_tbENKUlT_T0_E_clISt17integral_constantIbLb0EEST_IbLb1EEEEDaSP_SQ_EUlSP_E_NS1_11comp_targetILNS1_3genE10ELNS1_11target_archE1200ELNS1_3gpuE4ELNS1_3repE0EEENS1_30default_config_static_selectorELNS0_4arch9wavefront6targetE1EEEvT1_ ; -- Begin function _ZN7rocprim17ROCPRIM_400000_NS6detail17trampoline_kernelINS0_14default_configENS1_20scan_config_selectorIfEEZZNS1_9scan_implILNS1_25lookback_scan_determinismE0ELb0ELb0ES3_N6thrust23THRUST_200600_302600_NS6detail15normal_iteratorINS9_10device_ptrIfEEEESE_fNS9_4plusIiEEfEEDaPvRmT3_T4_T5_mT6_P12ihipStream_tbENKUlT_T0_E_clISt17integral_constantIbLb0EEST_IbLb1EEEEDaSP_SQ_EUlSP_E_NS1_11comp_targetILNS1_3genE10ELNS1_11target_archE1200ELNS1_3gpuE4ELNS1_3repE0EEENS1_30default_config_static_selectorELNS0_4arch9wavefront6targetE1EEEvT1_
	.globl	_ZN7rocprim17ROCPRIM_400000_NS6detail17trampoline_kernelINS0_14default_configENS1_20scan_config_selectorIfEEZZNS1_9scan_implILNS1_25lookback_scan_determinismE0ELb0ELb0ES3_N6thrust23THRUST_200600_302600_NS6detail15normal_iteratorINS9_10device_ptrIfEEEESE_fNS9_4plusIiEEfEEDaPvRmT3_T4_T5_mT6_P12ihipStream_tbENKUlT_T0_E_clISt17integral_constantIbLb0EEST_IbLb1EEEEDaSP_SQ_EUlSP_E_NS1_11comp_targetILNS1_3genE10ELNS1_11target_archE1200ELNS1_3gpuE4ELNS1_3repE0EEENS1_30default_config_static_selectorELNS0_4arch9wavefront6targetE1EEEvT1_
	.p2align	8
	.type	_ZN7rocprim17ROCPRIM_400000_NS6detail17trampoline_kernelINS0_14default_configENS1_20scan_config_selectorIfEEZZNS1_9scan_implILNS1_25lookback_scan_determinismE0ELb0ELb0ES3_N6thrust23THRUST_200600_302600_NS6detail15normal_iteratorINS9_10device_ptrIfEEEESE_fNS9_4plusIiEEfEEDaPvRmT3_T4_T5_mT6_P12ihipStream_tbENKUlT_T0_E_clISt17integral_constantIbLb0EEST_IbLb1EEEEDaSP_SQ_EUlSP_E_NS1_11comp_targetILNS1_3genE10ELNS1_11target_archE1200ELNS1_3gpuE4ELNS1_3repE0EEENS1_30default_config_static_selectorELNS0_4arch9wavefront6targetE1EEEvT1_,@function
_ZN7rocprim17ROCPRIM_400000_NS6detail17trampoline_kernelINS0_14default_configENS1_20scan_config_selectorIfEEZZNS1_9scan_implILNS1_25lookback_scan_determinismE0ELb0ELb0ES3_N6thrust23THRUST_200600_302600_NS6detail15normal_iteratorINS9_10device_ptrIfEEEESE_fNS9_4plusIiEEfEEDaPvRmT3_T4_T5_mT6_P12ihipStream_tbENKUlT_T0_E_clISt17integral_constantIbLb0EEST_IbLb1EEEEDaSP_SQ_EUlSP_E_NS1_11comp_targetILNS1_3genE10ELNS1_11target_archE1200ELNS1_3gpuE4ELNS1_3repE0EEENS1_30default_config_static_selectorELNS0_4arch9wavefront6targetE1EEEvT1_: ; @_ZN7rocprim17ROCPRIM_400000_NS6detail17trampoline_kernelINS0_14default_configENS1_20scan_config_selectorIfEEZZNS1_9scan_implILNS1_25lookback_scan_determinismE0ELb0ELb0ES3_N6thrust23THRUST_200600_302600_NS6detail15normal_iteratorINS9_10device_ptrIfEEEESE_fNS9_4plusIiEEfEEDaPvRmT3_T4_T5_mT6_P12ihipStream_tbENKUlT_T0_E_clISt17integral_constantIbLb0EEST_IbLb1EEEEDaSP_SQ_EUlSP_E_NS1_11comp_targetILNS1_3genE10ELNS1_11target_archE1200ELNS1_3gpuE4ELNS1_3repE0EEENS1_30default_config_static_selectorELNS0_4arch9wavefront6targetE1EEEvT1_
; %bb.0:
	.section	.rodata,"a",@progbits
	.p2align	6, 0x0
	.amdhsa_kernel _ZN7rocprim17ROCPRIM_400000_NS6detail17trampoline_kernelINS0_14default_configENS1_20scan_config_selectorIfEEZZNS1_9scan_implILNS1_25lookback_scan_determinismE0ELb0ELb0ES3_N6thrust23THRUST_200600_302600_NS6detail15normal_iteratorINS9_10device_ptrIfEEEESE_fNS9_4plusIiEEfEEDaPvRmT3_T4_T5_mT6_P12ihipStream_tbENKUlT_T0_E_clISt17integral_constantIbLb0EEST_IbLb1EEEEDaSP_SQ_EUlSP_E_NS1_11comp_targetILNS1_3genE10ELNS1_11target_archE1200ELNS1_3gpuE4ELNS1_3repE0EEENS1_30default_config_static_selectorELNS0_4arch9wavefront6targetE1EEEvT1_
		.amdhsa_group_segment_fixed_size 0
		.amdhsa_private_segment_fixed_size 0
		.amdhsa_kernarg_size 96
		.amdhsa_user_sgpr_count 6
		.amdhsa_user_sgpr_private_segment_buffer 1
		.amdhsa_user_sgpr_dispatch_ptr 0
		.amdhsa_user_sgpr_queue_ptr 0
		.amdhsa_user_sgpr_kernarg_segment_ptr 1
		.amdhsa_user_sgpr_dispatch_id 0
		.amdhsa_user_sgpr_flat_scratch_init 0
		.amdhsa_user_sgpr_kernarg_preload_length 0
		.amdhsa_user_sgpr_kernarg_preload_offset 0
		.amdhsa_user_sgpr_private_segment_size 0
		.amdhsa_uses_dynamic_stack 0
		.amdhsa_system_sgpr_private_segment_wavefront_offset 0
		.amdhsa_system_sgpr_workgroup_id_x 1
		.amdhsa_system_sgpr_workgroup_id_y 0
		.amdhsa_system_sgpr_workgroup_id_z 0
		.amdhsa_system_sgpr_workgroup_info 0
		.amdhsa_system_vgpr_workitem_id 0
		.amdhsa_next_free_vgpr 1
		.amdhsa_next_free_sgpr 0
		.amdhsa_accum_offset 4
		.amdhsa_reserve_vcc 0
		.amdhsa_reserve_flat_scratch 0
		.amdhsa_float_round_mode_32 0
		.amdhsa_float_round_mode_16_64 0
		.amdhsa_float_denorm_mode_32 3
		.amdhsa_float_denorm_mode_16_64 3
		.amdhsa_dx10_clamp 1
		.amdhsa_ieee_mode 1
		.amdhsa_fp16_overflow 0
		.amdhsa_tg_split 0
		.amdhsa_exception_fp_ieee_invalid_op 0
		.amdhsa_exception_fp_denorm_src 0
		.amdhsa_exception_fp_ieee_div_zero 0
		.amdhsa_exception_fp_ieee_overflow 0
		.amdhsa_exception_fp_ieee_underflow 0
		.amdhsa_exception_fp_ieee_inexact 0
		.amdhsa_exception_int_div_zero 0
	.end_amdhsa_kernel
	.section	.text._ZN7rocprim17ROCPRIM_400000_NS6detail17trampoline_kernelINS0_14default_configENS1_20scan_config_selectorIfEEZZNS1_9scan_implILNS1_25lookback_scan_determinismE0ELb0ELb0ES3_N6thrust23THRUST_200600_302600_NS6detail15normal_iteratorINS9_10device_ptrIfEEEESE_fNS9_4plusIiEEfEEDaPvRmT3_T4_T5_mT6_P12ihipStream_tbENKUlT_T0_E_clISt17integral_constantIbLb0EEST_IbLb1EEEEDaSP_SQ_EUlSP_E_NS1_11comp_targetILNS1_3genE10ELNS1_11target_archE1200ELNS1_3gpuE4ELNS1_3repE0EEENS1_30default_config_static_selectorELNS0_4arch9wavefront6targetE1EEEvT1_,"axG",@progbits,_ZN7rocprim17ROCPRIM_400000_NS6detail17trampoline_kernelINS0_14default_configENS1_20scan_config_selectorIfEEZZNS1_9scan_implILNS1_25lookback_scan_determinismE0ELb0ELb0ES3_N6thrust23THRUST_200600_302600_NS6detail15normal_iteratorINS9_10device_ptrIfEEEESE_fNS9_4plusIiEEfEEDaPvRmT3_T4_T5_mT6_P12ihipStream_tbENKUlT_T0_E_clISt17integral_constantIbLb0EEST_IbLb1EEEEDaSP_SQ_EUlSP_E_NS1_11comp_targetILNS1_3genE10ELNS1_11target_archE1200ELNS1_3gpuE4ELNS1_3repE0EEENS1_30default_config_static_selectorELNS0_4arch9wavefront6targetE1EEEvT1_,comdat
.Lfunc_end1557:
	.size	_ZN7rocprim17ROCPRIM_400000_NS6detail17trampoline_kernelINS0_14default_configENS1_20scan_config_selectorIfEEZZNS1_9scan_implILNS1_25lookback_scan_determinismE0ELb0ELb0ES3_N6thrust23THRUST_200600_302600_NS6detail15normal_iteratorINS9_10device_ptrIfEEEESE_fNS9_4plusIiEEfEEDaPvRmT3_T4_T5_mT6_P12ihipStream_tbENKUlT_T0_E_clISt17integral_constantIbLb0EEST_IbLb1EEEEDaSP_SQ_EUlSP_E_NS1_11comp_targetILNS1_3genE10ELNS1_11target_archE1200ELNS1_3gpuE4ELNS1_3repE0EEENS1_30default_config_static_selectorELNS0_4arch9wavefront6targetE1EEEvT1_, .Lfunc_end1557-_ZN7rocprim17ROCPRIM_400000_NS6detail17trampoline_kernelINS0_14default_configENS1_20scan_config_selectorIfEEZZNS1_9scan_implILNS1_25lookback_scan_determinismE0ELb0ELb0ES3_N6thrust23THRUST_200600_302600_NS6detail15normal_iteratorINS9_10device_ptrIfEEEESE_fNS9_4plusIiEEfEEDaPvRmT3_T4_T5_mT6_P12ihipStream_tbENKUlT_T0_E_clISt17integral_constantIbLb0EEST_IbLb1EEEEDaSP_SQ_EUlSP_E_NS1_11comp_targetILNS1_3genE10ELNS1_11target_archE1200ELNS1_3gpuE4ELNS1_3repE0EEENS1_30default_config_static_selectorELNS0_4arch9wavefront6targetE1EEEvT1_
                                        ; -- End function
	.section	.AMDGPU.csdata,"",@progbits
; Kernel info:
; codeLenInByte = 0
; NumSgprs: 4
; NumVgprs: 0
; NumAgprs: 0
; TotalNumVgprs: 0
; ScratchSize: 0
; MemoryBound: 0
; FloatMode: 240
; IeeeMode: 1
; LDSByteSize: 0 bytes/workgroup (compile time only)
; SGPRBlocks: 0
; VGPRBlocks: 0
; NumSGPRsForWavesPerEU: 4
; NumVGPRsForWavesPerEU: 1
; AccumOffset: 4
; Occupancy: 8
; WaveLimiterHint : 0
; COMPUTE_PGM_RSRC2:SCRATCH_EN: 0
; COMPUTE_PGM_RSRC2:USER_SGPR: 6
; COMPUTE_PGM_RSRC2:TRAP_HANDLER: 0
; COMPUTE_PGM_RSRC2:TGID_X_EN: 1
; COMPUTE_PGM_RSRC2:TGID_Y_EN: 0
; COMPUTE_PGM_RSRC2:TGID_Z_EN: 0
; COMPUTE_PGM_RSRC2:TIDIG_COMP_CNT: 0
; COMPUTE_PGM_RSRC3_GFX90A:ACCUM_OFFSET: 0
; COMPUTE_PGM_RSRC3_GFX90A:TG_SPLIT: 0
	.section	.text._ZN7rocprim17ROCPRIM_400000_NS6detail17trampoline_kernelINS0_14default_configENS1_20scan_config_selectorIfEEZZNS1_9scan_implILNS1_25lookback_scan_determinismE0ELb0ELb0ES3_N6thrust23THRUST_200600_302600_NS6detail15normal_iteratorINS9_10device_ptrIfEEEESE_fNS9_4plusIiEEfEEDaPvRmT3_T4_T5_mT6_P12ihipStream_tbENKUlT_T0_E_clISt17integral_constantIbLb0EEST_IbLb1EEEEDaSP_SQ_EUlSP_E_NS1_11comp_targetILNS1_3genE9ELNS1_11target_archE1100ELNS1_3gpuE3ELNS1_3repE0EEENS1_30default_config_static_selectorELNS0_4arch9wavefront6targetE1EEEvT1_,"axG",@progbits,_ZN7rocprim17ROCPRIM_400000_NS6detail17trampoline_kernelINS0_14default_configENS1_20scan_config_selectorIfEEZZNS1_9scan_implILNS1_25lookback_scan_determinismE0ELb0ELb0ES3_N6thrust23THRUST_200600_302600_NS6detail15normal_iteratorINS9_10device_ptrIfEEEESE_fNS9_4plusIiEEfEEDaPvRmT3_T4_T5_mT6_P12ihipStream_tbENKUlT_T0_E_clISt17integral_constantIbLb0EEST_IbLb1EEEEDaSP_SQ_EUlSP_E_NS1_11comp_targetILNS1_3genE9ELNS1_11target_archE1100ELNS1_3gpuE3ELNS1_3repE0EEENS1_30default_config_static_selectorELNS0_4arch9wavefront6targetE1EEEvT1_,comdat
	.protected	_ZN7rocprim17ROCPRIM_400000_NS6detail17trampoline_kernelINS0_14default_configENS1_20scan_config_selectorIfEEZZNS1_9scan_implILNS1_25lookback_scan_determinismE0ELb0ELb0ES3_N6thrust23THRUST_200600_302600_NS6detail15normal_iteratorINS9_10device_ptrIfEEEESE_fNS9_4plusIiEEfEEDaPvRmT3_T4_T5_mT6_P12ihipStream_tbENKUlT_T0_E_clISt17integral_constantIbLb0EEST_IbLb1EEEEDaSP_SQ_EUlSP_E_NS1_11comp_targetILNS1_3genE9ELNS1_11target_archE1100ELNS1_3gpuE3ELNS1_3repE0EEENS1_30default_config_static_selectorELNS0_4arch9wavefront6targetE1EEEvT1_ ; -- Begin function _ZN7rocprim17ROCPRIM_400000_NS6detail17trampoline_kernelINS0_14default_configENS1_20scan_config_selectorIfEEZZNS1_9scan_implILNS1_25lookback_scan_determinismE0ELb0ELb0ES3_N6thrust23THRUST_200600_302600_NS6detail15normal_iteratorINS9_10device_ptrIfEEEESE_fNS9_4plusIiEEfEEDaPvRmT3_T4_T5_mT6_P12ihipStream_tbENKUlT_T0_E_clISt17integral_constantIbLb0EEST_IbLb1EEEEDaSP_SQ_EUlSP_E_NS1_11comp_targetILNS1_3genE9ELNS1_11target_archE1100ELNS1_3gpuE3ELNS1_3repE0EEENS1_30default_config_static_selectorELNS0_4arch9wavefront6targetE1EEEvT1_
	.globl	_ZN7rocprim17ROCPRIM_400000_NS6detail17trampoline_kernelINS0_14default_configENS1_20scan_config_selectorIfEEZZNS1_9scan_implILNS1_25lookback_scan_determinismE0ELb0ELb0ES3_N6thrust23THRUST_200600_302600_NS6detail15normal_iteratorINS9_10device_ptrIfEEEESE_fNS9_4plusIiEEfEEDaPvRmT3_T4_T5_mT6_P12ihipStream_tbENKUlT_T0_E_clISt17integral_constantIbLb0EEST_IbLb1EEEEDaSP_SQ_EUlSP_E_NS1_11comp_targetILNS1_3genE9ELNS1_11target_archE1100ELNS1_3gpuE3ELNS1_3repE0EEENS1_30default_config_static_selectorELNS0_4arch9wavefront6targetE1EEEvT1_
	.p2align	8
	.type	_ZN7rocprim17ROCPRIM_400000_NS6detail17trampoline_kernelINS0_14default_configENS1_20scan_config_selectorIfEEZZNS1_9scan_implILNS1_25lookback_scan_determinismE0ELb0ELb0ES3_N6thrust23THRUST_200600_302600_NS6detail15normal_iteratorINS9_10device_ptrIfEEEESE_fNS9_4plusIiEEfEEDaPvRmT3_T4_T5_mT6_P12ihipStream_tbENKUlT_T0_E_clISt17integral_constantIbLb0EEST_IbLb1EEEEDaSP_SQ_EUlSP_E_NS1_11comp_targetILNS1_3genE9ELNS1_11target_archE1100ELNS1_3gpuE3ELNS1_3repE0EEENS1_30default_config_static_selectorELNS0_4arch9wavefront6targetE1EEEvT1_,@function
_ZN7rocprim17ROCPRIM_400000_NS6detail17trampoline_kernelINS0_14default_configENS1_20scan_config_selectorIfEEZZNS1_9scan_implILNS1_25lookback_scan_determinismE0ELb0ELb0ES3_N6thrust23THRUST_200600_302600_NS6detail15normal_iteratorINS9_10device_ptrIfEEEESE_fNS9_4plusIiEEfEEDaPvRmT3_T4_T5_mT6_P12ihipStream_tbENKUlT_T0_E_clISt17integral_constantIbLb0EEST_IbLb1EEEEDaSP_SQ_EUlSP_E_NS1_11comp_targetILNS1_3genE9ELNS1_11target_archE1100ELNS1_3gpuE3ELNS1_3repE0EEENS1_30default_config_static_selectorELNS0_4arch9wavefront6targetE1EEEvT1_: ; @_ZN7rocprim17ROCPRIM_400000_NS6detail17trampoline_kernelINS0_14default_configENS1_20scan_config_selectorIfEEZZNS1_9scan_implILNS1_25lookback_scan_determinismE0ELb0ELb0ES3_N6thrust23THRUST_200600_302600_NS6detail15normal_iteratorINS9_10device_ptrIfEEEESE_fNS9_4plusIiEEfEEDaPvRmT3_T4_T5_mT6_P12ihipStream_tbENKUlT_T0_E_clISt17integral_constantIbLb0EEST_IbLb1EEEEDaSP_SQ_EUlSP_E_NS1_11comp_targetILNS1_3genE9ELNS1_11target_archE1100ELNS1_3gpuE3ELNS1_3repE0EEENS1_30default_config_static_selectorELNS0_4arch9wavefront6targetE1EEEvT1_
; %bb.0:
	.section	.rodata,"a",@progbits
	.p2align	6, 0x0
	.amdhsa_kernel _ZN7rocprim17ROCPRIM_400000_NS6detail17trampoline_kernelINS0_14default_configENS1_20scan_config_selectorIfEEZZNS1_9scan_implILNS1_25lookback_scan_determinismE0ELb0ELb0ES3_N6thrust23THRUST_200600_302600_NS6detail15normal_iteratorINS9_10device_ptrIfEEEESE_fNS9_4plusIiEEfEEDaPvRmT3_T4_T5_mT6_P12ihipStream_tbENKUlT_T0_E_clISt17integral_constantIbLb0EEST_IbLb1EEEEDaSP_SQ_EUlSP_E_NS1_11comp_targetILNS1_3genE9ELNS1_11target_archE1100ELNS1_3gpuE3ELNS1_3repE0EEENS1_30default_config_static_selectorELNS0_4arch9wavefront6targetE1EEEvT1_
		.amdhsa_group_segment_fixed_size 0
		.amdhsa_private_segment_fixed_size 0
		.amdhsa_kernarg_size 96
		.amdhsa_user_sgpr_count 6
		.amdhsa_user_sgpr_private_segment_buffer 1
		.amdhsa_user_sgpr_dispatch_ptr 0
		.amdhsa_user_sgpr_queue_ptr 0
		.amdhsa_user_sgpr_kernarg_segment_ptr 1
		.amdhsa_user_sgpr_dispatch_id 0
		.amdhsa_user_sgpr_flat_scratch_init 0
		.amdhsa_user_sgpr_kernarg_preload_length 0
		.amdhsa_user_sgpr_kernarg_preload_offset 0
		.amdhsa_user_sgpr_private_segment_size 0
		.amdhsa_uses_dynamic_stack 0
		.amdhsa_system_sgpr_private_segment_wavefront_offset 0
		.amdhsa_system_sgpr_workgroup_id_x 1
		.amdhsa_system_sgpr_workgroup_id_y 0
		.amdhsa_system_sgpr_workgroup_id_z 0
		.amdhsa_system_sgpr_workgroup_info 0
		.amdhsa_system_vgpr_workitem_id 0
		.amdhsa_next_free_vgpr 1
		.amdhsa_next_free_sgpr 0
		.amdhsa_accum_offset 4
		.amdhsa_reserve_vcc 0
		.amdhsa_reserve_flat_scratch 0
		.amdhsa_float_round_mode_32 0
		.amdhsa_float_round_mode_16_64 0
		.amdhsa_float_denorm_mode_32 3
		.amdhsa_float_denorm_mode_16_64 3
		.amdhsa_dx10_clamp 1
		.amdhsa_ieee_mode 1
		.amdhsa_fp16_overflow 0
		.amdhsa_tg_split 0
		.amdhsa_exception_fp_ieee_invalid_op 0
		.amdhsa_exception_fp_denorm_src 0
		.amdhsa_exception_fp_ieee_div_zero 0
		.amdhsa_exception_fp_ieee_overflow 0
		.amdhsa_exception_fp_ieee_underflow 0
		.amdhsa_exception_fp_ieee_inexact 0
		.amdhsa_exception_int_div_zero 0
	.end_amdhsa_kernel
	.section	.text._ZN7rocprim17ROCPRIM_400000_NS6detail17trampoline_kernelINS0_14default_configENS1_20scan_config_selectorIfEEZZNS1_9scan_implILNS1_25lookback_scan_determinismE0ELb0ELb0ES3_N6thrust23THRUST_200600_302600_NS6detail15normal_iteratorINS9_10device_ptrIfEEEESE_fNS9_4plusIiEEfEEDaPvRmT3_T4_T5_mT6_P12ihipStream_tbENKUlT_T0_E_clISt17integral_constantIbLb0EEST_IbLb1EEEEDaSP_SQ_EUlSP_E_NS1_11comp_targetILNS1_3genE9ELNS1_11target_archE1100ELNS1_3gpuE3ELNS1_3repE0EEENS1_30default_config_static_selectorELNS0_4arch9wavefront6targetE1EEEvT1_,"axG",@progbits,_ZN7rocprim17ROCPRIM_400000_NS6detail17trampoline_kernelINS0_14default_configENS1_20scan_config_selectorIfEEZZNS1_9scan_implILNS1_25lookback_scan_determinismE0ELb0ELb0ES3_N6thrust23THRUST_200600_302600_NS6detail15normal_iteratorINS9_10device_ptrIfEEEESE_fNS9_4plusIiEEfEEDaPvRmT3_T4_T5_mT6_P12ihipStream_tbENKUlT_T0_E_clISt17integral_constantIbLb0EEST_IbLb1EEEEDaSP_SQ_EUlSP_E_NS1_11comp_targetILNS1_3genE9ELNS1_11target_archE1100ELNS1_3gpuE3ELNS1_3repE0EEENS1_30default_config_static_selectorELNS0_4arch9wavefront6targetE1EEEvT1_,comdat
.Lfunc_end1558:
	.size	_ZN7rocprim17ROCPRIM_400000_NS6detail17trampoline_kernelINS0_14default_configENS1_20scan_config_selectorIfEEZZNS1_9scan_implILNS1_25lookback_scan_determinismE0ELb0ELb0ES3_N6thrust23THRUST_200600_302600_NS6detail15normal_iteratorINS9_10device_ptrIfEEEESE_fNS9_4plusIiEEfEEDaPvRmT3_T4_T5_mT6_P12ihipStream_tbENKUlT_T0_E_clISt17integral_constantIbLb0EEST_IbLb1EEEEDaSP_SQ_EUlSP_E_NS1_11comp_targetILNS1_3genE9ELNS1_11target_archE1100ELNS1_3gpuE3ELNS1_3repE0EEENS1_30default_config_static_selectorELNS0_4arch9wavefront6targetE1EEEvT1_, .Lfunc_end1558-_ZN7rocprim17ROCPRIM_400000_NS6detail17trampoline_kernelINS0_14default_configENS1_20scan_config_selectorIfEEZZNS1_9scan_implILNS1_25lookback_scan_determinismE0ELb0ELb0ES3_N6thrust23THRUST_200600_302600_NS6detail15normal_iteratorINS9_10device_ptrIfEEEESE_fNS9_4plusIiEEfEEDaPvRmT3_T4_T5_mT6_P12ihipStream_tbENKUlT_T0_E_clISt17integral_constantIbLb0EEST_IbLb1EEEEDaSP_SQ_EUlSP_E_NS1_11comp_targetILNS1_3genE9ELNS1_11target_archE1100ELNS1_3gpuE3ELNS1_3repE0EEENS1_30default_config_static_selectorELNS0_4arch9wavefront6targetE1EEEvT1_
                                        ; -- End function
	.section	.AMDGPU.csdata,"",@progbits
; Kernel info:
; codeLenInByte = 0
; NumSgprs: 4
; NumVgprs: 0
; NumAgprs: 0
; TotalNumVgprs: 0
; ScratchSize: 0
; MemoryBound: 0
; FloatMode: 240
; IeeeMode: 1
; LDSByteSize: 0 bytes/workgroup (compile time only)
; SGPRBlocks: 0
; VGPRBlocks: 0
; NumSGPRsForWavesPerEU: 4
; NumVGPRsForWavesPerEU: 1
; AccumOffset: 4
; Occupancy: 8
; WaveLimiterHint : 0
; COMPUTE_PGM_RSRC2:SCRATCH_EN: 0
; COMPUTE_PGM_RSRC2:USER_SGPR: 6
; COMPUTE_PGM_RSRC2:TRAP_HANDLER: 0
; COMPUTE_PGM_RSRC2:TGID_X_EN: 1
; COMPUTE_PGM_RSRC2:TGID_Y_EN: 0
; COMPUTE_PGM_RSRC2:TGID_Z_EN: 0
; COMPUTE_PGM_RSRC2:TIDIG_COMP_CNT: 0
; COMPUTE_PGM_RSRC3_GFX90A:ACCUM_OFFSET: 0
; COMPUTE_PGM_RSRC3_GFX90A:TG_SPLIT: 0
	.section	.text._ZN7rocprim17ROCPRIM_400000_NS6detail17trampoline_kernelINS0_14default_configENS1_20scan_config_selectorIfEEZZNS1_9scan_implILNS1_25lookback_scan_determinismE0ELb0ELb0ES3_N6thrust23THRUST_200600_302600_NS6detail15normal_iteratorINS9_10device_ptrIfEEEESE_fNS9_4plusIiEEfEEDaPvRmT3_T4_T5_mT6_P12ihipStream_tbENKUlT_T0_E_clISt17integral_constantIbLb0EEST_IbLb1EEEEDaSP_SQ_EUlSP_E_NS1_11comp_targetILNS1_3genE8ELNS1_11target_archE1030ELNS1_3gpuE2ELNS1_3repE0EEENS1_30default_config_static_selectorELNS0_4arch9wavefront6targetE1EEEvT1_,"axG",@progbits,_ZN7rocprim17ROCPRIM_400000_NS6detail17trampoline_kernelINS0_14default_configENS1_20scan_config_selectorIfEEZZNS1_9scan_implILNS1_25lookback_scan_determinismE0ELb0ELb0ES3_N6thrust23THRUST_200600_302600_NS6detail15normal_iteratorINS9_10device_ptrIfEEEESE_fNS9_4plusIiEEfEEDaPvRmT3_T4_T5_mT6_P12ihipStream_tbENKUlT_T0_E_clISt17integral_constantIbLb0EEST_IbLb1EEEEDaSP_SQ_EUlSP_E_NS1_11comp_targetILNS1_3genE8ELNS1_11target_archE1030ELNS1_3gpuE2ELNS1_3repE0EEENS1_30default_config_static_selectorELNS0_4arch9wavefront6targetE1EEEvT1_,comdat
	.protected	_ZN7rocprim17ROCPRIM_400000_NS6detail17trampoline_kernelINS0_14default_configENS1_20scan_config_selectorIfEEZZNS1_9scan_implILNS1_25lookback_scan_determinismE0ELb0ELb0ES3_N6thrust23THRUST_200600_302600_NS6detail15normal_iteratorINS9_10device_ptrIfEEEESE_fNS9_4plusIiEEfEEDaPvRmT3_T4_T5_mT6_P12ihipStream_tbENKUlT_T0_E_clISt17integral_constantIbLb0EEST_IbLb1EEEEDaSP_SQ_EUlSP_E_NS1_11comp_targetILNS1_3genE8ELNS1_11target_archE1030ELNS1_3gpuE2ELNS1_3repE0EEENS1_30default_config_static_selectorELNS0_4arch9wavefront6targetE1EEEvT1_ ; -- Begin function _ZN7rocprim17ROCPRIM_400000_NS6detail17trampoline_kernelINS0_14default_configENS1_20scan_config_selectorIfEEZZNS1_9scan_implILNS1_25lookback_scan_determinismE0ELb0ELb0ES3_N6thrust23THRUST_200600_302600_NS6detail15normal_iteratorINS9_10device_ptrIfEEEESE_fNS9_4plusIiEEfEEDaPvRmT3_T4_T5_mT6_P12ihipStream_tbENKUlT_T0_E_clISt17integral_constantIbLb0EEST_IbLb1EEEEDaSP_SQ_EUlSP_E_NS1_11comp_targetILNS1_3genE8ELNS1_11target_archE1030ELNS1_3gpuE2ELNS1_3repE0EEENS1_30default_config_static_selectorELNS0_4arch9wavefront6targetE1EEEvT1_
	.globl	_ZN7rocprim17ROCPRIM_400000_NS6detail17trampoline_kernelINS0_14default_configENS1_20scan_config_selectorIfEEZZNS1_9scan_implILNS1_25lookback_scan_determinismE0ELb0ELb0ES3_N6thrust23THRUST_200600_302600_NS6detail15normal_iteratorINS9_10device_ptrIfEEEESE_fNS9_4plusIiEEfEEDaPvRmT3_T4_T5_mT6_P12ihipStream_tbENKUlT_T0_E_clISt17integral_constantIbLb0EEST_IbLb1EEEEDaSP_SQ_EUlSP_E_NS1_11comp_targetILNS1_3genE8ELNS1_11target_archE1030ELNS1_3gpuE2ELNS1_3repE0EEENS1_30default_config_static_selectorELNS0_4arch9wavefront6targetE1EEEvT1_
	.p2align	8
	.type	_ZN7rocprim17ROCPRIM_400000_NS6detail17trampoline_kernelINS0_14default_configENS1_20scan_config_selectorIfEEZZNS1_9scan_implILNS1_25lookback_scan_determinismE0ELb0ELb0ES3_N6thrust23THRUST_200600_302600_NS6detail15normal_iteratorINS9_10device_ptrIfEEEESE_fNS9_4plusIiEEfEEDaPvRmT3_T4_T5_mT6_P12ihipStream_tbENKUlT_T0_E_clISt17integral_constantIbLb0EEST_IbLb1EEEEDaSP_SQ_EUlSP_E_NS1_11comp_targetILNS1_3genE8ELNS1_11target_archE1030ELNS1_3gpuE2ELNS1_3repE0EEENS1_30default_config_static_selectorELNS0_4arch9wavefront6targetE1EEEvT1_,@function
_ZN7rocprim17ROCPRIM_400000_NS6detail17trampoline_kernelINS0_14default_configENS1_20scan_config_selectorIfEEZZNS1_9scan_implILNS1_25lookback_scan_determinismE0ELb0ELb0ES3_N6thrust23THRUST_200600_302600_NS6detail15normal_iteratorINS9_10device_ptrIfEEEESE_fNS9_4plusIiEEfEEDaPvRmT3_T4_T5_mT6_P12ihipStream_tbENKUlT_T0_E_clISt17integral_constantIbLb0EEST_IbLb1EEEEDaSP_SQ_EUlSP_E_NS1_11comp_targetILNS1_3genE8ELNS1_11target_archE1030ELNS1_3gpuE2ELNS1_3repE0EEENS1_30default_config_static_selectorELNS0_4arch9wavefront6targetE1EEEvT1_: ; @_ZN7rocprim17ROCPRIM_400000_NS6detail17trampoline_kernelINS0_14default_configENS1_20scan_config_selectorIfEEZZNS1_9scan_implILNS1_25lookback_scan_determinismE0ELb0ELb0ES3_N6thrust23THRUST_200600_302600_NS6detail15normal_iteratorINS9_10device_ptrIfEEEESE_fNS9_4plusIiEEfEEDaPvRmT3_T4_T5_mT6_P12ihipStream_tbENKUlT_T0_E_clISt17integral_constantIbLb0EEST_IbLb1EEEEDaSP_SQ_EUlSP_E_NS1_11comp_targetILNS1_3genE8ELNS1_11target_archE1030ELNS1_3gpuE2ELNS1_3repE0EEENS1_30default_config_static_selectorELNS0_4arch9wavefront6targetE1EEEvT1_
; %bb.0:
	.section	.rodata,"a",@progbits
	.p2align	6, 0x0
	.amdhsa_kernel _ZN7rocprim17ROCPRIM_400000_NS6detail17trampoline_kernelINS0_14default_configENS1_20scan_config_selectorIfEEZZNS1_9scan_implILNS1_25lookback_scan_determinismE0ELb0ELb0ES3_N6thrust23THRUST_200600_302600_NS6detail15normal_iteratorINS9_10device_ptrIfEEEESE_fNS9_4plusIiEEfEEDaPvRmT3_T4_T5_mT6_P12ihipStream_tbENKUlT_T0_E_clISt17integral_constantIbLb0EEST_IbLb1EEEEDaSP_SQ_EUlSP_E_NS1_11comp_targetILNS1_3genE8ELNS1_11target_archE1030ELNS1_3gpuE2ELNS1_3repE0EEENS1_30default_config_static_selectorELNS0_4arch9wavefront6targetE1EEEvT1_
		.amdhsa_group_segment_fixed_size 0
		.amdhsa_private_segment_fixed_size 0
		.amdhsa_kernarg_size 96
		.amdhsa_user_sgpr_count 6
		.amdhsa_user_sgpr_private_segment_buffer 1
		.amdhsa_user_sgpr_dispatch_ptr 0
		.amdhsa_user_sgpr_queue_ptr 0
		.amdhsa_user_sgpr_kernarg_segment_ptr 1
		.amdhsa_user_sgpr_dispatch_id 0
		.amdhsa_user_sgpr_flat_scratch_init 0
		.amdhsa_user_sgpr_kernarg_preload_length 0
		.amdhsa_user_sgpr_kernarg_preload_offset 0
		.amdhsa_user_sgpr_private_segment_size 0
		.amdhsa_uses_dynamic_stack 0
		.amdhsa_system_sgpr_private_segment_wavefront_offset 0
		.amdhsa_system_sgpr_workgroup_id_x 1
		.amdhsa_system_sgpr_workgroup_id_y 0
		.amdhsa_system_sgpr_workgroup_id_z 0
		.amdhsa_system_sgpr_workgroup_info 0
		.amdhsa_system_vgpr_workitem_id 0
		.amdhsa_next_free_vgpr 1
		.amdhsa_next_free_sgpr 0
		.amdhsa_accum_offset 4
		.amdhsa_reserve_vcc 0
		.amdhsa_reserve_flat_scratch 0
		.amdhsa_float_round_mode_32 0
		.amdhsa_float_round_mode_16_64 0
		.amdhsa_float_denorm_mode_32 3
		.amdhsa_float_denorm_mode_16_64 3
		.amdhsa_dx10_clamp 1
		.amdhsa_ieee_mode 1
		.amdhsa_fp16_overflow 0
		.amdhsa_tg_split 0
		.amdhsa_exception_fp_ieee_invalid_op 0
		.amdhsa_exception_fp_denorm_src 0
		.amdhsa_exception_fp_ieee_div_zero 0
		.amdhsa_exception_fp_ieee_overflow 0
		.amdhsa_exception_fp_ieee_underflow 0
		.amdhsa_exception_fp_ieee_inexact 0
		.amdhsa_exception_int_div_zero 0
	.end_amdhsa_kernel
	.section	.text._ZN7rocprim17ROCPRIM_400000_NS6detail17trampoline_kernelINS0_14default_configENS1_20scan_config_selectorIfEEZZNS1_9scan_implILNS1_25lookback_scan_determinismE0ELb0ELb0ES3_N6thrust23THRUST_200600_302600_NS6detail15normal_iteratorINS9_10device_ptrIfEEEESE_fNS9_4plusIiEEfEEDaPvRmT3_T4_T5_mT6_P12ihipStream_tbENKUlT_T0_E_clISt17integral_constantIbLb0EEST_IbLb1EEEEDaSP_SQ_EUlSP_E_NS1_11comp_targetILNS1_3genE8ELNS1_11target_archE1030ELNS1_3gpuE2ELNS1_3repE0EEENS1_30default_config_static_selectorELNS0_4arch9wavefront6targetE1EEEvT1_,"axG",@progbits,_ZN7rocprim17ROCPRIM_400000_NS6detail17trampoline_kernelINS0_14default_configENS1_20scan_config_selectorIfEEZZNS1_9scan_implILNS1_25lookback_scan_determinismE0ELb0ELb0ES3_N6thrust23THRUST_200600_302600_NS6detail15normal_iteratorINS9_10device_ptrIfEEEESE_fNS9_4plusIiEEfEEDaPvRmT3_T4_T5_mT6_P12ihipStream_tbENKUlT_T0_E_clISt17integral_constantIbLb0EEST_IbLb1EEEEDaSP_SQ_EUlSP_E_NS1_11comp_targetILNS1_3genE8ELNS1_11target_archE1030ELNS1_3gpuE2ELNS1_3repE0EEENS1_30default_config_static_selectorELNS0_4arch9wavefront6targetE1EEEvT1_,comdat
.Lfunc_end1559:
	.size	_ZN7rocprim17ROCPRIM_400000_NS6detail17trampoline_kernelINS0_14default_configENS1_20scan_config_selectorIfEEZZNS1_9scan_implILNS1_25lookback_scan_determinismE0ELb0ELb0ES3_N6thrust23THRUST_200600_302600_NS6detail15normal_iteratorINS9_10device_ptrIfEEEESE_fNS9_4plusIiEEfEEDaPvRmT3_T4_T5_mT6_P12ihipStream_tbENKUlT_T0_E_clISt17integral_constantIbLb0EEST_IbLb1EEEEDaSP_SQ_EUlSP_E_NS1_11comp_targetILNS1_3genE8ELNS1_11target_archE1030ELNS1_3gpuE2ELNS1_3repE0EEENS1_30default_config_static_selectorELNS0_4arch9wavefront6targetE1EEEvT1_, .Lfunc_end1559-_ZN7rocprim17ROCPRIM_400000_NS6detail17trampoline_kernelINS0_14default_configENS1_20scan_config_selectorIfEEZZNS1_9scan_implILNS1_25lookback_scan_determinismE0ELb0ELb0ES3_N6thrust23THRUST_200600_302600_NS6detail15normal_iteratorINS9_10device_ptrIfEEEESE_fNS9_4plusIiEEfEEDaPvRmT3_T4_T5_mT6_P12ihipStream_tbENKUlT_T0_E_clISt17integral_constantIbLb0EEST_IbLb1EEEEDaSP_SQ_EUlSP_E_NS1_11comp_targetILNS1_3genE8ELNS1_11target_archE1030ELNS1_3gpuE2ELNS1_3repE0EEENS1_30default_config_static_selectorELNS0_4arch9wavefront6targetE1EEEvT1_
                                        ; -- End function
	.section	.AMDGPU.csdata,"",@progbits
; Kernel info:
; codeLenInByte = 0
; NumSgprs: 4
; NumVgprs: 0
; NumAgprs: 0
; TotalNumVgprs: 0
; ScratchSize: 0
; MemoryBound: 0
; FloatMode: 240
; IeeeMode: 1
; LDSByteSize: 0 bytes/workgroup (compile time only)
; SGPRBlocks: 0
; VGPRBlocks: 0
; NumSGPRsForWavesPerEU: 4
; NumVGPRsForWavesPerEU: 1
; AccumOffset: 4
; Occupancy: 8
; WaveLimiterHint : 0
; COMPUTE_PGM_RSRC2:SCRATCH_EN: 0
; COMPUTE_PGM_RSRC2:USER_SGPR: 6
; COMPUTE_PGM_RSRC2:TRAP_HANDLER: 0
; COMPUTE_PGM_RSRC2:TGID_X_EN: 1
; COMPUTE_PGM_RSRC2:TGID_Y_EN: 0
; COMPUTE_PGM_RSRC2:TGID_Z_EN: 0
; COMPUTE_PGM_RSRC2:TIDIG_COMP_CNT: 0
; COMPUTE_PGM_RSRC3_GFX90A:ACCUM_OFFSET: 0
; COMPUTE_PGM_RSRC3_GFX90A:TG_SPLIT: 0
	.section	.text._ZN7rocprim17ROCPRIM_400000_NS6detail17trampoline_kernelINS0_14default_configENS1_20scan_config_selectorIfEEZZNS1_9scan_implILNS1_25lookback_scan_determinismE0ELb0ELb0ES3_N6thrust23THRUST_200600_302600_NS6detail15normal_iteratorINS9_10device_ptrIfEEEESE_fNS9_4plusIiEEfEEDaPvRmT3_T4_T5_mT6_P12ihipStream_tbENKUlT_T0_E_clISt17integral_constantIbLb0EEST_IbLb1EEEEDaSP_SQ_EUlSP_E0_NS1_11comp_targetILNS1_3genE0ELNS1_11target_archE4294967295ELNS1_3gpuE0ELNS1_3repE0EEENS1_30default_config_static_selectorELNS0_4arch9wavefront6targetE1EEEvT1_,"axG",@progbits,_ZN7rocprim17ROCPRIM_400000_NS6detail17trampoline_kernelINS0_14default_configENS1_20scan_config_selectorIfEEZZNS1_9scan_implILNS1_25lookback_scan_determinismE0ELb0ELb0ES3_N6thrust23THRUST_200600_302600_NS6detail15normal_iteratorINS9_10device_ptrIfEEEESE_fNS9_4plusIiEEfEEDaPvRmT3_T4_T5_mT6_P12ihipStream_tbENKUlT_T0_E_clISt17integral_constantIbLb0EEST_IbLb1EEEEDaSP_SQ_EUlSP_E0_NS1_11comp_targetILNS1_3genE0ELNS1_11target_archE4294967295ELNS1_3gpuE0ELNS1_3repE0EEENS1_30default_config_static_selectorELNS0_4arch9wavefront6targetE1EEEvT1_,comdat
	.protected	_ZN7rocprim17ROCPRIM_400000_NS6detail17trampoline_kernelINS0_14default_configENS1_20scan_config_selectorIfEEZZNS1_9scan_implILNS1_25lookback_scan_determinismE0ELb0ELb0ES3_N6thrust23THRUST_200600_302600_NS6detail15normal_iteratorINS9_10device_ptrIfEEEESE_fNS9_4plusIiEEfEEDaPvRmT3_T4_T5_mT6_P12ihipStream_tbENKUlT_T0_E_clISt17integral_constantIbLb0EEST_IbLb1EEEEDaSP_SQ_EUlSP_E0_NS1_11comp_targetILNS1_3genE0ELNS1_11target_archE4294967295ELNS1_3gpuE0ELNS1_3repE0EEENS1_30default_config_static_selectorELNS0_4arch9wavefront6targetE1EEEvT1_ ; -- Begin function _ZN7rocprim17ROCPRIM_400000_NS6detail17trampoline_kernelINS0_14default_configENS1_20scan_config_selectorIfEEZZNS1_9scan_implILNS1_25lookback_scan_determinismE0ELb0ELb0ES3_N6thrust23THRUST_200600_302600_NS6detail15normal_iteratorINS9_10device_ptrIfEEEESE_fNS9_4plusIiEEfEEDaPvRmT3_T4_T5_mT6_P12ihipStream_tbENKUlT_T0_E_clISt17integral_constantIbLb0EEST_IbLb1EEEEDaSP_SQ_EUlSP_E0_NS1_11comp_targetILNS1_3genE0ELNS1_11target_archE4294967295ELNS1_3gpuE0ELNS1_3repE0EEENS1_30default_config_static_selectorELNS0_4arch9wavefront6targetE1EEEvT1_
	.globl	_ZN7rocprim17ROCPRIM_400000_NS6detail17trampoline_kernelINS0_14default_configENS1_20scan_config_selectorIfEEZZNS1_9scan_implILNS1_25lookback_scan_determinismE0ELb0ELb0ES3_N6thrust23THRUST_200600_302600_NS6detail15normal_iteratorINS9_10device_ptrIfEEEESE_fNS9_4plusIiEEfEEDaPvRmT3_T4_T5_mT6_P12ihipStream_tbENKUlT_T0_E_clISt17integral_constantIbLb0EEST_IbLb1EEEEDaSP_SQ_EUlSP_E0_NS1_11comp_targetILNS1_3genE0ELNS1_11target_archE4294967295ELNS1_3gpuE0ELNS1_3repE0EEENS1_30default_config_static_selectorELNS0_4arch9wavefront6targetE1EEEvT1_
	.p2align	8
	.type	_ZN7rocprim17ROCPRIM_400000_NS6detail17trampoline_kernelINS0_14default_configENS1_20scan_config_selectorIfEEZZNS1_9scan_implILNS1_25lookback_scan_determinismE0ELb0ELb0ES3_N6thrust23THRUST_200600_302600_NS6detail15normal_iteratorINS9_10device_ptrIfEEEESE_fNS9_4plusIiEEfEEDaPvRmT3_T4_T5_mT6_P12ihipStream_tbENKUlT_T0_E_clISt17integral_constantIbLb0EEST_IbLb1EEEEDaSP_SQ_EUlSP_E0_NS1_11comp_targetILNS1_3genE0ELNS1_11target_archE4294967295ELNS1_3gpuE0ELNS1_3repE0EEENS1_30default_config_static_selectorELNS0_4arch9wavefront6targetE1EEEvT1_,@function
_ZN7rocprim17ROCPRIM_400000_NS6detail17trampoline_kernelINS0_14default_configENS1_20scan_config_selectorIfEEZZNS1_9scan_implILNS1_25lookback_scan_determinismE0ELb0ELb0ES3_N6thrust23THRUST_200600_302600_NS6detail15normal_iteratorINS9_10device_ptrIfEEEESE_fNS9_4plusIiEEfEEDaPvRmT3_T4_T5_mT6_P12ihipStream_tbENKUlT_T0_E_clISt17integral_constantIbLb0EEST_IbLb1EEEEDaSP_SQ_EUlSP_E0_NS1_11comp_targetILNS1_3genE0ELNS1_11target_archE4294967295ELNS1_3gpuE0ELNS1_3repE0EEENS1_30default_config_static_selectorELNS0_4arch9wavefront6targetE1EEEvT1_: ; @_ZN7rocprim17ROCPRIM_400000_NS6detail17trampoline_kernelINS0_14default_configENS1_20scan_config_selectorIfEEZZNS1_9scan_implILNS1_25lookback_scan_determinismE0ELb0ELb0ES3_N6thrust23THRUST_200600_302600_NS6detail15normal_iteratorINS9_10device_ptrIfEEEESE_fNS9_4plusIiEEfEEDaPvRmT3_T4_T5_mT6_P12ihipStream_tbENKUlT_T0_E_clISt17integral_constantIbLb0EEST_IbLb1EEEEDaSP_SQ_EUlSP_E0_NS1_11comp_targetILNS1_3genE0ELNS1_11target_archE4294967295ELNS1_3gpuE0ELNS1_3repE0EEENS1_30default_config_static_selectorELNS0_4arch9wavefront6targetE1EEEvT1_
; %bb.0:
	.section	.rodata,"a",@progbits
	.p2align	6, 0x0
	.amdhsa_kernel _ZN7rocprim17ROCPRIM_400000_NS6detail17trampoline_kernelINS0_14default_configENS1_20scan_config_selectorIfEEZZNS1_9scan_implILNS1_25lookback_scan_determinismE0ELb0ELb0ES3_N6thrust23THRUST_200600_302600_NS6detail15normal_iteratorINS9_10device_ptrIfEEEESE_fNS9_4plusIiEEfEEDaPvRmT3_T4_T5_mT6_P12ihipStream_tbENKUlT_T0_E_clISt17integral_constantIbLb0EEST_IbLb1EEEEDaSP_SQ_EUlSP_E0_NS1_11comp_targetILNS1_3genE0ELNS1_11target_archE4294967295ELNS1_3gpuE0ELNS1_3repE0EEENS1_30default_config_static_selectorELNS0_4arch9wavefront6targetE1EEEvT1_
		.amdhsa_group_segment_fixed_size 0
		.amdhsa_private_segment_fixed_size 0
		.amdhsa_kernarg_size 32
		.amdhsa_user_sgpr_count 6
		.amdhsa_user_sgpr_private_segment_buffer 1
		.amdhsa_user_sgpr_dispatch_ptr 0
		.amdhsa_user_sgpr_queue_ptr 0
		.amdhsa_user_sgpr_kernarg_segment_ptr 1
		.amdhsa_user_sgpr_dispatch_id 0
		.amdhsa_user_sgpr_flat_scratch_init 0
		.amdhsa_user_sgpr_kernarg_preload_length 0
		.amdhsa_user_sgpr_kernarg_preload_offset 0
		.amdhsa_user_sgpr_private_segment_size 0
		.amdhsa_uses_dynamic_stack 0
		.amdhsa_system_sgpr_private_segment_wavefront_offset 0
		.amdhsa_system_sgpr_workgroup_id_x 1
		.amdhsa_system_sgpr_workgroup_id_y 0
		.amdhsa_system_sgpr_workgroup_id_z 0
		.amdhsa_system_sgpr_workgroup_info 0
		.amdhsa_system_vgpr_workitem_id 0
		.amdhsa_next_free_vgpr 1
		.amdhsa_next_free_sgpr 0
		.amdhsa_accum_offset 4
		.amdhsa_reserve_vcc 0
		.amdhsa_reserve_flat_scratch 0
		.amdhsa_float_round_mode_32 0
		.amdhsa_float_round_mode_16_64 0
		.amdhsa_float_denorm_mode_32 3
		.amdhsa_float_denorm_mode_16_64 3
		.amdhsa_dx10_clamp 1
		.amdhsa_ieee_mode 1
		.amdhsa_fp16_overflow 0
		.amdhsa_tg_split 0
		.amdhsa_exception_fp_ieee_invalid_op 0
		.amdhsa_exception_fp_denorm_src 0
		.amdhsa_exception_fp_ieee_div_zero 0
		.amdhsa_exception_fp_ieee_overflow 0
		.amdhsa_exception_fp_ieee_underflow 0
		.amdhsa_exception_fp_ieee_inexact 0
		.amdhsa_exception_int_div_zero 0
	.end_amdhsa_kernel
	.section	.text._ZN7rocprim17ROCPRIM_400000_NS6detail17trampoline_kernelINS0_14default_configENS1_20scan_config_selectorIfEEZZNS1_9scan_implILNS1_25lookback_scan_determinismE0ELb0ELb0ES3_N6thrust23THRUST_200600_302600_NS6detail15normal_iteratorINS9_10device_ptrIfEEEESE_fNS9_4plusIiEEfEEDaPvRmT3_T4_T5_mT6_P12ihipStream_tbENKUlT_T0_E_clISt17integral_constantIbLb0EEST_IbLb1EEEEDaSP_SQ_EUlSP_E0_NS1_11comp_targetILNS1_3genE0ELNS1_11target_archE4294967295ELNS1_3gpuE0ELNS1_3repE0EEENS1_30default_config_static_selectorELNS0_4arch9wavefront6targetE1EEEvT1_,"axG",@progbits,_ZN7rocprim17ROCPRIM_400000_NS6detail17trampoline_kernelINS0_14default_configENS1_20scan_config_selectorIfEEZZNS1_9scan_implILNS1_25lookback_scan_determinismE0ELb0ELb0ES3_N6thrust23THRUST_200600_302600_NS6detail15normal_iteratorINS9_10device_ptrIfEEEESE_fNS9_4plusIiEEfEEDaPvRmT3_T4_T5_mT6_P12ihipStream_tbENKUlT_T0_E_clISt17integral_constantIbLb0EEST_IbLb1EEEEDaSP_SQ_EUlSP_E0_NS1_11comp_targetILNS1_3genE0ELNS1_11target_archE4294967295ELNS1_3gpuE0ELNS1_3repE0EEENS1_30default_config_static_selectorELNS0_4arch9wavefront6targetE1EEEvT1_,comdat
.Lfunc_end1560:
	.size	_ZN7rocprim17ROCPRIM_400000_NS6detail17trampoline_kernelINS0_14default_configENS1_20scan_config_selectorIfEEZZNS1_9scan_implILNS1_25lookback_scan_determinismE0ELb0ELb0ES3_N6thrust23THRUST_200600_302600_NS6detail15normal_iteratorINS9_10device_ptrIfEEEESE_fNS9_4plusIiEEfEEDaPvRmT3_T4_T5_mT6_P12ihipStream_tbENKUlT_T0_E_clISt17integral_constantIbLb0EEST_IbLb1EEEEDaSP_SQ_EUlSP_E0_NS1_11comp_targetILNS1_3genE0ELNS1_11target_archE4294967295ELNS1_3gpuE0ELNS1_3repE0EEENS1_30default_config_static_selectorELNS0_4arch9wavefront6targetE1EEEvT1_, .Lfunc_end1560-_ZN7rocprim17ROCPRIM_400000_NS6detail17trampoline_kernelINS0_14default_configENS1_20scan_config_selectorIfEEZZNS1_9scan_implILNS1_25lookback_scan_determinismE0ELb0ELb0ES3_N6thrust23THRUST_200600_302600_NS6detail15normal_iteratorINS9_10device_ptrIfEEEESE_fNS9_4plusIiEEfEEDaPvRmT3_T4_T5_mT6_P12ihipStream_tbENKUlT_T0_E_clISt17integral_constantIbLb0EEST_IbLb1EEEEDaSP_SQ_EUlSP_E0_NS1_11comp_targetILNS1_3genE0ELNS1_11target_archE4294967295ELNS1_3gpuE0ELNS1_3repE0EEENS1_30default_config_static_selectorELNS0_4arch9wavefront6targetE1EEEvT1_
                                        ; -- End function
	.section	.AMDGPU.csdata,"",@progbits
; Kernel info:
; codeLenInByte = 0
; NumSgprs: 4
; NumVgprs: 0
; NumAgprs: 0
; TotalNumVgprs: 0
; ScratchSize: 0
; MemoryBound: 0
; FloatMode: 240
; IeeeMode: 1
; LDSByteSize: 0 bytes/workgroup (compile time only)
; SGPRBlocks: 0
; VGPRBlocks: 0
; NumSGPRsForWavesPerEU: 4
; NumVGPRsForWavesPerEU: 1
; AccumOffset: 4
; Occupancy: 8
; WaveLimiterHint : 0
; COMPUTE_PGM_RSRC2:SCRATCH_EN: 0
; COMPUTE_PGM_RSRC2:USER_SGPR: 6
; COMPUTE_PGM_RSRC2:TRAP_HANDLER: 0
; COMPUTE_PGM_RSRC2:TGID_X_EN: 1
; COMPUTE_PGM_RSRC2:TGID_Y_EN: 0
; COMPUTE_PGM_RSRC2:TGID_Z_EN: 0
; COMPUTE_PGM_RSRC2:TIDIG_COMP_CNT: 0
; COMPUTE_PGM_RSRC3_GFX90A:ACCUM_OFFSET: 0
; COMPUTE_PGM_RSRC3_GFX90A:TG_SPLIT: 0
	.section	.text._ZN7rocprim17ROCPRIM_400000_NS6detail17trampoline_kernelINS0_14default_configENS1_20scan_config_selectorIfEEZZNS1_9scan_implILNS1_25lookback_scan_determinismE0ELb0ELb0ES3_N6thrust23THRUST_200600_302600_NS6detail15normal_iteratorINS9_10device_ptrIfEEEESE_fNS9_4plusIiEEfEEDaPvRmT3_T4_T5_mT6_P12ihipStream_tbENKUlT_T0_E_clISt17integral_constantIbLb0EEST_IbLb1EEEEDaSP_SQ_EUlSP_E0_NS1_11comp_targetILNS1_3genE5ELNS1_11target_archE942ELNS1_3gpuE9ELNS1_3repE0EEENS1_30default_config_static_selectorELNS0_4arch9wavefront6targetE1EEEvT1_,"axG",@progbits,_ZN7rocprim17ROCPRIM_400000_NS6detail17trampoline_kernelINS0_14default_configENS1_20scan_config_selectorIfEEZZNS1_9scan_implILNS1_25lookback_scan_determinismE0ELb0ELb0ES3_N6thrust23THRUST_200600_302600_NS6detail15normal_iteratorINS9_10device_ptrIfEEEESE_fNS9_4plusIiEEfEEDaPvRmT3_T4_T5_mT6_P12ihipStream_tbENKUlT_T0_E_clISt17integral_constantIbLb0EEST_IbLb1EEEEDaSP_SQ_EUlSP_E0_NS1_11comp_targetILNS1_3genE5ELNS1_11target_archE942ELNS1_3gpuE9ELNS1_3repE0EEENS1_30default_config_static_selectorELNS0_4arch9wavefront6targetE1EEEvT1_,comdat
	.protected	_ZN7rocprim17ROCPRIM_400000_NS6detail17trampoline_kernelINS0_14default_configENS1_20scan_config_selectorIfEEZZNS1_9scan_implILNS1_25lookback_scan_determinismE0ELb0ELb0ES3_N6thrust23THRUST_200600_302600_NS6detail15normal_iteratorINS9_10device_ptrIfEEEESE_fNS9_4plusIiEEfEEDaPvRmT3_T4_T5_mT6_P12ihipStream_tbENKUlT_T0_E_clISt17integral_constantIbLb0EEST_IbLb1EEEEDaSP_SQ_EUlSP_E0_NS1_11comp_targetILNS1_3genE5ELNS1_11target_archE942ELNS1_3gpuE9ELNS1_3repE0EEENS1_30default_config_static_selectorELNS0_4arch9wavefront6targetE1EEEvT1_ ; -- Begin function _ZN7rocprim17ROCPRIM_400000_NS6detail17trampoline_kernelINS0_14default_configENS1_20scan_config_selectorIfEEZZNS1_9scan_implILNS1_25lookback_scan_determinismE0ELb0ELb0ES3_N6thrust23THRUST_200600_302600_NS6detail15normal_iteratorINS9_10device_ptrIfEEEESE_fNS9_4plusIiEEfEEDaPvRmT3_T4_T5_mT6_P12ihipStream_tbENKUlT_T0_E_clISt17integral_constantIbLb0EEST_IbLb1EEEEDaSP_SQ_EUlSP_E0_NS1_11comp_targetILNS1_3genE5ELNS1_11target_archE942ELNS1_3gpuE9ELNS1_3repE0EEENS1_30default_config_static_selectorELNS0_4arch9wavefront6targetE1EEEvT1_
	.globl	_ZN7rocprim17ROCPRIM_400000_NS6detail17trampoline_kernelINS0_14default_configENS1_20scan_config_selectorIfEEZZNS1_9scan_implILNS1_25lookback_scan_determinismE0ELb0ELb0ES3_N6thrust23THRUST_200600_302600_NS6detail15normal_iteratorINS9_10device_ptrIfEEEESE_fNS9_4plusIiEEfEEDaPvRmT3_T4_T5_mT6_P12ihipStream_tbENKUlT_T0_E_clISt17integral_constantIbLb0EEST_IbLb1EEEEDaSP_SQ_EUlSP_E0_NS1_11comp_targetILNS1_3genE5ELNS1_11target_archE942ELNS1_3gpuE9ELNS1_3repE0EEENS1_30default_config_static_selectorELNS0_4arch9wavefront6targetE1EEEvT1_
	.p2align	8
	.type	_ZN7rocprim17ROCPRIM_400000_NS6detail17trampoline_kernelINS0_14default_configENS1_20scan_config_selectorIfEEZZNS1_9scan_implILNS1_25lookback_scan_determinismE0ELb0ELb0ES3_N6thrust23THRUST_200600_302600_NS6detail15normal_iteratorINS9_10device_ptrIfEEEESE_fNS9_4plusIiEEfEEDaPvRmT3_T4_T5_mT6_P12ihipStream_tbENKUlT_T0_E_clISt17integral_constantIbLb0EEST_IbLb1EEEEDaSP_SQ_EUlSP_E0_NS1_11comp_targetILNS1_3genE5ELNS1_11target_archE942ELNS1_3gpuE9ELNS1_3repE0EEENS1_30default_config_static_selectorELNS0_4arch9wavefront6targetE1EEEvT1_,@function
_ZN7rocprim17ROCPRIM_400000_NS6detail17trampoline_kernelINS0_14default_configENS1_20scan_config_selectorIfEEZZNS1_9scan_implILNS1_25lookback_scan_determinismE0ELb0ELb0ES3_N6thrust23THRUST_200600_302600_NS6detail15normal_iteratorINS9_10device_ptrIfEEEESE_fNS9_4plusIiEEfEEDaPvRmT3_T4_T5_mT6_P12ihipStream_tbENKUlT_T0_E_clISt17integral_constantIbLb0EEST_IbLb1EEEEDaSP_SQ_EUlSP_E0_NS1_11comp_targetILNS1_3genE5ELNS1_11target_archE942ELNS1_3gpuE9ELNS1_3repE0EEENS1_30default_config_static_selectorELNS0_4arch9wavefront6targetE1EEEvT1_: ; @_ZN7rocprim17ROCPRIM_400000_NS6detail17trampoline_kernelINS0_14default_configENS1_20scan_config_selectorIfEEZZNS1_9scan_implILNS1_25lookback_scan_determinismE0ELb0ELb0ES3_N6thrust23THRUST_200600_302600_NS6detail15normal_iteratorINS9_10device_ptrIfEEEESE_fNS9_4plusIiEEfEEDaPvRmT3_T4_T5_mT6_P12ihipStream_tbENKUlT_T0_E_clISt17integral_constantIbLb0EEST_IbLb1EEEEDaSP_SQ_EUlSP_E0_NS1_11comp_targetILNS1_3genE5ELNS1_11target_archE942ELNS1_3gpuE9ELNS1_3repE0EEENS1_30default_config_static_selectorELNS0_4arch9wavefront6targetE1EEEvT1_
; %bb.0:
	.section	.rodata,"a",@progbits
	.p2align	6, 0x0
	.amdhsa_kernel _ZN7rocprim17ROCPRIM_400000_NS6detail17trampoline_kernelINS0_14default_configENS1_20scan_config_selectorIfEEZZNS1_9scan_implILNS1_25lookback_scan_determinismE0ELb0ELb0ES3_N6thrust23THRUST_200600_302600_NS6detail15normal_iteratorINS9_10device_ptrIfEEEESE_fNS9_4plusIiEEfEEDaPvRmT3_T4_T5_mT6_P12ihipStream_tbENKUlT_T0_E_clISt17integral_constantIbLb0EEST_IbLb1EEEEDaSP_SQ_EUlSP_E0_NS1_11comp_targetILNS1_3genE5ELNS1_11target_archE942ELNS1_3gpuE9ELNS1_3repE0EEENS1_30default_config_static_selectorELNS0_4arch9wavefront6targetE1EEEvT1_
		.amdhsa_group_segment_fixed_size 0
		.amdhsa_private_segment_fixed_size 0
		.amdhsa_kernarg_size 32
		.amdhsa_user_sgpr_count 6
		.amdhsa_user_sgpr_private_segment_buffer 1
		.amdhsa_user_sgpr_dispatch_ptr 0
		.amdhsa_user_sgpr_queue_ptr 0
		.amdhsa_user_sgpr_kernarg_segment_ptr 1
		.amdhsa_user_sgpr_dispatch_id 0
		.amdhsa_user_sgpr_flat_scratch_init 0
		.amdhsa_user_sgpr_kernarg_preload_length 0
		.amdhsa_user_sgpr_kernarg_preload_offset 0
		.amdhsa_user_sgpr_private_segment_size 0
		.amdhsa_uses_dynamic_stack 0
		.amdhsa_system_sgpr_private_segment_wavefront_offset 0
		.amdhsa_system_sgpr_workgroup_id_x 1
		.amdhsa_system_sgpr_workgroup_id_y 0
		.amdhsa_system_sgpr_workgroup_id_z 0
		.amdhsa_system_sgpr_workgroup_info 0
		.amdhsa_system_vgpr_workitem_id 0
		.amdhsa_next_free_vgpr 1
		.amdhsa_next_free_sgpr 0
		.amdhsa_accum_offset 4
		.amdhsa_reserve_vcc 0
		.amdhsa_reserve_flat_scratch 0
		.amdhsa_float_round_mode_32 0
		.amdhsa_float_round_mode_16_64 0
		.amdhsa_float_denorm_mode_32 3
		.amdhsa_float_denorm_mode_16_64 3
		.amdhsa_dx10_clamp 1
		.amdhsa_ieee_mode 1
		.amdhsa_fp16_overflow 0
		.amdhsa_tg_split 0
		.amdhsa_exception_fp_ieee_invalid_op 0
		.amdhsa_exception_fp_denorm_src 0
		.amdhsa_exception_fp_ieee_div_zero 0
		.amdhsa_exception_fp_ieee_overflow 0
		.amdhsa_exception_fp_ieee_underflow 0
		.amdhsa_exception_fp_ieee_inexact 0
		.amdhsa_exception_int_div_zero 0
	.end_amdhsa_kernel
	.section	.text._ZN7rocprim17ROCPRIM_400000_NS6detail17trampoline_kernelINS0_14default_configENS1_20scan_config_selectorIfEEZZNS1_9scan_implILNS1_25lookback_scan_determinismE0ELb0ELb0ES3_N6thrust23THRUST_200600_302600_NS6detail15normal_iteratorINS9_10device_ptrIfEEEESE_fNS9_4plusIiEEfEEDaPvRmT3_T4_T5_mT6_P12ihipStream_tbENKUlT_T0_E_clISt17integral_constantIbLb0EEST_IbLb1EEEEDaSP_SQ_EUlSP_E0_NS1_11comp_targetILNS1_3genE5ELNS1_11target_archE942ELNS1_3gpuE9ELNS1_3repE0EEENS1_30default_config_static_selectorELNS0_4arch9wavefront6targetE1EEEvT1_,"axG",@progbits,_ZN7rocprim17ROCPRIM_400000_NS6detail17trampoline_kernelINS0_14default_configENS1_20scan_config_selectorIfEEZZNS1_9scan_implILNS1_25lookback_scan_determinismE0ELb0ELb0ES3_N6thrust23THRUST_200600_302600_NS6detail15normal_iteratorINS9_10device_ptrIfEEEESE_fNS9_4plusIiEEfEEDaPvRmT3_T4_T5_mT6_P12ihipStream_tbENKUlT_T0_E_clISt17integral_constantIbLb0EEST_IbLb1EEEEDaSP_SQ_EUlSP_E0_NS1_11comp_targetILNS1_3genE5ELNS1_11target_archE942ELNS1_3gpuE9ELNS1_3repE0EEENS1_30default_config_static_selectorELNS0_4arch9wavefront6targetE1EEEvT1_,comdat
.Lfunc_end1561:
	.size	_ZN7rocprim17ROCPRIM_400000_NS6detail17trampoline_kernelINS0_14default_configENS1_20scan_config_selectorIfEEZZNS1_9scan_implILNS1_25lookback_scan_determinismE0ELb0ELb0ES3_N6thrust23THRUST_200600_302600_NS6detail15normal_iteratorINS9_10device_ptrIfEEEESE_fNS9_4plusIiEEfEEDaPvRmT3_T4_T5_mT6_P12ihipStream_tbENKUlT_T0_E_clISt17integral_constantIbLb0EEST_IbLb1EEEEDaSP_SQ_EUlSP_E0_NS1_11comp_targetILNS1_3genE5ELNS1_11target_archE942ELNS1_3gpuE9ELNS1_3repE0EEENS1_30default_config_static_selectorELNS0_4arch9wavefront6targetE1EEEvT1_, .Lfunc_end1561-_ZN7rocprim17ROCPRIM_400000_NS6detail17trampoline_kernelINS0_14default_configENS1_20scan_config_selectorIfEEZZNS1_9scan_implILNS1_25lookback_scan_determinismE0ELb0ELb0ES3_N6thrust23THRUST_200600_302600_NS6detail15normal_iteratorINS9_10device_ptrIfEEEESE_fNS9_4plusIiEEfEEDaPvRmT3_T4_T5_mT6_P12ihipStream_tbENKUlT_T0_E_clISt17integral_constantIbLb0EEST_IbLb1EEEEDaSP_SQ_EUlSP_E0_NS1_11comp_targetILNS1_3genE5ELNS1_11target_archE942ELNS1_3gpuE9ELNS1_3repE0EEENS1_30default_config_static_selectorELNS0_4arch9wavefront6targetE1EEEvT1_
                                        ; -- End function
	.section	.AMDGPU.csdata,"",@progbits
; Kernel info:
; codeLenInByte = 0
; NumSgprs: 4
; NumVgprs: 0
; NumAgprs: 0
; TotalNumVgprs: 0
; ScratchSize: 0
; MemoryBound: 0
; FloatMode: 240
; IeeeMode: 1
; LDSByteSize: 0 bytes/workgroup (compile time only)
; SGPRBlocks: 0
; VGPRBlocks: 0
; NumSGPRsForWavesPerEU: 4
; NumVGPRsForWavesPerEU: 1
; AccumOffset: 4
; Occupancy: 8
; WaveLimiterHint : 0
; COMPUTE_PGM_RSRC2:SCRATCH_EN: 0
; COMPUTE_PGM_RSRC2:USER_SGPR: 6
; COMPUTE_PGM_RSRC2:TRAP_HANDLER: 0
; COMPUTE_PGM_RSRC2:TGID_X_EN: 1
; COMPUTE_PGM_RSRC2:TGID_Y_EN: 0
; COMPUTE_PGM_RSRC2:TGID_Z_EN: 0
; COMPUTE_PGM_RSRC2:TIDIG_COMP_CNT: 0
; COMPUTE_PGM_RSRC3_GFX90A:ACCUM_OFFSET: 0
; COMPUTE_PGM_RSRC3_GFX90A:TG_SPLIT: 0
	.section	.text._ZN7rocprim17ROCPRIM_400000_NS6detail17trampoline_kernelINS0_14default_configENS1_20scan_config_selectorIfEEZZNS1_9scan_implILNS1_25lookback_scan_determinismE0ELb0ELb0ES3_N6thrust23THRUST_200600_302600_NS6detail15normal_iteratorINS9_10device_ptrIfEEEESE_fNS9_4plusIiEEfEEDaPvRmT3_T4_T5_mT6_P12ihipStream_tbENKUlT_T0_E_clISt17integral_constantIbLb0EEST_IbLb1EEEEDaSP_SQ_EUlSP_E0_NS1_11comp_targetILNS1_3genE4ELNS1_11target_archE910ELNS1_3gpuE8ELNS1_3repE0EEENS1_30default_config_static_selectorELNS0_4arch9wavefront6targetE1EEEvT1_,"axG",@progbits,_ZN7rocprim17ROCPRIM_400000_NS6detail17trampoline_kernelINS0_14default_configENS1_20scan_config_selectorIfEEZZNS1_9scan_implILNS1_25lookback_scan_determinismE0ELb0ELb0ES3_N6thrust23THRUST_200600_302600_NS6detail15normal_iteratorINS9_10device_ptrIfEEEESE_fNS9_4plusIiEEfEEDaPvRmT3_T4_T5_mT6_P12ihipStream_tbENKUlT_T0_E_clISt17integral_constantIbLb0EEST_IbLb1EEEEDaSP_SQ_EUlSP_E0_NS1_11comp_targetILNS1_3genE4ELNS1_11target_archE910ELNS1_3gpuE8ELNS1_3repE0EEENS1_30default_config_static_selectorELNS0_4arch9wavefront6targetE1EEEvT1_,comdat
	.protected	_ZN7rocprim17ROCPRIM_400000_NS6detail17trampoline_kernelINS0_14default_configENS1_20scan_config_selectorIfEEZZNS1_9scan_implILNS1_25lookback_scan_determinismE0ELb0ELb0ES3_N6thrust23THRUST_200600_302600_NS6detail15normal_iteratorINS9_10device_ptrIfEEEESE_fNS9_4plusIiEEfEEDaPvRmT3_T4_T5_mT6_P12ihipStream_tbENKUlT_T0_E_clISt17integral_constantIbLb0EEST_IbLb1EEEEDaSP_SQ_EUlSP_E0_NS1_11comp_targetILNS1_3genE4ELNS1_11target_archE910ELNS1_3gpuE8ELNS1_3repE0EEENS1_30default_config_static_selectorELNS0_4arch9wavefront6targetE1EEEvT1_ ; -- Begin function _ZN7rocprim17ROCPRIM_400000_NS6detail17trampoline_kernelINS0_14default_configENS1_20scan_config_selectorIfEEZZNS1_9scan_implILNS1_25lookback_scan_determinismE0ELb0ELb0ES3_N6thrust23THRUST_200600_302600_NS6detail15normal_iteratorINS9_10device_ptrIfEEEESE_fNS9_4plusIiEEfEEDaPvRmT3_T4_T5_mT6_P12ihipStream_tbENKUlT_T0_E_clISt17integral_constantIbLb0EEST_IbLb1EEEEDaSP_SQ_EUlSP_E0_NS1_11comp_targetILNS1_3genE4ELNS1_11target_archE910ELNS1_3gpuE8ELNS1_3repE0EEENS1_30default_config_static_selectorELNS0_4arch9wavefront6targetE1EEEvT1_
	.globl	_ZN7rocprim17ROCPRIM_400000_NS6detail17trampoline_kernelINS0_14default_configENS1_20scan_config_selectorIfEEZZNS1_9scan_implILNS1_25lookback_scan_determinismE0ELb0ELb0ES3_N6thrust23THRUST_200600_302600_NS6detail15normal_iteratorINS9_10device_ptrIfEEEESE_fNS9_4plusIiEEfEEDaPvRmT3_T4_T5_mT6_P12ihipStream_tbENKUlT_T0_E_clISt17integral_constantIbLb0EEST_IbLb1EEEEDaSP_SQ_EUlSP_E0_NS1_11comp_targetILNS1_3genE4ELNS1_11target_archE910ELNS1_3gpuE8ELNS1_3repE0EEENS1_30default_config_static_selectorELNS0_4arch9wavefront6targetE1EEEvT1_
	.p2align	8
	.type	_ZN7rocprim17ROCPRIM_400000_NS6detail17trampoline_kernelINS0_14default_configENS1_20scan_config_selectorIfEEZZNS1_9scan_implILNS1_25lookback_scan_determinismE0ELb0ELb0ES3_N6thrust23THRUST_200600_302600_NS6detail15normal_iteratorINS9_10device_ptrIfEEEESE_fNS9_4plusIiEEfEEDaPvRmT3_T4_T5_mT6_P12ihipStream_tbENKUlT_T0_E_clISt17integral_constantIbLb0EEST_IbLb1EEEEDaSP_SQ_EUlSP_E0_NS1_11comp_targetILNS1_3genE4ELNS1_11target_archE910ELNS1_3gpuE8ELNS1_3repE0EEENS1_30default_config_static_selectorELNS0_4arch9wavefront6targetE1EEEvT1_,@function
_ZN7rocprim17ROCPRIM_400000_NS6detail17trampoline_kernelINS0_14default_configENS1_20scan_config_selectorIfEEZZNS1_9scan_implILNS1_25lookback_scan_determinismE0ELb0ELb0ES3_N6thrust23THRUST_200600_302600_NS6detail15normal_iteratorINS9_10device_ptrIfEEEESE_fNS9_4plusIiEEfEEDaPvRmT3_T4_T5_mT6_P12ihipStream_tbENKUlT_T0_E_clISt17integral_constantIbLb0EEST_IbLb1EEEEDaSP_SQ_EUlSP_E0_NS1_11comp_targetILNS1_3genE4ELNS1_11target_archE910ELNS1_3gpuE8ELNS1_3repE0EEENS1_30default_config_static_selectorELNS0_4arch9wavefront6targetE1EEEvT1_: ; @_ZN7rocprim17ROCPRIM_400000_NS6detail17trampoline_kernelINS0_14default_configENS1_20scan_config_selectorIfEEZZNS1_9scan_implILNS1_25lookback_scan_determinismE0ELb0ELb0ES3_N6thrust23THRUST_200600_302600_NS6detail15normal_iteratorINS9_10device_ptrIfEEEESE_fNS9_4plusIiEEfEEDaPvRmT3_T4_T5_mT6_P12ihipStream_tbENKUlT_T0_E_clISt17integral_constantIbLb0EEST_IbLb1EEEEDaSP_SQ_EUlSP_E0_NS1_11comp_targetILNS1_3genE4ELNS1_11target_archE910ELNS1_3gpuE8ELNS1_3repE0EEENS1_30default_config_static_selectorELNS0_4arch9wavefront6targetE1EEEvT1_
; %bb.0:
	s_load_dwordx4 s[28:31], s[4:5], 0x0
	v_lshlrev_b32_e32 v16, 2, v0
	s_waitcnt lgkmcnt(0)
	s_load_dword s31, s[28:29], 0x0
	v_cmp_gt_u32_e32 vcc, s30, v0
	s_waitcnt lgkmcnt(0)
	v_mov_b32_e32 v1, s31
	s_and_saveexec_b64 s[0:1], vcc
	s_cbranch_execz .LBB1562_2
; %bb.1:
	global_load_dword v1, v16, s[28:29]
.LBB1562_2:
	s_or_b64 exec, exec, s[0:1]
	v_or_b32_e32 v2, 0x80, v0
	v_cmp_gt_u32_e64 s[0:1], s30, v2
	v_mov_b32_e32 v2, s31
	s_and_saveexec_b64 s[2:3], s[0:1]
	s_cbranch_execz .LBB1562_4
; %bb.3:
	global_load_dword v2, v16, s[28:29] offset:512
.LBB1562_4:
	s_or_b64 exec, exec, s[2:3]
	v_or_b32_e32 v3, 0x100, v0
	v_cmp_gt_u32_e64 s[2:3], s30, v3
	v_mov_b32_e32 v3, s31
	s_and_saveexec_b64 s[6:7], s[2:3]
	s_cbranch_execz .LBB1562_6
; %bb.5:
	global_load_dword v3, v16, s[28:29] offset:1024
.LBB1562_6:
	;; [unrolled: 9-line block ×7, first 2 shown]
	s_or_b64 exec, exec, s[14:15]
	v_or_b32_e32 v10, 0x400, v0
	v_cmp_gt_u32_e64 s[14:15], s30, v10
	v_mov_b32_e32 v9, s31
	s_and_saveexec_b64 s[16:17], s[14:15]
	s_cbranch_execz .LBB1562_18
; %bb.17:
	v_lshlrev_b32_e32 v9, 2, v10
	global_load_dword v9, v9, s[28:29]
.LBB1562_18:
	s_or_b64 exec, exec, s[16:17]
	v_or_b32_e32 v11, 0x480, v0
	v_cmp_gt_u32_e64 s[16:17], s30, v11
	v_mov_b32_e32 v10, s31
	s_and_saveexec_b64 s[18:19], s[16:17]
	s_cbranch_execz .LBB1562_20
; %bb.19:
	v_lshlrev_b32_e32 v10, 2, v11
	global_load_dword v10, v10, s[28:29]
.LBB1562_20:
	;; [unrolled: 10-line block ×6, first 2 shown]
	s_or_b64 exec, exec, s[30:31]
	s_waitcnt vmcnt(0)
	ds_write2st64_b32 v16, v1, v2 offset1:2
	ds_write2st64_b32 v16, v3, v4 offset0:4 offset1:6
	ds_write2st64_b32 v16, v5, v6 offset0:8 offset1:10
	;; [unrolled: 1-line block ×6, first 2 shown]
	v_mad_u32_u24 v14, v0, 52, v16
	s_waitcnt lgkmcnt(0)
	s_barrier
	ds_read2_b64 v[2:5], v14 offset1:1
	ds_read2_b64 v[6:9], v14 offset0:2 offset1:3
	ds_read2_b64 v[10:13], v14 offset0:4 offset1:5
	ds_read_b64 v[14:15], v14 offset:48
	s_load_dwordx2 s[28:29], s[4:5], 0x18
	s_waitcnt lgkmcnt(0)
	v_cvt_i32_f32_e32 v18, v2
	v_cvt_i32_f32_e32 v1, v3
	;; [unrolled: 1-line block ×5, first 2 shown]
	v_add_u32_e32 v3, v1, v18
	v_cvt_f32_i32_e32 v3, v3
	v_cvt_i32_f32_e32 v21, v7
	v_cvt_i32_f32_e32 v22, v8
	;; [unrolled: 1-line block ×7, first 2 shown]
	v_add_u32_e32 v4, v4, v17
	v_cvt_f32_i32_e32 v4, v4
	v_cvt_i32_f32_e32 v27, v13
	v_cvt_i32_f32_e32 v28, v14
	;; [unrolled: 1-line block ×4, first 2 shown]
	v_lshrrev_b32_e32 v30, 3, v0
	v_and_b32_e32 v30, 12, v30
	v_add_u32_e32 v30, v16, v30
	v_add_u32_e32 v5, v5, v19
	v_cvt_f32_i32_e32 v5, v5
	v_cmp_gt_u32_e64 s[4:5], 64, v0
	s_barrier
	v_cvt_i32_f32_e32 v6, v5
	v_add_u32_e32 v6, v6, v20
	v_cvt_f32_i32_e32 v6, v6
	v_cvt_i32_f32_e32 v7, v6
	v_add_u32_e32 v7, v7, v21
	v_cvt_f32_i32_e32 v7, v7
	;; [unrolled: 3-line block ×10, first 2 shown]
	ds_write_b32 v30, v15
	s_waitcnt lgkmcnt(0)
	s_barrier
	s_and_saveexec_b64 s[30:31], s[4:5]
	s_cbranch_execz .LBB1562_32
; %bb.29:
	v_lshlrev_b32_e32 v30, 1, v0
	v_lshrrev_b32_e32 v31, 4, v0
	v_add_lshl_u32 v30, v31, v30, 2
	ds_read2_b32 v[32:33], v30 offset1:1
	v_mbcnt_lo_u32_b32 v35, -1, 0
	s_waitcnt lgkmcnt(0)
	v_cvt_i32_f32_e32 v31, v32
	v_cvt_i32_f32_e32 v32, v33
	v_add_u32_e32 v32, v32, v31
	v_cvt_f32_i32_e32 v32, v32
	v_cvt_i32_f32_e32 v34, v32
	s_nop 0
	v_mov_b32_dpp v33, v32 row_shr:1 row_mask:0xf bank_mask:0xf
	v_cvt_i32_f32_e32 v33, v33
	v_add_u32_e32 v33, v33, v34
	v_cvt_f32_i32_e32 v34, v33
	v_mbcnt_hi_u32_b32 v33, -1, v35
	v_and_b32_e32 v35, 15, v33
	v_cmp_eq_u32_e64 s[4:5], 0, v35
	v_cndmask_b32_e64 v34, v34, v32, s[4:5]
	v_cvt_i32_f32_e32 v37, v34
	v_cmp_lt_u32_e64 s[4:5], 1, v35
	v_mov_b32_dpp v36, v34 row_shr:2 row_mask:0xf bank_mask:0xf
	v_cvt_i32_f32_e32 v36, v36
	v_add_u32_e32 v36, v37, v36
	v_cvt_f32_i32_e32 v36, v36
	v_cndmask_b32_e64 v34, v34, v36, s[4:5]
	s_nop 1
	v_mov_b32_dpp v36, v34 row_shr:4 row_mask:0xf bank_mask:0xf
	v_cvt_i32_f32_e32 v37, v34
	v_cvt_i32_f32_e32 v36, v36
	v_cmp_lt_u32_e64 s[4:5], 3, v35
	v_add_u32_e32 v36, v37, v36
	v_cvt_f32_i32_e32 v36, v36
	v_cndmask_b32_e64 v34, v34, v36, s[4:5]
	s_nop 1
	v_mov_b32_dpp v36, v34 row_shr:8 row_mask:0xf bank_mask:0xf
	v_cvt_i32_f32_e32 v37, v34
	v_cvt_i32_f32_e32 v36, v36
	v_cmp_lt_u32_e64 s[4:5], 7, v35
	v_add_u32_e32 v36, v37, v36
	v_cvt_f32_i32_e32 v36, v36
	v_cndmask_b32_e64 v34, v34, v36, s[4:5]
	s_nop 1
	v_mov_b32_dpp v35, v34 row_bcast:15 row_mask:0xf bank_mask:0xf
	v_cvt_i32_f32_e32 v36, v34
	v_cvt_i32_f32_e32 v35, v35
	v_add_u32_e32 v35, v36, v35
	v_cvt_f32_i32_e32 v35, v35
	v_and_b32_e32 v36, 16, v33
	v_cmp_eq_u32_e64 s[4:5], 0, v36
	v_cndmask_b32_e64 v34, v35, v34, s[4:5]
	v_cmp_ne_u32_e64 s[4:5], 0, v33
	s_nop 0
	v_mov_b32_dpp v35, v34 row_bcast:31 row_mask:0xf bank_mask:0xf
	s_and_saveexec_b64 s[34:35], s[4:5]
; %bb.30:
	v_cvt_i32_f32_e32 v32, v34
	v_cvt_i32_f32_e32 v35, v35
	v_cmp_lt_u32_e64 s[4:5], 31, v33
	v_add_u32_e32 v32, v32, v35
	v_cvt_f32_i32_e32 v32, v32
	v_cndmask_b32_e64 v32, v34, v32, s[4:5]
; %bb.31:
	s_or_b64 exec, exec, s[34:35]
	v_add_u32_e32 v34, -1, v33
	v_and_b32_e32 v35, 64, v33
	v_cmp_lt_i32_e64 s[4:5], v34, v35
	v_cndmask_b32_e64 v33, v34, v33, s[4:5]
	v_lshlrev_b32_e32 v33, 2, v33
	ds_bpermute_b32 v32, v33, v32
	v_cmp_eq_u32_e64 s[4:5], 0, v0
	; wave barrier
	s_waitcnt lgkmcnt(0)
	v_cvt_i32_f32_e32 v32, v32
	v_add_u32_e32 v31, v31, v32
	v_cvt_f32_i32_e32 v31, v31
	v_cndmask_b32_e64 v31, v31, v15, s[4:5]
	ds_write_b32 v30, v31
	; wave barrier
	ds_read_b32 v32, v30 offset:4
	v_cvt_i32_f32_e32 v31, v31
	s_waitcnt lgkmcnt(0)
	v_cvt_i32_f32_e32 v32, v32
	v_add_u32_e32 v31, v32, v31
	v_cvt_f32_i32_e32 v31, v31
	ds_write_b32 v30, v31 offset:4
.LBB1562_32:
	s_or_b64 exec, exec, s[30:31]
	v_mul_u32_u24_e32 v30, 52, v0
	v_cmp_ne_u32_e64 s[4:5], 0, v0
	v_mov_b32_e32 v31, v15
	s_waitcnt lgkmcnt(0)
	s_barrier
	s_and_saveexec_b64 s[30:31], s[4:5]
	s_cbranch_execz .LBB1562_34
; %bb.33:
	v_add_u32_e32 v0, -1, v0
	v_lshrrev_b32_e32 v31, 5, v0
	v_add_lshl_u32 v0, v31, v0, 2
	ds_read_b32 v31, v0
.LBB1562_34:
	s_or_b64 exec, exec, s[30:31]
	s_and_saveexec_b64 s[30:31], s[4:5]
	s_cbranch_execz .LBB1562_36
; %bb.35:
	s_waitcnt lgkmcnt(0)
	v_cvt_i32_f32_e32 v0, v31
	;;#ASMSTART
	;;#ASMEND
	v_add_u32_e32 v0, v0, v18
	v_cvt_f32_i32_e32 v2, v0
	v_cvt_i32_f32_e32 v0, v2
	v_add_u32_e32 v0, v0, v1
	v_cvt_f32_i32_e32 v3, v0
	v_cvt_i32_f32_e32 v0, v3
	;; [unrolled: 3-line block ×13, first 2 shown]
	v_add_u32_e32 v0, v0, v29
	v_cvt_f32_i32_e32 v15, v0
.LBB1562_36:
	s_or_b64 exec, exec, s[30:31]
	v_add_u32_e32 v0, v16, v30
	s_waitcnt lgkmcnt(0)
	s_barrier
	ds_write2_b64 v0, v[2:3], v[4:5] offset1:1
	ds_write2_b64 v0, v[6:7], v[8:9] offset0:2 offset1:3
	ds_write2_b64 v0, v[10:11], v[12:13] offset0:4 offset1:5
	ds_write_b64 v0, v[14:15] offset:48
	s_waitcnt lgkmcnt(0)
	s_barrier
	ds_read2st64_b32 v[12:13], v16 offset0:2 offset1:4
	ds_read2st64_b32 v[10:11], v16 offset0:6 offset1:8
	ds_read2st64_b32 v[8:9], v16 offset0:10 offset1:12
	ds_read2st64_b32 v[6:7], v16 offset0:14 offset1:16
	ds_read2st64_b32 v[4:5], v16 offset0:18 offset1:20
	ds_read2st64_b32 v[2:3], v16 offset0:22 offset1:24
	ds_read_b32 v14, v16 offset:6656
	v_mov_b32_e32 v1, s29
	v_add_co_u32_e64 v0, s[4:5], s28, v16
	v_addc_co_u32_e64 v1, s[4:5], 0, v1, s[4:5]
	s_and_saveexec_b64 s[4:5], vcc
	s_cbranch_execnz .LBB1562_51
; %bb.37:
	s_or_b64 exec, exec, s[4:5]
	s_and_saveexec_b64 s[4:5], s[0:1]
	s_cbranch_execnz .LBB1562_52
.LBB1562_38:
	s_or_b64 exec, exec, s[4:5]
	s_and_saveexec_b64 s[0:1], s[2:3]
	s_cbranch_execnz .LBB1562_53
.LBB1562_39:
	s_or_b64 exec, exec, s[0:1]
	s_and_saveexec_b64 s[0:1], s[26:27]
	s_cbranch_execnz .LBB1562_54
.LBB1562_40:
	s_or_b64 exec, exec, s[0:1]
	s_and_saveexec_b64 s[0:1], s[6:7]
	s_cbranch_execnz .LBB1562_55
.LBB1562_41:
	s_or_b64 exec, exec, s[0:1]
	s_and_saveexec_b64 s[0:1], s[8:9]
	s_cbranch_execnz .LBB1562_56
.LBB1562_42:
	s_or_b64 exec, exec, s[0:1]
	s_and_saveexec_b64 s[0:1], s[10:11]
	s_cbranch_execnz .LBB1562_57
.LBB1562_43:
	s_or_b64 exec, exec, s[0:1]
	s_and_saveexec_b64 s[0:1], s[12:13]
	s_cbranch_execnz .LBB1562_58
.LBB1562_44:
	s_or_b64 exec, exec, s[0:1]
	s_and_saveexec_b64 s[0:1], s[14:15]
	s_cbranch_execnz .LBB1562_59
.LBB1562_45:
	s_or_b64 exec, exec, s[0:1]
	s_and_saveexec_b64 s[0:1], s[16:17]
	s_cbranch_execnz .LBB1562_60
.LBB1562_46:
	s_or_b64 exec, exec, s[0:1]
	s_and_saveexec_b64 s[0:1], s[18:19]
	s_cbranch_execnz .LBB1562_61
.LBB1562_47:
	s_or_b64 exec, exec, s[0:1]
	s_and_saveexec_b64 s[0:1], s[20:21]
	s_cbranch_execnz .LBB1562_62
.LBB1562_48:
	s_or_b64 exec, exec, s[0:1]
	s_and_saveexec_b64 s[0:1], s[22:23]
	s_cbranch_execnz .LBB1562_63
.LBB1562_49:
	s_or_b64 exec, exec, s[0:1]
	s_and_saveexec_b64 s[0:1], s[24:25]
	s_cbranch_execnz .LBB1562_64
.LBB1562_50:
	s_endpgm
.LBB1562_51:
	ds_read_b32 v15, v16
	s_waitcnt lgkmcnt(0)
	global_store_dword v[0:1], v15, off
	s_or_b64 exec, exec, s[4:5]
	s_and_saveexec_b64 s[4:5], s[0:1]
	s_cbranch_execz .LBB1562_38
.LBB1562_52:
	s_waitcnt lgkmcnt(6)
	global_store_dword v[0:1], v12, off offset:512
	s_or_b64 exec, exec, s[4:5]
	s_and_saveexec_b64 s[0:1], s[2:3]
	s_cbranch_execz .LBB1562_39
.LBB1562_53:
	s_waitcnt lgkmcnt(6)
	global_store_dword v[0:1], v13, off offset:1024
	s_or_b64 exec, exec, s[0:1]
	s_and_saveexec_b64 s[0:1], s[26:27]
	s_cbranch_execz .LBB1562_40
.LBB1562_54:
	s_waitcnt lgkmcnt(5)
	global_store_dword v[0:1], v10, off offset:1536
	s_or_b64 exec, exec, s[0:1]
	s_and_saveexec_b64 s[0:1], s[6:7]
	s_cbranch_execz .LBB1562_41
.LBB1562_55:
	s_waitcnt lgkmcnt(5)
	global_store_dword v[0:1], v11, off offset:2048
	s_or_b64 exec, exec, s[0:1]
	s_and_saveexec_b64 s[0:1], s[8:9]
	s_cbranch_execz .LBB1562_42
.LBB1562_56:
	s_waitcnt lgkmcnt(4)
	global_store_dword v[0:1], v8, off offset:2560
	s_or_b64 exec, exec, s[0:1]
	s_and_saveexec_b64 s[0:1], s[10:11]
	s_cbranch_execz .LBB1562_43
.LBB1562_57:
	s_waitcnt lgkmcnt(4)
	global_store_dword v[0:1], v9, off offset:3072
	s_or_b64 exec, exec, s[0:1]
	s_and_saveexec_b64 s[0:1], s[12:13]
	s_cbranch_execz .LBB1562_44
.LBB1562_58:
	s_waitcnt lgkmcnt(3)
	global_store_dword v[0:1], v6, off offset:3584
	s_or_b64 exec, exec, s[0:1]
	s_and_saveexec_b64 s[0:1], s[14:15]
	s_cbranch_execz .LBB1562_45
.LBB1562_59:
	s_waitcnt lgkmcnt(4)
	v_add_co_u32_e32 v8, vcc, 0x1000, v0
	v_addc_co_u32_e32 v9, vcc, 0, v1, vcc
	s_waitcnt lgkmcnt(3)
	global_store_dword v[8:9], v7, off
	s_or_b64 exec, exec, s[0:1]
	s_and_saveexec_b64 s[0:1], s[16:17]
	s_cbranch_execz .LBB1562_46
.LBB1562_60:
	s_waitcnt lgkmcnt(3)
	v_add_co_u32_e32 v6, vcc, 0x1000, v0
	v_addc_co_u32_e32 v7, vcc, 0, v1, vcc
	s_waitcnt lgkmcnt(2)
	global_store_dword v[6:7], v4, off offset:512
	s_or_b64 exec, exec, s[0:1]
	s_and_saveexec_b64 s[0:1], s[18:19]
	s_cbranch_execz .LBB1562_47
.LBB1562_61:
	s_waitcnt lgkmcnt(3)
	v_add_co_u32_e32 v6, vcc, 0x1000, v0
	v_addc_co_u32_e32 v7, vcc, 0, v1, vcc
	s_waitcnt lgkmcnt(2)
	global_store_dword v[6:7], v5, off offset:1024
	s_or_b64 exec, exec, s[0:1]
	s_and_saveexec_b64 s[0:1], s[20:21]
	s_cbranch_execz .LBB1562_48
.LBB1562_62:
	s_waitcnt lgkmcnt(2)
	v_add_co_u32_e32 v4, vcc, 0x1000, v0
	v_addc_co_u32_e32 v5, vcc, 0, v1, vcc
	s_waitcnt lgkmcnt(1)
	global_store_dword v[4:5], v2, off offset:1536
	s_or_b64 exec, exec, s[0:1]
	s_and_saveexec_b64 s[0:1], s[22:23]
	s_cbranch_execz .LBB1562_49
.LBB1562_63:
	s_waitcnt lgkmcnt(2)
	v_add_co_u32_e32 v4, vcc, 0x1000, v0
	v_addc_co_u32_e32 v5, vcc, 0, v1, vcc
	s_waitcnt lgkmcnt(1)
	global_store_dword v[4:5], v3, off offset:2048
	s_or_b64 exec, exec, s[0:1]
	s_and_saveexec_b64 s[0:1], s[24:25]
	s_cbranch_execz .LBB1562_50
.LBB1562_64:
	v_add_co_u32_e32 v0, vcc, 0x1000, v0
	v_addc_co_u32_e32 v1, vcc, 0, v1, vcc
	s_waitcnt lgkmcnt(0)
	global_store_dword v[0:1], v14, off offset:2560
	s_endpgm
	.section	.rodata,"a",@progbits
	.p2align	6, 0x0
	.amdhsa_kernel _ZN7rocprim17ROCPRIM_400000_NS6detail17trampoline_kernelINS0_14default_configENS1_20scan_config_selectorIfEEZZNS1_9scan_implILNS1_25lookback_scan_determinismE0ELb0ELb0ES3_N6thrust23THRUST_200600_302600_NS6detail15normal_iteratorINS9_10device_ptrIfEEEESE_fNS9_4plusIiEEfEEDaPvRmT3_T4_T5_mT6_P12ihipStream_tbENKUlT_T0_E_clISt17integral_constantIbLb0EEST_IbLb1EEEEDaSP_SQ_EUlSP_E0_NS1_11comp_targetILNS1_3genE4ELNS1_11target_archE910ELNS1_3gpuE8ELNS1_3repE0EEENS1_30default_config_static_selectorELNS0_4arch9wavefront6targetE1EEEvT1_
		.amdhsa_group_segment_fixed_size 7168
		.amdhsa_private_segment_fixed_size 0
		.amdhsa_kernarg_size 32
		.amdhsa_user_sgpr_count 6
		.amdhsa_user_sgpr_private_segment_buffer 1
		.amdhsa_user_sgpr_dispatch_ptr 0
		.amdhsa_user_sgpr_queue_ptr 0
		.amdhsa_user_sgpr_kernarg_segment_ptr 1
		.amdhsa_user_sgpr_dispatch_id 0
		.amdhsa_user_sgpr_flat_scratch_init 0
		.amdhsa_user_sgpr_kernarg_preload_length 0
		.amdhsa_user_sgpr_kernarg_preload_offset 0
		.amdhsa_user_sgpr_private_segment_size 0
		.amdhsa_uses_dynamic_stack 0
		.amdhsa_system_sgpr_private_segment_wavefront_offset 0
		.amdhsa_system_sgpr_workgroup_id_x 1
		.amdhsa_system_sgpr_workgroup_id_y 0
		.amdhsa_system_sgpr_workgroup_id_z 0
		.amdhsa_system_sgpr_workgroup_info 0
		.amdhsa_system_vgpr_workitem_id 0
		.amdhsa_next_free_vgpr 38
		.amdhsa_next_free_sgpr 36
		.amdhsa_accum_offset 40
		.amdhsa_reserve_vcc 1
		.amdhsa_reserve_flat_scratch 0
		.amdhsa_float_round_mode_32 0
		.amdhsa_float_round_mode_16_64 0
		.amdhsa_float_denorm_mode_32 3
		.amdhsa_float_denorm_mode_16_64 3
		.amdhsa_dx10_clamp 1
		.amdhsa_ieee_mode 1
		.amdhsa_fp16_overflow 0
		.amdhsa_tg_split 0
		.amdhsa_exception_fp_ieee_invalid_op 0
		.amdhsa_exception_fp_denorm_src 0
		.amdhsa_exception_fp_ieee_div_zero 0
		.amdhsa_exception_fp_ieee_overflow 0
		.amdhsa_exception_fp_ieee_underflow 0
		.amdhsa_exception_fp_ieee_inexact 0
		.amdhsa_exception_int_div_zero 0
	.end_amdhsa_kernel
	.section	.text._ZN7rocprim17ROCPRIM_400000_NS6detail17trampoline_kernelINS0_14default_configENS1_20scan_config_selectorIfEEZZNS1_9scan_implILNS1_25lookback_scan_determinismE0ELb0ELb0ES3_N6thrust23THRUST_200600_302600_NS6detail15normal_iteratorINS9_10device_ptrIfEEEESE_fNS9_4plusIiEEfEEDaPvRmT3_T4_T5_mT6_P12ihipStream_tbENKUlT_T0_E_clISt17integral_constantIbLb0EEST_IbLb1EEEEDaSP_SQ_EUlSP_E0_NS1_11comp_targetILNS1_3genE4ELNS1_11target_archE910ELNS1_3gpuE8ELNS1_3repE0EEENS1_30default_config_static_selectorELNS0_4arch9wavefront6targetE1EEEvT1_,"axG",@progbits,_ZN7rocprim17ROCPRIM_400000_NS6detail17trampoline_kernelINS0_14default_configENS1_20scan_config_selectorIfEEZZNS1_9scan_implILNS1_25lookback_scan_determinismE0ELb0ELb0ES3_N6thrust23THRUST_200600_302600_NS6detail15normal_iteratorINS9_10device_ptrIfEEEESE_fNS9_4plusIiEEfEEDaPvRmT3_T4_T5_mT6_P12ihipStream_tbENKUlT_T0_E_clISt17integral_constantIbLb0EEST_IbLb1EEEEDaSP_SQ_EUlSP_E0_NS1_11comp_targetILNS1_3genE4ELNS1_11target_archE910ELNS1_3gpuE8ELNS1_3repE0EEENS1_30default_config_static_selectorELNS0_4arch9wavefront6targetE1EEEvT1_,comdat
.Lfunc_end1562:
	.size	_ZN7rocprim17ROCPRIM_400000_NS6detail17trampoline_kernelINS0_14default_configENS1_20scan_config_selectorIfEEZZNS1_9scan_implILNS1_25lookback_scan_determinismE0ELb0ELb0ES3_N6thrust23THRUST_200600_302600_NS6detail15normal_iteratorINS9_10device_ptrIfEEEESE_fNS9_4plusIiEEfEEDaPvRmT3_T4_T5_mT6_P12ihipStream_tbENKUlT_T0_E_clISt17integral_constantIbLb0EEST_IbLb1EEEEDaSP_SQ_EUlSP_E0_NS1_11comp_targetILNS1_3genE4ELNS1_11target_archE910ELNS1_3gpuE8ELNS1_3repE0EEENS1_30default_config_static_selectorELNS0_4arch9wavefront6targetE1EEEvT1_, .Lfunc_end1562-_ZN7rocprim17ROCPRIM_400000_NS6detail17trampoline_kernelINS0_14default_configENS1_20scan_config_selectorIfEEZZNS1_9scan_implILNS1_25lookback_scan_determinismE0ELb0ELb0ES3_N6thrust23THRUST_200600_302600_NS6detail15normal_iteratorINS9_10device_ptrIfEEEESE_fNS9_4plusIiEEfEEDaPvRmT3_T4_T5_mT6_P12ihipStream_tbENKUlT_T0_E_clISt17integral_constantIbLb0EEST_IbLb1EEEEDaSP_SQ_EUlSP_E0_NS1_11comp_targetILNS1_3genE4ELNS1_11target_archE910ELNS1_3gpuE8ELNS1_3repE0EEENS1_30default_config_static_selectorELNS0_4arch9wavefront6targetE1EEEvT1_
                                        ; -- End function
	.section	.AMDGPU.csdata,"",@progbits
; Kernel info:
; codeLenInByte = 2404
; NumSgprs: 40
; NumVgprs: 38
; NumAgprs: 0
; TotalNumVgprs: 38
; ScratchSize: 0
; MemoryBound: 0
; FloatMode: 240
; IeeeMode: 1
; LDSByteSize: 7168 bytes/workgroup (compile time only)
; SGPRBlocks: 4
; VGPRBlocks: 4
; NumSGPRsForWavesPerEU: 40
; NumVGPRsForWavesPerEU: 38
; AccumOffset: 40
; Occupancy: 5
; WaveLimiterHint : 0
; COMPUTE_PGM_RSRC2:SCRATCH_EN: 0
; COMPUTE_PGM_RSRC2:USER_SGPR: 6
; COMPUTE_PGM_RSRC2:TRAP_HANDLER: 0
; COMPUTE_PGM_RSRC2:TGID_X_EN: 1
; COMPUTE_PGM_RSRC2:TGID_Y_EN: 0
; COMPUTE_PGM_RSRC2:TGID_Z_EN: 0
; COMPUTE_PGM_RSRC2:TIDIG_COMP_CNT: 0
; COMPUTE_PGM_RSRC3_GFX90A:ACCUM_OFFSET: 9
; COMPUTE_PGM_RSRC3_GFX90A:TG_SPLIT: 0
	.section	.text._ZN7rocprim17ROCPRIM_400000_NS6detail17trampoline_kernelINS0_14default_configENS1_20scan_config_selectorIfEEZZNS1_9scan_implILNS1_25lookback_scan_determinismE0ELb0ELb0ES3_N6thrust23THRUST_200600_302600_NS6detail15normal_iteratorINS9_10device_ptrIfEEEESE_fNS9_4plusIiEEfEEDaPvRmT3_T4_T5_mT6_P12ihipStream_tbENKUlT_T0_E_clISt17integral_constantIbLb0EEST_IbLb1EEEEDaSP_SQ_EUlSP_E0_NS1_11comp_targetILNS1_3genE3ELNS1_11target_archE908ELNS1_3gpuE7ELNS1_3repE0EEENS1_30default_config_static_selectorELNS0_4arch9wavefront6targetE1EEEvT1_,"axG",@progbits,_ZN7rocprim17ROCPRIM_400000_NS6detail17trampoline_kernelINS0_14default_configENS1_20scan_config_selectorIfEEZZNS1_9scan_implILNS1_25lookback_scan_determinismE0ELb0ELb0ES3_N6thrust23THRUST_200600_302600_NS6detail15normal_iteratorINS9_10device_ptrIfEEEESE_fNS9_4plusIiEEfEEDaPvRmT3_T4_T5_mT6_P12ihipStream_tbENKUlT_T0_E_clISt17integral_constantIbLb0EEST_IbLb1EEEEDaSP_SQ_EUlSP_E0_NS1_11comp_targetILNS1_3genE3ELNS1_11target_archE908ELNS1_3gpuE7ELNS1_3repE0EEENS1_30default_config_static_selectorELNS0_4arch9wavefront6targetE1EEEvT1_,comdat
	.protected	_ZN7rocprim17ROCPRIM_400000_NS6detail17trampoline_kernelINS0_14default_configENS1_20scan_config_selectorIfEEZZNS1_9scan_implILNS1_25lookback_scan_determinismE0ELb0ELb0ES3_N6thrust23THRUST_200600_302600_NS6detail15normal_iteratorINS9_10device_ptrIfEEEESE_fNS9_4plusIiEEfEEDaPvRmT3_T4_T5_mT6_P12ihipStream_tbENKUlT_T0_E_clISt17integral_constantIbLb0EEST_IbLb1EEEEDaSP_SQ_EUlSP_E0_NS1_11comp_targetILNS1_3genE3ELNS1_11target_archE908ELNS1_3gpuE7ELNS1_3repE0EEENS1_30default_config_static_selectorELNS0_4arch9wavefront6targetE1EEEvT1_ ; -- Begin function _ZN7rocprim17ROCPRIM_400000_NS6detail17trampoline_kernelINS0_14default_configENS1_20scan_config_selectorIfEEZZNS1_9scan_implILNS1_25lookback_scan_determinismE0ELb0ELb0ES3_N6thrust23THRUST_200600_302600_NS6detail15normal_iteratorINS9_10device_ptrIfEEEESE_fNS9_4plusIiEEfEEDaPvRmT3_T4_T5_mT6_P12ihipStream_tbENKUlT_T0_E_clISt17integral_constantIbLb0EEST_IbLb1EEEEDaSP_SQ_EUlSP_E0_NS1_11comp_targetILNS1_3genE3ELNS1_11target_archE908ELNS1_3gpuE7ELNS1_3repE0EEENS1_30default_config_static_selectorELNS0_4arch9wavefront6targetE1EEEvT1_
	.globl	_ZN7rocprim17ROCPRIM_400000_NS6detail17trampoline_kernelINS0_14default_configENS1_20scan_config_selectorIfEEZZNS1_9scan_implILNS1_25lookback_scan_determinismE0ELb0ELb0ES3_N6thrust23THRUST_200600_302600_NS6detail15normal_iteratorINS9_10device_ptrIfEEEESE_fNS9_4plusIiEEfEEDaPvRmT3_T4_T5_mT6_P12ihipStream_tbENKUlT_T0_E_clISt17integral_constantIbLb0EEST_IbLb1EEEEDaSP_SQ_EUlSP_E0_NS1_11comp_targetILNS1_3genE3ELNS1_11target_archE908ELNS1_3gpuE7ELNS1_3repE0EEENS1_30default_config_static_selectorELNS0_4arch9wavefront6targetE1EEEvT1_
	.p2align	8
	.type	_ZN7rocprim17ROCPRIM_400000_NS6detail17trampoline_kernelINS0_14default_configENS1_20scan_config_selectorIfEEZZNS1_9scan_implILNS1_25lookback_scan_determinismE0ELb0ELb0ES3_N6thrust23THRUST_200600_302600_NS6detail15normal_iteratorINS9_10device_ptrIfEEEESE_fNS9_4plusIiEEfEEDaPvRmT3_T4_T5_mT6_P12ihipStream_tbENKUlT_T0_E_clISt17integral_constantIbLb0EEST_IbLb1EEEEDaSP_SQ_EUlSP_E0_NS1_11comp_targetILNS1_3genE3ELNS1_11target_archE908ELNS1_3gpuE7ELNS1_3repE0EEENS1_30default_config_static_selectorELNS0_4arch9wavefront6targetE1EEEvT1_,@function
_ZN7rocprim17ROCPRIM_400000_NS6detail17trampoline_kernelINS0_14default_configENS1_20scan_config_selectorIfEEZZNS1_9scan_implILNS1_25lookback_scan_determinismE0ELb0ELb0ES3_N6thrust23THRUST_200600_302600_NS6detail15normal_iteratorINS9_10device_ptrIfEEEESE_fNS9_4plusIiEEfEEDaPvRmT3_T4_T5_mT6_P12ihipStream_tbENKUlT_T0_E_clISt17integral_constantIbLb0EEST_IbLb1EEEEDaSP_SQ_EUlSP_E0_NS1_11comp_targetILNS1_3genE3ELNS1_11target_archE908ELNS1_3gpuE7ELNS1_3repE0EEENS1_30default_config_static_selectorELNS0_4arch9wavefront6targetE1EEEvT1_: ; @_ZN7rocprim17ROCPRIM_400000_NS6detail17trampoline_kernelINS0_14default_configENS1_20scan_config_selectorIfEEZZNS1_9scan_implILNS1_25lookback_scan_determinismE0ELb0ELb0ES3_N6thrust23THRUST_200600_302600_NS6detail15normal_iteratorINS9_10device_ptrIfEEEESE_fNS9_4plusIiEEfEEDaPvRmT3_T4_T5_mT6_P12ihipStream_tbENKUlT_T0_E_clISt17integral_constantIbLb0EEST_IbLb1EEEEDaSP_SQ_EUlSP_E0_NS1_11comp_targetILNS1_3genE3ELNS1_11target_archE908ELNS1_3gpuE7ELNS1_3repE0EEENS1_30default_config_static_selectorELNS0_4arch9wavefront6targetE1EEEvT1_
; %bb.0:
	.section	.rodata,"a",@progbits
	.p2align	6, 0x0
	.amdhsa_kernel _ZN7rocprim17ROCPRIM_400000_NS6detail17trampoline_kernelINS0_14default_configENS1_20scan_config_selectorIfEEZZNS1_9scan_implILNS1_25lookback_scan_determinismE0ELb0ELb0ES3_N6thrust23THRUST_200600_302600_NS6detail15normal_iteratorINS9_10device_ptrIfEEEESE_fNS9_4plusIiEEfEEDaPvRmT3_T4_T5_mT6_P12ihipStream_tbENKUlT_T0_E_clISt17integral_constantIbLb0EEST_IbLb1EEEEDaSP_SQ_EUlSP_E0_NS1_11comp_targetILNS1_3genE3ELNS1_11target_archE908ELNS1_3gpuE7ELNS1_3repE0EEENS1_30default_config_static_selectorELNS0_4arch9wavefront6targetE1EEEvT1_
		.amdhsa_group_segment_fixed_size 0
		.amdhsa_private_segment_fixed_size 0
		.amdhsa_kernarg_size 32
		.amdhsa_user_sgpr_count 6
		.amdhsa_user_sgpr_private_segment_buffer 1
		.amdhsa_user_sgpr_dispatch_ptr 0
		.amdhsa_user_sgpr_queue_ptr 0
		.amdhsa_user_sgpr_kernarg_segment_ptr 1
		.amdhsa_user_sgpr_dispatch_id 0
		.amdhsa_user_sgpr_flat_scratch_init 0
		.amdhsa_user_sgpr_kernarg_preload_length 0
		.amdhsa_user_sgpr_kernarg_preload_offset 0
		.amdhsa_user_sgpr_private_segment_size 0
		.amdhsa_uses_dynamic_stack 0
		.amdhsa_system_sgpr_private_segment_wavefront_offset 0
		.amdhsa_system_sgpr_workgroup_id_x 1
		.amdhsa_system_sgpr_workgroup_id_y 0
		.amdhsa_system_sgpr_workgroup_id_z 0
		.amdhsa_system_sgpr_workgroup_info 0
		.amdhsa_system_vgpr_workitem_id 0
		.amdhsa_next_free_vgpr 1
		.amdhsa_next_free_sgpr 0
		.amdhsa_accum_offset 4
		.amdhsa_reserve_vcc 0
		.amdhsa_reserve_flat_scratch 0
		.amdhsa_float_round_mode_32 0
		.amdhsa_float_round_mode_16_64 0
		.amdhsa_float_denorm_mode_32 3
		.amdhsa_float_denorm_mode_16_64 3
		.amdhsa_dx10_clamp 1
		.amdhsa_ieee_mode 1
		.amdhsa_fp16_overflow 0
		.amdhsa_tg_split 0
		.amdhsa_exception_fp_ieee_invalid_op 0
		.amdhsa_exception_fp_denorm_src 0
		.amdhsa_exception_fp_ieee_div_zero 0
		.amdhsa_exception_fp_ieee_overflow 0
		.amdhsa_exception_fp_ieee_underflow 0
		.amdhsa_exception_fp_ieee_inexact 0
		.amdhsa_exception_int_div_zero 0
	.end_amdhsa_kernel
	.section	.text._ZN7rocprim17ROCPRIM_400000_NS6detail17trampoline_kernelINS0_14default_configENS1_20scan_config_selectorIfEEZZNS1_9scan_implILNS1_25lookback_scan_determinismE0ELb0ELb0ES3_N6thrust23THRUST_200600_302600_NS6detail15normal_iteratorINS9_10device_ptrIfEEEESE_fNS9_4plusIiEEfEEDaPvRmT3_T4_T5_mT6_P12ihipStream_tbENKUlT_T0_E_clISt17integral_constantIbLb0EEST_IbLb1EEEEDaSP_SQ_EUlSP_E0_NS1_11comp_targetILNS1_3genE3ELNS1_11target_archE908ELNS1_3gpuE7ELNS1_3repE0EEENS1_30default_config_static_selectorELNS0_4arch9wavefront6targetE1EEEvT1_,"axG",@progbits,_ZN7rocprim17ROCPRIM_400000_NS6detail17trampoline_kernelINS0_14default_configENS1_20scan_config_selectorIfEEZZNS1_9scan_implILNS1_25lookback_scan_determinismE0ELb0ELb0ES3_N6thrust23THRUST_200600_302600_NS6detail15normal_iteratorINS9_10device_ptrIfEEEESE_fNS9_4plusIiEEfEEDaPvRmT3_T4_T5_mT6_P12ihipStream_tbENKUlT_T0_E_clISt17integral_constantIbLb0EEST_IbLb1EEEEDaSP_SQ_EUlSP_E0_NS1_11comp_targetILNS1_3genE3ELNS1_11target_archE908ELNS1_3gpuE7ELNS1_3repE0EEENS1_30default_config_static_selectorELNS0_4arch9wavefront6targetE1EEEvT1_,comdat
.Lfunc_end1563:
	.size	_ZN7rocprim17ROCPRIM_400000_NS6detail17trampoline_kernelINS0_14default_configENS1_20scan_config_selectorIfEEZZNS1_9scan_implILNS1_25lookback_scan_determinismE0ELb0ELb0ES3_N6thrust23THRUST_200600_302600_NS6detail15normal_iteratorINS9_10device_ptrIfEEEESE_fNS9_4plusIiEEfEEDaPvRmT3_T4_T5_mT6_P12ihipStream_tbENKUlT_T0_E_clISt17integral_constantIbLb0EEST_IbLb1EEEEDaSP_SQ_EUlSP_E0_NS1_11comp_targetILNS1_3genE3ELNS1_11target_archE908ELNS1_3gpuE7ELNS1_3repE0EEENS1_30default_config_static_selectorELNS0_4arch9wavefront6targetE1EEEvT1_, .Lfunc_end1563-_ZN7rocprim17ROCPRIM_400000_NS6detail17trampoline_kernelINS0_14default_configENS1_20scan_config_selectorIfEEZZNS1_9scan_implILNS1_25lookback_scan_determinismE0ELb0ELb0ES3_N6thrust23THRUST_200600_302600_NS6detail15normal_iteratorINS9_10device_ptrIfEEEESE_fNS9_4plusIiEEfEEDaPvRmT3_T4_T5_mT6_P12ihipStream_tbENKUlT_T0_E_clISt17integral_constantIbLb0EEST_IbLb1EEEEDaSP_SQ_EUlSP_E0_NS1_11comp_targetILNS1_3genE3ELNS1_11target_archE908ELNS1_3gpuE7ELNS1_3repE0EEENS1_30default_config_static_selectorELNS0_4arch9wavefront6targetE1EEEvT1_
                                        ; -- End function
	.section	.AMDGPU.csdata,"",@progbits
; Kernel info:
; codeLenInByte = 0
; NumSgprs: 4
; NumVgprs: 0
; NumAgprs: 0
; TotalNumVgprs: 0
; ScratchSize: 0
; MemoryBound: 0
; FloatMode: 240
; IeeeMode: 1
; LDSByteSize: 0 bytes/workgroup (compile time only)
; SGPRBlocks: 0
; VGPRBlocks: 0
; NumSGPRsForWavesPerEU: 4
; NumVGPRsForWavesPerEU: 1
; AccumOffset: 4
; Occupancy: 8
; WaveLimiterHint : 0
; COMPUTE_PGM_RSRC2:SCRATCH_EN: 0
; COMPUTE_PGM_RSRC2:USER_SGPR: 6
; COMPUTE_PGM_RSRC2:TRAP_HANDLER: 0
; COMPUTE_PGM_RSRC2:TGID_X_EN: 1
; COMPUTE_PGM_RSRC2:TGID_Y_EN: 0
; COMPUTE_PGM_RSRC2:TGID_Z_EN: 0
; COMPUTE_PGM_RSRC2:TIDIG_COMP_CNT: 0
; COMPUTE_PGM_RSRC3_GFX90A:ACCUM_OFFSET: 0
; COMPUTE_PGM_RSRC3_GFX90A:TG_SPLIT: 0
	.section	.text._ZN7rocprim17ROCPRIM_400000_NS6detail17trampoline_kernelINS0_14default_configENS1_20scan_config_selectorIfEEZZNS1_9scan_implILNS1_25lookback_scan_determinismE0ELb0ELb0ES3_N6thrust23THRUST_200600_302600_NS6detail15normal_iteratorINS9_10device_ptrIfEEEESE_fNS9_4plusIiEEfEEDaPvRmT3_T4_T5_mT6_P12ihipStream_tbENKUlT_T0_E_clISt17integral_constantIbLb0EEST_IbLb1EEEEDaSP_SQ_EUlSP_E0_NS1_11comp_targetILNS1_3genE2ELNS1_11target_archE906ELNS1_3gpuE6ELNS1_3repE0EEENS1_30default_config_static_selectorELNS0_4arch9wavefront6targetE1EEEvT1_,"axG",@progbits,_ZN7rocprim17ROCPRIM_400000_NS6detail17trampoline_kernelINS0_14default_configENS1_20scan_config_selectorIfEEZZNS1_9scan_implILNS1_25lookback_scan_determinismE0ELb0ELb0ES3_N6thrust23THRUST_200600_302600_NS6detail15normal_iteratorINS9_10device_ptrIfEEEESE_fNS9_4plusIiEEfEEDaPvRmT3_T4_T5_mT6_P12ihipStream_tbENKUlT_T0_E_clISt17integral_constantIbLb0EEST_IbLb1EEEEDaSP_SQ_EUlSP_E0_NS1_11comp_targetILNS1_3genE2ELNS1_11target_archE906ELNS1_3gpuE6ELNS1_3repE0EEENS1_30default_config_static_selectorELNS0_4arch9wavefront6targetE1EEEvT1_,comdat
	.protected	_ZN7rocprim17ROCPRIM_400000_NS6detail17trampoline_kernelINS0_14default_configENS1_20scan_config_selectorIfEEZZNS1_9scan_implILNS1_25lookback_scan_determinismE0ELb0ELb0ES3_N6thrust23THRUST_200600_302600_NS6detail15normal_iteratorINS9_10device_ptrIfEEEESE_fNS9_4plusIiEEfEEDaPvRmT3_T4_T5_mT6_P12ihipStream_tbENKUlT_T0_E_clISt17integral_constantIbLb0EEST_IbLb1EEEEDaSP_SQ_EUlSP_E0_NS1_11comp_targetILNS1_3genE2ELNS1_11target_archE906ELNS1_3gpuE6ELNS1_3repE0EEENS1_30default_config_static_selectorELNS0_4arch9wavefront6targetE1EEEvT1_ ; -- Begin function _ZN7rocprim17ROCPRIM_400000_NS6detail17trampoline_kernelINS0_14default_configENS1_20scan_config_selectorIfEEZZNS1_9scan_implILNS1_25lookback_scan_determinismE0ELb0ELb0ES3_N6thrust23THRUST_200600_302600_NS6detail15normal_iteratorINS9_10device_ptrIfEEEESE_fNS9_4plusIiEEfEEDaPvRmT3_T4_T5_mT6_P12ihipStream_tbENKUlT_T0_E_clISt17integral_constantIbLb0EEST_IbLb1EEEEDaSP_SQ_EUlSP_E0_NS1_11comp_targetILNS1_3genE2ELNS1_11target_archE906ELNS1_3gpuE6ELNS1_3repE0EEENS1_30default_config_static_selectorELNS0_4arch9wavefront6targetE1EEEvT1_
	.globl	_ZN7rocprim17ROCPRIM_400000_NS6detail17trampoline_kernelINS0_14default_configENS1_20scan_config_selectorIfEEZZNS1_9scan_implILNS1_25lookback_scan_determinismE0ELb0ELb0ES3_N6thrust23THRUST_200600_302600_NS6detail15normal_iteratorINS9_10device_ptrIfEEEESE_fNS9_4plusIiEEfEEDaPvRmT3_T4_T5_mT6_P12ihipStream_tbENKUlT_T0_E_clISt17integral_constantIbLb0EEST_IbLb1EEEEDaSP_SQ_EUlSP_E0_NS1_11comp_targetILNS1_3genE2ELNS1_11target_archE906ELNS1_3gpuE6ELNS1_3repE0EEENS1_30default_config_static_selectorELNS0_4arch9wavefront6targetE1EEEvT1_
	.p2align	8
	.type	_ZN7rocprim17ROCPRIM_400000_NS6detail17trampoline_kernelINS0_14default_configENS1_20scan_config_selectorIfEEZZNS1_9scan_implILNS1_25lookback_scan_determinismE0ELb0ELb0ES3_N6thrust23THRUST_200600_302600_NS6detail15normal_iteratorINS9_10device_ptrIfEEEESE_fNS9_4plusIiEEfEEDaPvRmT3_T4_T5_mT6_P12ihipStream_tbENKUlT_T0_E_clISt17integral_constantIbLb0EEST_IbLb1EEEEDaSP_SQ_EUlSP_E0_NS1_11comp_targetILNS1_3genE2ELNS1_11target_archE906ELNS1_3gpuE6ELNS1_3repE0EEENS1_30default_config_static_selectorELNS0_4arch9wavefront6targetE1EEEvT1_,@function
_ZN7rocprim17ROCPRIM_400000_NS6detail17trampoline_kernelINS0_14default_configENS1_20scan_config_selectorIfEEZZNS1_9scan_implILNS1_25lookback_scan_determinismE0ELb0ELb0ES3_N6thrust23THRUST_200600_302600_NS6detail15normal_iteratorINS9_10device_ptrIfEEEESE_fNS9_4plusIiEEfEEDaPvRmT3_T4_T5_mT6_P12ihipStream_tbENKUlT_T0_E_clISt17integral_constantIbLb0EEST_IbLb1EEEEDaSP_SQ_EUlSP_E0_NS1_11comp_targetILNS1_3genE2ELNS1_11target_archE906ELNS1_3gpuE6ELNS1_3repE0EEENS1_30default_config_static_selectorELNS0_4arch9wavefront6targetE1EEEvT1_: ; @_ZN7rocprim17ROCPRIM_400000_NS6detail17trampoline_kernelINS0_14default_configENS1_20scan_config_selectorIfEEZZNS1_9scan_implILNS1_25lookback_scan_determinismE0ELb0ELb0ES3_N6thrust23THRUST_200600_302600_NS6detail15normal_iteratorINS9_10device_ptrIfEEEESE_fNS9_4plusIiEEfEEDaPvRmT3_T4_T5_mT6_P12ihipStream_tbENKUlT_T0_E_clISt17integral_constantIbLb0EEST_IbLb1EEEEDaSP_SQ_EUlSP_E0_NS1_11comp_targetILNS1_3genE2ELNS1_11target_archE906ELNS1_3gpuE6ELNS1_3repE0EEENS1_30default_config_static_selectorELNS0_4arch9wavefront6targetE1EEEvT1_
; %bb.0:
	.section	.rodata,"a",@progbits
	.p2align	6, 0x0
	.amdhsa_kernel _ZN7rocprim17ROCPRIM_400000_NS6detail17trampoline_kernelINS0_14default_configENS1_20scan_config_selectorIfEEZZNS1_9scan_implILNS1_25lookback_scan_determinismE0ELb0ELb0ES3_N6thrust23THRUST_200600_302600_NS6detail15normal_iteratorINS9_10device_ptrIfEEEESE_fNS9_4plusIiEEfEEDaPvRmT3_T4_T5_mT6_P12ihipStream_tbENKUlT_T0_E_clISt17integral_constantIbLb0EEST_IbLb1EEEEDaSP_SQ_EUlSP_E0_NS1_11comp_targetILNS1_3genE2ELNS1_11target_archE906ELNS1_3gpuE6ELNS1_3repE0EEENS1_30default_config_static_selectorELNS0_4arch9wavefront6targetE1EEEvT1_
		.amdhsa_group_segment_fixed_size 0
		.amdhsa_private_segment_fixed_size 0
		.amdhsa_kernarg_size 32
		.amdhsa_user_sgpr_count 6
		.amdhsa_user_sgpr_private_segment_buffer 1
		.amdhsa_user_sgpr_dispatch_ptr 0
		.amdhsa_user_sgpr_queue_ptr 0
		.amdhsa_user_sgpr_kernarg_segment_ptr 1
		.amdhsa_user_sgpr_dispatch_id 0
		.amdhsa_user_sgpr_flat_scratch_init 0
		.amdhsa_user_sgpr_kernarg_preload_length 0
		.amdhsa_user_sgpr_kernarg_preload_offset 0
		.amdhsa_user_sgpr_private_segment_size 0
		.amdhsa_uses_dynamic_stack 0
		.amdhsa_system_sgpr_private_segment_wavefront_offset 0
		.amdhsa_system_sgpr_workgroup_id_x 1
		.amdhsa_system_sgpr_workgroup_id_y 0
		.amdhsa_system_sgpr_workgroup_id_z 0
		.amdhsa_system_sgpr_workgroup_info 0
		.amdhsa_system_vgpr_workitem_id 0
		.amdhsa_next_free_vgpr 1
		.amdhsa_next_free_sgpr 0
		.amdhsa_accum_offset 4
		.amdhsa_reserve_vcc 0
		.amdhsa_reserve_flat_scratch 0
		.amdhsa_float_round_mode_32 0
		.amdhsa_float_round_mode_16_64 0
		.amdhsa_float_denorm_mode_32 3
		.amdhsa_float_denorm_mode_16_64 3
		.amdhsa_dx10_clamp 1
		.amdhsa_ieee_mode 1
		.amdhsa_fp16_overflow 0
		.amdhsa_tg_split 0
		.amdhsa_exception_fp_ieee_invalid_op 0
		.amdhsa_exception_fp_denorm_src 0
		.amdhsa_exception_fp_ieee_div_zero 0
		.amdhsa_exception_fp_ieee_overflow 0
		.amdhsa_exception_fp_ieee_underflow 0
		.amdhsa_exception_fp_ieee_inexact 0
		.amdhsa_exception_int_div_zero 0
	.end_amdhsa_kernel
	.section	.text._ZN7rocprim17ROCPRIM_400000_NS6detail17trampoline_kernelINS0_14default_configENS1_20scan_config_selectorIfEEZZNS1_9scan_implILNS1_25lookback_scan_determinismE0ELb0ELb0ES3_N6thrust23THRUST_200600_302600_NS6detail15normal_iteratorINS9_10device_ptrIfEEEESE_fNS9_4plusIiEEfEEDaPvRmT3_T4_T5_mT6_P12ihipStream_tbENKUlT_T0_E_clISt17integral_constantIbLb0EEST_IbLb1EEEEDaSP_SQ_EUlSP_E0_NS1_11comp_targetILNS1_3genE2ELNS1_11target_archE906ELNS1_3gpuE6ELNS1_3repE0EEENS1_30default_config_static_selectorELNS0_4arch9wavefront6targetE1EEEvT1_,"axG",@progbits,_ZN7rocprim17ROCPRIM_400000_NS6detail17trampoline_kernelINS0_14default_configENS1_20scan_config_selectorIfEEZZNS1_9scan_implILNS1_25lookback_scan_determinismE0ELb0ELb0ES3_N6thrust23THRUST_200600_302600_NS6detail15normal_iteratorINS9_10device_ptrIfEEEESE_fNS9_4plusIiEEfEEDaPvRmT3_T4_T5_mT6_P12ihipStream_tbENKUlT_T0_E_clISt17integral_constantIbLb0EEST_IbLb1EEEEDaSP_SQ_EUlSP_E0_NS1_11comp_targetILNS1_3genE2ELNS1_11target_archE906ELNS1_3gpuE6ELNS1_3repE0EEENS1_30default_config_static_selectorELNS0_4arch9wavefront6targetE1EEEvT1_,comdat
.Lfunc_end1564:
	.size	_ZN7rocprim17ROCPRIM_400000_NS6detail17trampoline_kernelINS0_14default_configENS1_20scan_config_selectorIfEEZZNS1_9scan_implILNS1_25lookback_scan_determinismE0ELb0ELb0ES3_N6thrust23THRUST_200600_302600_NS6detail15normal_iteratorINS9_10device_ptrIfEEEESE_fNS9_4plusIiEEfEEDaPvRmT3_T4_T5_mT6_P12ihipStream_tbENKUlT_T0_E_clISt17integral_constantIbLb0EEST_IbLb1EEEEDaSP_SQ_EUlSP_E0_NS1_11comp_targetILNS1_3genE2ELNS1_11target_archE906ELNS1_3gpuE6ELNS1_3repE0EEENS1_30default_config_static_selectorELNS0_4arch9wavefront6targetE1EEEvT1_, .Lfunc_end1564-_ZN7rocprim17ROCPRIM_400000_NS6detail17trampoline_kernelINS0_14default_configENS1_20scan_config_selectorIfEEZZNS1_9scan_implILNS1_25lookback_scan_determinismE0ELb0ELb0ES3_N6thrust23THRUST_200600_302600_NS6detail15normal_iteratorINS9_10device_ptrIfEEEESE_fNS9_4plusIiEEfEEDaPvRmT3_T4_T5_mT6_P12ihipStream_tbENKUlT_T0_E_clISt17integral_constantIbLb0EEST_IbLb1EEEEDaSP_SQ_EUlSP_E0_NS1_11comp_targetILNS1_3genE2ELNS1_11target_archE906ELNS1_3gpuE6ELNS1_3repE0EEENS1_30default_config_static_selectorELNS0_4arch9wavefront6targetE1EEEvT1_
                                        ; -- End function
	.section	.AMDGPU.csdata,"",@progbits
; Kernel info:
; codeLenInByte = 0
; NumSgprs: 4
; NumVgprs: 0
; NumAgprs: 0
; TotalNumVgprs: 0
; ScratchSize: 0
; MemoryBound: 0
; FloatMode: 240
; IeeeMode: 1
; LDSByteSize: 0 bytes/workgroup (compile time only)
; SGPRBlocks: 0
; VGPRBlocks: 0
; NumSGPRsForWavesPerEU: 4
; NumVGPRsForWavesPerEU: 1
; AccumOffset: 4
; Occupancy: 8
; WaveLimiterHint : 0
; COMPUTE_PGM_RSRC2:SCRATCH_EN: 0
; COMPUTE_PGM_RSRC2:USER_SGPR: 6
; COMPUTE_PGM_RSRC2:TRAP_HANDLER: 0
; COMPUTE_PGM_RSRC2:TGID_X_EN: 1
; COMPUTE_PGM_RSRC2:TGID_Y_EN: 0
; COMPUTE_PGM_RSRC2:TGID_Z_EN: 0
; COMPUTE_PGM_RSRC2:TIDIG_COMP_CNT: 0
; COMPUTE_PGM_RSRC3_GFX90A:ACCUM_OFFSET: 0
; COMPUTE_PGM_RSRC3_GFX90A:TG_SPLIT: 0
	.section	.text._ZN7rocprim17ROCPRIM_400000_NS6detail17trampoline_kernelINS0_14default_configENS1_20scan_config_selectorIfEEZZNS1_9scan_implILNS1_25lookback_scan_determinismE0ELb0ELb0ES3_N6thrust23THRUST_200600_302600_NS6detail15normal_iteratorINS9_10device_ptrIfEEEESE_fNS9_4plusIiEEfEEDaPvRmT3_T4_T5_mT6_P12ihipStream_tbENKUlT_T0_E_clISt17integral_constantIbLb0EEST_IbLb1EEEEDaSP_SQ_EUlSP_E0_NS1_11comp_targetILNS1_3genE10ELNS1_11target_archE1201ELNS1_3gpuE5ELNS1_3repE0EEENS1_30default_config_static_selectorELNS0_4arch9wavefront6targetE1EEEvT1_,"axG",@progbits,_ZN7rocprim17ROCPRIM_400000_NS6detail17trampoline_kernelINS0_14default_configENS1_20scan_config_selectorIfEEZZNS1_9scan_implILNS1_25lookback_scan_determinismE0ELb0ELb0ES3_N6thrust23THRUST_200600_302600_NS6detail15normal_iteratorINS9_10device_ptrIfEEEESE_fNS9_4plusIiEEfEEDaPvRmT3_T4_T5_mT6_P12ihipStream_tbENKUlT_T0_E_clISt17integral_constantIbLb0EEST_IbLb1EEEEDaSP_SQ_EUlSP_E0_NS1_11comp_targetILNS1_3genE10ELNS1_11target_archE1201ELNS1_3gpuE5ELNS1_3repE0EEENS1_30default_config_static_selectorELNS0_4arch9wavefront6targetE1EEEvT1_,comdat
	.protected	_ZN7rocprim17ROCPRIM_400000_NS6detail17trampoline_kernelINS0_14default_configENS1_20scan_config_selectorIfEEZZNS1_9scan_implILNS1_25lookback_scan_determinismE0ELb0ELb0ES3_N6thrust23THRUST_200600_302600_NS6detail15normal_iteratorINS9_10device_ptrIfEEEESE_fNS9_4plusIiEEfEEDaPvRmT3_T4_T5_mT6_P12ihipStream_tbENKUlT_T0_E_clISt17integral_constantIbLb0EEST_IbLb1EEEEDaSP_SQ_EUlSP_E0_NS1_11comp_targetILNS1_3genE10ELNS1_11target_archE1201ELNS1_3gpuE5ELNS1_3repE0EEENS1_30default_config_static_selectorELNS0_4arch9wavefront6targetE1EEEvT1_ ; -- Begin function _ZN7rocprim17ROCPRIM_400000_NS6detail17trampoline_kernelINS0_14default_configENS1_20scan_config_selectorIfEEZZNS1_9scan_implILNS1_25lookback_scan_determinismE0ELb0ELb0ES3_N6thrust23THRUST_200600_302600_NS6detail15normal_iteratorINS9_10device_ptrIfEEEESE_fNS9_4plusIiEEfEEDaPvRmT3_T4_T5_mT6_P12ihipStream_tbENKUlT_T0_E_clISt17integral_constantIbLb0EEST_IbLb1EEEEDaSP_SQ_EUlSP_E0_NS1_11comp_targetILNS1_3genE10ELNS1_11target_archE1201ELNS1_3gpuE5ELNS1_3repE0EEENS1_30default_config_static_selectorELNS0_4arch9wavefront6targetE1EEEvT1_
	.globl	_ZN7rocprim17ROCPRIM_400000_NS6detail17trampoline_kernelINS0_14default_configENS1_20scan_config_selectorIfEEZZNS1_9scan_implILNS1_25lookback_scan_determinismE0ELb0ELb0ES3_N6thrust23THRUST_200600_302600_NS6detail15normal_iteratorINS9_10device_ptrIfEEEESE_fNS9_4plusIiEEfEEDaPvRmT3_T4_T5_mT6_P12ihipStream_tbENKUlT_T0_E_clISt17integral_constantIbLb0EEST_IbLb1EEEEDaSP_SQ_EUlSP_E0_NS1_11comp_targetILNS1_3genE10ELNS1_11target_archE1201ELNS1_3gpuE5ELNS1_3repE0EEENS1_30default_config_static_selectorELNS0_4arch9wavefront6targetE1EEEvT1_
	.p2align	8
	.type	_ZN7rocprim17ROCPRIM_400000_NS6detail17trampoline_kernelINS0_14default_configENS1_20scan_config_selectorIfEEZZNS1_9scan_implILNS1_25lookback_scan_determinismE0ELb0ELb0ES3_N6thrust23THRUST_200600_302600_NS6detail15normal_iteratorINS9_10device_ptrIfEEEESE_fNS9_4plusIiEEfEEDaPvRmT3_T4_T5_mT6_P12ihipStream_tbENKUlT_T0_E_clISt17integral_constantIbLb0EEST_IbLb1EEEEDaSP_SQ_EUlSP_E0_NS1_11comp_targetILNS1_3genE10ELNS1_11target_archE1201ELNS1_3gpuE5ELNS1_3repE0EEENS1_30default_config_static_selectorELNS0_4arch9wavefront6targetE1EEEvT1_,@function
_ZN7rocprim17ROCPRIM_400000_NS6detail17trampoline_kernelINS0_14default_configENS1_20scan_config_selectorIfEEZZNS1_9scan_implILNS1_25lookback_scan_determinismE0ELb0ELb0ES3_N6thrust23THRUST_200600_302600_NS6detail15normal_iteratorINS9_10device_ptrIfEEEESE_fNS9_4plusIiEEfEEDaPvRmT3_T4_T5_mT6_P12ihipStream_tbENKUlT_T0_E_clISt17integral_constantIbLb0EEST_IbLb1EEEEDaSP_SQ_EUlSP_E0_NS1_11comp_targetILNS1_3genE10ELNS1_11target_archE1201ELNS1_3gpuE5ELNS1_3repE0EEENS1_30default_config_static_selectorELNS0_4arch9wavefront6targetE1EEEvT1_: ; @_ZN7rocprim17ROCPRIM_400000_NS6detail17trampoline_kernelINS0_14default_configENS1_20scan_config_selectorIfEEZZNS1_9scan_implILNS1_25lookback_scan_determinismE0ELb0ELb0ES3_N6thrust23THRUST_200600_302600_NS6detail15normal_iteratorINS9_10device_ptrIfEEEESE_fNS9_4plusIiEEfEEDaPvRmT3_T4_T5_mT6_P12ihipStream_tbENKUlT_T0_E_clISt17integral_constantIbLb0EEST_IbLb1EEEEDaSP_SQ_EUlSP_E0_NS1_11comp_targetILNS1_3genE10ELNS1_11target_archE1201ELNS1_3gpuE5ELNS1_3repE0EEENS1_30default_config_static_selectorELNS0_4arch9wavefront6targetE1EEEvT1_
; %bb.0:
	.section	.rodata,"a",@progbits
	.p2align	6, 0x0
	.amdhsa_kernel _ZN7rocprim17ROCPRIM_400000_NS6detail17trampoline_kernelINS0_14default_configENS1_20scan_config_selectorIfEEZZNS1_9scan_implILNS1_25lookback_scan_determinismE0ELb0ELb0ES3_N6thrust23THRUST_200600_302600_NS6detail15normal_iteratorINS9_10device_ptrIfEEEESE_fNS9_4plusIiEEfEEDaPvRmT3_T4_T5_mT6_P12ihipStream_tbENKUlT_T0_E_clISt17integral_constantIbLb0EEST_IbLb1EEEEDaSP_SQ_EUlSP_E0_NS1_11comp_targetILNS1_3genE10ELNS1_11target_archE1201ELNS1_3gpuE5ELNS1_3repE0EEENS1_30default_config_static_selectorELNS0_4arch9wavefront6targetE1EEEvT1_
		.amdhsa_group_segment_fixed_size 0
		.amdhsa_private_segment_fixed_size 0
		.amdhsa_kernarg_size 32
		.amdhsa_user_sgpr_count 6
		.amdhsa_user_sgpr_private_segment_buffer 1
		.amdhsa_user_sgpr_dispatch_ptr 0
		.amdhsa_user_sgpr_queue_ptr 0
		.amdhsa_user_sgpr_kernarg_segment_ptr 1
		.amdhsa_user_sgpr_dispatch_id 0
		.amdhsa_user_sgpr_flat_scratch_init 0
		.amdhsa_user_sgpr_kernarg_preload_length 0
		.amdhsa_user_sgpr_kernarg_preload_offset 0
		.amdhsa_user_sgpr_private_segment_size 0
		.amdhsa_uses_dynamic_stack 0
		.amdhsa_system_sgpr_private_segment_wavefront_offset 0
		.amdhsa_system_sgpr_workgroup_id_x 1
		.amdhsa_system_sgpr_workgroup_id_y 0
		.amdhsa_system_sgpr_workgroup_id_z 0
		.amdhsa_system_sgpr_workgroup_info 0
		.amdhsa_system_vgpr_workitem_id 0
		.amdhsa_next_free_vgpr 1
		.amdhsa_next_free_sgpr 0
		.amdhsa_accum_offset 4
		.amdhsa_reserve_vcc 0
		.amdhsa_reserve_flat_scratch 0
		.amdhsa_float_round_mode_32 0
		.amdhsa_float_round_mode_16_64 0
		.amdhsa_float_denorm_mode_32 3
		.amdhsa_float_denorm_mode_16_64 3
		.amdhsa_dx10_clamp 1
		.amdhsa_ieee_mode 1
		.amdhsa_fp16_overflow 0
		.amdhsa_tg_split 0
		.amdhsa_exception_fp_ieee_invalid_op 0
		.amdhsa_exception_fp_denorm_src 0
		.amdhsa_exception_fp_ieee_div_zero 0
		.amdhsa_exception_fp_ieee_overflow 0
		.amdhsa_exception_fp_ieee_underflow 0
		.amdhsa_exception_fp_ieee_inexact 0
		.amdhsa_exception_int_div_zero 0
	.end_amdhsa_kernel
	.section	.text._ZN7rocprim17ROCPRIM_400000_NS6detail17trampoline_kernelINS0_14default_configENS1_20scan_config_selectorIfEEZZNS1_9scan_implILNS1_25lookback_scan_determinismE0ELb0ELb0ES3_N6thrust23THRUST_200600_302600_NS6detail15normal_iteratorINS9_10device_ptrIfEEEESE_fNS9_4plusIiEEfEEDaPvRmT3_T4_T5_mT6_P12ihipStream_tbENKUlT_T0_E_clISt17integral_constantIbLb0EEST_IbLb1EEEEDaSP_SQ_EUlSP_E0_NS1_11comp_targetILNS1_3genE10ELNS1_11target_archE1201ELNS1_3gpuE5ELNS1_3repE0EEENS1_30default_config_static_selectorELNS0_4arch9wavefront6targetE1EEEvT1_,"axG",@progbits,_ZN7rocprim17ROCPRIM_400000_NS6detail17trampoline_kernelINS0_14default_configENS1_20scan_config_selectorIfEEZZNS1_9scan_implILNS1_25lookback_scan_determinismE0ELb0ELb0ES3_N6thrust23THRUST_200600_302600_NS6detail15normal_iteratorINS9_10device_ptrIfEEEESE_fNS9_4plusIiEEfEEDaPvRmT3_T4_T5_mT6_P12ihipStream_tbENKUlT_T0_E_clISt17integral_constantIbLb0EEST_IbLb1EEEEDaSP_SQ_EUlSP_E0_NS1_11comp_targetILNS1_3genE10ELNS1_11target_archE1201ELNS1_3gpuE5ELNS1_3repE0EEENS1_30default_config_static_selectorELNS0_4arch9wavefront6targetE1EEEvT1_,comdat
.Lfunc_end1565:
	.size	_ZN7rocprim17ROCPRIM_400000_NS6detail17trampoline_kernelINS0_14default_configENS1_20scan_config_selectorIfEEZZNS1_9scan_implILNS1_25lookback_scan_determinismE0ELb0ELb0ES3_N6thrust23THRUST_200600_302600_NS6detail15normal_iteratorINS9_10device_ptrIfEEEESE_fNS9_4plusIiEEfEEDaPvRmT3_T4_T5_mT6_P12ihipStream_tbENKUlT_T0_E_clISt17integral_constantIbLb0EEST_IbLb1EEEEDaSP_SQ_EUlSP_E0_NS1_11comp_targetILNS1_3genE10ELNS1_11target_archE1201ELNS1_3gpuE5ELNS1_3repE0EEENS1_30default_config_static_selectorELNS0_4arch9wavefront6targetE1EEEvT1_, .Lfunc_end1565-_ZN7rocprim17ROCPRIM_400000_NS6detail17trampoline_kernelINS0_14default_configENS1_20scan_config_selectorIfEEZZNS1_9scan_implILNS1_25lookback_scan_determinismE0ELb0ELb0ES3_N6thrust23THRUST_200600_302600_NS6detail15normal_iteratorINS9_10device_ptrIfEEEESE_fNS9_4plusIiEEfEEDaPvRmT3_T4_T5_mT6_P12ihipStream_tbENKUlT_T0_E_clISt17integral_constantIbLb0EEST_IbLb1EEEEDaSP_SQ_EUlSP_E0_NS1_11comp_targetILNS1_3genE10ELNS1_11target_archE1201ELNS1_3gpuE5ELNS1_3repE0EEENS1_30default_config_static_selectorELNS0_4arch9wavefront6targetE1EEEvT1_
                                        ; -- End function
	.section	.AMDGPU.csdata,"",@progbits
; Kernel info:
; codeLenInByte = 0
; NumSgprs: 4
; NumVgprs: 0
; NumAgprs: 0
; TotalNumVgprs: 0
; ScratchSize: 0
; MemoryBound: 0
; FloatMode: 240
; IeeeMode: 1
; LDSByteSize: 0 bytes/workgroup (compile time only)
; SGPRBlocks: 0
; VGPRBlocks: 0
; NumSGPRsForWavesPerEU: 4
; NumVGPRsForWavesPerEU: 1
; AccumOffset: 4
; Occupancy: 8
; WaveLimiterHint : 0
; COMPUTE_PGM_RSRC2:SCRATCH_EN: 0
; COMPUTE_PGM_RSRC2:USER_SGPR: 6
; COMPUTE_PGM_RSRC2:TRAP_HANDLER: 0
; COMPUTE_PGM_RSRC2:TGID_X_EN: 1
; COMPUTE_PGM_RSRC2:TGID_Y_EN: 0
; COMPUTE_PGM_RSRC2:TGID_Z_EN: 0
; COMPUTE_PGM_RSRC2:TIDIG_COMP_CNT: 0
; COMPUTE_PGM_RSRC3_GFX90A:ACCUM_OFFSET: 0
; COMPUTE_PGM_RSRC3_GFX90A:TG_SPLIT: 0
	.section	.text._ZN7rocprim17ROCPRIM_400000_NS6detail17trampoline_kernelINS0_14default_configENS1_20scan_config_selectorIfEEZZNS1_9scan_implILNS1_25lookback_scan_determinismE0ELb0ELb0ES3_N6thrust23THRUST_200600_302600_NS6detail15normal_iteratorINS9_10device_ptrIfEEEESE_fNS9_4plusIiEEfEEDaPvRmT3_T4_T5_mT6_P12ihipStream_tbENKUlT_T0_E_clISt17integral_constantIbLb0EEST_IbLb1EEEEDaSP_SQ_EUlSP_E0_NS1_11comp_targetILNS1_3genE10ELNS1_11target_archE1200ELNS1_3gpuE4ELNS1_3repE0EEENS1_30default_config_static_selectorELNS0_4arch9wavefront6targetE1EEEvT1_,"axG",@progbits,_ZN7rocprim17ROCPRIM_400000_NS6detail17trampoline_kernelINS0_14default_configENS1_20scan_config_selectorIfEEZZNS1_9scan_implILNS1_25lookback_scan_determinismE0ELb0ELb0ES3_N6thrust23THRUST_200600_302600_NS6detail15normal_iteratorINS9_10device_ptrIfEEEESE_fNS9_4plusIiEEfEEDaPvRmT3_T4_T5_mT6_P12ihipStream_tbENKUlT_T0_E_clISt17integral_constantIbLb0EEST_IbLb1EEEEDaSP_SQ_EUlSP_E0_NS1_11comp_targetILNS1_3genE10ELNS1_11target_archE1200ELNS1_3gpuE4ELNS1_3repE0EEENS1_30default_config_static_selectorELNS0_4arch9wavefront6targetE1EEEvT1_,comdat
	.protected	_ZN7rocprim17ROCPRIM_400000_NS6detail17trampoline_kernelINS0_14default_configENS1_20scan_config_selectorIfEEZZNS1_9scan_implILNS1_25lookback_scan_determinismE0ELb0ELb0ES3_N6thrust23THRUST_200600_302600_NS6detail15normal_iteratorINS9_10device_ptrIfEEEESE_fNS9_4plusIiEEfEEDaPvRmT3_T4_T5_mT6_P12ihipStream_tbENKUlT_T0_E_clISt17integral_constantIbLb0EEST_IbLb1EEEEDaSP_SQ_EUlSP_E0_NS1_11comp_targetILNS1_3genE10ELNS1_11target_archE1200ELNS1_3gpuE4ELNS1_3repE0EEENS1_30default_config_static_selectorELNS0_4arch9wavefront6targetE1EEEvT1_ ; -- Begin function _ZN7rocprim17ROCPRIM_400000_NS6detail17trampoline_kernelINS0_14default_configENS1_20scan_config_selectorIfEEZZNS1_9scan_implILNS1_25lookback_scan_determinismE0ELb0ELb0ES3_N6thrust23THRUST_200600_302600_NS6detail15normal_iteratorINS9_10device_ptrIfEEEESE_fNS9_4plusIiEEfEEDaPvRmT3_T4_T5_mT6_P12ihipStream_tbENKUlT_T0_E_clISt17integral_constantIbLb0EEST_IbLb1EEEEDaSP_SQ_EUlSP_E0_NS1_11comp_targetILNS1_3genE10ELNS1_11target_archE1200ELNS1_3gpuE4ELNS1_3repE0EEENS1_30default_config_static_selectorELNS0_4arch9wavefront6targetE1EEEvT1_
	.globl	_ZN7rocprim17ROCPRIM_400000_NS6detail17trampoline_kernelINS0_14default_configENS1_20scan_config_selectorIfEEZZNS1_9scan_implILNS1_25lookback_scan_determinismE0ELb0ELb0ES3_N6thrust23THRUST_200600_302600_NS6detail15normal_iteratorINS9_10device_ptrIfEEEESE_fNS9_4plusIiEEfEEDaPvRmT3_T4_T5_mT6_P12ihipStream_tbENKUlT_T0_E_clISt17integral_constantIbLb0EEST_IbLb1EEEEDaSP_SQ_EUlSP_E0_NS1_11comp_targetILNS1_3genE10ELNS1_11target_archE1200ELNS1_3gpuE4ELNS1_3repE0EEENS1_30default_config_static_selectorELNS0_4arch9wavefront6targetE1EEEvT1_
	.p2align	8
	.type	_ZN7rocprim17ROCPRIM_400000_NS6detail17trampoline_kernelINS0_14default_configENS1_20scan_config_selectorIfEEZZNS1_9scan_implILNS1_25lookback_scan_determinismE0ELb0ELb0ES3_N6thrust23THRUST_200600_302600_NS6detail15normal_iteratorINS9_10device_ptrIfEEEESE_fNS9_4plusIiEEfEEDaPvRmT3_T4_T5_mT6_P12ihipStream_tbENKUlT_T0_E_clISt17integral_constantIbLb0EEST_IbLb1EEEEDaSP_SQ_EUlSP_E0_NS1_11comp_targetILNS1_3genE10ELNS1_11target_archE1200ELNS1_3gpuE4ELNS1_3repE0EEENS1_30default_config_static_selectorELNS0_4arch9wavefront6targetE1EEEvT1_,@function
_ZN7rocprim17ROCPRIM_400000_NS6detail17trampoline_kernelINS0_14default_configENS1_20scan_config_selectorIfEEZZNS1_9scan_implILNS1_25lookback_scan_determinismE0ELb0ELb0ES3_N6thrust23THRUST_200600_302600_NS6detail15normal_iteratorINS9_10device_ptrIfEEEESE_fNS9_4plusIiEEfEEDaPvRmT3_T4_T5_mT6_P12ihipStream_tbENKUlT_T0_E_clISt17integral_constantIbLb0EEST_IbLb1EEEEDaSP_SQ_EUlSP_E0_NS1_11comp_targetILNS1_3genE10ELNS1_11target_archE1200ELNS1_3gpuE4ELNS1_3repE0EEENS1_30default_config_static_selectorELNS0_4arch9wavefront6targetE1EEEvT1_: ; @_ZN7rocprim17ROCPRIM_400000_NS6detail17trampoline_kernelINS0_14default_configENS1_20scan_config_selectorIfEEZZNS1_9scan_implILNS1_25lookback_scan_determinismE0ELb0ELb0ES3_N6thrust23THRUST_200600_302600_NS6detail15normal_iteratorINS9_10device_ptrIfEEEESE_fNS9_4plusIiEEfEEDaPvRmT3_T4_T5_mT6_P12ihipStream_tbENKUlT_T0_E_clISt17integral_constantIbLb0EEST_IbLb1EEEEDaSP_SQ_EUlSP_E0_NS1_11comp_targetILNS1_3genE10ELNS1_11target_archE1200ELNS1_3gpuE4ELNS1_3repE0EEENS1_30default_config_static_selectorELNS0_4arch9wavefront6targetE1EEEvT1_
; %bb.0:
	.section	.rodata,"a",@progbits
	.p2align	6, 0x0
	.amdhsa_kernel _ZN7rocprim17ROCPRIM_400000_NS6detail17trampoline_kernelINS0_14default_configENS1_20scan_config_selectorIfEEZZNS1_9scan_implILNS1_25lookback_scan_determinismE0ELb0ELb0ES3_N6thrust23THRUST_200600_302600_NS6detail15normal_iteratorINS9_10device_ptrIfEEEESE_fNS9_4plusIiEEfEEDaPvRmT3_T4_T5_mT6_P12ihipStream_tbENKUlT_T0_E_clISt17integral_constantIbLb0EEST_IbLb1EEEEDaSP_SQ_EUlSP_E0_NS1_11comp_targetILNS1_3genE10ELNS1_11target_archE1200ELNS1_3gpuE4ELNS1_3repE0EEENS1_30default_config_static_selectorELNS0_4arch9wavefront6targetE1EEEvT1_
		.amdhsa_group_segment_fixed_size 0
		.amdhsa_private_segment_fixed_size 0
		.amdhsa_kernarg_size 32
		.amdhsa_user_sgpr_count 6
		.amdhsa_user_sgpr_private_segment_buffer 1
		.amdhsa_user_sgpr_dispatch_ptr 0
		.amdhsa_user_sgpr_queue_ptr 0
		.amdhsa_user_sgpr_kernarg_segment_ptr 1
		.amdhsa_user_sgpr_dispatch_id 0
		.amdhsa_user_sgpr_flat_scratch_init 0
		.amdhsa_user_sgpr_kernarg_preload_length 0
		.amdhsa_user_sgpr_kernarg_preload_offset 0
		.amdhsa_user_sgpr_private_segment_size 0
		.amdhsa_uses_dynamic_stack 0
		.amdhsa_system_sgpr_private_segment_wavefront_offset 0
		.amdhsa_system_sgpr_workgroup_id_x 1
		.amdhsa_system_sgpr_workgroup_id_y 0
		.amdhsa_system_sgpr_workgroup_id_z 0
		.amdhsa_system_sgpr_workgroup_info 0
		.amdhsa_system_vgpr_workitem_id 0
		.amdhsa_next_free_vgpr 1
		.amdhsa_next_free_sgpr 0
		.amdhsa_accum_offset 4
		.amdhsa_reserve_vcc 0
		.amdhsa_reserve_flat_scratch 0
		.amdhsa_float_round_mode_32 0
		.amdhsa_float_round_mode_16_64 0
		.amdhsa_float_denorm_mode_32 3
		.amdhsa_float_denorm_mode_16_64 3
		.amdhsa_dx10_clamp 1
		.amdhsa_ieee_mode 1
		.amdhsa_fp16_overflow 0
		.amdhsa_tg_split 0
		.amdhsa_exception_fp_ieee_invalid_op 0
		.amdhsa_exception_fp_denorm_src 0
		.amdhsa_exception_fp_ieee_div_zero 0
		.amdhsa_exception_fp_ieee_overflow 0
		.amdhsa_exception_fp_ieee_underflow 0
		.amdhsa_exception_fp_ieee_inexact 0
		.amdhsa_exception_int_div_zero 0
	.end_amdhsa_kernel
	.section	.text._ZN7rocprim17ROCPRIM_400000_NS6detail17trampoline_kernelINS0_14default_configENS1_20scan_config_selectorIfEEZZNS1_9scan_implILNS1_25lookback_scan_determinismE0ELb0ELb0ES3_N6thrust23THRUST_200600_302600_NS6detail15normal_iteratorINS9_10device_ptrIfEEEESE_fNS9_4plusIiEEfEEDaPvRmT3_T4_T5_mT6_P12ihipStream_tbENKUlT_T0_E_clISt17integral_constantIbLb0EEST_IbLb1EEEEDaSP_SQ_EUlSP_E0_NS1_11comp_targetILNS1_3genE10ELNS1_11target_archE1200ELNS1_3gpuE4ELNS1_3repE0EEENS1_30default_config_static_selectorELNS0_4arch9wavefront6targetE1EEEvT1_,"axG",@progbits,_ZN7rocprim17ROCPRIM_400000_NS6detail17trampoline_kernelINS0_14default_configENS1_20scan_config_selectorIfEEZZNS1_9scan_implILNS1_25lookback_scan_determinismE0ELb0ELb0ES3_N6thrust23THRUST_200600_302600_NS6detail15normal_iteratorINS9_10device_ptrIfEEEESE_fNS9_4plusIiEEfEEDaPvRmT3_T4_T5_mT6_P12ihipStream_tbENKUlT_T0_E_clISt17integral_constantIbLb0EEST_IbLb1EEEEDaSP_SQ_EUlSP_E0_NS1_11comp_targetILNS1_3genE10ELNS1_11target_archE1200ELNS1_3gpuE4ELNS1_3repE0EEENS1_30default_config_static_selectorELNS0_4arch9wavefront6targetE1EEEvT1_,comdat
.Lfunc_end1566:
	.size	_ZN7rocprim17ROCPRIM_400000_NS6detail17trampoline_kernelINS0_14default_configENS1_20scan_config_selectorIfEEZZNS1_9scan_implILNS1_25lookback_scan_determinismE0ELb0ELb0ES3_N6thrust23THRUST_200600_302600_NS6detail15normal_iteratorINS9_10device_ptrIfEEEESE_fNS9_4plusIiEEfEEDaPvRmT3_T4_T5_mT6_P12ihipStream_tbENKUlT_T0_E_clISt17integral_constantIbLb0EEST_IbLb1EEEEDaSP_SQ_EUlSP_E0_NS1_11comp_targetILNS1_3genE10ELNS1_11target_archE1200ELNS1_3gpuE4ELNS1_3repE0EEENS1_30default_config_static_selectorELNS0_4arch9wavefront6targetE1EEEvT1_, .Lfunc_end1566-_ZN7rocprim17ROCPRIM_400000_NS6detail17trampoline_kernelINS0_14default_configENS1_20scan_config_selectorIfEEZZNS1_9scan_implILNS1_25lookback_scan_determinismE0ELb0ELb0ES3_N6thrust23THRUST_200600_302600_NS6detail15normal_iteratorINS9_10device_ptrIfEEEESE_fNS9_4plusIiEEfEEDaPvRmT3_T4_T5_mT6_P12ihipStream_tbENKUlT_T0_E_clISt17integral_constantIbLb0EEST_IbLb1EEEEDaSP_SQ_EUlSP_E0_NS1_11comp_targetILNS1_3genE10ELNS1_11target_archE1200ELNS1_3gpuE4ELNS1_3repE0EEENS1_30default_config_static_selectorELNS0_4arch9wavefront6targetE1EEEvT1_
                                        ; -- End function
	.section	.AMDGPU.csdata,"",@progbits
; Kernel info:
; codeLenInByte = 0
; NumSgprs: 4
; NumVgprs: 0
; NumAgprs: 0
; TotalNumVgprs: 0
; ScratchSize: 0
; MemoryBound: 0
; FloatMode: 240
; IeeeMode: 1
; LDSByteSize: 0 bytes/workgroup (compile time only)
; SGPRBlocks: 0
; VGPRBlocks: 0
; NumSGPRsForWavesPerEU: 4
; NumVGPRsForWavesPerEU: 1
; AccumOffset: 4
; Occupancy: 8
; WaveLimiterHint : 0
; COMPUTE_PGM_RSRC2:SCRATCH_EN: 0
; COMPUTE_PGM_RSRC2:USER_SGPR: 6
; COMPUTE_PGM_RSRC2:TRAP_HANDLER: 0
; COMPUTE_PGM_RSRC2:TGID_X_EN: 1
; COMPUTE_PGM_RSRC2:TGID_Y_EN: 0
; COMPUTE_PGM_RSRC2:TGID_Z_EN: 0
; COMPUTE_PGM_RSRC2:TIDIG_COMP_CNT: 0
; COMPUTE_PGM_RSRC3_GFX90A:ACCUM_OFFSET: 0
; COMPUTE_PGM_RSRC3_GFX90A:TG_SPLIT: 0
	.section	.text._ZN7rocprim17ROCPRIM_400000_NS6detail17trampoline_kernelINS0_14default_configENS1_20scan_config_selectorIfEEZZNS1_9scan_implILNS1_25lookback_scan_determinismE0ELb0ELb0ES3_N6thrust23THRUST_200600_302600_NS6detail15normal_iteratorINS9_10device_ptrIfEEEESE_fNS9_4plusIiEEfEEDaPvRmT3_T4_T5_mT6_P12ihipStream_tbENKUlT_T0_E_clISt17integral_constantIbLb0EEST_IbLb1EEEEDaSP_SQ_EUlSP_E0_NS1_11comp_targetILNS1_3genE9ELNS1_11target_archE1100ELNS1_3gpuE3ELNS1_3repE0EEENS1_30default_config_static_selectorELNS0_4arch9wavefront6targetE1EEEvT1_,"axG",@progbits,_ZN7rocprim17ROCPRIM_400000_NS6detail17trampoline_kernelINS0_14default_configENS1_20scan_config_selectorIfEEZZNS1_9scan_implILNS1_25lookback_scan_determinismE0ELb0ELb0ES3_N6thrust23THRUST_200600_302600_NS6detail15normal_iteratorINS9_10device_ptrIfEEEESE_fNS9_4plusIiEEfEEDaPvRmT3_T4_T5_mT6_P12ihipStream_tbENKUlT_T0_E_clISt17integral_constantIbLb0EEST_IbLb1EEEEDaSP_SQ_EUlSP_E0_NS1_11comp_targetILNS1_3genE9ELNS1_11target_archE1100ELNS1_3gpuE3ELNS1_3repE0EEENS1_30default_config_static_selectorELNS0_4arch9wavefront6targetE1EEEvT1_,comdat
	.protected	_ZN7rocprim17ROCPRIM_400000_NS6detail17trampoline_kernelINS0_14default_configENS1_20scan_config_selectorIfEEZZNS1_9scan_implILNS1_25lookback_scan_determinismE0ELb0ELb0ES3_N6thrust23THRUST_200600_302600_NS6detail15normal_iteratorINS9_10device_ptrIfEEEESE_fNS9_4plusIiEEfEEDaPvRmT3_T4_T5_mT6_P12ihipStream_tbENKUlT_T0_E_clISt17integral_constantIbLb0EEST_IbLb1EEEEDaSP_SQ_EUlSP_E0_NS1_11comp_targetILNS1_3genE9ELNS1_11target_archE1100ELNS1_3gpuE3ELNS1_3repE0EEENS1_30default_config_static_selectorELNS0_4arch9wavefront6targetE1EEEvT1_ ; -- Begin function _ZN7rocprim17ROCPRIM_400000_NS6detail17trampoline_kernelINS0_14default_configENS1_20scan_config_selectorIfEEZZNS1_9scan_implILNS1_25lookback_scan_determinismE0ELb0ELb0ES3_N6thrust23THRUST_200600_302600_NS6detail15normal_iteratorINS9_10device_ptrIfEEEESE_fNS9_4plusIiEEfEEDaPvRmT3_T4_T5_mT6_P12ihipStream_tbENKUlT_T0_E_clISt17integral_constantIbLb0EEST_IbLb1EEEEDaSP_SQ_EUlSP_E0_NS1_11comp_targetILNS1_3genE9ELNS1_11target_archE1100ELNS1_3gpuE3ELNS1_3repE0EEENS1_30default_config_static_selectorELNS0_4arch9wavefront6targetE1EEEvT1_
	.globl	_ZN7rocprim17ROCPRIM_400000_NS6detail17trampoline_kernelINS0_14default_configENS1_20scan_config_selectorIfEEZZNS1_9scan_implILNS1_25lookback_scan_determinismE0ELb0ELb0ES3_N6thrust23THRUST_200600_302600_NS6detail15normal_iteratorINS9_10device_ptrIfEEEESE_fNS9_4plusIiEEfEEDaPvRmT3_T4_T5_mT6_P12ihipStream_tbENKUlT_T0_E_clISt17integral_constantIbLb0EEST_IbLb1EEEEDaSP_SQ_EUlSP_E0_NS1_11comp_targetILNS1_3genE9ELNS1_11target_archE1100ELNS1_3gpuE3ELNS1_3repE0EEENS1_30default_config_static_selectorELNS0_4arch9wavefront6targetE1EEEvT1_
	.p2align	8
	.type	_ZN7rocprim17ROCPRIM_400000_NS6detail17trampoline_kernelINS0_14default_configENS1_20scan_config_selectorIfEEZZNS1_9scan_implILNS1_25lookback_scan_determinismE0ELb0ELb0ES3_N6thrust23THRUST_200600_302600_NS6detail15normal_iteratorINS9_10device_ptrIfEEEESE_fNS9_4plusIiEEfEEDaPvRmT3_T4_T5_mT6_P12ihipStream_tbENKUlT_T0_E_clISt17integral_constantIbLb0EEST_IbLb1EEEEDaSP_SQ_EUlSP_E0_NS1_11comp_targetILNS1_3genE9ELNS1_11target_archE1100ELNS1_3gpuE3ELNS1_3repE0EEENS1_30default_config_static_selectorELNS0_4arch9wavefront6targetE1EEEvT1_,@function
_ZN7rocprim17ROCPRIM_400000_NS6detail17trampoline_kernelINS0_14default_configENS1_20scan_config_selectorIfEEZZNS1_9scan_implILNS1_25lookback_scan_determinismE0ELb0ELb0ES3_N6thrust23THRUST_200600_302600_NS6detail15normal_iteratorINS9_10device_ptrIfEEEESE_fNS9_4plusIiEEfEEDaPvRmT3_T4_T5_mT6_P12ihipStream_tbENKUlT_T0_E_clISt17integral_constantIbLb0EEST_IbLb1EEEEDaSP_SQ_EUlSP_E0_NS1_11comp_targetILNS1_3genE9ELNS1_11target_archE1100ELNS1_3gpuE3ELNS1_3repE0EEENS1_30default_config_static_selectorELNS0_4arch9wavefront6targetE1EEEvT1_: ; @_ZN7rocprim17ROCPRIM_400000_NS6detail17trampoline_kernelINS0_14default_configENS1_20scan_config_selectorIfEEZZNS1_9scan_implILNS1_25lookback_scan_determinismE0ELb0ELb0ES3_N6thrust23THRUST_200600_302600_NS6detail15normal_iteratorINS9_10device_ptrIfEEEESE_fNS9_4plusIiEEfEEDaPvRmT3_T4_T5_mT6_P12ihipStream_tbENKUlT_T0_E_clISt17integral_constantIbLb0EEST_IbLb1EEEEDaSP_SQ_EUlSP_E0_NS1_11comp_targetILNS1_3genE9ELNS1_11target_archE1100ELNS1_3gpuE3ELNS1_3repE0EEENS1_30default_config_static_selectorELNS0_4arch9wavefront6targetE1EEEvT1_
; %bb.0:
	.section	.rodata,"a",@progbits
	.p2align	6, 0x0
	.amdhsa_kernel _ZN7rocprim17ROCPRIM_400000_NS6detail17trampoline_kernelINS0_14default_configENS1_20scan_config_selectorIfEEZZNS1_9scan_implILNS1_25lookback_scan_determinismE0ELb0ELb0ES3_N6thrust23THRUST_200600_302600_NS6detail15normal_iteratorINS9_10device_ptrIfEEEESE_fNS9_4plusIiEEfEEDaPvRmT3_T4_T5_mT6_P12ihipStream_tbENKUlT_T0_E_clISt17integral_constantIbLb0EEST_IbLb1EEEEDaSP_SQ_EUlSP_E0_NS1_11comp_targetILNS1_3genE9ELNS1_11target_archE1100ELNS1_3gpuE3ELNS1_3repE0EEENS1_30default_config_static_selectorELNS0_4arch9wavefront6targetE1EEEvT1_
		.amdhsa_group_segment_fixed_size 0
		.amdhsa_private_segment_fixed_size 0
		.amdhsa_kernarg_size 32
		.amdhsa_user_sgpr_count 6
		.amdhsa_user_sgpr_private_segment_buffer 1
		.amdhsa_user_sgpr_dispatch_ptr 0
		.amdhsa_user_sgpr_queue_ptr 0
		.amdhsa_user_sgpr_kernarg_segment_ptr 1
		.amdhsa_user_sgpr_dispatch_id 0
		.amdhsa_user_sgpr_flat_scratch_init 0
		.amdhsa_user_sgpr_kernarg_preload_length 0
		.amdhsa_user_sgpr_kernarg_preload_offset 0
		.amdhsa_user_sgpr_private_segment_size 0
		.amdhsa_uses_dynamic_stack 0
		.amdhsa_system_sgpr_private_segment_wavefront_offset 0
		.amdhsa_system_sgpr_workgroup_id_x 1
		.amdhsa_system_sgpr_workgroup_id_y 0
		.amdhsa_system_sgpr_workgroup_id_z 0
		.amdhsa_system_sgpr_workgroup_info 0
		.amdhsa_system_vgpr_workitem_id 0
		.amdhsa_next_free_vgpr 1
		.amdhsa_next_free_sgpr 0
		.amdhsa_accum_offset 4
		.amdhsa_reserve_vcc 0
		.amdhsa_reserve_flat_scratch 0
		.amdhsa_float_round_mode_32 0
		.amdhsa_float_round_mode_16_64 0
		.amdhsa_float_denorm_mode_32 3
		.amdhsa_float_denorm_mode_16_64 3
		.amdhsa_dx10_clamp 1
		.amdhsa_ieee_mode 1
		.amdhsa_fp16_overflow 0
		.amdhsa_tg_split 0
		.amdhsa_exception_fp_ieee_invalid_op 0
		.amdhsa_exception_fp_denorm_src 0
		.amdhsa_exception_fp_ieee_div_zero 0
		.amdhsa_exception_fp_ieee_overflow 0
		.amdhsa_exception_fp_ieee_underflow 0
		.amdhsa_exception_fp_ieee_inexact 0
		.amdhsa_exception_int_div_zero 0
	.end_amdhsa_kernel
	.section	.text._ZN7rocprim17ROCPRIM_400000_NS6detail17trampoline_kernelINS0_14default_configENS1_20scan_config_selectorIfEEZZNS1_9scan_implILNS1_25lookback_scan_determinismE0ELb0ELb0ES3_N6thrust23THRUST_200600_302600_NS6detail15normal_iteratorINS9_10device_ptrIfEEEESE_fNS9_4plusIiEEfEEDaPvRmT3_T4_T5_mT6_P12ihipStream_tbENKUlT_T0_E_clISt17integral_constantIbLb0EEST_IbLb1EEEEDaSP_SQ_EUlSP_E0_NS1_11comp_targetILNS1_3genE9ELNS1_11target_archE1100ELNS1_3gpuE3ELNS1_3repE0EEENS1_30default_config_static_selectorELNS0_4arch9wavefront6targetE1EEEvT1_,"axG",@progbits,_ZN7rocprim17ROCPRIM_400000_NS6detail17trampoline_kernelINS0_14default_configENS1_20scan_config_selectorIfEEZZNS1_9scan_implILNS1_25lookback_scan_determinismE0ELb0ELb0ES3_N6thrust23THRUST_200600_302600_NS6detail15normal_iteratorINS9_10device_ptrIfEEEESE_fNS9_4plusIiEEfEEDaPvRmT3_T4_T5_mT6_P12ihipStream_tbENKUlT_T0_E_clISt17integral_constantIbLb0EEST_IbLb1EEEEDaSP_SQ_EUlSP_E0_NS1_11comp_targetILNS1_3genE9ELNS1_11target_archE1100ELNS1_3gpuE3ELNS1_3repE0EEENS1_30default_config_static_selectorELNS0_4arch9wavefront6targetE1EEEvT1_,comdat
.Lfunc_end1567:
	.size	_ZN7rocprim17ROCPRIM_400000_NS6detail17trampoline_kernelINS0_14default_configENS1_20scan_config_selectorIfEEZZNS1_9scan_implILNS1_25lookback_scan_determinismE0ELb0ELb0ES3_N6thrust23THRUST_200600_302600_NS6detail15normal_iteratorINS9_10device_ptrIfEEEESE_fNS9_4plusIiEEfEEDaPvRmT3_T4_T5_mT6_P12ihipStream_tbENKUlT_T0_E_clISt17integral_constantIbLb0EEST_IbLb1EEEEDaSP_SQ_EUlSP_E0_NS1_11comp_targetILNS1_3genE9ELNS1_11target_archE1100ELNS1_3gpuE3ELNS1_3repE0EEENS1_30default_config_static_selectorELNS0_4arch9wavefront6targetE1EEEvT1_, .Lfunc_end1567-_ZN7rocprim17ROCPRIM_400000_NS6detail17trampoline_kernelINS0_14default_configENS1_20scan_config_selectorIfEEZZNS1_9scan_implILNS1_25lookback_scan_determinismE0ELb0ELb0ES3_N6thrust23THRUST_200600_302600_NS6detail15normal_iteratorINS9_10device_ptrIfEEEESE_fNS9_4plusIiEEfEEDaPvRmT3_T4_T5_mT6_P12ihipStream_tbENKUlT_T0_E_clISt17integral_constantIbLb0EEST_IbLb1EEEEDaSP_SQ_EUlSP_E0_NS1_11comp_targetILNS1_3genE9ELNS1_11target_archE1100ELNS1_3gpuE3ELNS1_3repE0EEENS1_30default_config_static_selectorELNS0_4arch9wavefront6targetE1EEEvT1_
                                        ; -- End function
	.section	.AMDGPU.csdata,"",@progbits
; Kernel info:
; codeLenInByte = 0
; NumSgprs: 4
; NumVgprs: 0
; NumAgprs: 0
; TotalNumVgprs: 0
; ScratchSize: 0
; MemoryBound: 0
; FloatMode: 240
; IeeeMode: 1
; LDSByteSize: 0 bytes/workgroup (compile time only)
; SGPRBlocks: 0
; VGPRBlocks: 0
; NumSGPRsForWavesPerEU: 4
; NumVGPRsForWavesPerEU: 1
; AccumOffset: 4
; Occupancy: 8
; WaveLimiterHint : 0
; COMPUTE_PGM_RSRC2:SCRATCH_EN: 0
; COMPUTE_PGM_RSRC2:USER_SGPR: 6
; COMPUTE_PGM_RSRC2:TRAP_HANDLER: 0
; COMPUTE_PGM_RSRC2:TGID_X_EN: 1
; COMPUTE_PGM_RSRC2:TGID_Y_EN: 0
; COMPUTE_PGM_RSRC2:TGID_Z_EN: 0
; COMPUTE_PGM_RSRC2:TIDIG_COMP_CNT: 0
; COMPUTE_PGM_RSRC3_GFX90A:ACCUM_OFFSET: 0
; COMPUTE_PGM_RSRC3_GFX90A:TG_SPLIT: 0
	.section	.text._ZN7rocprim17ROCPRIM_400000_NS6detail17trampoline_kernelINS0_14default_configENS1_20scan_config_selectorIfEEZZNS1_9scan_implILNS1_25lookback_scan_determinismE0ELb0ELb0ES3_N6thrust23THRUST_200600_302600_NS6detail15normal_iteratorINS9_10device_ptrIfEEEESE_fNS9_4plusIiEEfEEDaPvRmT3_T4_T5_mT6_P12ihipStream_tbENKUlT_T0_E_clISt17integral_constantIbLb0EEST_IbLb1EEEEDaSP_SQ_EUlSP_E0_NS1_11comp_targetILNS1_3genE8ELNS1_11target_archE1030ELNS1_3gpuE2ELNS1_3repE0EEENS1_30default_config_static_selectorELNS0_4arch9wavefront6targetE1EEEvT1_,"axG",@progbits,_ZN7rocprim17ROCPRIM_400000_NS6detail17trampoline_kernelINS0_14default_configENS1_20scan_config_selectorIfEEZZNS1_9scan_implILNS1_25lookback_scan_determinismE0ELb0ELb0ES3_N6thrust23THRUST_200600_302600_NS6detail15normal_iteratorINS9_10device_ptrIfEEEESE_fNS9_4plusIiEEfEEDaPvRmT3_T4_T5_mT6_P12ihipStream_tbENKUlT_T0_E_clISt17integral_constantIbLb0EEST_IbLb1EEEEDaSP_SQ_EUlSP_E0_NS1_11comp_targetILNS1_3genE8ELNS1_11target_archE1030ELNS1_3gpuE2ELNS1_3repE0EEENS1_30default_config_static_selectorELNS0_4arch9wavefront6targetE1EEEvT1_,comdat
	.protected	_ZN7rocprim17ROCPRIM_400000_NS6detail17trampoline_kernelINS0_14default_configENS1_20scan_config_selectorIfEEZZNS1_9scan_implILNS1_25lookback_scan_determinismE0ELb0ELb0ES3_N6thrust23THRUST_200600_302600_NS6detail15normal_iteratorINS9_10device_ptrIfEEEESE_fNS9_4plusIiEEfEEDaPvRmT3_T4_T5_mT6_P12ihipStream_tbENKUlT_T0_E_clISt17integral_constantIbLb0EEST_IbLb1EEEEDaSP_SQ_EUlSP_E0_NS1_11comp_targetILNS1_3genE8ELNS1_11target_archE1030ELNS1_3gpuE2ELNS1_3repE0EEENS1_30default_config_static_selectorELNS0_4arch9wavefront6targetE1EEEvT1_ ; -- Begin function _ZN7rocprim17ROCPRIM_400000_NS6detail17trampoline_kernelINS0_14default_configENS1_20scan_config_selectorIfEEZZNS1_9scan_implILNS1_25lookback_scan_determinismE0ELb0ELb0ES3_N6thrust23THRUST_200600_302600_NS6detail15normal_iteratorINS9_10device_ptrIfEEEESE_fNS9_4plusIiEEfEEDaPvRmT3_T4_T5_mT6_P12ihipStream_tbENKUlT_T0_E_clISt17integral_constantIbLb0EEST_IbLb1EEEEDaSP_SQ_EUlSP_E0_NS1_11comp_targetILNS1_3genE8ELNS1_11target_archE1030ELNS1_3gpuE2ELNS1_3repE0EEENS1_30default_config_static_selectorELNS0_4arch9wavefront6targetE1EEEvT1_
	.globl	_ZN7rocprim17ROCPRIM_400000_NS6detail17trampoline_kernelINS0_14default_configENS1_20scan_config_selectorIfEEZZNS1_9scan_implILNS1_25lookback_scan_determinismE0ELb0ELb0ES3_N6thrust23THRUST_200600_302600_NS6detail15normal_iteratorINS9_10device_ptrIfEEEESE_fNS9_4plusIiEEfEEDaPvRmT3_T4_T5_mT6_P12ihipStream_tbENKUlT_T0_E_clISt17integral_constantIbLb0EEST_IbLb1EEEEDaSP_SQ_EUlSP_E0_NS1_11comp_targetILNS1_3genE8ELNS1_11target_archE1030ELNS1_3gpuE2ELNS1_3repE0EEENS1_30default_config_static_selectorELNS0_4arch9wavefront6targetE1EEEvT1_
	.p2align	8
	.type	_ZN7rocprim17ROCPRIM_400000_NS6detail17trampoline_kernelINS0_14default_configENS1_20scan_config_selectorIfEEZZNS1_9scan_implILNS1_25lookback_scan_determinismE0ELb0ELb0ES3_N6thrust23THRUST_200600_302600_NS6detail15normal_iteratorINS9_10device_ptrIfEEEESE_fNS9_4plusIiEEfEEDaPvRmT3_T4_T5_mT6_P12ihipStream_tbENKUlT_T0_E_clISt17integral_constantIbLb0EEST_IbLb1EEEEDaSP_SQ_EUlSP_E0_NS1_11comp_targetILNS1_3genE8ELNS1_11target_archE1030ELNS1_3gpuE2ELNS1_3repE0EEENS1_30default_config_static_selectorELNS0_4arch9wavefront6targetE1EEEvT1_,@function
_ZN7rocprim17ROCPRIM_400000_NS6detail17trampoline_kernelINS0_14default_configENS1_20scan_config_selectorIfEEZZNS1_9scan_implILNS1_25lookback_scan_determinismE0ELb0ELb0ES3_N6thrust23THRUST_200600_302600_NS6detail15normal_iteratorINS9_10device_ptrIfEEEESE_fNS9_4plusIiEEfEEDaPvRmT3_T4_T5_mT6_P12ihipStream_tbENKUlT_T0_E_clISt17integral_constantIbLb0EEST_IbLb1EEEEDaSP_SQ_EUlSP_E0_NS1_11comp_targetILNS1_3genE8ELNS1_11target_archE1030ELNS1_3gpuE2ELNS1_3repE0EEENS1_30default_config_static_selectorELNS0_4arch9wavefront6targetE1EEEvT1_: ; @_ZN7rocprim17ROCPRIM_400000_NS6detail17trampoline_kernelINS0_14default_configENS1_20scan_config_selectorIfEEZZNS1_9scan_implILNS1_25lookback_scan_determinismE0ELb0ELb0ES3_N6thrust23THRUST_200600_302600_NS6detail15normal_iteratorINS9_10device_ptrIfEEEESE_fNS9_4plusIiEEfEEDaPvRmT3_T4_T5_mT6_P12ihipStream_tbENKUlT_T0_E_clISt17integral_constantIbLb0EEST_IbLb1EEEEDaSP_SQ_EUlSP_E0_NS1_11comp_targetILNS1_3genE8ELNS1_11target_archE1030ELNS1_3gpuE2ELNS1_3repE0EEENS1_30default_config_static_selectorELNS0_4arch9wavefront6targetE1EEEvT1_
; %bb.0:
	.section	.rodata,"a",@progbits
	.p2align	6, 0x0
	.amdhsa_kernel _ZN7rocprim17ROCPRIM_400000_NS6detail17trampoline_kernelINS0_14default_configENS1_20scan_config_selectorIfEEZZNS1_9scan_implILNS1_25lookback_scan_determinismE0ELb0ELb0ES3_N6thrust23THRUST_200600_302600_NS6detail15normal_iteratorINS9_10device_ptrIfEEEESE_fNS9_4plusIiEEfEEDaPvRmT3_T4_T5_mT6_P12ihipStream_tbENKUlT_T0_E_clISt17integral_constantIbLb0EEST_IbLb1EEEEDaSP_SQ_EUlSP_E0_NS1_11comp_targetILNS1_3genE8ELNS1_11target_archE1030ELNS1_3gpuE2ELNS1_3repE0EEENS1_30default_config_static_selectorELNS0_4arch9wavefront6targetE1EEEvT1_
		.amdhsa_group_segment_fixed_size 0
		.amdhsa_private_segment_fixed_size 0
		.amdhsa_kernarg_size 32
		.amdhsa_user_sgpr_count 6
		.amdhsa_user_sgpr_private_segment_buffer 1
		.amdhsa_user_sgpr_dispatch_ptr 0
		.amdhsa_user_sgpr_queue_ptr 0
		.amdhsa_user_sgpr_kernarg_segment_ptr 1
		.amdhsa_user_sgpr_dispatch_id 0
		.amdhsa_user_sgpr_flat_scratch_init 0
		.amdhsa_user_sgpr_kernarg_preload_length 0
		.amdhsa_user_sgpr_kernarg_preload_offset 0
		.amdhsa_user_sgpr_private_segment_size 0
		.amdhsa_uses_dynamic_stack 0
		.amdhsa_system_sgpr_private_segment_wavefront_offset 0
		.amdhsa_system_sgpr_workgroup_id_x 1
		.amdhsa_system_sgpr_workgroup_id_y 0
		.amdhsa_system_sgpr_workgroup_id_z 0
		.amdhsa_system_sgpr_workgroup_info 0
		.amdhsa_system_vgpr_workitem_id 0
		.amdhsa_next_free_vgpr 1
		.amdhsa_next_free_sgpr 0
		.amdhsa_accum_offset 4
		.amdhsa_reserve_vcc 0
		.amdhsa_reserve_flat_scratch 0
		.amdhsa_float_round_mode_32 0
		.amdhsa_float_round_mode_16_64 0
		.amdhsa_float_denorm_mode_32 3
		.amdhsa_float_denorm_mode_16_64 3
		.amdhsa_dx10_clamp 1
		.amdhsa_ieee_mode 1
		.amdhsa_fp16_overflow 0
		.amdhsa_tg_split 0
		.amdhsa_exception_fp_ieee_invalid_op 0
		.amdhsa_exception_fp_denorm_src 0
		.amdhsa_exception_fp_ieee_div_zero 0
		.amdhsa_exception_fp_ieee_overflow 0
		.amdhsa_exception_fp_ieee_underflow 0
		.amdhsa_exception_fp_ieee_inexact 0
		.amdhsa_exception_int_div_zero 0
	.end_amdhsa_kernel
	.section	.text._ZN7rocprim17ROCPRIM_400000_NS6detail17trampoline_kernelINS0_14default_configENS1_20scan_config_selectorIfEEZZNS1_9scan_implILNS1_25lookback_scan_determinismE0ELb0ELb0ES3_N6thrust23THRUST_200600_302600_NS6detail15normal_iteratorINS9_10device_ptrIfEEEESE_fNS9_4plusIiEEfEEDaPvRmT3_T4_T5_mT6_P12ihipStream_tbENKUlT_T0_E_clISt17integral_constantIbLb0EEST_IbLb1EEEEDaSP_SQ_EUlSP_E0_NS1_11comp_targetILNS1_3genE8ELNS1_11target_archE1030ELNS1_3gpuE2ELNS1_3repE0EEENS1_30default_config_static_selectorELNS0_4arch9wavefront6targetE1EEEvT1_,"axG",@progbits,_ZN7rocprim17ROCPRIM_400000_NS6detail17trampoline_kernelINS0_14default_configENS1_20scan_config_selectorIfEEZZNS1_9scan_implILNS1_25lookback_scan_determinismE0ELb0ELb0ES3_N6thrust23THRUST_200600_302600_NS6detail15normal_iteratorINS9_10device_ptrIfEEEESE_fNS9_4plusIiEEfEEDaPvRmT3_T4_T5_mT6_P12ihipStream_tbENKUlT_T0_E_clISt17integral_constantIbLb0EEST_IbLb1EEEEDaSP_SQ_EUlSP_E0_NS1_11comp_targetILNS1_3genE8ELNS1_11target_archE1030ELNS1_3gpuE2ELNS1_3repE0EEENS1_30default_config_static_selectorELNS0_4arch9wavefront6targetE1EEEvT1_,comdat
.Lfunc_end1568:
	.size	_ZN7rocprim17ROCPRIM_400000_NS6detail17trampoline_kernelINS0_14default_configENS1_20scan_config_selectorIfEEZZNS1_9scan_implILNS1_25lookback_scan_determinismE0ELb0ELb0ES3_N6thrust23THRUST_200600_302600_NS6detail15normal_iteratorINS9_10device_ptrIfEEEESE_fNS9_4plusIiEEfEEDaPvRmT3_T4_T5_mT6_P12ihipStream_tbENKUlT_T0_E_clISt17integral_constantIbLb0EEST_IbLb1EEEEDaSP_SQ_EUlSP_E0_NS1_11comp_targetILNS1_3genE8ELNS1_11target_archE1030ELNS1_3gpuE2ELNS1_3repE0EEENS1_30default_config_static_selectorELNS0_4arch9wavefront6targetE1EEEvT1_, .Lfunc_end1568-_ZN7rocprim17ROCPRIM_400000_NS6detail17trampoline_kernelINS0_14default_configENS1_20scan_config_selectorIfEEZZNS1_9scan_implILNS1_25lookback_scan_determinismE0ELb0ELb0ES3_N6thrust23THRUST_200600_302600_NS6detail15normal_iteratorINS9_10device_ptrIfEEEESE_fNS9_4plusIiEEfEEDaPvRmT3_T4_T5_mT6_P12ihipStream_tbENKUlT_T0_E_clISt17integral_constantIbLb0EEST_IbLb1EEEEDaSP_SQ_EUlSP_E0_NS1_11comp_targetILNS1_3genE8ELNS1_11target_archE1030ELNS1_3gpuE2ELNS1_3repE0EEENS1_30default_config_static_selectorELNS0_4arch9wavefront6targetE1EEEvT1_
                                        ; -- End function
	.section	.AMDGPU.csdata,"",@progbits
; Kernel info:
; codeLenInByte = 0
; NumSgprs: 4
; NumVgprs: 0
; NumAgprs: 0
; TotalNumVgprs: 0
; ScratchSize: 0
; MemoryBound: 0
; FloatMode: 240
; IeeeMode: 1
; LDSByteSize: 0 bytes/workgroup (compile time only)
; SGPRBlocks: 0
; VGPRBlocks: 0
; NumSGPRsForWavesPerEU: 4
; NumVGPRsForWavesPerEU: 1
; AccumOffset: 4
; Occupancy: 8
; WaveLimiterHint : 0
; COMPUTE_PGM_RSRC2:SCRATCH_EN: 0
; COMPUTE_PGM_RSRC2:USER_SGPR: 6
; COMPUTE_PGM_RSRC2:TRAP_HANDLER: 0
; COMPUTE_PGM_RSRC2:TGID_X_EN: 1
; COMPUTE_PGM_RSRC2:TGID_Y_EN: 0
; COMPUTE_PGM_RSRC2:TGID_Z_EN: 0
; COMPUTE_PGM_RSRC2:TIDIG_COMP_CNT: 0
; COMPUTE_PGM_RSRC3_GFX90A:ACCUM_OFFSET: 0
; COMPUTE_PGM_RSRC3_GFX90A:TG_SPLIT: 0
	.section	.text._ZN7rocprim17ROCPRIM_400000_NS6detail17trampoline_kernelINS0_14default_configENS1_20scan_config_selectorIfEEZZNS1_9scan_implILNS1_25lookback_scan_determinismE0ELb1ELb1ES3_N6thrust23THRUST_200600_302600_NS6detail15normal_iteratorINS9_10device_ptrIfEEEENSB_INSC_IiEEEEfNS9_4plusIvEEfEEDaPvRmT3_T4_T5_mT6_P12ihipStream_tbENKUlT_T0_E_clISt17integral_constantIbLb0EESW_EEDaSR_SS_EUlSR_E_NS1_11comp_targetILNS1_3genE0ELNS1_11target_archE4294967295ELNS1_3gpuE0ELNS1_3repE0EEENS1_30default_config_static_selectorELNS0_4arch9wavefront6targetE1EEEvT1_,"axG",@progbits,_ZN7rocprim17ROCPRIM_400000_NS6detail17trampoline_kernelINS0_14default_configENS1_20scan_config_selectorIfEEZZNS1_9scan_implILNS1_25lookback_scan_determinismE0ELb1ELb1ES3_N6thrust23THRUST_200600_302600_NS6detail15normal_iteratorINS9_10device_ptrIfEEEENSB_INSC_IiEEEEfNS9_4plusIvEEfEEDaPvRmT3_T4_T5_mT6_P12ihipStream_tbENKUlT_T0_E_clISt17integral_constantIbLb0EESW_EEDaSR_SS_EUlSR_E_NS1_11comp_targetILNS1_3genE0ELNS1_11target_archE4294967295ELNS1_3gpuE0ELNS1_3repE0EEENS1_30default_config_static_selectorELNS0_4arch9wavefront6targetE1EEEvT1_,comdat
	.protected	_ZN7rocprim17ROCPRIM_400000_NS6detail17trampoline_kernelINS0_14default_configENS1_20scan_config_selectorIfEEZZNS1_9scan_implILNS1_25lookback_scan_determinismE0ELb1ELb1ES3_N6thrust23THRUST_200600_302600_NS6detail15normal_iteratorINS9_10device_ptrIfEEEENSB_INSC_IiEEEEfNS9_4plusIvEEfEEDaPvRmT3_T4_T5_mT6_P12ihipStream_tbENKUlT_T0_E_clISt17integral_constantIbLb0EESW_EEDaSR_SS_EUlSR_E_NS1_11comp_targetILNS1_3genE0ELNS1_11target_archE4294967295ELNS1_3gpuE0ELNS1_3repE0EEENS1_30default_config_static_selectorELNS0_4arch9wavefront6targetE1EEEvT1_ ; -- Begin function _ZN7rocprim17ROCPRIM_400000_NS6detail17trampoline_kernelINS0_14default_configENS1_20scan_config_selectorIfEEZZNS1_9scan_implILNS1_25lookback_scan_determinismE0ELb1ELb1ES3_N6thrust23THRUST_200600_302600_NS6detail15normal_iteratorINS9_10device_ptrIfEEEENSB_INSC_IiEEEEfNS9_4plusIvEEfEEDaPvRmT3_T4_T5_mT6_P12ihipStream_tbENKUlT_T0_E_clISt17integral_constantIbLb0EESW_EEDaSR_SS_EUlSR_E_NS1_11comp_targetILNS1_3genE0ELNS1_11target_archE4294967295ELNS1_3gpuE0ELNS1_3repE0EEENS1_30default_config_static_selectorELNS0_4arch9wavefront6targetE1EEEvT1_
	.globl	_ZN7rocprim17ROCPRIM_400000_NS6detail17trampoline_kernelINS0_14default_configENS1_20scan_config_selectorIfEEZZNS1_9scan_implILNS1_25lookback_scan_determinismE0ELb1ELb1ES3_N6thrust23THRUST_200600_302600_NS6detail15normal_iteratorINS9_10device_ptrIfEEEENSB_INSC_IiEEEEfNS9_4plusIvEEfEEDaPvRmT3_T4_T5_mT6_P12ihipStream_tbENKUlT_T0_E_clISt17integral_constantIbLb0EESW_EEDaSR_SS_EUlSR_E_NS1_11comp_targetILNS1_3genE0ELNS1_11target_archE4294967295ELNS1_3gpuE0ELNS1_3repE0EEENS1_30default_config_static_selectorELNS0_4arch9wavefront6targetE1EEEvT1_
	.p2align	8
	.type	_ZN7rocprim17ROCPRIM_400000_NS6detail17trampoline_kernelINS0_14default_configENS1_20scan_config_selectorIfEEZZNS1_9scan_implILNS1_25lookback_scan_determinismE0ELb1ELb1ES3_N6thrust23THRUST_200600_302600_NS6detail15normal_iteratorINS9_10device_ptrIfEEEENSB_INSC_IiEEEEfNS9_4plusIvEEfEEDaPvRmT3_T4_T5_mT6_P12ihipStream_tbENKUlT_T0_E_clISt17integral_constantIbLb0EESW_EEDaSR_SS_EUlSR_E_NS1_11comp_targetILNS1_3genE0ELNS1_11target_archE4294967295ELNS1_3gpuE0ELNS1_3repE0EEENS1_30default_config_static_selectorELNS0_4arch9wavefront6targetE1EEEvT1_,@function
_ZN7rocprim17ROCPRIM_400000_NS6detail17trampoline_kernelINS0_14default_configENS1_20scan_config_selectorIfEEZZNS1_9scan_implILNS1_25lookback_scan_determinismE0ELb1ELb1ES3_N6thrust23THRUST_200600_302600_NS6detail15normal_iteratorINS9_10device_ptrIfEEEENSB_INSC_IiEEEEfNS9_4plusIvEEfEEDaPvRmT3_T4_T5_mT6_P12ihipStream_tbENKUlT_T0_E_clISt17integral_constantIbLb0EESW_EEDaSR_SS_EUlSR_E_NS1_11comp_targetILNS1_3genE0ELNS1_11target_archE4294967295ELNS1_3gpuE0ELNS1_3repE0EEENS1_30default_config_static_selectorELNS0_4arch9wavefront6targetE1EEEvT1_: ; @_ZN7rocprim17ROCPRIM_400000_NS6detail17trampoline_kernelINS0_14default_configENS1_20scan_config_selectorIfEEZZNS1_9scan_implILNS1_25lookback_scan_determinismE0ELb1ELb1ES3_N6thrust23THRUST_200600_302600_NS6detail15normal_iteratorINS9_10device_ptrIfEEEENSB_INSC_IiEEEEfNS9_4plusIvEEfEEDaPvRmT3_T4_T5_mT6_P12ihipStream_tbENKUlT_T0_E_clISt17integral_constantIbLb0EESW_EEDaSR_SS_EUlSR_E_NS1_11comp_targetILNS1_3genE0ELNS1_11target_archE4294967295ELNS1_3gpuE0ELNS1_3repE0EEENS1_30default_config_static_selectorELNS0_4arch9wavefront6targetE1EEEvT1_
; %bb.0:
	.section	.rodata,"a",@progbits
	.p2align	6, 0x0
	.amdhsa_kernel _ZN7rocprim17ROCPRIM_400000_NS6detail17trampoline_kernelINS0_14default_configENS1_20scan_config_selectorIfEEZZNS1_9scan_implILNS1_25lookback_scan_determinismE0ELb1ELb1ES3_N6thrust23THRUST_200600_302600_NS6detail15normal_iteratorINS9_10device_ptrIfEEEENSB_INSC_IiEEEEfNS9_4plusIvEEfEEDaPvRmT3_T4_T5_mT6_P12ihipStream_tbENKUlT_T0_E_clISt17integral_constantIbLb0EESW_EEDaSR_SS_EUlSR_E_NS1_11comp_targetILNS1_3genE0ELNS1_11target_archE4294967295ELNS1_3gpuE0ELNS1_3repE0EEENS1_30default_config_static_selectorELNS0_4arch9wavefront6targetE1EEEvT1_
		.amdhsa_group_segment_fixed_size 0
		.amdhsa_private_segment_fixed_size 0
		.amdhsa_kernarg_size 96
		.amdhsa_user_sgpr_count 6
		.amdhsa_user_sgpr_private_segment_buffer 1
		.amdhsa_user_sgpr_dispatch_ptr 0
		.amdhsa_user_sgpr_queue_ptr 0
		.amdhsa_user_sgpr_kernarg_segment_ptr 1
		.amdhsa_user_sgpr_dispatch_id 0
		.amdhsa_user_sgpr_flat_scratch_init 0
		.amdhsa_user_sgpr_kernarg_preload_length 0
		.amdhsa_user_sgpr_kernarg_preload_offset 0
		.amdhsa_user_sgpr_private_segment_size 0
		.amdhsa_uses_dynamic_stack 0
		.amdhsa_system_sgpr_private_segment_wavefront_offset 0
		.amdhsa_system_sgpr_workgroup_id_x 1
		.amdhsa_system_sgpr_workgroup_id_y 0
		.amdhsa_system_sgpr_workgroup_id_z 0
		.amdhsa_system_sgpr_workgroup_info 0
		.amdhsa_system_vgpr_workitem_id 0
		.amdhsa_next_free_vgpr 1
		.amdhsa_next_free_sgpr 0
		.amdhsa_accum_offset 4
		.amdhsa_reserve_vcc 0
		.amdhsa_reserve_flat_scratch 0
		.amdhsa_float_round_mode_32 0
		.amdhsa_float_round_mode_16_64 0
		.amdhsa_float_denorm_mode_32 3
		.amdhsa_float_denorm_mode_16_64 3
		.amdhsa_dx10_clamp 1
		.amdhsa_ieee_mode 1
		.amdhsa_fp16_overflow 0
		.amdhsa_tg_split 0
		.amdhsa_exception_fp_ieee_invalid_op 0
		.amdhsa_exception_fp_denorm_src 0
		.amdhsa_exception_fp_ieee_div_zero 0
		.amdhsa_exception_fp_ieee_overflow 0
		.amdhsa_exception_fp_ieee_underflow 0
		.amdhsa_exception_fp_ieee_inexact 0
		.amdhsa_exception_int_div_zero 0
	.end_amdhsa_kernel
	.section	.text._ZN7rocprim17ROCPRIM_400000_NS6detail17trampoline_kernelINS0_14default_configENS1_20scan_config_selectorIfEEZZNS1_9scan_implILNS1_25lookback_scan_determinismE0ELb1ELb1ES3_N6thrust23THRUST_200600_302600_NS6detail15normal_iteratorINS9_10device_ptrIfEEEENSB_INSC_IiEEEEfNS9_4plusIvEEfEEDaPvRmT3_T4_T5_mT6_P12ihipStream_tbENKUlT_T0_E_clISt17integral_constantIbLb0EESW_EEDaSR_SS_EUlSR_E_NS1_11comp_targetILNS1_3genE0ELNS1_11target_archE4294967295ELNS1_3gpuE0ELNS1_3repE0EEENS1_30default_config_static_selectorELNS0_4arch9wavefront6targetE1EEEvT1_,"axG",@progbits,_ZN7rocprim17ROCPRIM_400000_NS6detail17trampoline_kernelINS0_14default_configENS1_20scan_config_selectorIfEEZZNS1_9scan_implILNS1_25lookback_scan_determinismE0ELb1ELb1ES3_N6thrust23THRUST_200600_302600_NS6detail15normal_iteratorINS9_10device_ptrIfEEEENSB_INSC_IiEEEEfNS9_4plusIvEEfEEDaPvRmT3_T4_T5_mT6_P12ihipStream_tbENKUlT_T0_E_clISt17integral_constantIbLb0EESW_EEDaSR_SS_EUlSR_E_NS1_11comp_targetILNS1_3genE0ELNS1_11target_archE4294967295ELNS1_3gpuE0ELNS1_3repE0EEENS1_30default_config_static_selectorELNS0_4arch9wavefront6targetE1EEEvT1_,comdat
.Lfunc_end1569:
	.size	_ZN7rocprim17ROCPRIM_400000_NS6detail17trampoline_kernelINS0_14default_configENS1_20scan_config_selectorIfEEZZNS1_9scan_implILNS1_25lookback_scan_determinismE0ELb1ELb1ES3_N6thrust23THRUST_200600_302600_NS6detail15normal_iteratorINS9_10device_ptrIfEEEENSB_INSC_IiEEEEfNS9_4plusIvEEfEEDaPvRmT3_T4_T5_mT6_P12ihipStream_tbENKUlT_T0_E_clISt17integral_constantIbLb0EESW_EEDaSR_SS_EUlSR_E_NS1_11comp_targetILNS1_3genE0ELNS1_11target_archE4294967295ELNS1_3gpuE0ELNS1_3repE0EEENS1_30default_config_static_selectorELNS0_4arch9wavefront6targetE1EEEvT1_, .Lfunc_end1569-_ZN7rocprim17ROCPRIM_400000_NS6detail17trampoline_kernelINS0_14default_configENS1_20scan_config_selectorIfEEZZNS1_9scan_implILNS1_25lookback_scan_determinismE0ELb1ELb1ES3_N6thrust23THRUST_200600_302600_NS6detail15normal_iteratorINS9_10device_ptrIfEEEENSB_INSC_IiEEEEfNS9_4plusIvEEfEEDaPvRmT3_T4_T5_mT6_P12ihipStream_tbENKUlT_T0_E_clISt17integral_constantIbLb0EESW_EEDaSR_SS_EUlSR_E_NS1_11comp_targetILNS1_3genE0ELNS1_11target_archE4294967295ELNS1_3gpuE0ELNS1_3repE0EEENS1_30default_config_static_selectorELNS0_4arch9wavefront6targetE1EEEvT1_
                                        ; -- End function
	.section	.AMDGPU.csdata,"",@progbits
; Kernel info:
; codeLenInByte = 0
; NumSgprs: 4
; NumVgprs: 0
; NumAgprs: 0
; TotalNumVgprs: 0
; ScratchSize: 0
; MemoryBound: 0
; FloatMode: 240
; IeeeMode: 1
; LDSByteSize: 0 bytes/workgroup (compile time only)
; SGPRBlocks: 0
; VGPRBlocks: 0
; NumSGPRsForWavesPerEU: 4
; NumVGPRsForWavesPerEU: 1
; AccumOffset: 4
; Occupancy: 8
; WaveLimiterHint : 0
; COMPUTE_PGM_RSRC2:SCRATCH_EN: 0
; COMPUTE_PGM_RSRC2:USER_SGPR: 6
; COMPUTE_PGM_RSRC2:TRAP_HANDLER: 0
; COMPUTE_PGM_RSRC2:TGID_X_EN: 1
; COMPUTE_PGM_RSRC2:TGID_Y_EN: 0
; COMPUTE_PGM_RSRC2:TGID_Z_EN: 0
; COMPUTE_PGM_RSRC2:TIDIG_COMP_CNT: 0
; COMPUTE_PGM_RSRC3_GFX90A:ACCUM_OFFSET: 0
; COMPUTE_PGM_RSRC3_GFX90A:TG_SPLIT: 0
	.section	.text._ZN7rocprim17ROCPRIM_400000_NS6detail17trampoline_kernelINS0_14default_configENS1_20scan_config_selectorIfEEZZNS1_9scan_implILNS1_25lookback_scan_determinismE0ELb1ELb1ES3_N6thrust23THRUST_200600_302600_NS6detail15normal_iteratorINS9_10device_ptrIfEEEENSB_INSC_IiEEEEfNS9_4plusIvEEfEEDaPvRmT3_T4_T5_mT6_P12ihipStream_tbENKUlT_T0_E_clISt17integral_constantIbLb0EESW_EEDaSR_SS_EUlSR_E_NS1_11comp_targetILNS1_3genE5ELNS1_11target_archE942ELNS1_3gpuE9ELNS1_3repE0EEENS1_30default_config_static_selectorELNS0_4arch9wavefront6targetE1EEEvT1_,"axG",@progbits,_ZN7rocprim17ROCPRIM_400000_NS6detail17trampoline_kernelINS0_14default_configENS1_20scan_config_selectorIfEEZZNS1_9scan_implILNS1_25lookback_scan_determinismE0ELb1ELb1ES3_N6thrust23THRUST_200600_302600_NS6detail15normal_iteratorINS9_10device_ptrIfEEEENSB_INSC_IiEEEEfNS9_4plusIvEEfEEDaPvRmT3_T4_T5_mT6_P12ihipStream_tbENKUlT_T0_E_clISt17integral_constantIbLb0EESW_EEDaSR_SS_EUlSR_E_NS1_11comp_targetILNS1_3genE5ELNS1_11target_archE942ELNS1_3gpuE9ELNS1_3repE0EEENS1_30default_config_static_selectorELNS0_4arch9wavefront6targetE1EEEvT1_,comdat
	.protected	_ZN7rocprim17ROCPRIM_400000_NS6detail17trampoline_kernelINS0_14default_configENS1_20scan_config_selectorIfEEZZNS1_9scan_implILNS1_25lookback_scan_determinismE0ELb1ELb1ES3_N6thrust23THRUST_200600_302600_NS6detail15normal_iteratorINS9_10device_ptrIfEEEENSB_INSC_IiEEEEfNS9_4plusIvEEfEEDaPvRmT3_T4_T5_mT6_P12ihipStream_tbENKUlT_T0_E_clISt17integral_constantIbLb0EESW_EEDaSR_SS_EUlSR_E_NS1_11comp_targetILNS1_3genE5ELNS1_11target_archE942ELNS1_3gpuE9ELNS1_3repE0EEENS1_30default_config_static_selectorELNS0_4arch9wavefront6targetE1EEEvT1_ ; -- Begin function _ZN7rocprim17ROCPRIM_400000_NS6detail17trampoline_kernelINS0_14default_configENS1_20scan_config_selectorIfEEZZNS1_9scan_implILNS1_25lookback_scan_determinismE0ELb1ELb1ES3_N6thrust23THRUST_200600_302600_NS6detail15normal_iteratorINS9_10device_ptrIfEEEENSB_INSC_IiEEEEfNS9_4plusIvEEfEEDaPvRmT3_T4_T5_mT6_P12ihipStream_tbENKUlT_T0_E_clISt17integral_constantIbLb0EESW_EEDaSR_SS_EUlSR_E_NS1_11comp_targetILNS1_3genE5ELNS1_11target_archE942ELNS1_3gpuE9ELNS1_3repE0EEENS1_30default_config_static_selectorELNS0_4arch9wavefront6targetE1EEEvT1_
	.globl	_ZN7rocprim17ROCPRIM_400000_NS6detail17trampoline_kernelINS0_14default_configENS1_20scan_config_selectorIfEEZZNS1_9scan_implILNS1_25lookback_scan_determinismE0ELb1ELb1ES3_N6thrust23THRUST_200600_302600_NS6detail15normal_iteratorINS9_10device_ptrIfEEEENSB_INSC_IiEEEEfNS9_4plusIvEEfEEDaPvRmT3_T4_T5_mT6_P12ihipStream_tbENKUlT_T0_E_clISt17integral_constantIbLb0EESW_EEDaSR_SS_EUlSR_E_NS1_11comp_targetILNS1_3genE5ELNS1_11target_archE942ELNS1_3gpuE9ELNS1_3repE0EEENS1_30default_config_static_selectorELNS0_4arch9wavefront6targetE1EEEvT1_
	.p2align	8
	.type	_ZN7rocprim17ROCPRIM_400000_NS6detail17trampoline_kernelINS0_14default_configENS1_20scan_config_selectorIfEEZZNS1_9scan_implILNS1_25lookback_scan_determinismE0ELb1ELb1ES3_N6thrust23THRUST_200600_302600_NS6detail15normal_iteratorINS9_10device_ptrIfEEEENSB_INSC_IiEEEEfNS9_4plusIvEEfEEDaPvRmT3_T4_T5_mT6_P12ihipStream_tbENKUlT_T0_E_clISt17integral_constantIbLb0EESW_EEDaSR_SS_EUlSR_E_NS1_11comp_targetILNS1_3genE5ELNS1_11target_archE942ELNS1_3gpuE9ELNS1_3repE0EEENS1_30default_config_static_selectorELNS0_4arch9wavefront6targetE1EEEvT1_,@function
_ZN7rocprim17ROCPRIM_400000_NS6detail17trampoline_kernelINS0_14default_configENS1_20scan_config_selectorIfEEZZNS1_9scan_implILNS1_25lookback_scan_determinismE0ELb1ELb1ES3_N6thrust23THRUST_200600_302600_NS6detail15normal_iteratorINS9_10device_ptrIfEEEENSB_INSC_IiEEEEfNS9_4plusIvEEfEEDaPvRmT3_T4_T5_mT6_P12ihipStream_tbENKUlT_T0_E_clISt17integral_constantIbLb0EESW_EEDaSR_SS_EUlSR_E_NS1_11comp_targetILNS1_3genE5ELNS1_11target_archE942ELNS1_3gpuE9ELNS1_3repE0EEENS1_30default_config_static_selectorELNS0_4arch9wavefront6targetE1EEEvT1_: ; @_ZN7rocprim17ROCPRIM_400000_NS6detail17trampoline_kernelINS0_14default_configENS1_20scan_config_selectorIfEEZZNS1_9scan_implILNS1_25lookback_scan_determinismE0ELb1ELb1ES3_N6thrust23THRUST_200600_302600_NS6detail15normal_iteratorINS9_10device_ptrIfEEEENSB_INSC_IiEEEEfNS9_4plusIvEEfEEDaPvRmT3_T4_T5_mT6_P12ihipStream_tbENKUlT_T0_E_clISt17integral_constantIbLb0EESW_EEDaSR_SS_EUlSR_E_NS1_11comp_targetILNS1_3genE5ELNS1_11target_archE942ELNS1_3gpuE9ELNS1_3repE0EEENS1_30default_config_static_selectorELNS0_4arch9wavefront6targetE1EEEvT1_
; %bb.0:
	.section	.rodata,"a",@progbits
	.p2align	6, 0x0
	.amdhsa_kernel _ZN7rocprim17ROCPRIM_400000_NS6detail17trampoline_kernelINS0_14default_configENS1_20scan_config_selectorIfEEZZNS1_9scan_implILNS1_25lookback_scan_determinismE0ELb1ELb1ES3_N6thrust23THRUST_200600_302600_NS6detail15normal_iteratorINS9_10device_ptrIfEEEENSB_INSC_IiEEEEfNS9_4plusIvEEfEEDaPvRmT3_T4_T5_mT6_P12ihipStream_tbENKUlT_T0_E_clISt17integral_constantIbLb0EESW_EEDaSR_SS_EUlSR_E_NS1_11comp_targetILNS1_3genE5ELNS1_11target_archE942ELNS1_3gpuE9ELNS1_3repE0EEENS1_30default_config_static_selectorELNS0_4arch9wavefront6targetE1EEEvT1_
		.amdhsa_group_segment_fixed_size 0
		.amdhsa_private_segment_fixed_size 0
		.amdhsa_kernarg_size 96
		.amdhsa_user_sgpr_count 6
		.amdhsa_user_sgpr_private_segment_buffer 1
		.amdhsa_user_sgpr_dispatch_ptr 0
		.amdhsa_user_sgpr_queue_ptr 0
		.amdhsa_user_sgpr_kernarg_segment_ptr 1
		.amdhsa_user_sgpr_dispatch_id 0
		.amdhsa_user_sgpr_flat_scratch_init 0
		.amdhsa_user_sgpr_kernarg_preload_length 0
		.amdhsa_user_sgpr_kernarg_preload_offset 0
		.amdhsa_user_sgpr_private_segment_size 0
		.amdhsa_uses_dynamic_stack 0
		.amdhsa_system_sgpr_private_segment_wavefront_offset 0
		.amdhsa_system_sgpr_workgroup_id_x 1
		.amdhsa_system_sgpr_workgroup_id_y 0
		.amdhsa_system_sgpr_workgroup_id_z 0
		.amdhsa_system_sgpr_workgroup_info 0
		.amdhsa_system_vgpr_workitem_id 0
		.amdhsa_next_free_vgpr 1
		.amdhsa_next_free_sgpr 0
		.amdhsa_accum_offset 4
		.amdhsa_reserve_vcc 0
		.amdhsa_reserve_flat_scratch 0
		.amdhsa_float_round_mode_32 0
		.amdhsa_float_round_mode_16_64 0
		.amdhsa_float_denorm_mode_32 3
		.amdhsa_float_denorm_mode_16_64 3
		.amdhsa_dx10_clamp 1
		.amdhsa_ieee_mode 1
		.amdhsa_fp16_overflow 0
		.amdhsa_tg_split 0
		.amdhsa_exception_fp_ieee_invalid_op 0
		.amdhsa_exception_fp_denorm_src 0
		.amdhsa_exception_fp_ieee_div_zero 0
		.amdhsa_exception_fp_ieee_overflow 0
		.amdhsa_exception_fp_ieee_underflow 0
		.amdhsa_exception_fp_ieee_inexact 0
		.amdhsa_exception_int_div_zero 0
	.end_amdhsa_kernel
	.section	.text._ZN7rocprim17ROCPRIM_400000_NS6detail17trampoline_kernelINS0_14default_configENS1_20scan_config_selectorIfEEZZNS1_9scan_implILNS1_25lookback_scan_determinismE0ELb1ELb1ES3_N6thrust23THRUST_200600_302600_NS6detail15normal_iteratorINS9_10device_ptrIfEEEENSB_INSC_IiEEEEfNS9_4plusIvEEfEEDaPvRmT3_T4_T5_mT6_P12ihipStream_tbENKUlT_T0_E_clISt17integral_constantIbLb0EESW_EEDaSR_SS_EUlSR_E_NS1_11comp_targetILNS1_3genE5ELNS1_11target_archE942ELNS1_3gpuE9ELNS1_3repE0EEENS1_30default_config_static_selectorELNS0_4arch9wavefront6targetE1EEEvT1_,"axG",@progbits,_ZN7rocprim17ROCPRIM_400000_NS6detail17trampoline_kernelINS0_14default_configENS1_20scan_config_selectorIfEEZZNS1_9scan_implILNS1_25lookback_scan_determinismE0ELb1ELb1ES3_N6thrust23THRUST_200600_302600_NS6detail15normal_iteratorINS9_10device_ptrIfEEEENSB_INSC_IiEEEEfNS9_4plusIvEEfEEDaPvRmT3_T4_T5_mT6_P12ihipStream_tbENKUlT_T0_E_clISt17integral_constantIbLb0EESW_EEDaSR_SS_EUlSR_E_NS1_11comp_targetILNS1_3genE5ELNS1_11target_archE942ELNS1_3gpuE9ELNS1_3repE0EEENS1_30default_config_static_selectorELNS0_4arch9wavefront6targetE1EEEvT1_,comdat
.Lfunc_end1570:
	.size	_ZN7rocprim17ROCPRIM_400000_NS6detail17trampoline_kernelINS0_14default_configENS1_20scan_config_selectorIfEEZZNS1_9scan_implILNS1_25lookback_scan_determinismE0ELb1ELb1ES3_N6thrust23THRUST_200600_302600_NS6detail15normal_iteratorINS9_10device_ptrIfEEEENSB_INSC_IiEEEEfNS9_4plusIvEEfEEDaPvRmT3_T4_T5_mT6_P12ihipStream_tbENKUlT_T0_E_clISt17integral_constantIbLb0EESW_EEDaSR_SS_EUlSR_E_NS1_11comp_targetILNS1_3genE5ELNS1_11target_archE942ELNS1_3gpuE9ELNS1_3repE0EEENS1_30default_config_static_selectorELNS0_4arch9wavefront6targetE1EEEvT1_, .Lfunc_end1570-_ZN7rocprim17ROCPRIM_400000_NS6detail17trampoline_kernelINS0_14default_configENS1_20scan_config_selectorIfEEZZNS1_9scan_implILNS1_25lookback_scan_determinismE0ELb1ELb1ES3_N6thrust23THRUST_200600_302600_NS6detail15normal_iteratorINS9_10device_ptrIfEEEENSB_INSC_IiEEEEfNS9_4plusIvEEfEEDaPvRmT3_T4_T5_mT6_P12ihipStream_tbENKUlT_T0_E_clISt17integral_constantIbLb0EESW_EEDaSR_SS_EUlSR_E_NS1_11comp_targetILNS1_3genE5ELNS1_11target_archE942ELNS1_3gpuE9ELNS1_3repE0EEENS1_30default_config_static_selectorELNS0_4arch9wavefront6targetE1EEEvT1_
                                        ; -- End function
	.section	.AMDGPU.csdata,"",@progbits
; Kernel info:
; codeLenInByte = 0
; NumSgprs: 4
; NumVgprs: 0
; NumAgprs: 0
; TotalNumVgprs: 0
; ScratchSize: 0
; MemoryBound: 0
; FloatMode: 240
; IeeeMode: 1
; LDSByteSize: 0 bytes/workgroup (compile time only)
; SGPRBlocks: 0
; VGPRBlocks: 0
; NumSGPRsForWavesPerEU: 4
; NumVGPRsForWavesPerEU: 1
; AccumOffset: 4
; Occupancy: 8
; WaveLimiterHint : 0
; COMPUTE_PGM_RSRC2:SCRATCH_EN: 0
; COMPUTE_PGM_RSRC2:USER_SGPR: 6
; COMPUTE_PGM_RSRC2:TRAP_HANDLER: 0
; COMPUTE_PGM_RSRC2:TGID_X_EN: 1
; COMPUTE_PGM_RSRC2:TGID_Y_EN: 0
; COMPUTE_PGM_RSRC2:TGID_Z_EN: 0
; COMPUTE_PGM_RSRC2:TIDIG_COMP_CNT: 0
; COMPUTE_PGM_RSRC3_GFX90A:ACCUM_OFFSET: 0
; COMPUTE_PGM_RSRC3_GFX90A:TG_SPLIT: 0
	.section	.text._ZN7rocprim17ROCPRIM_400000_NS6detail17trampoline_kernelINS0_14default_configENS1_20scan_config_selectorIfEEZZNS1_9scan_implILNS1_25lookback_scan_determinismE0ELb1ELb1ES3_N6thrust23THRUST_200600_302600_NS6detail15normal_iteratorINS9_10device_ptrIfEEEENSB_INSC_IiEEEEfNS9_4plusIvEEfEEDaPvRmT3_T4_T5_mT6_P12ihipStream_tbENKUlT_T0_E_clISt17integral_constantIbLb0EESW_EEDaSR_SS_EUlSR_E_NS1_11comp_targetILNS1_3genE4ELNS1_11target_archE910ELNS1_3gpuE8ELNS1_3repE0EEENS1_30default_config_static_selectorELNS0_4arch9wavefront6targetE1EEEvT1_,"axG",@progbits,_ZN7rocprim17ROCPRIM_400000_NS6detail17trampoline_kernelINS0_14default_configENS1_20scan_config_selectorIfEEZZNS1_9scan_implILNS1_25lookback_scan_determinismE0ELb1ELb1ES3_N6thrust23THRUST_200600_302600_NS6detail15normal_iteratorINS9_10device_ptrIfEEEENSB_INSC_IiEEEEfNS9_4plusIvEEfEEDaPvRmT3_T4_T5_mT6_P12ihipStream_tbENKUlT_T0_E_clISt17integral_constantIbLb0EESW_EEDaSR_SS_EUlSR_E_NS1_11comp_targetILNS1_3genE4ELNS1_11target_archE910ELNS1_3gpuE8ELNS1_3repE0EEENS1_30default_config_static_selectorELNS0_4arch9wavefront6targetE1EEEvT1_,comdat
	.protected	_ZN7rocprim17ROCPRIM_400000_NS6detail17trampoline_kernelINS0_14default_configENS1_20scan_config_selectorIfEEZZNS1_9scan_implILNS1_25lookback_scan_determinismE0ELb1ELb1ES3_N6thrust23THRUST_200600_302600_NS6detail15normal_iteratorINS9_10device_ptrIfEEEENSB_INSC_IiEEEEfNS9_4plusIvEEfEEDaPvRmT3_T4_T5_mT6_P12ihipStream_tbENKUlT_T0_E_clISt17integral_constantIbLb0EESW_EEDaSR_SS_EUlSR_E_NS1_11comp_targetILNS1_3genE4ELNS1_11target_archE910ELNS1_3gpuE8ELNS1_3repE0EEENS1_30default_config_static_selectorELNS0_4arch9wavefront6targetE1EEEvT1_ ; -- Begin function _ZN7rocprim17ROCPRIM_400000_NS6detail17trampoline_kernelINS0_14default_configENS1_20scan_config_selectorIfEEZZNS1_9scan_implILNS1_25lookback_scan_determinismE0ELb1ELb1ES3_N6thrust23THRUST_200600_302600_NS6detail15normal_iteratorINS9_10device_ptrIfEEEENSB_INSC_IiEEEEfNS9_4plusIvEEfEEDaPvRmT3_T4_T5_mT6_P12ihipStream_tbENKUlT_T0_E_clISt17integral_constantIbLb0EESW_EEDaSR_SS_EUlSR_E_NS1_11comp_targetILNS1_3genE4ELNS1_11target_archE910ELNS1_3gpuE8ELNS1_3repE0EEENS1_30default_config_static_selectorELNS0_4arch9wavefront6targetE1EEEvT1_
	.globl	_ZN7rocprim17ROCPRIM_400000_NS6detail17trampoline_kernelINS0_14default_configENS1_20scan_config_selectorIfEEZZNS1_9scan_implILNS1_25lookback_scan_determinismE0ELb1ELb1ES3_N6thrust23THRUST_200600_302600_NS6detail15normal_iteratorINS9_10device_ptrIfEEEENSB_INSC_IiEEEEfNS9_4plusIvEEfEEDaPvRmT3_T4_T5_mT6_P12ihipStream_tbENKUlT_T0_E_clISt17integral_constantIbLb0EESW_EEDaSR_SS_EUlSR_E_NS1_11comp_targetILNS1_3genE4ELNS1_11target_archE910ELNS1_3gpuE8ELNS1_3repE0EEENS1_30default_config_static_selectorELNS0_4arch9wavefront6targetE1EEEvT1_
	.p2align	8
	.type	_ZN7rocprim17ROCPRIM_400000_NS6detail17trampoline_kernelINS0_14default_configENS1_20scan_config_selectorIfEEZZNS1_9scan_implILNS1_25lookback_scan_determinismE0ELb1ELb1ES3_N6thrust23THRUST_200600_302600_NS6detail15normal_iteratorINS9_10device_ptrIfEEEENSB_INSC_IiEEEEfNS9_4plusIvEEfEEDaPvRmT3_T4_T5_mT6_P12ihipStream_tbENKUlT_T0_E_clISt17integral_constantIbLb0EESW_EEDaSR_SS_EUlSR_E_NS1_11comp_targetILNS1_3genE4ELNS1_11target_archE910ELNS1_3gpuE8ELNS1_3repE0EEENS1_30default_config_static_selectorELNS0_4arch9wavefront6targetE1EEEvT1_,@function
_ZN7rocprim17ROCPRIM_400000_NS6detail17trampoline_kernelINS0_14default_configENS1_20scan_config_selectorIfEEZZNS1_9scan_implILNS1_25lookback_scan_determinismE0ELb1ELb1ES3_N6thrust23THRUST_200600_302600_NS6detail15normal_iteratorINS9_10device_ptrIfEEEENSB_INSC_IiEEEEfNS9_4plusIvEEfEEDaPvRmT3_T4_T5_mT6_P12ihipStream_tbENKUlT_T0_E_clISt17integral_constantIbLb0EESW_EEDaSR_SS_EUlSR_E_NS1_11comp_targetILNS1_3genE4ELNS1_11target_archE910ELNS1_3gpuE8ELNS1_3repE0EEENS1_30default_config_static_selectorELNS0_4arch9wavefront6targetE1EEEvT1_: ; @_ZN7rocprim17ROCPRIM_400000_NS6detail17trampoline_kernelINS0_14default_configENS1_20scan_config_selectorIfEEZZNS1_9scan_implILNS1_25lookback_scan_determinismE0ELb1ELb1ES3_N6thrust23THRUST_200600_302600_NS6detail15normal_iteratorINS9_10device_ptrIfEEEENSB_INSC_IiEEEEfNS9_4plusIvEEfEEDaPvRmT3_T4_T5_mT6_P12ihipStream_tbENKUlT_T0_E_clISt17integral_constantIbLb0EESW_EEDaSR_SS_EUlSR_E_NS1_11comp_targetILNS1_3genE4ELNS1_11target_archE910ELNS1_3gpuE8ELNS1_3repE0EEENS1_30default_config_static_selectorELNS0_4arch9wavefront6targetE1EEEvT1_
; %bb.0:
	s_load_dwordx8 s[12:19], s[4:5], 0x0
	s_load_dword s1, s[4:5], 0x30
	s_mul_i32 s0, s6, 0x700
	v_lshlrev_b32_e32 v32, 2, v0
	s_waitcnt lgkmcnt(0)
	s_lshl_b64 s[20:21], s[14:15], 2
	s_add_u32 s29, s12, s20
	s_addc_u32 s30, s13, s21
	s_add_i32 s2, s1, -1
	s_mul_i32 s3, s2, 0x700
	s_sub_u32 s7, s18, s3
	s_subb_u32 s28, s19, 0
	s_mov_b32 s1, 0
	s_cmp_lg_u32 s6, s2
	s_cselect_b64 s[18:19], -1, 0
	s_lshl_b64 s[22:23], s[0:1], 2
	s_add_u32 s2, s29, s22
	s_addc_u32 s3, s30, s23
	s_mov_b64 s[0:1], -1
	s_and_b64 vcc, exec, s[18:19]
	s_cbranch_vccz .LBB1571_2
; %bb.1:
	v_mov_b32_e32 v1, s3
	v_add_co_u32_e32 v2, vcc, s2, v32
	v_addc_co_u32_e32 v3, vcc, 0, v1, vcc
	flat_load_dword v1, v[2:3]
	flat_load_dword v4, v[2:3] offset:512
	flat_load_dword v5, v[2:3] offset:1024
	;; [unrolled: 1-line block ×7, first 2 shown]
	v_add_co_u32_e32 v2, vcc, 0x1000, v2
	v_addc_co_u32_e32 v3, vcc, 0, v3, vcc
	flat_load_dword v11, v[2:3]
	flat_load_dword v12, v[2:3] offset:512
	flat_load_dword v13, v[2:3] offset:1024
	;; [unrolled: 1-line block ×5, first 2 shown]
	s_mov_b64 s[0:1], 0
	s_waitcnt vmcnt(0) lgkmcnt(0)
	ds_write2st64_b32 v32, v1, v4 offset1:2
	ds_write2st64_b32 v32, v5, v6 offset0:4 offset1:6
	ds_write2st64_b32 v32, v7, v8 offset0:8 offset1:10
	;; [unrolled: 1-line block ×6, first 2 shown]
	s_waitcnt lgkmcnt(0)
	s_barrier
.LBB1571_2:
	s_load_dwordx2 s[24:25], s[4:5], 0x28
	s_andn2_b64 vcc, exec, s[0:1]
	v_cmp_gt_u32_e64 s[0:1], s7, v0
	s_cbranch_vccnz .LBB1571_32
; %bb.3:
	v_pk_mov_b32 v[2:3], s[2:3], s[2:3] op_sel:[0,1]
	flat_load_dword v1, v[2:3]
	s_waitcnt vmcnt(0) lgkmcnt(0)
	v_mov_b32_e32 v2, v1
	v_mov_b32_e32 v3, v1
	;; [unrolled: 1-line block ×12, first 2 shown]
	v_pk_mov_b32 v[16:17], v[14:15], v[14:15] op_sel:[0,1]
	v_pk_mov_b32 v[14:15], v[12:13], v[12:13] op_sel:[0,1]
	;; [unrolled: 1-line block ×8, first 2 shown]
	s_and_saveexec_b64 s[8:9], s[0:1]
	s_cbranch_execz .LBB1571_5
; %bb.4:
	v_mov_b32_e32 v3, s3
	v_add_co_u32_e32 v2, vcc, s2, v32
	v_addc_co_u32_e32 v3, vcc, 0, v3, vcc
	flat_load_dword v18, v[2:3]
	v_mov_b32_e32 v2, v1
	v_mov_b32_e32 v3, v1
	;; [unrolled: 1-line block ×12, first 2 shown]
	v_pk_mov_b32 v[16:17], v[14:15], v[14:15] op_sel:[0,1]
	v_pk_mov_b32 v[14:15], v[12:13], v[12:13] op_sel:[0,1]
	v_pk_mov_b32 v[12:13], v[10:11], v[10:11] op_sel:[0,1]
	v_pk_mov_b32 v[10:11], v[8:9], v[8:9] op_sel:[0,1]
	v_pk_mov_b32 v[8:9], v[6:7], v[6:7] op_sel:[0,1]
	v_pk_mov_b32 v[6:7], v[4:5], v[4:5] op_sel:[0,1]
	v_pk_mov_b32 v[4:5], v[2:3], v[2:3] op_sel:[0,1]
	v_pk_mov_b32 v[2:3], v[0:1], v[0:1] op_sel:[0,1]
	s_waitcnt vmcnt(0) lgkmcnt(0)
	v_mov_b32_e32 v1, v18
.LBB1571_5:
	s_or_b64 exec, exec, s[8:9]
	v_or_b32_e32 v2, 0x80, v0
	v_cmp_gt_u32_e32 vcc, s7, v2
	s_and_saveexec_b64 s[0:1], vcc
	s_cbranch_execz .LBB1571_7
; %bb.6:
	v_mov_b32_e32 v3, s3
	v_add_co_u32_e32 v2, vcc, s2, v32
	v_addc_co_u32_e32 v3, vcc, 0, v3, vcc
	flat_load_dword v3, v[2:3] offset:512
.LBB1571_7:
	s_or_b64 exec, exec, s[0:1]
	v_or_b32_e32 v2, 0x100, v0
	v_cmp_gt_u32_e32 vcc, s7, v2
	s_and_saveexec_b64 s[0:1], vcc
	s_cbranch_execz .LBB1571_9
; %bb.8:
	v_mov_b32_e32 v2, s3
	v_add_co_u32_e32 v16, vcc, s2, v32
	v_addc_co_u32_e32 v17, vcc, 0, v2, vcc
	flat_load_dword v4, v[16:17] offset:1024
.LBB1571_9:
	;; [unrolled: 11-line block ×7, first 2 shown]
	s_or_b64 exec, exec, s[0:1]
	v_or_b32_e32 v2, 0x400, v0
	v_cmp_gt_u32_e32 vcc, s7, v2
	s_and_saveexec_b64 s[0:1], vcc
	s_cbranch_execz .LBB1571_21
; %bb.20:
	v_lshlrev_b32_e32 v2, 2, v2
	v_mov_b32_e32 v10, s3
	v_add_co_u32_e32 v16, vcc, s2, v2
	v_addc_co_u32_e32 v17, vcc, 0, v10, vcc
	flat_load_dword v10, v[16:17]
.LBB1571_21:
	s_or_b64 exec, exec, s[0:1]
	v_or_b32_e32 v2, 0x480, v0
	v_cmp_gt_u32_e32 vcc, s7, v2
	s_and_saveexec_b64 s[0:1], vcc
	s_cbranch_execz .LBB1571_23
; %bb.22:
	v_lshlrev_b32_e32 v2, 2, v2
	v_mov_b32_e32 v11, s3
	v_add_co_u32_e32 v16, vcc, s2, v2
	v_addc_co_u32_e32 v17, vcc, 0, v11, vcc
	flat_load_dword v11, v[16:17]
.LBB1571_23:
	;; [unrolled: 12-line block ×6, first 2 shown]
	s_or_b64 exec, exec, s[0:1]
	s_waitcnt vmcnt(0) lgkmcnt(0)
	ds_write2st64_b32 v32, v1, v3 offset1:2
	ds_write2st64_b32 v32, v4, v5 offset0:4 offset1:6
	ds_write2st64_b32 v32, v6, v7 offset0:8 offset1:10
	;; [unrolled: 1-line block ×6, first 2 shown]
	s_waitcnt lgkmcnt(0)
	s_barrier
.LBB1571_32:
	v_mul_u32_u24_e32 v33, 14, v0
	v_lshlrev_b32_e32 v34, 2, v33
	s_waitcnt lgkmcnt(0)
	ds_read2_b64 v[26:29], v34 offset1:1
	ds_read2_b64 v[22:25], v34 offset0:2 offset1:3
	ds_read2_b64 v[18:21], v34 offset0:4 offset1:5
	ds_read_b64 v[30:31], v34 offset:48
	s_cmp_lg_u32 s6, 0
	s_waitcnt lgkmcnt(3)
	v_add_f32_e32 v35, v26, v27
	v_lshrrev_b32_e32 v1, 5, v0
	v_cmp_gt_u32_e32 vcc, 64, v0
	s_waitcnt lgkmcnt(0)
	s_barrier
	s_cbranch_scc0 .LBB1571_57
; %bb.33:
	v_add_f32_e32 v2, v28, v35
	v_add_f32_e32 v2, v29, v2
	;; [unrolled: 1-line block ×12, first 2 shown]
	v_add_lshl_u32 v2, v1, v0, 2
	ds_write_b32 v2, v12
	s_waitcnt lgkmcnt(0)
	s_barrier
	s_and_saveexec_b64 s[10:11], vcc
	s_cbranch_execz .LBB1571_35
; %bb.34:
	v_lshlrev_b32_e32 v2, 1, v0
	v_lshrrev_b32_e32 v3, 4, v0
	v_add_lshl_u32 v4, v3, v2, 2
	ds_read2_b32 v[2:3], v4 offset1:1
	v_mbcnt_lo_u32_b32 v5, -1, 0
	v_mbcnt_hi_u32_b32 v5, -1, v5
	v_and_b32_e32 v6, 15, v5
	v_cmp_eq_u32_e64 s[0:1], 0, v6
	s_waitcnt lgkmcnt(0)
	v_add_f32_e32 v3, v2, v3
	v_cmp_lt_u32_e64 s[2:3], 3, v6
	v_cmp_lt_u32_e64 s[8:9], 31, v5
	v_mov_b32_dpp v7, v3 row_shr:1 row_mask:0xf bank_mask:0xf
	v_add_f32_e32 v7, v3, v7
	v_cndmask_b32_e64 v3, v7, v3, s[0:1]
	v_cmp_lt_u32_e64 s[0:1], 1, v6
	s_nop 0
	v_mov_b32_dpp v7, v3 row_shr:2 row_mask:0xf bank_mask:0xf
	v_add_f32_e32 v7, v3, v7
	v_cndmask_b32_e64 v7, v3, v7, s[0:1]
	; wave barrier
	s_nop 1
	v_mov_b32_dpp v8, v7 row_shr:4 row_mask:0xf bank_mask:0xf
	v_add_f32_e32 v8, v7, v8
	v_cndmask_b32_e64 v7, v7, v8, s[2:3]
	v_cmp_lt_u32_e64 s[2:3], 7, v6
	s_nop 0
	v_mov_b32_dpp v8, v7 row_shr:8 row_mask:0xf bank_mask:0xf
	v_add_f32_e32 v8, v7, v8
	v_cndmask_b32_e64 v6, v7, v8, s[2:3]
	v_and_b32_e32 v8, 16, v5
	v_cmp_eq_u32_e64 s[2:3], 0, v8
	v_mov_b32_dpp v7, v6 row_bcast:15 row_mask:0xf bank_mask:0xf
	v_add_f32_e32 v7, v6, v7
	v_cndmask_b32_e64 v6, v7, v6, s[2:3]
	v_cmp_lt_u32_e64 s[2:3], 15, v5
	s_or_b64 s[0:1], s[2:3], s[0:1]
	v_mov_b32_dpp v7, v6 row_bcast:31 row_mask:0xf bank_mask:0xf
	v_add_f32_e32 v7, v6, v7
	v_cndmask_b32_e64 v6, v6, v7, s[8:9]
	v_cndmask_b32_e64 v3, v3, v6, s[0:1]
	v_add_u32_e32 v6, -1, v5
	v_and_b32_e32 v7, 64, v5
	v_cmp_lt_i32_e64 s[0:1], v6, v7
	v_cndmask_b32_e64 v5, v6, v5, s[0:1]
	v_lshlrev_b32_e32 v5, 2, v5
	ds_bpermute_b32 v3, v5, v3
	v_cmp_eq_u32_e64 s[0:1], 0, v0
	s_waitcnt lgkmcnt(0)
	v_add_f32_e32 v2, v2, v3
	v_cndmask_b32_e64 v2, v2, v12, s[0:1]
	ds_write_b32 v4, v2
	; wave barrier
	ds_read_b32 v3, v4 offset:4
	s_waitcnt lgkmcnt(0)
	v_add_f32_e32 v2, v2, v3
	ds_write_b32 v4, v2 offset:4
.LBB1571_35:
	s_or_b64 exec, exec, s[10:11]
	v_cmp_eq_u32_e64 s[0:1], 0, v0
	v_cmp_ne_u32_e64 s[2:3], 0, v0
	s_waitcnt lgkmcnt(0)
	s_barrier
	s_and_saveexec_b64 s[8:9], s[2:3]
	s_cbranch_execz .LBB1571_37
; %bb.36:
	v_add_u32_e32 v2, -1, v0
	v_lshrrev_b32_e32 v3, 5, v2
	v_add_lshl_u32 v2, v3, v2, 2
	ds_read_b32 v12, v2
.LBB1571_37:
	s_or_b64 exec, exec, s[8:9]
	s_and_saveexec_b64 s[26:27], vcc
	s_cbranch_execz .LBB1571_56
; %bb.38:
	v_mov_b32_e32 v9, 0
	ds_read_b32 v2, v9 offset:520
	v_mbcnt_lo_u32_b32 v3, -1, 0
	v_mbcnt_hi_u32_b32 v5, -1, v3
	s_mov_b32 s11, 0
	v_cmp_eq_u32_e64 s[2:3], 0, v5
	s_and_saveexec_b64 s[8:9], s[2:3]
	s_cbranch_execz .LBB1571_40
; %bb.39:
	s_add_i32 s10, s6, 64
	s_lshl_b64 s[10:11], s[10:11], 3
	s_add_u32 s10, s24, s10
	v_mov_b32_e32 v3, 1
	s_addc_u32 s11, s25, s11
	s_waitcnt lgkmcnt(0)
	global_store_dwordx2 v9, v[2:3], s[10:11]
.LBB1571_40:
	s_or_b64 exec, exec, s[8:9]
	v_xad_u32 v4, v5, -1, s6
	v_add_u32_e32 v8, 64, v4
	v_lshlrev_b64 v[6:7], 3, v[8:9]
	v_mov_b32_e32 v3, s25
	v_add_co_u32_e32 v10, vcc, s24, v6
	v_addc_co_u32_e32 v11, vcc, v3, v7, vcc
	global_load_dwordx2 v[6:7], v[10:11], off glc
	s_waitcnt vmcnt(0)
	v_cmp_eq_u16_sdwa s[10:11], v7, v9 src0_sel:BYTE_0 src1_sel:DWORD
	s_and_saveexec_b64 s[8:9], s[10:11]
	s_cbranch_execz .LBB1571_44
; %bb.41:
	s_mov_b64 s[10:11], 0
	v_mov_b32_e32 v3, 0
.LBB1571_42:                            ; =>This Inner Loop Header: Depth=1
	global_load_dwordx2 v[6:7], v[10:11], off glc
	s_waitcnt vmcnt(0)
	v_cmp_ne_u16_sdwa s[12:13], v7, v3 src0_sel:BYTE_0 src1_sel:DWORD
	s_or_b64 s[10:11], s[12:13], s[10:11]
	s_andn2_b64 exec, exec, s[10:11]
	s_cbranch_execnz .LBB1571_42
; %bb.43:
	s_or_b64 exec, exec, s[10:11]
.LBB1571_44:
	s_or_b64 exec, exec, s[8:9]
	v_and_b32_e32 v13, 63, v5
	v_cmp_ne_u32_e32 vcc, 63, v13
	v_addc_co_u32_e32 v14, vcc, 0, v5, vcc
	v_mov_b32_e32 v3, 2
	v_lshlrev_b32_e32 v14, 2, v14
	v_cmp_eq_u16_sdwa s[8:9], v7, v3 src0_sel:BYTE_0 src1_sel:DWORD
	v_lshlrev_b64 v[8:9], v5, -1
	ds_bpermute_b32 v15, v14, v6
	v_and_b32_e32 v10, s9, v9
	v_or_b32_e32 v10, 0x80000000, v10
	v_and_b32_e32 v11, s8, v8
	v_ffbl_b32_e32 v10, v10
	v_add_u32_e32 v10, 32, v10
	v_ffbl_b32_e32 v11, v11
	v_cmp_gt_u32_e64 s[8:9], 62, v13
	v_min_u32_e32 v10, v11, v10
	s_waitcnt lgkmcnt(0)
	v_add_f32_e32 v11, v6, v15
	v_cndmask_b32_e64 v15, 0, 1, s[8:9]
	v_cmp_lt_u32_e32 vcc, v13, v10
	v_lshlrev_b32_e32 v15, 1, v15
	v_cndmask_b32_e32 v11, v6, v11, vcc
	v_add_lshl_u32 v15, v15, v5, 2
	ds_bpermute_b32 v17, v15, v11
	v_add_u32_e32 v16, 2, v13
	v_cmp_gt_u32_e64 s[8:9], v16, v10
	v_cmp_gt_u32_e64 s[10:11], 56, v13
	v_add_u32_e32 v36, 4, v13
	s_waitcnt lgkmcnt(0)
	v_add_f32_e32 v17, v11, v17
	v_cndmask_b32_e64 v11, v17, v11, s[8:9]
	v_cmp_gt_u32_e64 s[8:9], 60, v13
	v_cndmask_b32_e64 v17, 0, 1, s[8:9]
	v_lshlrev_b32_e32 v17, 2, v17
	v_add_lshl_u32 v17, v17, v5, 2
	ds_bpermute_b32 v37, v17, v11
	v_cmp_gt_u32_e64 s[8:9], v36, v10
	v_add_u32_e32 v38, 8, v13
	v_cmp_gt_u32_e64 s[12:13], 48, v13
	v_cmp_gt_u32_e64 s[14:15], 32, v13
	s_waitcnt lgkmcnt(0)
	v_add_f32_e32 v41, v11, v37
	v_cndmask_b32_e64 v37, 0, 1, s[10:11]
	v_lshlrev_b32_e32 v37, 3, v37
	v_cndmask_b32_e64 v39, v41, v11, s[8:9]
	v_add_lshl_u32 v37, v37, v5, 2
	ds_bpermute_b32 v40, v37, v39
	v_cmp_gt_u32_e64 s[10:11], v38, v10
	v_cndmask_b32_e32 v6, v6, v11, vcc
	v_cndmask_b32_e64 v6, v41, v6, s[8:9]
	s_waitcnt lgkmcnt(0)
	v_add_f32_e32 v44, v39, v40
	v_cndmask_b32_e64 v42, v44, v39, s[10:11]
	v_cndmask_b32_e64 v39, 0, 1, s[12:13]
	v_lshlrev_b32_e32 v39, 4, v39
	v_add_lshl_u32 v39, v39, v5, 2
	ds_bpermute_b32 v43, v39, v42
	v_add_u32_e32 v40, 16, v13
	v_cmp_gt_u32_e64 s[12:13], v40, v10
	v_cndmask_b32_e64 v6, v44, v6, s[10:11]
	s_waitcnt lgkmcnt(0)
	v_add_f32_e32 v45, v42, v43
	v_cndmask_b32_e64 v46, v45, v42, s[12:13]
	v_cndmask_b32_e64 v42, 0, 1, s[14:15]
	v_lshlrev_b32_e32 v42, 5, v42
	v_add_lshl_u32 v42, v42, v5, 2
	ds_bpermute_b32 v5, v42, v46
	v_add_u32_e32 v43, 32, v13
	v_cndmask_b32_e64 v6, v45, v6, s[12:13]
	v_cmp_gt_u32_e32 vcc, v43, v10
	s_waitcnt lgkmcnt(0)
	v_add_f32_e32 v5, v46, v5
	v_cndmask_b32_e32 v6, v5, v6, vcc
	v_mov_b32_e32 v5, 0
	s_branch .LBB1571_46
.LBB1571_45:                            ;   in Loop: Header=BB1571_46 Depth=1
	s_or_b64 exec, exec, s[8:9]
	v_cmp_eq_u16_sdwa s[8:9], v7, v3 src0_sel:BYTE_0 src1_sel:DWORD
	v_and_b32_e32 v10, s9, v9
	ds_bpermute_b32 v44, v14, v6
	v_or_b32_e32 v10, 0x80000000, v10
	v_and_b32_e32 v11, s8, v8
	v_ffbl_b32_e32 v10, v10
	v_add_u32_e32 v10, 32, v10
	v_ffbl_b32_e32 v11, v11
	v_min_u32_e32 v10, v11, v10
	s_waitcnt lgkmcnt(0)
	v_add_f32_e32 v11, v6, v44
	v_cmp_lt_u32_e32 vcc, v13, v10
	v_cndmask_b32_e32 v11, v6, v11, vcc
	ds_bpermute_b32 v44, v15, v11
	v_cmp_gt_u32_e64 s[8:9], v16, v10
	v_cmp_gt_u32_e64 s[10:11], v38, v10
	;; [unrolled: 1-line block ×3, first 2 shown]
	v_subrev_u32_e32 v4, 64, v4
	s_waitcnt lgkmcnt(0)
	v_add_f32_e32 v44, v11, v44
	v_cndmask_b32_e64 v11, v44, v11, s[8:9]
	ds_bpermute_b32 v44, v17, v11
	v_cmp_gt_u32_e64 s[8:9], v36, v10
	v_cndmask_b32_e32 v6, v6, v11, vcc
	v_cmp_gt_u32_e32 vcc, v43, v10
	s_waitcnt lgkmcnt(0)
	v_add_f32_e32 v44, v11, v44
	v_cndmask_b32_e64 v45, v44, v11, s[8:9]
	ds_bpermute_b32 v46, v37, v45
	v_cndmask_b32_e64 v6, v44, v6, s[8:9]
	s_waitcnt lgkmcnt(0)
	v_add_f32_e32 v46, v45, v46
	v_cndmask_b32_e64 v45, v46, v45, s[10:11]
	ds_bpermute_b32 v47, v39, v45
	v_cndmask_b32_e64 v6, v46, v6, s[10:11]
	s_waitcnt lgkmcnt(0)
	v_add_f32_e32 v47, v45, v47
	v_cndmask_b32_e64 v45, v47, v45, s[12:13]
	ds_bpermute_b32 v48, v42, v45
	v_cndmask_b32_e64 v6, v47, v6, s[12:13]
	s_waitcnt lgkmcnt(0)
	v_add_f32_e32 v11, v45, v48
	v_cndmask_b32_e32 v6, v11, v6, vcc
	v_add_f32_e32 v6, v41, v6
.LBB1571_46:                            ; =>This Loop Header: Depth=1
                                        ;     Child Loop BB1571_49 Depth 2
	v_cmp_ne_u16_sdwa s[8:9], v7, v3 src0_sel:BYTE_0 src1_sel:DWORD
	v_cndmask_b32_e64 v7, 0, 1, s[8:9]
	;;#ASMSTART
	;;#ASMEND
	v_cmp_ne_u32_e32 vcc, 0, v7
	s_cmp_lg_u64 vcc, exec
	v_mov_b32_e32 v41, v6
	s_cbranch_scc1 .LBB1571_51
; %bb.47:                               ;   in Loop: Header=BB1571_46 Depth=1
	v_lshlrev_b64 v[6:7], 3, v[4:5]
	v_mov_b32_e32 v11, s25
	v_add_co_u32_e32 v10, vcc, s24, v6
	v_addc_co_u32_e32 v11, vcc, v11, v7, vcc
	global_load_dwordx2 v[6:7], v[10:11], off glc
	s_waitcnt vmcnt(0)
	v_cmp_eq_u16_sdwa s[10:11], v7, v5 src0_sel:BYTE_0 src1_sel:DWORD
	s_and_saveexec_b64 s[8:9], s[10:11]
	s_cbranch_execz .LBB1571_45
; %bb.48:                               ;   in Loop: Header=BB1571_46 Depth=1
	s_mov_b64 s[10:11], 0
.LBB1571_49:                            ;   Parent Loop BB1571_46 Depth=1
                                        ; =>  This Inner Loop Header: Depth=2
	global_load_dwordx2 v[6:7], v[10:11], off glc
	s_waitcnt vmcnt(0)
	v_cmp_ne_u16_sdwa s[12:13], v7, v5 src0_sel:BYTE_0 src1_sel:DWORD
	s_or_b64 s[10:11], s[12:13], s[10:11]
	s_andn2_b64 exec, exec, s[10:11]
	s_cbranch_execnz .LBB1571_49
; %bb.50:                               ;   in Loop: Header=BB1571_46 Depth=1
	s_or_b64 exec, exec, s[10:11]
	s_branch .LBB1571_45
.LBB1571_51:                            ;   in Loop: Header=BB1571_46 Depth=1
                                        ; implicit-def: $vgpr6
                                        ; implicit-def: $vgpr7
	s_cbranch_execz .LBB1571_46
; %bb.52:
	s_and_saveexec_b64 s[8:9], s[2:3]
	s_cbranch_execz .LBB1571_54
; %bb.53:
	s_add_i32 s2, s6, 64
	s_mov_b32 s3, 0
	s_lshl_b64 s[2:3], s[2:3], 3
	s_add_u32 s2, s24, s2
	v_add_f32_e32 v2, v2, v41
	v_mov_b32_e32 v3, 2
	s_addc_u32 s3, s25, s3
	v_mov_b32_e32 v4, 0
	global_store_dwordx2 v4, v[2:3], s[2:3]
.LBB1571_54:
	s_or_b64 exec, exec, s[8:9]
	s_and_b64 exec, exec, s[0:1]
	s_cbranch_execz .LBB1571_56
; %bb.55:
	v_mov_b32_e32 v2, 0
	ds_write_b32 v2, v41
.LBB1571_56:
	s_or_b64 exec, exec, s[26:27]
	v_mov_b32_e32 v2, 0
	s_waitcnt lgkmcnt(0)
	s_barrier
	ds_read_b32 v2, v2
	s_waitcnt lgkmcnt(0)
	v_add_f32_e32 v3, v12, v2
	v_cndmask_b32_e64 v2, v3, v2, s[0:1]
	v_add_f32_e32 v3, v26, v2
	v_add_f32_e32 v4, v27, v3
	;; [unrolled: 1-line block ×13, first 2 shown]
	s_load_dwordx8 s[8:15], s[4:5], 0x38
	s_branch .LBB1571_67
.LBB1571_57:
                                        ; implicit-def: $vgpr2_vgpr3_vgpr4_vgpr5_vgpr6_vgpr7_vgpr8_vgpr9_vgpr10_vgpr11_vgpr12_vgpr13_vgpr14_vgpr15_vgpr16_vgpr17
	s_load_dwordx8 s[8:15], s[4:5], 0x38
	s_cbranch_execz .LBB1571_67
; %bb.58:
	s_load_dword s0, s[4:5], 0x20
	s_waitcnt lgkmcnt(0)
	s_cmp_eq_u64 s[12:13], 0
	v_mov_b32_e32 v16, s0
	s_cbranch_scc1 .LBB1571_60
; %bb.59:
	v_mov_b32_e32 v3, s30
	v_add_co_u32_e64 v2, vcc, -4, s29
	v_addc_co_u32_e32 v3, vcc, -1, v3, vcc
	v_mov_b32_e32 v4, 0
	flat_load_dword v5, v[2:3]
	global_load_dword v6, v4, s[8:9]
	s_waitcnt vmcnt(0) lgkmcnt(0)
	v_add_f32_e32 v16, v5, v6
.LBB1571_60:
	v_add_f32_e32 v2, v28, v35
	v_add_f32_e32 v2, v29, v2
	;; [unrolled: 1-line block ×12, first 2 shown]
	v_add_lshl_u32 v1, v1, v0, 2
	v_cmp_gt_u32_e32 vcc, 64, v0
	ds_write_b32 v1, v2
	s_waitcnt lgkmcnt(0)
	s_barrier
	s_and_saveexec_b64 s[4:5], vcc
	s_cbranch_execz .LBB1571_62
; %bb.61:
	v_lshlrev_b32_e32 v1, 1, v0
	v_lshrrev_b32_e32 v3, 4, v0
	v_add_lshl_u32 v1, v3, v1, 2
	ds_read2_b32 v[4:5], v1 offset1:1
	v_mbcnt_lo_u32_b32 v3, -1, 0
	v_mbcnt_hi_u32_b32 v3, -1, v3
	v_and_b32_e32 v6, 15, v3
	v_cmp_eq_u32_e32 vcc, 0, v6
	s_waitcnt lgkmcnt(0)
	v_add_f32_e32 v5, v4, v5
	v_cmp_lt_u32_e64 s[0:1], 3, v6
	v_cmp_lt_u32_e64 s[2:3], 31, v3
	v_mov_b32_dpp v7, v5 row_shr:1 row_mask:0xf bank_mask:0xf
	v_add_f32_e32 v7, v5, v7
	v_cndmask_b32_e32 v5, v7, v5, vcc
	v_cmp_lt_u32_e32 vcc, 1, v6
	s_nop 0
	v_mov_b32_dpp v7, v5 row_shr:2 row_mask:0xf bank_mask:0xf
	v_add_f32_e32 v7, v5, v7
	v_cndmask_b32_e32 v7, v5, v7, vcc
	; wave barrier
	s_nop 1
	v_mov_b32_dpp v8, v7 row_shr:4 row_mask:0xf bank_mask:0xf
	v_add_f32_e32 v8, v7, v8
	v_cndmask_b32_e64 v7, v7, v8, s[0:1]
	v_cmp_lt_u32_e64 s[0:1], 7, v6
	s_nop 0
	v_mov_b32_dpp v8, v7 row_shr:8 row_mask:0xf bank_mask:0xf
	v_add_f32_e32 v8, v7, v8
	v_cndmask_b32_e64 v6, v7, v8, s[0:1]
	v_and_b32_e32 v8, 16, v3
	v_cmp_eq_u32_e64 s[0:1], 0, v8
	v_mov_b32_dpp v7, v6 row_bcast:15 row_mask:0xf bank_mask:0xf
	v_add_f32_e32 v7, v6, v7
	v_cndmask_b32_e64 v6, v7, v6, s[0:1]
	v_cmp_lt_u32_e64 s[0:1], 15, v3
	s_or_b64 vcc, s[0:1], vcc
	v_mov_b32_dpp v7, v6 row_bcast:31 row_mask:0xf bank_mask:0xf
	v_add_f32_e32 v7, v6, v7
	v_cndmask_b32_e64 v6, v6, v7, s[2:3]
	v_cndmask_b32_e32 v5, v5, v6, vcc
	v_add_u32_e32 v6, -1, v3
	v_and_b32_e32 v7, 64, v3
	v_cmp_lt_i32_e32 vcc, v6, v7
	v_cndmask_b32_e32 v3, v6, v3, vcc
	v_lshlrev_b32_e32 v3, 2, v3
	ds_bpermute_b32 v3, v3, v5
	v_cmp_eq_u32_e32 vcc, 0, v0
	s_waitcnt lgkmcnt(0)
	v_add_f32_e32 v3, v4, v3
	v_cndmask_b32_e32 v2, v3, v2, vcc
	ds_write_b32 v1, v2
	; wave barrier
	ds_read_b32 v3, v1 offset:4
	s_waitcnt lgkmcnt(0)
	v_add_f32_e32 v2, v2, v3
	ds_write_b32 v1, v2 offset:4
.LBB1571_62:
	s_or_b64 exec, exec, s[4:5]
	v_cmp_eq_u32_e32 vcc, 0, v0
	v_cmp_ne_u32_e64 s[0:1], 0, v0
	v_mov_b32_e32 v2, v16
	s_waitcnt lgkmcnt(0)
	s_barrier
	s_and_saveexec_b64 s[2:3], s[0:1]
	s_cbranch_execz .LBB1571_64
; %bb.63:
	v_add_u32_e32 v1, -1, v0
	v_lshrrev_b32_e32 v2, 5, v1
	v_add_lshl_u32 v1, v2, v1, 2
	ds_read_b32 v1, v1
	s_waitcnt lgkmcnt(0)
	v_add_f32_e32 v2, v16, v1
.LBB1571_64:
	s_or_b64 exec, exec, s[2:3]
	v_add_f32_e32 v3, v26, v2
	v_add_f32_e32 v4, v27, v3
	;; [unrolled: 1-line block ×13, first 2 shown]
	s_and_saveexec_b64 s[0:1], vcc
	s_cbranch_execz .LBB1571_66
; %bb.65:
	v_mov_b32_e32 v1, 0
	ds_read_b32 v17, v1 offset:520
	s_waitcnt lgkmcnt(0)
	v_add_f32_e32 v16, v16, v17
	v_mov_b32_e32 v17, 2
	global_store_dwordx2 v1, v[16:17], s[24:25] offset:512
.LBB1571_66:
	s_or_b64 exec, exec, s[0:1]
.LBB1571_67:
	s_add_u32 s0, s16, s20
	s_addc_u32 s1, s17, s21
	s_add_u32 s2, s0, s22
	s_addc_u32 s3, s1, s23
	s_mov_b64 s[0:1], -1
	s_and_b64 vcc, exec, s[18:19]
	s_waitcnt lgkmcnt(0)
	s_barrier
	s_cbranch_vccz .LBB1571_69
; %bb.68:
	v_mov_b32_e32 v1, s3
	v_add_co_u32_e32 v30, vcc, s2, v32
	ds_write2_b64 v34, v[2:3], v[4:5] offset1:1
	ds_write2_b64 v34, v[6:7], v[8:9] offset0:2 offset1:3
	ds_write2_b64 v34, v[10:11], v[12:13] offset0:4 offset1:5
	ds_write_b64 v34, v[14:15] offset:48
	s_waitcnt lgkmcnt(0)
	s_barrier
	ds_read2st64_b32 v[16:17], v32 offset1:2
	ds_read2st64_b32 v[18:19], v32 offset0:4 offset1:6
	ds_read2st64_b32 v[20:21], v32 offset0:8 offset1:10
	;; [unrolled: 1-line block ×6, first 2 shown]
	v_addc_co_u32_e32 v31, vcc, 0, v1, vcc
	s_waitcnt lgkmcnt(6)
	v_cvt_i32_f32_e32 v1, v16
	v_cvt_i32_f32_e32 v16, v17
	s_waitcnt lgkmcnt(5)
	v_cvt_i32_f32_e32 v17, v18
	v_cvt_i32_f32_e32 v18, v19
	flat_store_dword v[30:31], v1
	flat_store_dword v[30:31], v16 offset:512
	flat_store_dword v[30:31], v17 offset:1024
	;; [unrolled: 1-line block ×3, first 2 shown]
	s_waitcnt lgkmcnt(0)
	v_cvt_i32_f32_e32 v1, v20
	v_cvt_i32_f32_e32 v16, v21
	;; [unrolled: 1-line block ×4, first 2 shown]
	flat_store_dword v[30:31], v1 offset:2048
	flat_store_dword v[30:31], v16 offset:2560
	;; [unrolled: 1-line block ×4, first 2 shown]
	v_cvt_i32_f32_e32 v1, v24
	s_movk_i32 s0, 0x1000
	v_cvt_i32_f32_e32 v18, v25
	v_add_co_u32_e32 v16, vcc, s0, v30
	v_addc_co_u32_e32 v17, vcc, 0, v31, vcc
	flat_store_dword v[16:17], v1
	flat_store_dword v[16:17], v18 offset:512
	v_cvt_i32_f32_e32 v1, v26
	v_cvt_i32_f32_e32 v18, v27
	;; [unrolled: 1-line block ×4, first 2 shown]
	flat_store_dword v[16:17], v1 offset:1024
	flat_store_dword v[16:17], v18 offset:1536
	;; [unrolled: 1-line block ×4, first 2 shown]
	s_mov_b64 s[0:1], 0
.LBB1571_69:
	s_andn2_b64 vcc, exec, s[0:1]
	s_cbranch_vccnz .LBB1571_149
; %bb.70:
	s_movk_i32 s0, 0xffcc
	ds_write2_b64 v34, v[2:3], v[4:5] offset1:1
	ds_write2_b64 v34, v[6:7], v[8:9] offset0:2 offset1:3
	ds_write2_b64 v34, v[10:11], v[12:13] offset0:4 offset1:5
	ds_write_b64 v34, v[14:15] offset:48
	v_mad_i32_i24 v14, v0, s0, v34
	s_waitcnt lgkmcnt(0)
	s_barrier
	ds_read2st64_b32 v[4:5], v14 offset1:2
	ds_read2st64_b32 v[6:7], v14 offset0:4 offset1:6
	ds_read2st64_b32 v[8:9], v14 offset0:8 offset1:10
	;; [unrolled: 1-line block ×6, first 2 shown]
	v_mov_b32_e32 v17, s3
	v_add_co_u32_e32 v16, vcc, s2, v32
	v_addc_co_u32_e32 v17, vcc, 0, v17, vcc
	v_mov_b32_e32 v1, 0
	v_cmp_gt_u32_e32 vcc, s7, v0
	s_and_saveexec_b64 s[0:1], vcc
	s_cbranch_execz .LBB1571_72
; %bb.71:
	s_waitcnt lgkmcnt(0)
	v_cvt_i32_f32_e32 v18, v4
	flat_store_dword v[16:17], v18
.LBB1571_72:
	s_or_b64 exec, exec, s[0:1]
	v_or_b32_e32 v18, 0x80, v0
	v_cmp_gt_u32_e32 vcc, s7, v18
	s_and_saveexec_b64 s[0:1], vcc
	s_cbranch_execz .LBB1571_74
; %bb.73:
	s_waitcnt lgkmcnt(0)
	v_cvt_i32_f32_e32 v18, v5
	flat_store_dword v[16:17], v18 offset:512
.LBB1571_74:
	s_or_b64 exec, exec, s[0:1]
	v_or_b32_e32 v18, 0x100, v0
	v_cmp_gt_u32_e32 vcc, s7, v18
	s_and_saveexec_b64 s[0:1], vcc
	s_cbranch_execz .LBB1571_76
; %bb.75:
	s_waitcnt lgkmcnt(0)
	v_cvt_i32_f32_e32 v18, v6
	flat_store_dword v[16:17], v18 offset:1024
.LBB1571_76:
	;; [unrolled: 10-line block ×7, first 2 shown]
	s_or_b64 exec, exec, s[0:1]
	v_or_b32_e32 v18, 0x400, v0
	v_cmp_gt_u32_e32 vcc, s7, v18
	s_and_saveexec_b64 s[0:1], vcc
	s_cbranch_execz .LBB1571_88
; %bb.87:
	s_waitcnt lgkmcnt(0)
	v_cvt_i32_f32_e32 v20, v12
	v_add_co_u32_e32 v18, vcc, 0x1000, v16
	v_addc_co_u32_e32 v19, vcc, 0, v17, vcc
	flat_store_dword v[18:19], v20
.LBB1571_88:
	s_or_b64 exec, exec, s[0:1]
	v_or_b32_e32 v18, 0x480, v0
	v_cmp_gt_u32_e32 vcc, s7, v18
	s_and_saveexec_b64 s[0:1], vcc
	s_cbranch_execz .LBB1571_90
; %bb.89:
	s_waitcnt lgkmcnt(0)
	v_cvt_i32_f32_e32 v20, v13
	v_add_co_u32_e32 v18, vcc, 0x1000, v16
	v_addc_co_u32_e32 v19, vcc, 0, v17, vcc
	flat_store_dword v[18:19], v20 offset:512
.LBB1571_90:
	s_or_b64 exec, exec, s[0:1]
	v_or_b32_e32 v18, 0x500, v0
	v_cmp_gt_u32_e32 vcc, s7, v18
	s_and_saveexec_b64 s[0:1], vcc
	s_cbranch_execz .LBB1571_92
; %bb.91:
	s_waitcnt lgkmcnt(0)
	v_cvt_i32_f32_e32 v20, v10
	v_add_co_u32_e32 v18, vcc, 0x1000, v16
	v_addc_co_u32_e32 v19, vcc, 0, v17, vcc
	flat_store_dword v[18:19], v20 offset:1024
.LBB1571_92:
	;; [unrolled: 12-line block ×5, first 2 shown]
	s_or_b64 exec, exec, s[0:1]
	v_cmp_lt_u64_e64 s[0:1], s[14:15], 2
	s_and_b64 vcc, exec, s[0:1]
	s_cbranch_vccnz .LBB1571_149
; %bb.99:
	s_add_u32 s0, s7, -1
	s_addc_u32 s1, s28, -1
	s_add_u32 s2, 0, 0x49240800
	s_addc_u32 s3, 0, 50
	s_add_i32 s3, s3, 0x12492460
	s_mul_hi_u32 s7, s2, -14
	s_sub_i32 s7, s7, s2
	s_mul_i32 s8, s3, -14
	s_mul_i32 s4, s2, -14
	s_add_i32 s7, s7, s8
	s_mul_hi_u32 s5, s3, s4
	s_mul_i32 s6, s3, s4
	s_mul_i32 s9, s2, s7
	s_mul_hi_u32 s4, s2, s4
	s_mul_hi_u32 s8, s2, s7
	s_add_u32 s4, s4, s9
	s_addc_u32 s8, 0, s8
	s_add_u32 s4, s4, s6
	s_mul_hi_u32 s9, s3, s7
	s_addc_u32 s4, s8, s5
	s_addc_u32 s5, s9, 0
	s_mul_i32 s6, s3, s7
	s_add_u32 s4, s4, s6
	v_mov_b32_e32 v16, s4
	s_addc_u32 s5, 0, s5
	v_add_co_u32_e32 v16, vcc, s2, v16
	s_cmp_lg_u64 vcc, 0
	s_addc_u32 s2, s3, s5
	v_readfirstlane_b32 s5, v16
	s_mul_i32 s4, s0, s2
	s_mul_hi_u32 s6, s0, s5
	s_mul_hi_u32 s3, s0, s2
	s_add_u32 s4, s6, s4
	s_addc_u32 s3, 0, s3
	s_mul_hi_u32 s7, s1, s5
	s_mul_i32 s5, s1, s5
	s_add_u32 s4, s4, s5
	s_mul_hi_u32 s6, s1, s2
	s_addc_u32 s3, s3, s7
	s_addc_u32 s4, s6, 0
	s_mul_i32 s2, s1, s2
	s_add_u32 s2, s3, s2
	s_addc_u32 s3, 0, s4
	s_add_u32 s4, s2, 1
	s_addc_u32 s5, s3, 0
	s_add_u32 s6, s2, 2
	s_mul_i32 s8, s3, 14
	s_mul_hi_u32 s9, s2, 14
	s_addc_u32 s7, s3, 0
	s_add_i32 s9, s9, s8
	s_mul_i32 s8, s2, 14
	v_mov_b32_e32 v16, s8
	v_sub_co_u32_e32 v16, vcc, s0, v16
	s_cmp_lg_u64 vcc, 0
	s_subb_u32 s8, s1, s9
	v_subrev_co_u32_e32 v17, vcc, 14, v16
	s_cmp_lg_u64 vcc, 0
	s_subb_u32 s9, s8, 0
	v_readfirstlane_b32 s12, v17
	s_cmp_gt_u32 s12, 13
	s_cselect_b32 s12, -1, 0
	s_cmp_eq_u32 s9, 0
	s_cselect_b32 s9, s12, -1
	s_cmp_lg_u32 s9, 0
	s_cselect_b32 s4, s6, s4
	v_readfirstlane_b32 s6, v16
	s_cselect_b32 s5, s7, s5
	s_cmp_gt_u32 s6, 13
	s_cselect_b32 s6, -1, 0
	s_cmp_eq_u32 s8, 0
	s_cselect_b32 s6, s6, -1
	s_cmp_lg_u32 s6, 0
	s_cselect_b32 s3, s5, s3
	s_cselect_b32 s2, s4, s2
	v_cmp_eq_u64_e32 vcc, s[2:3], v[0:1]
	s_and_saveexec_b64 s[2:3], vcc
	s_cbranch_execz .LBB1571_149
; %bb.100:
	v_mul_hi_u32_u24_e32 v1, 14, v0
	v_mov_b32_e32 v16, s1
	v_sub_co_u32_e32 v0, vcc, s0, v33
	v_subb_co_u32_e32 v1, vcc, v16, v1, vcc
	v_cmp_lt_i64_e32 vcc, 6, v[0:1]
	s_and_saveexec_b64 s[0:1], vcc
	s_xor_b64 s[0:1], exec, s[0:1]
	s_cbranch_execz .LBB1571_126
; %bb.101:
	v_cmp_lt_i64_e32 vcc, 9, v[0:1]
	s_and_saveexec_b64 s[2:3], vcc
	s_xor_b64 s[2:3], exec, s[2:3]
	s_cbranch_execz .LBB1571_115
; %bb.102:
	;; [unrolled: 5-line block ×4, first 2 shown]
	v_mov_b32_e32 v0, 0
	s_waitcnt lgkmcnt(0)
	global_store_dword v0, v15, s[10:11]
                                        ; implicit-def: $vgpr14_vgpr15
.LBB1571_105:
	s_andn2_saveexec_b64 s[6:7], s[6:7]
	s_cbranch_execz .LBB1571_107
; %bb.106:
	v_mov_b32_e32 v0, 0
	s_waitcnt lgkmcnt(0)
	global_store_dword v0, v14, s[10:11]
.LBB1571_107:
	s_or_b64 exec, exec, s[6:7]
                                        ; implicit-def: $vgpr10_vgpr11
                                        ; implicit-def: $vgpr0_vgpr1
.LBB1571_108:
	s_andn2_saveexec_b64 s[4:5], s[4:5]
	s_cbranch_execz .LBB1571_114
; %bb.109:
	v_cmp_lt_i64_e32 vcc, 10, v[0:1]
	s_and_saveexec_b64 s[6:7], vcc
	s_xor_b64 s[6:7], exec, s[6:7]
	s_cbranch_execz .LBB1571_111
; %bb.110:
	v_mov_b32_e32 v0, 0
	s_waitcnt lgkmcnt(0)
	global_store_dword v0, v11, s[10:11]
                                        ; implicit-def: $vgpr10_vgpr11
.LBB1571_111:
	s_andn2_saveexec_b64 s[6:7], s[6:7]
	s_cbranch_execz .LBB1571_113
; %bb.112:
	v_mov_b32_e32 v0, 0
	s_waitcnt lgkmcnt(0)
	global_store_dword v0, v10, s[10:11]
.LBB1571_113:
	s_or_b64 exec, exec, s[6:7]
.LBB1571_114:
	s_or_b64 exec, exec, s[4:5]
                                        ; implicit-def: $vgpr2_vgpr3
                                        ; implicit-def: $vgpr0_vgpr1
                                        ; implicit-def: $vgpr12_vgpr13
.LBB1571_115:
	s_andn2_saveexec_b64 s[2:3], s[2:3]
	s_cbranch_execz .LBB1571_125
; %bb.116:
	v_cmp_lt_i64_e32 vcc, 7, v[0:1]
	s_and_saveexec_b64 s[4:5], vcc
	s_xor_b64 s[4:5], exec, s[4:5]
	s_cbranch_execz .LBB1571_122
; %bb.117:
	v_cmp_lt_i64_e32 vcc, 8, v[0:1]
	s_and_saveexec_b64 s[6:7], vcc
	s_xor_b64 s[6:7], exec, s[6:7]
	s_cbranch_execz .LBB1571_119
; %bb.118:
	v_mov_b32_e32 v0, 0
	s_waitcnt lgkmcnt(0)
	global_store_dword v0, v13, s[10:11]
                                        ; implicit-def: $vgpr12_vgpr13
.LBB1571_119:
	s_andn2_saveexec_b64 s[6:7], s[6:7]
	s_cbranch_execz .LBB1571_121
; %bb.120:
	v_mov_b32_e32 v0, 0
	s_waitcnt lgkmcnt(0)
	global_store_dword v0, v12, s[10:11]
.LBB1571_121:
	s_or_b64 exec, exec, s[6:7]
                                        ; implicit-def: $vgpr2_vgpr3
.LBB1571_122:
	s_andn2_saveexec_b64 s[4:5], s[4:5]
	s_cbranch_execz .LBB1571_124
; %bb.123:
	v_mov_b32_e32 v0, 0
	s_waitcnt lgkmcnt(0)
	global_store_dword v0, v3, s[10:11]
.LBB1571_124:
	s_or_b64 exec, exec, s[4:5]
.LBB1571_125:
	s_or_b64 exec, exec, s[2:3]
                                        ; implicit-def: $vgpr0_vgpr1
                                        ; implicit-def: $vgpr8_vgpr9
                                        ; implicit-def: $vgpr4_vgpr5
                                        ; implicit-def: $vgpr6_vgpr7
                                        ; implicit-def: $vgpr2_vgpr3
.LBB1571_126:
	s_andn2_saveexec_b64 s[0:1], s[0:1]
	s_cbranch_execz .LBB1571_149
; %bb.127:
	v_cmp_lt_i64_e32 vcc, 3, v[0:1]
	s_and_saveexec_b64 s[0:1], vcc
	s_xor_b64 s[0:1], exec, s[0:1]
	s_cbranch_execz .LBB1571_137
; %bb.128:
	v_cmp_lt_i64_e32 vcc, 4, v[0:1]
	s_and_saveexec_b64 s[2:3], vcc
	s_xor_b64 s[2:3], exec, s[2:3]
	;; [unrolled: 5-line block ×3, first 2 shown]
	s_cbranch_execz .LBB1571_131
; %bb.130:
	v_mov_b32_e32 v0, 0
	s_waitcnt lgkmcnt(0)
	global_store_dword v0, v2, s[10:11]
                                        ; implicit-def: $vgpr8_vgpr9
.LBB1571_131:
	s_andn2_saveexec_b64 s[4:5], s[4:5]
	s_cbranch_execz .LBB1571_133
; %bb.132:
	v_mov_b32_e32 v0, 0
	s_waitcnt lgkmcnt(0)
	global_store_dword v0, v9, s[10:11]
.LBB1571_133:
	s_or_b64 exec, exec, s[4:5]
                                        ; implicit-def: $vgpr8_vgpr9
.LBB1571_134:
	s_andn2_saveexec_b64 s[2:3], s[2:3]
	s_cbranch_execz .LBB1571_136
; %bb.135:
	v_mov_b32_e32 v0, 0
	s_waitcnt lgkmcnt(0)
	global_store_dword v0, v8, s[10:11]
.LBB1571_136:
	s_or_b64 exec, exec, s[2:3]
                                        ; implicit-def: $vgpr0_vgpr1
                                        ; implicit-def: $vgpr4_vgpr5
                                        ; implicit-def: $vgpr6_vgpr7
.LBB1571_137:
	s_andn2_saveexec_b64 s[0:1], s[0:1]
	s_cbranch_execz .LBB1571_149
; %bb.138:
	v_cmp_lt_i64_e32 vcc, 1, v[0:1]
	s_and_saveexec_b64 s[0:1], vcc
	s_xor_b64 s[0:1], exec, s[0:1]
	s_cbranch_execz .LBB1571_144
; %bb.139:
	v_cmp_lt_i64_e32 vcc, 2, v[0:1]
	s_and_saveexec_b64 s[2:3], vcc
	s_xor_b64 s[2:3], exec, s[2:3]
	s_cbranch_execz .LBB1571_141
; %bb.140:
	v_mov_b32_e32 v0, 0
	s_waitcnt lgkmcnt(0)
	global_store_dword v0, v7, s[10:11]
                                        ; implicit-def: $vgpr6_vgpr7
.LBB1571_141:
	s_andn2_saveexec_b64 s[2:3], s[2:3]
	s_cbranch_execz .LBB1571_143
; %bb.142:
	v_mov_b32_e32 v0, 0
	s_waitcnt lgkmcnt(0)
	global_store_dword v0, v6, s[10:11]
.LBB1571_143:
	s_or_b64 exec, exec, s[2:3]
                                        ; implicit-def: $vgpr4_vgpr5
                                        ; implicit-def: $vgpr0_vgpr1
.LBB1571_144:
	s_andn2_saveexec_b64 s[0:1], s[0:1]
	s_cbranch_execz .LBB1571_149
; %bb.145:
	v_cmp_ne_u64_e32 vcc, 1, v[0:1]
	s_and_saveexec_b64 s[0:1], vcc
	s_xor_b64 s[0:1], exec, s[0:1]
	s_cbranch_execz .LBB1571_147
; %bb.146:
	v_mov_b32_e32 v0, 0
	s_waitcnt lgkmcnt(0)
	global_store_dword v0, v4, s[10:11]
                                        ; implicit-def: $vgpr4_vgpr5
.LBB1571_147:
	s_andn2_saveexec_b64 s[0:1], s[0:1]
	s_cbranch_execz .LBB1571_149
; %bb.148:
	v_mov_b32_e32 v0, 0
	s_waitcnt lgkmcnt(0)
	global_store_dword v0, v5, s[10:11]
.LBB1571_149:
	s_endpgm
	.section	.rodata,"a",@progbits
	.p2align	6, 0x0
	.amdhsa_kernel _ZN7rocprim17ROCPRIM_400000_NS6detail17trampoline_kernelINS0_14default_configENS1_20scan_config_selectorIfEEZZNS1_9scan_implILNS1_25lookback_scan_determinismE0ELb1ELb1ES3_N6thrust23THRUST_200600_302600_NS6detail15normal_iteratorINS9_10device_ptrIfEEEENSB_INSC_IiEEEEfNS9_4plusIvEEfEEDaPvRmT3_T4_T5_mT6_P12ihipStream_tbENKUlT_T0_E_clISt17integral_constantIbLb0EESW_EEDaSR_SS_EUlSR_E_NS1_11comp_targetILNS1_3genE4ELNS1_11target_archE910ELNS1_3gpuE8ELNS1_3repE0EEENS1_30default_config_static_selectorELNS0_4arch9wavefront6targetE1EEEvT1_
		.amdhsa_group_segment_fixed_size 7168
		.amdhsa_private_segment_fixed_size 0
		.amdhsa_kernarg_size 96
		.amdhsa_user_sgpr_count 6
		.amdhsa_user_sgpr_private_segment_buffer 1
		.amdhsa_user_sgpr_dispatch_ptr 0
		.amdhsa_user_sgpr_queue_ptr 0
		.amdhsa_user_sgpr_kernarg_segment_ptr 1
		.amdhsa_user_sgpr_dispatch_id 0
		.amdhsa_user_sgpr_flat_scratch_init 0
		.amdhsa_user_sgpr_kernarg_preload_length 0
		.amdhsa_user_sgpr_kernarg_preload_offset 0
		.amdhsa_user_sgpr_private_segment_size 0
		.amdhsa_uses_dynamic_stack 0
		.amdhsa_system_sgpr_private_segment_wavefront_offset 0
		.amdhsa_system_sgpr_workgroup_id_x 1
		.amdhsa_system_sgpr_workgroup_id_y 0
		.amdhsa_system_sgpr_workgroup_id_z 0
		.amdhsa_system_sgpr_workgroup_info 0
		.amdhsa_system_vgpr_workitem_id 0
		.amdhsa_next_free_vgpr 49
		.amdhsa_next_free_sgpr 31
		.amdhsa_accum_offset 52
		.amdhsa_reserve_vcc 1
		.amdhsa_reserve_flat_scratch 0
		.amdhsa_float_round_mode_32 0
		.amdhsa_float_round_mode_16_64 0
		.amdhsa_float_denorm_mode_32 3
		.amdhsa_float_denorm_mode_16_64 3
		.amdhsa_dx10_clamp 1
		.amdhsa_ieee_mode 1
		.amdhsa_fp16_overflow 0
		.amdhsa_tg_split 0
		.amdhsa_exception_fp_ieee_invalid_op 0
		.amdhsa_exception_fp_denorm_src 0
		.amdhsa_exception_fp_ieee_div_zero 0
		.amdhsa_exception_fp_ieee_overflow 0
		.amdhsa_exception_fp_ieee_underflow 0
		.amdhsa_exception_fp_ieee_inexact 0
		.amdhsa_exception_int_div_zero 0
	.end_amdhsa_kernel
	.section	.text._ZN7rocprim17ROCPRIM_400000_NS6detail17trampoline_kernelINS0_14default_configENS1_20scan_config_selectorIfEEZZNS1_9scan_implILNS1_25lookback_scan_determinismE0ELb1ELb1ES3_N6thrust23THRUST_200600_302600_NS6detail15normal_iteratorINS9_10device_ptrIfEEEENSB_INSC_IiEEEEfNS9_4plusIvEEfEEDaPvRmT3_T4_T5_mT6_P12ihipStream_tbENKUlT_T0_E_clISt17integral_constantIbLb0EESW_EEDaSR_SS_EUlSR_E_NS1_11comp_targetILNS1_3genE4ELNS1_11target_archE910ELNS1_3gpuE8ELNS1_3repE0EEENS1_30default_config_static_selectorELNS0_4arch9wavefront6targetE1EEEvT1_,"axG",@progbits,_ZN7rocprim17ROCPRIM_400000_NS6detail17trampoline_kernelINS0_14default_configENS1_20scan_config_selectorIfEEZZNS1_9scan_implILNS1_25lookback_scan_determinismE0ELb1ELb1ES3_N6thrust23THRUST_200600_302600_NS6detail15normal_iteratorINS9_10device_ptrIfEEEENSB_INSC_IiEEEEfNS9_4plusIvEEfEEDaPvRmT3_T4_T5_mT6_P12ihipStream_tbENKUlT_T0_E_clISt17integral_constantIbLb0EESW_EEDaSR_SS_EUlSR_E_NS1_11comp_targetILNS1_3genE4ELNS1_11target_archE910ELNS1_3gpuE8ELNS1_3repE0EEENS1_30default_config_static_selectorELNS0_4arch9wavefront6targetE1EEEvT1_,comdat
.Lfunc_end1571:
	.size	_ZN7rocprim17ROCPRIM_400000_NS6detail17trampoline_kernelINS0_14default_configENS1_20scan_config_selectorIfEEZZNS1_9scan_implILNS1_25lookback_scan_determinismE0ELb1ELb1ES3_N6thrust23THRUST_200600_302600_NS6detail15normal_iteratorINS9_10device_ptrIfEEEENSB_INSC_IiEEEEfNS9_4plusIvEEfEEDaPvRmT3_T4_T5_mT6_P12ihipStream_tbENKUlT_T0_E_clISt17integral_constantIbLb0EESW_EEDaSR_SS_EUlSR_E_NS1_11comp_targetILNS1_3genE4ELNS1_11target_archE910ELNS1_3gpuE8ELNS1_3repE0EEENS1_30default_config_static_selectorELNS0_4arch9wavefront6targetE1EEEvT1_, .Lfunc_end1571-_ZN7rocprim17ROCPRIM_400000_NS6detail17trampoline_kernelINS0_14default_configENS1_20scan_config_selectorIfEEZZNS1_9scan_implILNS1_25lookback_scan_determinismE0ELb1ELb1ES3_N6thrust23THRUST_200600_302600_NS6detail15normal_iteratorINS9_10device_ptrIfEEEENSB_INSC_IiEEEEfNS9_4plusIvEEfEEDaPvRmT3_T4_T5_mT6_P12ihipStream_tbENKUlT_T0_E_clISt17integral_constantIbLb0EESW_EEDaSR_SS_EUlSR_E_NS1_11comp_targetILNS1_3genE4ELNS1_11target_archE910ELNS1_3gpuE8ELNS1_3repE0EEENS1_30default_config_static_selectorELNS0_4arch9wavefront6targetE1EEEvT1_
                                        ; -- End function
	.section	.AMDGPU.csdata,"",@progbits
; Kernel info:
; codeLenInByte = 5712
; NumSgprs: 35
; NumVgprs: 49
; NumAgprs: 0
; TotalNumVgprs: 49
; ScratchSize: 0
; MemoryBound: 0
; FloatMode: 240
; IeeeMode: 1
; LDSByteSize: 7168 bytes/workgroup (compile time only)
; SGPRBlocks: 4
; VGPRBlocks: 6
; NumSGPRsForWavesPerEU: 35
; NumVGPRsForWavesPerEU: 49
; AccumOffset: 52
; Occupancy: 5
; WaveLimiterHint : 1
; COMPUTE_PGM_RSRC2:SCRATCH_EN: 0
; COMPUTE_PGM_RSRC2:USER_SGPR: 6
; COMPUTE_PGM_RSRC2:TRAP_HANDLER: 0
; COMPUTE_PGM_RSRC2:TGID_X_EN: 1
; COMPUTE_PGM_RSRC2:TGID_Y_EN: 0
; COMPUTE_PGM_RSRC2:TGID_Z_EN: 0
; COMPUTE_PGM_RSRC2:TIDIG_COMP_CNT: 0
; COMPUTE_PGM_RSRC3_GFX90A:ACCUM_OFFSET: 12
; COMPUTE_PGM_RSRC3_GFX90A:TG_SPLIT: 0
	.section	.text._ZN7rocprim17ROCPRIM_400000_NS6detail17trampoline_kernelINS0_14default_configENS1_20scan_config_selectorIfEEZZNS1_9scan_implILNS1_25lookback_scan_determinismE0ELb1ELb1ES3_N6thrust23THRUST_200600_302600_NS6detail15normal_iteratorINS9_10device_ptrIfEEEENSB_INSC_IiEEEEfNS9_4plusIvEEfEEDaPvRmT3_T4_T5_mT6_P12ihipStream_tbENKUlT_T0_E_clISt17integral_constantIbLb0EESW_EEDaSR_SS_EUlSR_E_NS1_11comp_targetILNS1_3genE3ELNS1_11target_archE908ELNS1_3gpuE7ELNS1_3repE0EEENS1_30default_config_static_selectorELNS0_4arch9wavefront6targetE1EEEvT1_,"axG",@progbits,_ZN7rocprim17ROCPRIM_400000_NS6detail17trampoline_kernelINS0_14default_configENS1_20scan_config_selectorIfEEZZNS1_9scan_implILNS1_25lookback_scan_determinismE0ELb1ELb1ES3_N6thrust23THRUST_200600_302600_NS6detail15normal_iteratorINS9_10device_ptrIfEEEENSB_INSC_IiEEEEfNS9_4plusIvEEfEEDaPvRmT3_T4_T5_mT6_P12ihipStream_tbENKUlT_T0_E_clISt17integral_constantIbLb0EESW_EEDaSR_SS_EUlSR_E_NS1_11comp_targetILNS1_3genE3ELNS1_11target_archE908ELNS1_3gpuE7ELNS1_3repE0EEENS1_30default_config_static_selectorELNS0_4arch9wavefront6targetE1EEEvT1_,comdat
	.protected	_ZN7rocprim17ROCPRIM_400000_NS6detail17trampoline_kernelINS0_14default_configENS1_20scan_config_selectorIfEEZZNS1_9scan_implILNS1_25lookback_scan_determinismE0ELb1ELb1ES3_N6thrust23THRUST_200600_302600_NS6detail15normal_iteratorINS9_10device_ptrIfEEEENSB_INSC_IiEEEEfNS9_4plusIvEEfEEDaPvRmT3_T4_T5_mT6_P12ihipStream_tbENKUlT_T0_E_clISt17integral_constantIbLb0EESW_EEDaSR_SS_EUlSR_E_NS1_11comp_targetILNS1_3genE3ELNS1_11target_archE908ELNS1_3gpuE7ELNS1_3repE0EEENS1_30default_config_static_selectorELNS0_4arch9wavefront6targetE1EEEvT1_ ; -- Begin function _ZN7rocprim17ROCPRIM_400000_NS6detail17trampoline_kernelINS0_14default_configENS1_20scan_config_selectorIfEEZZNS1_9scan_implILNS1_25lookback_scan_determinismE0ELb1ELb1ES3_N6thrust23THRUST_200600_302600_NS6detail15normal_iteratorINS9_10device_ptrIfEEEENSB_INSC_IiEEEEfNS9_4plusIvEEfEEDaPvRmT3_T4_T5_mT6_P12ihipStream_tbENKUlT_T0_E_clISt17integral_constantIbLb0EESW_EEDaSR_SS_EUlSR_E_NS1_11comp_targetILNS1_3genE3ELNS1_11target_archE908ELNS1_3gpuE7ELNS1_3repE0EEENS1_30default_config_static_selectorELNS0_4arch9wavefront6targetE1EEEvT1_
	.globl	_ZN7rocprim17ROCPRIM_400000_NS6detail17trampoline_kernelINS0_14default_configENS1_20scan_config_selectorIfEEZZNS1_9scan_implILNS1_25lookback_scan_determinismE0ELb1ELb1ES3_N6thrust23THRUST_200600_302600_NS6detail15normal_iteratorINS9_10device_ptrIfEEEENSB_INSC_IiEEEEfNS9_4plusIvEEfEEDaPvRmT3_T4_T5_mT6_P12ihipStream_tbENKUlT_T0_E_clISt17integral_constantIbLb0EESW_EEDaSR_SS_EUlSR_E_NS1_11comp_targetILNS1_3genE3ELNS1_11target_archE908ELNS1_3gpuE7ELNS1_3repE0EEENS1_30default_config_static_selectorELNS0_4arch9wavefront6targetE1EEEvT1_
	.p2align	8
	.type	_ZN7rocprim17ROCPRIM_400000_NS6detail17trampoline_kernelINS0_14default_configENS1_20scan_config_selectorIfEEZZNS1_9scan_implILNS1_25lookback_scan_determinismE0ELb1ELb1ES3_N6thrust23THRUST_200600_302600_NS6detail15normal_iteratorINS9_10device_ptrIfEEEENSB_INSC_IiEEEEfNS9_4plusIvEEfEEDaPvRmT3_T4_T5_mT6_P12ihipStream_tbENKUlT_T0_E_clISt17integral_constantIbLb0EESW_EEDaSR_SS_EUlSR_E_NS1_11comp_targetILNS1_3genE3ELNS1_11target_archE908ELNS1_3gpuE7ELNS1_3repE0EEENS1_30default_config_static_selectorELNS0_4arch9wavefront6targetE1EEEvT1_,@function
_ZN7rocprim17ROCPRIM_400000_NS6detail17trampoline_kernelINS0_14default_configENS1_20scan_config_selectorIfEEZZNS1_9scan_implILNS1_25lookback_scan_determinismE0ELb1ELb1ES3_N6thrust23THRUST_200600_302600_NS6detail15normal_iteratorINS9_10device_ptrIfEEEENSB_INSC_IiEEEEfNS9_4plusIvEEfEEDaPvRmT3_T4_T5_mT6_P12ihipStream_tbENKUlT_T0_E_clISt17integral_constantIbLb0EESW_EEDaSR_SS_EUlSR_E_NS1_11comp_targetILNS1_3genE3ELNS1_11target_archE908ELNS1_3gpuE7ELNS1_3repE0EEENS1_30default_config_static_selectorELNS0_4arch9wavefront6targetE1EEEvT1_: ; @_ZN7rocprim17ROCPRIM_400000_NS6detail17trampoline_kernelINS0_14default_configENS1_20scan_config_selectorIfEEZZNS1_9scan_implILNS1_25lookback_scan_determinismE0ELb1ELb1ES3_N6thrust23THRUST_200600_302600_NS6detail15normal_iteratorINS9_10device_ptrIfEEEENSB_INSC_IiEEEEfNS9_4plusIvEEfEEDaPvRmT3_T4_T5_mT6_P12ihipStream_tbENKUlT_T0_E_clISt17integral_constantIbLb0EESW_EEDaSR_SS_EUlSR_E_NS1_11comp_targetILNS1_3genE3ELNS1_11target_archE908ELNS1_3gpuE7ELNS1_3repE0EEENS1_30default_config_static_selectorELNS0_4arch9wavefront6targetE1EEEvT1_
; %bb.0:
	.section	.rodata,"a",@progbits
	.p2align	6, 0x0
	.amdhsa_kernel _ZN7rocprim17ROCPRIM_400000_NS6detail17trampoline_kernelINS0_14default_configENS1_20scan_config_selectorIfEEZZNS1_9scan_implILNS1_25lookback_scan_determinismE0ELb1ELb1ES3_N6thrust23THRUST_200600_302600_NS6detail15normal_iteratorINS9_10device_ptrIfEEEENSB_INSC_IiEEEEfNS9_4plusIvEEfEEDaPvRmT3_T4_T5_mT6_P12ihipStream_tbENKUlT_T0_E_clISt17integral_constantIbLb0EESW_EEDaSR_SS_EUlSR_E_NS1_11comp_targetILNS1_3genE3ELNS1_11target_archE908ELNS1_3gpuE7ELNS1_3repE0EEENS1_30default_config_static_selectorELNS0_4arch9wavefront6targetE1EEEvT1_
		.amdhsa_group_segment_fixed_size 0
		.amdhsa_private_segment_fixed_size 0
		.amdhsa_kernarg_size 96
		.amdhsa_user_sgpr_count 6
		.amdhsa_user_sgpr_private_segment_buffer 1
		.amdhsa_user_sgpr_dispatch_ptr 0
		.amdhsa_user_sgpr_queue_ptr 0
		.amdhsa_user_sgpr_kernarg_segment_ptr 1
		.amdhsa_user_sgpr_dispatch_id 0
		.amdhsa_user_sgpr_flat_scratch_init 0
		.amdhsa_user_sgpr_kernarg_preload_length 0
		.amdhsa_user_sgpr_kernarg_preload_offset 0
		.amdhsa_user_sgpr_private_segment_size 0
		.amdhsa_uses_dynamic_stack 0
		.amdhsa_system_sgpr_private_segment_wavefront_offset 0
		.amdhsa_system_sgpr_workgroup_id_x 1
		.amdhsa_system_sgpr_workgroup_id_y 0
		.amdhsa_system_sgpr_workgroup_id_z 0
		.amdhsa_system_sgpr_workgroup_info 0
		.amdhsa_system_vgpr_workitem_id 0
		.amdhsa_next_free_vgpr 1
		.amdhsa_next_free_sgpr 0
		.amdhsa_accum_offset 4
		.amdhsa_reserve_vcc 0
		.amdhsa_reserve_flat_scratch 0
		.amdhsa_float_round_mode_32 0
		.amdhsa_float_round_mode_16_64 0
		.amdhsa_float_denorm_mode_32 3
		.amdhsa_float_denorm_mode_16_64 3
		.amdhsa_dx10_clamp 1
		.amdhsa_ieee_mode 1
		.amdhsa_fp16_overflow 0
		.amdhsa_tg_split 0
		.amdhsa_exception_fp_ieee_invalid_op 0
		.amdhsa_exception_fp_denorm_src 0
		.amdhsa_exception_fp_ieee_div_zero 0
		.amdhsa_exception_fp_ieee_overflow 0
		.amdhsa_exception_fp_ieee_underflow 0
		.amdhsa_exception_fp_ieee_inexact 0
		.amdhsa_exception_int_div_zero 0
	.end_amdhsa_kernel
	.section	.text._ZN7rocprim17ROCPRIM_400000_NS6detail17trampoline_kernelINS0_14default_configENS1_20scan_config_selectorIfEEZZNS1_9scan_implILNS1_25lookback_scan_determinismE0ELb1ELb1ES3_N6thrust23THRUST_200600_302600_NS6detail15normal_iteratorINS9_10device_ptrIfEEEENSB_INSC_IiEEEEfNS9_4plusIvEEfEEDaPvRmT3_T4_T5_mT6_P12ihipStream_tbENKUlT_T0_E_clISt17integral_constantIbLb0EESW_EEDaSR_SS_EUlSR_E_NS1_11comp_targetILNS1_3genE3ELNS1_11target_archE908ELNS1_3gpuE7ELNS1_3repE0EEENS1_30default_config_static_selectorELNS0_4arch9wavefront6targetE1EEEvT1_,"axG",@progbits,_ZN7rocprim17ROCPRIM_400000_NS6detail17trampoline_kernelINS0_14default_configENS1_20scan_config_selectorIfEEZZNS1_9scan_implILNS1_25lookback_scan_determinismE0ELb1ELb1ES3_N6thrust23THRUST_200600_302600_NS6detail15normal_iteratorINS9_10device_ptrIfEEEENSB_INSC_IiEEEEfNS9_4plusIvEEfEEDaPvRmT3_T4_T5_mT6_P12ihipStream_tbENKUlT_T0_E_clISt17integral_constantIbLb0EESW_EEDaSR_SS_EUlSR_E_NS1_11comp_targetILNS1_3genE3ELNS1_11target_archE908ELNS1_3gpuE7ELNS1_3repE0EEENS1_30default_config_static_selectorELNS0_4arch9wavefront6targetE1EEEvT1_,comdat
.Lfunc_end1572:
	.size	_ZN7rocprim17ROCPRIM_400000_NS6detail17trampoline_kernelINS0_14default_configENS1_20scan_config_selectorIfEEZZNS1_9scan_implILNS1_25lookback_scan_determinismE0ELb1ELb1ES3_N6thrust23THRUST_200600_302600_NS6detail15normal_iteratorINS9_10device_ptrIfEEEENSB_INSC_IiEEEEfNS9_4plusIvEEfEEDaPvRmT3_T4_T5_mT6_P12ihipStream_tbENKUlT_T0_E_clISt17integral_constantIbLb0EESW_EEDaSR_SS_EUlSR_E_NS1_11comp_targetILNS1_3genE3ELNS1_11target_archE908ELNS1_3gpuE7ELNS1_3repE0EEENS1_30default_config_static_selectorELNS0_4arch9wavefront6targetE1EEEvT1_, .Lfunc_end1572-_ZN7rocprim17ROCPRIM_400000_NS6detail17trampoline_kernelINS0_14default_configENS1_20scan_config_selectorIfEEZZNS1_9scan_implILNS1_25lookback_scan_determinismE0ELb1ELb1ES3_N6thrust23THRUST_200600_302600_NS6detail15normal_iteratorINS9_10device_ptrIfEEEENSB_INSC_IiEEEEfNS9_4plusIvEEfEEDaPvRmT3_T4_T5_mT6_P12ihipStream_tbENKUlT_T0_E_clISt17integral_constantIbLb0EESW_EEDaSR_SS_EUlSR_E_NS1_11comp_targetILNS1_3genE3ELNS1_11target_archE908ELNS1_3gpuE7ELNS1_3repE0EEENS1_30default_config_static_selectorELNS0_4arch9wavefront6targetE1EEEvT1_
                                        ; -- End function
	.section	.AMDGPU.csdata,"",@progbits
; Kernel info:
; codeLenInByte = 0
; NumSgprs: 4
; NumVgprs: 0
; NumAgprs: 0
; TotalNumVgprs: 0
; ScratchSize: 0
; MemoryBound: 0
; FloatMode: 240
; IeeeMode: 1
; LDSByteSize: 0 bytes/workgroup (compile time only)
; SGPRBlocks: 0
; VGPRBlocks: 0
; NumSGPRsForWavesPerEU: 4
; NumVGPRsForWavesPerEU: 1
; AccumOffset: 4
; Occupancy: 8
; WaveLimiterHint : 0
; COMPUTE_PGM_RSRC2:SCRATCH_EN: 0
; COMPUTE_PGM_RSRC2:USER_SGPR: 6
; COMPUTE_PGM_RSRC2:TRAP_HANDLER: 0
; COMPUTE_PGM_RSRC2:TGID_X_EN: 1
; COMPUTE_PGM_RSRC2:TGID_Y_EN: 0
; COMPUTE_PGM_RSRC2:TGID_Z_EN: 0
; COMPUTE_PGM_RSRC2:TIDIG_COMP_CNT: 0
; COMPUTE_PGM_RSRC3_GFX90A:ACCUM_OFFSET: 0
; COMPUTE_PGM_RSRC3_GFX90A:TG_SPLIT: 0
	.section	.text._ZN7rocprim17ROCPRIM_400000_NS6detail17trampoline_kernelINS0_14default_configENS1_20scan_config_selectorIfEEZZNS1_9scan_implILNS1_25lookback_scan_determinismE0ELb1ELb1ES3_N6thrust23THRUST_200600_302600_NS6detail15normal_iteratorINS9_10device_ptrIfEEEENSB_INSC_IiEEEEfNS9_4plusIvEEfEEDaPvRmT3_T4_T5_mT6_P12ihipStream_tbENKUlT_T0_E_clISt17integral_constantIbLb0EESW_EEDaSR_SS_EUlSR_E_NS1_11comp_targetILNS1_3genE2ELNS1_11target_archE906ELNS1_3gpuE6ELNS1_3repE0EEENS1_30default_config_static_selectorELNS0_4arch9wavefront6targetE1EEEvT1_,"axG",@progbits,_ZN7rocprim17ROCPRIM_400000_NS6detail17trampoline_kernelINS0_14default_configENS1_20scan_config_selectorIfEEZZNS1_9scan_implILNS1_25lookback_scan_determinismE0ELb1ELb1ES3_N6thrust23THRUST_200600_302600_NS6detail15normal_iteratorINS9_10device_ptrIfEEEENSB_INSC_IiEEEEfNS9_4plusIvEEfEEDaPvRmT3_T4_T5_mT6_P12ihipStream_tbENKUlT_T0_E_clISt17integral_constantIbLb0EESW_EEDaSR_SS_EUlSR_E_NS1_11comp_targetILNS1_3genE2ELNS1_11target_archE906ELNS1_3gpuE6ELNS1_3repE0EEENS1_30default_config_static_selectorELNS0_4arch9wavefront6targetE1EEEvT1_,comdat
	.protected	_ZN7rocprim17ROCPRIM_400000_NS6detail17trampoline_kernelINS0_14default_configENS1_20scan_config_selectorIfEEZZNS1_9scan_implILNS1_25lookback_scan_determinismE0ELb1ELb1ES3_N6thrust23THRUST_200600_302600_NS6detail15normal_iteratorINS9_10device_ptrIfEEEENSB_INSC_IiEEEEfNS9_4plusIvEEfEEDaPvRmT3_T4_T5_mT6_P12ihipStream_tbENKUlT_T0_E_clISt17integral_constantIbLb0EESW_EEDaSR_SS_EUlSR_E_NS1_11comp_targetILNS1_3genE2ELNS1_11target_archE906ELNS1_3gpuE6ELNS1_3repE0EEENS1_30default_config_static_selectorELNS0_4arch9wavefront6targetE1EEEvT1_ ; -- Begin function _ZN7rocprim17ROCPRIM_400000_NS6detail17trampoline_kernelINS0_14default_configENS1_20scan_config_selectorIfEEZZNS1_9scan_implILNS1_25lookback_scan_determinismE0ELb1ELb1ES3_N6thrust23THRUST_200600_302600_NS6detail15normal_iteratorINS9_10device_ptrIfEEEENSB_INSC_IiEEEEfNS9_4plusIvEEfEEDaPvRmT3_T4_T5_mT6_P12ihipStream_tbENKUlT_T0_E_clISt17integral_constantIbLb0EESW_EEDaSR_SS_EUlSR_E_NS1_11comp_targetILNS1_3genE2ELNS1_11target_archE906ELNS1_3gpuE6ELNS1_3repE0EEENS1_30default_config_static_selectorELNS0_4arch9wavefront6targetE1EEEvT1_
	.globl	_ZN7rocprim17ROCPRIM_400000_NS6detail17trampoline_kernelINS0_14default_configENS1_20scan_config_selectorIfEEZZNS1_9scan_implILNS1_25lookback_scan_determinismE0ELb1ELb1ES3_N6thrust23THRUST_200600_302600_NS6detail15normal_iteratorINS9_10device_ptrIfEEEENSB_INSC_IiEEEEfNS9_4plusIvEEfEEDaPvRmT3_T4_T5_mT6_P12ihipStream_tbENKUlT_T0_E_clISt17integral_constantIbLb0EESW_EEDaSR_SS_EUlSR_E_NS1_11comp_targetILNS1_3genE2ELNS1_11target_archE906ELNS1_3gpuE6ELNS1_3repE0EEENS1_30default_config_static_selectorELNS0_4arch9wavefront6targetE1EEEvT1_
	.p2align	8
	.type	_ZN7rocprim17ROCPRIM_400000_NS6detail17trampoline_kernelINS0_14default_configENS1_20scan_config_selectorIfEEZZNS1_9scan_implILNS1_25lookback_scan_determinismE0ELb1ELb1ES3_N6thrust23THRUST_200600_302600_NS6detail15normal_iteratorINS9_10device_ptrIfEEEENSB_INSC_IiEEEEfNS9_4plusIvEEfEEDaPvRmT3_T4_T5_mT6_P12ihipStream_tbENKUlT_T0_E_clISt17integral_constantIbLb0EESW_EEDaSR_SS_EUlSR_E_NS1_11comp_targetILNS1_3genE2ELNS1_11target_archE906ELNS1_3gpuE6ELNS1_3repE0EEENS1_30default_config_static_selectorELNS0_4arch9wavefront6targetE1EEEvT1_,@function
_ZN7rocprim17ROCPRIM_400000_NS6detail17trampoline_kernelINS0_14default_configENS1_20scan_config_selectorIfEEZZNS1_9scan_implILNS1_25lookback_scan_determinismE0ELb1ELb1ES3_N6thrust23THRUST_200600_302600_NS6detail15normal_iteratorINS9_10device_ptrIfEEEENSB_INSC_IiEEEEfNS9_4plusIvEEfEEDaPvRmT3_T4_T5_mT6_P12ihipStream_tbENKUlT_T0_E_clISt17integral_constantIbLb0EESW_EEDaSR_SS_EUlSR_E_NS1_11comp_targetILNS1_3genE2ELNS1_11target_archE906ELNS1_3gpuE6ELNS1_3repE0EEENS1_30default_config_static_selectorELNS0_4arch9wavefront6targetE1EEEvT1_: ; @_ZN7rocprim17ROCPRIM_400000_NS6detail17trampoline_kernelINS0_14default_configENS1_20scan_config_selectorIfEEZZNS1_9scan_implILNS1_25lookback_scan_determinismE0ELb1ELb1ES3_N6thrust23THRUST_200600_302600_NS6detail15normal_iteratorINS9_10device_ptrIfEEEENSB_INSC_IiEEEEfNS9_4plusIvEEfEEDaPvRmT3_T4_T5_mT6_P12ihipStream_tbENKUlT_T0_E_clISt17integral_constantIbLb0EESW_EEDaSR_SS_EUlSR_E_NS1_11comp_targetILNS1_3genE2ELNS1_11target_archE906ELNS1_3gpuE6ELNS1_3repE0EEENS1_30default_config_static_selectorELNS0_4arch9wavefront6targetE1EEEvT1_
; %bb.0:
	.section	.rodata,"a",@progbits
	.p2align	6, 0x0
	.amdhsa_kernel _ZN7rocprim17ROCPRIM_400000_NS6detail17trampoline_kernelINS0_14default_configENS1_20scan_config_selectorIfEEZZNS1_9scan_implILNS1_25lookback_scan_determinismE0ELb1ELb1ES3_N6thrust23THRUST_200600_302600_NS6detail15normal_iteratorINS9_10device_ptrIfEEEENSB_INSC_IiEEEEfNS9_4plusIvEEfEEDaPvRmT3_T4_T5_mT6_P12ihipStream_tbENKUlT_T0_E_clISt17integral_constantIbLb0EESW_EEDaSR_SS_EUlSR_E_NS1_11comp_targetILNS1_3genE2ELNS1_11target_archE906ELNS1_3gpuE6ELNS1_3repE0EEENS1_30default_config_static_selectorELNS0_4arch9wavefront6targetE1EEEvT1_
		.amdhsa_group_segment_fixed_size 0
		.amdhsa_private_segment_fixed_size 0
		.amdhsa_kernarg_size 96
		.amdhsa_user_sgpr_count 6
		.amdhsa_user_sgpr_private_segment_buffer 1
		.amdhsa_user_sgpr_dispatch_ptr 0
		.amdhsa_user_sgpr_queue_ptr 0
		.amdhsa_user_sgpr_kernarg_segment_ptr 1
		.amdhsa_user_sgpr_dispatch_id 0
		.amdhsa_user_sgpr_flat_scratch_init 0
		.amdhsa_user_sgpr_kernarg_preload_length 0
		.amdhsa_user_sgpr_kernarg_preload_offset 0
		.amdhsa_user_sgpr_private_segment_size 0
		.amdhsa_uses_dynamic_stack 0
		.amdhsa_system_sgpr_private_segment_wavefront_offset 0
		.amdhsa_system_sgpr_workgroup_id_x 1
		.amdhsa_system_sgpr_workgroup_id_y 0
		.amdhsa_system_sgpr_workgroup_id_z 0
		.amdhsa_system_sgpr_workgroup_info 0
		.amdhsa_system_vgpr_workitem_id 0
		.amdhsa_next_free_vgpr 1
		.amdhsa_next_free_sgpr 0
		.amdhsa_accum_offset 4
		.amdhsa_reserve_vcc 0
		.amdhsa_reserve_flat_scratch 0
		.amdhsa_float_round_mode_32 0
		.amdhsa_float_round_mode_16_64 0
		.amdhsa_float_denorm_mode_32 3
		.amdhsa_float_denorm_mode_16_64 3
		.amdhsa_dx10_clamp 1
		.amdhsa_ieee_mode 1
		.amdhsa_fp16_overflow 0
		.amdhsa_tg_split 0
		.amdhsa_exception_fp_ieee_invalid_op 0
		.amdhsa_exception_fp_denorm_src 0
		.amdhsa_exception_fp_ieee_div_zero 0
		.amdhsa_exception_fp_ieee_overflow 0
		.amdhsa_exception_fp_ieee_underflow 0
		.amdhsa_exception_fp_ieee_inexact 0
		.amdhsa_exception_int_div_zero 0
	.end_amdhsa_kernel
	.section	.text._ZN7rocprim17ROCPRIM_400000_NS6detail17trampoline_kernelINS0_14default_configENS1_20scan_config_selectorIfEEZZNS1_9scan_implILNS1_25lookback_scan_determinismE0ELb1ELb1ES3_N6thrust23THRUST_200600_302600_NS6detail15normal_iteratorINS9_10device_ptrIfEEEENSB_INSC_IiEEEEfNS9_4plusIvEEfEEDaPvRmT3_T4_T5_mT6_P12ihipStream_tbENKUlT_T0_E_clISt17integral_constantIbLb0EESW_EEDaSR_SS_EUlSR_E_NS1_11comp_targetILNS1_3genE2ELNS1_11target_archE906ELNS1_3gpuE6ELNS1_3repE0EEENS1_30default_config_static_selectorELNS0_4arch9wavefront6targetE1EEEvT1_,"axG",@progbits,_ZN7rocprim17ROCPRIM_400000_NS6detail17trampoline_kernelINS0_14default_configENS1_20scan_config_selectorIfEEZZNS1_9scan_implILNS1_25lookback_scan_determinismE0ELb1ELb1ES3_N6thrust23THRUST_200600_302600_NS6detail15normal_iteratorINS9_10device_ptrIfEEEENSB_INSC_IiEEEEfNS9_4plusIvEEfEEDaPvRmT3_T4_T5_mT6_P12ihipStream_tbENKUlT_T0_E_clISt17integral_constantIbLb0EESW_EEDaSR_SS_EUlSR_E_NS1_11comp_targetILNS1_3genE2ELNS1_11target_archE906ELNS1_3gpuE6ELNS1_3repE0EEENS1_30default_config_static_selectorELNS0_4arch9wavefront6targetE1EEEvT1_,comdat
.Lfunc_end1573:
	.size	_ZN7rocprim17ROCPRIM_400000_NS6detail17trampoline_kernelINS0_14default_configENS1_20scan_config_selectorIfEEZZNS1_9scan_implILNS1_25lookback_scan_determinismE0ELb1ELb1ES3_N6thrust23THRUST_200600_302600_NS6detail15normal_iteratorINS9_10device_ptrIfEEEENSB_INSC_IiEEEEfNS9_4plusIvEEfEEDaPvRmT3_T4_T5_mT6_P12ihipStream_tbENKUlT_T0_E_clISt17integral_constantIbLb0EESW_EEDaSR_SS_EUlSR_E_NS1_11comp_targetILNS1_3genE2ELNS1_11target_archE906ELNS1_3gpuE6ELNS1_3repE0EEENS1_30default_config_static_selectorELNS0_4arch9wavefront6targetE1EEEvT1_, .Lfunc_end1573-_ZN7rocprim17ROCPRIM_400000_NS6detail17trampoline_kernelINS0_14default_configENS1_20scan_config_selectorIfEEZZNS1_9scan_implILNS1_25lookback_scan_determinismE0ELb1ELb1ES3_N6thrust23THRUST_200600_302600_NS6detail15normal_iteratorINS9_10device_ptrIfEEEENSB_INSC_IiEEEEfNS9_4plusIvEEfEEDaPvRmT3_T4_T5_mT6_P12ihipStream_tbENKUlT_T0_E_clISt17integral_constantIbLb0EESW_EEDaSR_SS_EUlSR_E_NS1_11comp_targetILNS1_3genE2ELNS1_11target_archE906ELNS1_3gpuE6ELNS1_3repE0EEENS1_30default_config_static_selectorELNS0_4arch9wavefront6targetE1EEEvT1_
                                        ; -- End function
	.section	.AMDGPU.csdata,"",@progbits
; Kernel info:
; codeLenInByte = 0
; NumSgprs: 4
; NumVgprs: 0
; NumAgprs: 0
; TotalNumVgprs: 0
; ScratchSize: 0
; MemoryBound: 0
; FloatMode: 240
; IeeeMode: 1
; LDSByteSize: 0 bytes/workgroup (compile time only)
; SGPRBlocks: 0
; VGPRBlocks: 0
; NumSGPRsForWavesPerEU: 4
; NumVGPRsForWavesPerEU: 1
; AccumOffset: 4
; Occupancy: 8
; WaveLimiterHint : 0
; COMPUTE_PGM_RSRC2:SCRATCH_EN: 0
; COMPUTE_PGM_RSRC2:USER_SGPR: 6
; COMPUTE_PGM_RSRC2:TRAP_HANDLER: 0
; COMPUTE_PGM_RSRC2:TGID_X_EN: 1
; COMPUTE_PGM_RSRC2:TGID_Y_EN: 0
; COMPUTE_PGM_RSRC2:TGID_Z_EN: 0
; COMPUTE_PGM_RSRC2:TIDIG_COMP_CNT: 0
; COMPUTE_PGM_RSRC3_GFX90A:ACCUM_OFFSET: 0
; COMPUTE_PGM_RSRC3_GFX90A:TG_SPLIT: 0
	.section	.text._ZN7rocprim17ROCPRIM_400000_NS6detail17trampoline_kernelINS0_14default_configENS1_20scan_config_selectorIfEEZZNS1_9scan_implILNS1_25lookback_scan_determinismE0ELb1ELb1ES3_N6thrust23THRUST_200600_302600_NS6detail15normal_iteratorINS9_10device_ptrIfEEEENSB_INSC_IiEEEEfNS9_4plusIvEEfEEDaPvRmT3_T4_T5_mT6_P12ihipStream_tbENKUlT_T0_E_clISt17integral_constantIbLb0EESW_EEDaSR_SS_EUlSR_E_NS1_11comp_targetILNS1_3genE10ELNS1_11target_archE1201ELNS1_3gpuE5ELNS1_3repE0EEENS1_30default_config_static_selectorELNS0_4arch9wavefront6targetE1EEEvT1_,"axG",@progbits,_ZN7rocprim17ROCPRIM_400000_NS6detail17trampoline_kernelINS0_14default_configENS1_20scan_config_selectorIfEEZZNS1_9scan_implILNS1_25lookback_scan_determinismE0ELb1ELb1ES3_N6thrust23THRUST_200600_302600_NS6detail15normal_iteratorINS9_10device_ptrIfEEEENSB_INSC_IiEEEEfNS9_4plusIvEEfEEDaPvRmT3_T4_T5_mT6_P12ihipStream_tbENKUlT_T0_E_clISt17integral_constantIbLb0EESW_EEDaSR_SS_EUlSR_E_NS1_11comp_targetILNS1_3genE10ELNS1_11target_archE1201ELNS1_3gpuE5ELNS1_3repE0EEENS1_30default_config_static_selectorELNS0_4arch9wavefront6targetE1EEEvT1_,comdat
	.protected	_ZN7rocprim17ROCPRIM_400000_NS6detail17trampoline_kernelINS0_14default_configENS1_20scan_config_selectorIfEEZZNS1_9scan_implILNS1_25lookback_scan_determinismE0ELb1ELb1ES3_N6thrust23THRUST_200600_302600_NS6detail15normal_iteratorINS9_10device_ptrIfEEEENSB_INSC_IiEEEEfNS9_4plusIvEEfEEDaPvRmT3_T4_T5_mT6_P12ihipStream_tbENKUlT_T0_E_clISt17integral_constantIbLb0EESW_EEDaSR_SS_EUlSR_E_NS1_11comp_targetILNS1_3genE10ELNS1_11target_archE1201ELNS1_3gpuE5ELNS1_3repE0EEENS1_30default_config_static_selectorELNS0_4arch9wavefront6targetE1EEEvT1_ ; -- Begin function _ZN7rocprim17ROCPRIM_400000_NS6detail17trampoline_kernelINS0_14default_configENS1_20scan_config_selectorIfEEZZNS1_9scan_implILNS1_25lookback_scan_determinismE0ELb1ELb1ES3_N6thrust23THRUST_200600_302600_NS6detail15normal_iteratorINS9_10device_ptrIfEEEENSB_INSC_IiEEEEfNS9_4plusIvEEfEEDaPvRmT3_T4_T5_mT6_P12ihipStream_tbENKUlT_T0_E_clISt17integral_constantIbLb0EESW_EEDaSR_SS_EUlSR_E_NS1_11comp_targetILNS1_3genE10ELNS1_11target_archE1201ELNS1_3gpuE5ELNS1_3repE0EEENS1_30default_config_static_selectorELNS0_4arch9wavefront6targetE1EEEvT1_
	.globl	_ZN7rocprim17ROCPRIM_400000_NS6detail17trampoline_kernelINS0_14default_configENS1_20scan_config_selectorIfEEZZNS1_9scan_implILNS1_25lookback_scan_determinismE0ELb1ELb1ES3_N6thrust23THRUST_200600_302600_NS6detail15normal_iteratorINS9_10device_ptrIfEEEENSB_INSC_IiEEEEfNS9_4plusIvEEfEEDaPvRmT3_T4_T5_mT6_P12ihipStream_tbENKUlT_T0_E_clISt17integral_constantIbLb0EESW_EEDaSR_SS_EUlSR_E_NS1_11comp_targetILNS1_3genE10ELNS1_11target_archE1201ELNS1_3gpuE5ELNS1_3repE0EEENS1_30default_config_static_selectorELNS0_4arch9wavefront6targetE1EEEvT1_
	.p2align	8
	.type	_ZN7rocprim17ROCPRIM_400000_NS6detail17trampoline_kernelINS0_14default_configENS1_20scan_config_selectorIfEEZZNS1_9scan_implILNS1_25lookback_scan_determinismE0ELb1ELb1ES3_N6thrust23THRUST_200600_302600_NS6detail15normal_iteratorINS9_10device_ptrIfEEEENSB_INSC_IiEEEEfNS9_4plusIvEEfEEDaPvRmT3_T4_T5_mT6_P12ihipStream_tbENKUlT_T0_E_clISt17integral_constantIbLb0EESW_EEDaSR_SS_EUlSR_E_NS1_11comp_targetILNS1_3genE10ELNS1_11target_archE1201ELNS1_3gpuE5ELNS1_3repE0EEENS1_30default_config_static_selectorELNS0_4arch9wavefront6targetE1EEEvT1_,@function
_ZN7rocprim17ROCPRIM_400000_NS6detail17trampoline_kernelINS0_14default_configENS1_20scan_config_selectorIfEEZZNS1_9scan_implILNS1_25lookback_scan_determinismE0ELb1ELb1ES3_N6thrust23THRUST_200600_302600_NS6detail15normal_iteratorINS9_10device_ptrIfEEEENSB_INSC_IiEEEEfNS9_4plusIvEEfEEDaPvRmT3_T4_T5_mT6_P12ihipStream_tbENKUlT_T0_E_clISt17integral_constantIbLb0EESW_EEDaSR_SS_EUlSR_E_NS1_11comp_targetILNS1_3genE10ELNS1_11target_archE1201ELNS1_3gpuE5ELNS1_3repE0EEENS1_30default_config_static_selectorELNS0_4arch9wavefront6targetE1EEEvT1_: ; @_ZN7rocprim17ROCPRIM_400000_NS6detail17trampoline_kernelINS0_14default_configENS1_20scan_config_selectorIfEEZZNS1_9scan_implILNS1_25lookback_scan_determinismE0ELb1ELb1ES3_N6thrust23THRUST_200600_302600_NS6detail15normal_iteratorINS9_10device_ptrIfEEEENSB_INSC_IiEEEEfNS9_4plusIvEEfEEDaPvRmT3_T4_T5_mT6_P12ihipStream_tbENKUlT_T0_E_clISt17integral_constantIbLb0EESW_EEDaSR_SS_EUlSR_E_NS1_11comp_targetILNS1_3genE10ELNS1_11target_archE1201ELNS1_3gpuE5ELNS1_3repE0EEENS1_30default_config_static_selectorELNS0_4arch9wavefront6targetE1EEEvT1_
; %bb.0:
	.section	.rodata,"a",@progbits
	.p2align	6, 0x0
	.amdhsa_kernel _ZN7rocprim17ROCPRIM_400000_NS6detail17trampoline_kernelINS0_14default_configENS1_20scan_config_selectorIfEEZZNS1_9scan_implILNS1_25lookback_scan_determinismE0ELb1ELb1ES3_N6thrust23THRUST_200600_302600_NS6detail15normal_iteratorINS9_10device_ptrIfEEEENSB_INSC_IiEEEEfNS9_4plusIvEEfEEDaPvRmT3_T4_T5_mT6_P12ihipStream_tbENKUlT_T0_E_clISt17integral_constantIbLb0EESW_EEDaSR_SS_EUlSR_E_NS1_11comp_targetILNS1_3genE10ELNS1_11target_archE1201ELNS1_3gpuE5ELNS1_3repE0EEENS1_30default_config_static_selectorELNS0_4arch9wavefront6targetE1EEEvT1_
		.amdhsa_group_segment_fixed_size 0
		.amdhsa_private_segment_fixed_size 0
		.amdhsa_kernarg_size 96
		.amdhsa_user_sgpr_count 6
		.amdhsa_user_sgpr_private_segment_buffer 1
		.amdhsa_user_sgpr_dispatch_ptr 0
		.amdhsa_user_sgpr_queue_ptr 0
		.amdhsa_user_sgpr_kernarg_segment_ptr 1
		.amdhsa_user_sgpr_dispatch_id 0
		.amdhsa_user_sgpr_flat_scratch_init 0
		.amdhsa_user_sgpr_kernarg_preload_length 0
		.amdhsa_user_sgpr_kernarg_preload_offset 0
		.amdhsa_user_sgpr_private_segment_size 0
		.amdhsa_uses_dynamic_stack 0
		.amdhsa_system_sgpr_private_segment_wavefront_offset 0
		.amdhsa_system_sgpr_workgroup_id_x 1
		.amdhsa_system_sgpr_workgroup_id_y 0
		.amdhsa_system_sgpr_workgroup_id_z 0
		.amdhsa_system_sgpr_workgroup_info 0
		.amdhsa_system_vgpr_workitem_id 0
		.amdhsa_next_free_vgpr 1
		.amdhsa_next_free_sgpr 0
		.amdhsa_accum_offset 4
		.amdhsa_reserve_vcc 0
		.amdhsa_reserve_flat_scratch 0
		.amdhsa_float_round_mode_32 0
		.amdhsa_float_round_mode_16_64 0
		.amdhsa_float_denorm_mode_32 3
		.amdhsa_float_denorm_mode_16_64 3
		.amdhsa_dx10_clamp 1
		.amdhsa_ieee_mode 1
		.amdhsa_fp16_overflow 0
		.amdhsa_tg_split 0
		.amdhsa_exception_fp_ieee_invalid_op 0
		.amdhsa_exception_fp_denorm_src 0
		.amdhsa_exception_fp_ieee_div_zero 0
		.amdhsa_exception_fp_ieee_overflow 0
		.amdhsa_exception_fp_ieee_underflow 0
		.amdhsa_exception_fp_ieee_inexact 0
		.amdhsa_exception_int_div_zero 0
	.end_amdhsa_kernel
	.section	.text._ZN7rocprim17ROCPRIM_400000_NS6detail17trampoline_kernelINS0_14default_configENS1_20scan_config_selectorIfEEZZNS1_9scan_implILNS1_25lookback_scan_determinismE0ELb1ELb1ES3_N6thrust23THRUST_200600_302600_NS6detail15normal_iteratorINS9_10device_ptrIfEEEENSB_INSC_IiEEEEfNS9_4plusIvEEfEEDaPvRmT3_T4_T5_mT6_P12ihipStream_tbENKUlT_T0_E_clISt17integral_constantIbLb0EESW_EEDaSR_SS_EUlSR_E_NS1_11comp_targetILNS1_3genE10ELNS1_11target_archE1201ELNS1_3gpuE5ELNS1_3repE0EEENS1_30default_config_static_selectorELNS0_4arch9wavefront6targetE1EEEvT1_,"axG",@progbits,_ZN7rocprim17ROCPRIM_400000_NS6detail17trampoline_kernelINS0_14default_configENS1_20scan_config_selectorIfEEZZNS1_9scan_implILNS1_25lookback_scan_determinismE0ELb1ELb1ES3_N6thrust23THRUST_200600_302600_NS6detail15normal_iteratorINS9_10device_ptrIfEEEENSB_INSC_IiEEEEfNS9_4plusIvEEfEEDaPvRmT3_T4_T5_mT6_P12ihipStream_tbENKUlT_T0_E_clISt17integral_constantIbLb0EESW_EEDaSR_SS_EUlSR_E_NS1_11comp_targetILNS1_3genE10ELNS1_11target_archE1201ELNS1_3gpuE5ELNS1_3repE0EEENS1_30default_config_static_selectorELNS0_4arch9wavefront6targetE1EEEvT1_,comdat
.Lfunc_end1574:
	.size	_ZN7rocprim17ROCPRIM_400000_NS6detail17trampoline_kernelINS0_14default_configENS1_20scan_config_selectorIfEEZZNS1_9scan_implILNS1_25lookback_scan_determinismE0ELb1ELb1ES3_N6thrust23THRUST_200600_302600_NS6detail15normal_iteratorINS9_10device_ptrIfEEEENSB_INSC_IiEEEEfNS9_4plusIvEEfEEDaPvRmT3_T4_T5_mT6_P12ihipStream_tbENKUlT_T0_E_clISt17integral_constantIbLb0EESW_EEDaSR_SS_EUlSR_E_NS1_11comp_targetILNS1_3genE10ELNS1_11target_archE1201ELNS1_3gpuE5ELNS1_3repE0EEENS1_30default_config_static_selectorELNS0_4arch9wavefront6targetE1EEEvT1_, .Lfunc_end1574-_ZN7rocprim17ROCPRIM_400000_NS6detail17trampoline_kernelINS0_14default_configENS1_20scan_config_selectorIfEEZZNS1_9scan_implILNS1_25lookback_scan_determinismE0ELb1ELb1ES3_N6thrust23THRUST_200600_302600_NS6detail15normal_iteratorINS9_10device_ptrIfEEEENSB_INSC_IiEEEEfNS9_4plusIvEEfEEDaPvRmT3_T4_T5_mT6_P12ihipStream_tbENKUlT_T0_E_clISt17integral_constantIbLb0EESW_EEDaSR_SS_EUlSR_E_NS1_11comp_targetILNS1_3genE10ELNS1_11target_archE1201ELNS1_3gpuE5ELNS1_3repE0EEENS1_30default_config_static_selectorELNS0_4arch9wavefront6targetE1EEEvT1_
                                        ; -- End function
	.section	.AMDGPU.csdata,"",@progbits
; Kernel info:
; codeLenInByte = 0
; NumSgprs: 4
; NumVgprs: 0
; NumAgprs: 0
; TotalNumVgprs: 0
; ScratchSize: 0
; MemoryBound: 0
; FloatMode: 240
; IeeeMode: 1
; LDSByteSize: 0 bytes/workgroup (compile time only)
; SGPRBlocks: 0
; VGPRBlocks: 0
; NumSGPRsForWavesPerEU: 4
; NumVGPRsForWavesPerEU: 1
; AccumOffset: 4
; Occupancy: 8
; WaveLimiterHint : 0
; COMPUTE_PGM_RSRC2:SCRATCH_EN: 0
; COMPUTE_PGM_RSRC2:USER_SGPR: 6
; COMPUTE_PGM_RSRC2:TRAP_HANDLER: 0
; COMPUTE_PGM_RSRC2:TGID_X_EN: 1
; COMPUTE_PGM_RSRC2:TGID_Y_EN: 0
; COMPUTE_PGM_RSRC2:TGID_Z_EN: 0
; COMPUTE_PGM_RSRC2:TIDIG_COMP_CNT: 0
; COMPUTE_PGM_RSRC3_GFX90A:ACCUM_OFFSET: 0
; COMPUTE_PGM_RSRC3_GFX90A:TG_SPLIT: 0
	.section	.text._ZN7rocprim17ROCPRIM_400000_NS6detail17trampoline_kernelINS0_14default_configENS1_20scan_config_selectorIfEEZZNS1_9scan_implILNS1_25lookback_scan_determinismE0ELb1ELb1ES3_N6thrust23THRUST_200600_302600_NS6detail15normal_iteratorINS9_10device_ptrIfEEEENSB_INSC_IiEEEEfNS9_4plusIvEEfEEDaPvRmT3_T4_T5_mT6_P12ihipStream_tbENKUlT_T0_E_clISt17integral_constantIbLb0EESW_EEDaSR_SS_EUlSR_E_NS1_11comp_targetILNS1_3genE10ELNS1_11target_archE1200ELNS1_3gpuE4ELNS1_3repE0EEENS1_30default_config_static_selectorELNS0_4arch9wavefront6targetE1EEEvT1_,"axG",@progbits,_ZN7rocprim17ROCPRIM_400000_NS6detail17trampoline_kernelINS0_14default_configENS1_20scan_config_selectorIfEEZZNS1_9scan_implILNS1_25lookback_scan_determinismE0ELb1ELb1ES3_N6thrust23THRUST_200600_302600_NS6detail15normal_iteratorINS9_10device_ptrIfEEEENSB_INSC_IiEEEEfNS9_4plusIvEEfEEDaPvRmT3_T4_T5_mT6_P12ihipStream_tbENKUlT_T0_E_clISt17integral_constantIbLb0EESW_EEDaSR_SS_EUlSR_E_NS1_11comp_targetILNS1_3genE10ELNS1_11target_archE1200ELNS1_3gpuE4ELNS1_3repE0EEENS1_30default_config_static_selectorELNS0_4arch9wavefront6targetE1EEEvT1_,comdat
	.protected	_ZN7rocprim17ROCPRIM_400000_NS6detail17trampoline_kernelINS0_14default_configENS1_20scan_config_selectorIfEEZZNS1_9scan_implILNS1_25lookback_scan_determinismE0ELb1ELb1ES3_N6thrust23THRUST_200600_302600_NS6detail15normal_iteratorINS9_10device_ptrIfEEEENSB_INSC_IiEEEEfNS9_4plusIvEEfEEDaPvRmT3_T4_T5_mT6_P12ihipStream_tbENKUlT_T0_E_clISt17integral_constantIbLb0EESW_EEDaSR_SS_EUlSR_E_NS1_11comp_targetILNS1_3genE10ELNS1_11target_archE1200ELNS1_3gpuE4ELNS1_3repE0EEENS1_30default_config_static_selectorELNS0_4arch9wavefront6targetE1EEEvT1_ ; -- Begin function _ZN7rocprim17ROCPRIM_400000_NS6detail17trampoline_kernelINS0_14default_configENS1_20scan_config_selectorIfEEZZNS1_9scan_implILNS1_25lookback_scan_determinismE0ELb1ELb1ES3_N6thrust23THRUST_200600_302600_NS6detail15normal_iteratorINS9_10device_ptrIfEEEENSB_INSC_IiEEEEfNS9_4plusIvEEfEEDaPvRmT3_T4_T5_mT6_P12ihipStream_tbENKUlT_T0_E_clISt17integral_constantIbLb0EESW_EEDaSR_SS_EUlSR_E_NS1_11comp_targetILNS1_3genE10ELNS1_11target_archE1200ELNS1_3gpuE4ELNS1_3repE0EEENS1_30default_config_static_selectorELNS0_4arch9wavefront6targetE1EEEvT1_
	.globl	_ZN7rocprim17ROCPRIM_400000_NS6detail17trampoline_kernelINS0_14default_configENS1_20scan_config_selectorIfEEZZNS1_9scan_implILNS1_25lookback_scan_determinismE0ELb1ELb1ES3_N6thrust23THRUST_200600_302600_NS6detail15normal_iteratorINS9_10device_ptrIfEEEENSB_INSC_IiEEEEfNS9_4plusIvEEfEEDaPvRmT3_T4_T5_mT6_P12ihipStream_tbENKUlT_T0_E_clISt17integral_constantIbLb0EESW_EEDaSR_SS_EUlSR_E_NS1_11comp_targetILNS1_3genE10ELNS1_11target_archE1200ELNS1_3gpuE4ELNS1_3repE0EEENS1_30default_config_static_selectorELNS0_4arch9wavefront6targetE1EEEvT1_
	.p2align	8
	.type	_ZN7rocprim17ROCPRIM_400000_NS6detail17trampoline_kernelINS0_14default_configENS1_20scan_config_selectorIfEEZZNS1_9scan_implILNS1_25lookback_scan_determinismE0ELb1ELb1ES3_N6thrust23THRUST_200600_302600_NS6detail15normal_iteratorINS9_10device_ptrIfEEEENSB_INSC_IiEEEEfNS9_4plusIvEEfEEDaPvRmT3_T4_T5_mT6_P12ihipStream_tbENKUlT_T0_E_clISt17integral_constantIbLb0EESW_EEDaSR_SS_EUlSR_E_NS1_11comp_targetILNS1_3genE10ELNS1_11target_archE1200ELNS1_3gpuE4ELNS1_3repE0EEENS1_30default_config_static_selectorELNS0_4arch9wavefront6targetE1EEEvT1_,@function
_ZN7rocprim17ROCPRIM_400000_NS6detail17trampoline_kernelINS0_14default_configENS1_20scan_config_selectorIfEEZZNS1_9scan_implILNS1_25lookback_scan_determinismE0ELb1ELb1ES3_N6thrust23THRUST_200600_302600_NS6detail15normal_iteratorINS9_10device_ptrIfEEEENSB_INSC_IiEEEEfNS9_4plusIvEEfEEDaPvRmT3_T4_T5_mT6_P12ihipStream_tbENKUlT_T0_E_clISt17integral_constantIbLb0EESW_EEDaSR_SS_EUlSR_E_NS1_11comp_targetILNS1_3genE10ELNS1_11target_archE1200ELNS1_3gpuE4ELNS1_3repE0EEENS1_30default_config_static_selectorELNS0_4arch9wavefront6targetE1EEEvT1_: ; @_ZN7rocprim17ROCPRIM_400000_NS6detail17trampoline_kernelINS0_14default_configENS1_20scan_config_selectorIfEEZZNS1_9scan_implILNS1_25lookback_scan_determinismE0ELb1ELb1ES3_N6thrust23THRUST_200600_302600_NS6detail15normal_iteratorINS9_10device_ptrIfEEEENSB_INSC_IiEEEEfNS9_4plusIvEEfEEDaPvRmT3_T4_T5_mT6_P12ihipStream_tbENKUlT_T0_E_clISt17integral_constantIbLb0EESW_EEDaSR_SS_EUlSR_E_NS1_11comp_targetILNS1_3genE10ELNS1_11target_archE1200ELNS1_3gpuE4ELNS1_3repE0EEENS1_30default_config_static_selectorELNS0_4arch9wavefront6targetE1EEEvT1_
; %bb.0:
	.section	.rodata,"a",@progbits
	.p2align	6, 0x0
	.amdhsa_kernel _ZN7rocprim17ROCPRIM_400000_NS6detail17trampoline_kernelINS0_14default_configENS1_20scan_config_selectorIfEEZZNS1_9scan_implILNS1_25lookback_scan_determinismE0ELb1ELb1ES3_N6thrust23THRUST_200600_302600_NS6detail15normal_iteratorINS9_10device_ptrIfEEEENSB_INSC_IiEEEEfNS9_4plusIvEEfEEDaPvRmT3_T4_T5_mT6_P12ihipStream_tbENKUlT_T0_E_clISt17integral_constantIbLb0EESW_EEDaSR_SS_EUlSR_E_NS1_11comp_targetILNS1_3genE10ELNS1_11target_archE1200ELNS1_3gpuE4ELNS1_3repE0EEENS1_30default_config_static_selectorELNS0_4arch9wavefront6targetE1EEEvT1_
		.amdhsa_group_segment_fixed_size 0
		.amdhsa_private_segment_fixed_size 0
		.amdhsa_kernarg_size 96
		.amdhsa_user_sgpr_count 6
		.amdhsa_user_sgpr_private_segment_buffer 1
		.amdhsa_user_sgpr_dispatch_ptr 0
		.amdhsa_user_sgpr_queue_ptr 0
		.amdhsa_user_sgpr_kernarg_segment_ptr 1
		.amdhsa_user_sgpr_dispatch_id 0
		.amdhsa_user_sgpr_flat_scratch_init 0
		.amdhsa_user_sgpr_kernarg_preload_length 0
		.amdhsa_user_sgpr_kernarg_preload_offset 0
		.amdhsa_user_sgpr_private_segment_size 0
		.amdhsa_uses_dynamic_stack 0
		.amdhsa_system_sgpr_private_segment_wavefront_offset 0
		.amdhsa_system_sgpr_workgroup_id_x 1
		.amdhsa_system_sgpr_workgroup_id_y 0
		.amdhsa_system_sgpr_workgroup_id_z 0
		.amdhsa_system_sgpr_workgroup_info 0
		.amdhsa_system_vgpr_workitem_id 0
		.amdhsa_next_free_vgpr 1
		.amdhsa_next_free_sgpr 0
		.amdhsa_accum_offset 4
		.amdhsa_reserve_vcc 0
		.amdhsa_reserve_flat_scratch 0
		.amdhsa_float_round_mode_32 0
		.amdhsa_float_round_mode_16_64 0
		.amdhsa_float_denorm_mode_32 3
		.amdhsa_float_denorm_mode_16_64 3
		.amdhsa_dx10_clamp 1
		.amdhsa_ieee_mode 1
		.amdhsa_fp16_overflow 0
		.amdhsa_tg_split 0
		.amdhsa_exception_fp_ieee_invalid_op 0
		.amdhsa_exception_fp_denorm_src 0
		.amdhsa_exception_fp_ieee_div_zero 0
		.amdhsa_exception_fp_ieee_overflow 0
		.amdhsa_exception_fp_ieee_underflow 0
		.amdhsa_exception_fp_ieee_inexact 0
		.amdhsa_exception_int_div_zero 0
	.end_amdhsa_kernel
	.section	.text._ZN7rocprim17ROCPRIM_400000_NS6detail17trampoline_kernelINS0_14default_configENS1_20scan_config_selectorIfEEZZNS1_9scan_implILNS1_25lookback_scan_determinismE0ELb1ELb1ES3_N6thrust23THRUST_200600_302600_NS6detail15normal_iteratorINS9_10device_ptrIfEEEENSB_INSC_IiEEEEfNS9_4plusIvEEfEEDaPvRmT3_T4_T5_mT6_P12ihipStream_tbENKUlT_T0_E_clISt17integral_constantIbLb0EESW_EEDaSR_SS_EUlSR_E_NS1_11comp_targetILNS1_3genE10ELNS1_11target_archE1200ELNS1_3gpuE4ELNS1_3repE0EEENS1_30default_config_static_selectorELNS0_4arch9wavefront6targetE1EEEvT1_,"axG",@progbits,_ZN7rocprim17ROCPRIM_400000_NS6detail17trampoline_kernelINS0_14default_configENS1_20scan_config_selectorIfEEZZNS1_9scan_implILNS1_25lookback_scan_determinismE0ELb1ELb1ES3_N6thrust23THRUST_200600_302600_NS6detail15normal_iteratorINS9_10device_ptrIfEEEENSB_INSC_IiEEEEfNS9_4plusIvEEfEEDaPvRmT3_T4_T5_mT6_P12ihipStream_tbENKUlT_T0_E_clISt17integral_constantIbLb0EESW_EEDaSR_SS_EUlSR_E_NS1_11comp_targetILNS1_3genE10ELNS1_11target_archE1200ELNS1_3gpuE4ELNS1_3repE0EEENS1_30default_config_static_selectorELNS0_4arch9wavefront6targetE1EEEvT1_,comdat
.Lfunc_end1575:
	.size	_ZN7rocprim17ROCPRIM_400000_NS6detail17trampoline_kernelINS0_14default_configENS1_20scan_config_selectorIfEEZZNS1_9scan_implILNS1_25lookback_scan_determinismE0ELb1ELb1ES3_N6thrust23THRUST_200600_302600_NS6detail15normal_iteratorINS9_10device_ptrIfEEEENSB_INSC_IiEEEEfNS9_4plusIvEEfEEDaPvRmT3_T4_T5_mT6_P12ihipStream_tbENKUlT_T0_E_clISt17integral_constantIbLb0EESW_EEDaSR_SS_EUlSR_E_NS1_11comp_targetILNS1_3genE10ELNS1_11target_archE1200ELNS1_3gpuE4ELNS1_3repE0EEENS1_30default_config_static_selectorELNS0_4arch9wavefront6targetE1EEEvT1_, .Lfunc_end1575-_ZN7rocprim17ROCPRIM_400000_NS6detail17trampoline_kernelINS0_14default_configENS1_20scan_config_selectorIfEEZZNS1_9scan_implILNS1_25lookback_scan_determinismE0ELb1ELb1ES3_N6thrust23THRUST_200600_302600_NS6detail15normal_iteratorINS9_10device_ptrIfEEEENSB_INSC_IiEEEEfNS9_4plusIvEEfEEDaPvRmT3_T4_T5_mT6_P12ihipStream_tbENKUlT_T0_E_clISt17integral_constantIbLb0EESW_EEDaSR_SS_EUlSR_E_NS1_11comp_targetILNS1_3genE10ELNS1_11target_archE1200ELNS1_3gpuE4ELNS1_3repE0EEENS1_30default_config_static_selectorELNS0_4arch9wavefront6targetE1EEEvT1_
                                        ; -- End function
	.section	.AMDGPU.csdata,"",@progbits
; Kernel info:
; codeLenInByte = 0
; NumSgprs: 4
; NumVgprs: 0
; NumAgprs: 0
; TotalNumVgprs: 0
; ScratchSize: 0
; MemoryBound: 0
; FloatMode: 240
; IeeeMode: 1
; LDSByteSize: 0 bytes/workgroup (compile time only)
; SGPRBlocks: 0
; VGPRBlocks: 0
; NumSGPRsForWavesPerEU: 4
; NumVGPRsForWavesPerEU: 1
; AccumOffset: 4
; Occupancy: 8
; WaveLimiterHint : 0
; COMPUTE_PGM_RSRC2:SCRATCH_EN: 0
; COMPUTE_PGM_RSRC2:USER_SGPR: 6
; COMPUTE_PGM_RSRC2:TRAP_HANDLER: 0
; COMPUTE_PGM_RSRC2:TGID_X_EN: 1
; COMPUTE_PGM_RSRC2:TGID_Y_EN: 0
; COMPUTE_PGM_RSRC2:TGID_Z_EN: 0
; COMPUTE_PGM_RSRC2:TIDIG_COMP_CNT: 0
; COMPUTE_PGM_RSRC3_GFX90A:ACCUM_OFFSET: 0
; COMPUTE_PGM_RSRC3_GFX90A:TG_SPLIT: 0
	.section	.text._ZN7rocprim17ROCPRIM_400000_NS6detail17trampoline_kernelINS0_14default_configENS1_20scan_config_selectorIfEEZZNS1_9scan_implILNS1_25lookback_scan_determinismE0ELb1ELb1ES3_N6thrust23THRUST_200600_302600_NS6detail15normal_iteratorINS9_10device_ptrIfEEEENSB_INSC_IiEEEEfNS9_4plusIvEEfEEDaPvRmT3_T4_T5_mT6_P12ihipStream_tbENKUlT_T0_E_clISt17integral_constantIbLb0EESW_EEDaSR_SS_EUlSR_E_NS1_11comp_targetILNS1_3genE9ELNS1_11target_archE1100ELNS1_3gpuE3ELNS1_3repE0EEENS1_30default_config_static_selectorELNS0_4arch9wavefront6targetE1EEEvT1_,"axG",@progbits,_ZN7rocprim17ROCPRIM_400000_NS6detail17trampoline_kernelINS0_14default_configENS1_20scan_config_selectorIfEEZZNS1_9scan_implILNS1_25lookback_scan_determinismE0ELb1ELb1ES3_N6thrust23THRUST_200600_302600_NS6detail15normal_iteratorINS9_10device_ptrIfEEEENSB_INSC_IiEEEEfNS9_4plusIvEEfEEDaPvRmT3_T4_T5_mT6_P12ihipStream_tbENKUlT_T0_E_clISt17integral_constantIbLb0EESW_EEDaSR_SS_EUlSR_E_NS1_11comp_targetILNS1_3genE9ELNS1_11target_archE1100ELNS1_3gpuE3ELNS1_3repE0EEENS1_30default_config_static_selectorELNS0_4arch9wavefront6targetE1EEEvT1_,comdat
	.protected	_ZN7rocprim17ROCPRIM_400000_NS6detail17trampoline_kernelINS0_14default_configENS1_20scan_config_selectorIfEEZZNS1_9scan_implILNS1_25lookback_scan_determinismE0ELb1ELb1ES3_N6thrust23THRUST_200600_302600_NS6detail15normal_iteratorINS9_10device_ptrIfEEEENSB_INSC_IiEEEEfNS9_4plusIvEEfEEDaPvRmT3_T4_T5_mT6_P12ihipStream_tbENKUlT_T0_E_clISt17integral_constantIbLb0EESW_EEDaSR_SS_EUlSR_E_NS1_11comp_targetILNS1_3genE9ELNS1_11target_archE1100ELNS1_3gpuE3ELNS1_3repE0EEENS1_30default_config_static_selectorELNS0_4arch9wavefront6targetE1EEEvT1_ ; -- Begin function _ZN7rocprim17ROCPRIM_400000_NS6detail17trampoline_kernelINS0_14default_configENS1_20scan_config_selectorIfEEZZNS1_9scan_implILNS1_25lookback_scan_determinismE0ELb1ELb1ES3_N6thrust23THRUST_200600_302600_NS6detail15normal_iteratorINS9_10device_ptrIfEEEENSB_INSC_IiEEEEfNS9_4plusIvEEfEEDaPvRmT3_T4_T5_mT6_P12ihipStream_tbENKUlT_T0_E_clISt17integral_constantIbLb0EESW_EEDaSR_SS_EUlSR_E_NS1_11comp_targetILNS1_3genE9ELNS1_11target_archE1100ELNS1_3gpuE3ELNS1_3repE0EEENS1_30default_config_static_selectorELNS0_4arch9wavefront6targetE1EEEvT1_
	.globl	_ZN7rocprim17ROCPRIM_400000_NS6detail17trampoline_kernelINS0_14default_configENS1_20scan_config_selectorIfEEZZNS1_9scan_implILNS1_25lookback_scan_determinismE0ELb1ELb1ES3_N6thrust23THRUST_200600_302600_NS6detail15normal_iteratorINS9_10device_ptrIfEEEENSB_INSC_IiEEEEfNS9_4plusIvEEfEEDaPvRmT3_T4_T5_mT6_P12ihipStream_tbENKUlT_T0_E_clISt17integral_constantIbLb0EESW_EEDaSR_SS_EUlSR_E_NS1_11comp_targetILNS1_3genE9ELNS1_11target_archE1100ELNS1_3gpuE3ELNS1_3repE0EEENS1_30default_config_static_selectorELNS0_4arch9wavefront6targetE1EEEvT1_
	.p2align	8
	.type	_ZN7rocprim17ROCPRIM_400000_NS6detail17trampoline_kernelINS0_14default_configENS1_20scan_config_selectorIfEEZZNS1_9scan_implILNS1_25lookback_scan_determinismE0ELb1ELb1ES3_N6thrust23THRUST_200600_302600_NS6detail15normal_iteratorINS9_10device_ptrIfEEEENSB_INSC_IiEEEEfNS9_4plusIvEEfEEDaPvRmT3_T4_T5_mT6_P12ihipStream_tbENKUlT_T0_E_clISt17integral_constantIbLb0EESW_EEDaSR_SS_EUlSR_E_NS1_11comp_targetILNS1_3genE9ELNS1_11target_archE1100ELNS1_3gpuE3ELNS1_3repE0EEENS1_30default_config_static_selectorELNS0_4arch9wavefront6targetE1EEEvT1_,@function
_ZN7rocprim17ROCPRIM_400000_NS6detail17trampoline_kernelINS0_14default_configENS1_20scan_config_selectorIfEEZZNS1_9scan_implILNS1_25lookback_scan_determinismE0ELb1ELb1ES3_N6thrust23THRUST_200600_302600_NS6detail15normal_iteratorINS9_10device_ptrIfEEEENSB_INSC_IiEEEEfNS9_4plusIvEEfEEDaPvRmT3_T4_T5_mT6_P12ihipStream_tbENKUlT_T0_E_clISt17integral_constantIbLb0EESW_EEDaSR_SS_EUlSR_E_NS1_11comp_targetILNS1_3genE9ELNS1_11target_archE1100ELNS1_3gpuE3ELNS1_3repE0EEENS1_30default_config_static_selectorELNS0_4arch9wavefront6targetE1EEEvT1_: ; @_ZN7rocprim17ROCPRIM_400000_NS6detail17trampoline_kernelINS0_14default_configENS1_20scan_config_selectorIfEEZZNS1_9scan_implILNS1_25lookback_scan_determinismE0ELb1ELb1ES3_N6thrust23THRUST_200600_302600_NS6detail15normal_iteratorINS9_10device_ptrIfEEEENSB_INSC_IiEEEEfNS9_4plusIvEEfEEDaPvRmT3_T4_T5_mT6_P12ihipStream_tbENKUlT_T0_E_clISt17integral_constantIbLb0EESW_EEDaSR_SS_EUlSR_E_NS1_11comp_targetILNS1_3genE9ELNS1_11target_archE1100ELNS1_3gpuE3ELNS1_3repE0EEENS1_30default_config_static_selectorELNS0_4arch9wavefront6targetE1EEEvT1_
; %bb.0:
	.section	.rodata,"a",@progbits
	.p2align	6, 0x0
	.amdhsa_kernel _ZN7rocprim17ROCPRIM_400000_NS6detail17trampoline_kernelINS0_14default_configENS1_20scan_config_selectorIfEEZZNS1_9scan_implILNS1_25lookback_scan_determinismE0ELb1ELb1ES3_N6thrust23THRUST_200600_302600_NS6detail15normal_iteratorINS9_10device_ptrIfEEEENSB_INSC_IiEEEEfNS9_4plusIvEEfEEDaPvRmT3_T4_T5_mT6_P12ihipStream_tbENKUlT_T0_E_clISt17integral_constantIbLb0EESW_EEDaSR_SS_EUlSR_E_NS1_11comp_targetILNS1_3genE9ELNS1_11target_archE1100ELNS1_3gpuE3ELNS1_3repE0EEENS1_30default_config_static_selectorELNS0_4arch9wavefront6targetE1EEEvT1_
		.amdhsa_group_segment_fixed_size 0
		.amdhsa_private_segment_fixed_size 0
		.amdhsa_kernarg_size 96
		.amdhsa_user_sgpr_count 6
		.amdhsa_user_sgpr_private_segment_buffer 1
		.amdhsa_user_sgpr_dispatch_ptr 0
		.amdhsa_user_sgpr_queue_ptr 0
		.amdhsa_user_sgpr_kernarg_segment_ptr 1
		.amdhsa_user_sgpr_dispatch_id 0
		.amdhsa_user_sgpr_flat_scratch_init 0
		.amdhsa_user_sgpr_kernarg_preload_length 0
		.amdhsa_user_sgpr_kernarg_preload_offset 0
		.amdhsa_user_sgpr_private_segment_size 0
		.amdhsa_uses_dynamic_stack 0
		.amdhsa_system_sgpr_private_segment_wavefront_offset 0
		.amdhsa_system_sgpr_workgroup_id_x 1
		.amdhsa_system_sgpr_workgroup_id_y 0
		.amdhsa_system_sgpr_workgroup_id_z 0
		.amdhsa_system_sgpr_workgroup_info 0
		.amdhsa_system_vgpr_workitem_id 0
		.amdhsa_next_free_vgpr 1
		.amdhsa_next_free_sgpr 0
		.amdhsa_accum_offset 4
		.amdhsa_reserve_vcc 0
		.amdhsa_reserve_flat_scratch 0
		.amdhsa_float_round_mode_32 0
		.amdhsa_float_round_mode_16_64 0
		.amdhsa_float_denorm_mode_32 3
		.amdhsa_float_denorm_mode_16_64 3
		.amdhsa_dx10_clamp 1
		.amdhsa_ieee_mode 1
		.amdhsa_fp16_overflow 0
		.amdhsa_tg_split 0
		.amdhsa_exception_fp_ieee_invalid_op 0
		.amdhsa_exception_fp_denorm_src 0
		.amdhsa_exception_fp_ieee_div_zero 0
		.amdhsa_exception_fp_ieee_overflow 0
		.amdhsa_exception_fp_ieee_underflow 0
		.amdhsa_exception_fp_ieee_inexact 0
		.amdhsa_exception_int_div_zero 0
	.end_amdhsa_kernel
	.section	.text._ZN7rocprim17ROCPRIM_400000_NS6detail17trampoline_kernelINS0_14default_configENS1_20scan_config_selectorIfEEZZNS1_9scan_implILNS1_25lookback_scan_determinismE0ELb1ELb1ES3_N6thrust23THRUST_200600_302600_NS6detail15normal_iteratorINS9_10device_ptrIfEEEENSB_INSC_IiEEEEfNS9_4plusIvEEfEEDaPvRmT3_T4_T5_mT6_P12ihipStream_tbENKUlT_T0_E_clISt17integral_constantIbLb0EESW_EEDaSR_SS_EUlSR_E_NS1_11comp_targetILNS1_3genE9ELNS1_11target_archE1100ELNS1_3gpuE3ELNS1_3repE0EEENS1_30default_config_static_selectorELNS0_4arch9wavefront6targetE1EEEvT1_,"axG",@progbits,_ZN7rocprim17ROCPRIM_400000_NS6detail17trampoline_kernelINS0_14default_configENS1_20scan_config_selectorIfEEZZNS1_9scan_implILNS1_25lookback_scan_determinismE0ELb1ELb1ES3_N6thrust23THRUST_200600_302600_NS6detail15normal_iteratorINS9_10device_ptrIfEEEENSB_INSC_IiEEEEfNS9_4plusIvEEfEEDaPvRmT3_T4_T5_mT6_P12ihipStream_tbENKUlT_T0_E_clISt17integral_constantIbLb0EESW_EEDaSR_SS_EUlSR_E_NS1_11comp_targetILNS1_3genE9ELNS1_11target_archE1100ELNS1_3gpuE3ELNS1_3repE0EEENS1_30default_config_static_selectorELNS0_4arch9wavefront6targetE1EEEvT1_,comdat
.Lfunc_end1576:
	.size	_ZN7rocprim17ROCPRIM_400000_NS6detail17trampoline_kernelINS0_14default_configENS1_20scan_config_selectorIfEEZZNS1_9scan_implILNS1_25lookback_scan_determinismE0ELb1ELb1ES3_N6thrust23THRUST_200600_302600_NS6detail15normal_iteratorINS9_10device_ptrIfEEEENSB_INSC_IiEEEEfNS9_4plusIvEEfEEDaPvRmT3_T4_T5_mT6_P12ihipStream_tbENKUlT_T0_E_clISt17integral_constantIbLb0EESW_EEDaSR_SS_EUlSR_E_NS1_11comp_targetILNS1_3genE9ELNS1_11target_archE1100ELNS1_3gpuE3ELNS1_3repE0EEENS1_30default_config_static_selectorELNS0_4arch9wavefront6targetE1EEEvT1_, .Lfunc_end1576-_ZN7rocprim17ROCPRIM_400000_NS6detail17trampoline_kernelINS0_14default_configENS1_20scan_config_selectorIfEEZZNS1_9scan_implILNS1_25lookback_scan_determinismE0ELb1ELb1ES3_N6thrust23THRUST_200600_302600_NS6detail15normal_iteratorINS9_10device_ptrIfEEEENSB_INSC_IiEEEEfNS9_4plusIvEEfEEDaPvRmT3_T4_T5_mT6_P12ihipStream_tbENKUlT_T0_E_clISt17integral_constantIbLb0EESW_EEDaSR_SS_EUlSR_E_NS1_11comp_targetILNS1_3genE9ELNS1_11target_archE1100ELNS1_3gpuE3ELNS1_3repE0EEENS1_30default_config_static_selectorELNS0_4arch9wavefront6targetE1EEEvT1_
                                        ; -- End function
	.section	.AMDGPU.csdata,"",@progbits
; Kernel info:
; codeLenInByte = 0
; NumSgprs: 4
; NumVgprs: 0
; NumAgprs: 0
; TotalNumVgprs: 0
; ScratchSize: 0
; MemoryBound: 0
; FloatMode: 240
; IeeeMode: 1
; LDSByteSize: 0 bytes/workgroup (compile time only)
; SGPRBlocks: 0
; VGPRBlocks: 0
; NumSGPRsForWavesPerEU: 4
; NumVGPRsForWavesPerEU: 1
; AccumOffset: 4
; Occupancy: 8
; WaveLimiterHint : 0
; COMPUTE_PGM_RSRC2:SCRATCH_EN: 0
; COMPUTE_PGM_RSRC2:USER_SGPR: 6
; COMPUTE_PGM_RSRC2:TRAP_HANDLER: 0
; COMPUTE_PGM_RSRC2:TGID_X_EN: 1
; COMPUTE_PGM_RSRC2:TGID_Y_EN: 0
; COMPUTE_PGM_RSRC2:TGID_Z_EN: 0
; COMPUTE_PGM_RSRC2:TIDIG_COMP_CNT: 0
; COMPUTE_PGM_RSRC3_GFX90A:ACCUM_OFFSET: 0
; COMPUTE_PGM_RSRC3_GFX90A:TG_SPLIT: 0
	.section	.text._ZN7rocprim17ROCPRIM_400000_NS6detail17trampoline_kernelINS0_14default_configENS1_20scan_config_selectorIfEEZZNS1_9scan_implILNS1_25lookback_scan_determinismE0ELb1ELb1ES3_N6thrust23THRUST_200600_302600_NS6detail15normal_iteratorINS9_10device_ptrIfEEEENSB_INSC_IiEEEEfNS9_4plusIvEEfEEDaPvRmT3_T4_T5_mT6_P12ihipStream_tbENKUlT_T0_E_clISt17integral_constantIbLb0EESW_EEDaSR_SS_EUlSR_E_NS1_11comp_targetILNS1_3genE8ELNS1_11target_archE1030ELNS1_3gpuE2ELNS1_3repE0EEENS1_30default_config_static_selectorELNS0_4arch9wavefront6targetE1EEEvT1_,"axG",@progbits,_ZN7rocprim17ROCPRIM_400000_NS6detail17trampoline_kernelINS0_14default_configENS1_20scan_config_selectorIfEEZZNS1_9scan_implILNS1_25lookback_scan_determinismE0ELb1ELb1ES3_N6thrust23THRUST_200600_302600_NS6detail15normal_iteratorINS9_10device_ptrIfEEEENSB_INSC_IiEEEEfNS9_4plusIvEEfEEDaPvRmT3_T4_T5_mT6_P12ihipStream_tbENKUlT_T0_E_clISt17integral_constantIbLb0EESW_EEDaSR_SS_EUlSR_E_NS1_11comp_targetILNS1_3genE8ELNS1_11target_archE1030ELNS1_3gpuE2ELNS1_3repE0EEENS1_30default_config_static_selectorELNS0_4arch9wavefront6targetE1EEEvT1_,comdat
	.protected	_ZN7rocprim17ROCPRIM_400000_NS6detail17trampoline_kernelINS0_14default_configENS1_20scan_config_selectorIfEEZZNS1_9scan_implILNS1_25lookback_scan_determinismE0ELb1ELb1ES3_N6thrust23THRUST_200600_302600_NS6detail15normal_iteratorINS9_10device_ptrIfEEEENSB_INSC_IiEEEEfNS9_4plusIvEEfEEDaPvRmT3_T4_T5_mT6_P12ihipStream_tbENKUlT_T0_E_clISt17integral_constantIbLb0EESW_EEDaSR_SS_EUlSR_E_NS1_11comp_targetILNS1_3genE8ELNS1_11target_archE1030ELNS1_3gpuE2ELNS1_3repE0EEENS1_30default_config_static_selectorELNS0_4arch9wavefront6targetE1EEEvT1_ ; -- Begin function _ZN7rocprim17ROCPRIM_400000_NS6detail17trampoline_kernelINS0_14default_configENS1_20scan_config_selectorIfEEZZNS1_9scan_implILNS1_25lookback_scan_determinismE0ELb1ELb1ES3_N6thrust23THRUST_200600_302600_NS6detail15normal_iteratorINS9_10device_ptrIfEEEENSB_INSC_IiEEEEfNS9_4plusIvEEfEEDaPvRmT3_T4_T5_mT6_P12ihipStream_tbENKUlT_T0_E_clISt17integral_constantIbLb0EESW_EEDaSR_SS_EUlSR_E_NS1_11comp_targetILNS1_3genE8ELNS1_11target_archE1030ELNS1_3gpuE2ELNS1_3repE0EEENS1_30default_config_static_selectorELNS0_4arch9wavefront6targetE1EEEvT1_
	.globl	_ZN7rocprim17ROCPRIM_400000_NS6detail17trampoline_kernelINS0_14default_configENS1_20scan_config_selectorIfEEZZNS1_9scan_implILNS1_25lookback_scan_determinismE0ELb1ELb1ES3_N6thrust23THRUST_200600_302600_NS6detail15normal_iteratorINS9_10device_ptrIfEEEENSB_INSC_IiEEEEfNS9_4plusIvEEfEEDaPvRmT3_T4_T5_mT6_P12ihipStream_tbENKUlT_T0_E_clISt17integral_constantIbLb0EESW_EEDaSR_SS_EUlSR_E_NS1_11comp_targetILNS1_3genE8ELNS1_11target_archE1030ELNS1_3gpuE2ELNS1_3repE0EEENS1_30default_config_static_selectorELNS0_4arch9wavefront6targetE1EEEvT1_
	.p2align	8
	.type	_ZN7rocprim17ROCPRIM_400000_NS6detail17trampoline_kernelINS0_14default_configENS1_20scan_config_selectorIfEEZZNS1_9scan_implILNS1_25lookback_scan_determinismE0ELb1ELb1ES3_N6thrust23THRUST_200600_302600_NS6detail15normal_iteratorINS9_10device_ptrIfEEEENSB_INSC_IiEEEEfNS9_4plusIvEEfEEDaPvRmT3_T4_T5_mT6_P12ihipStream_tbENKUlT_T0_E_clISt17integral_constantIbLb0EESW_EEDaSR_SS_EUlSR_E_NS1_11comp_targetILNS1_3genE8ELNS1_11target_archE1030ELNS1_3gpuE2ELNS1_3repE0EEENS1_30default_config_static_selectorELNS0_4arch9wavefront6targetE1EEEvT1_,@function
_ZN7rocprim17ROCPRIM_400000_NS6detail17trampoline_kernelINS0_14default_configENS1_20scan_config_selectorIfEEZZNS1_9scan_implILNS1_25lookback_scan_determinismE0ELb1ELb1ES3_N6thrust23THRUST_200600_302600_NS6detail15normal_iteratorINS9_10device_ptrIfEEEENSB_INSC_IiEEEEfNS9_4plusIvEEfEEDaPvRmT3_T4_T5_mT6_P12ihipStream_tbENKUlT_T0_E_clISt17integral_constantIbLb0EESW_EEDaSR_SS_EUlSR_E_NS1_11comp_targetILNS1_3genE8ELNS1_11target_archE1030ELNS1_3gpuE2ELNS1_3repE0EEENS1_30default_config_static_selectorELNS0_4arch9wavefront6targetE1EEEvT1_: ; @_ZN7rocprim17ROCPRIM_400000_NS6detail17trampoline_kernelINS0_14default_configENS1_20scan_config_selectorIfEEZZNS1_9scan_implILNS1_25lookback_scan_determinismE0ELb1ELb1ES3_N6thrust23THRUST_200600_302600_NS6detail15normal_iteratorINS9_10device_ptrIfEEEENSB_INSC_IiEEEEfNS9_4plusIvEEfEEDaPvRmT3_T4_T5_mT6_P12ihipStream_tbENKUlT_T0_E_clISt17integral_constantIbLb0EESW_EEDaSR_SS_EUlSR_E_NS1_11comp_targetILNS1_3genE8ELNS1_11target_archE1030ELNS1_3gpuE2ELNS1_3repE0EEENS1_30default_config_static_selectorELNS0_4arch9wavefront6targetE1EEEvT1_
; %bb.0:
	.section	.rodata,"a",@progbits
	.p2align	6, 0x0
	.amdhsa_kernel _ZN7rocprim17ROCPRIM_400000_NS6detail17trampoline_kernelINS0_14default_configENS1_20scan_config_selectorIfEEZZNS1_9scan_implILNS1_25lookback_scan_determinismE0ELb1ELb1ES3_N6thrust23THRUST_200600_302600_NS6detail15normal_iteratorINS9_10device_ptrIfEEEENSB_INSC_IiEEEEfNS9_4plusIvEEfEEDaPvRmT3_T4_T5_mT6_P12ihipStream_tbENKUlT_T0_E_clISt17integral_constantIbLb0EESW_EEDaSR_SS_EUlSR_E_NS1_11comp_targetILNS1_3genE8ELNS1_11target_archE1030ELNS1_3gpuE2ELNS1_3repE0EEENS1_30default_config_static_selectorELNS0_4arch9wavefront6targetE1EEEvT1_
		.amdhsa_group_segment_fixed_size 0
		.amdhsa_private_segment_fixed_size 0
		.amdhsa_kernarg_size 96
		.amdhsa_user_sgpr_count 6
		.amdhsa_user_sgpr_private_segment_buffer 1
		.amdhsa_user_sgpr_dispatch_ptr 0
		.amdhsa_user_sgpr_queue_ptr 0
		.amdhsa_user_sgpr_kernarg_segment_ptr 1
		.amdhsa_user_sgpr_dispatch_id 0
		.amdhsa_user_sgpr_flat_scratch_init 0
		.amdhsa_user_sgpr_kernarg_preload_length 0
		.amdhsa_user_sgpr_kernarg_preload_offset 0
		.amdhsa_user_sgpr_private_segment_size 0
		.amdhsa_uses_dynamic_stack 0
		.amdhsa_system_sgpr_private_segment_wavefront_offset 0
		.amdhsa_system_sgpr_workgroup_id_x 1
		.amdhsa_system_sgpr_workgroup_id_y 0
		.amdhsa_system_sgpr_workgroup_id_z 0
		.amdhsa_system_sgpr_workgroup_info 0
		.amdhsa_system_vgpr_workitem_id 0
		.amdhsa_next_free_vgpr 1
		.amdhsa_next_free_sgpr 0
		.amdhsa_accum_offset 4
		.amdhsa_reserve_vcc 0
		.amdhsa_reserve_flat_scratch 0
		.amdhsa_float_round_mode_32 0
		.amdhsa_float_round_mode_16_64 0
		.amdhsa_float_denorm_mode_32 3
		.amdhsa_float_denorm_mode_16_64 3
		.amdhsa_dx10_clamp 1
		.amdhsa_ieee_mode 1
		.amdhsa_fp16_overflow 0
		.amdhsa_tg_split 0
		.amdhsa_exception_fp_ieee_invalid_op 0
		.amdhsa_exception_fp_denorm_src 0
		.amdhsa_exception_fp_ieee_div_zero 0
		.amdhsa_exception_fp_ieee_overflow 0
		.amdhsa_exception_fp_ieee_underflow 0
		.amdhsa_exception_fp_ieee_inexact 0
		.amdhsa_exception_int_div_zero 0
	.end_amdhsa_kernel
	.section	.text._ZN7rocprim17ROCPRIM_400000_NS6detail17trampoline_kernelINS0_14default_configENS1_20scan_config_selectorIfEEZZNS1_9scan_implILNS1_25lookback_scan_determinismE0ELb1ELb1ES3_N6thrust23THRUST_200600_302600_NS6detail15normal_iteratorINS9_10device_ptrIfEEEENSB_INSC_IiEEEEfNS9_4plusIvEEfEEDaPvRmT3_T4_T5_mT6_P12ihipStream_tbENKUlT_T0_E_clISt17integral_constantIbLb0EESW_EEDaSR_SS_EUlSR_E_NS1_11comp_targetILNS1_3genE8ELNS1_11target_archE1030ELNS1_3gpuE2ELNS1_3repE0EEENS1_30default_config_static_selectorELNS0_4arch9wavefront6targetE1EEEvT1_,"axG",@progbits,_ZN7rocprim17ROCPRIM_400000_NS6detail17trampoline_kernelINS0_14default_configENS1_20scan_config_selectorIfEEZZNS1_9scan_implILNS1_25lookback_scan_determinismE0ELb1ELb1ES3_N6thrust23THRUST_200600_302600_NS6detail15normal_iteratorINS9_10device_ptrIfEEEENSB_INSC_IiEEEEfNS9_4plusIvEEfEEDaPvRmT3_T4_T5_mT6_P12ihipStream_tbENKUlT_T0_E_clISt17integral_constantIbLb0EESW_EEDaSR_SS_EUlSR_E_NS1_11comp_targetILNS1_3genE8ELNS1_11target_archE1030ELNS1_3gpuE2ELNS1_3repE0EEENS1_30default_config_static_selectorELNS0_4arch9wavefront6targetE1EEEvT1_,comdat
.Lfunc_end1577:
	.size	_ZN7rocprim17ROCPRIM_400000_NS6detail17trampoline_kernelINS0_14default_configENS1_20scan_config_selectorIfEEZZNS1_9scan_implILNS1_25lookback_scan_determinismE0ELb1ELb1ES3_N6thrust23THRUST_200600_302600_NS6detail15normal_iteratorINS9_10device_ptrIfEEEENSB_INSC_IiEEEEfNS9_4plusIvEEfEEDaPvRmT3_T4_T5_mT6_P12ihipStream_tbENKUlT_T0_E_clISt17integral_constantIbLb0EESW_EEDaSR_SS_EUlSR_E_NS1_11comp_targetILNS1_3genE8ELNS1_11target_archE1030ELNS1_3gpuE2ELNS1_3repE0EEENS1_30default_config_static_selectorELNS0_4arch9wavefront6targetE1EEEvT1_, .Lfunc_end1577-_ZN7rocprim17ROCPRIM_400000_NS6detail17trampoline_kernelINS0_14default_configENS1_20scan_config_selectorIfEEZZNS1_9scan_implILNS1_25lookback_scan_determinismE0ELb1ELb1ES3_N6thrust23THRUST_200600_302600_NS6detail15normal_iteratorINS9_10device_ptrIfEEEENSB_INSC_IiEEEEfNS9_4plusIvEEfEEDaPvRmT3_T4_T5_mT6_P12ihipStream_tbENKUlT_T0_E_clISt17integral_constantIbLb0EESW_EEDaSR_SS_EUlSR_E_NS1_11comp_targetILNS1_3genE8ELNS1_11target_archE1030ELNS1_3gpuE2ELNS1_3repE0EEENS1_30default_config_static_selectorELNS0_4arch9wavefront6targetE1EEEvT1_
                                        ; -- End function
	.section	.AMDGPU.csdata,"",@progbits
; Kernel info:
; codeLenInByte = 0
; NumSgprs: 4
; NumVgprs: 0
; NumAgprs: 0
; TotalNumVgprs: 0
; ScratchSize: 0
; MemoryBound: 0
; FloatMode: 240
; IeeeMode: 1
; LDSByteSize: 0 bytes/workgroup (compile time only)
; SGPRBlocks: 0
; VGPRBlocks: 0
; NumSGPRsForWavesPerEU: 4
; NumVGPRsForWavesPerEU: 1
; AccumOffset: 4
; Occupancy: 8
; WaveLimiterHint : 0
; COMPUTE_PGM_RSRC2:SCRATCH_EN: 0
; COMPUTE_PGM_RSRC2:USER_SGPR: 6
; COMPUTE_PGM_RSRC2:TRAP_HANDLER: 0
; COMPUTE_PGM_RSRC2:TGID_X_EN: 1
; COMPUTE_PGM_RSRC2:TGID_Y_EN: 0
; COMPUTE_PGM_RSRC2:TGID_Z_EN: 0
; COMPUTE_PGM_RSRC2:TIDIG_COMP_CNT: 0
; COMPUTE_PGM_RSRC3_GFX90A:ACCUM_OFFSET: 0
; COMPUTE_PGM_RSRC3_GFX90A:TG_SPLIT: 0
	.section	.text._ZN7rocprim17ROCPRIM_400000_NS6detail17trampoline_kernelINS0_14default_configENS1_20scan_config_selectorIfEEZZNS1_9scan_implILNS1_25lookback_scan_determinismE0ELb1ELb1ES3_N6thrust23THRUST_200600_302600_NS6detail15normal_iteratorINS9_10device_ptrIfEEEENSB_INSC_IiEEEEfNS9_4plusIvEEfEEDaPvRmT3_T4_T5_mT6_P12ihipStream_tbENKUlT_T0_E_clISt17integral_constantIbLb0EESW_EEDaSR_SS_EUlSR_E0_NS1_11comp_targetILNS1_3genE0ELNS1_11target_archE4294967295ELNS1_3gpuE0ELNS1_3repE0EEENS1_30default_config_static_selectorELNS0_4arch9wavefront6targetE1EEEvT1_,"axG",@progbits,_ZN7rocprim17ROCPRIM_400000_NS6detail17trampoline_kernelINS0_14default_configENS1_20scan_config_selectorIfEEZZNS1_9scan_implILNS1_25lookback_scan_determinismE0ELb1ELb1ES3_N6thrust23THRUST_200600_302600_NS6detail15normal_iteratorINS9_10device_ptrIfEEEENSB_INSC_IiEEEEfNS9_4plusIvEEfEEDaPvRmT3_T4_T5_mT6_P12ihipStream_tbENKUlT_T0_E_clISt17integral_constantIbLb0EESW_EEDaSR_SS_EUlSR_E0_NS1_11comp_targetILNS1_3genE0ELNS1_11target_archE4294967295ELNS1_3gpuE0ELNS1_3repE0EEENS1_30default_config_static_selectorELNS0_4arch9wavefront6targetE1EEEvT1_,comdat
	.protected	_ZN7rocprim17ROCPRIM_400000_NS6detail17trampoline_kernelINS0_14default_configENS1_20scan_config_selectorIfEEZZNS1_9scan_implILNS1_25lookback_scan_determinismE0ELb1ELb1ES3_N6thrust23THRUST_200600_302600_NS6detail15normal_iteratorINS9_10device_ptrIfEEEENSB_INSC_IiEEEEfNS9_4plusIvEEfEEDaPvRmT3_T4_T5_mT6_P12ihipStream_tbENKUlT_T0_E_clISt17integral_constantIbLb0EESW_EEDaSR_SS_EUlSR_E0_NS1_11comp_targetILNS1_3genE0ELNS1_11target_archE4294967295ELNS1_3gpuE0ELNS1_3repE0EEENS1_30default_config_static_selectorELNS0_4arch9wavefront6targetE1EEEvT1_ ; -- Begin function _ZN7rocprim17ROCPRIM_400000_NS6detail17trampoline_kernelINS0_14default_configENS1_20scan_config_selectorIfEEZZNS1_9scan_implILNS1_25lookback_scan_determinismE0ELb1ELb1ES3_N6thrust23THRUST_200600_302600_NS6detail15normal_iteratorINS9_10device_ptrIfEEEENSB_INSC_IiEEEEfNS9_4plusIvEEfEEDaPvRmT3_T4_T5_mT6_P12ihipStream_tbENKUlT_T0_E_clISt17integral_constantIbLb0EESW_EEDaSR_SS_EUlSR_E0_NS1_11comp_targetILNS1_3genE0ELNS1_11target_archE4294967295ELNS1_3gpuE0ELNS1_3repE0EEENS1_30default_config_static_selectorELNS0_4arch9wavefront6targetE1EEEvT1_
	.globl	_ZN7rocprim17ROCPRIM_400000_NS6detail17trampoline_kernelINS0_14default_configENS1_20scan_config_selectorIfEEZZNS1_9scan_implILNS1_25lookback_scan_determinismE0ELb1ELb1ES3_N6thrust23THRUST_200600_302600_NS6detail15normal_iteratorINS9_10device_ptrIfEEEENSB_INSC_IiEEEEfNS9_4plusIvEEfEEDaPvRmT3_T4_T5_mT6_P12ihipStream_tbENKUlT_T0_E_clISt17integral_constantIbLb0EESW_EEDaSR_SS_EUlSR_E0_NS1_11comp_targetILNS1_3genE0ELNS1_11target_archE4294967295ELNS1_3gpuE0ELNS1_3repE0EEENS1_30default_config_static_selectorELNS0_4arch9wavefront6targetE1EEEvT1_
	.p2align	8
	.type	_ZN7rocprim17ROCPRIM_400000_NS6detail17trampoline_kernelINS0_14default_configENS1_20scan_config_selectorIfEEZZNS1_9scan_implILNS1_25lookback_scan_determinismE0ELb1ELb1ES3_N6thrust23THRUST_200600_302600_NS6detail15normal_iteratorINS9_10device_ptrIfEEEENSB_INSC_IiEEEEfNS9_4plusIvEEfEEDaPvRmT3_T4_T5_mT6_P12ihipStream_tbENKUlT_T0_E_clISt17integral_constantIbLb0EESW_EEDaSR_SS_EUlSR_E0_NS1_11comp_targetILNS1_3genE0ELNS1_11target_archE4294967295ELNS1_3gpuE0ELNS1_3repE0EEENS1_30default_config_static_selectorELNS0_4arch9wavefront6targetE1EEEvT1_,@function
_ZN7rocprim17ROCPRIM_400000_NS6detail17trampoline_kernelINS0_14default_configENS1_20scan_config_selectorIfEEZZNS1_9scan_implILNS1_25lookback_scan_determinismE0ELb1ELb1ES3_N6thrust23THRUST_200600_302600_NS6detail15normal_iteratorINS9_10device_ptrIfEEEENSB_INSC_IiEEEEfNS9_4plusIvEEfEEDaPvRmT3_T4_T5_mT6_P12ihipStream_tbENKUlT_T0_E_clISt17integral_constantIbLb0EESW_EEDaSR_SS_EUlSR_E0_NS1_11comp_targetILNS1_3genE0ELNS1_11target_archE4294967295ELNS1_3gpuE0ELNS1_3repE0EEENS1_30default_config_static_selectorELNS0_4arch9wavefront6targetE1EEEvT1_: ; @_ZN7rocprim17ROCPRIM_400000_NS6detail17trampoline_kernelINS0_14default_configENS1_20scan_config_selectorIfEEZZNS1_9scan_implILNS1_25lookback_scan_determinismE0ELb1ELb1ES3_N6thrust23THRUST_200600_302600_NS6detail15normal_iteratorINS9_10device_ptrIfEEEENSB_INSC_IiEEEEfNS9_4plusIvEEfEEDaPvRmT3_T4_T5_mT6_P12ihipStream_tbENKUlT_T0_E_clISt17integral_constantIbLb0EESW_EEDaSR_SS_EUlSR_E0_NS1_11comp_targetILNS1_3genE0ELNS1_11target_archE4294967295ELNS1_3gpuE0ELNS1_3repE0EEENS1_30default_config_static_selectorELNS0_4arch9wavefront6targetE1EEEvT1_
; %bb.0:
	.section	.rodata,"a",@progbits
	.p2align	6, 0x0
	.amdhsa_kernel _ZN7rocprim17ROCPRIM_400000_NS6detail17trampoline_kernelINS0_14default_configENS1_20scan_config_selectorIfEEZZNS1_9scan_implILNS1_25lookback_scan_determinismE0ELb1ELb1ES3_N6thrust23THRUST_200600_302600_NS6detail15normal_iteratorINS9_10device_ptrIfEEEENSB_INSC_IiEEEEfNS9_4plusIvEEfEEDaPvRmT3_T4_T5_mT6_P12ihipStream_tbENKUlT_T0_E_clISt17integral_constantIbLb0EESW_EEDaSR_SS_EUlSR_E0_NS1_11comp_targetILNS1_3genE0ELNS1_11target_archE4294967295ELNS1_3gpuE0ELNS1_3repE0EEENS1_30default_config_static_selectorELNS0_4arch9wavefront6targetE1EEEvT1_
		.amdhsa_group_segment_fixed_size 0
		.amdhsa_private_segment_fixed_size 0
		.amdhsa_kernarg_size 32
		.amdhsa_user_sgpr_count 6
		.amdhsa_user_sgpr_private_segment_buffer 1
		.amdhsa_user_sgpr_dispatch_ptr 0
		.amdhsa_user_sgpr_queue_ptr 0
		.amdhsa_user_sgpr_kernarg_segment_ptr 1
		.amdhsa_user_sgpr_dispatch_id 0
		.amdhsa_user_sgpr_flat_scratch_init 0
		.amdhsa_user_sgpr_kernarg_preload_length 0
		.amdhsa_user_sgpr_kernarg_preload_offset 0
		.amdhsa_user_sgpr_private_segment_size 0
		.amdhsa_uses_dynamic_stack 0
		.amdhsa_system_sgpr_private_segment_wavefront_offset 0
		.amdhsa_system_sgpr_workgroup_id_x 1
		.amdhsa_system_sgpr_workgroup_id_y 0
		.amdhsa_system_sgpr_workgroup_id_z 0
		.amdhsa_system_sgpr_workgroup_info 0
		.amdhsa_system_vgpr_workitem_id 0
		.amdhsa_next_free_vgpr 1
		.amdhsa_next_free_sgpr 0
		.amdhsa_accum_offset 4
		.amdhsa_reserve_vcc 0
		.amdhsa_reserve_flat_scratch 0
		.amdhsa_float_round_mode_32 0
		.amdhsa_float_round_mode_16_64 0
		.amdhsa_float_denorm_mode_32 3
		.amdhsa_float_denorm_mode_16_64 3
		.amdhsa_dx10_clamp 1
		.amdhsa_ieee_mode 1
		.amdhsa_fp16_overflow 0
		.amdhsa_tg_split 0
		.amdhsa_exception_fp_ieee_invalid_op 0
		.amdhsa_exception_fp_denorm_src 0
		.amdhsa_exception_fp_ieee_div_zero 0
		.amdhsa_exception_fp_ieee_overflow 0
		.amdhsa_exception_fp_ieee_underflow 0
		.amdhsa_exception_fp_ieee_inexact 0
		.amdhsa_exception_int_div_zero 0
	.end_amdhsa_kernel
	.section	.text._ZN7rocprim17ROCPRIM_400000_NS6detail17trampoline_kernelINS0_14default_configENS1_20scan_config_selectorIfEEZZNS1_9scan_implILNS1_25lookback_scan_determinismE0ELb1ELb1ES3_N6thrust23THRUST_200600_302600_NS6detail15normal_iteratorINS9_10device_ptrIfEEEENSB_INSC_IiEEEEfNS9_4plusIvEEfEEDaPvRmT3_T4_T5_mT6_P12ihipStream_tbENKUlT_T0_E_clISt17integral_constantIbLb0EESW_EEDaSR_SS_EUlSR_E0_NS1_11comp_targetILNS1_3genE0ELNS1_11target_archE4294967295ELNS1_3gpuE0ELNS1_3repE0EEENS1_30default_config_static_selectorELNS0_4arch9wavefront6targetE1EEEvT1_,"axG",@progbits,_ZN7rocprim17ROCPRIM_400000_NS6detail17trampoline_kernelINS0_14default_configENS1_20scan_config_selectorIfEEZZNS1_9scan_implILNS1_25lookback_scan_determinismE0ELb1ELb1ES3_N6thrust23THRUST_200600_302600_NS6detail15normal_iteratorINS9_10device_ptrIfEEEENSB_INSC_IiEEEEfNS9_4plusIvEEfEEDaPvRmT3_T4_T5_mT6_P12ihipStream_tbENKUlT_T0_E_clISt17integral_constantIbLb0EESW_EEDaSR_SS_EUlSR_E0_NS1_11comp_targetILNS1_3genE0ELNS1_11target_archE4294967295ELNS1_3gpuE0ELNS1_3repE0EEENS1_30default_config_static_selectorELNS0_4arch9wavefront6targetE1EEEvT1_,comdat
.Lfunc_end1578:
	.size	_ZN7rocprim17ROCPRIM_400000_NS6detail17trampoline_kernelINS0_14default_configENS1_20scan_config_selectorIfEEZZNS1_9scan_implILNS1_25lookback_scan_determinismE0ELb1ELb1ES3_N6thrust23THRUST_200600_302600_NS6detail15normal_iteratorINS9_10device_ptrIfEEEENSB_INSC_IiEEEEfNS9_4plusIvEEfEEDaPvRmT3_T4_T5_mT6_P12ihipStream_tbENKUlT_T0_E_clISt17integral_constantIbLb0EESW_EEDaSR_SS_EUlSR_E0_NS1_11comp_targetILNS1_3genE0ELNS1_11target_archE4294967295ELNS1_3gpuE0ELNS1_3repE0EEENS1_30default_config_static_selectorELNS0_4arch9wavefront6targetE1EEEvT1_, .Lfunc_end1578-_ZN7rocprim17ROCPRIM_400000_NS6detail17trampoline_kernelINS0_14default_configENS1_20scan_config_selectorIfEEZZNS1_9scan_implILNS1_25lookback_scan_determinismE0ELb1ELb1ES3_N6thrust23THRUST_200600_302600_NS6detail15normal_iteratorINS9_10device_ptrIfEEEENSB_INSC_IiEEEEfNS9_4plusIvEEfEEDaPvRmT3_T4_T5_mT6_P12ihipStream_tbENKUlT_T0_E_clISt17integral_constantIbLb0EESW_EEDaSR_SS_EUlSR_E0_NS1_11comp_targetILNS1_3genE0ELNS1_11target_archE4294967295ELNS1_3gpuE0ELNS1_3repE0EEENS1_30default_config_static_selectorELNS0_4arch9wavefront6targetE1EEEvT1_
                                        ; -- End function
	.section	.AMDGPU.csdata,"",@progbits
; Kernel info:
; codeLenInByte = 0
; NumSgprs: 4
; NumVgprs: 0
; NumAgprs: 0
; TotalNumVgprs: 0
; ScratchSize: 0
; MemoryBound: 0
; FloatMode: 240
; IeeeMode: 1
; LDSByteSize: 0 bytes/workgroup (compile time only)
; SGPRBlocks: 0
; VGPRBlocks: 0
; NumSGPRsForWavesPerEU: 4
; NumVGPRsForWavesPerEU: 1
; AccumOffset: 4
; Occupancy: 8
; WaveLimiterHint : 0
; COMPUTE_PGM_RSRC2:SCRATCH_EN: 0
; COMPUTE_PGM_RSRC2:USER_SGPR: 6
; COMPUTE_PGM_RSRC2:TRAP_HANDLER: 0
; COMPUTE_PGM_RSRC2:TGID_X_EN: 1
; COMPUTE_PGM_RSRC2:TGID_Y_EN: 0
; COMPUTE_PGM_RSRC2:TGID_Z_EN: 0
; COMPUTE_PGM_RSRC2:TIDIG_COMP_CNT: 0
; COMPUTE_PGM_RSRC3_GFX90A:ACCUM_OFFSET: 0
; COMPUTE_PGM_RSRC3_GFX90A:TG_SPLIT: 0
	.section	.text._ZN7rocprim17ROCPRIM_400000_NS6detail17trampoline_kernelINS0_14default_configENS1_20scan_config_selectorIfEEZZNS1_9scan_implILNS1_25lookback_scan_determinismE0ELb1ELb1ES3_N6thrust23THRUST_200600_302600_NS6detail15normal_iteratorINS9_10device_ptrIfEEEENSB_INSC_IiEEEEfNS9_4plusIvEEfEEDaPvRmT3_T4_T5_mT6_P12ihipStream_tbENKUlT_T0_E_clISt17integral_constantIbLb0EESW_EEDaSR_SS_EUlSR_E0_NS1_11comp_targetILNS1_3genE5ELNS1_11target_archE942ELNS1_3gpuE9ELNS1_3repE0EEENS1_30default_config_static_selectorELNS0_4arch9wavefront6targetE1EEEvT1_,"axG",@progbits,_ZN7rocprim17ROCPRIM_400000_NS6detail17trampoline_kernelINS0_14default_configENS1_20scan_config_selectorIfEEZZNS1_9scan_implILNS1_25lookback_scan_determinismE0ELb1ELb1ES3_N6thrust23THRUST_200600_302600_NS6detail15normal_iteratorINS9_10device_ptrIfEEEENSB_INSC_IiEEEEfNS9_4plusIvEEfEEDaPvRmT3_T4_T5_mT6_P12ihipStream_tbENKUlT_T0_E_clISt17integral_constantIbLb0EESW_EEDaSR_SS_EUlSR_E0_NS1_11comp_targetILNS1_3genE5ELNS1_11target_archE942ELNS1_3gpuE9ELNS1_3repE0EEENS1_30default_config_static_selectorELNS0_4arch9wavefront6targetE1EEEvT1_,comdat
	.protected	_ZN7rocprim17ROCPRIM_400000_NS6detail17trampoline_kernelINS0_14default_configENS1_20scan_config_selectorIfEEZZNS1_9scan_implILNS1_25lookback_scan_determinismE0ELb1ELb1ES3_N6thrust23THRUST_200600_302600_NS6detail15normal_iteratorINS9_10device_ptrIfEEEENSB_INSC_IiEEEEfNS9_4plusIvEEfEEDaPvRmT3_T4_T5_mT6_P12ihipStream_tbENKUlT_T0_E_clISt17integral_constantIbLb0EESW_EEDaSR_SS_EUlSR_E0_NS1_11comp_targetILNS1_3genE5ELNS1_11target_archE942ELNS1_3gpuE9ELNS1_3repE0EEENS1_30default_config_static_selectorELNS0_4arch9wavefront6targetE1EEEvT1_ ; -- Begin function _ZN7rocprim17ROCPRIM_400000_NS6detail17trampoline_kernelINS0_14default_configENS1_20scan_config_selectorIfEEZZNS1_9scan_implILNS1_25lookback_scan_determinismE0ELb1ELb1ES3_N6thrust23THRUST_200600_302600_NS6detail15normal_iteratorINS9_10device_ptrIfEEEENSB_INSC_IiEEEEfNS9_4plusIvEEfEEDaPvRmT3_T4_T5_mT6_P12ihipStream_tbENKUlT_T0_E_clISt17integral_constantIbLb0EESW_EEDaSR_SS_EUlSR_E0_NS1_11comp_targetILNS1_3genE5ELNS1_11target_archE942ELNS1_3gpuE9ELNS1_3repE0EEENS1_30default_config_static_selectorELNS0_4arch9wavefront6targetE1EEEvT1_
	.globl	_ZN7rocprim17ROCPRIM_400000_NS6detail17trampoline_kernelINS0_14default_configENS1_20scan_config_selectorIfEEZZNS1_9scan_implILNS1_25lookback_scan_determinismE0ELb1ELb1ES3_N6thrust23THRUST_200600_302600_NS6detail15normal_iteratorINS9_10device_ptrIfEEEENSB_INSC_IiEEEEfNS9_4plusIvEEfEEDaPvRmT3_T4_T5_mT6_P12ihipStream_tbENKUlT_T0_E_clISt17integral_constantIbLb0EESW_EEDaSR_SS_EUlSR_E0_NS1_11comp_targetILNS1_3genE5ELNS1_11target_archE942ELNS1_3gpuE9ELNS1_3repE0EEENS1_30default_config_static_selectorELNS0_4arch9wavefront6targetE1EEEvT1_
	.p2align	8
	.type	_ZN7rocprim17ROCPRIM_400000_NS6detail17trampoline_kernelINS0_14default_configENS1_20scan_config_selectorIfEEZZNS1_9scan_implILNS1_25lookback_scan_determinismE0ELb1ELb1ES3_N6thrust23THRUST_200600_302600_NS6detail15normal_iteratorINS9_10device_ptrIfEEEENSB_INSC_IiEEEEfNS9_4plusIvEEfEEDaPvRmT3_T4_T5_mT6_P12ihipStream_tbENKUlT_T0_E_clISt17integral_constantIbLb0EESW_EEDaSR_SS_EUlSR_E0_NS1_11comp_targetILNS1_3genE5ELNS1_11target_archE942ELNS1_3gpuE9ELNS1_3repE0EEENS1_30default_config_static_selectorELNS0_4arch9wavefront6targetE1EEEvT1_,@function
_ZN7rocprim17ROCPRIM_400000_NS6detail17trampoline_kernelINS0_14default_configENS1_20scan_config_selectorIfEEZZNS1_9scan_implILNS1_25lookback_scan_determinismE0ELb1ELb1ES3_N6thrust23THRUST_200600_302600_NS6detail15normal_iteratorINS9_10device_ptrIfEEEENSB_INSC_IiEEEEfNS9_4plusIvEEfEEDaPvRmT3_T4_T5_mT6_P12ihipStream_tbENKUlT_T0_E_clISt17integral_constantIbLb0EESW_EEDaSR_SS_EUlSR_E0_NS1_11comp_targetILNS1_3genE5ELNS1_11target_archE942ELNS1_3gpuE9ELNS1_3repE0EEENS1_30default_config_static_selectorELNS0_4arch9wavefront6targetE1EEEvT1_: ; @_ZN7rocprim17ROCPRIM_400000_NS6detail17trampoline_kernelINS0_14default_configENS1_20scan_config_selectorIfEEZZNS1_9scan_implILNS1_25lookback_scan_determinismE0ELb1ELb1ES3_N6thrust23THRUST_200600_302600_NS6detail15normal_iteratorINS9_10device_ptrIfEEEENSB_INSC_IiEEEEfNS9_4plusIvEEfEEDaPvRmT3_T4_T5_mT6_P12ihipStream_tbENKUlT_T0_E_clISt17integral_constantIbLb0EESW_EEDaSR_SS_EUlSR_E0_NS1_11comp_targetILNS1_3genE5ELNS1_11target_archE942ELNS1_3gpuE9ELNS1_3repE0EEENS1_30default_config_static_selectorELNS0_4arch9wavefront6targetE1EEEvT1_
; %bb.0:
	.section	.rodata,"a",@progbits
	.p2align	6, 0x0
	.amdhsa_kernel _ZN7rocprim17ROCPRIM_400000_NS6detail17trampoline_kernelINS0_14default_configENS1_20scan_config_selectorIfEEZZNS1_9scan_implILNS1_25lookback_scan_determinismE0ELb1ELb1ES3_N6thrust23THRUST_200600_302600_NS6detail15normal_iteratorINS9_10device_ptrIfEEEENSB_INSC_IiEEEEfNS9_4plusIvEEfEEDaPvRmT3_T4_T5_mT6_P12ihipStream_tbENKUlT_T0_E_clISt17integral_constantIbLb0EESW_EEDaSR_SS_EUlSR_E0_NS1_11comp_targetILNS1_3genE5ELNS1_11target_archE942ELNS1_3gpuE9ELNS1_3repE0EEENS1_30default_config_static_selectorELNS0_4arch9wavefront6targetE1EEEvT1_
		.amdhsa_group_segment_fixed_size 0
		.amdhsa_private_segment_fixed_size 0
		.amdhsa_kernarg_size 32
		.amdhsa_user_sgpr_count 6
		.amdhsa_user_sgpr_private_segment_buffer 1
		.amdhsa_user_sgpr_dispatch_ptr 0
		.amdhsa_user_sgpr_queue_ptr 0
		.amdhsa_user_sgpr_kernarg_segment_ptr 1
		.amdhsa_user_sgpr_dispatch_id 0
		.amdhsa_user_sgpr_flat_scratch_init 0
		.amdhsa_user_sgpr_kernarg_preload_length 0
		.amdhsa_user_sgpr_kernarg_preload_offset 0
		.amdhsa_user_sgpr_private_segment_size 0
		.amdhsa_uses_dynamic_stack 0
		.amdhsa_system_sgpr_private_segment_wavefront_offset 0
		.amdhsa_system_sgpr_workgroup_id_x 1
		.amdhsa_system_sgpr_workgroup_id_y 0
		.amdhsa_system_sgpr_workgroup_id_z 0
		.amdhsa_system_sgpr_workgroup_info 0
		.amdhsa_system_vgpr_workitem_id 0
		.amdhsa_next_free_vgpr 1
		.amdhsa_next_free_sgpr 0
		.amdhsa_accum_offset 4
		.amdhsa_reserve_vcc 0
		.amdhsa_reserve_flat_scratch 0
		.amdhsa_float_round_mode_32 0
		.amdhsa_float_round_mode_16_64 0
		.amdhsa_float_denorm_mode_32 3
		.amdhsa_float_denorm_mode_16_64 3
		.amdhsa_dx10_clamp 1
		.amdhsa_ieee_mode 1
		.amdhsa_fp16_overflow 0
		.amdhsa_tg_split 0
		.amdhsa_exception_fp_ieee_invalid_op 0
		.amdhsa_exception_fp_denorm_src 0
		.amdhsa_exception_fp_ieee_div_zero 0
		.amdhsa_exception_fp_ieee_overflow 0
		.amdhsa_exception_fp_ieee_underflow 0
		.amdhsa_exception_fp_ieee_inexact 0
		.amdhsa_exception_int_div_zero 0
	.end_amdhsa_kernel
	.section	.text._ZN7rocprim17ROCPRIM_400000_NS6detail17trampoline_kernelINS0_14default_configENS1_20scan_config_selectorIfEEZZNS1_9scan_implILNS1_25lookback_scan_determinismE0ELb1ELb1ES3_N6thrust23THRUST_200600_302600_NS6detail15normal_iteratorINS9_10device_ptrIfEEEENSB_INSC_IiEEEEfNS9_4plusIvEEfEEDaPvRmT3_T4_T5_mT6_P12ihipStream_tbENKUlT_T0_E_clISt17integral_constantIbLb0EESW_EEDaSR_SS_EUlSR_E0_NS1_11comp_targetILNS1_3genE5ELNS1_11target_archE942ELNS1_3gpuE9ELNS1_3repE0EEENS1_30default_config_static_selectorELNS0_4arch9wavefront6targetE1EEEvT1_,"axG",@progbits,_ZN7rocprim17ROCPRIM_400000_NS6detail17trampoline_kernelINS0_14default_configENS1_20scan_config_selectorIfEEZZNS1_9scan_implILNS1_25lookback_scan_determinismE0ELb1ELb1ES3_N6thrust23THRUST_200600_302600_NS6detail15normal_iteratorINS9_10device_ptrIfEEEENSB_INSC_IiEEEEfNS9_4plusIvEEfEEDaPvRmT3_T4_T5_mT6_P12ihipStream_tbENKUlT_T0_E_clISt17integral_constantIbLb0EESW_EEDaSR_SS_EUlSR_E0_NS1_11comp_targetILNS1_3genE5ELNS1_11target_archE942ELNS1_3gpuE9ELNS1_3repE0EEENS1_30default_config_static_selectorELNS0_4arch9wavefront6targetE1EEEvT1_,comdat
.Lfunc_end1579:
	.size	_ZN7rocprim17ROCPRIM_400000_NS6detail17trampoline_kernelINS0_14default_configENS1_20scan_config_selectorIfEEZZNS1_9scan_implILNS1_25lookback_scan_determinismE0ELb1ELb1ES3_N6thrust23THRUST_200600_302600_NS6detail15normal_iteratorINS9_10device_ptrIfEEEENSB_INSC_IiEEEEfNS9_4plusIvEEfEEDaPvRmT3_T4_T5_mT6_P12ihipStream_tbENKUlT_T0_E_clISt17integral_constantIbLb0EESW_EEDaSR_SS_EUlSR_E0_NS1_11comp_targetILNS1_3genE5ELNS1_11target_archE942ELNS1_3gpuE9ELNS1_3repE0EEENS1_30default_config_static_selectorELNS0_4arch9wavefront6targetE1EEEvT1_, .Lfunc_end1579-_ZN7rocprim17ROCPRIM_400000_NS6detail17trampoline_kernelINS0_14default_configENS1_20scan_config_selectorIfEEZZNS1_9scan_implILNS1_25lookback_scan_determinismE0ELb1ELb1ES3_N6thrust23THRUST_200600_302600_NS6detail15normal_iteratorINS9_10device_ptrIfEEEENSB_INSC_IiEEEEfNS9_4plusIvEEfEEDaPvRmT3_T4_T5_mT6_P12ihipStream_tbENKUlT_T0_E_clISt17integral_constantIbLb0EESW_EEDaSR_SS_EUlSR_E0_NS1_11comp_targetILNS1_3genE5ELNS1_11target_archE942ELNS1_3gpuE9ELNS1_3repE0EEENS1_30default_config_static_selectorELNS0_4arch9wavefront6targetE1EEEvT1_
                                        ; -- End function
	.section	.AMDGPU.csdata,"",@progbits
; Kernel info:
; codeLenInByte = 0
; NumSgprs: 4
; NumVgprs: 0
; NumAgprs: 0
; TotalNumVgprs: 0
; ScratchSize: 0
; MemoryBound: 0
; FloatMode: 240
; IeeeMode: 1
; LDSByteSize: 0 bytes/workgroup (compile time only)
; SGPRBlocks: 0
; VGPRBlocks: 0
; NumSGPRsForWavesPerEU: 4
; NumVGPRsForWavesPerEU: 1
; AccumOffset: 4
; Occupancy: 8
; WaveLimiterHint : 0
; COMPUTE_PGM_RSRC2:SCRATCH_EN: 0
; COMPUTE_PGM_RSRC2:USER_SGPR: 6
; COMPUTE_PGM_RSRC2:TRAP_HANDLER: 0
; COMPUTE_PGM_RSRC2:TGID_X_EN: 1
; COMPUTE_PGM_RSRC2:TGID_Y_EN: 0
; COMPUTE_PGM_RSRC2:TGID_Z_EN: 0
; COMPUTE_PGM_RSRC2:TIDIG_COMP_CNT: 0
; COMPUTE_PGM_RSRC3_GFX90A:ACCUM_OFFSET: 0
; COMPUTE_PGM_RSRC3_GFX90A:TG_SPLIT: 0
	.section	.text._ZN7rocprim17ROCPRIM_400000_NS6detail17trampoline_kernelINS0_14default_configENS1_20scan_config_selectorIfEEZZNS1_9scan_implILNS1_25lookback_scan_determinismE0ELb1ELb1ES3_N6thrust23THRUST_200600_302600_NS6detail15normal_iteratorINS9_10device_ptrIfEEEENSB_INSC_IiEEEEfNS9_4plusIvEEfEEDaPvRmT3_T4_T5_mT6_P12ihipStream_tbENKUlT_T0_E_clISt17integral_constantIbLb0EESW_EEDaSR_SS_EUlSR_E0_NS1_11comp_targetILNS1_3genE4ELNS1_11target_archE910ELNS1_3gpuE8ELNS1_3repE0EEENS1_30default_config_static_selectorELNS0_4arch9wavefront6targetE1EEEvT1_,"axG",@progbits,_ZN7rocprim17ROCPRIM_400000_NS6detail17trampoline_kernelINS0_14default_configENS1_20scan_config_selectorIfEEZZNS1_9scan_implILNS1_25lookback_scan_determinismE0ELb1ELb1ES3_N6thrust23THRUST_200600_302600_NS6detail15normal_iteratorINS9_10device_ptrIfEEEENSB_INSC_IiEEEEfNS9_4plusIvEEfEEDaPvRmT3_T4_T5_mT6_P12ihipStream_tbENKUlT_T0_E_clISt17integral_constantIbLb0EESW_EEDaSR_SS_EUlSR_E0_NS1_11comp_targetILNS1_3genE4ELNS1_11target_archE910ELNS1_3gpuE8ELNS1_3repE0EEENS1_30default_config_static_selectorELNS0_4arch9wavefront6targetE1EEEvT1_,comdat
	.protected	_ZN7rocprim17ROCPRIM_400000_NS6detail17trampoline_kernelINS0_14default_configENS1_20scan_config_selectorIfEEZZNS1_9scan_implILNS1_25lookback_scan_determinismE0ELb1ELb1ES3_N6thrust23THRUST_200600_302600_NS6detail15normal_iteratorINS9_10device_ptrIfEEEENSB_INSC_IiEEEEfNS9_4plusIvEEfEEDaPvRmT3_T4_T5_mT6_P12ihipStream_tbENKUlT_T0_E_clISt17integral_constantIbLb0EESW_EEDaSR_SS_EUlSR_E0_NS1_11comp_targetILNS1_3genE4ELNS1_11target_archE910ELNS1_3gpuE8ELNS1_3repE0EEENS1_30default_config_static_selectorELNS0_4arch9wavefront6targetE1EEEvT1_ ; -- Begin function _ZN7rocprim17ROCPRIM_400000_NS6detail17trampoline_kernelINS0_14default_configENS1_20scan_config_selectorIfEEZZNS1_9scan_implILNS1_25lookback_scan_determinismE0ELb1ELb1ES3_N6thrust23THRUST_200600_302600_NS6detail15normal_iteratorINS9_10device_ptrIfEEEENSB_INSC_IiEEEEfNS9_4plusIvEEfEEDaPvRmT3_T4_T5_mT6_P12ihipStream_tbENKUlT_T0_E_clISt17integral_constantIbLb0EESW_EEDaSR_SS_EUlSR_E0_NS1_11comp_targetILNS1_3genE4ELNS1_11target_archE910ELNS1_3gpuE8ELNS1_3repE0EEENS1_30default_config_static_selectorELNS0_4arch9wavefront6targetE1EEEvT1_
	.globl	_ZN7rocprim17ROCPRIM_400000_NS6detail17trampoline_kernelINS0_14default_configENS1_20scan_config_selectorIfEEZZNS1_9scan_implILNS1_25lookback_scan_determinismE0ELb1ELb1ES3_N6thrust23THRUST_200600_302600_NS6detail15normal_iteratorINS9_10device_ptrIfEEEENSB_INSC_IiEEEEfNS9_4plusIvEEfEEDaPvRmT3_T4_T5_mT6_P12ihipStream_tbENKUlT_T0_E_clISt17integral_constantIbLb0EESW_EEDaSR_SS_EUlSR_E0_NS1_11comp_targetILNS1_3genE4ELNS1_11target_archE910ELNS1_3gpuE8ELNS1_3repE0EEENS1_30default_config_static_selectorELNS0_4arch9wavefront6targetE1EEEvT1_
	.p2align	8
	.type	_ZN7rocprim17ROCPRIM_400000_NS6detail17trampoline_kernelINS0_14default_configENS1_20scan_config_selectorIfEEZZNS1_9scan_implILNS1_25lookback_scan_determinismE0ELb1ELb1ES3_N6thrust23THRUST_200600_302600_NS6detail15normal_iteratorINS9_10device_ptrIfEEEENSB_INSC_IiEEEEfNS9_4plusIvEEfEEDaPvRmT3_T4_T5_mT6_P12ihipStream_tbENKUlT_T0_E_clISt17integral_constantIbLb0EESW_EEDaSR_SS_EUlSR_E0_NS1_11comp_targetILNS1_3genE4ELNS1_11target_archE910ELNS1_3gpuE8ELNS1_3repE0EEENS1_30default_config_static_selectorELNS0_4arch9wavefront6targetE1EEEvT1_,@function
_ZN7rocprim17ROCPRIM_400000_NS6detail17trampoline_kernelINS0_14default_configENS1_20scan_config_selectorIfEEZZNS1_9scan_implILNS1_25lookback_scan_determinismE0ELb1ELb1ES3_N6thrust23THRUST_200600_302600_NS6detail15normal_iteratorINS9_10device_ptrIfEEEENSB_INSC_IiEEEEfNS9_4plusIvEEfEEDaPvRmT3_T4_T5_mT6_P12ihipStream_tbENKUlT_T0_E_clISt17integral_constantIbLb0EESW_EEDaSR_SS_EUlSR_E0_NS1_11comp_targetILNS1_3genE4ELNS1_11target_archE910ELNS1_3gpuE8ELNS1_3repE0EEENS1_30default_config_static_selectorELNS0_4arch9wavefront6targetE1EEEvT1_: ; @_ZN7rocprim17ROCPRIM_400000_NS6detail17trampoline_kernelINS0_14default_configENS1_20scan_config_selectorIfEEZZNS1_9scan_implILNS1_25lookback_scan_determinismE0ELb1ELb1ES3_N6thrust23THRUST_200600_302600_NS6detail15normal_iteratorINS9_10device_ptrIfEEEENSB_INSC_IiEEEEfNS9_4plusIvEEfEEDaPvRmT3_T4_T5_mT6_P12ihipStream_tbENKUlT_T0_E_clISt17integral_constantIbLb0EESW_EEDaSR_SS_EUlSR_E0_NS1_11comp_targetILNS1_3genE4ELNS1_11target_archE910ELNS1_3gpuE8ELNS1_3repE0EEENS1_30default_config_static_selectorELNS0_4arch9wavefront6targetE1EEEvT1_
; %bb.0:
	s_load_dwordx4 s[28:31], s[4:5], 0x0
	v_lshlrev_b32_e32 v18, 2, v0
	s_waitcnt lgkmcnt(0)
	s_load_dword s31, s[28:29], 0x0
	v_cmp_gt_u32_e32 vcc, s30, v0
	s_waitcnt lgkmcnt(0)
	v_mov_b32_e32 v1, s31
	s_and_saveexec_b64 s[0:1], vcc
	s_cbranch_execz .LBB1580_2
; %bb.1:
	global_load_dword v1, v18, s[28:29]
.LBB1580_2:
	s_or_b64 exec, exec, s[0:1]
	v_or_b32_e32 v2, 0x80, v0
	v_cmp_gt_u32_e64 s[0:1], s30, v2
	v_mov_b32_e32 v2, s31
	s_and_saveexec_b64 s[2:3], s[0:1]
	s_cbranch_execz .LBB1580_4
; %bb.3:
	global_load_dword v2, v18, s[28:29] offset:512
.LBB1580_4:
	s_or_b64 exec, exec, s[2:3]
	v_or_b32_e32 v3, 0x100, v0
	v_cmp_gt_u32_e64 s[2:3], s30, v3
	v_mov_b32_e32 v3, s31
	s_and_saveexec_b64 s[6:7], s[2:3]
	s_cbranch_execz .LBB1580_6
; %bb.5:
	global_load_dword v3, v18, s[28:29] offset:1024
.LBB1580_6:
	;; [unrolled: 9-line block ×7, first 2 shown]
	s_or_b64 exec, exec, s[14:15]
	v_or_b32_e32 v10, 0x400, v0
	v_cmp_gt_u32_e64 s[14:15], s30, v10
	v_mov_b32_e32 v9, s31
	s_and_saveexec_b64 s[16:17], s[14:15]
	s_cbranch_execz .LBB1580_18
; %bb.17:
	v_lshlrev_b32_e32 v9, 2, v10
	global_load_dword v9, v9, s[28:29]
.LBB1580_18:
	s_or_b64 exec, exec, s[16:17]
	v_or_b32_e32 v11, 0x480, v0
	v_cmp_gt_u32_e64 s[16:17], s30, v11
	v_mov_b32_e32 v10, s31
	s_and_saveexec_b64 s[18:19], s[16:17]
	s_cbranch_execz .LBB1580_20
; %bb.19:
	v_lshlrev_b32_e32 v10, 2, v11
	global_load_dword v10, v10, s[28:29]
.LBB1580_20:
	;; [unrolled: 10-line block ×5, first 2 shown]
	s_or_b64 exec, exec, s[24:25]
	s_load_dword s33, s[4:5], 0x10
	v_or_b32_e32 v15, 0x680, v0
	v_cmp_gt_u32_e64 s[24:25], s30, v15
	v_mov_b32_e32 v14, s31
	s_and_saveexec_b64 s[30:31], s[24:25]
	s_cbranch_execz .LBB1580_28
; %bb.27:
	v_lshlrev_b32_e32 v14, 2, v15
	global_load_dword v14, v14, s[28:29]
.LBB1580_28:
	s_or_b64 exec, exec, s[30:31]
	s_waitcnt vmcnt(0)
	ds_write2st64_b32 v18, v1, v2 offset1:2
	ds_write2st64_b32 v18, v3, v4 offset0:4 offset1:6
	ds_write2st64_b32 v18, v5, v6 offset0:8 offset1:10
	;; [unrolled: 1-line block ×6, first 2 shown]
	v_mad_u32_u24 v1, v0, 52, v18
	s_waitcnt lgkmcnt(0)
	s_barrier
	ds_read2_b64 v[10:13], v1 offset1:1
	ds_read2_b64 v[6:9], v1 offset0:2 offset1:3
	ds_read2_b64 v[2:5], v1 offset0:4 offset1:5
	ds_read_b64 v[14:15], v1 offset:48
	s_load_dwordx2 s[34:35], s[4:5], 0x18
	s_waitcnt lgkmcnt(0)
	v_add_f32_e32 v16, v10, v11
	v_add_f32_e32 v16, v16, v12
	;; [unrolled: 1-line block ×13, first 2 shown]
	v_lshrrev_b32_e32 v16, 3, v0
	v_and_b32_e32 v16, 12, v16
	v_add_u32_e32 v16, v18, v16
	v_cmp_gt_u32_e64 s[4:5], 64, v0
	s_barrier
	ds_write_b32 v16, v15
	s_waitcnt lgkmcnt(0)
	s_barrier
	s_and_saveexec_b64 s[36:37], s[4:5]
	s_cbranch_execz .LBB1580_30
; %bb.29:
	v_lshlrev_b32_e32 v16, 1, v0
	v_lshrrev_b32_e32 v17, 4, v0
	v_add_lshl_u32 v19, v17, v16, 2
	ds_read2_b32 v[16:17], v19 offset1:1
	v_mbcnt_lo_u32_b32 v20, -1, 0
	v_mbcnt_hi_u32_b32 v20, -1, v20
	v_and_b32_e32 v21, 15, v20
	v_cmp_eq_u32_e64 s[4:5], 0, v21
	s_waitcnt lgkmcnt(0)
	v_add_f32_e32 v17, v16, v17
	v_cmp_lt_u32_e64 s[28:29], 3, v21
	v_cmp_lt_u32_e64 s[30:31], 31, v20
	v_mov_b32_dpp v22, v17 row_shr:1 row_mask:0xf bank_mask:0xf
	v_add_f32_e32 v22, v17, v22
	v_cndmask_b32_e64 v17, v22, v17, s[4:5]
	v_cmp_lt_u32_e64 s[4:5], 1, v21
	s_nop 0
	v_mov_b32_dpp v22, v17 row_shr:2 row_mask:0xf bank_mask:0xf
	v_add_f32_e32 v22, v17, v22
	v_cndmask_b32_e64 v22, v17, v22, s[4:5]
	; wave barrier
	s_nop 1
	v_mov_b32_dpp v23, v22 row_shr:4 row_mask:0xf bank_mask:0xf
	v_add_f32_e32 v23, v22, v23
	v_cndmask_b32_e64 v22, v22, v23, s[28:29]
	v_cmp_lt_u32_e64 s[28:29], 7, v21
	s_nop 0
	v_mov_b32_dpp v23, v22 row_shr:8 row_mask:0xf bank_mask:0xf
	v_add_f32_e32 v23, v22, v23
	v_cndmask_b32_e64 v21, v22, v23, s[28:29]
	v_and_b32_e32 v23, 16, v20
	v_cmp_eq_u32_e64 s[28:29], 0, v23
	v_mov_b32_dpp v22, v21 row_bcast:15 row_mask:0xf bank_mask:0xf
	v_add_f32_e32 v22, v21, v22
	v_cndmask_b32_e64 v21, v22, v21, s[28:29]
	v_cmp_lt_u32_e64 s[28:29], 15, v20
	s_or_b64 s[4:5], s[28:29], s[4:5]
	v_mov_b32_dpp v22, v21 row_bcast:31 row_mask:0xf bank_mask:0xf
	v_add_f32_e32 v22, v21, v22
	v_cndmask_b32_e64 v21, v21, v22, s[30:31]
	v_cndmask_b32_e64 v17, v17, v21, s[4:5]
	v_add_u32_e32 v21, -1, v20
	v_and_b32_e32 v22, 64, v20
	v_cmp_lt_i32_e64 s[4:5], v21, v22
	v_cndmask_b32_e64 v20, v21, v20, s[4:5]
	v_lshlrev_b32_e32 v20, 2, v20
	ds_bpermute_b32 v17, v20, v17
	v_cmp_eq_u32_e64 s[4:5], 0, v0
	s_waitcnt lgkmcnt(0)
	v_add_f32_e32 v16, v16, v17
	v_cndmask_b32_e64 v15, v16, v15, s[4:5]
	ds_write_b32 v19, v15
	; wave barrier
	ds_read_b32 v16, v19 offset:4
	s_waitcnt lgkmcnt(0)
	v_add_f32_e32 v15, v15, v16
	ds_write_b32 v19, v15 offset:4
.LBB1580_30:
	s_or_b64 exec, exec, s[36:37]
	v_cmp_ne_u32_e64 s[4:5], 0, v0
	v_mov_b32_e32 v16, s33
	s_waitcnt lgkmcnt(0)
	s_barrier
	s_and_saveexec_b64 s[28:29], s[4:5]
	s_cbranch_execz .LBB1580_32
; %bb.31:
	v_add_u32_e32 v15, -1, v0
	v_lshrrev_b32_e32 v16, 5, v15
	v_add_lshl_u32 v15, v16, v15, 2
	ds_read_b32 v15, v15
	s_waitcnt lgkmcnt(0)
	v_add_f32_e32 v16, s33, v15
.LBB1580_32:
	s_or_b64 exec, exec, s[28:29]
	v_add_f32_e32 v17, v10, v16
	v_add_f32_e32 v10, v11, v17
	;; [unrolled: 1-line block ×12, first 2 shown]
	s_movk_i32 s4, 0xffcc
	v_add_f32_e32 v5, v14, v4
	v_mad_i32_i24 v0, v0, s4, v1
	s_barrier
	ds_write2_b64 v1, v[16:17], v[10:11] offset1:1
	ds_write2_b64 v1, v[12:13], v[6:7] offset0:2 offset1:3
	ds_write2_b64 v1, v[8:9], v[2:3] offset0:4 offset1:5
	ds_write_b64 v1, v[4:5] offset:48
	s_waitcnt lgkmcnt(0)
	s_barrier
	ds_read2st64_b32 v[12:13], v0 offset0:2 offset1:4
	ds_read2st64_b32 v[10:11], v0 offset0:6 offset1:8
	;; [unrolled: 1-line block ×4, first 2 shown]
	ds_read_b32 v14, v18 offset:4096
	ds_read2st64_b32 v[4:5], v0 offset0:20 offset1:22
	ds_read2st64_b32 v[2:3], v0 offset0:24 offset1:26
	v_mov_b32_e32 v1, s35
	v_add_co_u32_e64 v0, s[4:5], s34, v18
	v_addc_co_u32_e64 v1, s[4:5], 0, v1, s[4:5]
	s_and_saveexec_b64 s[4:5], vcc
	s_cbranch_execnz .LBB1580_47
; %bb.33:
	s_or_b64 exec, exec, s[4:5]
	s_and_saveexec_b64 s[4:5], s[0:1]
	s_cbranch_execnz .LBB1580_48
.LBB1580_34:
	s_or_b64 exec, exec, s[4:5]
	s_and_saveexec_b64 s[0:1], s[2:3]
	s_cbranch_execnz .LBB1580_49
.LBB1580_35:
	s_or_b64 exec, exec, s[0:1]
	s_and_saveexec_b64 s[0:1], s[26:27]
	s_cbranch_execnz .LBB1580_50
.LBB1580_36:
	s_or_b64 exec, exec, s[0:1]
	s_and_saveexec_b64 s[0:1], s[6:7]
	s_cbranch_execnz .LBB1580_51
.LBB1580_37:
	s_or_b64 exec, exec, s[0:1]
	s_and_saveexec_b64 s[0:1], s[8:9]
	s_cbranch_execnz .LBB1580_52
.LBB1580_38:
	s_or_b64 exec, exec, s[0:1]
	s_and_saveexec_b64 s[0:1], s[10:11]
	s_cbranch_execnz .LBB1580_53
.LBB1580_39:
	s_or_b64 exec, exec, s[0:1]
	s_and_saveexec_b64 s[0:1], s[12:13]
	s_cbranch_execnz .LBB1580_54
.LBB1580_40:
	s_or_b64 exec, exec, s[0:1]
	s_and_saveexec_b64 s[0:1], s[14:15]
	s_cbranch_execnz .LBB1580_55
.LBB1580_41:
	s_or_b64 exec, exec, s[0:1]
	s_and_saveexec_b64 s[0:1], s[16:17]
	s_cbranch_execnz .LBB1580_56
.LBB1580_42:
	s_or_b64 exec, exec, s[0:1]
	s_and_saveexec_b64 s[0:1], s[18:19]
	s_cbranch_execnz .LBB1580_57
.LBB1580_43:
	s_or_b64 exec, exec, s[0:1]
	s_and_saveexec_b64 s[0:1], s[20:21]
	s_cbranch_execnz .LBB1580_58
.LBB1580_44:
	s_or_b64 exec, exec, s[0:1]
	s_and_saveexec_b64 s[0:1], s[22:23]
	s_cbranch_execnz .LBB1580_59
.LBB1580_45:
	s_or_b64 exec, exec, s[0:1]
	s_and_saveexec_b64 s[0:1], s[24:25]
	s_cbranch_execnz .LBB1580_60
.LBB1580_46:
	s_endpgm
.LBB1580_47:
	ds_read_b32 v15, v18
	s_waitcnt lgkmcnt(0)
	v_cvt_i32_f32_e32 v15, v15
	global_store_dword v[0:1], v15, off
	s_or_b64 exec, exec, s[4:5]
	s_and_saveexec_b64 s[4:5], s[0:1]
	s_cbranch_execz .LBB1580_34
.LBB1580_48:
	s_waitcnt lgkmcnt(6)
	v_cvt_i32_f32_e32 v12, v12
	global_store_dword v[0:1], v12, off offset:512
	s_or_b64 exec, exec, s[4:5]
	s_and_saveexec_b64 s[0:1], s[2:3]
	s_cbranch_execz .LBB1580_35
.LBB1580_49:
	s_waitcnt lgkmcnt(6)
	v_cvt_i32_f32_e32 v12, v13
	global_store_dword v[0:1], v12, off offset:1024
	s_or_b64 exec, exec, s[0:1]
	s_and_saveexec_b64 s[0:1], s[26:27]
	s_cbranch_execz .LBB1580_36
.LBB1580_50:
	s_waitcnt lgkmcnt(5)
	v_cvt_i32_f32_e32 v10, v10
	global_store_dword v[0:1], v10, off offset:1536
	s_or_b64 exec, exec, s[0:1]
	s_and_saveexec_b64 s[0:1], s[6:7]
	s_cbranch_execz .LBB1580_37
.LBB1580_51:
	s_waitcnt lgkmcnt(5)
	v_cvt_i32_f32_e32 v10, v11
	global_store_dword v[0:1], v10, off offset:2048
	s_or_b64 exec, exec, s[0:1]
	s_and_saveexec_b64 s[0:1], s[8:9]
	s_cbranch_execz .LBB1580_38
.LBB1580_52:
	s_waitcnt lgkmcnt(4)
	v_cvt_i32_f32_e32 v8, v8
	global_store_dword v[0:1], v8, off offset:2560
	s_or_b64 exec, exec, s[0:1]
	s_and_saveexec_b64 s[0:1], s[10:11]
	s_cbranch_execz .LBB1580_39
.LBB1580_53:
	s_waitcnt lgkmcnt(4)
	v_cvt_i32_f32_e32 v8, v9
	global_store_dword v[0:1], v8, off offset:3072
	s_or_b64 exec, exec, s[0:1]
	s_and_saveexec_b64 s[0:1], s[12:13]
	s_cbranch_execz .LBB1580_40
.LBB1580_54:
	s_waitcnt lgkmcnt(3)
	v_cvt_i32_f32_e32 v6, v6
	global_store_dword v[0:1], v6, off offset:3584
	s_or_b64 exec, exec, s[0:1]
	s_and_saveexec_b64 s[0:1], s[14:15]
	s_cbranch_execz .LBB1580_41
.LBB1580_55:
	s_waitcnt lgkmcnt(2)
	v_cvt_i32_f32_e32 v6, v14
	v_add_co_u32_e32 v8, vcc, 0x1000, v0
	v_addc_co_u32_e32 v9, vcc, 0, v1, vcc
	global_store_dword v[8:9], v6, off
	s_or_b64 exec, exec, s[0:1]
	s_and_saveexec_b64 s[0:1], s[16:17]
	s_cbranch_execz .LBB1580_42
.LBB1580_56:
	s_waitcnt lgkmcnt(3)
	v_cvt_i32_f32_e32 v8, v7
	v_add_co_u32_e32 v6, vcc, 0x1000, v0
	v_addc_co_u32_e32 v7, vcc, 0, v1, vcc
	global_store_dword v[6:7], v8, off offset:512
	s_or_b64 exec, exec, s[0:1]
	s_and_saveexec_b64 s[0:1], s[18:19]
	s_cbranch_execz .LBB1580_43
.LBB1580_57:
	s_waitcnt lgkmcnt(1)
	v_cvt_i32_f32_e32 v4, v4
	v_add_co_u32_e32 v6, vcc, 0x1000, v0
	v_addc_co_u32_e32 v7, vcc, 0, v1, vcc
	global_store_dword v[6:7], v4, off offset:1024
	s_or_b64 exec, exec, s[0:1]
	s_and_saveexec_b64 s[0:1], s[20:21]
	s_cbranch_execz .LBB1580_44
.LBB1580_58:
	s_waitcnt lgkmcnt(1)
	v_cvt_i32_f32_e32 v6, v5
	v_add_co_u32_e32 v4, vcc, 0x1000, v0
	v_addc_co_u32_e32 v5, vcc, 0, v1, vcc
	global_store_dword v[4:5], v6, off offset:1536
	s_or_b64 exec, exec, s[0:1]
	s_and_saveexec_b64 s[0:1], s[22:23]
	s_cbranch_execz .LBB1580_45
.LBB1580_59:
	s_waitcnt lgkmcnt(0)
	v_cvt_i32_f32_e32 v2, v2
	v_add_co_u32_e32 v4, vcc, 0x1000, v0
	v_addc_co_u32_e32 v5, vcc, 0, v1, vcc
	global_store_dword v[4:5], v2, off offset:2048
	s_or_b64 exec, exec, s[0:1]
	s_and_saveexec_b64 s[0:1], s[24:25]
	s_cbranch_execz .LBB1580_46
.LBB1580_60:
	s_waitcnt lgkmcnt(0)
	v_cvt_i32_f32_e32 v2, v3
	v_add_co_u32_e32 v0, vcc, 0x1000, v0
	v_addc_co_u32_e32 v1, vcc, 0, v1, vcc
	global_store_dword v[0:1], v2, off offset:2560
	s_endpgm
	.section	.rodata,"a",@progbits
	.p2align	6, 0x0
	.amdhsa_kernel _ZN7rocprim17ROCPRIM_400000_NS6detail17trampoline_kernelINS0_14default_configENS1_20scan_config_selectorIfEEZZNS1_9scan_implILNS1_25lookback_scan_determinismE0ELb1ELb1ES3_N6thrust23THRUST_200600_302600_NS6detail15normal_iteratorINS9_10device_ptrIfEEEENSB_INSC_IiEEEEfNS9_4plusIvEEfEEDaPvRmT3_T4_T5_mT6_P12ihipStream_tbENKUlT_T0_E_clISt17integral_constantIbLb0EESW_EEDaSR_SS_EUlSR_E0_NS1_11comp_targetILNS1_3genE4ELNS1_11target_archE910ELNS1_3gpuE8ELNS1_3repE0EEENS1_30default_config_static_selectorELNS0_4arch9wavefront6targetE1EEEvT1_
		.amdhsa_group_segment_fixed_size 7168
		.amdhsa_private_segment_fixed_size 0
		.amdhsa_kernarg_size 32
		.amdhsa_user_sgpr_count 6
		.amdhsa_user_sgpr_private_segment_buffer 1
		.amdhsa_user_sgpr_dispatch_ptr 0
		.amdhsa_user_sgpr_queue_ptr 0
		.amdhsa_user_sgpr_kernarg_segment_ptr 1
		.amdhsa_user_sgpr_dispatch_id 0
		.amdhsa_user_sgpr_flat_scratch_init 0
		.amdhsa_user_sgpr_kernarg_preload_length 0
		.amdhsa_user_sgpr_kernarg_preload_offset 0
		.amdhsa_user_sgpr_private_segment_size 0
		.amdhsa_uses_dynamic_stack 0
		.amdhsa_system_sgpr_private_segment_wavefront_offset 0
		.amdhsa_system_sgpr_workgroup_id_x 1
		.amdhsa_system_sgpr_workgroup_id_y 0
		.amdhsa_system_sgpr_workgroup_id_z 0
		.amdhsa_system_sgpr_workgroup_info 0
		.amdhsa_system_vgpr_workitem_id 0
		.amdhsa_next_free_vgpr 24
		.amdhsa_next_free_sgpr 38
		.amdhsa_accum_offset 24
		.amdhsa_reserve_vcc 1
		.amdhsa_reserve_flat_scratch 0
		.amdhsa_float_round_mode_32 0
		.amdhsa_float_round_mode_16_64 0
		.amdhsa_float_denorm_mode_32 3
		.amdhsa_float_denorm_mode_16_64 3
		.amdhsa_dx10_clamp 1
		.amdhsa_ieee_mode 1
		.amdhsa_fp16_overflow 0
		.amdhsa_tg_split 0
		.amdhsa_exception_fp_ieee_invalid_op 0
		.amdhsa_exception_fp_denorm_src 0
		.amdhsa_exception_fp_ieee_div_zero 0
		.amdhsa_exception_fp_ieee_overflow 0
		.amdhsa_exception_fp_ieee_underflow 0
		.amdhsa_exception_fp_ieee_inexact 0
		.amdhsa_exception_int_div_zero 0
	.end_amdhsa_kernel
	.section	.text._ZN7rocprim17ROCPRIM_400000_NS6detail17trampoline_kernelINS0_14default_configENS1_20scan_config_selectorIfEEZZNS1_9scan_implILNS1_25lookback_scan_determinismE0ELb1ELb1ES3_N6thrust23THRUST_200600_302600_NS6detail15normal_iteratorINS9_10device_ptrIfEEEENSB_INSC_IiEEEEfNS9_4plusIvEEfEEDaPvRmT3_T4_T5_mT6_P12ihipStream_tbENKUlT_T0_E_clISt17integral_constantIbLb0EESW_EEDaSR_SS_EUlSR_E0_NS1_11comp_targetILNS1_3genE4ELNS1_11target_archE910ELNS1_3gpuE8ELNS1_3repE0EEENS1_30default_config_static_selectorELNS0_4arch9wavefront6targetE1EEEvT1_,"axG",@progbits,_ZN7rocprim17ROCPRIM_400000_NS6detail17trampoline_kernelINS0_14default_configENS1_20scan_config_selectorIfEEZZNS1_9scan_implILNS1_25lookback_scan_determinismE0ELb1ELb1ES3_N6thrust23THRUST_200600_302600_NS6detail15normal_iteratorINS9_10device_ptrIfEEEENSB_INSC_IiEEEEfNS9_4plusIvEEfEEDaPvRmT3_T4_T5_mT6_P12ihipStream_tbENKUlT_T0_E_clISt17integral_constantIbLb0EESW_EEDaSR_SS_EUlSR_E0_NS1_11comp_targetILNS1_3genE4ELNS1_11target_archE910ELNS1_3gpuE8ELNS1_3repE0EEENS1_30default_config_static_selectorELNS0_4arch9wavefront6targetE1EEEvT1_,comdat
.Lfunc_end1580:
	.size	_ZN7rocprim17ROCPRIM_400000_NS6detail17trampoline_kernelINS0_14default_configENS1_20scan_config_selectorIfEEZZNS1_9scan_implILNS1_25lookback_scan_determinismE0ELb1ELb1ES3_N6thrust23THRUST_200600_302600_NS6detail15normal_iteratorINS9_10device_ptrIfEEEENSB_INSC_IiEEEEfNS9_4plusIvEEfEEDaPvRmT3_T4_T5_mT6_P12ihipStream_tbENKUlT_T0_E_clISt17integral_constantIbLb0EESW_EEDaSR_SS_EUlSR_E0_NS1_11comp_targetILNS1_3genE4ELNS1_11target_archE910ELNS1_3gpuE8ELNS1_3repE0EEENS1_30default_config_static_selectorELNS0_4arch9wavefront6targetE1EEEvT1_, .Lfunc_end1580-_ZN7rocprim17ROCPRIM_400000_NS6detail17trampoline_kernelINS0_14default_configENS1_20scan_config_selectorIfEEZZNS1_9scan_implILNS1_25lookback_scan_determinismE0ELb1ELb1ES3_N6thrust23THRUST_200600_302600_NS6detail15normal_iteratorINS9_10device_ptrIfEEEENSB_INSC_IiEEEEfNS9_4plusIvEEfEEDaPvRmT3_T4_T5_mT6_P12ihipStream_tbENKUlT_T0_E_clISt17integral_constantIbLb0EESW_EEDaSR_SS_EUlSR_E0_NS1_11comp_targetILNS1_3genE4ELNS1_11target_archE910ELNS1_3gpuE8ELNS1_3repE0EEENS1_30default_config_static_selectorELNS0_4arch9wavefront6targetE1EEEvT1_
                                        ; -- End function
	.section	.AMDGPU.csdata,"",@progbits
; Kernel info:
; codeLenInByte = 2060
; NumSgprs: 42
; NumVgprs: 24
; NumAgprs: 0
; TotalNumVgprs: 24
; ScratchSize: 0
; MemoryBound: 0
; FloatMode: 240
; IeeeMode: 1
; LDSByteSize: 7168 bytes/workgroup (compile time only)
; SGPRBlocks: 5
; VGPRBlocks: 2
; NumSGPRsForWavesPerEU: 42
; NumVGPRsForWavesPerEU: 24
; AccumOffset: 24
; Occupancy: 5
; WaveLimiterHint : 0
; COMPUTE_PGM_RSRC2:SCRATCH_EN: 0
; COMPUTE_PGM_RSRC2:USER_SGPR: 6
; COMPUTE_PGM_RSRC2:TRAP_HANDLER: 0
; COMPUTE_PGM_RSRC2:TGID_X_EN: 1
; COMPUTE_PGM_RSRC2:TGID_Y_EN: 0
; COMPUTE_PGM_RSRC2:TGID_Z_EN: 0
; COMPUTE_PGM_RSRC2:TIDIG_COMP_CNT: 0
; COMPUTE_PGM_RSRC3_GFX90A:ACCUM_OFFSET: 5
; COMPUTE_PGM_RSRC3_GFX90A:TG_SPLIT: 0
	.section	.text._ZN7rocprim17ROCPRIM_400000_NS6detail17trampoline_kernelINS0_14default_configENS1_20scan_config_selectorIfEEZZNS1_9scan_implILNS1_25lookback_scan_determinismE0ELb1ELb1ES3_N6thrust23THRUST_200600_302600_NS6detail15normal_iteratorINS9_10device_ptrIfEEEENSB_INSC_IiEEEEfNS9_4plusIvEEfEEDaPvRmT3_T4_T5_mT6_P12ihipStream_tbENKUlT_T0_E_clISt17integral_constantIbLb0EESW_EEDaSR_SS_EUlSR_E0_NS1_11comp_targetILNS1_3genE3ELNS1_11target_archE908ELNS1_3gpuE7ELNS1_3repE0EEENS1_30default_config_static_selectorELNS0_4arch9wavefront6targetE1EEEvT1_,"axG",@progbits,_ZN7rocprim17ROCPRIM_400000_NS6detail17trampoline_kernelINS0_14default_configENS1_20scan_config_selectorIfEEZZNS1_9scan_implILNS1_25lookback_scan_determinismE0ELb1ELb1ES3_N6thrust23THRUST_200600_302600_NS6detail15normal_iteratorINS9_10device_ptrIfEEEENSB_INSC_IiEEEEfNS9_4plusIvEEfEEDaPvRmT3_T4_T5_mT6_P12ihipStream_tbENKUlT_T0_E_clISt17integral_constantIbLb0EESW_EEDaSR_SS_EUlSR_E0_NS1_11comp_targetILNS1_3genE3ELNS1_11target_archE908ELNS1_3gpuE7ELNS1_3repE0EEENS1_30default_config_static_selectorELNS0_4arch9wavefront6targetE1EEEvT1_,comdat
	.protected	_ZN7rocprim17ROCPRIM_400000_NS6detail17trampoline_kernelINS0_14default_configENS1_20scan_config_selectorIfEEZZNS1_9scan_implILNS1_25lookback_scan_determinismE0ELb1ELb1ES3_N6thrust23THRUST_200600_302600_NS6detail15normal_iteratorINS9_10device_ptrIfEEEENSB_INSC_IiEEEEfNS9_4plusIvEEfEEDaPvRmT3_T4_T5_mT6_P12ihipStream_tbENKUlT_T0_E_clISt17integral_constantIbLb0EESW_EEDaSR_SS_EUlSR_E0_NS1_11comp_targetILNS1_3genE3ELNS1_11target_archE908ELNS1_3gpuE7ELNS1_3repE0EEENS1_30default_config_static_selectorELNS0_4arch9wavefront6targetE1EEEvT1_ ; -- Begin function _ZN7rocprim17ROCPRIM_400000_NS6detail17trampoline_kernelINS0_14default_configENS1_20scan_config_selectorIfEEZZNS1_9scan_implILNS1_25lookback_scan_determinismE0ELb1ELb1ES3_N6thrust23THRUST_200600_302600_NS6detail15normal_iteratorINS9_10device_ptrIfEEEENSB_INSC_IiEEEEfNS9_4plusIvEEfEEDaPvRmT3_T4_T5_mT6_P12ihipStream_tbENKUlT_T0_E_clISt17integral_constantIbLb0EESW_EEDaSR_SS_EUlSR_E0_NS1_11comp_targetILNS1_3genE3ELNS1_11target_archE908ELNS1_3gpuE7ELNS1_3repE0EEENS1_30default_config_static_selectorELNS0_4arch9wavefront6targetE1EEEvT1_
	.globl	_ZN7rocprim17ROCPRIM_400000_NS6detail17trampoline_kernelINS0_14default_configENS1_20scan_config_selectorIfEEZZNS1_9scan_implILNS1_25lookback_scan_determinismE0ELb1ELb1ES3_N6thrust23THRUST_200600_302600_NS6detail15normal_iteratorINS9_10device_ptrIfEEEENSB_INSC_IiEEEEfNS9_4plusIvEEfEEDaPvRmT3_T4_T5_mT6_P12ihipStream_tbENKUlT_T0_E_clISt17integral_constantIbLb0EESW_EEDaSR_SS_EUlSR_E0_NS1_11comp_targetILNS1_3genE3ELNS1_11target_archE908ELNS1_3gpuE7ELNS1_3repE0EEENS1_30default_config_static_selectorELNS0_4arch9wavefront6targetE1EEEvT1_
	.p2align	8
	.type	_ZN7rocprim17ROCPRIM_400000_NS6detail17trampoline_kernelINS0_14default_configENS1_20scan_config_selectorIfEEZZNS1_9scan_implILNS1_25lookback_scan_determinismE0ELb1ELb1ES3_N6thrust23THRUST_200600_302600_NS6detail15normal_iteratorINS9_10device_ptrIfEEEENSB_INSC_IiEEEEfNS9_4plusIvEEfEEDaPvRmT3_T4_T5_mT6_P12ihipStream_tbENKUlT_T0_E_clISt17integral_constantIbLb0EESW_EEDaSR_SS_EUlSR_E0_NS1_11comp_targetILNS1_3genE3ELNS1_11target_archE908ELNS1_3gpuE7ELNS1_3repE0EEENS1_30default_config_static_selectorELNS0_4arch9wavefront6targetE1EEEvT1_,@function
_ZN7rocprim17ROCPRIM_400000_NS6detail17trampoline_kernelINS0_14default_configENS1_20scan_config_selectorIfEEZZNS1_9scan_implILNS1_25lookback_scan_determinismE0ELb1ELb1ES3_N6thrust23THRUST_200600_302600_NS6detail15normal_iteratorINS9_10device_ptrIfEEEENSB_INSC_IiEEEEfNS9_4plusIvEEfEEDaPvRmT3_T4_T5_mT6_P12ihipStream_tbENKUlT_T0_E_clISt17integral_constantIbLb0EESW_EEDaSR_SS_EUlSR_E0_NS1_11comp_targetILNS1_3genE3ELNS1_11target_archE908ELNS1_3gpuE7ELNS1_3repE0EEENS1_30default_config_static_selectorELNS0_4arch9wavefront6targetE1EEEvT1_: ; @_ZN7rocprim17ROCPRIM_400000_NS6detail17trampoline_kernelINS0_14default_configENS1_20scan_config_selectorIfEEZZNS1_9scan_implILNS1_25lookback_scan_determinismE0ELb1ELb1ES3_N6thrust23THRUST_200600_302600_NS6detail15normal_iteratorINS9_10device_ptrIfEEEENSB_INSC_IiEEEEfNS9_4plusIvEEfEEDaPvRmT3_T4_T5_mT6_P12ihipStream_tbENKUlT_T0_E_clISt17integral_constantIbLb0EESW_EEDaSR_SS_EUlSR_E0_NS1_11comp_targetILNS1_3genE3ELNS1_11target_archE908ELNS1_3gpuE7ELNS1_3repE0EEENS1_30default_config_static_selectorELNS0_4arch9wavefront6targetE1EEEvT1_
; %bb.0:
	.section	.rodata,"a",@progbits
	.p2align	6, 0x0
	.amdhsa_kernel _ZN7rocprim17ROCPRIM_400000_NS6detail17trampoline_kernelINS0_14default_configENS1_20scan_config_selectorIfEEZZNS1_9scan_implILNS1_25lookback_scan_determinismE0ELb1ELb1ES3_N6thrust23THRUST_200600_302600_NS6detail15normal_iteratorINS9_10device_ptrIfEEEENSB_INSC_IiEEEEfNS9_4plusIvEEfEEDaPvRmT3_T4_T5_mT6_P12ihipStream_tbENKUlT_T0_E_clISt17integral_constantIbLb0EESW_EEDaSR_SS_EUlSR_E0_NS1_11comp_targetILNS1_3genE3ELNS1_11target_archE908ELNS1_3gpuE7ELNS1_3repE0EEENS1_30default_config_static_selectorELNS0_4arch9wavefront6targetE1EEEvT1_
		.amdhsa_group_segment_fixed_size 0
		.amdhsa_private_segment_fixed_size 0
		.amdhsa_kernarg_size 32
		.amdhsa_user_sgpr_count 6
		.amdhsa_user_sgpr_private_segment_buffer 1
		.amdhsa_user_sgpr_dispatch_ptr 0
		.amdhsa_user_sgpr_queue_ptr 0
		.amdhsa_user_sgpr_kernarg_segment_ptr 1
		.amdhsa_user_sgpr_dispatch_id 0
		.amdhsa_user_sgpr_flat_scratch_init 0
		.amdhsa_user_sgpr_kernarg_preload_length 0
		.amdhsa_user_sgpr_kernarg_preload_offset 0
		.amdhsa_user_sgpr_private_segment_size 0
		.amdhsa_uses_dynamic_stack 0
		.amdhsa_system_sgpr_private_segment_wavefront_offset 0
		.amdhsa_system_sgpr_workgroup_id_x 1
		.amdhsa_system_sgpr_workgroup_id_y 0
		.amdhsa_system_sgpr_workgroup_id_z 0
		.amdhsa_system_sgpr_workgroup_info 0
		.amdhsa_system_vgpr_workitem_id 0
		.amdhsa_next_free_vgpr 1
		.amdhsa_next_free_sgpr 0
		.amdhsa_accum_offset 4
		.amdhsa_reserve_vcc 0
		.amdhsa_reserve_flat_scratch 0
		.amdhsa_float_round_mode_32 0
		.amdhsa_float_round_mode_16_64 0
		.amdhsa_float_denorm_mode_32 3
		.amdhsa_float_denorm_mode_16_64 3
		.amdhsa_dx10_clamp 1
		.amdhsa_ieee_mode 1
		.amdhsa_fp16_overflow 0
		.amdhsa_tg_split 0
		.amdhsa_exception_fp_ieee_invalid_op 0
		.amdhsa_exception_fp_denorm_src 0
		.amdhsa_exception_fp_ieee_div_zero 0
		.amdhsa_exception_fp_ieee_overflow 0
		.amdhsa_exception_fp_ieee_underflow 0
		.amdhsa_exception_fp_ieee_inexact 0
		.amdhsa_exception_int_div_zero 0
	.end_amdhsa_kernel
	.section	.text._ZN7rocprim17ROCPRIM_400000_NS6detail17trampoline_kernelINS0_14default_configENS1_20scan_config_selectorIfEEZZNS1_9scan_implILNS1_25lookback_scan_determinismE0ELb1ELb1ES3_N6thrust23THRUST_200600_302600_NS6detail15normal_iteratorINS9_10device_ptrIfEEEENSB_INSC_IiEEEEfNS9_4plusIvEEfEEDaPvRmT3_T4_T5_mT6_P12ihipStream_tbENKUlT_T0_E_clISt17integral_constantIbLb0EESW_EEDaSR_SS_EUlSR_E0_NS1_11comp_targetILNS1_3genE3ELNS1_11target_archE908ELNS1_3gpuE7ELNS1_3repE0EEENS1_30default_config_static_selectorELNS0_4arch9wavefront6targetE1EEEvT1_,"axG",@progbits,_ZN7rocprim17ROCPRIM_400000_NS6detail17trampoline_kernelINS0_14default_configENS1_20scan_config_selectorIfEEZZNS1_9scan_implILNS1_25lookback_scan_determinismE0ELb1ELb1ES3_N6thrust23THRUST_200600_302600_NS6detail15normal_iteratorINS9_10device_ptrIfEEEENSB_INSC_IiEEEEfNS9_4plusIvEEfEEDaPvRmT3_T4_T5_mT6_P12ihipStream_tbENKUlT_T0_E_clISt17integral_constantIbLb0EESW_EEDaSR_SS_EUlSR_E0_NS1_11comp_targetILNS1_3genE3ELNS1_11target_archE908ELNS1_3gpuE7ELNS1_3repE0EEENS1_30default_config_static_selectorELNS0_4arch9wavefront6targetE1EEEvT1_,comdat
.Lfunc_end1581:
	.size	_ZN7rocprim17ROCPRIM_400000_NS6detail17trampoline_kernelINS0_14default_configENS1_20scan_config_selectorIfEEZZNS1_9scan_implILNS1_25lookback_scan_determinismE0ELb1ELb1ES3_N6thrust23THRUST_200600_302600_NS6detail15normal_iteratorINS9_10device_ptrIfEEEENSB_INSC_IiEEEEfNS9_4plusIvEEfEEDaPvRmT3_T4_T5_mT6_P12ihipStream_tbENKUlT_T0_E_clISt17integral_constantIbLb0EESW_EEDaSR_SS_EUlSR_E0_NS1_11comp_targetILNS1_3genE3ELNS1_11target_archE908ELNS1_3gpuE7ELNS1_3repE0EEENS1_30default_config_static_selectorELNS0_4arch9wavefront6targetE1EEEvT1_, .Lfunc_end1581-_ZN7rocprim17ROCPRIM_400000_NS6detail17trampoline_kernelINS0_14default_configENS1_20scan_config_selectorIfEEZZNS1_9scan_implILNS1_25lookback_scan_determinismE0ELb1ELb1ES3_N6thrust23THRUST_200600_302600_NS6detail15normal_iteratorINS9_10device_ptrIfEEEENSB_INSC_IiEEEEfNS9_4plusIvEEfEEDaPvRmT3_T4_T5_mT6_P12ihipStream_tbENKUlT_T0_E_clISt17integral_constantIbLb0EESW_EEDaSR_SS_EUlSR_E0_NS1_11comp_targetILNS1_3genE3ELNS1_11target_archE908ELNS1_3gpuE7ELNS1_3repE0EEENS1_30default_config_static_selectorELNS0_4arch9wavefront6targetE1EEEvT1_
                                        ; -- End function
	.section	.AMDGPU.csdata,"",@progbits
; Kernel info:
; codeLenInByte = 0
; NumSgprs: 4
; NumVgprs: 0
; NumAgprs: 0
; TotalNumVgprs: 0
; ScratchSize: 0
; MemoryBound: 0
; FloatMode: 240
; IeeeMode: 1
; LDSByteSize: 0 bytes/workgroup (compile time only)
; SGPRBlocks: 0
; VGPRBlocks: 0
; NumSGPRsForWavesPerEU: 4
; NumVGPRsForWavesPerEU: 1
; AccumOffset: 4
; Occupancy: 8
; WaveLimiterHint : 0
; COMPUTE_PGM_RSRC2:SCRATCH_EN: 0
; COMPUTE_PGM_RSRC2:USER_SGPR: 6
; COMPUTE_PGM_RSRC2:TRAP_HANDLER: 0
; COMPUTE_PGM_RSRC2:TGID_X_EN: 1
; COMPUTE_PGM_RSRC2:TGID_Y_EN: 0
; COMPUTE_PGM_RSRC2:TGID_Z_EN: 0
; COMPUTE_PGM_RSRC2:TIDIG_COMP_CNT: 0
; COMPUTE_PGM_RSRC3_GFX90A:ACCUM_OFFSET: 0
; COMPUTE_PGM_RSRC3_GFX90A:TG_SPLIT: 0
	.section	.text._ZN7rocprim17ROCPRIM_400000_NS6detail17trampoline_kernelINS0_14default_configENS1_20scan_config_selectorIfEEZZNS1_9scan_implILNS1_25lookback_scan_determinismE0ELb1ELb1ES3_N6thrust23THRUST_200600_302600_NS6detail15normal_iteratorINS9_10device_ptrIfEEEENSB_INSC_IiEEEEfNS9_4plusIvEEfEEDaPvRmT3_T4_T5_mT6_P12ihipStream_tbENKUlT_T0_E_clISt17integral_constantIbLb0EESW_EEDaSR_SS_EUlSR_E0_NS1_11comp_targetILNS1_3genE2ELNS1_11target_archE906ELNS1_3gpuE6ELNS1_3repE0EEENS1_30default_config_static_selectorELNS0_4arch9wavefront6targetE1EEEvT1_,"axG",@progbits,_ZN7rocprim17ROCPRIM_400000_NS6detail17trampoline_kernelINS0_14default_configENS1_20scan_config_selectorIfEEZZNS1_9scan_implILNS1_25lookback_scan_determinismE0ELb1ELb1ES3_N6thrust23THRUST_200600_302600_NS6detail15normal_iteratorINS9_10device_ptrIfEEEENSB_INSC_IiEEEEfNS9_4plusIvEEfEEDaPvRmT3_T4_T5_mT6_P12ihipStream_tbENKUlT_T0_E_clISt17integral_constantIbLb0EESW_EEDaSR_SS_EUlSR_E0_NS1_11comp_targetILNS1_3genE2ELNS1_11target_archE906ELNS1_3gpuE6ELNS1_3repE0EEENS1_30default_config_static_selectorELNS0_4arch9wavefront6targetE1EEEvT1_,comdat
	.protected	_ZN7rocprim17ROCPRIM_400000_NS6detail17trampoline_kernelINS0_14default_configENS1_20scan_config_selectorIfEEZZNS1_9scan_implILNS1_25lookback_scan_determinismE0ELb1ELb1ES3_N6thrust23THRUST_200600_302600_NS6detail15normal_iteratorINS9_10device_ptrIfEEEENSB_INSC_IiEEEEfNS9_4plusIvEEfEEDaPvRmT3_T4_T5_mT6_P12ihipStream_tbENKUlT_T0_E_clISt17integral_constantIbLb0EESW_EEDaSR_SS_EUlSR_E0_NS1_11comp_targetILNS1_3genE2ELNS1_11target_archE906ELNS1_3gpuE6ELNS1_3repE0EEENS1_30default_config_static_selectorELNS0_4arch9wavefront6targetE1EEEvT1_ ; -- Begin function _ZN7rocprim17ROCPRIM_400000_NS6detail17trampoline_kernelINS0_14default_configENS1_20scan_config_selectorIfEEZZNS1_9scan_implILNS1_25lookback_scan_determinismE0ELb1ELb1ES3_N6thrust23THRUST_200600_302600_NS6detail15normal_iteratorINS9_10device_ptrIfEEEENSB_INSC_IiEEEEfNS9_4plusIvEEfEEDaPvRmT3_T4_T5_mT6_P12ihipStream_tbENKUlT_T0_E_clISt17integral_constantIbLb0EESW_EEDaSR_SS_EUlSR_E0_NS1_11comp_targetILNS1_3genE2ELNS1_11target_archE906ELNS1_3gpuE6ELNS1_3repE0EEENS1_30default_config_static_selectorELNS0_4arch9wavefront6targetE1EEEvT1_
	.globl	_ZN7rocprim17ROCPRIM_400000_NS6detail17trampoline_kernelINS0_14default_configENS1_20scan_config_selectorIfEEZZNS1_9scan_implILNS1_25lookback_scan_determinismE0ELb1ELb1ES3_N6thrust23THRUST_200600_302600_NS6detail15normal_iteratorINS9_10device_ptrIfEEEENSB_INSC_IiEEEEfNS9_4plusIvEEfEEDaPvRmT3_T4_T5_mT6_P12ihipStream_tbENKUlT_T0_E_clISt17integral_constantIbLb0EESW_EEDaSR_SS_EUlSR_E0_NS1_11comp_targetILNS1_3genE2ELNS1_11target_archE906ELNS1_3gpuE6ELNS1_3repE0EEENS1_30default_config_static_selectorELNS0_4arch9wavefront6targetE1EEEvT1_
	.p2align	8
	.type	_ZN7rocprim17ROCPRIM_400000_NS6detail17trampoline_kernelINS0_14default_configENS1_20scan_config_selectorIfEEZZNS1_9scan_implILNS1_25lookback_scan_determinismE0ELb1ELb1ES3_N6thrust23THRUST_200600_302600_NS6detail15normal_iteratorINS9_10device_ptrIfEEEENSB_INSC_IiEEEEfNS9_4plusIvEEfEEDaPvRmT3_T4_T5_mT6_P12ihipStream_tbENKUlT_T0_E_clISt17integral_constantIbLb0EESW_EEDaSR_SS_EUlSR_E0_NS1_11comp_targetILNS1_3genE2ELNS1_11target_archE906ELNS1_3gpuE6ELNS1_3repE0EEENS1_30default_config_static_selectorELNS0_4arch9wavefront6targetE1EEEvT1_,@function
_ZN7rocprim17ROCPRIM_400000_NS6detail17trampoline_kernelINS0_14default_configENS1_20scan_config_selectorIfEEZZNS1_9scan_implILNS1_25lookback_scan_determinismE0ELb1ELb1ES3_N6thrust23THRUST_200600_302600_NS6detail15normal_iteratorINS9_10device_ptrIfEEEENSB_INSC_IiEEEEfNS9_4plusIvEEfEEDaPvRmT3_T4_T5_mT6_P12ihipStream_tbENKUlT_T0_E_clISt17integral_constantIbLb0EESW_EEDaSR_SS_EUlSR_E0_NS1_11comp_targetILNS1_3genE2ELNS1_11target_archE906ELNS1_3gpuE6ELNS1_3repE0EEENS1_30default_config_static_selectorELNS0_4arch9wavefront6targetE1EEEvT1_: ; @_ZN7rocprim17ROCPRIM_400000_NS6detail17trampoline_kernelINS0_14default_configENS1_20scan_config_selectorIfEEZZNS1_9scan_implILNS1_25lookback_scan_determinismE0ELb1ELb1ES3_N6thrust23THRUST_200600_302600_NS6detail15normal_iteratorINS9_10device_ptrIfEEEENSB_INSC_IiEEEEfNS9_4plusIvEEfEEDaPvRmT3_T4_T5_mT6_P12ihipStream_tbENKUlT_T0_E_clISt17integral_constantIbLb0EESW_EEDaSR_SS_EUlSR_E0_NS1_11comp_targetILNS1_3genE2ELNS1_11target_archE906ELNS1_3gpuE6ELNS1_3repE0EEENS1_30default_config_static_selectorELNS0_4arch9wavefront6targetE1EEEvT1_
; %bb.0:
	.section	.rodata,"a",@progbits
	.p2align	6, 0x0
	.amdhsa_kernel _ZN7rocprim17ROCPRIM_400000_NS6detail17trampoline_kernelINS0_14default_configENS1_20scan_config_selectorIfEEZZNS1_9scan_implILNS1_25lookback_scan_determinismE0ELb1ELb1ES3_N6thrust23THRUST_200600_302600_NS6detail15normal_iteratorINS9_10device_ptrIfEEEENSB_INSC_IiEEEEfNS9_4plusIvEEfEEDaPvRmT3_T4_T5_mT6_P12ihipStream_tbENKUlT_T0_E_clISt17integral_constantIbLb0EESW_EEDaSR_SS_EUlSR_E0_NS1_11comp_targetILNS1_3genE2ELNS1_11target_archE906ELNS1_3gpuE6ELNS1_3repE0EEENS1_30default_config_static_selectorELNS0_4arch9wavefront6targetE1EEEvT1_
		.amdhsa_group_segment_fixed_size 0
		.amdhsa_private_segment_fixed_size 0
		.amdhsa_kernarg_size 32
		.amdhsa_user_sgpr_count 6
		.amdhsa_user_sgpr_private_segment_buffer 1
		.amdhsa_user_sgpr_dispatch_ptr 0
		.amdhsa_user_sgpr_queue_ptr 0
		.amdhsa_user_sgpr_kernarg_segment_ptr 1
		.amdhsa_user_sgpr_dispatch_id 0
		.amdhsa_user_sgpr_flat_scratch_init 0
		.amdhsa_user_sgpr_kernarg_preload_length 0
		.amdhsa_user_sgpr_kernarg_preload_offset 0
		.amdhsa_user_sgpr_private_segment_size 0
		.amdhsa_uses_dynamic_stack 0
		.amdhsa_system_sgpr_private_segment_wavefront_offset 0
		.amdhsa_system_sgpr_workgroup_id_x 1
		.amdhsa_system_sgpr_workgroup_id_y 0
		.amdhsa_system_sgpr_workgroup_id_z 0
		.amdhsa_system_sgpr_workgroup_info 0
		.amdhsa_system_vgpr_workitem_id 0
		.amdhsa_next_free_vgpr 1
		.amdhsa_next_free_sgpr 0
		.amdhsa_accum_offset 4
		.amdhsa_reserve_vcc 0
		.amdhsa_reserve_flat_scratch 0
		.amdhsa_float_round_mode_32 0
		.amdhsa_float_round_mode_16_64 0
		.amdhsa_float_denorm_mode_32 3
		.amdhsa_float_denorm_mode_16_64 3
		.amdhsa_dx10_clamp 1
		.amdhsa_ieee_mode 1
		.amdhsa_fp16_overflow 0
		.amdhsa_tg_split 0
		.amdhsa_exception_fp_ieee_invalid_op 0
		.amdhsa_exception_fp_denorm_src 0
		.amdhsa_exception_fp_ieee_div_zero 0
		.amdhsa_exception_fp_ieee_overflow 0
		.amdhsa_exception_fp_ieee_underflow 0
		.amdhsa_exception_fp_ieee_inexact 0
		.amdhsa_exception_int_div_zero 0
	.end_amdhsa_kernel
	.section	.text._ZN7rocprim17ROCPRIM_400000_NS6detail17trampoline_kernelINS0_14default_configENS1_20scan_config_selectorIfEEZZNS1_9scan_implILNS1_25lookback_scan_determinismE0ELb1ELb1ES3_N6thrust23THRUST_200600_302600_NS6detail15normal_iteratorINS9_10device_ptrIfEEEENSB_INSC_IiEEEEfNS9_4plusIvEEfEEDaPvRmT3_T4_T5_mT6_P12ihipStream_tbENKUlT_T0_E_clISt17integral_constantIbLb0EESW_EEDaSR_SS_EUlSR_E0_NS1_11comp_targetILNS1_3genE2ELNS1_11target_archE906ELNS1_3gpuE6ELNS1_3repE0EEENS1_30default_config_static_selectorELNS0_4arch9wavefront6targetE1EEEvT1_,"axG",@progbits,_ZN7rocprim17ROCPRIM_400000_NS6detail17trampoline_kernelINS0_14default_configENS1_20scan_config_selectorIfEEZZNS1_9scan_implILNS1_25lookback_scan_determinismE0ELb1ELb1ES3_N6thrust23THRUST_200600_302600_NS6detail15normal_iteratorINS9_10device_ptrIfEEEENSB_INSC_IiEEEEfNS9_4plusIvEEfEEDaPvRmT3_T4_T5_mT6_P12ihipStream_tbENKUlT_T0_E_clISt17integral_constantIbLb0EESW_EEDaSR_SS_EUlSR_E0_NS1_11comp_targetILNS1_3genE2ELNS1_11target_archE906ELNS1_3gpuE6ELNS1_3repE0EEENS1_30default_config_static_selectorELNS0_4arch9wavefront6targetE1EEEvT1_,comdat
.Lfunc_end1582:
	.size	_ZN7rocprim17ROCPRIM_400000_NS6detail17trampoline_kernelINS0_14default_configENS1_20scan_config_selectorIfEEZZNS1_9scan_implILNS1_25lookback_scan_determinismE0ELb1ELb1ES3_N6thrust23THRUST_200600_302600_NS6detail15normal_iteratorINS9_10device_ptrIfEEEENSB_INSC_IiEEEEfNS9_4plusIvEEfEEDaPvRmT3_T4_T5_mT6_P12ihipStream_tbENKUlT_T0_E_clISt17integral_constantIbLb0EESW_EEDaSR_SS_EUlSR_E0_NS1_11comp_targetILNS1_3genE2ELNS1_11target_archE906ELNS1_3gpuE6ELNS1_3repE0EEENS1_30default_config_static_selectorELNS0_4arch9wavefront6targetE1EEEvT1_, .Lfunc_end1582-_ZN7rocprim17ROCPRIM_400000_NS6detail17trampoline_kernelINS0_14default_configENS1_20scan_config_selectorIfEEZZNS1_9scan_implILNS1_25lookback_scan_determinismE0ELb1ELb1ES3_N6thrust23THRUST_200600_302600_NS6detail15normal_iteratorINS9_10device_ptrIfEEEENSB_INSC_IiEEEEfNS9_4plusIvEEfEEDaPvRmT3_T4_T5_mT6_P12ihipStream_tbENKUlT_T0_E_clISt17integral_constantIbLb0EESW_EEDaSR_SS_EUlSR_E0_NS1_11comp_targetILNS1_3genE2ELNS1_11target_archE906ELNS1_3gpuE6ELNS1_3repE0EEENS1_30default_config_static_selectorELNS0_4arch9wavefront6targetE1EEEvT1_
                                        ; -- End function
	.section	.AMDGPU.csdata,"",@progbits
; Kernel info:
; codeLenInByte = 0
; NumSgprs: 4
; NumVgprs: 0
; NumAgprs: 0
; TotalNumVgprs: 0
; ScratchSize: 0
; MemoryBound: 0
; FloatMode: 240
; IeeeMode: 1
; LDSByteSize: 0 bytes/workgroup (compile time only)
; SGPRBlocks: 0
; VGPRBlocks: 0
; NumSGPRsForWavesPerEU: 4
; NumVGPRsForWavesPerEU: 1
; AccumOffset: 4
; Occupancy: 8
; WaveLimiterHint : 0
; COMPUTE_PGM_RSRC2:SCRATCH_EN: 0
; COMPUTE_PGM_RSRC2:USER_SGPR: 6
; COMPUTE_PGM_RSRC2:TRAP_HANDLER: 0
; COMPUTE_PGM_RSRC2:TGID_X_EN: 1
; COMPUTE_PGM_RSRC2:TGID_Y_EN: 0
; COMPUTE_PGM_RSRC2:TGID_Z_EN: 0
; COMPUTE_PGM_RSRC2:TIDIG_COMP_CNT: 0
; COMPUTE_PGM_RSRC3_GFX90A:ACCUM_OFFSET: 0
; COMPUTE_PGM_RSRC3_GFX90A:TG_SPLIT: 0
	.section	.text._ZN7rocprim17ROCPRIM_400000_NS6detail17trampoline_kernelINS0_14default_configENS1_20scan_config_selectorIfEEZZNS1_9scan_implILNS1_25lookback_scan_determinismE0ELb1ELb1ES3_N6thrust23THRUST_200600_302600_NS6detail15normal_iteratorINS9_10device_ptrIfEEEENSB_INSC_IiEEEEfNS9_4plusIvEEfEEDaPvRmT3_T4_T5_mT6_P12ihipStream_tbENKUlT_T0_E_clISt17integral_constantIbLb0EESW_EEDaSR_SS_EUlSR_E0_NS1_11comp_targetILNS1_3genE10ELNS1_11target_archE1201ELNS1_3gpuE5ELNS1_3repE0EEENS1_30default_config_static_selectorELNS0_4arch9wavefront6targetE1EEEvT1_,"axG",@progbits,_ZN7rocprim17ROCPRIM_400000_NS6detail17trampoline_kernelINS0_14default_configENS1_20scan_config_selectorIfEEZZNS1_9scan_implILNS1_25lookback_scan_determinismE0ELb1ELb1ES3_N6thrust23THRUST_200600_302600_NS6detail15normal_iteratorINS9_10device_ptrIfEEEENSB_INSC_IiEEEEfNS9_4plusIvEEfEEDaPvRmT3_T4_T5_mT6_P12ihipStream_tbENKUlT_T0_E_clISt17integral_constantIbLb0EESW_EEDaSR_SS_EUlSR_E0_NS1_11comp_targetILNS1_3genE10ELNS1_11target_archE1201ELNS1_3gpuE5ELNS1_3repE0EEENS1_30default_config_static_selectorELNS0_4arch9wavefront6targetE1EEEvT1_,comdat
	.protected	_ZN7rocprim17ROCPRIM_400000_NS6detail17trampoline_kernelINS0_14default_configENS1_20scan_config_selectorIfEEZZNS1_9scan_implILNS1_25lookback_scan_determinismE0ELb1ELb1ES3_N6thrust23THRUST_200600_302600_NS6detail15normal_iteratorINS9_10device_ptrIfEEEENSB_INSC_IiEEEEfNS9_4plusIvEEfEEDaPvRmT3_T4_T5_mT6_P12ihipStream_tbENKUlT_T0_E_clISt17integral_constantIbLb0EESW_EEDaSR_SS_EUlSR_E0_NS1_11comp_targetILNS1_3genE10ELNS1_11target_archE1201ELNS1_3gpuE5ELNS1_3repE0EEENS1_30default_config_static_selectorELNS0_4arch9wavefront6targetE1EEEvT1_ ; -- Begin function _ZN7rocprim17ROCPRIM_400000_NS6detail17trampoline_kernelINS0_14default_configENS1_20scan_config_selectorIfEEZZNS1_9scan_implILNS1_25lookback_scan_determinismE0ELb1ELb1ES3_N6thrust23THRUST_200600_302600_NS6detail15normal_iteratorINS9_10device_ptrIfEEEENSB_INSC_IiEEEEfNS9_4plusIvEEfEEDaPvRmT3_T4_T5_mT6_P12ihipStream_tbENKUlT_T0_E_clISt17integral_constantIbLb0EESW_EEDaSR_SS_EUlSR_E0_NS1_11comp_targetILNS1_3genE10ELNS1_11target_archE1201ELNS1_3gpuE5ELNS1_3repE0EEENS1_30default_config_static_selectorELNS0_4arch9wavefront6targetE1EEEvT1_
	.globl	_ZN7rocprim17ROCPRIM_400000_NS6detail17trampoline_kernelINS0_14default_configENS1_20scan_config_selectorIfEEZZNS1_9scan_implILNS1_25lookback_scan_determinismE0ELb1ELb1ES3_N6thrust23THRUST_200600_302600_NS6detail15normal_iteratorINS9_10device_ptrIfEEEENSB_INSC_IiEEEEfNS9_4plusIvEEfEEDaPvRmT3_T4_T5_mT6_P12ihipStream_tbENKUlT_T0_E_clISt17integral_constantIbLb0EESW_EEDaSR_SS_EUlSR_E0_NS1_11comp_targetILNS1_3genE10ELNS1_11target_archE1201ELNS1_3gpuE5ELNS1_3repE0EEENS1_30default_config_static_selectorELNS0_4arch9wavefront6targetE1EEEvT1_
	.p2align	8
	.type	_ZN7rocprim17ROCPRIM_400000_NS6detail17trampoline_kernelINS0_14default_configENS1_20scan_config_selectorIfEEZZNS1_9scan_implILNS1_25lookback_scan_determinismE0ELb1ELb1ES3_N6thrust23THRUST_200600_302600_NS6detail15normal_iteratorINS9_10device_ptrIfEEEENSB_INSC_IiEEEEfNS9_4plusIvEEfEEDaPvRmT3_T4_T5_mT6_P12ihipStream_tbENKUlT_T0_E_clISt17integral_constantIbLb0EESW_EEDaSR_SS_EUlSR_E0_NS1_11comp_targetILNS1_3genE10ELNS1_11target_archE1201ELNS1_3gpuE5ELNS1_3repE0EEENS1_30default_config_static_selectorELNS0_4arch9wavefront6targetE1EEEvT1_,@function
_ZN7rocprim17ROCPRIM_400000_NS6detail17trampoline_kernelINS0_14default_configENS1_20scan_config_selectorIfEEZZNS1_9scan_implILNS1_25lookback_scan_determinismE0ELb1ELb1ES3_N6thrust23THRUST_200600_302600_NS6detail15normal_iteratorINS9_10device_ptrIfEEEENSB_INSC_IiEEEEfNS9_4plusIvEEfEEDaPvRmT3_T4_T5_mT6_P12ihipStream_tbENKUlT_T0_E_clISt17integral_constantIbLb0EESW_EEDaSR_SS_EUlSR_E0_NS1_11comp_targetILNS1_3genE10ELNS1_11target_archE1201ELNS1_3gpuE5ELNS1_3repE0EEENS1_30default_config_static_selectorELNS0_4arch9wavefront6targetE1EEEvT1_: ; @_ZN7rocprim17ROCPRIM_400000_NS6detail17trampoline_kernelINS0_14default_configENS1_20scan_config_selectorIfEEZZNS1_9scan_implILNS1_25lookback_scan_determinismE0ELb1ELb1ES3_N6thrust23THRUST_200600_302600_NS6detail15normal_iteratorINS9_10device_ptrIfEEEENSB_INSC_IiEEEEfNS9_4plusIvEEfEEDaPvRmT3_T4_T5_mT6_P12ihipStream_tbENKUlT_T0_E_clISt17integral_constantIbLb0EESW_EEDaSR_SS_EUlSR_E0_NS1_11comp_targetILNS1_3genE10ELNS1_11target_archE1201ELNS1_3gpuE5ELNS1_3repE0EEENS1_30default_config_static_selectorELNS0_4arch9wavefront6targetE1EEEvT1_
; %bb.0:
	.section	.rodata,"a",@progbits
	.p2align	6, 0x0
	.amdhsa_kernel _ZN7rocprim17ROCPRIM_400000_NS6detail17trampoline_kernelINS0_14default_configENS1_20scan_config_selectorIfEEZZNS1_9scan_implILNS1_25lookback_scan_determinismE0ELb1ELb1ES3_N6thrust23THRUST_200600_302600_NS6detail15normal_iteratorINS9_10device_ptrIfEEEENSB_INSC_IiEEEEfNS9_4plusIvEEfEEDaPvRmT3_T4_T5_mT6_P12ihipStream_tbENKUlT_T0_E_clISt17integral_constantIbLb0EESW_EEDaSR_SS_EUlSR_E0_NS1_11comp_targetILNS1_3genE10ELNS1_11target_archE1201ELNS1_3gpuE5ELNS1_3repE0EEENS1_30default_config_static_selectorELNS0_4arch9wavefront6targetE1EEEvT1_
		.amdhsa_group_segment_fixed_size 0
		.amdhsa_private_segment_fixed_size 0
		.amdhsa_kernarg_size 32
		.amdhsa_user_sgpr_count 6
		.amdhsa_user_sgpr_private_segment_buffer 1
		.amdhsa_user_sgpr_dispatch_ptr 0
		.amdhsa_user_sgpr_queue_ptr 0
		.amdhsa_user_sgpr_kernarg_segment_ptr 1
		.amdhsa_user_sgpr_dispatch_id 0
		.amdhsa_user_sgpr_flat_scratch_init 0
		.amdhsa_user_sgpr_kernarg_preload_length 0
		.amdhsa_user_sgpr_kernarg_preload_offset 0
		.amdhsa_user_sgpr_private_segment_size 0
		.amdhsa_uses_dynamic_stack 0
		.amdhsa_system_sgpr_private_segment_wavefront_offset 0
		.amdhsa_system_sgpr_workgroup_id_x 1
		.amdhsa_system_sgpr_workgroup_id_y 0
		.amdhsa_system_sgpr_workgroup_id_z 0
		.amdhsa_system_sgpr_workgroup_info 0
		.amdhsa_system_vgpr_workitem_id 0
		.amdhsa_next_free_vgpr 1
		.amdhsa_next_free_sgpr 0
		.amdhsa_accum_offset 4
		.amdhsa_reserve_vcc 0
		.amdhsa_reserve_flat_scratch 0
		.amdhsa_float_round_mode_32 0
		.amdhsa_float_round_mode_16_64 0
		.amdhsa_float_denorm_mode_32 3
		.amdhsa_float_denorm_mode_16_64 3
		.amdhsa_dx10_clamp 1
		.amdhsa_ieee_mode 1
		.amdhsa_fp16_overflow 0
		.amdhsa_tg_split 0
		.amdhsa_exception_fp_ieee_invalid_op 0
		.amdhsa_exception_fp_denorm_src 0
		.amdhsa_exception_fp_ieee_div_zero 0
		.amdhsa_exception_fp_ieee_overflow 0
		.amdhsa_exception_fp_ieee_underflow 0
		.amdhsa_exception_fp_ieee_inexact 0
		.amdhsa_exception_int_div_zero 0
	.end_amdhsa_kernel
	.section	.text._ZN7rocprim17ROCPRIM_400000_NS6detail17trampoline_kernelINS0_14default_configENS1_20scan_config_selectorIfEEZZNS1_9scan_implILNS1_25lookback_scan_determinismE0ELb1ELb1ES3_N6thrust23THRUST_200600_302600_NS6detail15normal_iteratorINS9_10device_ptrIfEEEENSB_INSC_IiEEEEfNS9_4plusIvEEfEEDaPvRmT3_T4_T5_mT6_P12ihipStream_tbENKUlT_T0_E_clISt17integral_constantIbLb0EESW_EEDaSR_SS_EUlSR_E0_NS1_11comp_targetILNS1_3genE10ELNS1_11target_archE1201ELNS1_3gpuE5ELNS1_3repE0EEENS1_30default_config_static_selectorELNS0_4arch9wavefront6targetE1EEEvT1_,"axG",@progbits,_ZN7rocprim17ROCPRIM_400000_NS6detail17trampoline_kernelINS0_14default_configENS1_20scan_config_selectorIfEEZZNS1_9scan_implILNS1_25lookback_scan_determinismE0ELb1ELb1ES3_N6thrust23THRUST_200600_302600_NS6detail15normal_iteratorINS9_10device_ptrIfEEEENSB_INSC_IiEEEEfNS9_4plusIvEEfEEDaPvRmT3_T4_T5_mT6_P12ihipStream_tbENKUlT_T0_E_clISt17integral_constantIbLb0EESW_EEDaSR_SS_EUlSR_E0_NS1_11comp_targetILNS1_3genE10ELNS1_11target_archE1201ELNS1_3gpuE5ELNS1_3repE0EEENS1_30default_config_static_selectorELNS0_4arch9wavefront6targetE1EEEvT1_,comdat
.Lfunc_end1583:
	.size	_ZN7rocprim17ROCPRIM_400000_NS6detail17trampoline_kernelINS0_14default_configENS1_20scan_config_selectorIfEEZZNS1_9scan_implILNS1_25lookback_scan_determinismE0ELb1ELb1ES3_N6thrust23THRUST_200600_302600_NS6detail15normal_iteratorINS9_10device_ptrIfEEEENSB_INSC_IiEEEEfNS9_4plusIvEEfEEDaPvRmT3_T4_T5_mT6_P12ihipStream_tbENKUlT_T0_E_clISt17integral_constantIbLb0EESW_EEDaSR_SS_EUlSR_E0_NS1_11comp_targetILNS1_3genE10ELNS1_11target_archE1201ELNS1_3gpuE5ELNS1_3repE0EEENS1_30default_config_static_selectorELNS0_4arch9wavefront6targetE1EEEvT1_, .Lfunc_end1583-_ZN7rocprim17ROCPRIM_400000_NS6detail17trampoline_kernelINS0_14default_configENS1_20scan_config_selectorIfEEZZNS1_9scan_implILNS1_25lookback_scan_determinismE0ELb1ELb1ES3_N6thrust23THRUST_200600_302600_NS6detail15normal_iteratorINS9_10device_ptrIfEEEENSB_INSC_IiEEEEfNS9_4plusIvEEfEEDaPvRmT3_T4_T5_mT6_P12ihipStream_tbENKUlT_T0_E_clISt17integral_constantIbLb0EESW_EEDaSR_SS_EUlSR_E0_NS1_11comp_targetILNS1_3genE10ELNS1_11target_archE1201ELNS1_3gpuE5ELNS1_3repE0EEENS1_30default_config_static_selectorELNS0_4arch9wavefront6targetE1EEEvT1_
                                        ; -- End function
	.section	.AMDGPU.csdata,"",@progbits
; Kernel info:
; codeLenInByte = 0
; NumSgprs: 4
; NumVgprs: 0
; NumAgprs: 0
; TotalNumVgprs: 0
; ScratchSize: 0
; MemoryBound: 0
; FloatMode: 240
; IeeeMode: 1
; LDSByteSize: 0 bytes/workgroup (compile time only)
; SGPRBlocks: 0
; VGPRBlocks: 0
; NumSGPRsForWavesPerEU: 4
; NumVGPRsForWavesPerEU: 1
; AccumOffset: 4
; Occupancy: 8
; WaveLimiterHint : 0
; COMPUTE_PGM_RSRC2:SCRATCH_EN: 0
; COMPUTE_PGM_RSRC2:USER_SGPR: 6
; COMPUTE_PGM_RSRC2:TRAP_HANDLER: 0
; COMPUTE_PGM_RSRC2:TGID_X_EN: 1
; COMPUTE_PGM_RSRC2:TGID_Y_EN: 0
; COMPUTE_PGM_RSRC2:TGID_Z_EN: 0
; COMPUTE_PGM_RSRC2:TIDIG_COMP_CNT: 0
; COMPUTE_PGM_RSRC3_GFX90A:ACCUM_OFFSET: 0
; COMPUTE_PGM_RSRC3_GFX90A:TG_SPLIT: 0
	.section	.text._ZN7rocprim17ROCPRIM_400000_NS6detail17trampoline_kernelINS0_14default_configENS1_20scan_config_selectorIfEEZZNS1_9scan_implILNS1_25lookback_scan_determinismE0ELb1ELb1ES3_N6thrust23THRUST_200600_302600_NS6detail15normal_iteratorINS9_10device_ptrIfEEEENSB_INSC_IiEEEEfNS9_4plusIvEEfEEDaPvRmT3_T4_T5_mT6_P12ihipStream_tbENKUlT_T0_E_clISt17integral_constantIbLb0EESW_EEDaSR_SS_EUlSR_E0_NS1_11comp_targetILNS1_3genE10ELNS1_11target_archE1200ELNS1_3gpuE4ELNS1_3repE0EEENS1_30default_config_static_selectorELNS0_4arch9wavefront6targetE1EEEvT1_,"axG",@progbits,_ZN7rocprim17ROCPRIM_400000_NS6detail17trampoline_kernelINS0_14default_configENS1_20scan_config_selectorIfEEZZNS1_9scan_implILNS1_25lookback_scan_determinismE0ELb1ELb1ES3_N6thrust23THRUST_200600_302600_NS6detail15normal_iteratorINS9_10device_ptrIfEEEENSB_INSC_IiEEEEfNS9_4plusIvEEfEEDaPvRmT3_T4_T5_mT6_P12ihipStream_tbENKUlT_T0_E_clISt17integral_constantIbLb0EESW_EEDaSR_SS_EUlSR_E0_NS1_11comp_targetILNS1_3genE10ELNS1_11target_archE1200ELNS1_3gpuE4ELNS1_3repE0EEENS1_30default_config_static_selectorELNS0_4arch9wavefront6targetE1EEEvT1_,comdat
	.protected	_ZN7rocprim17ROCPRIM_400000_NS6detail17trampoline_kernelINS0_14default_configENS1_20scan_config_selectorIfEEZZNS1_9scan_implILNS1_25lookback_scan_determinismE0ELb1ELb1ES3_N6thrust23THRUST_200600_302600_NS6detail15normal_iteratorINS9_10device_ptrIfEEEENSB_INSC_IiEEEEfNS9_4plusIvEEfEEDaPvRmT3_T4_T5_mT6_P12ihipStream_tbENKUlT_T0_E_clISt17integral_constantIbLb0EESW_EEDaSR_SS_EUlSR_E0_NS1_11comp_targetILNS1_3genE10ELNS1_11target_archE1200ELNS1_3gpuE4ELNS1_3repE0EEENS1_30default_config_static_selectorELNS0_4arch9wavefront6targetE1EEEvT1_ ; -- Begin function _ZN7rocprim17ROCPRIM_400000_NS6detail17trampoline_kernelINS0_14default_configENS1_20scan_config_selectorIfEEZZNS1_9scan_implILNS1_25lookback_scan_determinismE0ELb1ELb1ES3_N6thrust23THRUST_200600_302600_NS6detail15normal_iteratorINS9_10device_ptrIfEEEENSB_INSC_IiEEEEfNS9_4plusIvEEfEEDaPvRmT3_T4_T5_mT6_P12ihipStream_tbENKUlT_T0_E_clISt17integral_constantIbLb0EESW_EEDaSR_SS_EUlSR_E0_NS1_11comp_targetILNS1_3genE10ELNS1_11target_archE1200ELNS1_3gpuE4ELNS1_3repE0EEENS1_30default_config_static_selectorELNS0_4arch9wavefront6targetE1EEEvT1_
	.globl	_ZN7rocprim17ROCPRIM_400000_NS6detail17trampoline_kernelINS0_14default_configENS1_20scan_config_selectorIfEEZZNS1_9scan_implILNS1_25lookback_scan_determinismE0ELb1ELb1ES3_N6thrust23THRUST_200600_302600_NS6detail15normal_iteratorINS9_10device_ptrIfEEEENSB_INSC_IiEEEEfNS9_4plusIvEEfEEDaPvRmT3_T4_T5_mT6_P12ihipStream_tbENKUlT_T0_E_clISt17integral_constantIbLb0EESW_EEDaSR_SS_EUlSR_E0_NS1_11comp_targetILNS1_3genE10ELNS1_11target_archE1200ELNS1_3gpuE4ELNS1_3repE0EEENS1_30default_config_static_selectorELNS0_4arch9wavefront6targetE1EEEvT1_
	.p2align	8
	.type	_ZN7rocprim17ROCPRIM_400000_NS6detail17trampoline_kernelINS0_14default_configENS1_20scan_config_selectorIfEEZZNS1_9scan_implILNS1_25lookback_scan_determinismE0ELb1ELb1ES3_N6thrust23THRUST_200600_302600_NS6detail15normal_iteratorINS9_10device_ptrIfEEEENSB_INSC_IiEEEEfNS9_4plusIvEEfEEDaPvRmT3_T4_T5_mT6_P12ihipStream_tbENKUlT_T0_E_clISt17integral_constantIbLb0EESW_EEDaSR_SS_EUlSR_E0_NS1_11comp_targetILNS1_3genE10ELNS1_11target_archE1200ELNS1_3gpuE4ELNS1_3repE0EEENS1_30default_config_static_selectorELNS0_4arch9wavefront6targetE1EEEvT1_,@function
_ZN7rocprim17ROCPRIM_400000_NS6detail17trampoline_kernelINS0_14default_configENS1_20scan_config_selectorIfEEZZNS1_9scan_implILNS1_25lookback_scan_determinismE0ELb1ELb1ES3_N6thrust23THRUST_200600_302600_NS6detail15normal_iteratorINS9_10device_ptrIfEEEENSB_INSC_IiEEEEfNS9_4plusIvEEfEEDaPvRmT3_T4_T5_mT6_P12ihipStream_tbENKUlT_T0_E_clISt17integral_constantIbLb0EESW_EEDaSR_SS_EUlSR_E0_NS1_11comp_targetILNS1_3genE10ELNS1_11target_archE1200ELNS1_3gpuE4ELNS1_3repE0EEENS1_30default_config_static_selectorELNS0_4arch9wavefront6targetE1EEEvT1_: ; @_ZN7rocprim17ROCPRIM_400000_NS6detail17trampoline_kernelINS0_14default_configENS1_20scan_config_selectorIfEEZZNS1_9scan_implILNS1_25lookback_scan_determinismE0ELb1ELb1ES3_N6thrust23THRUST_200600_302600_NS6detail15normal_iteratorINS9_10device_ptrIfEEEENSB_INSC_IiEEEEfNS9_4plusIvEEfEEDaPvRmT3_T4_T5_mT6_P12ihipStream_tbENKUlT_T0_E_clISt17integral_constantIbLb0EESW_EEDaSR_SS_EUlSR_E0_NS1_11comp_targetILNS1_3genE10ELNS1_11target_archE1200ELNS1_3gpuE4ELNS1_3repE0EEENS1_30default_config_static_selectorELNS0_4arch9wavefront6targetE1EEEvT1_
; %bb.0:
	.section	.rodata,"a",@progbits
	.p2align	6, 0x0
	.amdhsa_kernel _ZN7rocprim17ROCPRIM_400000_NS6detail17trampoline_kernelINS0_14default_configENS1_20scan_config_selectorIfEEZZNS1_9scan_implILNS1_25lookback_scan_determinismE0ELb1ELb1ES3_N6thrust23THRUST_200600_302600_NS6detail15normal_iteratorINS9_10device_ptrIfEEEENSB_INSC_IiEEEEfNS9_4plusIvEEfEEDaPvRmT3_T4_T5_mT6_P12ihipStream_tbENKUlT_T0_E_clISt17integral_constantIbLb0EESW_EEDaSR_SS_EUlSR_E0_NS1_11comp_targetILNS1_3genE10ELNS1_11target_archE1200ELNS1_3gpuE4ELNS1_3repE0EEENS1_30default_config_static_selectorELNS0_4arch9wavefront6targetE1EEEvT1_
		.amdhsa_group_segment_fixed_size 0
		.amdhsa_private_segment_fixed_size 0
		.amdhsa_kernarg_size 32
		.amdhsa_user_sgpr_count 6
		.amdhsa_user_sgpr_private_segment_buffer 1
		.amdhsa_user_sgpr_dispatch_ptr 0
		.amdhsa_user_sgpr_queue_ptr 0
		.amdhsa_user_sgpr_kernarg_segment_ptr 1
		.amdhsa_user_sgpr_dispatch_id 0
		.amdhsa_user_sgpr_flat_scratch_init 0
		.amdhsa_user_sgpr_kernarg_preload_length 0
		.amdhsa_user_sgpr_kernarg_preload_offset 0
		.amdhsa_user_sgpr_private_segment_size 0
		.amdhsa_uses_dynamic_stack 0
		.amdhsa_system_sgpr_private_segment_wavefront_offset 0
		.amdhsa_system_sgpr_workgroup_id_x 1
		.amdhsa_system_sgpr_workgroup_id_y 0
		.amdhsa_system_sgpr_workgroup_id_z 0
		.amdhsa_system_sgpr_workgroup_info 0
		.amdhsa_system_vgpr_workitem_id 0
		.amdhsa_next_free_vgpr 1
		.amdhsa_next_free_sgpr 0
		.amdhsa_accum_offset 4
		.amdhsa_reserve_vcc 0
		.amdhsa_reserve_flat_scratch 0
		.amdhsa_float_round_mode_32 0
		.amdhsa_float_round_mode_16_64 0
		.amdhsa_float_denorm_mode_32 3
		.amdhsa_float_denorm_mode_16_64 3
		.amdhsa_dx10_clamp 1
		.amdhsa_ieee_mode 1
		.amdhsa_fp16_overflow 0
		.amdhsa_tg_split 0
		.amdhsa_exception_fp_ieee_invalid_op 0
		.amdhsa_exception_fp_denorm_src 0
		.amdhsa_exception_fp_ieee_div_zero 0
		.amdhsa_exception_fp_ieee_overflow 0
		.amdhsa_exception_fp_ieee_underflow 0
		.amdhsa_exception_fp_ieee_inexact 0
		.amdhsa_exception_int_div_zero 0
	.end_amdhsa_kernel
	.section	.text._ZN7rocprim17ROCPRIM_400000_NS6detail17trampoline_kernelINS0_14default_configENS1_20scan_config_selectorIfEEZZNS1_9scan_implILNS1_25lookback_scan_determinismE0ELb1ELb1ES3_N6thrust23THRUST_200600_302600_NS6detail15normal_iteratorINS9_10device_ptrIfEEEENSB_INSC_IiEEEEfNS9_4plusIvEEfEEDaPvRmT3_T4_T5_mT6_P12ihipStream_tbENKUlT_T0_E_clISt17integral_constantIbLb0EESW_EEDaSR_SS_EUlSR_E0_NS1_11comp_targetILNS1_3genE10ELNS1_11target_archE1200ELNS1_3gpuE4ELNS1_3repE0EEENS1_30default_config_static_selectorELNS0_4arch9wavefront6targetE1EEEvT1_,"axG",@progbits,_ZN7rocprim17ROCPRIM_400000_NS6detail17trampoline_kernelINS0_14default_configENS1_20scan_config_selectorIfEEZZNS1_9scan_implILNS1_25lookback_scan_determinismE0ELb1ELb1ES3_N6thrust23THRUST_200600_302600_NS6detail15normal_iteratorINS9_10device_ptrIfEEEENSB_INSC_IiEEEEfNS9_4plusIvEEfEEDaPvRmT3_T4_T5_mT6_P12ihipStream_tbENKUlT_T0_E_clISt17integral_constantIbLb0EESW_EEDaSR_SS_EUlSR_E0_NS1_11comp_targetILNS1_3genE10ELNS1_11target_archE1200ELNS1_3gpuE4ELNS1_3repE0EEENS1_30default_config_static_selectorELNS0_4arch9wavefront6targetE1EEEvT1_,comdat
.Lfunc_end1584:
	.size	_ZN7rocprim17ROCPRIM_400000_NS6detail17trampoline_kernelINS0_14default_configENS1_20scan_config_selectorIfEEZZNS1_9scan_implILNS1_25lookback_scan_determinismE0ELb1ELb1ES3_N6thrust23THRUST_200600_302600_NS6detail15normal_iteratorINS9_10device_ptrIfEEEENSB_INSC_IiEEEEfNS9_4plusIvEEfEEDaPvRmT3_T4_T5_mT6_P12ihipStream_tbENKUlT_T0_E_clISt17integral_constantIbLb0EESW_EEDaSR_SS_EUlSR_E0_NS1_11comp_targetILNS1_3genE10ELNS1_11target_archE1200ELNS1_3gpuE4ELNS1_3repE0EEENS1_30default_config_static_selectorELNS0_4arch9wavefront6targetE1EEEvT1_, .Lfunc_end1584-_ZN7rocprim17ROCPRIM_400000_NS6detail17trampoline_kernelINS0_14default_configENS1_20scan_config_selectorIfEEZZNS1_9scan_implILNS1_25lookback_scan_determinismE0ELb1ELb1ES3_N6thrust23THRUST_200600_302600_NS6detail15normal_iteratorINS9_10device_ptrIfEEEENSB_INSC_IiEEEEfNS9_4plusIvEEfEEDaPvRmT3_T4_T5_mT6_P12ihipStream_tbENKUlT_T0_E_clISt17integral_constantIbLb0EESW_EEDaSR_SS_EUlSR_E0_NS1_11comp_targetILNS1_3genE10ELNS1_11target_archE1200ELNS1_3gpuE4ELNS1_3repE0EEENS1_30default_config_static_selectorELNS0_4arch9wavefront6targetE1EEEvT1_
                                        ; -- End function
	.section	.AMDGPU.csdata,"",@progbits
; Kernel info:
; codeLenInByte = 0
; NumSgprs: 4
; NumVgprs: 0
; NumAgprs: 0
; TotalNumVgprs: 0
; ScratchSize: 0
; MemoryBound: 0
; FloatMode: 240
; IeeeMode: 1
; LDSByteSize: 0 bytes/workgroup (compile time only)
; SGPRBlocks: 0
; VGPRBlocks: 0
; NumSGPRsForWavesPerEU: 4
; NumVGPRsForWavesPerEU: 1
; AccumOffset: 4
; Occupancy: 8
; WaveLimiterHint : 0
; COMPUTE_PGM_RSRC2:SCRATCH_EN: 0
; COMPUTE_PGM_RSRC2:USER_SGPR: 6
; COMPUTE_PGM_RSRC2:TRAP_HANDLER: 0
; COMPUTE_PGM_RSRC2:TGID_X_EN: 1
; COMPUTE_PGM_RSRC2:TGID_Y_EN: 0
; COMPUTE_PGM_RSRC2:TGID_Z_EN: 0
; COMPUTE_PGM_RSRC2:TIDIG_COMP_CNT: 0
; COMPUTE_PGM_RSRC3_GFX90A:ACCUM_OFFSET: 0
; COMPUTE_PGM_RSRC3_GFX90A:TG_SPLIT: 0
	.section	.text._ZN7rocprim17ROCPRIM_400000_NS6detail17trampoline_kernelINS0_14default_configENS1_20scan_config_selectorIfEEZZNS1_9scan_implILNS1_25lookback_scan_determinismE0ELb1ELb1ES3_N6thrust23THRUST_200600_302600_NS6detail15normal_iteratorINS9_10device_ptrIfEEEENSB_INSC_IiEEEEfNS9_4plusIvEEfEEDaPvRmT3_T4_T5_mT6_P12ihipStream_tbENKUlT_T0_E_clISt17integral_constantIbLb0EESW_EEDaSR_SS_EUlSR_E0_NS1_11comp_targetILNS1_3genE9ELNS1_11target_archE1100ELNS1_3gpuE3ELNS1_3repE0EEENS1_30default_config_static_selectorELNS0_4arch9wavefront6targetE1EEEvT1_,"axG",@progbits,_ZN7rocprim17ROCPRIM_400000_NS6detail17trampoline_kernelINS0_14default_configENS1_20scan_config_selectorIfEEZZNS1_9scan_implILNS1_25lookback_scan_determinismE0ELb1ELb1ES3_N6thrust23THRUST_200600_302600_NS6detail15normal_iteratorINS9_10device_ptrIfEEEENSB_INSC_IiEEEEfNS9_4plusIvEEfEEDaPvRmT3_T4_T5_mT6_P12ihipStream_tbENKUlT_T0_E_clISt17integral_constantIbLb0EESW_EEDaSR_SS_EUlSR_E0_NS1_11comp_targetILNS1_3genE9ELNS1_11target_archE1100ELNS1_3gpuE3ELNS1_3repE0EEENS1_30default_config_static_selectorELNS0_4arch9wavefront6targetE1EEEvT1_,comdat
	.protected	_ZN7rocprim17ROCPRIM_400000_NS6detail17trampoline_kernelINS0_14default_configENS1_20scan_config_selectorIfEEZZNS1_9scan_implILNS1_25lookback_scan_determinismE0ELb1ELb1ES3_N6thrust23THRUST_200600_302600_NS6detail15normal_iteratorINS9_10device_ptrIfEEEENSB_INSC_IiEEEEfNS9_4plusIvEEfEEDaPvRmT3_T4_T5_mT6_P12ihipStream_tbENKUlT_T0_E_clISt17integral_constantIbLb0EESW_EEDaSR_SS_EUlSR_E0_NS1_11comp_targetILNS1_3genE9ELNS1_11target_archE1100ELNS1_3gpuE3ELNS1_3repE0EEENS1_30default_config_static_selectorELNS0_4arch9wavefront6targetE1EEEvT1_ ; -- Begin function _ZN7rocprim17ROCPRIM_400000_NS6detail17trampoline_kernelINS0_14default_configENS1_20scan_config_selectorIfEEZZNS1_9scan_implILNS1_25lookback_scan_determinismE0ELb1ELb1ES3_N6thrust23THRUST_200600_302600_NS6detail15normal_iteratorINS9_10device_ptrIfEEEENSB_INSC_IiEEEEfNS9_4plusIvEEfEEDaPvRmT3_T4_T5_mT6_P12ihipStream_tbENKUlT_T0_E_clISt17integral_constantIbLb0EESW_EEDaSR_SS_EUlSR_E0_NS1_11comp_targetILNS1_3genE9ELNS1_11target_archE1100ELNS1_3gpuE3ELNS1_3repE0EEENS1_30default_config_static_selectorELNS0_4arch9wavefront6targetE1EEEvT1_
	.globl	_ZN7rocprim17ROCPRIM_400000_NS6detail17trampoline_kernelINS0_14default_configENS1_20scan_config_selectorIfEEZZNS1_9scan_implILNS1_25lookback_scan_determinismE0ELb1ELb1ES3_N6thrust23THRUST_200600_302600_NS6detail15normal_iteratorINS9_10device_ptrIfEEEENSB_INSC_IiEEEEfNS9_4plusIvEEfEEDaPvRmT3_T4_T5_mT6_P12ihipStream_tbENKUlT_T0_E_clISt17integral_constantIbLb0EESW_EEDaSR_SS_EUlSR_E0_NS1_11comp_targetILNS1_3genE9ELNS1_11target_archE1100ELNS1_3gpuE3ELNS1_3repE0EEENS1_30default_config_static_selectorELNS0_4arch9wavefront6targetE1EEEvT1_
	.p2align	8
	.type	_ZN7rocprim17ROCPRIM_400000_NS6detail17trampoline_kernelINS0_14default_configENS1_20scan_config_selectorIfEEZZNS1_9scan_implILNS1_25lookback_scan_determinismE0ELb1ELb1ES3_N6thrust23THRUST_200600_302600_NS6detail15normal_iteratorINS9_10device_ptrIfEEEENSB_INSC_IiEEEEfNS9_4plusIvEEfEEDaPvRmT3_T4_T5_mT6_P12ihipStream_tbENKUlT_T0_E_clISt17integral_constantIbLb0EESW_EEDaSR_SS_EUlSR_E0_NS1_11comp_targetILNS1_3genE9ELNS1_11target_archE1100ELNS1_3gpuE3ELNS1_3repE0EEENS1_30default_config_static_selectorELNS0_4arch9wavefront6targetE1EEEvT1_,@function
_ZN7rocprim17ROCPRIM_400000_NS6detail17trampoline_kernelINS0_14default_configENS1_20scan_config_selectorIfEEZZNS1_9scan_implILNS1_25lookback_scan_determinismE0ELb1ELb1ES3_N6thrust23THRUST_200600_302600_NS6detail15normal_iteratorINS9_10device_ptrIfEEEENSB_INSC_IiEEEEfNS9_4plusIvEEfEEDaPvRmT3_T4_T5_mT6_P12ihipStream_tbENKUlT_T0_E_clISt17integral_constantIbLb0EESW_EEDaSR_SS_EUlSR_E0_NS1_11comp_targetILNS1_3genE9ELNS1_11target_archE1100ELNS1_3gpuE3ELNS1_3repE0EEENS1_30default_config_static_selectorELNS0_4arch9wavefront6targetE1EEEvT1_: ; @_ZN7rocprim17ROCPRIM_400000_NS6detail17trampoline_kernelINS0_14default_configENS1_20scan_config_selectorIfEEZZNS1_9scan_implILNS1_25lookback_scan_determinismE0ELb1ELb1ES3_N6thrust23THRUST_200600_302600_NS6detail15normal_iteratorINS9_10device_ptrIfEEEENSB_INSC_IiEEEEfNS9_4plusIvEEfEEDaPvRmT3_T4_T5_mT6_P12ihipStream_tbENKUlT_T0_E_clISt17integral_constantIbLb0EESW_EEDaSR_SS_EUlSR_E0_NS1_11comp_targetILNS1_3genE9ELNS1_11target_archE1100ELNS1_3gpuE3ELNS1_3repE0EEENS1_30default_config_static_selectorELNS0_4arch9wavefront6targetE1EEEvT1_
; %bb.0:
	.section	.rodata,"a",@progbits
	.p2align	6, 0x0
	.amdhsa_kernel _ZN7rocprim17ROCPRIM_400000_NS6detail17trampoline_kernelINS0_14default_configENS1_20scan_config_selectorIfEEZZNS1_9scan_implILNS1_25lookback_scan_determinismE0ELb1ELb1ES3_N6thrust23THRUST_200600_302600_NS6detail15normal_iteratorINS9_10device_ptrIfEEEENSB_INSC_IiEEEEfNS9_4plusIvEEfEEDaPvRmT3_T4_T5_mT6_P12ihipStream_tbENKUlT_T0_E_clISt17integral_constantIbLb0EESW_EEDaSR_SS_EUlSR_E0_NS1_11comp_targetILNS1_3genE9ELNS1_11target_archE1100ELNS1_3gpuE3ELNS1_3repE0EEENS1_30default_config_static_selectorELNS0_4arch9wavefront6targetE1EEEvT1_
		.amdhsa_group_segment_fixed_size 0
		.amdhsa_private_segment_fixed_size 0
		.amdhsa_kernarg_size 32
		.amdhsa_user_sgpr_count 6
		.amdhsa_user_sgpr_private_segment_buffer 1
		.amdhsa_user_sgpr_dispatch_ptr 0
		.amdhsa_user_sgpr_queue_ptr 0
		.amdhsa_user_sgpr_kernarg_segment_ptr 1
		.amdhsa_user_sgpr_dispatch_id 0
		.amdhsa_user_sgpr_flat_scratch_init 0
		.amdhsa_user_sgpr_kernarg_preload_length 0
		.amdhsa_user_sgpr_kernarg_preload_offset 0
		.amdhsa_user_sgpr_private_segment_size 0
		.amdhsa_uses_dynamic_stack 0
		.amdhsa_system_sgpr_private_segment_wavefront_offset 0
		.amdhsa_system_sgpr_workgroup_id_x 1
		.amdhsa_system_sgpr_workgroup_id_y 0
		.amdhsa_system_sgpr_workgroup_id_z 0
		.amdhsa_system_sgpr_workgroup_info 0
		.amdhsa_system_vgpr_workitem_id 0
		.amdhsa_next_free_vgpr 1
		.amdhsa_next_free_sgpr 0
		.amdhsa_accum_offset 4
		.amdhsa_reserve_vcc 0
		.amdhsa_reserve_flat_scratch 0
		.amdhsa_float_round_mode_32 0
		.amdhsa_float_round_mode_16_64 0
		.amdhsa_float_denorm_mode_32 3
		.amdhsa_float_denorm_mode_16_64 3
		.amdhsa_dx10_clamp 1
		.amdhsa_ieee_mode 1
		.amdhsa_fp16_overflow 0
		.amdhsa_tg_split 0
		.amdhsa_exception_fp_ieee_invalid_op 0
		.amdhsa_exception_fp_denorm_src 0
		.amdhsa_exception_fp_ieee_div_zero 0
		.amdhsa_exception_fp_ieee_overflow 0
		.amdhsa_exception_fp_ieee_underflow 0
		.amdhsa_exception_fp_ieee_inexact 0
		.amdhsa_exception_int_div_zero 0
	.end_amdhsa_kernel
	.section	.text._ZN7rocprim17ROCPRIM_400000_NS6detail17trampoline_kernelINS0_14default_configENS1_20scan_config_selectorIfEEZZNS1_9scan_implILNS1_25lookback_scan_determinismE0ELb1ELb1ES3_N6thrust23THRUST_200600_302600_NS6detail15normal_iteratorINS9_10device_ptrIfEEEENSB_INSC_IiEEEEfNS9_4plusIvEEfEEDaPvRmT3_T4_T5_mT6_P12ihipStream_tbENKUlT_T0_E_clISt17integral_constantIbLb0EESW_EEDaSR_SS_EUlSR_E0_NS1_11comp_targetILNS1_3genE9ELNS1_11target_archE1100ELNS1_3gpuE3ELNS1_3repE0EEENS1_30default_config_static_selectorELNS0_4arch9wavefront6targetE1EEEvT1_,"axG",@progbits,_ZN7rocprim17ROCPRIM_400000_NS6detail17trampoline_kernelINS0_14default_configENS1_20scan_config_selectorIfEEZZNS1_9scan_implILNS1_25lookback_scan_determinismE0ELb1ELb1ES3_N6thrust23THRUST_200600_302600_NS6detail15normal_iteratorINS9_10device_ptrIfEEEENSB_INSC_IiEEEEfNS9_4plusIvEEfEEDaPvRmT3_T4_T5_mT6_P12ihipStream_tbENKUlT_T0_E_clISt17integral_constantIbLb0EESW_EEDaSR_SS_EUlSR_E0_NS1_11comp_targetILNS1_3genE9ELNS1_11target_archE1100ELNS1_3gpuE3ELNS1_3repE0EEENS1_30default_config_static_selectorELNS0_4arch9wavefront6targetE1EEEvT1_,comdat
.Lfunc_end1585:
	.size	_ZN7rocprim17ROCPRIM_400000_NS6detail17trampoline_kernelINS0_14default_configENS1_20scan_config_selectorIfEEZZNS1_9scan_implILNS1_25lookback_scan_determinismE0ELb1ELb1ES3_N6thrust23THRUST_200600_302600_NS6detail15normal_iteratorINS9_10device_ptrIfEEEENSB_INSC_IiEEEEfNS9_4plusIvEEfEEDaPvRmT3_T4_T5_mT6_P12ihipStream_tbENKUlT_T0_E_clISt17integral_constantIbLb0EESW_EEDaSR_SS_EUlSR_E0_NS1_11comp_targetILNS1_3genE9ELNS1_11target_archE1100ELNS1_3gpuE3ELNS1_3repE0EEENS1_30default_config_static_selectorELNS0_4arch9wavefront6targetE1EEEvT1_, .Lfunc_end1585-_ZN7rocprim17ROCPRIM_400000_NS6detail17trampoline_kernelINS0_14default_configENS1_20scan_config_selectorIfEEZZNS1_9scan_implILNS1_25lookback_scan_determinismE0ELb1ELb1ES3_N6thrust23THRUST_200600_302600_NS6detail15normal_iteratorINS9_10device_ptrIfEEEENSB_INSC_IiEEEEfNS9_4plusIvEEfEEDaPvRmT3_T4_T5_mT6_P12ihipStream_tbENKUlT_T0_E_clISt17integral_constantIbLb0EESW_EEDaSR_SS_EUlSR_E0_NS1_11comp_targetILNS1_3genE9ELNS1_11target_archE1100ELNS1_3gpuE3ELNS1_3repE0EEENS1_30default_config_static_selectorELNS0_4arch9wavefront6targetE1EEEvT1_
                                        ; -- End function
	.section	.AMDGPU.csdata,"",@progbits
; Kernel info:
; codeLenInByte = 0
; NumSgprs: 4
; NumVgprs: 0
; NumAgprs: 0
; TotalNumVgprs: 0
; ScratchSize: 0
; MemoryBound: 0
; FloatMode: 240
; IeeeMode: 1
; LDSByteSize: 0 bytes/workgroup (compile time only)
; SGPRBlocks: 0
; VGPRBlocks: 0
; NumSGPRsForWavesPerEU: 4
; NumVGPRsForWavesPerEU: 1
; AccumOffset: 4
; Occupancy: 8
; WaveLimiterHint : 0
; COMPUTE_PGM_RSRC2:SCRATCH_EN: 0
; COMPUTE_PGM_RSRC2:USER_SGPR: 6
; COMPUTE_PGM_RSRC2:TRAP_HANDLER: 0
; COMPUTE_PGM_RSRC2:TGID_X_EN: 1
; COMPUTE_PGM_RSRC2:TGID_Y_EN: 0
; COMPUTE_PGM_RSRC2:TGID_Z_EN: 0
; COMPUTE_PGM_RSRC2:TIDIG_COMP_CNT: 0
; COMPUTE_PGM_RSRC3_GFX90A:ACCUM_OFFSET: 0
; COMPUTE_PGM_RSRC3_GFX90A:TG_SPLIT: 0
	.section	.text._ZN7rocprim17ROCPRIM_400000_NS6detail17trampoline_kernelINS0_14default_configENS1_20scan_config_selectorIfEEZZNS1_9scan_implILNS1_25lookback_scan_determinismE0ELb1ELb1ES3_N6thrust23THRUST_200600_302600_NS6detail15normal_iteratorINS9_10device_ptrIfEEEENSB_INSC_IiEEEEfNS9_4plusIvEEfEEDaPvRmT3_T4_T5_mT6_P12ihipStream_tbENKUlT_T0_E_clISt17integral_constantIbLb0EESW_EEDaSR_SS_EUlSR_E0_NS1_11comp_targetILNS1_3genE8ELNS1_11target_archE1030ELNS1_3gpuE2ELNS1_3repE0EEENS1_30default_config_static_selectorELNS0_4arch9wavefront6targetE1EEEvT1_,"axG",@progbits,_ZN7rocprim17ROCPRIM_400000_NS6detail17trampoline_kernelINS0_14default_configENS1_20scan_config_selectorIfEEZZNS1_9scan_implILNS1_25lookback_scan_determinismE0ELb1ELb1ES3_N6thrust23THRUST_200600_302600_NS6detail15normal_iteratorINS9_10device_ptrIfEEEENSB_INSC_IiEEEEfNS9_4plusIvEEfEEDaPvRmT3_T4_T5_mT6_P12ihipStream_tbENKUlT_T0_E_clISt17integral_constantIbLb0EESW_EEDaSR_SS_EUlSR_E0_NS1_11comp_targetILNS1_3genE8ELNS1_11target_archE1030ELNS1_3gpuE2ELNS1_3repE0EEENS1_30default_config_static_selectorELNS0_4arch9wavefront6targetE1EEEvT1_,comdat
	.protected	_ZN7rocprim17ROCPRIM_400000_NS6detail17trampoline_kernelINS0_14default_configENS1_20scan_config_selectorIfEEZZNS1_9scan_implILNS1_25lookback_scan_determinismE0ELb1ELb1ES3_N6thrust23THRUST_200600_302600_NS6detail15normal_iteratorINS9_10device_ptrIfEEEENSB_INSC_IiEEEEfNS9_4plusIvEEfEEDaPvRmT3_T4_T5_mT6_P12ihipStream_tbENKUlT_T0_E_clISt17integral_constantIbLb0EESW_EEDaSR_SS_EUlSR_E0_NS1_11comp_targetILNS1_3genE8ELNS1_11target_archE1030ELNS1_3gpuE2ELNS1_3repE0EEENS1_30default_config_static_selectorELNS0_4arch9wavefront6targetE1EEEvT1_ ; -- Begin function _ZN7rocprim17ROCPRIM_400000_NS6detail17trampoline_kernelINS0_14default_configENS1_20scan_config_selectorIfEEZZNS1_9scan_implILNS1_25lookback_scan_determinismE0ELb1ELb1ES3_N6thrust23THRUST_200600_302600_NS6detail15normal_iteratorINS9_10device_ptrIfEEEENSB_INSC_IiEEEEfNS9_4plusIvEEfEEDaPvRmT3_T4_T5_mT6_P12ihipStream_tbENKUlT_T0_E_clISt17integral_constantIbLb0EESW_EEDaSR_SS_EUlSR_E0_NS1_11comp_targetILNS1_3genE8ELNS1_11target_archE1030ELNS1_3gpuE2ELNS1_3repE0EEENS1_30default_config_static_selectorELNS0_4arch9wavefront6targetE1EEEvT1_
	.globl	_ZN7rocprim17ROCPRIM_400000_NS6detail17trampoline_kernelINS0_14default_configENS1_20scan_config_selectorIfEEZZNS1_9scan_implILNS1_25lookback_scan_determinismE0ELb1ELb1ES3_N6thrust23THRUST_200600_302600_NS6detail15normal_iteratorINS9_10device_ptrIfEEEENSB_INSC_IiEEEEfNS9_4plusIvEEfEEDaPvRmT3_T4_T5_mT6_P12ihipStream_tbENKUlT_T0_E_clISt17integral_constantIbLb0EESW_EEDaSR_SS_EUlSR_E0_NS1_11comp_targetILNS1_3genE8ELNS1_11target_archE1030ELNS1_3gpuE2ELNS1_3repE0EEENS1_30default_config_static_selectorELNS0_4arch9wavefront6targetE1EEEvT1_
	.p2align	8
	.type	_ZN7rocprim17ROCPRIM_400000_NS6detail17trampoline_kernelINS0_14default_configENS1_20scan_config_selectorIfEEZZNS1_9scan_implILNS1_25lookback_scan_determinismE0ELb1ELb1ES3_N6thrust23THRUST_200600_302600_NS6detail15normal_iteratorINS9_10device_ptrIfEEEENSB_INSC_IiEEEEfNS9_4plusIvEEfEEDaPvRmT3_T4_T5_mT6_P12ihipStream_tbENKUlT_T0_E_clISt17integral_constantIbLb0EESW_EEDaSR_SS_EUlSR_E0_NS1_11comp_targetILNS1_3genE8ELNS1_11target_archE1030ELNS1_3gpuE2ELNS1_3repE0EEENS1_30default_config_static_selectorELNS0_4arch9wavefront6targetE1EEEvT1_,@function
_ZN7rocprim17ROCPRIM_400000_NS6detail17trampoline_kernelINS0_14default_configENS1_20scan_config_selectorIfEEZZNS1_9scan_implILNS1_25lookback_scan_determinismE0ELb1ELb1ES3_N6thrust23THRUST_200600_302600_NS6detail15normal_iteratorINS9_10device_ptrIfEEEENSB_INSC_IiEEEEfNS9_4plusIvEEfEEDaPvRmT3_T4_T5_mT6_P12ihipStream_tbENKUlT_T0_E_clISt17integral_constantIbLb0EESW_EEDaSR_SS_EUlSR_E0_NS1_11comp_targetILNS1_3genE8ELNS1_11target_archE1030ELNS1_3gpuE2ELNS1_3repE0EEENS1_30default_config_static_selectorELNS0_4arch9wavefront6targetE1EEEvT1_: ; @_ZN7rocprim17ROCPRIM_400000_NS6detail17trampoline_kernelINS0_14default_configENS1_20scan_config_selectorIfEEZZNS1_9scan_implILNS1_25lookback_scan_determinismE0ELb1ELb1ES3_N6thrust23THRUST_200600_302600_NS6detail15normal_iteratorINS9_10device_ptrIfEEEENSB_INSC_IiEEEEfNS9_4plusIvEEfEEDaPvRmT3_T4_T5_mT6_P12ihipStream_tbENKUlT_T0_E_clISt17integral_constantIbLb0EESW_EEDaSR_SS_EUlSR_E0_NS1_11comp_targetILNS1_3genE8ELNS1_11target_archE1030ELNS1_3gpuE2ELNS1_3repE0EEENS1_30default_config_static_selectorELNS0_4arch9wavefront6targetE1EEEvT1_
; %bb.0:
	.section	.rodata,"a",@progbits
	.p2align	6, 0x0
	.amdhsa_kernel _ZN7rocprim17ROCPRIM_400000_NS6detail17trampoline_kernelINS0_14default_configENS1_20scan_config_selectorIfEEZZNS1_9scan_implILNS1_25lookback_scan_determinismE0ELb1ELb1ES3_N6thrust23THRUST_200600_302600_NS6detail15normal_iteratorINS9_10device_ptrIfEEEENSB_INSC_IiEEEEfNS9_4plusIvEEfEEDaPvRmT3_T4_T5_mT6_P12ihipStream_tbENKUlT_T0_E_clISt17integral_constantIbLb0EESW_EEDaSR_SS_EUlSR_E0_NS1_11comp_targetILNS1_3genE8ELNS1_11target_archE1030ELNS1_3gpuE2ELNS1_3repE0EEENS1_30default_config_static_selectorELNS0_4arch9wavefront6targetE1EEEvT1_
		.amdhsa_group_segment_fixed_size 0
		.amdhsa_private_segment_fixed_size 0
		.amdhsa_kernarg_size 32
		.amdhsa_user_sgpr_count 6
		.amdhsa_user_sgpr_private_segment_buffer 1
		.amdhsa_user_sgpr_dispatch_ptr 0
		.amdhsa_user_sgpr_queue_ptr 0
		.amdhsa_user_sgpr_kernarg_segment_ptr 1
		.amdhsa_user_sgpr_dispatch_id 0
		.amdhsa_user_sgpr_flat_scratch_init 0
		.amdhsa_user_sgpr_kernarg_preload_length 0
		.amdhsa_user_sgpr_kernarg_preload_offset 0
		.amdhsa_user_sgpr_private_segment_size 0
		.amdhsa_uses_dynamic_stack 0
		.amdhsa_system_sgpr_private_segment_wavefront_offset 0
		.amdhsa_system_sgpr_workgroup_id_x 1
		.amdhsa_system_sgpr_workgroup_id_y 0
		.amdhsa_system_sgpr_workgroup_id_z 0
		.amdhsa_system_sgpr_workgroup_info 0
		.amdhsa_system_vgpr_workitem_id 0
		.amdhsa_next_free_vgpr 1
		.amdhsa_next_free_sgpr 0
		.amdhsa_accum_offset 4
		.amdhsa_reserve_vcc 0
		.amdhsa_reserve_flat_scratch 0
		.amdhsa_float_round_mode_32 0
		.amdhsa_float_round_mode_16_64 0
		.amdhsa_float_denorm_mode_32 3
		.amdhsa_float_denorm_mode_16_64 3
		.amdhsa_dx10_clamp 1
		.amdhsa_ieee_mode 1
		.amdhsa_fp16_overflow 0
		.amdhsa_tg_split 0
		.amdhsa_exception_fp_ieee_invalid_op 0
		.amdhsa_exception_fp_denorm_src 0
		.amdhsa_exception_fp_ieee_div_zero 0
		.amdhsa_exception_fp_ieee_overflow 0
		.amdhsa_exception_fp_ieee_underflow 0
		.amdhsa_exception_fp_ieee_inexact 0
		.amdhsa_exception_int_div_zero 0
	.end_amdhsa_kernel
	.section	.text._ZN7rocprim17ROCPRIM_400000_NS6detail17trampoline_kernelINS0_14default_configENS1_20scan_config_selectorIfEEZZNS1_9scan_implILNS1_25lookback_scan_determinismE0ELb1ELb1ES3_N6thrust23THRUST_200600_302600_NS6detail15normal_iteratorINS9_10device_ptrIfEEEENSB_INSC_IiEEEEfNS9_4plusIvEEfEEDaPvRmT3_T4_T5_mT6_P12ihipStream_tbENKUlT_T0_E_clISt17integral_constantIbLb0EESW_EEDaSR_SS_EUlSR_E0_NS1_11comp_targetILNS1_3genE8ELNS1_11target_archE1030ELNS1_3gpuE2ELNS1_3repE0EEENS1_30default_config_static_selectorELNS0_4arch9wavefront6targetE1EEEvT1_,"axG",@progbits,_ZN7rocprim17ROCPRIM_400000_NS6detail17trampoline_kernelINS0_14default_configENS1_20scan_config_selectorIfEEZZNS1_9scan_implILNS1_25lookback_scan_determinismE0ELb1ELb1ES3_N6thrust23THRUST_200600_302600_NS6detail15normal_iteratorINS9_10device_ptrIfEEEENSB_INSC_IiEEEEfNS9_4plusIvEEfEEDaPvRmT3_T4_T5_mT6_P12ihipStream_tbENKUlT_T0_E_clISt17integral_constantIbLb0EESW_EEDaSR_SS_EUlSR_E0_NS1_11comp_targetILNS1_3genE8ELNS1_11target_archE1030ELNS1_3gpuE2ELNS1_3repE0EEENS1_30default_config_static_selectorELNS0_4arch9wavefront6targetE1EEEvT1_,comdat
.Lfunc_end1586:
	.size	_ZN7rocprim17ROCPRIM_400000_NS6detail17trampoline_kernelINS0_14default_configENS1_20scan_config_selectorIfEEZZNS1_9scan_implILNS1_25lookback_scan_determinismE0ELb1ELb1ES3_N6thrust23THRUST_200600_302600_NS6detail15normal_iteratorINS9_10device_ptrIfEEEENSB_INSC_IiEEEEfNS9_4plusIvEEfEEDaPvRmT3_T4_T5_mT6_P12ihipStream_tbENKUlT_T0_E_clISt17integral_constantIbLb0EESW_EEDaSR_SS_EUlSR_E0_NS1_11comp_targetILNS1_3genE8ELNS1_11target_archE1030ELNS1_3gpuE2ELNS1_3repE0EEENS1_30default_config_static_selectorELNS0_4arch9wavefront6targetE1EEEvT1_, .Lfunc_end1586-_ZN7rocprim17ROCPRIM_400000_NS6detail17trampoline_kernelINS0_14default_configENS1_20scan_config_selectorIfEEZZNS1_9scan_implILNS1_25lookback_scan_determinismE0ELb1ELb1ES3_N6thrust23THRUST_200600_302600_NS6detail15normal_iteratorINS9_10device_ptrIfEEEENSB_INSC_IiEEEEfNS9_4plusIvEEfEEDaPvRmT3_T4_T5_mT6_P12ihipStream_tbENKUlT_T0_E_clISt17integral_constantIbLb0EESW_EEDaSR_SS_EUlSR_E0_NS1_11comp_targetILNS1_3genE8ELNS1_11target_archE1030ELNS1_3gpuE2ELNS1_3repE0EEENS1_30default_config_static_selectorELNS0_4arch9wavefront6targetE1EEEvT1_
                                        ; -- End function
	.section	.AMDGPU.csdata,"",@progbits
; Kernel info:
; codeLenInByte = 0
; NumSgprs: 4
; NumVgprs: 0
; NumAgprs: 0
; TotalNumVgprs: 0
; ScratchSize: 0
; MemoryBound: 0
; FloatMode: 240
; IeeeMode: 1
; LDSByteSize: 0 bytes/workgroup (compile time only)
; SGPRBlocks: 0
; VGPRBlocks: 0
; NumSGPRsForWavesPerEU: 4
; NumVGPRsForWavesPerEU: 1
; AccumOffset: 4
; Occupancy: 8
; WaveLimiterHint : 0
; COMPUTE_PGM_RSRC2:SCRATCH_EN: 0
; COMPUTE_PGM_RSRC2:USER_SGPR: 6
; COMPUTE_PGM_RSRC2:TRAP_HANDLER: 0
; COMPUTE_PGM_RSRC2:TGID_X_EN: 1
; COMPUTE_PGM_RSRC2:TGID_Y_EN: 0
; COMPUTE_PGM_RSRC2:TGID_Z_EN: 0
; COMPUTE_PGM_RSRC2:TIDIG_COMP_CNT: 0
; COMPUTE_PGM_RSRC3_GFX90A:ACCUM_OFFSET: 0
; COMPUTE_PGM_RSRC3_GFX90A:TG_SPLIT: 0
	.section	.text._ZN7rocprim17ROCPRIM_400000_NS6detail17trampoline_kernelINS0_14default_configENS1_20scan_config_selectorIfEEZZNS1_9scan_implILNS1_25lookback_scan_determinismE0ELb1ELb1ES3_N6thrust23THRUST_200600_302600_NS6detail15normal_iteratorINS9_10device_ptrIfEEEENSB_INSC_IiEEEEfNS9_4plusIvEEfEEDaPvRmT3_T4_T5_mT6_P12ihipStream_tbENKUlT_T0_E_clISt17integral_constantIbLb1EESW_EEDaSR_SS_EUlSR_E_NS1_11comp_targetILNS1_3genE0ELNS1_11target_archE4294967295ELNS1_3gpuE0ELNS1_3repE0EEENS1_30default_config_static_selectorELNS0_4arch9wavefront6targetE1EEEvT1_,"axG",@progbits,_ZN7rocprim17ROCPRIM_400000_NS6detail17trampoline_kernelINS0_14default_configENS1_20scan_config_selectorIfEEZZNS1_9scan_implILNS1_25lookback_scan_determinismE0ELb1ELb1ES3_N6thrust23THRUST_200600_302600_NS6detail15normal_iteratorINS9_10device_ptrIfEEEENSB_INSC_IiEEEEfNS9_4plusIvEEfEEDaPvRmT3_T4_T5_mT6_P12ihipStream_tbENKUlT_T0_E_clISt17integral_constantIbLb1EESW_EEDaSR_SS_EUlSR_E_NS1_11comp_targetILNS1_3genE0ELNS1_11target_archE4294967295ELNS1_3gpuE0ELNS1_3repE0EEENS1_30default_config_static_selectorELNS0_4arch9wavefront6targetE1EEEvT1_,comdat
	.protected	_ZN7rocprim17ROCPRIM_400000_NS6detail17trampoline_kernelINS0_14default_configENS1_20scan_config_selectorIfEEZZNS1_9scan_implILNS1_25lookback_scan_determinismE0ELb1ELb1ES3_N6thrust23THRUST_200600_302600_NS6detail15normal_iteratorINS9_10device_ptrIfEEEENSB_INSC_IiEEEEfNS9_4plusIvEEfEEDaPvRmT3_T4_T5_mT6_P12ihipStream_tbENKUlT_T0_E_clISt17integral_constantIbLb1EESW_EEDaSR_SS_EUlSR_E_NS1_11comp_targetILNS1_3genE0ELNS1_11target_archE4294967295ELNS1_3gpuE0ELNS1_3repE0EEENS1_30default_config_static_selectorELNS0_4arch9wavefront6targetE1EEEvT1_ ; -- Begin function _ZN7rocprim17ROCPRIM_400000_NS6detail17trampoline_kernelINS0_14default_configENS1_20scan_config_selectorIfEEZZNS1_9scan_implILNS1_25lookback_scan_determinismE0ELb1ELb1ES3_N6thrust23THRUST_200600_302600_NS6detail15normal_iteratorINS9_10device_ptrIfEEEENSB_INSC_IiEEEEfNS9_4plusIvEEfEEDaPvRmT3_T4_T5_mT6_P12ihipStream_tbENKUlT_T0_E_clISt17integral_constantIbLb1EESW_EEDaSR_SS_EUlSR_E_NS1_11comp_targetILNS1_3genE0ELNS1_11target_archE4294967295ELNS1_3gpuE0ELNS1_3repE0EEENS1_30default_config_static_selectorELNS0_4arch9wavefront6targetE1EEEvT1_
	.globl	_ZN7rocprim17ROCPRIM_400000_NS6detail17trampoline_kernelINS0_14default_configENS1_20scan_config_selectorIfEEZZNS1_9scan_implILNS1_25lookback_scan_determinismE0ELb1ELb1ES3_N6thrust23THRUST_200600_302600_NS6detail15normal_iteratorINS9_10device_ptrIfEEEENSB_INSC_IiEEEEfNS9_4plusIvEEfEEDaPvRmT3_T4_T5_mT6_P12ihipStream_tbENKUlT_T0_E_clISt17integral_constantIbLb1EESW_EEDaSR_SS_EUlSR_E_NS1_11comp_targetILNS1_3genE0ELNS1_11target_archE4294967295ELNS1_3gpuE0ELNS1_3repE0EEENS1_30default_config_static_selectorELNS0_4arch9wavefront6targetE1EEEvT1_
	.p2align	8
	.type	_ZN7rocprim17ROCPRIM_400000_NS6detail17trampoline_kernelINS0_14default_configENS1_20scan_config_selectorIfEEZZNS1_9scan_implILNS1_25lookback_scan_determinismE0ELb1ELb1ES3_N6thrust23THRUST_200600_302600_NS6detail15normal_iteratorINS9_10device_ptrIfEEEENSB_INSC_IiEEEEfNS9_4plusIvEEfEEDaPvRmT3_T4_T5_mT6_P12ihipStream_tbENKUlT_T0_E_clISt17integral_constantIbLb1EESW_EEDaSR_SS_EUlSR_E_NS1_11comp_targetILNS1_3genE0ELNS1_11target_archE4294967295ELNS1_3gpuE0ELNS1_3repE0EEENS1_30default_config_static_selectorELNS0_4arch9wavefront6targetE1EEEvT1_,@function
_ZN7rocprim17ROCPRIM_400000_NS6detail17trampoline_kernelINS0_14default_configENS1_20scan_config_selectorIfEEZZNS1_9scan_implILNS1_25lookback_scan_determinismE0ELb1ELb1ES3_N6thrust23THRUST_200600_302600_NS6detail15normal_iteratorINS9_10device_ptrIfEEEENSB_INSC_IiEEEEfNS9_4plusIvEEfEEDaPvRmT3_T4_T5_mT6_P12ihipStream_tbENKUlT_T0_E_clISt17integral_constantIbLb1EESW_EEDaSR_SS_EUlSR_E_NS1_11comp_targetILNS1_3genE0ELNS1_11target_archE4294967295ELNS1_3gpuE0ELNS1_3repE0EEENS1_30default_config_static_selectorELNS0_4arch9wavefront6targetE1EEEvT1_: ; @_ZN7rocprim17ROCPRIM_400000_NS6detail17trampoline_kernelINS0_14default_configENS1_20scan_config_selectorIfEEZZNS1_9scan_implILNS1_25lookback_scan_determinismE0ELb1ELb1ES3_N6thrust23THRUST_200600_302600_NS6detail15normal_iteratorINS9_10device_ptrIfEEEENSB_INSC_IiEEEEfNS9_4plusIvEEfEEDaPvRmT3_T4_T5_mT6_P12ihipStream_tbENKUlT_T0_E_clISt17integral_constantIbLb1EESW_EEDaSR_SS_EUlSR_E_NS1_11comp_targetILNS1_3genE0ELNS1_11target_archE4294967295ELNS1_3gpuE0ELNS1_3repE0EEENS1_30default_config_static_selectorELNS0_4arch9wavefront6targetE1EEEvT1_
; %bb.0:
	.section	.rodata,"a",@progbits
	.p2align	6, 0x0
	.amdhsa_kernel _ZN7rocprim17ROCPRIM_400000_NS6detail17trampoline_kernelINS0_14default_configENS1_20scan_config_selectorIfEEZZNS1_9scan_implILNS1_25lookback_scan_determinismE0ELb1ELb1ES3_N6thrust23THRUST_200600_302600_NS6detail15normal_iteratorINS9_10device_ptrIfEEEENSB_INSC_IiEEEEfNS9_4plusIvEEfEEDaPvRmT3_T4_T5_mT6_P12ihipStream_tbENKUlT_T0_E_clISt17integral_constantIbLb1EESW_EEDaSR_SS_EUlSR_E_NS1_11comp_targetILNS1_3genE0ELNS1_11target_archE4294967295ELNS1_3gpuE0ELNS1_3repE0EEENS1_30default_config_static_selectorELNS0_4arch9wavefront6targetE1EEEvT1_
		.amdhsa_group_segment_fixed_size 0
		.amdhsa_private_segment_fixed_size 0
		.amdhsa_kernarg_size 96
		.amdhsa_user_sgpr_count 6
		.amdhsa_user_sgpr_private_segment_buffer 1
		.amdhsa_user_sgpr_dispatch_ptr 0
		.amdhsa_user_sgpr_queue_ptr 0
		.amdhsa_user_sgpr_kernarg_segment_ptr 1
		.amdhsa_user_sgpr_dispatch_id 0
		.amdhsa_user_sgpr_flat_scratch_init 0
		.amdhsa_user_sgpr_kernarg_preload_length 0
		.amdhsa_user_sgpr_kernarg_preload_offset 0
		.amdhsa_user_sgpr_private_segment_size 0
		.amdhsa_uses_dynamic_stack 0
		.amdhsa_system_sgpr_private_segment_wavefront_offset 0
		.amdhsa_system_sgpr_workgroup_id_x 1
		.amdhsa_system_sgpr_workgroup_id_y 0
		.amdhsa_system_sgpr_workgroup_id_z 0
		.amdhsa_system_sgpr_workgroup_info 0
		.amdhsa_system_vgpr_workitem_id 0
		.amdhsa_next_free_vgpr 1
		.amdhsa_next_free_sgpr 0
		.amdhsa_accum_offset 4
		.amdhsa_reserve_vcc 0
		.amdhsa_reserve_flat_scratch 0
		.amdhsa_float_round_mode_32 0
		.amdhsa_float_round_mode_16_64 0
		.amdhsa_float_denorm_mode_32 3
		.amdhsa_float_denorm_mode_16_64 3
		.amdhsa_dx10_clamp 1
		.amdhsa_ieee_mode 1
		.amdhsa_fp16_overflow 0
		.amdhsa_tg_split 0
		.amdhsa_exception_fp_ieee_invalid_op 0
		.amdhsa_exception_fp_denorm_src 0
		.amdhsa_exception_fp_ieee_div_zero 0
		.amdhsa_exception_fp_ieee_overflow 0
		.amdhsa_exception_fp_ieee_underflow 0
		.amdhsa_exception_fp_ieee_inexact 0
		.amdhsa_exception_int_div_zero 0
	.end_amdhsa_kernel
	.section	.text._ZN7rocprim17ROCPRIM_400000_NS6detail17trampoline_kernelINS0_14default_configENS1_20scan_config_selectorIfEEZZNS1_9scan_implILNS1_25lookback_scan_determinismE0ELb1ELb1ES3_N6thrust23THRUST_200600_302600_NS6detail15normal_iteratorINS9_10device_ptrIfEEEENSB_INSC_IiEEEEfNS9_4plusIvEEfEEDaPvRmT3_T4_T5_mT6_P12ihipStream_tbENKUlT_T0_E_clISt17integral_constantIbLb1EESW_EEDaSR_SS_EUlSR_E_NS1_11comp_targetILNS1_3genE0ELNS1_11target_archE4294967295ELNS1_3gpuE0ELNS1_3repE0EEENS1_30default_config_static_selectorELNS0_4arch9wavefront6targetE1EEEvT1_,"axG",@progbits,_ZN7rocprim17ROCPRIM_400000_NS6detail17trampoline_kernelINS0_14default_configENS1_20scan_config_selectorIfEEZZNS1_9scan_implILNS1_25lookback_scan_determinismE0ELb1ELb1ES3_N6thrust23THRUST_200600_302600_NS6detail15normal_iteratorINS9_10device_ptrIfEEEENSB_INSC_IiEEEEfNS9_4plusIvEEfEEDaPvRmT3_T4_T5_mT6_P12ihipStream_tbENKUlT_T0_E_clISt17integral_constantIbLb1EESW_EEDaSR_SS_EUlSR_E_NS1_11comp_targetILNS1_3genE0ELNS1_11target_archE4294967295ELNS1_3gpuE0ELNS1_3repE0EEENS1_30default_config_static_selectorELNS0_4arch9wavefront6targetE1EEEvT1_,comdat
.Lfunc_end1587:
	.size	_ZN7rocprim17ROCPRIM_400000_NS6detail17trampoline_kernelINS0_14default_configENS1_20scan_config_selectorIfEEZZNS1_9scan_implILNS1_25lookback_scan_determinismE0ELb1ELb1ES3_N6thrust23THRUST_200600_302600_NS6detail15normal_iteratorINS9_10device_ptrIfEEEENSB_INSC_IiEEEEfNS9_4plusIvEEfEEDaPvRmT3_T4_T5_mT6_P12ihipStream_tbENKUlT_T0_E_clISt17integral_constantIbLb1EESW_EEDaSR_SS_EUlSR_E_NS1_11comp_targetILNS1_3genE0ELNS1_11target_archE4294967295ELNS1_3gpuE0ELNS1_3repE0EEENS1_30default_config_static_selectorELNS0_4arch9wavefront6targetE1EEEvT1_, .Lfunc_end1587-_ZN7rocprim17ROCPRIM_400000_NS6detail17trampoline_kernelINS0_14default_configENS1_20scan_config_selectorIfEEZZNS1_9scan_implILNS1_25lookback_scan_determinismE0ELb1ELb1ES3_N6thrust23THRUST_200600_302600_NS6detail15normal_iteratorINS9_10device_ptrIfEEEENSB_INSC_IiEEEEfNS9_4plusIvEEfEEDaPvRmT3_T4_T5_mT6_P12ihipStream_tbENKUlT_T0_E_clISt17integral_constantIbLb1EESW_EEDaSR_SS_EUlSR_E_NS1_11comp_targetILNS1_3genE0ELNS1_11target_archE4294967295ELNS1_3gpuE0ELNS1_3repE0EEENS1_30default_config_static_selectorELNS0_4arch9wavefront6targetE1EEEvT1_
                                        ; -- End function
	.section	.AMDGPU.csdata,"",@progbits
; Kernel info:
; codeLenInByte = 0
; NumSgprs: 4
; NumVgprs: 0
; NumAgprs: 0
; TotalNumVgprs: 0
; ScratchSize: 0
; MemoryBound: 0
; FloatMode: 240
; IeeeMode: 1
; LDSByteSize: 0 bytes/workgroup (compile time only)
; SGPRBlocks: 0
; VGPRBlocks: 0
; NumSGPRsForWavesPerEU: 4
; NumVGPRsForWavesPerEU: 1
; AccumOffset: 4
; Occupancy: 8
; WaveLimiterHint : 0
; COMPUTE_PGM_RSRC2:SCRATCH_EN: 0
; COMPUTE_PGM_RSRC2:USER_SGPR: 6
; COMPUTE_PGM_RSRC2:TRAP_HANDLER: 0
; COMPUTE_PGM_RSRC2:TGID_X_EN: 1
; COMPUTE_PGM_RSRC2:TGID_Y_EN: 0
; COMPUTE_PGM_RSRC2:TGID_Z_EN: 0
; COMPUTE_PGM_RSRC2:TIDIG_COMP_CNT: 0
; COMPUTE_PGM_RSRC3_GFX90A:ACCUM_OFFSET: 0
; COMPUTE_PGM_RSRC3_GFX90A:TG_SPLIT: 0
	.section	.text._ZN7rocprim17ROCPRIM_400000_NS6detail17trampoline_kernelINS0_14default_configENS1_20scan_config_selectorIfEEZZNS1_9scan_implILNS1_25lookback_scan_determinismE0ELb1ELb1ES3_N6thrust23THRUST_200600_302600_NS6detail15normal_iteratorINS9_10device_ptrIfEEEENSB_INSC_IiEEEEfNS9_4plusIvEEfEEDaPvRmT3_T4_T5_mT6_P12ihipStream_tbENKUlT_T0_E_clISt17integral_constantIbLb1EESW_EEDaSR_SS_EUlSR_E_NS1_11comp_targetILNS1_3genE5ELNS1_11target_archE942ELNS1_3gpuE9ELNS1_3repE0EEENS1_30default_config_static_selectorELNS0_4arch9wavefront6targetE1EEEvT1_,"axG",@progbits,_ZN7rocprim17ROCPRIM_400000_NS6detail17trampoline_kernelINS0_14default_configENS1_20scan_config_selectorIfEEZZNS1_9scan_implILNS1_25lookback_scan_determinismE0ELb1ELb1ES3_N6thrust23THRUST_200600_302600_NS6detail15normal_iteratorINS9_10device_ptrIfEEEENSB_INSC_IiEEEEfNS9_4plusIvEEfEEDaPvRmT3_T4_T5_mT6_P12ihipStream_tbENKUlT_T0_E_clISt17integral_constantIbLb1EESW_EEDaSR_SS_EUlSR_E_NS1_11comp_targetILNS1_3genE5ELNS1_11target_archE942ELNS1_3gpuE9ELNS1_3repE0EEENS1_30default_config_static_selectorELNS0_4arch9wavefront6targetE1EEEvT1_,comdat
	.protected	_ZN7rocprim17ROCPRIM_400000_NS6detail17trampoline_kernelINS0_14default_configENS1_20scan_config_selectorIfEEZZNS1_9scan_implILNS1_25lookback_scan_determinismE0ELb1ELb1ES3_N6thrust23THRUST_200600_302600_NS6detail15normal_iteratorINS9_10device_ptrIfEEEENSB_INSC_IiEEEEfNS9_4plusIvEEfEEDaPvRmT3_T4_T5_mT6_P12ihipStream_tbENKUlT_T0_E_clISt17integral_constantIbLb1EESW_EEDaSR_SS_EUlSR_E_NS1_11comp_targetILNS1_3genE5ELNS1_11target_archE942ELNS1_3gpuE9ELNS1_3repE0EEENS1_30default_config_static_selectorELNS0_4arch9wavefront6targetE1EEEvT1_ ; -- Begin function _ZN7rocprim17ROCPRIM_400000_NS6detail17trampoline_kernelINS0_14default_configENS1_20scan_config_selectorIfEEZZNS1_9scan_implILNS1_25lookback_scan_determinismE0ELb1ELb1ES3_N6thrust23THRUST_200600_302600_NS6detail15normal_iteratorINS9_10device_ptrIfEEEENSB_INSC_IiEEEEfNS9_4plusIvEEfEEDaPvRmT3_T4_T5_mT6_P12ihipStream_tbENKUlT_T0_E_clISt17integral_constantIbLb1EESW_EEDaSR_SS_EUlSR_E_NS1_11comp_targetILNS1_3genE5ELNS1_11target_archE942ELNS1_3gpuE9ELNS1_3repE0EEENS1_30default_config_static_selectorELNS0_4arch9wavefront6targetE1EEEvT1_
	.globl	_ZN7rocprim17ROCPRIM_400000_NS6detail17trampoline_kernelINS0_14default_configENS1_20scan_config_selectorIfEEZZNS1_9scan_implILNS1_25lookback_scan_determinismE0ELb1ELb1ES3_N6thrust23THRUST_200600_302600_NS6detail15normal_iteratorINS9_10device_ptrIfEEEENSB_INSC_IiEEEEfNS9_4plusIvEEfEEDaPvRmT3_T4_T5_mT6_P12ihipStream_tbENKUlT_T0_E_clISt17integral_constantIbLb1EESW_EEDaSR_SS_EUlSR_E_NS1_11comp_targetILNS1_3genE5ELNS1_11target_archE942ELNS1_3gpuE9ELNS1_3repE0EEENS1_30default_config_static_selectorELNS0_4arch9wavefront6targetE1EEEvT1_
	.p2align	8
	.type	_ZN7rocprim17ROCPRIM_400000_NS6detail17trampoline_kernelINS0_14default_configENS1_20scan_config_selectorIfEEZZNS1_9scan_implILNS1_25lookback_scan_determinismE0ELb1ELb1ES3_N6thrust23THRUST_200600_302600_NS6detail15normal_iteratorINS9_10device_ptrIfEEEENSB_INSC_IiEEEEfNS9_4plusIvEEfEEDaPvRmT3_T4_T5_mT6_P12ihipStream_tbENKUlT_T0_E_clISt17integral_constantIbLb1EESW_EEDaSR_SS_EUlSR_E_NS1_11comp_targetILNS1_3genE5ELNS1_11target_archE942ELNS1_3gpuE9ELNS1_3repE0EEENS1_30default_config_static_selectorELNS0_4arch9wavefront6targetE1EEEvT1_,@function
_ZN7rocprim17ROCPRIM_400000_NS6detail17trampoline_kernelINS0_14default_configENS1_20scan_config_selectorIfEEZZNS1_9scan_implILNS1_25lookback_scan_determinismE0ELb1ELb1ES3_N6thrust23THRUST_200600_302600_NS6detail15normal_iteratorINS9_10device_ptrIfEEEENSB_INSC_IiEEEEfNS9_4plusIvEEfEEDaPvRmT3_T4_T5_mT6_P12ihipStream_tbENKUlT_T0_E_clISt17integral_constantIbLb1EESW_EEDaSR_SS_EUlSR_E_NS1_11comp_targetILNS1_3genE5ELNS1_11target_archE942ELNS1_3gpuE9ELNS1_3repE0EEENS1_30default_config_static_selectorELNS0_4arch9wavefront6targetE1EEEvT1_: ; @_ZN7rocprim17ROCPRIM_400000_NS6detail17trampoline_kernelINS0_14default_configENS1_20scan_config_selectorIfEEZZNS1_9scan_implILNS1_25lookback_scan_determinismE0ELb1ELb1ES3_N6thrust23THRUST_200600_302600_NS6detail15normal_iteratorINS9_10device_ptrIfEEEENSB_INSC_IiEEEEfNS9_4plusIvEEfEEDaPvRmT3_T4_T5_mT6_P12ihipStream_tbENKUlT_T0_E_clISt17integral_constantIbLb1EESW_EEDaSR_SS_EUlSR_E_NS1_11comp_targetILNS1_3genE5ELNS1_11target_archE942ELNS1_3gpuE9ELNS1_3repE0EEENS1_30default_config_static_selectorELNS0_4arch9wavefront6targetE1EEEvT1_
; %bb.0:
	.section	.rodata,"a",@progbits
	.p2align	6, 0x0
	.amdhsa_kernel _ZN7rocprim17ROCPRIM_400000_NS6detail17trampoline_kernelINS0_14default_configENS1_20scan_config_selectorIfEEZZNS1_9scan_implILNS1_25lookback_scan_determinismE0ELb1ELb1ES3_N6thrust23THRUST_200600_302600_NS6detail15normal_iteratorINS9_10device_ptrIfEEEENSB_INSC_IiEEEEfNS9_4plusIvEEfEEDaPvRmT3_T4_T5_mT6_P12ihipStream_tbENKUlT_T0_E_clISt17integral_constantIbLb1EESW_EEDaSR_SS_EUlSR_E_NS1_11comp_targetILNS1_3genE5ELNS1_11target_archE942ELNS1_3gpuE9ELNS1_3repE0EEENS1_30default_config_static_selectorELNS0_4arch9wavefront6targetE1EEEvT1_
		.amdhsa_group_segment_fixed_size 0
		.amdhsa_private_segment_fixed_size 0
		.amdhsa_kernarg_size 96
		.amdhsa_user_sgpr_count 6
		.amdhsa_user_sgpr_private_segment_buffer 1
		.amdhsa_user_sgpr_dispatch_ptr 0
		.amdhsa_user_sgpr_queue_ptr 0
		.amdhsa_user_sgpr_kernarg_segment_ptr 1
		.amdhsa_user_sgpr_dispatch_id 0
		.amdhsa_user_sgpr_flat_scratch_init 0
		.amdhsa_user_sgpr_kernarg_preload_length 0
		.amdhsa_user_sgpr_kernarg_preload_offset 0
		.amdhsa_user_sgpr_private_segment_size 0
		.amdhsa_uses_dynamic_stack 0
		.amdhsa_system_sgpr_private_segment_wavefront_offset 0
		.amdhsa_system_sgpr_workgroup_id_x 1
		.amdhsa_system_sgpr_workgroup_id_y 0
		.amdhsa_system_sgpr_workgroup_id_z 0
		.amdhsa_system_sgpr_workgroup_info 0
		.amdhsa_system_vgpr_workitem_id 0
		.amdhsa_next_free_vgpr 1
		.amdhsa_next_free_sgpr 0
		.amdhsa_accum_offset 4
		.amdhsa_reserve_vcc 0
		.amdhsa_reserve_flat_scratch 0
		.amdhsa_float_round_mode_32 0
		.amdhsa_float_round_mode_16_64 0
		.amdhsa_float_denorm_mode_32 3
		.amdhsa_float_denorm_mode_16_64 3
		.amdhsa_dx10_clamp 1
		.amdhsa_ieee_mode 1
		.amdhsa_fp16_overflow 0
		.amdhsa_tg_split 0
		.amdhsa_exception_fp_ieee_invalid_op 0
		.amdhsa_exception_fp_denorm_src 0
		.amdhsa_exception_fp_ieee_div_zero 0
		.amdhsa_exception_fp_ieee_overflow 0
		.amdhsa_exception_fp_ieee_underflow 0
		.amdhsa_exception_fp_ieee_inexact 0
		.amdhsa_exception_int_div_zero 0
	.end_amdhsa_kernel
	.section	.text._ZN7rocprim17ROCPRIM_400000_NS6detail17trampoline_kernelINS0_14default_configENS1_20scan_config_selectorIfEEZZNS1_9scan_implILNS1_25lookback_scan_determinismE0ELb1ELb1ES3_N6thrust23THRUST_200600_302600_NS6detail15normal_iteratorINS9_10device_ptrIfEEEENSB_INSC_IiEEEEfNS9_4plusIvEEfEEDaPvRmT3_T4_T5_mT6_P12ihipStream_tbENKUlT_T0_E_clISt17integral_constantIbLb1EESW_EEDaSR_SS_EUlSR_E_NS1_11comp_targetILNS1_3genE5ELNS1_11target_archE942ELNS1_3gpuE9ELNS1_3repE0EEENS1_30default_config_static_selectorELNS0_4arch9wavefront6targetE1EEEvT1_,"axG",@progbits,_ZN7rocprim17ROCPRIM_400000_NS6detail17trampoline_kernelINS0_14default_configENS1_20scan_config_selectorIfEEZZNS1_9scan_implILNS1_25lookback_scan_determinismE0ELb1ELb1ES3_N6thrust23THRUST_200600_302600_NS6detail15normal_iteratorINS9_10device_ptrIfEEEENSB_INSC_IiEEEEfNS9_4plusIvEEfEEDaPvRmT3_T4_T5_mT6_P12ihipStream_tbENKUlT_T0_E_clISt17integral_constantIbLb1EESW_EEDaSR_SS_EUlSR_E_NS1_11comp_targetILNS1_3genE5ELNS1_11target_archE942ELNS1_3gpuE9ELNS1_3repE0EEENS1_30default_config_static_selectorELNS0_4arch9wavefront6targetE1EEEvT1_,comdat
.Lfunc_end1588:
	.size	_ZN7rocprim17ROCPRIM_400000_NS6detail17trampoline_kernelINS0_14default_configENS1_20scan_config_selectorIfEEZZNS1_9scan_implILNS1_25lookback_scan_determinismE0ELb1ELb1ES3_N6thrust23THRUST_200600_302600_NS6detail15normal_iteratorINS9_10device_ptrIfEEEENSB_INSC_IiEEEEfNS9_4plusIvEEfEEDaPvRmT3_T4_T5_mT6_P12ihipStream_tbENKUlT_T0_E_clISt17integral_constantIbLb1EESW_EEDaSR_SS_EUlSR_E_NS1_11comp_targetILNS1_3genE5ELNS1_11target_archE942ELNS1_3gpuE9ELNS1_3repE0EEENS1_30default_config_static_selectorELNS0_4arch9wavefront6targetE1EEEvT1_, .Lfunc_end1588-_ZN7rocprim17ROCPRIM_400000_NS6detail17trampoline_kernelINS0_14default_configENS1_20scan_config_selectorIfEEZZNS1_9scan_implILNS1_25lookback_scan_determinismE0ELb1ELb1ES3_N6thrust23THRUST_200600_302600_NS6detail15normal_iteratorINS9_10device_ptrIfEEEENSB_INSC_IiEEEEfNS9_4plusIvEEfEEDaPvRmT3_T4_T5_mT6_P12ihipStream_tbENKUlT_T0_E_clISt17integral_constantIbLb1EESW_EEDaSR_SS_EUlSR_E_NS1_11comp_targetILNS1_3genE5ELNS1_11target_archE942ELNS1_3gpuE9ELNS1_3repE0EEENS1_30default_config_static_selectorELNS0_4arch9wavefront6targetE1EEEvT1_
                                        ; -- End function
	.section	.AMDGPU.csdata,"",@progbits
; Kernel info:
; codeLenInByte = 0
; NumSgprs: 4
; NumVgprs: 0
; NumAgprs: 0
; TotalNumVgprs: 0
; ScratchSize: 0
; MemoryBound: 0
; FloatMode: 240
; IeeeMode: 1
; LDSByteSize: 0 bytes/workgroup (compile time only)
; SGPRBlocks: 0
; VGPRBlocks: 0
; NumSGPRsForWavesPerEU: 4
; NumVGPRsForWavesPerEU: 1
; AccumOffset: 4
; Occupancy: 8
; WaveLimiterHint : 0
; COMPUTE_PGM_RSRC2:SCRATCH_EN: 0
; COMPUTE_PGM_RSRC2:USER_SGPR: 6
; COMPUTE_PGM_RSRC2:TRAP_HANDLER: 0
; COMPUTE_PGM_RSRC2:TGID_X_EN: 1
; COMPUTE_PGM_RSRC2:TGID_Y_EN: 0
; COMPUTE_PGM_RSRC2:TGID_Z_EN: 0
; COMPUTE_PGM_RSRC2:TIDIG_COMP_CNT: 0
; COMPUTE_PGM_RSRC3_GFX90A:ACCUM_OFFSET: 0
; COMPUTE_PGM_RSRC3_GFX90A:TG_SPLIT: 0
	.section	.text._ZN7rocprim17ROCPRIM_400000_NS6detail17trampoline_kernelINS0_14default_configENS1_20scan_config_selectorIfEEZZNS1_9scan_implILNS1_25lookback_scan_determinismE0ELb1ELb1ES3_N6thrust23THRUST_200600_302600_NS6detail15normal_iteratorINS9_10device_ptrIfEEEENSB_INSC_IiEEEEfNS9_4plusIvEEfEEDaPvRmT3_T4_T5_mT6_P12ihipStream_tbENKUlT_T0_E_clISt17integral_constantIbLb1EESW_EEDaSR_SS_EUlSR_E_NS1_11comp_targetILNS1_3genE4ELNS1_11target_archE910ELNS1_3gpuE8ELNS1_3repE0EEENS1_30default_config_static_selectorELNS0_4arch9wavefront6targetE1EEEvT1_,"axG",@progbits,_ZN7rocprim17ROCPRIM_400000_NS6detail17trampoline_kernelINS0_14default_configENS1_20scan_config_selectorIfEEZZNS1_9scan_implILNS1_25lookback_scan_determinismE0ELb1ELb1ES3_N6thrust23THRUST_200600_302600_NS6detail15normal_iteratorINS9_10device_ptrIfEEEENSB_INSC_IiEEEEfNS9_4plusIvEEfEEDaPvRmT3_T4_T5_mT6_P12ihipStream_tbENKUlT_T0_E_clISt17integral_constantIbLb1EESW_EEDaSR_SS_EUlSR_E_NS1_11comp_targetILNS1_3genE4ELNS1_11target_archE910ELNS1_3gpuE8ELNS1_3repE0EEENS1_30default_config_static_selectorELNS0_4arch9wavefront6targetE1EEEvT1_,comdat
	.protected	_ZN7rocprim17ROCPRIM_400000_NS6detail17trampoline_kernelINS0_14default_configENS1_20scan_config_selectorIfEEZZNS1_9scan_implILNS1_25lookback_scan_determinismE0ELb1ELb1ES3_N6thrust23THRUST_200600_302600_NS6detail15normal_iteratorINS9_10device_ptrIfEEEENSB_INSC_IiEEEEfNS9_4plusIvEEfEEDaPvRmT3_T4_T5_mT6_P12ihipStream_tbENKUlT_T0_E_clISt17integral_constantIbLb1EESW_EEDaSR_SS_EUlSR_E_NS1_11comp_targetILNS1_3genE4ELNS1_11target_archE910ELNS1_3gpuE8ELNS1_3repE0EEENS1_30default_config_static_selectorELNS0_4arch9wavefront6targetE1EEEvT1_ ; -- Begin function _ZN7rocprim17ROCPRIM_400000_NS6detail17trampoline_kernelINS0_14default_configENS1_20scan_config_selectorIfEEZZNS1_9scan_implILNS1_25lookback_scan_determinismE0ELb1ELb1ES3_N6thrust23THRUST_200600_302600_NS6detail15normal_iteratorINS9_10device_ptrIfEEEENSB_INSC_IiEEEEfNS9_4plusIvEEfEEDaPvRmT3_T4_T5_mT6_P12ihipStream_tbENKUlT_T0_E_clISt17integral_constantIbLb1EESW_EEDaSR_SS_EUlSR_E_NS1_11comp_targetILNS1_3genE4ELNS1_11target_archE910ELNS1_3gpuE8ELNS1_3repE0EEENS1_30default_config_static_selectorELNS0_4arch9wavefront6targetE1EEEvT1_
	.globl	_ZN7rocprim17ROCPRIM_400000_NS6detail17trampoline_kernelINS0_14default_configENS1_20scan_config_selectorIfEEZZNS1_9scan_implILNS1_25lookback_scan_determinismE0ELb1ELb1ES3_N6thrust23THRUST_200600_302600_NS6detail15normal_iteratorINS9_10device_ptrIfEEEENSB_INSC_IiEEEEfNS9_4plusIvEEfEEDaPvRmT3_T4_T5_mT6_P12ihipStream_tbENKUlT_T0_E_clISt17integral_constantIbLb1EESW_EEDaSR_SS_EUlSR_E_NS1_11comp_targetILNS1_3genE4ELNS1_11target_archE910ELNS1_3gpuE8ELNS1_3repE0EEENS1_30default_config_static_selectorELNS0_4arch9wavefront6targetE1EEEvT1_
	.p2align	8
	.type	_ZN7rocprim17ROCPRIM_400000_NS6detail17trampoline_kernelINS0_14default_configENS1_20scan_config_selectorIfEEZZNS1_9scan_implILNS1_25lookback_scan_determinismE0ELb1ELb1ES3_N6thrust23THRUST_200600_302600_NS6detail15normal_iteratorINS9_10device_ptrIfEEEENSB_INSC_IiEEEEfNS9_4plusIvEEfEEDaPvRmT3_T4_T5_mT6_P12ihipStream_tbENKUlT_T0_E_clISt17integral_constantIbLb1EESW_EEDaSR_SS_EUlSR_E_NS1_11comp_targetILNS1_3genE4ELNS1_11target_archE910ELNS1_3gpuE8ELNS1_3repE0EEENS1_30default_config_static_selectorELNS0_4arch9wavefront6targetE1EEEvT1_,@function
_ZN7rocprim17ROCPRIM_400000_NS6detail17trampoline_kernelINS0_14default_configENS1_20scan_config_selectorIfEEZZNS1_9scan_implILNS1_25lookback_scan_determinismE0ELb1ELb1ES3_N6thrust23THRUST_200600_302600_NS6detail15normal_iteratorINS9_10device_ptrIfEEEENSB_INSC_IiEEEEfNS9_4plusIvEEfEEDaPvRmT3_T4_T5_mT6_P12ihipStream_tbENKUlT_T0_E_clISt17integral_constantIbLb1EESW_EEDaSR_SS_EUlSR_E_NS1_11comp_targetILNS1_3genE4ELNS1_11target_archE910ELNS1_3gpuE8ELNS1_3repE0EEENS1_30default_config_static_selectorELNS0_4arch9wavefront6targetE1EEEvT1_: ; @_ZN7rocprim17ROCPRIM_400000_NS6detail17trampoline_kernelINS0_14default_configENS1_20scan_config_selectorIfEEZZNS1_9scan_implILNS1_25lookback_scan_determinismE0ELb1ELb1ES3_N6thrust23THRUST_200600_302600_NS6detail15normal_iteratorINS9_10device_ptrIfEEEENSB_INSC_IiEEEEfNS9_4plusIvEEfEEDaPvRmT3_T4_T5_mT6_P12ihipStream_tbENKUlT_T0_E_clISt17integral_constantIbLb1EESW_EEDaSR_SS_EUlSR_E_NS1_11comp_targetILNS1_3genE4ELNS1_11target_archE910ELNS1_3gpuE8ELNS1_3repE0EEENS1_30default_config_static_selectorELNS0_4arch9wavefront6targetE1EEEvT1_
; %bb.0:
	s_load_dword s37, s[4:5], 0x20
	s_load_dwordx2 s[14:15], s[4:5], 0x28
	v_cmp_ne_u32_e64 s[2:3], 0, v0
	v_cmp_eq_u32_e64 s[0:1], 0, v0
	s_and_saveexec_b64 s[6:7], s[0:1]
	s_cbranch_execz .LBB1589_4
; %bb.1:
	s_mov_b64 s[10:11], exec
	v_mbcnt_lo_u32_b32 v1, s10, 0
	v_mbcnt_hi_u32_b32 v1, s11, v1
	v_cmp_eq_u32_e32 vcc, 0, v1
                                        ; implicit-def: $vgpr2
	s_and_saveexec_b64 s[8:9], vcc
	s_cbranch_execz .LBB1589_3
; %bb.2:
	s_load_dwordx2 s[12:13], s[4:5], 0x58
	s_bcnt1_i32_b64 s10, s[10:11]
	v_mov_b32_e32 v2, 0
	v_mov_b32_e32 v3, s10
	s_waitcnt lgkmcnt(0)
	global_atomic_add v2, v2, v3, s[12:13] glc
.LBB1589_3:
	s_or_b64 exec, exec, s[8:9]
	s_waitcnt vmcnt(0)
	v_readfirstlane_b32 s8, v2
	v_add_u32_e32 v1, s8, v1
	v_mov_b32_e32 v2, 0
	ds_write_b32 v2, v1
.LBB1589_4:
	s_or_b64 exec, exec, s[6:7]
	s_load_dwordx8 s[24:31], s[4:5], 0x0
	s_load_dword s6, s[4:5], 0x30
	s_load_dwordx8 s[16:23], s[4:5], 0x38
	v_mov_b32_e32 v1, 0
	s_waitcnt lgkmcnt(0)
	s_barrier
	ds_read_b32 v1, v1
	s_lshl_b64 s[26:27], s[26:27], 2
	s_add_u32 s38, s24, s26
	s_addc_u32 s39, s25, s27
	s_add_i32 s6, s6, -1
	s_mul_i32 s7, s6, 0x700
	s_sub_u32 s33, s30, s7
	s_waitcnt lgkmcnt(0)
	v_readfirstlane_b32 s40, v1
	s_subb_u32 s36, s31, 0
	s_mul_i32 s4, s40, 0x700
	s_mov_b32 s5, 0
	s_cmp_lg_u32 s40, s6
	s_cselect_b64 s[24:25], -1, 0
	s_lshl_b64 s[30:31], s[4:5], 2
	s_add_u32 s6, s38, s30
	s_addc_u32 s7, s39, s31
	s_mov_b64 s[4:5], -1
	s_and_b64 vcc, exec, s[24:25]
	v_lshlrev_b32_e32 v32, 2, v0
	s_barrier
	s_cbranch_vccz .LBB1589_6
; %bb.5:
	v_mov_b32_e32 v1, s7
	v_add_co_u32_e32 v2, vcc, s6, v32
	v_addc_co_u32_e32 v3, vcc, 0, v1, vcc
	flat_load_dword v1, v[2:3]
	flat_load_dword v4, v[2:3] offset:512
	flat_load_dword v5, v[2:3] offset:1024
	;; [unrolled: 1-line block ×7, first 2 shown]
	v_add_co_u32_e32 v2, vcc, 0x1000, v2
	v_addc_co_u32_e32 v3, vcc, 0, v3, vcc
	flat_load_dword v11, v[2:3]
	flat_load_dword v12, v[2:3] offset:512
	flat_load_dword v13, v[2:3] offset:1024
	;; [unrolled: 1-line block ×5, first 2 shown]
	s_mov_b64 s[4:5], 0
	s_waitcnt vmcnt(0) lgkmcnt(0)
	ds_write2st64_b32 v32, v1, v4 offset1:2
	ds_write2st64_b32 v32, v5, v6 offset0:4 offset1:6
	ds_write2st64_b32 v32, v7, v8 offset0:8 offset1:10
	;; [unrolled: 1-line block ×6, first 2 shown]
	s_waitcnt lgkmcnt(0)
	s_barrier
.LBB1589_6:
	s_andn2_b64 vcc, exec, s[4:5]
	v_cmp_gt_u32_e64 s[4:5], s33, v0
	s_cbranch_vccnz .LBB1589_36
; %bb.7:
	v_pk_mov_b32 v[2:3], s[6:7], s[6:7] op_sel:[0,1]
	flat_load_dword v1, v[2:3]
	s_waitcnt vmcnt(0) lgkmcnt(0)
	v_mov_b32_e32 v2, v1
	v_mov_b32_e32 v3, v1
	;; [unrolled: 1-line block ×12, first 2 shown]
	v_pk_mov_b32 v[16:17], v[14:15], v[14:15] op_sel:[0,1]
	v_pk_mov_b32 v[14:15], v[12:13], v[12:13] op_sel:[0,1]
	;; [unrolled: 1-line block ×8, first 2 shown]
	s_and_saveexec_b64 s[8:9], s[4:5]
	s_cbranch_execz .LBB1589_9
; %bb.8:
	v_mov_b32_e32 v3, s7
	v_add_co_u32_e32 v2, vcc, s6, v32
	v_addc_co_u32_e32 v3, vcc, 0, v3, vcc
	flat_load_dword v18, v[2:3]
	v_mov_b32_e32 v2, v1
	v_mov_b32_e32 v3, v1
	;; [unrolled: 1-line block ×12, first 2 shown]
	v_pk_mov_b32 v[16:17], v[14:15], v[14:15] op_sel:[0,1]
	v_pk_mov_b32 v[14:15], v[12:13], v[12:13] op_sel:[0,1]
	;; [unrolled: 1-line block ×8, first 2 shown]
	s_waitcnt vmcnt(0) lgkmcnt(0)
	v_mov_b32_e32 v1, v18
.LBB1589_9:
	s_or_b64 exec, exec, s[8:9]
	v_or_b32_e32 v2, 0x80, v0
	v_cmp_gt_u32_e32 vcc, s33, v2
	s_and_saveexec_b64 s[4:5], vcc
	s_cbranch_execz .LBB1589_11
; %bb.10:
	v_mov_b32_e32 v3, s7
	v_add_co_u32_e32 v2, vcc, s6, v32
	v_addc_co_u32_e32 v3, vcc, 0, v3, vcc
	flat_load_dword v3, v[2:3] offset:512
.LBB1589_11:
	s_or_b64 exec, exec, s[4:5]
	v_or_b32_e32 v2, 0x100, v0
	v_cmp_gt_u32_e32 vcc, s33, v2
	s_and_saveexec_b64 s[4:5], vcc
	s_cbranch_execz .LBB1589_13
; %bb.12:
	v_mov_b32_e32 v2, s7
	v_add_co_u32_e32 v16, vcc, s6, v32
	v_addc_co_u32_e32 v17, vcc, 0, v2, vcc
	flat_load_dword v4, v[16:17] offset:1024
.LBB1589_13:
	;; [unrolled: 11-line block ×7, first 2 shown]
	s_or_b64 exec, exec, s[4:5]
	v_or_b32_e32 v2, 0x400, v0
	v_cmp_gt_u32_e32 vcc, s33, v2
	s_and_saveexec_b64 s[4:5], vcc
	s_cbranch_execz .LBB1589_25
; %bb.24:
	v_lshlrev_b32_e32 v2, 2, v2
	v_mov_b32_e32 v10, s7
	v_add_co_u32_e32 v16, vcc, s6, v2
	v_addc_co_u32_e32 v17, vcc, 0, v10, vcc
	flat_load_dword v10, v[16:17]
.LBB1589_25:
	s_or_b64 exec, exec, s[4:5]
	v_or_b32_e32 v2, 0x480, v0
	v_cmp_gt_u32_e32 vcc, s33, v2
	s_and_saveexec_b64 s[4:5], vcc
	s_cbranch_execz .LBB1589_27
; %bb.26:
	v_lshlrev_b32_e32 v2, 2, v2
	v_mov_b32_e32 v11, s7
	v_add_co_u32_e32 v16, vcc, s6, v2
	v_addc_co_u32_e32 v17, vcc, 0, v11, vcc
	flat_load_dword v11, v[16:17]
.LBB1589_27:
	;; [unrolled: 12-line block ×6, first 2 shown]
	s_or_b64 exec, exec, s[4:5]
	s_waitcnt vmcnt(0) lgkmcnt(0)
	ds_write2st64_b32 v32, v1, v3 offset1:2
	ds_write2st64_b32 v32, v4, v5 offset0:4 offset1:6
	ds_write2st64_b32 v32, v6, v7 offset0:8 offset1:10
	ds_write2st64_b32 v32, v8, v9 offset0:12 offset1:14
	ds_write2st64_b32 v32, v10, v11 offset0:16 offset1:18
	ds_write2st64_b32 v32, v12, v13 offset0:20 offset1:22
	ds_write2st64_b32 v32, v14, v15 offset0:24 offset1:26
	s_waitcnt lgkmcnt(0)
	s_barrier
.LBB1589_36:
	v_mul_u32_u24_e32 v33, 14, v0
	v_lshlrev_b32_e32 v34, 2, v33
	ds_read2_b64 v[26:29], v34 offset1:1
	ds_read2_b64 v[22:25], v34 offset0:2 offset1:3
	ds_read2_b64 v[18:21], v34 offset0:4 offset1:5
	ds_read_b64 v[30:31], v34 offset:48
	s_cmp_lg_u32 s40, 0
	s_waitcnt lgkmcnt(3)
	v_add_f32_e32 v35, v26, v27
	v_lshrrev_b32_e32 v1, 5, v0
	v_cmp_gt_u32_e32 vcc, 64, v0
	s_waitcnt lgkmcnt(0)
	s_barrier
	s_cbranch_scc0 .LBB1589_65
; %bb.37:
	v_add_f32_e32 v2, v28, v35
	v_add_f32_e32 v2, v29, v2
	;; [unrolled: 1-line block ×12, first 2 shown]
	v_add_lshl_u32 v2, v1, v0, 2
	ds_write_b32 v2, v12
	s_waitcnt lgkmcnt(0)
	s_barrier
	s_and_saveexec_b64 s[10:11], vcc
	s_cbranch_execz .LBB1589_39
; %bb.38:
	v_lshlrev_b32_e32 v2, 1, v0
	v_lshrrev_b32_e32 v3, 4, v0
	v_add_lshl_u32 v4, v3, v2, 2
	ds_read2_b32 v[2:3], v4 offset1:1
	v_mbcnt_lo_u32_b32 v5, -1, 0
	v_mbcnt_hi_u32_b32 v5, -1, v5
	v_and_b32_e32 v6, 15, v5
	v_cmp_eq_u32_e64 s[4:5], 0, v6
	s_waitcnt lgkmcnt(0)
	v_add_f32_e32 v3, v2, v3
	v_cmp_lt_u32_e64 s[6:7], 3, v6
	v_cmp_lt_u32_e64 s[8:9], 31, v5
	v_mov_b32_dpp v7, v3 row_shr:1 row_mask:0xf bank_mask:0xf
	v_add_f32_e32 v7, v3, v7
	v_cndmask_b32_e64 v3, v7, v3, s[4:5]
	v_cmp_lt_u32_e64 s[4:5], 1, v6
	s_nop 0
	v_mov_b32_dpp v7, v3 row_shr:2 row_mask:0xf bank_mask:0xf
	v_add_f32_e32 v7, v3, v7
	v_cndmask_b32_e64 v7, v3, v7, s[4:5]
	; wave barrier
	s_nop 1
	v_mov_b32_dpp v8, v7 row_shr:4 row_mask:0xf bank_mask:0xf
	v_add_f32_e32 v8, v7, v8
	v_cndmask_b32_e64 v7, v7, v8, s[6:7]
	v_cmp_lt_u32_e64 s[6:7], 7, v6
	s_nop 0
	v_mov_b32_dpp v8, v7 row_shr:8 row_mask:0xf bank_mask:0xf
	v_add_f32_e32 v8, v7, v8
	v_cndmask_b32_e64 v6, v7, v8, s[6:7]
	v_and_b32_e32 v8, 16, v5
	v_cmp_eq_u32_e64 s[6:7], 0, v8
	v_mov_b32_dpp v7, v6 row_bcast:15 row_mask:0xf bank_mask:0xf
	v_add_f32_e32 v7, v6, v7
	v_cndmask_b32_e64 v6, v7, v6, s[6:7]
	v_cmp_lt_u32_e64 s[6:7], 15, v5
	s_or_b64 s[4:5], s[6:7], s[4:5]
	v_mov_b32_dpp v7, v6 row_bcast:31 row_mask:0xf bank_mask:0xf
	v_add_f32_e32 v7, v6, v7
	v_cndmask_b32_e64 v6, v6, v7, s[8:9]
	v_cndmask_b32_e64 v3, v3, v6, s[4:5]
	v_add_u32_e32 v6, -1, v5
	v_and_b32_e32 v7, 64, v5
	v_cmp_lt_i32_e64 s[4:5], v6, v7
	v_cndmask_b32_e64 v5, v6, v5, s[4:5]
	v_lshlrev_b32_e32 v5, 2, v5
	ds_bpermute_b32 v3, v5, v3
	s_waitcnt lgkmcnt(0)
	v_add_f32_e32 v2, v2, v3
	v_cndmask_b32_e64 v2, v2, v12, s[0:1]
	ds_write_b32 v4, v2
	; wave barrier
	ds_read_b32 v3, v4 offset:4
	s_waitcnt lgkmcnt(0)
	v_add_f32_e32 v2, v2, v3
	ds_write_b32 v4, v2 offset:4
.LBB1589_39:
	s_or_b64 exec, exec, s[10:11]
	s_waitcnt lgkmcnt(0)
	s_barrier
	s_and_saveexec_b64 s[4:5], s[2:3]
	s_cbranch_execz .LBB1589_41
; %bb.40:
	v_add_u32_e32 v2, -1, v0
	v_lshrrev_b32_e32 v3, 5, v2
	v_add_lshl_u32 v2, v3, v2, 2
	ds_read_b32 v12, v2
.LBB1589_41:
	s_or_b64 exec, exec, s[4:5]
	s_and_saveexec_b64 s[34:35], vcc
	s_cbranch_execz .LBB1589_64
; %bb.42:
	v_mov_b32_e32 v11, 0
	ds_read_b32 v2, v11 offset:520
	v_mbcnt_lo_u32_b32 v3, -1, 0
	v_mbcnt_hi_u32_b32 v5, -1, v3
	s_mov_b32 s9, 0
	v_cmp_eq_u32_e64 s[4:5], 0, v5
	s_and_saveexec_b64 s[6:7], s[4:5]
	s_cbranch_execz .LBB1589_44
; %bb.43:
	s_add_i32 s8, s40, 64
	s_lshl_b64 s[8:9], s[8:9], 3
	s_add_u32 s8, s14, s8
	v_mov_b32_e32 v3, 1
	s_addc_u32 s9, s15, s9
	s_waitcnt lgkmcnt(0)
	global_store_dwordx2 v11, v[2:3], s[8:9]
.LBB1589_44:
	s_or_b64 exec, exec, s[6:7]
	v_xad_u32 v4, v5, -1, s40
	v_add_u32_e32 v10, 64, v4
	v_lshlrev_b64 v[6:7], 3, v[10:11]
	v_mov_b32_e32 v3, s15
	v_add_co_u32_e32 v6, vcc, s14, v6
	v_addc_co_u32_e32 v7, vcc, v3, v7, vcc
	global_load_dwordx2 v[8:9], v[6:7], off glc
	s_waitcnt vmcnt(0)
	v_cmp_eq_u16_sdwa s[8:9], v9, v11 src0_sel:BYTE_0 src1_sel:DWORD
	s_and_saveexec_b64 s[6:7], s[8:9]
	s_cbranch_execz .LBB1589_50
; %bb.45:
	s_mov_b32 s10, 1
	s_mov_b64 s[8:9], 0
	v_mov_b32_e32 v3, 0
.LBB1589_46:                            ; =>This Loop Header: Depth=1
                                        ;     Child Loop BB1589_47 Depth 2
	s_max_u32 s11, s10, 1
.LBB1589_47:                            ;   Parent Loop BB1589_46 Depth=1
                                        ; =>  This Inner Loop Header: Depth=2
	s_add_i32 s11, s11, -1
	s_cmp_eq_u32 s11, 0
	s_sleep 1
	s_cbranch_scc0 .LBB1589_47
; %bb.48:                               ;   in Loop: Header=BB1589_46 Depth=1
	global_load_dwordx2 v[8:9], v[6:7], off glc
	s_cmp_lt_u32 s10, 32
	s_cselect_b64 s[12:13], -1, 0
	s_cmp_lg_u64 s[12:13], 0
	s_addc_u32 s10, s10, 0
	s_waitcnt vmcnt(0)
	v_cmp_ne_u16_sdwa s[12:13], v9, v3 src0_sel:BYTE_0 src1_sel:DWORD
	s_or_b64 s[8:9], s[12:13], s[8:9]
	s_andn2_b64 exec, exec, s[8:9]
	s_cbranch_execnz .LBB1589_46
; %bb.49:
	s_or_b64 exec, exec, s[8:9]
.LBB1589_50:
	s_or_b64 exec, exec, s[6:7]
	v_and_b32_e32 v13, 63, v5
	v_cmp_ne_u32_e32 vcc, 63, v13
	v_addc_co_u32_e32 v14, vcc, 0, v5, vcc
	v_mov_b32_e32 v3, 2
	v_lshlrev_b32_e32 v14, 2, v14
	v_cmp_eq_u16_sdwa s[6:7], v9, v3 src0_sel:BYTE_0 src1_sel:DWORD
	v_lshlrev_b64 v[6:7], v5, -1
	ds_bpermute_b32 v15, v14, v8
	v_and_b32_e32 v10, s7, v7
	v_or_b32_e32 v10, 0x80000000, v10
	v_and_b32_e32 v11, s6, v6
	v_ffbl_b32_e32 v10, v10
	v_add_u32_e32 v10, 32, v10
	v_ffbl_b32_e32 v11, v11
	v_cmp_gt_u32_e64 s[6:7], 62, v13
	v_min_u32_e32 v10, v11, v10
	s_waitcnt lgkmcnt(0)
	v_add_f32_e32 v11, v8, v15
	v_cndmask_b32_e64 v15, 0, 1, s[6:7]
	v_cmp_lt_u32_e32 vcc, v13, v10
	v_lshlrev_b32_e32 v15, 1, v15
	v_cndmask_b32_e32 v11, v8, v11, vcc
	v_add_lshl_u32 v15, v15, v5, 2
	ds_bpermute_b32 v17, v15, v11
	v_add_u32_e32 v16, 2, v13
	v_cmp_gt_u32_e64 s[6:7], v16, v10
	v_cmp_gt_u32_e64 s[8:9], 56, v13
	v_add_u32_e32 v36, 4, v13
	s_waitcnt lgkmcnt(0)
	v_add_f32_e32 v17, v11, v17
	v_cndmask_b32_e64 v11, v17, v11, s[6:7]
	v_cmp_gt_u32_e64 s[6:7], 60, v13
	v_cndmask_b32_e64 v17, 0, 1, s[6:7]
	v_lshlrev_b32_e32 v17, 2, v17
	v_add_lshl_u32 v17, v17, v5, 2
	ds_bpermute_b32 v37, v17, v11
	v_cmp_gt_u32_e64 s[6:7], v36, v10
	v_add_u32_e32 v38, 8, v13
	v_cmp_gt_u32_e64 s[10:11], 48, v13
	v_cmp_gt_u32_e64 s[12:13], 32, v13
	s_waitcnt lgkmcnt(0)
	v_add_f32_e32 v41, v11, v37
	v_cndmask_b32_e64 v37, 0, 1, s[8:9]
	v_lshlrev_b32_e32 v37, 3, v37
	v_cndmask_b32_e64 v39, v41, v11, s[6:7]
	v_add_lshl_u32 v37, v37, v5, 2
	ds_bpermute_b32 v40, v37, v39
	v_cmp_gt_u32_e64 s[8:9], v38, v10
	v_cndmask_b32_e32 v8, v8, v11, vcc
	v_cndmask_b32_e64 v8, v41, v8, s[6:7]
	s_waitcnt lgkmcnt(0)
	v_add_f32_e32 v44, v39, v40
	v_cndmask_b32_e64 v42, v44, v39, s[8:9]
	v_cndmask_b32_e64 v39, 0, 1, s[10:11]
	v_lshlrev_b32_e32 v39, 4, v39
	v_add_lshl_u32 v39, v39, v5, 2
	ds_bpermute_b32 v43, v39, v42
	v_add_u32_e32 v40, 16, v13
	v_cmp_gt_u32_e64 s[10:11], v40, v10
	v_cndmask_b32_e64 v8, v44, v8, s[8:9]
	s_waitcnt lgkmcnt(0)
	v_add_f32_e32 v45, v42, v43
	v_cndmask_b32_e64 v46, v45, v42, s[10:11]
	v_cndmask_b32_e64 v42, 0, 1, s[12:13]
	v_lshlrev_b32_e32 v42, 5, v42
	v_add_lshl_u32 v42, v42, v5, 2
	ds_bpermute_b32 v5, v42, v46
	v_add_u32_e32 v43, 32, v13
	v_cndmask_b32_e64 v8, v45, v8, s[10:11]
	v_cmp_gt_u32_e32 vcc, v43, v10
	s_waitcnt lgkmcnt(0)
	v_add_f32_e32 v5, v46, v5
	v_cndmask_b32_e32 v8, v5, v8, vcc
	v_mov_b32_e32 v5, 0
	s_branch .LBB1589_52
.LBB1589_51:                            ;   in Loop: Header=BB1589_52 Depth=1
	s_or_b64 exec, exec, s[6:7]
	v_cmp_eq_u16_sdwa s[6:7], v9, v3 src0_sel:BYTE_0 src1_sel:DWORD
	v_and_b32_e32 v10, s7, v7
	ds_bpermute_b32 v44, v14, v8
	v_or_b32_e32 v10, 0x80000000, v10
	v_and_b32_e32 v11, s6, v6
	v_ffbl_b32_e32 v10, v10
	v_add_u32_e32 v10, 32, v10
	v_ffbl_b32_e32 v11, v11
	v_min_u32_e32 v10, v11, v10
	s_waitcnt lgkmcnt(0)
	v_add_f32_e32 v11, v8, v44
	v_cmp_lt_u32_e32 vcc, v13, v10
	v_cndmask_b32_e32 v11, v8, v11, vcc
	ds_bpermute_b32 v44, v15, v11
	v_cmp_gt_u32_e64 s[6:7], v16, v10
	v_cmp_gt_u32_e64 s[8:9], v38, v10
	;; [unrolled: 1-line block ×3, first 2 shown]
	v_subrev_u32_e32 v4, 64, v4
	s_waitcnt lgkmcnt(0)
	v_add_f32_e32 v44, v11, v44
	v_cndmask_b32_e64 v11, v44, v11, s[6:7]
	ds_bpermute_b32 v44, v17, v11
	v_cmp_gt_u32_e64 s[6:7], v36, v10
	v_cndmask_b32_e32 v8, v8, v11, vcc
	v_cmp_gt_u32_e32 vcc, v43, v10
	s_waitcnt lgkmcnt(0)
	v_add_f32_e32 v44, v11, v44
	v_cndmask_b32_e64 v45, v44, v11, s[6:7]
	ds_bpermute_b32 v46, v37, v45
	v_cndmask_b32_e64 v8, v44, v8, s[6:7]
	s_waitcnt lgkmcnt(0)
	v_add_f32_e32 v46, v45, v46
	v_cndmask_b32_e64 v45, v46, v45, s[8:9]
	ds_bpermute_b32 v47, v39, v45
	v_cndmask_b32_e64 v8, v46, v8, s[8:9]
	;; [unrolled: 5-line block ×3, first 2 shown]
	s_waitcnt lgkmcnt(0)
	v_add_f32_e32 v11, v45, v48
	v_cndmask_b32_e32 v8, v11, v8, vcc
	v_add_f32_e32 v8, v41, v8
.LBB1589_52:                            ; =>This Loop Header: Depth=1
                                        ;     Child Loop BB1589_55 Depth 2
                                        ;       Child Loop BB1589_56 Depth 3
	v_cmp_ne_u16_sdwa s[6:7], v9, v3 src0_sel:BYTE_0 src1_sel:DWORD
	v_cndmask_b32_e64 v9, 0, 1, s[6:7]
	;;#ASMSTART
	;;#ASMEND
	v_cmp_ne_u32_e32 vcc, 0, v9
	s_cmp_lg_u64 vcc, exec
	v_mov_b32_e32 v41, v8
	s_cbranch_scc1 .LBB1589_59
; %bb.53:                               ;   in Loop: Header=BB1589_52 Depth=1
	v_lshlrev_b64 v[8:9], 3, v[4:5]
	v_mov_b32_e32 v11, s15
	v_add_co_u32_e32 v10, vcc, s14, v8
	v_addc_co_u32_e32 v11, vcc, v11, v9, vcc
	global_load_dwordx2 v[8:9], v[10:11], off glc
	s_waitcnt vmcnt(0)
	v_cmp_eq_u16_sdwa s[8:9], v9, v5 src0_sel:BYTE_0 src1_sel:DWORD
	s_and_saveexec_b64 s[6:7], s[8:9]
	s_cbranch_execz .LBB1589_51
; %bb.54:                               ;   in Loop: Header=BB1589_52 Depth=1
	s_mov_b32 s10, 1
	s_mov_b64 s[8:9], 0
.LBB1589_55:                            ;   Parent Loop BB1589_52 Depth=1
                                        ; =>  This Loop Header: Depth=2
                                        ;       Child Loop BB1589_56 Depth 3
	s_max_u32 s11, s10, 1
.LBB1589_56:                            ;   Parent Loop BB1589_52 Depth=1
                                        ;     Parent Loop BB1589_55 Depth=2
                                        ; =>    This Inner Loop Header: Depth=3
	s_add_i32 s11, s11, -1
	s_cmp_eq_u32 s11, 0
	s_sleep 1
	s_cbranch_scc0 .LBB1589_56
; %bb.57:                               ;   in Loop: Header=BB1589_55 Depth=2
	global_load_dwordx2 v[8:9], v[10:11], off glc
	s_cmp_lt_u32 s10, 32
	s_cselect_b64 s[12:13], -1, 0
	s_cmp_lg_u64 s[12:13], 0
	s_addc_u32 s10, s10, 0
	s_waitcnt vmcnt(0)
	v_cmp_ne_u16_sdwa s[12:13], v9, v5 src0_sel:BYTE_0 src1_sel:DWORD
	s_or_b64 s[8:9], s[12:13], s[8:9]
	s_andn2_b64 exec, exec, s[8:9]
	s_cbranch_execnz .LBB1589_55
; %bb.58:                               ;   in Loop: Header=BB1589_52 Depth=1
	s_or_b64 exec, exec, s[8:9]
	s_branch .LBB1589_51
.LBB1589_59:                            ;   in Loop: Header=BB1589_52 Depth=1
                                        ; implicit-def: $vgpr8
                                        ; implicit-def: $vgpr9
	s_cbranch_execz .LBB1589_52
; %bb.60:
	s_and_saveexec_b64 s[6:7], s[4:5]
	s_cbranch_execz .LBB1589_62
; %bb.61:
	s_add_i32 s4, s40, 64
	s_mov_b32 s5, 0
	s_lshl_b64 s[4:5], s[4:5], 3
	s_add_u32 s4, s14, s4
	v_add_f32_e32 v2, v2, v41
	v_mov_b32_e32 v3, 2
	s_addc_u32 s5, s15, s5
	v_mov_b32_e32 v4, 0
	global_store_dwordx2 v4, v[2:3], s[4:5]
.LBB1589_62:
	s_or_b64 exec, exec, s[6:7]
	s_and_b64 exec, exec, s[0:1]
	s_cbranch_execz .LBB1589_64
; %bb.63:
	v_mov_b32_e32 v2, 0
	ds_write_b32 v2, v41
.LBB1589_64:
	s_or_b64 exec, exec, s[34:35]
	v_mov_b32_e32 v2, 0
	s_waitcnt lgkmcnt(0)
	s_barrier
	ds_read_b32 v2, v2
	s_waitcnt lgkmcnt(0)
	v_add_f32_e32 v3, v12, v2
	v_cndmask_b32_e64 v2, v3, v2, s[0:1]
	v_add_f32_e32 v3, v26, v2
	v_add_f32_e32 v4, v27, v3
	;; [unrolled: 1-line block ×13, first 2 shown]
	s_branch .LBB1589_75
.LBB1589_65:
                                        ; implicit-def: $vgpr2_vgpr3_vgpr4_vgpr5_vgpr6_vgpr7_vgpr8_vgpr9_vgpr10_vgpr11_vgpr12_vgpr13_vgpr14_vgpr15_vgpr16_vgpr17
	s_cbranch_execz .LBB1589_75
; %bb.66:
	s_cmp_eq_u64 s[20:21], 0
	v_mov_b32_e32 v16, s37
	s_cbranch_scc1 .LBB1589_68
; %bb.67:
	v_mov_b32_e32 v3, s39
	v_add_co_u32_e64 v2, vcc, -4, s38
	v_addc_co_u32_e32 v3, vcc, -1, v3, vcc
	v_mov_b32_e32 v4, 0
	flat_load_dword v5, v[2:3]
	global_load_dword v6, v4, s[16:17]
	s_waitcnt vmcnt(0) lgkmcnt(0)
	v_add_f32_e32 v16, v5, v6
.LBB1589_68:
	v_add_f32_e32 v2, v28, v35
	v_add_f32_e32 v2, v29, v2
	;; [unrolled: 1-line block ×12, first 2 shown]
	v_add_lshl_u32 v1, v1, v0, 2
	v_cmp_gt_u32_e32 vcc, 64, v0
	ds_write_b32 v1, v2
	s_waitcnt lgkmcnt(0)
	s_barrier
	s_and_saveexec_b64 s[8:9], vcc
	s_cbranch_execz .LBB1589_70
; %bb.69:
	v_lshlrev_b32_e32 v1, 1, v0
	v_lshrrev_b32_e32 v3, 4, v0
	v_add_lshl_u32 v1, v3, v1, 2
	ds_read2_b32 v[4:5], v1 offset1:1
	v_mbcnt_lo_u32_b32 v3, -1, 0
	v_mbcnt_hi_u32_b32 v3, -1, v3
	v_and_b32_e32 v6, 15, v3
	v_cmp_eq_u32_e32 vcc, 0, v6
	s_waitcnt lgkmcnt(0)
	v_add_f32_e32 v5, v4, v5
	v_cmp_lt_u32_e64 s[4:5], 3, v6
	v_cmp_lt_u32_e64 s[6:7], 31, v3
	v_mov_b32_dpp v7, v5 row_shr:1 row_mask:0xf bank_mask:0xf
	v_add_f32_e32 v7, v5, v7
	v_cndmask_b32_e32 v5, v7, v5, vcc
	v_cmp_lt_u32_e32 vcc, 1, v6
	s_nop 0
	v_mov_b32_dpp v7, v5 row_shr:2 row_mask:0xf bank_mask:0xf
	v_add_f32_e32 v7, v5, v7
	v_cndmask_b32_e32 v7, v5, v7, vcc
	; wave barrier
	s_nop 1
	v_mov_b32_dpp v8, v7 row_shr:4 row_mask:0xf bank_mask:0xf
	v_add_f32_e32 v8, v7, v8
	v_cndmask_b32_e64 v7, v7, v8, s[4:5]
	v_cmp_lt_u32_e64 s[4:5], 7, v6
	s_nop 0
	v_mov_b32_dpp v8, v7 row_shr:8 row_mask:0xf bank_mask:0xf
	v_add_f32_e32 v8, v7, v8
	v_cndmask_b32_e64 v6, v7, v8, s[4:5]
	v_and_b32_e32 v8, 16, v3
	v_cmp_eq_u32_e64 s[4:5], 0, v8
	v_mov_b32_dpp v7, v6 row_bcast:15 row_mask:0xf bank_mask:0xf
	v_add_f32_e32 v7, v6, v7
	v_cndmask_b32_e64 v6, v7, v6, s[4:5]
	v_cmp_lt_u32_e64 s[4:5], 15, v3
	s_or_b64 vcc, s[4:5], vcc
	v_mov_b32_dpp v7, v6 row_bcast:31 row_mask:0xf bank_mask:0xf
	v_add_f32_e32 v7, v6, v7
	v_cndmask_b32_e64 v6, v6, v7, s[6:7]
	v_cndmask_b32_e32 v5, v5, v6, vcc
	v_add_u32_e32 v6, -1, v3
	v_and_b32_e32 v7, 64, v3
	v_cmp_lt_i32_e32 vcc, v6, v7
	v_cndmask_b32_e32 v3, v6, v3, vcc
	v_lshlrev_b32_e32 v3, 2, v3
	ds_bpermute_b32 v3, v3, v5
	s_waitcnt lgkmcnt(0)
	v_add_f32_e32 v3, v4, v3
	v_cndmask_b32_e64 v2, v3, v2, s[0:1]
	ds_write_b32 v1, v2
	; wave barrier
	ds_read_b32 v3, v1 offset:4
	s_waitcnt lgkmcnt(0)
	v_add_f32_e32 v2, v2, v3
	ds_write_b32 v1, v2 offset:4
.LBB1589_70:
	s_or_b64 exec, exec, s[8:9]
	v_mov_b32_e32 v2, v16
	s_waitcnt lgkmcnt(0)
	s_barrier
	s_and_saveexec_b64 s[4:5], s[2:3]
	s_cbranch_execz .LBB1589_72
; %bb.71:
	v_add_u32_e32 v1, -1, v0
	v_lshrrev_b32_e32 v2, 5, v1
	v_add_lshl_u32 v1, v2, v1, 2
	ds_read_b32 v1, v1
	s_waitcnt lgkmcnt(0)
	v_add_f32_e32 v2, v16, v1
.LBB1589_72:
	s_or_b64 exec, exec, s[4:5]
	v_add_f32_e32 v3, v26, v2
	v_add_f32_e32 v4, v27, v3
	v_add_f32_e32 v5, v28, v4
	v_add_f32_e32 v6, v29, v5
	v_add_f32_e32 v7, v22, v6
	v_add_f32_e32 v8, v23, v7
	v_add_f32_e32 v9, v24, v8
	v_add_f32_e32 v10, v25, v9
	v_add_f32_e32 v11, v18, v10
	v_add_f32_e32 v12, v19, v11
	v_add_f32_e32 v13, v20, v12
	v_add_f32_e32 v14, v21, v13
	v_add_f32_e32 v15, v30, v14
	s_and_saveexec_b64 s[2:3], s[0:1]
	s_cbranch_execz .LBB1589_74
; %bb.73:
	v_mov_b32_e32 v1, 0
	ds_read_b32 v17, v1 offset:520
	s_waitcnt lgkmcnt(0)
	v_add_f32_e32 v16, v16, v17
	v_mov_b32_e32 v17, 2
	global_store_dwordx2 v1, v[16:17], s[14:15] offset:512
.LBB1589_74:
	s_or_b64 exec, exec, s[2:3]
.LBB1589_75:
	s_add_u32 s0, s28, s26
	s_addc_u32 s1, s29, s27
	s_add_u32 s2, s0, s30
	s_addc_u32 s3, s1, s31
	s_mov_b64 s[0:1], -1
	s_and_b64 vcc, exec, s[24:25]
	s_barrier
	s_cbranch_vccz .LBB1589_77
; %bb.76:
	v_mov_b32_e32 v1, s3
	v_add_co_u32_e32 v30, vcc, s2, v32
	ds_write2_b64 v34, v[2:3], v[4:5] offset1:1
	ds_write2_b64 v34, v[6:7], v[8:9] offset0:2 offset1:3
	ds_write2_b64 v34, v[10:11], v[12:13] offset0:4 offset1:5
	ds_write_b64 v34, v[14:15] offset:48
	s_waitcnt lgkmcnt(0)
	s_barrier
	ds_read2st64_b32 v[16:17], v32 offset1:2
	ds_read2st64_b32 v[18:19], v32 offset0:4 offset1:6
	ds_read2st64_b32 v[20:21], v32 offset0:8 offset1:10
	;; [unrolled: 1-line block ×6, first 2 shown]
	v_addc_co_u32_e32 v31, vcc, 0, v1, vcc
	s_waitcnt lgkmcnt(6)
	v_cvt_i32_f32_e32 v1, v16
	v_cvt_i32_f32_e32 v16, v17
	s_waitcnt lgkmcnt(5)
	v_cvt_i32_f32_e32 v17, v18
	v_cvt_i32_f32_e32 v18, v19
	flat_store_dword v[30:31], v1
	flat_store_dword v[30:31], v16 offset:512
	flat_store_dword v[30:31], v17 offset:1024
	;; [unrolled: 1-line block ×3, first 2 shown]
	s_waitcnt lgkmcnt(0)
	v_cvt_i32_f32_e32 v1, v20
	v_cvt_i32_f32_e32 v16, v21
	;; [unrolled: 1-line block ×4, first 2 shown]
	flat_store_dword v[30:31], v1 offset:2048
	flat_store_dword v[30:31], v16 offset:2560
	;; [unrolled: 1-line block ×4, first 2 shown]
	v_cvt_i32_f32_e32 v1, v24
	s_movk_i32 s0, 0x1000
	v_cvt_i32_f32_e32 v18, v25
	v_add_co_u32_e32 v16, vcc, s0, v30
	v_addc_co_u32_e32 v17, vcc, 0, v31, vcc
	flat_store_dword v[16:17], v1
	flat_store_dword v[16:17], v18 offset:512
	v_cvt_i32_f32_e32 v1, v26
	v_cvt_i32_f32_e32 v18, v27
	;; [unrolled: 1-line block ×4, first 2 shown]
	flat_store_dword v[16:17], v1 offset:1024
	flat_store_dword v[16:17], v18 offset:1536
	;; [unrolled: 1-line block ×4, first 2 shown]
	s_mov_b64 s[0:1], 0
.LBB1589_77:
	s_andn2_b64 vcc, exec, s[0:1]
	s_cbranch_vccnz .LBB1589_157
; %bb.78:
	s_movk_i32 s0, 0xffcc
	ds_write2_b64 v34, v[2:3], v[4:5] offset1:1
	ds_write2_b64 v34, v[6:7], v[8:9] offset0:2 offset1:3
	ds_write2_b64 v34, v[10:11], v[12:13] offset0:4 offset1:5
	ds_write_b64 v34, v[14:15] offset:48
	v_mad_i32_i24 v14, v0, s0, v34
	s_waitcnt lgkmcnt(0)
	s_barrier
	ds_read2st64_b32 v[4:5], v14 offset1:2
	ds_read2st64_b32 v[6:7], v14 offset0:4 offset1:6
	ds_read2st64_b32 v[8:9], v14 offset0:8 offset1:10
	;; [unrolled: 1-line block ×6, first 2 shown]
	v_mov_b32_e32 v17, s3
	v_add_co_u32_e32 v16, vcc, s2, v32
	v_addc_co_u32_e32 v17, vcc, 0, v17, vcc
	v_mov_b32_e32 v1, 0
	v_cmp_gt_u32_e32 vcc, s33, v0
	s_and_saveexec_b64 s[0:1], vcc
	s_cbranch_execz .LBB1589_80
; %bb.79:
	s_waitcnt lgkmcnt(0)
	v_cvt_i32_f32_e32 v18, v4
	flat_store_dword v[16:17], v18
.LBB1589_80:
	s_or_b64 exec, exec, s[0:1]
	v_or_b32_e32 v18, 0x80, v0
	v_cmp_gt_u32_e32 vcc, s33, v18
	s_and_saveexec_b64 s[0:1], vcc
	s_cbranch_execz .LBB1589_82
; %bb.81:
	s_waitcnt lgkmcnt(0)
	v_cvt_i32_f32_e32 v18, v5
	flat_store_dword v[16:17], v18 offset:512
.LBB1589_82:
	s_or_b64 exec, exec, s[0:1]
	v_or_b32_e32 v18, 0x100, v0
	v_cmp_gt_u32_e32 vcc, s33, v18
	s_and_saveexec_b64 s[0:1], vcc
	s_cbranch_execz .LBB1589_84
; %bb.83:
	s_waitcnt lgkmcnt(0)
	v_cvt_i32_f32_e32 v18, v6
	flat_store_dword v[16:17], v18 offset:1024
.LBB1589_84:
	;; [unrolled: 10-line block ×7, first 2 shown]
	s_or_b64 exec, exec, s[0:1]
	v_or_b32_e32 v18, 0x400, v0
	v_cmp_gt_u32_e32 vcc, s33, v18
	s_and_saveexec_b64 s[0:1], vcc
	s_cbranch_execz .LBB1589_96
; %bb.95:
	s_waitcnt lgkmcnt(0)
	v_cvt_i32_f32_e32 v20, v12
	v_add_co_u32_e32 v18, vcc, 0x1000, v16
	v_addc_co_u32_e32 v19, vcc, 0, v17, vcc
	flat_store_dword v[18:19], v20
.LBB1589_96:
	s_or_b64 exec, exec, s[0:1]
	v_or_b32_e32 v18, 0x480, v0
	v_cmp_gt_u32_e32 vcc, s33, v18
	s_and_saveexec_b64 s[0:1], vcc
	s_cbranch_execz .LBB1589_98
; %bb.97:
	s_waitcnt lgkmcnt(0)
	v_cvt_i32_f32_e32 v20, v13
	v_add_co_u32_e32 v18, vcc, 0x1000, v16
	v_addc_co_u32_e32 v19, vcc, 0, v17, vcc
	flat_store_dword v[18:19], v20 offset:512
.LBB1589_98:
	s_or_b64 exec, exec, s[0:1]
	v_or_b32_e32 v18, 0x500, v0
	v_cmp_gt_u32_e32 vcc, s33, v18
	s_and_saveexec_b64 s[0:1], vcc
	s_cbranch_execz .LBB1589_100
; %bb.99:
	s_waitcnt lgkmcnt(0)
	v_cvt_i32_f32_e32 v20, v10
	v_add_co_u32_e32 v18, vcc, 0x1000, v16
	v_addc_co_u32_e32 v19, vcc, 0, v17, vcc
	flat_store_dword v[18:19], v20 offset:1024
.LBB1589_100:
	;; [unrolled: 12-line block ×5, first 2 shown]
	s_or_b64 exec, exec, s[0:1]
	v_cmp_lt_u64_e64 s[0:1], s[22:23], 2
	s_and_b64 vcc, exec, s[0:1]
	s_cbranch_vccnz .LBB1589_157
; %bb.107:
	s_add_u32 s0, s33, -1
	s_addc_u32 s1, s36, -1
	s_add_u32 s2, 0, 0x49240800
	s_addc_u32 s3, 0, 50
	s_add_i32 s3, s3, 0x12492460
	s_mul_hi_u32 s7, s2, -14
	s_sub_i32 s7, s7, s2
	s_mul_i32 s8, s3, -14
	s_mul_i32 s4, s2, -14
	s_add_i32 s7, s7, s8
	s_mul_hi_u32 s5, s3, s4
	s_mul_i32 s6, s3, s4
	s_mul_i32 s9, s2, s7
	s_mul_hi_u32 s4, s2, s4
	s_mul_hi_u32 s8, s2, s7
	s_add_u32 s4, s4, s9
	s_addc_u32 s8, 0, s8
	s_add_u32 s4, s4, s6
	s_mul_hi_u32 s9, s3, s7
	s_addc_u32 s4, s8, s5
	s_addc_u32 s5, s9, 0
	s_mul_i32 s6, s3, s7
	s_add_u32 s4, s4, s6
	v_mov_b32_e32 v16, s4
	s_addc_u32 s5, 0, s5
	v_add_co_u32_e32 v16, vcc, s2, v16
	s_cmp_lg_u64 vcc, 0
	s_addc_u32 s2, s3, s5
	v_readfirstlane_b32 s5, v16
	s_mul_i32 s4, s0, s2
	s_mul_hi_u32 s6, s0, s5
	s_mul_hi_u32 s3, s0, s2
	s_add_u32 s4, s6, s4
	s_addc_u32 s3, 0, s3
	s_mul_hi_u32 s7, s1, s5
	s_mul_i32 s5, s1, s5
	s_add_u32 s4, s4, s5
	s_mul_hi_u32 s6, s1, s2
	s_addc_u32 s3, s3, s7
	s_addc_u32 s4, s6, 0
	s_mul_i32 s2, s1, s2
	s_add_u32 s2, s3, s2
	s_addc_u32 s3, 0, s4
	s_add_u32 s4, s2, 1
	s_addc_u32 s5, s3, 0
	s_add_u32 s6, s2, 2
	s_mul_i32 s8, s3, 14
	s_mul_hi_u32 s9, s2, 14
	s_addc_u32 s7, s3, 0
	s_add_i32 s9, s9, s8
	s_mul_i32 s8, s2, 14
	v_mov_b32_e32 v16, s8
	v_sub_co_u32_e32 v16, vcc, s0, v16
	s_cmp_lg_u64 vcc, 0
	s_subb_u32 s8, s1, s9
	v_subrev_co_u32_e32 v17, vcc, 14, v16
	s_cmp_lg_u64 vcc, 0
	s_subb_u32 s9, s8, 0
	v_readfirstlane_b32 s10, v17
	s_cmp_gt_u32 s10, 13
	s_cselect_b32 s10, -1, 0
	s_cmp_eq_u32 s9, 0
	s_cselect_b32 s9, s10, -1
	s_cmp_lg_u32 s9, 0
	s_cselect_b32 s4, s6, s4
	v_readfirstlane_b32 s6, v16
	s_cselect_b32 s5, s7, s5
	s_cmp_gt_u32 s6, 13
	s_cselect_b32 s6, -1, 0
	s_cmp_eq_u32 s8, 0
	s_cselect_b32 s6, s6, -1
	s_cmp_lg_u32 s6, 0
	s_cselect_b32 s3, s5, s3
	s_cselect_b32 s2, s4, s2
	v_cmp_eq_u64_e32 vcc, s[2:3], v[0:1]
	s_and_saveexec_b64 s[2:3], vcc
	s_cbranch_execz .LBB1589_157
; %bb.108:
	v_mul_hi_u32_u24_e32 v1, 14, v0
	v_mov_b32_e32 v16, s1
	v_sub_co_u32_e32 v0, vcc, s0, v33
	v_subb_co_u32_e32 v1, vcc, v16, v1, vcc
	v_cmp_lt_i64_e32 vcc, 6, v[0:1]
	s_and_saveexec_b64 s[0:1], vcc
	s_xor_b64 s[0:1], exec, s[0:1]
	s_cbranch_execz .LBB1589_134
; %bb.109:
	v_cmp_lt_i64_e32 vcc, 9, v[0:1]
	s_and_saveexec_b64 s[2:3], vcc
	s_xor_b64 s[2:3], exec, s[2:3]
	s_cbranch_execz .LBB1589_123
; %bb.110:
	;; [unrolled: 5-line block ×4, first 2 shown]
	v_mov_b32_e32 v0, 0
	s_waitcnt lgkmcnt(0)
	global_store_dword v0, v15, s[18:19]
                                        ; implicit-def: $vgpr14_vgpr15
.LBB1589_113:
	s_andn2_saveexec_b64 s[6:7], s[6:7]
	s_cbranch_execz .LBB1589_115
; %bb.114:
	v_mov_b32_e32 v0, 0
	s_waitcnt lgkmcnt(0)
	global_store_dword v0, v14, s[18:19]
.LBB1589_115:
	s_or_b64 exec, exec, s[6:7]
                                        ; implicit-def: $vgpr10_vgpr11
                                        ; implicit-def: $vgpr0_vgpr1
.LBB1589_116:
	s_andn2_saveexec_b64 s[4:5], s[4:5]
	s_cbranch_execz .LBB1589_122
; %bb.117:
	v_cmp_lt_i64_e32 vcc, 10, v[0:1]
	s_and_saveexec_b64 s[6:7], vcc
	s_xor_b64 s[6:7], exec, s[6:7]
	s_cbranch_execz .LBB1589_119
; %bb.118:
	v_mov_b32_e32 v0, 0
	s_waitcnt lgkmcnt(0)
	global_store_dword v0, v11, s[18:19]
                                        ; implicit-def: $vgpr10_vgpr11
.LBB1589_119:
	s_andn2_saveexec_b64 s[6:7], s[6:7]
	s_cbranch_execz .LBB1589_121
; %bb.120:
	v_mov_b32_e32 v0, 0
	s_waitcnt lgkmcnt(0)
	global_store_dword v0, v10, s[18:19]
.LBB1589_121:
	s_or_b64 exec, exec, s[6:7]
.LBB1589_122:
	s_or_b64 exec, exec, s[4:5]
                                        ; implicit-def: $vgpr2_vgpr3
                                        ; implicit-def: $vgpr0_vgpr1
                                        ; implicit-def: $vgpr12_vgpr13
.LBB1589_123:
	s_andn2_saveexec_b64 s[2:3], s[2:3]
	s_cbranch_execz .LBB1589_133
; %bb.124:
	v_cmp_lt_i64_e32 vcc, 7, v[0:1]
	s_and_saveexec_b64 s[4:5], vcc
	s_xor_b64 s[4:5], exec, s[4:5]
	s_cbranch_execz .LBB1589_130
; %bb.125:
	v_cmp_lt_i64_e32 vcc, 8, v[0:1]
	s_and_saveexec_b64 s[6:7], vcc
	s_xor_b64 s[6:7], exec, s[6:7]
	s_cbranch_execz .LBB1589_127
; %bb.126:
	v_mov_b32_e32 v0, 0
	s_waitcnt lgkmcnt(0)
	global_store_dword v0, v13, s[18:19]
                                        ; implicit-def: $vgpr12_vgpr13
.LBB1589_127:
	s_andn2_saveexec_b64 s[6:7], s[6:7]
	s_cbranch_execz .LBB1589_129
; %bb.128:
	v_mov_b32_e32 v0, 0
	s_waitcnt lgkmcnt(0)
	global_store_dword v0, v12, s[18:19]
.LBB1589_129:
	s_or_b64 exec, exec, s[6:7]
                                        ; implicit-def: $vgpr2_vgpr3
.LBB1589_130:
	s_andn2_saveexec_b64 s[4:5], s[4:5]
	s_cbranch_execz .LBB1589_132
; %bb.131:
	v_mov_b32_e32 v0, 0
	s_waitcnt lgkmcnt(0)
	global_store_dword v0, v3, s[18:19]
.LBB1589_132:
	s_or_b64 exec, exec, s[4:5]
.LBB1589_133:
	s_or_b64 exec, exec, s[2:3]
                                        ; implicit-def: $vgpr0_vgpr1
                                        ; implicit-def: $vgpr8_vgpr9
                                        ; implicit-def: $vgpr4_vgpr5
                                        ; implicit-def: $vgpr6_vgpr7
                                        ; implicit-def: $vgpr2_vgpr3
.LBB1589_134:
	s_andn2_saveexec_b64 s[0:1], s[0:1]
	s_cbranch_execz .LBB1589_157
; %bb.135:
	v_cmp_lt_i64_e32 vcc, 3, v[0:1]
	s_and_saveexec_b64 s[0:1], vcc
	s_xor_b64 s[0:1], exec, s[0:1]
	s_cbranch_execz .LBB1589_145
; %bb.136:
	v_cmp_lt_i64_e32 vcc, 4, v[0:1]
	s_and_saveexec_b64 s[2:3], vcc
	s_xor_b64 s[2:3], exec, s[2:3]
	;; [unrolled: 5-line block ×3, first 2 shown]
	s_cbranch_execz .LBB1589_139
; %bb.138:
	v_mov_b32_e32 v0, 0
	s_waitcnt lgkmcnt(0)
	global_store_dword v0, v2, s[18:19]
                                        ; implicit-def: $vgpr8_vgpr9
.LBB1589_139:
	s_andn2_saveexec_b64 s[4:5], s[4:5]
	s_cbranch_execz .LBB1589_141
; %bb.140:
	v_mov_b32_e32 v0, 0
	s_waitcnt lgkmcnt(0)
	global_store_dword v0, v9, s[18:19]
.LBB1589_141:
	s_or_b64 exec, exec, s[4:5]
                                        ; implicit-def: $vgpr8_vgpr9
.LBB1589_142:
	s_andn2_saveexec_b64 s[2:3], s[2:3]
	s_cbranch_execz .LBB1589_144
; %bb.143:
	v_mov_b32_e32 v0, 0
	s_waitcnt lgkmcnt(0)
	global_store_dword v0, v8, s[18:19]
.LBB1589_144:
	s_or_b64 exec, exec, s[2:3]
                                        ; implicit-def: $vgpr0_vgpr1
                                        ; implicit-def: $vgpr4_vgpr5
                                        ; implicit-def: $vgpr6_vgpr7
.LBB1589_145:
	s_andn2_saveexec_b64 s[0:1], s[0:1]
	s_cbranch_execz .LBB1589_157
; %bb.146:
	v_cmp_lt_i64_e32 vcc, 1, v[0:1]
	s_and_saveexec_b64 s[0:1], vcc
	s_xor_b64 s[0:1], exec, s[0:1]
	s_cbranch_execz .LBB1589_152
; %bb.147:
	v_cmp_lt_i64_e32 vcc, 2, v[0:1]
	s_and_saveexec_b64 s[2:3], vcc
	s_xor_b64 s[2:3], exec, s[2:3]
	s_cbranch_execz .LBB1589_149
; %bb.148:
	v_mov_b32_e32 v0, 0
	s_waitcnt lgkmcnt(0)
	global_store_dword v0, v7, s[18:19]
                                        ; implicit-def: $vgpr6_vgpr7
.LBB1589_149:
	s_andn2_saveexec_b64 s[2:3], s[2:3]
	s_cbranch_execz .LBB1589_151
; %bb.150:
	v_mov_b32_e32 v0, 0
	s_waitcnt lgkmcnt(0)
	global_store_dword v0, v6, s[18:19]
.LBB1589_151:
	s_or_b64 exec, exec, s[2:3]
                                        ; implicit-def: $vgpr4_vgpr5
                                        ; implicit-def: $vgpr0_vgpr1
.LBB1589_152:
	s_andn2_saveexec_b64 s[0:1], s[0:1]
	s_cbranch_execz .LBB1589_157
; %bb.153:
	v_cmp_ne_u64_e32 vcc, 1, v[0:1]
	s_and_saveexec_b64 s[0:1], vcc
	s_xor_b64 s[0:1], exec, s[0:1]
	s_cbranch_execz .LBB1589_155
; %bb.154:
	v_mov_b32_e32 v0, 0
	s_waitcnt lgkmcnt(0)
	global_store_dword v0, v4, s[18:19]
                                        ; implicit-def: $vgpr4_vgpr5
.LBB1589_155:
	s_andn2_saveexec_b64 s[0:1], s[0:1]
	s_cbranch_execz .LBB1589_157
; %bb.156:
	v_mov_b32_e32 v0, 0
	s_waitcnt lgkmcnt(0)
	global_store_dword v0, v5, s[18:19]
.LBB1589_157:
	s_endpgm
	.section	.rodata,"a",@progbits
	.p2align	6, 0x0
	.amdhsa_kernel _ZN7rocprim17ROCPRIM_400000_NS6detail17trampoline_kernelINS0_14default_configENS1_20scan_config_selectorIfEEZZNS1_9scan_implILNS1_25lookback_scan_determinismE0ELb1ELb1ES3_N6thrust23THRUST_200600_302600_NS6detail15normal_iteratorINS9_10device_ptrIfEEEENSB_INSC_IiEEEEfNS9_4plusIvEEfEEDaPvRmT3_T4_T5_mT6_P12ihipStream_tbENKUlT_T0_E_clISt17integral_constantIbLb1EESW_EEDaSR_SS_EUlSR_E_NS1_11comp_targetILNS1_3genE4ELNS1_11target_archE910ELNS1_3gpuE8ELNS1_3repE0EEENS1_30default_config_static_selectorELNS0_4arch9wavefront6targetE1EEEvT1_
		.amdhsa_group_segment_fixed_size 7168
		.amdhsa_private_segment_fixed_size 0
		.amdhsa_kernarg_size 96
		.amdhsa_user_sgpr_count 6
		.amdhsa_user_sgpr_private_segment_buffer 1
		.amdhsa_user_sgpr_dispatch_ptr 0
		.amdhsa_user_sgpr_queue_ptr 0
		.amdhsa_user_sgpr_kernarg_segment_ptr 1
		.amdhsa_user_sgpr_dispatch_id 0
		.amdhsa_user_sgpr_flat_scratch_init 0
		.amdhsa_user_sgpr_kernarg_preload_length 0
		.amdhsa_user_sgpr_kernarg_preload_offset 0
		.amdhsa_user_sgpr_private_segment_size 0
		.amdhsa_uses_dynamic_stack 0
		.amdhsa_system_sgpr_private_segment_wavefront_offset 0
		.amdhsa_system_sgpr_workgroup_id_x 1
		.amdhsa_system_sgpr_workgroup_id_y 0
		.amdhsa_system_sgpr_workgroup_id_z 0
		.amdhsa_system_sgpr_workgroup_info 0
		.amdhsa_system_vgpr_workitem_id 0
		.amdhsa_next_free_vgpr 49
		.amdhsa_next_free_sgpr 41
		.amdhsa_accum_offset 52
		.amdhsa_reserve_vcc 1
		.amdhsa_reserve_flat_scratch 0
		.amdhsa_float_round_mode_32 0
		.amdhsa_float_round_mode_16_64 0
		.amdhsa_float_denorm_mode_32 3
		.amdhsa_float_denorm_mode_16_64 3
		.amdhsa_dx10_clamp 1
		.amdhsa_ieee_mode 1
		.amdhsa_fp16_overflow 0
		.amdhsa_tg_split 0
		.amdhsa_exception_fp_ieee_invalid_op 0
		.amdhsa_exception_fp_denorm_src 0
		.amdhsa_exception_fp_ieee_div_zero 0
		.amdhsa_exception_fp_ieee_overflow 0
		.amdhsa_exception_fp_ieee_underflow 0
		.amdhsa_exception_fp_ieee_inexact 0
		.amdhsa_exception_int_div_zero 0
	.end_amdhsa_kernel
	.section	.text._ZN7rocprim17ROCPRIM_400000_NS6detail17trampoline_kernelINS0_14default_configENS1_20scan_config_selectorIfEEZZNS1_9scan_implILNS1_25lookback_scan_determinismE0ELb1ELb1ES3_N6thrust23THRUST_200600_302600_NS6detail15normal_iteratorINS9_10device_ptrIfEEEENSB_INSC_IiEEEEfNS9_4plusIvEEfEEDaPvRmT3_T4_T5_mT6_P12ihipStream_tbENKUlT_T0_E_clISt17integral_constantIbLb1EESW_EEDaSR_SS_EUlSR_E_NS1_11comp_targetILNS1_3genE4ELNS1_11target_archE910ELNS1_3gpuE8ELNS1_3repE0EEENS1_30default_config_static_selectorELNS0_4arch9wavefront6targetE1EEEvT1_,"axG",@progbits,_ZN7rocprim17ROCPRIM_400000_NS6detail17trampoline_kernelINS0_14default_configENS1_20scan_config_selectorIfEEZZNS1_9scan_implILNS1_25lookback_scan_determinismE0ELb1ELb1ES3_N6thrust23THRUST_200600_302600_NS6detail15normal_iteratorINS9_10device_ptrIfEEEENSB_INSC_IiEEEEfNS9_4plusIvEEfEEDaPvRmT3_T4_T5_mT6_P12ihipStream_tbENKUlT_T0_E_clISt17integral_constantIbLb1EESW_EEDaSR_SS_EUlSR_E_NS1_11comp_targetILNS1_3genE4ELNS1_11target_archE910ELNS1_3gpuE8ELNS1_3repE0EEENS1_30default_config_static_selectorELNS0_4arch9wavefront6targetE1EEEvT1_,comdat
.Lfunc_end1589:
	.size	_ZN7rocprim17ROCPRIM_400000_NS6detail17trampoline_kernelINS0_14default_configENS1_20scan_config_selectorIfEEZZNS1_9scan_implILNS1_25lookback_scan_determinismE0ELb1ELb1ES3_N6thrust23THRUST_200600_302600_NS6detail15normal_iteratorINS9_10device_ptrIfEEEENSB_INSC_IiEEEEfNS9_4plusIvEEfEEDaPvRmT3_T4_T5_mT6_P12ihipStream_tbENKUlT_T0_E_clISt17integral_constantIbLb1EESW_EEDaSR_SS_EUlSR_E_NS1_11comp_targetILNS1_3genE4ELNS1_11target_archE910ELNS1_3gpuE8ELNS1_3repE0EEENS1_30default_config_static_selectorELNS0_4arch9wavefront6targetE1EEEvT1_, .Lfunc_end1589-_ZN7rocprim17ROCPRIM_400000_NS6detail17trampoline_kernelINS0_14default_configENS1_20scan_config_selectorIfEEZZNS1_9scan_implILNS1_25lookback_scan_determinismE0ELb1ELb1ES3_N6thrust23THRUST_200600_302600_NS6detail15normal_iteratorINS9_10device_ptrIfEEEENSB_INSC_IiEEEEfNS9_4plusIvEEfEEDaPvRmT3_T4_T5_mT6_P12ihipStream_tbENKUlT_T0_E_clISt17integral_constantIbLb1EESW_EEDaSR_SS_EUlSR_E_NS1_11comp_targetILNS1_3genE4ELNS1_11target_archE910ELNS1_3gpuE8ELNS1_3repE0EEENS1_30default_config_static_selectorELNS0_4arch9wavefront6targetE1EEEvT1_
                                        ; -- End function
	.section	.AMDGPU.csdata,"",@progbits
; Kernel info:
; codeLenInByte = 5884
; NumSgprs: 45
; NumVgprs: 49
; NumAgprs: 0
; TotalNumVgprs: 49
; ScratchSize: 0
; MemoryBound: 0
; FloatMode: 240
; IeeeMode: 1
; LDSByteSize: 7168 bytes/workgroup (compile time only)
; SGPRBlocks: 5
; VGPRBlocks: 6
; NumSGPRsForWavesPerEU: 45
; NumVGPRsForWavesPerEU: 49
; AccumOffset: 52
; Occupancy: 5
; WaveLimiterHint : 1
; COMPUTE_PGM_RSRC2:SCRATCH_EN: 0
; COMPUTE_PGM_RSRC2:USER_SGPR: 6
; COMPUTE_PGM_RSRC2:TRAP_HANDLER: 0
; COMPUTE_PGM_RSRC2:TGID_X_EN: 1
; COMPUTE_PGM_RSRC2:TGID_Y_EN: 0
; COMPUTE_PGM_RSRC2:TGID_Z_EN: 0
; COMPUTE_PGM_RSRC2:TIDIG_COMP_CNT: 0
; COMPUTE_PGM_RSRC3_GFX90A:ACCUM_OFFSET: 12
; COMPUTE_PGM_RSRC3_GFX90A:TG_SPLIT: 0
	.section	.text._ZN7rocprim17ROCPRIM_400000_NS6detail17trampoline_kernelINS0_14default_configENS1_20scan_config_selectorIfEEZZNS1_9scan_implILNS1_25lookback_scan_determinismE0ELb1ELb1ES3_N6thrust23THRUST_200600_302600_NS6detail15normal_iteratorINS9_10device_ptrIfEEEENSB_INSC_IiEEEEfNS9_4plusIvEEfEEDaPvRmT3_T4_T5_mT6_P12ihipStream_tbENKUlT_T0_E_clISt17integral_constantIbLb1EESW_EEDaSR_SS_EUlSR_E_NS1_11comp_targetILNS1_3genE3ELNS1_11target_archE908ELNS1_3gpuE7ELNS1_3repE0EEENS1_30default_config_static_selectorELNS0_4arch9wavefront6targetE1EEEvT1_,"axG",@progbits,_ZN7rocprim17ROCPRIM_400000_NS6detail17trampoline_kernelINS0_14default_configENS1_20scan_config_selectorIfEEZZNS1_9scan_implILNS1_25lookback_scan_determinismE0ELb1ELb1ES3_N6thrust23THRUST_200600_302600_NS6detail15normal_iteratorINS9_10device_ptrIfEEEENSB_INSC_IiEEEEfNS9_4plusIvEEfEEDaPvRmT3_T4_T5_mT6_P12ihipStream_tbENKUlT_T0_E_clISt17integral_constantIbLb1EESW_EEDaSR_SS_EUlSR_E_NS1_11comp_targetILNS1_3genE3ELNS1_11target_archE908ELNS1_3gpuE7ELNS1_3repE0EEENS1_30default_config_static_selectorELNS0_4arch9wavefront6targetE1EEEvT1_,comdat
	.protected	_ZN7rocprim17ROCPRIM_400000_NS6detail17trampoline_kernelINS0_14default_configENS1_20scan_config_selectorIfEEZZNS1_9scan_implILNS1_25lookback_scan_determinismE0ELb1ELb1ES3_N6thrust23THRUST_200600_302600_NS6detail15normal_iteratorINS9_10device_ptrIfEEEENSB_INSC_IiEEEEfNS9_4plusIvEEfEEDaPvRmT3_T4_T5_mT6_P12ihipStream_tbENKUlT_T0_E_clISt17integral_constantIbLb1EESW_EEDaSR_SS_EUlSR_E_NS1_11comp_targetILNS1_3genE3ELNS1_11target_archE908ELNS1_3gpuE7ELNS1_3repE0EEENS1_30default_config_static_selectorELNS0_4arch9wavefront6targetE1EEEvT1_ ; -- Begin function _ZN7rocprim17ROCPRIM_400000_NS6detail17trampoline_kernelINS0_14default_configENS1_20scan_config_selectorIfEEZZNS1_9scan_implILNS1_25lookback_scan_determinismE0ELb1ELb1ES3_N6thrust23THRUST_200600_302600_NS6detail15normal_iteratorINS9_10device_ptrIfEEEENSB_INSC_IiEEEEfNS9_4plusIvEEfEEDaPvRmT3_T4_T5_mT6_P12ihipStream_tbENKUlT_T0_E_clISt17integral_constantIbLb1EESW_EEDaSR_SS_EUlSR_E_NS1_11comp_targetILNS1_3genE3ELNS1_11target_archE908ELNS1_3gpuE7ELNS1_3repE0EEENS1_30default_config_static_selectorELNS0_4arch9wavefront6targetE1EEEvT1_
	.globl	_ZN7rocprim17ROCPRIM_400000_NS6detail17trampoline_kernelINS0_14default_configENS1_20scan_config_selectorIfEEZZNS1_9scan_implILNS1_25lookback_scan_determinismE0ELb1ELb1ES3_N6thrust23THRUST_200600_302600_NS6detail15normal_iteratorINS9_10device_ptrIfEEEENSB_INSC_IiEEEEfNS9_4plusIvEEfEEDaPvRmT3_T4_T5_mT6_P12ihipStream_tbENKUlT_T0_E_clISt17integral_constantIbLb1EESW_EEDaSR_SS_EUlSR_E_NS1_11comp_targetILNS1_3genE3ELNS1_11target_archE908ELNS1_3gpuE7ELNS1_3repE0EEENS1_30default_config_static_selectorELNS0_4arch9wavefront6targetE1EEEvT1_
	.p2align	8
	.type	_ZN7rocprim17ROCPRIM_400000_NS6detail17trampoline_kernelINS0_14default_configENS1_20scan_config_selectorIfEEZZNS1_9scan_implILNS1_25lookback_scan_determinismE0ELb1ELb1ES3_N6thrust23THRUST_200600_302600_NS6detail15normal_iteratorINS9_10device_ptrIfEEEENSB_INSC_IiEEEEfNS9_4plusIvEEfEEDaPvRmT3_T4_T5_mT6_P12ihipStream_tbENKUlT_T0_E_clISt17integral_constantIbLb1EESW_EEDaSR_SS_EUlSR_E_NS1_11comp_targetILNS1_3genE3ELNS1_11target_archE908ELNS1_3gpuE7ELNS1_3repE0EEENS1_30default_config_static_selectorELNS0_4arch9wavefront6targetE1EEEvT1_,@function
_ZN7rocprim17ROCPRIM_400000_NS6detail17trampoline_kernelINS0_14default_configENS1_20scan_config_selectorIfEEZZNS1_9scan_implILNS1_25lookback_scan_determinismE0ELb1ELb1ES3_N6thrust23THRUST_200600_302600_NS6detail15normal_iteratorINS9_10device_ptrIfEEEENSB_INSC_IiEEEEfNS9_4plusIvEEfEEDaPvRmT3_T4_T5_mT6_P12ihipStream_tbENKUlT_T0_E_clISt17integral_constantIbLb1EESW_EEDaSR_SS_EUlSR_E_NS1_11comp_targetILNS1_3genE3ELNS1_11target_archE908ELNS1_3gpuE7ELNS1_3repE0EEENS1_30default_config_static_selectorELNS0_4arch9wavefront6targetE1EEEvT1_: ; @_ZN7rocprim17ROCPRIM_400000_NS6detail17trampoline_kernelINS0_14default_configENS1_20scan_config_selectorIfEEZZNS1_9scan_implILNS1_25lookback_scan_determinismE0ELb1ELb1ES3_N6thrust23THRUST_200600_302600_NS6detail15normal_iteratorINS9_10device_ptrIfEEEENSB_INSC_IiEEEEfNS9_4plusIvEEfEEDaPvRmT3_T4_T5_mT6_P12ihipStream_tbENKUlT_T0_E_clISt17integral_constantIbLb1EESW_EEDaSR_SS_EUlSR_E_NS1_11comp_targetILNS1_3genE3ELNS1_11target_archE908ELNS1_3gpuE7ELNS1_3repE0EEENS1_30default_config_static_selectorELNS0_4arch9wavefront6targetE1EEEvT1_
; %bb.0:
	.section	.rodata,"a",@progbits
	.p2align	6, 0x0
	.amdhsa_kernel _ZN7rocprim17ROCPRIM_400000_NS6detail17trampoline_kernelINS0_14default_configENS1_20scan_config_selectorIfEEZZNS1_9scan_implILNS1_25lookback_scan_determinismE0ELb1ELb1ES3_N6thrust23THRUST_200600_302600_NS6detail15normal_iteratorINS9_10device_ptrIfEEEENSB_INSC_IiEEEEfNS9_4plusIvEEfEEDaPvRmT3_T4_T5_mT6_P12ihipStream_tbENKUlT_T0_E_clISt17integral_constantIbLb1EESW_EEDaSR_SS_EUlSR_E_NS1_11comp_targetILNS1_3genE3ELNS1_11target_archE908ELNS1_3gpuE7ELNS1_3repE0EEENS1_30default_config_static_selectorELNS0_4arch9wavefront6targetE1EEEvT1_
		.amdhsa_group_segment_fixed_size 0
		.amdhsa_private_segment_fixed_size 0
		.amdhsa_kernarg_size 96
		.amdhsa_user_sgpr_count 6
		.amdhsa_user_sgpr_private_segment_buffer 1
		.amdhsa_user_sgpr_dispatch_ptr 0
		.amdhsa_user_sgpr_queue_ptr 0
		.amdhsa_user_sgpr_kernarg_segment_ptr 1
		.amdhsa_user_sgpr_dispatch_id 0
		.amdhsa_user_sgpr_flat_scratch_init 0
		.amdhsa_user_sgpr_kernarg_preload_length 0
		.amdhsa_user_sgpr_kernarg_preload_offset 0
		.amdhsa_user_sgpr_private_segment_size 0
		.amdhsa_uses_dynamic_stack 0
		.amdhsa_system_sgpr_private_segment_wavefront_offset 0
		.amdhsa_system_sgpr_workgroup_id_x 1
		.amdhsa_system_sgpr_workgroup_id_y 0
		.amdhsa_system_sgpr_workgroup_id_z 0
		.amdhsa_system_sgpr_workgroup_info 0
		.amdhsa_system_vgpr_workitem_id 0
		.amdhsa_next_free_vgpr 1
		.amdhsa_next_free_sgpr 0
		.amdhsa_accum_offset 4
		.amdhsa_reserve_vcc 0
		.amdhsa_reserve_flat_scratch 0
		.amdhsa_float_round_mode_32 0
		.amdhsa_float_round_mode_16_64 0
		.amdhsa_float_denorm_mode_32 3
		.amdhsa_float_denorm_mode_16_64 3
		.amdhsa_dx10_clamp 1
		.amdhsa_ieee_mode 1
		.amdhsa_fp16_overflow 0
		.amdhsa_tg_split 0
		.amdhsa_exception_fp_ieee_invalid_op 0
		.amdhsa_exception_fp_denorm_src 0
		.amdhsa_exception_fp_ieee_div_zero 0
		.amdhsa_exception_fp_ieee_overflow 0
		.amdhsa_exception_fp_ieee_underflow 0
		.amdhsa_exception_fp_ieee_inexact 0
		.amdhsa_exception_int_div_zero 0
	.end_amdhsa_kernel
	.section	.text._ZN7rocprim17ROCPRIM_400000_NS6detail17trampoline_kernelINS0_14default_configENS1_20scan_config_selectorIfEEZZNS1_9scan_implILNS1_25lookback_scan_determinismE0ELb1ELb1ES3_N6thrust23THRUST_200600_302600_NS6detail15normal_iteratorINS9_10device_ptrIfEEEENSB_INSC_IiEEEEfNS9_4plusIvEEfEEDaPvRmT3_T4_T5_mT6_P12ihipStream_tbENKUlT_T0_E_clISt17integral_constantIbLb1EESW_EEDaSR_SS_EUlSR_E_NS1_11comp_targetILNS1_3genE3ELNS1_11target_archE908ELNS1_3gpuE7ELNS1_3repE0EEENS1_30default_config_static_selectorELNS0_4arch9wavefront6targetE1EEEvT1_,"axG",@progbits,_ZN7rocprim17ROCPRIM_400000_NS6detail17trampoline_kernelINS0_14default_configENS1_20scan_config_selectorIfEEZZNS1_9scan_implILNS1_25lookback_scan_determinismE0ELb1ELb1ES3_N6thrust23THRUST_200600_302600_NS6detail15normal_iteratorINS9_10device_ptrIfEEEENSB_INSC_IiEEEEfNS9_4plusIvEEfEEDaPvRmT3_T4_T5_mT6_P12ihipStream_tbENKUlT_T0_E_clISt17integral_constantIbLb1EESW_EEDaSR_SS_EUlSR_E_NS1_11comp_targetILNS1_3genE3ELNS1_11target_archE908ELNS1_3gpuE7ELNS1_3repE0EEENS1_30default_config_static_selectorELNS0_4arch9wavefront6targetE1EEEvT1_,comdat
.Lfunc_end1590:
	.size	_ZN7rocprim17ROCPRIM_400000_NS6detail17trampoline_kernelINS0_14default_configENS1_20scan_config_selectorIfEEZZNS1_9scan_implILNS1_25lookback_scan_determinismE0ELb1ELb1ES3_N6thrust23THRUST_200600_302600_NS6detail15normal_iteratorINS9_10device_ptrIfEEEENSB_INSC_IiEEEEfNS9_4plusIvEEfEEDaPvRmT3_T4_T5_mT6_P12ihipStream_tbENKUlT_T0_E_clISt17integral_constantIbLb1EESW_EEDaSR_SS_EUlSR_E_NS1_11comp_targetILNS1_3genE3ELNS1_11target_archE908ELNS1_3gpuE7ELNS1_3repE0EEENS1_30default_config_static_selectorELNS0_4arch9wavefront6targetE1EEEvT1_, .Lfunc_end1590-_ZN7rocprim17ROCPRIM_400000_NS6detail17trampoline_kernelINS0_14default_configENS1_20scan_config_selectorIfEEZZNS1_9scan_implILNS1_25lookback_scan_determinismE0ELb1ELb1ES3_N6thrust23THRUST_200600_302600_NS6detail15normal_iteratorINS9_10device_ptrIfEEEENSB_INSC_IiEEEEfNS9_4plusIvEEfEEDaPvRmT3_T4_T5_mT6_P12ihipStream_tbENKUlT_T0_E_clISt17integral_constantIbLb1EESW_EEDaSR_SS_EUlSR_E_NS1_11comp_targetILNS1_3genE3ELNS1_11target_archE908ELNS1_3gpuE7ELNS1_3repE0EEENS1_30default_config_static_selectorELNS0_4arch9wavefront6targetE1EEEvT1_
                                        ; -- End function
	.section	.AMDGPU.csdata,"",@progbits
; Kernel info:
; codeLenInByte = 0
; NumSgprs: 4
; NumVgprs: 0
; NumAgprs: 0
; TotalNumVgprs: 0
; ScratchSize: 0
; MemoryBound: 0
; FloatMode: 240
; IeeeMode: 1
; LDSByteSize: 0 bytes/workgroup (compile time only)
; SGPRBlocks: 0
; VGPRBlocks: 0
; NumSGPRsForWavesPerEU: 4
; NumVGPRsForWavesPerEU: 1
; AccumOffset: 4
; Occupancy: 8
; WaveLimiterHint : 0
; COMPUTE_PGM_RSRC2:SCRATCH_EN: 0
; COMPUTE_PGM_RSRC2:USER_SGPR: 6
; COMPUTE_PGM_RSRC2:TRAP_HANDLER: 0
; COMPUTE_PGM_RSRC2:TGID_X_EN: 1
; COMPUTE_PGM_RSRC2:TGID_Y_EN: 0
; COMPUTE_PGM_RSRC2:TGID_Z_EN: 0
; COMPUTE_PGM_RSRC2:TIDIG_COMP_CNT: 0
; COMPUTE_PGM_RSRC3_GFX90A:ACCUM_OFFSET: 0
; COMPUTE_PGM_RSRC3_GFX90A:TG_SPLIT: 0
	.section	.text._ZN7rocprim17ROCPRIM_400000_NS6detail17trampoline_kernelINS0_14default_configENS1_20scan_config_selectorIfEEZZNS1_9scan_implILNS1_25lookback_scan_determinismE0ELb1ELb1ES3_N6thrust23THRUST_200600_302600_NS6detail15normal_iteratorINS9_10device_ptrIfEEEENSB_INSC_IiEEEEfNS9_4plusIvEEfEEDaPvRmT3_T4_T5_mT6_P12ihipStream_tbENKUlT_T0_E_clISt17integral_constantIbLb1EESW_EEDaSR_SS_EUlSR_E_NS1_11comp_targetILNS1_3genE2ELNS1_11target_archE906ELNS1_3gpuE6ELNS1_3repE0EEENS1_30default_config_static_selectorELNS0_4arch9wavefront6targetE1EEEvT1_,"axG",@progbits,_ZN7rocprim17ROCPRIM_400000_NS6detail17trampoline_kernelINS0_14default_configENS1_20scan_config_selectorIfEEZZNS1_9scan_implILNS1_25lookback_scan_determinismE0ELb1ELb1ES3_N6thrust23THRUST_200600_302600_NS6detail15normal_iteratorINS9_10device_ptrIfEEEENSB_INSC_IiEEEEfNS9_4plusIvEEfEEDaPvRmT3_T4_T5_mT6_P12ihipStream_tbENKUlT_T0_E_clISt17integral_constantIbLb1EESW_EEDaSR_SS_EUlSR_E_NS1_11comp_targetILNS1_3genE2ELNS1_11target_archE906ELNS1_3gpuE6ELNS1_3repE0EEENS1_30default_config_static_selectorELNS0_4arch9wavefront6targetE1EEEvT1_,comdat
	.protected	_ZN7rocprim17ROCPRIM_400000_NS6detail17trampoline_kernelINS0_14default_configENS1_20scan_config_selectorIfEEZZNS1_9scan_implILNS1_25lookback_scan_determinismE0ELb1ELb1ES3_N6thrust23THRUST_200600_302600_NS6detail15normal_iteratorINS9_10device_ptrIfEEEENSB_INSC_IiEEEEfNS9_4plusIvEEfEEDaPvRmT3_T4_T5_mT6_P12ihipStream_tbENKUlT_T0_E_clISt17integral_constantIbLb1EESW_EEDaSR_SS_EUlSR_E_NS1_11comp_targetILNS1_3genE2ELNS1_11target_archE906ELNS1_3gpuE6ELNS1_3repE0EEENS1_30default_config_static_selectorELNS0_4arch9wavefront6targetE1EEEvT1_ ; -- Begin function _ZN7rocprim17ROCPRIM_400000_NS6detail17trampoline_kernelINS0_14default_configENS1_20scan_config_selectorIfEEZZNS1_9scan_implILNS1_25lookback_scan_determinismE0ELb1ELb1ES3_N6thrust23THRUST_200600_302600_NS6detail15normal_iteratorINS9_10device_ptrIfEEEENSB_INSC_IiEEEEfNS9_4plusIvEEfEEDaPvRmT3_T4_T5_mT6_P12ihipStream_tbENKUlT_T0_E_clISt17integral_constantIbLb1EESW_EEDaSR_SS_EUlSR_E_NS1_11comp_targetILNS1_3genE2ELNS1_11target_archE906ELNS1_3gpuE6ELNS1_3repE0EEENS1_30default_config_static_selectorELNS0_4arch9wavefront6targetE1EEEvT1_
	.globl	_ZN7rocprim17ROCPRIM_400000_NS6detail17trampoline_kernelINS0_14default_configENS1_20scan_config_selectorIfEEZZNS1_9scan_implILNS1_25lookback_scan_determinismE0ELb1ELb1ES3_N6thrust23THRUST_200600_302600_NS6detail15normal_iteratorINS9_10device_ptrIfEEEENSB_INSC_IiEEEEfNS9_4plusIvEEfEEDaPvRmT3_T4_T5_mT6_P12ihipStream_tbENKUlT_T0_E_clISt17integral_constantIbLb1EESW_EEDaSR_SS_EUlSR_E_NS1_11comp_targetILNS1_3genE2ELNS1_11target_archE906ELNS1_3gpuE6ELNS1_3repE0EEENS1_30default_config_static_selectorELNS0_4arch9wavefront6targetE1EEEvT1_
	.p2align	8
	.type	_ZN7rocprim17ROCPRIM_400000_NS6detail17trampoline_kernelINS0_14default_configENS1_20scan_config_selectorIfEEZZNS1_9scan_implILNS1_25lookback_scan_determinismE0ELb1ELb1ES3_N6thrust23THRUST_200600_302600_NS6detail15normal_iteratorINS9_10device_ptrIfEEEENSB_INSC_IiEEEEfNS9_4plusIvEEfEEDaPvRmT3_T4_T5_mT6_P12ihipStream_tbENKUlT_T0_E_clISt17integral_constantIbLb1EESW_EEDaSR_SS_EUlSR_E_NS1_11comp_targetILNS1_3genE2ELNS1_11target_archE906ELNS1_3gpuE6ELNS1_3repE0EEENS1_30default_config_static_selectorELNS0_4arch9wavefront6targetE1EEEvT1_,@function
_ZN7rocprim17ROCPRIM_400000_NS6detail17trampoline_kernelINS0_14default_configENS1_20scan_config_selectorIfEEZZNS1_9scan_implILNS1_25lookback_scan_determinismE0ELb1ELb1ES3_N6thrust23THRUST_200600_302600_NS6detail15normal_iteratorINS9_10device_ptrIfEEEENSB_INSC_IiEEEEfNS9_4plusIvEEfEEDaPvRmT3_T4_T5_mT6_P12ihipStream_tbENKUlT_T0_E_clISt17integral_constantIbLb1EESW_EEDaSR_SS_EUlSR_E_NS1_11comp_targetILNS1_3genE2ELNS1_11target_archE906ELNS1_3gpuE6ELNS1_3repE0EEENS1_30default_config_static_selectorELNS0_4arch9wavefront6targetE1EEEvT1_: ; @_ZN7rocprim17ROCPRIM_400000_NS6detail17trampoline_kernelINS0_14default_configENS1_20scan_config_selectorIfEEZZNS1_9scan_implILNS1_25lookback_scan_determinismE0ELb1ELb1ES3_N6thrust23THRUST_200600_302600_NS6detail15normal_iteratorINS9_10device_ptrIfEEEENSB_INSC_IiEEEEfNS9_4plusIvEEfEEDaPvRmT3_T4_T5_mT6_P12ihipStream_tbENKUlT_T0_E_clISt17integral_constantIbLb1EESW_EEDaSR_SS_EUlSR_E_NS1_11comp_targetILNS1_3genE2ELNS1_11target_archE906ELNS1_3gpuE6ELNS1_3repE0EEENS1_30default_config_static_selectorELNS0_4arch9wavefront6targetE1EEEvT1_
; %bb.0:
	.section	.rodata,"a",@progbits
	.p2align	6, 0x0
	.amdhsa_kernel _ZN7rocprim17ROCPRIM_400000_NS6detail17trampoline_kernelINS0_14default_configENS1_20scan_config_selectorIfEEZZNS1_9scan_implILNS1_25lookback_scan_determinismE0ELb1ELb1ES3_N6thrust23THRUST_200600_302600_NS6detail15normal_iteratorINS9_10device_ptrIfEEEENSB_INSC_IiEEEEfNS9_4plusIvEEfEEDaPvRmT3_T4_T5_mT6_P12ihipStream_tbENKUlT_T0_E_clISt17integral_constantIbLb1EESW_EEDaSR_SS_EUlSR_E_NS1_11comp_targetILNS1_3genE2ELNS1_11target_archE906ELNS1_3gpuE6ELNS1_3repE0EEENS1_30default_config_static_selectorELNS0_4arch9wavefront6targetE1EEEvT1_
		.amdhsa_group_segment_fixed_size 0
		.amdhsa_private_segment_fixed_size 0
		.amdhsa_kernarg_size 96
		.amdhsa_user_sgpr_count 6
		.amdhsa_user_sgpr_private_segment_buffer 1
		.amdhsa_user_sgpr_dispatch_ptr 0
		.amdhsa_user_sgpr_queue_ptr 0
		.amdhsa_user_sgpr_kernarg_segment_ptr 1
		.amdhsa_user_sgpr_dispatch_id 0
		.amdhsa_user_sgpr_flat_scratch_init 0
		.amdhsa_user_sgpr_kernarg_preload_length 0
		.amdhsa_user_sgpr_kernarg_preload_offset 0
		.amdhsa_user_sgpr_private_segment_size 0
		.amdhsa_uses_dynamic_stack 0
		.amdhsa_system_sgpr_private_segment_wavefront_offset 0
		.amdhsa_system_sgpr_workgroup_id_x 1
		.amdhsa_system_sgpr_workgroup_id_y 0
		.amdhsa_system_sgpr_workgroup_id_z 0
		.amdhsa_system_sgpr_workgroup_info 0
		.amdhsa_system_vgpr_workitem_id 0
		.amdhsa_next_free_vgpr 1
		.amdhsa_next_free_sgpr 0
		.amdhsa_accum_offset 4
		.amdhsa_reserve_vcc 0
		.amdhsa_reserve_flat_scratch 0
		.amdhsa_float_round_mode_32 0
		.amdhsa_float_round_mode_16_64 0
		.amdhsa_float_denorm_mode_32 3
		.amdhsa_float_denorm_mode_16_64 3
		.amdhsa_dx10_clamp 1
		.amdhsa_ieee_mode 1
		.amdhsa_fp16_overflow 0
		.amdhsa_tg_split 0
		.amdhsa_exception_fp_ieee_invalid_op 0
		.amdhsa_exception_fp_denorm_src 0
		.amdhsa_exception_fp_ieee_div_zero 0
		.amdhsa_exception_fp_ieee_overflow 0
		.amdhsa_exception_fp_ieee_underflow 0
		.amdhsa_exception_fp_ieee_inexact 0
		.amdhsa_exception_int_div_zero 0
	.end_amdhsa_kernel
	.section	.text._ZN7rocprim17ROCPRIM_400000_NS6detail17trampoline_kernelINS0_14default_configENS1_20scan_config_selectorIfEEZZNS1_9scan_implILNS1_25lookback_scan_determinismE0ELb1ELb1ES3_N6thrust23THRUST_200600_302600_NS6detail15normal_iteratorINS9_10device_ptrIfEEEENSB_INSC_IiEEEEfNS9_4plusIvEEfEEDaPvRmT3_T4_T5_mT6_P12ihipStream_tbENKUlT_T0_E_clISt17integral_constantIbLb1EESW_EEDaSR_SS_EUlSR_E_NS1_11comp_targetILNS1_3genE2ELNS1_11target_archE906ELNS1_3gpuE6ELNS1_3repE0EEENS1_30default_config_static_selectorELNS0_4arch9wavefront6targetE1EEEvT1_,"axG",@progbits,_ZN7rocprim17ROCPRIM_400000_NS6detail17trampoline_kernelINS0_14default_configENS1_20scan_config_selectorIfEEZZNS1_9scan_implILNS1_25lookback_scan_determinismE0ELb1ELb1ES3_N6thrust23THRUST_200600_302600_NS6detail15normal_iteratorINS9_10device_ptrIfEEEENSB_INSC_IiEEEEfNS9_4plusIvEEfEEDaPvRmT3_T4_T5_mT6_P12ihipStream_tbENKUlT_T0_E_clISt17integral_constantIbLb1EESW_EEDaSR_SS_EUlSR_E_NS1_11comp_targetILNS1_3genE2ELNS1_11target_archE906ELNS1_3gpuE6ELNS1_3repE0EEENS1_30default_config_static_selectorELNS0_4arch9wavefront6targetE1EEEvT1_,comdat
.Lfunc_end1591:
	.size	_ZN7rocprim17ROCPRIM_400000_NS6detail17trampoline_kernelINS0_14default_configENS1_20scan_config_selectorIfEEZZNS1_9scan_implILNS1_25lookback_scan_determinismE0ELb1ELb1ES3_N6thrust23THRUST_200600_302600_NS6detail15normal_iteratorINS9_10device_ptrIfEEEENSB_INSC_IiEEEEfNS9_4plusIvEEfEEDaPvRmT3_T4_T5_mT6_P12ihipStream_tbENKUlT_T0_E_clISt17integral_constantIbLb1EESW_EEDaSR_SS_EUlSR_E_NS1_11comp_targetILNS1_3genE2ELNS1_11target_archE906ELNS1_3gpuE6ELNS1_3repE0EEENS1_30default_config_static_selectorELNS0_4arch9wavefront6targetE1EEEvT1_, .Lfunc_end1591-_ZN7rocprim17ROCPRIM_400000_NS6detail17trampoline_kernelINS0_14default_configENS1_20scan_config_selectorIfEEZZNS1_9scan_implILNS1_25lookback_scan_determinismE0ELb1ELb1ES3_N6thrust23THRUST_200600_302600_NS6detail15normal_iteratorINS9_10device_ptrIfEEEENSB_INSC_IiEEEEfNS9_4plusIvEEfEEDaPvRmT3_T4_T5_mT6_P12ihipStream_tbENKUlT_T0_E_clISt17integral_constantIbLb1EESW_EEDaSR_SS_EUlSR_E_NS1_11comp_targetILNS1_3genE2ELNS1_11target_archE906ELNS1_3gpuE6ELNS1_3repE0EEENS1_30default_config_static_selectorELNS0_4arch9wavefront6targetE1EEEvT1_
                                        ; -- End function
	.section	.AMDGPU.csdata,"",@progbits
; Kernel info:
; codeLenInByte = 0
; NumSgprs: 4
; NumVgprs: 0
; NumAgprs: 0
; TotalNumVgprs: 0
; ScratchSize: 0
; MemoryBound: 0
; FloatMode: 240
; IeeeMode: 1
; LDSByteSize: 0 bytes/workgroup (compile time only)
; SGPRBlocks: 0
; VGPRBlocks: 0
; NumSGPRsForWavesPerEU: 4
; NumVGPRsForWavesPerEU: 1
; AccumOffset: 4
; Occupancy: 8
; WaveLimiterHint : 0
; COMPUTE_PGM_RSRC2:SCRATCH_EN: 0
; COMPUTE_PGM_RSRC2:USER_SGPR: 6
; COMPUTE_PGM_RSRC2:TRAP_HANDLER: 0
; COMPUTE_PGM_RSRC2:TGID_X_EN: 1
; COMPUTE_PGM_RSRC2:TGID_Y_EN: 0
; COMPUTE_PGM_RSRC2:TGID_Z_EN: 0
; COMPUTE_PGM_RSRC2:TIDIG_COMP_CNT: 0
; COMPUTE_PGM_RSRC3_GFX90A:ACCUM_OFFSET: 0
; COMPUTE_PGM_RSRC3_GFX90A:TG_SPLIT: 0
	.section	.text._ZN7rocprim17ROCPRIM_400000_NS6detail17trampoline_kernelINS0_14default_configENS1_20scan_config_selectorIfEEZZNS1_9scan_implILNS1_25lookback_scan_determinismE0ELb1ELb1ES3_N6thrust23THRUST_200600_302600_NS6detail15normal_iteratorINS9_10device_ptrIfEEEENSB_INSC_IiEEEEfNS9_4plusIvEEfEEDaPvRmT3_T4_T5_mT6_P12ihipStream_tbENKUlT_T0_E_clISt17integral_constantIbLb1EESW_EEDaSR_SS_EUlSR_E_NS1_11comp_targetILNS1_3genE10ELNS1_11target_archE1201ELNS1_3gpuE5ELNS1_3repE0EEENS1_30default_config_static_selectorELNS0_4arch9wavefront6targetE1EEEvT1_,"axG",@progbits,_ZN7rocprim17ROCPRIM_400000_NS6detail17trampoline_kernelINS0_14default_configENS1_20scan_config_selectorIfEEZZNS1_9scan_implILNS1_25lookback_scan_determinismE0ELb1ELb1ES3_N6thrust23THRUST_200600_302600_NS6detail15normal_iteratorINS9_10device_ptrIfEEEENSB_INSC_IiEEEEfNS9_4plusIvEEfEEDaPvRmT3_T4_T5_mT6_P12ihipStream_tbENKUlT_T0_E_clISt17integral_constantIbLb1EESW_EEDaSR_SS_EUlSR_E_NS1_11comp_targetILNS1_3genE10ELNS1_11target_archE1201ELNS1_3gpuE5ELNS1_3repE0EEENS1_30default_config_static_selectorELNS0_4arch9wavefront6targetE1EEEvT1_,comdat
	.protected	_ZN7rocprim17ROCPRIM_400000_NS6detail17trampoline_kernelINS0_14default_configENS1_20scan_config_selectorIfEEZZNS1_9scan_implILNS1_25lookback_scan_determinismE0ELb1ELb1ES3_N6thrust23THRUST_200600_302600_NS6detail15normal_iteratorINS9_10device_ptrIfEEEENSB_INSC_IiEEEEfNS9_4plusIvEEfEEDaPvRmT3_T4_T5_mT6_P12ihipStream_tbENKUlT_T0_E_clISt17integral_constantIbLb1EESW_EEDaSR_SS_EUlSR_E_NS1_11comp_targetILNS1_3genE10ELNS1_11target_archE1201ELNS1_3gpuE5ELNS1_3repE0EEENS1_30default_config_static_selectorELNS0_4arch9wavefront6targetE1EEEvT1_ ; -- Begin function _ZN7rocprim17ROCPRIM_400000_NS6detail17trampoline_kernelINS0_14default_configENS1_20scan_config_selectorIfEEZZNS1_9scan_implILNS1_25lookback_scan_determinismE0ELb1ELb1ES3_N6thrust23THRUST_200600_302600_NS6detail15normal_iteratorINS9_10device_ptrIfEEEENSB_INSC_IiEEEEfNS9_4plusIvEEfEEDaPvRmT3_T4_T5_mT6_P12ihipStream_tbENKUlT_T0_E_clISt17integral_constantIbLb1EESW_EEDaSR_SS_EUlSR_E_NS1_11comp_targetILNS1_3genE10ELNS1_11target_archE1201ELNS1_3gpuE5ELNS1_3repE0EEENS1_30default_config_static_selectorELNS0_4arch9wavefront6targetE1EEEvT1_
	.globl	_ZN7rocprim17ROCPRIM_400000_NS6detail17trampoline_kernelINS0_14default_configENS1_20scan_config_selectorIfEEZZNS1_9scan_implILNS1_25lookback_scan_determinismE0ELb1ELb1ES3_N6thrust23THRUST_200600_302600_NS6detail15normal_iteratorINS9_10device_ptrIfEEEENSB_INSC_IiEEEEfNS9_4plusIvEEfEEDaPvRmT3_T4_T5_mT6_P12ihipStream_tbENKUlT_T0_E_clISt17integral_constantIbLb1EESW_EEDaSR_SS_EUlSR_E_NS1_11comp_targetILNS1_3genE10ELNS1_11target_archE1201ELNS1_3gpuE5ELNS1_3repE0EEENS1_30default_config_static_selectorELNS0_4arch9wavefront6targetE1EEEvT1_
	.p2align	8
	.type	_ZN7rocprim17ROCPRIM_400000_NS6detail17trampoline_kernelINS0_14default_configENS1_20scan_config_selectorIfEEZZNS1_9scan_implILNS1_25lookback_scan_determinismE0ELb1ELb1ES3_N6thrust23THRUST_200600_302600_NS6detail15normal_iteratorINS9_10device_ptrIfEEEENSB_INSC_IiEEEEfNS9_4plusIvEEfEEDaPvRmT3_T4_T5_mT6_P12ihipStream_tbENKUlT_T0_E_clISt17integral_constantIbLb1EESW_EEDaSR_SS_EUlSR_E_NS1_11comp_targetILNS1_3genE10ELNS1_11target_archE1201ELNS1_3gpuE5ELNS1_3repE0EEENS1_30default_config_static_selectorELNS0_4arch9wavefront6targetE1EEEvT1_,@function
_ZN7rocprim17ROCPRIM_400000_NS6detail17trampoline_kernelINS0_14default_configENS1_20scan_config_selectorIfEEZZNS1_9scan_implILNS1_25lookback_scan_determinismE0ELb1ELb1ES3_N6thrust23THRUST_200600_302600_NS6detail15normal_iteratorINS9_10device_ptrIfEEEENSB_INSC_IiEEEEfNS9_4plusIvEEfEEDaPvRmT3_T4_T5_mT6_P12ihipStream_tbENKUlT_T0_E_clISt17integral_constantIbLb1EESW_EEDaSR_SS_EUlSR_E_NS1_11comp_targetILNS1_3genE10ELNS1_11target_archE1201ELNS1_3gpuE5ELNS1_3repE0EEENS1_30default_config_static_selectorELNS0_4arch9wavefront6targetE1EEEvT1_: ; @_ZN7rocprim17ROCPRIM_400000_NS6detail17trampoline_kernelINS0_14default_configENS1_20scan_config_selectorIfEEZZNS1_9scan_implILNS1_25lookback_scan_determinismE0ELb1ELb1ES3_N6thrust23THRUST_200600_302600_NS6detail15normal_iteratorINS9_10device_ptrIfEEEENSB_INSC_IiEEEEfNS9_4plusIvEEfEEDaPvRmT3_T4_T5_mT6_P12ihipStream_tbENKUlT_T0_E_clISt17integral_constantIbLb1EESW_EEDaSR_SS_EUlSR_E_NS1_11comp_targetILNS1_3genE10ELNS1_11target_archE1201ELNS1_3gpuE5ELNS1_3repE0EEENS1_30default_config_static_selectorELNS0_4arch9wavefront6targetE1EEEvT1_
; %bb.0:
	.section	.rodata,"a",@progbits
	.p2align	6, 0x0
	.amdhsa_kernel _ZN7rocprim17ROCPRIM_400000_NS6detail17trampoline_kernelINS0_14default_configENS1_20scan_config_selectorIfEEZZNS1_9scan_implILNS1_25lookback_scan_determinismE0ELb1ELb1ES3_N6thrust23THRUST_200600_302600_NS6detail15normal_iteratorINS9_10device_ptrIfEEEENSB_INSC_IiEEEEfNS9_4plusIvEEfEEDaPvRmT3_T4_T5_mT6_P12ihipStream_tbENKUlT_T0_E_clISt17integral_constantIbLb1EESW_EEDaSR_SS_EUlSR_E_NS1_11comp_targetILNS1_3genE10ELNS1_11target_archE1201ELNS1_3gpuE5ELNS1_3repE0EEENS1_30default_config_static_selectorELNS0_4arch9wavefront6targetE1EEEvT1_
		.amdhsa_group_segment_fixed_size 0
		.amdhsa_private_segment_fixed_size 0
		.amdhsa_kernarg_size 96
		.amdhsa_user_sgpr_count 6
		.amdhsa_user_sgpr_private_segment_buffer 1
		.amdhsa_user_sgpr_dispatch_ptr 0
		.amdhsa_user_sgpr_queue_ptr 0
		.amdhsa_user_sgpr_kernarg_segment_ptr 1
		.amdhsa_user_sgpr_dispatch_id 0
		.amdhsa_user_sgpr_flat_scratch_init 0
		.amdhsa_user_sgpr_kernarg_preload_length 0
		.amdhsa_user_sgpr_kernarg_preload_offset 0
		.amdhsa_user_sgpr_private_segment_size 0
		.amdhsa_uses_dynamic_stack 0
		.amdhsa_system_sgpr_private_segment_wavefront_offset 0
		.amdhsa_system_sgpr_workgroup_id_x 1
		.amdhsa_system_sgpr_workgroup_id_y 0
		.amdhsa_system_sgpr_workgroup_id_z 0
		.amdhsa_system_sgpr_workgroup_info 0
		.amdhsa_system_vgpr_workitem_id 0
		.amdhsa_next_free_vgpr 1
		.amdhsa_next_free_sgpr 0
		.amdhsa_accum_offset 4
		.amdhsa_reserve_vcc 0
		.amdhsa_reserve_flat_scratch 0
		.amdhsa_float_round_mode_32 0
		.amdhsa_float_round_mode_16_64 0
		.amdhsa_float_denorm_mode_32 3
		.amdhsa_float_denorm_mode_16_64 3
		.amdhsa_dx10_clamp 1
		.amdhsa_ieee_mode 1
		.amdhsa_fp16_overflow 0
		.amdhsa_tg_split 0
		.amdhsa_exception_fp_ieee_invalid_op 0
		.amdhsa_exception_fp_denorm_src 0
		.amdhsa_exception_fp_ieee_div_zero 0
		.amdhsa_exception_fp_ieee_overflow 0
		.amdhsa_exception_fp_ieee_underflow 0
		.amdhsa_exception_fp_ieee_inexact 0
		.amdhsa_exception_int_div_zero 0
	.end_amdhsa_kernel
	.section	.text._ZN7rocprim17ROCPRIM_400000_NS6detail17trampoline_kernelINS0_14default_configENS1_20scan_config_selectorIfEEZZNS1_9scan_implILNS1_25lookback_scan_determinismE0ELb1ELb1ES3_N6thrust23THRUST_200600_302600_NS6detail15normal_iteratorINS9_10device_ptrIfEEEENSB_INSC_IiEEEEfNS9_4plusIvEEfEEDaPvRmT3_T4_T5_mT6_P12ihipStream_tbENKUlT_T0_E_clISt17integral_constantIbLb1EESW_EEDaSR_SS_EUlSR_E_NS1_11comp_targetILNS1_3genE10ELNS1_11target_archE1201ELNS1_3gpuE5ELNS1_3repE0EEENS1_30default_config_static_selectorELNS0_4arch9wavefront6targetE1EEEvT1_,"axG",@progbits,_ZN7rocprim17ROCPRIM_400000_NS6detail17trampoline_kernelINS0_14default_configENS1_20scan_config_selectorIfEEZZNS1_9scan_implILNS1_25lookback_scan_determinismE0ELb1ELb1ES3_N6thrust23THRUST_200600_302600_NS6detail15normal_iteratorINS9_10device_ptrIfEEEENSB_INSC_IiEEEEfNS9_4plusIvEEfEEDaPvRmT3_T4_T5_mT6_P12ihipStream_tbENKUlT_T0_E_clISt17integral_constantIbLb1EESW_EEDaSR_SS_EUlSR_E_NS1_11comp_targetILNS1_3genE10ELNS1_11target_archE1201ELNS1_3gpuE5ELNS1_3repE0EEENS1_30default_config_static_selectorELNS0_4arch9wavefront6targetE1EEEvT1_,comdat
.Lfunc_end1592:
	.size	_ZN7rocprim17ROCPRIM_400000_NS6detail17trampoline_kernelINS0_14default_configENS1_20scan_config_selectorIfEEZZNS1_9scan_implILNS1_25lookback_scan_determinismE0ELb1ELb1ES3_N6thrust23THRUST_200600_302600_NS6detail15normal_iteratorINS9_10device_ptrIfEEEENSB_INSC_IiEEEEfNS9_4plusIvEEfEEDaPvRmT3_T4_T5_mT6_P12ihipStream_tbENKUlT_T0_E_clISt17integral_constantIbLb1EESW_EEDaSR_SS_EUlSR_E_NS1_11comp_targetILNS1_3genE10ELNS1_11target_archE1201ELNS1_3gpuE5ELNS1_3repE0EEENS1_30default_config_static_selectorELNS0_4arch9wavefront6targetE1EEEvT1_, .Lfunc_end1592-_ZN7rocprim17ROCPRIM_400000_NS6detail17trampoline_kernelINS0_14default_configENS1_20scan_config_selectorIfEEZZNS1_9scan_implILNS1_25lookback_scan_determinismE0ELb1ELb1ES3_N6thrust23THRUST_200600_302600_NS6detail15normal_iteratorINS9_10device_ptrIfEEEENSB_INSC_IiEEEEfNS9_4plusIvEEfEEDaPvRmT3_T4_T5_mT6_P12ihipStream_tbENKUlT_T0_E_clISt17integral_constantIbLb1EESW_EEDaSR_SS_EUlSR_E_NS1_11comp_targetILNS1_3genE10ELNS1_11target_archE1201ELNS1_3gpuE5ELNS1_3repE0EEENS1_30default_config_static_selectorELNS0_4arch9wavefront6targetE1EEEvT1_
                                        ; -- End function
	.section	.AMDGPU.csdata,"",@progbits
; Kernel info:
; codeLenInByte = 0
; NumSgprs: 4
; NumVgprs: 0
; NumAgprs: 0
; TotalNumVgprs: 0
; ScratchSize: 0
; MemoryBound: 0
; FloatMode: 240
; IeeeMode: 1
; LDSByteSize: 0 bytes/workgroup (compile time only)
; SGPRBlocks: 0
; VGPRBlocks: 0
; NumSGPRsForWavesPerEU: 4
; NumVGPRsForWavesPerEU: 1
; AccumOffset: 4
; Occupancy: 8
; WaveLimiterHint : 0
; COMPUTE_PGM_RSRC2:SCRATCH_EN: 0
; COMPUTE_PGM_RSRC2:USER_SGPR: 6
; COMPUTE_PGM_RSRC2:TRAP_HANDLER: 0
; COMPUTE_PGM_RSRC2:TGID_X_EN: 1
; COMPUTE_PGM_RSRC2:TGID_Y_EN: 0
; COMPUTE_PGM_RSRC2:TGID_Z_EN: 0
; COMPUTE_PGM_RSRC2:TIDIG_COMP_CNT: 0
; COMPUTE_PGM_RSRC3_GFX90A:ACCUM_OFFSET: 0
; COMPUTE_PGM_RSRC3_GFX90A:TG_SPLIT: 0
	.section	.text._ZN7rocprim17ROCPRIM_400000_NS6detail17trampoline_kernelINS0_14default_configENS1_20scan_config_selectorIfEEZZNS1_9scan_implILNS1_25lookback_scan_determinismE0ELb1ELb1ES3_N6thrust23THRUST_200600_302600_NS6detail15normal_iteratorINS9_10device_ptrIfEEEENSB_INSC_IiEEEEfNS9_4plusIvEEfEEDaPvRmT3_T4_T5_mT6_P12ihipStream_tbENKUlT_T0_E_clISt17integral_constantIbLb1EESW_EEDaSR_SS_EUlSR_E_NS1_11comp_targetILNS1_3genE10ELNS1_11target_archE1200ELNS1_3gpuE4ELNS1_3repE0EEENS1_30default_config_static_selectorELNS0_4arch9wavefront6targetE1EEEvT1_,"axG",@progbits,_ZN7rocprim17ROCPRIM_400000_NS6detail17trampoline_kernelINS0_14default_configENS1_20scan_config_selectorIfEEZZNS1_9scan_implILNS1_25lookback_scan_determinismE0ELb1ELb1ES3_N6thrust23THRUST_200600_302600_NS6detail15normal_iteratorINS9_10device_ptrIfEEEENSB_INSC_IiEEEEfNS9_4plusIvEEfEEDaPvRmT3_T4_T5_mT6_P12ihipStream_tbENKUlT_T0_E_clISt17integral_constantIbLb1EESW_EEDaSR_SS_EUlSR_E_NS1_11comp_targetILNS1_3genE10ELNS1_11target_archE1200ELNS1_3gpuE4ELNS1_3repE0EEENS1_30default_config_static_selectorELNS0_4arch9wavefront6targetE1EEEvT1_,comdat
	.protected	_ZN7rocprim17ROCPRIM_400000_NS6detail17trampoline_kernelINS0_14default_configENS1_20scan_config_selectorIfEEZZNS1_9scan_implILNS1_25lookback_scan_determinismE0ELb1ELb1ES3_N6thrust23THRUST_200600_302600_NS6detail15normal_iteratorINS9_10device_ptrIfEEEENSB_INSC_IiEEEEfNS9_4plusIvEEfEEDaPvRmT3_T4_T5_mT6_P12ihipStream_tbENKUlT_T0_E_clISt17integral_constantIbLb1EESW_EEDaSR_SS_EUlSR_E_NS1_11comp_targetILNS1_3genE10ELNS1_11target_archE1200ELNS1_3gpuE4ELNS1_3repE0EEENS1_30default_config_static_selectorELNS0_4arch9wavefront6targetE1EEEvT1_ ; -- Begin function _ZN7rocprim17ROCPRIM_400000_NS6detail17trampoline_kernelINS0_14default_configENS1_20scan_config_selectorIfEEZZNS1_9scan_implILNS1_25lookback_scan_determinismE0ELb1ELb1ES3_N6thrust23THRUST_200600_302600_NS6detail15normal_iteratorINS9_10device_ptrIfEEEENSB_INSC_IiEEEEfNS9_4plusIvEEfEEDaPvRmT3_T4_T5_mT6_P12ihipStream_tbENKUlT_T0_E_clISt17integral_constantIbLb1EESW_EEDaSR_SS_EUlSR_E_NS1_11comp_targetILNS1_3genE10ELNS1_11target_archE1200ELNS1_3gpuE4ELNS1_3repE0EEENS1_30default_config_static_selectorELNS0_4arch9wavefront6targetE1EEEvT1_
	.globl	_ZN7rocprim17ROCPRIM_400000_NS6detail17trampoline_kernelINS0_14default_configENS1_20scan_config_selectorIfEEZZNS1_9scan_implILNS1_25lookback_scan_determinismE0ELb1ELb1ES3_N6thrust23THRUST_200600_302600_NS6detail15normal_iteratorINS9_10device_ptrIfEEEENSB_INSC_IiEEEEfNS9_4plusIvEEfEEDaPvRmT3_T4_T5_mT6_P12ihipStream_tbENKUlT_T0_E_clISt17integral_constantIbLb1EESW_EEDaSR_SS_EUlSR_E_NS1_11comp_targetILNS1_3genE10ELNS1_11target_archE1200ELNS1_3gpuE4ELNS1_3repE0EEENS1_30default_config_static_selectorELNS0_4arch9wavefront6targetE1EEEvT1_
	.p2align	8
	.type	_ZN7rocprim17ROCPRIM_400000_NS6detail17trampoline_kernelINS0_14default_configENS1_20scan_config_selectorIfEEZZNS1_9scan_implILNS1_25lookback_scan_determinismE0ELb1ELb1ES3_N6thrust23THRUST_200600_302600_NS6detail15normal_iteratorINS9_10device_ptrIfEEEENSB_INSC_IiEEEEfNS9_4plusIvEEfEEDaPvRmT3_T4_T5_mT6_P12ihipStream_tbENKUlT_T0_E_clISt17integral_constantIbLb1EESW_EEDaSR_SS_EUlSR_E_NS1_11comp_targetILNS1_3genE10ELNS1_11target_archE1200ELNS1_3gpuE4ELNS1_3repE0EEENS1_30default_config_static_selectorELNS0_4arch9wavefront6targetE1EEEvT1_,@function
_ZN7rocprim17ROCPRIM_400000_NS6detail17trampoline_kernelINS0_14default_configENS1_20scan_config_selectorIfEEZZNS1_9scan_implILNS1_25lookback_scan_determinismE0ELb1ELb1ES3_N6thrust23THRUST_200600_302600_NS6detail15normal_iteratorINS9_10device_ptrIfEEEENSB_INSC_IiEEEEfNS9_4plusIvEEfEEDaPvRmT3_T4_T5_mT6_P12ihipStream_tbENKUlT_T0_E_clISt17integral_constantIbLb1EESW_EEDaSR_SS_EUlSR_E_NS1_11comp_targetILNS1_3genE10ELNS1_11target_archE1200ELNS1_3gpuE4ELNS1_3repE0EEENS1_30default_config_static_selectorELNS0_4arch9wavefront6targetE1EEEvT1_: ; @_ZN7rocprim17ROCPRIM_400000_NS6detail17trampoline_kernelINS0_14default_configENS1_20scan_config_selectorIfEEZZNS1_9scan_implILNS1_25lookback_scan_determinismE0ELb1ELb1ES3_N6thrust23THRUST_200600_302600_NS6detail15normal_iteratorINS9_10device_ptrIfEEEENSB_INSC_IiEEEEfNS9_4plusIvEEfEEDaPvRmT3_T4_T5_mT6_P12ihipStream_tbENKUlT_T0_E_clISt17integral_constantIbLb1EESW_EEDaSR_SS_EUlSR_E_NS1_11comp_targetILNS1_3genE10ELNS1_11target_archE1200ELNS1_3gpuE4ELNS1_3repE0EEENS1_30default_config_static_selectorELNS0_4arch9wavefront6targetE1EEEvT1_
; %bb.0:
	.section	.rodata,"a",@progbits
	.p2align	6, 0x0
	.amdhsa_kernel _ZN7rocprim17ROCPRIM_400000_NS6detail17trampoline_kernelINS0_14default_configENS1_20scan_config_selectorIfEEZZNS1_9scan_implILNS1_25lookback_scan_determinismE0ELb1ELb1ES3_N6thrust23THRUST_200600_302600_NS6detail15normal_iteratorINS9_10device_ptrIfEEEENSB_INSC_IiEEEEfNS9_4plusIvEEfEEDaPvRmT3_T4_T5_mT6_P12ihipStream_tbENKUlT_T0_E_clISt17integral_constantIbLb1EESW_EEDaSR_SS_EUlSR_E_NS1_11comp_targetILNS1_3genE10ELNS1_11target_archE1200ELNS1_3gpuE4ELNS1_3repE0EEENS1_30default_config_static_selectorELNS0_4arch9wavefront6targetE1EEEvT1_
		.amdhsa_group_segment_fixed_size 0
		.amdhsa_private_segment_fixed_size 0
		.amdhsa_kernarg_size 96
		.amdhsa_user_sgpr_count 6
		.amdhsa_user_sgpr_private_segment_buffer 1
		.amdhsa_user_sgpr_dispatch_ptr 0
		.amdhsa_user_sgpr_queue_ptr 0
		.amdhsa_user_sgpr_kernarg_segment_ptr 1
		.amdhsa_user_sgpr_dispatch_id 0
		.amdhsa_user_sgpr_flat_scratch_init 0
		.amdhsa_user_sgpr_kernarg_preload_length 0
		.amdhsa_user_sgpr_kernarg_preload_offset 0
		.amdhsa_user_sgpr_private_segment_size 0
		.amdhsa_uses_dynamic_stack 0
		.amdhsa_system_sgpr_private_segment_wavefront_offset 0
		.amdhsa_system_sgpr_workgroup_id_x 1
		.amdhsa_system_sgpr_workgroup_id_y 0
		.amdhsa_system_sgpr_workgroup_id_z 0
		.amdhsa_system_sgpr_workgroup_info 0
		.amdhsa_system_vgpr_workitem_id 0
		.amdhsa_next_free_vgpr 1
		.amdhsa_next_free_sgpr 0
		.amdhsa_accum_offset 4
		.amdhsa_reserve_vcc 0
		.amdhsa_reserve_flat_scratch 0
		.amdhsa_float_round_mode_32 0
		.amdhsa_float_round_mode_16_64 0
		.amdhsa_float_denorm_mode_32 3
		.amdhsa_float_denorm_mode_16_64 3
		.amdhsa_dx10_clamp 1
		.amdhsa_ieee_mode 1
		.amdhsa_fp16_overflow 0
		.amdhsa_tg_split 0
		.amdhsa_exception_fp_ieee_invalid_op 0
		.amdhsa_exception_fp_denorm_src 0
		.amdhsa_exception_fp_ieee_div_zero 0
		.amdhsa_exception_fp_ieee_overflow 0
		.amdhsa_exception_fp_ieee_underflow 0
		.amdhsa_exception_fp_ieee_inexact 0
		.amdhsa_exception_int_div_zero 0
	.end_amdhsa_kernel
	.section	.text._ZN7rocprim17ROCPRIM_400000_NS6detail17trampoline_kernelINS0_14default_configENS1_20scan_config_selectorIfEEZZNS1_9scan_implILNS1_25lookback_scan_determinismE0ELb1ELb1ES3_N6thrust23THRUST_200600_302600_NS6detail15normal_iteratorINS9_10device_ptrIfEEEENSB_INSC_IiEEEEfNS9_4plusIvEEfEEDaPvRmT3_T4_T5_mT6_P12ihipStream_tbENKUlT_T0_E_clISt17integral_constantIbLb1EESW_EEDaSR_SS_EUlSR_E_NS1_11comp_targetILNS1_3genE10ELNS1_11target_archE1200ELNS1_3gpuE4ELNS1_3repE0EEENS1_30default_config_static_selectorELNS0_4arch9wavefront6targetE1EEEvT1_,"axG",@progbits,_ZN7rocprim17ROCPRIM_400000_NS6detail17trampoline_kernelINS0_14default_configENS1_20scan_config_selectorIfEEZZNS1_9scan_implILNS1_25lookback_scan_determinismE0ELb1ELb1ES3_N6thrust23THRUST_200600_302600_NS6detail15normal_iteratorINS9_10device_ptrIfEEEENSB_INSC_IiEEEEfNS9_4plusIvEEfEEDaPvRmT3_T4_T5_mT6_P12ihipStream_tbENKUlT_T0_E_clISt17integral_constantIbLb1EESW_EEDaSR_SS_EUlSR_E_NS1_11comp_targetILNS1_3genE10ELNS1_11target_archE1200ELNS1_3gpuE4ELNS1_3repE0EEENS1_30default_config_static_selectorELNS0_4arch9wavefront6targetE1EEEvT1_,comdat
.Lfunc_end1593:
	.size	_ZN7rocprim17ROCPRIM_400000_NS6detail17trampoline_kernelINS0_14default_configENS1_20scan_config_selectorIfEEZZNS1_9scan_implILNS1_25lookback_scan_determinismE0ELb1ELb1ES3_N6thrust23THRUST_200600_302600_NS6detail15normal_iteratorINS9_10device_ptrIfEEEENSB_INSC_IiEEEEfNS9_4plusIvEEfEEDaPvRmT3_T4_T5_mT6_P12ihipStream_tbENKUlT_T0_E_clISt17integral_constantIbLb1EESW_EEDaSR_SS_EUlSR_E_NS1_11comp_targetILNS1_3genE10ELNS1_11target_archE1200ELNS1_3gpuE4ELNS1_3repE0EEENS1_30default_config_static_selectorELNS0_4arch9wavefront6targetE1EEEvT1_, .Lfunc_end1593-_ZN7rocprim17ROCPRIM_400000_NS6detail17trampoline_kernelINS0_14default_configENS1_20scan_config_selectorIfEEZZNS1_9scan_implILNS1_25lookback_scan_determinismE0ELb1ELb1ES3_N6thrust23THRUST_200600_302600_NS6detail15normal_iteratorINS9_10device_ptrIfEEEENSB_INSC_IiEEEEfNS9_4plusIvEEfEEDaPvRmT3_T4_T5_mT6_P12ihipStream_tbENKUlT_T0_E_clISt17integral_constantIbLb1EESW_EEDaSR_SS_EUlSR_E_NS1_11comp_targetILNS1_3genE10ELNS1_11target_archE1200ELNS1_3gpuE4ELNS1_3repE0EEENS1_30default_config_static_selectorELNS0_4arch9wavefront6targetE1EEEvT1_
                                        ; -- End function
	.section	.AMDGPU.csdata,"",@progbits
; Kernel info:
; codeLenInByte = 0
; NumSgprs: 4
; NumVgprs: 0
; NumAgprs: 0
; TotalNumVgprs: 0
; ScratchSize: 0
; MemoryBound: 0
; FloatMode: 240
; IeeeMode: 1
; LDSByteSize: 0 bytes/workgroup (compile time only)
; SGPRBlocks: 0
; VGPRBlocks: 0
; NumSGPRsForWavesPerEU: 4
; NumVGPRsForWavesPerEU: 1
; AccumOffset: 4
; Occupancy: 8
; WaveLimiterHint : 0
; COMPUTE_PGM_RSRC2:SCRATCH_EN: 0
; COMPUTE_PGM_RSRC2:USER_SGPR: 6
; COMPUTE_PGM_RSRC2:TRAP_HANDLER: 0
; COMPUTE_PGM_RSRC2:TGID_X_EN: 1
; COMPUTE_PGM_RSRC2:TGID_Y_EN: 0
; COMPUTE_PGM_RSRC2:TGID_Z_EN: 0
; COMPUTE_PGM_RSRC2:TIDIG_COMP_CNT: 0
; COMPUTE_PGM_RSRC3_GFX90A:ACCUM_OFFSET: 0
; COMPUTE_PGM_RSRC3_GFX90A:TG_SPLIT: 0
	.section	.text._ZN7rocprim17ROCPRIM_400000_NS6detail17trampoline_kernelINS0_14default_configENS1_20scan_config_selectorIfEEZZNS1_9scan_implILNS1_25lookback_scan_determinismE0ELb1ELb1ES3_N6thrust23THRUST_200600_302600_NS6detail15normal_iteratorINS9_10device_ptrIfEEEENSB_INSC_IiEEEEfNS9_4plusIvEEfEEDaPvRmT3_T4_T5_mT6_P12ihipStream_tbENKUlT_T0_E_clISt17integral_constantIbLb1EESW_EEDaSR_SS_EUlSR_E_NS1_11comp_targetILNS1_3genE9ELNS1_11target_archE1100ELNS1_3gpuE3ELNS1_3repE0EEENS1_30default_config_static_selectorELNS0_4arch9wavefront6targetE1EEEvT1_,"axG",@progbits,_ZN7rocprim17ROCPRIM_400000_NS6detail17trampoline_kernelINS0_14default_configENS1_20scan_config_selectorIfEEZZNS1_9scan_implILNS1_25lookback_scan_determinismE0ELb1ELb1ES3_N6thrust23THRUST_200600_302600_NS6detail15normal_iteratorINS9_10device_ptrIfEEEENSB_INSC_IiEEEEfNS9_4plusIvEEfEEDaPvRmT3_T4_T5_mT6_P12ihipStream_tbENKUlT_T0_E_clISt17integral_constantIbLb1EESW_EEDaSR_SS_EUlSR_E_NS1_11comp_targetILNS1_3genE9ELNS1_11target_archE1100ELNS1_3gpuE3ELNS1_3repE0EEENS1_30default_config_static_selectorELNS0_4arch9wavefront6targetE1EEEvT1_,comdat
	.protected	_ZN7rocprim17ROCPRIM_400000_NS6detail17trampoline_kernelINS0_14default_configENS1_20scan_config_selectorIfEEZZNS1_9scan_implILNS1_25lookback_scan_determinismE0ELb1ELb1ES3_N6thrust23THRUST_200600_302600_NS6detail15normal_iteratorINS9_10device_ptrIfEEEENSB_INSC_IiEEEEfNS9_4plusIvEEfEEDaPvRmT3_T4_T5_mT6_P12ihipStream_tbENKUlT_T0_E_clISt17integral_constantIbLb1EESW_EEDaSR_SS_EUlSR_E_NS1_11comp_targetILNS1_3genE9ELNS1_11target_archE1100ELNS1_3gpuE3ELNS1_3repE0EEENS1_30default_config_static_selectorELNS0_4arch9wavefront6targetE1EEEvT1_ ; -- Begin function _ZN7rocprim17ROCPRIM_400000_NS6detail17trampoline_kernelINS0_14default_configENS1_20scan_config_selectorIfEEZZNS1_9scan_implILNS1_25lookback_scan_determinismE0ELb1ELb1ES3_N6thrust23THRUST_200600_302600_NS6detail15normal_iteratorINS9_10device_ptrIfEEEENSB_INSC_IiEEEEfNS9_4plusIvEEfEEDaPvRmT3_T4_T5_mT6_P12ihipStream_tbENKUlT_T0_E_clISt17integral_constantIbLb1EESW_EEDaSR_SS_EUlSR_E_NS1_11comp_targetILNS1_3genE9ELNS1_11target_archE1100ELNS1_3gpuE3ELNS1_3repE0EEENS1_30default_config_static_selectorELNS0_4arch9wavefront6targetE1EEEvT1_
	.globl	_ZN7rocprim17ROCPRIM_400000_NS6detail17trampoline_kernelINS0_14default_configENS1_20scan_config_selectorIfEEZZNS1_9scan_implILNS1_25lookback_scan_determinismE0ELb1ELb1ES3_N6thrust23THRUST_200600_302600_NS6detail15normal_iteratorINS9_10device_ptrIfEEEENSB_INSC_IiEEEEfNS9_4plusIvEEfEEDaPvRmT3_T4_T5_mT6_P12ihipStream_tbENKUlT_T0_E_clISt17integral_constantIbLb1EESW_EEDaSR_SS_EUlSR_E_NS1_11comp_targetILNS1_3genE9ELNS1_11target_archE1100ELNS1_3gpuE3ELNS1_3repE0EEENS1_30default_config_static_selectorELNS0_4arch9wavefront6targetE1EEEvT1_
	.p2align	8
	.type	_ZN7rocprim17ROCPRIM_400000_NS6detail17trampoline_kernelINS0_14default_configENS1_20scan_config_selectorIfEEZZNS1_9scan_implILNS1_25lookback_scan_determinismE0ELb1ELb1ES3_N6thrust23THRUST_200600_302600_NS6detail15normal_iteratorINS9_10device_ptrIfEEEENSB_INSC_IiEEEEfNS9_4plusIvEEfEEDaPvRmT3_T4_T5_mT6_P12ihipStream_tbENKUlT_T0_E_clISt17integral_constantIbLb1EESW_EEDaSR_SS_EUlSR_E_NS1_11comp_targetILNS1_3genE9ELNS1_11target_archE1100ELNS1_3gpuE3ELNS1_3repE0EEENS1_30default_config_static_selectorELNS0_4arch9wavefront6targetE1EEEvT1_,@function
_ZN7rocprim17ROCPRIM_400000_NS6detail17trampoline_kernelINS0_14default_configENS1_20scan_config_selectorIfEEZZNS1_9scan_implILNS1_25lookback_scan_determinismE0ELb1ELb1ES3_N6thrust23THRUST_200600_302600_NS6detail15normal_iteratorINS9_10device_ptrIfEEEENSB_INSC_IiEEEEfNS9_4plusIvEEfEEDaPvRmT3_T4_T5_mT6_P12ihipStream_tbENKUlT_T0_E_clISt17integral_constantIbLb1EESW_EEDaSR_SS_EUlSR_E_NS1_11comp_targetILNS1_3genE9ELNS1_11target_archE1100ELNS1_3gpuE3ELNS1_3repE0EEENS1_30default_config_static_selectorELNS0_4arch9wavefront6targetE1EEEvT1_: ; @_ZN7rocprim17ROCPRIM_400000_NS6detail17trampoline_kernelINS0_14default_configENS1_20scan_config_selectorIfEEZZNS1_9scan_implILNS1_25lookback_scan_determinismE0ELb1ELb1ES3_N6thrust23THRUST_200600_302600_NS6detail15normal_iteratorINS9_10device_ptrIfEEEENSB_INSC_IiEEEEfNS9_4plusIvEEfEEDaPvRmT3_T4_T5_mT6_P12ihipStream_tbENKUlT_T0_E_clISt17integral_constantIbLb1EESW_EEDaSR_SS_EUlSR_E_NS1_11comp_targetILNS1_3genE9ELNS1_11target_archE1100ELNS1_3gpuE3ELNS1_3repE0EEENS1_30default_config_static_selectorELNS0_4arch9wavefront6targetE1EEEvT1_
; %bb.0:
	.section	.rodata,"a",@progbits
	.p2align	6, 0x0
	.amdhsa_kernel _ZN7rocprim17ROCPRIM_400000_NS6detail17trampoline_kernelINS0_14default_configENS1_20scan_config_selectorIfEEZZNS1_9scan_implILNS1_25lookback_scan_determinismE0ELb1ELb1ES3_N6thrust23THRUST_200600_302600_NS6detail15normal_iteratorINS9_10device_ptrIfEEEENSB_INSC_IiEEEEfNS9_4plusIvEEfEEDaPvRmT3_T4_T5_mT6_P12ihipStream_tbENKUlT_T0_E_clISt17integral_constantIbLb1EESW_EEDaSR_SS_EUlSR_E_NS1_11comp_targetILNS1_3genE9ELNS1_11target_archE1100ELNS1_3gpuE3ELNS1_3repE0EEENS1_30default_config_static_selectorELNS0_4arch9wavefront6targetE1EEEvT1_
		.amdhsa_group_segment_fixed_size 0
		.amdhsa_private_segment_fixed_size 0
		.amdhsa_kernarg_size 96
		.amdhsa_user_sgpr_count 6
		.amdhsa_user_sgpr_private_segment_buffer 1
		.amdhsa_user_sgpr_dispatch_ptr 0
		.amdhsa_user_sgpr_queue_ptr 0
		.amdhsa_user_sgpr_kernarg_segment_ptr 1
		.amdhsa_user_sgpr_dispatch_id 0
		.amdhsa_user_sgpr_flat_scratch_init 0
		.amdhsa_user_sgpr_kernarg_preload_length 0
		.amdhsa_user_sgpr_kernarg_preload_offset 0
		.amdhsa_user_sgpr_private_segment_size 0
		.amdhsa_uses_dynamic_stack 0
		.amdhsa_system_sgpr_private_segment_wavefront_offset 0
		.amdhsa_system_sgpr_workgroup_id_x 1
		.amdhsa_system_sgpr_workgroup_id_y 0
		.amdhsa_system_sgpr_workgroup_id_z 0
		.amdhsa_system_sgpr_workgroup_info 0
		.amdhsa_system_vgpr_workitem_id 0
		.amdhsa_next_free_vgpr 1
		.amdhsa_next_free_sgpr 0
		.amdhsa_accum_offset 4
		.amdhsa_reserve_vcc 0
		.amdhsa_reserve_flat_scratch 0
		.amdhsa_float_round_mode_32 0
		.amdhsa_float_round_mode_16_64 0
		.amdhsa_float_denorm_mode_32 3
		.amdhsa_float_denorm_mode_16_64 3
		.amdhsa_dx10_clamp 1
		.amdhsa_ieee_mode 1
		.amdhsa_fp16_overflow 0
		.amdhsa_tg_split 0
		.amdhsa_exception_fp_ieee_invalid_op 0
		.amdhsa_exception_fp_denorm_src 0
		.amdhsa_exception_fp_ieee_div_zero 0
		.amdhsa_exception_fp_ieee_overflow 0
		.amdhsa_exception_fp_ieee_underflow 0
		.amdhsa_exception_fp_ieee_inexact 0
		.amdhsa_exception_int_div_zero 0
	.end_amdhsa_kernel
	.section	.text._ZN7rocprim17ROCPRIM_400000_NS6detail17trampoline_kernelINS0_14default_configENS1_20scan_config_selectorIfEEZZNS1_9scan_implILNS1_25lookback_scan_determinismE0ELb1ELb1ES3_N6thrust23THRUST_200600_302600_NS6detail15normal_iteratorINS9_10device_ptrIfEEEENSB_INSC_IiEEEEfNS9_4plusIvEEfEEDaPvRmT3_T4_T5_mT6_P12ihipStream_tbENKUlT_T0_E_clISt17integral_constantIbLb1EESW_EEDaSR_SS_EUlSR_E_NS1_11comp_targetILNS1_3genE9ELNS1_11target_archE1100ELNS1_3gpuE3ELNS1_3repE0EEENS1_30default_config_static_selectorELNS0_4arch9wavefront6targetE1EEEvT1_,"axG",@progbits,_ZN7rocprim17ROCPRIM_400000_NS6detail17trampoline_kernelINS0_14default_configENS1_20scan_config_selectorIfEEZZNS1_9scan_implILNS1_25lookback_scan_determinismE0ELb1ELb1ES3_N6thrust23THRUST_200600_302600_NS6detail15normal_iteratorINS9_10device_ptrIfEEEENSB_INSC_IiEEEEfNS9_4plusIvEEfEEDaPvRmT3_T4_T5_mT6_P12ihipStream_tbENKUlT_T0_E_clISt17integral_constantIbLb1EESW_EEDaSR_SS_EUlSR_E_NS1_11comp_targetILNS1_3genE9ELNS1_11target_archE1100ELNS1_3gpuE3ELNS1_3repE0EEENS1_30default_config_static_selectorELNS0_4arch9wavefront6targetE1EEEvT1_,comdat
.Lfunc_end1594:
	.size	_ZN7rocprim17ROCPRIM_400000_NS6detail17trampoline_kernelINS0_14default_configENS1_20scan_config_selectorIfEEZZNS1_9scan_implILNS1_25lookback_scan_determinismE0ELb1ELb1ES3_N6thrust23THRUST_200600_302600_NS6detail15normal_iteratorINS9_10device_ptrIfEEEENSB_INSC_IiEEEEfNS9_4plusIvEEfEEDaPvRmT3_T4_T5_mT6_P12ihipStream_tbENKUlT_T0_E_clISt17integral_constantIbLb1EESW_EEDaSR_SS_EUlSR_E_NS1_11comp_targetILNS1_3genE9ELNS1_11target_archE1100ELNS1_3gpuE3ELNS1_3repE0EEENS1_30default_config_static_selectorELNS0_4arch9wavefront6targetE1EEEvT1_, .Lfunc_end1594-_ZN7rocprim17ROCPRIM_400000_NS6detail17trampoline_kernelINS0_14default_configENS1_20scan_config_selectorIfEEZZNS1_9scan_implILNS1_25lookback_scan_determinismE0ELb1ELb1ES3_N6thrust23THRUST_200600_302600_NS6detail15normal_iteratorINS9_10device_ptrIfEEEENSB_INSC_IiEEEEfNS9_4plusIvEEfEEDaPvRmT3_T4_T5_mT6_P12ihipStream_tbENKUlT_T0_E_clISt17integral_constantIbLb1EESW_EEDaSR_SS_EUlSR_E_NS1_11comp_targetILNS1_3genE9ELNS1_11target_archE1100ELNS1_3gpuE3ELNS1_3repE0EEENS1_30default_config_static_selectorELNS0_4arch9wavefront6targetE1EEEvT1_
                                        ; -- End function
	.section	.AMDGPU.csdata,"",@progbits
; Kernel info:
; codeLenInByte = 0
; NumSgprs: 4
; NumVgprs: 0
; NumAgprs: 0
; TotalNumVgprs: 0
; ScratchSize: 0
; MemoryBound: 0
; FloatMode: 240
; IeeeMode: 1
; LDSByteSize: 0 bytes/workgroup (compile time only)
; SGPRBlocks: 0
; VGPRBlocks: 0
; NumSGPRsForWavesPerEU: 4
; NumVGPRsForWavesPerEU: 1
; AccumOffset: 4
; Occupancy: 8
; WaveLimiterHint : 0
; COMPUTE_PGM_RSRC2:SCRATCH_EN: 0
; COMPUTE_PGM_RSRC2:USER_SGPR: 6
; COMPUTE_PGM_RSRC2:TRAP_HANDLER: 0
; COMPUTE_PGM_RSRC2:TGID_X_EN: 1
; COMPUTE_PGM_RSRC2:TGID_Y_EN: 0
; COMPUTE_PGM_RSRC2:TGID_Z_EN: 0
; COMPUTE_PGM_RSRC2:TIDIG_COMP_CNT: 0
; COMPUTE_PGM_RSRC3_GFX90A:ACCUM_OFFSET: 0
; COMPUTE_PGM_RSRC3_GFX90A:TG_SPLIT: 0
	.section	.text._ZN7rocprim17ROCPRIM_400000_NS6detail17trampoline_kernelINS0_14default_configENS1_20scan_config_selectorIfEEZZNS1_9scan_implILNS1_25lookback_scan_determinismE0ELb1ELb1ES3_N6thrust23THRUST_200600_302600_NS6detail15normal_iteratorINS9_10device_ptrIfEEEENSB_INSC_IiEEEEfNS9_4plusIvEEfEEDaPvRmT3_T4_T5_mT6_P12ihipStream_tbENKUlT_T0_E_clISt17integral_constantIbLb1EESW_EEDaSR_SS_EUlSR_E_NS1_11comp_targetILNS1_3genE8ELNS1_11target_archE1030ELNS1_3gpuE2ELNS1_3repE0EEENS1_30default_config_static_selectorELNS0_4arch9wavefront6targetE1EEEvT1_,"axG",@progbits,_ZN7rocprim17ROCPRIM_400000_NS6detail17trampoline_kernelINS0_14default_configENS1_20scan_config_selectorIfEEZZNS1_9scan_implILNS1_25lookback_scan_determinismE0ELb1ELb1ES3_N6thrust23THRUST_200600_302600_NS6detail15normal_iteratorINS9_10device_ptrIfEEEENSB_INSC_IiEEEEfNS9_4plusIvEEfEEDaPvRmT3_T4_T5_mT6_P12ihipStream_tbENKUlT_T0_E_clISt17integral_constantIbLb1EESW_EEDaSR_SS_EUlSR_E_NS1_11comp_targetILNS1_3genE8ELNS1_11target_archE1030ELNS1_3gpuE2ELNS1_3repE0EEENS1_30default_config_static_selectorELNS0_4arch9wavefront6targetE1EEEvT1_,comdat
	.protected	_ZN7rocprim17ROCPRIM_400000_NS6detail17trampoline_kernelINS0_14default_configENS1_20scan_config_selectorIfEEZZNS1_9scan_implILNS1_25lookback_scan_determinismE0ELb1ELb1ES3_N6thrust23THRUST_200600_302600_NS6detail15normal_iteratorINS9_10device_ptrIfEEEENSB_INSC_IiEEEEfNS9_4plusIvEEfEEDaPvRmT3_T4_T5_mT6_P12ihipStream_tbENKUlT_T0_E_clISt17integral_constantIbLb1EESW_EEDaSR_SS_EUlSR_E_NS1_11comp_targetILNS1_3genE8ELNS1_11target_archE1030ELNS1_3gpuE2ELNS1_3repE0EEENS1_30default_config_static_selectorELNS0_4arch9wavefront6targetE1EEEvT1_ ; -- Begin function _ZN7rocprim17ROCPRIM_400000_NS6detail17trampoline_kernelINS0_14default_configENS1_20scan_config_selectorIfEEZZNS1_9scan_implILNS1_25lookback_scan_determinismE0ELb1ELb1ES3_N6thrust23THRUST_200600_302600_NS6detail15normal_iteratorINS9_10device_ptrIfEEEENSB_INSC_IiEEEEfNS9_4plusIvEEfEEDaPvRmT3_T4_T5_mT6_P12ihipStream_tbENKUlT_T0_E_clISt17integral_constantIbLb1EESW_EEDaSR_SS_EUlSR_E_NS1_11comp_targetILNS1_3genE8ELNS1_11target_archE1030ELNS1_3gpuE2ELNS1_3repE0EEENS1_30default_config_static_selectorELNS0_4arch9wavefront6targetE1EEEvT1_
	.globl	_ZN7rocprim17ROCPRIM_400000_NS6detail17trampoline_kernelINS0_14default_configENS1_20scan_config_selectorIfEEZZNS1_9scan_implILNS1_25lookback_scan_determinismE0ELb1ELb1ES3_N6thrust23THRUST_200600_302600_NS6detail15normal_iteratorINS9_10device_ptrIfEEEENSB_INSC_IiEEEEfNS9_4plusIvEEfEEDaPvRmT3_T4_T5_mT6_P12ihipStream_tbENKUlT_T0_E_clISt17integral_constantIbLb1EESW_EEDaSR_SS_EUlSR_E_NS1_11comp_targetILNS1_3genE8ELNS1_11target_archE1030ELNS1_3gpuE2ELNS1_3repE0EEENS1_30default_config_static_selectorELNS0_4arch9wavefront6targetE1EEEvT1_
	.p2align	8
	.type	_ZN7rocprim17ROCPRIM_400000_NS6detail17trampoline_kernelINS0_14default_configENS1_20scan_config_selectorIfEEZZNS1_9scan_implILNS1_25lookback_scan_determinismE0ELb1ELb1ES3_N6thrust23THRUST_200600_302600_NS6detail15normal_iteratorINS9_10device_ptrIfEEEENSB_INSC_IiEEEEfNS9_4plusIvEEfEEDaPvRmT3_T4_T5_mT6_P12ihipStream_tbENKUlT_T0_E_clISt17integral_constantIbLb1EESW_EEDaSR_SS_EUlSR_E_NS1_11comp_targetILNS1_3genE8ELNS1_11target_archE1030ELNS1_3gpuE2ELNS1_3repE0EEENS1_30default_config_static_selectorELNS0_4arch9wavefront6targetE1EEEvT1_,@function
_ZN7rocprim17ROCPRIM_400000_NS6detail17trampoline_kernelINS0_14default_configENS1_20scan_config_selectorIfEEZZNS1_9scan_implILNS1_25lookback_scan_determinismE0ELb1ELb1ES3_N6thrust23THRUST_200600_302600_NS6detail15normal_iteratorINS9_10device_ptrIfEEEENSB_INSC_IiEEEEfNS9_4plusIvEEfEEDaPvRmT3_T4_T5_mT6_P12ihipStream_tbENKUlT_T0_E_clISt17integral_constantIbLb1EESW_EEDaSR_SS_EUlSR_E_NS1_11comp_targetILNS1_3genE8ELNS1_11target_archE1030ELNS1_3gpuE2ELNS1_3repE0EEENS1_30default_config_static_selectorELNS0_4arch9wavefront6targetE1EEEvT1_: ; @_ZN7rocprim17ROCPRIM_400000_NS6detail17trampoline_kernelINS0_14default_configENS1_20scan_config_selectorIfEEZZNS1_9scan_implILNS1_25lookback_scan_determinismE0ELb1ELb1ES3_N6thrust23THRUST_200600_302600_NS6detail15normal_iteratorINS9_10device_ptrIfEEEENSB_INSC_IiEEEEfNS9_4plusIvEEfEEDaPvRmT3_T4_T5_mT6_P12ihipStream_tbENKUlT_T0_E_clISt17integral_constantIbLb1EESW_EEDaSR_SS_EUlSR_E_NS1_11comp_targetILNS1_3genE8ELNS1_11target_archE1030ELNS1_3gpuE2ELNS1_3repE0EEENS1_30default_config_static_selectorELNS0_4arch9wavefront6targetE1EEEvT1_
; %bb.0:
	.section	.rodata,"a",@progbits
	.p2align	6, 0x0
	.amdhsa_kernel _ZN7rocprim17ROCPRIM_400000_NS6detail17trampoline_kernelINS0_14default_configENS1_20scan_config_selectorIfEEZZNS1_9scan_implILNS1_25lookback_scan_determinismE0ELb1ELb1ES3_N6thrust23THRUST_200600_302600_NS6detail15normal_iteratorINS9_10device_ptrIfEEEENSB_INSC_IiEEEEfNS9_4plusIvEEfEEDaPvRmT3_T4_T5_mT6_P12ihipStream_tbENKUlT_T0_E_clISt17integral_constantIbLb1EESW_EEDaSR_SS_EUlSR_E_NS1_11comp_targetILNS1_3genE8ELNS1_11target_archE1030ELNS1_3gpuE2ELNS1_3repE0EEENS1_30default_config_static_selectorELNS0_4arch9wavefront6targetE1EEEvT1_
		.amdhsa_group_segment_fixed_size 0
		.amdhsa_private_segment_fixed_size 0
		.amdhsa_kernarg_size 96
		.amdhsa_user_sgpr_count 6
		.amdhsa_user_sgpr_private_segment_buffer 1
		.amdhsa_user_sgpr_dispatch_ptr 0
		.amdhsa_user_sgpr_queue_ptr 0
		.amdhsa_user_sgpr_kernarg_segment_ptr 1
		.amdhsa_user_sgpr_dispatch_id 0
		.amdhsa_user_sgpr_flat_scratch_init 0
		.amdhsa_user_sgpr_kernarg_preload_length 0
		.amdhsa_user_sgpr_kernarg_preload_offset 0
		.amdhsa_user_sgpr_private_segment_size 0
		.amdhsa_uses_dynamic_stack 0
		.amdhsa_system_sgpr_private_segment_wavefront_offset 0
		.amdhsa_system_sgpr_workgroup_id_x 1
		.amdhsa_system_sgpr_workgroup_id_y 0
		.amdhsa_system_sgpr_workgroup_id_z 0
		.amdhsa_system_sgpr_workgroup_info 0
		.amdhsa_system_vgpr_workitem_id 0
		.amdhsa_next_free_vgpr 1
		.amdhsa_next_free_sgpr 0
		.amdhsa_accum_offset 4
		.amdhsa_reserve_vcc 0
		.amdhsa_reserve_flat_scratch 0
		.amdhsa_float_round_mode_32 0
		.amdhsa_float_round_mode_16_64 0
		.amdhsa_float_denorm_mode_32 3
		.amdhsa_float_denorm_mode_16_64 3
		.amdhsa_dx10_clamp 1
		.amdhsa_ieee_mode 1
		.amdhsa_fp16_overflow 0
		.amdhsa_tg_split 0
		.amdhsa_exception_fp_ieee_invalid_op 0
		.amdhsa_exception_fp_denorm_src 0
		.amdhsa_exception_fp_ieee_div_zero 0
		.amdhsa_exception_fp_ieee_overflow 0
		.amdhsa_exception_fp_ieee_underflow 0
		.amdhsa_exception_fp_ieee_inexact 0
		.amdhsa_exception_int_div_zero 0
	.end_amdhsa_kernel
	.section	.text._ZN7rocprim17ROCPRIM_400000_NS6detail17trampoline_kernelINS0_14default_configENS1_20scan_config_selectorIfEEZZNS1_9scan_implILNS1_25lookback_scan_determinismE0ELb1ELb1ES3_N6thrust23THRUST_200600_302600_NS6detail15normal_iteratorINS9_10device_ptrIfEEEENSB_INSC_IiEEEEfNS9_4plusIvEEfEEDaPvRmT3_T4_T5_mT6_P12ihipStream_tbENKUlT_T0_E_clISt17integral_constantIbLb1EESW_EEDaSR_SS_EUlSR_E_NS1_11comp_targetILNS1_3genE8ELNS1_11target_archE1030ELNS1_3gpuE2ELNS1_3repE0EEENS1_30default_config_static_selectorELNS0_4arch9wavefront6targetE1EEEvT1_,"axG",@progbits,_ZN7rocprim17ROCPRIM_400000_NS6detail17trampoline_kernelINS0_14default_configENS1_20scan_config_selectorIfEEZZNS1_9scan_implILNS1_25lookback_scan_determinismE0ELb1ELb1ES3_N6thrust23THRUST_200600_302600_NS6detail15normal_iteratorINS9_10device_ptrIfEEEENSB_INSC_IiEEEEfNS9_4plusIvEEfEEDaPvRmT3_T4_T5_mT6_P12ihipStream_tbENKUlT_T0_E_clISt17integral_constantIbLb1EESW_EEDaSR_SS_EUlSR_E_NS1_11comp_targetILNS1_3genE8ELNS1_11target_archE1030ELNS1_3gpuE2ELNS1_3repE0EEENS1_30default_config_static_selectorELNS0_4arch9wavefront6targetE1EEEvT1_,comdat
.Lfunc_end1595:
	.size	_ZN7rocprim17ROCPRIM_400000_NS6detail17trampoline_kernelINS0_14default_configENS1_20scan_config_selectorIfEEZZNS1_9scan_implILNS1_25lookback_scan_determinismE0ELb1ELb1ES3_N6thrust23THRUST_200600_302600_NS6detail15normal_iteratorINS9_10device_ptrIfEEEENSB_INSC_IiEEEEfNS9_4plusIvEEfEEDaPvRmT3_T4_T5_mT6_P12ihipStream_tbENKUlT_T0_E_clISt17integral_constantIbLb1EESW_EEDaSR_SS_EUlSR_E_NS1_11comp_targetILNS1_3genE8ELNS1_11target_archE1030ELNS1_3gpuE2ELNS1_3repE0EEENS1_30default_config_static_selectorELNS0_4arch9wavefront6targetE1EEEvT1_, .Lfunc_end1595-_ZN7rocprim17ROCPRIM_400000_NS6detail17trampoline_kernelINS0_14default_configENS1_20scan_config_selectorIfEEZZNS1_9scan_implILNS1_25lookback_scan_determinismE0ELb1ELb1ES3_N6thrust23THRUST_200600_302600_NS6detail15normal_iteratorINS9_10device_ptrIfEEEENSB_INSC_IiEEEEfNS9_4plusIvEEfEEDaPvRmT3_T4_T5_mT6_P12ihipStream_tbENKUlT_T0_E_clISt17integral_constantIbLb1EESW_EEDaSR_SS_EUlSR_E_NS1_11comp_targetILNS1_3genE8ELNS1_11target_archE1030ELNS1_3gpuE2ELNS1_3repE0EEENS1_30default_config_static_selectorELNS0_4arch9wavefront6targetE1EEEvT1_
                                        ; -- End function
	.section	.AMDGPU.csdata,"",@progbits
; Kernel info:
; codeLenInByte = 0
; NumSgprs: 4
; NumVgprs: 0
; NumAgprs: 0
; TotalNumVgprs: 0
; ScratchSize: 0
; MemoryBound: 0
; FloatMode: 240
; IeeeMode: 1
; LDSByteSize: 0 bytes/workgroup (compile time only)
; SGPRBlocks: 0
; VGPRBlocks: 0
; NumSGPRsForWavesPerEU: 4
; NumVGPRsForWavesPerEU: 1
; AccumOffset: 4
; Occupancy: 8
; WaveLimiterHint : 0
; COMPUTE_PGM_RSRC2:SCRATCH_EN: 0
; COMPUTE_PGM_RSRC2:USER_SGPR: 6
; COMPUTE_PGM_RSRC2:TRAP_HANDLER: 0
; COMPUTE_PGM_RSRC2:TGID_X_EN: 1
; COMPUTE_PGM_RSRC2:TGID_Y_EN: 0
; COMPUTE_PGM_RSRC2:TGID_Z_EN: 0
; COMPUTE_PGM_RSRC2:TIDIG_COMP_CNT: 0
; COMPUTE_PGM_RSRC3_GFX90A:ACCUM_OFFSET: 0
; COMPUTE_PGM_RSRC3_GFX90A:TG_SPLIT: 0
	.section	.text._ZN7rocprim17ROCPRIM_400000_NS6detail17trampoline_kernelINS0_14default_configENS1_20scan_config_selectorIfEEZZNS1_9scan_implILNS1_25lookback_scan_determinismE0ELb1ELb1ES3_N6thrust23THRUST_200600_302600_NS6detail15normal_iteratorINS9_10device_ptrIfEEEENSB_INSC_IiEEEEfNS9_4plusIvEEfEEDaPvRmT3_T4_T5_mT6_P12ihipStream_tbENKUlT_T0_E_clISt17integral_constantIbLb1EESW_EEDaSR_SS_EUlSR_E0_NS1_11comp_targetILNS1_3genE0ELNS1_11target_archE4294967295ELNS1_3gpuE0ELNS1_3repE0EEENS1_30default_config_static_selectorELNS0_4arch9wavefront6targetE1EEEvT1_,"axG",@progbits,_ZN7rocprim17ROCPRIM_400000_NS6detail17trampoline_kernelINS0_14default_configENS1_20scan_config_selectorIfEEZZNS1_9scan_implILNS1_25lookback_scan_determinismE0ELb1ELb1ES3_N6thrust23THRUST_200600_302600_NS6detail15normal_iteratorINS9_10device_ptrIfEEEENSB_INSC_IiEEEEfNS9_4plusIvEEfEEDaPvRmT3_T4_T5_mT6_P12ihipStream_tbENKUlT_T0_E_clISt17integral_constantIbLb1EESW_EEDaSR_SS_EUlSR_E0_NS1_11comp_targetILNS1_3genE0ELNS1_11target_archE4294967295ELNS1_3gpuE0ELNS1_3repE0EEENS1_30default_config_static_selectorELNS0_4arch9wavefront6targetE1EEEvT1_,comdat
	.protected	_ZN7rocprim17ROCPRIM_400000_NS6detail17trampoline_kernelINS0_14default_configENS1_20scan_config_selectorIfEEZZNS1_9scan_implILNS1_25lookback_scan_determinismE0ELb1ELb1ES3_N6thrust23THRUST_200600_302600_NS6detail15normal_iteratorINS9_10device_ptrIfEEEENSB_INSC_IiEEEEfNS9_4plusIvEEfEEDaPvRmT3_T4_T5_mT6_P12ihipStream_tbENKUlT_T0_E_clISt17integral_constantIbLb1EESW_EEDaSR_SS_EUlSR_E0_NS1_11comp_targetILNS1_3genE0ELNS1_11target_archE4294967295ELNS1_3gpuE0ELNS1_3repE0EEENS1_30default_config_static_selectorELNS0_4arch9wavefront6targetE1EEEvT1_ ; -- Begin function _ZN7rocprim17ROCPRIM_400000_NS6detail17trampoline_kernelINS0_14default_configENS1_20scan_config_selectorIfEEZZNS1_9scan_implILNS1_25lookback_scan_determinismE0ELb1ELb1ES3_N6thrust23THRUST_200600_302600_NS6detail15normal_iteratorINS9_10device_ptrIfEEEENSB_INSC_IiEEEEfNS9_4plusIvEEfEEDaPvRmT3_T4_T5_mT6_P12ihipStream_tbENKUlT_T0_E_clISt17integral_constantIbLb1EESW_EEDaSR_SS_EUlSR_E0_NS1_11comp_targetILNS1_3genE0ELNS1_11target_archE4294967295ELNS1_3gpuE0ELNS1_3repE0EEENS1_30default_config_static_selectorELNS0_4arch9wavefront6targetE1EEEvT1_
	.globl	_ZN7rocprim17ROCPRIM_400000_NS6detail17trampoline_kernelINS0_14default_configENS1_20scan_config_selectorIfEEZZNS1_9scan_implILNS1_25lookback_scan_determinismE0ELb1ELb1ES3_N6thrust23THRUST_200600_302600_NS6detail15normal_iteratorINS9_10device_ptrIfEEEENSB_INSC_IiEEEEfNS9_4plusIvEEfEEDaPvRmT3_T4_T5_mT6_P12ihipStream_tbENKUlT_T0_E_clISt17integral_constantIbLb1EESW_EEDaSR_SS_EUlSR_E0_NS1_11comp_targetILNS1_3genE0ELNS1_11target_archE4294967295ELNS1_3gpuE0ELNS1_3repE0EEENS1_30default_config_static_selectorELNS0_4arch9wavefront6targetE1EEEvT1_
	.p2align	8
	.type	_ZN7rocprim17ROCPRIM_400000_NS6detail17trampoline_kernelINS0_14default_configENS1_20scan_config_selectorIfEEZZNS1_9scan_implILNS1_25lookback_scan_determinismE0ELb1ELb1ES3_N6thrust23THRUST_200600_302600_NS6detail15normal_iteratorINS9_10device_ptrIfEEEENSB_INSC_IiEEEEfNS9_4plusIvEEfEEDaPvRmT3_T4_T5_mT6_P12ihipStream_tbENKUlT_T0_E_clISt17integral_constantIbLb1EESW_EEDaSR_SS_EUlSR_E0_NS1_11comp_targetILNS1_3genE0ELNS1_11target_archE4294967295ELNS1_3gpuE0ELNS1_3repE0EEENS1_30default_config_static_selectorELNS0_4arch9wavefront6targetE1EEEvT1_,@function
_ZN7rocprim17ROCPRIM_400000_NS6detail17trampoline_kernelINS0_14default_configENS1_20scan_config_selectorIfEEZZNS1_9scan_implILNS1_25lookback_scan_determinismE0ELb1ELb1ES3_N6thrust23THRUST_200600_302600_NS6detail15normal_iteratorINS9_10device_ptrIfEEEENSB_INSC_IiEEEEfNS9_4plusIvEEfEEDaPvRmT3_T4_T5_mT6_P12ihipStream_tbENKUlT_T0_E_clISt17integral_constantIbLb1EESW_EEDaSR_SS_EUlSR_E0_NS1_11comp_targetILNS1_3genE0ELNS1_11target_archE4294967295ELNS1_3gpuE0ELNS1_3repE0EEENS1_30default_config_static_selectorELNS0_4arch9wavefront6targetE1EEEvT1_: ; @_ZN7rocprim17ROCPRIM_400000_NS6detail17trampoline_kernelINS0_14default_configENS1_20scan_config_selectorIfEEZZNS1_9scan_implILNS1_25lookback_scan_determinismE0ELb1ELb1ES3_N6thrust23THRUST_200600_302600_NS6detail15normal_iteratorINS9_10device_ptrIfEEEENSB_INSC_IiEEEEfNS9_4plusIvEEfEEDaPvRmT3_T4_T5_mT6_P12ihipStream_tbENKUlT_T0_E_clISt17integral_constantIbLb1EESW_EEDaSR_SS_EUlSR_E0_NS1_11comp_targetILNS1_3genE0ELNS1_11target_archE4294967295ELNS1_3gpuE0ELNS1_3repE0EEENS1_30default_config_static_selectorELNS0_4arch9wavefront6targetE1EEEvT1_
; %bb.0:
	.section	.rodata,"a",@progbits
	.p2align	6, 0x0
	.amdhsa_kernel _ZN7rocprim17ROCPRIM_400000_NS6detail17trampoline_kernelINS0_14default_configENS1_20scan_config_selectorIfEEZZNS1_9scan_implILNS1_25lookback_scan_determinismE0ELb1ELb1ES3_N6thrust23THRUST_200600_302600_NS6detail15normal_iteratorINS9_10device_ptrIfEEEENSB_INSC_IiEEEEfNS9_4plusIvEEfEEDaPvRmT3_T4_T5_mT6_P12ihipStream_tbENKUlT_T0_E_clISt17integral_constantIbLb1EESW_EEDaSR_SS_EUlSR_E0_NS1_11comp_targetILNS1_3genE0ELNS1_11target_archE4294967295ELNS1_3gpuE0ELNS1_3repE0EEENS1_30default_config_static_selectorELNS0_4arch9wavefront6targetE1EEEvT1_
		.amdhsa_group_segment_fixed_size 0
		.amdhsa_private_segment_fixed_size 0
		.amdhsa_kernarg_size 32
		.amdhsa_user_sgpr_count 6
		.amdhsa_user_sgpr_private_segment_buffer 1
		.amdhsa_user_sgpr_dispatch_ptr 0
		.amdhsa_user_sgpr_queue_ptr 0
		.amdhsa_user_sgpr_kernarg_segment_ptr 1
		.amdhsa_user_sgpr_dispatch_id 0
		.amdhsa_user_sgpr_flat_scratch_init 0
		.amdhsa_user_sgpr_kernarg_preload_length 0
		.amdhsa_user_sgpr_kernarg_preload_offset 0
		.amdhsa_user_sgpr_private_segment_size 0
		.amdhsa_uses_dynamic_stack 0
		.amdhsa_system_sgpr_private_segment_wavefront_offset 0
		.amdhsa_system_sgpr_workgroup_id_x 1
		.amdhsa_system_sgpr_workgroup_id_y 0
		.amdhsa_system_sgpr_workgroup_id_z 0
		.amdhsa_system_sgpr_workgroup_info 0
		.amdhsa_system_vgpr_workitem_id 0
		.amdhsa_next_free_vgpr 1
		.amdhsa_next_free_sgpr 0
		.amdhsa_accum_offset 4
		.amdhsa_reserve_vcc 0
		.amdhsa_reserve_flat_scratch 0
		.amdhsa_float_round_mode_32 0
		.amdhsa_float_round_mode_16_64 0
		.amdhsa_float_denorm_mode_32 3
		.amdhsa_float_denorm_mode_16_64 3
		.amdhsa_dx10_clamp 1
		.amdhsa_ieee_mode 1
		.amdhsa_fp16_overflow 0
		.amdhsa_tg_split 0
		.amdhsa_exception_fp_ieee_invalid_op 0
		.amdhsa_exception_fp_denorm_src 0
		.amdhsa_exception_fp_ieee_div_zero 0
		.amdhsa_exception_fp_ieee_overflow 0
		.amdhsa_exception_fp_ieee_underflow 0
		.amdhsa_exception_fp_ieee_inexact 0
		.amdhsa_exception_int_div_zero 0
	.end_amdhsa_kernel
	.section	.text._ZN7rocprim17ROCPRIM_400000_NS6detail17trampoline_kernelINS0_14default_configENS1_20scan_config_selectorIfEEZZNS1_9scan_implILNS1_25lookback_scan_determinismE0ELb1ELb1ES3_N6thrust23THRUST_200600_302600_NS6detail15normal_iteratorINS9_10device_ptrIfEEEENSB_INSC_IiEEEEfNS9_4plusIvEEfEEDaPvRmT3_T4_T5_mT6_P12ihipStream_tbENKUlT_T0_E_clISt17integral_constantIbLb1EESW_EEDaSR_SS_EUlSR_E0_NS1_11comp_targetILNS1_3genE0ELNS1_11target_archE4294967295ELNS1_3gpuE0ELNS1_3repE0EEENS1_30default_config_static_selectorELNS0_4arch9wavefront6targetE1EEEvT1_,"axG",@progbits,_ZN7rocprim17ROCPRIM_400000_NS6detail17trampoline_kernelINS0_14default_configENS1_20scan_config_selectorIfEEZZNS1_9scan_implILNS1_25lookback_scan_determinismE0ELb1ELb1ES3_N6thrust23THRUST_200600_302600_NS6detail15normal_iteratorINS9_10device_ptrIfEEEENSB_INSC_IiEEEEfNS9_4plusIvEEfEEDaPvRmT3_T4_T5_mT6_P12ihipStream_tbENKUlT_T0_E_clISt17integral_constantIbLb1EESW_EEDaSR_SS_EUlSR_E0_NS1_11comp_targetILNS1_3genE0ELNS1_11target_archE4294967295ELNS1_3gpuE0ELNS1_3repE0EEENS1_30default_config_static_selectorELNS0_4arch9wavefront6targetE1EEEvT1_,comdat
.Lfunc_end1596:
	.size	_ZN7rocprim17ROCPRIM_400000_NS6detail17trampoline_kernelINS0_14default_configENS1_20scan_config_selectorIfEEZZNS1_9scan_implILNS1_25lookback_scan_determinismE0ELb1ELb1ES3_N6thrust23THRUST_200600_302600_NS6detail15normal_iteratorINS9_10device_ptrIfEEEENSB_INSC_IiEEEEfNS9_4plusIvEEfEEDaPvRmT3_T4_T5_mT6_P12ihipStream_tbENKUlT_T0_E_clISt17integral_constantIbLb1EESW_EEDaSR_SS_EUlSR_E0_NS1_11comp_targetILNS1_3genE0ELNS1_11target_archE4294967295ELNS1_3gpuE0ELNS1_3repE0EEENS1_30default_config_static_selectorELNS0_4arch9wavefront6targetE1EEEvT1_, .Lfunc_end1596-_ZN7rocprim17ROCPRIM_400000_NS6detail17trampoline_kernelINS0_14default_configENS1_20scan_config_selectorIfEEZZNS1_9scan_implILNS1_25lookback_scan_determinismE0ELb1ELb1ES3_N6thrust23THRUST_200600_302600_NS6detail15normal_iteratorINS9_10device_ptrIfEEEENSB_INSC_IiEEEEfNS9_4plusIvEEfEEDaPvRmT3_T4_T5_mT6_P12ihipStream_tbENKUlT_T0_E_clISt17integral_constantIbLb1EESW_EEDaSR_SS_EUlSR_E0_NS1_11comp_targetILNS1_3genE0ELNS1_11target_archE4294967295ELNS1_3gpuE0ELNS1_3repE0EEENS1_30default_config_static_selectorELNS0_4arch9wavefront6targetE1EEEvT1_
                                        ; -- End function
	.section	.AMDGPU.csdata,"",@progbits
; Kernel info:
; codeLenInByte = 0
; NumSgprs: 4
; NumVgprs: 0
; NumAgprs: 0
; TotalNumVgprs: 0
; ScratchSize: 0
; MemoryBound: 0
; FloatMode: 240
; IeeeMode: 1
; LDSByteSize: 0 bytes/workgroup (compile time only)
; SGPRBlocks: 0
; VGPRBlocks: 0
; NumSGPRsForWavesPerEU: 4
; NumVGPRsForWavesPerEU: 1
; AccumOffset: 4
; Occupancy: 8
; WaveLimiterHint : 0
; COMPUTE_PGM_RSRC2:SCRATCH_EN: 0
; COMPUTE_PGM_RSRC2:USER_SGPR: 6
; COMPUTE_PGM_RSRC2:TRAP_HANDLER: 0
; COMPUTE_PGM_RSRC2:TGID_X_EN: 1
; COMPUTE_PGM_RSRC2:TGID_Y_EN: 0
; COMPUTE_PGM_RSRC2:TGID_Z_EN: 0
; COMPUTE_PGM_RSRC2:TIDIG_COMP_CNT: 0
; COMPUTE_PGM_RSRC3_GFX90A:ACCUM_OFFSET: 0
; COMPUTE_PGM_RSRC3_GFX90A:TG_SPLIT: 0
	.section	.text._ZN7rocprim17ROCPRIM_400000_NS6detail17trampoline_kernelINS0_14default_configENS1_20scan_config_selectorIfEEZZNS1_9scan_implILNS1_25lookback_scan_determinismE0ELb1ELb1ES3_N6thrust23THRUST_200600_302600_NS6detail15normal_iteratorINS9_10device_ptrIfEEEENSB_INSC_IiEEEEfNS9_4plusIvEEfEEDaPvRmT3_T4_T5_mT6_P12ihipStream_tbENKUlT_T0_E_clISt17integral_constantIbLb1EESW_EEDaSR_SS_EUlSR_E0_NS1_11comp_targetILNS1_3genE5ELNS1_11target_archE942ELNS1_3gpuE9ELNS1_3repE0EEENS1_30default_config_static_selectorELNS0_4arch9wavefront6targetE1EEEvT1_,"axG",@progbits,_ZN7rocprim17ROCPRIM_400000_NS6detail17trampoline_kernelINS0_14default_configENS1_20scan_config_selectorIfEEZZNS1_9scan_implILNS1_25lookback_scan_determinismE0ELb1ELb1ES3_N6thrust23THRUST_200600_302600_NS6detail15normal_iteratorINS9_10device_ptrIfEEEENSB_INSC_IiEEEEfNS9_4plusIvEEfEEDaPvRmT3_T4_T5_mT6_P12ihipStream_tbENKUlT_T0_E_clISt17integral_constantIbLb1EESW_EEDaSR_SS_EUlSR_E0_NS1_11comp_targetILNS1_3genE5ELNS1_11target_archE942ELNS1_3gpuE9ELNS1_3repE0EEENS1_30default_config_static_selectorELNS0_4arch9wavefront6targetE1EEEvT1_,comdat
	.protected	_ZN7rocprim17ROCPRIM_400000_NS6detail17trampoline_kernelINS0_14default_configENS1_20scan_config_selectorIfEEZZNS1_9scan_implILNS1_25lookback_scan_determinismE0ELb1ELb1ES3_N6thrust23THRUST_200600_302600_NS6detail15normal_iteratorINS9_10device_ptrIfEEEENSB_INSC_IiEEEEfNS9_4plusIvEEfEEDaPvRmT3_T4_T5_mT6_P12ihipStream_tbENKUlT_T0_E_clISt17integral_constantIbLb1EESW_EEDaSR_SS_EUlSR_E0_NS1_11comp_targetILNS1_3genE5ELNS1_11target_archE942ELNS1_3gpuE9ELNS1_3repE0EEENS1_30default_config_static_selectorELNS0_4arch9wavefront6targetE1EEEvT1_ ; -- Begin function _ZN7rocprim17ROCPRIM_400000_NS6detail17trampoline_kernelINS0_14default_configENS1_20scan_config_selectorIfEEZZNS1_9scan_implILNS1_25lookback_scan_determinismE0ELb1ELb1ES3_N6thrust23THRUST_200600_302600_NS6detail15normal_iteratorINS9_10device_ptrIfEEEENSB_INSC_IiEEEEfNS9_4plusIvEEfEEDaPvRmT3_T4_T5_mT6_P12ihipStream_tbENKUlT_T0_E_clISt17integral_constantIbLb1EESW_EEDaSR_SS_EUlSR_E0_NS1_11comp_targetILNS1_3genE5ELNS1_11target_archE942ELNS1_3gpuE9ELNS1_3repE0EEENS1_30default_config_static_selectorELNS0_4arch9wavefront6targetE1EEEvT1_
	.globl	_ZN7rocprim17ROCPRIM_400000_NS6detail17trampoline_kernelINS0_14default_configENS1_20scan_config_selectorIfEEZZNS1_9scan_implILNS1_25lookback_scan_determinismE0ELb1ELb1ES3_N6thrust23THRUST_200600_302600_NS6detail15normal_iteratorINS9_10device_ptrIfEEEENSB_INSC_IiEEEEfNS9_4plusIvEEfEEDaPvRmT3_T4_T5_mT6_P12ihipStream_tbENKUlT_T0_E_clISt17integral_constantIbLb1EESW_EEDaSR_SS_EUlSR_E0_NS1_11comp_targetILNS1_3genE5ELNS1_11target_archE942ELNS1_3gpuE9ELNS1_3repE0EEENS1_30default_config_static_selectorELNS0_4arch9wavefront6targetE1EEEvT1_
	.p2align	8
	.type	_ZN7rocprim17ROCPRIM_400000_NS6detail17trampoline_kernelINS0_14default_configENS1_20scan_config_selectorIfEEZZNS1_9scan_implILNS1_25lookback_scan_determinismE0ELb1ELb1ES3_N6thrust23THRUST_200600_302600_NS6detail15normal_iteratorINS9_10device_ptrIfEEEENSB_INSC_IiEEEEfNS9_4plusIvEEfEEDaPvRmT3_T4_T5_mT6_P12ihipStream_tbENKUlT_T0_E_clISt17integral_constantIbLb1EESW_EEDaSR_SS_EUlSR_E0_NS1_11comp_targetILNS1_3genE5ELNS1_11target_archE942ELNS1_3gpuE9ELNS1_3repE0EEENS1_30default_config_static_selectorELNS0_4arch9wavefront6targetE1EEEvT1_,@function
_ZN7rocprim17ROCPRIM_400000_NS6detail17trampoline_kernelINS0_14default_configENS1_20scan_config_selectorIfEEZZNS1_9scan_implILNS1_25lookback_scan_determinismE0ELb1ELb1ES3_N6thrust23THRUST_200600_302600_NS6detail15normal_iteratorINS9_10device_ptrIfEEEENSB_INSC_IiEEEEfNS9_4plusIvEEfEEDaPvRmT3_T4_T5_mT6_P12ihipStream_tbENKUlT_T0_E_clISt17integral_constantIbLb1EESW_EEDaSR_SS_EUlSR_E0_NS1_11comp_targetILNS1_3genE5ELNS1_11target_archE942ELNS1_3gpuE9ELNS1_3repE0EEENS1_30default_config_static_selectorELNS0_4arch9wavefront6targetE1EEEvT1_: ; @_ZN7rocprim17ROCPRIM_400000_NS6detail17trampoline_kernelINS0_14default_configENS1_20scan_config_selectorIfEEZZNS1_9scan_implILNS1_25lookback_scan_determinismE0ELb1ELb1ES3_N6thrust23THRUST_200600_302600_NS6detail15normal_iteratorINS9_10device_ptrIfEEEENSB_INSC_IiEEEEfNS9_4plusIvEEfEEDaPvRmT3_T4_T5_mT6_P12ihipStream_tbENKUlT_T0_E_clISt17integral_constantIbLb1EESW_EEDaSR_SS_EUlSR_E0_NS1_11comp_targetILNS1_3genE5ELNS1_11target_archE942ELNS1_3gpuE9ELNS1_3repE0EEENS1_30default_config_static_selectorELNS0_4arch9wavefront6targetE1EEEvT1_
; %bb.0:
	.section	.rodata,"a",@progbits
	.p2align	6, 0x0
	.amdhsa_kernel _ZN7rocprim17ROCPRIM_400000_NS6detail17trampoline_kernelINS0_14default_configENS1_20scan_config_selectorIfEEZZNS1_9scan_implILNS1_25lookback_scan_determinismE0ELb1ELb1ES3_N6thrust23THRUST_200600_302600_NS6detail15normal_iteratorINS9_10device_ptrIfEEEENSB_INSC_IiEEEEfNS9_4plusIvEEfEEDaPvRmT3_T4_T5_mT6_P12ihipStream_tbENKUlT_T0_E_clISt17integral_constantIbLb1EESW_EEDaSR_SS_EUlSR_E0_NS1_11comp_targetILNS1_3genE5ELNS1_11target_archE942ELNS1_3gpuE9ELNS1_3repE0EEENS1_30default_config_static_selectorELNS0_4arch9wavefront6targetE1EEEvT1_
		.amdhsa_group_segment_fixed_size 0
		.amdhsa_private_segment_fixed_size 0
		.amdhsa_kernarg_size 32
		.amdhsa_user_sgpr_count 6
		.amdhsa_user_sgpr_private_segment_buffer 1
		.amdhsa_user_sgpr_dispatch_ptr 0
		.amdhsa_user_sgpr_queue_ptr 0
		.amdhsa_user_sgpr_kernarg_segment_ptr 1
		.amdhsa_user_sgpr_dispatch_id 0
		.amdhsa_user_sgpr_flat_scratch_init 0
		.amdhsa_user_sgpr_kernarg_preload_length 0
		.amdhsa_user_sgpr_kernarg_preload_offset 0
		.amdhsa_user_sgpr_private_segment_size 0
		.amdhsa_uses_dynamic_stack 0
		.amdhsa_system_sgpr_private_segment_wavefront_offset 0
		.amdhsa_system_sgpr_workgroup_id_x 1
		.amdhsa_system_sgpr_workgroup_id_y 0
		.amdhsa_system_sgpr_workgroup_id_z 0
		.amdhsa_system_sgpr_workgroup_info 0
		.amdhsa_system_vgpr_workitem_id 0
		.amdhsa_next_free_vgpr 1
		.amdhsa_next_free_sgpr 0
		.amdhsa_accum_offset 4
		.amdhsa_reserve_vcc 0
		.amdhsa_reserve_flat_scratch 0
		.amdhsa_float_round_mode_32 0
		.amdhsa_float_round_mode_16_64 0
		.amdhsa_float_denorm_mode_32 3
		.amdhsa_float_denorm_mode_16_64 3
		.amdhsa_dx10_clamp 1
		.amdhsa_ieee_mode 1
		.amdhsa_fp16_overflow 0
		.amdhsa_tg_split 0
		.amdhsa_exception_fp_ieee_invalid_op 0
		.amdhsa_exception_fp_denorm_src 0
		.amdhsa_exception_fp_ieee_div_zero 0
		.amdhsa_exception_fp_ieee_overflow 0
		.amdhsa_exception_fp_ieee_underflow 0
		.amdhsa_exception_fp_ieee_inexact 0
		.amdhsa_exception_int_div_zero 0
	.end_amdhsa_kernel
	.section	.text._ZN7rocprim17ROCPRIM_400000_NS6detail17trampoline_kernelINS0_14default_configENS1_20scan_config_selectorIfEEZZNS1_9scan_implILNS1_25lookback_scan_determinismE0ELb1ELb1ES3_N6thrust23THRUST_200600_302600_NS6detail15normal_iteratorINS9_10device_ptrIfEEEENSB_INSC_IiEEEEfNS9_4plusIvEEfEEDaPvRmT3_T4_T5_mT6_P12ihipStream_tbENKUlT_T0_E_clISt17integral_constantIbLb1EESW_EEDaSR_SS_EUlSR_E0_NS1_11comp_targetILNS1_3genE5ELNS1_11target_archE942ELNS1_3gpuE9ELNS1_3repE0EEENS1_30default_config_static_selectorELNS0_4arch9wavefront6targetE1EEEvT1_,"axG",@progbits,_ZN7rocprim17ROCPRIM_400000_NS6detail17trampoline_kernelINS0_14default_configENS1_20scan_config_selectorIfEEZZNS1_9scan_implILNS1_25lookback_scan_determinismE0ELb1ELb1ES3_N6thrust23THRUST_200600_302600_NS6detail15normal_iteratorINS9_10device_ptrIfEEEENSB_INSC_IiEEEEfNS9_4plusIvEEfEEDaPvRmT3_T4_T5_mT6_P12ihipStream_tbENKUlT_T0_E_clISt17integral_constantIbLb1EESW_EEDaSR_SS_EUlSR_E0_NS1_11comp_targetILNS1_3genE5ELNS1_11target_archE942ELNS1_3gpuE9ELNS1_3repE0EEENS1_30default_config_static_selectorELNS0_4arch9wavefront6targetE1EEEvT1_,comdat
.Lfunc_end1597:
	.size	_ZN7rocprim17ROCPRIM_400000_NS6detail17trampoline_kernelINS0_14default_configENS1_20scan_config_selectorIfEEZZNS1_9scan_implILNS1_25lookback_scan_determinismE0ELb1ELb1ES3_N6thrust23THRUST_200600_302600_NS6detail15normal_iteratorINS9_10device_ptrIfEEEENSB_INSC_IiEEEEfNS9_4plusIvEEfEEDaPvRmT3_T4_T5_mT6_P12ihipStream_tbENKUlT_T0_E_clISt17integral_constantIbLb1EESW_EEDaSR_SS_EUlSR_E0_NS1_11comp_targetILNS1_3genE5ELNS1_11target_archE942ELNS1_3gpuE9ELNS1_3repE0EEENS1_30default_config_static_selectorELNS0_4arch9wavefront6targetE1EEEvT1_, .Lfunc_end1597-_ZN7rocprim17ROCPRIM_400000_NS6detail17trampoline_kernelINS0_14default_configENS1_20scan_config_selectorIfEEZZNS1_9scan_implILNS1_25lookback_scan_determinismE0ELb1ELb1ES3_N6thrust23THRUST_200600_302600_NS6detail15normal_iteratorINS9_10device_ptrIfEEEENSB_INSC_IiEEEEfNS9_4plusIvEEfEEDaPvRmT3_T4_T5_mT6_P12ihipStream_tbENKUlT_T0_E_clISt17integral_constantIbLb1EESW_EEDaSR_SS_EUlSR_E0_NS1_11comp_targetILNS1_3genE5ELNS1_11target_archE942ELNS1_3gpuE9ELNS1_3repE0EEENS1_30default_config_static_selectorELNS0_4arch9wavefront6targetE1EEEvT1_
                                        ; -- End function
	.section	.AMDGPU.csdata,"",@progbits
; Kernel info:
; codeLenInByte = 0
; NumSgprs: 4
; NumVgprs: 0
; NumAgprs: 0
; TotalNumVgprs: 0
; ScratchSize: 0
; MemoryBound: 0
; FloatMode: 240
; IeeeMode: 1
; LDSByteSize: 0 bytes/workgroup (compile time only)
; SGPRBlocks: 0
; VGPRBlocks: 0
; NumSGPRsForWavesPerEU: 4
; NumVGPRsForWavesPerEU: 1
; AccumOffset: 4
; Occupancy: 8
; WaveLimiterHint : 0
; COMPUTE_PGM_RSRC2:SCRATCH_EN: 0
; COMPUTE_PGM_RSRC2:USER_SGPR: 6
; COMPUTE_PGM_RSRC2:TRAP_HANDLER: 0
; COMPUTE_PGM_RSRC2:TGID_X_EN: 1
; COMPUTE_PGM_RSRC2:TGID_Y_EN: 0
; COMPUTE_PGM_RSRC2:TGID_Z_EN: 0
; COMPUTE_PGM_RSRC2:TIDIG_COMP_CNT: 0
; COMPUTE_PGM_RSRC3_GFX90A:ACCUM_OFFSET: 0
; COMPUTE_PGM_RSRC3_GFX90A:TG_SPLIT: 0
	.section	.text._ZN7rocprim17ROCPRIM_400000_NS6detail17trampoline_kernelINS0_14default_configENS1_20scan_config_selectorIfEEZZNS1_9scan_implILNS1_25lookback_scan_determinismE0ELb1ELb1ES3_N6thrust23THRUST_200600_302600_NS6detail15normal_iteratorINS9_10device_ptrIfEEEENSB_INSC_IiEEEEfNS9_4plusIvEEfEEDaPvRmT3_T4_T5_mT6_P12ihipStream_tbENKUlT_T0_E_clISt17integral_constantIbLb1EESW_EEDaSR_SS_EUlSR_E0_NS1_11comp_targetILNS1_3genE4ELNS1_11target_archE910ELNS1_3gpuE8ELNS1_3repE0EEENS1_30default_config_static_selectorELNS0_4arch9wavefront6targetE1EEEvT1_,"axG",@progbits,_ZN7rocprim17ROCPRIM_400000_NS6detail17trampoline_kernelINS0_14default_configENS1_20scan_config_selectorIfEEZZNS1_9scan_implILNS1_25lookback_scan_determinismE0ELb1ELb1ES3_N6thrust23THRUST_200600_302600_NS6detail15normal_iteratorINS9_10device_ptrIfEEEENSB_INSC_IiEEEEfNS9_4plusIvEEfEEDaPvRmT3_T4_T5_mT6_P12ihipStream_tbENKUlT_T0_E_clISt17integral_constantIbLb1EESW_EEDaSR_SS_EUlSR_E0_NS1_11comp_targetILNS1_3genE4ELNS1_11target_archE910ELNS1_3gpuE8ELNS1_3repE0EEENS1_30default_config_static_selectorELNS0_4arch9wavefront6targetE1EEEvT1_,comdat
	.protected	_ZN7rocprim17ROCPRIM_400000_NS6detail17trampoline_kernelINS0_14default_configENS1_20scan_config_selectorIfEEZZNS1_9scan_implILNS1_25lookback_scan_determinismE0ELb1ELb1ES3_N6thrust23THRUST_200600_302600_NS6detail15normal_iteratorINS9_10device_ptrIfEEEENSB_INSC_IiEEEEfNS9_4plusIvEEfEEDaPvRmT3_T4_T5_mT6_P12ihipStream_tbENKUlT_T0_E_clISt17integral_constantIbLb1EESW_EEDaSR_SS_EUlSR_E0_NS1_11comp_targetILNS1_3genE4ELNS1_11target_archE910ELNS1_3gpuE8ELNS1_3repE0EEENS1_30default_config_static_selectorELNS0_4arch9wavefront6targetE1EEEvT1_ ; -- Begin function _ZN7rocprim17ROCPRIM_400000_NS6detail17trampoline_kernelINS0_14default_configENS1_20scan_config_selectorIfEEZZNS1_9scan_implILNS1_25lookback_scan_determinismE0ELb1ELb1ES3_N6thrust23THRUST_200600_302600_NS6detail15normal_iteratorINS9_10device_ptrIfEEEENSB_INSC_IiEEEEfNS9_4plusIvEEfEEDaPvRmT3_T4_T5_mT6_P12ihipStream_tbENKUlT_T0_E_clISt17integral_constantIbLb1EESW_EEDaSR_SS_EUlSR_E0_NS1_11comp_targetILNS1_3genE4ELNS1_11target_archE910ELNS1_3gpuE8ELNS1_3repE0EEENS1_30default_config_static_selectorELNS0_4arch9wavefront6targetE1EEEvT1_
	.globl	_ZN7rocprim17ROCPRIM_400000_NS6detail17trampoline_kernelINS0_14default_configENS1_20scan_config_selectorIfEEZZNS1_9scan_implILNS1_25lookback_scan_determinismE0ELb1ELb1ES3_N6thrust23THRUST_200600_302600_NS6detail15normal_iteratorINS9_10device_ptrIfEEEENSB_INSC_IiEEEEfNS9_4plusIvEEfEEDaPvRmT3_T4_T5_mT6_P12ihipStream_tbENKUlT_T0_E_clISt17integral_constantIbLb1EESW_EEDaSR_SS_EUlSR_E0_NS1_11comp_targetILNS1_3genE4ELNS1_11target_archE910ELNS1_3gpuE8ELNS1_3repE0EEENS1_30default_config_static_selectorELNS0_4arch9wavefront6targetE1EEEvT1_
	.p2align	8
	.type	_ZN7rocprim17ROCPRIM_400000_NS6detail17trampoline_kernelINS0_14default_configENS1_20scan_config_selectorIfEEZZNS1_9scan_implILNS1_25lookback_scan_determinismE0ELb1ELb1ES3_N6thrust23THRUST_200600_302600_NS6detail15normal_iteratorINS9_10device_ptrIfEEEENSB_INSC_IiEEEEfNS9_4plusIvEEfEEDaPvRmT3_T4_T5_mT6_P12ihipStream_tbENKUlT_T0_E_clISt17integral_constantIbLb1EESW_EEDaSR_SS_EUlSR_E0_NS1_11comp_targetILNS1_3genE4ELNS1_11target_archE910ELNS1_3gpuE8ELNS1_3repE0EEENS1_30default_config_static_selectorELNS0_4arch9wavefront6targetE1EEEvT1_,@function
_ZN7rocprim17ROCPRIM_400000_NS6detail17trampoline_kernelINS0_14default_configENS1_20scan_config_selectorIfEEZZNS1_9scan_implILNS1_25lookback_scan_determinismE0ELb1ELb1ES3_N6thrust23THRUST_200600_302600_NS6detail15normal_iteratorINS9_10device_ptrIfEEEENSB_INSC_IiEEEEfNS9_4plusIvEEfEEDaPvRmT3_T4_T5_mT6_P12ihipStream_tbENKUlT_T0_E_clISt17integral_constantIbLb1EESW_EEDaSR_SS_EUlSR_E0_NS1_11comp_targetILNS1_3genE4ELNS1_11target_archE910ELNS1_3gpuE8ELNS1_3repE0EEENS1_30default_config_static_selectorELNS0_4arch9wavefront6targetE1EEEvT1_: ; @_ZN7rocprim17ROCPRIM_400000_NS6detail17trampoline_kernelINS0_14default_configENS1_20scan_config_selectorIfEEZZNS1_9scan_implILNS1_25lookback_scan_determinismE0ELb1ELb1ES3_N6thrust23THRUST_200600_302600_NS6detail15normal_iteratorINS9_10device_ptrIfEEEENSB_INSC_IiEEEEfNS9_4plusIvEEfEEDaPvRmT3_T4_T5_mT6_P12ihipStream_tbENKUlT_T0_E_clISt17integral_constantIbLb1EESW_EEDaSR_SS_EUlSR_E0_NS1_11comp_targetILNS1_3genE4ELNS1_11target_archE910ELNS1_3gpuE8ELNS1_3repE0EEENS1_30default_config_static_selectorELNS0_4arch9wavefront6targetE1EEEvT1_
; %bb.0:
	s_load_dwordx4 s[28:31], s[4:5], 0x0
	v_lshlrev_b32_e32 v18, 2, v0
	s_waitcnt lgkmcnt(0)
	s_load_dword s31, s[28:29], 0x0
	v_cmp_gt_u32_e32 vcc, s30, v0
	s_waitcnt lgkmcnt(0)
	v_mov_b32_e32 v1, s31
	s_and_saveexec_b64 s[0:1], vcc
	s_cbranch_execz .LBB1598_2
; %bb.1:
	global_load_dword v1, v18, s[28:29]
.LBB1598_2:
	s_or_b64 exec, exec, s[0:1]
	v_or_b32_e32 v2, 0x80, v0
	v_cmp_gt_u32_e64 s[0:1], s30, v2
	v_mov_b32_e32 v2, s31
	s_and_saveexec_b64 s[2:3], s[0:1]
	s_cbranch_execz .LBB1598_4
; %bb.3:
	global_load_dword v2, v18, s[28:29] offset:512
.LBB1598_4:
	s_or_b64 exec, exec, s[2:3]
	v_or_b32_e32 v3, 0x100, v0
	v_cmp_gt_u32_e64 s[2:3], s30, v3
	v_mov_b32_e32 v3, s31
	s_and_saveexec_b64 s[6:7], s[2:3]
	s_cbranch_execz .LBB1598_6
; %bb.5:
	global_load_dword v3, v18, s[28:29] offset:1024
.LBB1598_6:
	;; [unrolled: 9-line block ×7, first 2 shown]
	s_or_b64 exec, exec, s[14:15]
	v_or_b32_e32 v10, 0x400, v0
	v_cmp_gt_u32_e64 s[14:15], s30, v10
	v_mov_b32_e32 v9, s31
	s_and_saveexec_b64 s[16:17], s[14:15]
	s_cbranch_execz .LBB1598_18
; %bb.17:
	v_lshlrev_b32_e32 v9, 2, v10
	global_load_dword v9, v9, s[28:29]
.LBB1598_18:
	s_or_b64 exec, exec, s[16:17]
	v_or_b32_e32 v11, 0x480, v0
	v_cmp_gt_u32_e64 s[16:17], s30, v11
	v_mov_b32_e32 v10, s31
	s_and_saveexec_b64 s[18:19], s[16:17]
	s_cbranch_execz .LBB1598_20
; %bb.19:
	v_lshlrev_b32_e32 v10, 2, v11
	global_load_dword v10, v10, s[28:29]
.LBB1598_20:
	;; [unrolled: 10-line block ×5, first 2 shown]
	s_or_b64 exec, exec, s[24:25]
	s_load_dword s33, s[4:5], 0x10
	v_or_b32_e32 v15, 0x680, v0
	v_cmp_gt_u32_e64 s[24:25], s30, v15
	v_mov_b32_e32 v14, s31
	s_and_saveexec_b64 s[30:31], s[24:25]
	s_cbranch_execz .LBB1598_28
; %bb.27:
	v_lshlrev_b32_e32 v14, 2, v15
	global_load_dword v14, v14, s[28:29]
.LBB1598_28:
	s_or_b64 exec, exec, s[30:31]
	s_waitcnt vmcnt(0)
	ds_write2st64_b32 v18, v1, v2 offset1:2
	ds_write2st64_b32 v18, v3, v4 offset0:4 offset1:6
	ds_write2st64_b32 v18, v5, v6 offset0:8 offset1:10
	;; [unrolled: 1-line block ×6, first 2 shown]
	v_mad_u32_u24 v1, v0, 52, v18
	s_waitcnt lgkmcnt(0)
	s_barrier
	ds_read2_b64 v[10:13], v1 offset1:1
	ds_read2_b64 v[6:9], v1 offset0:2 offset1:3
	ds_read2_b64 v[2:5], v1 offset0:4 offset1:5
	ds_read_b64 v[14:15], v1 offset:48
	s_load_dwordx2 s[34:35], s[4:5], 0x18
	s_waitcnt lgkmcnt(0)
	v_add_f32_e32 v16, v10, v11
	v_add_f32_e32 v16, v16, v12
	;; [unrolled: 1-line block ×13, first 2 shown]
	v_lshrrev_b32_e32 v16, 3, v0
	v_and_b32_e32 v16, 12, v16
	v_add_u32_e32 v16, v18, v16
	v_cmp_gt_u32_e64 s[4:5], 64, v0
	s_barrier
	ds_write_b32 v16, v15
	s_waitcnt lgkmcnt(0)
	s_barrier
	s_and_saveexec_b64 s[36:37], s[4:5]
	s_cbranch_execz .LBB1598_30
; %bb.29:
	v_lshlrev_b32_e32 v16, 1, v0
	v_lshrrev_b32_e32 v17, 4, v0
	v_add_lshl_u32 v19, v17, v16, 2
	ds_read2_b32 v[16:17], v19 offset1:1
	v_mbcnt_lo_u32_b32 v20, -1, 0
	v_mbcnt_hi_u32_b32 v20, -1, v20
	v_and_b32_e32 v21, 15, v20
	v_cmp_eq_u32_e64 s[4:5], 0, v21
	s_waitcnt lgkmcnt(0)
	v_add_f32_e32 v17, v16, v17
	v_cmp_lt_u32_e64 s[28:29], 3, v21
	v_cmp_lt_u32_e64 s[30:31], 31, v20
	v_mov_b32_dpp v22, v17 row_shr:1 row_mask:0xf bank_mask:0xf
	v_add_f32_e32 v22, v17, v22
	v_cndmask_b32_e64 v17, v22, v17, s[4:5]
	v_cmp_lt_u32_e64 s[4:5], 1, v21
	s_nop 0
	v_mov_b32_dpp v22, v17 row_shr:2 row_mask:0xf bank_mask:0xf
	v_add_f32_e32 v22, v17, v22
	v_cndmask_b32_e64 v22, v17, v22, s[4:5]
	; wave barrier
	s_nop 1
	v_mov_b32_dpp v23, v22 row_shr:4 row_mask:0xf bank_mask:0xf
	v_add_f32_e32 v23, v22, v23
	v_cndmask_b32_e64 v22, v22, v23, s[28:29]
	v_cmp_lt_u32_e64 s[28:29], 7, v21
	s_nop 0
	v_mov_b32_dpp v23, v22 row_shr:8 row_mask:0xf bank_mask:0xf
	v_add_f32_e32 v23, v22, v23
	v_cndmask_b32_e64 v21, v22, v23, s[28:29]
	v_and_b32_e32 v23, 16, v20
	v_cmp_eq_u32_e64 s[28:29], 0, v23
	v_mov_b32_dpp v22, v21 row_bcast:15 row_mask:0xf bank_mask:0xf
	v_add_f32_e32 v22, v21, v22
	v_cndmask_b32_e64 v21, v22, v21, s[28:29]
	v_cmp_lt_u32_e64 s[28:29], 15, v20
	s_or_b64 s[4:5], s[28:29], s[4:5]
	v_mov_b32_dpp v22, v21 row_bcast:31 row_mask:0xf bank_mask:0xf
	v_add_f32_e32 v22, v21, v22
	v_cndmask_b32_e64 v21, v21, v22, s[30:31]
	v_cndmask_b32_e64 v17, v17, v21, s[4:5]
	v_add_u32_e32 v21, -1, v20
	v_and_b32_e32 v22, 64, v20
	v_cmp_lt_i32_e64 s[4:5], v21, v22
	v_cndmask_b32_e64 v20, v21, v20, s[4:5]
	v_lshlrev_b32_e32 v20, 2, v20
	ds_bpermute_b32 v17, v20, v17
	v_cmp_eq_u32_e64 s[4:5], 0, v0
	s_waitcnt lgkmcnt(0)
	v_add_f32_e32 v16, v16, v17
	v_cndmask_b32_e64 v15, v16, v15, s[4:5]
	ds_write_b32 v19, v15
	; wave barrier
	ds_read_b32 v16, v19 offset:4
	s_waitcnt lgkmcnt(0)
	v_add_f32_e32 v15, v15, v16
	ds_write_b32 v19, v15 offset:4
.LBB1598_30:
	s_or_b64 exec, exec, s[36:37]
	v_cmp_ne_u32_e64 s[4:5], 0, v0
	v_mov_b32_e32 v16, s33
	s_waitcnt lgkmcnt(0)
	s_barrier
	s_and_saveexec_b64 s[28:29], s[4:5]
	s_cbranch_execz .LBB1598_32
; %bb.31:
	v_add_u32_e32 v15, -1, v0
	v_lshrrev_b32_e32 v16, 5, v15
	v_add_lshl_u32 v15, v16, v15, 2
	ds_read_b32 v15, v15
	s_waitcnt lgkmcnt(0)
	v_add_f32_e32 v16, s33, v15
.LBB1598_32:
	s_or_b64 exec, exec, s[28:29]
	v_add_f32_e32 v17, v10, v16
	v_add_f32_e32 v10, v11, v17
	;; [unrolled: 1-line block ×12, first 2 shown]
	s_movk_i32 s4, 0xffcc
	v_add_f32_e32 v5, v14, v4
	v_mad_i32_i24 v0, v0, s4, v1
	s_barrier
	ds_write2_b64 v1, v[16:17], v[10:11] offset1:1
	ds_write2_b64 v1, v[12:13], v[6:7] offset0:2 offset1:3
	ds_write2_b64 v1, v[8:9], v[2:3] offset0:4 offset1:5
	ds_write_b64 v1, v[4:5] offset:48
	s_waitcnt lgkmcnt(0)
	s_barrier
	ds_read2st64_b32 v[12:13], v0 offset0:2 offset1:4
	ds_read2st64_b32 v[10:11], v0 offset0:6 offset1:8
	;; [unrolled: 1-line block ×4, first 2 shown]
	ds_read_b32 v14, v18 offset:4096
	ds_read2st64_b32 v[4:5], v0 offset0:20 offset1:22
	ds_read2st64_b32 v[2:3], v0 offset0:24 offset1:26
	v_mov_b32_e32 v1, s35
	v_add_co_u32_e64 v0, s[4:5], s34, v18
	v_addc_co_u32_e64 v1, s[4:5], 0, v1, s[4:5]
	s_and_saveexec_b64 s[4:5], vcc
	s_cbranch_execnz .LBB1598_47
; %bb.33:
	s_or_b64 exec, exec, s[4:5]
	s_and_saveexec_b64 s[4:5], s[0:1]
	s_cbranch_execnz .LBB1598_48
.LBB1598_34:
	s_or_b64 exec, exec, s[4:5]
	s_and_saveexec_b64 s[0:1], s[2:3]
	s_cbranch_execnz .LBB1598_49
.LBB1598_35:
	s_or_b64 exec, exec, s[0:1]
	s_and_saveexec_b64 s[0:1], s[26:27]
	s_cbranch_execnz .LBB1598_50
.LBB1598_36:
	s_or_b64 exec, exec, s[0:1]
	s_and_saveexec_b64 s[0:1], s[6:7]
	s_cbranch_execnz .LBB1598_51
.LBB1598_37:
	s_or_b64 exec, exec, s[0:1]
	s_and_saveexec_b64 s[0:1], s[8:9]
	s_cbranch_execnz .LBB1598_52
.LBB1598_38:
	s_or_b64 exec, exec, s[0:1]
	s_and_saveexec_b64 s[0:1], s[10:11]
	s_cbranch_execnz .LBB1598_53
.LBB1598_39:
	s_or_b64 exec, exec, s[0:1]
	s_and_saveexec_b64 s[0:1], s[12:13]
	s_cbranch_execnz .LBB1598_54
.LBB1598_40:
	s_or_b64 exec, exec, s[0:1]
	s_and_saveexec_b64 s[0:1], s[14:15]
	s_cbranch_execnz .LBB1598_55
.LBB1598_41:
	s_or_b64 exec, exec, s[0:1]
	s_and_saveexec_b64 s[0:1], s[16:17]
	s_cbranch_execnz .LBB1598_56
.LBB1598_42:
	s_or_b64 exec, exec, s[0:1]
	s_and_saveexec_b64 s[0:1], s[18:19]
	s_cbranch_execnz .LBB1598_57
.LBB1598_43:
	s_or_b64 exec, exec, s[0:1]
	s_and_saveexec_b64 s[0:1], s[20:21]
	s_cbranch_execnz .LBB1598_58
.LBB1598_44:
	s_or_b64 exec, exec, s[0:1]
	s_and_saveexec_b64 s[0:1], s[22:23]
	s_cbranch_execnz .LBB1598_59
.LBB1598_45:
	s_or_b64 exec, exec, s[0:1]
	s_and_saveexec_b64 s[0:1], s[24:25]
	s_cbranch_execnz .LBB1598_60
.LBB1598_46:
	s_endpgm
.LBB1598_47:
	ds_read_b32 v15, v18
	s_waitcnt lgkmcnt(0)
	v_cvt_i32_f32_e32 v15, v15
	global_store_dword v[0:1], v15, off
	s_or_b64 exec, exec, s[4:5]
	s_and_saveexec_b64 s[4:5], s[0:1]
	s_cbranch_execz .LBB1598_34
.LBB1598_48:
	s_waitcnt lgkmcnt(6)
	v_cvt_i32_f32_e32 v12, v12
	global_store_dword v[0:1], v12, off offset:512
	s_or_b64 exec, exec, s[4:5]
	s_and_saveexec_b64 s[0:1], s[2:3]
	s_cbranch_execz .LBB1598_35
.LBB1598_49:
	s_waitcnt lgkmcnt(6)
	v_cvt_i32_f32_e32 v12, v13
	global_store_dword v[0:1], v12, off offset:1024
	s_or_b64 exec, exec, s[0:1]
	s_and_saveexec_b64 s[0:1], s[26:27]
	s_cbranch_execz .LBB1598_36
.LBB1598_50:
	s_waitcnt lgkmcnt(5)
	v_cvt_i32_f32_e32 v10, v10
	global_store_dword v[0:1], v10, off offset:1536
	s_or_b64 exec, exec, s[0:1]
	s_and_saveexec_b64 s[0:1], s[6:7]
	s_cbranch_execz .LBB1598_37
.LBB1598_51:
	s_waitcnt lgkmcnt(5)
	v_cvt_i32_f32_e32 v10, v11
	global_store_dword v[0:1], v10, off offset:2048
	s_or_b64 exec, exec, s[0:1]
	s_and_saveexec_b64 s[0:1], s[8:9]
	s_cbranch_execz .LBB1598_38
.LBB1598_52:
	s_waitcnt lgkmcnt(4)
	v_cvt_i32_f32_e32 v8, v8
	global_store_dword v[0:1], v8, off offset:2560
	s_or_b64 exec, exec, s[0:1]
	s_and_saveexec_b64 s[0:1], s[10:11]
	s_cbranch_execz .LBB1598_39
.LBB1598_53:
	s_waitcnt lgkmcnt(4)
	v_cvt_i32_f32_e32 v8, v9
	global_store_dword v[0:1], v8, off offset:3072
	s_or_b64 exec, exec, s[0:1]
	s_and_saveexec_b64 s[0:1], s[12:13]
	s_cbranch_execz .LBB1598_40
.LBB1598_54:
	s_waitcnt lgkmcnt(3)
	v_cvt_i32_f32_e32 v6, v6
	global_store_dword v[0:1], v6, off offset:3584
	s_or_b64 exec, exec, s[0:1]
	s_and_saveexec_b64 s[0:1], s[14:15]
	s_cbranch_execz .LBB1598_41
.LBB1598_55:
	s_waitcnt lgkmcnt(2)
	v_cvt_i32_f32_e32 v6, v14
	v_add_co_u32_e32 v8, vcc, 0x1000, v0
	v_addc_co_u32_e32 v9, vcc, 0, v1, vcc
	global_store_dword v[8:9], v6, off
	s_or_b64 exec, exec, s[0:1]
	s_and_saveexec_b64 s[0:1], s[16:17]
	s_cbranch_execz .LBB1598_42
.LBB1598_56:
	s_waitcnt lgkmcnt(3)
	v_cvt_i32_f32_e32 v8, v7
	v_add_co_u32_e32 v6, vcc, 0x1000, v0
	v_addc_co_u32_e32 v7, vcc, 0, v1, vcc
	global_store_dword v[6:7], v8, off offset:512
	s_or_b64 exec, exec, s[0:1]
	s_and_saveexec_b64 s[0:1], s[18:19]
	s_cbranch_execz .LBB1598_43
.LBB1598_57:
	s_waitcnt lgkmcnt(1)
	v_cvt_i32_f32_e32 v4, v4
	v_add_co_u32_e32 v6, vcc, 0x1000, v0
	v_addc_co_u32_e32 v7, vcc, 0, v1, vcc
	global_store_dword v[6:7], v4, off offset:1024
	s_or_b64 exec, exec, s[0:1]
	s_and_saveexec_b64 s[0:1], s[20:21]
	s_cbranch_execz .LBB1598_44
.LBB1598_58:
	s_waitcnt lgkmcnt(1)
	v_cvt_i32_f32_e32 v6, v5
	v_add_co_u32_e32 v4, vcc, 0x1000, v0
	v_addc_co_u32_e32 v5, vcc, 0, v1, vcc
	global_store_dword v[4:5], v6, off offset:1536
	s_or_b64 exec, exec, s[0:1]
	s_and_saveexec_b64 s[0:1], s[22:23]
	s_cbranch_execz .LBB1598_45
.LBB1598_59:
	s_waitcnt lgkmcnt(0)
	v_cvt_i32_f32_e32 v2, v2
	v_add_co_u32_e32 v4, vcc, 0x1000, v0
	v_addc_co_u32_e32 v5, vcc, 0, v1, vcc
	global_store_dword v[4:5], v2, off offset:2048
	s_or_b64 exec, exec, s[0:1]
	s_and_saveexec_b64 s[0:1], s[24:25]
	s_cbranch_execz .LBB1598_46
.LBB1598_60:
	s_waitcnt lgkmcnt(0)
	v_cvt_i32_f32_e32 v2, v3
	v_add_co_u32_e32 v0, vcc, 0x1000, v0
	v_addc_co_u32_e32 v1, vcc, 0, v1, vcc
	global_store_dword v[0:1], v2, off offset:2560
	s_endpgm
	.section	.rodata,"a",@progbits
	.p2align	6, 0x0
	.amdhsa_kernel _ZN7rocprim17ROCPRIM_400000_NS6detail17trampoline_kernelINS0_14default_configENS1_20scan_config_selectorIfEEZZNS1_9scan_implILNS1_25lookback_scan_determinismE0ELb1ELb1ES3_N6thrust23THRUST_200600_302600_NS6detail15normal_iteratorINS9_10device_ptrIfEEEENSB_INSC_IiEEEEfNS9_4plusIvEEfEEDaPvRmT3_T4_T5_mT6_P12ihipStream_tbENKUlT_T0_E_clISt17integral_constantIbLb1EESW_EEDaSR_SS_EUlSR_E0_NS1_11comp_targetILNS1_3genE4ELNS1_11target_archE910ELNS1_3gpuE8ELNS1_3repE0EEENS1_30default_config_static_selectorELNS0_4arch9wavefront6targetE1EEEvT1_
		.amdhsa_group_segment_fixed_size 7168
		.amdhsa_private_segment_fixed_size 0
		.amdhsa_kernarg_size 32
		.amdhsa_user_sgpr_count 6
		.amdhsa_user_sgpr_private_segment_buffer 1
		.amdhsa_user_sgpr_dispatch_ptr 0
		.amdhsa_user_sgpr_queue_ptr 0
		.amdhsa_user_sgpr_kernarg_segment_ptr 1
		.amdhsa_user_sgpr_dispatch_id 0
		.amdhsa_user_sgpr_flat_scratch_init 0
		.amdhsa_user_sgpr_kernarg_preload_length 0
		.amdhsa_user_sgpr_kernarg_preload_offset 0
		.amdhsa_user_sgpr_private_segment_size 0
		.amdhsa_uses_dynamic_stack 0
		.amdhsa_system_sgpr_private_segment_wavefront_offset 0
		.amdhsa_system_sgpr_workgroup_id_x 1
		.amdhsa_system_sgpr_workgroup_id_y 0
		.amdhsa_system_sgpr_workgroup_id_z 0
		.amdhsa_system_sgpr_workgroup_info 0
		.amdhsa_system_vgpr_workitem_id 0
		.amdhsa_next_free_vgpr 24
		.amdhsa_next_free_sgpr 38
		.amdhsa_accum_offset 24
		.amdhsa_reserve_vcc 1
		.amdhsa_reserve_flat_scratch 0
		.amdhsa_float_round_mode_32 0
		.amdhsa_float_round_mode_16_64 0
		.amdhsa_float_denorm_mode_32 3
		.amdhsa_float_denorm_mode_16_64 3
		.amdhsa_dx10_clamp 1
		.amdhsa_ieee_mode 1
		.amdhsa_fp16_overflow 0
		.amdhsa_tg_split 0
		.amdhsa_exception_fp_ieee_invalid_op 0
		.amdhsa_exception_fp_denorm_src 0
		.amdhsa_exception_fp_ieee_div_zero 0
		.amdhsa_exception_fp_ieee_overflow 0
		.amdhsa_exception_fp_ieee_underflow 0
		.amdhsa_exception_fp_ieee_inexact 0
		.amdhsa_exception_int_div_zero 0
	.end_amdhsa_kernel
	.section	.text._ZN7rocprim17ROCPRIM_400000_NS6detail17trampoline_kernelINS0_14default_configENS1_20scan_config_selectorIfEEZZNS1_9scan_implILNS1_25lookback_scan_determinismE0ELb1ELb1ES3_N6thrust23THRUST_200600_302600_NS6detail15normal_iteratorINS9_10device_ptrIfEEEENSB_INSC_IiEEEEfNS9_4plusIvEEfEEDaPvRmT3_T4_T5_mT6_P12ihipStream_tbENKUlT_T0_E_clISt17integral_constantIbLb1EESW_EEDaSR_SS_EUlSR_E0_NS1_11comp_targetILNS1_3genE4ELNS1_11target_archE910ELNS1_3gpuE8ELNS1_3repE0EEENS1_30default_config_static_selectorELNS0_4arch9wavefront6targetE1EEEvT1_,"axG",@progbits,_ZN7rocprim17ROCPRIM_400000_NS6detail17trampoline_kernelINS0_14default_configENS1_20scan_config_selectorIfEEZZNS1_9scan_implILNS1_25lookback_scan_determinismE0ELb1ELb1ES3_N6thrust23THRUST_200600_302600_NS6detail15normal_iteratorINS9_10device_ptrIfEEEENSB_INSC_IiEEEEfNS9_4plusIvEEfEEDaPvRmT3_T4_T5_mT6_P12ihipStream_tbENKUlT_T0_E_clISt17integral_constantIbLb1EESW_EEDaSR_SS_EUlSR_E0_NS1_11comp_targetILNS1_3genE4ELNS1_11target_archE910ELNS1_3gpuE8ELNS1_3repE0EEENS1_30default_config_static_selectorELNS0_4arch9wavefront6targetE1EEEvT1_,comdat
.Lfunc_end1598:
	.size	_ZN7rocprim17ROCPRIM_400000_NS6detail17trampoline_kernelINS0_14default_configENS1_20scan_config_selectorIfEEZZNS1_9scan_implILNS1_25lookback_scan_determinismE0ELb1ELb1ES3_N6thrust23THRUST_200600_302600_NS6detail15normal_iteratorINS9_10device_ptrIfEEEENSB_INSC_IiEEEEfNS9_4plusIvEEfEEDaPvRmT3_T4_T5_mT6_P12ihipStream_tbENKUlT_T0_E_clISt17integral_constantIbLb1EESW_EEDaSR_SS_EUlSR_E0_NS1_11comp_targetILNS1_3genE4ELNS1_11target_archE910ELNS1_3gpuE8ELNS1_3repE0EEENS1_30default_config_static_selectorELNS0_4arch9wavefront6targetE1EEEvT1_, .Lfunc_end1598-_ZN7rocprim17ROCPRIM_400000_NS6detail17trampoline_kernelINS0_14default_configENS1_20scan_config_selectorIfEEZZNS1_9scan_implILNS1_25lookback_scan_determinismE0ELb1ELb1ES3_N6thrust23THRUST_200600_302600_NS6detail15normal_iteratorINS9_10device_ptrIfEEEENSB_INSC_IiEEEEfNS9_4plusIvEEfEEDaPvRmT3_T4_T5_mT6_P12ihipStream_tbENKUlT_T0_E_clISt17integral_constantIbLb1EESW_EEDaSR_SS_EUlSR_E0_NS1_11comp_targetILNS1_3genE4ELNS1_11target_archE910ELNS1_3gpuE8ELNS1_3repE0EEENS1_30default_config_static_selectorELNS0_4arch9wavefront6targetE1EEEvT1_
                                        ; -- End function
	.section	.AMDGPU.csdata,"",@progbits
; Kernel info:
; codeLenInByte = 2060
; NumSgprs: 42
; NumVgprs: 24
; NumAgprs: 0
; TotalNumVgprs: 24
; ScratchSize: 0
; MemoryBound: 0
; FloatMode: 240
; IeeeMode: 1
; LDSByteSize: 7168 bytes/workgroup (compile time only)
; SGPRBlocks: 5
; VGPRBlocks: 2
; NumSGPRsForWavesPerEU: 42
; NumVGPRsForWavesPerEU: 24
; AccumOffset: 24
; Occupancy: 5
; WaveLimiterHint : 0
; COMPUTE_PGM_RSRC2:SCRATCH_EN: 0
; COMPUTE_PGM_RSRC2:USER_SGPR: 6
; COMPUTE_PGM_RSRC2:TRAP_HANDLER: 0
; COMPUTE_PGM_RSRC2:TGID_X_EN: 1
; COMPUTE_PGM_RSRC2:TGID_Y_EN: 0
; COMPUTE_PGM_RSRC2:TGID_Z_EN: 0
; COMPUTE_PGM_RSRC2:TIDIG_COMP_CNT: 0
; COMPUTE_PGM_RSRC3_GFX90A:ACCUM_OFFSET: 5
; COMPUTE_PGM_RSRC3_GFX90A:TG_SPLIT: 0
	.section	.text._ZN7rocprim17ROCPRIM_400000_NS6detail17trampoline_kernelINS0_14default_configENS1_20scan_config_selectorIfEEZZNS1_9scan_implILNS1_25lookback_scan_determinismE0ELb1ELb1ES3_N6thrust23THRUST_200600_302600_NS6detail15normal_iteratorINS9_10device_ptrIfEEEENSB_INSC_IiEEEEfNS9_4plusIvEEfEEDaPvRmT3_T4_T5_mT6_P12ihipStream_tbENKUlT_T0_E_clISt17integral_constantIbLb1EESW_EEDaSR_SS_EUlSR_E0_NS1_11comp_targetILNS1_3genE3ELNS1_11target_archE908ELNS1_3gpuE7ELNS1_3repE0EEENS1_30default_config_static_selectorELNS0_4arch9wavefront6targetE1EEEvT1_,"axG",@progbits,_ZN7rocprim17ROCPRIM_400000_NS6detail17trampoline_kernelINS0_14default_configENS1_20scan_config_selectorIfEEZZNS1_9scan_implILNS1_25lookback_scan_determinismE0ELb1ELb1ES3_N6thrust23THRUST_200600_302600_NS6detail15normal_iteratorINS9_10device_ptrIfEEEENSB_INSC_IiEEEEfNS9_4plusIvEEfEEDaPvRmT3_T4_T5_mT6_P12ihipStream_tbENKUlT_T0_E_clISt17integral_constantIbLb1EESW_EEDaSR_SS_EUlSR_E0_NS1_11comp_targetILNS1_3genE3ELNS1_11target_archE908ELNS1_3gpuE7ELNS1_3repE0EEENS1_30default_config_static_selectorELNS0_4arch9wavefront6targetE1EEEvT1_,comdat
	.protected	_ZN7rocprim17ROCPRIM_400000_NS6detail17trampoline_kernelINS0_14default_configENS1_20scan_config_selectorIfEEZZNS1_9scan_implILNS1_25lookback_scan_determinismE0ELb1ELb1ES3_N6thrust23THRUST_200600_302600_NS6detail15normal_iteratorINS9_10device_ptrIfEEEENSB_INSC_IiEEEEfNS9_4plusIvEEfEEDaPvRmT3_T4_T5_mT6_P12ihipStream_tbENKUlT_T0_E_clISt17integral_constantIbLb1EESW_EEDaSR_SS_EUlSR_E0_NS1_11comp_targetILNS1_3genE3ELNS1_11target_archE908ELNS1_3gpuE7ELNS1_3repE0EEENS1_30default_config_static_selectorELNS0_4arch9wavefront6targetE1EEEvT1_ ; -- Begin function _ZN7rocprim17ROCPRIM_400000_NS6detail17trampoline_kernelINS0_14default_configENS1_20scan_config_selectorIfEEZZNS1_9scan_implILNS1_25lookback_scan_determinismE0ELb1ELb1ES3_N6thrust23THRUST_200600_302600_NS6detail15normal_iteratorINS9_10device_ptrIfEEEENSB_INSC_IiEEEEfNS9_4plusIvEEfEEDaPvRmT3_T4_T5_mT6_P12ihipStream_tbENKUlT_T0_E_clISt17integral_constantIbLb1EESW_EEDaSR_SS_EUlSR_E0_NS1_11comp_targetILNS1_3genE3ELNS1_11target_archE908ELNS1_3gpuE7ELNS1_3repE0EEENS1_30default_config_static_selectorELNS0_4arch9wavefront6targetE1EEEvT1_
	.globl	_ZN7rocprim17ROCPRIM_400000_NS6detail17trampoline_kernelINS0_14default_configENS1_20scan_config_selectorIfEEZZNS1_9scan_implILNS1_25lookback_scan_determinismE0ELb1ELb1ES3_N6thrust23THRUST_200600_302600_NS6detail15normal_iteratorINS9_10device_ptrIfEEEENSB_INSC_IiEEEEfNS9_4plusIvEEfEEDaPvRmT3_T4_T5_mT6_P12ihipStream_tbENKUlT_T0_E_clISt17integral_constantIbLb1EESW_EEDaSR_SS_EUlSR_E0_NS1_11comp_targetILNS1_3genE3ELNS1_11target_archE908ELNS1_3gpuE7ELNS1_3repE0EEENS1_30default_config_static_selectorELNS0_4arch9wavefront6targetE1EEEvT1_
	.p2align	8
	.type	_ZN7rocprim17ROCPRIM_400000_NS6detail17trampoline_kernelINS0_14default_configENS1_20scan_config_selectorIfEEZZNS1_9scan_implILNS1_25lookback_scan_determinismE0ELb1ELb1ES3_N6thrust23THRUST_200600_302600_NS6detail15normal_iteratorINS9_10device_ptrIfEEEENSB_INSC_IiEEEEfNS9_4plusIvEEfEEDaPvRmT3_T4_T5_mT6_P12ihipStream_tbENKUlT_T0_E_clISt17integral_constantIbLb1EESW_EEDaSR_SS_EUlSR_E0_NS1_11comp_targetILNS1_3genE3ELNS1_11target_archE908ELNS1_3gpuE7ELNS1_3repE0EEENS1_30default_config_static_selectorELNS0_4arch9wavefront6targetE1EEEvT1_,@function
_ZN7rocprim17ROCPRIM_400000_NS6detail17trampoline_kernelINS0_14default_configENS1_20scan_config_selectorIfEEZZNS1_9scan_implILNS1_25lookback_scan_determinismE0ELb1ELb1ES3_N6thrust23THRUST_200600_302600_NS6detail15normal_iteratorINS9_10device_ptrIfEEEENSB_INSC_IiEEEEfNS9_4plusIvEEfEEDaPvRmT3_T4_T5_mT6_P12ihipStream_tbENKUlT_T0_E_clISt17integral_constantIbLb1EESW_EEDaSR_SS_EUlSR_E0_NS1_11comp_targetILNS1_3genE3ELNS1_11target_archE908ELNS1_3gpuE7ELNS1_3repE0EEENS1_30default_config_static_selectorELNS0_4arch9wavefront6targetE1EEEvT1_: ; @_ZN7rocprim17ROCPRIM_400000_NS6detail17trampoline_kernelINS0_14default_configENS1_20scan_config_selectorIfEEZZNS1_9scan_implILNS1_25lookback_scan_determinismE0ELb1ELb1ES3_N6thrust23THRUST_200600_302600_NS6detail15normal_iteratorINS9_10device_ptrIfEEEENSB_INSC_IiEEEEfNS9_4plusIvEEfEEDaPvRmT3_T4_T5_mT6_P12ihipStream_tbENKUlT_T0_E_clISt17integral_constantIbLb1EESW_EEDaSR_SS_EUlSR_E0_NS1_11comp_targetILNS1_3genE3ELNS1_11target_archE908ELNS1_3gpuE7ELNS1_3repE0EEENS1_30default_config_static_selectorELNS0_4arch9wavefront6targetE1EEEvT1_
; %bb.0:
	.section	.rodata,"a",@progbits
	.p2align	6, 0x0
	.amdhsa_kernel _ZN7rocprim17ROCPRIM_400000_NS6detail17trampoline_kernelINS0_14default_configENS1_20scan_config_selectorIfEEZZNS1_9scan_implILNS1_25lookback_scan_determinismE0ELb1ELb1ES3_N6thrust23THRUST_200600_302600_NS6detail15normal_iteratorINS9_10device_ptrIfEEEENSB_INSC_IiEEEEfNS9_4plusIvEEfEEDaPvRmT3_T4_T5_mT6_P12ihipStream_tbENKUlT_T0_E_clISt17integral_constantIbLb1EESW_EEDaSR_SS_EUlSR_E0_NS1_11comp_targetILNS1_3genE3ELNS1_11target_archE908ELNS1_3gpuE7ELNS1_3repE0EEENS1_30default_config_static_selectorELNS0_4arch9wavefront6targetE1EEEvT1_
		.amdhsa_group_segment_fixed_size 0
		.amdhsa_private_segment_fixed_size 0
		.amdhsa_kernarg_size 32
		.amdhsa_user_sgpr_count 6
		.amdhsa_user_sgpr_private_segment_buffer 1
		.amdhsa_user_sgpr_dispatch_ptr 0
		.amdhsa_user_sgpr_queue_ptr 0
		.amdhsa_user_sgpr_kernarg_segment_ptr 1
		.amdhsa_user_sgpr_dispatch_id 0
		.amdhsa_user_sgpr_flat_scratch_init 0
		.amdhsa_user_sgpr_kernarg_preload_length 0
		.amdhsa_user_sgpr_kernarg_preload_offset 0
		.amdhsa_user_sgpr_private_segment_size 0
		.amdhsa_uses_dynamic_stack 0
		.amdhsa_system_sgpr_private_segment_wavefront_offset 0
		.amdhsa_system_sgpr_workgroup_id_x 1
		.amdhsa_system_sgpr_workgroup_id_y 0
		.amdhsa_system_sgpr_workgroup_id_z 0
		.amdhsa_system_sgpr_workgroup_info 0
		.amdhsa_system_vgpr_workitem_id 0
		.amdhsa_next_free_vgpr 1
		.amdhsa_next_free_sgpr 0
		.amdhsa_accum_offset 4
		.amdhsa_reserve_vcc 0
		.amdhsa_reserve_flat_scratch 0
		.amdhsa_float_round_mode_32 0
		.amdhsa_float_round_mode_16_64 0
		.amdhsa_float_denorm_mode_32 3
		.amdhsa_float_denorm_mode_16_64 3
		.amdhsa_dx10_clamp 1
		.amdhsa_ieee_mode 1
		.amdhsa_fp16_overflow 0
		.amdhsa_tg_split 0
		.amdhsa_exception_fp_ieee_invalid_op 0
		.amdhsa_exception_fp_denorm_src 0
		.amdhsa_exception_fp_ieee_div_zero 0
		.amdhsa_exception_fp_ieee_overflow 0
		.amdhsa_exception_fp_ieee_underflow 0
		.amdhsa_exception_fp_ieee_inexact 0
		.amdhsa_exception_int_div_zero 0
	.end_amdhsa_kernel
	.section	.text._ZN7rocprim17ROCPRIM_400000_NS6detail17trampoline_kernelINS0_14default_configENS1_20scan_config_selectorIfEEZZNS1_9scan_implILNS1_25lookback_scan_determinismE0ELb1ELb1ES3_N6thrust23THRUST_200600_302600_NS6detail15normal_iteratorINS9_10device_ptrIfEEEENSB_INSC_IiEEEEfNS9_4plusIvEEfEEDaPvRmT3_T4_T5_mT6_P12ihipStream_tbENKUlT_T0_E_clISt17integral_constantIbLb1EESW_EEDaSR_SS_EUlSR_E0_NS1_11comp_targetILNS1_3genE3ELNS1_11target_archE908ELNS1_3gpuE7ELNS1_3repE0EEENS1_30default_config_static_selectorELNS0_4arch9wavefront6targetE1EEEvT1_,"axG",@progbits,_ZN7rocprim17ROCPRIM_400000_NS6detail17trampoline_kernelINS0_14default_configENS1_20scan_config_selectorIfEEZZNS1_9scan_implILNS1_25lookback_scan_determinismE0ELb1ELb1ES3_N6thrust23THRUST_200600_302600_NS6detail15normal_iteratorINS9_10device_ptrIfEEEENSB_INSC_IiEEEEfNS9_4plusIvEEfEEDaPvRmT3_T4_T5_mT6_P12ihipStream_tbENKUlT_T0_E_clISt17integral_constantIbLb1EESW_EEDaSR_SS_EUlSR_E0_NS1_11comp_targetILNS1_3genE3ELNS1_11target_archE908ELNS1_3gpuE7ELNS1_3repE0EEENS1_30default_config_static_selectorELNS0_4arch9wavefront6targetE1EEEvT1_,comdat
.Lfunc_end1599:
	.size	_ZN7rocprim17ROCPRIM_400000_NS6detail17trampoline_kernelINS0_14default_configENS1_20scan_config_selectorIfEEZZNS1_9scan_implILNS1_25lookback_scan_determinismE0ELb1ELb1ES3_N6thrust23THRUST_200600_302600_NS6detail15normal_iteratorINS9_10device_ptrIfEEEENSB_INSC_IiEEEEfNS9_4plusIvEEfEEDaPvRmT3_T4_T5_mT6_P12ihipStream_tbENKUlT_T0_E_clISt17integral_constantIbLb1EESW_EEDaSR_SS_EUlSR_E0_NS1_11comp_targetILNS1_3genE3ELNS1_11target_archE908ELNS1_3gpuE7ELNS1_3repE0EEENS1_30default_config_static_selectorELNS0_4arch9wavefront6targetE1EEEvT1_, .Lfunc_end1599-_ZN7rocprim17ROCPRIM_400000_NS6detail17trampoline_kernelINS0_14default_configENS1_20scan_config_selectorIfEEZZNS1_9scan_implILNS1_25lookback_scan_determinismE0ELb1ELb1ES3_N6thrust23THRUST_200600_302600_NS6detail15normal_iteratorINS9_10device_ptrIfEEEENSB_INSC_IiEEEEfNS9_4plusIvEEfEEDaPvRmT3_T4_T5_mT6_P12ihipStream_tbENKUlT_T0_E_clISt17integral_constantIbLb1EESW_EEDaSR_SS_EUlSR_E0_NS1_11comp_targetILNS1_3genE3ELNS1_11target_archE908ELNS1_3gpuE7ELNS1_3repE0EEENS1_30default_config_static_selectorELNS0_4arch9wavefront6targetE1EEEvT1_
                                        ; -- End function
	.section	.AMDGPU.csdata,"",@progbits
; Kernel info:
; codeLenInByte = 0
; NumSgprs: 4
; NumVgprs: 0
; NumAgprs: 0
; TotalNumVgprs: 0
; ScratchSize: 0
; MemoryBound: 0
; FloatMode: 240
; IeeeMode: 1
; LDSByteSize: 0 bytes/workgroup (compile time only)
; SGPRBlocks: 0
; VGPRBlocks: 0
; NumSGPRsForWavesPerEU: 4
; NumVGPRsForWavesPerEU: 1
; AccumOffset: 4
; Occupancy: 8
; WaveLimiterHint : 0
; COMPUTE_PGM_RSRC2:SCRATCH_EN: 0
; COMPUTE_PGM_RSRC2:USER_SGPR: 6
; COMPUTE_PGM_RSRC2:TRAP_HANDLER: 0
; COMPUTE_PGM_RSRC2:TGID_X_EN: 1
; COMPUTE_PGM_RSRC2:TGID_Y_EN: 0
; COMPUTE_PGM_RSRC2:TGID_Z_EN: 0
; COMPUTE_PGM_RSRC2:TIDIG_COMP_CNT: 0
; COMPUTE_PGM_RSRC3_GFX90A:ACCUM_OFFSET: 0
; COMPUTE_PGM_RSRC3_GFX90A:TG_SPLIT: 0
	.section	.text._ZN7rocprim17ROCPRIM_400000_NS6detail17trampoline_kernelINS0_14default_configENS1_20scan_config_selectorIfEEZZNS1_9scan_implILNS1_25lookback_scan_determinismE0ELb1ELb1ES3_N6thrust23THRUST_200600_302600_NS6detail15normal_iteratorINS9_10device_ptrIfEEEENSB_INSC_IiEEEEfNS9_4plusIvEEfEEDaPvRmT3_T4_T5_mT6_P12ihipStream_tbENKUlT_T0_E_clISt17integral_constantIbLb1EESW_EEDaSR_SS_EUlSR_E0_NS1_11comp_targetILNS1_3genE2ELNS1_11target_archE906ELNS1_3gpuE6ELNS1_3repE0EEENS1_30default_config_static_selectorELNS0_4arch9wavefront6targetE1EEEvT1_,"axG",@progbits,_ZN7rocprim17ROCPRIM_400000_NS6detail17trampoline_kernelINS0_14default_configENS1_20scan_config_selectorIfEEZZNS1_9scan_implILNS1_25lookback_scan_determinismE0ELb1ELb1ES3_N6thrust23THRUST_200600_302600_NS6detail15normal_iteratorINS9_10device_ptrIfEEEENSB_INSC_IiEEEEfNS9_4plusIvEEfEEDaPvRmT3_T4_T5_mT6_P12ihipStream_tbENKUlT_T0_E_clISt17integral_constantIbLb1EESW_EEDaSR_SS_EUlSR_E0_NS1_11comp_targetILNS1_3genE2ELNS1_11target_archE906ELNS1_3gpuE6ELNS1_3repE0EEENS1_30default_config_static_selectorELNS0_4arch9wavefront6targetE1EEEvT1_,comdat
	.protected	_ZN7rocprim17ROCPRIM_400000_NS6detail17trampoline_kernelINS0_14default_configENS1_20scan_config_selectorIfEEZZNS1_9scan_implILNS1_25lookback_scan_determinismE0ELb1ELb1ES3_N6thrust23THRUST_200600_302600_NS6detail15normal_iteratorINS9_10device_ptrIfEEEENSB_INSC_IiEEEEfNS9_4plusIvEEfEEDaPvRmT3_T4_T5_mT6_P12ihipStream_tbENKUlT_T0_E_clISt17integral_constantIbLb1EESW_EEDaSR_SS_EUlSR_E0_NS1_11comp_targetILNS1_3genE2ELNS1_11target_archE906ELNS1_3gpuE6ELNS1_3repE0EEENS1_30default_config_static_selectorELNS0_4arch9wavefront6targetE1EEEvT1_ ; -- Begin function _ZN7rocprim17ROCPRIM_400000_NS6detail17trampoline_kernelINS0_14default_configENS1_20scan_config_selectorIfEEZZNS1_9scan_implILNS1_25lookback_scan_determinismE0ELb1ELb1ES3_N6thrust23THRUST_200600_302600_NS6detail15normal_iteratorINS9_10device_ptrIfEEEENSB_INSC_IiEEEEfNS9_4plusIvEEfEEDaPvRmT3_T4_T5_mT6_P12ihipStream_tbENKUlT_T0_E_clISt17integral_constantIbLb1EESW_EEDaSR_SS_EUlSR_E0_NS1_11comp_targetILNS1_3genE2ELNS1_11target_archE906ELNS1_3gpuE6ELNS1_3repE0EEENS1_30default_config_static_selectorELNS0_4arch9wavefront6targetE1EEEvT1_
	.globl	_ZN7rocprim17ROCPRIM_400000_NS6detail17trampoline_kernelINS0_14default_configENS1_20scan_config_selectorIfEEZZNS1_9scan_implILNS1_25lookback_scan_determinismE0ELb1ELb1ES3_N6thrust23THRUST_200600_302600_NS6detail15normal_iteratorINS9_10device_ptrIfEEEENSB_INSC_IiEEEEfNS9_4plusIvEEfEEDaPvRmT3_T4_T5_mT6_P12ihipStream_tbENKUlT_T0_E_clISt17integral_constantIbLb1EESW_EEDaSR_SS_EUlSR_E0_NS1_11comp_targetILNS1_3genE2ELNS1_11target_archE906ELNS1_3gpuE6ELNS1_3repE0EEENS1_30default_config_static_selectorELNS0_4arch9wavefront6targetE1EEEvT1_
	.p2align	8
	.type	_ZN7rocprim17ROCPRIM_400000_NS6detail17trampoline_kernelINS0_14default_configENS1_20scan_config_selectorIfEEZZNS1_9scan_implILNS1_25lookback_scan_determinismE0ELb1ELb1ES3_N6thrust23THRUST_200600_302600_NS6detail15normal_iteratorINS9_10device_ptrIfEEEENSB_INSC_IiEEEEfNS9_4plusIvEEfEEDaPvRmT3_T4_T5_mT6_P12ihipStream_tbENKUlT_T0_E_clISt17integral_constantIbLb1EESW_EEDaSR_SS_EUlSR_E0_NS1_11comp_targetILNS1_3genE2ELNS1_11target_archE906ELNS1_3gpuE6ELNS1_3repE0EEENS1_30default_config_static_selectorELNS0_4arch9wavefront6targetE1EEEvT1_,@function
_ZN7rocprim17ROCPRIM_400000_NS6detail17trampoline_kernelINS0_14default_configENS1_20scan_config_selectorIfEEZZNS1_9scan_implILNS1_25lookback_scan_determinismE0ELb1ELb1ES3_N6thrust23THRUST_200600_302600_NS6detail15normal_iteratorINS9_10device_ptrIfEEEENSB_INSC_IiEEEEfNS9_4plusIvEEfEEDaPvRmT3_T4_T5_mT6_P12ihipStream_tbENKUlT_T0_E_clISt17integral_constantIbLb1EESW_EEDaSR_SS_EUlSR_E0_NS1_11comp_targetILNS1_3genE2ELNS1_11target_archE906ELNS1_3gpuE6ELNS1_3repE0EEENS1_30default_config_static_selectorELNS0_4arch9wavefront6targetE1EEEvT1_: ; @_ZN7rocprim17ROCPRIM_400000_NS6detail17trampoline_kernelINS0_14default_configENS1_20scan_config_selectorIfEEZZNS1_9scan_implILNS1_25lookback_scan_determinismE0ELb1ELb1ES3_N6thrust23THRUST_200600_302600_NS6detail15normal_iteratorINS9_10device_ptrIfEEEENSB_INSC_IiEEEEfNS9_4plusIvEEfEEDaPvRmT3_T4_T5_mT6_P12ihipStream_tbENKUlT_T0_E_clISt17integral_constantIbLb1EESW_EEDaSR_SS_EUlSR_E0_NS1_11comp_targetILNS1_3genE2ELNS1_11target_archE906ELNS1_3gpuE6ELNS1_3repE0EEENS1_30default_config_static_selectorELNS0_4arch9wavefront6targetE1EEEvT1_
; %bb.0:
	.section	.rodata,"a",@progbits
	.p2align	6, 0x0
	.amdhsa_kernel _ZN7rocprim17ROCPRIM_400000_NS6detail17trampoline_kernelINS0_14default_configENS1_20scan_config_selectorIfEEZZNS1_9scan_implILNS1_25lookback_scan_determinismE0ELb1ELb1ES3_N6thrust23THRUST_200600_302600_NS6detail15normal_iteratorINS9_10device_ptrIfEEEENSB_INSC_IiEEEEfNS9_4plusIvEEfEEDaPvRmT3_T4_T5_mT6_P12ihipStream_tbENKUlT_T0_E_clISt17integral_constantIbLb1EESW_EEDaSR_SS_EUlSR_E0_NS1_11comp_targetILNS1_3genE2ELNS1_11target_archE906ELNS1_3gpuE6ELNS1_3repE0EEENS1_30default_config_static_selectorELNS0_4arch9wavefront6targetE1EEEvT1_
		.amdhsa_group_segment_fixed_size 0
		.amdhsa_private_segment_fixed_size 0
		.amdhsa_kernarg_size 32
		.amdhsa_user_sgpr_count 6
		.amdhsa_user_sgpr_private_segment_buffer 1
		.amdhsa_user_sgpr_dispatch_ptr 0
		.amdhsa_user_sgpr_queue_ptr 0
		.amdhsa_user_sgpr_kernarg_segment_ptr 1
		.amdhsa_user_sgpr_dispatch_id 0
		.amdhsa_user_sgpr_flat_scratch_init 0
		.amdhsa_user_sgpr_kernarg_preload_length 0
		.amdhsa_user_sgpr_kernarg_preload_offset 0
		.amdhsa_user_sgpr_private_segment_size 0
		.amdhsa_uses_dynamic_stack 0
		.amdhsa_system_sgpr_private_segment_wavefront_offset 0
		.amdhsa_system_sgpr_workgroup_id_x 1
		.amdhsa_system_sgpr_workgroup_id_y 0
		.amdhsa_system_sgpr_workgroup_id_z 0
		.amdhsa_system_sgpr_workgroup_info 0
		.amdhsa_system_vgpr_workitem_id 0
		.amdhsa_next_free_vgpr 1
		.amdhsa_next_free_sgpr 0
		.amdhsa_accum_offset 4
		.amdhsa_reserve_vcc 0
		.amdhsa_reserve_flat_scratch 0
		.amdhsa_float_round_mode_32 0
		.amdhsa_float_round_mode_16_64 0
		.amdhsa_float_denorm_mode_32 3
		.amdhsa_float_denorm_mode_16_64 3
		.amdhsa_dx10_clamp 1
		.amdhsa_ieee_mode 1
		.amdhsa_fp16_overflow 0
		.amdhsa_tg_split 0
		.amdhsa_exception_fp_ieee_invalid_op 0
		.amdhsa_exception_fp_denorm_src 0
		.amdhsa_exception_fp_ieee_div_zero 0
		.amdhsa_exception_fp_ieee_overflow 0
		.amdhsa_exception_fp_ieee_underflow 0
		.amdhsa_exception_fp_ieee_inexact 0
		.amdhsa_exception_int_div_zero 0
	.end_amdhsa_kernel
	.section	.text._ZN7rocprim17ROCPRIM_400000_NS6detail17trampoline_kernelINS0_14default_configENS1_20scan_config_selectorIfEEZZNS1_9scan_implILNS1_25lookback_scan_determinismE0ELb1ELb1ES3_N6thrust23THRUST_200600_302600_NS6detail15normal_iteratorINS9_10device_ptrIfEEEENSB_INSC_IiEEEEfNS9_4plusIvEEfEEDaPvRmT3_T4_T5_mT6_P12ihipStream_tbENKUlT_T0_E_clISt17integral_constantIbLb1EESW_EEDaSR_SS_EUlSR_E0_NS1_11comp_targetILNS1_3genE2ELNS1_11target_archE906ELNS1_3gpuE6ELNS1_3repE0EEENS1_30default_config_static_selectorELNS0_4arch9wavefront6targetE1EEEvT1_,"axG",@progbits,_ZN7rocprim17ROCPRIM_400000_NS6detail17trampoline_kernelINS0_14default_configENS1_20scan_config_selectorIfEEZZNS1_9scan_implILNS1_25lookback_scan_determinismE0ELb1ELb1ES3_N6thrust23THRUST_200600_302600_NS6detail15normal_iteratorINS9_10device_ptrIfEEEENSB_INSC_IiEEEEfNS9_4plusIvEEfEEDaPvRmT3_T4_T5_mT6_P12ihipStream_tbENKUlT_T0_E_clISt17integral_constantIbLb1EESW_EEDaSR_SS_EUlSR_E0_NS1_11comp_targetILNS1_3genE2ELNS1_11target_archE906ELNS1_3gpuE6ELNS1_3repE0EEENS1_30default_config_static_selectorELNS0_4arch9wavefront6targetE1EEEvT1_,comdat
.Lfunc_end1600:
	.size	_ZN7rocprim17ROCPRIM_400000_NS6detail17trampoline_kernelINS0_14default_configENS1_20scan_config_selectorIfEEZZNS1_9scan_implILNS1_25lookback_scan_determinismE0ELb1ELb1ES3_N6thrust23THRUST_200600_302600_NS6detail15normal_iteratorINS9_10device_ptrIfEEEENSB_INSC_IiEEEEfNS9_4plusIvEEfEEDaPvRmT3_T4_T5_mT6_P12ihipStream_tbENKUlT_T0_E_clISt17integral_constantIbLb1EESW_EEDaSR_SS_EUlSR_E0_NS1_11comp_targetILNS1_3genE2ELNS1_11target_archE906ELNS1_3gpuE6ELNS1_3repE0EEENS1_30default_config_static_selectorELNS0_4arch9wavefront6targetE1EEEvT1_, .Lfunc_end1600-_ZN7rocprim17ROCPRIM_400000_NS6detail17trampoline_kernelINS0_14default_configENS1_20scan_config_selectorIfEEZZNS1_9scan_implILNS1_25lookback_scan_determinismE0ELb1ELb1ES3_N6thrust23THRUST_200600_302600_NS6detail15normal_iteratorINS9_10device_ptrIfEEEENSB_INSC_IiEEEEfNS9_4plusIvEEfEEDaPvRmT3_T4_T5_mT6_P12ihipStream_tbENKUlT_T0_E_clISt17integral_constantIbLb1EESW_EEDaSR_SS_EUlSR_E0_NS1_11comp_targetILNS1_3genE2ELNS1_11target_archE906ELNS1_3gpuE6ELNS1_3repE0EEENS1_30default_config_static_selectorELNS0_4arch9wavefront6targetE1EEEvT1_
                                        ; -- End function
	.section	.AMDGPU.csdata,"",@progbits
; Kernel info:
; codeLenInByte = 0
; NumSgprs: 4
; NumVgprs: 0
; NumAgprs: 0
; TotalNumVgprs: 0
; ScratchSize: 0
; MemoryBound: 0
; FloatMode: 240
; IeeeMode: 1
; LDSByteSize: 0 bytes/workgroup (compile time only)
; SGPRBlocks: 0
; VGPRBlocks: 0
; NumSGPRsForWavesPerEU: 4
; NumVGPRsForWavesPerEU: 1
; AccumOffset: 4
; Occupancy: 8
; WaveLimiterHint : 0
; COMPUTE_PGM_RSRC2:SCRATCH_EN: 0
; COMPUTE_PGM_RSRC2:USER_SGPR: 6
; COMPUTE_PGM_RSRC2:TRAP_HANDLER: 0
; COMPUTE_PGM_RSRC2:TGID_X_EN: 1
; COMPUTE_PGM_RSRC2:TGID_Y_EN: 0
; COMPUTE_PGM_RSRC2:TGID_Z_EN: 0
; COMPUTE_PGM_RSRC2:TIDIG_COMP_CNT: 0
; COMPUTE_PGM_RSRC3_GFX90A:ACCUM_OFFSET: 0
; COMPUTE_PGM_RSRC3_GFX90A:TG_SPLIT: 0
	.section	.text._ZN7rocprim17ROCPRIM_400000_NS6detail17trampoline_kernelINS0_14default_configENS1_20scan_config_selectorIfEEZZNS1_9scan_implILNS1_25lookback_scan_determinismE0ELb1ELb1ES3_N6thrust23THRUST_200600_302600_NS6detail15normal_iteratorINS9_10device_ptrIfEEEENSB_INSC_IiEEEEfNS9_4plusIvEEfEEDaPvRmT3_T4_T5_mT6_P12ihipStream_tbENKUlT_T0_E_clISt17integral_constantIbLb1EESW_EEDaSR_SS_EUlSR_E0_NS1_11comp_targetILNS1_3genE10ELNS1_11target_archE1201ELNS1_3gpuE5ELNS1_3repE0EEENS1_30default_config_static_selectorELNS0_4arch9wavefront6targetE1EEEvT1_,"axG",@progbits,_ZN7rocprim17ROCPRIM_400000_NS6detail17trampoline_kernelINS0_14default_configENS1_20scan_config_selectorIfEEZZNS1_9scan_implILNS1_25lookback_scan_determinismE0ELb1ELb1ES3_N6thrust23THRUST_200600_302600_NS6detail15normal_iteratorINS9_10device_ptrIfEEEENSB_INSC_IiEEEEfNS9_4plusIvEEfEEDaPvRmT3_T4_T5_mT6_P12ihipStream_tbENKUlT_T0_E_clISt17integral_constantIbLb1EESW_EEDaSR_SS_EUlSR_E0_NS1_11comp_targetILNS1_3genE10ELNS1_11target_archE1201ELNS1_3gpuE5ELNS1_3repE0EEENS1_30default_config_static_selectorELNS0_4arch9wavefront6targetE1EEEvT1_,comdat
	.protected	_ZN7rocprim17ROCPRIM_400000_NS6detail17trampoline_kernelINS0_14default_configENS1_20scan_config_selectorIfEEZZNS1_9scan_implILNS1_25lookback_scan_determinismE0ELb1ELb1ES3_N6thrust23THRUST_200600_302600_NS6detail15normal_iteratorINS9_10device_ptrIfEEEENSB_INSC_IiEEEEfNS9_4plusIvEEfEEDaPvRmT3_T4_T5_mT6_P12ihipStream_tbENKUlT_T0_E_clISt17integral_constantIbLb1EESW_EEDaSR_SS_EUlSR_E0_NS1_11comp_targetILNS1_3genE10ELNS1_11target_archE1201ELNS1_3gpuE5ELNS1_3repE0EEENS1_30default_config_static_selectorELNS0_4arch9wavefront6targetE1EEEvT1_ ; -- Begin function _ZN7rocprim17ROCPRIM_400000_NS6detail17trampoline_kernelINS0_14default_configENS1_20scan_config_selectorIfEEZZNS1_9scan_implILNS1_25lookback_scan_determinismE0ELb1ELb1ES3_N6thrust23THRUST_200600_302600_NS6detail15normal_iteratorINS9_10device_ptrIfEEEENSB_INSC_IiEEEEfNS9_4plusIvEEfEEDaPvRmT3_T4_T5_mT6_P12ihipStream_tbENKUlT_T0_E_clISt17integral_constantIbLb1EESW_EEDaSR_SS_EUlSR_E0_NS1_11comp_targetILNS1_3genE10ELNS1_11target_archE1201ELNS1_3gpuE5ELNS1_3repE0EEENS1_30default_config_static_selectorELNS0_4arch9wavefront6targetE1EEEvT1_
	.globl	_ZN7rocprim17ROCPRIM_400000_NS6detail17trampoline_kernelINS0_14default_configENS1_20scan_config_selectorIfEEZZNS1_9scan_implILNS1_25lookback_scan_determinismE0ELb1ELb1ES3_N6thrust23THRUST_200600_302600_NS6detail15normal_iteratorINS9_10device_ptrIfEEEENSB_INSC_IiEEEEfNS9_4plusIvEEfEEDaPvRmT3_T4_T5_mT6_P12ihipStream_tbENKUlT_T0_E_clISt17integral_constantIbLb1EESW_EEDaSR_SS_EUlSR_E0_NS1_11comp_targetILNS1_3genE10ELNS1_11target_archE1201ELNS1_3gpuE5ELNS1_3repE0EEENS1_30default_config_static_selectorELNS0_4arch9wavefront6targetE1EEEvT1_
	.p2align	8
	.type	_ZN7rocprim17ROCPRIM_400000_NS6detail17trampoline_kernelINS0_14default_configENS1_20scan_config_selectorIfEEZZNS1_9scan_implILNS1_25lookback_scan_determinismE0ELb1ELb1ES3_N6thrust23THRUST_200600_302600_NS6detail15normal_iteratorINS9_10device_ptrIfEEEENSB_INSC_IiEEEEfNS9_4plusIvEEfEEDaPvRmT3_T4_T5_mT6_P12ihipStream_tbENKUlT_T0_E_clISt17integral_constantIbLb1EESW_EEDaSR_SS_EUlSR_E0_NS1_11comp_targetILNS1_3genE10ELNS1_11target_archE1201ELNS1_3gpuE5ELNS1_3repE0EEENS1_30default_config_static_selectorELNS0_4arch9wavefront6targetE1EEEvT1_,@function
_ZN7rocprim17ROCPRIM_400000_NS6detail17trampoline_kernelINS0_14default_configENS1_20scan_config_selectorIfEEZZNS1_9scan_implILNS1_25lookback_scan_determinismE0ELb1ELb1ES3_N6thrust23THRUST_200600_302600_NS6detail15normal_iteratorINS9_10device_ptrIfEEEENSB_INSC_IiEEEEfNS9_4plusIvEEfEEDaPvRmT3_T4_T5_mT6_P12ihipStream_tbENKUlT_T0_E_clISt17integral_constantIbLb1EESW_EEDaSR_SS_EUlSR_E0_NS1_11comp_targetILNS1_3genE10ELNS1_11target_archE1201ELNS1_3gpuE5ELNS1_3repE0EEENS1_30default_config_static_selectorELNS0_4arch9wavefront6targetE1EEEvT1_: ; @_ZN7rocprim17ROCPRIM_400000_NS6detail17trampoline_kernelINS0_14default_configENS1_20scan_config_selectorIfEEZZNS1_9scan_implILNS1_25lookback_scan_determinismE0ELb1ELb1ES3_N6thrust23THRUST_200600_302600_NS6detail15normal_iteratorINS9_10device_ptrIfEEEENSB_INSC_IiEEEEfNS9_4plusIvEEfEEDaPvRmT3_T4_T5_mT6_P12ihipStream_tbENKUlT_T0_E_clISt17integral_constantIbLb1EESW_EEDaSR_SS_EUlSR_E0_NS1_11comp_targetILNS1_3genE10ELNS1_11target_archE1201ELNS1_3gpuE5ELNS1_3repE0EEENS1_30default_config_static_selectorELNS0_4arch9wavefront6targetE1EEEvT1_
; %bb.0:
	.section	.rodata,"a",@progbits
	.p2align	6, 0x0
	.amdhsa_kernel _ZN7rocprim17ROCPRIM_400000_NS6detail17trampoline_kernelINS0_14default_configENS1_20scan_config_selectorIfEEZZNS1_9scan_implILNS1_25lookback_scan_determinismE0ELb1ELb1ES3_N6thrust23THRUST_200600_302600_NS6detail15normal_iteratorINS9_10device_ptrIfEEEENSB_INSC_IiEEEEfNS9_4plusIvEEfEEDaPvRmT3_T4_T5_mT6_P12ihipStream_tbENKUlT_T0_E_clISt17integral_constantIbLb1EESW_EEDaSR_SS_EUlSR_E0_NS1_11comp_targetILNS1_3genE10ELNS1_11target_archE1201ELNS1_3gpuE5ELNS1_3repE0EEENS1_30default_config_static_selectorELNS0_4arch9wavefront6targetE1EEEvT1_
		.amdhsa_group_segment_fixed_size 0
		.amdhsa_private_segment_fixed_size 0
		.amdhsa_kernarg_size 32
		.amdhsa_user_sgpr_count 6
		.amdhsa_user_sgpr_private_segment_buffer 1
		.amdhsa_user_sgpr_dispatch_ptr 0
		.amdhsa_user_sgpr_queue_ptr 0
		.amdhsa_user_sgpr_kernarg_segment_ptr 1
		.amdhsa_user_sgpr_dispatch_id 0
		.amdhsa_user_sgpr_flat_scratch_init 0
		.amdhsa_user_sgpr_kernarg_preload_length 0
		.amdhsa_user_sgpr_kernarg_preload_offset 0
		.amdhsa_user_sgpr_private_segment_size 0
		.amdhsa_uses_dynamic_stack 0
		.amdhsa_system_sgpr_private_segment_wavefront_offset 0
		.amdhsa_system_sgpr_workgroup_id_x 1
		.amdhsa_system_sgpr_workgroup_id_y 0
		.amdhsa_system_sgpr_workgroup_id_z 0
		.amdhsa_system_sgpr_workgroup_info 0
		.amdhsa_system_vgpr_workitem_id 0
		.amdhsa_next_free_vgpr 1
		.amdhsa_next_free_sgpr 0
		.amdhsa_accum_offset 4
		.amdhsa_reserve_vcc 0
		.amdhsa_reserve_flat_scratch 0
		.amdhsa_float_round_mode_32 0
		.amdhsa_float_round_mode_16_64 0
		.amdhsa_float_denorm_mode_32 3
		.amdhsa_float_denorm_mode_16_64 3
		.amdhsa_dx10_clamp 1
		.amdhsa_ieee_mode 1
		.amdhsa_fp16_overflow 0
		.amdhsa_tg_split 0
		.amdhsa_exception_fp_ieee_invalid_op 0
		.amdhsa_exception_fp_denorm_src 0
		.amdhsa_exception_fp_ieee_div_zero 0
		.amdhsa_exception_fp_ieee_overflow 0
		.amdhsa_exception_fp_ieee_underflow 0
		.amdhsa_exception_fp_ieee_inexact 0
		.amdhsa_exception_int_div_zero 0
	.end_amdhsa_kernel
	.section	.text._ZN7rocprim17ROCPRIM_400000_NS6detail17trampoline_kernelINS0_14default_configENS1_20scan_config_selectorIfEEZZNS1_9scan_implILNS1_25lookback_scan_determinismE0ELb1ELb1ES3_N6thrust23THRUST_200600_302600_NS6detail15normal_iteratorINS9_10device_ptrIfEEEENSB_INSC_IiEEEEfNS9_4plusIvEEfEEDaPvRmT3_T4_T5_mT6_P12ihipStream_tbENKUlT_T0_E_clISt17integral_constantIbLb1EESW_EEDaSR_SS_EUlSR_E0_NS1_11comp_targetILNS1_3genE10ELNS1_11target_archE1201ELNS1_3gpuE5ELNS1_3repE0EEENS1_30default_config_static_selectorELNS0_4arch9wavefront6targetE1EEEvT1_,"axG",@progbits,_ZN7rocprim17ROCPRIM_400000_NS6detail17trampoline_kernelINS0_14default_configENS1_20scan_config_selectorIfEEZZNS1_9scan_implILNS1_25lookback_scan_determinismE0ELb1ELb1ES3_N6thrust23THRUST_200600_302600_NS6detail15normal_iteratorINS9_10device_ptrIfEEEENSB_INSC_IiEEEEfNS9_4plusIvEEfEEDaPvRmT3_T4_T5_mT6_P12ihipStream_tbENKUlT_T0_E_clISt17integral_constantIbLb1EESW_EEDaSR_SS_EUlSR_E0_NS1_11comp_targetILNS1_3genE10ELNS1_11target_archE1201ELNS1_3gpuE5ELNS1_3repE0EEENS1_30default_config_static_selectorELNS0_4arch9wavefront6targetE1EEEvT1_,comdat
.Lfunc_end1601:
	.size	_ZN7rocprim17ROCPRIM_400000_NS6detail17trampoline_kernelINS0_14default_configENS1_20scan_config_selectorIfEEZZNS1_9scan_implILNS1_25lookback_scan_determinismE0ELb1ELb1ES3_N6thrust23THRUST_200600_302600_NS6detail15normal_iteratorINS9_10device_ptrIfEEEENSB_INSC_IiEEEEfNS9_4plusIvEEfEEDaPvRmT3_T4_T5_mT6_P12ihipStream_tbENKUlT_T0_E_clISt17integral_constantIbLb1EESW_EEDaSR_SS_EUlSR_E0_NS1_11comp_targetILNS1_3genE10ELNS1_11target_archE1201ELNS1_3gpuE5ELNS1_3repE0EEENS1_30default_config_static_selectorELNS0_4arch9wavefront6targetE1EEEvT1_, .Lfunc_end1601-_ZN7rocprim17ROCPRIM_400000_NS6detail17trampoline_kernelINS0_14default_configENS1_20scan_config_selectorIfEEZZNS1_9scan_implILNS1_25lookback_scan_determinismE0ELb1ELb1ES3_N6thrust23THRUST_200600_302600_NS6detail15normal_iteratorINS9_10device_ptrIfEEEENSB_INSC_IiEEEEfNS9_4plusIvEEfEEDaPvRmT3_T4_T5_mT6_P12ihipStream_tbENKUlT_T0_E_clISt17integral_constantIbLb1EESW_EEDaSR_SS_EUlSR_E0_NS1_11comp_targetILNS1_3genE10ELNS1_11target_archE1201ELNS1_3gpuE5ELNS1_3repE0EEENS1_30default_config_static_selectorELNS0_4arch9wavefront6targetE1EEEvT1_
                                        ; -- End function
	.section	.AMDGPU.csdata,"",@progbits
; Kernel info:
; codeLenInByte = 0
; NumSgprs: 4
; NumVgprs: 0
; NumAgprs: 0
; TotalNumVgprs: 0
; ScratchSize: 0
; MemoryBound: 0
; FloatMode: 240
; IeeeMode: 1
; LDSByteSize: 0 bytes/workgroup (compile time only)
; SGPRBlocks: 0
; VGPRBlocks: 0
; NumSGPRsForWavesPerEU: 4
; NumVGPRsForWavesPerEU: 1
; AccumOffset: 4
; Occupancy: 8
; WaveLimiterHint : 0
; COMPUTE_PGM_RSRC2:SCRATCH_EN: 0
; COMPUTE_PGM_RSRC2:USER_SGPR: 6
; COMPUTE_PGM_RSRC2:TRAP_HANDLER: 0
; COMPUTE_PGM_RSRC2:TGID_X_EN: 1
; COMPUTE_PGM_RSRC2:TGID_Y_EN: 0
; COMPUTE_PGM_RSRC2:TGID_Z_EN: 0
; COMPUTE_PGM_RSRC2:TIDIG_COMP_CNT: 0
; COMPUTE_PGM_RSRC3_GFX90A:ACCUM_OFFSET: 0
; COMPUTE_PGM_RSRC3_GFX90A:TG_SPLIT: 0
	.section	.text._ZN7rocprim17ROCPRIM_400000_NS6detail17trampoline_kernelINS0_14default_configENS1_20scan_config_selectorIfEEZZNS1_9scan_implILNS1_25lookback_scan_determinismE0ELb1ELb1ES3_N6thrust23THRUST_200600_302600_NS6detail15normal_iteratorINS9_10device_ptrIfEEEENSB_INSC_IiEEEEfNS9_4plusIvEEfEEDaPvRmT3_T4_T5_mT6_P12ihipStream_tbENKUlT_T0_E_clISt17integral_constantIbLb1EESW_EEDaSR_SS_EUlSR_E0_NS1_11comp_targetILNS1_3genE10ELNS1_11target_archE1200ELNS1_3gpuE4ELNS1_3repE0EEENS1_30default_config_static_selectorELNS0_4arch9wavefront6targetE1EEEvT1_,"axG",@progbits,_ZN7rocprim17ROCPRIM_400000_NS6detail17trampoline_kernelINS0_14default_configENS1_20scan_config_selectorIfEEZZNS1_9scan_implILNS1_25lookback_scan_determinismE0ELb1ELb1ES3_N6thrust23THRUST_200600_302600_NS6detail15normal_iteratorINS9_10device_ptrIfEEEENSB_INSC_IiEEEEfNS9_4plusIvEEfEEDaPvRmT3_T4_T5_mT6_P12ihipStream_tbENKUlT_T0_E_clISt17integral_constantIbLb1EESW_EEDaSR_SS_EUlSR_E0_NS1_11comp_targetILNS1_3genE10ELNS1_11target_archE1200ELNS1_3gpuE4ELNS1_3repE0EEENS1_30default_config_static_selectorELNS0_4arch9wavefront6targetE1EEEvT1_,comdat
	.protected	_ZN7rocprim17ROCPRIM_400000_NS6detail17trampoline_kernelINS0_14default_configENS1_20scan_config_selectorIfEEZZNS1_9scan_implILNS1_25lookback_scan_determinismE0ELb1ELb1ES3_N6thrust23THRUST_200600_302600_NS6detail15normal_iteratorINS9_10device_ptrIfEEEENSB_INSC_IiEEEEfNS9_4plusIvEEfEEDaPvRmT3_T4_T5_mT6_P12ihipStream_tbENKUlT_T0_E_clISt17integral_constantIbLb1EESW_EEDaSR_SS_EUlSR_E0_NS1_11comp_targetILNS1_3genE10ELNS1_11target_archE1200ELNS1_3gpuE4ELNS1_3repE0EEENS1_30default_config_static_selectorELNS0_4arch9wavefront6targetE1EEEvT1_ ; -- Begin function _ZN7rocprim17ROCPRIM_400000_NS6detail17trampoline_kernelINS0_14default_configENS1_20scan_config_selectorIfEEZZNS1_9scan_implILNS1_25lookback_scan_determinismE0ELb1ELb1ES3_N6thrust23THRUST_200600_302600_NS6detail15normal_iteratorINS9_10device_ptrIfEEEENSB_INSC_IiEEEEfNS9_4plusIvEEfEEDaPvRmT3_T4_T5_mT6_P12ihipStream_tbENKUlT_T0_E_clISt17integral_constantIbLb1EESW_EEDaSR_SS_EUlSR_E0_NS1_11comp_targetILNS1_3genE10ELNS1_11target_archE1200ELNS1_3gpuE4ELNS1_3repE0EEENS1_30default_config_static_selectorELNS0_4arch9wavefront6targetE1EEEvT1_
	.globl	_ZN7rocprim17ROCPRIM_400000_NS6detail17trampoline_kernelINS0_14default_configENS1_20scan_config_selectorIfEEZZNS1_9scan_implILNS1_25lookback_scan_determinismE0ELb1ELb1ES3_N6thrust23THRUST_200600_302600_NS6detail15normal_iteratorINS9_10device_ptrIfEEEENSB_INSC_IiEEEEfNS9_4plusIvEEfEEDaPvRmT3_T4_T5_mT6_P12ihipStream_tbENKUlT_T0_E_clISt17integral_constantIbLb1EESW_EEDaSR_SS_EUlSR_E0_NS1_11comp_targetILNS1_3genE10ELNS1_11target_archE1200ELNS1_3gpuE4ELNS1_3repE0EEENS1_30default_config_static_selectorELNS0_4arch9wavefront6targetE1EEEvT1_
	.p2align	8
	.type	_ZN7rocprim17ROCPRIM_400000_NS6detail17trampoline_kernelINS0_14default_configENS1_20scan_config_selectorIfEEZZNS1_9scan_implILNS1_25lookback_scan_determinismE0ELb1ELb1ES3_N6thrust23THRUST_200600_302600_NS6detail15normal_iteratorINS9_10device_ptrIfEEEENSB_INSC_IiEEEEfNS9_4plusIvEEfEEDaPvRmT3_T4_T5_mT6_P12ihipStream_tbENKUlT_T0_E_clISt17integral_constantIbLb1EESW_EEDaSR_SS_EUlSR_E0_NS1_11comp_targetILNS1_3genE10ELNS1_11target_archE1200ELNS1_3gpuE4ELNS1_3repE0EEENS1_30default_config_static_selectorELNS0_4arch9wavefront6targetE1EEEvT1_,@function
_ZN7rocprim17ROCPRIM_400000_NS6detail17trampoline_kernelINS0_14default_configENS1_20scan_config_selectorIfEEZZNS1_9scan_implILNS1_25lookback_scan_determinismE0ELb1ELb1ES3_N6thrust23THRUST_200600_302600_NS6detail15normal_iteratorINS9_10device_ptrIfEEEENSB_INSC_IiEEEEfNS9_4plusIvEEfEEDaPvRmT3_T4_T5_mT6_P12ihipStream_tbENKUlT_T0_E_clISt17integral_constantIbLb1EESW_EEDaSR_SS_EUlSR_E0_NS1_11comp_targetILNS1_3genE10ELNS1_11target_archE1200ELNS1_3gpuE4ELNS1_3repE0EEENS1_30default_config_static_selectorELNS0_4arch9wavefront6targetE1EEEvT1_: ; @_ZN7rocprim17ROCPRIM_400000_NS6detail17trampoline_kernelINS0_14default_configENS1_20scan_config_selectorIfEEZZNS1_9scan_implILNS1_25lookback_scan_determinismE0ELb1ELb1ES3_N6thrust23THRUST_200600_302600_NS6detail15normal_iteratorINS9_10device_ptrIfEEEENSB_INSC_IiEEEEfNS9_4plusIvEEfEEDaPvRmT3_T4_T5_mT6_P12ihipStream_tbENKUlT_T0_E_clISt17integral_constantIbLb1EESW_EEDaSR_SS_EUlSR_E0_NS1_11comp_targetILNS1_3genE10ELNS1_11target_archE1200ELNS1_3gpuE4ELNS1_3repE0EEENS1_30default_config_static_selectorELNS0_4arch9wavefront6targetE1EEEvT1_
; %bb.0:
	.section	.rodata,"a",@progbits
	.p2align	6, 0x0
	.amdhsa_kernel _ZN7rocprim17ROCPRIM_400000_NS6detail17trampoline_kernelINS0_14default_configENS1_20scan_config_selectorIfEEZZNS1_9scan_implILNS1_25lookback_scan_determinismE0ELb1ELb1ES3_N6thrust23THRUST_200600_302600_NS6detail15normal_iteratorINS9_10device_ptrIfEEEENSB_INSC_IiEEEEfNS9_4plusIvEEfEEDaPvRmT3_T4_T5_mT6_P12ihipStream_tbENKUlT_T0_E_clISt17integral_constantIbLb1EESW_EEDaSR_SS_EUlSR_E0_NS1_11comp_targetILNS1_3genE10ELNS1_11target_archE1200ELNS1_3gpuE4ELNS1_3repE0EEENS1_30default_config_static_selectorELNS0_4arch9wavefront6targetE1EEEvT1_
		.amdhsa_group_segment_fixed_size 0
		.amdhsa_private_segment_fixed_size 0
		.amdhsa_kernarg_size 32
		.amdhsa_user_sgpr_count 6
		.amdhsa_user_sgpr_private_segment_buffer 1
		.amdhsa_user_sgpr_dispatch_ptr 0
		.amdhsa_user_sgpr_queue_ptr 0
		.amdhsa_user_sgpr_kernarg_segment_ptr 1
		.amdhsa_user_sgpr_dispatch_id 0
		.amdhsa_user_sgpr_flat_scratch_init 0
		.amdhsa_user_sgpr_kernarg_preload_length 0
		.amdhsa_user_sgpr_kernarg_preload_offset 0
		.amdhsa_user_sgpr_private_segment_size 0
		.amdhsa_uses_dynamic_stack 0
		.amdhsa_system_sgpr_private_segment_wavefront_offset 0
		.amdhsa_system_sgpr_workgroup_id_x 1
		.amdhsa_system_sgpr_workgroup_id_y 0
		.amdhsa_system_sgpr_workgroup_id_z 0
		.amdhsa_system_sgpr_workgroup_info 0
		.amdhsa_system_vgpr_workitem_id 0
		.amdhsa_next_free_vgpr 1
		.amdhsa_next_free_sgpr 0
		.amdhsa_accum_offset 4
		.amdhsa_reserve_vcc 0
		.amdhsa_reserve_flat_scratch 0
		.amdhsa_float_round_mode_32 0
		.amdhsa_float_round_mode_16_64 0
		.amdhsa_float_denorm_mode_32 3
		.amdhsa_float_denorm_mode_16_64 3
		.amdhsa_dx10_clamp 1
		.amdhsa_ieee_mode 1
		.amdhsa_fp16_overflow 0
		.amdhsa_tg_split 0
		.amdhsa_exception_fp_ieee_invalid_op 0
		.amdhsa_exception_fp_denorm_src 0
		.amdhsa_exception_fp_ieee_div_zero 0
		.amdhsa_exception_fp_ieee_overflow 0
		.amdhsa_exception_fp_ieee_underflow 0
		.amdhsa_exception_fp_ieee_inexact 0
		.amdhsa_exception_int_div_zero 0
	.end_amdhsa_kernel
	.section	.text._ZN7rocprim17ROCPRIM_400000_NS6detail17trampoline_kernelINS0_14default_configENS1_20scan_config_selectorIfEEZZNS1_9scan_implILNS1_25lookback_scan_determinismE0ELb1ELb1ES3_N6thrust23THRUST_200600_302600_NS6detail15normal_iteratorINS9_10device_ptrIfEEEENSB_INSC_IiEEEEfNS9_4plusIvEEfEEDaPvRmT3_T4_T5_mT6_P12ihipStream_tbENKUlT_T0_E_clISt17integral_constantIbLb1EESW_EEDaSR_SS_EUlSR_E0_NS1_11comp_targetILNS1_3genE10ELNS1_11target_archE1200ELNS1_3gpuE4ELNS1_3repE0EEENS1_30default_config_static_selectorELNS0_4arch9wavefront6targetE1EEEvT1_,"axG",@progbits,_ZN7rocprim17ROCPRIM_400000_NS6detail17trampoline_kernelINS0_14default_configENS1_20scan_config_selectorIfEEZZNS1_9scan_implILNS1_25lookback_scan_determinismE0ELb1ELb1ES3_N6thrust23THRUST_200600_302600_NS6detail15normal_iteratorINS9_10device_ptrIfEEEENSB_INSC_IiEEEEfNS9_4plusIvEEfEEDaPvRmT3_T4_T5_mT6_P12ihipStream_tbENKUlT_T0_E_clISt17integral_constantIbLb1EESW_EEDaSR_SS_EUlSR_E0_NS1_11comp_targetILNS1_3genE10ELNS1_11target_archE1200ELNS1_3gpuE4ELNS1_3repE0EEENS1_30default_config_static_selectorELNS0_4arch9wavefront6targetE1EEEvT1_,comdat
.Lfunc_end1602:
	.size	_ZN7rocprim17ROCPRIM_400000_NS6detail17trampoline_kernelINS0_14default_configENS1_20scan_config_selectorIfEEZZNS1_9scan_implILNS1_25lookback_scan_determinismE0ELb1ELb1ES3_N6thrust23THRUST_200600_302600_NS6detail15normal_iteratorINS9_10device_ptrIfEEEENSB_INSC_IiEEEEfNS9_4plusIvEEfEEDaPvRmT3_T4_T5_mT6_P12ihipStream_tbENKUlT_T0_E_clISt17integral_constantIbLb1EESW_EEDaSR_SS_EUlSR_E0_NS1_11comp_targetILNS1_3genE10ELNS1_11target_archE1200ELNS1_3gpuE4ELNS1_3repE0EEENS1_30default_config_static_selectorELNS0_4arch9wavefront6targetE1EEEvT1_, .Lfunc_end1602-_ZN7rocprim17ROCPRIM_400000_NS6detail17trampoline_kernelINS0_14default_configENS1_20scan_config_selectorIfEEZZNS1_9scan_implILNS1_25lookback_scan_determinismE0ELb1ELb1ES3_N6thrust23THRUST_200600_302600_NS6detail15normal_iteratorINS9_10device_ptrIfEEEENSB_INSC_IiEEEEfNS9_4plusIvEEfEEDaPvRmT3_T4_T5_mT6_P12ihipStream_tbENKUlT_T0_E_clISt17integral_constantIbLb1EESW_EEDaSR_SS_EUlSR_E0_NS1_11comp_targetILNS1_3genE10ELNS1_11target_archE1200ELNS1_3gpuE4ELNS1_3repE0EEENS1_30default_config_static_selectorELNS0_4arch9wavefront6targetE1EEEvT1_
                                        ; -- End function
	.section	.AMDGPU.csdata,"",@progbits
; Kernel info:
; codeLenInByte = 0
; NumSgprs: 4
; NumVgprs: 0
; NumAgprs: 0
; TotalNumVgprs: 0
; ScratchSize: 0
; MemoryBound: 0
; FloatMode: 240
; IeeeMode: 1
; LDSByteSize: 0 bytes/workgroup (compile time only)
; SGPRBlocks: 0
; VGPRBlocks: 0
; NumSGPRsForWavesPerEU: 4
; NumVGPRsForWavesPerEU: 1
; AccumOffset: 4
; Occupancy: 8
; WaveLimiterHint : 0
; COMPUTE_PGM_RSRC2:SCRATCH_EN: 0
; COMPUTE_PGM_RSRC2:USER_SGPR: 6
; COMPUTE_PGM_RSRC2:TRAP_HANDLER: 0
; COMPUTE_PGM_RSRC2:TGID_X_EN: 1
; COMPUTE_PGM_RSRC2:TGID_Y_EN: 0
; COMPUTE_PGM_RSRC2:TGID_Z_EN: 0
; COMPUTE_PGM_RSRC2:TIDIG_COMP_CNT: 0
; COMPUTE_PGM_RSRC3_GFX90A:ACCUM_OFFSET: 0
; COMPUTE_PGM_RSRC3_GFX90A:TG_SPLIT: 0
	.section	.text._ZN7rocprim17ROCPRIM_400000_NS6detail17trampoline_kernelINS0_14default_configENS1_20scan_config_selectorIfEEZZNS1_9scan_implILNS1_25lookback_scan_determinismE0ELb1ELb1ES3_N6thrust23THRUST_200600_302600_NS6detail15normal_iteratorINS9_10device_ptrIfEEEENSB_INSC_IiEEEEfNS9_4plusIvEEfEEDaPvRmT3_T4_T5_mT6_P12ihipStream_tbENKUlT_T0_E_clISt17integral_constantIbLb1EESW_EEDaSR_SS_EUlSR_E0_NS1_11comp_targetILNS1_3genE9ELNS1_11target_archE1100ELNS1_3gpuE3ELNS1_3repE0EEENS1_30default_config_static_selectorELNS0_4arch9wavefront6targetE1EEEvT1_,"axG",@progbits,_ZN7rocprim17ROCPRIM_400000_NS6detail17trampoline_kernelINS0_14default_configENS1_20scan_config_selectorIfEEZZNS1_9scan_implILNS1_25lookback_scan_determinismE0ELb1ELb1ES3_N6thrust23THRUST_200600_302600_NS6detail15normal_iteratorINS9_10device_ptrIfEEEENSB_INSC_IiEEEEfNS9_4plusIvEEfEEDaPvRmT3_T4_T5_mT6_P12ihipStream_tbENKUlT_T0_E_clISt17integral_constantIbLb1EESW_EEDaSR_SS_EUlSR_E0_NS1_11comp_targetILNS1_3genE9ELNS1_11target_archE1100ELNS1_3gpuE3ELNS1_3repE0EEENS1_30default_config_static_selectorELNS0_4arch9wavefront6targetE1EEEvT1_,comdat
	.protected	_ZN7rocprim17ROCPRIM_400000_NS6detail17trampoline_kernelINS0_14default_configENS1_20scan_config_selectorIfEEZZNS1_9scan_implILNS1_25lookback_scan_determinismE0ELb1ELb1ES3_N6thrust23THRUST_200600_302600_NS6detail15normal_iteratorINS9_10device_ptrIfEEEENSB_INSC_IiEEEEfNS9_4plusIvEEfEEDaPvRmT3_T4_T5_mT6_P12ihipStream_tbENKUlT_T0_E_clISt17integral_constantIbLb1EESW_EEDaSR_SS_EUlSR_E0_NS1_11comp_targetILNS1_3genE9ELNS1_11target_archE1100ELNS1_3gpuE3ELNS1_3repE0EEENS1_30default_config_static_selectorELNS0_4arch9wavefront6targetE1EEEvT1_ ; -- Begin function _ZN7rocprim17ROCPRIM_400000_NS6detail17trampoline_kernelINS0_14default_configENS1_20scan_config_selectorIfEEZZNS1_9scan_implILNS1_25lookback_scan_determinismE0ELb1ELb1ES3_N6thrust23THRUST_200600_302600_NS6detail15normal_iteratorINS9_10device_ptrIfEEEENSB_INSC_IiEEEEfNS9_4plusIvEEfEEDaPvRmT3_T4_T5_mT6_P12ihipStream_tbENKUlT_T0_E_clISt17integral_constantIbLb1EESW_EEDaSR_SS_EUlSR_E0_NS1_11comp_targetILNS1_3genE9ELNS1_11target_archE1100ELNS1_3gpuE3ELNS1_3repE0EEENS1_30default_config_static_selectorELNS0_4arch9wavefront6targetE1EEEvT1_
	.globl	_ZN7rocprim17ROCPRIM_400000_NS6detail17trampoline_kernelINS0_14default_configENS1_20scan_config_selectorIfEEZZNS1_9scan_implILNS1_25lookback_scan_determinismE0ELb1ELb1ES3_N6thrust23THRUST_200600_302600_NS6detail15normal_iteratorINS9_10device_ptrIfEEEENSB_INSC_IiEEEEfNS9_4plusIvEEfEEDaPvRmT3_T4_T5_mT6_P12ihipStream_tbENKUlT_T0_E_clISt17integral_constantIbLb1EESW_EEDaSR_SS_EUlSR_E0_NS1_11comp_targetILNS1_3genE9ELNS1_11target_archE1100ELNS1_3gpuE3ELNS1_3repE0EEENS1_30default_config_static_selectorELNS0_4arch9wavefront6targetE1EEEvT1_
	.p2align	8
	.type	_ZN7rocprim17ROCPRIM_400000_NS6detail17trampoline_kernelINS0_14default_configENS1_20scan_config_selectorIfEEZZNS1_9scan_implILNS1_25lookback_scan_determinismE0ELb1ELb1ES3_N6thrust23THRUST_200600_302600_NS6detail15normal_iteratorINS9_10device_ptrIfEEEENSB_INSC_IiEEEEfNS9_4plusIvEEfEEDaPvRmT3_T4_T5_mT6_P12ihipStream_tbENKUlT_T0_E_clISt17integral_constantIbLb1EESW_EEDaSR_SS_EUlSR_E0_NS1_11comp_targetILNS1_3genE9ELNS1_11target_archE1100ELNS1_3gpuE3ELNS1_3repE0EEENS1_30default_config_static_selectorELNS0_4arch9wavefront6targetE1EEEvT1_,@function
_ZN7rocprim17ROCPRIM_400000_NS6detail17trampoline_kernelINS0_14default_configENS1_20scan_config_selectorIfEEZZNS1_9scan_implILNS1_25lookback_scan_determinismE0ELb1ELb1ES3_N6thrust23THRUST_200600_302600_NS6detail15normal_iteratorINS9_10device_ptrIfEEEENSB_INSC_IiEEEEfNS9_4plusIvEEfEEDaPvRmT3_T4_T5_mT6_P12ihipStream_tbENKUlT_T0_E_clISt17integral_constantIbLb1EESW_EEDaSR_SS_EUlSR_E0_NS1_11comp_targetILNS1_3genE9ELNS1_11target_archE1100ELNS1_3gpuE3ELNS1_3repE0EEENS1_30default_config_static_selectorELNS0_4arch9wavefront6targetE1EEEvT1_: ; @_ZN7rocprim17ROCPRIM_400000_NS6detail17trampoline_kernelINS0_14default_configENS1_20scan_config_selectorIfEEZZNS1_9scan_implILNS1_25lookback_scan_determinismE0ELb1ELb1ES3_N6thrust23THRUST_200600_302600_NS6detail15normal_iteratorINS9_10device_ptrIfEEEENSB_INSC_IiEEEEfNS9_4plusIvEEfEEDaPvRmT3_T4_T5_mT6_P12ihipStream_tbENKUlT_T0_E_clISt17integral_constantIbLb1EESW_EEDaSR_SS_EUlSR_E0_NS1_11comp_targetILNS1_3genE9ELNS1_11target_archE1100ELNS1_3gpuE3ELNS1_3repE0EEENS1_30default_config_static_selectorELNS0_4arch9wavefront6targetE1EEEvT1_
; %bb.0:
	.section	.rodata,"a",@progbits
	.p2align	6, 0x0
	.amdhsa_kernel _ZN7rocprim17ROCPRIM_400000_NS6detail17trampoline_kernelINS0_14default_configENS1_20scan_config_selectorIfEEZZNS1_9scan_implILNS1_25lookback_scan_determinismE0ELb1ELb1ES3_N6thrust23THRUST_200600_302600_NS6detail15normal_iteratorINS9_10device_ptrIfEEEENSB_INSC_IiEEEEfNS9_4plusIvEEfEEDaPvRmT3_T4_T5_mT6_P12ihipStream_tbENKUlT_T0_E_clISt17integral_constantIbLb1EESW_EEDaSR_SS_EUlSR_E0_NS1_11comp_targetILNS1_3genE9ELNS1_11target_archE1100ELNS1_3gpuE3ELNS1_3repE0EEENS1_30default_config_static_selectorELNS0_4arch9wavefront6targetE1EEEvT1_
		.amdhsa_group_segment_fixed_size 0
		.amdhsa_private_segment_fixed_size 0
		.amdhsa_kernarg_size 32
		.amdhsa_user_sgpr_count 6
		.amdhsa_user_sgpr_private_segment_buffer 1
		.amdhsa_user_sgpr_dispatch_ptr 0
		.amdhsa_user_sgpr_queue_ptr 0
		.amdhsa_user_sgpr_kernarg_segment_ptr 1
		.amdhsa_user_sgpr_dispatch_id 0
		.amdhsa_user_sgpr_flat_scratch_init 0
		.amdhsa_user_sgpr_kernarg_preload_length 0
		.amdhsa_user_sgpr_kernarg_preload_offset 0
		.amdhsa_user_sgpr_private_segment_size 0
		.amdhsa_uses_dynamic_stack 0
		.amdhsa_system_sgpr_private_segment_wavefront_offset 0
		.amdhsa_system_sgpr_workgroup_id_x 1
		.amdhsa_system_sgpr_workgroup_id_y 0
		.amdhsa_system_sgpr_workgroup_id_z 0
		.amdhsa_system_sgpr_workgroup_info 0
		.amdhsa_system_vgpr_workitem_id 0
		.amdhsa_next_free_vgpr 1
		.amdhsa_next_free_sgpr 0
		.amdhsa_accum_offset 4
		.amdhsa_reserve_vcc 0
		.amdhsa_reserve_flat_scratch 0
		.amdhsa_float_round_mode_32 0
		.amdhsa_float_round_mode_16_64 0
		.amdhsa_float_denorm_mode_32 3
		.amdhsa_float_denorm_mode_16_64 3
		.amdhsa_dx10_clamp 1
		.amdhsa_ieee_mode 1
		.amdhsa_fp16_overflow 0
		.amdhsa_tg_split 0
		.amdhsa_exception_fp_ieee_invalid_op 0
		.amdhsa_exception_fp_denorm_src 0
		.amdhsa_exception_fp_ieee_div_zero 0
		.amdhsa_exception_fp_ieee_overflow 0
		.amdhsa_exception_fp_ieee_underflow 0
		.amdhsa_exception_fp_ieee_inexact 0
		.amdhsa_exception_int_div_zero 0
	.end_amdhsa_kernel
	.section	.text._ZN7rocprim17ROCPRIM_400000_NS6detail17trampoline_kernelINS0_14default_configENS1_20scan_config_selectorIfEEZZNS1_9scan_implILNS1_25lookback_scan_determinismE0ELb1ELb1ES3_N6thrust23THRUST_200600_302600_NS6detail15normal_iteratorINS9_10device_ptrIfEEEENSB_INSC_IiEEEEfNS9_4plusIvEEfEEDaPvRmT3_T4_T5_mT6_P12ihipStream_tbENKUlT_T0_E_clISt17integral_constantIbLb1EESW_EEDaSR_SS_EUlSR_E0_NS1_11comp_targetILNS1_3genE9ELNS1_11target_archE1100ELNS1_3gpuE3ELNS1_3repE0EEENS1_30default_config_static_selectorELNS0_4arch9wavefront6targetE1EEEvT1_,"axG",@progbits,_ZN7rocprim17ROCPRIM_400000_NS6detail17trampoline_kernelINS0_14default_configENS1_20scan_config_selectorIfEEZZNS1_9scan_implILNS1_25lookback_scan_determinismE0ELb1ELb1ES3_N6thrust23THRUST_200600_302600_NS6detail15normal_iteratorINS9_10device_ptrIfEEEENSB_INSC_IiEEEEfNS9_4plusIvEEfEEDaPvRmT3_T4_T5_mT6_P12ihipStream_tbENKUlT_T0_E_clISt17integral_constantIbLb1EESW_EEDaSR_SS_EUlSR_E0_NS1_11comp_targetILNS1_3genE9ELNS1_11target_archE1100ELNS1_3gpuE3ELNS1_3repE0EEENS1_30default_config_static_selectorELNS0_4arch9wavefront6targetE1EEEvT1_,comdat
.Lfunc_end1603:
	.size	_ZN7rocprim17ROCPRIM_400000_NS6detail17trampoline_kernelINS0_14default_configENS1_20scan_config_selectorIfEEZZNS1_9scan_implILNS1_25lookback_scan_determinismE0ELb1ELb1ES3_N6thrust23THRUST_200600_302600_NS6detail15normal_iteratorINS9_10device_ptrIfEEEENSB_INSC_IiEEEEfNS9_4plusIvEEfEEDaPvRmT3_T4_T5_mT6_P12ihipStream_tbENKUlT_T0_E_clISt17integral_constantIbLb1EESW_EEDaSR_SS_EUlSR_E0_NS1_11comp_targetILNS1_3genE9ELNS1_11target_archE1100ELNS1_3gpuE3ELNS1_3repE0EEENS1_30default_config_static_selectorELNS0_4arch9wavefront6targetE1EEEvT1_, .Lfunc_end1603-_ZN7rocprim17ROCPRIM_400000_NS6detail17trampoline_kernelINS0_14default_configENS1_20scan_config_selectorIfEEZZNS1_9scan_implILNS1_25lookback_scan_determinismE0ELb1ELb1ES3_N6thrust23THRUST_200600_302600_NS6detail15normal_iteratorINS9_10device_ptrIfEEEENSB_INSC_IiEEEEfNS9_4plusIvEEfEEDaPvRmT3_T4_T5_mT6_P12ihipStream_tbENKUlT_T0_E_clISt17integral_constantIbLb1EESW_EEDaSR_SS_EUlSR_E0_NS1_11comp_targetILNS1_3genE9ELNS1_11target_archE1100ELNS1_3gpuE3ELNS1_3repE0EEENS1_30default_config_static_selectorELNS0_4arch9wavefront6targetE1EEEvT1_
                                        ; -- End function
	.section	.AMDGPU.csdata,"",@progbits
; Kernel info:
; codeLenInByte = 0
; NumSgprs: 4
; NumVgprs: 0
; NumAgprs: 0
; TotalNumVgprs: 0
; ScratchSize: 0
; MemoryBound: 0
; FloatMode: 240
; IeeeMode: 1
; LDSByteSize: 0 bytes/workgroup (compile time only)
; SGPRBlocks: 0
; VGPRBlocks: 0
; NumSGPRsForWavesPerEU: 4
; NumVGPRsForWavesPerEU: 1
; AccumOffset: 4
; Occupancy: 8
; WaveLimiterHint : 0
; COMPUTE_PGM_RSRC2:SCRATCH_EN: 0
; COMPUTE_PGM_RSRC2:USER_SGPR: 6
; COMPUTE_PGM_RSRC2:TRAP_HANDLER: 0
; COMPUTE_PGM_RSRC2:TGID_X_EN: 1
; COMPUTE_PGM_RSRC2:TGID_Y_EN: 0
; COMPUTE_PGM_RSRC2:TGID_Z_EN: 0
; COMPUTE_PGM_RSRC2:TIDIG_COMP_CNT: 0
; COMPUTE_PGM_RSRC3_GFX90A:ACCUM_OFFSET: 0
; COMPUTE_PGM_RSRC3_GFX90A:TG_SPLIT: 0
	.section	.text._ZN7rocprim17ROCPRIM_400000_NS6detail17trampoline_kernelINS0_14default_configENS1_20scan_config_selectorIfEEZZNS1_9scan_implILNS1_25lookback_scan_determinismE0ELb1ELb1ES3_N6thrust23THRUST_200600_302600_NS6detail15normal_iteratorINS9_10device_ptrIfEEEENSB_INSC_IiEEEEfNS9_4plusIvEEfEEDaPvRmT3_T4_T5_mT6_P12ihipStream_tbENKUlT_T0_E_clISt17integral_constantIbLb1EESW_EEDaSR_SS_EUlSR_E0_NS1_11comp_targetILNS1_3genE8ELNS1_11target_archE1030ELNS1_3gpuE2ELNS1_3repE0EEENS1_30default_config_static_selectorELNS0_4arch9wavefront6targetE1EEEvT1_,"axG",@progbits,_ZN7rocprim17ROCPRIM_400000_NS6detail17trampoline_kernelINS0_14default_configENS1_20scan_config_selectorIfEEZZNS1_9scan_implILNS1_25lookback_scan_determinismE0ELb1ELb1ES3_N6thrust23THRUST_200600_302600_NS6detail15normal_iteratorINS9_10device_ptrIfEEEENSB_INSC_IiEEEEfNS9_4plusIvEEfEEDaPvRmT3_T4_T5_mT6_P12ihipStream_tbENKUlT_T0_E_clISt17integral_constantIbLb1EESW_EEDaSR_SS_EUlSR_E0_NS1_11comp_targetILNS1_3genE8ELNS1_11target_archE1030ELNS1_3gpuE2ELNS1_3repE0EEENS1_30default_config_static_selectorELNS0_4arch9wavefront6targetE1EEEvT1_,comdat
	.protected	_ZN7rocprim17ROCPRIM_400000_NS6detail17trampoline_kernelINS0_14default_configENS1_20scan_config_selectorIfEEZZNS1_9scan_implILNS1_25lookback_scan_determinismE0ELb1ELb1ES3_N6thrust23THRUST_200600_302600_NS6detail15normal_iteratorINS9_10device_ptrIfEEEENSB_INSC_IiEEEEfNS9_4plusIvEEfEEDaPvRmT3_T4_T5_mT6_P12ihipStream_tbENKUlT_T0_E_clISt17integral_constantIbLb1EESW_EEDaSR_SS_EUlSR_E0_NS1_11comp_targetILNS1_3genE8ELNS1_11target_archE1030ELNS1_3gpuE2ELNS1_3repE0EEENS1_30default_config_static_selectorELNS0_4arch9wavefront6targetE1EEEvT1_ ; -- Begin function _ZN7rocprim17ROCPRIM_400000_NS6detail17trampoline_kernelINS0_14default_configENS1_20scan_config_selectorIfEEZZNS1_9scan_implILNS1_25lookback_scan_determinismE0ELb1ELb1ES3_N6thrust23THRUST_200600_302600_NS6detail15normal_iteratorINS9_10device_ptrIfEEEENSB_INSC_IiEEEEfNS9_4plusIvEEfEEDaPvRmT3_T4_T5_mT6_P12ihipStream_tbENKUlT_T0_E_clISt17integral_constantIbLb1EESW_EEDaSR_SS_EUlSR_E0_NS1_11comp_targetILNS1_3genE8ELNS1_11target_archE1030ELNS1_3gpuE2ELNS1_3repE0EEENS1_30default_config_static_selectorELNS0_4arch9wavefront6targetE1EEEvT1_
	.globl	_ZN7rocprim17ROCPRIM_400000_NS6detail17trampoline_kernelINS0_14default_configENS1_20scan_config_selectorIfEEZZNS1_9scan_implILNS1_25lookback_scan_determinismE0ELb1ELb1ES3_N6thrust23THRUST_200600_302600_NS6detail15normal_iteratorINS9_10device_ptrIfEEEENSB_INSC_IiEEEEfNS9_4plusIvEEfEEDaPvRmT3_T4_T5_mT6_P12ihipStream_tbENKUlT_T0_E_clISt17integral_constantIbLb1EESW_EEDaSR_SS_EUlSR_E0_NS1_11comp_targetILNS1_3genE8ELNS1_11target_archE1030ELNS1_3gpuE2ELNS1_3repE0EEENS1_30default_config_static_selectorELNS0_4arch9wavefront6targetE1EEEvT1_
	.p2align	8
	.type	_ZN7rocprim17ROCPRIM_400000_NS6detail17trampoline_kernelINS0_14default_configENS1_20scan_config_selectorIfEEZZNS1_9scan_implILNS1_25lookback_scan_determinismE0ELb1ELb1ES3_N6thrust23THRUST_200600_302600_NS6detail15normal_iteratorINS9_10device_ptrIfEEEENSB_INSC_IiEEEEfNS9_4plusIvEEfEEDaPvRmT3_T4_T5_mT6_P12ihipStream_tbENKUlT_T0_E_clISt17integral_constantIbLb1EESW_EEDaSR_SS_EUlSR_E0_NS1_11comp_targetILNS1_3genE8ELNS1_11target_archE1030ELNS1_3gpuE2ELNS1_3repE0EEENS1_30default_config_static_selectorELNS0_4arch9wavefront6targetE1EEEvT1_,@function
_ZN7rocprim17ROCPRIM_400000_NS6detail17trampoline_kernelINS0_14default_configENS1_20scan_config_selectorIfEEZZNS1_9scan_implILNS1_25lookback_scan_determinismE0ELb1ELb1ES3_N6thrust23THRUST_200600_302600_NS6detail15normal_iteratorINS9_10device_ptrIfEEEENSB_INSC_IiEEEEfNS9_4plusIvEEfEEDaPvRmT3_T4_T5_mT6_P12ihipStream_tbENKUlT_T0_E_clISt17integral_constantIbLb1EESW_EEDaSR_SS_EUlSR_E0_NS1_11comp_targetILNS1_3genE8ELNS1_11target_archE1030ELNS1_3gpuE2ELNS1_3repE0EEENS1_30default_config_static_selectorELNS0_4arch9wavefront6targetE1EEEvT1_: ; @_ZN7rocprim17ROCPRIM_400000_NS6detail17trampoline_kernelINS0_14default_configENS1_20scan_config_selectorIfEEZZNS1_9scan_implILNS1_25lookback_scan_determinismE0ELb1ELb1ES3_N6thrust23THRUST_200600_302600_NS6detail15normal_iteratorINS9_10device_ptrIfEEEENSB_INSC_IiEEEEfNS9_4plusIvEEfEEDaPvRmT3_T4_T5_mT6_P12ihipStream_tbENKUlT_T0_E_clISt17integral_constantIbLb1EESW_EEDaSR_SS_EUlSR_E0_NS1_11comp_targetILNS1_3genE8ELNS1_11target_archE1030ELNS1_3gpuE2ELNS1_3repE0EEENS1_30default_config_static_selectorELNS0_4arch9wavefront6targetE1EEEvT1_
; %bb.0:
	.section	.rodata,"a",@progbits
	.p2align	6, 0x0
	.amdhsa_kernel _ZN7rocprim17ROCPRIM_400000_NS6detail17trampoline_kernelINS0_14default_configENS1_20scan_config_selectorIfEEZZNS1_9scan_implILNS1_25lookback_scan_determinismE0ELb1ELb1ES3_N6thrust23THRUST_200600_302600_NS6detail15normal_iteratorINS9_10device_ptrIfEEEENSB_INSC_IiEEEEfNS9_4plusIvEEfEEDaPvRmT3_T4_T5_mT6_P12ihipStream_tbENKUlT_T0_E_clISt17integral_constantIbLb1EESW_EEDaSR_SS_EUlSR_E0_NS1_11comp_targetILNS1_3genE8ELNS1_11target_archE1030ELNS1_3gpuE2ELNS1_3repE0EEENS1_30default_config_static_selectorELNS0_4arch9wavefront6targetE1EEEvT1_
		.amdhsa_group_segment_fixed_size 0
		.amdhsa_private_segment_fixed_size 0
		.amdhsa_kernarg_size 32
		.amdhsa_user_sgpr_count 6
		.amdhsa_user_sgpr_private_segment_buffer 1
		.amdhsa_user_sgpr_dispatch_ptr 0
		.amdhsa_user_sgpr_queue_ptr 0
		.amdhsa_user_sgpr_kernarg_segment_ptr 1
		.amdhsa_user_sgpr_dispatch_id 0
		.amdhsa_user_sgpr_flat_scratch_init 0
		.amdhsa_user_sgpr_kernarg_preload_length 0
		.amdhsa_user_sgpr_kernarg_preload_offset 0
		.amdhsa_user_sgpr_private_segment_size 0
		.amdhsa_uses_dynamic_stack 0
		.amdhsa_system_sgpr_private_segment_wavefront_offset 0
		.amdhsa_system_sgpr_workgroup_id_x 1
		.amdhsa_system_sgpr_workgroup_id_y 0
		.amdhsa_system_sgpr_workgroup_id_z 0
		.amdhsa_system_sgpr_workgroup_info 0
		.amdhsa_system_vgpr_workitem_id 0
		.amdhsa_next_free_vgpr 1
		.amdhsa_next_free_sgpr 0
		.amdhsa_accum_offset 4
		.amdhsa_reserve_vcc 0
		.amdhsa_reserve_flat_scratch 0
		.amdhsa_float_round_mode_32 0
		.amdhsa_float_round_mode_16_64 0
		.amdhsa_float_denorm_mode_32 3
		.amdhsa_float_denorm_mode_16_64 3
		.amdhsa_dx10_clamp 1
		.amdhsa_ieee_mode 1
		.amdhsa_fp16_overflow 0
		.amdhsa_tg_split 0
		.amdhsa_exception_fp_ieee_invalid_op 0
		.amdhsa_exception_fp_denorm_src 0
		.amdhsa_exception_fp_ieee_div_zero 0
		.amdhsa_exception_fp_ieee_overflow 0
		.amdhsa_exception_fp_ieee_underflow 0
		.amdhsa_exception_fp_ieee_inexact 0
		.amdhsa_exception_int_div_zero 0
	.end_amdhsa_kernel
	.section	.text._ZN7rocprim17ROCPRIM_400000_NS6detail17trampoline_kernelINS0_14default_configENS1_20scan_config_selectorIfEEZZNS1_9scan_implILNS1_25lookback_scan_determinismE0ELb1ELb1ES3_N6thrust23THRUST_200600_302600_NS6detail15normal_iteratorINS9_10device_ptrIfEEEENSB_INSC_IiEEEEfNS9_4plusIvEEfEEDaPvRmT3_T4_T5_mT6_P12ihipStream_tbENKUlT_T0_E_clISt17integral_constantIbLb1EESW_EEDaSR_SS_EUlSR_E0_NS1_11comp_targetILNS1_3genE8ELNS1_11target_archE1030ELNS1_3gpuE2ELNS1_3repE0EEENS1_30default_config_static_selectorELNS0_4arch9wavefront6targetE1EEEvT1_,"axG",@progbits,_ZN7rocprim17ROCPRIM_400000_NS6detail17trampoline_kernelINS0_14default_configENS1_20scan_config_selectorIfEEZZNS1_9scan_implILNS1_25lookback_scan_determinismE0ELb1ELb1ES3_N6thrust23THRUST_200600_302600_NS6detail15normal_iteratorINS9_10device_ptrIfEEEENSB_INSC_IiEEEEfNS9_4plusIvEEfEEDaPvRmT3_T4_T5_mT6_P12ihipStream_tbENKUlT_T0_E_clISt17integral_constantIbLb1EESW_EEDaSR_SS_EUlSR_E0_NS1_11comp_targetILNS1_3genE8ELNS1_11target_archE1030ELNS1_3gpuE2ELNS1_3repE0EEENS1_30default_config_static_selectorELNS0_4arch9wavefront6targetE1EEEvT1_,comdat
.Lfunc_end1604:
	.size	_ZN7rocprim17ROCPRIM_400000_NS6detail17trampoline_kernelINS0_14default_configENS1_20scan_config_selectorIfEEZZNS1_9scan_implILNS1_25lookback_scan_determinismE0ELb1ELb1ES3_N6thrust23THRUST_200600_302600_NS6detail15normal_iteratorINS9_10device_ptrIfEEEENSB_INSC_IiEEEEfNS9_4plusIvEEfEEDaPvRmT3_T4_T5_mT6_P12ihipStream_tbENKUlT_T0_E_clISt17integral_constantIbLb1EESW_EEDaSR_SS_EUlSR_E0_NS1_11comp_targetILNS1_3genE8ELNS1_11target_archE1030ELNS1_3gpuE2ELNS1_3repE0EEENS1_30default_config_static_selectorELNS0_4arch9wavefront6targetE1EEEvT1_, .Lfunc_end1604-_ZN7rocprim17ROCPRIM_400000_NS6detail17trampoline_kernelINS0_14default_configENS1_20scan_config_selectorIfEEZZNS1_9scan_implILNS1_25lookback_scan_determinismE0ELb1ELb1ES3_N6thrust23THRUST_200600_302600_NS6detail15normal_iteratorINS9_10device_ptrIfEEEENSB_INSC_IiEEEEfNS9_4plusIvEEfEEDaPvRmT3_T4_T5_mT6_P12ihipStream_tbENKUlT_T0_E_clISt17integral_constantIbLb1EESW_EEDaSR_SS_EUlSR_E0_NS1_11comp_targetILNS1_3genE8ELNS1_11target_archE1030ELNS1_3gpuE2ELNS1_3repE0EEENS1_30default_config_static_selectorELNS0_4arch9wavefront6targetE1EEEvT1_
                                        ; -- End function
	.section	.AMDGPU.csdata,"",@progbits
; Kernel info:
; codeLenInByte = 0
; NumSgprs: 4
; NumVgprs: 0
; NumAgprs: 0
; TotalNumVgprs: 0
; ScratchSize: 0
; MemoryBound: 0
; FloatMode: 240
; IeeeMode: 1
; LDSByteSize: 0 bytes/workgroup (compile time only)
; SGPRBlocks: 0
; VGPRBlocks: 0
; NumSGPRsForWavesPerEU: 4
; NumVGPRsForWavesPerEU: 1
; AccumOffset: 4
; Occupancy: 8
; WaveLimiterHint : 0
; COMPUTE_PGM_RSRC2:SCRATCH_EN: 0
; COMPUTE_PGM_RSRC2:USER_SGPR: 6
; COMPUTE_PGM_RSRC2:TRAP_HANDLER: 0
; COMPUTE_PGM_RSRC2:TGID_X_EN: 1
; COMPUTE_PGM_RSRC2:TGID_Y_EN: 0
; COMPUTE_PGM_RSRC2:TGID_Z_EN: 0
; COMPUTE_PGM_RSRC2:TIDIG_COMP_CNT: 0
; COMPUTE_PGM_RSRC3_GFX90A:ACCUM_OFFSET: 0
; COMPUTE_PGM_RSRC3_GFX90A:TG_SPLIT: 0
	.section	.text._ZN7rocprim17ROCPRIM_400000_NS6detail17trampoline_kernelINS0_14default_configENS1_20scan_config_selectorIfEEZZNS1_9scan_implILNS1_25lookback_scan_determinismE0ELb1ELb1ES3_N6thrust23THRUST_200600_302600_NS6detail15normal_iteratorINS9_10device_ptrIfEEEENSB_INSC_IiEEEEfNS9_4plusIvEEfEEDaPvRmT3_T4_T5_mT6_P12ihipStream_tbENKUlT_T0_E_clISt17integral_constantIbLb1EESV_IbLb0EEEEDaSR_SS_EUlSR_E_NS1_11comp_targetILNS1_3genE0ELNS1_11target_archE4294967295ELNS1_3gpuE0ELNS1_3repE0EEENS1_30default_config_static_selectorELNS0_4arch9wavefront6targetE1EEEvT1_,"axG",@progbits,_ZN7rocprim17ROCPRIM_400000_NS6detail17trampoline_kernelINS0_14default_configENS1_20scan_config_selectorIfEEZZNS1_9scan_implILNS1_25lookback_scan_determinismE0ELb1ELb1ES3_N6thrust23THRUST_200600_302600_NS6detail15normal_iteratorINS9_10device_ptrIfEEEENSB_INSC_IiEEEEfNS9_4plusIvEEfEEDaPvRmT3_T4_T5_mT6_P12ihipStream_tbENKUlT_T0_E_clISt17integral_constantIbLb1EESV_IbLb0EEEEDaSR_SS_EUlSR_E_NS1_11comp_targetILNS1_3genE0ELNS1_11target_archE4294967295ELNS1_3gpuE0ELNS1_3repE0EEENS1_30default_config_static_selectorELNS0_4arch9wavefront6targetE1EEEvT1_,comdat
	.protected	_ZN7rocprim17ROCPRIM_400000_NS6detail17trampoline_kernelINS0_14default_configENS1_20scan_config_selectorIfEEZZNS1_9scan_implILNS1_25lookback_scan_determinismE0ELb1ELb1ES3_N6thrust23THRUST_200600_302600_NS6detail15normal_iteratorINS9_10device_ptrIfEEEENSB_INSC_IiEEEEfNS9_4plusIvEEfEEDaPvRmT3_T4_T5_mT6_P12ihipStream_tbENKUlT_T0_E_clISt17integral_constantIbLb1EESV_IbLb0EEEEDaSR_SS_EUlSR_E_NS1_11comp_targetILNS1_3genE0ELNS1_11target_archE4294967295ELNS1_3gpuE0ELNS1_3repE0EEENS1_30default_config_static_selectorELNS0_4arch9wavefront6targetE1EEEvT1_ ; -- Begin function _ZN7rocprim17ROCPRIM_400000_NS6detail17trampoline_kernelINS0_14default_configENS1_20scan_config_selectorIfEEZZNS1_9scan_implILNS1_25lookback_scan_determinismE0ELb1ELb1ES3_N6thrust23THRUST_200600_302600_NS6detail15normal_iteratorINS9_10device_ptrIfEEEENSB_INSC_IiEEEEfNS9_4plusIvEEfEEDaPvRmT3_T4_T5_mT6_P12ihipStream_tbENKUlT_T0_E_clISt17integral_constantIbLb1EESV_IbLb0EEEEDaSR_SS_EUlSR_E_NS1_11comp_targetILNS1_3genE0ELNS1_11target_archE4294967295ELNS1_3gpuE0ELNS1_3repE0EEENS1_30default_config_static_selectorELNS0_4arch9wavefront6targetE1EEEvT1_
	.globl	_ZN7rocprim17ROCPRIM_400000_NS6detail17trampoline_kernelINS0_14default_configENS1_20scan_config_selectorIfEEZZNS1_9scan_implILNS1_25lookback_scan_determinismE0ELb1ELb1ES3_N6thrust23THRUST_200600_302600_NS6detail15normal_iteratorINS9_10device_ptrIfEEEENSB_INSC_IiEEEEfNS9_4plusIvEEfEEDaPvRmT3_T4_T5_mT6_P12ihipStream_tbENKUlT_T0_E_clISt17integral_constantIbLb1EESV_IbLb0EEEEDaSR_SS_EUlSR_E_NS1_11comp_targetILNS1_3genE0ELNS1_11target_archE4294967295ELNS1_3gpuE0ELNS1_3repE0EEENS1_30default_config_static_selectorELNS0_4arch9wavefront6targetE1EEEvT1_
	.p2align	8
	.type	_ZN7rocprim17ROCPRIM_400000_NS6detail17trampoline_kernelINS0_14default_configENS1_20scan_config_selectorIfEEZZNS1_9scan_implILNS1_25lookback_scan_determinismE0ELb1ELb1ES3_N6thrust23THRUST_200600_302600_NS6detail15normal_iteratorINS9_10device_ptrIfEEEENSB_INSC_IiEEEEfNS9_4plusIvEEfEEDaPvRmT3_T4_T5_mT6_P12ihipStream_tbENKUlT_T0_E_clISt17integral_constantIbLb1EESV_IbLb0EEEEDaSR_SS_EUlSR_E_NS1_11comp_targetILNS1_3genE0ELNS1_11target_archE4294967295ELNS1_3gpuE0ELNS1_3repE0EEENS1_30default_config_static_selectorELNS0_4arch9wavefront6targetE1EEEvT1_,@function
_ZN7rocprim17ROCPRIM_400000_NS6detail17trampoline_kernelINS0_14default_configENS1_20scan_config_selectorIfEEZZNS1_9scan_implILNS1_25lookback_scan_determinismE0ELb1ELb1ES3_N6thrust23THRUST_200600_302600_NS6detail15normal_iteratorINS9_10device_ptrIfEEEENSB_INSC_IiEEEEfNS9_4plusIvEEfEEDaPvRmT3_T4_T5_mT6_P12ihipStream_tbENKUlT_T0_E_clISt17integral_constantIbLb1EESV_IbLb0EEEEDaSR_SS_EUlSR_E_NS1_11comp_targetILNS1_3genE0ELNS1_11target_archE4294967295ELNS1_3gpuE0ELNS1_3repE0EEENS1_30default_config_static_selectorELNS0_4arch9wavefront6targetE1EEEvT1_: ; @_ZN7rocprim17ROCPRIM_400000_NS6detail17trampoline_kernelINS0_14default_configENS1_20scan_config_selectorIfEEZZNS1_9scan_implILNS1_25lookback_scan_determinismE0ELb1ELb1ES3_N6thrust23THRUST_200600_302600_NS6detail15normal_iteratorINS9_10device_ptrIfEEEENSB_INSC_IiEEEEfNS9_4plusIvEEfEEDaPvRmT3_T4_T5_mT6_P12ihipStream_tbENKUlT_T0_E_clISt17integral_constantIbLb1EESV_IbLb0EEEEDaSR_SS_EUlSR_E_NS1_11comp_targetILNS1_3genE0ELNS1_11target_archE4294967295ELNS1_3gpuE0ELNS1_3repE0EEENS1_30default_config_static_selectorELNS0_4arch9wavefront6targetE1EEEvT1_
; %bb.0:
	.section	.rodata,"a",@progbits
	.p2align	6, 0x0
	.amdhsa_kernel _ZN7rocprim17ROCPRIM_400000_NS6detail17trampoline_kernelINS0_14default_configENS1_20scan_config_selectorIfEEZZNS1_9scan_implILNS1_25lookback_scan_determinismE0ELb1ELb1ES3_N6thrust23THRUST_200600_302600_NS6detail15normal_iteratorINS9_10device_ptrIfEEEENSB_INSC_IiEEEEfNS9_4plusIvEEfEEDaPvRmT3_T4_T5_mT6_P12ihipStream_tbENKUlT_T0_E_clISt17integral_constantIbLb1EESV_IbLb0EEEEDaSR_SS_EUlSR_E_NS1_11comp_targetILNS1_3genE0ELNS1_11target_archE4294967295ELNS1_3gpuE0ELNS1_3repE0EEENS1_30default_config_static_selectorELNS0_4arch9wavefront6targetE1EEEvT1_
		.amdhsa_group_segment_fixed_size 0
		.amdhsa_private_segment_fixed_size 0
		.amdhsa_kernarg_size 96
		.amdhsa_user_sgpr_count 6
		.amdhsa_user_sgpr_private_segment_buffer 1
		.amdhsa_user_sgpr_dispatch_ptr 0
		.amdhsa_user_sgpr_queue_ptr 0
		.amdhsa_user_sgpr_kernarg_segment_ptr 1
		.amdhsa_user_sgpr_dispatch_id 0
		.amdhsa_user_sgpr_flat_scratch_init 0
		.amdhsa_user_sgpr_kernarg_preload_length 0
		.amdhsa_user_sgpr_kernarg_preload_offset 0
		.amdhsa_user_sgpr_private_segment_size 0
		.amdhsa_uses_dynamic_stack 0
		.amdhsa_system_sgpr_private_segment_wavefront_offset 0
		.amdhsa_system_sgpr_workgroup_id_x 1
		.amdhsa_system_sgpr_workgroup_id_y 0
		.amdhsa_system_sgpr_workgroup_id_z 0
		.amdhsa_system_sgpr_workgroup_info 0
		.amdhsa_system_vgpr_workitem_id 0
		.amdhsa_next_free_vgpr 1
		.amdhsa_next_free_sgpr 0
		.amdhsa_accum_offset 4
		.amdhsa_reserve_vcc 0
		.amdhsa_reserve_flat_scratch 0
		.amdhsa_float_round_mode_32 0
		.amdhsa_float_round_mode_16_64 0
		.amdhsa_float_denorm_mode_32 3
		.amdhsa_float_denorm_mode_16_64 3
		.amdhsa_dx10_clamp 1
		.amdhsa_ieee_mode 1
		.amdhsa_fp16_overflow 0
		.amdhsa_tg_split 0
		.amdhsa_exception_fp_ieee_invalid_op 0
		.amdhsa_exception_fp_denorm_src 0
		.amdhsa_exception_fp_ieee_div_zero 0
		.amdhsa_exception_fp_ieee_overflow 0
		.amdhsa_exception_fp_ieee_underflow 0
		.amdhsa_exception_fp_ieee_inexact 0
		.amdhsa_exception_int_div_zero 0
	.end_amdhsa_kernel
	.section	.text._ZN7rocprim17ROCPRIM_400000_NS6detail17trampoline_kernelINS0_14default_configENS1_20scan_config_selectorIfEEZZNS1_9scan_implILNS1_25lookback_scan_determinismE0ELb1ELb1ES3_N6thrust23THRUST_200600_302600_NS6detail15normal_iteratorINS9_10device_ptrIfEEEENSB_INSC_IiEEEEfNS9_4plusIvEEfEEDaPvRmT3_T4_T5_mT6_P12ihipStream_tbENKUlT_T0_E_clISt17integral_constantIbLb1EESV_IbLb0EEEEDaSR_SS_EUlSR_E_NS1_11comp_targetILNS1_3genE0ELNS1_11target_archE4294967295ELNS1_3gpuE0ELNS1_3repE0EEENS1_30default_config_static_selectorELNS0_4arch9wavefront6targetE1EEEvT1_,"axG",@progbits,_ZN7rocprim17ROCPRIM_400000_NS6detail17trampoline_kernelINS0_14default_configENS1_20scan_config_selectorIfEEZZNS1_9scan_implILNS1_25lookback_scan_determinismE0ELb1ELb1ES3_N6thrust23THRUST_200600_302600_NS6detail15normal_iteratorINS9_10device_ptrIfEEEENSB_INSC_IiEEEEfNS9_4plusIvEEfEEDaPvRmT3_T4_T5_mT6_P12ihipStream_tbENKUlT_T0_E_clISt17integral_constantIbLb1EESV_IbLb0EEEEDaSR_SS_EUlSR_E_NS1_11comp_targetILNS1_3genE0ELNS1_11target_archE4294967295ELNS1_3gpuE0ELNS1_3repE0EEENS1_30default_config_static_selectorELNS0_4arch9wavefront6targetE1EEEvT1_,comdat
.Lfunc_end1605:
	.size	_ZN7rocprim17ROCPRIM_400000_NS6detail17trampoline_kernelINS0_14default_configENS1_20scan_config_selectorIfEEZZNS1_9scan_implILNS1_25lookback_scan_determinismE0ELb1ELb1ES3_N6thrust23THRUST_200600_302600_NS6detail15normal_iteratorINS9_10device_ptrIfEEEENSB_INSC_IiEEEEfNS9_4plusIvEEfEEDaPvRmT3_T4_T5_mT6_P12ihipStream_tbENKUlT_T0_E_clISt17integral_constantIbLb1EESV_IbLb0EEEEDaSR_SS_EUlSR_E_NS1_11comp_targetILNS1_3genE0ELNS1_11target_archE4294967295ELNS1_3gpuE0ELNS1_3repE0EEENS1_30default_config_static_selectorELNS0_4arch9wavefront6targetE1EEEvT1_, .Lfunc_end1605-_ZN7rocprim17ROCPRIM_400000_NS6detail17trampoline_kernelINS0_14default_configENS1_20scan_config_selectorIfEEZZNS1_9scan_implILNS1_25lookback_scan_determinismE0ELb1ELb1ES3_N6thrust23THRUST_200600_302600_NS6detail15normal_iteratorINS9_10device_ptrIfEEEENSB_INSC_IiEEEEfNS9_4plusIvEEfEEDaPvRmT3_T4_T5_mT6_P12ihipStream_tbENKUlT_T0_E_clISt17integral_constantIbLb1EESV_IbLb0EEEEDaSR_SS_EUlSR_E_NS1_11comp_targetILNS1_3genE0ELNS1_11target_archE4294967295ELNS1_3gpuE0ELNS1_3repE0EEENS1_30default_config_static_selectorELNS0_4arch9wavefront6targetE1EEEvT1_
                                        ; -- End function
	.section	.AMDGPU.csdata,"",@progbits
; Kernel info:
; codeLenInByte = 0
; NumSgprs: 4
; NumVgprs: 0
; NumAgprs: 0
; TotalNumVgprs: 0
; ScratchSize: 0
; MemoryBound: 0
; FloatMode: 240
; IeeeMode: 1
; LDSByteSize: 0 bytes/workgroup (compile time only)
; SGPRBlocks: 0
; VGPRBlocks: 0
; NumSGPRsForWavesPerEU: 4
; NumVGPRsForWavesPerEU: 1
; AccumOffset: 4
; Occupancy: 8
; WaveLimiterHint : 0
; COMPUTE_PGM_RSRC2:SCRATCH_EN: 0
; COMPUTE_PGM_RSRC2:USER_SGPR: 6
; COMPUTE_PGM_RSRC2:TRAP_HANDLER: 0
; COMPUTE_PGM_RSRC2:TGID_X_EN: 1
; COMPUTE_PGM_RSRC2:TGID_Y_EN: 0
; COMPUTE_PGM_RSRC2:TGID_Z_EN: 0
; COMPUTE_PGM_RSRC2:TIDIG_COMP_CNT: 0
; COMPUTE_PGM_RSRC3_GFX90A:ACCUM_OFFSET: 0
; COMPUTE_PGM_RSRC3_GFX90A:TG_SPLIT: 0
	.section	.text._ZN7rocprim17ROCPRIM_400000_NS6detail17trampoline_kernelINS0_14default_configENS1_20scan_config_selectorIfEEZZNS1_9scan_implILNS1_25lookback_scan_determinismE0ELb1ELb1ES3_N6thrust23THRUST_200600_302600_NS6detail15normal_iteratorINS9_10device_ptrIfEEEENSB_INSC_IiEEEEfNS9_4plusIvEEfEEDaPvRmT3_T4_T5_mT6_P12ihipStream_tbENKUlT_T0_E_clISt17integral_constantIbLb1EESV_IbLb0EEEEDaSR_SS_EUlSR_E_NS1_11comp_targetILNS1_3genE5ELNS1_11target_archE942ELNS1_3gpuE9ELNS1_3repE0EEENS1_30default_config_static_selectorELNS0_4arch9wavefront6targetE1EEEvT1_,"axG",@progbits,_ZN7rocprim17ROCPRIM_400000_NS6detail17trampoline_kernelINS0_14default_configENS1_20scan_config_selectorIfEEZZNS1_9scan_implILNS1_25lookback_scan_determinismE0ELb1ELb1ES3_N6thrust23THRUST_200600_302600_NS6detail15normal_iteratorINS9_10device_ptrIfEEEENSB_INSC_IiEEEEfNS9_4plusIvEEfEEDaPvRmT3_T4_T5_mT6_P12ihipStream_tbENKUlT_T0_E_clISt17integral_constantIbLb1EESV_IbLb0EEEEDaSR_SS_EUlSR_E_NS1_11comp_targetILNS1_3genE5ELNS1_11target_archE942ELNS1_3gpuE9ELNS1_3repE0EEENS1_30default_config_static_selectorELNS0_4arch9wavefront6targetE1EEEvT1_,comdat
	.protected	_ZN7rocprim17ROCPRIM_400000_NS6detail17trampoline_kernelINS0_14default_configENS1_20scan_config_selectorIfEEZZNS1_9scan_implILNS1_25lookback_scan_determinismE0ELb1ELb1ES3_N6thrust23THRUST_200600_302600_NS6detail15normal_iteratorINS9_10device_ptrIfEEEENSB_INSC_IiEEEEfNS9_4plusIvEEfEEDaPvRmT3_T4_T5_mT6_P12ihipStream_tbENKUlT_T0_E_clISt17integral_constantIbLb1EESV_IbLb0EEEEDaSR_SS_EUlSR_E_NS1_11comp_targetILNS1_3genE5ELNS1_11target_archE942ELNS1_3gpuE9ELNS1_3repE0EEENS1_30default_config_static_selectorELNS0_4arch9wavefront6targetE1EEEvT1_ ; -- Begin function _ZN7rocprim17ROCPRIM_400000_NS6detail17trampoline_kernelINS0_14default_configENS1_20scan_config_selectorIfEEZZNS1_9scan_implILNS1_25lookback_scan_determinismE0ELb1ELb1ES3_N6thrust23THRUST_200600_302600_NS6detail15normal_iteratorINS9_10device_ptrIfEEEENSB_INSC_IiEEEEfNS9_4plusIvEEfEEDaPvRmT3_T4_T5_mT6_P12ihipStream_tbENKUlT_T0_E_clISt17integral_constantIbLb1EESV_IbLb0EEEEDaSR_SS_EUlSR_E_NS1_11comp_targetILNS1_3genE5ELNS1_11target_archE942ELNS1_3gpuE9ELNS1_3repE0EEENS1_30default_config_static_selectorELNS0_4arch9wavefront6targetE1EEEvT1_
	.globl	_ZN7rocprim17ROCPRIM_400000_NS6detail17trampoline_kernelINS0_14default_configENS1_20scan_config_selectorIfEEZZNS1_9scan_implILNS1_25lookback_scan_determinismE0ELb1ELb1ES3_N6thrust23THRUST_200600_302600_NS6detail15normal_iteratorINS9_10device_ptrIfEEEENSB_INSC_IiEEEEfNS9_4plusIvEEfEEDaPvRmT3_T4_T5_mT6_P12ihipStream_tbENKUlT_T0_E_clISt17integral_constantIbLb1EESV_IbLb0EEEEDaSR_SS_EUlSR_E_NS1_11comp_targetILNS1_3genE5ELNS1_11target_archE942ELNS1_3gpuE9ELNS1_3repE0EEENS1_30default_config_static_selectorELNS0_4arch9wavefront6targetE1EEEvT1_
	.p2align	8
	.type	_ZN7rocprim17ROCPRIM_400000_NS6detail17trampoline_kernelINS0_14default_configENS1_20scan_config_selectorIfEEZZNS1_9scan_implILNS1_25lookback_scan_determinismE0ELb1ELb1ES3_N6thrust23THRUST_200600_302600_NS6detail15normal_iteratorINS9_10device_ptrIfEEEENSB_INSC_IiEEEEfNS9_4plusIvEEfEEDaPvRmT3_T4_T5_mT6_P12ihipStream_tbENKUlT_T0_E_clISt17integral_constantIbLb1EESV_IbLb0EEEEDaSR_SS_EUlSR_E_NS1_11comp_targetILNS1_3genE5ELNS1_11target_archE942ELNS1_3gpuE9ELNS1_3repE0EEENS1_30default_config_static_selectorELNS0_4arch9wavefront6targetE1EEEvT1_,@function
_ZN7rocprim17ROCPRIM_400000_NS6detail17trampoline_kernelINS0_14default_configENS1_20scan_config_selectorIfEEZZNS1_9scan_implILNS1_25lookback_scan_determinismE0ELb1ELb1ES3_N6thrust23THRUST_200600_302600_NS6detail15normal_iteratorINS9_10device_ptrIfEEEENSB_INSC_IiEEEEfNS9_4plusIvEEfEEDaPvRmT3_T4_T5_mT6_P12ihipStream_tbENKUlT_T0_E_clISt17integral_constantIbLb1EESV_IbLb0EEEEDaSR_SS_EUlSR_E_NS1_11comp_targetILNS1_3genE5ELNS1_11target_archE942ELNS1_3gpuE9ELNS1_3repE0EEENS1_30default_config_static_selectorELNS0_4arch9wavefront6targetE1EEEvT1_: ; @_ZN7rocprim17ROCPRIM_400000_NS6detail17trampoline_kernelINS0_14default_configENS1_20scan_config_selectorIfEEZZNS1_9scan_implILNS1_25lookback_scan_determinismE0ELb1ELb1ES3_N6thrust23THRUST_200600_302600_NS6detail15normal_iteratorINS9_10device_ptrIfEEEENSB_INSC_IiEEEEfNS9_4plusIvEEfEEDaPvRmT3_T4_T5_mT6_P12ihipStream_tbENKUlT_T0_E_clISt17integral_constantIbLb1EESV_IbLb0EEEEDaSR_SS_EUlSR_E_NS1_11comp_targetILNS1_3genE5ELNS1_11target_archE942ELNS1_3gpuE9ELNS1_3repE0EEENS1_30default_config_static_selectorELNS0_4arch9wavefront6targetE1EEEvT1_
; %bb.0:
	.section	.rodata,"a",@progbits
	.p2align	6, 0x0
	.amdhsa_kernel _ZN7rocprim17ROCPRIM_400000_NS6detail17trampoline_kernelINS0_14default_configENS1_20scan_config_selectorIfEEZZNS1_9scan_implILNS1_25lookback_scan_determinismE0ELb1ELb1ES3_N6thrust23THRUST_200600_302600_NS6detail15normal_iteratorINS9_10device_ptrIfEEEENSB_INSC_IiEEEEfNS9_4plusIvEEfEEDaPvRmT3_T4_T5_mT6_P12ihipStream_tbENKUlT_T0_E_clISt17integral_constantIbLb1EESV_IbLb0EEEEDaSR_SS_EUlSR_E_NS1_11comp_targetILNS1_3genE5ELNS1_11target_archE942ELNS1_3gpuE9ELNS1_3repE0EEENS1_30default_config_static_selectorELNS0_4arch9wavefront6targetE1EEEvT1_
		.amdhsa_group_segment_fixed_size 0
		.amdhsa_private_segment_fixed_size 0
		.amdhsa_kernarg_size 96
		.amdhsa_user_sgpr_count 6
		.amdhsa_user_sgpr_private_segment_buffer 1
		.amdhsa_user_sgpr_dispatch_ptr 0
		.amdhsa_user_sgpr_queue_ptr 0
		.amdhsa_user_sgpr_kernarg_segment_ptr 1
		.amdhsa_user_sgpr_dispatch_id 0
		.amdhsa_user_sgpr_flat_scratch_init 0
		.amdhsa_user_sgpr_kernarg_preload_length 0
		.amdhsa_user_sgpr_kernarg_preload_offset 0
		.amdhsa_user_sgpr_private_segment_size 0
		.amdhsa_uses_dynamic_stack 0
		.amdhsa_system_sgpr_private_segment_wavefront_offset 0
		.amdhsa_system_sgpr_workgroup_id_x 1
		.amdhsa_system_sgpr_workgroup_id_y 0
		.amdhsa_system_sgpr_workgroup_id_z 0
		.amdhsa_system_sgpr_workgroup_info 0
		.amdhsa_system_vgpr_workitem_id 0
		.amdhsa_next_free_vgpr 1
		.amdhsa_next_free_sgpr 0
		.amdhsa_accum_offset 4
		.amdhsa_reserve_vcc 0
		.amdhsa_reserve_flat_scratch 0
		.amdhsa_float_round_mode_32 0
		.amdhsa_float_round_mode_16_64 0
		.amdhsa_float_denorm_mode_32 3
		.amdhsa_float_denorm_mode_16_64 3
		.amdhsa_dx10_clamp 1
		.amdhsa_ieee_mode 1
		.amdhsa_fp16_overflow 0
		.amdhsa_tg_split 0
		.amdhsa_exception_fp_ieee_invalid_op 0
		.amdhsa_exception_fp_denorm_src 0
		.amdhsa_exception_fp_ieee_div_zero 0
		.amdhsa_exception_fp_ieee_overflow 0
		.amdhsa_exception_fp_ieee_underflow 0
		.amdhsa_exception_fp_ieee_inexact 0
		.amdhsa_exception_int_div_zero 0
	.end_amdhsa_kernel
	.section	.text._ZN7rocprim17ROCPRIM_400000_NS6detail17trampoline_kernelINS0_14default_configENS1_20scan_config_selectorIfEEZZNS1_9scan_implILNS1_25lookback_scan_determinismE0ELb1ELb1ES3_N6thrust23THRUST_200600_302600_NS6detail15normal_iteratorINS9_10device_ptrIfEEEENSB_INSC_IiEEEEfNS9_4plusIvEEfEEDaPvRmT3_T4_T5_mT6_P12ihipStream_tbENKUlT_T0_E_clISt17integral_constantIbLb1EESV_IbLb0EEEEDaSR_SS_EUlSR_E_NS1_11comp_targetILNS1_3genE5ELNS1_11target_archE942ELNS1_3gpuE9ELNS1_3repE0EEENS1_30default_config_static_selectorELNS0_4arch9wavefront6targetE1EEEvT1_,"axG",@progbits,_ZN7rocprim17ROCPRIM_400000_NS6detail17trampoline_kernelINS0_14default_configENS1_20scan_config_selectorIfEEZZNS1_9scan_implILNS1_25lookback_scan_determinismE0ELb1ELb1ES3_N6thrust23THRUST_200600_302600_NS6detail15normal_iteratorINS9_10device_ptrIfEEEENSB_INSC_IiEEEEfNS9_4plusIvEEfEEDaPvRmT3_T4_T5_mT6_P12ihipStream_tbENKUlT_T0_E_clISt17integral_constantIbLb1EESV_IbLb0EEEEDaSR_SS_EUlSR_E_NS1_11comp_targetILNS1_3genE5ELNS1_11target_archE942ELNS1_3gpuE9ELNS1_3repE0EEENS1_30default_config_static_selectorELNS0_4arch9wavefront6targetE1EEEvT1_,comdat
.Lfunc_end1606:
	.size	_ZN7rocprim17ROCPRIM_400000_NS6detail17trampoline_kernelINS0_14default_configENS1_20scan_config_selectorIfEEZZNS1_9scan_implILNS1_25lookback_scan_determinismE0ELb1ELb1ES3_N6thrust23THRUST_200600_302600_NS6detail15normal_iteratorINS9_10device_ptrIfEEEENSB_INSC_IiEEEEfNS9_4plusIvEEfEEDaPvRmT3_T4_T5_mT6_P12ihipStream_tbENKUlT_T0_E_clISt17integral_constantIbLb1EESV_IbLb0EEEEDaSR_SS_EUlSR_E_NS1_11comp_targetILNS1_3genE5ELNS1_11target_archE942ELNS1_3gpuE9ELNS1_3repE0EEENS1_30default_config_static_selectorELNS0_4arch9wavefront6targetE1EEEvT1_, .Lfunc_end1606-_ZN7rocprim17ROCPRIM_400000_NS6detail17trampoline_kernelINS0_14default_configENS1_20scan_config_selectorIfEEZZNS1_9scan_implILNS1_25lookback_scan_determinismE0ELb1ELb1ES3_N6thrust23THRUST_200600_302600_NS6detail15normal_iteratorINS9_10device_ptrIfEEEENSB_INSC_IiEEEEfNS9_4plusIvEEfEEDaPvRmT3_T4_T5_mT6_P12ihipStream_tbENKUlT_T0_E_clISt17integral_constantIbLb1EESV_IbLb0EEEEDaSR_SS_EUlSR_E_NS1_11comp_targetILNS1_3genE5ELNS1_11target_archE942ELNS1_3gpuE9ELNS1_3repE0EEENS1_30default_config_static_selectorELNS0_4arch9wavefront6targetE1EEEvT1_
                                        ; -- End function
	.section	.AMDGPU.csdata,"",@progbits
; Kernel info:
; codeLenInByte = 0
; NumSgprs: 4
; NumVgprs: 0
; NumAgprs: 0
; TotalNumVgprs: 0
; ScratchSize: 0
; MemoryBound: 0
; FloatMode: 240
; IeeeMode: 1
; LDSByteSize: 0 bytes/workgroup (compile time only)
; SGPRBlocks: 0
; VGPRBlocks: 0
; NumSGPRsForWavesPerEU: 4
; NumVGPRsForWavesPerEU: 1
; AccumOffset: 4
; Occupancy: 8
; WaveLimiterHint : 0
; COMPUTE_PGM_RSRC2:SCRATCH_EN: 0
; COMPUTE_PGM_RSRC2:USER_SGPR: 6
; COMPUTE_PGM_RSRC2:TRAP_HANDLER: 0
; COMPUTE_PGM_RSRC2:TGID_X_EN: 1
; COMPUTE_PGM_RSRC2:TGID_Y_EN: 0
; COMPUTE_PGM_RSRC2:TGID_Z_EN: 0
; COMPUTE_PGM_RSRC2:TIDIG_COMP_CNT: 0
; COMPUTE_PGM_RSRC3_GFX90A:ACCUM_OFFSET: 0
; COMPUTE_PGM_RSRC3_GFX90A:TG_SPLIT: 0
	.section	.text._ZN7rocprim17ROCPRIM_400000_NS6detail17trampoline_kernelINS0_14default_configENS1_20scan_config_selectorIfEEZZNS1_9scan_implILNS1_25lookback_scan_determinismE0ELb1ELb1ES3_N6thrust23THRUST_200600_302600_NS6detail15normal_iteratorINS9_10device_ptrIfEEEENSB_INSC_IiEEEEfNS9_4plusIvEEfEEDaPvRmT3_T4_T5_mT6_P12ihipStream_tbENKUlT_T0_E_clISt17integral_constantIbLb1EESV_IbLb0EEEEDaSR_SS_EUlSR_E_NS1_11comp_targetILNS1_3genE4ELNS1_11target_archE910ELNS1_3gpuE8ELNS1_3repE0EEENS1_30default_config_static_selectorELNS0_4arch9wavefront6targetE1EEEvT1_,"axG",@progbits,_ZN7rocprim17ROCPRIM_400000_NS6detail17trampoline_kernelINS0_14default_configENS1_20scan_config_selectorIfEEZZNS1_9scan_implILNS1_25lookback_scan_determinismE0ELb1ELb1ES3_N6thrust23THRUST_200600_302600_NS6detail15normal_iteratorINS9_10device_ptrIfEEEENSB_INSC_IiEEEEfNS9_4plusIvEEfEEDaPvRmT3_T4_T5_mT6_P12ihipStream_tbENKUlT_T0_E_clISt17integral_constantIbLb1EESV_IbLb0EEEEDaSR_SS_EUlSR_E_NS1_11comp_targetILNS1_3genE4ELNS1_11target_archE910ELNS1_3gpuE8ELNS1_3repE0EEENS1_30default_config_static_selectorELNS0_4arch9wavefront6targetE1EEEvT1_,comdat
	.protected	_ZN7rocprim17ROCPRIM_400000_NS6detail17trampoline_kernelINS0_14default_configENS1_20scan_config_selectorIfEEZZNS1_9scan_implILNS1_25lookback_scan_determinismE0ELb1ELb1ES3_N6thrust23THRUST_200600_302600_NS6detail15normal_iteratorINS9_10device_ptrIfEEEENSB_INSC_IiEEEEfNS9_4plusIvEEfEEDaPvRmT3_T4_T5_mT6_P12ihipStream_tbENKUlT_T0_E_clISt17integral_constantIbLb1EESV_IbLb0EEEEDaSR_SS_EUlSR_E_NS1_11comp_targetILNS1_3genE4ELNS1_11target_archE910ELNS1_3gpuE8ELNS1_3repE0EEENS1_30default_config_static_selectorELNS0_4arch9wavefront6targetE1EEEvT1_ ; -- Begin function _ZN7rocprim17ROCPRIM_400000_NS6detail17trampoline_kernelINS0_14default_configENS1_20scan_config_selectorIfEEZZNS1_9scan_implILNS1_25lookback_scan_determinismE0ELb1ELb1ES3_N6thrust23THRUST_200600_302600_NS6detail15normal_iteratorINS9_10device_ptrIfEEEENSB_INSC_IiEEEEfNS9_4plusIvEEfEEDaPvRmT3_T4_T5_mT6_P12ihipStream_tbENKUlT_T0_E_clISt17integral_constantIbLb1EESV_IbLb0EEEEDaSR_SS_EUlSR_E_NS1_11comp_targetILNS1_3genE4ELNS1_11target_archE910ELNS1_3gpuE8ELNS1_3repE0EEENS1_30default_config_static_selectorELNS0_4arch9wavefront6targetE1EEEvT1_
	.globl	_ZN7rocprim17ROCPRIM_400000_NS6detail17trampoline_kernelINS0_14default_configENS1_20scan_config_selectorIfEEZZNS1_9scan_implILNS1_25lookback_scan_determinismE0ELb1ELb1ES3_N6thrust23THRUST_200600_302600_NS6detail15normal_iteratorINS9_10device_ptrIfEEEENSB_INSC_IiEEEEfNS9_4plusIvEEfEEDaPvRmT3_T4_T5_mT6_P12ihipStream_tbENKUlT_T0_E_clISt17integral_constantIbLb1EESV_IbLb0EEEEDaSR_SS_EUlSR_E_NS1_11comp_targetILNS1_3genE4ELNS1_11target_archE910ELNS1_3gpuE8ELNS1_3repE0EEENS1_30default_config_static_selectorELNS0_4arch9wavefront6targetE1EEEvT1_
	.p2align	8
	.type	_ZN7rocprim17ROCPRIM_400000_NS6detail17trampoline_kernelINS0_14default_configENS1_20scan_config_selectorIfEEZZNS1_9scan_implILNS1_25lookback_scan_determinismE0ELb1ELb1ES3_N6thrust23THRUST_200600_302600_NS6detail15normal_iteratorINS9_10device_ptrIfEEEENSB_INSC_IiEEEEfNS9_4plusIvEEfEEDaPvRmT3_T4_T5_mT6_P12ihipStream_tbENKUlT_T0_E_clISt17integral_constantIbLb1EESV_IbLb0EEEEDaSR_SS_EUlSR_E_NS1_11comp_targetILNS1_3genE4ELNS1_11target_archE910ELNS1_3gpuE8ELNS1_3repE0EEENS1_30default_config_static_selectorELNS0_4arch9wavefront6targetE1EEEvT1_,@function
_ZN7rocprim17ROCPRIM_400000_NS6detail17trampoline_kernelINS0_14default_configENS1_20scan_config_selectorIfEEZZNS1_9scan_implILNS1_25lookback_scan_determinismE0ELb1ELb1ES3_N6thrust23THRUST_200600_302600_NS6detail15normal_iteratorINS9_10device_ptrIfEEEENSB_INSC_IiEEEEfNS9_4plusIvEEfEEDaPvRmT3_T4_T5_mT6_P12ihipStream_tbENKUlT_T0_E_clISt17integral_constantIbLb1EESV_IbLb0EEEEDaSR_SS_EUlSR_E_NS1_11comp_targetILNS1_3genE4ELNS1_11target_archE910ELNS1_3gpuE8ELNS1_3repE0EEENS1_30default_config_static_selectorELNS0_4arch9wavefront6targetE1EEEvT1_: ; @_ZN7rocprim17ROCPRIM_400000_NS6detail17trampoline_kernelINS0_14default_configENS1_20scan_config_selectorIfEEZZNS1_9scan_implILNS1_25lookback_scan_determinismE0ELb1ELb1ES3_N6thrust23THRUST_200600_302600_NS6detail15normal_iteratorINS9_10device_ptrIfEEEENSB_INSC_IiEEEEfNS9_4plusIvEEfEEDaPvRmT3_T4_T5_mT6_P12ihipStream_tbENKUlT_T0_E_clISt17integral_constantIbLb1EESV_IbLb0EEEEDaSR_SS_EUlSR_E_NS1_11comp_targetILNS1_3genE4ELNS1_11target_archE910ELNS1_3gpuE8ELNS1_3repE0EEENS1_30default_config_static_selectorELNS0_4arch9wavefront6targetE1EEEvT1_
; %bb.0:
	s_load_dwordx8 s[12:19], s[4:5], 0x0
	s_load_dword s1, s[4:5], 0x30
	s_mul_i32 s0, s6, 0x700
	v_lshlrev_b32_e32 v32, 2, v0
	s_waitcnt lgkmcnt(0)
	s_lshl_b64 s[20:21], s[14:15], 2
	s_add_u32 s29, s12, s20
	s_addc_u32 s30, s13, s21
	s_add_i32 s2, s1, -1
	s_mul_i32 s3, s2, 0x700
	s_sub_u32 s7, s18, s3
	s_subb_u32 s28, s19, 0
	s_mov_b32 s1, 0
	s_cmp_lg_u32 s6, s2
	s_cselect_b64 s[18:19], -1, 0
	s_lshl_b64 s[22:23], s[0:1], 2
	s_add_u32 s2, s29, s22
	s_addc_u32 s3, s30, s23
	s_mov_b64 s[0:1], -1
	s_and_b64 vcc, exec, s[18:19]
	s_cbranch_vccz .LBB1607_2
; %bb.1:
	v_mov_b32_e32 v1, s3
	v_add_co_u32_e32 v2, vcc, s2, v32
	v_addc_co_u32_e32 v3, vcc, 0, v1, vcc
	flat_load_dword v1, v[2:3]
	flat_load_dword v4, v[2:3] offset:512
	flat_load_dword v5, v[2:3] offset:1024
	;; [unrolled: 1-line block ×7, first 2 shown]
	v_add_co_u32_e32 v2, vcc, 0x1000, v2
	v_addc_co_u32_e32 v3, vcc, 0, v3, vcc
	flat_load_dword v11, v[2:3]
	flat_load_dword v12, v[2:3] offset:512
	flat_load_dword v13, v[2:3] offset:1024
	;; [unrolled: 1-line block ×5, first 2 shown]
	s_mov_b64 s[0:1], 0
	s_waitcnt vmcnt(0) lgkmcnt(0)
	ds_write2st64_b32 v32, v1, v4 offset1:2
	ds_write2st64_b32 v32, v5, v6 offset0:4 offset1:6
	ds_write2st64_b32 v32, v7, v8 offset0:8 offset1:10
	;; [unrolled: 1-line block ×6, first 2 shown]
	s_waitcnt lgkmcnt(0)
	s_barrier
.LBB1607_2:
	s_load_dwordx2 s[24:25], s[4:5], 0x28
	s_andn2_b64 vcc, exec, s[0:1]
	v_cmp_gt_u32_e64 s[0:1], s7, v0
	s_cbranch_vccnz .LBB1607_32
; %bb.3:
	v_pk_mov_b32 v[2:3], s[2:3], s[2:3] op_sel:[0,1]
	flat_load_dword v1, v[2:3]
	s_waitcnt vmcnt(0) lgkmcnt(0)
	v_mov_b32_e32 v2, v1
	v_mov_b32_e32 v3, v1
	;; [unrolled: 1-line block ×12, first 2 shown]
	v_pk_mov_b32 v[16:17], v[14:15], v[14:15] op_sel:[0,1]
	v_pk_mov_b32 v[14:15], v[12:13], v[12:13] op_sel:[0,1]
	;; [unrolled: 1-line block ×8, first 2 shown]
	s_and_saveexec_b64 s[8:9], s[0:1]
	s_cbranch_execz .LBB1607_5
; %bb.4:
	v_mov_b32_e32 v3, s3
	v_add_co_u32_e32 v2, vcc, s2, v32
	v_addc_co_u32_e32 v3, vcc, 0, v3, vcc
	flat_load_dword v18, v[2:3]
	v_mov_b32_e32 v2, v1
	v_mov_b32_e32 v3, v1
	;; [unrolled: 1-line block ×12, first 2 shown]
	v_pk_mov_b32 v[16:17], v[14:15], v[14:15] op_sel:[0,1]
	v_pk_mov_b32 v[14:15], v[12:13], v[12:13] op_sel:[0,1]
	;; [unrolled: 1-line block ×8, first 2 shown]
	s_waitcnt vmcnt(0) lgkmcnt(0)
	v_mov_b32_e32 v1, v18
.LBB1607_5:
	s_or_b64 exec, exec, s[8:9]
	v_or_b32_e32 v2, 0x80, v0
	v_cmp_gt_u32_e32 vcc, s7, v2
	s_and_saveexec_b64 s[0:1], vcc
	s_cbranch_execz .LBB1607_7
; %bb.6:
	v_mov_b32_e32 v3, s3
	v_add_co_u32_e32 v2, vcc, s2, v32
	v_addc_co_u32_e32 v3, vcc, 0, v3, vcc
	flat_load_dword v3, v[2:3] offset:512
.LBB1607_7:
	s_or_b64 exec, exec, s[0:1]
	v_or_b32_e32 v2, 0x100, v0
	v_cmp_gt_u32_e32 vcc, s7, v2
	s_and_saveexec_b64 s[0:1], vcc
	s_cbranch_execz .LBB1607_9
; %bb.8:
	v_mov_b32_e32 v2, s3
	v_add_co_u32_e32 v16, vcc, s2, v32
	v_addc_co_u32_e32 v17, vcc, 0, v2, vcc
	flat_load_dword v4, v[16:17] offset:1024
.LBB1607_9:
	;; [unrolled: 11-line block ×7, first 2 shown]
	s_or_b64 exec, exec, s[0:1]
	v_or_b32_e32 v2, 0x400, v0
	v_cmp_gt_u32_e32 vcc, s7, v2
	s_and_saveexec_b64 s[0:1], vcc
	s_cbranch_execz .LBB1607_21
; %bb.20:
	v_lshlrev_b32_e32 v2, 2, v2
	v_mov_b32_e32 v10, s3
	v_add_co_u32_e32 v16, vcc, s2, v2
	v_addc_co_u32_e32 v17, vcc, 0, v10, vcc
	flat_load_dword v10, v[16:17]
.LBB1607_21:
	s_or_b64 exec, exec, s[0:1]
	v_or_b32_e32 v2, 0x480, v0
	v_cmp_gt_u32_e32 vcc, s7, v2
	s_and_saveexec_b64 s[0:1], vcc
	s_cbranch_execz .LBB1607_23
; %bb.22:
	v_lshlrev_b32_e32 v2, 2, v2
	v_mov_b32_e32 v11, s3
	v_add_co_u32_e32 v16, vcc, s2, v2
	v_addc_co_u32_e32 v17, vcc, 0, v11, vcc
	flat_load_dword v11, v[16:17]
.LBB1607_23:
	;; [unrolled: 12-line block ×6, first 2 shown]
	s_or_b64 exec, exec, s[0:1]
	s_waitcnt vmcnt(0) lgkmcnt(0)
	ds_write2st64_b32 v32, v1, v3 offset1:2
	ds_write2st64_b32 v32, v4, v5 offset0:4 offset1:6
	ds_write2st64_b32 v32, v6, v7 offset0:8 offset1:10
	;; [unrolled: 1-line block ×6, first 2 shown]
	s_waitcnt lgkmcnt(0)
	s_barrier
.LBB1607_32:
	v_mul_u32_u24_e32 v33, 14, v0
	v_lshlrev_b32_e32 v34, 2, v33
	s_waitcnt lgkmcnt(0)
	ds_read2_b64 v[26:29], v34 offset1:1
	ds_read2_b64 v[22:25], v34 offset0:2 offset1:3
	ds_read2_b64 v[18:21], v34 offset0:4 offset1:5
	ds_read_b64 v[30:31], v34 offset:48
	s_cmp_lg_u32 s6, 0
	s_waitcnt lgkmcnt(3)
	v_add_f32_e32 v35, v26, v27
	v_lshrrev_b32_e32 v1, 5, v0
	v_cmp_gt_u32_e32 vcc, 64, v0
	s_waitcnt lgkmcnt(0)
	s_barrier
	s_cbranch_scc0 .LBB1607_61
; %bb.33:
	v_add_f32_e32 v2, v28, v35
	v_add_f32_e32 v2, v29, v2
	;; [unrolled: 1-line block ×12, first 2 shown]
	v_add_lshl_u32 v2, v1, v0, 2
	ds_write_b32 v2, v12
	s_waitcnt lgkmcnt(0)
	s_barrier
	s_and_saveexec_b64 s[10:11], vcc
	s_cbranch_execz .LBB1607_35
; %bb.34:
	v_lshlrev_b32_e32 v2, 1, v0
	v_lshrrev_b32_e32 v3, 4, v0
	v_add_lshl_u32 v4, v3, v2, 2
	ds_read2_b32 v[2:3], v4 offset1:1
	v_mbcnt_lo_u32_b32 v5, -1, 0
	v_mbcnt_hi_u32_b32 v5, -1, v5
	v_and_b32_e32 v6, 15, v5
	v_cmp_eq_u32_e64 s[0:1], 0, v6
	s_waitcnt lgkmcnt(0)
	v_add_f32_e32 v3, v2, v3
	v_cmp_lt_u32_e64 s[2:3], 3, v6
	v_cmp_lt_u32_e64 s[8:9], 31, v5
	v_mov_b32_dpp v7, v3 row_shr:1 row_mask:0xf bank_mask:0xf
	v_add_f32_e32 v7, v3, v7
	v_cndmask_b32_e64 v3, v7, v3, s[0:1]
	v_cmp_lt_u32_e64 s[0:1], 1, v6
	s_nop 0
	v_mov_b32_dpp v7, v3 row_shr:2 row_mask:0xf bank_mask:0xf
	v_add_f32_e32 v7, v3, v7
	v_cndmask_b32_e64 v7, v3, v7, s[0:1]
	; wave barrier
	s_nop 1
	v_mov_b32_dpp v8, v7 row_shr:4 row_mask:0xf bank_mask:0xf
	v_add_f32_e32 v8, v7, v8
	v_cndmask_b32_e64 v7, v7, v8, s[2:3]
	v_cmp_lt_u32_e64 s[2:3], 7, v6
	s_nop 0
	v_mov_b32_dpp v8, v7 row_shr:8 row_mask:0xf bank_mask:0xf
	v_add_f32_e32 v8, v7, v8
	v_cndmask_b32_e64 v6, v7, v8, s[2:3]
	v_and_b32_e32 v8, 16, v5
	v_cmp_eq_u32_e64 s[2:3], 0, v8
	v_mov_b32_dpp v7, v6 row_bcast:15 row_mask:0xf bank_mask:0xf
	v_add_f32_e32 v7, v6, v7
	v_cndmask_b32_e64 v6, v7, v6, s[2:3]
	v_cmp_lt_u32_e64 s[2:3], 15, v5
	s_or_b64 s[0:1], s[2:3], s[0:1]
	v_mov_b32_dpp v7, v6 row_bcast:31 row_mask:0xf bank_mask:0xf
	v_add_f32_e32 v7, v6, v7
	v_cndmask_b32_e64 v6, v6, v7, s[8:9]
	v_cndmask_b32_e64 v3, v3, v6, s[0:1]
	v_add_u32_e32 v6, -1, v5
	v_and_b32_e32 v7, 64, v5
	v_cmp_lt_i32_e64 s[0:1], v6, v7
	v_cndmask_b32_e64 v5, v6, v5, s[0:1]
	v_lshlrev_b32_e32 v5, 2, v5
	ds_bpermute_b32 v3, v5, v3
	v_cmp_eq_u32_e64 s[0:1], 0, v0
	s_waitcnt lgkmcnt(0)
	v_add_f32_e32 v2, v2, v3
	v_cndmask_b32_e64 v2, v2, v12, s[0:1]
	ds_write_b32 v4, v2
	; wave barrier
	ds_read_b32 v3, v4 offset:4
	s_waitcnt lgkmcnt(0)
	v_add_f32_e32 v2, v2, v3
	ds_write_b32 v4, v2 offset:4
.LBB1607_35:
	s_or_b64 exec, exec, s[10:11]
	v_cmp_eq_u32_e64 s[0:1], 0, v0
	v_cmp_ne_u32_e64 s[2:3], 0, v0
	s_waitcnt lgkmcnt(0)
	s_barrier
	s_and_saveexec_b64 s[8:9], s[2:3]
	s_cbranch_execz .LBB1607_37
; %bb.36:
	v_add_u32_e32 v2, -1, v0
	v_lshrrev_b32_e32 v3, 5, v2
	v_add_lshl_u32 v2, v3, v2, 2
	ds_read_b32 v12, v2
.LBB1607_37:
	s_or_b64 exec, exec, s[8:9]
	s_and_saveexec_b64 s[26:27], vcc
	s_cbranch_execz .LBB1607_60
; %bb.38:
	v_mov_b32_e32 v11, 0
	ds_read_b32 v2, v11 offset:520
	v_mbcnt_lo_u32_b32 v3, -1, 0
	v_mbcnt_hi_u32_b32 v5, -1, v3
	s_mov_b32 s11, 0
	v_cmp_eq_u32_e64 s[2:3], 0, v5
	s_and_saveexec_b64 s[8:9], s[2:3]
	s_cbranch_execz .LBB1607_40
; %bb.39:
	s_add_i32 s10, s6, 64
	s_lshl_b64 s[10:11], s[10:11], 3
	s_add_u32 s10, s24, s10
	v_mov_b32_e32 v3, 1
	s_addc_u32 s11, s25, s11
	s_waitcnt lgkmcnt(0)
	global_store_dwordx2 v11, v[2:3], s[10:11]
.LBB1607_40:
	s_or_b64 exec, exec, s[8:9]
	v_xad_u32 v4, v5, -1, s6
	v_add_u32_e32 v10, 64, v4
	v_lshlrev_b64 v[6:7], 3, v[10:11]
	v_mov_b32_e32 v3, s25
	v_add_co_u32_e32 v6, vcc, s24, v6
	v_addc_co_u32_e32 v7, vcc, v3, v7, vcc
	global_load_dwordx2 v[8:9], v[6:7], off glc
	s_waitcnt vmcnt(0)
	v_cmp_eq_u16_sdwa s[10:11], v9, v11 src0_sel:BYTE_0 src1_sel:DWORD
	s_and_saveexec_b64 s[8:9], s[10:11]
	s_cbranch_execz .LBB1607_46
; %bb.41:
	s_mov_b32 s12, 1
	s_mov_b64 s[10:11], 0
	v_mov_b32_e32 v3, 0
.LBB1607_42:                            ; =>This Loop Header: Depth=1
                                        ;     Child Loop BB1607_43 Depth 2
	s_max_u32 s13, s12, 1
.LBB1607_43:                            ;   Parent Loop BB1607_42 Depth=1
                                        ; =>  This Inner Loop Header: Depth=2
	s_add_i32 s13, s13, -1
	s_cmp_eq_u32 s13, 0
	s_sleep 1
	s_cbranch_scc0 .LBB1607_43
; %bb.44:                               ;   in Loop: Header=BB1607_42 Depth=1
	global_load_dwordx2 v[8:9], v[6:7], off glc
	s_cmp_lt_u32 s12, 32
	s_cselect_b64 s[14:15], -1, 0
	s_cmp_lg_u64 s[14:15], 0
	s_addc_u32 s12, s12, 0
	s_waitcnt vmcnt(0)
	v_cmp_ne_u16_sdwa s[14:15], v9, v3 src0_sel:BYTE_0 src1_sel:DWORD
	s_or_b64 s[10:11], s[14:15], s[10:11]
	s_andn2_b64 exec, exec, s[10:11]
	s_cbranch_execnz .LBB1607_42
; %bb.45:
	s_or_b64 exec, exec, s[10:11]
.LBB1607_46:
	s_or_b64 exec, exec, s[8:9]
	v_and_b32_e32 v13, 63, v5
	v_cmp_ne_u32_e32 vcc, 63, v13
	v_addc_co_u32_e32 v14, vcc, 0, v5, vcc
	v_mov_b32_e32 v3, 2
	v_lshlrev_b32_e32 v14, 2, v14
	v_cmp_eq_u16_sdwa s[8:9], v9, v3 src0_sel:BYTE_0 src1_sel:DWORD
	v_lshlrev_b64 v[6:7], v5, -1
	ds_bpermute_b32 v15, v14, v8
	v_and_b32_e32 v10, s9, v7
	v_or_b32_e32 v10, 0x80000000, v10
	v_and_b32_e32 v11, s8, v6
	v_ffbl_b32_e32 v10, v10
	v_add_u32_e32 v10, 32, v10
	v_ffbl_b32_e32 v11, v11
	v_cmp_gt_u32_e64 s[8:9], 62, v13
	v_min_u32_e32 v10, v11, v10
	s_waitcnt lgkmcnt(0)
	v_add_f32_e32 v11, v8, v15
	v_cndmask_b32_e64 v15, 0, 1, s[8:9]
	v_cmp_lt_u32_e32 vcc, v13, v10
	v_lshlrev_b32_e32 v15, 1, v15
	v_cndmask_b32_e32 v11, v8, v11, vcc
	v_add_lshl_u32 v15, v15, v5, 2
	ds_bpermute_b32 v17, v15, v11
	v_add_u32_e32 v16, 2, v13
	v_cmp_gt_u32_e64 s[8:9], v16, v10
	v_cmp_gt_u32_e64 s[10:11], 56, v13
	v_add_u32_e32 v36, 4, v13
	s_waitcnt lgkmcnt(0)
	v_add_f32_e32 v17, v11, v17
	v_cndmask_b32_e64 v11, v17, v11, s[8:9]
	v_cmp_gt_u32_e64 s[8:9], 60, v13
	v_cndmask_b32_e64 v17, 0, 1, s[8:9]
	v_lshlrev_b32_e32 v17, 2, v17
	v_add_lshl_u32 v17, v17, v5, 2
	ds_bpermute_b32 v37, v17, v11
	v_cmp_gt_u32_e64 s[8:9], v36, v10
	v_add_u32_e32 v38, 8, v13
	v_cmp_gt_u32_e64 s[12:13], 48, v13
	v_cmp_gt_u32_e64 s[14:15], 32, v13
	s_waitcnt lgkmcnt(0)
	v_add_f32_e32 v41, v11, v37
	v_cndmask_b32_e64 v37, 0, 1, s[10:11]
	v_lshlrev_b32_e32 v37, 3, v37
	v_cndmask_b32_e64 v39, v41, v11, s[8:9]
	v_add_lshl_u32 v37, v37, v5, 2
	ds_bpermute_b32 v40, v37, v39
	v_cmp_gt_u32_e64 s[10:11], v38, v10
	v_cndmask_b32_e32 v8, v8, v11, vcc
	v_cndmask_b32_e64 v8, v41, v8, s[8:9]
	s_waitcnt lgkmcnt(0)
	v_add_f32_e32 v44, v39, v40
	v_cndmask_b32_e64 v42, v44, v39, s[10:11]
	v_cndmask_b32_e64 v39, 0, 1, s[12:13]
	v_lshlrev_b32_e32 v39, 4, v39
	v_add_lshl_u32 v39, v39, v5, 2
	ds_bpermute_b32 v43, v39, v42
	v_add_u32_e32 v40, 16, v13
	v_cmp_gt_u32_e64 s[12:13], v40, v10
	v_cndmask_b32_e64 v8, v44, v8, s[10:11]
	s_waitcnt lgkmcnt(0)
	v_add_f32_e32 v45, v42, v43
	v_cndmask_b32_e64 v46, v45, v42, s[12:13]
	v_cndmask_b32_e64 v42, 0, 1, s[14:15]
	v_lshlrev_b32_e32 v42, 5, v42
	v_add_lshl_u32 v42, v42, v5, 2
	ds_bpermute_b32 v5, v42, v46
	v_add_u32_e32 v43, 32, v13
	v_cndmask_b32_e64 v8, v45, v8, s[12:13]
	v_cmp_gt_u32_e32 vcc, v43, v10
	s_waitcnt lgkmcnt(0)
	v_add_f32_e32 v5, v46, v5
	v_cndmask_b32_e32 v8, v5, v8, vcc
	v_mov_b32_e32 v5, 0
	s_branch .LBB1607_48
.LBB1607_47:                            ;   in Loop: Header=BB1607_48 Depth=1
	s_or_b64 exec, exec, s[8:9]
	v_cmp_eq_u16_sdwa s[8:9], v9, v3 src0_sel:BYTE_0 src1_sel:DWORD
	v_and_b32_e32 v10, s9, v7
	ds_bpermute_b32 v44, v14, v8
	v_or_b32_e32 v10, 0x80000000, v10
	v_and_b32_e32 v11, s8, v6
	v_ffbl_b32_e32 v10, v10
	v_add_u32_e32 v10, 32, v10
	v_ffbl_b32_e32 v11, v11
	v_min_u32_e32 v10, v11, v10
	s_waitcnt lgkmcnt(0)
	v_add_f32_e32 v11, v8, v44
	v_cmp_lt_u32_e32 vcc, v13, v10
	v_cndmask_b32_e32 v11, v8, v11, vcc
	ds_bpermute_b32 v44, v15, v11
	v_cmp_gt_u32_e64 s[8:9], v16, v10
	v_cmp_gt_u32_e64 s[10:11], v38, v10
	v_cmp_gt_u32_e64 s[12:13], v40, v10
	v_subrev_u32_e32 v4, 64, v4
	s_waitcnt lgkmcnt(0)
	v_add_f32_e32 v44, v11, v44
	v_cndmask_b32_e64 v11, v44, v11, s[8:9]
	ds_bpermute_b32 v44, v17, v11
	v_cmp_gt_u32_e64 s[8:9], v36, v10
	v_cndmask_b32_e32 v8, v8, v11, vcc
	v_cmp_gt_u32_e32 vcc, v43, v10
	s_waitcnt lgkmcnt(0)
	v_add_f32_e32 v44, v11, v44
	v_cndmask_b32_e64 v45, v44, v11, s[8:9]
	ds_bpermute_b32 v46, v37, v45
	v_cndmask_b32_e64 v8, v44, v8, s[8:9]
	s_waitcnt lgkmcnt(0)
	v_add_f32_e32 v46, v45, v46
	v_cndmask_b32_e64 v45, v46, v45, s[10:11]
	ds_bpermute_b32 v47, v39, v45
	v_cndmask_b32_e64 v8, v46, v8, s[10:11]
	;; [unrolled: 5-line block ×3, first 2 shown]
	s_waitcnt lgkmcnt(0)
	v_add_f32_e32 v11, v45, v48
	v_cndmask_b32_e32 v8, v11, v8, vcc
	v_add_f32_e32 v8, v41, v8
.LBB1607_48:                            ; =>This Loop Header: Depth=1
                                        ;     Child Loop BB1607_51 Depth 2
                                        ;       Child Loop BB1607_52 Depth 3
	v_cmp_ne_u16_sdwa s[8:9], v9, v3 src0_sel:BYTE_0 src1_sel:DWORD
	v_cndmask_b32_e64 v9, 0, 1, s[8:9]
	;;#ASMSTART
	;;#ASMEND
	v_cmp_ne_u32_e32 vcc, 0, v9
	s_cmp_lg_u64 vcc, exec
	v_mov_b32_e32 v41, v8
	s_cbranch_scc1 .LBB1607_55
; %bb.49:                               ;   in Loop: Header=BB1607_48 Depth=1
	v_lshlrev_b64 v[8:9], 3, v[4:5]
	v_mov_b32_e32 v11, s25
	v_add_co_u32_e32 v10, vcc, s24, v8
	v_addc_co_u32_e32 v11, vcc, v11, v9, vcc
	global_load_dwordx2 v[8:9], v[10:11], off glc
	s_waitcnt vmcnt(0)
	v_cmp_eq_u16_sdwa s[10:11], v9, v5 src0_sel:BYTE_0 src1_sel:DWORD
	s_and_saveexec_b64 s[8:9], s[10:11]
	s_cbranch_execz .LBB1607_47
; %bb.50:                               ;   in Loop: Header=BB1607_48 Depth=1
	s_mov_b32 s12, 1
	s_mov_b64 s[10:11], 0
.LBB1607_51:                            ;   Parent Loop BB1607_48 Depth=1
                                        ; =>  This Loop Header: Depth=2
                                        ;       Child Loop BB1607_52 Depth 3
	s_max_u32 s13, s12, 1
.LBB1607_52:                            ;   Parent Loop BB1607_48 Depth=1
                                        ;     Parent Loop BB1607_51 Depth=2
                                        ; =>    This Inner Loop Header: Depth=3
	s_add_i32 s13, s13, -1
	s_cmp_eq_u32 s13, 0
	s_sleep 1
	s_cbranch_scc0 .LBB1607_52
; %bb.53:                               ;   in Loop: Header=BB1607_51 Depth=2
	global_load_dwordx2 v[8:9], v[10:11], off glc
	s_cmp_lt_u32 s12, 32
	s_cselect_b64 s[14:15], -1, 0
	s_cmp_lg_u64 s[14:15], 0
	s_addc_u32 s12, s12, 0
	s_waitcnt vmcnt(0)
	v_cmp_ne_u16_sdwa s[14:15], v9, v5 src0_sel:BYTE_0 src1_sel:DWORD
	s_or_b64 s[10:11], s[14:15], s[10:11]
	s_andn2_b64 exec, exec, s[10:11]
	s_cbranch_execnz .LBB1607_51
; %bb.54:                               ;   in Loop: Header=BB1607_48 Depth=1
	s_or_b64 exec, exec, s[10:11]
	s_branch .LBB1607_47
.LBB1607_55:                            ;   in Loop: Header=BB1607_48 Depth=1
                                        ; implicit-def: $vgpr8
                                        ; implicit-def: $vgpr9
	s_cbranch_execz .LBB1607_48
; %bb.56:
	s_and_saveexec_b64 s[8:9], s[2:3]
	s_cbranch_execz .LBB1607_58
; %bb.57:
	s_add_i32 s2, s6, 64
	s_mov_b32 s3, 0
	s_lshl_b64 s[2:3], s[2:3], 3
	s_add_u32 s2, s24, s2
	v_add_f32_e32 v2, v2, v41
	v_mov_b32_e32 v3, 2
	s_addc_u32 s3, s25, s3
	v_mov_b32_e32 v4, 0
	global_store_dwordx2 v4, v[2:3], s[2:3]
.LBB1607_58:
	s_or_b64 exec, exec, s[8:9]
	s_and_b64 exec, exec, s[0:1]
	s_cbranch_execz .LBB1607_60
; %bb.59:
	v_mov_b32_e32 v2, 0
	ds_write_b32 v2, v41
.LBB1607_60:
	s_or_b64 exec, exec, s[26:27]
	v_mov_b32_e32 v2, 0
	s_waitcnt lgkmcnt(0)
	s_barrier
	ds_read_b32 v2, v2
	s_waitcnt lgkmcnt(0)
	v_add_f32_e32 v3, v12, v2
	v_cndmask_b32_e64 v2, v3, v2, s[0:1]
	v_add_f32_e32 v3, v26, v2
	v_add_f32_e32 v4, v27, v3
	v_add_f32_e32 v5, v28, v4
	v_add_f32_e32 v6, v29, v5
	v_add_f32_e32 v7, v22, v6
	v_add_f32_e32 v8, v23, v7
	v_add_f32_e32 v9, v24, v8
	v_add_f32_e32 v10, v25, v9
	v_add_f32_e32 v11, v18, v10
	v_add_f32_e32 v12, v19, v11
	v_add_f32_e32 v13, v20, v12
	v_add_f32_e32 v14, v21, v13
	v_add_f32_e32 v15, v30, v14
	s_load_dwordx8 s[8:15], s[4:5], 0x38
	s_branch .LBB1607_71
.LBB1607_61:
                                        ; implicit-def: $vgpr2_vgpr3_vgpr4_vgpr5_vgpr6_vgpr7_vgpr8_vgpr9_vgpr10_vgpr11_vgpr12_vgpr13_vgpr14_vgpr15_vgpr16_vgpr17
	s_load_dwordx8 s[8:15], s[4:5], 0x38
	s_cbranch_execz .LBB1607_71
; %bb.62:
	s_load_dword s0, s[4:5], 0x20
	s_waitcnt lgkmcnt(0)
	s_cmp_eq_u64 s[12:13], 0
	v_mov_b32_e32 v16, s0
	s_cbranch_scc1 .LBB1607_64
; %bb.63:
	v_mov_b32_e32 v3, s30
	v_add_co_u32_e64 v2, vcc, -4, s29
	v_addc_co_u32_e32 v3, vcc, -1, v3, vcc
	v_mov_b32_e32 v4, 0
	flat_load_dword v5, v[2:3]
	global_load_dword v6, v4, s[8:9]
	s_waitcnt vmcnt(0) lgkmcnt(0)
	v_add_f32_e32 v16, v5, v6
.LBB1607_64:
	v_add_f32_e32 v2, v28, v35
	v_add_f32_e32 v2, v29, v2
	;; [unrolled: 1-line block ×12, first 2 shown]
	v_add_lshl_u32 v1, v1, v0, 2
	v_cmp_gt_u32_e32 vcc, 64, v0
	ds_write_b32 v1, v2
	s_waitcnt lgkmcnt(0)
	s_barrier
	s_and_saveexec_b64 s[4:5], vcc
	s_cbranch_execz .LBB1607_66
; %bb.65:
	v_lshlrev_b32_e32 v1, 1, v0
	v_lshrrev_b32_e32 v3, 4, v0
	v_add_lshl_u32 v1, v3, v1, 2
	ds_read2_b32 v[4:5], v1 offset1:1
	v_mbcnt_lo_u32_b32 v3, -1, 0
	v_mbcnt_hi_u32_b32 v3, -1, v3
	v_and_b32_e32 v6, 15, v3
	v_cmp_eq_u32_e32 vcc, 0, v6
	s_waitcnt lgkmcnt(0)
	v_add_f32_e32 v5, v4, v5
	v_cmp_lt_u32_e64 s[0:1], 3, v6
	v_cmp_lt_u32_e64 s[2:3], 31, v3
	v_mov_b32_dpp v7, v5 row_shr:1 row_mask:0xf bank_mask:0xf
	v_add_f32_e32 v7, v5, v7
	v_cndmask_b32_e32 v5, v7, v5, vcc
	v_cmp_lt_u32_e32 vcc, 1, v6
	s_nop 0
	v_mov_b32_dpp v7, v5 row_shr:2 row_mask:0xf bank_mask:0xf
	v_add_f32_e32 v7, v5, v7
	v_cndmask_b32_e32 v7, v5, v7, vcc
	; wave barrier
	s_nop 1
	v_mov_b32_dpp v8, v7 row_shr:4 row_mask:0xf bank_mask:0xf
	v_add_f32_e32 v8, v7, v8
	v_cndmask_b32_e64 v7, v7, v8, s[0:1]
	v_cmp_lt_u32_e64 s[0:1], 7, v6
	s_nop 0
	v_mov_b32_dpp v8, v7 row_shr:8 row_mask:0xf bank_mask:0xf
	v_add_f32_e32 v8, v7, v8
	v_cndmask_b32_e64 v6, v7, v8, s[0:1]
	v_and_b32_e32 v8, 16, v3
	v_cmp_eq_u32_e64 s[0:1], 0, v8
	v_mov_b32_dpp v7, v6 row_bcast:15 row_mask:0xf bank_mask:0xf
	v_add_f32_e32 v7, v6, v7
	v_cndmask_b32_e64 v6, v7, v6, s[0:1]
	v_cmp_lt_u32_e64 s[0:1], 15, v3
	s_or_b64 vcc, s[0:1], vcc
	v_mov_b32_dpp v7, v6 row_bcast:31 row_mask:0xf bank_mask:0xf
	v_add_f32_e32 v7, v6, v7
	v_cndmask_b32_e64 v6, v6, v7, s[2:3]
	v_cndmask_b32_e32 v5, v5, v6, vcc
	v_add_u32_e32 v6, -1, v3
	v_and_b32_e32 v7, 64, v3
	v_cmp_lt_i32_e32 vcc, v6, v7
	v_cndmask_b32_e32 v3, v6, v3, vcc
	v_lshlrev_b32_e32 v3, 2, v3
	ds_bpermute_b32 v3, v3, v5
	v_cmp_eq_u32_e32 vcc, 0, v0
	s_waitcnt lgkmcnt(0)
	v_add_f32_e32 v3, v4, v3
	v_cndmask_b32_e32 v2, v3, v2, vcc
	ds_write_b32 v1, v2
	; wave barrier
	ds_read_b32 v3, v1 offset:4
	s_waitcnt lgkmcnt(0)
	v_add_f32_e32 v2, v2, v3
	ds_write_b32 v1, v2 offset:4
.LBB1607_66:
	s_or_b64 exec, exec, s[4:5]
	v_cmp_eq_u32_e32 vcc, 0, v0
	v_cmp_ne_u32_e64 s[0:1], 0, v0
	v_mov_b32_e32 v2, v16
	s_waitcnt lgkmcnt(0)
	s_barrier
	s_and_saveexec_b64 s[2:3], s[0:1]
	s_cbranch_execz .LBB1607_68
; %bb.67:
	v_add_u32_e32 v1, -1, v0
	v_lshrrev_b32_e32 v2, 5, v1
	v_add_lshl_u32 v1, v2, v1, 2
	ds_read_b32 v1, v1
	s_waitcnt lgkmcnt(0)
	v_add_f32_e32 v2, v16, v1
.LBB1607_68:
	s_or_b64 exec, exec, s[2:3]
	v_add_f32_e32 v3, v26, v2
	v_add_f32_e32 v4, v27, v3
	;; [unrolled: 1-line block ×13, first 2 shown]
	s_and_saveexec_b64 s[0:1], vcc
	s_cbranch_execz .LBB1607_70
; %bb.69:
	v_mov_b32_e32 v1, 0
	ds_read_b32 v17, v1 offset:520
	s_waitcnt lgkmcnt(0)
	v_add_f32_e32 v16, v16, v17
	v_mov_b32_e32 v17, 2
	global_store_dwordx2 v1, v[16:17], s[24:25] offset:512
.LBB1607_70:
	s_or_b64 exec, exec, s[0:1]
.LBB1607_71:
	s_add_u32 s0, s16, s20
	s_addc_u32 s1, s17, s21
	s_add_u32 s2, s0, s22
	s_addc_u32 s3, s1, s23
	s_mov_b64 s[0:1], -1
	s_and_b64 vcc, exec, s[18:19]
	s_waitcnt lgkmcnt(0)
	s_barrier
	s_cbranch_vccz .LBB1607_73
; %bb.72:
	v_mov_b32_e32 v1, s3
	v_add_co_u32_e32 v30, vcc, s2, v32
	ds_write2_b64 v34, v[2:3], v[4:5] offset1:1
	ds_write2_b64 v34, v[6:7], v[8:9] offset0:2 offset1:3
	ds_write2_b64 v34, v[10:11], v[12:13] offset0:4 offset1:5
	ds_write_b64 v34, v[14:15] offset:48
	s_waitcnt lgkmcnt(0)
	s_barrier
	ds_read2st64_b32 v[16:17], v32 offset1:2
	ds_read2st64_b32 v[18:19], v32 offset0:4 offset1:6
	ds_read2st64_b32 v[20:21], v32 offset0:8 offset1:10
	;; [unrolled: 1-line block ×6, first 2 shown]
	v_addc_co_u32_e32 v31, vcc, 0, v1, vcc
	s_waitcnt lgkmcnt(6)
	v_cvt_i32_f32_e32 v1, v16
	v_cvt_i32_f32_e32 v16, v17
	s_waitcnt lgkmcnt(5)
	v_cvt_i32_f32_e32 v17, v18
	v_cvt_i32_f32_e32 v18, v19
	flat_store_dword v[30:31], v1
	flat_store_dword v[30:31], v16 offset:512
	flat_store_dword v[30:31], v17 offset:1024
	;; [unrolled: 1-line block ×3, first 2 shown]
	s_waitcnt lgkmcnt(0)
	v_cvt_i32_f32_e32 v1, v20
	v_cvt_i32_f32_e32 v16, v21
	;; [unrolled: 1-line block ×4, first 2 shown]
	flat_store_dword v[30:31], v1 offset:2048
	flat_store_dword v[30:31], v16 offset:2560
	;; [unrolled: 1-line block ×4, first 2 shown]
	v_cvt_i32_f32_e32 v1, v24
	s_movk_i32 s0, 0x1000
	v_cvt_i32_f32_e32 v18, v25
	v_add_co_u32_e32 v16, vcc, s0, v30
	v_addc_co_u32_e32 v17, vcc, 0, v31, vcc
	flat_store_dword v[16:17], v1
	flat_store_dword v[16:17], v18 offset:512
	v_cvt_i32_f32_e32 v1, v26
	v_cvt_i32_f32_e32 v18, v27
	;; [unrolled: 1-line block ×4, first 2 shown]
	flat_store_dword v[16:17], v1 offset:1024
	flat_store_dword v[16:17], v18 offset:1536
	;; [unrolled: 1-line block ×4, first 2 shown]
	s_mov_b64 s[0:1], 0
.LBB1607_73:
	s_andn2_b64 vcc, exec, s[0:1]
	s_cbranch_vccnz .LBB1607_153
; %bb.74:
	s_movk_i32 s0, 0xffcc
	ds_write2_b64 v34, v[2:3], v[4:5] offset1:1
	ds_write2_b64 v34, v[6:7], v[8:9] offset0:2 offset1:3
	ds_write2_b64 v34, v[10:11], v[12:13] offset0:4 offset1:5
	ds_write_b64 v34, v[14:15] offset:48
	v_mad_i32_i24 v14, v0, s0, v34
	s_waitcnt lgkmcnt(0)
	s_barrier
	ds_read2st64_b32 v[4:5], v14 offset1:2
	ds_read2st64_b32 v[6:7], v14 offset0:4 offset1:6
	ds_read2st64_b32 v[8:9], v14 offset0:8 offset1:10
	;; [unrolled: 1-line block ×6, first 2 shown]
	v_mov_b32_e32 v17, s3
	v_add_co_u32_e32 v16, vcc, s2, v32
	v_addc_co_u32_e32 v17, vcc, 0, v17, vcc
	v_mov_b32_e32 v1, 0
	v_cmp_gt_u32_e32 vcc, s7, v0
	s_and_saveexec_b64 s[0:1], vcc
	s_cbranch_execz .LBB1607_76
; %bb.75:
	s_waitcnt lgkmcnt(0)
	v_cvt_i32_f32_e32 v18, v4
	flat_store_dword v[16:17], v18
.LBB1607_76:
	s_or_b64 exec, exec, s[0:1]
	v_or_b32_e32 v18, 0x80, v0
	v_cmp_gt_u32_e32 vcc, s7, v18
	s_and_saveexec_b64 s[0:1], vcc
	s_cbranch_execz .LBB1607_78
; %bb.77:
	s_waitcnt lgkmcnt(0)
	v_cvt_i32_f32_e32 v18, v5
	flat_store_dword v[16:17], v18 offset:512
.LBB1607_78:
	s_or_b64 exec, exec, s[0:1]
	v_or_b32_e32 v18, 0x100, v0
	v_cmp_gt_u32_e32 vcc, s7, v18
	s_and_saveexec_b64 s[0:1], vcc
	s_cbranch_execz .LBB1607_80
; %bb.79:
	s_waitcnt lgkmcnt(0)
	v_cvt_i32_f32_e32 v18, v6
	flat_store_dword v[16:17], v18 offset:1024
.LBB1607_80:
	s_or_b64 exec, exec, s[0:1]
	v_or_b32_e32 v18, 0x180, v0
	v_cmp_gt_u32_e32 vcc, s7, v18
	s_and_saveexec_b64 s[0:1], vcc
	s_cbranch_execz .LBB1607_82
; %bb.81:
	s_waitcnt lgkmcnt(0)
	v_cvt_i32_f32_e32 v18, v7
	flat_store_dword v[16:17], v18 offset:1536
.LBB1607_82:
	s_or_b64 exec, exec, s[0:1]
	v_or_b32_e32 v18, 0x200, v0
	v_cmp_gt_u32_e32 vcc, s7, v18
	s_and_saveexec_b64 s[0:1], vcc
	s_cbranch_execz .LBB1607_84
; %bb.83:
	s_waitcnt lgkmcnt(0)
	v_cvt_i32_f32_e32 v18, v8
	flat_store_dword v[16:17], v18 offset:2048
.LBB1607_84:
	s_or_b64 exec, exec, s[0:1]
	v_or_b32_e32 v18, 0x280, v0
	v_cmp_gt_u32_e32 vcc, s7, v18
	s_and_saveexec_b64 s[0:1], vcc
	s_cbranch_execz .LBB1607_86
; %bb.85:
	s_waitcnt lgkmcnt(0)
	v_cvt_i32_f32_e32 v18, v9
	flat_store_dword v[16:17], v18 offset:2560
.LBB1607_86:
	s_or_b64 exec, exec, s[0:1]
	v_or_b32_e32 v18, 0x300, v0
	v_cmp_gt_u32_e32 vcc, s7, v18
	s_and_saveexec_b64 s[0:1], vcc
	s_cbranch_execz .LBB1607_88
; %bb.87:
	s_waitcnt lgkmcnt(0)
	v_cvt_i32_f32_e32 v18, v2
	flat_store_dword v[16:17], v18 offset:3072
.LBB1607_88:
	s_or_b64 exec, exec, s[0:1]
	v_or_b32_e32 v18, 0x380, v0
	v_cmp_gt_u32_e32 vcc, s7, v18
	s_and_saveexec_b64 s[0:1], vcc
	s_cbranch_execz .LBB1607_90
; %bb.89:
	s_waitcnt lgkmcnt(0)
	v_cvt_i32_f32_e32 v18, v3
	flat_store_dword v[16:17], v18 offset:3584
.LBB1607_90:
	s_or_b64 exec, exec, s[0:1]
	v_or_b32_e32 v18, 0x400, v0
	v_cmp_gt_u32_e32 vcc, s7, v18
	s_and_saveexec_b64 s[0:1], vcc
	s_cbranch_execz .LBB1607_92
; %bb.91:
	s_waitcnt lgkmcnt(0)
	v_cvt_i32_f32_e32 v20, v12
	v_add_co_u32_e32 v18, vcc, 0x1000, v16
	v_addc_co_u32_e32 v19, vcc, 0, v17, vcc
	flat_store_dword v[18:19], v20
.LBB1607_92:
	s_or_b64 exec, exec, s[0:1]
	v_or_b32_e32 v18, 0x480, v0
	v_cmp_gt_u32_e32 vcc, s7, v18
	s_and_saveexec_b64 s[0:1], vcc
	s_cbranch_execz .LBB1607_94
; %bb.93:
	s_waitcnt lgkmcnt(0)
	v_cvt_i32_f32_e32 v20, v13
	v_add_co_u32_e32 v18, vcc, 0x1000, v16
	v_addc_co_u32_e32 v19, vcc, 0, v17, vcc
	flat_store_dword v[18:19], v20 offset:512
.LBB1607_94:
	s_or_b64 exec, exec, s[0:1]
	v_or_b32_e32 v18, 0x500, v0
	v_cmp_gt_u32_e32 vcc, s7, v18
	s_and_saveexec_b64 s[0:1], vcc
	s_cbranch_execz .LBB1607_96
; %bb.95:
	s_waitcnt lgkmcnt(0)
	v_cvt_i32_f32_e32 v20, v10
	v_add_co_u32_e32 v18, vcc, 0x1000, v16
	v_addc_co_u32_e32 v19, vcc, 0, v17, vcc
	flat_store_dword v[18:19], v20 offset:1024
.LBB1607_96:
	;; [unrolled: 12-line block ×5, first 2 shown]
	s_or_b64 exec, exec, s[0:1]
	v_cmp_lt_u64_e64 s[0:1], s[14:15], 2
	s_and_b64 vcc, exec, s[0:1]
	s_cbranch_vccnz .LBB1607_153
; %bb.103:
	s_add_u32 s0, s7, -1
	s_addc_u32 s1, s28, -1
	s_add_u32 s2, 0, 0x49240800
	s_addc_u32 s3, 0, 50
	s_add_i32 s3, s3, 0x12492460
	s_mul_hi_u32 s7, s2, -14
	s_sub_i32 s7, s7, s2
	s_mul_i32 s8, s3, -14
	s_mul_i32 s4, s2, -14
	s_add_i32 s7, s7, s8
	s_mul_hi_u32 s5, s3, s4
	s_mul_i32 s6, s3, s4
	s_mul_i32 s9, s2, s7
	s_mul_hi_u32 s4, s2, s4
	s_mul_hi_u32 s8, s2, s7
	s_add_u32 s4, s4, s9
	s_addc_u32 s8, 0, s8
	s_add_u32 s4, s4, s6
	s_mul_hi_u32 s9, s3, s7
	s_addc_u32 s4, s8, s5
	s_addc_u32 s5, s9, 0
	s_mul_i32 s6, s3, s7
	s_add_u32 s4, s4, s6
	v_mov_b32_e32 v16, s4
	s_addc_u32 s5, 0, s5
	v_add_co_u32_e32 v16, vcc, s2, v16
	s_cmp_lg_u64 vcc, 0
	s_addc_u32 s2, s3, s5
	v_readfirstlane_b32 s5, v16
	s_mul_i32 s4, s0, s2
	s_mul_hi_u32 s6, s0, s5
	s_mul_hi_u32 s3, s0, s2
	s_add_u32 s4, s6, s4
	s_addc_u32 s3, 0, s3
	s_mul_hi_u32 s7, s1, s5
	s_mul_i32 s5, s1, s5
	s_add_u32 s4, s4, s5
	s_mul_hi_u32 s6, s1, s2
	s_addc_u32 s3, s3, s7
	s_addc_u32 s4, s6, 0
	s_mul_i32 s2, s1, s2
	s_add_u32 s2, s3, s2
	s_addc_u32 s3, 0, s4
	s_add_u32 s4, s2, 1
	s_addc_u32 s5, s3, 0
	s_add_u32 s6, s2, 2
	s_mul_i32 s8, s3, 14
	s_mul_hi_u32 s9, s2, 14
	s_addc_u32 s7, s3, 0
	s_add_i32 s9, s9, s8
	s_mul_i32 s8, s2, 14
	v_mov_b32_e32 v16, s8
	v_sub_co_u32_e32 v16, vcc, s0, v16
	s_cmp_lg_u64 vcc, 0
	s_subb_u32 s8, s1, s9
	v_subrev_co_u32_e32 v17, vcc, 14, v16
	s_cmp_lg_u64 vcc, 0
	s_subb_u32 s9, s8, 0
	v_readfirstlane_b32 s12, v17
	s_cmp_gt_u32 s12, 13
	s_cselect_b32 s12, -1, 0
	s_cmp_eq_u32 s9, 0
	s_cselect_b32 s9, s12, -1
	s_cmp_lg_u32 s9, 0
	s_cselect_b32 s4, s6, s4
	v_readfirstlane_b32 s6, v16
	s_cselect_b32 s5, s7, s5
	s_cmp_gt_u32 s6, 13
	s_cselect_b32 s6, -1, 0
	s_cmp_eq_u32 s8, 0
	s_cselect_b32 s6, s6, -1
	s_cmp_lg_u32 s6, 0
	s_cselect_b32 s3, s5, s3
	s_cselect_b32 s2, s4, s2
	v_cmp_eq_u64_e32 vcc, s[2:3], v[0:1]
	s_and_saveexec_b64 s[2:3], vcc
	s_cbranch_execz .LBB1607_153
; %bb.104:
	v_mul_hi_u32_u24_e32 v1, 14, v0
	v_mov_b32_e32 v16, s1
	v_sub_co_u32_e32 v0, vcc, s0, v33
	v_subb_co_u32_e32 v1, vcc, v16, v1, vcc
	v_cmp_lt_i64_e32 vcc, 6, v[0:1]
	s_and_saveexec_b64 s[0:1], vcc
	s_xor_b64 s[0:1], exec, s[0:1]
	s_cbranch_execz .LBB1607_130
; %bb.105:
	v_cmp_lt_i64_e32 vcc, 9, v[0:1]
	s_and_saveexec_b64 s[2:3], vcc
	s_xor_b64 s[2:3], exec, s[2:3]
	s_cbranch_execz .LBB1607_119
; %bb.106:
	v_cmp_lt_i64_e32 vcc, 11, v[0:1]
	s_and_saveexec_b64 s[4:5], vcc
	s_xor_b64 s[4:5], exec, s[4:5]
	s_cbranch_execz .LBB1607_112
; %bb.107:
	v_cmp_lt_i64_e32 vcc, 12, v[0:1]
	s_and_saveexec_b64 s[6:7], vcc
	s_xor_b64 s[6:7], exec, s[6:7]
	s_cbranch_execz .LBB1607_109
; %bb.108:
	v_mov_b32_e32 v0, 0
	s_waitcnt lgkmcnt(0)
	global_store_dword v0, v15, s[10:11]
                                        ; implicit-def: $vgpr14_vgpr15
.LBB1607_109:
	s_andn2_saveexec_b64 s[6:7], s[6:7]
	s_cbranch_execz .LBB1607_111
; %bb.110:
	v_mov_b32_e32 v0, 0
	s_waitcnt lgkmcnt(0)
	global_store_dword v0, v14, s[10:11]
.LBB1607_111:
	s_or_b64 exec, exec, s[6:7]
                                        ; implicit-def: $vgpr10_vgpr11
                                        ; implicit-def: $vgpr0_vgpr1
.LBB1607_112:
	s_andn2_saveexec_b64 s[4:5], s[4:5]
	s_cbranch_execz .LBB1607_118
; %bb.113:
	v_cmp_lt_i64_e32 vcc, 10, v[0:1]
	s_and_saveexec_b64 s[6:7], vcc
	s_xor_b64 s[6:7], exec, s[6:7]
	s_cbranch_execz .LBB1607_115
; %bb.114:
	v_mov_b32_e32 v0, 0
	s_waitcnt lgkmcnt(0)
	global_store_dword v0, v11, s[10:11]
                                        ; implicit-def: $vgpr10_vgpr11
.LBB1607_115:
	s_andn2_saveexec_b64 s[6:7], s[6:7]
	s_cbranch_execz .LBB1607_117
; %bb.116:
	v_mov_b32_e32 v0, 0
	s_waitcnt lgkmcnt(0)
	global_store_dword v0, v10, s[10:11]
.LBB1607_117:
	s_or_b64 exec, exec, s[6:7]
.LBB1607_118:
	s_or_b64 exec, exec, s[4:5]
                                        ; implicit-def: $vgpr2_vgpr3
                                        ; implicit-def: $vgpr0_vgpr1
                                        ; implicit-def: $vgpr12_vgpr13
.LBB1607_119:
	s_andn2_saveexec_b64 s[2:3], s[2:3]
	s_cbranch_execz .LBB1607_129
; %bb.120:
	v_cmp_lt_i64_e32 vcc, 7, v[0:1]
	s_and_saveexec_b64 s[4:5], vcc
	s_xor_b64 s[4:5], exec, s[4:5]
	s_cbranch_execz .LBB1607_126
; %bb.121:
	v_cmp_lt_i64_e32 vcc, 8, v[0:1]
	s_and_saveexec_b64 s[6:7], vcc
	s_xor_b64 s[6:7], exec, s[6:7]
	s_cbranch_execz .LBB1607_123
; %bb.122:
	v_mov_b32_e32 v0, 0
	s_waitcnt lgkmcnt(0)
	global_store_dword v0, v13, s[10:11]
                                        ; implicit-def: $vgpr12_vgpr13
.LBB1607_123:
	s_andn2_saveexec_b64 s[6:7], s[6:7]
	s_cbranch_execz .LBB1607_125
; %bb.124:
	v_mov_b32_e32 v0, 0
	s_waitcnt lgkmcnt(0)
	global_store_dword v0, v12, s[10:11]
.LBB1607_125:
	s_or_b64 exec, exec, s[6:7]
                                        ; implicit-def: $vgpr2_vgpr3
.LBB1607_126:
	s_andn2_saveexec_b64 s[4:5], s[4:5]
	s_cbranch_execz .LBB1607_128
; %bb.127:
	v_mov_b32_e32 v0, 0
	s_waitcnt lgkmcnt(0)
	global_store_dword v0, v3, s[10:11]
.LBB1607_128:
	s_or_b64 exec, exec, s[4:5]
.LBB1607_129:
	s_or_b64 exec, exec, s[2:3]
                                        ; implicit-def: $vgpr0_vgpr1
                                        ; implicit-def: $vgpr8_vgpr9
                                        ; implicit-def: $vgpr4_vgpr5
                                        ; implicit-def: $vgpr6_vgpr7
                                        ; implicit-def: $vgpr2_vgpr3
.LBB1607_130:
	s_andn2_saveexec_b64 s[0:1], s[0:1]
	s_cbranch_execz .LBB1607_153
; %bb.131:
	v_cmp_lt_i64_e32 vcc, 3, v[0:1]
	s_and_saveexec_b64 s[0:1], vcc
	s_xor_b64 s[0:1], exec, s[0:1]
	s_cbranch_execz .LBB1607_141
; %bb.132:
	v_cmp_lt_i64_e32 vcc, 4, v[0:1]
	s_and_saveexec_b64 s[2:3], vcc
	s_xor_b64 s[2:3], exec, s[2:3]
	;; [unrolled: 5-line block ×3, first 2 shown]
	s_cbranch_execz .LBB1607_135
; %bb.134:
	v_mov_b32_e32 v0, 0
	s_waitcnt lgkmcnt(0)
	global_store_dword v0, v2, s[10:11]
                                        ; implicit-def: $vgpr8_vgpr9
.LBB1607_135:
	s_andn2_saveexec_b64 s[4:5], s[4:5]
	s_cbranch_execz .LBB1607_137
; %bb.136:
	v_mov_b32_e32 v0, 0
	s_waitcnt lgkmcnt(0)
	global_store_dword v0, v9, s[10:11]
.LBB1607_137:
	s_or_b64 exec, exec, s[4:5]
                                        ; implicit-def: $vgpr8_vgpr9
.LBB1607_138:
	s_andn2_saveexec_b64 s[2:3], s[2:3]
	s_cbranch_execz .LBB1607_140
; %bb.139:
	v_mov_b32_e32 v0, 0
	s_waitcnt lgkmcnt(0)
	global_store_dword v0, v8, s[10:11]
.LBB1607_140:
	s_or_b64 exec, exec, s[2:3]
                                        ; implicit-def: $vgpr0_vgpr1
                                        ; implicit-def: $vgpr4_vgpr5
                                        ; implicit-def: $vgpr6_vgpr7
.LBB1607_141:
	s_andn2_saveexec_b64 s[0:1], s[0:1]
	s_cbranch_execz .LBB1607_153
; %bb.142:
	v_cmp_lt_i64_e32 vcc, 1, v[0:1]
	s_and_saveexec_b64 s[0:1], vcc
	s_xor_b64 s[0:1], exec, s[0:1]
	s_cbranch_execz .LBB1607_148
; %bb.143:
	v_cmp_lt_i64_e32 vcc, 2, v[0:1]
	s_and_saveexec_b64 s[2:3], vcc
	s_xor_b64 s[2:3], exec, s[2:3]
	s_cbranch_execz .LBB1607_145
; %bb.144:
	v_mov_b32_e32 v0, 0
	s_waitcnt lgkmcnt(0)
	global_store_dword v0, v7, s[10:11]
                                        ; implicit-def: $vgpr6_vgpr7
.LBB1607_145:
	s_andn2_saveexec_b64 s[2:3], s[2:3]
	s_cbranch_execz .LBB1607_147
; %bb.146:
	v_mov_b32_e32 v0, 0
	s_waitcnt lgkmcnt(0)
	global_store_dword v0, v6, s[10:11]
.LBB1607_147:
	s_or_b64 exec, exec, s[2:3]
                                        ; implicit-def: $vgpr4_vgpr5
                                        ; implicit-def: $vgpr0_vgpr1
.LBB1607_148:
	s_andn2_saveexec_b64 s[0:1], s[0:1]
	s_cbranch_execz .LBB1607_153
; %bb.149:
	v_cmp_ne_u64_e32 vcc, 1, v[0:1]
	s_and_saveexec_b64 s[0:1], vcc
	s_xor_b64 s[0:1], exec, s[0:1]
	s_cbranch_execz .LBB1607_151
; %bb.150:
	v_mov_b32_e32 v0, 0
	s_waitcnt lgkmcnt(0)
	global_store_dword v0, v4, s[10:11]
                                        ; implicit-def: $vgpr4_vgpr5
.LBB1607_151:
	s_andn2_saveexec_b64 s[0:1], s[0:1]
	s_cbranch_execz .LBB1607_153
; %bb.152:
	v_mov_b32_e32 v0, 0
	s_waitcnt lgkmcnt(0)
	global_store_dword v0, v5, s[10:11]
.LBB1607_153:
	s_endpgm
	.section	.rodata,"a",@progbits
	.p2align	6, 0x0
	.amdhsa_kernel _ZN7rocprim17ROCPRIM_400000_NS6detail17trampoline_kernelINS0_14default_configENS1_20scan_config_selectorIfEEZZNS1_9scan_implILNS1_25lookback_scan_determinismE0ELb1ELb1ES3_N6thrust23THRUST_200600_302600_NS6detail15normal_iteratorINS9_10device_ptrIfEEEENSB_INSC_IiEEEEfNS9_4plusIvEEfEEDaPvRmT3_T4_T5_mT6_P12ihipStream_tbENKUlT_T0_E_clISt17integral_constantIbLb1EESV_IbLb0EEEEDaSR_SS_EUlSR_E_NS1_11comp_targetILNS1_3genE4ELNS1_11target_archE910ELNS1_3gpuE8ELNS1_3repE0EEENS1_30default_config_static_selectorELNS0_4arch9wavefront6targetE1EEEvT1_
		.amdhsa_group_segment_fixed_size 7168
		.amdhsa_private_segment_fixed_size 0
		.amdhsa_kernarg_size 96
		.amdhsa_user_sgpr_count 6
		.amdhsa_user_sgpr_private_segment_buffer 1
		.amdhsa_user_sgpr_dispatch_ptr 0
		.amdhsa_user_sgpr_queue_ptr 0
		.amdhsa_user_sgpr_kernarg_segment_ptr 1
		.amdhsa_user_sgpr_dispatch_id 0
		.amdhsa_user_sgpr_flat_scratch_init 0
		.amdhsa_user_sgpr_kernarg_preload_length 0
		.amdhsa_user_sgpr_kernarg_preload_offset 0
		.amdhsa_user_sgpr_private_segment_size 0
		.amdhsa_uses_dynamic_stack 0
		.amdhsa_system_sgpr_private_segment_wavefront_offset 0
		.amdhsa_system_sgpr_workgroup_id_x 1
		.amdhsa_system_sgpr_workgroup_id_y 0
		.amdhsa_system_sgpr_workgroup_id_z 0
		.amdhsa_system_sgpr_workgroup_info 0
		.amdhsa_system_vgpr_workitem_id 0
		.amdhsa_next_free_vgpr 49
		.amdhsa_next_free_sgpr 31
		.amdhsa_accum_offset 52
		.amdhsa_reserve_vcc 1
		.amdhsa_reserve_flat_scratch 0
		.amdhsa_float_round_mode_32 0
		.amdhsa_float_round_mode_16_64 0
		.amdhsa_float_denorm_mode_32 3
		.amdhsa_float_denorm_mode_16_64 3
		.amdhsa_dx10_clamp 1
		.amdhsa_ieee_mode 1
		.amdhsa_fp16_overflow 0
		.amdhsa_tg_split 0
		.amdhsa_exception_fp_ieee_invalid_op 0
		.amdhsa_exception_fp_denorm_src 0
		.amdhsa_exception_fp_ieee_div_zero 0
		.amdhsa_exception_fp_ieee_overflow 0
		.amdhsa_exception_fp_ieee_underflow 0
		.amdhsa_exception_fp_ieee_inexact 0
		.amdhsa_exception_int_div_zero 0
	.end_amdhsa_kernel
	.section	.text._ZN7rocprim17ROCPRIM_400000_NS6detail17trampoline_kernelINS0_14default_configENS1_20scan_config_selectorIfEEZZNS1_9scan_implILNS1_25lookback_scan_determinismE0ELb1ELb1ES3_N6thrust23THRUST_200600_302600_NS6detail15normal_iteratorINS9_10device_ptrIfEEEENSB_INSC_IiEEEEfNS9_4plusIvEEfEEDaPvRmT3_T4_T5_mT6_P12ihipStream_tbENKUlT_T0_E_clISt17integral_constantIbLb1EESV_IbLb0EEEEDaSR_SS_EUlSR_E_NS1_11comp_targetILNS1_3genE4ELNS1_11target_archE910ELNS1_3gpuE8ELNS1_3repE0EEENS1_30default_config_static_selectorELNS0_4arch9wavefront6targetE1EEEvT1_,"axG",@progbits,_ZN7rocprim17ROCPRIM_400000_NS6detail17trampoline_kernelINS0_14default_configENS1_20scan_config_selectorIfEEZZNS1_9scan_implILNS1_25lookback_scan_determinismE0ELb1ELb1ES3_N6thrust23THRUST_200600_302600_NS6detail15normal_iteratorINS9_10device_ptrIfEEEENSB_INSC_IiEEEEfNS9_4plusIvEEfEEDaPvRmT3_T4_T5_mT6_P12ihipStream_tbENKUlT_T0_E_clISt17integral_constantIbLb1EESV_IbLb0EEEEDaSR_SS_EUlSR_E_NS1_11comp_targetILNS1_3genE4ELNS1_11target_archE910ELNS1_3gpuE8ELNS1_3repE0EEENS1_30default_config_static_selectorELNS0_4arch9wavefront6targetE1EEEvT1_,comdat
.Lfunc_end1607:
	.size	_ZN7rocprim17ROCPRIM_400000_NS6detail17trampoline_kernelINS0_14default_configENS1_20scan_config_selectorIfEEZZNS1_9scan_implILNS1_25lookback_scan_determinismE0ELb1ELb1ES3_N6thrust23THRUST_200600_302600_NS6detail15normal_iteratorINS9_10device_ptrIfEEEENSB_INSC_IiEEEEfNS9_4plusIvEEfEEDaPvRmT3_T4_T5_mT6_P12ihipStream_tbENKUlT_T0_E_clISt17integral_constantIbLb1EESV_IbLb0EEEEDaSR_SS_EUlSR_E_NS1_11comp_targetILNS1_3genE4ELNS1_11target_archE910ELNS1_3gpuE8ELNS1_3repE0EEENS1_30default_config_static_selectorELNS0_4arch9wavefront6targetE1EEEvT1_, .Lfunc_end1607-_ZN7rocprim17ROCPRIM_400000_NS6detail17trampoline_kernelINS0_14default_configENS1_20scan_config_selectorIfEEZZNS1_9scan_implILNS1_25lookback_scan_determinismE0ELb1ELb1ES3_N6thrust23THRUST_200600_302600_NS6detail15normal_iteratorINS9_10device_ptrIfEEEENSB_INSC_IiEEEEfNS9_4plusIvEEfEEDaPvRmT3_T4_T5_mT6_P12ihipStream_tbENKUlT_T0_E_clISt17integral_constantIbLb1EESV_IbLb0EEEEDaSR_SS_EUlSR_E_NS1_11comp_targetILNS1_3genE4ELNS1_11target_archE910ELNS1_3gpuE8ELNS1_3repE0EEENS1_30default_config_static_selectorELNS0_4arch9wavefront6targetE1EEEvT1_
                                        ; -- End function
	.section	.AMDGPU.csdata,"",@progbits
; Kernel info:
; codeLenInByte = 5792
; NumSgprs: 35
; NumVgprs: 49
; NumAgprs: 0
; TotalNumVgprs: 49
; ScratchSize: 0
; MemoryBound: 0
; FloatMode: 240
; IeeeMode: 1
; LDSByteSize: 7168 bytes/workgroup (compile time only)
; SGPRBlocks: 4
; VGPRBlocks: 6
; NumSGPRsForWavesPerEU: 35
; NumVGPRsForWavesPerEU: 49
; AccumOffset: 52
; Occupancy: 5
; WaveLimiterHint : 1
; COMPUTE_PGM_RSRC2:SCRATCH_EN: 0
; COMPUTE_PGM_RSRC2:USER_SGPR: 6
; COMPUTE_PGM_RSRC2:TRAP_HANDLER: 0
; COMPUTE_PGM_RSRC2:TGID_X_EN: 1
; COMPUTE_PGM_RSRC2:TGID_Y_EN: 0
; COMPUTE_PGM_RSRC2:TGID_Z_EN: 0
; COMPUTE_PGM_RSRC2:TIDIG_COMP_CNT: 0
; COMPUTE_PGM_RSRC3_GFX90A:ACCUM_OFFSET: 12
; COMPUTE_PGM_RSRC3_GFX90A:TG_SPLIT: 0
	.section	.text._ZN7rocprim17ROCPRIM_400000_NS6detail17trampoline_kernelINS0_14default_configENS1_20scan_config_selectorIfEEZZNS1_9scan_implILNS1_25lookback_scan_determinismE0ELb1ELb1ES3_N6thrust23THRUST_200600_302600_NS6detail15normal_iteratorINS9_10device_ptrIfEEEENSB_INSC_IiEEEEfNS9_4plusIvEEfEEDaPvRmT3_T4_T5_mT6_P12ihipStream_tbENKUlT_T0_E_clISt17integral_constantIbLb1EESV_IbLb0EEEEDaSR_SS_EUlSR_E_NS1_11comp_targetILNS1_3genE3ELNS1_11target_archE908ELNS1_3gpuE7ELNS1_3repE0EEENS1_30default_config_static_selectorELNS0_4arch9wavefront6targetE1EEEvT1_,"axG",@progbits,_ZN7rocprim17ROCPRIM_400000_NS6detail17trampoline_kernelINS0_14default_configENS1_20scan_config_selectorIfEEZZNS1_9scan_implILNS1_25lookback_scan_determinismE0ELb1ELb1ES3_N6thrust23THRUST_200600_302600_NS6detail15normal_iteratorINS9_10device_ptrIfEEEENSB_INSC_IiEEEEfNS9_4plusIvEEfEEDaPvRmT3_T4_T5_mT6_P12ihipStream_tbENKUlT_T0_E_clISt17integral_constantIbLb1EESV_IbLb0EEEEDaSR_SS_EUlSR_E_NS1_11comp_targetILNS1_3genE3ELNS1_11target_archE908ELNS1_3gpuE7ELNS1_3repE0EEENS1_30default_config_static_selectorELNS0_4arch9wavefront6targetE1EEEvT1_,comdat
	.protected	_ZN7rocprim17ROCPRIM_400000_NS6detail17trampoline_kernelINS0_14default_configENS1_20scan_config_selectorIfEEZZNS1_9scan_implILNS1_25lookback_scan_determinismE0ELb1ELb1ES3_N6thrust23THRUST_200600_302600_NS6detail15normal_iteratorINS9_10device_ptrIfEEEENSB_INSC_IiEEEEfNS9_4plusIvEEfEEDaPvRmT3_T4_T5_mT6_P12ihipStream_tbENKUlT_T0_E_clISt17integral_constantIbLb1EESV_IbLb0EEEEDaSR_SS_EUlSR_E_NS1_11comp_targetILNS1_3genE3ELNS1_11target_archE908ELNS1_3gpuE7ELNS1_3repE0EEENS1_30default_config_static_selectorELNS0_4arch9wavefront6targetE1EEEvT1_ ; -- Begin function _ZN7rocprim17ROCPRIM_400000_NS6detail17trampoline_kernelINS0_14default_configENS1_20scan_config_selectorIfEEZZNS1_9scan_implILNS1_25lookback_scan_determinismE0ELb1ELb1ES3_N6thrust23THRUST_200600_302600_NS6detail15normal_iteratorINS9_10device_ptrIfEEEENSB_INSC_IiEEEEfNS9_4plusIvEEfEEDaPvRmT3_T4_T5_mT6_P12ihipStream_tbENKUlT_T0_E_clISt17integral_constantIbLb1EESV_IbLb0EEEEDaSR_SS_EUlSR_E_NS1_11comp_targetILNS1_3genE3ELNS1_11target_archE908ELNS1_3gpuE7ELNS1_3repE0EEENS1_30default_config_static_selectorELNS0_4arch9wavefront6targetE1EEEvT1_
	.globl	_ZN7rocprim17ROCPRIM_400000_NS6detail17trampoline_kernelINS0_14default_configENS1_20scan_config_selectorIfEEZZNS1_9scan_implILNS1_25lookback_scan_determinismE0ELb1ELb1ES3_N6thrust23THRUST_200600_302600_NS6detail15normal_iteratorINS9_10device_ptrIfEEEENSB_INSC_IiEEEEfNS9_4plusIvEEfEEDaPvRmT3_T4_T5_mT6_P12ihipStream_tbENKUlT_T0_E_clISt17integral_constantIbLb1EESV_IbLb0EEEEDaSR_SS_EUlSR_E_NS1_11comp_targetILNS1_3genE3ELNS1_11target_archE908ELNS1_3gpuE7ELNS1_3repE0EEENS1_30default_config_static_selectorELNS0_4arch9wavefront6targetE1EEEvT1_
	.p2align	8
	.type	_ZN7rocprim17ROCPRIM_400000_NS6detail17trampoline_kernelINS0_14default_configENS1_20scan_config_selectorIfEEZZNS1_9scan_implILNS1_25lookback_scan_determinismE0ELb1ELb1ES3_N6thrust23THRUST_200600_302600_NS6detail15normal_iteratorINS9_10device_ptrIfEEEENSB_INSC_IiEEEEfNS9_4plusIvEEfEEDaPvRmT3_T4_T5_mT6_P12ihipStream_tbENKUlT_T0_E_clISt17integral_constantIbLb1EESV_IbLb0EEEEDaSR_SS_EUlSR_E_NS1_11comp_targetILNS1_3genE3ELNS1_11target_archE908ELNS1_3gpuE7ELNS1_3repE0EEENS1_30default_config_static_selectorELNS0_4arch9wavefront6targetE1EEEvT1_,@function
_ZN7rocprim17ROCPRIM_400000_NS6detail17trampoline_kernelINS0_14default_configENS1_20scan_config_selectorIfEEZZNS1_9scan_implILNS1_25lookback_scan_determinismE0ELb1ELb1ES3_N6thrust23THRUST_200600_302600_NS6detail15normal_iteratorINS9_10device_ptrIfEEEENSB_INSC_IiEEEEfNS9_4plusIvEEfEEDaPvRmT3_T4_T5_mT6_P12ihipStream_tbENKUlT_T0_E_clISt17integral_constantIbLb1EESV_IbLb0EEEEDaSR_SS_EUlSR_E_NS1_11comp_targetILNS1_3genE3ELNS1_11target_archE908ELNS1_3gpuE7ELNS1_3repE0EEENS1_30default_config_static_selectorELNS0_4arch9wavefront6targetE1EEEvT1_: ; @_ZN7rocprim17ROCPRIM_400000_NS6detail17trampoline_kernelINS0_14default_configENS1_20scan_config_selectorIfEEZZNS1_9scan_implILNS1_25lookback_scan_determinismE0ELb1ELb1ES3_N6thrust23THRUST_200600_302600_NS6detail15normal_iteratorINS9_10device_ptrIfEEEENSB_INSC_IiEEEEfNS9_4plusIvEEfEEDaPvRmT3_T4_T5_mT6_P12ihipStream_tbENKUlT_T0_E_clISt17integral_constantIbLb1EESV_IbLb0EEEEDaSR_SS_EUlSR_E_NS1_11comp_targetILNS1_3genE3ELNS1_11target_archE908ELNS1_3gpuE7ELNS1_3repE0EEENS1_30default_config_static_selectorELNS0_4arch9wavefront6targetE1EEEvT1_
; %bb.0:
	.section	.rodata,"a",@progbits
	.p2align	6, 0x0
	.amdhsa_kernel _ZN7rocprim17ROCPRIM_400000_NS6detail17trampoline_kernelINS0_14default_configENS1_20scan_config_selectorIfEEZZNS1_9scan_implILNS1_25lookback_scan_determinismE0ELb1ELb1ES3_N6thrust23THRUST_200600_302600_NS6detail15normal_iteratorINS9_10device_ptrIfEEEENSB_INSC_IiEEEEfNS9_4plusIvEEfEEDaPvRmT3_T4_T5_mT6_P12ihipStream_tbENKUlT_T0_E_clISt17integral_constantIbLb1EESV_IbLb0EEEEDaSR_SS_EUlSR_E_NS1_11comp_targetILNS1_3genE3ELNS1_11target_archE908ELNS1_3gpuE7ELNS1_3repE0EEENS1_30default_config_static_selectorELNS0_4arch9wavefront6targetE1EEEvT1_
		.amdhsa_group_segment_fixed_size 0
		.amdhsa_private_segment_fixed_size 0
		.amdhsa_kernarg_size 96
		.amdhsa_user_sgpr_count 6
		.amdhsa_user_sgpr_private_segment_buffer 1
		.amdhsa_user_sgpr_dispatch_ptr 0
		.amdhsa_user_sgpr_queue_ptr 0
		.amdhsa_user_sgpr_kernarg_segment_ptr 1
		.amdhsa_user_sgpr_dispatch_id 0
		.amdhsa_user_sgpr_flat_scratch_init 0
		.amdhsa_user_sgpr_kernarg_preload_length 0
		.amdhsa_user_sgpr_kernarg_preload_offset 0
		.amdhsa_user_sgpr_private_segment_size 0
		.amdhsa_uses_dynamic_stack 0
		.amdhsa_system_sgpr_private_segment_wavefront_offset 0
		.amdhsa_system_sgpr_workgroup_id_x 1
		.amdhsa_system_sgpr_workgroup_id_y 0
		.amdhsa_system_sgpr_workgroup_id_z 0
		.amdhsa_system_sgpr_workgroup_info 0
		.amdhsa_system_vgpr_workitem_id 0
		.amdhsa_next_free_vgpr 1
		.amdhsa_next_free_sgpr 0
		.amdhsa_accum_offset 4
		.amdhsa_reserve_vcc 0
		.amdhsa_reserve_flat_scratch 0
		.amdhsa_float_round_mode_32 0
		.amdhsa_float_round_mode_16_64 0
		.amdhsa_float_denorm_mode_32 3
		.amdhsa_float_denorm_mode_16_64 3
		.amdhsa_dx10_clamp 1
		.amdhsa_ieee_mode 1
		.amdhsa_fp16_overflow 0
		.amdhsa_tg_split 0
		.amdhsa_exception_fp_ieee_invalid_op 0
		.amdhsa_exception_fp_denorm_src 0
		.amdhsa_exception_fp_ieee_div_zero 0
		.amdhsa_exception_fp_ieee_overflow 0
		.amdhsa_exception_fp_ieee_underflow 0
		.amdhsa_exception_fp_ieee_inexact 0
		.amdhsa_exception_int_div_zero 0
	.end_amdhsa_kernel
	.section	.text._ZN7rocprim17ROCPRIM_400000_NS6detail17trampoline_kernelINS0_14default_configENS1_20scan_config_selectorIfEEZZNS1_9scan_implILNS1_25lookback_scan_determinismE0ELb1ELb1ES3_N6thrust23THRUST_200600_302600_NS6detail15normal_iteratorINS9_10device_ptrIfEEEENSB_INSC_IiEEEEfNS9_4plusIvEEfEEDaPvRmT3_T4_T5_mT6_P12ihipStream_tbENKUlT_T0_E_clISt17integral_constantIbLb1EESV_IbLb0EEEEDaSR_SS_EUlSR_E_NS1_11comp_targetILNS1_3genE3ELNS1_11target_archE908ELNS1_3gpuE7ELNS1_3repE0EEENS1_30default_config_static_selectorELNS0_4arch9wavefront6targetE1EEEvT1_,"axG",@progbits,_ZN7rocprim17ROCPRIM_400000_NS6detail17trampoline_kernelINS0_14default_configENS1_20scan_config_selectorIfEEZZNS1_9scan_implILNS1_25lookback_scan_determinismE0ELb1ELb1ES3_N6thrust23THRUST_200600_302600_NS6detail15normal_iteratorINS9_10device_ptrIfEEEENSB_INSC_IiEEEEfNS9_4plusIvEEfEEDaPvRmT3_T4_T5_mT6_P12ihipStream_tbENKUlT_T0_E_clISt17integral_constantIbLb1EESV_IbLb0EEEEDaSR_SS_EUlSR_E_NS1_11comp_targetILNS1_3genE3ELNS1_11target_archE908ELNS1_3gpuE7ELNS1_3repE0EEENS1_30default_config_static_selectorELNS0_4arch9wavefront6targetE1EEEvT1_,comdat
.Lfunc_end1608:
	.size	_ZN7rocprim17ROCPRIM_400000_NS6detail17trampoline_kernelINS0_14default_configENS1_20scan_config_selectorIfEEZZNS1_9scan_implILNS1_25lookback_scan_determinismE0ELb1ELb1ES3_N6thrust23THRUST_200600_302600_NS6detail15normal_iteratorINS9_10device_ptrIfEEEENSB_INSC_IiEEEEfNS9_4plusIvEEfEEDaPvRmT3_T4_T5_mT6_P12ihipStream_tbENKUlT_T0_E_clISt17integral_constantIbLb1EESV_IbLb0EEEEDaSR_SS_EUlSR_E_NS1_11comp_targetILNS1_3genE3ELNS1_11target_archE908ELNS1_3gpuE7ELNS1_3repE0EEENS1_30default_config_static_selectorELNS0_4arch9wavefront6targetE1EEEvT1_, .Lfunc_end1608-_ZN7rocprim17ROCPRIM_400000_NS6detail17trampoline_kernelINS0_14default_configENS1_20scan_config_selectorIfEEZZNS1_9scan_implILNS1_25lookback_scan_determinismE0ELb1ELb1ES3_N6thrust23THRUST_200600_302600_NS6detail15normal_iteratorINS9_10device_ptrIfEEEENSB_INSC_IiEEEEfNS9_4plusIvEEfEEDaPvRmT3_T4_T5_mT6_P12ihipStream_tbENKUlT_T0_E_clISt17integral_constantIbLb1EESV_IbLb0EEEEDaSR_SS_EUlSR_E_NS1_11comp_targetILNS1_3genE3ELNS1_11target_archE908ELNS1_3gpuE7ELNS1_3repE0EEENS1_30default_config_static_selectorELNS0_4arch9wavefront6targetE1EEEvT1_
                                        ; -- End function
	.section	.AMDGPU.csdata,"",@progbits
; Kernel info:
; codeLenInByte = 0
; NumSgprs: 4
; NumVgprs: 0
; NumAgprs: 0
; TotalNumVgprs: 0
; ScratchSize: 0
; MemoryBound: 0
; FloatMode: 240
; IeeeMode: 1
; LDSByteSize: 0 bytes/workgroup (compile time only)
; SGPRBlocks: 0
; VGPRBlocks: 0
; NumSGPRsForWavesPerEU: 4
; NumVGPRsForWavesPerEU: 1
; AccumOffset: 4
; Occupancy: 8
; WaveLimiterHint : 0
; COMPUTE_PGM_RSRC2:SCRATCH_EN: 0
; COMPUTE_PGM_RSRC2:USER_SGPR: 6
; COMPUTE_PGM_RSRC2:TRAP_HANDLER: 0
; COMPUTE_PGM_RSRC2:TGID_X_EN: 1
; COMPUTE_PGM_RSRC2:TGID_Y_EN: 0
; COMPUTE_PGM_RSRC2:TGID_Z_EN: 0
; COMPUTE_PGM_RSRC2:TIDIG_COMP_CNT: 0
; COMPUTE_PGM_RSRC3_GFX90A:ACCUM_OFFSET: 0
; COMPUTE_PGM_RSRC3_GFX90A:TG_SPLIT: 0
	.section	.text._ZN7rocprim17ROCPRIM_400000_NS6detail17trampoline_kernelINS0_14default_configENS1_20scan_config_selectorIfEEZZNS1_9scan_implILNS1_25lookback_scan_determinismE0ELb1ELb1ES3_N6thrust23THRUST_200600_302600_NS6detail15normal_iteratorINS9_10device_ptrIfEEEENSB_INSC_IiEEEEfNS9_4plusIvEEfEEDaPvRmT3_T4_T5_mT6_P12ihipStream_tbENKUlT_T0_E_clISt17integral_constantIbLb1EESV_IbLb0EEEEDaSR_SS_EUlSR_E_NS1_11comp_targetILNS1_3genE2ELNS1_11target_archE906ELNS1_3gpuE6ELNS1_3repE0EEENS1_30default_config_static_selectorELNS0_4arch9wavefront6targetE1EEEvT1_,"axG",@progbits,_ZN7rocprim17ROCPRIM_400000_NS6detail17trampoline_kernelINS0_14default_configENS1_20scan_config_selectorIfEEZZNS1_9scan_implILNS1_25lookback_scan_determinismE0ELb1ELb1ES3_N6thrust23THRUST_200600_302600_NS6detail15normal_iteratorINS9_10device_ptrIfEEEENSB_INSC_IiEEEEfNS9_4plusIvEEfEEDaPvRmT3_T4_T5_mT6_P12ihipStream_tbENKUlT_T0_E_clISt17integral_constantIbLb1EESV_IbLb0EEEEDaSR_SS_EUlSR_E_NS1_11comp_targetILNS1_3genE2ELNS1_11target_archE906ELNS1_3gpuE6ELNS1_3repE0EEENS1_30default_config_static_selectorELNS0_4arch9wavefront6targetE1EEEvT1_,comdat
	.protected	_ZN7rocprim17ROCPRIM_400000_NS6detail17trampoline_kernelINS0_14default_configENS1_20scan_config_selectorIfEEZZNS1_9scan_implILNS1_25lookback_scan_determinismE0ELb1ELb1ES3_N6thrust23THRUST_200600_302600_NS6detail15normal_iteratorINS9_10device_ptrIfEEEENSB_INSC_IiEEEEfNS9_4plusIvEEfEEDaPvRmT3_T4_T5_mT6_P12ihipStream_tbENKUlT_T0_E_clISt17integral_constantIbLb1EESV_IbLb0EEEEDaSR_SS_EUlSR_E_NS1_11comp_targetILNS1_3genE2ELNS1_11target_archE906ELNS1_3gpuE6ELNS1_3repE0EEENS1_30default_config_static_selectorELNS0_4arch9wavefront6targetE1EEEvT1_ ; -- Begin function _ZN7rocprim17ROCPRIM_400000_NS6detail17trampoline_kernelINS0_14default_configENS1_20scan_config_selectorIfEEZZNS1_9scan_implILNS1_25lookback_scan_determinismE0ELb1ELb1ES3_N6thrust23THRUST_200600_302600_NS6detail15normal_iteratorINS9_10device_ptrIfEEEENSB_INSC_IiEEEEfNS9_4plusIvEEfEEDaPvRmT3_T4_T5_mT6_P12ihipStream_tbENKUlT_T0_E_clISt17integral_constantIbLb1EESV_IbLb0EEEEDaSR_SS_EUlSR_E_NS1_11comp_targetILNS1_3genE2ELNS1_11target_archE906ELNS1_3gpuE6ELNS1_3repE0EEENS1_30default_config_static_selectorELNS0_4arch9wavefront6targetE1EEEvT1_
	.globl	_ZN7rocprim17ROCPRIM_400000_NS6detail17trampoline_kernelINS0_14default_configENS1_20scan_config_selectorIfEEZZNS1_9scan_implILNS1_25lookback_scan_determinismE0ELb1ELb1ES3_N6thrust23THRUST_200600_302600_NS6detail15normal_iteratorINS9_10device_ptrIfEEEENSB_INSC_IiEEEEfNS9_4plusIvEEfEEDaPvRmT3_T4_T5_mT6_P12ihipStream_tbENKUlT_T0_E_clISt17integral_constantIbLb1EESV_IbLb0EEEEDaSR_SS_EUlSR_E_NS1_11comp_targetILNS1_3genE2ELNS1_11target_archE906ELNS1_3gpuE6ELNS1_3repE0EEENS1_30default_config_static_selectorELNS0_4arch9wavefront6targetE1EEEvT1_
	.p2align	8
	.type	_ZN7rocprim17ROCPRIM_400000_NS6detail17trampoline_kernelINS0_14default_configENS1_20scan_config_selectorIfEEZZNS1_9scan_implILNS1_25lookback_scan_determinismE0ELb1ELb1ES3_N6thrust23THRUST_200600_302600_NS6detail15normal_iteratorINS9_10device_ptrIfEEEENSB_INSC_IiEEEEfNS9_4plusIvEEfEEDaPvRmT3_T4_T5_mT6_P12ihipStream_tbENKUlT_T0_E_clISt17integral_constantIbLb1EESV_IbLb0EEEEDaSR_SS_EUlSR_E_NS1_11comp_targetILNS1_3genE2ELNS1_11target_archE906ELNS1_3gpuE6ELNS1_3repE0EEENS1_30default_config_static_selectorELNS0_4arch9wavefront6targetE1EEEvT1_,@function
_ZN7rocprim17ROCPRIM_400000_NS6detail17trampoline_kernelINS0_14default_configENS1_20scan_config_selectorIfEEZZNS1_9scan_implILNS1_25lookback_scan_determinismE0ELb1ELb1ES3_N6thrust23THRUST_200600_302600_NS6detail15normal_iteratorINS9_10device_ptrIfEEEENSB_INSC_IiEEEEfNS9_4plusIvEEfEEDaPvRmT3_T4_T5_mT6_P12ihipStream_tbENKUlT_T0_E_clISt17integral_constantIbLb1EESV_IbLb0EEEEDaSR_SS_EUlSR_E_NS1_11comp_targetILNS1_3genE2ELNS1_11target_archE906ELNS1_3gpuE6ELNS1_3repE0EEENS1_30default_config_static_selectorELNS0_4arch9wavefront6targetE1EEEvT1_: ; @_ZN7rocprim17ROCPRIM_400000_NS6detail17trampoline_kernelINS0_14default_configENS1_20scan_config_selectorIfEEZZNS1_9scan_implILNS1_25lookback_scan_determinismE0ELb1ELb1ES3_N6thrust23THRUST_200600_302600_NS6detail15normal_iteratorINS9_10device_ptrIfEEEENSB_INSC_IiEEEEfNS9_4plusIvEEfEEDaPvRmT3_T4_T5_mT6_P12ihipStream_tbENKUlT_T0_E_clISt17integral_constantIbLb1EESV_IbLb0EEEEDaSR_SS_EUlSR_E_NS1_11comp_targetILNS1_3genE2ELNS1_11target_archE906ELNS1_3gpuE6ELNS1_3repE0EEENS1_30default_config_static_selectorELNS0_4arch9wavefront6targetE1EEEvT1_
; %bb.0:
	.section	.rodata,"a",@progbits
	.p2align	6, 0x0
	.amdhsa_kernel _ZN7rocprim17ROCPRIM_400000_NS6detail17trampoline_kernelINS0_14default_configENS1_20scan_config_selectorIfEEZZNS1_9scan_implILNS1_25lookback_scan_determinismE0ELb1ELb1ES3_N6thrust23THRUST_200600_302600_NS6detail15normal_iteratorINS9_10device_ptrIfEEEENSB_INSC_IiEEEEfNS9_4plusIvEEfEEDaPvRmT3_T4_T5_mT6_P12ihipStream_tbENKUlT_T0_E_clISt17integral_constantIbLb1EESV_IbLb0EEEEDaSR_SS_EUlSR_E_NS1_11comp_targetILNS1_3genE2ELNS1_11target_archE906ELNS1_3gpuE6ELNS1_3repE0EEENS1_30default_config_static_selectorELNS0_4arch9wavefront6targetE1EEEvT1_
		.amdhsa_group_segment_fixed_size 0
		.amdhsa_private_segment_fixed_size 0
		.amdhsa_kernarg_size 96
		.amdhsa_user_sgpr_count 6
		.amdhsa_user_sgpr_private_segment_buffer 1
		.amdhsa_user_sgpr_dispatch_ptr 0
		.amdhsa_user_sgpr_queue_ptr 0
		.amdhsa_user_sgpr_kernarg_segment_ptr 1
		.amdhsa_user_sgpr_dispatch_id 0
		.amdhsa_user_sgpr_flat_scratch_init 0
		.amdhsa_user_sgpr_kernarg_preload_length 0
		.amdhsa_user_sgpr_kernarg_preload_offset 0
		.amdhsa_user_sgpr_private_segment_size 0
		.amdhsa_uses_dynamic_stack 0
		.amdhsa_system_sgpr_private_segment_wavefront_offset 0
		.amdhsa_system_sgpr_workgroup_id_x 1
		.amdhsa_system_sgpr_workgroup_id_y 0
		.amdhsa_system_sgpr_workgroup_id_z 0
		.amdhsa_system_sgpr_workgroup_info 0
		.amdhsa_system_vgpr_workitem_id 0
		.amdhsa_next_free_vgpr 1
		.amdhsa_next_free_sgpr 0
		.amdhsa_accum_offset 4
		.amdhsa_reserve_vcc 0
		.amdhsa_reserve_flat_scratch 0
		.amdhsa_float_round_mode_32 0
		.amdhsa_float_round_mode_16_64 0
		.amdhsa_float_denorm_mode_32 3
		.amdhsa_float_denorm_mode_16_64 3
		.amdhsa_dx10_clamp 1
		.amdhsa_ieee_mode 1
		.amdhsa_fp16_overflow 0
		.amdhsa_tg_split 0
		.amdhsa_exception_fp_ieee_invalid_op 0
		.amdhsa_exception_fp_denorm_src 0
		.amdhsa_exception_fp_ieee_div_zero 0
		.amdhsa_exception_fp_ieee_overflow 0
		.amdhsa_exception_fp_ieee_underflow 0
		.amdhsa_exception_fp_ieee_inexact 0
		.amdhsa_exception_int_div_zero 0
	.end_amdhsa_kernel
	.section	.text._ZN7rocprim17ROCPRIM_400000_NS6detail17trampoline_kernelINS0_14default_configENS1_20scan_config_selectorIfEEZZNS1_9scan_implILNS1_25lookback_scan_determinismE0ELb1ELb1ES3_N6thrust23THRUST_200600_302600_NS6detail15normal_iteratorINS9_10device_ptrIfEEEENSB_INSC_IiEEEEfNS9_4plusIvEEfEEDaPvRmT3_T4_T5_mT6_P12ihipStream_tbENKUlT_T0_E_clISt17integral_constantIbLb1EESV_IbLb0EEEEDaSR_SS_EUlSR_E_NS1_11comp_targetILNS1_3genE2ELNS1_11target_archE906ELNS1_3gpuE6ELNS1_3repE0EEENS1_30default_config_static_selectorELNS0_4arch9wavefront6targetE1EEEvT1_,"axG",@progbits,_ZN7rocprim17ROCPRIM_400000_NS6detail17trampoline_kernelINS0_14default_configENS1_20scan_config_selectorIfEEZZNS1_9scan_implILNS1_25lookback_scan_determinismE0ELb1ELb1ES3_N6thrust23THRUST_200600_302600_NS6detail15normal_iteratorINS9_10device_ptrIfEEEENSB_INSC_IiEEEEfNS9_4plusIvEEfEEDaPvRmT3_T4_T5_mT6_P12ihipStream_tbENKUlT_T0_E_clISt17integral_constantIbLb1EESV_IbLb0EEEEDaSR_SS_EUlSR_E_NS1_11comp_targetILNS1_3genE2ELNS1_11target_archE906ELNS1_3gpuE6ELNS1_3repE0EEENS1_30default_config_static_selectorELNS0_4arch9wavefront6targetE1EEEvT1_,comdat
.Lfunc_end1609:
	.size	_ZN7rocprim17ROCPRIM_400000_NS6detail17trampoline_kernelINS0_14default_configENS1_20scan_config_selectorIfEEZZNS1_9scan_implILNS1_25lookback_scan_determinismE0ELb1ELb1ES3_N6thrust23THRUST_200600_302600_NS6detail15normal_iteratorINS9_10device_ptrIfEEEENSB_INSC_IiEEEEfNS9_4plusIvEEfEEDaPvRmT3_T4_T5_mT6_P12ihipStream_tbENKUlT_T0_E_clISt17integral_constantIbLb1EESV_IbLb0EEEEDaSR_SS_EUlSR_E_NS1_11comp_targetILNS1_3genE2ELNS1_11target_archE906ELNS1_3gpuE6ELNS1_3repE0EEENS1_30default_config_static_selectorELNS0_4arch9wavefront6targetE1EEEvT1_, .Lfunc_end1609-_ZN7rocprim17ROCPRIM_400000_NS6detail17trampoline_kernelINS0_14default_configENS1_20scan_config_selectorIfEEZZNS1_9scan_implILNS1_25lookback_scan_determinismE0ELb1ELb1ES3_N6thrust23THRUST_200600_302600_NS6detail15normal_iteratorINS9_10device_ptrIfEEEENSB_INSC_IiEEEEfNS9_4plusIvEEfEEDaPvRmT3_T4_T5_mT6_P12ihipStream_tbENKUlT_T0_E_clISt17integral_constantIbLb1EESV_IbLb0EEEEDaSR_SS_EUlSR_E_NS1_11comp_targetILNS1_3genE2ELNS1_11target_archE906ELNS1_3gpuE6ELNS1_3repE0EEENS1_30default_config_static_selectorELNS0_4arch9wavefront6targetE1EEEvT1_
                                        ; -- End function
	.section	.AMDGPU.csdata,"",@progbits
; Kernel info:
; codeLenInByte = 0
; NumSgprs: 4
; NumVgprs: 0
; NumAgprs: 0
; TotalNumVgprs: 0
; ScratchSize: 0
; MemoryBound: 0
; FloatMode: 240
; IeeeMode: 1
; LDSByteSize: 0 bytes/workgroup (compile time only)
; SGPRBlocks: 0
; VGPRBlocks: 0
; NumSGPRsForWavesPerEU: 4
; NumVGPRsForWavesPerEU: 1
; AccumOffset: 4
; Occupancy: 8
; WaveLimiterHint : 0
; COMPUTE_PGM_RSRC2:SCRATCH_EN: 0
; COMPUTE_PGM_RSRC2:USER_SGPR: 6
; COMPUTE_PGM_RSRC2:TRAP_HANDLER: 0
; COMPUTE_PGM_RSRC2:TGID_X_EN: 1
; COMPUTE_PGM_RSRC2:TGID_Y_EN: 0
; COMPUTE_PGM_RSRC2:TGID_Z_EN: 0
; COMPUTE_PGM_RSRC2:TIDIG_COMP_CNT: 0
; COMPUTE_PGM_RSRC3_GFX90A:ACCUM_OFFSET: 0
; COMPUTE_PGM_RSRC3_GFX90A:TG_SPLIT: 0
	.section	.text._ZN7rocprim17ROCPRIM_400000_NS6detail17trampoline_kernelINS0_14default_configENS1_20scan_config_selectorIfEEZZNS1_9scan_implILNS1_25lookback_scan_determinismE0ELb1ELb1ES3_N6thrust23THRUST_200600_302600_NS6detail15normal_iteratorINS9_10device_ptrIfEEEENSB_INSC_IiEEEEfNS9_4plusIvEEfEEDaPvRmT3_T4_T5_mT6_P12ihipStream_tbENKUlT_T0_E_clISt17integral_constantIbLb1EESV_IbLb0EEEEDaSR_SS_EUlSR_E_NS1_11comp_targetILNS1_3genE10ELNS1_11target_archE1201ELNS1_3gpuE5ELNS1_3repE0EEENS1_30default_config_static_selectorELNS0_4arch9wavefront6targetE1EEEvT1_,"axG",@progbits,_ZN7rocprim17ROCPRIM_400000_NS6detail17trampoline_kernelINS0_14default_configENS1_20scan_config_selectorIfEEZZNS1_9scan_implILNS1_25lookback_scan_determinismE0ELb1ELb1ES3_N6thrust23THRUST_200600_302600_NS6detail15normal_iteratorINS9_10device_ptrIfEEEENSB_INSC_IiEEEEfNS9_4plusIvEEfEEDaPvRmT3_T4_T5_mT6_P12ihipStream_tbENKUlT_T0_E_clISt17integral_constantIbLb1EESV_IbLb0EEEEDaSR_SS_EUlSR_E_NS1_11comp_targetILNS1_3genE10ELNS1_11target_archE1201ELNS1_3gpuE5ELNS1_3repE0EEENS1_30default_config_static_selectorELNS0_4arch9wavefront6targetE1EEEvT1_,comdat
	.protected	_ZN7rocprim17ROCPRIM_400000_NS6detail17trampoline_kernelINS0_14default_configENS1_20scan_config_selectorIfEEZZNS1_9scan_implILNS1_25lookback_scan_determinismE0ELb1ELb1ES3_N6thrust23THRUST_200600_302600_NS6detail15normal_iteratorINS9_10device_ptrIfEEEENSB_INSC_IiEEEEfNS9_4plusIvEEfEEDaPvRmT3_T4_T5_mT6_P12ihipStream_tbENKUlT_T0_E_clISt17integral_constantIbLb1EESV_IbLb0EEEEDaSR_SS_EUlSR_E_NS1_11comp_targetILNS1_3genE10ELNS1_11target_archE1201ELNS1_3gpuE5ELNS1_3repE0EEENS1_30default_config_static_selectorELNS0_4arch9wavefront6targetE1EEEvT1_ ; -- Begin function _ZN7rocprim17ROCPRIM_400000_NS6detail17trampoline_kernelINS0_14default_configENS1_20scan_config_selectorIfEEZZNS1_9scan_implILNS1_25lookback_scan_determinismE0ELb1ELb1ES3_N6thrust23THRUST_200600_302600_NS6detail15normal_iteratorINS9_10device_ptrIfEEEENSB_INSC_IiEEEEfNS9_4plusIvEEfEEDaPvRmT3_T4_T5_mT6_P12ihipStream_tbENKUlT_T0_E_clISt17integral_constantIbLb1EESV_IbLb0EEEEDaSR_SS_EUlSR_E_NS1_11comp_targetILNS1_3genE10ELNS1_11target_archE1201ELNS1_3gpuE5ELNS1_3repE0EEENS1_30default_config_static_selectorELNS0_4arch9wavefront6targetE1EEEvT1_
	.globl	_ZN7rocprim17ROCPRIM_400000_NS6detail17trampoline_kernelINS0_14default_configENS1_20scan_config_selectorIfEEZZNS1_9scan_implILNS1_25lookback_scan_determinismE0ELb1ELb1ES3_N6thrust23THRUST_200600_302600_NS6detail15normal_iteratorINS9_10device_ptrIfEEEENSB_INSC_IiEEEEfNS9_4plusIvEEfEEDaPvRmT3_T4_T5_mT6_P12ihipStream_tbENKUlT_T0_E_clISt17integral_constantIbLb1EESV_IbLb0EEEEDaSR_SS_EUlSR_E_NS1_11comp_targetILNS1_3genE10ELNS1_11target_archE1201ELNS1_3gpuE5ELNS1_3repE0EEENS1_30default_config_static_selectorELNS0_4arch9wavefront6targetE1EEEvT1_
	.p2align	8
	.type	_ZN7rocprim17ROCPRIM_400000_NS6detail17trampoline_kernelINS0_14default_configENS1_20scan_config_selectorIfEEZZNS1_9scan_implILNS1_25lookback_scan_determinismE0ELb1ELb1ES3_N6thrust23THRUST_200600_302600_NS6detail15normal_iteratorINS9_10device_ptrIfEEEENSB_INSC_IiEEEEfNS9_4plusIvEEfEEDaPvRmT3_T4_T5_mT6_P12ihipStream_tbENKUlT_T0_E_clISt17integral_constantIbLb1EESV_IbLb0EEEEDaSR_SS_EUlSR_E_NS1_11comp_targetILNS1_3genE10ELNS1_11target_archE1201ELNS1_3gpuE5ELNS1_3repE0EEENS1_30default_config_static_selectorELNS0_4arch9wavefront6targetE1EEEvT1_,@function
_ZN7rocprim17ROCPRIM_400000_NS6detail17trampoline_kernelINS0_14default_configENS1_20scan_config_selectorIfEEZZNS1_9scan_implILNS1_25lookback_scan_determinismE0ELb1ELb1ES3_N6thrust23THRUST_200600_302600_NS6detail15normal_iteratorINS9_10device_ptrIfEEEENSB_INSC_IiEEEEfNS9_4plusIvEEfEEDaPvRmT3_T4_T5_mT6_P12ihipStream_tbENKUlT_T0_E_clISt17integral_constantIbLb1EESV_IbLb0EEEEDaSR_SS_EUlSR_E_NS1_11comp_targetILNS1_3genE10ELNS1_11target_archE1201ELNS1_3gpuE5ELNS1_3repE0EEENS1_30default_config_static_selectorELNS0_4arch9wavefront6targetE1EEEvT1_: ; @_ZN7rocprim17ROCPRIM_400000_NS6detail17trampoline_kernelINS0_14default_configENS1_20scan_config_selectorIfEEZZNS1_9scan_implILNS1_25lookback_scan_determinismE0ELb1ELb1ES3_N6thrust23THRUST_200600_302600_NS6detail15normal_iteratorINS9_10device_ptrIfEEEENSB_INSC_IiEEEEfNS9_4plusIvEEfEEDaPvRmT3_T4_T5_mT6_P12ihipStream_tbENKUlT_T0_E_clISt17integral_constantIbLb1EESV_IbLb0EEEEDaSR_SS_EUlSR_E_NS1_11comp_targetILNS1_3genE10ELNS1_11target_archE1201ELNS1_3gpuE5ELNS1_3repE0EEENS1_30default_config_static_selectorELNS0_4arch9wavefront6targetE1EEEvT1_
; %bb.0:
	.section	.rodata,"a",@progbits
	.p2align	6, 0x0
	.amdhsa_kernel _ZN7rocprim17ROCPRIM_400000_NS6detail17trampoline_kernelINS0_14default_configENS1_20scan_config_selectorIfEEZZNS1_9scan_implILNS1_25lookback_scan_determinismE0ELb1ELb1ES3_N6thrust23THRUST_200600_302600_NS6detail15normal_iteratorINS9_10device_ptrIfEEEENSB_INSC_IiEEEEfNS9_4plusIvEEfEEDaPvRmT3_T4_T5_mT6_P12ihipStream_tbENKUlT_T0_E_clISt17integral_constantIbLb1EESV_IbLb0EEEEDaSR_SS_EUlSR_E_NS1_11comp_targetILNS1_3genE10ELNS1_11target_archE1201ELNS1_3gpuE5ELNS1_3repE0EEENS1_30default_config_static_selectorELNS0_4arch9wavefront6targetE1EEEvT1_
		.amdhsa_group_segment_fixed_size 0
		.amdhsa_private_segment_fixed_size 0
		.amdhsa_kernarg_size 96
		.amdhsa_user_sgpr_count 6
		.amdhsa_user_sgpr_private_segment_buffer 1
		.amdhsa_user_sgpr_dispatch_ptr 0
		.amdhsa_user_sgpr_queue_ptr 0
		.amdhsa_user_sgpr_kernarg_segment_ptr 1
		.amdhsa_user_sgpr_dispatch_id 0
		.amdhsa_user_sgpr_flat_scratch_init 0
		.amdhsa_user_sgpr_kernarg_preload_length 0
		.amdhsa_user_sgpr_kernarg_preload_offset 0
		.amdhsa_user_sgpr_private_segment_size 0
		.amdhsa_uses_dynamic_stack 0
		.amdhsa_system_sgpr_private_segment_wavefront_offset 0
		.amdhsa_system_sgpr_workgroup_id_x 1
		.amdhsa_system_sgpr_workgroup_id_y 0
		.amdhsa_system_sgpr_workgroup_id_z 0
		.amdhsa_system_sgpr_workgroup_info 0
		.amdhsa_system_vgpr_workitem_id 0
		.amdhsa_next_free_vgpr 1
		.amdhsa_next_free_sgpr 0
		.amdhsa_accum_offset 4
		.amdhsa_reserve_vcc 0
		.amdhsa_reserve_flat_scratch 0
		.amdhsa_float_round_mode_32 0
		.amdhsa_float_round_mode_16_64 0
		.amdhsa_float_denorm_mode_32 3
		.amdhsa_float_denorm_mode_16_64 3
		.amdhsa_dx10_clamp 1
		.amdhsa_ieee_mode 1
		.amdhsa_fp16_overflow 0
		.amdhsa_tg_split 0
		.amdhsa_exception_fp_ieee_invalid_op 0
		.amdhsa_exception_fp_denorm_src 0
		.amdhsa_exception_fp_ieee_div_zero 0
		.amdhsa_exception_fp_ieee_overflow 0
		.amdhsa_exception_fp_ieee_underflow 0
		.amdhsa_exception_fp_ieee_inexact 0
		.amdhsa_exception_int_div_zero 0
	.end_amdhsa_kernel
	.section	.text._ZN7rocprim17ROCPRIM_400000_NS6detail17trampoline_kernelINS0_14default_configENS1_20scan_config_selectorIfEEZZNS1_9scan_implILNS1_25lookback_scan_determinismE0ELb1ELb1ES3_N6thrust23THRUST_200600_302600_NS6detail15normal_iteratorINS9_10device_ptrIfEEEENSB_INSC_IiEEEEfNS9_4plusIvEEfEEDaPvRmT3_T4_T5_mT6_P12ihipStream_tbENKUlT_T0_E_clISt17integral_constantIbLb1EESV_IbLb0EEEEDaSR_SS_EUlSR_E_NS1_11comp_targetILNS1_3genE10ELNS1_11target_archE1201ELNS1_3gpuE5ELNS1_3repE0EEENS1_30default_config_static_selectorELNS0_4arch9wavefront6targetE1EEEvT1_,"axG",@progbits,_ZN7rocprim17ROCPRIM_400000_NS6detail17trampoline_kernelINS0_14default_configENS1_20scan_config_selectorIfEEZZNS1_9scan_implILNS1_25lookback_scan_determinismE0ELb1ELb1ES3_N6thrust23THRUST_200600_302600_NS6detail15normal_iteratorINS9_10device_ptrIfEEEENSB_INSC_IiEEEEfNS9_4plusIvEEfEEDaPvRmT3_T4_T5_mT6_P12ihipStream_tbENKUlT_T0_E_clISt17integral_constantIbLb1EESV_IbLb0EEEEDaSR_SS_EUlSR_E_NS1_11comp_targetILNS1_3genE10ELNS1_11target_archE1201ELNS1_3gpuE5ELNS1_3repE0EEENS1_30default_config_static_selectorELNS0_4arch9wavefront6targetE1EEEvT1_,comdat
.Lfunc_end1610:
	.size	_ZN7rocprim17ROCPRIM_400000_NS6detail17trampoline_kernelINS0_14default_configENS1_20scan_config_selectorIfEEZZNS1_9scan_implILNS1_25lookback_scan_determinismE0ELb1ELb1ES3_N6thrust23THRUST_200600_302600_NS6detail15normal_iteratorINS9_10device_ptrIfEEEENSB_INSC_IiEEEEfNS9_4plusIvEEfEEDaPvRmT3_T4_T5_mT6_P12ihipStream_tbENKUlT_T0_E_clISt17integral_constantIbLb1EESV_IbLb0EEEEDaSR_SS_EUlSR_E_NS1_11comp_targetILNS1_3genE10ELNS1_11target_archE1201ELNS1_3gpuE5ELNS1_3repE0EEENS1_30default_config_static_selectorELNS0_4arch9wavefront6targetE1EEEvT1_, .Lfunc_end1610-_ZN7rocprim17ROCPRIM_400000_NS6detail17trampoline_kernelINS0_14default_configENS1_20scan_config_selectorIfEEZZNS1_9scan_implILNS1_25lookback_scan_determinismE0ELb1ELb1ES3_N6thrust23THRUST_200600_302600_NS6detail15normal_iteratorINS9_10device_ptrIfEEEENSB_INSC_IiEEEEfNS9_4plusIvEEfEEDaPvRmT3_T4_T5_mT6_P12ihipStream_tbENKUlT_T0_E_clISt17integral_constantIbLb1EESV_IbLb0EEEEDaSR_SS_EUlSR_E_NS1_11comp_targetILNS1_3genE10ELNS1_11target_archE1201ELNS1_3gpuE5ELNS1_3repE0EEENS1_30default_config_static_selectorELNS0_4arch9wavefront6targetE1EEEvT1_
                                        ; -- End function
	.section	.AMDGPU.csdata,"",@progbits
; Kernel info:
; codeLenInByte = 0
; NumSgprs: 4
; NumVgprs: 0
; NumAgprs: 0
; TotalNumVgprs: 0
; ScratchSize: 0
; MemoryBound: 0
; FloatMode: 240
; IeeeMode: 1
; LDSByteSize: 0 bytes/workgroup (compile time only)
; SGPRBlocks: 0
; VGPRBlocks: 0
; NumSGPRsForWavesPerEU: 4
; NumVGPRsForWavesPerEU: 1
; AccumOffset: 4
; Occupancy: 8
; WaveLimiterHint : 0
; COMPUTE_PGM_RSRC2:SCRATCH_EN: 0
; COMPUTE_PGM_RSRC2:USER_SGPR: 6
; COMPUTE_PGM_RSRC2:TRAP_HANDLER: 0
; COMPUTE_PGM_RSRC2:TGID_X_EN: 1
; COMPUTE_PGM_RSRC2:TGID_Y_EN: 0
; COMPUTE_PGM_RSRC2:TGID_Z_EN: 0
; COMPUTE_PGM_RSRC2:TIDIG_COMP_CNT: 0
; COMPUTE_PGM_RSRC3_GFX90A:ACCUM_OFFSET: 0
; COMPUTE_PGM_RSRC3_GFX90A:TG_SPLIT: 0
	.section	.text._ZN7rocprim17ROCPRIM_400000_NS6detail17trampoline_kernelINS0_14default_configENS1_20scan_config_selectorIfEEZZNS1_9scan_implILNS1_25lookback_scan_determinismE0ELb1ELb1ES3_N6thrust23THRUST_200600_302600_NS6detail15normal_iteratorINS9_10device_ptrIfEEEENSB_INSC_IiEEEEfNS9_4plusIvEEfEEDaPvRmT3_T4_T5_mT6_P12ihipStream_tbENKUlT_T0_E_clISt17integral_constantIbLb1EESV_IbLb0EEEEDaSR_SS_EUlSR_E_NS1_11comp_targetILNS1_3genE10ELNS1_11target_archE1200ELNS1_3gpuE4ELNS1_3repE0EEENS1_30default_config_static_selectorELNS0_4arch9wavefront6targetE1EEEvT1_,"axG",@progbits,_ZN7rocprim17ROCPRIM_400000_NS6detail17trampoline_kernelINS0_14default_configENS1_20scan_config_selectorIfEEZZNS1_9scan_implILNS1_25lookback_scan_determinismE0ELb1ELb1ES3_N6thrust23THRUST_200600_302600_NS6detail15normal_iteratorINS9_10device_ptrIfEEEENSB_INSC_IiEEEEfNS9_4plusIvEEfEEDaPvRmT3_T4_T5_mT6_P12ihipStream_tbENKUlT_T0_E_clISt17integral_constantIbLb1EESV_IbLb0EEEEDaSR_SS_EUlSR_E_NS1_11comp_targetILNS1_3genE10ELNS1_11target_archE1200ELNS1_3gpuE4ELNS1_3repE0EEENS1_30default_config_static_selectorELNS0_4arch9wavefront6targetE1EEEvT1_,comdat
	.protected	_ZN7rocprim17ROCPRIM_400000_NS6detail17trampoline_kernelINS0_14default_configENS1_20scan_config_selectorIfEEZZNS1_9scan_implILNS1_25lookback_scan_determinismE0ELb1ELb1ES3_N6thrust23THRUST_200600_302600_NS6detail15normal_iteratorINS9_10device_ptrIfEEEENSB_INSC_IiEEEEfNS9_4plusIvEEfEEDaPvRmT3_T4_T5_mT6_P12ihipStream_tbENKUlT_T0_E_clISt17integral_constantIbLb1EESV_IbLb0EEEEDaSR_SS_EUlSR_E_NS1_11comp_targetILNS1_3genE10ELNS1_11target_archE1200ELNS1_3gpuE4ELNS1_3repE0EEENS1_30default_config_static_selectorELNS0_4arch9wavefront6targetE1EEEvT1_ ; -- Begin function _ZN7rocprim17ROCPRIM_400000_NS6detail17trampoline_kernelINS0_14default_configENS1_20scan_config_selectorIfEEZZNS1_9scan_implILNS1_25lookback_scan_determinismE0ELb1ELb1ES3_N6thrust23THRUST_200600_302600_NS6detail15normal_iteratorINS9_10device_ptrIfEEEENSB_INSC_IiEEEEfNS9_4plusIvEEfEEDaPvRmT3_T4_T5_mT6_P12ihipStream_tbENKUlT_T0_E_clISt17integral_constantIbLb1EESV_IbLb0EEEEDaSR_SS_EUlSR_E_NS1_11comp_targetILNS1_3genE10ELNS1_11target_archE1200ELNS1_3gpuE4ELNS1_3repE0EEENS1_30default_config_static_selectorELNS0_4arch9wavefront6targetE1EEEvT1_
	.globl	_ZN7rocprim17ROCPRIM_400000_NS6detail17trampoline_kernelINS0_14default_configENS1_20scan_config_selectorIfEEZZNS1_9scan_implILNS1_25lookback_scan_determinismE0ELb1ELb1ES3_N6thrust23THRUST_200600_302600_NS6detail15normal_iteratorINS9_10device_ptrIfEEEENSB_INSC_IiEEEEfNS9_4plusIvEEfEEDaPvRmT3_T4_T5_mT6_P12ihipStream_tbENKUlT_T0_E_clISt17integral_constantIbLb1EESV_IbLb0EEEEDaSR_SS_EUlSR_E_NS1_11comp_targetILNS1_3genE10ELNS1_11target_archE1200ELNS1_3gpuE4ELNS1_3repE0EEENS1_30default_config_static_selectorELNS0_4arch9wavefront6targetE1EEEvT1_
	.p2align	8
	.type	_ZN7rocprim17ROCPRIM_400000_NS6detail17trampoline_kernelINS0_14default_configENS1_20scan_config_selectorIfEEZZNS1_9scan_implILNS1_25lookback_scan_determinismE0ELb1ELb1ES3_N6thrust23THRUST_200600_302600_NS6detail15normal_iteratorINS9_10device_ptrIfEEEENSB_INSC_IiEEEEfNS9_4plusIvEEfEEDaPvRmT3_T4_T5_mT6_P12ihipStream_tbENKUlT_T0_E_clISt17integral_constantIbLb1EESV_IbLb0EEEEDaSR_SS_EUlSR_E_NS1_11comp_targetILNS1_3genE10ELNS1_11target_archE1200ELNS1_3gpuE4ELNS1_3repE0EEENS1_30default_config_static_selectorELNS0_4arch9wavefront6targetE1EEEvT1_,@function
_ZN7rocprim17ROCPRIM_400000_NS6detail17trampoline_kernelINS0_14default_configENS1_20scan_config_selectorIfEEZZNS1_9scan_implILNS1_25lookback_scan_determinismE0ELb1ELb1ES3_N6thrust23THRUST_200600_302600_NS6detail15normal_iteratorINS9_10device_ptrIfEEEENSB_INSC_IiEEEEfNS9_4plusIvEEfEEDaPvRmT3_T4_T5_mT6_P12ihipStream_tbENKUlT_T0_E_clISt17integral_constantIbLb1EESV_IbLb0EEEEDaSR_SS_EUlSR_E_NS1_11comp_targetILNS1_3genE10ELNS1_11target_archE1200ELNS1_3gpuE4ELNS1_3repE0EEENS1_30default_config_static_selectorELNS0_4arch9wavefront6targetE1EEEvT1_: ; @_ZN7rocprim17ROCPRIM_400000_NS6detail17trampoline_kernelINS0_14default_configENS1_20scan_config_selectorIfEEZZNS1_9scan_implILNS1_25lookback_scan_determinismE0ELb1ELb1ES3_N6thrust23THRUST_200600_302600_NS6detail15normal_iteratorINS9_10device_ptrIfEEEENSB_INSC_IiEEEEfNS9_4plusIvEEfEEDaPvRmT3_T4_T5_mT6_P12ihipStream_tbENKUlT_T0_E_clISt17integral_constantIbLb1EESV_IbLb0EEEEDaSR_SS_EUlSR_E_NS1_11comp_targetILNS1_3genE10ELNS1_11target_archE1200ELNS1_3gpuE4ELNS1_3repE0EEENS1_30default_config_static_selectorELNS0_4arch9wavefront6targetE1EEEvT1_
; %bb.0:
	.section	.rodata,"a",@progbits
	.p2align	6, 0x0
	.amdhsa_kernel _ZN7rocprim17ROCPRIM_400000_NS6detail17trampoline_kernelINS0_14default_configENS1_20scan_config_selectorIfEEZZNS1_9scan_implILNS1_25lookback_scan_determinismE0ELb1ELb1ES3_N6thrust23THRUST_200600_302600_NS6detail15normal_iteratorINS9_10device_ptrIfEEEENSB_INSC_IiEEEEfNS9_4plusIvEEfEEDaPvRmT3_T4_T5_mT6_P12ihipStream_tbENKUlT_T0_E_clISt17integral_constantIbLb1EESV_IbLb0EEEEDaSR_SS_EUlSR_E_NS1_11comp_targetILNS1_3genE10ELNS1_11target_archE1200ELNS1_3gpuE4ELNS1_3repE0EEENS1_30default_config_static_selectorELNS0_4arch9wavefront6targetE1EEEvT1_
		.amdhsa_group_segment_fixed_size 0
		.amdhsa_private_segment_fixed_size 0
		.amdhsa_kernarg_size 96
		.amdhsa_user_sgpr_count 6
		.amdhsa_user_sgpr_private_segment_buffer 1
		.amdhsa_user_sgpr_dispatch_ptr 0
		.amdhsa_user_sgpr_queue_ptr 0
		.amdhsa_user_sgpr_kernarg_segment_ptr 1
		.amdhsa_user_sgpr_dispatch_id 0
		.amdhsa_user_sgpr_flat_scratch_init 0
		.amdhsa_user_sgpr_kernarg_preload_length 0
		.amdhsa_user_sgpr_kernarg_preload_offset 0
		.amdhsa_user_sgpr_private_segment_size 0
		.amdhsa_uses_dynamic_stack 0
		.amdhsa_system_sgpr_private_segment_wavefront_offset 0
		.amdhsa_system_sgpr_workgroup_id_x 1
		.amdhsa_system_sgpr_workgroup_id_y 0
		.amdhsa_system_sgpr_workgroup_id_z 0
		.amdhsa_system_sgpr_workgroup_info 0
		.amdhsa_system_vgpr_workitem_id 0
		.amdhsa_next_free_vgpr 1
		.amdhsa_next_free_sgpr 0
		.amdhsa_accum_offset 4
		.amdhsa_reserve_vcc 0
		.amdhsa_reserve_flat_scratch 0
		.amdhsa_float_round_mode_32 0
		.amdhsa_float_round_mode_16_64 0
		.amdhsa_float_denorm_mode_32 3
		.amdhsa_float_denorm_mode_16_64 3
		.amdhsa_dx10_clamp 1
		.amdhsa_ieee_mode 1
		.amdhsa_fp16_overflow 0
		.amdhsa_tg_split 0
		.amdhsa_exception_fp_ieee_invalid_op 0
		.amdhsa_exception_fp_denorm_src 0
		.amdhsa_exception_fp_ieee_div_zero 0
		.amdhsa_exception_fp_ieee_overflow 0
		.amdhsa_exception_fp_ieee_underflow 0
		.amdhsa_exception_fp_ieee_inexact 0
		.amdhsa_exception_int_div_zero 0
	.end_amdhsa_kernel
	.section	.text._ZN7rocprim17ROCPRIM_400000_NS6detail17trampoline_kernelINS0_14default_configENS1_20scan_config_selectorIfEEZZNS1_9scan_implILNS1_25lookback_scan_determinismE0ELb1ELb1ES3_N6thrust23THRUST_200600_302600_NS6detail15normal_iteratorINS9_10device_ptrIfEEEENSB_INSC_IiEEEEfNS9_4plusIvEEfEEDaPvRmT3_T4_T5_mT6_P12ihipStream_tbENKUlT_T0_E_clISt17integral_constantIbLb1EESV_IbLb0EEEEDaSR_SS_EUlSR_E_NS1_11comp_targetILNS1_3genE10ELNS1_11target_archE1200ELNS1_3gpuE4ELNS1_3repE0EEENS1_30default_config_static_selectorELNS0_4arch9wavefront6targetE1EEEvT1_,"axG",@progbits,_ZN7rocprim17ROCPRIM_400000_NS6detail17trampoline_kernelINS0_14default_configENS1_20scan_config_selectorIfEEZZNS1_9scan_implILNS1_25lookback_scan_determinismE0ELb1ELb1ES3_N6thrust23THRUST_200600_302600_NS6detail15normal_iteratorINS9_10device_ptrIfEEEENSB_INSC_IiEEEEfNS9_4plusIvEEfEEDaPvRmT3_T4_T5_mT6_P12ihipStream_tbENKUlT_T0_E_clISt17integral_constantIbLb1EESV_IbLb0EEEEDaSR_SS_EUlSR_E_NS1_11comp_targetILNS1_3genE10ELNS1_11target_archE1200ELNS1_3gpuE4ELNS1_3repE0EEENS1_30default_config_static_selectorELNS0_4arch9wavefront6targetE1EEEvT1_,comdat
.Lfunc_end1611:
	.size	_ZN7rocprim17ROCPRIM_400000_NS6detail17trampoline_kernelINS0_14default_configENS1_20scan_config_selectorIfEEZZNS1_9scan_implILNS1_25lookback_scan_determinismE0ELb1ELb1ES3_N6thrust23THRUST_200600_302600_NS6detail15normal_iteratorINS9_10device_ptrIfEEEENSB_INSC_IiEEEEfNS9_4plusIvEEfEEDaPvRmT3_T4_T5_mT6_P12ihipStream_tbENKUlT_T0_E_clISt17integral_constantIbLb1EESV_IbLb0EEEEDaSR_SS_EUlSR_E_NS1_11comp_targetILNS1_3genE10ELNS1_11target_archE1200ELNS1_3gpuE4ELNS1_3repE0EEENS1_30default_config_static_selectorELNS0_4arch9wavefront6targetE1EEEvT1_, .Lfunc_end1611-_ZN7rocprim17ROCPRIM_400000_NS6detail17trampoline_kernelINS0_14default_configENS1_20scan_config_selectorIfEEZZNS1_9scan_implILNS1_25lookback_scan_determinismE0ELb1ELb1ES3_N6thrust23THRUST_200600_302600_NS6detail15normal_iteratorINS9_10device_ptrIfEEEENSB_INSC_IiEEEEfNS9_4plusIvEEfEEDaPvRmT3_T4_T5_mT6_P12ihipStream_tbENKUlT_T0_E_clISt17integral_constantIbLb1EESV_IbLb0EEEEDaSR_SS_EUlSR_E_NS1_11comp_targetILNS1_3genE10ELNS1_11target_archE1200ELNS1_3gpuE4ELNS1_3repE0EEENS1_30default_config_static_selectorELNS0_4arch9wavefront6targetE1EEEvT1_
                                        ; -- End function
	.section	.AMDGPU.csdata,"",@progbits
; Kernel info:
; codeLenInByte = 0
; NumSgprs: 4
; NumVgprs: 0
; NumAgprs: 0
; TotalNumVgprs: 0
; ScratchSize: 0
; MemoryBound: 0
; FloatMode: 240
; IeeeMode: 1
; LDSByteSize: 0 bytes/workgroup (compile time only)
; SGPRBlocks: 0
; VGPRBlocks: 0
; NumSGPRsForWavesPerEU: 4
; NumVGPRsForWavesPerEU: 1
; AccumOffset: 4
; Occupancy: 8
; WaveLimiterHint : 0
; COMPUTE_PGM_RSRC2:SCRATCH_EN: 0
; COMPUTE_PGM_RSRC2:USER_SGPR: 6
; COMPUTE_PGM_RSRC2:TRAP_HANDLER: 0
; COMPUTE_PGM_RSRC2:TGID_X_EN: 1
; COMPUTE_PGM_RSRC2:TGID_Y_EN: 0
; COMPUTE_PGM_RSRC2:TGID_Z_EN: 0
; COMPUTE_PGM_RSRC2:TIDIG_COMP_CNT: 0
; COMPUTE_PGM_RSRC3_GFX90A:ACCUM_OFFSET: 0
; COMPUTE_PGM_RSRC3_GFX90A:TG_SPLIT: 0
	.section	.text._ZN7rocprim17ROCPRIM_400000_NS6detail17trampoline_kernelINS0_14default_configENS1_20scan_config_selectorIfEEZZNS1_9scan_implILNS1_25lookback_scan_determinismE0ELb1ELb1ES3_N6thrust23THRUST_200600_302600_NS6detail15normal_iteratorINS9_10device_ptrIfEEEENSB_INSC_IiEEEEfNS9_4plusIvEEfEEDaPvRmT3_T4_T5_mT6_P12ihipStream_tbENKUlT_T0_E_clISt17integral_constantIbLb1EESV_IbLb0EEEEDaSR_SS_EUlSR_E_NS1_11comp_targetILNS1_3genE9ELNS1_11target_archE1100ELNS1_3gpuE3ELNS1_3repE0EEENS1_30default_config_static_selectorELNS0_4arch9wavefront6targetE1EEEvT1_,"axG",@progbits,_ZN7rocprim17ROCPRIM_400000_NS6detail17trampoline_kernelINS0_14default_configENS1_20scan_config_selectorIfEEZZNS1_9scan_implILNS1_25lookback_scan_determinismE0ELb1ELb1ES3_N6thrust23THRUST_200600_302600_NS6detail15normal_iteratorINS9_10device_ptrIfEEEENSB_INSC_IiEEEEfNS9_4plusIvEEfEEDaPvRmT3_T4_T5_mT6_P12ihipStream_tbENKUlT_T0_E_clISt17integral_constantIbLb1EESV_IbLb0EEEEDaSR_SS_EUlSR_E_NS1_11comp_targetILNS1_3genE9ELNS1_11target_archE1100ELNS1_3gpuE3ELNS1_3repE0EEENS1_30default_config_static_selectorELNS0_4arch9wavefront6targetE1EEEvT1_,comdat
	.protected	_ZN7rocprim17ROCPRIM_400000_NS6detail17trampoline_kernelINS0_14default_configENS1_20scan_config_selectorIfEEZZNS1_9scan_implILNS1_25lookback_scan_determinismE0ELb1ELb1ES3_N6thrust23THRUST_200600_302600_NS6detail15normal_iteratorINS9_10device_ptrIfEEEENSB_INSC_IiEEEEfNS9_4plusIvEEfEEDaPvRmT3_T4_T5_mT6_P12ihipStream_tbENKUlT_T0_E_clISt17integral_constantIbLb1EESV_IbLb0EEEEDaSR_SS_EUlSR_E_NS1_11comp_targetILNS1_3genE9ELNS1_11target_archE1100ELNS1_3gpuE3ELNS1_3repE0EEENS1_30default_config_static_selectorELNS0_4arch9wavefront6targetE1EEEvT1_ ; -- Begin function _ZN7rocprim17ROCPRIM_400000_NS6detail17trampoline_kernelINS0_14default_configENS1_20scan_config_selectorIfEEZZNS1_9scan_implILNS1_25lookback_scan_determinismE0ELb1ELb1ES3_N6thrust23THRUST_200600_302600_NS6detail15normal_iteratorINS9_10device_ptrIfEEEENSB_INSC_IiEEEEfNS9_4plusIvEEfEEDaPvRmT3_T4_T5_mT6_P12ihipStream_tbENKUlT_T0_E_clISt17integral_constantIbLb1EESV_IbLb0EEEEDaSR_SS_EUlSR_E_NS1_11comp_targetILNS1_3genE9ELNS1_11target_archE1100ELNS1_3gpuE3ELNS1_3repE0EEENS1_30default_config_static_selectorELNS0_4arch9wavefront6targetE1EEEvT1_
	.globl	_ZN7rocprim17ROCPRIM_400000_NS6detail17trampoline_kernelINS0_14default_configENS1_20scan_config_selectorIfEEZZNS1_9scan_implILNS1_25lookback_scan_determinismE0ELb1ELb1ES3_N6thrust23THRUST_200600_302600_NS6detail15normal_iteratorINS9_10device_ptrIfEEEENSB_INSC_IiEEEEfNS9_4plusIvEEfEEDaPvRmT3_T4_T5_mT6_P12ihipStream_tbENKUlT_T0_E_clISt17integral_constantIbLb1EESV_IbLb0EEEEDaSR_SS_EUlSR_E_NS1_11comp_targetILNS1_3genE9ELNS1_11target_archE1100ELNS1_3gpuE3ELNS1_3repE0EEENS1_30default_config_static_selectorELNS0_4arch9wavefront6targetE1EEEvT1_
	.p2align	8
	.type	_ZN7rocprim17ROCPRIM_400000_NS6detail17trampoline_kernelINS0_14default_configENS1_20scan_config_selectorIfEEZZNS1_9scan_implILNS1_25lookback_scan_determinismE0ELb1ELb1ES3_N6thrust23THRUST_200600_302600_NS6detail15normal_iteratorINS9_10device_ptrIfEEEENSB_INSC_IiEEEEfNS9_4plusIvEEfEEDaPvRmT3_T4_T5_mT6_P12ihipStream_tbENKUlT_T0_E_clISt17integral_constantIbLb1EESV_IbLb0EEEEDaSR_SS_EUlSR_E_NS1_11comp_targetILNS1_3genE9ELNS1_11target_archE1100ELNS1_3gpuE3ELNS1_3repE0EEENS1_30default_config_static_selectorELNS0_4arch9wavefront6targetE1EEEvT1_,@function
_ZN7rocprim17ROCPRIM_400000_NS6detail17trampoline_kernelINS0_14default_configENS1_20scan_config_selectorIfEEZZNS1_9scan_implILNS1_25lookback_scan_determinismE0ELb1ELb1ES3_N6thrust23THRUST_200600_302600_NS6detail15normal_iteratorINS9_10device_ptrIfEEEENSB_INSC_IiEEEEfNS9_4plusIvEEfEEDaPvRmT3_T4_T5_mT6_P12ihipStream_tbENKUlT_T0_E_clISt17integral_constantIbLb1EESV_IbLb0EEEEDaSR_SS_EUlSR_E_NS1_11comp_targetILNS1_3genE9ELNS1_11target_archE1100ELNS1_3gpuE3ELNS1_3repE0EEENS1_30default_config_static_selectorELNS0_4arch9wavefront6targetE1EEEvT1_: ; @_ZN7rocprim17ROCPRIM_400000_NS6detail17trampoline_kernelINS0_14default_configENS1_20scan_config_selectorIfEEZZNS1_9scan_implILNS1_25lookback_scan_determinismE0ELb1ELb1ES3_N6thrust23THRUST_200600_302600_NS6detail15normal_iteratorINS9_10device_ptrIfEEEENSB_INSC_IiEEEEfNS9_4plusIvEEfEEDaPvRmT3_T4_T5_mT6_P12ihipStream_tbENKUlT_T0_E_clISt17integral_constantIbLb1EESV_IbLb0EEEEDaSR_SS_EUlSR_E_NS1_11comp_targetILNS1_3genE9ELNS1_11target_archE1100ELNS1_3gpuE3ELNS1_3repE0EEENS1_30default_config_static_selectorELNS0_4arch9wavefront6targetE1EEEvT1_
; %bb.0:
	.section	.rodata,"a",@progbits
	.p2align	6, 0x0
	.amdhsa_kernel _ZN7rocprim17ROCPRIM_400000_NS6detail17trampoline_kernelINS0_14default_configENS1_20scan_config_selectorIfEEZZNS1_9scan_implILNS1_25lookback_scan_determinismE0ELb1ELb1ES3_N6thrust23THRUST_200600_302600_NS6detail15normal_iteratorINS9_10device_ptrIfEEEENSB_INSC_IiEEEEfNS9_4plusIvEEfEEDaPvRmT3_T4_T5_mT6_P12ihipStream_tbENKUlT_T0_E_clISt17integral_constantIbLb1EESV_IbLb0EEEEDaSR_SS_EUlSR_E_NS1_11comp_targetILNS1_3genE9ELNS1_11target_archE1100ELNS1_3gpuE3ELNS1_3repE0EEENS1_30default_config_static_selectorELNS0_4arch9wavefront6targetE1EEEvT1_
		.amdhsa_group_segment_fixed_size 0
		.amdhsa_private_segment_fixed_size 0
		.amdhsa_kernarg_size 96
		.amdhsa_user_sgpr_count 6
		.amdhsa_user_sgpr_private_segment_buffer 1
		.amdhsa_user_sgpr_dispatch_ptr 0
		.amdhsa_user_sgpr_queue_ptr 0
		.amdhsa_user_sgpr_kernarg_segment_ptr 1
		.amdhsa_user_sgpr_dispatch_id 0
		.amdhsa_user_sgpr_flat_scratch_init 0
		.amdhsa_user_sgpr_kernarg_preload_length 0
		.amdhsa_user_sgpr_kernarg_preload_offset 0
		.amdhsa_user_sgpr_private_segment_size 0
		.amdhsa_uses_dynamic_stack 0
		.amdhsa_system_sgpr_private_segment_wavefront_offset 0
		.amdhsa_system_sgpr_workgroup_id_x 1
		.amdhsa_system_sgpr_workgroup_id_y 0
		.amdhsa_system_sgpr_workgroup_id_z 0
		.amdhsa_system_sgpr_workgroup_info 0
		.amdhsa_system_vgpr_workitem_id 0
		.amdhsa_next_free_vgpr 1
		.amdhsa_next_free_sgpr 0
		.amdhsa_accum_offset 4
		.amdhsa_reserve_vcc 0
		.amdhsa_reserve_flat_scratch 0
		.amdhsa_float_round_mode_32 0
		.amdhsa_float_round_mode_16_64 0
		.amdhsa_float_denorm_mode_32 3
		.amdhsa_float_denorm_mode_16_64 3
		.amdhsa_dx10_clamp 1
		.amdhsa_ieee_mode 1
		.amdhsa_fp16_overflow 0
		.amdhsa_tg_split 0
		.amdhsa_exception_fp_ieee_invalid_op 0
		.amdhsa_exception_fp_denorm_src 0
		.amdhsa_exception_fp_ieee_div_zero 0
		.amdhsa_exception_fp_ieee_overflow 0
		.amdhsa_exception_fp_ieee_underflow 0
		.amdhsa_exception_fp_ieee_inexact 0
		.amdhsa_exception_int_div_zero 0
	.end_amdhsa_kernel
	.section	.text._ZN7rocprim17ROCPRIM_400000_NS6detail17trampoline_kernelINS0_14default_configENS1_20scan_config_selectorIfEEZZNS1_9scan_implILNS1_25lookback_scan_determinismE0ELb1ELb1ES3_N6thrust23THRUST_200600_302600_NS6detail15normal_iteratorINS9_10device_ptrIfEEEENSB_INSC_IiEEEEfNS9_4plusIvEEfEEDaPvRmT3_T4_T5_mT6_P12ihipStream_tbENKUlT_T0_E_clISt17integral_constantIbLb1EESV_IbLb0EEEEDaSR_SS_EUlSR_E_NS1_11comp_targetILNS1_3genE9ELNS1_11target_archE1100ELNS1_3gpuE3ELNS1_3repE0EEENS1_30default_config_static_selectorELNS0_4arch9wavefront6targetE1EEEvT1_,"axG",@progbits,_ZN7rocprim17ROCPRIM_400000_NS6detail17trampoline_kernelINS0_14default_configENS1_20scan_config_selectorIfEEZZNS1_9scan_implILNS1_25lookback_scan_determinismE0ELb1ELb1ES3_N6thrust23THRUST_200600_302600_NS6detail15normal_iteratorINS9_10device_ptrIfEEEENSB_INSC_IiEEEEfNS9_4plusIvEEfEEDaPvRmT3_T4_T5_mT6_P12ihipStream_tbENKUlT_T0_E_clISt17integral_constantIbLb1EESV_IbLb0EEEEDaSR_SS_EUlSR_E_NS1_11comp_targetILNS1_3genE9ELNS1_11target_archE1100ELNS1_3gpuE3ELNS1_3repE0EEENS1_30default_config_static_selectorELNS0_4arch9wavefront6targetE1EEEvT1_,comdat
.Lfunc_end1612:
	.size	_ZN7rocprim17ROCPRIM_400000_NS6detail17trampoline_kernelINS0_14default_configENS1_20scan_config_selectorIfEEZZNS1_9scan_implILNS1_25lookback_scan_determinismE0ELb1ELb1ES3_N6thrust23THRUST_200600_302600_NS6detail15normal_iteratorINS9_10device_ptrIfEEEENSB_INSC_IiEEEEfNS9_4plusIvEEfEEDaPvRmT3_T4_T5_mT6_P12ihipStream_tbENKUlT_T0_E_clISt17integral_constantIbLb1EESV_IbLb0EEEEDaSR_SS_EUlSR_E_NS1_11comp_targetILNS1_3genE9ELNS1_11target_archE1100ELNS1_3gpuE3ELNS1_3repE0EEENS1_30default_config_static_selectorELNS0_4arch9wavefront6targetE1EEEvT1_, .Lfunc_end1612-_ZN7rocprim17ROCPRIM_400000_NS6detail17trampoline_kernelINS0_14default_configENS1_20scan_config_selectorIfEEZZNS1_9scan_implILNS1_25lookback_scan_determinismE0ELb1ELb1ES3_N6thrust23THRUST_200600_302600_NS6detail15normal_iteratorINS9_10device_ptrIfEEEENSB_INSC_IiEEEEfNS9_4plusIvEEfEEDaPvRmT3_T4_T5_mT6_P12ihipStream_tbENKUlT_T0_E_clISt17integral_constantIbLb1EESV_IbLb0EEEEDaSR_SS_EUlSR_E_NS1_11comp_targetILNS1_3genE9ELNS1_11target_archE1100ELNS1_3gpuE3ELNS1_3repE0EEENS1_30default_config_static_selectorELNS0_4arch9wavefront6targetE1EEEvT1_
                                        ; -- End function
	.section	.AMDGPU.csdata,"",@progbits
; Kernel info:
; codeLenInByte = 0
; NumSgprs: 4
; NumVgprs: 0
; NumAgprs: 0
; TotalNumVgprs: 0
; ScratchSize: 0
; MemoryBound: 0
; FloatMode: 240
; IeeeMode: 1
; LDSByteSize: 0 bytes/workgroup (compile time only)
; SGPRBlocks: 0
; VGPRBlocks: 0
; NumSGPRsForWavesPerEU: 4
; NumVGPRsForWavesPerEU: 1
; AccumOffset: 4
; Occupancy: 8
; WaveLimiterHint : 0
; COMPUTE_PGM_RSRC2:SCRATCH_EN: 0
; COMPUTE_PGM_RSRC2:USER_SGPR: 6
; COMPUTE_PGM_RSRC2:TRAP_HANDLER: 0
; COMPUTE_PGM_RSRC2:TGID_X_EN: 1
; COMPUTE_PGM_RSRC2:TGID_Y_EN: 0
; COMPUTE_PGM_RSRC2:TGID_Z_EN: 0
; COMPUTE_PGM_RSRC2:TIDIG_COMP_CNT: 0
; COMPUTE_PGM_RSRC3_GFX90A:ACCUM_OFFSET: 0
; COMPUTE_PGM_RSRC3_GFX90A:TG_SPLIT: 0
	.section	.text._ZN7rocprim17ROCPRIM_400000_NS6detail17trampoline_kernelINS0_14default_configENS1_20scan_config_selectorIfEEZZNS1_9scan_implILNS1_25lookback_scan_determinismE0ELb1ELb1ES3_N6thrust23THRUST_200600_302600_NS6detail15normal_iteratorINS9_10device_ptrIfEEEENSB_INSC_IiEEEEfNS9_4plusIvEEfEEDaPvRmT3_T4_T5_mT6_P12ihipStream_tbENKUlT_T0_E_clISt17integral_constantIbLb1EESV_IbLb0EEEEDaSR_SS_EUlSR_E_NS1_11comp_targetILNS1_3genE8ELNS1_11target_archE1030ELNS1_3gpuE2ELNS1_3repE0EEENS1_30default_config_static_selectorELNS0_4arch9wavefront6targetE1EEEvT1_,"axG",@progbits,_ZN7rocprim17ROCPRIM_400000_NS6detail17trampoline_kernelINS0_14default_configENS1_20scan_config_selectorIfEEZZNS1_9scan_implILNS1_25lookback_scan_determinismE0ELb1ELb1ES3_N6thrust23THRUST_200600_302600_NS6detail15normal_iteratorINS9_10device_ptrIfEEEENSB_INSC_IiEEEEfNS9_4plusIvEEfEEDaPvRmT3_T4_T5_mT6_P12ihipStream_tbENKUlT_T0_E_clISt17integral_constantIbLb1EESV_IbLb0EEEEDaSR_SS_EUlSR_E_NS1_11comp_targetILNS1_3genE8ELNS1_11target_archE1030ELNS1_3gpuE2ELNS1_3repE0EEENS1_30default_config_static_selectorELNS0_4arch9wavefront6targetE1EEEvT1_,comdat
	.protected	_ZN7rocprim17ROCPRIM_400000_NS6detail17trampoline_kernelINS0_14default_configENS1_20scan_config_selectorIfEEZZNS1_9scan_implILNS1_25lookback_scan_determinismE0ELb1ELb1ES3_N6thrust23THRUST_200600_302600_NS6detail15normal_iteratorINS9_10device_ptrIfEEEENSB_INSC_IiEEEEfNS9_4plusIvEEfEEDaPvRmT3_T4_T5_mT6_P12ihipStream_tbENKUlT_T0_E_clISt17integral_constantIbLb1EESV_IbLb0EEEEDaSR_SS_EUlSR_E_NS1_11comp_targetILNS1_3genE8ELNS1_11target_archE1030ELNS1_3gpuE2ELNS1_3repE0EEENS1_30default_config_static_selectorELNS0_4arch9wavefront6targetE1EEEvT1_ ; -- Begin function _ZN7rocprim17ROCPRIM_400000_NS6detail17trampoline_kernelINS0_14default_configENS1_20scan_config_selectorIfEEZZNS1_9scan_implILNS1_25lookback_scan_determinismE0ELb1ELb1ES3_N6thrust23THRUST_200600_302600_NS6detail15normal_iteratorINS9_10device_ptrIfEEEENSB_INSC_IiEEEEfNS9_4plusIvEEfEEDaPvRmT3_T4_T5_mT6_P12ihipStream_tbENKUlT_T0_E_clISt17integral_constantIbLb1EESV_IbLb0EEEEDaSR_SS_EUlSR_E_NS1_11comp_targetILNS1_3genE8ELNS1_11target_archE1030ELNS1_3gpuE2ELNS1_3repE0EEENS1_30default_config_static_selectorELNS0_4arch9wavefront6targetE1EEEvT1_
	.globl	_ZN7rocprim17ROCPRIM_400000_NS6detail17trampoline_kernelINS0_14default_configENS1_20scan_config_selectorIfEEZZNS1_9scan_implILNS1_25lookback_scan_determinismE0ELb1ELb1ES3_N6thrust23THRUST_200600_302600_NS6detail15normal_iteratorINS9_10device_ptrIfEEEENSB_INSC_IiEEEEfNS9_4plusIvEEfEEDaPvRmT3_T4_T5_mT6_P12ihipStream_tbENKUlT_T0_E_clISt17integral_constantIbLb1EESV_IbLb0EEEEDaSR_SS_EUlSR_E_NS1_11comp_targetILNS1_3genE8ELNS1_11target_archE1030ELNS1_3gpuE2ELNS1_3repE0EEENS1_30default_config_static_selectorELNS0_4arch9wavefront6targetE1EEEvT1_
	.p2align	8
	.type	_ZN7rocprim17ROCPRIM_400000_NS6detail17trampoline_kernelINS0_14default_configENS1_20scan_config_selectorIfEEZZNS1_9scan_implILNS1_25lookback_scan_determinismE0ELb1ELb1ES3_N6thrust23THRUST_200600_302600_NS6detail15normal_iteratorINS9_10device_ptrIfEEEENSB_INSC_IiEEEEfNS9_4plusIvEEfEEDaPvRmT3_T4_T5_mT6_P12ihipStream_tbENKUlT_T0_E_clISt17integral_constantIbLb1EESV_IbLb0EEEEDaSR_SS_EUlSR_E_NS1_11comp_targetILNS1_3genE8ELNS1_11target_archE1030ELNS1_3gpuE2ELNS1_3repE0EEENS1_30default_config_static_selectorELNS0_4arch9wavefront6targetE1EEEvT1_,@function
_ZN7rocprim17ROCPRIM_400000_NS6detail17trampoline_kernelINS0_14default_configENS1_20scan_config_selectorIfEEZZNS1_9scan_implILNS1_25lookback_scan_determinismE0ELb1ELb1ES3_N6thrust23THRUST_200600_302600_NS6detail15normal_iteratorINS9_10device_ptrIfEEEENSB_INSC_IiEEEEfNS9_4plusIvEEfEEDaPvRmT3_T4_T5_mT6_P12ihipStream_tbENKUlT_T0_E_clISt17integral_constantIbLb1EESV_IbLb0EEEEDaSR_SS_EUlSR_E_NS1_11comp_targetILNS1_3genE8ELNS1_11target_archE1030ELNS1_3gpuE2ELNS1_3repE0EEENS1_30default_config_static_selectorELNS0_4arch9wavefront6targetE1EEEvT1_: ; @_ZN7rocprim17ROCPRIM_400000_NS6detail17trampoline_kernelINS0_14default_configENS1_20scan_config_selectorIfEEZZNS1_9scan_implILNS1_25lookback_scan_determinismE0ELb1ELb1ES3_N6thrust23THRUST_200600_302600_NS6detail15normal_iteratorINS9_10device_ptrIfEEEENSB_INSC_IiEEEEfNS9_4plusIvEEfEEDaPvRmT3_T4_T5_mT6_P12ihipStream_tbENKUlT_T0_E_clISt17integral_constantIbLb1EESV_IbLb0EEEEDaSR_SS_EUlSR_E_NS1_11comp_targetILNS1_3genE8ELNS1_11target_archE1030ELNS1_3gpuE2ELNS1_3repE0EEENS1_30default_config_static_selectorELNS0_4arch9wavefront6targetE1EEEvT1_
; %bb.0:
	.section	.rodata,"a",@progbits
	.p2align	6, 0x0
	.amdhsa_kernel _ZN7rocprim17ROCPRIM_400000_NS6detail17trampoline_kernelINS0_14default_configENS1_20scan_config_selectorIfEEZZNS1_9scan_implILNS1_25lookback_scan_determinismE0ELb1ELb1ES3_N6thrust23THRUST_200600_302600_NS6detail15normal_iteratorINS9_10device_ptrIfEEEENSB_INSC_IiEEEEfNS9_4plusIvEEfEEDaPvRmT3_T4_T5_mT6_P12ihipStream_tbENKUlT_T0_E_clISt17integral_constantIbLb1EESV_IbLb0EEEEDaSR_SS_EUlSR_E_NS1_11comp_targetILNS1_3genE8ELNS1_11target_archE1030ELNS1_3gpuE2ELNS1_3repE0EEENS1_30default_config_static_selectorELNS0_4arch9wavefront6targetE1EEEvT1_
		.amdhsa_group_segment_fixed_size 0
		.amdhsa_private_segment_fixed_size 0
		.amdhsa_kernarg_size 96
		.amdhsa_user_sgpr_count 6
		.amdhsa_user_sgpr_private_segment_buffer 1
		.amdhsa_user_sgpr_dispatch_ptr 0
		.amdhsa_user_sgpr_queue_ptr 0
		.amdhsa_user_sgpr_kernarg_segment_ptr 1
		.amdhsa_user_sgpr_dispatch_id 0
		.amdhsa_user_sgpr_flat_scratch_init 0
		.amdhsa_user_sgpr_kernarg_preload_length 0
		.amdhsa_user_sgpr_kernarg_preload_offset 0
		.amdhsa_user_sgpr_private_segment_size 0
		.amdhsa_uses_dynamic_stack 0
		.amdhsa_system_sgpr_private_segment_wavefront_offset 0
		.amdhsa_system_sgpr_workgroup_id_x 1
		.amdhsa_system_sgpr_workgroup_id_y 0
		.amdhsa_system_sgpr_workgroup_id_z 0
		.amdhsa_system_sgpr_workgroup_info 0
		.amdhsa_system_vgpr_workitem_id 0
		.amdhsa_next_free_vgpr 1
		.amdhsa_next_free_sgpr 0
		.amdhsa_accum_offset 4
		.amdhsa_reserve_vcc 0
		.amdhsa_reserve_flat_scratch 0
		.amdhsa_float_round_mode_32 0
		.amdhsa_float_round_mode_16_64 0
		.amdhsa_float_denorm_mode_32 3
		.amdhsa_float_denorm_mode_16_64 3
		.amdhsa_dx10_clamp 1
		.amdhsa_ieee_mode 1
		.amdhsa_fp16_overflow 0
		.amdhsa_tg_split 0
		.amdhsa_exception_fp_ieee_invalid_op 0
		.amdhsa_exception_fp_denorm_src 0
		.amdhsa_exception_fp_ieee_div_zero 0
		.amdhsa_exception_fp_ieee_overflow 0
		.amdhsa_exception_fp_ieee_underflow 0
		.amdhsa_exception_fp_ieee_inexact 0
		.amdhsa_exception_int_div_zero 0
	.end_amdhsa_kernel
	.section	.text._ZN7rocprim17ROCPRIM_400000_NS6detail17trampoline_kernelINS0_14default_configENS1_20scan_config_selectorIfEEZZNS1_9scan_implILNS1_25lookback_scan_determinismE0ELb1ELb1ES3_N6thrust23THRUST_200600_302600_NS6detail15normal_iteratorINS9_10device_ptrIfEEEENSB_INSC_IiEEEEfNS9_4plusIvEEfEEDaPvRmT3_T4_T5_mT6_P12ihipStream_tbENKUlT_T0_E_clISt17integral_constantIbLb1EESV_IbLb0EEEEDaSR_SS_EUlSR_E_NS1_11comp_targetILNS1_3genE8ELNS1_11target_archE1030ELNS1_3gpuE2ELNS1_3repE0EEENS1_30default_config_static_selectorELNS0_4arch9wavefront6targetE1EEEvT1_,"axG",@progbits,_ZN7rocprim17ROCPRIM_400000_NS6detail17trampoline_kernelINS0_14default_configENS1_20scan_config_selectorIfEEZZNS1_9scan_implILNS1_25lookback_scan_determinismE0ELb1ELb1ES3_N6thrust23THRUST_200600_302600_NS6detail15normal_iteratorINS9_10device_ptrIfEEEENSB_INSC_IiEEEEfNS9_4plusIvEEfEEDaPvRmT3_T4_T5_mT6_P12ihipStream_tbENKUlT_T0_E_clISt17integral_constantIbLb1EESV_IbLb0EEEEDaSR_SS_EUlSR_E_NS1_11comp_targetILNS1_3genE8ELNS1_11target_archE1030ELNS1_3gpuE2ELNS1_3repE0EEENS1_30default_config_static_selectorELNS0_4arch9wavefront6targetE1EEEvT1_,comdat
.Lfunc_end1613:
	.size	_ZN7rocprim17ROCPRIM_400000_NS6detail17trampoline_kernelINS0_14default_configENS1_20scan_config_selectorIfEEZZNS1_9scan_implILNS1_25lookback_scan_determinismE0ELb1ELb1ES3_N6thrust23THRUST_200600_302600_NS6detail15normal_iteratorINS9_10device_ptrIfEEEENSB_INSC_IiEEEEfNS9_4plusIvEEfEEDaPvRmT3_T4_T5_mT6_P12ihipStream_tbENKUlT_T0_E_clISt17integral_constantIbLb1EESV_IbLb0EEEEDaSR_SS_EUlSR_E_NS1_11comp_targetILNS1_3genE8ELNS1_11target_archE1030ELNS1_3gpuE2ELNS1_3repE0EEENS1_30default_config_static_selectorELNS0_4arch9wavefront6targetE1EEEvT1_, .Lfunc_end1613-_ZN7rocprim17ROCPRIM_400000_NS6detail17trampoline_kernelINS0_14default_configENS1_20scan_config_selectorIfEEZZNS1_9scan_implILNS1_25lookback_scan_determinismE0ELb1ELb1ES3_N6thrust23THRUST_200600_302600_NS6detail15normal_iteratorINS9_10device_ptrIfEEEENSB_INSC_IiEEEEfNS9_4plusIvEEfEEDaPvRmT3_T4_T5_mT6_P12ihipStream_tbENKUlT_T0_E_clISt17integral_constantIbLb1EESV_IbLb0EEEEDaSR_SS_EUlSR_E_NS1_11comp_targetILNS1_3genE8ELNS1_11target_archE1030ELNS1_3gpuE2ELNS1_3repE0EEENS1_30default_config_static_selectorELNS0_4arch9wavefront6targetE1EEEvT1_
                                        ; -- End function
	.section	.AMDGPU.csdata,"",@progbits
; Kernel info:
; codeLenInByte = 0
; NumSgprs: 4
; NumVgprs: 0
; NumAgprs: 0
; TotalNumVgprs: 0
; ScratchSize: 0
; MemoryBound: 0
; FloatMode: 240
; IeeeMode: 1
; LDSByteSize: 0 bytes/workgroup (compile time only)
; SGPRBlocks: 0
; VGPRBlocks: 0
; NumSGPRsForWavesPerEU: 4
; NumVGPRsForWavesPerEU: 1
; AccumOffset: 4
; Occupancy: 8
; WaveLimiterHint : 0
; COMPUTE_PGM_RSRC2:SCRATCH_EN: 0
; COMPUTE_PGM_RSRC2:USER_SGPR: 6
; COMPUTE_PGM_RSRC2:TRAP_HANDLER: 0
; COMPUTE_PGM_RSRC2:TGID_X_EN: 1
; COMPUTE_PGM_RSRC2:TGID_Y_EN: 0
; COMPUTE_PGM_RSRC2:TGID_Z_EN: 0
; COMPUTE_PGM_RSRC2:TIDIG_COMP_CNT: 0
; COMPUTE_PGM_RSRC3_GFX90A:ACCUM_OFFSET: 0
; COMPUTE_PGM_RSRC3_GFX90A:TG_SPLIT: 0
	.section	.text._ZN7rocprim17ROCPRIM_400000_NS6detail17trampoline_kernelINS0_14default_configENS1_20scan_config_selectorIfEEZZNS1_9scan_implILNS1_25lookback_scan_determinismE0ELb1ELb1ES3_N6thrust23THRUST_200600_302600_NS6detail15normal_iteratorINS9_10device_ptrIfEEEENSB_INSC_IiEEEEfNS9_4plusIvEEfEEDaPvRmT3_T4_T5_mT6_P12ihipStream_tbENKUlT_T0_E_clISt17integral_constantIbLb1EESV_IbLb0EEEEDaSR_SS_EUlSR_E0_NS1_11comp_targetILNS1_3genE0ELNS1_11target_archE4294967295ELNS1_3gpuE0ELNS1_3repE0EEENS1_30default_config_static_selectorELNS0_4arch9wavefront6targetE1EEEvT1_,"axG",@progbits,_ZN7rocprim17ROCPRIM_400000_NS6detail17trampoline_kernelINS0_14default_configENS1_20scan_config_selectorIfEEZZNS1_9scan_implILNS1_25lookback_scan_determinismE0ELb1ELb1ES3_N6thrust23THRUST_200600_302600_NS6detail15normal_iteratorINS9_10device_ptrIfEEEENSB_INSC_IiEEEEfNS9_4plusIvEEfEEDaPvRmT3_T4_T5_mT6_P12ihipStream_tbENKUlT_T0_E_clISt17integral_constantIbLb1EESV_IbLb0EEEEDaSR_SS_EUlSR_E0_NS1_11comp_targetILNS1_3genE0ELNS1_11target_archE4294967295ELNS1_3gpuE0ELNS1_3repE0EEENS1_30default_config_static_selectorELNS0_4arch9wavefront6targetE1EEEvT1_,comdat
	.protected	_ZN7rocprim17ROCPRIM_400000_NS6detail17trampoline_kernelINS0_14default_configENS1_20scan_config_selectorIfEEZZNS1_9scan_implILNS1_25lookback_scan_determinismE0ELb1ELb1ES3_N6thrust23THRUST_200600_302600_NS6detail15normal_iteratorINS9_10device_ptrIfEEEENSB_INSC_IiEEEEfNS9_4plusIvEEfEEDaPvRmT3_T4_T5_mT6_P12ihipStream_tbENKUlT_T0_E_clISt17integral_constantIbLb1EESV_IbLb0EEEEDaSR_SS_EUlSR_E0_NS1_11comp_targetILNS1_3genE0ELNS1_11target_archE4294967295ELNS1_3gpuE0ELNS1_3repE0EEENS1_30default_config_static_selectorELNS0_4arch9wavefront6targetE1EEEvT1_ ; -- Begin function _ZN7rocprim17ROCPRIM_400000_NS6detail17trampoline_kernelINS0_14default_configENS1_20scan_config_selectorIfEEZZNS1_9scan_implILNS1_25lookback_scan_determinismE0ELb1ELb1ES3_N6thrust23THRUST_200600_302600_NS6detail15normal_iteratorINS9_10device_ptrIfEEEENSB_INSC_IiEEEEfNS9_4plusIvEEfEEDaPvRmT3_T4_T5_mT6_P12ihipStream_tbENKUlT_T0_E_clISt17integral_constantIbLb1EESV_IbLb0EEEEDaSR_SS_EUlSR_E0_NS1_11comp_targetILNS1_3genE0ELNS1_11target_archE4294967295ELNS1_3gpuE0ELNS1_3repE0EEENS1_30default_config_static_selectorELNS0_4arch9wavefront6targetE1EEEvT1_
	.globl	_ZN7rocprim17ROCPRIM_400000_NS6detail17trampoline_kernelINS0_14default_configENS1_20scan_config_selectorIfEEZZNS1_9scan_implILNS1_25lookback_scan_determinismE0ELb1ELb1ES3_N6thrust23THRUST_200600_302600_NS6detail15normal_iteratorINS9_10device_ptrIfEEEENSB_INSC_IiEEEEfNS9_4plusIvEEfEEDaPvRmT3_T4_T5_mT6_P12ihipStream_tbENKUlT_T0_E_clISt17integral_constantIbLb1EESV_IbLb0EEEEDaSR_SS_EUlSR_E0_NS1_11comp_targetILNS1_3genE0ELNS1_11target_archE4294967295ELNS1_3gpuE0ELNS1_3repE0EEENS1_30default_config_static_selectorELNS0_4arch9wavefront6targetE1EEEvT1_
	.p2align	8
	.type	_ZN7rocprim17ROCPRIM_400000_NS6detail17trampoline_kernelINS0_14default_configENS1_20scan_config_selectorIfEEZZNS1_9scan_implILNS1_25lookback_scan_determinismE0ELb1ELb1ES3_N6thrust23THRUST_200600_302600_NS6detail15normal_iteratorINS9_10device_ptrIfEEEENSB_INSC_IiEEEEfNS9_4plusIvEEfEEDaPvRmT3_T4_T5_mT6_P12ihipStream_tbENKUlT_T0_E_clISt17integral_constantIbLb1EESV_IbLb0EEEEDaSR_SS_EUlSR_E0_NS1_11comp_targetILNS1_3genE0ELNS1_11target_archE4294967295ELNS1_3gpuE0ELNS1_3repE0EEENS1_30default_config_static_selectorELNS0_4arch9wavefront6targetE1EEEvT1_,@function
_ZN7rocprim17ROCPRIM_400000_NS6detail17trampoline_kernelINS0_14default_configENS1_20scan_config_selectorIfEEZZNS1_9scan_implILNS1_25lookback_scan_determinismE0ELb1ELb1ES3_N6thrust23THRUST_200600_302600_NS6detail15normal_iteratorINS9_10device_ptrIfEEEENSB_INSC_IiEEEEfNS9_4plusIvEEfEEDaPvRmT3_T4_T5_mT6_P12ihipStream_tbENKUlT_T0_E_clISt17integral_constantIbLb1EESV_IbLb0EEEEDaSR_SS_EUlSR_E0_NS1_11comp_targetILNS1_3genE0ELNS1_11target_archE4294967295ELNS1_3gpuE0ELNS1_3repE0EEENS1_30default_config_static_selectorELNS0_4arch9wavefront6targetE1EEEvT1_: ; @_ZN7rocprim17ROCPRIM_400000_NS6detail17trampoline_kernelINS0_14default_configENS1_20scan_config_selectorIfEEZZNS1_9scan_implILNS1_25lookback_scan_determinismE0ELb1ELb1ES3_N6thrust23THRUST_200600_302600_NS6detail15normal_iteratorINS9_10device_ptrIfEEEENSB_INSC_IiEEEEfNS9_4plusIvEEfEEDaPvRmT3_T4_T5_mT6_P12ihipStream_tbENKUlT_T0_E_clISt17integral_constantIbLb1EESV_IbLb0EEEEDaSR_SS_EUlSR_E0_NS1_11comp_targetILNS1_3genE0ELNS1_11target_archE4294967295ELNS1_3gpuE0ELNS1_3repE0EEENS1_30default_config_static_selectorELNS0_4arch9wavefront6targetE1EEEvT1_
; %bb.0:
	.section	.rodata,"a",@progbits
	.p2align	6, 0x0
	.amdhsa_kernel _ZN7rocprim17ROCPRIM_400000_NS6detail17trampoline_kernelINS0_14default_configENS1_20scan_config_selectorIfEEZZNS1_9scan_implILNS1_25lookback_scan_determinismE0ELb1ELb1ES3_N6thrust23THRUST_200600_302600_NS6detail15normal_iteratorINS9_10device_ptrIfEEEENSB_INSC_IiEEEEfNS9_4plusIvEEfEEDaPvRmT3_T4_T5_mT6_P12ihipStream_tbENKUlT_T0_E_clISt17integral_constantIbLb1EESV_IbLb0EEEEDaSR_SS_EUlSR_E0_NS1_11comp_targetILNS1_3genE0ELNS1_11target_archE4294967295ELNS1_3gpuE0ELNS1_3repE0EEENS1_30default_config_static_selectorELNS0_4arch9wavefront6targetE1EEEvT1_
		.amdhsa_group_segment_fixed_size 0
		.amdhsa_private_segment_fixed_size 0
		.amdhsa_kernarg_size 32
		.amdhsa_user_sgpr_count 6
		.amdhsa_user_sgpr_private_segment_buffer 1
		.amdhsa_user_sgpr_dispatch_ptr 0
		.amdhsa_user_sgpr_queue_ptr 0
		.amdhsa_user_sgpr_kernarg_segment_ptr 1
		.amdhsa_user_sgpr_dispatch_id 0
		.amdhsa_user_sgpr_flat_scratch_init 0
		.amdhsa_user_sgpr_kernarg_preload_length 0
		.amdhsa_user_sgpr_kernarg_preload_offset 0
		.amdhsa_user_sgpr_private_segment_size 0
		.amdhsa_uses_dynamic_stack 0
		.amdhsa_system_sgpr_private_segment_wavefront_offset 0
		.amdhsa_system_sgpr_workgroup_id_x 1
		.amdhsa_system_sgpr_workgroup_id_y 0
		.amdhsa_system_sgpr_workgroup_id_z 0
		.amdhsa_system_sgpr_workgroup_info 0
		.amdhsa_system_vgpr_workitem_id 0
		.amdhsa_next_free_vgpr 1
		.amdhsa_next_free_sgpr 0
		.amdhsa_accum_offset 4
		.amdhsa_reserve_vcc 0
		.amdhsa_reserve_flat_scratch 0
		.amdhsa_float_round_mode_32 0
		.amdhsa_float_round_mode_16_64 0
		.amdhsa_float_denorm_mode_32 3
		.amdhsa_float_denorm_mode_16_64 3
		.amdhsa_dx10_clamp 1
		.amdhsa_ieee_mode 1
		.amdhsa_fp16_overflow 0
		.amdhsa_tg_split 0
		.amdhsa_exception_fp_ieee_invalid_op 0
		.amdhsa_exception_fp_denorm_src 0
		.amdhsa_exception_fp_ieee_div_zero 0
		.amdhsa_exception_fp_ieee_overflow 0
		.amdhsa_exception_fp_ieee_underflow 0
		.amdhsa_exception_fp_ieee_inexact 0
		.amdhsa_exception_int_div_zero 0
	.end_amdhsa_kernel
	.section	.text._ZN7rocprim17ROCPRIM_400000_NS6detail17trampoline_kernelINS0_14default_configENS1_20scan_config_selectorIfEEZZNS1_9scan_implILNS1_25lookback_scan_determinismE0ELb1ELb1ES3_N6thrust23THRUST_200600_302600_NS6detail15normal_iteratorINS9_10device_ptrIfEEEENSB_INSC_IiEEEEfNS9_4plusIvEEfEEDaPvRmT3_T4_T5_mT6_P12ihipStream_tbENKUlT_T0_E_clISt17integral_constantIbLb1EESV_IbLb0EEEEDaSR_SS_EUlSR_E0_NS1_11comp_targetILNS1_3genE0ELNS1_11target_archE4294967295ELNS1_3gpuE0ELNS1_3repE0EEENS1_30default_config_static_selectorELNS0_4arch9wavefront6targetE1EEEvT1_,"axG",@progbits,_ZN7rocprim17ROCPRIM_400000_NS6detail17trampoline_kernelINS0_14default_configENS1_20scan_config_selectorIfEEZZNS1_9scan_implILNS1_25lookback_scan_determinismE0ELb1ELb1ES3_N6thrust23THRUST_200600_302600_NS6detail15normal_iteratorINS9_10device_ptrIfEEEENSB_INSC_IiEEEEfNS9_4plusIvEEfEEDaPvRmT3_T4_T5_mT6_P12ihipStream_tbENKUlT_T0_E_clISt17integral_constantIbLb1EESV_IbLb0EEEEDaSR_SS_EUlSR_E0_NS1_11comp_targetILNS1_3genE0ELNS1_11target_archE4294967295ELNS1_3gpuE0ELNS1_3repE0EEENS1_30default_config_static_selectorELNS0_4arch9wavefront6targetE1EEEvT1_,comdat
.Lfunc_end1614:
	.size	_ZN7rocprim17ROCPRIM_400000_NS6detail17trampoline_kernelINS0_14default_configENS1_20scan_config_selectorIfEEZZNS1_9scan_implILNS1_25lookback_scan_determinismE0ELb1ELb1ES3_N6thrust23THRUST_200600_302600_NS6detail15normal_iteratorINS9_10device_ptrIfEEEENSB_INSC_IiEEEEfNS9_4plusIvEEfEEDaPvRmT3_T4_T5_mT6_P12ihipStream_tbENKUlT_T0_E_clISt17integral_constantIbLb1EESV_IbLb0EEEEDaSR_SS_EUlSR_E0_NS1_11comp_targetILNS1_3genE0ELNS1_11target_archE4294967295ELNS1_3gpuE0ELNS1_3repE0EEENS1_30default_config_static_selectorELNS0_4arch9wavefront6targetE1EEEvT1_, .Lfunc_end1614-_ZN7rocprim17ROCPRIM_400000_NS6detail17trampoline_kernelINS0_14default_configENS1_20scan_config_selectorIfEEZZNS1_9scan_implILNS1_25lookback_scan_determinismE0ELb1ELb1ES3_N6thrust23THRUST_200600_302600_NS6detail15normal_iteratorINS9_10device_ptrIfEEEENSB_INSC_IiEEEEfNS9_4plusIvEEfEEDaPvRmT3_T4_T5_mT6_P12ihipStream_tbENKUlT_T0_E_clISt17integral_constantIbLb1EESV_IbLb0EEEEDaSR_SS_EUlSR_E0_NS1_11comp_targetILNS1_3genE0ELNS1_11target_archE4294967295ELNS1_3gpuE0ELNS1_3repE0EEENS1_30default_config_static_selectorELNS0_4arch9wavefront6targetE1EEEvT1_
                                        ; -- End function
	.section	.AMDGPU.csdata,"",@progbits
; Kernel info:
; codeLenInByte = 0
; NumSgprs: 4
; NumVgprs: 0
; NumAgprs: 0
; TotalNumVgprs: 0
; ScratchSize: 0
; MemoryBound: 0
; FloatMode: 240
; IeeeMode: 1
; LDSByteSize: 0 bytes/workgroup (compile time only)
; SGPRBlocks: 0
; VGPRBlocks: 0
; NumSGPRsForWavesPerEU: 4
; NumVGPRsForWavesPerEU: 1
; AccumOffset: 4
; Occupancy: 8
; WaveLimiterHint : 0
; COMPUTE_PGM_RSRC2:SCRATCH_EN: 0
; COMPUTE_PGM_RSRC2:USER_SGPR: 6
; COMPUTE_PGM_RSRC2:TRAP_HANDLER: 0
; COMPUTE_PGM_RSRC2:TGID_X_EN: 1
; COMPUTE_PGM_RSRC2:TGID_Y_EN: 0
; COMPUTE_PGM_RSRC2:TGID_Z_EN: 0
; COMPUTE_PGM_RSRC2:TIDIG_COMP_CNT: 0
; COMPUTE_PGM_RSRC3_GFX90A:ACCUM_OFFSET: 0
; COMPUTE_PGM_RSRC3_GFX90A:TG_SPLIT: 0
	.section	.text._ZN7rocprim17ROCPRIM_400000_NS6detail17trampoline_kernelINS0_14default_configENS1_20scan_config_selectorIfEEZZNS1_9scan_implILNS1_25lookback_scan_determinismE0ELb1ELb1ES3_N6thrust23THRUST_200600_302600_NS6detail15normal_iteratorINS9_10device_ptrIfEEEENSB_INSC_IiEEEEfNS9_4plusIvEEfEEDaPvRmT3_T4_T5_mT6_P12ihipStream_tbENKUlT_T0_E_clISt17integral_constantIbLb1EESV_IbLb0EEEEDaSR_SS_EUlSR_E0_NS1_11comp_targetILNS1_3genE5ELNS1_11target_archE942ELNS1_3gpuE9ELNS1_3repE0EEENS1_30default_config_static_selectorELNS0_4arch9wavefront6targetE1EEEvT1_,"axG",@progbits,_ZN7rocprim17ROCPRIM_400000_NS6detail17trampoline_kernelINS0_14default_configENS1_20scan_config_selectorIfEEZZNS1_9scan_implILNS1_25lookback_scan_determinismE0ELb1ELb1ES3_N6thrust23THRUST_200600_302600_NS6detail15normal_iteratorINS9_10device_ptrIfEEEENSB_INSC_IiEEEEfNS9_4plusIvEEfEEDaPvRmT3_T4_T5_mT6_P12ihipStream_tbENKUlT_T0_E_clISt17integral_constantIbLb1EESV_IbLb0EEEEDaSR_SS_EUlSR_E0_NS1_11comp_targetILNS1_3genE5ELNS1_11target_archE942ELNS1_3gpuE9ELNS1_3repE0EEENS1_30default_config_static_selectorELNS0_4arch9wavefront6targetE1EEEvT1_,comdat
	.protected	_ZN7rocprim17ROCPRIM_400000_NS6detail17trampoline_kernelINS0_14default_configENS1_20scan_config_selectorIfEEZZNS1_9scan_implILNS1_25lookback_scan_determinismE0ELb1ELb1ES3_N6thrust23THRUST_200600_302600_NS6detail15normal_iteratorINS9_10device_ptrIfEEEENSB_INSC_IiEEEEfNS9_4plusIvEEfEEDaPvRmT3_T4_T5_mT6_P12ihipStream_tbENKUlT_T0_E_clISt17integral_constantIbLb1EESV_IbLb0EEEEDaSR_SS_EUlSR_E0_NS1_11comp_targetILNS1_3genE5ELNS1_11target_archE942ELNS1_3gpuE9ELNS1_3repE0EEENS1_30default_config_static_selectorELNS0_4arch9wavefront6targetE1EEEvT1_ ; -- Begin function _ZN7rocprim17ROCPRIM_400000_NS6detail17trampoline_kernelINS0_14default_configENS1_20scan_config_selectorIfEEZZNS1_9scan_implILNS1_25lookback_scan_determinismE0ELb1ELb1ES3_N6thrust23THRUST_200600_302600_NS6detail15normal_iteratorINS9_10device_ptrIfEEEENSB_INSC_IiEEEEfNS9_4plusIvEEfEEDaPvRmT3_T4_T5_mT6_P12ihipStream_tbENKUlT_T0_E_clISt17integral_constantIbLb1EESV_IbLb0EEEEDaSR_SS_EUlSR_E0_NS1_11comp_targetILNS1_3genE5ELNS1_11target_archE942ELNS1_3gpuE9ELNS1_3repE0EEENS1_30default_config_static_selectorELNS0_4arch9wavefront6targetE1EEEvT1_
	.globl	_ZN7rocprim17ROCPRIM_400000_NS6detail17trampoline_kernelINS0_14default_configENS1_20scan_config_selectorIfEEZZNS1_9scan_implILNS1_25lookback_scan_determinismE0ELb1ELb1ES3_N6thrust23THRUST_200600_302600_NS6detail15normal_iteratorINS9_10device_ptrIfEEEENSB_INSC_IiEEEEfNS9_4plusIvEEfEEDaPvRmT3_T4_T5_mT6_P12ihipStream_tbENKUlT_T0_E_clISt17integral_constantIbLb1EESV_IbLb0EEEEDaSR_SS_EUlSR_E0_NS1_11comp_targetILNS1_3genE5ELNS1_11target_archE942ELNS1_3gpuE9ELNS1_3repE0EEENS1_30default_config_static_selectorELNS0_4arch9wavefront6targetE1EEEvT1_
	.p2align	8
	.type	_ZN7rocprim17ROCPRIM_400000_NS6detail17trampoline_kernelINS0_14default_configENS1_20scan_config_selectorIfEEZZNS1_9scan_implILNS1_25lookback_scan_determinismE0ELb1ELb1ES3_N6thrust23THRUST_200600_302600_NS6detail15normal_iteratorINS9_10device_ptrIfEEEENSB_INSC_IiEEEEfNS9_4plusIvEEfEEDaPvRmT3_T4_T5_mT6_P12ihipStream_tbENKUlT_T0_E_clISt17integral_constantIbLb1EESV_IbLb0EEEEDaSR_SS_EUlSR_E0_NS1_11comp_targetILNS1_3genE5ELNS1_11target_archE942ELNS1_3gpuE9ELNS1_3repE0EEENS1_30default_config_static_selectorELNS0_4arch9wavefront6targetE1EEEvT1_,@function
_ZN7rocprim17ROCPRIM_400000_NS6detail17trampoline_kernelINS0_14default_configENS1_20scan_config_selectorIfEEZZNS1_9scan_implILNS1_25lookback_scan_determinismE0ELb1ELb1ES3_N6thrust23THRUST_200600_302600_NS6detail15normal_iteratorINS9_10device_ptrIfEEEENSB_INSC_IiEEEEfNS9_4plusIvEEfEEDaPvRmT3_T4_T5_mT6_P12ihipStream_tbENKUlT_T0_E_clISt17integral_constantIbLb1EESV_IbLb0EEEEDaSR_SS_EUlSR_E0_NS1_11comp_targetILNS1_3genE5ELNS1_11target_archE942ELNS1_3gpuE9ELNS1_3repE0EEENS1_30default_config_static_selectorELNS0_4arch9wavefront6targetE1EEEvT1_: ; @_ZN7rocprim17ROCPRIM_400000_NS6detail17trampoline_kernelINS0_14default_configENS1_20scan_config_selectorIfEEZZNS1_9scan_implILNS1_25lookback_scan_determinismE0ELb1ELb1ES3_N6thrust23THRUST_200600_302600_NS6detail15normal_iteratorINS9_10device_ptrIfEEEENSB_INSC_IiEEEEfNS9_4plusIvEEfEEDaPvRmT3_T4_T5_mT6_P12ihipStream_tbENKUlT_T0_E_clISt17integral_constantIbLb1EESV_IbLb0EEEEDaSR_SS_EUlSR_E0_NS1_11comp_targetILNS1_3genE5ELNS1_11target_archE942ELNS1_3gpuE9ELNS1_3repE0EEENS1_30default_config_static_selectorELNS0_4arch9wavefront6targetE1EEEvT1_
; %bb.0:
	.section	.rodata,"a",@progbits
	.p2align	6, 0x0
	.amdhsa_kernel _ZN7rocprim17ROCPRIM_400000_NS6detail17trampoline_kernelINS0_14default_configENS1_20scan_config_selectorIfEEZZNS1_9scan_implILNS1_25lookback_scan_determinismE0ELb1ELb1ES3_N6thrust23THRUST_200600_302600_NS6detail15normal_iteratorINS9_10device_ptrIfEEEENSB_INSC_IiEEEEfNS9_4plusIvEEfEEDaPvRmT3_T4_T5_mT6_P12ihipStream_tbENKUlT_T0_E_clISt17integral_constantIbLb1EESV_IbLb0EEEEDaSR_SS_EUlSR_E0_NS1_11comp_targetILNS1_3genE5ELNS1_11target_archE942ELNS1_3gpuE9ELNS1_3repE0EEENS1_30default_config_static_selectorELNS0_4arch9wavefront6targetE1EEEvT1_
		.amdhsa_group_segment_fixed_size 0
		.amdhsa_private_segment_fixed_size 0
		.amdhsa_kernarg_size 32
		.amdhsa_user_sgpr_count 6
		.amdhsa_user_sgpr_private_segment_buffer 1
		.amdhsa_user_sgpr_dispatch_ptr 0
		.amdhsa_user_sgpr_queue_ptr 0
		.amdhsa_user_sgpr_kernarg_segment_ptr 1
		.amdhsa_user_sgpr_dispatch_id 0
		.amdhsa_user_sgpr_flat_scratch_init 0
		.amdhsa_user_sgpr_kernarg_preload_length 0
		.amdhsa_user_sgpr_kernarg_preload_offset 0
		.amdhsa_user_sgpr_private_segment_size 0
		.amdhsa_uses_dynamic_stack 0
		.amdhsa_system_sgpr_private_segment_wavefront_offset 0
		.amdhsa_system_sgpr_workgroup_id_x 1
		.amdhsa_system_sgpr_workgroup_id_y 0
		.amdhsa_system_sgpr_workgroup_id_z 0
		.amdhsa_system_sgpr_workgroup_info 0
		.amdhsa_system_vgpr_workitem_id 0
		.amdhsa_next_free_vgpr 1
		.amdhsa_next_free_sgpr 0
		.amdhsa_accum_offset 4
		.amdhsa_reserve_vcc 0
		.amdhsa_reserve_flat_scratch 0
		.amdhsa_float_round_mode_32 0
		.amdhsa_float_round_mode_16_64 0
		.amdhsa_float_denorm_mode_32 3
		.amdhsa_float_denorm_mode_16_64 3
		.amdhsa_dx10_clamp 1
		.amdhsa_ieee_mode 1
		.amdhsa_fp16_overflow 0
		.amdhsa_tg_split 0
		.amdhsa_exception_fp_ieee_invalid_op 0
		.amdhsa_exception_fp_denorm_src 0
		.amdhsa_exception_fp_ieee_div_zero 0
		.amdhsa_exception_fp_ieee_overflow 0
		.amdhsa_exception_fp_ieee_underflow 0
		.amdhsa_exception_fp_ieee_inexact 0
		.amdhsa_exception_int_div_zero 0
	.end_amdhsa_kernel
	.section	.text._ZN7rocprim17ROCPRIM_400000_NS6detail17trampoline_kernelINS0_14default_configENS1_20scan_config_selectorIfEEZZNS1_9scan_implILNS1_25lookback_scan_determinismE0ELb1ELb1ES3_N6thrust23THRUST_200600_302600_NS6detail15normal_iteratorINS9_10device_ptrIfEEEENSB_INSC_IiEEEEfNS9_4plusIvEEfEEDaPvRmT3_T4_T5_mT6_P12ihipStream_tbENKUlT_T0_E_clISt17integral_constantIbLb1EESV_IbLb0EEEEDaSR_SS_EUlSR_E0_NS1_11comp_targetILNS1_3genE5ELNS1_11target_archE942ELNS1_3gpuE9ELNS1_3repE0EEENS1_30default_config_static_selectorELNS0_4arch9wavefront6targetE1EEEvT1_,"axG",@progbits,_ZN7rocprim17ROCPRIM_400000_NS6detail17trampoline_kernelINS0_14default_configENS1_20scan_config_selectorIfEEZZNS1_9scan_implILNS1_25lookback_scan_determinismE0ELb1ELb1ES3_N6thrust23THRUST_200600_302600_NS6detail15normal_iteratorINS9_10device_ptrIfEEEENSB_INSC_IiEEEEfNS9_4plusIvEEfEEDaPvRmT3_T4_T5_mT6_P12ihipStream_tbENKUlT_T0_E_clISt17integral_constantIbLb1EESV_IbLb0EEEEDaSR_SS_EUlSR_E0_NS1_11comp_targetILNS1_3genE5ELNS1_11target_archE942ELNS1_3gpuE9ELNS1_3repE0EEENS1_30default_config_static_selectorELNS0_4arch9wavefront6targetE1EEEvT1_,comdat
.Lfunc_end1615:
	.size	_ZN7rocprim17ROCPRIM_400000_NS6detail17trampoline_kernelINS0_14default_configENS1_20scan_config_selectorIfEEZZNS1_9scan_implILNS1_25lookback_scan_determinismE0ELb1ELb1ES3_N6thrust23THRUST_200600_302600_NS6detail15normal_iteratorINS9_10device_ptrIfEEEENSB_INSC_IiEEEEfNS9_4plusIvEEfEEDaPvRmT3_T4_T5_mT6_P12ihipStream_tbENKUlT_T0_E_clISt17integral_constantIbLb1EESV_IbLb0EEEEDaSR_SS_EUlSR_E0_NS1_11comp_targetILNS1_3genE5ELNS1_11target_archE942ELNS1_3gpuE9ELNS1_3repE0EEENS1_30default_config_static_selectorELNS0_4arch9wavefront6targetE1EEEvT1_, .Lfunc_end1615-_ZN7rocprim17ROCPRIM_400000_NS6detail17trampoline_kernelINS0_14default_configENS1_20scan_config_selectorIfEEZZNS1_9scan_implILNS1_25lookback_scan_determinismE0ELb1ELb1ES3_N6thrust23THRUST_200600_302600_NS6detail15normal_iteratorINS9_10device_ptrIfEEEENSB_INSC_IiEEEEfNS9_4plusIvEEfEEDaPvRmT3_T4_T5_mT6_P12ihipStream_tbENKUlT_T0_E_clISt17integral_constantIbLb1EESV_IbLb0EEEEDaSR_SS_EUlSR_E0_NS1_11comp_targetILNS1_3genE5ELNS1_11target_archE942ELNS1_3gpuE9ELNS1_3repE0EEENS1_30default_config_static_selectorELNS0_4arch9wavefront6targetE1EEEvT1_
                                        ; -- End function
	.section	.AMDGPU.csdata,"",@progbits
; Kernel info:
; codeLenInByte = 0
; NumSgprs: 4
; NumVgprs: 0
; NumAgprs: 0
; TotalNumVgprs: 0
; ScratchSize: 0
; MemoryBound: 0
; FloatMode: 240
; IeeeMode: 1
; LDSByteSize: 0 bytes/workgroup (compile time only)
; SGPRBlocks: 0
; VGPRBlocks: 0
; NumSGPRsForWavesPerEU: 4
; NumVGPRsForWavesPerEU: 1
; AccumOffset: 4
; Occupancy: 8
; WaveLimiterHint : 0
; COMPUTE_PGM_RSRC2:SCRATCH_EN: 0
; COMPUTE_PGM_RSRC2:USER_SGPR: 6
; COMPUTE_PGM_RSRC2:TRAP_HANDLER: 0
; COMPUTE_PGM_RSRC2:TGID_X_EN: 1
; COMPUTE_PGM_RSRC2:TGID_Y_EN: 0
; COMPUTE_PGM_RSRC2:TGID_Z_EN: 0
; COMPUTE_PGM_RSRC2:TIDIG_COMP_CNT: 0
; COMPUTE_PGM_RSRC3_GFX90A:ACCUM_OFFSET: 0
; COMPUTE_PGM_RSRC3_GFX90A:TG_SPLIT: 0
	.section	.text._ZN7rocprim17ROCPRIM_400000_NS6detail17trampoline_kernelINS0_14default_configENS1_20scan_config_selectorIfEEZZNS1_9scan_implILNS1_25lookback_scan_determinismE0ELb1ELb1ES3_N6thrust23THRUST_200600_302600_NS6detail15normal_iteratorINS9_10device_ptrIfEEEENSB_INSC_IiEEEEfNS9_4plusIvEEfEEDaPvRmT3_T4_T5_mT6_P12ihipStream_tbENKUlT_T0_E_clISt17integral_constantIbLb1EESV_IbLb0EEEEDaSR_SS_EUlSR_E0_NS1_11comp_targetILNS1_3genE4ELNS1_11target_archE910ELNS1_3gpuE8ELNS1_3repE0EEENS1_30default_config_static_selectorELNS0_4arch9wavefront6targetE1EEEvT1_,"axG",@progbits,_ZN7rocprim17ROCPRIM_400000_NS6detail17trampoline_kernelINS0_14default_configENS1_20scan_config_selectorIfEEZZNS1_9scan_implILNS1_25lookback_scan_determinismE0ELb1ELb1ES3_N6thrust23THRUST_200600_302600_NS6detail15normal_iteratorINS9_10device_ptrIfEEEENSB_INSC_IiEEEEfNS9_4plusIvEEfEEDaPvRmT3_T4_T5_mT6_P12ihipStream_tbENKUlT_T0_E_clISt17integral_constantIbLb1EESV_IbLb0EEEEDaSR_SS_EUlSR_E0_NS1_11comp_targetILNS1_3genE4ELNS1_11target_archE910ELNS1_3gpuE8ELNS1_3repE0EEENS1_30default_config_static_selectorELNS0_4arch9wavefront6targetE1EEEvT1_,comdat
	.protected	_ZN7rocprim17ROCPRIM_400000_NS6detail17trampoline_kernelINS0_14default_configENS1_20scan_config_selectorIfEEZZNS1_9scan_implILNS1_25lookback_scan_determinismE0ELb1ELb1ES3_N6thrust23THRUST_200600_302600_NS6detail15normal_iteratorINS9_10device_ptrIfEEEENSB_INSC_IiEEEEfNS9_4plusIvEEfEEDaPvRmT3_T4_T5_mT6_P12ihipStream_tbENKUlT_T0_E_clISt17integral_constantIbLb1EESV_IbLb0EEEEDaSR_SS_EUlSR_E0_NS1_11comp_targetILNS1_3genE4ELNS1_11target_archE910ELNS1_3gpuE8ELNS1_3repE0EEENS1_30default_config_static_selectorELNS0_4arch9wavefront6targetE1EEEvT1_ ; -- Begin function _ZN7rocprim17ROCPRIM_400000_NS6detail17trampoline_kernelINS0_14default_configENS1_20scan_config_selectorIfEEZZNS1_9scan_implILNS1_25lookback_scan_determinismE0ELb1ELb1ES3_N6thrust23THRUST_200600_302600_NS6detail15normal_iteratorINS9_10device_ptrIfEEEENSB_INSC_IiEEEEfNS9_4plusIvEEfEEDaPvRmT3_T4_T5_mT6_P12ihipStream_tbENKUlT_T0_E_clISt17integral_constantIbLb1EESV_IbLb0EEEEDaSR_SS_EUlSR_E0_NS1_11comp_targetILNS1_3genE4ELNS1_11target_archE910ELNS1_3gpuE8ELNS1_3repE0EEENS1_30default_config_static_selectorELNS0_4arch9wavefront6targetE1EEEvT1_
	.globl	_ZN7rocprim17ROCPRIM_400000_NS6detail17trampoline_kernelINS0_14default_configENS1_20scan_config_selectorIfEEZZNS1_9scan_implILNS1_25lookback_scan_determinismE0ELb1ELb1ES3_N6thrust23THRUST_200600_302600_NS6detail15normal_iteratorINS9_10device_ptrIfEEEENSB_INSC_IiEEEEfNS9_4plusIvEEfEEDaPvRmT3_T4_T5_mT6_P12ihipStream_tbENKUlT_T0_E_clISt17integral_constantIbLb1EESV_IbLb0EEEEDaSR_SS_EUlSR_E0_NS1_11comp_targetILNS1_3genE4ELNS1_11target_archE910ELNS1_3gpuE8ELNS1_3repE0EEENS1_30default_config_static_selectorELNS0_4arch9wavefront6targetE1EEEvT1_
	.p2align	8
	.type	_ZN7rocprim17ROCPRIM_400000_NS6detail17trampoline_kernelINS0_14default_configENS1_20scan_config_selectorIfEEZZNS1_9scan_implILNS1_25lookback_scan_determinismE0ELb1ELb1ES3_N6thrust23THRUST_200600_302600_NS6detail15normal_iteratorINS9_10device_ptrIfEEEENSB_INSC_IiEEEEfNS9_4plusIvEEfEEDaPvRmT3_T4_T5_mT6_P12ihipStream_tbENKUlT_T0_E_clISt17integral_constantIbLb1EESV_IbLb0EEEEDaSR_SS_EUlSR_E0_NS1_11comp_targetILNS1_3genE4ELNS1_11target_archE910ELNS1_3gpuE8ELNS1_3repE0EEENS1_30default_config_static_selectorELNS0_4arch9wavefront6targetE1EEEvT1_,@function
_ZN7rocprim17ROCPRIM_400000_NS6detail17trampoline_kernelINS0_14default_configENS1_20scan_config_selectorIfEEZZNS1_9scan_implILNS1_25lookback_scan_determinismE0ELb1ELb1ES3_N6thrust23THRUST_200600_302600_NS6detail15normal_iteratorINS9_10device_ptrIfEEEENSB_INSC_IiEEEEfNS9_4plusIvEEfEEDaPvRmT3_T4_T5_mT6_P12ihipStream_tbENKUlT_T0_E_clISt17integral_constantIbLb1EESV_IbLb0EEEEDaSR_SS_EUlSR_E0_NS1_11comp_targetILNS1_3genE4ELNS1_11target_archE910ELNS1_3gpuE8ELNS1_3repE0EEENS1_30default_config_static_selectorELNS0_4arch9wavefront6targetE1EEEvT1_: ; @_ZN7rocprim17ROCPRIM_400000_NS6detail17trampoline_kernelINS0_14default_configENS1_20scan_config_selectorIfEEZZNS1_9scan_implILNS1_25lookback_scan_determinismE0ELb1ELb1ES3_N6thrust23THRUST_200600_302600_NS6detail15normal_iteratorINS9_10device_ptrIfEEEENSB_INSC_IiEEEEfNS9_4plusIvEEfEEDaPvRmT3_T4_T5_mT6_P12ihipStream_tbENKUlT_T0_E_clISt17integral_constantIbLb1EESV_IbLb0EEEEDaSR_SS_EUlSR_E0_NS1_11comp_targetILNS1_3genE4ELNS1_11target_archE910ELNS1_3gpuE8ELNS1_3repE0EEENS1_30default_config_static_selectorELNS0_4arch9wavefront6targetE1EEEvT1_
; %bb.0:
	s_load_dwordx4 s[28:31], s[4:5], 0x0
	v_lshlrev_b32_e32 v18, 2, v0
	s_waitcnt lgkmcnt(0)
	s_load_dword s31, s[28:29], 0x0
	v_cmp_gt_u32_e32 vcc, s30, v0
	s_waitcnt lgkmcnt(0)
	v_mov_b32_e32 v1, s31
	s_and_saveexec_b64 s[0:1], vcc
	s_cbranch_execz .LBB1616_2
; %bb.1:
	global_load_dword v1, v18, s[28:29]
.LBB1616_2:
	s_or_b64 exec, exec, s[0:1]
	v_or_b32_e32 v2, 0x80, v0
	v_cmp_gt_u32_e64 s[0:1], s30, v2
	v_mov_b32_e32 v2, s31
	s_and_saveexec_b64 s[2:3], s[0:1]
	s_cbranch_execz .LBB1616_4
; %bb.3:
	global_load_dword v2, v18, s[28:29] offset:512
.LBB1616_4:
	s_or_b64 exec, exec, s[2:3]
	v_or_b32_e32 v3, 0x100, v0
	v_cmp_gt_u32_e64 s[2:3], s30, v3
	v_mov_b32_e32 v3, s31
	s_and_saveexec_b64 s[6:7], s[2:3]
	s_cbranch_execz .LBB1616_6
; %bb.5:
	global_load_dword v3, v18, s[28:29] offset:1024
.LBB1616_6:
	;; [unrolled: 9-line block ×7, first 2 shown]
	s_or_b64 exec, exec, s[14:15]
	v_or_b32_e32 v10, 0x400, v0
	v_cmp_gt_u32_e64 s[14:15], s30, v10
	v_mov_b32_e32 v9, s31
	s_and_saveexec_b64 s[16:17], s[14:15]
	s_cbranch_execz .LBB1616_18
; %bb.17:
	v_lshlrev_b32_e32 v9, 2, v10
	global_load_dword v9, v9, s[28:29]
.LBB1616_18:
	s_or_b64 exec, exec, s[16:17]
	v_or_b32_e32 v11, 0x480, v0
	v_cmp_gt_u32_e64 s[16:17], s30, v11
	v_mov_b32_e32 v10, s31
	s_and_saveexec_b64 s[18:19], s[16:17]
	s_cbranch_execz .LBB1616_20
; %bb.19:
	v_lshlrev_b32_e32 v10, 2, v11
	global_load_dword v10, v10, s[28:29]
.LBB1616_20:
	;; [unrolled: 10-line block ×5, first 2 shown]
	s_or_b64 exec, exec, s[24:25]
	s_load_dword s33, s[4:5], 0x10
	v_or_b32_e32 v15, 0x680, v0
	v_cmp_gt_u32_e64 s[24:25], s30, v15
	v_mov_b32_e32 v14, s31
	s_and_saveexec_b64 s[30:31], s[24:25]
	s_cbranch_execz .LBB1616_28
; %bb.27:
	v_lshlrev_b32_e32 v14, 2, v15
	global_load_dword v14, v14, s[28:29]
.LBB1616_28:
	s_or_b64 exec, exec, s[30:31]
	s_waitcnt vmcnt(0)
	ds_write2st64_b32 v18, v1, v2 offset1:2
	ds_write2st64_b32 v18, v3, v4 offset0:4 offset1:6
	ds_write2st64_b32 v18, v5, v6 offset0:8 offset1:10
	;; [unrolled: 1-line block ×6, first 2 shown]
	v_mad_u32_u24 v1, v0, 52, v18
	s_waitcnt lgkmcnt(0)
	s_barrier
	ds_read2_b64 v[10:13], v1 offset1:1
	ds_read2_b64 v[6:9], v1 offset0:2 offset1:3
	ds_read2_b64 v[2:5], v1 offset0:4 offset1:5
	ds_read_b64 v[14:15], v1 offset:48
	s_load_dwordx2 s[34:35], s[4:5], 0x18
	s_waitcnt lgkmcnt(0)
	v_add_f32_e32 v16, v10, v11
	v_add_f32_e32 v16, v16, v12
	;; [unrolled: 1-line block ×13, first 2 shown]
	v_lshrrev_b32_e32 v16, 3, v0
	v_and_b32_e32 v16, 12, v16
	v_add_u32_e32 v16, v18, v16
	v_cmp_gt_u32_e64 s[4:5], 64, v0
	s_barrier
	ds_write_b32 v16, v15
	s_waitcnt lgkmcnt(0)
	s_barrier
	s_and_saveexec_b64 s[36:37], s[4:5]
	s_cbranch_execz .LBB1616_30
; %bb.29:
	v_lshlrev_b32_e32 v16, 1, v0
	v_lshrrev_b32_e32 v17, 4, v0
	v_add_lshl_u32 v19, v17, v16, 2
	ds_read2_b32 v[16:17], v19 offset1:1
	v_mbcnt_lo_u32_b32 v20, -1, 0
	v_mbcnt_hi_u32_b32 v20, -1, v20
	v_and_b32_e32 v21, 15, v20
	v_cmp_eq_u32_e64 s[4:5], 0, v21
	s_waitcnt lgkmcnt(0)
	v_add_f32_e32 v17, v16, v17
	v_cmp_lt_u32_e64 s[28:29], 3, v21
	v_cmp_lt_u32_e64 s[30:31], 31, v20
	v_mov_b32_dpp v22, v17 row_shr:1 row_mask:0xf bank_mask:0xf
	v_add_f32_e32 v22, v17, v22
	v_cndmask_b32_e64 v17, v22, v17, s[4:5]
	v_cmp_lt_u32_e64 s[4:5], 1, v21
	s_nop 0
	v_mov_b32_dpp v22, v17 row_shr:2 row_mask:0xf bank_mask:0xf
	v_add_f32_e32 v22, v17, v22
	v_cndmask_b32_e64 v22, v17, v22, s[4:5]
	; wave barrier
	s_nop 1
	v_mov_b32_dpp v23, v22 row_shr:4 row_mask:0xf bank_mask:0xf
	v_add_f32_e32 v23, v22, v23
	v_cndmask_b32_e64 v22, v22, v23, s[28:29]
	v_cmp_lt_u32_e64 s[28:29], 7, v21
	s_nop 0
	v_mov_b32_dpp v23, v22 row_shr:8 row_mask:0xf bank_mask:0xf
	v_add_f32_e32 v23, v22, v23
	v_cndmask_b32_e64 v21, v22, v23, s[28:29]
	v_and_b32_e32 v23, 16, v20
	v_cmp_eq_u32_e64 s[28:29], 0, v23
	v_mov_b32_dpp v22, v21 row_bcast:15 row_mask:0xf bank_mask:0xf
	v_add_f32_e32 v22, v21, v22
	v_cndmask_b32_e64 v21, v22, v21, s[28:29]
	v_cmp_lt_u32_e64 s[28:29], 15, v20
	s_or_b64 s[4:5], s[28:29], s[4:5]
	v_mov_b32_dpp v22, v21 row_bcast:31 row_mask:0xf bank_mask:0xf
	v_add_f32_e32 v22, v21, v22
	v_cndmask_b32_e64 v21, v21, v22, s[30:31]
	v_cndmask_b32_e64 v17, v17, v21, s[4:5]
	v_add_u32_e32 v21, -1, v20
	v_and_b32_e32 v22, 64, v20
	v_cmp_lt_i32_e64 s[4:5], v21, v22
	v_cndmask_b32_e64 v20, v21, v20, s[4:5]
	v_lshlrev_b32_e32 v20, 2, v20
	ds_bpermute_b32 v17, v20, v17
	v_cmp_eq_u32_e64 s[4:5], 0, v0
	s_waitcnt lgkmcnt(0)
	v_add_f32_e32 v16, v16, v17
	v_cndmask_b32_e64 v15, v16, v15, s[4:5]
	ds_write_b32 v19, v15
	; wave barrier
	ds_read_b32 v16, v19 offset:4
	s_waitcnt lgkmcnt(0)
	v_add_f32_e32 v15, v15, v16
	ds_write_b32 v19, v15 offset:4
.LBB1616_30:
	s_or_b64 exec, exec, s[36:37]
	v_cmp_ne_u32_e64 s[4:5], 0, v0
	v_mov_b32_e32 v16, s33
	s_waitcnt lgkmcnt(0)
	s_barrier
	s_and_saveexec_b64 s[28:29], s[4:5]
	s_cbranch_execz .LBB1616_32
; %bb.31:
	v_add_u32_e32 v15, -1, v0
	v_lshrrev_b32_e32 v16, 5, v15
	v_add_lshl_u32 v15, v16, v15, 2
	ds_read_b32 v15, v15
	s_waitcnt lgkmcnt(0)
	v_add_f32_e32 v16, s33, v15
.LBB1616_32:
	s_or_b64 exec, exec, s[28:29]
	v_add_f32_e32 v17, v10, v16
	v_add_f32_e32 v10, v11, v17
	;; [unrolled: 1-line block ×12, first 2 shown]
	s_movk_i32 s4, 0xffcc
	v_add_f32_e32 v5, v14, v4
	v_mad_i32_i24 v0, v0, s4, v1
	s_barrier
	ds_write2_b64 v1, v[16:17], v[10:11] offset1:1
	ds_write2_b64 v1, v[12:13], v[6:7] offset0:2 offset1:3
	ds_write2_b64 v1, v[8:9], v[2:3] offset0:4 offset1:5
	ds_write_b64 v1, v[4:5] offset:48
	s_waitcnt lgkmcnt(0)
	s_barrier
	ds_read2st64_b32 v[12:13], v0 offset0:2 offset1:4
	ds_read2st64_b32 v[10:11], v0 offset0:6 offset1:8
	;; [unrolled: 1-line block ×4, first 2 shown]
	ds_read_b32 v14, v18 offset:4096
	ds_read2st64_b32 v[4:5], v0 offset0:20 offset1:22
	ds_read2st64_b32 v[2:3], v0 offset0:24 offset1:26
	v_mov_b32_e32 v1, s35
	v_add_co_u32_e64 v0, s[4:5], s34, v18
	v_addc_co_u32_e64 v1, s[4:5], 0, v1, s[4:5]
	s_and_saveexec_b64 s[4:5], vcc
	s_cbranch_execnz .LBB1616_47
; %bb.33:
	s_or_b64 exec, exec, s[4:5]
	s_and_saveexec_b64 s[4:5], s[0:1]
	s_cbranch_execnz .LBB1616_48
.LBB1616_34:
	s_or_b64 exec, exec, s[4:5]
	s_and_saveexec_b64 s[0:1], s[2:3]
	s_cbranch_execnz .LBB1616_49
.LBB1616_35:
	s_or_b64 exec, exec, s[0:1]
	s_and_saveexec_b64 s[0:1], s[26:27]
	s_cbranch_execnz .LBB1616_50
.LBB1616_36:
	s_or_b64 exec, exec, s[0:1]
	s_and_saveexec_b64 s[0:1], s[6:7]
	s_cbranch_execnz .LBB1616_51
.LBB1616_37:
	s_or_b64 exec, exec, s[0:1]
	s_and_saveexec_b64 s[0:1], s[8:9]
	s_cbranch_execnz .LBB1616_52
.LBB1616_38:
	s_or_b64 exec, exec, s[0:1]
	s_and_saveexec_b64 s[0:1], s[10:11]
	s_cbranch_execnz .LBB1616_53
.LBB1616_39:
	s_or_b64 exec, exec, s[0:1]
	s_and_saveexec_b64 s[0:1], s[12:13]
	s_cbranch_execnz .LBB1616_54
.LBB1616_40:
	s_or_b64 exec, exec, s[0:1]
	s_and_saveexec_b64 s[0:1], s[14:15]
	s_cbranch_execnz .LBB1616_55
.LBB1616_41:
	s_or_b64 exec, exec, s[0:1]
	s_and_saveexec_b64 s[0:1], s[16:17]
	s_cbranch_execnz .LBB1616_56
.LBB1616_42:
	s_or_b64 exec, exec, s[0:1]
	s_and_saveexec_b64 s[0:1], s[18:19]
	s_cbranch_execnz .LBB1616_57
.LBB1616_43:
	s_or_b64 exec, exec, s[0:1]
	s_and_saveexec_b64 s[0:1], s[20:21]
	s_cbranch_execnz .LBB1616_58
.LBB1616_44:
	s_or_b64 exec, exec, s[0:1]
	s_and_saveexec_b64 s[0:1], s[22:23]
	s_cbranch_execnz .LBB1616_59
.LBB1616_45:
	s_or_b64 exec, exec, s[0:1]
	s_and_saveexec_b64 s[0:1], s[24:25]
	s_cbranch_execnz .LBB1616_60
.LBB1616_46:
	s_endpgm
.LBB1616_47:
	ds_read_b32 v15, v18
	s_waitcnt lgkmcnt(0)
	v_cvt_i32_f32_e32 v15, v15
	global_store_dword v[0:1], v15, off
	s_or_b64 exec, exec, s[4:5]
	s_and_saveexec_b64 s[4:5], s[0:1]
	s_cbranch_execz .LBB1616_34
.LBB1616_48:
	s_waitcnt lgkmcnt(6)
	v_cvt_i32_f32_e32 v12, v12
	global_store_dword v[0:1], v12, off offset:512
	s_or_b64 exec, exec, s[4:5]
	s_and_saveexec_b64 s[0:1], s[2:3]
	s_cbranch_execz .LBB1616_35
.LBB1616_49:
	s_waitcnt lgkmcnt(6)
	v_cvt_i32_f32_e32 v12, v13
	global_store_dword v[0:1], v12, off offset:1024
	s_or_b64 exec, exec, s[0:1]
	s_and_saveexec_b64 s[0:1], s[26:27]
	s_cbranch_execz .LBB1616_36
.LBB1616_50:
	s_waitcnt lgkmcnt(5)
	v_cvt_i32_f32_e32 v10, v10
	global_store_dword v[0:1], v10, off offset:1536
	s_or_b64 exec, exec, s[0:1]
	s_and_saveexec_b64 s[0:1], s[6:7]
	s_cbranch_execz .LBB1616_37
.LBB1616_51:
	s_waitcnt lgkmcnt(5)
	v_cvt_i32_f32_e32 v10, v11
	global_store_dword v[0:1], v10, off offset:2048
	s_or_b64 exec, exec, s[0:1]
	s_and_saveexec_b64 s[0:1], s[8:9]
	s_cbranch_execz .LBB1616_38
.LBB1616_52:
	s_waitcnt lgkmcnt(4)
	v_cvt_i32_f32_e32 v8, v8
	global_store_dword v[0:1], v8, off offset:2560
	s_or_b64 exec, exec, s[0:1]
	s_and_saveexec_b64 s[0:1], s[10:11]
	s_cbranch_execz .LBB1616_39
.LBB1616_53:
	s_waitcnt lgkmcnt(4)
	v_cvt_i32_f32_e32 v8, v9
	global_store_dword v[0:1], v8, off offset:3072
	s_or_b64 exec, exec, s[0:1]
	s_and_saveexec_b64 s[0:1], s[12:13]
	s_cbranch_execz .LBB1616_40
.LBB1616_54:
	s_waitcnt lgkmcnt(3)
	v_cvt_i32_f32_e32 v6, v6
	global_store_dword v[0:1], v6, off offset:3584
	s_or_b64 exec, exec, s[0:1]
	s_and_saveexec_b64 s[0:1], s[14:15]
	s_cbranch_execz .LBB1616_41
.LBB1616_55:
	s_waitcnt lgkmcnt(2)
	v_cvt_i32_f32_e32 v6, v14
	v_add_co_u32_e32 v8, vcc, 0x1000, v0
	v_addc_co_u32_e32 v9, vcc, 0, v1, vcc
	global_store_dword v[8:9], v6, off
	s_or_b64 exec, exec, s[0:1]
	s_and_saveexec_b64 s[0:1], s[16:17]
	s_cbranch_execz .LBB1616_42
.LBB1616_56:
	s_waitcnt lgkmcnt(3)
	v_cvt_i32_f32_e32 v8, v7
	v_add_co_u32_e32 v6, vcc, 0x1000, v0
	v_addc_co_u32_e32 v7, vcc, 0, v1, vcc
	global_store_dword v[6:7], v8, off offset:512
	s_or_b64 exec, exec, s[0:1]
	s_and_saveexec_b64 s[0:1], s[18:19]
	s_cbranch_execz .LBB1616_43
.LBB1616_57:
	s_waitcnt lgkmcnt(1)
	v_cvt_i32_f32_e32 v4, v4
	v_add_co_u32_e32 v6, vcc, 0x1000, v0
	v_addc_co_u32_e32 v7, vcc, 0, v1, vcc
	global_store_dword v[6:7], v4, off offset:1024
	s_or_b64 exec, exec, s[0:1]
	s_and_saveexec_b64 s[0:1], s[20:21]
	s_cbranch_execz .LBB1616_44
.LBB1616_58:
	s_waitcnt lgkmcnt(1)
	v_cvt_i32_f32_e32 v6, v5
	v_add_co_u32_e32 v4, vcc, 0x1000, v0
	v_addc_co_u32_e32 v5, vcc, 0, v1, vcc
	global_store_dword v[4:5], v6, off offset:1536
	s_or_b64 exec, exec, s[0:1]
	s_and_saveexec_b64 s[0:1], s[22:23]
	s_cbranch_execz .LBB1616_45
.LBB1616_59:
	s_waitcnt lgkmcnt(0)
	v_cvt_i32_f32_e32 v2, v2
	v_add_co_u32_e32 v4, vcc, 0x1000, v0
	v_addc_co_u32_e32 v5, vcc, 0, v1, vcc
	global_store_dword v[4:5], v2, off offset:2048
	s_or_b64 exec, exec, s[0:1]
	s_and_saveexec_b64 s[0:1], s[24:25]
	s_cbranch_execz .LBB1616_46
.LBB1616_60:
	s_waitcnt lgkmcnt(0)
	v_cvt_i32_f32_e32 v2, v3
	v_add_co_u32_e32 v0, vcc, 0x1000, v0
	v_addc_co_u32_e32 v1, vcc, 0, v1, vcc
	global_store_dword v[0:1], v2, off offset:2560
	s_endpgm
	.section	.rodata,"a",@progbits
	.p2align	6, 0x0
	.amdhsa_kernel _ZN7rocprim17ROCPRIM_400000_NS6detail17trampoline_kernelINS0_14default_configENS1_20scan_config_selectorIfEEZZNS1_9scan_implILNS1_25lookback_scan_determinismE0ELb1ELb1ES3_N6thrust23THRUST_200600_302600_NS6detail15normal_iteratorINS9_10device_ptrIfEEEENSB_INSC_IiEEEEfNS9_4plusIvEEfEEDaPvRmT3_T4_T5_mT6_P12ihipStream_tbENKUlT_T0_E_clISt17integral_constantIbLb1EESV_IbLb0EEEEDaSR_SS_EUlSR_E0_NS1_11comp_targetILNS1_3genE4ELNS1_11target_archE910ELNS1_3gpuE8ELNS1_3repE0EEENS1_30default_config_static_selectorELNS0_4arch9wavefront6targetE1EEEvT1_
		.amdhsa_group_segment_fixed_size 7168
		.amdhsa_private_segment_fixed_size 0
		.amdhsa_kernarg_size 32
		.amdhsa_user_sgpr_count 6
		.amdhsa_user_sgpr_private_segment_buffer 1
		.amdhsa_user_sgpr_dispatch_ptr 0
		.amdhsa_user_sgpr_queue_ptr 0
		.amdhsa_user_sgpr_kernarg_segment_ptr 1
		.amdhsa_user_sgpr_dispatch_id 0
		.amdhsa_user_sgpr_flat_scratch_init 0
		.amdhsa_user_sgpr_kernarg_preload_length 0
		.amdhsa_user_sgpr_kernarg_preload_offset 0
		.amdhsa_user_sgpr_private_segment_size 0
		.amdhsa_uses_dynamic_stack 0
		.amdhsa_system_sgpr_private_segment_wavefront_offset 0
		.amdhsa_system_sgpr_workgroup_id_x 1
		.amdhsa_system_sgpr_workgroup_id_y 0
		.amdhsa_system_sgpr_workgroup_id_z 0
		.amdhsa_system_sgpr_workgroup_info 0
		.amdhsa_system_vgpr_workitem_id 0
		.amdhsa_next_free_vgpr 24
		.amdhsa_next_free_sgpr 38
		.amdhsa_accum_offset 24
		.amdhsa_reserve_vcc 1
		.amdhsa_reserve_flat_scratch 0
		.amdhsa_float_round_mode_32 0
		.amdhsa_float_round_mode_16_64 0
		.amdhsa_float_denorm_mode_32 3
		.amdhsa_float_denorm_mode_16_64 3
		.amdhsa_dx10_clamp 1
		.amdhsa_ieee_mode 1
		.amdhsa_fp16_overflow 0
		.amdhsa_tg_split 0
		.amdhsa_exception_fp_ieee_invalid_op 0
		.amdhsa_exception_fp_denorm_src 0
		.amdhsa_exception_fp_ieee_div_zero 0
		.amdhsa_exception_fp_ieee_overflow 0
		.amdhsa_exception_fp_ieee_underflow 0
		.amdhsa_exception_fp_ieee_inexact 0
		.amdhsa_exception_int_div_zero 0
	.end_amdhsa_kernel
	.section	.text._ZN7rocprim17ROCPRIM_400000_NS6detail17trampoline_kernelINS0_14default_configENS1_20scan_config_selectorIfEEZZNS1_9scan_implILNS1_25lookback_scan_determinismE0ELb1ELb1ES3_N6thrust23THRUST_200600_302600_NS6detail15normal_iteratorINS9_10device_ptrIfEEEENSB_INSC_IiEEEEfNS9_4plusIvEEfEEDaPvRmT3_T4_T5_mT6_P12ihipStream_tbENKUlT_T0_E_clISt17integral_constantIbLb1EESV_IbLb0EEEEDaSR_SS_EUlSR_E0_NS1_11comp_targetILNS1_3genE4ELNS1_11target_archE910ELNS1_3gpuE8ELNS1_3repE0EEENS1_30default_config_static_selectorELNS0_4arch9wavefront6targetE1EEEvT1_,"axG",@progbits,_ZN7rocprim17ROCPRIM_400000_NS6detail17trampoline_kernelINS0_14default_configENS1_20scan_config_selectorIfEEZZNS1_9scan_implILNS1_25lookback_scan_determinismE0ELb1ELb1ES3_N6thrust23THRUST_200600_302600_NS6detail15normal_iteratorINS9_10device_ptrIfEEEENSB_INSC_IiEEEEfNS9_4plusIvEEfEEDaPvRmT3_T4_T5_mT6_P12ihipStream_tbENKUlT_T0_E_clISt17integral_constantIbLb1EESV_IbLb0EEEEDaSR_SS_EUlSR_E0_NS1_11comp_targetILNS1_3genE4ELNS1_11target_archE910ELNS1_3gpuE8ELNS1_3repE0EEENS1_30default_config_static_selectorELNS0_4arch9wavefront6targetE1EEEvT1_,comdat
.Lfunc_end1616:
	.size	_ZN7rocprim17ROCPRIM_400000_NS6detail17trampoline_kernelINS0_14default_configENS1_20scan_config_selectorIfEEZZNS1_9scan_implILNS1_25lookback_scan_determinismE0ELb1ELb1ES3_N6thrust23THRUST_200600_302600_NS6detail15normal_iteratorINS9_10device_ptrIfEEEENSB_INSC_IiEEEEfNS9_4plusIvEEfEEDaPvRmT3_T4_T5_mT6_P12ihipStream_tbENKUlT_T0_E_clISt17integral_constantIbLb1EESV_IbLb0EEEEDaSR_SS_EUlSR_E0_NS1_11comp_targetILNS1_3genE4ELNS1_11target_archE910ELNS1_3gpuE8ELNS1_3repE0EEENS1_30default_config_static_selectorELNS0_4arch9wavefront6targetE1EEEvT1_, .Lfunc_end1616-_ZN7rocprim17ROCPRIM_400000_NS6detail17trampoline_kernelINS0_14default_configENS1_20scan_config_selectorIfEEZZNS1_9scan_implILNS1_25lookback_scan_determinismE0ELb1ELb1ES3_N6thrust23THRUST_200600_302600_NS6detail15normal_iteratorINS9_10device_ptrIfEEEENSB_INSC_IiEEEEfNS9_4plusIvEEfEEDaPvRmT3_T4_T5_mT6_P12ihipStream_tbENKUlT_T0_E_clISt17integral_constantIbLb1EESV_IbLb0EEEEDaSR_SS_EUlSR_E0_NS1_11comp_targetILNS1_3genE4ELNS1_11target_archE910ELNS1_3gpuE8ELNS1_3repE0EEENS1_30default_config_static_selectorELNS0_4arch9wavefront6targetE1EEEvT1_
                                        ; -- End function
	.section	.AMDGPU.csdata,"",@progbits
; Kernel info:
; codeLenInByte = 2060
; NumSgprs: 42
; NumVgprs: 24
; NumAgprs: 0
; TotalNumVgprs: 24
; ScratchSize: 0
; MemoryBound: 0
; FloatMode: 240
; IeeeMode: 1
; LDSByteSize: 7168 bytes/workgroup (compile time only)
; SGPRBlocks: 5
; VGPRBlocks: 2
; NumSGPRsForWavesPerEU: 42
; NumVGPRsForWavesPerEU: 24
; AccumOffset: 24
; Occupancy: 5
; WaveLimiterHint : 0
; COMPUTE_PGM_RSRC2:SCRATCH_EN: 0
; COMPUTE_PGM_RSRC2:USER_SGPR: 6
; COMPUTE_PGM_RSRC2:TRAP_HANDLER: 0
; COMPUTE_PGM_RSRC2:TGID_X_EN: 1
; COMPUTE_PGM_RSRC2:TGID_Y_EN: 0
; COMPUTE_PGM_RSRC2:TGID_Z_EN: 0
; COMPUTE_PGM_RSRC2:TIDIG_COMP_CNT: 0
; COMPUTE_PGM_RSRC3_GFX90A:ACCUM_OFFSET: 5
; COMPUTE_PGM_RSRC3_GFX90A:TG_SPLIT: 0
	.section	.text._ZN7rocprim17ROCPRIM_400000_NS6detail17trampoline_kernelINS0_14default_configENS1_20scan_config_selectorIfEEZZNS1_9scan_implILNS1_25lookback_scan_determinismE0ELb1ELb1ES3_N6thrust23THRUST_200600_302600_NS6detail15normal_iteratorINS9_10device_ptrIfEEEENSB_INSC_IiEEEEfNS9_4plusIvEEfEEDaPvRmT3_T4_T5_mT6_P12ihipStream_tbENKUlT_T0_E_clISt17integral_constantIbLb1EESV_IbLb0EEEEDaSR_SS_EUlSR_E0_NS1_11comp_targetILNS1_3genE3ELNS1_11target_archE908ELNS1_3gpuE7ELNS1_3repE0EEENS1_30default_config_static_selectorELNS0_4arch9wavefront6targetE1EEEvT1_,"axG",@progbits,_ZN7rocprim17ROCPRIM_400000_NS6detail17trampoline_kernelINS0_14default_configENS1_20scan_config_selectorIfEEZZNS1_9scan_implILNS1_25lookback_scan_determinismE0ELb1ELb1ES3_N6thrust23THRUST_200600_302600_NS6detail15normal_iteratorINS9_10device_ptrIfEEEENSB_INSC_IiEEEEfNS9_4plusIvEEfEEDaPvRmT3_T4_T5_mT6_P12ihipStream_tbENKUlT_T0_E_clISt17integral_constantIbLb1EESV_IbLb0EEEEDaSR_SS_EUlSR_E0_NS1_11comp_targetILNS1_3genE3ELNS1_11target_archE908ELNS1_3gpuE7ELNS1_3repE0EEENS1_30default_config_static_selectorELNS0_4arch9wavefront6targetE1EEEvT1_,comdat
	.protected	_ZN7rocprim17ROCPRIM_400000_NS6detail17trampoline_kernelINS0_14default_configENS1_20scan_config_selectorIfEEZZNS1_9scan_implILNS1_25lookback_scan_determinismE0ELb1ELb1ES3_N6thrust23THRUST_200600_302600_NS6detail15normal_iteratorINS9_10device_ptrIfEEEENSB_INSC_IiEEEEfNS9_4plusIvEEfEEDaPvRmT3_T4_T5_mT6_P12ihipStream_tbENKUlT_T0_E_clISt17integral_constantIbLb1EESV_IbLb0EEEEDaSR_SS_EUlSR_E0_NS1_11comp_targetILNS1_3genE3ELNS1_11target_archE908ELNS1_3gpuE7ELNS1_3repE0EEENS1_30default_config_static_selectorELNS0_4arch9wavefront6targetE1EEEvT1_ ; -- Begin function _ZN7rocprim17ROCPRIM_400000_NS6detail17trampoline_kernelINS0_14default_configENS1_20scan_config_selectorIfEEZZNS1_9scan_implILNS1_25lookback_scan_determinismE0ELb1ELb1ES3_N6thrust23THRUST_200600_302600_NS6detail15normal_iteratorINS9_10device_ptrIfEEEENSB_INSC_IiEEEEfNS9_4plusIvEEfEEDaPvRmT3_T4_T5_mT6_P12ihipStream_tbENKUlT_T0_E_clISt17integral_constantIbLb1EESV_IbLb0EEEEDaSR_SS_EUlSR_E0_NS1_11comp_targetILNS1_3genE3ELNS1_11target_archE908ELNS1_3gpuE7ELNS1_3repE0EEENS1_30default_config_static_selectorELNS0_4arch9wavefront6targetE1EEEvT1_
	.globl	_ZN7rocprim17ROCPRIM_400000_NS6detail17trampoline_kernelINS0_14default_configENS1_20scan_config_selectorIfEEZZNS1_9scan_implILNS1_25lookback_scan_determinismE0ELb1ELb1ES3_N6thrust23THRUST_200600_302600_NS6detail15normal_iteratorINS9_10device_ptrIfEEEENSB_INSC_IiEEEEfNS9_4plusIvEEfEEDaPvRmT3_T4_T5_mT6_P12ihipStream_tbENKUlT_T0_E_clISt17integral_constantIbLb1EESV_IbLb0EEEEDaSR_SS_EUlSR_E0_NS1_11comp_targetILNS1_3genE3ELNS1_11target_archE908ELNS1_3gpuE7ELNS1_3repE0EEENS1_30default_config_static_selectorELNS0_4arch9wavefront6targetE1EEEvT1_
	.p2align	8
	.type	_ZN7rocprim17ROCPRIM_400000_NS6detail17trampoline_kernelINS0_14default_configENS1_20scan_config_selectorIfEEZZNS1_9scan_implILNS1_25lookback_scan_determinismE0ELb1ELb1ES3_N6thrust23THRUST_200600_302600_NS6detail15normal_iteratorINS9_10device_ptrIfEEEENSB_INSC_IiEEEEfNS9_4plusIvEEfEEDaPvRmT3_T4_T5_mT6_P12ihipStream_tbENKUlT_T0_E_clISt17integral_constantIbLb1EESV_IbLb0EEEEDaSR_SS_EUlSR_E0_NS1_11comp_targetILNS1_3genE3ELNS1_11target_archE908ELNS1_3gpuE7ELNS1_3repE0EEENS1_30default_config_static_selectorELNS0_4arch9wavefront6targetE1EEEvT1_,@function
_ZN7rocprim17ROCPRIM_400000_NS6detail17trampoline_kernelINS0_14default_configENS1_20scan_config_selectorIfEEZZNS1_9scan_implILNS1_25lookback_scan_determinismE0ELb1ELb1ES3_N6thrust23THRUST_200600_302600_NS6detail15normal_iteratorINS9_10device_ptrIfEEEENSB_INSC_IiEEEEfNS9_4plusIvEEfEEDaPvRmT3_T4_T5_mT6_P12ihipStream_tbENKUlT_T0_E_clISt17integral_constantIbLb1EESV_IbLb0EEEEDaSR_SS_EUlSR_E0_NS1_11comp_targetILNS1_3genE3ELNS1_11target_archE908ELNS1_3gpuE7ELNS1_3repE0EEENS1_30default_config_static_selectorELNS0_4arch9wavefront6targetE1EEEvT1_: ; @_ZN7rocprim17ROCPRIM_400000_NS6detail17trampoline_kernelINS0_14default_configENS1_20scan_config_selectorIfEEZZNS1_9scan_implILNS1_25lookback_scan_determinismE0ELb1ELb1ES3_N6thrust23THRUST_200600_302600_NS6detail15normal_iteratorINS9_10device_ptrIfEEEENSB_INSC_IiEEEEfNS9_4plusIvEEfEEDaPvRmT3_T4_T5_mT6_P12ihipStream_tbENKUlT_T0_E_clISt17integral_constantIbLb1EESV_IbLb0EEEEDaSR_SS_EUlSR_E0_NS1_11comp_targetILNS1_3genE3ELNS1_11target_archE908ELNS1_3gpuE7ELNS1_3repE0EEENS1_30default_config_static_selectorELNS0_4arch9wavefront6targetE1EEEvT1_
; %bb.0:
	.section	.rodata,"a",@progbits
	.p2align	6, 0x0
	.amdhsa_kernel _ZN7rocprim17ROCPRIM_400000_NS6detail17trampoline_kernelINS0_14default_configENS1_20scan_config_selectorIfEEZZNS1_9scan_implILNS1_25lookback_scan_determinismE0ELb1ELb1ES3_N6thrust23THRUST_200600_302600_NS6detail15normal_iteratorINS9_10device_ptrIfEEEENSB_INSC_IiEEEEfNS9_4plusIvEEfEEDaPvRmT3_T4_T5_mT6_P12ihipStream_tbENKUlT_T0_E_clISt17integral_constantIbLb1EESV_IbLb0EEEEDaSR_SS_EUlSR_E0_NS1_11comp_targetILNS1_3genE3ELNS1_11target_archE908ELNS1_3gpuE7ELNS1_3repE0EEENS1_30default_config_static_selectorELNS0_4arch9wavefront6targetE1EEEvT1_
		.amdhsa_group_segment_fixed_size 0
		.amdhsa_private_segment_fixed_size 0
		.amdhsa_kernarg_size 32
		.amdhsa_user_sgpr_count 6
		.amdhsa_user_sgpr_private_segment_buffer 1
		.amdhsa_user_sgpr_dispatch_ptr 0
		.amdhsa_user_sgpr_queue_ptr 0
		.amdhsa_user_sgpr_kernarg_segment_ptr 1
		.amdhsa_user_sgpr_dispatch_id 0
		.amdhsa_user_sgpr_flat_scratch_init 0
		.amdhsa_user_sgpr_kernarg_preload_length 0
		.amdhsa_user_sgpr_kernarg_preload_offset 0
		.amdhsa_user_sgpr_private_segment_size 0
		.amdhsa_uses_dynamic_stack 0
		.amdhsa_system_sgpr_private_segment_wavefront_offset 0
		.amdhsa_system_sgpr_workgroup_id_x 1
		.amdhsa_system_sgpr_workgroup_id_y 0
		.amdhsa_system_sgpr_workgroup_id_z 0
		.amdhsa_system_sgpr_workgroup_info 0
		.amdhsa_system_vgpr_workitem_id 0
		.amdhsa_next_free_vgpr 1
		.amdhsa_next_free_sgpr 0
		.amdhsa_accum_offset 4
		.amdhsa_reserve_vcc 0
		.amdhsa_reserve_flat_scratch 0
		.amdhsa_float_round_mode_32 0
		.amdhsa_float_round_mode_16_64 0
		.amdhsa_float_denorm_mode_32 3
		.amdhsa_float_denorm_mode_16_64 3
		.amdhsa_dx10_clamp 1
		.amdhsa_ieee_mode 1
		.amdhsa_fp16_overflow 0
		.amdhsa_tg_split 0
		.amdhsa_exception_fp_ieee_invalid_op 0
		.amdhsa_exception_fp_denorm_src 0
		.amdhsa_exception_fp_ieee_div_zero 0
		.amdhsa_exception_fp_ieee_overflow 0
		.amdhsa_exception_fp_ieee_underflow 0
		.amdhsa_exception_fp_ieee_inexact 0
		.amdhsa_exception_int_div_zero 0
	.end_amdhsa_kernel
	.section	.text._ZN7rocprim17ROCPRIM_400000_NS6detail17trampoline_kernelINS0_14default_configENS1_20scan_config_selectorIfEEZZNS1_9scan_implILNS1_25lookback_scan_determinismE0ELb1ELb1ES3_N6thrust23THRUST_200600_302600_NS6detail15normal_iteratorINS9_10device_ptrIfEEEENSB_INSC_IiEEEEfNS9_4plusIvEEfEEDaPvRmT3_T4_T5_mT6_P12ihipStream_tbENKUlT_T0_E_clISt17integral_constantIbLb1EESV_IbLb0EEEEDaSR_SS_EUlSR_E0_NS1_11comp_targetILNS1_3genE3ELNS1_11target_archE908ELNS1_3gpuE7ELNS1_3repE0EEENS1_30default_config_static_selectorELNS0_4arch9wavefront6targetE1EEEvT1_,"axG",@progbits,_ZN7rocprim17ROCPRIM_400000_NS6detail17trampoline_kernelINS0_14default_configENS1_20scan_config_selectorIfEEZZNS1_9scan_implILNS1_25lookback_scan_determinismE0ELb1ELb1ES3_N6thrust23THRUST_200600_302600_NS6detail15normal_iteratorINS9_10device_ptrIfEEEENSB_INSC_IiEEEEfNS9_4plusIvEEfEEDaPvRmT3_T4_T5_mT6_P12ihipStream_tbENKUlT_T0_E_clISt17integral_constantIbLb1EESV_IbLb0EEEEDaSR_SS_EUlSR_E0_NS1_11comp_targetILNS1_3genE3ELNS1_11target_archE908ELNS1_3gpuE7ELNS1_3repE0EEENS1_30default_config_static_selectorELNS0_4arch9wavefront6targetE1EEEvT1_,comdat
.Lfunc_end1617:
	.size	_ZN7rocprim17ROCPRIM_400000_NS6detail17trampoline_kernelINS0_14default_configENS1_20scan_config_selectorIfEEZZNS1_9scan_implILNS1_25lookback_scan_determinismE0ELb1ELb1ES3_N6thrust23THRUST_200600_302600_NS6detail15normal_iteratorINS9_10device_ptrIfEEEENSB_INSC_IiEEEEfNS9_4plusIvEEfEEDaPvRmT3_T4_T5_mT6_P12ihipStream_tbENKUlT_T0_E_clISt17integral_constantIbLb1EESV_IbLb0EEEEDaSR_SS_EUlSR_E0_NS1_11comp_targetILNS1_3genE3ELNS1_11target_archE908ELNS1_3gpuE7ELNS1_3repE0EEENS1_30default_config_static_selectorELNS0_4arch9wavefront6targetE1EEEvT1_, .Lfunc_end1617-_ZN7rocprim17ROCPRIM_400000_NS6detail17trampoline_kernelINS0_14default_configENS1_20scan_config_selectorIfEEZZNS1_9scan_implILNS1_25lookback_scan_determinismE0ELb1ELb1ES3_N6thrust23THRUST_200600_302600_NS6detail15normal_iteratorINS9_10device_ptrIfEEEENSB_INSC_IiEEEEfNS9_4plusIvEEfEEDaPvRmT3_T4_T5_mT6_P12ihipStream_tbENKUlT_T0_E_clISt17integral_constantIbLb1EESV_IbLb0EEEEDaSR_SS_EUlSR_E0_NS1_11comp_targetILNS1_3genE3ELNS1_11target_archE908ELNS1_3gpuE7ELNS1_3repE0EEENS1_30default_config_static_selectorELNS0_4arch9wavefront6targetE1EEEvT1_
                                        ; -- End function
	.section	.AMDGPU.csdata,"",@progbits
; Kernel info:
; codeLenInByte = 0
; NumSgprs: 4
; NumVgprs: 0
; NumAgprs: 0
; TotalNumVgprs: 0
; ScratchSize: 0
; MemoryBound: 0
; FloatMode: 240
; IeeeMode: 1
; LDSByteSize: 0 bytes/workgroup (compile time only)
; SGPRBlocks: 0
; VGPRBlocks: 0
; NumSGPRsForWavesPerEU: 4
; NumVGPRsForWavesPerEU: 1
; AccumOffset: 4
; Occupancy: 8
; WaveLimiterHint : 0
; COMPUTE_PGM_RSRC2:SCRATCH_EN: 0
; COMPUTE_PGM_RSRC2:USER_SGPR: 6
; COMPUTE_PGM_RSRC2:TRAP_HANDLER: 0
; COMPUTE_PGM_RSRC2:TGID_X_EN: 1
; COMPUTE_PGM_RSRC2:TGID_Y_EN: 0
; COMPUTE_PGM_RSRC2:TGID_Z_EN: 0
; COMPUTE_PGM_RSRC2:TIDIG_COMP_CNT: 0
; COMPUTE_PGM_RSRC3_GFX90A:ACCUM_OFFSET: 0
; COMPUTE_PGM_RSRC3_GFX90A:TG_SPLIT: 0
	.section	.text._ZN7rocprim17ROCPRIM_400000_NS6detail17trampoline_kernelINS0_14default_configENS1_20scan_config_selectorIfEEZZNS1_9scan_implILNS1_25lookback_scan_determinismE0ELb1ELb1ES3_N6thrust23THRUST_200600_302600_NS6detail15normal_iteratorINS9_10device_ptrIfEEEENSB_INSC_IiEEEEfNS9_4plusIvEEfEEDaPvRmT3_T4_T5_mT6_P12ihipStream_tbENKUlT_T0_E_clISt17integral_constantIbLb1EESV_IbLb0EEEEDaSR_SS_EUlSR_E0_NS1_11comp_targetILNS1_3genE2ELNS1_11target_archE906ELNS1_3gpuE6ELNS1_3repE0EEENS1_30default_config_static_selectorELNS0_4arch9wavefront6targetE1EEEvT1_,"axG",@progbits,_ZN7rocprim17ROCPRIM_400000_NS6detail17trampoline_kernelINS0_14default_configENS1_20scan_config_selectorIfEEZZNS1_9scan_implILNS1_25lookback_scan_determinismE0ELb1ELb1ES3_N6thrust23THRUST_200600_302600_NS6detail15normal_iteratorINS9_10device_ptrIfEEEENSB_INSC_IiEEEEfNS9_4plusIvEEfEEDaPvRmT3_T4_T5_mT6_P12ihipStream_tbENKUlT_T0_E_clISt17integral_constantIbLb1EESV_IbLb0EEEEDaSR_SS_EUlSR_E0_NS1_11comp_targetILNS1_3genE2ELNS1_11target_archE906ELNS1_3gpuE6ELNS1_3repE0EEENS1_30default_config_static_selectorELNS0_4arch9wavefront6targetE1EEEvT1_,comdat
	.protected	_ZN7rocprim17ROCPRIM_400000_NS6detail17trampoline_kernelINS0_14default_configENS1_20scan_config_selectorIfEEZZNS1_9scan_implILNS1_25lookback_scan_determinismE0ELb1ELb1ES3_N6thrust23THRUST_200600_302600_NS6detail15normal_iteratorINS9_10device_ptrIfEEEENSB_INSC_IiEEEEfNS9_4plusIvEEfEEDaPvRmT3_T4_T5_mT6_P12ihipStream_tbENKUlT_T0_E_clISt17integral_constantIbLb1EESV_IbLb0EEEEDaSR_SS_EUlSR_E0_NS1_11comp_targetILNS1_3genE2ELNS1_11target_archE906ELNS1_3gpuE6ELNS1_3repE0EEENS1_30default_config_static_selectorELNS0_4arch9wavefront6targetE1EEEvT1_ ; -- Begin function _ZN7rocprim17ROCPRIM_400000_NS6detail17trampoline_kernelINS0_14default_configENS1_20scan_config_selectorIfEEZZNS1_9scan_implILNS1_25lookback_scan_determinismE0ELb1ELb1ES3_N6thrust23THRUST_200600_302600_NS6detail15normal_iteratorINS9_10device_ptrIfEEEENSB_INSC_IiEEEEfNS9_4plusIvEEfEEDaPvRmT3_T4_T5_mT6_P12ihipStream_tbENKUlT_T0_E_clISt17integral_constantIbLb1EESV_IbLb0EEEEDaSR_SS_EUlSR_E0_NS1_11comp_targetILNS1_3genE2ELNS1_11target_archE906ELNS1_3gpuE6ELNS1_3repE0EEENS1_30default_config_static_selectorELNS0_4arch9wavefront6targetE1EEEvT1_
	.globl	_ZN7rocprim17ROCPRIM_400000_NS6detail17trampoline_kernelINS0_14default_configENS1_20scan_config_selectorIfEEZZNS1_9scan_implILNS1_25lookback_scan_determinismE0ELb1ELb1ES3_N6thrust23THRUST_200600_302600_NS6detail15normal_iteratorINS9_10device_ptrIfEEEENSB_INSC_IiEEEEfNS9_4plusIvEEfEEDaPvRmT3_T4_T5_mT6_P12ihipStream_tbENKUlT_T0_E_clISt17integral_constantIbLb1EESV_IbLb0EEEEDaSR_SS_EUlSR_E0_NS1_11comp_targetILNS1_3genE2ELNS1_11target_archE906ELNS1_3gpuE6ELNS1_3repE0EEENS1_30default_config_static_selectorELNS0_4arch9wavefront6targetE1EEEvT1_
	.p2align	8
	.type	_ZN7rocprim17ROCPRIM_400000_NS6detail17trampoline_kernelINS0_14default_configENS1_20scan_config_selectorIfEEZZNS1_9scan_implILNS1_25lookback_scan_determinismE0ELb1ELb1ES3_N6thrust23THRUST_200600_302600_NS6detail15normal_iteratorINS9_10device_ptrIfEEEENSB_INSC_IiEEEEfNS9_4plusIvEEfEEDaPvRmT3_T4_T5_mT6_P12ihipStream_tbENKUlT_T0_E_clISt17integral_constantIbLb1EESV_IbLb0EEEEDaSR_SS_EUlSR_E0_NS1_11comp_targetILNS1_3genE2ELNS1_11target_archE906ELNS1_3gpuE6ELNS1_3repE0EEENS1_30default_config_static_selectorELNS0_4arch9wavefront6targetE1EEEvT1_,@function
_ZN7rocprim17ROCPRIM_400000_NS6detail17trampoline_kernelINS0_14default_configENS1_20scan_config_selectorIfEEZZNS1_9scan_implILNS1_25lookback_scan_determinismE0ELb1ELb1ES3_N6thrust23THRUST_200600_302600_NS6detail15normal_iteratorINS9_10device_ptrIfEEEENSB_INSC_IiEEEEfNS9_4plusIvEEfEEDaPvRmT3_T4_T5_mT6_P12ihipStream_tbENKUlT_T0_E_clISt17integral_constantIbLb1EESV_IbLb0EEEEDaSR_SS_EUlSR_E0_NS1_11comp_targetILNS1_3genE2ELNS1_11target_archE906ELNS1_3gpuE6ELNS1_3repE0EEENS1_30default_config_static_selectorELNS0_4arch9wavefront6targetE1EEEvT1_: ; @_ZN7rocprim17ROCPRIM_400000_NS6detail17trampoline_kernelINS0_14default_configENS1_20scan_config_selectorIfEEZZNS1_9scan_implILNS1_25lookback_scan_determinismE0ELb1ELb1ES3_N6thrust23THRUST_200600_302600_NS6detail15normal_iteratorINS9_10device_ptrIfEEEENSB_INSC_IiEEEEfNS9_4plusIvEEfEEDaPvRmT3_T4_T5_mT6_P12ihipStream_tbENKUlT_T0_E_clISt17integral_constantIbLb1EESV_IbLb0EEEEDaSR_SS_EUlSR_E0_NS1_11comp_targetILNS1_3genE2ELNS1_11target_archE906ELNS1_3gpuE6ELNS1_3repE0EEENS1_30default_config_static_selectorELNS0_4arch9wavefront6targetE1EEEvT1_
; %bb.0:
	.section	.rodata,"a",@progbits
	.p2align	6, 0x0
	.amdhsa_kernel _ZN7rocprim17ROCPRIM_400000_NS6detail17trampoline_kernelINS0_14default_configENS1_20scan_config_selectorIfEEZZNS1_9scan_implILNS1_25lookback_scan_determinismE0ELb1ELb1ES3_N6thrust23THRUST_200600_302600_NS6detail15normal_iteratorINS9_10device_ptrIfEEEENSB_INSC_IiEEEEfNS9_4plusIvEEfEEDaPvRmT3_T4_T5_mT6_P12ihipStream_tbENKUlT_T0_E_clISt17integral_constantIbLb1EESV_IbLb0EEEEDaSR_SS_EUlSR_E0_NS1_11comp_targetILNS1_3genE2ELNS1_11target_archE906ELNS1_3gpuE6ELNS1_3repE0EEENS1_30default_config_static_selectorELNS0_4arch9wavefront6targetE1EEEvT1_
		.amdhsa_group_segment_fixed_size 0
		.amdhsa_private_segment_fixed_size 0
		.amdhsa_kernarg_size 32
		.amdhsa_user_sgpr_count 6
		.amdhsa_user_sgpr_private_segment_buffer 1
		.amdhsa_user_sgpr_dispatch_ptr 0
		.amdhsa_user_sgpr_queue_ptr 0
		.amdhsa_user_sgpr_kernarg_segment_ptr 1
		.amdhsa_user_sgpr_dispatch_id 0
		.amdhsa_user_sgpr_flat_scratch_init 0
		.amdhsa_user_sgpr_kernarg_preload_length 0
		.amdhsa_user_sgpr_kernarg_preload_offset 0
		.amdhsa_user_sgpr_private_segment_size 0
		.amdhsa_uses_dynamic_stack 0
		.amdhsa_system_sgpr_private_segment_wavefront_offset 0
		.amdhsa_system_sgpr_workgroup_id_x 1
		.amdhsa_system_sgpr_workgroup_id_y 0
		.amdhsa_system_sgpr_workgroup_id_z 0
		.amdhsa_system_sgpr_workgroup_info 0
		.amdhsa_system_vgpr_workitem_id 0
		.amdhsa_next_free_vgpr 1
		.amdhsa_next_free_sgpr 0
		.amdhsa_accum_offset 4
		.amdhsa_reserve_vcc 0
		.amdhsa_reserve_flat_scratch 0
		.amdhsa_float_round_mode_32 0
		.amdhsa_float_round_mode_16_64 0
		.amdhsa_float_denorm_mode_32 3
		.amdhsa_float_denorm_mode_16_64 3
		.amdhsa_dx10_clamp 1
		.amdhsa_ieee_mode 1
		.amdhsa_fp16_overflow 0
		.amdhsa_tg_split 0
		.amdhsa_exception_fp_ieee_invalid_op 0
		.amdhsa_exception_fp_denorm_src 0
		.amdhsa_exception_fp_ieee_div_zero 0
		.amdhsa_exception_fp_ieee_overflow 0
		.amdhsa_exception_fp_ieee_underflow 0
		.amdhsa_exception_fp_ieee_inexact 0
		.amdhsa_exception_int_div_zero 0
	.end_amdhsa_kernel
	.section	.text._ZN7rocprim17ROCPRIM_400000_NS6detail17trampoline_kernelINS0_14default_configENS1_20scan_config_selectorIfEEZZNS1_9scan_implILNS1_25lookback_scan_determinismE0ELb1ELb1ES3_N6thrust23THRUST_200600_302600_NS6detail15normal_iteratorINS9_10device_ptrIfEEEENSB_INSC_IiEEEEfNS9_4plusIvEEfEEDaPvRmT3_T4_T5_mT6_P12ihipStream_tbENKUlT_T0_E_clISt17integral_constantIbLb1EESV_IbLb0EEEEDaSR_SS_EUlSR_E0_NS1_11comp_targetILNS1_3genE2ELNS1_11target_archE906ELNS1_3gpuE6ELNS1_3repE0EEENS1_30default_config_static_selectorELNS0_4arch9wavefront6targetE1EEEvT1_,"axG",@progbits,_ZN7rocprim17ROCPRIM_400000_NS6detail17trampoline_kernelINS0_14default_configENS1_20scan_config_selectorIfEEZZNS1_9scan_implILNS1_25lookback_scan_determinismE0ELb1ELb1ES3_N6thrust23THRUST_200600_302600_NS6detail15normal_iteratorINS9_10device_ptrIfEEEENSB_INSC_IiEEEEfNS9_4plusIvEEfEEDaPvRmT3_T4_T5_mT6_P12ihipStream_tbENKUlT_T0_E_clISt17integral_constantIbLb1EESV_IbLb0EEEEDaSR_SS_EUlSR_E0_NS1_11comp_targetILNS1_3genE2ELNS1_11target_archE906ELNS1_3gpuE6ELNS1_3repE0EEENS1_30default_config_static_selectorELNS0_4arch9wavefront6targetE1EEEvT1_,comdat
.Lfunc_end1618:
	.size	_ZN7rocprim17ROCPRIM_400000_NS6detail17trampoline_kernelINS0_14default_configENS1_20scan_config_selectorIfEEZZNS1_9scan_implILNS1_25lookback_scan_determinismE0ELb1ELb1ES3_N6thrust23THRUST_200600_302600_NS6detail15normal_iteratorINS9_10device_ptrIfEEEENSB_INSC_IiEEEEfNS9_4plusIvEEfEEDaPvRmT3_T4_T5_mT6_P12ihipStream_tbENKUlT_T0_E_clISt17integral_constantIbLb1EESV_IbLb0EEEEDaSR_SS_EUlSR_E0_NS1_11comp_targetILNS1_3genE2ELNS1_11target_archE906ELNS1_3gpuE6ELNS1_3repE0EEENS1_30default_config_static_selectorELNS0_4arch9wavefront6targetE1EEEvT1_, .Lfunc_end1618-_ZN7rocprim17ROCPRIM_400000_NS6detail17trampoline_kernelINS0_14default_configENS1_20scan_config_selectorIfEEZZNS1_9scan_implILNS1_25lookback_scan_determinismE0ELb1ELb1ES3_N6thrust23THRUST_200600_302600_NS6detail15normal_iteratorINS9_10device_ptrIfEEEENSB_INSC_IiEEEEfNS9_4plusIvEEfEEDaPvRmT3_T4_T5_mT6_P12ihipStream_tbENKUlT_T0_E_clISt17integral_constantIbLb1EESV_IbLb0EEEEDaSR_SS_EUlSR_E0_NS1_11comp_targetILNS1_3genE2ELNS1_11target_archE906ELNS1_3gpuE6ELNS1_3repE0EEENS1_30default_config_static_selectorELNS0_4arch9wavefront6targetE1EEEvT1_
                                        ; -- End function
	.section	.AMDGPU.csdata,"",@progbits
; Kernel info:
; codeLenInByte = 0
; NumSgprs: 4
; NumVgprs: 0
; NumAgprs: 0
; TotalNumVgprs: 0
; ScratchSize: 0
; MemoryBound: 0
; FloatMode: 240
; IeeeMode: 1
; LDSByteSize: 0 bytes/workgroup (compile time only)
; SGPRBlocks: 0
; VGPRBlocks: 0
; NumSGPRsForWavesPerEU: 4
; NumVGPRsForWavesPerEU: 1
; AccumOffset: 4
; Occupancy: 8
; WaveLimiterHint : 0
; COMPUTE_PGM_RSRC2:SCRATCH_EN: 0
; COMPUTE_PGM_RSRC2:USER_SGPR: 6
; COMPUTE_PGM_RSRC2:TRAP_HANDLER: 0
; COMPUTE_PGM_RSRC2:TGID_X_EN: 1
; COMPUTE_PGM_RSRC2:TGID_Y_EN: 0
; COMPUTE_PGM_RSRC2:TGID_Z_EN: 0
; COMPUTE_PGM_RSRC2:TIDIG_COMP_CNT: 0
; COMPUTE_PGM_RSRC3_GFX90A:ACCUM_OFFSET: 0
; COMPUTE_PGM_RSRC3_GFX90A:TG_SPLIT: 0
	.section	.text._ZN7rocprim17ROCPRIM_400000_NS6detail17trampoline_kernelINS0_14default_configENS1_20scan_config_selectorIfEEZZNS1_9scan_implILNS1_25lookback_scan_determinismE0ELb1ELb1ES3_N6thrust23THRUST_200600_302600_NS6detail15normal_iteratorINS9_10device_ptrIfEEEENSB_INSC_IiEEEEfNS9_4plusIvEEfEEDaPvRmT3_T4_T5_mT6_P12ihipStream_tbENKUlT_T0_E_clISt17integral_constantIbLb1EESV_IbLb0EEEEDaSR_SS_EUlSR_E0_NS1_11comp_targetILNS1_3genE10ELNS1_11target_archE1201ELNS1_3gpuE5ELNS1_3repE0EEENS1_30default_config_static_selectorELNS0_4arch9wavefront6targetE1EEEvT1_,"axG",@progbits,_ZN7rocprim17ROCPRIM_400000_NS6detail17trampoline_kernelINS0_14default_configENS1_20scan_config_selectorIfEEZZNS1_9scan_implILNS1_25lookback_scan_determinismE0ELb1ELb1ES3_N6thrust23THRUST_200600_302600_NS6detail15normal_iteratorINS9_10device_ptrIfEEEENSB_INSC_IiEEEEfNS9_4plusIvEEfEEDaPvRmT3_T4_T5_mT6_P12ihipStream_tbENKUlT_T0_E_clISt17integral_constantIbLb1EESV_IbLb0EEEEDaSR_SS_EUlSR_E0_NS1_11comp_targetILNS1_3genE10ELNS1_11target_archE1201ELNS1_3gpuE5ELNS1_3repE0EEENS1_30default_config_static_selectorELNS0_4arch9wavefront6targetE1EEEvT1_,comdat
	.protected	_ZN7rocprim17ROCPRIM_400000_NS6detail17trampoline_kernelINS0_14default_configENS1_20scan_config_selectorIfEEZZNS1_9scan_implILNS1_25lookback_scan_determinismE0ELb1ELb1ES3_N6thrust23THRUST_200600_302600_NS6detail15normal_iteratorINS9_10device_ptrIfEEEENSB_INSC_IiEEEEfNS9_4plusIvEEfEEDaPvRmT3_T4_T5_mT6_P12ihipStream_tbENKUlT_T0_E_clISt17integral_constantIbLb1EESV_IbLb0EEEEDaSR_SS_EUlSR_E0_NS1_11comp_targetILNS1_3genE10ELNS1_11target_archE1201ELNS1_3gpuE5ELNS1_3repE0EEENS1_30default_config_static_selectorELNS0_4arch9wavefront6targetE1EEEvT1_ ; -- Begin function _ZN7rocprim17ROCPRIM_400000_NS6detail17trampoline_kernelINS0_14default_configENS1_20scan_config_selectorIfEEZZNS1_9scan_implILNS1_25lookback_scan_determinismE0ELb1ELb1ES3_N6thrust23THRUST_200600_302600_NS6detail15normal_iteratorINS9_10device_ptrIfEEEENSB_INSC_IiEEEEfNS9_4plusIvEEfEEDaPvRmT3_T4_T5_mT6_P12ihipStream_tbENKUlT_T0_E_clISt17integral_constantIbLb1EESV_IbLb0EEEEDaSR_SS_EUlSR_E0_NS1_11comp_targetILNS1_3genE10ELNS1_11target_archE1201ELNS1_3gpuE5ELNS1_3repE0EEENS1_30default_config_static_selectorELNS0_4arch9wavefront6targetE1EEEvT1_
	.globl	_ZN7rocprim17ROCPRIM_400000_NS6detail17trampoline_kernelINS0_14default_configENS1_20scan_config_selectorIfEEZZNS1_9scan_implILNS1_25lookback_scan_determinismE0ELb1ELb1ES3_N6thrust23THRUST_200600_302600_NS6detail15normal_iteratorINS9_10device_ptrIfEEEENSB_INSC_IiEEEEfNS9_4plusIvEEfEEDaPvRmT3_T4_T5_mT6_P12ihipStream_tbENKUlT_T0_E_clISt17integral_constantIbLb1EESV_IbLb0EEEEDaSR_SS_EUlSR_E0_NS1_11comp_targetILNS1_3genE10ELNS1_11target_archE1201ELNS1_3gpuE5ELNS1_3repE0EEENS1_30default_config_static_selectorELNS0_4arch9wavefront6targetE1EEEvT1_
	.p2align	8
	.type	_ZN7rocprim17ROCPRIM_400000_NS6detail17trampoline_kernelINS0_14default_configENS1_20scan_config_selectorIfEEZZNS1_9scan_implILNS1_25lookback_scan_determinismE0ELb1ELb1ES3_N6thrust23THRUST_200600_302600_NS6detail15normal_iteratorINS9_10device_ptrIfEEEENSB_INSC_IiEEEEfNS9_4plusIvEEfEEDaPvRmT3_T4_T5_mT6_P12ihipStream_tbENKUlT_T0_E_clISt17integral_constantIbLb1EESV_IbLb0EEEEDaSR_SS_EUlSR_E0_NS1_11comp_targetILNS1_3genE10ELNS1_11target_archE1201ELNS1_3gpuE5ELNS1_3repE0EEENS1_30default_config_static_selectorELNS0_4arch9wavefront6targetE1EEEvT1_,@function
_ZN7rocprim17ROCPRIM_400000_NS6detail17trampoline_kernelINS0_14default_configENS1_20scan_config_selectorIfEEZZNS1_9scan_implILNS1_25lookback_scan_determinismE0ELb1ELb1ES3_N6thrust23THRUST_200600_302600_NS6detail15normal_iteratorINS9_10device_ptrIfEEEENSB_INSC_IiEEEEfNS9_4plusIvEEfEEDaPvRmT3_T4_T5_mT6_P12ihipStream_tbENKUlT_T0_E_clISt17integral_constantIbLb1EESV_IbLb0EEEEDaSR_SS_EUlSR_E0_NS1_11comp_targetILNS1_3genE10ELNS1_11target_archE1201ELNS1_3gpuE5ELNS1_3repE0EEENS1_30default_config_static_selectorELNS0_4arch9wavefront6targetE1EEEvT1_: ; @_ZN7rocprim17ROCPRIM_400000_NS6detail17trampoline_kernelINS0_14default_configENS1_20scan_config_selectorIfEEZZNS1_9scan_implILNS1_25lookback_scan_determinismE0ELb1ELb1ES3_N6thrust23THRUST_200600_302600_NS6detail15normal_iteratorINS9_10device_ptrIfEEEENSB_INSC_IiEEEEfNS9_4plusIvEEfEEDaPvRmT3_T4_T5_mT6_P12ihipStream_tbENKUlT_T0_E_clISt17integral_constantIbLb1EESV_IbLb0EEEEDaSR_SS_EUlSR_E0_NS1_11comp_targetILNS1_3genE10ELNS1_11target_archE1201ELNS1_3gpuE5ELNS1_3repE0EEENS1_30default_config_static_selectorELNS0_4arch9wavefront6targetE1EEEvT1_
; %bb.0:
	.section	.rodata,"a",@progbits
	.p2align	6, 0x0
	.amdhsa_kernel _ZN7rocprim17ROCPRIM_400000_NS6detail17trampoline_kernelINS0_14default_configENS1_20scan_config_selectorIfEEZZNS1_9scan_implILNS1_25lookback_scan_determinismE0ELb1ELb1ES3_N6thrust23THRUST_200600_302600_NS6detail15normal_iteratorINS9_10device_ptrIfEEEENSB_INSC_IiEEEEfNS9_4plusIvEEfEEDaPvRmT3_T4_T5_mT6_P12ihipStream_tbENKUlT_T0_E_clISt17integral_constantIbLb1EESV_IbLb0EEEEDaSR_SS_EUlSR_E0_NS1_11comp_targetILNS1_3genE10ELNS1_11target_archE1201ELNS1_3gpuE5ELNS1_3repE0EEENS1_30default_config_static_selectorELNS0_4arch9wavefront6targetE1EEEvT1_
		.amdhsa_group_segment_fixed_size 0
		.amdhsa_private_segment_fixed_size 0
		.amdhsa_kernarg_size 32
		.amdhsa_user_sgpr_count 6
		.amdhsa_user_sgpr_private_segment_buffer 1
		.amdhsa_user_sgpr_dispatch_ptr 0
		.amdhsa_user_sgpr_queue_ptr 0
		.amdhsa_user_sgpr_kernarg_segment_ptr 1
		.amdhsa_user_sgpr_dispatch_id 0
		.amdhsa_user_sgpr_flat_scratch_init 0
		.amdhsa_user_sgpr_kernarg_preload_length 0
		.amdhsa_user_sgpr_kernarg_preload_offset 0
		.amdhsa_user_sgpr_private_segment_size 0
		.amdhsa_uses_dynamic_stack 0
		.amdhsa_system_sgpr_private_segment_wavefront_offset 0
		.amdhsa_system_sgpr_workgroup_id_x 1
		.amdhsa_system_sgpr_workgroup_id_y 0
		.amdhsa_system_sgpr_workgroup_id_z 0
		.amdhsa_system_sgpr_workgroup_info 0
		.amdhsa_system_vgpr_workitem_id 0
		.amdhsa_next_free_vgpr 1
		.amdhsa_next_free_sgpr 0
		.amdhsa_accum_offset 4
		.amdhsa_reserve_vcc 0
		.amdhsa_reserve_flat_scratch 0
		.amdhsa_float_round_mode_32 0
		.amdhsa_float_round_mode_16_64 0
		.amdhsa_float_denorm_mode_32 3
		.amdhsa_float_denorm_mode_16_64 3
		.amdhsa_dx10_clamp 1
		.amdhsa_ieee_mode 1
		.amdhsa_fp16_overflow 0
		.amdhsa_tg_split 0
		.amdhsa_exception_fp_ieee_invalid_op 0
		.amdhsa_exception_fp_denorm_src 0
		.amdhsa_exception_fp_ieee_div_zero 0
		.amdhsa_exception_fp_ieee_overflow 0
		.amdhsa_exception_fp_ieee_underflow 0
		.amdhsa_exception_fp_ieee_inexact 0
		.amdhsa_exception_int_div_zero 0
	.end_amdhsa_kernel
	.section	.text._ZN7rocprim17ROCPRIM_400000_NS6detail17trampoline_kernelINS0_14default_configENS1_20scan_config_selectorIfEEZZNS1_9scan_implILNS1_25lookback_scan_determinismE0ELb1ELb1ES3_N6thrust23THRUST_200600_302600_NS6detail15normal_iteratorINS9_10device_ptrIfEEEENSB_INSC_IiEEEEfNS9_4plusIvEEfEEDaPvRmT3_T4_T5_mT6_P12ihipStream_tbENKUlT_T0_E_clISt17integral_constantIbLb1EESV_IbLb0EEEEDaSR_SS_EUlSR_E0_NS1_11comp_targetILNS1_3genE10ELNS1_11target_archE1201ELNS1_3gpuE5ELNS1_3repE0EEENS1_30default_config_static_selectorELNS0_4arch9wavefront6targetE1EEEvT1_,"axG",@progbits,_ZN7rocprim17ROCPRIM_400000_NS6detail17trampoline_kernelINS0_14default_configENS1_20scan_config_selectorIfEEZZNS1_9scan_implILNS1_25lookback_scan_determinismE0ELb1ELb1ES3_N6thrust23THRUST_200600_302600_NS6detail15normal_iteratorINS9_10device_ptrIfEEEENSB_INSC_IiEEEEfNS9_4plusIvEEfEEDaPvRmT3_T4_T5_mT6_P12ihipStream_tbENKUlT_T0_E_clISt17integral_constantIbLb1EESV_IbLb0EEEEDaSR_SS_EUlSR_E0_NS1_11comp_targetILNS1_3genE10ELNS1_11target_archE1201ELNS1_3gpuE5ELNS1_3repE0EEENS1_30default_config_static_selectorELNS0_4arch9wavefront6targetE1EEEvT1_,comdat
.Lfunc_end1619:
	.size	_ZN7rocprim17ROCPRIM_400000_NS6detail17trampoline_kernelINS0_14default_configENS1_20scan_config_selectorIfEEZZNS1_9scan_implILNS1_25lookback_scan_determinismE0ELb1ELb1ES3_N6thrust23THRUST_200600_302600_NS6detail15normal_iteratorINS9_10device_ptrIfEEEENSB_INSC_IiEEEEfNS9_4plusIvEEfEEDaPvRmT3_T4_T5_mT6_P12ihipStream_tbENKUlT_T0_E_clISt17integral_constantIbLb1EESV_IbLb0EEEEDaSR_SS_EUlSR_E0_NS1_11comp_targetILNS1_3genE10ELNS1_11target_archE1201ELNS1_3gpuE5ELNS1_3repE0EEENS1_30default_config_static_selectorELNS0_4arch9wavefront6targetE1EEEvT1_, .Lfunc_end1619-_ZN7rocprim17ROCPRIM_400000_NS6detail17trampoline_kernelINS0_14default_configENS1_20scan_config_selectorIfEEZZNS1_9scan_implILNS1_25lookback_scan_determinismE0ELb1ELb1ES3_N6thrust23THRUST_200600_302600_NS6detail15normal_iteratorINS9_10device_ptrIfEEEENSB_INSC_IiEEEEfNS9_4plusIvEEfEEDaPvRmT3_T4_T5_mT6_P12ihipStream_tbENKUlT_T0_E_clISt17integral_constantIbLb1EESV_IbLb0EEEEDaSR_SS_EUlSR_E0_NS1_11comp_targetILNS1_3genE10ELNS1_11target_archE1201ELNS1_3gpuE5ELNS1_3repE0EEENS1_30default_config_static_selectorELNS0_4arch9wavefront6targetE1EEEvT1_
                                        ; -- End function
	.section	.AMDGPU.csdata,"",@progbits
; Kernel info:
; codeLenInByte = 0
; NumSgprs: 4
; NumVgprs: 0
; NumAgprs: 0
; TotalNumVgprs: 0
; ScratchSize: 0
; MemoryBound: 0
; FloatMode: 240
; IeeeMode: 1
; LDSByteSize: 0 bytes/workgroup (compile time only)
; SGPRBlocks: 0
; VGPRBlocks: 0
; NumSGPRsForWavesPerEU: 4
; NumVGPRsForWavesPerEU: 1
; AccumOffset: 4
; Occupancy: 8
; WaveLimiterHint : 0
; COMPUTE_PGM_RSRC2:SCRATCH_EN: 0
; COMPUTE_PGM_RSRC2:USER_SGPR: 6
; COMPUTE_PGM_RSRC2:TRAP_HANDLER: 0
; COMPUTE_PGM_RSRC2:TGID_X_EN: 1
; COMPUTE_PGM_RSRC2:TGID_Y_EN: 0
; COMPUTE_PGM_RSRC2:TGID_Z_EN: 0
; COMPUTE_PGM_RSRC2:TIDIG_COMP_CNT: 0
; COMPUTE_PGM_RSRC3_GFX90A:ACCUM_OFFSET: 0
; COMPUTE_PGM_RSRC3_GFX90A:TG_SPLIT: 0
	.section	.text._ZN7rocprim17ROCPRIM_400000_NS6detail17trampoline_kernelINS0_14default_configENS1_20scan_config_selectorIfEEZZNS1_9scan_implILNS1_25lookback_scan_determinismE0ELb1ELb1ES3_N6thrust23THRUST_200600_302600_NS6detail15normal_iteratorINS9_10device_ptrIfEEEENSB_INSC_IiEEEEfNS9_4plusIvEEfEEDaPvRmT3_T4_T5_mT6_P12ihipStream_tbENKUlT_T0_E_clISt17integral_constantIbLb1EESV_IbLb0EEEEDaSR_SS_EUlSR_E0_NS1_11comp_targetILNS1_3genE10ELNS1_11target_archE1200ELNS1_3gpuE4ELNS1_3repE0EEENS1_30default_config_static_selectorELNS0_4arch9wavefront6targetE1EEEvT1_,"axG",@progbits,_ZN7rocprim17ROCPRIM_400000_NS6detail17trampoline_kernelINS0_14default_configENS1_20scan_config_selectorIfEEZZNS1_9scan_implILNS1_25lookback_scan_determinismE0ELb1ELb1ES3_N6thrust23THRUST_200600_302600_NS6detail15normal_iteratorINS9_10device_ptrIfEEEENSB_INSC_IiEEEEfNS9_4plusIvEEfEEDaPvRmT3_T4_T5_mT6_P12ihipStream_tbENKUlT_T0_E_clISt17integral_constantIbLb1EESV_IbLb0EEEEDaSR_SS_EUlSR_E0_NS1_11comp_targetILNS1_3genE10ELNS1_11target_archE1200ELNS1_3gpuE4ELNS1_3repE0EEENS1_30default_config_static_selectorELNS0_4arch9wavefront6targetE1EEEvT1_,comdat
	.protected	_ZN7rocprim17ROCPRIM_400000_NS6detail17trampoline_kernelINS0_14default_configENS1_20scan_config_selectorIfEEZZNS1_9scan_implILNS1_25lookback_scan_determinismE0ELb1ELb1ES3_N6thrust23THRUST_200600_302600_NS6detail15normal_iteratorINS9_10device_ptrIfEEEENSB_INSC_IiEEEEfNS9_4plusIvEEfEEDaPvRmT3_T4_T5_mT6_P12ihipStream_tbENKUlT_T0_E_clISt17integral_constantIbLb1EESV_IbLb0EEEEDaSR_SS_EUlSR_E0_NS1_11comp_targetILNS1_3genE10ELNS1_11target_archE1200ELNS1_3gpuE4ELNS1_3repE0EEENS1_30default_config_static_selectorELNS0_4arch9wavefront6targetE1EEEvT1_ ; -- Begin function _ZN7rocprim17ROCPRIM_400000_NS6detail17trampoline_kernelINS0_14default_configENS1_20scan_config_selectorIfEEZZNS1_9scan_implILNS1_25lookback_scan_determinismE0ELb1ELb1ES3_N6thrust23THRUST_200600_302600_NS6detail15normal_iteratorINS9_10device_ptrIfEEEENSB_INSC_IiEEEEfNS9_4plusIvEEfEEDaPvRmT3_T4_T5_mT6_P12ihipStream_tbENKUlT_T0_E_clISt17integral_constantIbLb1EESV_IbLb0EEEEDaSR_SS_EUlSR_E0_NS1_11comp_targetILNS1_3genE10ELNS1_11target_archE1200ELNS1_3gpuE4ELNS1_3repE0EEENS1_30default_config_static_selectorELNS0_4arch9wavefront6targetE1EEEvT1_
	.globl	_ZN7rocprim17ROCPRIM_400000_NS6detail17trampoline_kernelINS0_14default_configENS1_20scan_config_selectorIfEEZZNS1_9scan_implILNS1_25lookback_scan_determinismE0ELb1ELb1ES3_N6thrust23THRUST_200600_302600_NS6detail15normal_iteratorINS9_10device_ptrIfEEEENSB_INSC_IiEEEEfNS9_4plusIvEEfEEDaPvRmT3_T4_T5_mT6_P12ihipStream_tbENKUlT_T0_E_clISt17integral_constantIbLb1EESV_IbLb0EEEEDaSR_SS_EUlSR_E0_NS1_11comp_targetILNS1_3genE10ELNS1_11target_archE1200ELNS1_3gpuE4ELNS1_3repE0EEENS1_30default_config_static_selectorELNS0_4arch9wavefront6targetE1EEEvT1_
	.p2align	8
	.type	_ZN7rocprim17ROCPRIM_400000_NS6detail17trampoline_kernelINS0_14default_configENS1_20scan_config_selectorIfEEZZNS1_9scan_implILNS1_25lookback_scan_determinismE0ELb1ELb1ES3_N6thrust23THRUST_200600_302600_NS6detail15normal_iteratorINS9_10device_ptrIfEEEENSB_INSC_IiEEEEfNS9_4plusIvEEfEEDaPvRmT3_T4_T5_mT6_P12ihipStream_tbENKUlT_T0_E_clISt17integral_constantIbLb1EESV_IbLb0EEEEDaSR_SS_EUlSR_E0_NS1_11comp_targetILNS1_3genE10ELNS1_11target_archE1200ELNS1_3gpuE4ELNS1_3repE0EEENS1_30default_config_static_selectorELNS0_4arch9wavefront6targetE1EEEvT1_,@function
_ZN7rocprim17ROCPRIM_400000_NS6detail17trampoline_kernelINS0_14default_configENS1_20scan_config_selectorIfEEZZNS1_9scan_implILNS1_25lookback_scan_determinismE0ELb1ELb1ES3_N6thrust23THRUST_200600_302600_NS6detail15normal_iteratorINS9_10device_ptrIfEEEENSB_INSC_IiEEEEfNS9_4plusIvEEfEEDaPvRmT3_T4_T5_mT6_P12ihipStream_tbENKUlT_T0_E_clISt17integral_constantIbLb1EESV_IbLb0EEEEDaSR_SS_EUlSR_E0_NS1_11comp_targetILNS1_3genE10ELNS1_11target_archE1200ELNS1_3gpuE4ELNS1_3repE0EEENS1_30default_config_static_selectorELNS0_4arch9wavefront6targetE1EEEvT1_: ; @_ZN7rocprim17ROCPRIM_400000_NS6detail17trampoline_kernelINS0_14default_configENS1_20scan_config_selectorIfEEZZNS1_9scan_implILNS1_25lookback_scan_determinismE0ELb1ELb1ES3_N6thrust23THRUST_200600_302600_NS6detail15normal_iteratorINS9_10device_ptrIfEEEENSB_INSC_IiEEEEfNS9_4plusIvEEfEEDaPvRmT3_T4_T5_mT6_P12ihipStream_tbENKUlT_T0_E_clISt17integral_constantIbLb1EESV_IbLb0EEEEDaSR_SS_EUlSR_E0_NS1_11comp_targetILNS1_3genE10ELNS1_11target_archE1200ELNS1_3gpuE4ELNS1_3repE0EEENS1_30default_config_static_selectorELNS0_4arch9wavefront6targetE1EEEvT1_
; %bb.0:
	.section	.rodata,"a",@progbits
	.p2align	6, 0x0
	.amdhsa_kernel _ZN7rocprim17ROCPRIM_400000_NS6detail17trampoline_kernelINS0_14default_configENS1_20scan_config_selectorIfEEZZNS1_9scan_implILNS1_25lookback_scan_determinismE0ELb1ELb1ES3_N6thrust23THRUST_200600_302600_NS6detail15normal_iteratorINS9_10device_ptrIfEEEENSB_INSC_IiEEEEfNS9_4plusIvEEfEEDaPvRmT3_T4_T5_mT6_P12ihipStream_tbENKUlT_T0_E_clISt17integral_constantIbLb1EESV_IbLb0EEEEDaSR_SS_EUlSR_E0_NS1_11comp_targetILNS1_3genE10ELNS1_11target_archE1200ELNS1_3gpuE4ELNS1_3repE0EEENS1_30default_config_static_selectorELNS0_4arch9wavefront6targetE1EEEvT1_
		.amdhsa_group_segment_fixed_size 0
		.amdhsa_private_segment_fixed_size 0
		.amdhsa_kernarg_size 32
		.amdhsa_user_sgpr_count 6
		.amdhsa_user_sgpr_private_segment_buffer 1
		.amdhsa_user_sgpr_dispatch_ptr 0
		.amdhsa_user_sgpr_queue_ptr 0
		.amdhsa_user_sgpr_kernarg_segment_ptr 1
		.amdhsa_user_sgpr_dispatch_id 0
		.amdhsa_user_sgpr_flat_scratch_init 0
		.amdhsa_user_sgpr_kernarg_preload_length 0
		.amdhsa_user_sgpr_kernarg_preload_offset 0
		.amdhsa_user_sgpr_private_segment_size 0
		.amdhsa_uses_dynamic_stack 0
		.amdhsa_system_sgpr_private_segment_wavefront_offset 0
		.amdhsa_system_sgpr_workgroup_id_x 1
		.amdhsa_system_sgpr_workgroup_id_y 0
		.amdhsa_system_sgpr_workgroup_id_z 0
		.amdhsa_system_sgpr_workgroup_info 0
		.amdhsa_system_vgpr_workitem_id 0
		.amdhsa_next_free_vgpr 1
		.amdhsa_next_free_sgpr 0
		.amdhsa_accum_offset 4
		.amdhsa_reserve_vcc 0
		.amdhsa_reserve_flat_scratch 0
		.amdhsa_float_round_mode_32 0
		.amdhsa_float_round_mode_16_64 0
		.amdhsa_float_denorm_mode_32 3
		.amdhsa_float_denorm_mode_16_64 3
		.amdhsa_dx10_clamp 1
		.amdhsa_ieee_mode 1
		.amdhsa_fp16_overflow 0
		.amdhsa_tg_split 0
		.amdhsa_exception_fp_ieee_invalid_op 0
		.amdhsa_exception_fp_denorm_src 0
		.amdhsa_exception_fp_ieee_div_zero 0
		.amdhsa_exception_fp_ieee_overflow 0
		.amdhsa_exception_fp_ieee_underflow 0
		.amdhsa_exception_fp_ieee_inexact 0
		.amdhsa_exception_int_div_zero 0
	.end_amdhsa_kernel
	.section	.text._ZN7rocprim17ROCPRIM_400000_NS6detail17trampoline_kernelINS0_14default_configENS1_20scan_config_selectorIfEEZZNS1_9scan_implILNS1_25lookback_scan_determinismE0ELb1ELb1ES3_N6thrust23THRUST_200600_302600_NS6detail15normal_iteratorINS9_10device_ptrIfEEEENSB_INSC_IiEEEEfNS9_4plusIvEEfEEDaPvRmT3_T4_T5_mT6_P12ihipStream_tbENKUlT_T0_E_clISt17integral_constantIbLb1EESV_IbLb0EEEEDaSR_SS_EUlSR_E0_NS1_11comp_targetILNS1_3genE10ELNS1_11target_archE1200ELNS1_3gpuE4ELNS1_3repE0EEENS1_30default_config_static_selectorELNS0_4arch9wavefront6targetE1EEEvT1_,"axG",@progbits,_ZN7rocprim17ROCPRIM_400000_NS6detail17trampoline_kernelINS0_14default_configENS1_20scan_config_selectorIfEEZZNS1_9scan_implILNS1_25lookback_scan_determinismE0ELb1ELb1ES3_N6thrust23THRUST_200600_302600_NS6detail15normal_iteratorINS9_10device_ptrIfEEEENSB_INSC_IiEEEEfNS9_4plusIvEEfEEDaPvRmT3_T4_T5_mT6_P12ihipStream_tbENKUlT_T0_E_clISt17integral_constantIbLb1EESV_IbLb0EEEEDaSR_SS_EUlSR_E0_NS1_11comp_targetILNS1_3genE10ELNS1_11target_archE1200ELNS1_3gpuE4ELNS1_3repE0EEENS1_30default_config_static_selectorELNS0_4arch9wavefront6targetE1EEEvT1_,comdat
.Lfunc_end1620:
	.size	_ZN7rocprim17ROCPRIM_400000_NS6detail17trampoline_kernelINS0_14default_configENS1_20scan_config_selectorIfEEZZNS1_9scan_implILNS1_25lookback_scan_determinismE0ELb1ELb1ES3_N6thrust23THRUST_200600_302600_NS6detail15normal_iteratorINS9_10device_ptrIfEEEENSB_INSC_IiEEEEfNS9_4plusIvEEfEEDaPvRmT3_T4_T5_mT6_P12ihipStream_tbENKUlT_T0_E_clISt17integral_constantIbLb1EESV_IbLb0EEEEDaSR_SS_EUlSR_E0_NS1_11comp_targetILNS1_3genE10ELNS1_11target_archE1200ELNS1_3gpuE4ELNS1_3repE0EEENS1_30default_config_static_selectorELNS0_4arch9wavefront6targetE1EEEvT1_, .Lfunc_end1620-_ZN7rocprim17ROCPRIM_400000_NS6detail17trampoline_kernelINS0_14default_configENS1_20scan_config_selectorIfEEZZNS1_9scan_implILNS1_25lookback_scan_determinismE0ELb1ELb1ES3_N6thrust23THRUST_200600_302600_NS6detail15normal_iteratorINS9_10device_ptrIfEEEENSB_INSC_IiEEEEfNS9_4plusIvEEfEEDaPvRmT3_T4_T5_mT6_P12ihipStream_tbENKUlT_T0_E_clISt17integral_constantIbLb1EESV_IbLb0EEEEDaSR_SS_EUlSR_E0_NS1_11comp_targetILNS1_3genE10ELNS1_11target_archE1200ELNS1_3gpuE4ELNS1_3repE0EEENS1_30default_config_static_selectorELNS0_4arch9wavefront6targetE1EEEvT1_
                                        ; -- End function
	.section	.AMDGPU.csdata,"",@progbits
; Kernel info:
; codeLenInByte = 0
; NumSgprs: 4
; NumVgprs: 0
; NumAgprs: 0
; TotalNumVgprs: 0
; ScratchSize: 0
; MemoryBound: 0
; FloatMode: 240
; IeeeMode: 1
; LDSByteSize: 0 bytes/workgroup (compile time only)
; SGPRBlocks: 0
; VGPRBlocks: 0
; NumSGPRsForWavesPerEU: 4
; NumVGPRsForWavesPerEU: 1
; AccumOffset: 4
; Occupancy: 8
; WaveLimiterHint : 0
; COMPUTE_PGM_RSRC2:SCRATCH_EN: 0
; COMPUTE_PGM_RSRC2:USER_SGPR: 6
; COMPUTE_PGM_RSRC2:TRAP_HANDLER: 0
; COMPUTE_PGM_RSRC2:TGID_X_EN: 1
; COMPUTE_PGM_RSRC2:TGID_Y_EN: 0
; COMPUTE_PGM_RSRC2:TGID_Z_EN: 0
; COMPUTE_PGM_RSRC2:TIDIG_COMP_CNT: 0
; COMPUTE_PGM_RSRC3_GFX90A:ACCUM_OFFSET: 0
; COMPUTE_PGM_RSRC3_GFX90A:TG_SPLIT: 0
	.section	.text._ZN7rocprim17ROCPRIM_400000_NS6detail17trampoline_kernelINS0_14default_configENS1_20scan_config_selectorIfEEZZNS1_9scan_implILNS1_25lookback_scan_determinismE0ELb1ELb1ES3_N6thrust23THRUST_200600_302600_NS6detail15normal_iteratorINS9_10device_ptrIfEEEENSB_INSC_IiEEEEfNS9_4plusIvEEfEEDaPvRmT3_T4_T5_mT6_P12ihipStream_tbENKUlT_T0_E_clISt17integral_constantIbLb1EESV_IbLb0EEEEDaSR_SS_EUlSR_E0_NS1_11comp_targetILNS1_3genE9ELNS1_11target_archE1100ELNS1_3gpuE3ELNS1_3repE0EEENS1_30default_config_static_selectorELNS0_4arch9wavefront6targetE1EEEvT1_,"axG",@progbits,_ZN7rocprim17ROCPRIM_400000_NS6detail17trampoline_kernelINS0_14default_configENS1_20scan_config_selectorIfEEZZNS1_9scan_implILNS1_25lookback_scan_determinismE0ELb1ELb1ES3_N6thrust23THRUST_200600_302600_NS6detail15normal_iteratorINS9_10device_ptrIfEEEENSB_INSC_IiEEEEfNS9_4plusIvEEfEEDaPvRmT3_T4_T5_mT6_P12ihipStream_tbENKUlT_T0_E_clISt17integral_constantIbLb1EESV_IbLb0EEEEDaSR_SS_EUlSR_E0_NS1_11comp_targetILNS1_3genE9ELNS1_11target_archE1100ELNS1_3gpuE3ELNS1_3repE0EEENS1_30default_config_static_selectorELNS0_4arch9wavefront6targetE1EEEvT1_,comdat
	.protected	_ZN7rocprim17ROCPRIM_400000_NS6detail17trampoline_kernelINS0_14default_configENS1_20scan_config_selectorIfEEZZNS1_9scan_implILNS1_25lookback_scan_determinismE0ELb1ELb1ES3_N6thrust23THRUST_200600_302600_NS6detail15normal_iteratorINS9_10device_ptrIfEEEENSB_INSC_IiEEEEfNS9_4plusIvEEfEEDaPvRmT3_T4_T5_mT6_P12ihipStream_tbENKUlT_T0_E_clISt17integral_constantIbLb1EESV_IbLb0EEEEDaSR_SS_EUlSR_E0_NS1_11comp_targetILNS1_3genE9ELNS1_11target_archE1100ELNS1_3gpuE3ELNS1_3repE0EEENS1_30default_config_static_selectorELNS0_4arch9wavefront6targetE1EEEvT1_ ; -- Begin function _ZN7rocprim17ROCPRIM_400000_NS6detail17trampoline_kernelINS0_14default_configENS1_20scan_config_selectorIfEEZZNS1_9scan_implILNS1_25lookback_scan_determinismE0ELb1ELb1ES3_N6thrust23THRUST_200600_302600_NS6detail15normal_iteratorINS9_10device_ptrIfEEEENSB_INSC_IiEEEEfNS9_4plusIvEEfEEDaPvRmT3_T4_T5_mT6_P12ihipStream_tbENKUlT_T0_E_clISt17integral_constantIbLb1EESV_IbLb0EEEEDaSR_SS_EUlSR_E0_NS1_11comp_targetILNS1_3genE9ELNS1_11target_archE1100ELNS1_3gpuE3ELNS1_3repE0EEENS1_30default_config_static_selectorELNS0_4arch9wavefront6targetE1EEEvT1_
	.globl	_ZN7rocprim17ROCPRIM_400000_NS6detail17trampoline_kernelINS0_14default_configENS1_20scan_config_selectorIfEEZZNS1_9scan_implILNS1_25lookback_scan_determinismE0ELb1ELb1ES3_N6thrust23THRUST_200600_302600_NS6detail15normal_iteratorINS9_10device_ptrIfEEEENSB_INSC_IiEEEEfNS9_4plusIvEEfEEDaPvRmT3_T4_T5_mT6_P12ihipStream_tbENKUlT_T0_E_clISt17integral_constantIbLb1EESV_IbLb0EEEEDaSR_SS_EUlSR_E0_NS1_11comp_targetILNS1_3genE9ELNS1_11target_archE1100ELNS1_3gpuE3ELNS1_3repE0EEENS1_30default_config_static_selectorELNS0_4arch9wavefront6targetE1EEEvT1_
	.p2align	8
	.type	_ZN7rocprim17ROCPRIM_400000_NS6detail17trampoline_kernelINS0_14default_configENS1_20scan_config_selectorIfEEZZNS1_9scan_implILNS1_25lookback_scan_determinismE0ELb1ELb1ES3_N6thrust23THRUST_200600_302600_NS6detail15normal_iteratorINS9_10device_ptrIfEEEENSB_INSC_IiEEEEfNS9_4plusIvEEfEEDaPvRmT3_T4_T5_mT6_P12ihipStream_tbENKUlT_T0_E_clISt17integral_constantIbLb1EESV_IbLb0EEEEDaSR_SS_EUlSR_E0_NS1_11comp_targetILNS1_3genE9ELNS1_11target_archE1100ELNS1_3gpuE3ELNS1_3repE0EEENS1_30default_config_static_selectorELNS0_4arch9wavefront6targetE1EEEvT1_,@function
_ZN7rocprim17ROCPRIM_400000_NS6detail17trampoline_kernelINS0_14default_configENS1_20scan_config_selectorIfEEZZNS1_9scan_implILNS1_25lookback_scan_determinismE0ELb1ELb1ES3_N6thrust23THRUST_200600_302600_NS6detail15normal_iteratorINS9_10device_ptrIfEEEENSB_INSC_IiEEEEfNS9_4plusIvEEfEEDaPvRmT3_T4_T5_mT6_P12ihipStream_tbENKUlT_T0_E_clISt17integral_constantIbLb1EESV_IbLb0EEEEDaSR_SS_EUlSR_E0_NS1_11comp_targetILNS1_3genE9ELNS1_11target_archE1100ELNS1_3gpuE3ELNS1_3repE0EEENS1_30default_config_static_selectorELNS0_4arch9wavefront6targetE1EEEvT1_: ; @_ZN7rocprim17ROCPRIM_400000_NS6detail17trampoline_kernelINS0_14default_configENS1_20scan_config_selectorIfEEZZNS1_9scan_implILNS1_25lookback_scan_determinismE0ELb1ELb1ES3_N6thrust23THRUST_200600_302600_NS6detail15normal_iteratorINS9_10device_ptrIfEEEENSB_INSC_IiEEEEfNS9_4plusIvEEfEEDaPvRmT3_T4_T5_mT6_P12ihipStream_tbENKUlT_T0_E_clISt17integral_constantIbLb1EESV_IbLb0EEEEDaSR_SS_EUlSR_E0_NS1_11comp_targetILNS1_3genE9ELNS1_11target_archE1100ELNS1_3gpuE3ELNS1_3repE0EEENS1_30default_config_static_selectorELNS0_4arch9wavefront6targetE1EEEvT1_
; %bb.0:
	.section	.rodata,"a",@progbits
	.p2align	6, 0x0
	.amdhsa_kernel _ZN7rocprim17ROCPRIM_400000_NS6detail17trampoline_kernelINS0_14default_configENS1_20scan_config_selectorIfEEZZNS1_9scan_implILNS1_25lookback_scan_determinismE0ELb1ELb1ES3_N6thrust23THRUST_200600_302600_NS6detail15normal_iteratorINS9_10device_ptrIfEEEENSB_INSC_IiEEEEfNS9_4plusIvEEfEEDaPvRmT3_T4_T5_mT6_P12ihipStream_tbENKUlT_T0_E_clISt17integral_constantIbLb1EESV_IbLb0EEEEDaSR_SS_EUlSR_E0_NS1_11comp_targetILNS1_3genE9ELNS1_11target_archE1100ELNS1_3gpuE3ELNS1_3repE0EEENS1_30default_config_static_selectorELNS0_4arch9wavefront6targetE1EEEvT1_
		.amdhsa_group_segment_fixed_size 0
		.amdhsa_private_segment_fixed_size 0
		.amdhsa_kernarg_size 32
		.amdhsa_user_sgpr_count 6
		.amdhsa_user_sgpr_private_segment_buffer 1
		.amdhsa_user_sgpr_dispatch_ptr 0
		.amdhsa_user_sgpr_queue_ptr 0
		.amdhsa_user_sgpr_kernarg_segment_ptr 1
		.amdhsa_user_sgpr_dispatch_id 0
		.amdhsa_user_sgpr_flat_scratch_init 0
		.amdhsa_user_sgpr_kernarg_preload_length 0
		.amdhsa_user_sgpr_kernarg_preload_offset 0
		.amdhsa_user_sgpr_private_segment_size 0
		.amdhsa_uses_dynamic_stack 0
		.amdhsa_system_sgpr_private_segment_wavefront_offset 0
		.amdhsa_system_sgpr_workgroup_id_x 1
		.amdhsa_system_sgpr_workgroup_id_y 0
		.amdhsa_system_sgpr_workgroup_id_z 0
		.amdhsa_system_sgpr_workgroup_info 0
		.amdhsa_system_vgpr_workitem_id 0
		.amdhsa_next_free_vgpr 1
		.amdhsa_next_free_sgpr 0
		.amdhsa_accum_offset 4
		.amdhsa_reserve_vcc 0
		.amdhsa_reserve_flat_scratch 0
		.amdhsa_float_round_mode_32 0
		.amdhsa_float_round_mode_16_64 0
		.amdhsa_float_denorm_mode_32 3
		.amdhsa_float_denorm_mode_16_64 3
		.amdhsa_dx10_clamp 1
		.amdhsa_ieee_mode 1
		.amdhsa_fp16_overflow 0
		.amdhsa_tg_split 0
		.amdhsa_exception_fp_ieee_invalid_op 0
		.amdhsa_exception_fp_denorm_src 0
		.amdhsa_exception_fp_ieee_div_zero 0
		.amdhsa_exception_fp_ieee_overflow 0
		.amdhsa_exception_fp_ieee_underflow 0
		.amdhsa_exception_fp_ieee_inexact 0
		.amdhsa_exception_int_div_zero 0
	.end_amdhsa_kernel
	.section	.text._ZN7rocprim17ROCPRIM_400000_NS6detail17trampoline_kernelINS0_14default_configENS1_20scan_config_selectorIfEEZZNS1_9scan_implILNS1_25lookback_scan_determinismE0ELb1ELb1ES3_N6thrust23THRUST_200600_302600_NS6detail15normal_iteratorINS9_10device_ptrIfEEEENSB_INSC_IiEEEEfNS9_4plusIvEEfEEDaPvRmT3_T4_T5_mT6_P12ihipStream_tbENKUlT_T0_E_clISt17integral_constantIbLb1EESV_IbLb0EEEEDaSR_SS_EUlSR_E0_NS1_11comp_targetILNS1_3genE9ELNS1_11target_archE1100ELNS1_3gpuE3ELNS1_3repE0EEENS1_30default_config_static_selectorELNS0_4arch9wavefront6targetE1EEEvT1_,"axG",@progbits,_ZN7rocprim17ROCPRIM_400000_NS6detail17trampoline_kernelINS0_14default_configENS1_20scan_config_selectorIfEEZZNS1_9scan_implILNS1_25lookback_scan_determinismE0ELb1ELb1ES3_N6thrust23THRUST_200600_302600_NS6detail15normal_iteratorINS9_10device_ptrIfEEEENSB_INSC_IiEEEEfNS9_4plusIvEEfEEDaPvRmT3_T4_T5_mT6_P12ihipStream_tbENKUlT_T0_E_clISt17integral_constantIbLb1EESV_IbLb0EEEEDaSR_SS_EUlSR_E0_NS1_11comp_targetILNS1_3genE9ELNS1_11target_archE1100ELNS1_3gpuE3ELNS1_3repE0EEENS1_30default_config_static_selectorELNS0_4arch9wavefront6targetE1EEEvT1_,comdat
.Lfunc_end1621:
	.size	_ZN7rocprim17ROCPRIM_400000_NS6detail17trampoline_kernelINS0_14default_configENS1_20scan_config_selectorIfEEZZNS1_9scan_implILNS1_25lookback_scan_determinismE0ELb1ELb1ES3_N6thrust23THRUST_200600_302600_NS6detail15normal_iteratorINS9_10device_ptrIfEEEENSB_INSC_IiEEEEfNS9_4plusIvEEfEEDaPvRmT3_T4_T5_mT6_P12ihipStream_tbENKUlT_T0_E_clISt17integral_constantIbLb1EESV_IbLb0EEEEDaSR_SS_EUlSR_E0_NS1_11comp_targetILNS1_3genE9ELNS1_11target_archE1100ELNS1_3gpuE3ELNS1_3repE0EEENS1_30default_config_static_selectorELNS0_4arch9wavefront6targetE1EEEvT1_, .Lfunc_end1621-_ZN7rocprim17ROCPRIM_400000_NS6detail17trampoline_kernelINS0_14default_configENS1_20scan_config_selectorIfEEZZNS1_9scan_implILNS1_25lookback_scan_determinismE0ELb1ELb1ES3_N6thrust23THRUST_200600_302600_NS6detail15normal_iteratorINS9_10device_ptrIfEEEENSB_INSC_IiEEEEfNS9_4plusIvEEfEEDaPvRmT3_T4_T5_mT6_P12ihipStream_tbENKUlT_T0_E_clISt17integral_constantIbLb1EESV_IbLb0EEEEDaSR_SS_EUlSR_E0_NS1_11comp_targetILNS1_3genE9ELNS1_11target_archE1100ELNS1_3gpuE3ELNS1_3repE0EEENS1_30default_config_static_selectorELNS0_4arch9wavefront6targetE1EEEvT1_
                                        ; -- End function
	.section	.AMDGPU.csdata,"",@progbits
; Kernel info:
; codeLenInByte = 0
; NumSgprs: 4
; NumVgprs: 0
; NumAgprs: 0
; TotalNumVgprs: 0
; ScratchSize: 0
; MemoryBound: 0
; FloatMode: 240
; IeeeMode: 1
; LDSByteSize: 0 bytes/workgroup (compile time only)
; SGPRBlocks: 0
; VGPRBlocks: 0
; NumSGPRsForWavesPerEU: 4
; NumVGPRsForWavesPerEU: 1
; AccumOffset: 4
; Occupancy: 8
; WaveLimiterHint : 0
; COMPUTE_PGM_RSRC2:SCRATCH_EN: 0
; COMPUTE_PGM_RSRC2:USER_SGPR: 6
; COMPUTE_PGM_RSRC2:TRAP_HANDLER: 0
; COMPUTE_PGM_RSRC2:TGID_X_EN: 1
; COMPUTE_PGM_RSRC2:TGID_Y_EN: 0
; COMPUTE_PGM_RSRC2:TGID_Z_EN: 0
; COMPUTE_PGM_RSRC2:TIDIG_COMP_CNT: 0
; COMPUTE_PGM_RSRC3_GFX90A:ACCUM_OFFSET: 0
; COMPUTE_PGM_RSRC3_GFX90A:TG_SPLIT: 0
	.section	.text._ZN7rocprim17ROCPRIM_400000_NS6detail17trampoline_kernelINS0_14default_configENS1_20scan_config_selectorIfEEZZNS1_9scan_implILNS1_25lookback_scan_determinismE0ELb1ELb1ES3_N6thrust23THRUST_200600_302600_NS6detail15normal_iteratorINS9_10device_ptrIfEEEENSB_INSC_IiEEEEfNS9_4plusIvEEfEEDaPvRmT3_T4_T5_mT6_P12ihipStream_tbENKUlT_T0_E_clISt17integral_constantIbLb1EESV_IbLb0EEEEDaSR_SS_EUlSR_E0_NS1_11comp_targetILNS1_3genE8ELNS1_11target_archE1030ELNS1_3gpuE2ELNS1_3repE0EEENS1_30default_config_static_selectorELNS0_4arch9wavefront6targetE1EEEvT1_,"axG",@progbits,_ZN7rocprim17ROCPRIM_400000_NS6detail17trampoline_kernelINS0_14default_configENS1_20scan_config_selectorIfEEZZNS1_9scan_implILNS1_25lookback_scan_determinismE0ELb1ELb1ES3_N6thrust23THRUST_200600_302600_NS6detail15normal_iteratorINS9_10device_ptrIfEEEENSB_INSC_IiEEEEfNS9_4plusIvEEfEEDaPvRmT3_T4_T5_mT6_P12ihipStream_tbENKUlT_T0_E_clISt17integral_constantIbLb1EESV_IbLb0EEEEDaSR_SS_EUlSR_E0_NS1_11comp_targetILNS1_3genE8ELNS1_11target_archE1030ELNS1_3gpuE2ELNS1_3repE0EEENS1_30default_config_static_selectorELNS0_4arch9wavefront6targetE1EEEvT1_,comdat
	.protected	_ZN7rocprim17ROCPRIM_400000_NS6detail17trampoline_kernelINS0_14default_configENS1_20scan_config_selectorIfEEZZNS1_9scan_implILNS1_25lookback_scan_determinismE0ELb1ELb1ES3_N6thrust23THRUST_200600_302600_NS6detail15normal_iteratorINS9_10device_ptrIfEEEENSB_INSC_IiEEEEfNS9_4plusIvEEfEEDaPvRmT3_T4_T5_mT6_P12ihipStream_tbENKUlT_T0_E_clISt17integral_constantIbLb1EESV_IbLb0EEEEDaSR_SS_EUlSR_E0_NS1_11comp_targetILNS1_3genE8ELNS1_11target_archE1030ELNS1_3gpuE2ELNS1_3repE0EEENS1_30default_config_static_selectorELNS0_4arch9wavefront6targetE1EEEvT1_ ; -- Begin function _ZN7rocprim17ROCPRIM_400000_NS6detail17trampoline_kernelINS0_14default_configENS1_20scan_config_selectorIfEEZZNS1_9scan_implILNS1_25lookback_scan_determinismE0ELb1ELb1ES3_N6thrust23THRUST_200600_302600_NS6detail15normal_iteratorINS9_10device_ptrIfEEEENSB_INSC_IiEEEEfNS9_4plusIvEEfEEDaPvRmT3_T4_T5_mT6_P12ihipStream_tbENKUlT_T0_E_clISt17integral_constantIbLb1EESV_IbLb0EEEEDaSR_SS_EUlSR_E0_NS1_11comp_targetILNS1_3genE8ELNS1_11target_archE1030ELNS1_3gpuE2ELNS1_3repE0EEENS1_30default_config_static_selectorELNS0_4arch9wavefront6targetE1EEEvT1_
	.globl	_ZN7rocprim17ROCPRIM_400000_NS6detail17trampoline_kernelINS0_14default_configENS1_20scan_config_selectorIfEEZZNS1_9scan_implILNS1_25lookback_scan_determinismE0ELb1ELb1ES3_N6thrust23THRUST_200600_302600_NS6detail15normal_iteratorINS9_10device_ptrIfEEEENSB_INSC_IiEEEEfNS9_4plusIvEEfEEDaPvRmT3_T4_T5_mT6_P12ihipStream_tbENKUlT_T0_E_clISt17integral_constantIbLb1EESV_IbLb0EEEEDaSR_SS_EUlSR_E0_NS1_11comp_targetILNS1_3genE8ELNS1_11target_archE1030ELNS1_3gpuE2ELNS1_3repE0EEENS1_30default_config_static_selectorELNS0_4arch9wavefront6targetE1EEEvT1_
	.p2align	8
	.type	_ZN7rocprim17ROCPRIM_400000_NS6detail17trampoline_kernelINS0_14default_configENS1_20scan_config_selectorIfEEZZNS1_9scan_implILNS1_25lookback_scan_determinismE0ELb1ELb1ES3_N6thrust23THRUST_200600_302600_NS6detail15normal_iteratorINS9_10device_ptrIfEEEENSB_INSC_IiEEEEfNS9_4plusIvEEfEEDaPvRmT3_T4_T5_mT6_P12ihipStream_tbENKUlT_T0_E_clISt17integral_constantIbLb1EESV_IbLb0EEEEDaSR_SS_EUlSR_E0_NS1_11comp_targetILNS1_3genE8ELNS1_11target_archE1030ELNS1_3gpuE2ELNS1_3repE0EEENS1_30default_config_static_selectorELNS0_4arch9wavefront6targetE1EEEvT1_,@function
_ZN7rocprim17ROCPRIM_400000_NS6detail17trampoline_kernelINS0_14default_configENS1_20scan_config_selectorIfEEZZNS1_9scan_implILNS1_25lookback_scan_determinismE0ELb1ELb1ES3_N6thrust23THRUST_200600_302600_NS6detail15normal_iteratorINS9_10device_ptrIfEEEENSB_INSC_IiEEEEfNS9_4plusIvEEfEEDaPvRmT3_T4_T5_mT6_P12ihipStream_tbENKUlT_T0_E_clISt17integral_constantIbLb1EESV_IbLb0EEEEDaSR_SS_EUlSR_E0_NS1_11comp_targetILNS1_3genE8ELNS1_11target_archE1030ELNS1_3gpuE2ELNS1_3repE0EEENS1_30default_config_static_selectorELNS0_4arch9wavefront6targetE1EEEvT1_: ; @_ZN7rocprim17ROCPRIM_400000_NS6detail17trampoline_kernelINS0_14default_configENS1_20scan_config_selectorIfEEZZNS1_9scan_implILNS1_25lookback_scan_determinismE0ELb1ELb1ES3_N6thrust23THRUST_200600_302600_NS6detail15normal_iteratorINS9_10device_ptrIfEEEENSB_INSC_IiEEEEfNS9_4plusIvEEfEEDaPvRmT3_T4_T5_mT6_P12ihipStream_tbENKUlT_T0_E_clISt17integral_constantIbLb1EESV_IbLb0EEEEDaSR_SS_EUlSR_E0_NS1_11comp_targetILNS1_3genE8ELNS1_11target_archE1030ELNS1_3gpuE2ELNS1_3repE0EEENS1_30default_config_static_selectorELNS0_4arch9wavefront6targetE1EEEvT1_
; %bb.0:
	.section	.rodata,"a",@progbits
	.p2align	6, 0x0
	.amdhsa_kernel _ZN7rocprim17ROCPRIM_400000_NS6detail17trampoline_kernelINS0_14default_configENS1_20scan_config_selectorIfEEZZNS1_9scan_implILNS1_25lookback_scan_determinismE0ELb1ELb1ES3_N6thrust23THRUST_200600_302600_NS6detail15normal_iteratorINS9_10device_ptrIfEEEENSB_INSC_IiEEEEfNS9_4plusIvEEfEEDaPvRmT3_T4_T5_mT6_P12ihipStream_tbENKUlT_T0_E_clISt17integral_constantIbLb1EESV_IbLb0EEEEDaSR_SS_EUlSR_E0_NS1_11comp_targetILNS1_3genE8ELNS1_11target_archE1030ELNS1_3gpuE2ELNS1_3repE0EEENS1_30default_config_static_selectorELNS0_4arch9wavefront6targetE1EEEvT1_
		.amdhsa_group_segment_fixed_size 0
		.amdhsa_private_segment_fixed_size 0
		.amdhsa_kernarg_size 32
		.amdhsa_user_sgpr_count 6
		.amdhsa_user_sgpr_private_segment_buffer 1
		.amdhsa_user_sgpr_dispatch_ptr 0
		.amdhsa_user_sgpr_queue_ptr 0
		.amdhsa_user_sgpr_kernarg_segment_ptr 1
		.amdhsa_user_sgpr_dispatch_id 0
		.amdhsa_user_sgpr_flat_scratch_init 0
		.amdhsa_user_sgpr_kernarg_preload_length 0
		.amdhsa_user_sgpr_kernarg_preload_offset 0
		.amdhsa_user_sgpr_private_segment_size 0
		.amdhsa_uses_dynamic_stack 0
		.amdhsa_system_sgpr_private_segment_wavefront_offset 0
		.amdhsa_system_sgpr_workgroup_id_x 1
		.amdhsa_system_sgpr_workgroup_id_y 0
		.amdhsa_system_sgpr_workgroup_id_z 0
		.amdhsa_system_sgpr_workgroup_info 0
		.amdhsa_system_vgpr_workitem_id 0
		.amdhsa_next_free_vgpr 1
		.amdhsa_next_free_sgpr 0
		.amdhsa_accum_offset 4
		.amdhsa_reserve_vcc 0
		.amdhsa_reserve_flat_scratch 0
		.amdhsa_float_round_mode_32 0
		.amdhsa_float_round_mode_16_64 0
		.amdhsa_float_denorm_mode_32 3
		.amdhsa_float_denorm_mode_16_64 3
		.amdhsa_dx10_clamp 1
		.amdhsa_ieee_mode 1
		.amdhsa_fp16_overflow 0
		.amdhsa_tg_split 0
		.amdhsa_exception_fp_ieee_invalid_op 0
		.amdhsa_exception_fp_denorm_src 0
		.amdhsa_exception_fp_ieee_div_zero 0
		.amdhsa_exception_fp_ieee_overflow 0
		.amdhsa_exception_fp_ieee_underflow 0
		.amdhsa_exception_fp_ieee_inexact 0
		.amdhsa_exception_int_div_zero 0
	.end_amdhsa_kernel
	.section	.text._ZN7rocprim17ROCPRIM_400000_NS6detail17trampoline_kernelINS0_14default_configENS1_20scan_config_selectorIfEEZZNS1_9scan_implILNS1_25lookback_scan_determinismE0ELb1ELb1ES3_N6thrust23THRUST_200600_302600_NS6detail15normal_iteratorINS9_10device_ptrIfEEEENSB_INSC_IiEEEEfNS9_4plusIvEEfEEDaPvRmT3_T4_T5_mT6_P12ihipStream_tbENKUlT_T0_E_clISt17integral_constantIbLb1EESV_IbLb0EEEEDaSR_SS_EUlSR_E0_NS1_11comp_targetILNS1_3genE8ELNS1_11target_archE1030ELNS1_3gpuE2ELNS1_3repE0EEENS1_30default_config_static_selectorELNS0_4arch9wavefront6targetE1EEEvT1_,"axG",@progbits,_ZN7rocprim17ROCPRIM_400000_NS6detail17trampoline_kernelINS0_14default_configENS1_20scan_config_selectorIfEEZZNS1_9scan_implILNS1_25lookback_scan_determinismE0ELb1ELb1ES3_N6thrust23THRUST_200600_302600_NS6detail15normal_iteratorINS9_10device_ptrIfEEEENSB_INSC_IiEEEEfNS9_4plusIvEEfEEDaPvRmT3_T4_T5_mT6_P12ihipStream_tbENKUlT_T0_E_clISt17integral_constantIbLb1EESV_IbLb0EEEEDaSR_SS_EUlSR_E0_NS1_11comp_targetILNS1_3genE8ELNS1_11target_archE1030ELNS1_3gpuE2ELNS1_3repE0EEENS1_30default_config_static_selectorELNS0_4arch9wavefront6targetE1EEEvT1_,comdat
.Lfunc_end1622:
	.size	_ZN7rocprim17ROCPRIM_400000_NS6detail17trampoline_kernelINS0_14default_configENS1_20scan_config_selectorIfEEZZNS1_9scan_implILNS1_25lookback_scan_determinismE0ELb1ELb1ES3_N6thrust23THRUST_200600_302600_NS6detail15normal_iteratorINS9_10device_ptrIfEEEENSB_INSC_IiEEEEfNS9_4plusIvEEfEEDaPvRmT3_T4_T5_mT6_P12ihipStream_tbENKUlT_T0_E_clISt17integral_constantIbLb1EESV_IbLb0EEEEDaSR_SS_EUlSR_E0_NS1_11comp_targetILNS1_3genE8ELNS1_11target_archE1030ELNS1_3gpuE2ELNS1_3repE0EEENS1_30default_config_static_selectorELNS0_4arch9wavefront6targetE1EEEvT1_, .Lfunc_end1622-_ZN7rocprim17ROCPRIM_400000_NS6detail17trampoline_kernelINS0_14default_configENS1_20scan_config_selectorIfEEZZNS1_9scan_implILNS1_25lookback_scan_determinismE0ELb1ELb1ES3_N6thrust23THRUST_200600_302600_NS6detail15normal_iteratorINS9_10device_ptrIfEEEENSB_INSC_IiEEEEfNS9_4plusIvEEfEEDaPvRmT3_T4_T5_mT6_P12ihipStream_tbENKUlT_T0_E_clISt17integral_constantIbLb1EESV_IbLb0EEEEDaSR_SS_EUlSR_E0_NS1_11comp_targetILNS1_3genE8ELNS1_11target_archE1030ELNS1_3gpuE2ELNS1_3repE0EEENS1_30default_config_static_selectorELNS0_4arch9wavefront6targetE1EEEvT1_
                                        ; -- End function
	.section	.AMDGPU.csdata,"",@progbits
; Kernel info:
; codeLenInByte = 0
; NumSgprs: 4
; NumVgprs: 0
; NumAgprs: 0
; TotalNumVgprs: 0
; ScratchSize: 0
; MemoryBound: 0
; FloatMode: 240
; IeeeMode: 1
; LDSByteSize: 0 bytes/workgroup (compile time only)
; SGPRBlocks: 0
; VGPRBlocks: 0
; NumSGPRsForWavesPerEU: 4
; NumVGPRsForWavesPerEU: 1
; AccumOffset: 4
; Occupancy: 8
; WaveLimiterHint : 0
; COMPUTE_PGM_RSRC2:SCRATCH_EN: 0
; COMPUTE_PGM_RSRC2:USER_SGPR: 6
; COMPUTE_PGM_RSRC2:TRAP_HANDLER: 0
; COMPUTE_PGM_RSRC2:TGID_X_EN: 1
; COMPUTE_PGM_RSRC2:TGID_Y_EN: 0
; COMPUTE_PGM_RSRC2:TGID_Z_EN: 0
; COMPUTE_PGM_RSRC2:TIDIG_COMP_CNT: 0
; COMPUTE_PGM_RSRC3_GFX90A:ACCUM_OFFSET: 0
; COMPUTE_PGM_RSRC3_GFX90A:TG_SPLIT: 0
	.section	.text._ZN7rocprim17ROCPRIM_400000_NS6detail17trampoline_kernelINS0_14default_configENS1_20scan_config_selectorIfEEZZNS1_9scan_implILNS1_25lookback_scan_determinismE0ELb1ELb1ES3_N6thrust23THRUST_200600_302600_NS6detail15normal_iteratorINS9_10device_ptrIfEEEENSB_INSC_IiEEEEfNS9_4plusIvEEfEEDaPvRmT3_T4_T5_mT6_P12ihipStream_tbENKUlT_T0_E_clISt17integral_constantIbLb0EESV_IbLb1EEEEDaSR_SS_EUlSR_E_NS1_11comp_targetILNS1_3genE0ELNS1_11target_archE4294967295ELNS1_3gpuE0ELNS1_3repE0EEENS1_30default_config_static_selectorELNS0_4arch9wavefront6targetE1EEEvT1_,"axG",@progbits,_ZN7rocprim17ROCPRIM_400000_NS6detail17trampoline_kernelINS0_14default_configENS1_20scan_config_selectorIfEEZZNS1_9scan_implILNS1_25lookback_scan_determinismE0ELb1ELb1ES3_N6thrust23THRUST_200600_302600_NS6detail15normal_iteratorINS9_10device_ptrIfEEEENSB_INSC_IiEEEEfNS9_4plusIvEEfEEDaPvRmT3_T4_T5_mT6_P12ihipStream_tbENKUlT_T0_E_clISt17integral_constantIbLb0EESV_IbLb1EEEEDaSR_SS_EUlSR_E_NS1_11comp_targetILNS1_3genE0ELNS1_11target_archE4294967295ELNS1_3gpuE0ELNS1_3repE0EEENS1_30default_config_static_selectorELNS0_4arch9wavefront6targetE1EEEvT1_,comdat
	.protected	_ZN7rocprim17ROCPRIM_400000_NS6detail17trampoline_kernelINS0_14default_configENS1_20scan_config_selectorIfEEZZNS1_9scan_implILNS1_25lookback_scan_determinismE0ELb1ELb1ES3_N6thrust23THRUST_200600_302600_NS6detail15normal_iteratorINS9_10device_ptrIfEEEENSB_INSC_IiEEEEfNS9_4plusIvEEfEEDaPvRmT3_T4_T5_mT6_P12ihipStream_tbENKUlT_T0_E_clISt17integral_constantIbLb0EESV_IbLb1EEEEDaSR_SS_EUlSR_E_NS1_11comp_targetILNS1_3genE0ELNS1_11target_archE4294967295ELNS1_3gpuE0ELNS1_3repE0EEENS1_30default_config_static_selectorELNS0_4arch9wavefront6targetE1EEEvT1_ ; -- Begin function _ZN7rocprim17ROCPRIM_400000_NS6detail17trampoline_kernelINS0_14default_configENS1_20scan_config_selectorIfEEZZNS1_9scan_implILNS1_25lookback_scan_determinismE0ELb1ELb1ES3_N6thrust23THRUST_200600_302600_NS6detail15normal_iteratorINS9_10device_ptrIfEEEENSB_INSC_IiEEEEfNS9_4plusIvEEfEEDaPvRmT3_T4_T5_mT6_P12ihipStream_tbENKUlT_T0_E_clISt17integral_constantIbLb0EESV_IbLb1EEEEDaSR_SS_EUlSR_E_NS1_11comp_targetILNS1_3genE0ELNS1_11target_archE4294967295ELNS1_3gpuE0ELNS1_3repE0EEENS1_30default_config_static_selectorELNS0_4arch9wavefront6targetE1EEEvT1_
	.globl	_ZN7rocprim17ROCPRIM_400000_NS6detail17trampoline_kernelINS0_14default_configENS1_20scan_config_selectorIfEEZZNS1_9scan_implILNS1_25lookback_scan_determinismE0ELb1ELb1ES3_N6thrust23THRUST_200600_302600_NS6detail15normal_iteratorINS9_10device_ptrIfEEEENSB_INSC_IiEEEEfNS9_4plusIvEEfEEDaPvRmT3_T4_T5_mT6_P12ihipStream_tbENKUlT_T0_E_clISt17integral_constantIbLb0EESV_IbLb1EEEEDaSR_SS_EUlSR_E_NS1_11comp_targetILNS1_3genE0ELNS1_11target_archE4294967295ELNS1_3gpuE0ELNS1_3repE0EEENS1_30default_config_static_selectorELNS0_4arch9wavefront6targetE1EEEvT1_
	.p2align	8
	.type	_ZN7rocprim17ROCPRIM_400000_NS6detail17trampoline_kernelINS0_14default_configENS1_20scan_config_selectorIfEEZZNS1_9scan_implILNS1_25lookback_scan_determinismE0ELb1ELb1ES3_N6thrust23THRUST_200600_302600_NS6detail15normal_iteratorINS9_10device_ptrIfEEEENSB_INSC_IiEEEEfNS9_4plusIvEEfEEDaPvRmT3_T4_T5_mT6_P12ihipStream_tbENKUlT_T0_E_clISt17integral_constantIbLb0EESV_IbLb1EEEEDaSR_SS_EUlSR_E_NS1_11comp_targetILNS1_3genE0ELNS1_11target_archE4294967295ELNS1_3gpuE0ELNS1_3repE0EEENS1_30default_config_static_selectorELNS0_4arch9wavefront6targetE1EEEvT1_,@function
_ZN7rocprim17ROCPRIM_400000_NS6detail17trampoline_kernelINS0_14default_configENS1_20scan_config_selectorIfEEZZNS1_9scan_implILNS1_25lookback_scan_determinismE0ELb1ELb1ES3_N6thrust23THRUST_200600_302600_NS6detail15normal_iteratorINS9_10device_ptrIfEEEENSB_INSC_IiEEEEfNS9_4plusIvEEfEEDaPvRmT3_T4_T5_mT6_P12ihipStream_tbENKUlT_T0_E_clISt17integral_constantIbLb0EESV_IbLb1EEEEDaSR_SS_EUlSR_E_NS1_11comp_targetILNS1_3genE0ELNS1_11target_archE4294967295ELNS1_3gpuE0ELNS1_3repE0EEENS1_30default_config_static_selectorELNS0_4arch9wavefront6targetE1EEEvT1_: ; @_ZN7rocprim17ROCPRIM_400000_NS6detail17trampoline_kernelINS0_14default_configENS1_20scan_config_selectorIfEEZZNS1_9scan_implILNS1_25lookback_scan_determinismE0ELb1ELb1ES3_N6thrust23THRUST_200600_302600_NS6detail15normal_iteratorINS9_10device_ptrIfEEEENSB_INSC_IiEEEEfNS9_4plusIvEEfEEDaPvRmT3_T4_T5_mT6_P12ihipStream_tbENKUlT_T0_E_clISt17integral_constantIbLb0EESV_IbLb1EEEEDaSR_SS_EUlSR_E_NS1_11comp_targetILNS1_3genE0ELNS1_11target_archE4294967295ELNS1_3gpuE0ELNS1_3repE0EEENS1_30default_config_static_selectorELNS0_4arch9wavefront6targetE1EEEvT1_
; %bb.0:
	.section	.rodata,"a",@progbits
	.p2align	6, 0x0
	.amdhsa_kernel _ZN7rocprim17ROCPRIM_400000_NS6detail17trampoline_kernelINS0_14default_configENS1_20scan_config_selectorIfEEZZNS1_9scan_implILNS1_25lookback_scan_determinismE0ELb1ELb1ES3_N6thrust23THRUST_200600_302600_NS6detail15normal_iteratorINS9_10device_ptrIfEEEENSB_INSC_IiEEEEfNS9_4plusIvEEfEEDaPvRmT3_T4_T5_mT6_P12ihipStream_tbENKUlT_T0_E_clISt17integral_constantIbLb0EESV_IbLb1EEEEDaSR_SS_EUlSR_E_NS1_11comp_targetILNS1_3genE0ELNS1_11target_archE4294967295ELNS1_3gpuE0ELNS1_3repE0EEENS1_30default_config_static_selectorELNS0_4arch9wavefront6targetE1EEEvT1_
		.amdhsa_group_segment_fixed_size 0
		.amdhsa_private_segment_fixed_size 0
		.amdhsa_kernarg_size 96
		.amdhsa_user_sgpr_count 6
		.amdhsa_user_sgpr_private_segment_buffer 1
		.amdhsa_user_sgpr_dispatch_ptr 0
		.amdhsa_user_sgpr_queue_ptr 0
		.amdhsa_user_sgpr_kernarg_segment_ptr 1
		.amdhsa_user_sgpr_dispatch_id 0
		.amdhsa_user_sgpr_flat_scratch_init 0
		.amdhsa_user_sgpr_kernarg_preload_length 0
		.amdhsa_user_sgpr_kernarg_preload_offset 0
		.amdhsa_user_sgpr_private_segment_size 0
		.amdhsa_uses_dynamic_stack 0
		.amdhsa_system_sgpr_private_segment_wavefront_offset 0
		.amdhsa_system_sgpr_workgroup_id_x 1
		.amdhsa_system_sgpr_workgroup_id_y 0
		.amdhsa_system_sgpr_workgroup_id_z 0
		.amdhsa_system_sgpr_workgroup_info 0
		.amdhsa_system_vgpr_workitem_id 0
		.amdhsa_next_free_vgpr 1
		.amdhsa_next_free_sgpr 0
		.amdhsa_accum_offset 4
		.amdhsa_reserve_vcc 0
		.amdhsa_reserve_flat_scratch 0
		.amdhsa_float_round_mode_32 0
		.amdhsa_float_round_mode_16_64 0
		.amdhsa_float_denorm_mode_32 3
		.amdhsa_float_denorm_mode_16_64 3
		.amdhsa_dx10_clamp 1
		.amdhsa_ieee_mode 1
		.amdhsa_fp16_overflow 0
		.amdhsa_tg_split 0
		.amdhsa_exception_fp_ieee_invalid_op 0
		.amdhsa_exception_fp_denorm_src 0
		.amdhsa_exception_fp_ieee_div_zero 0
		.amdhsa_exception_fp_ieee_overflow 0
		.amdhsa_exception_fp_ieee_underflow 0
		.amdhsa_exception_fp_ieee_inexact 0
		.amdhsa_exception_int_div_zero 0
	.end_amdhsa_kernel
	.section	.text._ZN7rocprim17ROCPRIM_400000_NS6detail17trampoline_kernelINS0_14default_configENS1_20scan_config_selectorIfEEZZNS1_9scan_implILNS1_25lookback_scan_determinismE0ELb1ELb1ES3_N6thrust23THRUST_200600_302600_NS6detail15normal_iteratorINS9_10device_ptrIfEEEENSB_INSC_IiEEEEfNS9_4plusIvEEfEEDaPvRmT3_T4_T5_mT6_P12ihipStream_tbENKUlT_T0_E_clISt17integral_constantIbLb0EESV_IbLb1EEEEDaSR_SS_EUlSR_E_NS1_11comp_targetILNS1_3genE0ELNS1_11target_archE4294967295ELNS1_3gpuE0ELNS1_3repE0EEENS1_30default_config_static_selectorELNS0_4arch9wavefront6targetE1EEEvT1_,"axG",@progbits,_ZN7rocprim17ROCPRIM_400000_NS6detail17trampoline_kernelINS0_14default_configENS1_20scan_config_selectorIfEEZZNS1_9scan_implILNS1_25lookback_scan_determinismE0ELb1ELb1ES3_N6thrust23THRUST_200600_302600_NS6detail15normal_iteratorINS9_10device_ptrIfEEEENSB_INSC_IiEEEEfNS9_4plusIvEEfEEDaPvRmT3_T4_T5_mT6_P12ihipStream_tbENKUlT_T0_E_clISt17integral_constantIbLb0EESV_IbLb1EEEEDaSR_SS_EUlSR_E_NS1_11comp_targetILNS1_3genE0ELNS1_11target_archE4294967295ELNS1_3gpuE0ELNS1_3repE0EEENS1_30default_config_static_selectorELNS0_4arch9wavefront6targetE1EEEvT1_,comdat
.Lfunc_end1623:
	.size	_ZN7rocprim17ROCPRIM_400000_NS6detail17trampoline_kernelINS0_14default_configENS1_20scan_config_selectorIfEEZZNS1_9scan_implILNS1_25lookback_scan_determinismE0ELb1ELb1ES3_N6thrust23THRUST_200600_302600_NS6detail15normal_iteratorINS9_10device_ptrIfEEEENSB_INSC_IiEEEEfNS9_4plusIvEEfEEDaPvRmT3_T4_T5_mT6_P12ihipStream_tbENKUlT_T0_E_clISt17integral_constantIbLb0EESV_IbLb1EEEEDaSR_SS_EUlSR_E_NS1_11comp_targetILNS1_3genE0ELNS1_11target_archE4294967295ELNS1_3gpuE0ELNS1_3repE0EEENS1_30default_config_static_selectorELNS0_4arch9wavefront6targetE1EEEvT1_, .Lfunc_end1623-_ZN7rocprim17ROCPRIM_400000_NS6detail17trampoline_kernelINS0_14default_configENS1_20scan_config_selectorIfEEZZNS1_9scan_implILNS1_25lookback_scan_determinismE0ELb1ELb1ES3_N6thrust23THRUST_200600_302600_NS6detail15normal_iteratorINS9_10device_ptrIfEEEENSB_INSC_IiEEEEfNS9_4plusIvEEfEEDaPvRmT3_T4_T5_mT6_P12ihipStream_tbENKUlT_T0_E_clISt17integral_constantIbLb0EESV_IbLb1EEEEDaSR_SS_EUlSR_E_NS1_11comp_targetILNS1_3genE0ELNS1_11target_archE4294967295ELNS1_3gpuE0ELNS1_3repE0EEENS1_30default_config_static_selectorELNS0_4arch9wavefront6targetE1EEEvT1_
                                        ; -- End function
	.section	.AMDGPU.csdata,"",@progbits
; Kernel info:
; codeLenInByte = 0
; NumSgprs: 4
; NumVgprs: 0
; NumAgprs: 0
; TotalNumVgprs: 0
; ScratchSize: 0
; MemoryBound: 0
; FloatMode: 240
; IeeeMode: 1
; LDSByteSize: 0 bytes/workgroup (compile time only)
; SGPRBlocks: 0
; VGPRBlocks: 0
; NumSGPRsForWavesPerEU: 4
; NumVGPRsForWavesPerEU: 1
; AccumOffset: 4
; Occupancy: 8
; WaveLimiterHint : 0
; COMPUTE_PGM_RSRC2:SCRATCH_EN: 0
; COMPUTE_PGM_RSRC2:USER_SGPR: 6
; COMPUTE_PGM_RSRC2:TRAP_HANDLER: 0
; COMPUTE_PGM_RSRC2:TGID_X_EN: 1
; COMPUTE_PGM_RSRC2:TGID_Y_EN: 0
; COMPUTE_PGM_RSRC2:TGID_Z_EN: 0
; COMPUTE_PGM_RSRC2:TIDIG_COMP_CNT: 0
; COMPUTE_PGM_RSRC3_GFX90A:ACCUM_OFFSET: 0
; COMPUTE_PGM_RSRC3_GFX90A:TG_SPLIT: 0
	.section	.text._ZN7rocprim17ROCPRIM_400000_NS6detail17trampoline_kernelINS0_14default_configENS1_20scan_config_selectorIfEEZZNS1_9scan_implILNS1_25lookback_scan_determinismE0ELb1ELb1ES3_N6thrust23THRUST_200600_302600_NS6detail15normal_iteratorINS9_10device_ptrIfEEEENSB_INSC_IiEEEEfNS9_4plusIvEEfEEDaPvRmT3_T4_T5_mT6_P12ihipStream_tbENKUlT_T0_E_clISt17integral_constantIbLb0EESV_IbLb1EEEEDaSR_SS_EUlSR_E_NS1_11comp_targetILNS1_3genE5ELNS1_11target_archE942ELNS1_3gpuE9ELNS1_3repE0EEENS1_30default_config_static_selectorELNS0_4arch9wavefront6targetE1EEEvT1_,"axG",@progbits,_ZN7rocprim17ROCPRIM_400000_NS6detail17trampoline_kernelINS0_14default_configENS1_20scan_config_selectorIfEEZZNS1_9scan_implILNS1_25lookback_scan_determinismE0ELb1ELb1ES3_N6thrust23THRUST_200600_302600_NS6detail15normal_iteratorINS9_10device_ptrIfEEEENSB_INSC_IiEEEEfNS9_4plusIvEEfEEDaPvRmT3_T4_T5_mT6_P12ihipStream_tbENKUlT_T0_E_clISt17integral_constantIbLb0EESV_IbLb1EEEEDaSR_SS_EUlSR_E_NS1_11comp_targetILNS1_3genE5ELNS1_11target_archE942ELNS1_3gpuE9ELNS1_3repE0EEENS1_30default_config_static_selectorELNS0_4arch9wavefront6targetE1EEEvT1_,comdat
	.protected	_ZN7rocprim17ROCPRIM_400000_NS6detail17trampoline_kernelINS0_14default_configENS1_20scan_config_selectorIfEEZZNS1_9scan_implILNS1_25lookback_scan_determinismE0ELb1ELb1ES3_N6thrust23THRUST_200600_302600_NS6detail15normal_iteratorINS9_10device_ptrIfEEEENSB_INSC_IiEEEEfNS9_4plusIvEEfEEDaPvRmT3_T4_T5_mT6_P12ihipStream_tbENKUlT_T0_E_clISt17integral_constantIbLb0EESV_IbLb1EEEEDaSR_SS_EUlSR_E_NS1_11comp_targetILNS1_3genE5ELNS1_11target_archE942ELNS1_3gpuE9ELNS1_3repE0EEENS1_30default_config_static_selectorELNS0_4arch9wavefront6targetE1EEEvT1_ ; -- Begin function _ZN7rocprim17ROCPRIM_400000_NS6detail17trampoline_kernelINS0_14default_configENS1_20scan_config_selectorIfEEZZNS1_9scan_implILNS1_25lookback_scan_determinismE0ELb1ELb1ES3_N6thrust23THRUST_200600_302600_NS6detail15normal_iteratorINS9_10device_ptrIfEEEENSB_INSC_IiEEEEfNS9_4plusIvEEfEEDaPvRmT3_T4_T5_mT6_P12ihipStream_tbENKUlT_T0_E_clISt17integral_constantIbLb0EESV_IbLb1EEEEDaSR_SS_EUlSR_E_NS1_11comp_targetILNS1_3genE5ELNS1_11target_archE942ELNS1_3gpuE9ELNS1_3repE0EEENS1_30default_config_static_selectorELNS0_4arch9wavefront6targetE1EEEvT1_
	.globl	_ZN7rocprim17ROCPRIM_400000_NS6detail17trampoline_kernelINS0_14default_configENS1_20scan_config_selectorIfEEZZNS1_9scan_implILNS1_25lookback_scan_determinismE0ELb1ELb1ES3_N6thrust23THRUST_200600_302600_NS6detail15normal_iteratorINS9_10device_ptrIfEEEENSB_INSC_IiEEEEfNS9_4plusIvEEfEEDaPvRmT3_T4_T5_mT6_P12ihipStream_tbENKUlT_T0_E_clISt17integral_constantIbLb0EESV_IbLb1EEEEDaSR_SS_EUlSR_E_NS1_11comp_targetILNS1_3genE5ELNS1_11target_archE942ELNS1_3gpuE9ELNS1_3repE0EEENS1_30default_config_static_selectorELNS0_4arch9wavefront6targetE1EEEvT1_
	.p2align	8
	.type	_ZN7rocprim17ROCPRIM_400000_NS6detail17trampoline_kernelINS0_14default_configENS1_20scan_config_selectorIfEEZZNS1_9scan_implILNS1_25lookback_scan_determinismE0ELb1ELb1ES3_N6thrust23THRUST_200600_302600_NS6detail15normal_iteratorINS9_10device_ptrIfEEEENSB_INSC_IiEEEEfNS9_4plusIvEEfEEDaPvRmT3_T4_T5_mT6_P12ihipStream_tbENKUlT_T0_E_clISt17integral_constantIbLb0EESV_IbLb1EEEEDaSR_SS_EUlSR_E_NS1_11comp_targetILNS1_3genE5ELNS1_11target_archE942ELNS1_3gpuE9ELNS1_3repE0EEENS1_30default_config_static_selectorELNS0_4arch9wavefront6targetE1EEEvT1_,@function
_ZN7rocprim17ROCPRIM_400000_NS6detail17trampoline_kernelINS0_14default_configENS1_20scan_config_selectorIfEEZZNS1_9scan_implILNS1_25lookback_scan_determinismE0ELb1ELb1ES3_N6thrust23THRUST_200600_302600_NS6detail15normal_iteratorINS9_10device_ptrIfEEEENSB_INSC_IiEEEEfNS9_4plusIvEEfEEDaPvRmT3_T4_T5_mT6_P12ihipStream_tbENKUlT_T0_E_clISt17integral_constantIbLb0EESV_IbLb1EEEEDaSR_SS_EUlSR_E_NS1_11comp_targetILNS1_3genE5ELNS1_11target_archE942ELNS1_3gpuE9ELNS1_3repE0EEENS1_30default_config_static_selectorELNS0_4arch9wavefront6targetE1EEEvT1_: ; @_ZN7rocprim17ROCPRIM_400000_NS6detail17trampoline_kernelINS0_14default_configENS1_20scan_config_selectorIfEEZZNS1_9scan_implILNS1_25lookback_scan_determinismE0ELb1ELb1ES3_N6thrust23THRUST_200600_302600_NS6detail15normal_iteratorINS9_10device_ptrIfEEEENSB_INSC_IiEEEEfNS9_4plusIvEEfEEDaPvRmT3_T4_T5_mT6_P12ihipStream_tbENKUlT_T0_E_clISt17integral_constantIbLb0EESV_IbLb1EEEEDaSR_SS_EUlSR_E_NS1_11comp_targetILNS1_3genE5ELNS1_11target_archE942ELNS1_3gpuE9ELNS1_3repE0EEENS1_30default_config_static_selectorELNS0_4arch9wavefront6targetE1EEEvT1_
; %bb.0:
	.section	.rodata,"a",@progbits
	.p2align	6, 0x0
	.amdhsa_kernel _ZN7rocprim17ROCPRIM_400000_NS6detail17trampoline_kernelINS0_14default_configENS1_20scan_config_selectorIfEEZZNS1_9scan_implILNS1_25lookback_scan_determinismE0ELb1ELb1ES3_N6thrust23THRUST_200600_302600_NS6detail15normal_iteratorINS9_10device_ptrIfEEEENSB_INSC_IiEEEEfNS9_4plusIvEEfEEDaPvRmT3_T4_T5_mT6_P12ihipStream_tbENKUlT_T0_E_clISt17integral_constantIbLb0EESV_IbLb1EEEEDaSR_SS_EUlSR_E_NS1_11comp_targetILNS1_3genE5ELNS1_11target_archE942ELNS1_3gpuE9ELNS1_3repE0EEENS1_30default_config_static_selectorELNS0_4arch9wavefront6targetE1EEEvT1_
		.amdhsa_group_segment_fixed_size 0
		.amdhsa_private_segment_fixed_size 0
		.amdhsa_kernarg_size 96
		.amdhsa_user_sgpr_count 6
		.amdhsa_user_sgpr_private_segment_buffer 1
		.amdhsa_user_sgpr_dispatch_ptr 0
		.amdhsa_user_sgpr_queue_ptr 0
		.amdhsa_user_sgpr_kernarg_segment_ptr 1
		.amdhsa_user_sgpr_dispatch_id 0
		.amdhsa_user_sgpr_flat_scratch_init 0
		.amdhsa_user_sgpr_kernarg_preload_length 0
		.amdhsa_user_sgpr_kernarg_preload_offset 0
		.amdhsa_user_sgpr_private_segment_size 0
		.amdhsa_uses_dynamic_stack 0
		.amdhsa_system_sgpr_private_segment_wavefront_offset 0
		.amdhsa_system_sgpr_workgroup_id_x 1
		.amdhsa_system_sgpr_workgroup_id_y 0
		.amdhsa_system_sgpr_workgroup_id_z 0
		.amdhsa_system_sgpr_workgroup_info 0
		.amdhsa_system_vgpr_workitem_id 0
		.amdhsa_next_free_vgpr 1
		.amdhsa_next_free_sgpr 0
		.amdhsa_accum_offset 4
		.amdhsa_reserve_vcc 0
		.amdhsa_reserve_flat_scratch 0
		.amdhsa_float_round_mode_32 0
		.amdhsa_float_round_mode_16_64 0
		.amdhsa_float_denorm_mode_32 3
		.amdhsa_float_denorm_mode_16_64 3
		.amdhsa_dx10_clamp 1
		.amdhsa_ieee_mode 1
		.amdhsa_fp16_overflow 0
		.amdhsa_tg_split 0
		.amdhsa_exception_fp_ieee_invalid_op 0
		.amdhsa_exception_fp_denorm_src 0
		.amdhsa_exception_fp_ieee_div_zero 0
		.amdhsa_exception_fp_ieee_overflow 0
		.amdhsa_exception_fp_ieee_underflow 0
		.amdhsa_exception_fp_ieee_inexact 0
		.amdhsa_exception_int_div_zero 0
	.end_amdhsa_kernel
	.section	.text._ZN7rocprim17ROCPRIM_400000_NS6detail17trampoline_kernelINS0_14default_configENS1_20scan_config_selectorIfEEZZNS1_9scan_implILNS1_25lookback_scan_determinismE0ELb1ELb1ES3_N6thrust23THRUST_200600_302600_NS6detail15normal_iteratorINS9_10device_ptrIfEEEENSB_INSC_IiEEEEfNS9_4plusIvEEfEEDaPvRmT3_T4_T5_mT6_P12ihipStream_tbENKUlT_T0_E_clISt17integral_constantIbLb0EESV_IbLb1EEEEDaSR_SS_EUlSR_E_NS1_11comp_targetILNS1_3genE5ELNS1_11target_archE942ELNS1_3gpuE9ELNS1_3repE0EEENS1_30default_config_static_selectorELNS0_4arch9wavefront6targetE1EEEvT1_,"axG",@progbits,_ZN7rocprim17ROCPRIM_400000_NS6detail17trampoline_kernelINS0_14default_configENS1_20scan_config_selectorIfEEZZNS1_9scan_implILNS1_25lookback_scan_determinismE0ELb1ELb1ES3_N6thrust23THRUST_200600_302600_NS6detail15normal_iteratorINS9_10device_ptrIfEEEENSB_INSC_IiEEEEfNS9_4plusIvEEfEEDaPvRmT3_T4_T5_mT6_P12ihipStream_tbENKUlT_T0_E_clISt17integral_constantIbLb0EESV_IbLb1EEEEDaSR_SS_EUlSR_E_NS1_11comp_targetILNS1_3genE5ELNS1_11target_archE942ELNS1_3gpuE9ELNS1_3repE0EEENS1_30default_config_static_selectorELNS0_4arch9wavefront6targetE1EEEvT1_,comdat
.Lfunc_end1624:
	.size	_ZN7rocprim17ROCPRIM_400000_NS6detail17trampoline_kernelINS0_14default_configENS1_20scan_config_selectorIfEEZZNS1_9scan_implILNS1_25lookback_scan_determinismE0ELb1ELb1ES3_N6thrust23THRUST_200600_302600_NS6detail15normal_iteratorINS9_10device_ptrIfEEEENSB_INSC_IiEEEEfNS9_4plusIvEEfEEDaPvRmT3_T4_T5_mT6_P12ihipStream_tbENKUlT_T0_E_clISt17integral_constantIbLb0EESV_IbLb1EEEEDaSR_SS_EUlSR_E_NS1_11comp_targetILNS1_3genE5ELNS1_11target_archE942ELNS1_3gpuE9ELNS1_3repE0EEENS1_30default_config_static_selectorELNS0_4arch9wavefront6targetE1EEEvT1_, .Lfunc_end1624-_ZN7rocprim17ROCPRIM_400000_NS6detail17trampoline_kernelINS0_14default_configENS1_20scan_config_selectorIfEEZZNS1_9scan_implILNS1_25lookback_scan_determinismE0ELb1ELb1ES3_N6thrust23THRUST_200600_302600_NS6detail15normal_iteratorINS9_10device_ptrIfEEEENSB_INSC_IiEEEEfNS9_4plusIvEEfEEDaPvRmT3_T4_T5_mT6_P12ihipStream_tbENKUlT_T0_E_clISt17integral_constantIbLb0EESV_IbLb1EEEEDaSR_SS_EUlSR_E_NS1_11comp_targetILNS1_3genE5ELNS1_11target_archE942ELNS1_3gpuE9ELNS1_3repE0EEENS1_30default_config_static_selectorELNS0_4arch9wavefront6targetE1EEEvT1_
                                        ; -- End function
	.section	.AMDGPU.csdata,"",@progbits
; Kernel info:
; codeLenInByte = 0
; NumSgprs: 4
; NumVgprs: 0
; NumAgprs: 0
; TotalNumVgprs: 0
; ScratchSize: 0
; MemoryBound: 0
; FloatMode: 240
; IeeeMode: 1
; LDSByteSize: 0 bytes/workgroup (compile time only)
; SGPRBlocks: 0
; VGPRBlocks: 0
; NumSGPRsForWavesPerEU: 4
; NumVGPRsForWavesPerEU: 1
; AccumOffset: 4
; Occupancy: 8
; WaveLimiterHint : 0
; COMPUTE_PGM_RSRC2:SCRATCH_EN: 0
; COMPUTE_PGM_RSRC2:USER_SGPR: 6
; COMPUTE_PGM_RSRC2:TRAP_HANDLER: 0
; COMPUTE_PGM_RSRC2:TGID_X_EN: 1
; COMPUTE_PGM_RSRC2:TGID_Y_EN: 0
; COMPUTE_PGM_RSRC2:TGID_Z_EN: 0
; COMPUTE_PGM_RSRC2:TIDIG_COMP_CNT: 0
; COMPUTE_PGM_RSRC3_GFX90A:ACCUM_OFFSET: 0
; COMPUTE_PGM_RSRC3_GFX90A:TG_SPLIT: 0
	.section	.text._ZN7rocprim17ROCPRIM_400000_NS6detail17trampoline_kernelINS0_14default_configENS1_20scan_config_selectorIfEEZZNS1_9scan_implILNS1_25lookback_scan_determinismE0ELb1ELb1ES3_N6thrust23THRUST_200600_302600_NS6detail15normal_iteratorINS9_10device_ptrIfEEEENSB_INSC_IiEEEEfNS9_4plusIvEEfEEDaPvRmT3_T4_T5_mT6_P12ihipStream_tbENKUlT_T0_E_clISt17integral_constantIbLb0EESV_IbLb1EEEEDaSR_SS_EUlSR_E_NS1_11comp_targetILNS1_3genE4ELNS1_11target_archE910ELNS1_3gpuE8ELNS1_3repE0EEENS1_30default_config_static_selectorELNS0_4arch9wavefront6targetE1EEEvT1_,"axG",@progbits,_ZN7rocprim17ROCPRIM_400000_NS6detail17trampoline_kernelINS0_14default_configENS1_20scan_config_selectorIfEEZZNS1_9scan_implILNS1_25lookback_scan_determinismE0ELb1ELb1ES3_N6thrust23THRUST_200600_302600_NS6detail15normal_iteratorINS9_10device_ptrIfEEEENSB_INSC_IiEEEEfNS9_4plusIvEEfEEDaPvRmT3_T4_T5_mT6_P12ihipStream_tbENKUlT_T0_E_clISt17integral_constantIbLb0EESV_IbLb1EEEEDaSR_SS_EUlSR_E_NS1_11comp_targetILNS1_3genE4ELNS1_11target_archE910ELNS1_3gpuE8ELNS1_3repE0EEENS1_30default_config_static_selectorELNS0_4arch9wavefront6targetE1EEEvT1_,comdat
	.protected	_ZN7rocprim17ROCPRIM_400000_NS6detail17trampoline_kernelINS0_14default_configENS1_20scan_config_selectorIfEEZZNS1_9scan_implILNS1_25lookback_scan_determinismE0ELb1ELb1ES3_N6thrust23THRUST_200600_302600_NS6detail15normal_iteratorINS9_10device_ptrIfEEEENSB_INSC_IiEEEEfNS9_4plusIvEEfEEDaPvRmT3_T4_T5_mT6_P12ihipStream_tbENKUlT_T0_E_clISt17integral_constantIbLb0EESV_IbLb1EEEEDaSR_SS_EUlSR_E_NS1_11comp_targetILNS1_3genE4ELNS1_11target_archE910ELNS1_3gpuE8ELNS1_3repE0EEENS1_30default_config_static_selectorELNS0_4arch9wavefront6targetE1EEEvT1_ ; -- Begin function _ZN7rocprim17ROCPRIM_400000_NS6detail17trampoline_kernelINS0_14default_configENS1_20scan_config_selectorIfEEZZNS1_9scan_implILNS1_25lookback_scan_determinismE0ELb1ELb1ES3_N6thrust23THRUST_200600_302600_NS6detail15normal_iteratorINS9_10device_ptrIfEEEENSB_INSC_IiEEEEfNS9_4plusIvEEfEEDaPvRmT3_T4_T5_mT6_P12ihipStream_tbENKUlT_T0_E_clISt17integral_constantIbLb0EESV_IbLb1EEEEDaSR_SS_EUlSR_E_NS1_11comp_targetILNS1_3genE4ELNS1_11target_archE910ELNS1_3gpuE8ELNS1_3repE0EEENS1_30default_config_static_selectorELNS0_4arch9wavefront6targetE1EEEvT1_
	.globl	_ZN7rocprim17ROCPRIM_400000_NS6detail17trampoline_kernelINS0_14default_configENS1_20scan_config_selectorIfEEZZNS1_9scan_implILNS1_25lookback_scan_determinismE0ELb1ELb1ES3_N6thrust23THRUST_200600_302600_NS6detail15normal_iteratorINS9_10device_ptrIfEEEENSB_INSC_IiEEEEfNS9_4plusIvEEfEEDaPvRmT3_T4_T5_mT6_P12ihipStream_tbENKUlT_T0_E_clISt17integral_constantIbLb0EESV_IbLb1EEEEDaSR_SS_EUlSR_E_NS1_11comp_targetILNS1_3genE4ELNS1_11target_archE910ELNS1_3gpuE8ELNS1_3repE0EEENS1_30default_config_static_selectorELNS0_4arch9wavefront6targetE1EEEvT1_
	.p2align	8
	.type	_ZN7rocprim17ROCPRIM_400000_NS6detail17trampoline_kernelINS0_14default_configENS1_20scan_config_selectorIfEEZZNS1_9scan_implILNS1_25lookback_scan_determinismE0ELb1ELb1ES3_N6thrust23THRUST_200600_302600_NS6detail15normal_iteratorINS9_10device_ptrIfEEEENSB_INSC_IiEEEEfNS9_4plusIvEEfEEDaPvRmT3_T4_T5_mT6_P12ihipStream_tbENKUlT_T0_E_clISt17integral_constantIbLb0EESV_IbLb1EEEEDaSR_SS_EUlSR_E_NS1_11comp_targetILNS1_3genE4ELNS1_11target_archE910ELNS1_3gpuE8ELNS1_3repE0EEENS1_30default_config_static_selectorELNS0_4arch9wavefront6targetE1EEEvT1_,@function
_ZN7rocprim17ROCPRIM_400000_NS6detail17trampoline_kernelINS0_14default_configENS1_20scan_config_selectorIfEEZZNS1_9scan_implILNS1_25lookback_scan_determinismE0ELb1ELb1ES3_N6thrust23THRUST_200600_302600_NS6detail15normal_iteratorINS9_10device_ptrIfEEEENSB_INSC_IiEEEEfNS9_4plusIvEEfEEDaPvRmT3_T4_T5_mT6_P12ihipStream_tbENKUlT_T0_E_clISt17integral_constantIbLb0EESV_IbLb1EEEEDaSR_SS_EUlSR_E_NS1_11comp_targetILNS1_3genE4ELNS1_11target_archE910ELNS1_3gpuE8ELNS1_3repE0EEENS1_30default_config_static_selectorELNS0_4arch9wavefront6targetE1EEEvT1_: ; @_ZN7rocprim17ROCPRIM_400000_NS6detail17trampoline_kernelINS0_14default_configENS1_20scan_config_selectorIfEEZZNS1_9scan_implILNS1_25lookback_scan_determinismE0ELb1ELb1ES3_N6thrust23THRUST_200600_302600_NS6detail15normal_iteratorINS9_10device_ptrIfEEEENSB_INSC_IiEEEEfNS9_4plusIvEEfEEDaPvRmT3_T4_T5_mT6_P12ihipStream_tbENKUlT_T0_E_clISt17integral_constantIbLb0EESV_IbLb1EEEEDaSR_SS_EUlSR_E_NS1_11comp_targetILNS1_3genE4ELNS1_11target_archE910ELNS1_3gpuE8ELNS1_3repE0EEENS1_30default_config_static_selectorELNS0_4arch9wavefront6targetE1EEEvT1_
; %bb.0:
	s_load_dword s37, s[4:5], 0x20
	s_load_dwordx2 s[14:15], s[4:5], 0x28
	v_cmp_ne_u32_e64 s[2:3], 0, v0
	v_cmp_eq_u32_e64 s[0:1], 0, v0
	s_and_saveexec_b64 s[6:7], s[0:1]
	s_cbranch_execz .LBB1625_4
; %bb.1:
	s_mov_b64 s[10:11], exec
	v_mbcnt_lo_u32_b32 v1, s10, 0
	v_mbcnt_hi_u32_b32 v1, s11, v1
	v_cmp_eq_u32_e32 vcc, 0, v1
                                        ; implicit-def: $vgpr2
	s_and_saveexec_b64 s[8:9], vcc
	s_cbranch_execz .LBB1625_3
; %bb.2:
	s_load_dwordx2 s[12:13], s[4:5], 0x58
	s_bcnt1_i32_b64 s10, s[10:11]
	v_mov_b32_e32 v2, 0
	v_mov_b32_e32 v3, s10
	s_waitcnt lgkmcnt(0)
	global_atomic_add v2, v2, v3, s[12:13] glc
.LBB1625_3:
	s_or_b64 exec, exec, s[8:9]
	s_waitcnt vmcnt(0)
	v_readfirstlane_b32 s8, v2
	v_add_u32_e32 v1, s8, v1
	v_mov_b32_e32 v2, 0
	ds_write_b32 v2, v1
.LBB1625_4:
	s_or_b64 exec, exec, s[6:7]
	s_load_dwordx8 s[24:31], s[4:5], 0x0
	s_load_dword s6, s[4:5], 0x30
	s_load_dwordx8 s[16:23], s[4:5], 0x38
	v_mov_b32_e32 v1, 0
	s_waitcnt lgkmcnt(0)
	s_barrier
	ds_read_b32 v1, v1
	s_lshl_b64 s[26:27], s[26:27], 2
	s_add_u32 s38, s24, s26
	s_addc_u32 s39, s25, s27
	s_add_i32 s6, s6, -1
	s_mul_i32 s7, s6, 0x700
	s_sub_u32 s33, s30, s7
	s_waitcnt lgkmcnt(0)
	v_readfirstlane_b32 s40, v1
	s_subb_u32 s36, s31, 0
	s_mul_i32 s4, s40, 0x700
	s_mov_b32 s5, 0
	s_cmp_lg_u32 s40, s6
	s_cselect_b64 s[24:25], -1, 0
	s_lshl_b64 s[30:31], s[4:5], 2
	s_add_u32 s6, s38, s30
	s_addc_u32 s7, s39, s31
	s_mov_b64 s[4:5], -1
	s_and_b64 vcc, exec, s[24:25]
	v_lshlrev_b32_e32 v32, 2, v0
	s_barrier
	s_cbranch_vccz .LBB1625_6
; %bb.5:
	v_mov_b32_e32 v1, s7
	v_add_co_u32_e32 v2, vcc, s6, v32
	v_addc_co_u32_e32 v3, vcc, 0, v1, vcc
	flat_load_dword v1, v[2:3]
	flat_load_dword v4, v[2:3] offset:512
	flat_load_dword v5, v[2:3] offset:1024
	;; [unrolled: 1-line block ×7, first 2 shown]
	v_add_co_u32_e32 v2, vcc, 0x1000, v2
	v_addc_co_u32_e32 v3, vcc, 0, v3, vcc
	flat_load_dword v11, v[2:3]
	flat_load_dword v12, v[2:3] offset:512
	flat_load_dword v13, v[2:3] offset:1024
	;; [unrolled: 1-line block ×5, first 2 shown]
	s_mov_b64 s[4:5], 0
	s_waitcnt vmcnt(0) lgkmcnt(0)
	ds_write2st64_b32 v32, v1, v4 offset1:2
	ds_write2st64_b32 v32, v5, v6 offset0:4 offset1:6
	ds_write2st64_b32 v32, v7, v8 offset0:8 offset1:10
	;; [unrolled: 1-line block ×6, first 2 shown]
	s_waitcnt lgkmcnt(0)
	s_barrier
.LBB1625_6:
	s_andn2_b64 vcc, exec, s[4:5]
	v_cmp_gt_u32_e64 s[4:5], s33, v0
	s_cbranch_vccnz .LBB1625_36
; %bb.7:
	v_pk_mov_b32 v[2:3], s[6:7], s[6:7] op_sel:[0,1]
	flat_load_dword v1, v[2:3]
	s_waitcnt vmcnt(0) lgkmcnt(0)
	v_mov_b32_e32 v2, v1
	v_mov_b32_e32 v3, v1
	;; [unrolled: 1-line block ×12, first 2 shown]
	v_pk_mov_b32 v[16:17], v[14:15], v[14:15] op_sel:[0,1]
	v_pk_mov_b32 v[14:15], v[12:13], v[12:13] op_sel:[0,1]
	;; [unrolled: 1-line block ×8, first 2 shown]
	s_and_saveexec_b64 s[8:9], s[4:5]
	s_cbranch_execz .LBB1625_9
; %bb.8:
	v_mov_b32_e32 v3, s7
	v_add_co_u32_e32 v2, vcc, s6, v32
	v_addc_co_u32_e32 v3, vcc, 0, v3, vcc
	flat_load_dword v18, v[2:3]
	v_mov_b32_e32 v2, v1
	v_mov_b32_e32 v3, v1
	;; [unrolled: 1-line block ×12, first 2 shown]
	v_pk_mov_b32 v[16:17], v[14:15], v[14:15] op_sel:[0,1]
	v_pk_mov_b32 v[14:15], v[12:13], v[12:13] op_sel:[0,1]
	;; [unrolled: 1-line block ×8, first 2 shown]
	s_waitcnt vmcnt(0) lgkmcnt(0)
	v_mov_b32_e32 v1, v18
.LBB1625_9:
	s_or_b64 exec, exec, s[8:9]
	v_or_b32_e32 v2, 0x80, v0
	v_cmp_gt_u32_e32 vcc, s33, v2
	s_and_saveexec_b64 s[4:5], vcc
	s_cbranch_execz .LBB1625_11
; %bb.10:
	v_mov_b32_e32 v3, s7
	v_add_co_u32_e32 v2, vcc, s6, v32
	v_addc_co_u32_e32 v3, vcc, 0, v3, vcc
	flat_load_dword v3, v[2:3] offset:512
.LBB1625_11:
	s_or_b64 exec, exec, s[4:5]
	v_or_b32_e32 v2, 0x100, v0
	v_cmp_gt_u32_e32 vcc, s33, v2
	s_and_saveexec_b64 s[4:5], vcc
	s_cbranch_execz .LBB1625_13
; %bb.12:
	v_mov_b32_e32 v2, s7
	v_add_co_u32_e32 v16, vcc, s6, v32
	v_addc_co_u32_e32 v17, vcc, 0, v2, vcc
	flat_load_dword v4, v[16:17] offset:1024
.LBB1625_13:
	;; [unrolled: 11-line block ×7, first 2 shown]
	s_or_b64 exec, exec, s[4:5]
	v_or_b32_e32 v2, 0x400, v0
	v_cmp_gt_u32_e32 vcc, s33, v2
	s_and_saveexec_b64 s[4:5], vcc
	s_cbranch_execz .LBB1625_25
; %bb.24:
	v_lshlrev_b32_e32 v2, 2, v2
	v_mov_b32_e32 v10, s7
	v_add_co_u32_e32 v16, vcc, s6, v2
	v_addc_co_u32_e32 v17, vcc, 0, v10, vcc
	flat_load_dword v10, v[16:17]
.LBB1625_25:
	s_or_b64 exec, exec, s[4:5]
	v_or_b32_e32 v2, 0x480, v0
	v_cmp_gt_u32_e32 vcc, s33, v2
	s_and_saveexec_b64 s[4:5], vcc
	s_cbranch_execz .LBB1625_27
; %bb.26:
	v_lshlrev_b32_e32 v2, 2, v2
	v_mov_b32_e32 v11, s7
	v_add_co_u32_e32 v16, vcc, s6, v2
	v_addc_co_u32_e32 v17, vcc, 0, v11, vcc
	flat_load_dword v11, v[16:17]
.LBB1625_27:
	;; [unrolled: 12-line block ×6, first 2 shown]
	s_or_b64 exec, exec, s[4:5]
	s_waitcnt vmcnt(0) lgkmcnt(0)
	ds_write2st64_b32 v32, v1, v3 offset1:2
	ds_write2st64_b32 v32, v4, v5 offset0:4 offset1:6
	ds_write2st64_b32 v32, v6, v7 offset0:8 offset1:10
	;; [unrolled: 1-line block ×6, first 2 shown]
	s_waitcnt lgkmcnt(0)
	s_barrier
.LBB1625_36:
	v_mul_u32_u24_e32 v33, 14, v0
	v_lshlrev_b32_e32 v34, 2, v33
	ds_read2_b64 v[26:29], v34 offset1:1
	ds_read2_b64 v[22:25], v34 offset0:2 offset1:3
	ds_read2_b64 v[18:21], v34 offset0:4 offset1:5
	ds_read_b64 v[30:31], v34 offset:48
	s_cmp_lg_u32 s40, 0
	s_waitcnt lgkmcnt(3)
	v_add_f32_e32 v35, v26, v27
	v_lshrrev_b32_e32 v1, 5, v0
	v_cmp_gt_u32_e32 vcc, 64, v0
	s_waitcnt lgkmcnt(0)
	s_barrier
	s_cbranch_scc0 .LBB1625_61
; %bb.37:
	v_add_f32_e32 v2, v28, v35
	v_add_f32_e32 v2, v29, v2
	;; [unrolled: 1-line block ×12, first 2 shown]
	v_add_lshl_u32 v2, v1, v0, 2
	ds_write_b32 v2, v12
	s_waitcnt lgkmcnt(0)
	s_barrier
	s_and_saveexec_b64 s[10:11], vcc
	s_cbranch_execz .LBB1625_39
; %bb.38:
	v_lshlrev_b32_e32 v2, 1, v0
	v_lshrrev_b32_e32 v3, 4, v0
	v_add_lshl_u32 v4, v3, v2, 2
	ds_read2_b32 v[2:3], v4 offset1:1
	v_mbcnt_lo_u32_b32 v5, -1, 0
	v_mbcnt_hi_u32_b32 v5, -1, v5
	v_and_b32_e32 v6, 15, v5
	v_cmp_eq_u32_e64 s[4:5], 0, v6
	s_waitcnt lgkmcnt(0)
	v_add_f32_e32 v3, v2, v3
	v_cmp_lt_u32_e64 s[6:7], 3, v6
	v_cmp_lt_u32_e64 s[8:9], 31, v5
	v_mov_b32_dpp v7, v3 row_shr:1 row_mask:0xf bank_mask:0xf
	v_add_f32_e32 v7, v3, v7
	v_cndmask_b32_e64 v3, v7, v3, s[4:5]
	v_cmp_lt_u32_e64 s[4:5], 1, v6
	s_nop 0
	v_mov_b32_dpp v7, v3 row_shr:2 row_mask:0xf bank_mask:0xf
	v_add_f32_e32 v7, v3, v7
	v_cndmask_b32_e64 v7, v3, v7, s[4:5]
	; wave barrier
	s_nop 1
	v_mov_b32_dpp v8, v7 row_shr:4 row_mask:0xf bank_mask:0xf
	v_add_f32_e32 v8, v7, v8
	v_cndmask_b32_e64 v7, v7, v8, s[6:7]
	v_cmp_lt_u32_e64 s[6:7], 7, v6
	s_nop 0
	v_mov_b32_dpp v8, v7 row_shr:8 row_mask:0xf bank_mask:0xf
	v_add_f32_e32 v8, v7, v8
	v_cndmask_b32_e64 v6, v7, v8, s[6:7]
	v_and_b32_e32 v8, 16, v5
	v_cmp_eq_u32_e64 s[6:7], 0, v8
	v_mov_b32_dpp v7, v6 row_bcast:15 row_mask:0xf bank_mask:0xf
	v_add_f32_e32 v7, v6, v7
	v_cndmask_b32_e64 v6, v7, v6, s[6:7]
	v_cmp_lt_u32_e64 s[6:7], 15, v5
	s_or_b64 s[4:5], s[6:7], s[4:5]
	v_mov_b32_dpp v7, v6 row_bcast:31 row_mask:0xf bank_mask:0xf
	v_add_f32_e32 v7, v6, v7
	v_cndmask_b32_e64 v6, v6, v7, s[8:9]
	v_cndmask_b32_e64 v3, v3, v6, s[4:5]
	v_add_u32_e32 v6, -1, v5
	v_and_b32_e32 v7, 64, v5
	v_cmp_lt_i32_e64 s[4:5], v6, v7
	v_cndmask_b32_e64 v5, v6, v5, s[4:5]
	v_lshlrev_b32_e32 v5, 2, v5
	ds_bpermute_b32 v3, v5, v3
	s_waitcnt lgkmcnt(0)
	v_add_f32_e32 v2, v2, v3
	v_cndmask_b32_e64 v2, v2, v12, s[0:1]
	ds_write_b32 v4, v2
	; wave barrier
	ds_read_b32 v3, v4 offset:4
	s_waitcnt lgkmcnt(0)
	v_add_f32_e32 v2, v2, v3
	ds_write_b32 v4, v2 offset:4
.LBB1625_39:
	s_or_b64 exec, exec, s[10:11]
	s_waitcnt lgkmcnt(0)
	s_barrier
	s_and_saveexec_b64 s[4:5], s[2:3]
	s_cbranch_execz .LBB1625_41
; %bb.40:
	v_add_u32_e32 v2, -1, v0
	v_lshrrev_b32_e32 v3, 5, v2
	v_add_lshl_u32 v2, v3, v2, 2
	ds_read_b32 v12, v2
.LBB1625_41:
	s_or_b64 exec, exec, s[4:5]
	s_and_saveexec_b64 s[34:35], vcc
	s_cbranch_execz .LBB1625_60
; %bb.42:
	v_mov_b32_e32 v9, 0
	ds_read_b32 v2, v9 offset:520
	v_mbcnt_lo_u32_b32 v3, -1, 0
	v_mbcnt_hi_u32_b32 v5, -1, v3
	s_mov_b32 s9, 0
	v_cmp_eq_u32_e64 s[4:5], 0, v5
	s_and_saveexec_b64 s[6:7], s[4:5]
	s_cbranch_execz .LBB1625_44
; %bb.43:
	s_add_i32 s8, s40, 64
	s_lshl_b64 s[8:9], s[8:9], 3
	s_add_u32 s8, s14, s8
	v_mov_b32_e32 v3, 1
	s_addc_u32 s9, s15, s9
	s_waitcnt lgkmcnt(0)
	global_store_dwordx2 v9, v[2:3], s[8:9]
.LBB1625_44:
	s_or_b64 exec, exec, s[6:7]
	v_xad_u32 v4, v5, -1, s40
	v_add_u32_e32 v8, 64, v4
	v_lshlrev_b64 v[6:7], 3, v[8:9]
	v_mov_b32_e32 v3, s15
	v_add_co_u32_e32 v10, vcc, s14, v6
	v_addc_co_u32_e32 v11, vcc, v3, v7, vcc
	global_load_dwordx2 v[6:7], v[10:11], off glc
	s_waitcnt vmcnt(0)
	v_cmp_eq_u16_sdwa s[8:9], v7, v9 src0_sel:BYTE_0 src1_sel:DWORD
	s_and_saveexec_b64 s[6:7], s[8:9]
	s_cbranch_execz .LBB1625_48
; %bb.45:
	s_mov_b64 s[8:9], 0
	v_mov_b32_e32 v3, 0
.LBB1625_46:                            ; =>This Inner Loop Header: Depth=1
	global_load_dwordx2 v[6:7], v[10:11], off glc
	s_waitcnt vmcnt(0)
	v_cmp_ne_u16_sdwa s[10:11], v7, v3 src0_sel:BYTE_0 src1_sel:DWORD
	s_or_b64 s[8:9], s[10:11], s[8:9]
	s_andn2_b64 exec, exec, s[8:9]
	s_cbranch_execnz .LBB1625_46
; %bb.47:
	s_or_b64 exec, exec, s[8:9]
.LBB1625_48:
	s_or_b64 exec, exec, s[6:7]
	v_and_b32_e32 v13, 63, v5
	v_cmp_ne_u32_e32 vcc, 63, v13
	v_addc_co_u32_e32 v14, vcc, 0, v5, vcc
	v_mov_b32_e32 v3, 2
	v_lshlrev_b32_e32 v14, 2, v14
	v_cmp_eq_u16_sdwa s[6:7], v7, v3 src0_sel:BYTE_0 src1_sel:DWORD
	v_lshlrev_b64 v[8:9], v5, -1
	ds_bpermute_b32 v15, v14, v6
	v_and_b32_e32 v10, s7, v9
	v_or_b32_e32 v10, 0x80000000, v10
	v_and_b32_e32 v11, s6, v8
	v_ffbl_b32_e32 v10, v10
	v_add_u32_e32 v10, 32, v10
	v_ffbl_b32_e32 v11, v11
	v_cmp_gt_u32_e64 s[6:7], 62, v13
	v_min_u32_e32 v10, v11, v10
	s_waitcnt lgkmcnt(0)
	v_add_f32_e32 v11, v6, v15
	v_cndmask_b32_e64 v15, 0, 1, s[6:7]
	v_cmp_lt_u32_e32 vcc, v13, v10
	v_lshlrev_b32_e32 v15, 1, v15
	v_cndmask_b32_e32 v11, v6, v11, vcc
	v_add_lshl_u32 v15, v15, v5, 2
	ds_bpermute_b32 v17, v15, v11
	v_add_u32_e32 v16, 2, v13
	v_cmp_gt_u32_e64 s[6:7], v16, v10
	v_cmp_gt_u32_e64 s[8:9], 56, v13
	v_add_u32_e32 v36, 4, v13
	s_waitcnt lgkmcnt(0)
	v_add_f32_e32 v17, v11, v17
	v_cndmask_b32_e64 v11, v17, v11, s[6:7]
	v_cmp_gt_u32_e64 s[6:7], 60, v13
	v_cndmask_b32_e64 v17, 0, 1, s[6:7]
	v_lshlrev_b32_e32 v17, 2, v17
	v_add_lshl_u32 v17, v17, v5, 2
	ds_bpermute_b32 v37, v17, v11
	v_cmp_gt_u32_e64 s[6:7], v36, v10
	v_add_u32_e32 v38, 8, v13
	v_cmp_gt_u32_e64 s[10:11], 48, v13
	v_cmp_gt_u32_e64 s[12:13], 32, v13
	s_waitcnt lgkmcnt(0)
	v_add_f32_e32 v41, v11, v37
	v_cndmask_b32_e64 v37, 0, 1, s[8:9]
	v_lshlrev_b32_e32 v37, 3, v37
	v_cndmask_b32_e64 v39, v41, v11, s[6:7]
	v_add_lshl_u32 v37, v37, v5, 2
	ds_bpermute_b32 v40, v37, v39
	v_cmp_gt_u32_e64 s[8:9], v38, v10
	v_cndmask_b32_e32 v6, v6, v11, vcc
	v_cndmask_b32_e64 v6, v41, v6, s[6:7]
	s_waitcnt lgkmcnt(0)
	v_add_f32_e32 v44, v39, v40
	v_cndmask_b32_e64 v42, v44, v39, s[8:9]
	v_cndmask_b32_e64 v39, 0, 1, s[10:11]
	v_lshlrev_b32_e32 v39, 4, v39
	v_add_lshl_u32 v39, v39, v5, 2
	ds_bpermute_b32 v43, v39, v42
	v_add_u32_e32 v40, 16, v13
	v_cmp_gt_u32_e64 s[10:11], v40, v10
	v_cndmask_b32_e64 v6, v44, v6, s[8:9]
	s_waitcnt lgkmcnt(0)
	v_add_f32_e32 v45, v42, v43
	v_cndmask_b32_e64 v46, v45, v42, s[10:11]
	v_cndmask_b32_e64 v42, 0, 1, s[12:13]
	v_lshlrev_b32_e32 v42, 5, v42
	v_add_lshl_u32 v42, v42, v5, 2
	ds_bpermute_b32 v5, v42, v46
	v_add_u32_e32 v43, 32, v13
	v_cndmask_b32_e64 v6, v45, v6, s[10:11]
	v_cmp_gt_u32_e32 vcc, v43, v10
	s_waitcnt lgkmcnt(0)
	v_add_f32_e32 v5, v46, v5
	v_cndmask_b32_e32 v6, v5, v6, vcc
	v_mov_b32_e32 v5, 0
	s_branch .LBB1625_50
.LBB1625_49:                            ;   in Loop: Header=BB1625_50 Depth=1
	s_or_b64 exec, exec, s[6:7]
	v_cmp_eq_u16_sdwa s[6:7], v7, v3 src0_sel:BYTE_0 src1_sel:DWORD
	v_and_b32_e32 v10, s7, v9
	ds_bpermute_b32 v44, v14, v6
	v_or_b32_e32 v10, 0x80000000, v10
	v_and_b32_e32 v11, s6, v8
	v_ffbl_b32_e32 v10, v10
	v_add_u32_e32 v10, 32, v10
	v_ffbl_b32_e32 v11, v11
	v_min_u32_e32 v10, v11, v10
	s_waitcnt lgkmcnt(0)
	v_add_f32_e32 v11, v6, v44
	v_cmp_lt_u32_e32 vcc, v13, v10
	v_cndmask_b32_e32 v11, v6, v11, vcc
	ds_bpermute_b32 v44, v15, v11
	v_cmp_gt_u32_e64 s[6:7], v16, v10
	v_cmp_gt_u32_e64 s[8:9], v38, v10
	;; [unrolled: 1-line block ×3, first 2 shown]
	v_subrev_u32_e32 v4, 64, v4
	s_waitcnt lgkmcnt(0)
	v_add_f32_e32 v44, v11, v44
	v_cndmask_b32_e64 v11, v44, v11, s[6:7]
	ds_bpermute_b32 v44, v17, v11
	v_cmp_gt_u32_e64 s[6:7], v36, v10
	v_cndmask_b32_e32 v6, v6, v11, vcc
	v_cmp_gt_u32_e32 vcc, v43, v10
	s_waitcnt lgkmcnt(0)
	v_add_f32_e32 v44, v11, v44
	v_cndmask_b32_e64 v45, v44, v11, s[6:7]
	ds_bpermute_b32 v46, v37, v45
	v_cndmask_b32_e64 v6, v44, v6, s[6:7]
	s_waitcnt lgkmcnt(0)
	v_add_f32_e32 v46, v45, v46
	v_cndmask_b32_e64 v45, v46, v45, s[8:9]
	ds_bpermute_b32 v47, v39, v45
	v_cndmask_b32_e64 v6, v46, v6, s[8:9]
	;; [unrolled: 5-line block ×3, first 2 shown]
	s_waitcnt lgkmcnt(0)
	v_add_f32_e32 v11, v45, v48
	v_cndmask_b32_e32 v6, v11, v6, vcc
	v_add_f32_e32 v6, v41, v6
.LBB1625_50:                            ; =>This Loop Header: Depth=1
                                        ;     Child Loop BB1625_53 Depth 2
	v_cmp_ne_u16_sdwa s[6:7], v7, v3 src0_sel:BYTE_0 src1_sel:DWORD
	v_cndmask_b32_e64 v7, 0, 1, s[6:7]
	;;#ASMSTART
	;;#ASMEND
	v_cmp_ne_u32_e32 vcc, 0, v7
	s_cmp_lg_u64 vcc, exec
	v_mov_b32_e32 v41, v6
	s_cbranch_scc1 .LBB1625_55
; %bb.51:                               ;   in Loop: Header=BB1625_50 Depth=1
	v_lshlrev_b64 v[6:7], 3, v[4:5]
	v_mov_b32_e32 v11, s15
	v_add_co_u32_e32 v10, vcc, s14, v6
	v_addc_co_u32_e32 v11, vcc, v11, v7, vcc
	global_load_dwordx2 v[6:7], v[10:11], off glc
	s_waitcnt vmcnt(0)
	v_cmp_eq_u16_sdwa s[8:9], v7, v5 src0_sel:BYTE_0 src1_sel:DWORD
	s_and_saveexec_b64 s[6:7], s[8:9]
	s_cbranch_execz .LBB1625_49
; %bb.52:                               ;   in Loop: Header=BB1625_50 Depth=1
	s_mov_b64 s[8:9], 0
.LBB1625_53:                            ;   Parent Loop BB1625_50 Depth=1
                                        ; =>  This Inner Loop Header: Depth=2
	global_load_dwordx2 v[6:7], v[10:11], off glc
	s_waitcnt vmcnt(0)
	v_cmp_ne_u16_sdwa s[10:11], v7, v5 src0_sel:BYTE_0 src1_sel:DWORD
	s_or_b64 s[8:9], s[10:11], s[8:9]
	s_andn2_b64 exec, exec, s[8:9]
	s_cbranch_execnz .LBB1625_53
; %bb.54:                               ;   in Loop: Header=BB1625_50 Depth=1
	s_or_b64 exec, exec, s[8:9]
	s_branch .LBB1625_49
.LBB1625_55:                            ;   in Loop: Header=BB1625_50 Depth=1
                                        ; implicit-def: $vgpr6
                                        ; implicit-def: $vgpr7
	s_cbranch_execz .LBB1625_50
; %bb.56:
	s_and_saveexec_b64 s[6:7], s[4:5]
	s_cbranch_execz .LBB1625_58
; %bb.57:
	s_add_i32 s4, s40, 64
	s_mov_b32 s5, 0
	s_lshl_b64 s[4:5], s[4:5], 3
	s_add_u32 s4, s14, s4
	v_add_f32_e32 v2, v2, v41
	v_mov_b32_e32 v3, 2
	s_addc_u32 s5, s15, s5
	v_mov_b32_e32 v4, 0
	global_store_dwordx2 v4, v[2:3], s[4:5]
.LBB1625_58:
	s_or_b64 exec, exec, s[6:7]
	s_and_b64 exec, exec, s[0:1]
	s_cbranch_execz .LBB1625_60
; %bb.59:
	v_mov_b32_e32 v2, 0
	ds_write_b32 v2, v41
.LBB1625_60:
	s_or_b64 exec, exec, s[34:35]
	v_mov_b32_e32 v2, 0
	s_waitcnt lgkmcnt(0)
	s_barrier
	ds_read_b32 v2, v2
	s_waitcnt lgkmcnt(0)
	v_add_f32_e32 v3, v12, v2
	v_cndmask_b32_e64 v2, v3, v2, s[0:1]
	v_add_f32_e32 v3, v26, v2
	v_add_f32_e32 v4, v27, v3
	;; [unrolled: 1-line block ×13, first 2 shown]
	s_branch .LBB1625_71
.LBB1625_61:
                                        ; implicit-def: $vgpr2_vgpr3_vgpr4_vgpr5_vgpr6_vgpr7_vgpr8_vgpr9_vgpr10_vgpr11_vgpr12_vgpr13_vgpr14_vgpr15_vgpr16_vgpr17
	s_cbranch_execz .LBB1625_71
; %bb.62:
	s_cmp_eq_u64 s[20:21], 0
	v_mov_b32_e32 v16, s37
	s_cbranch_scc1 .LBB1625_64
; %bb.63:
	v_mov_b32_e32 v3, s39
	v_add_co_u32_e64 v2, vcc, -4, s38
	v_addc_co_u32_e32 v3, vcc, -1, v3, vcc
	v_mov_b32_e32 v4, 0
	flat_load_dword v5, v[2:3]
	global_load_dword v6, v4, s[16:17]
	s_waitcnt vmcnt(0) lgkmcnt(0)
	v_add_f32_e32 v16, v5, v6
.LBB1625_64:
	v_add_f32_e32 v2, v28, v35
	v_add_f32_e32 v2, v29, v2
	;; [unrolled: 1-line block ×12, first 2 shown]
	v_add_lshl_u32 v1, v1, v0, 2
	v_cmp_gt_u32_e32 vcc, 64, v0
	ds_write_b32 v1, v2
	s_waitcnt lgkmcnt(0)
	s_barrier
	s_and_saveexec_b64 s[8:9], vcc
	s_cbranch_execz .LBB1625_66
; %bb.65:
	v_lshlrev_b32_e32 v1, 1, v0
	v_lshrrev_b32_e32 v3, 4, v0
	v_add_lshl_u32 v1, v3, v1, 2
	ds_read2_b32 v[4:5], v1 offset1:1
	v_mbcnt_lo_u32_b32 v3, -1, 0
	v_mbcnt_hi_u32_b32 v3, -1, v3
	v_and_b32_e32 v6, 15, v3
	v_cmp_eq_u32_e32 vcc, 0, v6
	s_waitcnt lgkmcnt(0)
	v_add_f32_e32 v5, v4, v5
	v_cmp_lt_u32_e64 s[4:5], 3, v6
	v_cmp_lt_u32_e64 s[6:7], 31, v3
	v_mov_b32_dpp v7, v5 row_shr:1 row_mask:0xf bank_mask:0xf
	v_add_f32_e32 v7, v5, v7
	v_cndmask_b32_e32 v5, v7, v5, vcc
	v_cmp_lt_u32_e32 vcc, 1, v6
	s_nop 0
	v_mov_b32_dpp v7, v5 row_shr:2 row_mask:0xf bank_mask:0xf
	v_add_f32_e32 v7, v5, v7
	v_cndmask_b32_e32 v7, v5, v7, vcc
	; wave barrier
	s_nop 1
	v_mov_b32_dpp v8, v7 row_shr:4 row_mask:0xf bank_mask:0xf
	v_add_f32_e32 v8, v7, v8
	v_cndmask_b32_e64 v7, v7, v8, s[4:5]
	v_cmp_lt_u32_e64 s[4:5], 7, v6
	s_nop 0
	v_mov_b32_dpp v8, v7 row_shr:8 row_mask:0xf bank_mask:0xf
	v_add_f32_e32 v8, v7, v8
	v_cndmask_b32_e64 v6, v7, v8, s[4:5]
	v_and_b32_e32 v8, 16, v3
	v_cmp_eq_u32_e64 s[4:5], 0, v8
	v_mov_b32_dpp v7, v6 row_bcast:15 row_mask:0xf bank_mask:0xf
	v_add_f32_e32 v7, v6, v7
	v_cndmask_b32_e64 v6, v7, v6, s[4:5]
	v_cmp_lt_u32_e64 s[4:5], 15, v3
	s_or_b64 vcc, s[4:5], vcc
	v_mov_b32_dpp v7, v6 row_bcast:31 row_mask:0xf bank_mask:0xf
	v_add_f32_e32 v7, v6, v7
	v_cndmask_b32_e64 v6, v6, v7, s[6:7]
	v_cndmask_b32_e32 v5, v5, v6, vcc
	v_add_u32_e32 v6, -1, v3
	v_and_b32_e32 v7, 64, v3
	v_cmp_lt_i32_e32 vcc, v6, v7
	v_cndmask_b32_e32 v3, v6, v3, vcc
	v_lshlrev_b32_e32 v3, 2, v3
	ds_bpermute_b32 v3, v3, v5
	s_waitcnt lgkmcnt(0)
	v_add_f32_e32 v3, v4, v3
	v_cndmask_b32_e64 v2, v3, v2, s[0:1]
	ds_write_b32 v1, v2
	; wave barrier
	ds_read_b32 v3, v1 offset:4
	s_waitcnt lgkmcnt(0)
	v_add_f32_e32 v2, v2, v3
	ds_write_b32 v1, v2 offset:4
.LBB1625_66:
	s_or_b64 exec, exec, s[8:9]
	v_mov_b32_e32 v2, v16
	s_waitcnt lgkmcnt(0)
	s_barrier
	s_and_saveexec_b64 s[4:5], s[2:3]
	s_cbranch_execz .LBB1625_68
; %bb.67:
	v_add_u32_e32 v1, -1, v0
	v_lshrrev_b32_e32 v2, 5, v1
	v_add_lshl_u32 v1, v2, v1, 2
	ds_read_b32 v1, v1
	s_waitcnt lgkmcnt(0)
	v_add_f32_e32 v2, v16, v1
.LBB1625_68:
	s_or_b64 exec, exec, s[4:5]
	v_add_f32_e32 v3, v26, v2
	v_add_f32_e32 v4, v27, v3
	;; [unrolled: 1-line block ×13, first 2 shown]
	s_and_saveexec_b64 s[2:3], s[0:1]
	s_cbranch_execz .LBB1625_70
; %bb.69:
	v_mov_b32_e32 v1, 0
	ds_read_b32 v17, v1 offset:520
	s_waitcnt lgkmcnt(0)
	v_add_f32_e32 v16, v16, v17
	v_mov_b32_e32 v17, 2
	global_store_dwordx2 v1, v[16:17], s[14:15] offset:512
.LBB1625_70:
	s_or_b64 exec, exec, s[2:3]
.LBB1625_71:
	s_add_u32 s0, s28, s26
	s_addc_u32 s1, s29, s27
	s_add_u32 s2, s0, s30
	s_addc_u32 s3, s1, s31
	s_mov_b64 s[0:1], -1
	s_and_b64 vcc, exec, s[24:25]
	s_barrier
	s_cbranch_vccz .LBB1625_73
; %bb.72:
	v_mov_b32_e32 v1, s3
	v_add_co_u32_e32 v30, vcc, s2, v32
	ds_write2_b64 v34, v[2:3], v[4:5] offset1:1
	ds_write2_b64 v34, v[6:7], v[8:9] offset0:2 offset1:3
	ds_write2_b64 v34, v[10:11], v[12:13] offset0:4 offset1:5
	ds_write_b64 v34, v[14:15] offset:48
	s_waitcnt lgkmcnt(0)
	s_barrier
	ds_read2st64_b32 v[16:17], v32 offset1:2
	ds_read2st64_b32 v[18:19], v32 offset0:4 offset1:6
	ds_read2st64_b32 v[20:21], v32 offset0:8 offset1:10
	;; [unrolled: 1-line block ×6, first 2 shown]
	v_addc_co_u32_e32 v31, vcc, 0, v1, vcc
	s_waitcnt lgkmcnt(6)
	v_cvt_i32_f32_e32 v1, v16
	v_cvt_i32_f32_e32 v16, v17
	s_waitcnt lgkmcnt(5)
	v_cvt_i32_f32_e32 v17, v18
	v_cvt_i32_f32_e32 v18, v19
	flat_store_dword v[30:31], v1
	flat_store_dword v[30:31], v16 offset:512
	flat_store_dword v[30:31], v17 offset:1024
	;; [unrolled: 1-line block ×3, first 2 shown]
	s_waitcnt lgkmcnt(0)
	v_cvt_i32_f32_e32 v1, v20
	v_cvt_i32_f32_e32 v16, v21
	;; [unrolled: 1-line block ×4, first 2 shown]
	flat_store_dword v[30:31], v1 offset:2048
	flat_store_dword v[30:31], v16 offset:2560
	;; [unrolled: 1-line block ×4, first 2 shown]
	v_cvt_i32_f32_e32 v1, v24
	s_movk_i32 s0, 0x1000
	v_cvt_i32_f32_e32 v18, v25
	v_add_co_u32_e32 v16, vcc, s0, v30
	v_addc_co_u32_e32 v17, vcc, 0, v31, vcc
	flat_store_dword v[16:17], v1
	flat_store_dword v[16:17], v18 offset:512
	v_cvt_i32_f32_e32 v1, v26
	v_cvt_i32_f32_e32 v18, v27
	;; [unrolled: 1-line block ×4, first 2 shown]
	flat_store_dword v[16:17], v1 offset:1024
	flat_store_dword v[16:17], v18 offset:1536
	;; [unrolled: 1-line block ×4, first 2 shown]
	s_mov_b64 s[0:1], 0
.LBB1625_73:
	s_andn2_b64 vcc, exec, s[0:1]
	s_cbranch_vccnz .LBB1625_153
; %bb.74:
	s_movk_i32 s0, 0xffcc
	ds_write2_b64 v34, v[2:3], v[4:5] offset1:1
	ds_write2_b64 v34, v[6:7], v[8:9] offset0:2 offset1:3
	ds_write2_b64 v34, v[10:11], v[12:13] offset0:4 offset1:5
	ds_write_b64 v34, v[14:15] offset:48
	v_mad_i32_i24 v14, v0, s0, v34
	s_waitcnt lgkmcnt(0)
	s_barrier
	ds_read2st64_b32 v[4:5], v14 offset1:2
	ds_read2st64_b32 v[6:7], v14 offset0:4 offset1:6
	ds_read2st64_b32 v[8:9], v14 offset0:8 offset1:10
	;; [unrolled: 1-line block ×6, first 2 shown]
	v_mov_b32_e32 v17, s3
	v_add_co_u32_e32 v16, vcc, s2, v32
	v_addc_co_u32_e32 v17, vcc, 0, v17, vcc
	v_mov_b32_e32 v1, 0
	v_cmp_gt_u32_e32 vcc, s33, v0
	s_and_saveexec_b64 s[0:1], vcc
	s_cbranch_execz .LBB1625_76
; %bb.75:
	s_waitcnt lgkmcnt(0)
	v_cvt_i32_f32_e32 v18, v4
	flat_store_dword v[16:17], v18
.LBB1625_76:
	s_or_b64 exec, exec, s[0:1]
	v_or_b32_e32 v18, 0x80, v0
	v_cmp_gt_u32_e32 vcc, s33, v18
	s_and_saveexec_b64 s[0:1], vcc
	s_cbranch_execz .LBB1625_78
; %bb.77:
	s_waitcnt lgkmcnt(0)
	v_cvt_i32_f32_e32 v18, v5
	flat_store_dword v[16:17], v18 offset:512
.LBB1625_78:
	s_or_b64 exec, exec, s[0:1]
	v_or_b32_e32 v18, 0x100, v0
	v_cmp_gt_u32_e32 vcc, s33, v18
	s_and_saveexec_b64 s[0:1], vcc
	s_cbranch_execz .LBB1625_80
; %bb.79:
	s_waitcnt lgkmcnt(0)
	v_cvt_i32_f32_e32 v18, v6
	flat_store_dword v[16:17], v18 offset:1024
.LBB1625_80:
	;; [unrolled: 10-line block ×7, first 2 shown]
	s_or_b64 exec, exec, s[0:1]
	v_or_b32_e32 v18, 0x400, v0
	v_cmp_gt_u32_e32 vcc, s33, v18
	s_and_saveexec_b64 s[0:1], vcc
	s_cbranch_execz .LBB1625_92
; %bb.91:
	s_waitcnt lgkmcnt(0)
	v_cvt_i32_f32_e32 v20, v12
	v_add_co_u32_e32 v18, vcc, 0x1000, v16
	v_addc_co_u32_e32 v19, vcc, 0, v17, vcc
	flat_store_dword v[18:19], v20
.LBB1625_92:
	s_or_b64 exec, exec, s[0:1]
	v_or_b32_e32 v18, 0x480, v0
	v_cmp_gt_u32_e32 vcc, s33, v18
	s_and_saveexec_b64 s[0:1], vcc
	s_cbranch_execz .LBB1625_94
; %bb.93:
	s_waitcnt lgkmcnt(0)
	v_cvt_i32_f32_e32 v20, v13
	v_add_co_u32_e32 v18, vcc, 0x1000, v16
	v_addc_co_u32_e32 v19, vcc, 0, v17, vcc
	flat_store_dword v[18:19], v20 offset:512
.LBB1625_94:
	s_or_b64 exec, exec, s[0:1]
	v_or_b32_e32 v18, 0x500, v0
	v_cmp_gt_u32_e32 vcc, s33, v18
	s_and_saveexec_b64 s[0:1], vcc
	s_cbranch_execz .LBB1625_96
; %bb.95:
	s_waitcnt lgkmcnt(0)
	v_cvt_i32_f32_e32 v20, v10
	v_add_co_u32_e32 v18, vcc, 0x1000, v16
	v_addc_co_u32_e32 v19, vcc, 0, v17, vcc
	flat_store_dword v[18:19], v20 offset:1024
.LBB1625_96:
	;; [unrolled: 12-line block ×5, first 2 shown]
	s_or_b64 exec, exec, s[0:1]
	v_cmp_lt_u64_e64 s[0:1], s[22:23], 2
	s_and_b64 vcc, exec, s[0:1]
	s_cbranch_vccnz .LBB1625_153
; %bb.103:
	s_add_u32 s0, s33, -1
	s_addc_u32 s1, s36, -1
	s_add_u32 s2, 0, 0x49240800
	s_addc_u32 s3, 0, 50
	s_add_i32 s3, s3, 0x12492460
	s_mul_hi_u32 s7, s2, -14
	s_sub_i32 s7, s7, s2
	s_mul_i32 s8, s3, -14
	s_mul_i32 s4, s2, -14
	s_add_i32 s7, s7, s8
	s_mul_hi_u32 s5, s3, s4
	s_mul_i32 s6, s3, s4
	s_mul_i32 s9, s2, s7
	s_mul_hi_u32 s4, s2, s4
	s_mul_hi_u32 s8, s2, s7
	s_add_u32 s4, s4, s9
	s_addc_u32 s8, 0, s8
	s_add_u32 s4, s4, s6
	s_mul_hi_u32 s9, s3, s7
	s_addc_u32 s4, s8, s5
	s_addc_u32 s5, s9, 0
	s_mul_i32 s6, s3, s7
	s_add_u32 s4, s4, s6
	v_mov_b32_e32 v16, s4
	s_addc_u32 s5, 0, s5
	v_add_co_u32_e32 v16, vcc, s2, v16
	s_cmp_lg_u64 vcc, 0
	s_addc_u32 s2, s3, s5
	v_readfirstlane_b32 s5, v16
	s_mul_i32 s4, s0, s2
	s_mul_hi_u32 s6, s0, s5
	s_mul_hi_u32 s3, s0, s2
	s_add_u32 s4, s6, s4
	s_addc_u32 s3, 0, s3
	s_mul_hi_u32 s7, s1, s5
	s_mul_i32 s5, s1, s5
	s_add_u32 s4, s4, s5
	s_mul_hi_u32 s6, s1, s2
	s_addc_u32 s3, s3, s7
	s_addc_u32 s4, s6, 0
	s_mul_i32 s2, s1, s2
	s_add_u32 s2, s3, s2
	s_addc_u32 s3, 0, s4
	s_add_u32 s4, s2, 1
	s_addc_u32 s5, s3, 0
	s_add_u32 s6, s2, 2
	s_mul_i32 s8, s3, 14
	s_mul_hi_u32 s9, s2, 14
	s_addc_u32 s7, s3, 0
	s_add_i32 s9, s9, s8
	s_mul_i32 s8, s2, 14
	v_mov_b32_e32 v16, s8
	v_sub_co_u32_e32 v16, vcc, s0, v16
	s_cmp_lg_u64 vcc, 0
	s_subb_u32 s8, s1, s9
	v_subrev_co_u32_e32 v17, vcc, 14, v16
	s_cmp_lg_u64 vcc, 0
	s_subb_u32 s9, s8, 0
	v_readfirstlane_b32 s10, v17
	s_cmp_gt_u32 s10, 13
	s_cselect_b32 s10, -1, 0
	s_cmp_eq_u32 s9, 0
	s_cselect_b32 s9, s10, -1
	s_cmp_lg_u32 s9, 0
	s_cselect_b32 s4, s6, s4
	v_readfirstlane_b32 s6, v16
	s_cselect_b32 s5, s7, s5
	s_cmp_gt_u32 s6, 13
	s_cselect_b32 s6, -1, 0
	s_cmp_eq_u32 s8, 0
	s_cselect_b32 s6, s6, -1
	s_cmp_lg_u32 s6, 0
	s_cselect_b32 s3, s5, s3
	s_cselect_b32 s2, s4, s2
	v_cmp_eq_u64_e32 vcc, s[2:3], v[0:1]
	s_and_saveexec_b64 s[2:3], vcc
	s_cbranch_execz .LBB1625_153
; %bb.104:
	v_mul_hi_u32_u24_e32 v1, 14, v0
	v_mov_b32_e32 v16, s1
	v_sub_co_u32_e32 v0, vcc, s0, v33
	v_subb_co_u32_e32 v1, vcc, v16, v1, vcc
	v_cmp_lt_i64_e32 vcc, 6, v[0:1]
	s_and_saveexec_b64 s[0:1], vcc
	s_xor_b64 s[0:1], exec, s[0:1]
	s_cbranch_execz .LBB1625_130
; %bb.105:
	v_cmp_lt_i64_e32 vcc, 9, v[0:1]
	s_and_saveexec_b64 s[2:3], vcc
	s_xor_b64 s[2:3], exec, s[2:3]
	s_cbranch_execz .LBB1625_119
; %bb.106:
	;; [unrolled: 5-line block ×4, first 2 shown]
	v_mov_b32_e32 v0, 0
	s_waitcnt lgkmcnt(0)
	global_store_dword v0, v15, s[18:19]
                                        ; implicit-def: $vgpr14_vgpr15
.LBB1625_109:
	s_andn2_saveexec_b64 s[6:7], s[6:7]
	s_cbranch_execz .LBB1625_111
; %bb.110:
	v_mov_b32_e32 v0, 0
	s_waitcnt lgkmcnt(0)
	global_store_dword v0, v14, s[18:19]
.LBB1625_111:
	s_or_b64 exec, exec, s[6:7]
                                        ; implicit-def: $vgpr10_vgpr11
                                        ; implicit-def: $vgpr0_vgpr1
.LBB1625_112:
	s_andn2_saveexec_b64 s[4:5], s[4:5]
	s_cbranch_execz .LBB1625_118
; %bb.113:
	v_cmp_lt_i64_e32 vcc, 10, v[0:1]
	s_and_saveexec_b64 s[6:7], vcc
	s_xor_b64 s[6:7], exec, s[6:7]
	s_cbranch_execz .LBB1625_115
; %bb.114:
	v_mov_b32_e32 v0, 0
	s_waitcnt lgkmcnt(0)
	global_store_dword v0, v11, s[18:19]
                                        ; implicit-def: $vgpr10_vgpr11
.LBB1625_115:
	s_andn2_saveexec_b64 s[6:7], s[6:7]
	s_cbranch_execz .LBB1625_117
; %bb.116:
	v_mov_b32_e32 v0, 0
	s_waitcnt lgkmcnt(0)
	global_store_dword v0, v10, s[18:19]
.LBB1625_117:
	s_or_b64 exec, exec, s[6:7]
.LBB1625_118:
	s_or_b64 exec, exec, s[4:5]
                                        ; implicit-def: $vgpr2_vgpr3
                                        ; implicit-def: $vgpr0_vgpr1
                                        ; implicit-def: $vgpr12_vgpr13
.LBB1625_119:
	s_andn2_saveexec_b64 s[2:3], s[2:3]
	s_cbranch_execz .LBB1625_129
; %bb.120:
	v_cmp_lt_i64_e32 vcc, 7, v[0:1]
	s_and_saveexec_b64 s[4:5], vcc
	s_xor_b64 s[4:5], exec, s[4:5]
	s_cbranch_execz .LBB1625_126
; %bb.121:
	v_cmp_lt_i64_e32 vcc, 8, v[0:1]
	s_and_saveexec_b64 s[6:7], vcc
	s_xor_b64 s[6:7], exec, s[6:7]
	s_cbranch_execz .LBB1625_123
; %bb.122:
	v_mov_b32_e32 v0, 0
	s_waitcnt lgkmcnt(0)
	global_store_dword v0, v13, s[18:19]
                                        ; implicit-def: $vgpr12_vgpr13
.LBB1625_123:
	s_andn2_saveexec_b64 s[6:7], s[6:7]
	s_cbranch_execz .LBB1625_125
; %bb.124:
	v_mov_b32_e32 v0, 0
	s_waitcnt lgkmcnt(0)
	global_store_dword v0, v12, s[18:19]
.LBB1625_125:
	s_or_b64 exec, exec, s[6:7]
                                        ; implicit-def: $vgpr2_vgpr3
.LBB1625_126:
	s_andn2_saveexec_b64 s[4:5], s[4:5]
	s_cbranch_execz .LBB1625_128
; %bb.127:
	v_mov_b32_e32 v0, 0
	s_waitcnt lgkmcnt(0)
	global_store_dword v0, v3, s[18:19]
.LBB1625_128:
	s_or_b64 exec, exec, s[4:5]
.LBB1625_129:
	s_or_b64 exec, exec, s[2:3]
                                        ; implicit-def: $vgpr0_vgpr1
                                        ; implicit-def: $vgpr8_vgpr9
                                        ; implicit-def: $vgpr4_vgpr5
                                        ; implicit-def: $vgpr6_vgpr7
                                        ; implicit-def: $vgpr2_vgpr3
.LBB1625_130:
	s_andn2_saveexec_b64 s[0:1], s[0:1]
	s_cbranch_execz .LBB1625_153
; %bb.131:
	v_cmp_lt_i64_e32 vcc, 3, v[0:1]
	s_and_saveexec_b64 s[0:1], vcc
	s_xor_b64 s[0:1], exec, s[0:1]
	s_cbranch_execz .LBB1625_141
; %bb.132:
	v_cmp_lt_i64_e32 vcc, 4, v[0:1]
	s_and_saveexec_b64 s[2:3], vcc
	s_xor_b64 s[2:3], exec, s[2:3]
	;; [unrolled: 5-line block ×3, first 2 shown]
	s_cbranch_execz .LBB1625_135
; %bb.134:
	v_mov_b32_e32 v0, 0
	s_waitcnt lgkmcnt(0)
	global_store_dword v0, v2, s[18:19]
                                        ; implicit-def: $vgpr8_vgpr9
.LBB1625_135:
	s_andn2_saveexec_b64 s[4:5], s[4:5]
	s_cbranch_execz .LBB1625_137
; %bb.136:
	v_mov_b32_e32 v0, 0
	s_waitcnt lgkmcnt(0)
	global_store_dword v0, v9, s[18:19]
.LBB1625_137:
	s_or_b64 exec, exec, s[4:5]
                                        ; implicit-def: $vgpr8_vgpr9
.LBB1625_138:
	s_andn2_saveexec_b64 s[2:3], s[2:3]
	s_cbranch_execz .LBB1625_140
; %bb.139:
	v_mov_b32_e32 v0, 0
	s_waitcnt lgkmcnt(0)
	global_store_dword v0, v8, s[18:19]
.LBB1625_140:
	s_or_b64 exec, exec, s[2:3]
                                        ; implicit-def: $vgpr0_vgpr1
                                        ; implicit-def: $vgpr4_vgpr5
                                        ; implicit-def: $vgpr6_vgpr7
.LBB1625_141:
	s_andn2_saveexec_b64 s[0:1], s[0:1]
	s_cbranch_execz .LBB1625_153
; %bb.142:
	v_cmp_lt_i64_e32 vcc, 1, v[0:1]
	s_and_saveexec_b64 s[0:1], vcc
	s_xor_b64 s[0:1], exec, s[0:1]
	s_cbranch_execz .LBB1625_148
; %bb.143:
	v_cmp_lt_i64_e32 vcc, 2, v[0:1]
	s_and_saveexec_b64 s[2:3], vcc
	s_xor_b64 s[2:3], exec, s[2:3]
	s_cbranch_execz .LBB1625_145
; %bb.144:
	v_mov_b32_e32 v0, 0
	s_waitcnt lgkmcnt(0)
	global_store_dword v0, v7, s[18:19]
                                        ; implicit-def: $vgpr6_vgpr7
.LBB1625_145:
	s_andn2_saveexec_b64 s[2:3], s[2:3]
	s_cbranch_execz .LBB1625_147
; %bb.146:
	v_mov_b32_e32 v0, 0
	s_waitcnt lgkmcnt(0)
	global_store_dword v0, v6, s[18:19]
.LBB1625_147:
	s_or_b64 exec, exec, s[2:3]
                                        ; implicit-def: $vgpr4_vgpr5
                                        ; implicit-def: $vgpr0_vgpr1
.LBB1625_148:
	s_andn2_saveexec_b64 s[0:1], s[0:1]
	s_cbranch_execz .LBB1625_153
; %bb.149:
	v_cmp_ne_u64_e32 vcc, 1, v[0:1]
	s_and_saveexec_b64 s[0:1], vcc
	s_xor_b64 s[0:1], exec, s[0:1]
	s_cbranch_execz .LBB1625_151
; %bb.150:
	v_mov_b32_e32 v0, 0
	s_waitcnt lgkmcnt(0)
	global_store_dword v0, v4, s[18:19]
                                        ; implicit-def: $vgpr4_vgpr5
.LBB1625_151:
	s_andn2_saveexec_b64 s[0:1], s[0:1]
	s_cbranch_execz .LBB1625_153
; %bb.152:
	v_mov_b32_e32 v0, 0
	s_waitcnt lgkmcnt(0)
	global_store_dword v0, v5, s[18:19]
.LBB1625_153:
	s_endpgm
	.section	.rodata,"a",@progbits
	.p2align	6, 0x0
	.amdhsa_kernel _ZN7rocprim17ROCPRIM_400000_NS6detail17trampoline_kernelINS0_14default_configENS1_20scan_config_selectorIfEEZZNS1_9scan_implILNS1_25lookback_scan_determinismE0ELb1ELb1ES3_N6thrust23THRUST_200600_302600_NS6detail15normal_iteratorINS9_10device_ptrIfEEEENSB_INSC_IiEEEEfNS9_4plusIvEEfEEDaPvRmT3_T4_T5_mT6_P12ihipStream_tbENKUlT_T0_E_clISt17integral_constantIbLb0EESV_IbLb1EEEEDaSR_SS_EUlSR_E_NS1_11comp_targetILNS1_3genE4ELNS1_11target_archE910ELNS1_3gpuE8ELNS1_3repE0EEENS1_30default_config_static_selectorELNS0_4arch9wavefront6targetE1EEEvT1_
		.amdhsa_group_segment_fixed_size 7168
		.amdhsa_private_segment_fixed_size 0
		.amdhsa_kernarg_size 96
		.amdhsa_user_sgpr_count 6
		.amdhsa_user_sgpr_private_segment_buffer 1
		.amdhsa_user_sgpr_dispatch_ptr 0
		.amdhsa_user_sgpr_queue_ptr 0
		.amdhsa_user_sgpr_kernarg_segment_ptr 1
		.amdhsa_user_sgpr_dispatch_id 0
		.amdhsa_user_sgpr_flat_scratch_init 0
		.amdhsa_user_sgpr_kernarg_preload_length 0
		.amdhsa_user_sgpr_kernarg_preload_offset 0
		.amdhsa_user_sgpr_private_segment_size 0
		.amdhsa_uses_dynamic_stack 0
		.amdhsa_system_sgpr_private_segment_wavefront_offset 0
		.amdhsa_system_sgpr_workgroup_id_x 1
		.amdhsa_system_sgpr_workgroup_id_y 0
		.amdhsa_system_sgpr_workgroup_id_z 0
		.amdhsa_system_sgpr_workgroup_info 0
		.amdhsa_system_vgpr_workitem_id 0
		.amdhsa_next_free_vgpr 49
		.amdhsa_next_free_sgpr 41
		.amdhsa_accum_offset 52
		.amdhsa_reserve_vcc 1
		.amdhsa_reserve_flat_scratch 0
		.amdhsa_float_round_mode_32 0
		.amdhsa_float_round_mode_16_64 0
		.amdhsa_float_denorm_mode_32 3
		.amdhsa_float_denorm_mode_16_64 3
		.amdhsa_dx10_clamp 1
		.amdhsa_ieee_mode 1
		.amdhsa_fp16_overflow 0
		.amdhsa_tg_split 0
		.amdhsa_exception_fp_ieee_invalid_op 0
		.amdhsa_exception_fp_denorm_src 0
		.amdhsa_exception_fp_ieee_div_zero 0
		.amdhsa_exception_fp_ieee_overflow 0
		.amdhsa_exception_fp_ieee_underflow 0
		.amdhsa_exception_fp_ieee_inexact 0
		.amdhsa_exception_int_div_zero 0
	.end_amdhsa_kernel
	.section	.text._ZN7rocprim17ROCPRIM_400000_NS6detail17trampoline_kernelINS0_14default_configENS1_20scan_config_selectorIfEEZZNS1_9scan_implILNS1_25lookback_scan_determinismE0ELb1ELb1ES3_N6thrust23THRUST_200600_302600_NS6detail15normal_iteratorINS9_10device_ptrIfEEEENSB_INSC_IiEEEEfNS9_4plusIvEEfEEDaPvRmT3_T4_T5_mT6_P12ihipStream_tbENKUlT_T0_E_clISt17integral_constantIbLb0EESV_IbLb1EEEEDaSR_SS_EUlSR_E_NS1_11comp_targetILNS1_3genE4ELNS1_11target_archE910ELNS1_3gpuE8ELNS1_3repE0EEENS1_30default_config_static_selectorELNS0_4arch9wavefront6targetE1EEEvT1_,"axG",@progbits,_ZN7rocprim17ROCPRIM_400000_NS6detail17trampoline_kernelINS0_14default_configENS1_20scan_config_selectorIfEEZZNS1_9scan_implILNS1_25lookback_scan_determinismE0ELb1ELb1ES3_N6thrust23THRUST_200600_302600_NS6detail15normal_iteratorINS9_10device_ptrIfEEEENSB_INSC_IiEEEEfNS9_4plusIvEEfEEDaPvRmT3_T4_T5_mT6_P12ihipStream_tbENKUlT_T0_E_clISt17integral_constantIbLb0EESV_IbLb1EEEEDaSR_SS_EUlSR_E_NS1_11comp_targetILNS1_3genE4ELNS1_11target_archE910ELNS1_3gpuE8ELNS1_3repE0EEENS1_30default_config_static_selectorELNS0_4arch9wavefront6targetE1EEEvT1_,comdat
.Lfunc_end1625:
	.size	_ZN7rocprim17ROCPRIM_400000_NS6detail17trampoline_kernelINS0_14default_configENS1_20scan_config_selectorIfEEZZNS1_9scan_implILNS1_25lookback_scan_determinismE0ELb1ELb1ES3_N6thrust23THRUST_200600_302600_NS6detail15normal_iteratorINS9_10device_ptrIfEEEENSB_INSC_IiEEEEfNS9_4plusIvEEfEEDaPvRmT3_T4_T5_mT6_P12ihipStream_tbENKUlT_T0_E_clISt17integral_constantIbLb0EESV_IbLb1EEEEDaSR_SS_EUlSR_E_NS1_11comp_targetILNS1_3genE4ELNS1_11target_archE910ELNS1_3gpuE8ELNS1_3repE0EEENS1_30default_config_static_selectorELNS0_4arch9wavefront6targetE1EEEvT1_, .Lfunc_end1625-_ZN7rocprim17ROCPRIM_400000_NS6detail17trampoline_kernelINS0_14default_configENS1_20scan_config_selectorIfEEZZNS1_9scan_implILNS1_25lookback_scan_determinismE0ELb1ELb1ES3_N6thrust23THRUST_200600_302600_NS6detail15normal_iteratorINS9_10device_ptrIfEEEENSB_INSC_IiEEEEfNS9_4plusIvEEfEEDaPvRmT3_T4_T5_mT6_P12ihipStream_tbENKUlT_T0_E_clISt17integral_constantIbLb0EESV_IbLb1EEEEDaSR_SS_EUlSR_E_NS1_11comp_targetILNS1_3genE4ELNS1_11target_archE910ELNS1_3gpuE8ELNS1_3repE0EEENS1_30default_config_static_selectorELNS0_4arch9wavefront6targetE1EEEvT1_
                                        ; -- End function
	.section	.AMDGPU.csdata,"",@progbits
; Kernel info:
; codeLenInByte = 5804
; NumSgprs: 45
; NumVgprs: 49
; NumAgprs: 0
; TotalNumVgprs: 49
; ScratchSize: 0
; MemoryBound: 0
; FloatMode: 240
; IeeeMode: 1
; LDSByteSize: 7168 bytes/workgroup (compile time only)
; SGPRBlocks: 5
; VGPRBlocks: 6
; NumSGPRsForWavesPerEU: 45
; NumVGPRsForWavesPerEU: 49
; AccumOffset: 52
; Occupancy: 5
; WaveLimiterHint : 1
; COMPUTE_PGM_RSRC2:SCRATCH_EN: 0
; COMPUTE_PGM_RSRC2:USER_SGPR: 6
; COMPUTE_PGM_RSRC2:TRAP_HANDLER: 0
; COMPUTE_PGM_RSRC2:TGID_X_EN: 1
; COMPUTE_PGM_RSRC2:TGID_Y_EN: 0
; COMPUTE_PGM_RSRC2:TGID_Z_EN: 0
; COMPUTE_PGM_RSRC2:TIDIG_COMP_CNT: 0
; COMPUTE_PGM_RSRC3_GFX90A:ACCUM_OFFSET: 12
; COMPUTE_PGM_RSRC3_GFX90A:TG_SPLIT: 0
	.section	.text._ZN7rocprim17ROCPRIM_400000_NS6detail17trampoline_kernelINS0_14default_configENS1_20scan_config_selectorIfEEZZNS1_9scan_implILNS1_25lookback_scan_determinismE0ELb1ELb1ES3_N6thrust23THRUST_200600_302600_NS6detail15normal_iteratorINS9_10device_ptrIfEEEENSB_INSC_IiEEEEfNS9_4plusIvEEfEEDaPvRmT3_T4_T5_mT6_P12ihipStream_tbENKUlT_T0_E_clISt17integral_constantIbLb0EESV_IbLb1EEEEDaSR_SS_EUlSR_E_NS1_11comp_targetILNS1_3genE3ELNS1_11target_archE908ELNS1_3gpuE7ELNS1_3repE0EEENS1_30default_config_static_selectorELNS0_4arch9wavefront6targetE1EEEvT1_,"axG",@progbits,_ZN7rocprim17ROCPRIM_400000_NS6detail17trampoline_kernelINS0_14default_configENS1_20scan_config_selectorIfEEZZNS1_9scan_implILNS1_25lookback_scan_determinismE0ELb1ELb1ES3_N6thrust23THRUST_200600_302600_NS6detail15normal_iteratorINS9_10device_ptrIfEEEENSB_INSC_IiEEEEfNS9_4plusIvEEfEEDaPvRmT3_T4_T5_mT6_P12ihipStream_tbENKUlT_T0_E_clISt17integral_constantIbLb0EESV_IbLb1EEEEDaSR_SS_EUlSR_E_NS1_11comp_targetILNS1_3genE3ELNS1_11target_archE908ELNS1_3gpuE7ELNS1_3repE0EEENS1_30default_config_static_selectorELNS0_4arch9wavefront6targetE1EEEvT1_,comdat
	.protected	_ZN7rocprim17ROCPRIM_400000_NS6detail17trampoline_kernelINS0_14default_configENS1_20scan_config_selectorIfEEZZNS1_9scan_implILNS1_25lookback_scan_determinismE0ELb1ELb1ES3_N6thrust23THRUST_200600_302600_NS6detail15normal_iteratorINS9_10device_ptrIfEEEENSB_INSC_IiEEEEfNS9_4plusIvEEfEEDaPvRmT3_T4_T5_mT6_P12ihipStream_tbENKUlT_T0_E_clISt17integral_constantIbLb0EESV_IbLb1EEEEDaSR_SS_EUlSR_E_NS1_11comp_targetILNS1_3genE3ELNS1_11target_archE908ELNS1_3gpuE7ELNS1_3repE0EEENS1_30default_config_static_selectorELNS0_4arch9wavefront6targetE1EEEvT1_ ; -- Begin function _ZN7rocprim17ROCPRIM_400000_NS6detail17trampoline_kernelINS0_14default_configENS1_20scan_config_selectorIfEEZZNS1_9scan_implILNS1_25lookback_scan_determinismE0ELb1ELb1ES3_N6thrust23THRUST_200600_302600_NS6detail15normal_iteratorINS9_10device_ptrIfEEEENSB_INSC_IiEEEEfNS9_4plusIvEEfEEDaPvRmT3_T4_T5_mT6_P12ihipStream_tbENKUlT_T0_E_clISt17integral_constantIbLb0EESV_IbLb1EEEEDaSR_SS_EUlSR_E_NS1_11comp_targetILNS1_3genE3ELNS1_11target_archE908ELNS1_3gpuE7ELNS1_3repE0EEENS1_30default_config_static_selectorELNS0_4arch9wavefront6targetE1EEEvT1_
	.globl	_ZN7rocprim17ROCPRIM_400000_NS6detail17trampoline_kernelINS0_14default_configENS1_20scan_config_selectorIfEEZZNS1_9scan_implILNS1_25lookback_scan_determinismE0ELb1ELb1ES3_N6thrust23THRUST_200600_302600_NS6detail15normal_iteratorINS9_10device_ptrIfEEEENSB_INSC_IiEEEEfNS9_4plusIvEEfEEDaPvRmT3_T4_T5_mT6_P12ihipStream_tbENKUlT_T0_E_clISt17integral_constantIbLb0EESV_IbLb1EEEEDaSR_SS_EUlSR_E_NS1_11comp_targetILNS1_3genE3ELNS1_11target_archE908ELNS1_3gpuE7ELNS1_3repE0EEENS1_30default_config_static_selectorELNS0_4arch9wavefront6targetE1EEEvT1_
	.p2align	8
	.type	_ZN7rocprim17ROCPRIM_400000_NS6detail17trampoline_kernelINS0_14default_configENS1_20scan_config_selectorIfEEZZNS1_9scan_implILNS1_25lookback_scan_determinismE0ELb1ELb1ES3_N6thrust23THRUST_200600_302600_NS6detail15normal_iteratorINS9_10device_ptrIfEEEENSB_INSC_IiEEEEfNS9_4plusIvEEfEEDaPvRmT3_T4_T5_mT6_P12ihipStream_tbENKUlT_T0_E_clISt17integral_constantIbLb0EESV_IbLb1EEEEDaSR_SS_EUlSR_E_NS1_11comp_targetILNS1_3genE3ELNS1_11target_archE908ELNS1_3gpuE7ELNS1_3repE0EEENS1_30default_config_static_selectorELNS0_4arch9wavefront6targetE1EEEvT1_,@function
_ZN7rocprim17ROCPRIM_400000_NS6detail17trampoline_kernelINS0_14default_configENS1_20scan_config_selectorIfEEZZNS1_9scan_implILNS1_25lookback_scan_determinismE0ELb1ELb1ES3_N6thrust23THRUST_200600_302600_NS6detail15normal_iteratorINS9_10device_ptrIfEEEENSB_INSC_IiEEEEfNS9_4plusIvEEfEEDaPvRmT3_T4_T5_mT6_P12ihipStream_tbENKUlT_T0_E_clISt17integral_constantIbLb0EESV_IbLb1EEEEDaSR_SS_EUlSR_E_NS1_11comp_targetILNS1_3genE3ELNS1_11target_archE908ELNS1_3gpuE7ELNS1_3repE0EEENS1_30default_config_static_selectorELNS0_4arch9wavefront6targetE1EEEvT1_: ; @_ZN7rocprim17ROCPRIM_400000_NS6detail17trampoline_kernelINS0_14default_configENS1_20scan_config_selectorIfEEZZNS1_9scan_implILNS1_25lookback_scan_determinismE0ELb1ELb1ES3_N6thrust23THRUST_200600_302600_NS6detail15normal_iteratorINS9_10device_ptrIfEEEENSB_INSC_IiEEEEfNS9_4plusIvEEfEEDaPvRmT3_T4_T5_mT6_P12ihipStream_tbENKUlT_T0_E_clISt17integral_constantIbLb0EESV_IbLb1EEEEDaSR_SS_EUlSR_E_NS1_11comp_targetILNS1_3genE3ELNS1_11target_archE908ELNS1_3gpuE7ELNS1_3repE0EEENS1_30default_config_static_selectorELNS0_4arch9wavefront6targetE1EEEvT1_
; %bb.0:
	.section	.rodata,"a",@progbits
	.p2align	6, 0x0
	.amdhsa_kernel _ZN7rocprim17ROCPRIM_400000_NS6detail17trampoline_kernelINS0_14default_configENS1_20scan_config_selectorIfEEZZNS1_9scan_implILNS1_25lookback_scan_determinismE0ELb1ELb1ES3_N6thrust23THRUST_200600_302600_NS6detail15normal_iteratorINS9_10device_ptrIfEEEENSB_INSC_IiEEEEfNS9_4plusIvEEfEEDaPvRmT3_T4_T5_mT6_P12ihipStream_tbENKUlT_T0_E_clISt17integral_constantIbLb0EESV_IbLb1EEEEDaSR_SS_EUlSR_E_NS1_11comp_targetILNS1_3genE3ELNS1_11target_archE908ELNS1_3gpuE7ELNS1_3repE0EEENS1_30default_config_static_selectorELNS0_4arch9wavefront6targetE1EEEvT1_
		.amdhsa_group_segment_fixed_size 0
		.amdhsa_private_segment_fixed_size 0
		.amdhsa_kernarg_size 96
		.amdhsa_user_sgpr_count 6
		.amdhsa_user_sgpr_private_segment_buffer 1
		.amdhsa_user_sgpr_dispatch_ptr 0
		.amdhsa_user_sgpr_queue_ptr 0
		.amdhsa_user_sgpr_kernarg_segment_ptr 1
		.amdhsa_user_sgpr_dispatch_id 0
		.amdhsa_user_sgpr_flat_scratch_init 0
		.amdhsa_user_sgpr_kernarg_preload_length 0
		.amdhsa_user_sgpr_kernarg_preload_offset 0
		.amdhsa_user_sgpr_private_segment_size 0
		.amdhsa_uses_dynamic_stack 0
		.amdhsa_system_sgpr_private_segment_wavefront_offset 0
		.amdhsa_system_sgpr_workgroup_id_x 1
		.amdhsa_system_sgpr_workgroup_id_y 0
		.amdhsa_system_sgpr_workgroup_id_z 0
		.amdhsa_system_sgpr_workgroup_info 0
		.amdhsa_system_vgpr_workitem_id 0
		.amdhsa_next_free_vgpr 1
		.amdhsa_next_free_sgpr 0
		.amdhsa_accum_offset 4
		.amdhsa_reserve_vcc 0
		.amdhsa_reserve_flat_scratch 0
		.amdhsa_float_round_mode_32 0
		.amdhsa_float_round_mode_16_64 0
		.amdhsa_float_denorm_mode_32 3
		.amdhsa_float_denorm_mode_16_64 3
		.amdhsa_dx10_clamp 1
		.amdhsa_ieee_mode 1
		.amdhsa_fp16_overflow 0
		.amdhsa_tg_split 0
		.amdhsa_exception_fp_ieee_invalid_op 0
		.amdhsa_exception_fp_denorm_src 0
		.amdhsa_exception_fp_ieee_div_zero 0
		.amdhsa_exception_fp_ieee_overflow 0
		.amdhsa_exception_fp_ieee_underflow 0
		.amdhsa_exception_fp_ieee_inexact 0
		.amdhsa_exception_int_div_zero 0
	.end_amdhsa_kernel
	.section	.text._ZN7rocprim17ROCPRIM_400000_NS6detail17trampoline_kernelINS0_14default_configENS1_20scan_config_selectorIfEEZZNS1_9scan_implILNS1_25lookback_scan_determinismE0ELb1ELb1ES3_N6thrust23THRUST_200600_302600_NS6detail15normal_iteratorINS9_10device_ptrIfEEEENSB_INSC_IiEEEEfNS9_4plusIvEEfEEDaPvRmT3_T4_T5_mT6_P12ihipStream_tbENKUlT_T0_E_clISt17integral_constantIbLb0EESV_IbLb1EEEEDaSR_SS_EUlSR_E_NS1_11comp_targetILNS1_3genE3ELNS1_11target_archE908ELNS1_3gpuE7ELNS1_3repE0EEENS1_30default_config_static_selectorELNS0_4arch9wavefront6targetE1EEEvT1_,"axG",@progbits,_ZN7rocprim17ROCPRIM_400000_NS6detail17trampoline_kernelINS0_14default_configENS1_20scan_config_selectorIfEEZZNS1_9scan_implILNS1_25lookback_scan_determinismE0ELb1ELb1ES3_N6thrust23THRUST_200600_302600_NS6detail15normal_iteratorINS9_10device_ptrIfEEEENSB_INSC_IiEEEEfNS9_4plusIvEEfEEDaPvRmT3_T4_T5_mT6_P12ihipStream_tbENKUlT_T0_E_clISt17integral_constantIbLb0EESV_IbLb1EEEEDaSR_SS_EUlSR_E_NS1_11comp_targetILNS1_3genE3ELNS1_11target_archE908ELNS1_3gpuE7ELNS1_3repE0EEENS1_30default_config_static_selectorELNS0_4arch9wavefront6targetE1EEEvT1_,comdat
.Lfunc_end1626:
	.size	_ZN7rocprim17ROCPRIM_400000_NS6detail17trampoline_kernelINS0_14default_configENS1_20scan_config_selectorIfEEZZNS1_9scan_implILNS1_25lookback_scan_determinismE0ELb1ELb1ES3_N6thrust23THRUST_200600_302600_NS6detail15normal_iteratorINS9_10device_ptrIfEEEENSB_INSC_IiEEEEfNS9_4plusIvEEfEEDaPvRmT3_T4_T5_mT6_P12ihipStream_tbENKUlT_T0_E_clISt17integral_constantIbLb0EESV_IbLb1EEEEDaSR_SS_EUlSR_E_NS1_11comp_targetILNS1_3genE3ELNS1_11target_archE908ELNS1_3gpuE7ELNS1_3repE0EEENS1_30default_config_static_selectorELNS0_4arch9wavefront6targetE1EEEvT1_, .Lfunc_end1626-_ZN7rocprim17ROCPRIM_400000_NS6detail17trampoline_kernelINS0_14default_configENS1_20scan_config_selectorIfEEZZNS1_9scan_implILNS1_25lookback_scan_determinismE0ELb1ELb1ES3_N6thrust23THRUST_200600_302600_NS6detail15normal_iteratorINS9_10device_ptrIfEEEENSB_INSC_IiEEEEfNS9_4plusIvEEfEEDaPvRmT3_T4_T5_mT6_P12ihipStream_tbENKUlT_T0_E_clISt17integral_constantIbLb0EESV_IbLb1EEEEDaSR_SS_EUlSR_E_NS1_11comp_targetILNS1_3genE3ELNS1_11target_archE908ELNS1_3gpuE7ELNS1_3repE0EEENS1_30default_config_static_selectorELNS0_4arch9wavefront6targetE1EEEvT1_
                                        ; -- End function
	.section	.AMDGPU.csdata,"",@progbits
; Kernel info:
; codeLenInByte = 0
; NumSgprs: 4
; NumVgprs: 0
; NumAgprs: 0
; TotalNumVgprs: 0
; ScratchSize: 0
; MemoryBound: 0
; FloatMode: 240
; IeeeMode: 1
; LDSByteSize: 0 bytes/workgroup (compile time only)
; SGPRBlocks: 0
; VGPRBlocks: 0
; NumSGPRsForWavesPerEU: 4
; NumVGPRsForWavesPerEU: 1
; AccumOffset: 4
; Occupancy: 8
; WaveLimiterHint : 0
; COMPUTE_PGM_RSRC2:SCRATCH_EN: 0
; COMPUTE_PGM_RSRC2:USER_SGPR: 6
; COMPUTE_PGM_RSRC2:TRAP_HANDLER: 0
; COMPUTE_PGM_RSRC2:TGID_X_EN: 1
; COMPUTE_PGM_RSRC2:TGID_Y_EN: 0
; COMPUTE_PGM_RSRC2:TGID_Z_EN: 0
; COMPUTE_PGM_RSRC2:TIDIG_COMP_CNT: 0
; COMPUTE_PGM_RSRC3_GFX90A:ACCUM_OFFSET: 0
; COMPUTE_PGM_RSRC3_GFX90A:TG_SPLIT: 0
	.section	.text._ZN7rocprim17ROCPRIM_400000_NS6detail17trampoline_kernelINS0_14default_configENS1_20scan_config_selectorIfEEZZNS1_9scan_implILNS1_25lookback_scan_determinismE0ELb1ELb1ES3_N6thrust23THRUST_200600_302600_NS6detail15normal_iteratorINS9_10device_ptrIfEEEENSB_INSC_IiEEEEfNS9_4plusIvEEfEEDaPvRmT3_T4_T5_mT6_P12ihipStream_tbENKUlT_T0_E_clISt17integral_constantIbLb0EESV_IbLb1EEEEDaSR_SS_EUlSR_E_NS1_11comp_targetILNS1_3genE2ELNS1_11target_archE906ELNS1_3gpuE6ELNS1_3repE0EEENS1_30default_config_static_selectorELNS0_4arch9wavefront6targetE1EEEvT1_,"axG",@progbits,_ZN7rocprim17ROCPRIM_400000_NS6detail17trampoline_kernelINS0_14default_configENS1_20scan_config_selectorIfEEZZNS1_9scan_implILNS1_25lookback_scan_determinismE0ELb1ELb1ES3_N6thrust23THRUST_200600_302600_NS6detail15normal_iteratorINS9_10device_ptrIfEEEENSB_INSC_IiEEEEfNS9_4plusIvEEfEEDaPvRmT3_T4_T5_mT6_P12ihipStream_tbENKUlT_T0_E_clISt17integral_constantIbLb0EESV_IbLb1EEEEDaSR_SS_EUlSR_E_NS1_11comp_targetILNS1_3genE2ELNS1_11target_archE906ELNS1_3gpuE6ELNS1_3repE0EEENS1_30default_config_static_selectorELNS0_4arch9wavefront6targetE1EEEvT1_,comdat
	.protected	_ZN7rocprim17ROCPRIM_400000_NS6detail17trampoline_kernelINS0_14default_configENS1_20scan_config_selectorIfEEZZNS1_9scan_implILNS1_25lookback_scan_determinismE0ELb1ELb1ES3_N6thrust23THRUST_200600_302600_NS6detail15normal_iteratorINS9_10device_ptrIfEEEENSB_INSC_IiEEEEfNS9_4plusIvEEfEEDaPvRmT3_T4_T5_mT6_P12ihipStream_tbENKUlT_T0_E_clISt17integral_constantIbLb0EESV_IbLb1EEEEDaSR_SS_EUlSR_E_NS1_11comp_targetILNS1_3genE2ELNS1_11target_archE906ELNS1_3gpuE6ELNS1_3repE0EEENS1_30default_config_static_selectorELNS0_4arch9wavefront6targetE1EEEvT1_ ; -- Begin function _ZN7rocprim17ROCPRIM_400000_NS6detail17trampoline_kernelINS0_14default_configENS1_20scan_config_selectorIfEEZZNS1_9scan_implILNS1_25lookback_scan_determinismE0ELb1ELb1ES3_N6thrust23THRUST_200600_302600_NS6detail15normal_iteratorINS9_10device_ptrIfEEEENSB_INSC_IiEEEEfNS9_4plusIvEEfEEDaPvRmT3_T4_T5_mT6_P12ihipStream_tbENKUlT_T0_E_clISt17integral_constantIbLb0EESV_IbLb1EEEEDaSR_SS_EUlSR_E_NS1_11comp_targetILNS1_3genE2ELNS1_11target_archE906ELNS1_3gpuE6ELNS1_3repE0EEENS1_30default_config_static_selectorELNS0_4arch9wavefront6targetE1EEEvT1_
	.globl	_ZN7rocprim17ROCPRIM_400000_NS6detail17trampoline_kernelINS0_14default_configENS1_20scan_config_selectorIfEEZZNS1_9scan_implILNS1_25lookback_scan_determinismE0ELb1ELb1ES3_N6thrust23THRUST_200600_302600_NS6detail15normal_iteratorINS9_10device_ptrIfEEEENSB_INSC_IiEEEEfNS9_4plusIvEEfEEDaPvRmT3_T4_T5_mT6_P12ihipStream_tbENKUlT_T0_E_clISt17integral_constantIbLb0EESV_IbLb1EEEEDaSR_SS_EUlSR_E_NS1_11comp_targetILNS1_3genE2ELNS1_11target_archE906ELNS1_3gpuE6ELNS1_3repE0EEENS1_30default_config_static_selectorELNS0_4arch9wavefront6targetE1EEEvT1_
	.p2align	8
	.type	_ZN7rocprim17ROCPRIM_400000_NS6detail17trampoline_kernelINS0_14default_configENS1_20scan_config_selectorIfEEZZNS1_9scan_implILNS1_25lookback_scan_determinismE0ELb1ELb1ES3_N6thrust23THRUST_200600_302600_NS6detail15normal_iteratorINS9_10device_ptrIfEEEENSB_INSC_IiEEEEfNS9_4plusIvEEfEEDaPvRmT3_T4_T5_mT6_P12ihipStream_tbENKUlT_T0_E_clISt17integral_constantIbLb0EESV_IbLb1EEEEDaSR_SS_EUlSR_E_NS1_11comp_targetILNS1_3genE2ELNS1_11target_archE906ELNS1_3gpuE6ELNS1_3repE0EEENS1_30default_config_static_selectorELNS0_4arch9wavefront6targetE1EEEvT1_,@function
_ZN7rocprim17ROCPRIM_400000_NS6detail17trampoline_kernelINS0_14default_configENS1_20scan_config_selectorIfEEZZNS1_9scan_implILNS1_25lookback_scan_determinismE0ELb1ELb1ES3_N6thrust23THRUST_200600_302600_NS6detail15normal_iteratorINS9_10device_ptrIfEEEENSB_INSC_IiEEEEfNS9_4plusIvEEfEEDaPvRmT3_T4_T5_mT6_P12ihipStream_tbENKUlT_T0_E_clISt17integral_constantIbLb0EESV_IbLb1EEEEDaSR_SS_EUlSR_E_NS1_11comp_targetILNS1_3genE2ELNS1_11target_archE906ELNS1_3gpuE6ELNS1_3repE0EEENS1_30default_config_static_selectorELNS0_4arch9wavefront6targetE1EEEvT1_: ; @_ZN7rocprim17ROCPRIM_400000_NS6detail17trampoline_kernelINS0_14default_configENS1_20scan_config_selectorIfEEZZNS1_9scan_implILNS1_25lookback_scan_determinismE0ELb1ELb1ES3_N6thrust23THRUST_200600_302600_NS6detail15normal_iteratorINS9_10device_ptrIfEEEENSB_INSC_IiEEEEfNS9_4plusIvEEfEEDaPvRmT3_T4_T5_mT6_P12ihipStream_tbENKUlT_T0_E_clISt17integral_constantIbLb0EESV_IbLb1EEEEDaSR_SS_EUlSR_E_NS1_11comp_targetILNS1_3genE2ELNS1_11target_archE906ELNS1_3gpuE6ELNS1_3repE0EEENS1_30default_config_static_selectorELNS0_4arch9wavefront6targetE1EEEvT1_
; %bb.0:
	.section	.rodata,"a",@progbits
	.p2align	6, 0x0
	.amdhsa_kernel _ZN7rocprim17ROCPRIM_400000_NS6detail17trampoline_kernelINS0_14default_configENS1_20scan_config_selectorIfEEZZNS1_9scan_implILNS1_25lookback_scan_determinismE0ELb1ELb1ES3_N6thrust23THRUST_200600_302600_NS6detail15normal_iteratorINS9_10device_ptrIfEEEENSB_INSC_IiEEEEfNS9_4plusIvEEfEEDaPvRmT3_T4_T5_mT6_P12ihipStream_tbENKUlT_T0_E_clISt17integral_constantIbLb0EESV_IbLb1EEEEDaSR_SS_EUlSR_E_NS1_11comp_targetILNS1_3genE2ELNS1_11target_archE906ELNS1_3gpuE6ELNS1_3repE0EEENS1_30default_config_static_selectorELNS0_4arch9wavefront6targetE1EEEvT1_
		.amdhsa_group_segment_fixed_size 0
		.amdhsa_private_segment_fixed_size 0
		.amdhsa_kernarg_size 96
		.amdhsa_user_sgpr_count 6
		.amdhsa_user_sgpr_private_segment_buffer 1
		.amdhsa_user_sgpr_dispatch_ptr 0
		.amdhsa_user_sgpr_queue_ptr 0
		.amdhsa_user_sgpr_kernarg_segment_ptr 1
		.amdhsa_user_sgpr_dispatch_id 0
		.amdhsa_user_sgpr_flat_scratch_init 0
		.amdhsa_user_sgpr_kernarg_preload_length 0
		.amdhsa_user_sgpr_kernarg_preload_offset 0
		.amdhsa_user_sgpr_private_segment_size 0
		.amdhsa_uses_dynamic_stack 0
		.amdhsa_system_sgpr_private_segment_wavefront_offset 0
		.amdhsa_system_sgpr_workgroup_id_x 1
		.amdhsa_system_sgpr_workgroup_id_y 0
		.amdhsa_system_sgpr_workgroup_id_z 0
		.amdhsa_system_sgpr_workgroup_info 0
		.amdhsa_system_vgpr_workitem_id 0
		.amdhsa_next_free_vgpr 1
		.amdhsa_next_free_sgpr 0
		.amdhsa_accum_offset 4
		.amdhsa_reserve_vcc 0
		.amdhsa_reserve_flat_scratch 0
		.amdhsa_float_round_mode_32 0
		.amdhsa_float_round_mode_16_64 0
		.amdhsa_float_denorm_mode_32 3
		.amdhsa_float_denorm_mode_16_64 3
		.amdhsa_dx10_clamp 1
		.amdhsa_ieee_mode 1
		.amdhsa_fp16_overflow 0
		.amdhsa_tg_split 0
		.amdhsa_exception_fp_ieee_invalid_op 0
		.amdhsa_exception_fp_denorm_src 0
		.amdhsa_exception_fp_ieee_div_zero 0
		.amdhsa_exception_fp_ieee_overflow 0
		.amdhsa_exception_fp_ieee_underflow 0
		.amdhsa_exception_fp_ieee_inexact 0
		.amdhsa_exception_int_div_zero 0
	.end_amdhsa_kernel
	.section	.text._ZN7rocprim17ROCPRIM_400000_NS6detail17trampoline_kernelINS0_14default_configENS1_20scan_config_selectorIfEEZZNS1_9scan_implILNS1_25lookback_scan_determinismE0ELb1ELb1ES3_N6thrust23THRUST_200600_302600_NS6detail15normal_iteratorINS9_10device_ptrIfEEEENSB_INSC_IiEEEEfNS9_4plusIvEEfEEDaPvRmT3_T4_T5_mT6_P12ihipStream_tbENKUlT_T0_E_clISt17integral_constantIbLb0EESV_IbLb1EEEEDaSR_SS_EUlSR_E_NS1_11comp_targetILNS1_3genE2ELNS1_11target_archE906ELNS1_3gpuE6ELNS1_3repE0EEENS1_30default_config_static_selectorELNS0_4arch9wavefront6targetE1EEEvT1_,"axG",@progbits,_ZN7rocprim17ROCPRIM_400000_NS6detail17trampoline_kernelINS0_14default_configENS1_20scan_config_selectorIfEEZZNS1_9scan_implILNS1_25lookback_scan_determinismE0ELb1ELb1ES3_N6thrust23THRUST_200600_302600_NS6detail15normal_iteratorINS9_10device_ptrIfEEEENSB_INSC_IiEEEEfNS9_4plusIvEEfEEDaPvRmT3_T4_T5_mT6_P12ihipStream_tbENKUlT_T0_E_clISt17integral_constantIbLb0EESV_IbLb1EEEEDaSR_SS_EUlSR_E_NS1_11comp_targetILNS1_3genE2ELNS1_11target_archE906ELNS1_3gpuE6ELNS1_3repE0EEENS1_30default_config_static_selectorELNS0_4arch9wavefront6targetE1EEEvT1_,comdat
.Lfunc_end1627:
	.size	_ZN7rocprim17ROCPRIM_400000_NS6detail17trampoline_kernelINS0_14default_configENS1_20scan_config_selectorIfEEZZNS1_9scan_implILNS1_25lookback_scan_determinismE0ELb1ELb1ES3_N6thrust23THRUST_200600_302600_NS6detail15normal_iteratorINS9_10device_ptrIfEEEENSB_INSC_IiEEEEfNS9_4plusIvEEfEEDaPvRmT3_T4_T5_mT6_P12ihipStream_tbENKUlT_T0_E_clISt17integral_constantIbLb0EESV_IbLb1EEEEDaSR_SS_EUlSR_E_NS1_11comp_targetILNS1_3genE2ELNS1_11target_archE906ELNS1_3gpuE6ELNS1_3repE0EEENS1_30default_config_static_selectorELNS0_4arch9wavefront6targetE1EEEvT1_, .Lfunc_end1627-_ZN7rocprim17ROCPRIM_400000_NS6detail17trampoline_kernelINS0_14default_configENS1_20scan_config_selectorIfEEZZNS1_9scan_implILNS1_25lookback_scan_determinismE0ELb1ELb1ES3_N6thrust23THRUST_200600_302600_NS6detail15normal_iteratorINS9_10device_ptrIfEEEENSB_INSC_IiEEEEfNS9_4plusIvEEfEEDaPvRmT3_T4_T5_mT6_P12ihipStream_tbENKUlT_T0_E_clISt17integral_constantIbLb0EESV_IbLb1EEEEDaSR_SS_EUlSR_E_NS1_11comp_targetILNS1_3genE2ELNS1_11target_archE906ELNS1_3gpuE6ELNS1_3repE0EEENS1_30default_config_static_selectorELNS0_4arch9wavefront6targetE1EEEvT1_
                                        ; -- End function
	.section	.AMDGPU.csdata,"",@progbits
; Kernel info:
; codeLenInByte = 0
; NumSgprs: 4
; NumVgprs: 0
; NumAgprs: 0
; TotalNumVgprs: 0
; ScratchSize: 0
; MemoryBound: 0
; FloatMode: 240
; IeeeMode: 1
; LDSByteSize: 0 bytes/workgroup (compile time only)
; SGPRBlocks: 0
; VGPRBlocks: 0
; NumSGPRsForWavesPerEU: 4
; NumVGPRsForWavesPerEU: 1
; AccumOffset: 4
; Occupancy: 8
; WaveLimiterHint : 0
; COMPUTE_PGM_RSRC2:SCRATCH_EN: 0
; COMPUTE_PGM_RSRC2:USER_SGPR: 6
; COMPUTE_PGM_RSRC2:TRAP_HANDLER: 0
; COMPUTE_PGM_RSRC2:TGID_X_EN: 1
; COMPUTE_PGM_RSRC2:TGID_Y_EN: 0
; COMPUTE_PGM_RSRC2:TGID_Z_EN: 0
; COMPUTE_PGM_RSRC2:TIDIG_COMP_CNT: 0
; COMPUTE_PGM_RSRC3_GFX90A:ACCUM_OFFSET: 0
; COMPUTE_PGM_RSRC3_GFX90A:TG_SPLIT: 0
	.section	.text._ZN7rocprim17ROCPRIM_400000_NS6detail17trampoline_kernelINS0_14default_configENS1_20scan_config_selectorIfEEZZNS1_9scan_implILNS1_25lookback_scan_determinismE0ELb1ELb1ES3_N6thrust23THRUST_200600_302600_NS6detail15normal_iteratorINS9_10device_ptrIfEEEENSB_INSC_IiEEEEfNS9_4plusIvEEfEEDaPvRmT3_T4_T5_mT6_P12ihipStream_tbENKUlT_T0_E_clISt17integral_constantIbLb0EESV_IbLb1EEEEDaSR_SS_EUlSR_E_NS1_11comp_targetILNS1_3genE10ELNS1_11target_archE1201ELNS1_3gpuE5ELNS1_3repE0EEENS1_30default_config_static_selectorELNS0_4arch9wavefront6targetE1EEEvT1_,"axG",@progbits,_ZN7rocprim17ROCPRIM_400000_NS6detail17trampoline_kernelINS0_14default_configENS1_20scan_config_selectorIfEEZZNS1_9scan_implILNS1_25lookback_scan_determinismE0ELb1ELb1ES3_N6thrust23THRUST_200600_302600_NS6detail15normal_iteratorINS9_10device_ptrIfEEEENSB_INSC_IiEEEEfNS9_4plusIvEEfEEDaPvRmT3_T4_T5_mT6_P12ihipStream_tbENKUlT_T0_E_clISt17integral_constantIbLb0EESV_IbLb1EEEEDaSR_SS_EUlSR_E_NS1_11comp_targetILNS1_3genE10ELNS1_11target_archE1201ELNS1_3gpuE5ELNS1_3repE0EEENS1_30default_config_static_selectorELNS0_4arch9wavefront6targetE1EEEvT1_,comdat
	.protected	_ZN7rocprim17ROCPRIM_400000_NS6detail17trampoline_kernelINS0_14default_configENS1_20scan_config_selectorIfEEZZNS1_9scan_implILNS1_25lookback_scan_determinismE0ELb1ELb1ES3_N6thrust23THRUST_200600_302600_NS6detail15normal_iteratorINS9_10device_ptrIfEEEENSB_INSC_IiEEEEfNS9_4plusIvEEfEEDaPvRmT3_T4_T5_mT6_P12ihipStream_tbENKUlT_T0_E_clISt17integral_constantIbLb0EESV_IbLb1EEEEDaSR_SS_EUlSR_E_NS1_11comp_targetILNS1_3genE10ELNS1_11target_archE1201ELNS1_3gpuE5ELNS1_3repE0EEENS1_30default_config_static_selectorELNS0_4arch9wavefront6targetE1EEEvT1_ ; -- Begin function _ZN7rocprim17ROCPRIM_400000_NS6detail17trampoline_kernelINS0_14default_configENS1_20scan_config_selectorIfEEZZNS1_9scan_implILNS1_25lookback_scan_determinismE0ELb1ELb1ES3_N6thrust23THRUST_200600_302600_NS6detail15normal_iteratorINS9_10device_ptrIfEEEENSB_INSC_IiEEEEfNS9_4plusIvEEfEEDaPvRmT3_T4_T5_mT6_P12ihipStream_tbENKUlT_T0_E_clISt17integral_constantIbLb0EESV_IbLb1EEEEDaSR_SS_EUlSR_E_NS1_11comp_targetILNS1_3genE10ELNS1_11target_archE1201ELNS1_3gpuE5ELNS1_3repE0EEENS1_30default_config_static_selectorELNS0_4arch9wavefront6targetE1EEEvT1_
	.globl	_ZN7rocprim17ROCPRIM_400000_NS6detail17trampoline_kernelINS0_14default_configENS1_20scan_config_selectorIfEEZZNS1_9scan_implILNS1_25lookback_scan_determinismE0ELb1ELb1ES3_N6thrust23THRUST_200600_302600_NS6detail15normal_iteratorINS9_10device_ptrIfEEEENSB_INSC_IiEEEEfNS9_4plusIvEEfEEDaPvRmT3_T4_T5_mT6_P12ihipStream_tbENKUlT_T0_E_clISt17integral_constantIbLb0EESV_IbLb1EEEEDaSR_SS_EUlSR_E_NS1_11comp_targetILNS1_3genE10ELNS1_11target_archE1201ELNS1_3gpuE5ELNS1_3repE0EEENS1_30default_config_static_selectorELNS0_4arch9wavefront6targetE1EEEvT1_
	.p2align	8
	.type	_ZN7rocprim17ROCPRIM_400000_NS6detail17trampoline_kernelINS0_14default_configENS1_20scan_config_selectorIfEEZZNS1_9scan_implILNS1_25lookback_scan_determinismE0ELb1ELb1ES3_N6thrust23THRUST_200600_302600_NS6detail15normal_iteratorINS9_10device_ptrIfEEEENSB_INSC_IiEEEEfNS9_4plusIvEEfEEDaPvRmT3_T4_T5_mT6_P12ihipStream_tbENKUlT_T0_E_clISt17integral_constantIbLb0EESV_IbLb1EEEEDaSR_SS_EUlSR_E_NS1_11comp_targetILNS1_3genE10ELNS1_11target_archE1201ELNS1_3gpuE5ELNS1_3repE0EEENS1_30default_config_static_selectorELNS0_4arch9wavefront6targetE1EEEvT1_,@function
_ZN7rocprim17ROCPRIM_400000_NS6detail17trampoline_kernelINS0_14default_configENS1_20scan_config_selectorIfEEZZNS1_9scan_implILNS1_25lookback_scan_determinismE0ELb1ELb1ES3_N6thrust23THRUST_200600_302600_NS6detail15normal_iteratorINS9_10device_ptrIfEEEENSB_INSC_IiEEEEfNS9_4plusIvEEfEEDaPvRmT3_T4_T5_mT6_P12ihipStream_tbENKUlT_T0_E_clISt17integral_constantIbLb0EESV_IbLb1EEEEDaSR_SS_EUlSR_E_NS1_11comp_targetILNS1_3genE10ELNS1_11target_archE1201ELNS1_3gpuE5ELNS1_3repE0EEENS1_30default_config_static_selectorELNS0_4arch9wavefront6targetE1EEEvT1_: ; @_ZN7rocprim17ROCPRIM_400000_NS6detail17trampoline_kernelINS0_14default_configENS1_20scan_config_selectorIfEEZZNS1_9scan_implILNS1_25lookback_scan_determinismE0ELb1ELb1ES3_N6thrust23THRUST_200600_302600_NS6detail15normal_iteratorINS9_10device_ptrIfEEEENSB_INSC_IiEEEEfNS9_4plusIvEEfEEDaPvRmT3_T4_T5_mT6_P12ihipStream_tbENKUlT_T0_E_clISt17integral_constantIbLb0EESV_IbLb1EEEEDaSR_SS_EUlSR_E_NS1_11comp_targetILNS1_3genE10ELNS1_11target_archE1201ELNS1_3gpuE5ELNS1_3repE0EEENS1_30default_config_static_selectorELNS0_4arch9wavefront6targetE1EEEvT1_
; %bb.0:
	.section	.rodata,"a",@progbits
	.p2align	6, 0x0
	.amdhsa_kernel _ZN7rocprim17ROCPRIM_400000_NS6detail17trampoline_kernelINS0_14default_configENS1_20scan_config_selectorIfEEZZNS1_9scan_implILNS1_25lookback_scan_determinismE0ELb1ELb1ES3_N6thrust23THRUST_200600_302600_NS6detail15normal_iteratorINS9_10device_ptrIfEEEENSB_INSC_IiEEEEfNS9_4plusIvEEfEEDaPvRmT3_T4_T5_mT6_P12ihipStream_tbENKUlT_T0_E_clISt17integral_constantIbLb0EESV_IbLb1EEEEDaSR_SS_EUlSR_E_NS1_11comp_targetILNS1_3genE10ELNS1_11target_archE1201ELNS1_3gpuE5ELNS1_3repE0EEENS1_30default_config_static_selectorELNS0_4arch9wavefront6targetE1EEEvT1_
		.amdhsa_group_segment_fixed_size 0
		.amdhsa_private_segment_fixed_size 0
		.amdhsa_kernarg_size 96
		.amdhsa_user_sgpr_count 6
		.amdhsa_user_sgpr_private_segment_buffer 1
		.amdhsa_user_sgpr_dispatch_ptr 0
		.amdhsa_user_sgpr_queue_ptr 0
		.amdhsa_user_sgpr_kernarg_segment_ptr 1
		.amdhsa_user_sgpr_dispatch_id 0
		.amdhsa_user_sgpr_flat_scratch_init 0
		.amdhsa_user_sgpr_kernarg_preload_length 0
		.amdhsa_user_sgpr_kernarg_preload_offset 0
		.amdhsa_user_sgpr_private_segment_size 0
		.amdhsa_uses_dynamic_stack 0
		.amdhsa_system_sgpr_private_segment_wavefront_offset 0
		.amdhsa_system_sgpr_workgroup_id_x 1
		.amdhsa_system_sgpr_workgroup_id_y 0
		.amdhsa_system_sgpr_workgroup_id_z 0
		.amdhsa_system_sgpr_workgroup_info 0
		.amdhsa_system_vgpr_workitem_id 0
		.amdhsa_next_free_vgpr 1
		.amdhsa_next_free_sgpr 0
		.amdhsa_accum_offset 4
		.amdhsa_reserve_vcc 0
		.amdhsa_reserve_flat_scratch 0
		.amdhsa_float_round_mode_32 0
		.amdhsa_float_round_mode_16_64 0
		.amdhsa_float_denorm_mode_32 3
		.amdhsa_float_denorm_mode_16_64 3
		.amdhsa_dx10_clamp 1
		.amdhsa_ieee_mode 1
		.amdhsa_fp16_overflow 0
		.amdhsa_tg_split 0
		.amdhsa_exception_fp_ieee_invalid_op 0
		.amdhsa_exception_fp_denorm_src 0
		.amdhsa_exception_fp_ieee_div_zero 0
		.amdhsa_exception_fp_ieee_overflow 0
		.amdhsa_exception_fp_ieee_underflow 0
		.amdhsa_exception_fp_ieee_inexact 0
		.amdhsa_exception_int_div_zero 0
	.end_amdhsa_kernel
	.section	.text._ZN7rocprim17ROCPRIM_400000_NS6detail17trampoline_kernelINS0_14default_configENS1_20scan_config_selectorIfEEZZNS1_9scan_implILNS1_25lookback_scan_determinismE0ELb1ELb1ES3_N6thrust23THRUST_200600_302600_NS6detail15normal_iteratorINS9_10device_ptrIfEEEENSB_INSC_IiEEEEfNS9_4plusIvEEfEEDaPvRmT3_T4_T5_mT6_P12ihipStream_tbENKUlT_T0_E_clISt17integral_constantIbLb0EESV_IbLb1EEEEDaSR_SS_EUlSR_E_NS1_11comp_targetILNS1_3genE10ELNS1_11target_archE1201ELNS1_3gpuE5ELNS1_3repE0EEENS1_30default_config_static_selectorELNS0_4arch9wavefront6targetE1EEEvT1_,"axG",@progbits,_ZN7rocprim17ROCPRIM_400000_NS6detail17trampoline_kernelINS0_14default_configENS1_20scan_config_selectorIfEEZZNS1_9scan_implILNS1_25lookback_scan_determinismE0ELb1ELb1ES3_N6thrust23THRUST_200600_302600_NS6detail15normal_iteratorINS9_10device_ptrIfEEEENSB_INSC_IiEEEEfNS9_4plusIvEEfEEDaPvRmT3_T4_T5_mT6_P12ihipStream_tbENKUlT_T0_E_clISt17integral_constantIbLb0EESV_IbLb1EEEEDaSR_SS_EUlSR_E_NS1_11comp_targetILNS1_3genE10ELNS1_11target_archE1201ELNS1_3gpuE5ELNS1_3repE0EEENS1_30default_config_static_selectorELNS0_4arch9wavefront6targetE1EEEvT1_,comdat
.Lfunc_end1628:
	.size	_ZN7rocprim17ROCPRIM_400000_NS6detail17trampoline_kernelINS0_14default_configENS1_20scan_config_selectorIfEEZZNS1_9scan_implILNS1_25lookback_scan_determinismE0ELb1ELb1ES3_N6thrust23THRUST_200600_302600_NS6detail15normal_iteratorINS9_10device_ptrIfEEEENSB_INSC_IiEEEEfNS9_4plusIvEEfEEDaPvRmT3_T4_T5_mT6_P12ihipStream_tbENKUlT_T0_E_clISt17integral_constantIbLb0EESV_IbLb1EEEEDaSR_SS_EUlSR_E_NS1_11comp_targetILNS1_3genE10ELNS1_11target_archE1201ELNS1_3gpuE5ELNS1_3repE0EEENS1_30default_config_static_selectorELNS0_4arch9wavefront6targetE1EEEvT1_, .Lfunc_end1628-_ZN7rocprim17ROCPRIM_400000_NS6detail17trampoline_kernelINS0_14default_configENS1_20scan_config_selectorIfEEZZNS1_9scan_implILNS1_25lookback_scan_determinismE0ELb1ELb1ES3_N6thrust23THRUST_200600_302600_NS6detail15normal_iteratorINS9_10device_ptrIfEEEENSB_INSC_IiEEEEfNS9_4plusIvEEfEEDaPvRmT3_T4_T5_mT6_P12ihipStream_tbENKUlT_T0_E_clISt17integral_constantIbLb0EESV_IbLb1EEEEDaSR_SS_EUlSR_E_NS1_11comp_targetILNS1_3genE10ELNS1_11target_archE1201ELNS1_3gpuE5ELNS1_3repE0EEENS1_30default_config_static_selectorELNS0_4arch9wavefront6targetE1EEEvT1_
                                        ; -- End function
	.section	.AMDGPU.csdata,"",@progbits
; Kernel info:
; codeLenInByte = 0
; NumSgprs: 4
; NumVgprs: 0
; NumAgprs: 0
; TotalNumVgprs: 0
; ScratchSize: 0
; MemoryBound: 0
; FloatMode: 240
; IeeeMode: 1
; LDSByteSize: 0 bytes/workgroup (compile time only)
; SGPRBlocks: 0
; VGPRBlocks: 0
; NumSGPRsForWavesPerEU: 4
; NumVGPRsForWavesPerEU: 1
; AccumOffset: 4
; Occupancy: 8
; WaveLimiterHint : 0
; COMPUTE_PGM_RSRC2:SCRATCH_EN: 0
; COMPUTE_PGM_RSRC2:USER_SGPR: 6
; COMPUTE_PGM_RSRC2:TRAP_HANDLER: 0
; COMPUTE_PGM_RSRC2:TGID_X_EN: 1
; COMPUTE_PGM_RSRC2:TGID_Y_EN: 0
; COMPUTE_PGM_RSRC2:TGID_Z_EN: 0
; COMPUTE_PGM_RSRC2:TIDIG_COMP_CNT: 0
; COMPUTE_PGM_RSRC3_GFX90A:ACCUM_OFFSET: 0
; COMPUTE_PGM_RSRC3_GFX90A:TG_SPLIT: 0
	.section	.text._ZN7rocprim17ROCPRIM_400000_NS6detail17trampoline_kernelINS0_14default_configENS1_20scan_config_selectorIfEEZZNS1_9scan_implILNS1_25lookback_scan_determinismE0ELb1ELb1ES3_N6thrust23THRUST_200600_302600_NS6detail15normal_iteratorINS9_10device_ptrIfEEEENSB_INSC_IiEEEEfNS9_4plusIvEEfEEDaPvRmT3_T4_T5_mT6_P12ihipStream_tbENKUlT_T0_E_clISt17integral_constantIbLb0EESV_IbLb1EEEEDaSR_SS_EUlSR_E_NS1_11comp_targetILNS1_3genE10ELNS1_11target_archE1200ELNS1_3gpuE4ELNS1_3repE0EEENS1_30default_config_static_selectorELNS0_4arch9wavefront6targetE1EEEvT1_,"axG",@progbits,_ZN7rocprim17ROCPRIM_400000_NS6detail17trampoline_kernelINS0_14default_configENS1_20scan_config_selectorIfEEZZNS1_9scan_implILNS1_25lookback_scan_determinismE0ELb1ELb1ES3_N6thrust23THRUST_200600_302600_NS6detail15normal_iteratorINS9_10device_ptrIfEEEENSB_INSC_IiEEEEfNS9_4plusIvEEfEEDaPvRmT3_T4_T5_mT6_P12ihipStream_tbENKUlT_T0_E_clISt17integral_constantIbLb0EESV_IbLb1EEEEDaSR_SS_EUlSR_E_NS1_11comp_targetILNS1_3genE10ELNS1_11target_archE1200ELNS1_3gpuE4ELNS1_3repE0EEENS1_30default_config_static_selectorELNS0_4arch9wavefront6targetE1EEEvT1_,comdat
	.protected	_ZN7rocprim17ROCPRIM_400000_NS6detail17trampoline_kernelINS0_14default_configENS1_20scan_config_selectorIfEEZZNS1_9scan_implILNS1_25lookback_scan_determinismE0ELb1ELb1ES3_N6thrust23THRUST_200600_302600_NS6detail15normal_iteratorINS9_10device_ptrIfEEEENSB_INSC_IiEEEEfNS9_4plusIvEEfEEDaPvRmT3_T4_T5_mT6_P12ihipStream_tbENKUlT_T0_E_clISt17integral_constantIbLb0EESV_IbLb1EEEEDaSR_SS_EUlSR_E_NS1_11comp_targetILNS1_3genE10ELNS1_11target_archE1200ELNS1_3gpuE4ELNS1_3repE0EEENS1_30default_config_static_selectorELNS0_4arch9wavefront6targetE1EEEvT1_ ; -- Begin function _ZN7rocprim17ROCPRIM_400000_NS6detail17trampoline_kernelINS0_14default_configENS1_20scan_config_selectorIfEEZZNS1_9scan_implILNS1_25lookback_scan_determinismE0ELb1ELb1ES3_N6thrust23THRUST_200600_302600_NS6detail15normal_iteratorINS9_10device_ptrIfEEEENSB_INSC_IiEEEEfNS9_4plusIvEEfEEDaPvRmT3_T4_T5_mT6_P12ihipStream_tbENKUlT_T0_E_clISt17integral_constantIbLb0EESV_IbLb1EEEEDaSR_SS_EUlSR_E_NS1_11comp_targetILNS1_3genE10ELNS1_11target_archE1200ELNS1_3gpuE4ELNS1_3repE0EEENS1_30default_config_static_selectorELNS0_4arch9wavefront6targetE1EEEvT1_
	.globl	_ZN7rocprim17ROCPRIM_400000_NS6detail17trampoline_kernelINS0_14default_configENS1_20scan_config_selectorIfEEZZNS1_9scan_implILNS1_25lookback_scan_determinismE0ELb1ELb1ES3_N6thrust23THRUST_200600_302600_NS6detail15normal_iteratorINS9_10device_ptrIfEEEENSB_INSC_IiEEEEfNS9_4plusIvEEfEEDaPvRmT3_T4_T5_mT6_P12ihipStream_tbENKUlT_T0_E_clISt17integral_constantIbLb0EESV_IbLb1EEEEDaSR_SS_EUlSR_E_NS1_11comp_targetILNS1_3genE10ELNS1_11target_archE1200ELNS1_3gpuE4ELNS1_3repE0EEENS1_30default_config_static_selectorELNS0_4arch9wavefront6targetE1EEEvT1_
	.p2align	8
	.type	_ZN7rocprim17ROCPRIM_400000_NS6detail17trampoline_kernelINS0_14default_configENS1_20scan_config_selectorIfEEZZNS1_9scan_implILNS1_25lookback_scan_determinismE0ELb1ELb1ES3_N6thrust23THRUST_200600_302600_NS6detail15normal_iteratorINS9_10device_ptrIfEEEENSB_INSC_IiEEEEfNS9_4plusIvEEfEEDaPvRmT3_T4_T5_mT6_P12ihipStream_tbENKUlT_T0_E_clISt17integral_constantIbLb0EESV_IbLb1EEEEDaSR_SS_EUlSR_E_NS1_11comp_targetILNS1_3genE10ELNS1_11target_archE1200ELNS1_3gpuE4ELNS1_3repE0EEENS1_30default_config_static_selectorELNS0_4arch9wavefront6targetE1EEEvT1_,@function
_ZN7rocprim17ROCPRIM_400000_NS6detail17trampoline_kernelINS0_14default_configENS1_20scan_config_selectorIfEEZZNS1_9scan_implILNS1_25lookback_scan_determinismE0ELb1ELb1ES3_N6thrust23THRUST_200600_302600_NS6detail15normal_iteratorINS9_10device_ptrIfEEEENSB_INSC_IiEEEEfNS9_4plusIvEEfEEDaPvRmT3_T4_T5_mT6_P12ihipStream_tbENKUlT_T0_E_clISt17integral_constantIbLb0EESV_IbLb1EEEEDaSR_SS_EUlSR_E_NS1_11comp_targetILNS1_3genE10ELNS1_11target_archE1200ELNS1_3gpuE4ELNS1_3repE0EEENS1_30default_config_static_selectorELNS0_4arch9wavefront6targetE1EEEvT1_: ; @_ZN7rocprim17ROCPRIM_400000_NS6detail17trampoline_kernelINS0_14default_configENS1_20scan_config_selectorIfEEZZNS1_9scan_implILNS1_25lookback_scan_determinismE0ELb1ELb1ES3_N6thrust23THRUST_200600_302600_NS6detail15normal_iteratorINS9_10device_ptrIfEEEENSB_INSC_IiEEEEfNS9_4plusIvEEfEEDaPvRmT3_T4_T5_mT6_P12ihipStream_tbENKUlT_T0_E_clISt17integral_constantIbLb0EESV_IbLb1EEEEDaSR_SS_EUlSR_E_NS1_11comp_targetILNS1_3genE10ELNS1_11target_archE1200ELNS1_3gpuE4ELNS1_3repE0EEENS1_30default_config_static_selectorELNS0_4arch9wavefront6targetE1EEEvT1_
; %bb.0:
	.section	.rodata,"a",@progbits
	.p2align	6, 0x0
	.amdhsa_kernel _ZN7rocprim17ROCPRIM_400000_NS6detail17trampoline_kernelINS0_14default_configENS1_20scan_config_selectorIfEEZZNS1_9scan_implILNS1_25lookback_scan_determinismE0ELb1ELb1ES3_N6thrust23THRUST_200600_302600_NS6detail15normal_iteratorINS9_10device_ptrIfEEEENSB_INSC_IiEEEEfNS9_4plusIvEEfEEDaPvRmT3_T4_T5_mT6_P12ihipStream_tbENKUlT_T0_E_clISt17integral_constantIbLb0EESV_IbLb1EEEEDaSR_SS_EUlSR_E_NS1_11comp_targetILNS1_3genE10ELNS1_11target_archE1200ELNS1_3gpuE4ELNS1_3repE0EEENS1_30default_config_static_selectorELNS0_4arch9wavefront6targetE1EEEvT1_
		.amdhsa_group_segment_fixed_size 0
		.amdhsa_private_segment_fixed_size 0
		.amdhsa_kernarg_size 96
		.amdhsa_user_sgpr_count 6
		.amdhsa_user_sgpr_private_segment_buffer 1
		.amdhsa_user_sgpr_dispatch_ptr 0
		.amdhsa_user_sgpr_queue_ptr 0
		.amdhsa_user_sgpr_kernarg_segment_ptr 1
		.amdhsa_user_sgpr_dispatch_id 0
		.amdhsa_user_sgpr_flat_scratch_init 0
		.amdhsa_user_sgpr_kernarg_preload_length 0
		.amdhsa_user_sgpr_kernarg_preload_offset 0
		.amdhsa_user_sgpr_private_segment_size 0
		.amdhsa_uses_dynamic_stack 0
		.amdhsa_system_sgpr_private_segment_wavefront_offset 0
		.amdhsa_system_sgpr_workgroup_id_x 1
		.amdhsa_system_sgpr_workgroup_id_y 0
		.amdhsa_system_sgpr_workgroup_id_z 0
		.amdhsa_system_sgpr_workgroup_info 0
		.amdhsa_system_vgpr_workitem_id 0
		.amdhsa_next_free_vgpr 1
		.amdhsa_next_free_sgpr 0
		.amdhsa_accum_offset 4
		.amdhsa_reserve_vcc 0
		.amdhsa_reserve_flat_scratch 0
		.amdhsa_float_round_mode_32 0
		.amdhsa_float_round_mode_16_64 0
		.amdhsa_float_denorm_mode_32 3
		.amdhsa_float_denorm_mode_16_64 3
		.amdhsa_dx10_clamp 1
		.amdhsa_ieee_mode 1
		.amdhsa_fp16_overflow 0
		.amdhsa_tg_split 0
		.amdhsa_exception_fp_ieee_invalid_op 0
		.amdhsa_exception_fp_denorm_src 0
		.amdhsa_exception_fp_ieee_div_zero 0
		.amdhsa_exception_fp_ieee_overflow 0
		.amdhsa_exception_fp_ieee_underflow 0
		.amdhsa_exception_fp_ieee_inexact 0
		.amdhsa_exception_int_div_zero 0
	.end_amdhsa_kernel
	.section	.text._ZN7rocprim17ROCPRIM_400000_NS6detail17trampoline_kernelINS0_14default_configENS1_20scan_config_selectorIfEEZZNS1_9scan_implILNS1_25lookback_scan_determinismE0ELb1ELb1ES3_N6thrust23THRUST_200600_302600_NS6detail15normal_iteratorINS9_10device_ptrIfEEEENSB_INSC_IiEEEEfNS9_4plusIvEEfEEDaPvRmT3_T4_T5_mT6_P12ihipStream_tbENKUlT_T0_E_clISt17integral_constantIbLb0EESV_IbLb1EEEEDaSR_SS_EUlSR_E_NS1_11comp_targetILNS1_3genE10ELNS1_11target_archE1200ELNS1_3gpuE4ELNS1_3repE0EEENS1_30default_config_static_selectorELNS0_4arch9wavefront6targetE1EEEvT1_,"axG",@progbits,_ZN7rocprim17ROCPRIM_400000_NS6detail17trampoline_kernelINS0_14default_configENS1_20scan_config_selectorIfEEZZNS1_9scan_implILNS1_25lookback_scan_determinismE0ELb1ELb1ES3_N6thrust23THRUST_200600_302600_NS6detail15normal_iteratorINS9_10device_ptrIfEEEENSB_INSC_IiEEEEfNS9_4plusIvEEfEEDaPvRmT3_T4_T5_mT6_P12ihipStream_tbENKUlT_T0_E_clISt17integral_constantIbLb0EESV_IbLb1EEEEDaSR_SS_EUlSR_E_NS1_11comp_targetILNS1_3genE10ELNS1_11target_archE1200ELNS1_3gpuE4ELNS1_3repE0EEENS1_30default_config_static_selectorELNS0_4arch9wavefront6targetE1EEEvT1_,comdat
.Lfunc_end1629:
	.size	_ZN7rocprim17ROCPRIM_400000_NS6detail17trampoline_kernelINS0_14default_configENS1_20scan_config_selectorIfEEZZNS1_9scan_implILNS1_25lookback_scan_determinismE0ELb1ELb1ES3_N6thrust23THRUST_200600_302600_NS6detail15normal_iteratorINS9_10device_ptrIfEEEENSB_INSC_IiEEEEfNS9_4plusIvEEfEEDaPvRmT3_T4_T5_mT6_P12ihipStream_tbENKUlT_T0_E_clISt17integral_constantIbLb0EESV_IbLb1EEEEDaSR_SS_EUlSR_E_NS1_11comp_targetILNS1_3genE10ELNS1_11target_archE1200ELNS1_3gpuE4ELNS1_3repE0EEENS1_30default_config_static_selectorELNS0_4arch9wavefront6targetE1EEEvT1_, .Lfunc_end1629-_ZN7rocprim17ROCPRIM_400000_NS6detail17trampoline_kernelINS0_14default_configENS1_20scan_config_selectorIfEEZZNS1_9scan_implILNS1_25lookback_scan_determinismE0ELb1ELb1ES3_N6thrust23THRUST_200600_302600_NS6detail15normal_iteratorINS9_10device_ptrIfEEEENSB_INSC_IiEEEEfNS9_4plusIvEEfEEDaPvRmT3_T4_T5_mT6_P12ihipStream_tbENKUlT_T0_E_clISt17integral_constantIbLb0EESV_IbLb1EEEEDaSR_SS_EUlSR_E_NS1_11comp_targetILNS1_3genE10ELNS1_11target_archE1200ELNS1_3gpuE4ELNS1_3repE0EEENS1_30default_config_static_selectorELNS0_4arch9wavefront6targetE1EEEvT1_
                                        ; -- End function
	.section	.AMDGPU.csdata,"",@progbits
; Kernel info:
; codeLenInByte = 0
; NumSgprs: 4
; NumVgprs: 0
; NumAgprs: 0
; TotalNumVgprs: 0
; ScratchSize: 0
; MemoryBound: 0
; FloatMode: 240
; IeeeMode: 1
; LDSByteSize: 0 bytes/workgroup (compile time only)
; SGPRBlocks: 0
; VGPRBlocks: 0
; NumSGPRsForWavesPerEU: 4
; NumVGPRsForWavesPerEU: 1
; AccumOffset: 4
; Occupancy: 8
; WaveLimiterHint : 0
; COMPUTE_PGM_RSRC2:SCRATCH_EN: 0
; COMPUTE_PGM_RSRC2:USER_SGPR: 6
; COMPUTE_PGM_RSRC2:TRAP_HANDLER: 0
; COMPUTE_PGM_RSRC2:TGID_X_EN: 1
; COMPUTE_PGM_RSRC2:TGID_Y_EN: 0
; COMPUTE_PGM_RSRC2:TGID_Z_EN: 0
; COMPUTE_PGM_RSRC2:TIDIG_COMP_CNT: 0
; COMPUTE_PGM_RSRC3_GFX90A:ACCUM_OFFSET: 0
; COMPUTE_PGM_RSRC3_GFX90A:TG_SPLIT: 0
	.section	.text._ZN7rocprim17ROCPRIM_400000_NS6detail17trampoline_kernelINS0_14default_configENS1_20scan_config_selectorIfEEZZNS1_9scan_implILNS1_25lookback_scan_determinismE0ELb1ELb1ES3_N6thrust23THRUST_200600_302600_NS6detail15normal_iteratorINS9_10device_ptrIfEEEENSB_INSC_IiEEEEfNS9_4plusIvEEfEEDaPvRmT3_T4_T5_mT6_P12ihipStream_tbENKUlT_T0_E_clISt17integral_constantIbLb0EESV_IbLb1EEEEDaSR_SS_EUlSR_E_NS1_11comp_targetILNS1_3genE9ELNS1_11target_archE1100ELNS1_3gpuE3ELNS1_3repE0EEENS1_30default_config_static_selectorELNS0_4arch9wavefront6targetE1EEEvT1_,"axG",@progbits,_ZN7rocprim17ROCPRIM_400000_NS6detail17trampoline_kernelINS0_14default_configENS1_20scan_config_selectorIfEEZZNS1_9scan_implILNS1_25lookback_scan_determinismE0ELb1ELb1ES3_N6thrust23THRUST_200600_302600_NS6detail15normal_iteratorINS9_10device_ptrIfEEEENSB_INSC_IiEEEEfNS9_4plusIvEEfEEDaPvRmT3_T4_T5_mT6_P12ihipStream_tbENKUlT_T0_E_clISt17integral_constantIbLb0EESV_IbLb1EEEEDaSR_SS_EUlSR_E_NS1_11comp_targetILNS1_3genE9ELNS1_11target_archE1100ELNS1_3gpuE3ELNS1_3repE0EEENS1_30default_config_static_selectorELNS0_4arch9wavefront6targetE1EEEvT1_,comdat
	.protected	_ZN7rocprim17ROCPRIM_400000_NS6detail17trampoline_kernelINS0_14default_configENS1_20scan_config_selectorIfEEZZNS1_9scan_implILNS1_25lookback_scan_determinismE0ELb1ELb1ES3_N6thrust23THRUST_200600_302600_NS6detail15normal_iteratorINS9_10device_ptrIfEEEENSB_INSC_IiEEEEfNS9_4plusIvEEfEEDaPvRmT3_T4_T5_mT6_P12ihipStream_tbENKUlT_T0_E_clISt17integral_constantIbLb0EESV_IbLb1EEEEDaSR_SS_EUlSR_E_NS1_11comp_targetILNS1_3genE9ELNS1_11target_archE1100ELNS1_3gpuE3ELNS1_3repE0EEENS1_30default_config_static_selectorELNS0_4arch9wavefront6targetE1EEEvT1_ ; -- Begin function _ZN7rocprim17ROCPRIM_400000_NS6detail17trampoline_kernelINS0_14default_configENS1_20scan_config_selectorIfEEZZNS1_9scan_implILNS1_25lookback_scan_determinismE0ELb1ELb1ES3_N6thrust23THRUST_200600_302600_NS6detail15normal_iteratorINS9_10device_ptrIfEEEENSB_INSC_IiEEEEfNS9_4plusIvEEfEEDaPvRmT3_T4_T5_mT6_P12ihipStream_tbENKUlT_T0_E_clISt17integral_constantIbLb0EESV_IbLb1EEEEDaSR_SS_EUlSR_E_NS1_11comp_targetILNS1_3genE9ELNS1_11target_archE1100ELNS1_3gpuE3ELNS1_3repE0EEENS1_30default_config_static_selectorELNS0_4arch9wavefront6targetE1EEEvT1_
	.globl	_ZN7rocprim17ROCPRIM_400000_NS6detail17trampoline_kernelINS0_14default_configENS1_20scan_config_selectorIfEEZZNS1_9scan_implILNS1_25lookback_scan_determinismE0ELb1ELb1ES3_N6thrust23THRUST_200600_302600_NS6detail15normal_iteratorINS9_10device_ptrIfEEEENSB_INSC_IiEEEEfNS9_4plusIvEEfEEDaPvRmT3_T4_T5_mT6_P12ihipStream_tbENKUlT_T0_E_clISt17integral_constantIbLb0EESV_IbLb1EEEEDaSR_SS_EUlSR_E_NS1_11comp_targetILNS1_3genE9ELNS1_11target_archE1100ELNS1_3gpuE3ELNS1_3repE0EEENS1_30default_config_static_selectorELNS0_4arch9wavefront6targetE1EEEvT1_
	.p2align	8
	.type	_ZN7rocprim17ROCPRIM_400000_NS6detail17trampoline_kernelINS0_14default_configENS1_20scan_config_selectorIfEEZZNS1_9scan_implILNS1_25lookback_scan_determinismE0ELb1ELb1ES3_N6thrust23THRUST_200600_302600_NS6detail15normal_iteratorINS9_10device_ptrIfEEEENSB_INSC_IiEEEEfNS9_4plusIvEEfEEDaPvRmT3_T4_T5_mT6_P12ihipStream_tbENKUlT_T0_E_clISt17integral_constantIbLb0EESV_IbLb1EEEEDaSR_SS_EUlSR_E_NS1_11comp_targetILNS1_3genE9ELNS1_11target_archE1100ELNS1_3gpuE3ELNS1_3repE0EEENS1_30default_config_static_selectorELNS0_4arch9wavefront6targetE1EEEvT1_,@function
_ZN7rocprim17ROCPRIM_400000_NS6detail17trampoline_kernelINS0_14default_configENS1_20scan_config_selectorIfEEZZNS1_9scan_implILNS1_25lookback_scan_determinismE0ELb1ELb1ES3_N6thrust23THRUST_200600_302600_NS6detail15normal_iteratorINS9_10device_ptrIfEEEENSB_INSC_IiEEEEfNS9_4plusIvEEfEEDaPvRmT3_T4_T5_mT6_P12ihipStream_tbENKUlT_T0_E_clISt17integral_constantIbLb0EESV_IbLb1EEEEDaSR_SS_EUlSR_E_NS1_11comp_targetILNS1_3genE9ELNS1_11target_archE1100ELNS1_3gpuE3ELNS1_3repE0EEENS1_30default_config_static_selectorELNS0_4arch9wavefront6targetE1EEEvT1_: ; @_ZN7rocprim17ROCPRIM_400000_NS6detail17trampoline_kernelINS0_14default_configENS1_20scan_config_selectorIfEEZZNS1_9scan_implILNS1_25lookback_scan_determinismE0ELb1ELb1ES3_N6thrust23THRUST_200600_302600_NS6detail15normal_iteratorINS9_10device_ptrIfEEEENSB_INSC_IiEEEEfNS9_4plusIvEEfEEDaPvRmT3_T4_T5_mT6_P12ihipStream_tbENKUlT_T0_E_clISt17integral_constantIbLb0EESV_IbLb1EEEEDaSR_SS_EUlSR_E_NS1_11comp_targetILNS1_3genE9ELNS1_11target_archE1100ELNS1_3gpuE3ELNS1_3repE0EEENS1_30default_config_static_selectorELNS0_4arch9wavefront6targetE1EEEvT1_
; %bb.0:
	.section	.rodata,"a",@progbits
	.p2align	6, 0x0
	.amdhsa_kernel _ZN7rocprim17ROCPRIM_400000_NS6detail17trampoline_kernelINS0_14default_configENS1_20scan_config_selectorIfEEZZNS1_9scan_implILNS1_25lookback_scan_determinismE0ELb1ELb1ES3_N6thrust23THRUST_200600_302600_NS6detail15normal_iteratorINS9_10device_ptrIfEEEENSB_INSC_IiEEEEfNS9_4plusIvEEfEEDaPvRmT3_T4_T5_mT6_P12ihipStream_tbENKUlT_T0_E_clISt17integral_constantIbLb0EESV_IbLb1EEEEDaSR_SS_EUlSR_E_NS1_11comp_targetILNS1_3genE9ELNS1_11target_archE1100ELNS1_3gpuE3ELNS1_3repE0EEENS1_30default_config_static_selectorELNS0_4arch9wavefront6targetE1EEEvT1_
		.amdhsa_group_segment_fixed_size 0
		.amdhsa_private_segment_fixed_size 0
		.amdhsa_kernarg_size 96
		.amdhsa_user_sgpr_count 6
		.amdhsa_user_sgpr_private_segment_buffer 1
		.amdhsa_user_sgpr_dispatch_ptr 0
		.amdhsa_user_sgpr_queue_ptr 0
		.amdhsa_user_sgpr_kernarg_segment_ptr 1
		.amdhsa_user_sgpr_dispatch_id 0
		.amdhsa_user_sgpr_flat_scratch_init 0
		.amdhsa_user_sgpr_kernarg_preload_length 0
		.amdhsa_user_sgpr_kernarg_preload_offset 0
		.amdhsa_user_sgpr_private_segment_size 0
		.amdhsa_uses_dynamic_stack 0
		.amdhsa_system_sgpr_private_segment_wavefront_offset 0
		.amdhsa_system_sgpr_workgroup_id_x 1
		.amdhsa_system_sgpr_workgroup_id_y 0
		.amdhsa_system_sgpr_workgroup_id_z 0
		.amdhsa_system_sgpr_workgroup_info 0
		.amdhsa_system_vgpr_workitem_id 0
		.amdhsa_next_free_vgpr 1
		.amdhsa_next_free_sgpr 0
		.amdhsa_accum_offset 4
		.amdhsa_reserve_vcc 0
		.amdhsa_reserve_flat_scratch 0
		.amdhsa_float_round_mode_32 0
		.amdhsa_float_round_mode_16_64 0
		.amdhsa_float_denorm_mode_32 3
		.amdhsa_float_denorm_mode_16_64 3
		.amdhsa_dx10_clamp 1
		.amdhsa_ieee_mode 1
		.amdhsa_fp16_overflow 0
		.amdhsa_tg_split 0
		.amdhsa_exception_fp_ieee_invalid_op 0
		.amdhsa_exception_fp_denorm_src 0
		.amdhsa_exception_fp_ieee_div_zero 0
		.amdhsa_exception_fp_ieee_overflow 0
		.amdhsa_exception_fp_ieee_underflow 0
		.amdhsa_exception_fp_ieee_inexact 0
		.amdhsa_exception_int_div_zero 0
	.end_amdhsa_kernel
	.section	.text._ZN7rocprim17ROCPRIM_400000_NS6detail17trampoline_kernelINS0_14default_configENS1_20scan_config_selectorIfEEZZNS1_9scan_implILNS1_25lookback_scan_determinismE0ELb1ELb1ES3_N6thrust23THRUST_200600_302600_NS6detail15normal_iteratorINS9_10device_ptrIfEEEENSB_INSC_IiEEEEfNS9_4plusIvEEfEEDaPvRmT3_T4_T5_mT6_P12ihipStream_tbENKUlT_T0_E_clISt17integral_constantIbLb0EESV_IbLb1EEEEDaSR_SS_EUlSR_E_NS1_11comp_targetILNS1_3genE9ELNS1_11target_archE1100ELNS1_3gpuE3ELNS1_3repE0EEENS1_30default_config_static_selectorELNS0_4arch9wavefront6targetE1EEEvT1_,"axG",@progbits,_ZN7rocprim17ROCPRIM_400000_NS6detail17trampoline_kernelINS0_14default_configENS1_20scan_config_selectorIfEEZZNS1_9scan_implILNS1_25lookback_scan_determinismE0ELb1ELb1ES3_N6thrust23THRUST_200600_302600_NS6detail15normal_iteratorINS9_10device_ptrIfEEEENSB_INSC_IiEEEEfNS9_4plusIvEEfEEDaPvRmT3_T4_T5_mT6_P12ihipStream_tbENKUlT_T0_E_clISt17integral_constantIbLb0EESV_IbLb1EEEEDaSR_SS_EUlSR_E_NS1_11comp_targetILNS1_3genE9ELNS1_11target_archE1100ELNS1_3gpuE3ELNS1_3repE0EEENS1_30default_config_static_selectorELNS0_4arch9wavefront6targetE1EEEvT1_,comdat
.Lfunc_end1630:
	.size	_ZN7rocprim17ROCPRIM_400000_NS6detail17trampoline_kernelINS0_14default_configENS1_20scan_config_selectorIfEEZZNS1_9scan_implILNS1_25lookback_scan_determinismE0ELb1ELb1ES3_N6thrust23THRUST_200600_302600_NS6detail15normal_iteratorINS9_10device_ptrIfEEEENSB_INSC_IiEEEEfNS9_4plusIvEEfEEDaPvRmT3_T4_T5_mT6_P12ihipStream_tbENKUlT_T0_E_clISt17integral_constantIbLb0EESV_IbLb1EEEEDaSR_SS_EUlSR_E_NS1_11comp_targetILNS1_3genE9ELNS1_11target_archE1100ELNS1_3gpuE3ELNS1_3repE0EEENS1_30default_config_static_selectorELNS0_4arch9wavefront6targetE1EEEvT1_, .Lfunc_end1630-_ZN7rocprim17ROCPRIM_400000_NS6detail17trampoline_kernelINS0_14default_configENS1_20scan_config_selectorIfEEZZNS1_9scan_implILNS1_25lookback_scan_determinismE0ELb1ELb1ES3_N6thrust23THRUST_200600_302600_NS6detail15normal_iteratorINS9_10device_ptrIfEEEENSB_INSC_IiEEEEfNS9_4plusIvEEfEEDaPvRmT3_T4_T5_mT6_P12ihipStream_tbENKUlT_T0_E_clISt17integral_constantIbLb0EESV_IbLb1EEEEDaSR_SS_EUlSR_E_NS1_11comp_targetILNS1_3genE9ELNS1_11target_archE1100ELNS1_3gpuE3ELNS1_3repE0EEENS1_30default_config_static_selectorELNS0_4arch9wavefront6targetE1EEEvT1_
                                        ; -- End function
	.section	.AMDGPU.csdata,"",@progbits
; Kernel info:
; codeLenInByte = 0
; NumSgprs: 4
; NumVgprs: 0
; NumAgprs: 0
; TotalNumVgprs: 0
; ScratchSize: 0
; MemoryBound: 0
; FloatMode: 240
; IeeeMode: 1
; LDSByteSize: 0 bytes/workgroup (compile time only)
; SGPRBlocks: 0
; VGPRBlocks: 0
; NumSGPRsForWavesPerEU: 4
; NumVGPRsForWavesPerEU: 1
; AccumOffset: 4
; Occupancy: 8
; WaveLimiterHint : 0
; COMPUTE_PGM_RSRC2:SCRATCH_EN: 0
; COMPUTE_PGM_RSRC2:USER_SGPR: 6
; COMPUTE_PGM_RSRC2:TRAP_HANDLER: 0
; COMPUTE_PGM_RSRC2:TGID_X_EN: 1
; COMPUTE_PGM_RSRC2:TGID_Y_EN: 0
; COMPUTE_PGM_RSRC2:TGID_Z_EN: 0
; COMPUTE_PGM_RSRC2:TIDIG_COMP_CNT: 0
; COMPUTE_PGM_RSRC3_GFX90A:ACCUM_OFFSET: 0
; COMPUTE_PGM_RSRC3_GFX90A:TG_SPLIT: 0
	.section	.text._ZN7rocprim17ROCPRIM_400000_NS6detail17trampoline_kernelINS0_14default_configENS1_20scan_config_selectorIfEEZZNS1_9scan_implILNS1_25lookback_scan_determinismE0ELb1ELb1ES3_N6thrust23THRUST_200600_302600_NS6detail15normal_iteratorINS9_10device_ptrIfEEEENSB_INSC_IiEEEEfNS9_4plusIvEEfEEDaPvRmT3_T4_T5_mT6_P12ihipStream_tbENKUlT_T0_E_clISt17integral_constantIbLb0EESV_IbLb1EEEEDaSR_SS_EUlSR_E_NS1_11comp_targetILNS1_3genE8ELNS1_11target_archE1030ELNS1_3gpuE2ELNS1_3repE0EEENS1_30default_config_static_selectorELNS0_4arch9wavefront6targetE1EEEvT1_,"axG",@progbits,_ZN7rocprim17ROCPRIM_400000_NS6detail17trampoline_kernelINS0_14default_configENS1_20scan_config_selectorIfEEZZNS1_9scan_implILNS1_25lookback_scan_determinismE0ELb1ELb1ES3_N6thrust23THRUST_200600_302600_NS6detail15normal_iteratorINS9_10device_ptrIfEEEENSB_INSC_IiEEEEfNS9_4plusIvEEfEEDaPvRmT3_T4_T5_mT6_P12ihipStream_tbENKUlT_T0_E_clISt17integral_constantIbLb0EESV_IbLb1EEEEDaSR_SS_EUlSR_E_NS1_11comp_targetILNS1_3genE8ELNS1_11target_archE1030ELNS1_3gpuE2ELNS1_3repE0EEENS1_30default_config_static_selectorELNS0_4arch9wavefront6targetE1EEEvT1_,comdat
	.protected	_ZN7rocprim17ROCPRIM_400000_NS6detail17trampoline_kernelINS0_14default_configENS1_20scan_config_selectorIfEEZZNS1_9scan_implILNS1_25lookback_scan_determinismE0ELb1ELb1ES3_N6thrust23THRUST_200600_302600_NS6detail15normal_iteratorINS9_10device_ptrIfEEEENSB_INSC_IiEEEEfNS9_4plusIvEEfEEDaPvRmT3_T4_T5_mT6_P12ihipStream_tbENKUlT_T0_E_clISt17integral_constantIbLb0EESV_IbLb1EEEEDaSR_SS_EUlSR_E_NS1_11comp_targetILNS1_3genE8ELNS1_11target_archE1030ELNS1_3gpuE2ELNS1_3repE0EEENS1_30default_config_static_selectorELNS0_4arch9wavefront6targetE1EEEvT1_ ; -- Begin function _ZN7rocprim17ROCPRIM_400000_NS6detail17trampoline_kernelINS0_14default_configENS1_20scan_config_selectorIfEEZZNS1_9scan_implILNS1_25lookback_scan_determinismE0ELb1ELb1ES3_N6thrust23THRUST_200600_302600_NS6detail15normal_iteratorINS9_10device_ptrIfEEEENSB_INSC_IiEEEEfNS9_4plusIvEEfEEDaPvRmT3_T4_T5_mT6_P12ihipStream_tbENKUlT_T0_E_clISt17integral_constantIbLb0EESV_IbLb1EEEEDaSR_SS_EUlSR_E_NS1_11comp_targetILNS1_3genE8ELNS1_11target_archE1030ELNS1_3gpuE2ELNS1_3repE0EEENS1_30default_config_static_selectorELNS0_4arch9wavefront6targetE1EEEvT1_
	.globl	_ZN7rocprim17ROCPRIM_400000_NS6detail17trampoline_kernelINS0_14default_configENS1_20scan_config_selectorIfEEZZNS1_9scan_implILNS1_25lookback_scan_determinismE0ELb1ELb1ES3_N6thrust23THRUST_200600_302600_NS6detail15normal_iteratorINS9_10device_ptrIfEEEENSB_INSC_IiEEEEfNS9_4plusIvEEfEEDaPvRmT3_T4_T5_mT6_P12ihipStream_tbENKUlT_T0_E_clISt17integral_constantIbLb0EESV_IbLb1EEEEDaSR_SS_EUlSR_E_NS1_11comp_targetILNS1_3genE8ELNS1_11target_archE1030ELNS1_3gpuE2ELNS1_3repE0EEENS1_30default_config_static_selectorELNS0_4arch9wavefront6targetE1EEEvT1_
	.p2align	8
	.type	_ZN7rocprim17ROCPRIM_400000_NS6detail17trampoline_kernelINS0_14default_configENS1_20scan_config_selectorIfEEZZNS1_9scan_implILNS1_25lookback_scan_determinismE0ELb1ELb1ES3_N6thrust23THRUST_200600_302600_NS6detail15normal_iteratorINS9_10device_ptrIfEEEENSB_INSC_IiEEEEfNS9_4plusIvEEfEEDaPvRmT3_T4_T5_mT6_P12ihipStream_tbENKUlT_T0_E_clISt17integral_constantIbLb0EESV_IbLb1EEEEDaSR_SS_EUlSR_E_NS1_11comp_targetILNS1_3genE8ELNS1_11target_archE1030ELNS1_3gpuE2ELNS1_3repE0EEENS1_30default_config_static_selectorELNS0_4arch9wavefront6targetE1EEEvT1_,@function
_ZN7rocprim17ROCPRIM_400000_NS6detail17trampoline_kernelINS0_14default_configENS1_20scan_config_selectorIfEEZZNS1_9scan_implILNS1_25lookback_scan_determinismE0ELb1ELb1ES3_N6thrust23THRUST_200600_302600_NS6detail15normal_iteratorINS9_10device_ptrIfEEEENSB_INSC_IiEEEEfNS9_4plusIvEEfEEDaPvRmT3_T4_T5_mT6_P12ihipStream_tbENKUlT_T0_E_clISt17integral_constantIbLb0EESV_IbLb1EEEEDaSR_SS_EUlSR_E_NS1_11comp_targetILNS1_3genE8ELNS1_11target_archE1030ELNS1_3gpuE2ELNS1_3repE0EEENS1_30default_config_static_selectorELNS0_4arch9wavefront6targetE1EEEvT1_: ; @_ZN7rocprim17ROCPRIM_400000_NS6detail17trampoline_kernelINS0_14default_configENS1_20scan_config_selectorIfEEZZNS1_9scan_implILNS1_25lookback_scan_determinismE0ELb1ELb1ES3_N6thrust23THRUST_200600_302600_NS6detail15normal_iteratorINS9_10device_ptrIfEEEENSB_INSC_IiEEEEfNS9_4plusIvEEfEEDaPvRmT3_T4_T5_mT6_P12ihipStream_tbENKUlT_T0_E_clISt17integral_constantIbLb0EESV_IbLb1EEEEDaSR_SS_EUlSR_E_NS1_11comp_targetILNS1_3genE8ELNS1_11target_archE1030ELNS1_3gpuE2ELNS1_3repE0EEENS1_30default_config_static_selectorELNS0_4arch9wavefront6targetE1EEEvT1_
; %bb.0:
	.section	.rodata,"a",@progbits
	.p2align	6, 0x0
	.amdhsa_kernel _ZN7rocprim17ROCPRIM_400000_NS6detail17trampoline_kernelINS0_14default_configENS1_20scan_config_selectorIfEEZZNS1_9scan_implILNS1_25lookback_scan_determinismE0ELb1ELb1ES3_N6thrust23THRUST_200600_302600_NS6detail15normal_iteratorINS9_10device_ptrIfEEEENSB_INSC_IiEEEEfNS9_4plusIvEEfEEDaPvRmT3_T4_T5_mT6_P12ihipStream_tbENKUlT_T0_E_clISt17integral_constantIbLb0EESV_IbLb1EEEEDaSR_SS_EUlSR_E_NS1_11comp_targetILNS1_3genE8ELNS1_11target_archE1030ELNS1_3gpuE2ELNS1_3repE0EEENS1_30default_config_static_selectorELNS0_4arch9wavefront6targetE1EEEvT1_
		.amdhsa_group_segment_fixed_size 0
		.amdhsa_private_segment_fixed_size 0
		.amdhsa_kernarg_size 96
		.amdhsa_user_sgpr_count 6
		.amdhsa_user_sgpr_private_segment_buffer 1
		.amdhsa_user_sgpr_dispatch_ptr 0
		.amdhsa_user_sgpr_queue_ptr 0
		.amdhsa_user_sgpr_kernarg_segment_ptr 1
		.amdhsa_user_sgpr_dispatch_id 0
		.amdhsa_user_sgpr_flat_scratch_init 0
		.amdhsa_user_sgpr_kernarg_preload_length 0
		.amdhsa_user_sgpr_kernarg_preload_offset 0
		.amdhsa_user_sgpr_private_segment_size 0
		.amdhsa_uses_dynamic_stack 0
		.amdhsa_system_sgpr_private_segment_wavefront_offset 0
		.amdhsa_system_sgpr_workgroup_id_x 1
		.amdhsa_system_sgpr_workgroup_id_y 0
		.amdhsa_system_sgpr_workgroup_id_z 0
		.amdhsa_system_sgpr_workgroup_info 0
		.amdhsa_system_vgpr_workitem_id 0
		.amdhsa_next_free_vgpr 1
		.amdhsa_next_free_sgpr 0
		.amdhsa_accum_offset 4
		.amdhsa_reserve_vcc 0
		.amdhsa_reserve_flat_scratch 0
		.amdhsa_float_round_mode_32 0
		.amdhsa_float_round_mode_16_64 0
		.amdhsa_float_denorm_mode_32 3
		.amdhsa_float_denorm_mode_16_64 3
		.amdhsa_dx10_clamp 1
		.amdhsa_ieee_mode 1
		.amdhsa_fp16_overflow 0
		.amdhsa_tg_split 0
		.amdhsa_exception_fp_ieee_invalid_op 0
		.amdhsa_exception_fp_denorm_src 0
		.amdhsa_exception_fp_ieee_div_zero 0
		.amdhsa_exception_fp_ieee_overflow 0
		.amdhsa_exception_fp_ieee_underflow 0
		.amdhsa_exception_fp_ieee_inexact 0
		.amdhsa_exception_int_div_zero 0
	.end_amdhsa_kernel
	.section	.text._ZN7rocprim17ROCPRIM_400000_NS6detail17trampoline_kernelINS0_14default_configENS1_20scan_config_selectorIfEEZZNS1_9scan_implILNS1_25lookback_scan_determinismE0ELb1ELb1ES3_N6thrust23THRUST_200600_302600_NS6detail15normal_iteratorINS9_10device_ptrIfEEEENSB_INSC_IiEEEEfNS9_4plusIvEEfEEDaPvRmT3_T4_T5_mT6_P12ihipStream_tbENKUlT_T0_E_clISt17integral_constantIbLb0EESV_IbLb1EEEEDaSR_SS_EUlSR_E_NS1_11comp_targetILNS1_3genE8ELNS1_11target_archE1030ELNS1_3gpuE2ELNS1_3repE0EEENS1_30default_config_static_selectorELNS0_4arch9wavefront6targetE1EEEvT1_,"axG",@progbits,_ZN7rocprim17ROCPRIM_400000_NS6detail17trampoline_kernelINS0_14default_configENS1_20scan_config_selectorIfEEZZNS1_9scan_implILNS1_25lookback_scan_determinismE0ELb1ELb1ES3_N6thrust23THRUST_200600_302600_NS6detail15normal_iteratorINS9_10device_ptrIfEEEENSB_INSC_IiEEEEfNS9_4plusIvEEfEEDaPvRmT3_T4_T5_mT6_P12ihipStream_tbENKUlT_T0_E_clISt17integral_constantIbLb0EESV_IbLb1EEEEDaSR_SS_EUlSR_E_NS1_11comp_targetILNS1_3genE8ELNS1_11target_archE1030ELNS1_3gpuE2ELNS1_3repE0EEENS1_30default_config_static_selectorELNS0_4arch9wavefront6targetE1EEEvT1_,comdat
.Lfunc_end1631:
	.size	_ZN7rocprim17ROCPRIM_400000_NS6detail17trampoline_kernelINS0_14default_configENS1_20scan_config_selectorIfEEZZNS1_9scan_implILNS1_25lookback_scan_determinismE0ELb1ELb1ES3_N6thrust23THRUST_200600_302600_NS6detail15normal_iteratorINS9_10device_ptrIfEEEENSB_INSC_IiEEEEfNS9_4plusIvEEfEEDaPvRmT3_T4_T5_mT6_P12ihipStream_tbENKUlT_T0_E_clISt17integral_constantIbLb0EESV_IbLb1EEEEDaSR_SS_EUlSR_E_NS1_11comp_targetILNS1_3genE8ELNS1_11target_archE1030ELNS1_3gpuE2ELNS1_3repE0EEENS1_30default_config_static_selectorELNS0_4arch9wavefront6targetE1EEEvT1_, .Lfunc_end1631-_ZN7rocprim17ROCPRIM_400000_NS6detail17trampoline_kernelINS0_14default_configENS1_20scan_config_selectorIfEEZZNS1_9scan_implILNS1_25lookback_scan_determinismE0ELb1ELb1ES3_N6thrust23THRUST_200600_302600_NS6detail15normal_iteratorINS9_10device_ptrIfEEEENSB_INSC_IiEEEEfNS9_4plusIvEEfEEDaPvRmT3_T4_T5_mT6_P12ihipStream_tbENKUlT_T0_E_clISt17integral_constantIbLb0EESV_IbLb1EEEEDaSR_SS_EUlSR_E_NS1_11comp_targetILNS1_3genE8ELNS1_11target_archE1030ELNS1_3gpuE2ELNS1_3repE0EEENS1_30default_config_static_selectorELNS0_4arch9wavefront6targetE1EEEvT1_
                                        ; -- End function
	.section	.AMDGPU.csdata,"",@progbits
; Kernel info:
; codeLenInByte = 0
; NumSgprs: 4
; NumVgprs: 0
; NumAgprs: 0
; TotalNumVgprs: 0
; ScratchSize: 0
; MemoryBound: 0
; FloatMode: 240
; IeeeMode: 1
; LDSByteSize: 0 bytes/workgroup (compile time only)
; SGPRBlocks: 0
; VGPRBlocks: 0
; NumSGPRsForWavesPerEU: 4
; NumVGPRsForWavesPerEU: 1
; AccumOffset: 4
; Occupancy: 8
; WaveLimiterHint : 0
; COMPUTE_PGM_RSRC2:SCRATCH_EN: 0
; COMPUTE_PGM_RSRC2:USER_SGPR: 6
; COMPUTE_PGM_RSRC2:TRAP_HANDLER: 0
; COMPUTE_PGM_RSRC2:TGID_X_EN: 1
; COMPUTE_PGM_RSRC2:TGID_Y_EN: 0
; COMPUTE_PGM_RSRC2:TGID_Z_EN: 0
; COMPUTE_PGM_RSRC2:TIDIG_COMP_CNT: 0
; COMPUTE_PGM_RSRC3_GFX90A:ACCUM_OFFSET: 0
; COMPUTE_PGM_RSRC3_GFX90A:TG_SPLIT: 0
	.section	.text._ZN7rocprim17ROCPRIM_400000_NS6detail17trampoline_kernelINS0_14default_configENS1_20scan_config_selectorIfEEZZNS1_9scan_implILNS1_25lookback_scan_determinismE0ELb1ELb1ES3_N6thrust23THRUST_200600_302600_NS6detail15normal_iteratorINS9_10device_ptrIfEEEENSB_INSC_IiEEEEfNS9_4plusIvEEfEEDaPvRmT3_T4_T5_mT6_P12ihipStream_tbENKUlT_T0_E_clISt17integral_constantIbLb0EESV_IbLb1EEEEDaSR_SS_EUlSR_E0_NS1_11comp_targetILNS1_3genE0ELNS1_11target_archE4294967295ELNS1_3gpuE0ELNS1_3repE0EEENS1_30default_config_static_selectorELNS0_4arch9wavefront6targetE1EEEvT1_,"axG",@progbits,_ZN7rocprim17ROCPRIM_400000_NS6detail17trampoline_kernelINS0_14default_configENS1_20scan_config_selectorIfEEZZNS1_9scan_implILNS1_25lookback_scan_determinismE0ELb1ELb1ES3_N6thrust23THRUST_200600_302600_NS6detail15normal_iteratorINS9_10device_ptrIfEEEENSB_INSC_IiEEEEfNS9_4plusIvEEfEEDaPvRmT3_T4_T5_mT6_P12ihipStream_tbENKUlT_T0_E_clISt17integral_constantIbLb0EESV_IbLb1EEEEDaSR_SS_EUlSR_E0_NS1_11comp_targetILNS1_3genE0ELNS1_11target_archE4294967295ELNS1_3gpuE0ELNS1_3repE0EEENS1_30default_config_static_selectorELNS0_4arch9wavefront6targetE1EEEvT1_,comdat
	.protected	_ZN7rocprim17ROCPRIM_400000_NS6detail17trampoline_kernelINS0_14default_configENS1_20scan_config_selectorIfEEZZNS1_9scan_implILNS1_25lookback_scan_determinismE0ELb1ELb1ES3_N6thrust23THRUST_200600_302600_NS6detail15normal_iteratorINS9_10device_ptrIfEEEENSB_INSC_IiEEEEfNS9_4plusIvEEfEEDaPvRmT3_T4_T5_mT6_P12ihipStream_tbENKUlT_T0_E_clISt17integral_constantIbLb0EESV_IbLb1EEEEDaSR_SS_EUlSR_E0_NS1_11comp_targetILNS1_3genE0ELNS1_11target_archE4294967295ELNS1_3gpuE0ELNS1_3repE0EEENS1_30default_config_static_selectorELNS0_4arch9wavefront6targetE1EEEvT1_ ; -- Begin function _ZN7rocprim17ROCPRIM_400000_NS6detail17trampoline_kernelINS0_14default_configENS1_20scan_config_selectorIfEEZZNS1_9scan_implILNS1_25lookback_scan_determinismE0ELb1ELb1ES3_N6thrust23THRUST_200600_302600_NS6detail15normal_iteratorINS9_10device_ptrIfEEEENSB_INSC_IiEEEEfNS9_4plusIvEEfEEDaPvRmT3_T4_T5_mT6_P12ihipStream_tbENKUlT_T0_E_clISt17integral_constantIbLb0EESV_IbLb1EEEEDaSR_SS_EUlSR_E0_NS1_11comp_targetILNS1_3genE0ELNS1_11target_archE4294967295ELNS1_3gpuE0ELNS1_3repE0EEENS1_30default_config_static_selectorELNS0_4arch9wavefront6targetE1EEEvT1_
	.globl	_ZN7rocprim17ROCPRIM_400000_NS6detail17trampoline_kernelINS0_14default_configENS1_20scan_config_selectorIfEEZZNS1_9scan_implILNS1_25lookback_scan_determinismE0ELb1ELb1ES3_N6thrust23THRUST_200600_302600_NS6detail15normal_iteratorINS9_10device_ptrIfEEEENSB_INSC_IiEEEEfNS9_4plusIvEEfEEDaPvRmT3_T4_T5_mT6_P12ihipStream_tbENKUlT_T0_E_clISt17integral_constantIbLb0EESV_IbLb1EEEEDaSR_SS_EUlSR_E0_NS1_11comp_targetILNS1_3genE0ELNS1_11target_archE4294967295ELNS1_3gpuE0ELNS1_3repE0EEENS1_30default_config_static_selectorELNS0_4arch9wavefront6targetE1EEEvT1_
	.p2align	8
	.type	_ZN7rocprim17ROCPRIM_400000_NS6detail17trampoline_kernelINS0_14default_configENS1_20scan_config_selectorIfEEZZNS1_9scan_implILNS1_25lookback_scan_determinismE0ELb1ELb1ES3_N6thrust23THRUST_200600_302600_NS6detail15normal_iteratorINS9_10device_ptrIfEEEENSB_INSC_IiEEEEfNS9_4plusIvEEfEEDaPvRmT3_T4_T5_mT6_P12ihipStream_tbENKUlT_T0_E_clISt17integral_constantIbLb0EESV_IbLb1EEEEDaSR_SS_EUlSR_E0_NS1_11comp_targetILNS1_3genE0ELNS1_11target_archE4294967295ELNS1_3gpuE0ELNS1_3repE0EEENS1_30default_config_static_selectorELNS0_4arch9wavefront6targetE1EEEvT1_,@function
_ZN7rocprim17ROCPRIM_400000_NS6detail17trampoline_kernelINS0_14default_configENS1_20scan_config_selectorIfEEZZNS1_9scan_implILNS1_25lookback_scan_determinismE0ELb1ELb1ES3_N6thrust23THRUST_200600_302600_NS6detail15normal_iteratorINS9_10device_ptrIfEEEENSB_INSC_IiEEEEfNS9_4plusIvEEfEEDaPvRmT3_T4_T5_mT6_P12ihipStream_tbENKUlT_T0_E_clISt17integral_constantIbLb0EESV_IbLb1EEEEDaSR_SS_EUlSR_E0_NS1_11comp_targetILNS1_3genE0ELNS1_11target_archE4294967295ELNS1_3gpuE0ELNS1_3repE0EEENS1_30default_config_static_selectorELNS0_4arch9wavefront6targetE1EEEvT1_: ; @_ZN7rocprim17ROCPRIM_400000_NS6detail17trampoline_kernelINS0_14default_configENS1_20scan_config_selectorIfEEZZNS1_9scan_implILNS1_25lookback_scan_determinismE0ELb1ELb1ES3_N6thrust23THRUST_200600_302600_NS6detail15normal_iteratorINS9_10device_ptrIfEEEENSB_INSC_IiEEEEfNS9_4plusIvEEfEEDaPvRmT3_T4_T5_mT6_P12ihipStream_tbENKUlT_T0_E_clISt17integral_constantIbLb0EESV_IbLb1EEEEDaSR_SS_EUlSR_E0_NS1_11comp_targetILNS1_3genE0ELNS1_11target_archE4294967295ELNS1_3gpuE0ELNS1_3repE0EEENS1_30default_config_static_selectorELNS0_4arch9wavefront6targetE1EEEvT1_
; %bb.0:
	.section	.rodata,"a",@progbits
	.p2align	6, 0x0
	.amdhsa_kernel _ZN7rocprim17ROCPRIM_400000_NS6detail17trampoline_kernelINS0_14default_configENS1_20scan_config_selectorIfEEZZNS1_9scan_implILNS1_25lookback_scan_determinismE0ELb1ELb1ES3_N6thrust23THRUST_200600_302600_NS6detail15normal_iteratorINS9_10device_ptrIfEEEENSB_INSC_IiEEEEfNS9_4plusIvEEfEEDaPvRmT3_T4_T5_mT6_P12ihipStream_tbENKUlT_T0_E_clISt17integral_constantIbLb0EESV_IbLb1EEEEDaSR_SS_EUlSR_E0_NS1_11comp_targetILNS1_3genE0ELNS1_11target_archE4294967295ELNS1_3gpuE0ELNS1_3repE0EEENS1_30default_config_static_selectorELNS0_4arch9wavefront6targetE1EEEvT1_
		.amdhsa_group_segment_fixed_size 0
		.amdhsa_private_segment_fixed_size 0
		.amdhsa_kernarg_size 32
		.amdhsa_user_sgpr_count 6
		.amdhsa_user_sgpr_private_segment_buffer 1
		.amdhsa_user_sgpr_dispatch_ptr 0
		.amdhsa_user_sgpr_queue_ptr 0
		.amdhsa_user_sgpr_kernarg_segment_ptr 1
		.amdhsa_user_sgpr_dispatch_id 0
		.amdhsa_user_sgpr_flat_scratch_init 0
		.amdhsa_user_sgpr_kernarg_preload_length 0
		.amdhsa_user_sgpr_kernarg_preload_offset 0
		.amdhsa_user_sgpr_private_segment_size 0
		.amdhsa_uses_dynamic_stack 0
		.amdhsa_system_sgpr_private_segment_wavefront_offset 0
		.amdhsa_system_sgpr_workgroup_id_x 1
		.amdhsa_system_sgpr_workgroup_id_y 0
		.amdhsa_system_sgpr_workgroup_id_z 0
		.amdhsa_system_sgpr_workgroup_info 0
		.amdhsa_system_vgpr_workitem_id 0
		.amdhsa_next_free_vgpr 1
		.amdhsa_next_free_sgpr 0
		.amdhsa_accum_offset 4
		.amdhsa_reserve_vcc 0
		.amdhsa_reserve_flat_scratch 0
		.amdhsa_float_round_mode_32 0
		.amdhsa_float_round_mode_16_64 0
		.amdhsa_float_denorm_mode_32 3
		.amdhsa_float_denorm_mode_16_64 3
		.amdhsa_dx10_clamp 1
		.amdhsa_ieee_mode 1
		.amdhsa_fp16_overflow 0
		.amdhsa_tg_split 0
		.amdhsa_exception_fp_ieee_invalid_op 0
		.amdhsa_exception_fp_denorm_src 0
		.amdhsa_exception_fp_ieee_div_zero 0
		.amdhsa_exception_fp_ieee_overflow 0
		.amdhsa_exception_fp_ieee_underflow 0
		.amdhsa_exception_fp_ieee_inexact 0
		.amdhsa_exception_int_div_zero 0
	.end_amdhsa_kernel
	.section	.text._ZN7rocprim17ROCPRIM_400000_NS6detail17trampoline_kernelINS0_14default_configENS1_20scan_config_selectorIfEEZZNS1_9scan_implILNS1_25lookback_scan_determinismE0ELb1ELb1ES3_N6thrust23THRUST_200600_302600_NS6detail15normal_iteratorINS9_10device_ptrIfEEEENSB_INSC_IiEEEEfNS9_4plusIvEEfEEDaPvRmT3_T4_T5_mT6_P12ihipStream_tbENKUlT_T0_E_clISt17integral_constantIbLb0EESV_IbLb1EEEEDaSR_SS_EUlSR_E0_NS1_11comp_targetILNS1_3genE0ELNS1_11target_archE4294967295ELNS1_3gpuE0ELNS1_3repE0EEENS1_30default_config_static_selectorELNS0_4arch9wavefront6targetE1EEEvT1_,"axG",@progbits,_ZN7rocprim17ROCPRIM_400000_NS6detail17trampoline_kernelINS0_14default_configENS1_20scan_config_selectorIfEEZZNS1_9scan_implILNS1_25lookback_scan_determinismE0ELb1ELb1ES3_N6thrust23THRUST_200600_302600_NS6detail15normal_iteratorINS9_10device_ptrIfEEEENSB_INSC_IiEEEEfNS9_4plusIvEEfEEDaPvRmT3_T4_T5_mT6_P12ihipStream_tbENKUlT_T0_E_clISt17integral_constantIbLb0EESV_IbLb1EEEEDaSR_SS_EUlSR_E0_NS1_11comp_targetILNS1_3genE0ELNS1_11target_archE4294967295ELNS1_3gpuE0ELNS1_3repE0EEENS1_30default_config_static_selectorELNS0_4arch9wavefront6targetE1EEEvT1_,comdat
.Lfunc_end1632:
	.size	_ZN7rocprim17ROCPRIM_400000_NS6detail17trampoline_kernelINS0_14default_configENS1_20scan_config_selectorIfEEZZNS1_9scan_implILNS1_25lookback_scan_determinismE0ELb1ELb1ES3_N6thrust23THRUST_200600_302600_NS6detail15normal_iteratorINS9_10device_ptrIfEEEENSB_INSC_IiEEEEfNS9_4plusIvEEfEEDaPvRmT3_T4_T5_mT6_P12ihipStream_tbENKUlT_T0_E_clISt17integral_constantIbLb0EESV_IbLb1EEEEDaSR_SS_EUlSR_E0_NS1_11comp_targetILNS1_3genE0ELNS1_11target_archE4294967295ELNS1_3gpuE0ELNS1_3repE0EEENS1_30default_config_static_selectorELNS0_4arch9wavefront6targetE1EEEvT1_, .Lfunc_end1632-_ZN7rocprim17ROCPRIM_400000_NS6detail17trampoline_kernelINS0_14default_configENS1_20scan_config_selectorIfEEZZNS1_9scan_implILNS1_25lookback_scan_determinismE0ELb1ELb1ES3_N6thrust23THRUST_200600_302600_NS6detail15normal_iteratorINS9_10device_ptrIfEEEENSB_INSC_IiEEEEfNS9_4plusIvEEfEEDaPvRmT3_T4_T5_mT6_P12ihipStream_tbENKUlT_T0_E_clISt17integral_constantIbLb0EESV_IbLb1EEEEDaSR_SS_EUlSR_E0_NS1_11comp_targetILNS1_3genE0ELNS1_11target_archE4294967295ELNS1_3gpuE0ELNS1_3repE0EEENS1_30default_config_static_selectorELNS0_4arch9wavefront6targetE1EEEvT1_
                                        ; -- End function
	.section	.AMDGPU.csdata,"",@progbits
; Kernel info:
; codeLenInByte = 0
; NumSgprs: 4
; NumVgprs: 0
; NumAgprs: 0
; TotalNumVgprs: 0
; ScratchSize: 0
; MemoryBound: 0
; FloatMode: 240
; IeeeMode: 1
; LDSByteSize: 0 bytes/workgroup (compile time only)
; SGPRBlocks: 0
; VGPRBlocks: 0
; NumSGPRsForWavesPerEU: 4
; NumVGPRsForWavesPerEU: 1
; AccumOffset: 4
; Occupancy: 8
; WaveLimiterHint : 0
; COMPUTE_PGM_RSRC2:SCRATCH_EN: 0
; COMPUTE_PGM_RSRC2:USER_SGPR: 6
; COMPUTE_PGM_RSRC2:TRAP_HANDLER: 0
; COMPUTE_PGM_RSRC2:TGID_X_EN: 1
; COMPUTE_PGM_RSRC2:TGID_Y_EN: 0
; COMPUTE_PGM_RSRC2:TGID_Z_EN: 0
; COMPUTE_PGM_RSRC2:TIDIG_COMP_CNT: 0
; COMPUTE_PGM_RSRC3_GFX90A:ACCUM_OFFSET: 0
; COMPUTE_PGM_RSRC3_GFX90A:TG_SPLIT: 0
	.section	.text._ZN7rocprim17ROCPRIM_400000_NS6detail17trampoline_kernelINS0_14default_configENS1_20scan_config_selectorIfEEZZNS1_9scan_implILNS1_25lookback_scan_determinismE0ELb1ELb1ES3_N6thrust23THRUST_200600_302600_NS6detail15normal_iteratorINS9_10device_ptrIfEEEENSB_INSC_IiEEEEfNS9_4plusIvEEfEEDaPvRmT3_T4_T5_mT6_P12ihipStream_tbENKUlT_T0_E_clISt17integral_constantIbLb0EESV_IbLb1EEEEDaSR_SS_EUlSR_E0_NS1_11comp_targetILNS1_3genE5ELNS1_11target_archE942ELNS1_3gpuE9ELNS1_3repE0EEENS1_30default_config_static_selectorELNS0_4arch9wavefront6targetE1EEEvT1_,"axG",@progbits,_ZN7rocprim17ROCPRIM_400000_NS6detail17trampoline_kernelINS0_14default_configENS1_20scan_config_selectorIfEEZZNS1_9scan_implILNS1_25lookback_scan_determinismE0ELb1ELb1ES3_N6thrust23THRUST_200600_302600_NS6detail15normal_iteratorINS9_10device_ptrIfEEEENSB_INSC_IiEEEEfNS9_4plusIvEEfEEDaPvRmT3_T4_T5_mT6_P12ihipStream_tbENKUlT_T0_E_clISt17integral_constantIbLb0EESV_IbLb1EEEEDaSR_SS_EUlSR_E0_NS1_11comp_targetILNS1_3genE5ELNS1_11target_archE942ELNS1_3gpuE9ELNS1_3repE0EEENS1_30default_config_static_selectorELNS0_4arch9wavefront6targetE1EEEvT1_,comdat
	.protected	_ZN7rocprim17ROCPRIM_400000_NS6detail17trampoline_kernelINS0_14default_configENS1_20scan_config_selectorIfEEZZNS1_9scan_implILNS1_25lookback_scan_determinismE0ELb1ELb1ES3_N6thrust23THRUST_200600_302600_NS6detail15normal_iteratorINS9_10device_ptrIfEEEENSB_INSC_IiEEEEfNS9_4plusIvEEfEEDaPvRmT3_T4_T5_mT6_P12ihipStream_tbENKUlT_T0_E_clISt17integral_constantIbLb0EESV_IbLb1EEEEDaSR_SS_EUlSR_E0_NS1_11comp_targetILNS1_3genE5ELNS1_11target_archE942ELNS1_3gpuE9ELNS1_3repE0EEENS1_30default_config_static_selectorELNS0_4arch9wavefront6targetE1EEEvT1_ ; -- Begin function _ZN7rocprim17ROCPRIM_400000_NS6detail17trampoline_kernelINS0_14default_configENS1_20scan_config_selectorIfEEZZNS1_9scan_implILNS1_25lookback_scan_determinismE0ELb1ELb1ES3_N6thrust23THRUST_200600_302600_NS6detail15normal_iteratorINS9_10device_ptrIfEEEENSB_INSC_IiEEEEfNS9_4plusIvEEfEEDaPvRmT3_T4_T5_mT6_P12ihipStream_tbENKUlT_T0_E_clISt17integral_constantIbLb0EESV_IbLb1EEEEDaSR_SS_EUlSR_E0_NS1_11comp_targetILNS1_3genE5ELNS1_11target_archE942ELNS1_3gpuE9ELNS1_3repE0EEENS1_30default_config_static_selectorELNS0_4arch9wavefront6targetE1EEEvT1_
	.globl	_ZN7rocprim17ROCPRIM_400000_NS6detail17trampoline_kernelINS0_14default_configENS1_20scan_config_selectorIfEEZZNS1_9scan_implILNS1_25lookback_scan_determinismE0ELb1ELb1ES3_N6thrust23THRUST_200600_302600_NS6detail15normal_iteratorINS9_10device_ptrIfEEEENSB_INSC_IiEEEEfNS9_4plusIvEEfEEDaPvRmT3_T4_T5_mT6_P12ihipStream_tbENKUlT_T0_E_clISt17integral_constantIbLb0EESV_IbLb1EEEEDaSR_SS_EUlSR_E0_NS1_11comp_targetILNS1_3genE5ELNS1_11target_archE942ELNS1_3gpuE9ELNS1_3repE0EEENS1_30default_config_static_selectorELNS0_4arch9wavefront6targetE1EEEvT1_
	.p2align	8
	.type	_ZN7rocprim17ROCPRIM_400000_NS6detail17trampoline_kernelINS0_14default_configENS1_20scan_config_selectorIfEEZZNS1_9scan_implILNS1_25lookback_scan_determinismE0ELb1ELb1ES3_N6thrust23THRUST_200600_302600_NS6detail15normal_iteratorINS9_10device_ptrIfEEEENSB_INSC_IiEEEEfNS9_4plusIvEEfEEDaPvRmT3_T4_T5_mT6_P12ihipStream_tbENKUlT_T0_E_clISt17integral_constantIbLb0EESV_IbLb1EEEEDaSR_SS_EUlSR_E0_NS1_11comp_targetILNS1_3genE5ELNS1_11target_archE942ELNS1_3gpuE9ELNS1_3repE0EEENS1_30default_config_static_selectorELNS0_4arch9wavefront6targetE1EEEvT1_,@function
_ZN7rocprim17ROCPRIM_400000_NS6detail17trampoline_kernelINS0_14default_configENS1_20scan_config_selectorIfEEZZNS1_9scan_implILNS1_25lookback_scan_determinismE0ELb1ELb1ES3_N6thrust23THRUST_200600_302600_NS6detail15normal_iteratorINS9_10device_ptrIfEEEENSB_INSC_IiEEEEfNS9_4plusIvEEfEEDaPvRmT3_T4_T5_mT6_P12ihipStream_tbENKUlT_T0_E_clISt17integral_constantIbLb0EESV_IbLb1EEEEDaSR_SS_EUlSR_E0_NS1_11comp_targetILNS1_3genE5ELNS1_11target_archE942ELNS1_3gpuE9ELNS1_3repE0EEENS1_30default_config_static_selectorELNS0_4arch9wavefront6targetE1EEEvT1_: ; @_ZN7rocprim17ROCPRIM_400000_NS6detail17trampoline_kernelINS0_14default_configENS1_20scan_config_selectorIfEEZZNS1_9scan_implILNS1_25lookback_scan_determinismE0ELb1ELb1ES3_N6thrust23THRUST_200600_302600_NS6detail15normal_iteratorINS9_10device_ptrIfEEEENSB_INSC_IiEEEEfNS9_4plusIvEEfEEDaPvRmT3_T4_T5_mT6_P12ihipStream_tbENKUlT_T0_E_clISt17integral_constantIbLb0EESV_IbLb1EEEEDaSR_SS_EUlSR_E0_NS1_11comp_targetILNS1_3genE5ELNS1_11target_archE942ELNS1_3gpuE9ELNS1_3repE0EEENS1_30default_config_static_selectorELNS0_4arch9wavefront6targetE1EEEvT1_
; %bb.0:
	.section	.rodata,"a",@progbits
	.p2align	6, 0x0
	.amdhsa_kernel _ZN7rocprim17ROCPRIM_400000_NS6detail17trampoline_kernelINS0_14default_configENS1_20scan_config_selectorIfEEZZNS1_9scan_implILNS1_25lookback_scan_determinismE0ELb1ELb1ES3_N6thrust23THRUST_200600_302600_NS6detail15normal_iteratorINS9_10device_ptrIfEEEENSB_INSC_IiEEEEfNS9_4plusIvEEfEEDaPvRmT3_T4_T5_mT6_P12ihipStream_tbENKUlT_T0_E_clISt17integral_constantIbLb0EESV_IbLb1EEEEDaSR_SS_EUlSR_E0_NS1_11comp_targetILNS1_3genE5ELNS1_11target_archE942ELNS1_3gpuE9ELNS1_3repE0EEENS1_30default_config_static_selectorELNS0_4arch9wavefront6targetE1EEEvT1_
		.amdhsa_group_segment_fixed_size 0
		.amdhsa_private_segment_fixed_size 0
		.amdhsa_kernarg_size 32
		.amdhsa_user_sgpr_count 6
		.amdhsa_user_sgpr_private_segment_buffer 1
		.amdhsa_user_sgpr_dispatch_ptr 0
		.amdhsa_user_sgpr_queue_ptr 0
		.amdhsa_user_sgpr_kernarg_segment_ptr 1
		.amdhsa_user_sgpr_dispatch_id 0
		.amdhsa_user_sgpr_flat_scratch_init 0
		.amdhsa_user_sgpr_kernarg_preload_length 0
		.amdhsa_user_sgpr_kernarg_preload_offset 0
		.amdhsa_user_sgpr_private_segment_size 0
		.amdhsa_uses_dynamic_stack 0
		.amdhsa_system_sgpr_private_segment_wavefront_offset 0
		.amdhsa_system_sgpr_workgroup_id_x 1
		.amdhsa_system_sgpr_workgroup_id_y 0
		.amdhsa_system_sgpr_workgroup_id_z 0
		.amdhsa_system_sgpr_workgroup_info 0
		.amdhsa_system_vgpr_workitem_id 0
		.amdhsa_next_free_vgpr 1
		.amdhsa_next_free_sgpr 0
		.amdhsa_accum_offset 4
		.amdhsa_reserve_vcc 0
		.amdhsa_reserve_flat_scratch 0
		.amdhsa_float_round_mode_32 0
		.amdhsa_float_round_mode_16_64 0
		.amdhsa_float_denorm_mode_32 3
		.amdhsa_float_denorm_mode_16_64 3
		.amdhsa_dx10_clamp 1
		.amdhsa_ieee_mode 1
		.amdhsa_fp16_overflow 0
		.amdhsa_tg_split 0
		.amdhsa_exception_fp_ieee_invalid_op 0
		.amdhsa_exception_fp_denorm_src 0
		.amdhsa_exception_fp_ieee_div_zero 0
		.amdhsa_exception_fp_ieee_overflow 0
		.amdhsa_exception_fp_ieee_underflow 0
		.amdhsa_exception_fp_ieee_inexact 0
		.amdhsa_exception_int_div_zero 0
	.end_amdhsa_kernel
	.section	.text._ZN7rocprim17ROCPRIM_400000_NS6detail17trampoline_kernelINS0_14default_configENS1_20scan_config_selectorIfEEZZNS1_9scan_implILNS1_25lookback_scan_determinismE0ELb1ELb1ES3_N6thrust23THRUST_200600_302600_NS6detail15normal_iteratorINS9_10device_ptrIfEEEENSB_INSC_IiEEEEfNS9_4plusIvEEfEEDaPvRmT3_T4_T5_mT6_P12ihipStream_tbENKUlT_T0_E_clISt17integral_constantIbLb0EESV_IbLb1EEEEDaSR_SS_EUlSR_E0_NS1_11comp_targetILNS1_3genE5ELNS1_11target_archE942ELNS1_3gpuE9ELNS1_3repE0EEENS1_30default_config_static_selectorELNS0_4arch9wavefront6targetE1EEEvT1_,"axG",@progbits,_ZN7rocprim17ROCPRIM_400000_NS6detail17trampoline_kernelINS0_14default_configENS1_20scan_config_selectorIfEEZZNS1_9scan_implILNS1_25lookback_scan_determinismE0ELb1ELb1ES3_N6thrust23THRUST_200600_302600_NS6detail15normal_iteratorINS9_10device_ptrIfEEEENSB_INSC_IiEEEEfNS9_4plusIvEEfEEDaPvRmT3_T4_T5_mT6_P12ihipStream_tbENKUlT_T0_E_clISt17integral_constantIbLb0EESV_IbLb1EEEEDaSR_SS_EUlSR_E0_NS1_11comp_targetILNS1_3genE5ELNS1_11target_archE942ELNS1_3gpuE9ELNS1_3repE0EEENS1_30default_config_static_selectorELNS0_4arch9wavefront6targetE1EEEvT1_,comdat
.Lfunc_end1633:
	.size	_ZN7rocprim17ROCPRIM_400000_NS6detail17trampoline_kernelINS0_14default_configENS1_20scan_config_selectorIfEEZZNS1_9scan_implILNS1_25lookback_scan_determinismE0ELb1ELb1ES3_N6thrust23THRUST_200600_302600_NS6detail15normal_iteratorINS9_10device_ptrIfEEEENSB_INSC_IiEEEEfNS9_4plusIvEEfEEDaPvRmT3_T4_T5_mT6_P12ihipStream_tbENKUlT_T0_E_clISt17integral_constantIbLb0EESV_IbLb1EEEEDaSR_SS_EUlSR_E0_NS1_11comp_targetILNS1_3genE5ELNS1_11target_archE942ELNS1_3gpuE9ELNS1_3repE0EEENS1_30default_config_static_selectorELNS0_4arch9wavefront6targetE1EEEvT1_, .Lfunc_end1633-_ZN7rocprim17ROCPRIM_400000_NS6detail17trampoline_kernelINS0_14default_configENS1_20scan_config_selectorIfEEZZNS1_9scan_implILNS1_25lookback_scan_determinismE0ELb1ELb1ES3_N6thrust23THRUST_200600_302600_NS6detail15normal_iteratorINS9_10device_ptrIfEEEENSB_INSC_IiEEEEfNS9_4plusIvEEfEEDaPvRmT3_T4_T5_mT6_P12ihipStream_tbENKUlT_T0_E_clISt17integral_constantIbLb0EESV_IbLb1EEEEDaSR_SS_EUlSR_E0_NS1_11comp_targetILNS1_3genE5ELNS1_11target_archE942ELNS1_3gpuE9ELNS1_3repE0EEENS1_30default_config_static_selectorELNS0_4arch9wavefront6targetE1EEEvT1_
                                        ; -- End function
	.section	.AMDGPU.csdata,"",@progbits
; Kernel info:
; codeLenInByte = 0
; NumSgprs: 4
; NumVgprs: 0
; NumAgprs: 0
; TotalNumVgprs: 0
; ScratchSize: 0
; MemoryBound: 0
; FloatMode: 240
; IeeeMode: 1
; LDSByteSize: 0 bytes/workgroup (compile time only)
; SGPRBlocks: 0
; VGPRBlocks: 0
; NumSGPRsForWavesPerEU: 4
; NumVGPRsForWavesPerEU: 1
; AccumOffset: 4
; Occupancy: 8
; WaveLimiterHint : 0
; COMPUTE_PGM_RSRC2:SCRATCH_EN: 0
; COMPUTE_PGM_RSRC2:USER_SGPR: 6
; COMPUTE_PGM_RSRC2:TRAP_HANDLER: 0
; COMPUTE_PGM_RSRC2:TGID_X_EN: 1
; COMPUTE_PGM_RSRC2:TGID_Y_EN: 0
; COMPUTE_PGM_RSRC2:TGID_Z_EN: 0
; COMPUTE_PGM_RSRC2:TIDIG_COMP_CNT: 0
; COMPUTE_PGM_RSRC3_GFX90A:ACCUM_OFFSET: 0
; COMPUTE_PGM_RSRC3_GFX90A:TG_SPLIT: 0
	.section	.text._ZN7rocprim17ROCPRIM_400000_NS6detail17trampoline_kernelINS0_14default_configENS1_20scan_config_selectorIfEEZZNS1_9scan_implILNS1_25lookback_scan_determinismE0ELb1ELb1ES3_N6thrust23THRUST_200600_302600_NS6detail15normal_iteratorINS9_10device_ptrIfEEEENSB_INSC_IiEEEEfNS9_4plusIvEEfEEDaPvRmT3_T4_T5_mT6_P12ihipStream_tbENKUlT_T0_E_clISt17integral_constantIbLb0EESV_IbLb1EEEEDaSR_SS_EUlSR_E0_NS1_11comp_targetILNS1_3genE4ELNS1_11target_archE910ELNS1_3gpuE8ELNS1_3repE0EEENS1_30default_config_static_selectorELNS0_4arch9wavefront6targetE1EEEvT1_,"axG",@progbits,_ZN7rocprim17ROCPRIM_400000_NS6detail17trampoline_kernelINS0_14default_configENS1_20scan_config_selectorIfEEZZNS1_9scan_implILNS1_25lookback_scan_determinismE0ELb1ELb1ES3_N6thrust23THRUST_200600_302600_NS6detail15normal_iteratorINS9_10device_ptrIfEEEENSB_INSC_IiEEEEfNS9_4plusIvEEfEEDaPvRmT3_T4_T5_mT6_P12ihipStream_tbENKUlT_T0_E_clISt17integral_constantIbLb0EESV_IbLb1EEEEDaSR_SS_EUlSR_E0_NS1_11comp_targetILNS1_3genE4ELNS1_11target_archE910ELNS1_3gpuE8ELNS1_3repE0EEENS1_30default_config_static_selectorELNS0_4arch9wavefront6targetE1EEEvT1_,comdat
	.protected	_ZN7rocprim17ROCPRIM_400000_NS6detail17trampoline_kernelINS0_14default_configENS1_20scan_config_selectorIfEEZZNS1_9scan_implILNS1_25lookback_scan_determinismE0ELb1ELb1ES3_N6thrust23THRUST_200600_302600_NS6detail15normal_iteratorINS9_10device_ptrIfEEEENSB_INSC_IiEEEEfNS9_4plusIvEEfEEDaPvRmT3_T4_T5_mT6_P12ihipStream_tbENKUlT_T0_E_clISt17integral_constantIbLb0EESV_IbLb1EEEEDaSR_SS_EUlSR_E0_NS1_11comp_targetILNS1_3genE4ELNS1_11target_archE910ELNS1_3gpuE8ELNS1_3repE0EEENS1_30default_config_static_selectorELNS0_4arch9wavefront6targetE1EEEvT1_ ; -- Begin function _ZN7rocprim17ROCPRIM_400000_NS6detail17trampoline_kernelINS0_14default_configENS1_20scan_config_selectorIfEEZZNS1_9scan_implILNS1_25lookback_scan_determinismE0ELb1ELb1ES3_N6thrust23THRUST_200600_302600_NS6detail15normal_iteratorINS9_10device_ptrIfEEEENSB_INSC_IiEEEEfNS9_4plusIvEEfEEDaPvRmT3_T4_T5_mT6_P12ihipStream_tbENKUlT_T0_E_clISt17integral_constantIbLb0EESV_IbLb1EEEEDaSR_SS_EUlSR_E0_NS1_11comp_targetILNS1_3genE4ELNS1_11target_archE910ELNS1_3gpuE8ELNS1_3repE0EEENS1_30default_config_static_selectorELNS0_4arch9wavefront6targetE1EEEvT1_
	.globl	_ZN7rocprim17ROCPRIM_400000_NS6detail17trampoline_kernelINS0_14default_configENS1_20scan_config_selectorIfEEZZNS1_9scan_implILNS1_25lookback_scan_determinismE0ELb1ELb1ES3_N6thrust23THRUST_200600_302600_NS6detail15normal_iteratorINS9_10device_ptrIfEEEENSB_INSC_IiEEEEfNS9_4plusIvEEfEEDaPvRmT3_T4_T5_mT6_P12ihipStream_tbENKUlT_T0_E_clISt17integral_constantIbLb0EESV_IbLb1EEEEDaSR_SS_EUlSR_E0_NS1_11comp_targetILNS1_3genE4ELNS1_11target_archE910ELNS1_3gpuE8ELNS1_3repE0EEENS1_30default_config_static_selectorELNS0_4arch9wavefront6targetE1EEEvT1_
	.p2align	8
	.type	_ZN7rocprim17ROCPRIM_400000_NS6detail17trampoline_kernelINS0_14default_configENS1_20scan_config_selectorIfEEZZNS1_9scan_implILNS1_25lookback_scan_determinismE0ELb1ELb1ES3_N6thrust23THRUST_200600_302600_NS6detail15normal_iteratorINS9_10device_ptrIfEEEENSB_INSC_IiEEEEfNS9_4plusIvEEfEEDaPvRmT3_T4_T5_mT6_P12ihipStream_tbENKUlT_T0_E_clISt17integral_constantIbLb0EESV_IbLb1EEEEDaSR_SS_EUlSR_E0_NS1_11comp_targetILNS1_3genE4ELNS1_11target_archE910ELNS1_3gpuE8ELNS1_3repE0EEENS1_30default_config_static_selectorELNS0_4arch9wavefront6targetE1EEEvT1_,@function
_ZN7rocprim17ROCPRIM_400000_NS6detail17trampoline_kernelINS0_14default_configENS1_20scan_config_selectorIfEEZZNS1_9scan_implILNS1_25lookback_scan_determinismE0ELb1ELb1ES3_N6thrust23THRUST_200600_302600_NS6detail15normal_iteratorINS9_10device_ptrIfEEEENSB_INSC_IiEEEEfNS9_4plusIvEEfEEDaPvRmT3_T4_T5_mT6_P12ihipStream_tbENKUlT_T0_E_clISt17integral_constantIbLb0EESV_IbLb1EEEEDaSR_SS_EUlSR_E0_NS1_11comp_targetILNS1_3genE4ELNS1_11target_archE910ELNS1_3gpuE8ELNS1_3repE0EEENS1_30default_config_static_selectorELNS0_4arch9wavefront6targetE1EEEvT1_: ; @_ZN7rocprim17ROCPRIM_400000_NS6detail17trampoline_kernelINS0_14default_configENS1_20scan_config_selectorIfEEZZNS1_9scan_implILNS1_25lookback_scan_determinismE0ELb1ELb1ES3_N6thrust23THRUST_200600_302600_NS6detail15normal_iteratorINS9_10device_ptrIfEEEENSB_INSC_IiEEEEfNS9_4plusIvEEfEEDaPvRmT3_T4_T5_mT6_P12ihipStream_tbENKUlT_T0_E_clISt17integral_constantIbLb0EESV_IbLb1EEEEDaSR_SS_EUlSR_E0_NS1_11comp_targetILNS1_3genE4ELNS1_11target_archE910ELNS1_3gpuE8ELNS1_3repE0EEENS1_30default_config_static_selectorELNS0_4arch9wavefront6targetE1EEEvT1_
; %bb.0:
	s_load_dwordx4 s[28:31], s[4:5], 0x0
	v_lshlrev_b32_e32 v18, 2, v0
	s_waitcnt lgkmcnt(0)
	s_load_dword s31, s[28:29], 0x0
	v_cmp_gt_u32_e32 vcc, s30, v0
	s_waitcnt lgkmcnt(0)
	v_mov_b32_e32 v1, s31
	s_and_saveexec_b64 s[0:1], vcc
	s_cbranch_execz .LBB1634_2
; %bb.1:
	global_load_dword v1, v18, s[28:29]
.LBB1634_2:
	s_or_b64 exec, exec, s[0:1]
	v_or_b32_e32 v2, 0x80, v0
	v_cmp_gt_u32_e64 s[0:1], s30, v2
	v_mov_b32_e32 v2, s31
	s_and_saveexec_b64 s[2:3], s[0:1]
	s_cbranch_execz .LBB1634_4
; %bb.3:
	global_load_dword v2, v18, s[28:29] offset:512
.LBB1634_4:
	s_or_b64 exec, exec, s[2:3]
	v_or_b32_e32 v3, 0x100, v0
	v_cmp_gt_u32_e64 s[2:3], s30, v3
	v_mov_b32_e32 v3, s31
	s_and_saveexec_b64 s[6:7], s[2:3]
	s_cbranch_execz .LBB1634_6
; %bb.5:
	global_load_dword v3, v18, s[28:29] offset:1024
.LBB1634_6:
	;; [unrolled: 9-line block ×7, first 2 shown]
	s_or_b64 exec, exec, s[14:15]
	v_or_b32_e32 v10, 0x400, v0
	v_cmp_gt_u32_e64 s[14:15], s30, v10
	v_mov_b32_e32 v9, s31
	s_and_saveexec_b64 s[16:17], s[14:15]
	s_cbranch_execz .LBB1634_18
; %bb.17:
	v_lshlrev_b32_e32 v9, 2, v10
	global_load_dword v9, v9, s[28:29]
.LBB1634_18:
	s_or_b64 exec, exec, s[16:17]
	v_or_b32_e32 v11, 0x480, v0
	v_cmp_gt_u32_e64 s[16:17], s30, v11
	v_mov_b32_e32 v10, s31
	s_and_saveexec_b64 s[18:19], s[16:17]
	s_cbranch_execz .LBB1634_20
; %bb.19:
	v_lshlrev_b32_e32 v10, 2, v11
	global_load_dword v10, v10, s[28:29]
.LBB1634_20:
	;; [unrolled: 10-line block ×5, first 2 shown]
	s_or_b64 exec, exec, s[24:25]
	s_load_dword s33, s[4:5], 0x10
	v_or_b32_e32 v15, 0x680, v0
	v_cmp_gt_u32_e64 s[24:25], s30, v15
	v_mov_b32_e32 v14, s31
	s_and_saveexec_b64 s[30:31], s[24:25]
	s_cbranch_execz .LBB1634_28
; %bb.27:
	v_lshlrev_b32_e32 v14, 2, v15
	global_load_dword v14, v14, s[28:29]
.LBB1634_28:
	s_or_b64 exec, exec, s[30:31]
	s_waitcnt vmcnt(0)
	ds_write2st64_b32 v18, v1, v2 offset1:2
	ds_write2st64_b32 v18, v3, v4 offset0:4 offset1:6
	ds_write2st64_b32 v18, v5, v6 offset0:8 offset1:10
	;; [unrolled: 1-line block ×6, first 2 shown]
	v_mad_u32_u24 v1, v0, 52, v18
	s_waitcnt lgkmcnt(0)
	s_barrier
	ds_read2_b64 v[10:13], v1 offset1:1
	ds_read2_b64 v[6:9], v1 offset0:2 offset1:3
	ds_read2_b64 v[2:5], v1 offset0:4 offset1:5
	ds_read_b64 v[14:15], v1 offset:48
	s_load_dwordx2 s[34:35], s[4:5], 0x18
	s_waitcnt lgkmcnt(0)
	v_add_f32_e32 v16, v10, v11
	v_add_f32_e32 v16, v16, v12
	;; [unrolled: 1-line block ×13, first 2 shown]
	v_lshrrev_b32_e32 v16, 3, v0
	v_and_b32_e32 v16, 12, v16
	v_add_u32_e32 v16, v18, v16
	v_cmp_gt_u32_e64 s[4:5], 64, v0
	s_barrier
	ds_write_b32 v16, v15
	s_waitcnt lgkmcnt(0)
	s_barrier
	s_and_saveexec_b64 s[36:37], s[4:5]
	s_cbranch_execz .LBB1634_30
; %bb.29:
	v_lshlrev_b32_e32 v16, 1, v0
	v_lshrrev_b32_e32 v17, 4, v0
	v_add_lshl_u32 v19, v17, v16, 2
	ds_read2_b32 v[16:17], v19 offset1:1
	v_mbcnt_lo_u32_b32 v20, -1, 0
	v_mbcnt_hi_u32_b32 v20, -1, v20
	v_and_b32_e32 v21, 15, v20
	v_cmp_eq_u32_e64 s[4:5], 0, v21
	s_waitcnt lgkmcnt(0)
	v_add_f32_e32 v17, v16, v17
	v_cmp_lt_u32_e64 s[28:29], 3, v21
	v_cmp_lt_u32_e64 s[30:31], 31, v20
	v_mov_b32_dpp v22, v17 row_shr:1 row_mask:0xf bank_mask:0xf
	v_add_f32_e32 v22, v17, v22
	v_cndmask_b32_e64 v17, v22, v17, s[4:5]
	v_cmp_lt_u32_e64 s[4:5], 1, v21
	s_nop 0
	v_mov_b32_dpp v22, v17 row_shr:2 row_mask:0xf bank_mask:0xf
	v_add_f32_e32 v22, v17, v22
	v_cndmask_b32_e64 v22, v17, v22, s[4:5]
	; wave barrier
	s_nop 1
	v_mov_b32_dpp v23, v22 row_shr:4 row_mask:0xf bank_mask:0xf
	v_add_f32_e32 v23, v22, v23
	v_cndmask_b32_e64 v22, v22, v23, s[28:29]
	v_cmp_lt_u32_e64 s[28:29], 7, v21
	s_nop 0
	v_mov_b32_dpp v23, v22 row_shr:8 row_mask:0xf bank_mask:0xf
	v_add_f32_e32 v23, v22, v23
	v_cndmask_b32_e64 v21, v22, v23, s[28:29]
	v_and_b32_e32 v23, 16, v20
	v_cmp_eq_u32_e64 s[28:29], 0, v23
	v_mov_b32_dpp v22, v21 row_bcast:15 row_mask:0xf bank_mask:0xf
	v_add_f32_e32 v22, v21, v22
	v_cndmask_b32_e64 v21, v22, v21, s[28:29]
	v_cmp_lt_u32_e64 s[28:29], 15, v20
	s_or_b64 s[4:5], s[28:29], s[4:5]
	v_mov_b32_dpp v22, v21 row_bcast:31 row_mask:0xf bank_mask:0xf
	v_add_f32_e32 v22, v21, v22
	v_cndmask_b32_e64 v21, v21, v22, s[30:31]
	v_cndmask_b32_e64 v17, v17, v21, s[4:5]
	v_add_u32_e32 v21, -1, v20
	v_and_b32_e32 v22, 64, v20
	v_cmp_lt_i32_e64 s[4:5], v21, v22
	v_cndmask_b32_e64 v20, v21, v20, s[4:5]
	v_lshlrev_b32_e32 v20, 2, v20
	ds_bpermute_b32 v17, v20, v17
	v_cmp_eq_u32_e64 s[4:5], 0, v0
	s_waitcnt lgkmcnt(0)
	v_add_f32_e32 v16, v16, v17
	v_cndmask_b32_e64 v15, v16, v15, s[4:5]
	ds_write_b32 v19, v15
	; wave barrier
	ds_read_b32 v16, v19 offset:4
	s_waitcnt lgkmcnt(0)
	v_add_f32_e32 v15, v15, v16
	ds_write_b32 v19, v15 offset:4
.LBB1634_30:
	s_or_b64 exec, exec, s[36:37]
	v_cmp_ne_u32_e64 s[4:5], 0, v0
	v_mov_b32_e32 v16, s33
	s_waitcnt lgkmcnt(0)
	s_barrier
	s_and_saveexec_b64 s[28:29], s[4:5]
	s_cbranch_execz .LBB1634_32
; %bb.31:
	v_add_u32_e32 v15, -1, v0
	v_lshrrev_b32_e32 v16, 5, v15
	v_add_lshl_u32 v15, v16, v15, 2
	ds_read_b32 v15, v15
	s_waitcnt lgkmcnt(0)
	v_add_f32_e32 v16, s33, v15
.LBB1634_32:
	s_or_b64 exec, exec, s[28:29]
	v_add_f32_e32 v17, v10, v16
	v_add_f32_e32 v10, v11, v17
	;; [unrolled: 1-line block ×12, first 2 shown]
	s_movk_i32 s4, 0xffcc
	v_add_f32_e32 v5, v14, v4
	v_mad_i32_i24 v0, v0, s4, v1
	s_barrier
	ds_write2_b64 v1, v[16:17], v[10:11] offset1:1
	ds_write2_b64 v1, v[12:13], v[6:7] offset0:2 offset1:3
	ds_write2_b64 v1, v[8:9], v[2:3] offset0:4 offset1:5
	ds_write_b64 v1, v[4:5] offset:48
	s_waitcnt lgkmcnt(0)
	s_barrier
	ds_read2st64_b32 v[12:13], v0 offset0:2 offset1:4
	ds_read2st64_b32 v[10:11], v0 offset0:6 offset1:8
	;; [unrolled: 1-line block ×4, first 2 shown]
	ds_read_b32 v14, v18 offset:4096
	ds_read2st64_b32 v[4:5], v0 offset0:20 offset1:22
	ds_read2st64_b32 v[2:3], v0 offset0:24 offset1:26
	v_mov_b32_e32 v1, s35
	v_add_co_u32_e64 v0, s[4:5], s34, v18
	v_addc_co_u32_e64 v1, s[4:5], 0, v1, s[4:5]
	s_and_saveexec_b64 s[4:5], vcc
	s_cbranch_execnz .LBB1634_47
; %bb.33:
	s_or_b64 exec, exec, s[4:5]
	s_and_saveexec_b64 s[4:5], s[0:1]
	s_cbranch_execnz .LBB1634_48
.LBB1634_34:
	s_or_b64 exec, exec, s[4:5]
	s_and_saveexec_b64 s[0:1], s[2:3]
	s_cbranch_execnz .LBB1634_49
.LBB1634_35:
	s_or_b64 exec, exec, s[0:1]
	s_and_saveexec_b64 s[0:1], s[26:27]
	s_cbranch_execnz .LBB1634_50
.LBB1634_36:
	s_or_b64 exec, exec, s[0:1]
	s_and_saveexec_b64 s[0:1], s[6:7]
	s_cbranch_execnz .LBB1634_51
.LBB1634_37:
	s_or_b64 exec, exec, s[0:1]
	s_and_saveexec_b64 s[0:1], s[8:9]
	s_cbranch_execnz .LBB1634_52
.LBB1634_38:
	s_or_b64 exec, exec, s[0:1]
	s_and_saveexec_b64 s[0:1], s[10:11]
	s_cbranch_execnz .LBB1634_53
.LBB1634_39:
	s_or_b64 exec, exec, s[0:1]
	s_and_saveexec_b64 s[0:1], s[12:13]
	s_cbranch_execnz .LBB1634_54
.LBB1634_40:
	s_or_b64 exec, exec, s[0:1]
	s_and_saveexec_b64 s[0:1], s[14:15]
	s_cbranch_execnz .LBB1634_55
.LBB1634_41:
	s_or_b64 exec, exec, s[0:1]
	s_and_saveexec_b64 s[0:1], s[16:17]
	s_cbranch_execnz .LBB1634_56
.LBB1634_42:
	s_or_b64 exec, exec, s[0:1]
	s_and_saveexec_b64 s[0:1], s[18:19]
	s_cbranch_execnz .LBB1634_57
.LBB1634_43:
	s_or_b64 exec, exec, s[0:1]
	s_and_saveexec_b64 s[0:1], s[20:21]
	s_cbranch_execnz .LBB1634_58
.LBB1634_44:
	s_or_b64 exec, exec, s[0:1]
	s_and_saveexec_b64 s[0:1], s[22:23]
	s_cbranch_execnz .LBB1634_59
.LBB1634_45:
	s_or_b64 exec, exec, s[0:1]
	s_and_saveexec_b64 s[0:1], s[24:25]
	s_cbranch_execnz .LBB1634_60
.LBB1634_46:
	s_endpgm
.LBB1634_47:
	ds_read_b32 v15, v18
	s_waitcnt lgkmcnt(0)
	v_cvt_i32_f32_e32 v15, v15
	global_store_dword v[0:1], v15, off
	s_or_b64 exec, exec, s[4:5]
	s_and_saveexec_b64 s[4:5], s[0:1]
	s_cbranch_execz .LBB1634_34
.LBB1634_48:
	s_waitcnt lgkmcnt(6)
	v_cvt_i32_f32_e32 v12, v12
	global_store_dword v[0:1], v12, off offset:512
	s_or_b64 exec, exec, s[4:5]
	s_and_saveexec_b64 s[0:1], s[2:3]
	s_cbranch_execz .LBB1634_35
.LBB1634_49:
	s_waitcnt lgkmcnt(6)
	v_cvt_i32_f32_e32 v12, v13
	global_store_dword v[0:1], v12, off offset:1024
	s_or_b64 exec, exec, s[0:1]
	s_and_saveexec_b64 s[0:1], s[26:27]
	s_cbranch_execz .LBB1634_36
.LBB1634_50:
	s_waitcnt lgkmcnt(5)
	v_cvt_i32_f32_e32 v10, v10
	global_store_dword v[0:1], v10, off offset:1536
	s_or_b64 exec, exec, s[0:1]
	s_and_saveexec_b64 s[0:1], s[6:7]
	s_cbranch_execz .LBB1634_37
.LBB1634_51:
	s_waitcnt lgkmcnt(5)
	v_cvt_i32_f32_e32 v10, v11
	global_store_dword v[0:1], v10, off offset:2048
	s_or_b64 exec, exec, s[0:1]
	s_and_saveexec_b64 s[0:1], s[8:9]
	s_cbranch_execz .LBB1634_38
.LBB1634_52:
	s_waitcnt lgkmcnt(4)
	v_cvt_i32_f32_e32 v8, v8
	global_store_dword v[0:1], v8, off offset:2560
	s_or_b64 exec, exec, s[0:1]
	s_and_saveexec_b64 s[0:1], s[10:11]
	s_cbranch_execz .LBB1634_39
.LBB1634_53:
	s_waitcnt lgkmcnt(4)
	v_cvt_i32_f32_e32 v8, v9
	global_store_dword v[0:1], v8, off offset:3072
	s_or_b64 exec, exec, s[0:1]
	s_and_saveexec_b64 s[0:1], s[12:13]
	s_cbranch_execz .LBB1634_40
.LBB1634_54:
	s_waitcnt lgkmcnt(3)
	v_cvt_i32_f32_e32 v6, v6
	global_store_dword v[0:1], v6, off offset:3584
	s_or_b64 exec, exec, s[0:1]
	s_and_saveexec_b64 s[0:1], s[14:15]
	s_cbranch_execz .LBB1634_41
.LBB1634_55:
	s_waitcnt lgkmcnt(2)
	v_cvt_i32_f32_e32 v6, v14
	v_add_co_u32_e32 v8, vcc, 0x1000, v0
	v_addc_co_u32_e32 v9, vcc, 0, v1, vcc
	global_store_dword v[8:9], v6, off
	s_or_b64 exec, exec, s[0:1]
	s_and_saveexec_b64 s[0:1], s[16:17]
	s_cbranch_execz .LBB1634_42
.LBB1634_56:
	s_waitcnt lgkmcnt(3)
	v_cvt_i32_f32_e32 v8, v7
	v_add_co_u32_e32 v6, vcc, 0x1000, v0
	v_addc_co_u32_e32 v7, vcc, 0, v1, vcc
	global_store_dword v[6:7], v8, off offset:512
	s_or_b64 exec, exec, s[0:1]
	s_and_saveexec_b64 s[0:1], s[18:19]
	s_cbranch_execz .LBB1634_43
.LBB1634_57:
	s_waitcnt lgkmcnt(1)
	v_cvt_i32_f32_e32 v4, v4
	v_add_co_u32_e32 v6, vcc, 0x1000, v0
	v_addc_co_u32_e32 v7, vcc, 0, v1, vcc
	global_store_dword v[6:7], v4, off offset:1024
	s_or_b64 exec, exec, s[0:1]
	s_and_saveexec_b64 s[0:1], s[20:21]
	s_cbranch_execz .LBB1634_44
.LBB1634_58:
	s_waitcnt lgkmcnt(1)
	v_cvt_i32_f32_e32 v6, v5
	v_add_co_u32_e32 v4, vcc, 0x1000, v0
	v_addc_co_u32_e32 v5, vcc, 0, v1, vcc
	global_store_dword v[4:5], v6, off offset:1536
	s_or_b64 exec, exec, s[0:1]
	s_and_saveexec_b64 s[0:1], s[22:23]
	s_cbranch_execz .LBB1634_45
.LBB1634_59:
	s_waitcnt lgkmcnt(0)
	v_cvt_i32_f32_e32 v2, v2
	v_add_co_u32_e32 v4, vcc, 0x1000, v0
	v_addc_co_u32_e32 v5, vcc, 0, v1, vcc
	global_store_dword v[4:5], v2, off offset:2048
	s_or_b64 exec, exec, s[0:1]
	s_and_saveexec_b64 s[0:1], s[24:25]
	s_cbranch_execz .LBB1634_46
.LBB1634_60:
	s_waitcnt lgkmcnt(0)
	v_cvt_i32_f32_e32 v2, v3
	v_add_co_u32_e32 v0, vcc, 0x1000, v0
	v_addc_co_u32_e32 v1, vcc, 0, v1, vcc
	global_store_dword v[0:1], v2, off offset:2560
	s_endpgm
	.section	.rodata,"a",@progbits
	.p2align	6, 0x0
	.amdhsa_kernel _ZN7rocprim17ROCPRIM_400000_NS6detail17trampoline_kernelINS0_14default_configENS1_20scan_config_selectorIfEEZZNS1_9scan_implILNS1_25lookback_scan_determinismE0ELb1ELb1ES3_N6thrust23THRUST_200600_302600_NS6detail15normal_iteratorINS9_10device_ptrIfEEEENSB_INSC_IiEEEEfNS9_4plusIvEEfEEDaPvRmT3_T4_T5_mT6_P12ihipStream_tbENKUlT_T0_E_clISt17integral_constantIbLb0EESV_IbLb1EEEEDaSR_SS_EUlSR_E0_NS1_11comp_targetILNS1_3genE4ELNS1_11target_archE910ELNS1_3gpuE8ELNS1_3repE0EEENS1_30default_config_static_selectorELNS0_4arch9wavefront6targetE1EEEvT1_
		.amdhsa_group_segment_fixed_size 7168
		.amdhsa_private_segment_fixed_size 0
		.amdhsa_kernarg_size 32
		.amdhsa_user_sgpr_count 6
		.amdhsa_user_sgpr_private_segment_buffer 1
		.amdhsa_user_sgpr_dispatch_ptr 0
		.amdhsa_user_sgpr_queue_ptr 0
		.amdhsa_user_sgpr_kernarg_segment_ptr 1
		.amdhsa_user_sgpr_dispatch_id 0
		.amdhsa_user_sgpr_flat_scratch_init 0
		.amdhsa_user_sgpr_kernarg_preload_length 0
		.amdhsa_user_sgpr_kernarg_preload_offset 0
		.amdhsa_user_sgpr_private_segment_size 0
		.amdhsa_uses_dynamic_stack 0
		.amdhsa_system_sgpr_private_segment_wavefront_offset 0
		.amdhsa_system_sgpr_workgroup_id_x 1
		.amdhsa_system_sgpr_workgroup_id_y 0
		.amdhsa_system_sgpr_workgroup_id_z 0
		.amdhsa_system_sgpr_workgroup_info 0
		.amdhsa_system_vgpr_workitem_id 0
		.amdhsa_next_free_vgpr 24
		.amdhsa_next_free_sgpr 38
		.amdhsa_accum_offset 24
		.amdhsa_reserve_vcc 1
		.amdhsa_reserve_flat_scratch 0
		.amdhsa_float_round_mode_32 0
		.amdhsa_float_round_mode_16_64 0
		.amdhsa_float_denorm_mode_32 3
		.amdhsa_float_denorm_mode_16_64 3
		.amdhsa_dx10_clamp 1
		.amdhsa_ieee_mode 1
		.amdhsa_fp16_overflow 0
		.amdhsa_tg_split 0
		.amdhsa_exception_fp_ieee_invalid_op 0
		.amdhsa_exception_fp_denorm_src 0
		.amdhsa_exception_fp_ieee_div_zero 0
		.amdhsa_exception_fp_ieee_overflow 0
		.amdhsa_exception_fp_ieee_underflow 0
		.amdhsa_exception_fp_ieee_inexact 0
		.amdhsa_exception_int_div_zero 0
	.end_amdhsa_kernel
	.section	.text._ZN7rocprim17ROCPRIM_400000_NS6detail17trampoline_kernelINS0_14default_configENS1_20scan_config_selectorIfEEZZNS1_9scan_implILNS1_25lookback_scan_determinismE0ELb1ELb1ES3_N6thrust23THRUST_200600_302600_NS6detail15normal_iteratorINS9_10device_ptrIfEEEENSB_INSC_IiEEEEfNS9_4plusIvEEfEEDaPvRmT3_T4_T5_mT6_P12ihipStream_tbENKUlT_T0_E_clISt17integral_constantIbLb0EESV_IbLb1EEEEDaSR_SS_EUlSR_E0_NS1_11comp_targetILNS1_3genE4ELNS1_11target_archE910ELNS1_3gpuE8ELNS1_3repE0EEENS1_30default_config_static_selectorELNS0_4arch9wavefront6targetE1EEEvT1_,"axG",@progbits,_ZN7rocprim17ROCPRIM_400000_NS6detail17trampoline_kernelINS0_14default_configENS1_20scan_config_selectorIfEEZZNS1_9scan_implILNS1_25lookback_scan_determinismE0ELb1ELb1ES3_N6thrust23THRUST_200600_302600_NS6detail15normal_iteratorINS9_10device_ptrIfEEEENSB_INSC_IiEEEEfNS9_4plusIvEEfEEDaPvRmT3_T4_T5_mT6_P12ihipStream_tbENKUlT_T0_E_clISt17integral_constantIbLb0EESV_IbLb1EEEEDaSR_SS_EUlSR_E0_NS1_11comp_targetILNS1_3genE4ELNS1_11target_archE910ELNS1_3gpuE8ELNS1_3repE0EEENS1_30default_config_static_selectorELNS0_4arch9wavefront6targetE1EEEvT1_,comdat
.Lfunc_end1634:
	.size	_ZN7rocprim17ROCPRIM_400000_NS6detail17trampoline_kernelINS0_14default_configENS1_20scan_config_selectorIfEEZZNS1_9scan_implILNS1_25lookback_scan_determinismE0ELb1ELb1ES3_N6thrust23THRUST_200600_302600_NS6detail15normal_iteratorINS9_10device_ptrIfEEEENSB_INSC_IiEEEEfNS9_4plusIvEEfEEDaPvRmT3_T4_T5_mT6_P12ihipStream_tbENKUlT_T0_E_clISt17integral_constantIbLb0EESV_IbLb1EEEEDaSR_SS_EUlSR_E0_NS1_11comp_targetILNS1_3genE4ELNS1_11target_archE910ELNS1_3gpuE8ELNS1_3repE0EEENS1_30default_config_static_selectorELNS0_4arch9wavefront6targetE1EEEvT1_, .Lfunc_end1634-_ZN7rocprim17ROCPRIM_400000_NS6detail17trampoline_kernelINS0_14default_configENS1_20scan_config_selectorIfEEZZNS1_9scan_implILNS1_25lookback_scan_determinismE0ELb1ELb1ES3_N6thrust23THRUST_200600_302600_NS6detail15normal_iteratorINS9_10device_ptrIfEEEENSB_INSC_IiEEEEfNS9_4plusIvEEfEEDaPvRmT3_T4_T5_mT6_P12ihipStream_tbENKUlT_T0_E_clISt17integral_constantIbLb0EESV_IbLb1EEEEDaSR_SS_EUlSR_E0_NS1_11comp_targetILNS1_3genE4ELNS1_11target_archE910ELNS1_3gpuE8ELNS1_3repE0EEENS1_30default_config_static_selectorELNS0_4arch9wavefront6targetE1EEEvT1_
                                        ; -- End function
	.section	.AMDGPU.csdata,"",@progbits
; Kernel info:
; codeLenInByte = 2060
; NumSgprs: 42
; NumVgprs: 24
; NumAgprs: 0
; TotalNumVgprs: 24
; ScratchSize: 0
; MemoryBound: 0
; FloatMode: 240
; IeeeMode: 1
; LDSByteSize: 7168 bytes/workgroup (compile time only)
; SGPRBlocks: 5
; VGPRBlocks: 2
; NumSGPRsForWavesPerEU: 42
; NumVGPRsForWavesPerEU: 24
; AccumOffset: 24
; Occupancy: 5
; WaveLimiterHint : 0
; COMPUTE_PGM_RSRC2:SCRATCH_EN: 0
; COMPUTE_PGM_RSRC2:USER_SGPR: 6
; COMPUTE_PGM_RSRC2:TRAP_HANDLER: 0
; COMPUTE_PGM_RSRC2:TGID_X_EN: 1
; COMPUTE_PGM_RSRC2:TGID_Y_EN: 0
; COMPUTE_PGM_RSRC2:TGID_Z_EN: 0
; COMPUTE_PGM_RSRC2:TIDIG_COMP_CNT: 0
; COMPUTE_PGM_RSRC3_GFX90A:ACCUM_OFFSET: 5
; COMPUTE_PGM_RSRC3_GFX90A:TG_SPLIT: 0
	.section	.text._ZN7rocprim17ROCPRIM_400000_NS6detail17trampoline_kernelINS0_14default_configENS1_20scan_config_selectorIfEEZZNS1_9scan_implILNS1_25lookback_scan_determinismE0ELb1ELb1ES3_N6thrust23THRUST_200600_302600_NS6detail15normal_iteratorINS9_10device_ptrIfEEEENSB_INSC_IiEEEEfNS9_4plusIvEEfEEDaPvRmT3_T4_T5_mT6_P12ihipStream_tbENKUlT_T0_E_clISt17integral_constantIbLb0EESV_IbLb1EEEEDaSR_SS_EUlSR_E0_NS1_11comp_targetILNS1_3genE3ELNS1_11target_archE908ELNS1_3gpuE7ELNS1_3repE0EEENS1_30default_config_static_selectorELNS0_4arch9wavefront6targetE1EEEvT1_,"axG",@progbits,_ZN7rocprim17ROCPRIM_400000_NS6detail17trampoline_kernelINS0_14default_configENS1_20scan_config_selectorIfEEZZNS1_9scan_implILNS1_25lookback_scan_determinismE0ELb1ELb1ES3_N6thrust23THRUST_200600_302600_NS6detail15normal_iteratorINS9_10device_ptrIfEEEENSB_INSC_IiEEEEfNS9_4plusIvEEfEEDaPvRmT3_T4_T5_mT6_P12ihipStream_tbENKUlT_T0_E_clISt17integral_constantIbLb0EESV_IbLb1EEEEDaSR_SS_EUlSR_E0_NS1_11comp_targetILNS1_3genE3ELNS1_11target_archE908ELNS1_3gpuE7ELNS1_3repE0EEENS1_30default_config_static_selectorELNS0_4arch9wavefront6targetE1EEEvT1_,comdat
	.protected	_ZN7rocprim17ROCPRIM_400000_NS6detail17trampoline_kernelINS0_14default_configENS1_20scan_config_selectorIfEEZZNS1_9scan_implILNS1_25lookback_scan_determinismE0ELb1ELb1ES3_N6thrust23THRUST_200600_302600_NS6detail15normal_iteratorINS9_10device_ptrIfEEEENSB_INSC_IiEEEEfNS9_4plusIvEEfEEDaPvRmT3_T4_T5_mT6_P12ihipStream_tbENKUlT_T0_E_clISt17integral_constantIbLb0EESV_IbLb1EEEEDaSR_SS_EUlSR_E0_NS1_11comp_targetILNS1_3genE3ELNS1_11target_archE908ELNS1_3gpuE7ELNS1_3repE0EEENS1_30default_config_static_selectorELNS0_4arch9wavefront6targetE1EEEvT1_ ; -- Begin function _ZN7rocprim17ROCPRIM_400000_NS6detail17trampoline_kernelINS0_14default_configENS1_20scan_config_selectorIfEEZZNS1_9scan_implILNS1_25lookback_scan_determinismE0ELb1ELb1ES3_N6thrust23THRUST_200600_302600_NS6detail15normal_iteratorINS9_10device_ptrIfEEEENSB_INSC_IiEEEEfNS9_4plusIvEEfEEDaPvRmT3_T4_T5_mT6_P12ihipStream_tbENKUlT_T0_E_clISt17integral_constantIbLb0EESV_IbLb1EEEEDaSR_SS_EUlSR_E0_NS1_11comp_targetILNS1_3genE3ELNS1_11target_archE908ELNS1_3gpuE7ELNS1_3repE0EEENS1_30default_config_static_selectorELNS0_4arch9wavefront6targetE1EEEvT1_
	.globl	_ZN7rocprim17ROCPRIM_400000_NS6detail17trampoline_kernelINS0_14default_configENS1_20scan_config_selectorIfEEZZNS1_9scan_implILNS1_25lookback_scan_determinismE0ELb1ELb1ES3_N6thrust23THRUST_200600_302600_NS6detail15normal_iteratorINS9_10device_ptrIfEEEENSB_INSC_IiEEEEfNS9_4plusIvEEfEEDaPvRmT3_T4_T5_mT6_P12ihipStream_tbENKUlT_T0_E_clISt17integral_constantIbLb0EESV_IbLb1EEEEDaSR_SS_EUlSR_E0_NS1_11comp_targetILNS1_3genE3ELNS1_11target_archE908ELNS1_3gpuE7ELNS1_3repE0EEENS1_30default_config_static_selectorELNS0_4arch9wavefront6targetE1EEEvT1_
	.p2align	8
	.type	_ZN7rocprim17ROCPRIM_400000_NS6detail17trampoline_kernelINS0_14default_configENS1_20scan_config_selectorIfEEZZNS1_9scan_implILNS1_25lookback_scan_determinismE0ELb1ELb1ES3_N6thrust23THRUST_200600_302600_NS6detail15normal_iteratorINS9_10device_ptrIfEEEENSB_INSC_IiEEEEfNS9_4plusIvEEfEEDaPvRmT3_T4_T5_mT6_P12ihipStream_tbENKUlT_T0_E_clISt17integral_constantIbLb0EESV_IbLb1EEEEDaSR_SS_EUlSR_E0_NS1_11comp_targetILNS1_3genE3ELNS1_11target_archE908ELNS1_3gpuE7ELNS1_3repE0EEENS1_30default_config_static_selectorELNS0_4arch9wavefront6targetE1EEEvT1_,@function
_ZN7rocprim17ROCPRIM_400000_NS6detail17trampoline_kernelINS0_14default_configENS1_20scan_config_selectorIfEEZZNS1_9scan_implILNS1_25lookback_scan_determinismE0ELb1ELb1ES3_N6thrust23THRUST_200600_302600_NS6detail15normal_iteratorINS9_10device_ptrIfEEEENSB_INSC_IiEEEEfNS9_4plusIvEEfEEDaPvRmT3_T4_T5_mT6_P12ihipStream_tbENKUlT_T0_E_clISt17integral_constantIbLb0EESV_IbLb1EEEEDaSR_SS_EUlSR_E0_NS1_11comp_targetILNS1_3genE3ELNS1_11target_archE908ELNS1_3gpuE7ELNS1_3repE0EEENS1_30default_config_static_selectorELNS0_4arch9wavefront6targetE1EEEvT1_: ; @_ZN7rocprim17ROCPRIM_400000_NS6detail17trampoline_kernelINS0_14default_configENS1_20scan_config_selectorIfEEZZNS1_9scan_implILNS1_25lookback_scan_determinismE0ELb1ELb1ES3_N6thrust23THRUST_200600_302600_NS6detail15normal_iteratorINS9_10device_ptrIfEEEENSB_INSC_IiEEEEfNS9_4plusIvEEfEEDaPvRmT3_T4_T5_mT6_P12ihipStream_tbENKUlT_T0_E_clISt17integral_constantIbLb0EESV_IbLb1EEEEDaSR_SS_EUlSR_E0_NS1_11comp_targetILNS1_3genE3ELNS1_11target_archE908ELNS1_3gpuE7ELNS1_3repE0EEENS1_30default_config_static_selectorELNS0_4arch9wavefront6targetE1EEEvT1_
; %bb.0:
	.section	.rodata,"a",@progbits
	.p2align	6, 0x0
	.amdhsa_kernel _ZN7rocprim17ROCPRIM_400000_NS6detail17trampoline_kernelINS0_14default_configENS1_20scan_config_selectorIfEEZZNS1_9scan_implILNS1_25lookback_scan_determinismE0ELb1ELb1ES3_N6thrust23THRUST_200600_302600_NS6detail15normal_iteratorINS9_10device_ptrIfEEEENSB_INSC_IiEEEEfNS9_4plusIvEEfEEDaPvRmT3_T4_T5_mT6_P12ihipStream_tbENKUlT_T0_E_clISt17integral_constantIbLb0EESV_IbLb1EEEEDaSR_SS_EUlSR_E0_NS1_11comp_targetILNS1_3genE3ELNS1_11target_archE908ELNS1_3gpuE7ELNS1_3repE0EEENS1_30default_config_static_selectorELNS0_4arch9wavefront6targetE1EEEvT1_
		.amdhsa_group_segment_fixed_size 0
		.amdhsa_private_segment_fixed_size 0
		.amdhsa_kernarg_size 32
		.amdhsa_user_sgpr_count 6
		.amdhsa_user_sgpr_private_segment_buffer 1
		.amdhsa_user_sgpr_dispatch_ptr 0
		.amdhsa_user_sgpr_queue_ptr 0
		.amdhsa_user_sgpr_kernarg_segment_ptr 1
		.amdhsa_user_sgpr_dispatch_id 0
		.amdhsa_user_sgpr_flat_scratch_init 0
		.amdhsa_user_sgpr_kernarg_preload_length 0
		.amdhsa_user_sgpr_kernarg_preload_offset 0
		.amdhsa_user_sgpr_private_segment_size 0
		.amdhsa_uses_dynamic_stack 0
		.amdhsa_system_sgpr_private_segment_wavefront_offset 0
		.amdhsa_system_sgpr_workgroup_id_x 1
		.amdhsa_system_sgpr_workgroup_id_y 0
		.amdhsa_system_sgpr_workgroup_id_z 0
		.amdhsa_system_sgpr_workgroup_info 0
		.amdhsa_system_vgpr_workitem_id 0
		.amdhsa_next_free_vgpr 1
		.amdhsa_next_free_sgpr 0
		.amdhsa_accum_offset 4
		.amdhsa_reserve_vcc 0
		.amdhsa_reserve_flat_scratch 0
		.amdhsa_float_round_mode_32 0
		.amdhsa_float_round_mode_16_64 0
		.amdhsa_float_denorm_mode_32 3
		.amdhsa_float_denorm_mode_16_64 3
		.amdhsa_dx10_clamp 1
		.amdhsa_ieee_mode 1
		.amdhsa_fp16_overflow 0
		.amdhsa_tg_split 0
		.amdhsa_exception_fp_ieee_invalid_op 0
		.amdhsa_exception_fp_denorm_src 0
		.amdhsa_exception_fp_ieee_div_zero 0
		.amdhsa_exception_fp_ieee_overflow 0
		.amdhsa_exception_fp_ieee_underflow 0
		.amdhsa_exception_fp_ieee_inexact 0
		.amdhsa_exception_int_div_zero 0
	.end_amdhsa_kernel
	.section	.text._ZN7rocprim17ROCPRIM_400000_NS6detail17trampoline_kernelINS0_14default_configENS1_20scan_config_selectorIfEEZZNS1_9scan_implILNS1_25lookback_scan_determinismE0ELb1ELb1ES3_N6thrust23THRUST_200600_302600_NS6detail15normal_iteratorINS9_10device_ptrIfEEEENSB_INSC_IiEEEEfNS9_4plusIvEEfEEDaPvRmT3_T4_T5_mT6_P12ihipStream_tbENKUlT_T0_E_clISt17integral_constantIbLb0EESV_IbLb1EEEEDaSR_SS_EUlSR_E0_NS1_11comp_targetILNS1_3genE3ELNS1_11target_archE908ELNS1_3gpuE7ELNS1_3repE0EEENS1_30default_config_static_selectorELNS0_4arch9wavefront6targetE1EEEvT1_,"axG",@progbits,_ZN7rocprim17ROCPRIM_400000_NS6detail17trampoline_kernelINS0_14default_configENS1_20scan_config_selectorIfEEZZNS1_9scan_implILNS1_25lookback_scan_determinismE0ELb1ELb1ES3_N6thrust23THRUST_200600_302600_NS6detail15normal_iteratorINS9_10device_ptrIfEEEENSB_INSC_IiEEEEfNS9_4plusIvEEfEEDaPvRmT3_T4_T5_mT6_P12ihipStream_tbENKUlT_T0_E_clISt17integral_constantIbLb0EESV_IbLb1EEEEDaSR_SS_EUlSR_E0_NS1_11comp_targetILNS1_3genE3ELNS1_11target_archE908ELNS1_3gpuE7ELNS1_3repE0EEENS1_30default_config_static_selectorELNS0_4arch9wavefront6targetE1EEEvT1_,comdat
.Lfunc_end1635:
	.size	_ZN7rocprim17ROCPRIM_400000_NS6detail17trampoline_kernelINS0_14default_configENS1_20scan_config_selectorIfEEZZNS1_9scan_implILNS1_25lookback_scan_determinismE0ELb1ELb1ES3_N6thrust23THRUST_200600_302600_NS6detail15normal_iteratorINS9_10device_ptrIfEEEENSB_INSC_IiEEEEfNS9_4plusIvEEfEEDaPvRmT3_T4_T5_mT6_P12ihipStream_tbENKUlT_T0_E_clISt17integral_constantIbLb0EESV_IbLb1EEEEDaSR_SS_EUlSR_E0_NS1_11comp_targetILNS1_3genE3ELNS1_11target_archE908ELNS1_3gpuE7ELNS1_3repE0EEENS1_30default_config_static_selectorELNS0_4arch9wavefront6targetE1EEEvT1_, .Lfunc_end1635-_ZN7rocprim17ROCPRIM_400000_NS6detail17trampoline_kernelINS0_14default_configENS1_20scan_config_selectorIfEEZZNS1_9scan_implILNS1_25lookback_scan_determinismE0ELb1ELb1ES3_N6thrust23THRUST_200600_302600_NS6detail15normal_iteratorINS9_10device_ptrIfEEEENSB_INSC_IiEEEEfNS9_4plusIvEEfEEDaPvRmT3_T4_T5_mT6_P12ihipStream_tbENKUlT_T0_E_clISt17integral_constantIbLb0EESV_IbLb1EEEEDaSR_SS_EUlSR_E0_NS1_11comp_targetILNS1_3genE3ELNS1_11target_archE908ELNS1_3gpuE7ELNS1_3repE0EEENS1_30default_config_static_selectorELNS0_4arch9wavefront6targetE1EEEvT1_
                                        ; -- End function
	.section	.AMDGPU.csdata,"",@progbits
; Kernel info:
; codeLenInByte = 0
; NumSgprs: 4
; NumVgprs: 0
; NumAgprs: 0
; TotalNumVgprs: 0
; ScratchSize: 0
; MemoryBound: 0
; FloatMode: 240
; IeeeMode: 1
; LDSByteSize: 0 bytes/workgroup (compile time only)
; SGPRBlocks: 0
; VGPRBlocks: 0
; NumSGPRsForWavesPerEU: 4
; NumVGPRsForWavesPerEU: 1
; AccumOffset: 4
; Occupancy: 8
; WaveLimiterHint : 0
; COMPUTE_PGM_RSRC2:SCRATCH_EN: 0
; COMPUTE_PGM_RSRC2:USER_SGPR: 6
; COMPUTE_PGM_RSRC2:TRAP_HANDLER: 0
; COMPUTE_PGM_RSRC2:TGID_X_EN: 1
; COMPUTE_PGM_RSRC2:TGID_Y_EN: 0
; COMPUTE_PGM_RSRC2:TGID_Z_EN: 0
; COMPUTE_PGM_RSRC2:TIDIG_COMP_CNT: 0
; COMPUTE_PGM_RSRC3_GFX90A:ACCUM_OFFSET: 0
; COMPUTE_PGM_RSRC3_GFX90A:TG_SPLIT: 0
	.section	.text._ZN7rocprim17ROCPRIM_400000_NS6detail17trampoline_kernelINS0_14default_configENS1_20scan_config_selectorIfEEZZNS1_9scan_implILNS1_25lookback_scan_determinismE0ELb1ELb1ES3_N6thrust23THRUST_200600_302600_NS6detail15normal_iteratorINS9_10device_ptrIfEEEENSB_INSC_IiEEEEfNS9_4plusIvEEfEEDaPvRmT3_T4_T5_mT6_P12ihipStream_tbENKUlT_T0_E_clISt17integral_constantIbLb0EESV_IbLb1EEEEDaSR_SS_EUlSR_E0_NS1_11comp_targetILNS1_3genE2ELNS1_11target_archE906ELNS1_3gpuE6ELNS1_3repE0EEENS1_30default_config_static_selectorELNS0_4arch9wavefront6targetE1EEEvT1_,"axG",@progbits,_ZN7rocprim17ROCPRIM_400000_NS6detail17trampoline_kernelINS0_14default_configENS1_20scan_config_selectorIfEEZZNS1_9scan_implILNS1_25lookback_scan_determinismE0ELb1ELb1ES3_N6thrust23THRUST_200600_302600_NS6detail15normal_iteratorINS9_10device_ptrIfEEEENSB_INSC_IiEEEEfNS9_4plusIvEEfEEDaPvRmT3_T4_T5_mT6_P12ihipStream_tbENKUlT_T0_E_clISt17integral_constantIbLb0EESV_IbLb1EEEEDaSR_SS_EUlSR_E0_NS1_11comp_targetILNS1_3genE2ELNS1_11target_archE906ELNS1_3gpuE6ELNS1_3repE0EEENS1_30default_config_static_selectorELNS0_4arch9wavefront6targetE1EEEvT1_,comdat
	.protected	_ZN7rocprim17ROCPRIM_400000_NS6detail17trampoline_kernelINS0_14default_configENS1_20scan_config_selectorIfEEZZNS1_9scan_implILNS1_25lookback_scan_determinismE0ELb1ELb1ES3_N6thrust23THRUST_200600_302600_NS6detail15normal_iteratorINS9_10device_ptrIfEEEENSB_INSC_IiEEEEfNS9_4plusIvEEfEEDaPvRmT3_T4_T5_mT6_P12ihipStream_tbENKUlT_T0_E_clISt17integral_constantIbLb0EESV_IbLb1EEEEDaSR_SS_EUlSR_E0_NS1_11comp_targetILNS1_3genE2ELNS1_11target_archE906ELNS1_3gpuE6ELNS1_3repE0EEENS1_30default_config_static_selectorELNS0_4arch9wavefront6targetE1EEEvT1_ ; -- Begin function _ZN7rocprim17ROCPRIM_400000_NS6detail17trampoline_kernelINS0_14default_configENS1_20scan_config_selectorIfEEZZNS1_9scan_implILNS1_25lookback_scan_determinismE0ELb1ELb1ES3_N6thrust23THRUST_200600_302600_NS6detail15normal_iteratorINS9_10device_ptrIfEEEENSB_INSC_IiEEEEfNS9_4plusIvEEfEEDaPvRmT3_T4_T5_mT6_P12ihipStream_tbENKUlT_T0_E_clISt17integral_constantIbLb0EESV_IbLb1EEEEDaSR_SS_EUlSR_E0_NS1_11comp_targetILNS1_3genE2ELNS1_11target_archE906ELNS1_3gpuE6ELNS1_3repE0EEENS1_30default_config_static_selectorELNS0_4arch9wavefront6targetE1EEEvT1_
	.globl	_ZN7rocprim17ROCPRIM_400000_NS6detail17trampoline_kernelINS0_14default_configENS1_20scan_config_selectorIfEEZZNS1_9scan_implILNS1_25lookback_scan_determinismE0ELb1ELb1ES3_N6thrust23THRUST_200600_302600_NS6detail15normal_iteratorINS9_10device_ptrIfEEEENSB_INSC_IiEEEEfNS9_4plusIvEEfEEDaPvRmT3_T4_T5_mT6_P12ihipStream_tbENKUlT_T0_E_clISt17integral_constantIbLb0EESV_IbLb1EEEEDaSR_SS_EUlSR_E0_NS1_11comp_targetILNS1_3genE2ELNS1_11target_archE906ELNS1_3gpuE6ELNS1_3repE0EEENS1_30default_config_static_selectorELNS0_4arch9wavefront6targetE1EEEvT1_
	.p2align	8
	.type	_ZN7rocprim17ROCPRIM_400000_NS6detail17trampoline_kernelINS0_14default_configENS1_20scan_config_selectorIfEEZZNS1_9scan_implILNS1_25lookback_scan_determinismE0ELb1ELb1ES3_N6thrust23THRUST_200600_302600_NS6detail15normal_iteratorINS9_10device_ptrIfEEEENSB_INSC_IiEEEEfNS9_4plusIvEEfEEDaPvRmT3_T4_T5_mT6_P12ihipStream_tbENKUlT_T0_E_clISt17integral_constantIbLb0EESV_IbLb1EEEEDaSR_SS_EUlSR_E0_NS1_11comp_targetILNS1_3genE2ELNS1_11target_archE906ELNS1_3gpuE6ELNS1_3repE0EEENS1_30default_config_static_selectorELNS0_4arch9wavefront6targetE1EEEvT1_,@function
_ZN7rocprim17ROCPRIM_400000_NS6detail17trampoline_kernelINS0_14default_configENS1_20scan_config_selectorIfEEZZNS1_9scan_implILNS1_25lookback_scan_determinismE0ELb1ELb1ES3_N6thrust23THRUST_200600_302600_NS6detail15normal_iteratorINS9_10device_ptrIfEEEENSB_INSC_IiEEEEfNS9_4plusIvEEfEEDaPvRmT3_T4_T5_mT6_P12ihipStream_tbENKUlT_T0_E_clISt17integral_constantIbLb0EESV_IbLb1EEEEDaSR_SS_EUlSR_E0_NS1_11comp_targetILNS1_3genE2ELNS1_11target_archE906ELNS1_3gpuE6ELNS1_3repE0EEENS1_30default_config_static_selectorELNS0_4arch9wavefront6targetE1EEEvT1_: ; @_ZN7rocprim17ROCPRIM_400000_NS6detail17trampoline_kernelINS0_14default_configENS1_20scan_config_selectorIfEEZZNS1_9scan_implILNS1_25lookback_scan_determinismE0ELb1ELb1ES3_N6thrust23THRUST_200600_302600_NS6detail15normal_iteratorINS9_10device_ptrIfEEEENSB_INSC_IiEEEEfNS9_4plusIvEEfEEDaPvRmT3_T4_T5_mT6_P12ihipStream_tbENKUlT_T0_E_clISt17integral_constantIbLb0EESV_IbLb1EEEEDaSR_SS_EUlSR_E0_NS1_11comp_targetILNS1_3genE2ELNS1_11target_archE906ELNS1_3gpuE6ELNS1_3repE0EEENS1_30default_config_static_selectorELNS0_4arch9wavefront6targetE1EEEvT1_
; %bb.0:
	.section	.rodata,"a",@progbits
	.p2align	6, 0x0
	.amdhsa_kernel _ZN7rocprim17ROCPRIM_400000_NS6detail17trampoline_kernelINS0_14default_configENS1_20scan_config_selectorIfEEZZNS1_9scan_implILNS1_25lookback_scan_determinismE0ELb1ELb1ES3_N6thrust23THRUST_200600_302600_NS6detail15normal_iteratorINS9_10device_ptrIfEEEENSB_INSC_IiEEEEfNS9_4plusIvEEfEEDaPvRmT3_T4_T5_mT6_P12ihipStream_tbENKUlT_T0_E_clISt17integral_constantIbLb0EESV_IbLb1EEEEDaSR_SS_EUlSR_E0_NS1_11comp_targetILNS1_3genE2ELNS1_11target_archE906ELNS1_3gpuE6ELNS1_3repE0EEENS1_30default_config_static_selectorELNS0_4arch9wavefront6targetE1EEEvT1_
		.amdhsa_group_segment_fixed_size 0
		.amdhsa_private_segment_fixed_size 0
		.amdhsa_kernarg_size 32
		.amdhsa_user_sgpr_count 6
		.amdhsa_user_sgpr_private_segment_buffer 1
		.amdhsa_user_sgpr_dispatch_ptr 0
		.amdhsa_user_sgpr_queue_ptr 0
		.amdhsa_user_sgpr_kernarg_segment_ptr 1
		.amdhsa_user_sgpr_dispatch_id 0
		.amdhsa_user_sgpr_flat_scratch_init 0
		.amdhsa_user_sgpr_kernarg_preload_length 0
		.amdhsa_user_sgpr_kernarg_preload_offset 0
		.amdhsa_user_sgpr_private_segment_size 0
		.amdhsa_uses_dynamic_stack 0
		.amdhsa_system_sgpr_private_segment_wavefront_offset 0
		.amdhsa_system_sgpr_workgroup_id_x 1
		.amdhsa_system_sgpr_workgroup_id_y 0
		.amdhsa_system_sgpr_workgroup_id_z 0
		.amdhsa_system_sgpr_workgroup_info 0
		.amdhsa_system_vgpr_workitem_id 0
		.amdhsa_next_free_vgpr 1
		.amdhsa_next_free_sgpr 0
		.amdhsa_accum_offset 4
		.amdhsa_reserve_vcc 0
		.amdhsa_reserve_flat_scratch 0
		.amdhsa_float_round_mode_32 0
		.amdhsa_float_round_mode_16_64 0
		.amdhsa_float_denorm_mode_32 3
		.amdhsa_float_denorm_mode_16_64 3
		.amdhsa_dx10_clamp 1
		.amdhsa_ieee_mode 1
		.amdhsa_fp16_overflow 0
		.amdhsa_tg_split 0
		.amdhsa_exception_fp_ieee_invalid_op 0
		.amdhsa_exception_fp_denorm_src 0
		.amdhsa_exception_fp_ieee_div_zero 0
		.amdhsa_exception_fp_ieee_overflow 0
		.amdhsa_exception_fp_ieee_underflow 0
		.amdhsa_exception_fp_ieee_inexact 0
		.amdhsa_exception_int_div_zero 0
	.end_amdhsa_kernel
	.section	.text._ZN7rocprim17ROCPRIM_400000_NS6detail17trampoline_kernelINS0_14default_configENS1_20scan_config_selectorIfEEZZNS1_9scan_implILNS1_25lookback_scan_determinismE0ELb1ELb1ES3_N6thrust23THRUST_200600_302600_NS6detail15normal_iteratorINS9_10device_ptrIfEEEENSB_INSC_IiEEEEfNS9_4plusIvEEfEEDaPvRmT3_T4_T5_mT6_P12ihipStream_tbENKUlT_T0_E_clISt17integral_constantIbLb0EESV_IbLb1EEEEDaSR_SS_EUlSR_E0_NS1_11comp_targetILNS1_3genE2ELNS1_11target_archE906ELNS1_3gpuE6ELNS1_3repE0EEENS1_30default_config_static_selectorELNS0_4arch9wavefront6targetE1EEEvT1_,"axG",@progbits,_ZN7rocprim17ROCPRIM_400000_NS6detail17trampoline_kernelINS0_14default_configENS1_20scan_config_selectorIfEEZZNS1_9scan_implILNS1_25lookback_scan_determinismE0ELb1ELb1ES3_N6thrust23THRUST_200600_302600_NS6detail15normal_iteratorINS9_10device_ptrIfEEEENSB_INSC_IiEEEEfNS9_4plusIvEEfEEDaPvRmT3_T4_T5_mT6_P12ihipStream_tbENKUlT_T0_E_clISt17integral_constantIbLb0EESV_IbLb1EEEEDaSR_SS_EUlSR_E0_NS1_11comp_targetILNS1_3genE2ELNS1_11target_archE906ELNS1_3gpuE6ELNS1_3repE0EEENS1_30default_config_static_selectorELNS0_4arch9wavefront6targetE1EEEvT1_,comdat
.Lfunc_end1636:
	.size	_ZN7rocprim17ROCPRIM_400000_NS6detail17trampoline_kernelINS0_14default_configENS1_20scan_config_selectorIfEEZZNS1_9scan_implILNS1_25lookback_scan_determinismE0ELb1ELb1ES3_N6thrust23THRUST_200600_302600_NS6detail15normal_iteratorINS9_10device_ptrIfEEEENSB_INSC_IiEEEEfNS9_4plusIvEEfEEDaPvRmT3_T4_T5_mT6_P12ihipStream_tbENKUlT_T0_E_clISt17integral_constantIbLb0EESV_IbLb1EEEEDaSR_SS_EUlSR_E0_NS1_11comp_targetILNS1_3genE2ELNS1_11target_archE906ELNS1_3gpuE6ELNS1_3repE0EEENS1_30default_config_static_selectorELNS0_4arch9wavefront6targetE1EEEvT1_, .Lfunc_end1636-_ZN7rocprim17ROCPRIM_400000_NS6detail17trampoline_kernelINS0_14default_configENS1_20scan_config_selectorIfEEZZNS1_9scan_implILNS1_25lookback_scan_determinismE0ELb1ELb1ES3_N6thrust23THRUST_200600_302600_NS6detail15normal_iteratorINS9_10device_ptrIfEEEENSB_INSC_IiEEEEfNS9_4plusIvEEfEEDaPvRmT3_T4_T5_mT6_P12ihipStream_tbENKUlT_T0_E_clISt17integral_constantIbLb0EESV_IbLb1EEEEDaSR_SS_EUlSR_E0_NS1_11comp_targetILNS1_3genE2ELNS1_11target_archE906ELNS1_3gpuE6ELNS1_3repE0EEENS1_30default_config_static_selectorELNS0_4arch9wavefront6targetE1EEEvT1_
                                        ; -- End function
	.section	.AMDGPU.csdata,"",@progbits
; Kernel info:
; codeLenInByte = 0
; NumSgprs: 4
; NumVgprs: 0
; NumAgprs: 0
; TotalNumVgprs: 0
; ScratchSize: 0
; MemoryBound: 0
; FloatMode: 240
; IeeeMode: 1
; LDSByteSize: 0 bytes/workgroup (compile time only)
; SGPRBlocks: 0
; VGPRBlocks: 0
; NumSGPRsForWavesPerEU: 4
; NumVGPRsForWavesPerEU: 1
; AccumOffset: 4
; Occupancy: 8
; WaveLimiterHint : 0
; COMPUTE_PGM_RSRC2:SCRATCH_EN: 0
; COMPUTE_PGM_RSRC2:USER_SGPR: 6
; COMPUTE_PGM_RSRC2:TRAP_HANDLER: 0
; COMPUTE_PGM_RSRC2:TGID_X_EN: 1
; COMPUTE_PGM_RSRC2:TGID_Y_EN: 0
; COMPUTE_PGM_RSRC2:TGID_Z_EN: 0
; COMPUTE_PGM_RSRC2:TIDIG_COMP_CNT: 0
; COMPUTE_PGM_RSRC3_GFX90A:ACCUM_OFFSET: 0
; COMPUTE_PGM_RSRC3_GFX90A:TG_SPLIT: 0
	.section	.text._ZN7rocprim17ROCPRIM_400000_NS6detail17trampoline_kernelINS0_14default_configENS1_20scan_config_selectorIfEEZZNS1_9scan_implILNS1_25lookback_scan_determinismE0ELb1ELb1ES3_N6thrust23THRUST_200600_302600_NS6detail15normal_iteratorINS9_10device_ptrIfEEEENSB_INSC_IiEEEEfNS9_4plusIvEEfEEDaPvRmT3_T4_T5_mT6_P12ihipStream_tbENKUlT_T0_E_clISt17integral_constantIbLb0EESV_IbLb1EEEEDaSR_SS_EUlSR_E0_NS1_11comp_targetILNS1_3genE10ELNS1_11target_archE1201ELNS1_3gpuE5ELNS1_3repE0EEENS1_30default_config_static_selectorELNS0_4arch9wavefront6targetE1EEEvT1_,"axG",@progbits,_ZN7rocprim17ROCPRIM_400000_NS6detail17trampoline_kernelINS0_14default_configENS1_20scan_config_selectorIfEEZZNS1_9scan_implILNS1_25lookback_scan_determinismE0ELb1ELb1ES3_N6thrust23THRUST_200600_302600_NS6detail15normal_iteratorINS9_10device_ptrIfEEEENSB_INSC_IiEEEEfNS9_4plusIvEEfEEDaPvRmT3_T4_T5_mT6_P12ihipStream_tbENKUlT_T0_E_clISt17integral_constantIbLb0EESV_IbLb1EEEEDaSR_SS_EUlSR_E0_NS1_11comp_targetILNS1_3genE10ELNS1_11target_archE1201ELNS1_3gpuE5ELNS1_3repE0EEENS1_30default_config_static_selectorELNS0_4arch9wavefront6targetE1EEEvT1_,comdat
	.protected	_ZN7rocprim17ROCPRIM_400000_NS6detail17trampoline_kernelINS0_14default_configENS1_20scan_config_selectorIfEEZZNS1_9scan_implILNS1_25lookback_scan_determinismE0ELb1ELb1ES3_N6thrust23THRUST_200600_302600_NS6detail15normal_iteratorINS9_10device_ptrIfEEEENSB_INSC_IiEEEEfNS9_4plusIvEEfEEDaPvRmT3_T4_T5_mT6_P12ihipStream_tbENKUlT_T0_E_clISt17integral_constantIbLb0EESV_IbLb1EEEEDaSR_SS_EUlSR_E0_NS1_11comp_targetILNS1_3genE10ELNS1_11target_archE1201ELNS1_3gpuE5ELNS1_3repE0EEENS1_30default_config_static_selectorELNS0_4arch9wavefront6targetE1EEEvT1_ ; -- Begin function _ZN7rocprim17ROCPRIM_400000_NS6detail17trampoline_kernelINS0_14default_configENS1_20scan_config_selectorIfEEZZNS1_9scan_implILNS1_25lookback_scan_determinismE0ELb1ELb1ES3_N6thrust23THRUST_200600_302600_NS6detail15normal_iteratorINS9_10device_ptrIfEEEENSB_INSC_IiEEEEfNS9_4plusIvEEfEEDaPvRmT3_T4_T5_mT6_P12ihipStream_tbENKUlT_T0_E_clISt17integral_constantIbLb0EESV_IbLb1EEEEDaSR_SS_EUlSR_E0_NS1_11comp_targetILNS1_3genE10ELNS1_11target_archE1201ELNS1_3gpuE5ELNS1_3repE0EEENS1_30default_config_static_selectorELNS0_4arch9wavefront6targetE1EEEvT1_
	.globl	_ZN7rocprim17ROCPRIM_400000_NS6detail17trampoline_kernelINS0_14default_configENS1_20scan_config_selectorIfEEZZNS1_9scan_implILNS1_25lookback_scan_determinismE0ELb1ELb1ES3_N6thrust23THRUST_200600_302600_NS6detail15normal_iteratorINS9_10device_ptrIfEEEENSB_INSC_IiEEEEfNS9_4plusIvEEfEEDaPvRmT3_T4_T5_mT6_P12ihipStream_tbENKUlT_T0_E_clISt17integral_constantIbLb0EESV_IbLb1EEEEDaSR_SS_EUlSR_E0_NS1_11comp_targetILNS1_3genE10ELNS1_11target_archE1201ELNS1_3gpuE5ELNS1_3repE0EEENS1_30default_config_static_selectorELNS0_4arch9wavefront6targetE1EEEvT1_
	.p2align	8
	.type	_ZN7rocprim17ROCPRIM_400000_NS6detail17trampoline_kernelINS0_14default_configENS1_20scan_config_selectorIfEEZZNS1_9scan_implILNS1_25lookback_scan_determinismE0ELb1ELb1ES3_N6thrust23THRUST_200600_302600_NS6detail15normal_iteratorINS9_10device_ptrIfEEEENSB_INSC_IiEEEEfNS9_4plusIvEEfEEDaPvRmT3_T4_T5_mT6_P12ihipStream_tbENKUlT_T0_E_clISt17integral_constantIbLb0EESV_IbLb1EEEEDaSR_SS_EUlSR_E0_NS1_11comp_targetILNS1_3genE10ELNS1_11target_archE1201ELNS1_3gpuE5ELNS1_3repE0EEENS1_30default_config_static_selectorELNS0_4arch9wavefront6targetE1EEEvT1_,@function
_ZN7rocprim17ROCPRIM_400000_NS6detail17trampoline_kernelINS0_14default_configENS1_20scan_config_selectorIfEEZZNS1_9scan_implILNS1_25lookback_scan_determinismE0ELb1ELb1ES3_N6thrust23THRUST_200600_302600_NS6detail15normal_iteratorINS9_10device_ptrIfEEEENSB_INSC_IiEEEEfNS9_4plusIvEEfEEDaPvRmT3_T4_T5_mT6_P12ihipStream_tbENKUlT_T0_E_clISt17integral_constantIbLb0EESV_IbLb1EEEEDaSR_SS_EUlSR_E0_NS1_11comp_targetILNS1_3genE10ELNS1_11target_archE1201ELNS1_3gpuE5ELNS1_3repE0EEENS1_30default_config_static_selectorELNS0_4arch9wavefront6targetE1EEEvT1_: ; @_ZN7rocprim17ROCPRIM_400000_NS6detail17trampoline_kernelINS0_14default_configENS1_20scan_config_selectorIfEEZZNS1_9scan_implILNS1_25lookback_scan_determinismE0ELb1ELb1ES3_N6thrust23THRUST_200600_302600_NS6detail15normal_iteratorINS9_10device_ptrIfEEEENSB_INSC_IiEEEEfNS9_4plusIvEEfEEDaPvRmT3_T4_T5_mT6_P12ihipStream_tbENKUlT_T0_E_clISt17integral_constantIbLb0EESV_IbLb1EEEEDaSR_SS_EUlSR_E0_NS1_11comp_targetILNS1_3genE10ELNS1_11target_archE1201ELNS1_3gpuE5ELNS1_3repE0EEENS1_30default_config_static_selectorELNS0_4arch9wavefront6targetE1EEEvT1_
; %bb.0:
	.section	.rodata,"a",@progbits
	.p2align	6, 0x0
	.amdhsa_kernel _ZN7rocprim17ROCPRIM_400000_NS6detail17trampoline_kernelINS0_14default_configENS1_20scan_config_selectorIfEEZZNS1_9scan_implILNS1_25lookback_scan_determinismE0ELb1ELb1ES3_N6thrust23THRUST_200600_302600_NS6detail15normal_iteratorINS9_10device_ptrIfEEEENSB_INSC_IiEEEEfNS9_4plusIvEEfEEDaPvRmT3_T4_T5_mT6_P12ihipStream_tbENKUlT_T0_E_clISt17integral_constantIbLb0EESV_IbLb1EEEEDaSR_SS_EUlSR_E0_NS1_11comp_targetILNS1_3genE10ELNS1_11target_archE1201ELNS1_3gpuE5ELNS1_3repE0EEENS1_30default_config_static_selectorELNS0_4arch9wavefront6targetE1EEEvT1_
		.amdhsa_group_segment_fixed_size 0
		.amdhsa_private_segment_fixed_size 0
		.amdhsa_kernarg_size 32
		.amdhsa_user_sgpr_count 6
		.amdhsa_user_sgpr_private_segment_buffer 1
		.amdhsa_user_sgpr_dispatch_ptr 0
		.amdhsa_user_sgpr_queue_ptr 0
		.amdhsa_user_sgpr_kernarg_segment_ptr 1
		.amdhsa_user_sgpr_dispatch_id 0
		.amdhsa_user_sgpr_flat_scratch_init 0
		.amdhsa_user_sgpr_kernarg_preload_length 0
		.amdhsa_user_sgpr_kernarg_preload_offset 0
		.amdhsa_user_sgpr_private_segment_size 0
		.amdhsa_uses_dynamic_stack 0
		.amdhsa_system_sgpr_private_segment_wavefront_offset 0
		.amdhsa_system_sgpr_workgroup_id_x 1
		.amdhsa_system_sgpr_workgroup_id_y 0
		.amdhsa_system_sgpr_workgroup_id_z 0
		.amdhsa_system_sgpr_workgroup_info 0
		.amdhsa_system_vgpr_workitem_id 0
		.amdhsa_next_free_vgpr 1
		.amdhsa_next_free_sgpr 0
		.amdhsa_accum_offset 4
		.amdhsa_reserve_vcc 0
		.amdhsa_reserve_flat_scratch 0
		.amdhsa_float_round_mode_32 0
		.amdhsa_float_round_mode_16_64 0
		.amdhsa_float_denorm_mode_32 3
		.amdhsa_float_denorm_mode_16_64 3
		.amdhsa_dx10_clamp 1
		.amdhsa_ieee_mode 1
		.amdhsa_fp16_overflow 0
		.amdhsa_tg_split 0
		.amdhsa_exception_fp_ieee_invalid_op 0
		.amdhsa_exception_fp_denorm_src 0
		.amdhsa_exception_fp_ieee_div_zero 0
		.amdhsa_exception_fp_ieee_overflow 0
		.amdhsa_exception_fp_ieee_underflow 0
		.amdhsa_exception_fp_ieee_inexact 0
		.amdhsa_exception_int_div_zero 0
	.end_amdhsa_kernel
	.section	.text._ZN7rocprim17ROCPRIM_400000_NS6detail17trampoline_kernelINS0_14default_configENS1_20scan_config_selectorIfEEZZNS1_9scan_implILNS1_25lookback_scan_determinismE0ELb1ELb1ES3_N6thrust23THRUST_200600_302600_NS6detail15normal_iteratorINS9_10device_ptrIfEEEENSB_INSC_IiEEEEfNS9_4plusIvEEfEEDaPvRmT3_T4_T5_mT6_P12ihipStream_tbENKUlT_T0_E_clISt17integral_constantIbLb0EESV_IbLb1EEEEDaSR_SS_EUlSR_E0_NS1_11comp_targetILNS1_3genE10ELNS1_11target_archE1201ELNS1_3gpuE5ELNS1_3repE0EEENS1_30default_config_static_selectorELNS0_4arch9wavefront6targetE1EEEvT1_,"axG",@progbits,_ZN7rocprim17ROCPRIM_400000_NS6detail17trampoline_kernelINS0_14default_configENS1_20scan_config_selectorIfEEZZNS1_9scan_implILNS1_25lookback_scan_determinismE0ELb1ELb1ES3_N6thrust23THRUST_200600_302600_NS6detail15normal_iteratorINS9_10device_ptrIfEEEENSB_INSC_IiEEEEfNS9_4plusIvEEfEEDaPvRmT3_T4_T5_mT6_P12ihipStream_tbENKUlT_T0_E_clISt17integral_constantIbLb0EESV_IbLb1EEEEDaSR_SS_EUlSR_E0_NS1_11comp_targetILNS1_3genE10ELNS1_11target_archE1201ELNS1_3gpuE5ELNS1_3repE0EEENS1_30default_config_static_selectorELNS0_4arch9wavefront6targetE1EEEvT1_,comdat
.Lfunc_end1637:
	.size	_ZN7rocprim17ROCPRIM_400000_NS6detail17trampoline_kernelINS0_14default_configENS1_20scan_config_selectorIfEEZZNS1_9scan_implILNS1_25lookback_scan_determinismE0ELb1ELb1ES3_N6thrust23THRUST_200600_302600_NS6detail15normal_iteratorINS9_10device_ptrIfEEEENSB_INSC_IiEEEEfNS9_4plusIvEEfEEDaPvRmT3_T4_T5_mT6_P12ihipStream_tbENKUlT_T0_E_clISt17integral_constantIbLb0EESV_IbLb1EEEEDaSR_SS_EUlSR_E0_NS1_11comp_targetILNS1_3genE10ELNS1_11target_archE1201ELNS1_3gpuE5ELNS1_3repE0EEENS1_30default_config_static_selectorELNS0_4arch9wavefront6targetE1EEEvT1_, .Lfunc_end1637-_ZN7rocprim17ROCPRIM_400000_NS6detail17trampoline_kernelINS0_14default_configENS1_20scan_config_selectorIfEEZZNS1_9scan_implILNS1_25lookback_scan_determinismE0ELb1ELb1ES3_N6thrust23THRUST_200600_302600_NS6detail15normal_iteratorINS9_10device_ptrIfEEEENSB_INSC_IiEEEEfNS9_4plusIvEEfEEDaPvRmT3_T4_T5_mT6_P12ihipStream_tbENKUlT_T0_E_clISt17integral_constantIbLb0EESV_IbLb1EEEEDaSR_SS_EUlSR_E0_NS1_11comp_targetILNS1_3genE10ELNS1_11target_archE1201ELNS1_3gpuE5ELNS1_3repE0EEENS1_30default_config_static_selectorELNS0_4arch9wavefront6targetE1EEEvT1_
                                        ; -- End function
	.section	.AMDGPU.csdata,"",@progbits
; Kernel info:
; codeLenInByte = 0
; NumSgprs: 4
; NumVgprs: 0
; NumAgprs: 0
; TotalNumVgprs: 0
; ScratchSize: 0
; MemoryBound: 0
; FloatMode: 240
; IeeeMode: 1
; LDSByteSize: 0 bytes/workgroup (compile time only)
; SGPRBlocks: 0
; VGPRBlocks: 0
; NumSGPRsForWavesPerEU: 4
; NumVGPRsForWavesPerEU: 1
; AccumOffset: 4
; Occupancy: 8
; WaveLimiterHint : 0
; COMPUTE_PGM_RSRC2:SCRATCH_EN: 0
; COMPUTE_PGM_RSRC2:USER_SGPR: 6
; COMPUTE_PGM_RSRC2:TRAP_HANDLER: 0
; COMPUTE_PGM_RSRC2:TGID_X_EN: 1
; COMPUTE_PGM_RSRC2:TGID_Y_EN: 0
; COMPUTE_PGM_RSRC2:TGID_Z_EN: 0
; COMPUTE_PGM_RSRC2:TIDIG_COMP_CNT: 0
; COMPUTE_PGM_RSRC3_GFX90A:ACCUM_OFFSET: 0
; COMPUTE_PGM_RSRC3_GFX90A:TG_SPLIT: 0
	.section	.text._ZN7rocprim17ROCPRIM_400000_NS6detail17trampoline_kernelINS0_14default_configENS1_20scan_config_selectorIfEEZZNS1_9scan_implILNS1_25lookback_scan_determinismE0ELb1ELb1ES3_N6thrust23THRUST_200600_302600_NS6detail15normal_iteratorINS9_10device_ptrIfEEEENSB_INSC_IiEEEEfNS9_4plusIvEEfEEDaPvRmT3_T4_T5_mT6_P12ihipStream_tbENKUlT_T0_E_clISt17integral_constantIbLb0EESV_IbLb1EEEEDaSR_SS_EUlSR_E0_NS1_11comp_targetILNS1_3genE10ELNS1_11target_archE1200ELNS1_3gpuE4ELNS1_3repE0EEENS1_30default_config_static_selectorELNS0_4arch9wavefront6targetE1EEEvT1_,"axG",@progbits,_ZN7rocprim17ROCPRIM_400000_NS6detail17trampoline_kernelINS0_14default_configENS1_20scan_config_selectorIfEEZZNS1_9scan_implILNS1_25lookback_scan_determinismE0ELb1ELb1ES3_N6thrust23THRUST_200600_302600_NS6detail15normal_iteratorINS9_10device_ptrIfEEEENSB_INSC_IiEEEEfNS9_4plusIvEEfEEDaPvRmT3_T4_T5_mT6_P12ihipStream_tbENKUlT_T0_E_clISt17integral_constantIbLb0EESV_IbLb1EEEEDaSR_SS_EUlSR_E0_NS1_11comp_targetILNS1_3genE10ELNS1_11target_archE1200ELNS1_3gpuE4ELNS1_3repE0EEENS1_30default_config_static_selectorELNS0_4arch9wavefront6targetE1EEEvT1_,comdat
	.protected	_ZN7rocprim17ROCPRIM_400000_NS6detail17trampoline_kernelINS0_14default_configENS1_20scan_config_selectorIfEEZZNS1_9scan_implILNS1_25lookback_scan_determinismE0ELb1ELb1ES3_N6thrust23THRUST_200600_302600_NS6detail15normal_iteratorINS9_10device_ptrIfEEEENSB_INSC_IiEEEEfNS9_4plusIvEEfEEDaPvRmT3_T4_T5_mT6_P12ihipStream_tbENKUlT_T0_E_clISt17integral_constantIbLb0EESV_IbLb1EEEEDaSR_SS_EUlSR_E0_NS1_11comp_targetILNS1_3genE10ELNS1_11target_archE1200ELNS1_3gpuE4ELNS1_3repE0EEENS1_30default_config_static_selectorELNS0_4arch9wavefront6targetE1EEEvT1_ ; -- Begin function _ZN7rocprim17ROCPRIM_400000_NS6detail17trampoline_kernelINS0_14default_configENS1_20scan_config_selectorIfEEZZNS1_9scan_implILNS1_25lookback_scan_determinismE0ELb1ELb1ES3_N6thrust23THRUST_200600_302600_NS6detail15normal_iteratorINS9_10device_ptrIfEEEENSB_INSC_IiEEEEfNS9_4plusIvEEfEEDaPvRmT3_T4_T5_mT6_P12ihipStream_tbENKUlT_T0_E_clISt17integral_constantIbLb0EESV_IbLb1EEEEDaSR_SS_EUlSR_E0_NS1_11comp_targetILNS1_3genE10ELNS1_11target_archE1200ELNS1_3gpuE4ELNS1_3repE0EEENS1_30default_config_static_selectorELNS0_4arch9wavefront6targetE1EEEvT1_
	.globl	_ZN7rocprim17ROCPRIM_400000_NS6detail17trampoline_kernelINS0_14default_configENS1_20scan_config_selectorIfEEZZNS1_9scan_implILNS1_25lookback_scan_determinismE0ELb1ELb1ES3_N6thrust23THRUST_200600_302600_NS6detail15normal_iteratorINS9_10device_ptrIfEEEENSB_INSC_IiEEEEfNS9_4plusIvEEfEEDaPvRmT3_T4_T5_mT6_P12ihipStream_tbENKUlT_T0_E_clISt17integral_constantIbLb0EESV_IbLb1EEEEDaSR_SS_EUlSR_E0_NS1_11comp_targetILNS1_3genE10ELNS1_11target_archE1200ELNS1_3gpuE4ELNS1_3repE0EEENS1_30default_config_static_selectorELNS0_4arch9wavefront6targetE1EEEvT1_
	.p2align	8
	.type	_ZN7rocprim17ROCPRIM_400000_NS6detail17trampoline_kernelINS0_14default_configENS1_20scan_config_selectorIfEEZZNS1_9scan_implILNS1_25lookback_scan_determinismE0ELb1ELb1ES3_N6thrust23THRUST_200600_302600_NS6detail15normal_iteratorINS9_10device_ptrIfEEEENSB_INSC_IiEEEEfNS9_4plusIvEEfEEDaPvRmT3_T4_T5_mT6_P12ihipStream_tbENKUlT_T0_E_clISt17integral_constantIbLb0EESV_IbLb1EEEEDaSR_SS_EUlSR_E0_NS1_11comp_targetILNS1_3genE10ELNS1_11target_archE1200ELNS1_3gpuE4ELNS1_3repE0EEENS1_30default_config_static_selectorELNS0_4arch9wavefront6targetE1EEEvT1_,@function
_ZN7rocprim17ROCPRIM_400000_NS6detail17trampoline_kernelINS0_14default_configENS1_20scan_config_selectorIfEEZZNS1_9scan_implILNS1_25lookback_scan_determinismE0ELb1ELb1ES3_N6thrust23THRUST_200600_302600_NS6detail15normal_iteratorINS9_10device_ptrIfEEEENSB_INSC_IiEEEEfNS9_4plusIvEEfEEDaPvRmT3_T4_T5_mT6_P12ihipStream_tbENKUlT_T0_E_clISt17integral_constantIbLb0EESV_IbLb1EEEEDaSR_SS_EUlSR_E0_NS1_11comp_targetILNS1_3genE10ELNS1_11target_archE1200ELNS1_3gpuE4ELNS1_3repE0EEENS1_30default_config_static_selectorELNS0_4arch9wavefront6targetE1EEEvT1_: ; @_ZN7rocprim17ROCPRIM_400000_NS6detail17trampoline_kernelINS0_14default_configENS1_20scan_config_selectorIfEEZZNS1_9scan_implILNS1_25lookback_scan_determinismE0ELb1ELb1ES3_N6thrust23THRUST_200600_302600_NS6detail15normal_iteratorINS9_10device_ptrIfEEEENSB_INSC_IiEEEEfNS9_4plusIvEEfEEDaPvRmT3_T4_T5_mT6_P12ihipStream_tbENKUlT_T0_E_clISt17integral_constantIbLb0EESV_IbLb1EEEEDaSR_SS_EUlSR_E0_NS1_11comp_targetILNS1_3genE10ELNS1_11target_archE1200ELNS1_3gpuE4ELNS1_3repE0EEENS1_30default_config_static_selectorELNS0_4arch9wavefront6targetE1EEEvT1_
; %bb.0:
	.section	.rodata,"a",@progbits
	.p2align	6, 0x0
	.amdhsa_kernel _ZN7rocprim17ROCPRIM_400000_NS6detail17trampoline_kernelINS0_14default_configENS1_20scan_config_selectorIfEEZZNS1_9scan_implILNS1_25lookback_scan_determinismE0ELb1ELb1ES3_N6thrust23THRUST_200600_302600_NS6detail15normal_iteratorINS9_10device_ptrIfEEEENSB_INSC_IiEEEEfNS9_4plusIvEEfEEDaPvRmT3_T4_T5_mT6_P12ihipStream_tbENKUlT_T0_E_clISt17integral_constantIbLb0EESV_IbLb1EEEEDaSR_SS_EUlSR_E0_NS1_11comp_targetILNS1_3genE10ELNS1_11target_archE1200ELNS1_3gpuE4ELNS1_3repE0EEENS1_30default_config_static_selectorELNS0_4arch9wavefront6targetE1EEEvT1_
		.amdhsa_group_segment_fixed_size 0
		.amdhsa_private_segment_fixed_size 0
		.amdhsa_kernarg_size 32
		.amdhsa_user_sgpr_count 6
		.amdhsa_user_sgpr_private_segment_buffer 1
		.amdhsa_user_sgpr_dispatch_ptr 0
		.amdhsa_user_sgpr_queue_ptr 0
		.amdhsa_user_sgpr_kernarg_segment_ptr 1
		.amdhsa_user_sgpr_dispatch_id 0
		.amdhsa_user_sgpr_flat_scratch_init 0
		.amdhsa_user_sgpr_kernarg_preload_length 0
		.amdhsa_user_sgpr_kernarg_preload_offset 0
		.amdhsa_user_sgpr_private_segment_size 0
		.amdhsa_uses_dynamic_stack 0
		.amdhsa_system_sgpr_private_segment_wavefront_offset 0
		.amdhsa_system_sgpr_workgroup_id_x 1
		.amdhsa_system_sgpr_workgroup_id_y 0
		.amdhsa_system_sgpr_workgroup_id_z 0
		.amdhsa_system_sgpr_workgroup_info 0
		.amdhsa_system_vgpr_workitem_id 0
		.amdhsa_next_free_vgpr 1
		.amdhsa_next_free_sgpr 0
		.amdhsa_accum_offset 4
		.amdhsa_reserve_vcc 0
		.amdhsa_reserve_flat_scratch 0
		.amdhsa_float_round_mode_32 0
		.amdhsa_float_round_mode_16_64 0
		.amdhsa_float_denorm_mode_32 3
		.amdhsa_float_denorm_mode_16_64 3
		.amdhsa_dx10_clamp 1
		.amdhsa_ieee_mode 1
		.amdhsa_fp16_overflow 0
		.amdhsa_tg_split 0
		.amdhsa_exception_fp_ieee_invalid_op 0
		.amdhsa_exception_fp_denorm_src 0
		.amdhsa_exception_fp_ieee_div_zero 0
		.amdhsa_exception_fp_ieee_overflow 0
		.amdhsa_exception_fp_ieee_underflow 0
		.amdhsa_exception_fp_ieee_inexact 0
		.amdhsa_exception_int_div_zero 0
	.end_amdhsa_kernel
	.section	.text._ZN7rocprim17ROCPRIM_400000_NS6detail17trampoline_kernelINS0_14default_configENS1_20scan_config_selectorIfEEZZNS1_9scan_implILNS1_25lookback_scan_determinismE0ELb1ELb1ES3_N6thrust23THRUST_200600_302600_NS6detail15normal_iteratorINS9_10device_ptrIfEEEENSB_INSC_IiEEEEfNS9_4plusIvEEfEEDaPvRmT3_T4_T5_mT6_P12ihipStream_tbENKUlT_T0_E_clISt17integral_constantIbLb0EESV_IbLb1EEEEDaSR_SS_EUlSR_E0_NS1_11comp_targetILNS1_3genE10ELNS1_11target_archE1200ELNS1_3gpuE4ELNS1_3repE0EEENS1_30default_config_static_selectorELNS0_4arch9wavefront6targetE1EEEvT1_,"axG",@progbits,_ZN7rocprim17ROCPRIM_400000_NS6detail17trampoline_kernelINS0_14default_configENS1_20scan_config_selectorIfEEZZNS1_9scan_implILNS1_25lookback_scan_determinismE0ELb1ELb1ES3_N6thrust23THRUST_200600_302600_NS6detail15normal_iteratorINS9_10device_ptrIfEEEENSB_INSC_IiEEEEfNS9_4plusIvEEfEEDaPvRmT3_T4_T5_mT6_P12ihipStream_tbENKUlT_T0_E_clISt17integral_constantIbLb0EESV_IbLb1EEEEDaSR_SS_EUlSR_E0_NS1_11comp_targetILNS1_3genE10ELNS1_11target_archE1200ELNS1_3gpuE4ELNS1_3repE0EEENS1_30default_config_static_selectorELNS0_4arch9wavefront6targetE1EEEvT1_,comdat
.Lfunc_end1638:
	.size	_ZN7rocprim17ROCPRIM_400000_NS6detail17trampoline_kernelINS0_14default_configENS1_20scan_config_selectorIfEEZZNS1_9scan_implILNS1_25lookback_scan_determinismE0ELb1ELb1ES3_N6thrust23THRUST_200600_302600_NS6detail15normal_iteratorINS9_10device_ptrIfEEEENSB_INSC_IiEEEEfNS9_4plusIvEEfEEDaPvRmT3_T4_T5_mT6_P12ihipStream_tbENKUlT_T0_E_clISt17integral_constantIbLb0EESV_IbLb1EEEEDaSR_SS_EUlSR_E0_NS1_11comp_targetILNS1_3genE10ELNS1_11target_archE1200ELNS1_3gpuE4ELNS1_3repE0EEENS1_30default_config_static_selectorELNS0_4arch9wavefront6targetE1EEEvT1_, .Lfunc_end1638-_ZN7rocprim17ROCPRIM_400000_NS6detail17trampoline_kernelINS0_14default_configENS1_20scan_config_selectorIfEEZZNS1_9scan_implILNS1_25lookback_scan_determinismE0ELb1ELb1ES3_N6thrust23THRUST_200600_302600_NS6detail15normal_iteratorINS9_10device_ptrIfEEEENSB_INSC_IiEEEEfNS9_4plusIvEEfEEDaPvRmT3_T4_T5_mT6_P12ihipStream_tbENKUlT_T0_E_clISt17integral_constantIbLb0EESV_IbLb1EEEEDaSR_SS_EUlSR_E0_NS1_11comp_targetILNS1_3genE10ELNS1_11target_archE1200ELNS1_3gpuE4ELNS1_3repE0EEENS1_30default_config_static_selectorELNS0_4arch9wavefront6targetE1EEEvT1_
                                        ; -- End function
	.section	.AMDGPU.csdata,"",@progbits
; Kernel info:
; codeLenInByte = 0
; NumSgprs: 4
; NumVgprs: 0
; NumAgprs: 0
; TotalNumVgprs: 0
; ScratchSize: 0
; MemoryBound: 0
; FloatMode: 240
; IeeeMode: 1
; LDSByteSize: 0 bytes/workgroup (compile time only)
; SGPRBlocks: 0
; VGPRBlocks: 0
; NumSGPRsForWavesPerEU: 4
; NumVGPRsForWavesPerEU: 1
; AccumOffset: 4
; Occupancy: 8
; WaveLimiterHint : 0
; COMPUTE_PGM_RSRC2:SCRATCH_EN: 0
; COMPUTE_PGM_RSRC2:USER_SGPR: 6
; COMPUTE_PGM_RSRC2:TRAP_HANDLER: 0
; COMPUTE_PGM_RSRC2:TGID_X_EN: 1
; COMPUTE_PGM_RSRC2:TGID_Y_EN: 0
; COMPUTE_PGM_RSRC2:TGID_Z_EN: 0
; COMPUTE_PGM_RSRC2:TIDIG_COMP_CNT: 0
; COMPUTE_PGM_RSRC3_GFX90A:ACCUM_OFFSET: 0
; COMPUTE_PGM_RSRC3_GFX90A:TG_SPLIT: 0
	.section	.text._ZN7rocprim17ROCPRIM_400000_NS6detail17trampoline_kernelINS0_14default_configENS1_20scan_config_selectorIfEEZZNS1_9scan_implILNS1_25lookback_scan_determinismE0ELb1ELb1ES3_N6thrust23THRUST_200600_302600_NS6detail15normal_iteratorINS9_10device_ptrIfEEEENSB_INSC_IiEEEEfNS9_4plusIvEEfEEDaPvRmT3_T4_T5_mT6_P12ihipStream_tbENKUlT_T0_E_clISt17integral_constantIbLb0EESV_IbLb1EEEEDaSR_SS_EUlSR_E0_NS1_11comp_targetILNS1_3genE9ELNS1_11target_archE1100ELNS1_3gpuE3ELNS1_3repE0EEENS1_30default_config_static_selectorELNS0_4arch9wavefront6targetE1EEEvT1_,"axG",@progbits,_ZN7rocprim17ROCPRIM_400000_NS6detail17trampoline_kernelINS0_14default_configENS1_20scan_config_selectorIfEEZZNS1_9scan_implILNS1_25lookback_scan_determinismE0ELb1ELb1ES3_N6thrust23THRUST_200600_302600_NS6detail15normal_iteratorINS9_10device_ptrIfEEEENSB_INSC_IiEEEEfNS9_4plusIvEEfEEDaPvRmT3_T4_T5_mT6_P12ihipStream_tbENKUlT_T0_E_clISt17integral_constantIbLb0EESV_IbLb1EEEEDaSR_SS_EUlSR_E0_NS1_11comp_targetILNS1_3genE9ELNS1_11target_archE1100ELNS1_3gpuE3ELNS1_3repE0EEENS1_30default_config_static_selectorELNS0_4arch9wavefront6targetE1EEEvT1_,comdat
	.protected	_ZN7rocprim17ROCPRIM_400000_NS6detail17trampoline_kernelINS0_14default_configENS1_20scan_config_selectorIfEEZZNS1_9scan_implILNS1_25lookback_scan_determinismE0ELb1ELb1ES3_N6thrust23THRUST_200600_302600_NS6detail15normal_iteratorINS9_10device_ptrIfEEEENSB_INSC_IiEEEEfNS9_4plusIvEEfEEDaPvRmT3_T4_T5_mT6_P12ihipStream_tbENKUlT_T0_E_clISt17integral_constantIbLb0EESV_IbLb1EEEEDaSR_SS_EUlSR_E0_NS1_11comp_targetILNS1_3genE9ELNS1_11target_archE1100ELNS1_3gpuE3ELNS1_3repE0EEENS1_30default_config_static_selectorELNS0_4arch9wavefront6targetE1EEEvT1_ ; -- Begin function _ZN7rocprim17ROCPRIM_400000_NS6detail17trampoline_kernelINS0_14default_configENS1_20scan_config_selectorIfEEZZNS1_9scan_implILNS1_25lookback_scan_determinismE0ELb1ELb1ES3_N6thrust23THRUST_200600_302600_NS6detail15normal_iteratorINS9_10device_ptrIfEEEENSB_INSC_IiEEEEfNS9_4plusIvEEfEEDaPvRmT3_T4_T5_mT6_P12ihipStream_tbENKUlT_T0_E_clISt17integral_constantIbLb0EESV_IbLb1EEEEDaSR_SS_EUlSR_E0_NS1_11comp_targetILNS1_3genE9ELNS1_11target_archE1100ELNS1_3gpuE3ELNS1_3repE0EEENS1_30default_config_static_selectorELNS0_4arch9wavefront6targetE1EEEvT1_
	.globl	_ZN7rocprim17ROCPRIM_400000_NS6detail17trampoline_kernelINS0_14default_configENS1_20scan_config_selectorIfEEZZNS1_9scan_implILNS1_25lookback_scan_determinismE0ELb1ELb1ES3_N6thrust23THRUST_200600_302600_NS6detail15normal_iteratorINS9_10device_ptrIfEEEENSB_INSC_IiEEEEfNS9_4plusIvEEfEEDaPvRmT3_T4_T5_mT6_P12ihipStream_tbENKUlT_T0_E_clISt17integral_constantIbLb0EESV_IbLb1EEEEDaSR_SS_EUlSR_E0_NS1_11comp_targetILNS1_3genE9ELNS1_11target_archE1100ELNS1_3gpuE3ELNS1_3repE0EEENS1_30default_config_static_selectorELNS0_4arch9wavefront6targetE1EEEvT1_
	.p2align	8
	.type	_ZN7rocprim17ROCPRIM_400000_NS6detail17trampoline_kernelINS0_14default_configENS1_20scan_config_selectorIfEEZZNS1_9scan_implILNS1_25lookback_scan_determinismE0ELb1ELb1ES3_N6thrust23THRUST_200600_302600_NS6detail15normal_iteratorINS9_10device_ptrIfEEEENSB_INSC_IiEEEEfNS9_4plusIvEEfEEDaPvRmT3_T4_T5_mT6_P12ihipStream_tbENKUlT_T0_E_clISt17integral_constantIbLb0EESV_IbLb1EEEEDaSR_SS_EUlSR_E0_NS1_11comp_targetILNS1_3genE9ELNS1_11target_archE1100ELNS1_3gpuE3ELNS1_3repE0EEENS1_30default_config_static_selectorELNS0_4arch9wavefront6targetE1EEEvT1_,@function
_ZN7rocprim17ROCPRIM_400000_NS6detail17trampoline_kernelINS0_14default_configENS1_20scan_config_selectorIfEEZZNS1_9scan_implILNS1_25lookback_scan_determinismE0ELb1ELb1ES3_N6thrust23THRUST_200600_302600_NS6detail15normal_iteratorINS9_10device_ptrIfEEEENSB_INSC_IiEEEEfNS9_4plusIvEEfEEDaPvRmT3_T4_T5_mT6_P12ihipStream_tbENKUlT_T0_E_clISt17integral_constantIbLb0EESV_IbLb1EEEEDaSR_SS_EUlSR_E0_NS1_11comp_targetILNS1_3genE9ELNS1_11target_archE1100ELNS1_3gpuE3ELNS1_3repE0EEENS1_30default_config_static_selectorELNS0_4arch9wavefront6targetE1EEEvT1_: ; @_ZN7rocprim17ROCPRIM_400000_NS6detail17trampoline_kernelINS0_14default_configENS1_20scan_config_selectorIfEEZZNS1_9scan_implILNS1_25lookback_scan_determinismE0ELb1ELb1ES3_N6thrust23THRUST_200600_302600_NS6detail15normal_iteratorINS9_10device_ptrIfEEEENSB_INSC_IiEEEEfNS9_4plusIvEEfEEDaPvRmT3_T4_T5_mT6_P12ihipStream_tbENKUlT_T0_E_clISt17integral_constantIbLb0EESV_IbLb1EEEEDaSR_SS_EUlSR_E0_NS1_11comp_targetILNS1_3genE9ELNS1_11target_archE1100ELNS1_3gpuE3ELNS1_3repE0EEENS1_30default_config_static_selectorELNS0_4arch9wavefront6targetE1EEEvT1_
; %bb.0:
	.section	.rodata,"a",@progbits
	.p2align	6, 0x0
	.amdhsa_kernel _ZN7rocprim17ROCPRIM_400000_NS6detail17trampoline_kernelINS0_14default_configENS1_20scan_config_selectorIfEEZZNS1_9scan_implILNS1_25lookback_scan_determinismE0ELb1ELb1ES3_N6thrust23THRUST_200600_302600_NS6detail15normal_iteratorINS9_10device_ptrIfEEEENSB_INSC_IiEEEEfNS9_4plusIvEEfEEDaPvRmT3_T4_T5_mT6_P12ihipStream_tbENKUlT_T0_E_clISt17integral_constantIbLb0EESV_IbLb1EEEEDaSR_SS_EUlSR_E0_NS1_11comp_targetILNS1_3genE9ELNS1_11target_archE1100ELNS1_3gpuE3ELNS1_3repE0EEENS1_30default_config_static_selectorELNS0_4arch9wavefront6targetE1EEEvT1_
		.amdhsa_group_segment_fixed_size 0
		.amdhsa_private_segment_fixed_size 0
		.amdhsa_kernarg_size 32
		.amdhsa_user_sgpr_count 6
		.amdhsa_user_sgpr_private_segment_buffer 1
		.amdhsa_user_sgpr_dispatch_ptr 0
		.amdhsa_user_sgpr_queue_ptr 0
		.amdhsa_user_sgpr_kernarg_segment_ptr 1
		.amdhsa_user_sgpr_dispatch_id 0
		.amdhsa_user_sgpr_flat_scratch_init 0
		.amdhsa_user_sgpr_kernarg_preload_length 0
		.amdhsa_user_sgpr_kernarg_preload_offset 0
		.amdhsa_user_sgpr_private_segment_size 0
		.amdhsa_uses_dynamic_stack 0
		.amdhsa_system_sgpr_private_segment_wavefront_offset 0
		.amdhsa_system_sgpr_workgroup_id_x 1
		.amdhsa_system_sgpr_workgroup_id_y 0
		.amdhsa_system_sgpr_workgroup_id_z 0
		.amdhsa_system_sgpr_workgroup_info 0
		.amdhsa_system_vgpr_workitem_id 0
		.amdhsa_next_free_vgpr 1
		.amdhsa_next_free_sgpr 0
		.amdhsa_accum_offset 4
		.amdhsa_reserve_vcc 0
		.amdhsa_reserve_flat_scratch 0
		.amdhsa_float_round_mode_32 0
		.amdhsa_float_round_mode_16_64 0
		.amdhsa_float_denorm_mode_32 3
		.amdhsa_float_denorm_mode_16_64 3
		.amdhsa_dx10_clamp 1
		.amdhsa_ieee_mode 1
		.amdhsa_fp16_overflow 0
		.amdhsa_tg_split 0
		.amdhsa_exception_fp_ieee_invalid_op 0
		.amdhsa_exception_fp_denorm_src 0
		.amdhsa_exception_fp_ieee_div_zero 0
		.amdhsa_exception_fp_ieee_overflow 0
		.amdhsa_exception_fp_ieee_underflow 0
		.amdhsa_exception_fp_ieee_inexact 0
		.amdhsa_exception_int_div_zero 0
	.end_amdhsa_kernel
	.section	.text._ZN7rocprim17ROCPRIM_400000_NS6detail17trampoline_kernelINS0_14default_configENS1_20scan_config_selectorIfEEZZNS1_9scan_implILNS1_25lookback_scan_determinismE0ELb1ELb1ES3_N6thrust23THRUST_200600_302600_NS6detail15normal_iteratorINS9_10device_ptrIfEEEENSB_INSC_IiEEEEfNS9_4plusIvEEfEEDaPvRmT3_T4_T5_mT6_P12ihipStream_tbENKUlT_T0_E_clISt17integral_constantIbLb0EESV_IbLb1EEEEDaSR_SS_EUlSR_E0_NS1_11comp_targetILNS1_3genE9ELNS1_11target_archE1100ELNS1_3gpuE3ELNS1_3repE0EEENS1_30default_config_static_selectorELNS0_4arch9wavefront6targetE1EEEvT1_,"axG",@progbits,_ZN7rocprim17ROCPRIM_400000_NS6detail17trampoline_kernelINS0_14default_configENS1_20scan_config_selectorIfEEZZNS1_9scan_implILNS1_25lookback_scan_determinismE0ELb1ELb1ES3_N6thrust23THRUST_200600_302600_NS6detail15normal_iteratorINS9_10device_ptrIfEEEENSB_INSC_IiEEEEfNS9_4plusIvEEfEEDaPvRmT3_T4_T5_mT6_P12ihipStream_tbENKUlT_T0_E_clISt17integral_constantIbLb0EESV_IbLb1EEEEDaSR_SS_EUlSR_E0_NS1_11comp_targetILNS1_3genE9ELNS1_11target_archE1100ELNS1_3gpuE3ELNS1_3repE0EEENS1_30default_config_static_selectorELNS0_4arch9wavefront6targetE1EEEvT1_,comdat
.Lfunc_end1639:
	.size	_ZN7rocprim17ROCPRIM_400000_NS6detail17trampoline_kernelINS0_14default_configENS1_20scan_config_selectorIfEEZZNS1_9scan_implILNS1_25lookback_scan_determinismE0ELb1ELb1ES3_N6thrust23THRUST_200600_302600_NS6detail15normal_iteratorINS9_10device_ptrIfEEEENSB_INSC_IiEEEEfNS9_4plusIvEEfEEDaPvRmT3_T4_T5_mT6_P12ihipStream_tbENKUlT_T0_E_clISt17integral_constantIbLb0EESV_IbLb1EEEEDaSR_SS_EUlSR_E0_NS1_11comp_targetILNS1_3genE9ELNS1_11target_archE1100ELNS1_3gpuE3ELNS1_3repE0EEENS1_30default_config_static_selectorELNS0_4arch9wavefront6targetE1EEEvT1_, .Lfunc_end1639-_ZN7rocprim17ROCPRIM_400000_NS6detail17trampoline_kernelINS0_14default_configENS1_20scan_config_selectorIfEEZZNS1_9scan_implILNS1_25lookback_scan_determinismE0ELb1ELb1ES3_N6thrust23THRUST_200600_302600_NS6detail15normal_iteratorINS9_10device_ptrIfEEEENSB_INSC_IiEEEEfNS9_4plusIvEEfEEDaPvRmT3_T4_T5_mT6_P12ihipStream_tbENKUlT_T0_E_clISt17integral_constantIbLb0EESV_IbLb1EEEEDaSR_SS_EUlSR_E0_NS1_11comp_targetILNS1_3genE9ELNS1_11target_archE1100ELNS1_3gpuE3ELNS1_3repE0EEENS1_30default_config_static_selectorELNS0_4arch9wavefront6targetE1EEEvT1_
                                        ; -- End function
	.section	.AMDGPU.csdata,"",@progbits
; Kernel info:
; codeLenInByte = 0
; NumSgprs: 4
; NumVgprs: 0
; NumAgprs: 0
; TotalNumVgprs: 0
; ScratchSize: 0
; MemoryBound: 0
; FloatMode: 240
; IeeeMode: 1
; LDSByteSize: 0 bytes/workgroup (compile time only)
; SGPRBlocks: 0
; VGPRBlocks: 0
; NumSGPRsForWavesPerEU: 4
; NumVGPRsForWavesPerEU: 1
; AccumOffset: 4
; Occupancy: 8
; WaveLimiterHint : 0
; COMPUTE_PGM_RSRC2:SCRATCH_EN: 0
; COMPUTE_PGM_RSRC2:USER_SGPR: 6
; COMPUTE_PGM_RSRC2:TRAP_HANDLER: 0
; COMPUTE_PGM_RSRC2:TGID_X_EN: 1
; COMPUTE_PGM_RSRC2:TGID_Y_EN: 0
; COMPUTE_PGM_RSRC2:TGID_Z_EN: 0
; COMPUTE_PGM_RSRC2:TIDIG_COMP_CNT: 0
; COMPUTE_PGM_RSRC3_GFX90A:ACCUM_OFFSET: 0
; COMPUTE_PGM_RSRC3_GFX90A:TG_SPLIT: 0
	.section	.text._ZN7rocprim17ROCPRIM_400000_NS6detail17trampoline_kernelINS0_14default_configENS1_20scan_config_selectorIfEEZZNS1_9scan_implILNS1_25lookback_scan_determinismE0ELb1ELb1ES3_N6thrust23THRUST_200600_302600_NS6detail15normal_iteratorINS9_10device_ptrIfEEEENSB_INSC_IiEEEEfNS9_4plusIvEEfEEDaPvRmT3_T4_T5_mT6_P12ihipStream_tbENKUlT_T0_E_clISt17integral_constantIbLb0EESV_IbLb1EEEEDaSR_SS_EUlSR_E0_NS1_11comp_targetILNS1_3genE8ELNS1_11target_archE1030ELNS1_3gpuE2ELNS1_3repE0EEENS1_30default_config_static_selectorELNS0_4arch9wavefront6targetE1EEEvT1_,"axG",@progbits,_ZN7rocprim17ROCPRIM_400000_NS6detail17trampoline_kernelINS0_14default_configENS1_20scan_config_selectorIfEEZZNS1_9scan_implILNS1_25lookback_scan_determinismE0ELb1ELb1ES3_N6thrust23THRUST_200600_302600_NS6detail15normal_iteratorINS9_10device_ptrIfEEEENSB_INSC_IiEEEEfNS9_4plusIvEEfEEDaPvRmT3_T4_T5_mT6_P12ihipStream_tbENKUlT_T0_E_clISt17integral_constantIbLb0EESV_IbLb1EEEEDaSR_SS_EUlSR_E0_NS1_11comp_targetILNS1_3genE8ELNS1_11target_archE1030ELNS1_3gpuE2ELNS1_3repE0EEENS1_30default_config_static_selectorELNS0_4arch9wavefront6targetE1EEEvT1_,comdat
	.protected	_ZN7rocprim17ROCPRIM_400000_NS6detail17trampoline_kernelINS0_14default_configENS1_20scan_config_selectorIfEEZZNS1_9scan_implILNS1_25lookback_scan_determinismE0ELb1ELb1ES3_N6thrust23THRUST_200600_302600_NS6detail15normal_iteratorINS9_10device_ptrIfEEEENSB_INSC_IiEEEEfNS9_4plusIvEEfEEDaPvRmT3_T4_T5_mT6_P12ihipStream_tbENKUlT_T0_E_clISt17integral_constantIbLb0EESV_IbLb1EEEEDaSR_SS_EUlSR_E0_NS1_11comp_targetILNS1_3genE8ELNS1_11target_archE1030ELNS1_3gpuE2ELNS1_3repE0EEENS1_30default_config_static_selectorELNS0_4arch9wavefront6targetE1EEEvT1_ ; -- Begin function _ZN7rocprim17ROCPRIM_400000_NS6detail17trampoline_kernelINS0_14default_configENS1_20scan_config_selectorIfEEZZNS1_9scan_implILNS1_25lookback_scan_determinismE0ELb1ELb1ES3_N6thrust23THRUST_200600_302600_NS6detail15normal_iteratorINS9_10device_ptrIfEEEENSB_INSC_IiEEEEfNS9_4plusIvEEfEEDaPvRmT3_T4_T5_mT6_P12ihipStream_tbENKUlT_T0_E_clISt17integral_constantIbLb0EESV_IbLb1EEEEDaSR_SS_EUlSR_E0_NS1_11comp_targetILNS1_3genE8ELNS1_11target_archE1030ELNS1_3gpuE2ELNS1_3repE0EEENS1_30default_config_static_selectorELNS0_4arch9wavefront6targetE1EEEvT1_
	.globl	_ZN7rocprim17ROCPRIM_400000_NS6detail17trampoline_kernelINS0_14default_configENS1_20scan_config_selectorIfEEZZNS1_9scan_implILNS1_25lookback_scan_determinismE0ELb1ELb1ES3_N6thrust23THRUST_200600_302600_NS6detail15normal_iteratorINS9_10device_ptrIfEEEENSB_INSC_IiEEEEfNS9_4plusIvEEfEEDaPvRmT3_T4_T5_mT6_P12ihipStream_tbENKUlT_T0_E_clISt17integral_constantIbLb0EESV_IbLb1EEEEDaSR_SS_EUlSR_E0_NS1_11comp_targetILNS1_3genE8ELNS1_11target_archE1030ELNS1_3gpuE2ELNS1_3repE0EEENS1_30default_config_static_selectorELNS0_4arch9wavefront6targetE1EEEvT1_
	.p2align	8
	.type	_ZN7rocprim17ROCPRIM_400000_NS6detail17trampoline_kernelINS0_14default_configENS1_20scan_config_selectorIfEEZZNS1_9scan_implILNS1_25lookback_scan_determinismE0ELb1ELb1ES3_N6thrust23THRUST_200600_302600_NS6detail15normal_iteratorINS9_10device_ptrIfEEEENSB_INSC_IiEEEEfNS9_4plusIvEEfEEDaPvRmT3_T4_T5_mT6_P12ihipStream_tbENKUlT_T0_E_clISt17integral_constantIbLb0EESV_IbLb1EEEEDaSR_SS_EUlSR_E0_NS1_11comp_targetILNS1_3genE8ELNS1_11target_archE1030ELNS1_3gpuE2ELNS1_3repE0EEENS1_30default_config_static_selectorELNS0_4arch9wavefront6targetE1EEEvT1_,@function
_ZN7rocprim17ROCPRIM_400000_NS6detail17trampoline_kernelINS0_14default_configENS1_20scan_config_selectorIfEEZZNS1_9scan_implILNS1_25lookback_scan_determinismE0ELb1ELb1ES3_N6thrust23THRUST_200600_302600_NS6detail15normal_iteratorINS9_10device_ptrIfEEEENSB_INSC_IiEEEEfNS9_4plusIvEEfEEDaPvRmT3_T4_T5_mT6_P12ihipStream_tbENKUlT_T0_E_clISt17integral_constantIbLb0EESV_IbLb1EEEEDaSR_SS_EUlSR_E0_NS1_11comp_targetILNS1_3genE8ELNS1_11target_archE1030ELNS1_3gpuE2ELNS1_3repE0EEENS1_30default_config_static_selectorELNS0_4arch9wavefront6targetE1EEEvT1_: ; @_ZN7rocprim17ROCPRIM_400000_NS6detail17trampoline_kernelINS0_14default_configENS1_20scan_config_selectorIfEEZZNS1_9scan_implILNS1_25lookback_scan_determinismE0ELb1ELb1ES3_N6thrust23THRUST_200600_302600_NS6detail15normal_iteratorINS9_10device_ptrIfEEEENSB_INSC_IiEEEEfNS9_4plusIvEEfEEDaPvRmT3_T4_T5_mT6_P12ihipStream_tbENKUlT_T0_E_clISt17integral_constantIbLb0EESV_IbLb1EEEEDaSR_SS_EUlSR_E0_NS1_11comp_targetILNS1_3genE8ELNS1_11target_archE1030ELNS1_3gpuE2ELNS1_3repE0EEENS1_30default_config_static_selectorELNS0_4arch9wavefront6targetE1EEEvT1_
; %bb.0:
	.section	.rodata,"a",@progbits
	.p2align	6, 0x0
	.amdhsa_kernel _ZN7rocprim17ROCPRIM_400000_NS6detail17trampoline_kernelINS0_14default_configENS1_20scan_config_selectorIfEEZZNS1_9scan_implILNS1_25lookback_scan_determinismE0ELb1ELb1ES3_N6thrust23THRUST_200600_302600_NS6detail15normal_iteratorINS9_10device_ptrIfEEEENSB_INSC_IiEEEEfNS9_4plusIvEEfEEDaPvRmT3_T4_T5_mT6_P12ihipStream_tbENKUlT_T0_E_clISt17integral_constantIbLb0EESV_IbLb1EEEEDaSR_SS_EUlSR_E0_NS1_11comp_targetILNS1_3genE8ELNS1_11target_archE1030ELNS1_3gpuE2ELNS1_3repE0EEENS1_30default_config_static_selectorELNS0_4arch9wavefront6targetE1EEEvT1_
		.amdhsa_group_segment_fixed_size 0
		.amdhsa_private_segment_fixed_size 0
		.amdhsa_kernarg_size 32
		.amdhsa_user_sgpr_count 6
		.amdhsa_user_sgpr_private_segment_buffer 1
		.amdhsa_user_sgpr_dispatch_ptr 0
		.amdhsa_user_sgpr_queue_ptr 0
		.amdhsa_user_sgpr_kernarg_segment_ptr 1
		.amdhsa_user_sgpr_dispatch_id 0
		.amdhsa_user_sgpr_flat_scratch_init 0
		.amdhsa_user_sgpr_kernarg_preload_length 0
		.amdhsa_user_sgpr_kernarg_preload_offset 0
		.amdhsa_user_sgpr_private_segment_size 0
		.amdhsa_uses_dynamic_stack 0
		.amdhsa_system_sgpr_private_segment_wavefront_offset 0
		.amdhsa_system_sgpr_workgroup_id_x 1
		.amdhsa_system_sgpr_workgroup_id_y 0
		.amdhsa_system_sgpr_workgroup_id_z 0
		.amdhsa_system_sgpr_workgroup_info 0
		.amdhsa_system_vgpr_workitem_id 0
		.amdhsa_next_free_vgpr 1
		.amdhsa_next_free_sgpr 0
		.amdhsa_accum_offset 4
		.amdhsa_reserve_vcc 0
		.amdhsa_reserve_flat_scratch 0
		.amdhsa_float_round_mode_32 0
		.amdhsa_float_round_mode_16_64 0
		.amdhsa_float_denorm_mode_32 3
		.amdhsa_float_denorm_mode_16_64 3
		.amdhsa_dx10_clamp 1
		.amdhsa_ieee_mode 1
		.amdhsa_fp16_overflow 0
		.amdhsa_tg_split 0
		.amdhsa_exception_fp_ieee_invalid_op 0
		.amdhsa_exception_fp_denorm_src 0
		.amdhsa_exception_fp_ieee_div_zero 0
		.amdhsa_exception_fp_ieee_overflow 0
		.amdhsa_exception_fp_ieee_underflow 0
		.amdhsa_exception_fp_ieee_inexact 0
		.amdhsa_exception_int_div_zero 0
	.end_amdhsa_kernel
	.section	.text._ZN7rocprim17ROCPRIM_400000_NS6detail17trampoline_kernelINS0_14default_configENS1_20scan_config_selectorIfEEZZNS1_9scan_implILNS1_25lookback_scan_determinismE0ELb1ELb1ES3_N6thrust23THRUST_200600_302600_NS6detail15normal_iteratorINS9_10device_ptrIfEEEENSB_INSC_IiEEEEfNS9_4plusIvEEfEEDaPvRmT3_T4_T5_mT6_P12ihipStream_tbENKUlT_T0_E_clISt17integral_constantIbLb0EESV_IbLb1EEEEDaSR_SS_EUlSR_E0_NS1_11comp_targetILNS1_3genE8ELNS1_11target_archE1030ELNS1_3gpuE2ELNS1_3repE0EEENS1_30default_config_static_selectorELNS0_4arch9wavefront6targetE1EEEvT1_,"axG",@progbits,_ZN7rocprim17ROCPRIM_400000_NS6detail17trampoline_kernelINS0_14default_configENS1_20scan_config_selectorIfEEZZNS1_9scan_implILNS1_25lookback_scan_determinismE0ELb1ELb1ES3_N6thrust23THRUST_200600_302600_NS6detail15normal_iteratorINS9_10device_ptrIfEEEENSB_INSC_IiEEEEfNS9_4plusIvEEfEEDaPvRmT3_T4_T5_mT6_P12ihipStream_tbENKUlT_T0_E_clISt17integral_constantIbLb0EESV_IbLb1EEEEDaSR_SS_EUlSR_E0_NS1_11comp_targetILNS1_3genE8ELNS1_11target_archE1030ELNS1_3gpuE2ELNS1_3repE0EEENS1_30default_config_static_selectorELNS0_4arch9wavefront6targetE1EEEvT1_,comdat
.Lfunc_end1640:
	.size	_ZN7rocprim17ROCPRIM_400000_NS6detail17trampoline_kernelINS0_14default_configENS1_20scan_config_selectorIfEEZZNS1_9scan_implILNS1_25lookback_scan_determinismE0ELb1ELb1ES3_N6thrust23THRUST_200600_302600_NS6detail15normal_iteratorINS9_10device_ptrIfEEEENSB_INSC_IiEEEEfNS9_4plusIvEEfEEDaPvRmT3_T4_T5_mT6_P12ihipStream_tbENKUlT_T0_E_clISt17integral_constantIbLb0EESV_IbLb1EEEEDaSR_SS_EUlSR_E0_NS1_11comp_targetILNS1_3genE8ELNS1_11target_archE1030ELNS1_3gpuE2ELNS1_3repE0EEENS1_30default_config_static_selectorELNS0_4arch9wavefront6targetE1EEEvT1_, .Lfunc_end1640-_ZN7rocprim17ROCPRIM_400000_NS6detail17trampoline_kernelINS0_14default_configENS1_20scan_config_selectorIfEEZZNS1_9scan_implILNS1_25lookback_scan_determinismE0ELb1ELb1ES3_N6thrust23THRUST_200600_302600_NS6detail15normal_iteratorINS9_10device_ptrIfEEEENSB_INSC_IiEEEEfNS9_4plusIvEEfEEDaPvRmT3_T4_T5_mT6_P12ihipStream_tbENKUlT_T0_E_clISt17integral_constantIbLb0EESV_IbLb1EEEEDaSR_SS_EUlSR_E0_NS1_11comp_targetILNS1_3genE8ELNS1_11target_archE1030ELNS1_3gpuE2ELNS1_3repE0EEENS1_30default_config_static_selectorELNS0_4arch9wavefront6targetE1EEEvT1_
                                        ; -- End function
	.section	.AMDGPU.csdata,"",@progbits
; Kernel info:
; codeLenInByte = 0
; NumSgprs: 4
; NumVgprs: 0
; NumAgprs: 0
; TotalNumVgprs: 0
; ScratchSize: 0
; MemoryBound: 0
; FloatMode: 240
; IeeeMode: 1
; LDSByteSize: 0 bytes/workgroup (compile time only)
; SGPRBlocks: 0
; VGPRBlocks: 0
; NumSGPRsForWavesPerEU: 4
; NumVGPRsForWavesPerEU: 1
; AccumOffset: 4
; Occupancy: 8
; WaveLimiterHint : 0
; COMPUTE_PGM_RSRC2:SCRATCH_EN: 0
; COMPUTE_PGM_RSRC2:USER_SGPR: 6
; COMPUTE_PGM_RSRC2:TRAP_HANDLER: 0
; COMPUTE_PGM_RSRC2:TGID_X_EN: 1
; COMPUTE_PGM_RSRC2:TGID_Y_EN: 0
; COMPUTE_PGM_RSRC2:TGID_Z_EN: 0
; COMPUTE_PGM_RSRC2:TIDIG_COMP_CNT: 0
; COMPUTE_PGM_RSRC3_GFX90A:ACCUM_OFFSET: 0
; COMPUTE_PGM_RSRC3_GFX90A:TG_SPLIT: 0
	.section	.text._ZN7rocprim17ROCPRIM_400000_NS6detail17trampoline_kernelINS0_14default_configENS1_20scan_config_selectorIiEEZZNS1_9scan_implILNS1_25lookback_scan_determinismE0ELb0ELb0ES3_N6thrust23THRUST_200600_302600_NS6detail15normal_iteratorINS9_10device_ptrIiEEEENSB_INSC_IfEEEEiNS9_4plusIvEEiEEDaPvRmT3_T4_T5_mT6_P12ihipStream_tbENKUlT_T0_E_clISt17integral_constantIbLb0EESW_EEDaSR_SS_EUlSR_E_NS1_11comp_targetILNS1_3genE0ELNS1_11target_archE4294967295ELNS1_3gpuE0ELNS1_3repE0EEENS1_30default_config_static_selectorELNS0_4arch9wavefront6targetE1EEEvT1_,"axG",@progbits,_ZN7rocprim17ROCPRIM_400000_NS6detail17trampoline_kernelINS0_14default_configENS1_20scan_config_selectorIiEEZZNS1_9scan_implILNS1_25lookback_scan_determinismE0ELb0ELb0ES3_N6thrust23THRUST_200600_302600_NS6detail15normal_iteratorINS9_10device_ptrIiEEEENSB_INSC_IfEEEEiNS9_4plusIvEEiEEDaPvRmT3_T4_T5_mT6_P12ihipStream_tbENKUlT_T0_E_clISt17integral_constantIbLb0EESW_EEDaSR_SS_EUlSR_E_NS1_11comp_targetILNS1_3genE0ELNS1_11target_archE4294967295ELNS1_3gpuE0ELNS1_3repE0EEENS1_30default_config_static_selectorELNS0_4arch9wavefront6targetE1EEEvT1_,comdat
	.protected	_ZN7rocprim17ROCPRIM_400000_NS6detail17trampoline_kernelINS0_14default_configENS1_20scan_config_selectorIiEEZZNS1_9scan_implILNS1_25lookback_scan_determinismE0ELb0ELb0ES3_N6thrust23THRUST_200600_302600_NS6detail15normal_iteratorINS9_10device_ptrIiEEEENSB_INSC_IfEEEEiNS9_4plusIvEEiEEDaPvRmT3_T4_T5_mT6_P12ihipStream_tbENKUlT_T0_E_clISt17integral_constantIbLb0EESW_EEDaSR_SS_EUlSR_E_NS1_11comp_targetILNS1_3genE0ELNS1_11target_archE4294967295ELNS1_3gpuE0ELNS1_3repE0EEENS1_30default_config_static_selectorELNS0_4arch9wavefront6targetE1EEEvT1_ ; -- Begin function _ZN7rocprim17ROCPRIM_400000_NS6detail17trampoline_kernelINS0_14default_configENS1_20scan_config_selectorIiEEZZNS1_9scan_implILNS1_25lookback_scan_determinismE0ELb0ELb0ES3_N6thrust23THRUST_200600_302600_NS6detail15normal_iteratorINS9_10device_ptrIiEEEENSB_INSC_IfEEEEiNS9_4plusIvEEiEEDaPvRmT3_T4_T5_mT6_P12ihipStream_tbENKUlT_T0_E_clISt17integral_constantIbLb0EESW_EEDaSR_SS_EUlSR_E_NS1_11comp_targetILNS1_3genE0ELNS1_11target_archE4294967295ELNS1_3gpuE0ELNS1_3repE0EEENS1_30default_config_static_selectorELNS0_4arch9wavefront6targetE1EEEvT1_
	.globl	_ZN7rocprim17ROCPRIM_400000_NS6detail17trampoline_kernelINS0_14default_configENS1_20scan_config_selectorIiEEZZNS1_9scan_implILNS1_25lookback_scan_determinismE0ELb0ELb0ES3_N6thrust23THRUST_200600_302600_NS6detail15normal_iteratorINS9_10device_ptrIiEEEENSB_INSC_IfEEEEiNS9_4plusIvEEiEEDaPvRmT3_T4_T5_mT6_P12ihipStream_tbENKUlT_T0_E_clISt17integral_constantIbLb0EESW_EEDaSR_SS_EUlSR_E_NS1_11comp_targetILNS1_3genE0ELNS1_11target_archE4294967295ELNS1_3gpuE0ELNS1_3repE0EEENS1_30default_config_static_selectorELNS0_4arch9wavefront6targetE1EEEvT1_
	.p2align	8
	.type	_ZN7rocprim17ROCPRIM_400000_NS6detail17trampoline_kernelINS0_14default_configENS1_20scan_config_selectorIiEEZZNS1_9scan_implILNS1_25lookback_scan_determinismE0ELb0ELb0ES3_N6thrust23THRUST_200600_302600_NS6detail15normal_iteratorINS9_10device_ptrIiEEEENSB_INSC_IfEEEEiNS9_4plusIvEEiEEDaPvRmT3_T4_T5_mT6_P12ihipStream_tbENKUlT_T0_E_clISt17integral_constantIbLb0EESW_EEDaSR_SS_EUlSR_E_NS1_11comp_targetILNS1_3genE0ELNS1_11target_archE4294967295ELNS1_3gpuE0ELNS1_3repE0EEENS1_30default_config_static_selectorELNS0_4arch9wavefront6targetE1EEEvT1_,@function
_ZN7rocprim17ROCPRIM_400000_NS6detail17trampoline_kernelINS0_14default_configENS1_20scan_config_selectorIiEEZZNS1_9scan_implILNS1_25lookback_scan_determinismE0ELb0ELb0ES3_N6thrust23THRUST_200600_302600_NS6detail15normal_iteratorINS9_10device_ptrIiEEEENSB_INSC_IfEEEEiNS9_4plusIvEEiEEDaPvRmT3_T4_T5_mT6_P12ihipStream_tbENKUlT_T0_E_clISt17integral_constantIbLb0EESW_EEDaSR_SS_EUlSR_E_NS1_11comp_targetILNS1_3genE0ELNS1_11target_archE4294967295ELNS1_3gpuE0ELNS1_3repE0EEENS1_30default_config_static_selectorELNS0_4arch9wavefront6targetE1EEEvT1_: ; @_ZN7rocprim17ROCPRIM_400000_NS6detail17trampoline_kernelINS0_14default_configENS1_20scan_config_selectorIiEEZZNS1_9scan_implILNS1_25lookback_scan_determinismE0ELb0ELb0ES3_N6thrust23THRUST_200600_302600_NS6detail15normal_iteratorINS9_10device_ptrIiEEEENSB_INSC_IfEEEEiNS9_4plusIvEEiEEDaPvRmT3_T4_T5_mT6_P12ihipStream_tbENKUlT_T0_E_clISt17integral_constantIbLb0EESW_EEDaSR_SS_EUlSR_E_NS1_11comp_targetILNS1_3genE0ELNS1_11target_archE4294967295ELNS1_3gpuE0ELNS1_3repE0EEENS1_30default_config_static_selectorELNS0_4arch9wavefront6targetE1EEEvT1_
; %bb.0:
	.section	.rodata,"a",@progbits
	.p2align	6, 0x0
	.amdhsa_kernel _ZN7rocprim17ROCPRIM_400000_NS6detail17trampoline_kernelINS0_14default_configENS1_20scan_config_selectorIiEEZZNS1_9scan_implILNS1_25lookback_scan_determinismE0ELb0ELb0ES3_N6thrust23THRUST_200600_302600_NS6detail15normal_iteratorINS9_10device_ptrIiEEEENSB_INSC_IfEEEEiNS9_4plusIvEEiEEDaPvRmT3_T4_T5_mT6_P12ihipStream_tbENKUlT_T0_E_clISt17integral_constantIbLb0EESW_EEDaSR_SS_EUlSR_E_NS1_11comp_targetILNS1_3genE0ELNS1_11target_archE4294967295ELNS1_3gpuE0ELNS1_3repE0EEENS1_30default_config_static_selectorELNS0_4arch9wavefront6targetE1EEEvT1_
		.amdhsa_group_segment_fixed_size 0
		.amdhsa_private_segment_fixed_size 0
		.amdhsa_kernarg_size 96
		.amdhsa_user_sgpr_count 6
		.amdhsa_user_sgpr_private_segment_buffer 1
		.amdhsa_user_sgpr_dispatch_ptr 0
		.amdhsa_user_sgpr_queue_ptr 0
		.amdhsa_user_sgpr_kernarg_segment_ptr 1
		.amdhsa_user_sgpr_dispatch_id 0
		.amdhsa_user_sgpr_flat_scratch_init 0
		.amdhsa_user_sgpr_kernarg_preload_length 0
		.amdhsa_user_sgpr_kernarg_preload_offset 0
		.amdhsa_user_sgpr_private_segment_size 0
		.amdhsa_uses_dynamic_stack 0
		.amdhsa_system_sgpr_private_segment_wavefront_offset 0
		.amdhsa_system_sgpr_workgroup_id_x 1
		.amdhsa_system_sgpr_workgroup_id_y 0
		.amdhsa_system_sgpr_workgroup_id_z 0
		.amdhsa_system_sgpr_workgroup_info 0
		.amdhsa_system_vgpr_workitem_id 0
		.amdhsa_next_free_vgpr 1
		.amdhsa_next_free_sgpr 0
		.amdhsa_accum_offset 4
		.amdhsa_reserve_vcc 0
		.amdhsa_reserve_flat_scratch 0
		.amdhsa_float_round_mode_32 0
		.amdhsa_float_round_mode_16_64 0
		.amdhsa_float_denorm_mode_32 3
		.amdhsa_float_denorm_mode_16_64 3
		.amdhsa_dx10_clamp 1
		.amdhsa_ieee_mode 1
		.amdhsa_fp16_overflow 0
		.amdhsa_tg_split 0
		.amdhsa_exception_fp_ieee_invalid_op 0
		.amdhsa_exception_fp_denorm_src 0
		.amdhsa_exception_fp_ieee_div_zero 0
		.amdhsa_exception_fp_ieee_overflow 0
		.amdhsa_exception_fp_ieee_underflow 0
		.amdhsa_exception_fp_ieee_inexact 0
		.amdhsa_exception_int_div_zero 0
	.end_amdhsa_kernel
	.section	.text._ZN7rocprim17ROCPRIM_400000_NS6detail17trampoline_kernelINS0_14default_configENS1_20scan_config_selectorIiEEZZNS1_9scan_implILNS1_25lookback_scan_determinismE0ELb0ELb0ES3_N6thrust23THRUST_200600_302600_NS6detail15normal_iteratorINS9_10device_ptrIiEEEENSB_INSC_IfEEEEiNS9_4plusIvEEiEEDaPvRmT3_T4_T5_mT6_P12ihipStream_tbENKUlT_T0_E_clISt17integral_constantIbLb0EESW_EEDaSR_SS_EUlSR_E_NS1_11comp_targetILNS1_3genE0ELNS1_11target_archE4294967295ELNS1_3gpuE0ELNS1_3repE0EEENS1_30default_config_static_selectorELNS0_4arch9wavefront6targetE1EEEvT1_,"axG",@progbits,_ZN7rocprim17ROCPRIM_400000_NS6detail17trampoline_kernelINS0_14default_configENS1_20scan_config_selectorIiEEZZNS1_9scan_implILNS1_25lookback_scan_determinismE0ELb0ELb0ES3_N6thrust23THRUST_200600_302600_NS6detail15normal_iteratorINS9_10device_ptrIiEEEENSB_INSC_IfEEEEiNS9_4plusIvEEiEEDaPvRmT3_T4_T5_mT6_P12ihipStream_tbENKUlT_T0_E_clISt17integral_constantIbLb0EESW_EEDaSR_SS_EUlSR_E_NS1_11comp_targetILNS1_3genE0ELNS1_11target_archE4294967295ELNS1_3gpuE0ELNS1_3repE0EEENS1_30default_config_static_selectorELNS0_4arch9wavefront6targetE1EEEvT1_,comdat
.Lfunc_end1641:
	.size	_ZN7rocprim17ROCPRIM_400000_NS6detail17trampoline_kernelINS0_14default_configENS1_20scan_config_selectorIiEEZZNS1_9scan_implILNS1_25lookback_scan_determinismE0ELb0ELb0ES3_N6thrust23THRUST_200600_302600_NS6detail15normal_iteratorINS9_10device_ptrIiEEEENSB_INSC_IfEEEEiNS9_4plusIvEEiEEDaPvRmT3_T4_T5_mT6_P12ihipStream_tbENKUlT_T0_E_clISt17integral_constantIbLb0EESW_EEDaSR_SS_EUlSR_E_NS1_11comp_targetILNS1_3genE0ELNS1_11target_archE4294967295ELNS1_3gpuE0ELNS1_3repE0EEENS1_30default_config_static_selectorELNS0_4arch9wavefront6targetE1EEEvT1_, .Lfunc_end1641-_ZN7rocprim17ROCPRIM_400000_NS6detail17trampoline_kernelINS0_14default_configENS1_20scan_config_selectorIiEEZZNS1_9scan_implILNS1_25lookback_scan_determinismE0ELb0ELb0ES3_N6thrust23THRUST_200600_302600_NS6detail15normal_iteratorINS9_10device_ptrIiEEEENSB_INSC_IfEEEEiNS9_4plusIvEEiEEDaPvRmT3_T4_T5_mT6_P12ihipStream_tbENKUlT_T0_E_clISt17integral_constantIbLb0EESW_EEDaSR_SS_EUlSR_E_NS1_11comp_targetILNS1_3genE0ELNS1_11target_archE4294967295ELNS1_3gpuE0ELNS1_3repE0EEENS1_30default_config_static_selectorELNS0_4arch9wavefront6targetE1EEEvT1_
                                        ; -- End function
	.section	.AMDGPU.csdata,"",@progbits
; Kernel info:
; codeLenInByte = 0
; NumSgprs: 4
; NumVgprs: 0
; NumAgprs: 0
; TotalNumVgprs: 0
; ScratchSize: 0
; MemoryBound: 0
; FloatMode: 240
; IeeeMode: 1
; LDSByteSize: 0 bytes/workgroup (compile time only)
; SGPRBlocks: 0
; VGPRBlocks: 0
; NumSGPRsForWavesPerEU: 4
; NumVGPRsForWavesPerEU: 1
; AccumOffset: 4
; Occupancy: 8
; WaveLimiterHint : 0
; COMPUTE_PGM_RSRC2:SCRATCH_EN: 0
; COMPUTE_PGM_RSRC2:USER_SGPR: 6
; COMPUTE_PGM_RSRC2:TRAP_HANDLER: 0
; COMPUTE_PGM_RSRC2:TGID_X_EN: 1
; COMPUTE_PGM_RSRC2:TGID_Y_EN: 0
; COMPUTE_PGM_RSRC2:TGID_Z_EN: 0
; COMPUTE_PGM_RSRC2:TIDIG_COMP_CNT: 0
; COMPUTE_PGM_RSRC3_GFX90A:ACCUM_OFFSET: 0
; COMPUTE_PGM_RSRC3_GFX90A:TG_SPLIT: 0
	.section	.text._ZN7rocprim17ROCPRIM_400000_NS6detail17trampoline_kernelINS0_14default_configENS1_20scan_config_selectorIiEEZZNS1_9scan_implILNS1_25lookback_scan_determinismE0ELb0ELb0ES3_N6thrust23THRUST_200600_302600_NS6detail15normal_iteratorINS9_10device_ptrIiEEEENSB_INSC_IfEEEEiNS9_4plusIvEEiEEDaPvRmT3_T4_T5_mT6_P12ihipStream_tbENKUlT_T0_E_clISt17integral_constantIbLb0EESW_EEDaSR_SS_EUlSR_E_NS1_11comp_targetILNS1_3genE5ELNS1_11target_archE942ELNS1_3gpuE9ELNS1_3repE0EEENS1_30default_config_static_selectorELNS0_4arch9wavefront6targetE1EEEvT1_,"axG",@progbits,_ZN7rocprim17ROCPRIM_400000_NS6detail17trampoline_kernelINS0_14default_configENS1_20scan_config_selectorIiEEZZNS1_9scan_implILNS1_25lookback_scan_determinismE0ELb0ELb0ES3_N6thrust23THRUST_200600_302600_NS6detail15normal_iteratorINS9_10device_ptrIiEEEENSB_INSC_IfEEEEiNS9_4plusIvEEiEEDaPvRmT3_T4_T5_mT6_P12ihipStream_tbENKUlT_T0_E_clISt17integral_constantIbLb0EESW_EEDaSR_SS_EUlSR_E_NS1_11comp_targetILNS1_3genE5ELNS1_11target_archE942ELNS1_3gpuE9ELNS1_3repE0EEENS1_30default_config_static_selectorELNS0_4arch9wavefront6targetE1EEEvT1_,comdat
	.protected	_ZN7rocprim17ROCPRIM_400000_NS6detail17trampoline_kernelINS0_14default_configENS1_20scan_config_selectorIiEEZZNS1_9scan_implILNS1_25lookback_scan_determinismE0ELb0ELb0ES3_N6thrust23THRUST_200600_302600_NS6detail15normal_iteratorINS9_10device_ptrIiEEEENSB_INSC_IfEEEEiNS9_4plusIvEEiEEDaPvRmT3_T4_T5_mT6_P12ihipStream_tbENKUlT_T0_E_clISt17integral_constantIbLb0EESW_EEDaSR_SS_EUlSR_E_NS1_11comp_targetILNS1_3genE5ELNS1_11target_archE942ELNS1_3gpuE9ELNS1_3repE0EEENS1_30default_config_static_selectorELNS0_4arch9wavefront6targetE1EEEvT1_ ; -- Begin function _ZN7rocprim17ROCPRIM_400000_NS6detail17trampoline_kernelINS0_14default_configENS1_20scan_config_selectorIiEEZZNS1_9scan_implILNS1_25lookback_scan_determinismE0ELb0ELb0ES3_N6thrust23THRUST_200600_302600_NS6detail15normal_iteratorINS9_10device_ptrIiEEEENSB_INSC_IfEEEEiNS9_4plusIvEEiEEDaPvRmT3_T4_T5_mT6_P12ihipStream_tbENKUlT_T0_E_clISt17integral_constantIbLb0EESW_EEDaSR_SS_EUlSR_E_NS1_11comp_targetILNS1_3genE5ELNS1_11target_archE942ELNS1_3gpuE9ELNS1_3repE0EEENS1_30default_config_static_selectorELNS0_4arch9wavefront6targetE1EEEvT1_
	.globl	_ZN7rocprim17ROCPRIM_400000_NS6detail17trampoline_kernelINS0_14default_configENS1_20scan_config_selectorIiEEZZNS1_9scan_implILNS1_25lookback_scan_determinismE0ELb0ELb0ES3_N6thrust23THRUST_200600_302600_NS6detail15normal_iteratorINS9_10device_ptrIiEEEENSB_INSC_IfEEEEiNS9_4plusIvEEiEEDaPvRmT3_T4_T5_mT6_P12ihipStream_tbENKUlT_T0_E_clISt17integral_constantIbLb0EESW_EEDaSR_SS_EUlSR_E_NS1_11comp_targetILNS1_3genE5ELNS1_11target_archE942ELNS1_3gpuE9ELNS1_3repE0EEENS1_30default_config_static_selectorELNS0_4arch9wavefront6targetE1EEEvT1_
	.p2align	8
	.type	_ZN7rocprim17ROCPRIM_400000_NS6detail17trampoline_kernelINS0_14default_configENS1_20scan_config_selectorIiEEZZNS1_9scan_implILNS1_25lookback_scan_determinismE0ELb0ELb0ES3_N6thrust23THRUST_200600_302600_NS6detail15normal_iteratorINS9_10device_ptrIiEEEENSB_INSC_IfEEEEiNS9_4plusIvEEiEEDaPvRmT3_T4_T5_mT6_P12ihipStream_tbENKUlT_T0_E_clISt17integral_constantIbLb0EESW_EEDaSR_SS_EUlSR_E_NS1_11comp_targetILNS1_3genE5ELNS1_11target_archE942ELNS1_3gpuE9ELNS1_3repE0EEENS1_30default_config_static_selectorELNS0_4arch9wavefront6targetE1EEEvT1_,@function
_ZN7rocprim17ROCPRIM_400000_NS6detail17trampoline_kernelINS0_14default_configENS1_20scan_config_selectorIiEEZZNS1_9scan_implILNS1_25lookback_scan_determinismE0ELb0ELb0ES3_N6thrust23THRUST_200600_302600_NS6detail15normal_iteratorINS9_10device_ptrIiEEEENSB_INSC_IfEEEEiNS9_4plusIvEEiEEDaPvRmT3_T4_T5_mT6_P12ihipStream_tbENKUlT_T0_E_clISt17integral_constantIbLb0EESW_EEDaSR_SS_EUlSR_E_NS1_11comp_targetILNS1_3genE5ELNS1_11target_archE942ELNS1_3gpuE9ELNS1_3repE0EEENS1_30default_config_static_selectorELNS0_4arch9wavefront6targetE1EEEvT1_: ; @_ZN7rocprim17ROCPRIM_400000_NS6detail17trampoline_kernelINS0_14default_configENS1_20scan_config_selectorIiEEZZNS1_9scan_implILNS1_25lookback_scan_determinismE0ELb0ELb0ES3_N6thrust23THRUST_200600_302600_NS6detail15normal_iteratorINS9_10device_ptrIiEEEENSB_INSC_IfEEEEiNS9_4plusIvEEiEEDaPvRmT3_T4_T5_mT6_P12ihipStream_tbENKUlT_T0_E_clISt17integral_constantIbLb0EESW_EEDaSR_SS_EUlSR_E_NS1_11comp_targetILNS1_3genE5ELNS1_11target_archE942ELNS1_3gpuE9ELNS1_3repE0EEENS1_30default_config_static_selectorELNS0_4arch9wavefront6targetE1EEEvT1_
; %bb.0:
	.section	.rodata,"a",@progbits
	.p2align	6, 0x0
	.amdhsa_kernel _ZN7rocprim17ROCPRIM_400000_NS6detail17trampoline_kernelINS0_14default_configENS1_20scan_config_selectorIiEEZZNS1_9scan_implILNS1_25lookback_scan_determinismE0ELb0ELb0ES3_N6thrust23THRUST_200600_302600_NS6detail15normal_iteratorINS9_10device_ptrIiEEEENSB_INSC_IfEEEEiNS9_4plusIvEEiEEDaPvRmT3_T4_T5_mT6_P12ihipStream_tbENKUlT_T0_E_clISt17integral_constantIbLb0EESW_EEDaSR_SS_EUlSR_E_NS1_11comp_targetILNS1_3genE5ELNS1_11target_archE942ELNS1_3gpuE9ELNS1_3repE0EEENS1_30default_config_static_selectorELNS0_4arch9wavefront6targetE1EEEvT1_
		.amdhsa_group_segment_fixed_size 0
		.amdhsa_private_segment_fixed_size 0
		.amdhsa_kernarg_size 96
		.amdhsa_user_sgpr_count 6
		.amdhsa_user_sgpr_private_segment_buffer 1
		.amdhsa_user_sgpr_dispatch_ptr 0
		.amdhsa_user_sgpr_queue_ptr 0
		.amdhsa_user_sgpr_kernarg_segment_ptr 1
		.amdhsa_user_sgpr_dispatch_id 0
		.amdhsa_user_sgpr_flat_scratch_init 0
		.amdhsa_user_sgpr_kernarg_preload_length 0
		.amdhsa_user_sgpr_kernarg_preload_offset 0
		.amdhsa_user_sgpr_private_segment_size 0
		.amdhsa_uses_dynamic_stack 0
		.amdhsa_system_sgpr_private_segment_wavefront_offset 0
		.amdhsa_system_sgpr_workgroup_id_x 1
		.amdhsa_system_sgpr_workgroup_id_y 0
		.amdhsa_system_sgpr_workgroup_id_z 0
		.amdhsa_system_sgpr_workgroup_info 0
		.amdhsa_system_vgpr_workitem_id 0
		.amdhsa_next_free_vgpr 1
		.amdhsa_next_free_sgpr 0
		.amdhsa_accum_offset 4
		.amdhsa_reserve_vcc 0
		.amdhsa_reserve_flat_scratch 0
		.amdhsa_float_round_mode_32 0
		.amdhsa_float_round_mode_16_64 0
		.amdhsa_float_denorm_mode_32 3
		.amdhsa_float_denorm_mode_16_64 3
		.amdhsa_dx10_clamp 1
		.amdhsa_ieee_mode 1
		.amdhsa_fp16_overflow 0
		.amdhsa_tg_split 0
		.amdhsa_exception_fp_ieee_invalid_op 0
		.amdhsa_exception_fp_denorm_src 0
		.amdhsa_exception_fp_ieee_div_zero 0
		.amdhsa_exception_fp_ieee_overflow 0
		.amdhsa_exception_fp_ieee_underflow 0
		.amdhsa_exception_fp_ieee_inexact 0
		.amdhsa_exception_int_div_zero 0
	.end_amdhsa_kernel
	.section	.text._ZN7rocprim17ROCPRIM_400000_NS6detail17trampoline_kernelINS0_14default_configENS1_20scan_config_selectorIiEEZZNS1_9scan_implILNS1_25lookback_scan_determinismE0ELb0ELb0ES3_N6thrust23THRUST_200600_302600_NS6detail15normal_iteratorINS9_10device_ptrIiEEEENSB_INSC_IfEEEEiNS9_4plusIvEEiEEDaPvRmT3_T4_T5_mT6_P12ihipStream_tbENKUlT_T0_E_clISt17integral_constantIbLb0EESW_EEDaSR_SS_EUlSR_E_NS1_11comp_targetILNS1_3genE5ELNS1_11target_archE942ELNS1_3gpuE9ELNS1_3repE0EEENS1_30default_config_static_selectorELNS0_4arch9wavefront6targetE1EEEvT1_,"axG",@progbits,_ZN7rocprim17ROCPRIM_400000_NS6detail17trampoline_kernelINS0_14default_configENS1_20scan_config_selectorIiEEZZNS1_9scan_implILNS1_25lookback_scan_determinismE0ELb0ELb0ES3_N6thrust23THRUST_200600_302600_NS6detail15normal_iteratorINS9_10device_ptrIiEEEENSB_INSC_IfEEEEiNS9_4plusIvEEiEEDaPvRmT3_T4_T5_mT6_P12ihipStream_tbENKUlT_T0_E_clISt17integral_constantIbLb0EESW_EEDaSR_SS_EUlSR_E_NS1_11comp_targetILNS1_3genE5ELNS1_11target_archE942ELNS1_3gpuE9ELNS1_3repE0EEENS1_30default_config_static_selectorELNS0_4arch9wavefront6targetE1EEEvT1_,comdat
.Lfunc_end1642:
	.size	_ZN7rocprim17ROCPRIM_400000_NS6detail17trampoline_kernelINS0_14default_configENS1_20scan_config_selectorIiEEZZNS1_9scan_implILNS1_25lookback_scan_determinismE0ELb0ELb0ES3_N6thrust23THRUST_200600_302600_NS6detail15normal_iteratorINS9_10device_ptrIiEEEENSB_INSC_IfEEEEiNS9_4plusIvEEiEEDaPvRmT3_T4_T5_mT6_P12ihipStream_tbENKUlT_T0_E_clISt17integral_constantIbLb0EESW_EEDaSR_SS_EUlSR_E_NS1_11comp_targetILNS1_3genE5ELNS1_11target_archE942ELNS1_3gpuE9ELNS1_3repE0EEENS1_30default_config_static_selectorELNS0_4arch9wavefront6targetE1EEEvT1_, .Lfunc_end1642-_ZN7rocprim17ROCPRIM_400000_NS6detail17trampoline_kernelINS0_14default_configENS1_20scan_config_selectorIiEEZZNS1_9scan_implILNS1_25lookback_scan_determinismE0ELb0ELb0ES3_N6thrust23THRUST_200600_302600_NS6detail15normal_iteratorINS9_10device_ptrIiEEEENSB_INSC_IfEEEEiNS9_4plusIvEEiEEDaPvRmT3_T4_T5_mT6_P12ihipStream_tbENKUlT_T0_E_clISt17integral_constantIbLb0EESW_EEDaSR_SS_EUlSR_E_NS1_11comp_targetILNS1_3genE5ELNS1_11target_archE942ELNS1_3gpuE9ELNS1_3repE0EEENS1_30default_config_static_selectorELNS0_4arch9wavefront6targetE1EEEvT1_
                                        ; -- End function
	.section	.AMDGPU.csdata,"",@progbits
; Kernel info:
; codeLenInByte = 0
; NumSgprs: 4
; NumVgprs: 0
; NumAgprs: 0
; TotalNumVgprs: 0
; ScratchSize: 0
; MemoryBound: 0
; FloatMode: 240
; IeeeMode: 1
; LDSByteSize: 0 bytes/workgroup (compile time only)
; SGPRBlocks: 0
; VGPRBlocks: 0
; NumSGPRsForWavesPerEU: 4
; NumVGPRsForWavesPerEU: 1
; AccumOffset: 4
; Occupancy: 8
; WaveLimiterHint : 0
; COMPUTE_PGM_RSRC2:SCRATCH_EN: 0
; COMPUTE_PGM_RSRC2:USER_SGPR: 6
; COMPUTE_PGM_RSRC2:TRAP_HANDLER: 0
; COMPUTE_PGM_RSRC2:TGID_X_EN: 1
; COMPUTE_PGM_RSRC2:TGID_Y_EN: 0
; COMPUTE_PGM_RSRC2:TGID_Z_EN: 0
; COMPUTE_PGM_RSRC2:TIDIG_COMP_CNT: 0
; COMPUTE_PGM_RSRC3_GFX90A:ACCUM_OFFSET: 0
; COMPUTE_PGM_RSRC3_GFX90A:TG_SPLIT: 0
	.section	.text._ZN7rocprim17ROCPRIM_400000_NS6detail17trampoline_kernelINS0_14default_configENS1_20scan_config_selectorIiEEZZNS1_9scan_implILNS1_25lookback_scan_determinismE0ELb0ELb0ES3_N6thrust23THRUST_200600_302600_NS6detail15normal_iteratorINS9_10device_ptrIiEEEENSB_INSC_IfEEEEiNS9_4plusIvEEiEEDaPvRmT3_T4_T5_mT6_P12ihipStream_tbENKUlT_T0_E_clISt17integral_constantIbLb0EESW_EEDaSR_SS_EUlSR_E_NS1_11comp_targetILNS1_3genE4ELNS1_11target_archE910ELNS1_3gpuE8ELNS1_3repE0EEENS1_30default_config_static_selectorELNS0_4arch9wavefront6targetE1EEEvT1_,"axG",@progbits,_ZN7rocprim17ROCPRIM_400000_NS6detail17trampoline_kernelINS0_14default_configENS1_20scan_config_selectorIiEEZZNS1_9scan_implILNS1_25lookback_scan_determinismE0ELb0ELb0ES3_N6thrust23THRUST_200600_302600_NS6detail15normal_iteratorINS9_10device_ptrIiEEEENSB_INSC_IfEEEEiNS9_4plusIvEEiEEDaPvRmT3_T4_T5_mT6_P12ihipStream_tbENKUlT_T0_E_clISt17integral_constantIbLb0EESW_EEDaSR_SS_EUlSR_E_NS1_11comp_targetILNS1_3genE4ELNS1_11target_archE910ELNS1_3gpuE8ELNS1_3repE0EEENS1_30default_config_static_selectorELNS0_4arch9wavefront6targetE1EEEvT1_,comdat
	.protected	_ZN7rocprim17ROCPRIM_400000_NS6detail17trampoline_kernelINS0_14default_configENS1_20scan_config_selectorIiEEZZNS1_9scan_implILNS1_25lookback_scan_determinismE0ELb0ELb0ES3_N6thrust23THRUST_200600_302600_NS6detail15normal_iteratorINS9_10device_ptrIiEEEENSB_INSC_IfEEEEiNS9_4plusIvEEiEEDaPvRmT3_T4_T5_mT6_P12ihipStream_tbENKUlT_T0_E_clISt17integral_constantIbLb0EESW_EEDaSR_SS_EUlSR_E_NS1_11comp_targetILNS1_3genE4ELNS1_11target_archE910ELNS1_3gpuE8ELNS1_3repE0EEENS1_30default_config_static_selectorELNS0_4arch9wavefront6targetE1EEEvT1_ ; -- Begin function _ZN7rocprim17ROCPRIM_400000_NS6detail17trampoline_kernelINS0_14default_configENS1_20scan_config_selectorIiEEZZNS1_9scan_implILNS1_25lookback_scan_determinismE0ELb0ELb0ES3_N6thrust23THRUST_200600_302600_NS6detail15normal_iteratorINS9_10device_ptrIiEEEENSB_INSC_IfEEEEiNS9_4plusIvEEiEEDaPvRmT3_T4_T5_mT6_P12ihipStream_tbENKUlT_T0_E_clISt17integral_constantIbLb0EESW_EEDaSR_SS_EUlSR_E_NS1_11comp_targetILNS1_3genE4ELNS1_11target_archE910ELNS1_3gpuE8ELNS1_3repE0EEENS1_30default_config_static_selectorELNS0_4arch9wavefront6targetE1EEEvT1_
	.globl	_ZN7rocprim17ROCPRIM_400000_NS6detail17trampoline_kernelINS0_14default_configENS1_20scan_config_selectorIiEEZZNS1_9scan_implILNS1_25lookback_scan_determinismE0ELb0ELb0ES3_N6thrust23THRUST_200600_302600_NS6detail15normal_iteratorINS9_10device_ptrIiEEEENSB_INSC_IfEEEEiNS9_4plusIvEEiEEDaPvRmT3_T4_T5_mT6_P12ihipStream_tbENKUlT_T0_E_clISt17integral_constantIbLb0EESW_EEDaSR_SS_EUlSR_E_NS1_11comp_targetILNS1_3genE4ELNS1_11target_archE910ELNS1_3gpuE8ELNS1_3repE0EEENS1_30default_config_static_selectorELNS0_4arch9wavefront6targetE1EEEvT1_
	.p2align	8
	.type	_ZN7rocprim17ROCPRIM_400000_NS6detail17trampoline_kernelINS0_14default_configENS1_20scan_config_selectorIiEEZZNS1_9scan_implILNS1_25lookback_scan_determinismE0ELb0ELb0ES3_N6thrust23THRUST_200600_302600_NS6detail15normal_iteratorINS9_10device_ptrIiEEEENSB_INSC_IfEEEEiNS9_4plusIvEEiEEDaPvRmT3_T4_T5_mT6_P12ihipStream_tbENKUlT_T0_E_clISt17integral_constantIbLb0EESW_EEDaSR_SS_EUlSR_E_NS1_11comp_targetILNS1_3genE4ELNS1_11target_archE910ELNS1_3gpuE8ELNS1_3repE0EEENS1_30default_config_static_selectorELNS0_4arch9wavefront6targetE1EEEvT1_,@function
_ZN7rocprim17ROCPRIM_400000_NS6detail17trampoline_kernelINS0_14default_configENS1_20scan_config_selectorIiEEZZNS1_9scan_implILNS1_25lookback_scan_determinismE0ELb0ELb0ES3_N6thrust23THRUST_200600_302600_NS6detail15normal_iteratorINS9_10device_ptrIiEEEENSB_INSC_IfEEEEiNS9_4plusIvEEiEEDaPvRmT3_T4_T5_mT6_P12ihipStream_tbENKUlT_T0_E_clISt17integral_constantIbLb0EESW_EEDaSR_SS_EUlSR_E_NS1_11comp_targetILNS1_3genE4ELNS1_11target_archE910ELNS1_3gpuE8ELNS1_3repE0EEENS1_30default_config_static_selectorELNS0_4arch9wavefront6targetE1EEEvT1_: ; @_ZN7rocprim17ROCPRIM_400000_NS6detail17trampoline_kernelINS0_14default_configENS1_20scan_config_selectorIiEEZZNS1_9scan_implILNS1_25lookback_scan_determinismE0ELb0ELb0ES3_N6thrust23THRUST_200600_302600_NS6detail15normal_iteratorINS9_10device_ptrIiEEEENSB_INSC_IfEEEEiNS9_4plusIvEEiEEDaPvRmT3_T4_T5_mT6_P12ihipStream_tbENKUlT_T0_E_clISt17integral_constantIbLb0EESW_EEDaSR_SS_EUlSR_E_NS1_11comp_targetILNS1_3genE4ELNS1_11target_archE910ELNS1_3gpuE8ELNS1_3repE0EEENS1_30default_config_static_selectorELNS0_4arch9wavefront6targetE1EEEvT1_
; %bb.0:
	s_load_dwordx8 s[8:15], s[4:5], 0x0
	s_load_dword s1, s[4:5], 0x30
	s_mul_i32 s0, s6, 0x500
	v_lshlrev_b32_e32 v22, 2, v0
	s_waitcnt lgkmcnt(0)
	s_lshl_b64 s[16:17], s[10:11], 2
	s_add_u32 s2, s8, s16
	s_addc_u32 s3, s9, s17
	s_add_i32 s7, s1, -1
	s_mul_i32 s8, s7, 0x500
	s_sub_u32 s24, s14, s8
	s_subb_u32 s25, s15, 0
	s_mov_b32 s1, 0
	s_cmp_lg_u32 s6, s7
	s_cselect_b64 s[14:15], -1, 0
	s_lshl_b64 s[18:19], s[0:1], 2
	s_add_u32 s2, s2, s18
	s_addc_u32 s3, s3, s19
	s_mov_b64 s[0:1], -1
	s_and_b64 vcc, exec, s[14:15]
	s_cbranch_vccz .LBB1643_2
; %bb.1:
	v_mov_b32_e32 v1, s3
	v_add_co_u32_e32 v2, vcc, s2, v22
	v_addc_co_u32_e32 v3, vcc, 0, v1, vcc
	flat_load_dword v1, v[2:3]
	flat_load_dword v4, v[2:3] offset:512
	flat_load_dword v5, v[2:3] offset:1024
	;; [unrolled: 1-line block ×7, first 2 shown]
	v_add_co_u32_e32 v2, vcc, 0x1000, v2
	v_addc_co_u32_e32 v3, vcc, 0, v3, vcc
	flat_load_dword v11, v[2:3]
	flat_load_dword v12, v[2:3] offset:512
	s_mov_b64 s[0:1], 0
	s_waitcnt vmcnt(0) lgkmcnt(0)
	ds_write2st64_b32 v22, v1, v4 offset1:2
	ds_write2st64_b32 v22, v5, v6 offset0:4 offset1:6
	ds_write2st64_b32 v22, v7, v8 offset0:8 offset1:10
	;; [unrolled: 1-line block ×4, first 2 shown]
	s_waitcnt lgkmcnt(0)
	s_barrier
.LBB1643_2:
	s_load_dwordx2 s[20:21], s[4:5], 0x28
	s_andn2_b64 vcc, exec, s[0:1]
	v_cmp_gt_u32_e64 s[0:1], s24, v0
	s_cbranch_vccnz .LBB1643_24
; %bb.3:
	v_pk_mov_b32 v[2:3], s[2:3], s[2:3] op_sel:[0,1]
	flat_load_dword v1, v[2:3]
	s_waitcnt vmcnt(0) lgkmcnt(0)
	v_mov_b32_e32 v2, v1
	v_mov_b32_e32 v3, v1
	;; [unrolled: 1-line block ×9, first 2 shown]
	s_and_saveexec_b64 s[8:9], s[0:1]
	s_cbranch_execz .LBB1643_5
; %bb.4:
	v_mov_b32_e32 v11, s3
	v_add_co_u32_e32 v10, vcc, s2, v22
	v_addc_co_u32_e32 v11, vcc, 0, v11, vcc
	flat_load_dword v10, v[10:11]
.LBB1643_5:
	s_or_b64 exec, exec, s[8:9]
	v_or_b32_e32 v11, 0x80, v0
	v_cmp_gt_u32_e32 vcc, s24, v11
	s_and_saveexec_b64 s[0:1], vcc
	s_cbranch_execz .LBB1643_7
; %bb.6:
	v_mov_b32_e32 v1, s3
	v_add_co_u32_e32 v12, vcc, s2, v22
	v_addc_co_u32_e32 v13, vcc, 0, v1, vcc
	flat_load_dword v1, v[12:13] offset:512
.LBB1643_7:
	s_or_b64 exec, exec, s[0:1]
	v_or_b32_e32 v11, 0x100, v0
	v_cmp_gt_u32_e32 vcc, s24, v11
	s_and_saveexec_b64 s[0:1], vcc
	s_cbranch_execz .LBB1643_9
; %bb.8:
	v_mov_b32_e32 v2, s3
	v_add_co_u32_e32 v12, vcc, s2, v22
	v_addc_co_u32_e32 v13, vcc, 0, v2, vcc
	flat_load_dword v2, v[12:13] offset:1024
.LBB1643_9:
	;; [unrolled: 11-line block ×7, first 2 shown]
	s_or_b64 exec, exec, s[0:1]
	v_or_b32_e32 v11, 0x400, v0
	v_cmp_gt_u32_e32 vcc, s24, v11
	s_and_saveexec_b64 s[0:1], vcc
	s_cbranch_execz .LBB1643_21
; %bb.20:
	v_lshlrev_b32_e32 v8, 2, v11
	v_mov_b32_e32 v11, s3
	v_add_co_u32_e32 v12, vcc, s2, v8
	v_addc_co_u32_e32 v13, vcc, 0, v11, vcc
	flat_load_dword v8, v[12:13]
.LBB1643_21:
	s_or_b64 exec, exec, s[0:1]
	v_or_b32_e32 v11, 0x480, v0
	v_cmp_gt_u32_e32 vcc, s24, v11
	s_and_saveexec_b64 s[0:1], vcc
	s_cbranch_execz .LBB1643_23
; %bb.22:
	v_lshlrev_b32_e32 v9, 2, v11
	v_mov_b32_e32 v11, s3
	v_add_co_u32_e32 v12, vcc, s2, v9
	v_addc_co_u32_e32 v13, vcc, 0, v11, vcc
	flat_load_dword v9, v[12:13]
.LBB1643_23:
	s_or_b64 exec, exec, s[0:1]
	s_waitcnt vmcnt(0) lgkmcnt(0)
	ds_write2st64_b32 v22, v10, v1 offset1:2
	ds_write2st64_b32 v22, v2, v3 offset0:4 offset1:6
	ds_write2st64_b32 v22, v4, v5 offset0:8 offset1:10
	;; [unrolled: 1-line block ×4, first 2 shown]
	s_waitcnt lgkmcnt(0)
	s_barrier
.LBB1643_24:
	v_mul_u32_u24_e32 v23, 10, v0
	v_lshlrev_b32_e32 v1, 2, v23
	s_waitcnt lgkmcnt(0)
	ds_read2_b64 v[2:5], v1 offset1:1
	ds_read2_b64 v[16:19], v1 offset0:2 offset1:3
	ds_read_b64 v[20:21], v1 offset:32
	s_cmp_lg_u32 s6, 0
	v_lshrrev_b32_e32 v24, 5, v0
	v_cmp_gt_u32_e32 vcc, 64, v0
	s_waitcnt lgkmcnt(0)
	s_barrier
	s_cbranch_scc0 .LBB1643_49
; %bb.25:
	v_add_u32_e32 v6, v3, v2
	v_add3_u32 v6, v6, v4, v5
	v_add3_u32 v6, v6, v16, v17
	;; [unrolled: 1-line block ×4, first 2 shown]
	v_add_lshl_u32 v7, v24, v0, 2
	ds_write_b32 v7, v6
	s_waitcnt lgkmcnt(0)
	s_barrier
	s_and_saveexec_b64 s[2:3], vcc
	s_cbranch_execz .LBB1643_27
; %bb.26:
	v_lshlrev_b32_e32 v7, 1, v0
	v_lshrrev_b32_e32 v8, 4, v0
	v_add_lshl_u32 v7, v8, v7, 2
	ds_read2_b32 v[8:9], v7 offset1:1
	v_mbcnt_lo_u32_b32 v10, -1, 0
	v_mbcnt_hi_u32_b32 v10, -1, v10
	v_and_b32_e32 v11, 15, v10
	v_cmp_ne_u32_e64 s[0:1], 0, v11
	s_waitcnt lgkmcnt(0)
	v_add_u32_e32 v9, v9, v8
	; wave barrier
	s_nop 1
	v_mov_b32_dpp v12, v9 row_shr:1 row_mask:0xf bank_mask:0xf
	v_cndmask_b32_e64 v12, 0, v12, s[0:1]
	v_add_u32_e32 v9, v12, v9
	v_cmp_lt_u32_e64 s[0:1], 1, v11
	s_nop 0
	v_mov_b32_dpp v12, v9 row_shr:2 row_mask:0xf bank_mask:0xf
	v_cndmask_b32_e64 v12, 0, v12, s[0:1]
	v_add_u32_e32 v9, v9, v12
	v_cmp_lt_u32_e64 s[0:1], 3, v11
	;; [unrolled: 5-line block ×3, first 2 shown]
	s_nop 0
	v_mov_b32_dpp v12, v9 row_shr:8 row_mask:0xf bank_mask:0xf
	v_cndmask_b32_e64 v11, 0, v12, s[0:1]
	v_add_u32_e32 v9, v9, v11
	v_bfe_i32 v12, v10, 4, 1
	v_cmp_lt_u32_e64 s[0:1], 31, v10
	v_mov_b32_dpp v11, v9 row_bcast:15 row_mask:0xf bank_mask:0xf
	v_and_b32_e32 v11, v12, v11
	v_add_u32_e32 v9, v9, v11
	v_and_b32_e32 v12, 64, v10
	s_nop 0
	v_mov_b32_dpp v11, v9 row_bcast:31 row_mask:0xf bank_mask:0xf
	v_cndmask_b32_e64 v11, 0, v11, s[0:1]
	v_add_u32_e32 v9, v9, v11
	v_add_u32_e32 v11, -1, v10
	v_cmp_lt_i32_e64 s[0:1], v11, v12
	v_cndmask_b32_e64 v10, v11, v10, s[0:1]
	v_lshlrev_b32_e32 v10, 2, v10
	ds_bpermute_b32 v9, v10, v9
	v_cmp_eq_u32_e64 s[0:1], 0, v0
	s_waitcnt lgkmcnt(0)
	v_add_u32_e32 v8, v9, v8
	v_cndmask_b32_e64 v6, v8, v6, s[0:1]
	ds_write_b32 v7, v6
	; wave barrier
	ds_read_b32 v8, v7 offset:4
	s_waitcnt lgkmcnt(0)
	v_add_u32_e32 v6, v8, v6
	ds_write_b32 v7, v6 offset:4
.LBB1643_27:
	s_or_b64 exec, exec, s[2:3]
	v_cmp_eq_u32_e64 s[0:1], 0, v0
	v_cmp_ne_u32_e64 s[2:3], 0, v0
	v_mov_b32_e32 v25, 0
	s_waitcnt lgkmcnt(0)
	s_barrier
	s_and_saveexec_b64 s[8:9], s[2:3]
	s_cbranch_execz .LBB1643_29
; %bb.28:
	v_add_u32_e32 v6, -1, v0
	v_lshrrev_b32_e32 v7, 5, v6
	v_add_lshl_u32 v6, v7, v6, 2
	ds_read_b32 v25, v6
.LBB1643_29:
	s_or_b64 exec, exec, s[8:9]
	s_and_saveexec_b64 s[8:9], vcc
	s_cbranch_execz .LBB1643_48
; %bb.30:
	v_mov_b32_e32 v13, 0
	ds_read_b32 v6, v13 offset:520
	v_mbcnt_lo_u32_b32 v7, -1, 0
	v_mbcnt_hi_u32_b32 v9, -1, v7
	s_mov_b32 s23, 0
	v_cmp_eq_u32_e64 s[2:3], 0, v9
	s_and_saveexec_b64 s[10:11], s[2:3]
	s_cbranch_execz .LBB1643_32
; %bb.31:
	s_add_i32 s22, s6, 64
	s_lshl_b64 s[22:23], s[22:23], 3
	s_add_u32 s22, s20, s22
	v_mov_b32_e32 v7, 1
	s_addc_u32 s23, s21, s23
	s_waitcnt lgkmcnt(0)
	global_store_dwordx2 v13, v[6:7], s[22:23]
.LBB1643_32:
	s_or_b64 exec, exec, s[10:11]
	v_xad_u32 v8, v9, -1, s6
	v_add_u32_e32 v12, 64, v8
	v_lshlrev_b64 v[10:11], 3, v[12:13]
	v_mov_b32_e32 v7, s21
	v_add_co_u32_e32 v14, vcc, s20, v10
	v_addc_co_u32_e32 v15, vcc, v7, v11, vcc
	global_load_dwordx2 v[10:11], v[14:15], off glc
	s_waitcnt vmcnt(0)
	v_cmp_eq_u16_sdwa s[22:23], v11, v13 src0_sel:BYTE_0 src1_sel:DWORD
	s_and_saveexec_b64 s[10:11], s[22:23]
	s_cbranch_execz .LBB1643_36
; %bb.33:
	s_mov_b64 s[22:23], 0
	v_mov_b32_e32 v7, 0
.LBB1643_34:                            ; =>This Inner Loop Header: Depth=1
	global_load_dwordx2 v[10:11], v[14:15], off glc
	s_waitcnt vmcnt(0)
	v_cmp_ne_u16_sdwa s[26:27], v11, v7 src0_sel:BYTE_0 src1_sel:DWORD
	s_or_b64 s[22:23], s[26:27], s[22:23]
	s_andn2_b64 exec, exec, s[22:23]
	s_cbranch_execnz .LBB1643_34
; %bb.35:
	s_or_b64 exec, exec, s[22:23]
.LBB1643_36:
	s_or_b64 exec, exec, s[10:11]
	v_and_b32_e32 v26, 63, v9
	v_mov_b32_e32 v7, 2
	v_cmp_ne_u32_e32 vcc, 63, v26
	v_cmp_eq_u16_sdwa s[10:11], v11, v7 src0_sel:BYTE_0 src1_sel:DWORD
	v_lshlrev_b64 v[12:13], v9, -1
	v_addc_co_u32_e32 v27, vcc, 0, v9, vcc
	v_and_b32_e32 v14, s11, v13
	v_lshlrev_b32_e32 v27, 2, v27
	v_or_b32_e32 v14, 0x80000000, v14
	ds_bpermute_b32 v28, v27, v10
	v_and_b32_e32 v15, s10, v12
	v_ffbl_b32_e32 v14, v14
	v_add_u32_e32 v14, 32, v14
	v_ffbl_b32_e32 v15, v15
	v_min_u32_e32 v14, v15, v14
	v_cmp_lt_u32_e32 vcc, v26, v14
	s_waitcnt lgkmcnt(0)
	v_cndmask_b32_e32 v15, 0, v28, vcc
	v_cmp_gt_u32_e32 vcc, 62, v26
	v_add_u32_e32 v10, v15, v10
	v_cndmask_b32_e64 v15, 0, 1, vcc
	v_lshlrev_b32_e32 v15, 1, v15
	v_add_lshl_u32 v28, v15, v9, 2
	ds_bpermute_b32 v15, v28, v10
	v_add_u32_e32 v29, 2, v26
	v_cmp_le_u32_e32 vcc, v29, v14
	v_add_u32_e32 v31, 4, v26
	v_add_u32_e32 v33, 8, v26
	s_waitcnt lgkmcnt(0)
	v_cndmask_b32_e32 v15, 0, v15, vcc
	v_cmp_gt_u32_e32 vcc, 60, v26
	v_add_u32_e32 v10, v10, v15
	v_cndmask_b32_e64 v15, 0, 1, vcc
	v_lshlrev_b32_e32 v15, 2, v15
	v_add_lshl_u32 v30, v15, v9, 2
	ds_bpermute_b32 v15, v30, v10
	v_cmp_le_u32_e32 vcc, v31, v14
	v_add_u32_e32 v36, 16, v26
	v_add_u32_e32 v38, 32, v26
	s_waitcnt lgkmcnt(0)
	v_cndmask_b32_e32 v15, 0, v15, vcc
	v_cmp_gt_u32_e32 vcc, 56, v26
	v_add_u32_e32 v10, v10, v15
	v_cndmask_b32_e64 v15, 0, 1, vcc
	v_lshlrev_b32_e32 v15, 3, v15
	v_add_lshl_u32 v32, v15, v9, 2
	ds_bpermute_b32 v15, v32, v10
	v_cmp_le_u32_e32 vcc, v33, v14
	s_waitcnt lgkmcnt(0)
	v_cndmask_b32_e32 v15, 0, v15, vcc
	v_cmp_gt_u32_e32 vcc, 48, v26
	v_add_u32_e32 v10, v10, v15
	v_cndmask_b32_e64 v15, 0, 1, vcc
	v_lshlrev_b32_e32 v15, 4, v15
	v_add_lshl_u32 v35, v15, v9, 2
	ds_bpermute_b32 v15, v35, v10
	v_cmp_le_u32_e32 vcc, v36, v14
	;; [unrolled: 9-line block ×3, first 2 shown]
	s_waitcnt lgkmcnt(0)
	v_cndmask_b32_e32 v9, 0, v9, vcc
	v_add_u32_e32 v10, v10, v9
	v_mov_b32_e32 v9, 0
	s_branch .LBB1643_38
.LBB1643_37:                            ;   in Loop: Header=BB1643_38 Depth=1
	s_or_b64 exec, exec, s[10:11]
	v_cmp_eq_u16_sdwa s[10:11], v11, v7 src0_sel:BYTE_0 src1_sel:DWORD
	v_and_b32_e32 v14, s11, v13
	v_or_b32_e32 v14, 0x80000000, v14
	ds_bpermute_b32 v39, v27, v10
	v_and_b32_e32 v15, s10, v12
	v_ffbl_b32_e32 v14, v14
	v_add_u32_e32 v14, 32, v14
	v_ffbl_b32_e32 v15, v15
	v_min_u32_e32 v14, v15, v14
	v_cmp_lt_u32_e32 vcc, v26, v14
	s_waitcnt lgkmcnt(0)
	v_cndmask_b32_e32 v15, 0, v39, vcc
	v_add_u32_e32 v10, v15, v10
	ds_bpermute_b32 v15, v28, v10
	v_cmp_le_u32_e32 vcc, v29, v14
	v_subrev_u32_e32 v8, 64, v8
	s_waitcnt lgkmcnt(0)
	v_cndmask_b32_e32 v15, 0, v15, vcc
	v_add_u32_e32 v10, v10, v15
	ds_bpermute_b32 v15, v30, v10
	v_cmp_le_u32_e32 vcc, v31, v14
	s_waitcnt lgkmcnt(0)
	v_cndmask_b32_e32 v15, 0, v15, vcc
	v_add_u32_e32 v10, v10, v15
	ds_bpermute_b32 v15, v32, v10
	v_cmp_le_u32_e32 vcc, v33, v14
	;; [unrolled: 5-line block ×4, first 2 shown]
	s_waitcnt lgkmcnt(0)
	v_cndmask_b32_e32 v14, 0, v15, vcc
	v_add3_u32 v10, v14, v34, v10
.LBB1643_38:                            ; =>This Loop Header: Depth=1
                                        ;     Child Loop BB1643_41 Depth 2
	v_cmp_ne_u16_sdwa s[10:11], v11, v7 src0_sel:BYTE_0 src1_sel:DWORD
	v_cndmask_b32_e64 v11, 0, 1, s[10:11]
	;;#ASMSTART
	;;#ASMEND
	v_cmp_ne_u32_e32 vcc, 0, v11
	s_cmp_lg_u64 vcc, exec
	v_mov_b32_e32 v34, v10
	s_cbranch_scc1 .LBB1643_43
; %bb.39:                               ;   in Loop: Header=BB1643_38 Depth=1
	v_lshlrev_b64 v[10:11], 3, v[8:9]
	v_mov_b32_e32 v15, s21
	v_add_co_u32_e32 v14, vcc, s20, v10
	v_addc_co_u32_e32 v15, vcc, v15, v11, vcc
	global_load_dwordx2 v[10:11], v[14:15], off glc
	s_waitcnt vmcnt(0)
	v_cmp_eq_u16_sdwa s[22:23], v11, v9 src0_sel:BYTE_0 src1_sel:DWORD
	s_and_saveexec_b64 s[10:11], s[22:23]
	s_cbranch_execz .LBB1643_37
; %bb.40:                               ;   in Loop: Header=BB1643_38 Depth=1
	s_mov_b64 s[22:23], 0
.LBB1643_41:                            ;   Parent Loop BB1643_38 Depth=1
                                        ; =>  This Inner Loop Header: Depth=2
	global_load_dwordx2 v[10:11], v[14:15], off glc
	s_waitcnt vmcnt(0)
	v_cmp_ne_u16_sdwa s[26:27], v11, v9 src0_sel:BYTE_0 src1_sel:DWORD
	s_or_b64 s[22:23], s[26:27], s[22:23]
	s_andn2_b64 exec, exec, s[22:23]
	s_cbranch_execnz .LBB1643_41
; %bb.42:                               ;   in Loop: Header=BB1643_38 Depth=1
	s_or_b64 exec, exec, s[22:23]
	s_branch .LBB1643_37
.LBB1643_43:                            ;   in Loop: Header=BB1643_38 Depth=1
                                        ; implicit-def: $vgpr10
                                        ; implicit-def: $vgpr11
	s_cbranch_execz .LBB1643_38
; %bb.44:
	s_and_saveexec_b64 s[10:11], s[2:3]
	s_cbranch_execz .LBB1643_46
; %bb.45:
	s_add_i32 s2, s6, 64
	s_mov_b32 s3, 0
	s_lshl_b64 s[2:3], s[2:3], 3
	s_add_u32 s2, s20, s2
	v_add_u32_e32 v6, v34, v6
	v_mov_b32_e32 v7, 2
	s_addc_u32 s3, s21, s3
	v_mov_b32_e32 v8, 0
	global_store_dwordx2 v8, v[6:7], s[2:3]
.LBB1643_46:
	s_or_b64 exec, exec, s[10:11]
	s_and_b64 exec, exec, s[0:1]
	s_cbranch_execz .LBB1643_48
; %bb.47:
	v_mov_b32_e32 v6, 0
	ds_write_b32 v6, v34
.LBB1643_48:
	s_or_b64 exec, exec, s[8:9]
	v_mov_b32_e32 v6, 0
	s_waitcnt lgkmcnt(0)
	s_barrier
	ds_read_b32 v6, v6
	s_waitcnt lgkmcnt(0)
	v_add3_u32 v6, v25, v2, v6
	v_add_u32_e32 v7, v6, v3
	v_add_u32_e32 v8, v7, v4
	;; [unrolled: 1-line block ×9, first 2 shown]
	s_load_dwordx8 s[4:11], s[4:5], 0x38
	s_branch .LBB1643_61
.LBB1643_49:
                                        ; implicit-def: $vgpr6_vgpr7_vgpr8_vgpr9_vgpr10_vgpr11_vgpr12_vgpr13_vgpr14_vgpr15
	s_load_dwordx8 s[4:11], s[4:5], 0x38
	s_cbranch_execz .LBB1643_61
; %bb.50:
	s_waitcnt lgkmcnt(0)
	s_cmp_lg_u64 s[8:9], 0
	s_cselect_b64 s[2:3], -1, 0
	v_cmp_eq_u32_e64 s[0:1], 0, v0
	v_cmp_ne_u32_e32 vcc, 0, v0
	s_and_b64 s[8:9], s[0:1], s[2:3]
	v_mov_b32_e32 v12, v3
	v_mov_b32_e32 v13, v4
	;; [unrolled: 1-line block ×3, first 2 shown]
	s_and_saveexec_b64 s[2:3], s[8:9]
	s_cbranch_execz .LBB1643_52
; %bb.51:
	v_mov_b32_e32 v6, 0
	global_load_dword v6, v6, s[4:5]
	v_mov_b32_e32 v12, v3
	v_mov_b32_e32 v13, v4
	;; [unrolled: 1-line block ×3, first 2 shown]
	s_waitcnt vmcnt(0)
	v_add_u32_e32 v2, v6, v2
.LBB1643_52:
	s_or_b64 exec, exec, s[2:3]
	v_add_u32_e32 v3, v12, v2
	v_add_u32_e32 v4, v3, v13
	;; [unrolled: 1-line block ×9, first 2 shown]
	v_add_lshl_u32 v15, v24, v0, 2
	v_cmp_gt_u32_e64 s[2:3], 64, v0
	ds_write_b32 v15, v11
	s_waitcnt lgkmcnt(0)
	s_barrier
	s_and_saveexec_b64 s[4:5], s[2:3]
	s_cbranch_execz .LBB1643_54
; %bb.53:
	v_lshlrev_b32_e32 v15, 1, v0
	v_lshrrev_b32_e32 v24, 4, v0
	v_add_lshl_u32 v15, v24, v15, 2
	ds_read2_b32 v[24:25], v15 offset1:1
	v_mbcnt_lo_u32_b32 v26, -1, 0
	v_mbcnt_hi_u32_b32 v26, -1, v26
	v_and_b32_e32 v27, 15, v26
	v_cmp_ne_u32_e64 s[2:3], 0, v27
	s_waitcnt lgkmcnt(0)
	v_add_u32_e32 v25, v25, v24
	; wave barrier
	s_nop 1
	v_mov_b32_dpp v28, v25 row_shr:1 row_mask:0xf bank_mask:0xf
	v_cndmask_b32_e64 v28, 0, v28, s[2:3]
	v_add_u32_e32 v25, v28, v25
	v_cmp_lt_u32_e64 s[2:3], 1, v27
	s_nop 0
	v_mov_b32_dpp v28, v25 row_shr:2 row_mask:0xf bank_mask:0xf
	v_cndmask_b32_e64 v28, 0, v28, s[2:3]
	v_add_u32_e32 v25, v25, v28
	v_cmp_lt_u32_e64 s[2:3], 3, v27
	;; [unrolled: 5-line block ×3, first 2 shown]
	s_nop 0
	v_mov_b32_dpp v28, v25 row_shr:8 row_mask:0xf bank_mask:0xf
	v_cndmask_b32_e64 v27, 0, v28, s[2:3]
	v_add_u32_e32 v25, v25, v27
	v_bfe_i32 v28, v26, 4, 1
	v_cmp_lt_u32_e64 s[2:3], 31, v26
	v_mov_b32_dpp v27, v25 row_bcast:15 row_mask:0xf bank_mask:0xf
	v_and_b32_e32 v27, v28, v27
	v_add_u32_e32 v25, v25, v27
	v_and_b32_e32 v28, 64, v26
	s_nop 0
	v_mov_b32_dpp v27, v25 row_bcast:31 row_mask:0xf bank_mask:0xf
	v_cndmask_b32_e64 v27, 0, v27, s[2:3]
	v_add_u32_e32 v25, v25, v27
	v_add_u32_e32 v27, -1, v26
	v_cmp_lt_i32_e64 s[2:3], v27, v28
	v_cndmask_b32_e64 v26, v27, v26, s[2:3]
	v_lshlrev_b32_e32 v26, 2, v26
	ds_bpermute_b32 v25, v26, v25
	s_waitcnt lgkmcnt(0)
	v_add_u32_e32 v24, v25, v24
	v_cndmask_b32_e64 v24, v24, v11, s[0:1]
	ds_write_b32 v15, v24
	; wave barrier
	ds_read_b32 v25, v15 offset:4
	s_waitcnt lgkmcnt(0)
	v_add_u32_e32 v24, v25, v24
	ds_write_b32 v15, v24 offset:4
.LBB1643_54:
	s_or_b64 exec, exec, s[4:5]
	v_mov_b32_e32 v15, v11
	s_waitcnt lgkmcnt(0)
	s_barrier
	s_and_saveexec_b64 s[0:1], vcc
	s_cbranch_execz .LBB1643_56
; %bb.55:
	v_add_u32_e32 v15, -1, v0
	v_lshrrev_b32_e32 v24, 5, v15
	v_add_lshl_u32 v15, v24, v15, 2
	ds_read_b32 v15, v15
.LBB1643_56:
	s_or_b64 exec, exec, s[0:1]
	s_and_saveexec_b64 s[0:1], vcc
	s_cbranch_execz .LBB1643_58
; %bb.57:
	s_waitcnt lgkmcnt(0)
	v_add_u32_e32 v2, v15, v2
	v_add_u32_e32 v3, v2, v12
	;; [unrolled: 1-line block ×10, first 2 shown]
	;;#ASMSTART
	;;#ASMEND
.LBB1643_58:
	s_or_b64 exec, exec, s[0:1]
	s_movk_i32 s0, 0x7f
	v_cmp_eq_u32_e32 vcc, s0, v0
	s_and_saveexec_b64 s[0:1], vcc
	s_cbranch_execz .LBB1643_60
; %bb.59:
	v_mov_b32_e32 v14, 0
	v_mov_b32_e32 v13, 2
	;; [unrolled: 1-line block ×3, first 2 shown]
	global_store_dwordx2 v14, v[12:13], s[20:21] offset:512
.LBB1643_60:
	s_or_b64 exec, exec, s[0:1]
	s_waitcnt lgkmcnt(0)
	v_pk_mov_b32 v[14:15], v[10:11], v[10:11] op_sel:[0,1]
	v_pk_mov_b32 v[12:13], v[8:9], v[8:9] op_sel:[0,1]
	;; [unrolled: 1-line block ×5, first 2 shown]
.LBB1643_61:
	s_add_u32 s0, s12, s16
	s_addc_u32 s1, s13, s17
	s_add_u32 s2, s0, s18
	s_addc_u32 s3, s1, s19
	s_mov_b64 s[0:1], -1
	s_and_b64 vcc, exec, s[14:15]
	s_waitcnt lgkmcnt(0)
	s_barrier
	s_cbranch_vccz .LBB1643_63
; %bb.62:
	ds_write2_b64 v1, v[6:7], v[8:9] offset1:1
	ds_write2_b64 v1, v[10:11], v[12:13] offset0:2 offset1:3
	ds_write_b64 v1, v[14:15] offset:32
	s_waitcnt lgkmcnt(0)
	s_barrier
	ds_read2st64_b32 v[2:3], v22 offset1:2
	ds_read2st64_b32 v[4:5], v22 offset0:4 offset1:6
	ds_read2st64_b32 v[16:17], v22 offset0:8 offset1:10
	;; [unrolled: 1-line block ×4, first 2 shown]
	s_waitcnt lgkmcnt(4)
	v_cvt_f32_i32_e32 v2, v2
	v_cvt_f32_i32_e32 v3, v3
	v_mov_b32_e32 v25, s3
	v_add_co_u32_e32 v24, vcc, s2, v22
	s_waitcnt lgkmcnt(3)
	v_cvt_f32_i32_e32 v4, v4
	v_addc_co_u32_e32 v25, vcc, 0, v25, vcc
	v_cvt_f32_i32_e32 v5, v5
	flat_store_dword v[24:25], v2
	flat_store_dword v[24:25], v3 offset:512
	flat_store_dword v[24:25], v4 offset:1024
	;; [unrolled: 1-line block ×3, first 2 shown]
	s_waitcnt lgkmcnt(0)
	v_cvt_f32_i32_e32 v2, v16
	v_cvt_f32_i32_e32 v3, v17
	;; [unrolled: 1-line block ×4, first 2 shown]
	flat_store_dword v[24:25], v2 offset:2048
	flat_store_dword v[24:25], v3 offset:2560
	;; [unrolled: 1-line block ×4, first 2 shown]
	v_cvt_f32_i32_e32 v4, v20
	v_cvt_f32_i32_e32 v5, v21
	v_add_co_u32_e32 v2, vcc, 0x1000, v24
	v_addc_co_u32_e32 v3, vcc, 0, v25, vcc
	flat_store_dword v[2:3], v4
	flat_store_dword v[2:3], v5 offset:512
	s_mov_b64 s[0:1], 0
.LBB1643_63:
	s_andn2_b64 vcc, exec, s[0:1]
	s_cbranch_vccnz .LBB1643_119
; %bb.64:
	ds_write2_b64 v1, v[6:7], v[8:9] offset1:1
	ds_write2_b64 v1, v[10:11], v[12:13] offset0:2 offset1:3
	ds_write_b64 v1, v[14:15] offset:32
	s_waitcnt lgkmcnt(0)
	s_barrier
	ds_read2st64_b32 v[2:3], v22 offset1:2
	ds_read2st64_b32 v[6:7], v22 offset0:4 offset1:6
	ds_read2st64_b32 v[4:5], v22 offset0:8 offset1:10
	;; [unrolled: 1-line block ×4, first 2 shown]
	v_mov_b32_e32 v13, s3
	v_add_co_u32_e32 v12, vcc, s2, v22
	v_addc_co_u32_e32 v13, vcc, 0, v13, vcc
	v_mov_b32_e32 v1, 0
	v_cmp_gt_u32_e32 vcc, s24, v0
	s_and_saveexec_b64 s[0:1], vcc
	s_cbranch_execz .LBB1643_66
; %bb.65:
	s_waitcnt lgkmcnt(0)
	v_cvt_f32_i32_e32 v14, v2
	flat_store_dword v[12:13], v14
.LBB1643_66:
	s_or_b64 exec, exec, s[0:1]
	v_or_b32_e32 v14, 0x80, v0
	v_cmp_gt_u32_e32 vcc, s24, v14
	s_and_saveexec_b64 s[0:1], vcc
	s_cbranch_execz .LBB1643_68
; %bb.67:
	s_waitcnt lgkmcnt(0)
	v_cvt_f32_i32_e32 v14, v3
	flat_store_dword v[12:13], v14 offset:512
.LBB1643_68:
	s_or_b64 exec, exec, s[0:1]
	v_or_b32_e32 v14, 0x100, v0
	v_cmp_gt_u32_e32 vcc, s24, v14
	s_and_saveexec_b64 s[0:1], vcc
	s_cbranch_execz .LBB1643_70
; %bb.69:
	s_waitcnt lgkmcnt(0)
	v_cvt_f32_i32_e32 v14, v6
	flat_store_dword v[12:13], v14 offset:1024
.LBB1643_70:
	;; [unrolled: 10-line block ×7, first 2 shown]
	s_or_b64 exec, exec, s[0:1]
	v_or_b32_e32 v14, 0x400, v0
	v_cmp_gt_u32_e32 vcc, s24, v14
	s_and_saveexec_b64 s[0:1], vcc
	s_cbranch_execz .LBB1643_82
; %bb.81:
	s_waitcnt lgkmcnt(0)
	v_cvt_f32_i32_e32 v16, v10
	v_add_co_u32_e32 v14, vcc, 0x1000, v12
	v_addc_co_u32_e32 v15, vcc, 0, v13, vcc
	flat_store_dword v[14:15], v16
.LBB1643_82:
	s_or_b64 exec, exec, s[0:1]
	v_or_b32_e32 v14, 0x480, v0
	v_cmp_gt_u32_e32 vcc, s24, v14
	s_and_saveexec_b64 s[0:1], vcc
	s_cbranch_execz .LBB1643_84
; %bb.83:
	s_waitcnt lgkmcnt(0)
	v_cvt_f32_i32_e32 v14, v11
	v_add_co_u32_e32 v12, vcc, 0x1000, v12
	v_addc_co_u32_e32 v13, vcc, 0, v13, vcc
	flat_store_dword v[12:13], v14 offset:512
.LBB1643_84:
	s_or_b64 exec, exec, s[0:1]
	v_cmp_lt_u64_e64 s[0:1], s[10:11], 2
	s_and_b64 vcc, exec, s[0:1]
	s_cbranch_vccnz .LBB1643_119
; %bb.85:
	s_add_u32 s0, s24, -1
	s_addc_u32 s1, s25, -1
	s_add_u32 s2, 0, 0x99986000
	s_addc_u32 s3, 0, 0x59
	s_add_i32 s3, s3, 0x19999940
	s_mul_hi_u32 s9, s2, -10
	s_sub_i32 s9, s9, s2
	s_mul_i32 s10, s3, -10
	s_mul_i32 s4, s2, -10
	s_add_i32 s9, s9, s10
	s_mul_hi_u32 s5, s3, s4
	s_mul_i32 s8, s3, s4
	s_mul_i32 s11, s2, s9
	s_mul_hi_u32 s4, s2, s4
	s_mul_hi_u32 s10, s2, s9
	s_add_u32 s4, s4, s11
	s_addc_u32 s10, 0, s10
	s_add_u32 s4, s4, s8
	s_mul_hi_u32 s11, s3, s9
	s_addc_u32 s4, s10, s5
	s_addc_u32 s5, s11, 0
	s_mul_i32 s8, s3, s9
	s_add_u32 s4, s4, s8
	v_mov_b32_e32 v12, s4
	s_addc_u32 s5, 0, s5
	v_add_co_u32_e32 v12, vcc, s2, v12
	s_cmp_lg_u64 vcc, 0
	s_addc_u32 s2, s3, s5
	v_readfirstlane_b32 s5, v12
	s_mul_i32 s4, s0, s2
	s_mul_hi_u32 s8, s0, s5
	s_mul_hi_u32 s3, s0, s2
	s_add_u32 s4, s8, s4
	s_addc_u32 s3, 0, s3
	s_mul_hi_u32 s9, s1, s5
	s_mul_i32 s5, s1, s5
	s_add_u32 s4, s4, s5
	s_mul_hi_u32 s8, s1, s2
	s_addc_u32 s3, s3, s9
	s_addc_u32 s4, s8, 0
	s_mul_i32 s2, s1, s2
	s_add_u32 s2, s3, s2
	s_addc_u32 s3, 0, s4
	s_add_u32 s4, s2, 1
	s_addc_u32 s5, s3, 0
	s_add_u32 s8, s2, 2
	s_mul_i32 s10, s3, 10
	s_mul_hi_u32 s11, s2, 10
	s_addc_u32 s9, s3, 0
	s_add_i32 s11, s11, s10
	s_mul_i32 s10, s2, 10
	v_mov_b32_e32 v12, s10
	v_sub_co_u32_e32 v12, vcc, s0, v12
	s_cmp_lg_u64 vcc, 0
	s_subb_u32 s10, s1, s11
	v_subrev_co_u32_e32 v13, vcc, 10, v12
	s_cmp_lg_u64 vcc, 0
	s_subb_u32 s11, s10, 0
	v_readfirstlane_b32 s12, v13
	s_cmp_gt_u32 s12, 9
	s_cselect_b32 s12, -1, 0
	s_cmp_eq_u32 s11, 0
	s_cselect_b32 s11, s12, -1
	s_cmp_lg_u32 s11, 0
	s_cselect_b32 s4, s8, s4
	v_readfirstlane_b32 s8, v12
	s_cselect_b32 s5, s9, s5
	s_cmp_gt_u32 s8, 9
	s_cselect_b32 s8, -1, 0
	s_cmp_eq_u32 s10, 0
	s_cselect_b32 s8, s8, -1
	s_cmp_lg_u32 s8, 0
	s_cselect_b32 s3, s5, s3
	s_cselect_b32 s2, s4, s2
	v_cmp_eq_u64_e32 vcc, s[2:3], v[0:1]
	s_and_saveexec_b64 s[2:3], vcc
	s_cbranch_execz .LBB1643_119
; %bb.86:
	v_mul_hi_u32_u24_e32 v1, 10, v0
	v_mov_b32_e32 v12, s1
	v_sub_co_u32_e32 v0, vcc, s0, v23
	v_subb_co_u32_e32 v1, vcc, v12, v1, vcc
	v_cmp_lt_i64_e32 vcc, 4, v[0:1]
	s_and_saveexec_b64 s[0:1], vcc
	s_xor_b64 s[0:1], exec, s[0:1]
	s_cbranch_execz .LBB1643_104
; %bb.87:
	v_cmp_lt_i64_e32 vcc, 6, v[0:1]
	s_and_saveexec_b64 s[2:3], vcc
	s_xor_b64 s[2:3], exec, s[2:3]
	s_cbranch_execz .LBB1643_97
; %bb.88:
	;; [unrolled: 5-line block ×4, first 2 shown]
	v_mov_b32_e32 v0, 0
	s_waitcnt lgkmcnt(0)
	global_store_dword v0, v11, s[6:7]
                                        ; implicit-def: $vgpr10_vgpr11
.LBB1643_91:
	s_andn2_saveexec_b64 s[8:9], s[8:9]
	s_cbranch_execz .LBB1643_93
; %bb.92:
	v_mov_b32_e32 v0, 0
	s_waitcnt lgkmcnt(0)
	global_store_dword v0, v10, s[6:7]
.LBB1643_93:
	s_or_b64 exec, exec, s[8:9]
                                        ; implicit-def: $vgpr8_vgpr9
.LBB1643_94:
	s_andn2_saveexec_b64 s[4:5], s[4:5]
	s_cbranch_execz .LBB1643_96
; %bb.95:
	v_mov_b32_e32 v0, 0
	s_waitcnt lgkmcnt(0)
	global_store_dword v0, v9, s[6:7]
.LBB1643_96:
	s_or_b64 exec, exec, s[4:5]
                                        ; implicit-def: $vgpr4_vgpr5
                                        ; implicit-def: $vgpr0_vgpr1
                                        ; implicit-def: $vgpr8_vgpr9
.LBB1643_97:
	s_andn2_saveexec_b64 s[2:3], s[2:3]
	s_cbranch_execz .LBB1643_103
; %bb.98:
	v_cmp_lt_i64_e32 vcc, 5, v[0:1]
	s_and_saveexec_b64 s[4:5], vcc
	s_xor_b64 s[4:5], exec, s[4:5]
	s_cbranch_execz .LBB1643_100
; %bb.99:
	v_mov_b32_e32 v0, 0
	s_waitcnt lgkmcnt(0)
	global_store_dword v0, v8, s[6:7]
                                        ; implicit-def: $vgpr4_vgpr5
.LBB1643_100:
	s_andn2_saveexec_b64 s[4:5], s[4:5]
	s_cbranch_execz .LBB1643_102
; %bb.101:
	v_mov_b32_e32 v0, 0
	s_waitcnt lgkmcnt(0)
	global_store_dword v0, v5, s[6:7]
.LBB1643_102:
	s_or_b64 exec, exec, s[4:5]
.LBB1643_103:
	s_or_b64 exec, exec, s[2:3]
                                        ; implicit-def: $vgpr0_vgpr1
                                        ; implicit-def: $vgpr6_vgpr7
                                        ; implicit-def: $vgpr2_vgpr3
                                        ; implicit-def: $vgpr4_vgpr5
.LBB1643_104:
	s_andn2_saveexec_b64 s[0:1], s[0:1]
	s_cbranch_execz .LBB1643_119
; %bb.105:
	v_cmp_lt_i64_e32 vcc, 2, v[0:1]
	s_and_saveexec_b64 s[0:1], vcc
	s_xor_b64 s[0:1], exec, s[0:1]
	s_cbranch_execz .LBB1643_111
; %bb.106:
	v_cmp_lt_i64_e32 vcc, 3, v[0:1]
	s_and_saveexec_b64 s[2:3], vcc
	s_xor_b64 s[2:3], exec, s[2:3]
	s_cbranch_execz .LBB1643_108
; %bb.107:
	v_mov_b32_e32 v0, 0
	s_waitcnt lgkmcnt(0)
	global_store_dword v0, v4, s[6:7]
                                        ; implicit-def: $vgpr6_vgpr7
.LBB1643_108:
	s_andn2_saveexec_b64 s[2:3], s[2:3]
	s_cbranch_execz .LBB1643_110
; %bb.109:
	v_mov_b32_e32 v0, 0
	s_waitcnt lgkmcnt(0)
	global_store_dword v0, v7, s[6:7]
.LBB1643_110:
	s_or_b64 exec, exec, s[2:3]
                                        ; implicit-def: $vgpr0_vgpr1
                                        ; implicit-def: $vgpr6_vgpr7
                                        ; implicit-def: $vgpr2_vgpr3
.LBB1643_111:
	s_andn2_saveexec_b64 s[0:1], s[0:1]
	s_cbranch_execz .LBB1643_119
; %bb.112:
	v_cmp_lt_i64_e32 vcc, 1, v[0:1]
	s_and_saveexec_b64 s[0:1], vcc
	s_xor_b64 s[0:1], exec, s[0:1]
	s_cbranch_execz .LBB1643_114
; %bb.113:
	v_mov_b32_e32 v0, 0
	s_waitcnt lgkmcnt(0)
	global_store_dword v0, v6, s[6:7]
                                        ; implicit-def: $vgpr2_vgpr3
                                        ; implicit-def: $vgpr0_vgpr1
.LBB1643_114:
	s_andn2_saveexec_b64 s[0:1], s[0:1]
	s_cbranch_execz .LBB1643_119
; %bb.115:
	v_cmp_ne_u64_e32 vcc, 1, v[0:1]
	s_and_saveexec_b64 s[0:1], vcc
	s_xor_b64 s[0:1], exec, s[0:1]
	s_cbranch_execz .LBB1643_117
; %bb.116:
	v_mov_b32_e32 v0, 0
	s_waitcnt lgkmcnt(0)
	global_store_dword v0, v2, s[6:7]
                                        ; implicit-def: $vgpr2_vgpr3
.LBB1643_117:
	s_andn2_saveexec_b64 s[0:1], s[0:1]
	s_cbranch_execz .LBB1643_119
; %bb.118:
	v_mov_b32_e32 v0, 0
	s_waitcnt lgkmcnt(0)
	global_store_dword v0, v3, s[6:7]
.LBB1643_119:
	s_endpgm
	.section	.rodata,"a",@progbits
	.p2align	6, 0x0
	.amdhsa_kernel _ZN7rocprim17ROCPRIM_400000_NS6detail17trampoline_kernelINS0_14default_configENS1_20scan_config_selectorIiEEZZNS1_9scan_implILNS1_25lookback_scan_determinismE0ELb0ELb0ES3_N6thrust23THRUST_200600_302600_NS6detail15normal_iteratorINS9_10device_ptrIiEEEENSB_INSC_IfEEEEiNS9_4plusIvEEiEEDaPvRmT3_T4_T5_mT6_P12ihipStream_tbENKUlT_T0_E_clISt17integral_constantIbLb0EESW_EEDaSR_SS_EUlSR_E_NS1_11comp_targetILNS1_3genE4ELNS1_11target_archE910ELNS1_3gpuE8ELNS1_3repE0EEENS1_30default_config_static_selectorELNS0_4arch9wavefront6targetE1EEEvT1_
		.amdhsa_group_segment_fixed_size 5120
		.amdhsa_private_segment_fixed_size 0
		.amdhsa_kernarg_size 96
		.amdhsa_user_sgpr_count 6
		.amdhsa_user_sgpr_private_segment_buffer 1
		.amdhsa_user_sgpr_dispatch_ptr 0
		.amdhsa_user_sgpr_queue_ptr 0
		.amdhsa_user_sgpr_kernarg_segment_ptr 1
		.amdhsa_user_sgpr_dispatch_id 0
		.amdhsa_user_sgpr_flat_scratch_init 0
		.amdhsa_user_sgpr_kernarg_preload_length 0
		.amdhsa_user_sgpr_kernarg_preload_offset 0
		.amdhsa_user_sgpr_private_segment_size 0
		.amdhsa_uses_dynamic_stack 0
		.amdhsa_system_sgpr_private_segment_wavefront_offset 0
		.amdhsa_system_sgpr_workgroup_id_x 1
		.amdhsa_system_sgpr_workgroup_id_y 0
		.amdhsa_system_sgpr_workgroup_id_z 0
		.amdhsa_system_sgpr_workgroup_info 0
		.amdhsa_system_vgpr_workitem_id 0
		.amdhsa_next_free_vgpr 40
		.amdhsa_next_free_sgpr 28
		.amdhsa_accum_offset 40
		.amdhsa_reserve_vcc 1
		.amdhsa_reserve_flat_scratch 0
		.amdhsa_float_round_mode_32 0
		.amdhsa_float_round_mode_16_64 0
		.amdhsa_float_denorm_mode_32 3
		.amdhsa_float_denorm_mode_16_64 3
		.amdhsa_dx10_clamp 1
		.amdhsa_ieee_mode 1
		.amdhsa_fp16_overflow 0
		.amdhsa_tg_split 0
		.amdhsa_exception_fp_ieee_invalid_op 0
		.amdhsa_exception_fp_denorm_src 0
		.amdhsa_exception_fp_ieee_div_zero 0
		.amdhsa_exception_fp_ieee_overflow 0
		.amdhsa_exception_fp_ieee_underflow 0
		.amdhsa_exception_fp_ieee_inexact 0
		.amdhsa_exception_int_div_zero 0
	.end_amdhsa_kernel
	.section	.text._ZN7rocprim17ROCPRIM_400000_NS6detail17trampoline_kernelINS0_14default_configENS1_20scan_config_selectorIiEEZZNS1_9scan_implILNS1_25lookback_scan_determinismE0ELb0ELb0ES3_N6thrust23THRUST_200600_302600_NS6detail15normal_iteratorINS9_10device_ptrIiEEEENSB_INSC_IfEEEEiNS9_4plusIvEEiEEDaPvRmT3_T4_T5_mT6_P12ihipStream_tbENKUlT_T0_E_clISt17integral_constantIbLb0EESW_EEDaSR_SS_EUlSR_E_NS1_11comp_targetILNS1_3genE4ELNS1_11target_archE910ELNS1_3gpuE8ELNS1_3repE0EEENS1_30default_config_static_selectorELNS0_4arch9wavefront6targetE1EEEvT1_,"axG",@progbits,_ZN7rocprim17ROCPRIM_400000_NS6detail17trampoline_kernelINS0_14default_configENS1_20scan_config_selectorIiEEZZNS1_9scan_implILNS1_25lookback_scan_determinismE0ELb0ELb0ES3_N6thrust23THRUST_200600_302600_NS6detail15normal_iteratorINS9_10device_ptrIiEEEENSB_INSC_IfEEEEiNS9_4plusIvEEiEEDaPvRmT3_T4_T5_mT6_P12ihipStream_tbENKUlT_T0_E_clISt17integral_constantIbLb0EESW_EEDaSR_SS_EUlSR_E_NS1_11comp_targetILNS1_3genE4ELNS1_11target_archE910ELNS1_3gpuE8ELNS1_3repE0EEENS1_30default_config_static_selectorELNS0_4arch9wavefront6targetE1EEEvT1_,comdat
.Lfunc_end1643:
	.size	_ZN7rocprim17ROCPRIM_400000_NS6detail17trampoline_kernelINS0_14default_configENS1_20scan_config_selectorIiEEZZNS1_9scan_implILNS1_25lookback_scan_determinismE0ELb0ELb0ES3_N6thrust23THRUST_200600_302600_NS6detail15normal_iteratorINS9_10device_ptrIiEEEENSB_INSC_IfEEEEiNS9_4plusIvEEiEEDaPvRmT3_T4_T5_mT6_P12ihipStream_tbENKUlT_T0_E_clISt17integral_constantIbLb0EESW_EEDaSR_SS_EUlSR_E_NS1_11comp_targetILNS1_3genE4ELNS1_11target_archE910ELNS1_3gpuE8ELNS1_3repE0EEENS1_30default_config_static_selectorELNS0_4arch9wavefront6targetE1EEEvT1_, .Lfunc_end1643-_ZN7rocprim17ROCPRIM_400000_NS6detail17trampoline_kernelINS0_14default_configENS1_20scan_config_selectorIiEEZZNS1_9scan_implILNS1_25lookback_scan_determinismE0ELb0ELb0ES3_N6thrust23THRUST_200600_302600_NS6detail15normal_iteratorINS9_10device_ptrIiEEEENSB_INSC_IfEEEEiNS9_4plusIvEEiEEDaPvRmT3_T4_T5_mT6_P12ihipStream_tbENKUlT_T0_E_clISt17integral_constantIbLb0EESW_EEDaSR_SS_EUlSR_E_NS1_11comp_targetILNS1_3genE4ELNS1_11target_archE910ELNS1_3gpuE8ELNS1_3repE0EEENS1_30default_config_static_selectorELNS0_4arch9wavefront6targetE1EEEvT1_
                                        ; -- End function
	.section	.AMDGPU.csdata,"",@progbits
; Kernel info:
; codeLenInByte = 4608
; NumSgprs: 32
; NumVgprs: 40
; NumAgprs: 0
; TotalNumVgprs: 40
; ScratchSize: 0
; MemoryBound: 0
; FloatMode: 240
; IeeeMode: 1
; LDSByteSize: 5120 bytes/workgroup (compile time only)
; SGPRBlocks: 3
; VGPRBlocks: 4
; NumSGPRsForWavesPerEU: 32
; NumVGPRsForWavesPerEU: 40
; AccumOffset: 40
; Occupancy: 6
; WaveLimiterHint : 1
; COMPUTE_PGM_RSRC2:SCRATCH_EN: 0
; COMPUTE_PGM_RSRC2:USER_SGPR: 6
; COMPUTE_PGM_RSRC2:TRAP_HANDLER: 0
; COMPUTE_PGM_RSRC2:TGID_X_EN: 1
; COMPUTE_PGM_RSRC2:TGID_Y_EN: 0
; COMPUTE_PGM_RSRC2:TGID_Z_EN: 0
; COMPUTE_PGM_RSRC2:TIDIG_COMP_CNT: 0
; COMPUTE_PGM_RSRC3_GFX90A:ACCUM_OFFSET: 9
; COMPUTE_PGM_RSRC3_GFX90A:TG_SPLIT: 0
	.section	.text._ZN7rocprim17ROCPRIM_400000_NS6detail17trampoline_kernelINS0_14default_configENS1_20scan_config_selectorIiEEZZNS1_9scan_implILNS1_25lookback_scan_determinismE0ELb0ELb0ES3_N6thrust23THRUST_200600_302600_NS6detail15normal_iteratorINS9_10device_ptrIiEEEENSB_INSC_IfEEEEiNS9_4plusIvEEiEEDaPvRmT3_T4_T5_mT6_P12ihipStream_tbENKUlT_T0_E_clISt17integral_constantIbLb0EESW_EEDaSR_SS_EUlSR_E_NS1_11comp_targetILNS1_3genE3ELNS1_11target_archE908ELNS1_3gpuE7ELNS1_3repE0EEENS1_30default_config_static_selectorELNS0_4arch9wavefront6targetE1EEEvT1_,"axG",@progbits,_ZN7rocprim17ROCPRIM_400000_NS6detail17trampoline_kernelINS0_14default_configENS1_20scan_config_selectorIiEEZZNS1_9scan_implILNS1_25lookback_scan_determinismE0ELb0ELb0ES3_N6thrust23THRUST_200600_302600_NS6detail15normal_iteratorINS9_10device_ptrIiEEEENSB_INSC_IfEEEEiNS9_4plusIvEEiEEDaPvRmT3_T4_T5_mT6_P12ihipStream_tbENKUlT_T0_E_clISt17integral_constantIbLb0EESW_EEDaSR_SS_EUlSR_E_NS1_11comp_targetILNS1_3genE3ELNS1_11target_archE908ELNS1_3gpuE7ELNS1_3repE0EEENS1_30default_config_static_selectorELNS0_4arch9wavefront6targetE1EEEvT1_,comdat
	.protected	_ZN7rocprim17ROCPRIM_400000_NS6detail17trampoline_kernelINS0_14default_configENS1_20scan_config_selectorIiEEZZNS1_9scan_implILNS1_25lookback_scan_determinismE0ELb0ELb0ES3_N6thrust23THRUST_200600_302600_NS6detail15normal_iteratorINS9_10device_ptrIiEEEENSB_INSC_IfEEEEiNS9_4plusIvEEiEEDaPvRmT3_T4_T5_mT6_P12ihipStream_tbENKUlT_T0_E_clISt17integral_constantIbLb0EESW_EEDaSR_SS_EUlSR_E_NS1_11comp_targetILNS1_3genE3ELNS1_11target_archE908ELNS1_3gpuE7ELNS1_3repE0EEENS1_30default_config_static_selectorELNS0_4arch9wavefront6targetE1EEEvT1_ ; -- Begin function _ZN7rocprim17ROCPRIM_400000_NS6detail17trampoline_kernelINS0_14default_configENS1_20scan_config_selectorIiEEZZNS1_9scan_implILNS1_25lookback_scan_determinismE0ELb0ELb0ES3_N6thrust23THRUST_200600_302600_NS6detail15normal_iteratorINS9_10device_ptrIiEEEENSB_INSC_IfEEEEiNS9_4plusIvEEiEEDaPvRmT3_T4_T5_mT6_P12ihipStream_tbENKUlT_T0_E_clISt17integral_constantIbLb0EESW_EEDaSR_SS_EUlSR_E_NS1_11comp_targetILNS1_3genE3ELNS1_11target_archE908ELNS1_3gpuE7ELNS1_3repE0EEENS1_30default_config_static_selectorELNS0_4arch9wavefront6targetE1EEEvT1_
	.globl	_ZN7rocprim17ROCPRIM_400000_NS6detail17trampoline_kernelINS0_14default_configENS1_20scan_config_selectorIiEEZZNS1_9scan_implILNS1_25lookback_scan_determinismE0ELb0ELb0ES3_N6thrust23THRUST_200600_302600_NS6detail15normal_iteratorINS9_10device_ptrIiEEEENSB_INSC_IfEEEEiNS9_4plusIvEEiEEDaPvRmT3_T4_T5_mT6_P12ihipStream_tbENKUlT_T0_E_clISt17integral_constantIbLb0EESW_EEDaSR_SS_EUlSR_E_NS1_11comp_targetILNS1_3genE3ELNS1_11target_archE908ELNS1_3gpuE7ELNS1_3repE0EEENS1_30default_config_static_selectorELNS0_4arch9wavefront6targetE1EEEvT1_
	.p2align	8
	.type	_ZN7rocprim17ROCPRIM_400000_NS6detail17trampoline_kernelINS0_14default_configENS1_20scan_config_selectorIiEEZZNS1_9scan_implILNS1_25lookback_scan_determinismE0ELb0ELb0ES3_N6thrust23THRUST_200600_302600_NS6detail15normal_iteratorINS9_10device_ptrIiEEEENSB_INSC_IfEEEEiNS9_4plusIvEEiEEDaPvRmT3_T4_T5_mT6_P12ihipStream_tbENKUlT_T0_E_clISt17integral_constantIbLb0EESW_EEDaSR_SS_EUlSR_E_NS1_11comp_targetILNS1_3genE3ELNS1_11target_archE908ELNS1_3gpuE7ELNS1_3repE0EEENS1_30default_config_static_selectorELNS0_4arch9wavefront6targetE1EEEvT1_,@function
_ZN7rocprim17ROCPRIM_400000_NS6detail17trampoline_kernelINS0_14default_configENS1_20scan_config_selectorIiEEZZNS1_9scan_implILNS1_25lookback_scan_determinismE0ELb0ELb0ES3_N6thrust23THRUST_200600_302600_NS6detail15normal_iteratorINS9_10device_ptrIiEEEENSB_INSC_IfEEEEiNS9_4plusIvEEiEEDaPvRmT3_T4_T5_mT6_P12ihipStream_tbENKUlT_T0_E_clISt17integral_constantIbLb0EESW_EEDaSR_SS_EUlSR_E_NS1_11comp_targetILNS1_3genE3ELNS1_11target_archE908ELNS1_3gpuE7ELNS1_3repE0EEENS1_30default_config_static_selectorELNS0_4arch9wavefront6targetE1EEEvT1_: ; @_ZN7rocprim17ROCPRIM_400000_NS6detail17trampoline_kernelINS0_14default_configENS1_20scan_config_selectorIiEEZZNS1_9scan_implILNS1_25lookback_scan_determinismE0ELb0ELb0ES3_N6thrust23THRUST_200600_302600_NS6detail15normal_iteratorINS9_10device_ptrIiEEEENSB_INSC_IfEEEEiNS9_4plusIvEEiEEDaPvRmT3_T4_T5_mT6_P12ihipStream_tbENKUlT_T0_E_clISt17integral_constantIbLb0EESW_EEDaSR_SS_EUlSR_E_NS1_11comp_targetILNS1_3genE3ELNS1_11target_archE908ELNS1_3gpuE7ELNS1_3repE0EEENS1_30default_config_static_selectorELNS0_4arch9wavefront6targetE1EEEvT1_
; %bb.0:
	.section	.rodata,"a",@progbits
	.p2align	6, 0x0
	.amdhsa_kernel _ZN7rocprim17ROCPRIM_400000_NS6detail17trampoline_kernelINS0_14default_configENS1_20scan_config_selectorIiEEZZNS1_9scan_implILNS1_25lookback_scan_determinismE0ELb0ELb0ES3_N6thrust23THRUST_200600_302600_NS6detail15normal_iteratorINS9_10device_ptrIiEEEENSB_INSC_IfEEEEiNS9_4plusIvEEiEEDaPvRmT3_T4_T5_mT6_P12ihipStream_tbENKUlT_T0_E_clISt17integral_constantIbLb0EESW_EEDaSR_SS_EUlSR_E_NS1_11comp_targetILNS1_3genE3ELNS1_11target_archE908ELNS1_3gpuE7ELNS1_3repE0EEENS1_30default_config_static_selectorELNS0_4arch9wavefront6targetE1EEEvT1_
		.amdhsa_group_segment_fixed_size 0
		.amdhsa_private_segment_fixed_size 0
		.amdhsa_kernarg_size 96
		.amdhsa_user_sgpr_count 6
		.amdhsa_user_sgpr_private_segment_buffer 1
		.amdhsa_user_sgpr_dispatch_ptr 0
		.amdhsa_user_sgpr_queue_ptr 0
		.amdhsa_user_sgpr_kernarg_segment_ptr 1
		.amdhsa_user_sgpr_dispatch_id 0
		.amdhsa_user_sgpr_flat_scratch_init 0
		.amdhsa_user_sgpr_kernarg_preload_length 0
		.amdhsa_user_sgpr_kernarg_preload_offset 0
		.amdhsa_user_sgpr_private_segment_size 0
		.amdhsa_uses_dynamic_stack 0
		.amdhsa_system_sgpr_private_segment_wavefront_offset 0
		.amdhsa_system_sgpr_workgroup_id_x 1
		.amdhsa_system_sgpr_workgroup_id_y 0
		.amdhsa_system_sgpr_workgroup_id_z 0
		.amdhsa_system_sgpr_workgroup_info 0
		.amdhsa_system_vgpr_workitem_id 0
		.amdhsa_next_free_vgpr 1
		.amdhsa_next_free_sgpr 0
		.amdhsa_accum_offset 4
		.amdhsa_reserve_vcc 0
		.amdhsa_reserve_flat_scratch 0
		.amdhsa_float_round_mode_32 0
		.amdhsa_float_round_mode_16_64 0
		.amdhsa_float_denorm_mode_32 3
		.amdhsa_float_denorm_mode_16_64 3
		.amdhsa_dx10_clamp 1
		.amdhsa_ieee_mode 1
		.amdhsa_fp16_overflow 0
		.amdhsa_tg_split 0
		.amdhsa_exception_fp_ieee_invalid_op 0
		.amdhsa_exception_fp_denorm_src 0
		.amdhsa_exception_fp_ieee_div_zero 0
		.amdhsa_exception_fp_ieee_overflow 0
		.amdhsa_exception_fp_ieee_underflow 0
		.amdhsa_exception_fp_ieee_inexact 0
		.amdhsa_exception_int_div_zero 0
	.end_amdhsa_kernel
	.section	.text._ZN7rocprim17ROCPRIM_400000_NS6detail17trampoline_kernelINS0_14default_configENS1_20scan_config_selectorIiEEZZNS1_9scan_implILNS1_25lookback_scan_determinismE0ELb0ELb0ES3_N6thrust23THRUST_200600_302600_NS6detail15normal_iteratorINS9_10device_ptrIiEEEENSB_INSC_IfEEEEiNS9_4plusIvEEiEEDaPvRmT3_T4_T5_mT6_P12ihipStream_tbENKUlT_T0_E_clISt17integral_constantIbLb0EESW_EEDaSR_SS_EUlSR_E_NS1_11comp_targetILNS1_3genE3ELNS1_11target_archE908ELNS1_3gpuE7ELNS1_3repE0EEENS1_30default_config_static_selectorELNS0_4arch9wavefront6targetE1EEEvT1_,"axG",@progbits,_ZN7rocprim17ROCPRIM_400000_NS6detail17trampoline_kernelINS0_14default_configENS1_20scan_config_selectorIiEEZZNS1_9scan_implILNS1_25lookback_scan_determinismE0ELb0ELb0ES3_N6thrust23THRUST_200600_302600_NS6detail15normal_iteratorINS9_10device_ptrIiEEEENSB_INSC_IfEEEEiNS9_4plusIvEEiEEDaPvRmT3_T4_T5_mT6_P12ihipStream_tbENKUlT_T0_E_clISt17integral_constantIbLb0EESW_EEDaSR_SS_EUlSR_E_NS1_11comp_targetILNS1_3genE3ELNS1_11target_archE908ELNS1_3gpuE7ELNS1_3repE0EEENS1_30default_config_static_selectorELNS0_4arch9wavefront6targetE1EEEvT1_,comdat
.Lfunc_end1644:
	.size	_ZN7rocprim17ROCPRIM_400000_NS6detail17trampoline_kernelINS0_14default_configENS1_20scan_config_selectorIiEEZZNS1_9scan_implILNS1_25lookback_scan_determinismE0ELb0ELb0ES3_N6thrust23THRUST_200600_302600_NS6detail15normal_iteratorINS9_10device_ptrIiEEEENSB_INSC_IfEEEEiNS9_4plusIvEEiEEDaPvRmT3_T4_T5_mT6_P12ihipStream_tbENKUlT_T0_E_clISt17integral_constantIbLb0EESW_EEDaSR_SS_EUlSR_E_NS1_11comp_targetILNS1_3genE3ELNS1_11target_archE908ELNS1_3gpuE7ELNS1_3repE0EEENS1_30default_config_static_selectorELNS0_4arch9wavefront6targetE1EEEvT1_, .Lfunc_end1644-_ZN7rocprim17ROCPRIM_400000_NS6detail17trampoline_kernelINS0_14default_configENS1_20scan_config_selectorIiEEZZNS1_9scan_implILNS1_25lookback_scan_determinismE0ELb0ELb0ES3_N6thrust23THRUST_200600_302600_NS6detail15normal_iteratorINS9_10device_ptrIiEEEENSB_INSC_IfEEEEiNS9_4plusIvEEiEEDaPvRmT3_T4_T5_mT6_P12ihipStream_tbENKUlT_T0_E_clISt17integral_constantIbLb0EESW_EEDaSR_SS_EUlSR_E_NS1_11comp_targetILNS1_3genE3ELNS1_11target_archE908ELNS1_3gpuE7ELNS1_3repE0EEENS1_30default_config_static_selectorELNS0_4arch9wavefront6targetE1EEEvT1_
                                        ; -- End function
	.section	.AMDGPU.csdata,"",@progbits
; Kernel info:
; codeLenInByte = 0
; NumSgprs: 4
; NumVgprs: 0
; NumAgprs: 0
; TotalNumVgprs: 0
; ScratchSize: 0
; MemoryBound: 0
; FloatMode: 240
; IeeeMode: 1
; LDSByteSize: 0 bytes/workgroup (compile time only)
; SGPRBlocks: 0
; VGPRBlocks: 0
; NumSGPRsForWavesPerEU: 4
; NumVGPRsForWavesPerEU: 1
; AccumOffset: 4
; Occupancy: 8
; WaveLimiterHint : 0
; COMPUTE_PGM_RSRC2:SCRATCH_EN: 0
; COMPUTE_PGM_RSRC2:USER_SGPR: 6
; COMPUTE_PGM_RSRC2:TRAP_HANDLER: 0
; COMPUTE_PGM_RSRC2:TGID_X_EN: 1
; COMPUTE_PGM_RSRC2:TGID_Y_EN: 0
; COMPUTE_PGM_RSRC2:TGID_Z_EN: 0
; COMPUTE_PGM_RSRC2:TIDIG_COMP_CNT: 0
; COMPUTE_PGM_RSRC3_GFX90A:ACCUM_OFFSET: 0
; COMPUTE_PGM_RSRC3_GFX90A:TG_SPLIT: 0
	.section	.text._ZN7rocprim17ROCPRIM_400000_NS6detail17trampoline_kernelINS0_14default_configENS1_20scan_config_selectorIiEEZZNS1_9scan_implILNS1_25lookback_scan_determinismE0ELb0ELb0ES3_N6thrust23THRUST_200600_302600_NS6detail15normal_iteratorINS9_10device_ptrIiEEEENSB_INSC_IfEEEEiNS9_4plusIvEEiEEDaPvRmT3_T4_T5_mT6_P12ihipStream_tbENKUlT_T0_E_clISt17integral_constantIbLb0EESW_EEDaSR_SS_EUlSR_E_NS1_11comp_targetILNS1_3genE2ELNS1_11target_archE906ELNS1_3gpuE6ELNS1_3repE0EEENS1_30default_config_static_selectorELNS0_4arch9wavefront6targetE1EEEvT1_,"axG",@progbits,_ZN7rocprim17ROCPRIM_400000_NS6detail17trampoline_kernelINS0_14default_configENS1_20scan_config_selectorIiEEZZNS1_9scan_implILNS1_25lookback_scan_determinismE0ELb0ELb0ES3_N6thrust23THRUST_200600_302600_NS6detail15normal_iteratorINS9_10device_ptrIiEEEENSB_INSC_IfEEEEiNS9_4plusIvEEiEEDaPvRmT3_T4_T5_mT6_P12ihipStream_tbENKUlT_T0_E_clISt17integral_constantIbLb0EESW_EEDaSR_SS_EUlSR_E_NS1_11comp_targetILNS1_3genE2ELNS1_11target_archE906ELNS1_3gpuE6ELNS1_3repE0EEENS1_30default_config_static_selectorELNS0_4arch9wavefront6targetE1EEEvT1_,comdat
	.protected	_ZN7rocprim17ROCPRIM_400000_NS6detail17trampoline_kernelINS0_14default_configENS1_20scan_config_selectorIiEEZZNS1_9scan_implILNS1_25lookback_scan_determinismE0ELb0ELb0ES3_N6thrust23THRUST_200600_302600_NS6detail15normal_iteratorINS9_10device_ptrIiEEEENSB_INSC_IfEEEEiNS9_4plusIvEEiEEDaPvRmT3_T4_T5_mT6_P12ihipStream_tbENKUlT_T0_E_clISt17integral_constantIbLb0EESW_EEDaSR_SS_EUlSR_E_NS1_11comp_targetILNS1_3genE2ELNS1_11target_archE906ELNS1_3gpuE6ELNS1_3repE0EEENS1_30default_config_static_selectorELNS0_4arch9wavefront6targetE1EEEvT1_ ; -- Begin function _ZN7rocprim17ROCPRIM_400000_NS6detail17trampoline_kernelINS0_14default_configENS1_20scan_config_selectorIiEEZZNS1_9scan_implILNS1_25lookback_scan_determinismE0ELb0ELb0ES3_N6thrust23THRUST_200600_302600_NS6detail15normal_iteratorINS9_10device_ptrIiEEEENSB_INSC_IfEEEEiNS9_4plusIvEEiEEDaPvRmT3_T4_T5_mT6_P12ihipStream_tbENKUlT_T0_E_clISt17integral_constantIbLb0EESW_EEDaSR_SS_EUlSR_E_NS1_11comp_targetILNS1_3genE2ELNS1_11target_archE906ELNS1_3gpuE6ELNS1_3repE0EEENS1_30default_config_static_selectorELNS0_4arch9wavefront6targetE1EEEvT1_
	.globl	_ZN7rocprim17ROCPRIM_400000_NS6detail17trampoline_kernelINS0_14default_configENS1_20scan_config_selectorIiEEZZNS1_9scan_implILNS1_25lookback_scan_determinismE0ELb0ELb0ES3_N6thrust23THRUST_200600_302600_NS6detail15normal_iteratorINS9_10device_ptrIiEEEENSB_INSC_IfEEEEiNS9_4plusIvEEiEEDaPvRmT3_T4_T5_mT6_P12ihipStream_tbENKUlT_T0_E_clISt17integral_constantIbLb0EESW_EEDaSR_SS_EUlSR_E_NS1_11comp_targetILNS1_3genE2ELNS1_11target_archE906ELNS1_3gpuE6ELNS1_3repE0EEENS1_30default_config_static_selectorELNS0_4arch9wavefront6targetE1EEEvT1_
	.p2align	8
	.type	_ZN7rocprim17ROCPRIM_400000_NS6detail17trampoline_kernelINS0_14default_configENS1_20scan_config_selectorIiEEZZNS1_9scan_implILNS1_25lookback_scan_determinismE0ELb0ELb0ES3_N6thrust23THRUST_200600_302600_NS6detail15normal_iteratorINS9_10device_ptrIiEEEENSB_INSC_IfEEEEiNS9_4plusIvEEiEEDaPvRmT3_T4_T5_mT6_P12ihipStream_tbENKUlT_T0_E_clISt17integral_constantIbLb0EESW_EEDaSR_SS_EUlSR_E_NS1_11comp_targetILNS1_3genE2ELNS1_11target_archE906ELNS1_3gpuE6ELNS1_3repE0EEENS1_30default_config_static_selectorELNS0_4arch9wavefront6targetE1EEEvT1_,@function
_ZN7rocprim17ROCPRIM_400000_NS6detail17trampoline_kernelINS0_14default_configENS1_20scan_config_selectorIiEEZZNS1_9scan_implILNS1_25lookback_scan_determinismE0ELb0ELb0ES3_N6thrust23THRUST_200600_302600_NS6detail15normal_iteratorINS9_10device_ptrIiEEEENSB_INSC_IfEEEEiNS9_4plusIvEEiEEDaPvRmT3_T4_T5_mT6_P12ihipStream_tbENKUlT_T0_E_clISt17integral_constantIbLb0EESW_EEDaSR_SS_EUlSR_E_NS1_11comp_targetILNS1_3genE2ELNS1_11target_archE906ELNS1_3gpuE6ELNS1_3repE0EEENS1_30default_config_static_selectorELNS0_4arch9wavefront6targetE1EEEvT1_: ; @_ZN7rocprim17ROCPRIM_400000_NS6detail17trampoline_kernelINS0_14default_configENS1_20scan_config_selectorIiEEZZNS1_9scan_implILNS1_25lookback_scan_determinismE0ELb0ELb0ES3_N6thrust23THRUST_200600_302600_NS6detail15normal_iteratorINS9_10device_ptrIiEEEENSB_INSC_IfEEEEiNS9_4plusIvEEiEEDaPvRmT3_T4_T5_mT6_P12ihipStream_tbENKUlT_T0_E_clISt17integral_constantIbLb0EESW_EEDaSR_SS_EUlSR_E_NS1_11comp_targetILNS1_3genE2ELNS1_11target_archE906ELNS1_3gpuE6ELNS1_3repE0EEENS1_30default_config_static_selectorELNS0_4arch9wavefront6targetE1EEEvT1_
; %bb.0:
	.section	.rodata,"a",@progbits
	.p2align	6, 0x0
	.amdhsa_kernel _ZN7rocprim17ROCPRIM_400000_NS6detail17trampoline_kernelINS0_14default_configENS1_20scan_config_selectorIiEEZZNS1_9scan_implILNS1_25lookback_scan_determinismE0ELb0ELb0ES3_N6thrust23THRUST_200600_302600_NS6detail15normal_iteratorINS9_10device_ptrIiEEEENSB_INSC_IfEEEEiNS9_4plusIvEEiEEDaPvRmT3_T4_T5_mT6_P12ihipStream_tbENKUlT_T0_E_clISt17integral_constantIbLb0EESW_EEDaSR_SS_EUlSR_E_NS1_11comp_targetILNS1_3genE2ELNS1_11target_archE906ELNS1_3gpuE6ELNS1_3repE0EEENS1_30default_config_static_selectorELNS0_4arch9wavefront6targetE1EEEvT1_
		.amdhsa_group_segment_fixed_size 0
		.amdhsa_private_segment_fixed_size 0
		.amdhsa_kernarg_size 96
		.amdhsa_user_sgpr_count 6
		.amdhsa_user_sgpr_private_segment_buffer 1
		.amdhsa_user_sgpr_dispatch_ptr 0
		.amdhsa_user_sgpr_queue_ptr 0
		.amdhsa_user_sgpr_kernarg_segment_ptr 1
		.amdhsa_user_sgpr_dispatch_id 0
		.amdhsa_user_sgpr_flat_scratch_init 0
		.amdhsa_user_sgpr_kernarg_preload_length 0
		.amdhsa_user_sgpr_kernarg_preload_offset 0
		.amdhsa_user_sgpr_private_segment_size 0
		.amdhsa_uses_dynamic_stack 0
		.amdhsa_system_sgpr_private_segment_wavefront_offset 0
		.amdhsa_system_sgpr_workgroup_id_x 1
		.amdhsa_system_sgpr_workgroup_id_y 0
		.amdhsa_system_sgpr_workgroup_id_z 0
		.amdhsa_system_sgpr_workgroup_info 0
		.amdhsa_system_vgpr_workitem_id 0
		.amdhsa_next_free_vgpr 1
		.amdhsa_next_free_sgpr 0
		.amdhsa_accum_offset 4
		.amdhsa_reserve_vcc 0
		.amdhsa_reserve_flat_scratch 0
		.amdhsa_float_round_mode_32 0
		.amdhsa_float_round_mode_16_64 0
		.amdhsa_float_denorm_mode_32 3
		.amdhsa_float_denorm_mode_16_64 3
		.amdhsa_dx10_clamp 1
		.amdhsa_ieee_mode 1
		.amdhsa_fp16_overflow 0
		.amdhsa_tg_split 0
		.amdhsa_exception_fp_ieee_invalid_op 0
		.amdhsa_exception_fp_denorm_src 0
		.amdhsa_exception_fp_ieee_div_zero 0
		.amdhsa_exception_fp_ieee_overflow 0
		.amdhsa_exception_fp_ieee_underflow 0
		.amdhsa_exception_fp_ieee_inexact 0
		.amdhsa_exception_int_div_zero 0
	.end_amdhsa_kernel
	.section	.text._ZN7rocprim17ROCPRIM_400000_NS6detail17trampoline_kernelINS0_14default_configENS1_20scan_config_selectorIiEEZZNS1_9scan_implILNS1_25lookback_scan_determinismE0ELb0ELb0ES3_N6thrust23THRUST_200600_302600_NS6detail15normal_iteratorINS9_10device_ptrIiEEEENSB_INSC_IfEEEEiNS9_4plusIvEEiEEDaPvRmT3_T4_T5_mT6_P12ihipStream_tbENKUlT_T0_E_clISt17integral_constantIbLb0EESW_EEDaSR_SS_EUlSR_E_NS1_11comp_targetILNS1_3genE2ELNS1_11target_archE906ELNS1_3gpuE6ELNS1_3repE0EEENS1_30default_config_static_selectorELNS0_4arch9wavefront6targetE1EEEvT1_,"axG",@progbits,_ZN7rocprim17ROCPRIM_400000_NS6detail17trampoline_kernelINS0_14default_configENS1_20scan_config_selectorIiEEZZNS1_9scan_implILNS1_25lookback_scan_determinismE0ELb0ELb0ES3_N6thrust23THRUST_200600_302600_NS6detail15normal_iteratorINS9_10device_ptrIiEEEENSB_INSC_IfEEEEiNS9_4plusIvEEiEEDaPvRmT3_T4_T5_mT6_P12ihipStream_tbENKUlT_T0_E_clISt17integral_constantIbLb0EESW_EEDaSR_SS_EUlSR_E_NS1_11comp_targetILNS1_3genE2ELNS1_11target_archE906ELNS1_3gpuE6ELNS1_3repE0EEENS1_30default_config_static_selectorELNS0_4arch9wavefront6targetE1EEEvT1_,comdat
.Lfunc_end1645:
	.size	_ZN7rocprim17ROCPRIM_400000_NS6detail17trampoline_kernelINS0_14default_configENS1_20scan_config_selectorIiEEZZNS1_9scan_implILNS1_25lookback_scan_determinismE0ELb0ELb0ES3_N6thrust23THRUST_200600_302600_NS6detail15normal_iteratorINS9_10device_ptrIiEEEENSB_INSC_IfEEEEiNS9_4plusIvEEiEEDaPvRmT3_T4_T5_mT6_P12ihipStream_tbENKUlT_T0_E_clISt17integral_constantIbLb0EESW_EEDaSR_SS_EUlSR_E_NS1_11comp_targetILNS1_3genE2ELNS1_11target_archE906ELNS1_3gpuE6ELNS1_3repE0EEENS1_30default_config_static_selectorELNS0_4arch9wavefront6targetE1EEEvT1_, .Lfunc_end1645-_ZN7rocprim17ROCPRIM_400000_NS6detail17trampoline_kernelINS0_14default_configENS1_20scan_config_selectorIiEEZZNS1_9scan_implILNS1_25lookback_scan_determinismE0ELb0ELb0ES3_N6thrust23THRUST_200600_302600_NS6detail15normal_iteratorINS9_10device_ptrIiEEEENSB_INSC_IfEEEEiNS9_4plusIvEEiEEDaPvRmT3_T4_T5_mT6_P12ihipStream_tbENKUlT_T0_E_clISt17integral_constantIbLb0EESW_EEDaSR_SS_EUlSR_E_NS1_11comp_targetILNS1_3genE2ELNS1_11target_archE906ELNS1_3gpuE6ELNS1_3repE0EEENS1_30default_config_static_selectorELNS0_4arch9wavefront6targetE1EEEvT1_
                                        ; -- End function
	.section	.AMDGPU.csdata,"",@progbits
; Kernel info:
; codeLenInByte = 0
; NumSgprs: 4
; NumVgprs: 0
; NumAgprs: 0
; TotalNumVgprs: 0
; ScratchSize: 0
; MemoryBound: 0
; FloatMode: 240
; IeeeMode: 1
; LDSByteSize: 0 bytes/workgroup (compile time only)
; SGPRBlocks: 0
; VGPRBlocks: 0
; NumSGPRsForWavesPerEU: 4
; NumVGPRsForWavesPerEU: 1
; AccumOffset: 4
; Occupancy: 8
; WaveLimiterHint : 0
; COMPUTE_PGM_RSRC2:SCRATCH_EN: 0
; COMPUTE_PGM_RSRC2:USER_SGPR: 6
; COMPUTE_PGM_RSRC2:TRAP_HANDLER: 0
; COMPUTE_PGM_RSRC2:TGID_X_EN: 1
; COMPUTE_PGM_RSRC2:TGID_Y_EN: 0
; COMPUTE_PGM_RSRC2:TGID_Z_EN: 0
; COMPUTE_PGM_RSRC2:TIDIG_COMP_CNT: 0
; COMPUTE_PGM_RSRC3_GFX90A:ACCUM_OFFSET: 0
; COMPUTE_PGM_RSRC3_GFX90A:TG_SPLIT: 0
	.section	.text._ZN7rocprim17ROCPRIM_400000_NS6detail17trampoline_kernelINS0_14default_configENS1_20scan_config_selectorIiEEZZNS1_9scan_implILNS1_25lookback_scan_determinismE0ELb0ELb0ES3_N6thrust23THRUST_200600_302600_NS6detail15normal_iteratorINS9_10device_ptrIiEEEENSB_INSC_IfEEEEiNS9_4plusIvEEiEEDaPvRmT3_T4_T5_mT6_P12ihipStream_tbENKUlT_T0_E_clISt17integral_constantIbLb0EESW_EEDaSR_SS_EUlSR_E_NS1_11comp_targetILNS1_3genE10ELNS1_11target_archE1201ELNS1_3gpuE5ELNS1_3repE0EEENS1_30default_config_static_selectorELNS0_4arch9wavefront6targetE1EEEvT1_,"axG",@progbits,_ZN7rocprim17ROCPRIM_400000_NS6detail17trampoline_kernelINS0_14default_configENS1_20scan_config_selectorIiEEZZNS1_9scan_implILNS1_25lookback_scan_determinismE0ELb0ELb0ES3_N6thrust23THRUST_200600_302600_NS6detail15normal_iteratorINS9_10device_ptrIiEEEENSB_INSC_IfEEEEiNS9_4plusIvEEiEEDaPvRmT3_T4_T5_mT6_P12ihipStream_tbENKUlT_T0_E_clISt17integral_constantIbLb0EESW_EEDaSR_SS_EUlSR_E_NS1_11comp_targetILNS1_3genE10ELNS1_11target_archE1201ELNS1_3gpuE5ELNS1_3repE0EEENS1_30default_config_static_selectorELNS0_4arch9wavefront6targetE1EEEvT1_,comdat
	.protected	_ZN7rocprim17ROCPRIM_400000_NS6detail17trampoline_kernelINS0_14default_configENS1_20scan_config_selectorIiEEZZNS1_9scan_implILNS1_25lookback_scan_determinismE0ELb0ELb0ES3_N6thrust23THRUST_200600_302600_NS6detail15normal_iteratorINS9_10device_ptrIiEEEENSB_INSC_IfEEEEiNS9_4plusIvEEiEEDaPvRmT3_T4_T5_mT6_P12ihipStream_tbENKUlT_T0_E_clISt17integral_constantIbLb0EESW_EEDaSR_SS_EUlSR_E_NS1_11comp_targetILNS1_3genE10ELNS1_11target_archE1201ELNS1_3gpuE5ELNS1_3repE0EEENS1_30default_config_static_selectorELNS0_4arch9wavefront6targetE1EEEvT1_ ; -- Begin function _ZN7rocprim17ROCPRIM_400000_NS6detail17trampoline_kernelINS0_14default_configENS1_20scan_config_selectorIiEEZZNS1_9scan_implILNS1_25lookback_scan_determinismE0ELb0ELb0ES3_N6thrust23THRUST_200600_302600_NS6detail15normal_iteratorINS9_10device_ptrIiEEEENSB_INSC_IfEEEEiNS9_4plusIvEEiEEDaPvRmT3_T4_T5_mT6_P12ihipStream_tbENKUlT_T0_E_clISt17integral_constantIbLb0EESW_EEDaSR_SS_EUlSR_E_NS1_11comp_targetILNS1_3genE10ELNS1_11target_archE1201ELNS1_3gpuE5ELNS1_3repE0EEENS1_30default_config_static_selectorELNS0_4arch9wavefront6targetE1EEEvT1_
	.globl	_ZN7rocprim17ROCPRIM_400000_NS6detail17trampoline_kernelINS0_14default_configENS1_20scan_config_selectorIiEEZZNS1_9scan_implILNS1_25lookback_scan_determinismE0ELb0ELb0ES3_N6thrust23THRUST_200600_302600_NS6detail15normal_iteratorINS9_10device_ptrIiEEEENSB_INSC_IfEEEEiNS9_4plusIvEEiEEDaPvRmT3_T4_T5_mT6_P12ihipStream_tbENKUlT_T0_E_clISt17integral_constantIbLb0EESW_EEDaSR_SS_EUlSR_E_NS1_11comp_targetILNS1_3genE10ELNS1_11target_archE1201ELNS1_3gpuE5ELNS1_3repE0EEENS1_30default_config_static_selectorELNS0_4arch9wavefront6targetE1EEEvT1_
	.p2align	8
	.type	_ZN7rocprim17ROCPRIM_400000_NS6detail17trampoline_kernelINS0_14default_configENS1_20scan_config_selectorIiEEZZNS1_9scan_implILNS1_25lookback_scan_determinismE0ELb0ELb0ES3_N6thrust23THRUST_200600_302600_NS6detail15normal_iteratorINS9_10device_ptrIiEEEENSB_INSC_IfEEEEiNS9_4plusIvEEiEEDaPvRmT3_T4_T5_mT6_P12ihipStream_tbENKUlT_T0_E_clISt17integral_constantIbLb0EESW_EEDaSR_SS_EUlSR_E_NS1_11comp_targetILNS1_3genE10ELNS1_11target_archE1201ELNS1_3gpuE5ELNS1_3repE0EEENS1_30default_config_static_selectorELNS0_4arch9wavefront6targetE1EEEvT1_,@function
_ZN7rocprim17ROCPRIM_400000_NS6detail17trampoline_kernelINS0_14default_configENS1_20scan_config_selectorIiEEZZNS1_9scan_implILNS1_25lookback_scan_determinismE0ELb0ELb0ES3_N6thrust23THRUST_200600_302600_NS6detail15normal_iteratorINS9_10device_ptrIiEEEENSB_INSC_IfEEEEiNS9_4plusIvEEiEEDaPvRmT3_T4_T5_mT6_P12ihipStream_tbENKUlT_T0_E_clISt17integral_constantIbLb0EESW_EEDaSR_SS_EUlSR_E_NS1_11comp_targetILNS1_3genE10ELNS1_11target_archE1201ELNS1_3gpuE5ELNS1_3repE0EEENS1_30default_config_static_selectorELNS0_4arch9wavefront6targetE1EEEvT1_: ; @_ZN7rocprim17ROCPRIM_400000_NS6detail17trampoline_kernelINS0_14default_configENS1_20scan_config_selectorIiEEZZNS1_9scan_implILNS1_25lookback_scan_determinismE0ELb0ELb0ES3_N6thrust23THRUST_200600_302600_NS6detail15normal_iteratorINS9_10device_ptrIiEEEENSB_INSC_IfEEEEiNS9_4plusIvEEiEEDaPvRmT3_T4_T5_mT6_P12ihipStream_tbENKUlT_T0_E_clISt17integral_constantIbLb0EESW_EEDaSR_SS_EUlSR_E_NS1_11comp_targetILNS1_3genE10ELNS1_11target_archE1201ELNS1_3gpuE5ELNS1_3repE0EEENS1_30default_config_static_selectorELNS0_4arch9wavefront6targetE1EEEvT1_
; %bb.0:
	.section	.rodata,"a",@progbits
	.p2align	6, 0x0
	.amdhsa_kernel _ZN7rocprim17ROCPRIM_400000_NS6detail17trampoline_kernelINS0_14default_configENS1_20scan_config_selectorIiEEZZNS1_9scan_implILNS1_25lookback_scan_determinismE0ELb0ELb0ES3_N6thrust23THRUST_200600_302600_NS6detail15normal_iteratorINS9_10device_ptrIiEEEENSB_INSC_IfEEEEiNS9_4plusIvEEiEEDaPvRmT3_T4_T5_mT6_P12ihipStream_tbENKUlT_T0_E_clISt17integral_constantIbLb0EESW_EEDaSR_SS_EUlSR_E_NS1_11comp_targetILNS1_3genE10ELNS1_11target_archE1201ELNS1_3gpuE5ELNS1_3repE0EEENS1_30default_config_static_selectorELNS0_4arch9wavefront6targetE1EEEvT1_
		.amdhsa_group_segment_fixed_size 0
		.amdhsa_private_segment_fixed_size 0
		.amdhsa_kernarg_size 96
		.amdhsa_user_sgpr_count 6
		.amdhsa_user_sgpr_private_segment_buffer 1
		.amdhsa_user_sgpr_dispatch_ptr 0
		.amdhsa_user_sgpr_queue_ptr 0
		.amdhsa_user_sgpr_kernarg_segment_ptr 1
		.amdhsa_user_sgpr_dispatch_id 0
		.amdhsa_user_sgpr_flat_scratch_init 0
		.amdhsa_user_sgpr_kernarg_preload_length 0
		.amdhsa_user_sgpr_kernarg_preload_offset 0
		.amdhsa_user_sgpr_private_segment_size 0
		.amdhsa_uses_dynamic_stack 0
		.amdhsa_system_sgpr_private_segment_wavefront_offset 0
		.amdhsa_system_sgpr_workgroup_id_x 1
		.amdhsa_system_sgpr_workgroup_id_y 0
		.amdhsa_system_sgpr_workgroup_id_z 0
		.amdhsa_system_sgpr_workgroup_info 0
		.amdhsa_system_vgpr_workitem_id 0
		.amdhsa_next_free_vgpr 1
		.amdhsa_next_free_sgpr 0
		.amdhsa_accum_offset 4
		.amdhsa_reserve_vcc 0
		.amdhsa_reserve_flat_scratch 0
		.amdhsa_float_round_mode_32 0
		.amdhsa_float_round_mode_16_64 0
		.amdhsa_float_denorm_mode_32 3
		.amdhsa_float_denorm_mode_16_64 3
		.amdhsa_dx10_clamp 1
		.amdhsa_ieee_mode 1
		.amdhsa_fp16_overflow 0
		.amdhsa_tg_split 0
		.amdhsa_exception_fp_ieee_invalid_op 0
		.amdhsa_exception_fp_denorm_src 0
		.amdhsa_exception_fp_ieee_div_zero 0
		.amdhsa_exception_fp_ieee_overflow 0
		.amdhsa_exception_fp_ieee_underflow 0
		.amdhsa_exception_fp_ieee_inexact 0
		.amdhsa_exception_int_div_zero 0
	.end_amdhsa_kernel
	.section	.text._ZN7rocprim17ROCPRIM_400000_NS6detail17trampoline_kernelINS0_14default_configENS1_20scan_config_selectorIiEEZZNS1_9scan_implILNS1_25lookback_scan_determinismE0ELb0ELb0ES3_N6thrust23THRUST_200600_302600_NS6detail15normal_iteratorINS9_10device_ptrIiEEEENSB_INSC_IfEEEEiNS9_4plusIvEEiEEDaPvRmT3_T4_T5_mT6_P12ihipStream_tbENKUlT_T0_E_clISt17integral_constantIbLb0EESW_EEDaSR_SS_EUlSR_E_NS1_11comp_targetILNS1_3genE10ELNS1_11target_archE1201ELNS1_3gpuE5ELNS1_3repE0EEENS1_30default_config_static_selectorELNS0_4arch9wavefront6targetE1EEEvT1_,"axG",@progbits,_ZN7rocprim17ROCPRIM_400000_NS6detail17trampoline_kernelINS0_14default_configENS1_20scan_config_selectorIiEEZZNS1_9scan_implILNS1_25lookback_scan_determinismE0ELb0ELb0ES3_N6thrust23THRUST_200600_302600_NS6detail15normal_iteratorINS9_10device_ptrIiEEEENSB_INSC_IfEEEEiNS9_4plusIvEEiEEDaPvRmT3_T4_T5_mT6_P12ihipStream_tbENKUlT_T0_E_clISt17integral_constantIbLb0EESW_EEDaSR_SS_EUlSR_E_NS1_11comp_targetILNS1_3genE10ELNS1_11target_archE1201ELNS1_3gpuE5ELNS1_3repE0EEENS1_30default_config_static_selectorELNS0_4arch9wavefront6targetE1EEEvT1_,comdat
.Lfunc_end1646:
	.size	_ZN7rocprim17ROCPRIM_400000_NS6detail17trampoline_kernelINS0_14default_configENS1_20scan_config_selectorIiEEZZNS1_9scan_implILNS1_25lookback_scan_determinismE0ELb0ELb0ES3_N6thrust23THRUST_200600_302600_NS6detail15normal_iteratorINS9_10device_ptrIiEEEENSB_INSC_IfEEEEiNS9_4plusIvEEiEEDaPvRmT3_T4_T5_mT6_P12ihipStream_tbENKUlT_T0_E_clISt17integral_constantIbLb0EESW_EEDaSR_SS_EUlSR_E_NS1_11comp_targetILNS1_3genE10ELNS1_11target_archE1201ELNS1_3gpuE5ELNS1_3repE0EEENS1_30default_config_static_selectorELNS0_4arch9wavefront6targetE1EEEvT1_, .Lfunc_end1646-_ZN7rocprim17ROCPRIM_400000_NS6detail17trampoline_kernelINS0_14default_configENS1_20scan_config_selectorIiEEZZNS1_9scan_implILNS1_25lookback_scan_determinismE0ELb0ELb0ES3_N6thrust23THRUST_200600_302600_NS6detail15normal_iteratorINS9_10device_ptrIiEEEENSB_INSC_IfEEEEiNS9_4plusIvEEiEEDaPvRmT3_T4_T5_mT6_P12ihipStream_tbENKUlT_T0_E_clISt17integral_constantIbLb0EESW_EEDaSR_SS_EUlSR_E_NS1_11comp_targetILNS1_3genE10ELNS1_11target_archE1201ELNS1_3gpuE5ELNS1_3repE0EEENS1_30default_config_static_selectorELNS0_4arch9wavefront6targetE1EEEvT1_
                                        ; -- End function
	.section	.AMDGPU.csdata,"",@progbits
; Kernel info:
; codeLenInByte = 0
; NumSgprs: 4
; NumVgprs: 0
; NumAgprs: 0
; TotalNumVgprs: 0
; ScratchSize: 0
; MemoryBound: 0
; FloatMode: 240
; IeeeMode: 1
; LDSByteSize: 0 bytes/workgroup (compile time only)
; SGPRBlocks: 0
; VGPRBlocks: 0
; NumSGPRsForWavesPerEU: 4
; NumVGPRsForWavesPerEU: 1
; AccumOffset: 4
; Occupancy: 8
; WaveLimiterHint : 0
; COMPUTE_PGM_RSRC2:SCRATCH_EN: 0
; COMPUTE_PGM_RSRC2:USER_SGPR: 6
; COMPUTE_PGM_RSRC2:TRAP_HANDLER: 0
; COMPUTE_PGM_RSRC2:TGID_X_EN: 1
; COMPUTE_PGM_RSRC2:TGID_Y_EN: 0
; COMPUTE_PGM_RSRC2:TGID_Z_EN: 0
; COMPUTE_PGM_RSRC2:TIDIG_COMP_CNT: 0
; COMPUTE_PGM_RSRC3_GFX90A:ACCUM_OFFSET: 0
; COMPUTE_PGM_RSRC3_GFX90A:TG_SPLIT: 0
	.section	.text._ZN7rocprim17ROCPRIM_400000_NS6detail17trampoline_kernelINS0_14default_configENS1_20scan_config_selectorIiEEZZNS1_9scan_implILNS1_25lookback_scan_determinismE0ELb0ELb0ES3_N6thrust23THRUST_200600_302600_NS6detail15normal_iteratorINS9_10device_ptrIiEEEENSB_INSC_IfEEEEiNS9_4plusIvEEiEEDaPvRmT3_T4_T5_mT6_P12ihipStream_tbENKUlT_T0_E_clISt17integral_constantIbLb0EESW_EEDaSR_SS_EUlSR_E_NS1_11comp_targetILNS1_3genE10ELNS1_11target_archE1200ELNS1_3gpuE4ELNS1_3repE0EEENS1_30default_config_static_selectorELNS0_4arch9wavefront6targetE1EEEvT1_,"axG",@progbits,_ZN7rocprim17ROCPRIM_400000_NS6detail17trampoline_kernelINS0_14default_configENS1_20scan_config_selectorIiEEZZNS1_9scan_implILNS1_25lookback_scan_determinismE0ELb0ELb0ES3_N6thrust23THRUST_200600_302600_NS6detail15normal_iteratorINS9_10device_ptrIiEEEENSB_INSC_IfEEEEiNS9_4plusIvEEiEEDaPvRmT3_T4_T5_mT6_P12ihipStream_tbENKUlT_T0_E_clISt17integral_constantIbLb0EESW_EEDaSR_SS_EUlSR_E_NS1_11comp_targetILNS1_3genE10ELNS1_11target_archE1200ELNS1_3gpuE4ELNS1_3repE0EEENS1_30default_config_static_selectorELNS0_4arch9wavefront6targetE1EEEvT1_,comdat
	.protected	_ZN7rocprim17ROCPRIM_400000_NS6detail17trampoline_kernelINS0_14default_configENS1_20scan_config_selectorIiEEZZNS1_9scan_implILNS1_25lookback_scan_determinismE0ELb0ELb0ES3_N6thrust23THRUST_200600_302600_NS6detail15normal_iteratorINS9_10device_ptrIiEEEENSB_INSC_IfEEEEiNS9_4plusIvEEiEEDaPvRmT3_T4_T5_mT6_P12ihipStream_tbENKUlT_T0_E_clISt17integral_constantIbLb0EESW_EEDaSR_SS_EUlSR_E_NS1_11comp_targetILNS1_3genE10ELNS1_11target_archE1200ELNS1_3gpuE4ELNS1_3repE0EEENS1_30default_config_static_selectorELNS0_4arch9wavefront6targetE1EEEvT1_ ; -- Begin function _ZN7rocprim17ROCPRIM_400000_NS6detail17trampoline_kernelINS0_14default_configENS1_20scan_config_selectorIiEEZZNS1_9scan_implILNS1_25lookback_scan_determinismE0ELb0ELb0ES3_N6thrust23THRUST_200600_302600_NS6detail15normal_iteratorINS9_10device_ptrIiEEEENSB_INSC_IfEEEEiNS9_4plusIvEEiEEDaPvRmT3_T4_T5_mT6_P12ihipStream_tbENKUlT_T0_E_clISt17integral_constantIbLb0EESW_EEDaSR_SS_EUlSR_E_NS1_11comp_targetILNS1_3genE10ELNS1_11target_archE1200ELNS1_3gpuE4ELNS1_3repE0EEENS1_30default_config_static_selectorELNS0_4arch9wavefront6targetE1EEEvT1_
	.globl	_ZN7rocprim17ROCPRIM_400000_NS6detail17trampoline_kernelINS0_14default_configENS1_20scan_config_selectorIiEEZZNS1_9scan_implILNS1_25lookback_scan_determinismE0ELb0ELb0ES3_N6thrust23THRUST_200600_302600_NS6detail15normal_iteratorINS9_10device_ptrIiEEEENSB_INSC_IfEEEEiNS9_4plusIvEEiEEDaPvRmT3_T4_T5_mT6_P12ihipStream_tbENKUlT_T0_E_clISt17integral_constantIbLb0EESW_EEDaSR_SS_EUlSR_E_NS1_11comp_targetILNS1_3genE10ELNS1_11target_archE1200ELNS1_3gpuE4ELNS1_3repE0EEENS1_30default_config_static_selectorELNS0_4arch9wavefront6targetE1EEEvT1_
	.p2align	8
	.type	_ZN7rocprim17ROCPRIM_400000_NS6detail17trampoline_kernelINS0_14default_configENS1_20scan_config_selectorIiEEZZNS1_9scan_implILNS1_25lookback_scan_determinismE0ELb0ELb0ES3_N6thrust23THRUST_200600_302600_NS6detail15normal_iteratorINS9_10device_ptrIiEEEENSB_INSC_IfEEEEiNS9_4plusIvEEiEEDaPvRmT3_T4_T5_mT6_P12ihipStream_tbENKUlT_T0_E_clISt17integral_constantIbLb0EESW_EEDaSR_SS_EUlSR_E_NS1_11comp_targetILNS1_3genE10ELNS1_11target_archE1200ELNS1_3gpuE4ELNS1_3repE0EEENS1_30default_config_static_selectorELNS0_4arch9wavefront6targetE1EEEvT1_,@function
_ZN7rocprim17ROCPRIM_400000_NS6detail17trampoline_kernelINS0_14default_configENS1_20scan_config_selectorIiEEZZNS1_9scan_implILNS1_25lookback_scan_determinismE0ELb0ELb0ES3_N6thrust23THRUST_200600_302600_NS6detail15normal_iteratorINS9_10device_ptrIiEEEENSB_INSC_IfEEEEiNS9_4plusIvEEiEEDaPvRmT3_T4_T5_mT6_P12ihipStream_tbENKUlT_T0_E_clISt17integral_constantIbLb0EESW_EEDaSR_SS_EUlSR_E_NS1_11comp_targetILNS1_3genE10ELNS1_11target_archE1200ELNS1_3gpuE4ELNS1_3repE0EEENS1_30default_config_static_selectorELNS0_4arch9wavefront6targetE1EEEvT1_: ; @_ZN7rocprim17ROCPRIM_400000_NS6detail17trampoline_kernelINS0_14default_configENS1_20scan_config_selectorIiEEZZNS1_9scan_implILNS1_25lookback_scan_determinismE0ELb0ELb0ES3_N6thrust23THRUST_200600_302600_NS6detail15normal_iteratorINS9_10device_ptrIiEEEENSB_INSC_IfEEEEiNS9_4plusIvEEiEEDaPvRmT3_T4_T5_mT6_P12ihipStream_tbENKUlT_T0_E_clISt17integral_constantIbLb0EESW_EEDaSR_SS_EUlSR_E_NS1_11comp_targetILNS1_3genE10ELNS1_11target_archE1200ELNS1_3gpuE4ELNS1_3repE0EEENS1_30default_config_static_selectorELNS0_4arch9wavefront6targetE1EEEvT1_
; %bb.0:
	.section	.rodata,"a",@progbits
	.p2align	6, 0x0
	.amdhsa_kernel _ZN7rocprim17ROCPRIM_400000_NS6detail17trampoline_kernelINS0_14default_configENS1_20scan_config_selectorIiEEZZNS1_9scan_implILNS1_25lookback_scan_determinismE0ELb0ELb0ES3_N6thrust23THRUST_200600_302600_NS6detail15normal_iteratorINS9_10device_ptrIiEEEENSB_INSC_IfEEEEiNS9_4plusIvEEiEEDaPvRmT3_T4_T5_mT6_P12ihipStream_tbENKUlT_T0_E_clISt17integral_constantIbLb0EESW_EEDaSR_SS_EUlSR_E_NS1_11comp_targetILNS1_3genE10ELNS1_11target_archE1200ELNS1_3gpuE4ELNS1_3repE0EEENS1_30default_config_static_selectorELNS0_4arch9wavefront6targetE1EEEvT1_
		.amdhsa_group_segment_fixed_size 0
		.amdhsa_private_segment_fixed_size 0
		.amdhsa_kernarg_size 96
		.amdhsa_user_sgpr_count 6
		.amdhsa_user_sgpr_private_segment_buffer 1
		.amdhsa_user_sgpr_dispatch_ptr 0
		.amdhsa_user_sgpr_queue_ptr 0
		.amdhsa_user_sgpr_kernarg_segment_ptr 1
		.amdhsa_user_sgpr_dispatch_id 0
		.amdhsa_user_sgpr_flat_scratch_init 0
		.amdhsa_user_sgpr_kernarg_preload_length 0
		.amdhsa_user_sgpr_kernarg_preload_offset 0
		.amdhsa_user_sgpr_private_segment_size 0
		.amdhsa_uses_dynamic_stack 0
		.amdhsa_system_sgpr_private_segment_wavefront_offset 0
		.amdhsa_system_sgpr_workgroup_id_x 1
		.amdhsa_system_sgpr_workgroup_id_y 0
		.amdhsa_system_sgpr_workgroup_id_z 0
		.amdhsa_system_sgpr_workgroup_info 0
		.amdhsa_system_vgpr_workitem_id 0
		.amdhsa_next_free_vgpr 1
		.amdhsa_next_free_sgpr 0
		.amdhsa_accum_offset 4
		.amdhsa_reserve_vcc 0
		.amdhsa_reserve_flat_scratch 0
		.amdhsa_float_round_mode_32 0
		.amdhsa_float_round_mode_16_64 0
		.amdhsa_float_denorm_mode_32 3
		.amdhsa_float_denorm_mode_16_64 3
		.amdhsa_dx10_clamp 1
		.amdhsa_ieee_mode 1
		.amdhsa_fp16_overflow 0
		.amdhsa_tg_split 0
		.amdhsa_exception_fp_ieee_invalid_op 0
		.amdhsa_exception_fp_denorm_src 0
		.amdhsa_exception_fp_ieee_div_zero 0
		.amdhsa_exception_fp_ieee_overflow 0
		.amdhsa_exception_fp_ieee_underflow 0
		.amdhsa_exception_fp_ieee_inexact 0
		.amdhsa_exception_int_div_zero 0
	.end_amdhsa_kernel
	.section	.text._ZN7rocprim17ROCPRIM_400000_NS6detail17trampoline_kernelINS0_14default_configENS1_20scan_config_selectorIiEEZZNS1_9scan_implILNS1_25lookback_scan_determinismE0ELb0ELb0ES3_N6thrust23THRUST_200600_302600_NS6detail15normal_iteratorINS9_10device_ptrIiEEEENSB_INSC_IfEEEEiNS9_4plusIvEEiEEDaPvRmT3_T4_T5_mT6_P12ihipStream_tbENKUlT_T0_E_clISt17integral_constantIbLb0EESW_EEDaSR_SS_EUlSR_E_NS1_11comp_targetILNS1_3genE10ELNS1_11target_archE1200ELNS1_3gpuE4ELNS1_3repE0EEENS1_30default_config_static_selectorELNS0_4arch9wavefront6targetE1EEEvT1_,"axG",@progbits,_ZN7rocprim17ROCPRIM_400000_NS6detail17trampoline_kernelINS0_14default_configENS1_20scan_config_selectorIiEEZZNS1_9scan_implILNS1_25lookback_scan_determinismE0ELb0ELb0ES3_N6thrust23THRUST_200600_302600_NS6detail15normal_iteratorINS9_10device_ptrIiEEEENSB_INSC_IfEEEEiNS9_4plusIvEEiEEDaPvRmT3_T4_T5_mT6_P12ihipStream_tbENKUlT_T0_E_clISt17integral_constantIbLb0EESW_EEDaSR_SS_EUlSR_E_NS1_11comp_targetILNS1_3genE10ELNS1_11target_archE1200ELNS1_3gpuE4ELNS1_3repE0EEENS1_30default_config_static_selectorELNS0_4arch9wavefront6targetE1EEEvT1_,comdat
.Lfunc_end1647:
	.size	_ZN7rocprim17ROCPRIM_400000_NS6detail17trampoline_kernelINS0_14default_configENS1_20scan_config_selectorIiEEZZNS1_9scan_implILNS1_25lookback_scan_determinismE0ELb0ELb0ES3_N6thrust23THRUST_200600_302600_NS6detail15normal_iteratorINS9_10device_ptrIiEEEENSB_INSC_IfEEEEiNS9_4plusIvEEiEEDaPvRmT3_T4_T5_mT6_P12ihipStream_tbENKUlT_T0_E_clISt17integral_constantIbLb0EESW_EEDaSR_SS_EUlSR_E_NS1_11comp_targetILNS1_3genE10ELNS1_11target_archE1200ELNS1_3gpuE4ELNS1_3repE0EEENS1_30default_config_static_selectorELNS0_4arch9wavefront6targetE1EEEvT1_, .Lfunc_end1647-_ZN7rocprim17ROCPRIM_400000_NS6detail17trampoline_kernelINS0_14default_configENS1_20scan_config_selectorIiEEZZNS1_9scan_implILNS1_25lookback_scan_determinismE0ELb0ELb0ES3_N6thrust23THRUST_200600_302600_NS6detail15normal_iteratorINS9_10device_ptrIiEEEENSB_INSC_IfEEEEiNS9_4plusIvEEiEEDaPvRmT3_T4_T5_mT6_P12ihipStream_tbENKUlT_T0_E_clISt17integral_constantIbLb0EESW_EEDaSR_SS_EUlSR_E_NS1_11comp_targetILNS1_3genE10ELNS1_11target_archE1200ELNS1_3gpuE4ELNS1_3repE0EEENS1_30default_config_static_selectorELNS0_4arch9wavefront6targetE1EEEvT1_
                                        ; -- End function
	.section	.AMDGPU.csdata,"",@progbits
; Kernel info:
; codeLenInByte = 0
; NumSgprs: 4
; NumVgprs: 0
; NumAgprs: 0
; TotalNumVgprs: 0
; ScratchSize: 0
; MemoryBound: 0
; FloatMode: 240
; IeeeMode: 1
; LDSByteSize: 0 bytes/workgroup (compile time only)
; SGPRBlocks: 0
; VGPRBlocks: 0
; NumSGPRsForWavesPerEU: 4
; NumVGPRsForWavesPerEU: 1
; AccumOffset: 4
; Occupancy: 8
; WaveLimiterHint : 0
; COMPUTE_PGM_RSRC2:SCRATCH_EN: 0
; COMPUTE_PGM_RSRC2:USER_SGPR: 6
; COMPUTE_PGM_RSRC2:TRAP_HANDLER: 0
; COMPUTE_PGM_RSRC2:TGID_X_EN: 1
; COMPUTE_PGM_RSRC2:TGID_Y_EN: 0
; COMPUTE_PGM_RSRC2:TGID_Z_EN: 0
; COMPUTE_PGM_RSRC2:TIDIG_COMP_CNT: 0
; COMPUTE_PGM_RSRC3_GFX90A:ACCUM_OFFSET: 0
; COMPUTE_PGM_RSRC3_GFX90A:TG_SPLIT: 0
	.section	.text._ZN7rocprim17ROCPRIM_400000_NS6detail17trampoline_kernelINS0_14default_configENS1_20scan_config_selectorIiEEZZNS1_9scan_implILNS1_25lookback_scan_determinismE0ELb0ELb0ES3_N6thrust23THRUST_200600_302600_NS6detail15normal_iteratorINS9_10device_ptrIiEEEENSB_INSC_IfEEEEiNS9_4plusIvEEiEEDaPvRmT3_T4_T5_mT6_P12ihipStream_tbENKUlT_T0_E_clISt17integral_constantIbLb0EESW_EEDaSR_SS_EUlSR_E_NS1_11comp_targetILNS1_3genE9ELNS1_11target_archE1100ELNS1_3gpuE3ELNS1_3repE0EEENS1_30default_config_static_selectorELNS0_4arch9wavefront6targetE1EEEvT1_,"axG",@progbits,_ZN7rocprim17ROCPRIM_400000_NS6detail17trampoline_kernelINS0_14default_configENS1_20scan_config_selectorIiEEZZNS1_9scan_implILNS1_25lookback_scan_determinismE0ELb0ELb0ES3_N6thrust23THRUST_200600_302600_NS6detail15normal_iteratorINS9_10device_ptrIiEEEENSB_INSC_IfEEEEiNS9_4plusIvEEiEEDaPvRmT3_T4_T5_mT6_P12ihipStream_tbENKUlT_T0_E_clISt17integral_constantIbLb0EESW_EEDaSR_SS_EUlSR_E_NS1_11comp_targetILNS1_3genE9ELNS1_11target_archE1100ELNS1_3gpuE3ELNS1_3repE0EEENS1_30default_config_static_selectorELNS0_4arch9wavefront6targetE1EEEvT1_,comdat
	.protected	_ZN7rocprim17ROCPRIM_400000_NS6detail17trampoline_kernelINS0_14default_configENS1_20scan_config_selectorIiEEZZNS1_9scan_implILNS1_25lookback_scan_determinismE0ELb0ELb0ES3_N6thrust23THRUST_200600_302600_NS6detail15normal_iteratorINS9_10device_ptrIiEEEENSB_INSC_IfEEEEiNS9_4plusIvEEiEEDaPvRmT3_T4_T5_mT6_P12ihipStream_tbENKUlT_T0_E_clISt17integral_constantIbLb0EESW_EEDaSR_SS_EUlSR_E_NS1_11comp_targetILNS1_3genE9ELNS1_11target_archE1100ELNS1_3gpuE3ELNS1_3repE0EEENS1_30default_config_static_selectorELNS0_4arch9wavefront6targetE1EEEvT1_ ; -- Begin function _ZN7rocprim17ROCPRIM_400000_NS6detail17trampoline_kernelINS0_14default_configENS1_20scan_config_selectorIiEEZZNS1_9scan_implILNS1_25lookback_scan_determinismE0ELb0ELb0ES3_N6thrust23THRUST_200600_302600_NS6detail15normal_iteratorINS9_10device_ptrIiEEEENSB_INSC_IfEEEEiNS9_4plusIvEEiEEDaPvRmT3_T4_T5_mT6_P12ihipStream_tbENKUlT_T0_E_clISt17integral_constantIbLb0EESW_EEDaSR_SS_EUlSR_E_NS1_11comp_targetILNS1_3genE9ELNS1_11target_archE1100ELNS1_3gpuE3ELNS1_3repE0EEENS1_30default_config_static_selectorELNS0_4arch9wavefront6targetE1EEEvT1_
	.globl	_ZN7rocprim17ROCPRIM_400000_NS6detail17trampoline_kernelINS0_14default_configENS1_20scan_config_selectorIiEEZZNS1_9scan_implILNS1_25lookback_scan_determinismE0ELb0ELb0ES3_N6thrust23THRUST_200600_302600_NS6detail15normal_iteratorINS9_10device_ptrIiEEEENSB_INSC_IfEEEEiNS9_4plusIvEEiEEDaPvRmT3_T4_T5_mT6_P12ihipStream_tbENKUlT_T0_E_clISt17integral_constantIbLb0EESW_EEDaSR_SS_EUlSR_E_NS1_11comp_targetILNS1_3genE9ELNS1_11target_archE1100ELNS1_3gpuE3ELNS1_3repE0EEENS1_30default_config_static_selectorELNS0_4arch9wavefront6targetE1EEEvT1_
	.p2align	8
	.type	_ZN7rocprim17ROCPRIM_400000_NS6detail17trampoline_kernelINS0_14default_configENS1_20scan_config_selectorIiEEZZNS1_9scan_implILNS1_25lookback_scan_determinismE0ELb0ELb0ES3_N6thrust23THRUST_200600_302600_NS6detail15normal_iteratorINS9_10device_ptrIiEEEENSB_INSC_IfEEEEiNS9_4plusIvEEiEEDaPvRmT3_T4_T5_mT6_P12ihipStream_tbENKUlT_T0_E_clISt17integral_constantIbLb0EESW_EEDaSR_SS_EUlSR_E_NS1_11comp_targetILNS1_3genE9ELNS1_11target_archE1100ELNS1_3gpuE3ELNS1_3repE0EEENS1_30default_config_static_selectorELNS0_4arch9wavefront6targetE1EEEvT1_,@function
_ZN7rocprim17ROCPRIM_400000_NS6detail17trampoline_kernelINS0_14default_configENS1_20scan_config_selectorIiEEZZNS1_9scan_implILNS1_25lookback_scan_determinismE0ELb0ELb0ES3_N6thrust23THRUST_200600_302600_NS6detail15normal_iteratorINS9_10device_ptrIiEEEENSB_INSC_IfEEEEiNS9_4plusIvEEiEEDaPvRmT3_T4_T5_mT6_P12ihipStream_tbENKUlT_T0_E_clISt17integral_constantIbLb0EESW_EEDaSR_SS_EUlSR_E_NS1_11comp_targetILNS1_3genE9ELNS1_11target_archE1100ELNS1_3gpuE3ELNS1_3repE0EEENS1_30default_config_static_selectorELNS0_4arch9wavefront6targetE1EEEvT1_: ; @_ZN7rocprim17ROCPRIM_400000_NS6detail17trampoline_kernelINS0_14default_configENS1_20scan_config_selectorIiEEZZNS1_9scan_implILNS1_25lookback_scan_determinismE0ELb0ELb0ES3_N6thrust23THRUST_200600_302600_NS6detail15normal_iteratorINS9_10device_ptrIiEEEENSB_INSC_IfEEEEiNS9_4plusIvEEiEEDaPvRmT3_T4_T5_mT6_P12ihipStream_tbENKUlT_T0_E_clISt17integral_constantIbLb0EESW_EEDaSR_SS_EUlSR_E_NS1_11comp_targetILNS1_3genE9ELNS1_11target_archE1100ELNS1_3gpuE3ELNS1_3repE0EEENS1_30default_config_static_selectorELNS0_4arch9wavefront6targetE1EEEvT1_
; %bb.0:
	.section	.rodata,"a",@progbits
	.p2align	6, 0x0
	.amdhsa_kernel _ZN7rocprim17ROCPRIM_400000_NS6detail17trampoline_kernelINS0_14default_configENS1_20scan_config_selectorIiEEZZNS1_9scan_implILNS1_25lookback_scan_determinismE0ELb0ELb0ES3_N6thrust23THRUST_200600_302600_NS6detail15normal_iteratorINS9_10device_ptrIiEEEENSB_INSC_IfEEEEiNS9_4plusIvEEiEEDaPvRmT3_T4_T5_mT6_P12ihipStream_tbENKUlT_T0_E_clISt17integral_constantIbLb0EESW_EEDaSR_SS_EUlSR_E_NS1_11comp_targetILNS1_3genE9ELNS1_11target_archE1100ELNS1_3gpuE3ELNS1_3repE0EEENS1_30default_config_static_selectorELNS0_4arch9wavefront6targetE1EEEvT1_
		.amdhsa_group_segment_fixed_size 0
		.amdhsa_private_segment_fixed_size 0
		.amdhsa_kernarg_size 96
		.amdhsa_user_sgpr_count 6
		.amdhsa_user_sgpr_private_segment_buffer 1
		.amdhsa_user_sgpr_dispatch_ptr 0
		.amdhsa_user_sgpr_queue_ptr 0
		.amdhsa_user_sgpr_kernarg_segment_ptr 1
		.amdhsa_user_sgpr_dispatch_id 0
		.amdhsa_user_sgpr_flat_scratch_init 0
		.amdhsa_user_sgpr_kernarg_preload_length 0
		.amdhsa_user_sgpr_kernarg_preload_offset 0
		.amdhsa_user_sgpr_private_segment_size 0
		.amdhsa_uses_dynamic_stack 0
		.amdhsa_system_sgpr_private_segment_wavefront_offset 0
		.amdhsa_system_sgpr_workgroup_id_x 1
		.amdhsa_system_sgpr_workgroup_id_y 0
		.amdhsa_system_sgpr_workgroup_id_z 0
		.amdhsa_system_sgpr_workgroup_info 0
		.amdhsa_system_vgpr_workitem_id 0
		.amdhsa_next_free_vgpr 1
		.amdhsa_next_free_sgpr 0
		.amdhsa_accum_offset 4
		.amdhsa_reserve_vcc 0
		.amdhsa_reserve_flat_scratch 0
		.amdhsa_float_round_mode_32 0
		.amdhsa_float_round_mode_16_64 0
		.amdhsa_float_denorm_mode_32 3
		.amdhsa_float_denorm_mode_16_64 3
		.amdhsa_dx10_clamp 1
		.amdhsa_ieee_mode 1
		.amdhsa_fp16_overflow 0
		.amdhsa_tg_split 0
		.amdhsa_exception_fp_ieee_invalid_op 0
		.amdhsa_exception_fp_denorm_src 0
		.amdhsa_exception_fp_ieee_div_zero 0
		.amdhsa_exception_fp_ieee_overflow 0
		.amdhsa_exception_fp_ieee_underflow 0
		.amdhsa_exception_fp_ieee_inexact 0
		.amdhsa_exception_int_div_zero 0
	.end_amdhsa_kernel
	.section	.text._ZN7rocprim17ROCPRIM_400000_NS6detail17trampoline_kernelINS0_14default_configENS1_20scan_config_selectorIiEEZZNS1_9scan_implILNS1_25lookback_scan_determinismE0ELb0ELb0ES3_N6thrust23THRUST_200600_302600_NS6detail15normal_iteratorINS9_10device_ptrIiEEEENSB_INSC_IfEEEEiNS9_4plusIvEEiEEDaPvRmT3_T4_T5_mT6_P12ihipStream_tbENKUlT_T0_E_clISt17integral_constantIbLb0EESW_EEDaSR_SS_EUlSR_E_NS1_11comp_targetILNS1_3genE9ELNS1_11target_archE1100ELNS1_3gpuE3ELNS1_3repE0EEENS1_30default_config_static_selectorELNS0_4arch9wavefront6targetE1EEEvT1_,"axG",@progbits,_ZN7rocprim17ROCPRIM_400000_NS6detail17trampoline_kernelINS0_14default_configENS1_20scan_config_selectorIiEEZZNS1_9scan_implILNS1_25lookback_scan_determinismE0ELb0ELb0ES3_N6thrust23THRUST_200600_302600_NS6detail15normal_iteratorINS9_10device_ptrIiEEEENSB_INSC_IfEEEEiNS9_4plusIvEEiEEDaPvRmT3_T4_T5_mT6_P12ihipStream_tbENKUlT_T0_E_clISt17integral_constantIbLb0EESW_EEDaSR_SS_EUlSR_E_NS1_11comp_targetILNS1_3genE9ELNS1_11target_archE1100ELNS1_3gpuE3ELNS1_3repE0EEENS1_30default_config_static_selectorELNS0_4arch9wavefront6targetE1EEEvT1_,comdat
.Lfunc_end1648:
	.size	_ZN7rocprim17ROCPRIM_400000_NS6detail17trampoline_kernelINS0_14default_configENS1_20scan_config_selectorIiEEZZNS1_9scan_implILNS1_25lookback_scan_determinismE0ELb0ELb0ES3_N6thrust23THRUST_200600_302600_NS6detail15normal_iteratorINS9_10device_ptrIiEEEENSB_INSC_IfEEEEiNS9_4plusIvEEiEEDaPvRmT3_T4_T5_mT6_P12ihipStream_tbENKUlT_T0_E_clISt17integral_constantIbLb0EESW_EEDaSR_SS_EUlSR_E_NS1_11comp_targetILNS1_3genE9ELNS1_11target_archE1100ELNS1_3gpuE3ELNS1_3repE0EEENS1_30default_config_static_selectorELNS0_4arch9wavefront6targetE1EEEvT1_, .Lfunc_end1648-_ZN7rocprim17ROCPRIM_400000_NS6detail17trampoline_kernelINS0_14default_configENS1_20scan_config_selectorIiEEZZNS1_9scan_implILNS1_25lookback_scan_determinismE0ELb0ELb0ES3_N6thrust23THRUST_200600_302600_NS6detail15normal_iteratorINS9_10device_ptrIiEEEENSB_INSC_IfEEEEiNS9_4plusIvEEiEEDaPvRmT3_T4_T5_mT6_P12ihipStream_tbENKUlT_T0_E_clISt17integral_constantIbLb0EESW_EEDaSR_SS_EUlSR_E_NS1_11comp_targetILNS1_3genE9ELNS1_11target_archE1100ELNS1_3gpuE3ELNS1_3repE0EEENS1_30default_config_static_selectorELNS0_4arch9wavefront6targetE1EEEvT1_
                                        ; -- End function
	.section	.AMDGPU.csdata,"",@progbits
; Kernel info:
; codeLenInByte = 0
; NumSgprs: 4
; NumVgprs: 0
; NumAgprs: 0
; TotalNumVgprs: 0
; ScratchSize: 0
; MemoryBound: 0
; FloatMode: 240
; IeeeMode: 1
; LDSByteSize: 0 bytes/workgroup (compile time only)
; SGPRBlocks: 0
; VGPRBlocks: 0
; NumSGPRsForWavesPerEU: 4
; NumVGPRsForWavesPerEU: 1
; AccumOffset: 4
; Occupancy: 8
; WaveLimiterHint : 0
; COMPUTE_PGM_RSRC2:SCRATCH_EN: 0
; COMPUTE_PGM_RSRC2:USER_SGPR: 6
; COMPUTE_PGM_RSRC2:TRAP_HANDLER: 0
; COMPUTE_PGM_RSRC2:TGID_X_EN: 1
; COMPUTE_PGM_RSRC2:TGID_Y_EN: 0
; COMPUTE_PGM_RSRC2:TGID_Z_EN: 0
; COMPUTE_PGM_RSRC2:TIDIG_COMP_CNT: 0
; COMPUTE_PGM_RSRC3_GFX90A:ACCUM_OFFSET: 0
; COMPUTE_PGM_RSRC3_GFX90A:TG_SPLIT: 0
	.section	.text._ZN7rocprim17ROCPRIM_400000_NS6detail17trampoline_kernelINS0_14default_configENS1_20scan_config_selectorIiEEZZNS1_9scan_implILNS1_25lookback_scan_determinismE0ELb0ELb0ES3_N6thrust23THRUST_200600_302600_NS6detail15normal_iteratorINS9_10device_ptrIiEEEENSB_INSC_IfEEEEiNS9_4plusIvEEiEEDaPvRmT3_T4_T5_mT6_P12ihipStream_tbENKUlT_T0_E_clISt17integral_constantIbLb0EESW_EEDaSR_SS_EUlSR_E_NS1_11comp_targetILNS1_3genE8ELNS1_11target_archE1030ELNS1_3gpuE2ELNS1_3repE0EEENS1_30default_config_static_selectorELNS0_4arch9wavefront6targetE1EEEvT1_,"axG",@progbits,_ZN7rocprim17ROCPRIM_400000_NS6detail17trampoline_kernelINS0_14default_configENS1_20scan_config_selectorIiEEZZNS1_9scan_implILNS1_25lookback_scan_determinismE0ELb0ELb0ES3_N6thrust23THRUST_200600_302600_NS6detail15normal_iteratorINS9_10device_ptrIiEEEENSB_INSC_IfEEEEiNS9_4plusIvEEiEEDaPvRmT3_T4_T5_mT6_P12ihipStream_tbENKUlT_T0_E_clISt17integral_constantIbLb0EESW_EEDaSR_SS_EUlSR_E_NS1_11comp_targetILNS1_3genE8ELNS1_11target_archE1030ELNS1_3gpuE2ELNS1_3repE0EEENS1_30default_config_static_selectorELNS0_4arch9wavefront6targetE1EEEvT1_,comdat
	.protected	_ZN7rocprim17ROCPRIM_400000_NS6detail17trampoline_kernelINS0_14default_configENS1_20scan_config_selectorIiEEZZNS1_9scan_implILNS1_25lookback_scan_determinismE0ELb0ELb0ES3_N6thrust23THRUST_200600_302600_NS6detail15normal_iteratorINS9_10device_ptrIiEEEENSB_INSC_IfEEEEiNS9_4plusIvEEiEEDaPvRmT3_T4_T5_mT6_P12ihipStream_tbENKUlT_T0_E_clISt17integral_constantIbLb0EESW_EEDaSR_SS_EUlSR_E_NS1_11comp_targetILNS1_3genE8ELNS1_11target_archE1030ELNS1_3gpuE2ELNS1_3repE0EEENS1_30default_config_static_selectorELNS0_4arch9wavefront6targetE1EEEvT1_ ; -- Begin function _ZN7rocprim17ROCPRIM_400000_NS6detail17trampoline_kernelINS0_14default_configENS1_20scan_config_selectorIiEEZZNS1_9scan_implILNS1_25lookback_scan_determinismE0ELb0ELb0ES3_N6thrust23THRUST_200600_302600_NS6detail15normal_iteratorINS9_10device_ptrIiEEEENSB_INSC_IfEEEEiNS9_4plusIvEEiEEDaPvRmT3_T4_T5_mT6_P12ihipStream_tbENKUlT_T0_E_clISt17integral_constantIbLb0EESW_EEDaSR_SS_EUlSR_E_NS1_11comp_targetILNS1_3genE8ELNS1_11target_archE1030ELNS1_3gpuE2ELNS1_3repE0EEENS1_30default_config_static_selectorELNS0_4arch9wavefront6targetE1EEEvT1_
	.globl	_ZN7rocprim17ROCPRIM_400000_NS6detail17trampoline_kernelINS0_14default_configENS1_20scan_config_selectorIiEEZZNS1_9scan_implILNS1_25lookback_scan_determinismE0ELb0ELb0ES3_N6thrust23THRUST_200600_302600_NS6detail15normal_iteratorINS9_10device_ptrIiEEEENSB_INSC_IfEEEEiNS9_4plusIvEEiEEDaPvRmT3_T4_T5_mT6_P12ihipStream_tbENKUlT_T0_E_clISt17integral_constantIbLb0EESW_EEDaSR_SS_EUlSR_E_NS1_11comp_targetILNS1_3genE8ELNS1_11target_archE1030ELNS1_3gpuE2ELNS1_3repE0EEENS1_30default_config_static_selectorELNS0_4arch9wavefront6targetE1EEEvT1_
	.p2align	8
	.type	_ZN7rocprim17ROCPRIM_400000_NS6detail17trampoline_kernelINS0_14default_configENS1_20scan_config_selectorIiEEZZNS1_9scan_implILNS1_25lookback_scan_determinismE0ELb0ELb0ES3_N6thrust23THRUST_200600_302600_NS6detail15normal_iteratorINS9_10device_ptrIiEEEENSB_INSC_IfEEEEiNS9_4plusIvEEiEEDaPvRmT3_T4_T5_mT6_P12ihipStream_tbENKUlT_T0_E_clISt17integral_constantIbLb0EESW_EEDaSR_SS_EUlSR_E_NS1_11comp_targetILNS1_3genE8ELNS1_11target_archE1030ELNS1_3gpuE2ELNS1_3repE0EEENS1_30default_config_static_selectorELNS0_4arch9wavefront6targetE1EEEvT1_,@function
_ZN7rocprim17ROCPRIM_400000_NS6detail17trampoline_kernelINS0_14default_configENS1_20scan_config_selectorIiEEZZNS1_9scan_implILNS1_25lookback_scan_determinismE0ELb0ELb0ES3_N6thrust23THRUST_200600_302600_NS6detail15normal_iteratorINS9_10device_ptrIiEEEENSB_INSC_IfEEEEiNS9_4plusIvEEiEEDaPvRmT3_T4_T5_mT6_P12ihipStream_tbENKUlT_T0_E_clISt17integral_constantIbLb0EESW_EEDaSR_SS_EUlSR_E_NS1_11comp_targetILNS1_3genE8ELNS1_11target_archE1030ELNS1_3gpuE2ELNS1_3repE0EEENS1_30default_config_static_selectorELNS0_4arch9wavefront6targetE1EEEvT1_: ; @_ZN7rocprim17ROCPRIM_400000_NS6detail17trampoline_kernelINS0_14default_configENS1_20scan_config_selectorIiEEZZNS1_9scan_implILNS1_25lookback_scan_determinismE0ELb0ELb0ES3_N6thrust23THRUST_200600_302600_NS6detail15normal_iteratorINS9_10device_ptrIiEEEENSB_INSC_IfEEEEiNS9_4plusIvEEiEEDaPvRmT3_T4_T5_mT6_P12ihipStream_tbENKUlT_T0_E_clISt17integral_constantIbLb0EESW_EEDaSR_SS_EUlSR_E_NS1_11comp_targetILNS1_3genE8ELNS1_11target_archE1030ELNS1_3gpuE2ELNS1_3repE0EEENS1_30default_config_static_selectorELNS0_4arch9wavefront6targetE1EEEvT1_
; %bb.0:
	.section	.rodata,"a",@progbits
	.p2align	6, 0x0
	.amdhsa_kernel _ZN7rocprim17ROCPRIM_400000_NS6detail17trampoline_kernelINS0_14default_configENS1_20scan_config_selectorIiEEZZNS1_9scan_implILNS1_25lookback_scan_determinismE0ELb0ELb0ES3_N6thrust23THRUST_200600_302600_NS6detail15normal_iteratorINS9_10device_ptrIiEEEENSB_INSC_IfEEEEiNS9_4plusIvEEiEEDaPvRmT3_T4_T5_mT6_P12ihipStream_tbENKUlT_T0_E_clISt17integral_constantIbLb0EESW_EEDaSR_SS_EUlSR_E_NS1_11comp_targetILNS1_3genE8ELNS1_11target_archE1030ELNS1_3gpuE2ELNS1_3repE0EEENS1_30default_config_static_selectorELNS0_4arch9wavefront6targetE1EEEvT1_
		.amdhsa_group_segment_fixed_size 0
		.amdhsa_private_segment_fixed_size 0
		.amdhsa_kernarg_size 96
		.amdhsa_user_sgpr_count 6
		.amdhsa_user_sgpr_private_segment_buffer 1
		.amdhsa_user_sgpr_dispatch_ptr 0
		.amdhsa_user_sgpr_queue_ptr 0
		.amdhsa_user_sgpr_kernarg_segment_ptr 1
		.amdhsa_user_sgpr_dispatch_id 0
		.amdhsa_user_sgpr_flat_scratch_init 0
		.amdhsa_user_sgpr_kernarg_preload_length 0
		.amdhsa_user_sgpr_kernarg_preload_offset 0
		.amdhsa_user_sgpr_private_segment_size 0
		.amdhsa_uses_dynamic_stack 0
		.amdhsa_system_sgpr_private_segment_wavefront_offset 0
		.amdhsa_system_sgpr_workgroup_id_x 1
		.amdhsa_system_sgpr_workgroup_id_y 0
		.amdhsa_system_sgpr_workgroup_id_z 0
		.amdhsa_system_sgpr_workgroup_info 0
		.amdhsa_system_vgpr_workitem_id 0
		.amdhsa_next_free_vgpr 1
		.amdhsa_next_free_sgpr 0
		.amdhsa_accum_offset 4
		.amdhsa_reserve_vcc 0
		.amdhsa_reserve_flat_scratch 0
		.amdhsa_float_round_mode_32 0
		.amdhsa_float_round_mode_16_64 0
		.amdhsa_float_denorm_mode_32 3
		.amdhsa_float_denorm_mode_16_64 3
		.amdhsa_dx10_clamp 1
		.amdhsa_ieee_mode 1
		.amdhsa_fp16_overflow 0
		.amdhsa_tg_split 0
		.amdhsa_exception_fp_ieee_invalid_op 0
		.amdhsa_exception_fp_denorm_src 0
		.amdhsa_exception_fp_ieee_div_zero 0
		.amdhsa_exception_fp_ieee_overflow 0
		.amdhsa_exception_fp_ieee_underflow 0
		.amdhsa_exception_fp_ieee_inexact 0
		.amdhsa_exception_int_div_zero 0
	.end_amdhsa_kernel
	.section	.text._ZN7rocprim17ROCPRIM_400000_NS6detail17trampoline_kernelINS0_14default_configENS1_20scan_config_selectorIiEEZZNS1_9scan_implILNS1_25lookback_scan_determinismE0ELb0ELb0ES3_N6thrust23THRUST_200600_302600_NS6detail15normal_iteratorINS9_10device_ptrIiEEEENSB_INSC_IfEEEEiNS9_4plusIvEEiEEDaPvRmT3_T4_T5_mT6_P12ihipStream_tbENKUlT_T0_E_clISt17integral_constantIbLb0EESW_EEDaSR_SS_EUlSR_E_NS1_11comp_targetILNS1_3genE8ELNS1_11target_archE1030ELNS1_3gpuE2ELNS1_3repE0EEENS1_30default_config_static_selectorELNS0_4arch9wavefront6targetE1EEEvT1_,"axG",@progbits,_ZN7rocprim17ROCPRIM_400000_NS6detail17trampoline_kernelINS0_14default_configENS1_20scan_config_selectorIiEEZZNS1_9scan_implILNS1_25lookback_scan_determinismE0ELb0ELb0ES3_N6thrust23THRUST_200600_302600_NS6detail15normal_iteratorINS9_10device_ptrIiEEEENSB_INSC_IfEEEEiNS9_4plusIvEEiEEDaPvRmT3_T4_T5_mT6_P12ihipStream_tbENKUlT_T0_E_clISt17integral_constantIbLb0EESW_EEDaSR_SS_EUlSR_E_NS1_11comp_targetILNS1_3genE8ELNS1_11target_archE1030ELNS1_3gpuE2ELNS1_3repE0EEENS1_30default_config_static_selectorELNS0_4arch9wavefront6targetE1EEEvT1_,comdat
.Lfunc_end1649:
	.size	_ZN7rocprim17ROCPRIM_400000_NS6detail17trampoline_kernelINS0_14default_configENS1_20scan_config_selectorIiEEZZNS1_9scan_implILNS1_25lookback_scan_determinismE0ELb0ELb0ES3_N6thrust23THRUST_200600_302600_NS6detail15normal_iteratorINS9_10device_ptrIiEEEENSB_INSC_IfEEEEiNS9_4plusIvEEiEEDaPvRmT3_T4_T5_mT6_P12ihipStream_tbENKUlT_T0_E_clISt17integral_constantIbLb0EESW_EEDaSR_SS_EUlSR_E_NS1_11comp_targetILNS1_3genE8ELNS1_11target_archE1030ELNS1_3gpuE2ELNS1_3repE0EEENS1_30default_config_static_selectorELNS0_4arch9wavefront6targetE1EEEvT1_, .Lfunc_end1649-_ZN7rocprim17ROCPRIM_400000_NS6detail17trampoline_kernelINS0_14default_configENS1_20scan_config_selectorIiEEZZNS1_9scan_implILNS1_25lookback_scan_determinismE0ELb0ELb0ES3_N6thrust23THRUST_200600_302600_NS6detail15normal_iteratorINS9_10device_ptrIiEEEENSB_INSC_IfEEEEiNS9_4plusIvEEiEEDaPvRmT3_T4_T5_mT6_P12ihipStream_tbENKUlT_T0_E_clISt17integral_constantIbLb0EESW_EEDaSR_SS_EUlSR_E_NS1_11comp_targetILNS1_3genE8ELNS1_11target_archE1030ELNS1_3gpuE2ELNS1_3repE0EEENS1_30default_config_static_selectorELNS0_4arch9wavefront6targetE1EEEvT1_
                                        ; -- End function
	.section	.AMDGPU.csdata,"",@progbits
; Kernel info:
; codeLenInByte = 0
; NumSgprs: 4
; NumVgprs: 0
; NumAgprs: 0
; TotalNumVgprs: 0
; ScratchSize: 0
; MemoryBound: 0
; FloatMode: 240
; IeeeMode: 1
; LDSByteSize: 0 bytes/workgroup (compile time only)
; SGPRBlocks: 0
; VGPRBlocks: 0
; NumSGPRsForWavesPerEU: 4
; NumVGPRsForWavesPerEU: 1
; AccumOffset: 4
; Occupancy: 8
; WaveLimiterHint : 0
; COMPUTE_PGM_RSRC2:SCRATCH_EN: 0
; COMPUTE_PGM_RSRC2:USER_SGPR: 6
; COMPUTE_PGM_RSRC2:TRAP_HANDLER: 0
; COMPUTE_PGM_RSRC2:TGID_X_EN: 1
; COMPUTE_PGM_RSRC2:TGID_Y_EN: 0
; COMPUTE_PGM_RSRC2:TGID_Z_EN: 0
; COMPUTE_PGM_RSRC2:TIDIG_COMP_CNT: 0
; COMPUTE_PGM_RSRC3_GFX90A:ACCUM_OFFSET: 0
; COMPUTE_PGM_RSRC3_GFX90A:TG_SPLIT: 0
	.section	.text._ZN7rocprim17ROCPRIM_400000_NS6detail17trampoline_kernelINS0_14default_configENS1_20scan_config_selectorIiEEZZNS1_9scan_implILNS1_25lookback_scan_determinismE0ELb0ELb0ES3_N6thrust23THRUST_200600_302600_NS6detail15normal_iteratorINS9_10device_ptrIiEEEENSB_INSC_IfEEEEiNS9_4plusIvEEiEEDaPvRmT3_T4_T5_mT6_P12ihipStream_tbENKUlT_T0_E_clISt17integral_constantIbLb0EESW_EEDaSR_SS_EUlSR_E0_NS1_11comp_targetILNS1_3genE0ELNS1_11target_archE4294967295ELNS1_3gpuE0ELNS1_3repE0EEENS1_30default_config_static_selectorELNS0_4arch9wavefront6targetE1EEEvT1_,"axG",@progbits,_ZN7rocprim17ROCPRIM_400000_NS6detail17trampoline_kernelINS0_14default_configENS1_20scan_config_selectorIiEEZZNS1_9scan_implILNS1_25lookback_scan_determinismE0ELb0ELb0ES3_N6thrust23THRUST_200600_302600_NS6detail15normal_iteratorINS9_10device_ptrIiEEEENSB_INSC_IfEEEEiNS9_4plusIvEEiEEDaPvRmT3_T4_T5_mT6_P12ihipStream_tbENKUlT_T0_E_clISt17integral_constantIbLb0EESW_EEDaSR_SS_EUlSR_E0_NS1_11comp_targetILNS1_3genE0ELNS1_11target_archE4294967295ELNS1_3gpuE0ELNS1_3repE0EEENS1_30default_config_static_selectorELNS0_4arch9wavefront6targetE1EEEvT1_,comdat
	.protected	_ZN7rocprim17ROCPRIM_400000_NS6detail17trampoline_kernelINS0_14default_configENS1_20scan_config_selectorIiEEZZNS1_9scan_implILNS1_25lookback_scan_determinismE0ELb0ELb0ES3_N6thrust23THRUST_200600_302600_NS6detail15normal_iteratorINS9_10device_ptrIiEEEENSB_INSC_IfEEEEiNS9_4plusIvEEiEEDaPvRmT3_T4_T5_mT6_P12ihipStream_tbENKUlT_T0_E_clISt17integral_constantIbLb0EESW_EEDaSR_SS_EUlSR_E0_NS1_11comp_targetILNS1_3genE0ELNS1_11target_archE4294967295ELNS1_3gpuE0ELNS1_3repE0EEENS1_30default_config_static_selectorELNS0_4arch9wavefront6targetE1EEEvT1_ ; -- Begin function _ZN7rocprim17ROCPRIM_400000_NS6detail17trampoline_kernelINS0_14default_configENS1_20scan_config_selectorIiEEZZNS1_9scan_implILNS1_25lookback_scan_determinismE0ELb0ELb0ES3_N6thrust23THRUST_200600_302600_NS6detail15normal_iteratorINS9_10device_ptrIiEEEENSB_INSC_IfEEEEiNS9_4plusIvEEiEEDaPvRmT3_T4_T5_mT6_P12ihipStream_tbENKUlT_T0_E_clISt17integral_constantIbLb0EESW_EEDaSR_SS_EUlSR_E0_NS1_11comp_targetILNS1_3genE0ELNS1_11target_archE4294967295ELNS1_3gpuE0ELNS1_3repE0EEENS1_30default_config_static_selectorELNS0_4arch9wavefront6targetE1EEEvT1_
	.globl	_ZN7rocprim17ROCPRIM_400000_NS6detail17trampoline_kernelINS0_14default_configENS1_20scan_config_selectorIiEEZZNS1_9scan_implILNS1_25lookback_scan_determinismE0ELb0ELb0ES3_N6thrust23THRUST_200600_302600_NS6detail15normal_iteratorINS9_10device_ptrIiEEEENSB_INSC_IfEEEEiNS9_4plusIvEEiEEDaPvRmT3_T4_T5_mT6_P12ihipStream_tbENKUlT_T0_E_clISt17integral_constantIbLb0EESW_EEDaSR_SS_EUlSR_E0_NS1_11comp_targetILNS1_3genE0ELNS1_11target_archE4294967295ELNS1_3gpuE0ELNS1_3repE0EEENS1_30default_config_static_selectorELNS0_4arch9wavefront6targetE1EEEvT1_
	.p2align	8
	.type	_ZN7rocprim17ROCPRIM_400000_NS6detail17trampoline_kernelINS0_14default_configENS1_20scan_config_selectorIiEEZZNS1_9scan_implILNS1_25lookback_scan_determinismE0ELb0ELb0ES3_N6thrust23THRUST_200600_302600_NS6detail15normal_iteratorINS9_10device_ptrIiEEEENSB_INSC_IfEEEEiNS9_4plusIvEEiEEDaPvRmT3_T4_T5_mT6_P12ihipStream_tbENKUlT_T0_E_clISt17integral_constantIbLb0EESW_EEDaSR_SS_EUlSR_E0_NS1_11comp_targetILNS1_3genE0ELNS1_11target_archE4294967295ELNS1_3gpuE0ELNS1_3repE0EEENS1_30default_config_static_selectorELNS0_4arch9wavefront6targetE1EEEvT1_,@function
_ZN7rocprim17ROCPRIM_400000_NS6detail17trampoline_kernelINS0_14default_configENS1_20scan_config_selectorIiEEZZNS1_9scan_implILNS1_25lookback_scan_determinismE0ELb0ELb0ES3_N6thrust23THRUST_200600_302600_NS6detail15normal_iteratorINS9_10device_ptrIiEEEENSB_INSC_IfEEEEiNS9_4plusIvEEiEEDaPvRmT3_T4_T5_mT6_P12ihipStream_tbENKUlT_T0_E_clISt17integral_constantIbLb0EESW_EEDaSR_SS_EUlSR_E0_NS1_11comp_targetILNS1_3genE0ELNS1_11target_archE4294967295ELNS1_3gpuE0ELNS1_3repE0EEENS1_30default_config_static_selectorELNS0_4arch9wavefront6targetE1EEEvT1_: ; @_ZN7rocprim17ROCPRIM_400000_NS6detail17trampoline_kernelINS0_14default_configENS1_20scan_config_selectorIiEEZZNS1_9scan_implILNS1_25lookback_scan_determinismE0ELb0ELb0ES3_N6thrust23THRUST_200600_302600_NS6detail15normal_iteratorINS9_10device_ptrIiEEEENSB_INSC_IfEEEEiNS9_4plusIvEEiEEDaPvRmT3_T4_T5_mT6_P12ihipStream_tbENKUlT_T0_E_clISt17integral_constantIbLb0EESW_EEDaSR_SS_EUlSR_E0_NS1_11comp_targetILNS1_3genE0ELNS1_11target_archE4294967295ELNS1_3gpuE0ELNS1_3repE0EEENS1_30default_config_static_selectorELNS0_4arch9wavefront6targetE1EEEvT1_
; %bb.0:
	.section	.rodata,"a",@progbits
	.p2align	6, 0x0
	.amdhsa_kernel _ZN7rocprim17ROCPRIM_400000_NS6detail17trampoline_kernelINS0_14default_configENS1_20scan_config_selectorIiEEZZNS1_9scan_implILNS1_25lookback_scan_determinismE0ELb0ELb0ES3_N6thrust23THRUST_200600_302600_NS6detail15normal_iteratorINS9_10device_ptrIiEEEENSB_INSC_IfEEEEiNS9_4plusIvEEiEEDaPvRmT3_T4_T5_mT6_P12ihipStream_tbENKUlT_T0_E_clISt17integral_constantIbLb0EESW_EEDaSR_SS_EUlSR_E0_NS1_11comp_targetILNS1_3genE0ELNS1_11target_archE4294967295ELNS1_3gpuE0ELNS1_3repE0EEENS1_30default_config_static_selectorELNS0_4arch9wavefront6targetE1EEEvT1_
		.amdhsa_group_segment_fixed_size 0
		.amdhsa_private_segment_fixed_size 0
		.amdhsa_kernarg_size 32
		.amdhsa_user_sgpr_count 6
		.amdhsa_user_sgpr_private_segment_buffer 1
		.amdhsa_user_sgpr_dispatch_ptr 0
		.amdhsa_user_sgpr_queue_ptr 0
		.amdhsa_user_sgpr_kernarg_segment_ptr 1
		.amdhsa_user_sgpr_dispatch_id 0
		.amdhsa_user_sgpr_flat_scratch_init 0
		.amdhsa_user_sgpr_kernarg_preload_length 0
		.amdhsa_user_sgpr_kernarg_preload_offset 0
		.amdhsa_user_sgpr_private_segment_size 0
		.amdhsa_uses_dynamic_stack 0
		.amdhsa_system_sgpr_private_segment_wavefront_offset 0
		.amdhsa_system_sgpr_workgroup_id_x 1
		.amdhsa_system_sgpr_workgroup_id_y 0
		.amdhsa_system_sgpr_workgroup_id_z 0
		.amdhsa_system_sgpr_workgroup_info 0
		.amdhsa_system_vgpr_workitem_id 0
		.amdhsa_next_free_vgpr 1
		.amdhsa_next_free_sgpr 0
		.amdhsa_accum_offset 4
		.amdhsa_reserve_vcc 0
		.amdhsa_reserve_flat_scratch 0
		.amdhsa_float_round_mode_32 0
		.amdhsa_float_round_mode_16_64 0
		.amdhsa_float_denorm_mode_32 3
		.amdhsa_float_denorm_mode_16_64 3
		.amdhsa_dx10_clamp 1
		.amdhsa_ieee_mode 1
		.amdhsa_fp16_overflow 0
		.amdhsa_tg_split 0
		.amdhsa_exception_fp_ieee_invalid_op 0
		.amdhsa_exception_fp_denorm_src 0
		.amdhsa_exception_fp_ieee_div_zero 0
		.amdhsa_exception_fp_ieee_overflow 0
		.amdhsa_exception_fp_ieee_underflow 0
		.amdhsa_exception_fp_ieee_inexact 0
		.amdhsa_exception_int_div_zero 0
	.end_amdhsa_kernel
	.section	.text._ZN7rocprim17ROCPRIM_400000_NS6detail17trampoline_kernelINS0_14default_configENS1_20scan_config_selectorIiEEZZNS1_9scan_implILNS1_25lookback_scan_determinismE0ELb0ELb0ES3_N6thrust23THRUST_200600_302600_NS6detail15normal_iteratorINS9_10device_ptrIiEEEENSB_INSC_IfEEEEiNS9_4plusIvEEiEEDaPvRmT3_T4_T5_mT6_P12ihipStream_tbENKUlT_T0_E_clISt17integral_constantIbLb0EESW_EEDaSR_SS_EUlSR_E0_NS1_11comp_targetILNS1_3genE0ELNS1_11target_archE4294967295ELNS1_3gpuE0ELNS1_3repE0EEENS1_30default_config_static_selectorELNS0_4arch9wavefront6targetE1EEEvT1_,"axG",@progbits,_ZN7rocprim17ROCPRIM_400000_NS6detail17trampoline_kernelINS0_14default_configENS1_20scan_config_selectorIiEEZZNS1_9scan_implILNS1_25lookback_scan_determinismE0ELb0ELb0ES3_N6thrust23THRUST_200600_302600_NS6detail15normal_iteratorINS9_10device_ptrIiEEEENSB_INSC_IfEEEEiNS9_4plusIvEEiEEDaPvRmT3_T4_T5_mT6_P12ihipStream_tbENKUlT_T0_E_clISt17integral_constantIbLb0EESW_EEDaSR_SS_EUlSR_E0_NS1_11comp_targetILNS1_3genE0ELNS1_11target_archE4294967295ELNS1_3gpuE0ELNS1_3repE0EEENS1_30default_config_static_selectorELNS0_4arch9wavefront6targetE1EEEvT1_,comdat
.Lfunc_end1650:
	.size	_ZN7rocprim17ROCPRIM_400000_NS6detail17trampoline_kernelINS0_14default_configENS1_20scan_config_selectorIiEEZZNS1_9scan_implILNS1_25lookback_scan_determinismE0ELb0ELb0ES3_N6thrust23THRUST_200600_302600_NS6detail15normal_iteratorINS9_10device_ptrIiEEEENSB_INSC_IfEEEEiNS9_4plusIvEEiEEDaPvRmT3_T4_T5_mT6_P12ihipStream_tbENKUlT_T0_E_clISt17integral_constantIbLb0EESW_EEDaSR_SS_EUlSR_E0_NS1_11comp_targetILNS1_3genE0ELNS1_11target_archE4294967295ELNS1_3gpuE0ELNS1_3repE0EEENS1_30default_config_static_selectorELNS0_4arch9wavefront6targetE1EEEvT1_, .Lfunc_end1650-_ZN7rocprim17ROCPRIM_400000_NS6detail17trampoline_kernelINS0_14default_configENS1_20scan_config_selectorIiEEZZNS1_9scan_implILNS1_25lookback_scan_determinismE0ELb0ELb0ES3_N6thrust23THRUST_200600_302600_NS6detail15normal_iteratorINS9_10device_ptrIiEEEENSB_INSC_IfEEEEiNS9_4plusIvEEiEEDaPvRmT3_T4_T5_mT6_P12ihipStream_tbENKUlT_T0_E_clISt17integral_constantIbLb0EESW_EEDaSR_SS_EUlSR_E0_NS1_11comp_targetILNS1_3genE0ELNS1_11target_archE4294967295ELNS1_3gpuE0ELNS1_3repE0EEENS1_30default_config_static_selectorELNS0_4arch9wavefront6targetE1EEEvT1_
                                        ; -- End function
	.section	.AMDGPU.csdata,"",@progbits
; Kernel info:
; codeLenInByte = 0
; NumSgprs: 4
; NumVgprs: 0
; NumAgprs: 0
; TotalNumVgprs: 0
; ScratchSize: 0
; MemoryBound: 0
; FloatMode: 240
; IeeeMode: 1
; LDSByteSize: 0 bytes/workgroup (compile time only)
; SGPRBlocks: 0
; VGPRBlocks: 0
; NumSGPRsForWavesPerEU: 4
; NumVGPRsForWavesPerEU: 1
; AccumOffset: 4
; Occupancy: 8
; WaveLimiterHint : 0
; COMPUTE_PGM_RSRC2:SCRATCH_EN: 0
; COMPUTE_PGM_RSRC2:USER_SGPR: 6
; COMPUTE_PGM_RSRC2:TRAP_HANDLER: 0
; COMPUTE_PGM_RSRC2:TGID_X_EN: 1
; COMPUTE_PGM_RSRC2:TGID_Y_EN: 0
; COMPUTE_PGM_RSRC2:TGID_Z_EN: 0
; COMPUTE_PGM_RSRC2:TIDIG_COMP_CNT: 0
; COMPUTE_PGM_RSRC3_GFX90A:ACCUM_OFFSET: 0
; COMPUTE_PGM_RSRC3_GFX90A:TG_SPLIT: 0
	.section	.text._ZN7rocprim17ROCPRIM_400000_NS6detail17trampoline_kernelINS0_14default_configENS1_20scan_config_selectorIiEEZZNS1_9scan_implILNS1_25lookback_scan_determinismE0ELb0ELb0ES3_N6thrust23THRUST_200600_302600_NS6detail15normal_iteratorINS9_10device_ptrIiEEEENSB_INSC_IfEEEEiNS9_4plusIvEEiEEDaPvRmT3_T4_T5_mT6_P12ihipStream_tbENKUlT_T0_E_clISt17integral_constantIbLb0EESW_EEDaSR_SS_EUlSR_E0_NS1_11comp_targetILNS1_3genE5ELNS1_11target_archE942ELNS1_3gpuE9ELNS1_3repE0EEENS1_30default_config_static_selectorELNS0_4arch9wavefront6targetE1EEEvT1_,"axG",@progbits,_ZN7rocprim17ROCPRIM_400000_NS6detail17trampoline_kernelINS0_14default_configENS1_20scan_config_selectorIiEEZZNS1_9scan_implILNS1_25lookback_scan_determinismE0ELb0ELb0ES3_N6thrust23THRUST_200600_302600_NS6detail15normal_iteratorINS9_10device_ptrIiEEEENSB_INSC_IfEEEEiNS9_4plusIvEEiEEDaPvRmT3_T4_T5_mT6_P12ihipStream_tbENKUlT_T0_E_clISt17integral_constantIbLb0EESW_EEDaSR_SS_EUlSR_E0_NS1_11comp_targetILNS1_3genE5ELNS1_11target_archE942ELNS1_3gpuE9ELNS1_3repE0EEENS1_30default_config_static_selectorELNS0_4arch9wavefront6targetE1EEEvT1_,comdat
	.protected	_ZN7rocprim17ROCPRIM_400000_NS6detail17trampoline_kernelINS0_14default_configENS1_20scan_config_selectorIiEEZZNS1_9scan_implILNS1_25lookback_scan_determinismE0ELb0ELb0ES3_N6thrust23THRUST_200600_302600_NS6detail15normal_iteratorINS9_10device_ptrIiEEEENSB_INSC_IfEEEEiNS9_4plusIvEEiEEDaPvRmT3_T4_T5_mT6_P12ihipStream_tbENKUlT_T0_E_clISt17integral_constantIbLb0EESW_EEDaSR_SS_EUlSR_E0_NS1_11comp_targetILNS1_3genE5ELNS1_11target_archE942ELNS1_3gpuE9ELNS1_3repE0EEENS1_30default_config_static_selectorELNS0_4arch9wavefront6targetE1EEEvT1_ ; -- Begin function _ZN7rocprim17ROCPRIM_400000_NS6detail17trampoline_kernelINS0_14default_configENS1_20scan_config_selectorIiEEZZNS1_9scan_implILNS1_25lookback_scan_determinismE0ELb0ELb0ES3_N6thrust23THRUST_200600_302600_NS6detail15normal_iteratorINS9_10device_ptrIiEEEENSB_INSC_IfEEEEiNS9_4plusIvEEiEEDaPvRmT3_T4_T5_mT6_P12ihipStream_tbENKUlT_T0_E_clISt17integral_constantIbLb0EESW_EEDaSR_SS_EUlSR_E0_NS1_11comp_targetILNS1_3genE5ELNS1_11target_archE942ELNS1_3gpuE9ELNS1_3repE0EEENS1_30default_config_static_selectorELNS0_4arch9wavefront6targetE1EEEvT1_
	.globl	_ZN7rocprim17ROCPRIM_400000_NS6detail17trampoline_kernelINS0_14default_configENS1_20scan_config_selectorIiEEZZNS1_9scan_implILNS1_25lookback_scan_determinismE0ELb0ELb0ES3_N6thrust23THRUST_200600_302600_NS6detail15normal_iteratorINS9_10device_ptrIiEEEENSB_INSC_IfEEEEiNS9_4plusIvEEiEEDaPvRmT3_T4_T5_mT6_P12ihipStream_tbENKUlT_T0_E_clISt17integral_constantIbLb0EESW_EEDaSR_SS_EUlSR_E0_NS1_11comp_targetILNS1_3genE5ELNS1_11target_archE942ELNS1_3gpuE9ELNS1_3repE0EEENS1_30default_config_static_selectorELNS0_4arch9wavefront6targetE1EEEvT1_
	.p2align	8
	.type	_ZN7rocprim17ROCPRIM_400000_NS6detail17trampoline_kernelINS0_14default_configENS1_20scan_config_selectorIiEEZZNS1_9scan_implILNS1_25lookback_scan_determinismE0ELb0ELb0ES3_N6thrust23THRUST_200600_302600_NS6detail15normal_iteratorINS9_10device_ptrIiEEEENSB_INSC_IfEEEEiNS9_4plusIvEEiEEDaPvRmT3_T4_T5_mT6_P12ihipStream_tbENKUlT_T0_E_clISt17integral_constantIbLb0EESW_EEDaSR_SS_EUlSR_E0_NS1_11comp_targetILNS1_3genE5ELNS1_11target_archE942ELNS1_3gpuE9ELNS1_3repE0EEENS1_30default_config_static_selectorELNS0_4arch9wavefront6targetE1EEEvT1_,@function
_ZN7rocprim17ROCPRIM_400000_NS6detail17trampoline_kernelINS0_14default_configENS1_20scan_config_selectorIiEEZZNS1_9scan_implILNS1_25lookback_scan_determinismE0ELb0ELb0ES3_N6thrust23THRUST_200600_302600_NS6detail15normal_iteratorINS9_10device_ptrIiEEEENSB_INSC_IfEEEEiNS9_4plusIvEEiEEDaPvRmT3_T4_T5_mT6_P12ihipStream_tbENKUlT_T0_E_clISt17integral_constantIbLb0EESW_EEDaSR_SS_EUlSR_E0_NS1_11comp_targetILNS1_3genE5ELNS1_11target_archE942ELNS1_3gpuE9ELNS1_3repE0EEENS1_30default_config_static_selectorELNS0_4arch9wavefront6targetE1EEEvT1_: ; @_ZN7rocprim17ROCPRIM_400000_NS6detail17trampoline_kernelINS0_14default_configENS1_20scan_config_selectorIiEEZZNS1_9scan_implILNS1_25lookback_scan_determinismE0ELb0ELb0ES3_N6thrust23THRUST_200600_302600_NS6detail15normal_iteratorINS9_10device_ptrIiEEEENSB_INSC_IfEEEEiNS9_4plusIvEEiEEDaPvRmT3_T4_T5_mT6_P12ihipStream_tbENKUlT_T0_E_clISt17integral_constantIbLb0EESW_EEDaSR_SS_EUlSR_E0_NS1_11comp_targetILNS1_3genE5ELNS1_11target_archE942ELNS1_3gpuE9ELNS1_3repE0EEENS1_30default_config_static_selectorELNS0_4arch9wavefront6targetE1EEEvT1_
; %bb.0:
	.section	.rodata,"a",@progbits
	.p2align	6, 0x0
	.amdhsa_kernel _ZN7rocprim17ROCPRIM_400000_NS6detail17trampoline_kernelINS0_14default_configENS1_20scan_config_selectorIiEEZZNS1_9scan_implILNS1_25lookback_scan_determinismE0ELb0ELb0ES3_N6thrust23THRUST_200600_302600_NS6detail15normal_iteratorINS9_10device_ptrIiEEEENSB_INSC_IfEEEEiNS9_4plusIvEEiEEDaPvRmT3_T4_T5_mT6_P12ihipStream_tbENKUlT_T0_E_clISt17integral_constantIbLb0EESW_EEDaSR_SS_EUlSR_E0_NS1_11comp_targetILNS1_3genE5ELNS1_11target_archE942ELNS1_3gpuE9ELNS1_3repE0EEENS1_30default_config_static_selectorELNS0_4arch9wavefront6targetE1EEEvT1_
		.amdhsa_group_segment_fixed_size 0
		.amdhsa_private_segment_fixed_size 0
		.amdhsa_kernarg_size 32
		.amdhsa_user_sgpr_count 6
		.amdhsa_user_sgpr_private_segment_buffer 1
		.amdhsa_user_sgpr_dispatch_ptr 0
		.amdhsa_user_sgpr_queue_ptr 0
		.amdhsa_user_sgpr_kernarg_segment_ptr 1
		.amdhsa_user_sgpr_dispatch_id 0
		.amdhsa_user_sgpr_flat_scratch_init 0
		.amdhsa_user_sgpr_kernarg_preload_length 0
		.amdhsa_user_sgpr_kernarg_preload_offset 0
		.amdhsa_user_sgpr_private_segment_size 0
		.amdhsa_uses_dynamic_stack 0
		.amdhsa_system_sgpr_private_segment_wavefront_offset 0
		.amdhsa_system_sgpr_workgroup_id_x 1
		.amdhsa_system_sgpr_workgroup_id_y 0
		.amdhsa_system_sgpr_workgroup_id_z 0
		.amdhsa_system_sgpr_workgroup_info 0
		.amdhsa_system_vgpr_workitem_id 0
		.amdhsa_next_free_vgpr 1
		.amdhsa_next_free_sgpr 0
		.amdhsa_accum_offset 4
		.amdhsa_reserve_vcc 0
		.amdhsa_reserve_flat_scratch 0
		.amdhsa_float_round_mode_32 0
		.amdhsa_float_round_mode_16_64 0
		.amdhsa_float_denorm_mode_32 3
		.amdhsa_float_denorm_mode_16_64 3
		.amdhsa_dx10_clamp 1
		.amdhsa_ieee_mode 1
		.amdhsa_fp16_overflow 0
		.amdhsa_tg_split 0
		.amdhsa_exception_fp_ieee_invalid_op 0
		.amdhsa_exception_fp_denorm_src 0
		.amdhsa_exception_fp_ieee_div_zero 0
		.amdhsa_exception_fp_ieee_overflow 0
		.amdhsa_exception_fp_ieee_underflow 0
		.amdhsa_exception_fp_ieee_inexact 0
		.amdhsa_exception_int_div_zero 0
	.end_amdhsa_kernel
	.section	.text._ZN7rocprim17ROCPRIM_400000_NS6detail17trampoline_kernelINS0_14default_configENS1_20scan_config_selectorIiEEZZNS1_9scan_implILNS1_25lookback_scan_determinismE0ELb0ELb0ES3_N6thrust23THRUST_200600_302600_NS6detail15normal_iteratorINS9_10device_ptrIiEEEENSB_INSC_IfEEEEiNS9_4plusIvEEiEEDaPvRmT3_T4_T5_mT6_P12ihipStream_tbENKUlT_T0_E_clISt17integral_constantIbLb0EESW_EEDaSR_SS_EUlSR_E0_NS1_11comp_targetILNS1_3genE5ELNS1_11target_archE942ELNS1_3gpuE9ELNS1_3repE0EEENS1_30default_config_static_selectorELNS0_4arch9wavefront6targetE1EEEvT1_,"axG",@progbits,_ZN7rocprim17ROCPRIM_400000_NS6detail17trampoline_kernelINS0_14default_configENS1_20scan_config_selectorIiEEZZNS1_9scan_implILNS1_25lookback_scan_determinismE0ELb0ELb0ES3_N6thrust23THRUST_200600_302600_NS6detail15normal_iteratorINS9_10device_ptrIiEEEENSB_INSC_IfEEEEiNS9_4plusIvEEiEEDaPvRmT3_T4_T5_mT6_P12ihipStream_tbENKUlT_T0_E_clISt17integral_constantIbLb0EESW_EEDaSR_SS_EUlSR_E0_NS1_11comp_targetILNS1_3genE5ELNS1_11target_archE942ELNS1_3gpuE9ELNS1_3repE0EEENS1_30default_config_static_selectorELNS0_4arch9wavefront6targetE1EEEvT1_,comdat
.Lfunc_end1651:
	.size	_ZN7rocprim17ROCPRIM_400000_NS6detail17trampoline_kernelINS0_14default_configENS1_20scan_config_selectorIiEEZZNS1_9scan_implILNS1_25lookback_scan_determinismE0ELb0ELb0ES3_N6thrust23THRUST_200600_302600_NS6detail15normal_iteratorINS9_10device_ptrIiEEEENSB_INSC_IfEEEEiNS9_4plusIvEEiEEDaPvRmT3_T4_T5_mT6_P12ihipStream_tbENKUlT_T0_E_clISt17integral_constantIbLb0EESW_EEDaSR_SS_EUlSR_E0_NS1_11comp_targetILNS1_3genE5ELNS1_11target_archE942ELNS1_3gpuE9ELNS1_3repE0EEENS1_30default_config_static_selectorELNS0_4arch9wavefront6targetE1EEEvT1_, .Lfunc_end1651-_ZN7rocprim17ROCPRIM_400000_NS6detail17trampoline_kernelINS0_14default_configENS1_20scan_config_selectorIiEEZZNS1_9scan_implILNS1_25lookback_scan_determinismE0ELb0ELb0ES3_N6thrust23THRUST_200600_302600_NS6detail15normal_iteratorINS9_10device_ptrIiEEEENSB_INSC_IfEEEEiNS9_4plusIvEEiEEDaPvRmT3_T4_T5_mT6_P12ihipStream_tbENKUlT_T0_E_clISt17integral_constantIbLb0EESW_EEDaSR_SS_EUlSR_E0_NS1_11comp_targetILNS1_3genE5ELNS1_11target_archE942ELNS1_3gpuE9ELNS1_3repE0EEENS1_30default_config_static_selectorELNS0_4arch9wavefront6targetE1EEEvT1_
                                        ; -- End function
	.section	.AMDGPU.csdata,"",@progbits
; Kernel info:
; codeLenInByte = 0
; NumSgprs: 4
; NumVgprs: 0
; NumAgprs: 0
; TotalNumVgprs: 0
; ScratchSize: 0
; MemoryBound: 0
; FloatMode: 240
; IeeeMode: 1
; LDSByteSize: 0 bytes/workgroup (compile time only)
; SGPRBlocks: 0
; VGPRBlocks: 0
; NumSGPRsForWavesPerEU: 4
; NumVGPRsForWavesPerEU: 1
; AccumOffset: 4
; Occupancy: 8
; WaveLimiterHint : 0
; COMPUTE_PGM_RSRC2:SCRATCH_EN: 0
; COMPUTE_PGM_RSRC2:USER_SGPR: 6
; COMPUTE_PGM_RSRC2:TRAP_HANDLER: 0
; COMPUTE_PGM_RSRC2:TGID_X_EN: 1
; COMPUTE_PGM_RSRC2:TGID_Y_EN: 0
; COMPUTE_PGM_RSRC2:TGID_Z_EN: 0
; COMPUTE_PGM_RSRC2:TIDIG_COMP_CNT: 0
; COMPUTE_PGM_RSRC3_GFX90A:ACCUM_OFFSET: 0
; COMPUTE_PGM_RSRC3_GFX90A:TG_SPLIT: 0
	.section	.text._ZN7rocprim17ROCPRIM_400000_NS6detail17trampoline_kernelINS0_14default_configENS1_20scan_config_selectorIiEEZZNS1_9scan_implILNS1_25lookback_scan_determinismE0ELb0ELb0ES3_N6thrust23THRUST_200600_302600_NS6detail15normal_iteratorINS9_10device_ptrIiEEEENSB_INSC_IfEEEEiNS9_4plusIvEEiEEDaPvRmT3_T4_T5_mT6_P12ihipStream_tbENKUlT_T0_E_clISt17integral_constantIbLb0EESW_EEDaSR_SS_EUlSR_E0_NS1_11comp_targetILNS1_3genE4ELNS1_11target_archE910ELNS1_3gpuE8ELNS1_3repE0EEENS1_30default_config_static_selectorELNS0_4arch9wavefront6targetE1EEEvT1_,"axG",@progbits,_ZN7rocprim17ROCPRIM_400000_NS6detail17trampoline_kernelINS0_14default_configENS1_20scan_config_selectorIiEEZZNS1_9scan_implILNS1_25lookback_scan_determinismE0ELb0ELb0ES3_N6thrust23THRUST_200600_302600_NS6detail15normal_iteratorINS9_10device_ptrIiEEEENSB_INSC_IfEEEEiNS9_4plusIvEEiEEDaPvRmT3_T4_T5_mT6_P12ihipStream_tbENKUlT_T0_E_clISt17integral_constantIbLb0EESW_EEDaSR_SS_EUlSR_E0_NS1_11comp_targetILNS1_3genE4ELNS1_11target_archE910ELNS1_3gpuE8ELNS1_3repE0EEENS1_30default_config_static_selectorELNS0_4arch9wavefront6targetE1EEEvT1_,comdat
	.protected	_ZN7rocprim17ROCPRIM_400000_NS6detail17trampoline_kernelINS0_14default_configENS1_20scan_config_selectorIiEEZZNS1_9scan_implILNS1_25lookback_scan_determinismE0ELb0ELb0ES3_N6thrust23THRUST_200600_302600_NS6detail15normal_iteratorINS9_10device_ptrIiEEEENSB_INSC_IfEEEEiNS9_4plusIvEEiEEDaPvRmT3_T4_T5_mT6_P12ihipStream_tbENKUlT_T0_E_clISt17integral_constantIbLb0EESW_EEDaSR_SS_EUlSR_E0_NS1_11comp_targetILNS1_3genE4ELNS1_11target_archE910ELNS1_3gpuE8ELNS1_3repE0EEENS1_30default_config_static_selectorELNS0_4arch9wavefront6targetE1EEEvT1_ ; -- Begin function _ZN7rocprim17ROCPRIM_400000_NS6detail17trampoline_kernelINS0_14default_configENS1_20scan_config_selectorIiEEZZNS1_9scan_implILNS1_25lookback_scan_determinismE0ELb0ELb0ES3_N6thrust23THRUST_200600_302600_NS6detail15normal_iteratorINS9_10device_ptrIiEEEENSB_INSC_IfEEEEiNS9_4plusIvEEiEEDaPvRmT3_T4_T5_mT6_P12ihipStream_tbENKUlT_T0_E_clISt17integral_constantIbLb0EESW_EEDaSR_SS_EUlSR_E0_NS1_11comp_targetILNS1_3genE4ELNS1_11target_archE910ELNS1_3gpuE8ELNS1_3repE0EEENS1_30default_config_static_selectorELNS0_4arch9wavefront6targetE1EEEvT1_
	.globl	_ZN7rocprim17ROCPRIM_400000_NS6detail17trampoline_kernelINS0_14default_configENS1_20scan_config_selectorIiEEZZNS1_9scan_implILNS1_25lookback_scan_determinismE0ELb0ELb0ES3_N6thrust23THRUST_200600_302600_NS6detail15normal_iteratorINS9_10device_ptrIiEEEENSB_INSC_IfEEEEiNS9_4plusIvEEiEEDaPvRmT3_T4_T5_mT6_P12ihipStream_tbENKUlT_T0_E_clISt17integral_constantIbLb0EESW_EEDaSR_SS_EUlSR_E0_NS1_11comp_targetILNS1_3genE4ELNS1_11target_archE910ELNS1_3gpuE8ELNS1_3repE0EEENS1_30default_config_static_selectorELNS0_4arch9wavefront6targetE1EEEvT1_
	.p2align	8
	.type	_ZN7rocprim17ROCPRIM_400000_NS6detail17trampoline_kernelINS0_14default_configENS1_20scan_config_selectorIiEEZZNS1_9scan_implILNS1_25lookback_scan_determinismE0ELb0ELb0ES3_N6thrust23THRUST_200600_302600_NS6detail15normal_iteratorINS9_10device_ptrIiEEEENSB_INSC_IfEEEEiNS9_4plusIvEEiEEDaPvRmT3_T4_T5_mT6_P12ihipStream_tbENKUlT_T0_E_clISt17integral_constantIbLb0EESW_EEDaSR_SS_EUlSR_E0_NS1_11comp_targetILNS1_3genE4ELNS1_11target_archE910ELNS1_3gpuE8ELNS1_3repE0EEENS1_30default_config_static_selectorELNS0_4arch9wavefront6targetE1EEEvT1_,@function
_ZN7rocprim17ROCPRIM_400000_NS6detail17trampoline_kernelINS0_14default_configENS1_20scan_config_selectorIiEEZZNS1_9scan_implILNS1_25lookback_scan_determinismE0ELb0ELb0ES3_N6thrust23THRUST_200600_302600_NS6detail15normal_iteratorINS9_10device_ptrIiEEEENSB_INSC_IfEEEEiNS9_4plusIvEEiEEDaPvRmT3_T4_T5_mT6_P12ihipStream_tbENKUlT_T0_E_clISt17integral_constantIbLb0EESW_EEDaSR_SS_EUlSR_E0_NS1_11comp_targetILNS1_3genE4ELNS1_11target_archE910ELNS1_3gpuE8ELNS1_3repE0EEENS1_30default_config_static_selectorELNS0_4arch9wavefront6targetE1EEEvT1_: ; @_ZN7rocprim17ROCPRIM_400000_NS6detail17trampoline_kernelINS0_14default_configENS1_20scan_config_selectorIiEEZZNS1_9scan_implILNS1_25lookback_scan_determinismE0ELb0ELb0ES3_N6thrust23THRUST_200600_302600_NS6detail15normal_iteratorINS9_10device_ptrIiEEEENSB_INSC_IfEEEEiNS9_4plusIvEEiEEDaPvRmT3_T4_T5_mT6_P12ihipStream_tbENKUlT_T0_E_clISt17integral_constantIbLb0EESW_EEDaSR_SS_EUlSR_E0_NS1_11comp_targetILNS1_3genE4ELNS1_11target_archE910ELNS1_3gpuE8ELNS1_3repE0EEENS1_30default_config_static_selectorELNS0_4arch9wavefront6targetE1EEEvT1_
; %bb.0:
	s_load_dwordx4 s[20:23], s[4:5], 0x0
	v_lshlrev_b32_e32 v20, 2, v0
	s_waitcnt lgkmcnt(0)
	s_load_dword s23, s[20:21], 0x0
	v_cmp_gt_u32_e32 vcc, s22, v0
	s_waitcnt lgkmcnt(0)
	v_mov_b32_e32 v1, s23
	s_and_saveexec_b64 s[0:1], vcc
	s_cbranch_execz .LBB1652_2
; %bb.1:
	global_load_dword v1, v20, s[20:21]
.LBB1652_2:
	s_or_b64 exec, exec, s[0:1]
	v_or_b32_e32 v2, 0x80, v0
	v_cmp_gt_u32_e64 s[0:1], s22, v2
	v_mov_b32_e32 v2, s23
	s_and_saveexec_b64 s[2:3], s[0:1]
	s_cbranch_execz .LBB1652_4
; %bb.3:
	global_load_dword v2, v20, s[20:21] offset:512
.LBB1652_4:
	s_or_b64 exec, exec, s[2:3]
	v_or_b32_e32 v3, 0x100, v0
	v_cmp_gt_u32_e64 s[2:3], s22, v3
	v_mov_b32_e32 v3, s23
	s_and_saveexec_b64 s[6:7], s[2:3]
	s_cbranch_execz .LBB1652_6
; %bb.5:
	global_load_dword v3, v20, s[20:21] offset:1024
.LBB1652_6:
	s_or_b64 exec, exec, s[6:7]
	v_or_b32_e32 v4, 0x180, v0
	v_cmp_gt_u32_e64 s[18:19], s22, v4
	v_mov_b32_e32 v4, s23
	s_and_saveexec_b64 s[6:7], s[18:19]
	s_cbranch_execz .LBB1652_8
; %bb.7:
	global_load_dword v4, v20, s[20:21] offset:1536
.LBB1652_8:
	s_or_b64 exec, exec, s[6:7]
	v_or_b32_e32 v5, 0x200, v0
	v_cmp_gt_u32_e64 s[6:7], s22, v5
	v_mov_b32_e32 v5, s23
	s_and_saveexec_b64 s[8:9], s[6:7]
	s_cbranch_execz .LBB1652_10
; %bb.9:
	global_load_dword v5, v20, s[20:21] offset:2048
.LBB1652_10:
	s_or_b64 exec, exec, s[8:9]
	v_or_b32_e32 v6, 0x280, v0
	v_cmp_gt_u32_e64 s[8:9], s22, v6
	v_mov_b32_e32 v6, s23
	s_and_saveexec_b64 s[10:11], s[8:9]
	s_cbranch_execz .LBB1652_12
; %bb.11:
	global_load_dword v6, v20, s[20:21] offset:2560
.LBB1652_12:
	s_or_b64 exec, exec, s[10:11]
	v_or_b32_e32 v7, 0x300, v0
	v_cmp_gt_u32_e64 s[10:11], s22, v7
	v_mov_b32_e32 v7, s23
	s_and_saveexec_b64 s[12:13], s[10:11]
	s_cbranch_execz .LBB1652_14
; %bb.13:
	global_load_dword v7, v20, s[20:21] offset:3072
.LBB1652_14:
	s_or_b64 exec, exec, s[12:13]
	v_or_b32_e32 v8, 0x380, v0
	v_cmp_gt_u32_e64 s[12:13], s22, v8
	v_mov_b32_e32 v8, s23
	s_and_saveexec_b64 s[14:15], s[12:13]
	s_cbranch_execz .LBB1652_16
; %bb.15:
	global_load_dword v8, v20, s[20:21] offset:3584
.LBB1652_16:
	s_or_b64 exec, exec, s[14:15]
	v_or_b32_e32 v10, 0x400, v0
	v_cmp_gt_u32_e64 s[14:15], s22, v10
	v_mov_b32_e32 v9, s23
	s_and_saveexec_b64 s[16:17], s[14:15]
	s_cbranch_execz .LBB1652_18
; %bb.17:
	v_lshlrev_b32_e32 v9, 2, v10
	global_load_dword v9, v9, s[20:21]
.LBB1652_18:
	s_or_b64 exec, exec, s[16:17]
	v_or_b32_e32 v11, 0x480, v0
	v_cmp_gt_u32_e64 s[16:17], s22, v11
	v_mov_b32_e32 v10, s23
	s_and_saveexec_b64 s[22:23], s[16:17]
	s_cbranch_execz .LBB1652_20
; %bb.19:
	v_lshlrev_b32_e32 v10, 2, v11
	global_load_dword v10, v10, s[20:21]
.LBB1652_20:
	s_or_b64 exec, exec, s[22:23]
	s_waitcnt vmcnt(0)
	ds_write2st64_b32 v20, v1, v2 offset1:2
	ds_write2st64_b32 v20, v3, v4 offset0:4 offset1:6
	ds_write2st64_b32 v20, v5, v6 offset0:8 offset1:10
	;; [unrolled: 1-line block ×4, first 2 shown]
	v_mad_u32_u24 v1, v0, 36, v20
	s_waitcnt lgkmcnt(0)
	s_barrier
	ds_read2_b64 v[6:9], v1 offset1:1
	ds_read2_b64 v[2:5], v1 offset0:2 offset1:3
	ds_read_b64 v[18:19], v1 offset:32
	v_lshrrev_b32_e32 v21, 3, v0
	v_and_b32_e32 v21, 12, v21
	s_waitcnt lgkmcnt(2)
	v_add_u32_e32 v1, v7, v6
	v_add_u32_e32 v14, v1, v8
	;; [unrolled: 1-line block ×3, first 2 shown]
	s_waitcnt lgkmcnt(1)
	v_add_u32_e32 v10, v15, v2
	v_add_u32_e32 v11, v10, v3
	;; [unrolled: 1-line block ×4, first 2 shown]
	s_waitcnt lgkmcnt(0)
	v_add_u32_e32 v16, v13, v18
	v_add_u32_e32 v17, v16, v19
	;; [unrolled: 1-line block ×3, first 2 shown]
	v_cmp_gt_u32_e64 s[20:21], 64, v0
	s_barrier
	ds_write_b32 v21, v17
	s_waitcnt lgkmcnt(0)
	s_barrier
	s_and_saveexec_b64 s[22:23], s[20:21]
	s_cbranch_execz .LBB1652_22
; %bb.21:
	v_lshlrev_b32_e32 v21, 1, v0
	v_lshrrev_b32_e32 v22, 4, v0
	v_add_lshl_u32 v21, v22, v21, 2
	ds_read2_b32 v[22:23], v21 offset1:1
	v_mbcnt_lo_u32_b32 v24, -1, 0
	v_mbcnt_hi_u32_b32 v24, -1, v24
	v_and_b32_e32 v25, 15, v24
	v_cmp_ne_u32_e64 s[20:21], 0, v25
	s_waitcnt lgkmcnt(0)
	v_add_u32_e32 v23, v23, v22
	; wave barrier
	s_nop 1
	v_mov_b32_dpp v26, v23 row_shr:1 row_mask:0xf bank_mask:0xf
	v_cndmask_b32_e64 v26, 0, v26, s[20:21]
	v_add_u32_e32 v23, v26, v23
	v_cmp_lt_u32_e64 s[20:21], 1, v25
	s_nop 0
	v_mov_b32_dpp v26, v23 row_shr:2 row_mask:0xf bank_mask:0xf
	v_cndmask_b32_e64 v26, 0, v26, s[20:21]
	v_add_u32_e32 v23, v23, v26
	v_cmp_lt_u32_e64 s[20:21], 3, v25
	;; [unrolled: 5-line block ×3, first 2 shown]
	s_nop 0
	v_mov_b32_dpp v26, v23 row_shr:8 row_mask:0xf bank_mask:0xf
	v_cndmask_b32_e64 v25, 0, v26, s[20:21]
	v_add_u32_e32 v23, v23, v25
	v_bfe_i32 v26, v24, 4, 1
	v_cmp_lt_u32_e64 s[20:21], 31, v24
	v_mov_b32_dpp v25, v23 row_bcast:15 row_mask:0xf bank_mask:0xf
	v_and_b32_e32 v25, v26, v25
	v_add_u32_e32 v23, v23, v25
	v_and_b32_e32 v26, 64, v24
	s_nop 0
	v_mov_b32_dpp v25, v23 row_bcast:31 row_mask:0xf bank_mask:0xf
	v_cndmask_b32_e64 v25, 0, v25, s[20:21]
	v_add_u32_e32 v23, v23, v25
	v_add_u32_e32 v25, -1, v24
	v_cmp_lt_i32_e64 s[20:21], v25, v26
	v_cndmask_b32_e64 v24, v25, v24, s[20:21]
	v_lshlrev_b32_e32 v24, 2, v24
	ds_bpermute_b32 v23, v24, v23
	v_cmp_eq_u32_e64 s[20:21], 0, v0
	s_waitcnt lgkmcnt(0)
	v_add_u32_e32 v22, v23, v22
	v_cndmask_b32_e64 v22, v22, v17, s[20:21]
	ds_write_b32 v21, v22
	; wave barrier
	ds_read_b32 v23, v21 offset:4
	s_waitcnt lgkmcnt(0)
	v_add_u32_e32 v22, v23, v22
	ds_write_b32 v21, v22 offset:4
.LBB1652_22:
	s_or_b64 exec, exec, s[22:23]
	s_load_dwordx2 s[20:21], s[4:5], 0x18
	v_cmp_ne_u32_e64 s[4:5], 0, v0
	v_mov_b32_e32 v22, v17
	s_waitcnt lgkmcnt(0)
	s_barrier
	s_and_saveexec_b64 s[22:23], s[4:5]
	s_cbranch_execz .LBB1652_24
; %bb.23:
	v_add_u32_e32 v21, -1, v0
	v_lshrrev_b32_e32 v22, 5, v21
	v_add_lshl_u32 v21, v22, v21, 2
	ds_read_b32 v22, v21
.LBB1652_24:
	s_or_b64 exec, exec, s[22:23]
	v_mul_u32_u24_e32 v21, 36, v0
	v_mov_b32_e32 v0, v6
	s_and_saveexec_b64 s[22:23], s[4:5]
	s_cbranch_execz .LBB1652_26
; %bb.25:
	s_waitcnt lgkmcnt(0)
	v_add_u32_e32 v0, v22, v6
	v_add_u32_e32 v1, v0, v7
	;; [unrolled: 1-line block ×10, first 2 shown]
	;;#ASMSTART
	;;#ASMEND
.LBB1652_26:
	s_or_b64 exec, exec, s[22:23]
	v_add_u32_e32 v2, v20, v21
	s_waitcnt lgkmcnt(0)
	s_barrier
	ds_write2_b64 v2, v[0:1], v[14:15] offset1:1
	ds_write2_b64 v2, v[10:11], v[12:13] offset0:2 offset1:3
	ds_write_b64 v2, v[16:17] offset:32
	s_waitcnt lgkmcnt(0)
	s_barrier
	ds_read2st64_b32 v[8:9], v20 offset0:2 offset1:4
	ds_read2st64_b32 v[6:7], v20 offset0:6 offset1:8
	;; [unrolled: 1-line block ×4, first 2 shown]
	ds_read_b32 v10, v20 offset:4608
	v_mov_b32_e32 v1, s21
	v_add_co_u32_e64 v0, s[4:5], s20, v20
	v_addc_co_u32_e64 v1, s[4:5], 0, v1, s[4:5]
	s_and_saveexec_b64 s[4:5], vcc
	s_cbranch_execnz .LBB1652_37
; %bb.27:
	s_or_b64 exec, exec, s[4:5]
	s_and_saveexec_b64 s[4:5], s[0:1]
	s_cbranch_execnz .LBB1652_38
.LBB1652_28:
	s_or_b64 exec, exec, s[4:5]
	s_and_saveexec_b64 s[0:1], s[2:3]
	s_cbranch_execnz .LBB1652_39
.LBB1652_29:
	s_or_b64 exec, exec, s[0:1]
	s_and_saveexec_b64 s[0:1], s[18:19]
	s_cbranch_execnz .LBB1652_40
.LBB1652_30:
	s_or_b64 exec, exec, s[0:1]
	s_and_saveexec_b64 s[0:1], s[6:7]
	s_cbranch_execnz .LBB1652_41
.LBB1652_31:
	s_or_b64 exec, exec, s[0:1]
	s_and_saveexec_b64 s[0:1], s[8:9]
	s_cbranch_execnz .LBB1652_42
.LBB1652_32:
	s_or_b64 exec, exec, s[0:1]
	s_and_saveexec_b64 s[0:1], s[10:11]
	s_cbranch_execnz .LBB1652_43
.LBB1652_33:
	s_or_b64 exec, exec, s[0:1]
	s_and_saveexec_b64 s[0:1], s[12:13]
	s_cbranch_execnz .LBB1652_44
.LBB1652_34:
	s_or_b64 exec, exec, s[0:1]
	s_and_saveexec_b64 s[0:1], s[14:15]
	s_cbranch_execnz .LBB1652_45
.LBB1652_35:
	s_or_b64 exec, exec, s[0:1]
	s_and_saveexec_b64 s[0:1], s[16:17]
	s_cbranch_execnz .LBB1652_46
.LBB1652_36:
	s_endpgm
.LBB1652_37:
	ds_read_b32 v11, v20
	s_waitcnt lgkmcnt(0)
	v_cvt_f32_i32_e32 v11, v11
	global_store_dword v[0:1], v11, off
	s_or_b64 exec, exec, s[4:5]
	s_and_saveexec_b64 s[4:5], s[0:1]
	s_cbranch_execz .LBB1652_28
.LBB1652_38:
	s_waitcnt lgkmcnt(4)
	v_cvt_f32_i32_e32 v8, v8
	global_store_dword v[0:1], v8, off offset:512
	s_or_b64 exec, exec, s[4:5]
	s_and_saveexec_b64 s[0:1], s[2:3]
	s_cbranch_execz .LBB1652_29
.LBB1652_39:
	s_waitcnt lgkmcnt(4)
	v_cvt_f32_i32_e32 v8, v9
	global_store_dword v[0:1], v8, off offset:1024
	s_or_b64 exec, exec, s[0:1]
	s_and_saveexec_b64 s[0:1], s[18:19]
	s_cbranch_execz .LBB1652_30
.LBB1652_40:
	s_waitcnt lgkmcnt(3)
	v_cvt_f32_i32_e32 v6, v6
	global_store_dword v[0:1], v6, off offset:1536
	s_or_b64 exec, exec, s[0:1]
	s_and_saveexec_b64 s[0:1], s[6:7]
	s_cbranch_execz .LBB1652_31
.LBB1652_41:
	s_waitcnt lgkmcnt(3)
	v_cvt_f32_i32_e32 v6, v7
	global_store_dword v[0:1], v6, off offset:2048
	s_or_b64 exec, exec, s[0:1]
	s_and_saveexec_b64 s[0:1], s[8:9]
	s_cbranch_execz .LBB1652_32
.LBB1652_42:
	s_waitcnt lgkmcnt(2)
	v_cvt_f32_i32_e32 v4, v4
	global_store_dword v[0:1], v4, off offset:2560
	s_or_b64 exec, exec, s[0:1]
	s_and_saveexec_b64 s[0:1], s[10:11]
	s_cbranch_execz .LBB1652_33
.LBB1652_43:
	s_waitcnt lgkmcnt(2)
	v_cvt_f32_i32_e32 v4, v5
	global_store_dword v[0:1], v4, off offset:3072
	s_or_b64 exec, exec, s[0:1]
	s_and_saveexec_b64 s[0:1], s[12:13]
	s_cbranch_execz .LBB1652_34
.LBB1652_44:
	s_waitcnt lgkmcnt(1)
	v_cvt_f32_i32_e32 v2, v2
	global_store_dword v[0:1], v2, off offset:3584
	s_or_b64 exec, exec, s[0:1]
	s_and_saveexec_b64 s[0:1], s[14:15]
	s_cbranch_execz .LBB1652_35
.LBB1652_45:
	s_waitcnt lgkmcnt(1)
	v_cvt_f32_i32_e32 v4, v3
	v_add_co_u32_e32 v2, vcc, 0x1000, v0
	v_addc_co_u32_e32 v3, vcc, 0, v1, vcc
	global_store_dword v[2:3], v4, off
	s_or_b64 exec, exec, s[0:1]
	s_and_saveexec_b64 s[0:1], s[16:17]
	s_cbranch_execz .LBB1652_36
.LBB1652_46:
	s_waitcnt lgkmcnt(0)
	v_cvt_f32_i32_e32 v2, v10
	v_add_co_u32_e32 v0, vcc, 0x1000, v0
	v_addc_co_u32_e32 v1, vcc, 0, v1, vcc
	global_store_dword v[0:1], v2, off offset:512
	s_endpgm
	.section	.rodata,"a",@progbits
	.p2align	6, 0x0
	.amdhsa_kernel _ZN7rocprim17ROCPRIM_400000_NS6detail17trampoline_kernelINS0_14default_configENS1_20scan_config_selectorIiEEZZNS1_9scan_implILNS1_25lookback_scan_determinismE0ELb0ELb0ES3_N6thrust23THRUST_200600_302600_NS6detail15normal_iteratorINS9_10device_ptrIiEEEENSB_INSC_IfEEEEiNS9_4plusIvEEiEEDaPvRmT3_T4_T5_mT6_P12ihipStream_tbENKUlT_T0_E_clISt17integral_constantIbLb0EESW_EEDaSR_SS_EUlSR_E0_NS1_11comp_targetILNS1_3genE4ELNS1_11target_archE910ELNS1_3gpuE8ELNS1_3repE0EEENS1_30default_config_static_selectorELNS0_4arch9wavefront6targetE1EEEvT1_
		.amdhsa_group_segment_fixed_size 5120
		.amdhsa_private_segment_fixed_size 0
		.amdhsa_kernarg_size 32
		.amdhsa_user_sgpr_count 6
		.amdhsa_user_sgpr_private_segment_buffer 1
		.amdhsa_user_sgpr_dispatch_ptr 0
		.amdhsa_user_sgpr_queue_ptr 0
		.amdhsa_user_sgpr_kernarg_segment_ptr 1
		.amdhsa_user_sgpr_dispatch_id 0
		.amdhsa_user_sgpr_flat_scratch_init 0
		.amdhsa_user_sgpr_kernarg_preload_length 0
		.amdhsa_user_sgpr_kernarg_preload_offset 0
		.amdhsa_user_sgpr_private_segment_size 0
		.amdhsa_uses_dynamic_stack 0
		.amdhsa_system_sgpr_private_segment_wavefront_offset 0
		.amdhsa_system_sgpr_workgroup_id_x 1
		.amdhsa_system_sgpr_workgroup_id_y 0
		.amdhsa_system_sgpr_workgroup_id_z 0
		.amdhsa_system_sgpr_workgroup_info 0
		.amdhsa_system_vgpr_workitem_id 0
		.amdhsa_next_free_vgpr 27
		.amdhsa_next_free_sgpr 24
		.amdhsa_accum_offset 28
		.amdhsa_reserve_vcc 1
		.amdhsa_reserve_flat_scratch 0
		.amdhsa_float_round_mode_32 0
		.amdhsa_float_round_mode_16_64 0
		.amdhsa_float_denorm_mode_32 3
		.amdhsa_float_denorm_mode_16_64 3
		.amdhsa_dx10_clamp 1
		.amdhsa_ieee_mode 1
		.amdhsa_fp16_overflow 0
		.amdhsa_tg_split 0
		.amdhsa_exception_fp_ieee_invalid_op 0
		.amdhsa_exception_fp_denorm_src 0
		.amdhsa_exception_fp_ieee_div_zero 0
		.amdhsa_exception_fp_ieee_overflow 0
		.amdhsa_exception_fp_ieee_underflow 0
		.amdhsa_exception_fp_ieee_inexact 0
		.amdhsa_exception_int_div_zero 0
	.end_amdhsa_kernel
	.section	.text._ZN7rocprim17ROCPRIM_400000_NS6detail17trampoline_kernelINS0_14default_configENS1_20scan_config_selectorIiEEZZNS1_9scan_implILNS1_25lookback_scan_determinismE0ELb0ELb0ES3_N6thrust23THRUST_200600_302600_NS6detail15normal_iteratorINS9_10device_ptrIiEEEENSB_INSC_IfEEEEiNS9_4plusIvEEiEEDaPvRmT3_T4_T5_mT6_P12ihipStream_tbENKUlT_T0_E_clISt17integral_constantIbLb0EESW_EEDaSR_SS_EUlSR_E0_NS1_11comp_targetILNS1_3genE4ELNS1_11target_archE910ELNS1_3gpuE8ELNS1_3repE0EEENS1_30default_config_static_selectorELNS0_4arch9wavefront6targetE1EEEvT1_,"axG",@progbits,_ZN7rocprim17ROCPRIM_400000_NS6detail17trampoline_kernelINS0_14default_configENS1_20scan_config_selectorIiEEZZNS1_9scan_implILNS1_25lookback_scan_determinismE0ELb0ELb0ES3_N6thrust23THRUST_200600_302600_NS6detail15normal_iteratorINS9_10device_ptrIiEEEENSB_INSC_IfEEEEiNS9_4plusIvEEiEEDaPvRmT3_T4_T5_mT6_P12ihipStream_tbENKUlT_T0_E_clISt17integral_constantIbLb0EESW_EEDaSR_SS_EUlSR_E0_NS1_11comp_targetILNS1_3genE4ELNS1_11target_archE910ELNS1_3gpuE8ELNS1_3repE0EEENS1_30default_config_static_selectorELNS0_4arch9wavefront6targetE1EEEvT1_,comdat
.Lfunc_end1652:
	.size	_ZN7rocprim17ROCPRIM_400000_NS6detail17trampoline_kernelINS0_14default_configENS1_20scan_config_selectorIiEEZZNS1_9scan_implILNS1_25lookback_scan_determinismE0ELb0ELb0ES3_N6thrust23THRUST_200600_302600_NS6detail15normal_iteratorINS9_10device_ptrIiEEEENSB_INSC_IfEEEEiNS9_4plusIvEEiEEDaPvRmT3_T4_T5_mT6_P12ihipStream_tbENKUlT_T0_E_clISt17integral_constantIbLb0EESW_EEDaSR_SS_EUlSR_E0_NS1_11comp_targetILNS1_3genE4ELNS1_11target_archE910ELNS1_3gpuE8ELNS1_3repE0EEENS1_30default_config_static_selectorELNS0_4arch9wavefront6targetE1EEEvT1_, .Lfunc_end1652-_ZN7rocprim17ROCPRIM_400000_NS6detail17trampoline_kernelINS0_14default_configENS1_20scan_config_selectorIiEEZZNS1_9scan_implILNS1_25lookback_scan_determinismE0ELb0ELb0ES3_N6thrust23THRUST_200600_302600_NS6detail15normal_iteratorINS9_10device_ptrIiEEEENSB_INSC_IfEEEEiNS9_4plusIvEEiEEDaPvRmT3_T4_T5_mT6_P12ihipStream_tbENKUlT_T0_E_clISt17integral_constantIbLb0EESW_EEDaSR_SS_EUlSR_E0_NS1_11comp_targetILNS1_3genE4ELNS1_11target_archE910ELNS1_3gpuE8ELNS1_3repE0EEENS1_30default_config_static_selectorELNS0_4arch9wavefront6targetE1EEEvT1_
                                        ; -- End function
	.section	.AMDGPU.csdata,"",@progbits
; Kernel info:
; codeLenInByte = 1592
; NumSgprs: 28
; NumVgprs: 27
; NumAgprs: 0
; TotalNumVgprs: 27
; ScratchSize: 0
; MemoryBound: 0
; FloatMode: 240
; IeeeMode: 1
; LDSByteSize: 5120 bytes/workgroup (compile time only)
; SGPRBlocks: 3
; VGPRBlocks: 3
; NumSGPRsForWavesPerEU: 28
; NumVGPRsForWavesPerEU: 27
; AccumOffset: 28
; Occupancy: 6
; WaveLimiterHint : 0
; COMPUTE_PGM_RSRC2:SCRATCH_EN: 0
; COMPUTE_PGM_RSRC2:USER_SGPR: 6
; COMPUTE_PGM_RSRC2:TRAP_HANDLER: 0
; COMPUTE_PGM_RSRC2:TGID_X_EN: 1
; COMPUTE_PGM_RSRC2:TGID_Y_EN: 0
; COMPUTE_PGM_RSRC2:TGID_Z_EN: 0
; COMPUTE_PGM_RSRC2:TIDIG_COMP_CNT: 0
; COMPUTE_PGM_RSRC3_GFX90A:ACCUM_OFFSET: 6
; COMPUTE_PGM_RSRC3_GFX90A:TG_SPLIT: 0
	.section	.text._ZN7rocprim17ROCPRIM_400000_NS6detail17trampoline_kernelINS0_14default_configENS1_20scan_config_selectorIiEEZZNS1_9scan_implILNS1_25lookback_scan_determinismE0ELb0ELb0ES3_N6thrust23THRUST_200600_302600_NS6detail15normal_iteratorINS9_10device_ptrIiEEEENSB_INSC_IfEEEEiNS9_4plusIvEEiEEDaPvRmT3_T4_T5_mT6_P12ihipStream_tbENKUlT_T0_E_clISt17integral_constantIbLb0EESW_EEDaSR_SS_EUlSR_E0_NS1_11comp_targetILNS1_3genE3ELNS1_11target_archE908ELNS1_3gpuE7ELNS1_3repE0EEENS1_30default_config_static_selectorELNS0_4arch9wavefront6targetE1EEEvT1_,"axG",@progbits,_ZN7rocprim17ROCPRIM_400000_NS6detail17trampoline_kernelINS0_14default_configENS1_20scan_config_selectorIiEEZZNS1_9scan_implILNS1_25lookback_scan_determinismE0ELb0ELb0ES3_N6thrust23THRUST_200600_302600_NS6detail15normal_iteratorINS9_10device_ptrIiEEEENSB_INSC_IfEEEEiNS9_4plusIvEEiEEDaPvRmT3_T4_T5_mT6_P12ihipStream_tbENKUlT_T0_E_clISt17integral_constantIbLb0EESW_EEDaSR_SS_EUlSR_E0_NS1_11comp_targetILNS1_3genE3ELNS1_11target_archE908ELNS1_3gpuE7ELNS1_3repE0EEENS1_30default_config_static_selectorELNS0_4arch9wavefront6targetE1EEEvT1_,comdat
	.protected	_ZN7rocprim17ROCPRIM_400000_NS6detail17trampoline_kernelINS0_14default_configENS1_20scan_config_selectorIiEEZZNS1_9scan_implILNS1_25lookback_scan_determinismE0ELb0ELb0ES3_N6thrust23THRUST_200600_302600_NS6detail15normal_iteratorINS9_10device_ptrIiEEEENSB_INSC_IfEEEEiNS9_4plusIvEEiEEDaPvRmT3_T4_T5_mT6_P12ihipStream_tbENKUlT_T0_E_clISt17integral_constantIbLb0EESW_EEDaSR_SS_EUlSR_E0_NS1_11comp_targetILNS1_3genE3ELNS1_11target_archE908ELNS1_3gpuE7ELNS1_3repE0EEENS1_30default_config_static_selectorELNS0_4arch9wavefront6targetE1EEEvT1_ ; -- Begin function _ZN7rocprim17ROCPRIM_400000_NS6detail17trampoline_kernelINS0_14default_configENS1_20scan_config_selectorIiEEZZNS1_9scan_implILNS1_25lookback_scan_determinismE0ELb0ELb0ES3_N6thrust23THRUST_200600_302600_NS6detail15normal_iteratorINS9_10device_ptrIiEEEENSB_INSC_IfEEEEiNS9_4plusIvEEiEEDaPvRmT3_T4_T5_mT6_P12ihipStream_tbENKUlT_T0_E_clISt17integral_constantIbLb0EESW_EEDaSR_SS_EUlSR_E0_NS1_11comp_targetILNS1_3genE3ELNS1_11target_archE908ELNS1_3gpuE7ELNS1_3repE0EEENS1_30default_config_static_selectorELNS0_4arch9wavefront6targetE1EEEvT1_
	.globl	_ZN7rocprim17ROCPRIM_400000_NS6detail17trampoline_kernelINS0_14default_configENS1_20scan_config_selectorIiEEZZNS1_9scan_implILNS1_25lookback_scan_determinismE0ELb0ELb0ES3_N6thrust23THRUST_200600_302600_NS6detail15normal_iteratorINS9_10device_ptrIiEEEENSB_INSC_IfEEEEiNS9_4plusIvEEiEEDaPvRmT3_T4_T5_mT6_P12ihipStream_tbENKUlT_T0_E_clISt17integral_constantIbLb0EESW_EEDaSR_SS_EUlSR_E0_NS1_11comp_targetILNS1_3genE3ELNS1_11target_archE908ELNS1_3gpuE7ELNS1_3repE0EEENS1_30default_config_static_selectorELNS0_4arch9wavefront6targetE1EEEvT1_
	.p2align	8
	.type	_ZN7rocprim17ROCPRIM_400000_NS6detail17trampoline_kernelINS0_14default_configENS1_20scan_config_selectorIiEEZZNS1_9scan_implILNS1_25lookback_scan_determinismE0ELb0ELb0ES3_N6thrust23THRUST_200600_302600_NS6detail15normal_iteratorINS9_10device_ptrIiEEEENSB_INSC_IfEEEEiNS9_4plusIvEEiEEDaPvRmT3_T4_T5_mT6_P12ihipStream_tbENKUlT_T0_E_clISt17integral_constantIbLb0EESW_EEDaSR_SS_EUlSR_E0_NS1_11comp_targetILNS1_3genE3ELNS1_11target_archE908ELNS1_3gpuE7ELNS1_3repE0EEENS1_30default_config_static_selectorELNS0_4arch9wavefront6targetE1EEEvT1_,@function
_ZN7rocprim17ROCPRIM_400000_NS6detail17trampoline_kernelINS0_14default_configENS1_20scan_config_selectorIiEEZZNS1_9scan_implILNS1_25lookback_scan_determinismE0ELb0ELb0ES3_N6thrust23THRUST_200600_302600_NS6detail15normal_iteratorINS9_10device_ptrIiEEEENSB_INSC_IfEEEEiNS9_4plusIvEEiEEDaPvRmT3_T4_T5_mT6_P12ihipStream_tbENKUlT_T0_E_clISt17integral_constantIbLb0EESW_EEDaSR_SS_EUlSR_E0_NS1_11comp_targetILNS1_3genE3ELNS1_11target_archE908ELNS1_3gpuE7ELNS1_3repE0EEENS1_30default_config_static_selectorELNS0_4arch9wavefront6targetE1EEEvT1_: ; @_ZN7rocprim17ROCPRIM_400000_NS6detail17trampoline_kernelINS0_14default_configENS1_20scan_config_selectorIiEEZZNS1_9scan_implILNS1_25lookback_scan_determinismE0ELb0ELb0ES3_N6thrust23THRUST_200600_302600_NS6detail15normal_iteratorINS9_10device_ptrIiEEEENSB_INSC_IfEEEEiNS9_4plusIvEEiEEDaPvRmT3_T4_T5_mT6_P12ihipStream_tbENKUlT_T0_E_clISt17integral_constantIbLb0EESW_EEDaSR_SS_EUlSR_E0_NS1_11comp_targetILNS1_3genE3ELNS1_11target_archE908ELNS1_3gpuE7ELNS1_3repE0EEENS1_30default_config_static_selectorELNS0_4arch9wavefront6targetE1EEEvT1_
; %bb.0:
	.section	.rodata,"a",@progbits
	.p2align	6, 0x0
	.amdhsa_kernel _ZN7rocprim17ROCPRIM_400000_NS6detail17trampoline_kernelINS0_14default_configENS1_20scan_config_selectorIiEEZZNS1_9scan_implILNS1_25lookback_scan_determinismE0ELb0ELb0ES3_N6thrust23THRUST_200600_302600_NS6detail15normal_iteratorINS9_10device_ptrIiEEEENSB_INSC_IfEEEEiNS9_4plusIvEEiEEDaPvRmT3_T4_T5_mT6_P12ihipStream_tbENKUlT_T0_E_clISt17integral_constantIbLb0EESW_EEDaSR_SS_EUlSR_E0_NS1_11comp_targetILNS1_3genE3ELNS1_11target_archE908ELNS1_3gpuE7ELNS1_3repE0EEENS1_30default_config_static_selectorELNS0_4arch9wavefront6targetE1EEEvT1_
		.amdhsa_group_segment_fixed_size 0
		.amdhsa_private_segment_fixed_size 0
		.amdhsa_kernarg_size 32
		.amdhsa_user_sgpr_count 6
		.amdhsa_user_sgpr_private_segment_buffer 1
		.amdhsa_user_sgpr_dispatch_ptr 0
		.amdhsa_user_sgpr_queue_ptr 0
		.amdhsa_user_sgpr_kernarg_segment_ptr 1
		.amdhsa_user_sgpr_dispatch_id 0
		.amdhsa_user_sgpr_flat_scratch_init 0
		.amdhsa_user_sgpr_kernarg_preload_length 0
		.amdhsa_user_sgpr_kernarg_preload_offset 0
		.amdhsa_user_sgpr_private_segment_size 0
		.amdhsa_uses_dynamic_stack 0
		.amdhsa_system_sgpr_private_segment_wavefront_offset 0
		.amdhsa_system_sgpr_workgroup_id_x 1
		.amdhsa_system_sgpr_workgroup_id_y 0
		.amdhsa_system_sgpr_workgroup_id_z 0
		.amdhsa_system_sgpr_workgroup_info 0
		.amdhsa_system_vgpr_workitem_id 0
		.amdhsa_next_free_vgpr 1
		.amdhsa_next_free_sgpr 0
		.amdhsa_accum_offset 4
		.amdhsa_reserve_vcc 0
		.amdhsa_reserve_flat_scratch 0
		.amdhsa_float_round_mode_32 0
		.amdhsa_float_round_mode_16_64 0
		.amdhsa_float_denorm_mode_32 3
		.amdhsa_float_denorm_mode_16_64 3
		.amdhsa_dx10_clamp 1
		.amdhsa_ieee_mode 1
		.amdhsa_fp16_overflow 0
		.amdhsa_tg_split 0
		.amdhsa_exception_fp_ieee_invalid_op 0
		.amdhsa_exception_fp_denorm_src 0
		.amdhsa_exception_fp_ieee_div_zero 0
		.amdhsa_exception_fp_ieee_overflow 0
		.amdhsa_exception_fp_ieee_underflow 0
		.amdhsa_exception_fp_ieee_inexact 0
		.amdhsa_exception_int_div_zero 0
	.end_amdhsa_kernel
	.section	.text._ZN7rocprim17ROCPRIM_400000_NS6detail17trampoline_kernelINS0_14default_configENS1_20scan_config_selectorIiEEZZNS1_9scan_implILNS1_25lookback_scan_determinismE0ELb0ELb0ES3_N6thrust23THRUST_200600_302600_NS6detail15normal_iteratorINS9_10device_ptrIiEEEENSB_INSC_IfEEEEiNS9_4plusIvEEiEEDaPvRmT3_T4_T5_mT6_P12ihipStream_tbENKUlT_T0_E_clISt17integral_constantIbLb0EESW_EEDaSR_SS_EUlSR_E0_NS1_11comp_targetILNS1_3genE3ELNS1_11target_archE908ELNS1_3gpuE7ELNS1_3repE0EEENS1_30default_config_static_selectorELNS0_4arch9wavefront6targetE1EEEvT1_,"axG",@progbits,_ZN7rocprim17ROCPRIM_400000_NS6detail17trampoline_kernelINS0_14default_configENS1_20scan_config_selectorIiEEZZNS1_9scan_implILNS1_25lookback_scan_determinismE0ELb0ELb0ES3_N6thrust23THRUST_200600_302600_NS6detail15normal_iteratorINS9_10device_ptrIiEEEENSB_INSC_IfEEEEiNS9_4plusIvEEiEEDaPvRmT3_T4_T5_mT6_P12ihipStream_tbENKUlT_T0_E_clISt17integral_constantIbLb0EESW_EEDaSR_SS_EUlSR_E0_NS1_11comp_targetILNS1_3genE3ELNS1_11target_archE908ELNS1_3gpuE7ELNS1_3repE0EEENS1_30default_config_static_selectorELNS0_4arch9wavefront6targetE1EEEvT1_,comdat
.Lfunc_end1653:
	.size	_ZN7rocprim17ROCPRIM_400000_NS6detail17trampoline_kernelINS0_14default_configENS1_20scan_config_selectorIiEEZZNS1_9scan_implILNS1_25lookback_scan_determinismE0ELb0ELb0ES3_N6thrust23THRUST_200600_302600_NS6detail15normal_iteratorINS9_10device_ptrIiEEEENSB_INSC_IfEEEEiNS9_4plusIvEEiEEDaPvRmT3_T4_T5_mT6_P12ihipStream_tbENKUlT_T0_E_clISt17integral_constantIbLb0EESW_EEDaSR_SS_EUlSR_E0_NS1_11comp_targetILNS1_3genE3ELNS1_11target_archE908ELNS1_3gpuE7ELNS1_3repE0EEENS1_30default_config_static_selectorELNS0_4arch9wavefront6targetE1EEEvT1_, .Lfunc_end1653-_ZN7rocprim17ROCPRIM_400000_NS6detail17trampoline_kernelINS0_14default_configENS1_20scan_config_selectorIiEEZZNS1_9scan_implILNS1_25lookback_scan_determinismE0ELb0ELb0ES3_N6thrust23THRUST_200600_302600_NS6detail15normal_iteratorINS9_10device_ptrIiEEEENSB_INSC_IfEEEEiNS9_4plusIvEEiEEDaPvRmT3_T4_T5_mT6_P12ihipStream_tbENKUlT_T0_E_clISt17integral_constantIbLb0EESW_EEDaSR_SS_EUlSR_E0_NS1_11comp_targetILNS1_3genE3ELNS1_11target_archE908ELNS1_3gpuE7ELNS1_3repE0EEENS1_30default_config_static_selectorELNS0_4arch9wavefront6targetE1EEEvT1_
                                        ; -- End function
	.section	.AMDGPU.csdata,"",@progbits
; Kernel info:
; codeLenInByte = 0
; NumSgprs: 4
; NumVgprs: 0
; NumAgprs: 0
; TotalNumVgprs: 0
; ScratchSize: 0
; MemoryBound: 0
; FloatMode: 240
; IeeeMode: 1
; LDSByteSize: 0 bytes/workgroup (compile time only)
; SGPRBlocks: 0
; VGPRBlocks: 0
; NumSGPRsForWavesPerEU: 4
; NumVGPRsForWavesPerEU: 1
; AccumOffset: 4
; Occupancy: 8
; WaveLimiterHint : 0
; COMPUTE_PGM_RSRC2:SCRATCH_EN: 0
; COMPUTE_PGM_RSRC2:USER_SGPR: 6
; COMPUTE_PGM_RSRC2:TRAP_HANDLER: 0
; COMPUTE_PGM_RSRC2:TGID_X_EN: 1
; COMPUTE_PGM_RSRC2:TGID_Y_EN: 0
; COMPUTE_PGM_RSRC2:TGID_Z_EN: 0
; COMPUTE_PGM_RSRC2:TIDIG_COMP_CNT: 0
; COMPUTE_PGM_RSRC3_GFX90A:ACCUM_OFFSET: 0
; COMPUTE_PGM_RSRC3_GFX90A:TG_SPLIT: 0
	.section	.text._ZN7rocprim17ROCPRIM_400000_NS6detail17trampoline_kernelINS0_14default_configENS1_20scan_config_selectorIiEEZZNS1_9scan_implILNS1_25lookback_scan_determinismE0ELb0ELb0ES3_N6thrust23THRUST_200600_302600_NS6detail15normal_iteratorINS9_10device_ptrIiEEEENSB_INSC_IfEEEEiNS9_4plusIvEEiEEDaPvRmT3_T4_T5_mT6_P12ihipStream_tbENKUlT_T0_E_clISt17integral_constantIbLb0EESW_EEDaSR_SS_EUlSR_E0_NS1_11comp_targetILNS1_3genE2ELNS1_11target_archE906ELNS1_3gpuE6ELNS1_3repE0EEENS1_30default_config_static_selectorELNS0_4arch9wavefront6targetE1EEEvT1_,"axG",@progbits,_ZN7rocprim17ROCPRIM_400000_NS6detail17trampoline_kernelINS0_14default_configENS1_20scan_config_selectorIiEEZZNS1_9scan_implILNS1_25lookback_scan_determinismE0ELb0ELb0ES3_N6thrust23THRUST_200600_302600_NS6detail15normal_iteratorINS9_10device_ptrIiEEEENSB_INSC_IfEEEEiNS9_4plusIvEEiEEDaPvRmT3_T4_T5_mT6_P12ihipStream_tbENKUlT_T0_E_clISt17integral_constantIbLb0EESW_EEDaSR_SS_EUlSR_E0_NS1_11comp_targetILNS1_3genE2ELNS1_11target_archE906ELNS1_3gpuE6ELNS1_3repE0EEENS1_30default_config_static_selectorELNS0_4arch9wavefront6targetE1EEEvT1_,comdat
	.protected	_ZN7rocprim17ROCPRIM_400000_NS6detail17trampoline_kernelINS0_14default_configENS1_20scan_config_selectorIiEEZZNS1_9scan_implILNS1_25lookback_scan_determinismE0ELb0ELb0ES3_N6thrust23THRUST_200600_302600_NS6detail15normal_iteratorINS9_10device_ptrIiEEEENSB_INSC_IfEEEEiNS9_4plusIvEEiEEDaPvRmT3_T4_T5_mT6_P12ihipStream_tbENKUlT_T0_E_clISt17integral_constantIbLb0EESW_EEDaSR_SS_EUlSR_E0_NS1_11comp_targetILNS1_3genE2ELNS1_11target_archE906ELNS1_3gpuE6ELNS1_3repE0EEENS1_30default_config_static_selectorELNS0_4arch9wavefront6targetE1EEEvT1_ ; -- Begin function _ZN7rocprim17ROCPRIM_400000_NS6detail17trampoline_kernelINS0_14default_configENS1_20scan_config_selectorIiEEZZNS1_9scan_implILNS1_25lookback_scan_determinismE0ELb0ELb0ES3_N6thrust23THRUST_200600_302600_NS6detail15normal_iteratorINS9_10device_ptrIiEEEENSB_INSC_IfEEEEiNS9_4plusIvEEiEEDaPvRmT3_T4_T5_mT6_P12ihipStream_tbENKUlT_T0_E_clISt17integral_constantIbLb0EESW_EEDaSR_SS_EUlSR_E0_NS1_11comp_targetILNS1_3genE2ELNS1_11target_archE906ELNS1_3gpuE6ELNS1_3repE0EEENS1_30default_config_static_selectorELNS0_4arch9wavefront6targetE1EEEvT1_
	.globl	_ZN7rocprim17ROCPRIM_400000_NS6detail17trampoline_kernelINS0_14default_configENS1_20scan_config_selectorIiEEZZNS1_9scan_implILNS1_25lookback_scan_determinismE0ELb0ELb0ES3_N6thrust23THRUST_200600_302600_NS6detail15normal_iteratorINS9_10device_ptrIiEEEENSB_INSC_IfEEEEiNS9_4plusIvEEiEEDaPvRmT3_T4_T5_mT6_P12ihipStream_tbENKUlT_T0_E_clISt17integral_constantIbLb0EESW_EEDaSR_SS_EUlSR_E0_NS1_11comp_targetILNS1_3genE2ELNS1_11target_archE906ELNS1_3gpuE6ELNS1_3repE0EEENS1_30default_config_static_selectorELNS0_4arch9wavefront6targetE1EEEvT1_
	.p2align	8
	.type	_ZN7rocprim17ROCPRIM_400000_NS6detail17trampoline_kernelINS0_14default_configENS1_20scan_config_selectorIiEEZZNS1_9scan_implILNS1_25lookback_scan_determinismE0ELb0ELb0ES3_N6thrust23THRUST_200600_302600_NS6detail15normal_iteratorINS9_10device_ptrIiEEEENSB_INSC_IfEEEEiNS9_4plusIvEEiEEDaPvRmT3_T4_T5_mT6_P12ihipStream_tbENKUlT_T0_E_clISt17integral_constantIbLb0EESW_EEDaSR_SS_EUlSR_E0_NS1_11comp_targetILNS1_3genE2ELNS1_11target_archE906ELNS1_3gpuE6ELNS1_3repE0EEENS1_30default_config_static_selectorELNS0_4arch9wavefront6targetE1EEEvT1_,@function
_ZN7rocprim17ROCPRIM_400000_NS6detail17trampoline_kernelINS0_14default_configENS1_20scan_config_selectorIiEEZZNS1_9scan_implILNS1_25lookback_scan_determinismE0ELb0ELb0ES3_N6thrust23THRUST_200600_302600_NS6detail15normal_iteratorINS9_10device_ptrIiEEEENSB_INSC_IfEEEEiNS9_4plusIvEEiEEDaPvRmT3_T4_T5_mT6_P12ihipStream_tbENKUlT_T0_E_clISt17integral_constantIbLb0EESW_EEDaSR_SS_EUlSR_E0_NS1_11comp_targetILNS1_3genE2ELNS1_11target_archE906ELNS1_3gpuE6ELNS1_3repE0EEENS1_30default_config_static_selectorELNS0_4arch9wavefront6targetE1EEEvT1_: ; @_ZN7rocprim17ROCPRIM_400000_NS6detail17trampoline_kernelINS0_14default_configENS1_20scan_config_selectorIiEEZZNS1_9scan_implILNS1_25lookback_scan_determinismE0ELb0ELb0ES3_N6thrust23THRUST_200600_302600_NS6detail15normal_iteratorINS9_10device_ptrIiEEEENSB_INSC_IfEEEEiNS9_4plusIvEEiEEDaPvRmT3_T4_T5_mT6_P12ihipStream_tbENKUlT_T0_E_clISt17integral_constantIbLb0EESW_EEDaSR_SS_EUlSR_E0_NS1_11comp_targetILNS1_3genE2ELNS1_11target_archE906ELNS1_3gpuE6ELNS1_3repE0EEENS1_30default_config_static_selectorELNS0_4arch9wavefront6targetE1EEEvT1_
; %bb.0:
	.section	.rodata,"a",@progbits
	.p2align	6, 0x0
	.amdhsa_kernel _ZN7rocprim17ROCPRIM_400000_NS6detail17trampoline_kernelINS0_14default_configENS1_20scan_config_selectorIiEEZZNS1_9scan_implILNS1_25lookback_scan_determinismE0ELb0ELb0ES3_N6thrust23THRUST_200600_302600_NS6detail15normal_iteratorINS9_10device_ptrIiEEEENSB_INSC_IfEEEEiNS9_4plusIvEEiEEDaPvRmT3_T4_T5_mT6_P12ihipStream_tbENKUlT_T0_E_clISt17integral_constantIbLb0EESW_EEDaSR_SS_EUlSR_E0_NS1_11comp_targetILNS1_3genE2ELNS1_11target_archE906ELNS1_3gpuE6ELNS1_3repE0EEENS1_30default_config_static_selectorELNS0_4arch9wavefront6targetE1EEEvT1_
		.amdhsa_group_segment_fixed_size 0
		.amdhsa_private_segment_fixed_size 0
		.amdhsa_kernarg_size 32
		.amdhsa_user_sgpr_count 6
		.amdhsa_user_sgpr_private_segment_buffer 1
		.amdhsa_user_sgpr_dispatch_ptr 0
		.amdhsa_user_sgpr_queue_ptr 0
		.amdhsa_user_sgpr_kernarg_segment_ptr 1
		.amdhsa_user_sgpr_dispatch_id 0
		.amdhsa_user_sgpr_flat_scratch_init 0
		.amdhsa_user_sgpr_kernarg_preload_length 0
		.amdhsa_user_sgpr_kernarg_preload_offset 0
		.amdhsa_user_sgpr_private_segment_size 0
		.amdhsa_uses_dynamic_stack 0
		.amdhsa_system_sgpr_private_segment_wavefront_offset 0
		.amdhsa_system_sgpr_workgroup_id_x 1
		.amdhsa_system_sgpr_workgroup_id_y 0
		.amdhsa_system_sgpr_workgroup_id_z 0
		.amdhsa_system_sgpr_workgroup_info 0
		.amdhsa_system_vgpr_workitem_id 0
		.amdhsa_next_free_vgpr 1
		.amdhsa_next_free_sgpr 0
		.amdhsa_accum_offset 4
		.amdhsa_reserve_vcc 0
		.amdhsa_reserve_flat_scratch 0
		.amdhsa_float_round_mode_32 0
		.amdhsa_float_round_mode_16_64 0
		.amdhsa_float_denorm_mode_32 3
		.amdhsa_float_denorm_mode_16_64 3
		.amdhsa_dx10_clamp 1
		.amdhsa_ieee_mode 1
		.amdhsa_fp16_overflow 0
		.amdhsa_tg_split 0
		.amdhsa_exception_fp_ieee_invalid_op 0
		.amdhsa_exception_fp_denorm_src 0
		.amdhsa_exception_fp_ieee_div_zero 0
		.amdhsa_exception_fp_ieee_overflow 0
		.amdhsa_exception_fp_ieee_underflow 0
		.amdhsa_exception_fp_ieee_inexact 0
		.amdhsa_exception_int_div_zero 0
	.end_amdhsa_kernel
	.section	.text._ZN7rocprim17ROCPRIM_400000_NS6detail17trampoline_kernelINS0_14default_configENS1_20scan_config_selectorIiEEZZNS1_9scan_implILNS1_25lookback_scan_determinismE0ELb0ELb0ES3_N6thrust23THRUST_200600_302600_NS6detail15normal_iteratorINS9_10device_ptrIiEEEENSB_INSC_IfEEEEiNS9_4plusIvEEiEEDaPvRmT3_T4_T5_mT6_P12ihipStream_tbENKUlT_T0_E_clISt17integral_constantIbLb0EESW_EEDaSR_SS_EUlSR_E0_NS1_11comp_targetILNS1_3genE2ELNS1_11target_archE906ELNS1_3gpuE6ELNS1_3repE0EEENS1_30default_config_static_selectorELNS0_4arch9wavefront6targetE1EEEvT1_,"axG",@progbits,_ZN7rocprim17ROCPRIM_400000_NS6detail17trampoline_kernelINS0_14default_configENS1_20scan_config_selectorIiEEZZNS1_9scan_implILNS1_25lookback_scan_determinismE0ELb0ELb0ES3_N6thrust23THRUST_200600_302600_NS6detail15normal_iteratorINS9_10device_ptrIiEEEENSB_INSC_IfEEEEiNS9_4plusIvEEiEEDaPvRmT3_T4_T5_mT6_P12ihipStream_tbENKUlT_T0_E_clISt17integral_constantIbLb0EESW_EEDaSR_SS_EUlSR_E0_NS1_11comp_targetILNS1_3genE2ELNS1_11target_archE906ELNS1_3gpuE6ELNS1_3repE0EEENS1_30default_config_static_selectorELNS0_4arch9wavefront6targetE1EEEvT1_,comdat
.Lfunc_end1654:
	.size	_ZN7rocprim17ROCPRIM_400000_NS6detail17trampoline_kernelINS0_14default_configENS1_20scan_config_selectorIiEEZZNS1_9scan_implILNS1_25lookback_scan_determinismE0ELb0ELb0ES3_N6thrust23THRUST_200600_302600_NS6detail15normal_iteratorINS9_10device_ptrIiEEEENSB_INSC_IfEEEEiNS9_4plusIvEEiEEDaPvRmT3_T4_T5_mT6_P12ihipStream_tbENKUlT_T0_E_clISt17integral_constantIbLb0EESW_EEDaSR_SS_EUlSR_E0_NS1_11comp_targetILNS1_3genE2ELNS1_11target_archE906ELNS1_3gpuE6ELNS1_3repE0EEENS1_30default_config_static_selectorELNS0_4arch9wavefront6targetE1EEEvT1_, .Lfunc_end1654-_ZN7rocprim17ROCPRIM_400000_NS6detail17trampoline_kernelINS0_14default_configENS1_20scan_config_selectorIiEEZZNS1_9scan_implILNS1_25lookback_scan_determinismE0ELb0ELb0ES3_N6thrust23THRUST_200600_302600_NS6detail15normal_iteratorINS9_10device_ptrIiEEEENSB_INSC_IfEEEEiNS9_4plusIvEEiEEDaPvRmT3_T4_T5_mT6_P12ihipStream_tbENKUlT_T0_E_clISt17integral_constantIbLb0EESW_EEDaSR_SS_EUlSR_E0_NS1_11comp_targetILNS1_3genE2ELNS1_11target_archE906ELNS1_3gpuE6ELNS1_3repE0EEENS1_30default_config_static_selectorELNS0_4arch9wavefront6targetE1EEEvT1_
                                        ; -- End function
	.section	.AMDGPU.csdata,"",@progbits
; Kernel info:
; codeLenInByte = 0
; NumSgprs: 4
; NumVgprs: 0
; NumAgprs: 0
; TotalNumVgprs: 0
; ScratchSize: 0
; MemoryBound: 0
; FloatMode: 240
; IeeeMode: 1
; LDSByteSize: 0 bytes/workgroup (compile time only)
; SGPRBlocks: 0
; VGPRBlocks: 0
; NumSGPRsForWavesPerEU: 4
; NumVGPRsForWavesPerEU: 1
; AccumOffset: 4
; Occupancy: 8
; WaveLimiterHint : 0
; COMPUTE_PGM_RSRC2:SCRATCH_EN: 0
; COMPUTE_PGM_RSRC2:USER_SGPR: 6
; COMPUTE_PGM_RSRC2:TRAP_HANDLER: 0
; COMPUTE_PGM_RSRC2:TGID_X_EN: 1
; COMPUTE_PGM_RSRC2:TGID_Y_EN: 0
; COMPUTE_PGM_RSRC2:TGID_Z_EN: 0
; COMPUTE_PGM_RSRC2:TIDIG_COMP_CNT: 0
; COMPUTE_PGM_RSRC3_GFX90A:ACCUM_OFFSET: 0
; COMPUTE_PGM_RSRC3_GFX90A:TG_SPLIT: 0
	.section	.text._ZN7rocprim17ROCPRIM_400000_NS6detail17trampoline_kernelINS0_14default_configENS1_20scan_config_selectorIiEEZZNS1_9scan_implILNS1_25lookback_scan_determinismE0ELb0ELb0ES3_N6thrust23THRUST_200600_302600_NS6detail15normal_iteratorINS9_10device_ptrIiEEEENSB_INSC_IfEEEEiNS9_4plusIvEEiEEDaPvRmT3_T4_T5_mT6_P12ihipStream_tbENKUlT_T0_E_clISt17integral_constantIbLb0EESW_EEDaSR_SS_EUlSR_E0_NS1_11comp_targetILNS1_3genE10ELNS1_11target_archE1201ELNS1_3gpuE5ELNS1_3repE0EEENS1_30default_config_static_selectorELNS0_4arch9wavefront6targetE1EEEvT1_,"axG",@progbits,_ZN7rocprim17ROCPRIM_400000_NS6detail17trampoline_kernelINS0_14default_configENS1_20scan_config_selectorIiEEZZNS1_9scan_implILNS1_25lookback_scan_determinismE0ELb0ELb0ES3_N6thrust23THRUST_200600_302600_NS6detail15normal_iteratorINS9_10device_ptrIiEEEENSB_INSC_IfEEEEiNS9_4plusIvEEiEEDaPvRmT3_T4_T5_mT6_P12ihipStream_tbENKUlT_T0_E_clISt17integral_constantIbLb0EESW_EEDaSR_SS_EUlSR_E0_NS1_11comp_targetILNS1_3genE10ELNS1_11target_archE1201ELNS1_3gpuE5ELNS1_3repE0EEENS1_30default_config_static_selectorELNS0_4arch9wavefront6targetE1EEEvT1_,comdat
	.protected	_ZN7rocprim17ROCPRIM_400000_NS6detail17trampoline_kernelINS0_14default_configENS1_20scan_config_selectorIiEEZZNS1_9scan_implILNS1_25lookback_scan_determinismE0ELb0ELb0ES3_N6thrust23THRUST_200600_302600_NS6detail15normal_iteratorINS9_10device_ptrIiEEEENSB_INSC_IfEEEEiNS9_4plusIvEEiEEDaPvRmT3_T4_T5_mT6_P12ihipStream_tbENKUlT_T0_E_clISt17integral_constantIbLb0EESW_EEDaSR_SS_EUlSR_E0_NS1_11comp_targetILNS1_3genE10ELNS1_11target_archE1201ELNS1_3gpuE5ELNS1_3repE0EEENS1_30default_config_static_selectorELNS0_4arch9wavefront6targetE1EEEvT1_ ; -- Begin function _ZN7rocprim17ROCPRIM_400000_NS6detail17trampoline_kernelINS0_14default_configENS1_20scan_config_selectorIiEEZZNS1_9scan_implILNS1_25lookback_scan_determinismE0ELb0ELb0ES3_N6thrust23THRUST_200600_302600_NS6detail15normal_iteratorINS9_10device_ptrIiEEEENSB_INSC_IfEEEEiNS9_4plusIvEEiEEDaPvRmT3_T4_T5_mT6_P12ihipStream_tbENKUlT_T0_E_clISt17integral_constantIbLb0EESW_EEDaSR_SS_EUlSR_E0_NS1_11comp_targetILNS1_3genE10ELNS1_11target_archE1201ELNS1_3gpuE5ELNS1_3repE0EEENS1_30default_config_static_selectorELNS0_4arch9wavefront6targetE1EEEvT1_
	.globl	_ZN7rocprim17ROCPRIM_400000_NS6detail17trampoline_kernelINS0_14default_configENS1_20scan_config_selectorIiEEZZNS1_9scan_implILNS1_25lookback_scan_determinismE0ELb0ELb0ES3_N6thrust23THRUST_200600_302600_NS6detail15normal_iteratorINS9_10device_ptrIiEEEENSB_INSC_IfEEEEiNS9_4plusIvEEiEEDaPvRmT3_T4_T5_mT6_P12ihipStream_tbENKUlT_T0_E_clISt17integral_constantIbLb0EESW_EEDaSR_SS_EUlSR_E0_NS1_11comp_targetILNS1_3genE10ELNS1_11target_archE1201ELNS1_3gpuE5ELNS1_3repE0EEENS1_30default_config_static_selectorELNS0_4arch9wavefront6targetE1EEEvT1_
	.p2align	8
	.type	_ZN7rocprim17ROCPRIM_400000_NS6detail17trampoline_kernelINS0_14default_configENS1_20scan_config_selectorIiEEZZNS1_9scan_implILNS1_25lookback_scan_determinismE0ELb0ELb0ES3_N6thrust23THRUST_200600_302600_NS6detail15normal_iteratorINS9_10device_ptrIiEEEENSB_INSC_IfEEEEiNS9_4plusIvEEiEEDaPvRmT3_T4_T5_mT6_P12ihipStream_tbENKUlT_T0_E_clISt17integral_constantIbLb0EESW_EEDaSR_SS_EUlSR_E0_NS1_11comp_targetILNS1_3genE10ELNS1_11target_archE1201ELNS1_3gpuE5ELNS1_3repE0EEENS1_30default_config_static_selectorELNS0_4arch9wavefront6targetE1EEEvT1_,@function
_ZN7rocprim17ROCPRIM_400000_NS6detail17trampoline_kernelINS0_14default_configENS1_20scan_config_selectorIiEEZZNS1_9scan_implILNS1_25lookback_scan_determinismE0ELb0ELb0ES3_N6thrust23THRUST_200600_302600_NS6detail15normal_iteratorINS9_10device_ptrIiEEEENSB_INSC_IfEEEEiNS9_4plusIvEEiEEDaPvRmT3_T4_T5_mT6_P12ihipStream_tbENKUlT_T0_E_clISt17integral_constantIbLb0EESW_EEDaSR_SS_EUlSR_E0_NS1_11comp_targetILNS1_3genE10ELNS1_11target_archE1201ELNS1_3gpuE5ELNS1_3repE0EEENS1_30default_config_static_selectorELNS0_4arch9wavefront6targetE1EEEvT1_: ; @_ZN7rocprim17ROCPRIM_400000_NS6detail17trampoline_kernelINS0_14default_configENS1_20scan_config_selectorIiEEZZNS1_9scan_implILNS1_25lookback_scan_determinismE0ELb0ELb0ES3_N6thrust23THRUST_200600_302600_NS6detail15normal_iteratorINS9_10device_ptrIiEEEENSB_INSC_IfEEEEiNS9_4plusIvEEiEEDaPvRmT3_T4_T5_mT6_P12ihipStream_tbENKUlT_T0_E_clISt17integral_constantIbLb0EESW_EEDaSR_SS_EUlSR_E0_NS1_11comp_targetILNS1_3genE10ELNS1_11target_archE1201ELNS1_3gpuE5ELNS1_3repE0EEENS1_30default_config_static_selectorELNS0_4arch9wavefront6targetE1EEEvT1_
; %bb.0:
	.section	.rodata,"a",@progbits
	.p2align	6, 0x0
	.amdhsa_kernel _ZN7rocprim17ROCPRIM_400000_NS6detail17trampoline_kernelINS0_14default_configENS1_20scan_config_selectorIiEEZZNS1_9scan_implILNS1_25lookback_scan_determinismE0ELb0ELb0ES3_N6thrust23THRUST_200600_302600_NS6detail15normal_iteratorINS9_10device_ptrIiEEEENSB_INSC_IfEEEEiNS9_4plusIvEEiEEDaPvRmT3_T4_T5_mT6_P12ihipStream_tbENKUlT_T0_E_clISt17integral_constantIbLb0EESW_EEDaSR_SS_EUlSR_E0_NS1_11comp_targetILNS1_3genE10ELNS1_11target_archE1201ELNS1_3gpuE5ELNS1_3repE0EEENS1_30default_config_static_selectorELNS0_4arch9wavefront6targetE1EEEvT1_
		.amdhsa_group_segment_fixed_size 0
		.amdhsa_private_segment_fixed_size 0
		.amdhsa_kernarg_size 32
		.amdhsa_user_sgpr_count 6
		.amdhsa_user_sgpr_private_segment_buffer 1
		.amdhsa_user_sgpr_dispatch_ptr 0
		.amdhsa_user_sgpr_queue_ptr 0
		.amdhsa_user_sgpr_kernarg_segment_ptr 1
		.amdhsa_user_sgpr_dispatch_id 0
		.amdhsa_user_sgpr_flat_scratch_init 0
		.amdhsa_user_sgpr_kernarg_preload_length 0
		.amdhsa_user_sgpr_kernarg_preload_offset 0
		.amdhsa_user_sgpr_private_segment_size 0
		.amdhsa_uses_dynamic_stack 0
		.amdhsa_system_sgpr_private_segment_wavefront_offset 0
		.amdhsa_system_sgpr_workgroup_id_x 1
		.amdhsa_system_sgpr_workgroup_id_y 0
		.amdhsa_system_sgpr_workgroup_id_z 0
		.amdhsa_system_sgpr_workgroup_info 0
		.amdhsa_system_vgpr_workitem_id 0
		.amdhsa_next_free_vgpr 1
		.amdhsa_next_free_sgpr 0
		.amdhsa_accum_offset 4
		.amdhsa_reserve_vcc 0
		.amdhsa_reserve_flat_scratch 0
		.amdhsa_float_round_mode_32 0
		.amdhsa_float_round_mode_16_64 0
		.amdhsa_float_denorm_mode_32 3
		.amdhsa_float_denorm_mode_16_64 3
		.amdhsa_dx10_clamp 1
		.amdhsa_ieee_mode 1
		.amdhsa_fp16_overflow 0
		.amdhsa_tg_split 0
		.amdhsa_exception_fp_ieee_invalid_op 0
		.amdhsa_exception_fp_denorm_src 0
		.amdhsa_exception_fp_ieee_div_zero 0
		.amdhsa_exception_fp_ieee_overflow 0
		.amdhsa_exception_fp_ieee_underflow 0
		.amdhsa_exception_fp_ieee_inexact 0
		.amdhsa_exception_int_div_zero 0
	.end_amdhsa_kernel
	.section	.text._ZN7rocprim17ROCPRIM_400000_NS6detail17trampoline_kernelINS0_14default_configENS1_20scan_config_selectorIiEEZZNS1_9scan_implILNS1_25lookback_scan_determinismE0ELb0ELb0ES3_N6thrust23THRUST_200600_302600_NS6detail15normal_iteratorINS9_10device_ptrIiEEEENSB_INSC_IfEEEEiNS9_4plusIvEEiEEDaPvRmT3_T4_T5_mT6_P12ihipStream_tbENKUlT_T0_E_clISt17integral_constantIbLb0EESW_EEDaSR_SS_EUlSR_E0_NS1_11comp_targetILNS1_3genE10ELNS1_11target_archE1201ELNS1_3gpuE5ELNS1_3repE0EEENS1_30default_config_static_selectorELNS0_4arch9wavefront6targetE1EEEvT1_,"axG",@progbits,_ZN7rocprim17ROCPRIM_400000_NS6detail17trampoline_kernelINS0_14default_configENS1_20scan_config_selectorIiEEZZNS1_9scan_implILNS1_25lookback_scan_determinismE0ELb0ELb0ES3_N6thrust23THRUST_200600_302600_NS6detail15normal_iteratorINS9_10device_ptrIiEEEENSB_INSC_IfEEEEiNS9_4plusIvEEiEEDaPvRmT3_T4_T5_mT6_P12ihipStream_tbENKUlT_T0_E_clISt17integral_constantIbLb0EESW_EEDaSR_SS_EUlSR_E0_NS1_11comp_targetILNS1_3genE10ELNS1_11target_archE1201ELNS1_3gpuE5ELNS1_3repE0EEENS1_30default_config_static_selectorELNS0_4arch9wavefront6targetE1EEEvT1_,comdat
.Lfunc_end1655:
	.size	_ZN7rocprim17ROCPRIM_400000_NS6detail17trampoline_kernelINS0_14default_configENS1_20scan_config_selectorIiEEZZNS1_9scan_implILNS1_25lookback_scan_determinismE0ELb0ELb0ES3_N6thrust23THRUST_200600_302600_NS6detail15normal_iteratorINS9_10device_ptrIiEEEENSB_INSC_IfEEEEiNS9_4plusIvEEiEEDaPvRmT3_T4_T5_mT6_P12ihipStream_tbENKUlT_T0_E_clISt17integral_constantIbLb0EESW_EEDaSR_SS_EUlSR_E0_NS1_11comp_targetILNS1_3genE10ELNS1_11target_archE1201ELNS1_3gpuE5ELNS1_3repE0EEENS1_30default_config_static_selectorELNS0_4arch9wavefront6targetE1EEEvT1_, .Lfunc_end1655-_ZN7rocprim17ROCPRIM_400000_NS6detail17trampoline_kernelINS0_14default_configENS1_20scan_config_selectorIiEEZZNS1_9scan_implILNS1_25lookback_scan_determinismE0ELb0ELb0ES3_N6thrust23THRUST_200600_302600_NS6detail15normal_iteratorINS9_10device_ptrIiEEEENSB_INSC_IfEEEEiNS9_4plusIvEEiEEDaPvRmT3_T4_T5_mT6_P12ihipStream_tbENKUlT_T0_E_clISt17integral_constantIbLb0EESW_EEDaSR_SS_EUlSR_E0_NS1_11comp_targetILNS1_3genE10ELNS1_11target_archE1201ELNS1_3gpuE5ELNS1_3repE0EEENS1_30default_config_static_selectorELNS0_4arch9wavefront6targetE1EEEvT1_
                                        ; -- End function
	.section	.AMDGPU.csdata,"",@progbits
; Kernel info:
; codeLenInByte = 0
; NumSgprs: 4
; NumVgprs: 0
; NumAgprs: 0
; TotalNumVgprs: 0
; ScratchSize: 0
; MemoryBound: 0
; FloatMode: 240
; IeeeMode: 1
; LDSByteSize: 0 bytes/workgroup (compile time only)
; SGPRBlocks: 0
; VGPRBlocks: 0
; NumSGPRsForWavesPerEU: 4
; NumVGPRsForWavesPerEU: 1
; AccumOffset: 4
; Occupancy: 8
; WaveLimiterHint : 0
; COMPUTE_PGM_RSRC2:SCRATCH_EN: 0
; COMPUTE_PGM_RSRC2:USER_SGPR: 6
; COMPUTE_PGM_RSRC2:TRAP_HANDLER: 0
; COMPUTE_PGM_RSRC2:TGID_X_EN: 1
; COMPUTE_PGM_RSRC2:TGID_Y_EN: 0
; COMPUTE_PGM_RSRC2:TGID_Z_EN: 0
; COMPUTE_PGM_RSRC2:TIDIG_COMP_CNT: 0
; COMPUTE_PGM_RSRC3_GFX90A:ACCUM_OFFSET: 0
; COMPUTE_PGM_RSRC3_GFX90A:TG_SPLIT: 0
	.section	.text._ZN7rocprim17ROCPRIM_400000_NS6detail17trampoline_kernelINS0_14default_configENS1_20scan_config_selectorIiEEZZNS1_9scan_implILNS1_25lookback_scan_determinismE0ELb0ELb0ES3_N6thrust23THRUST_200600_302600_NS6detail15normal_iteratorINS9_10device_ptrIiEEEENSB_INSC_IfEEEEiNS9_4plusIvEEiEEDaPvRmT3_T4_T5_mT6_P12ihipStream_tbENKUlT_T0_E_clISt17integral_constantIbLb0EESW_EEDaSR_SS_EUlSR_E0_NS1_11comp_targetILNS1_3genE10ELNS1_11target_archE1200ELNS1_3gpuE4ELNS1_3repE0EEENS1_30default_config_static_selectorELNS0_4arch9wavefront6targetE1EEEvT1_,"axG",@progbits,_ZN7rocprim17ROCPRIM_400000_NS6detail17trampoline_kernelINS0_14default_configENS1_20scan_config_selectorIiEEZZNS1_9scan_implILNS1_25lookback_scan_determinismE0ELb0ELb0ES3_N6thrust23THRUST_200600_302600_NS6detail15normal_iteratorINS9_10device_ptrIiEEEENSB_INSC_IfEEEEiNS9_4plusIvEEiEEDaPvRmT3_T4_T5_mT6_P12ihipStream_tbENKUlT_T0_E_clISt17integral_constantIbLb0EESW_EEDaSR_SS_EUlSR_E0_NS1_11comp_targetILNS1_3genE10ELNS1_11target_archE1200ELNS1_3gpuE4ELNS1_3repE0EEENS1_30default_config_static_selectorELNS0_4arch9wavefront6targetE1EEEvT1_,comdat
	.protected	_ZN7rocprim17ROCPRIM_400000_NS6detail17trampoline_kernelINS0_14default_configENS1_20scan_config_selectorIiEEZZNS1_9scan_implILNS1_25lookback_scan_determinismE0ELb0ELb0ES3_N6thrust23THRUST_200600_302600_NS6detail15normal_iteratorINS9_10device_ptrIiEEEENSB_INSC_IfEEEEiNS9_4plusIvEEiEEDaPvRmT3_T4_T5_mT6_P12ihipStream_tbENKUlT_T0_E_clISt17integral_constantIbLb0EESW_EEDaSR_SS_EUlSR_E0_NS1_11comp_targetILNS1_3genE10ELNS1_11target_archE1200ELNS1_3gpuE4ELNS1_3repE0EEENS1_30default_config_static_selectorELNS0_4arch9wavefront6targetE1EEEvT1_ ; -- Begin function _ZN7rocprim17ROCPRIM_400000_NS6detail17trampoline_kernelINS0_14default_configENS1_20scan_config_selectorIiEEZZNS1_9scan_implILNS1_25lookback_scan_determinismE0ELb0ELb0ES3_N6thrust23THRUST_200600_302600_NS6detail15normal_iteratorINS9_10device_ptrIiEEEENSB_INSC_IfEEEEiNS9_4plusIvEEiEEDaPvRmT3_T4_T5_mT6_P12ihipStream_tbENKUlT_T0_E_clISt17integral_constantIbLb0EESW_EEDaSR_SS_EUlSR_E0_NS1_11comp_targetILNS1_3genE10ELNS1_11target_archE1200ELNS1_3gpuE4ELNS1_3repE0EEENS1_30default_config_static_selectorELNS0_4arch9wavefront6targetE1EEEvT1_
	.globl	_ZN7rocprim17ROCPRIM_400000_NS6detail17trampoline_kernelINS0_14default_configENS1_20scan_config_selectorIiEEZZNS1_9scan_implILNS1_25lookback_scan_determinismE0ELb0ELb0ES3_N6thrust23THRUST_200600_302600_NS6detail15normal_iteratorINS9_10device_ptrIiEEEENSB_INSC_IfEEEEiNS9_4plusIvEEiEEDaPvRmT3_T4_T5_mT6_P12ihipStream_tbENKUlT_T0_E_clISt17integral_constantIbLb0EESW_EEDaSR_SS_EUlSR_E0_NS1_11comp_targetILNS1_3genE10ELNS1_11target_archE1200ELNS1_3gpuE4ELNS1_3repE0EEENS1_30default_config_static_selectorELNS0_4arch9wavefront6targetE1EEEvT1_
	.p2align	8
	.type	_ZN7rocprim17ROCPRIM_400000_NS6detail17trampoline_kernelINS0_14default_configENS1_20scan_config_selectorIiEEZZNS1_9scan_implILNS1_25lookback_scan_determinismE0ELb0ELb0ES3_N6thrust23THRUST_200600_302600_NS6detail15normal_iteratorINS9_10device_ptrIiEEEENSB_INSC_IfEEEEiNS9_4plusIvEEiEEDaPvRmT3_T4_T5_mT6_P12ihipStream_tbENKUlT_T0_E_clISt17integral_constantIbLb0EESW_EEDaSR_SS_EUlSR_E0_NS1_11comp_targetILNS1_3genE10ELNS1_11target_archE1200ELNS1_3gpuE4ELNS1_3repE0EEENS1_30default_config_static_selectorELNS0_4arch9wavefront6targetE1EEEvT1_,@function
_ZN7rocprim17ROCPRIM_400000_NS6detail17trampoline_kernelINS0_14default_configENS1_20scan_config_selectorIiEEZZNS1_9scan_implILNS1_25lookback_scan_determinismE0ELb0ELb0ES3_N6thrust23THRUST_200600_302600_NS6detail15normal_iteratorINS9_10device_ptrIiEEEENSB_INSC_IfEEEEiNS9_4plusIvEEiEEDaPvRmT3_T4_T5_mT6_P12ihipStream_tbENKUlT_T0_E_clISt17integral_constantIbLb0EESW_EEDaSR_SS_EUlSR_E0_NS1_11comp_targetILNS1_3genE10ELNS1_11target_archE1200ELNS1_3gpuE4ELNS1_3repE0EEENS1_30default_config_static_selectorELNS0_4arch9wavefront6targetE1EEEvT1_: ; @_ZN7rocprim17ROCPRIM_400000_NS6detail17trampoline_kernelINS0_14default_configENS1_20scan_config_selectorIiEEZZNS1_9scan_implILNS1_25lookback_scan_determinismE0ELb0ELb0ES3_N6thrust23THRUST_200600_302600_NS6detail15normal_iteratorINS9_10device_ptrIiEEEENSB_INSC_IfEEEEiNS9_4plusIvEEiEEDaPvRmT3_T4_T5_mT6_P12ihipStream_tbENKUlT_T0_E_clISt17integral_constantIbLb0EESW_EEDaSR_SS_EUlSR_E0_NS1_11comp_targetILNS1_3genE10ELNS1_11target_archE1200ELNS1_3gpuE4ELNS1_3repE0EEENS1_30default_config_static_selectorELNS0_4arch9wavefront6targetE1EEEvT1_
; %bb.0:
	.section	.rodata,"a",@progbits
	.p2align	6, 0x0
	.amdhsa_kernel _ZN7rocprim17ROCPRIM_400000_NS6detail17trampoline_kernelINS0_14default_configENS1_20scan_config_selectorIiEEZZNS1_9scan_implILNS1_25lookback_scan_determinismE0ELb0ELb0ES3_N6thrust23THRUST_200600_302600_NS6detail15normal_iteratorINS9_10device_ptrIiEEEENSB_INSC_IfEEEEiNS9_4plusIvEEiEEDaPvRmT3_T4_T5_mT6_P12ihipStream_tbENKUlT_T0_E_clISt17integral_constantIbLb0EESW_EEDaSR_SS_EUlSR_E0_NS1_11comp_targetILNS1_3genE10ELNS1_11target_archE1200ELNS1_3gpuE4ELNS1_3repE0EEENS1_30default_config_static_selectorELNS0_4arch9wavefront6targetE1EEEvT1_
		.amdhsa_group_segment_fixed_size 0
		.amdhsa_private_segment_fixed_size 0
		.amdhsa_kernarg_size 32
		.amdhsa_user_sgpr_count 6
		.amdhsa_user_sgpr_private_segment_buffer 1
		.amdhsa_user_sgpr_dispatch_ptr 0
		.amdhsa_user_sgpr_queue_ptr 0
		.amdhsa_user_sgpr_kernarg_segment_ptr 1
		.amdhsa_user_sgpr_dispatch_id 0
		.amdhsa_user_sgpr_flat_scratch_init 0
		.amdhsa_user_sgpr_kernarg_preload_length 0
		.amdhsa_user_sgpr_kernarg_preload_offset 0
		.amdhsa_user_sgpr_private_segment_size 0
		.amdhsa_uses_dynamic_stack 0
		.amdhsa_system_sgpr_private_segment_wavefront_offset 0
		.amdhsa_system_sgpr_workgroup_id_x 1
		.amdhsa_system_sgpr_workgroup_id_y 0
		.amdhsa_system_sgpr_workgroup_id_z 0
		.amdhsa_system_sgpr_workgroup_info 0
		.amdhsa_system_vgpr_workitem_id 0
		.amdhsa_next_free_vgpr 1
		.amdhsa_next_free_sgpr 0
		.amdhsa_accum_offset 4
		.amdhsa_reserve_vcc 0
		.amdhsa_reserve_flat_scratch 0
		.amdhsa_float_round_mode_32 0
		.amdhsa_float_round_mode_16_64 0
		.amdhsa_float_denorm_mode_32 3
		.amdhsa_float_denorm_mode_16_64 3
		.amdhsa_dx10_clamp 1
		.amdhsa_ieee_mode 1
		.amdhsa_fp16_overflow 0
		.amdhsa_tg_split 0
		.amdhsa_exception_fp_ieee_invalid_op 0
		.amdhsa_exception_fp_denorm_src 0
		.amdhsa_exception_fp_ieee_div_zero 0
		.amdhsa_exception_fp_ieee_overflow 0
		.amdhsa_exception_fp_ieee_underflow 0
		.amdhsa_exception_fp_ieee_inexact 0
		.amdhsa_exception_int_div_zero 0
	.end_amdhsa_kernel
	.section	.text._ZN7rocprim17ROCPRIM_400000_NS6detail17trampoline_kernelINS0_14default_configENS1_20scan_config_selectorIiEEZZNS1_9scan_implILNS1_25lookback_scan_determinismE0ELb0ELb0ES3_N6thrust23THRUST_200600_302600_NS6detail15normal_iteratorINS9_10device_ptrIiEEEENSB_INSC_IfEEEEiNS9_4plusIvEEiEEDaPvRmT3_T4_T5_mT6_P12ihipStream_tbENKUlT_T0_E_clISt17integral_constantIbLb0EESW_EEDaSR_SS_EUlSR_E0_NS1_11comp_targetILNS1_3genE10ELNS1_11target_archE1200ELNS1_3gpuE4ELNS1_3repE0EEENS1_30default_config_static_selectorELNS0_4arch9wavefront6targetE1EEEvT1_,"axG",@progbits,_ZN7rocprim17ROCPRIM_400000_NS6detail17trampoline_kernelINS0_14default_configENS1_20scan_config_selectorIiEEZZNS1_9scan_implILNS1_25lookback_scan_determinismE0ELb0ELb0ES3_N6thrust23THRUST_200600_302600_NS6detail15normal_iteratorINS9_10device_ptrIiEEEENSB_INSC_IfEEEEiNS9_4plusIvEEiEEDaPvRmT3_T4_T5_mT6_P12ihipStream_tbENKUlT_T0_E_clISt17integral_constantIbLb0EESW_EEDaSR_SS_EUlSR_E0_NS1_11comp_targetILNS1_3genE10ELNS1_11target_archE1200ELNS1_3gpuE4ELNS1_3repE0EEENS1_30default_config_static_selectorELNS0_4arch9wavefront6targetE1EEEvT1_,comdat
.Lfunc_end1656:
	.size	_ZN7rocprim17ROCPRIM_400000_NS6detail17trampoline_kernelINS0_14default_configENS1_20scan_config_selectorIiEEZZNS1_9scan_implILNS1_25lookback_scan_determinismE0ELb0ELb0ES3_N6thrust23THRUST_200600_302600_NS6detail15normal_iteratorINS9_10device_ptrIiEEEENSB_INSC_IfEEEEiNS9_4plusIvEEiEEDaPvRmT3_T4_T5_mT6_P12ihipStream_tbENKUlT_T0_E_clISt17integral_constantIbLb0EESW_EEDaSR_SS_EUlSR_E0_NS1_11comp_targetILNS1_3genE10ELNS1_11target_archE1200ELNS1_3gpuE4ELNS1_3repE0EEENS1_30default_config_static_selectorELNS0_4arch9wavefront6targetE1EEEvT1_, .Lfunc_end1656-_ZN7rocprim17ROCPRIM_400000_NS6detail17trampoline_kernelINS0_14default_configENS1_20scan_config_selectorIiEEZZNS1_9scan_implILNS1_25lookback_scan_determinismE0ELb0ELb0ES3_N6thrust23THRUST_200600_302600_NS6detail15normal_iteratorINS9_10device_ptrIiEEEENSB_INSC_IfEEEEiNS9_4plusIvEEiEEDaPvRmT3_T4_T5_mT6_P12ihipStream_tbENKUlT_T0_E_clISt17integral_constantIbLb0EESW_EEDaSR_SS_EUlSR_E0_NS1_11comp_targetILNS1_3genE10ELNS1_11target_archE1200ELNS1_3gpuE4ELNS1_3repE0EEENS1_30default_config_static_selectorELNS0_4arch9wavefront6targetE1EEEvT1_
                                        ; -- End function
	.section	.AMDGPU.csdata,"",@progbits
; Kernel info:
; codeLenInByte = 0
; NumSgprs: 4
; NumVgprs: 0
; NumAgprs: 0
; TotalNumVgprs: 0
; ScratchSize: 0
; MemoryBound: 0
; FloatMode: 240
; IeeeMode: 1
; LDSByteSize: 0 bytes/workgroup (compile time only)
; SGPRBlocks: 0
; VGPRBlocks: 0
; NumSGPRsForWavesPerEU: 4
; NumVGPRsForWavesPerEU: 1
; AccumOffset: 4
; Occupancy: 8
; WaveLimiterHint : 0
; COMPUTE_PGM_RSRC2:SCRATCH_EN: 0
; COMPUTE_PGM_RSRC2:USER_SGPR: 6
; COMPUTE_PGM_RSRC2:TRAP_HANDLER: 0
; COMPUTE_PGM_RSRC2:TGID_X_EN: 1
; COMPUTE_PGM_RSRC2:TGID_Y_EN: 0
; COMPUTE_PGM_RSRC2:TGID_Z_EN: 0
; COMPUTE_PGM_RSRC2:TIDIG_COMP_CNT: 0
; COMPUTE_PGM_RSRC3_GFX90A:ACCUM_OFFSET: 0
; COMPUTE_PGM_RSRC3_GFX90A:TG_SPLIT: 0
	.section	.text._ZN7rocprim17ROCPRIM_400000_NS6detail17trampoline_kernelINS0_14default_configENS1_20scan_config_selectorIiEEZZNS1_9scan_implILNS1_25lookback_scan_determinismE0ELb0ELb0ES3_N6thrust23THRUST_200600_302600_NS6detail15normal_iteratorINS9_10device_ptrIiEEEENSB_INSC_IfEEEEiNS9_4plusIvEEiEEDaPvRmT3_T4_T5_mT6_P12ihipStream_tbENKUlT_T0_E_clISt17integral_constantIbLb0EESW_EEDaSR_SS_EUlSR_E0_NS1_11comp_targetILNS1_3genE9ELNS1_11target_archE1100ELNS1_3gpuE3ELNS1_3repE0EEENS1_30default_config_static_selectorELNS0_4arch9wavefront6targetE1EEEvT1_,"axG",@progbits,_ZN7rocprim17ROCPRIM_400000_NS6detail17trampoline_kernelINS0_14default_configENS1_20scan_config_selectorIiEEZZNS1_9scan_implILNS1_25lookback_scan_determinismE0ELb0ELb0ES3_N6thrust23THRUST_200600_302600_NS6detail15normal_iteratorINS9_10device_ptrIiEEEENSB_INSC_IfEEEEiNS9_4plusIvEEiEEDaPvRmT3_T4_T5_mT6_P12ihipStream_tbENKUlT_T0_E_clISt17integral_constantIbLb0EESW_EEDaSR_SS_EUlSR_E0_NS1_11comp_targetILNS1_3genE9ELNS1_11target_archE1100ELNS1_3gpuE3ELNS1_3repE0EEENS1_30default_config_static_selectorELNS0_4arch9wavefront6targetE1EEEvT1_,comdat
	.protected	_ZN7rocprim17ROCPRIM_400000_NS6detail17trampoline_kernelINS0_14default_configENS1_20scan_config_selectorIiEEZZNS1_9scan_implILNS1_25lookback_scan_determinismE0ELb0ELb0ES3_N6thrust23THRUST_200600_302600_NS6detail15normal_iteratorINS9_10device_ptrIiEEEENSB_INSC_IfEEEEiNS9_4plusIvEEiEEDaPvRmT3_T4_T5_mT6_P12ihipStream_tbENKUlT_T0_E_clISt17integral_constantIbLb0EESW_EEDaSR_SS_EUlSR_E0_NS1_11comp_targetILNS1_3genE9ELNS1_11target_archE1100ELNS1_3gpuE3ELNS1_3repE0EEENS1_30default_config_static_selectorELNS0_4arch9wavefront6targetE1EEEvT1_ ; -- Begin function _ZN7rocprim17ROCPRIM_400000_NS6detail17trampoline_kernelINS0_14default_configENS1_20scan_config_selectorIiEEZZNS1_9scan_implILNS1_25lookback_scan_determinismE0ELb0ELb0ES3_N6thrust23THRUST_200600_302600_NS6detail15normal_iteratorINS9_10device_ptrIiEEEENSB_INSC_IfEEEEiNS9_4plusIvEEiEEDaPvRmT3_T4_T5_mT6_P12ihipStream_tbENKUlT_T0_E_clISt17integral_constantIbLb0EESW_EEDaSR_SS_EUlSR_E0_NS1_11comp_targetILNS1_3genE9ELNS1_11target_archE1100ELNS1_3gpuE3ELNS1_3repE0EEENS1_30default_config_static_selectorELNS0_4arch9wavefront6targetE1EEEvT1_
	.globl	_ZN7rocprim17ROCPRIM_400000_NS6detail17trampoline_kernelINS0_14default_configENS1_20scan_config_selectorIiEEZZNS1_9scan_implILNS1_25lookback_scan_determinismE0ELb0ELb0ES3_N6thrust23THRUST_200600_302600_NS6detail15normal_iteratorINS9_10device_ptrIiEEEENSB_INSC_IfEEEEiNS9_4plusIvEEiEEDaPvRmT3_T4_T5_mT6_P12ihipStream_tbENKUlT_T0_E_clISt17integral_constantIbLb0EESW_EEDaSR_SS_EUlSR_E0_NS1_11comp_targetILNS1_3genE9ELNS1_11target_archE1100ELNS1_3gpuE3ELNS1_3repE0EEENS1_30default_config_static_selectorELNS0_4arch9wavefront6targetE1EEEvT1_
	.p2align	8
	.type	_ZN7rocprim17ROCPRIM_400000_NS6detail17trampoline_kernelINS0_14default_configENS1_20scan_config_selectorIiEEZZNS1_9scan_implILNS1_25lookback_scan_determinismE0ELb0ELb0ES3_N6thrust23THRUST_200600_302600_NS6detail15normal_iteratorINS9_10device_ptrIiEEEENSB_INSC_IfEEEEiNS9_4plusIvEEiEEDaPvRmT3_T4_T5_mT6_P12ihipStream_tbENKUlT_T0_E_clISt17integral_constantIbLb0EESW_EEDaSR_SS_EUlSR_E0_NS1_11comp_targetILNS1_3genE9ELNS1_11target_archE1100ELNS1_3gpuE3ELNS1_3repE0EEENS1_30default_config_static_selectorELNS0_4arch9wavefront6targetE1EEEvT1_,@function
_ZN7rocprim17ROCPRIM_400000_NS6detail17trampoline_kernelINS0_14default_configENS1_20scan_config_selectorIiEEZZNS1_9scan_implILNS1_25lookback_scan_determinismE0ELb0ELb0ES3_N6thrust23THRUST_200600_302600_NS6detail15normal_iteratorINS9_10device_ptrIiEEEENSB_INSC_IfEEEEiNS9_4plusIvEEiEEDaPvRmT3_T4_T5_mT6_P12ihipStream_tbENKUlT_T0_E_clISt17integral_constantIbLb0EESW_EEDaSR_SS_EUlSR_E0_NS1_11comp_targetILNS1_3genE9ELNS1_11target_archE1100ELNS1_3gpuE3ELNS1_3repE0EEENS1_30default_config_static_selectorELNS0_4arch9wavefront6targetE1EEEvT1_: ; @_ZN7rocprim17ROCPRIM_400000_NS6detail17trampoline_kernelINS0_14default_configENS1_20scan_config_selectorIiEEZZNS1_9scan_implILNS1_25lookback_scan_determinismE0ELb0ELb0ES3_N6thrust23THRUST_200600_302600_NS6detail15normal_iteratorINS9_10device_ptrIiEEEENSB_INSC_IfEEEEiNS9_4plusIvEEiEEDaPvRmT3_T4_T5_mT6_P12ihipStream_tbENKUlT_T0_E_clISt17integral_constantIbLb0EESW_EEDaSR_SS_EUlSR_E0_NS1_11comp_targetILNS1_3genE9ELNS1_11target_archE1100ELNS1_3gpuE3ELNS1_3repE0EEENS1_30default_config_static_selectorELNS0_4arch9wavefront6targetE1EEEvT1_
; %bb.0:
	.section	.rodata,"a",@progbits
	.p2align	6, 0x0
	.amdhsa_kernel _ZN7rocprim17ROCPRIM_400000_NS6detail17trampoline_kernelINS0_14default_configENS1_20scan_config_selectorIiEEZZNS1_9scan_implILNS1_25lookback_scan_determinismE0ELb0ELb0ES3_N6thrust23THRUST_200600_302600_NS6detail15normal_iteratorINS9_10device_ptrIiEEEENSB_INSC_IfEEEEiNS9_4plusIvEEiEEDaPvRmT3_T4_T5_mT6_P12ihipStream_tbENKUlT_T0_E_clISt17integral_constantIbLb0EESW_EEDaSR_SS_EUlSR_E0_NS1_11comp_targetILNS1_3genE9ELNS1_11target_archE1100ELNS1_3gpuE3ELNS1_3repE0EEENS1_30default_config_static_selectorELNS0_4arch9wavefront6targetE1EEEvT1_
		.amdhsa_group_segment_fixed_size 0
		.amdhsa_private_segment_fixed_size 0
		.amdhsa_kernarg_size 32
		.amdhsa_user_sgpr_count 6
		.amdhsa_user_sgpr_private_segment_buffer 1
		.amdhsa_user_sgpr_dispatch_ptr 0
		.amdhsa_user_sgpr_queue_ptr 0
		.amdhsa_user_sgpr_kernarg_segment_ptr 1
		.amdhsa_user_sgpr_dispatch_id 0
		.amdhsa_user_sgpr_flat_scratch_init 0
		.amdhsa_user_sgpr_kernarg_preload_length 0
		.amdhsa_user_sgpr_kernarg_preload_offset 0
		.amdhsa_user_sgpr_private_segment_size 0
		.amdhsa_uses_dynamic_stack 0
		.amdhsa_system_sgpr_private_segment_wavefront_offset 0
		.amdhsa_system_sgpr_workgroup_id_x 1
		.amdhsa_system_sgpr_workgroup_id_y 0
		.amdhsa_system_sgpr_workgroup_id_z 0
		.amdhsa_system_sgpr_workgroup_info 0
		.amdhsa_system_vgpr_workitem_id 0
		.amdhsa_next_free_vgpr 1
		.amdhsa_next_free_sgpr 0
		.amdhsa_accum_offset 4
		.amdhsa_reserve_vcc 0
		.amdhsa_reserve_flat_scratch 0
		.amdhsa_float_round_mode_32 0
		.amdhsa_float_round_mode_16_64 0
		.amdhsa_float_denorm_mode_32 3
		.amdhsa_float_denorm_mode_16_64 3
		.amdhsa_dx10_clamp 1
		.amdhsa_ieee_mode 1
		.amdhsa_fp16_overflow 0
		.amdhsa_tg_split 0
		.amdhsa_exception_fp_ieee_invalid_op 0
		.amdhsa_exception_fp_denorm_src 0
		.amdhsa_exception_fp_ieee_div_zero 0
		.amdhsa_exception_fp_ieee_overflow 0
		.amdhsa_exception_fp_ieee_underflow 0
		.amdhsa_exception_fp_ieee_inexact 0
		.amdhsa_exception_int_div_zero 0
	.end_amdhsa_kernel
	.section	.text._ZN7rocprim17ROCPRIM_400000_NS6detail17trampoline_kernelINS0_14default_configENS1_20scan_config_selectorIiEEZZNS1_9scan_implILNS1_25lookback_scan_determinismE0ELb0ELb0ES3_N6thrust23THRUST_200600_302600_NS6detail15normal_iteratorINS9_10device_ptrIiEEEENSB_INSC_IfEEEEiNS9_4plusIvEEiEEDaPvRmT3_T4_T5_mT6_P12ihipStream_tbENKUlT_T0_E_clISt17integral_constantIbLb0EESW_EEDaSR_SS_EUlSR_E0_NS1_11comp_targetILNS1_3genE9ELNS1_11target_archE1100ELNS1_3gpuE3ELNS1_3repE0EEENS1_30default_config_static_selectorELNS0_4arch9wavefront6targetE1EEEvT1_,"axG",@progbits,_ZN7rocprim17ROCPRIM_400000_NS6detail17trampoline_kernelINS0_14default_configENS1_20scan_config_selectorIiEEZZNS1_9scan_implILNS1_25lookback_scan_determinismE0ELb0ELb0ES3_N6thrust23THRUST_200600_302600_NS6detail15normal_iteratorINS9_10device_ptrIiEEEENSB_INSC_IfEEEEiNS9_4plusIvEEiEEDaPvRmT3_T4_T5_mT6_P12ihipStream_tbENKUlT_T0_E_clISt17integral_constantIbLb0EESW_EEDaSR_SS_EUlSR_E0_NS1_11comp_targetILNS1_3genE9ELNS1_11target_archE1100ELNS1_3gpuE3ELNS1_3repE0EEENS1_30default_config_static_selectorELNS0_4arch9wavefront6targetE1EEEvT1_,comdat
.Lfunc_end1657:
	.size	_ZN7rocprim17ROCPRIM_400000_NS6detail17trampoline_kernelINS0_14default_configENS1_20scan_config_selectorIiEEZZNS1_9scan_implILNS1_25lookback_scan_determinismE0ELb0ELb0ES3_N6thrust23THRUST_200600_302600_NS6detail15normal_iteratorINS9_10device_ptrIiEEEENSB_INSC_IfEEEEiNS9_4plusIvEEiEEDaPvRmT3_T4_T5_mT6_P12ihipStream_tbENKUlT_T0_E_clISt17integral_constantIbLb0EESW_EEDaSR_SS_EUlSR_E0_NS1_11comp_targetILNS1_3genE9ELNS1_11target_archE1100ELNS1_3gpuE3ELNS1_3repE0EEENS1_30default_config_static_selectorELNS0_4arch9wavefront6targetE1EEEvT1_, .Lfunc_end1657-_ZN7rocprim17ROCPRIM_400000_NS6detail17trampoline_kernelINS0_14default_configENS1_20scan_config_selectorIiEEZZNS1_9scan_implILNS1_25lookback_scan_determinismE0ELb0ELb0ES3_N6thrust23THRUST_200600_302600_NS6detail15normal_iteratorINS9_10device_ptrIiEEEENSB_INSC_IfEEEEiNS9_4plusIvEEiEEDaPvRmT3_T4_T5_mT6_P12ihipStream_tbENKUlT_T0_E_clISt17integral_constantIbLb0EESW_EEDaSR_SS_EUlSR_E0_NS1_11comp_targetILNS1_3genE9ELNS1_11target_archE1100ELNS1_3gpuE3ELNS1_3repE0EEENS1_30default_config_static_selectorELNS0_4arch9wavefront6targetE1EEEvT1_
                                        ; -- End function
	.section	.AMDGPU.csdata,"",@progbits
; Kernel info:
; codeLenInByte = 0
; NumSgprs: 4
; NumVgprs: 0
; NumAgprs: 0
; TotalNumVgprs: 0
; ScratchSize: 0
; MemoryBound: 0
; FloatMode: 240
; IeeeMode: 1
; LDSByteSize: 0 bytes/workgroup (compile time only)
; SGPRBlocks: 0
; VGPRBlocks: 0
; NumSGPRsForWavesPerEU: 4
; NumVGPRsForWavesPerEU: 1
; AccumOffset: 4
; Occupancy: 8
; WaveLimiterHint : 0
; COMPUTE_PGM_RSRC2:SCRATCH_EN: 0
; COMPUTE_PGM_RSRC2:USER_SGPR: 6
; COMPUTE_PGM_RSRC2:TRAP_HANDLER: 0
; COMPUTE_PGM_RSRC2:TGID_X_EN: 1
; COMPUTE_PGM_RSRC2:TGID_Y_EN: 0
; COMPUTE_PGM_RSRC2:TGID_Z_EN: 0
; COMPUTE_PGM_RSRC2:TIDIG_COMP_CNT: 0
; COMPUTE_PGM_RSRC3_GFX90A:ACCUM_OFFSET: 0
; COMPUTE_PGM_RSRC3_GFX90A:TG_SPLIT: 0
	.section	.text._ZN7rocprim17ROCPRIM_400000_NS6detail17trampoline_kernelINS0_14default_configENS1_20scan_config_selectorIiEEZZNS1_9scan_implILNS1_25lookback_scan_determinismE0ELb0ELb0ES3_N6thrust23THRUST_200600_302600_NS6detail15normal_iteratorINS9_10device_ptrIiEEEENSB_INSC_IfEEEEiNS9_4plusIvEEiEEDaPvRmT3_T4_T5_mT6_P12ihipStream_tbENKUlT_T0_E_clISt17integral_constantIbLb0EESW_EEDaSR_SS_EUlSR_E0_NS1_11comp_targetILNS1_3genE8ELNS1_11target_archE1030ELNS1_3gpuE2ELNS1_3repE0EEENS1_30default_config_static_selectorELNS0_4arch9wavefront6targetE1EEEvT1_,"axG",@progbits,_ZN7rocprim17ROCPRIM_400000_NS6detail17trampoline_kernelINS0_14default_configENS1_20scan_config_selectorIiEEZZNS1_9scan_implILNS1_25lookback_scan_determinismE0ELb0ELb0ES3_N6thrust23THRUST_200600_302600_NS6detail15normal_iteratorINS9_10device_ptrIiEEEENSB_INSC_IfEEEEiNS9_4plusIvEEiEEDaPvRmT3_T4_T5_mT6_P12ihipStream_tbENKUlT_T0_E_clISt17integral_constantIbLb0EESW_EEDaSR_SS_EUlSR_E0_NS1_11comp_targetILNS1_3genE8ELNS1_11target_archE1030ELNS1_3gpuE2ELNS1_3repE0EEENS1_30default_config_static_selectorELNS0_4arch9wavefront6targetE1EEEvT1_,comdat
	.protected	_ZN7rocprim17ROCPRIM_400000_NS6detail17trampoline_kernelINS0_14default_configENS1_20scan_config_selectorIiEEZZNS1_9scan_implILNS1_25lookback_scan_determinismE0ELb0ELb0ES3_N6thrust23THRUST_200600_302600_NS6detail15normal_iteratorINS9_10device_ptrIiEEEENSB_INSC_IfEEEEiNS9_4plusIvEEiEEDaPvRmT3_T4_T5_mT6_P12ihipStream_tbENKUlT_T0_E_clISt17integral_constantIbLb0EESW_EEDaSR_SS_EUlSR_E0_NS1_11comp_targetILNS1_3genE8ELNS1_11target_archE1030ELNS1_3gpuE2ELNS1_3repE0EEENS1_30default_config_static_selectorELNS0_4arch9wavefront6targetE1EEEvT1_ ; -- Begin function _ZN7rocprim17ROCPRIM_400000_NS6detail17trampoline_kernelINS0_14default_configENS1_20scan_config_selectorIiEEZZNS1_9scan_implILNS1_25lookback_scan_determinismE0ELb0ELb0ES3_N6thrust23THRUST_200600_302600_NS6detail15normal_iteratorINS9_10device_ptrIiEEEENSB_INSC_IfEEEEiNS9_4plusIvEEiEEDaPvRmT3_T4_T5_mT6_P12ihipStream_tbENKUlT_T0_E_clISt17integral_constantIbLb0EESW_EEDaSR_SS_EUlSR_E0_NS1_11comp_targetILNS1_3genE8ELNS1_11target_archE1030ELNS1_3gpuE2ELNS1_3repE0EEENS1_30default_config_static_selectorELNS0_4arch9wavefront6targetE1EEEvT1_
	.globl	_ZN7rocprim17ROCPRIM_400000_NS6detail17trampoline_kernelINS0_14default_configENS1_20scan_config_selectorIiEEZZNS1_9scan_implILNS1_25lookback_scan_determinismE0ELb0ELb0ES3_N6thrust23THRUST_200600_302600_NS6detail15normal_iteratorINS9_10device_ptrIiEEEENSB_INSC_IfEEEEiNS9_4plusIvEEiEEDaPvRmT3_T4_T5_mT6_P12ihipStream_tbENKUlT_T0_E_clISt17integral_constantIbLb0EESW_EEDaSR_SS_EUlSR_E0_NS1_11comp_targetILNS1_3genE8ELNS1_11target_archE1030ELNS1_3gpuE2ELNS1_3repE0EEENS1_30default_config_static_selectorELNS0_4arch9wavefront6targetE1EEEvT1_
	.p2align	8
	.type	_ZN7rocprim17ROCPRIM_400000_NS6detail17trampoline_kernelINS0_14default_configENS1_20scan_config_selectorIiEEZZNS1_9scan_implILNS1_25lookback_scan_determinismE0ELb0ELb0ES3_N6thrust23THRUST_200600_302600_NS6detail15normal_iteratorINS9_10device_ptrIiEEEENSB_INSC_IfEEEEiNS9_4plusIvEEiEEDaPvRmT3_T4_T5_mT6_P12ihipStream_tbENKUlT_T0_E_clISt17integral_constantIbLb0EESW_EEDaSR_SS_EUlSR_E0_NS1_11comp_targetILNS1_3genE8ELNS1_11target_archE1030ELNS1_3gpuE2ELNS1_3repE0EEENS1_30default_config_static_selectorELNS0_4arch9wavefront6targetE1EEEvT1_,@function
_ZN7rocprim17ROCPRIM_400000_NS6detail17trampoline_kernelINS0_14default_configENS1_20scan_config_selectorIiEEZZNS1_9scan_implILNS1_25lookback_scan_determinismE0ELb0ELb0ES3_N6thrust23THRUST_200600_302600_NS6detail15normal_iteratorINS9_10device_ptrIiEEEENSB_INSC_IfEEEEiNS9_4plusIvEEiEEDaPvRmT3_T4_T5_mT6_P12ihipStream_tbENKUlT_T0_E_clISt17integral_constantIbLb0EESW_EEDaSR_SS_EUlSR_E0_NS1_11comp_targetILNS1_3genE8ELNS1_11target_archE1030ELNS1_3gpuE2ELNS1_3repE0EEENS1_30default_config_static_selectorELNS0_4arch9wavefront6targetE1EEEvT1_: ; @_ZN7rocprim17ROCPRIM_400000_NS6detail17trampoline_kernelINS0_14default_configENS1_20scan_config_selectorIiEEZZNS1_9scan_implILNS1_25lookback_scan_determinismE0ELb0ELb0ES3_N6thrust23THRUST_200600_302600_NS6detail15normal_iteratorINS9_10device_ptrIiEEEENSB_INSC_IfEEEEiNS9_4plusIvEEiEEDaPvRmT3_T4_T5_mT6_P12ihipStream_tbENKUlT_T0_E_clISt17integral_constantIbLb0EESW_EEDaSR_SS_EUlSR_E0_NS1_11comp_targetILNS1_3genE8ELNS1_11target_archE1030ELNS1_3gpuE2ELNS1_3repE0EEENS1_30default_config_static_selectorELNS0_4arch9wavefront6targetE1EEEvT1_
; %bb.0:
	.section	.rodata,"a",@progbits
	.p2align	6, 0x0
	.amdhsa_kernel _ZN7rocprim17ROCPRIM_400000_NS6detail17trampoline_kernelINS0_14default_configENS1_20scan_config_selectorIiEEZZNS1_9scan_implILNS1_25lookback_scan_determinismE0ELb0ELb0ES3_N6thrust23THRUST_200600_302600_NS6detail15normal_iteratorINS9_10device_ptrIiEEEENSB_INSC_IfEEEEiNS9_4plusIvEEiEEDaPvRmT3_T4_T5_mT6_P12ihipStream_tbENKUlT_T0_E_clISt17integral_constantIbLb0EESW_EEDaSR_SS_EUlSR_E0_NS1_11comp_targetILNS1_3genE8ELNS1_11target_archE1030ELNS1_3gpuE2ELNS1_3repE0EEENS1_30default_config_static_selectorELNS0_4arch9wavefront6targetE1EEEvT1_
		.amdhsa_group_segment_fixed_size 0
		.amdhsa_private_segment_fixed_size 0
		.amdhsa_kernarg_size 32
		.amdhsa_user_sgpr_count 6
		.amdhsa_user_sgpr_private_segment_buffer 1
		.amdhsa_user_sgpr_dispatch_ptr 0
		.amdhsa_user_sgpr_queue_ptr 0
		.amdhsa_user_sgpr_kernarg_segment_ptr 1
		.amdhsa_user_sgpr_dispatch_id 0
		.amdhsa_user_sgpr_flat_scratch_init 0
		.amdhsa_user_sgpr_kernarg_preload_length 0
		.amdhsa_user_sgpr_kernarg_preload_offset 0
		.amdhsa_user_sgpr_private_segment_size 0
		.amdhsa_uses_dynamic_stack 0
		.amdhsa_system_sgpr_private_segment_wavefront_offset 0
		.amdhsa_system_sgpr_workgroup_id_x 1
		.amdhsa_system_sgpr_workgroup_id_y 0
		.amdhsa_system_sgpr_workgroup_id_z 0
		.amdhsa_system_sgpr_workgroup_info 0
		.amdhsa_system_vgpr_workitem_id 0
		.amdhsa_next_free_vgpr 1
		.amdhsa_next_free_sgpr 0
		.amdhsa_accum_offset 4
		.amdhsa_reserve_vcc 0
		.amdhsa_reserve_flat_scratch 0
		.amdhsa_float_round_mode_32 0
		.amdhsa_float_round_mode_16_64 0
		.amdhsa_float_denorm_mode_32 3
		.amdhsa_float_denorm_mode_16_64 3
		.amdhsa_dx10_clamp 1
		.amdhsa_ieee_mode 1
		.amdhsa_fp16_overflow 0
		.amdhsa_tg_split 0
		.amdhsa_exception_fp_ieee_invalid_op 0
		.amdhsa_exception_fp_denorm_src 0
		.amdhsa_exception_fp_ieee_div_zero 0
		.amdhsa_exception_fp_ieee_overflow 0
		.amdhsa_exception_fp_ieee_underflow 0
		.amdhsa_exception_fp_ieee_inexact 0
		.amdhsa_exception_int_div_zero 0
	.end_amdhsa_kernel
	.section	.text._ZN7rocprim17ROCPRIM_400000_NS6detail17trampoline_kernelINS0_14default_configENS1_20scan_config_selectorIiEEZZNS1_9scan_implILNS1_25lookback_scan_determinismE0ELb0ELb0ES3_N6thrust23THRUST_200600_302600_NS6detail15normal_iteratorINS9_10device_ptrIiEEEENSB_INSC_IfEEEEiNS9_4plusIvEEiEEDaPvRmT3_T4_T5_mT6_P12ihipStream_tbENKUlT_T0_E_clISt17integral_constantIbLb0EESW_EEDaSR_SS_EUlSR_E0_NS1_11comp_targetILNS1_3genE8ELNS1_11target_archE1030ELNS1_3gpuE2ELNS1_3repE0EEENS1_30default_config_static_selectorELNS0_4arch9wavefront6targetE1EEEvT1_,"axG",@progbits,_ZN7rocprim17ROCPRIM_400000_NS6detail17trampoline_kernelINS0_14default_configENS1_20scan_config_selectorIiEEZZNS1_9scan_implILNS1_25lookback_scan_determinismE0ELb0ELb0ES3_N6thrust23THRUST_200600_302600_NS6detail15normal_iteratorINS9_10device_ptrIiEEEENSB_INSC_IfEEEEiNS9_4plusIvEEiEEDaPvRmT3_T4_T5_mT6_P12ihipStream_tbENKUlT_T0_E_clISt17integral_constantIbLb0EESW_EEDaSR_SS_EUlSR_E0_NS1_11comp_targetILNS1_3genE8ELNS1_11target_archE1030ELNS1_3gpuE2ELNS1_3repE0EEENS1_30default_config_static_selectorELNS0_4arch9wavefront6targetE1EEEvT1_,comdat
.Lfunc_end1658:
	.size	_ZN7rocprim17ROCPRIM_400000_NS6detail17trampoline_kernelINS0_14default_configENS1_20scan_config_selectorIiEEZZNS1_9scan_implILNS1_25lookback_scan_determinismE0ELb0ELb0ES3_N6thrust23THRUST_200600_302600_NS6detail15normal_iteratorINS9_10device_ptrIiEEEENSB_INSC_IfEEEEiNS9_4plusIvEEiEEDaPvRmT3_T4_T5_mT6_P12ihipStream_tbENKUlT_T0_E_clISt17integral_constantIbLb0EESW_EEDaSR_SS_EUlSR_E0_NS1_11comp_targetILNS1_3genE8ELNS1_11target_archE1030ELNS1_3gpuE2ELNS1_3repE0EEENS1_30default_config_static_selectorELNS0_4arch9wavefront6targetE1EEEvT1_, .Lfunc_end1658-_ZN7rocprim17ROCPRIM_400000_NS6detail17trampoline_kernelINS0_14default_configENS1_20scan_config_selectorIiEEZZNS1_9scan_implILNS1_25lookback_scan_determinismE0ELb0ELb0ES3_N6thrust23THRUST_200600_302600_NS6detail15normal_iteratorINS9_10device_ptrIiEEEENSB_INSC_IfEEEEiNS9_4plusIvEEiEEDaPvRmT3_T4_T5_mT6_P12ihipStream_tbENKUlT_T0_E_clISt17integral_constantIbLb0EESW_EEDaSR_SS_EUlSR_E0_NS1_11comp_targetILNS1_3genE8ELNS1_11target_archE1030ELNS1_3gpuE2ELNS1_3repE0EEENS1_30default_config_static_selectorELNS0_4arch9wavefront6targetE1EEEvT1_
                                        ; -- End function
	.section	.AMDGPU.csdata,"",@progbits
; Kernel info:
; codeLenInByte = 0
; NumSgprs: 4
; NumVgprs: 0
; NumAgprs: 0
; TotalNumVgprs: 0
; ScratchSize: 0
; MemoryBound: 0
; FloatMode: 240
; IeeeMode: 1
; LDSByteSize: 0 bytes/workgroup (compile time only)
; SGPRBlocks: 0
; VGPRBlocks: 0
; NumSGPRsForWavesPerEU: 4
; NumVGPRsForWavesPerEU: 1
; AccumOffset: 4
; Occupancy: 8
; WaveLimiterHint : 0
; COMPUTE_PGM_RSRC2:SCRATCH_EN: 0
; COMPUTE_PGM_RSRC2:USER_SGPR: 6
; COMPUTE_PGM_RSRC2:TRAP_HANDLER: 0
; COMPUTE_PGM_RSRC2:TGID_X_EN: 1
; COMPUTE_PGM_RSRC2:TGID_Y_EN: 0
; COMPUTE_PGM_RSRC2:TGID_Z_EN: 0
; COMPUTE_PGM_RSRC2:TIDIG_COMP_CNT: 0
; COMPUTE_PGM_RSRC3_GFX90A:ACCUM_OFFSET: 0
; COMPUTE_PGM_RSRC3_GFX90A:TG_SPLIT: 0
	.section	.text._ZN7rocprim17ROCPRIM_400000_NS6detail17trampoline_kernelINS0_14default_configENS1_20scan_config_selectorIiEEZZNS1_9scan_implILNS1_25lookback_scan_determinismE0ELb0ELb0ES3_N6thrust23THRUST_200600_302600_NS6detail15normal_iteratorINS9_10device_ptrIiEEEENSB_INSC_IfEEEEiNS9_4plusIvEEiEEDaPvRmT3_T4_T5_mT6_P12ihipStream_tbENKUlT_T0_E_clISt17integral_constantIbLb1EESW_EEDaSR_SS_EUlSR_E_NS1_11comp_targetILNS1_3genE0ELNS1_11target_archE4294967295ELNS1_3gpuE0ELNS1_3repE0EEENS1_30default_config_static_selectorELNS0_4arch9wavefront6targetE1EEEvT1_,"axG",@progbits,_ZN7rocprim17ROCPRIM_400000_NS6detail17trampoline_kernelINS0_14default_configENS1_20scan_config_selectorIiEEZZNS1_9scan_implILNS1_25lookback_scan_determinismE0ELb0ELb0ES3_N6thrust23THRUST_200600_302600_NS6detail15normal_iteratorINS9_10device_ptrIiEEEENSB_INSC_IfEEEEiNS9_4plusIvEEiEEDaPvRmT3_T4_T5_mT6_P12ihipStream_tbENKUlT_T0_E_clISt17integral_constantIbLb1EESW_EEDaSR_SS_EUlSR_E_NS1_11comp_targetILNS1_3genE0ELNS1_11target_archE4294967295ELNS1_3gpuE0ELNS1_3repE0EEENS1_30default_config_static_selectorELNS0_4arch9wavefront6targetE1EEEvT1_,comdat
	.protected	_ZN7rocprim17ROCPRIM_400000_NS6detail17trampoline_kernelINS0_14default_configENS1_20scan_config_selectorIiEEZZNS1_9scan_implILNS1_25lookback_scan_determinismE0ELb0ELb0ES3_N6thrust23THRUST_200600_302600_NS6detail15normal_iteratorINS9_10device_ptrIiEEEENSB_INSC_IfEEEEiNS9_4plusIvEEiEEDaPvRmT3_T4_T5_mT6_P12ihipStream_tbENKUlT_T0_E_clISt17integral_constantIbLb1EESW_EEDaSR_SS_EUlSR_E_NS1_11comp_targetILNS1_3genE0ELNS1_11target_archE4294967295ELNS1_3gpuE0ELNS1_3repE0EEENS1_30default_config_static_selectorELNS0_4arch9wavefront6targetE1EEEvT1_ ; -- Begin function _ZN7rocprim17ROCPRIM_400000_NS6detail17trampoline_kernelINS0_14default_configENS1_20scan_config_selectorIiEEZZNS1_9scan_implILNS1_25lookback_scan_determinismE0ELb0ELb0ES3_N6thrust23THRUST_200600_302600_NS6detail15normal_iteratorINS9_10device_ptrIiEEEENSB_INSC_IfEEEEiNS9_4plusIvEEiEEDaPvRmT3_T4_T5_mT6_P12ihipStream_tbENKUlT_T0_E_clISt17integral_constantIbLb1EESW_EEDaSR_SS_EUlSR_E_NS1_11comp_targetILNS1_3genE0ELNS1_11target_archE4294967295ELNS1_3gpuE0ELNS1_3repE0EEENS1_30default_config_static_selectorELNS0_4arch9wavefront6targetE1EEEvT1_
	.globl	_ZN7rocprim17ROCPRIM_400000_NS6detail17trampoline_kernelINS0_14default_configENS1_20scan_config_selectorIiEEZZNS1_9scan_implILNS1_25lookback_scan_determinismE0ELb0ELb0ES3_N6thrust23THRUST_200600_302600_NS6detail15normal_iteratorINS9_10device_ptrIiEEEENSB_INSC_IfEEEEiNS9_4plusIvEEiEEDaPvRmT3_T4_T5_mT6_P12ihipStream_tbENKUlT_T0_E_clISt17integral_constantIbLb1EESW_EEDaSR_SS_EUlSR_E_NS1_11comp_targetILNS1_3genE0ELNS1_11target_archE4294967295ELNS1_3gpuE0ELNS1_3repE0EEENS1_30default_config_static_selectorELNS0_4arch9wavefront6targetE1EEEvT1_
	.p2align	8
	.type	_ZN7rocprim17ROCPRIM_400000_NS6detail17trampoline_kernelINS0_14default_configENS1_20scan_config_selectorIiEEZZNS1_9scan_implILNS1_25lookback_scan_determinismE0ELb0ELb0ES3_N6thrust23THRUST_200600_302600_NS6detail15normal_iteratorINS9_10device_ptrIiEEEENSB_INSC_IfEEEEiNS9_4plusIvEEiEEDaPvRmT3_T4_T5_mT6_P12ihipStream_tbENKUlT_T0_E_clISt17integral_constantIbLb1EESW_EEDaSR_SS_EUlSR_E_NS1_11comp_targetILNS1_3genE0ELNS1_11target_archE4294967295ELNS1_3gpuE0ELNS1_3repE0EEENS1_30default_config_static_selectorELNS0_4arch9wavefront6targetE1EEEvT1_,@function
_ZN7rocprim17ROCPRIM_400000_NS6detail17trampoline_kernelINS0_14default_configENS1_20scan_config_selectorIiEEZZNS1_9scan_implILNS1_25lookback_scan_determinismE0ELb0ELb0ES3_N6thrust23THRUST_200600_302600_NS6detail15normal_iteratorINS9_10device_ptrIiEEEENSB_INSC_IfEEEEiNS9_4plusIvEEiEEDaPvRmT3_T4_T5_mT6_P12ihipStream_tbENKUlT_T0_E_clISt17integral_constantIbLb1EESW_EEDaSR_SS_EUlSR_E_NS1_11comp_targetILNS1_3genE0ELNS1_11target_archE4294967295ELNS1_3gpuE0ELNS1_3repE0EEENS1_30default_config_static_selectorELNS0_4arch9wavefront6targetE1EEEvT1_: ; @_ZN7rocprim17ROCPRIM_400000_NS6detail17trampoline_kernelINS0_14default_configENS1_20scan_config_selectorIiEEZZNS1_9scan_implILNS1_25lookback_scan_determinismE0ELb0ELb0ES3_N6thrust23THRUST_200600_302600_NS6detail15normal_iteratorINS9_10device_ptrIiEEEENSB_INSC_IfEEEEiNS9_4plusIvEEiEEDaPvRmT3_T4_T5_mT6_P12ihipStream_tbENKUlT_T0_E_clISt17integral_constantIbLb1EESW_EEDaSR_SS_EUlSR_E_NS1_11comp_targetILNS1_3genE0ELNS1_11target_archE4294967295ELNS1_3gpuE0ELNS1_3repE0EEENS1_30default_config_static_selectorELNS0_4arch9wavefront6targetE1EEEvT1_
; %bb.0:
	.section	.rodata,"a",@progbits
	.p2align	6, 0x0
	.amdhsa_kernel _ZN7rocprim17ROCPRIM_400000_NS6detail17trampoline_kernelINS0_14default_configENS1_20scan_config_selectorIiEEZZNS1_9scan_implILNS1_25lookback_scan_determinismE0ELb0ELb0ES3_N6thrust23THRUST_200600_302600_NS6detail15normal_iteratorINS9_10device_ptrIiEEEENSB_INSC_IfEEEEiNS9_4plusIvEEiEEDaPvRmT3_T4_T5_mT6_P12ihipStream_tbENKUlT_T0_E_clISt17integral_constantIbLb1EESW_EEDaSR_SS_EUlSR_E_NS1_11comp_targetILNS1_3genE0ELNS1_11target_archE4294967295ELNS1_3gpuE0ELNS1_3repE0EEENS1_30default_config_static_selectorELNS0_4arch9wavefront6targetE1EEEvT1_
		.amdhsa_group_segment_fixed_size 0
		.amdhsa_private_segment_fixed_size 0
		.amdhsa_kernarg_size 96
		.amdhsa_user_sgpr_count 6
		.amdhsa_user_sgpr_private_segment_buffer 1
		.amdhsa_user_sgpr_dispatch_ptr 0
		.amdhsa_user_sgpr_queue_ptr 0
		.amdhsa_user_sgpr_kernarg_segment_ptr 1
		.amdhsa_user_sgpr_dispatch_id 0
		.amdhsa_user_sgpr_flat_scratch_init 0
		.amdhsa_user_sgpr_kernarg_preload_length 0
		.amdhsa_user_sgpr_kernarg_preload_offset 0
		.amdhsa_user_sgpr_private_segment_size 0
		.amdhsa_uses_dynamic_stack 0
		.amdhsa_system_sgpr_private_segment_wavefront_offset 0
		.amdhsa_system_sgpr_workgroup_id_x 1
		.amdhsa_system_sgpr_workgroup_id_y 0
		.amdhsa_system_sgpr_workgroup_id_z 0
		.amdhsa_system_sgpr_workgroup_info 0
		.amdhsa_system_vgpr_workitem_id 0
		.amdhsa_next_free_vgpr 1
		.amdhsa_next_free_sgpr 0
		.amdhsa_accum_offset 4
		.amdhsa_reserve_vcc 0
		.amdhsa_reserve_flat_scratch 0
		.amdhsa_float_round_mode_32 0
		.amdhsa_float_round_mode_16_64 0
		.amdhsa_float_denorm_mode_32 3
		.amdhsa_float_denorm_mode_16_64 3
		.amdhsa_dx10_clamp 1
		.amdhsa_ieee_mode 1
		.amdhsa_fp16_overflow 0
		.amdhsa_tg_split 0
		.amdhsa_exception_fp_ieee_invalid_op 0
		.amdhsa_exception_fp_denorm_src 0
		.amdhsa_exception_fp_ieee_div_zero 0
		.amdhsa_exception_fp_ieee_overflow 0
		.amdhsa_exception_fp_ieee_underflow 0
		.amdhsa_exception_fp_ieee_inexact 0
		.amdhsa_exception_int_div_zero 0
	.end_amdhsa_kernel
	.section	.text._ZN7rocprim17ROCPRIM_400000_NS6detail17trampoline_kernelINS0_14default_configENS1_20scan_config_selectorIiEEZZNS1_9scan_implILNS1_25lookback_scan_determinismE0ELb0ELb0ES3_N6thrust23THRUST_200600_302600_NS6detail15normal_iteratorINS9_10device_ptrIiEEEENSB_INSC_IfEEEEiNS9_4plusIvEEiEEDaPvRmT3_T4_T5_mT6_P12ihipStream_tbENKUlT_T0_E_clISt17integral_constantIbLb1EESW_EEDaSR_SS_EUlSR_E_NS1_11comp_targetILNS1_3genE0ELNS1_11target_archE4294967295ELNS1_3gpuE0ELNS1_3repE0EEENS1_30default_config_static_selectorELNS0_4arch9wavefront6targetE1EEEvT1_,"axG",@progbits,_ZN7rocprim17ROCPRIM_400000_NS6detail17trampoline_kernelINS0_14default_configENS1_20scan_config_selectorIiEEZZNS1_9scan_implILNS1_25lookback_scan_determinismE0ELb0ELb0ES3_N6thrust23THRUST_200600_302600_NS6detail15normal_iteratorINS9_10device_ptrIiEEEENSB_INSC_IfEEEEiNS9_4plusIvEEiEEDaPvRmT3_T4_T5_mT6_P12ihipStream_tbENKUlT_T0_E_clISt17integral_constantIbLb1EESW_EEDaSR_SS_EUlSR_E_NS1_11comp_targetILNS1_3genE0ELNS1_11target_archE4294967295ELNS1_3gpuE0ELNS1_3repE0EEENS1_30default_config_static_selectorELNS0_4arch9wavefront6targetE1EEEvT1_,comdat
.Lfunc_end1659:
	.size	_ZN7rocprim17ROCPRIM_400000_NS6detail17trampoline_kernelINS0_14default_configENS1_20scan_config_selectorIiEEZZNS1_9scan_implILNS1_25lookback_scan_determinismE0ELb0ELb0ES3_N6thrust23THRUST_200600_302600_NS6detail15normal_iteratorINS9_10device_ptrIiEEEENSB_INSC_IfEEEEiNS9_4plusIvEEiEEDaPvRmT3_T4_T5_mT6_P12ihipStream_tbENKUlT_T0_E_clISt17integral_constantIbLb1EESW_EEDaSR_SS_EUlSR_E_NS1_11comp_targetILNS1_3genE0ELNS1_11target_archE4294967295ELNS1_3gpuE0ELNS1_3repE0EEENS1_30default_config_static_selectorELNS0_4arch9wavefront6targetE1EEEvT1_, .Lfunc_end1659-_ZN7rocprim17ROCPRIM_400000_NS6detail17trampoline_kernelINS0_14default_configENS1_20scan_config_selectorIiEEZZNS1_9scan_implILNS1_25lookback_scan_determinismE0ELb0ELb0ES3_N6thrust23THRUST_200600_302600_NS6detail15normal_iteratorINS9_10device_ptrIiEEEENSB_INSC_IfEEEEiNS9_4plusIvEEiEEDaPvRmT3_T4_T5_mT6_P12ihipStream_tbENKUlT_T0_E_clISt17integral_constantIbLb1EESW_EEDaSR_SS_EUlSR_E_NS1_11comp_targetILNS1_3genE0ELNS1_11target_archE4294967295ELNS1_3gpuE0ELNS1_3repE0EEENS1_30default_config_static_selectorELNS0_4arch9wavefront6targetE1EEEvT1_
                                        ; -- End function
	.section	.AMDGPU.csdata,"",@progbits
; Kernel info:
; codeLenInByte = 0
; NumSgprs: 4
; NumVgprs: 0
; NumAgprs: 0
; TotalNumVgprs: 0
; ScratchSize: 0
; MemoryBound: 0
; FloatMode: 240
; IeeeMode: 1
; LDSByteSize: 0 bytes/workgroup (compile time only)
; SGPRBlocks: 0
; VGPRBlocks: 0
; NumSGPRsForWavesPerEU: 4
; NumVGPRsForWavesPerEU: 1
; AccumOffset: 4
; Occupancy: 8
; WaveLimiterHint : 0
; COMPUTE_PGM_RSRC2:SCRATCH_EN: 0
; COMPUTE_PGM_RSRC2:USER_SGPR: 6
; COMPUTE_PGM_RSRC2:TRAP_HANDLER: 0
; COMPUTE_PGM_RSRC2:TGID_X_EN: 1
; COMPUTE_PGM_RSRC2:TGID_Y_EN: 0
; COMPUTE_PGM_RSRC2:TGID_Z_EN: 0
; COMPUTE_PGM_RSRC2:TIDIG_COMP_CNT: 0
; COMPUTE_PGM_RSRC3_GFX90A:ACCUM_OFFSET: 0
; COMPUTE_PGM_RSRC3_GFX90A:TG_SPLIT: 0
	.section	.text._ZN7rocprim17ROCPRIM_400000_NS6detail17trampoline_kernelINS0_14default_configENS1_20scan_config_selectorIiEEZZNS1_9scan_implILNS1_25lookback_scan_determinismE0ELb0ELb0ES3_N6thrust23THRUST_200600_302600_NS6detail15normal_iteratorINS9_10device_ptrIiEEEENSB_INSC_IfEEEEiNS9_4plusIvEEiEEDaPvRmT3_T4_T5_mT6_P12ihipStream_tbENKUlT_T0_E_clISt17integral_constantIbLb1EESW_EEDaSR_SS_EUlSR_E_NS1_11comp_targetILNS1_3genE5ELNS1_11target_archE942ELNS1_3gpuE9ELNS1_3repE0EEENS1_30default_config_static_selectorELNS0_4arch9wavefront6targetE1EEEvT1_,"axG",@progbits,_ZN7rocprim17ROCPRIM_400000_NS6detail17trampoline_kernelINS0_14default_configENS1_20scan_config_selectorIiEEZZNS1_9scan_implILNS1_25lookback_scan_determinismE0ELb0ELb0ES3_N6thrust23THRUST_200600_302600_NS6detail15normal_iteratorINS9_10device_ptrIiEEEENSB_INSC_IfEEEEiNS9_4plusIvEEiEEDaPvRmT3_T4_T5_mT6_P12ihipStream_tbENKUlT_T0_E_clISt17integral_constantIbLb1EESW_EEDaSR_SS_EUlSR_E_NS1_11comp_targetILNS1_3genE5ELNS1_11target_archE942ELNS1_3gpuE9ELNS1_3repE0EEENS1_30default_config_static_selectorELNS0_4arch9wavefront6targetE1EEEvT1_,comdat
	.protected	_ZN7rocprim17ROCPRIM_400000_NS6detail17trampoline_kernelINS0_14default_configENS1_20scan_config_selectorIiEEZZNS1_9scan_implILNS1_25lookback_scan_determinismE0ELb0ELb0ES3_N6thrust23THRUST_200600_302600_NS6detail15normal_iteratorINS9_10device_ptrIiEEEENSB_INSC_IfEEEEiNS9_4plusIvEEiEEDaPvRmT3_T4_T5_mT6_P12ihipStream_tbENKUlT_T0_E_clISt17integral_constantIbLb1EESW_EEDaSR_SS_EUlSR_E_NS1_11comp_targetILNS1_3genE5ELNS1_11target_archE942ELNS1_3gpuE9ELNS1_3repE0EEENS1_30default_config_static_selectorELNS0_4arch9wavefront6targetE1EEEvT1_ ; -- Begin function _ZN7rocprim17ROCPRIM_400000_NS6detail17trampoline_kernelINS0_14default_configENS1_20scan_config_selectorIiEEZZNS1_9scan_implILNS1_25lookback_scan_determinismE0ELb0ELb0ES3_N6thrust23THRUST_200600_302600_NS6detail15normal_iteratorINS9_10device_ptrIiEEEENSB_INSC_IfEEEEiNS9_4plusIvEEiEEDaPvRmT3_T4_T5_mT6_P12ihipStream_tbENKUlT_T0_E_clISt17integral_constantIbLb1EESW_EEDaSR_SS_EUlSR_E_NS1_11comp_targetILNS1_3genE5ELNS1_11target_archE942ELNS1_3gpuE9ELNS1_3repE0EEENS1_30default_config_static_selectorELNS0_4arch9wavefront6targetE1EEEvT1_
	.globl	_ZN7rocprim17ROCPRIM_400000_NS6detail17trampoline_kernelINS0_14default_configENS1_20scan_config_selectorIiEEZZNS1_9scan_implILNS1_25lookback_scan_determinismE0ELb0ELb0ES3_N6thrust23THRUST_200600_302600_NS6detail15normal_iteratorINS9_10device_ptrIiEEEENSB_INSC_IfEEEEiNS9_4plusIvEEiEEDaPvRmT3_T4_T5_mT6_P12ihipStream_tbENKUlT_T0_E_clISt17integral_constantIbLb1EESW_EEDaSR_SS_EUlSR_E_NS1_11comp_targetILNS1_3genE5ELNS1_11target_archE942ELNS1_3gpuE9ELNS1_3repE0EEENS1_30default_config_static_selectorELNS0_4arch9wavefront6targetE1EEEvT1_
	.p2align	8
	.type	_ZN7rocprim17ROCPRIM_400000_NS6detail17trampoline_kernelINS0_14default_configENS1_20scan_config_selectorIiEEZZNS1_9scan_implILNS1_25lookback_scan_determinismE0ELb0ELb0ES3_N6thrust23THRUST_200600_302600_NS6detail15normal_iteratorINS9_10device_ptrIiEEEENSB_INSC_IfEEEEiNS9_4plusIvEEiEEDaPvRmT3_T4_T5_mT6_P12ihipStream_tbENKUlT_T0_E_clISt17integral_constantIbLb1EESW_EEDaSR_SS_EUlSR_E_NS1_11comp_targetILNS1_3genE5ELNS1_11target_archE942ELNS1_3gpuE9ELNS1_3repE0EEENS1_30default_config_static_selectorELNS0_4arch9wavefront6targetE1EEEvT1_,@function
_ZN7rocprim17ROCPRIM_400000_NS6detail17trampoline_kernelINS0_14default_configENS1_20scan_config_selectorIiEEZZNS1_9scan_implILNS1_25lookback_scan_determinismE0ELb0ELb0ES3_N6thrust23THRUST_200600_302600_NS6detail15normal_iteratorINS9_10device_ptrIiEEEENSB_INSC_IfEEEEiNS9_4plusIvEEiEEDaPvRmT3_T4_T5_mT6_P12ihipStream_tbENKUlT_T0_E_clISt17integral_constantIbLb1EESW_EEDaSR_SS_EUlSR_E_NS1_11comp_targetILNS1_3genE5ELNS1_11target_archE942ELNS1_3gpuE9ELNS1_3repE0EEENS1_30default_config_static_selectorELNS0_4arch9wavefront6targetE1EEEvT1_: ; @_ZN7rocprim17ROCPRIM_400000_NS6detail17trampoline_kernelINS0_14default_configENS1_20scan_config_selectorIiEEZZNS1_9scan_implILNS1_25lookback_scan_determinismE0ELb0ELb0ES3_N6thrust23THRUST_200600_302600_NS6detail15normal_iteratorINS9_10device_ptrIiEEEENSB_INSC_IfEEEEiNS9_4plusIvEEiEEDaPvRmT3_T4_T5_mT6_P12ihipStream_tbENKUlT_T0_E_clISt17integral_constantIbLb1EESW_EEDaSR_SS_EUlSR_E_NS1_11comp_targetILNS1_3genE5ELNS1_11target_archE942ELNS1_3gpuE9ELNS1_3repE0EEENS1_30default_config_static_selectorELNS0_4arch9wavefront6targetE1EEEvT1_
; %bb.0:
	.section	.rodata,"a",@progbits
	.p2align	6, 0x0
	.amdhsa_kernel _ZN7rocprim17ROCPRIM_400000_NS6detail17trampoline_kernelINS0_14default_configENS1_20scan_config_selectorIiEEZZNS1_9scan_implILNS1_25lookback_scan_determinismE0ELb0ELb0ES3_N6thrust23THRUST_200600_302600_NS6detail15normal_iteratorINS9_10device_ptrIiEEEENSB_INSC_IfEEEEiNS9_4plusIvEEiEEDaPvRmT3_T4_T5_mT6_P12ihipStream_tbENKUlT_T0_E_clISt17integral_constantIbLb1EESW_EEDaSR_SS_EUlSR_E_NS1_11comp_targetILNS1_3genE5ELNS1_11target_archE942ELNS1_3gpuE9ELNS1_3repE0EEENS1_30default_config_static_selectorELNS0_4arch9wavefront6targetE1EEEvT1_
		.amdhsa_group_segment_fixed_size 0
		.amdhsa_private_segment_fixed_size 0
		.amdhsa_kernarg_size 96
		.amdhsa_user_sgpr_count 6
		.amdhsa_user_sgpr_private_segment_buffer 1
		.amdhsa_user_sgpr_dispatch_ptr 0
		.amdhsa_user_sgpr_queue_ptr 0
		.amdhsa_user_sgpr_kernarg_segment_ptr 1
		.amdhsa_user_sgpr_dispatch_id 0
		.amdhsa_user_sgpr_flat_scratch_init 0
		.amdhsa_user_sgpr_kernarg_preload_length 0
		.amdhsa_user_sgpr_kernarg_preload_offset 0
		.amdhsa_user_sgpr_private_segment_size 0
		.amdhsa_uses_dynamic_stack 0
		.amdhsa_system_sgpr_private_segment_wavefront_offset 0
		.amdhsa_system_sgpr_workgroup_id_x 1
		.amdhsa_system_sgpr_workgroup_id_y 0
		.amdhsa_system_sgpr_workgroup_id_z 0
		.amdhsa_system_sgpr_workgroup_info 0
		.amdhsa_system_vgpr_workitem_id 0
		.amdhsa_next_free_vgpr 1
		.amdhsa_next_free_sgpr 0
		.amdhsa_accum_offset 4
		.amdhsa_reserve_vcc 0
		.amdhsa_reserve_flat_scratch 0
		.amdhsa_float_round_mode_32 0
		.amdhsa_float_round_mode_16_64 0
		.amdhsa_float_denorm_mode_32 3
		.amdhsa_float_denorm_mode_16_64 3
		.amdhsa_dx10_clamp 1
		.amdhsa_ieee_mode 1
		.amdhsa_fp16_overflow 0
		.amdhsa_tg_split 0
		.amdhsa_exception_fp_ieee_invalid_op 0
		.amdhsa_exception_fp_denorm_src 0
		.amdhsa_exception_fp_ieee_div_zero 0
		.amdhsa_exception_fp_ieee_overflow 0
		.amdhsa_exception_fp_ieee_underflow 0
		.amdhsa_exception_fp_ieee_inexact 0
		.amdhsa_exception_int_div_zero 0
	.end_amdhsa_kernel
	.section	.text._ZN7rocprim17ROCPRIM_400000_NS6detail17trampoline_kernelINS0_14default_configENS1_20scan_config_selectorIiEEZZNS1_9scan_implILNS1_25lookback_scan_determinismE0ELb0ELb0ES3_N6thrust23THRUST_200600_302600_NS6detail15normal_iteratorINS9_10device_ptrIiEEEENSB_INSC_IfEEEEiNS9_4plusIvEEiEEDaPvRmT3_T4_T5_mT6_P12ihipStream_tbENKUlT_T0_E_clISt17integral_constantIbLb1EESW_EEDaSR_SS_EUlSR_E_NS1_11comp_targetILNS1_3genE5ELNS1_11target_archE942ELNS1_3gpuE9ELNS1_3repE0EEENS1_30default_config_static_selectorELNS0_4arch9wavefront6targetE1EEEvT1_,"axG",@progbits,_ZN7rocprim17ROCPRIM_400000_NS6detail17trampoline_kernelINS0_14default_configENS1_20scan_config_selectorIiEEZZNS1_9scan_implILNS1_25lookback_scan_determinismE0ELb0ELb0ES3_N6thrust23THRUST_200600_302600_NS6detail15normal_iteratorINS9_10device_ptrIiEEEENSB_INSC_IfEEEEiNS9_4plusIvEEiEEDaPvRmT3_T4_T5_mT6_P12ihipStream_tbENKUlT_T0_E_clISt17integral_constantIbLb1EESW_EEDaSR_SS_EUlSR_E_NS1_11comp_targetILNS1_3genE5ELNS1_11target_archE942ELNS1_3gpuE9ELNS1_3repE0EEENS1_30default_config_static_selectorELNS0_4arch9wavefront6targetE1EEEvT1_,comdat
.Lfunc_end1660:
	.size	_ZN7rocprim17ROCPRIM_400000_NS6detail17trampoline_kernelINS0_14default_configENS1_20scan_config_selectorIiEEZZNS1_9scan_implILNS1_25lookback_scan_determinismE0ELb0ELb0ES3_N6thrust23THRUST_200600_302600_NS6detail15normal_iteratorINS9_10device_ptrIiEEEENSB_INSC_IfEEEEiNS9_4plusIvEEiEEDaPvRmT3_T4_T5_mT6_P12ihipStream_tbENKUlT_T0_E_clISt17integral_constantIbLb1EESW_EEDaSR_SS_EUlSR_E_NS1_11comp_targetILNS1_3genE5ELNS1_11target_archE942ELNS1_3gpuE9ELNS1_3repE0EEENS1_30default_config_static_selectorELNS0_4arch9wavefront6targetE1EEEvT1_, .Lfunc_end1660-_ZN7rocprim17ROCPRIM_400000_NS6detail17trampoline_kernelINS0_14default_configENS1_20scan_config_selectorIiEEZZNS1_9scan_implILNS1_25lookback_scan_determinismE0ELb0ELb0ES3_N6thrust23THRUST_200600_302600_NS6detail15normal_iteratorINS9_10device_ptrIiEEEENSB_INSC_IfEEEEiNS9_4plusIvEEiEEDaPvRmT3_T4_T5_mT6_P12ihipStream_tbENKUlT_T0_E_clISt17integral_constantIbLb1EESW_EEDaSR_SS_EUlSR_E_NS1_11comp_targetILNS1_3genE5ELNS1_11target_archE942ELNS1_3gpuE9ELNS1_3repE0EEENS1_30default_config_static_selectorELNS0_4arch9wavefront6targetE1EEEvT1_
                                        ; -- End function
	.section	.AMDGPU.csdata,"",@progbits
; Kernel info:
; codeLenInByte = 0
; NumSgprs: 4
; NumVgprs: 0
; NumAgprs: 0
; TotalNumVgprs: 0
; ScratchSize: 0
; MemoryBound: 0
; FloatMode: 240
; IeeeMode: 1
; LDSByteSize: 0 bytes/workgroup (compile time only)
; SGPRBlocks: 0
; VGPRBlocks: 0
; NumSGPRsForWavesPerEU: 4
; NumVGPRsForWavesPerEU: 1
; AccumOffset: 4
; Occupancy: 8
; WaveLimiterHint : 0
; COMPUTE_PGM_RSRC2:SCRATCH_EN: 0
; COMPUTE_PGM_RSRC2:USER_SGPR: 6
; COMPUTE_PGM_RSRC2:TRAP_HANDLER: 0
; COMPUTE_PGM_RSRC2:TGID_X_EN: 1
; COMPUTE_PGM_RSRC2:TGID_Y_EN: 0
; COMPUTE_PGM_RSRC2:TGID_Z_EN: 0
; COMPUTE_PGM_RSRC2:TIDIG_COMP_CNT: 0
; COMPUTE_PGM_RSRC3_GFX90A:ACCUM_OFFSET: 0
; COMPUTE_PGM_RSRC3_GFX90A:TG_SPLIT: 0
	.section	.text._ZN7rocprim17ROCPRIM_400000_NS6detail17trampoline_kernelINS0_14default_configENS1_20scan_config_selectorIiEEZZNS1_9scan_implILNS1_25lookback_scan_determinismE0ELb0ELb0ES3_N6thrust23THRUST_200600_302600_NS6detail15normal_iteratorINS9_10device_ptrIiEEEENSB_INSC_IfEEEEiNS9_4plusIvEEiEEDaPvRmT3_T4_T5_mT6_P12ihipStream_tbENKUlT_T0_E_clISt17integral_constantIbLb1EESW_EEDaSR_SS_EUlSR_E_NS1_11comp_targetILNS1_3genE4ELNS1_11target_archE910ELNS1_3gpuE8ELNS1_3repE0EEENS1_30default_config_static_selectorELNS0_4arch9wavefront6targetE1EEEvT1_,"axG",@progbits,_ZN7rocprim17ROCPRIM_400000_NS6detail17trampoline_kernelINS0_14default_configENS1_20scan_config_selectorIiEEZZNS1_9scan_implILNS1_25lookback_scan_determinismE0ELb0ELb0ES3_N6thrust23THRUST_200600_302600_NS6detail15normal_iteratorINS9_10device_ptrIiEEEENSB_INSC_IfEEEEiNS9_4plusIvEEiEEDaPvRmT3_T4_T5_mT6_P12ihipStream_tbENKUlT_T0_E_clISt17integral_constantIbLb1EESW_EEDaSR_SS_EUlSR_E_NS1_11comp_targetILNS1_3genE4ELNS1_11target_archE910ELNS1_3gpuE8ELNS1_3repE0EEENS1_30default_config_static_selectorELNS0_4arch9wavefront6targetE1EEEvT1_,comdat
	.protected	_ZN7rocprim17ROCPRIM_400000_NS6detail17trampoline_kernelINS0_14default_configENS1_20scan_config_selectorIiEEZZNS1_9scan_implILNS1_25lookback_scan_determinismE0ELb0ELb0ES3_N6thrust23THRUST_200600_302600_NS6detail15normal_iteratorINS9_10device_ptrIiEEEENSB_INSC_IfEEEEiNS9_4plusIvEEiEEDaPvRmT3_T4_T5_mT6_P12ihipStream_tbENKUlT_T0_E_clISt17integral_constantIbLb1EESW_EEDaSR_SS_EUlSR_E_NS1_11comp_targetILNS1_3genE4ELNS1_11target_archE910ELNS1_3gpuE8ELNS1_3repE0EEENS1_30default_config_static_selectorELNS0_4arch9wavefront6targetE1EEEvT1_ ; -- Begin function _ZN7rocprim17ROCPRIM_400000_NS6detail17trampoline_kernelINS0_14default_configENS1_20scan_config_selectorIiEEZZNS1_9scan_implILNS1_25lookback_scan_determinismE0ELb0ELb0ES3_N6thrust23THRUST_200600_302600_NS6detail15normal_iteratorINS9_10device_ptrIiEEEENSB_INSC_IfEEEEiNS9_4plusIvEEiEEDaPvRmT3_T4_T5_mT6_P12ihipStream_tbENKUlT_T0_E_clISt17integral_constantIbLb1EESW_EEDaSR_SS_EUlSR_E_NS1_11comp_targetILNS1_3genE4ELNS1_11target_archE910ELNS1_3gpuE8ELNS1_3repE0EEENS1_30default_config_static_selectorELNS0_4arch9wavefront6targetE1EEEvT1_
	.globl	_ZN7rocprim17ROCPRIM_400000_NS6detail17trampoline_kernelINS0_14default_configENS1_20scan_config_selectorIiEEZZNS1_9scan_implILNS1_25lookback_scan_determinismE0ELb0ELb0ES3_N6thrust23THRUST_200600_302600_NS6detail15normal_iteratorINS9_10device_ptrIiEEEENSB_INSC_IfEEEEiNS9_4plusIvEEiEEDaPvRmT3_T4_T5_mT6_P12ihipStream_tbENKUlT_T0_E_clISt17integral_constantIbLb1EESW_EEDaSR_SS_EUlSR_E_NS1_11comp_targetILNS1_3genE4ELNS1_11target_archE910ELNS1_3gpuE8ELNS1_3repE0EEENS1_30default_config_static_selectorELNS0_4arch9wavefront6targetE1EEEvT1_
	.p2align	8
	.type	_ZN7rocprim17ROCPRIM_400000_NS6detail17trampoline_kernelINS0_14default_configENS1_20scan_config_selectorIiEEZZNS1_9scan_implILNS1_25lookback_scan_determinismE0ELb0ELb0ES3_N6thrust23THRUST_200600_302600_NS6detail15normal_iteratorINS9_10device_ptrIiEEEENSB_INSC_IfEEEEiNS9_4plusIvEEiEEDaPvRmT3_T4_T5_mT6_P12ihipStream_tbENKUlT_T0_E_clISt17integral_constantIbLb1EESW_EEDaSR_SS_EUlSR_E_NS1_11comp_targetILNS1_3genE4ELNS1_11target_archE910ELNS1_3gpuE8ELNS1_3repE0EEENS1_30default_config_static_selectorELNS0_4arch9wavefront6targetE1EEEvT1_,@function
_ZN7rocprim17ROCPRIM_400000_NS6detail17trampoline_kernelINS0_14default_configENS1_20scan_config_selectorIiEEZZNS1_9scan_implILNS1_25lookback_scan_determinismE0ELb0ELb0ES3_N6thrust23THRUST_200600_302600_NS6detail15normal_iteratorINS9_10device_ptrIiEEEENSB_INSC_IfEEEEiNS9_4plusIvEEiEEDaPvRmT3_T4_T5_mT6_P12ihipStream_tbENKUlT_T0_E_clISt17integral_constantIbLb1EESW_EEDaSR_SS_EUlSR_E_NS1_11comp_targetILNS1_3genE4ELNS1_11target_archE910ELNS1_3gpuE8ELNS1_3repE0EEENS1_30default_config_static_selectorELNS0_4arch9wavefront6targetE1EEEvT1_: ; @_ZN7rocprim17ROCPRIM_400000_NS6detail17trampoline_kernelINS0_14default_configENS1_20scan_config_selectorIiEEZZNS1_9scan_implILNS1_25lookback_scan_determinismE0ELb0ELb0ES3_N6thrust23THRUST_200600_302600_NS6detail15normal_iteratorINS9_10device_ptrIiEEEENSB_INSC_IfEEEEiNS9_4plusIvEEiEEDaPvRmT3_T4_T5_mT6_P12ihipStream_tbENKUlT_T0_E_clISt17integral_constantIbLb1EESW_EEDaSR_SS_EUlSR_E_NS1_11comp_targetILNS1_3genE4ELNS1_11target_archE910ELNS1_3gpuE8ELNS1_3repE0EEENS1_30default_config_static_selectorELNS0_4arch9wavefront6targetE1EEEvT1_
; %bb.0:
	s_load_dwordx2 s[6:7], s[4:5], 0x28
	v_cmp_ne_u32_e64 s[0:1], 0, v0
	v_cmp_eq_u32_e64 s[2:3], 0, v0
	s_and_saveexec_b64 s[8:9], s[2:3]
	s_cbranch_execz .LBB1661_4
; %bb.1:
	s_mov_b64 s[12:13], exec
	v_mbcnt_lo_u32_b32 v1, s12, 0
	v_mbcnt_hi_u32_b32 v1, s13, v1
	v_cmp_eq_u32_e32 vcc, 0, v1
                                        ; implicit-def: $vgpr2
	s_and_saveexec_b64 s[10:11], vcc
	s_cbranch_execz .LBB1661_3
; %bb.2:
	s_load_dwordx2 s[14:15], s[4:5], 0x58
	s_bcnt1_i32_b64 s12, s[12:13]
	v_mov_b32_e32 v2, 0
	v_mov_b32_e32 v3, s12
	s_waitcnt lgkmcnt(0)
	global_atomic_add v2, v2, v3, s[14:15] glc
.LBB1661_3:
	s_or_b64 exec, exec, s[10:11]
	s_waitcnt vmcnt(0)
	v_readfirstlane_b32 s10, v2
	v_add_u32_e32 v1, s10, v1
	v_mov_b32_e32 v2, 0
	ds_write_b32 v2, v1
.LBB1661_4:
	s_or_b64 exec, exec, s[8:9]
	s_load_dwordx8 s[16:23], s[4:5], 0x0
	s_load_dword s24, s[4:5], 0x30
	s_load_dwordx8 s[8:15], s[4:5], 0x38
	v_mov_b32_e32 v1, 0
	s_waitcnt lgkmcnt(0)
	s_barrier
	ds_read_b32 v1, v1
	s_lshl_b64 s[18:19], s[18:19], 2
	s_add_u32 s25, s16, s18
	s_addc_u32 s26, s17, s19
	s_add_i32 s16, s24, -1
	s_mul_i32 s17, s16, 0x500
	s_sub_u32 s30, s22, s17
	s_waitcnt lgkmcnt(0)
	v_readfirstlane_b32 s33, v1
	s_subb_u32 s31, s23, 0
	s_mul_i32 s4, s33, 0x500
	s_mov_b32 s5, 0
	s_cmp_lg_u32 s33, s16
	s_cselect_b64 s[16:17], -1, 0
	s_lshl_b64 s[22:23], s[4:5], 2
	s_add_u32 s24, s25, s22
	s_addc_u32 s25, s26, s23
	s_mov_b64 s[4:5], -1
	s_and_b64 vcc, exec, s[16:17]
	v_lshlrev_b32_e32 v22, 2, v0
	s_barrier
	s_cbranch_vccz .LBB1661_6
; %bb.5:
	v_mov_b32_e32 v1, s25
	v_add_co_u32_e32 v2, vcc, s24, v22
	v_addc_co_u32_e32 v3, vcc, 0, v1, vcc
	flat_load_dword v1, v[2:3]
	flat_load_dword v4, v[2:3] offset:512
	flat_load_dword v5, v[2:3] offset:1024
	;; [unrolled: 1-line block ×7, first 2 shown]
	v_add_co_u32_e32 v2, vcc, 0x1000, v2
	v_addc_co_u32_e32 v3, vcc, 0, v3, vcc
	flat_load_dword v11, v[2:3]
	flat_load_dword v12, v[2:3] offset:512
	s_mov_b64 s[4:5], 0
	s_waitcnt vmcnt(0) lgkmcnt(0)
	ds_write2st64_b32 v22, v1, v4 offset1:2
	ds_write2st64_b32 v22, v5, v6 offset0:4 offset1:6
	ds_write2st64_b32 v22, v7, v8 offset0:8 offset1:10
	;; [unrolled: 1-line block ×4, first 2 shown]
	s_waitcnt lgkmcnt(0)
	s_barrier
.LBB1661_6:
	s_andn2_b64 vcc, exec, s[4:5]
	v_cmp_gt_u32_e64 s[4:5], s30, v0
	s_cbranch_vccnz .LBB1661_28
; %bb.7:
	v_pk_mov_b32 v[2:3], s[24:25], s[24:25] op_sel:[0,1]
	flat_load_dword v1, v[2:3]
	s_waitcnt vmcnt(0) lgkmcnt(0)
	v_mov_b32_e32 v2, v1
	v_mov_b32_e32 v3, v1
	;; [unrolled: 1-line block ×9, first 2 shown]
	s_and_saveexec_b64 s[26:27], s[4:5]
	s_cbranch_execz .LBB1661_9
; %bb.8:
	v_mov_b32_e32 v11, s25
	v_add_co_u32_e32 v10, vcc, s24, v22
	v_addc_co_u32_e32 v11, vcc, 0, v11, vcc
	flat_load_dword v10, v[10:11]
.LBB1661_9:
	s_or_b64 exec, exec, s[26:27]
	v_or_b32_e32 v11, 0x80, v0
	v_cmp_gt_u32_e32 vcc, s30, v11
	s_and_saveexec_b64 s[4:5], vcc
	s_cbranch_execz .LBB1661_11
; %bb.10:
	v_mov_b32_e32 v1, s25
	v_add_co_u32_e32 v12, vcc, s24, v22
	v_addc_co_u32_e32 v13, vcc, 0, v1, vcc
	flat_load_dword v1, v[12:13] offset:512
.LBB1661_11:
	s_or_b64 exec, exec, s[4:5]
	v_or_b32_e32 v11, 0x100, v0
	v_cmp_gt_u32_e32 vcc, s30, v11
	s_and_saveexec_b64 s[4:5], vcc
	s_cbranch_execz .LBB1661_13
; %bb.12:
	v_mov_b32_e32 v2, s25
	v_add_co_u32_e32 v12, vcc, s24, v22
	v_addc_co_u32_e32 v13, vcc, 0, v2, vcc
	flat_load_dword v2, v[12:13] offset:1024
.LBB1661_13:
	;; [unrolled: 11-line block ×7, first 2 shown]
	s_or_b64 exec, exec, s[4:5]
	v_or_b32_e32 v11, 0x400, v0
	v_cmp_gt_u32_e32 vcc, s30, v11
	s_and_saveexec_b64 s[4:5], vcc
	s_cbranch_execz .LBB1661_25
; %bb.24:
	v_lshlrev_b32_e32 v8, 2, v11
	v_mov_b32_e32 v11, s25
	v_add_co_u32_e32 v12, vcc, s24, v8
	v_addc_co_u32_e32 v13, vcc, 0, v11, vcc
	flat_load_dword v8, v[12:13]
.LBB1661_25:
	s_or_b64 exec, exec, s[4:5]
	v_or_b32_e32 v11, 0x480, v0
	v_cmp_gt_u32_e32 vcc, s30, v11
	s_and_saveexec_b64 s[4:5], vcc
	s_cbranch_execz .LBB1661_27
; %bb.26:
	v_lshlrev_b32_e32 v9, 2, v11
	v_mov_b32_e32 v11, s25
	v_add_co_u32_e32 v12, vcc, s24, v9
	v_addc_co_u32_e32 v13, vcc, 0, v11, vcc
	flat_load_dword v9, v[12:13]
.LBB1661_27:
	s_or_b64 exec, exec, s[4:5]
	s_waitcnt vmcnt(0) lgkmcnt(0)
	ds_write2st64_b32 v22, v10, v1 offset1:2
	ds_write2st64_b32 v22, v2, v3 offset0:4 offset1:6
	ds_write2st64_b32 v22, v4, v5 offset0:8 offset1:10
	;; [unrolled: 1-line block ×4, first 2 shown]
	s_waitcnt lgkmcnt(0)
	s_barrier
.LBB1661_28:
	v_mul_u32_u24_e32 v23, 10, v0
	v_lshlrev_b32_e32 v1, 2, v23
	ds_read2_b64 v[2:5], v1 offset1:1
	ds_read2_b64 v[16:19], v1 offset0:2 offset1:3
	ds_read_b64 v[20:21], v1 offset:32
	s_cmp_lg_u32 s33, 0
	v_lshrrev_b32_e32 v24, 5, v0
	v_cmp_gt_u32_e32 vcc, 64, v0
	s_waitcnt lgkmcnt(0)
	s_barrier
	s_cbranch_scc0 .LBB1661_57
; %bb.29:
	v_add_u32_e32 v6, v3, v2
	v_add3_u32 v6, v6, v4, v5
	v_add3_u32 v6, v6, v16, v17
	;; [unrolled: 1-line block ×4, first 2 shown]
	v_add_lshl_u32 v7, v24, v0, 2
	ds_write_b32 v7, v6
	s_waitcnt lgkmcnt(0)
	s_barrier
	s_and_saveexec_b64 s[24:25], vcc
	s_cbranch_execz .LBB1661_31
; %bb.30:
	v_lshlrev_b32_e32 v7, 1, v0
	v_lshrrev_b32_e32 v8, 4, v0
	v_add_lshl_u32 v7, v8, v7, 2
	ds_read2_b32 v[8:9], v7 offset1:1
	v_mbcnt_lo_u32_b32 v10, -1, 0
	v_mbcnt_hi_u32_b32 v10, -1, v10
	v_and_b32_e32 v11, 15, v10
	v_cmp_ne_u32_e64 s[4:5], 0, v11
	s_waitcnt lgkmcnt(0)
	v_add_u32_e32 v9, v9, v8
	; wave barrier
	s_nop 1
	v_mov_b32_dpp v12, v9 row_shr:1 row_mask:0xf bank_mask:0xf
	v_cndmask_b32_e64 v12, 0, v12, s[4:5]
	v_add_u32_e32 v9, v12, v9
	v_cmp_lt_u32_e64 s[4:5], 1, v11
	s_nop 0
	v_mov_b32_dpp v12, v9 row_shr:2 row_mask:0xf bank_mask:0xf
	v_cndmask_b32_e64 v12, 0, v12, s[4:5]
	v_add_u32_e32 v9, v9, v12
	v_cmp_lt_u32_e64 s[4:5], 3, v11
	;; [unrolled: 5-line block ×3, first 2 shown]
	s_nop 0
	v_mov_b32_dpp v12, v9 row_shr:8 row_mask:0xf bank_mask:0xf
	v_cndmask_b32_e64 v11, 0, v12, s[4:5]
	v_add_u32_e32 v9, v9, v11
	v_bfe_i32 v12, v10, 4, 1
	v_cmp_lt_u32_e64 s[4:5], 31, v10
	v_mov_b32_dpp v11, v9 row_bcast:15 row_mask:0xf bank_mask:0xf
	v_and_b32_e32 v11, v12, v11
	v_add_u32_e32 v9, v9, v11
	v_and_b32_e32 v12, 64, v10
	s_nop 0
	v_mov_b32_dpp v11, v9 row_bcast:31 row_mask:0xf bank_mask:0xf
	v_cndmask_b32_e64 v11, 0, v11, s[4:5]
	v_add_u32_e32 v9, v9, v11
	v_add_u32_e32 v11, -1, v10
	v_cmp_lt_i32_e64 s[4:5], v11, v12
	v_cndmask_b32_e64 v10, v11, v10, s[4:5]
	v_lshlrev_b32_e32 v10, 2, v10
	ds_bpermute_b32 v9, v10, v9
	s_waitcnt lgkmcnt(0)
	v_add_u32_e32 v8, v9, v8
	v_cndmask_b32_e64 v6, v8, v6, s[2:3]
	ds_write_b32 v7, v6
	; wave barrier
	ds_read_b32 v8, v7 offset:4
	s_waitcnt lgkmcnt(0)
	v_add_u32_e32 v6, v8, v6
	ds_write_b32 v7, v6 offset:4
.LBB1661_31:
	s_or_b64 exec, exec, s[24:25]
	v_mov_b32_e32 v25, 0
	s_waitcnt lgkmcnt(0)
	s_barrier
	s_and_saveexec_b64 s[4:5], s[0:1]
	s_cbranch_execz .LBB1661_33
; %bb.32:
	v_add_u32_e32 v6, -1, v0
	v_lshrrev_b32_e32 v7, 5, v6
	v_add_lshl_u32 v6, v7, v6, 2
	ds_read_b32 v25, v6
.LBB1661_33:
	s_or_b64 exec, exec, s[4:5]
	s_and_saveexec_b64 s[24:25], vcc
	s_cbranch_execz .LBB1661_56
; %bb.34:
	v_mov_b32_e32 v15, 0
	ds_read_b32 v6, v15 offset:520
	v_mbcnt_lo_u32_b32 v7, -1, 0
	v_mbcnt_hi_u32_b32 v9, -1, v7
	s_mov_b32 s29, 0
	v_cmp_eq_u32_e64 s[4:5], 0, v9
	s_and_saveexec_b64 s[26:27], s[4:5]
	s_cbranch_execz .LBB1661_36
; %bb.35:
	s_add_i32 s28, s33, 64
	s_lshl_b64 s[28:29], s[28:29], 3
	s_add_u32 s28, s6, s28
	v_mov_b32_e32 v7, 1
	s_addc_u32 s29, s7, s29
	s_waitcnt lgkmcnt(0)
	global_store_dwordx2 v15, v[6:7], s[28:29]
.LBB1661_36:
	s_or_b64 exec, exec, s[26:27]
	v_xad_u32 v8, v9, -1, s33
	v_add_u32_e32 v14, 64, v8
	v_lshlrev_b64 v[10:11], 3, v[14:15]
	v_mov_b32_e32 v7, s7
	v_add_co_u32_e32 v10, vcc, s6, v10
	v_addc_co_u32_e32 v11, vcc, v7, v11, vcc
	global_load_dwordx2 v[12:13], v[10:11], off glc
	s_waitcnt vmcnt(0)
	v_cmp_eq_u16_sdwa s[28:29], v13, v15 src0_sel:BYTE_0 src1_sel:DWORD
	s_and_saveexec_b64 s[26:27], s[28:29]
	s_cbranch_execz .LBB1661_42
; %bb.37:
	s_mov_b32 s34, 1
	s_mov_b64 s[28:29], 0
	v_mov_b32_e32 v7, 0
.LBB1661_38:                            ; =>This Loop Header: Depth=1
                                        ;     Child Loop BB1661_39 Depth 2
	s_max_u32 s35, s34, 1
.LBB1661_39:                            ;   Parent Loop BB1661_38 Depth=1
                                        ; =>  This Inner Loop Header: Depth=2
	s_add_i32 s35, s35, -1
	s_cmp_eq_u32 s35, 0
	s_sleep 1
	s_cbranch_scc0 .LBB1661_39
; %bb.40:                               ;   in Loop: Header=BB1661_38 Depth=1
	global_load_dwordx2 v[12:13], v[10:11], off glc
	s_cmp_lt_u32 s34, 32
	s_cselect_b64 s[36:37], -1, 0
	s_cmp_lg_u64 s[36:37], 0
	s_addc_u32 s34, s34, 0
	s_waitcnt vmcnt(0)
	v_cmp_ne_u16_sdwa s[36:37], v13, v7 src0_sel:BYTE_0 src1_sel:DWORD
	s_or_b64 s[28:29], s[36:37], s[28:29]
	s_andn2_b64 exec, exec, s[28:29]
	s_cbranch_execnz .LBB1661_38
; %bb.41:
	s_or_b64 exec, exec, s[28:29]
.LBB1661_42:
	s_or_b64 exec, exec, s[26:27]
	v_and_b32_e32 v26, 63, v9
	v_mov_b32_e32 v7, 2
	v_cmp_ne_u32_e32 vcc, 63, v26
	v_cmp_eq_u16_sdwa s[26:27], v13, v7 src0_sel:BYTE_0 src1_sel:DWORD
	v_lshlrev_b64 v[10:11], v9, -1
	v_addc_co_u32_e32 v27, vcc, 0, v9, vcc
	v_and_b32_e32 v14, s27, v11
	v_lshlrev_b32_e32 v27, 2, v27
	v_or_b32_e32 v14, 0x80000000, v14
	ds_bpermute_b32 v28, v27, v12
	v_and_b32_e32 v15, s26, v10
	v_ffbl_b32_e32 v14, v14
	v_add_u32_e32 v14, 32, v14
	v_ffbl_b32_e32 v15, v15
	v_min_u32_e32 v14, v15, v14
	v_cmp_lt_u32_e32 vcc, v26, v14
	s_waitcnt lgkmcnt(0)
	v_cndmask_b32_e32 v15, 0, v28, vcc
	v_cmp_gt_u32_e32 vcc, 62, v26
	v_add_u32_e32 v12, v15, v12
	v_cndmask_b32_e64 v15, 0, 1, vcc
	v_lshlrev_b32_e32 v15, 1, v15
	v_add_lshl_u32 v28, v15, v9, 2
	ds_bpermute_b32 v15, v28, v12
	v_add_u32_e32 v29, 2, v26
	v_cmp_le_u32_e32 vcc, v29, v14
	v_add_u32_e32 v31, 4, v26
	v_add_u32_e32 v33, 8, v26
	s_waitcnt lgkmcnt(0)
	v_cndmask_b32_e32 v15, 0, v15, vcc
	v_cmp_gt_u32_e32 vcc, 60, v26
	v_add_u32_e32 v12, v12, v15
	v_cndmask_b32_e64 v15, 0, 1, vcc
	v_lshlrev_b32_e32 v15, 2, v15
	v_add_lshl_u32 v30, v15, v9, 2
	ds_bpermute_b32 v15, v30, v12
	v_cmp_le_u32_e32 vcc, v31, v14
	v_add_u32_e32 v36, 16, v26
	v_add_u32_e32 v38, 32, v26
	s_waitcnt lgkmcnt(0)
	v_cndmask_b32_e32 v15, 0, v15, vcc
	v_cmp_gt_u32_e32 vcc, 56, v26
	v_add_u32_e32 v12, v12, v15
	v_cndmask_b32_e64 v15, 0, 1, vcc
	v_lshlrev_b32_e32 v15, 3, v15
	v_add_lshl_u32 v32, v15, v9, 2
	ds_bpermute_b32 v15, v32, v12
	v_cmp_le_u32_e32 vcc, v33, v14
	s_waitcnt lgkmcnt(0)
	v_cndmask_b32_e32 v15, 0, v15, vcc
	v_cmp_gt_u32_e32 vcc, 48, v26
	v_add_u32_e32 v12, v12, v15
	v_cndmask_b32_e64 v15, 0, 1, vcc
	v_lshlrev_b32_e32 v15, 4, v15
	v_add_lshl_u32 v35, v15, v9, 2
	ds_bpermute_b32 v15, v35, v12
	v_cmp_le_u32_e32 vcc, v36, v14
	;; [unrolled: 9-line block ×3, first 2 shown]
	s_waitcnt lgkmcnt(0)
	v_cndmask_b32_e32 v9, 0, v9, vcc
	v_add_u32_e32 v12, v12, v9
	v_mov_b32_e32 v9, 0
	s_branch .LBB1661_44
.LBB1661_43:                            ;   in Loop: Header=BB1661_44 Depth=1
	s_or_b64 exec, exec, s[26:27]
	v_cmp_eq_u16_sdwa s[26:27], v13, v7 src0_sel:BYTE_0 src1_sel:DWORD
	v_and_b32_e32 v14, s27, v11
	v_or_b32_e32 v14, 0x80000000, v14
	ds_bpermute_b32 v39, v27, v12
	v_and_b32_e32 v15, s26, v10
	v_ffbl_b32_e32 v14, v14
	v_add_u32_e32 v14, 32, v14
	v_ffbl_b32_e32 v15, v15
	v_min_u32_e32 v14, v15, v14
	v_cmp_lt_u32_e32 vcc, v26, v14
	s_waitcnt lgkmcnt(0)
	v_cndmask_b32_e32 v15, 0, v39, vcc
	v_add_u32_e32 v12, v15, v12
	ds_bpermute_b32 v15, v28, v12
	v_cmp_le_u32_e32 vcc, v29, v14
	v_subrev_u32_e32 v8, 64, v8
	s_waitcnt lgkmcnt(0)
	v_cndmask_b32_e32 v15, 0, v15, vcc
	v_add_u32_e32 v12, v12, v15
	ds_bpermute_b32 v15, v30, v12
	v_cmp_le_u32_e32 vcc, v31, v14
	s_waitcnt lgkmcnt(0)
	v_cndmask_b32_e32 v15, 0, v15, vcc
	v_add_u32_e32 v12, v12, v15
	ds_bpermute_b32 v15, v32, v12
	v_cmp_le_u32_e32 vcc, v33, v14
	;; [unrolled: 5-line block ×4, first 2 shown]
	s_waitcnt lgkmcnt(0)
	v_cndmask_b32_e32 v14, 0, v15, vcc
	v_add3_u32 v12, v14, v34, v12
.LBB1661_44:                            ; =>This Loop Header: Depth=1
                                        ;     Child Loop BB1661_47 Depth 2
                                        ;       Child Loop BB1661_48 Depth 3
	v_cmp_ne_u16_sdwa s[26:27], v13, v7 src0_sel:BYTE_0 src1_sel:DWORD
	v_cndmask_b32_e64 v13, 0, 1, s[26:27]
	;;#ASMSTART
	;;#ASMEND
	v_cmp_ne_u32_e32 vcc, 0, v13
	s_cmp_lg_u64 vcc, exec
	v_mov_b32_e32 v34, v12
	s_cbranch_scc1 .LBB1661_51
; %bb.45:                               ;   in Loop: Header=BB1661_44 Depth=1
	v_lshlrev_b64 v[12:13], 3, v[8:9]
	v_mov_b32_e32 v15, s7
	v_add_co_u32_e32 v14, vcc, s6, v12
	v_addc_co_u32_e32 v15, vcc, v15, v13, vcc
	global_load_dwordx2 v[12:13], v[14:15], off glc
	s_waitcnt vmcnt(0)
	v_cmp_eq_u16_sdwa s[28:29], v13, v9 src0_sel:BYTE_0 src1_sel:DWORD
	s_and_saveexec_b64 s[26:27], s[28:29]
	s_cbranch_execz .LBB1661_43
; %bb.46:                               ;   in Loop: Header=BB1661_44 Depth=1
	s_mov_b32 s34, 1
	s_mov_b64 s[28:29], 0
.LBB1661_47:                            ;   Parent Loop BB1661_44 Depth=1
                                        ; =>  This Loop Header: Depth=2
                                        ;       Child Loop BB1661_48 Depth 3
	s_max_u32 s35, s34, 1
.LBB1661_48:                            ;   Parent Loop BB1661_44 Depth=1
                                        ;     Parent Loop BB1661_47 Depth=2
                                        ; =>    This Inner Loop Header: Depth=3
	s_add_i32 s35, s35, -1
	s_cmp_eq_u32 s35, 0
	s_sleep 1
	s_cbranch_scc0 .LBB1661_48
; %bb.49:                               ;   in Loop: Header=BB1661_47 Depth=2
	global_load_dwordx2 v[12:13], v[14:15], off glc
	s_cmp_lt_u32 s34, 32
	s_cselect_b64 s[36:37], -1, 0
	s_cmp_lg_u64 s[36:37], 0
	s_addc_u32 s34, s34, 0
	s_waitcnt vmcnt(0)
	v_cmp_ne_u16_sdwa s[36:37], v13, v9 src0_sel:BYTE_0 src1_sel:DWORD
	s_or_b64 s[28:29], s[36:37], s[28:29]
	s_andn2_b64 exec, exec, s[28:29]
	s_cbranch_execnz .LBB1661_47
; %bb.50:                               ;   in Loop: Header=BB1661_44 Depth=1
	s_or_b64 exec, exec, s[28:29]
	s_branch .LBB1661_43
.LBB1661_51:                            ;   in Loop: Header=BB1661_44 Depth=1
                                        ; implicit-def: $vgpr12
                                        ; implicit-def: $vgpr13
	s_cbranch_execz .LBB1661_44
; %bb.52:
	s_and_saveexec_b64 s[26:27], s[4:5]
	s_cbranch_execz .LBB1661_54
; %bb.53:
	s_add_i32 s4, s33, 64
	s_mov_b32 s5, 0
	s_lshl_b64 s[4:5], s[4:5], 3
	s_add_u32 s4, s6, s4
	v_add_u32_e32 v6, v34, v6
	v_mov_b32_e32 v7, 2
	s_addc_u32 s5, s7, s5
	v_mov_b32_e32 v8, 0
	global_store_dwordx2 v8, v[6:7], s[4:5]
.LBB1661_54:
	s_or_b64 exec, exec, s[26:27]
	s_and_b64 exec, exec, s[2:3]
	s_cbranch_execz .LBB1661_56
; %bb.55:
	v_mov_b32_e32 v6, 0
	ds_write_b32 v6, v34
.LBB1661_56:
	s_or_b64 exec, exec, s[24:25]
	v_mov_b32_e32 v6, 0
	s_waitcnt lgkmcnt(0)
	s_barrier
	ds_read_b32 v6, v6
	s_waitcnt lgkmcnt(0)
	v_add3_u32 v6, v25, v2, v6
	v_add_u32_e32 v7, v6, v3
	v_add_u32_e32 v8, v7, v4
	;; [unrolled: 1-line block ×9, first 2 shown]
	s_branch .LBB1661_69
.LBB1661_57:
                                        ; implicit-def: $vgpr6_vgpr7_vgpr8_vgpr9_vgpr10_vgpr11_vgpr12_vgpr13_vgpr14_vgpr15
	s_cbranch_execz .LBB1661_69
; %bb.58:
	s_cmp_lg_u64 s[12:13], 0
	s_cselect_b64 s[4:5], -1, 0
	s_and_b64 s[12:13], s[2:3], s[4:5]
	v_mov_b32_e32 v12, v3
	v_mov_b32_e32 v13, v4
	;; [unrolled: 1-line block ×3, first 2 shown]
	s_and_saveexec_b64 s[4:5], s[12:13]
	s_cbranch_execz .LBB1661_60
; %bb.59:
	v_mov_b32_e32 v6, 0
	global_load_dword v6, v6, s[8:9]
	v_mov_b32_e32 v12, v3
	v_mov_b32_e32 v13, v4
	;; [unrolled: 1-line block ×3, first 2 shown]
	s_waitcnt vmcnt(0)
	v_add_u32_e32 v2, v6, v2
.LBB1661_60:
	s_or_b64 exec, exec, s[4:5]
	v_add_u32_e32 v3, v12, v2
	v_add_u32_e32 v4, v3, v13
	;; [unrolled: 1-line block ×9, first 2 shown]
	v_add_lshl_u32 v15, v24, v0, 2
	v_cmp_gt_u32_e32 vcc, 64, v0
	ds_write_b32 v15, v11
	s_waitcnt lgkmcnt(0)
	s_barrier
	s_and_saveexec_b64 s[4:5], vcc
	s_cbranch_execz .LBB1661_62
; %bb.61:
	v_lshlrev_b32_e32 v15, 1, v0
	v_lshrrev_b32_e32 v24, 4, v0
	v_add_lshl_u32 v15, v24, v15, 2
	ds_read2_b32 v[24:25], v15 offset1:1
	v_mbcnt_lo_u32_b32 v26, -1, 0
	v_mbcnt_hi_u32_b32 v26, -1, v26
	v_and_b32_e32 v27, 15, v26
	v_cmp_ne_u32_e32 vcc, 0, v27
	s_waitcnt lgkmcnt(0)
	v_add_u32_e32 v25, v25, v24
	; wave barrier
	s_nop 1
	v_mov_b32_dpp v28, v25 row_shr:1 row_mask:0xf bank_mask:0xf
	v_cndmask_b32_e32 v28, 0, v28, vcc
	v_add_u32_e32 v25, v28, v25
	v_cmp_lt_u32_e32 vcc, 1, v27
	s_nop 0
	v_mov_b32_dpp v28, v25 row_shr:2 row_mask:0xf bank_mask:0xf
	v_cndmask_b32_e32 v28, 0, v28, vcc
	v_add_u32_e32 v25, v25, v28
	v_cmp_lt_u32_e32 vcc, 3, v27
	;; [unrolled: 5-line block ×3, first 2 shown]
	s_nop 0
	v_mov_b32_dpp v28, v25 row_shr:8 row_mask:0xf bank_mask:0xf
	v_cndmask_b32_e32 v27, 0, v28, vcc
	v_add_u32_e32 v25, v25, v27
	v_bfe_i32 v28, v26, 4, 1
	v_cmp_lt_u32_e32 vcc, 31, v26
	v_mov_b32_dpp v27, v25 row_bcast:15 row_mask:0xf bank_mask:0xf
	v_and_b32_e32 v27, v28, v27
	v_add_u32_e32 v25, v25, v27
	v_and_b32_e32 v28, 64, v26
	s_nop 0
	v_mov_b32_dpp v27, v25 row_bcast:31 row_mask:0xf bank_mask:0xf
	v_cndmask_b32_e32 v27, 0, v27, vcc
	v_add_u32_e32 v25, v25, v27
	v_add_u32_e32 v27, -1, v26
	v_cmp_lt_i32_e32 vcc, v27, v28
	v_cndmask_b32_e32 v26, v27, v26, vcc
	v_lshlrev_b32_e32 v26, 2, v26
	ds_bpermute_b32 v25, v26, v25
	s_waitcnt lgkmcnt(0)
	v_add_u32_e32 v24, v25, v24
	v_cndmask_b32_e64 v24, v24, v11, s[2:3]
	ds_write_b32 v15, v24
	; wave barrier
	ds_read_b32 v25, v15 offset:4
	s_waitcnt lgkmcnt(0)
	v_add_u32_e32 v24, v25, v24
	ds_write_b32 v15, v24 offset:4
.LBB1661_62:
	s_or_b64 exec, exec, s[4:5]
	v_mov_b32_e32 v15, v11
	s_waitcnt lgkmcnt(0)
	s_barrier
	s_and_saveexec_b64 s[2:3], s[0:1]
	s_cbranch_execz .LBB1661_64
; %bb.63:
	v_add_u32_e32 v15, -1, v0
	v_lshrrev_b32_e32 v24, 5, v15
	v_add_lshl_u32 v15, v24, v15, 2
	ds_read_b32 v15, v15
.LBB1661_64:
	s_or_b64 exec, exec, s[2:3]
	s_and_saveexec_b64 s[2:3], s[0:1]
	s_cbranch_execz .LBB1661_66
; %bb.65:
	s_waitcnt lgkmcnt(0)
	v_add_u32_e32 v2, v15, v2
	v_add_u32_e32 v3, v2, v12
	;; [unrolled: 1-line block ×10, first 2 shown]
	;;#ASMSTART
	;;#ASMEND
.LBB1661_66:
	s_or_b64 exec, exec, s[2:3]
	s_movk_i32 s0, 0x7f
	v_cmp_eq_u32_e32 vcc, s0, v0
	s_and_saveexec_b64 s[0:1], vcc
	s_cbranch_execz .LBB1661_68
; %bb.67:
	v_mov_b32_e32 v14, 0
	v_mov_b32_e32 v13, 2
	;; [unrolled: 1-line block ×3, first 2 shown]
	global_store_dwordx2 v14, v[12:13], s[6:7] offset:512
.LBB1661_68:
	s_or_b64 exec, exec, s[0:1]
	s_waitcnt lgkmcnt(0)
	v_pk_mov_b32 v[14:15], v[10:11], v[10:11] op_sel:[0,1]
	v_pk_mov_b32 v[12:13], v[8:9], v[8:9] op_sel:[0,1]
	;; [unrolled: 1-line block ×5, first 2 shown]
.LBB1661_69:
	s_add_u32 s0, s20, s18
	s_addc_u32 s1, s21, s19
	s_add_u32 s2, s0, s22
	s_addc_u32 s3, s1, s23
	s_mov_b64 s[0:1], -1
	s_and_b64 vcc, exec, s[16:17]
	s_barrier
	s_cbranch_vccz .LBB1661_71
; %bb.70:
	ds_write2_b64 v1, v[6:7], v[8:9] offset1:1
	ds_write2_b64 v1, v[10:11], v[12:13] offset0:2 offset1:3
	ds_write_b64 v1, v[14:15] offset:32
	s_waitcnt lgkmcnt(0)
	s_barrier
	ds_read2st64_b32 v[2:3], v22 offset1:2
	ds_read2st64_b32 v[4:5], v22 offset0:4 offset1:6
	ds_read2st64_b32 v[16:17], v22 offset0:8 offset1:10
	;; [unrolled: 1-line block ×4, first 2 shown]
	s_waitcnt lgkmcnt(4)
	v_cvt_f32_i32_e32 v2, v2
	v_cvt_f32_i32_e32 v3, v3
	v_mov_b32_e32 v25, s3
	v_add_co_u32_e32 v24, vcc, s2, v22
	s_waitcnt lgkmcnt(3)
	v_cvt_f32_i32_e32 v4, v4
	v_addc_co_u32_e32 v25, vcc, 0, v25, vcc
	v_cvt_f32_i32_e32 v5, v5
	flat_store_dword v[24:25], v2
	flat_store_dword v[24:25], v3 offset:512
	flat_store_dword v[24:25], v4 offset:1024
	;; [unrolled: 1-line block ×3, first 2 shown]
	s_waitcnt lgkmcnt(0)
	v_cvt_f32_i32_e32 v2, v16
	v_cvt_f32_i32_e32 v3, v17
	;; [unrolled: 1-line block ×4, first 2 shown]
	flat_store_dword v[24:25], v2 offset:2048
	flat_store_dword v[24:25], v3 offset:2560
	;; [unrolled: 1-line block ×4, first 2 shown]
	v_cvt_f32_i32_e32 v4, v20
	v_cvt_f32_i32_e32 v5, v21
	v_add_co_u32_e32 v2, vcc, 0x1000, v24
	v_addc_co_u32_e32 v3, vcc, 0, v25, vcc
	flat_store_dword v[2:3], v4
	flat_store_dword v[2:3], v5 offset:512
	s_mov_b64 s[0:1], 0
.LBB1661_71:
	s_andn2_b64 vcc, exec, s[0:1]
	s_cbranch_vccnz .LBB1661_127
; %bb.72:
	ds_write2_b64 v1, v[6:7], v[8:9] offset1:1
	ds_write2_b64 v1, v[10:11], v[12:13] offset0:2 offset1:3
	ds_write_b64 v1, v[14:15] offset:32
	s_waitcnt lgkmcnt(0)
	s_barrier
	ds_read2st64_b32 v[2:3], v22 offset1:2
	ds_read2st64_b32 v[6:7], v22 offset0:4 offset1:6
	ds_read2st64_b32 v[4:5], v22 offset0:8 offset1:10
	;; [unrolled: 1-line block ×4, first 2 shown]
	v_mov_b32_e32 v13, s3
	v_add_co_u32_e32 v12, vcc, s2, v22
	v_addc_co_u32_e32 v13, vcc, 0, v13, vcc
	v_mov_b32_e32 v1, 0
	v_cmp_gt_u32_e32 vcc, s30, v0
	s_and_saveexec_b64 s[0:1], vcc
	s_cbranch_execz .LBB1661_74
; %bb.73:
	s_waitcnt lgkmcnt(0)
	v_cvt_f32_i32_e32 v14, v2
	flat_store_dword v[12:13], v14
.LBB1661_74:
	s_or_b64 exec, exec, s[0:1]
	v_or_b32_e32 v14, 0x80, v0
	v_cmp_gt_u32_e32 vcc, s30, v14
	s_and_saveexec_b64 s[0:1], vcc
	s_cbranch_execz .LBB1661_76
; %bb.75:
	s_waitcnt lgkmcnt(0)
	v_cvt_f32_i32_e32 v14, v3
	flat_store_dword v[12:13], v14 offset:512
.LBB1661_76:
	s_or_b64 exec, exec, s[0:1]
	v_or_b32_e32 v14, 0x100, v0
	v_cmp_gt_u32_e32 vcc, s30, v14
	s_and_saveexec_b64 s[0:1], vcc
	s_cbranch_execz .LBB1661_78
; %bb.77:
	s_waitcnt lgkmcnt(0)
	v_cvt_f32_i32_e32 v14, v6
	flat_store_dword v[12:13], v14 offset:1024
.LBB1661_78:
	;; [unrolled: 10-line block ×7, first 2 shown]
	s_or_b64 exec, exec, s[0:1]
	v_or_b32_e32 v14, 0x400, v0
	v_cmp_gt_u32_e32 vcc, s30, v14
	s_and_saveexec_b64 s[0:1], vcc
	s_cbranch_execz .LBB1661_90
; %bb.89:
	s_waitcnt lgkmcnt(0)
	v_cvt_f32_i32_e32 v16, v10
	v_add_co_u32_e32 v14, vcc, 0x1000, v12
	v_addc_co_u32_e32 v15, vcc, 0, v13, vcc
	flat_store_dword v[14:15], v16
.LBB1661_90:
	s_or_b64 exec, exec, s[0:1]
	v_or_b32_e32 v14, 0x480, v0
	v_cmp_gt_u32_e32 vcc, s30, v14
	s_and_saveexec_b64 s[0:1], vcc
	s_cbranch_execz .LBB1661_92
; %bb.91:
	s_waitcnt lgkmcnt(0)
	v_cvt_f32_i32_e32 v14, v11
	v_add_co_u32_e32 v12, vcc, 0x1000, v12
	v_addc_co_u32_e32 v13, vcc, 0, v13, vcc
	flat_store_dword v[12:13], v14 offset:512
.LBB1661_92:
	s_or_b64 exec, exec, s[0:1]
	v_cmp_lt_u64_e64 s[0:1], s[14:15], 2
	s_and_b64 vcc, exec, s[0:1]
	s_cbranch_vccnz .LBB1661_127
; %bb.93:
	s_add_u32 s0, s30, -1
	s_addc_u32 s1, s31, -1
	s_add_u32 s2, 0, 0x99986000
	s_addc_u32 s3, 0, 0x59
	s_add_i32 s3, s3, 0x19999940
	s_mul_hi_u32 s7, s2, -10
	s_sub_i32 s7, s7, s2
	s_mul_i32 s8, s3, -10
	s_mul_i32 s4, s2, -10
	s_add_i32 s7, s7, s8
	s_mul_hi_u32 s5, s3, s4
	s_mul_i32 s6, s3, s4
	s_mul_i32 s9, s2, s7
	s_mul_hi_u32 s4, s2, s4
	s_mul_hi_u32 s8, s2, s7
	s_add_u32 s4, s4, s9
	s_addc_u32 s8, 0, s8
	s_add_u32 s4, s4, s6
	s_mul_hi_u32 s9, s3, s7
	s_addc_u32 s4, s8, s5
	s_addc_u32 s5, s9, 0
	s_mul_i32 s6, s3, s7
	s_add_u32 s4, s4, s6
	v_mov_b32_e32 v12, s4
	s_addc_u32 s5, 0, s5
	v_add_co_u32_e32 v12, vcc, s2, v12
	s_cmp_lg_u64 vcc, 0
	s_addc_u32 s2, s3, s5
	v_readfirstlane_b32 s5, v12
	s_mul_i32 s4, s0, s2
	s_mul_hi_u32 s6, s0, s5
	s_mul_hi_u32 s3, s0, s2
	s_add_u32 s4, s6, s4
	s_addc_u32 s3, 0, s3
	s_mul_hi_u32 s7, s1, s5
	s_mul_i32 s5, s1, s5
	s_add_u32 s4, s4, s5
	s_mul_hi_u32 s6, s1, s2
	s_addc_u32 s3, s3, s7
	s_addc_u32 s4, s6, 0
	s_mul_i32 s2, s1, s2
	s_add_u32 s2, s3, s2
	s_addc_u32 s3, 0, s4
	s_add_u32 s4, s2, 1
	s_addc_u32 s5, s3, 0
	s_add_u32 s6, s2, 2
	s_mul_i32 s8, s3, 10
	s_mul_hi_u32 s9, s2, 10
	s_addc_u32 s7, s3, 0
	s_add_i32 s9, s9, s8
	s_mul_i32 s8, s2, 10
	v_mov_b32_e32 v12, s8
	v_sub_co_u32_e32 v12, vcc, s0, v12
	s_cmp_lg_u64 vcc, 0
	s_subb_u32 s8, s1, s9
	v_subrev_co_u32_e32 v13, vcc, 10, v12
	s_cmp_lg_u64 vcc, 0
	s_subb_u32 s9, s8, 0
	v_readfirstlane_b32 s12, v13
	s_cmp_gt_u32 s12, 9
	s_cselect_b32 s12, -1, 0
	s_cmp_eq_u32 s9, 0
	s_cselect_b32 s9, s12, -1
	s_cmp_lg_u32 s9, 0
	s_cselect_b32 s4, s6, s4
	v_readfirstlane_b32 s6, v12
	s_cselect_b32 s5, s7, s5
	s_cmp_gt_u32 s6, 9
	s_cselect_b32 s6, -1, 0
	s_cmp_eq_u32 s8, 0
	s_cselect_b32 s6, s6, -1
	s_cmp_lg_u32 s6, 0
	s_cselect_b32 s3, s5, s3
	s_cselect_b32 s2, s4, s2
	v_cmp_eq_u64_e32 vcc, s[2:3], v[0:1]
	s_and_saveexec_b64 s[2:3], vcc
	s_cbranch_execz .LBB1661_127
; %bb.94:
	v_mul_hi_u32_u24_e32 v1, 10, v0
	v_mov_b32_e32 v12, s1
	v_sub_co_u32_e32 v0, vcc, s0, v23
	v_subb_co_u32_e32 v1, vcc, v12, v1, vcc
	v_cmp_lt_i64_e32 vcc, 4, v[0:1]
	s_and_saveexec_b64 s[0:1], vcc
	s_xor_b64 s[0:1], exec, s[0:1]
	s_cbranch_execz .LBB1661_112
; %bb.95:
	v_cmp_lt_i64_e32 vcc, 6, v[0:1]
	s_and_saveexec_b64 s[2:3], vcc
	s_xor_b64 s[2:3], exec, s[2:3]
	s_cbranch_execz .LBB1661_105
; %bb.96:
	;; [unrolled: 5-line block ×4, first 2 shown]
	v_mov_b32_e32 v0, 0
	s_waitcnt lgkmcnt(0)
	global_store_dword v0, v11, s[10:11]
                                        ; implicit-def: $vgpr10_vgpr11
.LBB1661_99:
	s_andn2_saveexec_b64 s[6:7], s[6:7]
	s_cbranch_execz .LBB1661_101
; %bb.100:
	v_mov_b32_e32 v0, 0
	s_waitcnt lgkmcnt(0)
	global_store_dword v0, v10, s[10:11]
.LBB1661_101:
	s_or_b64 exec, exec, s[6:7]
                                        ; implicit-def: $vgpr8_vgpr9
.LBB1661_102:
	s_andn2_saveexec_b64 s[4:5], s[4:5]
	s_cbranch_execz .LBB1661_104
; %bb.103:
	v_mov_b32_e32 v0, 0
	s_waitcnt lgkmcnt(0)
	global_store_dword v0, v9, s[10:11]
.LBB1661_104:
	s_or_b64 exec, exec, s[4:5]
                                        ; implicit-def: $vgpr4_vgpr5
                                        ; implicit-def: $vgpr0_vgpr1
                                        ; implicit-def: $vgpr8_vgpr9
.LBB1661_105:
	s_andn2_saveexec_b64 s[2:3], s[2:3]
	s_cbranch_execz .LBB1661_111
; %bb.106:
	v_cmp_lt_i64_e32 vcc, 5, v[0:1]
	s_and_saveexec_b64 s[4:5], vcc
	s_xor_b64 s[4:5], exec, s[4:5]
	s_cbranch_execz .LBB1661_108
; %bb.107:
	v_mov_b32_e32 v0, 0
	s_waitcnt lgkmcnt(0)
	global_store_dword v0, v8, s[10:11]
                                        ; implicit-def: $vgpr4_vgpr5
.LBB1661_108:
	s_andn2_saveexec_b64 s[4:5], s[4:5]
	s_cbranch_execz .LBB1661_110
; %bb.109:
	v_mov_b32_e32 v0, 0
	s_waitcnt lgkmcnt(0)
	global_store_dword v0, v5, s[10:11]
.LBB1661_110:
	s_or_b64 exec, exec, s[4:5]
.LBB1661_111:
	s_or_b64 exec, exec, s[2:3]
                                        ; implicit-def: $vgpr0_vgpr1
                                        ; implicit-def: $vgpr6_vgpr7
                                        ; implicit-def: $vgpr2_vgpr3
                                        ; implicit-def: $vgpr4_vgpr5
.LBB1661_112:
	s_andn2_saveexec_b64 s[0:1], s[0:1]
	s_cbranch_execz .LBB1661_127
; %bb.113:
	v_cmp_lt_i64_e32 vcc, 2, v[0:1]
	s_and_saveexec_b64 s[0:1], vcc
	s_xor_b64 s[0:1], exec, s[0:1]
	s_cbranch_execz .LBB1661_119
; %bb.114:
	v_cmp_lt_i64_e32 vcc, 3, v[0:1]
	s_and_saveexec_b64 s[2:3], vcc
	s_xor_b64 s[2:3], exec, s[2:3]
	s_cbranch_execz .LBB1661_116
; %bb.115:
	v_mov_b32_e32 v0, 0
	s_waitcnt lgkmcnt(0)
	global_store_dword v0, v4, s[10:11]
                                        ; implicit-def: $vgpr6_vgpr7
.LBB1661_116:
	s_andn2_saveexec_b64 s[2:3], s[2:3]
	s_cbranch_execz .LBB1661_118
; %bb.117:
	v_mov_b32_e32 v0, 0
	s_waitcnt lgkmcnt(0)
	global_store_dword v0, v7, s[10:11]
.LBB1661_118:
	s_or_b64 exec, exec, s[2:3]
                                        ; implicit-def: $vgpr0_vgpr1
                                        ; implicit-def: $vgpr6_vgpr7
                                        ; implicit-def: $vgpr2_vgpr3
.LBB1661_119:
	s_andn2_saveexec_b64 s[0:1], s[0:1]
	s_cbranch_execz .LBB1661_127
; %bb.120:
	v_cmp_lt_i64_e32 vcc, 1, v[0:1]
	s_and_saveexec_b64 s[0:1], vcc
	s_xor_b64 s[0:1], exec, s[0:1]
	s_cbranch_execz .LBB1661_122
; %bb.121:
	v_mov_b32_e32 v0, 0
	s_waitcnt lgkmcnt(0)
	global_store_dword v0, v6, s[10:11]
                                        ; implicit-def: $vgpr2_vgpr3
                                        ; implicit-def: $vgpr0_vgpr1
.LBB1661_122:
	s_andn2_saveexec_b64 s[0:1], s[0:1]
	s_cbranch_execz .LBB1661_127
; %bb.123:
	v_cmp_ne_u64_e32 vcc, 1, v[0:1]
	s_and_saveexec_b64 s[0:1], vcc
	s_xor_b64 s[0:1], exec, s[0:1]
	s_cbranch_execz .LBB1661_125
; %bb.124:
	v_mov_b32_e32 v0, 0
	s_waitcnt lgkmcnt(0)
	global_store_dword v0, v2, s[10:11]
                                        ; implicit-def: $vgpr2_vgpr3
.LBB1661_125:
	s_andn2_saveexec_b64 s[0:1], s[0:1]
	s_cbranch_execz .LBB1661_127
; %bb.126:
	v_mov_b32_e32 v0, 0
	s_waitcnt lgkmcnt(0)
	global_store_dword v0, v3, s[10:11]
.LBB1661_127:
	s_endpgm
	.section	.rodata,"a",@progbits
	.p2align	6, 0x0
	.amdhsa_kernel _ZN7rocprim17ROCPRIM_400000_NS6detail17trampoline_kernelINS0_14default_configENS1_20scan_config_selectorIiEEZZNS1_9scan_implILNS1_25lookback_scan_determinismE0ELb0ELb0ES3_N6thrust23THRUST_200600_302600_NS6detail15normal_iteratorINS9_10device_ptrIiEEEENSB_INSC_IfEEEEiNS9_4plusIvEEiEEDaPvRmT3_T4_T5_mT6_P12ihipStream_tbENKUlT_T0_E_clISt17integral_constantIbLb1EESW_EEDaSR_SS_EUlSR_E_NS1_11comp_targetILNS1_3genE4ELNS1_11target_archE910ELNS1_3gpuE8ELNS1_3repE0EEENS1_30default_config_static_selectorELNS0_4arch9wavefront6targetE1EEEvT1_
		.amdhsa_group_segment_fixed_size 5120
		.amdhsa_private_segment_fixed_size 0
		.amdhsa_kernarg_size 96
		.amdhsa_user_sgpr_count 6
		.amdhsa_user_sgpr_private_segment_buffer 1
		.amdhsa_user_sgpr_dispatch_ptr 0
		.amdhsa_user_sgpr_queue_ptr 0
		.amdhsa_user_sgpr_kernarg_segment_ptr 1
		.amdhsa_user_sgpr_dispatch_id 0
		.amdhsa_user_sgpr_flat_scratch_init 0
		.amdhsa_user_sgpr_kernarg_preload_length 0
		.amdhsa_user_sgpr_kernarg_preload_offset 0
		.amdhsa_user_sgpr_private_segment_size 0
		.amdhsa_uses_dynamic_stack 0
		.amdhsa_system_sgpr_private_segment_wavefront_offset 0
		.amdhsa_system_sgpr_workgroup_id_x 1
		.amdhsa_system_sgpr_workgroup_id_y 0
		.amdhsa_system_sgpr_workgroup_id_z 0
		.amdhsa_system_sgpr_workgroup_info 0
		.amdhsa_system_vgpr_workitem_id 0
		.amdhsa_next_free_vgpr 40
		.amdhsa_next_free_sgpr 38
		.amdhsa_accum_offset 40
		.amdhsa_reserve_vcc 1
		.amdhsa_reserve_flat_scratch 0
		.amdhsa_float_round_mode_32 0
		.amdhsa_float_round_mode_16_64 0
		.amdhsa_float_denorm_mode_32 3
		.amdhsa_float_denorm_mode_16_64 3
		.amdhsa_dx10_clamp 1
		.amdhsa_ieee_mode 1
		.amdhsa_fp16_overflow 0
		.amdhsa_tg_split 0
		.amdhsa_exception_fp_ieee_invalid_op 0
		.amdhsa_exception_fp_denorm_src 0
		.amdhsa_exception_fp_ieee_div_zero 0
		.amdhsa_exception_fp_ieee_overflow 0
		.amdhsa_exception_fp_ieee_underflow 0
		.amdhsa_exception_fp_ieee_inexact 0
		.amdhsa_exception_int_div_zero 0
	.end_amdhsa_kernel
	.section	.text._ZN7rocprim17ROCPRIM_400000_NS6detail17trampoline_kernelINS0_14default_configENS1_20scan_config_selectorIiEEZZNS1_9scan_implILNS1_25lookback_scan_determinismE0ELb0ELb0ES3_N6thrust23THRUST_200600_302600_NS6detail15normal_iteratorINS9_10device_ptrIiEEEENSB_INSC_IfEEEEiNS9_4plusIvEEiEEDaPvRmT3_T4_T5_mT6_P12ihipStream_tbENKUlT_T0_E_clISt17integral_constantIbLb1EESW_EEDaSR_SS_EUlSR_E_NS1_11comp_targetILNS1_3genE4ELNS1_11target_archE910ELNS1_3gpuE8ELNS1_3repE0EEENS1_30default_config_static_selectorELNS0_4arch9wavefront6targetE1EEEvT1_,"axG",@progbits,_ZN7rocprim17ROCPRIM_400000_NS6detail17trampoline_kernelINS0_14default_configENS1_20scan_config_selectorIiEEZZNS1_9scan_implILNS1_25lookback_scan_determinismE0ELb0ELb0ES3_N6thrust23THRUST_200600_302600_NS6detail15normal_iteratorINS9_10device_ptrIiEEEENSB_INSC_IfEEEEiNS9_4plusIvEEiEEDaPvRmT3_T4_T5_mT6_P12ihipStream_tbENKUlT_T0_E_clISt17integral_constantIbLb1EESW_EEDaSR_SS_EUlSR_E_NS1_11comp_targetILNS1_3genE4ELNS1_11target_archE910ELNS1_3gpuE8ELNS1_3repE0EEENS1_30default_config_static_selectorELNS0_4arch9wavefront6targetE1EEEvT1_,comdat
.Lfunc_end1661:
	.size	_ZN7rocprim17ROCPRIM_400000_NS6detail17trampoline_kernelINS0_14default_configENS1_20scan_config_selectorIiEEZZNS1_9scan_implILNS1_25lookback_scan_determinismE0ELb0ELb0ES3_N6thrust23THRUST_200600_302600_NS6detail15normal_iteratorINS9_10device_ptrIiEEEENSB_INSC_IfEEEEiNS9_4plusIvEEiEEDaPvRmT3_T4_T5_mT6_P12ihipStream_tbENKUlT_T0_E_clISt17integral_constantIbLb1EESW_EEDaSR_SS_EUlSR_E_NS1_11comp_targetILNS1_3genE4ELNS1_11target_archE910ELNS1_3gpuE8ELNS1_3repE0EEENS1_30default_config_static_selectorELNS0_4arch9wavefront6targetE1EEEvT1_, .Lfunc_end1661-_ZN7rocprim17ROCPRIM_400000_NS6detail17trampoline_kernelINS0_14default_configENS1_20scan_config_selectorIiEEZZNS1_9scan_implILNS1_25lookback_scan_determinismE0ELb0ELb0ES3_N6thrust23THRUST_200600_302600_NS6detail15normal_iteratorINS9_10device_ptrIiEEEENSB_INSC_IfEEEEiNS9_4plusIvEEiEEDaPvRmT3_T4_T5_mT6_P12ihipStream_tbENKUlT_T0_E_clISt17integral_constantIbLb1EESW_EEDaSR_SS_EUlSR_E_NS1_11comp_targetILNS1_3genE4ELNS1_11target_archE910ELNS1_3gpuE8ELNS1_3repE0EEENS1_30default_config_static_selectorELNS0_4arch9wavefront6targetE1EEEvT1_
                                        ; -- End function
	.section	.AMDGPU.csdata,"",@progbits
; Kernel info:
; codeLenInByte = 4728
; NumSgprs: 42
; NumVgprs: 40
; NumAgprs: 0
; TotalNumVgprs: 40
; ScratchSize: 0
; MemoryBound: 0
; FloatMode: 240
; IeeeMode: 1
; LDSByteSize: 5120 bytes/workgroup (compile time only)
; SGPRBlocks: 5
; VGPRBlocks: 4
; NumSGPRsForWavesPerEU: 42
; NumVGPRsForWavesPerEU: 40
; AccumOffset: 40
; Occupancy: 6
; WaveLimiterHint : 1
; COMPUTE_PGM_RSRC2:SCRATCH_EN: 0
; COMPUTE_PGM_RSRC2:USER_SGPR: 6
; COMPUTE_PGM_RSRC2:TRAP_HANDLER: 0
; COMPUTE_PGM_RSRC2:TGID_X_EN: 1
; COMPUTE_PGM_RSRC2:TGID_Y_EN: 0
; COMPUTE_PGM_RSRC2:TGID_Z_EN: 0
; COMPUTE_PGM_RSRC2:TIDIG_COMP_CNT: 0
; COMPUTE_PGM_RSRC3_GFX90A:ACCUM_OFFSET: 9
; COMPUTE_PGM_RSRC3_GFX90A:TG_SPLIT: 0
	.section	.text._ZN7rocprim17ROCPRIM_400000_NS6detail17trampoline_kernelINS0_14default_configENS1_20scan_config_selectorIiEEZZNS1_9scan_implILNS1_25lookback_scan_determinismE0ELb0ELb0ES3_N6thrust23THRUST_200600_302600_NS6detail15normal_iteratorINS9_10device_ptrIiEEEENSB_INSC_IfEEEEiNS9_4plusIvEEiEEDaPvRmT3_T4_T5_mT6_P12ihipStream_tbENKUlT_T0_E_clISt17integral_constantIbLb1EESW_EEDaSR_SS_EUlSR_E_NS1_11comp_targetILNS1_3genE3ELNS1_11target_archE908ELNS1_3gpuE7ELNS1_3repE0EEENS1_30default_config_static_selectorELNS0_4arch9wavefront6targetE1EEEvT1_,"axG",@progbits,_ZN7rocprim17ROCPRIM_400000_NS6detail17trampoline_kernelINS0_14default_configENS1_20scan_config_selectorIiEEZZNS1_9scan_implILNS1_25lookback_scan_determinismE0ELb0ELb0ES3_N6thrust23THRUST_200600_302600_NS6detail15normal_iteratorINS9_10device_ptrIiEEEENSB_INSC_IfEEEEiNS9_4plusIvEEiEEDaPvRmT3_T4_T5_mT6_P12ihipStream_tbENKUlT_T0_E_clISt17integral_constantIbLb1EESW_EEDaSR_SS_EUlSR_E_NS1_11comp_targetILNS1_3genE3ELNS1_11target_archE908ELNS1_3gpuE7ELNS1_3repE0EEENS1_30default_config_static_selectorELNS0_4arch9wavefront6targetE1EEEvT1_,comdat
	.protected	_ZN7rocprim17ROCPRIM_400000_NS6detail17trampoline_kernelINS0_14default_configENS1_20scan_config_selectorIiEEZZNS1_9scan_implILNS1_25lookback_scan_determinismE0ELb0ELb0ES3_N6thrust23THRUST_200600_302600_NS6detail15normal_iteratorINS9_10device_ptrIiEEEENSB_INSC_IfEEEEiNS9_4plusIvEEiEEDaPvRmT3_T4_T5_mT6_P12ihipStream_tbENKUlT_T0_E_clISt17integral_constantIbLb1EESW_EEDaSR_SS_EUlSR_E_NS1_11comp_targetILNS1_3genE3ELNS1_11target_archE908ELNS1_3gpuE7ELNS1_3repE0EEENS1_30default_config_static_selectorELNS0_4arch9wavefront6targetE1EEEvT1_ ; -- Begin function _ZN7rocprim17ROCPRIM_400000_NS6detail17trampoline_kernelINS0_14default_configENS1_20scan_config_selectorIiEEZZNS1_9scan_implILNS1_25lookback_scan_determinismE0ELb0ELb0ES3_N6thrust23THRUST_200600_302600_NS6detail15normal_iteratorINS9_10device_ptrIiEEEENSB_INSC_IfEEEEiNS9_4plusIvEEiEEDaPvRmT3_T4_T5_mT6_P12ihipStream_tbENKUlT_T0_E_clISt17integral_constantIbLb1EESW_EEDaSR_SS_EUlSR_E_NS1_11comp_targetILNS1_3genE3ELNS1_11target_archE908ELNS1_3gpuE7ELNS1_3repE0EEENS1_30default_config_static_selectorELNS0_4arch9wavefront6targetE1EEEvT1_
	.globl	_ZN7rocprim17ROCPRIM_400000_NS6detail17trampoline_kernelINS0_14default_configENS1_20scan_config_selectorIiEEZZNS1_9scan_implILNS1_25lookback_scan_determinismE0ELb0ELb0ES3_N6thrust23THRUST_200600_302600_NS6detail15normal_iteratorINS9_10device_ptrIiEEEENSB_INSC_IfEEEEiNS9_4plusIvEEiEEDaPvRmT3_T4_T5_mT6_P12ihipStream_tbENKUlT_T0_E_clISt17integral_constantIbLb1EESW_EEDaSR_SS_EUlSR_E_NS1_11comp_targetILNS1_3genE3ELNS1_11target_archE908ELNS1_3gpuE7ELNS1_3repE0EEENS1_30default_config_static_selectorELNS0_4arch9wavefront6targetE1EEEvT1_
	.p2align	8
	.type	_ZN7rocprim17ROCPRIM_400000_NS6detail17trampoline_kernelINS0_14default_configENS1_20scan_config_selectorIiEEZZNS1_9scan_implILNS1_25lookback_scan_determinismE0ELb0ELb0ES3_N6thrust23THRUST_200600_302600_NS6detail15normal_iteratorINS9_10device_ptrIiEEEENSB_INSC_IfEEEEiNS9_4plusIvEEiEEDaPvRmT3_T4_T5_mT6_P12ihipStream_tbENKUlT_T0_E_clISt17integral_constantIbLb1EESW_EEDaSR_SS_EUlSR_E_NS1_11comp_targetILNS1_3genE3ELNS1_11target_archE908ELNS1_3gpuE7ELNS1_3repE0EEENS1_30default_config_static_selectorELNS0_4arch9wavefront6targetE1EEEvT1_,@function
_ZN7rocprim17ROCPRIM_400000_NS6detail17trampoline_kernelINS0_14default_configENS1_20scan_config_selectorIiEEZZNS1_9scan_implILNS1_25lookback_scan_determinismE0ELb0ELb0ES3_N6thrust23THRUST_200600_302600_NS6detail15normal_iteratorINS9_10device_ptrIiEEEENSB_INSC_IfEEEEiNS9_4plusIvEEiEEDaPvRmT3_T4_T5_mT6_P12ihipStream_tbENKUlT_T0_E_clISt17integral_constantIbLb1EESW_EEDaSR_SS_EUlSR_E_NS1_11comp_targetILNS1_3genE3ELNS1_11target_archE908ELNS1_3gpuE7ELNS1_3repE0EEENS1_30default_config_static_selectorELNS0_4arch9wavefront6targetE1EEEvT1_: ; @_ZN7rocprim17ROCPRIM_400000_NS6detail17trampoline_kernelINS0_14default_configENS1_20scan_config_selectorIiEEZZNS1_9scan_implILNS1_25lookback_scan_determinismE0ELb0ELb0ES3_N6thrust23THRUST_200600_302600_NS6detail15normal_iteratorINS9_10device_ptrIiEEEENSB_INSC_IfEEEEiNS9_4plusIvEEiEEDaPvRmT3_T4_T5_mT6_P12ihipStream_tbENKUlT_T0_E_clISt17integral_constantIbLb1EESW_EEDaSR_SS_EUlSR_E_NS1_11comp_targetILNS1_3genE3ELNS1_11target_archE908ELNS1_3gpuE7ELNS1_3repE0EEENS1_30default_config_static_selectorELNS0_4arch9wavefront6targetE1EEEvT1_
; %bb.0:
	.section	.rodata,"a",@progbits
	.p2align	6, 0x0
	.amdhsa_kernel _ZN7rocprim17ROCPRIM_400000_NS6detail17trampoline_kernelINS0_14default_configENS1_20scan_config_selectorIiEEZZNS1_9scan_implILNS1_25lookback_scan_determinismE0ELb0ELb0ES3_N6thrust23THRUST_200600_302600_NS6detail15normal_iteratorINS9_10device_ptrIiEEEENSB_INSC_IfEEEEiNS9_4plusIvEEiEEDaPvRmT3_T4_T5_mT6_P12ihipStream_tbENKUlT_T0_E_clISt17integral_constantIbLb1EESW_EEDaSR_SS_EUlSR_E_NS1_11comp_targetILNS1_3genE3ELNS1_11target_archE908ELNS1_3gpuE7ELNS1_3repE0EEENS1_30default_config_static_selectorELNS0_4arch9wavefront6targetE1EEEvT1_
		.amdhsa_group_segment_fixed_size 0
		.amdhsa_private_segment_fixed_size 0
		.amdhsa_kernarg_size 96
		.amdhsa_user_sgpr_count 6
		.amdhsa_user_sgpr_private_segment_buffer 1
		.amdhsa_user_sgpr_dispatch_ptr 0
		.amdhsa_user_sgpr_queue_ptr 0
		.amdhsa_user_sgpr_kernarg_segment_ptr 1
		.amdhsa_user_sgpr_dispatch_id 0
		.amdhsa_user_sgpr_flat_scratch_init 0
		.amdhsa_user_sgpr_kernarg_preload_length 0
		.amdhsa_user_sgpr_kernarg_preload_offset 0
		.amdhsa_user_sgpr_private_segment_size 0
		.amdhsa_uses_dynamic_stack 0
		.amdhsa_system_sgpr_private_segment_wavefront_offset 0
		.amdhsa_system_sgpr_workgroup_id_x 1
		.amdhsa_system_sgpr_workgroup_id_y 0
		.amdhsa_system_sgpr_workgroup_id_z 0
		.amdhsa_system_sgpr_workgroup_info 0
		.amdhsa_system_vgpr_workitem_id 0
		.amdhsa_next_free_vgpr 1
		.amdhsa_next_free_sgpr 0
		.amdhsa_accum_offset 4
		.amdhsa_reserve_vcc 0
		.amdhsa_reserve_flat_scratch 0
		.amdhsa_float_round_mode_32 0
		.amdhsa_float_round_mode_16_64 0
		.amdhsa_float_denorm_mode_32 3
		.amdhsa_float_denorm_mode_16_64 3
		.amdhsa_dx10_clamp 1
		.amdhsa_ieee_mode 1
		.amdhsa_fp16_overflow 0
		.amdhsa_tg_split 0
		.amdhsa_exception_fp_ieee_invalid_op 0
		.amdhsa_exception_fp_denorm_src 0
		.amdhsa_exception_fp_ieee_div_zero 0
		.amdhsa_exception_fp_ieee_overflow 0
		.amdhsa_exception_fp_ieee_underflow 0
		.amdhsa_exception_fp_ieee_inexact 0
		.amdhsa_exception_int_div_zero 0
	.end_amdhsa_kernel
	.section	.text._ZN7rocprim17ROCPRIM_400000_NS6detail17trampoline_kernelINS0_14default_configENS1_20scan_config_selectorIiEEZZNS1_9scan_implILNS1_25lookback_scan_determinismE0ELb0ELb0ES3_N6thrust23THRUST_200600_302600_NS6detail15normal_iteratorINS9_10device_ptrIiEEEENSB_INSC_IfEEEEiNS9_4plusIvEEiEEDaPvRmT3_T4_T5_mT6_P12ihipStream_tbENKUlT_T0_E_clISt17integral_constantIbLb1EESW_EEDaSR_SS_EUlSR_E_NS1_11comp_targetILNS1_3genE3ELNS1_11target_archE908ELNS1_3gpuE7ELNS1_3repE0EEENS1_30default_config_static_selectorELNS0_4arch9wavefront6targetE1EEEvT1_,"axG",@progbits,_ZN7rocprim17ROCPRIM_400000_NS6detail17trampoline_kernelINS0_14default_configENS1_20scan_config_selectorIiEEZZNS1_9scan_implILNS1_25lookback_scan_determinismE0ELb0ELb0ES3_N6thrust23THRUST_200600_302600_NS6detail15normal_iteratorINS9_10device_ptrIiEEEENSB_INSC_IfEEEEiNS9_4plusIvEEiEEDaPvRmT3_T4_T5_mT6_P12ihipStream_tbENKUlT_T0_E_clISt17integral_constantIbLb1EESW_EEDaSR_SS_EUlSR_E_NS1_11comp_targetILNS1_3genE3ELNS1_11target_archE908ELNS1_3gpuE7ELNS1_3repE0EEENS1_30default_config_static_selectorELNS0_4arch9wavefront6targetE1EEEvT1_,comdat
.Lfunc_end1662:
	.size	_ZN7rocprim17ROCPRIM_400000_NS6detail17trampoline_kernelINS0_14default_configENS1_20scan_config_selectorIiEEZZNS1_9scan_implILNS1_25lookback_scan_determinismE0ELb0ELb0ES3_N6thrust23THRUST_200600_302600_NS6detail15normal_iteratorINS9_10device_ptrIiEEEENSB_INSC_IfEEEEiNS9_4plusIvEEiEEDaPvRmT3_T4_T5_mT6_P12ihipStream_tbENKUlT_T0_E_clISt17integral_constantIbLb1EESW_EEDaSR_SS_EUlSR_E_NS1_11comp_targetILNS1_3genE3ELNS1_11target_archE908ELNS1_3gpuE7ELNS1_3repE0EEENS1_30default_config_static_selectorELNS0_4arch9wavefront6targetE1EEEvT1_, .Lfunc_end1662-_ZN7rocprim17ROCPRIM_400000_NS6detail17trampoline_kernelINS0_14default_configENS1_20scan_config_selectorIiEEZZNS1_9scan_implILNS1_25lookback_scan_determinismE0ELb0ELb0ES3_N6thrust23THRUST_200600_302600_NS6detail15normal_iteratorINS9_10device_ptrIiEEEENSB_INSC_IfEEEEiNS9_4plusIvEEiEEDaPvRmT3_T4_T5_mT6_P12ihipStream_tbENKUlT_T0_E_clISt17integral_constantIbLb1EESW_EEDaSR_SS_EUlSR_E_NS1_11comp_targetILNS1_3genE3ELNS1_11target_archE908ELNS1_3gpuE7ELNS1_3repE0EEENS1_30default_config_static_selectorELNS0_4arch9wavefront6targetE1EEEvT1_
                                        ; -- End function
	.section	.AMDGPU.csdata,"",@progbits
; Kernel info:
; codeLenInByte = 0
; NumSgprs: 4
; NumVgprs: 0
; NumAgprs: 0
; TotalNumVgprs: 0
; ScratchSize: 0
; MemoryBound: 0
; FloatMode: 240
; IeeeMode: 1
; LDSByteSize: 0 bytes/workgroup (compile time only)
; SGPRBlocks: 0
; VGPRBlocks: 0
; NumSGPRsForWavesPerEU: 4
; NumVGPRsForWavesPerEU: 1
; AccumOffset: 4
; Occupancy: 8
; WaveLimiterHint : 0
; COMPUTE_PGM_RSRC2:SCRATCH_EN: 0
; COMPUTE_PGM_RSRC2:USER_SGPR: 6
; COMPUTE_PGM_RSRC2:TRAP_HANDLER: 0
; COMPUTE_PGM_RSRC2:TGID_X_EN: 1
; COMPUTE_PGM_RSRC2:TGID_Y_EN: 0
; COMPUTE_PGM_RSRC2:TGID_Z_EN: 0
; COMPUTE_PGM_RSRC2:TIDIG_COMP_CNT: 0
; COMPUTE_PGM_RSRC3_GFX90A:ACCUM_OFFSET: 0
; COMPUTE_PGM_RSRC3_GFX90A:TG_SPLIT: 0
	.section	.text._ZN7rocprim17ROCPRIM_400000_NS6detail17trampoline_kernelINS0_14default_configENS1_20scan_config_selectorIiEEZZNS1_9scan_implILNS1_25lookback_scan_determinismE0ELb0ELb0ES3_N6thrust23THRUST_200600_302600_NS6detail15normal_iteratorINS9_10device_ptrIiEEEENSB_INSC_IfEEEEiNS9_4plusIvEEiEEDaPvRmT3_T4_T5_mT6_P12ihipStream_tbENKUlT_T0_E_clISt17integral_constantIbLb1EESW_EEDaSR_SS_EUlSR_E_NS1_11comp_targetILNS1_3genE2ELNS1_11target_archE906ELNS1_3gpuE6ELNS1_3repE0EEENS1_30default_config_static_selectorELNS0_4arch9wavefront6targetE1EEEvT1_,"axG",@progbits,_ZN7rocprim17ROCPRIM_400000_NS6detail17trampoline_kernelINS0_14default_configENS1_20scan_config_selectorIiEEZZNS1_9scan_implILNS1_25lookback_scan_determinismE0ELb0ELb0ES3_N6thrust23THRUST_200600_302600_NS6detail15normal_iteratorINS9_10device_ptrIiEEEENSB_INSC_IfEEEEiNS9_4plusIvEEiEEDaPvRmT3_T4_T5_mT6_P12ihipStream_tbENKUlT_T0_E_clISt17integral_constantIbLb1EESW_EEDaSR_SS_EUlSR_E_NS1_11comp_targetILNS1_3genE2ELNS1_11target_archE906ELNS1_3gpuE6ELNS1_3repE0EEENS1_30default_config_static_selectorELNS0_4arch9wavefront6targetE1EEEvT1_,comdat
	.protected	_ZN7rocprim17ROCPRIM_400000_NS6detail17trampoline_kernelINS0_14default_configENS1_20scan_config_selectorIiEEZZNS1_9scan_implILNS1_25lookback_scan_determinismE0ELb0ELb0ES3_N6thrust23THRUST_200600_302600_NS6detail15normal_iteratorINS9_10device_ptrIiEEEENSB_INSC_IfEEEEiNS9_4plusIvEEiEEDaPvRmT3_T4_T5_mT6_P12ihipStream_tbENKUlT_T0_E_clISt17integral_constantIbLb1EESW_EEDaSR_SS_EUlSR_E_NS1_11comp_targetILNS1_3genE2ELNS1_11target_archE906ELNS1_3gpuE6ELNS1_3repE0EEENS1_30default_config_static_selectorELNS0_4arch9wavefront6targetE1EEEvT1_ ; -- Begin function _ZN7rocprim17ROCPRIM_400000_NS6detail17trampoline_kernelINS0_14default_configENS1_20scan_config_selectorIiEEZZNS1_9scan_implILNS1_25lookback_scan_determinismE0ELb0ELb0ES3_N6thrust23THRUST_200600_302600_NS6detail15normal_iteratorINS9_10device_ptrIiEEEENSB_INSC_IfEEEEiNS9_4plusIvEEiEEDaPvRmT3_T4_T5_mT6_P12ihipStream_tbENKUlT_T0_E_clISt17integral_constantIbLb1EESW_EEDaSR_SS_EUlSR_E_NS1_11comp_targetILNS1_3genE2ELNS1_11target_archE906ELNS1_3gpuE6ELNS1_3repE0EEENS1_30default_config_static_selectorELNS0_4arch9wavefront6targetE1EEEvT1_
	.globl	_ZN7rocprim17ROCPRIM_400000_NS6detail17trampoline_kernelINS0_14default_configENS1_20scan_config_selectorIiEEZZNS1_9scan_implILNS1_25lookback_scan_determinismE0ELb0ELb0ES3_N6thrust23THRUST_200600_302600_NS6detail15normal_iteratorINS9_10device_ptrIiEEEENSB_INSC_IfEEEEiNS9_4plusIvEEiEEDaPvRmT3_T4_T5_mT6_P12ihipStream_tbENKUlT_T0_E_clISt17integral_constantIbLb1EESW_EEDaSR_SS_EUlSR_E_NS1_11comp_targetILNS1_3genE2ELNS1_11target_archE906ELNS1_3gpuE6ELNS1_3repE0EEENS1_30default_config_static_selectorELNS0_4arch9wavefront6targetE1EEEvT1_
	.p2align	8
	.type	_ZN7rocprim17ROCPRIM_400000_NS6detail17trampoline_kernelINS0_14default_configENS1_20scan_config_selectorIiEEZZNS1_9scan_implILNS1_25lookback_scan_determinismE0ELb0ELb0ES3_N6thrust23THRUST_200600_302600_NS6detail15normal_iteratorINS9_10device_ptrIiEEEENSB_INSC_IfEEEEiNS9_4plusIvEEiEEDaPvRmT3_T4_T5_mT6_P12ihipStream_tbENKUlT_T0_E_clISt17integral_constantIbLb1EESW_EEDaSR_SS_EUlSR_E_NS1_11comp_targetILNS1_3genE2ELNS1_11target_archE906ELNS1_3gpuE6ELNS1_3repE0EEENS1_30default_config_static_selectorELNS0_4arch9wavefront6targetE1EEEvT1_,@function
_ZN7rocprim17ROCPRIM_400000_NS6detail17trampoline_kernelINS0_14default_configENS1_20scan_config_selectorIiEEZZNS1_9scan_implILNS1_25lookback_scan_determinismE0ELb0ELb0ES3_N6thrust23THRUST_200600_302600_NS6detail15normal_iteratorINS9_10device_ptrIiEEEENSB_INSC_IfEEEEiNS9_4plusIvEEiEEDaPvRmT3_T4_T5_mT6_P12ihipStream_tbENKUlT_T0_E_clISt17integral_constantIbLb1EESW_EEDaSR_SS_EUlSR_E_NS1_11comp_targetILNS1_3genE2ELNS1_11target_archE906ELNS1_3gpuE6ELNS1_3repE0EEENS1_30default_config_static_selectorELNS0_4arch9wavefront6targetE1EEEvT1_: ; @_ZN7rocprim17ROCPRIM_400000_NS6detail17trampoline_kernelINS0_14default_configENS1_20scan_config_selectorIiEEZZNS1_9scan_implILNS1_25lookback_scan_determinismE0ELb0ELb0ES3_N6thrust23THRUST_200600_302600_NS6detail15normal_iteratorINS9_10device_ptrIiEEEENSB_INSC_IfEEEEiNS9_4plusIvEEiEEDaPvRmT3_T4_T5_mT6_P12ihipStream_tbENKUlT_T0_E_clISt17integral_constantIbLb1EESW_EEDaSR_SS_EUlSR_E_NS1_11comp_targetILNS1_3genE2ELNS1_11target_archE906ELNS1_3gpuE6ELNS1_3repE0EEENS1_30default_config_static_selectorELNS0_4arch9wavefront6targetE1EEEvT1_
; %bb.0:
	.section	.rodata,"a",@progbits
	.p2align	6, 0x0
	.amdhsa_kernel _ZN7rocprim17ROCPRIM_400000_NS6detail17trampoline_kernelINS0_14default_configENS1_20scan_config_selectorIiEEZZNS1_9scan_implILNS1_25lookback_scan_determinismE0ELb0ELb0ES3_N6thrust23THRUST_200600_302600_NS6detail15normal_iteratorINS9_10device_ptrIiEEEENSB_INSC_IfEEEEiNS9_4plusIvEEiEEDaPvRmT3_T4_T5_mT6_P12ihipStream_tbENKUlT_T0_E_clISt17integral_constantIbLb1EESW_EEDaSR_SS_EUlSR_E_NS1_11comp_targetILNS1_3genE2ELNS1_11target_archE906ELNS1_3gpuE6ELNS1_3repE0EEENS1_30default_config_static_selectorELNS0_4arch9wavefront6targetE1EEEvT1_
		.amdhsa_group_segment_fixed_size 0
		.amdhsa_private_segment_fixed_size 0
		.amdhsa_kernarg_size 96
		.amdhsa_user_sgpr_count 6
		.amdhsa_user_sgpr_private_segment_buffer 1
		.amdhsa_user_sgpr_dispatch_ptr 0
		.amdhsa_user_sgpr_queue_ptr 0
		.amdhsa_user_sgpr_kernarg_segment_ptr 1
		.amdhsa_user_sgpr_dispatch_id 0
		.amdhsa_user_sgpr_flat_scratch_init 0
		.amdhsa_user_sgpr_kernarg_preload_length 0
		.amdhsa_user_sgpr_kernarg_preload_offset 0
		.amdhsa_user_sgpr_private_segment_size 0
		.amdhsa_uses_dynamic_stack 0
		.amdhsa_system_sgpr_private_segment_wavefront_offset 0
		.amdhsa_system_sgpr_workgroup_id_x 1
		.amdhsa_system_sgpr_workgroup_id_y 0
		.amdhsa_system_sgpr_workgroup_id_z 0
		.amdhsa_system_sgpr_workgroup_info 0
		.amdhsa_system_vgpr_workitem_id 0
		.amdhsa_next_free_vgpr 1
		.amdhsa_next_free_sgpr 0
		.amdhsa_accum_offset 4
		.amdhsa_reserve_vcc 0
		.amdhsa_reserve_flat_scratch 0
		.amdhsa_float_round_mode_32 0
		.amdhsa_float_round_mode_16_64 0
		.amdhsa_float_denorm_mode_32 3
		.amdhsa_float_denorm_mode_16_64 3
		.amdhsa_dx10_clamp 1
		.amdhsa_ieee_mode 1
		.amdhsa_fp16_overflow 0
		.amdhsa_tg_split 0
		.amdhsa_exception_fp_ieee_invalid_op 0
		.amdhsa_exception_fp_denorm_src 0
		.amdhsa_exception_fp_ieee_div_zero 0
		.amdhsa_exception_fp_ieee_overflow 0
		.amdhsa_exception_fp_ieee_underflow 0
		.amdhsa_exception_fp_ieee_inexact 0
		.amdhsa_exception_int_div_zero 0
	.end_amdhsa_kernel
	.section	.text._ZN7rocprim17ROCPRIM_400000_NS6detail17trampoline_kernelINS0_14default_configENS1_20scan_config_selectorIiEEZZNS1_9scan_implILNS1_25lookback_scan_determinismE0ELb0ELb0ES3_N6thrust23THRUST_200600_302600_NS6detail15normal_iteratorINS9_10device_ptrIiEEEENSB_INSC_IfEEEEiNS9_4plusIvEEiEEDaPvRmT3_T4_T5_mT6_P12ihipStream_tbENKUlT_T0_E_clISt17integral_constantIbLb1EESW_EEDaSR_SS_EUlSR_E_NS1_11comp_targetILNS1_3genE2ELNS1_11target_archE906ELNS1_3gpuE6ELNS1_3repE0EEENS1_30default_config_static_selectorELNS0_4arch9wavefront6targetE1EEEvT1_,"axG",@progbits,_ZN7rocprim17ROCPRIM_400000_NS6detail17trampoline_kernelINS0_14default_configENS1_20scan_config_selectorIiEEZZNS1_9scan_implILNS1_25lookback_scan_determinismE0ELb0ELb0ES3_N6thrust23THRUST_200600_302600_NS6detail15normal_iteratorINS9_10device_ptrIiEEEENSB_INSC_IfEEEEiNS9_4plusIvEEiEEDaPvRmT3_T4_T5_mT6_P12ihipStream_tbENKUlT_T0_E_clISt17integral_constantIbLb1EESW_EEDaSR_SS_EUlSR_E_NS1_11comp_targetILNS1_3genE2ELNS1_11target_archE906ELNS1_3gpuE6ELNS1_3repE0EEENS1_30default_config_static_selectorELNS0_4arch9wavefront6targetE1EEEvT1_,comdat
.Lfunc_end1663:
	.size	_ZN7rocprim17ROCPRIM_400000_NS6detail17trampoline_kernelINS0_14default_configENS1_20scan_config_selectorIiEEZZNS1_9scan_implILNS1_25lookback_scan_determinismE0ELb0ELb0ES3_N6thrust23THRUST_200600_302600_NS6detail15normal_iteratorINS9_10device_ptrIiEEEENSB_INSC_IfEEEEiNS9_4plusIvEEiEEDaPvRmT3_T4_T5_mT6_P12ihipStream_tbENKUlT_T0_E_clISt17integral_constantIbLb1EESW_EEDaSR_SS_EUlSR_E_NS1_11comp_targetILNS1_3genE2ELNS1_11target_archE906ELNS1_3gpuE6ELNS1_3repE0EEENS1_30default_config_static_selectorELNS0_4arch9wavefront6targetE1EEEvT1_, .Lfunc_end1663-_ZN7rocprim17ROCPRIM_400000_NS6detail17trampoline_kernelINS0_14default_configENS1_20scan_config_selectorIiEEZZNS1_9scan_implILNS1_25lookback_scan_determinismE0ELb0ELb0ES3_N6thrust23THRUST_200600_302600_NS6detail15normal_iteratorINS9_10device_ptrIiEEEENSB_INSC_IfEEEEiNS9_4plusIvEEiEEDaPvRmT3_T4_T5_mT6_P12ihipStream_tbENKUlT_T0_E_clISt17integral_constantIbLb1EESW_EEDaSR_SS_EUlSR_E_NS1_11comp_targetILNS1_3genE2ELNS1_11target_archE906ELNS1_3gpuE6ELNS1_3repE0EEENS1_30default_config_static_selectorELNS0_4arch9wavefront6targetE1EEEvT1_
                                        ; -- End function
	.section	.AMDGPU.csdata,"",@progbits
; Kernel info:
; codeLenInByte = 0
; NumSgprs: 4
; NumVgprs: 0
; NumAgprs: 0
; TotalNumVgprs: 0
; ScratchSize: 0
; MemoryBound: 0
; FloatMode: 240
; IeeeMode: 1
; LDSByteSize: 0 bytes/workgroup (compile time only)
; SGPRBlocks: 0
; VGPRBlocks: 0
; NumSGPRsForWavesPerEU: 4
; NumVGPRsForWavesPerEU: 1
; AccumOffset: 4
; Occupancy: 8
; WaveLimiterHint : 0
; COMPUTE_PGM_RSRC2:SCRATCH_EN: 0
; COMPUTE_PGM_RSRC2:USER_SGPR: 6
; COMPUTE_PGM_RSRC2:TRAP_HANDLER: 0
; COMPUTE_PGM_RSRC2:TGID_X_EN: 1
; COMPUTE_PGM_RSRC2:TGID_Y_EN: 0
; COMPUTE_PGM_RSRC2:TGID_Z_EN: 0
; COMPUTE_PGM_RSRC2:TIDIG_COMP_CNT: 0
; COMPUTE_PGM_RSRC3_GFX90A:ACCUM_OFFSET: 0
; COMPUTE_PGM_RSRC3_GFX90A:TG_SPLIT: 0
	.section	.text._ZN7rocprim17ROCPRIM_400000_NS6detail17trampoline_kernelINS0_14default_configENS1_20scan_config_selectorIiEEZZNS1_9scan_implILNS1_25lookback_scan_determinismE0ELb0ELb0ES3_N6thrust23THRUST_200600_302600_NS6detail15normal_iteratorINS9_10device_ptrIiEEEENSB_INSC_IfEEEEiNS9_4plusIvEEiEEDaPvRmT3_T4_T5_mT6_P12ihipStream_tbENKUlT_T0_E_clISt17integral_constantIbLb1EESW_EEDaSR_SS_EUlSR_E_NS1_11comp_targetILNS1_3genE10ELNS1_11target_archE1201ELNS1_3gpuE5ELNS1_3repE0EEENS1_30default_config_static_selectorELNS0_4arch9wavefront6targetE1EEEvT1_,"axG",@progbits,_ZN7rocprim17ROCPRIM_400000_NS6detail17trampoline_kernelINS0_14default_configENS1_20scan_config_selectorIiEEZZNS1_9scan_implILNS1_25lookback_scan_determinismE0ELb0ELb0ES3_N6thrust23THRUST_200600_302600_NS6detail15normal_iteratorINS9_10device_ptrIiEEEENSB_INSC_IfEEEEiNS9_4plusIvEEiEEDaPvRmT3_T4_T5_mT6_P12ihipStream_tbENKUlT_T0_E_clISt17integral_constantIbLb1EESW_EEDaSR_SS_EUlSR_E_NS1_11comp_targetILNS1_3genE10ELNS1_11target_archE1201ELNS1_3gpuE5ELNS1_3repE0EEENS1_30default_config_static_selectorELNS0_4arch9wavefront6targetE1EEEvT1_,comdat
	.protected	_ZN7rocprim17ROCPRIM_400000_NS6detail17trampoline_kernelINS0_14default_configENS1_20scan_config_selectorIiEEZZNS1_9scan_implILNS1_25lookback_scan_determinismE0ELb0ELb0ES3_N6thrust23THRUST_200600_302600_NS6detail15normal_iteratorINS9_10device_ptrIiEEEENSB_INSC_IfEEEEiNS9_4plusIvEEiEEDaPvRmT3_T4_T5_mT6_P12ihipStream_tbENKUlT_T0_E_clISt17integral_constantIbLb1EESW_EEDaSR_SS_EUlSR_E_NS1_11comp_targetILNS1_3genE10ELNS1_11target_archE1201ELNS1_3gpuE5ELNS1_3repE0EEENS1_30default_config_static_selectorELNS0_4arch9wavefront6targetE1EEEvT1_ ; -- Begin function _ZN7rocprim17ROCPRIM_400000_NS6detail17trampoline_kernelINS0_14default_configENS1_20scan_config_selectorIiEEZZNS1_9scan_implILNS1_25lookback_scan_determinismE0ELb0ELb0ES3_N6thrust23THRUST_200600_302600_NS6detail15normal_iteratorINS9_10device_ptrIiEEEENSB_INSC_IfEEEEiNS9_4plusIvEEiEEDaPvRmT3_T4_T5_mT6_P12ihipStream_tbENKUlT_T0_E_clISt17integral_constantIbLb1EESW_EEDaSR_SS_EUlSR_E_NS1_11comp_targetILNS1_3genE10ELNS1_11target_archE1201ELNS1_3gpuE5ELNS1_3repE0EEENS1_30default_config_static_selectorELNS0_4arch9wavefront6targetE1EEEvT1_
	.globl	_ZN7rocprim17ROCPRIM_400000_NS6detail17trampoline_kernelINS0_14default_configENS1_20scan_config_selectorIiEEZZNS1_9scan_implILNS1_25lookback_scan_determinismE0ELb0ELb0ES3_N6thrust23THRUST_200600_302600_NS6detail15normal_iteratorINS9_10device_ptrIiEEEENSB_INSC_IfEEEEiNS9_4plusIvEEiEEDaPvRmT3_T4_T5_mT6_P12ihipStream_tbENKUlT_T0_E_clISt17integral_constantIbLb1EESW_EEDaSR_SS_EUlSR_E_NS1_11comp_targetILNS1_3genE10ELNS1_11target_archE1201ELNS1_3gpuE5ELNS1_3repE0EEENS1_30default_config_static_selectorELNS0_4arch9wavefront6targetE1EEEvT1_
	.p2align	8
	.type	_ZN7rocprim17ROCPRIM_400000_NS6detail17trampoline_kernelINS0_14default_configENS1_20scan_config_selectorIiEEZZNS1_9scan_implILNS1_25lookback_scan_determinismE0ELb0ELb0ES3_N6thrust23THRUST_200600_302600_NS6detail15normal_iteratorINS9_10device_ptrIiEEEENSB_INSC_IfEEEEiNS9_4plusIvEEiEEDaPvRmT3_T4_T5_mT6_P12ihipStream_tbENKUlT_T0_E_clISt17integral_constantIbLb1EESW_EEDaSR_SS_EUlSR_E_NS1_11comp_targetILNS1_3genE10ELNS1_11target_archE1201ELNS1_3gpuE5ELNS1_3repE0EEENS1_30default_config_static_selectorELNS0_4arch9wavefront6targetE1EEEvT1_,@function
_ZN7rocprim17ROCPRIM_400000_NS6detail17trampoline_kernelINS0_14default_configENS1_20scan_config_selectorIiEEZZNS1_9scan_implILNS1_25lookback_scan_determinismE0ELb0ELb0ES3_N6thrust23THRUST_200600_302600_NS6detail15normal_iteratorINS9_10device_ptrIiEEEENSB_INSC_IfEEEEiNS9_4plusIvEEiEEDaPvRmT3_T4_T5_mT6_P12ihipStream_tbENKUlT_T0_E_clISt17integral_constantIbLb1EESW_EEDaSR_SS_EUlSR_E_NS1_11comp_targetILNS1_3genE10ELNS1_11target_archE1201ELNS1_3gpuE5ELNS1_3repE0EEENS1_30default_config_static_selectorELNS0_4arch9wavefront6targetE1EEEvT1_: ; @_ZN7rocprim17ROCPRIM_400000_NS6detail17trampoline_kernelINS0_14default_configENS1_20scan_config_selectorIiEEZZNS1_9scan_implILNS1_25lookback_scan_determinismE0ELb0ELb0ES3_N6thrust23THRUST_200600_302600_NS6detail15normal_iteratorINS9_10device_ptrIiEEEENSB_INSC_IfEEEEiNS9_4plusIvEEiEEDaPvRmT3_T4_T5_mT6_P12ihipStream_tbENKUlT_T0_E_clISt17integral_constantIbLb1EESW_EEDaSR_SS_EUlSR_E_NS1_11comp_targetILNS1_3genE10ELNS1_11target_archE1201ELNS1_3gpuE5ELNS1_3repE0EEENS1_30default_config_static_selectorELNS0_4arch9wavefront6targetE1EEEvT1_
; %bb.0:
	.section	.rodata,"a",@progbits
	.p2align	6, 0x0
	.amdhsa_kernel _ZN7rocprim17ROCPRIM_400000_NS6detail17trampoline_kernelINS0_14default_configENS1_20scan_config_selectorIiEEZZNS1_9scan_implILNS1_25lookback_scan_determinismE0ELb0ELb0ES3_N6thrust23THRUST_200600_302600_NS6detail15normal_iteratorINS9_10device_ptrIiEEEENSB_INSC_IfEEEEiNS9_4plusIvEEiEEDaPvRmT3_T4_T5_mT6_P12ihipStream_tbENKUlT_T0_E_clISt17integral_constantIbLb1EESW_EEDaSR_SS_EUlSR_E_NS1_11comp_targetILNS1_3genE10ELNS1_11target_archE1201ELNS1_3gpuE5ELNS1_3repE0EEENS1_30default_config_static_selectorELNS0_4arch9wavefront6targetE1EEEvT1_
		.amdhsa_group_segment_fixed_size 0
		.amdhsa_private_segment_fixed_size 0
		.amdhsa_kernarg_size 96
		.amdhsa_user_sgpr_count 6
		.amdhsa_user_sgpr_private_segment_buffer 1
		.amdhsa_user_sgpr_dispatch_ptr 0
		.amdhsa_user_sgpr_queue_ptr 0
		.amdhsa_user_sgpr_kernarg_segment_ptr 1
		.amdhsa_user_sgpr_dispatch_id 0
		.amdhsa_user_sgpr_flat_scratch_init 0
		.amdhsa_user_sgpr_kernarg_preload_length 0
		.amdhsa_user_sgpr_kernarg_preload_offset 0
		.amdhsa_user_sgpr_private_segment_size 0
		.amdhsa_uses_dynamic_stack 0
		.amdhsa_system_sgpr_private_segment_wavefront_offset 0
		.amdhsa_system_sgpr_workgroup_id_x 1
		.amdhsa_system_sgpr_workgroup_id_y 0
		.amdhsa_system_sgpr_workgroup_id_z 0
		.amdhsa_system_sgpr_workgroup_info 0
		.amdhsa_system_vgpr_workitem_id 0
		.amdhsa_next_free_vgpr 1
		.amdhsa_next_free_sgpr 0
		.amdhsa_accum_offset 4
		.amdhsa_reserve_vcc 0
		.amdhsa_reserve_flat_scratch 0
		.amdhsa_float_round_mode_32 0
		.amdhsa_float_round_mode_16_64 0
		.amdhsa_float_denorm_mode_32 3
		.amdhsa_float_denorm_mode_16_64 3
		.amdhsa_dx10_clamp 1
		.amdhsa_ieee_mode 1
		.amdhsa_fp16_overflow 0
		.amdhsa_tg_split 0
		.amdhsa_exception_fp_ieee_invalid_op 0
		.amdhsa_exception_fp_denorm_src 0
		.amdhsa_exception_fp_ieee_div_zero 0
		.amdhsa_exception_fp_ieee_overflow 0
		.amdhsa_exception_fp_ieee_underflow 0
		.amdhsa_exception_fp_ieee_inexact 0
		.amdhsa_exception_int_div_zero 0
	.end_amdhsa_kernel
	.section	.text._ZN7rocprim17ROCPRIM_400000_NS6detail17trampoline_kernelINS0_14default_configENS1_20scan_config_selectorIiEEZZNS1_9scan_implILNS1_25lookback_scan_determinismE0ELb0ELb0ES3_N6thrust23THRUST_200600_302600_NS6detail15normal_iteratorINS9_10device_ptrIiEEEENSB_INSC_IfEEEEiNS9_4plusIvEEiEEDaPvRmT3_T4_T5_mT6_P12ihipStream_tbENKUlT_T0_E_clISt17integral_constantIbLb1EESW_EEDaSR_SS_EUlSR_E_NS1_11comp_targetILNS1_3genE10ELNS1_11target_archE1201ELNS1_3gpuE5ELNS1_3repE0EEENS1_30default_config_static_selectorELNS0_4arch9wavefront6targetE1EEEvT1_,"axG",@progbits,_ZN7rocprim17ROCPRIM_400000_NS6detail17trampoline_kernelINS0_14default_configENS1_20scan_config_selectorIiEEZZNS1_9scan_implILNS1_25lookback_scan_determinismE0ELb0ELb0ES3_N6thrust23THRUST_200600_302600_NS6detail15normal_iteratorINS9_10device_ptrIiEEEENSB_INSC_IfEEEEiNS9_4plusIvEEiEEDaPvRmT3_T4_T5_mT6_P12ihipStream_tbENKUlT_T0_E_clISt17integral_constantIbLb1EESW_EEDaSR_SS_EUlSR_E_NS1_11comp_targetILNS1_3genE10ELNS1_11target_archE1201ELNS1_3gpuE5ELNS1_3repE0EEENS1_30default_config_static_selectorELNS0_4arch9wavefront6targetE1EEEvT1_,comdat
.Lfunc_end1664:
	.size	_ZN7rocprim17ROCPRIM_400000_NS6detail17trampoline_kernelINS0_14default_configENS1_20scan_config_selectorIiEEZZNS1_9scan_implILNS1_25lookback_scan_determinismE0ELb0ELb0ES3_N6thrust23THRUST_200600_302600_NS6detail15normal_iteratorINS9_10device_ptrIiEEEENSB_INSC_IfEEEEiNS9_4plusIvEEiEEDaPvRmT3_T4_T5_mT6_P12ihipStream_tbENKUlT_T0_E_clISt17integral_constantIbLb1EESW_EEDaSR_SS_EUlSR_E_NS1_11comp_targetILNS1_3genE10ELNS1_11target_archE1201ELNS1_3gpuE5ELNS1_3repE0EEENS1_30default_config_static_selectorELNS0_4arch9wavefront6targetE1EEEvT1_, .Lfunc_end1664-_ZN7rocprim17ROCPRIM_400000_NS6detail17trampoline_kernelINS0_14default_configENS1_20scan_config_selectorIiEEZZNS1_9scan_implILNS1_25lookback_scan_determinismE0ELb0ELb0ES3_N6thrust23THRUST_200600_302600_NS6detail15normal_iteratorINS9_10device_ptrIiEEEENSB_INSC_IfEEEEiNS9_4plusIvEEiEEDaPvRmT3_T4_T5_mT6_P12ihipStream_tbENKUlT_T0_E_clISt17integral_constantIbLb1EESW_EEDaSR_SS_EUlSR_E_NS1_11comp_targetILNS1_3genE10ELNS1_11target_archE1201ELNS1_3gpuE5ELNS1_3repE0EEENS1_30default_config_static_selectorELNS0_4arch9wavefront6targetE1EEEvT1_
                                        ; -- End function
	.section	.AMDGPU.csdata,"",@progbits
; Kernel info:
; codeLenInByte = 0
; NumSgprs: 4
; NumVgprs: 0
; NumAgprs: 0
; TotalNumVgprs: 0
; ScratchSize: 0
; MemoryBound: 0
; FloatMode: 240
; IeeeMode: 1
; LDSByteSize: 0 bytes/workgroup (compile time only)
; SGPRBlocks: 0
; VGPRBlocks: 0
; NumSGPRsForWavesPerEU: 4
; NumVGPRsForWavesPerEU: 1
; AccumOffset: 4
; Occupancy: 8
; WaveLimiterHint : 0
; COMPUTE_PGM_RSRC2:SCRATCH_EN: 0
; COMPUTE_PGM_RSRC2:USER_SGPR: 6
; COMPUTE_PGM_RSRC2:TRAP_HANDLER: 0
; COMPUTE_PGM_RSRC2:TGID_X_EN: 1
; COMPUTE_PGM_RSRC2:TGID_Y_EN: 0
; COMPUTE_PGM_RSRC2:TGID_Z_EN: 0
; COMPUTE_PGM_RSRC2:TIDIG_COMP_CNT: 0
; COMPUTE_PGM_RSRC3_GFX90A:ACCUM_OFFSET: 0
; COMPUTE_PGM_RSRC3_GFX90A:TG_SPLIT: 0
	.section	.text._ZN7rocprim17ROCPRIM_400000_NS6detail17trampoline_kernelINS0_14default_configENS1_20scan_config_selectorIiEEZZNS1_9scan_implILNS1_25lookback_scan_determinismE0ELb0ELb0ES3_N6thrust23THRUST_200600_302600_NS6detail15normal_iteratorINS9_10device_ptrIiEEEENSB_INSC_IfEEEEiNS9_4plusIvEEiEEDaPvRmT3_T4_T5_mT6_P12ihipStream_tbENKUlT_T0_E_clISt17integral_constantIbLb1EESW_EEDaSR_SS_EUlSR_E_NS1_11comp_targetILNS1_3genE10ELNS1_11target_archE1200ELNS1_3gpuE4ELNS1_3repE0EEENS1_30default_config_static_selectorELNS0_4arch9wavefront6targetE1EEEvT1_,"axG",@progbits,_ZN7rocprim17ROCPRIM_400000_NS6detail17trampoline_kernelINS0_14default_configENS1_20scan_config_selectorIiEEZZNS1_9scan_implILNS1_25lookback_scan_determinismE0ELb0ELb0ES3_N6thrust23THRUST_200600_302600_NS6detail15normal_iteratorINS9_10device_ptrIiEEEENSB_INSC_IfEEEEiNS9_4plusIvEEiEEDaPvRmT3_T4_T5_mT6_P12ihipStream_tbENKUlT_T0_E_clISt17integral_constantIbLb1EESW_EEDaSR_SS_EUlSR_E_NS1_11comp_targetILNS1_3genE10ELNS1_11target_archE1200ELNS1_3gpuE4ELNS1_3repE0EEENS1_30default_config_static_selectorELNS0_4arch9wavefront6targetE1EEEvT1_,comdat
	.protected	_ZN7rocprim17ROCPRIM_400000_NS6detail17trampoline_kernelINS0_14default_configENS1_20scan_config_selectorIiEEZZNS1_9scan_implILNS1_25lookback_scan_determinismE0ELb0ELb0ES3_N6thrust23THRUST_200600_302600_NS6detail15normal_iteratorINS9_10device_ptrIiEEEENSB_INSC_IfEEEEiNS9_4plusIvEEiEEDaPvRmT3_T4_T5_mT6_P12ihipStream_tbENKUlT_T0_E_clISt17integral_constantIbLb1EESW_EEDaSR_SS_EUlSR_E_NS1_11comp_targetILNS1_3genE10ELNS1_11target_archE1200ELNS1_3gpuE4ELNS1_3repE0EEENS1_30default_config_static_selectorELNS0_4arch9wavefront6targetE1EEEvT1_ ; -- Begin function _ZN7rocprim17ROCPRIM_400000_NS6detail17trampoline_kernelINS0_14default_configENS1_20scan_config_selectorIiEEZZNS1_9scan_implILNS1_25lookback_scan_determinismE0ELb0ELb0ES3_N6thrust23THRUST_200600_302600_NS6detail15normal_iteratorINS9_10device_ptrIiEEEENSB_INSC_IfEEEEiNS9_4plusIvEEiEEDaPvRmT3_T4_T5_mT6_P12ihipStream_tbENKUlT_T0_E_clISt17integral_constantIbLb1EESW_EEDaSR_SS_EUlSR_E_NS1_11comp_targetILNS1_3genE10ELNS1_11target_archE1200ELNS1_3gpuE4ELNS1_3repE0EEENS1_30default_config_static_selectorELNS0_4arch9wavefront6targetE1EEEvT1_
	.globl	_ZN7rocprim17ROCPRIM_400000_NS6detail17trampoline_kernelINS0_14default_configENS1_20scan_config_selectorIiEEZZNS1_9scan_implILNS1_25lookback_scan_determinismE0ELb0ELb0ES3_N6thrust23THRUST_200600_302600_NS6detail15normal_iteratorINS9_10device_ptrIiEEEENSB_INSC_IfEEEEiNS9_4plusIvEEiEEDaPvRmT3_T4_T5_mT6_P12ihipStream_tbENKUlT_T0_E_clISt17integral_constantIbLb1EESW_EEDaSR_SS_EUlSR_E_NS1_11comp_targetILNS1_3genE10ELNS1_11target_archE1200ELNS1_3gpuE4ELNS1_3repE0EEENS1_30default_config_static_selectorELNS0_4arch9wavefront6targetE1EEEvT1_
	.p2align	8
	.type	_ZN7rocprim17ROCPRIM_400000_NS6detail17trampoline_kernelINS0_14default_configENS1_20scan_config_selectorIiEEZZNS1_9scan_implILNS1_25lookback_scan_determinismE0ELb0ELb0ES3_N6thrust23THRUST_200600_302600_NS6detail15normal_iteratorINS9_10device_ptrIiEEEENSB_INSC_IfEEEEiNS9_4plusIvEEiEEDaPvRmT3_T4_T5_mT6_P12ihipStream_tbENKUlT_T0_E_clISt17integral_constantIbLb1EESW_EEDaSR_SS_EUlSR_E_NS1_11comp_targetILNS1_3genE10ELNS1_11target_archE1200ELNS1_3gpuE4ELNS1_3repE0EEENS1_30default_config_static_selectorELNS0_4arch9wavefront6targetE1EEEvT1_,@function
_ZN7rocprim17ROCPRIM_400000_NS6detail17trampoline_kernelINS0_14default_configENS1_20scan_config_selectorIiEEZZNS1_9scan_implILNS1_25lookback_scan_determinismE0ELb0ELb0ES3_N6thrust23THRUST_200600_302600_NS6detail15normal_iteratorINS9_10device_ptrIiEEEENSB_INSC_IfEEEEiNS9_4plusIvEEiEEDaPvRmT3_T4_T5_mT6_P12ihipStream_tbENKUlT_T0_E_clISt17integral_constantIbLb1EESW_EEDaSR_SS_EUlSR_E_NS1_11comp_targetILNS1_3genE10ELNS1_11target_archE1200ELNS1_3gpuE4ELNS1_3repE0EEENS1_30default_config_static_selectorELNS0_4arch9wavefront6targetE1EEEvT1_: ; @_ZN7rocprim17ROCPRIM_400000_NS6detail17trampoline_kernelINS0_14default_configENS1_20scan_config_selectorIiEEZZNS1_9scan_implILNS1_25lookback_scan_determinismE0ELb0ELb0ES3_N6thrust23THRUST_200600_302600_NS6detail15normal_iteratorINS9_10device_ptrIiEEEENSB_INSC_IfEEEEiNS9_4plusIvEEiEEDaPvRmT3_T4_T5_mT6_P12ihipStream_tbENKUlT_T0_E_clISt17integral_constantIbLb1EESW_EEDaSR_SS_EUlSR_E_NS1_11comp_targetILNS1_3genE10ELNS1_11target_archE1200ELNS1_3gpuE4ELNS1_3repE0EEENS1_30default_config_static_selectorELNS0_4arch9wavefront6targetE1EEEvT1_
; %bb.0:
	.section	.rodata,"a",@progbits
	.p2align	6, 0x0
	.amdhsa_kernel _ZN7rocprim17ROCPRIM_400000_NS6detail17trampoline_kernelINS0_14default_configENS1_20scan_config_selectorIiEEZZNS1_9scan_implILNS1_25lookback_scan_determinismE0ELb0ELb0ES3_N6thrust23THRUST_200600_302600_NS6detail15normal_iteratorINS9_10device_ptrIiEEEENSB_INSC_IfEEEEiNS9_4plusIvEEiEEDaPvRmT3_T4_T5_mT6_P12ihipStream_tbENKUlT_T0_E_clISt17integral_constantIbLb1EESW_EEDaSR_SS_EUlSR_E_NS1_11comp_targetILNS1_3genE10ELNS1_11target_archE1200ELNS1_3gpuE4ELNS1_3repE0EEENS1_30default_config_static_selectorELNS0_4arch9wavefront6targetE1EEEvT1_
		.amdhsa_group_segment_fixed_size 0
		.amdhsa_private_segment_fixed_size 0
		.amdhsa_kernarg_size 96
		.amdhsa_user_sgpr_count 6
		.amdhsa_user_sgpr_private_segment_buffer 1
		.amdhsa_user_sgpr_dispatch_ptr 0
		.amdhsa_user_sgpr_queue_ptr 0
		.amdhsa_user_sgpr_kernarg_segment_ptr 1
		.amdhsa_user_sgpr_dispatch_id 0
		.amdhsa_user_sgpr_flat_scratch_init 0
		.amdhsa_user_sgpr_kernarg_preload_length 0
		.amdhsa_user_sgpr_kernarg_preload_offset 0
		.amdhsa_user_sgpr_private_segment_size 0
		.amdhsa_uses_dynamic_stack 0
		.amdhsa_system_sgpr_private_segment_wavefront_offset 0
		.amdhsa_system_sgpr_workgroup_id_x 1
		.amdhsa_system_sgpr_workgroup_id_y 0
		.amdhsa_system_sgpr_workgroup_id_z 0
		.amdhsa_system_sgpr_workgroup_info 0
		.amdhsa_system_vgpr_workitem_id 0
		.amdhsa_next_free_vgpr 1
		.amdhsa_next_free_sgpr 0
		.amdhsa_accum_offset 4
		.amdhsa_reserve_vcc 0
		.amdhsa_reserve_flat_scratch 0
		.amdhsa_float_round_mode_32 0
		.amdhsa_float_round_mode_16_64 0
		.amdhsa_float_denorm_mode_32 3
		.amdhsa_float_denorm_mode_16_64 3
		.amdhsa_dx10_clamp 1
		.amdhsa_ieee_mode 1
		.amdhsa_fp16_overflow 0
		.amdhsa_tg_split 0
		.amdhsa_exception_fp_ieee_invalid_op 0
		.amdhsa_exception_fp_denorm_src 0
		.amdhsa_exception_fp_ieee_div_zero 0
		.amdhsa_exception_fp_ieee_overflow 0
		.amdhsa_exception_fp_ieee_underflow 0
		.amdhsa_exception_fp_ieee_inexact 0
		.amdhsa_exception_int_div_zero 0
	.end_amdhsa_kernel
	.section	.text._ZN7rocprim17ROCPRIM_400000_NS6detail17trampoline_kernelINS0_14default_configENS1_20scan_config_selectorIiEEZZNS1_9scan_implILNS1_25lookback_scan_determinismE0ELb0ELb0ES3_N6thrust23THRUST_200600_302600_NS6detail15normal_iteratorINS9_10device_ptrIiEEEENSB_INSC_IfEEEEiNS9_4plusIvEEiEEDaPvRmT3_T4_T5_mT6_P12ihipStream_tbENKUlT_T0_E_clISt17integral_constantIbLb1EESW_EEDaSR_SS_EUlSR_E_NS1_11comp_targetILNS1_3genE10ELNS1_11target_archE1200ELNS1_3gpuE4ELNS1_3repE0EEENS1_30default_config_static_selectorELNS0_4arch9wavefront6targetE1EEEvT1_,"axG",@progbits,_ZN7rocprim17ROCPRIM_400000_NS6detail17trampoline_kernelINS0_14default_configENS1_20scan_config_selectorIiEEZZNS1_9scan_implILNS1_25lookback_scan_determinismE0ELb0ELb0ES3_N6thrust23THRUST_200600_302600_NS6detail15normal_iteratorINS9_10device_ptrIiEEEENSB_INSC_IfEEEEiNS9_4plusIvEEiEEDaPvRmT3_T4_T5_mT6_P12ihipStream_tbENKUlT_T0_E_clISt17integral_constantIbLb1EESW_EEDaSR_SS_EUlSR_E_NS1_11comp_targetILNS1_3genE10ELNS1_11target_archE1200ELNS1_3gpuE4ELNS1_3repE0EEENS1_30default_config_static_selectorELNS0_4arch9wavefront6targetE1EEEvT1_,comdat
.Lfunc_end1665:
	.size	_ZN7rocprim17ROCPRIM_400000_NS6detail17trampoline_kernelINS0_14default_configENS1_20scan_config_selectorIiEEZZNS1_9scan_implILNS1_25lookback_scan_determinismE0ELb0ELb0ES3_N6thrust23THRUST_200600_302600_NS6detail15normal_iteratorINS9_10device_ptrIiEEEENSB_INSC_IfEEEEiNS9_4plusIvEEiEEDaPvRmT3_T4_T5_mT6_P12ihipStream_tbENKUlT_T0_E_clISt17integral_constantIbLb1EESW_EEDaSR_SS_EUlSR_E_NS1_11comp_targetILNS1_3genE10ELNS1_11target_archE1200ELNS1_3gpuE4ELNS1_3repE0EEENS1_30default_config_static_selectorELNS0_4arch9wavefront6targetE1EEEvT1_, .Lfunc_end1665-_ZN7rocprim17ROCPRIM_400000_NS6detail17trampoline_kernelINS0_14default_configENS1_20scan_config_selectorIiEEZZNS1_9scan_implILNS1_25lookback_scan_determinismE0ELb0ELb0ES3_N6thrust23THRUST_200600_302600_NS6detail15normal_iteratorINS9_10device_ptrIiEEEENSB_INSC_IfEEEEiNS9_4plusIvEEiEEDaPvRmT3_T4_T5_mT6_P12ihipStream_tbENKUlT_T0_E_clISt17integral_constantIbLb1EESW_EEDaSR_SS_EUlSR_E_NS1_11comp_targetILNS1_3genE10ELNS1_11target_archE1200ELNS1_3gpuE4ELNS1_3repE0EEENS1_30default_config_static_selectorELNS0_4arch9wavefront6targetE1EEEvT1_
                                        ; -- End function
	.section	.AMDGPU.csdata,"",@progbits
; Kernel info:
; codeLenInByte = 0
; NumSgprs: 4
; NumVgprs: 0
; NumAgprs: 0
; TotalNumVgprs: 0
; ScratchSize: 0
; MemoryBound: 0
; FloatMode: 240
; IeeeMode: 1
; LDSByteSize: 0 bytes/workgroup (compile time only)
; SGPRBlocks: 0
; VGPRBlocks: 0
; NumSGPRsForWavesPerEU: 4
; NumVGPRsForWavesPerEU: 1
; AccumOffset: 4
; Occupancy: 8
; WaveLimiterHint : 0
; COMPUTE_PGM_RSRC2:SCRATCH_EN: 0
; COMPUTE_PGM_RSRC2:USER_SGPR: 6
; COMPUTE_PGM_RSRC2:TRAP_HANDLER: 0
; COMPUTE_PGM_RSRC2:TGID_X_EN: 1
; COMPUTE_PGM_RSRC2:TGID_Y_EN: 0
; COMPUTE_PGM_RSRC2:TGID_Z_EN: 0
; COMPUTE_PGM_RSRC2:TIDIG_COMP_CNT: 0
; COMPUTE_PGM_RSRC3_GFX90A:ACCUM_OFFSET: 0
; COMPUTE_PGM_RSRC3_GFX90A:TG_SPLIT: 0
	.section	.text._ZN7rocprim17ROCPRIM_400000_NS6detail17trampoline_kernelINS0_14default_configENS1_20scan_config_selectorIiEEZZNS1_9scan_implILNS1_25lookback_scan_determinismE0ELb0ELb0ES3_N6thrust23THRUST_200600_302600_NS6detail15normal_iteratorINS9_10device_ptrIiEEEENSB_INSC_IfEEEEiNS9_4plusIvEEiEEDaPvRmT3_T4_T5_mT6_P12ihipStream_tbENKUlT_T0_E_clISt17integral_constantIbLb1EESW_EEDaSR_SS_EUlSR_E_NS1_11comp_targetILNS1_3genE9ELNS1_11target_archE1100ELNS1_3gpuE3ELNS1_3repE0EEENS1_30default_config_static_selectorELNS0_4arch9wavefront6targetE1EEEvT1_,"axG",@progbits,_ZN7rocprim17ROCPRIM_400000_NS6detail17trampoline_kernelINS0_14default_configENS1_20scan_config_selectorIiEEZZNS1_9scan_implILNS1_25lookback_scan_determinismE0ELb0ELb0ES3_N6thrust23THRUST_200600_302600_NS6detail15normal_iteratorINS9_10device_ptrIiEEEENSB_INSC_IfEEEEiNS9_4plusIvEEiEEDaPvRmT3_T4_T5_mT6_P12ihipStream_tbENKUlT_T0_E_clISt17integral_constantIbLb1EESW_EEDaSR_SS_EUlSR_E_NS1_11comp_targetILNS1_3genE9ELNS1_11target_archE1100ELNS1_3gpuE3ELNS1_3repE0EEENS1_30default_config_static_selectorELNS0_4arch9wavefront6targetE1EEEvT1_,comdat
	.protected	_ZN7rocprim17ROCPRIM_400000_NS6detail17trampoline_kernelINS0_14default_configENS1_20scan_config_selectorIiEEZZNS1_9scan_implILNS1_25lookback_scan_determinismE0ELb0ELb0ES3_N6thrust23THRUST_200600_302600_NS6detail15normal_iteratorINS9_10device_ptrIiEEEENSB_INSC_IfEEEEiNS9_4plusIvEEiEEDaPvRmT3_T4_T5_mT6_P12ihipStream_tbENKUlT_T0_E_clISt17integral_constantIbLb1EESW_EEDaSR_SS_EUlSR_E_NS1_11comp_targetILNS1_3genE9ELNS1_11target_archE1100ELNS1_3gpuE3ELNS1_3repE0EEENS1_30default_config_static_selectorELNS0_4arch9wavefront6targetE1EEEvT1_ ; -- Begin function _ZN7rocprim17ROCPRIM_400000_NS6detail17trampoline_kernelINS0_14default_configENS1_20scan_config_selectorIiEEZZNS1_9scan_implILNS1_25lookback_scan_determinismE0ELb0ELb0ES3_N6thrust23THRUST_200600_302600_NS6detail15normal_iteratorINS9_10device_ptrIiEEEENSB_INSC_IfEEEEiNS9_4plusIvEEiEEDaPvRmT3_T4_T5_mT6_P12ihipStream_tbENKUlT_T0_E_clISt17integral_constantIbLb1EESW_EEDaSR_SS_EUlSR_E_NS1_11comp_targetILNS1_3genE9ELNS1_11target_archE1100ELNS1_3gpuE3ELNS1_3repE0EEENS1_30default_config_static_selectorELNS0_4arch9wavefront6targetE1EEEvT1_
	.globl	_ZN7rocprim17ROCPRIM_400000_NS6detail17trampoline_kernelINS0_14default_configENS1_20scan_config_selectorIiEEZZNS1_9scan_implILNS1_25lookback_scan_determinismE0ELb0ELb0ES3_N6thrust23THRUST_200600_302600_NS6detail15normal_iteratorINS9_10device_ptrIiEEEENSB_INSC_IfEEEEiNS9_4plusIvEEiEEDaPvRmT3_T4_T5_mT6_P12ihipStream_tbENKUlT_T0_E_clISt17integral_constantIbLb1EESW_EEDaSR_SS_EUlSR_E_NS1_11comp_targetILNS1_3genE9ELNS1_11target_archE1100ELNS1_3gpuE3ELNS1_3repE0EEENS1_30default_config_static_selectorELNS0_4arch9wavefront6targetE1EEEvT1_
	.p2align	8
	.type	_ZN7rocprim17ROCPRIM_400000_NS6detail17trampoline_kernelINS0_14default_configENS1_20scan_config_selectorIiEEZZNS1_9scan_implILNS1_25lookback_scan_determinismE0ELb0ELb0ES3_N6thrust23THRUST_200600_302600_NS6detail15normal_iteratorINS9_10device_ptrIiEEEENSB_INSC_IfEEEEiNS9_4plusIvEEiEEDaPvRmT3_T4_T5_mT6_P12ihipStream_tbENKUlT_T0_E_clISt17integral_constantIbLb1EESW_EEDaSR_SS_EUlSR_E_NS1_11comp_targetILNS1_3genE9ELNS1_11target_archE1100ELNS1_3gpuE3ELNS1_3repE0EEENS1_30default_config_static_selectorELNS0_4arch9wavefront6targetE1EEEvT1_,@function
_ZN7rocprim17ROCPRIM_400000_NS6detail17trampoline_kernelINS0_14default_configENS1_20scan_config_selectorIiEEZZNS1_9scan_implILNS1_25lookback_scan_determinismE0ELb0ELb0ES3_N6thrust23THRUST_200600_302600_NS6detail15normal_iteratorINS9_10device_ptrIiEEEENSB_INSC_IfEEEEiNS9_4plusIvEEiEEDaPvRmT3_T4_T5_mT6_P12ihipStream_tbENKUlT_T0_E_clISt17integral_constantIbLb1EESW_EEDaSR_SS_EUlSR_E_NS1_11comp_targetILNS1_3genE9ELNS1_11target_archE1100ELNS1_3gpuE3ELNS1_3repE0EEENS1_30default_config_static_selectorELNS0_4arch9wavefront6targetE1EEEvT1_: ; @_ZN7rocprim17ROCPRIM_400000_NS6detail17trampoline_kernelINS0_14default_configENS1_20scan_config_selectorIiEEZZNS1_9scan_implILNS1_25lookback_scan_determinismE0ELb0ELb0ES3_N6thrust23THRUST_200600_302600_NS6detail15normal_iteratorINS9_10device_ptrIiEEEENSB_INSC_IfEEEEiNS9_4plusIvEEiEEDaPvRmT3_T4_T5_mT6_P12ihipStream_tbENKUlT_T0_E_clISt17integral_constantIbLb1EESW_EEDaSR_SS_EUlSR_E_NS1_11comp_targetILNS1_3genE9ELNS1_11target_archE1100ELNS1_3gpuE3ELNS1_3repE0EEENS1_30default_config_static_selectorELNS0_4arch9wavefront6targetE1EEEvT1_
; %bb.0:
	.section	.rodata,"a",@progbits
	.p2align	6, 0x0
	.amdhsa_kernel _ZN7rocprim17ROCPRIM_400000_NS6detail17trampoline_kernelINS0_14default_configENS1_20scan_config_selectorIiEEZZNS1_9scan_implILNS1_25lookback_scan_determinismE0ELb0ELb0ES3_N6thrust23THRUST_200600_302600_NS6detail15normal_iteratorINS9_10device_ptrIiEEEENSB_INSC_IfEEEEiNS9_4plusIvEEiEEDaPvRmT3_T4_T5_mT6_P12ihipStream_tbENKUlT_T0_E_clISt17integral_constantIbLb1EESW_EEDaSR_SS_EUlSR_E_NS1_11comp_targetILNS1_3genE9ELNS1_11target_archE1100ELNS1_3gpuE3ELNS1_3repE0EEENS1_30default_config_static_selectorELNS0_4arch9wavefront6targetE1EEEvT1_
		.amdhsa_group_segment_fixed_size 0
		.amdhsa_private_segment_fixed_size 0
		.amdhsa_kernarg_size 96
		.amdhsa_user_sgpr_count 6
		.amdhsa_user_sgpr_private_segment_buffer 1
		.amdhsa_user_sgpr_dispatch_ptr 0
		.amdhsa_user_sgpr_queue_ptr 0
		.amdhsa_user_sgpr_kernarg_segment_ptr 1
		.amdhsa_user_sgpr_dispatch_id 0
		.amdhsa_user_sgpr_flat_scratch_init 0
		.amdhsa_user_sgpr_kernarg_preload_length 0
		.amdhsa_user_sgpr_kernarg_preload_offset 0
		.amdhsa_user_sgpr_private_segment_size 0
		.amdhsa_uses_dynamic_stack 0
		.amdhsa_system_sgpr_private_segment_wavefront_offset 0
		.amdhsa_system_sgpr_workgroup_id_x 1
		.amdhsa_system_sgpr_workgroup_id_y 0
		.amdhsa_system_sgpr_workgroup_id_z 0
		.amdhsa_system_sgpr_workgroup_info 0
		.amdhsa_system_vgpr_workitem_id 0
		.amdhsa_next_free_vgpr 1
		.amdhsa_next_free_sgpr 0
		.amdhsa_accum_offset 4
		.amdhsa_reserve_vcc 0
		.amdhsa_reserve_flat_scratch 0
		.amdhsa_float_round_mode_32 0
		.amdhsa_float_round_mode_16_64 0
		.amdhsa_float_denorm_mode_32 3
		.amdhsa_float_denorm_mode_16_64 3
		.amdhsa_dx10_clamp 1
		.amdhsa_ieee_mode 1
		.amdhsa_fp16_overflow 0
		.amdhsa_tg_split 0
		.amdhsa_exception_fp_ieee_invalid_op 0
		.amdhsa_exception_fp_denorm_src 0
		.amdhsa_exception_fp_ieee_div_zero 0
		.amdhsa_exception_fp_ieee_overflow 0
		.amdhsa_exception_fp_ieee_underflow 0
		.amdhsa_exception_fp_ieee_inexact 0
		.amdhsa_exception_int_div_zero 0
	.end_amdhsa_kernel
	.section	.text._ZN7rocprim17ROCPRIM_400000_NS6detail17trampoline_kernelINS0_14default_configENS1_20scan_config_selectorIiEEZZNS1_9scan_implILNS1_25lookback_scan_determinismE0ELb0ELb0ES3_N6thrust23THRUST_200600_302600_NS6detail15normal_iteratorINS9_10device_ptrIiEEEENSB_INSC_IfEEEEiNS9_4plusIvEEiEEDaPvRmT3_T4_T5_mT6_P12ihipStream_tbENKUlT_T0_E_clISt17integral_constantIbLb1EESW_EEDaSR_SS_EUlSR_E_NS1_11comp_targetILNS1_3genE9ELNS1_11target_archE1100ELNS1_3gpuE3ELNS1_3repE0EEENS1_30default_config_static_selectorELNS0_4arch9wavefront6targetE1EEEvT1_,"axG",@progbits,_ZN7rocprim17ROCPRIM_400000_NS6detail17trampoline_kernelINS0_14default_configENS1_20scan_config_selectorIiEEZZNS1_9scan_implILNS1_25lookback_scan_determinismE0ELb0ELb0ES3_N6thrust23THRUST_200600_302600_NS6detail15normal_iteratorINS9_10device_ptrIiEEEENSB_INSC_IfEEEEiNS9_4plusIvEEiEEDaPvRmT3_T4_T5_mT6_P12ihipStream_tbENKUlT_T0_E_clISt17integral_constantIbLb1EESW_EEDaSR_SS_EUlSR_E_NS1_11comp_targetILNS1_3genE9ELNS1_11target_archE1100ELNS1_3gpuE3ELNS1_3repE0EEENS1_30default_config_static_selectorELNS0_4arch9wavefront6targetE1EEEvT1_,comdat
.Lfunc_end1666:
	.size	_ZN7rocprim17ROCPRIM_400000_NS6detail17trampoline_kernelINS0_14default_configENS1_20scan_config_selectorIiEEZZNS1_9scan_implILNS1_25lookback_scan_determinismE0ELb0ELb0ES3_N6thrust23THRUST_200600_302600_NS6detail15normal_iteratorINS9_10device_ptrIiEEEENSB_INSC_IfEEEEiNS9_4plusIvEEiEEDaPvRmT3_T4_T5_mT6_P12ihipStream_tbENKUlT_T0_E_clISt17integral_constantIbLb1EESW_EEDaSR_SS_EUlSR_E_NS1_11comp_targetILNS1_3genE9ELNS1_11target_archE1100ELNS1_3gpuE3ELNS1_3repE0EEENS1_30default_config_static_selectorELNS0_4arch9wavefront6targetE1EEEvT1_, .Lfunc_end1666-_ZN7rocprim17ROCPRIM_400000_NS6detail17trampoline_kernelINS0_14default_configENS1_20scan_config_selectorIiEEZZNS1_9scan_implILNS1_25lookback_scan_determinismE0ELb0ELb0ES3_N6thrust23THRUST_200600_302600_NS6detail15normal_iteratorINS9_10device_ptrIiEEEENSB_INSC_IfEEEEiNS9_4plusIvEEiEEDaPvRmT3_T4_T5_mT6_P12ihipStream_tbENKUlT_T0_E_clISt17integral_constantIbLb1EESW_EEDaSR_SS_EUlSR_E_NS1_11comp_targetILNS1_3genE9ELNS1_11target_archE1100ELNS1_3gpuE3ELNS1_3repE0EEENS1_30default_config_static_selectorELNS0_4arch9wavefront6targetE1EEEvT1_
                                        ; -- End function
	.section	.AMDGPU.csdata,"",@progbits
; Kernel info:
; codeLenInByte = 0
; NumSgprs: 4
; NumVgprs: 0
; NumAgprs: 0
; TotalNumVgprs: 0
; ScratchSize: 0
; MemoryBound: 0
; FloatMode: 240
; IeeeMode: 1
; LDSByteSize: 0 bytes/workgroup (compile time only)
; SGPRBlocks: 0
; VGPRBlocks: 0
; NumSGPRsForWavesPerEU: 4
; NumVGPRsForWavesPerEU: 1
; AccumOffset: 4
; Occupancy: 8
; WaveLimiterHint : 0
; COMPUTE_PGM_RSRC2:SCRATCH_EN: 0
; COMPUTE_PGM_RSRC2:USER_SGPR: 6
; COMPUTE_PGM_RSRC2:TRAP_HANDLER: 0
; COMPUTE_PGM_RSRC2:TGID_X_EN: 1
; COMPUTE_PGM_RSRC2:TGID_Y_EN: 0
; COMPUTE_PGM_RSRC2:TGID_Z_EN: 0
; COMPUTE_PGM_RSRC2:TIDIG_COMP_CNT: 0
; COMPUTE_PGM_RSRC3_GFX90A:ACCUM_OFFSET: 0
; COMPUTE_PGM_RSRC3_GFX90A:TG_SPLIT: 0
	.section	.text._ZN7rocprim17ROCPRIM_400000_NS6detail17trampoline_kernelINS0_14default_configENS1_20scan_config_selectorIiEEZZNS1_9scan_implILNS1_25lookback_scan_determinismE0ELb0ELb0ES3_N6thrust23THRUST_200600_302600_NS6detail15normal_iteratorINS9_10device_ptrIiEEEENSB_INSC_IfEEEEiNS9_4plusIvEEiEEDaPvRmT3_T4_T5_mT6_P12ihipStream_tbENKUlT_T0_E_clISt17integral_constantIbLb1EESW_EEDaSR_SS_EUlSR_E_NS1_11comp_targetILNS1_3genE8ELNS1_11target_archE1030ELNS1_3gpuE2ELNS1_3repE0EEENS1_30default_config_static_selectorELNS0_4arch9wavefront6targetE1EEEvT1_,"axG",@progbits,_ZN7rocprim17ROCPRIM_400000_NS6detail17trampoline_kernelINS0_14default_configENS1_20scan_config_selectorIiEEZZNS1_9scan_implILNS1_25lookback_scan_determinismE0ELb0ELb0ES3_N6thrust23THRUST_200600_302600_NS6detail15normal_iteratorINS9_10device_ptrIiEEEENSB_INSC_IfEEEEiNS9_4plusIvEEiEEDaPvRmT3_T4_T5_mT6_P12ihipStream_tbENKUlT_T0_E_clISt17integral_constantIbLb1EESW_EEDaSR_SS_EUlSR_E_NS1_11comp_targetILNS1_3genE8ELNS1_11target_archE1030ELNS1_3gpuE2ELNS1_3repE0EEENS1_30default_config_static_selectorELNS0_4arch9wavefront6targetE1EEEvT1_,comdat
	.protected	_ZN7rocprim17ROCPRIM_400000_NS6detail17trampoline_kernelINS0_14default_configENS1_20scan_config_selectorIiEEZZNS1_9scan_implILNS1_25lookback_scan_determinismE0ELb0ELb0ES3_N6thrust23THRUST_200600_302600_NS6detail15normal_iteratorINS9_10device_ptrIiEEEENSB_INSC_IfEEEEiNS9_4plusIvEEiEEDaPvRmT3_T4_T5_mT6_P12ihipStream_tbENKUlT_T0_E_clISt17integral_constantIbLb1EESW_EEDaSR_SS_EUlSR_E_NS1_11comp_targetILNS1_3genE8ELNS1_11target_archE1030ELNS1_3gpuE2ELNS1_3repE0EEENS1_30default_config_static_selectorELNS0_4arch9wavefront6targetE1EEEvT1_ ; -- Begin function _ZN7rocprim17ROCPRIM_400000_NS6detail17trampoline_kernelINS0_14default_configENS1_20scan_config_selectorIiEEZZNS1_9scan_implILNS1_25lookback_scan_determinismE0ELb0ELb0ES3_N6thrust23THRUST_200600_302600_NS6detail15normal_iteratorINS9_10device_ptrIiEEEENSB_INSC_IfEEEEiNS9_4plusIvEEiEEDaPvRmT3_T4_T5_mT6_P12ihipStream_tbENKUlT_T0_E_clISt17integral_constantIbLb1EESW_EEDaSR_SS_EUlSR_E_NS1_11comp_targetILNS1_3genE8ELNS1_11target_archE1030ELNS1_3gpuE2ELNS1_3repE0EEENS1_30default_config_static_selectorELNS0_4arch9wavefront6targetE1EEEvT1_
	.globl	_ZN7rocprim17ROCPRIM_400000_NS6detail17trampoline_kernelINS0_14default_configENS1_20scan_config_selectorIiEEZZNS1_9scan_implILNS1_25lookback_scan_determinismE0ELb0ELb0ES3_N6thrust23THRUST_200600_302600_NS6detail15normal_iteratorINS9_10device_ptrIiEEEENSB_INSC_IfEEEEiNS9_4plusIvEEiEEDaPvRmT3_T4_T5_mT6_P12ihipStream_tbENKUlT_T0_E_clISt17integral_constantIbLb1EESW_EEDaSR_SS_EUlSR_E_NS1_11comp_targetILNS1_3genE8ELNS1_11target_archE1030ELNS1_3gpuE2ELNS1_3repE0EEENS1_30default_config_static_selectorELNS0_4arch9wavefront6targetE1EEEvT1_
	.p2align	8
	.type	_ZN7rocprim17ROCPRIM_400000_NS6detail17trampoline_kernelINS0_14default_configENS1_20scan_config_selectorIiEEZZNS1_9scan_implILNS1_25lookback_scan_determinismE0ELb0ELb0ES3_N6thrust23THRUST_200600_302600_NS6detail15normal_iteratorINS9_10device_ptrIiEEEENSB_INSC_IfEEEEiNS9_4plusIvEEiEEDaPvRmT3_T4_T5_mT6_P12ihipStream_tbENKUlT_T0_E_clISt17integral_constantIbLb1EESW_EEDaSR_SS_EUlSR_E_NS1_11comp_targetILNS1_3genE8ELNS1_11target_archE1030ELNS1_3gpuE2ELNS1_3repE0EEENS1_30default_config_static_selectorELNS0_4arch9wavefront6targetE1EEEvT1_,@function
_ZN7rocprim17ROCPRIM_400000_NS6detail17trampoline_kernelINS0_14default_configENS1_20scan_config_selectorIiEEZZNS1_9scan_implILNS1_25lookback_scan_determinismE0ELb0ELb0ES3_N6thrust23THRUST_200600_302600_NS6detail15normal_iteratorINS9_10device_ptrIiEEEENSB_INSC_IfEEEEiNS9_4plusIvEEiEEDaPvRmT3_T4_T5_mT6_P12ihipStream_tbENKUlT_T0_E_clISt17integral_constantIbLb1EESW_EEDaSR_SS_EUlSR_E_NS1_11comp_targetILNS1_3genE8ELNS1_11target_archE1030ELNS1_3gpuE2ELNS1_3repE0EEENS1_30default_config_static_selectorELNS0_4arch9wavefront6targetE1EEEvT1_: ; @_ZN7rocprim17ROCPRIM_400000_NS6detail17trampoline_kernelINS0_14default_configENS1_20scan_config_selectorIiEEZZNS1_9scan_implILNS1_25lookback_scan_determinismE0ELb0ELb0ES3_N6thrust23THRUST_200600_302600_NS6detail15normal_iteratorINS9_10device_ptrIiEEEENSB_INSC_IfEEEEiNS9_4plusIvEEiEEDaPvRmT3_T4_T5_mT6_P12ihipStream_tbENKUlT_T0_E_clISt17integral_constantIbLb1EESW_EEDaSR_SS_EUlSR_E_NS1_11comp_targetILNS1_3genE8ELNS1_11target_archE1030ELNS1_3gpuE2ELNS1_3repE0EEENS1_30default_config_static_selectorELNS0_4arch9wavefront6targetE1EEEvT1_
; %bb.0:
	.section	.rodata,"a",@progbits
	.p2align	6, 0x0
	.amdhsa_kernel _ZN7rocprim17ROCPRIM_400000_NS6detail17trampoline_kernelINS0_14default_configENS1_20scan_config_selectorIiEEZZNS1_9scan_implILNS1_25lookback_scan_determinismE0ELb0ELb0ES3_N6thrust23THRUST_200600_302600_NS6detail15normal_iteratorINS9_10device_ptrIiEEEENSB_INSC_IfEEEEiNS9_4plusIvEEiEEDaPvRmT3_T4_T5_mT6_P12ihipStream_tbENKUlT_T0_E_clISt17integral_constantIbLb1EESW_EEDaSR_SS_EUlSR_E_NS1_11comp_targetILNS1_3genE8ELNS1_11target_archE1030ELNS1_3gpuE2ELNS1_3repE0EEENS1_30default_config_static_selectorELNS0_4arch9wavefront6targetE1EEEvT1_
		.amdhsa_group_segment_fixed_size 0
		.amdhsa_private_segment_fixed_size 0
		.amdhsa_kernarg_size 96
		.amdhsa_user_sgpr_count 6
		.amdhsa_user_sgpr_private_segment_buffer 1
		.amdhsa_user_sgpr_dispatch_ptr 0
		.amdhsa_user_sgpr_queue_ptr 0
		.amdhsa_user_sgpr_kernarg_segment_ptr 1
		.amdhsa_user_sgpr_dispatch_id 0
		.amdhsa_user_sgpr_flat_scratch_init 0
		.amdhsa_user_sgpr_kernarg_preload_length 0
		.amdhsa_user_sgpr_kernarg_preload_offset 0
		.amdhsa_user_sgpr_private_segment_size 0
		.amdhsa_uses_dynamic_stack 0
		.amdhsa_system_sgpr_private_segment_wavefront_offset 0
		.amdhsa_system_sgpr_workgroup_id_x 1
		.amdhsa_system_sgpr_workgroup_id_y 0
		.amdhsa_system_sgpr_workgroup_id_z 0
		.amdhsa_system_sgpr_workgroup_info 0
		.amdhsa_system_vgpr_workitem_id 0
		.amdhsa_next_free_vgpr 1
		.amdhsa_next_free_sgpr 0
		.amdhsa_accum_offset 4
		.amdhsa_reserve_vcc 0
		.amdhsa_reserve_flat_scratch 0
		.amdhsa_float_round_mode_32 0
		.amdhsa_float_round_mode_16_64 0
		.amdhsa_float_denorm_mode_32 3
		.amdhsa_float_denorm_mode_16_64 3
		.amdhsa_dx10_clamp 1
		.amdhsa_ieee_mode 1
		.amdhsa_fp16_overflow 0
		.amdhsa_tg_split 0
		.amdhsa_exception_fp_ieee_invalid_op 0
		.amdhsa_exception_fp_denorm_src 0
		.amdhsa_exception_fp_ieee_div_zero 0
		.amdhsa_exception_fp_ieee_overflow 0
		.amdhsa_exception_fp_ieee_underflow 0
		.amdhsa_exception_fp_ieee_inexact 0
		.amdhsa_exception_int_div_zero 0
	.end_amdhsa_kernel
	.section	.text._ZN7rocprim17ROCPRIM_400000_NS6detail17trampoline_kernelINS0_14default_configENS1_20scan_config_selectorIiEEZZNS1_9scan_implILNS1_25lookback_scan_determinismE0ELb0ELb0ES3_N6thrust23THRUST_200600_302600_NS6detail15normal_iteratorINS9_10device_ptrIiEEEENSB_INSC_IfEEEEiNS9_4plusIvEEiEEDaPvRmT3_T4_T5_mT6_P12ihipStream_tbENKUlT_T0_E_clISt17integral_constantIbLb1EESW_EEDaSR_SS_EUlSR_E_NS1_11comp_targetILNS1_3genE8ELNS1_11target_archE1030ELNS1_3gpuE2ELNS1_3repE0EEENS1_30default_config_static_selectorELNS0_4arch9wavefront6targetE1EEEvT1_,"axG",@progbits,_ZN7rocprim17ROCPRIM_400000_NS6detail17trampoline_kernelINS0_14default_configENS1_20scan_config_selectorIiEEZZNS1_9scan_implILNS1_25lookback_scan_determinismE0ELb0ELb0ES3_N6thrust23THRUST_200600_302600_NS6detail15normal_iteratorINS9_10device_ptrIiEEEENSB_INSC_IfEEEEiNS9_4plusIvEEiEEDaPvRmT3_T4_T5_mT6_P12ihipStream_tbENKUlT_T0_E_clISt17integral_constantIbLb1EESW_EEDaSR_SS_EUlSR_E_NS1_11comp_targetILNS1_3genE8ELNS1_11target_archE1030ELNS1_3gpuE2ELNS1_3repE0EEENS1_30default_config_static_selectorELNS0_4arch9wavefront6targetE1EEEvT1_,comdat
.Lfunc_end1667:
	.size	_ZN7rocprim17ROCPRIM_400000_NS6detail17trampoline_kernelINS0_14default_configENS1_20scan_config_selectorIiEEZZNS1_9scan_implILNS1_25lookback_scan_determinismE0ELb0ELb0ES3_N6thrust23THRUST_200600_302600_NS6detail15normal_iteratorINS9_10device_ptrIiEEEENSB_INSC_IfEEEEiNS9_4plusIvEEiEEDaPvRmT3_T4_T5_mT6_P12ihipStream_tbENKUlT_T0_E_clISt17integral_constantIbLb1EESW_EEDaSR_SS_EUlSR_E_NS1_11comp_targetILNS1_3genE8ELNS1_11target_archE1030ELNS1_3gpuE2ELNS1_3repE0EEENS1_30default_config_static_selectorELNS0_4arch9wavefront6targetE1EEEvT1_, .Lfunc_end1667-_ZN7rocprim17ROCPRIM_400000_NS6detail17trampoline_kernelINS0_14default_configENS1_20scan_config_selectorIiEEZZNS1_9scan_implILNS1_25lookback_scan_determinismE0ELb0ELb0ES3_N6thrust23THRUST_200600_302600_NS6detail15normal_iteratorINS9_10device_ptrIiEEEENSB_INSC_IfEEEEiNS9_4plusIvEEiEEDaPvRmT3_T4_T5_mT6_P12ihipStream_tbENKUlT_T0_E_clISt17integral_constantIbLb1EESW_EEDaSR_SS_EUlSR_E_NS1_11comp_targetILNS1_3genE8ELNS1_11target_archE1030ELNS1_3gpuE2ELNS1_3repE0EEENS1_30default_config_static_selectorELNS0_4arch9wavefront6targetE1EEEvT1_
                                        ; -- End function
	.section	.AMDGPU.csdata,"",@progbits
; Kernel info:
; codeLenInByte = 0
; NumSgprs: 4
; NumVgprs: 0
; NumAgprs: 0
; TotalNumVgprs: 0
; ScratchSize: 0
; MemoryBound: 0
; FloatMode: 240
; IeeeMode: 1
; LDSByteSize: 0 bytes/workgroup (compile time only)
; SGPRBlocks: 0
; VGPRBlocks: 0
; NumSGPRsForWavesPerEU: 4
; NumVGPRsForWavesPerEU: 1
; AccumOffset: 4
; Occupancy: 8
; WaveLimiterHint : 0
; COMPUTE_PGM_RSRC2:SCRATCH_EN: 0
; COMPUTE_PGM_RSRC2:USER_SGPR: 6
; COMPUTE_PGM_RSRC2:TRAP_HANDLER: 0
; COMPUTE_PGM_RSRC2:TGID_X_EN: 1
; COMPUTE_PGM_RSRC2:TGID_Y_EN: 0
; COMPUTE_PGM_RSRC2:TGID_Z_EN: 0
; COMPUTE_PGM_RSRC2:TIDIG_COMP_CNT: 0
; COMPUTE_PGM_RSRC3_GFX90A:ACCUM_OFFSET: 0
; COMPUTE_PGM_RSRC3_GFX90A:TG_SPLIT: 0
	.section	.text._ZN7rocprim17ROCPRIM_400000_NS6detail17trampoline_kernelINS0_14default_configENS1_20scan_config_selectorIiEEZZNS1_9scan_implILNS1_25lookback_scan_determinismE0ELb0ELb0ES3_N6thrust23THRUST_200600_302600_NS6detail15normal_iteratorINS9_10device_ptrIiEEEENSB_INSC_IfEEEEiNS9_4plusIvEEiEEDaPvRmT3_T4_T5_mT6_P12ihipStream_tbENKUlT_T0_E_clISt17integral_constantIbLb1EESW_EEDaSR_SS_EUlSR_E0_NS1_11comp_targetILNS1_3genE0ELNS1_11target_archE4294967295ELNS1_3gpuE0ELNS1_3repE0EEENS1_30default_config_static_selectorELNS0_4arch9wavefront6targetE1EEEvT1_,"axG",@progbits,_ZN7rocprim17ROCPRIM_400000_NS6detail17trampoline_kernelINS0_14default_configENS1_20scan_config_selectorIiEEZZNS1_9scan_implILNS1_25lookback_scan_determinismE0ELb0ELb0ES3_N6thrust23THRUST_200600_302600_NS6detail15normal_iteratorINS9_10device_ptrIiEEEENSB_INSC_IfEEEEiNS9_4plusIvEEiEEDaPvRmT3_T4_T5_mT6_P12ihipStream_tbENKUlT_T0_E_clISt17integral_constantIbLb1EESW_EEDaSR_SS_EUlSR_E0_NS1_11comp_targetILNS1_3genE0ELNS1_11target_archE4294967295ELNS1_3gpuE0ELNS1_3repE0EEENS1_30default_config_static_selectorELNS0_4arch9wavefront6targetE1EEEvT1_,comdat
	.protected	_ZN7rocprim17ROCPRIM_400000_NS6detail17trampoline_kernelINS0_14default_configENS1_20scan_config_selectorIiEEZZNS1_9scan_implILNS1_25lookback_scan_determinismE0ELb0ELb0ES3_N6thrust23THRUST_200600_302600_NS6detail15normal_iteratorINS9_10device_ptrIiEEEENSB_INSC_IfEEEEiNS9_4plusIvEEiEEDaPvRmT3_T4_T5_mT6_P12ihipStream_tbENKUlT_T0_E_clISt17integral_constantIbLb1EESW_EEDaSR_SS_EUlSR_E0_NS1_11comp_targetILNS1_3genE0ELNS1_11target_archE4294967295ELNS1_3gpuE0ELNS1_3repE0EEENS1_30default_config_static_selectorELNS0_4arch9wavefront6targetE1EEEvT1_ ; -- Begin function _ZN7rocprim17ROCPRIM_400000_NS6detail17trampoline_kernelINS0_14default_configENS1_20scan_config_selectorIiEEZZNS1_9scan_implILNS1_25lookback_scan_determinismE0ELb0ELb0ES3_N6thrust23THRUST_200600_302600_NS6detail15normal_iteratorINS9_10device_ptrIiEEEENSB_INSC_IfEEEEiNS9_4plusIvEEiEEDaPvRmT3_T4_T5_mT6_P12ihipStream_tbENKUlT_T0_E_clISt17integral_constantIbLb1EESW_EEDaSR_SS_EUlSR_E0_NS1_11comp_targetILNS1_3genE0ELNS1_11target_archE4294967295ELNS1_3gpuE0ELNS1_3repE0EEENS1_30default_config_static_selectorELNS0_4arch9wavefront6targetE1EEEvT1_
	.globl	_ZN7rocprim17ROCPRIM_400000_NS6detail17trampoline_kernelINS0_14default_configENS1_20scan_config_selectorIiEEZZNS1_9scan_implILNS1_25lookback_scan_determinismE0ELb0ELb0ES3_N6thrust23THRUST_200600_302600_NS6detail15normal_iteratorINS9_10device_ptrIiEEEENSB_INSC_IfEEEEiNS9_4plusIvEEiEEDaPvRmT3_T4_T5_mT6_P12ihipStream_tbENKUlT_T0_E_clISt17integral_constantIbLb1EESW_EEDaSR_SS_EUlSR_E0_NS1_11comp_targetILNS1_3genE0ELNS1_11target_archE4294967295ELNS1_3gpuE0ELNS1_3repE0EEENS1_30default_config_static_selectorELNS0_4arch9wavefront6targetE1EEEvT1_
	.p2align	8
	.type	_ZN7rocprim17ROCPRIM_400000_NS6detail17trampoline_kernelINS0_14default_configENS1_20scan_config_selectorIiEEZZNS1_9scan_implILNS1_25lookback_scan_determinismE0ELb0ELb0ES3_N6thrust23THRUST_200600_302600_NS6detail15normal_iteratorINS9_10device_ptrIiEEEENSB_INSC_IfEEEEiNS9_4plusIvEEiEEDaPvRmT3_T4_T5_mT6_P12ihipStream_tbENKUlT_T0_E_clISt17integral_constantIbLb1EESW_EEDaSR_SS_EUlSR_E0_NS1_11comp_targetILNS1_3genE0ELNS1_11target_archE4294967295ELNS1_3gpuE0ELNS1_3repE0EEENS1_30default_config_static_selectorELNS0_4arch9wavefront6targetE1EEEvT1_,@function
_ZN7rocprim17ROCPRIM_400000_NS6detail17trampoline_kernelINS0_14default_configENS1_20scan_config_selectorIiEEZZNS1_9scan_implILNS1_25lookback_scan_determinismE0ELb0ELb0ES3_N6thrust23THRUST_200600_302600_NS6detail15normal_iteratorINS9_10device_ptrIiEEEENSB_INSC_IfEEEEiNS9_4plusIvEEiEEDaPvRmT3_T4_T5_mT6_P12ihipStream_tbENKUlT_T0_E_clISt17integral_constantIbLb1EESW_EEDaSR_SS_EUlSR_E0_NS1_11comp_targetILNS1_3genE0ELNS1_11target_archE4294967295ELNS1_3gpuE0ELNS1_3repE0EEENS1_30default_config_static_selectorELNS0_4arch9wavefront6targetE1EEEvT1_: ; @_ZN7rocprim17ROCPRIM_400000_NS6detail17trampoline_kernelINS0_14default_configENS1_20scan_config_selectorIiEEZZNS1_9scan_implILNS1_25lookback_scan_determinismE0ELb0ELb0ES3_N6thrust23THRUST_200600_302600_NS6detail15normal_iteratorINS9_10device_ptrIiEEEENSB_INSC_IfEEEEiNS9_4plusIvEEiEEDaPvRmT3_T4_T5_mT6_P12ihipStream_tbENKUlT_T0_E_clISt17integral_constantIbLb1EESW_EEDaSR_SS_EUlSR_E0_NS1_11comp_targetILNS1_3genE0ELNS1_11target_archE4294967295ELNS1_3gpuE0ELNS1_3repE0EEENS1_30default_config_static_selectorELNS0_4arch9wavefront6targetE1EEEvT1_
; %bb.0:
	.section	.rodata,"a",@progbits
	.p2align	6, 0x0
	.amdhsa_kernel _ZN7rocprim17ROCPRIM_400000_NS6detail17trampoline_kernelINS0_14default_configENS1_20scan_config_selectorIiEEZZNS1_9scan_implILNS1_25lookback_scan_determinismE0ELb0ELb0ES3_N6thrust23THRUST_200600_302600_NS6detail15normal_iteratorINS9_10device_ptrIiEEEENSB_INSC_IfEEEEiNS9_4plusIvEEiEEDaPvRmT3_T4_T5_mT6_P12ihipStream_tbENKUlT_T0_E_clISt17integral_constantIbLb1EESW_EEDaSR_SS_EUlSR_E0_NS1_11comp_targetILNS1_3genE0ELNS1_11target_archE4294967295ELNS1_3gpuE0ELNS1_3repE0EEENS1_30default_config_static_selectorELNS0_4arch9wavefront6targetE1EEEvT1_
		.amdhsa_group_segment_fixed_size 0
		.amdhsa_private_segment_fixed_size 0
		.amdhsa_kernarg_size 32
		.amdhsa_user_sgpr_count 6
		.amdhsa_user_sgpr_private_segment_buffer 1
		.amdhsa_user_sgpr_dispatch_ptr 0
		.amdhsa_user_sgpr_queue_ptr 0
		.amdhsa_user_sgpr_kernarg_segment_ptr 1
		.amdhsa_user_sgpr_dispatch_id 0
		.amdhsa_user_sgpr_flat_scratch_init 0
		.amdhsa_user_sgpr_kernarg_preload_length 0
		.amdhsa_user_sgpr_kernarg_preload_offset 0
		.amdhsa_user_sgpr_private_segment_size 0
		.amdhsa_uses_dynamic_stack 0
		.amdhsa_system_sgpr_private_segment_wavefront_offset 0
		.amdhsa_system_sgpr_workgroup_id_x 1
		.amdhsa_system_sgpr_workgroup_id_y 0
		.amdhsa_system_sgpr_workgroup_id_z 0
		.amdhsa_system_sgpr_workgroup_info 0
		.amdhsa_system_vgpr_workitem_id 0
		.amdhsa_next_free_vgpr 1
		.amdhsa_next_free_sgpr 0
		.amdhsa_accum_offset 4
		.amdhsa_reserve_vcc 0
		.amdhsa_reserve_flat_scratch 0
		.amdhsa_float_round_mode_32 0
		.amdhsa_float_round_mode_16_64 0
		.amdhsa_float_denorm_mode_32 3
		.amdhsa_float_denorm_mode_16_64 3
		.amdhsa_dx10_clamp 1
		.amdhsa_ieee_mode 1
		.amdhsa_fp16_overflow 0
		.amdhsa_tg_split 0
		.amdhsa_exception_fp_ieee_invalid_op 0
		.amdhsa_exception_fp_denorm_src 0
		.amdhsa_exception_fp_ieee_div_zero 0
		.amdhsa_exception_fp_ieee_overflow 0
		.amdhsa_exception_fp_ieee_underflow 0
		.amdhsa_exception_fp_ieee_inexact 0
		.amdhsa_exception_int_div_zero 0
	.end_amdhsa_kernel
	.section	.text._ZN7rocprim17ROCPRIM_400000_NS6detail17trampoline_kernelINS0_14default_configENS1_20scan_config_selectorIiEEZZNS1_9scan_implILNS1_25lookback_scan_determinismE0ELb0ELb0ES3_N6thrust23THRUST_200600_302600_NS6detail15normal_iteratorINS9_10device_ptrIiEEEENSB_INSC_IfEEEEiNS9_4plusIvEEiEEDaPvRmT3_T4_T5_mT6_P12ihipStream_tbENKUlT_T0_E_clISt17integral_constantIbLb1EESW_EEDaSR_SS_EUlSR_E0_NS1_11comp_targetILNS1_3genE0ELNS1_11target_archE4294967295ELNS1_3gpuE0ELNS1_3repE0EEENS1_30default_config_static_selectorELNS0_4arch9wavefront6targetE1EEEvT1_,"axG",@progbits,_ZN7rocprim17ROCPRIM_400000_NS6detail17trampoline_kernelINS0_14default_configENS1_20scan_config_selectorIiEEZZNS1_9scan_implILNS1_25lookback_scan_determinismE0ELb0ELb0ES3_N6thrust23THRUST_200600_302600_NS6detail15normal_iteratorINS9_10device_ptrIiEEEENSB_INSC_IfEEEEiNS9_4plusIvEEiEEDaPvRmT3_T4_T5_mT6_P12ihipStream_tbENKUlT_T0_E_clISt17integral_constantIbLb1EESW_EEDaSR_SS_EUlSR_E0_NS1_11comp_targetILNS1_3genE0ELNS1_11target_archE4294967295ELNS1_3gpuE0ELNS1_3repE0EEENS1_30default_config_static_selectorELNS0_4arch9wavefront6targetE1EEEvT1_,comdat
.Lfunc_end1668:
	.size	_ZN7rocprim17ROCPRIM_400000_NS6detail17trampoline_kernelINS0_14default_configENS1_20scan_config_selectorIiEEZZNS1_9scan_implILNS1_25lookback_scan_determinismE0ELb0ELb0ES3_N6thrust23THRUST_200600_302600_NS6detail15normal_iteratorINS9_10device_ptrIiEEEENSB_INSC_IfEEEEiNS9_4plusIvEEiEEDaPvRmT3_T4_T5_mT6_P12ihipStream_tbENKUlT_T0_E_clISt17integral_constantIbLb1EESW_EEDaSR_SS_EUlSR_E0_NS1_11comp_targetILNS1_3genE0ELNS1_11target_archE4294967295ELNS1_3gpuE0ELNS1_3repE0EEENS1_30default_config_static_selectorELNS0_4arch9wavefront6targetE1EEEvT1_, .Lfunc_end1668-_ZN7rocprim17ROCPRIM_400000_NS6detail17trampoline_kernelINS0_14default_configENS1_20scan_config_selectorIiEEZZNS1_9scan_implILNS1_25lookback_scan_determinismE0ELb0ELb0ES3_N6thrust23THRUST_200600_302600_NS6detail15normal_iteratorINS9_10device_ptrIiEEEENSB_INSC_IfEEEEiNS9_4plusIvEEiEEDaPvRmT3_T4_T5_mT6_P12ihipStream_tbENKUlT_T0_E_clISt17integral_constantIbLb1EESW_EEDaSR_SS_EUlSR_E0_NS1_11comp_targetILNS1_3genE0ELNS1_11target_archE4294967295ELNS1_3gpuE0ELNS1_3repE0EEENS1_30default_config_static_selectorELNS0_4arch9wavefront6targetE1EEEvT1_
                                        ; -- End function
	.section	.AMDGPU.csdata,"",@progbits
; Kernel info:
; codeLenInByte = 0
; NumSgprs: 4
; NumVgprs: 0
; NumAgprs: 0
; TotalNumVgprs: 0
; ScratchSize: 0
; MemoryBound: 0
; FloatMode: 240
; IeeeMode: 1
; LDSByteSize: 0 bytes/workgroup (compile time only)
; SGPRBlocks: 0
; VGPRBlocks: 0
; NumSGPRsForWavesPerEU: 4
; NumVGPRsForWavesPerEU: 1
; AccumOffset: 4
; Occupancy: 8
; WaveLimiterHint : 0
; COMPUTE_PGM_RSRC2:SCRATCH_EN: 0
; COMPUTE_PGM_RSRC2:USER_SGPR: 6
; COMPUTE_PGM_RSRC2:TRAP_HANDLER: 0
; COMPUTE_PGM_RSRC2:TGID_X_EN: 1
; COMPUTE_PGM_RSRC2:TGID_Y_EN: 0
; COMPUTE_PGM_RSRC2:TGID_Z_EN: 0
; COMPUTE_PGM_RSRC2:TIDIG_COMP_CNT: 0
; COMPUTE_PGM_RSRC3_GFX90A:ACCUM_OFFSET: 0
; COMPUTE_PGM_RSRC3_GFX90A:TG_SPLIT: 0
	.section	.text._ZN7rocprim17ROCPRIM_400000_NS6detail17trampoline_kernelINS0_14default_configENS1_20scan_config_selectorIiEEZZNS1_9scan_implILNS1_25lookback_scan_determinismE0ELb0ELb0ES3_N6thrust23THRUST_200600_302600_NS6detail15normal_iteratorINS9_10device_ptrIiEEEENSB_INSC_IfEEEEiNS9_4plusIvEEiEEDaPvRmT3_T4_T5_mT6_P12ihipStream_tbENKUlT_T0_E_clISt17integral_constantIbLb1EESW_EEDaSR_SS_EUlSR_E0_NS1_11comp_targetILNS1_3genE5ELNS1_11target_archE942ELNS1_3gpuE9ELNS1_3repE0EEENS1_30default_config_static_selectorELNS0_4arch9wavefront6targetE1EEEvT1_,"axG",@progbits,_ZN7rocprim17ROCPRIM_400000_NS6detail17trampoline_kernelINS0_14default_configENS1_20scan_config_selectorIiEEZZNS1_9scan_implILNS1_25lookback_scan_determinismE0ELb0ELb0ES3_N6thrust23THRUST_200600_302600_NS6detail15normal_iteratorINS9_10device_ptrIiEEEENSB_INSC_IfEEEEiNS9_4plusIvEEiEEDaPvRmT3_T4_T5_mT6_P12ihipStream_tbENKUlT_T0_E_clISt17integral_constantIbLb1EESW_EEDaSR_SS_EUlSR_E0_NS1_11comp_targetILNS1_3genE5ELNS1_11target_archE942ELNS1_3gpuE9ELNS1_3repE0EEENS1_30default_config_static_selectorELNS0_4arch9wavefront6targetE1EEEvT1_,comdat
	.protected	_ZN7rocprim17ROCPRIM_400000_NS6detail17trampoline_kernelINS0_14default_configENS1_20scan_config_selectorIiEEZZNS1_9scan_implILNS1_25lookback_scan_determinismE0ELb0ELb0ES3_N6thrust23THRUST_200600_302600_NS6detail15normal_iteratorINS9_10device_ptrIiEEEENSB_INSC_IfEEEEiNS9_4plusIvEEiEEDaPvRmT3_T4_T5_mT6_P12ihipStream_tbENKUlT_T0_E_clISt17integral_constantIbLb1EESW_EEDaSR_SS_EUlSR_E0_NS1_11comp_targetILNS1_3genE5ELNS1_11target_archE942ELNS1_3gpuE9ELNS1_3repE0EEENS1_30default_config_static_selectorELNS0_4arch9wavefront6targetE1EEEvT1_ ; -- Begin function _ZN7rocprim17ROCPRIM_400000_NS6detail17trampoline_kernelINS0_14default_configENS1_20scan_config_selectorIiEEZZNS1_9scan_implILNS1_25lookback_scan_determinismE0ELb0ELb0ES3_N6thrust23THRUST_200600_302600_NS6detail15normal_iteratorINS9_10device_ptrIiEEEENSB_INSC_IfEEEEiNS9_4plusIvEEiEEDaPvRmT3_T4_T5_mT6_P12ihipStream_tbENKUlT_T0_E_clISt17integral_constantIbLb1EESW_EEDaSR_SS_EUlSR_E0_NS1_11comp_targetILNS1_3genE5ELNS1_11target_archE942ELNS1_3gpuE9ELNS1_3repE0EEENS1_30default_config_static_selectorELNS0_4arch9wavefront6targetE1EEEvT1_
	.globl	_ZN7rocprim17ROCPRIM_400000_NS6detail17trampoline_kernelINS0_14default_configENS1_20scan_config_selectorIiEEZZNS1_9scan_implILNS1_25lookback_scan_determinismE0ELb0ELb0ES3_N6thrust23THRUST_200600_302600_NS6detail15normal_iteratorINS9_10device_ptrIiEEEENSB_INSC_IfEEEEiNS9_4plusIvEEiEEDaPvRmT3_T4_T5_mT6_P12ihipStream_tbENKUlT_T0_E_clISt17integral_constantIbLb1EESW_EEDaSR_SS_EUlSR_E0_NS1_11comp_targetILNS1_3genE5ELNS1_11target_archE942ELNS1_3gpuE9ELNS1_3repE0EEENS1_30default_config_static_selectorELNS0_4arch9wavefront6targetE1EEEvT1_
	.p2align	8
	.type	_ZN7rocprim17ROCPRIM_400000_NS6detail17trampoline_kernelINS0_14default_configENS1_20scan_config_selectorIiEEZZNS1_9scan_implILNS1_25lookback_scan_determinismE0ELb0ELb0ES3_N6thrust23THRUST_200600_302600_NS6detail15normal_iteratorINS9_10device_ptrIiEEEENSB_INSC_IfEEEEiNS9_4plusIvEEiEEDaPvRmT3_T4_T5_mT6_P12ihipStream_tbENKUlT_T0_E_clISt17integral_constantIbLb1EESW_EEDaSR_SS_EUlSR_E0_NS1_11comp_targetILNS1_3genE5ELNS1_11target_archE942ELNS1_3gpuE9ELNS1_3repE0EEENS1_30default_config_static_selectorELNS0_4arch9wavefront6targetE1EEEvT1_,@function
_ZN7rocprim17ROCPRIM_400000_NS6detail17trampoline_kernelINS0_14default_configENS1_20scan_config_selectorIiEEZZNS1_9scan_implILNS1_25lookback_scan_determinismE0ELb0ELb0ES3_N6thrust23THRUST_200600_302600_NS6detail15normal_iteratorINS9_10device_ptrIiEEEENSB_INSC_IfEEEEiNS9_4plusIvEEiEEDaPvRmT3_T4_T5_mT6_P12ihipStream_tbENKUlT_T0_E_clISt17integral_constantIbLb1EESW_EEDaSR_SS_EUlSR_E0_NS1_11comp_targetILNS1_3genE5ELNS1_11target_archE942ELNS1_3gpuE9ELNS1_3repE0EEENS1_30default_config_static_selectorELNS0_4arch9wavefront6targetE1EEEvT1_: ; @_ZN7rocprim17ROCPRIM_400000_NS6detail17trampoline_kernelINS0_14default_configENS1_20scan_config_selectorIiEEZZNS1_9scan_implILNS1_25lookback_scan_determinismE0ELb0ELb0ES3_N6thrust23THRUST_200600_302600_NS6detail15normal_iteratorINS9_10device_ptrIiEEEENSB_INSC_IfEEEEiNS9_4plusIvEEiEEDaPvRmT3_T4_T5_mT6_P12ihipStream_tbENKUlT_T0_E_clISt17integral_constantIbLb1EESW_EEDaSR_SS_EUlSR_E0_NS1_11comp_targetILNS1_3genE5ELNS1_11target_archE942ELNS1_3gpuE9ELNS1_3repE0EEENS1_30default_config_static_selectorELNS0_4arch9wavefront6targetE1EEEvT1_
; %bb.0:
	.section	.rodata,"a",@progbits
	.p2align	6, 0x0
	.amdhsa_kernel _ZN7rocprim17ROCPRIM_400000_NS6detail17trampoline_kernelINS0_14default_configENS1_20scan_config_selectorIiEEZZNS1_9scan_implILNS1_25lookback_scan_determinismE0ELb0ELb0ES3_N6thrust23THRUST_200600_302600_NS6detail15normal_iteratorINS9_10device_ptrIiEEEENSB_INSC_IfEEEEiNS9_4plusIvEEiEEDaPvRmT3_T4_T5_mT6_P12ihipStream_tbENKUlT_T0_E_clISt17integral_constantIbLb1EESW_EEDaSR_SS_EUlSR_E0_NS1_11comp_targetILNS1_3genE5ELNS1_11target_archE942ELNS1_3gpuE9ELNS1_3repE0EEENS1_30default_config_static_selectorELNS0_4arch9wavefront6targetE1EEEvT1_
		.amdhsa_group_segment_fixed_size 0
		.amdhsa_private_segment_fixed_size 0
		.amdhsa_kernarg_size 32
		.amdhsa_user_sgpr_count 6
		.amdhsa_user_sgpr_private_segment_buffer 1
		.amdhsa_user_sgpr_dispatch_ptr 0
		.amdhsa_user_sgpr_queue_ptr 0
		.amdhsa_user_sgpr_kernarg_segment_ptr 1
		.amdhsa_user_sgpr_dispatch_id 0
		.amdhsa_user_sgpr_flat_scratch_init 0
		.amdhsa_user_sgpr_kernarg_preload_length 0
		.amdhsa_user_sgpr_kernarg_preload_offset 0
		.amdhsa_user_sgpr_private_segment_size 0
		.amdhsa_uses_dynamic_stack 0
		.amdhsa_system_sgpr_private_segment_wavefront_offset 0
		.amdhsa_system_sgpr_workgroup_id_x 1
		.amdhsa_system_sgpr_workgroup_id_y 0
		.amdhsa_system_sgpr_workgroup_id_z 0
		.amdhsa_system_sgpr_workgroup_info 0
		.amdhsa_system_vgpr_workitem_id 0
		.amdhsa_next_free_vgpr 1
		.amdhsa_next_free_sgpr 0
		.amdhsa_accum_offset 4
		.amdhsa_reserve_vcc 0
		.amdhsa_reserve_flat_scratch 0
		.amdhsa_float_round_mode_32 0
		.amdhsa_float_round_mode_16_64 0
		.amdhsa_float_denorm_mode_32 3
		.amdhsa_float_denorm_mode_16_64 3
		.amdhsa_dx10_clamp 1
		.amdhsa_ieee_mode 1
		.amdhsa_fp16_overflow 0
		.amdhsa_tg_split 0
		.amdhsa_exception_fp_ieee_invalid_op 0
		.amdhsa_exception_fp_denorm_src 0
		.amdhsa_exception_fp_ieee_div_zero 0
		.amdhsa_exception_fp_ieee_overflow 0
		.amdhsa_exception_fp_ieee_underflow 0
		.amdhsa_exception_fp_ieee_inexact 0
		.amdhsa_exception_int_div_zero 0
	.end_amdhsa_kernel
	.section	.text._ZN7rocprim17ROCPRIM_400000_NS6detail17trampoline_kernelINS0_14default_configENS1_20scan_config_selectorIiEEZZNS1_9scan_implILNS1_25lookback_scan_determinismE0ELb0ELb0ES3_N6thrust23THRUST_200600_302600_NS6detail15normal_iteratorINS9_10device_ptrIiEEEENSB_INSC_IfEEEEiNS9_4plusIvEEiEEDaPvRmT3_T4_T5_mT6_P12ihipStream_tbENKUlT_T0_E_clISt17integral_constantIbLb1EESW_EEDaSR_SS_EUlSR_E0_NS1_11comp_targetILNS1_3genE5ELNS1_11target_archE942ELNS1_3gpuE9ELNS1_3repE0EEENS1_30default_config_static_selectorELNS0_4arch9wavefront6targetE1EEEvT1_,"axG",@progbits,_ZN7rocprim17ROCPRIM_400000_NS6detail17trampoline_kernelINS0_14default_configENS1_20scan_config_selectorIiEEZZNS1_9scan_implILNS1_25lookback_scan_determinismE0ELb0ELb0ES3_N6thrust23THRUST_200600_302600_NS6detail15normal_iteratorINS9_10device_ptrIiEEEENSB_INSC_IfEEEEiNS9_4plusIvEEiEEDaPvRmT3_T4_T5_mT6_P12ihipStream_tbENKUlT_T0_E_clISt17integral_constantIbLb1EESW_EEDaSR_SS_EUlSR_E0_NS1_11comp_targetILNS1_3genE5ELNS1_11target_archE942ELNS1_3gpuE9ELNS1_3repE0EEENS1_30default_config_static_selectorELNS0_4arch9wavefront6targetE1EEEvT1_,comdat
.Lfunc_end1669:
	.size	_ZN7rocprim17ROCPRIM_400000_NS6detail17trampoline_kernelINS0_14default_configENS1_20scan_config_selectorIiEEZZNS1_9scan_implILNS1_25lookback_scan_determinismE0ELb0ELb0ES3_N6thrust23THRUST_200600_302600_NS6detail15normal_iteratorINS9_10device_ptrIiEEEENSB_INSC_IfEEEEiNS9_4plusIvEEiEEDaPvRmT3_T4_T5_mT6_P12ihipStream_tbENKUlT_T0_E_clISt17integral_constantIbLb1EESW_EEDaSR_SS_EUlSR_E0_NS1_11comp_targetILNS1_3genE5ELNS1_11target_archE942ELNS1_3gpuE9ELNS1_3repE0EEENS1_30default_config_static_selectorELNS0_4arch9wavefront6targetE1EEEvT1_, .Lfunc_end1669-_ZN7rocprim17ROCPRIM_400000_NS6detail17trampoline_kernelINS0_14default_configENS1_20scan_config_selectorIiEEZZNS1_9scan_implILNS1_25lookback_scan_determinismE0ELb0ELb0ES3_N6thrust23THRUST_200600_302600_NS6detail15normal_iteratorINS9_10device_ptrIiEEEENSB_INSC_IfEEEEiNS9_4plusIvEEiEEDaPvRmT3_T4_T5_mT6_P12ihipStream_tbENKUlT_T0_E_clISt17integral_constantIbLb1EESW_EEDaSR_SS_EUlSR_E0_NS1_11comp_targetILNS1_3genE5ELNS1_11target_archE942ELNS1_3gpuE9ELNS1_3repE0EEENS1_30default_config_static_selectorELNS0_4arch9wavefront6targetE1EEEvT1_
                                        ; -- End function
	.section	.AMDGPU.csdata,"",@progbits
; Kernel info:
; codeLenInByte = 0
; NumSgprs: 4
; NumVgprs: 0
; NumAgprs: 0
; TotalNumVgprs: 0
; ScratchSize: 0
; MemoryBound: 0
; FloatMode: 240
; IeeeMode: 1
; LDSByteSize: 0 bytes/workgroup (compile time only)
; SGPRBlocks: 0
; VGPRBlocks: 0
; NumSGPRsForWavesPerEU: 4
; NumVGPRsForWavesPerEU: 1
; AccumOffset: 4
; Occupancy: 8
; WaveLimiterHint : 0
; COMPUTE_PGM_RSRC2:SCRATCH_EN: 0
; COMPUTE_PGM_RSRC2:USER_SGPR: 6
; COMPUTE_PGM_RSRC2:TRAP_HANDLER: 0
; COMPUTE_PGM_RSRC2:TGID_X_EN: 1
; COMPUTE_PGM_RSRC2:TGID_Y_EN: 0
; COMPUTE_PGM_RSRC2:TGID_Z_EN: 0
; COMPUTE_PGM_RSRC2:TIDIG_COMP_CNT: 0
; COMPUTE_PGM_RSRC3_GFX90A:ACCUM_OFFSET: 0
; COMPUTE_PGM_RSRC3_GFX90A:TG_SPLIT: 0
	.section	.text._ZN7rocprim17ROCPRIM_400000_NS6detail17trampoline_kernelINS0_14default_configENS1_20scan_config_selectorIiEEZZNS1_9scan_implILNS1_25lookback_scan_determinismE0ELb0ELb0ES3_N6thrust23THRUST_200600_302600_NS6detail15normal_iteratorINS9_10device_ptrIiEEEENSB_INSC_IfEEEEiNS9_4plusIvEEiEEDaPvRmT3_T4_T5_mT6_P12ihipStream_tbENKUlT_T0_E_clISt17integral_constantIbLb1EESW_EEDaSR_SS_EUlSR_E0_NS1_11comp_targetILNS1_3genE4ELNS1_11target_archE910ELNS1_3gpuE8ELNS1_3repE0EEENS1_30default_config_static_selectorELNS0_4arch9wavefront6targetE1EEEvT1_,"axG",@progbits,_ZN7rocprim17ROCPRIM_400000_NS6detail17trampoline_kernelINS0_14default_configENS1_20scan_config_selectorIiEEZZNS1_9scan_implILNS1_25lookback_scan_determinismE0ELb0ELb0ES3_N6thrust23THRUST_200600_302600_NS6detail15normal_iteratorINS9_10device_ptrIiEEEENSB_INSC_IfEEEEiNS9_4plusIvEEiEEDaPvRmT3_T4_T5_mT6_P12ihipStream_tbENKUlT_T0_E_clISt17integral_constantIbLb1EESW_EEDaSR_SS_EUlSR_E0_NS1_11comp_targetILNS1_3genE4ELNS1_11target_archE910ELNS1_3gpuE8ELNS1_3repE0EEENS1_30default_config_static_selectorELNS0_4arch9wavefront6targetE1EEEvT1_,comdat
	.protected	_ZN7rocprim17ROCPRIM_400000_NS6detail17trampoline_kernelINS0_14default_configENS1_20scan_config_selectorIiEEZZNS1_9scan_implILNS1_25lookback_scan_determinismE0ELb0ELb0ES3_N6thrust23THRUST_200600_302600_NS6detail15normal_iteratorINS9_10device_ptrIiEEEENSB_INSC_IfEEEEiNS9_4plusIvEEiEEDaPvRmT3_T4_T5_mT6_P12ihipStream_tbENKUlT_T0_E_clISt17integral_constantIbLb1EESW_EEDaSR_SS_EUlSR_E0_NS1_11comp_targetILNS1_3genE4ELNS1_11target_archE910ELNS1_3gpuE8ELNS1_3repE0EEENS1_30default_config_static_selectorELNS0_4arch9wavefront6targetE1EEEvT1_ ; -- Begin function _ZN7rocprim17ROCPRIM_400000_NS6detail17trampoline_kernelINS0_14default_configENS1_20scan_config_selectorIiEEZZNS1_9scan_implILNS1_25lookback_scan_determinismE0ELb0ELb0ES3_N6thrust23THRUST_200600_302600_NS6detail15normal_iteratorINS9_10device_ptrIiEEEENSB_INSC_IfEEEEiNS9_4plusIvEEiEEDaPvRmT3_T4_T5_mT6_P12ihipStream_tbENKUlT_T0_E_clISt17integral_constantIbLb1EESW_EEDaSR_SS_EUlSR_E0_NS1_11comp_targetILNS1_3genE4ELNS1_11target_archE910ELNS1_3gpuE8ELNS1_3repE0EEENS1_30default_config_static_selectorELNS0_4arch9wavefront6targetE1EEEvT1_
	.globl	_ZN7rocprim17ROCPRIM_400000_NS6detail17trampoline_kernelINS0_14default_configENS1_20scan_config_selectorIiEEZZNS1_9scan_implILNS1_25lookback_scan_determinismE0ELb0ELb0ES3_N6thrust23THRUST_200600_302600_NS6detail15normal_iteratorINS9_10device_ptrIiEEEENSB_INSC_IfEEEEiNS9_4plusIvEEiEEDaPvRmT3_T4_T5_mT6_P12ihipStream_tbENKUlT_T0_E_clISt17integral_constantIbLb1EESW_EEDaSR_SS_EUlSR_E0_NS1_11comp_targetILNS1_3genE4ELNS1_11target_archE910ELNS1_3gpuE8ELNS1_3repE0EEENS1_30default_config_static_selectorELNS0_4arch9wavefront6targetE1EEEvT1_
	.p2align	8
	.type	_ZN7rocprim17ROCPRIM_400000_NS6detail17trampoline_kernelINS0_14default_configENS1_20scan_config_selectorIiEEZZNS1_9scan_implILNS1_25lookback_scan_determinismE0ELb0ELb0ES3_N6thrust23THRUST_200600_302600_NS6detail15normal_iteratorINS9_10device_ptrIiEEEENSB_INSC_IfEEEEiNS9_4plusIvEEiEEDaPvRmT3_T4_T5_mT6_P12ihipStream_tbENKUlT_T0_E_clISt17integral_constantIbLb1EESW_EEDaSR_SS_EUlSR_E0_NS1_11comp_targetILNS1_3genE4ELNS1_11target_archE910ELNS1_3gpuE8ELNS1_3repE0EEENS1_30default_config_static_selectorELNS0_4arch9wavefront6targetE1EEEvT1_,@function
_ZN7rocprim17ROCPRIM_400000_NS6detail17trampoline_kernelINS0_14default_configENS1_20scan_config_selectorIiEEZZNS1_9scan_implILNS1_25lookback_scan_determinismE0ELb0ELb0ES3_N6thrust23THRUST_200600_302600_NS6detail15normal_iteratorINS9_10device_ptrIiEEEENSB_INSC_IfEEEEiNS9_4plusIvEEiEEDaPvRmT3_T4_T5_mT6_P12ihipStream_tbENKUlT_T0_E_clISt17integral_constantIbLb1EESW_EEDaSR_SS_EUlSR_E0_NS1_11comp_targetILNS1_3genE4ELNS1_11target_archE910ELNS1_3gpuE8ELNS1_3repE0EEENS1_30default_config_static_selectorELNS0_4arch9wavefront6targetE1EEEvT1_: ; @_ZN7rocprim17ROCPRIM_400000_NS6detail17trampoline_kernelINS0_14default_configENS1_20scan_config_selectorIiEEZZNS1_9scan_implILNS1_25lookback_scan_determinismE0ELb0ELb0ES3_N6thrust23THRUST_200600_302600_NS6detail15normal_iteratorINS9_10device_ptrIiEEEENSB_INSC_IfEEEEiNS9_4plusIvEEiEEDaPvRmT3_T4_T5_mT6_P12ihipStream_tbENKUlT_T0_E_clISt17integral_constantIbLb1EESW_EEDaSR_SS_EUlSR_E0_NS1_11comp_targetILNS1_3genE4ELNS1_11target_archE910ELNS1_3gpuE8ELNS1_3repE0EEENS1_30default_config_static_selectorELNS0_4arch9wavefront6targetE1EEEvT1_
; %bb.0:
	s_load_dwordx4 s[20:23], s[4:5], 0x0
	v_lshlrev_b32_e32 v20, 2, v0
	s_waitcnt lgkmcnt(0)
	s_load_dword s23, s[20:21], 0x0
	v_cmp_gt_u32_e32 vcc, s22, v0
	s_waitcnt lgkmcnt(0)
	v_mov_b32_e32 v1, s23
	s_and_saveexec_b64 s[0:1], vcc
	s_cbranch_execz .LBB1670_2
; %bb.1:
	global_load_dword v1, v20, s[20:21]
.LBB1670_2:
	s_or_b64 exec, exec, s[0:1]
	v_or_b32_e32 v2, 0x80, v0
	v_cmp_gt_u32_e64 s[0:1], s22, v2
	v_mov_b32_e32 v2, s23
	s_and_saveexec_b64 s[2:3], s[0:1]
	s_cbranch_execz .LBB1670_4
; %bb.3:
	global_load_dword v2, v20, s[20:21] offset:512
.LBB1670_4:
	s_or_b64 exec, exec, s[2:3]
	v_or_b32_e32 v3, 0x100, v0
	v_cmp_gt_u32_e64 s[2:3], s22, v3
	v_mov_b32_e32 v3, s23
	s_and_saveexec_b64 s[6:7], s[2:3]
	s_cbranch_execz .LBB1670_6
; %bb.5:
	global_load_dword v3, v20, s[20:21] offset:1024
.LBB1670_6:
	;; [unrolled: 9-line block ×7, first 2 shown]
	s_or_b64 exec, exec, s[14:15]
	v_or_b32_e32 v10, 0x400, v0
	v_cmp_gt_u32_e64 s[14:15], s22, v10
	v_mov_b32_e32 v9, s23
	s_and_saveexec_b64 s[16:17], s[14:15]
	s_cbranch_execz .LBB1670_18
; %bb.17:
	v_lshlrev_b32_e32 v9, 2, v10
	global_load_dword v9, v9, s[20:21]
.LBB1670_18:
	s_or_b64 exec, exec, s[16:17]
	v_or_b32_e32 v11, 0x480, v0
	v_cmp_gt_u32_e64 s[16:17], s22, v11
	v_mov_b32_e32 v10, s23
	s_and_saveexec_b64 s[22:23], s[16:17]
	s_cbranch_execz .LBB1670_20
; %bb.19:
	v_lshlrev_b32_e32 v10, 2, v11
	global_load_dword v10, v10, s[20:21]
.LBB1670_20:
	s_or_b64 exec, exec, s[22:23]
	s_waitcnt vmcnt(0)
	ds_write2st64_b32 v20, v1, v2 offset1:2
	ds_write2st64_b32 v20, v3, v4 offset0:4 offset1:6
	ds_write2st64_b32 v20, v5, v6 offset0:8 offset1:10
	ds_write2st64_b32 v20, v7, v8 offset0:12 offset1:14
	ds_write2st64_b32 v20, v9, v10 offset0:16 offset1:18
	v_mad_u32_u24 v1, v0, 36, v20
	s_waitcnt lgkmcnt(0)
	s_barrier
	ds_read2_b64 v[6:9], v1 offset1:1
	ds_read2_b64 v[2:5], v1 offset0:2 offset1:3
	ds_read_b64 v[18:19], v1 offset:32
	v_lshrrev_b32_e32 v21, 3, v0
	v_and_b32_e32 v21, 12, v21
	s_waitcnt lgkmcnt(2)
	v_add_u32_e32 v1, v7, v6
	v_add_u32_e32 v14, v1, v8
	v_add_u32_e32 v15, v14, v9
	s_waitcnt lgkmcnt(1)
	v_add_u32_e32 v10, v15, v2
	v_add_u32_e32 v11, v10, v3
	;; [unrolled: 1-line block ×4, first 2 shown]
	s_waitcnt lgkmcnt(0)
	v_add_u32_e32 v16, v13, v18
	v_add_u32_e32 v17, v16, v19
	;; [unrolled: 1-line block ×3, first 2 shown]
	v_cmp_gt_u32_e64 s[20:21], 64, v0
	s_barrier
	ds_write_b32 v21, v17
	s_waitcnt lgkmcnt(0)
	s_barrier
	s_and_saveexec_b64 s[22:23], s[20:21]
	s_cbranch_execz .LBB1670_22
; %bb.21:
	v_lshlrev_b32_e32 v21, 1, v0
	v_lshrrev_b32_e32 v22, 4, v0
	v_add_lshl_u32 v21, v22, v21, 2
	ds_read2_b32 v[22:23], v21 offset1:1
	v_mbcnt_lo_u32_b32 v24, -1, 0
	v_mbcnt_hi_u32_b32 v24, -1, v24
	v_and_b32_e32 v25, 15, v24
	v_cmp_ne_u32_e64 s[20:21], 0, v25
	s_waitcnt lgkmcnt(0)
	v_add_u32_e32 v23, v23, v22
	; wave barrier
	s_nop 1
	v_mov_b32_dpp v26, v23 row_shr:1 row_mask:0xf bank_mask:0xf
	v_cndmask_b32_e64 v26, 0, v26, s[20:21]
	v_add_u32_e32 v23, v26, v23
	v_cmp_lt_u32_e64 s[20:21], 1, v25
	s_nop 0
	v_mov_b32_dpp v26, v23 row_shr:2 row_mask:0xf bank_mask:0xf
	v_cndmask_b32_e64 v26, 0, v26, s[20:21]
	v_add_u32_e32 v23, v23, v26
	v_cmp_lt_u32_e64 s[20:21], 3, v25
	;; [unrolled: 5-line block ×3, first 2 shown]
	s_nop 0
	v_mov_b32_dpp v26, v23 row_shr:8 row_mask:0xf bank_mask:0xf
	v_cndmask_b32_e64 v25, 0, v26, s[20:21]
	v_add_u32_e32 v23, v23, v25
	v_bfe_i32 v26, v24, 4, 1
	v_cmp_lt_u32_e64 s[20:21], 31, v24
	v_mov_b32_dpp v25, v23 row_bcast:15 row_mask:0xf bank_mask:0xf
	v_and_b32_e32 v25, v26, v25
	v_add_u32_e32 v23, v23, v25
	v_and_b32_e32 v26, 64, v24
	s_nop 0
	v_mov_b32_dpp v25, v23 row_bcast:31 row_mask:0xf bank_mask:0xf
	v_cndmask_b32_e64 v25, 0, v25, s[20:21]
	v_add_u32_e32 v23, v23, v25
	v_add_u32_e32 v25, -1, v24
	v_cmp_lt_i32_e64 s[20:21], v25, v26
	v_cndmask_b32_e64 v24, v25, v24, s[20:21]
	v_lshlrev_b32_e32 v24, 2, v24
	ds_bpermute_b32 v23, v24, v23
	v_cmp_eq_u32_e64 s[20:21], 0, v0
	s_waitcnt lgkmcnt(0)
	v_add_u32_e32 v22, v23, v22
	v_cndmask_b32_e64 v22, v22, v17, s[20:21]
	ds_write_b32 v21, v22
	; wave barrier
	ds_read_b32 v23, v21 offset:4
	s_waitcnt lgkmcnt(0)
	v_add_u32_e32 v22, v23, v22
	ds_write_b32 v21, v22 offset:4
.LBB1670_22:
	s_or_b64 exec, exec, s[22:23]
	s_load_dwordx2 s[20:21], s[4:5], 0x18
	v_cmp_ne_u32_e64 s[4:5], 0, v0
	v_mov_b32_e32 v22, v17
	s_waitcnt lgkmcnt(0)
	s_barrier
	s_and_saveexec_b64 s[22:23], s[4:5]
	s_cbranch_execz .LBB1670_24
; %bb.23:
	v_add_u32_e32 v21, -1, v0
	v_lshrrev_b32_e32 v22, 5, v21
	v_add_lshl_u32 v21, v22, v21, 2
	ds_read_b32 v22, v21
.LBB1670_24:
	s_or_b64 exec, exec, s[22:23]
	v_mul_u32_u24_e32 v21, 36, v0
	v_mov_b32_e32 v0, v6
	s_and_saveexec_b64 s[22:23], s[4:5]
	s_cbranch_execz .LBB1670_26
; %bb.25:
	s_waitcnt lgkmcnt(0)
	v_add_u32_e32 v0, v22, v6
	v_add_u32_e32 v1, v0, v7
	;; [unrolled: 1-line block ×10, first 2 shown]
	;;#ASMSTART
	;;#ASMEND
.LBB1670_26:
	s_or_b64 exec, exec, s[22:23]
	v_add_u32_e32 v2, v20, v21
	s_waitcnt lgkmcnt(0)
	s_barrier
	ds_write2_b64 v2, v[0:1], v[14:15] offset1:1
	ds_write2_b64 v2, v[10:11], v[12:13] offset0:2 offset1:3
	ds_write_b64 v2, v[16:17] offset:32
	s_waitcnt lgkmcnt(0)
	s_barrier
	ds_read2st64_b32 v[8:9], v20 offset0:2 offset1:4
	ds_read2st64_b32 v[6:7], v20 offset0:6 offset1:8
	;; [unrolled: 1-line block ×4, first 2 shown]
	ds_read_b32 v10, v20 offset:4608
	v_mov_b32_e32 v1, s21
	v_add_co_u32_e64 v0, s[4:5], s20, v20
	v_addc_co_u32_e64 v1, s[4:5], 0, v1, s[4:5]
	s_and_saveexec_b64 s[4:5], vcc
	s_cbranch_execnz .LBB1670_37
; %bb.27:
	s_or_b64 exec, exec, s[4:5]
	s_and_saveexec_b64 s[4:5], s[0:1]
	s_cbranch_execnz .LBB1670_38
.LBB1670_28:
	s_or_b64 exec, exec, s[4:5]
	s_and_saveexec_b64 s[0:1], s[2:3]
	s_cbranch_execnz .LBB1670_39
.LBB1670_29:
	s_or_b64 exec, exec, s[0:1]
	s_and_saveexec_b64 s[0:1], s[18:19]
	s_cbranch_execnz .LBB1670_40
.LBB1670_30:
	s_or_b64 exec, exec, s[0:1]
	s_and_saveexec_b64 s[0:1], s[6:7]
	s_cbranch_execnz .LBB1670_41
.LBB1670_31:
	s_or_b64 exec, exec, s[0:1]
	s_and_saveexec_b64 s[0:1], s[8:9]
	s_cbranch_execnz .LBB1670_42
.LBB1670_32:
	s_or_b64 exec, exec, s[0:1]
	s_and_saveexec_b64 s[0:1], s[10:11]
	s_cbranch_execnz .LBB1670_43
.LBB1670_33:
	s_or_b64 exec, exec, s[0:1]
	s_and_saveexec_b64 s[0:1], s[12:13]
	s_cbranch_execnz .LBB1670_44
.LBB1670_34:
	s_or_b64 exec, exec, s[0:1]
	s_and_saveexec_b64 s[0:1], s[14:15]
	s_cbranch_execnz .LBB1670_45
.LBB1670_35:
	s_or_b64 exec, exec, s[0:1]
	s_and_saveexec_b64 s[0:1], s[16:17]
	s_cbranch_execnz .LBB1670_46
.LBB1670_36:
	s_endpgm
.LBB1670_37:
	ds_read_b32 v11, v20
	s_waitcnt lgkmcnt(0)
	v_cvt_f32_i32_e32 v11, v11
	global_store_dword v[0:1], v11, off
	s_or_b64 exec, exec, s[4:5]
	s_and_saveexec_b64 s[4:5], s[0:1]
	s_cbranch_execz .LBB1670_28
.LBB1670_38:
	s_waitcnt lgkmcnt(4)
	v_cvt_f32_i32_e32 v8, v8
	global_store_dword v[0:1], v8, off offset:512
	s_or_b64 exec, exec, s[4:5]
	s_and_saveexec_b64 s[0:1], s[2:3]
	s_cbranch_execz .LBB1670_29
.LBB1670_39:
	s_waitcnt lgkmcnt(4)
	v_cvt_f32_i32_e32 v8, v9
	global_store_dword v[0:1], v8, off offset:1024
	s_or_b64 exec, exec, s[0:1]
	s_and_saveexec_b64 s[0:1], s[18:19]
	s_cbranch_execz .LBB1670_30
.LBB1670_40:
	s_waitcnt lgkmcnt(3)
	v_cvt_f32_i32_e32 v6, v6
	global_store_dword v[0:1], v6, off offset:1536
	s_or_b64 exec, exec, s[0:1]
	s_and_saveexec_b64 s[0:1], s[6:7]
	s_cbranch_execz .LBB1670_31
.LBB1670_41:
	s_waitcnt lgkmcnt(3)
	v_cvt_f32_i32_e32 v6, v7
	global_store_dword v[0:1], v6, off offset:2048
	s_or_b64 exec, exec, s[0:1]
	s_and_saveexec_b64 s[0:1], s[8:9]
	s_cbranch_execz .LBB1670_32
.LBB1670_42:
	s_waitcnt lgkmcnt(2)
	v_cvt_f32_i32_e32 v4, v4
	global_store_dword v[0:1], v4, off offset:2560
	s_or_b64 exec, exec, s[0:1]
	s_and_saveexec_b64 s[0:1], s[10:11]
	s_cbranch_execz .LBB1670_33
.LBB1670_43:
	s_waitcnt lgkmcnt(2)
	v_cvt_f32_i32_e32 v4, v5
	global_store_dword v[0:1], v4, off offset:3072
	s_or_b64 exec, exec, s[0:1]
	s_and_saveexec_b64 s[0:1], s[12:13]
	s_cbranch_execz .LBB1670_34
.LBB1670_44:
	s_waitcnt lgkmcnt(1)
	v_cvt_f32_i32_e32 v2, v2
	global_store_dword v[0:1], v2, off offset:3584
	s_or_b64 exec, exec, s[0:1]
	s_and_saveexec_b64 s[0:1], s[14:15]
	s_cbranch_execz .LBB1670_35
.LBB1670_45:
	s_waitcnt lgkmcnt(1)
	v_cvt_f32_i32_e32 v4, v3
	v_add_co_u32_e32 v2, vcc, 0x1000, v0
	v_addc_co_u32_e32 v3, vcc, 0, v1, vcc
	global_store_dword v[2:3], v4, off
	s_or_b64 exec, exec, s[0:1]
	s_and_saveexec_b64 s[0:1], s[16:17]
	s_cbranch_execz .LBB1670_36
.LBB1670_46:
	s_waitcnt lgkmcnt(0)
	v_cvt_f32_i32_e32 v2, v10
	v_add_co_u32_e32 v0, vcc, 0x1000, v0
	v_addc_co_u32_e32 v1, vcc, 0, v1, vcc
	global_store_dword v[0:1], v2, off offset:512
	s_endpgm
	.section	.rodata,"a",@progbits
	.p2align	6, 0x0
	.amdhsa_kernel _ZN7rocprim17ROCPRIM_400000_NS6detail17trampoline_kernelINS0_14default_configENS1_20scan_config_selectorIiEEZZNS1_9scan_implILNS1_25lookback_scan_determinismE0ELb0ELb0ES3_N6thrust23THRUST_200600_302600_NS6detail15normal_iteratorINS9_10device_ptrIiEEEENSB_INSC_IfEEEEiNS9_4plusIvEEiEEDaPvRmT3_T4_T5_mT6_P12ihipStream_tbENKUlT_T0_E_clISt17integral_constantIbLb1EESW_EEDaSR_SS_EUlSR_E0_NS1_11comp_targetILNS1_3genE4ELNS1_11target_archE910ELNS1_3gpuE8ELNS1_3repE0EEENS1_30default_config_static_selectorELNS0_4arch9wavefront6targetE1EEEvT1_
		.amdhsa_group_segment_fixed_size 5120
		.amdhsa_private_segment_fixed_size 0
		.amdhsa_kernarg_size 32
		.amdhsa_user_sgpr_count 6
		.amdhsa_user_sgpr_private_segment_buffer 1
		.amdhsa_user_sgpr_dispatch_ptr 0
		.amdhsa_user_sgpr_queue_ptr 0
		.amdhsa_user_sgpr_kernarg_segment_ptr 1
		.amdhsa_user_sgpr_dispatch_id 0
		.amdhsa_user_sgpr_flat_scratch_init 0
		.amdhsa_user_sgpr_kernarg_preload_length 0
		.amdhsa_user_sgpr_kernarg_preload_offset 0
		.amdhsa_user_sgpr_private_segment_size 0
		.amdhsa_uses_dynamic_stack 0
		.amdhsa_system_sgpr_private_segment_wavefront_offset 0
		.amdhsa_system_sgpr_workgroup_id_x 1
		.amdhsa_system_sgpr_workgroup_id_y 0
		.amdhsa_system_sgpr_workgroup_id_z 0
		.amdhsa_system_sgpr_workgroup_info 0
		.amdhsa_system_vgpr_workitem_id 0
		.amdhsa_next_free_vgpr 27
		.amdhsa_next_free_sgpr 24
		.amdhsa_accum_offset 28
		.amdhsa_reserve_vcc 1
		.amdhsa_reserve_flat_scratch 0
		.amdhsa_float_round_mode_32 0
		.amdhsa_float_round_mode_16_64 0
		.amdhsa_float_denorm_mode_32 3
		.amdhsa_float_denorm_mode_16_64 3
		.amdhsa_dx10_clamp 1
		.amdhsa_ieee_mode 1
		.amdhsa_fp16_overflow 0
		.amdhsa_tg_split 0
		.amdhsa_exception_fp_ieee_invalid_op 0
		.amdhsa_exception_fp_denorm_src 0
		.amdhsa_exception_fp_ieee_div_zero 0
		.amdhsa_exception_fp_ieee_overflow 0
		.amdhsa_exception_fp_ieee_underflow 0
		.amdhsa_exception_fp_ieee_inexact 0
		.amdhsa_exception_int_div_zero 0
	.end_amdhsa_kernel
	.section	.text._ZN7rocprim17ROCPRIM_400000_NS6detail17trampoline_kernelINS0_14default_configENS1_20scan_config_selectorIiEEZZNS1_9scan_implILNS1_25lookback_scan_determinismE0ELb0ELb0ES3_N6thrust23THRUST_200600_302600_NS6detail15normal_iteratorINS9_10device_ptrIiEEEENSB_INSC_IfEEEEiNS9_4plusIvEEiEEDaPvRmT3_T4_T5_mT6_P12ihipStream_tbENKUlT_T0_E_clISt17integral_constantIbLb1EESW_EEDaSR_SS_EUlSR_E0_NS1_11comp_targetILNS1_3genE4ELNS1_11target_archE910ELNS1_3gpuE8ELNS1_3repE0EEENS1_30default_config_static_selectorELNS0_4arch9wavefront6targetE1EEEvT1_,"axG",@progbits,_ZN7rocprim17ROCPRIM_400000_NS6detail17trampoline_kernelINS0_14default_configENS1_20scan_config_selectorIiEEZZNS1_9scan_implILNS1_25lookback_scan_determinismE0ELb0ELb0ES3_N6thrust23THRUST_200600_302600_NS6detail15normal_iteratorINS9_10device_ptrIiEEEENSB_INSC_IfEEEEiNS9_4plusIvEEiEEDaPvRmT3_T4_T5_mT6_P12ihipStream_tbENKUlT_T0_E_clISt17integral_constantIbLb1EESW_EEDaSR_SS_EUlSR_E0_NS1_11comp_targetILNS1_3genE4ELNS1_11target_archE910ELNS1_3gpuE8ELNS1_3repE0EEENS1_30default_config_static_selectorELNS0_4arch9wavefront6targetE1EEEvT1_,comdat
.Lfunc_end1670:
	.size	_ZN7rocprim17ROCPRIM_400000_NS6detail17trampoline_kernelINS0_14default_configENS1_20scan_config_selectorIiEEZZNS1_9scan_implILNS1_25lookback_scan_determinismE0ELb0ELb0ES3_N6thrust23THRUST_200600_302600_NS6detail15normal_iteratorINS9_10device_ptrIiEEEENSB_INSC_IfEEEEiNS9_4plusIvEEiEEDaPvRmT3_T4_T5_mT6_P12ihipStream_tbENKUlT_T0_E_clISt17integral_constantIbLb1EESW_EEDaSR_SS_EUlSR_E0_NS1_11comp_targetILNS1_3genE4ELNS1_11target_archE910ELNS1_3gpuE8ELNS1_3repE0EEENS1_30default_config_static_selectorELNS0_4arch9wavefront6targetE1EEEvT1_, .Lfunc_end1670-_ZN7rocprim17ROCPRIM_400000_NS6detail17trampoline_kernelINS0_14default_configENS1_20scan_config_selectorIiEEZZNS1_9scan_implILNS1_25lookback_scan_determinismE0ELb0ELb0ES3_N6thrust23THRUST_200600_302600_NS6detail15normal_iteratorINS9_10device_ptrIiEEEENSB_INSC_IfEEEEiNS9_4plusIvEEiEEDaPvRmT3_T4_T5_mT6_P12ihipStream_tbENKUlT_T0_E_clISt17integral_constantIbLb1EESW_EEDaSR_SS_EUlSR_E0_NS1_11comp_targetILNS1_3genE4ELNS1_11target_archE910ELNS1_3gpuE8ELNS1_3repE0EEENS1_30default_config_static_selectorELNS0_4arch9wavefront6targetE1EEEvT1_
                                        ; -- End function
	.section	.AMDGPU.csdata,"",@progbits
; Kernel info:
; codeLenInByte = 1592
; NumSgprs: 28
; NumVgprs: 27
; NumAgprs: 0
; TotalNumVgprs: 27
; ScratchSize: 0
; MemoryBound: 0
; FloatMode: 240
; IeeeMode: 1
; LDSByteSize: 5120 bytes/workgroup (compile time only)
; SGPRBlocks: 3
; VGPRBlocks: 3
; NumSGPRsForWavesPerEU: 28
; NumVGPRsForWavesPerEU: 27
; AccumOffset: 28
; Occupancy: 6
; WaveLimiterHint : 0
; COMPUTE_PGM_RSRC2:SCRATCH_EN: 0
; COMPUTE_PGM_RSRC2:USER_SGPR: 6
; COMPUTE_PGM_RSRC2:TRAP_HANDLER: 0
; COMPUTE_PGM_RSRC2:TGID_X_EN: 1
; COMPUTE_PGM_RSRC2:TGID_Y_EN: 0
; COMPUTE_PGM_RSRC2:TGID_Z_EN: 0
; COMPUTE_PGM_RSRC2:TIDIG_COMP_CNT: 0
; COMPUTE_PGM_RSRC3_GFX90A:ACCUM_OFFSET: 6
; COMPUTE_PGM_RSRC3_GFX90A:TG_SPLIT: 0
	.section	.text._ZN7rocprim17ROCPRIM_400000_NS6detail17trampoline_kernelINS0_14default_configENS1_20scan_config_selectorIiEEZZNS1_9scan_implILNS1_25lookback_scan_determinismE0ELb0ELb0ES3_N6thrust23THRUST_200600_302600_NS6detail15normal_iteratorINS9_10device_ptrIiEEEENSB_INSC_IfEEEEiNS9_4plusIvEEiEEDaPvRmT3_T4_T5_mT6_P12ihipStream_tbENKUlT_T0_E_clISt17integral_constantIbLb1EESW_EEDaSR_SS_EUlSR_E0_NS1_11comp_targetILNS1_3genE3ELNS1_11target_archE908ELNS1_3gpuE7ELNS1_3repE0EEENS1_30default_config_static_selectorELNS0_4arch9wavefront6targetE1EEEvT1_,"axG",@progbits,_ZN7rocprim17ROCPRIM_400000_NS6detail17trampoline_kernelINS0_14default_configENS1_20scan_config_selectorIiEEZZNS1_9scan_implILNS1_25lookback_scan_determinismE0ELb0ELb0ES3_N6thrust23THRUST_200600_302600_NS6detail15normal_iteratorINS9_10device_ptrIiEEEENSB_INSC_IfEEEEiNS9_4plusIvEEiEEDaPvRmT3_T4_T5_mT6_P12ihipStream_tbENKUlT_T0_E_clISt17integral_constantIbLb1EESW_EEDaSR_SS_EUlSR_E0_NS1_11comp_targetILNS1_3genE3ELNS1_11target_archE908ELNS1_3gpuE7ELNS1_3repE0EEENS1_30default_config_static_selectorELNS0_4arch9wavefront6targetE1EEEvT1_,comdat
	.protected	_ZN7rocprim17ROCPRIM_400000_NS6detail17trampoline_kernelINS0_14default_configENS1_20scan_config_selectorIiEEZZNS1_9scan_implILNS1_25lookback_scan_determinismE0ELb0ELb0ES3_N6thrust23THRUST_200600_302600_NS6detail15normal_iteratorINS9_10device_ptrIiEEEENSB_INSC_IfEEEEiNS9_4plusIvEEiEEDaPvRmT3_T4_T5_mT6_P12ihipStream_tbENKUlT_T0_E_clISt17integral_constantIbLb1EESW_EEDaSR_SS_EUlSR_E0_NS1_11comp_targetILNS1_3genE3ELNS1_11target_archE908ELNS1_3gpuE7ELNS1_3repE0EEENS1_30default_config_static_selectorELNS0_4arch9wavefront6targetE1EEEvT1_ ; -- Begin function _ZN7rocprim17ROCPRIM_400000_NS6detail17trampoline_kernelINS0_14default_configENS1_20scan_config_selectorIiEEZZNS1_9scan_implILNS1_25lookback_scan_determinismE0ELb0ELb0ES3_N6thrust23THRUST_200600_302600_NS6detail15normal_iteratorINS9_10device_ptrIiEEEENSB_INSC_IfEEEEiNS9_4plusIvEEiEEDaPvRmT3_T4_T5_mT6_P12ihipStream_tbENKUlT_T0_E_clISt17integral_constantIbLb1EESW_EEDaSR_SS_EUlSR_E0_NS1_11comp_targetILNS1_3genE3ELNS1_11target_archE908ELNS1_3gpuE7ELNS1_3repE0EEENS1_30default_config_static_selectorELNS0_4arch9wavefront6targetE1EEEvT1_
	.globl	_ZN7rocprim17ROCPRIM_400000_NS6detail17trampoline_kernelINS0_14default_configENS1_20scan_config_selectorIiEEZZNS1_9scan_implILNS1_25lookback_scan_determinismE0ELb0ELb0ES3_N6thrust23THRUST_200600_302600_NS6detail15normal_iteratorINS9_10device_ptrIiEEEENSB_INSC_IfEEEEiNS9_4plusIvEEiEEDaPvRmT3_T4_T5_mT6_P12ihipStream_tbENKUlT_T0_E_clISt17integral_constantIbLb1EESW_EEDaSR_SS_EUlSR_E0_NS1_11comp_targetILNS1_3genE3ELNS1_11target_archE908ELNS1_3gpuE7ELNS1_3repE0EEENS1_30default_config_static_selectorELNS0_4arch9wavefront6targetE1EEEvT1_
	.p2align	8
	.type	_ZN7rocprim17ROCPRIM_400000_NS6detail17trampoline_kernelINS0_14default_configENS1_20scan_config_selectorIiEEZZNS1_9scan_implILNS1_25lookback_scan_determinismE0ELb0ELb0ES3_N6thrust23THRUST_200600_302600_NS6detail15normal_iteratorINS9_10device_ptrIiEEEENSB_INSC_IfEEEEiNS9_4plusIvEEiEEDaPvRmT3_T4_T5_mT6_P12ihipStream_tbENKUlT_T0_E_clISt17integral_constantIbLb1EESW_EEDaSR_SS_EUlSR_E0_NS1_11comp_targetILNS1_3genE3ELNS1_11target_archE908ELNS1_3gpuE7ELNS1_3repE0EEENS1_30default_config_static_selectorELNS0_4arch9wavefront6targetE1EEEvT1_,@function
_ZN7rocprim17ROCPRIM_400000_NS6detail17trampoline_kernelINS0_14default_configENS1_20scan_config_selectorIiEEZZNS1_9scan_implILNS1_25lookback_scan_determinismE0ELb0ELb0ES3_N6thrust23THRUST_200600_302600_NS6detail15normal_iteratorINS9_10device_ptrIiEEEENSB_INSC_IfEEEEiNS9_4plusIvEEiEEDaPvRmT3_T4_T5_mT6_P12ihipStream_tbENKUlT_T0_E_clISt17integral_constantIbLb1EESW_EEDaSR_SS_EUlSR_E0_NS1_11comp_targetILNS1_3genE3ELNS1_11target_archE908ELNS1_3gpuE7ELNS1_3repE0EEENS1_30default_config_static_selectorELNS0_4arch9wavefront6targetE1EEEvT1_: ; @_ZN7rocprim17ROCPRIM_400000_NS6detail17trampoline_kernelINS0_14default_configENS1_20scan_config_selectorIiEEZZNS1_9scan_implILNS1_25lookback_scan_determinismE0ELb0ELb0ES3_N6thrust23THRUST_200600_302600_NS6detail15normal_iteratorINS9_10device_ptrIiEEEENSB_INSC_IfEEEEiNS9_4plusIvEEiEEDaPvRmT3_T4_T5_mT6_P12ihipStream_tbENKUlT_T0_E_clISt17integral_constantIbLb1EESW_EEDaSR_SS_EUlSR_E0_NS1_11comp_targetILNS1_3genE3ELNS1_11target_archE908ELNS1_3gpuE7ELNS1_3repE0EEENS1_30default_config_static_selectorELNS0_4arch9wavefront6targetE1EEEvT1_
; %bb.0:
	.section	.rodata,"a",@progbits
	.p2align	6, 0x0
	.amdhsa_kernel _ZN7rocprim17ROCPRIM_400000_NS6detail17trampoline_kernelINS0_14default_configENS1_20scan_config_selectorIiEEZZNS1_9scan_implILNS1_25lookback_scan_determinismE0ELb0ELb0ES3_N6thrust23THRUST_200600_302600_NS6detail15normal_iteratorINS9_10device_ptrIiEEEENSB_INSC_IfEEEEiNS9_4plusIvEEiEEDaPvRmT3_T4_T5_mT6_P12ihipStream_tbENKUlT_T0_E_clISt17integral_constantIbLb1EESW_EEDaSR_SS_EUlSR_E0_NS1_11comp_targetILNS1_3genE3ELNS1_11target_archE908ELNS1_3gpuE7ELNS1_3repE0EEENS1_30default_config_static_selectorELNS0_4arch9wavefront6targetE1EEEvT1_
		.amdhsa_group_segment_fixed_size 0
		.amdhsa_private_segment_fixed_size 0
		.amdhsa_kernarg_size 32
		.amdhsa_user_sgpr_count 6
		.amdhsa_user_sgpr_private_segment_buffer 1
		.amdhsa_user_sgpr_dispatch_ptr 0
		.amdhsa_user_sgpr_queue_ptr 0
		.amdhsa_user_sgpr_kernarg_segment_ptr 1
		.amdhsa_user_sgpr_dispatch_id 0
		.amdhsa_user_sgpr_flat_scratch_init 0
		.amdhsa_user_sgpr_kernarg_preload_length 0
		.amdhsa_user_sgpr_kernarg_preload_offset 0
		.amdhsa_user_sgpr_private_segment_size 0
		.amdhsa_uses_dynamic_stack 0
		.amdhsa_system_sgpr_private_segment_wavefront_offset 0
		.amdhsa_system_sgpr_workgroup_id_x 1
		.amdhsa_system_sgpr_workgroup_id_y 0
		.amdhsa_system_sgpr_workgroup_id_z 0
		.amdhsa_system_sgpr_workgroup_info 0
		.amdhsa_system_vgpr_workitem_id 0
		.amdhsa_next_free_vgpr 1
		.amdhsa_next_free_sgpr 0
		.amdhsa_accum_offset 4
		.amdhsa_reserve_vcc 0
		.amdhsa_reserve_flat_scratch 0
		.amdhsa_float_round_mode_32 0
		.amdhsa_float_round_mode_16_64 0
		.amdhsa_float_denorm_mode_32 3
		.amdhsa_float_denorm_mode_16_64 3
		.amdhsa_dx10_clamp 1
		.amdhsa_ieee_mode 1
		.amdhsa_fp16_overflow 0
		.amdhsa_tg_split 0
		.amdhsa_exception_fp_ieee_invalid_op 0
		.amdhsa_exception_fp_denorm_src 0
		.amdhsa_exception_fp_ieee_div_zero 0
		.amdhsa_exception_fp_ieee_overflow 0
		.amdhsa_exception_fp_ieee_underflow 0
		.amdhsa_exception_fp_ieee_inexact 0
		.amdhsa_exception_int_div_zero 0
	.end_amdhsa_kernel
	.section	.text._ZN7rocprim17ROCPRIM_400000_NS6detail17trampoline_kernelINS0_14default_configENS1_20scan_config_selectorIiEEZZNS1_9scan_implILNS1_25lookback_scan_determinismE0ELb0ELb0ES3_N6thrust23THRUST_200600_302600_NS6detail15normal_iteratorINS9_10device_ptrIiEEEENSB_INSC_IfEEEEiNS9_4plusIvEEiEEDaPvRmT3_T4_T5_mT6_P12ihipStream_tbENKUlT_T0_E_clISt17integral_constantIbLb1EESW_EEDaSR_SS_EUlSR_E0_NS1_11comp_targetILNS1_3genE3ELNS1_11target_archE908ELNS1_3gpuE7ELNS1_3repE0EEENS1_30default_config_static_selectorELNS0_4arch9wavefront6targetE1EEEvT1_,"axG",@progbits,_ZN7rocprim17ROCPRIM_400000_NS6detail17trampoline_kernelINS0_14default_configENS1_20scan_config_selectorIiEEZZNS1_9scan_implILNS1_25lookback_scan_determinismE0ELb0ELb0ES3_N6thrust23THRUST_200600_302600_NS6detail15normal_iteratorINS9_10device_ptrIiEEEENSB_INSC_IfEEEEiNS9_4plusIvEEiEEDaPvRmT3_T4_T5_mT6_P12ihipStream_tbENKUlT_T0_E_clISt17integral_constantIbLb1EESW_EEDaSR_SS_EUlSR_E0_NS1_11comp_targetILNS1_3genE3ELNS1_11target_archE908ELNS1_3gpuE7ELNS1_3repE0EEENS1_30default_config_static_selectorELNS0_4arch9wavefront6targetE1EEEvT1_,comdat
.Lfunc_end1671:
	.size	_ZN7rocprim17ROCPRIM_400000_NS6detail17trampoline_kernelINS0_14default_configENS1_20scan_config_selectorIiEEZZNS1_9scan_implILNS1_25lookback_scan_determinismE0ELb0ELb0ES3_N6thrust23THRUST_200600_302600_NS6detail15normal_iteratorINS9_10device_ptrIiEEEENSB_INSC_IfEEEEiNS9_4plusIvEEiEEDaPvRmT3_T4_T5_mT6_P12ihipStream_tbENKUlT_T0_E_clISt17integral_constantIbLb1EESW_EEDaSR_SS_EUlSR_E0_NS1_11comp_targetILNS1_3genE3ELNS1_11target_archE908ELNS1_3gpuE7ELNS1_3repE0EEENS1_30default_config_static_selectorELNS0_4arch9wavefront6targetE1EEEvT1_, .Lfunc_end1671-_ZN7rocprim17ROCPRIM_400000_NS6detail17trampoline_kernelINS0_14default_configENS1_20scan_config_selectorIiEEZZNS1_9scan_implILNS1_25lookback_scan_determinismE0ELb0ELb0ES3_N6thrust23THRUST_200600_302600_NS6detail15normal_iteratorINS9_10device_ptrIiEEEENSB_INSC_IfEEEEiNS9_4plusIvEEiEEDaPvRmT3_T4_T5_mT6_P12ihipStream_tbENKUlT_T0_E_clISt17integral_constantIbLb1EESW_EEDaSR_SS_EUlSR_E0_NS1_11comp_targetILNS1_3genE3ELNS1_11target_archE908ELNS1_3gpuE7ELNS1_3repE0EEENS1_30default_config_static_selectorELNS0_4arch9wavefront6targetE1EEEvT1_
                                        ; -- End function
	.section	.AMDGPU.csdata,"",@progbits
; Kernel info:
; codeLenInByte = 0
; NumSgprs: 4
; NumVgprs: 0
; NumAgprs: 0
; TotalNumVgprs: 0
; ScratchSize: 0
; MemoryBound: 0
; FloatMode: 240
; IeeeMode: 1
; LDSByteSize: 0 bytes/workgroup (compile time only)
; SGPRBlocks: 0
; VGPRBlocks: 0
; NumSGPRsForWavesPerEU: 4
; NumVGPRsForWavesPerEU: 1
; AccumOffset: 4
; Occupancy: 8
; WaveLimiterHint : 0
; COMPUTE_PGM_RSRC2:SCRATCH_EN: 0
; COMPUTE_PGM_RSRC2:USER_SGPR: 6
; COMPUTE_PGM_RSRC2:TRAP_HANDLER: 0
; COMPUTE_PGM_RSRC2:TGID_X_EN: 1
; COMPUTE_PGM_RSRC2:TGID_Y_EN: 0
; COMPUTE_PGM_RSRC2:TGID_Z_EN: 0
; COMPUTE_PGM_RSRC2:TIDIG_COMP_CNT: 0
; COMPUTE_PGM_RSRC3_GFX90A:ACCUM_OFFSET: 0
; COMPUTE_PGM_RSRC3_GFX90A:TG_SPLIT: 0
	.section	.text._ZN7rocprim17ROCPRIM_400000_NS6detail17trampoline_kernelINS0_14default_configENS1_20scan_config_selectorIiEEZZNS1_9scan_implILNS1_25lookback_scan_determinismE0ELb0ELb0ES3_N6thrust23THRUST_200600_302600_NS6detail15normal_iteratorINS9_10device_ptrIiEEEENSB_INSC_IfEEEEiNS9_4plusIvEEiEEDaPvRmT3_T4_T5_mT6_P12ihipStream_tbENKUlT_T0_E_clISt17integral_constantIbLb1EESW_EEDaSR_SS_EUlSR_E0_NS1_11comp_targetILNS1_3genE2ELNS1_11target_archE906ELNS1_3gpuE6ELNS1_3repE0EEENS1_30default_config_static_selectorELNS0_4arch9wavefront6targetE1EEEvT1_,"axG",@progbits,_ZN7rocprim17ROCPRIM_400000_NS6detail17trampoline_kernelINS0_14default_configENS1_20scan_config_selectorIiEEZZNS1_9scan_implILNS1_25lookback_scan_determinismE0ELb0ELb0ES3_N6thrust23THRUST_200600_302600_NS6detail15normal_iteratorINS9_10device_ptrIiEEEENSB_INSC_IfEEEEiNS9_4plusIvEEiEEDaPvRmT3_T4_T5_mT6_P12ihipStream_tbENKUlT_T0_E_clISt17integral_constantIbLb1EESW_EEDaSR_SS_EUlSR_E0_NS1_11comp_targetILNS1_3genE2ELNS1_11target_archE906ELNS1_3gpuE6ELNS1_3repE0EEENS1_30default_config_static_selectorELNS0_4arch9wavefront6targetE1EEEvT1_,comdat
	.protected	_ZN7rocprim17ROCPRIM_400000_NS6detail17trampoline_kernelINS0_14default_configENS1_20scan_config_selectorIiEEZZNS1_9scan_implILNS1_25lookback_scan_determinismE0ELb0ELb0ES3_N6thrust23THRUST_200600_302600_NS6detail15normal_iteratorINS9_10device_ptrIiEEEENSB_INSC_IfEEEEiNS9_4plusIvEEiEEDaPvRmT3_T4_T5_mT6_P12ihipStream_tbENKUlT_T0_E_clISt17integral_constantIbLb1EESW_EEDaSR_SS_EUlSR_E0_NS1_11comp_targetILNS1_3genE2ELNS1_11target_archE906ELNS1_3gpuE6ELNS1_3repE0EEENS1_30default_config_static_selectorELNS0_4arch9wavefront6targetE1EEEvT1_ ; -- Begin function _ZN7rocprim17ROCPRIM_400000_NS6detail17trampoline_kernelINS0_14default_configENS1_20scan_config_selectorIiEEZZNS1_9scan_implILNS1_25lookback_scan_determinismE0ELb0ELb0ES3_N6thrust23THRUST_200600_302600_NS6detail15normal_iteratorINS9_10device_ptrIiEEEENSB_INSC_IfEEEEiNS9_4plusIvEEiEEDaPvRmT3_T4_T5_mT6_P12ihipStream_tbENKUlT_T0_E_clISt17integral_constantIbLb1EESW_EEDaSR_SS_EUlSR_E0_NS1_11comp_targetILNS1_3genE2ELNS1_11target_archE906ELNS1_3gpuE6ELNS1_3repE0EEENS1_30default_config_static_selectorELNS0_4arch9wavefront6targetE1EEEvT1_
	.globl	_ZN7rocprim17ROCPRIM_400000_NS6detail17trampoline_kernelINS0_14default_configENS1_20scan_config_selectorIiEEZZNS1_9scan_implILNS1_25lookback_scan_determinismE0ELb0ELb0ES3_N6thrust23THRUST_200600_302600_NS6detail15normal_iteratorINS9_10device_ptrIiEEEENSB_INSC_IfEEEEiNS9_4plusIvEEiEEDaPvRmT3_T4_T5_mT6_P12ihipStream_tbENKUlT_T0_E_clISt17integral_constantIbLb1EESW_EEDaSR_SS_EUlSR_E0_NS1_11comp_targetILNS1_3genE2ELNS1_11target_archE906ELNS1_3gpuE6ELNS1_3repE0EEENS1_30default_config_static_selectorELNS0_4arch9wavefront6targetE1EEEvT1_
	.p2align	8
	.type	_ZN7rocprim17ROCPRIM_400000_NS6detail17trampoline_kernelINS0_14default_configENS1_20scan_config_selectorIiEEZZNS1_9scan_implILNS1_25lookback_scan_determinismE0ELb0ELb0ES3_N6thrust23THRUST_200600_302600_NS6detail15normal_iteratorINS9_10device_ptrIiEEEENSB_INSC_IfEEEEiNS9_4plusIvEEiEEDaPvRmT3_T4_T5_mT6_P12ihipStream_tbENKUlT_T0_E_clISt17integral_constantIbLb1EESW_EEDaSR_SS_EUlSR_E0_NS1_11comp_targetILNS1_3genE2ELNS1_11target_archE906ELNS1_3gpuE6ELNS1_3repE0EEENS1_30default_config_static_selectorELNS0_4arch9wavefront6targetE1EEEvT1_,@function
_ZN7rocprim17ROCPRIM_400000_NS6detail17trampoline_kernelINS0_14default_configENS1_20scan_config_selectorIiEEZZNS1_9scan_implILNS1_25lookback_scan_determinismE0ELb0ELb0ES3_N6thrust23THRUST_200600_302600_NS6detail15normal_iteratorINS9_10device_ptrIiEEEENSB_INSC_IfEEEEiNS9_4plusIvEEiEEDaPvRmT3_T4_T5_mT6_P12ihipStream_tbENKUlT_T0_E_clISt17integral_constantIbLb1EESW_EEDaSR_SS_EUlSR_E0_NS1_11comp_targetILNS1_3genE2ELNS1_11target_archE906ELNS1_3gpuE6ELNS1_3repE0EEENS1_30default_config_static_selectorELNS0_4arch9wavefront6targetE1EEEvT1_: ; @_ZN7rocprim17ROCPRIM_400000_NS6detail17trampoline_kernelINS0_14default_configENS1_20scan_config_selectorIiEEZZNS1_9scan_implILNS1_25lookback_scan_determinismE0ELb0ELb0ES3_N6thrust23THRUST_200600_302600_NS6detail15normal_iteratorINS9_10device_ptrIiEEEENSB_INSC_IfEEEEiNS9_4plusIvEEiEEDaPvRmT3_T4_T5_mT6_P12ihipStream_tbENKUlT_T0_E_clISt17integral_constantIbLb1EESW_EEDaSR_SS_EUlSR_E0_NS1_11comp_targetILNS1_3genE2ELNS1_11target_archE906ELNS1_3gpuE6ELNS1_3repE0EEENS1_30default_config_static_selectorELNS0_4arch9wavefront6targetE1EEEvT1_
; %bb.0:
	.section	.rodata,"a",@progbits
	.p2align	6, 0x0
	.amdhsa_kernel _ZN7rocprim17ROCPRIM_400000_NS6detail17trampoline_kernelINS0_14default_configENS1_20scan_config_selectorIiEEZZNS1_9scan_implILNS1_25lookback_scan_determinismE0ELb0ELb0ES3_N6thrust23THRUST_200600_302600_NS6detail15normal_iteratorINS9_10device_ptrIiEEEENSB_INSC_IfEEEEiNS9_4plusIvEEiEEDaPvRmT3_T4_T5_mT6_P12ihipStream_tbENKUlT_T0_E_clISt17integral_constantIbLb1EESW_EEDaSR_SS_EUlSR_E0_NS1_11comp_targetILNS1_3genE2ELNS1_11target_archE906ELNS1_3gpuE6ELNS1_3repE0EEENS1_30default_config_static_selectorELNS0_4arch9wavefront6targetE1EEEvT1_
		.amdhsa_group_segment_fixed_size 0
		.amdhsa_private_segment_fixed_size 0
		.amdhsa_kernarg_size 32
		.amdhsa_user_sgpr_count 6
		.amdhsa_user_sgpr_private_segment_buffer 1
		.amdhsa_user_sgpr_dispatch_ptr 0
		.amdhsa_user_sgpr_queue_ptr 0
		.amdhsa_user_sgpr_kernarg_segment_ptr 1
		.amdhsa_user_sgpr_dispatch_id 0
		.amdhsa_user_sgpr_flat_scratch_init 0
		.amdhsa_user_sgpr_kernarg_preload_length 0
		.amdhsa_user_sgpr_kernarg_preload_offset 0
		.amdhsa_user_sgpr_private_segment_size 0
		.amdhsa_uses_dynamic_stack 0
		.amdhsa_system_sgpr_private_segment_wavefront_offset 0
		.amdhsa_system_sgpr_workgroup_id_x 1
		.amdhsa_system_sgpr_workgroup_id_y 0
		.amdhsa_system_sgpr_workgroup_id_z 0
		.amdhsa_system_sgpr_workgroup_info 0
		.amdhsa_system_vgpr_workitem_id 0
		.amdhsa_next_free_vgpr 1
		.amdhsa_next_free_sgpr 0
		.amdhsa_accum_offset 4
		.amdhsa_reserve_vcc 0
		.amdhsa_reserve_flat_scratch 0
		.amdhsa_float_round_mode_32 0
		.amdhsa_float_round_mode_16_64 0
		.amdhsa_float_denorm_mode_32 3
		.amdhsa_float_denorm_mode_16_64 3
		.amdhsa_dx10_clamp 1
		.amdhsa_ieee_mode 1
		.amdhsa_fp16_overflow 0
		.amdhsa_tg_split 0
		.amdhsa_exception_fp_ieee_invalid_op 0
		.amdhsa_exception_fp_denorm_src 0
		.amdhsa_exception_fp_ieee_div_zero 0
		.amdhsa_exception_fp_ieee_overflow 0
		.amdhsa_exception_fp_ieee_underflow 0
		.amdhsa_exception_fp_ieee_inexact 0
		.amdhsa_exception_int_div_zero 0
	.end_amdhsa_kernel
	.section	.text._ZN7rocprim17ROCPRIM_400000_NS6detail17trampoline_kernelINS0_14default_configENS1_20scan_config_selectorIiEEZZNS1_9scan_implILNS1_25lookback_scan_determinismE0ELb0ELb0ES3_N6thrust23THRUST_200600_302600_NS6detail15normal_iteratorINS9_10device_ptrIiEEEENSB_INSC_IfEEEEiNS9_4plusIvEEiEEDaPvRmT3_T4_T5_mT6_P12ihipStream_tbENKUlT_T0_E_clISt17integral_constantIbLb1EESW_EEDaSR_SS_EUlSR_E0_NS1_11comp_targetILNS1_3genE2ELNS1_11target_archE906ELNS1_3gpuE6ELNS1_3repE0EEENS1_30default_config_static_selectorELNS0_4arch9wavefront6targetE1EEEvT1_,"axG",@progbits,_ZN7rocprim17ROCPRIM_400000_NS6detail17trampoline_kernelINS0_14default_configENS1_20scan_config_selectorIiEEZZNS1_9scan_implILNS1_25lookback_scan_determinismE0ELb0ELb0ES3_N6thrust23THRUST_200600_302600_NS6detail15normal_iteratorINS9_10device_ptrIiEEEENSB_INSC_IfEEEEiNS9_4plusIvEEiEEDaPvRmT3_T4_T5_mT6_P12ihipStream_tbENKUlT_T0_E_clISt17integral_constantIbLb1EESW_EEDaSR_SS_EUlSR_E0_NS1_11comp_targetILNS1_3genE2ELNS1_11target_archE906ELNS1_3gpuE6ELNS1_3repE0EEENS1_30default_config_static_selectorELNS0_4arch9wavefront6targetE1EEEvT1_,comdat
.Lfunc_end1672:
	.size	_ZN7rocprim17ROCPRIM_400000_NS6detail17trampoline_kernelINS0_14default_configENS1_20scan_config_selectorIiEEZZNS1_9scan_implILNS1_25lookback_scan_determinismE0ELb0ELb0ES3_N6thrust23THRUST_200600_302600_NS6detail15normal_iteratorINS9_10device_ptrIiEEEENSB_INSC_IfEEEEiNS9_4plusIvEEiEEDaPvRmT3_T4_T5_mT6_P12ihipStream_tbENKUlT_T0_E_clISt17integral_constantIbLb1EESW_EEDaSR_SS_EUlSR_E0_NS1_11comp_targetILNS1_3genE2ELNS1_11target_archE906ELNS1_3gpuE6ELNS1_3repE0EEENS1_30default_config_static_selectorELNS0_4arch9wavefront6targetE1EEEvT1_, .Lfunc_end1672-_ZN7rocprim17ROCPRIM_400000_NS6detail17trampoline_kernelINS0_14default_configENS1_20scan_config_selectorIiEEZZNS1_9scan_implILNS1_25lookback_scan_determinismE0ELb0ELb0ES3_N6thrust23THRUST_200600_302600_NS6detail15normal_iteratorINS9_10device_ptrIiEEEENSB_INSC_IfEEEEiNS9_4plusIvEEiEEDaPvRmT3_T4_T5_mT6_P12ihipStream_tbENKUlT_T0_E_clISt17integral_constantIbLb1EESW_EEDaSR_SS_EUlSR_E0_NS1_11comp_targetILNS1_3genE2ELNS1_11target_archE906ELNS1_3gpuE6ELNS1_3repE0EEENS1_30default_config_static_selectorELNS0_4arch9wavefront6targetE1EEEvT1_
                                        ; -- End function
	.section	.AMDGPU.csdata,"",@progbits
; Kernel info:
; codeLenInByte = 0
; NumSgprs: 4
; NumVgprs: 0
; NumAgprs: 0
; TotalNumVgprs: 0
; ScratchSize: 0
; MemoryBound: 0
; FloatMode: 240
; IeeeMode: 1
; LDSByteSize: 0 bytes/workgroup (compile time only)
; SGPRBlocks: 0
; VGPRBlocks: 0
; NumSGPRsForWavesPerEU: 4
; NumVGPRsForWavesPerEU: 1
; AccumOffset: 4
; Occupancy: 8
; WaveLimiterHint : 0
; COMPUTE_PGM_RSRC2:SCRATCH_EN: 0
; COMPUTE_PGM_RSRC2:USER_SGPR: 6
; COMPUTE_PGM_RSRC2:TRAP_HANDLER: 0
; COMPUTE_PGM_RSRC2:TGID_X_EN: 1
; COMPUTE_PGM_RSRC2:TGID_Y_EN: 0
; COMPUTE_PGM_RSRC2:TGID_Z_EN: 0
; COMPUTE_PGM_RSRC2:TIDIG_COMP_CNT: 0
; COMPUTE_PGM_RSRC3_GFX90A:ACCUM_OFFSET: 0
; COMPUTE_PGM_RSRC3_GFX90A:TG_SPLIT: 0
	.section	.text._ZN7rocprim17ROCPRIM_400000_NS6detail17trampoline_kernelINS0_14default_configENS1_20scan_config_selectorIiEEZZNS1_9scan_implILNS1_25lookback_scan_determinismE0ELb0ELb0ES3_N6thrust23THRUST_200600_302600_NS6detail15normal_iteratorINS9_10device_ptrIiEEEENSB_INSC_IfEEEEiNS9_4plusIvEEiEEDaPvRmT3_T4_T5_mT6_P12ihipStream_tbENKUlT_T0_E_clISt17integral_constantIbLb1EESW_EEDaSR_SS_EUlSR_E0_NS1_11comp_targetILNS1_3genE10ELNS1_11target_archE1201ELNS1_3gpuE5ELNS1_3repE0EEENS1_30default_config_static_selectorELNS0_4arch9wavefront6targetE1EEEvT1_,"axG",@progbits,_ZN7rocprim17ROCPRIM_400000_NS6detail17trampoline_kernelINS0_14default_configENS1_20scan_config_selectorIiEEZZNS1_9scan_implILNS1_25lookback_scan_determinismE0ELb0ELb0ES3_N6thrust23THRUST_200600_302600_NS6detail15normal_iteratorINS9_10device_ptrIiEEEENSB_INSC_IfEEEEiNS9_4plusIvEEiEEDaPvRmT3_T4_T5_mT6_P12ihipStream_tbENKUlT_T0_E_clISt17integral_constantIbLb1EESW_EEDaSR_SS_EUlSR_E0_NS1_11comp_targetILNS1_3genE10ELNS1_11target_archE1201ELNS1_3gpuE5ELNS1_3repE0EEENS1_30default_config_static_selectorELNS0_4arch9wavefront6targetE1EEEvT1_,comdat
	.protected	_ZN7rocprim17ROCPRIM_400000_NS6detail17trampoline_kernelINS0_14default_configENS1_20scan_config_selectorIiEEZZNS1_9scan_implILNS1_25lookback_scan_determinismE0ELb0ELb0ES3_N6thrust23THRUST_200600_302600_NS6detail15normal_iteratorINS9_10device_ptrIiEEEENSB_INSC_IfEEEEiNS9_4plusIvEEiEEDaPvRmT3_T4_T5_mT6_P12ihipStream_tbENKUlT_T0_E_clISt17integral_constantIbLb1EESW_EEDaSR_SS_EUlSR_E0_NS1_11comp_targetILNS1_3genE10ELNS1_11target_archE1201ELNS1_3gpuE5ELNS1_3repE0EEENS1_30default_config_static_selectorELNS0_4arch9wavefront6targetE1EEEvT1_ ; -- Begin function _ZN7rocprim17ROCPRIM_400000_NS6detail17trampoline_kernelINS0_14default_configENS1_20scan_config_selectorIiEEZZNS1_9scan_implILNS1_25lookback_scan_determinismE0ELb0ELb0ES3_N6thrust23THRUST_200600_302600_NS6detail15normal_iteratorINS9_10device_ptrIiEEEENSB_INSC_IfEEEEiNS9_4plusIvEEiEEDaPvRmT3_T4_T5_mT6_P12ihipStream_tbENKUlT_T0_E_clISt17integral_constantIbLb1EESW_EEDaSR_SS_EUlSR_E0_NS1_11comp_targetILNS1_3genE10ELNS1_11target_archE1201ELNS1_3gpuE5ELNS1_3repE0EEENS1_30default_config_static_selectorELNS0_4arch9wavefront6targetE1EEEvT1_
	.globl	_ZN7rocprim17ROCPRIM_400000_NS6detail17trampoline_kernelINS0_14default_configENS1_20scan_config_selectorIiEEZZNS1_9scan_implILNS1_25lookback_scan_determinismE0ELb0ELb0ES3_N6thrust23THRUST_200600_302600_NS6detail15normal_iteratorINS9_10device_ptrIiEEEENSB_INSC_IfEEEEiNS9_4plusIvEEiEEDaPvRmT3_T4_T5_mT6_P12ihipStream_tbENKUlT_T0_E_clISt17integral_constantIbLb1EESW_EEDaSR_SS_EUlSR_E0_NS1_11comp_targetILNS1_3genE10ELNS1_11target_archE1201ELNS1_3gpuE5ELNS1_3repE0EEENS1_30default_config_static_selectorELNS0_4arch9wavefront6targetE1EEEvT1_
	.p2align	8
	.type	_ZN7rocprim17ROCPRIM_400000_NS6detail17trampoline_kernelINS0_14default_configENS1_20scan_config_selectorIiEEZZNS1_9scan_implILNS1_25lookback_scan_determinismE0ELb0ELb0ES3_N6thrust23THRUST_200600_302600_NS6detail15normal_iteratorINS9_10device_ptrIiEEEENSB_INSC_IfEEEEiNS9_4plusIvEEiEEDaPvRmT3_T4_T5_mT6_P12ihipStream_tbENKUlT_T0_E_clISt17integral_constantIbLb1EESW_EEDaSR_SS_EUlSR_E0_NS1_11comp_targetILNS1_3genE10ELNS1_11target_archE1201ELNS1_3gpuE5ELNS1_3repE0EEENS1_30default_config_static_selectorELNS0_4arch9wavefront6targetE1EEEvT1_,@function
_ZN7rocprim17ROCPRIM_400000_NS6detail17trampoline_kernelINS0_14default_configENS1_20scan_config_selectorIiEEZZNS1_9scan_implILNS1_25lookback_scan_determinismE0ELb0ELb0ES3_N6thrust23THRUST_200600_302600_NS6detail15normal_iteratorINS9_10device_ptrIiEEEENSB_INSC_IfEEEEiNS9_4plusIvEEiEEDaPvRmT3_T4_T5_mT6_P12ihipStream_tbENKUlT_T0_E_clISt17integral_constantIbLb1EESW_EEDaSR_SS_EUlSR_E0_NS1_11comp_targetILNS1_3genE10ELNS1_11target_archE1201ELNS1_3gpuE5ELNS1_3repE0EEENS1_30default_config_static_selectorELNS0_4arch9wavefront6targetE1EEEvT1_: ; @_ZN7rocprim17ROCPRIM_400000_NS6detail17trampoline_kernelINS0_14default_configENS1_20scan_config_selectorIiEEZZNS1_9scan_implILNS1_25lookback_scan_determinismE0ELb0ELb0ES3_N6thrust23THRUST_200600_302600_NS6detail15normal_iteratorINS9_10device_ptrIiEEEENSB_INSC_IfEEEEiNS9_4plusIvEEiEEDaPvRmT3_T4_T5_mT6_P12ihipStream_tbENKUlT_T0_E_clISt17integral_constantIbLb1EESW_EEDaSR_SS_EUlSR_E0_NS1_11comp_targetILNS1_3genE10ELNS1_11target_archE1201ELNS1_3gpuE5ELNS1_3repE0EEENS1_30default_config_static_selectorELNS0_4arch9wavefront6targetE1EEEvT1_
; %bb.0:
	.section	.rodata,"a",@progbits
	.p2align	6, 0x0
	.amdhsa_kernel _ZN7rocprim17ROCPRIM_400000_NS6detail17trampoline_kernelINS0_14default_configENS1_20scan_config_selectorIiEEZZNS1_9scan_implILNS1_25lookback_scan_determinismE0ELb0ELb0ES3_N6thrust23THRUST_200600_302600_NS6detail15normal_iteratorINS9_10device_ptrIiEEEENSB_INSC_IfEEEEiNS9_4plusIvEEiEEDaPvRmT3_T4_T5_mT6_P12ihipStream_tbENKUlT_T0_E_clISt17integral_constantIbLb1EESW_EEDaSR_SS_EUlSR_E0_NS1_11comp_targetILNS1_3genE10ELNS1_11target_archE1201ELNS1_3gpuE5ELNS1_3repE0EEENS1_30default_config_static_selectorELNS0_4arch9wavefront6targetE1EEEvT1_
		.amdhsa_group_segment_fixed_size 0
		.amdhsa_private_segment_fixed_size 0
		.amdhsa_kernarg_size 32
		.amdhsa_user_sgpr_count 6
		.amdhsa_user_sgpr_private_segment_buffer 1
		.amdhsa_user_sgpr_dispatch_ptr 0
		.amdhsa_user_sgpr_queue_ptr 0
		.amdhsa_user_sgpr_kernarg_segment_ptr 1
		.amdhsa_user_sgpr_dispatch_id 0
		.amdhsa_user_sgpr_flat_scratch_init 0
		.amdhsa_user_sgpr_kernarg_preload_length 0
		.amdhsa_user_sgpr_kernarg_preload_offset 0
		.amdhsa_user_sgpr_private_segment_size 0
		.amdhsa_uses_dynamic_stack 0
		.amdhsa_system_sgpr_private_segment_wavefront_offset 0
		.amdhsa_system_sgpr_workgroup_id_x 1
		.amdhsa_system_sgpr_workgroup_id_y 0
		.amdhsa_system_sgpr_workgroup_id_z 0
		.amdhsa_system_sgpr_workgroup_info 0
		.amdhsa_system_vgpr_workitem_id 0
		.amdhsa_next_free_vgpr 1
		.amdhsa_next_free_sgpr 0
		.amdhsa_accum_offset 4
		.amdhsa_reserve_vcc 0
		.amdhsa_reserve_flat_scratch 0
		.amdhsa_float_round_mode_32 0
		.amdhsa_float_round_mode_16_64 0
		.amdhsa_float_denorm_mode_32 3
		.amdhsa_float_denorm_mode_16_64 3
		.amdhsa_dx10_clamp 1
		.amdhsa_ieee_mode 1
		.amdhsa_fp16_overflow 0
		.amdhsa_tg_split 0
		.amdhsa_exception_fp_ieee_invalid_op 0
		.amdhsa_exception_fp_denorm_src 0
		.amdhsa_exception_fp_ieee_div_zero 0
		.amdhsa_exception_fp_ieee_overflow 0
		.amdhsa_exception_fp_ieee_underflow 0
		.amdhsa_exception_fp_ieee_inexact 0
		.amdhsa_exception_int_div_zero 0
	.end_amdhsa_kernel
	.section	.text._ZN7rocprim17ROCPRIM_400000_NS6detail17trampoline_kernelINS0_14default_configENS1_20scan_config_selectorIiEEZZNS1_9scan_implILNS1_25lookback_scan_determinismE0ELb0ELb0ES3_N6thrust23THRUST_200600_302600_NS6detail15normal_iteratorINS9_10device_ptrIiEEEENSB_INSC_IfEEEEiNS9_4plusIvEEiEEDaPvRmT3_T4_T5_mT6_P12ihipStream_tbENKUlT_T0_E_clISt17integral_constantIbLb1EESW_EEDaSR_SS_EUlSR_E0_NS1_11comp_targetILNS1_3genE10ELNS1_11target_archE1201ELNS1_3gpuE5ELNS1_3repE0EEENS1_30default_config_static_selectorELNS0_4arch9wavefront6targetE1EEEvT1_,"axG",@progbits,_ZN7rocprim17ROCPRIM_400000_NS6detail17trampoline_kernelINS0_14default_configENS1_20scan_config_selectorIiEEZZNS1_9scan_implILNS1_25lookback_scan_determinismE0ELb0ELb0ES3_N6thrust23THRUST_200600_302600_NS6detail15normal_iteratorINS9_10device_ptrIiEEEENSB_INSC_IfEEEEiNS9_4plusIvEEiEEDaPvRmT3_T4_T5_mT6_P12ihipStream_tbENKUlT_T0_E_clISt17integral_constantIbLb1EESW_EEDaSR_SS_EUlSR_E0_NS1_11comp_targetILNS1_3genE10ELNS1_11target_archE1201ELNS1_3gpuE5ELNS1_3repE0EEENS1_30default_config_static_selectorELNS0_4arch9wavefront6targetE1EEEvT1_,comdat
.Lfunc_end1673:
	.size	_ZN7rocprim17ROCPRIM_400000_NS6detail17trampoline_kernelINS0_14default_configENS1_20scan_config_selectorIiEEZZNS1_9scan_implILNS1_25lookback_scan_determinismE0ELb0ELb0ES3_N6thrust23THRUST_200600_302600_NS6detail15normal_iteratorINS9_10device_ptrIiEEEENSB_INSC_IfEEEEiNS9_4plusIvEEiEEDaPvRmT3_T4_T5_mT6_P12ihipStream_tbENKUlT_T0_E_clISt17integral_constantIbLb1EESW_EEDaSR_SS_EUlSR_E0_NS1_11comp_targetILNS1_3genE10ELNS1_11target_archE1201ELNS1_3gpuE5ELNS1_3repE0EEENS1_30default_config_static_selectorELNS0_4arch9wavefront6targetE1EEEvT1_, .Lfunc_end1673-_ZN7rocprim17ROCPRIM_400000_NS6detail17trampoline_kernelINS0_14default_configENS1_20scan_config_selectorIiEEZZNS1_9scan_implILNS1_25lookback_scan_determinismE0ELb0ELb0ES3_N6thrust23THRUST_200600_302600_NS6detail15normal_iteratorINS9_10device_ptrIiEEEENSB_INSC_IfEEEEiNS9_4plusIvEEiEEDaPvRmT3_T4_T5_mT6_P12ihipStream_tbENKUlT_T0_E_clISt17integral_constantIbLb1EESW_EEDaSR_SS_EUlSR_E0_NS1_11comp_targetILNS1_3genE10ELNS1_11target_archE1201ELNS1_3gpuE5ELNS1_3repE0EEENS1_30default_config_static_selectorELNS0_4arch9wavefront6targetE1EEEvT1_
                                        ; -- End function
	.section	.AMDGPU.csdata,"",@progbits
; Kernel info:
; codeLenInByte = 0
; NumSgprs: 4
; NumVgprs: 0
; NumAgprs: 0
; TotalNumVgprs: 0
; ScratchSize: 0
; MemoryBound: 0
; FloatMode: 240
; IeeeMode: 1
; LDSByteSize: 0 bytes/workgroup (compile time only)
; SGPRBlocks: 0
; VGPRBlocks: 0
; NumSGPRsForWavesPerEU: 4
; NumVGPRsForWavesPerEU: 1
; AccumOffset: 4
; Occupancy: 8
; WaveLimiterHint : 0
; COMPUTE_PGM_RSRC2:SCRATCH_EN: 0
; COMPUTE_PGM_RSRC2:USER_SGPR: 6
; COMPUTE_PGM_RSRC2:TRAP_HANDLER: 0
; COMPUTE_PGM_RSRC2:TGID_X_EN: 1
; COMPUTE_PGM_RSRC2:TGID_Y_EN: 0
; COMPUTE_PGM_RSRC2:TGID_Z_EN: 0
; COMPUTE_PGM_RSRC2:TIDIG_COMP_CNT: 0
; COMPUTE_PGM_RSRC3_GFX90A:ACCUM_OFFSET: 0
; COMPUTE_PGM_RSRC3_GFX90A:TG_SPLIT: 0
	.section	.text._ZN7rocprim17ROCPRIM_400000_NS6detail17trampoline_kernelINS0_14default_configENS1_20scan_config_selectorIiEEZZNS1_9scan_implILNS1_25lookback_scan_determinismE0ELb0ELb0ES3_N6thrust23THRUST_200600_302600_NS6detail15normal_iteratorINS9_10device_ptrIiEEEENSB_INSC_IfEEEEiNS9_4plusIvEEiEEDaPvRmT3_T4_T5_mT6_P12ihipStream_tbENKUlT_T0_E_clISt17integral_constantIbLb1EESW_EEDaSR_SS_EUlSR_E0_NS1_11comp_targetILNS1_3genE10ELNS1_11target_archE1200ELNS1_3gpuE4ELNS1_3repE0EEENS1_30default_config_static_selectorELNS0_4arch9wavefront6targetE1EEEvT1_,"axG",@progbits,_ZN7rocprim17ROCPRIM_400000_NS6detail17trampoline_kernelINS0_14default_configENS1_20scan_config_selectorIiEEZZNS1_9scan_implILNS1_25lookback_scan_determinismE0ELb0ELb0ES3_N6thrust23THRUST_200600_302600_NS6detail15normal_iteratorINS9_10device_ptrIiEEEENSB_INSC_IfEEEEiNS9_4plusIvEEiEEDaPvRmT3_T4_T5_mT6_P12ihipStream_tbENKUlT_T0_E_clISt17integral_constantIbLb1EESW_EEDaSR_SS_EUlSR_E0_NS1_11comp_targetILNS1_3genE10ELNS1_11target_archE1200ELNS1_3gpuE4ELNS1_3repE0EEENS1_30default_config_static_selectorELNS0_4arch9wavefront6targetE1EEEvT1_,comdat
	.protected	_ZN7rocprim17ROCPRIM_400000_NS6detail17trampoline_kernelINS0_14default_configENS1_20scan_config_selectorIiEEZZNS1_9scan_implILNS1_25lookback_scan_determinismE0ELb0ELb0ES3_N6thrust23THRUST_200600_302600_NS6detail15normal_iteratorINS9_10device_ptrIiEEEENSB_INSC_IfEEEEiNS9_4plusIvEEiEEDaPvRmT3_T4_T5_mT6_P12ihipStream_tbENKUlT_T0_E_clISt17integral_constantIbLb1EESW_EEDaSR_SS_EUlSR_E0_NS1_11comp_targetILNS1_3genE10ELNS1_11target_archE1200ELNS1_3gpuE4ELNS1_3repE0EEENS1_30default_config_static_selectorELNS0_4arch9wavefront6targetE1EEEvT1_ ; -- Begin function _ZN7rocprim17ROCPRIM_400000_NS6detail17trampoline_kernelINS0_14default_configENS1_20scan_config_selectorIiEEZZNS1_9scan_implILNS1_25lookback_scan_determinismE0ELb0ELb0ES3_N6thrust23THRUST_200600_302600_NS6detail15normal_iteratorINS9_10device_ptrIiEEEENSB_INSC_IfEEEEiNS9_4plusIvEEiEEDaPvRmT3_T4_T5_mT6_P12ihipStream_tbENKUlT_T0_E_clISt17integral_constantIbLb1EESW_EEDaSR_SS_EUlSR_E0_NS1_11comp_targetILNS1_3genE10ELNS1_11target_archE1200ELNS1_3gpuE4ELNS1_3repE0EEENS1_30default_config_static_selectorELNS0_4arch9wavefront6targetE1EEEvT1_
	.globl	_ZN7rocprim17ROCPRIM_400000_NS6detail17trampoline_kernelINS0_14default_configENS1_20scan_config_selectorIiEEZZNS1_9scan_implILNS1_25lookback_scan_determinismE0ELb0ELb0ES3_N6thrust23THRUST_200600_302600_NS6detail15normal_iteratorINS9_10device_ptrIiEEEENSB_INSC_IfEEEEiNS9_4plusIvEEiEEDaPvRmT3_T4_T5_mT6_P12ihipStream_tbENKUlT_T0_E_clISt17integral_constantIbLb1EESW_EEDaSR_SS_EUlSR_E0_NS1_11comp_targetILNS1_3genE10ELNS1_11target_archE1200ELNS1_3gpuE4ELNS1_3repE0EEENS1_30default_config_static_selectorELNS0_4arch9wavefront6targetE1EEEvT1_
	.p2align	8
	.type	_ZN7rocprim17ROCPRIM_400000_NS6detail17trampoline_kernelINS0_14default_configENS1_20scan_config_selectorIiEEZZNS1_9scan_implILNS1_25lookback_scan_determinismE0ELb0ELb0ES3_N6thrust23THRUST_200600_302600_NS6detail15normal_iteratorINS9_10device_ptrIiEEEENSB_INSC_IfEEEEiNS9_4plusIvEEiEEDaPvRmT3_T4_T5_mT6_P12ihipStream_tbENKUlT_T0_E_clISt17integral_constantIbLb1EESW_EEDaSR_SS_EUlSR_E0_NS1_11comp_targetILNS1_3genE10ELNS1_11target_archE1200ELNS1_3gpuE4ELNS1_3repE0EEENS1_30default_config_static_selectorELNS0_4arch9wavefront6targetE1EEEvT1_,@function
_ZN7rocprim17ROCPRIM_400000_NS6detail17trampoline_kernelINS0_14default_configENS1_20scan_config_selectorIiEEZZNS1_9scan_implILNS1_25lookback_scan_determinismE0ELb0ELb0ES3_N6thrust23THRUST_200600_302600_NS6detail15normal_iteratorINS9_10device_ptrIiEEEENSB_INSC_IfEEEEiNS9_4plusIvEEiEEDaPvRmT3_T4_T5_mT6_P12ihipStream_tbENKUlT_T0_E_clISt17integral_constantIbLb1EESW_EEDaSR_SS_EUlSR_E0_NS1_11comp_targetILNS1_3genE10ELNS1_11target_archE1200ELNS1_3gpuE4ELNS1_3repE0EEENS1_30default_config_static_selectorELNS0_4arch9wavefront6targetE1EEEvT1_: ; @_ZN7rocprim17ROCPRIM_400000_NS6detail17trampoline_kernelINS0_14default_configENS1_20scan_config_selectorIiEEZZNS1_9scan_implILNS1_25lookback_scan_determinismE0ELb0ELb0ES3_N6thrust23THRUST_200600_302600_NS6detail15normal_iteratorINS9_10device_ptrIiEEEENSB_INSC_IfEEEEiNS9_4plusIvEEiEEDaPvRmT3_T4_T5_mT6_P12ihipStream_tbENKUlT_T0_E_clISt17integral_constantIbLb1EESW_EEDaSR_SS_EUlSR_E0_NS1_11comp_targetILNS1_3genE10ELNS1_11target_archE1200ELNS1_3gpuE4ELNS1_3repE0EEENS1_30default_config_static_selectorELNS0_4arch9wavefront6targetE1EEEvT1_
; %bb.0:
	.section	.rodata,"a",@progbits
	.p2align	6, 0x0
	.amdhsa_kernel _ZN7rocprim17ROCPRIM_400000_NS6detail17trampoline_kernelINS0_14default_configENS1_20scan_config_selectorIiEEZZNS1_9scan_implILNS1_25lookback_scan_determinismE0ELb0ELb0ES3_N6thrust23THRUST_200600_302600_NS6detail15normal_iteratorINS9_10device_ptrIiEEEENSB_INSC_IfEEEEiNS9_4plusIvEEiEEDaPvRmT3_T4_T5_mT6_P12ihipStream_tbENKUlT_T0_E_clISt17integral_constantIbLb1EESW_EEDaSR_SS_EUlSR_E0_NS1_11comp_targetILNS1_3genE10ELNS1_11target_archE1200ELNS1_3gpuE4ELNS1_3repE0EEENS1_30default_config_static_selectorELNS0_4arch9wavefront6targetE1EEEvT1_
		.amdhsa_group_segment_fixed_size 0
		.amdhsa_private_segment_fixed_size 0
		.amdhsa_kernarg_size 32
		.amdhsa_user_sgpr_count 6
		.amdhsa_user_sgpr_private_segment_buffer 1
		.amdhsa_user_sgpr_dispatch_ptr 0
		.amdhsa_user_sgpr_queue_ptr 0
		.amdhsa_user_sgpr_kernarg_segment_ptr 1
		.amdhsa_user_sgpr_dispatch_id 0
		.amdhsa_user_sgpr_flat_scratch_init 0
		.amdhsa_user_sgpr_kernarg_preload_length 0
		.amdhsa_user_sgpr_kernarg_preload_offset 0
		.amdhsa_user_sgpr_private_segment_size 0
		.amdhsa_uses_dynamic_stack 0
		.amdhsa_system_sgpr_private_segment_wavefront_offset 0
		.amdhsa_system_sgpr_workgroup_id_x 1
		.amdhsa_system_sgpr_workgroup_id_y 0
		.amdhsa_system_sgpr_workgroup_id_z 0
		.amdhsa_system_sgpr_workgroup_info 0
		.amdhsa_system_vgpr_workitem_id 0
		.amdhsa_next_free_vgpr 1
		.amdhsa_next_free_sgpr 0
		.amdhsa_accum_offset 4
		.amdhsa_reserve_vcc 0
		.amdhsa_reserve_flat_scratch 0
		.amdhsa_float_round_mode_32 0
		.amdhsa_float_round_mode_16_64 0
		.amdhsa_float_denorm_mode_32 3
		.amdhsa_float_denorm_mode_16_64 3
		.amdhsa_dx10_clamp 1
		.amdhsa_ieee_mode 1
		.amdhsa_fp16_overflow 0
		.amdhsa_tg_split 0
		.amdhsa_exception_fp_ieee_invalid_op 0
		.amdhsa_exception_fp_denorm_src 0
		.amdhsa_exception_fp_ieee_div_zero 0
		.amdhsa_exception_fp_ieee_overflow 0
		.amdhsa_exception_fp_ieee_underflow 0
		.amdhsa_exception_fp_ieee_inexact 0
		.amdhsa_exception_int_div_zero 0
	.end_amdhsa_kernel
	.section	.text._ZN7rocprim17ROCPRIM_400000_NS6detail17trampoline_kernelINS0_14default_configENS1_20scan_config_selectorIiEEZZNS1_9scan_implILNS1_25lookback_scan_determinismE0ELb0ELb0ES3_N6thrust23THRUST_200600_302600_NS6detail15normal_iteratorINS9_10device_ptrIiEEEENSB_INSC_IfEEEEiNS9_4plusIvEEiEEDaPvRmT3_T4_T5_mT6_P12ihipStream_tbENKUlT_T0_E_clISt17integral_constantIbLb1EESW_EEDaSR_SS_EUlSR_E0_NS1_11comp_targetILNS1_3genE10ELNS1_11target_archE1200ELNS1_3gpuE4ELNS1_3repE0EEENS1_30default_config_static_selectorELNS0_4arch9wavefront6targetE1EEEvT1_,"axG",@progbits,_ZN7rocprim17ROCPRIM_400000_NS6detail17trampoline_kernelINS0_14default_configENS1_20scan_config_selectorIiEEZZNS1_9scan_implILNS1_25lookback_scan_determinismE0ELb0ELb0ES3_N6thrust23THRUST_200600_302600_NS6detail15normal_iteratorINS9_10device_ptrIiEEEENSB_INSC_IfEEEEiNS9_4plusIvEEiEEDaPvRmT3_T4_T5_mT6_P12ihipStream_tbENKUlT_T0_E_clISt17integral_constantIbLb1EESW_EEDaSR_SS_EUlSR_E0_NS1_11comp_targetILNS1_3genE10ELNS1_11target_archE1200ELNS1_3gpuE4ELNS1_3repE0EEENS1_30default_config_static_selectorELNS0_4arch9wavefront6targetE1EEEvT1_,comdat
.Lfunc_end1674:
	.size	_ZN7rocprim17ROCPRIM_400000_NS6detail17trampoline_kernelINS0_14default_configENS1_20scan_config_selectorIiEEZZNS1_9scan_implILNS1_25lookback_scan_determinismE0ELb0ELb0ES3_N6thrust23THRUST_200600_302600_NS6detail15normal_iteratorINS9_10device_ptrIiEEEENSB_INSC_IfEEEEiNS9_4plusIvEEiEEDaPvRmT3_T4_T5_mT6_P12ihipStream_tbENKUlT_T0_E_clISt17integral_constantIbLb1EESW_EEDaSR_SS_EUlSR_E0_NS1_11comp_targetILNS1_3genE10ELNS1_11target_archE1200ELNS1_3gpuE4ELNS1_3repE0EEENS1_30default_config_static_selectorELNS0_4arch9wavefront6targetE1EEEvT1_, .Lfunc_end1674-_ZN7rocprim17ROCPRIM_400000_NS6detail17trampoline_kernelINS0_14default_configENS1_20scan_config_selectorIiEEZZNS1_9scan_implILNS1_25lookback_scan_determinismE0ELb0ELb0ES3_N6thrust23THRUST_200600_302600_NS6detail15normal_iteratorINS9_10device_ptrIiEEEENSB_INSC_IfEEEEiNS9_4plusIvEEiEEDaPvRmT3_T4_T5_mT6_P12ihipStream_tbENKUlT_T0_E_clISt17integral_constantIbLb1EESW_EEDaSR_SS_EUlSR_E0_NS1_11comp_targetILNS1_3genE10ELNS1_11target_archE1200ELNS1_3gpuE4ELNS1_3repE0EEENS1_30default_config_static_selectorELNS0_4arch9wavefront6targetE1EEEvT1_
                                        ; -- End function
	.section	.AMDGPU.csdata,"",@progbits
; Kernel info:
; codeLenInByte = 0
; NumSgprs: 4
; NumVgprs: 0
; NumAgprs: 0
; TotalNumVgprs: 0
; ScratchSize: 0
; MemoryBound: 0
; FloatMode: 240
; IeeeMode: 1
; LDSByteSize: 0 bytes/workgroup (compile time only)
; SGPRBlocks: 0
; VGPRBlocks: 0
; NumSGPRsForWavesPerEU: 4
; NumVGPRsForWavesPerEU: 1
; AccumOffset: 4
; Occupancy: 8
; WaveLimiterHint : 0
; COMPUTE_PGM_RSRC2:SCRATCH_EN: 0
; COMPUTE_PGM_RSRC2:USER_SGPR: 6
; COMPUTE_PGM_RSRC2:TRAP_HANDLER: 0
; COMPUTE_PGM_RSRC2:TGID_X_EN: 1
; COMPUTE_PGM_RSRC2:TGID_Y_EN: 0
; COMPUTE_PGM_RSRC2:TGID_Z_EN: 0
; COMPUTE_PGM_RSRC2:TIDIG_COMP_CNT: 0
; COMPUTE_PGM_RSRC3_GFX90A:ACCUM_OFFSET: 0
; COMPUTE_PGM_RSRC3_GFX90A:TG_SPLIT: 0
	.section	.text._ZN7rocprim17ROCPRIM_400000_NS6detail17trampoline_kernelINS0_14default_configENS1_20scan_config_selectorIiEEZZNS1_9scan_implILNS1_25lookback_scan_determinismE0ELb0ELb0ES3_N6thrust23THRUST_200600_302600_NS6detail15normal_iteratorINS9_10device_ptrIiEEEENSB_INSC_IfEEEEiNS9_4plusIvEEiEEDaPvRmT3_T4_T5_mT6_P12ihipStream_tbENKUlT_T0_E_clISt17integral_constantIbLb1EESW_EEDaSR_SS_EUlSR_E0_NS1_11comp_targetILNS1_3genE9ELNS1_11target_archE1100ELNS1_3gpuE3ELNS1_3repE0EEENS1_30default_config_static_selectorELNS0_4arch9wavefront6targetE1EEEvT1_,"axG",@progbits,_ZN7rocprim17ROCPRIM_400000_NS6detail17trampoline_kernelINS0_14default_configENS1_20scan_config_selectorIiEEZZNS1_9scan_implILNS1_25lookback_scan_determinismE0ELb0ELb0ES3_N6thrust23THRUST_200600_302600_NS6detail15normal_iteratorINS9_10device_ptrIiEEEENSB_INSC_IfEEEEiNS9_4plusIvEEiEEDaPvRmT3_T4_T5_mT6_P12ihipStream_tbENKUlT_T0_E_clISt17integral_constantIbLb1EESW_EEDaSR_SS_EUlSR_E0_NS1_11comp_targetILNS1_3genE9ELNS1_11target_archE1100ELNS1_3gpuE3ELNS1_3repE0EEENS1_30default_config_static_selectorELNS0_4arch9wavefront6targetE1EEEvT1_,comdat
	.protected	_ZN7rocprim17ROCPRIM_400000_NS6detail17trampoline_kernelINS0_14default_configENS1_20scan_config_selectorIiEEZZNS1_9scan_implILNS1_25lookback_scan_determinismE0ELb0ELb0ES3_N6thrust23THRUST_200600_302600_NS6detail15normal_iteratorINS9_10device_ptrIiEEEENSB_INSC_IfEEEEiNS9_4plusIvEEiEEDaPvRmT3_T4_T5_mT6_P12ihipStream_tbENKUlT_T0_E_clISt17integral_constantIbLb1EESW_EEDaSR_SS_EUlSR_E0_NS1_11comp_targetILNS1_3genE9ELNS1_11target_archE1100ELNS1_3gpuE3ELNS1_3repE0EEENS1_30default_config_static_selectorELNS0_4arch9wavefront6targetE1EEEvT1_ ; -- Begin function _ZN7rocprim17ROCPRIM_400000_NS6detail17trampoline_kernelINS0_14default_configENS1_20scan_config_selectorIiEEZZNS1_9scan_implILNS1_25lookback_scan_determinismE0ELb0ELb0ES3_N6thrust23THRUST_200600_302600_NS6detail15normal_iteratorINS9_10device_ptrIiEEEENSB_INSC_IfEEEEiNS9_4plusIvEEiEEDaPvRmT3_T4_T5_mT6_P12ihipStream_tbENKUlT_T0_E_clISt17integral_constantIbLb1EESW_EEDaSR_SS_EUlSR_E0_NS1_11comp_targetILNS1_3genE9ELNS1_11target_archE1100ELNS1_3gpuE3ELNS1_3repE0EEENS1_30default_config_static_selectorELNS0_4arch9wavefront6targetE1EEEvT1_
	.globl	_ZN7rocprim17ROCPRIM_400000_NS6detail17trampoline_kernelINS0_14default_configENS1_20scan_config_selectorIiEEZZNS1_9scan_implILNS1_25lookback_scan_determinismE0ELb0ELb0ES3_N6thrust23THRUST_200600_302600_NS6detail15normal_iteratorINS9_10device_ptrIiEEEENSB_INSC_IfEEEEiNS9_4plusIvEEiEEDaPvRmT3_T4_T5_mT6_P12ihipStream_tbENKUlT_T0_E_clISt17integral_constantIbLb1EESW_EEDaSR_SS_EUlSR_E0_NS1_11comp_targetILNS1_3genE9ELNS1_11target_archE1100ELNS1_3gpuE3ELNS1_3repE0EEENS1_30default_config_static_selectorELNS0_4arch9wavefront6targetE1EEEvT1_
	.p2align	8
	.type	_ZN7rocprim17ROCPRIM_400000_NS6detail17trampoline_kernelINS0_14default_configENS1_20scan_config_selectorIiEEZZNS1_9scan_implILNS1_25lookback_scan_determinismE0ELb0ELb0ES3_N6thrust23THRUST_200600_302600_NS6detail15normal_iteratorINS9_10device_ptrIiEEEENSB_INSC_IfEEEEiNS9_4plusIvEEiEEDaPvRmT3_T4_T5_mT6_P12ihipStream_tbENKUlT_T0_E_clISt17integral_constantIbLb1EESW_EEDaSR_SS_EUlSR_E0_NS1_11comp_targetILNS1_3genE9ELNS1_11target_archE1100ELNS1_3gpuE3ELNS1_3repE0EEENS1_30default_config_static_selectorELNS0_4arch9wavefront6targetE1EEEvT1_,@function
_ZN7rocprim17ROCPRIM_400000_NS6detail17trampoline_kernelINS0_14default_configENS1_20scan_config_selectorIiEEZZNS1_9scan_implILNS1_25lookback_scan_determinismE0ELb0ELb0ES3_N6thrust23THRUST_200600_302600_NS6detail15normal_iteratorINS9_10device_ptrIiEEEENSB_INSC_IfEEEEiNS9_4plusIvEEiEEDaPvRmT3_T4_T5_mT6_P12ihipStream_tbENKUlT_T0_E_clISt17integral_constantIbLb1EESW_EEDaSR_SS_EUlSR_E0_NS1_11comp_targetILNS1_3genE9ELNS1_11target_archE1100ELNS1_3gpuE3ELNS1_3repE0EEENS1_30default_config_static_selectorELNS0_4arch9wavefront6targetE1EEEvT1_: ; @_ZN7rocprim17ROCPRIM_400000_NS6detail17trampoline_kernelINS0_14default_configENS1_20scan_config_selectorIiEEZZNS1_9scan_implILNS1_25lookback_scan_determinismE0ELb0ELb0ES3_N6thrust23THRUST_200600_302600_NS6detail15normal_iteratorINS9_10device_ptrIiEEEENSB_INSC_IfEEEEiNS9_4plusIvEEiEEDaPvRmT3_T4_T5_mT6_P12ihipStream_tbENKUlT_T0_E_clISt17integral_constantIbLb1EESW_EEDaSR_SS_EUlSR_E0_NS1_11comp_targetILNS1_3genE9ELNS1_11target_archE1100ELNS1_3gpuE3ELNS1_3repE0EEENS1_30default_config_static_selectorELNS0_4arch9wavefront6targetE1EEEvT1_
; %bb.0:
	.section	.rodata,"a",@progbits
	.p2align	6, 0x0
	.amdhsa_kernel _ZN7rocprim17ROCPRIM_400000_NS6detail17trampoline_kernelINS0_14default_configENS1_20scan_config_selectorIiEEZZNS1_9scan_implILNS1_25lookback_scan_determinismE0ELb0ELb0ES3_N6thrust23THRUST_200600_302600_NS6detail15normal_iteratorINS9_10device_ptrIiEEEENSB_INSC_IfEEEEiNS9_4plusIvEEiEEDaPvRmT3_T4_T5_mT6_P12ihipStream_tbENKUlT_T0_E_clISt17integral_constantIbLb1EESW_EEDaSR_SS_EUlSR_E0_NS1_11comp_targetILNS1_3genE9ELNS1_11target_archE1100ELNS1_3gpuE3ELNS1_3repE0EEENS1_30default_config_static_selectorELNS0_4arch9wavefront6targetE1EEEvT1_
		.amdhsa_group_segment_fixed_size 0
		.amdhsa_private_segment_fixed_size 0
		.amdhsa_kernarg_size 32
		.amdhsa_user_sgpr_count 6
		.amdhsa_user_sgpr_private_segment_buffer 1
		.amdhsa_user_sgpr_dispatch_ptr 0
		.amdhsa_user_sgpr_queue_ptr 0
		.amdhsa_user_sgpr_kernarg_segment_ptr 1
		.amdhsa_user_sgpr_dispatch_id 0
		.amdhsa_user_sgpr_flat_scratch_init 0
		.amdhsa_user_sgpr_kernarg_preload_length 0
		.amdhsa_user_sgpr_kernarg_preload_offset 0
		.amdhsa_user_sgpr_private_segment_size 0
		.amdhsa_uses_dynamic_stack 0
		.amdhsa_system_sgpr_private_segment_wavefront_offset 0
		.amdhsa_system_sgpr_workgroup_id_x 1
		.amdhsa_system_sgpr_workgroup_id_y 0
		.amdhsa_system_sgpr_workgroup_id_z 0
		.amdhsa_system_sgpr_workgroup_info 0
		.amdhsa_system_vgpr_workitem_id 0
		.amdhsa_next_free_vgpr 1
		.amdhsa_next_free_sgpr 0
		.amdhsa_accum_offset 4
		.amdhsa_reserve_vcc 0
		.amdhsa_reserve_flat_scratch 0
		.amdhsa_float_round_mode_32 0
		.amdhsa_float_round_mode_16_64 0
		.amdhsa_float_denorm_mode_32 3
		.amdhsa_float_denorm_mode_16_64 3
		.amdhsa_dx10_clamp 1
		.amdhsa_ieee_mode 1
		.amdhsa_fp16_overflow 0
		.amdhsa_tg_split 0
		.amdhsa_exception_fp_ieee_invalid_op 0
		.amdhsa_exception_fp_denorm_src 0
		.amdhsa_exception_fp_ieee_div_zero 0
		.amdhsa_exception_fp_ieee_overflow 0
		.amdhsa_exception_fp_ieee_underflow 0
		.amdhsa_exception_fp_ieee_inexact 0
		.amdhsa_exception_int_div_zero 0
	.end_amdhsa_kernel
	.section	.text._ZN7rocprim17ROCPRIM_400000_NS6detail17trampoline_kernelINS0_14default_configENS1_20scan_config_selectorIiEEZZNS1_9scan_implILNS1_25lookback_scan_determinismE0ELb0ELb0ES3_N6thrust23THRUST_200600_302600_NS6detail15normal_iteratorINS9_10device_ptrIiEEEENSB_INSC_IfEEEEiNS9_4plusIvEEiEEDaPvRmT3_T4_T5_mT6_P12ihipStream_tbENKUlT_T0_E_clISt17integral_constantIbLb1EESW_EEDaSR_SS_EUlSR_E0_NS1_11comp_targetILNS1_3genE9ELNS1_11target_archE1100ELNS1_3gpuE3ELNS1_3repE0EEENS1_30default_config_static_selectorELNS0_4arch9wavefront6targetE1EEEvT1_,"axG",@progbits,_ZN7rocprim17ROCPRIM_400000_NS6detail17trampoline_kernelINS0_14default_configENS1_20scan_config_selectorIiEEZZNS1_9scan_implILNS1_25lookback_scan_determinismE0ELb0ELb0ES3_N6thrust23THRUST_200600_302600_NS6detail15normal_iteratorINS9_10device_ptrIiEEEENSB_INSC_IfEEEEiNS9_4plusIvEEiEEDaPvRmT3_T4_T5_mT6_P12ihipStream_tbENKUlT_T0_E_clISt17integral_constantIbLb1EESW_EEDaSR_SS_EUlSR_E0_NS1_11comp_targetILNS1_3genE9ELNS1_11target_archE1100ELNS1_3gpuE3ELNS1_3repE0EEENS1_30default_config_static_selectorELNS0_4arch9wavefront6targetE1EEEvT1_,comdat
.Lfunc_end1675:
	.size	_ZN7rocprim17ROCPRIM_400000_NS6detail17trampoline_kernelINS0_14default_configENS1_20scan_config_selectorIiEEZZNS1_9scan_implILNS1_25lookback_scan_determinismE0ELb0ELb0ES3_N6thrust23THRUST_200600_302600_NS6detail15normal_iteratorINS9_10device_ptrIiEEEENSB_INSC_IfEEEEiNS9_4plusIvEEiEEDaPvRmT3_T4_T5_mT6_P12ihipStream_tbENKUlT_T0_E_clISt17integral_constantIbLb1EESW_EEDaSR_SS_EUlSR_E0_NS1_11comp_targetILNS1_3genE9ELNS1_11target_archE1100ELNS1_3gpuE3ELNS1_3repE0EEENS1_30default_config_static_selectorELNS0_4arch9wavefront6targetE1EEEvT1_, .Lfunc_end1675-_ZN7rocprim17ROCPRIM_400000_NS6detail17trampoline_kernelINS0_14default_configENS1_20scan_config_selectorIiEEZZNS1_9scan_implILNS1_25lookback_scan_determinismE0ELb0ELb0ES3_N6thrust23THRUST_200600_302600_NS6detail15normal_iteratorINS9_10device_ptrIiEEEENSB_INSC_IfEEEEiNS9_4plusIvEEiEEDaPvRmT3_T4_T5_mT6_P12ihipStream_tbENKUlT_T0_E_clISt17integral_constantIbLb1EESW_EEDaSR_SS_EUlSR_E0_NS1_11comp_targetILNS1_3genE9ELNS1_11target_archE1100ELNS1_3gpuE3ELNS1_3repE0EEENS1_30default_config_static_selectorELNS0_4arch9wavefront6targetE1EEEvT1_
                                        ; -- End function
	.section	.AMDGPU.csdata,"",@progbits
; Kernel info:
; codeLenInByte = 0
; NumSgprs: 4
; NumVgprs: 0
; NumAgprs: 0
; TotalNumVgprs: 0
; ScratchSize: 0
; MemoryBound: 0
; FloatMode: 240
; IeeeMode: 1
; LDSByteSize: 0 bytes/workgroup (compile time only)
; SGPRBlocks: 0
; VGPRBlocks: 0
; NumSGPRsForWavesPerEU: 4
; NumVGPRsForWavesPerEU: 1
; AccumOffset: 4
; Occupancy: 8
; WaveLimiterHint : 0
; COMPUTE_PGM_RSRC2:SCRATCH_EN: 0
; COMPUTE_PGM_RSRC2:USER_SGPR: 6
; COMPUTE_PGM_RSRC2:TRAP_HANDLER: 0
; COMPUTE_PGM_RSRC2:TGID_X_EN: 1
; COMPUTE_PGM_RSRC2:TGID_Y_EN: 0
; COMPUTE_PGM_RSRC2:TGID_Z_EN: 0
; COMPUTE_PGM_RSRC2:TIDIG_COMP_CNT: 0
; COMPUTE_PGM_RSRC3_GFX90A:ACCUM_OFFSET: 0
; COMPUTE_PGM_RSRC3_GFX90A:TG_SPLIT: 0
	.section	.text._ZN7rocprim17ROCPRIM_400000_NS6detail17trampoline_kernelINS0_14default_configENS1_20scan_config_selectorIiEEZZNS1_9scan_implILNS1_25lookback_scan_determinismE0ELb0ELb0ES3_N6thrust23THRUST_200600_302600_NS6detail15normal_iteratorINS9_10device_ptrIiEEEENSB_INSC_IfEEEEiNS9_4plusIvEEiEEDaPvRmT3_T4_T5_mT6_P12ihipStream_tbENKUlT_T0_E_clISt17integral_constantIbLb1EESW_EEDaSR_SS_EUlSR_E0_NS1_11comp_targetILNS1_3genE8ELNS1_11target_archE1030ELNS1_3gpuE2ELNS1_3repE0EEENS1_30default_config_static_selectorELNS0_4arch9wavefront6targetE1EEEvT1_,"axG",@progbits,_ZN7rocprim17ROCPRIM_400000_NS6detail17trampoline_kernelINS0_14default_configENS1_20scan_config_selectorIiEEZZNS1_9scan_implILNS1_25lookback_scan_determinismE0ELb0ELb0ES3_N6thrust23THRUST_200600_302600_NS6detail15normal_iteratorINS9_10device_ptrIiEEEENSB_INSC_IfEEEEiNS9_4plusIvEEiEEDaPvRmT3_T4_T5_mT6_P12ihipStream_tbENKUlT_T0_E_clISt17integral_constantIbLb1EESW_EEDaSR_SS_EUlSR_E0_NS1_11comp_targetILNS1_3genE8ELNS1_11target_archE1030ELNS1_3gpuE2ELNS1_3repE0EEENS1_30default_config_static_selectorELNS0_4arch9wavefront6targetE1EEEvT1_,comdat
	.protected	_ZN7rocprim17ROCPRIM_400000_NS6detail17trampoline_kernelINS0_14default_configENS1_20scan_config_selectorIiEEZZNS1_9scan_implILNS1_25lookback_scan_determinismE0ELb0ELb0ES3_N6thrust23THRUST_200600_302600_NS6detail15normal_iteratorINS9_10device_ptrIiEEEENSB_INSC_IfEEEEiNS9_4plusIvEEiEEDaPvRmT3_T4_T5_mT6_P12ihipStream_tbENKUlT_T0_E_clISt17integral_constantIbLb1EESW_EEDaSR_SS_EUlSR_E0_NS1_11comp_targetILNS1_3genE8ELNS1_11target_archE1030ELNS1_3gpuE2ELNS1_3repE0EEENS1_30default_config_static_selectorELNS0_4arch9wavefront6targetE1EEEvT1_ ; -- Begin function _ZN7rocprim17ROCPRIM_400000_NS6detail17trampoline_kernelINS0_14default_configENS1_20scan_config_selectorIiEEZZNS1_9scan_implILNS1_25lookback_scan_determinismE0ELb0ELb0ES3_N6thrust23THRUST_200600_302600_NS6detail15normal_iteratorINS9_10device_ptrIiEEEENSB_INSC_IfEEEEiNS9_4plusIvEEiEEDaPvRmT3_T4_T5_mT6_P12ihipStream_tbENKUlT_T0_E_clISt17integral_constantIbLb1EESW_EEDaSR_SS_EUlSR_E0_NS1_11comp_targetILNS1_3genE8ELNS1_11target_archE1030ELNS1_3gpuE2ELNS1_3repE0EEENS1_30default_config_static_selectorELNS0_4arch9wavefront6targetE1EEEvT1_
	.globl	_ZN7rocprim17ROCPRIM_400000_NS6detail17trampoline_kernelINS0_14default_configENS1_20scan_config_selectorIiEEZZNS1_9scan_implILNS1_25lookback_scan_determinismE0ELb0ELb0ES3_N6thrust23THRUST_200600_302600_NS6detail15normal_iteratorINS9_10device_ptrIiEEEENSB_INSC_IfEEEEiNS9_4plusIvEEiEEDaPvRmT3_T4_T5_mT6_P12ihipStream_tbENKUlT_T0_E_clISt17integral_constantIbLb1EESW_EEDaSR_SS_EUlSR_E0_NS1_11comp_targetILNS1_3genE8ELNS1_11target_archE1030ELNS1_3gpuE2ELNS1_3repE0EEENS1_30default_config_static_selectorELNS0_4arch9wavefront6targetE1EEEvT1_
	.p2align	8
	.type	_ZN7rocprim17ROCPRIM_400000_NS6detail17trampoline_kernelINS0_14default_configENS1_20scan_config_selectorIiEEZZNS1_9scan_implILNS1_25lookback_scan_determinismE0ELb0ELb0ES3_N6thrust23THRUST_200600_302600_NS6detail15normal_iteratorINS9_10device_ptrIiEEEENSB_INSC_IfEEEEiNS9_4plusIvEEiEEDaPvRmT3_T4_T5_mT6_P12ihipStream_tbENKUlT_T0_E_clISt17integral_constantIbLb1EESW_EEDaSR_SS_EUlSR_E0_NS1_11comp_targetILNS1_3genE8ELNS1_11target_archE1030ELNS1_3gpuE2ELNS1_3repE0EEENS1_30default_config_static_selectorELNS0_4arch9wavefront6targetE1EEEvT1_,@function
_ZN7rocprim17ROCPRIM_400000_NS6detail17trampoline_kernelINS0_14default_configENS1_20scan_config_selectorIiEEZZNS1_9scan_implILNS1_25lookback_scan_determinismE0ELb0ELb0ES3_N6thrust23THRUST_200600_302600_NS6detail15normal_iteratorINS9_10device_ptrIiEEEENSB_INSC_IfEEEEiNS9_4plusIvEEiEEDaPvRmT3_T4_T5_mT6_P12ihipStream_tbENKUlT_T0_E_clISt17integral_constantIbLb1EESW_EEDaSR_SS_EUlSR_E0_NS1_11comp_targetILNS1_3genE8ELNS1_11target_archE1030ELNS1_3gpuE2ELNS1_3repE0EEENS1_30default_config_static_selectorELNS0_4arch9wavefront6targetE1EEEvT1_: ; @_ZN7rocprim17ROCPRIM_400000_NS6detail17trampoline_kernelINS0_14default_configENS1_20scan_config_selectorIiEEZZNS1_9scan_implILNS1_25lookback_scan_determinismE0ELb0ELb0ES3_N6thrust23THRUST_200600_302600_NS6detail15normal_iteratorINS9_10device_ptrIiEEEENSB_INSC_IfEEEEiNS9_4plusIvEEiEEDaPvRmT3_T4_T5_mT6_P12ihipStream_tbENKUlT_T0_E_clISt17integral_constantIbLb1EESW_EEDaSR_SS_EUlSR_E0_NS1_11comp_targetILNS1_3genE8ELNS1_11target_archE1030ELNS1_3gpuE2ELNS1_3repE0EEENS1_30default_config_static_selectorELNS0_4arch9wavefront6targetE1EEEvT1_
; %bb.0:
	.section	.rodata,"a",@progbits
	.p2align	6, 0x0
	.amdhsa_kernel _ZN7rocprim17ROCPRIM_400000_NS6detail17trampoline_kernelINS0_14default_configENS1_20scan_config_selectorIiEEZZNS1_9scan_implILNS1_25lookback_scan_determinismE0ELb0ELb0ES3_N6thrust23THRUST_200600_302600_NS6detail15normal_iteratorINS9_10device_ptrIiEEEENSB_INSC_IfEEEEiNS9_4plusIvEEiEEDaPvRmT3_T4_T5_mT6_P12ihipStream_tbENKUlT_T0_E_clISt17integral_constantIbLb1EESW_EEDaSR_SS_EUlSR_E0_NS1_11comp_targetILNS1_3genE8ELNS1_11target_archE1030ELNS1_3gpuE2ELNS1_3repE0EEENS1_30default_config_static_selectorELNS0_4arch9wavefront6targetE1EEEvT1_
		.amdhsa_group_segment_fixed_size 0
		.amdhsa_private_segment_fixed_size 0
		.amdhsa_kernarg_size 32
		.amdhsa_user_sgpr_count 6
		.amdhsa_user_sgpr_private_segment_buffer 1
		.amdhsa_user_sgpr_dispatch_ptr 0
		.amdhsa_user_sgpr_queue_ptr 0
		.amdhsa_user_sgpr_kernarg_segment_ptr 1
		.amdhsa_user_sgpr_dispatch_id 0
		.amdhsa_user_sgpr_flat_scratch_init 0
		.amdhsa_user_sgpr_kernarg_preload_length 0
		.amdhsa_user_sgpr_kernarg_preload_offset 0
		.amdhsa_user_sgpr_private_segment_size 0
		.amdhsa_uses_dynamic_stack 0
		.amdhsa_system_sgpr_private_segment_wavefront_offset 0
		.amdhsa_system_sgpr_workgroup_id_x 1
		.amdhsa_system_sgpr_workgroup_id_y 0
		.amdhsa_system_sgpr_workgroup_id_z 0
		.amdhsa_system_sgpr_workgroup_info 0
		.amdhsa_system_vgpr_workitem_id 0
		.amdhsa_next_free_vgpr 1
		.amdhsa_next_free_sgpr 0
		.amdhsa_accum_offset 4
		.amdhsa_reserve_vcc 0
		.amdhsa_reserve_flat_scratch 0
		.amdhsa_float_round_mode_32 0
		.amdhsa_float_round_mode_16_64 0
		.amdhsa_float_denorm_mode_32 3
		.amdhsa_float_denorm_mode_16_64 3
		.amdhsa_dx10_clamp 1
		.amdhsa_ieee_mode 1
		.amdhsa_fp16_overflow 0
		.amdhsa_tg_split 0
		.amdhsa_exception_fp_ieee_invalid_op 0
		.amdhsa_exception_fp_denorm_src 0
		.amdhsa_exception_fp_ieee_div_zero 0
		.amdhsa_exception_fp_ieee_overflow 0
		.amdhsa_exception_fp_ieee_underflow 0
		.amdhsa_exception_fp_ieee_inexact 0
		.amdhsa_exception_int_div_zero 0
	.end_amdhsa_kernel
	.section	.text._ZN7rocprim17ROCPRIM_400000_NS6detail17trampoline_kernelINS0_14default_configENS1_20scan_config_selectorIiEEZZNS1_9scan_implILNS1_25lookback_scan_determinismE0ELb0ELb0ES3_N6thrust23THRUST_200600_302600_NS6detail15normal_iteratorINS9_10device_ptrIiEEEENSB_INSC_IfEEEEiNS9_4plusIvEEiEEDaPvRmT3_T4_T5_mT6_P12ihipStream_tbENKUlT_T0_E_clISt17integral_constantIbLb1EESW_EEDaSR_SS_EUlSR_E0_NS1_11comp_targetILNS1_3genE8ELNS1_11target_archE1030ELNS1_3gpuE2ELNS1_3repE0EEENS1_30default_config_static_selectorELNS0_4arch9wavefront6targetE1EEEvT1_,"axG",@progbits,_ZN7rocprim17ROCPRIM_400000_NS6detail17trampoline_kernelINS0_14default_configENS1_20scan_config_selectorIiEEZZNS1_9scan_implILNS1_25lookback_scan_determinismE0ELb0ELb0ES3_N6thrust23THRUST_200600_302600_NS6detail15normal_iteratorINS9_10device_ptrIiEEEENSB_INSC_IfEEEEiNS9_4plusIvEEiEEDaPvRmT3_T4_T5_mT6_P12ihipStream_tbENKUlT_T0_E_clISt17integral_constantIbLb1EESW_EEDaSR_SS_EUlSR_E0_NS1_11comp_targetILNS1_3genE8ELNS1_11target_archE1030ELNS1_3gpuE2ELNS1_3repE0EEENS1_30default_config_static_selectorELNS0_4arch9wavefront6targetE1EEEvT1_,comdat
.Lfunc_end1676:
	.size	_ZN7rocprim17ROCPRIM_400000_NS6detail17trampoline_kernelINS0_14default_configENS1_20scan_config_selectorIiEEZZNS1_9scan_implILNS1_25lookback_scan_determinismE0ELb0ELb0ES3_N6thrust23THRUST_200600_302600_NS6detail15normal_iteratorINS9_10device_ptrIiEEEENSB_INSC_IfEEEEiNS9_4plusIvEEiEEDaPvRmT3_T4_T5_mT6_P12ihipStream_tbENKUlT_T0_E_clISt17integral_constantIbLb1EESW_EEDaSR_SS_EUlSR_E0_NS1_11comp_targetILNS1_3genE8ELNS1_11target_archE1030ELNS1_3gpuE2ELNS1_3repE0EEENS1_30default_config_static_selectorELNS0_4arch9wavefront6targetE1EEEvT1_, .Lfunc_end1676-_ZN7rocprim17ROCPRIM_400000_NS6detail17trampoline_kernelINS0_14default_configENS1_20scan_config_selectorIiEEZZNS1_9scan_implILNS1_25lookback_scan_determinismE0ELb0ELb0ES3_N6thrust23THRUST_200600_302600_NS6detail15normal_iteratorINS9_10device_ptrIiEEEENSB_INSC_IfEEEEiNS9_4plusIvEEiEEDaPvRmT3_T4_T5_mT6_P12ihipStream_tbENKUlT_T0_E_clISt17integral_constantIbLb1EESW_EEDaSR_SS_EUlSR_E0_NS1_11comp_targetILNS1_3genE8ELNS1_11target_archE1030ELNS1_3gpuE2ELNS1_3repE0EEENS1_30default_config_static_selectorELNS0_4arch9wavefront6targetE1EEEvT1_
                                        ; -- End function
	.section	.AMDGPU.csdata,"",@progbits
; Kernel info:
; codeLenInByte = 0
; NumSgprs: 4
; NumVgprs: 0
; NumAgprs: 0
; TotalNumVgprs: 0
; ScratchSize: 0
; MemoryBound: 0
; FloatMode: 240
; IeeeMode: 1
; LDSByteSize: 0 bytes/workgroup (compile time only)
; SGPRBlocks: 0
; VGPRBlocks: 0
; NumSGPRsForWavesPerEU: 4
; NumVGPRsForWavesPerEU: 1
; AccumOffset: 4
; Occupancy: 8
; WaveLimiterHint : 0
; COMPUTE_PGM_RSRC2:SCRATCH_EN: 0
; COMPUTE_PGM_RSRC2:USER_SGPR: 6
; COMPUTE_PGM_RSRC2:TRAP_HANDLER: 0
; COMPUTE_PGM_RSRC2:TGID_X_EN: 1
; COMPUTE_PGM_RSRC2:TGID_Y_EN: 0
; COMPUTE_PGM_RSRC2:TGID_Z_EN: 0
; COMPUTE_PGM_RSRC2:TIDIG_COMP_CNT: 0
; COMPUTE_PGM_RSRC3_GFX90A:ACCUM_OFFSET: 0
; COMPUTE_PGM_RSRC3_GFX90A:TG_SPLIT: 0
	.section	.text._ZN7rocprim17ROCPRIM_400000_NS6detail17trampoline_kernelINS0_14default_configENS1_20scan_config_selectorIiEEZZNS1_9scan_implILNS1_25lookback_scan_determinismE0ELb0ELb0ES3_N6thrust23THRUST_200600_302600_NS6detail15normal_iteratorINS9_10device_ptrIiEEEENSB_INSC_IfEEEEiNS9_4plusIvEEiEEDaPvRmT3_T4_T5_mT6_P12ihipStream_tbENKUlT_T0_E_clISt17integral_constantIbLb1EESV_IbLb0EEEEDaSR_SS_EUlSR_E_NS1_11comp_targetILNS1_3genE0ELNS1_11target_archE4294967295ELNS1_3gpuE0ELNS1_3repE0EEENS1_30default_config_static_selectorELNS0_4arch9wavefront6targetE1EEEvT1_,"axG",@progbits,_ZN7rocprim17ROCPRIM_400000_NS6detail17trampoline_kernelINS0_14default_configENS1_20scan_config_selectorIiEEZZNS1_9scan_implILNS1_25lookback_scan_determinismE0ELb0ELb0ES3_N6thrust23THRUST_200600_302600_NS6detail15normal_iteratorINS9_10device_ptrIiEEEENSB_INSC_IfEEEEiNS9_4plusIvEEiEEDaPvRmT3_T4_T5_mT6_P12ihipStream_tbENKUlT_T0_E_clISt17integral_constantIbLb1EESV_IbLb0EEEEDaSR_SS_EUlSR_E_NS1_11comp_targetILNS1_3genE0ELNS1_11target_archE4294967295ELNS1_3gpuE0ELNS1_3repE0EEENS1_30default_config_static_selectorELNS0_4arch9wavefront6targetE1EEEvT1_,comdat
	.protected	_ZN7rocprim17ROCPRIM_400000_NS6detail17trampoline_kernelINS0_14default_configENS1_20scan_config_selectorIiEEZZNS1_9scan_implILNS1_25lookback_scan_determinismE0ELb0ELb0ES3_N6thrust23THRUST_200600_302600_NS6detail15normal_iteratorINS9_10device_ptrIiEEEENSB_INSC_IfEEEEiNS9_4plusIvEEiEEDaPvRmT3_T4_T5_mT6_P12ihipStream_tbENKUlT_T0_E_clISt17integral_constantIbLb1EESV_IbLb0EEEEDaSR_SS_EUlSR_E_NS1_11comp_targetILNS1_3genE0ELNS1_11target_archE4294967295ELNS1_3gpuE0ELNS1_3repE0EEENS1_30default_config_static_selectorELNS0_4arch9wavefront6targetE1EEEvT1_ ; -- Begin function _ZN7rocprim17ROCPRIM_400000_NS6detail17trampoline_kernelINS0_14default_configENS1_20scan_config_selectorIiEEZZNS1_9scan_implILNS1_25lookback_scan_determinismE0ELb0ELb0ES3_N6thrust23THRUST_200600_302600_NS6detail15normal_iteratorINS9_10device_ptrIiEEEENSB_INSC_IfEEEEiNS9_4plusIvEEiEEDaPvRmT3_T4_T5_mT6_P12ihipStream_tbENKUlT_T0_E_clISt17integral_constantIbLb1EESV_IbLb0EEEEDaSR_SS_EUlSR_E_NS1_11comp_targetILNS1_3genE0ELNS1_11target_archE4294967295ELNS1_3gpuE0ELNS1_3repE0EEENS1_30default_config_static_selectorELNS0_4arch9wavefront6targetE1EEEvT1_
	.globl	_ZN7rocprim17ROCPRIM_400000_NS6detail17trampoline_kernelINS0_14default_configENS1_20scan_config_selectorIiEEZZNS1_9scan_implILNS1_25lookback_scan_determinismE0ELb0ELb0ES3_N6thrust23THRUST_200600_302600_NS6detail15normal_iteratorINS9_10device_ptrIiEEEENSB_INSC_IfEEEEiNS9_4plusIvEEiEEDaPvRmT3_T4_T5_mT6_P12ihipStream_tbENKUlT_T0_E_clISt17integral_constantIbLb1EESV_IbLb0EEEEDaSR_SS_EUlSR_E_NS1_11comp_targetILNS1_3genE0ELNS1_11target_archE4294967295ELNS1_3gpuE0ELNS1_3repE0EEENS1_30default_config_static_selectorELNS0_4arch9wavefront6targetE1EEEvT1_
	.p2align	8
	.type	_ZN7rocprim17ROCPRIM_400000_NS6detail17trampoline_kernelINS0_14default_configENS1_20scan_config_selectorIiEEZZNS1_9scan_implILNS1_25lookback_scan_determinismE0ELb0ELb0ES3_N6thrust23THRUST_200600_302600_NS6detail15normal_iteratorINS9_10device_ptrIiEEEENSB_INSC_IfEEEEiNS9_4plusIvEEiEEDaPvRmT3_T4_T5_mT6_P12ihipStream_tbENKUlT_T0_E_clISt17integral_constantIbLb1EESV_IbLb0EEEEDaSR_SS_EUlSR_E_NS1_11comp_targetILNS1_3genE0ELNS1_11target_archE4294967295ELNS1_3gpuE0ELNS1_3repE0EEENS1_30default_config_static_selectorELNS0_4arch9wavefront6targetE1EEEvT1_,@function
_ZN7rocprim17ROCPRIM_400000_NS6detail17trampoline_kernelINS0_14default_configENS1_20scan_config_selectorIiEEZZNS1_9scan_implILNS1_25lookback_scan_determinismE0ELb0ELb0ES3_N6thrust23THRUST_200600_302600_NS6detail15normal_iteratorINS9_10device_ptrIiEEEENSB_INSC_IfEEEEiNS9_4plusIvEEiEEDaPvRmT3_T4_T5_mT6_P12ihipStream_tbENKUlT_T0_E_clISt17integral_constantIbLb1EESV_IbLb0EEEEDaSR_SS_EUlSR_E_NS1_11comp_targetILNS1_3genE0ELNS1_11target_archE4294967295ELNS1_3gpuE0ELNS1_3repE0EEENS1_30default_config_static_selectorELNS0_4arch9wavefront6targetE1EEEvT1_: ; @_ZN7rocprim17ROCPRIM_400000_NS6detail17trampoline_kernelINS0_14default_configENS1_20scan_config_selectorIiEEZZNS1_9scan_implILNS1_25lookback_scan_determinismE0ELb0ELb0ES3_N6thrust23THRUST_200600_302600_NS6detail15normal_iteratorINS9_10device_ptrIiEEEENSB_INSC_IfEEEEiNS9_4plusIvEEiEEDaPvRmT3_T4_T5_mT6_P12ihipStream_tbENKUlT_T0_E_clISt17integral_constantIbLb1EESV_IbLb0EEEEDaSR_SS_EUlSR_E_NS1_11comp_targetILNS1_3genE0ELNS1_11target_archE4294967295ELNS1_3gpuE0ELNS1_3repE0EEENS1_30default_config_static_selectorELNS0_4arch9wavefront6targetE1EEEvT1_
; %bb.0:
	.section	.rodata,"a",@progbits
	.p2align	6, 0x0
	.amdhsa_kernel _ZN7rocprim17ROCPRIM_400000_NS6detail17trampoline_kernelINS0_14default_configENS1_20scan_config_selectorIiEEZZNS1_9scan_implILNS1_25lookback_scan_determinismE0ELb0ELb0ES3_N6thrust23THRUST_200600_302600_NS6detail15normal_iteratorINS9_10device_ptrIiEEEENSB_INSC_IfEEEEiNS9_4plusIvEEiEEDaPvRmT3_T4_T5_mT6_P12ihipStream_tbENKUlT_T0_E_clISt17integral_constantIbLb1EESV_IbLb0EEEEDaSR_SS_EUlSR_E_NS1_11comp_targetILNS1_3genE0ELNS1_11target_archE4294967295ELNS1_3gpuE0ELNS1_3repE0EEENS1_30default_config_static_selectorELNS0_4arch9wavefront6targetE1EEEvT1_
		.amdhsa_group_segment_fixed_size 0
		.amdhsa_private_segment_fixed_size 0
		.amdhsa_kernarg_size 96
		.amdhsa_user_sgpr_count 6
		.amdhsa_user_sgpr_private_segment_buffer 1
		.amdhsa_user_sgpr_dispatch_ptr 0
		.amdhsa_user_sgpr_queue_ptr 0
		.amdhsa_user_sgpr_kernarg_segment_ptr 1
		.amdhsa_user_sgpr_dispatch_id 0
		.amdhsa_user_sgpr_flat_scratch_init 0
		.amdhsa_user_sgpr_kernarg_preload_length 0
		.amdhsa_user_sgpr_kernarg_preload_offset 0
		.amdhsa_user_sgpr_private_segment_size 0
		.amdhsa_uses_dynamic_stack 0
		.amdhsa_system_sgpr_private_segment_wavefront_offset 0
		.amdhsa_system_sgpr_workgroup_id_x 1
		.amdhsa_system_sgpr_workgroup_id_y 0
		.amdhsa_system_sgpr_workgroup_id_z 0
		.amdhsa_system_sgpr_workgroup_info 0
		.amdhsa_system_vgpr_workitem_id 0
		.amdhsa_next_free_vgpr 1
		.amdhsa_next_free_sgpr 0
		.amdhsa_accum_offset 4
		.amdhsa_reserve_vcc 0
		.amdhsa_reserve_flat_scratch 0
		.amdhsa_float_round_mode_32 0
		.amdhsa_float_round_mode_16_64 0
		.amdhsa_float_denorm_mode_32 3
		.amdhsa_float_denorm_mode_16_64 3
		.amdhsa_dx10_clamp 1
		.amdhsa_ieee_mode 1
		.amdhsa_fp16_overflow 0
		.amdhsa_tg_split 0
		.amdhsa_exception_fp_ieee_invalid_op 0
		.amdhsa_exception_fp_denorm_src 0
		.amdhsa_exception_fp_ieee_div_zero 0
		.amdhsa_exception_fp_ieee_overflow 0
		.amdhsa_exception_fp_ieee_underflow 0
		.amdhsa_exception_fp_ieee_inexact 0
		.amdhsa_exception_int_div_zero 0
	.end_amdhsa_kernel
	.section	.text._ZN7rocprim17ROCPRIM_400000_NS6detail17trampoline_kernelINS0_14default_configENS1_20scan_config_selectorIiEEZZNS1_9scan_implILNS1_25lookback_scan_determinismE0ELb0ELb0ES3_N6thrust23THRUST_200600_302600_NS6detail15normal_iteratorINS9_10device_ptrIiEEEENSB_INSC_IfEEEEiNS9_4plusIvEEiEEDaPvRmT3_T4_T5_mT6_P12ihipStream_tbENKUlT_T0_E_clISt17integral_constantIbLb1EESV_IbLb0EEEEDaSR_SS_EUlSR_E_NS1_11comp_targetILNS1_3genE0ELNS1_11target_archE4294967295ELNS1_3gpuE0ELNS1_3repE0EEENS1_30default_config_static_selectorELNS0_4arch9wavefront6targetE1EEEvT1_,"axG",@progbits,_ZN7rocprim17ROCPRIM_400000_NS6detail17trampoline_kernelINS0_14default_configENS1_20scan_config_selectorIiEEZZNS1_9scan_implILNS1_25lookback_scan_determinismE0ELb0ELb0ES3_N6thrust23THRUST_200600_302600_NS6detail15normal_iteratorINS9_10device_ptrIiEEEENSB_INSC_IfEEEEiNS9_4plusIvEEiEEDaPvRmT3_T4_T5_mT6_P12ihipStream_tbENKUlT_T0_E_clISt17integral_constantIbLb1EESV_IbLb0EEEEDaSR_SS_EUlSR_E_NS1_11comp_targetILNS1_3genE0ELNS1_11target_archE4294967295ELNS1_3gpuE0ELNS1_3repE0EEENS1_30default_config_static_selectorELNS0_4arch9wavefront6targetE1EEEvT1_,comdat
.Lfunc_end1677:
	.size	_ZN7rocprim17ROCPRIM_400000_NS6detail17trampoline_kernelINS0_14default_configENS1_20scan_config_selectorIiEEZZNS1_9scan_implILNS1_25lookback_scan_determinismE0ELb0ELb0ES3_N6thrust23THRUST_200600_302600_NS6detail15normal_iteratorINS9_10device_ptrIiEEEENSB_INSC_IfEEEEiNS9_4plusIvEEiEEDaPvRmT3_T4_T5_mT6_P12ihipStream_tbENKUlT_T0_E_clISt17integral_constantIbLb1EESV_IbLb0EEEEDaSR_SS_EUlSR_E_NS1_11comp_targetILNS1_3genE0ELNS1_11target_archE4294967295ELNS1_3gpuE0ELNS1_3repE0EEENS1_30default_config_static_selectorELNS0_4arch9wavefront6targetE1EEEvT1_, .Lfunc_end1677-_ZN7rocprim17ROCPRIM_400000_NS6detail17trampoline_kernelINS0_14default_configENS1_20scan_config_selectorIiEEZZNS1_9scan_implILNS1_25lookback_scan_determinismE0ELb0ELb0ES3_N6thrust23THRUST_200600_302600_NS6detail15normal_iteratorINS9_10device_ptrIiEEEENSB_INSC_IfEEEEiNS9_4plusIvEEiEEDaPvRmT3_T4_T5_mT6_P12ihipStream_tbENKUlT_T0_E_clISt17integral_constantIbLb1EESV_IbLb0EEEEDaSR_SS_EUlSR_E_NS1_11comp_targetILNS1_3genE0ELNS1_11target_archE4294967295ELNS1_3gpuE0ELNS1_3repE0EEENS1_30default_config_static_selectorELNS0_4arch9wavefront6targetE1EEEvT1_
                                        ; -- End function
	.section	.AMDGPU.csdata,"",@progbits
; Kernel info:
; codeLenInByte = 0
; NumSgprs: 4
; NumVgprs: 0
; NumAgprs: 0
; TotalNumVgprs: 0
; ScratchSize: 0
; MemoryBound: 0
; FloatMode: 240
; IeeeMode: 1
; LDSByteSize: 0 bytes/workgroup (compile time only)
; SGPRBlocks: 0
; VGPRBlocks: 0
; NumSGPRsForWavesPerEU: 4
; NumVGPRsForWavesPerEU: 1
; AccumOffset: 4
; Occupancy: 8
; WaveLimiterHint : 0
; COMPUTE_PGM_RSRC2:SCRATCH_EN: 0
; COMPUTE_PGM_RSRC2:USER_SGPR: 6
; COMPUTE_PGM_RSRC2:TRAP_HANDLER: 0
; COMPUTE_PGM_RSRC2:TGID_X_EN: 1
; COMPUTE_PGM_RSRC2:TGID_Y_EN: 0
; COMPUTE_PGM_RSRC2:TGID_Z_EN: 0
; COMPUTE_PGM_RSRC2:TIDIG_COMP_CNT: 0
; COMPUTE_PGM_RSRC3_GFX90A:ACCUM_OFFSET: 0
; COMPUTE_PGM_RSRC3_GFX90A:TG_SPLIT: 0
	.section	.text._ZN7rocprim17ROCPRIM_400000_NS6detail17trampoline_kernelINS0_14default_configENS1_20scan_config_selectorIiEEZZNS1_9scan_implILNS1_25lookback_scan_determinismE0ELb0ELb0ES3_N6thrust23THRUST_200600_302600_NS6detail15normal_iteratorINS9_10device_ptrIiEEEENSB_INSC_IfEEEEiNS9_4plusIvEEiEEDaPvRmT3_T4_T5_mT6_P12ihipStream_tbENKUlT_T0_E_clISt17integral_constantIbLb1EESV_IbLb0EEEEDaSR_SS_EUlSR_E_NS1_11comp_targetILNS1_3genE5ELNS1_11target_archE942ELNS1_3gpuE9ELNS1_3repE0EEENS1_30default_config_static_selectorELNS0_4arch9wavefront6targetE1EEEvT1_,"axG",@progbits,_ZN7rocprim17ROCPRIM_400000_NS6detail17trampoline_kernelINS0_14default_configENS1_20scan_config_selectorIiEEZZNS1_9scan_implILNS1_25lookback_scan_determinismE0ELb0ELb0ES3_N6thrust23THRUST_200600_302600_NS6detail15normal_iteratorINS9_10device_ptrIiEEEENSB_INSC_IfEEEEiNS9_4plusIvEEiEEDaPvRmT3_T4_T5_mT6_P12ihipStream_tbENKUlT_T0_E_clISt17integral_constantIbLb1EESV_IbLb0EEEEDaSR_SS_EUlSR_E_NS1_11comp_targetILNS1_3genE5ELNS1_11target_archE942ELNS1_3gpuE9ELNS1_3repE0EEENS1_30default_config_static_selectorELNS0_4arch9wavefront6targetE1EEEvT1_,comdat
	.protected	_ZN7rocprim17ROCPRIM_400000_NS6detail17trampoline_kernelINS0_14default_configENS1_20scan_config_selectorIiEEZZNS1_9scan_implILNS1_25lookback_scan_determinismE0ELb0ELb0ES3_N6thrust23THRUST_200600_302600_NS6detail15normal_iteratorINS9_10device_ptrIiEEEENSB_INSC_IfEEEEiNS9_4plusIvEEiEEDaPvRmT3_T4_T5_mT6_P12ihipStream_tbENKUlT_T0_E_clISt17integral_constantIbLb1EESV_IbLb0EEEEDaSR_SS_EUlSR_E_NS1_11comp_targetILNS1_3genE5ELNS1_11target_archE942ELNS1_3gpuE9ELNS1_3repE0EEENS1_30default_config_static_selectorELNS0_4arch9wavefront6targetE1EEEvT1_ ; -- Begin function _ZN7rocprim17ROCPRIM_400000_NS6detail17trampoline_kernelINS0_14default_configENS1_20scan_config_selectorIiEEZZNS1_9scan_implILNS1_25lookback_scan_determinismE0ELb0ELb0ES3_N6thrust23THRUST_200600_302600_NS6detail15normal_iteratorINS9_10device_ptrIiEEEENSB_INSC_IfEEEEiNS9_4plusIvEEiEEDaPvRmT3_T4_T5_mT6_P12ihipStream_tbENKUlT_T0_E_clISt17integral_constantIbLb1EESV_IbLb0EEEEDaSR_SS_EUlSR_E_NS1_11comp_targetILNS1_3genE5ELNS1_11target_archE942ELNS1_3gpuE9ELNS1_3repE0EEENS1_30default_config_static_selectorELNS0_4arch9wavefront6targetE1EEEvT1_
	.globl	_ZN7rocprim17ROCPRIM_400000_NS6detail17trampoline_kernelINS0_14default_configENS1_20scan_config_selectorIiEEZZNS1_9scan_implILNS1_25lookback_scan_determinismE0ELb0ELb0ES3_N6thrust23THRUST_200600_302600_NS6detail15normal_iteratorINS9_10device_ptrIiEEEENSB_INSC_IfEEEEiNS9_4plusIvEEiEEDaPvRmT3_T4_T5_mT6_P12ihipStream_tbENKUlT_T0_E_clISt17integral_constantIbLb1EESV_IbLb0EEEEDaSR_SS_EUlSR_E_NS1_11comp_targetILNS1_3genE5ELNS1_11target_archE942ELNS1_3gpuE9ELNS1_3repE0EEENS1_30default_config_static_selectorELNS0_4arch9wavefront6targetE1EEEvT1_
	.p2align	8
	.type	_ZN7rocprim17ROCPRIM_400000_NS6detail17trampoline_kernelINS0_14default_configENS1_20scan_config_selectorIiEEZZNS1_9scan_implILNS1_25lookback_scan_determinismE0ELb0ELb0ES3_N6thrust23THRUST_200600_302600_NS6detail15normal_iteratorINS9_10device_ptrIiEEEENSB_INSC_IfEEEEiNS9_4plusIvEEiEEDaPvRmT3_T4_T5_mT6_P12ihipStream_tbENKUlT_T0_E_clISt17integral_constantIbLb1EESV_IbLb0EEEEDaSR_SS_EUlSR_E_NS1_11comp_targetILNS1_3genE5ELNS1_11target_archE942ELNS1_3gpuE9ELNS1_3repE0EEENS1_30default_config_static_selectorELNS0_4arch9wavefront6targetE1EEEvT1_,@function
_ZN7rocprim17ROCPRIM_400000_NS6detail17trampoline_kernelINS0_14default_configENS1_20scan_config_selectorIiEEZZNS1_9scan_implILNS1_25lookback_scan_determinismE0ELb0ELb0ES3_N6thrust23THRUST_200600_302600_NS6detail15normal_iteratorINS9_10device_ptrIiEEEENSB_INSC_IfEEEEiNS9_4plusIvEEiEEDaPvRmT3_T4_T5_mT6_P12ihipStream_tbENKUlT_T0_E_clISt17integral_constantIbLb1EESV_IbLb0EEEEDaSR_SS_EUlSR_E_NS1_11comp_targetILNS1_3genE5ELNS1_11target_archE942ELNS1_3gpuE9ELNS1_3repE0EEENS1_30default_config_static_selectorELNS0_4arch9wavefront6targetE1EEEvT1_: ; @_ZN7rocprim17ROCPRIM_400000_NS6detail17trampoline_kernelINS0_14default_configENS1_20scan_config_selectorIiEEZZNS1_9scan_implILNS1_25lookback_scan_determinismE0ELb0ELb0ES3_N6thrust23THRUST_200600_302600_NS6detail15normal_iteratorINS9_10device_ptrIiEEEENSB_INSC_IfEEEEiNS9_4plusIvEEiEEDaPvRmT3_T4_T5_mT6_P12ihipStream_tbENKUlT_T0_E_clISt17integral_constantIbLb1EESV_IbLb0EEEEDaSR_SS_EUlSR_E_NS1_11comp_targetILNS1_3genE5ELNS1_11target_archE942ELNS1_3gpuE9ELNS1_3repE0EEENS1_30default_config_static_selectorELNS0_4arch9wavefront6targetE1EEEvT1_
; %bb.0:
	.section	.rodata,"a",@progbits
	.p2align	6, 0x0
	.amdhsa_kernel _ZN7rocprim17ROCPRIM_400000_NS6detail17trampoline_kernelINS0_14default_configENS1_20scan_config_selectorIiEEZZNS1_9scan_implILNS1_25lookback_scan_determinismE0ELb0ELb0ES3_N6thrust23THRUST_200600_302600_NS6detail15normal_iteratorINS9_10device_ptrIiEEEENSB_INSC_IfEEEEiNS9_4plusIvEEiEEDaPvRmT3_T4_T5_mT6_P12ihipStream_tbENKUlT_T0_E_clISt17integral_constantIbLb1EESV_IbLb0EEEEDaSR_SS_EUlSR_E_NS1_11comp_targetILNS1_3genE5ELNS1_11target_archE942ELNS1_3gpuE9ELNS1_3repE0EEENS1_30default_config_static_selectorELNS0_4arch9wavefront6targetE1EEEvT1_
		.amdhsa_group_segment_fixed_size 0
		.amdhsa_private_segment_fixed_size 0
		.amdhsa_kernarg_size 96
		.amdhsa_user_sgpr_count 6
		.amdhsa_user_sgpr_private_segment_buffer 1
		.amdhsa_user_sgpr_dispatch_ptr 0
		.amdhsa_user_sgpr_queue_ptr 0
		.amdhsa_user_sgpr_kernarg_segment_ptr 1
		.amdhsa_user_sgpr_dispatch_id 0
		.amdhsa_user_sgpr_flat_scratch_init 0
		.amdhsa_user_sgpr_kernarg_preload_length 0
		.amdhsa_user_sgpr_kernarg_preload_offset 0
		.amdhsa_user_sgpr_private_segment_size 0
		.amdhsa_uses_dynamic_stack 0
		.amdhsa_system_sgpr_private_segment_wavefront_offset 0
		.amdhsa_system_sgpr_workgroup_id_x 1
		.amdhsa_system_sgpr_workgroup_id_y 0
		.amdhsa_system_sgpr_workgroup_id_z 0
		.amdhsa_system_sgpr_workgroup_info 0
		.amdhsa_system_vgpr_workitem_id 0
		.amdhsa_next_free_vgpr 1
		.amdhsa_next_free_sgpr 0
		.amdhsa_accum_offset 4
		.amdhsa_reserve_vcc 0
		.amdhsa_reserve_flat_scratch 0
		.amdhsa_float_round_mode_32 0
		.amdhsa_float_round_mode_16_64 0
		.amdhsa_float_denorm_mode_32 3
		.amdhsa_float_denorm_mode_16_64 3
		.amdhsa_dx10_clamp 1
		.amdhsa_ieee_mode 1
		.amdhsa_fp16_overflow 0
		.amdhsa_tg_split 0
		.amdhsa_exception_fp_ieee_invalid_op 0
		.amdhsa_exception_fp_denorm_src 0
		.amdhsa_exception_fp_ieee_div_zero 0
		.amdhsa_exception_fp_ieee_overflow 0
		.amdhsa_exception_fp_ieee_underflow 0
		.amdhsa_exception_fp_ieee_inexact 0
		.amdhsa_exception_int_div_zero 0
	.end_amdhsa_kernel
	.section	.text._ZN7rocprim17ROCPRIM_400000_NS6detail17trampoline_kernelINS0_14default_configENS1_20scan_config_selectorIiEEZZNS1_9scan_implILNS1_25lookback_scan_determinismE0ELb0ELb0ES3_N6thrust23THRUST_200600_302600_NS6detail15normal_iteratorINS9_10device_ptrIiEEEENSB_INSC_IfEEEEiNS9_4plusIvEEiEEDaPvRmT3_T4_T5_mT6_P12ihipStream_tbENKUlT_T0_E_clISt17integral_constantIbLb1EESV_IbLb0EEEEDaSR_SS_EUlSR_E_NS1_11comp_targetILNS1_3genE5ELNS1_11target_archE942ELNS1_3gpuE9ELNS1_3repE0EEENS1_30default_config_static_selectorELNS0_4arch9wavefront6targetE1EEEvT1_,"axG",@progbits,_ZN7rocprim17ROCPRIM_400000_NS6detail17trampoline_kernelINS0_14default_configENS1_20scan_config_selectorIiEEZZNS1_9scan_implILNS1_25lookback_scan_determinismE0ELb0ELb0ES3_N6thrust23THRUST_200600_302600_NS6detail15normal_iteratorINS9_10device_ptrIiEEEENSB_INSC_IfEEEEiNS9_4plusIvEEiEEDaPvRmT3_T4_T5_mT6_P12ihipStream_tbENKUlT_T0_E_clISt17integral_constantIbLb1EESV_IbLb0EEEEDaSR_SS_EUlSR_E_NS1_11comp_targetILNS1_3genE5ELNS1_11target_archE942ELNS1_3gpuE9ELNS1_3repE0EEENS1_30default_config_static_selectorELNS0_4arch9wavefront6targetE1EEEvT1_,comdat
.Lfunc_end1678:
	.size	_ZN7rocprim17ROCPRIM_400000_NS6detail17trampoline_kernelINS0_14default_configENS1_20scan_config_selectorIiEEZZNS1_9scan_implILNS1_25lookback_scan_determinismE0ELb0ELb0ES3_N6thrust23THRUST_200600_302600_NS6detail15normal_iteratorINS9_10device_ptrIiEEEENSB_INSC_IfEEEEiNS9_4plusIvEEiEEDaPvRmT3_T4_T5_mT6_P12ihipStream_tbENKUlT_T0_E_clISt17integral_constantIbLb1EESV_IbLb0EEEEDaSR_SS_EUlSR_E_NS1_11comp_targetILNS1_3genE5ELNS1_11target_archE942ELNS1_3gpuE9ELNS1_3repE0EEENS1_30default_config_static_selectorELNS0_4arch9wavefront6targetE1EEEvT1_, .Lfunc_end1678-_ZN7rocprim17ROCPRIM_400000_NS6detail17trampoline_kernelINS0_14default_configENS1_20scan_config_selectorIiEEZZNS1_9scan_implILNS1_25lookback_scan_determinismE0ELb0ELb0ES3_N6thrust23THRUST_200600_302600_NS6detail15normal_iteratorINS9_10device_ptrIiEEEENSB_INSC_IfEEEEiNS9_4plusIvEEiEEDaPvRmT3_T4_T5_mT6_P12ihipStream_tbENKUlT_T0_E_clISt17integral_constantIbLb1EESV_IbLb0EEEEDaSR_SS_EUlSR_E_NS1_11comp_targetILNS1_3genE5ELNS1_11target_archE942ELNS1_3gpuE9ELNS1_3repE0EEENS1_30default_config_static_selectorELNS0_4arch9wavefront6targetE1EEEvT1_
                                        ; -- End function
	.section	.AMDGPU.csdata,"",@progbits
; Kernel info:
; codeLenInByte = 0
; NumSgprs: 4
; NumVgprs: 0
; NumAgprs: 0
; TotalNumVgprs: 0
; ScratchSize: 0
; MemoryBound: 0
; FloatMode: 240
; IeeeMode: 1
; LDSByteSize: 0 bytes/workgroup (compile time only)
; SGPRBlocks: 0
; VGPRBlocks: 0
; NumSGPRsForWavesPerEU: 4
; NumVGPRsForWavesPerEU: 1
; AccumOffset: 4
; Occupancy: 8
; WaveLimiterHint : 0
; COMPUTE_PGM_RSRC2:SCRATCH_EN: 0
; COMPUTE_PGM_RSRC2:USER_SGPR: 6
; COMPUTE_PGM_RSRC2:TRAP_HANDLER: 0
; COMPUTE_PGM_RSRC2:TGID_X_EN: 1
; COMPUTE_PGM_RSRC2:TGID_Y_EN: 0
; COMPUTE_PGM_RSRC2:TGID_Z_EN: 0
; COMPUTE_PGM_RSRC2:TIDIG_COMP_CNT: 0
; COMPUTE_PGM_RSRC3_GFX90A:ACCUM_OFFSET: 0
; COMPUTE_PGM_RSRC3_GFX90A:TG_SPLIT: 0
	.section	.text._ZN7rocprim17ROCPRIM_400000_NS6detail17trampoline_kernelINS0_14default_configENS1_20scan_config_selectorIiEEZZNS1_9scan_implILNS1_25lookback_scan_determinismE0ELb0ELb0ES3_N6thrust23THRUST_200600_302600_NS6detail15normal_iteratorINS9_10device_ptrIiEEEENSB_INSC_IfEEEEiNS9_4plusIvEEiEEDaPvRmT3_T4_T5_mT6_P12ihipStream_tbENKUlT_T0_E_clISt17integral_constantIbLb1EESV_IbLb0EEEEDaSR_SS_EUlSR_E_NS1_11comp_targetILNS1_3genE4ELNS1_11target_archE910ELNS1_3gpuE8ELNS1_3repE0EEENS1_30default_config_static_selectorELNS0_4arch9wavefront6targetE1EEEvT1_,"axG",@progbits,_ZN7rocprim17ROCPRIM_400000_NS6detail17trampoline_kernelINS0_14default_configENS1_20scan_config_selectorIiEEZZNS1_9scan_implILNS1_25lookback_scan_determinismE0ELb0ELb0ES3_N6thrust23THRUST_200600_302600_NS6detail15normal_iteratorINS9_10device_ptrIiEEEENSB_INSC_IfEEEEiNS9_4plusIvEEiEEDaPvRmT3_T4_T5_mT6_P12ihipStream_tbENKUlT_T0_E_clISt17integral_constantIbLb1EESV_IbLb0EEEEDaSR_SS_EUlSR_E_NS1_11comp_targetILNS1_3genE4ELNS1_11target_archE910ELNS1_3gpuE8ELNS1_3repE0EEENS1_30default_config_static_selectorELNS0_4arch9wavefront6targetE1EEEvT1_,comdat
	.protected	_ZN7rocprim17ROCPRIM_400000_NS6detail17trampoline_kernelINS0_14default_configENS1_20scan_config_selectorIiEEZZNS1_9scan_implILNS1_25lookback_scan_determinismE0ELb0ELb0ES3_N6thrust23THRUST_200600_302600_NS6detail15normal_iteratorINS9_10device_ptrIiEEEENSB_INSC_IfEEEEiNS9_4plusIvEEiEEDaPvRmT3_T4_T5_mT6_P12ihipStream_tbENKUlT_T0_E_clISt17integral_constantIbLb1EESV_IbLb0EEEEDaSR_SS_EUlSR_E_NS1_11comp_targetILNS1_3genE4ELNS1_11target_archE910ELNS1_3gpuE8ELNS1_3repE0EEENS1_30default_config_static_selectorELNS0_4arch9wavefront6targetE1EEEvT1_ ; -- Begin function _ZN7rocprim17ROCPRIM_400000_NS6detail17trampoline_kernelINS0_14default_configENS1_20scan_config_selectorIiEEZZNS1_9scan_implILNS1_25lookback_scan_determinismE0ELb0ELb0ES3_N6thrust23THRUST_200600_302600_NS6detail15normal_iteratorINS9_10device_ptrIiEEEENSB_INSC_IfEEEEiNS9_4plusIvEEiEEDaPvRmT3_T4_T5_mT6_P12ihipStream_tbENKUlT_T0_E_clISt17integral_constantIbLb1EESV_IbLb0EEEEDaSR_SS_EUlSR_E_NS1_11comp_targetILNS1_3genE4ELNS1_11target_archE910ELNS1_3gpuE8ELNS1_3repE0EEENS1_30default_config_static_selectorELNS0_4arch9wavefront6targetE1EEEvT1_
	.globl	_ZN7rocprim17ROCPRIM_400000_NS6detail17trampoline_kernelINS0_14default_configENS1_20scan_config_selectorIiEEZZNS1_9scan_implILNS1_25lookback_scan_determinismE0ELb0ELb0ES3_N6thrust23THRUST_200600_302600_NS6detail15normal_iteratorINS9_10device_ptrIiEEEENSB_INSC_IfEEEEiNS9_4plusIvEEiEEDaPvRmT3_T4_T5_mT6_P12ihipStream_tbENKUlT_T0_E_clISt17integral_constantIbLb1EESV_IbLb0EEEEDaSR_SS_EUlSR_E_NS1_11comp_targetILNS1_3genE4ELNS1_11target_archE910ELNS1_3gpuE8ELNS1_3repE0EEENS1_30default_config_static_selectorELNS0_4arch9wavefront6targetE1EEEvT1_
	.p2align	8
	.type	_ZN7rocprim17ROCPRIM_400000_NS6detail17trampoline_kernelINS0_14default_configENS1_20scan_config_selectorIiEEZZNS1_9scan_implILNS1_25lookback_scan_determinismE0ELb0ELb0ES3_N6thrust23THRUST_200600_302600_NS6detail15normal_iteratorINS9_10device_ptrIiEEEENSB_INSC_IfEEEEiNS9_4plusIvEEiEEDaPvRmT3_T4_T5_mT6_P12ihipStream_tbENKUlT_T0_E_clISt17integral_constantIbLb1EESV_IbLb0EEEEDaSR_SS_EUlSR_E_NS1_11comp_targetILNS1_3genE4ELNS1_11target_archE910ELNS1_3gpuE8ELNS1_3repE0EEENS1_30default_config_static_selectorELNS0_4arch9wavefront6targetE1EEEvT1_,@function
_ZN7rocprim17ROCPRIM_400000_NS6detail17trampoline_kernelINS0_14default_configENS1_20scan_config_selectorIiEEZZNS1_9scan_implILNS1_25lookback_scan_determinismE0ELb0ELb0ES3_N6thrust23THRUST_200600_302600_NS6detail15normal_iteratorINS9_10device_ptrIiEEEENSB_INSC_IfEEEEiNS9_4plusIvEEiEEDaPvRmT3_T4_T5_mT6_P12ihipStream_tbENKUlT_T0_E_clISt17integral_constantIbLb1EESV_IbLb0EEEEDaSR_SS_EUlSR_E_NS1_11comp_targetILNS1_3genE4ELNS1_11target_archE910ELNS1_3gpuE8ELNS1_3repE0EEENS1_30default_config_static_selectorELNS0_4arch9wavefront6targetE1EEEvT1_: ; @_ZN7rocprim17ROCPRIM_400000_NS6detail17trampoline_kernelINS0_14default_configENS1_20scan_config_selectorIiEEZZNS1_9scan_implILNS1_25lookback_scan_determinismE0ELb0ELb0ES3_N6thrust23THRUST_200600_302600_NS6detail15normal_iteratorINS9_10device_ptrIiEEEENSB_INSC_IfEEEEiNS9_4plusIvEEiEEDaPvRmT3_T4_T5_mT6_P12ihipStream_tbENKUlT_T0_E_clISt17integral_constantIbLb1EESV_IbLb0EEEEDaSR_SS_EUlSR_E_NS1_11comp_targetILNS1_3genE4ELNS1_11target_archE910ELNS1_3gpuE8ELNS1_3repE0EEENS1_30default_config_static_selectorELNS0_4arch9wavefront6targetE1EEEvT1_
; %bb.0:
	s_load_dwordx8 s[8:15], s[4:5], 0x0
	s_load_dword s1, s[4:5], 0x30
	s_mul_i32 s0, s6, 0x500
	v_lshlrev_b32_e32 v22, 2, v0
	s_waitcnt lgkmcnt(0)
	s_lshl_b64 s[16:17], s[10:11], 2
	s_add_u32 s2, s8, s16
	s_addc_u32 s3, s9, s17
	s_add_i32 s7, s1, -1
	s_mul_i32 s8, s7, 0x500
	s_sub_u32 s24, s14, s8
	s_subb_u32 s25, s15, 0
	s_mov_b32 s1, 0
	s_cmp_lg_u32 s6, s7
	s_cselect_b64 s[14:15], -1, 0
	s_lshl_b64 s[18:19], s[0:1], 2
	s_add_u32 s2, s2, s18
	s_addc_u32 s3, s3, s19
	s_mov_b64 s[0:1], -1
	s_and_b64 vcc, exec, s[14:15]
	s_cbranch_vccz .LBB1679_2
; %bb.1:
	v_mov_b32_e32 v1, s3
	v_add_co_u32_e32 v2, vcc, s2, v22
	v_addc_co_u32_e32 v3, vcc, 0, v1, vcc
	flat_load_dword v1, v[2:3]
	flat_load_dword v4, v[2:3] offset:512
	flat_load_dword v5, v[2:3] offset:1024
	flat_load_dword v6, v[2:3] offset:1536
	flat_load_dword v7, v[2:3] offset:2048
	flat_load_dword v8, v[2:3] offset:2560
	flat_load_dword v9, v[2:3] offset:3072
	flat_load_dword v10, v[2:3] offset:3584
	v_add_co_u32_e32 v2, vcc, 0x1000, v2
	v_addc_co_u32_e32 v3, vcc, 0, v3, vcc
	flat_load_dword v11, v[2:3]
	flat_load_dword v12, v[2:3] offset:512
	s_mov_b64 s[0:1], 0
	s_waitcnt vmcnt(0) lgkmcnt(0)
	ds_write2st64_b32 v22, v1, v4 offset1:2
	ds_write2st64_b32 v22, v5, v6 offset0:4 offset1:6
	ds_write2st64_b32 v22, v7, v8 offset0:8 offset1:10
	;; [unrolled: 1-line block ×4, first 2 shown]
	s_waitcnt lgkmcnt(0)
	s_barrier
.LBB1679_2:
	s_load_dwordx2 s[20:21], s[4:5], 0x28
	s_andn2_b64 vcc, exec, s[0:1]
	v_cmp_gt_u32_e64 s[0:1], s24, v0
	s_cbranch_vccnz .LBB1679_24
; %bb.3:
	v_pk_mov_b32 v[2:3], s[2:3], s[2:3] op_sel:[0,1]
	flat_load_dword v1, v[2:3]
	s_waitcnt vmcnt(0) lgkmcnt(0)
	v_mov_b32_e32 v2, v1
	v_mov_b32_e32 v3, v1
	;; [unrolled: 1-line block ×9, first 2 shown]
	s_and_saveexec_b64 s[8:9], s[0:1]
	s_cbranch_execz .LBB1679_5
; %bb.4:
	v_mov_b32_e32 v11, s3
	v_add_co_u32_e32 v10, vcc, s2, v22
	v_addc_co_u32_e32 v11, vcc, 0, v11, vcc
	flat_load_dword v10, v[10:11]
.LBB1679_5:
	s_or_b64 exec, exec, s[8:9]
	v_or_b32_e32 v11, 0x80, v0
	v_cmp_gt_u32_e32 vcc, s24, v11
	s_and_saveexec_b64 s[0:1], vcc
	s_cbranch_execz .LBB1679_7
; %bb.6:
	v_mov_b32_e32 v1, s3
	v_add_co_u32_e32 v12, vcc, s2, v22
	v_addc_co_u32_e32 v13, vcc, 0, v1, vcc
	flat_load_dword v1, v[12:13] offset:512
.LBB1679_7:
	s_or_b64 exec, exec, s[0:1]
	v_or_b32_e32 v11, 0x100, v0
	v_cmp_gt_u32_e32 vcc, s24, v11
	s_and_saveexec_b64 s[0:1], vcc
	s_cbranch_execz .LBB1679_9
; %bb.8:
	v_mov_b32_e32 v2, s3
	v_add_co_u32_e32 v12, vcc, s2, v22
	v_addc_co_u32_e32 v13, vcc, 0, v2, vcc
	flat_load_dword v2, v[12:13] offset:1024
.LBB1679_9:
	;; [unrolled: 11-line block ×7, first 2 shown]
	s_or_b64 exec, exec, s[0:1]
	v_or_b32_e32 v11, 0x400, v0
	v_cmp_gt_u32_e32 vcc, s24, v11
	s_and_saveexec_b64 s[0:1], vcc
	s_cbranch_execz .LBB1679_21
; %bb.20:
	v_lshlrev_b32_e32 v8, 2, v11
	v_mov_b32_e32 v11, s3
	v_add_co_u32_e32 v12, vcc, s2, v8
	v_addc_co_u32_e32 v13, vcc, 0, v11, vcc
	flat_load_dword v8, v[12:13]
.LBB1679_21:
	s_or_b64 exec, exec, s[0:1]
	v_or_b32_e32 v11, 0x480, v0
	v_cmp_gt_u32_e32 vcc, s24, v11
	s_and_saveexec_b64 s[0:1], vcc
	s_cbranch_execz .LBB1679_23
; %bb.22:
	v_lshlrev_b32_e32 v9, 2, v11
	v_mov_b32_e32 v11, s3
	v_add_co_u32_e32 v12, vcc, s2, v9
	v_addc_co_u32_e32 v13, vcc, 0, v11, vcc
	flat_load_dword v9, v[12:13]
.LBB1679_23:
	s_or_b64 exec, exec, s[0:1]
	s_waitcnt vmcnt(0) lgkmcnt(0)
	ds_write2st64_b32 v22, v10, v1 offset1:2
	ds_write2st64_b32 v22, v2, v3 offset0:4 offset1:6
	ds_write2st64_b32 v22, v4, v5 offset0:8 offset1:10
	;; [unrolled: 1-line block ×4, first 2 shown]
	s_waitcnt lgkmcnt(0)
	s_barrier
.LBB1679_24:
	v_mul_u32_u24_e32 v23, 10, v0
	v_lshlrev_b32_e32 v1, 2, v23
	s_waitcnt lgkmcnt(0)
	ds_read2_b64 v[2:5], v1 offset1:1
	ds_read2_b64 v[16:19], v1 offset0:2 offset1:3
	ds_read_b64 v[20:21], v1 offset:32
	s_cmp_lg_u32 s6, 0
	v_lshrrev_b32_e32 v24, 5, v0
	v_cmp_gt_u32_e32 vcc, 64, v0
	s_waitcnt lgkmcnt(0)
	s_barrier
	s_cbranch_scc0 .LBB1679_53
; %bb.25:
	v_add_u32_e32 v6, v3, v2
	v_add3_u32 v6, v6, v4, v5
	v_add3_u32 v6, v6, v16, v17
	;; [unrolled: 1-line block ×4, first 2 shown]
	v_add_lshl_u32 v7, v24, v0, 2
	ds_write_b32 v7, v6
	s_waitcnt lgkmcnt(0)
	s_barrier
	s_and_saveexec_b64 s[2:3], vcc
	s_cbranch_execz .LBB1679_27
; %bb.26:
	v_lshlrev_b32_e32 v7, 1, v0
	v_lshrrev_b32_e32 v8, 4, v0
	v_add_lshl_u32 v7, v8, v7, 2
	ds_read2_b32 v[8:9], v7 offset1:1
	v_mbcnt_lo_u32_b32 v10, -1, 0
	v_mbcnt_hi_u32_b32 v10, -1, v10
	v_and_b32_e32 v11, 15, v10
	v_cmp_ne_u32_e64 s[0:1], 0, v11
	s_waitcnt lgkmcnt(0)
	v_add_u32_e32 v9, v9, v8
	; wave barrier
	s_nop 1
	v_mov_b32_dpp v12, v9 row_shr:1 row_mask:0xf bank_mask:0xf
	v_cndmask_b32_e64 v12, 0, v12, s[0:1]
	v_add_u32_e32 v9, v12, v9
	v_cmp_lt_u32_e64 s[0:1], 1, v11
	s_nop 0
	v_mov_b32_dpp v12, v9 row_shr:2 row_mask:0xf bank_mask:0xf
	v_cndmask_b32_e64 v12, 0, v12, s[0:1]
	v_add_u32_e32 v9, v9, v12
	v_cmp_lt_u32_e64 s[0:1], 3, v11
	;; [unrolled: 5-line block ×3, first 2 shown]
	s_nop 0
	v_mov_b32_dpp v12, v9 row_shr:8 row_mask:0xf bank_mask:0xf
	v_cndmask_b32_e64 v11, 0, v12, s[0:1]
	v_add_u32_e32 v9, v9, v11
	v_bfe_i32 v12, v10, 4, 1
	v_cmp_lt_u32_e64 s[0:1], 31, v10
	v_mov_b32_dpp v11, v9 row_bcast:15 row_mask:0xf bank_mask:0xf
	v_and_b32_e32 v11, v12, v11
	v_add_u32_e32 v9, v9, v11
	v_and_b32_e32 v12, 64, v10
	s_nop 0
	v_mov_b32_dpp v11, v9 row_bcast:31 row_mask:0xf bank_mask:0xf
	v_cndmask_b32_e64 v11, 0, v11, s[0:1]
	v_add_u32_e32 v9, v9, v11
	v_add_u32_e32 v11, -1, v10
	v_cmp_lt_i32_e64 s[0:1], v11, v12
	v_cndmask_b32_e64 v10, v11, v10, s[0:1]
	v_lshlrev_b32_e32 v10, 2, v10
	ds_bpermute_b32 v9, v10, v9
	v_cmp_eq_u32_e64 s[0:1], 0, v0
	s_waitcnt lgkmcnt(0)
	v_add_u32_e32 v8, v9, v8
	v_cndmask_b32_e64 v6, v8, v6, s[0:1]
	ds_write_b32 v7, v6
	; wave barrier
	ds_read_b32 v8, v7 offset:4
	s_waitcnt lgkmcnt(0)
	v_add_u32_e32 v6, v8, v6
	ds_write_b32 v7, v6 offset:4
.LBB1679_27:
	s_or_b64 exec, exec, s[2:3]
	v_cmp_eq_u32_e64 s[0:1], 0, v0
	v_cmp_ne_u32_e64 s[2:3], 0, v0
	v_mov_b32_e32 v25, 0
	s_waitcnt lgkmcnt(0)
	s_barrier
	s_and_saveexec_b64 s[8:9], s[2:3]
	s_cbranch_execz .LBB1679_29
; %bb.28:
	v_add_u32_e32 v6, -1, v0
	v_lshrrev_b32_e32 v7, 5, v6
	v_add_lshl_u32 v6, v7, v6, 2
	ds_read_b32 v25, v6
.LBB1679_29:
	s_or_b64 exec, exec, s[8:9]
	s_and_saveexec_b64 s[8:9], vcc
	s_cbranch_execz .LBB1679_52
; %bb.30:
	v_mov_b32_e32 v15, 0
	ds_read_b32 v6, v15 offset:520
	v_mbcnt_lo_u32_b32 v7, -1, 0
	v_mbcnt_hi_u32_b32 v9, -1, v7
	s_mov_b32 s23, 0
	v_cmp_eq_u32_e64 s[2:3], 0, v9
	s_and_saveexec_b64 s[10:11], s[2:3]
	s_cbranch_execz .LBB1679_32
; %bb.31:
	s_add_i32 s22, s6, 64
	s_lshl_b64 s[22:23], s[22:23], 3
	s_add_u32 s22, s20, s22
	v_mov_b32_e32 v7, 1
	s_addc_u32 s23, s21, s23
	s_waitcnt lgkmcnt(0)
	global_store_dwordx2 v15, v[6:7], s[22:23]
.LBB1679_32:
	s_or_b64 exec, exec, s[10:11]
	v_xad_u32 v8, v9, -1, s6
	v_add_u32_e32 v14, 64, v8
	v_lshlrev_b64 v[10:11], 3, v[14:15]
	v_mov_b32_e32 v7, s21
	v_add_co_u32_e32 v10, vcc, s20, v10
	v_addc_co_u32_e32 v11, vcc, v7, v11, vcc
	global_load_dwordx2 v[12:13], v[10:11], off glc
	s_waitcnt vmcnt(0)
	v_cmp_eq_u16_sdwa s[22:23], v13, v15 src0_sel:BYTE_0 src1_sel:DWORD
	s_and_saveexec_b64 s[10:11], s[22:23]
	s_cbranch_execz .LBB1679_38
; %bb.33:
	s_mov_b32 s7, 1
	s_mov_b64 s[22:23], 0
	v_mov_b32_e32 v7, 0
.LBB1679_34:                            ; =>This Loop Header: Depth=1
                                        ;     Child Loop BB1679_35 Depth 2
	s_max_u32 s26, s7, 1
.LBB1679_35:                            ;   Parent Loop BB1679_34 Depth=1
                                        ; =>  This Inner Loop Header: Depth=2
	s_add_i32 s26, s26, -1
	s_cmp_eq_u32 s26, 0
	s_sleep 1
	s_cbranch_scc0 .LBB1679_35
; %bb.36:                               ;   in Loop: Header=BB1679_34 Depth=1
	global_load_dwordx2 v[12:13], v[10:11], off glc
	s_cmp_lt_u32 s7, 32
	s_cselect_b64 s[26:27], -1, 0
	s_cmp_lg_u64 s[26:27], 0
	s_addc_u32 s7, s7, 0
	s_waitcnt vmcnt(0)
	v_cmp_ne_u16_sdwa s[26:27], v13, v7 src0_sel:BYTE_0 src1_sel:DWORD
	s_or_b64 s[22:23], s[26:27], s[22:23]
	s_andn2_b64 exec, exec, s[22:23]
	s_cbranch_execnz .LBB1679_34
; %bb.37:
	s_or_b64 exec, exec, s[22:23]
.LBB1679_38:
	s_or_b64 exec, exec, s[10:11]
	v_and_b32_e32 v26, 63, v9
	v_mov_b32_e32 v7, 2
	v_cmp_ne_u32_e32 vcc, 63, v26
	v_cmp_eq_u16_sdwa s[10:11], v13, v7 src0_sel:BYTE_0 src1_sel:DWORD
	v_lshlrev_b64 v[10:11], v9, -1
	v_addc_co_u32_e32 v27, vcc, 0, v9, vcc
	v_and_b32_e32 v14, s11, v11
	v_lshlrev_b32_e32 v27, 2, v27
	v_or_b32_e32 v14, 0x80000000, v14
	ds_bpermute_b32 v28, v27, v12
	v_and_b32_e32 v15, s10, v10
	v_ffbl_b32_e32 v14, v14
	v_add_u32_e32 v14, 32, v14
	v_ffbl_b32_e32 v15, v15
	v_min_u32_e32 v14, v15, v14
	v_cmp_lt_u32_e32 vcc, v26, v14
	s_waitcnt lgkmcnt(0)
	v_cndmask_b32_e32 v15, 0, v28, vcc
	v_cmp_gt_u32_e32 vcc, 62, v26
	v_add_u32_e32 v12, v15, v12
	v_cndmask_b32_e64 v15, 0, 1, vcc
	v_lshlrev_b32_e32 v15, 1, v15
	v_add_lshl_u32 v28, v15, v9, 2
	ds_bpermute_b32 v15, v28, v12
	v_add_u32_e32 v29, 2, v26
	v_cmp_le_u32_e32 vcc, v29, v14
	v_add_u32_e32 v31, 4, v26
	v_add_u32_e32 v33, 8, v26
	s_waitcnt lgkmcnt(0)
	v_cndmask_b32_e32 v15, 0, v15, vcc
	v_cmp_gt_u32_e32 vcc, 60, v26
	v_add_u32_e32 v12, v12, v15
	v_cndmask_b32_e64 v15, 0, 1, vcc
	v_lshlrev_b32_e32 v15, 2, v15
	v_add_lshl_u32 v30, v15, v9, 2
	ds_bpermute_b32 v15, v30, v12
	v_cmp_le_u32_e32 vcc, v31, v14
	v_add_u32_e32 v36, 16, v26
	v_add_u32_e32 v38, 32, v26
	s_waitcnt lgkmcnt(0)
	v_cndmask_b32_e32 v15, 0, v15, vcc
	v_cmp_gt_u32_e32 vcc, 56, v26
	v_add_u32_e32 v12, v12, v15
	v_cndmask_b32_e64 v15, 0, 1, vcc
	v_lshlrev_b32_e32 v15, 3, v15
	v_add_lshl_u32 v32, v15, v9, 2
	ds_bpermute_b32 v15, v32, v12
	v_cmp_le_u32_e32 vcc, v33, v14
	s_waitcnt lgkmcnt(0)
	v_cndmask_b32_e32 v15, 0, v15, vcc
	v_cmp_gt_u32_e32 vcc, 48, v26
	v_add_u32_e32 v12, v12, v15
	v_cndmask_b32_e64 v15, 0, 1, vcc
	v_lshlrev_b32_e32 v15, 4, v15
	v_add_lshl_u32 v35, v15, v9, 2
	ds_bpermute_b32 v15, v35, v12
	v_cmp_le_u32_e32 vcc, v36, v14
	;; [unrolled: 9-line block ×3, first 2 shown]
	s_waitcnt lgkmcnt(0)
	v_cndmask_b32_e32 v9, 0, v9, vcc
	v_add_u32_e32 v12, v12, v9
	v_mov_b32_e32 v9, 0
	s_branch .LBB1679_40
.LBB1679_39:                            ;   in Loop: Header=BB1679_40 Depth=1
	s_or_b64 exec, exec, s[10:11]
	v_cmp_eq_u16_sdwa s[10:11], v13, v7 src0_sel:BYTE_0 src1_sel:DWORD
	v_and_b32_e32 v14, s11, v11
	v_or_b32_e32 v14, 0x80000000, v14
	ds_bpermute_b32 v39, v27, v12
	v_and_b32_e32 v15, s10, v10
	v_ffbl_b32_e32 v14, v14
	v_add_u32_e32 v14, 32, v14
	v_ffbl_b32_e32 v15, v15
	v_min_u32_e32 v14, v15, v14
	v_cmp_lt_u32_e32 vcc, v26, v14
	s_waitcnt lgkmcnt(0)
	v_cndmask_b32_e32 v15, 0, v39, vcc
	v_add_u32_e32 v12, v15, v12
	ds_bpermute_b32 v15, v28, v12
	v_cmp_le_u32_e32 vcc, v29, v14
	v_subrev_u32_e32 v8, 64, v8
	s_waitcnt lgkmcnt(0)
	v_cndmask_b32_e32 v15, 0, v15, vcc
	v_add_u32_e32 v12, v12, v15
	ds_bpermute_b32 v15, v30, v12
	v_cmp_le_u32_e32 vcc, v31, v14
	s_waitcnt lgkmcnt(0)
	v_cndmask_b32_e32 v15, 0, v15, vcc
	v_add_u32_e32 v12, v12, v15
	ds_bpermute_b32 v15, v32, v12
	v_cmp_le_u32_e32 vcc, v33, v14
	;; [unrolled: 5-line block ×4, first 2 shown]
	s_waitcnt lgkmcnt(0)
	v_cndmask_b32_e32 v14, 0, v15, vcc
	v_add3_u32 v12, v14, v34, v12
.LBB1679_40:                            ; =>This Loop Header: Depth=1
                                        ;     Child Loop BB1679_43 Depth 2
                                        ;       Child Loop BB1679_44 Depth 3
	v_cmp_ne_u16_sdwa s[10:11], v13, v7 src0_sel:BYTE_0 src1_sel:DWORD
	v_cndmask_b32_e64 v13, 0, 1, s[10:11]
	;;#ASMSTART
	;;#ASMEND
	v_cmp_ne_u32_e32 vcc, 0, v13
	s_cmp_lg_u64 vcc, exec
	v_mov_b32_e32 v34, v12
	s_cbranch_scc1 .LBB1679_47
; %bb.41:                               ;   in Loop: Header=BB1679_40 Depth=1
	v_lshlrev_b64 v[12:13], 3, v[8:9]
	v_mov_b32_e32 v15, s21
	v_add_co_u32_e32 v14, vcc, s20, v12
	v_addc_co_u32_e32 v15, vcc, v15, v13, vcc
	global_load_dwordx2 v[12:13], v[14:15], off glc
	s_waitcnt vmcnt(0)
	v_cmp_eq_u16_sdwa s[22:23], v13, v9 src0_sel:BYTE_0 src1_sel:DWORD
	s_and_saveexec_b64 s[10:11], s[22:23]
	s_cbranch_execz .LBB1679_39
; %bb.42:                               ;   in Loop: Header=BB1679_40 Depth=1
	s_mov_b32 s7, 1
	s_mov_b64 s[22:23], 0
.LBB1679_43:                            ;   Parent Loop BB1679_40 Depth=1
                                        ; =>  This Loop Header: Depth=2
                                        ;       Child Loop BB1679_44 Depth 3
	s_max_u32 s26, s7, 1
.LBB1679_44:                            ;   Parent Loop BB1679_40 Depth=1
                                        ;     Parent Loop BB1679_43 Depth=2
                                        ; =>    This Inner Loop Header: Depth=3
	s_add_i32 s26, s26, -1
	s_cmp_eq_u32 s26, 0
	s_sleep 1
	s_cbranch_scc0 .LBB1679_44
; %bb.45:                               ;   in Loop: Header=BB1679_43 Depth=2
	global_load_dwordx2 v[12:13], v[14:15], off glc
	s_cmp_lt_u32 s7, 32
	s_cselect_b64 s[26:27], -1, 0
	s_cmp_lg_u64 s[26:27], 0
	s_addc_u32 s7, s7, 0
	s_waitcnt vmcnt(0)
	v_cmp_ne_u16_sdwa s[26:27], v13, v9 src0_sel:BYTE_0 src1_sel:DWORD
	s_or_b64 s[22:23], s[26:27], s[22:23]
	s_andn2_b64 exec, exec, s[22:23]
	s_cbranch_execnz .LBB1679_43
; %bb.46:                               ;   in Loop: Header=BB1679_40 Depth=1
	s_or_b64 exec, exec, s[22:23]
	s_branch .LBB1679_39
.LBB1679_47:                            ;   in Loop: Header=BB1679_40 Depth=1
                                        ; implicit-def: $vgpr12
                                        ; implicit-def: $vgpr13
	s_cbranch_execz .LBB1679_40
; %bb.48:
	s_and_saveexec_b64 s[10:11], s[2:3]
	s_cbranch_execz .LBB1679_50
; %bb.49:
	s_add_i32 s2, s6, 64
	s_mov_b32 s3, 0
	s_lshl_b64 s[2:3], s[2:3], 3
	s_add_u32 s2, s20, s2
	v_add_u32_e32 v6, v34, v6
	v_mov_b32_e32 v7, 2
	s_addc_u32 s3, s21, s3
	v_mov_b32_e32 v8, 0
	global_store_dwordx2 v8, v[6:7], s[2:3]
.LBB1679_50:
	s_or_b64 exec, exec, s[10:11]
	s_and_b64 exec, exec, s[0:1]
	s_cbranch_execz .LBB1679_52
; %bb.51:
	v_mov_b32_e32 v6, 0
	ds_write_b32 v6, v34
.LBB1679_52:
	s_or_b64 exec, exec, s[8:9]
	v_mov_b32_e32 v6, 0
	s_waitcnt lgkmcnt(0)
	s_barrier
	ds_read_b32 v6, v6
	s_waitcnt lgkmcnt(0)
	v_add3_u32 v6, v25, v2, v6
	v_add_u32_e32 v7, v6, v3
	v_add_u32_e32 v8, v7, v4
	;; [unrolled: 1-line block ×9, first 2 shown]
	s_load_dwordx8 s[4:11], s[4:5], 0x38
	s_branch .LBB1679_65
.LBB1679_53:
                                        ; implicit-def: $vgpr6_vgpr7_vgpr8_vgpr9_vgpr10_vgpr11_vgpr12_vgpr13_vgpr14_vgpr15
	s_load_dwordx8 s[4:11], s[4:5], 0x38
	s_cbranch_execz .LBB1679_65
; %bb.54:
	s_waitcnt lgkmcnt(0)
	s_cmp_lg_u64 s[8:9], 0
	s_cselect_b64 s[2:3], -1, 0
	v_cmp_eq_u32_e64 s[0:1], 0, v0
	v_cmp_ne_u32_e32 vcc, 0, v0
	s_and_b64 s[8:9], s[0:1], s[2:3]
	v_mov_b32_e32 v12, v3
	v_mov_b32_e32 v13, v4
	;; [unrolled: 1-line block ×3, first 2 shown]
	s_and_saveexec_b64 s[2:3], s[8:9]
	s_cbranch_execz .LBB1679_56
; %bb.55:
	v_mov_b32_e32 v6, 0
	global_load_dword v6, v6, s[4:5]
	v_mov_b32_e32 v12, v3
	v_mov_b32_e32 v13, v4
	;; [unrolled: 1-line block ×3, first 2 shown]
	s_waitcnt vmcnt(0)
	v_add_u32_e32 v2, v6, v2
.LBB1679_56:
	s_or_b64 exec, exec, s[2:3]
	v_add_u32_e32 v3, v12, v2
	v_add_u32_e32 v4, v3, v13
	;; [unrolled: 1-line block ×9, first 2 shown]
	v_add_lshl_u32 v15, v24, v0, 2
	v_cmp_gt_u32_e64 s[2:3], 64, v0
	ds_write_b32 v15, v11
	s_waitcnt lgkmcnt(0)
	s_barrier
	s_and_saveexec_b64 s[4:5], s[2:3]
	s_cbranch_execz .LBB1679_58
; %bb.57:
	v_lshlrev_b32_e32 v15, 1, v0
	v_lshrrev_b32_e32 v24, 4, v0
	v_add_lshl_u32 v15, v24, v15, 2
	ds_read2_b32 v[24:25], v15 offset1:1
	v_mbcnt_lo_u32_b32 v26, -1, 0
	v_mbcnt_hi_u32_b32 v26, -1, v26
	v_and_b32_e32 v27, 15, v26
	v_cmp_ne_u32_e64 s[2:3], 0, v27
	s_waitcnt lgkmcnt(0)
	v_add_u32_e32 v25, v25, v24
	; wave barrier
	s_nop 1
	v_mov_b32_dpp v28, v25 row_shr:1 row_mask:0xf bank_mask:0xf
	v_cndmask_b32_e64 v28, 0, v28, s[2:3]
	v_add_u32_e32 v25, v28, v25
	v_cmp_lt_u32_e64 s[2:3], 1, v27
	s_nop 0
	v_mov_b32_dpp v28, v25 row_shr:2 row_mask:0xf bank_mask:0xf
	v_cndmask_b32_e64 v28, 0, v28, s[2:3]
	v_add_u32_e32 v25, v25, v28
	v_cmp_lt_u32_e64 s[2:3], 3, v27
	;; [unrolled: 5-line block ×3, first 2 shown]
	s_nop 0
	v_mov_b32_dpp v28, v25 row_shr:8 row_mask:0xf bank_mask:0xf
	v_cndmask_b32_e64 v27, 0, v28, s[2:3]
	v_add_u32_e32 v25, v25, v27
	v_bfe_i32 v28, v26, 4, 1
	v_cmp_lt_u32_e64 s[2:3], 31, v26
	v_mov_b32_dpp v27, v25 row_bcast:15 row_mask:0xf bank_mask:0xf
	v_and_b32_e32 v27, v28, v27
	v_add_u32_e32 v25, v25, v27
	v_and_b32_e32 v28, 64, v26
	s_nop 0
	v_mov_b32_dpp v27, v25 row_bcast:31 row_mask:0xf bank_mask:0xf
	v_cndmask_b32_e64 v27, 0, v27, s[2:3]
	v_add_u32_e32 v25, v25, v27
	v_add_u32_e32 v27, -1, v26
	v_cmp_lt_i32_e64 s[2:3], v27, v28
	v_cndmask_b32_e64 v26, v27, v26, s[2:3]
	v_lshlrev_b32_e32 v26, 2, v26
	ds_bpermute_b32 v25, v26, v25
	s_waitcnt lgkmcnt(0)
	v_add_u32_e32 v24, v25, v24
	v_cndmask_b32_e64 v24, v24, v11, s[0:1]
	ds_write_b32 v15, v24
	; wave barrier
	ds_read_b32 v25, v15 offset:4
	s_waitcnt lgkmcnt(0)
	v_add_u32_e32 v24, v25, v24
	ds_write_b32 v15, v24 offset:4
.LBB1679_58:
	s_or_b64 exec, exec, s[4:5]
	v_mov_b32_e32 v15, v11
	s_waitcnt lgkmcnt(0)
	s_barrier
	s_and_saveexec_b64 s[0:1], vcc
	s_cbranch_execz .LBB1679_60
; %bb.59:
	v_add_u32_e32 v15, -1, v0
	v_lshrrev_b32_e32 v24, 5, v15
	v_add_lshl_u32 v15, v24, v15, 2
	ds_read_b32 v15, v15
.LBB1679_60:
	s_or_b64 exec, exec, s[0:1]
	s_and_saveexec_b64 s[0:1], vcc
	s_cbranch_execz .LBB1679_62
; %bb.61:
	s_waitcnt lgkmcnt(0)
	v_add_u32_e32 v2, v15, v2
	v_add_u32_e32 v3, v2, v12
	;; [unrolled: 1-line block ×10, first 2 shown]
	;;#ASMSTART
	;;#ASMEND
.LBB1679_62:
	s_or_b64 exec, exec, s[0:1]
	s_movk_i32 s0, 0x7f
	v_cmp_eq_u32_e32 vcc, s0, v0
	s_and_saveexec_b64 s[0:1], vcc
	s_cbranch_execz .LBB1679_64
; %bb.63:
	v_mov_b32_e32 v14, 0
	v_mov_b32_e32 v13, 2
	;; [unrolled: 1-line block ×3, first 2 shown]
	global_store_dwordx2 v14, v[12:13], s[20:21] offset:512
.LBB1679_64:
	s_or_b64 exec, exec, s[0:1]
	s_waitcnt lgkmcnt(0)
	v_pk_mov_b32 v[14:15], v[10:11], v[10:11] op_sel:[0,1]
	v_pk_mov_b32 v[12:13], v[8:9], v[8:9] op_sel:[0,1]
	;; [unrolled: 1-line block ×5, first 2 shown]
.LBB1679_65:
	s_add_u32 s0, s12, s16
	s_addc_u32 s1, s13, s17
	s_add_u32 s2, s0, s18
	s_addc_u32 s3, s1, s19
	s_mov_b64 s[0:1], -1
	s_and_b64 vcc, exec, s[14:15]
	s_waitcnt lgkmcnt(0)
	s_barrier
	s_cbranch_vccz .LBB1679_67
; %bb.66:
	ds_write2_b64 v1, v[6:7], v[8:9] offset1:1
	ds_write2_b64 v1, v[10:11], v[12:13] offset0:2 offset1:3
	ds_write_b64 v1, v[14:15] offset:32
	s_waitcnt lgkmcnt(0)
	s_barrier
	ds_read2st64_b32 v[2:3], v22 offset1:2
	ds_read2st64_b32 v[4:5], v22 offset0:4 offset1:6
	ds_read2st64_b32 v[16:17], v22 offset0:8 offset1:10
	;; [unrolled: 1-line block ×4, first 2 shown]
	s_waitcnt lgkmcnt(4)
	v_cvt_f32_i32_e32 v2, v2
	v_cvt_f32_i32_e32 v3, v3
	v_mov_b32_e32 v25, s3
	v_add_co_u32_e32 v24, vcc, s2, v22
	s_waitcnt lgkmcnt(3)
	v_cvt_f32_i32_e32 v4, v4
	v_addc_co_u32_e32 v25, vcc, 0, v25, vcc
	v_cvt_f32_i32_e32 v5, v5
	flat_store_dword v[24:25], v2
	flat_store_dword v[24:25], v3 offset:512
	flat_store_dword v[24:25], v4 offset:1024
	flat_store_dword v[24:25], v5 offset:1536
	s_waitcnt lgkmcnt(0)
	v_cvt_f32_i32_e32 v2, v16
	v_cvt_f32_i32_e32 v3, v17
	;; [unrolled: 1-line block ×4, first 2 shown]
	flat_store_dword v[24:25], v2 offset:2048
	flat_store_dword v[24:25], v3 offset:2560
	flat_store_dword v[24:25], v4 offset:3072
	flat_store_dword v[24:25], v5 offset:3584
	v_cvt_f32_i32_e32 v4, v20
	v_cvt_f32_i32_e32 v5, v21
	v_add_co_u32_e32 v2, vcc, 0x1000, v24
	v_addc_co_u32_e32 v3, vcc, 0, v25, vcc
	flat_store_dword v[2:3], v4
	flat_store_dword v[2:3], v5 offset:512
	s_mov_b64 s[0:1], 0
.LBB1679_67:
	s_andn2_b64 vcc, exec, s[0:1]
	s_cbranch_vccnz .LBB1679_123
; %bb.68:
	ds_write2_b64 v1, v[6:7], v[8:9] offset1:1
	ds_write2_b64 v1, v[10:11], v[12:13] offset0:2 offset1:3
	ds_write_b64 v1, v[14:15] offset:32
	s_waitcnt lgkmcnt(0)
	s_barrier
	ds_read2st64_b32 v[2:3], v22 offset1:2
	ds_read2st64_b32 v[6:7], v22 offset0:4 offset1:6
	ds_read2st64_b32 v[4:5], v22 offset0:8 offset1:10
	;; [unrolled: 1-line block ×4, first 2 shown]
	v_mov_b32_e32 v13, s3
	v_add_co_u32_e32 v12, vcc, s2, v22
	v_addc_co_u32_e32 v13, vcc, 0, v13, vcc
	v_mov_b32_e32 v1, 0
	v_cmp_gt_u32_e32 vcc, s24, v0
	s_and_saveexec_b64 s[0:1], vcc
	s_cbranch_execz .LBB1679_70
; %bb.69:
	s_waitcnt lgkmcnt(0)
	v_cvt_f32_i32_e32 v14, v2
	flat_store_dword v[12:13], v14
.LBB1679_70:
	s_or_b64 exec, exec, s[0:1]
	v_or_b32_e32 v14, 0x80, v0
	v_cmp_gt_u32_e32 vcc, s24, v14
	s_and_saveexec_b64 s[0:1], vcc
	s_cbranch_execz .LBB1679_72
; %bb.71:
	s_waitcnt lgkmcnt(0)
	v_cvt_f32_i32_e32 v14, v3
	flat_store_dword v[12:13], v14 offset:512
.LBB1679_72:
	s_or_b64 exec, exec, s[0:1]
	v_or_b32_e32 v14, 0x100, v0
	v_cmp_gt_u32_e32 vcc, s24, v14
	s_and_saveexec_b64 s[0:1], vcc
	s_cbranch_execz .LBB1679_74
; %bb.73:
	s_waitcnt lgkmcnt(0)
	v_cvt_f32_i32_e32 v14, v6
	flat_store_dword v[12:13], v14 offset:1024
.LBB1679_74:
	;; [unrolled: 10-line block ×7, first 2 shown]
	s_or_b64 exec, exec, s[0:1]
	v_or_b32_e32 v14, 0x400, v0
	v_cmp_gt_u32_e32 vcc, s24, v14
	s_and_saveexec_b64 s[0:1], vcc
	s_cbranch_execz .LBB1679_86
; %bb.85:
	s_waitcnt lgkmcnt(0)
	v_cvt_f32_i32_e32 v16, v10
	v_add_co_u32_e32 v14, vcc, 0x1000, v12
	v_addc_co_u32_e32 v15, vcc, 0, v13, vcc
	flat_store_dword v[14:15], v16
.LBB1679_86:
	s_or_b64 exec, exec, s[0:1]
	v_or_b32_e32 v14, 0x480, v0
	v_cmp_gt_u32_e32 vcc, s24, v14
	s_and_saveexec_b64 s[0:1], vcc
	s_cbranch_execz .LBB1679_88
; %bb.87:
	s_waitcnt lgkmcnt(0)
	v_cvt_f32_i32_e32 v14, v11
	v_add_co_u32_e32 v12, vcc, 0x1000, v12
	v_addc_co_u32_e32 v13, vcc, 0, v13, vcc
	flat_store_dword v[12:13], v14 offset:512
.LBB1679_88:
	s_or_b64 exec, exec, s[0:1]
	v_cmp_lt_u64_e64 s[0:1], s[10:11], 2
	s_and_b64 vcc, exec, s[0:1]
	s_cbranch_vccnz .LBB1679_123
; %bb.89:
	s_add_u32 s0, s24, -1
	s_addc_u32 s1, s25, -1
	s_add_u32 s2, 0, 0x99986000
	s_addc_u32 s3, 0, 0x59
	s_add_i32 s3, s3, 0x19999940
	s_mul_hi_u32 s9, s2, -10
	s_sub_i32 s9, s9, s2
	s_mul_i32 s10, s3, -10
	s_mul_i32 s4, s2, -10
	s_add_i32 s9, s9, s10
	s_mul_hi_u32 s5, s3, s4
	s_mul_i32 s8, s3, s4
	s_mul_i32 s11, s2, s9
	s_mul_hi_u32 s4, s2, s4
	s_mul_hi_u32 s10, s2, s9
	s_add_u32 s4, s4, s11
	s_addc_u32 s10, 0, s10
	s_add_u32 s4, s4, s8
	s_mul_hi_u32 s11, s3, s9
	s_addc_u32 s4, s10, s5
	s_addc_u32 s5, s11, 0
	s_mul_i32 s8, s3, s9
	s_add_u32 s4, s4, s8
	v_mov_b32_e32 v12, s4
	s_addc_u32 s5, 0, s5
	v_add_co_u32_e32 v12, vcc, s2, v12
	s_cmp_lg_u64 vcc, 0
	s_addc_u32 s2, s3, s5
	v_readfirstlane_b32 s5, v12
	s_mul_i32 s4, s0, s2
	s_mul_hi_u32 s8, s0, s5
	s_mul_hi_u32 s3, s0, s2
	s_add_u32 s4, s8, s4
	s_addc_u32 s3, 0, s3
	s_mul_hi_u32 s9, s1, s5
	s_mul_i32 s5, s1, s5
	s_add_u32 s4, s4, s5
	s_mul_hi_u32 s8, s1, s2
	s_addc_u32 s3, s3, s9
	s_addc_u32 s4, s8, 0
	s_mul_i32 s2, s1, s2
	s_add_u32 s2, s3, s2
	s_addc_u32 s3, 0, s4
	s_add_u32 s4, s2, 1
	s_addc_u32 s5, s3, 0
	s_add_u32 s8, s2, 2
	s_mul_i32 s10, s3, 10
	s_mul_hi_u32 s11, s2, 10
	s_addc_u32 s9, s3, 0
	s_add_i32 s11, s11, s10
	s_mul_i32 s10, s2, 10
	v_mov_b32_e32 v12, s10
	v_sub_co_u32_e32 v12, vcc, s0, v12
	s_cmp_lg_u64 vcc, 0
	s_subb_u32 s10, s1, s11
	v_subrev_co_u32_e32 v13, vcc, 10, v12
	s_cmp_lg_u64 vcc, 0
	s_subb_u32 s11, s10, 0
	v_readfirstlane_b32 s12, v13
	s_cmp_gt_u32 s12, 9
	s_cselect_b32 s12, -1, 0
	s_cmp_eq_u32 s11, 0
	s_cselect_b32 s11, s12, -1
	s_cmp_lg_u32 s11, 0
	s_cselect_b32 s4, s8, s4
	v_readfirstlane_b32 s8, v12
	s_cselect_b32 s5, s9, s5
	s_cmp_gt_u32 s8, 9
	s_cselect_b32 s8, -1, 0
	s_cmp_eq_u32 s10, 0
	s_cselect_b32 s8, s8, -1
	s_cmp_lg_u32 s8, 0
	s_cselect_b32 s3, s5, s3
	s_cselect_b32 s2, s4, s2
	v_cmp_eq_u64_e32 vcc, s[2:3], v[0:1]
	s_and_saveexec_b64 s[2:3], vcc
	s_cbranch_execz .LBB1679_123
; %bb.90:
	v_mul_hi_u32_u24_e32 v1, 10, v0
	v_mov_b32_e32 v12, s1
	v_sub_co_u32_e32 v0, vcc, s0, v23
	v_subb_co_u32_e32 v1, vcc, v12, v1, vcc
	v_cmp_lt_i64_e32 vcc, 4, v[0:1]
	s_and_saveexec_b64 s[0:1], vcc
	s_xor_b64 s[0:1], exec, s[0:1]
	s_cbranch_execz .LBB1679_108
; %bb.91:
	v_cmp_lt_i64_e32 vcc, 6, v[0:1]
	s_and_saveexec_b64 s[2:3], vcc
	s_xor_b64 s[2:3], exec, s[2:3]
	s_cbranch_execz .LBB1679_101
; %bb.92:
	;; [unrolled: 5-line block ×4, first 2 shown]
	v_mov_b32_e32 v0, 0
	s_waitcnt lgkmcnt(0)
	global_store_dword v0, v11, s[6:7]
                                        ; implicit-def: $vgpr10_vgpr11
.LBB1679_95:
	s_andn2_saveexec_b64 s[8:9], s[8:9]
	s_cbranch_execz .LBB1679_97
; %bb.96:
	v_mov_b32_e32 v0, 0
	s_waitcnt lgkmcnt(0)
	global_store_dword v0, v10, s[6:7]
.LBB1679_97:
	s_or_b64 exec, exec, s[8:9]
                                        ; implicit-def: $vgpr8_vgpr9
.LBB1679_98:
	s_andn2_saveexec_b64 s[4:5], s[4:5]
	s_cbranch_execz .LBB1679_100
; %bb.99:
	v_mov_b32_e32 v0, 0
	s_waitcnt lgkmcnt(0)
	global_store_dword v0, v9, s[6:7]
.LBB1679_100:
	s_or_b64 exec, exec, s[4:5]
                                        ; implicit-def: $vgpr4_vgpr5
                                        ; implicit-def: $vgpr0_vgpr1
                                        ; implicit-def: $vgpr8_vgpr9
.LBB1679_101:
	s_andn2_saveexec_b64 s[2:3], s[2:3]
	s_cbranch_execz .LBB1679_107
; %bb.102:
	v_cmp_lt_i64_e32 vcc, 5, v[0:1]
	s_and_saveexec_b64 s[4:5], vcc
	s_xor_b64 s[4:5], exec, s[4:5]
	s_cbranch_execz .LBB1679_104
; %bb.103:
	v_mov_b32_e32 v0, 0
	s_waitcnt lgkmcnt(0)
	global_store_dword v0, v8, s[6:7]
                                        ; implicit-def: $vgpr4_vgpr5
.LBB1679_104:
	s_andn2_saveexec_b64 s[4:5], s[4:5]
	s_cbranch_execz .LBB1679_106
; %bb.105:
	v_mov_b32_e32 v0, 0
	s_waitcnt lgkmcnt(0)
	global_store_dword v0, v5, s[6:7]
.LBB1679_106:
	s_or_b64 exec, exec, s[4:5]
.LBB1679_107:
	s_or_b64 exec, exec, s[2:3]
                                        ; implicit-def: $vgpr0_vgpr1
                                        ; implicit-def: $vgpr6_vgpr7
                                        ; implicit-def: $vgpr2_vgpr3
                                        ; implicit-def: $vgpr4_vgpr5
.LBB1679_108:
	s_andn2_saveexec_b64 s[0:1], s[0:1]
	s_cbranch_execz .LBB1679_123
; %bb.109:
	v_cmp_lt_i64_e32 vcc, 2, v[0:1]
	s_and_saveexec_b64 s[0:1], vcc
	s_xor_b64 s[0:1], exec, s[0:1]
	s_cbranch_execz .LBB1679_115
; %bb.110:
	v_cmp_lt_i64_e32 vcc, 3, v[0:1]
	s_and_saveexec_b64 s[2:3], vcc
	s_xor_b64 s[2:3], exec, s[2:3]
	s_cbranch_execz .LBB1679_112
; %bb.111:
	v_mov_b32_e32 v0, 0
	s_waitcnt lgkmcnt(0)
	global_store_dword v0, v4, s[6:7]
                                        ; implicit-def: $vgpr6_vgpr7
.LBB1679_112:
	s_andn2_saveexec_b64 s[2:3], s[2:3]
	s_cbranch_execz .LBB1679_114
; %bb.113:
	v_mov_b32_e32 v0, 0
	s_waitcnt lgkmcnt(0)
	global_store_dword v0, v7, s[6:7]
.LBB1679_114:
	s_or_b64 exec, exec, s[2:3]
                                        ; implicit-def: $vgpr0_vgpr1
                                        ; implicit-def: $vgpr6_vgpr7
                                        ; implicit-def: $vgpr2_vgpr3
.LBB1679_115:
	s_andn2_saveexec_b64 s[0:1], s[0:1]
	s_cbranch_execz .LBB1679_123
; %bb.116:
	v_cmp_lt_i64_e32 vcc, 1, v[0:1]
	s_and_saveexec_b64 s[0:1], vcc
	s_xor_b64 s[0:1], exec, s[0:1]
	s_cbranch_execz .LBB1679_118
; %bb.117:
	v_mov_b32_e32 v0, 0
	s_waitcnt lgkmcnt(0)
	global_store_dword v0, v6, s[6:7]
                                        ; implicit-def: $vgpr2_vgpr3
                                        ; implicit-def: $vgpr0_vgpr1
.LBB1679_118:
	s_andn2_saveexec_b64 s[0:1], s[0:1]
	s_cbranch_execz .LBB1679_123
; %bb.119:
	v_cmp_ne_u64_e32 vcc, 1, v[0:1]
	s_and_saveexec_b64 s[0:1], vcc
	s_xor_b64 s[0:1], exec, s[0:1]
	s_cbranch_execz .LBB1679_121
; %bb.120:
	v_mov_b32_e32 v0, 0
	s_waitcnt lgkmcnt(0)
	global_store_dword v0, v2, s[6:7]
                                        ; implicit-def: $vgpr2_vgpr3
.LBB1679_121:
	s_andn2_saveexec_b64 s[0:1], s[0:1]
	s_cbranch_execz .LBB1679_123
; %bb.122:
	v_mov_b32_e32 v0, 0
	s_waitcnt lgkmcnt(0)
	global_store_dword v0, v3, s[6:7]
.LBB1679_123:
	s_endpgm
	.section	.rodata,"a",@progbits
	.p2align	6, 0x0
	.amdhsa_kernel _ZN7rocprim17ROCPRIM_400000_NS6detail17trampoline_kernelINS0_14default_configENS1_20scan_config_selectorIiEEZZNS1_9scan_implILNS1_25lookback_scan_determinismE0ELb0ELb0ES3_N6thrust23THRUST_200600_302600_NS6detail15normal_iteratorINS9_10device_ptrIiEEEENSB_INSC_IfEEEEiNS9_4plusIvEEiEEDaPvRmT3_T4_T5_mT6_P12ihipStream_tbENKUlT_T0_E_clISt17integral_constantIbLb1EESV_IbLb0EEEEDaSR_SS_EUlSR_E_NS1_11comp_targetILNS1_3genE4ELNS1_11target_archE910ELNS1_3gpuE8ELNS1_3repE0EEENS1_30default_config_static_selectorELNS0_4arch9wavefront6targetE1EEEvT1_
		.amdhsa_group_segment_fixed_size 5120
		.amdhsa_private_segment_fixed_size 0
		.amdhsa_kernarg_size 96
		.amdhsa_user_sgpr_count 6
		.amdhsa_user_sgpr_private_segment_buffer 1
		.amdhsa_user_sgpr_dispatch_ptr 0
		.amdhsa_user_sgpr_queue_ptr 0
		.amdhsa_user_sgpr_kernarg_segment_ptr 1
		.amdhsa_user_sgpr_dispatch_id 0
		.amdhsa_user_sgpr_flat_scratch_init 0
		.amdhsa_user_sgpr_kernarg_preload_length 0
		.amdhsa_user_sgpr_kernarg_preload_offset 0
		.amdhsa_user_sgpr_private_segment_size 0
		.amdhsa_uses_dynamic_stack 0
		.amdhsa_system_sgpr_private_segment_wavefront_offset 0
		.amdhsa_system_sgpr_workgroup_id_x 1
		.amdhsa_system_sgpr_workgroup_id_y 0
		.amdhsa_system_sgpr_workgroup_id_z 0
		.amdhsa_system_sgpr_workgroup_info 0
		.amdhsa_system_vgpr_workitem_id 0
		.amdhsa_next_free_vgpr 40
		.amdhsa_next_free_sgpr 28
		.amdhsa_accum_offset 40
		.amdhsa_reserve_vcc 1
		.amdhsa_reserve_flat_scratch 0
		.amdhsa_float_round_mode_32 0
		.amdhsa_float_round_mode_16_64 0
		.amdhsa_float_denorm_mode_32 3
		.amdhsa_float_denorm_mode_16_64 3
		.amdhsa_dx10_clamp 1
		.amdhsa_ieee_mode 1
		.amdhsa_fp16_overflow 0
		.amdhsa_tg_split 0
		.amdhsa_exception_fp_ieee_invalid_op 0
		.amdhsa_exception_fp_denorm_src 0
		.amdhsa_exception_fp_ieee_div_zero 0
		.amdhsa_exception_fp_ieee_overflow 0
		.amdhsa_exception_fp_ieee_underflow 0
		.amdhsa_exception_fp_ieee_inexact 0
		.amdhsa_exception_int_div_zero 0
	.end_amdhsa_kernel
	.section	.text._ZN7rocprim17ROCPRIM_400000_NS6detail17trampoline_kernelINS0_14default_configENS1_20scan_config_selectorIiEEZZNS1_9scan_implILNS1_25lookback_scan_determinismE0ELb0ELb0ES3_N6thrust23THRUST_200600_302600_NS6detail15normal_iteratorINS9_10device_ptrIiEEEENSB_INSC_IfEEEEiNS9_4plusIvEEiEEDaPvRmT3_T4_T5_mT6_P12ihipStream_tbENKUlT_T0_E_clISt17integral_constantIbLb1EESV_IbLb0EEEEDaSR_SS_EUlSR_E_NS1_11comp_targetILNS1_3genE4ELNS1_11target_archE910ELNS1_3gpuE8ELNS1_3repE0EEENS1_30default_config_static_selectorELNS0_4arch9wavefront6targetE1EEEvT1_,"axG",@progbits,_ZN7rocprim17ROCPRIM_400000_NS6detail17trampoline_kernelINS0_14default_configENS1_20scan_config_selectorIiEEZZNS1_9scan_implILNS1_25lookback_scan_determinismE0ELb0ELb0ES3_N6thrust23THRUST_200600_302600_NS6detail15normal_iteratorINS9_10device_ptrIiEEEENSB_INSC_IfEEEEiNS9_4plusIvEEiEEDaPvRmT3_T4_T5_mT6_P12ihipStream_tbENKUlT_T0_E_clISt17integral_constantIbLb1EESV_IbLb0EEEEDaSR_SS_EUlSR_E_NS1_11comp_targetILNS1_3genE4ELNS1_11target_archE910ELNS1_3gpuE8ELNS1_3repE0EEENS1_30default_config_static_selectorELNS0_4arch9wavefront6targetE1EEEvT1_,comdat
.Lfunc_end1679:
	.size	_ZN7rocprim17ROCPRIM_400000_NS6detail17trampoline_kernelINS0_14default_configENS1_20scan_config_selectorIiEEZZNS1_9scan_implILNS1_25lookback_scan_determinismE0ELb0ELb0ES3_N6thrust23THRUST_200600_302600_NS6detail15normal_iteratorINS9_10device_ptrIiEEEENSB_INSC_IfEEEEiNS9_4plusIvEEiEEDaPvRmT3_T4_T5_mT6_P12ihipStream_tbENKUlT_T0_E_clISt17integral_constantIbLb1EESV_IbLb0EEEEDaSR_SS_EUlSR_E_NS1_11comp_targetILNS1_3genE4ELNS1_11target_archE910ELNS1_3gpuE8ELNS1_3repE0EEENS1_30default_config_static_selectorELNS0_4arch9wavefront6targetE1EEEvT1_, .Lfunc_end1679-_ZN7rocprim17ROCPRIM_400000_NS6detail17trampoline_kernelINS0_14default_configENS1_20scan_config_selectorIiEEZZNS1_9scan_implILNS1_25lookback_scan_determinismE0ELb0ELb0ES3_N6thrust23THRUST_200600_302600_NS6detail15normal_iteratorINS9_10device_ptrIiEEEENSB_INSC_IfEEEEiNS9_4plusIvEEiEEDaPvRmT3_T4_T5_mT6_P12ihipStream_tbENKUlT_T0_E_clISt17integral_constantIbLb1EESV_IbLb0EEEEDaSR_SS_EUlSR_E_NS1_11comp_targetILNS1_3genE4ELNS1_11target_archE910ELNS1_3gpuE8ELNS1_3repE0EEENS1_30default_config_static_selectorELNS0_4arch9wavefront6targetE1EEEvT1_
                                        ; -- End function
	.section	.AMDGPU.csdata,"",@progbits
; Kernel info:
; codeLenInByte = 4688
; NumSgprs: 32
; NumVgprs: 40
; NumAgprs: 0
; TotalNumVgprs: 40
; ScratchSize: 0
; MemoryBound: 0
; FloatMode: 240
; IeeeMode: 1
; LDSByteSize: 5120 bytes/workgroup (compile time only)
; SGPRBlocks: 3
; VGPRBlocks: 4
; NumSGPRsForWavesPerEU: 32
; NumVGPRsForWavesPerEU: 40
; AccumOffset: 40
; Occupancy: 6
; WaveLimiterHint : 1
; COMPUTE_PGM_RSRC2:SCRATCH_EN: 0
; COMPUTE_PGM_RSRC2:USER_SGPR: 6
; COMPUTE_PGM_RSRC2:TRAP_HANDLER: 0
; COMPUTE_PGM_RSRC2:TGID_X_EN: 1
; COMPUTE_PGM_RSRC2:TGID_Y_EN: 0
; COMPUTE_PGM_RSRC2:TGID_Z_EN: 0
; COMPUTE_PGM_RSRC2:TIDIG_COMP_CNT: 0
; COMPUTE_PGM_RSRC3_GFX90A:ACCUM_OFFSET: 9
; COMPUTE_PGM_RSRC3_GFX90A:TG_SPLIT: 0
	.section	.text._ZN7rocprim17ROCPRIM_400000_NS6detail17trampoline_kernelINS0_14default_configENS1_20scan_config_selectorIiEEZZNS1_9scan_implILNS1_25lookback_scan_determinismE0ELb0ELb0ES3_N6thrust23THRUST_200600_302600_NS6detail15normal_iteratorINS9_10device_ptrIiEEEENSB_INSC_IfEEEEiNS9_4plusIvEEiEEDaPvRmT3_T4_T5_mT6_P12ihipStream_tbENKUlT_T0_E_clISt17integral_constantIbLb1EESV_IbLb0EEEEDaSR_SS_EUlSR_E_NS1_11comp_targetILNS1_3genE3ELNS1_11target_archE908ELNS1_3gpuE7ELNS1_3repE0EEENS1_30default_config_static_selectorELNS0_4arch9wavefront6targetE1EEEvT1_,"axG",@progbits,_ZN7rocprim17ROCPRIM_400000_NS6detail17trampoline_kernelINS0_14default_configENS1_20scan_config_selectorIiEEZZNS1_9scan_implILNS1_25lookback_scan_determinismE0ELb0ELb0ES3_N6thrust23THRUST_200600_302600_NS6detail15normal_iteratorINS9_10device_ptrIiEEEENSB_INSC_IfEEEEiNS9_4plusIvEEiEEDaPvRmT3_T4_T5_mT6_P12ihipStream_tbENKUlT_T0_E_clISt17integral_constantIbLb1EESV_IbLb0EEEEDaSR_SS_EUlSR_E_NS1_11comp_targetILNS1_3genE3ELNS1_11target_archE908ELNS1_3gpuE7ELNS1_3repE0EEENS1_30default_config_static_selectorELNS0_4arch9wavefront6targetE1EEEvT1_,comdat
	.protected	_ZN7rocprim17ROCPRIM_400000_NS6detail17trampoline_kernelINS0_14default_configENS1_20scan_config_selectorIiEEZZNS1_9scan_implILNS1_25lookback_scan_determinismE0ELb0ELb0ES3_N6thrust23THRUST_200600_302600_NS6detail15normal_iteratorINS9_10device_ptrIiEEEENSB_INSC_IfEEEEiNS9_4plusIvEEiEEDaPvRmT3_T4_T5_mT6_P12ihipStream_tbENKUlT_T0_E_clISt17integral_constantIbLb1EESV_IbLb0EEEEDaSR_SS_EUlSR_E_NS1_11comp_targetILNS1_3genE3ELNS1_11target_archE908ELNS1_3gpuE7ELNS1_3repE0EEENS1_30default_config_static_selectorELNS0_4arch9wavefront6targetE1EEEvT1_ ; -- Begin function _ZN7rocprim17ROCPRIM_400000_NS6detail17trampoline_kernelINS0_14default_configENS1_20scan_config_selectorIiEEZZNS1_9scan_implILNS1_25lookback_scan_determinismE0ELb0ELb0ES3_N6thrust23THRUST_200600_302600_NS6detail15normal_iteratorINS9_10device_ptrIiEEEENSB_INSC_IfEEEEiNS9_4plusIvEEiEEDaPvRmT3_T4_T5_mT6_P12ihipStream_tbENKUlT_T0_E_clISt17integral_constantIbLb1EESV_IbLb0EEEEDaSR_SS_EUlSR_E_NS1_11comp_targetILNS1_3genE3ELNS1_11target_archE908ELNS1_3gpuE7ELNS1_3repE0EEENS1_30default_config_static_selectorELNS0_4arch9wavefront6targetE1EEEvT1_
	.globl	_ZN7rocprim17ROCPRIM_400000_NS6detail17trampoline_kernelINS0_14default_configENS1_20scan_config_selectorIiEEZZNS1_9scan_implILNS1_25lookback_scan_determinismE0ELb0ELb0ES3_N6thrust23THRUST_200600_302600_NS6detail15normal_iteratorINS9_10device_ptrIiEEEENSB_INSC_IfEEEEiNS9_4plusIvEEiEEDaPvRmT3_T4_T5_mT6_P12ihipStream_tbENKUlT_T0_E_clISt17integral_constantIbLb1EESV_IbLb0EEEEDaSR_SS_EUlSR_E_NS1_11comp_targetILNS1_3genE3ELNS1_11target_archE908ELNS1_3gpuE7ELNS1_3repE0EEENS1_30default_config_static_selectorELNS0_4arch9wavefront6targetE1EEEvT1_
	.p2align	8
	.type	_ZN7rocprim17ROCPRIM_400000_NS6detail17trampoline_kernelINS0_14default_configENS1_20scan_config_selectorIiEEZZNS1_9scan_implILNS1_25lookback_scan_determinismE0ELb0ELb0ES3_N6thrust23THRUST_200600_302600_NS6detail15normal_iteratorINS9_10device_ptrIiEEEENSB_INSC_IfEEEEiNS9_4plusIvEEiEEDaPvRmT3_T4_T5_mT6_P12ihipStream_tbENKUlT_T0_E_clISt17integral_constantIbLb1EESV_IbLb0EEEEDaSR_SS_EUlSR_E_NS1_11comp_targetILNS1_3genE3ELNS1_11target_archE908ELNS1_3gpuE7ELNS1_3repE0EEENS1_30default_config_static_selectorELNS0_4arch9wavefront6targetE1EEEvT1_,@function
_ZN7rocprim17ROCPRIM_400000_NS6detail17trampoline_kernelINS0_14default_configENS1_20scan_config_selectorIiEEZZNS1_9scan_implILNS1_25lookback_scan_determinismE0ELb0ELb0ES3_N6thrust23THRUST_200600_302600_NS6detail15normal_iteratorINS9_10device_ptrIiEEEENSB_INSC_IfEEEEiNS9_4plusIvEEiEEDaPvRmT3_T4_T5_mT6_P12ihipStream_tbENKUlT_T0_E_clISt17integral_constantIbLb1EESV_IbLb0EEEEDaSR_SS_EUlSR_E_NS1_11comp_targetILNS1_3genE3ELNS1_11target_archE908ELNS1_3gpuE7ELNS1_3repE0EEENS1_30default_config_static_selectorELNS0_4arch9wavefront6targetE1EEEvT1_: ; @_ZN7rocprim17ROCPRIM_400000_NS6detail17trampoline_kernelINS0_14default_configENS1_20scan_config_selectorIiEEZZNS1_9scan_implILNS1_25lookback_scan_determinismE0ELb0ELb0ES3_N6thrust23THRUST_200600_302600_NS6detail15normal_iteratorINS9_10device_ptrIiEEEENSB_INSC_IfEEEEiNS9_4plusIvEEiEEDaPvRmT3_T4_T5_mT6_P12ihipStream_tbENKUlT_T0_E_clISt17integral_constantIbLb1EESV_IbLb0EEEEDaSR_SS_EUlSR_E_NS1_11comp_targetILNS1_3genE3ELNS1_11target_archE908ELNS1_3gpuE7ELNS1_3repE0EEENS1_30default_config_static_selectorELNS0_4arch9wavefront6targetE1EEEvT1_
; %bb.0:
	.section	.rodata,"a",@progbits
	.p2align	6, 0x0
	.amdhsa_kernel _ZN7rocprim17ROCPRIM_400000_NS6detail17trampoline_kernelINS0_14default_configENS1_20scan_config_selectorIiEEZZNS1_9scan_implILNS1_25lookback_scan_determinismE0ELb0ELb0ES3_N6thrust23THRUST_200600_302600_NS6detail15normal_iteratorINS9_10device_ptrIiEEEENSB_INSC_IfEEEEiNS9_4plusIvEEiEEDaPvRmT3_T4_T5_mT6_P12ihipStream_tbENKUlT_T0_E_clISt17integral_constantIbLb1EESV_IbLb0EEEEDaSR_SS_EUlSR_E_NS1_11comp_targetILNS1_3genE3ELNS1_11target_archE908ELNS1_3gpuE7ELNS1_3repE0EEENS1_30default_config_static_selectorELNS0_4arch9wavefront6targetE1EEEvT1_
		.amdhsa_group_segment_fixed_size 0
		.amdhsa_private_segment_fixed_size 0
		.amdhsa_kernarg_size 96
		.amdhsa_user_sgpr_count 6
		.amdhsa_user_sgpr_private_segment_buffer 1
		.amdhsa_user_sgpr_dispatch_ptr 0
		.amdhsa_user_sgpr_queue_ptr 0
		.amdhsa_user_sgpr_kernarg_segment_ptr 1
		.amdhsa_user_sgpr_dispatch_id 0
		.amdhsa_user_sgpr_flat_scratch_init 0
		.amdhsa_user_sgpr_kernarg_preload_length 0
		.amdhsa_user_sgpr_kernarg_preload_offset 0
		.amdhsa_user_sgpr_private_segment_size 0
		.amdhsa_uses_dynamic_stack 0
		.amdhsa_system_sgpr_private_segment_wavefront_offset 0
		.amdhsa_system_sgpr_workgroup_id_x 1
		.amdhsa_system_sgpr_workgroup_id_y 0
		.amdhsa_system_sgpr_workgroup_id_z 0
		.amdhsa_system_sgpr_workgroup_info 0
		.amdhsa_system_vgpr_workitem_id 0
		.amdhsa_next_free_vgpr 1
		.amdhsa_next_free_sgpr 0
		.amdhsa_accum_offset 4
		.amdhsa_reserve_vcc 0
		.amdhsa_reserve_flat_scratch 0
		.amdhsa_float_round_mode_32 0
		.amdhsa_float_round_mode_16_64 0
		.amdhsa_float_denorm_mode_32 3
		.amdhsa_float_denorm_mode_16_64 3
		.amdhsa_dx10_clamp 1
		.amdhsa_ieee_mode 1
		.amdhsa_fp16_overflow 0
		.amdhsa_tg_split 0
		.amdhsa_exception_fp_ieee_invalid_op 0
		.amdhsa_exception_fp_denorm_src 0
		.amdhsa_exception_fp_ieee_div_zero 0
		.amdhsa_exception_fp_ieee_overflow 0
		.amdhsa_exception_fp_ieee_underflow 0
		.amdhsa_exception_fp_ieee_inexact 0
		.amdhsa_exception_int_div_zero 0
	.end_amdhsa_kernel
	.section	.text._ZN7rocprim17ROCPRIM_400000_NS6detail17trampoline_kernelINS0_14default_configENS1_20scan_config_selectorIiEEZZNS1_9scan_implILNS1_25lookback_scan_determinismE0ELb0ELb0ES3_N6thrust23THRUST_200600_302600_NS6detail15normal_iteratorINS9_10device_ptrIiEEEENSB_INSC_IfEEEEiNS9_4plusIvEEiEEDaPvRmT3_T4_T5_mT6_P12ihipStream_tbENKUlT_T0_E_clISt17integral_constantIbLb1EESV_IbLb0EEEEDaSR_SS_EUlSR_E_NS1_11comp_targetILNS1_3genE3ELNS1_11target_archE908ELNS1_3gpuE7ELNS1_3repE0EEENS1_30default_config_static_selectorELNS0_4arch9wavefront6targetE1EEEvT1_,"axG",@progbits,_ZN7rocprim17ROCPRIM_400000_NS6detail17trampoline_kernelINS0_14default_configENS1_20scan_config_selectorIiEEZZNS1_9scan_implILNS1_25lookback_scan_determinismE0ELb0ELb0ES3_N6thrust23THRUST_200600_302600_NS6detail15normal_iteratorINS9_10device_ptrIiEEEENSB_INSC_IfEEEEiNS9_4plusIvEEiEEDaPvRmT3_T4_T5_mT6_P12ihipStream_tbENKUlT_T0_E_clISt17integral_constantIbLb1EESV_IbLb0EEEEDaSR_SS_EUlSR_E_NS1_11comp_targetILNS1_3genE3ELNS1_11target_archE908ELNS1_3gpuE7ELNS1_3repE0EEENS1_30default_config_static_selectorELNS0_4arch9wavefront6targetE1EEEvT1_,comdat
.Lfunc_end1680:
	.size	_ZN7rocprim17ROCPRIM_400000_NS6detail17trampoline_kernelINS0_14default_configENS1_20scan_config_selectorIiEEZZNS1_9scan_implILNS1_25lookback_scan_determinismE0ELb0ELb0ES3_N6thrust23THRUST_200600_302600_NS6detail15normal_iteratorINS9_10device_ptrIiEEEENSB_INSC_IfEEEEiNS9_4plusIvEEiEEDaPvRmT3_T4_T5_mT6_P12ihipStream_tbENKUlT_T0_E_clISt17integral_constantIbLb1EESV_IbLb0EEEEDaSR_SS_EUlSR_E_NS1_11comp_targetILNS1_3genE3ELNS1_11target_archE908ELNS1_3gpuE7ELNS1_3repE0EEENS1_30default_config_static_selectorELNS0_4arch9wavefront6targetE1EEEvT1_, .Lfunc_end1680-_ZN7rocprim17ROCPRIM_400000_NS6detail17trampoline_kernelINS0_14default_configENS1_20scan_config_selectorIiEEZZNS1_9scan_implILNS1_25lookback_scan_determinismE0ELb0ELb0ES3_N6thrust23THRUST_200600_302600_NS6detail15normal_iteratorINS9_10device_ptrIiEEEENSB_INSC_IfEEEEiNS9_4plusIvEEiEEDaPvRmT3_T4_T5_mT6_P12ihipStream_tbENKUlT_T0_E_clISt17integral_constantIbLb1EESV_IbLb0EEEEDaSR_SS_EUlSR_E_NS1_11comp_targetILNS1_3genE3ELNS1_11target_archE908ELNS1_3gpuE7ELNS1_3repE0EEENS1_30default_config_static_selectorELNS0_4arch9wavefront6targetE1EEEvT1_
                                        ; -- End function
	.section	.AMDGPU.csdata,"",@progbits
; Kernel info:
; codeLenInByte = 0
; NumSgprs: 4
; NumVgprs: 0
; NumAgprs: 0
; TotalNumVgprs: 0
; ScratchSize: 0
; MemoryBound: 0
; FloatMode: 240
; IeeeMode: 1
; LDSByteSize: 0 bytes/workgroup (compile time only)
; SGPRBlocks: 0
; VGPRBlocks: 0
; NumSGPRsForWavesPerEU: 4
; NumVGPRsForWavesPerEU: 1
; AccumOffset: 4
; Occupancy: 8
; WaveLimiterHint : 0
; COMPUTE_PGM_RSRC2:SCRATCH_EN: 0
; COMPUTE_PGM_RSRC2:USER_SGPR: 6
; COMPUTE_PGM_RSRC2:TRAP_HANDLER: 0
; COMPUTE_PGM_RSRC2:TGID_X_EN: 1
; COMPUTE_PGM_RSRC2:TGID_Y_EN: 0
; COMPUTE_PGM_RSRC2:TGID_Z_EN: 0
; COMPUTE_PGM_RSRC2:TIDIG_COMP_CNT: 0
; COMPUTE_PGM_RSRC3_GFX90A:ACCUM_OFFSET: 0
; COMPUTE_PGM_RSRC3_GFX90A:TG_SPLIT: 0
	.section	.text._ZN7rocprim17ROCPRIM_400000_NS6detail17trampoline_kernelINS0_14default_configENS1_20scan_config_selectorIiEEZZNS1_9scan_implILNS1_25lookback_scan_determinismE0ELb0ELb0ES3_N6thrust23THRUST_200600_302600_NS6detail15normal_iteratorINS9_10device_ptrIiEEEENSB_INSC_IfEEEEiNS9_4plusIvEEiEEDaPvRmT3_T4_T5_mT6_P12ihipStream_tbENKUlT_T0_E_clISt17integral_constantIbLb1EESV_IbLb0EEEEDaSR_SS_EUlSR_E_NS1_11comp_targetILNS1_3genE2ELNS1_11target_archE906ELNS1_3gpuE6ELNS1_3repE0EEENS1_30default_config_static_selectorELNS0_4arch9wavefront6targetE1EEEvT1_,"axG",@progbits,_ZN7rocprim17ROCPRIM_400000_NS6detail17trampoline_kernelINS0_14default_configENS1_20scan_config_selectorIiEEZZNS1_9scan_implILNS1_25lookback_scan_determinismE0ELb0ELb0ES3_N6thrust23THRUST_200600_302600_NS6detail15normal_iteratorINS9_10device_ptrIiEEEENSB_INSC_IfEEEEiNS9_4plusIvEEiEEDaPvRmT3_T4_T5_mT6_P12ihipStream_tbENKUlT_T0_E_clISt17integral_constantIbLb1EESV_IbLb0EEEEDaSR_SS_EUlSR_E_NS1_11comp_targetILNS1_3genE2ELNS1_11target_archE906ELNS1_3gpuE6ELNS1_3repE0EEENS1_30default_config_static_selectorELNS0_4arch9wavefront6targetE1EEEvT1_,comdat
	.protected	_ZN7rocprim17ROCPRIM_400000_NS6detail17trampoline_kernelINS0_14default_configENS1_20scan_config_selectorIiEEZZNS1_9scan_implILNS1_25lookback_scan_determinismE0ELb0ELb0ES3_N6thrust23THRUST_200600_302600_NS6detail15normal_iteratorINS9_10device_ptrIiEEEENSB_INSC_IfEEEEiNS9_4plusIvEEiEEDaPvRmT3_T4_T5_mT6_P12ihipStream_tbENKUlT_T0_E_clISt17integral_constantIbLb1EESV_IbLb0EEEEDaSR_SS_EUlSR_E_NS1_11comp_targetILNS1_3genE2ELNS1_11target_archE906ELNS1_3gpuE6ELNS1_3repE0EEENS1_30default_config_static_selectorELNS0_4arch9wavefront6targetE1EEEvT1_ ; -- Begin function _ZN7rocprim17ROCPRIM_400000_NS6detail17trampoline_kernelINS0_14default_configENS1_20scan_config_selectorIiEEZZNS1_9scan_implILNS1_25lookback_scan_determinismE0ELb0ELb0ES3_N6thrust23THRUST_200600_302600_NS6detail15normal_iteratorINS9_10device_ptrIiEEEENSB_INSC_IfEEEEiNS9_4plusIvEEiEEDaPvRmT3_T4_T5_mT6_P12ihipStream_tbENKUlT_T0_E_clISt17integral_constantIbLb1EESV_IbLb0EEEEDaSR_SS_EUlSR_E_NS1_11comp_targetILNS1_3genE2ELNS1_11target_archE906ELNS1_3gpuE6ELNS1_3repE0EEENS1_30default_config_static_selectorELNS0_4arch9wavefront6targetE1EEEvT1_
	.globl	_ZN7rocprim17ROCPRIM_400000_NS6detail17trampoline_kernelINS0_14default_configENS1_20scan_config_selectorIiEEZZNS1_9scan_implILNS1_25lookback_scan_determinismE0ELb0ELb0ES3_N6thrust23THRUST_200600_302600_NS6detail15normal_iteratorINS9_10device_ptrIiEEEENSB_INSC_IfEEEEiNS9_4plusIvEEiEEDaPvRmT3_T4_T5_mT6_P12ihipStream_tbENKUlT_T0_E_clISt17integral_constantIbLb1EESV_IbLb0EEEEDaSR_SS_EUlSR_E_NS1_11comp_targetILNS1_3genE2ELNS1_11target_archE906ELNS1_3gpuE6ELNS1_3repE0EEENS1_30default_config_static_selectorELNS0_4arch9wavefront6targetE1EEEvT1_
	.p2align	8
	.type	_ZN7rocprim17ROCPRIM_400000_NS6detail17trampoline_kernelINS0_14default_configENS1_20scan_config_selectorIiEEZZNS1_9scan_implILNS1_25lookback_scan_determinismE0ELb0ELb0ES3_N6thrust23THRUST_200600_302600_NS6detail15normal_iteratorINS9_10device_ptrIiEEEENSB_INSC_IfEEEEiNS9_4plusIvEEiEEDaPvRmT3_T4_T5_mT6_P12ihipStream_tbENKUlT_T0_E_clISt17integral_constantIbLb1EESV_IbLb0EEEEDaSR_SS_EUlSR_E_NS1_11comp_targetILNS1_3genE2ELNS1_11target_archE906ELNS1_3gpuE6ELNS1_3repE0EEENS1_30default_config_static_selectorELNS0_4arch9wavefront6targetE1EEEvT1_,@function
_ZN7rocprim17ROCPRIM_400000_NS6detail17trampoline_kernelINS0_14default_configENS1_20scan_config_selectorIiEEZZNS1_9scan_implILNS1_25lookback_scan_determinismE0ELb0ELb0ES3_N6thrust23THRUST_200600_302600_NS6detail15normal_iteratorINS9_10device_ptrIiEEEENSB_INSC_IfEEEEiNS9_4plusIvEEiEEDaPvRmT3_T4_T5_mT6_P12ihipStream_tbENKUlT_T0_E_clISt17integral_constantIbLb1EESV_IbLb0EEEEDaSR_SS_EUlSR_E_NS1_11comp_targetILNS1_3genE2ELNS1_11target_archE906ELNS1_3gpuE6ELNS1_3repE0EEENS1_30default_config_static_selectorELNS0_4arch9wavefront6targetE1EEEvT1_: ; @_ZN7rocprim17ROCPRIM_400000_NS6detail17trampoline_kernelINS0_14default_configENS1_20scan_config_selectorIiEEZZNS1_9scan_implILNS1_25lookback_scan_determinismE0ELb0ELb0ES3_N6thrust23THRUST_200600_302600_NS6detail15normal_iteratorINS9_10device_ptrIiEEEENSB_INSC_IfEEEEiNS9_4plusIvEEiEEDaPvRmT3_T4_T5_mT6_P12ihipStream_tbENKUlT_T0_E_clISt17integral_constantIbLb1EESV_IbLb0EEEEDaSR_SS_EUlSR_E_NS1_11comp_targetILNS1_3genE2ELNS1_11target_archE906ELNS1_3gpuE6ELNS1_3repE0EEENS1_30default_config_static_selectorELNS0_4arch9wavefront6targetE1EEEvT1_
; %bb.0:
	.section	.rodata,"a",@progbits
	.p2align	6, 0x0
	.amdhsa_kernel _ZN7rocprim17ROCPRIM_400000_NS6detail17trampoline_kernelINS0_14default_configENS1_20scan_config_selectorIiEEZZNS1_9scan_implILNS1_25lookback_scan_determinismE0ELb0ELb0ES3_N6thrust23THRUST_200600_302600_NS6detail15normal_iteratorINS9_10device_ptrIiEEEENSB_INSC_IfEEEEiNS9_4plusIvEEiEEDaPvRmT3_T4_T5_mT6_P12ihipStream_tbENKUlT_T0_E_clISt17integral_constantIbLb1EESV_IbLb0EEEEDaSR_SS_EUlSR_E_NS1_11comp_targetILNS1_3genE2ELNS1_11target_archE906ELNS1_3gpuE6ELNS1_3repE0EEENS1_30default_config_static_selectorELNS0_4arch9wavefront6targetE1EEEvT1_
		.amdhsa_group_segment_fixed_size 0
		.amdhsa_private_segment_fixed_size 0
		.amdhsa_kernarg_size 96
		.amdhsa_user_sgpr_count 6
		.amdhsa_user_sgpr_private_segment_buffer 1
		.amdhsa_user_sgpr_dispatch_ptr 0
		.amdhsa_user_sgpr_queue_ptr 0
		.amdhsa_user_sgpr_kernarg_segment_ptr 1
		.amdhsa_user_sgpr_dispatch_id 0
		.amdhsa_user_sgpr_flat_scratch_init 0
		.amdhsa_user_sgpr_kernarg_preload_length 0
		.amdhsa_user_sgpr_kernarg_preload_offset 0
		.amdhsa_user_sgpr_private_segment_size 0
		.amdhsa_uses_dynamic_stack 0
		.amdhsa_system_sgpr_private_segment_wavefront_offset 0
		.amdhsa_system_sgpr_workgroup_id_x 1
		.amdhsa_system_sgpr_workgroup_id_y 0
		.amdhsa_system_sgpr_workgroup_id_z 0
		.amdhsa_system_sgpr_workgroup_info 0
		.amdhsa_system_vgpr_workitem_id 0
		.amdhsa_next_free_vgpr 1
		.amdhsa_next_free_sgpr 0
		.amdhsa_accum_offset 4
		.amdhsa_reserve_vcc 0
		.amdhsa_reserve_flat_scratch 0
		.amdhsa_float_round_mode_32 0
		.amdhsa_float_round_mode_16_64 0
		.amdhsa_float_denorm_mode_32 3
		.amdhsa_float_denorm_mode_16_64 3
		.amdhsa_dx10_clamp 1
		.amdhsa_ieee_mode 1
		.amdhsa_fp16_overflow 0
		.amdhsa_tg_split 0
		.amdhsa_exception_fp_ieee_invalid_op 0
		.amdhsa_exception_fp_denorm_src 0
		.amdhsa_exception_fp_ieee_div_zero 0
		.amdhsa_exception_fp_ieee_overflow 0
		.amdhsa_exception_fp_ieee_underflow 0
		.amdhsa_exception_fp_ieee_inexact 0
		.amdhsa_exception_int_div_zero 0
	.end_amdhsa_kernel
	.section	.text._ZN7rocprim17ROCPRIM_400000_NS6detail17trampoline_kernelINS0_14default_configENS1_20scan_config_selectorIiEEZZNS1_9scan_implILNS1_25lookback_scan_determinismE0ELb0ELb0ES3_N6thrust23THRUST_200600_302600_NS6detail15normal_iteratorINS9_10device_ptrIiEEEENSB_INSC_IfEEEEiNS9_4plusIvEEiEEDaPvRmT3_T4_T5_mT6_P12ihipStream_tbENKUlT_T0_E_clISt17integral_constantIbLb1EESV_IbLb0EEEEDaSR_SS_EUlSR_E_NS1_11comp_targetILNS1_3genE2ELNS1_11target_archE906ELNS1_3gpuE6ELNS1_3repE0EEENS1_30default_config_static_selectorELNS0_4arch9wavefront6targetE1EEEvT1_,"axG",@progbits,_ZN7rocprim17ROCPRIM_400000_NS6detail17trampoline_kernelINS0_14default_configENS1_20scan_config_selectorIiEEZZNS1_9scan_implILNS1_25lookback_scan_determinismE0ELb0ELb0ES3_N6thrust23THRUST_200600_302600_NS6detail15normal_iteratorINS9_10device_ptrIiEEEENSB_INSC_IfEEEEiNS9_4plusIvEEiEEDaPvRmT3_T4_T5_mT6_P12ihipStream_tbENKUlT_T0_E_clISt17integral_constantIbLb1EESV_IbLb0EEEEDaSR_SS_EUlSR_E_NS1_11comp_targetILNS1_3genE2ELNS1_11target_archE906ELNS1_3gpuE6ELNS1_3repE0EEENS1_30default_config_static_selectorELNS0_4arch9wavefront6targetE1EEEvT1_,comdat
.Lfunc_end1681:
	.size	_ZN7rocprim17ROCPRIM_400000_NS6detail17trampoline_kernelINS0_14default_configENS1_20scan_config_selectorIiEEZZNS1_9scan_implILNS1_25lookback_scan_determinismE0ELb0ELb0ES3_N6thrust23THRUST_200600_302600_NS6detail15normal_iteratorINS9_10device_ptrIiEEEENSB_INSC_IfEEEEiNS9_4plusIvEEiEEDaPvRmT3_T4_T5_mT6_P12ihipStream_tbENKUlT_T0_E_clISt17integral_constantIbLb1EESV_IbLb0EEEEDaSR_SS_EUlSR_E_NS1_11comp_targetILNS1_3genE2ELNS1_11target_archE906ELNS1_3gpuE6ELNS1_3repE0EEENS1_30default_config_static_selectorELNS0_4arch9wavefront6targetE1EEEvT1_, .Lfunc_end1681-_ZN7rocprim17ROCPRIM_400000_NS6detail17trampoline_kernelINS0_14default_configENS1_20scan_config_selectorIiEEZZNS1_9scan_implILNS1_25lookback_scan_determinismE0ELb0ELb0ES3_N6thrust23THRUST_200600_302600_NS6detail15normal_iteratorINS9_10device_ptrIiEEEENSB_INSC_IfEEEEiNS9_4plusIvEEiEEDaPvRmT3_T4_T5_mT6_P12ihipStream_tbENKUlT_T0_E_clISt17integral_constantIbLb1EESV_IbLb0EEEEDaSR_SS_EUlSR_E_NS1_11comp_targetILNS1_3genE2ELNS1_11target_archE906ELNS1_3gpuE6ELNS1_3repE0EEENS1_30default_config_static_selectorELNS0_4arch9wavefront6targetE1EEEvT1_
                                        ; -- End function
	.section	.AMDGPU.csdata,"",@progbits
; Kernel info:
; codeLenInByte = 0
; NumSgprs: 4
; NumVgprs: 0
; NumAgprs: 0
; TotalNumVgprs: 0
; ScratchSize: 0
; MemoryBound: 0
; FloatMode: 240
; IeeeMode: 1
; LDSByteSize: 0 bytes/workgroup (compile time only)
; SGPRBlocks: 0
; VGPRBlocks: 0
; NumSGPRsForWavesPerEU: 4
; NumVGPRsForWavesPerEU: 1
; AccumOffset: 4
; Occupancy: 8
; WaveLimiterHint : 0
; COMPUTE_PGM_RSRC2:SCRATCH_EN: 0
; COMPUTE_PGM_RSRC2:USER_SGPR: 6
; COMPUTE_PGM_RSRC2:TRAP_HANDLER: 0
; COMPUTE_PGM_RSRC2:TGID_X_EN: 1
; COMPUTE_PGM_RSRC2:TGID_Y_EN: 0
; COMPUTE_PGM_RSRC2:TGID_Z_EN: 0
; COMPUTE_PGM_RSRC2:TIDIG_COMP_CNT: 0
; COMPUTE_PGM_RSRC3_GFX90A:ACCUM_OFFSET: 0
; COMPUTE_PGM_RSRC3_GFX90A:TG_SPLIT: 0
	.section	.text._ZN7rocprim17ROCPRIM_400000_NS6detail17trampoline_kernelINS0_14default_configENS1_20scan_config_selectorIiEEZZNS1_9scan_implILNS1_25lookback_scan_determinismE0ELb0ELb0ES3_N6thrust23THRUST_200600_302600_NS6detail15normal_iteratorINS9_10device_ptrIiEEEENSB_INSC_IfEEEEiNS9_4plusIvEEiEEDaPvRmT3_T4_T5_mT6_P12ihipStream_tbENKUlT_T0_E_clISt17integral_constantIbLb1EESV_IbLb0EEEEDaSR_SS_EUlSR_E_NS1_11comp_targetILNS1_3genE10ELNS1_11target_archE1201ELNS1_3gpuE5ELNS1_3repE0EEENS1_30default_config_static_selectorELNS0_4arch9wavefront6targetE1EEEvT1_,"axG",@progbits,_ZN7rocprim17ROCPRIM_400000_NS6detail17trampoline_kernelINS0_14default_configENS1_20scan_config_selectorIiEEZZNS1_9scan_implILNS1_25lookback_scan_determinismE0ELb0ELb0ES3_N6thrust23THRUST_200600_302600_NS6detail15normal_iteratorINS9_10device_ptrIiEEEENSB_INSC_IfEEEEiNS9_4plusIvEEiEEDaPvRmT3_T4_T5_mT6_P12ihipStream_tbENKUlT_T0_E_clISt17integral_constantIbLb1EESV_IbLb0EEEEDaSR_SS_EUlSR_E_NS1_11comp_targetILNS1_3genE10ELNS1_11target_archE1201ELNS1_3gpuE5ELNS1_3repE0EEENS1_30default_config_static_selectorELNS0_4arch9wavefront6targetE1EEEvT1_,comdat
	.protected	_ZN7rocprim17ROCPRIM_400000_NS6detail17trampoline_kernelINS0_14default_configENS1_20scan_config_selectorIiEEZZNS1_9scan_implILNS1_25lookback_scan_determinismE0ELb0ELb0ES3_N6thrust23THRUST_200600_302600_NS6detail15normal_iteratorINS9_10device_ptrIiEEEENSB_INSC_IfEEEEiNS9_4plusIvEEiEEDaPvRmT3_T4_T5_mT6_P12ihipStream_tbENKUlT_T0_E_clISt17integral_constantIbLb1EESV_IbLb0EEEEDaSR_SS_EUlSR_E_NS1_11comp_targetILNS1_3genE10ELNS1_11target_archE1201ELNS1_3gpuE5ELNS1_3repE0EEENS1_30default_config_static_selectorELNS0_4arch9wavefront6targetE1EEEvT1_ ; -- Begin function _ZN7rocprim17ROCPRIM_400000_NS6detail17trampoline_kernelINS0_14default_configENS1_20scan_config_selectorIiEEZZNS1_9scan_implILNS1_25lookback_scan_determinismE0ELb0ELb0ES3_N6thrust23THRUST_200600_302600_NS6detail15normal_iteratorINS9_10device_ptrIiEEEENSB_INSC_IfEEEEiNS9_4plusIvEEiEEDaPvRmT3_T4_T5_mT6_P12ihipStream_tbENKUlT_T0_E_clISt17integral_constantIbLb1EESV_IbLb0EEEEDaSR_SS_EUlSR_E_NS1_11comp_targetILNS1_3genE10ELNS1_11target_archE1201ELNS1_3gpuE5ELNS1_3repE0EEENS1_30default_config_static_selectorELNS0_4arch9wavefront6targetE1EEEvT1_
	.globl	_ZN7rocprim17ROCPRIM_400000_NS6detail17trampoline_kernelINS0_14default_configENS1_20scan_config_selectorIiEEZZNS1_9scan_implILNS1_25lookback_scan_determinismE0ELb0ELb0ES3_N6thrust23THRUST_200600_302600_NS6detail15normal_iteratorINS9_10device_ptrIiEEEENSB_INSC_IfEEEEiNS9_4plusIvEEiEEDaPvRmT3_T4_T5_mT6_P12ihipStream_tbENKUlT_T0_E_clISt17integral_constantIbLb1EESV_IbLb0EEEEDaSR_SS_EUlSR_E_NS1_11comp_targetILNS1_3genE10ELNS1_11target_archE1201ELNS1_3gpuE5ELNS1_3repE0EEENS1_30default_config_static_selectorELNS0_4arch9wavefront6targetE1EEEvT1_
	.p2align	8
	.type	_ZN7rocprim17ROCPRIM_400000_NS6detail17trampoline_kernelINS0_14default_configENS1_20scan_config_selectorIiEEZZNS1_9scan_implILNS1_25lookback_scan_determinismE0ELb0ELb0ES3_N6thrust23THRUST_200600_302600_NS6detail15normal_iteratorINS9_10device_ptrIiEEEENSB_INSC_IfEEEEiNS9_4plusIvEEiEEDaPvRmT3_T4_T5_mT6_P12ihipStream_tbENKUlT_T0_E_clISt17integral_constantIbLb1EESV_IbLb0EEEEDaSR_SS_EUlSR_E_NS1_11comp_targetILNS1_3genE10ELNS1_11target_archE1201ELNS1_3gpuE5ELNS1_3repE0EEENS1_30default_config_static_selectorELNS0_4arch9wavefront6targetE1EEEvT1_,@function
_ZN7rocprim17ROCPRIM_400000_NS6detail17trampoline_kernelINS0_14default_configENS1_20scan_config_selectorIiEEZZNS1_9scan_implILNS1_25lookback_scan_determinismE0ELb0ELb0ES3_N6thrust23THRUST_200600_302600_NS6detail15normal_iteratorINS9_10device_ptrIiEEEENSB_INSC_IfEEEEiNS9_4plusIvEEiEEDaPvRmT3_T4_T5_mT6_P12ihipStream_tbENKUlT_T0_E_clISt17integral_constantIbLb1EESV_IbLb0EEEEDaSR_SS_EUlSR_E_NS1_11comp_targetILNS1_3genE10ELNS1_11target_archE1201ELNS1_3gpuE5ELNS1_3repE0EEENS1_30default_config_static_selectorELNS0_4arch9wavefront6targetE1EEEvT1_: ; @_ZN7rocprim17ROCPRIM_400000_NS6detail17trampoline_kernelINS0_14default_configENS1_20scan_config_selectorIiEEZZNS1_9scan_implILNS1_25lookback_scan_determinismE0ELb0ELb0ES3_N6thrust23THRUST_200600_302600_NS6detail15normal_iteratorINS9_10device_ptrIiEEEENSB_INSC_IfEEEEiNS9_4plusIvEEiEEDaPvRmT3_T4_T5_mT6_P12ihipStream_tbENKUlT_T0_E_clISt17integral_constantIbLb1EESV_IbLb0EEEEDaSR_SS_EUlSR_E_NS1_11comp_targetILNS1_3genE10ELNS1_11target_archE1201ELNS1_3gpuE5ELNS1_3repE0EEENS1_30default_config_static_selectorELNS0_4arch9wavefront6targetE1EEEvT1_
; %bb.0:
	.section	.rodata,"a",@progbits
	.p2align	6, 0x0
	.amdhsa_kernel _ZN7rocprim17ROCPRIM_400000_NS6detail17trampoline_kernelINS0_14default_configENS1_20scan_config_selectorIiEEZZNS1_9scan_implILNS1_25lookback_scan_determinismE0ELb0ELb0ES3_N6thrust23THRUST_200600_302600_NS6detail15normal_iteratorINS9_10device_ptrIiEEEENSB_INSC_IfEEEEiNS9_4plusIvEEiEEDaPvRmT3_T4_T5_mT6_P12ihipStream_tbENKUlT_T0_E_clISt17integral_constantIbLb1EESV_IbLb0EEEEDaSR_SS_EUlSR_E_NS1_11comp_targetILNS1_3genE10ELNS1_11target_archE1201ELNS1_3gpuE5ELNS1_3repE0EEENS1_30default_config_static_selectorELNS0_4arch9wavefront6targetE1EEEvT1_
		.amdhsa_group_segment_fixed_size 0
		.amdhsa_private_segment_fixed_size 0
		.amdhsa_kernarg_size 96
		.amdhsa_user_sgpr_count 6
		.amdhsa_user_sgpr_private_segment_buffer 1
		.amdhsa_user_sgpr_dispatch_ptr 0
		.amdhsa_user_sgpr_queue_ptr 0
		.amdhsa_user_sgpr_kernarg_segment_ptr 1
		.amdhsa_user_sgpr_dispatch_id 0
		.amdhsa_user_sgpr_flat_scratch_init 0
		.amdhsa_user_sgpr_kernarg_preload_length 0
		.amdhsa_user_sgpr_kernarg_preload_offset 0
		.amdhsa_user_sgpr_private_segment_size 0
		.amdhsa_uses_dynamic_stack 0
		.amdhsa_system_sgpr_private_segment_wavefront_offset 0
		.amdhsa_system_sgpr_workgroup_id_x 1
		.amdhsa_system_sgpr_workgroup_id_y 0
		.amdhsa_system_sgpr_workgroup_id_z 0
		.amdhsa_system_sgpr_workgroup_info 0
		.amdhsa_system_vgpr_workitem_id 0
		.amdhsa_next_free_vgpr 1
		.amdhsa_next_free_sgpr 0
		.amdhsa_accum_offset 4
		.amdhsa_reserve_vcc 0
		.amdhsa_reserve_flat_scratch 0
		.amdhsa_float_round_mode_32 0
		.amdhsa_float_round_mode_16_64 0
		.amdhsa_float_denorm_mode_32 3
		.amdhsa_float_denorm_mode_16_64 3
		.amdhsa_dx10_clamp 1
		.amdhsa_ieee_mode 1
		.amdhsa_fp16_overflow 0
		.amdhsa_tg_split 0
		.amdhsa_exception_fp_ieee_invalid_op 0
		.amdhsa_exception_fp_denorm_src 0
		.amdhsa_exception_fp_ieee_div_zero 0
		.amdhsa_exception_fp_ieee_overflow 0
		.amdhsa_exception_fp_ieee_underflow 0
		.amdhsa_exception_fp_ieee_inexact 0
		.amdhsa_exception_int_div_zero 0
	.end_amdhsa_kernel
	.section	.text._ZN7rocprim17ROCPRIM_400000_NS6detail17trampoline_kernelINS0_14default_configENS1_20scan_config_selectorIiEEZZNS1_9scan_implILNS1_25lookback_scan_determinismE0ELb0ELb0ES3_N6thrust23THRUST_200600_302600_NS6detail15normal_iteratorINS9_10device_ptrIiEEEENSB_INSC_IfEEEEiNS9_4plusIvEEiEEDaPvRmT3_T4_T5_mT6_P12ihipStream_tbENKUlT_T0_E_clISt17integral_constantIbLb1EESV_IbLb0EEEEDaSR_SS_EUlSR_E_NS1_11comp_targetILNS1_3genE10ELNS1_11target_archE1201ELNS1_3gpuE5ELNS1_3repE0EEENS1_30default_config_static_selectorELNS0_4arch9wavefront6targetE1EEEvT1_,"axG",@progbits,_ZN7rocprim17ROCPRIM_400000_NS6detail17trampoline_kernelINS0_14default_configENS1_20scan_config_selectorIiEEZZNS1_9scan_implILNS1_25lookback_scan_determinismE0ELb0ELb0ES3_N6thrust23THRUST_200600_302600_NS6detail15normal_iteratorINS9_10device_ptrIiEEEENSB_INSC_IfEEEEiNS9_4plusIvEEiEEDaPvRmT3_T4_T5_mT6_P12ihipStream_tbENKUlT_T0_E_clISt17integral_constantIbLb1EESV_IbLb0EEEEDaSR_SS_EUlSR_E_NS1_11comp_targetILNS1_3genE10ELNS1_11target_archE1201ELNS1_3gpuE5ELNS1_3repE0EEENS1_30default_config_static_selectorELNS0_4arch9wavefront6targetE1EEEvT1_,comdat
.Lfunc_end1682:
	.size	_ZN7rocprim17ROCPRIM_400000_NS6detail17trampoline_kernelINS0_14default_configENS1_20scan_config_selectorIiEEZZNS1_9scan_implILNS1_25lookback_scan_determinismE0ELb0ELb0ES3_N6thrust23THRUST_200600_302600_NS6detail15normal_iteratorINS9_10device_ptrIiEEEENSB_INSC_IfEEEEiNS9_4plusIvEEiEEDaPvRmT3_T4_T5_mT6_P12ihipStream_tbENKUlT_T0_E_clISt17integral_constantIbLb1EESV_IbLb0EEEEDaSR_SS_EUlSR_E_NS1_11comp_targetILNS1_3genE10ELNS1_11target_archE1201ELNS1_3gpuE5ELNS1_3repE0EEENS1_30default_config_static_selectorELNS0_4arch9wavefront6targetE1EEEvT1_, .Lfunc_end1682-_ZN7rocprim17ROCPRIM_400000_NS6detail17trampoline_kernelINS0_14default_configENS1_20scan_config_selectorIiEEZZNS1_9scan_implILNS1_25lookback_scan_determinismE0ELb0ELb0ES3_N6thrust23THRUST_200600_302600_NS6detail15normal_iteratorINS9_10device_ptrIiEEEENSB_INSC_IfEEEEiNS9_4plusIvEEiEEDaPvRmT3_T4_T5_mT6_P12ihipStream_tbENKUlT_T0_E_clISt17integral_constantIbLb1EESV_IbLb0EEEEDaSR_SS_EUlSR_E_NS1_11comp_targetILNS1_3genE10ELNS1_11target_archE1201ELNS1_3gpuE5ELNS1_3repE0EEENS1_30default_config_static_selectorELNS0_4arch9wavefront6targetE1EEEvT1_
                                        ; -- End function
	.section	.AMDGPU.csdata,"",@progbits
; Kernel info:
; codeLenInByte = 0
; NumSgprs: 4
; NumVgprs: 0
; NumAgprs: 0
; TotalNumVgprs: 0
; ScratchSize: 0
; MemoryBound: 0
; FloatMode: 240
; IeeeMode: 1
; LDSByteSize: 0 bytes/workgroup (compile time only)
; SGPRBlocks: 0
; VGPRBlocks: 0
; NumSGPRsForWavesPerEU: 4
; NumVGPRsForWavesPerEU: 1
; AccumOffset: 4
; Occupancy: 8
; WaveLimiterHint : 0
; COMPUTE_PGM_RSRC2:SCRATCH_EN: 0
; COMPUTE_PGM_RSRC2:USER_SGPR: 6
; COMPUTE_PGM_RSRC2:TRAP_HANDLER: 0
; COMPUTE_PGM_RSRC2:TGID_X_EN: 1
; COMPUTE_PGM_RSRC2:TGID_Y_EN: 0
; COMPUTE_PGM_RSRC2:TGID_Z_EN: 0
; COMPUTE_PGM_RSRC2:TIDIG_COMP_CNT: 0
; COMPUTE_PGM_RSRC3_GFX90A:ACCUM_OFFSET: 0
; COMPUTE_PGM_RSRC3_GFX90A:TG_SPLIT: 0
	.section	.text._ZN7rocprim17ROCPRIM_400000_NS6detail17trampoline_kernelINS0_14default_configENS1_20scan_config_selectorIiEEZZNS1_9scan_implILNS1_25lookback_scan_determinismE0ELb0ELb0ES3_N6thrust23THRUST_200600_302600_NS6detail15normal_iteratorINS9_10device_ptrIiEEEENSB_INSC_IfEEEEiNS9_4plusIvEEiEEDaPvRmT3_T4_T5_mT6_P12ihipStream_tbENKUlT_T0_E_clISt17integral_constantIbLb1EESV_IbLb0EEEEDaSR_SS_EUlSR_E_NS1_11comp_targetILNS1_3genE10ELNS1_11target_archE1200ELNS1_3gpuE4ELNS1_3repE0EEENS1_30default_config_static_selectorELNS0_4arch9wavefront6targetE1EEEvT1_,"axG",@progbits,_ZN7rocprim17ROCPRIM_400000_NS6detail17trampoline_kernelINS0_14default_configENS1_20scan_config_selectorIiEEZZNS1_9scan_implILNS1_25lookback_scan_determinismE0ELb0ELb0ES3_N6thrust23THRUST_200600_302600_NS6detail15normal_iteratorINS9_10device_ptrIiEEEENSB_INSC_IfEEEEiNS9_4plusIvEEiEEDaPvRmT3_T4_T5_mT6_P12ihipStream_tbENKUlT_T0_E_clISt17integral_constantIbLb1EESV_IbLb0EEEEDaSR_SS_EUlSR_E_NS1_11comp_targetILNS1_3genE10ELNS1_11target_archE1200ELNS1_3gpuE4ELNS1_3repE0EEENS1_30default_config_static_selectorELNS0_4arch9wavefront6targetE1EEEvT1_,comdat
	.protected	_ZN7rocprim17ROCPRIM_400000_NS6detail17trampoline_kernelINS0_14default_configENS1_20scan_config_selectorIiEEZZNS1_9scan_implILNS1_25lookback_scan_determinismE0ELb0ELb0ES3_N6thrust23THRUST_200600_302600_NS6detail15normal_iteratorINS9_10device_ptrIiEEEENSB_INSC_IfEEEEiNS9_4plusIvEEiEEDaPvRmT3_T4_T5_mT6_P12ihipStream_tbENKUlT_T0_E_clISt17integral_constantIbLb1EESV_IbLb0EEEEDaSR_SS_EUlSR_E_NS1_11comp_targetILNS1_3genE10ELNS1_11target_archE1200ELNS1_3gpuE4ELNS1_3repE0EEENS1_30default_config_static_selectorELNS0_4arch9wavefront6targetE1EEEvT1_ ; -- Begin function _ZN7rocprim17ROCPRIM_400000_NS6detail17trampoline_kernelINS0_14default_configENS1_20scan_config_selectorIiEEZZNS1_9scan_implILNS1_25lookback_scan_determinismE0ELb0ELb0ES3_N6thrust23THRUST_200600_302600_NS6detail15normal_iteratorINS9_10device_ptrIiEEEENSB_INSC_IfEEEEiNS9_4plusIvEEiEEDaPvRmT3_T4_T5_mT6_P12ihipStream_tbENKUlT_T0_E_clISt17integral_constantIbLb1EESV_IbLb0EEEEDaSR_SS_EUlSR_E_NS1_11comp_targetILNS1_3genE10ELNS1_11target_archE1200ELNS1_3gpuE4ELNS1_3repE0EEENS1_30default_config_static_selectorELNS0_4arch9wavefront6targetE1EEEvT1_
	.globl	_ZN7rocprim17ROCPRIM_400000_NS6detail17trampoline_kernelINS0_14default_configENS1_20scan_config_selectorIiEEZZNS1_9scan_implILNS1_25lookback_scan_determinismE0ELb0ELb0ES3_N6thrust23THRUST_200600_302600_NS6detail15normal_iteratorINS9_10device_ptrIiEEEENSB_INSC_IfEEEEiNS9_4plusIvEEiEEDaPvRmT3_T4_T5_mT6_P12ihipStream_tbENKUlT_T0_E_clISt17integral_constantIbLb1EESV_IbLb0EEEEDaSR_SS_EUlSR_E_NS1_11comp_targetILNS1_3genE10ELNS1_11target_archE1200ELNS1_3gpuE4ELNS1_3repE0EEENS1_30default_config_static_selectorELNS0_4arch9wavefront6targetE1EEEvT1_
	.p2align	8
	.type	_ZN7rocprim17ROCPRIM_400000_NS6detail17trampoline_kernelINS0_14default_configENS1_20scan_config_selectorIiEEZZNS1_9scan_implILNS1_25lookback_scan_determinismE0ELb0ELb0ES3_N6thrust23THRUST_200600_302600_NS6detail15normal_iteratorINS9_10device_ptrIiEEEENSB_INSC_IfEEEEiNS9_4plusIvEEiEEDaPvRmT3_T4_T5_mT6_P12ihipStream_tbENKUlT_T0_E_clISt17integral_constantIbLb1EESV_IbLb0EEEEDaSR_SS_EUlSR_E_NS1_11comp_targetILNS1_3genE10ELNS1_11target_archE1200ELNS1_3gpuE4ELNS1_3repE0EEENS1_30default_config_static_selectorELNS0_4arch9wavefront6targetE1EEEvT1_,@function
_ZN7rocprim17ROCPRIM_400000_NS6detail17trampoline_kernelINS0_14default_configENS1_20scan_config_selectorIiEEZZNS1_9scan_implILNS1_25lookback_scan_determinismE0ELb0ELb0ES3_N6thrust23THRUST_200600_302600_NS6detail15normal_iteratorINS9_10device_ptrIiEEEENSB_INSC_IfEEEEiNS9_4plusIvEEiEEDaPvRmT3_T4_T5_mT6_P12ihipStream_tbENKUlT_T0_E_clISt17integral_constantIbLb1EESV_IbLb0EEEEDaSR_SS_EUlSR_E_NS1_11comp_targetILNS1_3genE10ELNS1_11target_archE1200ELNS1_3gpuE4ELNS1_3repE0EEENS1_30default_config_static_selectorELNS0_4arch9wavefront6targetE1EEEvT1_: ; @_ZN7rocprim17ROCPRIM_400000_NS6detail17trampoline_kernelINS0_14default_configENS1_20scan_config_selectorIiEEZZNS1_9scan_implILNS1_25lookback_scan_determinismE0ELb0ELb0ES3_N6thrust23THRUST_200600_302600_NS6detail15normal_iteratorINS9_10device_ptrIiEEEENSB_INSC_IfEEEEiNS9_4plusIvEEiEEDaPvRmT3_T4_T5_mT6_P12ihipStream_tbENKUlT_T0_E_clISt17integral_constantIbLb1EESV_IbLb0EEEEDaSR_SS_EUlSR_E_NS1_11comp_targetILNS1_3genE10ELNS1_11target_archE1200ELNS1_3gpuE4ELNS1_3repE0EEENS1_30default_config_static_selectorELNS0_4arch9wavefront6targetE1EEEvT1_
; %bb.0:
	.section	.rodata,"a",@progbits
	.p2align	6, 0x0
	.amdhsa_kernel _ZN7rocprim17ROCPRIM_400000_NS6detail17trampoline_kernelINS0_14default_configENS1_20scan_config_selectorIiEEZZNS1_9scan_implILNS1_25lookback_scan_determinismE0ELb0ELb0ES3_N6thrust23THRUST_200600_302600_NS6detail15normal_iteratorINS9_10device_ptrIiEEEENSB_INSC_IfEEEEiNS9_4plusIvEEiEEDaPvRmT3_T4_T5_mT6_P12ihipStream_tbENKUlT_T0_E_clISt17integral_constantIbLb1EESV_IbLb0EEEEDaSR_SS_EUlSR_E_NS1_11comp_targetILNS1_3genE10ELNS1_11target_archE1200ELNS1_3gpuE4ELNS1_3repE0EEENS1_30default_config_static_selectorELNS0_4arch9wavefront6targetE1EEEvT1_
		.amdhsa_group_segment_fixed_size 0
		.amdhsa_private_segment_fixed_size 0
		.amdhsa_kernarg_size 96
		.amdhsa_user_sgpr_count 6
		.amdhsa_user_sgpr_private_segment_buffer 1
		.amdhsa_user_sgpr_dispatch_ptr 0
		.amdhsa_user_sgpr_queue_ptr 0
		.amdhsa_user_sgpr_kernarg_segment_ptr 1
		.amdhsa_user_sgpr_dispatch_id 0
		.amdhsa_user_sgpr_flat_scratch_init 0
		.amdhsa_user_sgpr_kernarg_preload_length 0
		.amdhsa_user_sgpr_kernarg_preload_offset 0
		.amdhsa_user_sgpr_private_segment_size 0
		.amdhsa_uses_dynamic_stack 0
		.amdhsa_system_sgpr_private_segment_wavefront_offset 0
		.amdhsa_system_sgpr_workgroup_id_x 1
		.amdhsa_system_sgpr_workgroup_id_y 0
		.amdhsa_system_sgpr_workgroup_id_z 0
		.amdhsa_system_sgpr_workgroup_info 0
		.amdhsa_system_vgpr_workitem_id 0
		.amdhsa_next_free_vgpr 1
		.amdhsa_next_free_sgpr 0
		.amdhsa_accum_offset 4
		.amdhsa_reserve_vcc 0
		.amdhsa_reserve_flat_scratch 0
		.amdhsa_float_round_mode_32 0
		.amdhsa_float_round_mode_16_64 0
		.amdhsa_float_denorm_mode_32 3
		.amdhsa_float_denorm_mode_16_64 3
		.amdhsa_dx10_clamp 1
		.amdhsa_ieee_mode 1
		.amdhsa_fp16_overflow 0
		.amdhsa_tg_split 0
		.amdhsa_exception_fp_ieee_invalid_op 0
		.amdhsa_exception_fp_denorm_src 0
		.amdhsa_exception_fp_ieee_div_zero 0
		.amdhsa_exception_fp_ieee_overflow 0
		.amdhsa_exception_fp_ieee_underflow 0
		.amdhsa_exception_fp_ieee_inexact 0
		.amdhsa_exception_int_div_zero 0
	.end_amdhsa_kernel
	.section	.text._ZN7rocprim17ROCPRIM_400000_NS6detail17trampoline_kernelINS0_14default_configENS1_20scan_config_selectorIiEEZZNS1_9scan_implILNS1_25lookback_scan_determinismE0ELb0ELb0ES3_N6thrust23THRUST_200600_302600_NS6detail15normal_iteratorINS9_10device_ptrIiEEEENSB_INSC_IfEEEEiNS9_4plusIvEEiEEDaPvRmT3_T4_T5_mT6_P12ihipStream_tbENKUlT_T0_E_clISt17integral_constantIbLb1EESV_IbLb0EEEEDaSR_SS_EUlSR_E_NS1_11comp_targetILNS1_3genE10ELNS1_11target_archE1200ELNS1_3gpuE4ELNS1_3repE0EEENS1_30default_config_static_selectorELNS0_4arch9wavefront6targetE1EEEvT1_,"axG",@progbits,_ZN7rocprim17ROCPRIM_400000_NS6detail17trampoline_kernelINS0_14default_configENS1_20scan_config_selectorIiEEZZNS1_9scan_implILNS1_25lookback_scan_determinismE0ELb0ELb0ES3_N6thrust23THRUST_200600_302600_NS6detail15normal_iteratorINS9_10device_ptrIiEEEENSB_INSC_IfEEEEiNS9_4plusIvEEiEEDaPvRmT3_T4_T5_mT6_P12ihipStream_tbENKUlT_T0_E_clISt17integral_constantIbLb1EESV_IbLb0EEEEDaSR_SS_EUlSR_E_NS1_11comp_targetILNS1_3genE10ELNS1_11target_archE1200ELNS1_3gpuE4ELNS1_3repE0EEENS1_30default_config_static_selectorELNS0_4arch9wavefront6targetE1EEEvT1_,comdat
.Lfunc_end1683:
	.size	_ZN7rocprim17ROCPRIM_400000_NS6detail17trampoline_kernelINS0_14default_configENS1_20scan_config_selectorIiEEZZNS1_9scan_implILNS1_25lookback_scan_determinismE0ELb0ELb0ES3_N6thrust23THRUST_200600_302600_NS6detail15normal_iteratorINS9_10device_ptrIiEEEENSB_INSC_IfEEEEiNS9_4plusIvEEiEEDaPvRmT3_T4_T5_mT6_P12ihipStream_tbENKUlT_T0_E_clISt17integral_constantIbLb1EESV_IbLb0EEEEDaSR_SS_EUlSR_E_NS1_11comp_targetILNS1_3genE10ELNS1_11target_archE1200ELNS1_3gpuE4ELNS1_3repE0EEENS1_30default_config_static_selectorELNS0_4arch9wavefront6targetE1EEEvT1_, .Lfunc_end1683-_ZN7rocprim17ROCPRIM_400000_NS6detail17trampoline_kernelINS0_14default_configENS1_20scan_config_selectorIiEEZZNS1_9scan_implILNS1_25lookback_scan_determinismE0ELb0ELb0ES3_N6thrust23THRUST_200600_302600_NS6detail15normal_iteratorINS9_10device_ptrIiEEEENSB_INSC_IfEEEEiNS9_4plusIvEEiEEDaPvRmT3_T4_T5_mT6_P12ihipStream_tbENKUlT_T0_E_clISt17integral_constantIbLb1EESV_IbLb0EEEEDaSR_SS_EUlSR_E_NS1_11comp_targetILNS1_3genE10ELNS1_11target_archE1200ELNS1_3gpuE4ELNS1_3repE0EEENS1_30default_config_static_selectorELNS0_4arch9wavefront6targetE1EEEvT1_
                                        ; -- End function
	.section	.AMDGPU.csdata,"",@progbits
; Kernel info:
; codeLenInByte = 0
; NumSgprs: 4
; NumVgprs: 0
; NumAgprs: 0
; TotalNumVgprs: 0
; ScratchSize: 0
; MemoryBound: 0
; FloatMode: 240
; IeeeMode: 1
; LDSByteSize: 0 bytes/workgroup (compile time only)
; SGPRBlocks: 0
; VGPRBlocks: 0
; NumSGPRsForWavesPerEU: 4
; NumVGPRsForWavesPerEU: 1
; AccumOffset: 4
; Occupancy: 8
; WaveLimiterHint : 0
; COMPUTE_PGM_RSRC2:SCRATCH_EN: 0
; COMPUTE_PGM_RSRC2:USER_SGPR: 6
; COMPUTE_PGM_RSRC2:TRAP_HANDLER: 0
; COMPUTE_PGM_RSRC2:TGID_X_EN: 1
; COMPUTE_PGM_RSRC2:TGID_Y_EN: 0
; COMPUTE_PGM_RSRC2:TGID_Z_EN: 0
; COMPUTE_PGM_RSRC2:TIDIG_COMP_CNT: 0
; COMPUTE_PGM_RSRC3_GFX90A:ACCUM_OFFSET: 0
; COMPUTE_PGM_RSRC3_GFX90A:TG_SPLIT: 0
	.section	.text._ZN7rocprim17ROCPRIM_400000_NS6detail17trampoline_kernelINS0_14default_configENS1_20scan_config_selectorIiEEZZNS1_9scan_implILNS1_25lookback_scan_determinismE0ELb0ELb0ES3_N6thrust23THRUST_200600_302600_NS6detail15normal_iteratorINS9_10device_ptrIiEEEENSB_INSC_IfEEEEiNS9_4plusIvEEiEEDaPvRmT3_T4_T5_mT6_P12ihipStream_tbENKUlT_T0_E_clISt17integral_constantIbLb1EESV_IbLb0EEEEDaSR_SS_EUlSR_E_NS1_11comp_targetILNS1_3genE9ELNS1_11target_archE1100ELNS1_3gpuE3ELNS1_3repE0EEENS1_30default_config_static_selectorELNS0_4arch9wavefront6targetE1EEEvT1_,"axG",@progbits,_ZN7rocprim17ROCPRIM_400000_NS6detail17trampoline_kernelINS0_14default_configENS1_20scan_config_selectorIiEEZZNS1_9scan_implILNS1_25lookback_scan_determinismE0ELb0ELb0ES3_N6thrust23THRUST_200600_302600_NS6detail15normal_iteratorINS9_10device_ptrIiEEEENSB_INSC_IfEEEEiNS9_4plusIvEEiEEDaPvRmT3_T4_T5_mT6_P12ihipStream_tbENKUlT_T0_E_clISt17integral_constantIbLb1EESV_IbLb0EEEEDaSR_SS_EUlSR_E_NS1_11comp_targetILNS1_3genE9ELNS1_11target_archE1100ELNS1_3gpuE3ELNS1_3repE0EEENS1_30default_config_static_selectorELNS0_4arch9wavefront6targetE1EEEvT1_,comdat
	.protected	_ZN7rocprim17ROCPRIM_400000_NS6detail17trampoline_kernelINS0_14default_configENS1_20scan_config_selectorIiEEZZNS1_9scan_implILNS1_25lookback_scan_determinismE0ELb0ELb0ES3_N6thrust23THRUST_200600_302600_NS6detail15normal_iteratorINS9_10device_ptrIiEEEENSB_INSC_IfEEEEiNS9_4plusIvEEiEEDaPvRmT3_T4_T5_mT6_P12ihipStream_tbENKUlT_T0_E_clISt17integral_constantIbLb1EESV_IbLb0EEEEDaSR_SS_EUlSR_E_NS1_11comp_targetILNS1_3genE9ELNS1_11target_archE1100ELNS1_3gpuE3ELNS1_3repE0EEENS1_30default_config_static_selectorELNS0_4arch9wavefront6targetE1EEEvT1_ ; -- Begin function _ZN7rocprim17ROCPRIM_400000_NS6detail17trampoline_kernelINS0_14default_configENS1_20scan_config_selectorIiEEZZNS1_9scan_implILNS1_25lookback_scan_determinismE0ELb0ELb0ES3_N6thrust23THRUST_200600_302600_NS6detail15normal_iteratorINS9_10device_ptrIiEEEENSB_INSC_IfEEEEiNS9_4plusIvEEiEEDaPvRmT3_T4_T5_mT6_P12ihipStream_tbENKUlT_T0_E_clISt17integral_constantIbLb1EESV_IbLb0EEEEDaSR_SS_EUlSR_E_NS1_11comp_targetILNS1_3genE9ELNS1_11target_archE1100ELNS1_3gpuE3ELNS1_3repE0EEENS1_30default_config_static_selectorELNS0_4arch9wavefront6targetE1EEEvT1_
	.globl	_ZN7rocprim17ROCPRIM_400000_NS6detail17trampoline_kernelINS0_14default_configENS1_20scan_config_selectorIiEEZZNS1_9scan_implILNS1_25lookback_scan_determinismE0ELb0ELb0ES3_N6thrust23THRUST_200600_302600_NS6detail15normal_iteratorINS9_10device_ptrIiEEEENSB_INSC_IfEEEEiNS9_4plusIvEEiEEDaPvRmT3_T4_T5_mT6_P12ihipStream_tbENKUlT_T0_E_clISt17integral_constantIbLb1EESV_IbLb0EEEEDaSR_SS_EUlSR_E_NS1_11comp_targetILNS1_3genE9ELNS1_11target_archE1100ELNS1_3gpuE3ELNS1_3repE0EEENS1_30default_config_static_selectorELNS0_4arch9wavefront6targetE1EEEvT1_
	.p2align	8
	.type	_ZN7rocprim17ROCPRIM_400000_NS6detail17trampoline_kernelINS0_14default_configENS1_20scan_config_selectorIiEEZZNS1_9scan_implILNS1_25lookback_scan_determinismE0ELb0ELb0ES3_N6thrust23THRUST_200600_302600_NS6detail15normal_iteratorINS9_10device_ptrIiEEEENSB_INSC_IfEEEEiNS9_4plusIvEEiEEDaPvRmT3_T4_T5_mT6_P12ihipStream_tbENKUlT_T0_E_clISt17integral_constantIbLb1EESV_IbLb0EEEEDaSR_SS_EUlSR_E_NS1_11comp_targetILNS1_3genE9ELNS1_11target_archE1100ELNS1_3gpuE3ELNS1_3repE0EEENS1_30default_config_static_selectorELNS0_4arch9wavefront6targetE1EEEvT1_,@function
_ZN7rocprim17ROCPRIM_400000_NS6detail17trampoline_kernelINS0_14default_configENS1_20scan_config_selectorIiEEZZNS1_9scan_implILNS1_25lookback_scan_determinismE0ELb0ELb0ES3_N6thrust23THRUST_200600_302600_NS6detail15normal_iteratorINS9_10device_ptrIiEEEENSB_INSC_IfEEEEiNS9_4plusIvEEiEEDaPvRmT3_T4_T5_mT6_P12ihipStream_tbENKUlT_T0_E_clISt17integral_constantIbLb1EESV_IbLb0EEEEDaSR_SS_EUlSR_E_NS1_11comp_targetILNS1_3genE9ELNS1_11target_archE1100ELNS1_3gpuE3ELNS1_3repE0EEENS1_30default_config_static_selectorELNS0_4arch9wavefront6targetE1EEEvT1_: ; @_ZN7rocprim17ROCPRIM_400000_NS6detail17trampoline_kernelINS0_14default_configENS1_20scan_config_selectorIiEEZZNS1_9scan_implILNS1_25lookback_scan_determinismE0ELb0ELb0ES3_N6thrust23THRUST_200600_302600_NS6detail15normal_iteratorINS9_10device_ptrIiEEEENSB_INSC_IfEEEEiNS9_4plusIvEEiEEDaPvRmT3_T4_T5_mT6_P12ihipStream_tbENKUlT_T0_E_clISt17integral_constantIbLb1EESV_IbLb0EEEEDaSR_SS_EUlSR_E_NS1_11comp_targetILNS1_3genE9ELNS1_11target_archE1100ELNS1_3gpuE3ELNS1_3repE0EEENS1_30default_config_static_selectorELNS0_4arch9wavefront6targetE1EEEvT1_
; %bb.0:
	.section	.rodata,"a",@progbits
	.p2align	6, 0x0
	.amdhsa_kernel _ZN7rocprim17ROCPRIM_400000_NS6detail17trampoline_kernelINS0_14default_configENS1_20scan_config_selectorIiEEZZNS1_9scan_implILNS1_25lookback_scan_determinismE0ELb0ELb0ES3_N6thrust23THRUST_200600_302600_NS6detail15normal_iteratorINS9_10device_ptrIiEEEENSB_INSC_IfEEEEiNS9_4plusIvEEiEEDaPvRmT3_T4_T5_mT6_P12ihipStream_tbENKUlT_T0_E_clISt17integral_constantIbLb1EESV_IbLb0EEEEDaSR_SS_EUlSR_E_NS1_11comp_targetILNS1_3genE9ELNS1_11target_archE1100ELNS1_3gpuE3ELNS1_3repE0EEENS1_30default_config_static_selectorELNS0_4arch9wavefront6targetE1EEEvT1_
		.amdhsa_group_segment_fixed_size 0
		.amdhsa_private_segment_fixed_size 0
		.amdhsa_kernarg_size 96
		.amdhsa_user_sgpr_count 6
		.amdhsa_user_sgpr_private_segment_buffer 1
		.amdhsa_user_sgpr_dispatch_ptr 0
		.amdhsa_user_sgpr_queue_ptr 0
		.amdhsa_user_sgpr_kernarg_segment_ptr 1
		.amdhsa_user_sgpr_dispatch_id 0
		.amdhsa_user_sgpr_flat_scratch_init 0
		.amdhsa_user_sgpr_kernarg_preload_length 0
		.amdhsa_user_sgpr_kernarg_preload_offset 0
		.amdhsa_user_sgpr_private_segment_size 0
		.amdhsa_uses_dynamic_stack 0
		.amdhsa_system_sgpr_private_segment_wavefront_offset 0
		.amdhsa_system_sgpr_workgroup_id_x 1
		.amdhsa_system_sgpr_workgroup_id_y 0
		.amdhsa_system_sgpr_workgroup_id_z 0
		.amdhsa_system_sgpr_workgroup_info 0
		.amdhsa_system_vgpr_workitem_id 0
		.amdhsa_next_free_vgpr 1
		.amdhsa_next_free_sgpr 0
		.amdhsa_accum_offset 4
		.amdhsa_reserve_vcc 0
		.amdhsa_reserve_flat_scratch 0
		.amdhsa_float_round_mode_32 0
		.amdhsa_float_round_mode_16_64 0
		.amdhsa_float_denorm_mode_32 3
		.amdhsa_float_denorm_mode_16_64 3
		.amdhsa_dx10_clamp 1
		.amdhsa_ieee_mode 1
		.amdhsa_fp16_overflow 0
		.amdhsa_tg_split 0
		.amdhsa_exception_fp_ieee_invalid_op 0
		.amdhsa_exception_fp_denorm_src 0
		.amdhsa_exception_fp_ieee_div_zero 0
		.amdhsa_exception_fp_ieee_overflow 0
		.amdhsa_exception_fp_ieee_underflow 0
		.amdhsa_exception_fp_ieee_inexact 0
		.amdhsa_exception_int_div_zero 0
	.end_amdhsa_kernel
	.section	.text._ZN7rocprim17ROCPRIM_400000_NS6detail17trampoline_kernelINS0_14default_configENS1_20scan_config_selectorIiEEZZNS1_9scan_implILNS1_25lookback_scan_determinismE0ELb0ELb0ES3_N6thrust23THRUST_200600_302600_NS6detail15normal_iteratorINS9_10device_ptrIiEEEENSB_INSC_IfEEEEiNS9_4plusIvEEiEEDaPvRmT3_T4_T5_mT6_P12ihipStream_tbENKUlT_T0_E_clISt17integral_constantIbLb1EESV_IbLb0EEEEDaSR_SS_EUlSR_E_NS1_11comp_targetILNS1_3genE9ELNS1_11target_archE1100ELNS1_3gpuE3ELNS1_3repE0EEENS1_30default_config_static_selectorELNS0_4arch9wavefront6targetE1EEEvT1_,"axG",@progbits,_ZN7rocprim17ROCPRIM_400000_NS6detail17trampoline_kernelINS0_14default_configENS1_20scan_config_selectorIiEEZZNS1_9scan_implILNS1_25lookback_scan_determinismE0ELb0ELb0ES3_N6thrust23THRUST_200600_302600_NS6detail15normal_iteratorINS9_10device_ptrIiEEEENSB_INSC_IfEEEEiNS9_4plusIvEEiEEDaPvRmT3_T4_T5_mT6_P12ihipStream_tbENKUlT_T0_E_clISt17integral_constantIbLb1EESV_IbLb0EEEEDaSR_SS_EUlSR_E_NS1_11comp_targetILNS1_3genE9ELNS1_11target_archE1100ELNS1_3gpuE3ELNS1_3repE0EEENS1_30default_config_static_selectorELNS0_4arch9wavefront6targetE1EEEvT1_,comdat
.Lfunc_end1684:
	.size	_ZN7rocprim17ROCPRIM_400000_NS6detail17trampoline_kernelINS0_14default_configENS1_20scan_config_selectorIiEEZZNS1_9scan_implILNS1_25lookback_scan_determinismE0ELb0ELb0ES3_N6thrust23THRUST_200600_302600_NS6detail15normal_iteratorINS9_10device_ptrIiEEEENSB_INSC_IfEEEEiNS9_4plusIvEEiEEDaPvRmT3_T4_T5_mT6_P12ihipStream_tbENKUlT_T0_E_clISt17integral_constantIbLb1EESV_IbLb0EEEEDaSR_SS_EUlSR_E_NS1_11comp_targetILNS1_3genE9ELNS1_11target_archE1100ELNS1_3gpuE3ELNS1_3repE0EEENS1_30default_config_static_selectorELNS0_4arch9wavefront6targetE1EEEvT1_, .Lfunc_end1684-_ZN7rocprim17ROCPRIM_400000_NS6detail17trampoline_kernelINS0_14default_configENS1_20scan_config_selectorIiEEZZNS1_9scan_implILNS1_25lookback_scan_determinismE0ELb0ELb0ES3_N6thrust23THRUST_200600_302600_NS6detail15normal_iteratorINS9_10device_ptrIiEEEENSB_INSC_IfEEEEiNS9_4plusIvEEiEEDaPvRmT3_T4_T5_mT6_P12ihipStream_tbENKUlT_T0_E_clISt17integral_constantIbLb1EESV_IbLb0EEEEDaSR_SS_EUlSR_E_NS1_11comp_targetILNS1_3genE9ELNS1_11target_archE1100ELNS1_3gpuE3ELNS1_3repE0EEENS1_30default_config_static_selectorELNS0_4arch9wavefront6targetE1EEEvT1_
                                        ; -- End function
	.section	.AMDGPU.csdata,"",@progbits
; Kernel info:
; codeLenInByte = 0
; NumSgprs: 4
; NumVgprs: 0
; NumAgprs: 0
; TotalNumVgprs: 0
; ScratchSize: 0
; MemoryBound: 0
; FloatMode: 240
; IeeeMode: 1
; LDSByteSize: 0 bytes/workgroup (compile time only)
; SGPRBlocks: 0
; VGPRBlocks: 0
; NumSGPRsForWavesPerEU: 4
; NumVGPRsForWavesPerEU: 1
; AccumOffset: 4
; Occupancy: 8
; WaveLimiterHint : 0
; COMPUTE_PGM_RSRC2:SCRATCH_EN: 0
; COMPUTE_PGM_RSRC2:USER_SGPR: 6
; COMPUTE_PGM_RSRC2:TRAP_HANDLER: 0
; COMPUTE_PGM_RSRC2:TGID_X_EN: 1
; COMPUTE_PGM_RSRC2:TGID_Y_EN: 0
; COMPUTE_PGM_RSRC2:TGID_Z_EN: 0
; COMPUTE_PGM_RSRC2:TIDIG_COMP_CNT: 0
; COMPUTE_PGM_RSRC3_GFX90A:ACCUM_OFFSET: 0
; COMPUTE_PGM_RSRC3_GFX90A:TG_SPLIT: 0
	.section	.text._ZN7rocprim17ROCPRIM_400000_NS6detail17trampoline_kernelINS0_14default_configENS1_20scan_config_selectorIiEEZZNS1_9scan_implILNS1_25lookback_scan_determinismE0ELb0ELb0ES3_N6thrust23THRUST_200600_302600_NS6detail15normal_iteratorINS9_10device_ptrIiEEEENSB_INSC_IfEEEEiNS9_4plusIvEEiEEDaPvRmT3_T4_T5_mT6_P12ihipStream_tbENKUlT_T0_E_clISt17integral_constantIbLb1EESV_IbLb0EEEEDaSR_SS_EUlSR_E_NS1_11comp_targetILNS1_3genE8ELNS1_11target_archE1030ELNS1_3gpuE2ELNS1_3repE0EEENS1_30default_config_static_selectorELNS0_4arch9wavefront6targetE1EEEvT1_,"axG",@progbits,_ZN7rocprim17ROCPRIM_400000_NS6detail17trampoline_kernelINS0_14default_configENS1_20scan_config_selectorIiEEZZNS1_9scan_implILNS1_25lookback_scan_determinismE0ELb0ELb0ES3_N6thrust23THRUST_200600_302600_NS6detail15normal_iteratorINS9_10device_ptrIiEEEENSB_INSC_IfEEEEiNS9_4plusIvEEiEEDaPvRmT3_T4_T5_mT6_P12ihipStream_tbENKUlT_T0_E_clISt17integral_constantIbLb1EESV_IbLb0EEEEDaSR_SS_EUlSR_E_NS1_11comp_targetILNS1_3genE8ELNS1_11target_archE1030ELNS1_3gpuE2ELNS1_3repE0EEENS1_30default_config_static_selectorELNS0_4arch9wavefront6targetE1EEEvT1_,comdat
	.protected	_ZN7rocprim17ROCPRIM_400000_NS6detail17trampoline_kernelINS0_14default_configENS1_20scan_config_selectorIiEEZZNS1_9scan_implILNS1_25lookback_scan_determinismE0ELb0ELb0ES3_N6thrust23THRUST_200600_302600_NS6detail15normal_iteratorINS9_10device_ptrIiEEEENSB_INSC_IfEEEEiNS9_4plusIvEEiEEDaPvRmT3_T4_T5_mT6_P12ihipStream_tbENKUlT_T0_E_clISt17integral_constantIbLb1EESV_IbLb0EEEEDaSR_SS_EUlSR_E_NS1_11comp_targetILNS1_3genE8ELNS1_11target_archE1030ELNS1_3gpuE2ELNS1_3repE0EEENS1_30default_config_static_selectorELNS0_4arch9wavefront6targetE1EEEvT1_ ; -- Begin function _ZN7rocprim17ROCPRIM_400000_NS6detail17trampoline_kernelINS0_14default_configENS1_20scan_config_selectorIiEEZZNS1_9scan_implILNS1_25lookback_scan_determinismE0ELb0ELb0ES3_N6thrust23THRUST_200600_302600_NS6detail15normal_iteratorINS9_10device_ptrIiEEEENSB_INSC_IfEEEEiNS9_4plusIvEEiEEDaPvRmT3_T4_T5_mT6_P12ihipStream_tbENKUlT_T0_E_clISt17integral_constantIbLb1EESV_IbLb0EEEEDaSR_SS_EUlSR_E_NS1_11comp_targetILNS1_3genE8ELNS1_11target_archE1030ELNS1_3gpuE2ELNS1_3repE0EEENS1_30default_config_static_selectorELNS0_4arch9wavefront6targetE1EEEvT1_
	.globl	_ZN7rocprim17ROCPRIM_400000_NS6detail17trampoline_kernelINS0_14default_configENS1_20scan_config_selectorIiEEZZNS1_9scan_implILNS1_25lookback_scan_determinismE0ELb0ELb0ES3_N6thrust23THRUST_200600_302600_NS6detail15normal_iteratorINS9_10device_ptrIiEEEENSB_INSC_IfEEEEiNS9_4plusIvEEiEEDaPvRmT3_T4_T5_mT6_P12ihipStream_tbENKUlT_T0_E_clISt17integral_constantIbLb1EESV_IbLb0EEEEDaSR_SS_EUlSR_E_NS1_11comp_targetILNS1_3genE8ELNS1_11target_archE1030ELNS1_3gpuE2ELNS1_3repE0EEENS1_30default_config_static_selectorELNS0_4arch9wavefront6targetE1EEEvT1_
	.p2align	8
	.type	_ZN7rocprim17ROCPRIM_400000_NS6detail17trampoline_kernelINS0_14default_configENS1_20scan_config_selectorIiEEZZNS1_9scan_implILNS1_25lookback_scan_determinismE0ELb0ELb0ES3_N6thrust23THRUST_200600_302600_NS6detail15normal_iteratorINS9_10device_ptrIiEEEENSB_INSC_IfEEEEiNS9_4plusIvEEiEEDaPvRmT3_T4_T5_mT6_P12ihipStream_tbENKUlT_T0_E_clISt17integral_constantIbLb1EESV_IbLb0EEEEDaSR_SS_EUlSR_E_NS1_11comp_targetILNS1_3genE8ELNS1_11target_archE1030ELNS1_3gpuE2ELNS1_3repE0EEENS1_30default_config_static_selectorELNS0_4arch9wavefront6targetE1EEEvT1_,@function
_ZN7rocprim17ROCPRIM_400000_NS6detail17trampoline_kernelINS0_14default_configENS1_20scan_config_selectorIiEEZZNS1_9scan_implILNS1_25lookback_scan_determinismE0ELb0ELb0ES3_N6thrust23THRUST_200600_302600_NS6detail15normal_iteratorINS9_10device_ptrIiEEEENSB_INSC_IfEEEEiNS9_4plusIvEEiEEDaPvRmT3_T4_T5_mT6_P12ihipStream_tbENKUlT_T0_E_clISt17integral_constantIbLb1EESV_IbLb0EEEEDaSR_SS_EUlSR_E_NS1_11comp_targetILNS1_3genE8ELNS1_11target_archE1030ELNS1_3gpuE2ELNS1_3repE0EEENS1_30default_config_static_selectorELNS0_4arch9wavefront6targetE1EEEvT1_: ; @_ZN7rocprim17ROCPRIM_400000_NS6detail17trampoline_kernelINS0_14default_configENS1_20scan_config_selectorIiEEZZNS1_9scan_implILNS1_25lookback_scan_determinismE0ELb0ELb0ES3_N6thrust23THRUST_200600_302600_NS6detail15normal_iteratorINS9_10device_ptrIiEEEENSB_INSC_IfEEEEiNS9_4plusIvEEiEEDaPvRmT3_T4_T5_mT6_P12ihipStream_tbENKUlT_T0_E_clISt17integral_constantIbLb1EESV_IbLb0EEEEDaSR_SS_EUlSR_E_NS1_11comp_targetILNS1_3genE8ELNS1_11target_archE1030ELNS1_3gpuE2ELNS1_3repE0EEENS1_30default_config_static_selectorELNS0_4arch9wavefront6targetE1EEEvT1_
; %bb.0:
	.section	.rodata,"a",@progbits
	.p2align	6, 0x0
	.amdhsa_kernel _ZN7rocprim17ROCPRIM_400000_NS6detail17trampoline_kernelINS0_14default_configENS1_20scan_config_selectorIiEEZZNS1_9scan_implILNS1_25lookback_scan_determinismE0ELb0ELb0ES3_N6thrust23THRUST_200600_302600_NS6detail15normal_iteratorINS9_10device_ptrIiEEEENSB_INSC_IfEEEEiNS9_4plusIvEEiEEDaPvRmT3_T4_T5_mT6_P12ihipStream_tbENKUlT_T0_E_clISt17integral_constantIbLb1EESV_IbLb0EEEEDaSR_SS_EUlSR_E_NS1_11comp_targetILNS1_3genE8ELNS1_11target_archE1030ELNS1_3gpuE2ELNS1_3repE0EEENS1_30default_config_static_selectorELNS0_4arch9wavefront6targetE1EEEvT1_
		.amdhsa_group_segment_fixed_size 0
		.amdhsa_private_segment_fixed_size 0
		.amdhsa_kernarg_size 96
		.amdhsa_user_sgpr_count 6
		.amdhsa_user_sgpr_private_segment_buffer 1
		.amdhsa_user_sgpr_dispatch_ptr 0
		.amdhsa_user_sgpr_queue_ptr 0
		.amdhsa_user_sgpr_kernarg_segment_ptr 1
		.amdhsa_user_sgpr_dispatch_id 0
		.amdhsa_user_sgpr_flat_scratch_init 0
		.amdhsa_user_sgpr_kernarg_preload_length 0
		.amdhsa_user_sgpr_kernarg_preload_offset 0
		.amdhsa_user_sgpr_private_segment_size 0
		.amdhsa_uses_dynamic_stack 0
		.amdhsa_system_sgpr_private_segment_wavefront_offset 0
		.amdhsa_system_sgpr_workgroup_id_x 1
		.amdhsa_system_sgpr_workgroup_id_y 0
		.amdhsa_system_sgpr_workgroup_id_z 0
		.amdhsa_system_sgpr_workgroup_info 0
		.amdhsa_system_vgpr_workitem_id 0
		.amdhsa_next_free_vgpr 1
		.amdhsa_next_free_sgpr 0
		.amdhsa_accum_offset 4
		.amdhsa_reserve_vcc 0
		.amdhsa_reserve_flat_scratch 0
		.amdhsa_float_round_mode_32 0
		.amdhsa_float_round_mode_16_64 0
		.amdhsa_float_denorm_mode_32 3
		.amdhsa_float_denorm_mode_16_64 3
		.amdhsa_dx10_clamp 1
		.amdhsa_ieee_mode 1
		.amdhsa_fp16_overflow 0
		.amdhsa_tg_split 0
		.amdhsa_exception_fp_ieee_invalid_op 0
		.amdhsa_exception_fp_denorm_src 0
		.amdhsa_exception_fp_ieee_div_zero 0
		.amdhsa_exception_fp_ieee_overflow 0
		.amdhsa_exception_fp_ieee_underflow 0
		.amdhsa_exception_fp_ieee_inexact 0
		.amdhsa_exception_int_div_zero 0
	.end_amdhsa_kernel
	.section	.text._ZN7rocprim17ROCPRIM_400000_NS6detail17trampoline_kernelINS0_14default_configENS1_20scan_config_selectorIiEEZZNS1_9scan_implILNS1_25lookback_scan_determinismE0ELb0ELb0ES3_N6thrust23THRUST_200600_302600_NS6detail15normal_iteratorINS9_10device_ptrIiEEEENSB_INSC_IfEEEEiNS9_4plusIvEEiEEDaPvRmT3_T4_T5_mT6_P12ihipStream_tbENKUlT_T0_E_clISt17integral_constantIbLb1EESV_IbLb0EEEEDaSR_SS_EUlSR_E_NS1_11comp_targetILNS1_3genE8ELNS1_11target_archE1030ELNS1_3gpuE2ELNS1_3repE0EEENS1_30default_config_static_selectorELNS0_4arch9wavefront6targetE1EEEvT1_,"axG",@progbits,_ZN7rocprim17ROCPRIM_400000_NS6detail17trampoline_kernelINS0_14default_configENS1_20scan_config_selectorIiEEZZNS1_9scan_implILNS1_25lookback_scan_determinismE0ELb0ELb0ES3_N6thrust23THRUST_200600_302600_NS6detail15normal_iteratorINS9_10device_ptrIiEEEENSB_INSC_IfEEEEiNS9_4plusIvEEiEEDaPvRmT3_T4_T5_mT6_P12ihipStream_tbENKUlT_T0_E_clISt17integral_constantIbLb1EESV_IbLb0EEEEDaSR_SS_EUlSR_E_NS1_11comp_targetILNS1_3genE8ELNS1_11target_archE1030ELNS1_3gpuE2ELNS1_3repE0EEENS1_30default_config_static_selectorELNS0_4arch9wavefront6targetE1EEEvT1_,comdat
.Lfunc_end1685:
	.size	_ZN7rocprim17ROCPRIM_400000_NS6detail17trampoline_kernelINS0_14default_configENS1_20scan_config_selectorIiEEZZNS1_9scan_implILNS1_25lookback_scan_determinismE0ELb0ELb0ES3_N6thrust23THRUST_200600_302600_NS6detail15normal_iteratorINS9_10device_ptrIiEEEENSB_INSC_IfEEEEiNS9_4plusIvEEiEEDaPvRmT3_T4_T5_mT6_P12ihipStream_tbENKUlT_T0_E_clISt17integral_constantIbLb1EESV_IbLb0EEEEDaSR_SS_EUlSR_E_NS1_11comp_targetILNS1_3genE8ELNS1_11target_archE1030ELNS1_3gpuE2ELNS1_3repE0EEENS1_30default_config_static_selectorELNS0_4arch9wavefront6targetE1EEEvT1_, .Lfunc_end1685-_ZN7rocprim17ROCPRIM_400000_NS6detail17trampoline_kernelINS0_14default_configENS1_20scan_config_selectorIiEEZZNS1_9scan_implILNS1_25lookback_scan_determinismE0ELb0ELb0ES3_N6thrust23THRUST_200600_302600_NS6detail15normal_iteratorINS9_10device_ptrIiEEEENSB_INSC_IfEEEEiNS9_4plusIvEEiEEDaPvRmT3_T4_T5_mT6_P12ihipStream_tbENKUlT_T0_E_clISt17integral_constantIbLb1EESV_IbLb0EEEEDaSR_SS_EUlSR_E_NS1_11comp_targetILNS1_3genE8ELNS1_11target_archE1030ELNS1_3gpuE2ELNS1_3repE0EEENS1_30default_config_static_selectorELNS0_4arch9wavefront6targetE1EEEvT1_
                                        ; -- End function
	.section	.AMDGPU.csdata,"",@progbits
; Kernel info:
; codeLenInByte = 0
; NumSgprs: 4
; NumVgprs: 0
; NumAgprs: 0
; TotalNumVgprs: 0
; ScratchSize: 0
; MemoryBound: 0
; FloatMode: 240
; IeeeMode: 1
; LDSByteSize: 0 bytes/workgroup (compile time only)
; SGPRBlocks: 0
; VGPRBlocks: 0
; NumSGPRsForWavesPerEU: 4
; NumVGPRsForWavesPerEU: 1
; AccumOffset: 4
; Occupancy: 8
; WaveLimiterHint : 0
; COMPUTE_PGM_RSRC2:SCRATCH_EN: 0
; COMPUTE_PGM_RSRC2:USER_SGPR: 6
; COMPUTE_PGM_RSRC2:TRAP_HANDLER: 0
; COMPUTE_PGM_RSRC2:TGID_X_EN: 1
; COMPUTE_PGM_RSRC2:TGID_Y_EN: 0
; COMPUTE_PGM_RSRC2:TGID_Z_EN: 0
; COMPUTE_PGM_RSRC2:TIDIG_COMP_CNT: 0
; COMPUTE_PGM_RSRC3_GFX90A:ACCUM_OFFSET: 0
; COMPUTE_PGM_RSRC3_GFX90A:TG_SPLIT: 0
	.section	.text._ZN7rocprim17ROCPRIM_400000_NS6detail17trampoline_kernelINS0_14default_configENS1_20scan_config_selectorIiEEZZNS1_9scan_implILNS1_25lookback_scan_determinismE0ELb0ELb0ES3_N6thrust23THRUST_200600_302600_NS6detail15normal_iteratorINS9_10device_ptrIiEEEENSB_INSC_IfEEEEiNS9_4plusIvEEiEEDaPvRmT3_T4_T5_mT6_P12ihipStream_tbENKUlT_T0_E_clISt17integral_constantIbLb1EESV_IbLb0EEEEDaSR_SS_EUlSR_E0_NS1_11comp_targetILNS1_3genE0ELNS1_11target_archE4294967295ELNS1_3gpuE0ELNS1_3repE0EEENS1_30default_config_static_selectorELNS0_4arch9wavefront6targetE1EEEvT1_,"axG",@progbits,_ZN7rocprim17ROCPRIM_400000_NS6detail17trampoline_kernelINS0_14default_configENS1_20scan_config_selectorIiEEZZNS1_9scan_implILNS1_25lookback_scan_determinismE0ELb0ELb0ES3_N6thrust23THRUST_200600_302600_NS6detail15normal_iteratorINS9_10device_ptrIiEEEENSB_INSC_IfEEEEiNS9_4plusIvEEiEEDaPvRmT3_T4_T5_mT6_P12ihipStream_tbENKUlT_T0_E_clISt17integral_constantIbLb1EESV_IbLb0EEEEDaSR_SS_EUlSR_E0_NS1_11comp_targetILNS1_3genE0ELNS1_11target_archE4294967295ELNS1_3gpuE0ELNS1_3repE0EEENS1_30default_config_static_selectorELNS0_4arch9wavefront6targetE1EEEvT1_,comdat
	.protected	_ZN7rocprim17ROCPRIM_400000_NS6detail17trampoline_kernelINS0_14default_configENS1_20scan_config_selectorIiEEZZNS1_9scan_implILNS1_25lookback_scan_determinismE0ELb0ELb0ES3_N6thrust23THRUST_200600_302600_NS6detail15normal_iteratorINS9_10device_ptrIiEEEENSB_INSC_IfEEEEiNS9_4plusIvEEiEEDaPvRmT3_T4_T5_mT6_P12ihipStream_tbENKUlT_T0_E_clISt17integral_constantIbLb1EESV_IbLb0EEEEDaSR_SS_EUlSR_E0_NS1_11comp_targetILNS1_3genE0ELNS1_11target_archE4294967295ELNS1_3gpuE0ELNS1_3repE0EEENS1_30default_config_static_selectorELNS0_4arch9wavefront6targetE1EEEvT1_ ; -- Begin function _ZN7rocprim17ROCPRIM_400000_NS6detail17trampoline_kernelINS0_14default_configENS1_20scan_config_selectorIiEEZZNS1_9scan_implILNS1_25lookback_scan_determinismE0ELb0ELb0ES3_N6thrust23THRUST_200600_302600_NS6detail15normal_iteratorINS9_10device_ptrIiEEEENSB_INSC_IfEEEEiNS9_4plusIvEEiEEDaPvRmT3_T4_T5_mT6_P12ihipStream_tbENKUlT_T0_E_clISt17integral_constantIbLb1EESV_IbLb0EEEEDaSR_SS_EUlSR_E0_NS1_11comp_targetILNS1_3genE0ELNS1_11target_archE4294967295ELNS1_3gpuE0ELNS1_3repE0EEENS1_30default_config_static_selectorELNS0_4arch9wavefront6targetE1EEEvT1_
	.globl	_ZN7rocprim17ROCPRIM_400000_NS6detail17trampoline_kernelINS0_14default_configENS1_20scan_config_selectorIiEEZZNS1_9scan_implILNS1_25lookback_scan_determinismE0ELb0ELb0ES3_N6thrust23THRUST_200600_302600_NS6detail15normal_iteratorINS9_10device_ptrIiEEEENSB_INSC_IfEEEEiNS9_4plusIvEEiEEDaPvRmT3_T4_T5_mT6_P12ihipStream_tbENKUlT_T0_E_clISt17integral_constantIbLb1EESV_IbLb0EEEEDaSR_SS_EUlSR_E0_NS1_11comp_targetILNS1_3genE0ELNS1_11target_archE4294967295ELNS1_3gpuE0ELNS1_3repE0EEENS1_30default_config_static_selectorELNS0_4arch9wavefront6targetE1EEEvT1_
	.p2align	8
	.type	_ZN7rocprim17ROCPRIM_400000_NS6detail17trampoline_kernelINS0_14default_configENS1_20scan_config_selectorIiEEZZNS1_9scan_implILNS1_25lookback_scan_determinismE0ELb0ELb0ES3_N6thrust23THRUST_200600_302600_NS6detail15normal_iteratorINS9_10device_ptrIiEEEENSB_INSC_IfEEEEiNS9_4plusIvEEiEEDaPvRmT3_T4_T5_mT6_P12ihipStream_tbENKUlT_T0_E_clISt17integral_constantIbLb1EESV_IbLb0EEEEDaSR_SS_EUlSR_E0_NS1_11comp_targetILNS1_3genE0ELNS1_11target_archE4294967295ELNS1_3gpuE0ELNS1_3repE0EEENS1_30default_config_static_selectorELNS0_4arch9wavefront6targetE1EEEvT1_,@function
_ZN7rocprim17ROCPRIM_400000_NS6detail17trampoline_kernelINS0_14default_configENS1_20scan_config_selectorIiEEZZNS1_9scan_implILNS1_25lookback_scan_determinismE0ELb0ELb0ES3_N6thrust23THRUST_200600_302600_NS6detail15normal_iteratorINS9_10device_ptrIiEEEENSB_INSC_IfEEEEiNS9_4plusIvEEiEEDaPvRmT3_T4_T5_mT6_P12ihipStream_tbENKUlT_T0_E_clISt17integral_constantIbLb1EESV_IbLb0EEEEDaSR_SS_EUlSR_E0_NS1_11comp_targetILNS1_3genE0ELNS1_11target_archE4294967295ELNS1_3gpuE0ELNS1_3repE0EEENS1_30default_config_static_selectorELNS0_4arch9wavefront6targetE1EEEvT1_: ; @_ZN7rocprim17ROCPRIM_400000_NS6detail17trampoline_kernelINS0_14default_configENS1_20scan_config_selectorIiEEZZNS1_9scan_implILNS1_25lookback_scan_determinismE0ELb0ELb0ES3_N6thrust23THRUST_200600_302600_NS6detail15normal_iteratorINS9_10device_ptrIiEEEENSB_INSC_IfEEEEiNS9_4plusIvEEiEEDaPvRmT3_T4_T5_mT6_P12ihipStream_tbENKUlT_T0_E_clISt17integral_constantIbLb1EESV_IbLb0EEEEDaSR_SS_EUlSR_E0_NS1_11comp_targetILNS1_3genE0ELNS1_11target_archE4294967295ELNS1_3gpuE0ELNS1_3repE0EEENS1_30default_config_static_selectorELNS0_4arch9wavefront6targetE1EEEvT1_
; %bb.0:
	.section	.rodata,"a",@progbits
	.p2align	6, 0x0
	.amdhsa_kernel _ZN7rocprim17ROCPRIM_400000_NS6detail17trampoline_kernelINS0_14default_configENS1_20scan_config_selectorIiEEZZNS1_9scan_implILNS1_25lookback_scan_determinismE0ELb0ELb0ES3_N6thrust23THRUST_200600_302600_NS6detail15normal_iteratorINS9_10device_ptrIiEEEENSB_INSC_IfEEEEiNS9_4plusIvEEiEEDaPvRmT3_T4_T5_mT6_P12ihipStream_tbENKUlT_T0_E_clISt17integral_constantIbLb1EESV_IbLb0EEEEDaSR_SS_EUlSR_E0_NS1_11comp_targetILNS1_3genE0ELNS1_11target_archE4294967295ELNS1_3gpuE0ELNS1_3repE0EEENS1_30default_config_static_selectorELNS0_4arch9wavefront6targetE1EEEvT1_
		.amdhsa_group_segment_fixed_size 0
		.amdhsa_private_segment_fixed_size 0
		.amdhsa_kernarg_size 32
		.amdhsa_user_sgpr_count 6
		.amdhsa_user_sgpr_private_segment_buffer 1
		.amdhsa_user_sgpr_dispatch_ptr 0
		.amdhsa_user_sgpr_queue_ptr 0
		.amdhsa_user_sgpr_kernarg_segment_ptr 1
		.amdhsa_user_sgpr_dispatch_id 0
		.amdhsa_user_sgpr_flat_scratch_init 0
		.amdhsa_user_sgpr_kernarg_preload_length 0
		.amdhsa_user_sgpr_kernarg_preload_offset 0
		.amdhsa_user_sgpr_private_segment_size 0
		.amdhsa_uses_dynamic_stack 0
		.amdhsa_system_sgpr_private_segment_wavefront_offset 0
		.amdhsa_system_sgpr_workgroup_id_x 1
		.amdhsa_system_sgpr_workgroup_id_y 0
		.amdhsa_system_sgpr_workgroup_id_z 0
		.amdhsa_system_sgpr_workgroup_info 0
		.amdhsa_system_vgpr_workitem_id 0
		.amdhsa_next_free_vgpr 1
		.amdhsa_next_free_sgpr 0
		.amdhsa_accum_offset 4
		.amdhsa_reserve_vcc 0
		.amdhsa_reserve_flat_scratch 0
		.amdhsa_float_round_mode_32 0
		.amdhsa_float_round_mode_16_64 0
		.amdhsa_float_denorm_mode_32 3
		.amdhsa_float_denorm_mode_16_64 3
		.amdhsa_dx10_clamp 1
		.amdhsa_ieee_mode 1
		.amdhsa_fp16_overflow 0
		.amdhsa_tg_split 0
		.amdhsa_exception_fp_ieee_invalid_op 0
		.amdhsa_exception_fp_denorm_src 0
		.amdhsa_exception_fp_ieee_div_zero 0
		.amdhsa_exception_fp_ieee_overflow 0
		.amdhsa_exception_fp_ieee_underflow 0
		.amdhsa_exception_fp_ieee_inexact 0
		.amdhsa_exception_int_div_zero 0
	.end_amdhsa_kernel
	.section	.text._ZN7rocprim17ROCPRIM_400000_NS6detail17trampoline_kernelINS0_14default_configENS1_20scan_config_selectorIiEEZZNS1_9scan_implILNS1_25lookback_scan_determinismE0ELb0ELb0ES3_N6thrust23THRUST_200600_302600_NS6detail15normal_iteratorINS9_10device_ptrIiEEEENSB_INSC_IfEEEEiNS9_4plusIvEEiEEDaPvRmT3_T4_T5_mT6_P12ihipStream_tbENKUlT_T0_E_clISt17integral_constantIbLb1EESV_IbLb0EEEEDaSR_SS_EUlSR_E0_NS1_11comp_targetILNS1_3genE0ELNS1_11target_archE4294967295ELNS1_3gpuE0ELNS1_3repE0EEENS1_30default_config_static_selectorELNS0_4arch9wavefront6targetE1EEEvT1_,"axG",@progbits,_ZN7rocprim17ROCPRIM_400000_NS6detail17trampoline_kernelINS0_14default_configENS1_20scan_config_selectorIiEEZZNS1_9scan_implILNS1_25lookback_scan_determinismE0ELb0ELb0ES3_N6thrust23THRUST_200600_302600_NS6detail15normal_iteratorINS9_10device_ptrIiEEEENSB_INSC_IfEEEEiNS9_4plusIvEEiEEDaPvRmT3_T4_T5_mT6_P12ihipStream_tbENKUlT_T0_E_clISt17integral_constantIbLb1EESV_IbLb0EEEEDaSR_SS_EUlSR_E0_NS1_11comp_targetILNS1_3genE0ELNS1_11target_archE4294967295ELNS1_3gpuE0ELNS1_3repE0EEENS1_30default_config_static_selectorELNS0_4arch9wavefront6targetE1EEEvT1_,comdat
.Lfunc_end1686:
	.size	_ZN7rocprim17ROCPRIM_400000_NS6detail17trampoline_kernelINS0_14default_configENS1_20scan_config_selectorIiEEZZNS1_9scan_implILNS1_25lookback_scan_determinismE0ELb0ELb0ES3_N6thrust23THRUST_200600_302600_NS6detail15normal_iteratorINS9_10device_ptrIiEEEENSB_INSC_IfEEEEiNS9_4plusIvEEiEEDaPvRmT3_T4_T5_mT6_P12ihipStream_tbENKUlT_T0_E_clISt17integral_constantIbLb1EESV_IbLb0EEEEDaSR_SS_EUlSR_E0_NS1_11comp_targetILNS1_3genE0ELNS1_11target_archE4294967295ELNS1_3gpuE0ELNS1_3repE0EEENS1_30default_config_static_selectorELNS0_4arch9wavefront6targetE1EEEvT1_, .Lfunc_end1686-_ZN7rocprim17ROCPRIM_400000_NS6detail17trampoline_kernelINS0_14default_configENS1_20scan_config_selectorIiEEZZNS1_9scan_implILNS1_25lookback_scan_determinismE0ELb0ELb0ES3_N6thrust23THRUST_200600_302600_NS6detail15normal_iteratorINS9_10device_ptrIiEEEENSB_INSC_IfEEEEiNS9_4plusIvEEiEEDaPvRmT3_T4_T5_mT6_P12ihipStream_tbENKUlT_T0_E_clISt17integral_constantIbLb1EESV_IbLb0EEEEDaSR_SS_EUlSR_E0_NS1_11comp_targetILNS1_3genE0ELNS1_11target_archE4294967295ELNS1_3gpuE0ELNS1_3repE0EEENS1_30default_config_static_selectorELNS0_4arch9wavefront6targetE1EEEvT1_
                                        ; -- End function
	.section	.AMDGPU.csdata,"",@progbits
; Kernel info:
; codeLenInByte = 0
; NumSgprs: 4
; NumVgprs: 0
; NumAgprs: 0
; TotalNumVgprs: 0
; ScratchSize: 0
; MemoryBound: 0
; FloatMode: 240
; IeeeMode: 1
; LDSByteSize: 0 bytes/workgroup (compile time only)
; SGPRBlocks: 0
; VGPRBlocks: 0
; NumSGPRsForWavesPerEU: 4
; NumVGPRsForWavesPerEU: 1
; AccumOffset: 4
; Occupancy: 8
; WaveLimiterHint : 0
; COMPUTE_PGM_RSRC2:SCRATCH_EN: 0
; COMPUTE_PGM_RSRC2:USER_SGPR: 6
; COMPUTE_PGM_RSRC2:TRAP_HANDLER: 0
; COMPUTE_PGM_RSRC2:TGID_X_EN: 1
; COMPUTE_PGM_RSRC2:TGID_Y_EN: 0
; COMPUTE_PGM_RSRC2:TGID_Z_EN: 0
; COMPUTE_PGM_RSRC2:TIDIG_COMP_CNT: 0
; COMPUTE_PGM_RSRC3_GFX90A:ACCUM_OFFSET: 0
; COMPUTE_PGM_RSRC3_GFX90A:TG_SPLIT: 0
	.section	.text._ZN7rocprim17ROCPRIM_400000_NS6detail17trampoline_kernelINS0_14default_configENS1_20scan_config_selectorIiEEZZNS1_9scan_implILNS1_25lookback_scan_determinismE0ELb0ELb0ES3_N6thrust23THRUST_200600_302600_NS6detail15normal_iteratorINS9_10device_ptrIiEEEENSB_INSC_IfEEEEiNS9_4plusIvEEiEEDaPvRmT3_T4_T5_mT6_P12ihipStream_tbENKUlT_T0_E_clISt17integral_constantIbLb1EESV_IbLb0EEEEDaSR_SS_EUlSR_E0_NS1_11comp_targetILNS1_3genE5ELNS1_11target_archE942ELNS1_3gpuE9ELNS1_3repE0EEENS1_30default_config_static_selectorELNS0_4arch9wavefront6targetE1EEEvT1_,"axG",@progbits,_ZN7rocprim17ROCPRIM_400000_NS6detail17trampoline_kernelINS0_14default_configENS1_20scan_config_selectorIiEEZZNS1_9scan_implILNS1_25lookback_scan_determinismE0ELb0ELb0ES3_N6thrust23THRUST_200600_302600_NS6detail15normal_iteratorINS9_10device_ptrIiEEEENSB_INSC_IfEEEEiNS9_4plusIvEEiEEDaPvRmT3_T4_T5_mT6_P12ihipStream_tbENKUlT_T0_E_clISt17integral_constantIbLb1EESV_IbLb0EEEEDaSR_SS_EUlSR_E0_NS1_11comp_targetILNS1_3genE5ELNS1_11target_archE942ELNS1_3gpuE9ELNS1_3repE0EEENS1_30default_config_static_selectorELNS0_4arch9wavefront6targetE1EEEvT1_,comdat
	.protected	_ZN7rocprim17ROCPRIM_400000_NS6detail17trampoline_kernelINS0_14default_configENS1_20scan_config_selectorIiEEZZNS1_9scan_implILNS1_25lookback_scan_determinismE0ELb0ELb0ES3_N6thrust23THRUST_200600_302600_NS6detail15normal_iteratorINS9_10device_ptrIiEEEENSB_INSC_IfEEEEiNS9_4plusIvEEiEEDaPvRmT3_T4_T5_mT6_P12ihipStream_tbENKUlT_T0_E_clISt17integral_constantIbLb1EESV_IbLb0EEEEDaSR_SS_EUlSR_E0_NS1_11comp_targetILNS1_3genE5ELNS1_11target_archE942ELNS1_3gpuE9ELNS1_3repE0EEENS1_30default_config_static_selectorELNS0_4arch9wavefront6targetE1EEEvT1_ ; -- Begin function _ZN7rocprim17ROCPRIM_400000_NS6detail17trampoline_kernelINS0_14default_configENS1_20scan_config_selectorIiEEZZNS1_9scan_implILNS1_25lookback_scan_determinismE0ELb0ELb0ES3_N6thrust23THRUST_200600_302600_NS6detail15normal_iteratorINS9_10device_ptrIiEEEENSB_INSC_IfEEEEiNS9_4plusIvEEiEEDaPvRmT3_T4_T5_mT6_P12ihipStream_tbENKUlT_T0_E_clISt17integral_constantIbLb1EESV_IbLb0EEEEDaSR_SS_EUlSR_E0_NS1_11comp_targetILNS1_3genE5ELNS1_11target_archE942ELNS1_3gpuE9ELNS1_3repE0EEENS1_30default_config_static_selectorELNS0_4arch9wavefront6targetE1EEEvT1_
	.globl	_ZN7rocprim17ROCPRIM_400000_NS6detail17trampoline_kernelINS0_14default_configENS1_20scan_config_selectorIiEEZZNS1_9scan_implILNS1_25lookback_scan_determinismE0ELb0ELb0ES3_N6thrust23THRUST_200600_302600_NS6detail15normal_iteratorINS9_10device_ptrIiEEEENSB_INSC_IfEEEEiNS9_4plusIvEEiEEDaPvRmT3_T4_T5_mT6_P12ihipStream_tbENKUlT_T0_E_clISt17integral_constantIbLb1EESV_IbLb0EEEEDaSR_SS_EUlSR_E0_NS1_11comp_targetILNS1_3genE5ELNS1_11target_archE942ELNS1_3gpuE9ELNS1_3repE0EEENS1_30default_config_static_selectorELNS0_4arch9wavefront6targetE1EEEvT1_
	.p2align	8
	.type	_ZN7rocprim17ROCPRIM_400000_NS6detail17trampoline_kernelINS0_14default_configENS1_20scan_config_selectorIiEEZZNS1_9scan_implILNS1_25lookback_scan_determinismE0ELb0ELb0ES3_N6thrust23THRUST_200600_302600_NS6detail15normal_iteratorINS9_10device_ptrIiEEEENSB_INSC_IfEEEEiNS9_4plusIvEEiEEDaPvRmT3_T4_T5_mT6_P12ihipStream_tbENKUlT_T0_E_clISt17integral_constantIbLb1EESV_IbLb0EEEEDaSR_SS_EUlSR_E0_NS1_11comp_targetILNS1_3genE5ELNS1_11target_archE942ELNS1_3gpuE9ELNS1_3repE0EEENS1_30default_config_static_selectorELNS0_4arch9wavefront6targetE1EEEvT1_,@function
_ZN7rocprim17ROCPRIM_400000_NS6detail17trampoline_kernelINS0_14default_configENS1_20scan_config_selectorIiEEZZNS1_9scan_implILNS1_25lookback_scan_determinismE0ELb0ELb0ES3_N6thrust23THRUST_200600_302600_NS6detail15normal_iteratorINS9_10device_ptrIiEEEENSB_INSC_IfEEEEiNS9_4plusIvEEiEEDaPvRmT3_T4_T5_mT6_P12ihipStream_tbENKUlT_T0_E_clISt17integral_constantIbLb1EESV_IbLb0EEEEDaSR_SS_EUlSR_E0_NS1_11comp_targetILNS1_3genE5ELNS1_11target_archE942ELNS1_3gpuE9ELNS1_3repE0EEENS1_30default_config_static_selectorELNS0_4arch9wavefront6targetE1EEEvT1_: ; @_ZN7rocprim17ROCPRIM_400000_NS6detail17trampoline_kernelINS0_14default_configENS1_20scan_config_selectorIiEEZZNS1_9scan_implILNS1_25lookback_scan_determinismE0ELb0ELb0ES3_N6thrust23THRUST_200600_302600_NS6detail15normal_iteratorINS9_10device_ptrIiEEEENSB_INSC_IfEEEEiNS9_4plusIvEEiEEDaPvRmT3_T4_T5_mT6_P12ihipStream_tbENKUlT_T0_E_clISt17integral_constantIbLb1EESV_IbLb0EEEEDaSR_SS_EUlSR_E0_NS1_11comp_targetILNS1_3genE5ELNS1_11target_archE942ELNS1_3gpuE9ELNS1_3repE0EEENS1_30default_config_static_selectorELNS0_4arch9wavefront6targetE1EEEvT1_
; %bb.0:
	.section	.rodata,"a",@progbits
	.p2align	6, 0x0
	.amdhsa_kernel _ZN7rocprim17ROCPRIM_400000_NS6detail17trampoline_kernelINS0_14default_configENS1_20scan_config_selectorIiEEZZNS1_9scan_implILNS1_25lookback_scan_determinismE0ELb0ELb0ES3_N6thrust23THRUST_200600_302600_NS6detail15normal_iteratorINS9_10device_ptrIiEEEENSB_INSC_IfEEEEiNS9_4plusIvEEiEEDaPvRmT3_T4_T5_mT6_P12ihipStream_tbENKUlT_T0_E_clISt17integral_constantIbLb1EESV_IbLb0EEEEDaSR_SS_EUlSR_E0_NS1_11comp_targetILNS1_3genE5ELNS1_11target_archE942ELNS1_3gpuE9ELNS1_3repE0EEENS1_30default_config_static_selectorELNS0_4arch9wavefront6targetE1EEEvT1_
		.amdhsa_group_segment_fixed_size 0
		.amdhsa_private_segment_fixed_size 0
		.amdhsa_kernarg_size 32
		.amdhsa_user_sgpr_count 6
		.amdhsa_user_sgpr_private_segment_buffer 1
		.amdhsa_user_sgpr_dispatch_ptr 0
		.amdhsa_user_sgpr_queue_ptr 0
		.amdhsa_user_sgpr_kernarg_segment_ptr 1
		.amdhsa_user_sgpr_dispatch_id 0
		.amdhsa_user_sgpr_flat_scratch_init 0
		.amdhsa_user_sgpr_kernarg_preload_length 0
		.amdhsa_user_sgpr_kernarg_preload_offset 0
		.amdhsa_user_sgpr_private_segment_size 0
		.amdhsa_uses_dynamic_stack 0
		.amdhsa_system_sgpr_private_segment_wavefront_offset 0
		.amdhsa_system_sgpr_workgroup_id_x 1
		.amdhsa_system_sgpr_workgroup_id_y 0
		.amdhsa_system_sgpr_workgroup_id_z 0
		.amdhsa_system_sgpr_workgroup_info 0
		.amdhsa_system_vgpr_workitem_id 0
		.amdhsa_next_free_vgpr 1
		.amdhsa_next_free_sgpr 0
		.amdhsa_accum_offset 4
		.amdhsa_reserve_vcc 0
		.amdhsa_reserve_flat_scratch 0
		.amdhsa_float_round_mode_32 0
		.amdhsa_float_round_mode_16_64 0
		.amdhsa_float_denorm_mode_32 3
		.amdhsa_float_denorm_mode_16_64 3
		.amdhsa_dx10_clamp 1
		.amdhsa_ieee_mode 1
		.amdhsa_fp16_overflow 0
		.amdhsa_tg_split 0
		.amdhsa_exception_fp_ieee_invalid_op 0
		.amdhsa_exception_fp_denorm_src 0
		.amdhsa_exception_fp_ieee_div_zero 0
		.amdhsa_exception_fp_ieee_overflow 0
		.amdhsa_exception_fp_ieee_underflow 0
		.amdhsa_exception_fp_ieee_inexact 0
		.amdhsa_exception_int_div_zero 0
	.end_amdhsa_kernel
	.section	.text._ZN7rocprim17ROCPRIM_400000_NS6detail17trampoline_kernelINS0_14default_configENS1_20scan_config_selectorIiEEZZNS1_9scan_implILNS1_25lookback_scan_determinismE0ELb0ELb0ES3_N6thrust23THRUST_200600_302600_NS6detail15normal_iteratorINS9_10device_ptrIiEEEENSB_INSC_IfEEEEiNS9_4plusIvEEiEEDaPvRmT3_T4_T5_mT6_P12ihipStream_tbENKUlT_T0_E_clISt17integral_constantIbLb1EESV_IbLb0EEEEDaSR_SS_EUlSR_E0_NS1_11comp_targetILNS1_3genE5ELNS1_11target_archE942ELNS1_3gpuE9ELNS1_3repE0EEENS1_30default_config_static_selectorELNS0_4arch9wavefront6targetE1EEEvT1_,"axG",@progbits,_ZN7rocprim17ROCPRIM_400000_NS6detail17trampoline_kernelINS0_14default_configENS1_20scan_config_selectorIiEEZZNS1_9scan_implILNS1_25lookback_scan_determinismE0ELb0ELb0ES3_N6thrust23THRUST_200600_302600_NS6detail15normal_iteratorINS9_10device_ptrIiEEEENSB_INSC_IfEEEEiNS9_4plusIvEEiEEDaPvRmT3_T4_T5_mT6_P12ihipStream_tbENKUlT_T0_E_clISt17integral_constantIbLb1EESV_IbLb0EEEEDaSR_SS_EUlSR_E0_NS1_11comp_targetILNS1_3genE5ELNS1_11target_archE942ELNS1_3gpuE9ELNS1_3repE0EEENS1_30default_config_static_selectorELNS0_4arch9wavefront6targetE1EEEvT1_,comdat
.Lfunc_end1687:
	.size	_ZN7rocprim17ROCPRIM_400000_NS6detail17trampoline_kernelINS0_14default_configENS1_20scan_config_selectorIiEEZZNS1_9scan_implILNS1_25lookback_scan_determinismE0ELb0ELb0ES3_N6thrust23THRUST_200600_302600_NS6detail15normal_iteratorINS9_10device_ptrIiEEEENSB_INSC_IfEEEEiNS9_4plusIvEEiEEDaPvRmT3_T4_T5_mT6_P12ihipStream_tbENKUlT_T0_E_clISt17integral_constantIbLb1EESV_IbLb0EEEEDaSR_SS_EUlSR_E0_NS1_11comp_targetILNS1_3genE5ELNS1_11target_archE942ELNS1_3gpuE9ELNS1_3repE0EEENS1_30default_config_static_selectorELNS0_4arch9wavefront6targetE1EEEvT1_, .Lfunc_end1687-_ZN7rocprim17ROCPRIM_400000_NS6detail17trampoline_kernelINS0_14default_configENS1_20scan_config_selectorIiEEZZNS1_9scan_implILNS1_25lookback_scan_determinismE0ELb0ELb0ES3_N6thrust23THRUST_200600_302600_NS6detail15normal_iteratorINS9_10device_ptrIiEEEENSB_INSC_IfEEEEiNS9_4plusIvEEiEEDaPvRmT3_T4_T5_mT6_P12ihipStream_tbENKUlT_T0_E_clISt17integral_constantIbLb1EESV_IbLb0EEEEDaSR_SS_EUlSR_E0_NS1_11comp_targetILNS1_3genE5ELNS1_11target_archE942ELNS1_3gpuE9ELNS1_3repE0EEENS1_30default_config_static_selectorELNS0_4arch9wavefront6targetE1EEEvT1_
                                        ; -- End function
	.section	.AMDGPU.csdata,"",@progbits
; Kernel info:
; codeLenInByte = 0
; NumSgprs: 4
; NumVgprs: 0
; NumAgprs: 0
; TotalNumVgprs: 0
; ScratchSize: 0
; MemoryBound: 0
; FloatMode: 240
; IeeeMode: 1
; LDSByteSize: 0 bytes/workgroup (compile time only)
; SGPRBlocks: 0
; VGPRBlocks: 0
; NumSGPRsForWavesPerEU: 4
; NumVGPRsForWavesPerEU: 1
; AccumOffset: 4
; Occupancy: 8
; WaveLimiterHint : 0
; COMPUTE_PGM_RSRC2:SCRATCH_EN: 0
; COMPUTE_PGM_RSRC2:USER_SGPR: 6
; COMPUTE_PGM_RSRC2:TRAP_HANDLER: 0
; COMPUTE_PGM_RSRC2:TGID_X_EN: 1
; COMPUTE_PGM_RSRC2:TGID_Y_EN: 0
; COMPUTE_PGM_RSRC2:TGID_Z_EN: 0
; COMPUTE_PGM_RSRC2:TIDIG_COMP_CNT: 0
; COMPUTE_PGM_RSRC3_GFX90A:ACCUM_OFFSET: 0
; COMPUTE_PGM_RSRC3_GFX90A:TG_SPLIT: 0
	.section	.text._ZN7rocprim17ROCPRIM_400000_NS6detail17trampoline_kernelINS0_14default_configENS1_20scan_config_selectorIiEEZZNS1_9scan_implILNS1_25lookback_scan_determinismE0ELb0ELb0ES3_N6thrust23THRUST_200600_302600_NS6detail15normal_iteratorINS9_10device_ptrIiEEEENSB_INSC_IfEEEEiNS9_4plusIvEEiEEDaPvRmT3_T4_T5_mT6_P12ihipStream_tbENKUlT_T0_E_clISt17integral_constantIbLb1EESV_IbLb0EEEEDaSR_SS_EUlSR_E0_NS1_11comp_targetILNS1_3genE4ELNS1_11target_archE910ELNS1_3gpuE8ELNS1_3repE0EEENS1_30default_config_static_selectorELNS0_4arch9wavefront6targetE1EEEvT1_,"axG",@progbits,_ZN7rocprim17ROCPRIM_400000_NS6detail17trampoline_kernelINS0_14default_configENS1_20scan_config_selectorIiEEZZNS1_9scan_implILNS1_25lookback_scan_determinismE0ELb0ELb0ES3_N6thrust23THRUST_200600_302600_NS6detail15normal_iteratorINS9_10device_ptrIiEEEENSB_INSC_IfEEEEiNS9_4plusIvEEiEEDaPvRmT3_T4_T5_mT6_P12ihipStream_tbENKUlT_T0_E_clISt17integral_constantIbLb1EESV_IbLb0EEEEDaSR_SS_EUlSR_E0_NS1_11comp_targetILNS1_3genE4ELNS1_11target_archE910ELNS1_3gpuE8ELNS1_3repE0EEENS1_30default_config_static_selectorELNS0_4arch9wavefront6targetE1EEEvT1_,comdat
	.protected	_ZN7rocprim17ROCPRIM_400000_NS6detail17trampoline_kernelINS0_14default_configENS1_20scan_config_selectorIiEEZZNS1_9scan_implILNS1_25lookback_scan_determinismE0ELb0ELb0ES3_N6thrust23THRUST_200600_302600_NS6detail15normal_iteratorINS9_10device_ptrIiEEEENSB_INSC_IfEEEEiNS9_4plusIvEEiEEDaPvRmT3_T4_T5_mT6_P12ihipStream_tbENKUlT_T0_E_clISt17integral_constantIbLb1EESV_IbLb0EEEEDaSR_SS_EUlSR_E0_NS1_11comp_targetILNS1_3genE4ELNS1_11target_archE910ELNS1_3gpuE8ELNS1_3repE0EEENS1_30default_config_static_selectorELNS0_4arch9wavefront6targetE1EEEvT1_ ; -- Begin function _ZN7rocprim17ROCPRIM_400000_NS6detail17trampoline_kernelINS0_14default_configENS1_20scan_config_selectorIiEEZZNS1_9scan_implILNS1_25lookback_scan_determinismE0ELb0ELb0ES3_N6thrust23THRUST_200600_302600_NS6detail15normal_iteratorINS9_10device_ptrIiEEEENSB_INSC_IfEEEEiNS9_4plusIvEEiEEDaPvRmT3_T4_T5_mT6_P12ihipStream_tbENKUlT_T0_E_clISt17integral_constantIbLb1EESV_IbLb0EEEEDaSR_SS_EUlSR_E0_NS1_11comp_targetILNS1_3genE4ELNS1_11target_archE910ELNS1_3gpuE8ELNS1_3repE0EEENS1_30default_config_static_selectorELNS0_4arch9wavefront6targetE1EEEvT1_
	.globl	_ZN7rocprim17ROCPRIM_400000_NS6detail17trampoline_kernelINS0_14default_configENS1_20scan_config_selectorIiEEZZNS1_9scan_implILNS1_25lookback_scan_determinismE0ELb0ELb0ES3_N6thrust23THRUST_200600_302600_NS6detail15normal_iteratorINS9_10device_ptrIiEEEENSB_INSC_IfEEEEiNS9_4plusIvEEiEEDaPvRmT3_T4_T5_mT6_P12ihipStream_tbENKUlT_T0_E_clISt17integral_constantIbLb1EESV_IbLb0EEEEDaSR_SS_EUlSR_E0_NS1_11comp_targetILNS1_3genE4ELNS1_11target_archE910ELNS1_3gpuE8ELNS1_3repE0EEENS1_30default_config_static_selectorELNS0_4arch9wavefront6targetE1EEEvT1_
	.p2align	8
	.type	_ZN7rocprim17ROCPRIM_400000_NS6detail17trampoline_kernelINS0_14default_configENS1_20scan_config_selectorIiEEZZNS1_9scan_implILNS1_25lookback_scan_determinismE0ELb0ELb0ES3_N6thrust23THRUST_200600_302600_NS6detail15normal_iteratorINS9_10device_ptrIiEEEENSB_INSC_IfEEEEiNS9_4plusIvEEiEEDaPvRmT3_T4_T5_mT6_P12ihipStream_tbENKUlT_T0_E_clISt17integral_constantIbLb1EESV_IbLb0EEEEDaSR_SS_EUlSR_E0_NS1_11comp_targetILNS1_3genE4ELNS1_11target_archE910ELNS1_3gpuE8ELNS1_3repE0EEENS1_30default_config_static_selectorELNS0_4arch9wavefront6targetE1EEEvT1_,@function
_ZN7rocprim17ROCPRIM_400000_NS6detail17trampoline_kernelINS0_14default_configENS1_20scan_config_selectorIiEEZZNS1_9scan_implILNS1_25lookback_scan_determinismE0ELb0ELb0ES3_N6thrust23THRUST_200600_302600_NS6detail15normal_iteratorINS9_10device_ptrIiEEEENSB_INSC_IfEEEEiNS9_4plusIvEEiEEDaPvRmT3_T4_T5_mT6_P12ihipStream_tbENKUlT_T0_E_clISt17integral_constantIbLb1EESV_IbLb0EEEEDaSR_SS_EUlSR_E0_NS1_11comp_targetILNS1_3genE4ELNS1_11target_archE910ELNS1_3gpuE8ELNS1_3repE0EEENS1_30default_config_static_selectorELNS0_4arch9wavefront6targetE1EEEvT1_: ; @_ZN7rocprim17ROCPRIM_400000_NS6detail17trampoline_kernelINS0_14default_configENS1_20scan_config_selectorIiEEZZNS1_9scan_implILNS1_25lookback_scan_determinismE0ELb0ELb0ES3_N6thrust23THRUST_200600_302600_NS6detail15normal_iteratorINS9_10device_ptrIiEEEENSB_INSC_IfEEEEiNS9_4plusIvEEiEEDaPvRmT3_T4_T5_mT6_P12ihipStream_tbENKUlT_T0_E_clISt17integral_constantIbLb1EESV_IbLb0EEEEDaSR_SS_EUlSR_E0_NS1_11comp_targetILNS1_3genE4ELNS1_11target_archE910ELNS1_3gpuE8ELNS1_3repE0EEENS1_30default_config_static_selectorELNS0_4arch9wavefront6targetE1EEEvT1_
; %bb.0:
	s_load_dwordx4 s[20:23], s[4:5], 0x0
	v_lshlrev_b32_e32 v20, 2, v0
	s_waitcnt lgkmcnt(0)
	s_load_dword s23, s[20:21], 0x0
	v_cmp_gt_u32_e32 vcc, s22, v0
	s_waitcnt lgkmcnt(0)
	v_mov_b32_e32 v1, s23
	s_and_saveexec_b64 s[0:1], vcc
	s_cbranch_execz .LBB1688_2
; %bb.1:
	global_load_dword v1, v20, s[20:21]
.LBB1688_2:
	s_or_b64 exec, exec, s[0:1]
	v_or_b32_e32 v2, 0x80, v0
	v_cmp_gt_u32_e64 s[0:1], s22, v2
	v_mov_b32_e32 v2, s23
	s_and_saveexec_b64 s[2:3], s[0:1]
	s_cbranch_execz .LBB1688_4
; %bb.3:
	global_load_dword v2, v20, s[20:21] offset:512
.LBB1688_4:
	s_or_b64 exec, exec, s[2:3]
	v_or_b32_e32 v3, 0x100, v0
	v_cmp_gt_u32_e64 s[2:3], s22, v3
	v_mov_b32_e32 v3, s23
	s_and_saveexec_b64 s[6:7], s[2:3]
	s_cbranch_execz .LBB1688_6
; %bb.5:
	global_load_dword v3, v20, s[20:21] offset:1024
.LBB1688_6:
	;; [unrolled: 9-line block ×7, first 2 shown]
	s_or_b64 exec, exec, s[14:15]
	v_or_b32_e32 v10, 0x400, v0
	v_cmp_gt_u32_e64 s[14:15], s22, v10
	v_mov_b32_e32 v9, s23
	s_and_saveexec_b64 s[16:17], s[14:15]
	s_cbranch_execz .LBB1688_18
; %bb.17:
	v_lshlrev_b32_e32 v9, 2, v10
	global_load_dword v9, v9, s[20:21]
.LBB1688_18:
	s_or_b64 exec, exec, s[16:17]
	v_or_b32_e32 v11, 0x480, v0
	v_cmp_gt_u32_e64 s[16:17], s22, v11
	v_mov_b32_e32 v10, s23
	s_and_saveexec_b64 s[22:23], s[16:17]
	s_cbranch_execz .LBB1688_20
; %bb.19:
	v_lshlrev_b32_e32 v10, 2, v11
	global_load_dword v10, v10, s[20:21]
.LBB1688_20:
	s_or_b64 exec, exec, s[22:23]
	s_waitcnt vmcnt(0)
	ds_write2st64_b32 v20, v1, v2 offset1:2
	ds_write2st64_b32 v20, v3, v4 offset0:4 offset1:6
	ds_write2st64_b32 v20, v5, v6 offset0:8 offset1:10
	;; [unrolled: 1-line block ×4, first 2 shown]
	v_mad_u32_u24 v1, v0, 36, v20
	s_waitcnt lgkmcnt(0)
	s_barrier
	ds_read2_b64 v[6:9], v1 offset1:1
	ds_read2_b64 v[2:5], v1 offset0:2 offset1:3
	ds_read_b64 v[18:19], v1 offset:32
	v_lshrrev_b32_e32 v21, 3, v0
	v_and_b32_e32 v21, 12, v21
	s_waitcnt lgkmcnt(2)
	v_add_u32_e32 v1, v7, v6
	v_add_u32_e32 v14, v1, v8
	;; [unrolled: 1-line block ×3, first 2 shown]
	s_waitcnt lgkmcnt(1)
	v_add_u32_e32 v10, v15, v2
	v_add_u32_e32 v11, v10, v3
	;; [unrolled: 1-line block ×4, first 2 shown]
	s_waitcnt lgkmcnt(0)
	v_add_u32_e32 v16, v13, v18
	v_add_u32_e32 v17, v16, v19
	;; [unrolled: 1-line block ×3, first 2 shown]
	v_cmp_gt_u32_e64 s[20:21], 64, v0
	s_barrier
	ds_write_b32 v21, v17
	s_waitcnt lgkmcnt(0)
	s_barrier
	s_and_saveexec_b64 s[22:23], s[20:21]
	s_cbranch_execz .LBB1688_22
; %bb.21:
	v_lshlrev_b32_e32 v21, 1, v0
	v_lshrrev_b32_e32 v22, 4, v0
	v_add_lshl_u32 v21, v22, v21, 2
	ds_read2_b32 v[22:23], v21 offset1:1
	v_mbcnt_lo_u32_b32 v24, -1, 0
	v_mbcnt_hi_u32_b32 v24, -1, v24
	v_and_b32_e32 v25, 15, v24
	v_cmp_ne_u32_e64 s[20:21], 0, v25
	s_waitcnt lgkmcnt(0)
	v_add_u32_e32 v23, v23, v22
	; wave barrier
	s_nop 1
	v_mov_b32_dpp v26, v23 row_shr:1 row_mask:0xf bank_mask:0xf
	v_cndmask_b32_e64 v26, 0, v26, s[20:21]
	v_add_u32_e32 v23, v26, v23
	v_cmp_lt_u32_e64 s[20:21], 1, v25
	s_nop 0
	v_mov_b32_dpp v26, v23 row_shr:2 row_mask:0xf bank_mask:0xf
	v_cndmask_b32_e64 v26, 0, v26, s[20:21]
	v_add_u32_e32 v23, v23, v26
	v_cmp_lt_u32_e64 s[20:21], 3, v25
	;; [unrolled: 5-line block ×3, first 2 shown]
	s_nop 0
	v_mov_b32_dpp v26, v23 row_shr:8 row_mask:0xf bank_mask:0xf
	v_cndmask_b32_e64 v25, 0, v26, s[20:21]
	v_add_u32_e32 v23, v23, v25
	v_bfe_i32 v26, v24, 4, 1
	v_cmp_lt_u32_e64 s[20:21], 31, v24
	v_mov_b32_dpp v25, v23 row_bcast:15 row_mask:0xf bank_mask:0xf
	v_and_b32_e32 v25, v26, v25
	v_add_u32_e32 v23, v23, v25
	v_and_b32_e32 v26, 64, v24
	s_nop 0
	v_mov_b32_dpp v25, v23 row_bcast:31 row_mask:0xf bank_mask:0xf
	v_cndmask_b32_e64 v25, 0, v25, s[20:21]
	v_add_u32_e32 v23, v23, v25
	v_add_u32_e32 v25, -1, v24
	v_cmp_lt_i32_e64 s[20:21], v25, v26
	v_cndmask_b32_e64 v24, v25, v24, s[20:21]
	v_lshlrev_b32_e32 v24, 2, v24
	ds_bpermute_b32 v23, v24, v23
	v_cmp_eq_u32_e64 s[20:21], 0, v0
	s_waitcnt lgkmcnt(0)
	v_add_u32_e32 v22, v23, v22
	v_cndmask_b32_e64 v22, v22, v17, s[20:21]
	ds_write_b32 v21, v22
	; wave barrier
	ds_read_b32 v23, v21 offset:4
	s_waitcnt lgkmcnt(0)
	v_add_u32_e32 v22, v23, v22
	ds_write_b32 v21, v22 offset:4
.LBB1688_22:
	s_or_b64 exec, exec, s[22:23]
	s_load_dwordx2 s[20:21], s[4:5], 0x18
	v_cmp_ne_u32_e64 s[4:5], 0, v0
	v_mov_b32_e32 v22, v17
	s_waitcnt lgkmcnt(0)
	s_barrier
	s_and_saveexec_b64 s[22:23], s[4:5]
	s_cbranch_execz .LBB1688_24
; %bb.23:
	v_add_u32_e32 v21, -1, v0
	v_lshrrev_b32_e32 v22, 5, v21
	v_add_lshl_u32 v21, v22, v21, 2
	ds_read_b32 v22, v21
.LBB1688_24:
	s_or_b64 exec, exec, s[22:23]
	v_mul_u32_u24_e32 v21, 36, v0
	v_mov_b32_e32 v0, v6
	s_and_saveexec_b64 s[22:23], s[4:5]
	s_cbranch_execz .LBB1688_26
; %bb.25:
	s_waitcnt lgkmcnt(0)
	v_add_u32_e32 v0, v22, v6
	v_add_u32_e32 v1, v0, v7
	;; [unrolled: 1-line block ×10, first 2 shown]
	;;#ASMSTART
	;;#ASMEND
.LBB1688_26:
	s_or_b64 exec, exec, s[22:23]
	v_add_u32_e32 v2, v20, v21
	s_waitcnt lgkmcnt(0)
	s_barrier
	ds_write2_b64 v2, v[0:1], v[14:15] offset1:1
	ds_write2_b64 v2, v[10:11], v[12:13] offset0:2 offset1:3
	ds_write_b64 v2, v[16:17] offset:32
	s_waitcnt lgkmcnt(0)
	s_barrier
	ds_read2st64_b32 v[8:9], v20 offset0:2 offset1:4
	ds_read2st64_b32 v[6:7], v20 offset0:6 offset1:8
	;; [unrolled: 1-line block ×4, first 2 shown]
	ds_read_b32 v10, v20 offset:4608
	v_mov_b32_e32 v1, s21
	v_add_co_u32_e64 v0, s[4:5], s20, v20
	v_addc_co_u32_e64 v1, s[4:5], 0, v1, s[4:5]
	s_and_saveexec_b64 s[4:5], vcc
	s_cbranch_execnz .LBB1688_37
; %bb.27:
	s_or_b64 exec, exec, s[4:5]
	s_and_saveexec_b64 s[4:5], s[0:1]
	s_cbranch_execnz .LBB1688_38
.LBB1688_28:
	s_or_b64 exec, exec, s[4:5]
	s_and_saveexec_b64 s[0:1], s[2:3]
	s_cbranch_execnz .LBB1688_39
.LBB1688_29:
	s_or_b64 exec, exec, s[0:1]
	s_and_saveexec_b64 s[0:1], s[18:19]
	s_cbranch_execnz .LBB1688_40
.LBB1688_30:
	s_or_b64 exec, exec, s[0:1]
	s_and_saveexec_b64 s[0:1], s[6:7]
	s_cbranch_execnz .LBB1688_41
.LBB1688_31:
	s_or_b64 exec, exec, s[0:1]
	s_and_saveexec_b64 s[0:1], s[8:9]
	s_cbranch_execnz .LBB1688_42
.LBB1688_32:
	s_or_b64 exec, exec, s[0:1]
	s_and_saveexec_b64 s[0:1], s[10:11]
	s_cbranch_execnz .LBB1688_43
.LBB1688_33:
	s_or_b64 exec, exec, s[0:1]
	s_and_saveexec_b64 s[0:1], s[12:13]
	s_cbranch_execnz .LBB1688_44
.LBB1688_34:
	s_or_b64 exec, exec, s[0:1]
	s_and_saveexec_b64 s[0:1], s[14:15]
	s_cbranch_execnz .LBB1688_45
.LBB1688_35:
	s_or_b64 exec, exec, s[0:1]
	s_and_saveexec_b64 s[0:1], s[16:17]
	s_cbranch_execnz .LBB1688_46
.LBB1688_36:
	s_endpgm
.LBB1688_37:
	ds_read_b32 v11, v20
	s_waitcnt lgkmcnt(0)
	v_cvt_f32_i32_e32 v11, v11
	global_store_dword v[0:1], v11, off
	s_or_b64 exec, exec, s[4:5]
	s_and_saveexec_b64 s[4:5], s[0:1]
	s_cbranch_execz .LBB1688_28
.LBB1688_38:
	s_waitcnt lgkmcnt(4)
	v_cvt_f32_i32_e32 v8, v8
	global_store_dword v[0:1], v8, off offset:512
	s_or_b64 exec, exec, s[4:5]
	s_and_saveexec_b64 s[0:1], s[2:3]
	s_cbranch_execz .LBB1688_29
.LBB1688_39:
	s_waitcnt lgkmcnt(4)
	v_cvt_f32_i32_e32 v8, v9
	global_store_dword v[0:1], v8, off offset:1024
	s_or_b64 exec, exec, s[0:1]
	s_and_saveexec_b64 s[0:1], s[18:19]
	s_cbranch_execz .LBB1688_30
.LBB1688_40:
	s_waitcnt lgkmcnt(3)
	v_cvt_f32_i32_e32 v6, v6
	global_store_dword v[0:1], v6, off offset:1536
	s_or_b64 exec, exec, s[0:1]
	s_and_saveexec_b64 s[0:1], s[6:7]
	s_cbranch_execz .LBB1688_31
.LBB1688_41:
	s_waitcnt lgkmcnt(3)
	v_cvt_f32_i32_e32 v6, v7
	global_store_dword v[0:1], v6, off offset:2048
	s_or_b64 exec, exec, s[0:1]
	s_and_saveexec_b64 s[0:1], s[8:9]
	s_cbranch_execz .LBB1688_32
.LBB1688_42:
	s_waitcnt lgkmcnt(2)
	v_cvt_f32_i32_e32 v4, v4
	global_store_dword v[0:1], v4, off offset:2560
	s_or_b64 exec, exec, s[0:1]
	s_and_saveexec_b64 s[0:1], s[10:11]
	s_cbranch_execz .LBB1688_33
.LBB1688_43:
	s_waitcnt lgkmcnt(2)
	v_cvt_f32_i32_e32 v4, v5
	global_store_dword v[0:1], v4, off offset:3072
	s_or_b64 exec, exec, s[0:1]
	s_and_saveexec_b64 s[0:1], s[12:13]
	s_cbranch_execz .LBB1688_34
.LBB1688_44:
	s_waitcnt lgkmcnt(1)
	v_cvt_f32_i32_e32 v2, v2
	global_store_dword v[0:1], v2, off offset:3584
	s_or_b64 exec, exec, s[0:1]
	s_and_saveexec_b64 s[0:1], s[14:15]
	s_cbranch_execz .LBB1688_35
.LBB1688_45:
	s_waitcnt lgkmcnt(1)
	v_cvt_f32_i32_e32 v4, v3
	v_add_co_u32_e32 v2, vcc, 0x1000, v0
	v_addc_co_u32_e32 v3, vcc, 0, v1, vcc
	global_store_dword v[2:3], v4, off
	s_or_b64 exec, exec, s[0:1]
	s_and_saveexec_b64 s[0:1], s[16:17]
	s_cbranch_execz .LBB1688_36
.LBB1688_46:
	s_waitcnt lgkmcnt(0)
	v_cvt_f32_i32_e32 v2, v10
	v_add_co_u32_e32 v0, vcc, 0x1000, v0
	v_addc_co_u32_e32 v1, vcc, 0, v1, vcc
	global_store_dword v[0:1], v2, off offset:512
	s_endpgm
	.section	.rodata,"a",@progbits
	.p2align	6, 0x0
	.amdhsa_kernel _ZN7rocprim17ROCPRIM_400000_NS6detail17trampoline_kernelINS0_14default_configENS1_20scan_config_selectorIiEEZZNS1_9scan_implILNS1_25lookback_scan_determinismE0ELb0ELb0ES3_N6thrust23THRUST_200600_302600_NS6detail15normal_iteratorINS9_10device_ptrIiEEEENSB_INSC_IfEEEEiNS9_4plusIvEEiEEDaPvRmT3_T4_T5_mT6_P12ihipStream_tbENKUlT_T0_E_clISt17integral_constantIbLb1EESV_IbLb0EEEEDaSR_SS_EUlSR_E0_NS1_11comp_targetILNS1_3genE4ELNS1_11target_archE910ELNS1_3gpuE8ELNS1_3repE0EEENS1_30default_config_static_selectorELNS0_4arch9wavefront6targetE1EEEvT1_
		.amdhsa_group_segment_fixed_size 5120
		.amdhsa_private_segment_fixed_size 0
		.amdhsa_kernarg_size 32
		.amdhsa_user_sgpr_count 6
		.amdhsa_user_sgpr_private_segment_buffer 1
		.amdhsa_user_sgpr_dispatch_ptr 0
		.amdhsa_user_sgpr_queue_ptr 0
		.amdhsa_user_sgpr_kernarg_segment_ptr 1
		.amdhsa_user_sgpr_dispatch_id 0
		.amdhsa_user_sgpr_flat_scratch_init 0
		.amdhsa_user_sgpr_kernarg_preload_length 0
		.amdhsa_user_sgpr_kernarg_preload_offset 0
		.amdhsa_user_sgpr_private_segment_size 0
		.amdhsa_uses_dynamic_stack 0
		.amdhsa_system_sgpr_private_segment_wavefront_offset 0
		.amdhsa_system_sgpr_workgroup_id_x 1
		.amdhsa_system_sgpr_workgroup_id_y 0
		.amdhsa_system_sgpr_workgroup_id_z 0
		.amdhsa_system_sgpr_workgroup_info 0
		.amdhsa_system_vgpr_workitem_id 0
		.amdhsa_next_free_vgpr 27
		.amdhsa_next_free_sgpr 24
		.amdhsa_accum_offset 28
		.amdhsa_reserve_vcc 1
		.amdhsa_reserve_flat_scratch 0
		.amdhsa_float_round_mode_32 0
		.amdhsa_float_round_mode_16_64 0
		.amdhsa_float_denorm_mode_32 3
		.amdhsa_float_denorm_mode_16_64 3
		.amdhsa_dx10_clamp 1
		.amdhsa_ieee_mode 1
		.amdhsa_fp16_overflow 0
		.amdhsa_tg_split 0
		.amdhsa_exception_fp_ieee_invalid_op 0
		.amdhsa_exception_fp_denorm_src 0
		.amdhsa_exception_fp_ieee_div_zero 0
		.amdhsa_exception_fp_ieee_overflow 0
		.amdhsa_exception_fp_ieee_underflow 0
		.amdhsa_exception_fp_ieee_inexact 0
		.amdhsa_exception_int_div_zero 0
	.end_amdhsa_kernel
	.section	.text._ZN7rocprim17ROCPRIM_400000_NS6detail17trampoline_kernelINS0_14default_configENS1_20scan_config_selectorIiEEZZNS1_9scan_implILNS1_25lookback_scan_determinismE0ELb0ELb0ES3_N6thrust23THRUST_200600_302600_NS6detail15normal_iteratorINS9_10device_ptrIiEEEENSB_INSC_IfEEEEiNS9_4plusIvEEiEEDaPvRmT3_T4_T5_mT6_P12ihipStream_tbENKUlT_T0_E_clISt17integral_constantIbLb1EESV_IbLb0EEEEDaSR_SS_EUlSR_E0_NS1_11comp_targetILNS1_3genE4ELNS1_11target_archE910ELNS1_3gpuE8ELNS1_3repE0EEENS1_30default_config_static_selectorELNS0_4arch9wavefront6targetE1EEEvT1_,"axG",@progbits,_ZN7rocprim17ROCPRIM_400000_NS6detail17trampoline_kernelINS0_14default_configENS1_20scan_config_selectorIiEEZZNS1_9scan_implILNS1_25lookback_scan_determinismE0ELb0ELb0ES3_N6thrust23THRUST_200600_302600_NS6detail15normal_iteratorINS9_10device_ptrIiEEEENSB_INSC_IfEEEEiNS9_4plusIvEEiEEDaPvRmT3_T4_T5_mT6_P12ihipStream_tbENKUlT_T0_E_clISt17integral_constantIbLb1EESV_IbLb0EEEEDaSR_SS_EUlSR_E0_NS1_11comp_targetILNS1_3genE4ELNS1_11target_archE910ELNS1_3gpuE8ELNS1_3repE0EEENS1_30default_config_static_selectorELNS0_4arch9wavefront6targetE1EEEvT1_,comdat
.Lfunc_end1688:
	.size	_ZN7rocprim17ROCPRIM_400000_NS6detail17trampoline_kernelINS0_14default_configENS1_20scan_config_selectorIiEEZZNS1_9scan_implILNS1_25lookback_scan_determinismE0ELb0ELb0ES3_N6thrust23THRUST_200600_302600_NS6detail15normal_iteratorINS9_10device_ptrIiEEEENSB_INSC_IfEEEEiNS9_4plusIvEEiEEDaPvRmT3_T4_T5_mT6_P12ihipStream_tbENKUlT_T0_E_clISt17integral_constantIbLb1EESV_IbLb0EEEEDaSR_SS_EUlSR_E0_NS1_11comp_targetILNS1_3genE4ELNS1_11target_archE910ELNS1_3gpuE8ELNS1_3repE0EEENS1_30default_config_static_selectorELNS0_4arch9wavefront6targetE1EEEvT1_, .Lfunc_end1688-_ZN7rocprim17ROCPRIM_400000_NS6detail17trampoline_kernelINS0_14default_configENS1_20scan_config_selectorIiEEZZNS1_9scan_implILNS1_25lookback_scan_determinismE0ELb0ELb0ES3_N6thrust23THRUST_200600_302600_NS6detail15normal_iteratorINS9_10device_ptrIiEEEENSB_INSC_IfEEEEiNS9_4plusIvEEiEEDaPvRmT3_T4_T5_mT6_P12ihipStream_tbENKUlT_T0_E_clISt17integral_constantIbLb1EESV_IbLb0EEEEDaSR_SS_EUlSR_E0_NS1_11comp_targetILNS1_3genE4ELNS1_11target_archE910ELNS1_3gpuE8ELNS1_3repE0EEENS1_30default_config_static_selectorELNS0_4arch9wavefront6targetE1EEEvT1_
                                        ; -- End function
	.section	.AMDGPU.csdata,"",@progbits
; Kernel info:
; codeLenInByte = 1592
; NumSgprs: 28
; NumVgprs: 27
; NumAgprs: 0
; TotalNumVgprs: 27
; ScratchSize: 0
; MemoryBound: 0
; FloatMode: 240
; IeeeMode: 1
; LDSByteSize: 5120 bytes/workgroup (compile time only)
; SGPRBlocks: 3
; VGPRBlocks: 3
; NumSGPRsForWavesPerEU: 28
; NumVGPRsForWavesPerEU: 27
; AccumOffset: 28
; Occupancy: 6
; WaveLimiterHint : 0
; COMPUTE_PGM_RSRC2:SCRATCH_EN: 0
; COMPUTE_PGM_RSRC2:USER_SGPR: 6
; COMPUTE_PGM_RSRC2:TRAP_HANDLER: 0
; COMPUTE_PGM_RSRC2:TGID_X_EN: 1
; COMPUTE_PGM_RSRC2:TGID_Y_EN: 0
; COMPUTE_PGM_RSRC2:TGID_Z_EN: 0
; COMPUTE_PGM_RSRC2:TIDIG_COMP_CNT: 0
; COMPUTE_PGM_RSRC3_GFX90A:ACCUM_OFFSET: 6
; COMPUTE_PGM_RSRC3_GFX90A:TG_SPLIT: 0
	.section	.text._ZN7rocprim17ROCPRIM_400000_NS6detail17trampoline_kernelINS0_14default_configENS1_20scan_config_selectorIiEEZZNS1_9scan_implILNS1_25lookback_scan_determinismE0ELb0ELb0ES3_N6thrust23THRUST_200600_302600_NS6detail15normal_iteratorINS9_10device_ptrIiEEEENSB_INSC_IfEEEEiNS9_4plusIvEEiEEDaPvRmT3_T4_T5_mT6_P12ihipStream_tbENKUlT_T0_E_clISt17integral_constantIbLb1EESV_IbLb0EEEEDaSR_SS_EUlSR_E0_NS1_11comp_targetILNS1_3genE3ELNS1_11target_archE908ELNS1_3gpuE7ELNS1_3repE0EEENS1_30default_config_static_selectorELNS0_4arch9wavefront6targetE1EEEvT1_,"axG",@progbits,_ZN7rocprim17ROCPRIM_400000_NS6detail17trampoline_kernelINS0_14default_configENS1_20scan_config_selectorIiEEZZNS1_9scan_implILNS1_25lookback_scan_determinismE0ELb0ELb0ES3_N6thrust23THRUST_200600_302600_NS6detail15normal_iteratorINS9_10device_ptrIiEEEENSB_INSC_IfEEEEiNS9_4plusIvEEiEEDaPvRmT3_T4_T5_mT6_P12ihipStream_tbENKUlT_T0_E_clISt17integral_constantIbLb1EESV_IbLb0EEEEDaSR_SS_EUlSR_E0_NS1_11comp_targetILNS1_3genE3ELNS1_11target_archE908ELNS1_3gpuE7ELNS1_3repE0EEENS1_30default_config_static_selectorELNS0_4arch9wavefront6targetE1EEEvT1_,comdat
	.protected	_ZN7rocprim17ROCPRIM_400000_NS6detail17trampoline_kernelINS0_14default_configENS1_20scan_config_selectorIiEEZZNS1_9scan_implILNS1_25lookback_scan_determinismE0ELb0ELb0ES3_N6thrust23THRUST_200600_302600_NS6detail15normal_iteratorINS9_10device_ptrIiEEEENSB_INSC_IfEEEEiNS9_4plusIvEEiEEDaPvRmT3_T4_T5_mT6_P12ihipStream_tbENKUlT_T0_E_clISt17integral_constantIbLb1EESV_IbLb0EEEEDaSR_SS_EUlSR_E0_NS1_11comp_targetILNS1_3genE3ELNS1_11target_archE908ELNS1_3gpuE7ELNS1_3repE0EEENS1_30default_config_static_selectorELNS0_4arch9wavefront6targetE1EEEvT1_ ; -- Begin function _ZN7rocprim17ROCPRIM_400000_NS6detail17trampoline_kernelINS0_14default_configENS1_20scan_config_selectorIiEEZZNS1_9scan_implILNS1_25lookback_scan_determinismE0ELb0ELb0ES3_N6thrust23THRUST_200600_302600_NS6detail15normal_iteratorINS9_10device_ptrIiEEEENSB_INSC_IfEEEEiNS9_4plusIvEEiEEDaPvRmT3_T4_T5_mT6_P12ihipStream_tbENKUlT_T0_E_clISt17integral_constantIbLb1EESV_IbLb0EEEEDaSR_SS_EUlSR_E0_NS1_11comp_targetILNS1_3genE3ELNS1_11target_archE908ELNS1_3gpuE7ELNS1_3repE0EEENS1_30default_config_static_selectorELNS0_4arch9wavefront6targetE1EEEvT1_
	.globl	_ZN7rocprim17ROCPRIM_400000_NS6detail17trampoline_kernelINS0_14default_configENS1_20scan_config_selectorIiEEZZNS1_9scan_implILNS1_25lookback_scan_determinismE0ELb0ELb0ES3_N6thrust23THRUST_200600_302600_NS6detail15normal_iteratorINS9_10device_ptrIiEEEENSB_INSC_IfEEEEiNS9_4plusIvEEiEEDaPvRmT3_T4_T5_mT6_P12ihipStream_tbENKUlT_T0_E_clISt17integral_constantIbLb1EESV_IbLb0EEEEDaSR_SS_EUlSR_E0_NS1_11comp_targetILNS1_3genE3ELNS1_11target_archE908ELNS1_3gpuE7ELNS1_3repE0EEENS1_30default_config_static_selectorELNS0_4arch9wavefront6targetE1EEEvT1_
	.p2align	8
	.type	_ZN7rocprim17ROCPRIM_400000_NS6detail17trampoline_kernelINS0_14default_configENS1_20scan_config_selectorIiEEZZNS1_9scan_implILNS1_25lookback_scan_determinismE0ELb0ELb0ES3_N6thrust23THRUST_200600_302600_NS6detail15normal_iteratorINS9_10device_ptrIiEEEENSB_INSC_IfEEEEiNS9_4plusIvEEiEEDaPvRmT3_T4_T5_mT6_P12ihipStream_tbENKUlT_T0_E_clISt17integral_constantIbLb1EESV_IbLb0EEEEDaSR_SS_EUlSR_E0_NS1_11comp_targetILNS1_3genE3ELNS1_11target_archE908ELNS1_3gpuE7ELNS1_3repE0EEENS1_30default_config_static_selectorELNS0_4arch9wavefront6targetE1EEEvT1_,@function
_ZN7rocprim17ROCPRIM_400000_NS6detail17trampoline_kernelINS0_14default_configENS1_20scan_config_selectorIiEEZZNS1_9scan_implILNS1_25lookback_scan_determinismE0ELb0ELb0ES3_N6thrust23THRUST_200600_302600_NS6detail15normal_iteratorINS9_10device_ptrIiEEEENSB_INSC_IfEEEEiNS9_4plusIvEEiEEDaPvRmT3_T4_T5_mT6_P12ihipStream_tbENKUlT_T0_E_clISt17integral_constantIbLb1EESV_IbLb0EEEEDaSR_SS_EUlSR_E0_NS1_11comp_targetILNS1_3genE3ELNS1_11target_archE908ELNS1_3gpuE7ELNS1_3repE0EEENS1_30default_config_static_selectorELNS0_4arch9wavefront6targetE1EEEvT1_: ; @_ZN7rocprim17ROCPRIM_400000_NS6detail17trampoline_kernelINS0_14default_configENS1_20scan_config_selectorIiEEZZNS1_9scan_implILNS1_25lookback_scan_determinismE0ELb0ELb0ES3_N6thrust23THRUST_200600_302600_NS6detail15normal_iteratorINS9_10device_ptrIiEEEENSB_INSC_IfEEEEiNS9_4plusIvEEiEEDaPvRmT3_T4_T5_mT6_P12ihipStream_tbENKUlT_T0_E_clISt17integral_constantIbLb1EESV_IbLb0EEEEDaSR_SS_EUlSR_E0_NS1_11comp_targetILNS1_3genE3ELNS1_11target_archE908ELNS1_3gpuE7ELNS1_3repE0EEENS1_30default_config_static_selectorELNS0_4arch9wavefront6targetE1EEEvT1_
; %bb.0:
	.section	.rodata,"a",@progbits
	.p2align	6, 0x0
	.amdhsa_kernel _ZN7rocprim17ROCPRIM_400000_NS6detail17trampoline_kernelINS0_14default_configENS1_20scan_config_selectorIiEEZZNS1_9scan_implILNS1_25lookback_scan_determinismE0ELb0ELb0ES3_N6thrust23THRUST_200600_302600_NS6detail15normal_iteratorINS9_10device_ptrIiEEEENSB_INSC_IfEEEEiNS9_4plusIvEEiEEDaPvRmT3_T4_T5_mT6_P12ihipStream_tbENKUlT_T0_E_clISt17integral_constantIbLb1EESV_IbLb0EEEEDaSR_SS_EUlSR_E0_NS1_11comp_targetILNS1_3genE3ELNS1_11target_archE908ELNS1_3gpuE7ELNS1_3repE0EEENS1_30default_config_static_selectorELNS0_4arch9wavefront6targetE1EEEvT1_
		.amdhsa_group_segment_fixed_size 0
		.amdhsa_private_segment_fixed_size 0
		.amdhsa_kernarg_size 32
		.amdhsa_user_sgpr_count 6
		.amdhsa_user_sgpr_private_segment_buffer 1
		.amdhsa_user_sgpr_dispatch_ptr 0
		.amdhsa_user_sgpr_queue_ptr 0
		.amdhsa_user_sgpr_kernarg_segment_ptr 1
		.amdhsa_user_sgpr_dispatch_id 0
		.amdhsa_user_sgpr_flat_scratch_init 0
		.amdhsa_user_sgpr_kernarg_preload_length 0
		.amdhsa_user_sgpr_kernarg_preload_offset 0
		.amdhsa_user_sgpr_private_segment_size 0
		.amdhsa_uses_dynamic_stack 0
		.amdhsa_system_sgpr_private_segment_wavefront_offset 0
		.amdhsa_system_sgpr_workgroup_id_x 1
		.amdhsa_system_sgpr_workgroup_id_y 0
		.amdhsa_system_sgpr_workgroup_id_z 0
		.amdhsa_system_sgpr_workgroup_info 0
		.amdhsa_system_vgpr_workitem_id 0
		.amdhsa_next_free_vgpr 1
		.amdhsa_next_free_sgpr 0
		.amdhsa_accum_offset 4
		.amdhsa_reserve_vcc 0
		.amdhsa_reserve_flat_scratch 0
		.amdhsa_float_round_mode_32 0
		.amdhsa_float_round_mode_16_64 0
		.amdhsa_float_denorm_mode_32 3
		.amdhsa_float_denorm_mode_16_64 3
		.amdhsa_dx10_clamp 1
		.amdhsa_ieee_mode 1
		.amdhsa_fp16_overflow 0
		.amdhsa_tg_split 0
		.amdhsa_exception_fp_ieee_invalid_op 0
		.amdhsa_exception_fp_denorm_src 0
		.amdhsa_exception_fp_ieee_div_zero 0
		.amdhsa_exception_fp_ieee_overflow 0
		.amdhsa_exception_fp_ieee_underflow 0
		.amdhsa_exception_fp_ieee_inexact 0
		.amdhsa_exception_int_div_zero 0
	.end_amdhsa_kernel
	.section	.text._ZN7rocprim17ROCPRIM_400000_NS6detail17trampoline_kernelINS0_14default_configENS1_20scan_config_selectorIiEEZZNS1_9scan_implILNS1_25lookback_scan_determinismE0ELb0ELb0ES3_N6thrust23THRUST_200600_302600_NS6detail15normal_iteratorINS9_10device_ptrIiEEEENSB_INSC_IfEEEEiNS9_4plusIvEEiEEDaPvRmT3_T4_T5_mT6_P12ihipStream_tbENKUlT_T0_E_clISt17integral_constantIbLb1EESV_IbLb0EEEEDaSR_SS_EUlSR_E0_NS1_11comp_targetILNS1_3genE3ELNS1_11target_archE908ELNS1_3gpuE7ELNS1_3repE0EEENS1_30default_config_static_selectorELNS0_4arch9wavefront6targetE1EEEvT1_,"axG",@progbits,_ZN7rocprim17ROCPRIM_400000_NS6detail17trampoline_kernelINS0_14default_configENS1_20scan_config_selectorIiEEZZNS1_9scan_implILNS1_25lookback_scan_determinismE0ELb0ELb0ES3_N6thrust23THRUST_200600_302600_NS6detail15normal_iteratorINS9_10device_ptrIiEEEENSB_INSC_IfEEEEiNS9_4plusIvEEiEEDaPvRmT3_T4_T5_mT6_P12ihipStream_tbENKUlT_T0_E_clISt17integral_constantIbLb1EESV_IbLb0EEEEDaSR_SS_EUlSR_E0_NS1_11comp_targetILNS1_3genE3ELNS1_11target_archE908ELNS1_3gpuE7ELNS1_3repE0EEENS1_30default_config_static_selectorELNS0_4arch9wavefront6targetE1EEEvT1_,comdat
.Lfunc_end1689:
	.size	_ZN7rocprim17ROCPRIM_400000_NS6detail17trampoline_kernelINS0_14default_configENS1_20scan_config_selectorIiEEZZNS1_9scan_implILNS1_25lookback_scan_determinismE0ELb0ELb0ES3_N6thrust23THRUST_200600_302600_NS6detail15normal_iteratorINS9_10device_ptrIiEEEENSB_INSC_IfEEEEiNS9_4plusIvEEiEEDaPvRmT3_T4_T5_mT6_P12ihipStream_tbENKUlT_T0_E_clISt17integral_constantIbLb1EESV_IbLb0EEEEDaSR_SS_EUlSR_E0_NS1_11comp_targetILNS1_3genE3ELNS1_11target_archE908ELNS1_3gpuE7ELNS1_3repE0EEENS1_30default_config_static_selectorELNS0_4arch9wavefront6targetE1EEEvT1_, .Lfunc_end1689-_ZN7rocprim17ROCPRIM_400000_NS6detail17trampoline_kernelINS0_14default_configENS1_20scan_config_selectorIiEEZZNS1_9scan_implILNS1_25lookback_scan_determinismE0ELb0ELb0ES3_N6thrust23THRUST_200600_302600_NS6detail15normal_iteratorINS9_10device_ptrIiEEEENSB_INSC_IfEEEEiNS9_4plusIvEEiEEDaPvRmT3_T4_T5_mT6_P12ihipStream_tbENKUlT_T0_E_clISt17integral_constantIbLb1EESV_IbLb0EEEEDaSR_SS_EUlSR_E0_NS1_11comp_targetILNS1_3genE3ELNS1_11target_archE908ELNS1_3gpuE7ELNS1_3repE0EEENS1_30default_config_static_selectorELNS0_4arch9wavefront6targetE1EEEvT1_
                                        ; -- End function
	.section	.AMDGPU.csdata,"",@progbits
; Kernel info:
; codeLenInByte = 0
; NumSgprs: 4
; NumVgprs: 0
; NumAgprs: 0
; TotalNumVgprs: 0
; ScratchSize: 0
; MemoryBound: 0
; FloatMode: 240
; IeeeMode: 1
; LDSByteSize: 0 bytes/workgroup (compile time only)
; SGPRBlocks: 0
; VGPRBlocks: 0
; NumSGPRsForWavesPerEU: 4
; NumVGPRsForWavesPerEU: 1
; AccumOffset: 4
; Occupancy: 8
; WaveLimiterHint : 0
; COMPUTE_PGM_RSRC2:SCRATCH_EN: 0
; COMPUTE_PGM_RSRC2:USER_SGPR: 6
; COMPUTE_PGM_RSRC2:TRAP_HANDLER: 0
; COMPUTE_PGM_RSRC2:TGID_X_EN: 1
; COMPUTE_PGM_RSRC2:TGID_Y_EN: 0
; COMPUTE_PGM_RSRC2:TGID_Z_EN: 0
; COMPUTE_PGM_RSRC2:TIDIG_COMP_CNT: 0
; COMPUTE_PGM_RSRC3_GFX90A:ACCUM_OFFSET: 0
; COMPUTE_PGM_RSRC3_GFX90A:TG_SPLIT: 0
	.section	.text._ZN7rocprim17ROCPRIM_400000_NS6detail17trampoline_kernelINS0_14default_configENS1_20scan_config_selectorIiEEZZNS1_9scan_implILNS1_25lookback_scan_determinismE0ELb0ELb0ES3_N6thrust23THRUST_200600_302600_NS6detail15normal_iteratorINS9_10device_ptrIiEEEENSB_INSC_IfEEEEiNS9_4plusIvEEiEEDaPvRmT3_T4_T5_mT6_P12ihipStream_tbENKUlT_T0_E_clISt17integral_constantIbLb1EESV_IbLb0EEEEDaSR_SS_EUlSR_E0_NS1_11comp_targetILNS1_3genE2ELNS1_11target_archE906ELNS1_3gpuE6ELNS1_3repE0EEENS1_30default_config_static_selectorELNS0_4arch9wavefront6targetE1EEEvT1_,"axG",@progbits,_ZN7rocprim17ROCPRIM_400000_NS6detail17trampoline_kernelINS0_14default_configENS1_20scan_config_selectorIiEEZZNS1_9scan_implILNS1_25lookback_scan_determinismE0ELb0ELb0ES3_N6thrust23THRUST_200600_302600_NS6detail15normal_iteratorINS9_10device_ptrIiEEEENSB_INSC_IfEEEEiNS9_4plusIvEEiEEDaPvRmT3_T4_T5_mT6_P12ihipStream_tbENKUlT_T0_E_clISt17integral_constantIbLb1EESV_IbLb0EEEEDaSR_SS_EUlSR_E0_NS1_11comp_targetILNS1_3genE2ELNS1_11target_archE906ELNS1_3gpuE6ELNS1_3repE0EEENS1_30default_config_static_selectorELNS0_4arch9wavefront6targetE1EEEvT1_,comdat
	.protected	_ZN7rocprim17ROCPRIM_400000_NS6detail17trampoline_kernelINS0_14default_configENS1_20scan_config_selectorIiEEZZNS1_9scan_implILNS1_25lookback_scan_determinismE0ELb0ELb0ES3_N6thrust23THRUST_200600_302600_NS6detail15normal_iteratorINS9_10device_ptrIiEEEENSB_INSC_IfEEEEiNS9_4plusIvEEiEEDaPvRmT3_T4_T5_mT6_P12ihipStream_tbENKUlT_T0_E_clISt17integral_constantIbLb1EESV_IbLb0EEEEDaSR_SS_EUlSR_E0_NS1_11comp_targetILNS1_3genE2ELNS1_11target_archE906ELNS1_3gpuE6ELNS1_3repE0EEENS1_30default_config_static_selectorELNS0_4arch9wavefront6targetE1EEEvT1_ ; -- Begin function _ZN7rocprim17ROCPRIM_400000_NS6detail17trampoline_kernelINS0_14default_configENS1_20scan_config_selectorIiEEZZNS1_9scan_implILNS1_25lookback_scan_determinismE0ELb0ELb0ES3_N6thrust23THRUST_200600_302600_NS6detail15normal_iteratorINS9_10device_ptrIiEEEENSB_INSC_IfEEEEiNS9_4plusIvEEiEEDaPvRmT3_T4_T5_mT6_P12ihipStream_tbENKUlT_T0_E_clISt17integral_constantIbLb1EESV_IbLb0EEEEDaSR_SS_EUlSR_E0_NS1_11comp_targetILNS1_3genE2ELNS1_11target_archE906ELNS1_3gpuE6ELNS1_3repE0EEENS1_30default_config_static_selectorELNS0_4arch9wavefront6targetE1EEEvT1_
	.globl	_ZN7rocprim17ROCPRIM_400000_NS6detail17trampoline_kernelINS0_14default_configENS1_20scan_config_selectorIiEEZZNS1_9scan_implILNS1_25lookback_scan_determinismE0ELb0ELb0ES3_N6thrust23THRUST_200600_302600_NS6detail15normal_iteratorINS9_10device_ptrIiEEEENSB_INSC_IfEEEEiNS9_4plusIvEEiEEDaPvRmT3_T4_T5_mT6_P12ihipStream_tbENKUlT_T0_E_clISt17integral_constantIbLb1EESV_IbLb0EEEEDaSR_SS_EUlSR_E0_NS1_11comp_targetILNS1_3genE2ELNS1_11target_archE906ELNS1_3gpuE6ELNS1_3repE0EEENS1_30default_config_static_selectorELNS0_4arch9wavefront6targetE1EEEvT1_
	.p2align	8
	.type	_ZN7rocprim17ROCPRIM_400000_NS6detail17trampoline_kernelINS0_14default_configENS1_20scan_config_selectorIiEEZZNS1_9scan_implILNS1_25lookback_scan_determinismE0ELb0ELb0ES3_N6thrust23THRUST_200600_302600_NS6detail15normal_iteratorINS9_10device_ptrIiEEEENSB_INSC_IfEEEEiNS9_4plusIvEEiEEDaPvRmT3_T4_T5_mT6_P12ihipStream_tbENKUlT_T0_E_clISt17integral_constantIbLb1EESV_IbLb0EEEEDaSR_SS_EUlSR_E0_NS1_11comp_targetILNS1_3genE2ELNS1_11target_archE906ELNS1_3gpuE6ELNS1_3repE0EEENS1_30default_config_static_selectorELNS0_4arch9wavefront6targetE1EEEvT1_,@function
_ZN7rocprim17ROCPRIM_400000_NS6detail17trampoline_kernelINS0_14default_configENS1_20scan_config_selectorIiEEZZNS1_9scan_implILNS1_25lookback_scan_determinismE0ELb0ELb0ES3_N6thrust23THRUST_200600_302600_NS6detail15normal_iteratorINS9_10device_ptrIiEEEENSB_INSC_IfEEEEiNS9_4plusIvEEiEEDaPvRmT3_T4_T5_mT6_P12ihipStream_tbENKUlT_T0_E_clISt17integral_constantIbLb1EESV_IbLb0EEEEDaSR_SS_EUlSR_E0_NS1_11comp_targetILNS1_3genE2ELNS1_11target_archE906ELNS1_3gpuE6ELNS1_3repE0EEENS1_30default_config_static_selectorELNS0_4arch9wavefront6targetE1EEEvT1_: ; @_ZN7rocprim17ROCPRIM_400000_NS6detail17trampoline_kernelINS0_14default_configENS1_20scan_config_selectorIiEEZZNS1_9scan_implILNS1_25lookback_scan_determinismE0ELb0ELb0ES3_N6thrust23THRUST_200600_302600_NS6detail15normal_iteratorINS9_10device_ptrIiEEEENSB_INSC_IfEEEEiNS9_4plusIvEEiEEDaPvRmT3_T4_T5_mT6_P12ihipStream_tbENKUlT_T0_E_clISt17integral_constantIbLb1EESV_IbLb0EEEEDaSR_SS_EUlSR_E0_NS1_11comp_targetILNS1_3genE2ELNS1_11target_archE906ELNS1_3gpuE6ELNS1_3repE0EEENS1_30default_config_static_selectorELNS0_4arch9wavefront6targetE1EEEvT1_
; %bb.0:
	.section	.rodata,"a",@progbits
	.p2align	6, 0x0
	.amdhsa_kernel _ZN7rocprim17ROCPRIM_400000_NS6detail17trampoline_kernelINS0_14default_configENS1_20scan_config_selectorIiEEZZNS1_9scan_implILNS1_25lookback_scan_determinismE0ELb0ELb0ES3_N6thrust23THRUST_200600_302600_NS6detail15normal_iteratorINS9_10device_ptrIiEEEENSB_INSC_IfEEEEiNS9_4plusIvEEiEEDaPvRmT3_T4_T5_mT6_P12ihipStream_tbENKUlT_T0_E_clISt17integral_constantIbLb1EESV_IbLb0EEEEDaSR_SS_EUlSR_E0_NS1_11comp_targetILNS1_3genE2ELNS1_11target_archE906ELNS1_3gpuE6ELNS1_3repE0EEENS1_30default_config_static_selectorELNS0_4arch9wavefront6targetE1EEEvT1_
		.amdhsa_group_segment_fixed_size 0
		.amdhsa_private_segment_fixed_size 0
		.amdhsa_kernarg_size 32
		.amdhsa_user_sgpr_count 6
		.amdhsa_user_sgpr_private_segment_buffer 1
		.amdhsa_user_sgpr_dispatch_ptr 0
		.amdhsa_user_sgpr_queue_ptr 0
		.amdhsa_user_sgpr_kernarg_segment_ptr 1
		.amdhsa_user_sgpr_dispatch_id 0
		.amdhsa_user_sgpr_flat_scratch_init 0
		.amdhsa_user_sgpr_kernarg_preload_length 0
		.amdhsa_user_sgpr_kernarg_preload_offset 0
		.amdhsa_user_sgpr_private_segment_size 0
		.amdhsa_uses_dynamic_stack 0
		.amdhsa_system_sgpr_private_segment_wavefront_offset 0
		.amdhsa_system_sgpr_workgroup_id_x 1
		.amdhsa_system_sgpr_workgroup_id_y 0
		.amdhsa_system_sgpr_workgroup_id_z 0
		.amdhsa_system_sgpr_workgroup_info 0
		.amdhsa_system_vgpr_workitem_id 0
		.amdhsa_next_free_vgpr 1
		.amdhsa_next_free_sgpr 0
		.amdhsa_accum_offset 4
		.amdhsa_reserve_vcc 0
		.amdhsa_reserve_flat_scratch 0
		.amdhsa_float_round_mode_32 0
		.amdhsa_float_round_mode_16_64 0
		.amdhsa_float_denorm_mode_32 3
		.amdhsa_float_denorm_mode_16_64 3
		.amdhsa_dx10_clamp 1
		.amdhsa_ieee_mode 1
		.amdhsa_fp16_overflow 0
		.amdhsa_tg_split 0
		.amdhsa_exception_fp_ieee_invalid_op 0
		.amdhsa_exception_fp_denorm_src 0
		.amdhsa_exception_fp_ieee_div_zero 0
		.amdhsa_exception_fp_ieee_overflow 0
		.amdhsa_exception_fp_ieee_underflow 0
		.amdhsa_exception_fp_ieee_inexact 0
		.amdhsa_exception_int_div_zero 0
	.end_amdhsa_kernel
	.section	.text._ZN7rocprim17ROCPRIM_400000_NS6detail17trampoline_kernelINS0_14default_configENS1_20scan_config_selectorIiEEZZNS1_9scan_implILNS1_25lookback_scan_determinismE0ELb0ELb0ES3_N6thrust23THRUST_200600_302600_NS6detail15normal_iteratorINS9_10device_ptrIiEEEENSB_INSC_IfEEEEiNS9_4plusIvEEiEEDaPvRmT3_T4_T5_mT6_P12ihipStream_tbENKUlT_T0_E_clISt17integral_constantIbLb1EESV_IbLb0EEEEDaSR_SS_EUlSR_E0_NS1_11comp_targetILNS1_3genE2ELNS1_11target_archE906ELNS1_3gpuE6ELNS1_3repE0EEENS1_30default_config_static_selectorELNS0_4arch9wavefront6targetE1EEEvT1_,"axG",@progbits,_ZN7rocprim17ROCPRIM_400000_NS6detail17trampoline_kernelINS0_14default_configENS1_20scan_config_selectorIiEEZZNS1_9scan_implILNS1_25lookback_scan_determinismE0ELb0ELb0ES3_N6thrust23THRUST_200600_302600_NS6detail15normal_iteratorINS9_10device_ptrIiEEEENSB_INSC_IfEEEEiNS9_4plusIvEEiEEDaPvRmT3_T4_T5_mT6_P12ihipStream_tbENKUlT_T0_E_clISt17integral_constantIbLb1EESV_IbLb0EEEEDaSR_SS_EUlSR_E0_NS1_11comp_targetILNS1_3genE2ELNS1_11target_archE906ELNS1_3gpuE6ELNS1_3repE0EEENS1_30default_config_static_selectorELNS0_4arch9wavefront6targetE1EEEvT1_,comdat
.Lfunc_end1690:
	.size	_ZN7rocprim17ROCPRIM_400000_NS6detail17trampoline_kernelINS0_14default_configENS1_20scan_config_selectorIiEEZZNS1_9scan_implILNS1_25lookback_scan_determinismE0ELb0ELb0ES3_N6thrust23THRUST_200600_302600_NS6detail15normal_iteratorINS9_10device_ptrIiEEEENSB_INSC_IfEEEEiNS9_4plusIvEEiEEDaPvRmT3_T4_T5_mT6_P12ihipStream_tbENKUlT_T0_E_clISt17integral_constantIbLb1EESV_IbLb0EEEEDaSR_SS_EUlSR_E0_NS1_11comp_targetILNS1_3genE2ELNS1_11target_archE906ELNS1_3gpuE6ELNS1_3repE0EEENS1_30default_config_static_selectorELNS0_4arch9wavefront6targetE1EEEvT1_, .Lfunc_end1690-_ZN7rocprim17ROCPRIM_400000_NS6detail17trampoline_kernelINS0_14default_configENS1_20scan_config_selectorIiEEZZNS1_9scan_implILNS1_25lookback_scan_determinismE0ELb0ELb0ES3_N6thrust23THRUST_200600_302600_NS6detail15normal_iteratorINS9_10device_ptrIiEEEENSB_INSC_IfEEEEiNS9_4plusIvEEiEEDaPvRmT3_T4_T5_mT6_P12ihipStream_tbENKUlT_T0_E_clISt17integral_constantIbLb1EESV_IbLb0EEEEDaSR_SS_EUlSR_E0_NS1_11comp_targetILNS1_3genE2ELNS1_11target_archE906ELNS1_3gpuE6ELNS1_3repE0EEENS1_30default_config_static_selectorELNS0_4arch9wavefront6targetE1EEEvT1_
                                        ; -- End function
	.section	.AMDGPU.csdata,"",@progbits
; Kernel info:
; codeLenInByte = 0
; NumSgprs: 4
; NumVgprs: 0
; NumAgprs: 0
; TotalNumVgprs: 0
; ScratchSize: 0
; MemoryBound: 0
; FloatMode: 240
; IeeeMode: 1
; LDSByteSize: 0 bytes/workgroup (compile time only)
; SGPRBlocks: 0
; VGPRBlocks: 0
; NumSGPRsForWavesPerEU: 4
; NumVGPRsForWavesPerEU: 1
; AccumOffset: 4
; Occupancy: 8
; WaveLimiterHint : 0
; COMPUTE_PGM_RSRC2:SCRATCH_EN: 0
; COMPUTE_PGM_RSRC2:USER_SGPR: 6
; COMPUTE_PGM_RSRC2:TRAP_HANDLER: 0
; COMPUTE_PGM_RSRC2:TGID_X_EN: 1
; COMPUTE_PGM_RSRC2:TGID_Y_EN: 0
; COMPUTE_PGM_RSRC2:TGID_Z_EN: 0
; COMPUTE_PGM_RSRC2:TIDIG_COMP_CNT: 0
; COMPUTE_PGM_RSRC3_GFX90A:ACCUM_OFFSET: 0
; COMPUTE_PGM_RSRC3_GFX90A:TG_SPLIT: 0
	.section	.text._ZN7rocprim17ROCPRIM_400000_NS6detail17trampoline_kernelINS0_14default_configENS1_20scan_config_selectorIiEEZZNS1_9scan_implILNS1_25lookback_scan_determinismE0ELb0ELb0ES3_N6thrust23THRUST_200600_302600_NS6detail15normal_iteratorINS9_10device_ptrIiEEEENSB_INSC_IfEEEEiNS9_4plusIvEEiEEDaPvRmT3_T4_T5_mT6_P12ihipStream_tbENKUlT_T0_E_clISt17integral_constantIbLb1EESV_IbLb0EEEEDaSR_SS_EUlSR_E0_NS1_11comp_targetILNS1_3genE10ELNS1_11target_archE1201ELNS1_3gpuE5ELNS1_3repE0EEENS1_30default_config_static_selectorELNS0_4arch9wavefront6targetE1EEEvT1_,"axG",@progbits,_ZN7rocprim17ROCPRIM_400000_NS6detail17trampoline_kernelINS0_14default_configENS1_20scan_config_selectorIiEEZZNS1_9scan_implILNS1_25lookback_scan_determinismE0ELb0ELb0ES3_N6thrust23THRUST_200600_302600_NS6detail15normal_iteratorINS9_10device_ptrIiEEEENSB_INSC_IfEEEEiNS9_4plusIvEEiEEDaPvRmT3_T4_T5_mT6_P12ihipStream_tbENKUlT_T0_E_clISt17integral_constantIbLb1EESV_IbLb0EEEEDaSR_SS_EUlSR_E0_NS1_11comp_targetILNS1_3genE10ELNS1_11target_archE1201ELNS1_3gpuE5ELNS1_3repE0EEENS1_30default_config_static_selectorELNS0_4arch9wavefront6targetE1EEEvT1_,comdat
	.protected	_ZN7rocprim17ROCPRIM_400000_NS6detail17trampoline_kernelINS0_14default_configENS1_20scan_config_selectorIiEEZZNS1_9scan_implILNS1_25lookback_scan_determinismE0ELb0ELb0ES3_N6thrust23THRUST_200600_302600_NS6detail15normal_iteratorINS9_10device_ptrIiEEEENSB_INSC_IfEEEEiNS9_4plusIvEEiEEDaPvRmT3_T4_T5_mT6_P12ihipStream_tbENKUlT_T0_E_clISt17integral_constantIbLb1EESV_IbLb0EEEEDaSR_SS_EUlSR_E0_NS1_11comp_targetILNS1_3genE10ELNS1_11target_archE1201ELNS1_3gpuE5ELNS1_3repE0EEENS1_30default_config_static_selectorELNS0_4arch9wavefront6targetE1EEEvT1_ ; -- Begin function _ZN7rocprim17ROCPRIM_400000_NS6detail17trampoline_kernelINS0_14default_configENS1_20scan_config_selectorIiEEZZNS1_9scan_implILNS1_25lookback_scan_determinismE0ELb0ELb0ES3_N6thrust23THRUST_200600_302600_NS6detail15normal_iteratorINS9_10device_ptrIiEEEENSB_INSC_IfEEEEiNS9_4plusIvEEiEEDaPvRmT3_T4_T5_mT6_P12ihipStream_tbENKUlT_T0_E_clISt17integral_constantIbLb1EESV_IbLb0EEEEDaSR_SS_EUlSR_E0_NS1_11comp_targetILNS1_3genE10ELNS1_11target_archE1201ELNS1_3gpuE5ELNS1_3repE0EEENS1_30default_config_static_selectorELNS0_4arch9wavefront6targetE1EEEvT1_
	.globl	_ZN7rocprim17ROCPRIM_400000_NS6detail17trampoline_kernelINS0_14default_configENS1_20scan_config_selectorIiEEZZNS1_9scan_implILNS1_25lookback_scan_determinismE0ELb0ELb0ES3_N6thrust23THRUST_200600_302600_NS6detail15normal_iteratorINS9_10device_ptrIiEEEENSB_INSC_IfEEEEiNS9_4plusIvEEiEEDaPvRmT3_T4_T5_mT6_P12ihipStream_tbENKUlT_T0_E_clISt17integral_constantIbLb1EESV_IbLb0EEEEDaSR_SS_EUlSR_E0_NS1_11comp_targetILNS1_3genE10ELNS1_11target_archE1201ELNS1_3gpuE5ELNS1_3repE0EEENS1_30default_config_static_selectorELNS0_4arch9wavefront6targetE1EEEvT1_
	.p2align	8
	.type	_ZN7rocprim17ROCPRIM_400000_NS6detail17trampoline_kernelINS0_14default_configENS1_20scan_config_selectorIiEEZZNS1_9scan_implILNS1_25lookback_scan_determinismE0ELb0ELb0ES3_N6thrust23THRUST_200600_302600_NS6detail15normal_iteratorINS9_10device_ptrIiEEEENSB_INSC_IfEEEEiNS9_4plusIvEEiEEDaPvRmT3_T4_T5_mT6_P12ihipStream_tbENKUlT_T0_E_clISt17integral_constantIbLb1EESV_IbLb0EEEEDaSR_SS_EUlSR_E0_NS1_11comp_targetILNS1_3genE10ELNS1_11target_archE1201ELNS1_3gpuE5ELNS1_3repE0EEENS1_30default_config_static_selectorELNS0_4arch9wavefront6targetE1EEEvT1_,@function
_ZN7rocprim17ROCPRIM_400000_NS6detail17trampoline_kernelINS0_14default_configENS1_20scan_config_selectorIiEEZZNS1_9scan_implILNS1_25lookback_scan_determinismE0ELb0ELb0ES3_N6thrust23THRUST_200600_302600_NS6detail15normal_iteratorINS9_10device_ptrIiEEEENSB_INSC_IfEEEEiNS9_4plusIvEEiEEDaPvRmT3_T4_T5_mT6_P12ihipStream_tbENKUlT_T0_E_clISt17integral_constantIbLb1EESV_IbLb0EEEEDaSR_SS_EUlSR_E0_NS1_11comp_targetILNS1_3genE10ELNS1_11target_archE1201ELNS1_3gpuE5ELNS1_3repE0EEENS1_30default_config_static_selectorELNS0_4arch9wavefront6targetE1EEEvT1_: ; @_ZN7rocprim17ROCPRIM_400000_NS6detail17trampoline_kernelINS0_14default_configENS1_20scan_config_selectorIiEEZZNS1_9scan_implILNS1_25lookback_scan_determinismE0ELb0ELb0ES3_N6thrust23THRUST_200600_302600_NS6detail15normal_iteratorINS9_10device_ptrIiEEEENSB_INSC_IfEEEEiNS9_4plusIvEEiEEDaPvRmT3_T4_T5_mT6_P12ihipStream_tbENKUlT_T0_E_clISt17integral_constantIbLb1EESV_IbLb0EEEEDaSR_SS_EUlSR_E0_NS1_11comp_targetILNS1_3genE10ELNS1_11target_archE1201ELNS1_3gpuE5ELNS1_3repE0EEENS1_30default_config_static_selectorELNS0_4arch9wavefront6targetE1EEEvT1_
; %bb.0:
	.section	.rodata,"a",@progbits
	.p2align	6, 0x0
	.amdhsa_kernel _ZN7rocprim17ROCPRIM_400000_NS6detail17trampoline_kernelINS0_14default_configENS1_20scan_config_selectorIiEEZZNS1_9scan_implILNS1_25lookback_scan_determinismE0ELb0ELb0ES3_N6thrust23THRUST_200600_302600_NS6detail15normal_iteratorINS9_10device_ptrIiEEEENSB_INSC_IfEEEEiNS9_4plusIvEEiEEDaPvRmT3_T4_T5_mT6_P12ihipStream_tbENKUlT_T0_E_clISt17integral_constantIbLb1EESV_IbLb0EEEEDaSR_SS_EUlSR_E0_NS1_11comp_targetILNS1_3genE10ELNS1_11target_archE1201ELNS1_3gpuE5ELNS1_3repE0EEENS1_30default_config_static_selectorELNS0_4arch9wavefront6targetE1EEEvT1_
		.amdhsa_group_segment_fixed_size 0
		.amdhsa_private_segment_fixed_size 0
		.amdhsa_kernarg_size 32
		.amdhsa_user_sgpr_count 6
		.amdhsa_user_sgpr_private_segment_buffer 1
		.amdhsa_user_sgpr_dispatch_ptr 0
		.amdhsa_user_sgpr_queue_ptr 0
		.amdhsa_user_sgpr_kernarg_segment_ptr 1
		.amdhsa_user_sgpr_dispatch_id 0
		.amdhsa_user_sgpr_flat_scratch_init 0
		.amdhsa_user_sgpr_kernarg_preload_length 0
		.amdhsa_user_sgpr_kernarg_preload_offset 0
		.amdhsa_user_sgpr_private_segment_size 0
		.amdhsa_uses_dynamic_stack 0
		.amdhsa_system_sgpr_private_segment_wavefront_offset 0
		.amdhsa_system_sgpr_workgroup_id_x 1
		.amdhsa_system_sgpr_workgroup_id_y 0
		.amdhsa_system_sgpr_workgroup_id_z 0
		.amdhsa_system_sgpr_workgroup_info 0
		.amdhsa_system_vgpr_workitem_id 0
		.amdhsa_next_free_vgpr 1
		.amdhsa_next_free_sgpr 0
		.amdhsa_accum_offset 4
		.amdhsa_reserve_vcc 0
		.amdhsa_reserve_flat_scratch 0
		.amdhsa_float_round_mode_32 0
		.amdhsa_float_round_mode_16_64 0
		.amdhsa_float_denorm_mode_32 3
		.amdhsa_float_denorm_mode_16_64 3
		.amdhsa_dx10_clamp 1
		.amdhsa_ieee_mode 1
		.amdhsa_fp16_overflow 0
		.amdhsa_tg_split 0
		.amdhsa_exception_fp_ieee_invalid_op 0
		.amdhsa_exception_fp_denorm_src 0
		.amdhsa_exception_fp_ieee_div_zero 0
		.amdhsa_exception_fp_ieee_overflow 0
		.amdhsa_exception_fp_ieee_underflow 0
		.amdhsa_exception_fp_ieee_inexact 0
		.amdhsa_exception_int_div_zero 0
	.end_amdhsa_kernel
	.section	.text._ZN7rocprim17ROCPRIM_400000_NS6detail17trampoline_kernelINS0_14default_configENS1_20scan_config_selectorIiEEZZNS1_9scan_implILNS1_25lookback_scan_determinismE0ELb0ELb0ES3_N6thrust23THRUST_200600_302600_NS6detail15normal_iteratorINS9_10device_ptrIiEEEENSB_INSC_IfEEEEiNS9_4plusIvEEiEEDaPvRmT3_T4_T5_mT6_P12ihipStream_tbENKUlT_T0_E_clISt17integral_constantIbLb1EESV_IbLb0EEEEDaSR_SS_EUlSR_E0_NS1_11comp_targetILNS1_3genE10ELNS1_11target_archE1201ELNS1_3gpuE5ELNS1_3repE0EEENS1_30default_config_static_selectorELNS0_4arch9wavefront6targetE1EEEvT1_,"axG",@progbits,_ZN7rocprim17ROCPRIM_400000_NS6detail17trampoline_kernelINS0_14default_configENS1_20scan_config_selectorIiEEZZNS1_9scan_implILNS1_25lookback_scan_determinismE0ELb0ELb0ES3_N6thrust23THRUST_200600_302600_NS6detail15normal_iteratorINS9_10device_ptrIiEEEENSB_INSC_IfEEEEiNS9_4plusIvEEiEEDaPvRmT3_T4_T5_mT6_P12ihipStream_tbENKUlT_T0_E_clISt17integral_constantIbLb1EESV_IbLb0EEEEDaSR_SS_EUlSR_E0_NS1_11comp_targetILNS1_3genE10ELNS1_11target_archE1201ELNS1_3gpuE5ELNS1_3repE0EEENS1_30default_config_static_selectorELNS0_4arch9wavefront6targetE1EEEvT1_,comdat
.Lfunc_end1691:
	.size	_ZN7rocprim17ROCPRIM_400000_NS6detail17trampoline_kernelINS0_14default_configENS1_20scan_config_selectorIiEEZZNS1_9scan_implILNS1_25lookback_scan_determinismE0ELb0ELb0ES3_N6thrust23THRUST_200600_302600_NS6detail15normal_iteratorINS9_10device_ptrIiEEEENSB_INSC_IfEEEEiNS9_4plusIvEEiEEDaPvRmT3_T4_T5_mT6_P12ihipStream_tbENKUlT_T0_E_clISt17integral_constantIbLb1EESV_IbLb0EEEEDaSR_SS_EUlSR_E0_NS1_11comp_targetILNS1_3genE10ELNS1_11target_archE1201ELNS1_3gpuE5ELNS1_3repE0EEENS1_30default_config_static_selectorELNS0_4arch9wavefront6targetE1EEEvT1_, .Lfunc_end1691-_ZN7rocprim17ROCPRIM_400000_NS6detail17trampoline_kernelINS0_14default_configENS1_20scan_config_selectorIiEEZZNS1_9scan_implILNS1_25lookback_scan_determinismE0ELb0ELb0ES3_N6thrust23THRUST_200600_302600_NS6detail15normal_iteratorINS9_10device_ptrIiEEEENSB_INSC_IfEEEEiNS9_4plusIvEEiEEDaPvRmT3_T4_T5_mT6_P12ihipStream_tbENKUlT_T0_E_clISt17integral_constantIbLb1EESV_IbLb0EEEEDaSR_SS_EUlSR_E0_NS1_11comp_targetILNS1_3genE10ELNS1_11target_archE1201ELNS1_3gpuE5ELNS1_3repE0EEENS1_30default_config_static_selectorELNS0_4arch9wavefront6targetE1EEEvT1_
                                        ; -- End function
	.section	.AMDGPU.csdata,"",@progbits
; Kernel info:
; codeLenInByte = 0
; NumSgprs: 4
; NumVgprs: 0
; NumAgprs: 0
; TotalNumVgprs: 0
; ScratchSize: 0
; MemoryBound: 0
; FloatMode: 240
; IeeeMode: 1
; LDSByteSize: 0 bytes/workgroup (compile time only)
; SGPRBlocks: 0
; VGPRBlocks: 0
; NumSGPRsForWavesPerEU: 4
; NumVGPRsForWavesPerEU: 1
; AccumOffset: 4
; Occupancy: 8
; WaveLimiterHint : 0
; COMPUTE_PGM_RSRC2:SCRATCH_EN: 0
; COMPUTE_PGM_RSRC2:USER_SGPR: 6
; COMPUTE_PGM_RSRC2:TRAP_HANDLER: 0
; COMPUTE_PGM_RSRC2:TGID_X_EN: 1
; COMPUTE_PGM_RSRC2:TGID_Y_EN: 0
; COMPUTE_PGM_RSRC2:TGID_Z_EN: 0
; COMPUTE_PGM_RSRC2:TIDIG_COMP_CNT: 0
; COMPUTE_PGM_RSRC3_GFX90A:ACCUM_OFFSET: 0
; COMPUTE_PGM_RSRC3_GFX90A:TG_SPLIT: 0
	.section	.text._ZN7rocprim17ROCPRIM_400000_NS6detail17trampoline_kernelINS0_14default_configENS1_20scan_config_selectorIiEEZZNS1_9scan_implILNS1_25lookback_scan_determinismE0ELb0ELb0ES3_N6thrust23THRUST_200600_302600_NS6detail15normal_iteratorINS9_10device_ptrIiEEEENSB_INSC_IfEEEEiNS9_4plusIvEEiEEDaPvRmT3_T4_T5_mT6_P12ihipStream_tbENKUlT_T0_E_clISt17integral_constantIbLb1EESV_IbLb0EEEEDaSR_SS_EUlSR_E0_NS1_11comp_targetILNS1_3genE10ELNS1_11target_archE1200ELNS1_3gpuE4ELNS1_3repE0EEENS1_30default_config_static_selectorELNS0_4arch9wavefront6targetE1EEEvT1_,"axG",@progbits,_ZN7rocprim17ROCPRIM_400000_NS6detail17trampoline_kernelINS0_14default_configENS1_20scan_config_selectorIiEEZZNS1_9scan_implILNS1_25lookback_scan_determinismE0ELb0ELb0ES3_N6thrust23THRUST_200600_302600_NS6detail15normal_iteratorINS9_10device_ptrIiEEEENSB_INSC_IfEEEEiNS9_4plusIvEEiEEDaPvRmT3_T4_T5_mT6_P12ihipStream_tbENKUlT_T0_E_clISt17integral_constantIbLb1EESV_IbLb0EEEEDaSR_SS_EUlSR_E0_NS1_11comp_targetILNS1_3genE10ELNS1_11target_archE1200ELNS1_3gpuE4ELNS1_3repE0EEENS1_30default_config_static_selectorELNS0_4arch9wavefront6targetE1EEEvT1_,comdat
	.protected	_ZN7rocprim17ROCPRIM_400000_NS6detail17trampoline_kernelINS0_14default_configENS1_20scan_config_selectorIiEEZZNS1_9scan_implILNS1_25lookback_scan_determinismE0ELb0ELb0ES3_N6thrust23THRUST_200600_302600_NS6detail15normal_iteratorINS9_10device_ptrIiEEEENSB_INSC_IfEEEEiNS9_4plusIvEEiEEDaPvRmT3_T4_T5_mT6_P12ihipStream_tbENKUlT_T0_E_clISt17integral_constantIbLb1EESV_IbLb0EEEEDaSR_SS_EUlSR_E0_NS1_11comp_targetILNS1_3genE10ELNS1_11target_archE1200ELNS1_3gpuE4ELNS1_3repE0EEENS1_30default_config_static_selectorELNS0_4arch9wavefront6targetE1EEEvT1_ ; -- Begin function _ZN7rocprim17ROCPRIM_400000_NS6detail17trampoline_kernelINS0_14default_configENS1_20scan_config_selectorIiEEZZNS1_9scan_implILNS1_25lookback_scan_determinismE0ELb0ELb0ES3_N6thrust23THRUST_200600_302600_NS6detail15normal_iteratorINS9_10device_ptrIiEEEENSB_INSC_IfEEEEiNS9_4plusIvEEiEEDaPvRmT3_T4_T5_mT6_P12ihipStream_tbENKUlT_T0_E_clISt17integral_constantIbLb1EESV_IbLb0EEEEDaSR_SS_EUlSR_E0_NS1_11comp_targetILNS1_3genE10ELNS1_11target_archE1200ELNS1_3gpuE4ELNS1_3repE0EEENS1_30default_config_static_selectorELNS0_4arch9wavefront6targetE1EEEvT1_
	.globl	_ZN7rocprim17ROCPRIM_400000_NS6detail17trampoline_kernelINS0_14default_configENS1_20scan_config_selectorIiEEZZNS1_9scan_implILNS1_25lookback_scan_determinismE0ELb0ELb0ES3_N6thrust23THRUST_200600_302600_NS6detail15normal_iteratorINS9_10device_ptrIiEEEENSB_INSC_IfEEEEiNS9_4plusIvEEiEEDaPvRmT3_T4_T5_mT6_P12ihipStream_tbENKUlT_T0_E_clISt17integral_constantIbLb1EESV_IbLb0EEEEDaSR_SS_EUlSR_E0_NS1_11comp_targetILNS1_3genE10ELNS1_11target_archE1200ELNS1_3gpuE4ELNS1_3repE0EEENS1_30default_config_static_selectorELNS0_4arch9wavefront6targetE1EEEvT1_
	.p2align	8
	.type	_ZN7rocprim17ROCPRIM_400000_NS6detail17trampoline_kernelINS0_14default_configENS1_20scan_config_selectorIiEEZZNS1_9scan_implILNS1_25lookback_scan_determinismE0ELb0ELb0ES3_N6thrust23THRUST_200600_302600_NS6detail15normal_iteratorINS9_10device_ptrIiEEEENSB_INSC_IfEEEEiNS9_4plusIvEEiEEDaPvRmT3_T4_T5_mT6_P12ihipStream_tbENKUlT_T0_E_clISt17integral_constantIbLb1EESV_IbLb0EEEEDaSR_SS_EUlSR_E0_NS1_11comp_targetILNS1_3genE10ELNS1_11target_archE1200ELNS1_3gpuE4ELNS1_3repE0EEENS1_30default_config_static_selectorELNS0_4arch9wavefront6targetE1EEEvT1_,@function
_ZN7rocprim17ROCPRIM_400000_NS6detail17trampoline_kernelINS0_14default_configENS1_20scan_config_selectorIiEEZZNS1_9scan_implILNS1_25lookback_scan_determinismE0ELb0ELb0ES3_N6thrust23THRUST_200600_302600_NS6detail15normal_iteratorINS9_10device_ptrIiEEEENSB_INSC_IfEEEEiNS9_4plusIvEEiEEDaPvRmT3_T4_T5_mT6_P12ihipStream_tbENKUlT_T0_E_clISt17integral_constantIbLb1EESV_IbLb0EEEEDaSR_SS_EUlSR_E0_NS1_11comp_targetILNS1_3genE10ELNS1_11target_archE1200ELNS1_3gpuE4ELNS1_3repE0EEENS1_30default_config_static_selectorELNS0_4arch9wavefront6targetE1EEEvT1_: ; @_ZN7rocprim17ROCPRIM_400000_NS6detail17trampoline_kernelINS0_14default_configENS1_20scan_config_selectorIiEEZZNS1_9scan_implILNS1_25lookback_scan_determinismE0ELb0ELb0ES3_N6thrust23THRUST_200600_302600_NS6detail15normal_iteratorINS9_10device_ptrIiEEEENSB_INSC_IfEEEEiNS9_4plusIvEEiEEDaPvRmT3_T4_T5_mT6_P12ihipStream_tbENKUlT_T0_E_clISt17integral_constantIbLb1EESV_IbLb0EEEEDaSR_SS_EUlSR_E0_NS1_11comp_targetILNS1_3genE10ELNS1_11target_archE1200ELNS1_3gpuE4ELNS1_3repE0EEENS1_30default_config_static_selectorELNS0_4arch9wavefront6targetE1EEEvT1_
; %bb.0:
	.section	.rodata,"a",@progbits
	.p2align	6, 0x0
	.amdhsa_kernel _ZN7rocprim17ROCPRIM_400000_NS6detail17trampoline_kernelINS0_14default_configENS1_20scan_config_selectorIiEEZZNS1_9scan_implILNS1_25lookback_scan_determinismE0ELb0ELb0ES3_N6thrust23THRUST_200600_302600_NS6detail15normal_iteratorINS9_10device_ptrIiEEEENSB_INSC_IfEEEEiNS9_4plusIvEEiEEDaPvRmT3_T4_T5_mT6_P12ihipStream_tbENKUlT_T0_E_clISt17integral_constantIbLb1EESV_IbLb0EEEEDaSR_SS_EUlSR_E0_NS1_11comp_targetILNS1_3genE10ELNS1_11target_archE1200ELNS1_3gpuE4ELNS1_3repE0EEENS1_30default_config_static_selectorELNS0_4arch9wavefront6targetE1EEEvT1_
		.amdhsa_group_segment_fixed_size 0
		.amdhsa_private_segment_fixed_size 0
		.amdhsa_kernarg_size 32
		.amdhsa_user_sgpr_count 6
		.amdhsa_user_sgpr_private_segment_buffer 1
		.amdhsa_user_sgpr_dispatch_ptr 0
		.amdhsa_user_sgpr_queue_ptr 0
		.amdhsa_user_sgpr_kernarg_segment_ptr 1
		.amdhsa_user_sgpr_dispatch_id 0
		.amdhsa_user_sgpr_flat_scratch_init 0
		.amdhsa_user_sgpr_kernarg_preload_length 0
		.amdhsa_user_sgpr_kernarg_preload_offset 0
		.amdhsa_user_sgpr_private_segment_size 0
		.amdhsa_uses_dynamic_stack 0
		.amdhsa_system_sgpr_private_segment_wavefront_offset 0
		.amdhsa_system_sgpr_workgroup_id_x 1
		.amdhsa_system_sgpr_workgroup_id_y 0
		.amdhsa_system_sgpr_workgroup_id_z 0
		.amdhsa_system_sgpr_workgroup_info 0
		.amdhsa_system_vgpr_workitem_id 0
		.amdhsa_next_free_vgpr 1
		.amdhsa_next_free_sgpr 0
		.amdhsa_accum_offset 4
		.amdhsa_reserve_vcc 0
		.amdhsa_reserve_flat_scratch 0
		.amdhsa_float_round_mode_32 0
		.amdhsa_float_round_mode_16_64 0
		.amdhsa_float_denorm_mode_32 3
		.amdhsa_float_denorm_mode_16_64 3
		.amdhsa_dx10_clamp 1
		.amdhsa_ieee_mode 1
		.amdhsa_fp16_overflow 0
		.amdhsa_tg_split 0
		.amdhsa_exception_fp_ieee_invalid_op 0
		.amdhsa_exception_fp_denorm_src 0
		.amdhsa_exception_fp_ieee_div_zero 0
		.amdhsa_exception_fp_ieee_overflow 0
		.amdhsa_exception_fp_ieee_underflow 0
		.amdhsa_exception_fp_ieee_inexact 0
		.amdhsa_exception_int_div_zero 0
	.end_amdhsa_kernel
	.section	.text._ZN7rocprim17ROCPRIM_400000_NS6detail17trampoline_kernelINS0_14default_configENS1_20scan_config_selectorIiEEZZNS1_9scan_implILNS1_25lookback_scan_determinismE0ELb0ELb0ES3_N6thrust23THRUST_200600_302600_NS6detail15normal_iteratorINS9_10device_ptrIiEEEENSB_INSC_IfEEEEiNS9_4plusIvEEiEEDaPvRmT3_T4_T5_mT6_P12ihipStream_tbENKUlT_T0_E_clISt17integral_constantIbLb1EESV_IbLb0EEEEDaSR_SS_EUlSR_E0_NS1_11comp_targetILNS1_3genE10ELNS1_11target_archE1200ELNS1_3gpuE4ELNS1_3repE0EEENS1_30default_config_static_selectorELNS0_4arch9wavefront6targetE1EEEvT1_,"axG",@progbits,_ZN7rocprim17ROCPRIM_400000_NS6detail17trampoline_kernelINS0_14default_configENS1_20scan_config_selectorIiEEZZNS1_9scan_implILNS1_25lookback_scan_determinismE0ELb0ELb0ES3_N6thrust23THRUST_200600_302600_NS6detail15normal_iteratorINS9_10device_ptrIiEEEENSB_INSC_IfEEEEiNS9_4plusIvEEiEEDaPvRmT3_T4_T5_mT6_P12ihipStream_tbENKUlT_T0_E_clISt17integral_constantIbLb1EESV_IbLb0EEEEDaSR_SS_EUlSR_E0_NS1_11comp_targetILNS1_3genE10ELNS1_11target_archE1200ELNS1_3gpuE4ELNS1_3repE0EEENS1_30default_config_static_selectorELNS0_4arch9wavefront6targetE1EEEvT1_,comdat
.Lfunc_end1692:
	.size	_ZN7rocprim17ROCPRIM_400000_NS6detail17trampoline_kernelINS0_14default_configENS1_20scan_config_selectorIiEEZZNS1_9scan_implILNS1_25lookback_scan_determinismE0ELb0ELb0ES3_N6thrust23THRUST_200600_302600_NS6detail15normal_iteratorINS9_10device_ptrIiEEEENSB_INSC_IfEEEEiNS9_4plusIvEEiEEDaPvRmT3_T4_T5_mT6_P12ihipStream_tbENKUlT_T0_E_clISt17integral_constantIbLb1EESV_IbLb0EEEEDaSR_SS_EUlSR_E0_NS1_11comp_targetILNS1_3genE10ELNS1_11target_archE1200ELNS1_3gpuE4ELNS1_3repE0EEENS1_30default_config_static_selectorELNS0_4arch9wavefront6targetE1EEEvT1_, .Lfunc_end1692-_ZN7rocprim17ROCPRIM_400000_NS6detail17trampoline_kernelINS0_14default_configENS1_20scan_config_selectorIiEEZZNS1_9scan_implILNS1_25lookback_scan_determinismE0ELb0ELb0ES3_N6thrust23THRUST_200600_302600_NS6detail15normal_iteratorINS9_10device_ptrIiEEEENSB_INSC_IfEEEEiNS9_4plusIvEEiEEDaPvRmT3_T4_T5_mT6_P12ihipStream_tbENKUlT_T0_E_clISt17integral_constantIbLb1EESV_IbLb0EEEEDaSR_SS_EUlSR_E0_NS1_11comp_targetILNS1_3genE10ELNS1_11target_archE1200ELNS1_3gpuE4ELNS1_3repE0EEENS1_30default_config_static_selectorELNS0_4arch9wavefront6targetE1EEEvT1_
                                        ; -- End function
	.section	.AMDGPU.csdata,"",@progbits
; Kernel info:
; codeLenInByte = 0
; NumSgprs: 4
; NumVgprs: 0
; NumAgprs: 0
; TotalNumVgprs: 0
; ScratchSize: 0
; MemoryBound: 0
; FloatMode: 240
; IeeeMode: 1
; LDSByteSize: 0 bytes/workgroup (compile time only)
; SGPRBlocks: 0
; VGPRBlocks: 0
; NumSGPRsForWavesPerEU: 4
; NumVGPRsForWavesPerEU: 1
; AccumOffset: 4
; Occupancy: 8
; WaveLimiterHint : 0
; COMPUTE_PGM_RSRC2:SCRATCH_EN: 0
; COMPUTE_PGM_RSRC2:USER_SGPR: 6
; COMPUTE_PGM_RSRC2:TRAP_HANDLER: 0
; COMPUTE_PGM_RSRC2:TGID_X_EN: 1
; COMPUTE_PGM_RSRC2:TGID_Y_EN: 0
; COMPUTE_PGM_RSRC2:TGID_Z_EN: 0
; COMPUTE_PGM_RSRC2:TIDIG_COMP_CNT: 0
; COMPUTE_PGM_RSRC3_GFX90A:ACCUM_OFFSET: 0
; COMPUTE_PGM_RSRC3_GFX90A:TG_SPLIT: 0
	.section	.text._ZN7rocprim17ROCPRIM_400000_NS6detail17trampoline_kernelINS0_14default_configENS1_20scan_config_selectorIiEEZZNS1_9scan_implILNS1_25lookback_scan_determinismE0ELb0ELb0ES3_N6thrust23THRUST_200600_302600_NS6detail15normal_iteratorINS9_10device_ptrIiEEEENSB_INSC_IfEEEEiNS9_4plusIvEEiEEDaPvRmT3_T4_T5_mT6_P12ihipStream_tbENKUlT_T0_E_clISt17integral_constantIbLb1EESV_IbLb0EEEEDaSR_SS_EUlSR_E0_NS1_11comp_targetILNS1_3genE9ELNS1_11target_archE1100ELNS1_3gpuE3ELNS1_3repE0EEENS1_30default_config_static_selectorELNS0_4arch9wavefront6targetE1EEEvT1_,"axG",@progbits,_ZN7rocprim17ROCPRIM_400000_NS6detail17trampoline_kernelINS0_14default_configENS1_20scan_config_selectorIiEEZZNS1_9scan_implILNS1_25lookback_scan_determinismE0ELb0ELb0ES3_N6thrust23THRUST_200600_302600_NS6detail15normal_iteratorINS9_10device_ptrIiEEEENSB_INSC_IfEEEEiNS9_4plusIvEEiEEDaPvRmT3_T4_T5_mT6_P12ihipStream_tbENKUlT_T0_E_clISt17integral_constantIbLb1EESV_IbLb0EEEEDaSR_SS_EUlSR_E0_NS1_11comp_targetILNS1_3genE9ELNS1_11target_archE1100ELNS1_3gpuE3ELNS1_3repE0EEENS1_30default_config_static_selectorELNS0_4arch9wavefront6targetE1EEEvT1_,comdat
	.protected	_ZN7rocprim17ROCPRIM_400000_NS6detail17trampoline_kernelINS0_14default_configENS1_20scan_config_selectorIiEEZZNS1_9scan_implILNS1_25lookback_scan_determinismE0ELb0ELb0ES3_N6thrust23THRUST_200600_302600_NS6detail15normal_iteratorINS9_10device_ptrIiEEEENSB_INSC_IfEEEEiNS9_4plusIvEEiEEDaPvRmT3_T4_T5_mT6_P12ihipStream_tbENKUlT_T0_E_clISt17integral_constantIbLb1EESV_IbLb0EEEEDaSR_SS_EUlSR_E0_NS1_11comp_targetILNS1_3genE9ELNS1_11target_archE1100ELNS1_3gpuE3ELNS1_3repE0EEENS1_30default_config_static_selectorELNS0_4arch9wavefront6targetE1EEEvT1_ ; -- Begin function _ZN7rocprim17ROCPRIM_400000_NS6detail17trampoline_kernelINS0_14default_configENS1_20scan_config_selectorIiEEZZNS1_9scan_implILNS1_25lookback_scan_determinismE0ELb0ELb0ES3_N6thrust23THRUST_200600_302600_NS6detail15normal_iteratorINS9_10device_ptrIiEEEENSB_INSC_IfEEEEiNS9_4plusIvEEiEEDaPvRmT3_T4_T5_mT6_P12ihipStream_tbENKUlT_T0_E_clISt17integral_constantIbLb1EESV_IbLb0EEEEDaSR_SS_EUlSR_E0_NS1_11comp_targetILNS1_3genE9ELNS1_11target_archE1100ELNS1_3gpuE3ELNS1_3repE0EEENS1_30default_config_static_selectorELNS0_4arch9wavefront6targetE1EEEvT1_
	.globl	_ZN7rocprim17ROCPRIM_400000_NS6detail17trampoline_kernelINS0_14default_configENS1_20scan_config_selectorIiEEZZNS1_9scan_implILNS1_25lookback_scan_determinismE0ELb0ELb0ES3_N6thrust23THRUST_200600_302600_NS6detail15normal_iteratorINS9_10device_ptrIiEEEENSB_INSC_IfEEEEiNS9_4plusIvEEiEEDaPvRmT3_T4_T5_mT6_P12ihipStream_tbENKUlT_T0_E_clISt17integral_constantIbLb1EESV_IbLb0EEEEDaSR_SS_EUlSR_E0_NS1_11comp_targetILNS1_3genE9ELNS1_11target_archE1100ELNS1_3gpuE3ELNS1_3repE0EEENS1_30default_config_static_selectorELNS0_4arch9wavefront6targetE1EEEvT1_
	.p2align	8
	.type	_ZN7rocprim17ROCPRIM_400000_NS6detail17trampoline_kernelINS0_14default_configENS1_20scan_config_selectorIiEEZZNS1_9scan_implILNS1_25lookback_scan_determinismE0ELb0ELb0ES3_N6thrust23THRUST_200600_302600_NS6detail15normal_iteratorINS9_10device_ptrIiEEEENSB_INSC_IfEEEEiNS9_4plusIvEEiEEDaPvRmT3_T4_T5_mT6_P12ihipStream_tbENKUlT_T0_E_clISt17integral_constantIbLb1EESV_IbLb0EEEEDaSR_SS_EUlSR_E0_NS1_11comp_targetILNS1_3genE9ELNS1_11target_archE1100ELNS1_3gpuE3ELNS1_3repE0EEENS1_30default_config_static_selectorELNS0_4arch9wavefront6targetE1EEEvT1_,@function
_ZN7rocprim17ROCPRIM_400000_NS6detail17trampoline_kernelINS0_14default_configENS1_20scan_config_selectorIiEEZZNS1_9scan_implILNS1_25lookback_scan_determinismE0ELb0ELb0ES3_N6thrust23THRUST_200600_302600_NS6detail15normal_iteratorINS9_10device_ptrIiEEEENSB_INSC_IfEEEEiNS9_4plusIvEEiEEDaPvRmT3_T4_T5_mT6_P12ihipStream_tbENKUlT_T0_E_clISt17integral_constantIbLb1EESV_IbLb0EEEEDaSR_SS_EUlSR_E0_NS1_11comp_targetILNS1_3genE9ELNS1_11target_archE1100ELNS1_3gpuE3ELNS1_3repE0EEENS1_30default_config_static_selectorELNS0_4arch9wavefront6targetE1EEEvT1_: ; @_ZN7rocprim17ROCPRIM_400000_NS6detail17trampoline_kernelINS0_14default_configENS1_20scan_config_selectorIiEEZZNS1_9scan_implILNS1_25lookback_scan_determinismE0ELb0ELb0ES3_N6thrust23THRUST_200600_302600_NS6detail15normal_iteratorINS9_10device_ptrIiEEEENSB_INSC_IfEEEEiNS9_4plusIvEEiEEDaPvRmT3_T4_T5_mT6_P12ihipStream_tbENKUlT_T0_E_clISt17integral_constantIbLb1EESV_IbLb0EEEEDaSR_SS_EUlSR_E0_NS1_11comp_targetILNS1_3genE9ELNS1_11target_archE1100ELNS1_3gpuE3ELNS1_3repE0EEENS1_30default_config_static_selectorELNS0_4arch9wavefront6targetE1EEEvT1_
; %bb.0:
	.section	.rodata,"a",@progbits
	.p2align	6, 0x0
	.amdhsa_kernel _ZN7rocprim17ROCPRIM_400000_NS6detail17trampoline_kernelINS0_14default_configENS1_20scan_config_selectorIiEEZZNS1_9scan_implILNS1_25lookback_scan_determinismE0ELb0ELb0ES3_N6thrust23THRUST_200600_302600_NS6detail15normal_iteratorINS9_10device_ptrIiEEEENSB_INSC_IfEEEEiNS9_4plusIvEEiEEDaPvRmT3_T4_T5_mT6_P12ihipStream_tbENKUlT_T0_E_clISt17integral_constantIbLb1EESV_IbLb0EEEEDaSR_SS_EUlSR_E0_NS1_11comp_targetILNS1_3genE9ELNS1_11target_archE1100ELNS1_3gpuE3ELNS1_3repE0EEENS1_30default_config_static_selectorELNS0_4arch9wavefront6targetE1EEEvT1_
		.amdhsa_group_segment_fixed_size 0
		.amdhsa_private_segment_fixed_size 0
		.amdhsa_kernarg_size 32
		.amdhsa_user_sgpr_count 6
		.amdhsa_user_sgpr_private_segment_buffer 1
		.amdhsa_user_sgpr_dispatch_ptr 0
		.amdhsa_user_sgpr_queue_ptr 0
		.amdhsa_user_sgpr_kernarg_segment_ptr 1
		.amdhsa_user_sgpr_dispatch_id 0
		.amdhsa_user_sgpr_flat_scratch_init 0
		.amdhsa_user_sgpr_kernarg_preload_length 0
		.amdhsa_user_sgpr_kernarg_preload_offset 0
		.amdhsa_user_sgpr_private_segment_size 0
		.amdhsa_uses_dynamic_stack 0
		.amdhsa_system_sgpr_private_segment_wavefront_offset 0
		.amdhsa_system_sgpr_workgroup_id_x 1
		.amdhsa_system_sgpr_workgroup_id_y 0
		.amdhsa_system_sgpr_workgroup_id_z 0
		.amdhsa_system_sgpr_workgroup_info 0
		.amdhsa_system_vgpr_workitem_id 0
		.amdhsa_next_free_vgpr 1
		.amdhsa_next_free_sgpr 0
		.amdhsa_accum_offset 4
		.amdhsa_reserve_vcc 0
		.amdhsa_reserve_flat_scratch 0
		.amdhsa_float_round_mode_32 0
		.amdhsa_float_round_mode_16_64 0
		.amdhsa_float_denorm_mode_32 3
		.amdhsa_float_denorm_mode_16_64 3
		.amdhsa_dx10_clamp 1
		.amdhsa_ieee_mode 1
		.amdhsa_fp16_overflow 0
		.amdhsa_tg_split 0
		.amdhsa_exception_fp_ieee_invalid_op 0
		.amdhsa_exception_fp_denorm_src 0
		.amdhsa_exception_fp_ieee_div_zero 0
		.amdhsa_exception_fp_ieee_overflow 0
		.amdhsa_exception_fp_ieee_underflow 0
		.amdhsa_exception_fp_ieee_inexact 0
		.amdhsa_exception_int_div_zero 0
	.end_amdhsa_kernel
	.section	.text._ZN7rocprim17ROCPRIM_400000_NS6detail17trampoline_kernelINS0_14default_configENS1_20scan_config_selectorIiEEZZNS1_9scan_implILNS1_25lookback_scan_determinismE0ELb0ELb0ES3_N6thrust23THRUST_200600_302600_NS6detail15normal_iteratorINS9_10device_ptrIiEEEENSB_INSC_IfEEEEiNS9_4plusIvEEiEEDaPvRmT3_T4_T5_mT6_P12ihipStream_tbENKUlT_T0_E_clISt17integral_constantIbLb1EESV_IbLb0EEEEDaSR_SS_EUlSR_E0_NS1_11comp_targetILNS1_3genE9ELNS1_11target_archE1100ELNS1_3gpuE3ELNS1_3repE0EEENS1_30default_config_static_selectorELNS0_4arch9wavefront6targetE1EEEvT1_,"axG",@progbits,_ZN7rocprim17ROCPRIM_400000_NS6detail17trampoline_kernelINS0_14default_configENS1_20scan_config_selectorIiEEZZNS1_9scan_implILNS1_25lookback_scan_determinismE0ELb0ELb0ES3_N6thrust23THRUST_200600_302600_NS6detail15normal_iteratorINS9_10device_ptrIiEEEENSB_INSC_IfEEEEiNS9_4plusIvEEiEEDaPvRmT3_T4_T5_mT6_P12ihipStream_tbENKUlT_T0_E_clISt17integral_constantIbLb1EESV_IbLb0EEEEDaSR_SS_EUlSR_E0_NS1_11comp_targetILNS1_3genE9ELNS1_11target_archE1100ELNS1_3gpuE3ELNS1_3repE0EEENS1_30default_config_static_selectorELNS0_4arch9wavefront6targetE1EEEvT1_,comdat
.Lfunc_end1693:
	.size	_ZN7rocprim17ROCPRIM_400000_NS6detail17trampoline_kernelINS0_14default_configENS1_20scan_config_selectorIiEEZZNS1_9scan_implILNS1_25lookback_scan_determinismE0ELb0ELb0ES3_N6thrust23THRUST_200600_302600_NS6detail15normal_iteratorINS9_10device_ptrIiEEEENSB_INSC_IfEEEEiNS9_4plusIvEEiEEDaPvRmT3_T4_T5_mT6_P12ihipStream_tbENKUlT_T0_E_clISt17integral_constantIbLb1EESV_IbLb0EEEEDaSR_SS_EUlSR_E0_NS1_11comp_targetILNS1_3genE9ELNS1_11target_archE1100ELNS1_3gpuE3ELNS1_3repE0EEENS1_30default_config_static_selectorELNS0_4arch9wavefront6targetE1EEEvT1_, .Lfunc_end1693-_ZN7rocprim17ROCPRIM_400000_NS6detail17trampoline_kernelINS0_14default_configENS1_20scan_config_selectorIiEEZZNS1_9scan_implILNS1_25lookback_scan_determinismE0ELb0ELb0ES3_N6thrust23THRUST_200600_302600_NS6detail15normal_iteratorINS9_10device_ptrIiEEEENSB_INSC_IfEEEEiNS9_4plusIvEEiEEDaPvRmT3_T4_T5_mT6_P12ihipStream_tbENKUlT_T0_E_clISt17integral_constantIbLb1EESV_IbLb0EEEEDaSR_SS_EUlSR_E0_NS1_11comp_targetILNS1_3genE9ELNS1_11target_archE1100ELNS1_3gpuE3ELNS1_3repE0EEENS1_30default_config_static_selectorELNS0_4arch9wavefront6targetE1EEEvT1_
                                        ; -- End function
	.section	.AMDGPU.csdata,"",@progbits
; Kernel info:
; codeLenInByte = 0
; NumSgprs: 4
; NumVgprs: 0
; NumAgprs: 0
; TotalNumVgprs: 0
; ScratchSize: 0
; MemoryBound: 0
; FloatMode: 240
; IeeeMode: 1
; LDSByteSize: 0 bytes/workgroup (compile time only)
; SGPRBlocks: 0
; VGPRBlocks: 0
; NumSGPRsForWavesPerEU: 4
; NumVGPRsForWavesPerEU: 1
; AccumOffset: 4
; Occupancy: 8
; WaveLimiterHint : 0
; COMPUTE_PGM_RSRC2:SCRATCH_EN: 0
; COMPUTE_PGM_RSRC2:USER_SGPR: 6
; COMPUTE_PGM_RSRC2:TRAP_HANDLER: 0
; COMPUTE_PGM_RSRC2:TGID_X_EN: 1
; COMPUTE_PGM_RSRC2:TGID_Y_EN: 0
; COMPUTE_PGM_RSRC2:TGID_Z_EN: 0
; COMPUTE_PGM_RSRC2:TIDIG_COMP_CNT: 0
; COMPUTE_PGM_RSRC3_GFX90A:ACCUM_OFFSET: 0
; COMPUTE_PGM_RSRC3_GFX90A:TG_SPLIT: 0
	.section	.text._ZN7rocprim17ROCPRIM_400000_NS6detail17trampoline_kernelINS0_14default_configENS1_20scan_config_selectorIiEEZZNS1_9scan_implILNS1_25lookback_scan_determinismE0ELb0ELb0ES3_N6thrust23THRUST_200600_302600_NS6detail15normal_iteratorINS9_10device_ptrIiEEEENSB_INSC_IfEEEEiNS9_4plusIvEEiEEDaPvRmT3_T4_T5_mT6_P12ihipStream_tbENKUlT_T0_E_clISt17integral_constantIbLb1EESV_IbLb0EEEEDaSR_SS_EUlSR_E0_NS1_11comp_targetILNS1_3genE8ELNS1_11target_archE1030ELNS1_3gpuE2ELNS1_3repE0EEENS1_30default_config_static_selectorELNS0_4arch9wavefront6targetE1EEEvT1_,"axG",@progbits,_ZN7rocprim17ROCPRIM_400000_NS6detail17trampoline_kernelINS0_14default_configENS1_20scan_config_selectorIiEEZZNS1_9scan_implILNS1_25lookback_scan_determinismE0ELb0ELb0ES3_N6thrust23THRUST_200600_302600_NS6detail15normal_iteratorINS9_10device_ptrIiEEEENSB_INSC_IfEEEEiNS9_4plusIvEEiEEDaPvRmT3_T4_T5_mT6_P12ihipStream_tbENKUlT_T0_E_clISt17integral_constantIbLb1EESV_IbLb0EEEEDaSR_SS_EUlSR_E0_NS1_11comp_targetILNS1_3genE8ELNS1_11target_archE1030ELNS1_3gpuE2ELNS1_3repE0EEENS1_30default_config_static_selectorELNS0_4arch9wavefront6targetE1EEEvT1_,comdat
	.protected	_ZN7rocprim17ROCPRIM_400000_NS6detail17trampoline_kernelINS0_14default_configENS1_20scan_config_selectorIiEEZZNS1_9scan_implILNS1_25lookback_scan_determinismE0ELb0ELb0ES3_N6thrust23THRUST_200600_302600_NS6detail15normal_iteratorINS9_10device_ptrIiEEEENSB_INSC_IfEEEEiNS9_4plusIvEEiEEDaPvRmT3_T4_T5_mT6_P12ihipStream_tbENKUlT_T0_E_clISt17integral_constantIbLb1EESV_IbLb0EEEEDaSR_SS_EUlSR_E0_NS1_11comp_targetILNS1_3genE8ELNS1_11target_archE1030ELNS1_3gpuE2ELNS1_3repE0EEENS1_30default_config_static_selectorELNS0_4arch9wavefront6targetE1EEEvT1_ ; -- Begin function _ZN7rocprim17ROCPRIM_400000_NS6detail17trampoline_kernelINS0_14default_configENS1_20scan_config_selectorIiEEZZNS1_9scan_implILNS1_25lookback_scan_determinismE0ELb0ELb0ES3_N6thrust23THRUST_200600_302600_NS6detail15normal_iteratorINS9_10device_ptrIiEEEENSB_INSC_IfEEEEiNS9_4plusIvEEiEEDaPvRmT3_T4_T5_mT6_P12ihipStream_tbENKUlT_T0_E_clISt17integral_constantIbLb1EESV_IbLb0EEEEDaSR_SS_EUlSR_E0_NS1_11comp_targetILNS1_3genE8ELNS1_11target_archE1030ELNS1_3gpuE2ELNS1_3repE0EEENS1_30default_config_static_selectorELNS0_4arch9wavefront6targetE1EEEvT1_
	.globl	_ZN7rocprim17ROCPRIM_400000_NS6detail17trampoline_kernelINS0_14default_configENS1_20scan_config_selectorIiEEZZNS1_9scan_implILNS1_25lookback_scan_determinismE0ELb0ELb0ES3_N6thrust23THRUST_200600_302600_NS6detail15normal_iteratorINS9_10device_ptrIiEEEENSB_INSC_IfEEEEiNS9_4plusIvEEiEEDaPvRmT3_T4_T5_mT6_P12ihipStream_tbENKUlT_T0_E_clISt17integral_constantIbLb1EESV_IbLb0EEEEDaSR_SS_EUlSR_E0_NS1_11comp_targetILNS1_3genE8ELNS1_11target_archE1030ELNS1_3gpuE2ELNS1_3repE0EEENS1_30default_config_static_selectorELNS0_4arch9wavefront6targetE1EEEvT1_
	.p2align	8
	.type	_ZN7rocprim17ROCPRIM_400000_NS6detail17trampoline_kernelINS0_14default_configENS1_20scan_config_selectorIiEEZZNS1_9scan_implILNS1_25lookback_scan_determinismE0ELb0ELb0ES3_N6thrust23THRUST_200600_302600_NS6detail15normal_iteratorINS9_10device_ptrIiEEEENSB_INSC_IfEEEEiNS9_4plusIvEEiEEDaPvRmT3_T4_T5_mT6_P12ihipStream_tbENKUlT_T0_E_clISt17integral_constantIbLb1EESV_IbLb0EEEEDaSR_SS_EUlSR_E0_NS1_11comp_targetILNS1_3genE8ELNS1_11target_archE1030ELNS1_3gpuE2ELNS1_3repE0EEENS1_30default_config_static_selectorELNS0_4arch9wavefront6targetE1EEEvT1_,@function
_ZN7rocprim17ROCPRIM_400000_NS6detail17trampoline_kernelINS0_14default_configENS1_20scan_config_selectorIiEEZZNS1_9scan_implILNS1_25lookback_scan_determinismE0ELb0ELb0ES3_N6thrust23THRUST_200600_302600_NS6detail15normal_iteratorINS9_10device_ptrIiEEEENSB_INSC_IfEEEEiNS9_4plusIvEEiEEDaPvRmT3_T4_T5_mT6_P12ihipStream_tbENKUlT_T0_E_clISt17integral_constantIbLb1EESV_IbLb0EEEEDaSR_SS_EUlSR_E0_NS1_11comp_targetILNS1_3genE8ELNS1_11target_archE1030ELNS1_3gpuE2ELNS1_3repE0EEENS1_30default_config_static_selectorELNS0_4arch9wavefront6targetE1EEEvT1_: ; @_ZN7rocprim17ROCPRIM_400000_NS6detail17trampoline_kernelINS0_14default_configENS1_20scan_config_selectorIiEEZZNS1_9scan_implILNS1_25lookback_scan_determinismE0ELb0ELb0ES3_N6thrust23THRUST_200600_302600_NS6detail15normal_iteratorINS9_10device_ptrIiEEEENSB_INSC_IfEEEEiNS9_4plusIvEEiEEDaPvRmT3_T4_T5_mT6_P12ihipStream_tbENKUlT_T0_E_clISt17integral_constantIbLb1EESV_IbLb0EEEEDaSR_SS_EUlSR_E0_NS1_11comp_targetILNS1_3genE8ELNS1_11target_archE1030ELNS1_3gpuE2ELNS1_3repE0EEENS1_30default_config_static_selectorELNS0_4arch9wavefront6targetE1EEEvT1_
; %bb.0:
	.section	.rodata,"a",@progbits
	.p2align	6, 0x0
	.amdhsa_kernel _ZN7rocprim17ROCPRIM_400000_NS6detail17trampoline_kernelINS0_14default_configENS1_20scan_config_selectorIiEEZZNS1_9scan_implILNS1_25lookback_scan_determinismE0ELb0ELb0ES3_N6thrust23THRUST_200600_302600_NS6detail15normal_iteratorINS9_10device_ptrIiEEEENSB_INSC_IfEEEEiNS9_4plusIvEEiEEDaPvRmT3_T4_T5_mT6_P12ihipStream_tbENKUlT_T0_E_clISt17integral_constantIbLb1EESV_IbLb0EEEEDaSR_SS_EUlSR_E0_NS1_11comp_targetILNS1_3genE8ELNS1_11target_archE1030ELNS1_3gpuE2ELNS1_3repE0EEENS1_30default_config_static_selectorELNS0_4arch9wavefront6targetE1EEEvT1_
		.amdhsa_group_segment_fixed_size 0
		.amdhsa_private_segment_fixed_size 0
		.amdhsa_kernarg_size 32
		.amdhsa_user_sgpr_count 6
		.amdhsa_user_sgpr_private_segment_buffer 1
		.amdhsa_user_sgpr_dispatch_ptr 0
		.amdhsa_user_sgpr_queue_ptr 0
		.amdhsa_user_sgpr_kernarg_segment_ptr 1
		.amdhsa_user_sgpr_dispatch_id 0
		.amdhsa_user_sgpr_flat_scratch_init 0
		.amdhsa_user_sgpr_kernarg_preload_length 0
		.amdhsa_user_sgpr_kernarg_preload_offset 0
		.amdhsa_user_sgpr_private_segment_size 0
		.amdhsa_uses_dynamic_stack 0
		.amdhsa_system_sgpr_private_segment_wavefront_offset 0
		.amdhsa_system_sgpr_workgroup_id_x 1
		.amdhsa_system_sgpr_workgroup_id_y 0
		.amdhsa_system_sgpr_workgroup_id_z 0
		.amdhsa_system_sgpr_workgroup_info 0
		.amdhsa_system_vgpr_workitem_id 0
		.amdhsa_next_free_vgpr 1
		.amdhsa_next_free_sgpr 0
		.amdhsa_accum_offset 4
		.amdhsa_reserve_vcc 0
		.amdhsa_reserve_flat_scratch 0
		.amdhsa_float_round_mode_32 0
		.amdhsa_float_round_mode_16_64 0
		.amdhsa_float_denorm_mode_32 3
		.amdhsa_float_denorm_mode_16_64 3
		.amdhsa_dx10_clamp 1
		.amdhsa_ieee_mode 1
		.amdhsa_fp16_overflow 0
		.amdhsa_tg_split 0
		.amdhsa_exception_fp_ieee_invalid_op 0
		.amdhsa_exception_fp_denorm_src 0
		.amdhsa_exception_fp_ieee_div_zero 0
		.amdhsa_exception_fp_ieee_overflow 0
		.amdhsa_exception_fp_ieee_underflow 0
		.amdhsa_exception_fp_ieee_inexact 0
		.amdhsa_exception_int_div_zero 0
	.end_amdhsa_kernel
	.section	.text._ZN7rocprim17ROCPRIM_400000_NS6detail17trampoline_kernelINS0_14default_configENS1_20scan_config_selectorIiEEZZNS1_9scan_implILNS1_25lookback_scan_determinismE0ELb0ELb0ES3_N6thrust23THRUST_200600_302600_NS6detail15normal_iteratorINS9_10device_ptrIiEEEENSB_INSC_IfEEEEiNS9_4plusIvEEiEEDaPvRmT3_T4_T5_mT6_P12ihipStream_tbENKUlT_T0_E_clISt17integral_constantIbLb1EESV_IbLb0EEEEDaSR_SS_EUlSR_E0_NS1_11comp_targetILNS1_3genE8ELNS1_11target_archE1030ELNS1_3gpuE2ELNS1_3repE0EEENS1_30default_config_static_selectorELNS0_4arch9wavefront6targetE1EEEvT1_,"axG",@progbits,_ZN7rocprim17ROCPRIM_400000_NS6detail17trampoline_kernelINS0_14default_configENS1_20scan_config_selectorIiEEZZNS1_9scan_implILNS1_25lookback_scan_determinismE0ELb0ELb0ES3_N6thrust23THRUST_200600_302600_NS6detail15normal_iteratorINS9_10device_ptrIiEEEENSB_INSC_IfEEEEiNS9_4plusIvEEiEEDaPvRmT3_T4_T5_mT6_P12ihipStream_tbENKUlT_T0_E_clISt17integral_constantIbLb1EESV_IbLb0EEEEDaSR_SS_EUlSR_E0_NS1_11comp_targetILNS1_3genE8ELNS1_11target_archE1030ELNS1_3gpuE2ELNS1_3repE0EEENS1_30default_config_static_selectorELNS0_4arch9wavefront6targetE1EEEvT1_,comdat
.Lfunc_end1694:
	.size	_ZN7rocprim17ROCPRIM_400000_NS6detail17trampoline_kernelINS0_14default_configENS1_20scan_config_selectorIiEEZZNS1_9scan_implILNS1_25lookback_scan_determinismE0ELb0ELb0ES3_N6thrust23THRUST_200600_302600_NS6detail15normal_iteratorINS9_10device_ptrIiEEEENSB_INSC_IfEEEEiNS9_4plusIvEEiEEDaPvRmT3_T4_T5_mT6_P12ihipStream_tbENKUlT_T0_E_clISt17integral_constantIbLb1EESV_IbLb0EEEEDaSR_SS_EUlSR_E0_NS1_11comp_targetILNS1_3genE8ELNS1_11target_archE1030ELNS1_3gpuE2ELNS1_3repE0EEENS1_30default_config_static_selectorELNS0_4arch9wavefront6targetE1EEEvT1_, .Lfunc_end1694-_ZN7rocprim17ROCPRIM_400000_NS6detail17trampoline_kernelINS0_14default_configENS1_20scan_config_selectorIiEEZZNS1_9scan_implILNS1_25lookback_scan_determinismE0ELb0ELb0ES3_N6thrust23THRUST_200600_302600_NS6detail15normal_iteratorINS9_10device_ptrIiEEEENSB_INSC_IfEEEEiNS9_4plusIvEEiEEDaPvRmT3_T4_T5_mT6_P12ihipStream_tbENKUlT_T0_E_clISt17integral_constantIbLb1EESV_IbLb0EEEEDaSR_SS_EUlSR_E0_NS1_11comp_targetILNS1_3genE8ELNS1_11target_archE1030ELNS1_3gpuE2ELNS1_3repE0EEENS1_30default_config_static_selectorELNS0_4arch9wavefront6targetE1EEEvT1_
                                        ; -- End function
	.section	.AMDGPU.csdata,"",@progbits
; Kernel info:
; codeLenInByte = 0
; NumSgprs: 4
; NumVgprs: 0
; NumAgprs: 0
; TotalNumVgprs: 0
; ScratchSize: 0
; MemoryBound: 0
; FloatMode: 240
; IeeeMode: 1
; LDSByteSize: 0 bytes/workgroup (compile time only)
; SGPRBlocks: 0
; VGPRBlocks: 0
; NumSGPRsForWavesPerEU: 4
; NumVGPRsForWavesPerEU: 1
; AccumOffset: 4
; Occupancy: 8
; WaveLimiterHint : 0
; COMPUTE_PGM_RSRC2:SCRATCH_EN: 0
; COMPUTE_PGM_RSRC2:USER_SGPR: 6
; COMPUTE_PGM_RSRC2:TRAP_HANDLER: 0
; COMPUTE_PGM_RSRC2:TGID_X_EN: 1
; COMPUTE_PGM_RSRC2:TGID_Y_EN: 0
; COMPUTE_PGM_RSRC2:TGID_Z_EN: 0
; COMPUTE_PGM_RSRC2:TIDIG_COMP_CNT: 0
; COMPUTE_PGM_RSRC3_GFX90A:ACCUM_OFFSET: 0
; COMPUTE_PGM_RSRC3_GFX90A:TG_SPLIT: 0
	.section	.text._ZN7rocprim17ROCPRIM_400000_NS6detail17trampoline_kernelINS0_14default_configENS1_20scan_config_selectorIiEEZZNS1_9scan_implILNS1_25lookback_scan_determinismE0ELb0ELb0ES3_N6thrust23THRUST_200600_302600_NS6detail15normal_iteratorINS9_10device_ptrIiEEEENSB_INSC_IfEEEEiNS9_4plusIvEEiEEDaPvRmT3_T4_T5_mT6_P12ihipStream_tbENKUlT_T0_E_clISt17integral_constantIbLb0EESV_IbLb1EEEEDaSR_SS_EUlSR_E_NS1_11comp_targetILNS1_3genE0ELNS1_11target_archE4294967295ELNS1_3gpuE0ELNS1_3repE0EEENS1_30default_config_static_selectorELNS0_4arch9wavefront6targetE1EEEvT1_,"axG",@progbits,_ZN7rocprim17ROCPRIM_400000_NS6detail17trampoline_kernelINS0_14default_configENS1_20scan_config_selectorIiEEZZNS1_9scan_implILNS1_25lookback_scan_determinismE0ELb0ELb0ES3_N6thrust23THRUST_200600_302600_NS6detail15normal_iteratorINS9_10device_ptrIiEEEENSB_INSC_IfEEEEiNS9_4plusIvEEiEEDaPvRmT3_T4_T5_mT6_P12ihipStream_tbENKUlT_T0_E_clISt17integral_constantIbLb0EESV_IbLb1EEEEDaSR_SS_EUlSR_E_NS1_11comp_targetILNS1_3genE0ELNS1_11target_archE4294967295ELNS1_3gpuE0ELNS1_3repE0EEENS1_30default_config_static_selectorELNS0_4arch9wavefront6targetE1EEEvT1_,comdat
	.protected	_ZN7rocprim17ROCPRIM_400000_NS6detail17trampoline_kernelINS0_14default_configENS1_20scan_config_selectorIiEEZZNS1_9scan_implILNS1_25lookback_scan_determinismE0ELb0ELb0ES3_N6thrust23THRUST_200600_302600_NS6detail15normal_iteratorINS9_10device_ptrIiEEEENSB_INSC_IfEEEEiNS9_4plusIvEEiEEDaPvRmT3_T4_T5_mT6_P12ihipStream_tbENKUlT_T0_E_clISt17integral_constantIbLb0EESV_IbLb1EEEEDaSR_SS_EUlSR_E_NS1_11comp_targetILNS1_3genE0ELNS1_11target_archE4294967295ELNS1_3gpuE0ELNS1_3repE0EEENS1_30default_config_static_selectorELNS0_4arch9wavefront6targetE1EEEvT1_ ; -- Begin function _ZN7rocprim17ROCPRIM_400000_NS6detail17trampoline_kernelINS0_14default_configENS1_20scan_config_selectorIiEEZZNS1_9scan_implILNS1_25lookback_scan_determinismE0ELb0ELb0ES3_N6thrust23THRUST_200600_302600_NS6detail15normal_iteratorINS9_10device_ptrIiEEEENSB_INSC_IfEEEEiNS9_4plusIvEEiEEDaPvRmT3_T4_T5_mT6_P12ihipStream_tbENKUlT_T0_E_clISt17integral_constantIbLb0EESV_IbLb1EEEEDaSR_SS_EUlSR_E_NS1_11comp_targetILNS1_3genE0ELNS1_11target_archE4294967295ELNS1_3gpuE0ELNS1_3repE0EEENS1_30default_config_static_selectorELNS0_4arch9wavefront6targetE1EEEvT1_
	.globl	_ZN7rocprim17ROCPRIM_400000_NS6detail17trampoline_kernelINS0_14default_configENS1_20scan_config_selectorIiEEZZNS1_9scan_implILNS1_25lookback_scan_determinismE0ELb0ELb0ES3_N6thrust23THRUST_200600_302600_NS6detail15normal_iteratorINS9_10device_ptrIiEEEENSB_INSC_IfEEEEiNS9_4plusIvEEiEEDaPvRmT3_T4_T5_mT6_P12ihipStream_tbENKUlT_T0_E_clISt17integral_constantIbLb0EESV_IbLb1EEEEDaSR_SS_EUlSR_E_NS1_11comp_targetILNS1_3genE0ELNS1_11target_archE4294967295ELNS1_3gpuE0ELNS1_3repE0EEENS1_30default_config_static_selectorELNS0_4arch9wavefront6targetE1EEEvT1_
	.p2align	8
	.type	_ZN7rocprim17ROCPRIM_400000_NS6detail17trampoline_kernelINS0_14default_configENS1_20scan_config_selectorIiEEZZNS1_9scan_implILNS1_25lookback_scan_determinismE0ELb0ELb0ES3_N6thrust23THRUST_200600_302600_NS6detail15normal_iteratorINS9_10device_ptrIiEEEENSB_INSC_IfEEEEiNS9_4plusIvEEiEEDaPvRmT3_T4_T5_mT6_P12ihipStream_tbENKUlT_T0_E_clISt17integral_constantIbLb0EESV_IbLb1EEEEDaSR_SS_EUlSR_E_NS1_11comp_targetILNS1_3genE0ELNS1_11target_archE4294967295ELNS1_3gpuE0ELNS1_3repE0EEENS1_30default_config_static_selectorELNS0_4arch9wavefront6targetE1EEEvT1_,@function
_ZN7rocprim17ROCPRIM_400000_NS6detail17trampoline_kernelINS0_14default_configENS1_20scan_config_selectorIiEEZZNS1_9scan_implILNS1_25lookback_scan_determinismE0ELb0ELb0ES3_N6thrust23THRUST_200600_302600_NS6detail15normal_iteratorINS9_10device_ptrIiEEEENSB_INSC_IfEEEEiNS9_4plusIvEEiEEDaPvRmT3_T4_T5_mT6_P12ihipStream_tbENKUlT_T0_E_clISt17integral_constantIbLb0EESV_IbLb1EEEEDaSR_SS_EUlSR_E_NS1_11comp_targetILNS1_3genE0ELNS1_11target_archE4294967295ELNS1_3gpuE0ELNS1_3repE0EEENS1_30default_config_static_selectorELNS0_4arch9wavefront6targetE1EEEvT1_: ; @_ZN7rocprim17ROCPRIM_400000_NS6detail17trampoline_kernelINS0_14default_configENS1_20scan_config_selectorIiEEZZNS1_9scan_implILNS1_25lookback_scan_determinismE0ELb0ELb0ES3_N6thrust23THRUST_200600_302600_NS6detail15normal_iteratorINS9_10device_ptrIiEEEENSB_INSC_IfEEEEiNS9_4plusIvEEiEEDaPvRmT3_T4_T5_mT6_P12ihipStream_tbENKUlT_T0_E_clISt17integral_constantIbLb0EESV_IbLb1EEEEDaSR_SS_EUlSR_E_NS1_11comp_targetILNS1_3genE0ELNS1_11target_archE4294967295ELNS1_3gpuE0ELNS1_3repE0EEENS1_30default_config_static_selectorELNS0_4arch9wavefront6targetE1EEEvT1_
; %bb.0:
	.section	.rodata,"a",@progbits
	.p2align	6, 0x0
	.amdhsa_kernel _ZN7rocprim17ROCPRIM_400000_NS6detail17trampoline_kernelINS0_14default_configENS1_20scan_config_selectorIiEEZZNS1_9scan_implILNS1_25lookback_scan_determinismE0ELb0ELb0ES3_N6thrust23THRUST_200600_302600_NS6detail15normal_iteratorINS9_10device_ptrIiEEEENSB_INSC_IfEEEEiNS9_4plusIvEEiEEDaPvRmT3_T4_T5_mT6_P12ihipStream_tbENKUlT_T0_E_clISt17integral_constantIbLb0EESV_IbLb1EEEEDaSR_SS_EUlSR_E_NS1_11comp_targetILNS1_3genE0ELNS1_11target_archE4294967295ELNS1_3gpuE0ELNS1_3repE0EEENS1_30default_config_static_selectorELNS0_4arch9wavefront6targetE1EEEvT1_
		.amdhsa_group_segment_fixed_size 0
		.amdhsa_private_segment_fixed_size 0
		.amdhsa_kernarg_size 96
		.amdhsa_user_sgpr_count 6
		.amdhsa_user_sgpr_private_segment_buffer 1
		.amdhsa_user_sgpr_dispatch_ptr 0
		.amdhsa_user_sgpr_queue_ptr 0
		.amdhsa_user_sgpr_kernarg_segment_ptr 1
		.amdhsa_user_sgpr_dispatch_id 0
		.amdhsa_user_sgpr_flat_scratch_init 0
		.amdhsa_user_sgpr_kernarg_preload_length 0
		.amdhsa_user_sgpr_kernarg_preload_offset 0
		.amdhsa_user_sgpr_private_segment_size 0
		.amdhsa_uses_dynamic_stack 0
		.amdhsa_system_sgpr_private_segment_wavefront_offset 0
		.amdhsa_system_sgpr_workgroup_id_x 1
		.amdhsa_system_sgpr_workgroup_id_y 0
		.amdhsa_system_sgpr_workgroup_id_z 0
		.amdhsa_system_sgpr_workgroup_info 0
		.amdhsa_system_vgpr_workitem_id 0
		.amdhsa_next_free_vgpr 1
		.amdhsa_next_free_sgpr 0
		.amdhsa_accum_offset 4
		.amdhsa_reserve_vcc 0
		.amdhsa_reserve_flat_scratch 0
		.amdhsa_float_round_mode_32 0
		.amdhsa_float_round_mode_16_64 0
		.amdhsa_float_denorm_mode_32 3
		.amdhsa_float_denorm_mode_16_64 3
		.amdhsa_dx10_clamp 1
		.amdhsa_ieee_mode 1
		.amdhsa_fp16_overflow 0
		.amdhsa_tg_split 0
		.amdhsa_exception_fp_ieee_invalid_op 0
		.amdhsa_exception_fp_denorm_src 0
		.amdhsa_exception_fp_ieee_div_zero 0
		.amdhsa_exception_fp_ieee_overflow 0
		.amdhsa_exception_fp_ieee_underflow 0
		.amdhsa_exception_fp_ieee_inexact 0
		.amdhsa_exception_int_div_zero 0
	.end_amdhsa_kernel
	.section	.text._ZN7rocprim17ROCPRIM_400000_NS6detail17trampoline_kernelINS0_14default_configENS1_20scan_config_selectorIiEEZZNS1_9scan_implILNS1_25lookback_scan_determinismE0ELb0ELb0ES3_N6thrust23THRUST_200600_302600_NS6detail15normal_iteratorINS9_10device_ptrIiEEEENSB_INSC_IfEEEEiNS9_4plusIvEEiEEDaPvRmT3_T4_T5_mT6_P12ihipStream_tbENKUlT_T0_E_clISt17integral_constantIbLb0EESV_IbLb1EEEEDaSR_SS_EUlSR_E_NS1_11comp_targetILNS1_3genE0ELNS1_11target_archE4294967295ELNS1_3gpuE0ELNS1_3repE0EEENS1_30default_config_static_selectorELNS0_4arch9wavefront6targetE1EEEvT1_,"axG",@progbits,_ZN7rocprim17ROCPRIM_400000_NS6detail17trampoline_kernelINS0_14default_configENS1_20scan_config_selectorIiEEZZNS1_9scan_implILNS1_25lookback_scan_determinismE0ELb0ELb0ES3_N6thrust23THRUST_200600_302600_NS6detail15normal_iteratorINS9_10device_ptrIiEEEENSB_INSC_IfEEEEiNS9_4plusIvEEiEEDaPvRmT3_T4_T5_mT6_P12ihipStream_tbENKUlT_T0_E_clISt17integral_constantIbLb0EESV_IbLb1EEEEDaSR_SS_EUlSR_E_NS1_11comp_targetILNS1_3genE0ELNS1_11target_archE4294967295ELNS1_3gpuE0ELNS1_3repE0EEENS1_30default_config_static_selectorELNS0_4arch9wavefront6targetE1EEEvT1_,comdat
.Lfunc_end1695:
	.size	_ZN7rocprim17ROCPRIM_400000_NS6detail17trampoline_kernelINS0_14default_configENS1_20scan_config_selectorIiEEZZNS1_9scan_implILNS1_25lookback_scan_determinismE0ELb0ELb0ES3_N6thrust23THRUST_200600_302600_NS6detail15normal_iteratorINS9_10device_ptrIiEEEENSB_INSC_IfEEEEiNS9_4plusIvEEiEEDaPvRmT3_T4_T5_mT6_P12ihipStream_tbENKUlT_T0_E_clISt17integral_constantIbLb0EESV_IbLb1EEEEDaSR_SS_EUlSR_E_NS1_11comp_targetILNS1_3genE0ELNS1_11target_archE4294967295ELNS1_3gpuE0ELNS1_3repE0EEENS1_30default_config_static_selectorELNS0_4arch9wavefront6targetE1EEEvT1_, .Lfunc_end1695-_ZN7rocprim17ROCPRIM_400000_NS6detail17trampoline_kernelINS0_14default_configENS1_20scan_config_selectorIiEEZZNS1_9scan_implILNS1_25lookback_scan_determinismE0ELb0ELb0ES3_N6thrust23THRUST_200600_302600_NS6detail15normal_iteratorINS9_10device_ptrIiEEEENSB_INSC_IfEEEEiNS9_4plusIvEEiEEDaPvRmT3_T4_T5_mT6_P12ihipStream_tbENKUlT_T0_E_clISt17integral_constantIbLb0EESV_IbLb1EEEEDaSR_SS_EUlSR_E_NS1_11comp_targetILNS1_3genE0ELNS1_11target_archE4294967295ELNS1_3gpuE0ELNS1_3repE0EEENS1_30default_config_static_selectorELNS0_4arch9wavefront6targetE1EEEvT1_
                                        ; -- End function
	.section	.AMDGPU.csdata,"",@progbits
; Kernel info:
; codeLenInByte = 0
; NumSgprs: 4
; NumVgprs: 0
; NumAgprs: 0
; TotalNumVgprs: 0
; ScratchSize: 0
; MemoryBound: 0
; FloatMode: 240
; IeeeMode: 1
; LDSByteSize: 0 bytes/workgroup (compile time only)
; SGPRBlocks: 0
; VGPRBlocks: 0
; NumSGPRsForWavesPerEU: 4
; NumVGPRsForWavesPerEU: 1
; AccumOffset: 4
; Occupancy: 8
; WaveLimiterHint : 0
; COMPUTE_PGM_RSRC2:SCRATCH_EN: 0
; COMPUTE_PGM_RSRC2:USER_SGPR: 6
; COMPUTE_PGM_RSRC2:TRAP_HANDLER: 0
; COMPUTE_PGM_RSRC2:TGID_X_EN: 1
; COMPUTE_PGM_RSRC2:TGID_Y_EN: 0
; COMPUTE_PGM_RSRC2:TGID_Z_EN: 0
; COMPUTE_PGM_RSRC2:TIDIG_COMP_CNT: 0
; COMPUTE_PGM_RSRC3_GFX90A:ACCUM_OFFSET: 0
; COMPUTE_PGM_RSRC3_GFX90A:TG_SPLIT: 0
	.section	.text._ZN7rocprim17ROCPRIM_400000_NS6detail17trampoline_kernelINS0_14default_configENS1_20scan_config_selectorIiEEZZNS1_9scan_implILNS1_25lookback_scan_determinismE0ELb0ELb0ES3_N6thrust23THRUST_200600_302600_NS6detail15normal_iteratorINS9_10device_ptrIiEEEENSB_INSC_IfEEEEiNS9_4plusIvEEiEEDaPvRmT3_T4_T5_mT6_P12ihipStream_tbENKUlT_T0_E_clISt17integral_constantIbLb0EESV_IbLb1EEEEDaSR_SS_EUlSR_E_NS1_11comp_targetILNS1_3genE5ELNS1_11target_archE942ELNS1_3gpuE9ELNS1_3repE0EEENS1_30default_config_static_selectorELNS0_4arch9wavefront6targetE1EEEvT1_,"axG",@progbits,_ZN7rocprim17ROCPRIM_400000_NS6detail17trampoline_kernelINS0_14default_configENS1_20scan_config_selectorIiEEZZNS1_9scan_implILNS1_25lookback_scan_determinismE0ELb0ELb0ES3_N6thrust23THRUST_200600_302600_NS6detail15normal_iteratorINS9_10device_ptrIiEEEENSB_INSC_IfEEEEiNS9_4plusIvEEiEEDaPvRmT3_T4_T5_mT6_P12ihipStream_tbENKUlT_T0_E_clISt17integral_constantIbLb0EESV_IbLb1EEEEDaSR_SS_EUlSR_E_NS1_11comp_targetILNS1_3genE5ELNS1_11target_archE942ELNS1_3gpuE9ELNS1_3repE0EEENS1_30default_config_static_selectorELNS0_4arch9wavefront6targetE1EEEvT1_,comdat
	.protected	_ZN7rocprim17ROCPRIM_400000_NS6detail17trampoline_kernelINS0_14default_configENS1_20scan_config_selectorIiEEZZNS1_9scan_implILNS1_25lookback_scan_determinismE0ELb0ELb0ES3_N6thrust23THRUST_200600_302600_NS6detail15normal_iteratorINS9_10device_ptrIiEEEENSB_INSC_IfEEEEiNS9_4plusIvEEiEEDaPvRmT3_T4_T5_mT6_P12ihipStream_tbENKUlT_T0_E_clISt17integral_constantIbLb0EESV_IbLb1EEEEDaSR_SS_EUlSR_E_NS1_11comp_targetILNS1_3genE5ELNS1_11target_archE942ELNS1_3gpuE9ELNS1_3repE0EEENS1_30default_config_static_selectorELNS0_4arch9wavefront6targetE1EEEvT1_ ; -- Begin function _ZN7rocprim17ROCPRIM_400000_NS6detail17trampoline_kernelINS0_14default_configENS1_20scan_config_selectorIiEEZZNS1_9scan_implILNS1_25lookback_scan_determinismE0ELb0ELb0ES3_N6thrust23THRUST_200600_302600_NS6detail15normal_iteratorINS9_10device_ptrIiEEEENSB_INSC_IfEEEEiNS9_4plusIvEEiEEDaPvRmT3_T4_T5_mT6_P12ihipStream_tbENKUlT_T0_E_clISt17integral_constantIbLb0EESV_IbLb1EEEEDaSR_SS_EUlSR_E_NS1_11comp_targetILNS1_3genE5ELNS1_11target_archE942ELNS1_3gpuE9ELNS1_3repE0EEENS1_30default_config_static_selectorELNS0_4arch9wavefront6targetE1EEEvT1_
	.globl	_ZN7rocprim17ROCPRIM_400000_NS6detail17trampoline_kernelINS0_14default_configENS1_20scan_config_selectorIiEEZZNS1_9scan_implILNS1_25lookback_scan_determinismE0ELb0ELb0ES3_N6thrust23THRUST_200600_302600_NS6detail15normal_iteratorINS9_10device_ptrIiEEEENSB_INSC_IfEEEEiNS9_4plusIvEEiEEDaPvRmT3_T4_T5_mT6_P12ihipStream_tbENKUlT_T0_E_clISt17integral_constantIbLb0EESV_IbLb1EEEEDaSR_SS_EUlSR_E_NS1_11comp_targetILNS1_3genE5ELNS1_11target_archE942ELNS1_3gpuE9ELNS1_3repE0EEENS1_30default_config_static_selectorELNS0_4arch9wavefront6targetE1EEEvT1_
	.p2align	8
	.type	_ZN7rocprim17ROCPRIM_400000_NS6detail17trampoline_kernelINS0_14default_configENS1_20scan_config_selectorIiEEZZNS1_9scan_implILNS1_25lookback_scan_determinismE0ELb0ELb0ES3_N6thrust23THRUST_200600_302600_NS6detail15normal_iteratorINS9_10device_ptrIiEEEENSB_INSC_IfEEEEiNS9_4plusIvEEiEEDaPvRmT3_T4_T5_mT6_P12ihipStream_tbENKUlT_T0_E_clISt17integral_constantIbLb0EESV_IbLb1EEEEDaSR_SS_EUlSR_E_NS1_11comp_targetILNS1_3genE5ELNS1_11target_archE942ELNS1_3gpuE9ELNS1_3repE0EEENS1_30default_config_static_selectorELNS0_4arch9wavefront6targetE1EEEvT1_,@function
_ZN7rocprim17ROCPRIM_400000_NS6detail17trampoline_kernelINS0_14default_configENS1_20scan_config_selectorIiEEZZNS1_9scan_implILNS1_25lookback_scan_determinismE0ELb0ELb0ES3_N6thrust23THRUST_200600_302600_NS6detail15normal_iteratorINS9_10device_ptrIiEEEENSB_INSC_IfEEEEiNS9_4plusIvEEiEEDaPvRmT3_T4_T5_mT6_P12ihipStream_tbENKUlT_T0_E_clISt17integral_constantIbLb0EESV_IbLb1EEEEDaSR_SS_EUlSR_E_NS1_11comp_targetILNS1_3genE5ELNS1_11target_archE942ELNS1_3gpuE9ELNS1_3repE0EEENS1_30default_config_static_selectorELNS0_4arch9wavefront6targetE1EEEvT1_: ; @_ZN7rocprim17ROCPRIM_400000_NS6detail17trampoline_kernelINS0_14default_configENS1_20scan_config_selectorIiEEZZNS1_9scan_implILNS1_25lookback_scan_determinismE0ELb0ELb0ES3_N6thrust23THRUST_200600_302600_NS6detail15normal_iteratorINS9_10device_ptrIiEEEENSB_INSC_IfEEEEiNS9_4plusIvEEiEEDaPvRmT3_T4_T5_mT6_P12ihipStream_tbENKUlT_T0_E_clISt17integral_constantIbLb0EESV_IbLb1EEEEDaSR_SS_EUlSR_E_NS1_11comp_targetILNS1_3genE5ELNS1_11target_archE942ELNS1_3gpuE9ELNS1_3repE0EEENS1_30default_config_static_selectorELNS0_4arch9wavefront6targetE1EEEvT1_
; %bb.0:
	.section	.rodata,"a",@progbits
	.p2align	6, 0x0
	.amdhsa_kernel _ZN7rocprim17ROCPRIM_400000_NS6detail17trampoline_kernelINS0_14default_configENS1_20scan_config_selectorIiEEZZNS1_9scan_implILNS1_25lookback_scan_determinismE0ELb0ELb0ES3_N6thrust23THRUST_200600_302600_NS6detail15normal_iteratorINS9_10device_ptrIiEEEENSB_INSC_IfEEEEiNS9_4plusIvEEiEEDaPvRmT3_T4_T5_mT6_P12ihipStream_tbENKUlT_T0_E_clISt17integral_constantIbLb0EESV_IbLb1EEEEDaSR_SS_EUlSR_E_NS1_11comp_targetILNS1_3genE5ELNS1_11target_archE942ELNS1_3gpuE9ELNS1_3repE0EEENS1_30default_config_static_selectorELNS0_4arch9wavefront6targetE1EEEvT1_
		.amdhsa_group_segment_fixed_size 0
		.amdhsa_private_segment_fixed_size 0
		.amdhsa_kernarg_size 96
		.amdhsa_user_sgpr_count 6
		.amdhsa_user_sgpr_private_segment_buffer 1
		.amdhsa_user_sgpr_dispatch_ptr 0
		.amdhsa_user_sgpr_queue_ptr 0
		.amdhsa_user_sgpr_kernarg_segment_ptr 1
		.amdhsa_user_sgpr_dispatch_id 0
		.amdhsa_user_sgpr_flat_scratch_init 0
		.amdhsa_user_sgpr_kernarg_preload_length 0
		.amdhsa_user_sgpr_kernarg_preload_offset 0
		.amdhsa_user_sgpr_private_segment_size 0
		.amdhsa_uses_dynamic_stack 0
		.amdhsa_system_sgpr_private_segment_wavefront_offset 0
		.amdhsa_system_sgpr_workgroup_id_x 1
		.amdhsa_system_sgpr_workgroup_id_y 0
		.amdhsa_system_sgpr_workgroup_id_z 0
		.amdhsa_system_sgpr_workgroup_info 0
		.amdhsa_system_vgpr_workitem_id 0
		.amdhsa_next_free_vgpr 1
		.amdhsa_next_free_sgpr 0
		.amdhsa_accum_offset 4
		.amdhsa_reserve_vcc 0
		.amdhsa_reserve_flat_scratch 0
		.amdhsa_float_round_mode_32 0
		.amdhsa_float_round_mode_16_64 0
		.amdhsa_float_denorm_mode_32 3
		.amdhsa_float_denorm_mode_16_64 3
		.amdhsa_dx10_clamp 1
		.amdhsa_ieee_mode 1
		.amdhsa_fp16_overflow 0
		.amdhsa_tg_split 0
		.amdhsa_exception_fp_ieee_invalid_op 0
		.amdhsa_exception_fp_denorm_src 0
		.amdhsa_exception_fp_ieee_div_zero 0
		.amdhsa_exception_fp_ieee_overflow 0
		.amdhsa_exception_fp_ieee_underflow 0
		.amdhsa_exception_fp_ieee_inexact 0
		.amdhsa_exception_int_div_zero 0
	.end_amdhsa_kernel
	.section	.text._ZN7rocprim17ROCPRIM_400000_NS6detail17trampoline_kernelINS0_14default_configENS1_20scan_config_selectorIiEEZZNS1_9scan_implILNS1_25lookback_scan_determinismE0ELb0ELb0ES3_N6thrust23THRUST_200600_302600_NS6detail15normal_iteratorINS9_10device_ptrIiEEEENSB_INSC_IfEEEEiNS9_4plusIvEEiEEDaPvRmT3_T4_T5_mT6_P12ihipStream_tbENKUlT_T0_E_clISt17integral_constantIbLb0EESV_IbLb1EEEEDaSR_SS_EUlSR_E_NS1_11comp_targetILNS1_3genE5ELNS1_11target_archE942ELNS1_3gpuE9ELNS1_3repE0EEENS1_30default_config_static_selectorELNS0_4arch9wavefront6targetE1EEEvT1_,"axG",@progbits,_ZN7rocprim17ROCPRIM_400000_NS6detail17trampoline_kernelINS0_14default_configENS1_20scan_config_selectorIiEEZZNS1_9scan_implILNS1_25lookback_scan_determinismE0ELb0ELb0ES3_N6thrust23THRUST_200600_302600_NS6detail15normal_iteratorINS9_10device_ptrIiEEEENSB_INSC_IfEEEEiNS9_4plusIvEEiEEDaPvRmT3_T4_T5_mT6_P12ihipStream_tbENKUlT_T0_E_clISt17integral_constantIbLb0EESV_IbLb1EEEEDaSR_SS_EUlSR_E_NS1_11comp_targetILNS1_3genE5ELNS1_11target_archE942ELNS1_3gpuE9ELNS1_3repE0EEENS1_30default_config_static_selectorELNS0_4arch9wavefront6targetE1EEEvT1_,comdat
.Lfunc_end1696:
	.size	_ZN7rocprim17ROCPRIM_400000_NS6detail17trampoline_kernelINS0_14default_configENS1_20scan_config_selectorIiEEZZNS1_9scan_implILNS1_25lookback_scan_determinismE0ELb0ELb0ES3_N6thrust23THRUST_200600_302600_NS6detail15normal_iteratorINS9_10device_ptrIiEEEENSB_INSC_IfEEEEiNS9_4plusIvEEiEEDaPvRmT3_T4_T5_mT6_P12ihipStream_tbENKUlT_T0_E_clISt17integral_constantIbLb0EESV_IbLb1EEEEDaSR_SS_EUlSR_E_NS1_11comp_targetILNS1_3genE5ELNS1_11target_archE942ELNS1_3gpuE9ELNS1_3repE0EEENS1_30default_config_static_selectorELNS0_4arch9wavefront6targetE1EEEvT1_, .Lfunc_end1696-_ZN7rocprim17ROCPRIM_400000_NS6detail17trampoline_kernelINS0_14default_configENS1_20scan_config_selectorIiEEZZNS1_9scan_implILNS1_25lookback_scan_determinismE0ELb0ELb0ES3_N6thrust23THRUST_200600_302600_NS6detail15normal_iteratorINS9_10device_ptrIiEEEENSB_INSC_IfEEEEiNS9_4plusIvEEiEEDaPvRmT3_T4_T5_mT6_P12ihipStream_tbENKUlT_T0_E_clISt17integral_constantIbLb0EESV_IbLb1EEEEDaSR_SS_EUlSR_E_NS1_11comp_targetILNS1_3genE5ELNS1_11target_archE942ELNS1_3gpuE9ELNS1_3repE0EEENS1_30default_config_static_selectorELNS0_4arch9wavefront6targetE1EEEvT1_
                                        ; -- End function
	.section	.AMDGPU.csdata,"",@progbits
; Kernel info:
; codeLenInByte = 0
; NumSgprs: 4
; NumVgprs: 0
; NumAgprs: 0
; TotalNumVgprs: 0
; ScratchSize: 0
; MemoryBound: 0
; FloatMode: 240
; IeeeMode: 1
; LDSByteSize: 0 bytes/workgroup (compile time only)
; SGPRBlocks: 0
; VGPRBlocks: 0
; NumSGPRsForWavesPerEU: 4
; NumVGPRsForWavesPerEU: 1
; AccumOffset: 4
; Occupancy: 8
; WaveLimiterHint : 0
; COMPUTE_PGM_RSRC2:SCRATCH_EN: 0
; COMPUTE_PGM_RSRC2:USER_SGPR: 6
; COMPUTE_PGM_RSRC2:TRAP_HANDLER: 0
; COMPUTE_PGM_RSRC2:TGID_X_EN: 1
; COMPUTE_PGM_RSRC2:TGID_Y_EN: 0
; COMPUTE_PGM_RSRC2:TGID_Z_EN: 0
; COMPUTE_PGM_RSRC2:TIDIG_COMP_CNT: 0
; COMPUTE_PGM_RSRC3_GFX90A:ACCUM_OFFSET: 0
; COMPUTE_PGM_RSRC3_GFX90A:TG_SPLIT: 0
	.section	.text._ZN7rocprim17ROCPRIM_400000_NS6detail17trampoline_kernelINS0_14default_configENS1_20scan_config_selectorIiEEZZNS1_9scan_implILNS1_25lookback_scan_determinismE0ELb0ELb0ES3_N6thrust23THRUST_200600_302600_NS6detail15normal_iteratorINS9_10device_ptrIiEEEENSB_INSC_IfEEEEiNS9_4plusIvEEiEEDaPvRmT3_T4_T5_mT6_P12ihipStream_tbENKUlT_T0_E_clISt17integral_constantIbLb0EESV_IbLb1EEEEDaSR_SS_EUlSR_E_NS1_11comp_targetILNS1_3genE4ELNS1_11target_archE910ELNS1_3gpuE8ELNS1_3repE0EEENS1_30default_config_static_selectorELNS0_4arch9wavefront6targetE1EEEvT1_,"axG",@progbits,_ZN7rocprim17ROCPRIM_400000_NS6detail17trampoline_kernelINS0_14default_configENS1_20scan_config_selectorIiEEZZNS1_9scan_implILNS1_25lookback_scan_determinismE0ELb0ELb0ES3_N6thrust23THRUST_200600_302600_NS6detail15normal_iteratorINS9_10device_ptrIiEEEENSB_INSC_IfEEEEiNS9_4plusIvEEiEEDaPvRmT3_T4_T5_mT6_P12ihipStream_tbENKUlT_T0_E_clISt17integral_constantIbLb0EESV_IbLb1EEEEDaSR_SS_EUlSR_E_NS1_11comp_targetILNS1_3genE4ELNS1_11target_archE910ELNS1_3gpuE8ELNS1_3repE0EEENS1_30default_config_static_selectorELNS0_4arch9wavefront6targetE1EEEvT1_,comdat
	.protected	_ZN7rocprim17ROCPRIM_400000_NS6detail17trampoline_kernelINS0_14default_configENS1_20scan_config_selectorIiEEZZNS1_9scan_implILNS1_25lookback_scan_determinismE0ELb0ELb0ES3_N6thrust23THRUST_200600_302600_NS6detail15normal_iteratorINS9_10device_ptrIiEEEENSB_INSC_IfEEEEiNS9_4plusIvEEiEEDaPvRmT3_T4_T5_mT6_P12ihipStream_tbENKUlT_T0_E_clISt17integral_constantIbLb0EESV_IbLb1EEEEDaSR_SS_EUlSR_E_NS1_11comp_targetILNS1_3genE4ELNS1_11target_archE910ELNS1_3gpuE8ELNS1_3repE0EEENS1_30default_config_static_selectorELNS0_4arch9wavefront6targetE1EEEvT1_ ; -- Begin function _ZN7rocprim17ROCPRIM_400000_NS6detail17trampoline_kernelINS0_14default_configENS1_20scan_config_selectorIiEEZZNS1_9scan_implILNS1_25lookback_scan_determinismE0ELb0ELb0ES3_N6thrust23THRUST_200600_302600_NS6detail15normal_iteratorINS9_10device_ptrIiEEEENSB_INSC_IfEEEEiNS9_4plusIvEEiEEDaPvRmT3_T4_T5_mT6_P12ihipStream_tbENKUlT_T0_E_clISt17integral_constantIbLb0EESV_IbLb1EEEEDaSR_SS_EUlSR_E_NS1_11comp_targetILNS1_3genE4ELNS1_11target_archE910ELNS1_3gpuE8ELNS1_3repE0EEENS1_30default_config_static_selectorELNS0_4arch9wavefront6targetE1EEEvT1_
	.globl	_ZN7rocprim17ROCPRIM_400000_NS6detail17trampoline_kernelINS0_14default_configENS1_20scan_config_selectorIiEEZZNS1_9scan_implILNS1_25lookback_scan_determinismE0ELb0ELb0ES3_N6thrust23THRUST_200600_302600_NS6detail15normal_iteratorINS9_10device_ptrIiEEEENSB_INSC_IfEEEEiNS9_4plusIvEEiEEDaPvRmT3_T4_T5_mT6_P12ihipStream_tbENKUlT_T0_E_clISt17integral_constantIbLb0EESV_IbLb1EEEEDaSR_SS_EUlSR_E_NS1_11comp_targetILNS1_3genE4ELNS1_11target_archE910ELNS1_3gpuE8ELNS1_3repE0EEENS1_30default_config_static_selectorELNS0_4arch9wavefront6targetE1EEEvT1_
	.p2align	8
	.type	_ZN7rocprim17ROCPRIM_400000_NS6detail17trampoline_kernelINS0_14default_configENS1_20scan_config_selectorIiEEZZNS1_9scan_implILNS1_25lookback_scan_determinismE0ELb0ELb0ES3_N6thrust23THRUST_200600_302600_NS6detail15normal_iteratorINS9_10device_ptrIiEEEENSB_INSC_IfEEEEiNS9_4plusIvEEiEEDaPvRmT3_T4_T5_mT6_P12ihipStream_tbENKUlT_T0_E_clISt17integral_constantIbLb0EESV_IbLb1EEEEDaSR_SS_EUlSR_E_NS1_11comp_targetILNS1_3genE4ELNS1_11target_archE910ELNS1_3gpuE8ELNS1_3repE0EEENS1_30default_config_static_selectorELNS0_4arch9wavefront6targetE1EEEvT1_,@function
_ZN7rocprim17ROCPRIM_400000_NS6detail17trampoline_kernelINS0_14default_configENS1_20scan_config_selectorIiEEZZNS1_9scan_implILNS1_25lookback_scan_determinismE0ELb0ELb0ES3_N6thrust23THRUST_200600_302600_NS6detail15normal_iteratorINS9_10device_ptrIiEEEENSB_INSC_IfEEEEiNS9_4plusIvEEiEEDaPvRmT3_T4_T5_mT6_P12ihipStream_tbENKUlT_T0_E_clISt17integral_constantIbLb0EESV_IbLb1EEEEDaSR_SS_EUlSR_E_NS1_11comp_targetILNS1_3genE4ELNS1_11target_archE910ELNS1_3gpuE8ELNS1_3repE0EEENS1_30default_config_static_selectorELNS0_4arch9wavefront6targetE1EEEvT1_: ; @_ZN7rocprim17ROCPRIM_400000_NS6detail17trampoline_kernelINS0_14default_configENS1_20scan_config_selectorIiEEZZNS1_9scan_implILNS1_25lookback_scan_determinismE0ELb0ELb0ES3_N6thrust23THRUST_200600_302600_NS6detail15normal_iteratorINS9_10device_ptrIiEEEENSB_INSC_IfEEEEiNS9_4plusIvEEiEEDaPvRmT3_T4_T5_mT6_P12ihipStream_tbENKUlT_T0_E_clISt17integral_constantIbLb0EESV_IbLb1EEEEDaSR_SS_EUlSR_E_NS1_11comp_targetILNS1_3genE4ELNS1_11target_archE910ELNS1_3gpuE8ELNS1_3repE0EEENS1_30default_config_static_selectorELNS0_4arch9wavefront6targetE1EEEvT1_
; %bb.0:
	s_load_dwordx2 s[6:7], s[4:5], 0x28
	v_cmp_ne_u32_e64 s[0:1], 0, v0
	v_cmp_eq_u32_e64 s[2:3], 0, v0
	s_and_saveexec_b64 s[8:9], s[2:3]
	s_cbranch_execz .LBB1697_4
; %bb.1:
	s_mov_b64 s[12:13], exec
	v_mbcnt_lo_u32_b32 v1, s12, 0
	v_mbcnt_hi_u32_b32 v1, s13, v1
	v_cmp_eq_u32_e32 vcc, 0, v1
                                        ; implicit-def: $vgpr2
	s_and_saveexec_b64 s[10:11], vcc
	s_cbranch_execz .LBB1697_3
; %bb.2:
	s_load_dwordx2 s[14:15], s[4:5], 0x58
	s_bcnt1_i32_b64 s12, s[12:13]
	v_mov_b32_e32 v2, 0
	v_mov_b32_e32 v3, s12
	s_waitcnt lgkmcnt(0)
	global_atomic_add v2, v2, v3, s[14:15] glc
.LBB1697_3:
	s_or_b64 exec, exec, s[10:11]
	s_waitcnt vmcnt(0)
	v_readfirstlane_b32 s10, v2
	v_add_u32_e32 v1, s10, v1
	v_mov_b32_e32 v2, 0
	ds_write_b32 v2, v1
.LBB1697_4:
	s_or_b64 exec, exec, s[8:9]
	s_load_dwordx8 s[16:23], s[4:5], 0x0
	s_load_dword s24, s[4:5], 0x30
	s_load_dwordx8 s[8:15], s[4:5], 0x38
	v_mov_b32_e32 v1, 0
	s_waitcnt lgkmcnt(0)
	s_barrier
	ds_read_b32 v1, v1
	s_lshl_b64 s[18:19], s[18:19], 2
	s_add_u32 s25, s16, s18
	s_addc_u32 s26, s17, s19
	s_add_i32 s16, s24, -1
	s_mul_i32 s17, s16, 0x500
	s_sub_u32 s30, s22, s17
	s_waitcnt lgkmcnt(0)
	v_readfirstlane_b32 s33, v1
	s_subb_u32 s31, s23, 0
	s_mul_i32 s4, s33, 0x500
	s_mov_b32 s5, 0
	s_cmp_lg_u32 s33, s16
	s_cselect_b64 s[16:17], -1, 0
	s_lshl_b64 s[22:23], s[4:5], 2
	s_add_u32 s24, s25, s22
	s_addc_u32 s25, s26, s23
	s_mov_b64 s[4:5], -1
	s_and_b64 vcc, exec, s[16:17]
	v_lshlrev_b32_e32 v22, 2, v0
	s_barrier
	s_cbranch_vccz .LBB1697_6
; %bb.5:
	v_mov_b32_e32 v1, s25
	v_add_co_u32_e32 v2, vcc, s24, v22
	v_addc_co_u32_e32 v3, vcc, 0, v1, vcc
	flat_load_dword v1, v[2:3]
	flat_load_dword v4, v[2:3] offset:512
	flat_load_dword v5, v[2:3] offset:1024
	;; [unrolled: 1-line block ×7, first 2 shown]
	v_add_co_u32_e32 v2, vcc, 0x1000, v2
	v_addc_co_u32_e32 v3, vcc, 0, v3, vcc
	flat_load_dword v11, v[2:3]
	flat_load_dword v12, v[2:3] offset:512
	s_mov_b64 s[4:5], 0
	s_waitcnt vmcnt(0) lgkmcnt(0)
	ds_write2st64_b32 v22, v1, v4 offset1:2
	ds_write2st64_b32 v22, v5, v6 offset0:4 offset1:6
	ds_write2st64_b32 v22, v7, v8 offset0:8 offset1:10
	;; [unrolled: 1-line block ×4, first 2 shown]
	s_waitcnt lgkmcnt(0)
	s_barrier
.LBB1697_6:
	s_andn2_b64 vcc, exec, s[4:5]
	v_cmp_gt_u32_e64 s[4:5], s30, v0
	s_cbranch_vccnz .LBB1697_28
; %bb.7:
	v_pk_mov_b32 v[2:3], s[24:25], s[24:25] op_sel:[0,1]
	flat_load_dword v1, v[2:3]
	s_waitcnt vmcnt(0) lgkmcnt(0)
	v_mov_b32_e32 v2, v1
	v_mov_b32_e32 v3, v1
	;; [unrolled: 1-line block ×9, first 2 shown]
	s_and_saveexec_b64 s[26:27], s[4:5]
	s_cbranch_execz .LBB1697_9
; %bb.8:
	v_mov_b32_e32 v11, s25
	v_add_co_u32_e32 v10, vcc, s24, v22
	v_addc_co_u32_e32 v11, vcc, 0, v11, vcc
	flat_load_dword v10, v[10:11]
.LBB1697_9:
	s_or_b64 exec, exec, s[26:27]
	v_or_b32_e32 v11, 0x80, v0
	v_cmp_gt_u32_e32 vcc, s30, v11
	s_and_saveexec_b64 s[4:5], vcc
	s_cbranch_execz .LBB1697_11
; %bb.10:
	v_mov_b32_e32 v1, s25
	v_add_co_u32_e32 v12, vcc, s24, v22
	v_addc_co_u32_e32 v13, vcc, 0, v1, vcc
	flat_load_dword v1, v[12:13] offset:512
.LBB1697_11:
	s_or_b64 exec, exec, s[4:5]
	v_or_b32_e32 v11, 0x100, v0
	v_cmp_gt_u32_e32 vcc, s30, v11
	s_and_saveexec_b64 s[4:5], vcc
	s_cbranch_execz .LBB1697_13
; %bb.12:
	v_mov_b32_e32 v2, s25
	v_add_co_u32_e32 v12, vcc, s24, v22
	v_addc_co_u32_e32 v13, vcc, 0, v2, vcc
	flat_load_dword v2, v[12:13] offset:1024
.LBB1697_13:
	;; [unrolled: 11-line block ×7, first 2 shown]
	s_or_b64 exec, exec, s[4:5]
	v_or_b32_e32 v11, 0x400, v0
	v_cmp_gt_u32_e32 vcc, s30, v11
	s_and_saveexec_b64 s[4:5], vcc
	s_cbranch_execz .LBB1697_25
; %bb.24:
	v_lshlrev_b32_e32 v8, 2, v11
	v_mov_b32_e32 v11, s25
	v_add_co_u32_e32 v12, vcc, s24, v8
	v_addc_co_u32_e32 v13, vcc, 0, v11, vcc
	flat_load_dword v8, v[12:13]
.LBB1697_25:
	s_or_b64 exec, exec, s[4:5]
	v_or_b32_e32 v11, 0x480, v0
	v_cmp_gt_u32_e32 vcc, s30, v11
	s_and_saveexec_b64 s[4:5], vcc
	s_cbranch_execz .LBB1697_27
; %bb.26:
	v_lshlrev_b32_e32 v9, 2, v11
	v_mov_b32_e32 v11, s25
	v_add_co_u32_e32 v12, vcc, s24, v9
	v_addc_co_u32_e32 v13, vcc, 0, v11, vcc
	flat_load_dword v9, v[12:13]
.LBB1697_27:
	s_or_b64 exec, exec, s[4:5]
	s_waitcnt vmcnt(0) lgkmcnt(0)
	ds_write2st64_b32 v22, v10, v1 offset1:2
	ds_write2st64_b32 v22, v2, v3 offset0:4 offset1:6
	ds_write2st64_b32 v22, v4, v5 offset0:8 offset1:10
	;; [unrolled: 1-line block ×4, first 2 shown]
	s_waitcnt lgkmcnt(0)
	s_barrier
.LBB1697_28:
	v_mul_u32_u24_e32 v23, 10, v0
	v_lshlrev_b32_e32 v1, 2, v23
	ds_read2_b64 v[2:5], v1 offset1:1
	ds_read2_b64 v[16:19], v1 offset0:2 offset1:3
	ds_read_b64 v[20:21], v1 offset:32
	s_cmp_lg_u32 s33, 0
	v_lshrrev_b32_e32 v24, 5, v0
	v_cmp_gt_u32_e32 vcc, 64, v0
	s_waitcnt lgkmcnt(0)
	s_barrier
	s_cbranch_scc0 .LBB1697_53
; %bb.29:
	v_add_u32_e32 v6, v3, v2
	v_add3_u32 v6, v6, v4, v5
	v_add3_u32 v6, v6, v16, v17
	;; [unrolled: 1-line block ×4, first 2 shown]
	v_add_lshl_u32 v7, v24, v0, 2
	ds_write_b32 v7, v6
	s_waitcnt lgkmcnt(0)
	s_barrier
	s_and_saveexec_b64 s[24:25], vcc
	s_cbranch_execz .LBB1697_31
; %bb.30:
	v_lshlrev_b32_e32 v7, 1, v0
	v_lshrrev_b32_e32 v8, 4, v0
	v_add_lshl_u32 v7, v8, v7, 2
	ds_read2_b32 v[8:9], v7 offset1:1
	v_mbcnt_lo_u32_b32 v10, -1, 0
	v_mbcnt_hi_u32_b32 v10, -1, v10
	v_and_b32_e32 v11, 15, v10
	v_cmp_ne_u32_e64 s[4:5], 0, v11
	s_waitcnt lgkmcnt(0)
	v_add_u32_e32 v9, v9, v8
	; wave barrier
	s_nop 1
	v_mov_b32_dpp v12, v9 row_shr:1 row_mask:0xf bank_mask:0xf
	v_cndmask_b32_e64 v12, 0, v12, s[4:5]
	v_add_u32_e32 v9, v12, v9
	v_cmp_lt_u32_e64 s[4:5], 1, v11
	s_nop 0
	v_mov_b32_dpp v12, v9 row_shr:2 row_mask:0xf bank_mask:0xf
	v_cndmask_b32_e64 v12, 0, v12, s[4:5]
	v_add_u32_e32 v9, v9, v12
	v_cmp_lt_u32_e64 s[4:5], 3, v11
	;; [unrolled: 5-line block ×3, first 2 shown]
	s_nop 0
	v_mov_b32_dpp v12, v9 row_shr:8 row_mask:0xf bank_mask:0xf
	v_cndmask_b32_e64 v11, 0, v12, s[4:5]
	v_add_u32_e32 v9, v9, v11
	v_bfe_i32 v12, v10, 4, 1
	v_cmp_lt_u32_e64 s[4:5], 31, v10
	v_mov_b32_dpp v11, v9 row_bcast:15 row_mask:0xf bank_mask:0xf
	v_and_b32_e32 v11, v12, v11
	v_add_u32_e32 v9, v9, v11
	v_and_b32_e32 v12, 64, v10
	s_nop 0
	v_mov_b32_dpp v11, v9 row_bcast:31 row_mask:0xf bank_mask:0xf
	v_cndmask_b32_e64 v11, 0, v11, s[4:5]
	v_add_u32_e32 v9, v9, v11
	v_add_u32_e32 v11, -1, v10
	v_cmp_lt_i32_e64 s[4:5], v11, v12
	v_cndmask_b32_e64 v10, v11, v10, s[4:5]
	v_lshlrev_b32_e32 v10, 2, v10
	ds_bpermute_b32 v9, v10, v9
	s_waitcnt lgkmcnt(0)
	v_add_u32_e32 v8, v9, v8
	v_cndmask_b32_e64 v6, v8, v6, s[2:3]
	ds_write_b32 v7, v6
	; wave barrier
	ds_read_b32 v8, v7 offset:4
	s_waitcnt lgkmcnt(0)
	v_add_u32_e32 v6, v8, v6
	ds_write_b32 v7, v6 offset:4
.LBB1697_31:
	s_or_b64 exec, exec, s[24:25]
	v_mov_b32_e32 v25, 0
	s_waitcnt lgkmcnt(0)
	s_barrier
	s_and_saveexec_b64 s[4:5], s[0:1]
	s_cbranch_execz .LBB1697_33
; %bb.32:
	v_add_u32_e32 v6, -1, v0
	v_lshrrev_b32_e32 v7, 5, v6
	v_add_lshl_u32 v6, v7, v6, 2
	ds_read_b32 v25, v6
.LBB1697_33:
	s_or_b64 exec, exec, s[4:5]
	s_and_saveexec_b64 s[24:25], vcc
	s_cbranch_execz .LBB1697_52
; %bb.34:
	v_mov_b32_e32 v13, 0
	ds_read_b32 v6, v13 offset:520
	v_mbcnt_lo_u32_b32 v7, -1, 0
	v_mbcnt_hi_u32_b32 v9, -1, v7
	s_mov_b32 s29, 0
	v_cmp_eq_u32_e64 s[4:5], 0, v9
	s_and_saveexec_b64 s[26:27], s[4:5]
	s_cbranch_execz .LBB1697_36
; %bb.35:
	s_add_i32 s28, s33, 64
	s_lshl_b64 s[28:29], s[28:29], 3
	s_add_u32 s28, s6, s28
	v_mov_b32_e32 v7, 1
	s_addc_u32 s29, s7, s29
	s_waitcnt lgkmcnt(0)
	global_store_dwordx2 v13, v[6:7], s[28:29]
.LBB1697_36:
	s_or_b64 exec, exec, s[26:27]
	v_xad_u32 v8, v9, -1, s33
	v_add_u32_e32 v12, 64, v8
	v_lshlrev_b64 v[10:11], 3, v[12:13]
	v_mov_b32_e32 v7, s7
	v_add_co_u32_e32 v14, vcc, s6, v10
	v_addc_co_u32_e32 v15, vcc, v7, v11, vcc
	global_load_dwordx2 v[10:11], v[14:15], off glc
	s_waitcnt vmcnt(0)
	v_cmp_eq_u16_sdwa s[28:29], v11, v13 src0_sel:BYTE_0 src1_sel:DWORD
	s_and_saveexec_b64 s[26:27], s[28:29]
	s_cbranch_execz .LBB1697_40
; %bb.37:
	s_mov_b64 s[28:29], 0
	v_mov_b32_e32 v7, 0
.LBB1697_38:                            ; =>This Inner Loop Header: Depth=1
	global_load_dwordx2 v[10:11], v[14:15], off glc
	s_waitcnt vmcnt(0)
	v_cmp_ne_u16_sdwa s[34:35], v11, v7 src0_sel:BYTE_0 src1_sel:DWORD
	s_or_b64 s[28:29], s[34:35], s[28:29]
	s_andn2_b64 exec, exec, s[28:29]
	s_cbranch_execnz .LBB1697_38
; %bb.39:
	s_or_b64 exec, exec, s[28:29]
.LBB1697_40:
	s_or_b64 exec, exec, s[26:27]
	v_and_b32_e32 v26, 63, v9
	v_mov_b32_e32 v7, 2
	v_cmp_ne_u32_e32 vcc, 63, v26
	v_cmp_eq_u16_sdwa s[26:27], v11, v7 src0_sel:BYTE_0 src1_sel:DWORD
	v_lshlrev_b64 v[12:13], v9, -1
	v_addc_co_u32_e32 v27, vcc, 0, v9, vcc
	v_and_b32_e32 v14, s27, v13
	v_lshlrev_b32_e32 v27, 2, v27
	v_or_b32_e32 v14, 0x80000000, v14
	ds_bpermute_b32 v28, v27, v10
	v_and_b32_e32 v15, s26, v12
	v_ffbl_b32_e32 v14, v14
	v_add_u32_e32 v14, 32, v14
	v_ffbl_b32_e32 v15, v15
	v_min_u32_e32 v14, v15, v14
	v_cmp_lt_u32_e32 vcc, v26, v14
	s_waitcnt lgkmcnt(0)
	v_cndmask_b32_e32 v15, 0, v28, vcc
	v_cmp_gt_u32_e32 vcc, 62, v26
	v_add_u32_e32 v10, v15, v10
	v_cndmask_b32_e64 v15, 0, 1, vcc
	v_lshlrev_b32_e32 v15, 1, v15
	v_add_lshl_u32 v28, v15, v9, 2
	ds_bpermute_b32 v15, v28, v10
	v_add_u32_e32 v29, 2, v26
	v_cmp_le_u32_e32 vcc, v29, v14
	v_add_u32_e32 v31, 4, v26
	v_add_u32_e32 v33, 8, v26
	s_waitcnt lgkmcnt(0)
	v_cndmask_b32_e32 v15, 0, v15, vcc
	v_cmp_gt_u32_e32 vcc, 60, v26
	v_add_u32_e32 v10, v10, v15
	v_cndmask_b32_e64 v15, 0, 1, vcc
	v_lshlrev_b32_e32 v15, 2, v15
	v_add_lshl_u32 v30, v15, v9, 2
	ds_bpermute_b32 v15, v30, v10
	v_cmp_le_u32_e32 vcc, v31, v14
	v_add_u32_e32 v36, 16, v26
	v_add_u32_e32 v38, 32, v26
	s_waitcnt lgkmcnt(0)
	v_cndmask_b32_e32 v15, 0, v15, vcc
	v_cmp_gt_u32_e32 vcc, 56, v26
	v_add_u32_e32 v10, v10, v15
	v_cndmask_b32_e64 v15, 0, 1, vcc
	v_lshlrev_b32_e32 v15, 3, v15
	v_add_lshl_u32 v32, v15, v9, 2
	ds_bpermute_b32 v15, v32, v10
	v_cmp_le_u32_e32 vcc, v33, v14
	s_waitcnt lgkmcnt(0)
	v_cndmask_b32_e32 v15, 0, v15, vcc
	v_cmp_gt_u32_e32 vcc, 48, v26
	v_add_u32_e32 v10, v10, v15
	v_cndmask_b32_e64 v15, 0, 1, vcc
	v_lshlrev_b32_e32 v15, 4, v15
	v_add_lshl_u32 v35, v15, v9, 2
	ds_bpermute_b32 v15, v35, v10
	v_cmp_le_u32_e32 vcc, v36, v14
	;; [unrolled: 9-line block ×3, first 2 shown]
	s_waitcnt lgkmcnt(0)
	v_cndmask_b32_e32 v9, 0, v9, vcc
	v_add_u32_e32 v10, v10, v9
	v_mov_b32_e32 v9, 0
	s_branch .LBB1697_42
.LBB1697_41:                            ;   in Loop: Header=BB1697_42 Depth=1
	s_or_b64 exec, exec, s[26:27]
	v_cmp_eq_u16_sdwa s[26:27], v11, v7 src0_sel:BYTE_0 src1_sel:DWORD
	v_and_b32_e32 v14, s27, v13
	v_or_b32_e32 v14, 0x80000000, v14
	ds_bpermute_b32 v39, v27, v10
	v_and_b32_e32 v15, s26, v12
	v_ffbl_b32_e32 v14, v14
	v_add_u32_e32 v14, 32, v14
	v_ffbl_b32_e32 v15, v15
	v_min_u32_e32 v14, v15, v14
	v_cmp_lt_u32_e32 vcc, v26, v14
	s_waitcnt lgkmcnt(0)
	v_cndmask_b32_e32 v15, 0, v39, vcc
	v_add_u32_e32 v10, v15, v10
	ds_bpermute_b32 v15, v28, v10
	v_cmp_le_u32_e32 vcc, v29, v14
	v_subrev_u32_e32 v8, 64, v8
	s_waitcnt lgkmcnt(0)
	v_cndmask_b32_e32 v15, 0, v15, vcc
	v_add_u32_e32 v10, v10, v15
	ds_bpermute_b32 v15, v30, v10
	v_cmp_le_u32_e32 vcc, v31, v14
	s_waitcnt lgkmcnt(0)
	v_cndmask_b32_e32 v15, 0, v15, vcc
	v_add_u32_e32 v10, v10, v15
	ds_bpermute_b32 v15, v32, v10
	v_cmp_le_u32_e32 vcc, v33, v14
	;; [unrolled: 5-line block ×4, first 2 shown]
	s_waitcnt lgkmcnt(0)
	v_cndmask_b32_e32 v14, 0, v15, vcc
	v_add3_u32 v10, v14, v34, v10
.LBB1697_42:                            ; =>This Loop Header: Depth=1
                                        ;     Child Loop BB1697_45 Depth 2
	v_cmp_ne_u16_sdwa s[26:27], v11, v7 src0_sel:BYTE_0 src1_sel:DWORD
	v_cndmask_b32_e64 v11, 0, 1, s[26:27]
	;;#ASMSTART
	;;#ASMEND
	v_cmp_ne_u32_e32 vcc, 0, v11
	s_cmp_lg_u64 vcc, exec
	v_mov_b32_e32 v34, v10
	s_cbranch_scc1 .LBB1697_47
; %bb.43:                               ;   in Loop: Header=BB1697_42 Depth=1
	v_lshlrev_b64 v[10:11], 3, v[8:9]
	v_mov_b32_e32 v15, s7
	v_add_co_u32_e32 v14, vcc, s6, v10
	v_addc_co_u32_e32 v15, vcc, v15, v11, vcc
	global_load_dwordx2 v[10:11], v[14:15], off glc
	s_waitcnt vmcnt(0)
	v_cmp_eq_u16_sdwa s[28:29], v11, v9 src0_sel:BYTE_0 src1_sel:DWORD
	s_and_saveexec_b64 s[26:27], s[28:29]
	s_cbranch_execz .LBB1697_41
; %bb.44:                               ;   in Loop: Header=BB1697_42 Depth=1
	s_mov_b64 s[28:29], 0
.LBB1697_45:                            ;   Parent Loop BB1697_42 Depth=1
                                        ; =>  This Inner Loop Header: Depth=2
	global_load_dwordx2 v[10:11], v[14:15], off glc
	s_waitcnt vmcnt(0)
	v_cmp_ne_u16_sdwa s[34:35], v11, v9 src0_sel:BYTE_0 src1_sel:DWORD
	s_or_b64 s[28:29], s[34:35], s[28:29]
	s_andn2_b64 exec, exec, s[28:29]
	s_cbranch_execnz .LBB1697_45
; %bb.46:                               ;   in Loop: Header=BB1697_42 Depth=1
	s_or_b64 exec, exec, s[28:29]
	s_branch .LBB1697_41
.LBB1697_47:                            ;   in Loop: Header=BB1697_42 Depth=1
                                        ; implicit-def: $vgpr10
                                        ; implicit-def: $vgpr11
	s_cbranch_execz .LBB1697_42
; %bb.48:
	s_and_saveexec_b64 s[26:27], s[4:5]
	s_cbranch_execz .LBB1697_50
; %bb.49:
	s_add_i32 s4, s33, 64
	s_mov_b32 s5, 0
	s_lshl_b64 s[4:5], s[4:5], 3
	s_add_u32 s4, s6, s4
	v_add_u32_e32 v6, v34, v6
	v_mov_b32_e32 v7, 2
	s_addc_u32 s5, s7, s5
	v_mov_b32_e32 v8, 0
	global_store_dwordx2 v8, v[6:7], s[4:5]
.LBB1697_50:
	s_or_b64 exec, exec, s[26:27]
	s_and_b64 exec, exec, s[2:3]
	s_cbranch_execz .LBB1697_52
; %bb.51:
	v_mov_b32_e32 v6, 0
	ds_write_b32 v6, v34
.LBB1697_52:
	s_or_b64 exec, exec, s[24:25]
	v_mov_b32_e32 v6, 0
	s_waitcnt lgkmcnt(0)
	s_barrier
	ds_read_b32 v6, v6
	s_waitcnt lgkmcnt(0)
	v_add3_u32 v6, v25, v2, v6
	v_add_u32_e32 v7, v6, v3
	v_add_u32_e32 v8, v7, v4
	;; [unrolled: 1-line block ×9, first 2 shown]
	s_branch .LBB1697_65
.LBB1697_53:
                                        ; implicit-def: $vgpr6_vgpr7_vgpr8_vgpr9_vgpr10_vgpr11_vgpr12_vgpr13_vgpr14_vgpr15
	s_cbranch_execz .LBB1697_65
; %bb.54:
	s_cmp_lg_u64 s[12:13], 0
	s_cselect_b64 s[4:5], -1, 0
	s_and_b64 s[12:13], s[2:3], s[4:5]
	v_mov_b32_e32 v12, v3
	v_mov_b32_e32 v13, v4
	v_mov_b32_e32 v14, v5
	s_and_saveexec_b64 s[4:5], s[12:13]
	s_cbranch_execz .LBB1697_56
; %bb.55:
	v_mov_b32_e32 v6, 0
	global_load_dword v6, v6, s[8:9]
	v_mov_b32_e32 v12, v3
	v_mov_b32_e32 v13, v4
	;; [unrolled: 1-line block ×3, first 2 shown]
	s_waitcnt vmcnt(0)
	v_add_u32_e32 v2, v6, v2
.LBB1697_56:
	s_or_b64 exec, exec, s[4:5]
	v_add_u32_e32 v3, v12, v2
	v_add_u32_e32 v4, v3, v13
	;; [unrolled: 1-line block ×9, first 2 shown]
	v_add_lshl_u32 v15, v24, v0, 2
	v_cmp_gt_u32_e32 vcc, 64, v0
	ds_write_b32 v15, v11
	s_waitcnt lgkmcnt(0)
	s_barrier
	s_and_saveexec_b64 s[4:5], vcc
	s_cbranch_execz .LBB1697_58
; %bb.57:
	v_lshlrev_b32_e32 v15, 1, v0
	v_lshrrev_b32_e32 v24, 4, v0
	v_add_lshl_u32 v15, v24, v15, 2
	ds_read2_b32 v[24:25], v15 offset1:1
	v_mbcnt_lo_u32_b32 v26, -1, 0
	v_mbcnt_hi_u32_b32 v26, -1, v26
	v_and_b32_e32 v27, 15, v26
	v_cmp_ne_u32_e32 vcc, 0, v27
	s_waitcnt lgkmcnt(0)
	v_add_u32_e32 v25, v25, v24
	; wave barrier
	s_nop 1
	v_mov_b32_dpp v28, v25 row_shr:1 row_mask:0xf bank_mask:0xf
	v_cndmask_b32_e32 v28, 0, v28, vcc
	v_add_u32_e32 v25, v28, v25
	v_cmp_lt_u32_e32 vcc, 1, v27
	s_nop 0
	v_mov_b32_dpp v28, v25 row_shr:2 row_mask:0xf bank_mask:0xf
	v_cndmask_b32_e32 v28, 0, v28, vcc
	v_add_u32_e32 v25, v25, v28
	v_cmp_lt_u32_e32 vcc, 3, v27
	;; [unrolled: 5-line block ×3, first 2 shown]
	s_nop 0
	v_mov_b32_dpp v28, v25 row_shr:8 row_mask:0xf bank_mask:0xf
	v_cndmask_b32_e32 v27, 0, v28, vcc
	v_add_u32_e32 v25, v25, v27
	v_bfe_i32 v28, v26, 4, 1
	v_cmp_lt_u32_e32 vcc, 31, v26
	v_mov_b32_dpp v27, v25 row_bcast:15 row_mask:0xf bank_mask:0xf
	v_and_b32_e32 v27, v28, v27
	v_add_u32_e32 v25, v25, v27
	v_and_b32_e32 v28, 64, v26
	s_nop 0
	v_mov_b32_dpp v27, v25 row_bcast:31 row_mask:0xf bank_mask:0xf
	v_cndmask_b32_e32 v27, 0, v27, vcc
	v_add_u32_e32 v25, v25, v27
	v_add_u32_e32 v27, -1, v26
	v_cmp_lt_i32_e32 vcc, v27, v28
	v_cndmask_b32_e32 v26, v27, v26, vcc
	v_lshlrev_b32_e32 v26, 2, v26
	ds_bpermute_b32 v25, v26, v25
	s_waitcnt lgkmcnt(0)
	v_add_u32_e32 v24, v25, v24
	v_cndmask_b32_e64 v24, v24, v11, s[2:3]
	ds_write_b32 v15, v24
	; wave barrier
	ds_read_b32 v25, v15 offset:4
	s_waitcnt lgkmcnt(0)
	v_add_u32_e32 v24, v25, v24
	ds_write_b32 v15, v24 offset:4
.LBB1697_58:
	s_or_b64 exec, exec, s[4:5]
	v_mov_b32_e32 v15, v11
	s_waitcnt lgkmcnt(0)
	s_barrier
	s_and_saveexec_b64 s[2:3], s[0:1]
	s_cbranch_execz .LBB1697_60
; %bb.59:
	v_add_u32_e32 v15, -1, v0
	v_lshrrev_b32_e32 v24, 5, v15
	v_add_lshl_u32 v15, v24, v15, 2
	ds_read_b32 v15, v15
.LBB1697_60:
	s_or_b64 exec, exec, s[2:3]
	s_and_saveexec_b64 s[2:3], s[0:1]
	s_cbranch_execz .LBB1697_62
; %bb.61:
	s_waitcnt lgkmcnt(0)
	v_add_u32_e32 v2, v15, v2
	v_add_u32_e32 v3, v2, v12
	;; [unrolled: 1-line block ×10, first 2 shown]
	;;#ASMSTART
	;;#ASMEND
.LBB1697_62:
	s_or_b64 exec, exec, s[2:3]
	s_movk_i32 s0, 0x7f
	v_cmp_eq_u32_e32 vcc, s0, v0
	s_and_saveexec_b64 s[0:1], vcc
	s_cbranch_execz .LBB1697_64
; %bb.63:
	v_mov_b32_e32 v14, 0
	v_mov_b32_e32 v13, 2
	;; [unrolled: 1-line block ×3, first 2 shown]
	global_store_dwordx2 v14, v[12:13], s[6:7] offset:512
.LBB1697_64:
	s_or_b64 exec, exec, s[0:1]
	s_waitcnt lgkmcnt(0)
	v_pk_mov_b32 v[14:15], v[10:11], v[10:11] op_sel:[0,1]
	v_pk_mov_b32 v[12:13], v[8:9], v[8:9] op_sel:[0,1]
	;; [unrolled: 1-line block ×5, first 2 shown]
.LBB1697_65:
	s_add_u32 s0, s20, s18
	s_addc_u32 s1, s21, s19
	s_add_u32 s2, s0, s22
	s_addc_u32 s3, s1, s23
	s_mov_b64 s[0:1], -1
	s_and_b64 vcc, exec, s[16:17]
	s_barrier
	s_cbranch_vccz .LBB1697_67
; %bb.66:
	ds_write2_b64 v1, v[6:7], v[8:9] offset1:1
	ds_write2_b64 v1, v[10:11], v[12:13] offset0:2 offset1:3
	ds_write_b64 v1, v[14:15] offset:32
	s_waitcnt lgkmcnt(0)
	s_barrier
	ds_read2st64_b32 v[2:3], v22 offset1:2
	ds_read2st64_b32 v[4:5], v22 offset0:4 offset1:6
	ds_read2st64_b32 v[16:17], v22 offset0:8 offset1:10
	;; [unrolled: 1-line block ×4, first 2 shown]
	s_waitcnt lgkmcnt(4)
	v_cvt_f32_i32_e32 v2, v2
	v_cvt_f32_i32_e32 v3, v3
	v_mov_b32_e32 v25, s3
	v_add_co_u32_e32 v24, vcc, s2, v22
	s_waitcnt lgkmcnt(3)
	v_cvt_f32_i32_e32 v4, v4
	v_addc_co_u32_e32 v25, vcc, 0, v25, vcc
	v_cvt_f32_i32_e32 v5, v5
	flat_store_dword v[24:25], v2
	flat_store_dword v[24:25], v3 offset:512
	flat_store_dword v[24:25], v4 offset:1024
	;; [unrolled: 1-line block ×3, first 2 shown]
	s_waitcnt lgkmcnt(0)
	v_cvt_f32_i32_e32 v2, v16
	v_cvt_f32_i32_e32 v3, v17
	;; [unrolled: 1-line block ×4, first 2 shown]
	flat_store_dword v[24:25], v2 offset:2048
	flat_store_dword v[24:25], v3 offset:2560
	;; [unrolled: 1-line block ×4, first 2 shown]
	v_cvt_f32_i32_e32 v4, v20
	v_cvt_f32_i32_e32 v5, v21
	v_add_co_u32_e32 v2, vcc, 0x1000, v24
	v_addc_co_u32_e32 v3, vcc, 0, v25, vcc
	flat_store_dword v[2:3], v4
	flat_store_dword v[2:3], v5 offset:512
	s_mov_b64 s[0:1], 0
.LBB1697_67:
	s_andn2_b64 vcc, exec, s[0:1]
	s_cbranch_vccnz .LBB1697_123
; %bb.68:
	ds_write2_b64 v1, v[6:7], v[8:9] offset1:1
	ds_write2_b64 v1, v[10:11], v[12:13] offset0:2 offset1:3
	ds_write_b64 v1, v[14:15] offset:32
	s_waitcnt lgkmcnt(0)
	s_barrier
	ds_read2st64_b32 v[2:3], v22 offset1:2
	ds_read2st64_b32 v[6:7], v22 offset0:4 offset1:6
	ds_read2st64_b32 v[4:5], v22 offset0:8 offset1:10
	;; [unrolled: 1-line block ×4, first 2 shown]
	v_mov_b32_e32 v13, s3
	v_add_co_u32_e32 v12, vcc, s2, v22
	v_addc_co_u32_e32 v13, vcc, 0, v13, vcc
	v_mov_b32_e32 v1, 0
	v_cmp_gt_u32_e32 vcc, s30, v0
	s_and_saveexec_b64 s[0:1], vcc
	s_cbranch_execz .LBB1697_70
; %bb.69:
	s_waitcnt lgkmcnt(0)
	v_cvt_f32_i32_e32 v14, v2
	flat_store_dword v[12:13], v14
.LBB1697_70:
	s_or_b64 exec, exec, s[0:1]
	v_or_b32_e32 v14, 0x80, v0
	v_cmp_gt_u32_e32 vcc, s30, v14
	s_and_saveexec_b64 s[0:1], vcc
	s_cbranch_execz .LBB1697_72
; %bb.71:
	s_waitcnt lgkmcnt(0)
	v_cvt_f32_i32_e32 v14, v3
	flat_store_dword v[12:13], v14 offset:512
.LBB1697_72:
	s_or_b64 exec, exec, s[0:1]
	v_or_b32_e32 v14, 0x100, v0
	v_cmp_gt_u32_e32 vcc, s30, v14
	s_and_saveexec_b64 s[0:1], vcc
	s_cbranch_execz .LBB1697_74
; %bb.73:
	s_waitcnt lgkmcnt(0)
	v_cvt_f32_i32_e32 v14, v6
	flat_store_dword v[12:13], v14 offset:1024
.LBB1697_74:
	;; [unrolled: 10-line block ×7, first 2 shown]
	s_or_b64 exec, exec, s[0:1]
	v_or_b32_e32 v14, 0x400, v0
	v_cmp_gt_u32_e32 vcc, s30, v14
	s_and_saveexec_b64 s[0:1], vcc
	s_cbranch_execz .LBB1697_86
; %bb.85:
	s_waitcnt lgkmcnt(0)
	v_cvt_f32_i32_e32 v16, v10
	v_add_co_u32_e32 v14, vcc, 0x1000, v12
	v_addc_co_u32_e32 v15, vcc, 0, v13, vcc
	flat_store_dword v[14:15], v16
.LBB1697_86:
	s_or_b64 exec, exec, s[0:1]
	v_or_b32_e32 v14, 0x480, v0
	v_cmp_gt_u32_e32 vcc, s30, v14
	s_and_saveexec_b64 s[0:1], vcc
	s_cbranch_execz .LBB1697_88
; %bb.87:
	s_waitcnt lgkmcnt(0)
	v_cvt_f32_i32_e32 v14, v11
	v_add_co_u32_e32 v12, vcc, 0x1000, v12
	v_addc_co_u32_e32 v13, vcc, 0, v13, vcc
	flat_store_dword v[12:13], v14 offset:512
.LBB1697_88:
	s_or_b64 exec, exec, s[0:1]
	v_cmp_lt_u64_e64 s[0:1], s[14:15], 2
	s_and_b64 vcc, exec, s[0:1]
	s_cbranch_vccnz .LBB1697_123
; %bb.89:
	s_add_u32 s0, s30, -1
	s_addc_u32 s1, s31, -1
	s_add_u32 s2, 0, 0x99986000
	s_addc_u32 s3, 0, 0x59
	s_add_i32 s3, s3, 0x19999940
	s_mul_hi_u32 s7, s2, -10
	s_sub_i32 s7, s7, s2
	s_mul_i32 s8, s3, -10
	s_mul_i32 s4, s2, -10
	s_add_i32 s7, s7, s8
	s_mul_hi_u32 s5, s3, s4
	s_mul_i32 s6, s3, s4
	s_mul_i32 s9, s2, s7
	s_mul_hi_u32 s4, s2, s4
	s_mul_hi_u32 s8, s2, s7
	s_add_u32 s4, s4, s9
	s_addc_u32 s8, 0, s8
	s_add_u32 s4, s4, s6
	s_mul_hi_u32 s9, s3, s7
	s_addc_u32 s4, s8, s5
	s_addc_u32 s5, s9, 0
	s_mul_i32 s6, s3, s7
	s_add_u32 s4, s4, s6
	v_mov_b32_e32 v12, s4
	s_addc_u32 s5, 0, s5
	v_add_co_u32_e32 v12, vcc, s2, v12
	s_cmp_lg_u64 vcc, 0
	s_addc_u32 s2, s3, s5
	v_readfirstlane_b32 s5, v12
	s_mul_i32 s4, s0, s2
	s_mul_hi_u32 s6, s0, s5
	s_mul_hi_u32 s3, s0, s2
	s_add_u32 s4, s6, s4
	s_addc_u32 s3, 0, s3
	s_mul_hi_u32 s7, s1, s5
	s_mul_i32 s5, s1, s5
	s_add_u32 s4, s4, s5
	s_mul_hi_u32 s6, s1, s2
	s_addc_u32 s3, s3, s7
	s_addc_u32 s4, s6, 0
	s_mul_i32 s2, s1, s2
	s_add_u32 s2, s3, s2
	s_addc_u32 s3, 0, s4
	s_add_u32 s4, s2, 1
	s_addc_u32 s5, s3, 0
	s_add_u32 s6, s2, 2
	s_mul_i32 s8, s3, 10
	s_mul_hi_u32 s9, s2, 10
	s_addc_u32 s7, s3, 0
	s_add_i32 s9, s9, s8
	s_mul_i32 s8, s2, 10
	v_mov_b32_e32 v12, s8
	v_sub_co_u32_e32 v12, vcc, s0, v12
	s_cmp_lg_u64 vcc, 0
	s_subb_u32 s8, s1, s9
	v_subrev_co_u32_e32 v13, vcc, 10, v12
	s_cmp_lg_u64 vcc, 0
	s_subb_u32 s9, s8, 0
	v_readfirstlane_b32 s12, v13
	s_cmp_gt_u32 s12, 9
	s_cselect_b32 s12, -1, 0
	s_cmp_eq_u32 s9, 0
	s_cselect_b32 s9, s12, -1
	s_cmp_lg_u32 s9, 0
	s_cselect_b32 s4, s6, s4
	v_readfirstlane_b32 s6, v12
	s_cselect_b32 s5, s7, s5
	s_cmp_gt_u32 s6, 9
	s_cselect_b32 s6, -1, 0
	s_cmp_eq_u32 s8, 0
	s_cselect_b32 s6, s6, -1
	s_cmp_lg_u32 s6, 0
	s_cselect_b32 s3, s5, s3
	s_cselect_b32 s2, s4, s2
	v_cmp_eq_u64_e32 vcc, s[2:3], v[0:1]
	s_and_saveexec_b64 s[2:3], vcc
	s_cbranch_execz .LBB1697_123
; %bb.90:
	v_mul_hi_u32_u24_e32 v1, 10, v0
	v_mov_b32_e32 v12, s1
	v_sub_co_u32_e32 v0, vcc, s0, v23
	v_subb_co_u32_e32 v1, vcc, v12, v1, vcc
	v_cmp_lt_i64_e32 vcc, 4, v[0:1]
	s_and_saveexec_b64 s[0:1], vcc
	s_xor_b64 s[0:1], exec, s[0:1]
	s_cbranch_execz .LBB1697_108
; %bb.91:
	v_cmp_lt_i64_e32 vcc, 6, v[0:1]
	s_and_saveexec_b64 s[2:3], vcc
	s_xor_b64 s[2:3], exec, s[2:3]
	s_cbranch_execz .LBB1697_101
; %bb.92:
	;; [unrolled: 5-line block ×4, first 2 shown]
	v_mov_b32_e32 v0, 0
	s_waitcnt lgkmcnt(0)
	global_store_dword v0, v11, s[10:11]
                                        ; implicit-def: $vgpr10_vgpr11
.LBB1697_95:
	s_andn2_saveexec_b64 s[6:7], s[6:7]
	s_cbranch_execz .LBB1697_97
; %bb.96:
	v_mov_b32_e32 v0, 0
	s_waitcnt lgkmcnt(0)
	global_store_dword v0, v10, s[10:11]
.LBB1697_97:
	s_or_b64 exec, exec, s[6:7]
                                        ; implicit-def: $vgpr8_vgpr9
.LBB1697_98:
	s_andn2_saveexec_b64 s[4:5], s[4:5]
	s_cbranch_execz .LBB1697_100
; %bb.99:
	v_mov_b32_e32 v0, 0
	s_waitcnt lgkmcnt(0)
	global_store_dword v0, v9, s[10:11]
.LBB1697_100:
	s_or_b64 exec, exec, s[4:5]
                                        ; implicit-def: $vgpr4_vgpr5
                                        ; implicit-def: $vgpr0_vgpr1
                                        ; implicit-def: $vgpr8_vgpr9
.LBB1697_101:
	s_andn2_saveexec_b64 s[2:3], s[2:3]
	s_cbranch_execz .LBB1697_107
; %bb.102:
	v_cmp_lt_i64_e32 vcc, 5, v[0:1]
	s_and_saveexec_b64 s[4:5], vcc
	s_xor_b64 s[4:5], exec, s[4:5]
	s_cbranch_execz .LBB1697_104
; %bb.103:
	v_mov_b32_e32 v0, 0
	s_waitcnt lgkmcnt(0)
	global_store_dword v0, v8, s[10:11]
                                        ; implicit-def: $vgpr4_vgpr5
.LBB1697_104:
	s_andn2_saveexec_b64 s[4:5], s[4:5]
	s_cbranch_execz .LBB1697_106
; %bb.105:
	v_mov_b32_e32 v0, 0
	s_waitcnt lgkmcnt(0)
	global_store_dword v0, v5, s[10:11]
.LBB1697_106:
	s_or_b64 exec, exec, s[4:5]
.LBB1697_107:
	s_or_b64 exec, exec, s[2:3]
                                        ; implicit-def: $vgpr0_vgpr1
                                        ; implicit-def: $vgpr6_vgpr7
                                        ; implicit-def: $vgpr2_vgpr3
                                        ; implicit-def: $vgpr4_vgpr5
.LBB1697_108:
	s_andn2_saveexec_b64 s[0:1], s[0:1]
	s_cbranch_execz .LBB1697_123
; %bb.109:
	v_cmp_lt_i64_e32 vcc, 2, v[0:1]
	s_and_saveexec_b64 s[0:1], vcc
	s_xor_b64 s[0:1], exec, s[0:1]
	s_cbranch_execz .LBB1697_115
; %bb.110:
	v_cmp_lt_i64_e32 vcc, 3, v[0:1]
	s_and_saveexec_b64 s[2:3], vcc
	s_xor_b64 s[2:3], exec, s[2:3]
	s_cbranch_execz .LBB1697_112
; %bb.111:
	v_mov_b32_e32 v0, 0
	s_waitcnt lgkmcnt(0)
	global_store_dword v0, v4, s[10:11]
                                        ; implicit-def: $vgpr6_vgpr7
.LBB1697_112:
	s_andn2_saveexec_b64 s[2:3], s[2:3]
	s_cbranch_execz .LBB1697_114
; %bb.113:
	v_mov_b32_e32 v0, 0
	s_waitcnt lgkmcnt(0)
	global_store_dword v0, v7, s[10:11]
.LBB1697_114:
	s_or_b64 exec, exec, s[2:3]
                                        ; implicit-def: $vgpr0_vgpr1
                                        ; implicit-def: $vgpr6_vgpr7
                                        ; implicit-def: $vgpr2_vgpr3
.LBB1697_115:
	s_andn2_saveexec_b64 s[0:1], s[0:1]
	s_cbranch_execz .LBB1697_123
; %bb.116:
	v_cmp_lt_i64_e32 vcc, 1, v[0:1]
	s_and_saveexec_b64 s[0:1], vcc
	s_xor_b64 s[0:1], exec, s[0:1]
	s_cbranch_execz .LBB1697_118
; %bb.117:
	v_mov_b32_e32 v0, 0
	s_waitcnt lgkmcnt(0)
	global_store_dword v0, v6, s[10:11]
                                        ; implicit-def: $vgpr2_vgpr3
                                        ; implicit-def: $vgpr0_vgpr1
.LBB1697_118:
	s_andn2_saveexec_b64 s[0:1], s[0:1]
	s_cbranch_execz .LBB1697_123
; %bb.119:
	v_cmp_ne_u64_e32 vcc, 1, v[0:1]
	s_and_saveexec_b64 s[0:1], vcc
	s_xor_b64 s[0:1], exec, s[0:1]
	s_cbranch_execz .LBB1697_121
; %bb.120:
	v_mov_b32_e32 v0, 0
	s_waitcnt lgkmcnt(0)
	global_store_dword v0, v2, s[10:11]
                                        ; implicit-def: $vgpr2_vgpr3
.LBB1697_121:
	s_andn2_saveexec_b64 s[0:1], s[0:1]
	s_cbranch_execz .LBB1697_123
; %bb.122:
	v_mov_b32_e32 v0, 0
	s_waitcnt lgkmcnt(0)
	global_store_dword v0, v3, s[10:11]
.LBB1697_123:
	s_endpgm
	.section	.rodata,"a",@progbits
	.p2align	6, 0x0
	.amdhsa_kernel _ZN7rocprim17ROCPRIM_400000_NS6detail17trampoline_kernelINS0_14default_configENS1_20scan_config_selectorIiEEZZNS1_9scan_implILNS1_25lookback_scan_determinismE0ELb0ELb0ES3_N6thrust23THRUST_200600_302600_NS6detail15normal_iteratorINS9_10device_ptrIiEEEENSB_INSC_IfEEEEiNS9_4plusIvEEiEEDaPvRmT3_T4_T5_mT6_P12ihipStream_tbENKUlT_T0_E_clISt17integral_constantIbLb0EESV_IbLb1EEEEDaSR_SS_EUlSR_E_NS1_11comp_targetILNS1_3genE4ELNS1_11target_archE910ELNS1_3gpuE8ELNS1_3repE0EEENS1_30default_config_static_selectorELNS0_4arch9wavefront6targetE1EEEvT1_
		.amdhsa_group_segment_fixed_size 5120
		.amdhsa_private_segment_fixed_size 0
		.amdhsa_kernarg_size 96
		.amdhsa_user_sgpr_count 6
		.amdhsa_user_sgpr_private_segment_buffer 1
		.amdhsa_user_sgpr_dispatch_ptr 0
		.amdhsa_user_sgpr_queue_ptr 0
		.amdhsa_user_sgpr_kernarg_segment_ptr 1
		.amdhsa_user_sgpr_dispatch_id 0
		.amdhsa_user_sgpr_flat_scratch_init 0
		.amdhsa_user_sgpr_kernarg_preload_length 0
		.amdhsa_user_sgpr_kernarg_preload_offset 0
		.amdhsa_user_sgpr_private_segment_size 0
		.amdhsa_uses_dynamic_stack 0
		.amdhsa_system_sgpr_private_segment_wavefront_offset 0
		.amdhsa_system_sgpr_workgroup_id_x 1
		.amdhsa_system_sgpr_workgroup_id_y 0
		.amdhsa_system_sgpr_workgroup_id_z 0
		.amdhsa_system_sgpr_workgroup_info 0
		.amdhsa_system_vgpr_workitem_id 0
		.amdhsa_next_free_vgpr 40
		.amdhsa_next_free_sgpr 36
		.amdhsa_accum_offset 40
		.amdhsa_reserve_vcc 1
		.amdhsa_reserve_flat_scratch 0
		.amdhsa_float_round_mode_32 0
		.amdhsa_float_round_mode_16_64 0
		.amdhsa_float_denorm_mode_32 3
		.amdhsa_float_denorm_mode_16_64 3
		.amdhsa_dx10_clamp 1
		.amdhsa_ieee_mode 1
		.amdhsa_fp16_overflow 0
		.amdhsa_tg_split 0
		.amdhsa_exception_fp_ieee_invalid_op 0
		.amdhsa_exception_fp_denorm_src 0
		.amdhsa_exception_fp_ieee_div_zero 0
		.amdhsa_exception_fp_ieee_overflow 0
		.amdhsa_exception_fp_ieee_underflow 0
		.amdhsa_exception_fp_ieee_inexact 0
		.amdhsa_exception_int_div_zero 0
	.end_amdhsa_kernel
	.section	.text._ZN7rocprim17ROCPRIM_400000_NS6detail17trampoline_kernelINS0_14default_configENS1_20scan_config_selectorIiEEZZNS1_9scan_implILNS1_25lookback_scan_determinismE0ELb0ELb0ES3_N6thrust23THRUST_200600_302600_NS6detail15normal_iteratorINS9_10device_ptrIiEEEENSB_INSC_IfEEEEiNS9_4plusIvEEiEEDaPvRmT3_T4_T5_mT6_P12ihipStream_tbENKUlT_T0_E_clISt17integral_constantIbLb0EESV_IbLb1EEEEDaSR_SS_EUlSR_E_NS1_11comp_targetILNS1_3genE4ELNS1_11target_archE910ELNS1_3gpuE8ELNS1_3repE0EEENS1_30default_config_static_selectorELNS0_4arch9wavefront6targetE1EEEvT1_,"axG",@progbits,_ZN7rocprim17ROCPRIM_400000_NS6detail17trampoline_kernelINS0_14default_configENS1_20scan_config_selectorIiEEZZNS1_9scan_implILNS1_25lookback_scan_determinismE0ELb0ELb0ES3_N6thrust23THRUST_200600_302600_NS6detail15normal_iteratorINS9_10device_ptrIiEEEENSB_INSC_IfEEEEiNS9_4plusIvEEiEEDaPvRmT3_T4_T5_mT6_P12ihipStream_tbENKUlT_T0_E_clISt17integral_constantIbLb0EESV_IbLb1EEEEDaSR_SS_EUlSR_E_NS1_11comp_targetILNS1_3genE4ELNS1_11target_archE910ELNS1_3gpuE8ELNS1_3repE0EEENS1_30default_config_static_selectorELNS0_4arch9wavefront6targetE1EEEvT1_,comdat
.Lfunc_end1697:
	.size	_ZN7rocprim17ROCPRIM_400000_NS6detail17trampoline_kernelINS0_14default_configENS1_20scan_config_selectorIiEEZZNS1_9scan_implILNS1_25lookback_scan_determinismE0ELb0ELb0ES3_N6thrust23THRUST_200600_302600_NS6detail15normal_iteratorINS9_10device_ptrIiEEEENSB_INSC_IfEEEEiNS9_4plusIvEEiEEDaPvRmT3_T4_T5_mT6_P12ihipStream_tbENKUlT_T0_E_clISt17integral_constantIbLb0EESV_IbLb1EEEEDaSR_SS_EUlSR_E_NS1_11comp_targetILNS1_3genE4ELNS1_11target_archE910ELNS1_3gpuE8ELNS1_3repE0EEENS1_30default_config_static_selectorELNS0_4arch9wavefront6targetE1EEEvT1_, .Lfunc_end1697-_ZN7rocprim17ROCPRIM_400000_NS6detail17trampoline_kernelINS0_14default_configENS1_20scan_config_selectorIiEEZZNS1_9scan_implILNS1_25lookback_scan_determinismE0ELb0ELb0ES3_N6thrust23THRUST_200600_302600_NS6detail15normal_iteratorINS9_10device_ptrIiEEEENSB_INSC_IfEEEEiNS9_4plusIvEEiEEDaPvRmT3_T4_T5_mT6_P12ihipStream_tbENKUlT_T0_E_clISt17integral_constantIbLb0EESV_IbLb1EEEEDaSR_SS_EUlSR_E_NS1_11comp_targetILNS1_3genE4ELNS1_11target_archE910ELNS1_3gpuE8ELNS1_3repE0EEENS1_30default_config_static_selectorELNS0_4arch9wavefront6targetE1EEEvT1_
                                        ; -- End function
	.section	.AMDGPU.csdata,"",@progbits
; Kernel info:
; codeLenInByte = 4648
; NumSgprs: 40
; NumVgprs: 40
; NumAgprs: 0
; TotalNumVgprs: 40
; ScratchSize: 0
; MemoryBound: 0
; FloatMode: 240
; IeeeMode: 1
; LDSByteSize: 5120 bytes/workgroup (compile time only)
; SGPRBlocks: 4
; VGPRBlocks: 4
; NumSGPRsForWavesPerEU: 40
; NumVGPRsForWavesPerEU: 40
; AccumOffset: 40
; Occupancy: 6
; WaveLimiterHint : 1
; COMPUTE_PGM_RSRC2:SCRATCH_EN: 0
; COMPUTE_PGM_RSRC2:USER_SGPR: 6
; COMPUTE_PGM_RSRC2:TRAP_HANDLER: 0
; COMPUTE_PGM_RSRC2:TGID_X_EN: 1
; COMPUTE_PGM_RSRC2:TGID_Y_EN: 0
; COMPUTE_PGM_RSRC2:TGID_Z_EN: 0
; COMPUTE_PGM_RSRC2:TIDIG_COMP_CNT: 0
; COMPUTE_PGM_RSRC3_GFX90A:ACCUM_OFFSET: 9
; COMPUTE_PGM_RSRC3_GFX90A:TG_SPLIT: 0
	.section	.text._ZN7rocprim17ROCPRIM_400000_NS6detail17trampoline_kernelINS0_14default_configENS1_20scan_config_selectorIiEEZZNS1_9scan_implILNS1_25lookback_scan_determinismE0ELb0ELb0ES3_N6thrust23THRUST_200600_302600_NS6detail15normal_iteratorINS9_10device_ptrIiEEEENSB_INSC_IfEEEEiNS9_4plusIvEEiEEDaPvRmT3_T4_T5_mT6_P12ihipStream_tbENKUlT_T0_E_clISt17integral_constantIbLb0EESV_IbLb1EEEEDaSR_SS_EUlSR_E_NS1_11comp_targetILNS1_3genE3ELNS1_11target_archE908ELNS1_3gpuE7ELNS1_3repE0EEENS1_30default_config_static_selectorELNS0_4arch9wavefront6targetE1EEEvT1_,"axG",@progbits,_ZN7rocprim17ROCPRIM_400000_NS6detail17trampoline_kernelINS0_14default_configENS1_20scan_config_selectorIiEEZZNS1_9scan_implILNS1_25lookback_scan_determinismE0ELb0ELb0ES3_N6thrust23THRUST_200600_302600_NS6detail15normal_iteratorINS9_10device_ptrIiEEEENSB_INSC_IfEEEEiNS9_4plusIvEEiEEDaPvRmT3_T4_T5_mT6_P12ihipStream_tbENKUlT_T0_E_clISt17integral_constantIbLb0EESV_IbLb1EEEEDaSR_SS_EUlSR_E_NS1_11comp_targetILNS1_3genE3ELNS1_11target_archE908ELNS1_3gpuE7ELNS1_3repE0EEENS1_30default_config_static_selectorELNS0_4arch9wavefront6targetE1EEEvT1_,comdat
	.protected	_ZN7rocprim17ROCPRIM_400000_NS6detail17trampoline_kernelINS0_14default_configENS1_20scan_config_selectorIiEEZZNS1_9scan_implILNS1_25lookback_scan_determinismE0ELb0ELb0ES3_N6thrust23THRUST_200600_302600_NS6detail15normal_iteratorINS9_10device_ptrIiEEEENSB_INSC_IfEEEEiNS9_4plusIvEEiEEDaPvRmT3_T4_T5_mT6_P12ihipStream_tbENKUlT_T0_E_clISt17integral_constantIbLb0EESV_IbLb1EEEEDaSR_SS_EUlSR_E_NS1_11comp_targetILNS1_3genE3ELNS1_11target_archE908ELNS1_3gpuE7ELNS1_3repE0EEENS1_30default_config_static_selectorELNS0_4arch9wavefront6targetE1EEEvT1_ ; -- Begin function _ZN7rocprim17ROCPRIM_400000_NS6detail17trampoline_kernelINS0_14default_configENS1_20scan_config_selectorIiEEZZNS1_9scan_implILNS1_25lookback_scan_determinismE0ELb0ELb0ES3_N6thrust23THRUST_200600_302600_NS6detail15normal_iteratorINS9_10device_ptrIiEEEENSB_INSC_IfEEEEiNS9_4plusIvEEiEEDaPvRmT3_T4_T5_mT6_P12ihipStream_tbENKUlT_T0_E_clISt17integral_constantIbLb0EESV_IbLb1EEEEDaSR_SS_EUlSR_E_NS1_11comp_targetILNS1_3genE3ELNS1_11target_archE908ELNS1_3gpuE7ELNS1_3repE0EEENS1_30default_config_static_selectorELNS0_4arch9wavefront6targetE1EEEvT1_
	.globl	_ZN7rocprim17ROCPRIM_400000_NS6detail17trampoline_kernelINS0_14default_configENS1_20scan_config_selectorIiEEZZNS1_9scan_implILNS1_25lookback_scan_determinismE0ELb0ELb0ES3_N6thrust23THRUST_200600_302600_NS6detail15normal_iteratorINS9_10device_ptrIiEEEENSB_INSC_IfEEEEiNS9_4plusIvEEiEEDaPvRmT3_T4_T5_mT6_P12ihipStream_tbENKUlT_T0_E_clISt17integral_constantIbLb0EESV_IbLb1EEEEDaSR_SS_EUlSR_E_NS1_11comp_targetILNS1_3genE3ELNS1_11target_archE908ELNS1_3gpuE7ELNS1_3repE0EEENS1_30default_config_static_selectorELNS0_4arch9wavefront6targetE1EEEvT1_
	.p2align	8
	.type	_ZN7rocprim17ROCPRIM_400000_NS6detail17trampoline_kernelINS0_14default_configENS1_20scan_config_selectorIiEEZZNS1_9scan_implILNS1_25lookback_scan_determinismE0ELb0ELb0ES3_N6thrust23THRUST_200600_302600_NS6detail15normal_iteratorINS9_10device_ptrIiEEEENSB_INSC_IfEEEEiNS9_4plusIvEEiEEDaPvRmT3_T4_T5_mT6_P12ihipStream_tbENKUlT_T0_E_clISt17integral_constantIbLb0EESV_IbLb1EEEEDaSR_SS_EUlSR_E_NS1_11comp_targetILNS1_3genE3ELNS1_11target_archE908ELNS1_3gpuE7ELNS1_3repE0EEENS1_30default_config_static_selectorELNS0_4arch9wavefront6targetE1EEEvT1_,@function
_ZN7rocprim17ROCPRIM_400000_NS6detail17trampoline_kernelINS0_14default_configENS1_20scan_config_selectorIiEEZZNS1_9scan_implILNS1_25lookback_scan_determinismE0ELb0ELb0ES3_N6thrust23THRUST_200600_302600_NS6detail15normal_iteratorINS9_10device_ptrIiEEEENSB_INSC_IfEEEEiNS9_4plusIvEEiEEDaPvRmT3_T4_T5_mT6_P12ihipStream_tbENKUlT_T0_E_clISt17integral_constantIbLb0EESV_IbLb1EEEEDaSR_SS_EUlSR_E_NS1_11comp_targetILNS1_3genE3ELNS1_11target_archE908ELNS1_3gpuE7ELNS1_3repE0EEENS1_30default_config_static_selectorELNS0_4arch9wavefront6targetE1EEEvT1_: ; @_ZN7rocprim17ROCPRIM_400000_NS6detail17trampoline_kernelINS0_14default_configENS1_20scan_config_selectorIiEEZZNS1_9scan_implILNS1_25lookback_scan_determinismE0ELb0ELb0ES3_N6thrust23THRUST_200600_302600_NS6detail15normal_iteratorINS9_10device_ptrIiEEEENSB_INSC_IfEEEEiNS9_4plusIvEEiEEDaPvRmT3_T4_T5_mT6_P12ihipStream_tbENKUlT_T0_E_clISt17integral_constantIbLb0EESV_IbLb1EEEEDaSR_SS_EUlSR_E_NS1_11comp_targetILNS1_3genE3ELNS1_11target_archE908ELNS1_3gpuE7ELNS1_3repE0EEENS1_30default_config_static_selectorELNS0_4arch9wavefront6targetE1EEEvT1_
; %bb.0:
	.section	.rodata,"a",@progbits
	.p2align	6, 0x0
	.amdhsa_kernel _ZN7rocprim17ROCPRIM_400000_NS6detail17trampoline_kernelINS0_14default_configENS1_20scan_config_selectorIiEEZZNS1_9scan_implILNS1_25lookback_scan_determinismE0ELb0ELb0ES3_N6thrust23THRUST_200600_302600_NS6detail15normal_iteratorINS9_10device_ptrIiEEEENSB_INSC_IfEEEEiNS9_4plusIvEEiEEDaPvRmT3_T4_T5_mT6_P12ihipStream_tbENKUlT_T0_E_clISt17integral_constantIbLb0EESV_IbLb1EEEEDaSR_SS_EUlSR_E_NS1_11comp_targetILNS1_3genE3ELNS1_11target_archE908ELNS1_3gpuE7ELNS1_3repE0EEENS1_30default_config_static_selectorELNS0_4arch9wavefront6targetE1EEEvT1_
		.amdhsa_group_segment_fixed_size 0
		.amdhsa_private_segment_fixed_size 0
		.amdhsa_kernarg_size 96
		.amdhsa_user_sgpr_count 6
		.amdhsa_user_sgpr_private_segment_buffer 1
		.amdhsa_user_sgpr_dispatch_ptr 0
		.amdhsa_user_sgpr_queue_ptr 0
		.amdhsa_user_sgpr_kernarg_segment_ptr 1
		.amdhsa_user_sgpr_dispatch_id 0
		.amdhsa_user_sgpr_flat_scratch_init 0
		.amdhsa_user_sgpr_kernarg_preload_length 0
		.amdhsa_user_sgpr_kernarg_preload_offset 0
		.amdhsa_user_sgpr_private_segment_size 0
		.amdhsa_uses_dynamic_stack 0
		.amdhsa_system_sgpr_private_segment_wavefront_offset 0
		.amdhsa_system_sgpr_workgroup_id_x 1
		.amdhsa_system_sgpr_workgroup_id_y 0
		.amdhsa_system_sgpr_workgroup_id_z 0
		.amdhsa_system_sgpr_workgroup_info 0
		.amdhsa_system_vgpr_workitem_id 0
		.amdhsa_next_free_vgpr 1
		.amdhsa_next_free_sgpr 0
		.amdhsa_accum_offset 4
		.amdhsa_reserve_vcc 0
		.amdhsa_reserve_flat_scratch 0
		.amdhsa_float_round_mode_32 0
		.amdhsa_float_round_mode_16_64 0
		.amdhsa_float_denorm_mode_32 3
		.amdhsa_float_denorm_mode_16_64 3
		.amdhsa_dx10_clamp 1
		.amdhsa_ieee_mode 1
		.amdhsa_fp16_overflow 0
		.amdhsa_tg_split 0
		.amdhsa_exception_fp_ieee_invalid_op 0
		.amdhsa_exception_fp_denorm_src 0
		.amdhsa_exception_fp_ieee_div_zero 0
		.amdhsa_exception_fp_ieee_overflow 0
		.amdhsa_exception_fp_ieee_underflow 0
		.amdhsa_exception_fp_ieee_inexact 0
		.amdhsa_exception_int_div_zero 0
	.end_amdhsa_kernel
	.section	.text._ZN7rocprim17ROCPRIM_400000_NS6detail17trampoline_kernelINS0_14default_configENS1_20scan_config_selectorIiEEZZNS1_9scan_implILNS1_25lookback_scan_determinismE0ELb0ELb0ES3_N6thrust23THRUST_200600_302600_NS6detail15normal_iteratorINS9_10device_ptrIiEEEENSB_INSC_IfEEEEiNS9_4plusIvEEiEEDaPvRmT3_T4_T5_mT6_P12ihipStream_tbENKUlT_T0_E_clISt17integral_constantIbLb0EESV_IbLb1EEEEDaSR_SS_EUlSR_E_NS1_11comp_targetILNS1_3genE3ELNS1_11target_archE908ELNS1_3gpuE7ELNS1_3repE0EEENS1_30default_config_static_selectorELNS0_4arch9wavefront6targetE1EEEvT1_,"axG",@progbits,_ZN7rocprim17ROCPRIM_400000_NS6detail17trampoline_kernelINS0_14default_configENS1_20scan_config_selectorIiEEZZNS1_9scan_implILNS1_25lookback_scan_determinismE0ELb0ELb0ES3_N6thrust23THRUST_200600_302600_NS6detail15normal_iteratorINS9_10device_ptrIiEEEENSB_INSC_IfEEEEiNS9_4plusIvEEiEEDaPvRmT3_T4_T5_mT6_P12ihipStream_tbENKUlT_T0_E_clISt17integral_constantIbLb0EESV_IbLb1EEEEDaSR_SS_EUlSR_E_NS1_11comp_targetILNS1_3genE3ELNS1_11target_archE908ELNS1_3gpuE7ELNS1_3repE0EEENS1_30default_config_static_selectorELNS0_4arch9wavefront6targetE1EEEvT1_,comdat
.Lfunc_end1698:
	.size	_ZN7rocprim17ROCPRIM_400000_NS6detail17trampoline_kernelINS0_14default_configENS1_20scan_config_selectorIiEEZZNS1_9scan_implILNS1_25lookback_scan_determinismE0ELb0ELb0ES3_N6thrust23THRUST_200600_302600_NS6detail15normal_iteratorINS9_10device_ptrIiEEEENSB_INSC_IfEEEEiNS9_4plusIvEEiEEDaPvRmT3_T4_T5_mT6_P12ihipStream_tbENKUlT_T0_E_clISt17integral_constantIbLb0EESV_IbLb1EEEEDaSR_SS_EUlSR_E_NS1_11comp_targetILNS1_3genE3ELNS1_11target_archE908ELNS1_3gpuE7ELNS1_3repE0EEENS1_30default_config_static_selectorELNS0_4arch9wavefront6targetE1EEEvT1_, .Lfunc_end1698-_ZN7rocprim17ROCPRIM_400000_NS6detail17trampoline_kernelINS0_14default_configENS1_20scan_config_selectorIiEEZZNS1_9scan_implILNS1_25lookback_scan_determinismE0ELb0ELb0ES3_N6thrust23THRUST_200600_302600_NS6detail15normal_iteratorINS9_10device_ptrIiEEEENSB_INSC_IfEEEEiNS9_4plusIvEEiEEDaPvRmT3_T4_T5_mT6_P12ihipStream_tbENKUlT_T0_E_clISt17integral_constantIbLb0EESV_IbLb1EEEEDaSR_SS_EUlSR_E_NS1_11comp_targetILNS1_3genE3ELNS1_11target_archE908ELNS1_3gpuE7ELNS1_3repE0EEENS1_30default_config_static_selectorELNS0_4arch9wavefront6targetE1EEEvT1_
                                        ; -- End function
	.section	.AMDGPU.csdata,"",@progbits
; Kernel info:
; codeLenInByte = 0
; NumSgprs: 4
; NumVgprs: 0
; NumAgprs: 0
; TotalNumVgprs: 0
; ScratchSize: 0
; MemoryBound: 0
; FloatMode: 240
; IeeeMode: 1
; LDSByteSize: 0 bytes/workgroup (compile time only)
; SGPRBlocks: 0
; VGPRBlocks: 0
; NumSGPRsForWavesPerEU: 4
; NumVGPRsForWavesPerEU: 1
; AccumOffset: 4
; Occupancy: 8
; WaveLimiterHint : 0
; COMPUTE_PGM_RSRC2:SCRATCH_EN: 0
; COMPUTE_PGM_RSRC2:USER_SGPR: 6
; COMPUTE_PGM_RSRC2:TRAP_HANDLER: 0
; COMPUTE_PGM_RSRC2:TGID_X_EN: 1
; COMPUTE_PGM_RSRC2:TGID_Y_EN: 0
; COMPUTE_PGM_RSRC2:TGID_Z_EN: 0
; COMPUTE_PGM_RSRC2:TIDIG_COMP_CNT: 0
; COMPUTE_PGM_RSRC3_GFX90A:ACCUM_OFFSET: 0
; COMPUTE_PGM_RSRC3_GFX90A:TG_SPLIT: 0
	.section	.text._ZN7rocprim17ROCPRIM_400000_NS6detail17trampoline_kernelINS0_14default_configENS1_20scan_config_selectorIiEEZZNS1_9scan_implILNS1_25lookback_scan_determinismE0ELb0ELb0ES3_N6thrust23THRUST_200600_302600_NS6detail15normal_iteratorINS9_10device_ptrIiEEEENSB_INSC_IfEEEEiNS9_4plusIvEEiEEDaPvRmT3_T4_T5_mT6_P12ihipStream_tbENKUlT_T0_E_clISt17integral_constantIbLb0EESV_IbLb1EEEEDaSR_SS_EUlSR_E_NS1_11comp_targetILNS1_3genE2ELNS1_11target_archE906ELNS1_3gpuE6ELNS1_3repE0EEENS1_30default_config_static_selectorELNS0_4arch9wavefront6targetE1EEEvT1_,"axG",@progbits,_ZN7rocprim17ROCPRIM_400000_NS6detail17trampoline_kernelINS0_14default_configENS1_20scan_config_selectorIiEEZZNS1_9scan_implILNS1_25lookback_scan_determinismE0ELb0ELb0ES3_N6thrust23THRUST_200600_302600_NS6detail15normal_iteratorINS9_10device_ptrIiEEEENSB_INSC_IfEEEEiNS9_4plusIvEEiEEDaPvRmT3_T4_T5_mT6_P12ihipStream_tbENKUlT_T0_E_clISt17integral_constantIbLb0EESV_IbLb1EEEEDaSR_SS_EUlSR_E_NS1_11comp_targetILNS1_3genE2ELNS1_11target_archE906ELNS1_3gpuE6ELNS1_3repE0EEENS1_30default_config_static_selectorELNS0_4arch9wavefront6targetE1EEEvT1_,comdat
	.protected	_ZN7rocprim17ROCPRIM_400000_NS6detail17trampoline_kernelINS0_14default_configENS1_20scan_config_selectorIiEEZZNS1_9scan_implILNS1_25lookback_scan_determinismE0ELb0ELb0ES3_N6thrust23THRUST_200600_302600_NS6detail15normal_iteratorINS9_10device_ptrIiEEEENSB_INSC_IfEEEEiNS9_4plusIvEEiEEDaPvRmT3_T4_T5_mT6_P12ihipStream_tbENKUlT_T0_E_clISt17integral_constantIbLb0EESV_IbLb1EEEEDaSR_SS_EUlSR_E_NS1_11comp_targetILNS1_3genE2ELNS1_11target_archE906ELNS1_3gpuE6ELNS1_3repE0EEENS1_30default_config_static_selectorELNS0_4arch9wavefront6targetE1EEEvT1_ ; -- Begin function _ZN7rocprim17ROCPRIM_400000_NS6detail17trampoline_kernelINS0_14default_configENS1_20scan_config_selectorIiEEZZNS1_9scan_implILNS1_25lookback_scan_determinismE0ELb0ELb0ES3_N6thrust23THRUST_200600_302600_NS6detail15normal_iteratorINS9_10device_ptrIiEEEENSB_INSC_IfEEEEiNS9_4plusIvEEiEEDaPvRmT3_T4_T5_mT6_P12ihipStream_tbENKUlT_T0_E_clISt17integral_constantIbLb0EESV_IbLb1EEEEDaSR_SS_EUlSR_E_NS1_11comp_targetILNS1_3genE2ELNS1_11target_archE906ELNS1_3gpuE6ELNS1_3repE0EEENS1_30default_config_static_selectorELNS0_4arch9wavefront6targetE1EEEvT1_
	.globl	_ZN7rocprim17ROCPRIM_400000_NS6detail17trampoline_kernelINS0_14default_configENS1_20scan_config_selectorIiEEZZNS1_9scan_implILNS1_25lookback_scan_determinismE0ELb0ELb0ES3_N6thrust23THRUST_200600_302600_NS6detail15normal_iteratorINS9_10device_ptrIiEEEENSB_INSC_IfEEEEiNS9_4plusIvEEiEEDaPvRmT3_T4_T5_mT6_P12ihipStream_tbENKUlT_T0_E_clISt17integral_constantIbLb0EESV_IbLb1EEEEDaSR_SS_EUlSR_E_NS1_11comp_targetILNS1_3genE2ELNS1_11target_archE906ELNS1_3gpuE6ELNS1_3repE0EEENS1_30default_config_static_selectorELNS0_4arch9wavefront6targetE1EEEvT1_
	.p2align	8
	.type	_ZN7rocprim17ROCPRIM_400000_NS6detail17trampoline_kernelINS0_14default_configENS1_20scan_config_selectorIiEEZZNS1_9scan_implILNS1_25lookback_scan_determinismE0ELb0ELb0ES3_N6thrust23THRUST_200600_302600_NS6detail15normal_iteratorINS9_10device_ptrIiEEEENSB_INSC_IfEEEEiNS9_4plusIvEEiEEDaPvRmT3_T4_T5_mT6_P12ihipStream_tbENKUlT_T0_E_clISt17integral_constantIbLb0EESV_IbLb1EEEEDaSR_SS_EUlSR_E_NS1_11comp_targetILNS1_3genE2ELNS1_11target_archE906ELNS1_3gpuE6ELNS1_3repE0EEENS1_30default_config_static_selectorELNS0_4arch9wavefront6targetE1EEEvT1_,@function
_ZN7rocprim17ROCPRIM_400000_NS6detail17trampoline_kernelINS0_14default_configENS1_20scan_config_selectorIiEEZZNS1_9scan_implILNS1_25lookback_scan_determinismE0ELb0ELb0ES3_N6thrust23THRUST_200600_302600_NS6detail15normal_iteratorINS9_10device_ptrIiEEEENSB_INSC_IfEEEEiNS9_4plusIvEEiEEDaPvRmT3_T4_T5_mT6_P12ihipStream_tbENKUlT_T0_E_clISt17integral_constantIbLb0EESV_IbLb1EEEEDaSR_SS_EUlSR_E_NS1_11comp_targetILNS1_3genE2ELNS1_11target_archE906ELNS1_3gpuE6ELNS1_3repE0EEENS1_30default_config_static_selectorELNS0_4arch9wavefront6targetE1EEEvT1_: ; @_ZN7rocprim17ROCPRIM_400000_NS6detail17trampoline_kernelINS0_14default_configENS1_20scan_config_selectorIiEEZZNS1_9scan_implILNS1_25lookback_scan_determinismE0ELb0ELb0ES3_N6thrust23THRUST_200600_302600_NS6detail15normal_iteratorINS9_10device_ptrIiEEEENSB_INSC_IfEEEEiNS9_4plusIvEEiEEDaPvRmT3_T4_T5_mT6_P12ihipStream_tbENKUlT_T0_E_clISt17integral_constantIbLb0EESV_IbLb1EEEEDaSR_SS_EUlSR_E_NS1_11comp_targetILNS1_3genE2ELNS1_11target_archE906ELNS1_3gpuE6ELNS1_3repE0EEENS1_30default_config_static_selectorELNS0_4arch9wavefront6targetE1EEEvT1_
; %bb.0:
	.section	.rodata,"a",@progbits
	.p2align	6, 0x0
	.amdhsa_kernel _ZN7rocprim17ROCPRIM_400000_NS6detail17trampoline_kernelINS0_14default_configENS1_20scan_config_selectorIiEEZZNS1_9scan_implILNS1_25lookback_scan_determinismE0ELb0ELb0ES3_N6thrust23THRUST_200600_302600_NS6detail15normal_iteratorINS9_10device_ptrIiEEEENSB_INSC_IfEEEEiNS9_4plusIvEEiEEDaPvRmT3_T4_T5_mT6_P12ihipStream_tbENKUlT_T0_E_clISt17integral_constantIbLb0EESV_IbLb1EEEEDaSR_SS_EUlSR_E_NS1_11comp_targetILNS1_3genE2ELNS1_11target_archE906ELNS1_3gpuE6ELNS1_3repE0EEENS1_30default_config_static_selectorELNS0_4arch9wavefront6targetE1EEEvT1_
		.amdhsa_group_segment_fixed_size 0
		.amdhsa_private_segment_fixed_size 0
		.amdhsa_kernarg_size 96
		.amdhsa_user_sgpr_count 6
		.amdhsa_user_sgpr_private_segment_buffer 1
		.amdhsa_user_sgpr_dispatch_ptr 0
		.amdhsa_user_sgpr_queue_ptr 0
		.amdhsa_user_sgpr_kernarg_segment_ptr 1
		.amdhsa_user_sgpr_dispatch_id 0
		.amdhsa_user_sgpr_flat_scratch_init 0
		.amdhsa_user_sgpr_kernarg_preload_length 0
		.amdhsa_user_sgpr_kernarg_preload_offset 0
		.amdhsa_user_sgpr_private_segment_size 0
		.amdhsa_uses_dynamic_stack 0
		.amdhsa_system_sgpr_private_segment_wavefront_offset 0
		.amdhsa_system_sgpr_workgroup_id_x 1
		.amdhsa_system_sgpr_workgroup_id_y 0
		.amdhsa_system_sgpr_workgroup_id_z 0
		.amdhsa_system_sgpr_workgroup_info 0
		.amdhsa_system_vgpr_workitem_id 0
		.amdhsa_next_free_vgpr 1
		.amdhsa_next_free_sgpr 0
		.amdhsa_accum_offset 4
		.amdhsa_reserve_vcc 0
		.amdhsa_reserve_flat_scratch 0
		.amdhsa_float_round_mode_32 0
		.amdhsa_float_round_mode_16_64 0
		.amdhsa_float_denorm_mode_32 3
		.amdhsa_float_denorm_mode_16_64 3
		.amdhsa_dx10_clamp 1
		.amdhsa_ieee_mode 1
		.amdhsa_fp16_overflow 0
		.amdhsa_tg_split 0
		.amdhsa_exception_fp_ieee_invalid_op 0
		.amdhsa_exception_fp_denorm_src 0
		.amdhsa_exception_fp_ieee_div_zero 0
		.amdhsa_exception_fp_ieee_overflow 0
		.amdhsa_exception_fp_ieee_underflow 0
		.amdhsa_exception_fp_ieee_inexact 0
		.amdhsa_exception_int_div_zero 0
	.end_amdhsa_kernel
	.section	.text._ZN7rocprim17ROCPRIM_400000_NS6detail17trampoline_kernelINS0_14default_configENS1_20scan_config_selectorIiEEZZNS1_9scan_implILNS1_25lookback_scan_determinismE0ELb0ELb0ES3_N6thrust23THRUST_200600_302600_NS6detail15normal_iteratorINS9_10device_ptrIiEEEENSB_INSC_IfEEEEiNS9_4plusIvEEiEEDaPvRmT3_T4_T5_mT6_P12ihipStream_tbENKUlT_T0_E_clISt17integral_constantIbLb0EESV_IbLb1EEEEDaSR_SS_EUlSR_E_NS1_11comp_targetILNS1_3genE2ELNS1_11target_archE906ELNS1_3gpuE6ELNS1_3repE0EEENS1_30default_config_static_selectorELNS0_4arch9wavefront6targetE1EEEvT1_,"axG",@progbits,_ZN7rocprim17ROCPRIM_400000_NS6detail17trampoline_kernelINS0_14default_configENS1_20scan_config_selectorIiEEZZNS1_9scan_implILNS1_25lookback_scan_determinismE0ELb0ELb0ES3_N6thrust23THRUST_200600_302600_NS6detail15normal_iteratorINS9_10device_ptrIiEEEENSB_INSC_IfEEEEiNS9_4plusIvEEiEEDaPvRmT3_T4_T5_mT6_P12ihipStream_tbENKUlT_T0_E_clISt17integral_constantIbLb0EESV_IbLb1EEEEDaSR_SS_EUlSR_E_NS1_11comp_targetILNS1_3genE2ELNS1_11target_archE906ELNS1_3gpuE6ELNS1_3repE0EEENS1_30default_config_static_selectorELNS0_4arch9wavefront6targetE1EEEvT1_,comdat
.Lfunc_end1699:
	.size	_ZN7rocprim17ROCPRIM_400000_NS6detail17trampoline_kernelINS0_14default_configENS1_20scan_config_selectorIiEEZZNS1_9scan_implILNS1_25lookback_scan_determinismE0ELb0ELb0ES3_N6thrust23THRUST_200600_302600_NS6detail15normal_iteratorINS9_10device_ptrIiEEEENSB_INSC_IfEEEEiNS9_4plusIvEEiEEDaPvRmT3_T4_T5_mT6_P12ihipStream_tbENKUlT_T0_E_clISt17integral_constantIbLb0EESV_IbLb1EEEEDaSR_SS_EUlSR_E_NS1_11comp_targetILNS1_3genE2ELNS1_11target_archE906ELNS1_3gpuE6ELNS1_3repE0EEENS1_30default_config_static_selectorELNS0_4arch9wavefront6targetE1EEEvT1_, .Lfunc_end1699-_ZN7rocprim17ROCPRIM_400000_NS6detail17trampoline_kernelINS0_14default_configENS1_20scan_config_selectorIiEEZZNS1_9scan_implILNS1_25lookback_scan_determinismE0ELb0ELb0ES3_N6thrust23THRUST_200600_302600_NS6detail15normal_iteratorINS9_10device_ptrIiEEEENSB_INSC_IfEEEEiNS9_4plusIvEEiEEDaPvRmT3_T4_T5_mT6_P12ihipStream_tbENKUlT_T0_E_clISt17integral_constantIbLb0EESV_IbLb1EEEEDaSR_SS_EUlSR_E_NS1_11comp_targetILNS1_3genE2ELNS1_11target_archE906ELNS1_3gpuE6ELNS1_3repE0EEENS1_30default_config_static_selectorELNS0_4arch9wavefront6targetE1EEEvT1_
                                        ; -- End function
	.section	.AMDGPU.csdata,"",@progbits
; Kernel info:
; codeLenInByte = 0
; NumSgprs: 4
; NumVgprs: 0
; NumAgprs: 0
; TotalNumVgprs: 0
; ScratchSize: 0
; MemoryBound: 0
; FloatMode: 240
; IeeeMode: 1
; LDSByteSize: 0 bytes/workgroup (compile time only)
; SGPRBlocks: 0
; VGPRBlocks: 0
; NumSGPRsForWavesPerEU: 4
; NumVGPRsForWavesPerEU: 1
; AccumOffset: 4
; Occupancy: 8
; WaveLimiterHint : 0
; COMPUTE_PGM_RSRC2:SCRATCH_EN: 0
; COMPUTE_PGM_RSRC2:USER_SGPR: 6
; COMPUTE_PGM_RSRC2:TRAP_HANDLER: 0
; COMPUTE_PGM_RSRC2:TGID_X_EN: 1
; COMPUTE_PGM_RSRC2:TGID_Y_EN: 0
; COMPUTE_PGM_RSRC2:TGID_Z_EN: 0
; COMPUTE_PGM_RSRC2:TIDIG_COMP_CNT: 0
; COMPUTE_PGM_RSRC3_GFX90A:ACCUM_OFFSET: 0
; COMPUTE_PGM_RSRC3_GFX90A:TG_SPLIT: 0
	.section	.text._ZN7rocprim17ROCPRIM_400000_NS6detail17trampoline_kernelINS0_14default_configENS1_20scan_config_selectorIiEEZZNS1_9scan_implILNS1_25lookback_scan_determinismE0ELb0ELb0ES3_N6thrust23THRUST_200600_302600_NS6detail15normal_iteratorINS9_10device_ptrIiEEEENSB_INSC_IfEEEEiNS9_4plusIvEEiEEDaPvRmT3_T4_T5_mT6_P12ihipStream_tbENKUlT_T0_E_clISt17integral_constantIbLb0EESV_IbLb1EEEEDaSR_SS_EUlSR_E_NS1_11comp_targetILNS1_3genE10ELNS1_11target_archE1201ELNS1_3gpuE5ELNS1_3repE0EEENS1_30default_config_static_selectorELNS0_4arch9wavefront6targetE1EEEvT1_,"axG",@progbits,_ZN7rocprim17ROCPRIM_400000_NS6detail17trampoline_kernelINS0_14default_configENS1_20scan_config_selectorIiEEZZNS1_9scan_implILNS1_25lookback_scan_determinismE0ELb0ELb0ES3_N6thrust23THRUST_200600_302600_NS6detail15normal_iteratorINS9_10device_ptrIiEEEENSB_INSC_IfEEEEiNS9_4plusIvEEiEEDaPvRmT3_T4_T5_mT6_P12ihipStream_tbENKUlT_T0_E_clISt17integral_constantIbLb0EESV_IbLb1EEEEDaSR_SS_EUlSR_E_NS1_11comp_targetILNS1_3genE10ELNS1_11target_archE1201ELNS1_3gpuE5ELNS1_3repE0EEENS1_30default_config_static_selectorELNS0_4arch9wavefront6targetE1EEEvT1_,comdat
	.protected	_ZN7rocprim17ROCPRIM_400000_NS6detail17trampoline_kernelINS0_14default_configENS1_20scan_config_selectorIiEEZZNS1_9scan_implILNS1_25lookback_scan_determinismE0ELb0ELb0ES3_N6thrust23THRUST_200600_302600_NS6detail15normal_iteratorINS9_10device_ptrIiEEEENSB_INSC_IfEEEEiNS9_4plusIvEEiEEDaPvRmT3_T4_T5_mT6_P12ihipStream_tbENKUlT_T0_E_clISt17integral_constantIbLb0EESV_IbLb1EEEEDaSR_SS_EUlSR_E_NS1_11comp_targetILNS1_3genE10ELNS1_11target_archE1201ELNS1_3gpuE5ELNS1_3repE0EEENS1_30default_config_static_selectorELNS0_4arch9wavefront6targetE1EEEvT1_ ; -- Begin function _ZN7rocprim17ROCPRIM_400000_NS6detail17trampoline_kernelINS0_14default_configENS1_20scan_config_selectorIiEEZZNS1_9scan_implILNS1_25lookback_scan_determinismE0ELb0ELb0ES3_N6thrust23THRUST_200600_302600_NS6detail15normal_iteratorINS9_10device_ptrIiEEEENSB_INSC_IfEEEEiNS9_4plusIvEEiEEDaPvRmT3_T4_T5_mT6_P12ihipStream_tbENKUlT_T0_E_clISt17integral_constantIbLb0EESV_IbLb1EEEEDaSR_SS_EUlSR_E_NS1_11comp_targetILNS1_3genE10ELNS1_11target_archE1201ELNS1_3gpuE5ELNS1_3repE0EEENS1_30default_config_static_selectorELNS0_4arch9wavefront6targetE1EEEvT1_
	.globl	_ZN7rocprim17ROCPRIM_400000_NS6detail17trampoline_kernelINS0_14default_configENS1_20scan_config_selectorIiEEZZNS1_9scan_implILNS1_25lookback_scan_determinismE0ELb0ELb0ES3_N6thrust23THRUST_200600_302600_NS6detail15normal_iteratorINS9_10device_ptrIiEEEENSB_INSC_IfEEEEiNS9_4plusIvEEiEEDaPvRmT3_T4_T5_mT6_P12ihipStream_tbENKUlT_T0_E_clISt17integral_constantIbLb0EESV_IbLb1EEEEDaSR_SS_EUlSR_E_NS1_11comp_targetILNS1_3genE10ELNS1_11target_archE1201ELNS1_3gpuE5ELNS1_3repE0EEENS1_30default_config_static_selectorELNS0_4arch9wavefront6targetE1EEEvT1_
	.p2align	8
	.type	_ZN7rocprim17ROCPRIM_400000_NS6detail17trampoline_kernelINS0_14default_configENS1_20scan_config_selectorIiEEZZNS1_9scan_implILNS1_25lookback_scan_determinismE0ELb0ELb0ES3_N6thrust23THRUST_200600_302600_NS6detail15normal_iteratorINS9_10device_ptrIiEEEENSB_INSC_IfEEEEiNS9_4plusIvEEiEEDaPvRmT3_T4_T5_mT6_P12ihipStream_tbENKUlT_T0_E_clISt17integral_constantIbLb0EESV_IbLb1EEEEDaSR_SS_EUlSR_E_NS1_11comp_targetILNS1_3genE10ELNS1_11target_archE1201ELNS1_3gpuE5ELNS1_3repE0EEENS1_30default_config_static_selectorELNS0_4arch9wavefront6targetE1EEEvT1_,@function
_ZN7rocprim17ROCPRIM_400000_NS6detail17trampoline_kernelINS0_14default_configENS1_20scan_config_selectorIiEEZZNS1_9scan_implILNS1_25lookback_scan_determinismE0ELb0ELb0ES3_N6thrust23THRUST_200600_302600_NS6detail15normal_iteratorINS9_10device_ptrIiEEEENSB_INSC_IfEEEEiNS9_4plusIvEEiEEDaPvRmT3_T4_T5_mT6_P12ihipStream_tbENKUlT_T0_E_clISt17integral_constantIbLb0EESV_IbLb1EEEEDaSR_SS_EUlSR_E_NS1_11comp_targetILNS1_3genE10ELNS1_11target_archE1201ELNS1_3gpuE5ELNS1_3repE0EEENS1_30default_config_static_selectorELNS0_4arch9wavefront6targetE1EEEvT1_: ; @_ZN7rocprim17ROCPRIM_400000_NS6detail17trampoline_kernelINS0_14default_configENS1_20scan_config_selectorIiEEZZNS1_9scan_implILNS1_25lookback_scan_determinismE0ELb0ELb0ES3_N6thrust23THRUST_200600_302600_NS6detail15normal_iteratorINS9_10device_ptrIiEEEENSB_INSC_IfEEEEiNS9_4plusIvEEiEEDaPvRmT3_T4_T5_mT6_P12ihipStream_tbENKUlT_T0_E_clISt17integral_constantIbLb0EESV_IbLb1EEEEDaSR_SS_EUlSR_E_NS1_11comp_targetILNS1_3genE10ELNS1_11target_archE1201ELNS1_3gpuE5ELNS1_3repE0EEENS1_30default_config_static_selectorELNS0_4arch9wavefront6targetE1EEEvT1_
; %bb.0:
	.section	.rodata,"a",@progbits
	.p2align	6, 0x0
	.amdhsa_kernel _ZN7rocprim17ROCPRIM_400000_NS6detail17trampoline_kernelINS0_14default_configENS1_20scan_config_selectorIiEEZZNS1_9scan_implILNS1_25lookback_scan_determinismE0ELb0ELb0ES3_N6thrust23THRUST_200600_302600_NS6detail15normal_iteratorINS9_10device_ptrIiEEEENSB_INSC_IfEEEEiNS9_4plusIvEEiEEDaPvRmT3_T4_T5_mT6_P12ihipStream_tbENKUlT_T0_E_clISt17integral_constantIbLb0EESV_IbLb1EEEEDaSR_SS_EUlSR_E_NS1_11comp_targetILNS1_3genE10ELNS1_11target_archE1201ELNS1_3gpuE5ELNS1_3repE0EEENS1_30default_config_static_selectorELNS0_4arch9wavefront6targetE1EEEvT1_
		.amdhsa_group_segment_fixed_size 0
		.amdhsa_private_segment_fixed_size 0
		.amdhsa_kernarg_size 96
		.amdhsa_user_sgpr_count 6
		.amdhsa_user_sgpr_private_segment_buffer 1
		.amdhsa_user_sgpr_dispatch_ptr 0
		.amdhsa_user_sgpr_queue_ptr 0
		.amdhsa_user_sgpr_kernarg_segment_ptr 1
		.amdhsa_user_sgpr_dispatch_id 0
		.amdhsa_user_sgpr_flat_scratch_init 0
		.amdhsa_user_sgpr_kernarg_preload_length 0
		.amdhsa_user_sgpr_kernarg_preload_offset 0
		.amdhsa_user_sgpr_private_segment_size 0
		.amdhsa_uses_dynamic_stack 0
		.amdhsa_system_sgpr_private_segment_wavefront_offset 0
		.amdhsa_system_sgpr_workgroup_id_x 1
		.amdhsa_system_sgpr_workgroup_id_y 0
		.amdhsa_system_sgpr_workgroup_id_z 0
		.amdhsa_system_sgpr_workgroup_info 0
		.amdhsa_system_vgpr_workitem_id 0
		.amdhsa_next_free_vgpr 1
		.amdhsa_next_free_sgpr 0
		.amdhsa_accum_offset 4
		.amdhsa_reserve_vcc 0
		.amdhsa_reserve_flat_scratch 0
		.amdhsa_float_round_mode_32 0
		.amdhsa_float_round_mode_16_64 0
		.amdhsa_float_denorm_mode_32 3
		.amdhsa_float_denorm_mode_16_64 3
		.amdhsa_dx10_clamp 1
		.amdhsa_ieee_mode 1
		.amdhsa_fp16_overflow 0
		.amdhsa_tg_split 0
		.amdhsa_exception_fp_ieee_invalid_op 0
		.amdhsa_exception_fp_denorm_src 0
		.amdhsa_exception_fp_ieee_div_zero 0
		.amdhsa_exception_fp_ieee_overflow 0
		.amdhsa_exception_fp_ieee_underflow 0
		.amdhsa_exception_fp_ieee_inexact 0
		.amdhsa_exception_int_div_zero 0
	.end_amdhsa_kernel
	.section	.text._ZN7rocprim17ROCPRIM_400000_NS6detail17trampoline_kernelINS0_14default_configENS1_20scan_config_selectorIiEEZZNS1_9scan_implILNS1_25lookback_scan_determinismE0ELb0ELb0ES3_N6thrust23THRUST_200600_302600_NS6detail15normal_iteratorINS9_10device_ptrIiEEEENSB_INSC_IfEEEEiNS9_4plusIvEEiEEDaPvRmT3_T4_T5_mT6_P12ihipStream_tbENKUlT_T0_E_clISt17integral_constantIbLb0EESV_IbLb1EEEEDaSR_SS_EUlSR_E_NS1_11comp_targetILNS1_3genE10ELNS1_11target_archE1201ELNS1_3gpuE5ELNS1_3repE0EEENS1_30default_config_static_selectorELNS0_4arch9wavefront6targetE1EEEvT1_,"axG",@progbits,_ZN7rocprim17ROCPRIM_400000_NS6detail17trampoline_kernelINS0_14default_configENS1_20scan_config_selectorIiEEZZNS1_9scan_implILNS1_25lookback_scan_determinismE0ELb0ELb0ES3_N6thrust23THRUST_200600_302600_NS6detail15normal_iteratorINS9_10device_ptrIiEEEENSB_INSC_IfEEEEiNS9_4plusIvEEiEEDaPvRmT3_T4_T5_mT6_P12ihipStream_tbENKUlT_T0_E_clISt17integral_constantIbLb0EESV_IbLb1EEEEDaSR_SS_EUlSR_E_NS1_11comp_targetILNS1_3genE10ELNS1_11target_archE1201ELNS1_3gpuE5ELNS1_3repE0EEENS1_30default_config_static_selectorELNS0_4arch9wavefront6targetE1EEEvT1_,comdat
.Lfunc_end1700:
	.size	_ZN7rocprim17ROCPRIM_400000_NS6detail17trampoline_kernelINS0_14default_configENS1_20scan_config_selectorIiEEZZNS1_9scan_implILNS1_25lookback_scan_determinismE0ELb0ELb0ES3_N6thrust23THRUST_200600_302600_NS6detail15normal_iteratorINS9_10device_ptrIiEEEENSB_INSC_IfEEEEiNS9_4plusIvEEiEEDaPvRmT3_T4_T5_mT6_P12ihipStream_tbENKUlT_T0_E_clISt17integral_constantIbLb0EESV_IbLb1EEEEDaSR_SS_EUlSR_E_NS1_11comp_targetILNS1_3genE10ELNS1_11target_archE1201ELNS1_3gpuE5ELNS1_3repE0EEENS1_30default_config_static_selectorELNS0_4arch9wavefront6targetE1EEEvT1_, .Lfunc_end1700-_ZN7rocprim17ROCPRIM_400000_NS6detail17trampoline_kernelINS0_14default_configENS1_20scan_config_selectorIiEEZZNS1_9scan_implILNS1_25lookback_scan_determinismE0ELb0ELb0ES3_N6thrust23THRUST_200600_302600_NS6detail15normal_iteratorINS9_10device_ptrIiEEEENSB_INSC_IfEEEEiNS9_4plusIvEEiEEDaPvRmT3_T4_T5_mT6_P12ihipStream_tbENKUlT_T0_E_clISt17integral_constantIbLb0EESV_IbLb1EEEEDaSR_SS_EUlSR_E_NS1_11comp_targetILNS1_3genE10ELNS1_11target_archE1201ELNS1_3gpuE5ELNS1_3repE0EEENS1_30default_config_static_selectorELNS0_4arch9wavefront6targetE1EEEvT1_
                                        ; -- End function
	.section	.AMDGPU.csdata,"",@progbits
; Kernel info:
; codeLenInByte = 0
; NumSgprs: 4
; NumVgprs: 0
; NumAgprs: 0
; TotalNumVgprs: 0
; ScratchSize: 0
; MemoryBound: 0
; FloatMode: 240
; IeeeMode: 1
; LDSByteSize: 0 bytes/workgroup (compile time only)
; SGPRBlocks: 0
; VGPRBlocks: 0
; NumSGPRsForWavesPerEU: 4
; NumVGPRsForWavesPerEU: 1
; AccumOffset: 4
; Occupancy: 8
; WaveLimiterHint : 0
; COMPUTE_PGM_RSRC2:SCRATCH_EN: 0
; COMPUTE_PGM_RSRC2:USER_SGPR: 6
; COMPUTE_PGM_RSRC2:TRAP_HANDLER: 0
; COMPUTE_PGM_RSRC2:TGID_X_EN: 1
; COMPUTE_PGM_RSRC2:TGID_Y_EN: 0
; COMPUTE_PGM_RSRC2:TGID_Z_EN: 0
; COMPUTE_PGM_RSRC2:TIDIG_COMP_CNT: 0
; COMPUTE_PGM_RSRC3_GFX90A:ACCUM_OFFSET: 0
; COMPUTE_PGM_RSRC3_GFX90A:TG_SPLIT: 0
	.section	.text._ZN7rocprim17ROCPRIM_400000_NS6detail17trampoline_kernelINS0_14default_configENS1_20scan_config_selectorIiEEZZNS1_9scan_implILNS1_25lookback_scan_determinismE0ELb0ELb0ES3_N6thrust23THRUST_200600_302600_NS6detail15normal_iteratorINS9_10device_ptrIiEEEENSB_INSC_IfEEEEiNS9_4plusIvEEiEEDaPvRmT3_T4_T5_mT6_P12ihipStream_tbENKUlT_T0_E_clISt17integral_constantIbLb0EESV_IbLb1EEEEDaSR_SS_EUlSR_E_NS1_11comp_targetILNS1_3genE10ELNS1_11target_archE1200ELNS1_3gpuE4ELNS1_3repE0EEENS1_30default_config_static_selectorELNS0_4arch9wavefront6targetE1EEEvT1_,"axG",@progbits,_ZN7rocprim17ROCPRIM_400000_NS6detail17trampoline_kernelINS0_14default_configENS1_20scan_config_selectorIiEEZZNS1_9scan_implILNS1_25lookback_scan_determinismE0ELb0ELb0ES3_N6thrust23THRUST_200600_302600_NS6detail15normal_iteratorINS9_10device_ptrIiEEEENSB_INSC_IfEEEEiNS9_4plusIvEEiEEDaPvRmT3_T4_T5_mT6_P12ihipStream_tbENKUlT_T0_E_clISt17integral_constantIbLb0EESV_IbLb1EEEEDaSR_SS_EUlSR_E_NS1_11comp_targetILNS1_3genE10ELNS1_11target_archE1200ELNS1_3gpuE4ELNS1_3repE0EEENS1_30default_config_static_selectorELNS0_4arch9wavefront6targetE1EEEvT1_,comdat
	.protected	_ZN7rocprim17ROCPRIM_400000_NS6detail17trampoline_kernelINS0_14default_configENS1_20scan_config_selectorIiEEZZNS1_9scan_implILNS1_25lookback_scan_determinismE0ELb0ELb0ES3_N6thrust23THRUST_200600_302600_NS6detail15normal_iteratorINS9_10device_ptrIiEEEENSB_INSC_IfEEEEiNS9_4plusIvEEiEEDaPvRmT3_T4_T5_mT6_P12ihipStream_tbENKUlT_T0_E_clISt17integral_constantIbLb0EESV_IbLb1EEEEDaSR_SS_EUlSR_E_NS1_11comp_targetILNS1_3genE10ELNS1_11target_archE1200ELNS1_3gpuE4ELNS1_3repE0EEENS1_30default_config_static_selectorELNS0_4arch9wavefront6targetE1EEEvT1_ ; -- Begin function _ZN7rocprim17ROCPRIM_400000_NS6detail17trampoline_kernelINS0_14default_configENS1_20scan_config_selectorIiEEZZNS1_9scan_implILNS1_25lookback_scan_determinismE0ELb0ELb0ES3_N6thrust23THRUST_200600_302600_NS6detail15normal_iteratorINS9_10device_ptrIiEEEENSB_INSC_IfEEEEiNS9_4plusIvEEiEEDaPvRmT3_T4_T5_mT6_P12ihipStream_tbENKUlT_T0_E_clISt17integral_constantIbLb0EESV_IbLb1EEEEDaSR_SS_EUlSR_E_NS1_11comp_targetILNS1_3genE10ELNS1_11target_archE1200ELNS1_3gpuE4ELNS1_3repE0EEENS1_30default_config_static_selectorELNS0_4arch9wavefront6targetE1EEEvT1_
	.globl	_ZN7rocprim17ROCPRIM_400000_NS6detail17trampoline_kernelINS0_14default_configENS1_20scan_config_selectorIiEEZZNS1_9scan_implILNS1_25lookback_scan_determinismE0ELb0ELb0ES3_N6thrust23THRUST_200600_302600_NS6detail15normal_iteratorINS9_10device_ptrIiEEEENSB_INSC_IfEEEEiNS9_4plusIvEEiEEDaPvRmT3_T4_T5_mT6_P12ihipStream_tbENKUlT_T0_E_clISt17integral_constantIbLb0EESV_IbLb1EEEEDaSR_SS_EUlSR_E_NS1_11comp_targetILNS1_3genE10ELNS1_11target_archE1200ELNS1_3gpuE4ELNS1_3repE0EEENS1_30default_config_static_selectorELNS0_4arch9wavefront6targetE1EEEvT1_
	.p2align	8
	.type	_ZN7rocprim17ROCPRIM_400000_NS6detail17trampoline_kernelINS0_14default_configENS1_20scan_config_selectorIiEEZZNS1_9scan_implILNS1_25lookback_scan_determinismE0ELb0ELb0ES3_N6thrust23THRUST_200600_302600_NS6detail15normal_iteratorINS9_10device_ptrIiEEEENSB_INSC_IfEEEEiNS9_4plusIvEEiEEDaPvRmT3_T4_T5_mT6_P12ihipStream_tbENKUlT_T0_E_clISt17integral_constantIbLb0EESV_IbLb1EEEEDaSR_SS_EUlSR_E_NS1_11comp_targetILNS1_3genE10ELNS1_11target_archE1200ELNS1_3gpuE4ELNS1_3repE0EEENS1_30default_config_static_selectorELNS0_4arch9wavefront6targetE1EEEvT1_,@function
_ZN7rocprim17ROCPRIM_400000_NS6detail17trampoline_kernelINS0_14default_configENS1_20scan_config_selectorIiEEZZNS1_9scan_implILNS1_25lookback_scan_determinismE0ELb0ELb0ES3_N6thrust23THRUST_200600_302600_NS6detail15normal_iteratorINS9_10device_ptrIiEEEENSB_INSC_IfEEEEiNS9_4plusIvEEiEEDaPvRmT3_T4_T5_mT6_P12ihipStream_tbENKUlT_T0_E_clISt17integral_constantIbLb0EESV_IbLb1EEEEDaSR_SS_EUlSR_E_NS1_11comp_targetILNS1_3genE10ELNS1_11target_archE1200ELNS1_3gpuE4ELNS1_3repE0EEENS1_30default_config_static_selectorELNS0_4arch9wavefront6targetE1EEEvT1_: ; @_ZN7rocprim17ROCPRIM_400000_NS6detail17trampoline_kernelINS0_14default_configENS1_20scan_config_selectorIiEEZZNS1_9scan_implILNS1_25lookback_scan_determinismE0ELb0ELb0ES3_N6thrust23THRUST_200600_302600_NS6detail15normal_iteratorINS9_10device_ptrIiEEEENSB_INSC_IfEEEEiNS9_4plusIvEEiEEDaPvRmT3_T4_T5_mT6_P12ihipStream_tbENKUlT_T0_E_clISt17integral_constantIbLb0EESV_IbLb1EEEEDaSR_SS_EUlSR_E_NS1_11comp_targetILNS1_3genE10ELNS1_11target_archE1200ELNS1_3gpuE4ELNS1_3repE0EEENS1_30default_config_static_selectorELNS0_4arch9wavefront6targetE1EEEvT1_
; %bb.0:
	.section	.rodata,"a",@progbits
	.p2align	6, 0x0
	.amdhsa_kernel _ZN7rocprim17ROCPRIM_400000_NS6detail17trampoline_kernelINS0_14default_configENS1_20scan_config_selectorIiEEZZNS1_9scan_implILNS1_25lookback_scan_determinismE0ELb0ELb0ES3_N6thrust23THRUST_200600_302600_NS6detail15normal_iteratorINS9_10device_ptrIiEEEENSB_INSC_IfEEEEiNS9_4plusIvEEiEEDaPvRmT3_T4_T5_mT6_P12ihipStream_tbENKUlT_T0_E_clISt17integral_constantIbLb0EESV_IbLb1EEEEDaSR_SS_EUlSR_E_NS1_11comp_targetILNS1_3genE10ELNS1_11target_archE1200ELNS1_3gpuE4ELNS1_3repE0EEENS1_30default_config_static_selectorELNS0_4arch9wavefront6targetE1EEEvT1_
		.amdhsa_group_segment_fixed_size 0
		.amdhsa_private_segment_fixed_size 0
		.amdhsa_kernarg_size 96
		.amdhsa_user_sgpr_count 6
		.amdhsa_user_sgpr_private_segment_buffer 1
		.amdhsa_user_sgpr_dispatch_ptr 0
		.amdhsa_user_sgpr_queue_ptr 0
		.amdhsa_user_sgpr_kernarg_segment_ptr 1
		.amdhsa_user_sgpr_dispatch_id 0
		.amdhsa_user_sgpr_flat_scratch_init 0
		.amdhsa_user_sgpr_kernarg_preload_length 0
		.amdhsa_user_sgpr_kernarg_preload_offset 0
		.amdhsa_user_sgpr_private_segment_size 0
		.amdhsa_uses_dynamic_stack 0
		.amdhsa_system_sgpr_private_segment_wavefront_offset 0
		.amdhsa_system_sgpr_workgroup_id_x 1
		.amdhsa_system_sgpr_workgroup_id_y 0
		.amdhsa_system_sgpr_workgroup_id_z 0
		.amdhsa_system_sgpr_workgroup_info 0
		.amdhsa_system_vgpr_workitem_id 0
		.amdhsa_next_free_vgpr 1
		.amdhsa_next_free_sgpr 0
		.amdhsa_accum_offset 4
		.amdhsa_reserve_vcc 0
		.amdhsa_reserve_flat_scratch 0
		.amdhsa_float_round_mode_32 0
		.amdhsa_float_round_mode_16_64 0
		.amdhsa_float_denorm_mode_32 3
		.amdhsa_float_denorm_mode_16_64 3
		.amdhsa_dx10_clamp 1
		.amdhsa_ieee_mode 1
		.amdhsa_fp16_overflow 0
		.amdhsa_tg_split 0
		.amdhsa_exception_fp_ieee_invalid_op 0
		.amdhsa_exception_fp_denorm_src 0
		.amdhsa_exception_fp_ieee_div_zero 0
		.amdhsa_exception_fp_ieee_overflow 0
		.amdhsa_exception_fp_ieee_underflow 0
		.amdhsa_exception_fp_ieee_inexact 0
		.amdhsa_exception_int_div_zero 0
	.end_amdhsa_kernel
	.section	.text._ZN7rocprim17ROCPRIM_400000_NS6detail17trampoline_kernelINS0_14default_configENS1_20scan_config_selectorIiEEZZNS1_9scan_implILNS1_25lookback_scan_determinismE0ELb0ELb0ES3_N6thrust23THRUST_200600_302600_NS6detail15normal_iteratorINS9_10device_ptrIiEEEENSB_INSC_IfEEEEiNS9_4plusIvEEiEEDaPvRmT3_T4_T5_mT6_P12ihipStream_tbENKUlT_T0_E_clISt17integral_constantIbLb0EESV_IbLb1EEEEDaSR_SS_EUlSR_E_NS1_11comp_targetILNS1_3genE10ELNS1_11target_archE1200ELNS1_3gpuE4ELNS1_3repE0EEENS1_30default_config_static_selectorELNS0_4arch9wavefront6targetE1EEEvT1_,"axG",@progbits,_ZN7rocprim17ROCPRIM_400000_NS6detail17trampoline_kernelINS0_14default_configENS1_20scan_config_selectorIiEEZZNS1_9scan_implILNS1_25lookback_scan_determinismE0ELb0ELb0ES3_N6thrust23THRUST_200600_302600_NS6detail15normal_iteratorINS9_10device_ptrIiEEEENSB_INSC_IfEEEEiNS9_4plusIvEEiEEDaPvRmT3_T4_T5_mT6_P12ihipStream_tbENKUlT_T0_E_clISt17integral_constantIbLb0EESV_IbLb1EEEEDaSR_SS_EUlSR_E_NS1_11comp_targetILNS1_3genE10ELNS1_11target_archE1200ELNS1_3gpuE4ELNS1_3repE0EEENS1_30default_config_static_selectorELNS0_4arch9wavefront6targetE1EEEvT1_,comdat
.Lfunc_end1701:
	.size	_ZN7rocprim17ROCPRIM_400000_NS6detail17trampoline_kernelINS0_14default_configENS1_20scan_config_selectorIiEEZZNS1_9scan_implILNS1_25lookback_scan_determinismE0ELb0ELb0ES3_N6thrust23THRUST_200600_302600_NS6detail15normal_iteratorINS9_10device_ptrIiEEEENSB_INSC_IfEEEEiNS9_4plusIvEEiEEDaPvRmT3_T4_T5_mT6_P12ihipStream_tbENKUlT_T0_E_clISt17integral_constantIbLb0EESV_IbLb1EEEEDaSR_SS_EUlSR_E_NS1_11comp_targetILNS1_3genE10ELNS1_11target_archE1200ELNS1_3gpuE4ELNS1_3repE0EEENS1_30default_config_static_selectorELNS0_4arch9wavefront6targetE1EEEvT1_, .Lfunc_end1701-_ZN7rocprim17ROCPRIM_400000_NS6detail17trampoline_kernelINS0_14default_configENS1_20scan_config_selectorIiEEZZNS1_9scan_implILNS1_25lookback_scan_determinismE0ELb0ELb0ES3_N6thrust23THRUST_200600_302600_NS6detail15normal_iteratorINS9_10device_ptrIiEEEENSB_INSC_IfEEEEiNS9_4plusIvEEiEEDaPvRmT3_T4_T5_mT6_P12ihipStream_tbENKUlT_T0_E_clISt17integral_constantIbLb0EESV_IbLb1EEEEDaSR_SS_EUlSR_E_NS1_11comp_targetILNS1_3genE10ELNS1_11target_archE1200ELNS1_3gpuE4ELNS1_3repE0EEENS1_30default_config_static_selectorELNS0_4arch9wavefront6targetE1EEEvT1_
                                        ; -- End function
	.section	.AMDGPU.csdata,"",@progbits
; Kernel info:
; codeLenInByte = 0
; NumSgprs: 4
; NumVgprs: 0
; NumAgprs: 0
; TotalNumVgprs: 0
; ScratchSize: 0
; MemoryBound: 0
; FloatMode: 240
; IeeeMode: 1
; LDSByteSize: 0 bytes/workgroup (compile time only)
; SGPRBlocks: 0
; VGPRBlocks: 0
; NumSGPRsForWavesPerEU: 4
; NumVGPRsForWavesPerEU: 1
; AccumOffset: 4
; Occupancy: 8
; WaveLimiterHint : 0
; COMPUTE_PGM_RSRC2:SCRATCH_EN: 0
; COMPUTE_PGM_RSRC2:USER_SGPR: 6
; COMPUTE_PGM_RSRC2:TRAP_HANDLER: 0
; COMPUTE_PGM_RSRC2:TGID_X_EN: 1
; COMPUTE_PGM_RSRC2:TGID_Y_EN: 0
; COMPUTE_PGM_RSRC2:TGID_Z_EN: 0
; COMPUTE_PGM_RSRC2:TIDIG_COMP_CNT: 0
; COMPUTE_PGM_RSRC3_GFX90A:ACCUM_OFFSET: 0
; COMPUTE_PGM_RSRC3_GFX90A:TG_SPLIT: 0
	.section	.text._ZN7rocprim17ROCPRIM_400000_NS6detail17trampoline_kernelINS0_14default_configENS1_20scan_config_selectorIiEEZZNS1_9scan_implILNS1_25lookback_scan_determinismE0ELb0ELb0ES3_N6thrust23THRUST_200600_302600_NS6detail15normal_iteratorINS9_10device_ptrIiEEEENSB_INSC_IfEEEEiNS9_4plusIvEEiEEDaPvRmT3_T4_T5_mT6_P12ihipStream_tbENKUlT_T0_E_clISt17integral_constantIbLb0EESV_IbLb1EEEEDaSR_SS_EUlSR_E_NS1_11comp_targetILNS1_3genE9ELNS1_11target_archE1100ELNS1_3gpuE3ELNS1_3repE0EEENS1_30default_config_static_selectorELNS0_4arch9wavefront6targetE1EEEvT1_,"axG",@progbits,_ZN7rocprim17ROCPRIM_400000_NS6detail17trampoline_kernelINS0_14default_configENS1_20scan_config_selectorIiEEZZNS1_9scan_implILNS1_25lookback_scan_determinismE0ELb0ELb0ES3_N6thrust23THRUST_200600_302600_NS6detail15normal_iteratorINS9_10device_ptrIiEEEENSB_INSC_IfEEEEiNS9_4plusIvEEiEEDaPvRmT3_T4_T5_mT6_P12ihipStream_tbENKUlT_T0_E_clISt17integral_constantIbLb0EESV_IbLb1EEEEDaSR_SS_EUlSR_E_NS1_11comp_targetILNS1_3genE9ELNS1_11target_archE1100ELNS1_3gpuE3ELNS1_3repE0EEENS1_30default_config_static_selectorELNS0_4arch9wavefront6targetE1EEEvT1_,comdat
	.protected	_ZN7rocprim17ROCPRIM_400000_NS6detail17trampoline_kernelINS0_14default_configENS1_20scan_config_selectorIiEEZZNS1_9scan_implILNS1_25lookback_scan_determinismE0ELb0ELb0ES3_N6thrust23THRUST_200600_302600_NS6detail15normal_iteratorINS9_10device_ptrIiEEEENSB_INSC_IfEEEEiNS9_4plusIvEEiEEDaPvRmT3_T4_T5_mT6_P12ihipStream_tbENKUlT_T0_E_clISt17integral_constantIbLb0EESV_IbLb1EEEEDaSR_SS_EUlSR_E_NS1_11comp_targetILNS1_3genE9ELNS1_11target_archE1100ELNS1_3gpuE3ELNS1_3repE0EEENS1_30default_config_static_selectorELNS0_4arch9wavefront6targetE1EEEvT1_ ; -- Begin function _ZN7rocprim17ROCPRIM_400000_NS6detail17trampoline_kernelINS0_14default_configENS1_20scan_config_selectorIiEEZZNS1_9scan_implILNS1_25lookback_scan_determinismE0ELb0ELb0ES3_N6thrust23THRUST_200600_302600_NS6detail15normal_iteratorINS9_10device_ptrIiEEEENSB_INSC_IfEEEEiNS9_4plusIvEEiEEDaPvRmT3_T4_T5_mT6_P12ihipStream_tbENKUlT_T0_E_clISt17integral_constantIbLb0EESV_IbLb1EEEEDaSR_SS_EUlSR_E_NS1_11comp_targetILNS1_3genE9ELNS1_11target_archE1100ELNS1_3gpuE3ELNS1_3repE0EEENS1_30default_config_static_selectorELNS0_4arch9wavefront6targetE1EEEvT1_
	.globl	_ZN7rocprim17ROCPRIM_400000_NS6detail17trampoline_kernelINS0_14default_configENS1_20scan_config_selectorIiEEZZNS1_9scan_implILNS1_25lookback_scan_determinismE0ELb0ELb0ES3_N6thrust23THRUST_200600_302600_NS6detail15normal_iteratorINS9_10device_ptrIiEEEENSB_INSC_IfEEEEiNS9_4plusIvEEiEEDaPvRmT3_T4_T5_mT6_P12ihipStream_tbENKUlT_T0_E_clISt17integral_constantIbLb0EESV_IbLb1EEEEDaSR_SS_EUlSR_E_NS1_11comp_targetILNS1_3genE9ELNS1_11target_archE1100ELNS1_3gpuE3ELNS1_3repE0EEENS1_30default_config_static_selectorELNS0_4arch9wavefront6targetE1EEEvT1_
	.p2align	8
	.type	_ZN7rocprim17ROCPRIM_400000_NS6detail17trampoline_kernelINS0_14default_configENS1_20scan_config_selectorIiEEZZNS1_9scan_implILNS1_25lookback_scan_determinismE0ELb0ELb0ES3_N6thrust23THRUST_200600_302600_NS6detail15normal_iteratorINS9_10device_ptrIiEEEENSB_INSC_IfEEEEiNS9_4plusIvEEiEEDaPvRmT3_T4_T5_mT6_P12ihipStream_tbENKUlT_T0_E_clISt17integral_constantIbLb0EESV_IbLb1EEEEDaSR_SS_EUlSR_E_NS1_11comp_targetILNS1_3genE9ELNS1_11target_archE1100ELNS1_3gpuE3ELNS1_3repE0EEENS1_30default_config_static_selectorELNS0_4arch9wavefront6targetE1EEEvT1_,@function
_ZN7rocprim17ROCPRIM_400000_NS6detail17trampoline_kernelINS0_14default_configENS1_20scan_config_selectorIiEEZZNS1_9scan_implILNS1_25lookback_scan_determinismE0ELb0ELb0ES3_N6thrust23THRUST_200600_302600_NS6detail15normal_iteratorINS9_10device_ptrIiEEEENSB_INSC_IfEEEEiNS9_4plusIvEEiEEDaPvRmT3_T4_T5_mT6_P12ihipStream_tbENKUlT_T0_E_clISt17integral_constantIbLb0EESV_IbLb1EEEEDaSR_SS_EUlSR_E_NS1_11comp_targetILNS1_3genE9ELNS1_11target_archE1100ELNS1_3gpuE3ELNS1_3repE0EEENS1_30default_config_static_selectorELNS0_4arch9wavefront6targetE1EEEvT1_: ; @_ZN7rocprim17ROCPRIM_400000_NS6detail17trampoline_kernelINS0_14default_configENS1_20scan_config_selectorIiEEZZNS1_9scan_implILNS1_25lookback_scan_determinismE0ELb0ELb0ES3_N6thrust23THRUST_200600_302600_NS6detail15normal_iteratorINS9_10device_ptrIiEEEENSB_INSC_IfEEEEiNS9_4plusIvEEiEEDaPvRmT3_T4_T5_mT6_P12ihipStream_tbENKUlT_T0_E_clISt17integral_constantIbLb0EESV_IbLb1EEEEDaSR_SS_EUlSR_E_NS1_11comp_targetILNS1_3genE9ELNS1_11target_archE1100ELNS1_3gpuE3ELNS1_3repE0EEENS1_30default_config_static_selectorELNS0_4arch9wavefront6targetE1EEEvT1_
; %bb.0:
	.section	.rodata,"a",@progbits
	.p2align	6, 0x0
	.amdhsa_kernel _ZN7rocprim17ROCPRIM_400000_NS6detail17trampoline_kernelINS0_14default_configENS1_20scan_config_selectorIiEEZZNS1_9scan_implILNS1_25lookback_scan_determinismE0ELb0ELb0ES3_N6thrust23THRUST_200600_302600_NS6detail15normal_iteratorINS9_10device_ptrIiEEEENSB_INSC_IfEEEEiNS9_4plusIvEEiEEDaPvRmT3_T4_T5_mT6_P12ihipStream_tbENKUlT_T0_E_clISt17integral_constantIbLb0EESV_IbLb1EEEEDaSR_SS_EUlSR_E_NS1_11comp_targetILNS1_3genE9ELNS1_11target_archE1100ELNS1_3gpuE3ELNS1_3repE0EEENS1_30default_config_static_selectorELNS0_4arch9wavefront6targetE1EEEvT1_
		.amdhsa_group_segment_fixed_size 0
		.amdhsa_private_segment_fixed_size 0
		.amdhsa_kernarg_size 96
		.amdhsa_user_sgpr_count 6
		.amdhsa_user_sgpr_private_segment_buffer 1
		.amdhsa_user_sgpr_dispatch_ptr 0
		.amdhsa_user_sgpr_queue_ptr 0
		.amdhsa_user_sgpr_kernarg_segment_ptr 1
		.amdhsa_user_sgpr_dispatch_id 0
		.amdhsa_user_sgpr_flat_scratch_init 0
		.amdhsa_user_sgpr_kernarg_preload_length 0
		.amdhsa_user_sgpr_kernarg_preload_offset 0
		.amdhsa_user_sgpr_private_segment_size 0
		.amdhsa_uses_dynamic_stack 0
		.amdhsa_system_sgpr_private_segment_wavefront_offset 0
		.amdhsa_system_sgpr_workgroup_id_x 1
		.amdhsa_system_sgpr_workgroup_id_y 0
		.amdhsa_system_sgpr_workgroup_id_z 0
		.amdhsa_system_sgpr_workgroup_info 0
		.amdhsa_system_vgpr_workitem_id 0
		.amdhsa_next_free_vgpr 1
		.amdhsa_next_free_sgpr 0
		.amdhsa_accum_offset 4
		.amdhsa_reserve_vcc 0
		.amdhsa_reserve_flat_scratch 0
		.amdhsa_float_round_mode_32 0
		.amdhsa_float_round_mode_16_64 0
		.amdhsa_float_denorm_mode_32 3
		.amdhsa_float_denorm_mode_16_64 3
		.amdhsa_dx10_clamp 1
		.amdhsa_ieee_mode 1
		.amdhsa_fp16_overflow 0
		.amdhsa_tg_split 0
		.amdhsa_exception_fp_ieee_invalid_op 0
		.amdhsa_exception_fp_denorm_src 0
		.amdhsa_exception_fp_ieee_div_zero 0
		.amdhsa_exception_fp_ieee_overflow 0
		.amdhsa_exception_fp_ieee_underflow 0
		.amdhsa_exception_fp_ieee_inexact 0
		.amdhsa_exception_int_div_zero 0
	.end_amdhsa_kernel
	.section	.text._ZN7rocprim17ROCPRIM_400000_NS6detail17trampoline_kernelINS0_14default_configENS1_20scan_config_selectorIiEEZZNS1_9scan_implILNS1_25lookback_scan_determinismE0ELb0ELb0ES3_N6thrust23THRUST_200600_302600_NS6detail15normal_iteratorINS9_10device_ptrIiEEEENSB_INSC_IfEEEEiNS9_4plusIvEEiEEDaPvRmT3_T4_T5_mT6_P12ihipStream_tbENKUlT_T0_E_clISt17integral_constantIbLb0EESV_IbLb1EEEEDaSR_SS_EUlSR_E_NS1_11comp_targetILNS1_3genE9ELNS1_11target_archE1100ELNS1_3gpuE3ELNS1_3repE0EEENS1_30default_config_static_selectorELNS0_4arch9wavefront6targetE1EEEvT1_,"axG",@progbits,_ZN7rocprim17ROCPRIM_400000_NS6detail17trampoline_kernelINS0_14default_configENS1_20scan_config_selectorIiEEZZNS1_9scan_implILNS1_25lookback_scan_determinismE0ELb0ELb0ES3_N6thrust23THRUST_200600_302600_NS6detail15normal_iteratorINS9_10device_ptrIiEEEENSB_INSC_IfEEEEiNS9_4plusIvEEiEEDaPvRmT3_T4_T5_mT6_P12ihipStream_tbENKUlT_T0_E_clISt17integral_constantIbLb0EESV_IbLb1EEEEDaSR_SS_EUlSR_E_NS1_11comp_targetILNS1_3genE9ELNS1_11target_archE1100ELNS1_3gpuE3ELNS1_3repE0EEENS1_30default_config_static_selectorELNS0_4arch9wavefront6targetE1EEEvT1_,comdat
.Lfunc_end1702:
	.size	_ZN7rocprim17ROCPRIM_400000_NS6detail17trampoline_kernelINS0_14default_configENS1_20scan_config_selectorIiEEZZNS1_9scan_implILNS1_25lookback_scan_determinismE0ELb0ELb0ES3_N6thrust23THRUST_200600_302600_NS6detail15normal_iteratorINS9_10device_ptrIiEEEENSB_INSC_IfEEEEiNS9_4plusIvEEiEEDaPvRmT3_T4_T5_mT6_P12ihipStream_tbENKUlT_T0_E_clISt17integral_constantIbLb0EESV_IbLb1EEEEDaSR_SS_EUlSR_E_NS1_11comp_targetILNS1_3genE9ELNS1_11target_archE1100ELNS1_3gpuE3ELNS1_3repE0EEENS1_30default_config_static_selectorELNS0_4arch9wavefront6targetE1EEEvT1_, .Lfunc_end1702-_ZN7rocprim17ROCPRIM_400000_NS6detail17trampoline_kernelINS0_14default_configENS1_20scan_config_selectorIiEEZZNS1_9scan_implILNS1_25lookback_scan_determinismE0ELb0ELb0ES3_N6thrust23THRUST_200600_302600_NS6detail15normal_iteratorINS9_10device_ptrIiEEEENSB_INSC_IfEEEEiNS9_4plusIvEEiEEDaPvRmT3_T4_T5_mT6_P12ihipStream_tbENKUlT_T0_E_clISt17integral_constantIbLb0EESV_IbLb1EEEEDaSR_SS_EUlSR_E_NS1_11comp_targetILNS1_3genE9ELNS1_11target_archE1100ELNS1_3gpuE3ELNS1_3repE0EEENS1_30default_config_static_selectorELNS0_4arch9wavefront6targetE1EEEvT1_
                                        ; -- End function
	.section	.AMDGPU.csdata,"",@progbits
; Kernel info:
; codeLenInByte = 0
; NumSgprs: 4
; NumVgprs: 0
; NumAgprs: 0
; TotalNumVgprs: 0
; ScratchSize: 0
; MemoryBound: 0
; FloatMode: 240
; IeeeMode: 1
; LDSByteSize: 0 bytes/workgroup (compile time only)
; SGPRBlocks: 0
; VGPRBlocks: 0
; NumSGPRsForWavesPerEU: 4
; NumVGPRsForWavesPerEU: 1
; AccumOffset: 4
; Occupancy: 8
; WaveLimiterHint : 0
; COMPUTE_PGM_RSRC2:SCRATCH_EN: 0
; COMPUTE_PGM_RSRC2:USER_SGPR: 6
; COMPUTE_PGM_RSRC2:TRAP_HANDLER: 0
; COMPUTE_PGM_RSRC2:TGID_X_EN: 1
; COMPUTE_PGM_RSRC2:TGID_Y_EN: 0
; COMPUTE_PGM_RSRC2:TGID_Z_EN: 0
; COMPUTE_PGM_RSRC2:TIDIG_COMP_CNT: 0
; COMPUTE_PGM_RSRC3_GFX90A:ACCUM_OFFSET: 0
; COMPUTE_PGM_RSRC3_GFX90A:TG_SPLIT: 0
	.section	.text._ZN7rocprim17ROCPRIM_400000_NS6detail17trampoline_kernelINS0_14default_configENS1_20scan_config_selectorIiEEZZNS1_9scan_implILNS1_25lookback_scan_determinismE0ELb0ELb0ES3_N6thrust23THRUST_200600_302600_NS6detail15normal_iteratorINS9_10device_ptrIiEEEENSB_INSC_IfEEEEiNS9_4plusIvEEiEEDaPvRmT3_T4_T5_mT6_P12ihipStream_tbENKUlT_T0_E_clISt17integral_constantIbLb0EESV_IbLb1EEEEDaSR_SS_EUlSR_E_NS1_11comp_targetILNS1_3genE8ELNS1_11target_archE1030ELNS1_3gpuE2ELNS1_3repE0EEENS1_30default_config_static_selectorELNS0_4arch9wavefront6targetE1EEEvT1_,"axG",@progbits,_ZN7rocprim17ROCPRIM_400000_NS6detail17trampoline_kernelINS0_14default_configENS1_20scan_config_selectorIiEEZZNS1_9scan_implILNS1_25lookback_scan_determinismE0ELb0ELb0ES3_N6thrust23THRUST_200600_302600_NS6detail15normal_iteratorINS9_10device_ptrIiEEEENSB_INSC_IfEEEEiNS9_4plusIvEEiEEDaPvRmT3_T4_T5_mT6_P12ihipStream_tbENKUlT_T0_E_clISt17integral_constantIbLb0EESV_IbLb1EEEEDaSR_SS_EUlSR_E_NS1_11comp_targetILNS1_3genE8ELNS1_11target_archE1030ELNS1_3gpuE2ELNS1_3repE0EEENS1_30default_config_static_selectorELNS0_4arch9wavefront6targetE1EEEvT1_,comdat
	.protected	_ZN7rocprim17ROCPRIM_400000_NS6detail17trampoline_kernelINS0_14default_configENS1_20scan_config_selectorIiEEZZNS1_9scan_implILNS1_25lookback_scan_determinismE0ELb0ELb0ES3_N6thrust23THRUST_200600_302600_NS6detail15normal_iteratorINS9_10device_ptrIiEEEENSB_INSC_IfEEEEiNS9_4plusIvEEiEEDaPvRmT3_T4_T5_mT6_P12ihipStream_tbENKUlT_T0_E_clISt17integral_constantIbLb0EESV_IbLb1EEEEDaSR_SS_EUlSR_E_NS1_11comp_targetILNS1_3genE8ELNS1_11target_archE1030ELNS1_3gpuE2ELNS1_3repE0EEENS1_30default_config_static_selectorELNS0_4arch9wavefront6targetE1EEEvT1_ ; -- Begin function _ZN7rocprim17ROCPRIM_400000_NS6detail17trampoline_kernelINS0_14default_configENS1_20scan_config_selectorIiEEZZNS1_9scan_implILNS1_25lookback_scan_determinismE0ELb0ELb0ES3_N6thrust23THRUST_200600_302600_NS6detail15normal_iteratorINS9_10device_ptrIiEEEENSB_INSC_IfEEEEiNS9_4plusIvEEiEEDaPvRmT3_T4_T5_mT6_P12ihipStream_tbENKUlT_T0_E_clISt17integral_constantIbLb0EESV_IbLb1EEEEDaSR_SS_EUlSR_E_NS1_11comp_targetILNS1_3genE8ELNS1_11target_archE1030ELNS1_3gpuE2ELNS1_3repE0EEENS1_30default_config_static_selectorELNS0_4arch9wavefront6targetE1EEEvT1_
	.globl	_ZN7rocprim17ROCPRIM_400000_NS6detail17trampoline_kernelINS0_14default_configENS1_20scan_config_selectorIiEEZZNS1_9scan_implILNS1_25lookback_scan_determinismE0ELb0ELb0ES3_N6thrust23THRUST_200600_302600_NS6detail15normal_iteratorINS9_10device_ptrIiEEEENSB_INSC_IfEEEEiNS9_4plusIvEEiEEDaPvRmT3_T4_T5_mT6_P12ihipStream_tbENKUlT_T0_E_clISt17integral_constantIbLb0EESV_IbLb1EEEEDaSR_SS_EUlSR_E_NS1_11comp_targetILNS1_3genE8ELNS1_11target_archE1030ELNS1_3gpuE2ELNS1_3repE0EEENS1_30default_config_static_selectorELNS0_4arch9wavefront6targetE1EEEvT1_
	.p2align	8
	.type	_ZN7rocprim17ROCPRIM_400000_NS6detail17trampoline_kernelINS0_14default_configENS1_20scan_config_selectorIiEEZZNS1_9scan_implILNS1_25lookback_scan_determinismE0ELb0ELb0ES3_N6thrust23THRUST_200600_302600_NS6detail15normal_iteratorINS9_10device_ptrIiEEEENSB_INSC_IfEEEEiNS9_4plusIvEEiEEDaPvRmT3_T4_T5_mT6_P12ihipStream_tbENKUlT_T0_E_clISt17integral_constantIbLb0EESV_IbLb1EEEEDaSR_SS_EUlSR_E_NS1_11comp_targetILNS1_3genE8ELNS1_11target_archE1030ELNS1_3gpuE2ELNS1_3repE0EEENS1_30default_config_static_selectorELNS0_4arch9wavefront6targetE1EEEvT1_,@function
_ZN7rocprim17ROCPRIM_400000_NS6detail17trampoline_kernelINS0_14default_configENS1_20scan_config_selectorIiEEZZNS1_9scan_implILNS1_25lookback_scan_determinismE0ELb0ELb0ES3_N6thrust23THRUST_200600_302600_NS6detail15normal_iteratorINS9_10device_ptrIiEEEENSB_INSC_IfEEEEiNS9_4plusIvEEiEEDaPvRmT3_T4_T5_mT6_P12ihipStream_tbENKUlT_T0_E_clISt17integral_constantIbLb0EESV_IbLb1EEEEDaSR_SS_EUlSR_E_NS1_11comp_targetILNS1_3genE8ELNS1_11target_archE1030ELNS1_3gpuE2ELNS1_3repE0EEENS1_30default_config_static_selectorELNS0_4arch9wavefront6targetE1EEEvT1_: ; @_ZN7rocprim17ROCPRIM_400000_NS6detail17trampoline_kernelINS0_14default_configENS1_20scan_config_selectorIiEEZZNS1_9scan_implILNS1_25lookback_scan_determinismE0ELb0ELb0ES3_N6thrust23THRUST_200600_302600_NS6detail15normal_iteratorINS9_10device_ptrIiEEEENSB_INSC_IfEEEEiNS9_4plusIvEEiEEDaPvRmT3_T4_T5_mT6_P12ihipStream_tbENKUlT_T0_E_clISt17integral_constantIbLb0EESV_IbLb1EEEEDaSR_SS_EUlSR_E_NS1_11comp_targetILNS1_3genE8ELNS1_11target_archE1030ELNS1_3gpuE2ELNS1_3repE0EEENS1_30default_config_static_selectorELNS0_4arch9wavefront6targetE1EEEvT1_
; %bb.0:
	.section	.rodata,"a",@progbits
	.p2align	6, 0x0
	.amdhsa_kernel _ZN7rocprim17ROCPRIM_400000_NS6detail17trampoline_kernelINS0_14default_configENS1_20scan_config_selectorIiEEZZNS1_9scan_implILNS1_25lookback_scan_determinismE0ELb0ELb0ES3_N6thrust23THRUST_200600_302600_NS6detail15normal_iteratorINS9_10device_ptrIiEEEENSB_INSC_IfEEEEiNS9_4plusIvEEiEEDaPvRmT3_T4_T5_mT6_P12ihipStream_tbENKUlT_T0_E_clISt17integral_constantIbLb0EESV_IbLb1EEEEDaSR_SS_EUlSR_E_NS1_11comp_targetILNS1_3genE8ELNS1_11target_archE1030ELNS1_3gpuE2ELNS1_3repE0EEENS1_30default_config_static_selectorELNS0_4arch9wavefront6targetE1EEEvT1_
		.amdhsa_group_segment_fixed_size 0
		.amdhsa_private_segment_fixed_size 0
		.amdhsa_kernarg_size 96
		.amdhsa_user_sgpr_count 6
		.amdhsa_user_sgpr_private_segment_buffer 1
		.amdhsa_user_sgpr_dispatch_ptr 0
		.amdhsa_user_sgpr_queue_ptr 0
		.amdhsa_user_sgpr_kernarg_segment_ptr 1
		.amdhsa_user_sgpr_dispatch_id 0
		.amdhsa_user_sgpr_flat_scratch_init 0
		.amdhsa_user_sgpr_kernarg_preload_length 0
		.amdhsa_user_sgpr_kernarg_preload_offset 0
		.amdhsa_user_sgpr_private_segment_size 0
		.amdhsa_uses_dynamic_stack 0
		.amdhsa_system_sgpr_private_segment_wavefront_offset 0
		.amdhsa_system_sgpr_workgroup_id_x 1
		.amdhsa_system_sgpr_workgroup_id_y 0
		.amdhsa_system_sgpr_workgroup_id_z 0
		.amdhsa_system_sgpr_workgroup_info 0
		.amdhsa_system_vgpr_workitem_id 0
		.amdhsa_next_free_vgpr 1
		.amdhsa_next_free_sgpr 0
		.amdhsa_accum_offset 4
		.amdhsa_reserve_vcc 0
		.amdhsa_reserve_flat_scratch 0
		.amdhsa_float_round_mode_32 0
		.amdhsa_float_round_mode_16_64 0
		.amdhsa_float_denorm_mode_32 3
		.amdhsa_float_denorm_mode_16_64 3
		.amdhsa_dx10_clamp 1
		.amdhsa_ieee_mode 1
		.amdhsa_fp16_overflow 0
		.amdhsa_tg_split 0
		.amdhsa_exception_fp_ieee_invalid_op 0
		.amdhsa_exception_fp_denorm_src 0
		.amdhsa_exception_fp_ieee_div_zero 0
		.amdhsa_exception_fp_ieee_overflow 0
		.amdhsa_exception_fp_ieee_underflow 0
		.amdhsa_exception_fp_ieee_inexact 0
		.amdhsa_exception_int_div_zero 0
	.end_amdhsa_kernel
	.section	.text._ZN7rocprim17ROCPRIM_400000_NS6detail17trampoline_kernelINS0_14default_configENS1_20scan_config_selectorIiEEZZNS1_9scan_implILNS1_25lookback_scan_determinismE0ELb0ELb0ES3_N6thrust23THRUST_200600_302600_NS6detail15normal_iteratorINS9_10device_ptrIiEEEENSB_INSC_IfEEEEiNS9_4plusIvEEiEEDaPvRmT3_T4_T5_mT6_P12ihipStream_tbENKUlT_T0_E_clISt17integral_constantIbLb0EESV_IbLb1EEEEDaSR_SS_EUlSR_E_NS1_11comp_targetILNS1_3genE8ELNS1_11target_archE1030ELNS1_3gpuE2ELNS1_3repE0EEENS1_30default_config_static_selectorELNS0_4arch9wavefront6targetE1EEEvT1_,"axG",@progbits,_ZN7rocprim17ROCPRIM_400000_NS6detail17trampoline_kernelINS0_14default_configENS1_20scan_config_selectorIiEEZZNS1_9scan_implILNS1_25lookback_scan_determinismE0ELb0ELb0ES3_N6thrust23THRUST_200600_302600_NS6detail15normal_iteratorINS9_10device_ptrIiEEEENSB_INSC_IfEEEEiNS9_4plusIvEEiEEDaPvRmT3_T4_T5_mT6_P12ihipStream_tbENKUlT_T0_E_clISt17integral_constantIbLb0EESV_IbLb1EEEEDaSR_SS_EUlSR_E_NS1_11comp_targetILNS1_3genE8ELNS1_11target_archE1030ELNS1_3gpuE2ELNS1_3repE0EEENS1_30default_config_static_selectorELNS0_4arch9wavefront6targetE1EEEvT1_,comdat
.Lfunc_end1703:
	.size	_ZN7rocprim17ROCPRIM_400000_NS6detail17trampoline_kernelINS0_14default_configENS1_20scan_config_selectorIiEEZZNS1_9scan_implILNS1_25lookback_scan_determinismE0ELb0ELb0ES3_N6thrust23THRUST_200600_302600_NS6detail15normal_iteratorINS9_10device_ptrIiEEEENSB_INSC_IfEEEEiNS9_4plusIvEEiEEDaPvRmT3_T4_T5_mT6_P12ihipStream_tbENKUlT_T0_E_clISt17integral_constantIbLb0EESV_IbLb1EEEEDaSR_SS_EUlSR_E_NS1_11comp_targetILNS1_3genE8ELNS1_11target_archE1030ELNS1_3gpuE2ELNS1_3repE0EEENS1_30default_config_static_selectorELNS0_4arch9wavefront6targetE1EEEvT1_, .Lfunc_end1703-_ZN7rocprim17ROCPRIM_400000_NS6detail17trampoline_kernelINS0_14default_configENS1_20scan_config_selectorIiEEZZNS1_9scan_implILNS1_25lookback_scan_determinismE0ELb0ELb0ES3_N6thrust23THRUST_200600_302600_NS6detail15normal_iteratorINS9_10device_ptrIiEEEENSB_INSC_IfEEEEiNS9_4plusIvEEiEEDaPvRmT3_T4_T5_mT6_P12ihipStream_tbENKUlT_T0_E_clISt17integral_constantIbLb0EESV_IbLb1EEEEDaSR_SS_EUlSR_E_NS1_11comp_targetILNS1_3genE8ELNS1_11target_archE1030ELNS1_3gpuE2ELNS1_3repE0EEENS1_30default_config_static_selectorELNS0_4arch9wavefront6targetE1EEEvT1_
                                        ; -- End function
	.section	.AMDGPU.csdata,"",@progbits
; Kernel info:
; codeLenInByte = 0
; NumSgprs: 4
; NumVgprs: 0
; NumAgprs: 0
; TotalNumVgprs: 0
; ScratchSize: 0
; MemoryBound: 0
; FloatMode: 240
; IeeeMode: 1
; LDSByteSize: 0 bytes/workgroup (compile time only)
; SGPRBlocks: 0
; VGPRBlocks: 0
; NumSGPRsForWavesPerEU: 4
; NumVGPRsForWavesPerEU: 1
; AccumOffset: 4
; Occupancy: 8
; WaveLimiterHint : 0
; COMPUTE_PGM_RSRC2:SCRATCH_EN: 0
; COMPUTE_PGM_RSRC2:USER_SGPR: 6
; COMPUTE_PGM_RSRC2:TRAP_HANDLER: 0
; COMPUTE_PGM_RSRC2:TGID_X_EN: 1
; COMPUTE_PGM_RSRC2:TGID_Y_EN: 0
; COMPUTE_PGM_RSRC2:TGID_Z_EN: 0
; COMPUTE_PGM_RSRC2:TIDIG_COMP_CNT: 0
; COMPUTE_PGM_RSRC3_GFX90A:ACCUM_OFFSET: 0
; COMPUTE_PGM_RSRC3_GFX90A:TG_SPLIT: 0
	.section	.text._ZN7rocprim17ROCPRIM_400000_NS6detail17trampoline_kernelINS0_14default_configENS1_20scan_config_selectorIiEEZZNS1_9scan_implILNS1_25lookback_scan_determinismE0ELb0ELb0ES3_N6thrust23THRUST_200600_302600_NS6detail15normal_iteratorINS9_10device_ptrIiEEEENSB_INSC_IfEEEEiNS9_4plusIvEEiEEDaPvRmT3_T4_T5_mT6_P12ihipStream_tbENKUlT_T0_E_clISt17integral_constantIbLb0EESV_IbLb1EEEEDaSR_SS_EUlSR_E0_NS1_11comp_targetILNS1_3genE0ELNS1_11target_archE4294967295ELNS1_3gpuE0ELNS1_3repE0EEENS1_30default_config_static_selectorELNS0_4arch9wavefront6targetE1EEEvT1_,"axG",@progbits,_ZN7rocprim17ROCPRIM_400000_NS6detail17trampoline_kernelINS0_14default_configENS1_20scan_config_selectorIiEEZZNS1_9scan_implILNS1_25lookback_scan_determinismE0ELb0ELb0ES3_N6thrust23THRUST_200600_302600_NS6detail15normal_iteratorINS9_10device_ptrIiEEEENSB_INSC_IfEEEEiNS9_4plusIvEEiEEDaPvRmT3_T4_T5_mT6_P12ihipStream_tbENKUlT_T0_E_clISt17integral_constantIbLb0EESV_IbLb1EEEEDaSR_SS_EUlSR_E0_NS1_11comp_targetILNS1_3genE0ELNS1_11target_archE4294967295ELNS1_3gpuE0ELNS1_3repE0EEENS1_30default_config_static_selectorELNS0_4arch9wavefront6targetE1EEEvT1_,comdat
	.protected	_ZN7rocprim17ROCPRIM_400000_NS6detail17trampoline_kernelINS0_14default_configENS1_20scan_config_selectorIiEEZZNS1_9scan_implILNS1_25lookback_scan_determinismE0ELb0ELb0ES3_N6thrust23THRUST_200600_302600_NS6detail15normal_iteratorINS9_10device_ptrIiEEEENSB_INSC_IfEEEEiNS9_4plusIvEEiEEDaPvRmT3_T4_T5_mT6_P12ihipStream_tbENKUlT_T0_E_clISt17integral_constantIbLb0EESV_IbLb1EEEEDaSR_SS_EUlSR_E0_NS1_11comp_targetILNS1_3genE0ELNS1_11target_archE4294967295ELNS1_3gpuE0ELNS1_3repE0EEENS1_30default_config_static_selectorELNS0_4arch9wavefront6targetE1EEEvT1_ ; -- Begin function _ZN7rocprim17ROCPRIM_400000_NS6detail17trampoline_kernelINS0_14default_configENS1_20scan_config_selectorIiEEZZNS1_9scan_implILNS1_25lookback_scan_determinismE0ELb0ELb0ES3_N6thrust23THRUST_200600_302600_NS6detail15normal_iteratorINS9_10device_ptrIiEEEENSB_INSC_IfEEEEiNS9_4plusIvEEiEEDaPvRmT3_T4_T5_mT6_P12ihipStream_tbENKUlT_T0_E_clISt17integral_constantIbLb0EESV_IbLb1EEEEDaSR_SS_EUlSR_E0_NS1_11comp_targetILNS1_3genE0ELNS1_11target_archE4294967295ELNS1_3gpuE0ELNS1_3repE0EEENS1_30default_config_static_selectorELNS0_4arch9wavefront6targetE1EEEvT1_
	.globl	_ZN7rocprim17ROCPRIM_400000_NS6detail17trampoline_kernelINS0_14default_configENS1_20scan_config_selectorIiEEZZNS1_9scan_implILNS1_25lookback_scan_determinismE0ELb0ELb0ES3_N6thrust23THRUST_200600_302600_NS6detail15normal_iteratorINS9_10device_ptrIiEEEENSB_INSC_IfEEEEiNS9_4plusIvEEiEEDaPvRmT3_T4_T5_mT6_P12ihipStream_tbENKUlT_T0_E_clISt17integral_constantIbLb0EESV_IbLb1EEEEDaSR_SS_EUlSR_E0_NS1_11comp_targetILNS1_3genE0ELNS1_11target_archE4294967295ELNS1_3gpuE0ELNS1_3repE0EEENS1_30default_config_static_selectorELNS0_4arch9wavefront6targetE1EEEvT1_
	.p2align	8
	.type	_ZN7rocprim17ROCPRIM_400000_NS6detail17trampoline_kernelINS0_14default_configENS1_20scan_config_selectorIiEEZZNS1_9scan_implILNS1_25lookback_scan_determinismE0ELb0ELb0ES3_N6thrust23THRUST_200600_302600_NS6detail15normal_iteratorINS9_10device_ptrIiEEEENSB_INSC_IfEEEEiNS9_4plusIvEEiEEDaPvRmT3_T4_T5_mT6_P12ihipStream_tbENKUlT_T0_E_clISt17integral_constantIbLb0EESV_IbLb1EEEEDaSR_SS_EUlSR_E0_NS1_11comp_targetILNS1_3genE0ELNS1_11target_archE4294967295ELNS1_3gpuE0ELNS1_3repE0EEENS1_30default_config_static_selectorELNS0_4arch9wavefront6targetE1EEEvT1_,@function
_ZN7rocprim17ROCPRIM_400000_NS6detail17trampoline_kernelINS0_14default_configENS1_20scan_config_selectorIiEEZZNS1_9scan_implILNS1_25lookback_scan_determinismE0ELb0ELb0ES3_N6thrust23THRUST_200600_302600_NS6detail15normal_iteratorINS9_10device_ptrIiEEEENSB_INSC_IfEEEEiNS9_4plusIvEEiEEDaPvRmT3_T4_T5_mT6_P12ihipStream_tbENKUlT_T0_E_clISt17integral_constantIbLb0EESV_IbLb1EEEEDaSR_SS_EUlSR_E0_NS1_11comp_targetILNS1_3genE0ELNS1_11target_archE4294967295ELNS1_3gpuE0ELNS1_3repE0EEENS1_30default_config_static_selectorELNS0_4arch9wavefront6targetE1EEEvT1_: ; @_ZN7rocprim17ROCPRIM_400000_NS6detail17trampoline_kernelINS0_14default_configENS1_20scan_config_selectorIiEEZZNS1_9scan_implILNS1_25lookback_scan_determinismE0ELb0ELb0ES3_N6thrust23THRUST_200600_302600_NS6detail15normal_iteratorINS9_10device_ptrIiEEEENSB_INSC_IfEEEEiNS9_4plusIvEEiEEDaPvRmT3_T4_T5_mT6_P12ihipStream_tbENKUlT_T0_E_clISt17integral_constantIbLb0EESV_IbLb1EEEEDaSR_SS_EUlSR_E0_NS1_11comp_targetILNS1_3genE0ELNS1_11target_archE4294967295ELNS1_3gpuE0ELNS1_3repE0EEENS1_30default_config_static_selectorELNS0_4arch9wavefront6targetE1EEEvT1_
; %bb.0:
	.section	.rodata,"a",@progbits
	.p2align	6, 0x0
	.amdhsa_kernel _ZN7rocprim17ROCPRIM_400000_NS6detail17trampoline_kernelINS0_14default_configENS1_20scan_config_selectorIiEEZZNS1_9scan_implILNS1_25lookback_scan_determinismE0ELb0ELb0ES3_N6thrust23THRUST_200600_302600_NS6detail15normal_iteratorINS9_10device_ptrIiEEEENSB_INSC_IfEEEEiNS9_4plusIvEEiEEDaPvRmT3_T4_T5_mT6_P12ihipStream_tbENKUlT_T0_E_clISt17integral_constantIbLb0EESV_IbLb1EEEEDaSR_SS_EUlSR_E0_NS1_11comp_targetILNS1_3genE0ELNS1_11target_archE4294967295ELNS1_3gpuE0ELNS1_3repE0EEENS1_30default_config_static_selectorELNS0_4arch9wavefront6targetE1EEEvT1_
		.amdhsa_group_segment_fixed_size 0
		.amdhsa_private_segment_fixed_size 0
		.amdhsa_kernarg_size 32
		.amdhsa_user_sgpr_count 6
		.amdhsa_user_sgpr_private_segment_buffer 1
		.amdhsa_user_sgpr_dispatch_ptr 0
		.amdhsa_user_sgpr_queue_ptr 0
		.amdhsa_user_sgpr_kernarg_segment_ptr 1
		.amdhsa_user_sgpr_dispatch_id 0
		.amdhsa_user_sgpr_flat_scratch_init 0
		.amdhsa_user_sgpr_kernarg_preload_length 0
		.amdhsa_user_sgpr_kernarg_preload_offset 0
		.amdhsa_user_sgpr_private_segment_size 0
		.amdhsa_uses_dynamic_stack 0
		.amdhsa_system_sgpr_private_segment_wavefront_offset 0
		.amdhsa_system_sgpr_workgroup_id_x 1
		.amdhsa_system_sgpr_workgroup_id_y 0
		.amdhsa_system_sgpr_workgroup_id_z 0
		.amdhsa_system_sgpr_workgroup_info 0
		.amdhsa_system_vgpr_workitem_id 0
		.amdhsa_next_free_vgpr 1
		.amdhsa_next_free_sgpr 0
		.amdhsa_accum_offset 4
		.amdhsa_reserve_vcc 0
		.amdhsa_reserve_flat_scratch 0
		.amdhsa_float_round_mode_32 0
		.amdhsa_float_round_mode_16_64 0
		.amdhsa_float_denorm_mode_32 3
		.amdhsa_float_denorm_mode_16_64 3
		.amdhsa_dx10_clamp 1
		.amdhsa_ieee_mode 1
		.amdhsa_fp16_overflow 0
		.amdhsa_tg_split 0
		.amdhsa_exception_fp_ieee_invalid_op 0
		.amdhsa_exception_fp_denorm_src 0
		.amdhsa_exception_fp_ieee_div_zero 0
		.amdhsa_exception_fp_ieee_overflow 0
		.amdhsa_exception_fp_ieee_underflow 0
		.amdhsa_exception_fp_ieee_inexact 0
		.amdhsa_exception_int_div_zero 0
	.end_amdhsa_kernel
	.section	.text._ZN7rocprim17ROCPRIM_400000_NS6detail17trampoline_kernelINS0_14default_configENS1_20scan_config_selectorIiEEZZNS1_9scan_implILNS1_25lookback_scan_determinismE0ELb0ELb0ES3_N6thrust23THRUST_200600_302600_NS6detail15normal_iteratorINS9_10device_ptrIiEEEENSB_INSC_IfEEEEiNS9_4plusIvEEiEEDaPvRmT3_T4_T5_mT6_P12ihipStream_tbENKUlT_T0_E_clISt17integral_constantIbLb0EESV_IbLb1EEEEDaSR_SS_EUlSR_E0_NS1_11comp_targetILNS1_3genE0ELNS1_11target_archE4294967295ELNS1_3gpuE0ELNS1_3repE0EEENS1_30default_config_static_selectorELNS0_4arch9wavefront6targetE1EEEvT1_,"axG",@progbits,_ZN7rocprim17ROCPRIM_400000_NS6detail17trampoline_kernelINS0_14default_configENS1_20scan_config_selectorIiEEZZNS1_9scan_implILNS1_25lookback_scan_determinismE0ELb0ELb0ES3_N6thrust23THRUST_200600_302600_NS6detail15normal_iteratorINS9_10device_ptrIiEEEENSB_INSC_IfEEEEiNS9_4plusIvEEiEEDaPvRmT3_T4_T5_mT6_P12ihipStream_tbENKUlT_T0_E_clISt17integral_constantIbLb0EESV_IbLb1EEEEDaSR_SS_EUlSR_E0_NS1_11comp_targetILNS1_3genE0ELNS1_11target_archE4294967295ELNS1_3gpuE0ELNS1_3repE0EEENS1_30default_config_static_selectorELNS0_4arch9wavefront6targetE1EEEvT1_,comdat
.Lfunc_end1704:
	.size	_ZN7rocprim17ROCPRIM_400000_NS6detail17trampoline_kernelINS0_14default_configENS1_20scan_config_selectorIiEEZZNS1_9scan_implILNS1_25lookback_scan_determinismE0ELb0ELb0ES3_N6thrust23THRUST_200600_302600_NS6detail15normal_iteratorINS9_10device_ptrIiEEEENSB_INSC_IfEEEEiNS9_4plusIvEEiEEDaPvRmT3_T4_T5_mT6_P12ihipStream_tbENKUlT_T0_E_clISt17integral_constantIbLb0EESV_IbLb1EEEEDaSR_SS_EUlSR_E0_NS1_11comp_targetILNS1_3genE0ELNS1_11target_archE4294967295ELNS1_3gpuE0ELNS1_3repE0EEENS1_30default_config_static_selectorELNS0_4arch9wavefront6targetE1EEEvT1_, .Lfunc_end1704-_ZN7rocprim17ROCPRIM_400000_NS6detail17trampoline_kernelINS0_14default_configENS1_20scan_config_selectorIiEEZZNS1_9scan_implILNS1_25lookback_scan_determinismE0ELb0ELb0ES3_N6thrust23THRUST_200600_302600_NS6detail15normal_iteratorINS9_10device_ptrIiEEEENSB_INSC_IfEEEEiNS9_4plusIvEEiEEDaPvRmT3_T4_T5_mT6_P12ihipStream_tbENKUlT_T0_E_clISt17integral_constantIbLb0EESV_IbLb1EEEEDaSR_SS_EUlSR_E0_NS1_11comp_targetILNS1_3genE0ELNS1_11target_archE4294967295ELNS1_3gpuE0ELNS1_3repE0EEENS1_30default_config_static_selectorELNS0_4arch9wavefront6targetE1EEEvT1_
                                        ; -- End function
	.section	.AMDGPU.csdata,"",@progbits
; Kernel info:
; codeLenInByte = 0
; NumSgprs: 4
; NumVgprs: 0
; NumAgprs: 0
; TotalNumVgprs: 0
; ScratchSize: 0
; MemoryBound: 0
; FloatMode: 240
; IeeeMode: 1
; LDSByteSize: 0 bytes/workgroup (compile time only)
; SGPRBlocks: 0
; VGPRBlocks: 0
; NumSGPRsForWavesPerEU: 4
; NumVGPRsForWavesPerEU: 1
; AccumOffset: 4
; Occupancy: 8
; WaveLimiterHint : 0
; COMPUTE_PGM_RSRC2:SCRATCH_EN: 0
; COMPUTE_PGM_RSRC2:USER_SGPR: 6
; COMPUTE_PGM_RSRC2:TRAP_HANDLER: 0
; COMPUTE_PGM_RSRC2:TGID_X_EN: 1
; COMPUTE_PGM_RSRC2:TGID_Y_EN: 0
; COMPUTE_PGM_RSRC2:TGID_Z_EN: 0
; COMPUTE_PGM_RSRC2:TIDIG_COMP_CNT: 0
; COMPUTE_PGM_RSRC3_GFX90A:ACCUM_OFFSET: 0
; COMPUTE_PGM_RSRC3_GFX90A:TG_SPLIT: 0
	.section	.text._ZN7rocprim17ROCPRIM_400000_NS6detail17trampoline_kernelINS0_14default_configENS1_20scan_config_selectorIiEEZZNS1_9scan_implILNS1_25lookback_scan_determinismE0ELb0ELb0ES3_N6thrust23THRUST_200600_302600_NS6detail15normal_iteratorINS9_10device_ptrIiEEEENSB_INSC_IfEEEEiNS9_4plusIvEEiEEDaPvRmT3_T4_T5_mT6_P12ihipStream_tbENKUlT_T0_E_clISt17integral_constantIbLb0EESV_IbLb1EEEEDaSR_SS_EUlSR_E0_NS1_11comp_targetILNS1_3genE5ELNS1_11target_archE942ELNS1_3gpuE9ELNS1_3repE0EEENS1_30default_config_static_selectorELNS0_4arch9wavefront6targetE1EEEvT1_,"axG",@progbits,_ZN7rocprim17ROCPRIM_400000_NS6detail17trampoline_kernelINS0_14default_configENS1_20scan_config_selectorIiEEZZNS1_9scan_implILNS1_25lookback_scan_determinismE0ELb0ELb0ES3_N6thrust23THRUST_200600_302600_NS6detail15normal_iteratorINS9_10device_ptrIiEEEENSB_INSC_IfEEEEiNS9_4plusIvEEiEEDaPvRmT3_T4_T5_mT6_P12ihipStream_tbENKUlT_T0_E_clISt17integral_constantIbLb0EESV_IbLb1EEEEDaSR_SS_EUlSR_E0_NS1_11comp_targetILNS1_3genE5ELNS1_11target_archE942ELNS1_3gpuE9ELNS1_3repE0EEENS1_30default_config_static_selectorELNS0_4arch9wavefront6targetE1EEEvT1_,comdat
	.protected	_ZN7rocprim17ROCPRIM_400000_NS6detail17trampoline_kernelINS0_14default_configENS1_20scan_config_selectorIiEEZZNS1_9scan_implILNS1_25lookback_scan_determinismE0ELb0ELb0ES3_N6thrust23THRUST_200600_302600_NS6detail15normal_iteratorINS9_10device_ptrIiEEEENSB_INSC_IfEEEEiNS9_4plusIvEEiEEDaPvRmT3_T4_T5_mT6_P12ihipStream_tbENKUlT_T0_E_clISt17integral_constantIbLb0EESV_IbLb1EEEEDaSR_SS_EUlSR_E0_NS1_11comp_targetILNS1_3genE5ELNS1_11target_archE942ELNS1_3gpuE9ELNS1_3repE0EEENS1_30default_config_static_selectorELNS0_4arch9wavefront6targetE1EEEvT1_ ; -- Begin function _ZN7rocprim17ROCPRIM_400000_NS6detail17trampoline_kernelINS0_14default_configENS1_20scan_config_selectorIiEEZZNS1_9scan_implILNS1_25lookback_scan_determinismE0ELb0ELb0ES3_N6thrust23THRUST_200600_302600_NS6detail15normal_iteratorINS9_10device_ptrIiEEEENSB_INSC_IfEEEEiNS9_4plusIvEEiEEDaPvRmT3_T4_T5_mT6_P12ihipStream_tbENKUlT_T0_E_clISt17integral_constantIbLb0EESV_IbLb1EEEEDaSR_SS_EUlSR_E0_NS1_11comp_targetILNS1_3genE5ELNS1_11target_archE942ELNS1_3gpuE9ELNS1_3repE0EEENS1_30default_config_static_selectorELNS0_4arch9wavefront6targetE1EEEvT1_
	.globl	_ZN7rocprim17ROCPRIM_400000_NS6detail17trampoline_kernelINS0_14default_configENS1_20scan_config_selectorIiEEZZNS1_9scan_implILNS1_25lookback_scan_determinismE0ELb0ELb0ES3_N6thrust23THRUST_200600_302600_NS6detail15normal_iteratorINS9_10device_ptrIiEEEENSB_INSC_IfEEEEiNS9_4plusIvEEiEEDaPvRmT3_T4_T5_mT6_P12ihipStream_tbENKUlT_T0_E_clISt17integral_constantIbLb0EESV_IbLb1EEEEDaSR_SS_EUlSR_E0_NS1_11comp_targetILNS1_3genE5ELNS1_11target_archE942ELNS1_3gpuE9ELNS1_3repE0EEENS1_30default_config_static_selectorELNS0_4arch9wavefront6targetE1EEEvT1_
	.p2align	8
	.type	_ZN7rocprim17ROCPRIM_400000_NS6detail17trampoline_kernelINS0_14default_configENS1_20scan_config_selectorIiEEZZNS1_9scan_implILNS1_25lookback_scan_determinismE0ELb0ELb0ES3_N6thrust23THRUST_200600_302600_NS6detail15normal_iteratorINS9_10device_ptrIiEEEENSB_INSC_IfEEEEiNS9_4plusIvEEiEEDaPvRmT3_T4_T5_mT6_P12ihipStream_tbENKUlT_T0_E_clISt17integral_constantIbLb0EESV_IbLb1EEEEDaSR_SS_EUlSR_E0_NS1_11comp_targetILNS1_3genE5ELNS1_11target_archE942ELNS1_3gpuE9ELNS1_3repE0EEENS1_30default_config_static_selectorELNS0_4arch9wavefront6targetE1EEEvT1_,@function
_ZN7rocprim17ROCPRIM_400000_NS6detail17trampoline_kernelINS0_14default_configENS1_20scan_config_selectorIiEEZZNS1_9scan_implILNS1_25lookback_scan_determinismE0ELb0ELb0ES3_N6thrust23THRUST_200600_302600_NS6detail15normal_iteratorINS9_10device_ptrIiEEEENSB_INSC_IfEEEEiNS9_4plusIvEEiEEDaPvRmT3_T4_T5_mT6_P12ihipStream_tbENKUlT_T0_E_clISt17integral_constantIbLb0EESV_IbLb1EEEEDaSR_SS_EUlSR_E0_NS1_11comp_targetILNS1_3genE5ELNS1_11target_archE942ELNS1_3gpuE9ELNS1_3repE0EEENS1_30default_config_static_selectorELNS0_4arch9wavefront6targetE1EEEvT1_: ; @_ZN7rocprim17ROCPRIM_400000_NS6detail17trampoline_kernelINS0_14default_configENS1_20scan_config_selectorIiEEZZNS1_9scan_implILNS1_25lookback_scan_determinismE0ELb0ELb0ES3_N6thrust23THRUST_200600_302600_NS6detail15normal_iteratorINS9_10device_ptrIiEEEENSB_INSC_IfEEEEiNS9_4plusIvEEiEEDaPvRmT3_T4_T5_mT6_P12ihipStream_tbENKUlT_T0_E_clISt17integral_constantIbLb0EESV_IbLb1EEEEDaSR_SS_EUlSR_E0_NS1_11comp_targetILNS1_3genE5ELNS1_11target_archE942ELNS1_3gpuE9ELNS1_3repE0EEENS1_30default_config_static_selectorELNS0_4arch9wavefront6targetE1EEEvT1_
; %bb.0:
	.section	.rodata,"a",@progbits
	.p2align	6, 0x0
	.amdhsa_kernel _ZN7rocprim17ROCPRIM_400000_NS6detail17trampoline_kernelINS0_14default_configENS1_20scan_config_selectorIiEEZZNS1_9scan_implILNS1_25lookback_scan_determinismE0ELb0ELb0ES3_N6thrust23THRUST_200600_302600_NS6detail15normal_iteratorINS9_10device_ptrIiEEEENSB_INSC_IfEEEEiNS9_4plusIvEEiEEDaPvRmT3_T4_T5_mT6_P12ihipStream_tbENKUlT_T0_E_clISt17integral_constantIbLb0EESV_IbLb1EEEEDaSR_SS_EUlSR_E0_NS1_11comp_targetILNS1_3genE5ELNS1_11target_archE942ELNS1_3gpuE9ELNS1_3repE0EEENS1_30default_config_static_selectorELNS0_4arch9wavefront6targetE1EEEvT1_
		.amdhsa_group_segment_fixed_size 0
		.amdhsa_private_segment_fixed_size 0
		.amdhsa_kernarg_size 32
		.amdhsa_user_sgpr_count 6
		.amdhsa_user_sgpr_private_segment_buffer 1
		.amdhsa_user_sgpr_dispatch_ptr 0
		.amdhsa_user_sgpr_queue_ptr 0
		.amdhsa_user_sgpr_kernarg_segment_ptr 1
		.amdhsa_user_sgpr_dispatch_id 0
		.amdhsa_user_sgpr_flat_scratch_init 0
		.amdhsa_user_sgpr_kernarg_preload_length 0
		.amdhsa_user_sgpr_kernarg_preload_offset 0
		.amdhsa_user_sgpr_private_segment_size 0
		.amdhsa_uses_dynamic_stack 0
		.amdhsa_system_sgpr_private_segment_wavefront_offset 0
		.amdhsa_system_sgpr_workgroup_id_x 1
		.amdhsa_system_sgpr_workgroup_id_y 0
		.amdhsa_system_sgpr_workgroup_id_z 0
		.amdhsa_system_sgpr_workgroup_info 0
		.amdhsa_system_vgpr_workitem_id 0
		.amdhsa_next_free_vgpr 1
		.amdhsa_next_free_sgpr 0
		.amdhsa_accum_offset 4
		.amdhsa_reserve_vcc 0
		.amdhsa_reserve_flat_scratch 0
		.amdhsa_float_round_mode_32 0
		.amdhsa_float_round_mode_16_64 0
		.amdhsa_float_denorm_mode_32 3
		.amdhsa_float_denorm_mode_16_64 3
		.amdhsa_dx10_clamp 1
		.amdhsa_ieee_mode 1
		.amdhsa_fp16_overflow 0
		.amdhsa_tg_split 0
		.amdhsa_exception_fp_ieee_invalid_op 0
		.amdhsa_exception_fp_denorm_src 0
		.amdhsa_exception_fp_ieee_div_zero 0
		.amdhsa_exception_fp_ieee_overflow 0
		.amdhsa_exception_fp_ieee_underflow 0
		.amdhsa_exception_fp_ieee_inexact 0
		.amdhsa_exception_int_div_zero 0
	.end_amdhsa_kernel
	.section	.text._ZN7rocprim17ROCPRIM_400000_NS6detail17trampoline_kernelINS0_14default_configENS1_20scan_config_selectorIiEEZZNS1_9scan_implILNS1_25lookback_scan_determinismE0ELb0ELb0ES3_N6thrust23THRUST_200600_302600_NS6detail15normal_iteratorINS9_10device_ptrIiEEEENSB_INSC_IfEEEEiNS9_4plusIvEEiEEDaPvRmT3_T4_T5_mT6_P12ihipStream_tbENKUlT_T0_E_clISt17integral_constantIbLb0EESV_IbLb1EEEEDaSR_SS_EUlSR_E0_NS1_11comp_targetILNS1_3genE5ELNS1_11target_archE942ELNS1_3gpuE9ELNS1_3repE0EEENS1_30default_config_static_selectorELNS0_4arch9wavefront6targetE1EEEvT1_,"axG",@progbits,_ZN7rocprim17ROCPRIM_400000_NS6detail17trampoline_kernelINS0_14default_configENS1_20scan_config_selectorIiEEZZNS1_9scan_implILNS1_25lookback_scan_determinismE0ELb0ELb0ES3_N6thrust23THRUST_200600_302600_NS6detail15normal_iteratorINS9_10device_ptrIiEEEENSB_INSC_IfEEEEiNS9_4plusIvEEiEEDaPvRmT3_T4_T5_mT6_P12ihipStream_tbENKUlT_T0_E_clISt17integral_constantIbLb0EESV_IbLb1EEEEDaSR_SS_EUlSR_E0_NS1_11comp_targetILNS1_3genE5ELNS1_11target_archE942ELNS1_3gpuE9ELNS1_3repE0EEENS1_30default_config_static_selectorELNS0_4arch9wavefront6targetE1EEEvT1_,comdat
.Lfunc_end1705:
	.size	_ZN7rocprim17ROCPRIM_400000_NS6detail17trampoline_kernelINS0_14default_configENS1_20scan_config_selectorIiEEZZNS1_9scan_implILNS1_25lookback_scan_determinismE0ELb0ELb0ES3_N6thrust23THRUST_200600_302600_NS6detail15normal_iteratorINS9_10device_ptrIiEEEENSB_INSC_IfEEEEiNS9_4plusIvEEiEEDaPvRmT3_T4_T5_mT6_P12ihipStream_tbENKUlT_T0_E_clISt17integral_constantIbLb0EESV_IbLb1EEEEDaSR_SS_EUlSR_E0_NS1_11comp_targetILNS1_3genE5ELNS1_11target_archE942ELNS1_3gpuE9ELNS1_3repE0EEENS1_30default_config_static_selectorELNS0_4arch9wavefront6targetE1EEEvT1_, .Lfunc_end1705-_ZN7rocprim17ROCPRIM_400000_NS6detail17trampoline_kernelINS0_14default_configENS1_20scan_config_selectorIiEEZZNS1_9scan_implILNS1_25lookback_scan_determinismE0ELb0ELb0ES3_N6thrust23THRUST_200600_302600_NS6detail15normal_iteratorINS9_10device_ptrIiEEEENSB_INSC_IfEEEEiNS9_4plusIvEEiEEDaPvRmT3_T4_T5_mT6_P12ihipStream_tbENKUlT_T0_E_clISt17integral_constantIbLb0EESV_IbLb1EEEEDaSR_SS_EUlSR_E0_NS1_11comp_targetILNS1_3genE5ELNS1_11target_archE942ELNS1_3gpuE9ELNS1_3repE0EEENS1_30default_config_static_selectorELNS0_4arch9wavefront6targetE1EEEvT1_
                                        ; -- End function
	.section	.AMDGPU.csdata,"",@progbits
; Kernel info:
; codeLenInByte = 0
; NumSgprs: 4
; NumVgprs: 0
; NumAgprs: 0
; TotalNumVgprs: 0
; ScratchSize: 0
; MemoryBound: 0
; FloatMode: 240
; IeeeMode: 1
; LDSByteSize: 0 bytes/workgroup (compile time only)
; SGPRBlocks: 0
; VGPRBlocks: 0
; NumSGPRsForWavesPerEU: 4
; NumVGPRsForWavesPerEU: 1
; AccumOffset: 4
; Occupancy: 8
; WaveLimiterHint : 0
; COMPUTE_PGM_RSRC2:SCRATCH_EN: 0
; COMPUTE_PGM_RSRC2:USER_SGPR: 6
; COMPUTE_PGM_RSRC2:TRAP_HANDLER: 0
; COMPUTE_PGM_RSRC2:TGID_X_EN: 1
; COMPUTE_PGM_RSRC2:TGID_Y_EN: 0
; COMPUTE_PGM_RSRC2:TGID_Z_EN: 0
; COMPUTE_PGM_RSRC2:TIDIG_COMP_CNT: 0
; COMPUTE_PGM_RSRC3_GFX90A:ACCUM_OFFSET: 0
; COMPUTE_PGM_RSRC3_GFX90A:TG_SPLIT: 0
	.section	.text._ZN7rocprim17ROCPRIM_400000_NS6detail17trampoline_kernelINS0_14default_configENS1_20scan_config_selectorIiEEZZNS1_9scan_implILNS1_25lookback_scan_determinismE0ELb0ELb0ES3_N6thrust23THRUST_200600_302600_NS6detail15normal_iteratorINS9_10device_ptrIiEEEENSB_INSC_IfEEEEiNS9_4plusIvEEiEEDaPvRmT3_T4_T5_mT6_P12ihipStream_tbENKUlT_T0_E_clISt17integral_constantIbLb0EESV_IbLb1EEEEDaSR_SS_EUlSR_E0_NS1_11comp_targetILNS1_3genE4ELNS1_11target_archE910ELNS1_3gpuE8ELNS1_3repE0EEENS1_30default_config_static_selectorELNS0_4arch9wavefront6targetE1EEEvT1_,"axG",@progbits,_ZN7rocprim17ROCPRIM_400000_NS6detail17trampoline_kernelINS0_14default_configENS1_20scan_config_selectorIiEEZZNS1_9scan_implILNS1_25lookback_scan_determinismE0ELb0ELb0ES3_N6thrust23THRUST_200600_302600_NS6detail15normal_iteratorINS9_10device_ptrIiEEEENSB_INSC_IfEEEEiNS9_4plusIvEEiEEDaPvRmT3_T4_T5_mT6_P12ihipStream_tbENKUlT_T0_E_clISt17integral_constantIbLb0EESV_IbLb1EEEEDaSR_SS_EUlSR_E0_NS1_11comp_targetILNS1_3genE4ELNS1_11target_archE910ELNS1_3gpuE8ELNS1_3repE0EEENS1_30default_config_static_selectorELNS0_4arch9wavefront6targetE1EEEvT1_,comdat
	.protected	_ZN7rocprim17ROCPRIM_400000_NS6detail17trampoline_kernelINS0_14default_configENS1_20scan_config_selectorIiEEZZNS1_9scan_implILNS1_25lookback_scan_determinismE0ELb0ELb0ES3_N6thrust23THRUST_200600_302600_NS6detail15normal_iteratorINS9_10device_ptrIiEEEENSB_INSC_IfEEEEiNS9_4plusIvEEiEEDaPvRmT3_T4_T5_mT6_P12ihipStream_tbENKUlT_T0_E_clISt17integral_constantIbLb0EESV_IbLb1EEEEDaSR_SS_EUlSR_E0_NS1_11comp_targetILNS1_3genE4ELNS1_11target_archE910ELNS1_3gpuE8ELNS1_3repE0EEENS1_30default_config_static_selectorELNS0_4arch9wavefront6targetE1EEEvT1_ ; -- Begin function _ZN7rocprim17ROCPRIM_400000_NS6detail17trampoline_kernelINS0_14default_configENS1_20scan_config_selectorIiEEZZNS1_9scan_implILNS1_25lookback_scan_determinismE0ELb0ELb0ES3_N6thrust23THRUST_200600_302600_NS6detail15normal_iteratorINS9_10device_ptrIiEEEENSB_INSC_IfEEEEiNS9_4plusIvEEiEEDaPvRmT3_T4_T5_mT6_P12ihipStream_tbENKUlT_T0_E_clISt17integral_constantIbLb0EESV_IbLb1EEEEDaSR_SS_EUlSR_E0_NS1_11comp_targetILNS1_3genE4ELNS1_11target_archE910ELNS1_3gpuE8ELNS1_3repE0EEENS1_30default_config_static_selectorELNS0_4arch9wavefront6targetE1EEEvT1_
	.globl	_ZN7rocprim17ROCPRIM_400000_NS6detail17trampoline_kernelINS0_14default_configENS1_20scan_config_selectorIiEEZZNS1_9scan_implILNS1_25lookback_scan_determinismE0ELb0ELb0ES3_N6thrust23THRUST_200600_302600_NS6detail15normal_iteratorINS9_10device_ptrIiEEEENSB_INSC_IfEEEEiNS9_4plusIvEEiEEDaPvRmT3_T4_T5_mT6_P12ihipStream_tbENKUlT_T0_E_clISt17integral_constantIbLb0EESV_IbLb1EEEEDaSR_SS_EUlSR_E0_NS1_11comp_targetILNS1_3genE4ELNS1_11target_archE910ELNS1_3gpuE8ELNS1_3repE0EEENS1_30default_config_static_selectorELNS0_4arch9wavefront6targetE1EEEvT1_
	.p2align	8
	.type	_ZN7rocprim17ROCPRIM_400000_NS6detail17trampoline_kernelINS0_14default_configENS1_20scan_config_selectorIiEEZZNS1_9scan_implILNS1_25lookback_scan_determinismE0ELb0ELb0ES3_N6thrust23THRUST_200600_302600_NS6detail15normal_iteratorINS9_10device_ptrIiEEEENSB_INSC_IfEEEEiNS9_4plusIvEEiEEDaPvRmT3_T4_T5_mT6_P12ihipStream_tbENKUlT_T0_E_clISt17integral_constantIbLb0EESV_IbLb1EEEEDaSR_SS_EUlSR_E0_NS1_11comp_targetILNS1_3genE4ELNS1_11target_archE910ELNS1_3gpuE8ELNS1_3repE0EEENS1_30default_config_static_selectorELNS0_4arch9wavefront6targetE1EEEvT1_,@function
_ZN7rocprim17ROCPRIM_400000_NS6detail17trampoline_kernelINS0_14default_configENS1_20scan_config_selectorIiEEZZNS1_9scan_implILNS1_25lookback_scan_determinismE0ELb0ELb0ES3_N6thrust23THRUST_200600_302600_NS6detail15normal_iteratorINS9_10device_ptrIiEEEENSB_INSC_IfEEEEiNS9_4plusIvEEiEEDaPvRmT3_T4_T5_mT6_P12ihipStream_tbENKUlT_T0_E_clISt17integral_constantIbLb0EESV_IbLb1EEEEDaSR_SS_EUlSR_E0_NS1_11comp_targetILNS1_3genE4ELNS1_11target_archE910ELNS1_3gpuE8ELNS1_3repE0EEENS1_30default_config_static_selectorELNS0_4arch9wavefront6targetE1EEEvT1_: ; @_ZN7rocprim17ROCPRIM_400000_NS6detail17trampoline_kernelINS0_14default_configENS1_20scan_config_selectorIiEEZZNS1_9scan_implILNS1_25lookback_scan_determinismE0ELb0ELb0ES3_N6thrust23THRUST_200600_302600_NS6detail15normal_iteratorINS9_10device_ptrIiEEEENSB_INSC_IfEEEEiNS9_4plusIvEEiEEDaPvRmT3_T4_T5_mT6_P12ihipStream_tbENKUlT_T0_E_clISt17integral_constantIbLb0EESV_IbLb1EEEEDaSR_SS_EUlSR_E0_NS1_11comp_targetILNS1_3genE4ELNS1_11target_archE910ELNS1_3gpuE8ELNS1_3repE0EEENS1_30default_config_static_selectorELNS0_4arch9wavefront6targetE1EEEvT1_
; %bb.0:
	s_load_dwordx4 s[20:23], s[4:5], 0x0
	v_lshlrev_b32_e32 v20, 2, v0
	s_waitcnt lgkmcnt(0)
	s_load_dword s23, s[20:21], 0x0
	v_cmp_gt_u32_e32 vcc, s22, v0
	s_waitcnt lgkmcnt(0)
	v_mov_b32_e32 v1, s23
	s_and_saveexec_b64 s[0:1], vcc
	s_cbranch_execz .LBB1706_2
; %bb.1:
	global_load_dword v1, v20, s[20:21]
.LBB1706_2:
	s_or_b64 exec, exec, s[0:1]
	v_or_b32_e32 v2, 0x80, v0
	v_cmp_gt_u32_e64 s[0:1], s22, v2
	v_mov_b32_e32 v2, s23
	s_and_saveexec_b64 s[2:3], s[0:1]
	s_cbranch_execz .LBB1706_4
; %bb.3:
	global_load_dword v2, v20, s[20:21] offset:512
.LBB1706_4:
	s_or_b64 exec, exec, s[2:3]
	v_or_b32_e32 v3, 0x100, v0
	v_cmp_gt_u32_e64 s[2:3], s22, v3
	v_mov_b32_e32 v3, s23
	s_and_saveexec_b64 s[6:7], s[2:3]
	s_cbranch_execz .LBB1706_6
; %bb.5:
	global_load_dword v3, v20, s[20:21] offset:1024
.LBB1706_6:
	;; [unrolled: 9-line block ×7, first 2 shown]
	s_or_b64 exec, exec, s[14:15]
	v_or_b32_e32 v10, 0x400, v0
	v_cmp_gt_u32_e64 s[14:15], s22, v10
	v_mov_b32_e32 v9, s23
	s_and_saveexec_b64 s[16:17], s[14:15]
	s_cbranch_execz .LBB1706_18
; %bb.17:
	v_lshlrev_b32_e32 v9, 2, v10
	global_load_dword v9, v9, s[20:21]
.LBB1706_18:
	s_or_b64 exec, exec, s[16:17]
	v_or_b32_e32 v11, 0x480, v0
	v_cmp_gt_u32_e64 s[16:17], s22, v11
	v_mov_b32_e32 v10, s23
	s_and_saveexec_b64 s[22:23], s[16:17]
	s_cbranch_execz .LBB1706_20
; %bb.19:
	v_lshlrev_b32_e32 v10, 2, v11
	global_load_dword v10, v10, s[20:21]
.LBB1706_20:
	s_or_b64 exec, exec, s[22:23]
	s_waitcnt vmcnt(0)
	ds_write2st64_b32 v20, v1, v2 offset1:2
	ds_write2st64_b32 v20, v3, v4 offset0:4 offset1:6
	ds_write2st64_b32 v20, v5, v6 offset0:8 offset1:10
	;; [unrolled: 1-line block ×4, first 2 shown]
	v_mad_u32_u24 v1, v0, 36, v20
	s_waitcnt lgkmcnt(0)
	s_barrier
	ds_read2_b64 v[6:9], v1 offset1:1
	ds_read2_b64 v[2:5], v1 offset0:2 offset1:3
	ds_read_b64 v[18:19], v1 offset:32
	v_lshrrev_b32_e32 v21, 3, v0
	v_and_b32_e32 v21, 12, v21
	s_waitcnt lgkmcnt(2)
	v_add_u32_e32 v1, v7, v6
	v_add_u32_e32 v14, v1, v8
	;; [unrolled: 1-line block ×3, first 2 shown]
	s_waitcnt lgkmcnt(1)
	v_add_u32_e32 v10, v15, v2
	v_add_u32_e32 v11, v10, v3
	;; [unrolled: 1-line block ×4, first 2 shown]
	s_waitcnt lgkmcnt(0)
	v_add_u32_e32 v16, v13, v18
	v_add_u32_e32 v17, v16, v19
	;; [unrolled: 1-line block ×3, first 2 shown]
	v_cmp_gt_u32_e64 s[20:21], 64, v0
	s_barrier
	ds_write_b32 v21, v17
	s_waitcnt lgkmcnt(0)
	s_barrier
	s_and_saveexec_b64 s[22:23], s[20:21]
	s_cbranch_execz .LBB1706_22
; %bb.21:
	v_lshlrev_b32_e32 v21, 1, v0
	v_lshrrev_b32_e32 v22, 4, v0
	v_add_lshl_u32 v21, v22, v21, 2
	ds_read2_b32 v[22:23], v21 offset1:1
	v_mbcnt_lo_u32_b32 v24, -1, 0
	v_mbcnt_hi_u32_b32 v24, -1, v24
	v_and_b32_e32 v25, 15, v24
	v_cmp_ne_u32_e64 s[20:21], 0, v25
	s_waitcnt lgkmcnt(0)
	v_add_u32_e32 v23, v23, v22
	; wave barrier
	s_nop 1
	v_mov_b32_dpp v26, v23 row_shr:1 row_mask:0xf bank_mask:0xf
	v_cndmask_b32_e64 v26, 0, v26, s[20:21]
	v_add_u32_e32 v23, v26, v23
	v_cmp_lt_u32_e64 s[20:21], 1, v25
	s_nop 0
	v_mov_b32_dpp v26, v23 row_shr:2 row_mask:0xf bank_mask:0xf
	v_cndmask_b32_e64 v26, 0, v26, s[20:21]
	v_add_u32_e32 v23, v23, v26
	v_cmp_lt_u32_e64 s[20:21], 3, v25
	s_nop 0
	v_mov_b32_dpp v26, v23 row_shr:4 row_mask:0xf bank_mask:0xf
	v_cndmask_b32_e64 v26, 0, v26, s[20:21]
	v_add_u32_e32 v23, v23, v26
	v_cmp_lt_u32_e64 s[20:21], 7, v25
	s_nop 0
	v_mov_b32_dpp v26, v23 row_shr:8 row_mask:0xf bank_mask:0xf
	v_cndmask_b32_e64 v25, 0, v26, s[20:21]
	v_add_u32_e32 v23, v23, v25
	v_bfe_i32 v26, v24, 4, 1
	v_cmp_lt_u32_e64 s[20:21], 31, v24
	v_mov_b32_dpp v25, v23 row_bcast:15 row_mask:0xf bank_mask:0xf
	v_and_b32_e32 v25, v26, v25
	v_add_u32_e32 v23, v23, v25
	v_and_b32_e32 v26, 64, v24
	s_nop 0
	v_mov_b32_dpp v25, v23 row_bcast:31 row_mask:0xf bank_mask:0xf
	v_cndmask_b32_e64 v25, 0, v25, s[20:21]
	v_add_u32_e32 v23, v23, v25
	v_add_u32_e32 v25, -1, v24
	v_cmp_lt_i32_e64 s[20:21], v25, v26
	v_cndmask_b32_e64 v24, v25, v24, s[20:21]
	v_lshlrev_b32_e32 v24, 2, v24
	ds_bpermute_b32 v23, v24, v23
	v_cmp_eq_u32_e64 s[20:21], 0, v0
	s_waitcnt lgkmcnt(0)
	v_add_u32_e32 v22, v23, v22
	v_cndmask_b32_e64 v22, v22, v17, s[20:21]
	ds_write_b32 v21, v22
	; wave barrier
	ds_read_b32 v23, v21 offset:4
	s_waitcnt lgkmcnt(0)
	v_add_u32_e32 v22, v23, v22
	ds_write_b32 v21, v22 offset:4
.LBB1706_22:
	s_or_b64 exec, exec, s[22:23]
	s_load_dwordx2 s[20:21], s[4:5], 0x18
	v_cmp_ne_u32_e64 s[4:5], 0, v0
	v_mov_b32_e32 v22, v17
	s_waitcnt lgkmcnt(0)
	s_barrier
	s_and_saveexec_b64 s[22:23], s[4:5]
	s_cbranch_execz .LBB1706_24
; %bb.23:
	v_add_u32_e32 v21, -1, v0
	v_lshrrev_b32_e32 v22, 5, v21
	v_add_lshl_u32 v21, v22, v21, 2
	ds_read_b32 v22, v21
.LBB1706_24:
	s_or_b64 exec, exec, s[22:23]
	v_mul_u32_u24_e32 v21, 36, v0
	v_mov_b32_e32 v0, v6
	s_and_saveexec_b64 s[22:23], s[4:5]
	s_cbranch_execz .LBB1706_26
; %bb.25:
	s_waitcnt lgkmcnt(0)
	v_add_u32_e32 v0, v22, v6
	v_add_u32_e32 v1, v0, v7
	;; [unrolled: 1-line block ×10, first 2 shown]
	;;#ASMSTART
	;;#ASMEND
.LBB1706_26:
	s_or_b64 exec, exec, s[22:23]
	v_add_u32_e32 v2, v20, v21
	s_waitcnt lgkmcnt(0)
	s_barrier
	ds_write2_b64 v2, v[0:1], v[14:15] offset1:1
	ds_write2_b64 v2, v[10:11], v[12:13] offset0:2 offset1:3
	ds_write_b64 v2, v[16:17] offset:32
	s_waitcnt lgkmcnt(0)
	s_barrier
	ds_read2st64_b32 v[8:9], v20 offset0:2 offset1:4
	ds_read2st64_b32 v[6:7], v20 offset0:6 offset1:8
	;; [unrolled: 1-line block ×4, first 2 shown]
	ds_read_b32 v10, v20 offset:4608
	v_mov_b32_e32 v1, s21
	v_add_co_u32_e64 v0, s[4:5], s20, v20
	v_addc_co_u32_e64 v1, s[4:5], 0, v1, s[4:5]
	s_and_saveexec_b64 s[4:5], vcc
	s_cbranch_execnz .LBB1706_37
; %bb.27:
	s_or_b64 exec, exec, s[4:5]
	s_and_saveexec_b64 s[4:5], s[0:1]
	s_cbranch_execnz .LBB1706_38
.LBB1706_28:
	s_or_b64 exec, exec, s[4:5]
	s_and_saveexec_b64 s[0:1], s[2:3]
	s_cbranch_execnz .LBB1706_39
.LBB1706_29:
	s_or_b64 exec, exec, s[0:1]
	s_and_saveexec_b64 s[0:1], s[18:19]
	s_cbranch_execnz .LBB1706_40
.LBB1706_30:
	s_or_b64 exec, exec, s[0:1]
	s_and_saveexec_b64 s[0:1], s[6:7]
	s_cbranch_execnz .LBB1706_41
.LBB1706_31:
	s_or_b64 exec, exec, s[0:1]
	s_and_saveexec_b64 s[0:1], s[8:9]
	s_cbranch_execnz .LBB1706_42
.LBB1706_32:
	s_or_b64 exec, exec, s[0:1]
	s_and_saveexec_b64 s[0:1], s[10:11]
	s_cbranch_execnz .LBB1706_43
.LBB1706_33:
	s_or_b64 exec, exec, s[0:1]
	s_and_saveexec_b64 s[0:1], s[12:13]
	s_cbranch_execnz .LBB1706_44
.LBB1706_34:
	s_or_b64 exec, exec, s[0:1]
	s_and_saveexec_b64 s[0:1], s[14:15]
	s_cbranch_execnz .LBB1706_45
.LBB1706_35:
	s_or_b64 exec, exec, s[0:1]
	s_and_saveexec_b64 s[0:1], s[16:17]
	s_cbranch_execnz .LBB1706_46
.LBB1706_36:
	s_endpgm
.LBB1706_37:
	ds_read_b32 v11, v20
	s_waitcnt lgkmcnt(0)
	v_cvt_f32_i32_e32 v11, v11
	global_store_dword v[0:1], v11, off
	s_or_b64 exec, exec, s[4:5]
	s_and_saveexec_b64 s[4:5], s[0:1]
	s_cbranch_execz .LBB1706_28
.LBB1706_38:
	s_waitcnt lgkmcnt(4)
	v_cvt_f32_i32_e32 v8, v8
	global_store_dword v[0:1], v8, off offset:512
	s_or_b64 exec, exec, s[4:5]
	s_and_saveexec_b64 s[0:1], s[2:3]
	s_cbranch_execz .LBB1706_29
.LBB1706_39:
	s_waitcnt lgkmcnt(4)
	v_cvt_f32_i32_e32 v8, v9
	global_store_dword v[0:1], v8, off offset:1024
	s_or_b64 exec, exec, s[0:1]
	s_and_saveexec_b64 s[0:1], s[18:19]
	s_cbranch_execz .LBB1706_30
.LBB1706_40:
	s_waitcnt lgkmcnt(3)
	v_cvt_f32_i32_e32 v6, v6
	global_store_dword v[0:1], v6, off offset:1536
	s_or_b64 exec, exec, s[0:1]
	s_and_saveexec_b64 s[0:1], s[6:7]
	s_cbranch_execz .LBB1706_31
.LBB1706_41:
	s_waitcnt lgkmcnt(3)
	v_cvt_f32_i32_e32 v6, v7
	global_store_dword v[0:1], v6, off offset:2048
	s_or_b64 exec, exec, s[0:1]
	s_and_saveexec_b64 s[0:1], s[8:9]
	s_cbranch_execz .LBB1706_32
.LBB1706_42:
	s_waitcnt lgkmcnt(2)
	v_cvt_f32_i32_e32 v4, v4
	global_store_dword v[0:1], v4, off offset:2560
	s_or_b64 exec, exec, s[0:1]
	s_and_saveexec_b64 s[0:1], s[10:11]
	s_cbranch_execz .LBB1706_33
.LBB1706_43:
	s_waitcnt lgkmcnt(2)
	v_cvt_f32_i32_e32 v4, v5
	global_store_dword v[0:1], v4, off offset:3072
	s_or_b64 exec, exec, s[0:1]
	s_and_saveexec_b64 s[0:1], s[12:13]
	s_cbranch_execz .LBB1706_34
.LBB1706_44:
	s_waitcnt lgkmcnt(1)
	v_cvt_f32_i32_e32 v2, v2
	global_store_dword v[0:1], v2, off offset:3584
	s_or_b64 exec, exec, s[0:1]
	s_and_saveexec_b64 s[0:1], s[14:15]
	s_cbranch_execz .LBB1706_35
.LBB1706_45:
	s_waitcnt lgkmcnt(1)
	v_cvt_f32_i32_e32 v4, v3
	v_add_co_u32_e32 v2, vcc, 0x1000, v0
	v_addc_co_u32_e32 v3, vcc, 0, v1, vcc
	global_store_dword v[2:3], v4, off
	s_or_b64 exec, exec, s[0:1]
	s_and_saveexec_b64 s[0:1], s[16:17]
	s_cbranch_execz .LBB1706_36
.LBB1706_46:
	s_waitcnt lgkmcnt(0)
	v_cvt_f32_i32_e32 v2, v10
	v_add_co_u32_e32 v0, vcc, 0x1000, v0
	v_addc_co_u32_e32 v1, vcc, 0, v1, vcc
	global_store_dword v[0:1], v2, off offset:512
	s_endpgm
	.section	.rodata,"a",@progbits
	.p2align	6, 0x0
	.amdhsa_kernel _ZN7rocprim17ROCPRIM_400000_NS6detail17trampoline_kernelINS0_14default_configENS1_20scan_config_selectorIiEEZZNS1_9scan_implILNS1_25lookback_scan_determinismE0ELb0ELb0ES3_N6thrust23THRUST_200600_302600_NS6detail15normal_iteratorINS9_10device_ptrIiEEEENSB_INSC_IfEEEEiNS9_4plusIvEEiEEDaPvRmT3_T4_T5_mT6_P12ihipStream_tbENKUlT_T0_E_clISt17integral_constantIbLb0EESV_IbLb1EEEEDaSR_SS_EUlSR_E0_NS1_11comp_targetILNS1_3genE4ELNS1_11target_archE910ELNS1_3gpuE8ELNS1_3repE0EEENS1_30default_config_static_selectorELNS0_4arch9wavefront6targetE1EEEvT1_
		.amdhsa_group_segment_fixed_size 5120
		.amdhsa_private_segment_fixed_size 0
		.amdhsa_kernarg_size 32
		.amdhsa_user_sgpr_count 6
		.amdhsa_user_sgpr_private_segment_buffer 1
		.amdhsa_user_sgpr_dispatch_ptr 0
		.amdhsa_user_sgpr_queue_ptr 0
		.amdhsa_user_sgpr_kernarg_segment_ptr 1
		.amdhsa_user_sgpr_dispatch_id 0
		.amdhsa_user_sgpr_flat_scratch_init 0
		.amdhsa_user_sgpr_kernarg_preload_length 0
		.amdhsa_user_sgpr_kernarg_preload_offset 0
		.amdhsa_user_sgpr_private_segment_size 0
		.amdhsa_uses_dynamic_stack 0
		.amdhsa_system_sgpr_private_segment_wavefront_offset 0
		.amdhsa_system_sgpr_workgroup_id_x 1
		.amdhsa_system_sgpr_workgroup_id_y 0
		.amdhsa_system_sgpr_workgroup_id_z 0
		.amdhsa_system_sgpr_workgroup_info 0
		.amdhsa_system_vgpr_workitem_id 0
		.amdhsa_next_free_vgpr 27
		.amdhsa_next_free_sgpr 24
		.amdhsa_accum_offset 28
		.amdhsa_reserve_vcc 1
		.amdhsa_reserve_flat_scratch 0
		.amdhsa_float_round_mode_32 0
		.amdhsa_float_round_mode_16_64 0
		.amdhsa_float_denorm_mode_32 3
		.amdhsa_float_denorm_mode_16_64 3
		.amdhsa_dx10_clamp 1
		.amdhsa_ieee_mode 1
		.amdhsa_fp16_overflow 0
		.amdhsa_tg_split 0
		.amdhsa_exception_fp_ieee_invalid_op 0
		.amdhsa_exception_fp_denorm_src 0
		.amdhsa_exception_fp_ieee_div_zero 0
		.amdhsa_exception_fp_ieee_overflow 0
		.amdhsa_exception_fp_ieee_underflow 0
		.amdhsa_exception_fp_ieee_inexact 0
		.amdhsa_exception_int_div_zero 0
	.end_amdhsa_kernel
	.section	.text._ZN7rocprim17ROCPRIM_400000_NS6detail17trampoline_kernelINS0_14default_configENS1_20scan_config_selectorIiEEZZNS1_9scan_implILNS1_25lookback_scan_determinismE0ELb0ELb0ES3_N6thrust23THRUST_200600_302600_NS6detail15normal_iteratorINS9_10device_ptrIiEEEENSB_INSC_IfEEEEiNS9_4plusIvEEiEEDaPvRmT3_T4_T5_mT6_P12ihipStream_tbENKUlT_T0_E_clISt17integral_constantIbLb0EESV_IbLb1EEEEDaSR_SS_EUlSR_E0_NS1_11comp_targetILNS1_3genE4ELNS1_11target_archE910ELNS1_3gpuE8ELNS1_3repE0EEENS1_30default_config_static_selectorELNS0_4arch9wavefront6targetE1EEEvT1_,"axG",@progbits,_ZN7rocprim17ROCPRIM_400000_NS6detail17trampoline_kernelINS0_14default_configENS1_20scan_config_selectorIiEEZZNS1_9scan_implILNS1_25lookback_scan_determinismE0ELb0ELb0ES3_N6thrust23THRUST_200600_302600_NS6detail15normal_iteratorINS9_10device_ptrIiEEEENSB_INSC_IfEEEEiNS9_4plusIvEEiEEDaPvRmT3_T4_T5_mT6_P12ihipStream_tbENKUlT_T0_E_clISt17integral_constantIbLb0EESV_IbLb1EEEEDaSR_SS_EUlSR_E0_NS1_11comp_targetILNS1_3genE4ELNS1_11target_archE910ELNS1_3gpuE8ELNS1_3repE0EEENS1_30default_config_static_selectorELNS0_4arch9wavefront6targetE1EEEvT1_,comdat
.Lfunc_end1706:
	.size	_ZN7rocprim17ROCPRIM_400000_NS6detail17trampoline_kernelINS0_14default_configENS1_20scan_config_selectorIiEEZZNS1_9scan_implILNS1_25lookback_scan_determinismE0ELb0ELb0ES3_N6thrust23THRUST_200600_302600_NS6detail15normal_iteratorINS9_10device_ptrIiEEEENSB_INSC_IfEEEEiNS9_4plusIvEEiEEDaPvRmT3_T4_T5_mT6_P12ihipStream_tbENKUlT_T0_E_clISt17integral_constantIbLb0EESV_IbLb1EEEEDaSR_SS_EUlSR_E0_NS1_11comp_targetILNS1_3genE4ELNS1_11target_archE910ELNS1_3gpuE8ELNS1_3repE0EEENS1_30default_config_static_selectorELNS0_4arch9wavefront6targetE1EEEvT1_, .Lfunc_end1706-_ZN7rocprim17ROCPRIM_400000_NS6detail17trampoline_kernelINS0_14default_configENS1_20scan_config_selectorIiEEZZNS1_9scan_implILNS1_25lookback_scan_determinismE0ELb0ELb0ES3_N6thrust23THRUST_200600_302600_NS6detail15normal_iteratorINS9_10device_ptrIiEEEENSB_INSC_IfEEEEiNS9_4plusIvEEiEEDaPvRmT3_T4_T5_mT6_P12ihipStream_tbENKUlT_T0_E_clISt17integral_constantIbLb0EESV_IbLb1EEEEDaSR_SS_EUlSR_E0_NS1_11comp_targetILNS1_3genE4ELNS1_11target_archE910ELNS1_3gpuE8ELNS1_3repE0EEENS1_30default_config_static_selectorELNS0_4arch9wavefront6targetE1EEEvT1_
                                        ; -- End function
	.section	.AMDGPU.csdata,"",@progbits
; Kernel info:
; codeLenInByte = 1592
; NumSgprs: 28
; NumVgprs: 27
; NumAgprs: 0
; TotalNumVgprs: 27
; ScratchSize: 0
; MemoryBound: 0
; FloatMode: 240
; IeeeMode: 1
; LDSByteSize: 5120 bytes/workgroup (compile time only)
; SGPRBlocks: 3
; VGPRBlocks: 3
; NumSGPRsForWavesPerEU: 28
; NumVGPRsForWavesPerEU: 27
; AccumOffset: 28
; Occupancy: 6
; WaveLimiterHint : 0
; COMPUTE_PGM_RSRC2:SCRATCH_EN: 0
; COMPUTE_PGM_RSRC2:USER_SGPR: 6
; COMPUTE_PGM_RSRC2:TRAP_HANDLER: 0
; COMPUTE_PGM_RSRC2:TGID_X_EN: 1
; COMPUTE_PGM_RSRC2:TGID_Y_EN: 0
; COMPUTE_PGM_RSRC2:TGID_Z_EN: 0
; COMPUTE_PGM_RSRC2:TIDIG_COMP_CNT: 0
; COMPUTE_PGM_RSRC3_GFX90A:ACCUM_OFFSET: 6
; COMPUTE_PGM_RSRC3_GFX90A:TG_SPLIT: 0
	.section	.text._ZN7rocprim17ROCPRIM_400000_NS6detail17trampoline_kernelINS0_14default_configENS1_20scan_config_selectorIiEEZZNS1_9scan_implILNS1_25lookback_scan_determinismE0ELb0ELb0ES3_N6thrust23THRUST_200600_302600_NS6detail15normal_iteratorINS9_10device_ptrIiEEEENSB_INSC_IfEEEEiNS9_4plusIvEEiEEDaPvRmT3_T4_T5_mT6_P12ihipStream_tbENKUlT_T0_E_clISt17integral_constantIbLb0EESV_IbLb1EEEEDaSR_SS_EUlSR_E0_NS1_11comp_targetILNS1_3genE3ELNS1_11target_archE908ELNS1_3gpuE7ELNS1_3repE0EEENS1_30default_config_static_selectorELNS0_4arch9wavefront6targetE1EEEvT1_,"axG",@progbits,_ZN7rocprim17ROCPRIM_400000_NS6detail17trampoline_kernelINS0_14default_configENS1_20scan_config_selectorIiEEZZNS1_9scan_implILNS1_25lookback_scan_determinismE0ELb0ELb0ES3_N6thrust23THRUST_200600_302600_NS6detail15normal_iteratorINS9_10device_ptrIiEEEENSB_INSC_IfEEEEiNS9_4plusIvEEiEEDaPvRmT3_T4_T5_mT6_P12ihipStream_tbENKUlT_T0_E_clISt17integral_constantIbLb0EESV_IbLb1EEEEDaSR_SS_EUlSR_E0_NS1_11comp_targetILNS1_3genE3ELNS1_11target_archE908ELNS1_3gpuE7ELNS1_3repE0EEENS1_30default_config_static_selectorELNS0_4arch9wavefront6targetE1EEEvT1_,comdat
	.protected	_ZN7rocprim17ROCPRIM_400000_NS6detail17trampoline_kernelINS0_14default_configENS1_20scan_config_selectorIiEEZZNS1_9scan_implILNS1_25lookback_scan_determinismE0ELb0ELb0ES3_N6thrust23THRUST_200600_302600_NS6detail15normal_iteratorINS9_10device_ptrIiEEEENSB_INSC_IfEEEEiNS9_4plusIvEEiEEDaPvRmT3_T4_T5_mT6_P12ihipStream_tbENKUlT_T0_E_clISt17integral_constantIbLb0EESV_IbLb1EEEEDaSR_SS_EUlSR_E0_NS1_11comp_targetILNS1_3genE3ELNS1_11target_archE908ELNS1_3gpuE7ELNS1_3repE0EEENS1_30default_config_static_selectorELNS0_4arch9wavefront6targetE1EEEvT1_ ; -- Begin function _ZN7rocprim17ROCPRIM_400000_NS6detail17trampoline_kernelINS0_14default_configENS1_20scan_config_selectorIiEEZZNS1_9scan_implILNS1_25lookback_scan_determinismE0ELb0ELb0ES3_N6thrust23THRUST_200600_302600_NS6detail15normal_iteratorINS9_10device_ptrIiEEEENSB_INSC_IfEEEEiNS9_4plusIvEEiEEDaPvRmT3_T4_T5_mT6_P12ihipStream_tbENKUlT_T0_E_clISt17integral_constantIbLb0EESV_IbLb1EEEEDaSR_SS_EUlSR_E0_NS1_11comp_targetILNS1_3genE3ELNS1_11target_archE908ELNS1_3gpuE7ELNS1_3repE0EEENS1_30default_config_static_selectorELNS0_4arch9wavefront6targetE1EEEvT1_
	.globl	_ZN7rocprim17ROCPRIM_400000_NS6detail17trampoline_kernelINS0_14default_configENS1_20scan_config_selectorIiEEZZNS1_9scan_implILNS1_25lookback_scan_determinismE0ELb0ELb0ES3_N6thrust23THRUST_200600_302600_NS6detail15normal_iteratorINS9_10device_ptrIiEEEENSB_INSC_IfEEEEiNS9_4plusIvEEiEEDaPvRmT3_T4_T5_mT6_P12ihipStream_tbENKUlT_T0_E_clISt17integral_constantIbLb0EESV_IbLb1EEEEDaSR_SS_EUlSR_E0_NS1_11comp_targetILNS1_3genE3ELNS1_11target_archE908ELNS1_3gpuE7ELNS1_3repE0EEENS1_30default_config_static_selectorELNS0_4arch9wavefront6targetE1EEEvT1_
	.p2align	8
	.type	_ZN7rocprim17ROCPRIM_400000_NS6detail17trampoline_kernelINS0_14default_configENS1_20scan_config_selectorIiEEZZNS1_9scan_implILNS1_25lookback_scan_determinismE0ELb0ELb0ES3_N6thrust23THRUST_200600_302600_NS6detail15normal_iteratorINS9_10device_ptrIiEEEENSB_INSC_IfEEEEiNS9_4plusIvEEiEEDaPvRmT3_T4_T5_mT6_P12ihipStream_tbENKUlT_T0_E_clISt17integral_constantIbLb0EESV_IbLb1EEEEDaSR_SS_EUlSR_E0_NS1_11comp_targetILNS1_3genE3ELNS1_11target_archE908ELNS1_3gpuE7ELNS1_3repE0EEENS1_30default_config_static_selectorELNS0_4arch9wavefront6targetE1EEEvT1_,@function
_ZN7rocprim17ROCPRIM_400000_NS6detail17trampoline_kernelINS0_14default_configENS1_20scan_config_selectorIiEEZZNS1_9scan_implILNS1_25lookback_scan_determinismE0ELb0ELb0ES3_N6thrust23THRUST_200600_302600_NS6detail15normal_iteratorINS9_10device_ptrIiEEEENSB_INSC_IfEEEEiNS9_4plusIvEEiEEDaPvRmT3_T4_T5_mT6_P12ihipStream_tbENKUlT_T0_E_clISt17integral_constantIbLb0EESV_IbLb1EEEEDaSR_SS_EUlSR_E0_NS1_11comp_targetILNS1_3genE3ELNS1_11target_archE908ELNS1_3gpuE7ELNS1_3repE0EEENS1_30default_config_static_selectorELNS0_4arch9wavefront6targetE1EEEvT1_: ; @_ZN7rocprim17ROCPRIM_400000_NS6detail17trampoline_kernelINS0_14default_configENS1_20scan_config_selectorIiEEZZNS1_9scan_implILNS1_25lookback_scan_determinismE0ELb0ELb0ES3_N6thrust23THRUST_200600_302600_NS6detail15normal_iteratorINS9_10device_ptrIiEEEENSB_INSC_IfEEEEiNS9_4plusIvEEiEEDaPvRmT3_T4_T5_mT6_P12ihipStream_tbENKUlT_T0_E_clISt17integral_constantIbLb0EESV_IbLb1EEEEDaSR_SS_EUlSR_E0_NS1_11comp_targetILNS1_3genE3ELNS1_11target_archE908ELNS1_3gpuE7ELNS1_3repE0EEENS1_30default_config_static_selectorELNS0_4arch9wavefront6targetE1EEEvT1_
; %bb.0:
	.section	.rodata,"a",@progbits
	.p2align	6, 0x0
	.amdhsa_kernel _ZN7rocprim17ROCPRIM_400000_NS6detail17trampoline_kernelINS0_14default_configENS1_20scan_config_selectorIiEEZZNS1_9scan_implILNS1_25lookback_scan_determinismE0ELb0ELb0ES3_N6thrust23THRUST_200600_302600_NS6detail15normal_iteratorINS9_10device_ptrIiEEEENSB_INSC_IfEEEEiNS9_4plusIvEEiEEDaPvRmT3_T4_T5_mT6_P12ihipStream_tbENKUlT_T0_E_clISt17integral_constantIbLb0EESV_IbLb1EEEEDaSR_SS_EUlSR_E0_NS1_11comp_targetILNS1_3genE3ELNS1_11target_archE908ELNS1_3gpuE7ELNS1_3repE0EEENS1_30default_config_static_selectorELNS0_4arch9wavefront6targetE1EEEvT1_
		.amdhsa_group_segment_fixed_size 0
		.amdhsa_private_segment_fixed_size 0
		.amdhsa_kernarg_size 32
		.amdhsa_user_sgpr_count 6
		.amdhsa_user_sgpr_private_segment_buffer 1
		.amdhsa_user_sgpr_dispatch_ptr 0
		.amdhsa_user_sgpr_queue_ptr 0
		.amdhsa_user_sgpr_kernarg_segment_ptr 1
		.amdhsa_user_sgpr_dispatch_id 0
		.amdhsa_user_sgpr_flat_scratch_init 0
		.amdhsa_user_sgpr_kernarg_preload_length 0
		.amdhsa_user_sgpr_kernarg_preload_offset 0
		.amdhsa_user_sgpr_private_segment_size 0
		.amdhsa_uses_dynamic_stack 0
		.amdhsa_system_sgpr_private_segment_wavefront_offset 0
		.amdhsa_system_sgpr_workgroup_id_x 1
		.amdhsa_system_sgpr_workgroup_id_y 0
		.amdhsa_system_sgpr_workgroup_id_z 0
		.amdhsa_system_sgpr_workgroup_info 0
		.amdhsa_system_vgpr_workitem_id 0
		.amdhsa_next_free_vgpr 1
		.amdhsa_next_free_sgpr 0
		.amdhsa_accum_offset 4
		.amdhsa_reserve_vcc 0
		.amdhsa_reserve_flat_scratch 0
		.amdhsa_float_round_mode_32 0
		.amdhsa_float_round_mode_16_64 0
		.amdhsa_float_denorm_mode_32 3
		.amdhsa_float_denorm_mode_16_64 3
		.amdhsa_dx10_clamp 1
		.amdhsa_ieee_mode 1
		.amdhsa_fp16_overflow 0
		.amdhsa_tg_split 0
		.amdhsa_exception_fp_ieee_invalid_op 0
		.amdhsa_exception_fp_denorm_src 0
		.amdhsa_exception_fp_ieee_div_zero 0
		.amdhsa_exception_fp_ieee_overflow 0
		.amdhsa_exception_fp_ieee_underflow 0
		.amdhsa_exception_fp_ieee_inexact 0
		.amdhsa_exception_int_div_zero 0
	.end_amdhsa_kernel
	.section	.text._ZN7rocprim17ROCPRIM_400000_NS6detail17trampoline_kernelINS0_14default_configENS1_20scan_config_selectorIiEEZZNS1_9scan_implILNS1_25lookback_scan_determinismE0ELb0ELb0ES3_N6thrust23THRUST_200600_302600_NS6detail15normal_iteratorINS9_10device_ptrIiEEEENSB_INSC_IfEEEEiNS9_4plusIvEEiEEDaPvRmT3_T4_T5_mT6_P12ihipStream_tbENKUlT_T0_E_clISt17integral_constantIbLb0EESV_IbLb1EEEEDaSR_SS_EUlSR_E0_NS1_11comp_targetILNS1_3genE3ELNS1_11target_archE908ELNS1_3gpuE7ELNS1_3repE0EEENS1_30default_config_static_selectorELNS0_4arch9wavefront6targetE1EEEvT1_,"axG",@progbits,_ZN7rocprim17ROCPRIM_400000_NS6detail17trampoline_kernelINS0_14default_configENS1_20scan_config_selectorIiEEZZNS1_9scan_implILNS1_25lookback_scan_determinismE0ELb0ELb0ES3_N6thrust23THRUST_200600_302600_NS6detail15normal_iteratorINS9_10device_ptrIiEEEENSB_INSC_IfEEEEiNS9_4plusIvEEiEEDaPvRmT3_T4_T5_mT6_P12ihipStream_tbENKUlT_T0_E_clISt17integral_constantIbLb0EESV_IbLb1EEEEDaSR_SS_EUlSR_E0_NS1_11comp_targetILNS1_3genE3ELNS1_11target_archE908ELNS1_3gpuE7ELNS1_3repE0EEENS1_30default_config_static_selectorELNS0_4arch9wavefront6targetE1EEEvT1_,comdat
.Lfunc_end1707:
	.size	_ZN7rocprim17ROCPRIM_400000_NS6detail17trampoline_kernelINS0_14default_configENS1_20scan_config_selectorIiEEZZNS1_9scan_implILNS1_25lookback_scan_determinismE0ELb0ELb0ES3_N6thrust23THRUST_200600_302600_NS6detail15normal_iteratorINS9_10device_ptrIiEEEENSB_INSC_IfEEEEiNS9_4plusIvEEiEEDaPvRmT3_T4_T5_mT6_P12ihipStream_tbENKUlT_T0_E_clISt17integral_constantIbLb0EESV_IbLb1EEEEDaSR_SS_EUlSR_E0_NS1_11comp_targetILNS1_3genE3ELNS1_11target_archE908ELNS1_3gpuE7ELNS1_3repE0EEENS1_30default_config_static_selectorELNS0_4arch9wavefront6targetE1EEEvT1_, .Lfunc_end1707-_ZN7rocprim17ROCPRIM_400000_NS6detail17trampoline_kernelINS0_14default_configENS1_20scan_config_selectorIiEEZZNS1_9scan_implILNS1_25lookback_scan_determinismE0ELb0ELb0ES3_N6thrust23THRUST_200600_302600_NS6detail15normal_iteratorINS9_10device_ptrIiEEEENSB_INSC_IfEEEEiNS9_4plusIvEEiEEDaPvRmT3_T4_T5_mT6_P12ihipStream_tbENKUlT_T0_E_clISt17integral_constantIbLb0EESV_IbLb1EEEEDaSR_SS_EUlSR_E0_NS1_11comp_targetILNS1_3genE3ELNS1_11target_archE908ELNS1_3gpuE7ELNS1_3repE0EEENS1_30default_config_static_selectorELNS0_4arch9wavefront6targetE1EEEvT1_
                                        ; -- End function
	.section	.AMDGPU.csdata,"",@progbits
; Kernel info:
; codeLenInByte = 0
; NumSgprs: 4
; NumVgprs: 0
; NumAgprs: 0
; TotalNumVgprs: 0
; ScratchSize: 0
; MemoryBound: 0
; FloatMode: 240
; IeeeMode: 1
; LDSByteSize: 0 bytes/workgroup (compile time only)
; SGPRBlocks: 0
; VGPRBlocks: 0
; NumSGPRsForWavesPerEU: 4
; NumVGPRsForWavesPerEU: 1
; AccumOffset: 4
; Occupancy: 8
; WaveLimiterHint : 0
; COMPUTE_PGM_RSRC2:SCRATCH_EN: 0
; COMPUTE_PGM_RSRC2:USER_SGPR: 6
; COMPUTE_PGM_RSRC2:TRAP_HANDLER: 0
; COMPUTE_PGM_RSRC2:TGID_X_EN: 1
; COMPUTE_PGM_RSRC2:TGID_Y_EN: 0
; COMPUTE_PGM_RSRC2:TGID_Z_EN: 0
; COMPUTE_PGM_RSRC2:TIDIG_COMP_CNT: 0
; COMPUTE_PGM_RSRC3_GFX90A:ACCUM_OFFSET: 0
; COMPUTE_PGM_RSRC3_GFX90A:TG_SPLIT: 0
	.section	.text._ZN7rocprim17ROCPRIM_400000_NS6detail17trampoline_kernelINS0_14default_configENS1_20scan_config_selectorIiEEZZNS1_9scan_implILNS1_25lookback_scan_determinismE0ELb0ELb0ES3_N6thrust23THRUST_200600_302600_NS6detail15normal_iteratorINS9_10device_ptrIiEEEENSB_INSC_IfEEEEiNS9_4plusIvEEiEEDaPvRmT3_T4_T5_mT6_P12ihipStream_tbENKUlT_T0_E_clISt17integral_constantIbLb0EESV_IbLb1EEEEDaSR_SS_EUlSR_E0_NS1_11comp_targetILNS1_3genE2ELNS1_11target_archE906ELNS1_3gpuE6ELNS1_3repE0EEENS1_30default_config_static_selectorELNS0_4arch9wavefront6targetE1EEEvT1_,"axG",@progbits,_ZN7rocprim17ROCPRIM_400000_NS6detail17trampoline_kernelINS0_14default_configENS1_20scan_config_selectorIiEEZZNS1_9scan_implILNS1_25lookback_scan_determinismE0ELb0ELb0ES3_N6thrust23THRUST_200600_302600_NS6detail15normal_iteratorINS9_10device_ptrIiEEEENSB_INSC_IfEEEEiNS9_4plusIvEEiEEDaPvRmT3_T4_T5_mT6_P12ihipStream_tbENKUlT_T0_E_clISt17integral_constantIbLb0EESV_IbLb1EEEEDaSR_SS_EUlSR_E0_NS1_11comp_targetILNS1_3genE2ELNS1_11target_archE906ELNS1_3gpuE6ELNS1_3repE0EEENS1_30default_config_static_selectorELNS0_4arch9wavefront6targetE1EEEvT1_,comdat
	.protected	_ZN7rocprim17ROCPRIM_400000_NS6detail17trampoline_kernelINS0_14default_configENS1_20scan_config_selectorIiEEZZNS1_9scan_implILNS1_25lookback_scan_determinismE0ELb0ELb0ES3_N6thrust23THRUST_200600_302600_NS6detail15normal_iteratorINS9_10device_ptrIiEEEENSB_INSC_IfEEEEiNS9_4plusIvEEiEEDaPvRmT3_T4_T5_mT6_P12ihipStream_tbENKUlT_T0_E_clISt17integral_constantIbLb0EESV_IbLb1EEEEDaSR_SS_EUlSR_E0_NS1_11comp_targetILNS1_3genE2ELNS1_11target_archE906ELNS1_3gpuE6ELNS1_3repE0EEENS1_30default_config_static_selectorELNS0_4arch9wavefront6targetE1EEEvT1_ ; -- Begin function _ZN7rocprim17ROCPRIM_400000_NS6detail17trampoline_kernelINS0_14default_configENS1_20scan_config_selectorIiEEZZNS1_9scan_implILNS1_25lookback_scan_determinismE0ELb0ELb0ES3_N6thrust23THRUST_200600_302600_NS6detail15normal_iteratorINS9_10device_ptrIiEEEENSB_INSC_IfEEEEiNS9_4plusIvEEiEEDaPvRmT3_T4_T5_mT6_P12ihipStream_tbENKUlT_T0_E_clISt17integral_constantIbLb0EESV_IbLb1EEEEDaSR_SS_EUlSR_E0_NS1_11comp_targetILNS1_3genE2ELNS1_11target_archE906ELNS1_3gpuE6ELNS1_3repE0EEENS1_30default_config_static_selectorELNS0_4arch9wavefront6targetE1EEEvT1_
	.globl	_ZN7rocprim17ROCPRIM_400000_NS6detail17trampoline_kernelINS0_14default_configENS1_20scan_config_selectorIiEEZZNS1_9scan_implILNS1_25lookback_scan_determinismE0ELb0ELb0ES3_N6thrust23THRUST_200600_302600_NS6detail15normal_iteratorINS9_10device_ptrIiEEEENSB_INSC_IfEEEEiNS9_4plusIvEEiEEDaPvRmT3_T4_T5_mT6_P12ihipStream_tbENKUlT_T0_E_clISt17integral_constantIbLb0EESV_IbLb1EEEEDaSR_SS_EUlSR_E0_NS1_11comp_targetILNS1_3genE2ELNS1_11target_archE906ELNS1_3gpuE6ELNS1_3repE0EEENS1_30default_config_static_selectorELNS0_4arch9wavefront6targetE1EEEvT1_
	.p2align	8
	.type	_ZN7rocprim17ROCPRIM_400000_NS6detail17trampoline_kernelINS0_14default_configENS1_20scan_config_selectorIiEEZZNS1_9scan_implILNS1_25lookback_scan_determinismE0ELb0ELb0ES3_N6thrust23THRUST_200600_302600_NS6detail15normal_iteratorINS9_10device_ptrIiEEEENSB_INSC_IfEEEEiNS9_4plusIvEEiEEDaPvRmT3_T4_T5_mT6_P12ihipStream_tbENKUlT_T0_E_clISt17integral_constantIbLb0EESV_IbLb1EEEEDaSR_SS_EUlSR_E0_NS1_11comp_targetILNS1_3genE2ELNS1_11target_archE906ELNS1_3gpuE6ELNS1_3repE0EEENS1_30default_config_static_selectorELNS0_4arch9wavefront6targetE1EEEvT1_,@function
_ZN7rocprim17ROCPRIM_400000_NS6detail17trampoline_kernelINS0_14default_configENS1_20scan_config_selectorIiEEZZNS1_9scan_implILNS1_25lookback_scan_determinismE0ELb0ELb0ES3_N6thrust23THRUST_200600_302600_NS6detail15normal_iteratorINS9_10device_ptrIiEEEENSB_INSC_IfEEEEiNS9_4plusIvEEiEEDaPvRmT3_T4_T5_mT6_P12ihipStream_tbENKUlT_T0_E_clISt17integral_constantIbLb0EESV_IbLb1EEEEDaSR_SS_EUlSR_E0_NS1_11comp_targetILNS1_3genE2ELNS1_11target_archE906ELNS1_3gpuE6ELNS1_3repE0EEENS1_30default_config_static_selectorELNS0_4arch9wavefront6targetE1EEEvT1_: ; @_ZN7rocprim17ROCPRIM_400000_NS6detail17trampoline_kernelINS0_14default_configENS1_20scan_config_selectorIiEEZZNS1_9scan_implILNS1_25lookback_scan_determinismE0ELb0ELb0ES3_N6thrust23THRUST_200600_302600_NS6detail15normal_iteratorINS9_10device_ptrIiEEEENSB_INSC_IfEEEEiNS9_4plusIvEEiEEDaPvRmT3_T4_T5_mT6_P12ihipStream_tbENKUlT_T0_E_clISt17integral_constantIbLb0EESV_IbLb1EEEEDaSR_SS_EUlSR_E0_NS1_11comp_targetILNS1_3genE2ELNS1_11target_archE906ELNS1_3gpuE6ELNS1_3repE0EEENS1_30default_config_static_selectorELNS0_4arch9wavefront6targetE1EEEvT1_
; %bb.0:
	.section	.rodata,"a",@progbits
	.p2align	6, 0x0
	.amdhsa_kernel _ZN7rocprim17ROCPRIM_400000_NS6detail17trampoline_kernelINS0_14default_configENS1_20scan_config_selectorIiEEZZNS1_9scan_implILNS1_25lookback_scan_determinismE0ELb0ELb0ES3_N6thrust23THRUST_200600_302600_NS6detail15normal_iteratorINS9_10device_ptrIiEEEENSB_INSC_IfEEEEiNS9_4plusIvEEiEEDaPvRmT3_T4_T5_mT6_P12ihipStream_tbENKUlT_T0_E_clISt17integral_constantIbLb0EESV_IbLb1EEEEDaSR_SS_EUlSR_E0_NS1_11comp_targetILNS1_3genE2ELNS1_11target_archE906ELNS1_3gpuE6ELNS1_3repE0EEENS1_30default_config_static_selectorELNS0_4arch9wavefront6targetE1EEEvT1_
		.amdhsa_group_segment_fixed_size 0
		.amdhsa_private_segment_fixed_size 0
		.amdhsa_kernarg_size 32
		.amdhsa_user_sgpr_count 6
		.amdhsa_user_sgpr_private_segment_buffer 1
		.amdhsa_user_sgpr_dispatch_ptr 0
		.amdhsa_user_sgpr_queue_ptr 0
		.amdhsa_user_sgpr_kernarg_segment_ptr 1
		.amdhsa_user_sgpr_dispatch_id 0
		.amdhsa_user_sgpr_flat_scratch_init 0
		.amdhsa_user_sgpr_kernarg_preload_length 0
		.amdhsa_user_sgpr_kernarg_preload_offset 0
		.amdhsa_user_sgpr_private_segment_size 0
		.amdhsa_uses_dynamic_stack 0
		.amdhsa_system_sgpr_private_segment_wavefront_offset 0
		.amdhsa_system_sgpr_workgroup_id_x 1
		.amdhsa_system_sgpr_workgroup_id_y 0
		.amdhsa_system_sgpr_workgroup_id_z 0
		.amdhsa_system_sgpr_workgroup_info 0
		.amdhsa_system_vgpr_workitem_id 0
		.amdhsa_next_free_vgpr 1
		.amdhsa_next_free_sgpr 0
		.amdhsa_accum_offset 4
		.amdhsa_reserve_vcc 0
		.amdhsa_reserve_flat_scratch 0
		.amdhsa_float_round_mode_32 0
		.amdhsa_float_round_mode_16_64 0
		.amdhsa_float_denorm_mode_32 3
		.amdhsa_float_denorm_mode_16_64 3
		.amdhsa_dx10_clamp 1
		.amdhsa_ieee_mode 1
		.amdhsa_fp16_overflow 0
		.amdhsa_tg_split 0
		.amdhsa_exception_fp_ieee_invalid_op 0
		.amdhsa_exception_fp_denorm_src 0
		.amdhsa_exception_fp_ieee_div_zero 0
		.amdhsa_exception_fp_ieee_overflow 0
		.amdhsa_exception_fp_ieee_underflow 0
		.amdhsa_exception_fp_ieee_inexact 0
		.amdhsa_exception_int_div_zero 0
	.end_amdhsa_kernel
	.section	.text._ZN7rocprim17ROCPRIM_400000_NS6detail17trampoline_kernelINS0_14default_configENS1_20scan_config_selectorIiEEZZNS1_9scan_implILNS1_25lookback_scan_determinismE0ELb0ELb0ES3_N6thrust23THRUST_200600_302600_NS6detail15normal_iteratorINS9_10device_ptrIiEEEENSB_INSC_IfEEEEiNS9_4plusIvEEiEEDaPvRmT3_T4_T5_mT6_P12ihipStream_tbENKUlT_T0_E_clISt17integral_constantIbLb0EESV_IbLb1EEEEDaSR_SS_EUlSR_E0_NS1_11comp_targetILNS1_3genE2ELNS1_11target_archE906ELNS1_3gpuE6ELNS1_3repE0EEENS1_30default_config_static_selectorELNS0_4arch9wavefront6targetE1EEEvT1_,"axG",@progbits,_ZN7rocprim17ROCPRIM_400000_NS6detail17trampoline_kernelINS0_14default_configENS1_20scan_config_selectorIiEEZZNS1_9scan_implILNS1_25lookback_scan_determinismE0ELb0ELb0ES3_N6thrust23THRUST_200600_302600_NS6detail15normal_iteratorINS9_10device_ptrIiEEEENSB_INSC_IfEEEEiNS9_4plusIvEEiEEDaPvRmT3_T4_T5_mT6_P12ihipStream_tbENKUlT_T0_E_clISt17integral_constantIbLb0EESV_IbLb1EEEEDaSR_SS_EUlSR_E0_NS1_11comp_targetILNS1_3genE2ELNS1_11target_archE906ELNS1_3gpuE6ELNS1_3repE0EEENS1_30default_config_static_selectorELNS0_4arch9wavefront6targetE1EEEvT1_,comdat
.Lfunc_end1708:
	.size	_ZN7rocprim17ROCPRIM_400000_NS6detail17trampoline_kernelINS0_14default_configENS1_20scan_config_selectorIiEEZZNS1_9scan_implILNS1_25lookback_scan_determinismE0ELb0ELb0ES3_N6thrust23THRUST_200600_302600_NS6detail15normal_iteratorINS9_10device_ptrIiEEEENSB_INSC_IfEEEEiNS9_4plusIvEEiEEDaPvRmT3_T4_T5_mT6_P12ihipStream_tbENKUlT_T0_E_clISt17integral_constantIbLb0EESV_IbLb1EEEEDaSR_SS_EUlSR_E0_NS1_11comp_targetILNS1_3genE2ELNS1_11target_archE906ELNS1_3gpuE6ELNS1_3repE0EEENS1_30default_config_static_selectorELNS0_4arch9wavefront6targetE1EEEvT1_, .Lfunc_end1708-_ZN7rocprim17ROCPRIM_400000_NS6detail17trampoline_kernelINS0_14default_configENS1_20scan_config_selectorIiEEZZNS1_9scan_implILNS1_25lookback_scan_determinismE0ELb0ELb0ES3_N6thrust23THRUST_200600_302600_NS6detail15normal_iteratorINS9_10device_ptrIiEEEENSB_INSC_IfEEEEiNS9_4plusIvEEiEEDaPvRmT3_T4_T5_mT6_P12ihipStream_tbENKUlT_T0_E_clISt17integral_constantIbLb0EESV_IbLb1EEEEDaSR_SS_EUlSR_E0_NS1_11comp_targetILNS1_3genE2ELNS1_11target_archE906ELNS1_3gpuE6ELNS1_3repE0EEENS1_30default_config_static_selectorELNS0_4arch9wavefront6targetE1EEEvT1_
                                        ; -- End function
	.section	.AMDGPU.csdata,"",@progbits
; Kernel info:
; codeLenInByte = 0
; NumSgprs: 4
; NumVgprs: 0
; NumAgprs: 0
; TotalNumVgprs: 0
; ScratchSize: 0
; MemoryBound: 0
; FloatMode: 240
; IeeeMode: 1
; LDSByteSize: 0 bytes/workgroup (compile time only)
; SGPRBlocks: 0
; VGPRBlocks: 0
; NumSGPRsForWavesPerEU: 4
; NumVGPRsForWavesPerEU: 1
; AccumOffset: 4
; Occupancy: 8
; WaveLimiterHint : 0
; COMPUTE_PGM_RSRC2:SCRATCH_EN: 0
; COMPUTE_PGM_RSRC2:USER_SGPR: 6
; COMPUTE_PGM_RSRC2:TRAP_HANDLER: 0
; COMPUTE_PGM_RSRC2:TGID_X_EN: 1
; COMPUTE_PGM_RSRC2:TGID_Y_EN: 0
; COMPUTE_PGM_RSRC2:TGID_Z_EN: 0
; COMPUTE_PGM_RSRC2:TIDIG_COMP_CNT: 0
; COMPUTE_PGM_RSRC3_GFX90A:ACCUM_OFFSET: 0
; COMPUTE_PGM_RSRC3_GFX90A:TG_SPLIT: 0
	.section	.text._ZN7rocprim17ROCPRIM_400000_NS6detail17trampoline_kernelINS0_14default_configENS1_20scan_config_selectorIiEEZZNS1_9scan_implILNS1_25lookback_scan_determinismE0ELb0ELb0ES3_N6thrust23THRUST_200600_302600_NS6detail15normal_iteratorINS9_10device_ptrIiEEEENSB_INSC_IfEEEEiNS9_4plusIvEEiEEDaPvRmT3_T4_T5_mT6_P12ihipStream_tbENKUlT_T0_E_clISt17integral_constantIbLb0EESV_IbLb1EEEEDaSR_SS_EUlSR_E0_NS1_11comp_targetILNS1_3genE10ELNS1_11target_archE1201ELNS1_3gpuE5ELNS1_3repE0EEENS1_30default_config_static_selectorELNS0_4arch9wavefront6targetE1EEEvT1_,"axG",@progbits,_ZN7rocprim17ROCPRIM_400000_NS6detail17trampoline_kernelINS0_14default_configENS1_20scan_config_selectorIiEEZZNS1_9scan_implILNS1_25lookback_scan_determinismE0ELb0ELb0ES3_N6thrust23THRUST_200600_302600_NS6detail15normal_iteratorINS9_10device_ptrIiEEEENSB_INSC_IfEEEEiNS9_4plusIvEEiEEDaPvRmT3_T4_T5_mT6_P12ihipStream_tbENKUlT_T0_E_clISt17integral_constantIbLb0EESV_IbLb1EEEEDaSR_SS_EUlSR_E0_NS1_11comp_targetILNS1_3genE10ELNS1_11target_archE1201ELNS1_3gpuE5ELNS1_3repE0EEENS1_30default_config_static_selectorELNS0_4arch9wavefront6targetE1EEEvT1_,comdat
	.protected	_ZN7rocprim17ROCPRIM_400000_NS6detail17trampoline_kernelINS0_14default_configENS1_20scan_config_selectorIiEEZZNS1_9scan_implILNS1_25lookback_scan_determinismE0ELb0ELb0ES3_N6thrust23THRUST_200600_302600_NS6detail15normal_iteratorINS9_10device_ptrIiEEEENSB_INSC_IfEEEEiNS9_4plusIvEEiEEDaPvRmT3_T4_T5_mT6_P12ihipStream_tbENKUlT_T0_E_clISt17integral_constantIbLb0EESV_IbLb1EEEEDaSR_SS_EUlSR_E0_NS1_11comp_targetILNS1_3genE10ELNS1_11target_archE1201ELNS1_3gpuE5ELNS1_3repE0EEENS1_30default_config_static_selectorELNS0_4arch9wavefront6targetE1EEEvT1_ ; -- Begin function _ZN7rocprim17ROCPRIM_400000_NS6detail17trampoline_kernelINS0_14default_configENS1_20scan_config_selectorIiEEZZNS1_9scan_implILNS1_25lookback_scan_determinismE0ELb0ELb0ES3_N6thrust23THRUST_200600_302600_NS6detail15normal_iteratorINS9_10device_ptrIiEEEENSB_INSC_IfEEEEiNS9_4plusIvEEiEEDaPvRmT3_T4_T5_mT6_P12ihipStream_tbENKUlT_T0_E_clISt17integral_constantIbLb0EESV_IbLb1EEEEDaSR_SS_EUlSR_E0_NS1_11comp_targetILNS1_3genE10ELNS1_11target_archE1201ELNS1_3gpuE5ELNS1_3repE0EEENS1_30default_config_static_selectorELNS0_4arch9wavefront6targetE1EEEvT1_
	.globl	_ZN7rocprim17ROCPRIM_400000_NS6detail17trampoline_kernelINS0_14default_configENS1_20scan_config_selectorIiEEZZNS1_9scan_implILNS1_25lookback_scan_determinismE0ELb0ELb0ES3_N6thrust23THRUST_200600_302600_NS6detail15normal_iteratorINS9_10device_ptrIiEEEENSB_INSC_IfEEEEiNS9_4plusIvEEiEEDaPvRmT3_T4_T5_mT6_P12ihipStream_tbENKUlT_T0_E_clISt17integral_constantIbLb0EESV_IbLb1EEEEDaSR_SS_EUlSR_E0_NS1_11comp_targetILNS1_3genE10ELNS1_11target_archE1201ELNS1_3gpuE5ELNS1_3repE0EEENS1_30default_config_static_selectorELNS0_4arch9wavefront6targetE1EEEvT1_
	.p2align	8
	.type	_ZN7rocprim17ROCPRIM_400000_NS6detail17trampoline_kernelINS0_14default_configENS1_20scan_config_selectorIiEEZZNS1_9scan_implILNS1_25lookback_scan_determinismE0ELb0ELb0ES3_N6thrust23THRUST_200600_302600_NS6detail15normal_iteratorINS9_10device_ptrIiEEEENSB_INSC_IfEEEEiNS9_4plusIvEEiEEDaPvRmT3_T4_T5_mT6_P12ihipStream_tbENKUlT_T0_E_clISt17integral_constantIbLb0EESV_IbLb1EEEEDaSR_SS_EUlSR_E0_NS1_11comp_targetILNS1_3genE10ELNS1_11target_archE1201ELNS1_3gpuE5ELNS1_3repE0EEENS1_30default_config_static_selectorELNS0_4arch9wavefront6targetE1EEEvT1_,@function
_ZN7rocprim17ROCPRIM_400000_NS6detail17trampoline_kernelINS0_14default_configENS1_20scan_config_selectorIiEEZZNS1_9scan_implILNS1_25lookback_scan_determinismE0ELb0ELb0ES3_N6thrust23THRUST_200600_302600_NS6detail15normal_iteratorINS9_10device_ptrIiEEEENSB_INSC_IfEEEEiNS9_4plusIvEEiEEDaPvRmT3_T4_T5_mT6_P12ihipStream_tbENKUlT_T0_E_clISt17integral_constantIbLb0EESV_IbLb1EEEEDaSR_SS_EUlSR_E0_NS1_11comp_targetILNS1_3genE10ELNS1_11target_archE1201ELNS1_3gpuE5ELNS1_3repE0EEENS1_30default_config_static_selectorELNS0_4arch9wavefront6targetE1EEEvT1_: ; @_ZN7rocprim17ROCPRIM_400000_NS6detail17trampoline_kernelINS0_14default_configENS1_20scan_config_selectorIiEEZZNS1_9scan_implILNS1_25lookback_scan_determinismE0ELb0ELb0ES3_N6thrust23THRUST_200600_302600_NS6detail15normal_iteratorINS9_10device_ptrIiEEEENSB_INSC_IfEEEEiNS9_4plusIvEEiEEDaPvRmT3_T4_T5_mT6_P12ihipStream_tbENKUlT_T0_E_clISt17integral_constantIbLb0EESV_IbLb1EEEEDaSR_SS_EUlSR_E0_NS1_11comp_targetILNS1_3genE10ELNS1_11target_archE1201ELNS1_3gpuE5ELNS1_3repE0EEENS1_30default_config_static_selectorELNS0_4arch9wavefront6targetE1EEEvT1_
; %bb.0:
	.section	.rodata,"a",@progbits
	.p2align	6, 0x0
	.amdhsa_kernel _ZN7rocprim17ROCPRIM_400000_NS6detail17trampoline_kernelINS0_14default_configENS1_20scan_config_selectorIiEEZZNS1_9scan_implILNS1_25lookback_scan_determinismE0ELb0ELb0ES3_N6thrust23THRUST_200600_302600_NS6detail15normal_iteratorINS9_10device_ptrIiEEEENSB_INSC_IfEEEEiNS9_4plusIvEEiEEDaPvRmT3_T4_T5_mT6_P12ihipStream_tbENKUlT_T0_E_clISt17integral_constantIbLb0EESV_IbLb1EEEEDaSR_SS_EUlSR_E0_NS1_11comp_targetILNS1_3genE10ELNS1_11target_archE1201ELNS1_3gpuE5ELNS1_3repE0EEENS1_30default_config_static_selectorELNS0_4arch9wavefront6targetE1EEEvT1_
		.amdhsa_group_segment_fixed_size 0
		.amdhsa_private_segment_fixed_size 0
		.amdhsa_kernarg_size 32
		.amdhsa_user_sgpr_count 6
		.amdhsa_user_sgpr_private_segment_buffer 1
		.amdhsa_user_sgpr_dispatch_ptr 0
		.amdhsa_user_sgpr_queue_ptr 0
		.amdhsa_user_sgpr_kernarg_segment_ptr 1
		.amdhsa_user_sgpr_dispatch_id 0
		.amdhsa_user_sgpr_flat_scratch_init 0
		.amdhsa_user_sgpr_kernarg_preload_length 0
		.amdhsa_user_sgpr_kernarg_preload_offset 0
		.amdhsa_user_sgpr_private_segment_size 0
		.amdhsa_uses_dynamic_stack 0
		.amdhsa_system_sgpr_private_segment_wavefront_offset 0
		.amdhsa_system_sgpr_workgroup_id_x 1
		.amdhsa_system_sgpr_workgroup_id_y 0
		.amdhsa_system_sgpr_workgroup_id_z 0
		.amdhsa_system_sgpr_workgroup_info 0
		.amdhsa_system_vgpr_workitem_id 0
		.amdhsa_next_free_vgpr 1
		.amdhsa_next_free_sgpr 0
		.amdhsa_accum_offset 4
		.amdhsa_reserve_vcc 0
		.amdhsa_reserve_flat_scratch 0
		.amdhsa_float_round_mode_32 0
		.amdhsa_float_round_mode_16_64 0
		.amdhsa_float_denorm_mode_32 3
		.amdhsa_float_denorm_mode_16_64 3
		.amdhsa_dx10_clamp 1
		.amdhsa_ieee_mode 1
		.amdhsa_fp16_overflow 0
		.amdhsa_tg_split 0
		.amdhsa_exception_fp_ieee_invalid_op 0
		.amdhsa_exception_fp_denorm_src 0
		.amdhsa_exception_fp_ieee_div_zero 0
		.amdhsa_exception_fp_ieee_overflow 0
		.amdhsa_exception_fp_ieee_underflow 0
		.amdhsa_exception_fp_ieee_inexact 0
		.amdhsa_exception_int_div_zero 0
	.end_amdhsa_kernel
	.section	.text._ZN7rocprim17ROCPRIM_400000_NS6detail17trampoline_kernelINS0_14default_configENS1_20scan_config_selectorIiEEZZNS1_9scan_implILNS1_25lookback_scan_determinismE0ELb0ELb0ES3_N6thrust23THRUST_200600_302600_NS6detail15normal_iteratorINS9_10device_ptrIiEEEENSB_INSC_IfEEEEiNS9_4plusIvEEiEEDaPvRmT3_T4_T5_mT6_P12ihipStream_tbENKUlT_T0_E_clISt17integral_constantIbLb0EESV_IbLb1EEEEDaSR_SS_EUlSR_E0_NS1_11comp_targetILNS1_3genE10ELNS1_11target_archE1201ELNS1_3gpuE5ELNS1_3repE0EEENS1_30default_config_static_selectorELNS0_4arch9wavefront6targetE1EEEvT1_,"axG",@progbits,_ZN7rocprim17ROCPRIM_400000_NS6detail17trampoline_kernelINS0_14default_configENS1_20scan_config_selectorIiEEZZNS1_9scan_implILNS1_25lookback_scan_determinismE0ELb0ELb0ES3_N6thrust23THRUST_200600_302600_NS6detail15normal_iteratorINS9_10device_ptrIiEEEENSB_INSC_IfEEEEiNS9_4plusIvEEiEEDaPvRmT3_T4_T5_mT6_P12ihipStream_tbENKUlT_T0_E_clISt17integral_constantIbLb0EESV_IbLb1EEEEDaSR_SS_EUlSR_E0_NS1_11comp_targetILNS1_3genE10ELNS1_11target_archE1201ELNS1_3gpuE5ELNS1_3repE0EEENS1_30default_config_static_selectorELNS0_4arch9wavefront6targetE1EEEvT1_,comdat
.Lfunc_end1709:
	.size	_ZN7rocprim17ROCPRIM_400000_NS6detail17trampoline_kernelINS0_14default_configENS1_20scan_config_selectorIiEEZZNS1_9scan_implILNS1_25lookback_scan_determinismE0ELb0ELb0ES3_N6thrust23THRUST_200600_302600_NS6detail15normal_iteratorINS9_10device_ptrIiEEEENSB_INSC_IfEEEEiNS9_4plusIvEEiEEDaPvRmT3_T4_T5_mT6_P12ihipStream_tbENKUlT_T0_E_clISt17integral_constantIbLb0EESV_IbLb1EEEEDaSR_SS_EUlSR_E0_NS1_11comp_targetILNS1_3genE10ELNS1_11target_archE1201ELNS1_3gpuE5ELNS1_3repE0EEENS1_30default_config_static_selectorELNS0_4arch9wavefront6targetE1EEEvT1_, .Lfunc_end1709-_ZN7rocprim17ROCPRIM_400000_NS6detail17trampoline_kernelINS0_14default_configENS1_20scan_config_selectorIiEEZZNS1_9scan_implILNS1_25lookback_scan_determinismE0ELb0ELb0ES3_N6thrust23THRUST_200600_302600_NS6detail15normal_iteratorINS9_10device_ptrIiEEEENSB_INSC_IfEEEEiNS9_4plusIvEEiEEDaPvRmT3_T4_T5_mT6_P12ihipStream_tbENKUlT_T0_E_clISt17integral_constantIbLb0EESV_IbLb1EEEEDaSR_SS_EUlSR_E0_NS1_11comp_targetILNS1_3genE10ELNS1_11target_archE1201ELNS1_3gpuE5ELNS1_3repE0EEENS1_30default_config_static_selectorELNS0_4arch9wavefront6targetE1EEEvT1_
                                        ; -- End function
	.section	.AMDGPU.csdata,"",@progbits
; Kernel info:
; codeLenInByte = 0
; NumSgprs: 4
; NumVgprs: 0
; NumAgprs: 0
; TotalNumVgprs: 0
; ScratchSize: 0
; MemoryBound: 0
; FloatMode: 240
; IeeeMode: 1
; LDSByteSize: 0 bytes/workgroup (compile time only)
; SGPRBlocks: 0
; VGPRBlocks: 0
; NumSGPRsForWavesPerEU: 4
; NumVGPRsForWavesPerEU: 1
; AccumOffset: 4
; Occupancy: 8
; WaveLimiterHint : 0
; COMPUTE_PGM_RSRC2:SCRATCH_EN: 0
; COMPUTE_PGM_RSRC2:USER_SGPR: 6
; COMPUTE_PGM_RSRC2:TRAP_HANDLER: 0
; COMPUTE_PGM_RSRC2:TGID_X_EN: 1
; COMPUTE_PGM_RSRC2:TGID_Y_EN: 0
; COMPUTE_PGM_RSRC2:TGID_Z_EN: 0
; COMPUTE_PGM_RSRC2:TIDIG_COMP_CNT: 0
; COMPUTE_PGM_RSRC3_GFX90A:ACCUM_OFFSET: 0
; COMPUTE_PGM_RSRC3_GFX90A:TG_SPLIT: 0
	.section	.text._ZN7rocprim17ROCPRIM_400000_NS6detail17trampoline_kernelINS0_14default_configENS1_20scan_config_selectorIiEEZZNS1_9scan_implILNS1_25lookback_scan_determinismE0ELb0ELb0ES3_N6thrust23THRUST_200600_302600_NS6detail15normal_iteratorINS9_10device_ptrIiEEEENSB_INSC_IfEEEEiNS9_4plusIvEEiEEDaPvRmT3_T4_T5_mT6_P12ihipStream_tbENKUlT_T0_E_clISt17integral_constantIbLb0EESV_IbLb1EEEEDaSR_SS_EUlSR_E0_NS1_11comp_targetILNS1_3genE10ELNS1_11target_archE1200ELNS1_3gpuE4ELNS1_3repE0EEENS1_30default_config_static_selectorELNS0_4arch9wavefront6targetE1EEEvT1_,"axG",@progbits,_ZN7rocprim17ROCPRIM_400000_NS6detail17trampoline_kernelINS0_14default_configENS1_20scan_config_selectorIiEEZZNS1_9scan_implILNS1_25lookback_scan_determinismE0ELb0ELb0ES3_N6thrust23THRUST_200600_302600_NS6detail15normal_iteratorINS9_10device_ptrIiEEEENSB_INSC_IfEEEEiNS9_4plusIvEEiEEDaPvRmT3_T4_T5_mT6_P12ihipStream_tbENKUlT_T0_E_clISt17integral_constantIbLb0EESV_IbLb1EEEEDaSR_SS_EUlSR_E0_NS1_11comp_targetILNS1_3genE10ELNS1_11target_archE1200ELNS1_3gpuE4ELNS1_3repE0EEENS1_30default_config_static_selectorELNS0_4arch9wavefront6targetE1EEEvT1_,comdat
	.protected	_ZN7rocprim17ROCPRIM_400000_NS6detail17trampoline_kernelINS0_14default_configENS1_20scan_config_selectorIiEEZZNS1_9scan_implILNS1_25lookback_scan_determinismE0ELb0ELb0ES3_N6thrust23THRUST_200600_302600_NS6detail15normal_iteratorINS9_10device_ptrIiEEEENSB_INSC_IfEEEEiNS9_4plusIvEEiEEDaPvRmT3_T4_T5_mT6_P12ihipStream_tbENKUlT_T0_E_clISt17integral_constantIbLb0EESV_IbLb1EEEEDaSR_SS_EUlSR_E0_NS1_11comp_targetILNS1_3genE10ELNS1_11target_archE1200ELNS1_3gpuE4ELNS1_3repE0EEENS1_30default_config_static_selectorELNS0_4arch9wavefront6targetE1EEEvT1_ ; -- Begin function _ZN7rocprim17ROCPRIM_400000_NS6detail17trampoline_kernelINS0_14default_configENS1_20scan_config_selectorIiEEZZNS1_9scan_implILNS1_25lookback_scan_determinismE0ELb0ELb0ES3_N6thrust23THRUST_200600_302600_NS6detail15normal_iteratorINS9_10device_ptrIiEEEENSB_INSC_IfEEEEiNS9_4plusIvEEiEEDaPvRmT3_T4_T5_mT6_P12ihipStream_tbENKUlT_T0_E_clISt17integral_constantIbLb0EESV_IbLb1EEEEDaSR_SS_EUlSR_E0_NS1_11comp_targetILNS1_3genE10ELNS1_11target_archE1200ELNS1_3gpuE4ELNS1_3repE0EEENS1_30default_config_static_selectorELNS0_4arch9wavefront6targetE1EEEvT1_
	.globl	_ZN7rocprim17ROCPRIM_400000_NS6detail17trampoline_kernelINS0_14default_configENS1_20scan_config_selectorIiEEZZNS1_9scan_implILNS1_25lookback_scan_determinismE0ELb0ELb0ES3_N6thrust23THRUST_200600_302600_NS6detail15normal_iteratorINS9_10device_ptrIiEEEENSB_INSC_IfEEEEiNS9_4plusIvEEiEEDaPvRmT3_T4_T5_mT6_P12ihipStream_tbENKUlT_T0_E_clISt17integral_constantIbLb0EESV_IbLb1EEEEDaSR_SS_EUlSR_E0_NS1_11comp_targetILNS1_3genE10ELNS1_11target_archE1200ELNS1_3gpuE4ELNS1_3repE0EEENS1_30default_config_static_selectorELNS0_4arch9wavefront6targetE1EEEvT1_
	.p2align	8
	.type	_ZN7rocprim17ROCPRIM_400000_NS6detail17trampoline_kernelINS0_14default_configENS1_20scan_config_selectorIiEEZZNS1_9scan_implILNS1_25lookback_scan_determinismE0ELb0ELb0ES3_N6thrust23THRUST_200600_302600_NS6detail15normal_iteratorINS9_10device_ptrIiEEEENSB_INSC_IfEEEEiNS9_4plusIvEEiEEDaPvRmT3_T4_T5_mT6_P12ihipStream_tbENKUlT_T0_E_clISt17integral_constantIbLb0EESV_IbLb1EEEEDaSR_SS_EUlSR_E0_NS1_11comp_targetILNS1_3genE10ELNS1_11target_archE1200ELNS1_3gpuE4ELNS1_3repE0EEENS1_30default_config_static_selectorELNS0_4arch9wavefront6targetE1EEEvT1_,@function
_ZN7rocprim17ROCPRIM_400000_NS6detail17trampoline_kernelINS0_14default_configENS1_20scan_config_selectorIiEEZZNS1_9scan_implILNS1_25lookback_scan_determinismE0ELb0ELb0ES3_N6thrust23THRUST_200600_302600_NS6detail15normal_iteratorINS9_10device_ptrIiEEEENSB_INSC_IfEEEEiNS9_4plusIvEEiEEDaPvRmT3_T4_T5_mT6_P12ihipStream_tbENKUlT_T0_E_clISt17integral_constantIbLb0EESV_IbLb1EEEEDaSR_SS_EUlSR_E0_NS1_11comp_targetILNS1_3genE10ELNS1_11target_archE1200ELNS1_3gpuE4ELNS1_3repE0EEENS1_30default_config_static_selectorELNS0_4arch9wavefront6targetE1EEEvT1_: ; @_ZN7rocprim17ROCPRIM_400000_NS6detail17trampoline_kernelINS0_14default_configENS1_20scan_config_selectorIiEEZZNS1_9scan_implILNS1_25lookback_scan_determinismE0ELb0ELb0ES3_N6thrust23THRUST_200600_302600_NS6detail15normal_iteratorINS9_10device_ptrIiEEEENSB_INSC_IfEEEEiNS9_4plusIvEEiEEDaPvRmT3_T4_T5_mT6_P12ihipStream_tbENKUlT_T0_E_clISt17integral_constantIbLb0EESV_IbLb1EEEEDaSR_SS_EUlSR_E0_NS1_11comp_targetILNS1_3genE10ELNS1_11target_archE1200ELNS1_3gpuE4ELNS1_3repE0EEENS1_30default_config_static_selectorELNS0_4arch9wavefront6targetE1EEEvT1_
; %bb.0:
	.section	.rodata,"a",@progbits
	.p2align	6, 0x0
	.amdhsa_kernel _ZN7rocprim17ROCPRIM_400000_NS6detail17trampoline_kernelINS0_14default_configENS1_20scan_config_selectorIiEEZZNS1_9scan_implILNS1_25lookback_scan_determinismE0ELb0ELb0ES3_N6thrust23THRUST_200600_302600_NS6detail15normal_iteratorINS9_10device_ptrIiEEEENSB_INSC_IfEEEEiNS9_4plusIvEEiEEDaPvRmT3_T4_T5_mT6_P12ihipStream_tbENKUlT_T0_E_clISt17integral_constantIbLb0EESV_IbLb1EEEEDaSR_SS_EUlSR_E0_NS1_11comp_targetILNS1_3genE10ELNS1_11target_archE1200ELNS1_3gpuE4ELNS1_3repE0EEENS1_30default_config_static_selectorELNS0_4arch9wavefront6targetE1EEEvT1_
		.amdhsa_group_segment_fixed_size 0
		.amdhsa_private_segment_fixed_size 0
		.amdhsa_kernarg_size 32
		.amdhsa_user_sgpr_count 6
		.amdhsa_user_sgpr_private_segment_buffer 1
		.amdhsa_user_sgpr_dispatch_ptr 0
		.amdhsa_user_sgpr_queue_ptr 0
		.amdhsa_user_sgpr_kernarg_segment_ptr 1
		.amdhsa_user_sgpr_dispatch_id 0
		.amdhsa_user_sgpr_flat_scratch_init 0
		.amdhsa_user_sgpr_kernarg_preload_length 0
		.amdhsa_user_sgpr_kernarg_preload_offset 0
		.amdhsa_user_sgpr_private_segment_size 0
		.amdhsa_uses_dynamic_stack 0
		.amdhsa_system_sgpr_private_segment_wavefront_offset 0
		.amdhsa_system_sgpr_workgroup_id_x 1
		.amdhsa_system_sgpr_workgroup_id_y 0
		.amdhsa_system_sgpr_workgroup_id_z 0
		.amdhsa_system_sgpr_workgroup_info 0
		.amdhsa_system_vgpr_workitem_id 0
		.amdhsa_next_free_vgpr 1
		.amdhsa_next_free_sgpr 0
		.amdhsa_accum_offset 4
		.amdhsa_reserve_vcc 0
		.amdhsa_reserve_flat_scratch 0
		.amdhsa_float_round_mode_32 0
		.amdhsa_float_round_mode_16_64 0
		.amdhsa_float_denorm_mode_32 3
		.amdhsa_float_denorm_mode_16_64 3
		.amdhsa_dx10_clamp 1
		.amdhsa_ieee_mode 1
		.amdhsa_fp16_overflow 0
		.amdhsa_tg_split 0
		.amdhsa_exception_fp_ieee_invalid_op 0
		.amdhsa_exception_fp_denorm_src 0
		.amdhsa_exception_fp_ieee_div_zero 0
		.amdhsa_exception_fp_ieee_overflow 0
		.amdhsa_exception_fp_ieee_underflow 0
		.amdhsa_exception_fp_ieee_inexact 0
		.amdhsa_exception_int_div_zero 0
	.end_amdhsa_kernel
	.section	.text._ZN7rocprim17ROCPRIM_400000_NS6detail17trampoline_kernelINS0_14default_configENS1_20scan_config_selectorIiEEZZNS1_9scan_implILNS1_25lookback_scan_determinismE0ELb0ELb0ES3_N6thrust23THRUST_200600_302600_NS6detail15normal_iteratorINS9_10device_ptrIiEEEENSB_INSC_IfEEEEiNS9_4plusIvEEiEEDaPvRmT3_T4_T5_mT6_P12ihipStream_tbENKUlT_T0_E_clISt17integral_constantIbLb0EESV_IbLb1EEEEDaSR_SS_EUlSR_E0_NS1_11comp_targetILNS1_3genE10ELNS1_11target_archE1200ELNS1_3gpuE4ELNS1_3repE0EEENS1_30default_config_static_selectorELNS0_4arch9wavefront6targetE1EEEvT1_,"axG",@progbits,_ZN7rocprim17ROCPRIM_400000_NS6detail17trampoline_kernelINS0_14default_configENS1_20scan_config_selectorIiEEZZNS1_9scan_implILNS1_25lookback_scan_determinismE0ELb0ELb0ES3_N6thrust23THRUST_200600_302600_NS6detail15normal_iteratorINS9_10device_ptrIiEEEENSB_INSC_IfEEEEiNS9_4plusIvEEiEEDaPvRmT3_T4_T5_mT6_P12ihipStream_tbENKUlT_T0_E_clISt17integral_constantIbLb0EESV_IbLb1EEEEDaSR_SS_EUlSR_E0_NS1_11comp_targetILNS1_3genE10ELNS1_11target_archE1200ELNS1_3gpuE4ELNS1_3repE0EEENS1_30default_config_static_selectorELNS0_4arch9wavefront6targetE1EEEvT1_,comdat
.Lfunc_end1710:
	.size	_ZN7rocprim17ROCPRIM_400000_NS6detail17trampoline_kernelINS0_14default_configENS1_20scan_config_selectorIiEEZZNS1_9scan_implILNS1_25lookback_scan_determinismE0ELb0ELb0ES3_N6thrust23THRUST_200600_302600_NS6detail15normal_iteratorINS9_10device_ptrIiEEEENSB_INSC_IfEEEEiNS9_4plusIvEEiEEDaPvRmT3_T4_T5_mT6_P12ihipStream_tbENKUlT_T0_E_clISt17integral_constantIbLb0EESV_IbLb1EEEEDaSR_SS_EUlSR_E0_NS1_11comp_targetILNS1_3genE10ELNS1_11target_archE1200ELNS1_3gpuE4ELNS1_3repE0EEENS1_30default_config_static_selectorELNS0_4arch9wavefront6targetE1EEEvT1_, .Lfunc_end1710-_ZN7rocprim17ROCPRIM_400000_NS6detail17trampoline_kernelINS0_14default_configENS1_20scan_config_selectorIiEEZZNS1_9scan_implILNS1_25lookback_scan_determinismE0ELb0ELb0ES3_N6thrust23THRUST_200600_302600_NS6detail15normal_iteratorINS9_10device_ptrIiEEEENSB_INSC_IfEEEEiNS9_4plusIvEEiEEDaPvRmT3_T4_T5_mT6_P12ihipStream_tbENKUlT_T0_E_clISt17integral_constantIbLb0EESV_IbLb1EEEEDaSR_SS_EUlSR_E0_NS1_11comp_targetILNS1_3genE10ELNS1_11target_archE1200ELNS1_3gpuE4ELNS1_3repE0EEENS1_30default_config_static_selectorELNS0_4arch9wavefront6targetE1EEEvT1_
                                        ; -- End function
	.section	.AMDGPU.csdata,"",@progbits
; Kernel info:
; codeLenInByte = 0
; NumSgprs: 4
; NumVgprs: 0
; NumAgprs: 0
; TotalNumVgprs: 0
; ScratchSize: 0
; MemoryBound: 0
; FloatMode: 240
; IeeeMode: 1
; LDSByteSize: 0 bytes/workgroup (compile time only)
; SGPRBlocks: 0
; VGPRBlocks: 0
; NumSGPRsForWavesPerEU: 4
; NumVGPRsForWavesPerEU: 1
; AccumOffset: 4
; Occupancy: 8
; WaveLimiterHint : 0
; COMPUTE_PGM_RSRC2:SCRATCH_EN: 0
; COMPUTE_PGM_RSRC2:USER_SGPR: 6
; COMPUTE_PGM_RSRC2:TRAP_HANDLER: 0
; COMPUTE_PGM_RSRC2:TGID_X_EN: 1
; COMPUTE_PGM_RSRC2:TGID_Y_EN: 0
; COMPUTE_PGM_RSRC2:TGID_Z_EN: 0
; COMPUTE_PGM_RSRC2:TIDIG_COMP_CNT: 0
; COMPUTE_PGM_RSRC3_GFX90A:ACCUM_OFFSET: 0
; COMPUTE_PGM_RSRC3_GFX90A:TG_SPLIT: 0
	.section	.text._ZN7rocprim17ROCPRIM_400000_NS6detail17trampoline_kernelINS0_14default_configENS1_20scan_config_selectorIiEEZZNS1_9scan_implILNS1_25lookback_scan_determinismE0ELb0ELb0ES3_N6thrust23THRUST_200600_302600_NS6detail15normal_iteratorINS9_10device_ptrIiEEEENSB_INSC_IfEEEEiNS9_4plusIvEEiEEDaPvRmT3_T4_T5_mT6_P12ihipStream_tbENKUlT_T0_E_clISt17integral_constantIbLb0EESV_IbLb1EEEEDaSR_SS_EUlSR_E0_NS1_11comp_targetILNS1_3genE9ELNS1_11target_archE1100ELNS1_3gpuE3ELNS1_3repE0EEENS1_30default_config_static_selectorELNS0_4arch9wavefront6targetE1EEEvT1_,"axG",@progbits,_ZN7rocprim17ROCPRIM_400000_NS6detail17trampoline_kernelINS0_14default_configENS1_20scan_config_selectorIiEEZZNS1_9scan_implILNS1_25lookback_scan_determinismE0ELb0ELb0ES3_N6thrust23THRUST_200600_302600_NS6detail15normal_iteratorINS9_10device_ptrIiEEEENSB_INSC_IfEEEEiNS9_4plusIvEEiEEDaPvRmT3_T4_T5_mT6_P12ihipStream_tbENKUlT_T0_E_clISt17integral_constantIbLb0EESV_IbLb1EEEEDaSR_SS_EUlSR_E0_NS1_11comp_targetILNS1_3genE9ELNS1_11target_archE1100ELNS1_3gpuE3ELNS1_3repE0EEENS1_30default_config_static_selectorELNS0_4arch9wavefront6targetE1EEEvT1_,comdat
	.protected	_ZN7rocprim17ROCPRIM_400000_NS6detail17trampoline_kernelINS0_14default_configENS1_20scan_config_selectorIiEEZZNS1_9scan_implILNS1_25lookback_scan_determinismE0ELb0ELb0ES3_N6thrust23THRUST_200600_302600_NS6detail15normal_iteratorINS9_10device_ptrIiEEEENSB_INSC_IfEEEEiNS9_4plusIvEEiEEDaPvRmT3_T4_T5_mT6_P12ihipStream_tbENKUlT_T0_E_clISt17integral_constantIbLb0EESV_IbLb1EEEEDaSR_SS_EUlSR_E0_NS1_11comp_targetILNS1_3genE9ELNS1_11target_archE1100ELNS1_3gpuE3ELNS1_3repE0EEENS1_30default_config_static_selectorELNS0_4arch9wavefront6targetE1EEEvT1_ ; -- Begin function _ZN7rocprim17ROCPRIM_400000_NS6detail17trampoline_kernelINS0_14default_configENS1_20scan_config_selectorIiEEZZNS1_9scan_implILNS1_25lookback_scan_determinismE0ELb0ELb0ES3_N6thrust23THRUST_200600_302600_NS6detail15normal_iteratorINS9_10device_ptrIiEEEENSB_INSC_IfEEEEiNS9_4plusIvEEiEEDaPvRmT3_T4_T5_mT6_P12ihipStream_tbENKUlT_T0_E_clISt17integral_constantIbLb0EESV_IbLb1EEEEDaSR_SS_EUlSR_E0_NS1_11comp_targetILNS1_3genE9ELNS1_11target_archE1100ELNS1_3gpuE3ELNS1_3repE0EEENS1_30default_config_static_selectorELNS0_4arch9wavefront6targetE1EEEvT1_
	.globl	_ZN7rocprim17ROCPRIM_400000_NS6detail17trampoline_kernelINS0_14default_configENS1_20scan_config_selectorIiEEZZNS1_9scan_implILNS1_25lookback_scan_determinismE0ELb0ELb0ES3_N6thrust23THRUST_200600_302600_NS6detail15normal_iteratorINS9_10device_ptrIiEEEENSB_INSC_IfEEEEiNS9_4plusIvEEiEEDaPvRmT3_T4_T5_mT6_P12ihipStream_tbENKUlT_T0_E_clISt17integral_constantIbLb0EESV_IbLb1EEEEDaSR_SS_EUlSR_E0_NS1_11comp_targetILNS1_3genE9ELNS1_11target_archE1100ELNS1_3gpuE3ELNS1_3repE0EEENS1_30default_config_static_selectorELNS0_4arch9wavefront6targetE1EEEvT1_
	.p2align	8
	.type	_ZN7rocprim17ROCPRIM_400000_NS6detail17trampoline_kernelINS0_14default_configENS1_20scan_config_selectorIiEEZZNS1_9scan_implILNS1_25lookback_scan_determinismE0ELb0ELb0ES3_N6thrust23THRUST_200600_302600_NS6detail15normal_iteratorINS9_10device_ptrIiEEEENSB_INSC_IfEEEEiNS9_4plusIvEEiEEDaPvRmT3_T4_T5_mT6_P12ihipStream_tbENKUlT_T0_E_clISt17integral_constantIbLb0EESV_IbLb1EEEEDaSR_SS_EUlSR_E0_NS1_11comp_targetILNS1_3genE9ELNS1_11target_archE1100ELNS1_3gpuE3ELNS1_3repE0EEENS1_30default_config_static_selectorELNS0_4arch9wavefront6targetE1EEEvT1_,@function
_ZN7rocprim17ROCPRIM_400000_NS6detail17trampoline_kernelINS0_14default_configENS1_20scan_config_selectorIiEEZZNS1_9scan_implILNS1_25lookback_scan_determinismE0ELb0ELb0ES3_N6thrust23THRUST_200600_302600_NS6detail15normal_iteratorINS9_10device_ptrIiEEEENSB_INSC_IfEEEEiNS9_4plusIvEEiEEDaPvRmT3_T4_T5_mT6_P12ihipStream_tbENKUlT_T0_E_clISt17integral_constantIbLb0EESV_IbLb1EEEEDaSR_SS_EUlSR_E0_NS1_11comp_targetILNS1_3genE9ELNS1_11target_archE1100ELNS1_3gpuE3ELNS1_3repE0EEENS1_30default_config_static_selectorELNS0_4arch9wavefront6targetE1EEEvT1_: ; @_ZN7rocprim17ROCPRIM_400000_NS6detail17trampoline_kernelINS0_14default_configENS1_20scan_config_selectorIiEEZZNS1_9scan_implILNS1_25lookback_scan_determinismE0ELb0ELb0ES3_N6thrust23THRUST_200600_302600_NS6detail15normal_iteratorINS9_10device_ptrIiEEEENSB_INSC_IfEEEEiNS9_4plusIvEEiEEDaPvRmT3_T4_T5_mT6_P12ihipStream_tbENKUlT_T0_E_clISt17integral_constantIbLb0EESV_IbLb1EEEEDaSR_SS_EUlSR_E0_NS1_11comp_targetILNS1_3genE9ELNS1_11target_archE1100ELNS1_3gpuE3ELNS1_3repE0EEENS1_30default_config_static_selectorELNS0_4arch9wavefront6targetE1EEEvT1_
; %bb.0:
	.section	.rodata,"a",@progbits
	.p2align	6, 0x0
	.amdhsa_kernel _ZN7rocprim17ROCPRIM_400000_NS6detail17trampoline_kernelINS0_14default_configENS1_20scan_config_selectorIiEEZZNS1_9scan_implILNS1_25lookback_scan_determinismE0ELb0ELb0ES3_N6thrust23THRUST_200600_302600_NS6detail15normal_iteratorINS9_10device_ptrIiEEEENSB_INSC_IfEEEEiNS9_4plusIvEEiEEDaPvRmT3_T4_T5_mT6_P12ihipStream_tbENKUlT_T0_E_clISt17integral_constantIbLb0EESV_IbLb1EEEEDaSR_SS_EUlSR_E0_NS1_11comp_targetILNS1_3genE9ELNS1_11target_archE1100ELNS1_3gpuE3ELNS1_3repE0EEENS1_30default_config_static_selectorELNS0_4arch9wavefront6targetE1EEEvT1_
		.amdhsa_group_segment_fixed_size 0
		.amdhsa_private_segment_fixed_size 0
		.amdhsa_kernarg_size 32
		.amdhsa_user_sgpr_count 6
		.amdhsa_user_sgpr_private_segment_buffer 1
		.amdhsa_user_sgpr_dispatch_ptr 0
		.amdhsa_user_sgpr_queue_ptr 0
		.amdhsa_user_sgpr_kernarg_segment_ptr 1
		.amdhsa_user_sgpr_dispatch_id 0
		.amdhsa_user_sgpr_flat_scratch_init 0
		.amdhsa_user_sgpr_kernarg_preload_length 0
		.amdhsa_user_sgpr_kernarg_preload_offset 0
		.amdhsa_user_sgpr_private_segment_size 0
		.amdhsa_uses_dynamic_stack 0
		.amdhsa_system_sgpr_private_segment_wavefront_offset 0
		.amdhsa_system_sgpr_workgroup_id_x 1
		.amdhsa_system_sgpr_workgroup_id_y 0
		.amdhsa_system_sgpr_workgroup_id_z 0
		.amdhsa_system_sgpr_workgroup_info 0
		.amdhsa_system_vgpr_workitem_id 0
		.amdhsa_next_free_vgpr 1
		.amdhsa_next_free_sgpr 0
		.amdhsa_accum_offset 4
		.amdhsa_reserve_vcc 0
		.amdhsa_reserve_flat_scratch 0
		.amdhsa_float_round_mode_32 0
		.amdhsa_float_round_mode_16_64 0
		.amdhsa_float_denorm_mode_32 3
		.amdhsa_float_denorm_mode_16_64 3
		.amdhsa_dx10_clamp 1
		.amdhsa_ieee_mode 1
		.amdhsa_fp16_overflow 0
		.amdhsa_tg_split 0
		.amdhsa_exception_fp_ieee_invalid_op 0
		.amdhsa_exception_fp_denorm_src 0
		.amdhsa_exception_fp_ieee_div_zero 0
		.amdhsa_exception_fp_ieee_overflow 0
		.amdhsa_exception_fp_ieee_underflow 0
		.amdhsa_exception_fp_ieee_inexact 0
		.amdhsa_exception_int_div_zero 0
	.end_amdhsa_kernel
	.section	.text._ZN7rocprim17ROCPRIM_400000_NS6detail17trampoline_kernelINS0_14default_configENS1_20scan_config_selectorIiEEZZNS1_9scan_implILNS1_25lookback_scan_determinismE0ELb0ELb0ES3_N6thrust23THRUST_200600_302600_NS6detail15normal_iteratorINS9_10device_ptrIiEEEENSB_INSC_IfEEEEiNS9_4plusIvEEiEEDaPvRmT3_T4_T5_mT6_P12ihipStream_tbENKUlT_T0_E_clISt17integral_constantIbLb0EESV_IbLb1EEEEDaSR_SS_EUlSR_E0_NS1_11comp_targetILNS1_3genE9ELNS1_11target_archE1100ELNS1_3gpuE3ELNS1_3repE0EEENS1_30default_config_static_selectorELNS0_4arch9wavefront6targetE1EEEvT1_,"axG",@progbits,_ZN7rocprim17ROCPRIM_400000_NS6detail17trampoline_kernelINS0_14default_configENS1_20scan_config_selectorIiEEZZNS1_9scan_implILNS1_25lookback_scan_determinismE0ELb0ELb0ES3_N6thrust23THRUST_200600_302600_NS6detail15normal_iteratorINS9_10device_ptrIiEEEENSB_INSC_IfEEEEiNS9_4plusIvEEiEEDaPvRmT3_T4_T5_mT6_P12ihipStream_tbENKUlT_T0_E_clISt17integral_constantIbLb0EESV_IbLb1EEEEDaSR_SS_EUlSR_E0_NS1_11comp_targetILNS1_3genE9ELNS1_11target_archE1100ELNS1_3gpuE3ELNS1_3repE0EEENS1_30default_config_static_selectorELNS0_4arch9wavefront6targetE1EEEvT1_,comdat
.Lfunc_end1711:
	.size	_ZN7rocprim17ROCPRIM_400000_NS6detail17trampoline_kernelINS0_14default_configENS1_20scan_config_selectorIiEEZZNS1_9scan_implILNS1_25lookback_scan_determinismE0ELb0ELb0ES3_N6thrust23THRUST_200600_302600_NS6detail15normal_iteratorINS9_10device_ptrIiEEEENSB_INSC_IfEEEEiNS9_4plusIvEEiEEDaPvRmT3_T4_T5_mT6_P12ihipStream_tbENKUlT_T0_E_clISt17integral_constantIbLb0EESV_IbLb1EEEEDaSR_SS_EUlSR_E0_NS1_11comp_targetILNS1_3genE9ELNS1_11target_archE1100ELNS1_3gpuE3ELNS1_3repE0EEENS1_30default_config_static_selectorELNS0_4arch9wavefront6targetE1EEEvT1_, .Lfunc_end1711-_ZN7rocprim17ROCPRIM_400000_NS6detail17trampoline_kernelINS0_14default_configENS1_20scan_config_selectorIiEEZZNS1_9scan_implILNS1_25lookback_scan_determinismE0ELb0ELb0ES3_N6thrust23THRUST_200600_302600_NS6detail15normal_iteratorINS9_10device_ptrIiEEEENSB_INSC_IfEEEEiNS9_4plusIvEEiEEDaPvRmT3_T4_T5_mT6_P12ihipStream_tbENKUlT_T0_E_clISt17integral_constantIbLb0EESV_IbLb1EEEEDaSR_SS_EUlSR_E0_NS1_11comp_targetILNS1_3genE9ELNS1_11target_archE1100ELNS1_3gpuE3ELNS1_3repE0EEENS1_30default_config_static_selectorELNS0_4arch9wavefront6targetE1EEEvT1_
                                        ; -- End function
	.section	.AMDGPU.csdata,"",@progbits
; Kernel info:
; codeLenInByte = 0
; NumSgprs: 4
; NumVgprs: 0
; NumAgprs: 0
; TotalNumVgprs: 0
; ScratchSize: 0
; MemoryBound: 0
; FloatMode: 240
; IeeeMode: 1
; LDSByteSize: 0 bytes/workgroup (compile time only)
; SGPRBlocks: 0
; VGPRBlocks: 0
; NumSGPRsForWavesPerEU: 4
; NumVGPRsForWavesPerEU: 1
; AccumOffset: 4
; Occupancy: 8
; WaveLimiterHint : 0
; COMPUTE_PGM_RSRC2:SCRATCH_EN: 0
; COMPUTE_PGM_RSRC2:USER_SGPR: 6
; COMPUTE_PGM_RSRC2:TRAP_HANDLER: 0
; COMPUTE_PGM_RSRC2:TGID_X_EN: 1
; COMPUTE_PGM_RSRC2:TGID_Y_EN: 0
; COMPUTE_PGM_RSRC2:TGID_Z_EN: 0
; COMPUTE_PGM_RSRC2:TIDIG_COMP_CNT: 0
; COMPUTE_PGM_RSRC3_GFX90A:ACCUM_OFFSET: 0
; COMPUTE_PGM_RSRC3_GFX90A:TG_SPLIT: 0
	.section	.text._ZN7rocprim17ROCPRIM_400000_NS6detail17trampoline_kernelINS0_14default_configENS1_20scan_config_selectorIiEEZZNS1_9scan_implILNS1_25lookback_scan_determinismE0ELb0ELb0ES3_N6thrust23THRUST_200600_302600_NS6detail15normal_iteratorINS9_10device_ptrIiEEEENSB_INSC_IfEEEEiNS9_4plusIvEEiEEDaPvRmT3_T4_T5_mT6_P12ihipStream_tbENKUlT_T0_E_clISt17integral_constantIbLb0EESV_IbLb1EEEEDaSR_SS_EUlSR_E0_NS1_11comp_targetILNS1_3genE8ELNS1_11target_archE1030ELNS1_3gpuE2ELNS1_3repE0EEENS1_30default_config_static_selectorELNS0_4arch9wavefront6targetE1EEEvT1_,"axG",@progbits,_ZN7rocprim17ROCPRIM_400000_NS6detail17trampoline_kernelINS0_14default_configENS1_20scan_config_selectorIiEEZZNS1_9scan_implILNS1_25lookback_scan_determinismE0ELb0ELb0ES3_N6thrust23THRUST_200600_302600_NS6detail15normal_iteratorINS9_10device_ptrIiEEEENSB_INSC_IfEEEEiNS9_4plusIvEEiEEDaPvRmT3_T4_T5_mT6_P12ihipStream_tbENKUlT_T0_E_clISt17integral_constantIbLb0EESV_IbLb1EEEEDaSR_SS_EUlSR_E0_NS1_11comp_targetILNS1_3genE8ELNS1_11target_archE1030ELNS1_3gpuE2ELNS1_3repE0EEENS1_30default_config_static_selectorELNS0_4arch9wavefront6targetE1EEEvT1_,comdat
	.protected	_ZN7rocprim17ROCPRIM_400000_NS6detail17trampoline_kernelINS0_14default_configENS1_20scan_config_selectorIiEEZZNS1_9scan_implILNS1_25lookback_scan_determinismE0ELb0ELb0ES3_N6thrust23THRUST_200600_302600_NS6detail15normal_iteratorINS9_10device_ptrIiEEEENSB_INSC_IfEEEEiNS9_4plusIvEEiEEDaPvRmT3_T4_T5_mT6_P12ihipStream_tbENKUlT_T0_E_clISt17integral_constantIbLb0EESV_IbLb1EEEEDaSR_SS_EUlSR_E0_NS1_11comp_targetILNS1_3genE8ELNS1_11target_archE1030ELNS1_3gpuE2ELNS1_3repE0EEENS1_30default_config_static_selectorELNS0_4arch9wavefront6targetE1EEEvT1_ ; -- Begin function _ZN7rocprim17ROCPRIM_400000_NS6detail17trampoline_kernelINS0_14default_configENS1_20scan_config_selectorIiEEZZNS1_9scan_implILNS1_25lookback_scan_determinismE0ELb0ELb0ES3_N6thrust23THRUST_200600_302600_NS6detail15normal_iteratorINS9_10device_ptrIiEEEENSB_INSC_IfEEEEiNS9_4plusIvEEiEEDaPvRmT3_T4_T5_mT6_P12ihipStream_tbENKUlT_T0_E_clISt17integral_constantIbLb0EESV_IbLb1EEEEDaSR_SS_EUlSR_E0_NS1_11comp_targetILNS1_3genE8ELNS1_11target_archE1030ELNS1_3gpuE2ELNS1_3repE0EEENS1_30default_config_static_selectorELNS0_4arch9wavefront6targetE1EEEvT1_
	.globl	_ZN7rocprim17ROCPRIM_400000_NS6detail17trampoline_kernelINS0_14default_configENS1_20scan_config_selectorIiEEZZNS1_9scan_implILNS1_25lookback_scan_determinismE0ELb0ELb0ES3_N6thrust23THRUST_200600_302600_NS6detail15normal_iteratorINS9_10device_ptrIiEEEENSB_INSC_IfEEEEiNS9_4plusIvEEiEEDaPvRmT3_T4_T5_mT6_P12ihipStream_tbENKUlT_T0_E_clISt17integral_constantIbLb0EESV_IbLb1EEEEDaSR_SS_EUlSR_E0_NS1_11comp_targetILNS1_3genE8ELNS1_11target_archE1030ELNS1_3gpuE2ELNS1_3repE0EEENS1_30default_config_static_selectorELNS0_4arch9wavefront6targetE1EEEvT1_
	.p2align	8
	.type	_ZN7rocprim17ROCPRIM_400000_NS6detail17trampoline_kernelINS0_14default_configENS1_20scan_config_selectorIiEEZZNS1_9scan_implILNS1_25lookback_scan_determinismE0ELb0ELb0ES3_N6thrust23THRUST_200600_302600_NS6detail15normal_iteratorINS9_10device_ptrIiEEEENSB_INSC_IfEEEEiNS9_4plusIvEEiEEDaPvRmT3_T4_T5_mT6_P12ihipStream_tbENKUlT_T0_E_clISt17integral_constantIbLb0EESV_IbLb1EEEEDaSR_SS_EUlSR_E0_NS1_11comp_targetILNS1_3genE8ELNS1_11target_archE1030ELNS1_3gpuE2ELNS1_3repE0EEENS1_30default_config_static_selectorELNS0_4arch9wavefront6targetE1EEEvT1_,@function
_ZN7rocprim17ROCPRIM_400000_NS6detail17trampoline_kernelINS0_14default_configENS1_20scan_config_selectorIiEEZZNS1_9scan_implILNS1_25lookback_scan_determinismE0ELb0ELb0ES3_N6thrust23THRUST_200600_302600_NS6detail15normal_iteratorINS9_10device_ptrIiEEEENSB_INSC_IfEEEEiNS9_4plusIvEEiEEDaPvRmT3_T4_T5_mT6_P12ihipStream_tbENKUlT_T0_E_clISt17integral_constantIbLb0EESV_IbLb1EEEEDaSR_SS_EUlSR_E0_NS1_11comp_targetILNS1_3genE8ELNS1_11target_archE1030ELNS1_3gpuE2ELNS1_3repE0EEENS1_30default_config_static_selectorELNS0_4arch9wavefront6targetE1EEEvT1_: ; @_ZN7rocprim17ROCPRIM_400000_NS6detail17trampoline_kernelINS0_14default_configENS1_20scan_config_selectorIiEEZZNS1_9scan_implILNS1_25lookback_scan_determinismE0ELb0ELb0ES3_N6thrust23THRUST_200600_302600_NS6detail15normal_iteratorINS9_10device_ptrIiEEEENSB_INSC_IfEEEEiNS9_4plusIvEEiEEDaPvRmT3_T4_T5_mT6_P12ihipStream_tbENKUlT_T0_E_clISt17integral_constantIbLb0EESV_IbLb1EEEEDaSR_SS_EUlSR_E0_NS1_11comp_targetILNS1_3genE8ELNS1_11target_archE1030ELNS1_3gpuE2ELNS1_3repE0EEENS1_30default_config_static_selectorELNS0_4arch9wavefront6targetE1EEEvT1_
; %bb.0:
	.section	.rodata,"a",@progbits
	.p2align	6, 0x0
	.amdhsa_kernel _ZN7rocprim17ROCPRIM_400000_NS6detail17trampoline_kernelINS0_14default_configENS1_20scan_config_selectorIiEEZZNS1_9scan_implILNS1_25lookback_scan_determinismE0ELb0ELb0ES3_N6thrust23THRUST_200600_302600_NS6detail15normal_iteratorINS9_10device_ptrIiEEEENSB_INSC_IfEEEEiNS9_4plusIvEEiEEDaPvRmT3_T4_T5_mT6_P12ihipStream_tbENKUlT_T0_E_clISt17integral_constantIbLb0EESV_IbLb1EEEEDaSR_SS_EUlSR_E0_NS1_11comp_targetILNS1_3genE8ELNS1_11target_archE1030ELNS1_3gpuE2ELNS1_3repE0EEENS1_30default_config_static_selectorELNS0_4arch9wavefront6targetE1EEEvT1_
		.amdhsa_group_segment_fixed_size 0
		.amdhsa_private_segment_fixed_size 0
		.amdhsa_kernarg_size 32
		.amdhsa_user_sgpr_count 6
		.amdhsa_user_sgpr_private_segment_buffer 1
		.amdhsa_user_sgpr_dispatch_ptr 0
		.amdhsa_user_sgpr_queue_ptr 0
		.amdhsa_user_sgpr_kernarg_segment_ptr 1
		.amdhsa_user_sgpr_dispatch_id 0
		.amdhsa_user_sgpr_flat_scratch_init 0
		.amdhsa_user_sgpr_kernarg_preload_length 0
		.amdhsa_user_sgpr_kernarg_preload_offset 0
		.amdhsa_user_sgpr_private_segment_size 0
		.amdhsa_uses_dynamic_stack 0
		.amdhsa_system_sgpr_private_segment_wavefront_offset 0
		.amdhsa_system_sgpr_workgroup_id_x 1
		.amdhsa_system_sgpr_workgroup_id_y 0
		.amdhsa_system_sgpr_workgroup_id_z 0
		.amdhsa_system_sgpr_workgroup_info 0
		.amdhsa_system_vgpr_workitem_id 0
		.amdhsa_next_free_vgpr 1
		.amdhsa_next_free_sgpr 0
		.amdhsa_accum_offset 4
		.amdhsa_reserve_vcc 0
		.amdhsa_reserve_flat_scratch 0
		.amdhsa_float_round_mode_32 0
		.amdhsa_float_round_mode_16_64 0
		.amdhsa_float_denorm_mode_32 3
		.amdhsa_float_denorm_mode_16_64 3
		.amdhsa_dx10_clamp 1
		.amdhsa_ieee_mode 1
		.amdhsa_fp16_overflow 0
		.amdhsa_tg_split 0
		.amdhsa_exception_fp_ieee_invalid_op 0
		.amdhsa_exception_fp_denorm_src 0
		.amdhsa_exception_fp_ieee_div_zero 0
		.amdhsa_exception_fp_ieee_overflow 0
		.amdhsa_exception_fp_ieee_underflow 0
		.amdhsa_exception_fp_ieee_inexact 0
		.amdhsa_exception_int_div_zero 0
	.end_amdhsa_kernel
	.section	.text._ZN7rocprim17ROCPRIM_400000_NS6detail17trampoline_kernelINS0_14default_configENS1_20scan_config_selectorIiEEZZNS1_9scan_implILNS1_25lookback_scan_determinismE0ELb0ELb0ES3_N6thrust23THRUST_200600_302600_NS6detail15normal_iteratorINS9_10device_ptrIiEEEENSB_INSC_IfEEEEiNS9_4plusIvEEiEEDaPvRmT3_T4_T5_mT6_P12ihipStream_tbENKUlT_T0_E_clISt17integral_constantIbLb0EESV_IbLb1EEEEDaSR_SS_EUlSR_E0_NS1_11comp_targetILNS1_3genE8ELNS1_11target_archE1030ELNS1_3gpuE2ELNS1_3repE0EEENS1_30default_config_static_selectorELNS0_4arch9wavefront6targetE1EEEvT1_,"axG",@progbits,_ZN7rocprim17ROCPRIM_400000_NS6detail17trampoline_kernelINS0_14default_configENS1_20scan_config_selectorIiEEZZNS1_9scan_implILNS1_25lookback_scan_determinismE0ELb0ELb0ES3_N6thrust23THRUST_200600_302600_NS6detail15normal_iteratorINS9_10device_ptrIiEEEENSB_INSC_IfEEEEiNS9_4plusIvEEiEEDaPvRmT3_T4_T5_mT6_P12ihipStream_tbENKUlT_T0_E_clISt17integral_constantIbLb0EESV_IbLb1EEEEDaSR_SS_EUlSR_E0_NS1_11comp_targetILNS1_3genE8ELNS1_11target_archE1030ELNS1_3gpuE2ELNS1_3repE0EEENS1_30default_config_static_selectorELNS0_4arch9wavefront6targetE1EEEvT1_,comdat
.Lfunc_end1712:
	.size	_ZN7rocprim17ROCPRIM_400000_NS6detail17trampoline_kernelINS0_14default_configENS1_20scan_config_selectorIiEEZZNS1_9scan_implILNS1_25lookback_scan_determinismE0ELb0ELb0ES3_N6thrust23THRUST_200600_302600_NS6detail15normal_iteratorINS9_10device_ptrIiEEEENSB_INSC_IfEEEEiNS9_4plusIvEEiEEDaPvRmT3_T4_T5_mT6_P12ihipStream_tbENKUlT_T0_E_clISt17integral_constantIbLb0EESV_IbLb1EEEEDaSR_SS_EUlSR_E0_NS1_11comp_targetILNS1_3genE8ELNS1_11target_archE1030ELNS1_3gpuE2ELNS1_3repE0EEENS1_30default_config_static_selectorELNS0_4arch9wavefront6targetE1EEEvT1_, .Lfunc_end1712-_ZN7rocprim17ROCPRIM_400000_NS6detail17trampoline_kernelINS0_14default_configENS1_20scan_config_selectorIiEEZZNS1_9scan_implILNS1_25lookback_scan_determinismE0ELb0ELb0ES3_N6thrust23THRUST_200600_302600_NS6detail15normal_iteratorINS9_10device_ptrIiEEEENSB_INSC_IfEEEEiNS9_4plusIvEEiEEDaPvRmT3_T4_T5_mT6_P12ihipStream_tbENKUlT_T0_E_clISt17integral_constantIbLb0EESV_IbLb1EEEEDaSR_SS_EUlSR_E0_NS1_11comp_targetILNS1_3genE8ELNS1_11target_archE1030ELNS1_3gpuE2ELNS1_3repE0EEENS1_30default_config_static_selectorELNS0_4arch9wavefront6targetE1EEEvT1_
                                        ; -- End function
	.section	.AMDGPU.csdata,"",@progbits
; Kernel info:
; codeLenInByte = 0
; NumSgprs: 4
; NumVgprs: 0
; NumAgprs: 0
; TotalNumVgprs: 0
; ScratchSize: 0
; MemoryBound: 0
; FloatMode: 240
; IeeeMode: 1
; LDSByteSize: 0 bytes/workgroup (compile time only)
; SGPRBlocks: 0
; VGPRBlocks: 0
; NumSGPRsForWavesPerEU: 4
; NumVGPRsForWavesPerEU: 1
; AccumOffset: 4
; Occupancy: 8
; WaveLimiterHint : 0
; COMPUTE_PGM_RSRC2:SCRATCH_EN: 0
; COMPUTE_PGM_RSRC2:USER_SGPR: 6
; COMPUTE_PGM_RSRC2:TRAP_HANDLER: 0
; COMPUTE_PGM_RSRC2:TGID_X_EN: 1
; COMPUTE_PGM_RSRC2:TGID_Y_EN: 0
; COMPUTE_PGM_RSRC2:TGID_Z_EN: 0
; COMPUTE_PGM_RSRC2:TIDIG_COMP_CNT: 0
; COMPUTE_PGM_RSRC3_GFX90A:ACCUM_OFFSET: 0
; COMPUTE_PGM_RSRC3_GFX90A:TG_SPLIT: 0
	.section	.text._ZN6thrust23THRUST_200600_302600_NS11hip_rocprim14__parallel_for6kernelILj256ENS1_11__transform17unary_transform_fINS0_10device_ptrIiEENS6_IfEENS4_14no_stencil_tagENS0_8identityIiEENS4_21always_true_predicateEEElLj1EEEvT0_T1_SF_,"axG",@progbits,_ZN6thrust23THRUST_200600_302600_NS11hip_rocprim14__parallel_for6kernelILj256ENS1_11__transform17unary_transform_fINS0_10device_ptrIiEENS6_IfEENS4_14no_stencil_tagENS0_8identityIiEENS4_21always_true_predicateEEElLj1EEEvT0_T1_SF_,comdat
	.protected	_ZN6thrust23THRUST_200600_302600_NS11hip_rocprim14__parallel_for6kernelILj256ENS1_11__transform17unary_transform_fINS0_10device_ptrIiEENS6_IfEENS4_14no_stencil_tagENS0_8identityIiEENS4_21always_true_predicateEEElLj1EEEvT0_T1_SF_ ; -- Begin function _ZN6thrust23THRUST_200600_302600_NS11hip_rocprim14__parallel_for6kernelILj256ENS1_11__transform17unary_transform_fINS0_10device_ptrIiEENS6_IfEENS4_14no_stencil_tagENS0_8identityIiEENS4_21always_true_predicateEEElLj1EEEvT0_T1_SF_
	.globl	_ZN6thrust23THRUST_200600_302600_NS11hip_rocprim14__parallel_for6kernelILj256ENS1_11__transform17unary_transform_fINS0_10device_ptrIiEENS6_IfEENS4_14no_stencil_tagENS0_8identityIiEENS4_21always_true_predicateEEElLj1EEEvT0_T1_SF_
	.p2align	8
	.type	_ZN6thrust23THRUST_200600_302600_NS11hip_rocprim14__parallel_for6kernelILj256ENS1_11__transform17unary_transform_fINS0_10device_ptrIiEENS6_IfEENS4_14no_stencil_tagENS0_8identityIiEENS4_21always_true_predicateEEElLj1EEEvT0_T1_SF_,@function
_ZN6thrust23THRUST_200600_302600_NS11hip_rocprim14__parallel_for6kernelILj256ENS1_11__transform17unary_transform_fINS0_10device_ptrIiEENS6_IfEENS4_14no_stencil_tagENS0_8identityIiEENS4_21always_true_predicateEEElLj1EEEvT0_T1_SF_: ; @_ZN6thrust23THRUST_200600_302600_NS11hip_rocprim14__parallel_for6kernelILj256ENS1_11__transform17unary_transform_fINS0_10device_ptrIiEENS6_IfEENS4_14no_stencil_tagENS0_8identityIiEENS4_21always_true_predicateEEElLj1EEEvT0_T1_SF_
; %bb.0:
	s_load_dwordx4 s[8:11], s[4:5], 0x18
	s_load_dwordx4 s[0:3], s[4:5], 0x0
	s_lshl_b32 s4, s6, 8
	v_mov_b32_e32 v2, 0x100
	v_mov_b32_e32 v3, 0
	s_waitcnt lgkmcnt(0)
	s_add_u32 s6, s4, s10
	s_addc_u32 s7, 0, s11
	s_sub_u32 s4, s8, s6
	s_subb_u32 s5, s9, s7
	v_cmp_lt_i64_e32 vcc, s[4:5], v[2:3]
	s_and_b64 s[8:9], vcc, exec
	s_cselect_b32 s8, s4, 0x100
	s_cmpk_lg_i32 s8, 0x100
	s_mov_b64 s[4:5], -1
	s_cbranch_scc1 .LBB1713_3
; %bb.1:
	s_andn2_b64 vcc, exec, s[4:5]
	s_cbranch_vccz .LBB1713_6
.LBB1713_2:
	s_endpgm
.LBB1713_3:
	v_cmp_gt_u32_e32 vcc, s8, v0
	s_and_saveexec_b64 s[4:5], vcc
	s_cbranch_execz .LBB1713_5
; %bb.4:
	v_mov_b32_e32 v1, s7
	v_add_co_u32_e32 v2, vcc, s6, v0
	v_addc_co_u32_e32 v3, vcc, 0, v1, vcc
	v_lshlrev_b64 v[2:3], 2, v[2:3]
	v_mov_b32_e32 v1, s1
	v_add_co_u32_e32 v4, vcc, s0, v2
	v_addc_co_u32_e32 v5, vcc, v1, v3, vcc
	flat_load_dword v1, v[4:5]
	v_mov_b32_e32 v4, s3
	v_add_co_u32_e32 v2, vcc, s2, v2
	v_addc_co_u32_e32 v3, vcc, v4, v3, vcc
	s_waitcnt vmcnt(0) lgkmcnt(0)
	v_cvt_f32_i32_e32 v1, v1
	flat_store_dword v[2:3], v1
.LBB1713_5:
	s_or_b64 exec, exec, s[4:5]
	s_cbranch_execnz .LBB1713_2
.LBB1713_6:
	v_mov_b32_e32 v1, s7
	v_add_co_u32_e32 v0, vcc, s6, v0
	v_addc_co_u32_e32 v1, vcc, 0, v1, vcc
	v_lshlrev_b64 v[0:1], 2, v[0:1]
	v_mov_b32_e32 v3, s1
	v_add_co_u32_e32 v2, vcc, s0, v0
	v_addc_co_u32_e32 v3, vcc, v3, v1, vcc
	flat_load_dword v2, v[2:3]
	v_mov_b32_e32 v3, s3
	v_add_co_u32_e32 v0, vcc, s2, v0
	v_addc_co_u32_e32 v1, vcc, v3, v1, vcc
	s_waitcnt vmcnt(0) lgkmcnt(0)
	v_cvt_f32_i32_e32 v2, v2
	flat_store_dword v[0:1], v2
	s_endpgm
	.section	.rodata,"a",@progbits
	.p2align	6, 0x0
	.amdhsa_kernel _ZN6thrust23THRUST_200600_302600_NS11hip_rocprim14__parallel_for6kernelILj256ENS1_11__transform17unary_transform_fINS0_10device_ptrIiEENS6_IfEENS4_14no_stencil_tagENS0_8identityIiEENS4_21always_true_predicateEEElLj1EEEvT0_T1_SF_
		.amdhsa_group_segment_fixed_size 0
		.amdhsa_private_segment_fixed_size 0
		.amdhsa_kernarg_size 40
		.amdhsa_user_sgpr_count 6
		.amdhsa_user_sgpr_private_segment_buffer 1
		.amdhsa_user_sgpr_dispatch_ptr 0
		.amdhsa_user_sgpr_queue_ptr 0
		.amdhsa_user_sgpr_kernarg_segment_ptr 1
		.amdhsa_user_sgpr_dispatch_id 0
		.amdhsa_user_sgpr_flat_scratch_init 0
		.amdhsa_user_sgpr_kernarg_preload_length 0
		.amdhsa_user_sgpr_kernarg_preload_offset 0
		.amdhsa_user_sgpr_private_segment_size 0
		.amdhsa_uses_dynamic_stack 0
		.amdhsa_system_sgpr_private_segment_wavefront_offset 0
		.amdhsa_system_sgpr_workgroup_id_x 1
		.amdhsa_system_sgpr_workgroup_id_y 0
		.amdhsa_system_sgpr_workgroup_id_z 0
		.amdhsa_system_sgpr_workgroup_info 0
		.amdhsa_system_vgpr_workitem_id 0
		.amdhsa_next_free_vgpr 6
		.amdhsa_next_free_sgpr 12
		.amdhsa_accum_offset 8
		.amdhsa_reserve_vcc 1
		.amdhsa_reserve_flat_scratch 0
		.amdhsa_float_round_mode_32 0
		.amdhsa_float_round_mode_16_64 0
		.amdhsa_float_denorm_mode_32 3
		.amdhsa_float_denorm_mode_16_64 3
		.amdhsa_dx10_clamp 1
		.amdhsa_ieee_mode 1
		.amdhsa_fp16_overflow 0
		.amdhsa_tg_split 0
		.amdhsa_exception_fp_ieee_invalid_op 0
		.amdhsa_exception_fp_denorm_src 0
		.amdhsa_exception_fp_ieee_div_zero 0
		.amdhsa_exception_fp_ieee_overflow 0
		.amdhsa_exception_fp_ieee_underflow 0
		.amdhsa_exception_fp_ieee_inexact 0
		.amdhsa_exception_int_div_zero 0
	.end_amdhsa_kernel
	.section	.text._ZN6thrust23THRUST_200600_302600_NS11hip_rocprim14__parallel_for6kernelILj256ENS1_11__transform17unary_transform_fINS0_10device_ptrIiEENS6_IfEENS4_14no_stencil_tagENS0_8identityIiEENS4_21always_true_predicateEEElLj1EEEvT0_T1_SF_,"axG",@progbits,_ZN6thrust23THRUST_200600_302600_NS11hip_rocprim14__parallel_for6kernelILj256ENS1_11__transform17unary_transform_fINS0_10device_ptrIiEENS6_IfEENS4_14no_stencil_tagENS0_8identityIiEENS4_21always_true_predicateEEElLj1EEEvT0_T1_SF_,comdat
.Lfunc_end1713:
	.size	_ZN6thrust23THRUST_200600_302600_NS11hip_rocprim14__parallel_for6kernelILj256ENS1_11__transform17unary_transform_fINS0_10device_ptrIiEENS6_IfEENS4_14no_stencil_tagENS0_8identityIiEENS4_21always_true_predicateEEElLj1EEEvT0_T1_SF_, .Lfunc_end1713-_ZN6thrust23THRUST_200600_302600_NS11hip_rocprim14__parallel_for6kernelILj256ENS1_11__transform17unary_transform_fINS0_10device_ptrIiEENS6_IfEENS4_14no_stencil_tagENS0_8identityIiEENS4_21always_true_predicateEEElLj1EEEvT0_T1_SF_
                                        ; -- End function
	.section	.AMDGPU.csdata,"",@progbits
; Kernel info:
; codeLenInByte = 252
; NumSgprs: 16
; NumVgprs: 6
; NumAgprs: 0
; TotalNumVgprs: 6
; ScratchSize: 0
; MemoryBound: 0
; FloatMode: 240
; IeeeMode: 1
; LDSByteSize: 0 bytes/workgroup (compile time only)
; SGPRBlocks: 1
; VGPRBlocks: 0
; NumSGPRsForWavesPerEU: 16
; NumVGPRsForWavesPerEU: 6
; AccumOffset: 8
; Occupancy: 8
; WaveLimiterHint : 0
; COMPUTE_PGM_RSRC2:SCRATCH_EN: 0
; COMPUTE_PGM_RSRC2:USER_SGPR: 6
; COMPUTE_PGM_RSRC2:TRAP_HANDLER: 0
; COMPUTE_PGM_RSRC2:TGID_X_EN: 1
; COMPUTE_PGM_RSRC2:TGID_Y_EN: 0
; COMPUTE_PGM_RSRC2:TGID_Z_EN: 0
; COMPUTE_PGM_RSRC2:TIDIG_COMP_CNT: 0
; COMPUTE_PGM_RSRC3_GFX90A:ACCUM_OFFSET: 1
; COMPUTE_PGM_RSRC3_GFX90A:TG_SPLIT: 0
	.section	.text._ZN7rocprim17ROCPRIM_400000_NS6detail17trampoline_kernelINS0_14default_configENS1_20scan_config_selectorIfEEZZNS1_9scan_implILNS1_25lookback_scan_determinismE0ELb1ELb1ES3_N6thrust23THRUST_200600_302600_NS6detail15normal_iteratorINS9_10device_ptrIiEEEENSB_INSC_IfEEEEfNS9_4plusIvEEfEEDaPvRmT3_T4_T5_mT6_P12ihipStream_tbENKUlT_T0_E_clISt17integral_constantIbLb0EESW_EEDaSR_SS_EUlSR_E_NS1_11comp_targetILNS1_3genE0ELNS1_11target_archE4294967295ELNS1_3gpuE0ELNS1_3repE0EEENS1_30default_config_static_selectorELNS0_4arch9wavefront6targetE1EEEvT1_,"axG",@progbits,_ZN7rocprim17ROCPRIM_400000_NS6detail17trampoline_kernelINS0_14default_configENS1_20scan_config_selectorIfEEZZNS1_9scan_implILNS1_25lookback_scan_determinismE0ELb1ELb1ES3_N6thrust23THRUST_200600_302600_NS6detail15normal_iteratorINS9_10device_ptrIiEEEENSB_INSC_IfEEEEfNS9_4plusIvEEfEEDaPvRmT3_T4_T5_mT6_P12ihipStream_tbENKUlT_T0_E_clISt17integral_constantIbLb0EESW_EEDaSR_SS_EUlSR_E_NS1_11comp_targetILNS1_3genE0ELNS1_11target_archE4294967295ELNS1_3gpuE0ELNS1_3repE0EEENS1_30default_config_static_selectorELNS0_4arch9wavefront6targetE1EEEvT1_,comdat
	.protected	_ZN7rocprim17ROCPRIM_400000_NS6detail17trampoline_kernelINS0_14default_configENS1_20scan_config_selectorIfEEZZNS1_9scan_implILNS1_25lookback_scan_determinismE0ELb1ELb1ES3_N6thrust23THRUST_200600_302600_NS6detail15normal_iteratorINS9_10device_ptrIiEEEENSB_INSC_IfEEEEfNS9_4plusIvEEfEEDaPvRmT3_T4_T5_mT6_P12ihipStream_tbENKUlT_T0_E_clISt17integral_constantIbLb0EESW_EEDaSR_SS_EUlSR_E_NS1_11comp_targetILNS1_3genE0ELNS1_11target_archE4294967295ELNS1_3gpuE0ELNS1_3repE0EEENS1_30default_config_static_selectorELNS0_4arch9wavefront6targetE1EEEvT1_ ; -- Begin function _ZN7rocprim17ROCPRIM_400000_NS6detail17trampoline_kernelINS0_14default_configENS1_20scan_config_selectorIfEEZZNS1_9scan_implILNS1_25lookback_scan_determinismE0ELb1ELb1ES3_N6thrust23THRUST_200600_302600_NS6detail15normal_iteratorINS9_10device_ptrIiEEEENSB_INSC_IfEEEEfNS9_4plusIvEEfEEDaPvRmT3_T4_T5_mT6_P12ihipStream_tbENKUlT_T0_E_clISt17integral_constantIbLb0EESW_EEDaSR_SS_EUlSR_E_NS1_11comp_targetILNS1_3genE0ELNS1_11target_archE4294967295ELNS1_3gpuE0ELNS1_3repE0EEENS1_30default_config_static_selectorELNS0_4arch9wavefront6targetE1EEEvT1_
	.globl	_ZN7rocprim17ROCPRIM_400000_NS6detail17trampoline_kernelINS0_14default_configENS1_20scan_config_selectorIfEEZZNS1_9scan_implILNS1_25lookback_scan_determinismE0ELb1ELb1ES3_N6thrust23THRUST_200600_302600_NS6detail15normal_iteratorINS9_10device_ptrIiEEEENSB_INSC_IfEEEEfNS9_4plusIvEEfEEDaPvRmT3_T4_T5_mT6_P12ihipStream_tbENKUlT_T0_E_clISt17integral_constantIbLb0EESW_EEDaSR_SS_EUlSR_E_NS1_11comp_targetILNS1_3genE0ELNS1_11target_archE4294967295ELNS1_3gpuE0ELNS1_3repE0EEENS1_30default_config_static_selectorELNS0_4arch9wavefront6targetE1EEEvT1_
	.p2align	8
	.type	_ZN7rocprim17ROCPRIM_400000_NS6detail17trampoline_kernelINS0_14default_configENS1_20scan_config_selectorIfEEZZNS1_9scan_implILNS1_25lookback_scan_determinismE0ELb1ELb1ES3_N6thrust23THRUST_200600_302600_NS6detail15normal_iteratorINS9_10device_ptrIiEEEENSB_INSC_IfEEEEfNS9_4plusIvEEfEEDaPvRmT3_T4_T5_mT6_P12ihipStream_tbENKUlT_T0_E_clISt17integral_constantIbLb0EESW_EEDaSR_SS_EUlSR_E_NS1_11comp_targetILNS1_3genE0ELNS1_11target_archE4294967295ELNS1_3gpuE0ELNS1_3repE0EEENS1_30default_config_static_selectorELNS0_4arch9wavefront6targetE1EEEvT1_,@function
_ZN7rocprim17ROCPRIM_400000_NS6detail17trampoline_kernelINS0_14default_configENS1_20scan_config_selectorIfEEZZNS1_9scan_implILNS1_25lookback_scan_determinismE0ELb1ELb1ES3_N6thrust23THRUST_200600_302600_NS6detail15normal_iteratorINS9_10device_ptrIiEEEENSB_INSC_IfEEEEfNS9_4plusIvEEfEEDaPvRmT3_T4_T5_mT6_P12ihipStream_tbENKUlT_T0_E_clISt17integral_constantIbLb0EESW_EEDaSR_SS_EUlSR_E_NS1_11comp_targetILNS1_3genE0ELNS1_11target_archE4294967295ELNS1_3gpuE0ELNS1_3repE0EEENS1_30default_config_static_selectorELNS0_4arch9wavefront6targetE1EEEvT1_: ; @_ZN7rocprim17ROCPRIM_400000_NS6detail17trampoline_kernelINS0_14default_configENS1_20scan_config_selectorIfEEZZNS1_9scan_implILNS1_25lookback_scan_determinismE0ELb1ELb1ES3_N6thrust23THRUST_200600_302600_NS6detail15normal_iteratorINS9_10device_ptrIiEEEENSB_INSC_IfEEEEfNS9_4plusIvEEfEEDaPvRmT3_T4_T5_mT6_P12ihipStream_tbENKUlT_T0_E_clISt17integral_constantIbLb0EESW_EEDaSR_SS_EUlSR_E_NS1_11comp_targetILNS1_3genE0ELNS1_11target_archE4294967295ELNS1_3gpuE0ELNS1_3repE0EEENS1_30default_config_static_selectorELNS0_4arch9wavefront6targetE1EEEvT1_
; %bb.0:
	.section	.rodata,"a",@progbits
	.p2align	6, 0x0
	.amdhsa_kernel _ZN7rocprim17ROCPRIM_400000_NS6detail17trampoline_kernelINS0_14default_configENS1_20scan_config_selectorIfEEZZNS1_9scan_implILNS1_25lookback_scan_determinismE0ELb1ELb1ES3_N6thrust23THRUST_200600_302600_NS6detail15normal_iteratorINS9_10device_ptrIiEEEENSB_INSC_IfEEEEfNS9_4plusIvEEfEEDaPvRmT3_T4_T5_mT6_P12ihipStream_tbENKUlT_T0_E_clISt17integral_constantIbLb0EESW_EEDaSR_SS_EUlSR_E_NS1_11comp_targetILNS1_3genE0ELNS1_11target_archE4294967295ELNS1_3gpuE0ELNS1_3repE0EEENS1_30default_config_static_selectorELNS0_4arch9wavefront6targetE1EEEvT1_
		.amdhsa_group_segment_fixed_size 0
		.amdhsa_private_segment_fixed_size 0
		.amdhsa_kernarg_size 96
		.amdhsa_user_sgpr_count 6
		.amdhsa_user_sgpr_private_segment_buffer 1
		.amdhsa_user_sgpr_dispatch_ptr 0
		.amdhsa_user_sgpr_queue_ptr 0
		.amdhsa_user_sgpr_kernarg_segment_ptr 1
		.amdhsa_user_sgpr_dispatch_id 0
		.amdhsa_user_sgpr_flat_scratch_init 0
		.amdhsa_user_sgpr_kernarg_preload_length 0
		.amdhsa_user_sgpr_kernarg_preload_offset 0
		.amdhsa_user_sgpr_private_segment_size 0
		.amdhsa_uses_dynamic_stack 0
		.amdhsa_system_sgpr_private_segment_wavefront_offset 0
		.amdhsa_system_sgpr_workgroup_id_x 1
		.amdhsa_system_sgpr_workgroup_id_y 0
		.amdhsa_system_sgpr_workgroup_id_z 0
		.amdhsa_system_sgpr_workgroup_info 0
		.amdhsa_system_vgpr_workitem_id 0
		.amdhsa_next_free_vgpr 1
		.amdhsa_next_free_sgpr 0
		.amdhsa_accum_offset 4
		.amdhsa_reserve_vcc 0
		.amdhsa_reserve_flat_scratch 0
		.amdhsa_float_round_mode_32 0
		.amdhsa_float_round_mode_16_64 0
		.amdhsa_float_denorm_mode_32 3
		.amdhsa_float_denorm_mode_16_64 3
		.amdhsa_dx10_clamp 1
		.amdhsa_ieee_mode 1
		.amdhsa_fp16_overflow 0
		.amdhsa_tg_split 0
		.amdhsa_exception_fp_ieee_invalid_op 0
		.amdhsa_exception_fp_denorm_src 0
		.amdhsa_exception_fp_ieee_div_zero 0
		.amdhsa_exception_fp_ieee_overflow 0
		.amdhsa_exception_fp_ieee_underflow 0
		.amdhsa_exception_fp_ieee_inexact 0
		.amdhsa_exception_int_div_zero 0
	.end_amdhsa_kernel
	.section	.text._ZN7rocprim17ROCPRIM_400000_NS6detail17trampoline_kernelINS0_14default_configENS1_20scan_config_selectorIfEEZZNS1_9scan_implILNS1_25lookback_scan_determinismE0ELb1ELb1ES3_N6thrust23THRUST_200600_302600_NS6detail15normal_iteratorINS9_10device_ptrIiEEEENSB_INSC_IfEEEEfNS9_4plusIvEEfEEDaPvRmT3_T4_T5_mT6_P12ihipStream_tbENKUlT_T0_E_clISt17integral_constantIbLb0EESW_EEDaSR_SS_EUlSR_E_NS1_11comp_targetILNS1_3genE0ELNS1_11target_archE4294967295ELNS1_3gpuE0ELNS1_3repE0EEENS1_30default_config_static_selectorELNS0_4arch9wavefront6targetE1EEEvT1_,"axG",@progbits,_ZN7rocprim17ROCPRIM_400000_NS6detail17trampoline_kernelINS0_14default_configENS1_20scan_config_selectorIfEEZZNS1_9scan_implILNS1_25lookback_scan_determinismE0ELb1ELb1ES3_N6thrust23THRUST_200600_302600_NS6detail15normal_iteratorINS9_10device_ptrIiEEEENSB_INSC_IfEEEEfNS9_4plusIvEEfEEDaPvRmT3_T4_T5_mT6_P12ihipStream_tbENKUlT_T0_E_clISt17integral_constantIbLb0EESW_EEDaSR_SS_EUlSR_E_NS1_11comp_targetILNS1_3genE0ELNS1_11target_archE4294967295ELNS1_3gpuE0ELNS1_3repE0EEENS1_30default_config_static_selectorELNS0_4arch9wavefront6targetE1EEEvT1_,comdat
.Lfunc_end1714:
	.size	_ZN7rocprim17ROCPRIM_400000_NS6detail17trampoline_kernelINS0_14default_configENS1_20scan_config_selectorIfEEZZNS1_9scan_implILNS1_25lookback_scan_determinismE0ELb1ELb1ES3_N6thrust23THRUST_200600_302600_NS6detail15normal_iteratorINS9_10device_ptrIiEEEENSB_INSC_IfEEEEfNS9_4plusIvEEfEEDaPvRmT3_T4_T5_mT6_P12ihipStream_tbENKUlT_T0_E_clISt17integral_constantIbLb0EESW_EEDaSR_SS_EUlSR_E_NS1_11comp_targetILNS1_3genE0ELNS1_11target_archE4294967295ELNS1_3gpuE0ELNS1_3repE0EEENS1_30default_config_static_selectorELNS0_4arch9wavefront6targetE1EEEvT1_, .Lfunc_end1714-_ZN7rocprim17ROCPRIM_400000_NS6detail17trampoline_kernelINS0_14default_configENS1_20scan_config_selectorIfEEZZNS1_9scan_implILNS1_25lookback_scan_determinismE0ELb1ELb1ES3_N6thrust23THRUST_200600_302600_NS6detail15normal_iteratorINS9_10device_ptrIiEEEENSB_INSC_IfEEEEfNS9_4plusIvEEfEEDaPvRmT3_T4_T5_mT6_P12ihipStream_tbENKUlT_T0_E_clISt17integral_constantIbLb0EESW_EEDaSR_SS_EUlSR_E_NS1_11comp_targetILNS1_3genE0ELNS1_11target_archE4294967295ELNS1_3gpuE0ELNS1_3repE0EEENS1_30default_config_static_selectorELNS0_4arch9wavefront6targetE1EEEvT1_
                                        ; -- End function
	.section	.AMDGPU.csdata,"",@progbits
; Kernel info:
; codeLenInByte = 0
; NumSgprs: 4
; NumVgprs: 0
; NumAgprs: 0
; TotalNumVgprs: 0
; ScratchSize: 0
; MemoryBound: 0
; FloatMode: 240
; IeeeMode: 1
; LDSByteSize: 0 bytes/workgroup (compile time only)
; SGPRBlocks: 0
; VGPRBlocks: 0
; NumSGPRsForWavesPerEU: 4
; NumVGPRsForWavesPerEU: 1
; AccumOffset: 4
; Occupancy: 8
; WaveLimiterHint : 0
; COMPUTE_PGM_RSRC2:SCRATCH_EN: 0
; COMPUTE_PGM_RSRC2:USER_SGPR: 6
; COMPUTE_PGM_RSRC2:TRAP_HANDLER: 0
; COMPUTE_PGM_RSRC2:TGID_X_EN: 1
; COMPUTE_PGM_RSRC2:TGID_Y_EN: 0
; COMPUTE_PGM_RSRC2:TGID_Z_EN: 0
; COMPUTE_PGM_RSRC2:TIDIG_COMP_CNT: 0
; COMPUTE_PGM_RSRC3_GFX90A:ACCUM_OFFSET: 0
; COMPUTE_PGM_RSRC3_GFX90A:TG_SPLIT: 0
	.section	.text._ZN7rocprim17ROCPRIM_400000_NS6detail17trampoline_kernelINS0_14default_configENS1_20scan_config_selectorIfEEZZNS1_9scan_implILNS1_25lookback_scan_determinismE0ELb1ELb1ES3_N6thrust23THRUST_200600_302600_NS6detail15normal_iteratorINS9_10device_ptrIiEEEENSB_INSC_IfEEEEfNS9_4plusIvEEfEEDaPvRmT3_T4_T5_mT6_P12ihipStream_tbENKUlT_T0_E_clISt17integral_constantIbLb0EESW_EEDaSR_SS_EUlSR_E_NS1_11comp_targetILNS1_3genE5ELNS1_11target_archE942ELNS1_3gpuE9ELNS1_3repE0EEENS1_30default_config_static_selectorELNS0_4arch9wavefront6targetE1EEEvT1_,"axG",@progbits,_ZN7rocprim17ROCPRIM_400000_NS6detail17trampoline_kernelINS0_14default_configENS1_20scan_config_selectorIfEEZZNS1_9scan_implILNS1_25lookback_scan_determinismE0ELb1ELb1ES3_N6thrust23THRUST_200600_302600_NS6detail15normal_iteratorINS9_10device_ptrIiEEEENSB_INSC_IfEEEEfNS9_4plusIvEEfEEDaPvRmT3_T4_T5_mT6_P12ihipStream_tbENKUlT_T0_E_clISt17integral_constantIbLb0EESW_EEDaSR_SS_EUlSR_E_NS1_11comp_targetILNS1_3genE5ELNS1_11target_archE942ELNS1_3gpuE9ELNS1_3repE0EEENS1_30default_config_static_selectorELNS0_4arch9wavefront6targetE1EEEvT1_,comdat
	.protected	_ZN7rocprim17ROCPRIM_400000_NS6detail17trampoline_kernelINS0_14default_configENS1_20scan_config_selectorIfEEZZNS1_9scan_implILNS1_25lookback_scan_determinismE0ELb1ELb1ES3_N6thrust23THRUST_200600_302600_NS6detail15normal_iteratorINS9_10device_ptrIiEEEENSB_INSC_IfEEEEfNS9_4plusIvEEfEEDaPvRmT3_T4_T5_mT6_P12ihipStream_tbENKUlT_T0_E_clISt17integral_constantIbLb0EESW_EEDaSR_SS_EUlSR_E_NS1_11comp_targetILNS1_3genE5ELNS1_11target_archE942ELNS1_3gpuE9ELNS1_3repE0EEENS1_30default_config_static_selectorELNS0_4arch9wavefront6targetE1EEEvT1_ ; -- Begin function _ZN7rocprim17ROCPRIM_400000_NS6detail17trampoline_kernelINS0_14default_configENS1_20scan_config_selectorIfEEZZNS1_9scan_implILNS1_25lookback_scan_determinismE0ELb1ELb1ES3_N6thrust23THRUST_200600_302600_NS6detail15normal_iteratorINS9_10device_ptrIiEEEENSB_INSC_IfEEEEfNS9_4plusIvEEfEEDaPvRmT3_T4_T5_mT6_P12ihipStream_tbENKUlT_T0_E_clISt17integral_constantIbLb0EESW_EEDaSR_SS_EUlSR_E_NS1_11comp_targetILNS1_3genE5ELNS1_11target_archE942ELNS1_3gpuE9ELNS1_3repE0EEENS1_30default_config_static_selectorELNS0_4arch9wavefront6targetE1EEEvT1_
	.globl	_ZN7rocprim17ROCPRIM_400000_NS6detail17trampoline_kernelINS0_14default_configENS1_20scan_config_selectorIfEEZZNS1_9scan_implILNS1_25lookback_scan_determinismE0ELb1ELb1ES3_N6thrust23THRUST_200600_302600_NS6detail15normal_iteratorINS9_10device_ptrIiEEEENSB_INSC_IfEEEEfNS9_4plusIvEEfEEDaPvRmT3_T4_T5_mT6_P12ihipStream_tbENKUlT_T0_E_clISt17integral_constantIbLb0EESW_EEDaSR_SS_EUlSR_E_NS1_11comp_targetILNS1_3genE5ELNS1_11target_archE942ELNS1_3gpuE9ELNS1_3repE0EEENS1_30default_config_static_selectorELNS0_4arch9wavefront6targetE1EEEvT1_
	.p2align	8
	.type	_ZN7rocprim17ROCPRIM_400000_NS6detail17trampoline_kernelINS0_14default_configENS1_20scan_config_selectorIfEEZZNS1_9scan_implILNS1_25lookback_scan_determinismE0ELb1ELb1ES3_N6thrust23THRUST_200600_302600_NS6detail15normal_iteratorINS9_10device_ptrIiEEEENSB_INSC_IfEEEEfNS9_4plusIvEEfEEDaPvRmT3_T4_T5_mT6_P12ihipStream_tbENKUlT_T0_E_clISt17integral_constantIbLb0EESW_EEDaSR_SS_EUlSR_E_NS1_11comp_targetILNS1_3genE5ELNS1_11target_archE942ELNS1_3gpuE9ELNS1_3repE0EEENS1_30default_config_static_selectorELNS0_4arch9wavefront6targetE1EEEvT1_,@function
_ZN7rocprim17ROCPRIM_400000_NS6detail17trampoline_kernelINS0_14default_configENS1_20scan_config_selectorIfEEZZNS1_9scan_implILNS1_25lookback_scan_determinismE0ELb1ELb1ES3_N6thrust23THRUST_200600_302600_NS6detail15normal_iteratorINS9_10device_ptrIiEEEENSB_INSC_IfEEEEfNS9_4plusIvEEfEEDaPvRmT3_T4_T5_mT6_P12ihipStream_tbENKUlT_T0_E_clISt17integral_constantIbLb0EESW_EEDaSR_SS_EUlSR_E_NS1_11comp_targetILNS1_3genE5ELNS1_11target_archE942ELNS1_3gpuE9ELNS1_3repE0EEENS1_30default_config_static_selectorELNS0_4arch9wavefront6targetE1EEEvT1_: ; @_ZN7rocprim17ROCPRIM_400000_NS6detail17trampoline_kernelINS0_14default_configENS1_20scan_config_selectorIfEEZZNS1_9scan_implILNS1_25lookback_scan_determinismE0ELb1ELb1ES3_N6thrust23THRUST_200600_302600_NS6detail15normal_iteratorINS9_10device_ptrIiEEEENSB_INSC_IfEEEEfNS9_4plusIvEEfEEDaPvRmT3_T4_T5_mT6_P12ihipStream_tbENKUlT_T0_E_clISt17integral_constantIbLb0EESW_EEDaSR_SS_EUlSR_E_NS1_11comp_targetILNS1_3genE5ELNS1_11target_archE942ELNS1_3gpuE9ELNS1_3repE0EEENS1_30default_config_static_selectorELNS0_4arch9wavefront6targetE1EEEvT1_
; %bb.0:
	.section	.rodata,"a",@progbits
	.p2align	6, 0x0
	.amdhsa_kernel _ZN7rocprim17ROCPRIM_400000_NS6detail17trampoline_kernelINS0_14default_configENS1_20scan_config_selectorIfEEZZNS1_9scan_implILNS1_25lookback_scan_determinismE0ELb1ELb1ES3_N6thrust23THRUST_200600_302600_NS6detail15normal_iteratorINS9_10device_ptrIiEEEENSB_INSC_IfEEEEfNS9_4plusIvEEfEEDaPvRmT3_T4_T5_mT6_P12ihipStream_tbENKUlT_T0_E_clISt17integral_constantIbLb0EESW_EEDaSR_SS_EUlSR_E_NS1_11comp_targetILNS1_3genE5ELNS1_11target_archE942ELNS1_3gpuE9ELNS1_3repE0EEENS1_30default_config_static_selectorELNS0_4arch9wavefront6targetE1EEEvT1_
		.amdhsa_group_segment_fixed_size 0
		.amdhsa_private_segment_fixed_size 0
		.amdhsa_kernarg_size 96
		.amdhsa_user_sgpr_count 6
		.amdhsa_user_sgpr_private_segment_buffer 1
		.amdhsa_user_sgpr_dispatch_ptr 0
		.amdhsa_user_sgpr_queue_ptr 0
		.amdhsa_user_sgpr_kernarg_segment_ptr 1
		.amdhsa_user_sgpr_dispatch_id 0
		.amdhsa_user_sgpr_flat_scratch_init 0
		.amdhsa_user_sgpr_kernarg_preload_length 0
		.amdhsa_user_sgpr_kernarg_preload_offset 0
		.amdhsa_user_sgpr_private_segment_size 0
		.amdhsa_uses_dynamic_stack 0
		.amdhsa_system_sgpr_private_segment_wavefront_offset 0
		.amdhsa_system_sgpr_workgroup_id_x 1
		.amdhsa_system_sgpr_workgroup_id_y 0
		.amdhsa_system_sgpr_workgroup_id_z 0
		.amdhsa_system_sgpr_workgroup_info 0
		.amdhsa_system_vgpr_workitem_id 0
		.amdhsa_next_free_vgpr 1
		.amdhsa_next_free_sgpr 0
		.amdhsa_accum_offset 4
		.amdhsa_reserve_vcc 0
		.amdhsa_reserve_flat_scratch 0
		.amdhsa_float_round_mode_32 0
		.amdhsa_float_round_mode_16_64 0
		.amdhsa_float_denorm_mode_32 3
		.amdhsa_float_denorm_mode_16_64 3
		.amdhsa_dx10_clamp 1
		.amdhsa_ieee_mode 1
		.amdhsa_fp16_overflow 0
		.amdhsa_tg_split 0
		.amdhsa_exception_fp_ieee_invalid_op 0
		.amdhsa_exception_fp_denorm_src 0
		.amdhsa_exception_fp_ieee_div_zero 0
		.amdhsa_exception_fp_ieee_overflow 0
		.amdhsa_exception_fp_ieee_underflow 0
		.amdhsa_exception_fp_ieee_inexact 0
		.amdhsa_exception_int_div_zero 0
	.end_amdhsa_kernel
	.section	.text._ZN7rocprim17ROCPRIM_400000_NS6detail17trampoline_kernelINS0_14default_configENS1_20scan_config_selectorIfEEZZNS1_9scan_implILNS1_25lookback_scan_determinismE0ELb1ELb1ES3_N6thrust23THRUST_200600_302600_NS6detail15normal_iteratorINS9_10device_ptrIiEEEENSB_INSC_IfEEEEfNS9_4plusIvEEfEEDaPvRmT3_T4_T5_mT6_P12ihipStream_tbENKUlT_T0_E_clISt17integral_constantIbLb0EESW_EEDaSR_SS_EUlSR_E_NS1_11comp_targetILNS1_3genE5ELNS1_11target_archE942ELNS1_3gpuE9ELNS1_3repE0EEENS1_30default_config_static_selectorELNS0_4arch9wavefront6targetE1EEEvT1_,"axG",@progbits,_ZN7rocprim17ROCPRIM_400000_NS6detail17trampoline_kernelINS0_14default_configENS1_20scan_config_selectorIfEEZZNS1_9scan_implILNS1_25lookback_scan_determinismE0ELb1ELb1ES3_N6thrust23THRUST_200600_302600_NS6detail15normal_iteratorINS9_10device_ptrIiEEEENSB_INSC_IfEEEEfNS9_4plusIvEEfEEDaPvRmT3_T4_T5_mT6_P12ihipStream_tbENKUlT_T0_E_clISt17integral_constantIbLb0EESW_EEDaSR_SS_EUlSR_E_NS1_11comp_targetILNS1_3genE5ELNS1_11target_archE942ELNS1_3gpuE9ELNS1_3repE0EEENS1_30default_config_static_selectorELNS0_4arch9wavefront6targetE1EEEvT1_,comdat
.Lfunc_end1715:
	.size	_ZN7rocprim17ROCPRIM_400000_NS6detail17trampoline_kernelINS0_14default_configENS1_20scan_config_selectorIfEEZZNS1_9scan_implILNS1_25lookback_scan_determinismE0ELb1ELb1ES3_N6thrust23THRUST_200600_302600_NS6detail15normal_iteratorINS9_10device_ptrIiEEEENSB_INSC_IfEEEEfNS9_4plusIvEEfEEDaPvRmT3_T4_T5_mT6_P12ihipStream_tbENKUlT_T0_E_clISt17integral_constantIbLb0EESW_EEDaSR_SS_EUlSR_E_NS1_11comp_targetILNS1_3genE5ELNS1_11target_archE942ELNS1_3gpuE9ELNS1_3repE0EEENS1_30default_config_static_selectorELNS0_4arch9wavefront6targetE1EEEvT1_, .Lfunc_end1715-_ZN7rocprim17ROCPRIM_400000_NS6detail17trampoline_kernelINS0_14default_configENS1_20scan_config_selectorIfEEZZNS1_9scan_implILNS1_25lookback_scan_determinismE0ELb1ELb1ES3_N6thrust23THRUST_200600_302600_NS6detail15normal_iteratorINS9_10device_ptrIiEEEENSB_INSC_IfEEEEfNS9_4plusIvEEfEEDaPvRmT3_T4_T5_mT6_P12ihipStream_tbENKUlT_T0_E_clISt17integral_constantIbLb0EESW_EEDaSR_SS_EUlSR_E_NS1_11comp_targetILNS1_3genE5ELNS1_11target_archE942ELNS1_3gpuE9ELNS1_3repE0EEENS1_30default_config_static_selectorELNS0_4arch9wavefront6targetE1EEEvT1_
                                        ; -- End function
	.section	.AMDGPU.csdata,"",@progbits
; Kernel info:
; codeLenInByte = 0
; NumSgprs: 4
; NumVgprs: 0
; NumAgprs: 0
; TotalNumVgprs: 0
; ScratchSize: 0
; MemoryBound: 0
; FloatMode: 240
; IeeeMode: 1
; LDSByteSize: 0 bytes/workgroup (compile time only)
; SGPRBlocks: 0
; VGPRBlocks: 0
; NumSGPRsForWavesPerEU: 4
; NumVGPRsForWavesPerEU: 1
; AccumOffset: 4
; Occupancy: 8
; WaveLimiterHint : 0
; COMPUTE_PGM_RSRC2:SCRATCH_EN: 0
; COMPUTE_PGM_RSRC2:USER_SGPR: 6
; COMPUTE_PGM_RSRC2:TRAP_HANDLER: 0
; COMPUTE_PGM_RSRC2:TGID_X_EN: 1
; COMPUTE_PGM_RSRC2:TGID_Y_EN: 0
; COMPUTE_PGM_RSRC2:TGID_Z_EN: 0
; COMPUTE_PGM_RSRC2:TIDIG_COMP_CNT: 0
; COMPUTE_PGM_RSRC3_GFX90A:ACCUM_OFFSET: 0
; COMPUTE_PGM_RSRC3_GFX90A:TG_SPLIT: 0
	.section	.text._ZN7rocprim17ROCPRIM_400000_NS6detail17trampoline_kernelINS0_14default_configENS1_20scan_config_selectorIfEEZZNS1_9scan_implILNS1_25lookback_scan_determinismE0ELb1ELb1ES3_N6thrust23THRUST_200600_302600_NS6detail15normal_iteratorINS9_10device_ptrIiEEEENSB_INSC_IfEEEEfNS9_4plusIvEEfEEDaPvRmT3_T4_T5_mT6_P12ihipStream_tbENKUlT_T0_E_clISt17integral_constantIbLb0EESW_EEDaSR_SS_EUlSR_E_NS1_11comp_targetILNS1_3genE4ELNS1_11target_archE910ELNS1_3gpuE8ELNS1_3repE0EEENS1_30default_config_static_selectorELNS0_4arch9wavefront6targetE1EEEvT1_,"axG",@progbits,_ZN7rocprim17ROCPRIM_400000_NS6detail17trampoline_kernelINS0_14default_configENS1_20scan_config_selectorIfEEZZNS1_9scan_implILNS1_25lookback_scan_determinismE0ELb1ELb1ES3_N6thrust23THRUST_200600_302600_NS6detail15normal_iteratorINS9_10device_ptrIiEEEENSB_INSC_IfEEEEfNS9_4plusIvEEfEEDaPvRmT3_T4_T5_mT6_P12ihipStream_tbENKUlT_T0_E_clISt17integral_constantIbLb0EESW_EEDaSR_SS_EUlSR_E_NS1_11comp_targetILNS1_3genE4ELNS1_11target_archE910ELNS1_3gpuE8ELNS1_3repE0EEENS1_30default_config_static_selectorELNS0_4arch9wavefront6targetE1EEEvT1_,comdat
	.protected	_ZN7rocprim17ROCPRIM_400000_NS6detail17trampoline_kernelINS0_14default_configENS1_20scan_config_selectorIfEEZZNS1_9scan_implILNS1_25lookback_scan_determinismE0ELb1ELb1ES3_N6thrust23THRUST_200600_302600_NS6detail15normal_iteratorINS9_10device_ptrIiEEEENSB_INSC_IfEEEEfNS9_4plusIvEEfEEDaPvRmT3_T4_T5_mT6_P12ihipStream_tbENKUlT_T0_E_clISt17integral_constantIbLb0EESW_EEDaSR_SS_EUlSR_E_NS1_11comp_targetILNS1_3genE4ELNS1_11target_archE910ELNS1_3gpuE8ELNS1_3repE0EEENS1_30default_config_static_selectorELNS0_4arch9wavefront6targetE1EEEvT1_ ; -- Begin function _ZN7rocprim17ROCPRIM_400000_NS6detail17trampoline_kernelINS0_14default_configENS1_20scan_config_selectorIfEEZZNS1_9scan_implILNS1_25lookback_scan_determinismE0ELb1ELb1ES3_N6thrust23THRUST_200600_302600_NS6detail15normal_iteratorINS9_10device_ptrIiEEEENSB_INSC_IfEEEEfNS9_4plusIvEEfEEDaPvRmT3_T4_T5_mT6_P12ihipStream_tbENKUlT_T0_E_clISt17integral_constantIbLb0EESW_EEDaSR_SS_EUlSR_E_NS1_11comp_targetILNS1_3genE4ELNS1_11target_archE910ELNS1_3gpuE8ELNS1_3repE0EEENS1_30default_config_static_selectorELNS0_4arch9wavefront6targetE1EEEvT1_
	.globl	_ZN7rocprim17ROCPRIM_400000_NS6detail17trampoline_kernelINS0_14default_configENS1_20scan_config_selectorIfEEZZNS1_9scan_implILNS1_25lookback_scan_determinismE0ELb1ELb1ES3_N6thrust23THRUST_200600_302600_NS6detail15normal_iteratorINS9_10device_ptrIiEEEENSB_INSC_IfEEEEfNS9_4plusIvEEfEEDaPvRmT3_T4_T5_mT6_P12ihipStream_tbENKUlT_T0_E_clISt17integral_constantIbLb0EESW_EEDaSR_SS_EUlSR_E_NS1_11comp_targetILNS1_3genE4ELNS1_11target_archE910ELNS1_3gpuE8ELNS1_3repE0EEENS1_30default_config_static_selectorELNS0_4arch9wavefront6targetE1EEEvT1_
	.p2align	8
	.type	_ZN7rocprim17ROCPRIM_400000_NS6detail17trampoline_kernelINS0_14default_configENS1_20scan_config_selectorIfEEZZNS1_9scan_implILNS1_25lookback_scan_determinismE0ELb1ELb1ES3_N6thrust23THRUST_200600_302600_NS6detail15normal_iteratorINS9_10device_ptrIiEEEENSB_INSC_IfEEEEfNS9_4plusIvEEfEEDaPvRmT3_T4_T5_mT6_P12ihipStream_tbENKUlT_T0_E_clISt17integral_constantIbLb0EESW_EEDaSR_SS_EUlSR_E_NS1_11comp_targetILNS1_3genE4ELNS1_11target_archE910ELNS1_3gpuE8ELNS1_3repE0EEENS1_30default_config_static_selectorELNS0_4arch9wavefront6targetE1EEEvT1_,@function
_ZN7rocprim17ROCPRIM_400000_NS6detail17trampoline_kernelINS0_14default_configENS1_20scan_config_selectorIfEEZZNS1_9scan_implILNS1_25lookback_scan_determinismE0ELb1ELb1ES3_N6thrust23THRUST_200600_302600_NS6detail15normal_iteratorINS9_10device_ptrIiEEEENSB_INSC_IfEEEEfNS9_4plusIvEEfEEDaPvRmT3_T4_T5_mT6_P12ihipStream_tbENKUlT_T0_E_clISt17integral_constantIbLb0EESW_EEDaSR_SS_EUlSR_E_NS1_11comp_targetILNS1_3genE4ELNS1_11target_archE910ELNS1_3gpuE8ELNS1_3repE0EEENS1_30default_config_static_selectorELNS0_4arch9wavefront6targetE1EEEvT1_: ; @_ZN7rocprim17ROCPRIM_400000_NS6detail17trampoline_kernelINS0_14default_configENS1_20scan_config_selectorIfEEZZNS1_9scan_implILNS1_25lookback_scan_determinismE0ELb1ELb1ES3_N6thrust23THRUST_200600_302600_NS6detail15normal_iteratorINS9_10device_ptrIiEEEENSB_INSC_IfEEEEfNS9_4plusIvEEfEEDaPvRmT3_T4_T5_mT6_P12ihipStream_tbENKUlT_T0_E_clISt17integral_constantIbLb0EESW_EEDaSR_SS_EUlSR_E_NS1_11comp_targetILNS1_3genE4ELNS1_11target_archE910ELNS1_3gpuE8ELNS1_3repE0EEENS1_30default_config_static_selectorELNS0_4arch9wavefront6targetE1EEEvT1_
; %bb.0:
	s_load_dwordx8 s[12:19], s[4:5], 0x0
	s_load_dword s1, s[4:5], 0x30
	s_mul_i32 s0, s6, 0x700
	v_lshlrev_b32_e32 v32, 2, v0
	s_waitcnt lgkmcnt(0)
	s_lshl_b64 s[20:21], s[14:15], 2
	s_add_u32 s29, s12, s20
	s_addc_u32 s30, s13, s21
	s_add_i32 s2, s1, -1
	s_mul_i32 s3, s2, 0x700
	s_sub_u32 s7, s18, s3
	s_subb_u32 s28, s19, 0
	s_mov_b32 s1, 0
	s_cmp_lg_u32 s6, s2
	s_cselect_b64 s[18:19], -1, 0
	s_lshl_b64 s[22:23], s[0:1], 2
	s_add_u32 s2, s29, s22
	s_addc_u32 s3, s30, s23
	s_mov_b64 s[0:1], -1
	s_and_b64 vcc, exec, s[18:19]
	s_cbranch_vccz .LBB1716_2
; %bb.1:
	v_mov_b32_e32 v1, s3
	v_add_co_u32_e32 v2, vcc, s2, v32
	v_addc_co_u32_e32 v3, vcc, 0, v1, vcc
	s_movk_i32 s0, 0x1000
	flat_load_dword v1, v[2:3]
	flat_load_dword v4, v[2:3] offset:512
	flat_load_dword v5, v[2:3] offset:1024
	;; [unrolled: 1-line block ×7, first 2 shown]
	v_add_co_u32_e32 v2, vcc, s0, v2
	v_addc_co_u32_e32 v3, vcc, 0, v3, vcc
	flat_load_dword v11, v[2:3]
	flat_load_dword v12, v[2:3] offset:512
	flat_load_dword v13, v[2:3] offset:1024
	;; [unrolled: 1-line block ×5, first 2 shown]
	s_mov_b64 s[0:1], 0
	s_waitcnt vmcnt(0) lgkmcnt(0)
	v_cvt_f32_i32_e32 v1, v1
	v_cvt_f32_i32_e32 v2, v4
	;; [unrolled: 1-line block ×14, first 2 shown]
	ds_write2st64_b32 v32, v1, v2 offset1:2
	ds_write2st64_b32 v32, v3, v4 offset0:4 offset1:6
	ds_write2st64_b32 v32, v5, v6 offset0:8 offset1:10
	;; [unrolled: 1-line block ×6, first 2 shown]
	s_waitcnt lgkmcnt(0)
	s_barrier
.LBB1716_2:
	s_load_dwordx2 s[24:25], s[4:5], 0x28
	s_andn2_b64 vcc, exec, s[0:1]
	v_cmp_gt_u32_e64 s[0:1], s7, v0
	s_cbranch_vccnz .LBB1716_32
; %bb.3:
	v_pk_mov_b32 v[2:3], s[2:3], s[2:3] op_sel:[0,1]
	flat_load_dword v1, v[2:3]
	s_waitcnt vmcnt(0) lgkmcnt(0)
	v_cvt_f32_i32_e32 v1, v1
	v_mov_b32_e32 v2, v1
	v_mov_b32_e32 v3, v1
	;; [unrolled: 1-line block ×12, first 2 shown]
	v_pk_mov_b32 v[16:17], v[14:15], v[14:15] op_sel:[0,1]
	v_pk_mov_b32 v[14:15], v[12:13], v[12:13] op_sel:[0,1]
	;; [unrolled: 1-line block ×8, first 2 shown]
	s_and_saveexec_b64 s[8:9], s[0:1]
	s_cbranch_execz .LBB1716_5
; %bb.4:
	v_mov_b32_e32 v3, s3
	v_add_co_u32_e32 v2, vcc, s2, v32
	v_addc_co_u32_e32 v3, vcc, 0, v3, vcc
	flat_load_dword v11, v[2:3]
	v_mov_b32_e32 v2, v1
	v_mov_b32_e32 v3, v1
	;; [unrolled: 1-line block ×11, first 2 shown]
	s_waitcnt vmcnt(0) lgkmcnt(0)
	v_cvt_f32_i32_e32 v18, v11
	v_mov_b32_e32 v11, v1
	v_pk_mov_b32 v[16:17], v[14:15], v[14:15] op_sel:[0,1]
	v_pk_mov_b32 v[14:15], v[12:13], v[12:13] op_sel:[0,1]
	;; [unrolled: 1-line block ×8, first 2 shown]
	v_mov_b32_e32 v1, v18
.LBB1716_5:
	s_or_b64 exec, exec, s[8:9]
	v_or_b32_e32 v2, 0x80, v0
	v_cmp_gt_u32_e32 vcc, s7, v2
	s_and_saveexec_b64 s[0:1], vcc
	s_cbranch_execz .LBB1716_7
; %bb.6:
	v_mov_b32_e32 v3, s3
	v_add_co_u32_e32 v2, vcc, s2, v32
	v_addc_co_u32_e32 v3, vcc, 0, v3, vcc
	flat_load_dword v2, v[2:3] offset:512
	s_waitcnt vmcnt(0) lgkmcnt(0)
	v_cvt_f32_i32_e32 v3, v2
.LBB1716_7:
	s_or_b64 exec, exec, s[0:1]
	v_or_b32_e32 v2, 0x100, v0
	v_cmp_gt_u32_e32 vcc, s7, v2
	s_and_saveexec_b64 s[0:1], vcc
	s_cbranch_execz .LBB1716_9
; %bb.8:
	v_mov_b32_e32 v2, s3
	v_add_co_u32_e32 v16, vcc, s2, v32
	v_addc_co_u32_e32 v17, vcc, 0, v2, vcc
	flat_load_dword v2, v[16:17] offset:1024
	s_waitcnt vmcnt(0) lgkmcnt(0)
	v_cvt_f32_i32_e32 v4, v2
.LBB1716_9:
	;; [unrolled: 13-line block ×7, first 2 shown]
	s_or_b64 exec, exec, s[0:1]
	v_or_b32_e32 v2, 0x400, v0
	v_cmp_gt_u32_e32 vcc, s7, v2
	s_and_saveexec_b64 s[0:1], vcc
	s_cbranch_execz .LBB1716_21
; %bb.20:
	v_lshlrev_b32_e32 v2, 2, v2
	v_mov_b32_e32 v10, s3
	v_add_co_u32_e32 v16, vcc, s2, v2
	v_addc_co_u32_e32 v17, vcc, 0, v10, vcc
	flat_load_dword v2, v[16:17]
	s_waitcnt vmcnt(0) lgkmcnt(0)
	v_cvt_f32_i32_e32 v10, v2
.LBB1716_21:
	s_or_b64 exec, exec, s[0:1]
	v_or_b32_e32 v2, 0x480, v0
	v_cmp_gt_u32_e32 vcc, s7, v2
	s_and_saveexec_b64 s[0:1], vcc
	s_cbranch_execz .LBB1716_23
; %bb.22:
	v_lshlrev_b32_e32 v2, 2, v2
	v_mov_b32_e32 v11, s3
	v_add_co_u32_e32 v16, vcc, s2, v2
	v_addc_co_u32_e32 v17, vcc, 0, v11, vcc
	flat_load_dword v2, v[16:17]
	s_waitcnt vmcnt(0) lgkmcnt(0)
	v_cvt_f32_i32_e32 v11, v2
.LBB1716_23:
	;; [unrolled: 14-line block ×6, first 2 shown]
	s_or_b64 exec, exec, s[0:1]
	ds_write2st64_b32 v32, v1, v3 offset1:2
	ds_write2st64_b32 v32, v4, v5 offset0:4 offset1:6
	ds_write2st64_b32 v32, v6, v7 offset0:8 offset1:10
	;; [unrolled: 1-line block ×6, first 2 shown]
	s_waitcnt lgkmcnt(0)
	s_barrier
.LBB1716_32:
	v_mul_u32_u24_e32 v33, 14, v0
	v_lshlrev_b32_e32 v34, 2, v33
	s_waitcnt lgkmcnt(0)
	ds_read2_b64 v[26:29], v34 offset1:1
	ds_read2_b64 v[22:25], v34 offset0:2 offset1:3
	ds_read2_b64 v[18:21], v34 offset0:4 offset1:5
	ds_read_b64 v[30:31], v34 offset:48
	s_cmp_lg_u32 s6, 0
	s_waitcnt lgkmcnt(3)
	v_add_f32_e32 v35, v26, v27
	v_lshrrev_b32_e32 v1, 5, v0
	v_cmp_gt_u32_e32 vcc, 64, v0
	s_waitcnt lgkmcnt(0)
	s_barrier
	s_cbranch_scc0 .LBB1716_57
; %bb.33:
	v_add_f32_e32 v2, v28, v35
	v_add_f32_e32 v2, v29, v2
	;; [unrolled: 1-line block ×12, first 2 shown]
	v_add_lshl_u32 v2, v1, v0, 2
	ds_write_b32 v2, v12
	s_waitcnt lgkmcnt(0)
	s_barrier
	s_and_saveexec_b64 s[10:11], vcc
	s_cbranch_execz .LBB1716_35
; %bb.34:
	v_lshlrev_b32_e32 v2, 1, v0
	v_lshrrev_b32_e32 v3, 4, v0
	v_add_lshl_u32 v4, v3, v2, 2
	ds_read2_b32 v[2:3], v4 offset1:1
	v_mbcnt_lo_u32_b32 v5, -1, 0
	v_mbcnt_hi_u32_b32 v5, -1, v5
	v_and_b32_e32 v6, 15, v5
	v_cmp_eq_u32_e64 s[0:1], 0, v6
	s_waitcnt lgkmcnt(0)
	v_add_f32_e32 v3, v2, v3
	v_cmp_lt_u32_e64 s[2:3], 3, v6
	v_cmp_lt_u32_e64 s[8:9], 31, v5
	v_mov_b32_dpp v7, v3 row_shr:1 row_mask:0xf bank_mask:0xf
	v_add_f32_e32 v7, v3, v7
	v_cndmask_b32_e64 v3, v7, v3, s[0:1]
	v_cmp_lt_u32_e64 s[0:1], 1, v6
	s_nop 0
	v_mov_b32_dpp v7, v3 row_shr:2 row_mask:0xf bank_mask:0xf
	v_add_f32_e32 v7, v3, v7
	v_cndmask_b32_e64 v7, v3, v7, s[0:1]
	; wave barrier
	s_nop 1
	v_mov_b32_dpp v8, v7 row_shr:4 row_mask:0xf bank_mask:0xf
	v_add_f32_e32 v8, v7, v8
	v_cndmask_b32_e64 v7, v7, v8, s[2:3]
	v_cmp_lt_u32_e64 s[2:3], 7, v6
	s_nop 0
	v_mov_b32_dpp v8, v7 row_shr:8 row_mask:0xf bank_mask:0xf
	v_add_f32_e32 v8, v7, v8
	v_cndmask_b32_e64 v6, v7, v8, s[2:3]
	v_and_b32_e32 v8, 16, v5
	v_cmp_eq_u32_e64 s[2:3], 0, v8
	v_mov_b32_dpp v7, v6 row_bcast:15 row_mask:0xf bank_mask:0xf
	v_add_f32_e32 v7, v6, v7
	v_cndmask_b32_e64 v6, v7, v6, s[2:3]
	v_cmp_lt_u32_e64 s[2:3], 15, v5
	s_or_b64 s[0:1], s[2:3], s[0:1]
	v_mov_b32_dpp v7, v6 row_bcast:31 row_mask:0xf bank_mask:0xf
	v_add_f32_e32 v7, v6, v7
	v_cndmask_b32_e64 v6, v6, v7, s[8:9]
	v_cndmask_b32_e64 v3, v3, v6, s[0:1]
	v_add_u32_e32 v6, -1, v5
	v_and_b32_e32 v7, 64, v5
	v_cmp_lt_i32_e64 s[0:1], v6, v7
	v_cndmask_b32_e64 v5, v6, v5, s[0:1]
	v_lshlrev_b32_e32 v5, 2, v5
	ds_bpermute_b32 v3, v5, v3
	v_cmp_eq_u32_e64 s[0:1], 0, v0
	s_waitcnt lgkmcnt(0)
	v_add_f32_e32 v2, v2, v3
	v_cndmask_b32_e64 v2, v2, v12, s[0:1]
	ds_write_b32 v4, v2
	; wave barrier
	ds_read_b32 v3, v4 offset:4
	s_waitcnt lgkmcnt(0)
	v_add_f32_e32 v2, v2, v3
	ds_write_b32 v4, v2 offset:4
.LBB1716_35:
	s_or_b64 exec, exec, s[10:11]
	v_cmp_eq_u32_e64 s[0:1], 0, v0
	v_cmp_ne_u32_e64 s[2:3], 0, v0
	s_waitcnt lgkmcnt(0)
	s_barrier
	s_and_saveexec_b64 s[8:9], s[2:3]
	s_cbranch_execz .LBB1716_37
; %bb.36:
	v_add_u32_e32 v2, -1, v0
	v_lshrrev_b32_e32 v3, 5, v2
	v_add_lshl_u32 v2, v3, v2, 2
	ds_read_b32 v12, v2
.LBB1716_37:
	s_or_b64 exec, exec, s[8:9]
	s_and_saveexec_b64 s[26:27], vcc
	s_cbranch_execz .LBB1716_56
; %bb.38:
	v_mov_b32_e32 v9, 0
	ds_read_b32 v2, v9 offset:520
	v_mbcnt_lo_u32_b32 v3, -1, 0
	v_mbcnt_hi_u32_b32 v5, -1, v3
	s_mov_b32 s11, 0
	v_cmp_eq_u32_e64 s[2:3], 0, v5
	s_and_saveexec_b64 s[8:9], s[2:3]
	s_cbranch_execz .LBB1716_40
; %bb.39:
	s_add_i32 s10, s6, 64
	s_lshl_b64 s[10:11], s[10:11], 3
	s_add_u32 s10, s24, s10
	v_mov_b32_e32 v3, 1
	s_addc_u32 s11, s25, s11
	s_waitcnt lgkmcnt(0)
	global_store_dwordx2 v9, v[2:3], s[10:11]
.LBB1716_40:
	s_or_b64 exec, exec, s[8:9]
	v_xad_u32 v4, v5, -1, s6
	v_add_u32_e32 v8, 64, v4
	v_lshlrev_b64 v[6:7], 3, v[8:9]
	v_mov_b32_e32 v3, s25
	v_add_co_u32_e32 v10, vcc, s24, v6
	v_addc_co_u32_e32 v11, vcc, v3, v7, vcc
	global_load_dwordx2 v[6:7], v[10:11], off glc
	s_waitcnt vmcnt(0)
	v_cmp_eq_u16_sdwa s[10:11], v7, v9 src0_sel:BYTE_0 src1_sel:DWORD
	s_and_saveexec_b64 s[8:9], s[10:11]
	s_cbranch_execz .LBB1716_44
; %bb.41:
	s_mov_b64 s[10:11], 0
	v_mov_b32_e32 v3, 0
.LBB1716_42:                            ; =>This Inner Loop Header: Depth=1
	global_load_dwordx2 v[6:7], v[10:11], off glc
	s_waitcnt vmcnt(0)
	v_cmp_ne_u16_sdwa s[12:13], v7, v3 src0_sel:BYTE_0 src1_sel:DWORD
	s_or_b64 s[10:11], s[12:13], s[10:11]
	s_andn2_b64 exec, exec, s[10:11]
	s_cbranch_execnz .LBB1716_42
; %bb.43:
	s_or_b64 exec, exec, s[10:11]
.LBB1716_44:
	s_or_b64 exec, exec, s[8:9]
	v_and_b32_e32 v13, 63, v5
	v_cmp_ne_u32_e32 vcc, 63, v13
	v_addc_co_u32_e32 v14, vcc, 0, v5, vcc
	v_mov_b32_e32 v3, 2
	v_lshlrev_b32_e32 v14, 2, v14
	v_cmp_eq_u16_sdwa s[8:9], v7, v3 src0_sel:BYTE_0 src1_sel:DWORD
	v_lshlrev_b64 v[8:9], v5, -1
	ds_bpermute_b32 v15, v14, v6
	v_and_b32_e32 v10, s9, v9
	v_or_b32_e32 v10, 0x80000000, v10
	v_and_b32_e32 v11, s8, v8
	v_ffbl_b32_e32 v10, v10
	v_add_u32_e32 v10, 32, v10
	v_ffbl_b32_e32 v11, v11
	v_cmp_gt_u32_e64 s[8:9], 62, v13
	v_min_u32_e32 v10, v11, v10
	s_waitcnt lgkmcnt(0)
	v_add_f32_e32 v11, v6, v15
	v_cndmask_b32_e64 v15, 0, 1, s[8:9]
	v_cmp_lt_u32_e32 vcc, v13, v10
	v_lshlrev_b32_e32 v15, 1, v15
	v_cndmask_b32_e32 v11, v6, v11, vcc
	v_add_lshl_u32 v15, v15, v5, 2
	ds_bpermute_b32 v17, v15, v11
	v_add_u32_e32 v16, 2, v13
	v_cmp_gt_u32_e64 s[8:9], v16, v10
	v_cmp_gt_u32_e64 s[10:11], 56, v13
	v_add_u32_e32 v36, 4, v13
	s_waitcnt lgkmcnt(0)
	v_add_f32_e32 v17, v11, v17
	v_cndmask_b32_e64 v11, v17, v11, s[8:9]
	v_cmp_gt_u32_e64 s[8:9], 60, v13
	v_cndmask_b32_e64 v17, 0, 1, s[8:9]
	v_lshlrev_b32_e32 v17, 2, v17
	v_add_lshl_u32 v17, v17, v5, 2
	ds_bpermute_b32 v37, v17, v11
	v_cmp_gt_u32_e64 s[8:9], v36, v10
	v_add_u32_e32 v38, 8, v13
	v_cmp_gt_u32_e64 s[12:13], 48, v13
	v_cmp_gt_u32_e64 s[14:15], 32, v13
	s_waitcnt lgkmcnt(0)
	v_add_f32_e32 v41, v11, v37
	v_cndmask_b32_e64 v37, 0, 1, s[10:11]
	v_lshlrev_b32_e32 v37, 3, v37
	v_cndmask_b32_e64 v39, v41, v11, s[8:9]
	v_add_lshl_u32 v37, v37, v5, 2
	ds_bpermute_b32 v40, v37, v39
	v_cmp_gt_u32_e64 s[10:11], v38, v10
	v_cndmask_b32_e32 v6, v6, v11, vcc
	v_cndmask_b32_e64 v6, v41, v6, s[8:9]
	s_waitcnt lgkmcnt(0)
	v_add_f32_e32 v44, v39, v40
	v_cndmask_b32_e64 v42, v44, v39, s[10:11]
	v_cndmask_b32_e64 v39, 0, 1, s[12:13]
	v_lshlrev_b32_e32 v39, 4, v39
	v_add_lshl_u32 v39, v39, v5, 2
	ds_bpermute_b32 v43, v39, v42
	v_add_u32_e32 v40, 16, v13
	v_cmp_gt_u32_e64 s[12:13], v40, v10
	v_cndmask_b32_e64 v6, v44, v6, s[10:11]
	s_waitcnt lgkmcnt(0)
	v_add_f32_e32 v45, v42, v43
	v_cndmask_b32_e64 v46, v45, v42, s[12:13]
	v_cndmask_b32_e64 v42, 0, 1, s[14:15]
	v_lshlrev_b32_e32 v42, 5, v42
	v_add_lshl_u32 v42, v42, v5, 2
	ds_bpermute_b32 v5, v42, v46
	v_add_u32_e32 v43, 32, v13
	v_cndmask_b32_e64 v6, v45, v6, s[12:13]
	v_cmp_gt_u32_e32 vcc, v43, v10
	s_waitcnt lgkmcnt(0)
	v_add_f32_e32 v5, v46, v5
	v_cndmask_b32_e32 v6, v5, v6, vcc
	v_mov_b32_e32 v5, 0
	s_branch .LBB1716_46
.LBB1716_45:                            ;   in Loop: Header=BB1716_46 Depth=1
	s_or_b64 exec, exec, s[8:9]
	v_cmp_eq_u16_sdwa s[8:9], v7, v3 src0_sel:BYTE_0 src1_sel:DWORD
	v_and_b32_e32 v10, s9, v9
	ds_bpermute_b32 v44, v14, v6
	v_or_b32_e32 v10, 0x80000000, v10
	v_and_b32_e32 v11, s8, v8
	v_ffbl_b32_e32 v10, v10
	v_add_u32_e32 v10, 32, v10
	v_ffbl_b32_e32 v11, v11
	v_min_u32_e32 v10, v11, v10
	s_waitcnt lgkmcnt(0)
	v_add_f32_e32 v11, v6, v44
	v_cmp_lt_u32_e32 vcc, v13, v10
	v_cndmask_b32_e32 v11, v6, v11, vcc
	ds_bpermute_b32 v44, v15, v11
	v_cmp_gt_u32_e64 s[8:9], v16, v10
	v_cmp_gt_u32_e64 s[10:11], v38, v10
	;; [unrolled: 1-line block ×3, first 2 shown]
	v_subrev_u32_e32 v4, 64, v4
	s_waitcnt lgkmcnt(0)
	v_add_f32_e32 v44, v11, v44
	v_cndmask_b32_e64 v11, v44, v11, s[8:9]
	ds_bpermute_b32 v44, v17, v11
	v_cmp_gt_u32_e64 s[8:9], v36, v10
	v_cndmask_b32_e32 v6, v6, v11, vcc
	v_cmp_gt_u32_e32 vcc, v43, v10
	s_waitcnt lgkmcnt(0)
	v_add_f32_e32 v44, v11, v44
	v_cndmask_b32_e64 v45, v44, v11, s[8:9]
	ds_bpermute_b32 v46, v37, v45
	v_cndmask_b32_e64 v6, v44, v6, s[8:9]
	s_waitcnt lgkmcnt(0)
	v_add_f32_e32 v46, v45, v46
	v_cndmask_b32_e64 v45, v46, v45, s[10:11]
	ds_bpermute_b32 v47, v39, v45
	v_cndmask_b32_e64 v6, v46, v6, s[10:11]
	;; [unrolled: 5-line block ×3, first 2 shown]
	s_waitcnt lgkmcnt(0)
	v_add_f32_e32 v11, v45, v48
	v_cndmask_b32_e32 v6, v11, v6, vcc
	v_add_f32_e32 v6, v41, v6
.LBB1716_46:                            ; =>This Loop Header: Depth=1
                                        ;     Child Loop BB1716_49 Depth 2
	v_cmp_ne_u16_sdwa s[8:9], v7, v3 src0_sel:BYTE_0 src1_sel:DWORD
	v_cndmask_b32_e64 v7, 0, 1, s[8:9]
	;;#ASMSTART
	;;#ASMEND
	v_cmp_ne_u32_e32 vcc, 0, v7
	s_cmp_lg_u64 vcc, exec
	v_mov_b32_e32 v41, v6
	s_cbranch_scc1 .LBB1716_51
; %bb.47:                               ;   in Loop: Header=BB1716_46 Depth=1
	v_lshlrev_b64 v[6:7], 3, v[4:5]
	v_mov_b32_e32 v11, s25
	v_add_co_u32_e32 v10, vcc, s24, v6
	v_addc_co_u32_e32 v11, vcc, v11, v7, vcc
	global_load_dwordx2 v[6:7], v[10:11], off glc
	s_waitcnt vmcnt(0)
	v_cmp_eq_u16_sdwa s[10:11], v7, v5 src0_sel:BYTE_0 src1_sel:DWORD
	s_and_saveexec_b64 s[8:9], s[10:11]
	s_cbranch_execz .LBB1716_45
; %bb.48:                               ;   in Loop: Header=BB1716_46 Depth=1
	s_mov_b64 s[10:11], 0
.LBB1716_49:                            ;   Parent Loop BB1716_46 Depth=1
                                        ; =>  This Inner Loop Header: Depth=2
	global_load_dwordx2 v[6:7], v[10:11], off glc
	s_waitcnt vmcnt(0)
	v_cmp_ne_u16_sdwa s[12:13], v7, v5 src0_sel:BYTE_0 src1_sel:DWORD
	s_or_b64 s[10:11], s[12:13], s[10:11]
	s_andn2_b64 exec, exec, s[10:11]
	s_cbranch_execnz .LBB1716_49
; %bb.50:                               ;   in Loop: Header=BB1716_46 Depth=1
	s_or_b64 exec, exec, s[10:11]
	s_branch .LBB1716_45
.LBB1716_51:                            ;   in Loop: Header=BB1716_46 Depth=1
                                        ; implicit-def: $vgpr6
                                        ; implicit-def: $vgpr7
	s_cbranch_execz .LBB1716_46
; %bb.52:
	s_and_saveexec_b64 s[8:9], s[2:3]
	s_cbranch_execz .LBB1716_54
; %bb.53:
	s_add_i32 s2, s6, 64
	s_mov_b32 s3, 0
	s_lshl_b64 s[2:3], s[2:3], 3
	s_add_u32 s2, s24, s2
	v_add_f32_e32 v2, v2, v41
	v_mov_b32_e32 v3, 2
	s_addc_u32 s3, s25, s3
	v_mov_b32_e32 v4, 0
	global_store_dwordx2 v4, v[2:3], s[2:3]
.LBB1716_54:
	s_or_b64 exec, exec, s[8:9]
	s_and_b64 exec, exec, s[0:1]
	s_cbranch_execz .LBB1716_56
; %bb.55:
	v_mov_b32_e32 v2, 0
	ds_write_b32 v2, v41
.LBB1716_56:
	s_or_b64 exec, exec, s[26:27]
	v_mov_b32_e32 v2, 0
	s_waitcnt lgkmcnt(0)
	s_barrier
	ds_read_b32 v2, v2
	s_waitcnt lgkmcnt(0)
	v_add_f32_e32 v3, v12, v2
	v_cndmask_b32_e64 v2, v3, v2, s[0:1]
	v_add_f32_e32 v3, v26, v2
	v_add_f32_e32 v4, v27, v3
	;; [unrolled: 1-line block ×13, first 2 shown]
	s_load_dwordx8 s[8:15], s[4:5], 0x38
	s_branch .LBB1716_67
.LBB1716_57:
                                        ; implicit-def: $vgpr2_vgpr3_vgpr4_vgpr5_vgpr6_vgpr7_vgpr8_vgpr9_vgpr10_vgpr11_vgpr12_vgpr13_vgpr14_vgpr15_vgpr16_vgpr17
	s_load_dwordx8 s[8:15], s[4:5], 0x38
	s_cbranch_execz .LBB1716_67
; %bb.58:
	s_load_dword s0, s[4:5], 0x20
	s_waitcnt lgkmcnt(0)
	s_cmp_eq_u64 s[12:13], 0
	v_mov_b32_e32 v16, s0
	s_cbranch_scc1 .LBB1716_60
; %bb.59:
	v_mov_b32_e32 v3, s30
	v_add_co_u32_e64 v2, vcc, -4, s29
	v_addc_co_u32_e32 v3, vcc, -1, v3, vcc
	flat_load_dword v2, v[2:3]
	v_mov_b32_e32 v3, 0
	global_load_dword v3, v3, s[8:9]
	s_waitcnt vmcnt(0) lgkmcnt(0)
	v_cvt_f32_i32_e32 v2, v2
	v_add_f32_e32 v16, v3, v2
.LBB1716_60:
	v_add_f32_e32 v2, v28, v35
	v_add_f32_e32 v2, v29, v2
	;; [unrolled: 1-line block ×12, first 2 shown]
	v_add_lshl_u32 v1, v1, v0, 2
	v_cmp_gt_u32_e32 vcc, 64, v0
	ds_write_b32 v1, v2
	s_waitcnt lgkmcnt(0)
	s_barrier
	s_and_saveexec_b64 s[4:5], vcc
	s_cbranch_execz .LBB1716_62
; %bb.61:
	v_lshlrev_b32_e32 v1, 1, v0
	v_lshrrev_b32_e32 v3, 4, v0
	v_add_lshl_u32 v1, v3, v1, 2
	ds_read2_b32 v[4:5], v1 offset1:1
	v_mbcnt_lo_u32_b32 v3, -1, 0
	v_mbcnt_hi_u32_b32 v3, -1, v3
	v_and_b32_e32 v6, 15, v3
	v_cmp_eq_u32_e32 vcc, 0, v6
	s_waitcnt lgkmcnt(0)
	v_add_f32_e32 v5, v4, v5
	v_cmp_lt_u32_e64 s[0:1], 3, v6
	v_cmp_lt_u32_e64 s[2:3], 31, v3
	v_mov_b32_dpp v7, v5 row_shr:1 row_mask:0xf bank_mask:0xf
	v_add_f32_e32 v7, v5, v7
	v_cndmask_b32_e32 v5, v7, v5, vcc
	v_cmp_lt_u32_e32 vcc, 1, v6
	s_nop 0
	v_mov_b32_dpp v7, v5 row_shr:2 row_mask:0xf bank_mask:0xf
	v_add_f32_e32 v7, v5, v7
	v_cndmask_b32_e32 v7, v5, v7, vcc
	; wave barrier
	s_nop 1
	v_mov_b32_dpp v8, v7 row_shr:4 row_mask:0xf bank_mask:0xf
	v_add_f32_e32 v8, v7, v8
	v_cndmask_b32_e64 v7, v7, v8, s[0:1]
	v_cmp_lt_u32_e64 s[0:1], 7, v6
	s_nop 0
	v_mov_b32_dpp v8, v7 row_shr:8 row_mask:0xf bank_mask:0xf
	v_add_f32_e32 v8, v7, v8
	v_cndmask_b32_e64 v6, v7, v8, s[0:1]
	v_and_b32_e32 v8, 16, v3
	v_cmp_eq_u32_e64 s[0:1], 0, v8
	v_mov_b32_dpp v7, v6 row_bcast:15 row_mask:0xf bank_mask:0xf
	v_add_f32_e32 v7, v6, v7
	v_cndmask_b32_e64 v6, v7, v6, s[0:1]
	v_cmp_lt_u32_e64 s[0:1], 15, v3
	s_or_b64 vcc, s[0:1], vcc
	v_mov_b32_dpp v7, v6 row_bcast:31 row_mask:0xf bank_mask:0xf
	v_add_f32_e32 v7, v6, v7
	v_cndmask_b32_e64 v6, v6, v7, s[2:3]
	v_cndmask_b32_e32 v5, v5, v6, vcc
	v_add_u32_e32 v6, -1, v3
	v_and_b32_e32 v7, 64, v3
	v_cmp_lt_i32_e32 vcc, v6, v7
	v_cndmask_b32_e32 v3, v6, v3, vcc
	v_lshlrev_b32_e32 v3, 2, v3
	ds_bpermute_b32 v3, v3, v5
	v_cmp_eq_u32_e32 vcc, 0, v0
	s_waitcnt lgkmcnt(0)
	v_add_f32_e32 v3, v4, v3
	v_cndmask_b32_e32 v2, v3, v2, vcc
	ds_write_b32 v1, v2
	; wave barrier
	ds_read_b32 v3, v1 offset:4
	s_waitcnt lgkmcnt(0)
	v_add_f32_e32 v2, v2, v3
	ds_write_b32 v1, v2 offset:4
.LBB1716_62:
	s_or_b64 exec, exec, s[4:5]
	v_cmp_eq_u32_e32 vcc, 0, v0
	v_cmp_ne_u32_e64 s[0:1], 0, v0
	v_mov_b32_e32 v2, v16
	s_waitcnt lgkmcnt(0)
	s_barrier
	s_and_saveexec_b64 s[2:3], s[0:1]
	s_cbranch_execz .LBB1716_64
; %bb.63:
	v_add_u32_e32 v1, -1, v0
	v_lshrrev_b32_e32 v2, 5, v1
	v_add_lshl_u32 v1, v2, v1, 2
	ds_read_b32 v1, v1
	s_waitcnt lgkmcnt(0)
	v_add_f32_e32 v2, v16, v1
.LBB1716_64:
	s_or_b64 exec, exec, s[2:3]
	v_add_f32_e32 v3, v26, v2
	v_add_f32_e32 v4, v27, v3
	v_add_f32_e32 v5, v28, v4
	v_add_f32_e32 v6, v29, v5
	v_add_f32_e32 v7, v22, v6
	v_add_f32_e32 v8, v23, v7
	v_add_f32_e32 v9, v24, v8
	v_add_f32_e32 v10, v25, v9
	v_add_f32_e32 v11, v18, v10
	v_add_f32_e32 v12, v19, v11
	v_add_f32_e32 v13, v20, v12
	v_add_f32_e32 v14, v21, v13
	v_add_f32_e32 v15, v30, v14
	s_and_saveexec_b64 s[0:1], vcc
	s_cbranch_execz .LBB1716_66
; %bb.65:
	v_mov_b32_e32 v1, 0
	ds_read_b32 v17, v1 offset:520
	s_waitcnt lgkmcnt(0)
	v_add_f32_e32 v16, v16, v17
	v_mov_b32_e32 v17, 2
	global_store_dwordx2 v1, v[16:17], s[24:25] offset:512
.LBB1716_66:
	s_or_b64 exec, exec, s[0:1]
.LBB1716_67:
	s_add_u32 s0, s16, s20
	s_addc_u32 s1, s17, s21
	s_add_u32 s2, s0, s22
	s_addc_u32 s3, s1, s23
	s_mov_b64 s[0:1], -1
	s_and_b64 vcc, exec, s[18:19]
	s_waitcnt lgkmcnt(0)
	s_barrier
	s_cbranch_vccz .LBB1716_69
; %bb.68:
	ds_write2_b64 v34, v[2:3], v[4:5] offset1:1
	ds_write2_b64 v34, v[6:7], v[8:9] offset0:2 offset1:3
	ds_write2_b64 v34, v[10:11], v[12:13] offset0:4 offset1:5
	ds_write_b64 v34, v[14:15] offset:48
	s_waitcnt lgkmcnt(0)
	s_barrier
	ds_read2st64_b32 v[16:17], v32 offset1:2
	ds_read2st64_b32 v[18:19], v32 offset0:4 offset1:6
	ds_read2st64_b32 v[20:21], v32 offset0:8 offset1:10
	;; [unrolled: 1-line block ×6, first 2 shown]
	v_mov_b32_e32 v1, s3
	v_add_co_u32_e32 v30, vcc, s2, v32
	v_addc_co_u32_e32 v31, vcc, 0, v1, vcc
	s_waitcnt lgkmcnt(6)
	flat_store_dword v[30:31], v16
	flat_store_dword v[30:31], v17 offset:512
	s_waitcnt lgkmcnt(0)
	flat_store_dword v[30:31], v18 offset:1024
	flat_store_dword v[30:31], v19 offset:1536
	;; [unrolled: 1-line block ×6, first 2 shown]
	v_add_co_u32_e32 v16, vcc, 0x1000, v30
	v_addc_co_u32_e32 v17, vcc, 0, v31, vcc
	flat_store_dword v[16:17], v24
	flat_store_dword v[16:17], v25 offset:512
	flat_store_dword v[16:17], v26 offset:1024
	;; [unrolled: 1-line block ×5, first 2 shown]
	s_mov_b64 s[0:1], 0
.LBB1716_69:
	s_andn2_b64 vcc, exec, s[0:1]
	s_cbranch_vccnz .LBB1716_149
; %bb.70:
	s_movk_i32 s0, 0xffcc
	ds_write2_b64 v34, v[2:3], v[4:5] offset1:1
	ds_write2_b64 v34, v[6:7], v[8:9] offset0:2 offset1:3
	ds_write2_b64 v34, v[10:11], v[12:13] offset0:4 offset1:5
	ds_write_b64 v34, v[14:15] offset:48
	v_mad_i32_i24 v14, v0, s0, v34
	s_waitcnt lgkmcnt(0)
	s_barrier
	ds_read2st64_b32 v[4:5], v14 offset1:2
	ds_read2st64_b32 v[6:7], v14 offset0:4 offset1:6
	ds_read2st64_b32 v[8:9], v14 offset0:8 offset1:10
	;; [unrolled: 1-line block ×6, first 2 shown]
	v_mov_b32_e32 v17, s3
	v_add_co_u32_e32 v16, vcc, s2, v32
	v_addc_co_u32_e32 v17, vcc, 0, v17, vcc
	v_mov_b32_e32 v1, 0
	v_cmp_gt_u32_e32 vcc, s7, v0
	s_and_saveexec_b64 s[0:1], vcc
	s_cbranch_execz .LBB1716_72
; %bb.71:
	s_waitcnt lgkmcnt(0)
	flat_store_dword v[16:17], v4
.LBB1716_72:
	s_or_b64 exec, exec, s[0:1]
	v_or_b32_e32 v18, 0x80, v0
	v_cmp_gt_u32_e32 vcc, s7, v18
	s_and_saveexec_b64 s[0:1], vcc
	s_cbranch_execz .LBB1716_74
; %bb.73:
	s_waitcnt lgkmcnt(0)
	flat_store_dword v[16:17], v5 offset:512
.LBB1716_74:
	s_or_b64 exec, exec, s[0:1]
	v_or_b32_e32 v18, 0x100, v0
	v_cmp_gt_u32_e32 vcc, s7, v18
	s_and_saveexec_b64 s[0:1], vcc
	s_cbranch_execz .LBB1716_76
; %bb.75:
	s_waitcnt lgkmcnt(0)
	flat_store_dword v[16:17], v6 offset:1024
.LBB1716_76:
	;; [unrolled: 9-line block ×7, first 2 shown]
	s_or_b64 exec, exec, s[0:1]
	v_or_b32_e32 v18, 0x400, v0
	v_cmp_gt_u32_e32 vcc, s7, v18
	s_and_saveexec_b64 s[0:1], vcc
	s_cbranch_execz .LBB1716_88
; %bb.87:
	v_add_co_u32_e32 v18, vcc, 0x1000, v16
	v_addc_co_u32_e32 v19, vcc, 0, v17, vcc
	s_waitcnt lgkmcnt(0)
	flat_store_dword v[18:19], v12
.LBB1716_88:
	s_or_b64 exec, exec, s[0:1]
	v_or_b32_e32 v18, 0x480, v0
	v_cmp_gt_u32_e32 vcc, s7, v18
	s_and_saveexec_b64 s[0:1], vcc
	s_cbranch_execz .LBB1716_90
; %bb.89:
	v_add_co_u32_e32 v18, vcc, 0x1000, v16
	v_addc_co_u32_e32 v19, vcc, 0, v17, vcc
	s_waitcnt lgkmcnt(0)
	flat_store_dword v[18:19], v13 offset:512
.LBB1716_90:
	s_or_b64 exec, exec, s[0:1]
	v_or_b32_e32 v18, 0x500, v0
	v_cmp_gt_u32_e32 vcc, s7, v18
	s_and_saveexec_b64 s[0:1], vcc
	s_cbranch_execz .LBB1716_92
; %bb.91:
	v_add_co_u32_e32 v18, vcc, 0x1000, v16
	v_addc_co_u32_e32 v19, vcc, 0, v17, vcc
	s_waitcnt lgkmcnt(0)
	flat_store_dword v[18:19], v10 offset:1024
.LBB1716_92:
	;; [unrolled: 11-line block ×5, first 2 shown]
	s_or_b64 exec, exec, s[0:1]
	v_cmp_lt_u64_e64 s[0:1], s[14:15], 2
	s_and_b64 vcc, exec, s[0:1]
	s_cbranch_vccnz .LBB1716_149
; %bb.99:
	s_add_u32 s0, s7, -1
	s_addc_u32 s1, s28, -1
	s_add_u32 s2, 0, 0x49240800
	s_addc_u32 s3, 0, 50
	s_add_i32 s3, s3, 0x12492460
	s_mul_hi_u32 s7, s2, -14
	s_sub_i32 s7, s7, s2
	s_mul_i32 s8, s3, -14
	s_mul_i32 s4, s2, -14
	s_add_i32 s7, s7, s8
	s_mul_hi_u32 s5, s3, s4
	s_mul_i32 s6, s3, s4
	s_mul_i32 s9, s2, s7
	s_mul_hi_u32 s4, s2, s4
	s_mul_hi_u32 s8, s2, s7
	s_add_u32 s4, s4, s9
	s_addc_u32 s8, 0, s8
	s_add_u32 s4, s4, s6
	s_mul_hi_u32 s9, s3, s7
	s_addc_u32 s4, s8, s5
	s_addc_u32 s5, s9, 0
	s_mul_i32 s6, s3, s7
	s_add_u32 s4, s4, s6
	v_mov_b32_e32 v16, s4
	s_addc_u32 s5, 0, s5
	v_add_co_u32_e32 v16, vcc, s2, v16
	s_cmp_lg_u64 vcc, 0
	s_addc_u32 s2, s3, s5
	v_readfirstlane_b32 s5, v16
	s_mul_i32 s4, s0, s2
	s_mul_hi_u32 s6, s0, s5
	s_mul_hi_u32 s3, s0, s2
	s_add_u32 s4, s6, s4
	s_addc_u32 s3, 0, s3
	s_mul_hi_u32 s7, s1, s5
	s_mul_i32 s5, s1, s5
	s_add_u32 s4, s4, s5
	s_mul_hi_u32 s6, s1, s2
	s_addc_u32 s3, s3, s7
	s_addc_u32 s4, s6, 0
	s_mul_i32 s2, s1, s2
	s_add_u32 s2, s3, s2
	s_addc_u32 s3, 0, s4
	s_add_u32 s4, s2, 1
	s_addc_u32 s5, s3, 0
	s_add_u32 s6, s2, 2
	s_mul_i32 s8, s3, 14
	s_mul_hi_u32 s9, s2, 14
	s_addc_u32 s7, s3, 0
	s_add_i32 s9, s9, s8
	s_mul_i32 s8, s2, 14
	v_mov_b32_e32 v16, s8
	v_sub_co_u32_e32 v16, vcc, s0, v16
	s_cmp_lg_u64 vcc, 0
	s_subb_u32 s8, s1, s9
	v_subrev_co_u32_e32 v17, vcc, 14, v16
	s_cmp_lg_u64 vcc, 0
	s_subb_u32 s9, s8, 0
	v_readfirstlane_b32 s12, v17
	s_cmp_gt_u32 s12, 13
	s_cselect_b32 s12, -1, 0
	s_cmp_eq_u32 s9, 0
	s_cselect_b32 s9, s12, -1
	s_cmp_lg_u32 s9, 0
	s_cselect_b32 s4, s6, s4
	v_readfirstlane_b32 s6, v16
	s_cselect_b32 s5, s7, s5
	s_cmp_gt_u32 s6, 13
	s_cselect_b32 s6, -1, 0
	s_cmp_eq_u32 s8, 0
	s_cselect_b32 s6, s6, -1
	s_cmp_lg_u32 s6, 0
	s_cselect_b32 s3, s5, s3
	s_cselect_b32 s2, s4, s2
	v_cmp_eq_u64_e32 vcc, s[2:3], v[0:1]
	s_and_saveexec_b64 s[2:3], vcc
	s_cbranch_execz .LBB1716_149
; %bb.100:
	v_mul_hi_u32_u24_e32 v1, 14, v0
	v_mov_b32_e32 v16, s1
	v_sub_co_u32_e32 v0, vcc, s0, v33
	v_subb_co_u32_e32 v1, vcc, v16, v1, vcc
	v_cmp_lt_i64_e32 vcc, 6, v[0:1]
	s_and_saveexec_b64 s[0:1], vcc
	s_xor_b64 s[0:1], exec, s[0:1]
	s_cbranch_execz .LBB1716_126
; %bb.101:
	v_cmp_lt_i64_e32 vcc, 9, v[0:1]
	s_and_saveexec_b64 s[2:3], vcc
	s_xor_b64 s[2:3], exec, s[2:3]
	s_cbranch_execz .LBB1716_115
; %bb.102:
	;; [unrolled: 5-line block ×4, first 2 shown]
	v_mov_b32_e32 v0, 0
	s_waitcnt lgkmcnt(0)
	global_store_dword v0, v15, s[10:11]
                                        ; implicit-def: $vgpr14_vgpr15
.LBB1716_105:
	s_andn2_saveexec_b64 s[6:7], s[6:7]
	s_cbranch_execz .LBB1716_107
; %bb.106:
	v_mov_b32_e32 v0, 0
	s_waitcnt lgkmcnt(0)
	global_store_dword v0, v14, s[10:11]
.LBB1716_107:
	s_or_b64 exec, exec, s[6:7]
                                        ; implicit-def: $vgpr10_vgpr11
                                        ; implicit-def: $vgpr0_vgpr1
.LBB1716_108:
	s_andn2_saveexec_b64 s[4:5], s[4:5]
	s_cbranch_execz .LBB1716_114
; %bb.109:
	v_cmp_lt_i64_e32 vcc, 10, v[0:1]
	s_and_saveexec_b64 s[6:7], vcc
	s_xor_b64 s[6:7], exec, s[6:7]
	s_cbranch_execz .LBB1716_111
; %bb.110:
	v_mov_b32_e32 v0, 0
	s_waitcnt lgkmcnt(0)
	global_store_dword v0, v11, s[10:11]
                                        ; implicit-def: $vgpr10_vgpr11
.LBB1716_111:
	s_andn2_saveexec_b64 s[6:7], s[6:7]
	s_cbranch_execz .LBB1716_113
; %bb.112:
	v_mov_b32_e32 v0, 0
	s_waitcnt lgkmcnt(0)
	global_store_dword v0, v10, s[10:11]
.LBB1716_113:
	s_or_b64 exec, exec, s[6:7]
.LBB1716_114:
	s_or_b64 exec, exec, s[4:5]
                                        ; implicit-def: $vgpr2_vgpr3
                                        ; implicit-def: $vgpr0_vgpr1
                                        ; implicit-def: $vgpr12_vgpr13
.LBB1716_115:
	s_andn2_saveexec_b64 s[2:3], s[2:3]
	s_cbranch_execz .LBB1716_125
; %bb.116:
	v_cmp_lt_i64_e32 vcc, 7, v[0:1]
	s_and_saveexec_b64 s[4:5], vcc
	s_xor_b64 s[4:5], exec, s[4:5]
	s_cbranch_execz .LBB1716_122
; %bb.117:
	v_cmp_lt_i64_e32 vcc, 8, v[0:1]
	s_and_saveexec_b64 s[6:7], vcc
	s_xor_b64 s[6:7], exec, s[6:7]
	s_cbranch_execz .LBB1716_119
; %bb.118:
	v_mov_b32_e32 v0, 0
	s_waitcnt lgkmcnt(0)
	global_store_dword v0, v13, s[10:11]
                                        ; implicit-def: $vgpr12_vgpr13
.LBB1716_119:
	s_andn2_saveexec_b64 s[6:7], s[6:7]
	s_cbranch_execz .LBB1716_121
; %bb.120:
	v_mov_b32_e32 v0, 0
	s_waitcnt lgkmcnt(0)
	global_store_dword v0, v12, s[10:11]
.LBB1716_121:
	s_or_b64 exec, exec, s[6:7]
                                        ; implicit-def: $vgpr2_vgpr3
.LBB1716_122:
	s_andn2_saveexec_b64 s[4:5], s[4:5]
	s_cbranch_execz .LBB1716_124
; %bb.123:
	v_mov_b32_e32 v0, 0
	s_waitcnt lgkmcnt(0)
	global_store_dword v0, v3, s[10:11]
.LBB1716_124:
	s_or_b64 exec, exec, s[4:5]
.LBB1716_125:
	s_or_b64 exec, exec, s[2:3]
                                        ; implicit-def: $vgpr0_vgpr1
                                        ; implicit-def: $vgpr8_vgpr9
                                        ; implicit-def: $vgpr4_vgpr5
                                        ; implicit-def: $vgpr6_vgpr7
                                        ; implicit-def: $vgpr2_vgpr3
.LBB1716_126:
	s_andn2_saveexec_b64 s[0:1], s[0:1]
	s_cbranch_execz .LBB1716_149
; %bb.127:
	v_cmp_lt_i64_e32 vcc, 3, v[0:1]
	s_and_saveexec_b64 s[0:1], vcc
	s_xor_b64 s[0:1], exec, s[0:1]
	s_cbranch_execz .LBB1716_137
; %bb.128:
	v_cmp_lt_i64_e32 vcc, 4, v[0:1]
	s_and_saveexec_b64 s[2:3], vcc
	s_xor_b64 s[2:3], exec, s[2:3]
	s_cbranch_execz .LBB1716_134
; %bb.129:
	v_cmp_lt_i64_e32 vcc, 5, v[0:1]
	s_and_saveexec_b64 s[4:5], vcc
	s_xor_b64 s[4:5], exec, s[4:5]
	s_cbranch_execz .LBB1716_131
; %bb.130:
	v_mov_b32_e32 v0, 0
	s_waitcnt lgkmcnt(0)
	global_store_dword v0, v2, s[10:11]
                                        ; implicit-def: $vgpr8_vgpr9
.LBB1716_131:
	s_andn2_saveexec_b64 s[4:5], s[4:5]
	s_cbranch_execz .LBB1716_133
; %bb.132:
	v_mov_b32_e32 v0, 0
	s_waitcnt lgkmcnt(0)
	global_store_dword v0, v9, s[10:11]
.LBB1716_133:
	s_or_b64 exec, exec, s[4:5]
                                        ; implicit-def: $vgpr8_vgpr9
.LBB1716_134:
	s_andn2_saveexec_b64 s[2:3], s[2:3]
	s_cbranch_execz .LBB1716_136
; %bb.135:
	v_mov_b32_e32 v0, 0
	s_waitcnt lgkmcnt(0)
	global_store_dword v0, v8, s[10:11]
.LBB1716_136:
	s_or_b64 exec, exec, s[2:3]
                                        ; implicit-def: $vgpr0_vgpr1
                                        ; implicit-def: $vgpr4_vgpr5
                                        ; implicit-def: $vgpr6_vgpr7
.LBB1716_137:
	s_andn2_saveexec_b64 s[0:1], s[0:1]
	s_cbranch_execz .LBB1716_149
; %bb.138:
	v_cmp_lt_i64_e32 vcc, 1, v[0:1]
	s_and_saveexec_b64 s[0:1], vcc
	s_xor_b64 s[0:1], exec, s[0:1]
	s_cbranch_execz .LBB1716_144
; %bb.139:
	v_cmp_lt_i64_e32 vcc, 2, v[0:1]
	s_and_saveexec_b64 s[2:3], vcc
	s_xor_b64 s[2:3], exec, s[2:3]
	s_cbranch_execz .LBB1716_141
; %bb.140:
	v_mov_b32_e32 v0, 0
	s_waitcnt lgkmcnt(0)
	global_store_dword v0, v7, s[10:11]
                                        ; implicit-def: $vgpr6_vgpr7
.LBB1716_141:
	s_andn2_saveexec_b64 s[2:3], s[2:3]
	s_cbranch_execz .LBB1716_143
; %bb.142:
	v_mov_b32_e32 v0, 0
	s_waitcnt lgkmcnt(0)
	global_store_dword v0, v6, s[10:11]
.LBB1716_143:
	s_or_b64 exec, exec, s[2:3]
                                        ; implicit-def: $vgpr4_vgpr5
                                        ; implicit-def: $vgpr0_vgpr1
.LBB1716_144:
	s_andn2_saveexec_b64 s[0:1], s[0:1]
	s_cbranch_execz .LBB1716_149
; %bb.145:
	v_cmp_ne_u64_e32 vcc, 1, v[0:1]
	s_and_saveexec_b64 s[0:1], vcc
	s_xor_b64 s[0:1], exec, s[0:1]
	s_cbranch_execz .LBB1716_147
; %bb.146:
	v_mov_b32_e32 v0, 0
	s_waitcnt lgkmcnt(0)
	global_store_dword v0, v4, s[10:11]
                                        ; implicit-def: $vgpr4_vgpr5
.LBB1716_147:
	s_andn2_saveexec_b64 s[0:1], s[0:1]
	s_cbranch_execz .LBB1716_149
; %bb.148:
	v_mov_b32_e32 v0, 0
	s_waitcnt lgkmcnt(0)
	global_store_dword v0, v5, s[10:11]
.LBB1716_149:
	s_endpgm
	.section	.rodata,"a",@progbits
	.p2align	6, 0x0
	.amdhsa_kernel _ZN7rocprim17ROCPRIM_400000_NS6detail17trampoline_kernelINS0_14default_configENS1_20scan_config_selectorIfEEZZNS1_9scan_implILNS1_25lookback_scan_determinismE0ELb1ELb1ES3_N6thrust23THRUST_200600_302600_NS6detail15normal_iteratorINS9_10device_ptrIiEEEENSB_INSC_IfEEEEfNS9_4plusIvEEfEEDaPvRmT3_T4_T5_mT6_P12ihipStream_tbENKUlT_T0_E_clISt17integral_constantIbLb0EESW_EEDaSR_SS_EUlSR_E_NS1_11comp_targetILNS1_3genE4ELNS1_11target_archE910ELNS1_3gpuE8ELNS1_3repE0EEENS1_30default_config_static_selectorELNS0_4arch9wavefront6targetE1EEEvT1_
		.amdhsa_group_segment_fixed_size 7168
		.amdhsa_private_segment_fixed_size 0
		.amdhsa_kernarg_size 96
		.amdhsa_user_sgpr_count 6
		.amdhsa_user_sgpr_private_segment_buffer 1
		.amdhsa_user_sgpr_dispatch_ptr 0
		.amdhsa_user_sgpr_queue_ptr 0
		.amdhsa_user_sgpr_kernarg_segment_ptr 1
		.amdhsa_user_sgpr_dispatch_id 0
		.amdhsa_user_sgpr_flat_scratch_init 0
		.amdhsa_user_sgpr_kernarg_preload_length 0
		.amdhsa_user_sgpr_kernarg_preload_offset 0
		.amdhsa_user_sgpr_private_segment_size 0
		.amdhsa_uses_dynamic_stack 0
		.amdhsa_system_sgpr_private_segment_wavefront_offset 0
		.amdhsa_system_sgpr_workgroup_id_x 1
		.amdhsa_system_sgpr_workgroup_id_y 0
		.amdhsa_system_sgpr_workgroup_id_z 0
		.amdhsa_system_sgpr_workgroup_info 0
		.amdhsa_system_vgpr_workitem_id 0
		.amdhsa_next_free_vgpr 49
		.amdhsa_next_free_sgpr 31
		.amdhsa_accum_offset 52
		.amdhsa_reserve_vcc 1
		.amdhsa_reserve_flat_scratch 0
		.amdhsa_float_round_mode_32 0
		.amdhsa_float_round_mode_16_64 0
		.amdhsa_float_denorm_mode_32 3
		.amdhsa_float_denorm_mode_16_64 3
		.amdhsa_dx10_clamp 1
		.amdhsa_ieee_mode 1
		.amdhsa_fp16_overflow 0
		.amdhsa_tg_split 0
		.amdhsa_exception_fp_ieee_invalid_op 0
		.amdhsa_exception_fp_denorm_src 0
		.amdhsa_exception_fp_ieee_div_zero 0
		.amdhsa_exception_fp_ieee_overflow 0
		.amdhsa_exception_fp_ieee_underflow 0
		.amdhsa_exception_fp_ieee_inexact 0
		.amdhsa_exception_int_div_zero 0
	.end_amdhsa_kernel
	.section	.text._ZN7rocprim17ROCPRIM_400000_NS6detail17trampoline_kernelINS0_14default_configENS1_20scan_config_selectorIfEEZZNS1_9scan_implILNS1_25lookback_scan_determinismE0ELb1ELb1ES3_N6thrust23THRUST_200600_302600_NS6detail15normal_iteratorINS9_10device_ptrIiEEEENSB_INSC_IfEEEEfNS9_4plusIvEEfEEDaPvRmT3_T4_T5_mT6_P12ihipStream_tbENKUlT_T0_E_clISt17integral_constantIbLb0EESW_EEDaSR_SS_EUlSR_E_NS1_11comp_targetILNS1_3genE4ELNS1_11target_archE910ELNS1_3gpuE8ELNS1_3repE0EEENS1_30default_config_static_selectorELNS0_4arch9wavefront6targetE1EEEvT1_,"axG",@progbits,_ZN7rocprim17ROCPRIM_400000_NS6detail17trampoline_kernelINS0_14default_configENS1_20scan_config_selectorIfEEZZNS1_9scan_implILNS1_25lookback_scan_determinismE0ELb1ELb1ES3_N6thrust23THRUST_200600_302600_NS6detail15normal_iteratorINS9_10device_ptrIiEEEENSB_INSC_IfEEEEfNS9_4plusIvEEfEEDaPvRmT3_T4_T5_mT6_P12ihipStream_tbENKUlT_T0_E_clISt17integral_constantIbLb0EESW_EEDaSR_SS_EUlSR_E_NS1_11comp_targetILNS1_3genE4ELNS1_11target_archE910ELNS1_3gpuE8ELNS1_3repE0EEENS1_30default_config_static_selectorELNS0_4arch9wavefront6targetE1EEEvT1_,comdat
.Lfunc_end1716:
	.size	_ZN7rocprim17ROCPRIM_400000_NS6detail17trampoline_kernelINS0_14default_configENS1_20scan_config_selectorIfEEZZNS1_9scan_implILNS1_25lookback_scan_determinismE0ELb1ELb1ES3_N6thrust23THRUST_200600_302600_NS6detail15normal_iteratorINS9_10device_ptrIiEEEENSB_INSC_IfEEEEfNS9_4plusIvEEfEEDaPvRmT3_T4_T5_mT6_P12ihipStream_tbENKUlT_T0_E_clISt17integral_constantIbLb0EESW_EEDaSR_SS_EUlSR_E_NS1_11comp_targetILNS1_3genE4ELNS1_11target_archE910ELNS1_3gpuE8ELNS1_3repE0EEENS1_30default_config_static_selectorELNS0_4arch9wavefront6targetE1EEEvT1_, .Lfunc_end1716-_ZN7rocprim17ROCPRIM_400000_NS6detail17trampoline_kernelINS0_14default_configENS1_20scan_config_selectorIfEEZZNS1_9scan_implILNS1_25lookback_scan_determinismE0ELb1ELb1ES3_N6thrust23THRUST_200600_302600_NS6detail15normal_iteratorINS9_10device_ptrIiEEEENSB_INSC_IfEEEEfNS9_4plusIvEEfEEDaPvRmT3_T4_T5_mT6_P12ihipStream_tbENKUlT_T0_E_clISt17integral_constantIbLb0EESW_EEDaSR_SS_EUlSR_E_NS1_11comp_targetILNS1_3genE4ELNS1_11target_archE910ELNS1_3gpuE8ELNS1_3repE0EEENS1_30default_config_static_selectorELNS0_4arch9wavefront6targetE1EEEvT1_
                                        ; -- End function
	.section	.AMDGPU.csdata,"",@progbits
; Kernel info:
; codeLenInByte = 5764
; NumSgprs: 35
; NumVgprs: 49
; NumAgprs: 0
; TotalNumVgprs: 49
; ScratchSize: 0
; MemoryBound: 0
; FloatMode: 240
; IeeeMode: 1
; LDSByteSize: 7168 bytes/workgroup (compile time only)
; SGPRBlocks: 4
; VGPRBlocks: 6
; NumSGPRsForWavesPerEU: 35
; NumVGPRsForWavesPerEU: 49
; AccumOffset: 52
; Occupancy: 5
; WaveLimiterHint : 1
; COMPUTE_PGM_RSRC2:SCRATCH_EN: 0
; COMPUTE_PGM_RSRC2:USER_SGPR: 6
; COMPUTE_PGM_RSRC2:TRAP_HANDLER: 0
; COMPUTE_PGM_RSRC2:TGID_X_EN: 1
; COMPUTE_PGM_RSRC2:TGID_Y_EN: 0
; COMPUTE_PGM_RSRC2:TGID_Z_EN: 0
; COMPUTE_PGM_RSRC2:TIDIG_COMP_CNT: 0
; COMPUTE_PGM_RSRC3_GFX90A:ACCUM_OFFSET: 12
; COMPUTE_PGM_RSRC3_GFX90A:TG_SPLIT: 0
	.section	.text._ZN7rocprim17ROCPRIM_400000_NS6detail17trampoline_kernelINS0_14default_configENS1_20scan_config_selectorIfEEZZNS1_9scan_implILNS1_25lookback_scan_determinismE0ELb1ELb1ES3_N6thrust23THRUST_200600_302600_NS6detail15normal_iteratorINS9_10device_ptrIiEEEENSB_INSC_IfEEEEfNS9_4plusIvEEfEEDaPvRmT3_T4_T5_mT6_P12ihipStream_tbENKUlT_T0_E_clISt17integral_constantIbLb0EESW_EEDaSR_SS_EUlSR_E_NS1_11comp_targetILNS1_3genE3ELNS1_11target_archE908ELNS1_3gpuE7ELNS1_3repE0EEENS1_30default_config_static_selectorELNS0_4arch9wavefront6targetE1EEEvT1_,"axG",@progbits,_ZN7rocprim17ROCPRIM_400000_NS6detail17trampoline_kernelINS0_14default_configENS1_20scan_config_selectorIfEEZZNS1_9scan_implILNS1_25lookback_scan_determinismE0ELb1ELb1ES3_N6thrust23THRUST_200600_302600_NS6detail15normal_iteratorINS9_10device_ptrIiEEEENSB_INSC_IfEEEEfNS9_4plusIvEEfEEDaPvRmT3_T4_T5_mT6_P12ihipStream_tbENKUlT_T0_E_clISt17integral_constantIbLb0EESW_EEDaSR_SS_EUlSR_E_NS1_11comp_targetILNS1_3genE3ELNS1_11target_archE908ELNS1_3gpuE7ELNS1_3repE0EEENS1_30default_config_static_selectorELNS0_4arch9wavefront6targetE1EEEvT1_,comdat
	.protected	_ZN7rocprim17ROCPRIM_400000_NS6detail17trampoline_kernelINS0_14default_configENS1_20scan_config_selectorIfEEZZNS1_9scan_implILNS1_25lookback_scan_determinismE0ELb1ELb1ES3_N6thrust23THRUST_200600_302600_NS6detail15normal_iteratorINS9_10device_ptrIiEEEENSB_INSC_IfEEEEfNS9_4plusIvEEfEEDaPvRmT3_T4_T5_mT6_P12ihipStream_tbENKUlT_T0_E_clISt17integral_constantIbLb0EESW_EEDaSR_SS_EUlSR_E_NS1_11comp_targetILNS1_3genE3ELNS1_11target_archE908ELNS1_3gpuE7ELNS1_3repE0EEENS1_30default_config_static_selectorELNS0_4arch9wavefront6targetE1EEEvT1_ ; -- Begin function _ZN7rocprim17ROCPRIM_400000_NS6detail17trampoline_kernelINS0_14default_configENS1_20scan_config_selectorIfEEZZNS1_9scan_implILNS1_25lookback_scan_determinismE0ELb1ELb1ES3_N6thrust23THRUST_200600_302600_NS6detail15normal_iteratorINS9_10device_ptrIiEEEENSB_INSC_IfEEEEfNS9_4plusIvEEfEEDaPvRmT3_T4_T5_mT6_P12ihipStream_tbENKUlT_T0_E_clISt17integral_constantIbLb0EESW_EEDaSR_SS_EUlSR_E_NS1_11comp_targetILNS1_3genE3ELNS1_11target_archE908ELNS1_3gpuE7ELNS1_3repE0EEENS1_30default_config_static_selectorELNS0_4arch9wavefront6targetE1EEEvT1_
	.globl	_ZN7rocprim17ROCPRIM_400000_NS6detail17trampoline_kernelINS0_14default_configENS1_20scan_config_selectorIfEEZZNS1_9scan_implILNS1_25lookback_scan_determinismE0ELb1ELb1ES3_N6thrust23THRUST_200600_302600_NS6detail15normal_iteratorINS9_10device_ptrIiEEEENSB_INSC_IfEEEEfNS9_4plusIvEEfEEDaPvRmT3_T4_T5_mT6_P12ihipStream_tbENKUlT_T0_E_clISt17integral_constantIbLb0EESW_EEDaSR_SS_EUlSR_E_NS1_11comp_targetILNS1_3genE3ELNS1_11target_archE908ELNS1_3gpuE7ELNS1_3repE0EEENS1_30default_config_static_selectorELNS0_4arch9wavefront6targetE1EEEvT1_
	.p2align	8
	.type	_ZN7rocprim17ROCPRIM_400000_NS6detail17trampoline_kernelINS0_14default_configENS1_20scan_config_selectorIfEEZZNS1_9scan_implILNS1_25lookback_scan_determinismE0ELb1ELb1ES3_N6thrust23THRUST_200600_302600_NS6detail15normal_iteratorINS9_10device_ptrIiEEEENSB_INSC_IfEEEEfNS9_4plusIvEEfEEDaPvRmT3_T4_T5_mT6_P12ihipStream_tbENKUlT_T0_E_clISt17integral_constantIbLb0EESW_EEDaSR_SS_EUlSR_E_NS1_11comp_targetILNS1_3genE3ELNS1_11target_archE908ELNS1_3gpuE7ELNS1_3repE0EEENS1_30default_config_static_selectorELNS0_4arch9wavefront6targetE1EEEvT1_,@function
_ZN7rocprim17ROCPRIM_400000_NS6detail17trampoline_kernelINS0_14default_configENS1_20scan_config_selectorIfEEZZNS1_9scan_implILNS1_25lookback_scan_determinismE0ELb1ELb1ES3_N6thrust23THRUST_200600_302600_NS6detail15normal_iteratorINS9_10device_ptrIiEEEENSB_INSC_IfEEEEfNS9_4plusIvEEfEEDaPvRmT3_T4_T5_mT6_P12ihipStream_tbENKUlT_T0_E_clISt17integral_constantIbLb0EESW_EEDaSR_SS_EUlSR_E_NS1_11comp_targetILNS1_3genE3ELNS1_11target_archE908ELNS1_3gpuE7ELNS1_3repE0EEENS1_30default_config_static_selectorELNS0_4arch9wavefront6targetE1EEEvT1_: ; @_ZN7rocprim17ROCPRIM_400000_NS6detail17trampoline_kernelINS0_14default_configENS1_20scan_config_selectorIfEEZZNS1_9scan_implILNS1_25lookback_scan_determinismE0ELb1ELb1ES3_N6thrust23THRUST_200600_302600_NS6detail15normal_iteratorINS9_10device_ptrIiEEEENSB_INSC_IfEEEEfNS9_4plusIvEEfEEDaPvRmT3_T4_T5_mT6_P12ihipStream_tbENKUlT_T0_E_clISt17integral_constantIbLb0EESW_EEDaSR_SS_EUlSR_E_NS1_11comp_targetILNS1_3genE3ELNS1_11target_archE908ELNS1_3gpuE7ELNS1_3repE0EEENS1_30default_config_static_selectorELNS0_4arch9wavefront6targetE1EEEvT1_
; %bb.0:
	.section	.rodata,"a",@progbits
	.p2align	6, 0x0
	.amdhsa_kernel _ZN7rocprim17ROCPRIM_400000_NS6detail17trampoline_kernelINS0_14default_configENS1_20scan_config_selectorIfEEZZNS1_9scan_implILNS1_25lookback_scan_determinismE0ELb1ELb1ES3_N6thrust23THRUST_200600_302600_NS6detail15normal_iteratorINS9_10device_ptrIiEEEENSB_INSC_IfEEEEfNS9_4plusIvEEfEEDaPvRmT3_T4_T5_mT6_P12ihipStream_tbENKUlT_T0_E_clISt17integral_constantIbLb0EESW_EEDaSR_SS_EUlSR_E_NS1_11comp_targetILNS1_3genE3ELNS1_11target_archE908ELNS1_3gpuE7ELNS1_3repE0EEENS1_30default_config_static_selectorELNS0_4arch9wavefront6targetE1EEEvT1_
		.amdhsa_group_segment_fixed_size 0
		.amdhsa_private_segment_fixed_size 0
		.amdhsa_kernarg_size 96
		.amdhsa_user_sgpr_count 6
		.amdhsa_user_sgpr_private_segment_buffer 1
		.amdhsa_user_sgpr_dispatch_ptr 0
		.amdhsa_user_sgpr_queue_ptr 0
		.amdhsa_user_sgpr_kernarg_segment_ptr 1
		.amdhsa_user_sgpr_dispatch_id 0
		.amdhsa_user_sgpr_flat_scratch_init 0
		.amdhsa_user_sgpr_kernarg_preload_length 0
		.amdhsa_user_sgpr_kernarg_preload_offset 0
		.amdhsa_user_sgpr_private_segment_size 0
		.amdhsa_uses_dynamic_stack 0
		.amdhsa_system_sgpr_private_segment_wavefront_offset 0
		.amdhsa_system_sgpr_workgroup_id_x 1
		.amdhsa_system_sgpr_workgroup_id_y 0
		.amdhsa_system_sgpr_workgroup_id_z 0
		.amdhsa_system_sgpr_workgroup_info 0
		.amdhsa_system_vgpr_workitem_id 0
		.amdhsa_next_free_vgpr 1
		.amdhsa_next_free_sgpr 0
		.amdhsa_accum_offset 4
		.amdhsa_reserve_vcc 0
		.amdhsa_reserve_flat_scratch 0
		.amdhsa_float_round_mode_32 0
		.amdhsa_float_round_mode_16_64 0
		.amdhsa_float_denorm_mode_32 3
		.amdhsa_float_denorm_mode_16_64 3
		.amdhsa_dx10_clamp 1
		.amdhsa_ieee_mode 1
		.amdhsa_fp16_overflow 0
		.amdhsa_tg_split 0
		.amdhsa_exception_fp_ieee_invalid_op 0
		.amdhsa_exception_fp_denorm_src 0
		.amdhsa_exception_fp_ieee_div_zero 0
		.amdhsa_exception_fp_ieee_overflow 0
		.amdhsa_exception_fp_ieee_underflow 0
		.amdhsa_exception_fp_ieee_inexact 0
		.amdhsa_exception_int_div_zero 0
	.end_amdhsa_kernel
	.section	.text._ZN7rocprim17ROCPRIM_400000_NS6detail17trampoline_kernelINS0_14default_configENS1_20scan_config_selectorIfEEZZNS1_9scan_implILNS1_25lookback_scan_determinismE0ELb1ELb1ES3_N6thrust23THRUST_200600_302600_NS6detail15normal_iteratorINS9_10device_ptrIiEEEENSB_INSC_IfEEEEfNS9_4plusIvEEfEEDaPvRmT3_T4_T5_mT6_P12ihipStream_tbENKUlT_T0_E_clISt17integral_constantIbLb0EESW_EEDaSR_SS_EUlSR_E_NS1_11comp_targetILNS1_3genE3ELNS1_11target_archE908ELNS1_3gpuE7ELNS1_3repE0EEENS1_30default_config_static_selectorELNS0_4arch9wavefront6targetE1EEEvT1_,"axG",@progbits,_ZN7rocprim17ROCPRIM_400000_NS6detail17trampoline_kernelINS0_14default_configENS1_20scan_config_selectorIfEEZZNS1_9scan_implILNS1_25lookback_scan_determinismE0ELb1ELb1ES3_N6thrust23THRUST_200600_302600_NS6detail15normal_iteratorINS9_10device_ptrIiEEEENSB_INSC_IfEEEEfNS9_4plusIvEEfEEDaPvRmT3_T4_T5_mT6_P12ihipStream_tbENKUlT_T0_E_clISt17integral_constantIbLb0EESW_EEDaSR_SS_EUlSR_E_NS1_11comp_targetILNS1_3genE3ELNS1_11target_archE908ELNS1_3gpuE7ELNS1_3repE0EEENS1_30default_config_static_selectorELNS0_4arch9wavefront6targetE1EEEvT1_,comdat
.Lfunc_end1717:
	.size	_ZN7rocprim17ROCPRIM_400000_NS6detail17trampoline_kernelINS0_14default_configENS1_20scan_config_selectorIfEEZZNS1_9scan_implILNS1_25lookback_scan_determinismE0ELb1ELb1ES3_N6thrust23THRUST_200600_302600_NS6detail15normal_iteratorINS9_10device_ptrIiEEEENSB_INSC_IfEEEEfNS9_4plusIvEEfEEDaPvRmT3_T4_T5_mT6_P12ihipStream_tbENKUlT_T0_E_clISt17integral_constantIbLb0EESW_EEDaSR_SS_EUlSR_E_NS1_11comp_targetILNS1_3genE3ELNS1_11target_archE908ELNS1_3gpuE7ELNS1_3repE0EEENS1_30default_config_static_selectorELNS0_4arch9wavefront6targetE1EEEvT1_, .Lfunc_end1717-_ZN7rocprim17ROCPRIM_400000_NS6detail17trampoline_kernelINS0_14default_configENS1_20scan_config_selectorIfEEZZNS1_9scan_implILNS1_25lookback_scan_determinismE0ELb1ELb1ES3_N6thrust23THRUST_200600_302600_NS6detail15normal_iteratorINS9_10device_ptrIiEEEENSB_INSC_IfEEEEfNS9_4plusIvEEfEEDaPvRmT3_T4_T5_mT6_P12ihipStream_tbENKUlT_T0_E_clISt17integral_constantIbLb0EESW_EEDaSR_SS_EUlSR_E_NS1_11comp_targetILNS1_3genE3ELNS1_11target_archE908ELNS1_3gpuE7ELNS1_3repE0EEENS1_30default_config_static_selectorELNS0_4arch9wavefront6targetE1EEEvT1_
                                        ; -- End function
	.section	.AMDGPU.csdata,"",@progbits
; Kernel info:
; codeLenInByte = 0
; NumSgprs: 4
; NumVgprs: 0
; NumAgprs: 0
; TotalNumVgprs: 0
; ScratchSize: 0
; MemoryBound: 0
; FloatMode: 240
; IeeeMode: 1
; LDSByteSize: 0 bytes/workgroup (compile time only)
; SGPRBlocks: 0
; VGPRBlocks: 0
; NumSGPRsForWavesPerEU: 4
; NumVGPRsForWavesPerEU: 1
; AccumOffset: 4
; Occupancy: 8
; WaveLimiterHint : 0
; COMPUTE_PGM_RSRC2:SCRATCH_EN: 0
; COMPUTE_PGM_RSRC2:USER_SGPR: 6
; COMPUTE_PGM_RSRC2:TRAP_HANDLER: 0
; COMPUTE_PGM_RSRC2:TGID_X_EN: 1
; COMPUTE_PGM_RSRC2:TGID_Y_EN: 0
; COMPUTE_PGM_RSRC2:TGID_Z_EN: 0
; COMPUTE_PGM_RSRC2:TIDIG_COMP_CNT: 0
; COMPUTE_PGM_RSRC3_GFX90A:ACCUM_OFFSET: 0
; COMPUTE_PGM_RSRC3_GFX90A:TG_SPLIT: 0
	.section	.text._ZN7rocprim17ROCPRIM_400000_NS6detail17trampoline_kernelINS0_14default_configENS1_20scan_config_selectorIfEEZZNS1_9scan_implILNS1_25lookback_scan_determinismE0ELb1ELb1ES3_N6thrust23THRUST_200600_302600_NS6detail15normal_iteratorINS9_10device_ptrIiEEEENSB_INSC_IfEEEEfNS9_4plusIvEEfEEDaPvRmT3_T4_T5_mT6_P12ihipStream_tbENKUlT_T0_E_clISt17integral_constantIbLb0EESW_EEDaSR_SS_EUlSR_E_NS1_11comp_targetILNS1_3genE2ELNS1_11target_archE906ELNS1_3gpuE6ELNS1_3repE0EEENS1_30default_config_static_selectorELNS0_4arch9wavefront6targetE1EEEvT1_,"axG",@progbits,_ZN7rocprim17ROCPRIM_400000_NS6detail17trampoline_kernelINS0_14default_configENS1_20scan_config_selectorIfEEZZNS1_9scan_implILNS1_25lookback_scan_determinismE0ELb1ELb1ES3_N6thrust23THRUST_200600_302600_NS6detail15normal_iteratorINS9_10device_ptrIiEEEENSB_INSC_IfEEEEfNS9_4plusIvEEfEEDaPvRmT3_T4_T5_mT6_P12ihipStream_tbENKUlT_T0_E_clISt17integral_constantIbLb0EESW_EEDaSR_SS_EUlSR_E_NS1_11comp_targetILNS1_3genE2ELNS1_11target_archE906ELNS1_3gpuE6ELNS1_3repE0EEENS1_30default_config_static_selectorELNS0_4arch9wavefront6targetE1EEEvT1_,comdat
	.protected	_ZN7rocprim17ROCPRIM_400000_NS6detail17trampoline_kernelINS0_14default_configENS1_20scan_config_selectorIfEEZZNS1_9scan_implILNS1_25lookback_scan_determinismE0ELb1ELb1ES3_N6thrust23THRUST_200600_302600_NS6detail15normal_iteratorINS9_10device_ptrIiEEEENSB_INSC_IfEEEEfNS9_4plusIvEEfEEDaPvRmT3_T4_T5_mT6_P12ihipStream_tbENKUlT_T0_E_clISt17integral_constantIbLb0EESW_EEDaSR_SS_EUlSR_E_NS1_11comp_targetILNS1_3genE2ELNS1_11target_archE906ELNS1_3gpuE6ELNS1_3repE0EEENS1_30default_config_static_selectorELNS0_4arch9wavefront6targetE1EEEvT1_ ; -- Begin function _ZN7rocprim17ROCPRIM_400000_NS6detail17trampoline_kernelINS0_14default_configENS1_20scan_config_selectorIfEEZZNS1_9scan_implILNS1_25lookback_scan_determinismE0ELb1ELb1ES3_N6thrust23THRUST_200600_302600_NS6detail15normal_iteratorINS9_10device_ptrIiEEEENSB_INSC_IfEEEEfNS9_4plusIvEEfEEDaPvRmT3_T4_T5_mT6_P12ihipStream_tbENKUlT_T0_E_clISt17integral_constantIbLb0EESW_EEDaSR_SS_EUlSR_E_NS1_11comp_targetILNS1_3genE2ELNS1_11target_archE906ELNS1_3gpuE6ELNS1_3repE0EEENS1_30default_config_static_selectorELNS0_4arch9wavefront6targetE1EEEvT1_
	.globl	_ZN7rocprim17ROCPRIM_400000_NS6detail17trampoline_kernelINS0_14default_configENS1_20scan_config_selectorIfEEZZNS1_9scan_implILNS1_25lookback_scan_determinismE0ELb1ELb1ES3_N6thrust23THRUST_200600_302600_NS6detail15normal_iteratorINS9_10device_ptrIiEEEENSB_INSC_IfEEEEfNS9_4plusIvEEfEEDaPvRmT3_T4_T5_mT6_P12ihipStream_tbENKUlT_T0_E_clISt17integral_constantIbLb0EESW_EEDaSR_SS_EUlSR_E_NS1_11comp_targetILNS1_3genE2ELNS1_11target_archE906ELNS1_3gpuE6ELNS1_3repE0EEENS1_30default_config_static_selectorELNS0_4arch9wavefront6targetE1EEEvT1_
	.p2align	8
	.type	_ZN7rocprim17ROCPRIM_400000_NS6detail17trampoline_kernelINS0_14default_configENS1_20scan_config_selectorIfEEZZNS1_9scan_implILNS1_25lookback_scan_determinismE0ELb1ELb1ES3_N6thrust23THRUST_200600_302600_NS6detail15normal_iteratorINS9_10device_ptrIiEEEENSB_INSC_IfEEEEfNS9_4plusIvEEfEEDaPvRmT3_T4_T5_mT6_P12ihipStream_tbENKUlT_T0_E_clISt17integral_constantIbLb0EESW_EEDaSR_SS_EUlSR_E_NS1_11comp_targetILNS1_3genE2ELNS1_11target_archE906ELNS1_3gpuE6ELNS1_3repE0EEENS1_30default_config_static_selectorELNS0_4arch9wavefront6targetE1EEEvT1_,@function
_ZN7rocprim17ROCPRIM_400000_NS6detail17trampoline_kernelINS0_14default_configENS1_20scan_config_selectorIfEEZZNS1_9scan_implILNS1_25lookback_scan_determinismE0ELb1ELb1ES3_N6thrust23THRUST_200600_302600_NS6detail15normal_iteratorINS9_10device_ptrIiEEEENSB_INSC_IfEEEEfNS9_4plusIvEEfEEDaPvRmT3_T4_T5_mT6_P12ihipStream_tbENKUlT_T0_E_clISt17integral_constantIbLb0EESW_EEDaSR_SS_EUlSR_E_NS1_11comp_targetILNS1_3genE2ELNS1_11target_archE906ELNS1_3gpuE6ELNS1_3repE0EEENS1_30default_config_static_selectorELNS0_4arch9wavefront6targetE1EEEvT1_: ; @_ZN7rocprim17ROCPRIM_400000_NS6detail17trampoline_kernelINS0_14default_configENS1_20scan_config_selectorIfEEZZNS1_9scan_implILNS1_25lookback_scan_determinismE0ELb1ELb1ES3_N6thrust23THRUST_200600_302600_NS6detail15normal_iteratorINS9_10device_ptrIiEEEENSB_INSC_IfEEEEfNS9_4plusIvEEfEEDaPvRmT3_T4_T5_mT6_P12ihipStream_tbENKUlT_T0_E_clISt17integral_constantIbLb0EESW_EEDaSR_SS_EUlSR_E_NS1_11comp_targetILNS1_3genE2ELNS1_11target_archE906ELNS1_3gpuE6ELNS1_3repE0EEENS1_30default_config_static_selectorELNS0_4arch9wavefront6targetE1EEEvT1_
; %bb.0:
	.section	.rodata,"a",@progbits
	.p2align	6, 0x0
	.amdhsa_kernel _ZN7rocprim17ROCPRIM_400000_NS6detail17trampoline_kernelINS0_14default_configENS1_20scan_config_selectorIfEEZZNS1_9scan_implILNS1_25lookback_scan_determinismE0ELb1ELb1ES3_N6thrust23THRUST_200600_302600_NS6detail15normal_iteratorINS9_10device_ptrIiEEEENSB_INSC_IfEEEEfNS9_4plusIvEEfEEDaPvRmT3_T4_T5_mT6_P12ihipStream_tbENKUlT_T0_E_clISt17integral_constantIbLb0EESW_EEDaSR_SS_EUlSR_E_NS1_11comp_targetILNS1_3genE2ELNS1_11target_archE906ELNS1_3gpuE6ELNS1_3repE0EEENS1_30default_config_static_selectorELNS0_4arch9wavefront6targetE1EEEvT1_
		.amdhsa_group_segment_fixed_size 0
		.amdhsa_private_segment_fixed_size 0
		.amdhsa_kernarg_size 96
		.amdhsa_user_sgpr_count 6
		.amdhsa_user_sgpr_private_segment_buffer 1
		.amdhsa_user_sgpr_dispatch_ptr 0
		.amdhsa_user_sgpr_queue_ptr 0
		.amdhsa_user_sgpr_kernarg_segment_ptr 1
		.amdhsa_user_sgpr_dispatch_id 0
		.amdhsa_user_sgpr_flat_scratch_init 0
		.amdhsa_user_sgpr_kernarg_preload_length 0
		.amdhsa_user_sgpr_kernarg_preload_offset 0
		.amdhsa_user_sgpr_private_segment_size 0
		.amdhsa_uses_dynamic_stack 0
		.amdhsa_system_sgpr_private_segment_wavefront_offset 0
		.amdhsa_system_sgpr_workgroup_id_x 1
		.amdhsa_system_sgpr_workgroup_id_y 0
		.amdhsa_system_sgpr_workgroup_id_z 0
		.amdhsa_system_sgpr_workgroup_info 0
		.amdhsa_system_vgpr_workitem_id 0
		.amdhsa_next_free_vgpr 1
		.amdhsa_next_free_sgpr 0
		.amdhsa_accum_offset 4
		.amdhsa_reserve_vcc 0
		.amdhsa_reserve_flat_scratch 0
		.amdhsa_float_round_mode_32 0
		.amdhsa_float_round_mode_16_64 0
		.amdhsa_float_denorm_mode_32 3
		.amdhsa_float_denorm_mode_16_64 3
		.amdhsa_dx10_clamp 1
		.amdhsa_ieee_mode 1
		.amdhsa_fp16_overflow 0
		.amdhsa_tg_split 0
		.amdhsa_exception_fp_ieee_invalid_op 0
		.amdhsa_exception_fp_denorm_src 0
		.amdhsa_exception_fp_ieee_div_zero 0
		.amdhsa_exception_fp_ieee_overflow 0
		.amdhsa_exception_fp_ieee_underflow 0
		.amdhsa_exception_fp_ieee_inexact 0
		.amdhsa_exception_int_div_zero 0
	.end_amdhsa_kernel
	.section	.text._ZN7rocprim17ROCPRIM_400000_NS6detail17trampoline_kernelINS0_14default_configENS1_20scan_config_selectorIfEEZZNS1_9scan_implILNS1_25lookback_scan_determinismE0ELb1ELb1ES3_N6thrust23THRUST_200600_302600_NS6detail15normal_iteratorINS9_10device_ptrIiEEEENSB_INSC_IfEEEEfNS9_4plusIvEEfEEDaPvRmT3_T4_T5_mT6_P12ihipStream_tbENKUlT_T0_E_clISt17integral_constantIbLb0EESW_EEDaSR_SS_EUlSR_E_NS1_11comp_targetILNS1_3genE2ELNS1_11target_archE906ELNS1_3gpuE6ELNS1_3repE0EEENS1_30default_config_static_selectorELNS0_4arch9wavefront6targetE1EEEvT1_,"axG",@progbits,_ZN7rocprim17ROCPRIM_400000_NS6detail17trampoline_kernelINS0_14default_configENS1_20scan_config_selectorIfEEZZNS1_9scan_implILNS1_25lookback_scan_determinismE0ELb1ELb1ES3_N6thrust23THRUST_200600_302600_NS6detail15normal_iteratorINS9_10device_ptrIiEEEENSB_INSC_IfEEEEfNS9_4plusIvEEfEEDaPvRmT3_T4_T5_mT6_P12ihipStream_tbENKUlT_T0_E_clISt17integral_constantIbLb0EESW_EEDaSR_SS_EUlSR_E_NS1_11comp_targetILNS1_3genE2ELNS1_11target_archE906ELNS1_3gpuE6ELNS1_3repE0EEENS1_30default_config_static_selectorELNS0_4arch9wavefront6targetE1EEEvT1_,comdat
.Lfunc_end1718:
	.size	_ZN7rocprim17ROCPRIM_400000_NS6detail17trampoline_kernelINS0_14default_configENS1_20scan_config_selectorIfEEZZNS1_9scan_implILNS1_25lookback_scan_determinismE0ELb1ELb1ES3_N6thrust23THRUST_200600_302600_NS6detail15normal_iteratorINS9_10device_ptrIiEEEENSB_INSC_IfEEEEfNS9_4plusIvEEfEEDaPvRmT3_T4_T5_mT6_P12ihipStream_tbENKUlT_T0_E_clISt17integral_constantIbLb0EESW_EEDaSR_SS_EUlSR_E_NS1_11comp_targetILNS1_3genE2ELNS1_11target_archE906ELNS1_3gpuE6ELNS1_3repE0EEENS1_30default_config_static_selectorELNS0_4arch9wavefront6targetE1EEEvT1_, .Lfunc_end1718-_ZN7rocprim17ROCPRIM_400000_NS6detail17trampoline_kernelINS0_14default_configENS1_20scan_config_selectorIfEEZZNS1_9scan_implILNS1_25lookback_scan_determinismE0ELb1ELb1ES3_N6thrust23THRUST_200600_302600_NS6detail15normal_iteratorINS9_10device_ptrIiEEEENSB_INSC_IfEEEEfNS9_4plusIvEEfEEDaPvRmT3_T4_T5_mT6_P12ihipStream_tbENKUlT_T0_E_clISt17integral_constantIbLb0EESW_EEDaSR_SS_EUlSR_E_NS1_11comp_targetILNS1_3genE2ELNS1_11target_archE906ELNS1_3gpuE6ELNS1_3repE0EEENS1_30default_config_static_selectorELNS0_4arch9wavefront6targetE1EEEvT1_
                                        ; -- End function
	.section	.AMDGPU.csdata,"",@progbits
; Kernel info:
; codeLenInByte = 0
; NumSgprs: 4
; NumVgprs: 0
; NumAgprs: 0
; TotalNumVgprs: 0
; ScratchSize: 0
; MemoryBound: 0
; FloatMode: 240
; IeeeMode: 1
; LDSByteSize: 0 bytes/workgroup (compile time only)
; SGPRBlocks: 0
; VGPRBlocks: 0
; NumSGPRsForWavesPerEU: 4
; NumVGPRsForWavesPerEU: 1
; AccumOffset: 4
; Occupancy: 8
; WaveLimiterHint : 0
; COMPUTE_PGM_RSRC2:SCRATCH_EN: 0
; COMPUTE_PGM_RSRC2:USER_SGPR: 6
; COMPUTE_PGM_RSRC2:TRAP_HANDLER: 0
; COMPUTE_PGM_RSRC2:TGID_X_EN: 1
; COMPUTE_PGM_RSRC2:TGID_Y_EN: 0
; COMPUTE_PGM_RSRC2:TGID_Z_EN: 0
; COMPUTE_PGM_RSRC2:TIDIG_COMP_CNT: 0
; COMPUTE_PGM_RSRC3_GFX90A:ACCUM_OFFSET: 0
; COMPUTE_PGM_RSRC3_GFX90A:TG_SPLIT: 0
	.section	.text._ZN7rocprim17ROCPRIM_400000_NS6detail17trampoline_kernelINS0_14default_configENS1_20scan_config_selectorIfEEZZNS1_9scan_implILNS1_25lookback_scan_determinismE0ELb1ELb1ES3_N6thrust23THRUST_200600_302600_NS6detail15normal_iteratorINS9_10device_ptrIiEEEENSB_INSC_IfEEEEfNS9_4plusIvEEfEEDaPvRmT3_T4_T5_mT6_P12ihipStream_tbENKUlT_T0_E_clISt17integral_constantIbLb0EESW_EEDaSR_SS_EUlSR_E_NS1_11comp_targetILNS1_3genE10ELNS1_11target_archE1201ELNS1_3gpuE5ELNS1_3repE0EEENS1_30default_config_static_selectorELNS0_4arch9wavefront6targetE1EEEvT1_,"axG",@progbits,_ZN7rocprim17ROCPRIM_400000_NS6detail17trampoline_kernelINS0_14default_configENS1_20scan_config_selectorIfEEZZNS1_9scan_implILNS1_25lookback_scan_determinismE0ELb1ELb1ES3_N6thrust23THRUST_200600_302600_NS6detail15normal_iteratorINS9_10device_ptrIiEEEENSB_INSC_IfEEEEfNS9_4plusIvEEfEEDaPvRmT3_T4_T5_mT6_P12ihipStream_tbENKUlT_T0_E_clISt17integral_constantIbLb0EESW_EEDaSR_SS_EUlSR_E_NS1_11comp_targetILNS1_3genE10ELNS1_11target_archE1201ELNS1_3gpuE5ELNS1_3repE0EEENS1_30default_config_static_selectorELNS0_4arch9wavefront6targetE1EEEvT1_,comdat
	.protected	_ZN7rocprim17ROCPRIM_400000_NS6detail17trampoline_kernelINS0_14default_configENS1_20scan_config_selectorIfEEZZNS1_9scan_implILNS1_25lookback_scan_determinismE0ELb1ELb1ES3_N6thrust23THRUST_200600_302600_NS6detail15normal_iteratorINS9_10device_ptrIiEEEENSB_INSC_IfEEEEfNS9_4plusIvEEfEEDaPvRmT3_T4_T5_mT6_P12ihipStream_tbENKUlT_T0_E_clISt17integral_constantIbLb0EESW_EEDaSR_SS_EUlSR_E_NS1_11comp_targetILNS1_3genE10ELNS1_11target_archE1201ELNS1_3gpuE5ELNS1_3repE0EEENS1_30default_config_static_selectorELNS0_4arch9wavefront6targetE1EEEvT1_ ; -- Begin function _ZN7rocprim17ROCPRIM_400000_NS6detail17trampoline_kernelINS0_14default_configENS1_20scan_config_selectorIfEEZZNS1_9scan_implILNS1_25lookback_scan_determinismE0ELb1ELb1ES3_N6thrust23THRUST_200600_302600_NS6detail15normal_iteratorINS9_10device_ptrIiEEEENSB_INSC_IfEEEEfNS9_4plusIvEEfEEDaPvRmT3_T4_T5_mT6_P12ihipStream_tbENKUlT_T0_E_clISt17integral_constantIbLb0EESW_EEDaSR_SS_EUlSR_E_NS1_11comp_targetILNS1_3genE10ELNS1_11target_archE1201ELNS1_3gpuE5ELNS1_3repE0EEENS1_30default_config_static_selectorELNS0_4arch9wavefront6targetE1EEEvT1_
	.globl	_ZN7rocprim17ROCPRIM_400000_NS6detail17trampoline_kernelINS0_14default_configENS1_20scan_config_selectorIfEEZZNS1_9scan_implILNS1_25lookback_scan_determinismE0ELb1ELb1ES3_N6thrust23THRUST_200600_302600_NS6detail15normal_iteratorINS9_10device_ptrIiEEEENSB_INSC_IfEEEEfNS9_4plusIvEEfEEDaPvRmT3_T4_T5_mT6_P12ihipStream_tbENKUlT_T0_E_clISt17integral_constantIbLb0EESW_EEDaSR_SS_EUlSR_E_NS1_11comp_targetILNS1_3genE10ELNS1_11target_archE1201ELNS1_3gpuE5ELNS1_3repE0EEENS1_30default_config_static_selectorELNS0_4arch9wavefront6targetE1EEEvT1_
	.p2align	8
	.type	_ZN7rocprim17ROCPRIM_400000_NS6detail17trampoline_kernelINS0_14default_configENS1_20scan_config_selectorIfEEZZNS1_9scan_implILNS1_25lookback_scan_determinismE0ELb1ELb1ES3_N6thrust23THRUST_200600_302600_NS6detail15normal_iteratorINS9_10device_ptrIiEEEENSB_INSC_IfEEEEfNS9_4plusIvEEfEEDaPvRmT3_T4_T5_mT6_P12ihipStream_tbENKUlT_T0_E_clISt17integral_constantIbLb0EESW_EEDaSR_SS_EUlSR_E_NS1_11comp_targetILNS1_3genE10ELNS1_11target_archE1201ELNS1_3gpuE5ELNS1_3repE0EEENS1_30default_config_static_selectorELNS0_4arch9wavefront6targetE1EEEvT1_,@function
_ZN7rocprim17ROCPRIM_400000_NS6detail17trampoline_kernelINS0_14default_configENS1_20scan_config_selectorIfEEZZNS1_9scan_implILNS1_25lookback_scan_determinismE0ELb1ELb1ES3_N6thrust23THRUST_200600_302600_NS6detail15normal_iteratorINS9_10device_ptrIiEEEENSB_INSC_IfEEEEfNS9_4plusIvEEfEEDaPvRmT3_T4_T5_mT6_P12ihipStream_tbENKUlT_T0_E_clISt17integral_constantIbLb0EESW_EEDaSR_SS_EUlSR_E_NS1_11comp_targetILNS1_3genE10ELNS1_11target_archE1201ELNS1_3gpuE5ELNS1_3repE0EEENS1_30default_config_static_selectorELNS0_4arch9wavefront6targetE1EEEvT1_: ; @_ZN7rocprim17ROCPRIM_400000_NS6detail17trampoline_kernelINS0_14default_configENS1_20scan_config_selectorIfEEZZNS1_9scan_implILNS1_25lookback_scan_determinismE0ELb1ELb1ES3_N6thrust23THRUST_200600_302600_NS6detail15normal_iteratorINS9_10device_ptrIiEEEENSB_INSC_IfEEEEfNS9_4plusIvEEfEEDaPvRmT3_T4_T5_mT6_P12ihipStream_tbENKUlT_T0_E_clISt17integral_constantIbLb0EESW_EEDaSR_SS_EUlSR_E_NS1_11comp_targetILNS1_3genE10ELNS1_11target_archE1201ELNS1_3gpuE5ELNS1_3repE0EEENS1_30default_config_static_selectorELNS0_4arch9wavefront6targetE1EEEvT1_
; %bb.0:
	.section	.rodata,"a",@progbits
	.p2align	6, 0x0
	.amdhsa_kernel _ZN7rocprim17ROCPRIM_400000_NS6detail17trampoline_kernelINS0_14default_configENS1_20scan_config_selectorIfEEZZNS1_9scan_implILNS1_25lookback_scan_determinismE0ELb1ELb1ES3_N6thrust23THRUST_200600_302600_NS6detail15normal_iteratorINS9_10device_ptrIiEEEENSB_INSC_IfEEEEfNS9_4plusIvEEfEEDaPvRmT3_T4_T5_mT6_P12ihipStream_tbENKUlT_T0_E_clISt17integral_constantIbLb0EESW_EEDaSR_SS_EUlSR_E_NS1_11comp_targetILNS1_3genE10ELNS1_11target_archE1201ELNS1_3gpuE5ELNS1_3repE0EEENS1_30default_config_static_selectorELNS0_4arch9wavefront6targetE1EEEvT1_
		.amdhsa_group_segment_fixed_size 0
		.amdhsa_private_segment_fixed_size 0
		.amdhsa_kernarg_size 96
		.amdhsa_user_sgpr_count 6
		.amdhsa_user_sgpr_private_segment_buffer 1
		.amdhsa_user_sgpr_dispatch_ptr 0
		.amdhsa_user_sgpr_queue_ptr 0
		.amdhsa_user_sgpr_kernarg_segment_ptr 1
		.amdhsa_user_sgpr_dispatch_id 0
		.amdhsa_user_sgpr_flat_scratch_init 0
		.amdhsa_user_sgpr_kernarg_preload_length 0
		.amdhsa_user_sgpr_kernarg_preload_offset 0
		.amdhsa_user_sgpr_private_segment_size 0
		.amdhsa_uses_dynamic_stack 0
		.amdhsa_system_sgpr_private_segment_wavefront_offset 0
		.amdhsa_system_sgpr_workgroup_id_x 1
		.amdhsa_system_sgpr_workgroup_id_y 0
		.amdhsa_system_sgpr_workgroup_id_z 0
		.amdhsa_system_sgpr_workgroup_info 0
		.amdhsa_system_vgpr_workitem_id 0
		.amdhsa_next_free_vgpr 1
		.amdhsa_next_free_sgpr 0
		.amdhsa_accum_offset 4
		.amdhsa_reserve_vcc 0
		.amdhsa_reserve_flat_scratch 0
		.amdhsa_float_round_mode_32 0
		.amdhsa_float_round_mode_16_64 0
		.amdhsa_float_denorm_mode_32 3
		.amdhsa_float_denorm_mode_16_64 3
		.amdhsa_dx10_clamp 1
		.amdhsa_ieee_mode 1
		.amdhsa_fp16_overflow 0
		.amdhsa_tg_split 0
		.amdhsa_exception_fp_ieee_invalid_op 0
		.amdhsa_exception_fp_denorm_src 0
		.amdhsa_exception_fp_ieee_div_zero 0
		.amdhsa_exception_fp_ieee_overflow 0
		.amdhsa_exception_fp_ieee_underflow 0
		.amdhsa_exception_fp_ieee_inexact 0
		.amdhsa_exception_int_div_zero 0
	.end_amdhsa_kernel
	.section	.text._ZN7rocprim17ROCPRIM_400000_NS6detail17trampoline_kernelINS0_14default_configENS1_20scan_config_selectorIfEEZZNS1_9scan_implILNS1_25lookback_scan_determinismE0ELb1ELb1ES3_N6thrust23THRUST_200600_302600_NS6detail15normal_iteratorINS9_10device_ptrIiEEEENSB_INSC_IfEEEEfNS9_4plusIvEEfEEDaPvRmT3_T4_T5_mT6_P12ihipStream_tbENKUlT_T0_E_clISt17integral_constantIbLb0EESW_EEDaSR_SS_EUlSR_E_NS1_11comp_targetILNS1_3genE10ELNS1_11target_archE1201ELNS1_3gpuE5ELNS1_3repE0EEENS1_30default_config_static_selectorELNS0_4arch9wavefront6targetE1EEEvT1_,"axG",@progbits,_ZN7rocprim17ROCPRIM_400000_NS6detail17trampoline_kernelINS0_14default_configENS1_20scan_config_selectorIfEEZZNS1_9scan_implILNS1_25lookback_scan_determinismE0ELb1ELb1ES3_N6thrust23THRUST_200600_302600_NS6detail15normal_iteratorINS9_10device_ptrIiEEEENSB_INSC_IfEEEEfNS9_4plusIvEEfEEDaPvRmT3_T4_T5_mT6_P12ihipStream_tbENKUlT_T0_E_clISt17integral_constantIbLb0EESW_EEDaSR_SS_EUlSR_E_NS1_11comp_targetILNS1_3genE10ELNS1_11target_archE1201ELNS1_3gpuE5ELNS1_3repE0EEENS1_30default_config_static_selectorELNS0_4arch9wavefront6targetE1EEEvT1_,comdat
.Lfunc_end1719:
	.size	_ZN7rocprim17ROCPRIM_400000_NS6detail17trampoline_kernelINS0_14default_configENS1_20scan_config_selectorIfEEZZNS1_9scan_implILNS1_25lookback_scan_determinismE0ELb1ELb1ES3_N6thrust23THRUST_200600_302600_NS6detail15normal_iteratorINS9_10device_ptrIiEEEENSB_INSC_IfEEEEfNS9_4plusIvEEfEEDaPvRmT3_T4_T5_mT6_P12ihipStream_tbENKUlT_T0_E_clISt17integral_constantIbLb0EESW_EEDaSR_SS_EUlSR_E_NS1_11comp_targetILNS1_3genE10ELNS1_11target_archE1201ELNS1_3gpuE5ELNS1_3repE0EEENS1_30default_config_static_selectorELNS0_4arch9wavefront6targetE1EEEvT1_, .Lfunc_end1719-_ZN7rocprim17ROCPRIM_400000_NS6detail17trampoline_kernelINS0_14default_configENS1_20scan_config_selectorIfEEZZNS1_9scan_implILNS1_25lookback_scan_determinismE0ELb1ELb1ES3_N6thrust23THRUST_200600_302600_NS6detail15normal_iteratorINS9_10device_ptrIiEEEENSB_INSC_IfEEEEfNS9_4plusIvEEfEEDaPvRmT3_T4_T5_mT6_P12ihipStream_tbENKUlT_T0_E_clISt17integral_constantIbLb0EESW_EEDaSR_SS_EUlSR_E_NS1_11comp_targetILNS1_3genE10ELNS1_11target_archE1201ELNS1_3gpuE5ELNS1_3repE0EEENS1_30default_config_static_selectorELNS0_4arch9wavefront6targetE1EEEvT1_
                                        ; -- End function
	.section	.AMDGPU.csdata,"",@progbits
; Kernel info:
; codeLenInByte = 0
; NumSgprs: 4
; NumVgprs: 0
; NumAgprs: 0
; TotalNumVgprs: 0
; ScratchSize: 0
; MemoryBound: 0
; FloatMode: 240
; IeeeMode: 1
; LDSByteSize: 0 bytes/workgroup (compile time only)
; SGPRBlocks: 0
; VGPRBlocks: 0
; NumSGPRsForWavesPerEU: 4
; NumVGPRsForWavesPerEU: 1
; AccumOffset: 4
; Occupancy: 8
; WaveLimiterHint : 0
; COMPUTE_PGM_RSRC2:SCRATCH_EN: 0
; COMPUTE_PGM_RSRC2:USER_SGPR: 6
; COMPUTE_PGM_RSRC2:TRAP_HANDLER: 0
; COMPUTE_PGM_RSRC2:TGID_X_EN: 1
; COMPUTE_PGM_RSRC2:TGID_Y_EN: 0
; COMPUTE_PGM_RSRC2:TGID_Z_EN: 0
; COMPUTE_PGM_RSRC2:TIDIG_COMP_CNT: 0
; COMPUTE_PGM_RSRC3_GFX90A:ACCUM_OFFSET: 0
; COMPUTE_PGM_RSRC3_GFX90A:TG_SPLIT: 0
	.section	.text._ZN7rocprim17ROCPRIM_400000_NS6detail17trampoline_kernelINS0_14default_configENS1_20scan_config_selectorIfEEZZNS1_9scan_implILNS1_25lookback_scan_determinismE0ELb1ELb1ES3_N6thrust23THRUST_200600_302600_NS6detail15normal_iteratorINS9_10device_ptrIiEEEENSB_INSC_IfEEEEfNS9_4plusIvEEfEEDaPvRmT3_T4_T5_mT6_P12ihipStream_tbENKUlT_T0_E_clISt17integral_constantIbLb0EESW_EEDaSR_SS_EUlSR_E_NS1_11comp_targetILNS1_3genE10ELNS1_11target_archE1200ELNS1_3gpuE4ELNS1_3repE0EEENS1_30default_config_static_selectorELNS0_4arch9wavefront6targetE1EEEvT1_,"axG",@progbits,_ZN7rocprim17ROCPRIM_400000_NS6detail17trampoline_kernelINS0_14default_configENS1_20scan_config_selectorIfEEZZNS1_9scan_implILNS1_25lookback_scan_determinismE0ELb1ELb1ES3_N6thrust23THRUST_200600_302600_NS6detail15normal_iteratorINS9_10device_ptrIiEEEENSB_INSC_IfEEEEfNS9_4plusIvEEfEEDaPvRmT3_T4_T5_mT6_P12ihipStream_tbENKUlT_T0_E_clISt17integral_constantIbLb0EESW_EEDaSR_SS_EUlSR_E_NS1_11comp_targetILNS1_3genE10ELNS1_11target_archE1200ELNS1_3gpuE4ELNS1_3repE0EEENS1_30default_config_static_selectorELNS0_4arch9wavefront6targetE1EEEvT1_,comdat
	.protected	_ZN7rocprim17ROCPRIM_400000_NS6detail17trampoline_kernelINS0_14default_configENS1_20scan_config_selectorIfEEZZNS1_9scan_implILNS1_25lookback_scan_determinismE0ELb1ELb1ES3_N6thrust23THRUST_200600_302600_NS6detail15normal_iteratorINS9_10device_ptrIiEEEENSB_INSC_IfEEEEfNS9_4plusIvEEfEEDaPvRmT3_T4_T5_mT6_P12ihipStream_tbENKUlT_T0_E_clISt17integral_constantIbLb0EESW_EEDaSR_SS_EUlSR_E_NS1_11comp_targetILNS1_3genE10ELNS1_11target_archE1200ELNS1_3gpuE4ELNS1_3repE0EEENS1_30default_config_static_selectorELNS0_4arch9wavefront6targetE1EEEvT1_ ; -- Begin function _ZN7rocprim17ROCPRIM_400000_NS6detail17trampoline_kernelINS0_14default_configENS1_20scan_config_selectorIfEEZZNS1_9scan_implILNS1_25lookback_scan_determinismE0ELb1ELb1ES3_N6thrust23THRUST_200600_302600_NS6detail15normal_iteratorINS9_10device_ptrIiEEEENSB_INSC_IfEEEEfNS9_4plusIvEEfEEDaPvRmT3_T4_T5_mT6_P12ihipStream_tbENKUlT_T0_E_clISt17integral_constantIbLb0EESW_EEDaSR_SS_EUlSR_E_NS1_11comp_targetILNS1_3genE10ELNS1_11target_archE1200ELNS1_3gpuE4ELNS1_3repE0EEENS1_30default_config_static_selectorELNS0_4arch9wavefront6targetE1EEEvT1_
	.globl	_ZN7rocprim17ROCPRIM_400000_NS6detail17trampoline_kernelINS0_14default_configENS1_20scan_config_selectorIfEEZZNS1_9scan_implILNS1_25lookback_scan_determinismE0ELb1ELb1ES3_N6thrust23THRUST_200600_302600_NS6detail15normal_iteratorINS9_10device_ptrIiEEEENSB_INSC_IfEEEEfNS9_4plusIvEEfEEDaPvRmT3_T4_T5_mT6_P12ihipStream_tbENKUlT_T0_E_clISt17integral_constantIbLb0EESW_EEDaSR_SS_EUlSR_E_NS1_11comp_targetILNS1_3genE10ELNS1_11target_archE1200ELNS1_3gpuE4ELNS1_3repE0EEENS1_30default_config_static_selectorELNS0_4arch9wavefront6targetE1EEEvT1_
	.p2align	8
	.type	_ZN7rocprim17ROCPRIM_400000_NS6detail17trampoline_kernelINS0_14default_configENS1_20scan_config_selectorIfEEZZNS1_9scan_implILNS1_25lookback_scan_determinismE0ELb1ELb1ES3_N6thrust23THRUST_200600_302600_NS6detail15normal_iteratorINS9_10device_ptrIiEEEENSB_INSC_IfEEEEfNS9_4plusIvEEfEEDaPvRmT3_T4_T5_mT6_P12ihipStream_tbENKUlT_T0_E_clISt17integral_constantIbLb0EESW_EEDaSR_SS_EUlSR_E_NS1_11comp_targetILNS1_3genE10ELNS1_11target_archE1200ELNS1_3gpuE4ELNS1_3repE0EEENS1_30default_config_static_selectorELNS0_4arch9wavefront6targetE1EEEvT1_,@function
_ZN7rocprim17ROCPRIM_400000_NS6detail17trampoline_kernelINS0_14default_configENS1_20scan_config_selectorIfEEZZNS1_9scan_implILNS1_25lookback_scan_determinismE0ELb1ELb1ES3_N6thrust23THRUST_200600_302600_NS6detail15normal_iteratorINS9_10device_ptrIiEEEENSB_INSC_IfEEEEfNS9_4plusIvEEfEEDaPvRmT3_T4_T5_mT6_P12ihipStream_tbENKUlT_T0_E_clISt17integral_constantIbLb0EESW_EEDaSR_SS_EUlSR_E_NS1_11comp_targetILNS1_3genE10ELNS1_11target_archE1200ELNS1_3gpuE4ELNS1_3repE0EEENS1_30default_config_static_selectorELNS0_4arch9wavefront6targetE1EEEvT1_: ; @_ZN7rocprim17ROCPRIM_400000_NS6detail17trampoline_kernelINS0_14default_configENS1_20scan_config_selectorIfEEZZNS1_9scan_implILNS1_25lookback_scan_determinismE0ELb1ELb1ES3_N6thrust23THRUST_200600_302600_NS6detail15normal_iteratorINS9_10device_ptrIiEEEENSB_INSC_IfEEEEfNS9_4plusIvEEfEEDaPvRmT3_T4_T5_mT6_P12ihipStream_tbENKUlT_T0_E_clISt17integral_constantIbLb0EESW_EEDaSR_SS_EUlSR_E_NS1_11comp_targetILNS1_3genE10ELNS1_11target_archE1200ELNS1_3gpuE4ELNS1_3repE0EEENS1_30default_config_static_selectorELNS0_4arch9wavefront6targetE1EEEvT1_
; %bb.0:
	.section	.rodata,"a",@progbits
	.p2align	6, 0x0
	.amdhsa_kernel _ZN7rocprim17ROCPRIM_400000_NS6detail17trampoline_kernelINS0_14default_configENS1_20scan_config_selectorIfEEZZNS1_9scan_implILNS1_25lookback_scan_determinismE0ELb1ELb1ES3_N6thrust23THRUST_200600_302600_NS6detail15normal_iteratorINS9_10device_ptrIiEEEENSB_INSC_IfEEEEfNS9_4plusIvEEfEEDaPvRmT3_T4_T5_mT6_P12ihipStream_tbENKUlT_T0_E_clISt17integral_constantIbLb0EESW_EEDaSR_SS_EUlSR_E_NS1_11comp_targetILNS1_3genE10ELNS1_11target_archE1200ELNS1_3gpuE4ELNS1_3repE0EEENS1_30default_config_static_selectorELNS0_4arch9wavefront6targetE1EEEvT1_
		.amdhsa_group_segment_fixed_size 0
		.amdhsa_private_segment_fixed_size 0
		.amdhsa_kernarg_size 96
		.amdhsa_user_sgpr_count 6
		.amdhsa_user_sgpr_private_segment_buffer 1
		.amdhsa_user_sgpr_dispatch_ptr 0
		.amdhsa_user_sgpr_queue_ptr 0
		.amdhsa_user_sgpr_kernarg_segment_ptr 1
		.amdhsa_user_sgpr_dispatch_id 0
		.amdhsa_user_sgpr_flat_scratch_init 0
		.amdhsa_user_sgpr_kernarg_preload_length 0
		.amdhsa_user_sgpr_kernarg_preload_offset 0
		.amdhsa_user_sgpr_private_segment_size 0
		.amdhsa_uses_dynamic_stack 0
		.amdhsa_system_sgpr_private_segment_wavefront_offset 0
		.amdhsa_system_sgpr_workgroup_id_x 1
		.amdhsa_system_sgpr_workgroup_id_y 0
		.amdhsa_system_sgpr_workgroup_id_z 0
		.amdhsa_system_sgpr_workgroup_info 0
		.amdhsa_system_vgpr_workitem_id 0
		.amdhsa_next_free_vgpr 1
		.amdhsa_next_free_sgpr 0
		.amdhsa_accum_offset 4
		.amdhsa_reserve_vcc 0
		.amdhsa_reserve_flat_scratch 0
		.amdhsa_float_round_mode_32 0
		.amdhsa_float_round_mode_16_64 0
		.amdhsa_float_denorm_mode_32 3
		.amdhsa_float_denorm_mode_16_64 3
		.amdhsa_dx10_clamp 1
		.amdhsa_ieee_mode 1
		.amdhsa_fp16_overflow 0
		.amdhsa_tg_split 0
		.amdhsa_exception_fp_ieee_invalid_op 0
		.amdhsa_exception_fp_denorm_src 0
		.amdhsa_exception_fp_ieee_div_zero 0
		.amdhsa_exception_fp_ieee_overflow 0
		.amdhsa_exception_fp_ieee_underflow 0
		.amdhsa_exception_fp_ieee_inexact 0
		.amdhsa_exception_int_div_zero 0
	.end_amdhsa_kernel
	.section	.text._ZN7rocprim17ROCPRIM_400000_NS6detail17trampoline_kernelINS0_14default_configENS1_20scan_config_selectorIfEEZZNS1_9scan_implILNS1_25lookback_scan_determinismE0ELb1ELb1ES3_N6thrust23THRUST_200600_302600_NS6detail15normal_iteratorINS9_10device_ptrIiEEEENSB_INSC_IfEEEEfNS9_4plusIvEEfEEDaPvRmT3_T4_T5_mT6_P12ihipStream_tbENKUlT_T0_E_clISt17integral_constantIbLb0EESW_EEDaSR_SS_EUlSR_E_NS1_11comp_targetILNS1_3genE10ELNS1_11target_archE1200ELNS1_3gpuE4ELNS1_3repE0EEENS1_30default_config_static_selectorELNS0_4arch9wavefront6targetE1EEEvT1_,"axG",@progbits,_ZN7rocprim17ROCPRIM_400000_NS6detail17trampoline_kernelINS0_14default_configENS1_20scan_config_selectorIfEEZZNS1_9scan_implILNS1_25lookback_scan_determinismE0ELb1ELb1ES3_N6thrust23THRUST_200600_302600_NS6detail15normal_iteratorINS9_10device_ptrIiEEEENSB_INSC_IfEEEEfNS9_4plusIvEEfEEDaPvRmT3_T4_T5_mT6_P12ihipStream_tbENKUlT_T0_E_clISt17integral_constantIbLb0EESW_EEDaSR_SS_EUlSR_E_NS1_11comp_targetILNS1_3genE10ELNS1_11target_archE1200ELNS1_3gpuE4ELNS1_3repE0EEENS1_30default_config_static_selectorELNS0_4arch9wavefront6targetE1EEEvT1_,comdat
.Lfunc_end1720:
	.size	_ZN7rocprim17ROCPRIM_400000_NS6detail17trampoline_kernelINS0_14default_configENS1_20scan_config_selectorIfEEZZNS1_9scan_implILNS1_25lookback_scan_determinismE0ELb1ELb1ES3_N6thrust23THRUST_200600_302600_NS6detail15normal_iteratorINS9_10device_ptrIiEEEENSB_INSC_IfEEEEfNS9_4plusIvEEfEEDaPvRmT3_T4_T5_mT6_P12ihipStream_tbENKUlT_T0_E_clISt17integral_constantIbLb0EESW_EEDaSR_SS_EUlSR_E_NS1_11comp_targetILNS1_3genE10ELNS1_11target_archE1200ELNS1_3gpuE4ELNS1_3repE0EEENS1_30default_config_static_selectorELNS0_4arch9wavefront6targetE1EEEvT1_, .Lfunc_end1720-_ZN7rocprim17ROCPRIM_400000_NS6detail17trampoline_kernelINS0_14default_configENS1_20scan_config_selectorIfEEZZNS1_9scan_implILNS1_25lookback_scan_determinismE0ELb1ELb1ES3_N6thrust23THRUST_200600_302600_NS6detail15normal_iteratorINS9_10device_ptrIiEEEENSB_INSC_IfEEEEfNS9_4plusIvEEfEEDaPvRmT3_T4_T5_mT6_P12ihipStream_tbENKUlT_T0_E_clISt17integral_constantIbLb0EESW_EEDaSR_SS_EUlSR_E_NS1_11comp_targetILNS1_3genE10ELNS1_11target_archE1200ELNS1_3gpuE4ELNS1_3repE0EEENS1_30default_config_static_selectorELNS0_4arch9wavefront6targetE1EEEvT1_
                                        ; -- End function
	.section	.AMDGPU.csdata,"",@progbits
; Kernel info:
; codeLenInByte = 0
; NumSgprs: 4
; NumVgprs: 0
; NumAgprs: 0
; TotalNumVgprs: 0
; ScratchSize: 0
; MemoryBound: 0
; FloatMode: 240
; IeeeMode: 1
; LDSByteSize: 0 bytes/workgroup (compile time only)
; SGPRBlocks: 0
; VGPRBlocks: 0
; NumSGPRsForWavesPerEU: 4
; NumVGPRsForWavesPerEU: 1
; AccumOffset: 4
; Occupancy: 8
; WaveLimiterHint : 0
; COMPUTE_PGM_RSRC2:SCRATCH_EN: 0
; COMPUTE_PGM_RSRC2:USER_SGPR: 6
; COMPUTE_PGM_RSRC2:TRAP_HANDLER: 0
; COMPUTE_PGM_RSRC2:TGID_X_EN: 1
; COMPUTE_PGM_RSRC2:TGID_Y_EN: 0
; COMPUTE_PGM_RSRC2:TGID_Z_EN: 0
; COMPUTE_PGM_RSRC2:TIDIG_COMP_CNT: 0
; COMPUTE_PGM_RSRC3_GFX90A:ACCUM_OFFSET: 0
; COMPUTE_PGM_RSRC3_GFX90A:TG_SPLIT: 0
	.section	.text._ZN7rocprim17ROCPRIM_400000_NS6detail17trampoline_kernelINS0_14default_configENS1_20scan_config_selectorIfEEZZNS1_9scan_implILNS1_25lookback_scan_determinismE0ELb1ELb1ES3_N6thrust23THRUST_200600_302600_NS6detail15normal_iteratorINS9_10device_ptrIiEEEENSB_INSC_IfEEEEfNS9_4plusIvEEfEEDaPvRmT3_T4_T5_mT6_P12ihipStream_tbENKUlT_T0_E_clISt17integral_constantIbLb0EESW_EEDaSR_SS_EUlSR_E_NS1_11comp_targetILNS1_3genE9ELNS1_11target_archE1100ELNS1_3gpuE3ELNS1_3repE0EEENS1_30default_config_static_selectorELNS0_4arch9wavefront6targetE1EEEvT1_,"axG",@progbits,_ZN7rocprim17ROCPRIM_400000_NS6detail17trampoline_kernelINS0_14default_configENS1_20scan_config_selectorIfEEZZNS1_9scan_implILNS1_25lookback_scan_determinismE0ELb1ELb1ES3_N6thrust23THRUST_200600_302600_NS6detail15normal_iteratorINS9_10device_ptrIiEEEENSB_INSC_IfEEEEfNS9_4plusIvEEfEEDaPvRmT3_T4_T5_mT6_P12ihipStream_tbENKUlT_T0_E_clISt17integral_constantIbLb0EESW_EEDaSR_SS_EUlSR_E_NS1_11comp_targetILNS1_3genE9ELNS1_11target_archE1100ELNS1_3gpuE3ELNS1_3repE0EEENS1_30default_config_static_selectorELNS0_4arch9wavefront6targetE1EEEvT1_,comdat
	.protected	_ZN7rocprim17ROCPRIM_400000_NS6detail17trampoline_kernelINS0_14default_configENS1_20scan_config_selectorIfEEZZNS1_9scan_implILNS1_25lookback_scan_determinismE0ELb1ELb1ES3_N6thrust23THRUST_200600_302600_NS6detail15normal_iteratorINS9_10device_ptrIiEEEENSB_INSC_IfEEEEfNS9_4plusIvEEfEEDaPvRmT3_T4_T5_mT6_P12ihipStream_tbENKUlT_T0_E_clISt17integral_constantIbLb0EESW_EEDaSR_SS_EUlSR_E_NS1_11comp_targetILNS1_3genE9ELNS1_11target_archE1100ELNS1_3gpuE3ELNS1_3repE0EEENS1_30default_config_static_selectorELNS0_4arch9wavefront6targetE1EEEvT1_ ; -- Begin function _ZN7rocprim17ROCPRIM_400000_NS6detail17trampoline_kernelINS0_14default_configENS1_20scan_config_selectorIfEEZZNS1_9scan_implILNS1_25lookback_scan_determinismE0ELb1ELb1ES3_N6thrust23THRUST_200600_302600_NS6detail15normal_iteratorINS9_10device_ptrIiEEEENSB_INSC_IfEEEEfNS9_4plusIvEEfEEDaPvRmT3_T4_T5_mT6_P12ihipStream_tbENKUlT_T0_E_clISt17integral_constantIbLb0EESW_EEDaSR_SS_EUlSR_E_NS1_11comp_targetILNS1_3genE9ELNS1_11target_archE1100ELNS1_3gpuE3ELNS1_3repE0EEENS1_30default_config_static_selectorELNS0_4arch9wavefront6targetE1EEEvT1_
	.globl	_ZN7rocprim17ROCPRIM_400000_NS6detail17trampoline_kernelINS0_14default_configENS1_20scan_config_selectorIfEEZZNS1_9scan_implILNS1_25lookback_scan_determinismE0ELb1ELb1ES3_N6thrust23THRUST_200600_302600_NS6detail15normal_iteratorINS9_10device_ptrIiEEEENSB_INSC_IfEEEEfNS9_4plusIvEEfEEDaPvRmT3_T4_T5_mT6_P12ihipStream_tbENKUlT_T0_E_clISt17integral_constantIbLb0EESW_EEDaSR_SS_EUlSR_E_NS1_11comp_targetILNS1_3genE9ELNS1_11target_archE1100ELNS1_3gpuE3ELNS1_3repE0EEENS1_30default_config_static_selectorELNS0_4arch9wavefront6targetE1EEEvT1_
	.p2align	8
	.type	_ZN7rocprim17ROCPRIM_400000_NS6detail17trampoline_kernelINS0_14default_configENS1_20scan_config_selectorIfEEZZNS1_9scan_implILNS1_25lookback_scan_determinismE0ELb1ELb1ES3_N6thrust23THRUST_200600_302600_NS6detail15normal_iteratorINS9_10device_ptrIiEEEENSB_INSC_IfEEEEfNS9_4plusIvEEfEEDaPvRmT3_T4_T5_mT6_P12ihipStream_tbENKUlT_T0_E_clISt17integral_constantIbLb0EESW_EEDaSR_SS_EUlSR_E_NS1_11comp_targetILNS1_3genE9ELNS1_11target_archE1100ELNS1_3gpuE3ELNS1_3repE0EEENS1_30default_config_static_selectorELNS0_4arch9wavefront6targetE1EEEvT1_,@function
_ZN7rocprim17ROCPRIM_400000_NS6detail17trampoline_kernelINS0_14default_configENS1_20scan_config_selectorIfEEZZNS1_9scan_implILNS1_25lookback_scan_determinismE0ELb1ELb1ES3_N6thrust23THRUST_200600_302600_NS6detail15normal_iteratorINS9_10device_ptrIiEEEENSB_INSC_IfEEEEfNS9_4plusIvEEfEEDaPvRmT3_T4_T5_mT6_P12ihipStream_tbENKUlT_T0_E_clISt17integral_constantIbLb0EESW_EEDaSR_SS_EUlSR_E_NS1_11comp_targetILNS1_3genE9ELNS1_11target_archE1100ELNS1_3gpuE3ELNS1_3repE0EEENS1_30default_config_static_selectorELNS0_4arch9wavefront6targetE1EEEvT1_: ; @_ZN7rocprim17ROCPRIM_400000_NS6detail17trampoline_kernelINS0_14default_configENS1_20scan_config_selectorIfEEZZNS1_9scan_implILNS1_25lookback_scan_determinismE0ELb1ELb1ES3_N6thrust23THRUST_200600_302600_NS6detail15normal_iteratorINS9_10device_ptrIiEEEENSB_INSC_IfEEEEfNS9_4plusIvEEfEEDaPvRmT3_T4_T5_mT6_P12ihipStream_tbENKUlT_T0_E_clISt17integral_constantIbLb0EESW_EEDaSR_SS_EUlSR_E_NS1_11comp_targetILNS1_3genE9ELNS1_11target_archE1100ELNS1_3gpuE3ELNS1_3repE0EEENS1_30default_config_static_selectorELNS0_4arch9wavefront6targetE1EEEvT1_
; %bb.0:
	.section	.rodata,"a",@progbits
	.p2align	6, 0x0
	.amdhsa_kernel _ZN7rocprim17ROCPRIM_400000_NS6detail17trampoline_kernelINS0_14default_configENS1_20scan_config_selectorIfEEZZNS1_9scan_implILNS1_25lookback_scan_determinismE0ELb1ELb1ES3_N6thrust23THRUST_200600_302600_NS6detail15normal_iteratorINS9_10device_ptrIiEEEENSB_INSC_IfEEEEfNS9_4plusIvEEfEEDaPvRmT3_T4_T5_mT6_P12ihipStream_tbENKUlT_T0_E_clISt17integral_constantIbLb0EESW_EEDaSR_SS_EUlSR_E_NS1_11comp_targetILNS1_3genE9ELNS1_11target_archE1100ELNS1_3gpuE3ELNS1_3repE0EEENS1_30default_config_static_selectorELNS0_4arch9wavefront6targetE1EEEvT1_
		.amdhsa_group_segment_fixed_size 0
		.amdhsa_private_segment_fixed_size 0
		.amdhsa_kernarg_size 96
		.amdhsa_user_sgpr_count 6
		.amdhsa_user_sgpr_private_segment_buffer 1
		.amdhsa_user_sgpr_dispatch_ptr 0
		.amdhsa_user_sgpr_queue_ptr 0
		.amdhsa_user_sgpr_kernarg_segment_ptr 1
		.amdhsa_user_sgpr_dispatch_id 0
		.amdhsa_user_sgpr_flat_scratch_init 0
		.amdhsa_user_sgpr_kernarg_preload_length 0
		.amdhsa_user_sgpr_kernarg_preload_offset 0
		.amdhsa_user_sgpr_private_segment_size 0
		.amdhsa_uses_dynamic_stack 0
		.amdhsa_system_sgpr_private_segment_wavefront_offset 0
		.amdhsa_system_sgpr_workgroup_id_x 1
		.amdhsa_system_sgpr_workgroup_id_y 0
		.amdhsa_system_sgpr_workgroup_id_z 0
		.amdhsa_system_sgpr_workgroup_info 0
		.amdhsa_system_vgpr_workitem_id 0
		.amdhsa_next_free_vgpr 1
		.amdhsa_next_free_sgpr 0
		.amdhsa_accum_offset 4
		.amdhsa_reserve_vcc 0
		.amdhsa_reserve_flat_scratch 0
		.amdhsa_float_round_mode_32 0
		.amdhsa_float_round_mode_16_64 0
		.amdhsa_float_denorm_mode_32 3
		.amdhsa_float_denorm_mode_16_64 3
		.amdhsa_dx10_clamp 1
		.amdhsa_ieee_mode 1
		.amdhsa_fp16_overflow 0
		.amdhsa_tg_split 0
		.amdhsa_exception_fp_ieee_invalid_op 0
		.amdhsa_exception_fp_denorm_src 0
		.amdhsa_exception_fp_ieee_div_zero 0
		.amdhsa_exception_fp_ieee_overflow 0
		.amdhsa_exception_fp_ieee_underflow 0
		.amdhsa_exception_fp_ieee_inexact 0
		.amdhsa_exception_int_div_zero 0
	.end_amdhsa_kernel
	.section	.text._ZN7rocprim17ROCPRIM_400000_NS6detail17trampoline_kernelINS0_14default_configENS1_20scan_config_selectorIfEEZZNS1_9scan_implILNS1_25lookback_scan_determinismE0ELb1ELb1ES3_N6thrust23THRUST_200600_302600_NS6detail15normal_iteratorINS9_10device_ptrIiEEEENSB_INSC_IfEEEEfNS9_4plusIvEEfEEDaPvRmT3_T4_T5_mT6_P12ihipStream_tbENKUlT_T0_E_clISt17integral_constantIbLb0EESW_EEDaSR_SS_EUlSR_E_NS1_11comp_targetILNS1_3genE9ELNS1_11target_archE1100ELNS1_3gpuE3ELNS1_3repE0EEENS1_30default_config_static_selectorELNS0_4arch9wavefront6targetE1EEEvT1_,"axG",@progbits,_ZN7rocprim17ROCPRIM_400000_NS6detail17trampoline_kernelINS0_14default_configENS1_20scan_config_selectorIfEEZZNS1_9scan_implILNS1_25lookback_scan_determinismE0ELb1ELb1ES3_N6thrust23THRUST_200600_302600_NS6detail15normal_iteratorINS9_10device_ptrIiEEEENSB_INSC_IfEEEEfNS9_4plusIvEEfEEDaPvRmT3_T4_T5_mT6_P12ihipStream_tbENKUlT_T0_E_clISt17integral_constantIbLb0EESW_EEDaSR_SS_EUlSR_E_NS1_11comp_targetILNS1_3genE9ELNS1_11target_archE1100ELNS1_3gpuE3ELNS1_3repE0EEENS1_30default_config_static_selectorELNS0_4arch9wavefront6targetE1EEEvT1_,comdat
.Lfunc_end1721:
	.size	_ZN7rocprim17ROCPRIM_400000_NS6detail17trampoline_kernelINS0_14default_configENS1_20scan_config_selectorIfEEZZNS1_9scan_implILNS1_25lookback_scan_determinismE0ELb1ELb1ES3_N6thrust23THRUST_200600_302600_NS6detail15normal_iteratorINS9_10device_ptrIiEEEENSB_INSC_IfEEEEfNS9_4plusIvEEfEEDaPvRmT3_T4_T5_mT6_P12ihipStream_tbENKUlT_T0_E_clISt17integral_constantIbLb0EESW_EEDaSR_SS_EUlSR_E_NS1_11comp_targetILNS1_3genE9ELNS1_11target_archE1100ELNS1_3gpuE3ELNS1_3repE0EEENS1_30default_config_static_selectorELNS0_4arch9wavefront6targetE1EEEvT1_, .Lfunc_end1721-_ZN7rocprim17ROCPRIM_400000_NS6detail17trampoline_kernelINS0_14default_configENS1_20scan_config_selectorIfEEZZNS1_9scan_implILNS1_25lookback_scan_determinismE0ELb1ELb1ES3_N6thrust23THRUST_200600_302600_NS6detail15normal_iteratorINS9_10device_ptrIiEEEENSB_INSC_IfEEEEfNS9_4plusIvEEfEEDaPvRmT3_T4_T5_mT6_P12ihipStream_tbENKUlT_T0_E_clISt17integral_constantIbLb0EESW_EEDaSR_SS_EUlSR_E_NS1_11comp_targetILNS1_3genE9ELNS1_11target_archE1100ELNS1_3gpuE3ELNS1_3repE0EEENS1_30default_config_static_selectorELNS0_4arch9wavefront6targetE1EEEvT1_
                                        ; -- End function
	.section	.AMDGPU.csdata,"",@progbits
; Kernel info:
; codeLenInByte = 0
; NumSgprs: 4
; NumVgprs: 0
; NumAgprs: 0
; TotalNumVgprs: 0
; ScratchSize: 0
; MemoryBound: 0
; FloatMode: 240
; IeeeMode: 1
; LDSByteSize: 0 bytes/workgroup (compile time only)
; SGPRBlocks: 0
; VGPRBlocks: 0
; NumSGPRsForWavesPerEU: 4
; NumVGPRsForWavesPerEU: 1
; AccumOffset: 4
; Occupancy: 8
; WaveLimiterHint : 0
; COMPUTE_PGM_RSRC2:SCRATCH_EN: 0
; COMPUTE_PGM_RSRC2:USER_SGPR: 6
; COMPUTE_PGM_RSRC2:TRAP_HANDLER: 0
; COMPUTE_PGM_RSRC2:TGID_X_EN: 1
; COMPUTE_PGM_RSRC2:TGID_Y_EN: 0
; COMPUTE_PGM_RSRC2:TGID_Z_EN: 0
; COMPUTE_PGM_RSRC2:TIDIG_COMP_CNT: 0
; COMPUTE_PGM_RSRC3_GFX90A:ACCUM_OFFSET: 0
; COMPUTE_PGM_RSRC3_GFX90A:TG_SPLIT: 0
	.section	.text._ZN7rocprim17ROCPRIM_400000_NS6detail17trampoline_kernelINS0_14default_configENS1_20scan_config_selectorIfEEZZNS1_9scan_implILNS1_25lookback_scan_determinismE0ELb1ELb1ES3_N6thrust23THRUST_200600_302600_NS6detail15normal_iteratorINS9_10device_ptrIiEEEENSB_INSC_IfEEEEfNS9_4plusIvEEfEEDaPvRmT3_T4_T5_mT6_P12ihipStream_tbENKUlT_T0_E_clISt17integral_constantIbLb0EESW_EEDaSR_SS_EUlSR_E_NS1_11comp_targetILNS1_3genE8ELNS1_11target_archE1030ELNS1_3gpuE2ELNS1_3repE0EEENS1_30default_config_static_selectorELNS0_4arch9wavefront6targetE1EEEvT1_,"axG",@progbits,_ZN7rocprim17ROCPRIM_400000_NS6detail17trampoline_kernelINS0_14default_configENS1_20scan_config_selectorIfEEZZNS1_9scan_implILNS1_25lookback_scan_determinismE0ELb1ELb1ES3_N6thrust23THRUST_200600_302600_NS6detail15normal_iteratorINS9_10device_ptrIiEEEENSB_INSC_IfEEEEfNS9_4plusIvEEfEEDaPvRmT3_T4_T5_mT6_P12ihipStream_tbENKUlT_T0_E_clISt17integral_constantIbLb0EESW_EEDaSR_SS_EUlSR_E_NS1_11comp_targetILNS1_3genE8ELNS1_11target_archE1030ELNS1_3gpuE2ELNS1_3repE0EEENS1_30default_config_static_selectorELNS0_4arch9wavefront6targetE1EEEvT1_,comdat
	.protected	_ZN7rocprim17ROCPRIM_400000_NS6detail17trampoline_kernelINS0_14default_configENS1_20scan_config_selectorIfEEZZNS1_9scan_implILNS1_25lookback_scan_determinismE0ELb1ELb1ES3_N6thrust23THRUST_200600_302600_NS6detail15normal_iteratorINS9_10device_ptrIiEEEENSB_INSC_IfEEEEfNS9_4plusIvEEfEEDaPvRmT3_T4_T5_mT6_P12ihipStream_tbENKUlT_T0_E_clISt17integral_constantIbLb0EESW_EEDaSR_SS_EUlSR_E_NS1_11comp_targetILNS1_3genE8ELNS1_11target_archE1030ELNS1_3gpuE2ELNS1_3repE0EEENS1_30default_config_static_selectorELNS0_4arch9wavefront6targetE1EEEvT1_ ; -- Begin function _ZN7rocprim17ROCPRIM_400000_NS6detail17trampoline_kernelINS0_14default_configENS1_20scan_config_selectorIfEEZZNS1_9scan_implILNS1_25lookback_scan_determinismE0ELb1ELb1ES3_N6thrust23THRUST_200600_302600_NS6detail15normal_iteratorINS9_10device_ptrIiEEEENSB_INSC_IfEEEEfNS9_4plusIvEEfEEDaPvRmT3_T4_T5_mT6_P12ihipStream_tbENKUlT_T0_E_clISt17integral_constantIbLb0EESW_EEDaSR_SS_EUlSR_E_NS1_11comp_targetILNS1_3genE8ELNS1_11target_archE1030ELNS1_3gpuE2ELNS1_3repE0EEENS1_30default_config_static_selectorELNS0_4arch9wavefront6targetE1EEEvT1_
	.globl	_ZN7rocprim17ROCPRIM_400000_NS6detail17trampoline_kernelINS0_14default_configENS1_20scan_config_selectorIfEEZZNS1_9scan_implILNS1_25lookback_scan_determinismE0ELb1ELb1ES3_N6thrust23THRUST_200600_302600_NS6detail15normal_iteratorINS9_10device_ptrIiEEEENSB_INSC_IfEEEEfNS9_4plusIvEEfEEDaPvRmT3_T4_T5_mT6_P12ihipStream_tbENKUlT_T0_E_clISt17integral_constantIbLb0EESW_EEDaSR_SS_EUlSR_E_NS1_11comp_targetILNS1_3genE8ELNS1_11target_archE1030ELNS1_3gpuE2ELNS1_3repE0EEENS1_30default_config_static_selectorELNS0_4arch9wavefront6targetE1EEEvT1_
	.p2align	8
	.type	_ZN7rocprim17ROCPRIM_400000_NS6detail17trampoline_kernelINS0_14default_configENS1_20scan_config_selectorIfEEZZNS1_9scan_implILNS1_25lookback_scan_determinismE0ELb1ELb1ES3_N6thrust23THRUST_200600_302600_NS6detail15normal_iteratorINS9_10device_ptrIiEEEENSB_INSC_IfEEEEfNS9_4plusIvEEfEEDaPvRmT3_T4_T5_mT6_P12ihipStream_tbENKUlT_T0_E_clISt17integral_constantIbLb0EESW_EEDaSR_SS_EUlSR_E_NS1_11comp_targetILNS1_3genE8ELNS1_11target_archE1030ELNS1_3gpuE2ELNS1_3repE0EEENS1_30default_config_static_selectorELNS0_4arch9wavefront6targetE1EEEvT1_,@function
_ZN7rocprim17ROCPRIM_400000_NS6detail17trampoline_kernelINS0_14default_configENS1_20scan_config_selectorIfEEZZNS1_9scan_implILNS1_25lookback_scan_determinismE0ELb1ELb1ES3_N6thrust23THRUST_200600_302600_NS6detail15normal_iteratorINS9_10device_ptrIiEEEENSB_INSC_IfEEEEfNS9_4plusIvEEfEEDaPvRmT3_T4_T5_mT6_P12ihipStream_tbENKUlT_T0_E_clISt17integral_constantIbLb0EESW_EEDaSR_SS_EUlSR_E_NS1_11comp_targetILNS1_3genE8ELNS1_11target_archE1030ELNS1_3gpuE2ELNS1_3repE0EEENS1_30default_config_static_selectorELNS0_4arch9wavefront6targetE1EEEvT1_: ; @_ZN7rocprim17ROCPRIM_400000_NS6detail17trampoline_kernelINS0_14default_configENS1_20scan_config_selectorIfEEZZNS1_9scan_implILNS1_25lookback_scan_determinismE0ELb1ELb1ES3_N6thrust23THRUST_200600_302600_NS6detail15normal_iteratorINS9_10device_ptrIiEEEENSB_INSC_IfEEEEfNS9_4plusIvEEfEEDaPvRmT3_T4_T5_mT6_P12ihipStream_tbENKUlT_T0_E_clISt17integral_constantIbLb0EESW_EEDaSR_SS_EUlSR_E_NS1_11comp_targetILNS1_3genE8ELNS1_11target_archE1030ELNS1_3gpuE2ELNS1_3repE0EEENS1_30default_config_static_selectorELNS0_4arch9wavefront6targetE1EEEvT1_
; %bb.0:
	.section	.rodata,"a",@progbits
	.p2align	6, 0x0
	.amdhsa_kernel _ZN7rocprim17ROCPRIM_400000_NS6detail17trampoline_kernelINS0_14default_configENS1_20scan_config_selectorIfEEZZNS1_9scan_implILNS1_25lookback_scan_determinismE0ELb1ELb1ES3_N6thrust23THRUST_200600_302600_NS6detail15normal_iteratorINS9_10device_ptrIiEEEENSB_INSC_IfEEEEfNS9_4plusIvEEfEEDaPvRmT3_T4_T5_mT6_P12ihipStream_tbENKUlT_T0_E_clISt17integral_constantIbLb0EESW_EEDaSR_SS_EUlSR_E_NS1_11comp_targetILNS1_3genE8ELNS1_11target_archE1030ELNS1_3gpuE2ELNS1_3repE0EEENS1_30default_config_static_selectorELNS0_4arch9wavefront6targetE1EEEvT1_
		.amdhsa_group_segment_fixed_size 0
		.amdhsa_private_segment_fixed_size 0
		.amdhsa_kernarg_size 96
		.amdhsa_user_sgpr_count 6
		.amdhsa_user_sgpr_private_segment_buffer 1
		.amdhsa_user_sgpr_dispatch_ptr 0
		.amdhsa_user_sgpr_queue_ptr 0
		.amdhsa_user_sgpr_kernarg_segment_ptr 1
		.amdhsa_user_sgpr_dispatch_id 0
		.amdhsa_user_sgpr_flat_scratch_init 0
		.amdhsa_user_sgpr_kernarg_preload_length 0
		.amdhsa_user_sgpr_kernarg_preload_offset 0
		.amdhsa_user_sgpr_private_segment_size 0
		.amdhsa_uses_dynamic_stack 0
		.amdhsa_system_sgpr_private_segment_wavefront_offset 0
		.amdhsa_system_sgpr_workgroup_id_x 1
		.amdhsa_system_sgpr_workgroup_id_y 0
		.amdhsa_system_sgpr_workgroup_id_z 0
		.amdhsa_system_sgpr_workgroup_info 0
		.amdhsa_system_vgpr_workitem_id 0
		.amdhsa_next_free_vgpr 1
		.amdhsa_next_free_sgpr 0
		.amdhsa_accum_offset 4
		.amdhsa_reserve_vcc 0
		.amdhsa_reserve_flat_scratch 0
		.amdhsa_float_round_mode_32 0
		.amdhsa_float_round_mode_16_64 0
		.amdhsa_float_denorm_mode_32 3
		.amdhsa_float_denorm_mode_16_64 3
		.amdhsa_dx10_clamp 1
		.amdhsa_ieee_mode 1
		.amdhsa_fp16_overflow 0
		.amdhsa_tg_split 0
		.amdhsa_exception_fp_ieee_invalid_op 0
		.amdhsa_exception_fp_denorm_src 0
		.amdhsa_exception_fp_ieee_div_zero 0
		.amdhsa_exception_fp_ieee_overflow 0
		.amdhsa_exception_fp_ieee_underflow 0
		.amdhsa_exception_fp_ieee_inexact 0
		.amdhsa_exception_int_div_zero 0
	.end_amdhsa_kernel
	.section	.text._ZN7rocprim17ROCPRIM_400000_NS6detail17trampoline_kernelINS0_14default_configENS1_20scan_config_selectorIfEEZZNS1_9scan_implILNS1_25lookback_scan_determinismE0ELb1ELb1ES3_N6thrust23THRUST_200600_302600_NS6detail15normal_iteratorINS9_10device_ptrIiEEEENSB_INSC_IfEEEEfNS9_4plusIvEEfEEDaPvRmT3_T4_T5_mT6_P12ihipStream_tbENKUlT_T0_E_clISt17integral_constantIbLb0EESW_EEDaSR_SS_EUlSR_E_NS1_11comp_targetILNS1_3genE8ELNS1_11target_archE1030ELNS1_3gpuE2ELNS1_3repE0EEENS1_30default_config_static_selectorELNS0_4arch9wavefront6targetE1EEEvT1_,"axG",@progbits,_ZN7rocprim17ROCPRIM_400000_NS6detail17trampoline_kernelINS0_14default_configENS1_20scan_config_selectorIfEEZZNS1_9scan_implILNS1_25lookback_scan_determinismE0ELb1ELb1ES3_N6thrust23THRUST_200600_302600_NS6detail15normal_iteratorINS9_10device_ptrIiEEEENSB_INSC_IfEEEEfNS9_4plusIvEEfEEDaPvRmT3_T4_T5_mT6_P12ihipStream_tbENKUlT_T0_E_clISt17integral_constantIbLb0EESW_EEDaSR_SS_EUlSR_E_NS1_11comp_targetILNS1_3genE8ELNS1_11target_archE1030ELNS1_3gpuE2ELNS1_3repE0EEENS1_30default_config_static_selectorELNS0_4arch9wavefront6targetE1EEEvT1_,comdat
.Lfunc_end1722:
	.size	_ZN7rocprim17ROCPRIM_400000_NS6detail17trampoline_kernelINS0_14default_configENS1_20scan_config_selectorIfEEZZNS1_9scan_implILNS1_25lookback_scan_determinismE0ELb1ELb1ES3_N6thrust23THRUST_200600_302600_NS6detail15normal_iteratorINS9_10device_ptrIiEEEENSB_INSC_IfEEEEfNS9_4plusIvEEfEEDaPvRmT3_T4_T5_mT6_P12ihipStream_tbENKUlT_T0_E_clISt17integral_constantIbLb0EESW_EEDaSR_SS_EUlSR_E_NS1_11comp_targetILNS1_3genE8ELNS1_11target_archE1030ELNS1_3gpuE2ELNS1_3repE0EEENS1_30default_config_static_selectorELNS0_4arch9wavefront6targetE1EEEvT1_, .Lfunc_end1722-_ZN7rocprim17ROCPRIM_400000_NS6detail17trampoline_kernelINS0_14default_configENS1_20scan_config_selectorIfEEZZNS1_9scan_implILNS1_25lookback_scan_determinismE0ELb1ELb1ES3_N6thrust23THRUST_200600_302600_NS6detail15normal_iteratorINS9_10device_ptrIiEEEENSB_INSC_IfEEEEfNS9_4plusIvEEfEEDaPvRmT3_T4_T5_mT6_P12ihipStream_tbENKUlT_T0_E_clISt17integral_constantIbLb0EESW_EEDaSR_SS_EUlSR_E_NS1_11comp_targetILNS1_3genE8ELNS1_11target_archE1030ELNS1_3gpuE2ELNS1_3repE0EEENS1_30default_config_static_selectorELNS0_4arch9wavefront6targetE1EEEvT1_
                                        ; -- End function
	.section	.AMDGPU.csdata,"",@progbits
; Kernel info:
; codeLenInByte = 0
; NumSgprs: 4
; NumVgprs: 0
; NumAgprs: 0
; TotalNumVgprs: 0
; ScratchSize: 0
; MemoryBound: 0
; FloatMode: 240
; IeeeMode: 1
; LDSByteSize: 0 bytes/workgroup (compile time only)
; SGPRBlocks: 0
; VGPRBlocks: 0
; NumSGPRsForWavesPerEU: 4
; NumVGPRsForWavesPerEU: 1
; AccumOffset: 4
; Occupancy: 8
; WaveLimiterHint : 0
; COMPUTE_PGM_RSRC2:SCRATCH_EN: 0
; COMPUTE_PGM_RSRC2:USER_SGPR: 6
; COMPUTE_PGM_RSRC2:TRAP_HANDLER: 0
; COMPUTE_PGM_RSRC2:TGID_X_EN: 1
; COMPUTE_PGM_RSRC2:TGID_Y_EN: 0
; COMPUTE_PGM_RSRC2:TGID_Z_EN: 0
; COMPUTE_PGM_RSRC2:TIDIG_COMP_CNT: 0
; COMPUTE_PGM_RSRC3_GFX90A:ACCUM_OFFSET: 0
; COMPUTE_PGM_RSRC3_GFX90A:TG_SPLIT: 0
	.section	.text._ZN7rocprim17ROCPRIM_400000_NS6detail17trampoline_kernelINS0_14default_configENS1_20scan_config_selectorIfEEZZNS1_9scan_implILNS1_25lookback_scan_determinismE0ELb1ELb1ES3_N6thrust23THRUST_200600_302600_NS6detail15normal_iteratorINS9_10device_ptrIiEEEENSB_INSC_IfEEEEfNS9_4plusIvEEfEEDaPvRmT3_T4_T5_mT6_P12ihipStream_tbENKUlT_T0_E_clISt17integral_constantIbLb0EESW_EEDaSR_SS_EUlSR_E0_NS1_11comp_targetILNS1_3genE0ELNS1_11target_archE4294967295ELNS1_3gpuE0ELNS1_3repE0EEENS1_30default_config_static_selectorELNS0_4arch9wavefront6targetE1EEEvT1_,"axG",@progbits,_ZN7rocprim17ROCPRIM_400000_NS6detail17trampoline_kernelINS0_14default_configENS1_20scan_config_selectorIfEEZZNS1_9scan_implILNS1_25lookback_scan_determinismE0ELb1ELb1ES3_N6thrust23THRUST_200600_302600_NS6detail15normal_iteratorINS9_10device_ptrIiEEEENSB_INSC_IfEEEEfNS9_4plusIvEEfEEDaPvRmT3_T4_T5_mT6_P12ihipStream_tbENKUlT_T0_E_clISt17integral_constantIbLb0EESW_EEDaSR_SS_EUlSR_E0_NS1_11comp_targetILNS1_3genE0ELNS1_11target_archE4294967295ELNS1_3gpuE0ELNS1_3repE0EEENS1_30default_config_static_selectorELNS0_4arch9wavefront6targetE1EEEvT1_,comdat
	.protected	_ZN7rocprim17ROCPRIM_400000_NS6detail17trampoline_kernelINS0_14default_configENS1_20scan_config_selectorIfEEZZNS1_9scan_implILNS1_25lookback_scan_determinismE0ELb1ELb1ES3_N6thrust23THRUST_200600_302600_NS6detail15normal_iteratorINS9_10device_ptrIiEEEENSB_INSC_IfEEEEfNS9_4plusIvEEfEEDaPvRmT3_T4_T5_mT6_P12ihipStream_tbENKUlT_T0_E_clISt17integral_constantIbLb0EESW_EEDaSR_SS_EUlSR_E0_NS1_11comp_targetILNS1_3genE0ELNS1_11target_archE4294967295ELNS1_3gpuE0ELNS1_3repE0EEENS1_30default_config_static_selectorELNS0_4arch9wavefront6targetE1EEEvT1_ ; -- Begin function _ZN7rocprim17ROCPRIM_400000_NS6detail17trampoline_kernelINS0_14default_configENS1_20scan_config_selectorIfEEZZNS1_9scan_implILNS1_25lookback_scan_determinismE0ELb1ELb1ES3_N6thrust23THRUST_200600_302600_NS6detail15normal_iteratorINS9_10device_ptrIiEEEENSB_INSC_IfEEEEfNS9_4plusIvEEfEEDaPvRmT3_T4_T5_mT6_P12ihipStream_tbENKUlT_T0_E_clISt17integral_constantIbLb0EESW_EEDaSR_SS_EUlSR_E0_NS1_11comp_targetILNS1_3genE0ELNS1_11target_archE4294967295ELNS1_3gpuE0ELNS1_3repE0EEENS1_30default_config_static_selectorELNS0_4arch9wavefront6targetE1EEEvT1_
	.globl	_ZN7rocprim17ROCPRIM_400000_NS6detail17trampoline_kernelINS0_14default_configENS1_20scan_config_selectorIfEEZZNS1_9scan_implILNS1_25lookback_scan_determinismE0ELb1ELb1ES3_N6thrust23THRUST_200600_302600_NS6detail15normal_iteratorINS9_10device_ptrIiEEEENSB_INSC_IfEEEEfNS9_4plusIvEEfEEDaPvRmT3_T4_T5_mT6_P12ihipStream_tbENKUlT_T0_E_clISt17integral_constantIbLb0EESW_EEDaSR_SS_EUlSR_E0_NS1_11comp_targetILNS1_3genE0ELNS1_11target_archE4294967295ELNS1_3gpuE0ELNS1_3repE0EEENS1_30default_config_static_selectorELNS0_4arch9wavefront6targetE1EEEvT1_
	.p2align	8
	.type	_ZN7rocprim17ROCPRIM_400000_NS6detail17trampoline_kernelINS0_14default_configENS1_20scan_config_selectorIfEEZZNS1_9scan_implILNS1_25lookback_scan_determinismE0ELb1ELb1ES3_N6thrust23THRUST_200600_302600_NS6detail15normal_iteratorINS9_10device_ptrIiEEEENSB_INSC_IfEEEEfNS9_4plusIvEEfEEDaPvRmT3_T4_T5_mT6_P12ihipStream_tbENKUlT_T0_E_clISt17integral_constantIbLb0EESW_EEDaSR_SS_EUlSR_E0_NS1_11comp_targetILNS1_3genE0ELNS1_11target_archE4294967295ELNS1_3gpuE0ELNS1_3repE0EEENS1_30default_config_static_selectorELNS0_4arch9wavefront6targetE1EEEvT1_,@function
_ZN7rocprim17ROCPRIM_400000_NS6detail17trampoline_kernelINS0_14default_configENS1_20scan_config_selectorIfEEZZNS1_9scan_implILNS1_25lookback_scan_determinismE0ELb1ELb1ES3_N6thrust23THRUST_200600_302600_NS6detail15normal_iteratorINS9_10device_ptrIiEEEENSB_INSC_IfEEEEfNS9_4plusIvEEfEEDaPvRmT3_T4_T5_mT6_P12ihipStream_tbENKUlT_T0_E_clISt17integral_constantIbLb0EESW_EEDaSR_SS_EUlSR_E0_NS1_11comp_targetILNS1_3genE0ELNS1_11target_archE4294967295ELNS1_3gpuE0ELNS1_3repE0EEENS1_30default_config_static_selectorELNS0_4arch9wavefront6targetE1EEEvT1_: ; @_ZN7rocprim17ROCPRIM_400000_NS6detail17trampoline_kernelINS0_14default_configENS1_20scan_config_selectorIfEEZZNS1_9scan_implILNS1_25lookback_scan_determinismE0ELb1ELb1ES3_N6thrust23THRUST_200600_302600_NS6detail15normal_iteratorINS9_10device_ptrIiEEEENSB_INSC_IfEEEEfNS9_4plusIvEEfEEDaPvRmT3_T4_T5_mT6_P12ihipStream_tbENKUlT_T0_E_clISt17integral_constantIbLb0EESW_EEDaSR_SS_EUlSR_E0_NS1_11comp_targetILNS1_3genE0ELNS1_11target_archE4294967295ELNS1_3gpuE0ELNS1_3repE0EEENS1_30default_config_static_selectorELNS0_4arch9wavefront6targetE1EEEvT1_
; %bb.0:
	.section	.rodata,"a",@progbits
	.p2align	6, 0x0
	.amdhsa_kernel _ZN7rocprim17ROCPRIM_400000_NS6detail17trampoline_kernelINS0_14default_configENS1_20scan_config_selectorIfEEZZNS1_9scan_implILNS1_25lookback_scan_determinismE0ELb1ELb1ES3_N6thrust23THRUST_200600_302600_NS6detail15normal_iteratorINS9_10device_ptrIiEEEENSB_INSC_IfEEEEfNS9_4plusIvEEfEEDaPvRmT3_T4_T5_mT6_P12ihipStream_tbENKUlT_T0_E_clISt17integral_constantIbLb0EESW_EEDaSR_SS_EUlSR_E0_NS1_11comp_targetILNS1_3genE0ELNS1_11target_archE4294967295ELNS1_3gpuE0ELNS1_3repE0EEENS1_30default_config_static_selectorELNS0_4arch9wavefront6targetE1EEEvT1_
		.amdhsa_group_segment_fixed_size 0
		.amdhsa_private_segment_fixed_size 0
		.amdhsa_kernarg_size 32
		.amdhsa_user_sgpr_count 6
		.amdhsa_user_sgpr_private_segment_buffer 1
		.amdhsa_user_sgpr_dispatch_ptr 0
		.amdhsa_user_sgpr_queue_ptr 0
		.amdhsa_user_sgpr_kernarg_segment_ptr 1
		.amdhsa_user_sgpr_dispatch_id 0
		.amdhsa_user_sgpr_flat_scratch_init 0
		.amdhsa_user_sgpr_kernarg_preload_length 0
		.amdhsa_user_sgpr_kernarg_preload_offset 0
		.amdhsa_user_sgpr_private_segment_size 0
		.amdhsa_uses_dynamic_stack 0
		.amdhsa_system_sgpr_private_segment_wavefront_offset 0
		.amdhsa_system_sgpr_workgroup_id_x 1
		.amdhsa_system_sgpr_workgroup_id_y 0
		.amdhsa_system_sgpr_workgroup_id_z 0
		.amdhsa_system_sgpr_workgroup_info 0
		.amdhsa_system_vgpr_workitem_id 0
		.amdhsa_next_free_vgpr 1
		.amdhsa_next_free_sgpr 0
		.amdhsa_accum_offset 4
		.amdhsa_reserve_vcc 0
		.amdhsa_reserve_flat_scratch 0
		.amdhsa_float_round_mode_32 0
		.amdhsa_float_round_mode_16_64 0
		.amdhsa_float_denorm_mode_32 3
		.amdhsa_float_denorm_mode_16_64 3
		.amdhsa_dx10_clamp 1
		.amdhsa_ieee_mode 1
		.amdhsa_fp16_overflow 0
		.amdhsa_tg_split 0
		.amdhsa_exception_fp_ieee_invalid_op 0
		.amdhsa_exception_fp_denorm_src 0
		.amdhsa_exception_fp_ieee_div_zero 0
		.amdhsa_exception_fp_ieee_overflow 0
		.amdhsa_exception_fp_ieee_underflow 0
		.amdhsa_exception_fp_ieee_inexact 0
		.amdhsa_exception_int_div_zero 0
	.end_amdhsa_kernel
	.section	.text._ZN7rocprim17ROCPRIM_400000_NS6detail17trampoline_kernelINS0_14default_configENS1_20scan_config_selectorIfEEZZNS1_9scan_implILNS1_25lookback_scan_determinismE0ELb1ELb1ES3_N6thrust23THRUST_200600_302600_NS6detail15normal_iteratorINS9_10device_ptrIiEEEENSB_INSC_IfEEEEfNS9_4plusIvEEfEEDaPvRmT3_T4_T5_mT6_P12ihipStream_tbENKUlT_T0_E_clISt17integral_constantIbLb0EESW_EEDaSR_SS_EUlSR_E0_NS1_11comp_targetILNS1_3genE0ELNS1_11target_archE4294967295ELNS1_3gpuE0ELNS1_3repE0EEENS1_30default_config_static_selectorELNS0_4arch9wavefront6targetE1EEEvT1_,"axG",@progbits,_ZN7rocprim17ROCPRIM_400000_NS6detail17trampoline_kernelINS0_14default_configENS1_20scan_config_selectorIfEEZZNS1_9scan_implILNS1_25lookback_scan_determinismE0ELb1ELb1ES3_N6thrust23THRUST_200600_302600_NS6detail15normal_iteratorINS9_10device_ptrIiEEEENSB_INSC_IfEEEEfNS9_4plusIvEEfEEDaPvRmT3_T4_T5_mT6_P12ihipStream_tbENKUlT_T0_E_clISt17integral_constantIbLb0EESW_EEDaSR_SS_EUlSR_E0_NS1_11comp_targetILNS1_3genE0ELNS1_11target_archE4294967295ELNS1_3gpuE0ELNS1_3repE0EEENS1_30default_config_static_selectorELNS0_4arch9wavefront6targetE1EEEvT1_,comdat
.Lfunc_end1723:
	.size	_ZN7rocprim17ROCPRIM_400000_NS6detail17trampoline_kernelINS0_14default_configENS1_20scan_config_selectorIfEEZZNS1_9scan_implILNS1_25lookback_scan_determinismE0ELb1ELb1ES3_N6thrust23THRUST_200600_302600_NS6detail15normal_iteratorINS9_10device_ptrIiEEEENSB_INSC_IfEEEEfNS9_4plusIvEEfEEDaPvRmT3_T4_T5_mT6_P12ihipStream_tbENKUlT_T0_E_clISt17integral_constantIbLb0EESW_EEDaSR_SS_EUlSR_E0_NS1_11comp_targetILNS1_3genE0ELNS1_11target_archE4294967295ELNS1_3gpuE0ELNS1_3repE0EEENS1_30default_config_static_selectorELNS0_4arch9wavefront6targetE1EEEvT1_, .Lfunc_end1723-_ZN7rocprim17ROCPRIM_400000_NS6detail17trampoline_kernelINS0_14default_configENS1_20scan_config_selectorIfEEZZNS1_9scan_implILNS1_25lookback_scan_determinismE0ELb1ELb1ES3_N6thrust23THRUST_200600_302600_NS6detail15normal_iteratorINS9_10device_ptrIiEEEENSB_INSC_IfEEEEfNS9_4plusIvEEfEEDaPvRmT3_T4_T5_mT6_P12ihipStream_tbENKUlT_T0_E_clISt17integral_constantIbLb0EESW_EEDaSR_SS_EUlSR_E0_NS1_11comp_targetILNS1_3genE0ELNS1_11target_archE4294967295ELNS1_3gpuE0ELNS1_3repE0EEENS1_30default_config_static_selectorELNS0_4arch9wavefront6targetE1EEEvT1_
                                        ; -- End function
	.section	.AMDGPU.csdata,"",@progbits
; Kernel info:
; codeLenInByte = 0
; NumSgprs: 4
; NumVgprs: 0
; NumAgprs: 0
; TotalNumVgprs: 0
; ScratchSize: 0
; MemoryBound: 0
; FloatMode: 240
; IeeeMode: 1
; LDSByteSize: 0 bytes/workgroup (compile time only)
; SGPRBlocks: 0
; VGPRBlocks: 0
; NumSGPRsForWavesPerEU: 4
; NumVGPRsForWavesPerEU: 1
; AccumOffset: 4
; Occupancy: 8
; WaveLimiterHint : 0
; COMPUTE_PGM_RSRC2:SCRATCH_EN: 0
; COMPUTE_PGM_RSRC2:USER_SGPR: 6
; COMPUTE_PGM_RSRC2:TRAP_HANDLER: 0
; COMPUTE_PGM_RSRC2:TGID_X_EN: 1
; COMPUTE_PGM_RSRC2:TGID_Y_EN: 0
; COMPUTE_PGM_RSRC2:TGID_Z_EN: 0
; COMPUTE_PGM_RSRC2:TIDIG_COMP_CNT: 0
; COMPUTE_PGM_RSRC3_GFX90A:ACCUM_OFFSET: 0
; COMPUTE_PGM_RSRC3_GFX90A:TG_SPLIT: 0
	.section	.text._ZN7rocprim17ROCPRIM_400000_NS6detail17trampoline_kernelINS0_14default_configENS1_20scan_config_selectorIfEEZZNS1_9scan_implILNS1_25lookback_scan_determinismE0ELb1ELb1ES3_N6thrust23THRUST_200600_302600_NS6detail15normal_iteratorINS9_10device_ptrIiEEEENSB_INSC_IfEEEEfNS9_4plusIvEEfEEDaPvRmT3_T4_T5_mT6_P12ihipStream_tbENKUlT_T0_E_clISt17integral_constantIbLb0EESW_EEDaSR_SS_EUlSR_E0_NS1_11comp_targetILNS1_3genE5ELNS1_11target_archE942ELNS1_3gpuE9ELNS1_3repE0EEENS1_30default_config_static_selectorELNS0_4arch9wavefront6targetE1EEEvT1_,"axG",@progbits,_ZN7rocprim17ROCPRIM_400000_NS6detail17trampoline_kernelINS0_14default_configENS1_20scan_config_selectorIfEEZZNS1_9scan_implILNS1_25lookback_scan_determinismE0ELb1ELb1ES3_N6thrust23THRUST_200600_302600_NS6detail15normal_iteratorINS9_10device_ptrIiEEEENSB_INSC_IfEEEEfNS9_4plusIvEEfEEDaPvRmT3_T4_T5_mT6_P12ihipStream_tbENKUlT_T0_E_clISt17integral_constantIbLb0EESW_EEDaSR_SS_EUlSR_E0_NS1_11comp_targetILNS1_3genE5ELNS1_11target_archE942ELNS1_3gpuE9ELNS1_3repE0EEENS1_30default_config_static_selectorELNS0_4arch9wavefront6targetE1EEEvT1_,comdat
	.protected	_ZN7rocprim17ROCPRIM_400000_NS6detail17trampoline_kernelINS0_14default_configENS1_20scan_config_selectorIfEEZZNS1_9scan_implILNS1_25lookback_scan_determinismE0ELb1ELb1ES3_N6thrust23THRUST_200600_302600_NS6detail15normal_iteratorINS9_10device_ptrIiEEEENSB_INSC_IfEEEEfNS9_4plusIvEEfEEDaPvRmT3_T4_T5_mT6_P12ihipStream_tbENKUlT_T0_E_clISt17integral_constantIbLb0EESW_EEDaSR_SS_EUlSR_E0_NS1_11comp_targetILNS1_3genE5ELNS1_11target_archE942ELNS1_3gpuE9ELNS1_3repE0EEENS1_30default_config_static_selectorELNS0_4arch9wavefront6targetE1EEEvT1_ ; -- Begin function _ZN7rocprim17ROCPRIM_400000_NS6detail17trampoline_kernelINS0_14default_configENS1_20scan_config_selectorIfEEZZNS1_9scan_implILNS1_25lookback_scan_determinismE0ELb1ELb1ES3_N6thrust23THRUST_200600_302600_NS6detail15normal_iteratorINS9_10device_ptrIiEEEENSB_INSC_IfEEEEfNS9_4plusIvEEfEEDaPvRmT3_T4_T5_mT6_P12ihipStream_tbENKUlT_T0_E_clISt17integral_constantIbLb0EESW_EEDaSR_SS_EUlSR_E0_NS1_11comp_targetILNS1_3genE5ELNS1_11target_archE942ELNS1_3gpuE9ELNS1_3repE0EEENS1_30default_config_static_selectorELNS0_4arch9wavefront6targetE1EEEvT1_
	.globl	_ZN7rocprim17ROCPRIM_400000_NS6detail17trampoline_kernelINS0_14default_configENS1_20scan_config_selectorIfEEZZNS1_9scan_implILNS1_25lookback_scan_determinismE0ELb1ELb1ES3_N6thrust23THRUST_200600_302600_NS6detail15normal_iteratorINS9_10device_ptrIiEEEENSB_INSC_IfEEEEfNS9_4plusIvEEfEEDaPvRmT3_T4_T5_mT6_P12ihipStream_tbENKUlT_T0_E_clISt17integral_constantIbLb0EESW_EEDaSR_SS_EUlSR_E0_NS1_11comp_targetILNS1_3genE5ELNS1_11target_archE942ELNS1_3gpuE9ELNS1_3repE0EEENS1_30default_config_static_selectorELNS0_4arch9wavefront6targetE1EEEvT1_
	.p2align	8
	.type	_ZN7rocprim17ROCPRIM_400000_NS6detail17trampoline_kernelINS0_14default_configENS1_20scan_config_selectorIfEEZZNS1_9scan_implILNS1_25lookback_scan_determinismE0ELb1ELb1ES3_N6thrust23THRUST_200600_302600_NS6detail15normal_iteratorINS9_10device_ptrIiEEEENSB_INSC_IfEEEEfNS9_4plusIvEEfEEDaPvRmT3_T4_T5_mT6_P12ihipStream_tbENKUlT_T0_E_clISt17integral_constantIbLb0EESW_EEDaSR_SS_EUlSR_E0_NS1_11comp_targetILNS1_3genE5ELNS1_11target_archE942ELNS1_3gpuE9ELNS1_3repE0EEENS1_30default_config_static_selectorELNS0_4arch9wavefront6targetE1EEEvT1_,@function
_ZN7rocprim17ROCPRIM_400000_NS6detail17trampoline_kernelINS0_14default_configENS1_20scan_config_selectorIfEEZZNS1_9scan_implILNS1_25lookback_scan_determinismE0ELb1ELb1ES3_N6thrust23THRUST_200600_302600_NS6detail15normal_iteratorINS9_10device_ptrIiEEEENSB_INSC_IfEEEEfNS9_4plusIvEEfEEDaPvRmT3_T4_T5_mT6_P12ihipStream_tbENKUlT_T0_E_clISt17integral_constantIbLb0EESW_EEDaSR_SS_EUlSR_E0_NS1_11comp_targetILNS1_3genE5ELNS1_11target_archE942ELNS1_3gpuE9ELNS1_3repE0EEENS1_30default_config_static_selectorELNS0_4arch9wavefront6targetE1EEEvT1_: ; @_ZN7rocprim17ROCPRIM_400000_NS6detail17trampoline_kernelINS0_14default_configENS1_20scan_config_selectorIfEEZZNS1_9scan_implILNS1_25lookback_scan_determinismE0ELb1ELb1ES3_N6thrust23THRUST_200600_302600_NS6detail15normal_iteratorINS9_10device_ptrIiEEEENSB_INSC_IfEEEEfNS9_4plusIvEEfEEDaPvRmT3_T4_T5_mT6_P12ihipStream_tbENKUlT_T0_E_clISt17integral_constantIbLb0EESW_EEDaSR_SS_EUlSR_E0_NS1_11comp_targetILNS1_3genE5ELNS1_11target_archE942ELNS1_3gpuE9ELNS1_3repE0EEENS1_30default_config_static_selectorELNS0_4arch9wavefront6targetE1EEEvT1_
; %bb.0:
	.section	.rodata,"a",@progbits
	.p2align	6, 0x0
	.amdhsa_kernel _ZN7rocprim17ROCPRIM_400000_NS6detail17trampoline_kernelINS0_14default_configENS1_20scan_config_selectorIfEEZZNS1_9scan_implILNS1_25lookback_scan_determinismE0ELb1ELb1ES3_N6thrust23THRUST_200600_302600_NS6detail15normal_iteratorINS9_10device_ptrIiEEEENSB_INSC_IfEEEEfNS9_4plusIvEEfEEDaPvRmT3_T4_T5_mT6_P12ihipStream_tbENKUlT_T0_E_clISt17integral_constantIbLb0EESW_EEDaSR_SS_EUlSR_E0_NS1_11comp_targetILNS1_3genE5ELNS1_11target_archE942ELNS1_3gpuE9ELNS1_3repE0EEENS1_30default_config_static_selectorELNS0_4arch9wavefront6targetE1EEEvT1_
		.amdhsa_group_segment_fixed_size 0
		.amdhsa_private_segment_fixed_size 0
		.amdhsa_kernarg_size 32
		.amdhsa_user_sgpr_count 6
		.amdhsa_user_sgpr_private_segment_buffer 1
		.amdhsa_user_sgpr_dispatch_ptr 0
		.amdhsa_user_sgpr_queue_ptr 0
		.amdhsa_user_sgpr_kernarg_segment_ptr 1
		.amdhsa_user_sgpr_dispatch_id 0
		.amdhsa_user_sgpr_flat_scratch_init 0
		.amdhsa_user_sgpr_kernarg_preload_length 0
		.amdhsa_user_sgpr_kernarg_preload_offset 0
		.amdhsa_user_sgpr_private_segment_size 0
		.amdhsa_uses_dynamic_stack 0
		.amdhsa_system_sgpr_private_segment_wavefront_offset 0
		.amdhsa_system_sgpr_workgroup_id_x 1
		.amdhsa_system_sgpr_workgroup_id_y 0
		.amdhsa_system_sgpr_workgroup_id_z 0
		.amdhsa_system_sgpr_workgroup_info 0
		.amdhsa_system_vgpr_workitem_id 0
		.amdhsa_next_free_vgpr 1
		.amdhsa_next_free_sgpr 0
		.amdhsa_accum_offset 4
		.amdhsa_reserve_vcc 0
		.amdhsa_reserve_flat_scratch 0
		.amdhsa_float_round_mode_32 0
		.amdhsa_float_round_mode_16_64 0
		.amdhsa_float_denorm_mode_32 3
		.amdhsa_float_denorm_mode_16_64 3
		.amdhsa_dx10_clamp 1
		.amdhsa_ieee_mode 1
		.amdhsa_fp16_overflow 0
		.amdhsa_tg_split 0
		.amdhsa_exception_fp_ieee_invalid_op 0
		.amdhsa_exception_fp_denorm_src 0
		.amdhsa_exception_fp_ieee_div_zero 0
		.amdhsa_exception_fp_ieee_overflow 0
		.amdhsa_exception_fp_ieee_underflow 0
		.amdhsa_exception_fp_ieee_inexact 0
		.amdhsa_exception_int_div_zero 0
	.end_amdhsa_kernel
	.section	.text._ZN7rocprim17ROCPRIM_400000_NS6detail17trampoline_kernelINS0_14default_configENS1_20scan_config_selectorIfEEZZNS1_9scan_implILNS1_25lookback_scan_determinismE0ELb1ELb1ES3_N6thrust23THRUST_200600_302600_NS6detail15normal_iteratorINS9_10device_ptrIiEEEENSB_INSC_IfEEEEfNS9_4plusIvEEfEEDaPvRmT3_T4_T5_mT6_P12ihipStream_tbENKUlT_T0_E_clISt17integral_constantIbLb0EESW_EEDaSR_SS_EUlSR_E0_NS1_11comp_targetILNS1_3genE5ELNS1_11target_archE942ELNS1_3gpuE9ELNS1_3repE0EEENS1_30default_config_static_selectorELNS0_4arch9wavefront6targetE1EEEvT1_,"axG",@progbits,_ZN7rocprim17ROCPRIM_400000_NS6detail17trampoline_kernelINS0_14default_configENS1_20scan_config_selectorIfEEZZNS1_9scan_implILNS1_25lookback_scan_determinismE0ELb1ELb1ES3_N6thrust23THRUST_200600_302600_NS6detail15normal_iteratorINS9_10device_ptrIiEEEENSB_INSC_IfEEEEfNS9_4plusIvEEfEEDaPvRmT3_T4_T5_mT6_P12ihipStream_tbENKUlT_T0_E_clISt17integral_constantIbLb0EESW_EEDaSR_SS_EUlSR_E0_NS1_11comp_targetILNS1_3genE5ELNS1_11target_archE942ELNS1_3gpuE9ELNS1_3repE0EEENS1_30default_config_static_selectorELNS0_4arch9wavefront6targetE1EEEvT1_,comdat
.Lfunc_end1724:
	.size	_ZN7rocprim17ROCPRIM_400000_NS6detail17trampoline_kernelINS0_14default_configENS1_20scan_config_selectorIfEEZZNS1_9scan_implILNS1_25lookback_scan_determinismE0ELb1ELb1ES3_N6thrust23THRUST_200600_302600_NS6detail15normal_iteratorINS9_10device_ptrIiEEEENSB_INSC_IfEEEEfNS9_4plusIvEEfEEDaPvRmT3_T4_T5_mT6_P12ihipStream_tbENKUlT_T0_E_clISt17integral_constantIbLb0EESW_EEDaSR_SS_EUlSR_E0_NS1_11comp_targetILNS1_3genE5ELNS1_11target_archE942ELNS1_3gpuE9ELNS1_3repE0EEENS1_30default_config_static_selectorELNS0_4arch9wavefront6targetE1EEEvT1_, .Lfunc_end1724-_ZN7rocprim17ROCPRIM_400000_NS6detail17trampoline_kernelINS0_14default_configENS1_20scan_config_selectorIfEEZZNS1_9scan_implILNS1_25lookback_scan_determinismE0ELb1ELb1ES3_N6thrust23THRUST_200600_302600_NS6detail15normal_iteratorINS9_10device_ptrIiEEEENSB_INSC_IfEEEEfNS9_4plusIvEEfEEDaPvRmT3_T4_T5_mT6_P12ihipStream_tbENKUlT_T0_E_clISt17integral_constantIbLb0EESW_EEDaSR_SS_EUlSR_E0_NS1_11comp_targetILNS1_3genE5ELNS1_11target_archE942ELNS1_3gpuE9ELNS1_3repE0EEENS1_30default_config_static_selectorELNS0_4arch9wavefront6targetE1EEEvT1_
                                        ; -- End function
	.section	.AMDGPU.csdata,"",@progbits
; Kernel info:
; codeLenInByte = 0
; NumSgprs: 4
; NumVgprs: 0
; NumAgprs: 0
; TotalNumVgprs: 0
; ScratchSize: 0
; MemoryBound: 0
; FloatMode: 240
; IeeeMode: 1
; LDSByteSize: 0 bytes/workgroup (compile time only)
; SGPRBlocks: 0
; VGPRBlocks: 0
; NumSGPRsForWavesPerEU: 4
; NumVGPRsForWavesPerEU: 1
; AccumOffset: 4
; Occupancy: 8
; WaveLimiterHint : 0
; COMPUTE_PGM_RSRC2:SCRATCH_EN: 0
; COMPUTE_PGM_RSRC2:USER_SGPR: 6
; COMPUTE_PGM_RSRC2:TRAP_HANDLER: 0
; COMPUTE_PGM_RSRC2:TGID_X_EN: 1
; COMPUTE_PGM_RSRC2:TGID_Y_EN: 0
; COMPUTE_PGM_RSRC2:TGID_Z_EN: 0
; COMPUTE_PGM_RSRC2:TIDIG_COMP_CNT: 0
; COMPUTE_PGM_RSRC3_GFX90A:ACCUM_OFFSET: 0
; COMPUTE_PGM_RSRC3_GFX90A:TG_SPLIT: 0
	.section	.text._ZN7rocprim17ROCPRIM_400000_NS6detail17trampoline_kernelINS0_14default_configENS1_20scan_config_selectorIfEEZZNS1_9scan_implILNS1_25lookback_scan_determinismE0ELb1ELb1ES3_N6thrust23THRUST_200600_302600_NS6detail15normal_iteratorINS9_10device_ptrIiEEEENSB_INSC_IfEEEEfNS9_4plusIvEEfEEDaPvRmT3_T4_T5_mT6_P12ihipStream_tbENKUlT_T0_E_clISt17integral_constantIbLb0EESW_EEDaSR_SS_EUlSR_E0_NS1_11comp_targetILNS1_3genE4ELNS1_11target_archE910ELNS1_3gpuE8ELNS1_3repE0EEENS1_30default_config_static_selectorELNS0_4arch9wavefront6targetE1EEEvT1_,"axG",@progbits,_ZN7rocprim17ROCPRIM_400000_NS6detail17trampoline_kernelINS0_14default_configENS1_20scan_config_selectorIfEEZZNS1_9scan_implILNS1_25lookback_scan_determinismE0ELb1ELb1ES3_N6thrust23THRUST_200600_302600_NS6detail15normal_iteratorINS9_10device_ptrIiEEEENSB_INSC_IfEEEEfNS9_4plusIvEEfEEDaPvRmT3_T4_T5_mT6_P12ihipStream_tbENKUlT_T0_E_clISt17integral_constantIbLb0EESW_EEDaSR_SS_EUlSR_E0_NS1_11comp_targetILNS1_3genE4ELNS1_11target_archE910ELNS1_3gpuE8ELNS1_3repE0EEENS1_30default_config_static_selectorELNS0_4arch9wavefront6targetE1EEEvT1_,comdat
	.protected	_ZN7rocprim17ROCPRIM_400000_NS6detail17trampoline_kernelINS0_14default_configENS1_20scan_config_selectorIfEEZZNS1_9scan_implILNS1_25lookback_scan_determinismE0ELb1ELb1ES3_N6thrust23THRUST_200600_302600_NS6detail15normal_iteratorINS9_10device_ptrIiEEEENSB_INSC_IfEEEEfNS9_4plusIvEEfEEDaPvRmT3_T4_T5_mT6_P12ihipStream_tbENKUlT_T0_E_clISt17integral_constantIbLb0EESW_EEDaSR_SS_EUlSR_E0_NS1_11comp_targetILNS1_3genE4ELNS1_11target_archE910ELNS1_3gpuE8ELNS1_3repE0EEENS1_30default_config_static_selectorELNS0_4arch9wavefront6targetE1EEEvT1_ ; -- Begin function _ZN7rocprim17ROCPRIM_400000_NS6detail17trampoline_kernelINS0_14default_configENS1_20scan_config_selectorIfEEZZNS1_9scan_implILNS1_25lookback_scan_determinismE0ELb1ELb1ES3_N6thrust23THRUST_200600_302600_NS6detail15normal_iteratorINS9_10device_ptrIiEEEENSB_INSC_IfEEEEfNS9_4plusIvEEfEEDaPvRmT3_T4_T5_mT6_P12ihipStream_tbENKUlT_T0_E_clISt17integral_constantIbLb0EESW_EEDaSR_SS_EUlSR_E0_NS1_11comp_targetILNS1_3genE4ELNS1_11target_archE910ELNS1_3gpuE8ELNS1_3repE0EEENS1_30default_config_static_selectorELNS0_4arch9wavefront6targetE1EEEvT1_
	.globl	_ZN7rocprim17ROCPRIM_400000_NS6detail17trampoline_kernelINS0_14default_configENS1_20scan_config_selectorIfEEZZNS1_9scan_implILNS1_25lookback_scan_determinismE0ELb1ELb1ES3_N6thrust23THRUST_200600_302600_NS6detail15normal_iteratorINS9_10device_ptrIiEEEENSB_INSC_IfEEEEfNS9_4plusIvEEfEEDaPvRmT3_T4_T5_mT6_P12ihipStream_tbENKUlT_T0_E_clISt17integral_constantIbLb0EESW_EEDaSR_SS_EUlSR_E0_NS1_11comp_targetILNS1_3genE4ELNS1_11target_archE910ELNS1_3gpuE8ELNS1_3repE0EEENS1_30default_config_static_selectorELNS0_4arch9wavefront6targetE1EEEvT1_
	.p2align	8
	.type	_ZN7rocprim17ROCPRIM_400000_NS6detail17trampoline_kernelINS0_14default_configENS1_20scan_config_selectorIfEEZZNS1_9scan_implILNS1_25lookback_scan_determinismE0ELb1ELb1ES3_N6thrust23THRUST_200600_302600_NS6detail15normal_iteratorINS9_10device_ptrIiEEEENSB_INSC_IfEEEEfNS9_4plusIvEEfEEDaPvRmT3_T4_T5_mT6_P12ihipStream_tbENKUlT_T0_E_clISt17integral_constantIbLb0EESW_EEDaSR_SS_EUlSR_E0_NS1_11comp_targetILNS1_3genE4ELNS1_11target_archE910ELNS1_3gpuE8ELNS1_3repE0EEENS1_30default_config_static_selectorELNS0_4arch9wavefront6targetE1EEEvT1_,@function
_ZN7rocprim17ROCPRIM_400000_NS6detail17trampoline_kernelINS0_14default_configENS1_20scan_config_selectorIfEEZZNS1_9scan_implILNS1_25lookback_scan_determinismE0ELb1ELb1ES3_N6thrust23THRUST_200600_302600_NS6detail15normal_iteratorINS9_10device_ptrIiEEEENSB_INSC_IfEEEEfNS9_4plusIvEEfEEDaPvRmT3_T4_T5_mT6_P12ihipStream_tbENKUlT_T0_E_clISt17integral_constantIbLb0EESW_EEDaSR_SS_EUlSR_E0_NS1_11comp_targetILNS1_3genE4ELNS1_11target_archE910ELNS1_3gpuE8ELNS1_3repE0EEENS1_30default_config_static_selectorELNS0_4arch9wavefront6targetE1EEEvT1_: ; @_ZN7rocprim17ROCPRIM_400000_NS6detail17trampoline_kernelINS0_14default_configENS1_20scan_config_selectorIfEEZZNS1_9scan_implILNS1_25lookback_scan_determinismE0ELb1ELb1ES3_N6thrust23THRUST_200600_302600_NS6detail15normal_iteratorINS9_10device_ptrIiEEEENSB_INSC_IfEEEEfNS9_4plusIvEEfEEDaPvRmT3_T4_T5_mT6_P12ihipStream_tbENKUlT_T0_E_clISt17integral_constantIbLb0EESW_EEDaSR_SS_EUlSR_E0_NS1_11comp_targetILNS1_3genE4ELNS1_11target_archE910ELNS1_3gpuE8ELNS1_3repE0EEENS1_30default_config_static_selectorELNS0_4arch9wavefront6targetE1EEEvT1_
; %bb.0:
	s_load_dwordx4 s[28:31], s[4:5], 0x0
	v_lshlrev_b32_e32 v18, 2, v0
	s_waitcnt lgkmcnt(0)
	s_load_dword s0, s[28:29], 0x0
	v_cmp_gt_u32_e32 vcc, s30, v0
	s_waitcnt lgkmcnt(0)
	v_cvt_f32_i32_e32 v1, s0
	v_mov_b32_e32 v2, v1
	s_and_saveexec_b64 s[0:1], vcc
	s_cbranch_execz .LBB1725_2
; %bb.1:
	global_load_dword v2, v18, s[28:29]
	s_waitcnt vmcnt(0)
	v_cvt_f32_i32_e32 v2, v2
.LBB1725_2:
	s_or_b64 exec, exec, s[0:1]
	v_or_b32_e32 v3, 0x80, v0
	v_cmp_gt_u32_e64 s[0:1], s30, v3
	v_mov_b32_e32 v3, v1
	s_and_saveexec_b64 s[2:3], s[0:1]
	s_cbranch_execz .LBB1725_4
; %bb.3:
	global_load_dword v3, v18, s[28:29] offset:512
	s_waitcnt vmcnt(0)
	v_cvt_f32_i32_e32 v3, v3
.LBB1725_4:
	s_or_b64 exec, exec, s[2:3]
	v_or_b32_e32 v4, 0x100, v0
	v_cmp_gt_u32_e64 s[2:3], s30, v4
	v_mov_b32_e32 v4, v1
	s_and_saveexec_b64 s[6:7], s[2:3]
	s_cbranch_execz .LBB1725_6
; %bb.5:
	global_load_dword v4, v18, s[28:29] offset:1024
	s_waitcnt vmcnt(0)
	v_cvt_f32_i32_e32 v4, v4
.LBB1725_6:
	;; [unrolled: 11-line block ×7, first 2 shown]
	s_or_b64 exec, exec, s[14:15]
	v_or_b32_e32 v11, 0x400, v0
	v_cmp_gt_u32_e64 s[14:15], s30, v11
	v_mov_b32_e32 v10, v1
	s_and_saveexec_b64 s[16:17], s[14:15]
	s_cbranch_execz .LBB1725_18
; %bb.17:
	v_lshlrev_b32_e32 v10, 2, v11
	global_load_dword v10, v10, s[28:29]
	s_waitcnt vmcnt(0)
	v_cvt_f32_i32_e32 v10, v10
.LBB1725_18:
	s_or_b64 exec, exec, s[16:17]
	v_or_b32_e32 v12, 0x480, v0
	v_cmp_gt_u32_e64 s[16:17], s30, v12
	v_mov_b32_e32 v11, v1
	s_and_saveexec_b64 s[18:19], s[16:17]
	s_cbranch_execz .LBB1725_20
; %bb.19:
	v_lshlrev_b32_e32 v11, 2, v12
	global_load_dword v11, v11, s[28:29]
	s_waitcnt vmcnt(0)
	v_cvt_f32_i32_e32 v11, v11
.LBB1725_20:
	;; [unrolled: 12-line block ×5, first 2 shown]
	s_or_b64 exec, exec, s[24:25]
	s_load_dword s33, s[4:5], 0x10
	v_or_b32_e32 v15, 0x680, v0
	v_cmp_gt_u32_e64 s[24:25], s30, v15
	s_and_saveexec_b64 s[30:31], s[24:25]
	s_cbranch_execz .LBB1725_28
; %bb.27:
	v_lshlrev_b32_e32 v1, 2, v15
	global_load_dword v1, v1, s[28:29]
	s_waitcnt vmcnt(0)
	v_cvt_f32_i32_e32 v1, v1
.LBB1725_28:
	s_or_b64 exec, exec, s[30:31]
	ds_write2st64_b32 v18, v2, v3 offset1:2
	ds_write2st64_b32 v18, v4, v5 offset0:4 offset1:6
	ds_write2st64_b32 v18, v6, v7 offset0:8 offset1:10
	;; [unrolled: 1-line block ×6, first 2 shown]
	v_mad_u32_u24 v1, v0, 52, v18
	s_waitcnt lgkmcnt(0)
	s_barrier
	ds_read2_b64 v[10:13], v1 offset1:1
	ds_read2_b64 v[6:9], v1 offset0:2 offset1:3
	ds_read2_b64 v[2:5], v1 offset0:4 offset1:5
	ds_read_b64 v[14:15], v1 offset:48
	s_load_dwordx2 s[34:35], s[4:5], 0x18
	s_waitcnt lgkmcnt(0)
	v_add_f32_e32 v16, v10, v11
	v_add_f32_e32 v16, v16, v12
	;; [unrolled: 1-line block ×13, first 2 shown]
	v_lshrrev_b32_e32 v16, 3, v0
	v_and_b32_e32 v16, 12, v16
	v_add_u32_e32 v16, v18, v16
	v_cmp_gt_u32_e64 s[4:5], 64, v0
	s_barrier
	ds_write_b32 v16, v15
	s_waitcnt lgkmcnt(0)
	s_barrier
	s_and_saveexec_b64 s[36:37], s[4:5]
	s_cbranch_execz .LBB1725_30
; %bb.29:
	v_lshlrev_b32_e32 v16, 1, v0
	v_lshrrev_b32_e32 v17, 4, v0
	v_add_lshl_u32 v19, v17, v16, 2
	ds_read2_b32 v[16:17], v19 offset1:1
	v_mbcnt_lo_u32_b32 v20, -1, 0
	v_mbcnt_hi_u32_b32 v20, -1, v20
	v_and_b32_e32 v21, 15, v20
	v_cmp_eq_u32_e64 s[4:5], 0, v21
	s_waitcnt lgkmcnt(0)
	v_add_f32_e32 v17, v16, v17
	v_cmp_lt_u32_e64 s[28:29], 3, v21
	v_cmp_lt_u32_e64 s[30:31], 31, v20
	v_mov_b32_dpp v22, v17 row_shr:1 row_mask:0xf bank_mask:0xf
	v_add_f32_e32 v22, v17, v22
	v_cndmask_b32_e64 v17, v22, v17, s[4:5]
	v_cmp_lt_u32_e64 s[4:5], 1, v21
	s_nop 0
	v_mov_b32_dpp v22, v17 row_shr:2 row_mask:0xf bank_mask:0xf
	v_add_f32_e32 v22, v17, v22
	v_cndmask_b32_e64 v22, v17, v22, s[4:5]
	; wave barrier
	s_nop 1
	v_mov_b32_dpp v23, v22 row_shr:4 row_mask:0xf bank_mask:0xf
	v_add_f32_e32 v23, v22, v23
	v_cndmask_b32_e64 v22, v22, v23, s[28:29]
	v_cmp_lt_u32_e64 s[28:29], 7, v21
	s_nop 0
	v_mov_b32_dpp v23, v22 row_shr:8 row_mask:0xf bank_mask:0xf
	v_add_f32_e32 v23, v22, v23
	v_cndmask_b32_e64 v21, v22, v23, s[28:29]
	v_and_b32_e32 v23, 16, v20
	v_cmp_eq_u32_e64 s[28:29], 0, v23
	v_mov_b32_dpp v22, v21 row_bcast:15 row_mask:0xf bank_mask:0xf
	v_add_f32_e32 v22, v21, v22
	v_cndmask_b32_e64 v21, v22, v21, s[28:29]
	v_cmp_lt_u32_e64 s[28:29], 15, v20
	s_or_b64 s[4:5], s[28:29], s[4:5]
	v_mov_b32_dpp v22, v21 row_bcast:31 row_mask:0xf bank_mask:0xf
	v_add_f32_e32 v22, v21, v22
	v_cndmask_b32_e64 v21, v21, v22, s[30:31]
	v_cndmask_b32_e64 v17, v17, v21, s[4:5]
	v_add_u32_e32 v21, -1, v20
	v_and_b32_e32 v22, 64, v20
	v_cmp_lt_i32_e64 s[4:5], v21, v22
	v_cndmask_b32_e64 v20, v21, v20, s[4:5]
	v_lshlrev_b32_e32 v20, 2, v20
	ds_bpermute_b32 v17, v20, v17
	v_cmp_eq_u32_e64 s[4:5], 0, v0
	s_waitcnt lgkmcnt(0)
	v_add_f32_e32 v16, v16, v17
	v_cndmask_b32_e64 v15, v16, v15, s[4:5]
	ds_write_b32 v19, v15
	; wave barrier
	ds_read_b32 v16, v19 offset:4
	s_waitcnt lgkmcnt(0)
	v_add_f32_e32 v15, v15, v16
	ds_write_b32 v19, v15 offset:4
.LBB1725_30:
	s_or_b64 exec, exec, s[36:37]
	v_cmp_ne_u32_e64 s[4:5], 0, v0
	v_mov_b32_e32 v16, s33
	s_waitcnt lgkmcnt(0)
	s_barrier
	s_and_saveexec_b64 s[28:29], s[4:5]
	s_cbranch_execz .LBB1725_32
; %bb.31:
	v_add_u32_e32 v15, -1, v0
	v_lshrrev_b32_e32 v16, 5, v15
	v_add_lshl_u32 v15, v16, v15, 2
	ds_read_b32 v15, v15
	s_waitcnt lgkmcnt(0)
	v_add_f32_e32 v16, s33, v15
.LBB1725_32:
	s_or_b64 exec, exec, s[28:29]
	v_add_f32_e32 v17, v10, v16
	v_add_f32_e32 v10, v11, v17
	;; [unrolled: 1-line block ×12, first 2 shown]
	s_movk_i32 s4, 0xffcc
	v_add_f32_e32 v5, v14, v4
	v_mad_i32_i24 v0, v0, s4, v1
	s_barrier
	ds_write2_b64 v1, v[16:17], v[10:11] offset1:1
	ds_write2_b64 v1, v[12:13], v[6:7] offset0:2 offset1:3
	ds_write2_b64 v1, v[8:9], v[2:3] offset0:4 offset1:5
	ds_write_b64 v1, v[4:5] offset:48
	s_waitcnt lgkmcnt(0)
	s_barrier
	ds_read2st64_b32 v[12:13], v0 offset0:2 offset1:4
	ds_read2st64_b32 v[10:11], v0 offset0:6 offset1:8
	;; [unrolled: 1-line block ×4, first 2 shown]
	ds_read_b32 v14, v18 offset:4096
	ds_read2st64_b32 v[4:5], v0 offset0:20 offset1:22
	ds_read2st64_b32 v[0:1], v0 offset0:24 offset1:26
	v_mov_b32_e32 v3, s35
	v_add_co_u32_e64 v2, s[4:5], s34, v18
	v_addc_co_u32_e64 v3, s[4:5], 0, v3, s[4:5]
	s_and_saveexec_b64 s[4:5], vcc
	s_cbranch_execnz .LBB1725_47
; %bb.33:
	s_or_b64 exec, exec, s[4:5]
	s_and_saveexec_b64 s[4:5], s[0:1]
	s_cbranch_execnz .LBB1725_48
.LBB1725_34:
	s_or_b64 exec, exec, s[4:5]
	s_and_saveexec_b64 s[0:1], s[2:3]
	s_cbranch_execnz .LBB1725_49
.LBB1725_35:
	s_or_b64 exec, exec, s[0:1]
	s_and_saveexec_b64 s[0:1], s[26:27]
	s_cbranch_execnz .LBB1725_50
.LBB1725_36:
	s_or_b64 exec, exec, s[0:1]
	s_and_saveexec_b64 s[0:1], s[6:7]
	s_cbranch_execnz .LBB1725_51
.LBB1725_37:
	s_or_b64 exec, exec, s[0:1]
	s_and_saveexec_b64 s[0:1], s[8:9]
	s_cbranch_execnz .LBB1725_52
.LBB1725_38:
	s_or_b64 exec, exec, s[0:1]
	s_and_saveexec_b64 s[0:1], s[10:11]
	s_cbranch_execnz .LBB1725_53
.LBB1725_39:
	s_or_b64 exec, exec, s[0:1]
	s_and_saveexec_b64 s[0:1], s[12:13]
	s_cbranch_execnz .LBB1725_54
.LBB1725_40:
	s_or_b64 exec, exec, s[0:1]
	s_and_saveexec_b64 s[0:1], s[14:15]
	s_cbranch_execnz .LBB1725_55
.LBB1725_41:
	s_or_b64 exec, exec, s[0:1]
	s_and_saveexec_b64 s[0:1], s[16:17]
	s_cbranch_execnz .LBB1725_56
.LBB1725_42:
	s_or_b64 exec, exec, s[0:1]
	s_and_saveexec_b64 s[0:1], s[18:19]
	s_cbranch_execnz .LBB1725_57
.LBB1725_43:
	s_or_b64 exec, exec, s[0:1]
	s_and_saveexec_b64 s[0:1], s[20:21]
	s_cbranch_execnz .LBB1725_58
.LBB1725_44:
	s_or_b64 exec, exec, s[0:1]
	s_and_saveexec_b64 s[0:1], s[22:23]
	s_cbranch_execnz .LBB1725_59
.LBB1725_45:
	s_or_b64 exec, exec, s[0:1]
	s_and_saveexec_b64 s[0:1], s[24:25]
	s_cbranch_execnz .LBB1725_60
.LBB1725_46:
	s_endpgm
.LBB1725_47:
	ds_read_b32 v15, v18
	s_waitcnt lgkmcnt(0)
	global_store_dword v[2:3], v15, off
	s_or_b64 exec, exec, s[4:5]
	s_and_saveexec_b64 s[4:5], s[0:1]
	s_cbranch_execz .LBB1725_34
.LBB1725_48:
	s_waitcnt lgkmcnt(6)
	global_store_dword v[2:3], v12, off offset:512
	s_or_b64 exec, exec, s[4:5]
	s_and_saveexec_b64 s[0:1], s[2:3]
	s_cbranch_execz .LBB1725_35
.LBB1725_49:
	s_waitcnt lgkmcnt(6)
	global_store_dword v[2:3], v13, off offset:1024
	s_or_b64 exec, exec, s[0:1]
	s_and_saveexec_b64 s[0:1], s[26:27]
	s_cbranch_execz .LBB1725_36
.LBB1725_50:
	s_waitcnt lgkmcnt(5)
	global_store_dword v[2:3], v10, off offset:1536
	s_or_b64 exec, exec, s[0:1]
	s_and_saveexec_b64 s[0:1], s[6:7]
	s_cbranch_execz .LBB1725_37
.LBB1725_51:
	s_waitcnt lgkmcnt(5)
	global_store_dword v[2:3], v11, off offset:2048
	s_or_b64 exec, exec, s[0:1]
	s_and_saveexec_b64 s[0:1], s[8:9]
	s_cbranch_execz .LBB1725_38
.LBB1725_52:
	s_waitcnt lgkmcnt(4)
	global_store_dword v[2:3], v8, off offset:2560
	s_or_b64 exec, exec, s[0:1]
	s_and_saveexec_b64 s[0:1], s[10:11]
	s_cbranch_execz .LBB1725_39
.LBB1725_53:
	s_waitcnt lgkmcnt(4)
	global_store_dword v[2:3], v9, off offset:3072
	s_or_b64 exec, exec, s[0:1]
	s_and_saveexec_b64 s[0:1], s[12:13]
	s_cbranch_execz .LBB1725_40
.LBB1725_54:
	s_waitcnt lgkmcnt(3)
	global_store_dword v[2:3], v6, off offset:3584
	s_or_b64 exec, exec, s[0:1]
	s_and_saveexec_b64 s[0:1], s[14:15]
	s_cbranch_execz .LBB1725_41
.LBB1725_55:
	s_waitcnt lgkmcnt(4)
	v_add_co_u32_e32 v8, vcc, 0x1000, v2
	v_addc_co_u32_e32 v9, vcc, 0, v3, vcc
	s_waitcnt lgkmcnt(2)
	global_store_dword v[8:9], v14, off
	s_or_b64 exec, exec, s[0:1]
	s_and_saveexec_b64 s[0:1], s[16:17]
	s_cbranch_execz .LBB1725_42
.LBB1725_56:
	s_waitcnt lgkmcnt(4)
	v_add_co_u32_e32 v8, vcc, 0x1000, v2
	v_addc_co_u32_e32 v9, vcc, 0, v3, vcc
	s_waitcnt lgkmcnt(3)
	global_store_dword v[8:9], v7, off offset:512
	s_or_b64 exec, exec, s[0:1]
	s_and_saveexec_b64 s[0:1], s[18:19]
	s_cbranch_execz .LBB1725_43
.LBB1725_57:
	s_waitcnt lgkmcnt(3)
	v_add_co_u32_e32 v6, vcc, 0x1000, v2
	v_addc_co_u32_e32 v7, vcc, 0, v3, vcc
	s_waitcnt lgkmcnt(1)
	global_store_dword v[6:7], v4, off offset:1024
	s_or_b64 exec, exec, s[0:1]
	s_and_saveexec_b64 s[0:1], s[20:21]
	s_cbranch_execz .LBB1725_44
.LBB1725_58:
	s_waitcnt lgkmcnt(3)
	v_add_co_u32_e32 v6, vcc, 0x1000, v2
	v_addc_co_u32_e32 v7, vcc, 0, v3, vcc
	s_waitcnt lgkmcnt(1)
	global_store_dword v[6:7], v5, off offset:1536
	s_or_b64 exec, exec, s[0:1]
	s_and_saveexec_b64 s[0:1], s[22:23]
	s_cbranch_execz .LBB1725_45
.LBB1725_59:
	s_waitcnt lgkmcnt(1)
	v_add_co_u32_e32 v4, vcc, 0x1000, v2
	v_addc_co_u32_e32 v5, vcc, 0, v3, vcc
	s_waitcnt lgkmcnt(0)
	global_store_dword v[4:5], v0, off offset:2048
	s_or_b64 exec, exec, s[0:1]
	s_and_saveexec_b64 s[0:1], s[24:25]
	s_cbranch_execz .LBB1725_46
.LBB1725_60:
	v_add_co_u32_e32 v2, vcc, 0x1000, v2
	v_addc_co_u32_e32 v3, vcc, 0, v3, vcc
	s_waitcnt lgkmcnt(0)
	global_store_dword v[2:3], v1, off offset:2560
	s_endpgm
	.section	.rodata,"a",@progbits
	.p2align	6, 0x0
	.amdhsa_kernel _ZN7rocprim17ROCPRIM_400000_NS6detail17trampoline_kernelINS0_14default_configENS1_20scan_config_selectorIfEEZZNS1_9scan_implILNS1_25lookback_scan_determinismE0ELb1ELb1ES3_N6thrust23THRUST_200600_302600_NS6detail15normal_iteratorINS9_10device_ptrIiEEEENSB_INSC_IfEEEEfNS9_4plusIvEEfEEDaPvRmT3_T4_T5_mT6_P12ihipStream_tbENKUlT_T0_E_clISt17integral_constantIbLb0EESW_EEDaSR_SS_EUlSR_E0_NS1_11comp_targetILNS1_3genE4ELNS1_11target_archE910ELNS1_3gpuE8ELNS1_3repE0EEENS1_30default_config_static_selectorELNS0_4arch9wavefront6targetE1EEEvT1_
		.amdhsa_group_segment_fixed_size 7168
		.amdhsa_private_segment_fixed_size 0
		.amdhsa_kernarg_size 32
		.amdhsa_user_sgpr_count 6
		.amdhsa_user_sgpr_private_segment_buffer 1
		.amdhsa_user_sgpr_dispatch_ptr 0
		.amdhsa_user_sgpr_queue_ptr 0
		.amdhsa_user_sgpr_kernarg_segment_ptr 1
		.amdhsa_user_sgpr_dispatch_id 0
		.amdhsa_user_sgpr_flat_scratch_init 0
		.amdhsa_user_sgpr_kernarg_preload_length 0
		.amdhsa_user_sgpr_kernarg_preload_offset 0
		.amdhsa_user_sgpr_private_segment_size 0
		.amdhsa_uses_dynamic_stack 0
		.amdhsa_system_sgpr_private_segment_wavefront_offset 0
		.amdhsa_system_sgpr_workgroup_id_x 1
		.amdhsa_system_sgpr_workgroup_id_y 0
		.amdhsa_system_sgpr_workgroup_id_z 0
		.amdhsa_system_sgpr_workgroup_info 0
		.amdhsa_system_vgpr_workitem_id 0
		.amdhsa_next_free_vgpr 24
		.amdhsa_next_free_sgpr 38
		.amdhsa_accum_offset 24
		.amdhsa_reserve_vcc 1
		.amdhsa_reserve_flat_scratch 0
		.amdhsa_float_round_mode_32 0
		.amdhsa_float_round_mode_16_64 0
		.amdhsa_float_denorm_mode_32 3
		.amdhsa_float_denorm_mode_16_64 3
		.amdhsa_dx10_clamp 1
		.amdhsa_ieee_mode 1
		.amdhsa_fp16_overflow 0
		.amdhsa_tg_split 0
		.amdhsa_exception_fp_ieee_invalid_op 0
		.amdhsa_exception_fp_denorm_src 0
		.amdhsa_exception_fp_ieee_div_zero 0
		.amdhsa_exception_fp_ieee_overflow 0
		.amdhsa_exception_fp_ieee_underflow 0
		.amdhsa_exception_fp_ieee_inexact 0
		.amdhsa_exception_int_div_zero 0
	.end_amdhsa_kernel
	.section	.text._ZN7rocprim17ROCPRIM_400000_NS6detail17trampoline_kernelINS0_14default_configENS1_20scan_config_selectorIfEEZZNS1_9scan_implILNS1_25lookback_scan_determinismE0ELb1ELb1ES3_N6thrust23THRUST_200600_302600_NS6detail15normal_iteratorINS9_10device_ptrIiEEEENSB_INSC_IfEEEEfNS9_4plusIvEEfEEDaPvRmT3_T4_T5_mT6_P12ihipStream_tbENKUlT_T0_E_clISt17integral_constantIbLb0EESW_EEDaSR_SS_EUlSR_E0_NS1_11comp_targetILNS1_3genE4ELNS1_11target_archE910ELNS1_3gpuE8ELNS1_3repE0EEENS1_30default_config_static_selectorELNS0_4arch9wavefront6targetE1EEEvT1_,"axG",@progbits,_ZN7rocprim17ROCPRIM_400000_NS6detail17trampoline_kernelINS0_14default_configENS1_20scan_config_selectorIfEEZZNS1_9scan_implILNS1_25lookback_scan_determinismE0ELb1ELb1ES3_N6thrust23THRUST_200600_302600_NS6detail15normal_iteratorINS9_10device_ptrIiEEEENSB_INSC_IfEEEEfNS9_4plusIvEEfEEDaPvRmT3_T4_T5_mT6_P12ihipStream_tbENKUlT_T0_E_clISt17integral_constantIbLb0EESW_EEDaSR_SS_EUlSR_E0_NS1_11comp_targetILNS1_3genE4ELNS1_11target_archE910ELNS1_3gpuE8ELNS1_3repE0EEENS1_30default_config_static_selectorELNS0_4arch9wavefront6targetE1EEEvT1_,comdat
.Lfunc_end1725:
	.size	_ZN7rocprim17ROCPRIM_400000_NS6detail17trampoline_kernelINS0_14default_configENS1_20scan_config_selectorIfEEZZNS1_9scan_implILNS1_25lookback_scan_determinismE0ELb1ELb1ES3_N6thrust23THRUST_200600_302600_NS6detail15normal_iteratorINS9_10device_ptrIiEEEENSB_INSC_IfEEEEfNS9_4plusIvEEfEEDaPvRmT3_T4_T5_mT6_P12ihipStream_tbENKUlT_T0_E_clISt17integral_constantIbLb0EESW_EEDaSR_SS_EUlSR_E0_NS1_11comp_targetILNS1_3genE4ELNS1_11target_archE910ELNS1_3gpuE8ELNS1_3repE0EEENS1_30default_config_static_selectorELNS0_4arch9wavefront6targetE1EEEvT1_, .Lfunc_end1725-_ZN7rocprim17ROCPRIM_400000_NS6detail17trampoline_kernelINS0_14default_configENS1_20scan_config_selectorIfEEZZNS1_9scan_implILNS1_25lookback_scan_determinismE0ELb1ELb1ES3_N6thrust23THRUST_200600_302600_NS6detail15normal_iteratorINS9_10device_ptrIiEEEENSB_INSC_IfEEEEfNS9_4plusIvEEfEEDaPvRmT3_T4_T5_mT6_P12ihipStream_tbENKUlT_T0_E_clISt17integral_constantIbLb0EESW_EEDaSR_SS_EUlSR_E0_NS1_11comp_targetILNS1_3genE4ELNS1_11target_archE910ELNS1_3gpuE8ELNS1_3repE0EEENS1_30default_config_static_selectorELNS0_4arch9wavefront6targetE1EEEvT1_
                                        ; -- End function
	.section	.AMDGPU.csdata,"",@progbits
; Kernel info:
; codeLenInByte = 2132
; NumSgprs: 42
; NumVgprs: 24
; NumAgprs: 0
; TotalNumVgprs: 24
; ScratchSize: 0
; MemoryBound: 0
; FloatMode: 240
; IeeeMode: 1
; LDSByteSize: 7168 bytes/workgroup (compile time only)
; SGPRBlocks: 5
; VGPRBlocks: 2
; NumSGPRsForWavesPerEU: 42
; NumVGPRsForWavesPerEU: 24
; AccumOffset: 24
; Occupancy: 5
; WaveLimiterHint : 0
; COMPUTE_PGM_RSRC2:SCRATCH_EN: 0
; COMPUTE_PGM_RSRC2:USER_SGPR: 6
; COMPUTE_PGM_RSRC2:TRAP_HANDLER: 0
; COMPUTE_PGM_RSRC2:TGID_X_EN: 1
; COMPUTE_PGM_RSRC2:TGID_Y_EN: 0
; COMPUTE_PGM_RSRC2:TGID_Z_EN: 0
; COMPUTE_PGM_RSRC2:TIDIG_COMP_CNT: 0
; COMPUTE_PGM_RSRC3_GFX90A:ACCUM_OFFSET: 5
; COMPUTE_PGM_RSRC3_GFX90A:TG_SPLIT: 0
	.section	.text._ZN7rocprim17ROCPRIM_400000_NS6detail17trampoline_kernelINS0_14default_configENS1_20scan_config_selectorIfEEZZNS1_9scan_implILNS1_25lookback_scan_determinismE0ELb1ELb1ES3_N6thrust23THRUST_200600_302600_NS6detail15normal_iteratorINS9_10device_ptrIiEEEENSB_INSC_IfEEEEfNS9_4plusIvEEfEEDaPvRmT3_T4_T5_mT6_P12ihipStream_tbENKUlT_T0_E_clISt17integral_constantIbLb0EESW_EEDaSR_SS_EUlSR_E0_NS1_11comp_targetILNS1_3genE3ELNS1_11target_archE908ELNS1_3gpuE7ELNS1_3repE0EEENS1_30default_config_static_selectorELNS0_4arch9wavefront6targetE1EEEvT1_,"axG",@progbits,_ZN7rocprim17ROCPRIM_400000_NS6detail17trampoline_kernelINS0_14default_configENS1_20scan_config_selectorIfEEZZNS1_9scan_implILNS1_25lookback_scan_determinismE0ELb1ELb1ES3_N6thrust23THRUST_200600_302600_NS6detail15normal_iteratorINS9_10device_ptrIiEEEENSB_INSC_IfEEEEfNS9_4plusIvEEfEEDaPvRmT3_T4_T5_mT6_P12ihipStream_tbENKUlT_T0_E_clISt17integral_constantIbLb0EESW_EEDaSR_SS_EUlSR_E0_NS1_11comp_targetILNS1_3genE3ELNS1_11target_archE908ELNS1_3gpuE7ELNS1_3repE0EEENS1_30default_config_static_selectorELNS0_4arch9wavefront6targetE1EEEvT1_,comdat
	.protected	_ZN7rocprim17ROCPRIM_400000_NS6detail17trampoline_kernelINS0_14default_configENS1_20scan_config_selectorIfEEZZNS1_9scan_implILNS1_25lookback_scan_determinismE0ELb1ELb1ES3_N6thrust23THRUST_200600_302600_NS6detail15normal_iteratorINS9_10device_ptrIiEEEENSB_INSC_IfEEEEfNS9_4plusIvEEfEEDaPvRmT3_T4_T5_mT6_P12ihipStream_tbENKUlT_T0_E_clISt17integral_constantIbLb0EESW_EEDaSR_SS_EUlSR_E0_NS1_11comp_targetILNS1_3genE3ELNS1_11target_archE908ELNS1_3gpuE7ELNS1_3repE0EEENS1_30default_config_static_selectorELNS0_4arch9wavefront6targetE1EEEvT1_ ; -- Begin function _ZN7rocprim17ROCPRIM_400000_NS6detail17trampoline_kernelINS0_14default_configENS1_20scan_config_selectorIfEEZZNS1_9scan_implILNS1_25lookback_scan_determinismE0ELb1ELb1ES3_N6thrust23THRUST_200600_302600_NS6detail15normal_iteratorINS9_10device_ptrIiEEEENSB_INSC_IfEEEEfNS9_4plusIvEEfEEDaPvRmT3_T4_T5_mT6_P12ihipStream_tbENKUlT_T0_E_clISt17integral_constantIbLb0EESW_EEDaSR_SS_EUlSR_E0_NS1_11comp_targetILNS1_3genE3ELNS1_11target_archE908ELNS1_3gpuE7ELNS1_3repE0EEENS1_30default_config_static_selectorELNS0_4arch9wavefront6targetE1EEEvT1_
	.globl	_ZN7rocprim17ROCPRIM_400000_NS6detail17trampoline_kernelINS0_14default_configENS1_20scan_config_selectorIfEEZZNS1_9scan_implILNS1_25lookback_scan_determinismE0ELb1ELb1ES3_N6thrust23THRUST_200600_302600_NS6detail15normal_iteratorINS9_10device_ptrIiEEEENSB_INSC_IfEEEEfNS9_4plusIvEEfEEDaPvRmT3_T4_T5_mT6_P12ihipStream_tbENKUlT_T0_E_clISt17integral_constantIbLb0EESW_EEDaSR_SS_EUlSR_E0_NS1_11comp_targetILNS1_3genE3ELNS1_11target_archE908ELNS1_3gpuE7ELNS1_3repE0EEENS1_30default_config_static_selectorELNS0_4arch9wavefront6targetE1EEEvT1_
	.p2align	8
	.type	_ZN7rocprim17ROCPRIM_400000_NS6detail17trampoline_kernelINS0_14default_configENS1_20scan_config_selectorIfEEZZNS1_9scan_implILNS1_25lookback_scan_determinismE0ELb1ELb1ES3_N6thrust23THRUST_200600_302600_NS6detail15normal_iteratorINS9_10device_ptrIiEEEENSB_INSC_IfEEEEfNS9_4plusIvEEfEEDaPvRmT3_T4_T5_mT6_P12ihipStream_tbENKUlT_T0_E_clISt17integral_constantIbLb0EESW_EEDaSR_SS_EUlSR_E0_NS1_11comp_targetILNS1_3genE3ELNS1_11target_archE908ELNS1_3gpuE7ELNS1_3repE0EEENS1_30default_config_static_selectorELNS0_4arch9wavefront6targetE1EEEvT1_,@function
_ZN7rocprim17ROCPRIM_400000_NS6detail17trampoline_kernelINS0_14default_configENS1_20scan_config_selectorIfEEZZNS1_9scan_implILNS1_25lookback_scan_determinismE0ELb1ELb1ES3_N6thrust23THRUST_200600_302600_NS6detail15normal_iteratorINS9_10device_ptrIiEEEENSB_INSC_IfEEEEfNS9_4plusIvEEfEEDaPvRmT3_T4_T5_mT6_P12ihipStream_tbENKUlT_T0_E_clISt17integral_constantIbLb0EESW_EEDaSR_SS_EUlSR_E0_NS1_11comp_targetILNS1_3genE3ELNS1_11target_archE908ELNS1_3gpuE7ELNS1_3repE0EEENS1_30default_config_static_selectorELNS0_4arch9wavefront6targetE1EEEvT1_: ; @_ZN7rocprim17ROCPRIM_400000_NS6detail17trampoline_kernelINS0_14default_configENS1_20scan_config_selectorIfEEZZNS1_9scan_implILNS1_25lookback_scan_determinismE0ELb1ELb1ES3_N6thrust23THRUST_200600_302600_NS6detail15normal_iteratorINS9_10device_ptrIiEEEENSB_INSC_IfEEEEfNS9_4plusIvEEfEEDaPvRmT3_T4_T5_mT6_P12ihipStream_tbENKUlT_T0_E_clISt17integral_constantIbLb0EESW_EEDaSR_SS_EUlSR_E0_NS1_11comp_targetILNS1_3genE3ELNS1_11target_archE908ELNS1_3gpuE7ELNS1_3repE0EEENS1_30default_config_static_selectorELNS0_4arch9wavefront6targetE1EEEvT1_
; %bb.0:
	.section	.rodata,"a",@progbits
	.p2align	6, 0x0
	.amdhsa_kernel _ZN7rocprim17ROCPRIM_400000_NS6detail17trampoline_kernelINS0_14default_configENS1_20scan_config_selectorIfEEZZNS1_9scan_implILNS1_25lookback_scan_determinismE0ELb1ELb1ES3_N6thrust23THRUST_200600_302600_NS6detail15normal_iteratorINS9_10device_ptrIiEEEENSB_INSC_IfEEEEfNS9_4plusIvEEfEEDaPvRmT3_T4_T5_mT6_P12ihipStream_tbENKUlT_T0_E_clISt17integral_constantIbLb0EESW_EEDaSR_SS_EUlSR_E0_NS1_11comp_targetILNS1_3genE3ELNS1_11target_archE908ELNS1_3gpuE7ELNS1_3repE0EEENS1_30default_config_static_selectorELNS0_4arch9wavefront6targetE1EEEvT1_
		.amdhsa_group_segment_fixed_size 0
		.amdhsa_private_segment_fixed_size 0
		.amdhsa_kernarg_size 32
		.amdhsa_user_sgpr_count 6
		.amdhsa_user_sgpr_private_segment_buffer 1
		.amdhsa_user_sgpr_dispatch_ptr 0
		.amdhsa_user_sgpr_queue_ptr 0
		.amdhsa_user_sgpr_kernarg_segment_ptr 1
		.amdhsa_user_sgpr_dispatch_id 0
		.amdhsa_user_sgpr_flat_scratch_init 0
		.amdhsa_user_sgpr_kernarg_preload_length 0
		.amdhsa_user_sgpr_kernarg_preload_offset 0
		.amdhsa_user_sgpr_private_segment_size 0
		.amdhsa_uses_dynamic_stack 0
		.amdhsa_system_sgpr_private_segment_wavefront_offset 0
		.amdhsa_system_sgpr_workgroup_id_x 1
		.amdhsa_system_sgpr_workgroup_id_y 0
		.amdhsa_system_sgpr_workgroup_id_z 0
		.amdhsa_system_sgpr_workgroup_info 0
		.amdhsa_system_vgpr_workitem_id 0
		.amdhsa_next_free_vgpr 1
		.amdhsa_next_free_sgpr 0
		.amdhsa_accum_offset 4
		.amdhsa_reserve_vcc 0
		.amdhsa_reserve_flat_scratch 0
		.amdhsa_float_round_mode_32 0
		.amdhsa_float_round_mode_16_64 0
		.amdhsa_float_denorm_mode_32 3
		.amdhsa_float_denorm_mode_16_64 3
		.amdhsa_dx10_clamp 1
		.amdhsa_ieee_mode 1
		.amdhsa_fp16_overflow 0
		.amdhsa_tg_split 0
		.amdhsa_exception_fp_ieee_invalid_op 0
		.amdhsa_exception_fp_denorm_src 0
		.amdhsa_exception_fp_ieee_div_zero 0
		.amdhsa_exception_fp_ieee_overflow 0
		.amdhsa_exception_fp_ieee_underflow 0
		.amdhsa_exception_fp_ieee_inexact 0
		.amdhsa_exception_int_div_zero 0
	.end_amdhsa_kernel
	.section	.text._ZN7rocprim17ROCPRIM_400000_NS6detail17trampoline_kernelINS0_14default_configENS1_20scan_config_selectorIfEEZZNS1_9scan_implILNS1_25lookback_scan_determinismE0ELb1ELb1ES3_N6thrust23THRUST_200600_302600_NS6detail15normal_iteratorINS9_10device_ptrIiEEEENSB_INSC_IfEEEEfNS9_4plusIvEEfEEDaPvRmT3_T4_T5_mT6_P12ihipStream_tbENKUlT_T0_E_clISt17integral_constantIbLb0EESW_EEDaSR_SS_EUlSR_E0_NS1_11comp_targetILNS1_3genE3ELNS1_11target_archE908ELNS1_3gpuE7ELNS1_3repE0EEENS1_30default_config_static_selectorELNS0_4arch9wavefront6targetE1EEEvT1_,"axG",@progbits,_ZN7rocprim17ROCPRIM_400000_NS6detail17trampoline_kernelINS0_14default_configENS1_20scan_config_selectorIfEEZZNS1_9scan_implILNS1_25lookback_scan_determinismE0ELb1ELb1ES3_N6thrust23THRUST_200600_302600_NS6detail15normal_iteratorINS9_10device_ptrIiEEEENSB_INSC_IfEEEEfNS9_4plusIvEEfEEDaPvRmT3_T4_T5_mT6_P12ihipStream_tbENKUlT_T0_E_clISt17integral_constantIbLb0EESW_EEDaSR_SS_EUlSR_E0_NS1_11comp_targetILNS1_3genE3ELNS1_11target_archE908ELNS1_3gpuE7ELNS1_3repE0EEENS1_30default_config_static_selectorELNS0_4arch9wavefront6targetE1EEEvT1_,comdat
.Lfunc_end1726:
	.size	_ZN7rocprim17ROCPRIM_400000_NS6detail17trampoline_kernelINS0_14default_configENS1_20scan_config_selectorIfEEZZNS1_9scan_implILNS1_25lookback_scan_determinismE0ELb1ELb1ES3_N6thrust23THRUST_200600_302600_NS6detail15normal_iteratorINS9_10device_ptrIiEEEENSB_INSC_IfEEEEfNS9_4plusIvEEfEEDaPvRmT3_T4_T5_mT6_P12ihipStream_tbENKUlT_T0_E_clISt17integral_constantIbLb0EESW_EEDaSR_SS_EUlSR_E0_NS1_11comp_targetILNS1_3genE3ELNS1_11target_archE908ELNS1_3gpuE7ELNS1_3repE0EEENS1_30default_config_static_selectorELNS0_4arch9wavefront6targetE1EEEvT1_, .Lfunc_end1726-_ZN7rocprim17ROCPRIM_400000_NS6detail17trampoline_kernelINS0_14default_configENS1_20scan_config_selectorIfEEZZNS1_9scan_implILNS1_25lookback_scan_determinismE0ELb1ELb1ES3_N6thrust23THRUST_200600_302600_NS6detail15normal_iteratorINS9_10device_ptrIiEEEENSB_INSC_IfEEEEfNS9_4plusIvEEfEEDaPvRmT3_T4_T5_mT6_P12ihipStream_tbENKUlT_T0_E_clISt17integral_constantIbLb0EESW_EEDaSR_SS_EUlSR_E0_NS1_11comp_targetILNS1_3genE3ELNS1_11target_archE908ELNS1_3gpuE7ELNS1_3repE0EEENS1_30default_config_static_selectorELNS0_4arch9wavefront6targetE1EEEvT1_
                                        ; -- End function
	.section	.AMDGPU.csdata,"",@progbits
; Kernel info:
; codeLenInByte = 0
; NumSgprs: 4
; NumVgprs: 0
; NumAgprs: 0
; TotalNumVgprs: 0
; ScratchSize: 0
; MemoryBound: 0
; FloatMode: 240
; IeeeMode: 1
; LDSByteSize: 0 bytes/workgroup (compile time only)
; SGPRBlocks: 0
; VGPRBlocks: 0
; NumSGPRsForWavesPerEU: 4
; NumVGPRsForWavesPerEU: 1
; AccumOffset: 4
; Occupancy: 8
; WaveLimiterHint : 0
; COMPUTE_PGM_RSRC2:SCRATCH_EN: 0
; COMPUTE_PGM_RSRC2:USER_SGPR: 6
; COMPUTE_PGM_RSRC2:TRAP_HANDLER: 0
; COMPUTE_PGM_RSRC2:TGID_X_EN: 1
; COMPUTE_PGM_RSRC2:TGID_Y_EN: 0
; COMPUTE_PGM_RSRC2:TGID_Z_EN: 0
; COMPUTE_PGM_RSRC2:TIDIG_COMP_CNT: 0
; COMPUTE_PGM_RSRC3_GFX90A:ACCUM_OFFSET: 0
; COMPUTE_PGM_RSRC3_GFX90A:TG_SPLIT: 0
	.section	.text._ZN7rocprim17ROCPRIM_400000_NS6detail17trampoline_kernelINS0_14default_configENS1_20scan_config_selectorIfEEZZNS1_9scan_implILNS1_25lookback_scan_determinismE0ELb1ELb1ES3_N6thrust23THRUST_200600_302600_NS6detail15normal_iteratorINS9_10device_ptrIiEEEENSB_INSC_IfEEEEfNS9_4plusIvEEfEEDaPvRmT3_T4_T5_mT6_P12ihipStream_tbENKUlT_T0_E_clISt17integral_constantIbLb0EESW_EEDaSR_SS_EUlSR_E0_NS1_11comp_targetILNS1_3genE2ELNS1_11target_archE906ELNS1_3gpuE6ELNS1_3repE0EEENS1_30default_config_static_selectorELNS0_4arch9wavefront6targetE1EEEvT1_,"axG",@progbits,_ZN7rocprim17ROCPRIM_400000_NS6detail17trampoline_kernelINS0_14default_configENS1_20scan_config_selectorIfEEZZNS1_9scan_implILNS1_25lookback_scan_determinismE0ELb1ELb1ES3_N6thrust23THRUST_200600_302600_NS6detail15normal_iteratorINS9_10device_ptrIiEEEENSB_INSC_IfEEEEfNS9_4plusIvEEfEEDaPvRmT3_T4_T5_mT6_P12ihipStream_tbENKUlT_T0_E_clISt17integral_constantIbLb0EESW_EEDaSR_SS_EUlSR_E0_NS1_11comp_targetILNS1_3genE2ELNS1_11target_archE906ELNS1_3gpuE6ELNS1_3repE0EEENS1_30default_config_static_selectorELNS0_4arch9wavefront6targetE1EEEvT1_,comdat
	.protected	_ZN7rocprim17ROCPRIM_400000_NS6detail17trampoline_kernelINS0_14default_configENS1_20scan_config_selectorIfEEZZNS1_9scan_implILNS1_25lookback_scan_determinismE0ELb1ELb1ES3_N6thrust23THRUST_200600_302600_NS6detail15normal_iteratorINS9_10device_ptrIiEEEENSB_INSC_IfEEEEfNS9_4plusIvEEfEEDaPvRmT3_T4_T5_mT6_P12ihipStream_tbENKUlT_T0_E_clISt17integral_constantIbLb0EESW_EEDaSR_SS_EUlSR_E0_NS1_11comp_targetILNS1_3genE2ELNS1_11target_archE906ELNS1_3gpuE6ELNS1_3repE0EEENS1_30default_config_static_selectorELNS0_4arch9wavefront6targetE1EEEvT1_ ; -- Begin function _ZN7rocprim17ROCPRIM_400000_NS6detail17trampoline_kernelINS0_14default_configENS1_20scan_config_selectorIfEEZZNS1_9scan_implILNS1_25lookback_scan_determinismE0ELb1ELb1ES3_N6thrust23THRUST_200600_302600_NS6detail15normal_iteratorINS9_10device_ptrIiEEEENSB_INSC_IfEEEEfNS9_4plusIvEEfEEDaPvRmT3_T4_T5_mT6_P12ihipStream_tbENKUlT_T0_E_clISt17integral_constantIbLb0EESW_EEDaSR_SS_EUlSR_E0_NS1_11comp_targetILNS1_3genE2ELNS1_11target_archE906ELNS1_3gpuE6ELNS1_3repE0EEENS1_30default_config_static_selectorELNS0_4arch9wavefront6targetE1EEEvT1_
	.globl	_ZN7rocprim17ROCPRIM_400000_NS6detail17trampoline_kernelINS0_14default_configENS1_20scan_config_selectorIfEEZZNS1_9scan_implILNS1_25lookback_scan_determinismE0ELb1ELb1ES3_N6thrust23THRUST_200600_302600_NS6detail15normal_iteratorINS9_10device_ptrIiEEEENSB_INSC_IfEEEEfNS9_4plusIvEEfEEDaPvRmT3_T4_T5_mT6_P12ihipStream_tbENKUlT_T0_E_clISt17integral_constantIbLb0EESW_EEDaSR_SS_EUlSR_E0_NS1_11comp_targetILNS1_3genE2ELNS1_11target_archE906ELNS1_3gpuE6ELNS1_3repE0EEENS1_30default_config_static_selectorELNS0_4arch9wavefront6targetE1EEEvT1_
	.p2align	8
	.type	_ZN7rocprim17ROCPRIM_400000_NS6detail17trampoline_kernelINS0_14default_configENS1_20scan_config_selectorIfEEZZNS1_9scan_implILNS1_25lookback_scan_determinismE0ELb1ELb1ES3_N6thrust23THRUST_200600_302600_NS6detail15normal_iteratorINS9_10device_ptrIiEEEENSB_INSC_IfEEEEfNS9_4plusIvEEfEEDaPvRmT3_T4_T5_mT6_P12ihipStream_tbENKUlT_T0_E_clISt17integral_constantIbLb0EESW_EEDaSR_SS_EUlSR_E0_NS1_11comp_targetILNS1_3genE2ELNS1_11target_archE906ELNS1_3gpuE6ELNS1_3repE0EEENS1_30default_config_static_selectorELNS0_4arch9wavefront6targetE1EEEvT1_,@function
_ZN7rocprim17ROCPRIM_400000_NS6detail17trampoline_kernelINS0_14default_configENS1_20scan_config_selectorIfEEZZNS1_9scan_implILNS1_25lookback_scan_determinismE0ELb1ELb1ES3_N6thrust23THRUST_200600_302600_NS6detail15normal_iteratorINS9_10device_ptrIiEEEENSB_INSC_IfEEEEfNS9_4plusIvEEfEEDaPvRmT3_T4_T5_mT6_P12ihipStream_tbENKUlT_T0_E_clISt17integral_constantIbLb0EESW_EEDaSR_SS_EUlSR_E0_NS1_11comp_targetILNS1_3genE2ELNS1_11target_archE906ELNS1_3gpuE6ELNS1_3repE0EEENS1_30default_config_static_selectorELNS0_4arch9wavefront6targetE1EEEvT1_: ; @_ZN7rocprim17ROCPRIM_400000_NS6detail17trampoline_kernelINS0_14default_configENS1_20scan_config_selectorIfEEZZNS1_9scan_implILNS1_25lookback_scan_determinismE0ELb1ELb1ES3_N6thrust23THRUST_200600_302600_NS6detail15normal_iteratorINS9_10device_ptrIiEEEENSB_INSC_IfEEEEfNS9_4plusIvEEfEEDaPvRmT3_T4_T5_mT6_P12ihipStream_tbENKUlT_T0_E_clISt17integral_constantIbLb0EESW_EEDaSR_SS_EUlSR_E0_NS1_11comp_targetILNS1_3genE2ELNS1_11target_archE906ELNS1_3gpuE6ELNS1_3repE0EEENS1_30default_config_static_selectorELNS0_4arch9wavefront6targetE1EEEvT1_
; %bb.0:
	.section	.rodata,"a",@progbits
	.p2align	6, 0x0
	.amdhsa_kernel _ZN7rocprim17ROCPRIM_400000_NS6detail17trampoline_kernelINS0_14default_configENS1_20scan_config_selectorIfEEZZNS1_9scan_implILNS1_25lookback_scan_determinismE0ELb1ELb1ES3_N6thrust23THRUST_200600_302600_NS6detail15normal_iteratorINS9_10device_ptrIiEEEENSB_INSC_IfEEEEfNS9_4plusIvEEfEEDaPvRmT3_T4_T5_mT6_P12ihipStream_tbENKUlT_T0_E_clISt17integral_constantIbLb0EESW_EEDaSR_SS_EUlSR_E0_NS1_11comp_targetILNS1_3genE2ELNS1_11target_archE906ELNS1_3gpuE6ELNS1_3repE0EEENS1_30default_config_static_selectorELNS0_4arch9wavefront6targetE1EEEvT1_
		.amdhsa_group_segment_fixed_size 0
		.amdhsa_private_segment_fixed_size 0
		.amdhsa_kernarg_size 32
		.amdhsa_user_sgpr_count 6
		.amdhsa_user_sgpr_private_segment_buffer 1
		.amdhsa_user_sgpr_dispatch_ptr 0
		.amdhsa_user_sgpr_queue_ptr 0
		.amdhsa_user_sgpr_kernarg_segment_ptr 1
		.amdhsa_user_sgpr_dispatch_id 0
		.amdhsa_user_sgpr_flat_scratch_init 0
		.amdhsa_user_sgpr_kernarg_preload_length 0
		.amdhsa_user_sgpr_kernarg_preload_offset 0
		.amdhsa_user_sgpr_private_segment_size 0
		.amdhsa_uses_dynamic_stack 0
		.amdhsa_system_sgpr_private_segment_wavefront_offset 0
		.amdhsa_system_sgpr_workgroup_id_x 1
		.amdhsa_system_sgpr_workgroup_id_y 0
		.amdhsa_system_sgpr_workgroup_id_z 0
		.amdhsa_system_sgpr_workgroup_info 0
		.amdhsa_system_vgpr_workitem_id 0
		.amdhsa_next_free_vgpr 1
		.amdhsa_next_free_sgpr 0
		.amdhsa_accum_offset 4
		.amdhsa_reserve_vcc 0
		.amdhsa_reserve_flat_scratch 0
		.amdhsa_float_round_mode_32 0
		.amdhsa_float_round_mode_16_64 0
		.amdhsa_float_denorm_mode_32 3
		.amdhsa_float_denorm_mode_16_64 3
		.amdhsa_dx10_clamp 1
		.amdhsa_ieee_mode 1
		.amdhsa_fp16_overflow 0
		.amdhsa_tg_split 0
		.amdhsa_exception_fp_ieee_invalid_op 0
		.amdhsa_exception_fp_denorm_src 0
		.amdhsa_exception_fp_ieee_div_zero 0
		.amdhsa_exception_fp_ieee_overflow 0
		.amdhsa_exception_fp_ieee_underflow 0
		.amdhsa_exception_fp_ieee_inexact 0
		.amdhsa_exception_int_div_zero 0
	.end_amdhsa_kernel
	.section	.text._ZN7rocprim17ROCPRIM_400000_NS6detail17trampoline_kernelINS0_14default_configENS1_20scan_config_selectorIfEEZZNS1_9scan_implILNS1_25lookback_scan_determinismE0ELb1ELb1ES3_N6thrust23THRUST_200600_302600_NS6detail15normal_iteratorINS9_10device_ptrIiEEEENSB_INSC_IfEEEEfNS9_4plusIvEEfEEDaPvRmT3_T4_T5_mT6_P12ihipStream_tbENKUlT_T0_E_clISt17integral_constantIbLb0EESW_EEDaSR_SS_EUlSR_E0_NS1_11comp_targetILNS1_3genE2ELNS1_11target_archE906ELNS1_3gpuE6ELNS1_3repE0EEENS1_30default_config_static_selectorELNS0_4arch9wavefront6targetE1EEEvT1_,"axG",@progbits,_ZN7rocprim17ROCPRIM_400000_NS6detail17trampoline_kernelINS0_14default_configENS1_20scan_config_selectorIfEEZZNS1_9scan_implILNS1_25lookback_scan_determinismE0ELb1ELb1ES3_N6thrust23THRUST_200600_302600_NS6detail15normal_iteratorINS9_10device_ptrIiEEEENSB_INSC_IfEEEEfNS9_4plusIvEEfEEDaPvRmT3_T4_T5_mT6_P12ihipStream_tbENKUlT_T0_E_clISt17integral_constantIbLb0EESW_EEDaSR_SS_EUlSR_E0_NS1_11comp_targetILNS1_3genE2ELNS1_11target_archE906ELNS1_3gpuE6ELNS1_3repE0EEENS1_30default_config_static_selectorELNS0_4arch9wavefront6targetE1EEEvT1_,comdat
.Lfunc_end1727:
	.size	_ZN7rocprim17ROCPRIM_400000_NS6detail17trampoline_kernelINS0_14default_configENS1_20scan_config_selectorIfEEZZNS1_9scan_implILNS1_25lookback_scan_determinismE0ELb1ELb1ES3_N6thrust23THRUST_200600_302600_NS6detail15normal_iteratorINS9_10device_ptrIiEEEENSB_INSC_IfEEEEfNS9_4plusIvEEfEEDaPvRmT3_T4_T5_mT6_P12ihipStream_tbENKUlT_T0_E_clISt17integral_constantIbLb0EESW_EEDaSR_SS_EUlSR_E0_NS1_11comp_targetILNS1_3genE2ELNS1_11target_archE906ELNS1_3gpuE6ELNS1_3repE0EEENS1_30default_config_static_selectorELNS0_4arch9wavefront6targetE1EEEvT1_, .Lfunc_end1727-_ZN7rocprim17ROCPRIM_400000_NS6detail17trampoline_kernelINS0_14default_configENS1_20scan_config_selectorIfEEZZNS1_9scan_implILNS1_25lookback_scan_determinismE0ELb1ELb1ES3_N6thrust23THRUST_200600_302600_NS6detail15normal_iteratorINS9_10device_ptrIiEEEENSB_INSC_IfEEEEfNS9_4plusIvEEfEEDaPvRmT3_T4_T5_mT6_P12ihipStream_tbENKUlT_T0_E_clISt17integral_constantIbLb0EESW_EEDaSR_SS_EUlSR_E0_NS1_11comp_targetILNS1_3genE2ELNS1_11target_archE906ELNS1_3gpuE6ELNS1_3repE0EEENS1_30default_config_static_selectorELNS0_4arch9wavefront6targetE1EEEvT1_
                                        ; -- End function
	.section	.AMDGPU.csdata,"",@progbits
; Kernel info:
; codeLenInByte = 0
; NumSgprs: 4
; NumVgprs: 0
; NumAgprs: 0
; TotalNumVgprs: 0
; ScratchSize: 0
; MemoryBound: 0
; FloatMode: 240
; IeeeMode: 1
; LDSByteSize: 0 bytes/workgroup (compile time only)
; SGPRBlocks: 0
; VGPRBlocks: 0
; NumSGPRsForWavesPerEU: 4
; NumVGPRsForWavesPerEU: 1
; AccumOffset: 4
; Occupancy: 8
; WaveLimiterHint : 0
; COMPUTE_PGM_RSRC2:SCRATCH_EN: 0
; COMPUTE_PGM_RSRC2:USER_SGPR: 6
; COMPUTE_PGM_RSRC2:TRAP_HANDLER: 0
; COMPUTE_PGM_RSRC2:TGID_X_EN: 1
; COMPUTE_PGM_RSRC2:TGID_Y_EN: 0
; COMPUTE_PGM_RSRC2:TGID_Z_EN: 0
; COMPUTE_PGM_RSRC2:TIDIG_COMP_CNT: 0
; COMPUTE_PGM_RSRC3_GFX90A:ACCUM_OFFSET: 0
; COMPUTE_PGM_RSRC3_GFX90A:TG_SPLIT: 0
	.section	.text._ZN7rocprim17ROCPRIM_400000_NS6detail17trampoline_kernelINS0_14default_configENS1_20scan_config_selectorIfEEZZNS1_9scan_implILNS1_25lookback_scan_determinismE0ELb1ELb1ES3_N6thrust23THRUST_200600_302600_NS6detail15normal_iteratorINS9_10device_ptrIiEEEENSB_INSC_IfEEEEfNS9_4plusIvEEfEEDaPvRmT3_T4_T5_mT6_P12ihipStream_tbENKUlT_T0_E_clISt17integral_constantIbLb0EESW_EEDaSR_SS_EUlSR_E0_NS1_11comp_targetILNS1_3genE10ELNS1_11target_archE1201ELNS1_3gpuE5ELNS1_3repE0EEENS1_30default_config_static_selectorELNS0_4arch9wavefront6targetE1EEEvT1_,"axG",@progbits,_ZN7rocprim17ROCPRIM_400000_NS6detail17trampoline_kernelINS0_14default_configENS1_20scan_config_selectorIfEEZZNS1_9scan_implILNS1_25lookback_scan_determinismE0ELb1ELb1ES3_N6thrust23THRUST_200600_302600_NS6detail15normal_iteratorINS9_10device_ptrIiEEEENSB_INSC_IfEEEEfNS9_4plusIvEEfEEDaPvRmT3_T4_T5_mT6_P12ihipStream_tbENKUlT_T0_E_clISt17integral_constantIbLb0EESW_EEDaSR_SS_EUlSR_E0_NS1_11comp_targetILNS1_3genE10ELNS1_11target_archE1201ELNS1_3gpuE5ELNS1_3repE0EEENS1_30default_config_static_selectorELNS0_4arch9wavefront6targetE1EEEvT1_,comdat
	.protected	_ZN7rocprim17ROCPRIM_400000_NS6detail17trampoline_kernelINS0_14default_configENS1_20scan_config_selectorIfEEZZNS1_9scan_implILNS1_25lookback_scan_determinismE0ELb1ELb1ES3_N6thrust23THRUST_200600_302600_NS6detail15normal_iteratorINS9_10device_ptrIiEEEENSB_INSC_IfEEEEfNS9_4plusIvEEfEEDaPvRmT3_T4_T5_mT6_P12ihipStream_tbENKUlT_T0_E_clISt17integral_constantIbLb0EESW_EEDaSR_SS_EUlSR_E0_NS1_11comp_targetILNS1_3genE10ELNS1_11target_archE1201ELNS1_3gpuE5ELNS1_3repE0EEENS1_30default_config_static_selectorELNS0_4arch9wavefront6targetE1EEEvT1_ ; -- Begin function _ZN7rocprim17ROCPRIM_400000_NS6detail17trampoline_kernelINS0_14default_configENS1_20scan_config_selectorIfEEZZNS1_9scan_implILNS1_25lookback_scan_determinismE0ELb1ELb1ES3_N6thrust23THRUST_200600_302600_NS6detail15normal_iteratorINS9_10device_ptrIiEEEENSB_INSC_IfEEEEfNS9_4plusIvEEfEEDaPvRmT3_T4_T5_mT6_P12ihipStream_tbENKUlT_T0_E_clISt17integral_constantIbLb0EESW_EEDaSR_SS_EUlSR_E0_NS1_11comp_targetILNS1_3genE10ELNS1_11target_archE1201ELNS1_3gpuE5ELNS1_3repE0EEENS1_30default_config_static_selectorELNS0_4arch9wavefront6targetE1EEEvT1_
	.globl	_ZN7rocprim17ROCPRIM_400000_NS6detail17trampoline_kernelINS0_14default_configENS1_20scan_config_selectorIfEEZZNS1_9scan_implILNS1_25lookback_scan_determinismE0ELb1ELb1ES3_N6thrust23THRUST_200600_302600_NS6detail15normal_iteratorINS9_10device_ptrIiEEEENSB_INSC_IfEEEEfNS9_4plusIvEEfEEDaPvRmT3_T4_T5_mT6_P12ihipStream_tbENKUlT_T0_E_clISt17integral_constantIbLb0EESW_EEDaSR_SS_EUlSR_E0_NS1_11comp_targetILNS1_3genE10ELNS1_11target_archE1201ELNS1_3gpuE5ELNS1_3repE0EEENS1_30default_config_static_selectorELNS0_4arch9wavefront6targetE1EEEvT1_
	.p2align	8
	.type	_ZN7rocprim17ROCPRIM_400000_NS6detail17trampoline_kernelINS0_14default_configENS1_20scan_config_selectorIfEEZZNS1_9scan_implILNS1_25lookback_scan_determinismE0ELb1ELb1ES3_N6thrust23THRUST_200600_302600_NS6detail15normal_iteratorINS9_10device_ptrIiEEEENSB_INSC_IfEEEEfNS9_4plusIvEEfEEDaPvRmT3_T4_T5_mT6_P12ihipStream_tbENKUlT_T0_E_clISt17integral_constantIbLb0EESW_EEDaSR_SS_EUlSR_E0_NS1_11comp_targetILNS1_3genE10ELNS1_11target_archE1201ELNS1_3gpuE5ELNS1_3repE0EEENS1_30default_config_static_selectorELNS0_4arch9wavefront6targetE1EEEvT1_,@function
_ZN7rocprim17ROCPRIM_400000_NS6detail17trampoline_kernelINS0_14default_configENS1_20scan_config_selectorIfEEZZNS1_9scan_implILNS1_25lookback_scan_determinismE0ELb1ELb1ES3_N6thrust23THRUST_200600_302600_NS6detail15normal_iteratorINS9_10device_ptrIiEEEENSB_INSC_IfEEEEfNS9_4plusIvEEfEEDaPvRmT3_T4_T5_mT6_P12ihipStream_tbENKUlT_T0_E_clISt17integral_constantIbLb0EESW_EEDaSR_SS_EUlSR_E0_NS1_11comp_targetILNS1_3genE10ELNS1_11target_archE1201ELNS1_3gpuE5ELNS1_3repE0EEENS1_30default_config_static_selectorELNS0_4arch9wavefront6targetE1EEEvT1_: ; @_ZN7rocprim17ROCPRIM_400000_NS6detail17trampoline_kernelINS0_14default_configENS1_20scan_config_selectorIfEEZZNS1_9scan_implILNS1_25lookback_scan_determinismE0ELb1ELb1ES3_N6thrust23THRUST_200600_302600_NS6detail15normal_iteratorINS9_10device_ptrIiEEEENSB_INSC_IfEEEEfNS9_4plusIvEEfEEDaPvRmT3_T4_T5_mT6_P12ihipStream_tbENKUlT_T0_E_clISt17integral_constantIbLb0EESW_EEDaSR_SS_EUlSR_E0_NS1_11comp_targetILNS1_3genE10ELNS1_11target_archE1201ELNS1_3gpuE5ELNS1_3repE0EEENS1_30default_config_static_selectorELNS0_4arch9wavefront6targetE1EEEvT1_
; %bb.0:
	.section	.rodata,"a",@progbits
	.p2align	6, 0x0
	.amdhsa_kernel _ZN7rocprim17ROCPRIM_400000_NS6detail17trampoline_kernelINS0_14default_configENS1_20scan_config_selectorIfEEZZNS1_9scan_implILNS1_25lookback_scan_determinismE0ELb1ELb1ES3_N6thrust23THRUST_200600_302600_NS6detail15normal_iteratorINS9_10device_ptrIiEEEENSB_INSC_IfEEEEfNS9_4plusIvEEfEEDaPvRmT3_T4_T5_mT6_P12ihipStream_tbENKUlT_T0_E_clISt17integral_constantIbLb0EESW_EEDaSR_SS_EUlSR_E0_NS1_11comp_targetILNS1_3genE10ELNS1_11target_archE1201ELNS1_3gpuE5ELNS1_3repE0EEENS1_30default_config_static_selectorELNS0_4arch9wavefront6targetE1EEEvT1_
		.amdhsa_group_segment_fixed_size 0
		.amdhsa_private_segment_fixed_size 0
		.amdhsa_kernarg_size 32
		.amdhsa_user_sgpr_count 6
		.amdhsa_user_sgpr_private_segment_buffer 1
		.amdhsa_user_sgpr_dispatch_ptr 0
		.amdhsa_user_sgpr_queue_ptr 0
		.amdhsa_user_sgpr_kernarg_segment_ptr 1
		.amdhsa_user_sgpr_dispatch_id 0
		.amdhsa_user_sgpr_flat_scratch_init 0
		.amdhsa_user_sgpr_kernarg_preload_length 0
		.amdhsa_user_sgpr_kernarg_preload_offset 0
		.amdhsa_user_sgpr_private_segment_size 0
		.amdhsa_uses_dynamic_stack 0
		.amdhsa_system_sgpr_private_segment_wavefront_offset 0
		.amdhsa_system_sgpr_workgroup_id_x 1
		.amdhsa_system_sgpr_workgroup_id_y 0
		.amdhsa_system_sgpr_workgroup_id_z 0
		.amdhsa_system_sgpr_workgroup_info 0
		.amdhsa_system_vgpr_workitem_id 0
		.amdhsa_next_free_vgpr 1
		.amdhsa_next_free_sgpr 0
		.amdhsa_accum_offset 4
		.amdhsa_reserve_vcc 0
		.amdhsa_reserve_flat_scratch 0
		.amdhsa_float_round_mode_32 0
		.amdhsa_float_round_mode_16_64 0
		.amdhsa_float_denorm_mode_32 3
		.amdhsa_float_denorm_mode_16_64 3
		.amdhsa_dx10_clamp 1
		.amdhsa_ieee_mode 1
		.amdhsa_fp16_overflow 0
		.amdhsa_tg_split 0
		.amdhsa_exception_fp_ieee_invalid_op 0
		.amdhsa_exception_fp_denorm_src 0
		.amdhsa_exception_fp_ieee_div_zero 0
		.amdhsa_exception_fp_ieee_overflow 0
		.amdhsa_exception_fp_ieee_underflow 0
		.amdhsa_exception_fp_ieee_inexact 0
		.amdhsa_exception_int_div_zero 0
	.end_amdhsa_kernel
	.section	.text._ZN7rocprim17ROCPRIM_400000_NS6detail17trampoline_kernelINS0_14default_configENS1_20scan_config_selectorIfEEZZNS1_9scan_implILNS1_25lookback_scan_determinismE0ELb1ELb1ES3_N6thrust23THRUST_200600_302600_NS6detail15normal_iteratorINS9_10device_ptrIiEEEENSB_INSC_IfEEEEfNS9_4plusIvEEfEEDaPvRmT3_T4_T5_mT6_P12ihipStream_tbENKUlT_T0_E_clISt17integral_constantIbLb0EESW_EEDaSR_SS_EUlSR_E0_NS1_11comp_targetILNS1_3genE10ELNS1_11target_archE1201ELNS1_3gpuE5ELNS1_3repE0EEENS1_30default_config_static_selectorELNS0_4arch9wavefront6targetE1EEEvT1_,"axG",@progbits,_ZN7rocprim17ROCPRIM_400000_NS6detail17trampoline_kernelINS0_14default_configENS1_20scan_config_selectorIfEEZZNS1_9scan_implILNS1_25lookback_scan_determinismE0ELb1ELb1ES3_N6thrust23THRUST_200600_302600_NS6detail15normal_iteratorINS9_10device_ptrIiEEEENSB_INSC_IfEEEEfNS9_4plusIvEEfEEDaPvRmT3_T4_T5_mT6_P12ihipStream_tbENKUlT_T0_E_clISt17integral_constantIbLb0EESW_EEDaSR_SS_EUlSR_E0_NS1_11comp_targetILNS1_3genE10ELNS1_11target_archE1201ELNS1_3gpuE5ELNS1_3repE0EEENS1_30default_config_static_selectorELNS0_4arch9wavefront6targetE1EEEvT1_,comdat
.Lfunc_end1728:
	.size	_ZN7rocprim17ROCPRIM_400000_NS6detail17trampoline_kernelINS0_14default_configENS1_20scan_config_selectorIfEEZZNS1_9scan_implILNS1_25lookback_scan_determinismE0ELb1ELb1ES3_N6thrust23THRUST_200600_302600_NS6detail15normal_iteratorINS9_10device_ptrIiEEEENSB_INSC_IfEEEEfNS9_4plusIvEEfEEDaPvRmT3_T4_T5_mT6_P12ihipStream_tbENKUlT_T0_E_clISt17integral_constantIbLb0EESW_EEDaSR_SS_EUlSR_E0_NS1_11comp_targetILNS1_3genE10ELNS1_11target_archE1201ELNS1_3gpuE5ELNS1_3repE0EEENS1_30default_config_static_selectorELNS0_4arch9wavefront6targetE1EEEvT1_, .Lfunc_end1728-_ZN7rocprim17ROCPRIM_400000_NS6detail17trampoline_kernelINS0_14default_configENS1_20scan_config_selectorIfEEZZNS1_9scan_implILNS1_25lookback_scan_determinismE0ELb1ELb1ES3_N6thrust23THRUST_200600_302600_NS6detail15normal_iteratorINS9_10device_ptrIiEEEENSB_INSC_IfEEEEfNS9_4plusIvEEfEEDaPvRmT3_T4_T5_mT6_P12ihipStream_tbENKUlT_T0_E_clISt17integral_constantIbLb0EESW_EEDaSR_SS_EUlSR_E0_NS1_11comp_targetILNS1_3genE10ELNS1_11target_archE1201ELNS1_3gpuE5ELNS1_3repE0EEENS1_30default_config_static_selectorELNS0_4arch9wavefront6targetE1EEEvT1_
                                        ; -- End function
	.section	.AMDGPU.csdata,"",@progbits
; Kernel info:
; codeLenInByte = 0
; NumSgprs: 4
; NumVgprs: 0
; NumAgprs: 0
; TotalNumVgprs: 0
; ScratchSize: 0
; MemoryBound: 0
; FloatMode: 240
; IeeeMode: 1
; LDSByteSize: 0 bytes/workgroup (compile time only)
; SGPRBlocks: 0
; VGPRBlocks: 0
; NumSGPRsForWavesPerEU: 4
; NumVGPRsForWavesPerEU: 1
; AccumOffset: 4
; Occupancy: 8
; WaveLimiterHint : 0
; COMPUTE_PGM_RSRC2:SCRATCH_EN: 0
; COMPUTE_PGM_RSRC2:USER_SGPR: 6
; COMPUTE_PGM_RSRC2:TRAP_HANDLER: 0
; COMPUTE_PGM_RSRC2:TGID_X_EN: 1
; COMPUTE_PGM_RSRC2:TGID_Y_EN: 0
; COMPUTE_PGM_RSRC2:TGID_Z_EN: 0
; COMPUTE_PGM_RSRC2:TIDIG_COMP_CNT: 0
; COMPUTE_PGM_RSRC3_GFX90A:ACCUM_OFFSET: 0
; COMPUTE_PGM_RSRC3_GFX90A:TG_SPLIT: 0
	.section	.text._ZN7rocprim17ROCPRIM_400000_NS6detail17trampoline_kernelINS0_14default_configENS1_20scan_config_selectorIfEEZZNS1_9scan_implILNS1_25lookback_scan_determinismE0ELb1ELb1ES3_N6thrust23THRUST_200600_302600_NS6detail15normal_iteratorINS9_10device_ptrIiEEEENSB_INSC_IfEEEEfNS9_4plusIvEEfEEDaPvRmT3_T4_T5_mT6_P12ihipStream_tbENKUlT_T0_E_clISt17integral_constantIbLb0EESW_EEDaSR_SS_EUlSR_E0_NS1_11comp_targetILNS1_3genE10ELNS1_11target_archE1200ELNS1_3gpuE4ELNS1_3repE0EEENS1_30default_config_static_selectorELNS0_4arch9wavefront6targetE1EEEvT1_,"axG",@progbits,_ZN7rocprim17ROCPRIM_400000_NS6detail17trampoline_kernelINS0_14default_configENS1_20scan_config_selectorIfEEZZNS1_9scan_implILNS1_25lookback_scan_determinismE0ELb1ELb1ES3_N6thrust23THRUST_200600_302600_NS6detail15normal_iteratorINS9_10device_ptrIiEEEENSB_INSC_IfEEEEfNS9_4plusIvEEfEEDaPvRmT3_T4_T5_mT6_P12ihipStream_tbENKUlT_T0_E_clISt17integral_constantIbLb0EESW_EEDaSR_SS_EUlSR_E0_NS1_11comp_targetILNS1_3genE10ELNS1_11target_archE1200ELNS1_3gpuE4ELNS1_3repE0EEENS1_30default_config_static_selectorELNS0_4arch9wavefront6targetE1EEEvT1_,comdat
	.protected	_ZN7rocprim17ROCPRIM_400000_NS6detail17trampoline_kernelINS0_14default_configENS1_20scan_config_selectorIfEEZZNS1_9scan_implILNS1_25lookback_scan_determinismE0ELb1ELb1ES3_N6thrust23THRUST_200600_302600_NS6detail15normal_iteratorINS9_10device_ptrIiEEEENSB_INSC_IfEEEEfNS9_4plusIvEEfEEDaPvRmT3_T4_T5_mT6_P12ihipStream_tbENKUlT_T0_E_clISt17integral_constantIbLb0EESW_EEDaSR_SS_EUlSR_E0_NS1_11comp_targetILNS1_3genE10ELNS1_11target_archE1200ELNS1_3gpuE4ELNS1_3repE0EEENS1_30default_config_static_selectorELNS0_4arch9wavefront6targetE1EEEvT1_ ; -- Begin function _ZN7rocprim17ROCPRIM_400000_NS6detail17trampoline_kernelINS0_14default_configENS1_20scan_config_selectorIfEEZZNS1_9scan_implILNS1_25lookback_scan_determinismE0ELb1ELb1ES3_N6thrust23THRUST_200600_302600_NS6detail15normal_iteratorINS9_10device_ptrIiEEEENSB_INSC_IfEEEEfNS9_4plusIvEEfEEDaPvRmT3_T4_T5_mT6_P12ihipStream_tbENKUlT_T0_E_clISt17integral_constantIbLb0EESW_EEDaSR_SS_EUlSR_E0_NS1_11comp_targetILNS1_3genE10ELNS1_11target_archE1200ELNS1_3gpuE4ELNS1_3repE0EEENS1_30default_config_static_selectorELNS0_4arch9wavefront6targetE1EEEvT1_
	.globl	_ZN7rocprim17ROCPRIM_400000_NS6detail17trampoline_kernelINS0_14default_configENS1_20scan_config_selectorIfEEZZNS1_9scan_implILNS1_25lookback_scan_determinismE0ELb1ELb1ES3_N6thrust23THRUST_200600_302600_NS6detail15normal_iteratorINS9_10device_ptrIiEEEENSB_INSC_IfEEEEfNS9_4plusIvEEfEEDaPvRmT3_T4_T5_mT6_P12ihipStream_tbENKUlT_T0_E_clISt17integral_constantIbLb0EESW_EEDaSR_SS_EUlSR_E0_NS1_11comp_targetILNS1_3genE10ELNS1_11target_archE1200ELNS1_3gpuE4ELNS1_3repE0EEENS1_30default_config_static_selectorELNS0_4arch9wavefront6targetE1EEEvT1_
	.p2align	8
	.type	_ZN7rocprim17ROCPRIM_400000_NS6detail17trampoline_kernelINS0_14default_configENS1_20scan_config_selectorIfEEZZNS1_9scan_implILNS1_25lookback_scan_determinismE0ELb1ELb1ES3_N6thrust23THRUST_200600_302600_NS6detail15normal_iteratorINS9_10device_ptrIiEEEENSB_INSC_IfEEEEfNS9_4plusIvEEfEEDaPvRmT3_T4_T5_mT6_P12ihipStream_tbENKUlT_T0_E_clISt17integral_constantIbLb0EESW_EEDaSR_SS_EUlSR_E0_NS1_11comp_targetILNS1_3genE10ELNS1_11target_archE1200ELNS1_3gpuE4ELNS1_3repE0EEENS1_30default_config_static_selectorELNS0_4arch9wavefront6targetE1EEEvT1_,@function
_ZN7rocprim17ROCPRIM_400000_NS6detail17trampoline_kernelINS0_14default_configENS1_20scan_config_selectorIfEEZZNS1_9scan_implILNS1_25lookback_scan_determinismE0ELb1ELb1ES3_N6thrust23THRUST_200600_302600_NS6detail15normal_iteratorINS9_10device_ptrIiEEEENSB_INSC_IfEEEEfNS9_4plusIvEEfEEDaPvRmT3_T4_T5_mT6_P12ihipStream_tbENKUlT_T0_E_clISt17integral_constantIbLb0EESW_EEDaSR_SS_EUlSR_E0_NS1_11comp_targetILNS1_3genE10ELNS1_11target_archE1200ELNS1_3gpuE4ELNS1_3repE0EEENS1_30default_config_static_selectorELNS0_4arch9wavefront6targetE1EEEvT1_: ; @_ZN7rocprim17ROCPRIM_400000_NS6detail17trampoline_kernelINS0_14default_configENS1_20scan_config_selectorIfEEZZNS1_9scan_implILNS1_25lookback_scan_determinismE0ELb1ELb1ES3_N6thrust23THRUST_200600_302600_NS6detail15normal_iteratorINS9_10device_ptrIiEEEENSB_INSC_IfEEEEfNS9_4plusIvEEfEEDaPvRmT3_T4_T5_mT6_P12ihipStream_tbENKUlT_T0_E_clISt17integral_constantIbLb0EESW_EEDaSR_SS_EUlSR_E0_NS1_11comp_targetILNS1_3genE10ELNS1_11target_archE1200ELNS1_3gpuE4ELNS1_3repE0EEENS1_30default_config_static_selectorELNS0_4arch9wavefront6targetE1EEEvT1_
; %bb.0:
	.section	.rodata,"a",@progbits
	.p2align	6, 0x0
	.amdhsa_kernel _ZN7rocprim17ROCPRIM_400000_NS6detail17trampoline_kernelINS0_14default_configENS1_20scan_config_selectorIfEEZZNS1_9scan_implILNS1_25lookback_scan_determinismE0ELb1ELb1ES3_N6thrust23THRUST_200600_302600_NS6detail15normal_iteratorINS9_10device_ptrIiEEEENSB_INSC_IfEEEEfNS9_4plusIvEEfEEDaPvRmT3_T4_T5_mT6_P12ihipStream_tbENKUlT_T0_E_clISt17integral_constantIbLb0EESW_EEDaSR_SS_EUlSR_E0_NS1_11comp_targetILNS1_3genE10ELNS1_11target_archE1200ELNS1_3gpuE4ELNS1_3repE0EEENS1_30default_config_static_selectorELNS0_4arch9wavefront6targetE1EEEvT1_
		.amdhsa_group_segment_fixed_size 0
		.amdhsa_private_segment_fixed_size 0
		.amdhsa_kernarg_size 32
		.amdhsa_user_sgpr_count 6
		.amdhsa_user_sgpr_private_segment_buffer 1
		.amdhsa_user_sgpr_dispatch_ptr 0
		.amdhsa_user_sgpr_queue_ptr 0
		.amdhsa_user_sgpr_kernarg_segment_ptr 1
		.amdhsa_user_sgpr_dispatch_id 0
		.amdhsa_user_sgpr_flat_scratch_init 0
		.amdhsa_user_sgpr_kernarg_preload_length 0
		.amdhsa_user_sgpr_kernarg_preload_offset 0
		.amdhsa_user_sgpr_private_segment_size 0
		.amdhsa_uses_dynamic_stack 0
		.amdhsa_system_sgpr_private_segment_wavefront_offset 0
		.amdhsa_system_sgpr_workgroup_id_x 1
		.amdhsa_system_sgpr_workgroup_id_y 0
		.amdhsa_system_sgpr_workgroup_id_z 0
		.amdhsa_system_sgpr_workgroup_info 0
		.amdhsa_system_vgpr_workitem_id 0
		.amdhsa_next_free_vgpr 1
		.amdhsa_next_free_sgpr 0
		.amdhsa_accum_offset 4
		.amdhsa_reserve_vcc 0
		.amdhsa_reserve_flat_scratch 0
		.amdhsa_float_round_mode_32 0
		.amdhsa_float_round_mode_16_64 0
		.amdhsa_float_denorm_mode_32 3
		.amdhsa_float_denorm_mode_16_64 3
		.amdhsa_dx10_clamp 1
		.amdhsa_ieee_mode 1
		.amdhsa_fp16_overflow 0
		.amdhsa_tg_split 0
		.amdhsa_exception_fp_ieee_invalid_op 0
		.amdhsa_exception_fp_denorm_src 0
		.amdhsa_exception_fp_ieee_div_zero 0
		.amdhsa_exception_fp_ieee_overflow 0
		.amdhsa_exception_fp_ieee_underflow 0
		.amdhsa_exception_fp_ieee_inexact 0
		.amdhsa_exception_int_div_zero 0
	.end_amdhsa_kernel
	.section	.text._ZN7rocprim17ROCPRIM_400000_NS6detail17trampoline_kernelINS0_14default_configENS1_20scan_config_selectorIfEEZZNS1_9scan_implILNS1_25lookback_scan_determinismE0ELb1ELb1ES3_N6thrust23THRUST_200600_302600_NS6detail15normal_iteratorINS9_10device_ptrIiEEEENSB_INSC_IfEEEEfNS9_4plusIvEEfEEDaPvRmT3_T4_T5_mT6_P12ihipStream_tbENKUlT_T0_E_clISt17integral_constantIbLb0EESW_EEDaSR_SS_EUlSR_E0_NS1_11comp_targetILNS1_3genE10ELNS1_11target_archE1200ELNS1_3gpuE4ELNS1_3repE0EEENS1_30default_config_static_selectorELNS0_4arch9wavefront6targetE1EEEvT1_,"axG",@progbits,_ZN7rocprim17ROCPRIM_400000_NS6detail17trampoline_kernelINS0_14default_configENS1_20scan_config_selectorIfEEZZNS1_9scan_implILNS1_25lookback_scan_determinismE0ELb1ELb1ES3_N6thrust23THRUST_200600_302600_NS6detail15normal_iteratorINS9_10device_ptrIiEEEENSB_INSC_IfEEEEfNS9_4plusIvEEfEEDaPvRmT3_T4_T5_mT6_P12ihipStream_tbENKUlT_T0_E_clISt17integral_constantIbLb0EESW_EEDaSR_SS_EUlSR_E0_NS1_11comp_targetILNS1_3genE10ELNS1_11target_archE1200ELNS1_3gpuE4ELNS1_3repE0EEENS1_30default_config_static_selectorELNS0_4arch9wavefront6targetE1EEEvT1_,comdat
.Lfunc_end1729:
	.size	_ZN7rocprim17ROCPRIM_400000_NS6detail17trampoline_kernelINS0_14default_configENS1_20scan_config_selectorIfEEZZNS1_9scan_implILNS1_25lookback_scan_determinismE0ELb1ELb1ES3_N6thrust23THRUST_200600_302600_NS6detail15normal_iteratorINS9_10device_ptrIiEEEENSB_INSC_IfEEEEfNS9_4plusIvEEfEEDaPvRmT3_T4_T5_mT6_P12ihipStream_tbENKUlT_T0_E_clISt17integral_constantIbLb0EESW_EEDaSR_SS_EUlSR_E0_NS1_11comp_targetILNS1_3genE10ELNS1_11target_archE1200ELNS1_3gpuE4ELNS1_3repE0EEENS1_30default_config_static_selectorELNS0_4arch9wavefront6targetE1EEEvT1_, .Lfunc_end1729-_ZN7rocprim17ROCPRIM_400000_NS6detail17trampoline_kernelINS0_14default_configENS1_20scan_config_selectorIfEEZZNS1_9scan_implILNS1_25lookback_scan_determinismE0ELb1ELb1ES3_N6thrust23THRUST_200600_302600_NS6detail15normal_iteratorINS9_10device_ptrIiEEEENSB_INSC_IfEEEEfNS9_4plusIvEEfEEDaPvRmT3_T4_T5_mT6_P12ihipStream_tbENKUlT_T0_E_clISt17integral_constantIbLb0EESW_EEDaSR_SS_EUlSR_E0_NS1_11comp_targetILNS1_3genE10ELNS1_11target_archE1200ELNS1_3gpuE4ELNS1_3repE0EEENS1_30default_config_static_selectorELNS0_4arch9wavefront6targetE1EEEvT1_
                                        ; -- End function
	.section	.AMDGPU.csdata,"",@progbits
; Kernel info:
; codeLenInByte = 0
; NumSgprs: 4
; NumVgprs: 0
; NumAgprs: 0
; TotalNumVgprs: 0
; ScratchSize: 0
; MemoryBound: 0
; FloatMode: 240
; IeeeMode: 1
; LDSByteSize: 0 bytes/workgroup (compile time only)
; SGPRBlocks: 0
; VGPRBlocks: 0
; NumSGPRsForWavesPerEU: 4
; NumVGPRsForWavesPerEU: 1
; AccumOffset: 4
; Occupancy: 8
; WaveLimiterHint : 0
; COMPUTE_PGM_RSRC2:SCRATCH_EN: 0
; COMPUTE_PGM_RSRC2:USER_SGPR: 6
; COMPUTE_PGM_RSRC2:TRAP_HANDLER: 0
; COMPUTE_PGM_RSRC2:TGID_X_EN: 1
; COMPUTE_PGM_RSRC2:TGID_Y_EN: 0
; COMPUTE_PGM_RSRC2:TGID_Z_EN: 0
; COMPUTE_PGM_RSRC2:TIDIG_COMP_CNT: 0
; COMPUTE_PGM_RSRC3_GFX90A:ACCUM_OFFSET: 0
; COMPUTE_PGM_RSRC3_GFX90A:TG_SPLIT: 0
	.section	.text._ZN7rocprim17ROCPRIM_400000_NS6detail17trampoline_kernelINS0_14default_configENS1_20scan_config_selectorIfEEZZNS1_9scan_implILNS1_25lookback_scan_determinismE0ELb1ELb1ES3_N6thrust23THRUST_200600_302600_NS6detail15normal_iteratorINS9_10device_ptrIiEEEENSB_INSC_IfEEEEfNS9_4plusIvEEfEEDaPvRmT3_T4_T5_mT6_P12ihipStream_tbENKUlT_T0_E_clISt17integral_constantIbLb0EESW_EEDaSR_SS_EUlSR_E0_NS1_11comp_targetILNS1_3genE9ELNS1_11target_archE1100ELNS1_3gpuE3ELNS1_3repE0EEENS1_30default_config_static_selectorELNS0_4arch9wavefront6targetE1EEEvT1_,"axG",@progbits,_ZN7rocprim17ROCPRIM_400000_NS6detail17trampoline_kernelINS0_14default_configENS1_20scan_config_selectorIfEEZZNS1_9scan_implILNS1_25lookback_scan_determinismE0ELb1ELb1ES3_N6thrust23THRUST_200600_302600_NS6detail15normal_iteratorINS9_10device_ptrIiEEEENSB_INSC_IfEEEEfNS9_4plusIvEEfEEDaPvRmT3_T4_T5_mT6_P12ihipStream_tbENKUlT_T0_E_clISt17integral_constantIbLb0EESW_EEDaSR_SS_EUlSR_E0_NS1_11comp_targetILNS1_3genE9ELNS1_11target_archE1100ELNS1_3gpuE3ELNS1_3repE0EEENS1_30default_config_static_selectorELNS0_4arch9wavefront6targetE1EEEvT1_,comdat
	.protected	_ZN7rocprim17ROCPRIM_400000_NS6detail17trampoline_kernelINS0_14default_configENS1_20scan_config_selectorIfEEZZNS1_9scan_implILNS1_25lookback_scan_determinismE0ELb1ELb1ES3_N6thrust23THRUST_200600_302600_NS6detail15normal_iteratorINS9_10device_ptrIiEEEENSB_INSC_IfEEEEfNS9_4plusIvEEfEEDaPvRmT3_T4_T5_mT6_P12ihipStream_tbENKUlT_T0_E_clISt17integral_constantIbLb0EESW_EEDaSR_SS_EUlSR_E0_NS1_11comp_targetILNS1_3genE9ELNS1_11target_archE1100ELNS1_3gpuE3ELNS1_3repE0EEENS1_30default_config_static_selectorELNS0_4arch9wavefront6targetE1EEEvT1_ ; -- Begin function _ZN7rocprim17ROCPRIM_400000_NS6detail17trampoline_kernelINS0_14default_configENS1_20scan_config_selectorIfEEZZNS1_9scan_implILNS1_25lookback_scan_determinismE0ELb1ELb1ES3_N6thrust23THRUST_200600_302600_NS6detail15normal_iteratorINS9_10device_ptrIiEEEENSB_INSC_IfEEEEfNS9_4plusIvEEfEEDaPvRmT3_T4_T5_mT6_P12ihipStream_tbENKUlT_T0_E_clISt17integral_constantIbLb0EESW_EEDaSR_SS_EUlSR_E0_NS1_11comp_targetILNS1_3genE9ELNS1_11target_archE1100ELNS1_3gpuE3ELNS1_3repE0EEENS1_30default_config_static_selectorELNS0_4arch9wavefront6targetE1EEEvT1_
	.globl	_ZN7rocprim17ROCPRIM_400000_NS6detail17trampoline_kernelINS0_14default_configENS1_20scan_config_selectorIfEEZZNS1_9scan_implILNS1_25lookback_scan_determinismE0ELb1ELb1ES3_N6thrust23THRUST_200600_302600_NS6detail15normal_iteratorINS9_10device_ptrIiEEEENSB_INSC_IfEEEEfNS9_4plusIvEEfEEDaPvRmT3_T4_T5_mT6_P12ihipStream_tbENKUlT_T0_E_clISt17integral_constantIbLb0EESW_EEDaSR_SS_EUlSR_E0_NS1_11comp_targetILNS1_3genE9ELNS1_11target_archE1100ELNS1_3gpuE3ELNS1_3repE0EEENS1_30default_config_static_selectorELNS0_4arch9wavefront6targetE1EEEvT1_
	.p2align	8
	.type	_ZN7rocprim17ROCPRIM_400000_NS6detail17trampoline_kernelINS0_14default_configENS1_20scan_config_selectorIfEEZZNS1_9scan_implILNS1_25lookback_scan_determinismE0ELb1ELb1ES3_N6thrust23THRUST_200600_302600_NS6detail15normal_iteratorINS9_10device_ptrIiEEEENSB_INSC_IfEEEEfNS9_4plusIvEEfEEDaPvRmT3_T4_T5_mT6_P12ihipStream_tbENKUlT_T0_E_clISt17integral_constantIbLb0EESW_EEDaSR_SS_EUlSR_E0_NS1_11comp_targetILNS1_3genE9ELNS1_11target_archE1100ELNS1_3gpuE3ELNS1_3repE0EEENS1_30default_config_static_selectorELNS0_4arch9wavefront6targetE1EEEvT1_,@function
_ZN7rocprim17ROCPRIM_400000_NS6detail17trampoline_kernelINS0_14default_configENS1_20scan_config_selectorIfEEZZNS1_9scan_implILNS1_25lookback_scan_determinismE0ELb1ELb1ES3_N6thrust23THRUST_200600_302600_NS6detail15normal_iteratorINS9_10device_ptrIiEEEENSB_INSC_IfEEEEfNS9_4plusIvEEfEEDaPvRmT3_T4_T5_mT6_P12ihipStream_tbENKUlT_T0_E_clISt17integral_constantIbLb0EESW_EEDaSR_SS_EUlSR_E0_NS1_11comp_targetILNS1_3genE9ELNS1_11target_archE1100ELNS1_3gpuE3ELNS1_3repE0EEENS1_30default_config_static_selectorELNS0_4arch9wavefront6targetE1EEEvT1_: ; @_ZN7rocprim17ROCPRIM_400000_NS6detail17trampoline_kernelINS0_14default_configENS1_20scan_config_selectorIfEEZZNS1_9scan_implILNS1_25lookback_scan_determinismE0ELb1ELb1ES3_N6thrust23THRUST_200600_302600_NS6detail15normal_iteratorINS9_10device_ptrIiEEEENSB_INSC_IfEEEEfNS9_4plusIvEEfEEDaPvRmT3_T4_T5_mT6_P12ihipStream_tbENKUlT_T0_E_clISt17integral_constantIbLb0EESW_EEDaSR_SS_EUlSR_E0_NS1_11comp_targetILNS1_3genE9ELNS1_11target_archE1100ELNS1_3gpuE3ELNS1_3repE0EEENS1_30default_config_static_selectorELNS0_4arch9wavefront6targetE1EEEvT1_
; %bb.0:
	.section	.rodata,"a",@progbits
	.p2align	6, 0x0
	.amdhsa_kernel _ZN7rocprim17ROCPRIM_400000_NS6detail17trampoline_kernelINS0_14default_configENS1_20scan_config_selectorIfEEZZNS1_9scan_implILNS1_25lookback_scan_determinismE0ELb1ELb1ES3_N6thrust23THRUST_200600_302600_NS6detail15normal_iteratorINS9_10device_ptrIiEEEENSB_INSC_IfEEEEfNS9_4plusIvEEfEEDaPvRmT3_T4_T5_mT6_P12ihipStream_tbENKUlT_T0_E_clISt17integral_constantIbLb0EESW_EEDaSR_SS_EUlSR_E0_NS1_11comp_targetILNS1_3genE9ELNS1_11target_archE1100ELNS1_3gpuE3ELNS1_3repE0EEENS1_30default_config_static_selectorELNS0_4arch9wavefront6targetE1EEEvT1_
		.amdhsa_group_segment_fixed_size 0
		.amdhsa_private_segment_fixed_size 0
		.amdhsa_kernarg_size 32
		.amdhsa_user_sgpr_count 6
		.amdhsa_user_sgpr_private_segment_buffer 1
		.amdhsa_user_sgpr_dispatch_ptr 0
		.amdhsa_user_sgpr_queue_ptr 0
		.amdhsa_user_sgpr_kernarg_segment_ptr 1
		.amdhsa_user_sgpr_dispatch_id 0
		.amdhsa_user_sgpr_flat_scratch_init 0
		.amdhsa_user_sgpr_kernarg_preload_length 0
		.amdhsa_user_sgpr_kernarg_preload_offset 0
		.amdhsa_user_sgpr_private_segment_size 0
		.amdhsa_uses_dynamic_stack 0
		.amdhsa_system_sgpr_private_segment_wavefront_offset 0
		.amdhsa_system_sgpr_workgroup_id_x 1
		.amdhsa_system_sgpr_workgroup_id_y 0
		.amdhsa_system_sgpr_workgroup_id_z 0
		.amdhsa_system_sgpr_workgroup_info 0
		.amdhsa_system_vgpr_workitem_id 0
		.amdhsa_next_free_vgpr 1
		.amdhsa_next_free_sgpr 0
		.amdhsa_accum_offset 4
		.amdhsa_reserve_vcc 0
		.amdhsa_reserve_flat_scratch 0
		.amdhsa_float_round_mode_32 0
		.amdhsa_float_round_mode_16_64 0
		.amdhsa_float_denorm_mode_32 3
		.amdhsa_float_denorm_mode_16_64 3
		.amdhsa_dx10_clamp 1
		.amdhsa_ieee_mode 1
		.amdhsa_fp16_overflow 0
		.amdhsa_tg_split 0
		.amdhsa_exception_fp_ieee_invalid_op 0
		.amdhsa_exception_fp_denorm_src 0
		.amdhsa_exception_fp_ieee_div_zero 0
		.amdhsa_exception_fp_ieee_overflow 0
		.amdhsa_exception_fp_ieee_underflow 0
		.amdhsa_exception_fp_ieee_inexact 0
		.amdhsa_exception_int_div_zero 0
	.end_amdhsa_kernel
	.section	.text._ZN7rocprim17ROCPRIM_400000_NS6detail17trampoline_kernelINS0_14default_configENS1_20scan_config_selectorIfEEZZNS1_9scan_implILNS1_25lookback_scan_determinismE0ELb1ELb1ES3_N6thrust23THRUST_200600_302600_NS6detail15normal_iteratorINS9_10device_ptrIiEEEENSB_INSC_IfEEEEfNS9_4plusIvEEfEEDaPvRmT3_T4_T5_mT6_P12ihipStream_tbENKUlT_T0_E_clISt17integral_constantIbLb0EESW_EEDaSR_SS_EUlSR_E0_NS1_11comp_targetILNS1_3genE9ELNS1_11target_archE1100ELNS1_3gpuE3ELNS1_3repE0EEENS1_30default_config_static_selectorELNS0_4arch9wavefront6targetE1EEEvT1_,"axG",@progbits,_ZN7rocprim17ROCPRIM_400000_NS6detail17trampoline_kernelINS0_14default_configENS1_20scan_config_selectorIfEEZZNS1_9scan_implILNS1_25lookback_scan_determinismE0ELb1ELb1ES3_N6thrust23THRUST_200600_302600_NS6detail15normal_iteratorINS9_10device_ptrIiEEEENSB_INSC_IfEEEEfNS9_4plusIvEEfEEDaPvRmT3_T4_T5_mT6_P12ihipStream_tbENKUlT_T0_E_clISt17integral_constantIbLb0EESW_EEDaSR_SS_EUlSR_E0_NS1_11comp_targetILNS1_3genE9ELNS1_11target_archE1100ELNS1_3gpuE3ELNS1_3repE0EEENS1_30default_config_static_selectorELNS0_4arch9wavefront6targetE1EEEvT1_,comdat
.Lfunc_end1730:
	.size	_ZN7rocprim17ROCPRIM_400000_NS6detail17trampoline_kernelINS0_14default_configENS1_20scan_config_selectorIfEEZZNS1_9scan_implILNS1_25lookback_scan_determinismE0ELb1ELb1ES3_N6thrust23THRUST_200600_302600_NS6detail15normal_iteratorINS9_10device_ptrIiEEEENSB_INSC_IfEEEEfNS9_4plusIvEEfEEDaPvRmT3_T4_T5_mT6_P12ihipStream_tbENKUlT_T0_E_clISt17integral_constantIbLb0EESW_EEDaSR_SS_EUlSR_E0_NS1_11comp_targetILNS1_3genE9ELNS1_11target_archE1100ELNS1_3gpuE3ELNS1_3repE0EEENS1_30default_config_static_selectorELNS0_4arch9wavefront6targetE1EEEvT1_, .Lfunc_end1730-_ZN7rocprim17ROCPRIM_400000_NS6detail17trampoline_kernelINS0_14default_configENS1_20scan_config_selectorIfEEZZNS1_9scan_implILNS1_25lookback_scan_determinismE0ELb1ELb1ES3_N6thrust23THRUST_200600_302600_NS6detail15normal_iteratorINS9_10device_ptrIiEEEENSB_INSC_IfEEEEfNS9_4plusIvEEfEEDaPvRmT3_T4_T5_mT6_P12ihipStream_tbENKUlT_T0_E_clISt17integral_constantIbLb0EESW_EEDaSR_SS_EUlSR_E0_NS1_11comp_targetILNS1_3genE9ELNS1_11target_archE1100ELNS1_3gpuE3ELNS1_3repE0EEENS1_30default_config_static_selectorELNS0_4arch9wavefront6targetE1EEEvT1_
                                        ; -- End function
	.section	.AMDGPU.csdata,"",@progbits
; Kernel info:
; codeLenInByte = 0
; NumSgprs: 4
; NumVgprs: 0
; NumAgprs: 0
; TotalNumVgprs: 0
; ScratchSize: 0
; MemoryBound: 0
; FloatMode: 240
; IeeeMode: 1
; LDSByteSize: 0 bytes/workgroup (compile time only)
; SGPRBlocks: 0
; VGPRBlocks: 0
; NumSGPRsForWavesPerEU: 4
; NumVGPRsForWavesPerEU: 1
; AccumOffset: 4
; Occupancy: 8
; WaveLimiterHint : 0
; COMPUTE_PGM_RSRC2:SCRATCH_EN: 0
; COMPUTE_PGM_RSRC2:USER_SGPR: 6
; COMPUTE_PGM_RSRC2:TRAP_HANDLER: 0
; COMPUTE_PGM_RSRC2:TGID_X_EN: 1
; COMPUTE_PGM_RSRC2:TGID_Y_EN: 0
; COMPUTE_PGM_RSRC2:TGID_Z_EN: 0
; COMPUTE_PGM_RSRC2:TIDIG_COMP_CNT: 0
; COMPUTE_PGM_RSRC3_GFX90A:ACCUM_OFFSET: 0
; COMPUTE_PGM_RSRC3_GFX90A:TG_SPLIT: 0
	.section	.text._ZN7rocprim17ROCPRIM_400000_NS6detail17trampoline_kernelINS0_14default_configENS1_20scan_config_selectorIfEEZZNS1_9scan_implILNS1_25lookback_scan_determinismE0ELb1ELb1ES3_N6thrust23THRUST_200600_302600_NS6detail15normal_iteratorINS9_10device_ptrIiEEEENSB_INSC_IfEEEEfNS9_4plusIvEEfEEDaPvRmT3_T4_T5_mT6_P12ihipStream_tbENKUlT_T0_E_clISt17integral_constantIbLb0EESW_EEDaSR_SS_EUlSR_E0_NS1_11comp_targetILNS1_3genE8ELNS1_11target_archE1030ELNS1_3gpuE2ELNS1_3repE0EEENS1_30default_config_static_selectorELNS0_4arch9wavefront6targetE1EEEvT1_,"axG",@progbits,_ZN7rocprim17ROCPRIM_400000_NS6detail17trampoline_kernelINS0_14default_configENS1_20scan_config_selectorIfEEZZNS1_9scan_implILNS1_25lookback_scan_determinismE0ELb1ELb1ES3_N6thrust23THRUST_200600_302600_NS6detail15normal_iteratorINS9_10device_ptrIiEEEENSB_INSC_IfEEEEfNS9_4plusIvEEfEEDaPvRmT3_T4_T5_mT6_P12ihipStream_tbENKUlT_T0_E_clISt17integral_constantIbLb0EESW_EEDaSR_SS_EUlSR_E0_NS1_11comp_targetILNS1_3genE8ELNS1_11target_archE1030ELNS1_3gpuE2ELNS1_3repE0EEENS1_30default_config_static_selectorELNS0_4arch9wavefront6targetE1EEEvT1_,comdat
	.protected	_ZN7rocprim17ROCPRIM_400000_NS6detail17trampoline_kernelINS0_14default_configENS1_20scan_config_selectorIfEEZZNS1_9scan_implILNS1_25lookback_scan_determinismE0ELb1ELb1ES3_N6thrust23THRUST_200600_302600_NS6detail15normal_iteratorINS9_10device_ptrIiEEEENSB_INSC_IfEEEEfNS9_4plusIvEEfEEDaPvRmT3_T4_T5_mT6_P12ihipStream_tbENKUlT_T0_E_clISt17integral_constantIbLb0EESW_EEDaSR_SS_EUlSR_E0_NS1_11comp_targetILNS1_3genE8ELNS1_11target_archE1030ELNS1_3gpuE2ELNS1_3repE0EEENS1_30default_config_static_selectorELNS0_4arch9wavefront6targetE1EEEvT1_ ; -- Begin function _ZN7rocprim17ROCPRIM_400000_NS6detail17trampoline_kernelINS0_14default_configENS1_20scan_config_selectorIfEEZZNS1_9scan_implILNS1_25lookback_scan_determinismE0ELb1ELb1ES3_N6thrust23THRUST_200600_302600_NS6detail15normal_iteratorINS9_10device_ptrIiEEEENSB_INSC_IfEEEEfNS9_4plusIvEEfEEDaPvRmT3_T4_T5_mT6_P12ihipStream_tbENKUlT_T0_E_clISt17integral_constantIbLb0EESW_EEDaSR_SS_EUlSR_E0_NS1_11comp_targetILNS1_3genE8ELNS1_11target_archE1030ELNS1_3gpuE2ELNS1_3repE0EEENS1_30default_config_static_selectorELNS0_4arch9wavefront6targetE1EEEvT1_
	.globl	_ZN7rocprim17ROCPRIM_400000_NS6detail17trampoline_kernelINS0_14default_configENS1_20scan_config_selectorIfEEZZNS1_9scan_implILNS1_25lookback_scan_determinismE0ELb1ELb1ES3_N6thrust23THRUST_200600_302600_NS6detail15normal_iteratorINS9_10device_ptrIiEEEENSB_INSC_IfEEEEfNS9_4plusIvEEfEEDaPvRmT3_T4_T5_mT6_P12ihipStream_tbENKUlT_T0_E_clISt17integral_constantIbLb0EESW_EEDaSR_SS_EUlSR_E0_NS1_11comp_targetILNS1_3genE8ELNS1_11target_archE1030ELNS1_3gpuE2ELNS1_3repE0EEENS1_30default_config_static_selectorELNS0_4arch9wavefront6targetE1EEEvT1_
	.p2align	8
	.type	_ZN7rocprim17ROCPRIM_400000_NS6detail17trampoline_kernelINS0_14default_configENS1_20scan_config_selectorIfEEZZNS1_9scan_implILNS1_25lookback_scan_determinismE0ELb1ELb1ES3_N6thrust23THRUST_200600_302600_NS6detail15normal_iteratorINS9_10device_ptrIiEEEENSB_INSC_IfEEEEfNS9_4plusIvEEfEEDaPvRmT3_T4_T5_mT6_P12ihipStream_tbENKUlT_T0_E_clISt17integral_constantIbLb0EESW_EEDaSR_SS_EUlSR_E0_NS1_11comp_targetILNS1_3genE8ELNS1_11target_archE1030ELNS1_3gpuE2ELNS1_3repE0EEENS1_30default_config_static_selectorELNS0_4arch9wavefront6targetE1EEEvT1_,@function
_ZN7rocprim17ROCPRIM_400000_NS6detail17trampoline_kernelINS0_14default_configENS1_20scan_config_selectorIfEEZZNS1_9scan_implILNS1_25lookback_scan_determinismE0ELb1ELb1ES3_N6thrust23THRUST_200600_302600_NS6detail15normal_iteratorINS9_10device_ptrIiEEEENSB_INSC_IfEEEEfNS9_4plusIvEEfEEDaPvRmT3_T4_T5_mT6_P12ihipStream_tbENKUlT_T0_E_clISt17integral_constantIbLb0EESW_EEDaSR_SS_EUlSR_E0_NS1_11comp_targetILNS1_3genE8ELNS1_11target_archE1030ELNS1_3gpuE2ELNS1_3repE0EEENS1_30default_config_static_selectorELNS0_4arch9wavefront6targetE1EEEvT1_: ; @_ZN7rocprim17ROCPRIM_400000_NS6detail17trampoline_kernelINS0_14default_configENS1_20scan_config_selectorIfEEZZNS1_9scan_implILNS1_25lookback_scan_determinismE0ELb1ELb1ES3_N6thrust23THRUST_200600_302600_NS6detail15normal_iteratorINS9_10device_ptrIiEEEENSB_INSC_IfEEEEfNS9_4plusIvEEfEEDaPvRmT3_T4_T5_mT6_P12ihipStream_tbENKUlT_T0_E_clISt17integral_constantIbLb0EESW_EEDaSR_SS_EUlSR_E0_NS1_11comp_targetILNS1_3genE8ELNS1_11target_archE1030ELNS1_3gpuE2ELNS1_3repE0EEENS1_30default_config_static_selectorELNS0_4arch9wavefront6targetE1EEEvT1_
; %bb.0:
	.section	.rodata,"a",@progbits
	.p2align	6, 0x0
	.amdhsa_kernel _ZN7rocprim17ROCPRIM_400000_NS6detail17trampoline_kernelINS0_14default_configENS1_20scan_config_selectorIfEEZZNS1_9scan_implILNS1_25lookback_scan_determinismE0ELb1ELb1ES3_N6thrust23THRUST_200600_302600_NS6detail15normal_iteratorINS9_10device_ptrIiEEEENSB_INSC_IfEEEEfNS9_4plusIvEEfEEDaPvRmT3_T4_T5_mT6_P12ihipStream_tbENKUlT_T0_E_clISt17integral_constantIbLb0EESW_EEDaSR_SS_EUlSR_E0_NS1_11comp_targetILNS1_3genE8ELNS1_11target_archE1030ELNS1_3gpuE2ELNS1_3repE0EEENS1_30default_config_static_selectorELNS0_4arch9wavefront6targetE1EEEvT1_
		.amdhsa_group_segment_fixed_size 0
		.amdhsa_private_segment_fixed_size 0
		.amdhsa_kernarg_size 32
		.amdhsa_user_sgpr_count 6
		.amdhsa_user_sgpr_private_segment_buffer 1
		.amdhsa_user_sgpr_dispatch_ptr 0
		.amdhsa_user_sgpr_queue_ptr 0
		.amdhsa_user_sgpr_kernarg_segment_ptr 1
		.amdhsa_user_sgpr_dispatch_id 0
		.amdhsa_user_sgpr_flat_scratch_init 0
		.amdhsa_user_sgpr_kernarg_preload_length 0
		.amdhsa_user_sgpr_kernarg_preload_offset 0
		.amdhsa_user_sgpr_private_segment_size 0
		.amdhsa_uses_dynamic_stack 0
		.amdhsa_system_sgpr_private_segment_wavefront_offset 0
		.amdhsa_system_sgpr_workgroup_id_x 1
		.amdhsa_system_sgpr_workgroup_id_y 0
		.amdhsa_system_sgpr_workgroup_id_z 0
		.amdhsa_system_sgpr_workgroup_info 0
		.amdhsa_system_vgpr_workitem_id 0
		.amdhsa_next_free_vgpr 1
		.amdhsa_next_free_sgpr 0
		.amdhsa_accum_offset 4
		.amdhsa_reserve_vcc 0
		.amdhsa_reserve_flat_scratch 0
		.amdhsa_float_round_mode_32 0
		.amdhsa_float_round_mode_16_64 0
		.amdhsa_float_denorm_mode_32 3
		.amdhsa_float_denorm_mode_16_64 3
		.amdhsa_dx10_clamp 1
		.amdhsa_ieee_mode 1
		.amdhsa_fp16_overflow 0
		.amdhsa_tg_split 0
		.amdhsa_exception_fp_ieee_invalid_op 0
		.amdhsa_exception_fp_denorm_src 0
		.amdhsa_exception_fp_ieee_div_zero 0
		.amdhsa_exception_fp_ieee_overflow 0
		.amdhsa_exception_fp_ieee_underflow 0
		.amdhsa_exception_fp_ieee_inexact 0
		.amdhsa_exception_int_div_zero 0
	.end_amdhsa_kernel
	.section	.text._ZN7rocprim17ROCPRIM_400000_NS6detail17trampoline_kernelINS0_14default_configENS1_20scan_config_selectorIfEEZZNS1_9scan_implILNS1_25lookback_scan_determinismE0ELb1ELb1ES3_N6thrust23THRUST_200600_302600_NS6detail15normal_iteratorINS9_10device_ptrIiEEEENSB_INSC_IfEEEEfNS9_4plusIvEEfEEDaPvRmT3_T4_T5_mT6_P12ihipStream_tbENKUlT_T0_E_clISt17integral_constantIbLb0EESW_EEDaSR_SS_EUlSR_E0_NS1_11comp_targetILNS1_3genE8ELNS1_11target_archE1030ELNS1_3gpuE2ELNS1_3repE0EEENS1_30default_config_static_selectorELNS0_4arch9wavefront6targetE1EEEvT1_,"axG",@progbits,_ZN7rocprim17ROCPRIM_400000_NS6detail17trampoline_kernelINS0_14default_configENS1_20scan_config_selectorIfEEZZNS1_9scan_implILNS1_25lookback_scan_determinismE0ELb1ELb1ES3_N6thrust23THRUST_200600_302600_NS6detail15normal_iteratorINS9_10device_ptrIiEEEENSB_INSC_IfEEEEfNS9_4plusIvEEfEEDaPvRmT3_T4_T5_mT6_P12ihipStream_tbENKUlT_T0_E_clISt17integral_constantIbLb0EESW_EEDaSR_SS_EUlSR_E0_NS1_11comp_targetILNS1_3genE8ELNS1_11target_archE1030ELNS1_3gpuE2ELNS1_3repE0EEENS1_30default_config_static_selectorELNS0_4arch9wavefront6targetE1EEEvT1_,comdat
.Lfunc_end1731:
	.size	_ZN7rocprim17ROCPRIM_400000_NS6detail17trampoline_kernelINS0_14default_configENS1_20scan_config_selectorIfEEZZNS1_9scan_implILNS1_25lookback_scan_determinismE0ELb1ELb1ES3_N6thrust23THRUST_200600_302600_NS6detail15normal_iteratorINS9_10device_ptrIiEEEENSB_INSC_IfEEEEfNS9_4plusIvEEfEEDaPvRmT3_T4_T5_mT6_P12ihipStream_tbENKUlT_T0_E_clISt17integral_constantIbLb0EESW_EEDaSR_SS_EUlSR_E0_NS1_11comp_targetILNS1_3genE8ELNS1_11target_archE1030ELNS1_3gpuE2ELNS1_3repE0EEENS1_30default_config_static_selectorELNS0_4arch9wavefront6targetE1EEEvT1_, .Lfunc_end1731-_ZN7rocprim17ROCPRIM_400000_NS6detail17trampoline_kernelINS0_14default_configENS1_20scan_config_selectorIfEEZZNS1_9scan_implILNS1_25lookback_scan_determinismE0ELb1ELb1ES3_N6thrust23THRUST_200600_302600_NS6detail15normal_iteratorINS9_10device_ptrIiEEEENSB_INSC_IfEEEEfNS9_4plusIvEEfEEDaPvRmT3_T4_T5_mT6_P12ihipStream_tbENKUlT_T0_E_clISt17integral_constantIbLb0EESW_EEDaSR_SS_EUlSR_E0_NS1_11comp_targetILNS1_3genE8ELNS1_11target_archE1030ELNS1_3gpuE2ELNS1_3repE0EEENS1_30default_config_static_selectorELNS0_4arch9wavefront6targetE1EEEvT1_
                                        ; -- End function
	.section	.AMDGPU.csdata,"",@progbits
; Kernel info:
; codeLenInByte = 0
; NumSgprs: 4
; NumVgprs: 0
; NumAgprs: 0
; TotalNumVgprs: 0
; ScratchSize: 0
; MemoryBound: 0
; FloatMode: 240
; IeeeMode: 1
; LDSByteSize: 0 bytes/workgroup (compile time only)
; SGPRBlocks: 0
; VGPRBlocks: 0
; NumSGPRsForWavesPerEU: 4
; NumVGPRsForWavesPerEU: 1
; AccumOffset: 4
; Occupancy: 8
; WaveLimiterHint : 0
; COMPUTE_PGM_RSRC2:SCRATCH_EN: 0
; COMPUTE_PGM_RSRC2:USER_SGPR: 6
; COMPUTE_PGM_RSRC2:TRAP_HANDLER: 0
; COMPUTE_PGM_RSRC2:TGID_X_EN: 1
; COMPUTE_PGM_RSRC2:TGID_Y_EN: 0
; COMPUTE_PGM_RSRC2:TGID_Z_EN: 0
; COMPUTE_PGM_RSRC2:TIDIG_COMP_CNT: 0
; COMPUTE_PGM_RSRC3_GFX90A:ACCUM_OFFSET: 0
; COMPUTE_PGM_RSRC3_GFX90A:TG_SPLIT: 0
	.section	.text._ZN7rocprim17ROCPRIM_400000_NS6detail17trampoline_kernelINS0_14default_configENS1_20scan_config_selectorIfEEZZNS1_9scan_implILNS1_25lookback_scan_determinismE0ELb1ELb1ES3_N6thrust23THRUST_200600_302600_NS6detail15normal_iteratorINS9_10device_ptrIiEEEENSB_INSC_IfEEEEfNS9_4plusIvEEfEEDaPvRmT3_T4_T5_mT6_P12ihipStream_tbENKUlT_T0_E_clISt17integral_constantIbLb1EESW_EEDaSR_SS_EUlSR_E_NS1_11comp_targetILNS1_3genE0ELNS1_11target_archE4294967295ELNS1_3gpuE0ELNS1_3repE0EEENS1_30default_config_static_selectorELNS0_4arch9wavefront6targetE1EEEvT1_,"axG",@progbits,_ZN7rocprim17ROCPRIM_400000_NS6detail17trampoline_kernelINS0_14default_configENS1_20scan_config_selectorIfEEZZNS1_9scan_implILNS1_25lookback_scan_determinismE0ELb1ELb1ES3_N6thrust23THRUST_200600_302600_NS6detail15normal_iteratorINS9_10device_ptrIiEEEENSB_INSC_IfEEEEfNS9_4plusIvEEfEEDaPvRmT3_T4_T5_mT6_P12ihipStream_tbENKUlT_T0_E_clISt17integral_constantIbLb1EESW_EEDaSR_SS_EUlSR_E_NS1_11comp_targetILNS1_3genE0ELNS1_11target_archE4294967295ELNS1_3gpuE0ELNS1_3repE0EEENS1_30default_config_static_selectorELNS0_4arch9wavefront6targetE1EEEvT1_,comdat
	.protected	_ZN7rocprim17ROCPRIM_400000_NS6detail17trampoline_kernelINS0_14default_configENS1_20scan_config_selectorIfEEZZNS1_9scan_implILNS1_25lookback_scan_determinismE0ELb1ELb1ES3_N6thrust23THRUST_200600_302600_NS6detail15normal_iteratorINS9_10device_ptrIiEEEENSB_INSC_IfEEEEfNS9_4plusIvEEfEEDaPvRmT3_T4_T5_mT6_P12ihipStream_tbENKUlT_T0_E_clISt17integral_constantIbLb1EESW_EEDaSR_SS_EUlSR_E_NS1_11comp_targetILNS1_3genE0ELNS1_11target_archE4294967295ELNS1_3gpuE0ELNS1_3repE0EEENS1_30default_config_static_selectorELNS0_4arch9wavefront6targetE1EEEvT1_ ; -- Begin function _ZN7rocprim17ROCPRIM_400000_NS6detail17trampoline_kernelINS0_14default_configENS1_20scan_config_selectorIfEEZZNS1_9scan_implILNS1_25lookback_scan_determinismE0ELb1ELb1ES3_N6thrust23THRUST_200600_302600_NS6detail15normal_iteratorINS9_10device_ptrIiEEEENSB_INSC_IfEEEEfNS9_4plusIvEEfEEDaPvRmT3_T4_T5_mT6_P12ihipStream_tbENKUlT_T0_E_clISt17integral_constantIbLb1EESW_EEDaSR_SS_EUlSR_E_NS1_11comp_targetILNS1_3genE0ELNS1_11target_archE4294967295ELNS1_3gpuE0ELNS1_3repE0EEENS1_30default_config_static_selectorELNS0_4arch9wavefront6targetE1EEEvT1_
	.globl	_ZN7rocprim17ROCPRIM_400000_NS6detail17trampoline_kernelINS0_14default_configENS1_20scan_config_selectorIfEEZZNS1_9scan_implILNS1_25lookback_scan_determinismE0ELb1ELb1ES3_N6thrust23THRUST_200600_302600_NS6detail15normal_iteratorINS9_10device_ptrIiEEEENSB_INSC_IfEEEEfNS9_4plusIvEEfEEDaPvRmT3_T4_T5_mT6_P12ihipStream_tbENKUlT_T0_E_clISt17integral_constantIbLb1EESW_EEDaSR_SS_EUlSR_E_NS1_11comp_targetILNS1_3genE0ELNS1_11target_archE4294967295ELNS1_3gpuE0ELNS1_3repE0EEENS1_30default_config_static_selectorELNS0_4arch9wavefront6targetE1EEEvT1_
	.p2align	8
	.type	_ZN7rocprim17ROCPRIM_400000_NS6detail17trampoline_kernelINS0_14default_configENS1_20scan_config_selectorIfEEZZNS1_9scan_implILNS1_25lookback_scan_determinismE0ELb1ELb1ES3_N6thrust23THRUST_200600_302600_NS6detail15normal_iteratorINS9_10device_ptrIiEEEENSB_INSC_IfEEEEfNS9_4plusIvEEfEEDaPvRmT3_T4_T5_mT6_P12ihipStream_tbENKUlT_T0_E_clISt17integral_constantIbLb1EESW_EEDaSR_SS_EUlSR_E_NS1_11comp_targetILNS1_3genE0ELNS1_11target_archE4294967295ELNS1_3gpuE0ELNS1_3repE0EEENS1_30default_config_static_selectorELNS0_4arch9wavefront6targetE1EEEvT1_,@function
_ZN7rocprim17ROCPRIM_400000_NS6detail17trampoline_kernelINS0_14default_configENS1_20scan_config_selectorIfEEZZNS1_9scan_implILNS1_25lookback_scan_determinismE0ELb1ELb1ES3_N6thrust23THRUST_200600_302600_NS6detail15normal_iteratorINS9_10device_ptrIiEEEENSB_INSC_IfEEEEfNS9_4plusIvEEfEEDaPvRmT3_T4_T5_mT6_P12ihipStream_tbENKUlT_T0_E_clISt17integral_constantIbLb1EESW_EEDaSR_SS_EUlSR_E_NS1_11comp_targetILNS1_3genE0ELNS1_11target_archE4294967295ELNS1_3gpuE0ELNS1_3repE0EEENS1_30default_config_static_selectorELNS0_4arch9wavefront6targetE1EEEvT1_: ; @_ZN7rocprim17ROCPRIM_400000_NS6detail17trampoline_kernelINS0_14default_configENS1_20scan_config_selectorIfEEZZNS1_9scan_implILNS1_25lookback_scan_determinismE0ELb1ELb1ES3_N6thrust23THRUST_200600_302600_NS6detail15normal_iteratorINS9_10device_ptrIiEEEENSB_INSC_IfEEEEfNS9_4plusIvEEfEEDaPvRmT3_T4_T5_mT6_P12ihipStream_tbENKUlT_T0_E_clISt17integral_constantIbLb1EESW_EEDaSR_SS_EUlSR_E_NS1_11comp_targetILNS1_3genE0ELNS1_11target_archE4294967295ELNS1_3gpuE0ELNS1_3repE0EEENS1_30default_config_static_selectorELNS0_4arch9wavefront6targetE1EEEvT1_
; %bb.0:
	.section	.rodata,"a",@progbits
	.p2align	6, 0x0
	.amdhsa_kernel _ZN7rocprim17ROCPRIM_400000_NS6detail17trampoline_kernelINS0_14default_configENS1_20scan_config_selectorIfEEZZNS1_9scan_implILNS1_25lookback_scan_determinismE0ELb1ELb1ES3_N6thrust23THRUST_200600_302600_NS6detail15normal_iteratorINS9_10device_ptrIiEEEENSB_INSC_IfEEEEfNS9_4plusIvEEfEEDaPvRmT3_T4_T5_mT6_P12ihipStream_tbENKUlT_T0_E_clISt17integral_constantIbLb1EESW_EEDaSR_SS_EUlSR_E_NS1_11comp_targetILNS1_3genE0ELNS1_11target_archE4294967295ELNS1_3gpuE0ELNS1_3repE0EEENS1_30default_config_static_selectorELNS0_4arch9wavefront6targetE1EEEvT1_
		.amdhsa_group_segment_fixed_size 0
		.amdhsa_private_segment_fixed_size 0
		.amdhsa_kernarg_size 96
		.amdhsa_user_sgpr_count 6
		.amdhsa_user_sgpr_private_segment_buffer 1
		.amdhsa_user_sgpr_dispatch_ptr 0
		.amdhsa_user_sgpr_queue_ptr 0
		.amdhsa_user_sgpr_kernarg_segment_ptr 1
		.amdhsa_user_sgpr_dispatch_id 0
		.amdhsa_user_sgpr_flat_scratch_init 0
		.amdhsa_user_sgpr_kernarg_preload_length 0
		.amdhsa_user_sgpr_kernarg_preload_offset 0
		.amdhsa_user_sgpr_private_segment_size 0
		.amdhsa_uses_dynamic_stack 0
		.amdhsa_system_sgpr_private_segment_wavefront_offset 0
		.amdhsa_system_sgpr_workgroup_id_x 1
		.amdhsa_system_sgpr_workgroup_id_y 0
		.amdhsa_system_sgpr_workgroup_id_z 0
		.amdhsa_system_sgpr_workgroup_info 0
		.amdhsa_system_vgpr_workitem_id 0
		.amdhsa_next_free_vgpr 1
		.amdhsa_next_free_sgpr 0
		.amdhsa_accum_offset 4
		.amdhsa_reserve_vcc 0
		.amdhsa_reserve_flat_scratch 0
		.amdhsa_float_round_mode_32 0
		.amdhsa_float_round_mode_16_64 0
		.amdhsa_float_denorm_mode_32 3
		.amdhsa_float_denorm_mode_16_64 3
		.amdhsa_dx10_clamp 1
		.amdhsa_ieee_mode 1
		.amdhsa_fp16_overflow 0
		.amdhsa_tg_split 0
		.amdhsa_exception_fp_ieee_invalid_op 0
		.amdhsa_exception_fp_denorm_src 0
		.amdhsa_exception_fp_ieee_div_zero 0
		.amdhsa_exception_fp_ieee_overflow 0
		.amdhsa_exception_fp_ieee_underflow 0
		.amdhsa_exception_fp_ieee_inexact 0
		.amdhsa_exception_int_div_zero 0
	.end_amdhsa_kernel
	.section	.text._ZN7rocprim17ROCPRIM_400000_NS6detail17trampoline_kernelINS0_14default_configENS1_20scan_config_selectorIfEEZZNS1_9scan_implILNS1_25lookback_scan_determinismE0ELb1ELb1ES3_N6thrust23THRUST_200600_302600_NS6detail15normal_iteratorINS9_10device_ptrIiEEEENSB_INSC_IfEEEEfNS9_4plusIvEEfEEDaPvRmT3_T4_T5_mT6_P12ihipStream_tbENKUlT_T0_E_clISt17integral_constantIbLb1EESW_EEDaSR_SS_EUlSR_E_NS1_11comp_targetILNS1_3genE0ELNS1_11target_archE4294967295ELNS1_3gpuE0ELNS1_3repE0EEENS1_30default_config_static_selectorELNS0_4arch9wavefront6targetE1EEEvT1_,"axG",@progbits,_ZN7rocprim17ROCPRIM_400000_NS6detail17trampoline_kernelINS0_14default_configENS1_20scan_config_selectorIfEEZZNS1_9scan_implILNS1_25lookback_scan_determinismE0ELb1ELb1ES3_N6thrust23THRUST_200600_302600_NS6detail15normal_iteratorINS9_10device_ptrIiEEEENSB_INSC_IfEEEEfNS9_4plusIvEEfEEDaPvRmT3_T4_T5_mT6_P12ihipStream_tbENKUlT_T0_E_clISt17integral_constantIbLb1EESW_EEDaSR_SS_EUlSR_E_NS1_11comp_targetILNS1_3genE0ELNS1_11target_archE4294967295ELNS1_3gpuE0ELNS1_3repE0EEENS1_30default_config_static_selectorELNS0_4arch9wavefront6targetE1EEEvT1_,comdat
.Lfunc_end1732:
	.size	_ZN7rocprim17ROCPRIM_400000_NS6detail17trampoline_kernelINS0_14default_configENS1_20scan_config_selectorIfEEZZNS1_9scan_implILNS1_25lookback_scan_determinismE0ELb1ELb1ES3_N6thrust23THRUST_200600_302600_NS6detail15normal_iteratorINS9_10device_ptrIiEEEENSB_INSC_IfEEEEfNS9_4plusIvEEfEEDaPvRmT3_T4_T5_mT6_P12ihipStream_tbENKUlT_T0_E_clISt17integral_constantIbLb1EESW_EEDaSR_SS_EUlSR_E_NS1_11comp_targetILNS1_3genE0ELNS1_11target_archE4294967295ELNS1_3gpuE0ELNS1_3repE0EEENS1_30default_config_static_selectorELNS0_4arch9wavefront6targetE1EEEvT1_, .Lfunc_end1732-_ZN7rocprim17ROCPRIM_400000_NS6detail17trampoline_kernelINS0_14default_configENS1_20scan_config_selectorIfEEZZNS1_9scan_implILNS1_25lookback_scan_determinismE0ELb1ELb1ES3_N6thrust23THRUST_200600_302600_NS6detail15normal_iteratorINS9_10device_ptrIiEEEENSB_INSC_IfEEEEfNS9_4plusIvEEfEEDaPvRmT3_T4_T5_mT6_P12ihipStream_tbENKUlT_T0_E_clISt17integral_constantIbLb1EESW_EEDaSR_SS_EUlSR_E_NS1_11comp_targetILNS1_3genE0ELNS1_11target_archE4294967295ELNS1_3gpuE0ELNS1_3repE0EEENS1_30default_config_static_selectorELNS0_4arch9wavefront6targetE1EEEvT1_
                                        ; -- End function
	.section	.AMDGPU.csdata,"",@progbits
; Kernel info:
; codeLenInByte = 0
; NumSgprs: 4
; NumVgprs: 0
; NumAgprs: 0
; TotalNumVgprs: 0
; ScratchSize: 0
; MemoryBound: 0
; FloatMode: 240
; IeeeMode: 1
; LDSByteSize: 0 bytes/workgroup (compile time only)
; SGPRBlocks: 0
; VGPRBlocks: 0
; NumSGPRsForWavesPerEU: 4
; NumVGPRsForWavesPerEU: 1
; AccumOffset: 4
; Occupancy: 8
; WaveLimiterHint : 0
; COMPUTE_PGM_RSRC2:SCRATCH_EN: 0
; COMPUTE_PGM_RSRC2:USER_SGPR: 6
; COMPUTE_PGM_RSRC2:TRAP_HANDLER: 0
; COMPUTE_PGM_RSRC2:TGID_X_EN: 1
; COMPUTE_PGM_RSRC2:TGID_Y_EN: 0
; COMPUTE_PGM_RSRC2:TGID_Z_EN: 0
; COMPUTE_PGM_RSRC2:TIDIG_COMP_CNT: 0
; COMPUTE_PGM_RSRC3_GFX90A:ACCUM_OFFSET: 0
; COMPUTE_PGM_RSRC3_GFX90A:TG_SPLIT: 0
	.section	.text._ZN7rocprim17ROCPRIM_400000_NS6detail17trampoline_kernelINS0_14default_configENS1_20scan_config_selectorIfEEZZNS1_9scan_implILNS1_25lookback_scan_determinismE0ELb1ELb1ES3_N6thrust23THRUST_200600_302600_NS6detail15normal_iteratorINS9_10device_ptrIiEEEENSB_INSC_IfEEEEfNS9_4plusIvEEfEEDaPvRmT3_T4_T5_mT6_P12ihipStream_tbENKUlT_T0_E_clISt17integral_constantIbLb1EESW_EEDaSR_SS_EUlSR_E_NS1_11comp_targetILNS1_3genE5ELNS1_11target_archE942ELNS1_3gpuE9ELNS1_3repE0EEENS1_30default_config_static_selectorELNS0_4arch9wavefront6targetE1EEEvT1_,"axG",@progbits,_ZN7rocprim17ROCPRIM_400000_NS6detail17trampoline_kernelINS0_14default_configENS1_20scan_config_selectorIfEEZZNS1_9scan_implILNS1_25lookback_scan_determinismE0ELb1ELb1ES3_N6thrust23THRUST_200600_302600_NS6detail15normal_iteratorINS9_10device_ptrIiEEEENSB_INSC_IfEEEEfNS9_4plusIvEEfEEDaPvRmT3_T4_T5_mT6_P12ihipStream_tbENKUlT_T0_E_clISt17integral_constantIbLb1EESW_EEDaSR_SS_EUlSR_E_NS1_11comp_targetILNS1_3genE5ELNS1_11target_archE942ELNS1_3gpuE9ELNS1_3repE0EEENS1_30default_config_static_selectorELNS0_4arch9wavefront6targetE1EEEvT1_,comdat
	.protected	_ZN7rocprim17ROCPRIM_400000_NS6detail17trampoline_kernelINS0_14default_configENS1_20scan_config_selectorIfEEZZNS1_9scan_implILNS1_25lookback_scan_determinismE0ELb1ELb1ES3_N6thrust23THRUST_200600_302600_NS6detail15normal_iteratorINS9_10device_ptrIiEEEENSB_INSC_IfEEEEfNS9_4plusIvEEfEEDaPvRmT3_T4_T5_mT6_P12ihipStream_tbENKUlT_T0_E_clISt17integral_constantIbLb1EESW_EEDaSR_SS_EUlSR_E_NS1_11comp_targetILNS1_3genE5ELNS1_11target_archE942ELNS1_3gpuE9ELNS1_3repE0EEENS1_30default_config_static_selectorELNS0_4arch9wavefront6targetE1EEEvT1_ ; -- Begin function _ZN7rocprim17ROCPRIM_400000_NS6detail17trampoline_kernelINS0_14default_configENS1_20scan_config_selectorIfEEZZNS1_9scan_implILNS1_25lookback_scan_determinismE0ELb1ELb1ES3_N6thrust23THRUST_200600_302600_NS6detail15normal_iteratorINS9_10device_ptrIiEEEENSB_INSC_IfEEEEfNS9_4plusIvEEfEEDaPvRmT3_T4_T5_mT6_P12ihipStream_tbENKUlT_T0_E_clISt17integral_constantIbLb1EESW_EEDaSR_SS_EUlSR_E_NS1_11comp_targetILNS1_3genE5ELNS1_11target_archE942ELNS1_3gpuE9ELNS1_3repE0EEENS1_30default_config_static_selectorELNS0_4arch9wavefront6targetE1EEEvT1_
	.globl	_ZN7rocprim17ROCPRIM_400000_NS6detail17trampoline_kernelINS0_14default_configENS1_20scan_config_selectorIfEEZZNS1_9scan_implILNS1_25lookback_scan_determinismE0ELb1ELb1ES3_N6thrust23THRUST_200600_302600_NS6detail15normal_iteratorINS9_10device_ptrIiEEEENSB_INSC_IfEEEEfNS9_4plusIvEEfEEDaPvRmT3_T4_T5_mT6_P12ihipStream_tbENKUlT_T0_E_clISt17integral_constantIbLb1EESW_EEDaSR_SS_EUlSR_E_NS1_11comp_targetILNS1_3genE5ELNS1_11target_archE942ELNS1_3gpuE9ELNS1_3repE0EEENS1_30default_config_static_selectorELNS0_4arch9wavefront6targetE1EEEvT1_
	.p2align	8
	.type	_ZN7rocprim17ROCPRIM_400000_NS6detail17trampoline_kernelINS0_14default_configENS1_20scan_config_selectorIfEEZZNS1_9scan_implILNS1_25lookback_scan_determinismE0ELb1ELb1ES3_N6thrust23THRUST_200600_302600_NS6detail15normal_iteratorINS9_10device_ptrIiEEEENSB_INSC_IfEEEEfNS9_4plusIvEEfEEDaPvRmT3_T4_T5_mT6_P12ihipStream_tbENKUlT_T0_E_clISt17integral_constantIbLb1EESW_EEDaSR_SS_EUlSR_E_NS1_11comp_targetILNS1_3genE5ELNS1_11target_archE942ELNS1_3gpuE9ELNS1_3repE0EEENS1_30default_config_static_selectorELNS0_4arch9wavefront6targetE1EEEvT1_,@function
_ZN7rocprim17ROCPRIM_400000_NS6detail17trampoline_kernelINS0_14default_configENS1_20scan_config_selectorIfEEZZNS1_9scan_implILNS1_25lookback_scan_determinismE0ELb1ELb1ES3_N6thrust23THRUST_200600_302600_NS6detail15normal_iteratorINS9_10device_ptrIiEEEENSB_INSC_IfEEEEfNS9_4plusIvEEfEEDaPvRmT3_T4_T5_mT6_P12ihipStream_tbENKUlT_T0_E_clISt17integral_constantIbLb1EESW_EEDaSR_SS_EUlSR_E_NS1_11comp_targetILNS1_3genE5ELNS1_11target_archE942ELNS1_3gpuE9ELNS1_3repE0EEENS1_30default_config_static_selectorELNS0_4arch9wavefront6targetE1EEEvT1_: ; @_ZN7rocprim17ROCPRIM_400000_NS6detail17trampoline_kernelINS0_14default_configENS1_20scan_config_selectorIfEEZZNS1_9scan_implILNS1_25lookback_scan_determinismE0ELb1ELb1ES3_N6thrust23THRUST_200600_302600_NS6detail15normal_iteratorINS9_10device_ptrIiEEEENSB_INSC_IfEEEEfNS9_4plusIvEEfEEDaPvRmT3_T4_T5_mT6_P12ihipStream_tbENKUlT_T0_E_clISt17integral_constantIbLb1EESW_EEDaSR_SS_EUlSR_E_NS1_11comp_targetILNS1_3genE5ELNS1_11target_archE942ELNS1_3gpuE9ELNS1_3repE0EEENS1_30default_config_static_selectorELNS0_4arch9wavefront6targetE1EEEvT1_
; %bb.0:
	.section	.rodata,"a",@progbits
	.p2align	6, 0x0
	.amdhsa_kernel _ZN7rocprim17ROCPRIM_400000_NS6detail17trampoline_kernelINS0_14default_configENS1_20scan_config_selectorIfEEZZNS1_9scan_implILNS1_25lookback_scan_determinismE0ELb1ELb1ES3_N6thrust23THRUST_200600_302600_NS6detail15normal_iteratorINS9_10device_ptrIiEEEENSB_INSC_IfEEEEfNS9_4plusIvEEfEEDaPvRmT3_T4_T5_mT6_P12ihipStream_tbENKUlT_T0_E_clISt17integral_constantIbLb1EESW_EEDaSR_SS_EUlSR_E_NS1_11comp_targetILNS1_3genE5ELNS1_11target_archE942ELNS1_3gpuE9ELNS1_3repE0EEENS1_30default_config_static_selectorELNS0_4arch9wavefront6targetE1EEEvT1_
		.amdhsa_group_segment_fixed_size 0
		.amdhsa_private_segment_fixed_size 0
		.amdhsa_kernarg_size 96
		.amdhsa_user_sgpr_count 6
		.amdhsa_user_sgpr_private_segment_buffer 1
		.amdhsa_user_sgpr_dispatch_ptr 0
		.amdhsa_user_sgpr_queue_ptr 0
		.amdhsa_user_sgpr_kernarg_segment_ptr 1
		.amdhsa_user_sgpr_dispatch_id 0
		.amdhsa_user_sgpr_flat_scratch_init 0
		.amdhsa_user_sgpr_kernarg_preload_length 0
		.amdhsa_user_sgpr_kernarg_preload_offset 0
		.amdhsa_user_sgpr_private_segment_size 0
		.amdhsa_uses_dynamic_stack 0
		.amdhsa_system_sgpr_private_segment_wavefront_offset 0
		.amdhsa_system_sgpr_workgroup_id_x 1
		.amdhsa_system_sgpr_workgroup_id_y 0
		.amdhsa_system_sgpr_workgroup_id_z 0
		.amdhsa_system_sgpr_workgroup_info 0
		.amdhsa_system_vgpr_workitem_id 0
		.amdhsa_next_free_vgpr 1
		.amdhsa_next_free_sgpr 0
		.amdhsa_accum_offset 4
		.amdhsa_reserve_vcc 0
		.amdhsa_reserve_flat_scratch 0
		.amdhsa_float_round_mode_32 0
		.amdhsa_float_round_mode_16_64 0
		.amdhsa_float_denorm_mode_32 3
		.amdhsa_float_denorm_mode_16_64 3
		.amdhsa_dx10_clamp 1
		.amdhsa_ieee_mode 1
		.amdhsa_fp16_overflow 0
		.amdhsa_tg_split 0
		.amdhsa_exception_fp_ieee_invalid_op 0
		.amdhsa_exception_fp_denorm_src 0
		.amdhsa_exception_fp_ieee_div_zero 0
		.amdhsa_exception_fp_ieee_overflow 0
		.amdhsa_exception_fp_ieee_underflow 0
		.amdhsa_exception_fp_ieee_inexact 0
		.amdhsa_exception_int_div_zero 0
	.end_amdhsa_kernel
	.section	.text._ZN7rocprim17ROCPRIM_400000_NS6detail17trampoline_kernelINS0_14default_configENS1_20scan_config_selectorIfEEZZNS1_9scan_implILNS1_25lookback_scan_determinismE0ELb1ELb1ES3_N6thrust23THRUST_200600_302600_NS6detail15normal_iteratorINS9_10device_ptrIiEEEENSB_INSC_IfEEEEfNS9_4plusIvEEfEEDaPvRmT3_T4_T5_mT6_P12ihipStream_tbENKUlT_T0_E_clISt17integral_constantIbLb1EESW_EEDaSR_SS_EUlSR_E_NS1_11comp_targetILNS1_3genE5ELNS1_11target_archE942ELNS1_3gpuE9ELNS1_3repE0EEENS1_30default_config_static_selectorELNS0_4arch9wavefront6targetE1EEEvT1_,"axG",@progbits,_ZN7rocprim17ROCPRIM_400000_NS6detail17trampoline_kernelINS0_14default_configENS1_20scan_config_selectorIfEEZZNS1_9scan_implILNS1_25lookback_scan_determinismE0ELb1ELb1ES3_N6thrust23THRUST_200600_302600_NS6detail15normal_iteratorINS9_10device_ptrIiEEEENSB_INSC_IfEEEEfNS9_4plusIvEEfEEDaPvRmT3_T4_T5_mT6_P12ihipStream_tbENKUlT_T0_E_clISt17integral_constantIbLb1EESW_EEDaSR_SS_EUlSR_E_NS1_11comp_targetILNS1_3genE5ELNS1_11target_archE942ELNS1_3gpuE9ELNS1_3repE0EEENS1_30default_config_static_selectorELNS0_4arch9wavefront6targetE1EEEvT1_,comdat
.Lfunc_end1733:
	.size	_ZN7rocprim17ROCPRIM_400000_NS6detail17trampoline_kernelINS0_14default_configENS1_20scan_config_selectorIfEEZZNS1_9scan_implILNS1_25lookback_scan_determinismE0ELb1ELb1ES3_N6thrust23THRUST_200600_302600_NS6detail15normal_iteratorINS9_10device_ptrIiEEEENSB_INSC_IfEEEEfNS9_4plusIvEEfEEDaPvRmT3_T4_T5_mT6_P12ihipStream_tbENKUlT_T0_E_clISt17integral_constantIbLb1EESW_EEDaSR_SS_EUlSR_E_NS1_11comp_targetILNS1_3genE5ELNS1_11target_archE942ELNS1_3gpuE9ELNS1_3repE0EEENS1_30default_config_static_selectorELNS0_4arch9wavefront6targetE1EEEvT1_, .Lfunc_end1733-_ZN7rocprim17ROCPRIM_400000_NS6detail17trampoline_kernelINS0_14default_configENS1_20scan_config_selectorIfEEZZNS1_9scan_implILNS1_25lookback_scan_determinismE0ELb1ELb1ES3_N6thrust23THRUST_200600_302600_NS6detail15normal_iteratorINS9_10device_ptrIiEEEENSB_INSC_IfEEEEfNS9_4plusIvEEfEEDaPvRmT3_T4_T5_mT6_P12ihipStream_tbENKUlT_T0_E_clISt17integral_constantIbLb1EESW_EEDaSR_SS_EUlSR_E_NS1_11comp_targetILNS1_3genE5ELNS1_11target_archE942ELNS1_3gpuE9ELNS1_3repE0EEENS1_30default_config_static_selectorELNS0_4arch9wavefront6targetE1EEEvT1_
                                        ; -- End function
	.section	.AMDGPU.csdata,"",@progbits
; Kernel info:
; codeLenInByte = 0
; NumSgprs: 4
; NumVgprs: 0
; NumAgprs: 0
; TotalNumVgprs: 0
; ScratchSize: 0
; MemoryBound: 0
; FloatMode: 240
; IeeeMode: 1
; LDSByteSize: 0 bytes/workgroup (compile time only)
; SGPRBlocks: 0
; VGPRBlocks: 0
; NumSGPRsForWavesPerEU: 4
; NumVGPRsForWavesPerEU: 1
; AccumOffset: 4
; Occupancy: 8
; WaveLimiterHint : 0
; COMPUTE_PGM_RSRC2:SCRATCH_EN: 0
; COMPUTE_PGM_RSRC2:USER_SGPR: 6
; COMPUTE_PGM_RSRC2:TRAP_HANDLER: 0
; COMPUTE_PGM_RSRC2:TGID_X_EN: 1
; COMPUTE_PGM_RSRC2:TGID_Y_EN: 0
; COMPUTE_PGM_RSRC2:TGID_Z_EN: 0
; COMPUTE_PGM_RSRC2:TIDIG_COMP_CNT: 0
; COMPUTE_PGM_RSRC3_GFX90A:ACCUM_OFFSET: 0
; COMPUTE_PGM_RSRC3_GFX90A:TG_SPLIT: 0
	.section	.text._ZN7rocprim17ROCPRIM_400000_NS6detail17trampoline_kernelINS0_14default_configENS1_20scan_config_selectorIfEEZZNS1_9scan_implILNS1_25lookback_scan_determinismE0ELb1ELb1ES3_N6thrust23THRUST_200600_302600_NS6detail15normal_iteratorINS9_10device_ptrIiEEEENSB_INSC_IfEEEEfNS9_4plusIvEEfEEDaPvRmT3_T4_T5_mT6_P12ihipStream_tbENKUlT_T0_E_clISt17integral_constantIbLb1EESW_EEDaSR_SS_EUlSR_E_NS1_11comp_targetILNS1_3genE4ELNS1_11target_archE910ELNS1_3gpuE8ELNS1_3repE0EEENS1_30default_config_static_selectorELNS0_4arch9wavefront6targetE1EEEvT1_,"axG",@progbits,_ZN7rocprim17ROCPRIM_400000_NS6detail17trampoline_kernelINS0_14default_configENS1_20scan_config_selectorIfEEZZNS1_9scan_implILNS1_25lookback_scan_determinismE0ELb1ELb1ES3_N6thrust23THRUST_200600_302600_NS6detail15normal_iteratorINS9_10device_ptrIiEEEENSB_INSC_IfEEEEfNS9_4plusIvEEfEEDaPvRmT3_T4_T5_mT6_P12ihipStream_tbENKUlT_T0_E_clISt17integral_constantIbLb1EESW_EEDaSR_SS_EUlSR_E_NS1_11comp_targetILNS1_3genE4ELNS1_11target_archE910ELNS1_3gpuE8ELNS1_3repE0EEENS1_30default_config_static_selectorELNS0_4arch9wavefront6targetE1EEEvT1_,comdat
	.protected	_ZN7rocprim17ROCPRIM_400000_NS6detail17trampoline_kernelINS0_14default_configENS1_20scan_config_selectorIfEEZZNS1_9scan_implILNS1_25lookback_scan_determinismE0ELb1ELb1ES3_N6thrust23THRUST_200600_302600_NS6detail15normal_iteratorINS9_10device_ptrIiEEEENSB_INSC_IfEEEEfNS9_4plusIvEEfEEDaPvRmT3_T4_T5_mT6_P12ihipStream_tbENKUlT_T0_E_clISt17integral_constantIbLb1EESW_EEDaSR_SS_EUlSR_E_NS1_11comp_targetILNS1_3genE4ELNS1_11target_archE910ELNS1_3gpuE8ELNS1_3repE0EEENS1_30default_config_static_selectorELNS0_4arch9wavefront6targetE1EEEvT1_ ; -- Begin function _ZN7rocprim17ROCPRIM_400000_NS6detail17trampoline_kernelINS0_14default_configENS1_20scan_config_selectorIfEEZZNS1_9scan_implILNS1_25lookback_scan_determinismE0ELb1ELb1ES3_N6thrust23THRUST_200600_302600_NS6detail15normal_iteratorINS9_10device_ptrIiEEEENSB_INSC_IfEEEEfNS9_4plusIvEEfEEDaPvRmT3_T4_T5_mT6_P12ihipStream_tbENKUlT_T0_E_clISt17integral_constantIbLb1EESW_EEDaSR_SS_EUlSR_E_NS1_11comp_targetILNS1_3genE4ELNS1_11target_archE910ELNS1_3gpuE8ELNS1_3repE0EEENS1_30default_config_static_selectorELNS0_4arch9wavefront6targetE1EEEvT1_
	.globl	_ZN7rocprim17ROCPRIM_400000_NS6detail17trampoline_kernelINS0_14default_configENS1_20scan_config_selectorIfEEZZNS1_9scan_implILNS1_25lookback_scan_determinismE0ELb1ELb1ES3_N6thrust23THRUST_200600_302600_NS6detail15normal_iteratorINS9_10device_ptrIiEEEENSB_INSC_IfEEEEfNS9_4plusIvEEfEEDaPvRmT3_T4_T5_mT6_P12ihipStream_tbENKUlT_T0_E_clISt17integral_constantIbLb1EESW_EEDaSR_SS_EUlSR_E_NS1_11comp_targetILNS1_3genE4ELNS1_11target_archE910ELNS1_3gpuE8ELNS1_3repE0EEENS1_30default_config_static_selectorELNS0_4arch9wavefront6targetE1EEEvT1_
	.p2align	8
	.type	_ZN7rocprim17ROCPRIM_400000_NS6detail17trampoline_kernelINS0_14default_configENS1_20scan_config_selectorIfEEZZNS1_9scan_implILNS1_25lookback_scan_determinismE0ELb1ELb1ES3_N6thrust23THRUST_200600_302600_NS6detail15normal_iteratorINS9_10device_ptrIiEEEENSB_INSC_IfEEEEfNS9_4plusIvEEfEEDaPvRmT3_T4_T5_mT6_P12ihipStream_tbENKUlT_T0_E_clISt17integral_constantIbLb1EESW_EEDaSR_SS_EUlSR_E_NS1_11comp_targetILNS1_3genE4ELNS1_11target_archE910ELNS1_3gpuE8ELNS1_3repE0EEENS1_30default_config_static_selectorELNS0_4arch9wavefront6targetE1EEEvT1_,@function
_ZN7rocprim17ROCPRIM_400000_NS6detail17trampoline_kernelINS0_14default_configENS1_20scan_config_selectorIfEEZZNS1_9scan_implILNS1_25lookback_scan_determinismE0ELb1ELb1ES3_N6thrust23THRUST_200600_302600_NS6detail15normal_iteratorINS9_10device_ptrIiEEEENSB_INSC_IfEEEEfNS9_4plusIvEEfEEDaPvRmT3_T4_T5_mT6_P12ihipStream_tbENKUlT_T0_E_clISt17integral_constantIbLb1EESW_EEDaSR_SS_EUlSR_E_NS1_11comp_targetILNS1_3genE4ELNS1_11target_archE910ELNS1_3gpuE8ELNS1_3repE0EEENS1_30default_config_static_selectorELNS0_4arch9wavefront6targetE1EEEvT1_: ; @_ZN7rocprim17ROCPRIM_400000_NS6detail17trampoline_kernelINS0_14default_configENS1_20scan_config_selectorIfEEZZNS1_9scan_implILNS1_25lookback_scan_determinismE0ELb1ELb1ES3_N6thrust23THRUST_200600_302600_NS6detail15normal_iteratorINS9_10device_ptrIiEEEENSB_INSC_IfEEEEfNS9_4plusIvEEfEEDaPvRmT3_T4_T5_mT6_P12ihipStream_tbENKUlT_T0_E_clISt17integral_constantIbLb1EESW_EEDaSR_SS_EUlSR_E_NS1_11comp_targetILNS1_3genE4ELNS1_11target_archE910ELNS1_3gpuE8ELNS1_3repE0EEENS1_30default_config_static_selectorELNS0_4arch9wavefront6targetE1EEEvT1_
; %bb.0:
	s_load_dword s37, s[4:5], 0x20
	s_load_dwordx2 s[14:15], s[4:5], 0x28
	v_cmp_ne_u32_e64 s[2:3], 0, v0
	v_cmp_eq_u32_e64 s[0:1], 0, v0
	s_and_saveexec_b64 s[6:7], s[0:1]
	s_cbranch_execz .LBB1734_4
; %bb.1:
	s_mov_b64 s[10:11], exec
	v_mbcnt_lo_u32_b32 v1, s10, 0
	v_mbcnt_hi_u32_b32 v1, s11, v1
	v_cmp_eq_u32_e32 vcc, 0, v1
                                        ; implicit-def: $vgpr2
	s_and_saveexec_b64 s[8:9], vcc
	s_cbranch_execz .LBB1734_3
; %bb.2:
	s_load_dwordx2 s[12:13], s[4:5], 0x58
	s_bcnt1_i32_b64 s10, s[10:11]
	v_mov_b32_e32 v2, 0
	v_mov_b32_e32 v3, s10
	s_waitcnt lgkmcnt(0)
	global_atomic_add v2, v2, v3, s[12:13] glc
.LBB1734_3:
	s_or_b64 exec, exec, s[8:9]
	s_waitcnt vmcnt(0)
	v_readfirstlane_b32 s8, v2
	v_add_u32_e32 v1, s8, v1
	v_mov_b32_e32 v2, 0
	ds_write_b32 v2, v1
.LBB1734_4:
	s_or_b64 exec, exec, s[6:7]
	s_load_dwordx8 s[24:31], s[4:5], 0x0
	s_load_dword s6, s[4:5], 0x30
	s_load_dwordx8 s[16:23], s[4:5], 0x38
	v_mov_b32_e32 v1, 0
	s_waitcnt lgkmcnt(0)
	s_barrier
	ds_read_b32 v1, v1
	s_lshl_b64 s[26:27], s[26:27], 2
	s_add_u32 s38, s24, s26
	s_addc_u32 s39, s25, s27
	s_add_i32 s6, s6, -1
	s_mul_i32 s7, s6, 0x700
	s_sub_u32 s33, s30, s7
	s_waitcnt lgkmcnt(0)
	v_readfirstlane_b32 s40, v1
	s_subb_u32 s36, s31, 0
	s_mul_i32 s4, s40, 0x700
	s_mov_b32 s5, 0
	s_cmp_lg_u32 s40, s6
	s_cselect_b64 s[24:25], -1, 0
	s_lshl_b64 s[30:31], s[4:5], 2
	s_add_u32 s6, s38, s30
	s_addc_u32 s7, s39, s31
	s_mov_b64 s[4:5], -1
	s_and_b64 vcc, exec, s[24:25]
	v_lshlrev_b32_e32 v32, 2, v0
	s_barrier
	s_cbranch_vccz .LBB1734_6
; %bb.5:
	v_mov_b32_e32 v1, s7
	v_add_co_u32_e32 v2, vcc, s6, v32
	v_addc_co_u32_e32 v3, vcc, 0, v1, vcc
	s_movk_i32 s4, 0x1000
	flat_load_dword v1, v[2:3]
	flat_load_dword v4, v[2:3] offset:512
	flat_load_dword v5, v[2:3] offset:1024
	;; [unrolled: 1-line block ×7, first 2 shown]
	v_add_co_u32_e32 v2, vcc, s4, v2
	v_addc_co_u32_e32 v3, vcc, 0, v3, vcc
	flat_load_dword v11, v[2:3]
	flat_load_dword v12, v[2:3] offset:512
	flat_load_dword v13, v[2:3] offset:1024
	;; [unrolled: 1-line block ×5, first 2 shown]
	s_mov_b64 s[4:5], 0
	s_waitcnt vmcnt(0) lgkmcnt(0)
	v_cvt_f32_i32_e32 v1, v1
	v_cvt_f32_i32_e32 v2, v4
	v_cvt_f32_i32_e32 v3, v5
	v_cvt_f32_i32_e32 v4, v6
	v_cvt_f32_i32_e32 v5, v7
	v_cvt_f32_i32_e32 v6, v8
	v_cvt_f32_i32_e32 v7, v9
	v_cvt_f32_i32_e32 v8, v10
	v_cvt_f32_i32_e32 v9, v11
	v_cvt_f32_i32_e32 v10, v12
	v_cvt_f32_i32_e32 v11, v13
	v_cvt_f32_i32_e32 v12, v14
	v_cvt_f32_i32_e32 v13, v15
	v_cvt_f32_i32_e32 v14, v16
	ds_write2st64_b32 v32, v1, v2 offset1:2
	ds_write2st64_b32 v32, v3, v4 offset0:4 offset1:6
	ds_write2st64_b32 v32, v5, v6 offset0:8 offset1:10
	ds_write2st64_b32 v32, v7, v8 offset0:12 offset1:14
	ds_write2st64_b32 v32, v9, v10 offset0:16 offset1:18
	ds_write2st64_b32 v32, v11, v12 offset0:20 offset1:22
	ds_write2st64_b32 v32, v13, v14 offset0:24 offset1:26
	s_waitcnt lgkmcnt(0)
	s_barrier
.LBB1734_6:
	s_andn2_b64 vcc, exec, s[4:5]
	v_cmp_gt_u32_e64 s[4:5], s33, v0
	s_cbranch_vccnz .LBB1734_36
; %bb.7:
	v_pk_mov_b32 v[2:3], s[6:7], s[6:7] op_sel:[0,1]
	flat_load_dword v1, v[2:3]
	s_waitcnt vmcnt(0) lgkmcnt(0)
	v_cvt_f32_i32_e32 v1, v1
	v_mov_b32_e32 v2, v1
	v_mov_b32_e32 v3, v1
	;; [unrolled: 1-line block ×12, first 2 shown]
	v_pk_mov_b32 v[16:17], v[14:15], v[14:15] op_sel:[0,1]
	v_pk_mov_b32 v[14:15], v[12:13], v[12:13] op_sel:[0,1]
	;; [unrolled: 1-line block ×8, first 2 shown]
	s_and_saveexec_b64 s[8:9], s[4:5]
	s_cbranch_execz .LBB1734_9
; %bb.8:
	v_mov_b32_e32 v3, s7
	v_add_co_u32_e32 v2, vcc, s6, v32
	v_addc_co_u32_e32 v3, vcc, 0, v3, vcc
	flat_load_dword v11, v[2:3]
	v_mov_b32_e32 v2, v1
	v_mov_b32_e32 v3, v1
	;; [unrolled: 1-line block ×11, first 2 shown]
	s_waitcnt vmcnt(0) lgkmcnt(0)
	v_cvt_f32_i32_e32 v18, v11
	v_mov_b32_e32 v11, v1
	v_pk_mov_b32 v[16:17], v[14:15], v[14:15] op_sel:[0,1]
	v_pk_mov_b32 v[14:15], v[12:13], v[12:13] op_sel:[0,1]
	;; [unrolled: 1-line block ×8, first 2 shown]
	v_mov_b32_e32 v1, v18
.LBB1734_9:
	s_or_b64 exec, exec, s[8:9]
	v_or_b32_e32 v2, 0x80, v0
	v_cmp_gt_u32_e32 vcc, s33, v2
	s_and_saveexec_b64 s[4:5], vcc
	s_cbranch_execz .LBB1734_11
; %bb.10:
	v_mov_b32_e32 v3, s7
	v_add_co_u32_e32 v2, vcc, s6, v32
	v_addc_co_u32_e32 v3, vcc, 0, v3, vcc
	flat_load_dword v2, v[2:3] offset:512
	s_waitcnt vmcnt(0) lgkmcnt(0)
	v_cvt_f32_i32_e32 v3, v2
.LBB1734_11:
	s_or_b64 exec, exec, s[4:5]
	v_or_b32_e32 v2, 0x100, v0
	v_cmp_gt_u32_e32 vcc, s33, v2
	s_and_saveexec_b64 s[4:5], vcc
	s_cbranch_execz .LBB1734_13
; %bb.12:
	v_mov_b32_e32 v2, s7
	v_add_co_u32_e32 v16, vcc, s6, v32
	v_addc_co_u32_e32 v17, vcc, 0, v2, vcc
	flat_load_dword v2, v[16:17] offset:1024
	s_waitcnt vmcnt(0) lgkmcnt(0)
	v_cvt_f32_i32_e32 v4, v2
.LBB1734_13:
	;; [unrolled: 13-line block ×7, first 2 shown]
	s_or_b64 exec, exec, s[4:5]
	v_or_b32_e32 v2, 0x400, v0
	v_cmp_gt_u32_e32 vcc, s33, v2
	s_and_saveexec_b64 s[4:5], vcc
	s_cbranch_execz .LBB1734_25
; %bb.24:
	v_lshlrev_b32_e32 v2, 2, v2
	v_mov_b32_e32 v10, s7
	v_add_co_u32_e32 v16, vcc, s6, v2
	v_addc_co_u32_e32 v17, vcc, 0, v10, vcc
	flat_load_dword v2, v[16:17]
	s_waitcnt vmcnt(0) lgkmcnt(0)
	v_cvt_f32_i32_e32 v10, v2
.LBB1734_25:
	s_or_b64 exec, exec, s[4:5]
	v_or_b32_e32 v2, 0x480, v0
	v_cmp_gt_u32_e32 vcc, s33, v2
	s_and_saveexec_b64 s[4:5], vcc
	s_cbranch_execz .LBB1734_27
; %bb.26:
	v_lshlrev_b32_e32 v2, 2, v2
	v_mov_b32_e32 v11, s7
	v_add_co_u32_e32 v16, vcc, s6, v2
	v_addc_co_u32_e32 v17, vcc, 0, v11, vcc
	flat_load_dword v2, v[16:17]
	s_waitcnt vmcnt(0) lgkmcnt(0)
	v_cvt_f32_i32_e32 v11, v2
.LBB1734_27:
	;; [unrolled: 14-line block ×6, first 2 shown]
	s_or_b64 exec, exec, s[4:5]
	ds_write2st64_b32 v32, v1, v3 offset1:2
	ds_write2st64_b32 v32, v4, v5 offset0:4 offset1:6
	ds_write2st64_b32 v32, v6, v7 offset0:8 offset1:10
	;; [unrolled: 1-line block ×6, first 2 shown]
	s_waitcnt lgkmcnt(0)
	s_barrier
.LBB1734_36:
	v_mul_u32_u24_e32 v33, 14, v0
	v_lshlrev_b32_e32 v34, 2, v33
	ds_read2_b64 v[26:29], v34 offset1:1
	ds_read2_b64 v[22:25], v34 offset0:2 offset1:3
	ds_read2_b64 v[18:21], v34 offset0:4 offset1:5
	ds_read_b64 v[30:31], v34 offset:48
	s_cmp_lg_u32 s40, 0
	s_waitcnt lgkmcnt(3)
	v_add_f32_e32 v35, v26, v27
	v_lshrrev_b32_e32 v1, 5, v0
	v_cmp_gt_u32_e32 vcc, 64, v0
	s_waitcnt lgkmcnt(0)
	s_barrier
	s_cbranch_scc0 .LBB1734_65
; %bb.37:
	v_add_f32_e32 v2, v28, v35
	v_add_f32_e32 v2, v29, v2
	;; [unrolled: 1-line block ×12, first 2 shown]
	v_add_lshl_u32 v2, v1, v0, 2
	ds_write_b32 v2, v12
	s_waitcnt lgkmcnt(0)
	s_barrier
	s_and_saveexec_b64 s[10:11], vcc
	s_cbranch_execz .LBB1734_39
; %bb.38:
	v_lshlrev_b32_e32 v2, 1, v0
	v_lshrrev_b32_e32 v3, 4, v0
	v_add_lshl_u32 v4, v3, v2, 2
	ds_read2_b32 v[2:3], v4 offset1:1
	v_mbcnt_lo_u32_b32 v5, -1, 0
	v_mbcnt_hi_u32_b32 v5, -1, v5
	v_and_b32_e32 v6, 15, v5
	v_cmp_eq_u32_e64 s[4:5], 0, v6
	s_waitcnt lgkmcnt(0)
	v_add_f32_e32 v3, v2, v3
	v_cmp_lt_u32_e64 s[6:7], 3, v6
	v_cmp_lt_u32_e64 s[8:9], 31, v5
	v_mov_b32_dpp v7, v3 row_shr:1 row_mask:0xf bank_mask:0xf
	v_add_f32_e32 v7, v3, v7
	v_cndmask_b32_e64 v3, v7, v3, s[4:5]
	v_cmp_lt_u32_e64 s[4:5], 1, v6
	s_nop 0
	v_mov_b32_dpp v7, v3 row_shr:2 row_mask:0xf bank_mask:0xf
	v_add_f32_e32 v7, v3, v7
	v_cndmask_b32_e64 v7, v3, v7, s[4:5]
	; wave barrier
	s_nop 1
	v_mov_b32_dpp v8, v7 row_shr:4 row_mask:0xf bank_mask:0xf
	v_add_f32_e32 v8, v7, v8
	v_cndmask_b32_e64 v7, v7, v8, s[6:7]
	v_cmp_lt_u32_e64 s[6:7], 7, v6
	s_nop 0
	v_mov_b32_dpp v8, v7 row_shr:8 row_mask:0xf bank_mask:0xf
	v_add_f32_e32 v8, v7, v8
	v_cndmask_b32_e64 v6, v7, v8, s[6:7]
	v_and_b32_e32 v8, 16, v5
	v_cmp_eq_u32_e64 s[6:7], 0, v8
	v_mov_b32_dpp v7, v6 row_bcast:15 row_mask:0xf bank_mask:0xf
	v_add_f32_e32 v7, v6, v7
	v_cndmask_b32_e64 v6, v7, v6, s[6:7]
	v_cmp_lt_u32_e64 s[6:7], 15, v5
	s_or_b64 s[4:5], s[6:7], s[4:5]
	v_mov_b32_dpp v7, v6 row_bcast:31 row_mask:0xf bank_mask:0xf
	v_add_f32_e32 v7, v6, v7
	v_cndmask_b32_e64 v6, v6, v7, s[8:9]
	v_cndmask_b32_e64 v3, v3, v6, s[4:5]
	v_add_u32_e32 v6, -1, v5
	v_and_b32_e32 v7, 64, v5
	v_cmp_lt_i32_e64 s[4:5], v6, v7
	v_cndmask_b32_e64 v5, v6, v5, s[4:5]
	v_lshlrev_b32_e32 v5, 2, v5
	ds_bpermute_b32 v3, v5, v3
	s_waitcnt lgkmcnt(0)
	v_add_f32_e32 v2, v2, v3
	v_cndmask_b32_e64 v2, v2, v12, s[0:1]
	ds_write_b32 v4, v2
	; wave barrier
	ds_read_b32 v3, v4 offset:4
	s_waitcnt lgkmcnt(0)
	v_add_f32_e32 v2, v2, v3
	ds_write_b32 v4, v2 offset:4
.LBB1734_39:
	s_or_b64 exec, exec, s[10:11]
	s_waitcnt lgkmcnt(0)
	s_barrier
	s_and_saveexec_b64 s[4:5], s[2:3]
	s_cbranch_execz .LBB1734_41
; %bb.40:
	v_add_u32_e32 v2, -1, v0
	v_lshrrev_b32_e32 v3, 5, v2
	v_add_lshl_u32 v2, v3, v2, 2
	ds_read_b32 v12, v2
.LBB1734_41:
	s_or_b64 exec, exec, s[4:5]
	s_and_saveexec_b64 s[34:35], vcc
	s_cbranch_execz .LBB1734_64
; %bb.42:
	v_mov_b32_e32 v11, 0
	ds_read_b32 v2, v11 offset:520
	v_mbcnt_lo_u32_b32 v3, -1, 0
	v_mbcnt_hi_u32_b32 v5, -1, v3
	s_mov_b32 s9, 0
	v_cmp_eq_u32_e64 s[4:5], 0, v5
	s_and_saveexec_b64 s[6:7], s[4:5]
	s_cbranch_execz .LBB1734_44
; %bb.43:
	s_add_i32 s8, s40, 64
	s_lshl_b64 s[8:9], s[8:9], 3
	s_add_u32 s8, s14, s8
	v_mov_b32_e32 v3, 1
	s_addc_u32 s9, s15, s9
	s_waitcnt lgkmcnt(0)
	global_store_dwordx2 v11, v[2:3], s[8:9]
.LBB1734_44:
	s_or_b64 exec, exec, s[6:7]
	v_xad_u32 v4, v5, -1, s40
	v_add_u32_e32 v10, 64, v4
	v_lshlrev_b64 v[6:7], 3, v[10:11]
	v_mov_b32_e32 v3, s15
	v_add_co_u32_e32 v6, vcc, s14, v6
	v_addc_co_u32_e32 v7, vcc, v3, v7, vcc
	global_load_dwordx2 v[8:9], v[6:7], off glc
	s_waitcnt vmcnt(0)
	v_cmp_eq_u16_sdwa s[8:9], v9, v11 src0_sel:BYTE_0 src1_sel:DWORD
	s_and_saveexec_b64 s[6:7], s[8:9]
	s_cbranch_execz .LBB1734_50
; %bb.45:
	s_mov_b32 s10, 1
	s_mov_b64 s[8:9], 0
	v_mov_b32_e32 v3, 0
.LBB1734_46:                            ; =>This Loop Header: Depth=1
                                        ;     Child Loop BB1734_47 Depth 2
	s_max_u32 s11, s10, 1
.LBB1734_47:                            ;   Parent Loop BB1734_46 Depth=1
                                        ; =>  This Inner Loop Header: Depth=2
	s_add_i32 s11, s11, -1
	s_cmp_eq_u32 s11, 0
	s_sleep 1
	s_cbranch_scc0 .LBB1734_47
; %bb.48:                               ;   in Loop: Header=BB1734_46 Depth=1
	global_load_dwordx2 v[8:9], v[6:7], off glc
	s_cmp_lt_u32 s10, 32
	s_cselect_b64 s[12:13], -1, 0
	s_cmp_lg_u64 s[12:13], 0
	s_addc_u32 s10, s10, 0
	s_waitcnt vmcnt(0)
	v_cmp_ne_u16_sdwa s[12:13], v9, v3 src0_sel:BYTE_0 src1_sel:DWORD
	s_or_b64 s[8:9], s[12:13], s[8:9]
	s_andn2_b64 exec, exec, s[8:9]
	s_cbranch_execnz .LBB1734_46
; %bb.49:
	s_or_b64 exec, exec, s[8:9]
.LBB1734_50:
	s_or_b64 exec, exec, s[6:7]
	v_and_b32_e32 v13, 63, v5
	v_cmp_ne_u32_e32 vcc, 63, v13
	v_addc_co_u32_e32 v14, vcc, 0, v5, vcc
	v_mov_b32_e32 v3, 2
	v_lshlrev_b32_e32 v14, 2, v14
	v_cmp_eq_u16_sdwa s[6:7], v9, v3 src0_sel:BYTE_0 src1_sel:DWORD
	v_lshlrev_b64 v[6:7], v5, -1
	ds_bpermute_b32 v15, v14, v8
	v_and_b32_e32 v10, s7, v7
	v_or_b32_e32 v10, 0x80000000, v10
	v_and_b32_e32 v11, s6, v6
	v_ffbl_b32_e32 v10, v10
	v_add_u32_e32 v10, 32, v10
	v_ffbl_b32_e32 v11, v11
	v_cmp_gt_u32_e64 s[6:7], 62, v13
	v_min_u32_e32 v10, v11, v10
	s_waitcnt lgkmcnt(0)
	v_add_f32_e32 v11, v8, v15
	v_cndmask_b32_e64 v15, 0, 1, s[6:7]
	v_cmp_lt_u32_e32 vcc, v13, v10
	v_lshlrev_b32_e32 v15, 1, v15
	v_cndmask_b32_e32 v11, v8, v11, vcc
	v_add_lshl_u32 v15, v15, v5, 2
	ds_bpermute_b32 v17, v15, v11
	v_add_u32_e32 v16, 2, v13
	v_cmp_gt_u32_e64 s[6:7], v16, v10
	v_cmp_gt_u32_e64 s[8:9], 56, v13
	v_add_u32_e32 v36, 4, v13
	s_waitcnt lgkmcnt(0)
	v_add_f32_e32 v17, v11, v17
	v_cndmask_b32_e64 v11, v17, v11, s[6:7]
	v_cmp_gt_u32_e64 s[6:7], 60, v13
	v_cndmask_b32_e64 v17, 0, 1, s[6:7]
	v_lshlrev_b32_e32 v17, 2, v17
	v_add_lshl_u32 v17, v17, v5, 2
	ds_bpermute_b32 v37, v17, v11
	v_cmp_gt_u32_e64 s[6:7], v36, v10
	v_add_u32_e32 v38, 8, v13
	v_cmp_gt_u32_e64 s[10:11], 48, v13
	v_cmp_gt_u32_e64 s[12:13], 32, v13
	s_waitcnt lgkmcnt(0)
	v_add_f32_e32 v41, v11, v37
	v_cndmask_b32_e64 v37, 0, 1, s[8:9]
	v_lshlrev_b32_e32 v37, 3, v37
	v_cndmask_b32_e64 v39, v41, v11, s[6:7]
	v_add_lshl_u32 v37, v37, v5, 2
	ds_bpermute_b32 v40, v37, v39
	v_cmp_gt_u32_e64 s[8:9], v38, v10
	v_cndmask_b32_e32 v8, v8, v11, vcc
	v_cndmask_b32_e64 v8, v41, v8, s[6:7]
	s_waitcnt lgkmcnt(0)
	v_add_f32_e32 v44, v39, v40
	v_cndmask_b32_e64 v42, v44, v39, s[8:9]
	v_cndmask_b32_e64 v39, 0, 1, s[10:11]
	v_lshlrev_b32_e32 v39, 4, v39
	v_add_lshl_u32 v39, v39, v5, 2
	ds_bpermute_b32 v43, v39, v42
	v_add_u32_e32 v40, 16, v13
	v_cmp_gt_u32_e64 s[10:11], v40, v10
	v_cndmask_b32_e64 v8, v44, v8, s[8:9]
	s_waitcnt lgkmcnt(0)
	v_add_f32_e32 v45, v42, v43
	v_cndmask_b32_e64 v46, v45, v42, s[10:11]
	v_cndmask_b32_e64 v42, 0, 1, s[12:13]
	v_lshlrev_b32_e32 v42, 5, v42
	v_add_lshl_u32 v42, v42, v5, 2
	ds_bpermute_b32 v5, v42, v46
	v_add_u32_e32 v43, 32, v13
	v_cndmask_b32_e64 v8, v45, v8, s[10:11]
	v_cmp_gt_u32_e32 vcc, v43, v10
	s_waitcnt lgkmcnt(0)
	v_add_f32_e32 v5, v46, v5
	v_cndmask_b32_e32 v8, v5, v8, vcc
	v_mov_b32_e32 v5, 0
	s_branch .LBB1734_52
.LBB1734_51:                            ;   in Loop: Header=BB1734_52 Depth=1
	s_or_b64 exec, exec, s[6:7]
	v_cmp_eq_u16_sdwa s[6:7], v9, v3 src0_sel:BYTE_0 src1_sel:DWORD
	v_and_b32_e32 v10, s7, v7
	ds_bpermute_b32 v44, v14, v8
	v_or_b32_e32 v10, 0x80000000, v10
	v_and_b32_e32 v11, s6, v6
	v_ffbl_b32_e32 v10, v10
	v_add_u32_e32 v10, 32, v10
	v_ffbl_b32_e32 v11, v11
	v_min_u32_e32 v10, v11, v10
	s_waitcnt lgkmcnt(0)
	v_add_f32_e32 v11, v8, v44
	v_cmp_lt_u32_e32 vcc, v13, v10
	v_cndmask_b32_e32 v11, v8, v11, vcc
	ds_bpermute_b32 v44, v15, v11
	v_cmp_gt_u32_e64 s[6:7], v16, v10
	v_cmp_gt_u32_e64 s[8:9], v38, v10
	;; [unrolled: 1-line block ×3, first 2 shown]
	v_subrev_u32_e32 v4, 64, v4
	s_waitcnt lgkmcnt(0)
	v_add_f32_e32 v44, v11, v44
	v_cndmask_b32_e64 v11, v44, v11, s[6:7]
	ds_bpermute_b32 v44, v17, v11
	v_cmp_gt_u32_e64 s[6:7], v36, v10
	v_cndmask_b32_e32 v8, v8, v11, vcc
	v_cmp_gt_u32_e32 vcc, v43, v10
	s_waitcnt lgkmcnt(0)
	v_add_f32_e32 v44, v11, v44
	v_cndmask_b32_e64 v45, v44, v11, s[6:7]
	ds_bpermute_b32 v46, v37, v45
	v_cndmask_b32_e64 v8, v44, v8, s[6:7]
	s_waitcnt lgkmcnt(0)
	v_add_f32_e32 v46, v45, v46
	v_cndmask_b32_e64 v45, v46, v45, s[8:9]
	ds_bpermute_b32 v47, v39, v45
	v_cndmask_b32_e64 v8, v46, v8, s[8:9]
	;; [unrolled: 5-line block ×3, first 2 shown]
	s_waitcnt lgkmcnt(0)
	v_add_f32_e32 v11, v45, v48
	v_cndmask_b32_e32 v8, v11, v8, vcc
	v_add_f32_e32 v8, v41, v8
.LBB1734_52:                            ; =>This Loop Header: Depth=1
                                        ;     Child Loop BB1734_55 Depth 2
                                        ;       Child Loop BB1734_56 Depth 3
	v_cmp_ne_u16_sdwa s[6:7], v9, v3 src0_sel:BYTE_0 src1_sel:DWORD
	v_cndmask_b32_e64 v9, 0, 1, s[6:7]
	;;#ASMSTART
	;;#ASMEND
	v_cmp_ne_u32_e32 vcc, 0, v9
	s_cmp_lg_u64 vcc, exec
	v_mov_b32_e32 v41, v8
	s_cbranch_scc1 .LBB1734_59
; %bb.53:                               ;   in Loop: Header=BB1734_52 Depth=1
	v_lshlrev_b64 v[8:9], 3, v[4:5]
	v_mov_b32_e32 v11, s15
	v_add_co_u32_e32 v10, vcc, s14, v8
	v_addc_co_u32_e32 v11, vcc, v11, v9, vcc
	global_load_dwordx2 v[8:9], v[10:11], off glc
	s_waitcnt vmcnt(0)
	v_cmp_eq_u16_sdwa s[8:9], v9, v5 src0_sel:BYTE_0 src1_sel:DWORD
	s_and_saveexec_b64 s[6:7], s[8:9]
	s_cbranch_execz .LBB1734_51
; %bb.54:                               ;   in Loop: Header=BB1734_52 Depth=1
	s_mov_b32 s10, 1
	s_mov_b64 s[8:9], 0
.LBB1734_55:                            ;   Parent Loop BB1734_52 Depth=1
                                        ; =>  This Loop Header: Depth=2
                                        ;       Child Loop BB1734_56 Depth 3
	s_max_u32 s11, s10, 1
.LBB1734_56:                            ;   Parent Loop BB1734_52 Depth=1
                                        ;     Parent Loop BB1734_55 Depth=2
                                        ; =>    This Inner Loop Header: Depth=3
	s_add_i32 s11, s11, -1
	s_cmp_eq_u32 s11, 0
	s_sleep 1
	s_cbranch_scc0 .LBB1734_56
; %bb.57:                               ;   in Loop: Header=BB1734_55 Depth=2
	global_load_dwordx2 v[8:9], v[10:11], off glc
	s_cmp_lt_u32 s10, 32
	s_cselect_b64 s[12:13], -1, 0
	s_cmp_lg_u64 s[12:13], 0
	s_addc_u32 s10, s10, 0
	s_waitcnt vmcnt(0)
	v_cmp_ne_u16_sdwa s[12:13], v9, v5 src0_sel:BYTE_0 src1_sel:DWORD
	s_or_b64 s[8:9], s[12:13], s[8:9]
	s_andn2_b64 exec, exec, s[8:9]
	s_cbranch_execnz .LBB1734_55
; %bb.58:                               ;   in Loop: Header=BB1734_52 Depth=1
	s_or_b64 exec, exec, s[8:9]
	s_branch .LBB1734_51
.LBB1734_59:                            ;   in Loop: Header=BB1734_52 Depth=1
                                        ; implicit-def: $vgpr8
                                        ; implicit-def: $vgpr9
	s_cbranch_execz .LBB1734_52
; %bb.60:
	s_and_saveexec_b64 s[6:7], s[4:5]
	s_cbranch_execz .LBB1734_62
; %bb.61:
	s_add_i32 s4, s40, 64
	s_mov_b32 s5, 0
	s_lshl_b64 s[4:5], s[4:5], 3
	s_add_u32 s4, s14, s4
	v_add_f32_e32 v2, v2, v41
	v_mov_b32_e32 v3, 2
	s_addc_u32 s5, s15, s5
	v_mov_b32_e32 v4, 0
	global_store_dwordx2 v4, v[2:3], s[4:5]
.LBB1734_62:
	s_or_b64 exec, exec, s[6:7]
	s_and_b64 exec, exec, s[0:1]
	s_cbranch_execz .LBB1734_64
; %bb.63:
	v_mov_b32_e32 v2, 0
	ds_write_b32 v2, v41
.LBB1734_64:
	s_or_b64 exec, exec, s[34:35]
	v_mov_b32_e32 v2, 0
	s_waitcnt lgkmcnt(0)
	s_barrier
	ds_read_b32 v2, v2
	s_waitcnt lgkmcnt(0)
	v_add_f32_e32 v3, v12, v2
	v_cndmask_b32_e64 v2, v3, v2, s[0:1]
	v_add_f32_e32 v3, v26, v2
	v_add_f32_e32 v4, v27, v3
	;; [unrolled: 1-line block ×13, first 2 shown]
	s_branch .LBB1734_75
.LBB1734_65:
                                        ; implicit-def: $vgpr2_vgpr3_vgpr4_vgpr5_vgpr6_vgpr7_vgpr8_vgpr9_vgpr10_vgpr11_vgpr12_vgpr13_vgpr14_vgpr15_vgpr16_vgpr17
	s_cbranch_execz .LBB1734_75
; %bb.66:
	s_cmp_eq_u64 s[20:21], 0
	v_mov_b32_e32 v16, s37
	s_cbranch_scc1 .LBB1734_68
; %bb.67:
	v_mov_b32_e32 v3, s39
	v_add_co_u32_e64 v2, vcc, -4, s38
	v_addc_co_u32_e32 v3, vcc, -1, v3, vcc
	flat_load_dword v2, v[2:3]
	v_mov_b32_e32 v3, 0
	global_load_dword v3, v3, s[16:17]
	s_waitcnt vmcnt(0) lgkmcnt(0)
	v_cvt_f32_i32_e32 v2, v2
	v_add_f32_e32 v16, v3, v2
.LBB1734_68:
	v_add_f32_e32 v2, v28, v35
	v_add_f32_e32 v2, v29, v2
	;; [unrolled: 1-line block ×12, first 2 shown]
	v_add_lshl_u32 v1, v1, v0, 2
	v_cmp_gt_u32_e32 vcc, 64, v0
	ds_write_b32 v1, v2
	s_waitcnt lgkmcnt(0)
	s_barrier
	s_and_saveexec_b64 s[8:9], vcc
	s_cbranch_execz .LBB1734_70
; %bb.69:
	v_lshlrev_b32_e32 v1, 1, v0
	v_lshrrev_b32_e32 v3, 4, v0
	v_add_lshl_u32 v1, v3, v1, 2
	ds_read2_b32 v[4:5], v1 offset1:1
	v_mbcnt_lo_u32_b32 v3, -1, 0
	v_mbcnt_hi_u32_b32 v3, -1, v3
	v_and_b32_e32 v6, 15, v3
	v_cmp_eq_u32_e32 vcc, 0, v6
	s_waitcnt lgkmcnt(0)
	v_add_f32_e32 v5, v4, v5
	v_cmp_lt_u32_e64 s[4:5], 3, v6
	v_cmp_lt_u32_e64 s[6:7], 31, v3
	v_mov_b32_dpp v7, v5 row_shr:1 row_mask:0xf bank_mask:0xf
	v_add_f32_e32 v7, v5, v7
	v_cndmask_b32_e32 v5, v7, v5, vcc
	v_cmp_lt_u32_e32 vcc, 1, v6
	s_nop 0
	v_mov_b32_dpp v7, v5 row_shr:2 row_mask:0xf bank_mask:0xf
	v_add_f32_e32 v7, v5, v7
	v_cndmask_b32_e32 v7, v5, v7, vcc
	; wave barrier
	s_nop 1
	v_mov_b32_dpp v8, v7 row_shr:4 row_mask:0xf bank_mask:0xf
	v_add_f32_e32 v8, v7, v8
	v_cndmask_b32_e64 v7, v7, v8, s[4:5]
	v_cmp_lt_u32_e64 s[4:5], 7, v6
	s_nop 0
	v_mov_b32_dpp v8, v7 row_shr:8 row_mask:0xf bank_mask:0xf
	v_add_f32_e32 v8, v7, v8
	v_cndmask_b32_e64 v6, v7, v8, s[4:5]
	v_and_b32_e32 v8, 16, v3
	v_cmp_eq_u32_e64 s[4:5], 0, v8
	v_mov_b32_dpp v7, v6 row_bcast:15 row_mask:0xf bank_mask:0xf
	v_add_f32_e32 v7, v6, v7
	v_cndmask_b32_e64 v6, v7, v6, s[4:5]
	v_cmp_lt_u32_e64 s[4:5], 15, v3
	s_or_b64 vcc, s[4:5], vcc
	v_mov_b32_dpp v7, v6 row_bcast:31 row_mask:0xf bank_mask:0xf
	v_add_f32_e32 v7, v6, v7
	v_cndmask_b32_e64 v6, v6, v7, s[6:7]
	v_cndmask_b32_e32 v5, v5, v6, vcc
	v_add_u32_e32 v6, -1, v3
	v_and_b32_e32 v7, 64, v3
	v_cmp_lt_i32_e32 vcc, v6, v7
	v_cndmask_b32_e32 v3, v6, v3, vcc
	v_lshlrev_b32_e32 v3, 2, v3
	ds_bpermute_b32 v3, v3, v5
	s_waitcnt lgkmcnt(0)
	v_add_f32_e32 v3, v4, v3
	v_cndmask_b32_e64 v2, v3, v2, s[0:1]
	ds_write_b32 v1, v2
	; wave barrier
	ds_read_b32 v3, v1 offset:4
	s_waitcnt lgkmcnt(0)
	v_add_f32_e32 v2, v2, v3
	ds_write_b32 v1, v2 offset:4
.LBB1734_70:
	s_or_b64 exec, exec, s[8:9]
	v_mov_b32_e32 v2, v16
	s_waitcnt lgkmcnt(0)
	s_barrier
	s_and_saveexec_b64 s[4:5], s[2:3]
	s_cbranch_execz .LBB1734_72
; %bb.71:
	v_add_u32_e32 v1, -1, v0
	v_lshrrev_b32_e32 v2, 5, v1
	v_add_lshl_u32 v1, v2, v1, 2
	ds_read_b32 v1, v1
	s_waitcnt lgkmcnt(0)
	v_add_f32_e32 v2, v16, v1
.LBB1734_72:
	s_or_b64 exec, exec, s[4:5]
	v_add_f32_e32 v3, v26, v2
	v_add_f32_e32 v4, v27, v3
	;; [unrolled: 1-line block ×13, first 2 shown]
	s_and_saveexec_b64 s[2:3], s[0:1]
	s_cbranch_execz .LBB1734_74
; %bb.73:
	v_mov_b32_e32 v1, 0
	ds_read_b32 v17, v1 offset:520
	s_waitcnt lgkmcnt(0)
	v_add_f32_e32 v16, v16, v17
	v_mov_b32_e32 v17, 2
	global_store_dwordx2 v1, v[16:17], s[14:15] offset:512
.LBB1734_74:
	s_or_b64 exec, exec, s[2:3]
.LBB1734_75:
	s_add_u32 s0, s28, s26
	s_addc_u32 s1, s29, s27
	s_add_u32 s2, s0, s30
	s_addc_u32 s3, s1, s31
	s_mov_b64 s[0:1], -1
	s_and_b64 vcc, exec, s[24:25]
	s_barrier
	s_cbranch_vccz .LBB1734_77
; %bb.76:
	ds_write2_b64 v34, v[2:3], v[4:5] offset1:1
	ds_write2_b64 v34, v[6:7], v[8:9] offset0:2 offset1:3
	ds_write2_b64 v34, v[10:11], v[12:13] offset0:4 offset1:5
	ds_write_b64 v34, v[14:15] offset:48
	s_waitcnt lgkmcnt(0)
	s_barrier
	ds_read2st64_b32 v[16:17], v32 offset1:2
	ds_read2st64_b32 v[18:19], v32 offset0:4 offset1:6
	ds_read2st64_b32 v[20:21], v32 offset0:8 offset1:10
	;; [unrolled: 1-line block ×6, first 2 shown]
	v_mov_b32_e32 v1, s3
	v_add_co_u32_e32 v30, vcc, s2, v32
	v_addc_co_u32_e32 v31, vcc, 0, v1, vcc
	s_waitcnt lgkmcnt(6)
	flat_store_dword v[30:31], v16
	flat_store_dword v[30:31], v17 offset:512
	s_waitcnt lgkmcnt(0)
	flat_store_dword v[30:31], v18 offset:1024
	flat_store_dword v[30:31], v19 offset:1536
	;; [unrolled: 1-line block ×6, first 2 shown]
	v_add_co_u32_e32 v16, vcc, 0x1000, v30
	v_addc_co_u32_e32 v17, vcc, 0, v31, vcc
	flat_store_dword v[16:17], v24
	flat_store_dword v[16:17], v25 offset:512
	flat_store_dword v[16:17], v26 offset:1024
	;; [unrolled: 1-line block ×5, first 2 shown]
	s_mov_b64 s[0:1], 0
.LBB1734_77:
	s_andn2_b64 vcc, exec, s[0:1]
	s_cbranch_vccnz .LBB1734_157
; %bb.78:
	s_movk_i32 s0, 0xffcc
	ds_write2_b64 v34, v[2:3], v[4:5] offset1:1
	ds_write2_b64 v34, v[6:7], v[8:9] offset0:2 offset1:3
	ds_write2_b64 v34, v[10:11], v[12:13] offset0:4 offset1:5
	ds_write_b64 v34, v[14:15] offset:48
	v_mad_i32_i24 v14, v0, s0, v34
	s_waitcnt lgkmcnt(0)
	s_barrier
	ds_read2st64_b32 v[4:5], v14 offset1:2
	ds_read2st64_b32 v[6:7], v14 offset0:4 offset1:6
	ds_read2st64_b32 v[8:9], v14 offset0:8 offset1:10
	;; [unrolled: 1-line block ×6, first 2 shown]
	v_mov_b32_e32 v17, s3
	v_add_co_u32_e32 v16, vcc, s2, v32
	v_addc_co_u32_e32 v17, vcc, 0, v17, vcc
	v_mov_b32_e32 v1, 0
	v_cmp_gt_u32_e32 vcc, s33, v0
	s_and_saveexec_b64 s[0:1], vcc
	s_cbranch_execz .LBB1734_80
; %bb.79:
	s_waitcnt lgkmcnt(0)
	flat_store_dword v[16:17], v4
.LBB1734_80:
	s_or_b64 exec, exec, s[0:1]
	v_or_b32_e32 v18, 0x80, v0
	v_cmp_gt_u32_e32 vcc, s33, v18
	s_and_saveexec_b64 s[0:1], vcc
	s_cbranch_execz .LBB1734_82
; %bb.81:
	s_waitcnt lgkmcnt(0)
	flat_store_dword v[16:17], v5 offset:512
.LBB1734_82:
	s_or_b64 exec, exec, s[0:1]
	v_or_b32_e32 v18, 0x100, v0
	v_cmp_gt_u32_e32 vcc, s33, v18
	s_and_saveexec_b64 s[0:1], vcc
	s_cbranch_execz .LBB1734_84
; %bb.83:
	s_waitcnt lgkmcnt(0)
	flat_store_dword v[16:17], v6 offset:1024
.LBB1734_84:
	;; [unrolled: 9-line block ×7, first 2 shown]
	s_or_b64 exec, exec, s[0:1]
	v_or_b32_e32 v18, 0x400, v0
	v_cmp_gt_u32_e32 vcc, s33, v18
	s_and_saveexec_b64 s[0:1], vcc
	s_cbranch_execz .LBB1734_96
; %bb.95:
	v_add_co_u32_e32 v18, vcc, 0x1000, v16
	v_addc_co_u32_e32 v19, vcc, 0, v17, vcc
	s_waitcnt lgkmcnt(0)
	flat_store_dword v[18:19], v12
.LBB1734_96:
	s_or_b64 exec, exec, s[0:1]
	v_or_b32_e32 v18, 0x480, v0
	v_cmp_gt_u32_e32 vcc, s33, v18
	s_and_saveexec_b64 s[0:1], vcc
	s_cbranch_execz .LBB1734_98
; %bb.97:
	v_add_co_u32_e32 v18, vcc, 0x1000, v16
	v_addc_co_u32_e32 v19, vcc, 0, v17, vcc
	s_waitcnt lgkmcnt(0)
	flat_store_dword v[18:19], v13 offset:512
.LBB1734_98:
	s_or_b64 exec, exec, s[0:1]
	v_or_b32_e32 v18, 0x500, v0
	v_cmp_gt_u32_e32 vcc, s33, v18
	s_and_saveexec_b64 s[0:1], vcc
	s_cbranch_execz .LBB1734_100
; %bb.99:
	v_add_co_u32_e32 v18, vcc, 0x1000, v16
	v_addc_co_u32_e32 v19, vcc, 0, v17, vcc
	s_waitcnt lgkmcnt(0)
	flat_store_dword v[18:19], v10 offset:1024
.LBB1734_100:
	;; [unrolled: 11-line block ×5, first 2 shown]
	s_or_b64 exec, exec, s[0:1]
	v_cmp_lt_u64_e64 s[0:1], s[22:23], 2
	s_and_b64 vcc, exec, s[0:1]
	s_cbranch_vccnz .LBB1734_157
; %bb.107:
	s_add_u32 s0, s33, -1
	s_addc_u32 s1, s36, -1
	s_add_u32 s2, 0, 0x49240800
	s_addc_u32 s3, 0, 50
	s_add_i32 s3, s3, 0x12492460
	s_mul_hi_u32 s7, s2, -14
	s_sub_i32 s7, s7, s2
	s_mul_i32 s8, s3, -14
	s_mul_i32 s4, s2, -14
	s_add_i32 s7, s7, s8
	s_mul_hi_u32 s5, s3, s4
	s_mul_i32 s6, s3, s4
	s_mul_i32 s9, s2, s7
	s_mul_hi_u32 s4, s2, s4
	s_mul_hi_u32 s8, s2, s7
	s_add_u32 s4, s4, s9
	s_addc_u32 s8, 0, s8
	s_add_u32 s4, s4, s6
	s_mul_hi_u32 s9, s3, s7
	s_addc_u32 s4, s8, s5
	s_addc_u32 s5, s9, 0
	s_mul_i32 s6, s3, s7
	s_add_u32 s4, s4, s6
	v_mov_b32_e32 v16, s4
	s_addc_u32 s5, 0, s5
	v_add_co_u32_e32 v16, vcc, s2, v16
	s_cmp_lg_u64 vcc, 0
	s_addc_u32 s2, s3, s5
	v_readfirstlane_b32 s5, v16
	s_mul_i32 s4, s0, s2
	s_mul_hi_u32 s6, s0, s5
	s_mul_hi_u32 s3, s0, s2
	s_add_u32 s4, s6, s4
	s_addc_u32 s3, 0, s3
	s_mul_hi_u32 s7, s1, s5
	s_mul_i32 s5, s1, s5
	s_add_u32 s4, s4, s5
	s_mul_hi_u32 s6, s1, s2
	s_addc_u32 s3, s3, s7
	s_addc_u32 s4, s6, 0
	s_mul_i32 s2, s1, s2
	s_add_u32 s2, s3, s2
	s_addc_u32 s3, 0, s4
	s_add_u32 s4, s2, 1
	s_addc_u32 s5, s3, 0
	s_add_u32 s6, s2, 2
	s_mul_i32 s8, s3, 14
	s_mul_hi_u32 s9, s2, 14
	s_addc_u32 s7, s3, 0
	s_add_i32 s9, s9, s8
	s_mul_i32 s8, s2, 14
	v_mov_b32_e32 v16, s8
	v_sub_co_u32_e32 v16, vcc, s0, v16
	s_cmp_lg_u64 vcc, 0
	s_subb_u32 s8, s1, s9
	v_subrev_co_u32_e32 v17, vcc, 14, v16
	s_cmp_lg_u64 vcc, 0
	s_subb_u32 s9, s8, 0
	v_readfirstlane_b32 s10, v17
	s_cmp_gt_u32 s10, 13
	s_cselect_b32 s10, -1, 0
	s_cmp_eq_u32 s9, 0
	s_cselect_b32 s9, s10, -1
	s_cmp_lg_u32 s9, 0
	s_cselect_b32 s4, s6, s4
	v_readfirstlane_b32 s6, v16
	s_cselect_b32 s5, s7, s5
	s_cmp_gt_u32 s6, 13
	s_cselect_b32 s6, -1, 0
	s_cmp_eq_u32 s8, 0
	s_cselect_b32 s6, s6, -1
	s_cmp_lg_u32 s6, 0
	s_cselect_b32 s3, s5, s3
	s_cselect_b32 s2, s4, s2
	v_cmp_eq_u64_e32 vcc, s[2:3], v[0:1]
	s_and_saveexec_b64 s[2:3], vcc
	s_cbranch_execz .LBB1734_157
; %bb.108:
	v_mul_hi_u32_u24_e32 v1, 14, v0
	v_mov_b32_e32 v16, s1
	v_sub_co_u32_e32 v0, vcc, s0, v33
	v_subb_co_u32_e32 v1, vcc, v16, v1, vcc
	v_cmp_lt_i64_e32 vcc, 6, v[0:1]
	s_and_saveexec_b64 s[0:1], vcc
	s_xor_b64 s[0:1], exec, s[0:1]
	s_cbranch_execz .LBB1734_134
; %bb.109:
	v_cmp_lt_i64_e32 vcc, 9, v[0:1]
	s_and_saveexec_b64 s[2:3], vcc
	s_xor_b64 s[2:3], exec, s[2:3]
	s_cbranch_execz .LBB1734_123
; %bb.110:
	;; [unrolled: 5-line block ×4, first 2 shown]
	v_mov_b32_e32 v0, 0
	s_waitcnt lgkmcnt(0)
	global_store_dword v0, v15, s[18:19]
                                        ; implicit-def: $vgpr14_vgpr15
.LBB1734_113:
	s_andn2_saveexec_b64 s[6:7], s[6:7]
	s_cbranch_execz .LBB1734_115
; %bb.114:
	v_mov_b32_e32 v0, 0
	s_waitcnt lgkmcnt(0)
	global_store_dword v0, v14, s[18:19]
.LBB1734_115:
	s_or_b64 exec, exec, s[6:7]
                                        ; implicit-def: $vgpr10_vgpr11
                                        ; implicit-def: $vgpr0_vgpr1
.LBB1734_116:
	s_andn2_saveexec_b64 s[4:5], s[4:5]
	s_cbranch_execz .LBB1734_122
; %bb.117:
	v_cmp_lt_i64_e32 vcc, 10, v[0:1]
	s_and_saveexec_b64 s[6:7], vcc
	s_xor_b64 s[6:7], exec, s[6:7]
	s_cbranch_execz .LBB1734_119
; %bb.118:
	v_mov_b32_e32 v0, 0
	s_waitcnt lgkmcnt(0)
	global_store_dword v0, v11, s[18:19]
                                        ; implicit-def: $vgpr10_vgpr11
.LBB1734_119:
	s_andn2_saveexec_b64 s[6:7], s[6:7]
	s_cbranch_execz .LBB1734_121
; %bb.120:
	v_mov_b32_e32 v0, 0
	s_waitcnt lgkmcnt(0)
	global_store_dword v0, v10, s[18:19]
.LBB1734_121:
	s_or_b64 exec, exec, s[6:7]
.LBB1734_122:
	s_or_b64 exec, exec, s[4:5]
                                        ; implicit-def: $vgpr2_vgpr3
                                        ; implicit-def: $vgpr0_vgpr1
                                        ; implicit-def: $vgpr12_vgpr13
.LBB1734_123:
	s_andn2_saveexec_b64 s[2:3], s[2:3]
	s_cbranch_execz .LBB1734_133
; %bb.124:
	v_cmp_lt_i64_e32 vcc, 7, v[0:1]
	s_and_saveexec_b64 s[4:5], vcc
	s_xor_b64 s[4:5], exec, s[4:5]
	s_cbranch_execz .LBB1734_130
; %bb.125:
	v_cmp_lt_i64_e32 vcc, 8, v[0:1]
	s_and_saveexec_b64 s[6:7], vcc
	s_xor_b64 s[6:7], exec, s[6:7]
	s_cbranch_execz .LBB1734_127
; %bb.126:
	v_mov_b32_e32 v0, 0
	s_waitcnt lgkmcnt(0)
	global_store_dword v0, v13, s[18:19]
                                        ; implicit-def: $vgpr12_vgpr13
.LBB1734_127:
	s_andn2_saveexec_b64 s[6:7], s[6:7]
	s_cbranch_execz .LBB1734_129
; %bb.128:
	v_mov_b32_e32 v0, 0
	s_waitcnt lgkmcnt(0)
	global_store_dword v0, v12, s[18:19]
.LBB1734_129:
	s_or_b64 exec, exec, s[6:7]
                                        ; implicit-def: $vgpr2_vgpr3
.LBB1734_130:
	s_andn2_saveexec_b64 s[4:5], s[4:5]
	s_cbranch_execz .LBB1734_132
; %bb.131:
	v_mov_b32_e32 v0, 0
	s_waitcnt lgkmcnt(0)
	global_store_dword v0, v3, s[18:19]
.LBB1734_132:
	s_or_b64 exec, exec, s[4:5]
.LBB1734_133:
	s_or_b64 exec, exec, s[2:3]
                                        ; implicit-def: $vgpr0_vgpr1
                                        ; implicit-def: $vgpr8_vgpr9
                                        ; implicit-def: $vgpr4_vgpr5
                                        ; implicit-def: $vgpr6_vgpr7
                                        ; implicit-def: $vgpr2_vgpr3
.LBB1734_134:
	s_andn2_saveexec_b64 s[0:1], s[0:1]
	s_cbranch_execz .LBB1734_157
; %bb.135:
	v_cmp_lt_i64_e32 vcc, 3, v[0:1]
	s_and_saveexec_b64 s[0:1], vcc
	s_xor_b64 s[0:1], exec, s[0:1]
	s_cbranch_execz .LBB1734_145
; %bb.136:
	v_cmp_lt_i64_e32 vcc, 4, v[0:1]
	s_and_saveexec_b64 s[2:3], vcc
	s_xor_b64 s[2:3], exec, s[2:3]
	;; [unrolled: 5-line block ×3, first 2 shown]
	s_cbranch_execz .LBB1734_139
; %bb.138:
	v_mov_b32_e32 v0, 0
	s_waitcnt lgkmcnt(0)
	global_store_dword v0, v2, s[18:19]
                                        ; implicit-def: $vgpr8_vgpr9
.LBB1734_139:
	s_andn2_saveexec_b64 s[4:5], s[4:5]
	s_cbranch_execz .LBB1734_141
; %bb.140:
	v_mov_b32_e32 v0, 0
	s_waitcnt lgkmcnt(0)
	global_store_dword v0, v9, s[18:19]
.LBB1734_141:
	s_or_b64 exec, exec, s[4:5]
                                        ; implicit-def: $vgpr8_vgpr9
.LBB1734_142:
	s_andn2_saveexec_b64 s[2:3], s[2:3]
	s_cbranch_execz .LBB1734_144
; %bb.143:
	v_mov_b32_e32 v0, 0
	s_waitcnt lgkmcnt(0)
	global_store_dword v0, v8, s[18:19]
.LBB1734_144:
	s_or_b64 exec, exec, s[2:3]
                                        ; implicit-def: $vgpr0_vgpr1
                                        ; implicit-def: $vgpr4_vgpr5
                                        ; implicit-def: $vgpr6_vgpr7
.LBB1734_145:
	s_andn2_saveexec_b64 s[0:1], s[0:1]
	s_cbranch_execz .LBB1734_157
; %bb.146:
	v_cmp_lt_i64_e32 vcc, 1, v[0:1]
	s_and_saveexec_b64 s[0:1], vcc
	s_xor_b64 s[0:1], exec, s[0:1]
	s_cbranch_execz .LBB1734_152
; %bb.147:
	v_cmp_lt_i64_e32 vcc, 2, v[0:1]
	s_and_saveexec_b64 s[2:3], vcc
	s_xor_b64 s[2:3], exec, s[2:3]
	s_cbranch_execz .LBB1734_149
; %bb.148:
	v_mov_b32_e32 v0, 0
	s_waitcnt lgkmcnt(0)
	global_store_dword v0, v7, s[18:19]
                                        ; implicit-def: $vgpr6_vgpr7
.LBB1734_149:
	s_andn2_saveexec_b64 s[2:3], s[2:3]
	s_cbranch_execz .LBB1734_151
; %bb.150:
	v_mov_b32_e32 v0, 0
	s_waitcnt lgkmcnt(0)
	global_store_dword v0, v6, s[18:19]
.LBB1734_151:
	s_or_b64 exec, exec, s[2:3]
                                        ; implicit-def: $vgpr4_vgpr5
                                        ; implicit-def: $vgpr0_vgpr1
.LBB1734_152:
	s_andn2_saveexec_b64 s[0:1], s[0:1]
	s_cbranch_execz .LBB1734_157
; %bb.153:
	v_cmp_ne_u64_e32 vcc, 1, v[0:1]
	s_and_saveexec_b64 s[0:1], vcc
	s_xor_b64 s[0:1], exec, s[0:1]
	s_cbranch_execz .LBB1734_155
; %bb.154:
	v_mov_b32_e32 v0, 0
	s_waitcnt lgkmcnt(0)
	global_store_dword v0, v4, s[18:19]
                                        ; implicit-def: $vgpr4_vgpr5
.LBB1734_155:
	s_andn2_saveexec_b64 s[0:1], s[0:1]
	s_cbranch_execz .LBB1734_157
; %bb.156:
	v_mov_b32_e32 v0, 0
	s_waitcnt lgkmcnt(0)
	global_store_dword v0, v5, s[18:19]
.LBB1734_157:
	s_endpgm
	.section	.rodata,"a",@progbits
	.p2align	6, 0x0
	.amdhsa_kernel _ZN7rocprim17ROCPRIM_400000_NS6detail17trampoline_kernelINS0_14default_configENS1_20scan_config_selectorIfEEZZNS1_9scan_implILNS1_25lookback_scan_determinismE0ELb1ELb1ES3_N6thrust23THRUST_200600_302600_NS6detail15normal_iteratorINS9_10device_ptrIiEEEENSB_INSC_IfEEEEfNS9_4plusIvEEfEEDaPvRmT3_T4_T5_mT6_P12ihipStream_tbENKUlT_T0_E_clISt17integral_constantIbLb1EESW_EEDaSR_SS_EUlSR_E_NS1_11comp_targetILNS1_3genE4ELNS1_11target_archE910ELNS1_3gpuE8ELNS1_3repE0EEENS1_30default_config_static_selectorELNS0_4arch9wavefront6targetE1EEEvT1_
		.amdhsa_group_segment_fixed_size 7168
		.amdhsa_private_segment_fixed_size 0
		.amdhsa_kernarg_size 96
		.amdhsa_user_sgpr_count 6
		.amdhsa_user_sgpr_private_segment_buffer 1
		.amdhsa_user_sgpr_dispatch_ptr 0
		.amdhsa_user_sgpr_queue_ptr 0
		.amdhsa_user_sgpr_kernarg_segment_ptr 1
		.amdhsa_user_sgpr_dispatch_id 0
		.amdhsa_user_sgpr_flat_scratch_init 0
		.amdhsa_user_sgpr_kernarg_preload_length 0
		.amdhsa_user_sgpr_kernarg_preload_offset 0
		.amdhsa_user_sgpr_private_segment_size 0
		.amdhsa_uses_dynamic_stack 0
		.amdhsa_system_sgpr_private_segment_wavefront_offset 0
		.amdhsa_system_sgpr_workgroup_id_x 1
		.amdhsa_system_sgpr_workgroup_id_y 0
		.amdhsa_system_sgpr_workgroup_id_z 0
		.amdhsa_system_sgpr_workgroup_info 0
		.amdhsa_system_vgpr_workitem_id 0
		.amdhsa_next_free_vgpr 49
		.amdhsa_next_free_sgpr 41
		.amdhsa_accum_offset 52
		.amdhsa_reserve_vcc 1
		.amdhsa_reserve_flat_scratch 0
		.amdhsa_float_round_mode_32 0
		.amdhsa_float_round_mode_16_64 0
		.amdhsa_float_denorm_mode_32 3
		.amdhsa_float_denorm_mode_16_64 3
		.amdhsa_dx10_clamp 1
		.amdhsa_ieee_mode 1
		.amdhsa_fp16_overflow 0
		.amdhsa_tg_split 0
		.amdhsa_exception_fp_ieee_invalid_op 0
		.amdhsa_exception_fp_denorm_src 0
		.amdhsa_exception_fp_ieee_div_zero 0
		.amdhsa_exception_fp_ieee_overflow 0
		.amdhsa_exception_fp_ieee_underflow 0
		.amdhsa_exception_fp_ieee_inexact 0
		.amdhsa_exception_int_div_zero 0
	.end_amdhsa_kernel
	.section	.text._ZN7rocprim17ROCPRIM_400000_NS6detail17trampoline_kernelINS0_14default_configENS1_20scan_config_selectorIfEEZZNS1_9scan_implILNS1_25lookback_scan_determinismE0ELb1ELb1ES3_N6thrust23THRUST_200600_302600_NS6detail15normal_iteratorINS9_10device_ptrIiEEEENSB_INSC_IfEEEEfNS9_4plusIvEEfEEDaPvRmT3_T4_T5_mT6_P12ihipStream_tbENKUlT_T0_E_clISt17integral_constantIbLb1EESW_EEDaSR_SS_EUlSR_E_NS1_11comp_targetILNS1_3genE4ELNS1_11target_archE910ELNS1_3gpuE8ELNS1_3repE0EEENS1_30default_config_static_selectorELNS0_4arch9wavefront6targetE1EEEvT1_,"axG",@progbits,_ZN7rocprim17ROCPRIM_400000_NS6detail17trampoline_kernelINS0_14default_configENS1_20scan_config_selectorIfEEZZNS1_9scan_implILNS1_25lookback_scan_determinismE0ELb1ELb1ES3_N6thrust23THRUST_200600_302600_NS6detail15normal_iteratorINS9_10device_ptrIiEEEENSB_INSC_IfEEEEfNS9_4plusIvEEfEEDaPvRmT3_T4_T5_mT6_P12ihipStream_tbENKUlT_T0_E_clISt17integral_constantIbLb1EESW_EEDaSR_SS_EUlSR_E_NS1_11comp_targetILNS1_3genE4ELNS1_11target_archE910ELNS1_3gpuE8ELNS1_3repE0EEENS1_30default_config_static_selectorELNS0_4arch9wavefront6targetE1EEEvT1_,comdat
.Lfunc_end1734:
	.size	_ZN7rocprim17ROCPRIM_400000_NS6detail17trampoline_kernelINS0_14default_configENS1_20scan_config_selectorIfEEZZNS1_9scan_implILNS1_25lookback_scan_determinismE0ELb1ELb1ES3_N6thrust23THRUST_200600_302600_NS6detail15normal_iteratorINS9_10device_ptrIiEEEENSB_INSC_IfEEEEfNS9_4plusIvEEfEEDaPvRmT3_T4_T5_mT6_P12ihipStream_tbENKUlT_T0_E_clISt17integral_constantIbLb1EESW_EEDaSR_SS_EUlSR_E_NS1_11comp_targetILNS1_3genE4ELNS1_11target_archE910ELNS1_3gpuE8ELNS1_3repE0EEENS1_30default_config_static_selectorELNS0_4arch9wavefront6targetE1EEEvT1_, .Lfunc_end1734-_ZN7rocprim17ROCPRIM_400000_NS6detail17trampoline_kernelINS0_14default_configENS1_20scan_config_selectorIfEEZZNS1_9scan_implILNS1_25lookback_scan_determinismE0ELb1ELb1ES3_N6thrust23THRUST_200600_302600_NS6detail15normal_iteratorINS9_10device_ptrIiEEEENSB_INSC_IfEEEEfNS9_4plusIvEEfEEDaPvRmT3_T4_T5_mT6_P12ihipStream_tbENKUlT_T0_E_clISt17integral_constantIbLb1EESW_EEDaSR_SS_EUlSR_E_NS1_11comp_targetILNS1_3genE4ELNS1_11target_archE910ELNS1_3gpuE8ELNS1_3repE0EEENS1_30default_config_static_selectorELNS0_4arch9wavefront6targetE1EEEvT1_
                                        ; -- End function
	.section	.AMDGPU.csdata,"",@progbits
; Kernel info:
; codeLenInByte = 5936
; NumSgprs: 45
; NumVgprs: 49
; NumAgprs: 0
; TotalNumVgprs: 49
; ScratchSize: 0
; MemoryBound: 0
; FloatMode: 240
; IeeeMode: 1
; LDSByteSize: 7168 bytes/workgroup (compile time only)
; SGPRBlocks: 5
; VGPRBlocks: 6
; NumSGPRsForWavesPerEU: 45
; NumVGPRsForWavesPerEU: 49
; AccumOffset: 52
; Occupancy: 5
; WaveLimiterHint : 1
; COMPUTE_PGM_RSRC2:SCRATCH_EN: 0
; COMPUTE_PGM_RSRC2:USER_SGPR: 6
; COMPUTE_PGM_RSRC2:TRAP_HANDLER: 0
; COMPUTE_PGM_RSRC2:TGID_X_EN: 1
; COMPUTE_PGM_RSRC2:TGID_Y_EN: 0
; COMPUTE_PGM_RSRC2:TGID_Z_EN: 0
; COMPUTE_PGM_RSRC2:TIDIG_COMP_CNT: 0
; COMPUTE_PGM_RSRC3_GFX90A:ACCUM_OFFSET: 12
; COMPUTE_PGM_RSRC3_GFX90A:TG_SPLIT: 0
	.section	.text._ZN7rocprim17ROCPRIM_400000_NS6detail17trampoline_kernelINS0_14default_configENS1_20scan_config_selectorIfEEZZNS1_9scan_implILNS1_25lookback_scan_determinismE0ELb1ELb1ES3_N6thrust23THRUST_200600_302600_NS6detail15normal_iteratorINS9_10device_ptrIiEEEENSB_INSC_IfEEEEfNS9_4plusIvEEfEEDaPvRmT3_T4_T5_mT6_P12ihipStream_tbENKUlT_T0_E_clISt17integral_constantIbLb1EESW_EEDaSR_SS_EUlSR_E_NS1_11comp_targetILNS1_3genE3ELNS1_11target_archE908ELNS1_3gpuE7ELNS1_3repE0EEENS1_30default_config_static_selectorELNS0_4arch9wavefront6targetE1EEEvT1_,"axG",@progbits,_ZN7rocprim17ROCPRIM_400000_NS6detail17trampoline_kernelINS0_14default_configENS1_20scan_config_selectorIfEEZZNS1_9scan_implILNS1_25lookback_scan_determinismE0ELb1ELb1ES3_N6thrust23THRUST_200600_302600_NS6detail15normal_iteratorINS9_10device_ptrIiEEEENSB_INSC_IfEEEEfNS9_4plusIvEEfEEDaPvRmT3_T4_T5_mT6_P12ihipStream_tbENKUlT_T0_E_clISt17integral_constantIbLb1EESW_EEDaSR_SS_EUlSR_E_NS1_11comp_targetILNS1_3genE3ELNS1_11target_archE908ELNS1_3gpuE7ELNS1_3repE0EEENS1_30default_config_static_selectorELNS0_4arch9wavefront6targetE1EEEvT1_,comdat
	.protected	_ZN7rocprim17ROCPRIM_400000_NS6detail17trampoline_kernelINS0_14default_configENS1_20scan_config_selectorIfEEZZNS1_9scan_implILNS1_25lookback_scan_determinismE0ELb1ELb1ES3_N6thrust23THRUST_200600_302600_NS6detail15normal_iteratorINS9_10device_ptrIiEEEENSB_INSC_IfEEEEfNS9_4plusIvEEfEEDaPvRmT3_T4_T5_mT6_P12ihipStream_tbENKUlT_T0_E_clISt17integral_constantIbLb1EESW_EEDaSR_SS_EUlSR_E_NS1_11comp_targetILNS1_3genE3ELNS1_11target_archE908ELNS1_3gpuE7ELNS1_3repE0EEENS1_30default_config_static_selectorELNS0_4arch9wavefront6targetE1EEEvT1_ ; -- Begin function _ZN7rocprim17ROCPRIM_400000_NS6detail17trampoline_kernelINS0_14default_configENS1_20scan_config_selectorIfEEZZNS1_9scan_implILNS1_25lookback_scan_determinismE0ELb1ELb1ES3_N6thrust23THRUST_200600_302600_NS6detail15normal_iteratorINS9_10device_ptrIiEEEENSB_INSC_IfEEEEfNS9_4plusIvEEfEEDaPvRmT3_T4_T5_mT6_P12ihipStream_tbENKUlT_T0_E_clISt17integral_constantIbLb1EESW_EEDaSR_SS_EUlSR_E_NS1_11comp_targetILNS1_3genE3ELNS1_11target_archE908ELNS1_3gpuE7ELNS1_3repE0EEENS1_30default_config_static_selectorELNS0_4arch9wavefront6targetE1EEEvT1_
	.globl	_ZN7rocprim17ROCPRIM_400000_NS6detail17trampoline_kernelINS0_14default_configENS1_20scan_config_selectorIfEEZZNS1_9scan_implILNS1_25lookback_scan_determinismE0ELb1ELb1ES3_N6thrust23THRUST_200600_302600_NS6detail15normal_iteratorINS9_10device_ptrIiEEEENSB_INSC_IfEEEEfNS9_4plusIvEEfEEDaPvRmT3_T4_T5_mT6_P12ihipStream_tbENKUlT_T0_E_clISt17integral_constantIbLb1EESW_EEDaSR_SS_EUlSR_E_NS1_11comp_targetILNS1_3genE3ELNS1_11target_archE908ELNS1_3gpuE7ELNS1_3repE0EEENS1_30default_config_static_selectorELNS0_4arch9wavefront6targetE1EEEvT1_
	.p2align	8
	.type	_ZN7rocprim17ROCPRIM_400000_NS6detail17trampoline_kernelINS0_14default_configENS1_20scan_config_selectorIfEEZZNS1_9scan_implILNS1_25lookback_scan_determinismE0ELb1ELb1ES3_N6thrust23THRUST_200600_302600_NS6detail15normal_iteratorINS9_10device_ptrIiEEEENSB_INSC_IfEEEEfNS9_4plusIvEEfEEDaPvRmT3_T4_T5_mT6_P12ihipStream_tbENKUlT_T0_E_clISt17integral_constantIbLb1EESW_EEDaSR_SS_EUlSR_E_NS1_11comp_targetILNS1_3genE3ELNS1_11target_archE908ELNS1_3gpuE7ELNS1_3repE0EEENS1_30default_config_static_selectorELNS0_4arch9wavefront6targetE1EEEvT1_,@function
_ZN7rocprim17ROCPRIM_400000_NS6detail17trampoline_kernelINS0_14default_configENS1_20scan_config_selectorIfEEZZNS1_9scan_implILNS1_25lookback_scan_determinismE0ELb1ELb1ES3_N6thrust23THRUST_200600_302600_NS6detail15normal_iteratorINS9_10device_ptrIiEEEENSB_INSC_IfEEEEfNS9_4plusIvEEfEEDaPvRmT3_T4_T5_mT6_P12ihipStream_tbENKUlT_T0_E_clISt17integral_constantIbLb1EESW_EEDaSR_SS_EUlSR_E_NS1_11comp_targetILNS1_3genE3ELNS1_11target_archE908ELNS1_3gpuE7ELNS1_3repE0EEENS1_30default_config_static_selectorELNS0_4arch9wavefront6targetE1EEEvT1_: ; @_ZN7rocprim17ROCPRIM_400000_NS6detail17trampoline_kernelINS0_14default_configENS1_20scan_config_selectorIfEEZZNS1_9scan_implILNS1_25lookback_scan_determinismE0ELb1ELb1ES3_N6thrust23THRUST_200600_302600_NS6detail15normal_iteratorINS9_10device_ptrIiEEEENSB_INSC_IfEEEEfNS9_4plusIvEEfEEDaPvRmT3_T4_T5_mT6_P12ihipStream_tbENKUlT_T0_E_clISt17integral_constantIbLb1EESW_EEDaSR_SS_EUlSR_E_NS1_11comp_targetILNS1_3genE3ELNS1_11target_archE908ELNS1_3gpuE7ELNS1_3repE0EEENS1_30default_config_static_selectorELNS0_4arch9wavefront6targetE1EEEvT1_
; %bb.0:
	.section	.rodata,"a",@progbits
	.p2align	6, 0x0
	.amdhsa_kernel _ZN7rocprim17ROCPRIM_400000_NS6detail17trampoline_kernelINS0_14default_configENS1_20scan_config_selectorIfEEZZNS1_9scan_implILNS1_25lookback_scan_determinismE0ELb1ELb1ES3_N6thrust23THRUST_200600_302600_NS6detail15normal_iteratorINS9_10device_ptrIiEEEENSB_INSC_IfEEEEfNS9_4plusIvEEfEEDaPvRmT3_T4_T5_mT6_P12ihipStream_tbENKUlT_T0_E_clISt17integral_constantIbLb1EESW_EEDaSR_SS_EUlSR_E_NS1_11comp_targetILNS1_3genE3ELNS1_11target_archE908ELNS1_3gpuE7ELNS1_3repE0EEENS1_30default_config_static_selectorELNS0_4arch9wavefront6targetE1EEEvT1_
		.amdhsa_group_segment_fixed_size 0
		.amdhsa_private_segment_fixed_size 0
		.amdhsa_kernarg_size 96
		.amdhsa_user_sgpr_count 6
		.amdhsa_user_sgpr_private_segment_buffer 1
		.amdhsa_user_sgpr_dispatch_ptr 0
		.amdhsa_user_sgpr_queue_ptr 0
		.amdhsa_user_sgpr_kernarg_segment_ptr 1
		.amdhsa_user_sgpr_dispatch_id 0
		.amdhsa_user_sgpr_flat_scratch_init 0
		.amdhsa_user_sgpr_kernarg_preload_length 0
		.amdhsa_user_sgpr_kernarg_preload_offset 0
		.amdhsa_user_sgpr_private_segment_size 0
		.amdhsa_uses_dynamic_stack 0
		.amdhsa_system_sgpr_private_segment_wavefront_offset 0
		.amdhsa_system_sgpr_workgroup_id_x 1
		.amdhsa_system_sgpr_workgroup_id_y 0
		.amdhsa_system_sgpr_workgroup_id_z 0
		.amdhsa_system_sgpr_workgroup_info 0
		.amdhsa_system_vgpr_workitem_id 0
		.amdhsa_next_free_vgpr 1
		.amdhsa_next_free_sgpr 0
		.amdhsa_accum_offset 4
		.amdhsa_reserve_vcc 0
		.amdhsa_reserve_flat_scratch 0
		.amdhsa_float_round_mode_32 0
		.amdhsa_float_round_mode_16_64 0
		.amdhsa_float_denorm_mode_32 3
		.amdhsa_float_denorm_mode_16_64 3
		.amdhsa_dx10_clamp 1
		.amdhsa_ieee_mode 1
		.amdhsa_fp16_overflow 0
		.amdhsa_tg_split 0
		.amdhsa_exception_fp_ieee_invalid_op 0
		.amdhsa_exception_fp_denorm_src 0
		.amdhsa_exception_fp_ieee_div_zero 0
		.amdhsa_exception_fp_ieee_overflow 0
		.amdhsa_exception_fp_ieee_underflow 0
		.amdhsa_exception_fp_ieee_inexact 0
		.amdhsa_exception_int_div_zero 0
	.end_amdhsa_kernel
	.section	.text._ZN7rocprim17ROCPRIM_400000_NS6detail17trampoline_kernelINS0_14default_configENS1_20scan_config_selectorIfEEZZNS1_9scan_implILNS1_25lookback_scan_determinismE0ELb1ELb1ES3_N6thrust23THRUST_200600_302600_NS6detail15normal_iteratorINS9_10device_ptrIiEEEENSB_INSC_IfEEEEfNS9_4plusIvEEfEEDaPvRmT3_T4_T5_mT6_P12ihipStream_tbENKUlT_T0_E_clISt17integral_constantIbLb1EESW_EEDaSR_SS_EUlSR_E_NS1_11comp_targetILNS1_3genE3ELNS1_11target_archE908ELNS1_3gpuE7ELNS1_3repE0EEENS1_30default_config_static_selectorELNS0_4arch9wavefront6targetE1EEEvT1_,"axG",@progbits,_ZN7rocprim17ROCPRIM_400000_NS6detail17trampoline_kernelINS0_14default_configENS1_20scan_config_selectorIfEEZZNS1_9scan_implILNS1_25lookback_scan_determinismE0ELb1ELb1ES3_N6thrust23THRUST_200600_302600_NS6detail15normal_iteratorINS9_10device_ptrIiEEEENSB_INSC_IfEEEEfNS9_4plusIvEEfEEDaPvRmT3_T4_T5_mT6_P12ihipStream_tbENKUlT_T0_E_clISt17integral_constantIbLb1EESW_EEDaSR_SS_EUlSR_E_NS1_11comp_targetILNS1_3genE3ELNS1_11target_archE908ELNS1_3gpuE7ELNS1_3repE0EEENS1_30default_config_static_selectorELNS0_4arch9wavefront6targetE1EEEvT1_,comdat
.Lfunc_end1735:
	.size	_ZN7rocprim17ROCPRIM_400000_NS6detail17trampoline_kernelINS0_14default_configENS1_20scan_config_selectorIfEEZZNS1_9scan_implILNS1_25lookback_scan_determinismE0ELb1ELb1ES3_N6thrust23THRUST_200600_302600_NS6detail15normal_iteratorINS9_10device_ptrIiEEEENSB_INSC_IfEEEEfNS9_4plusIvEEfEEDaPvRmT3_T4_T5_mT6_P12ihipStream_tbENKUlT_T0_E_clISt17integral_constantIbLb1EESW_EEDaSR_SS_EUlSR_E_NS1_11comp_targetILNS1_3genE3ELNS1_11target_archE908ELNS1_3gpuE7ELNS1_3repE0EEENS1_30default_config_static_selectorELNS0_4arch9wavefront6targetE1EEEvT1_, .Lfunc_end1735-_ZN7rocprim17ROCPRIM_400000_NS6detail17trampoline_kernelINS0_14default_configENS1_20scan_config_selectorIfEEZZNS1_9scan_implILNS1_25lookback_scan_determinismE0ELb1ELb1ES3_N6thrust23THRUST_200600_302600_NS6detail15normal_iteratorINS9_10device_ptrIiEEEENSB_INSC_IfEEEEfNS9_4plusIvEEfEEDaPvRmT3_T4_T5_mT6_P12ihipStream_tbENKUlT_T0_E_clISt17integral_constantIbLb1EESW_EEDaSR_SS_EUlSR_E_NS1_11comp_targetILNS1_3genE3ELNS1_11target_archE908ELNS1_3gpuE7ELNS1_3repE0EEENS1_30default_config_static_selectorELNS0_4arch9wavefront6targetE1EEEvT1_
                                        ; -- End function
	.section	.AMDGPU.csdata,"",@progbits
; Kernel info:
; codeLenInByte = 0
; NumSgprs: 4
; NumVgprs: 0
; NumAgprs: 0
; TotalNumVgprs: 0
; ScratchSize: 0
; MemoryBound: 0
; FloatMode: 240
; IeeeMode: 1
; LDSByteSize: 0 bytes/workgroup (compile time only)
; SGPRBlocks: 0
; VGPRBlocks: 0
; NumSGPRsForWavesPerEU: 4
; NumVGPRsForWavesPerEU: 1
; AccumOffset: 4
; Occupancy: 8
; WaveLimiterHint : 0
; COMPUTE_PGM_RSRC2:SCRATCH_EN: 0
; COMPUTE_PGM_RSRC2:USER_SGPR: 6
; COMPUTE_PGM_RSRC2:TRAP_HANDLER: 0
; COMPUTE_PGM_RSRC2:TGID_X_EN: 1
; COMPUTE_PGM_RSRC2:TGID_Y_EN: 0
; COMPUTE_PGM_RSRC2:TGID_Z_EN: 0
; COMPUTE_PGM_RSRC2:TIDIG_COMP_CNT: 0
; COMPUTE_PGM_RSRC3_GFX90A:ACCUM_OFFSET: 0
; COMPUTE_PGM_RSRC3_GFX90A:TG_SPLIT: 0
	.section	.text._ZN7rocprim17ROCPRIM_400000_NS6detail17trampoline_kernelINS0_14default_configENS1_20scan_config_selectorIfEEZZNS1_9scan_implILNS1_25lookback_scan_determinismE0ELb1ELb1ES3_N6thrust23THRUST_200600_302600_NS6detail15normal_iteratorINS9_10device_ptrIiEEEENSB_INSC_IfEEEEfNS9_4plusIvEEfEEDaPvRmT3_T4_T5_mT6_P12ihipStream_tbENKUlT_T0_E_clISt17integral_constantIbLb1EESW_EEDaSR_SS_EUlSR_E_NS1_11comp_targetILNS1_3genE2ELNS1_11target_archE906ELNS1_3gpuE6ELNS1_3repE0EEENS1_30default_config_static_selectorELNS0_4arch9wavefront6targetE1EEEvT1_,"axG",@progbits,_ZN7rocprim17ROCPRIM_400000_NS6detail17trampoline_kernelINS0_14default_configENS1_20scan_config_selectorIfEEZZNS1_9scan_implILNS1_25lookback_scan_determinismE0ELb1ELb1ES3_N6thrust23THRUST_200600_302600_NS6detail15normal_iteratorINS9_10device_ptrIiEEEENSB_INSC_IfEEEEfNS9_4plusIvEEfEEDaPvRmT3_T4_T5_mT6_P12ihipStream_tbENKUlT_T0_E_clISt17integral_constantIbLb1EESW_EEDaSR_SS_EUlSR_E_NS1_11comp_targetILNS1_3genE2ELNS1_11target_archE906ELNS1_3gpuE6ELNS1_3repE0EEENS1_30default_config_static_selectorELNS0_4arch9wavefront6targetE1EEEvT1_,comdat
	.protected	_ZN7rocprim17ROCPRIM_400000_NS6detail17trampoline_kernelINS0_14default_configENS1_20scan_config_selectorIfEEZZNS1_9scan_implILNS1_25lookback_scan_determinismE0ELb1ELb1ES3_N6thrust23THRUST_200600_302600_NS6detail15normal_iteratorINS9_10device_ptrIiEEEENSB_INSC_IfEEEEfNS9_4plusIvEEfEEDaPvRmT3_T4_T5_mT6_P12ihipStream_tbENKUlT_T0_E_clISt17integral_constantIbLb1EESW_EEDaSR_SS_EUlSR_E_NS1_11comp_targetILNS1_3genE2ELNS1_11target_archE906ELNS1_3gpuE6ELNS1_3repE0EEENS1_30default_config_static_selectorELNS0_4arch9wavefront6targetE1EEEvT1_ ; -- Begin function _ZN7rocprim17ROCPRIM_400000_NS6detail17trampoline_kernelINS0_14default_configENS1_20scan_config_selectorIfEEZZNS1_9scan_implILNS1_25lookback_scan_determinismE0ELb1ELb1ES3_N6thrust23THRUST_200600_302600_NS6detail15normal_iteratorINS9_10device_ptrIiEEEENSB_INSC_IfEEEEfNS9_4plusIvEEfEEDaPvRmT3_T4_T5_mT6_P12ihipStream_tbENKUlT_T0_E_clISt17integral_constantIbLb1EESW_EEDaSR_SS_EUlSR_E_NS1_11comp_targetILNS1_3genE2ELNS1_11target_archE906ELNS1_3gpuE6ELNS1_3repE0EEENS1_30default_config_static_selectorELNS0_4arch9wavefront6targetE1EEEvT1_
	.globl	_ZN7rocprim17ROCPRIM_400000_NS6detail17trampoline_kernelINS0_14default_configENS1_20scan_config_selectorIfEEZZNS1_9scan_implILNS1_25lookback_scan_determinismE0ELb1ELb1ES3_N6thrust23THRUST_200600_302600_NS6detail15normal_iteratorINS9_10device_ptrIiEEEENSB_INSC_IfEEEEfNS9_4plusIvEEfEEDaPvRmT3_T4_T5_mT6_P12ihipStream_tbENKUlT_T0_E_clISt17integral_constantIbLb1EESW_EEDaSR_SS_EUlSR_E_NS1_11comp_targetILNS1_3genE2ELNS1_11target_archE906ELNS1_3gpuE6ELNS1_3repE0EEENS1_30default_config_static_selectorELNS0_4arch9wavefront6targetE1EEEvT1_
	.p2align	8
	.type	_ZN7rocprim17ROCPRIM_400000_NS6detail17trampoline_kernelINS0_14default_configENS1_20scan_config_selectorIfEEZZNS1_9scan_implILNS1_25lookback_scan_determinismE0ELb1ELb1ES3_N6thrust23THRUST_200600_302600_NS6detail15normal_iteratorINS9_10device_ptrIiEEEENSB_INSC_IfEEEEfNS9_4plusIvEEfEEDaPvRmT3_T4_T5_mT6_P12ihipStream_tbENKUlT_T0_E_clISt17integral_constantIbLb1EESW_EEDaSR_SS_EUlSR_E_NS1_11comp_targetILNS1_3genE2ELNS1_11target_archE906ELNS1_3gpuE6ELNS1_3repE0EEENS1_30default_config_static_selectorELNS0_4arch9wavefront6targetE1EEEvT1_,@function
_ZN7rocprim17ROCPRIM_400000_NS6detail17trampoline_kernelINS0_14default_configENS1_20scan_config_selectorIfEEZZNS1_9scan_implILNS1_25lookback_scan_determinismE0ELb1ELb1ES3_N6thrust23THRUST_200600_302600_NS6detail15normal_iteratorINS9_10device_ptrIiEEEENSB_INSC_IfEEEEfNS9_4plusIvEEfEEDaPvRmT3_T4_T5_mT6_P12ihipStream_tbENKUlT_T0_E_clISt17integral_constantIbLb1EESW_EEDaSR_SS_EUlSR_E_NS1_11comp_targetILNS1_3genE2ELNS1_11target_archE906ELNS1_3gpuE6ELNS1_3repE0EEENS1_30default_config_static_selectorELNS0_4arch9wavefront6targetE1EEEvT1_: ; @_ZN7rocprim17ROCPRIM_400000_NS6detail17trampoline_kernelINS0_14default_configENS1_20scan_config_selectorIfEEZZNS1_9scan_implILNS1_25lookback_scan_determinismE0ELb1ELb1ES3_N6thrust23THRUST_200600_302600_NS6detail15normal_iteratorINS9_10device_ptrIiEEEENSB_INSC_IfEEEEfNS9_4plusIvEEfEEDaPvRmT3_T4_T5_mT6_P12ihipStream_tbENKUlT_T0_E_clISt17integral_constantIbLb1EESW_EEDaSR_SS_EUlSR_E_NS1_11comp_targetILNS1_3genE2ELNS1_11target_archE906ELNS1_3gpuE6ELNS1_3repE0EEENS1_30default_config_static_selectorELNS0_4arch9wavefront6targetE1EEEvT1_
; %bb.0:
	.section	.rodata,"a",@progbits
	.p2align	6, 0x0
	.amdhsa_kernel _ZN7rocprim17ROCPRIM_400000_NS6detail17trampoline_kernelINS0_14default_configENS1_20scan_config_selectorIfEEZZNS1_9scan_implILNS1_25lookback_scan_determinismE0ELb1ELb1ES3_N6thrust23THRUST_200600_302600_NS6detail15normal_iteratorINS9_10device_ptrIiEEEENSB_INSC_IfEEEEfNS9_4plusIvEEfEEDaPvRmT3_T4_T5_mT6_P12ihipStream_tbENKUlT_T0_E_clISt17integral_constantIbLb1EESW_EEDaSR_SS_EUlSR_E_NS1_11comp_targetILNS1_3genE2ELNS1_11target_archE906ELNS1_3gpuE6ELNS1_3repE0EEENS1_30default_config_static_selectorELNS0_4arch9wavefront6targetE1EEEvT1_
		.amdhsa_group_segment_fixed_size 0
		.amdhsa_private_segment_fixed_size 0
		.amdhsa_kernarg_size 96
		.amdhsa_user_sgpr_count 6
		.amdhsa_user_sgpr_private_segment_buffer 1
		.amdhsa_user_sgpr_dispatch_ptr 0
		.amdhsa_user_sgpr_queue_ptr 0
		.amdhsa_user_sgpr_kernarg_segment_ptr 1
		.amdhsa_user_sgpr_dispatch_id 0
		.amdhsa_user_sgpr_flat_scratch_init 0
		.amdhsa_user_sgpr_kernarg_preload_length 0
		.amdhsa_user_sgpr_kernarg_preload_offset 0
		.amdhsa_user_sgpr_private_segment_size 0
		.amdhsa_uses_dynamic_stack 0
		.amdhsa_system_sgpr_private_segment_wavefront_offset 0
		.amdhsa_system_sgpr_workgroup_id_x 1
		.amdhsa_system_sgpr_workgroup_id_y 0
		.amdhsa_system_sgpr_workgroup_id_z 0
		.amdhsa_system_sgpr_workgroup_info 0
		.amdhsa_system_vgpr_workitem_id 0
		.amdhsa_next_free_vgpr 1
		.amdhsa_next_free_sgpr 0
		.amdhsa_accum_offset 4
		.amdhsa_reserve_vcc 0
		.amdhsa_reserve_flat_scratch 0
		.amdhsa_float_round_mode_32 0
		.amdhsa_float_round_mode_16_64 0
		.amdhsa_float_denorm_mode_32 3
		.amdhsa_float_denorm_mode_16_64 3
		.amdhsa_dx10_clamp 1
		.amdhsa_ieee_mode 1
		.amdhsa_fp16_overflow 0
		.amdhsa_tg_split 0
		.amdhsa_exception_fp_ieee_invalid_op 0
		.amdhsa_exception_fp_denorm_src 0
		.amdhsa_exception_fp_ieee_div_zero 0
		.amdhsa_exception_fp_ieee_overflow 0
		.amdhsa_exception_fp_ieee_underflow 0
		.amdhsa_exception_fp_ieee_inexact 0
		.amdhsa_exception_int_div_zero 0
	.end_amdhsa_kernel
	.section	.text._ZN7rocprim17ROCPRIM_400000_NS6detail17trampoline_kernelINS0_14default_configENS1_20scan_config_selectorIfEEZZNS1_9scan_implILNS1_25lookback_scan_determinismE0ELb1ELb1ES3_N6thrust23THRUST_200600_302600_NS6detail15normal_iteratorINS9_10device_ptrIiEEEENSB_INSC_IfEEEEfNS9_4plusIvEEfEEDaPvRmT3_T4_T5_mT6_P12ihipStream_tbENKUlT_T0_E_clISt17integral_constantIbLb1EESW_EEDaSR_SS_EUlSR_E_NS1_11comp_targetILNS1_3genE2ELNS1_11target_archE906ELNS1_3gpuE6ELNS1_3repE0EEENS1_30default_config_static_selectorELNS0_4arch9wavefront6targetE1EEEvT1_,"axG",@progbits,_ZN7rocprim17ROCPRIM_400000_NS6detail17trampoline_kernelINS0_14default_configENS1_20scan_config_selectorIfEEZZNS1_9scan_implILNS1_25lookback_scan_determinismE0ELb1ELb1ES3_N6thrust23THRUST_200600_302600_NS6detail15normal_iteratorINS9_10device_ptrIiEEEENSB_INSC_IfEEEEfNS9_4plusIvEEfEEDaPvRmT3_T4_T5_mT6_P12ihipStream_tbENKUlT_T0_E_clISt17integral_constantIbLb1EESW_EEDaSR_SS_EUlSR_E_NS1_11comp_targetILNS1_3genE2ELNS1_11target_archE906ELNS1_3gpuE6ELNS1_3repE0EEENS1_30default_config_static_selectorELNS0_4arch9wavefront6targetE1EEEvT1_,comdat
.Lfunc_end1736:
	.size	_ZN7rocprim17ROCPRIM_400000_NS6detail17trampoline_kernelINS0_14default_configENS1_20scan_config_selectorIfEEZZNS1_9scan_implILNS1_25lookback_scan_determinismE0ELb1ELb1ES3_N6thrust23THRUST_200600_302600_NS6detail15normal_iteratorINS9_10device_ptrIiEEEENSB_INSC_IfEEEEfNS9_4plusIvEEfEEDaPvRmT3_T4_T5_mT6_P12ihipStream_tbENKUlT_T0_E_clISt17integral_constantIbLb1EESW_EEDaSR_SS_EUlSR_E_NS1_11comp_targetILNS1_3genE2ELNS1_11target_archE906ELNS1_3gpuE6ELNS1_3repE0EEENS1_30default_config_static_selectorELNS0_4arch9wavefront6targetE1EEEvT1_, .Lfunc_end1736-_ZN7rocprim17ROCPRIM_400000_NS6detail17trampoline_kernelINS0_14default_configENS1_20scan_config_selectorIfEEZZNS1_9scan_implILNS1_25lookback_scan_determinismE0ELb1ELb1ES3_N6thrust23THRUST_200600_302600_NS6detail15normal_iteratorINS9_10device_ptrIiEEEENSB_INSC_IfEEEEfNS9_4plusIvEEfEEDaPvRmT3_T4_T5_mT6_P12ihipStream_tbENKUlT_T0_E_clISt17integral_constantIbLb1EESW_EEDaSR_SS_EUlSR_E_NS1_11comp_targetILNS1_3genE2ELNS1_11target_archE906ELNS1_3gpuE6ELNS1_3repE0EEENS1_30default_config_static_selectorELNS0_4arch9wavefront6targetE1EEEvT1_
                                        ; -- End function
	.section	.AMDGPU.csdata,"",@progbits
; Kernel info:
; codeLenInByte = 0
; NumSgprs: 4
; NumVgprs: 0
; NumAgprs: 0
; TotalNumVgprs: 0
; ScratchSize: 0
; MemoryBound: 0
; FloatMode: 240
; IeeeMode: 1
; LDSByteSize: 0 bytes/workgroup (compile time only)
; SGPRBlocks: 0
; VGPRBlocks: 0
; NumSGPRsForWavesPerEU: 4
; NumVGPRsForWavesPerEU: 1
; AccumOffset: 4
; Occupancy: 8
; WaveLimiterHint : 0
; COMPUTE_PGM_RSRC2:SCRATCH_EN: 0
; COMPUTE_PGM_RSRC2:USER_SGPR: 6
; COMPUTE_PGM_RSRC2:TRAP_HANDLER: 0
; COMPUTE_PGM_RSRC2:TGID_X_EN: 1
; COMPUTE_PGM_RSRC2:TGID_Y_EN: 0
; COMPUTE_PGM_RSRC2:TGID_Z_EN: 0
; COMPUTE_PGM_RSRC2:TIDIG_COMP_CNT: 0
; COMPUTE_PGM_RSRC3_GFX90A:ACCUM_OFFSET: 0
; COMPUTE_PGM_RSRC3_GFX90A:TG_SPLIT: 0
	.section	.text._ZN7rocprim17ROCPRIM_400000_NS6detail17trampoline_kernelINS0_14default_configENS1_20scan_config_selectorIfEEZZNS1_9scan_implILNS1_25lookback_scan_determinismE0ELb1ELb1ES3_N6thrust23THRUST_200600_302600_NS6detail15normal_iteratorINS9_10device_ptrIiEEEENSB_INSC_IfEEEEfNS9_4plusIvEEfEEDaPvRmT3_T4_T5_mT6_P12ihipStream_tbENKUlT_T0_E_clISt17integral_constantIbLb1EESW_EEDaSR_SS_EUlSR_E_NS1_11comp_targetILNS1_3genE10ELNS1_11target_archE1201ELNS1_3gpuE5ELNS1_3repE0EEENS1_30default_config_static_selectorELNS0_4arch9wavefront6targetE1EEEvT1_,"axG",@progbits,_ZN7rocprim17ROCPRIM_400000_NS6detail17trampoline_kernelINS0_14default_configENS1_20scan_config_selectorIfEEZZNS1_9scan_implILNS1_25lookback_scan_determinismE0ELb1ELb1ES3_N6thrust23THRUST_200600_302600_NS6detail15normal_iteratorINS9_10device_ptrIiEEEENSB_INSC_IfEEEEfNS9_4plusIvEEfEEDaPvRmT3_T4_T5_mT6_P12ihipStream_tbENKUlT_T0_E_clISt17integral_constantIbLb1EESW_EEDaSR_SS_EUlSR_E_NS1_11comp_targetILNS1_3genE10ELNS1_11target_archE1201ELNS1_3gpuE5ELNS1_3repE0EEENS1_30default_config_static_selectorELNS0_4arch9wavefront6targetE1EEEvT1_,comdat
	.protected	_ZN7rocprim17ROCPRIM_400000_NS6detail17trampoline_kernelINS0_14default_configENS1_20scan_config_selectorIfEEZZNS1_9scan_implILNS1_25lookback_scan_determinismE0ELb1ELb1ES3_N6thrust23THRUST_200600_302600_NS6detail15normal_iteratorINS9_10device_ptrIiEEEENSB_INSC_IfEEEEfNS9_4plusIvEEfEEDaPvRmT3_T4_T5_mT6_P12ihipStream_tbENKUlT_T0_E_clISt17integral_constantIbLb1EESW_EEDaSR_SS_EUlSR_E_NS1_11comp_targetILNS1_3genE10ELNS1_11target_archE1201ELNS1_3gpuE5ELNS1_3repE0EEENS1_30default_config_static_selectorELNS0_4arch9wavefront6targetE1EEEvT1_ ; -- Begin function _ZN7rocprim17ROCPRIM_400000_NS6detail17trampoline_kernelINS0_14default_configENS1_20scan_config_selectorIfEEZZNS1_9scan_implILNS1_25lookback_scan_determinismE0ELb1ELb1ES3_N6thrust23THRUST_200600_302600_NS6detail15normal_iteratorINS9_10device_ptrIiEEEENSB_INSC_IfEEEEfNS9_4plusIvEEfEEDaPvRmT3_T4_T5_mT6_P12ihipStream_tbENKUlT_T0_E_clISt17integral_constantIbLb1EESW_EEDaSR_SS_EUlSR_E_NS1_11comp_targetILNS1_3genE10ELNS1_11target_archE1201ELNS1_3gpuE5ELNS1_3repE0EEENS1_30default_config_static_selectorELNS0_4arch9wavefront6targetE1EEEvT1_
	.globl	_ZN7rocprim17ROCPRIM_400000_NS6detail17trampoline_kernelINS0_14default_configENS1_20scan_config_selectorIfEEZZNS1_9scan_implILNS1_25lookback_scan_determinismE0ELb1ELb1ES3_N6thrust23THRUST_200600_302600_NS6detail15normal_iteratorINS9_10device_ptrIiEEEENSB_INSC_IfEEEEfNS9_4plusIvEEfEEDaPvRmT3_T4_T5_mT6_P12ihipStream_tbENKUlT_T0_E_clISt17integral_constantIbLb1EESW_EEDaSR_SS_EUlSR_E_NS1_11comp_targetILNS1_3genE10ELNS1_11target_archE1201ELNS1_3gpuE5ELNS1_3repE0EEENS1_30default_config_static_selectorELNS0_4arch9wavefront6targetE1EEEvT1_
	.p2align	8
	.type	_ZN7rocprim17ROCPRIM_400000_NS6detail17trampoline_kernelINS0_14default_configENS1_20scan_config_selectorIfEEZZNS1_9scan_implILNS1_25lookback_scan_determinismE0ELb1ELb1ES3_N6thrust23THRUST_200600_302600_NS6detail15normal_iteratorINS9_10device_ptrIiEEEENSB_INSC_IfEEEEfNS9_4plusIvEEfEEDaPvRmT3_T4_T5_mT6_P12ihipStream_tbENKUlT_T0_E_clISt17integral_constantIbLb1EESW_EEDaSR_SS_EUlSR_E_NS1_11comp_targetILNS1_3genE10ELNS1_11target_archE1201ELNS1_3gpuE5ELNS1_3repE0EEENS1_30default_config_static_selectorELNS0_4arch9wavefront6targetE1EEEvT1_,@function
_ZN7rocprim17ROCPRIM_400000_NS6detail17trampoline_kernelINS0_14default_configENS1_20scan_config_selectorIfEEZZNS1_9scan_implILNS1_25lookback_scan_determinismE0ELb1ELb1ES3_N6thrust23THRUST_200600_302600_NS6detail15normal_iteratorINS9_10device_ptrIiEEEENSB_INSC_IfEEEEfNS9_4plusIvEEfEEDaPvRmT3_T4_T5_mT6_P12ihipStream_tbENKUlT_T0_E_clISt17integral_constantIbLb1EESW_EEDaSR_SS_EUlSR_E_NS1_11comp_targetILNS1_3genE10ELNS1_11target_archE1201ELNS1_3gpuE5ELNS1_3repE0EEENS1_30default_config_static_selectorELNS0_4arch9wavefront6targetE1EEEvT1_: ; @_ZN7rocprim17ROCPRIM_400000_NS6detail17trampoline_kernelINS0_14default_configENS1_20scan_config_selectorIfEEZZNS1_9scan_implILNS1_25lookback_scan_determinismE0ELb1ELb1ES3_N6thrust23THRUST_200600_302600_NS6detail15normal_iteratorINS9_10device_ptrIiEEEENSB_INSC_IfEEEEfNS9_4plusIvEEfEEDaPvRmT3_T4_T5_mT6_P12ihipStream_tbENKUlT_T0_E_clISt17integral_constantIbLb1EESW_EEDaSR_SS_EUlSR_E_NS1_11comp_targetILNS1_3genE10ELNS1_11target_archE1201ELNS1_3gpuE5ELNS1_3repE0EEENS1_30default_config_static_selectorELNS0_4arch9wavefront6targetE1EEEvT1_
; %bb.0:
	.section	.rodata,"a",@progbits
	.p2align	6, 0x0
	.amdhsa_kernel _ZN7rocprim17ROCPRIM_400000_NS6detail17trampoline_kernelINS0_14default_configENS1_20scan_config_selectorIfEEZZNS1_9scan_implILNS1_25lookback_scan_determinismE0ELb1ELb1ES3_N6thrust23THRUST_200600_302600_NS6detail15normal_iteratorINS9_10device_ptrIiEEEENSB_INSC_IfEEEEfNS9_4plusIvEEfEEDaPvRmT3_T4_T5_mT6_P12ihipStream_tbENKUlT_T0_E_clISt17integral_constantIbLb1EESW_EEDaSR_SS_EUlSR_E_NS1_11comp_targetILNS1_3genE10ELNS1_11target_archE1201ELNS1_3gpuE5ELNS1_3repE0EEENS1_30default_config_static_selectorELNS0_4arch9wavefront6targetE1EEEvT1_
		.amdhsa_group_segment_fixed_size 0
		.amdhsa_private_segment_fixed_size 0
		.amdhsa_kernarg_size 96
		.amdhsa_user_sgpr_count 6
		.amdhsa_user_sgpr_private_segment_buffer 1
		.amdhsa_user_sgpr_dispatch_ptr 0
		.amdhsa_user_sgpr_queue_ptr 0
		.amdhsa_user_sgpr_kernarg_segment_ptr 1
		.amdhsa_user_sgpr_dispatch_id 0
		.amdhsa_user_sgpr_flat_scratch_init 0
		.amdhsa_user_sgpr_kernarg_preload_length 0
		.amdhsa_user_sgpr_kernarg_preload_offset 0
		.amdhsa_user_sgpr_private_segment_size 0
		.amdhsa_uses_dynamic_stack 0
		.amdhsa_system_sgpr_private_segment_wavefront_offset 0
		.amdhsa_system_sgpr_workgroup_id_x 1
		.amdhsa_system_sgpr_workgroup_id_y 0
		.amdhsa_system_sgpr_workgroup_id_z 0
		.amdhsa_system_sgpr_workgroup_info 0
		.amdhsa_system_vgpr_workitem_id 0
		.amdhsa_next_free_vgpr 1
		.amdhsa_next_free_sgpr 0
		.amdhsa_accum_offset 4
		.amdhsa_reserve_vcc 0
		.amdhsa_reserve_flat_scratch 0
		.amdhsa_float_round_mode_32 0
		.amdhsa_float_round_mode_16_64 0
		.amdhsa_float_denorm_mode_32 3
		.amdhsa_float_denorm_mode_16_64 3
		.amdhsa_dx10_clamp 1
		.amdhsa_ieee_mode 1
		.amdhsa_fp16_overflow 0
		.amdhsa_tg_split 0
		.amdhsa_exception_fp_ieee_invalid_op 0
		.amdhsa_exception_fp_denorm_src 0
		.amdhsa_exception_fp_ieee_div_zero 0
		.amdhsa_exception_fp_ieee_overflow 0
		.amdhsa_exception_fp_ieee_underflow 0
		.amdhsa_exception_fp_ieee_inexact 0
		.amdhsa_exception_int_div_zero 0
	.end_amdhsa_kernel
	.section	.text._ZN7rocprim17ROCPRIM_400000_NS6detail17trampoline_kernelINS0_14default_configENS1_20scan_config_selectorIfEEZZNS1_9scan_implILNS1_25lookback_scan_determinismE0ELb1ELb1ES3_N6thrust23THRUST_200600_302600_NS6detail15normal_iteratorINS9_10device_ptrIiEEEENSB_INSC_IfEEEEfNS9_4plusIvEEfEEDaPvRmT3_T4_T5_mT6_P12ihipStream_tbENKUlT_T0_E_clISt17integral_constantIbLb1EESW_EEDaSR_SS_EUlSR_E_NS1_11comp_targetILNS1_3genE10ELNS1_11target_archE1201ELNS1_3gpuE5ELNS1_3repE0EEENS1_30default_config_static_selectorELNS0_4arch9wavefront6targetE1EEEvT1_,"axG",@progbits,_ZN7rocprim17ROCPRIM_400000_NS6detail17trampoline_kernelINS0_14default_configENS1_20scan_config_selectorIfEEZZNS1_9scan_implILNS1_25lookback_scan_determinismE0ELb1ELb1ES3_N6thrust23THRUST_200600_302600_NS6detail15normal_iteratorINS9_10device_ptrIiEEEENSB_INSC_IfEEEEfNS9_4plusIvEEfEEDaPvRmT3_T4_T5_mT6_P12ihipStream_tbENKUlT_T0_E_clISt17integral_constantIbLb1EESW_EEDaSR_SS_EUlSR_E_NS1_11comp_targetILNS1_3genE10ELNS1_11target_archE1201ELNS1_3gpuE5ELNS1_3repE0EEENS1_30default_config_static_selectorELNS0_4arch9wavefront6targetE1EEEvT1_,comdat
.Lfunc_end1737:
	.size	_ZN7rocprim17ROCPRIM_400000_NS6detail17trampoline_kernelINS0_14default_configENS1_20scan_config_selectorIfEEZZNS1_9scan_implILNS1_25lookback_scan_determinismE0ELb1ELb1ES3_N6thrust23THRUST_200600_302600_NS6detail15normal_iteratorINS9_10device_ptrIiEEEENSB_INSC_IfEEEEfNS9_4plusIvEEfEEDaPvRmT3_T4_T5_mT6_P12ihipStream_tbENKUlT_T0_E_clISt17integral_constantIbLb1EESW_EEDaSR_SS_EUlSR_E_NS1_11comp_targetILNS1_3genE10ELNS1_11target_archE1201ELNS1_3gpuE5ELNS1_3repE0EEENS1_30default_config_static_selectorELNS0_4arch9wavefront6targetE1EEEvT1_, .Lfunc_end1737-_ZN7rocprim17ROCPRIM_400000_NS6detail17trampoline_kernelINS0_14default_configENS1_20scan_config_selectorIfEEZZNS1_9scan_implILNS1_25lookback_scan_determinismE0ELb1ELb1ES3_N6thrust23THRUST_200600_302600_NS6detail15normal_iteratorINS9_10device_ptrIiEEEENSB_INSC_IfEEEEfNS9_4plusIvEEfEEDaPvRmT3_T4_T5_mT6_P12ihipStream_tbENKUlT_T0_E_clISt17integral_constantIbLb1EESW_EEDaSR_SS_EUlSR_E_NS1_11comp_targetILNS1_3genE10ELNS1_11target_archE1201ELNS1_3gpuE5ELNS1_3repE0EEENS1_30default_config_static_selectorELNS0_4arch9wavefront6targetE1EEEvT1_
                                        ; -- End function
	.section	.AMDGPU.csdata,"",@progbits
; Kernel info:
; codeLenInByte = 0
; NumSgprs: 4
; NumVgprs: 0
; NumAgprs: 0
; TotalNumVgprs: 0
; ScratchSize: 0
; MemoryBound: 0
; FloatMode: 240
; IeeeMode: 1
; LDSByteSize: 0 bytes/workgroup (compile time only)
; SGPRBlocks: 0
; VGPRBlocks: 0
; NumSGPRsForWavesPerEU: 4
; NumVGPRsForWavesPerEU: 1
; AccumOffset: 4
; Occupancy: 8
; WaveLimiterHint : 0
; COMPUTE_PGM_RSRC2:SCRATCH_EN: 0
; COMPUTE_PGM_RSRC2:USER_SGPR: 6
; COMPUTE_PGM_RSRC2:TRAP_HANDLER: 0
; COMPUTE_PGM_RSRC2:TGID_X_EN: 1
; COMPUTE_PGM_RSRC2:TGID_Y_EN: 0
; COMPUTE_PGM_RSRC2:TGID_Z_EN: 0
; COMPUTE_PGM_RSRC2:TIDIG_COMP_CNT: 0
; COMPUTE_PGM_RSRC3_GFX90A:ACCUM_OFFSET: 0
; COMPUTE_PGM_RSRC3_GFX90A:TG_SPLIT: 0
	.section	.text._ZN7rocprim17ROCPRIM_400000_NS6detail17trampoline_kernelINS0_14default_configENS1_20scan_config_selectorIfEEZZNS1_9scan_implILNS1_25lookback_scan_determinismE0ELb1ELb1ES3_N6thrust23THRUST_200600_302600_NS6detail15normal_iteratorINS9_10device_ptrIiEEEENSB_INSC_IfEEEEfNS9_4plusIvEEfEEDaPvRmT3_T4_T5_mT6_P12ihipStream_tbENKUlT_T0_E_clISt17integral_constantIbLb1EESW_EEDaSR_SS_EUlSR_E_NS1_11comp_targetILNS1_3genE10ELNS1_11target_archE1200ELNS1_3gpuE4ELNS1_3repE0EEENS1_30default_config_static_selectorELNS0_4arch9wavefront6targetE1EEEvT1_,"axG",@progbits,_ZN7rocprim17ROCPRIM_400000_NS6detail17trampoline_kernelINS0_14default_configENS1_20scan_config_selectorIfEEZZNS1_9scan_implILNS1_25lookback_scan_determinismE0ELb1ELb1ES3_N6thrust23THRUST_200600_302600_NS6detail15normal_iteratorINS9_10device_ptrIiEEEENSB_INSC_IfEEEEfNS9_4plusIvEEfEEDaPvRmT3_T4_T5_mT6_P12ihipStream_tbENKUlT_T0_E_clISt17integral_constantIbLb1EESW_EEDaSR_SS_EUlSR_E_NS1_11comp_targetILNS1_3genE10ELNS1_11target_archE1200ELNS1_3gpuE4ELNS1_3repE0EEENS1_30default_config_static_selectorELNS0_4arch9wavefront6targetE1EEEvT1_,comdat
	.protected	_ZN7rocprim17ROCPRIM_400000_NS6detail17trampoline_kernelINS0_14default_configENS1_20scan_config_selectorIfEEZZNS1_9scan_implILNS1_25lookback_scan_determinismE0ELb1ELb1ES3_N6thrust23THRUST_200600_302600_NS6detail15normal_iteratorINS9_10device_ptrIiEEEENSB_INSC_IfEEEEfNS9_4plusIvEEfEEDaPvRmT3_T4_T5_mT6_P12ihipStream_tbENKUlT_T0_E_clISt17integral_constantIbLb1EESW_EEDaSR_SS_EUlSR_E_NS1_11comp_targetILNS1_3genE10ELNS1_11target_archE1200ELNS1_3gpuE4ELNS1_3repE0EEENS1_30default_config_static_selectorELNS0_4arch9wavefront6targetE1EEEvT1_ ; -- Begin function _ZN7rocprim17ROCPRIM_400000_NS6detail17trampoline_kernelINS0_14default_configENS1_20scan_config_selectorIfEEZZNS1_9scan_implILNS1_25lookback_scan_determinismE0ELb1ELb1ES3_N6thrust23THRUST_200600_302600_NS6detail15normal_iteratorINS9_10device_ptrIiEEEENSB_INSC_IfEEEEfNS9_4plusIvEEfEEDaPvRmT3_T4_T5_mT6_P12ihipStream_tbENKUlT_T0_E_clISt17integral_constantIbLb1EESW_EEDaSR_SS_EUlSR_E_NS1_11comp_targetILNS1_3genE10ELNS1_11target_archE1200ELNS1_3gpuE4ELNS1_3repE0EEENS1_30default_config_static_selectorELNS0_4arch9wavefront6targetE1EEEvT1_
	.globl	_ZN7rocprim17ROCPRIM_400000_NS6detail17trampoline_kernelINS0_14default_configENS1_20scan_config_selectorIfEEZZNS1_9scan_implILNS1_25lookback_scan_determinismE0ELb1ELb1ES3_N6thrust23THRUST_200600_302600_NS6detail15normal_iteratorINS9_10device_ptrIiEEEENSB_INSC_IfEEEEfNS9_4plusIvEEfEEDaPvRmT3_T4_T5_mT6_P12ihipStream_tbENKUlT_T0_E_clISt17integral_constantIbLb1EESW_EEDaSR_SS_EUlSR_E_NS1_11comp_targetILNS1_3genE10ELNS1_11target_archE1200ELNS1_3gpuE4ELNS1_3repE0EEENS1_30default_config_static_selectorELNS0_4arch9wavefront6targetE1EEEvT1_
	.p2align	8
	.type	_ZN7rocprim17ROCPRIM_400000_NS6detail17trampoline_kernelINS0_14default_configENS1_20scan_config_selectorIfEEZZNS1_9scan_implILNS1_25lookback_scan_determinismE0ELb1ELb1ES3_N6thrust23THRUST_200600_302600_NS6detail15normal_iteratorINS9_10device_ptrIiEEEENSB_INSC_IfEEEEfNS9_4plusIvEEfEEDaPvRmT3_T4_T5_mT6_P12ihipStream_tbENKUlT_T0_E_clISt17integral_constantIbLb1EESW_EEDaSR_SS_EUlSR_E_NS1_11comp_targetILNS1_3genE10ELNS1_11target_archE1200ELNS1_3gpuE4ELNS1_3repE0EEENS1_30default_config_static_selectorELNS0_4arch9wavefront6targetE1EEEvT1_,@function
_ZN7rocprim17ROCPRIM_400000_NS6detail17trampoline_kernelINS0_14default_configENS1_20scan_config_selectorIfEEZZNS1_9scan_implILNS1_25lookback_scan_determinismE0ELb1ELb1ES3_N6thrust23THRUST_200600_302600_NS6detail15normal_iteratorINS9_10device_ptrIiEEEENSB_INSC_IfEEEEfNS9_4plusIvEEfEEDaPvRmT3_T4_T5_mT6_P12ihipStream_tbENKUlT_T0_E_clISt17integral_constantIbLb1EESW_EEDaSR_SS_EUlSR_E_NS1_11comp_targetILNS1_3genE10ELNS1_11target_archE1200ELNS1_3gpuE4ELNS1_3repE0EEENS1_30default_config_static_selectorELNS0_4arch9wavefront6targetE1EEEvT1_: ; @_ZN7rocprim17ROCPRIM_400000_NS6detail17trampoline_kernelINS0_14default_configENS1_20scan_config_selectorIfEEZZNS1_9scan_implILNS1_25lookback_scan_determinismE0ELb1ELb1ES3_N6thrust23THRUST_200600_302600_NS6detail15normal_iteratorINS9_10device_ptrIiEEEENSB_INSC_IfEEEEfNS9_4plusIvEEfEEDaPvRmT3_T4_T5_mT6_P12ihipStream_tbENKUlT_T0_E_clISt17integral_constantIbLb1EESW_EEDaSR_SS_EUlSR_E_NS1_11comp_targetILNS1_3genE10ELNS1_11target_archE1200ELNS1_3gpuE4ELNS1_3repE0EEENS1_30default_config_static_selectorELNS0_4arch9wavefront6targetE1EEEvT1_
; %bb.0:
	.section	.rodata,"a",@progbits
	.p2align	6, 0x0
	.amdhsa_kernel _ZN7rocprim17ROCPRIM_400000_NS6detail17trampoline_kernelINS0_14default_configENS1_20scan_config_selectorIfEEZZNS1_9scan_implILNS1_25lookback_scan_determinismE0ELb1ELb1ES3_N6thrust23THRUST_200600_302600_NS6detail15normal_iteratorINS9_10device_ptrIiEEEENSB_INSC_IfEEEEfNS9_4plusIvEEfEEDaPvRmT3_T4_T5_mT6_P12ihipStream_tbENKUlT_T0_E_clISt17integral_constantIbLb1EESW_EEDaSR_SS_EUlSR_E_NS1_11comp_targetILNS1_3genE10ELNS1_11target_archE1200ELNS1_3gpuE4ELNS1_3repE0EEENS1_30default_config_static_selectorELNS0_4arch9wavefront6targetE1EEEvT1_
		.amdhsa_group_segment_fixed_size 0
		.amdhsa_private_segment_fixed_size 0
		.amdhsa_kernarg_size 96
		.amdhsa_user_sgpr_count 6
		.amdhsa_user_sgpr_private_segment_buffer 1
		.amdhsa_user_sgpr_dispatch_ptr 0
		.amdhsa_user_sgpr_queue_ptr 0
		.amdhsa_user_sgpr_kernarg_segment_ptr 1
		.amdhsa_user_sgpr_dispatch_id 0
		.amdhsa_user_sgpr_flat_scratch_init 0
		.amdhsa_user_sgpr_kernarg_preload_length 0
		.amdhsa_user_sgpr_kernarg_preload_offset 0
		.amdhsa_user_sgpr_private_segment_size 0
		.amdhsa_uses_dynamic_stack 0
		.amdhsa_system_sgpr_private_segment_wavefront_offset 0
		.amdhsa_system_sgpr_workgroup_id_x 1
		.amdhsa_system_sgpr_workgroup_id_y 0
		.amdhsa_system_sgpr_workgroup_id_z 0
		.amdhsa_system_sgpr_workgroup_info 0
		.amdhsa_system_vgpr_workitem_id 0
		.amdhsa_next_free_vgpr 1
		.amdhsa_next_free_sgpr 0
		.amdhsa_accum_offset 4
		.amdhsa_reserve_vcc 0
		.amdhsa_reserve_flat_scratch 0
		.amdhsa_float_round_mode_32 0
		.amdhsa_float_round_mode_16_64 0
		.amdhsa_float_denorm_mode_32 3
		.amdhsa_float_denorm_mode_16_64 3
		.amdhsa_dx10_clamp 1
		.amdhsa_ieee_mode 1
		.amdhsa_fp16_overflow 0
		.amdhsa_tg_split 0
		.amdhsa_exception_fp_ieee_invalid_op 0
		.amdhsa_exception_fp_denorm_src 0
		.amdhsa_exception_fp_ieee_div_zero 0
		.amdhsa_exception_fp_ieee_overflow 0
		.amdhsa_exception_fp_ieee_underflow 0
		.amdhsa_exception_fp_ieee_inexact 0
		.amdhsa_exception_int_div_zero 0
	.end_amdhsa_kernel
	.section	.text._ZN7rocprim17ROCPRIM_400000_NS6detail17trampoline_kernelINS0_14default_configENS1_20scan_config_selectorIfEEZZNS1_9scan_implILNS1_25lookback_scan_determinismE0ELb1ELb1ES3_N6thrust23THRUST_200600_302600_NS6detail15normal_iteratorINS9_10device_ptrIiEEEENSB_INSC_IfEEEEfNS9_4plusIvEEfEEDaPvRmT3_T4_T5_mT6_P12ihipStream_tbENKUlT_T0_E_clISt17integral_constantIbLb1EESW_EEDaSR_SS_EUlSR_E_NS1_11comp_targetILNS1_3genE10ELNS1_11target_archE1200ELNS1_3gpuE4ELNS1_3repE0EEENS1_30default_config_static_selectorELNS0_4arch9wavefront6targetE1EEEvT1_,"axG",@progbits,_ZN7rocprim17ROCPRIM_400000_NS6detail17trampoline_kernelINS0_14default_configENS1_20scan_config_selectorIfEEZZNS1_9scan_implILNS1_25lookback_scan_determinismE0ELb1ELb1ES3_N6thrust23THRUST_200600_302600_NS6detail15normal_iteratorINS9_10device_ptrIiEEEENSB_INSC_IfEEEEfNS9_4plusIvEEfEEDaPvRmT3_T4_T5_mT6_P12ihipStream_tbENKUlT_T0_E_clISt17integral_constantIbLb1EESW_EEDaSR_SS_EUlSR_E_NS1_11comp_targetILNS1_3genE10ELNS1_11target_archE1200ELNS1_3gpuE4ELNS1_3repE0EEENS1_30default_config_static_selectorELNS0_4arch9wavefront6targetE1EEEvT1_,comdat
.Lfunc_end1738:
	.size	_ZN7rocprim17ROCPRIM_400000_NS6detail17trampoline_kernelINS0_14default_configENS1_20scan_config_selectorIfEEZZNS1_9scan_implILNS1_25lookback_scan_determinismE0ELb1ELb1ES3_N6thrust23THRUST_200600_302600_NS6detail15normal_iteratorINS9_10device_ptrIiEEEENSB_INSC_IfEEEEfNS9_4plusIvEEfEEDaPvRmT3_T4_T5_mT6_P12ihipStream_tbENKUlT_T0_E_clISt17integral_constantIbLb1EESW_EEDaSR_SS_EUlSR_E_NS1_11comp_targetILNS1_3genE10ELNS1_11target_archE1200ELNS1_3gpuE4ELNS1_3repE0EEENS1_30default_config_static_selectorELNS0_4arch9wavefront6targetE1EEEvT1_, .Lfunc_end1738-_ZN7rocprim17ROCPRIM_400000_NS6detail17trampoline_kernelINS0_14default_configENS1_20scan_config_selectorIfEEZZNS1_9scan_implILNS1_25lookback_scan_determinismE0ELb1ELb1ES3_N6thrust23THRUST_200600_302600_NS6detail15normal_iteratorINS9_10device_ptrIiEEEENSB_INSC_IfEEEEfNS9_4plusIvEEfEEDaPvRmT3_T4_T5_mT6_P12ihipStream_tbENKUlT_T0_E_clISt17integral_constantIbLb1EESW_EEDaSR_SS_EUlSR_E_NS1_11comp_targetILNS1_3genE10ELNS1_11target_archE1200ELNS1_3gpuE4ELNS1_3repE0EEENS1_30default_config_static_selectorELNS0_4arch9wavefront6targetE1EEEvT1_
                                        ; -- End function
	.section	.AMDGPU.csdata,"",@progbits
; Kernel info:
; codeLenInByte = 0
; NumSgprs: 4
; NumVgprs: 0
; NumAgprs: 0
; TotalNumVgprs: 0
; ScratchSize: 0
; MemoryBound: 0
; FloatMode: 240
; IeeeMode: 1
; LDSByteSize: 0 bytes/workgroup (compile time only)
; SGPRBlocks: 0
; VGPRBlocks: 0
; NumSGPRsForWavesPerEU: 4
; NumVGPRsForWavesPerEU: 1
; AccumOffset: 4
; Occupancy: 8
; WaveLimiterHint : 0
; COMPUTE_PGM_RSRC2:SCRATCH_EN: 0
; COMPUTE_PGM_RSRC2:USER_SGPR: 6
; COMPUTE_PGM_RSRC2:TRAP_HANDLER: 0
; COMPUTE_PGM_RSRC2:TGID_X_EN: 1
; COMPUTE_PGM_RSRC2:TGID_Y_EN: 0
; COMPUTE_PGM_RSRC2:TGID_Z_EN: 0
; COMPUTE_PGM_RSRC2:TIDIG_COMP_CNT: 0
; COMPUTE_PGM_RSRC3_GFX90A:ACCUM_OFFSET: 0
; COMPUTE_PGM_RSRC3_GFX90A:TG_SPLIT: 0
	.section	.text._ZN7rocprim17ROCPRIM_400000_NS6detail17trampoline_kernelINS0_14default_configENS1_20scan_config_selectorIfEEZZNS1_9scan_implILNS1_25lookback_scan_determinismE0ELb1ELb1ES3_N6thrust23THRUST_200600_302600_NS6detail15normal_iteratorINS9_10device_ptrIiEEEENSB_INSC_IfEEEEfNS9_4plusIvEEfEEDaPvRmT3_T4_T5_mT6_P12ihipStream_tbENKUlT_T0_E_clISt17integral_constantIbLb1EESW_EEDaSR_SS_EUlSR_E_NS1_11comp_targetILNS1_3genE9ELNS1_11target_archE1100ELNS1_3gpuE3ELNS1_3repE0EEENS1_30default_config_static_selectorELNS0_4arch9wavefront6targetE1EEEvT1_,"axG",@progbits,_ZN7rocprim17ROCPRIM_400000_NS6detail17trampoline_kernelINS0_14default_configENS1_20scan_config_selectorIfEEZZNS1_9scan_implILNS1_25lookback_scan_determinismE0ELb1ELb1ES3_N6thrust23THRUST_200600_302600_NS6detail15normal_iteratorINS9_10device_ptrIiEEEENSB_INSC_IfEEEEfNS9_4plusIvEEfEEDaPvRmT3_T4_T5_mT6_P12ihipStream_tbENKUlT_T0_E_clISt17integral_constantIbLb1EESW_EEDaSR_SS_EUlSR_E_NS1_11comp_targetILNS1_3genE9ELNS1_11target_archE1100ELNS1_3gpuE3ELNS1_3repE0EEENS1_30default_config_static_selectorELNS0_4arch9wavefront6targetE1EEEvT1_,comdat
	.protected	_ZN7rocprim17ROCPRIM_400000_NS6detail17trampoline_kernelINS0_14default_configENS1_20scan_config_selectorIfEEZZNS1_9scan_implILNS1_25lookback_scan_determinismE0ELb1ELb1ES3_N6thrust23THRUST_200600_302600_NS6detail15normal_iteratorINS9_10device_ptrIiEEEENSB_INSC_IfEEEEfNS9_4plusIvEEfEEDaPvRmT3_T4_T5_mT6_P12ihipStream_tbENKUlT_T0_E_clISt17integral_constantIbLb1EESW_EEDaSR_SS_EUlSR_E_NS1_11comp_targetILNS1_3genE9ELNS1_11target_archE1100ELNS1_3gpuE3ELNS1_3repE0EEENS1_30default_config_static_selectorELNS0_4arch9wavefront6targetE1EEEvT1_ ; -- Begin function _ZN7rocprim17ROCPRIM_400000_NS6detail17trampoline_kernelINS0_14default_configENS1_20scan_config_selectorIfEEZZNS1_9scan_implILNS1_25lookback_scan_determinismE0ELb1ELb1ES3_N6thrust23THRUST_200600_302600_NS6detail15normal_iteratorINS9_10device_ptrIiEEEENSB_INSC_IfEEEEfNS9_4plusIvEEfEEDaPvRmT3_T4_T5_mT6_P12ihipStream_tbENKUlT_T0_E_clISt17integral_constantIbLb1EESW_EEDaSR_SS_EUlSR_E_NS1_11comp_targetILNS1_3genE9ELNS1_11target_archE1100ELNS1_3gpuE3ELNS1_3repE0EEENS1_30default_config_static_selectorELNS0_4arch9wavefront6targetE1EEEvT1_
	.globl	_ZN7rocprim17ROCPRIM_400000_NS6detail17trampoline_kernelINS0_14default_configENS1_20scan_config_selectorIfEEZZNS1_9scan_implILNS1_25lookback_scan_determinismE0ELb1ELb1ES3_N6thrust23THRUST_200600_302600_NS6detail15normal_iteratorINS9_10device_ptrIiEEEENSB_INSC_IfEEEEfNS9_4plusIvEEfEEDaPvRmT3_T4_T5_mT6_P12ihipStream_tbENKUlT_T0_E_clISt17integral_constantIbLb1EESW_EEDaSR_SS_EUlSR_E_NS1_11comp_targetILNS1_3genE9ELNS1_11target_archE1100ELNS1_3gpuE3ELNS1_3repE0EEENS1_30default_config_static_selectorELNS0_4arch9wavefront6targetE1EEEvT1_
	.p2align	8
	.type	_ZN7rocprim17ROCPRIM_400000_NS6detail17trampoline_kernelINS0_14default_configENS1_20scan_config_selectorIfEEZZNS1_9scan_implILNS1_25lookback_scan_determinismE0ELb1ELb1ES3_N6thrust23THRUST_200600_302600_NS6detail15normal_iteratorINS9_10device_ptrIiEEEENSB_INSC_IfEEEEfNS9_4plusIvEEfEEDaPvRmT3_T4_T5_mT6_P12ihipStream_tbENKUlT_T0_E_clISt17integral_constantIbLb1EESW_EEDaSR_SS_EUlSR_E_NS1_11comp_targetILNS1_3genE9ELNS1_11target_archE1100ELNS1_3gpuE3ELNS1_3repE0EEENS1_30default_config_static_selectorELNS0_4arch9wavefront6targetE1EEEvT1_,@function
_ZN7rocprim17ROCPRIM_400000_NS6detail17trampoline_kernelINS0_14default_configENS1_20scan_config_selectorIfEEZZNS1_9scan_implILNS1_25lookback_scan_determinismE0ELb1ELb1ES3_N6thrust23THRUST_200600_302600_NS6detail15normal_iteratorINS9_10device_ptrIiEEEENSB_INSC_IfEEEEfNS9_4plusIvEEfEEDaPvRmT3_T4_T5_mT6_P12ihipStream_tbENKUlT_T0_E_clISt17integral_constantIbLb1EESW_EEDaSR_SS_EUlSR_E_NS1_11comp_targetILNS1_3genE9ELNS1_11target_archE1100ELNS1_3gpuE3ELNS1_3repE0EEENS1_30default_config_static_selectorELNS0_4arch9wavefront6targetE1EEEvT1_: ; @_ZN7rocprim17ROCPRIM_400000_NS6detail17trampoline_kernelINS0_14default_configENS1_20scan_config_selectorIfEEZZNS1_9scan_implILNS1_25lookback_scan_determinismE0ELb1ELb1ES3_N6thrust23THRUST_200600_302600_NS6detail15normal_iteratorINS9_10device_ptrIiEEEENSB_INSC_IfEEEEfNS9_4plusIvEEfEEDaPvRmT3_T4_T5_mT6_P12ihipStream_tbENKUlT_T0_E_clISt17integral_constantIbLb1EESW_EEDaSR_SS_EUlSR_E_NS1_11comp_targetILNS1_3genE9ELNS1_11target_archE1100ELNS1_3gpuE3ELNS1_3repE0EEENS1_30default_config_static_selectorELNS0_4arch9wavefront6targetE1EEEvT1_
; %bb.0:
	.section	.rodata,"a",@progbits
	.p2align	6, 0x0
	.amdhsa_kernel _ZN7rocprim17ROCPRIM_400000_NS6detail17trampoline_kernelINS0_14default_configENS1_20scan_config_selectorIfEEZZNS1_9scan_implILNS1_25lookback_scan_determinismE0ELb1ELb1ES3_N6thrust23THRUST_200600_302600_NS6detail15normal_iteratorINS9_10device_ptrIiEEEENSB_INSC_IfEEEEfNS9_4plusIvEEfEEDaPvRmT3_T4_T5_mT6_P12ihipStream_tbENKUlT_T0_E_clISt17integral_constantIbLb1EESW_EEDaSR_SS_EUlSR_E_NS1_11comp_targetILNS1_3genE9ELNS1_11target_archE1100ELNS1_3gpuE3ELNS1_3repE0EEENS1_30default_config_static_selectorELNS0_4arch9wavefront6targetE1EEEvT1_
		.amdhsa_group_segment_fixed_size 0
		.amdhsa_private_segment_fixed_size 0
		.amdhsa_kernarg_size 96
		.amdhsa_user_sgpr_count 6
		.amdhsa_user_sgpr_private_segment_buffer 1
		.amdhsa_user_sgpr_dispatch_ptr 0
		.amdhsa_user_sgpr_queue_ptr 0
		.amdhsa_user_sgpr_kernarg_segment_ptr 1
		.amdhsa_user_sgpr_dispatch_id 0
		.amdhsa_user_sgpr_flat_scratch_init 0
		.amdhsa_user_sgpr_kernarg_preload_length 0
		.amdhsa_user_sgpr_kernarg_preload_offset 0
		.amdhsa_user_sgpr_private_segment_size 0
		.amdhsa_uses_dynamic_stack 0
		.amdhsa_system_sgpr_private_segment_wavefront_offset 0
		.amdhsa_system_sgpr_workgroup_id_x 1
		.amdhsa_system_sgpr_workgroup_id_y 0
		.amdhsa_system_sgpr_workgroup_id_z 0
		.amdhsa_system_sgpr_workgroup_info 0
		.amdhsa_system_vgpr_workitem_id 0
		.amdhsa_next_free_vgpr 1
		.amdhsa_next_free_sgpr 0
		.amdhsa_accum_offset 4
		.amdhsa_reserve_vcc 0
		.amdhsa_reserve_flat_scratch 0
		.amdhsa_float_round_mode_32 0
		.amdhsa_float_round_mode_16_64 0
		.amdhsa_float_denorm_mode_32 3
		.amdhsa_float_denorm_mode_16_64 3
		.amdhsa_dx10_clamp 1
		.amdhsa_ieee_mode 1
		.amdhsa_fp16_overflow 0
		.amdhsa_tg_split 0
		.amdhsa_exception_fp_ieee_invalid_op 0
		.amdhsa_exception_fp_denorm_src 0
		.amdhsa_exception_fp_ieee_div_zero 0
		.amdhsa_exception_fp_ieee_overflow 0
		.amdhsa_exception_fp_ieee_underflow 0
		.amdhsa_exception_fp_ieee_inexact 0
		.amdhsa_exception_int_div_zero 0
	.end_amdhsa_kernel
	.section	.text._ZN7rocprim17ROCPRIM_400000_NS6detail17trampoline_kernelINS0_14default_configENS1_20scan_config_selectorIfEEZZNS1_9scan_implILNS1_25lookback_scan_determinismE0ELb1ELb1ES3_N6thrust23THRUST_200600_302600_NS6detail15normal_iteratorINS9_10device_ptrIiEEEENSB_INSC_IfEEEEfNS9_4plusIvEEfEEDaPvRmT3_T4_T5_mT6_P12ihipStream_tbENKUlT_T0_E_clISt17integral_constantIbLb1EESW_EEDaSR_SS_EUlSR_E_NS1_11comp_targetILNS1_3genE9ELNS1_11target_archE1100ELNS1_3gpuE3ELNS1_3repE0EEENS1_30default_config_static_selectorELNS0_4arch9wavefront6targetE1EEEvT1_,"axG",@progbits,_ZN7rocprim17ROCPRIM_400000_NS6detail17trampoline_kernelINS0_14default_configENS1_20scan_config_selectorIfEEZZNS1_9scan_implILNS1_25lookback_scan_determinismE0ELb1ELb1ES3_N6thrust23THRUST_200600_302600_NS6detail15normal_iteratorINS9_10device_ptrIiEEEENSB_INSC_IfEEEEfNS9_4plusIvEEfEEDaPvRmT3_T4_T5_mT6_P12ihipStream_tbENKUlT_T0_E_clISt17integral_constantIbLb1EESW_EEDaSR_SS_EUlSR_E_NS1_11comp_targetILNS1_3genE9ELNS1_11target_archE1100ELNS1_3gpuE3ELNS1_3repE0EEENS1_30default_config_static_selectorELNS0_4arch9wavefront6targetE1EEEvT1_,comdat
.Lfunc_end1739:
	.size	_ZN7rocprim17ROCPRIM_400000_NS6detail17trampoline_kernelINS0_14default_configENS1_20scan_config_selectorIfEEZZNS1_9scan_implILNS1_25lookback_scan_determinismE0ELb1ELb1ES3_N6thrust23THRUST_200600_302600_NS6detail15normal_iteratorINS9_10device_ptrIiEEEENSB_INSC_IfEEEEfNS9_4plusIvEEfEEDaPvRmT3_T4_T5_mT6_P12ihipStream_tbENKUlT_T0_E_clISt17integral_constantIbLb1EESW_EEDaSR_SS_EUlSR_E_NS1_11comp_targetILNS1_3genE9ELNS1_11target_archE1100ELNS1_3gpuE3ELNS1_3repE0EEENS1_30default_config_static_selectorELNS0_4arch9wavefront6targetE1EEEvT1_, .Lfunc_end1739-_ZN7rocprim17ROCPRIM_400000_NS6detail17trampoline_kernelINS0_14default_configENS1_20scan_config_selectorIfEEZZNS1_9scan_implILNS1_25lookback_scan_determinismE0ELb1ELb1ES3_N6thrust23THRUST_200600_302600_NS6detail15normal_iteratorINS9_10device_ptrIiEEEENSB_INSC_IfEEEEfNS9_4plusIvEEfEEDaPvRmT3_T4_T5_mT6_P12ihipStream_tbENKUlT_T0_E_clISt17integral_constantIbLb1EESW_EEDaSR_SS_EUlSR_E_NS1_11comp_targetILNS1_3genE9ELNS1_11target_archE1100ELNS1_3gpuE3ELNS1_3repE0EEENS1_30default_config_static_selectorELNS0_4arch9wavefront6targetE1EEEvT1_
                                        ; -- End function
	.section	.AMDGPU.csdata,"",@progbits
; Kernel info:
; codeLenInByte = 0
; NumSgprs: 4
; NumVgprs: 0
; NumAgprs: 0
; TotalNumVgprs: 0
; ScratchSize: 0
; MemoryBound: 0
; FloatMode: 240
; IeeeMode: 1
; LDSByteSize: 0 bytes/workgroup (compile time only)
; SGPRBlocks: 0
; VGPRBlocks: 0
; NumSGPRsForWavesPerEU: 4
; NumVGPRsForWavesPerEU: 1
; AccumOffset: 4
; Occupancy: 8
; WaveLimiterHint : 0
; COMPUTE_PGM_RSRC2:SCRATCH_EN: 0
; COMPUTE_PGM_RSRC2:USER_SGPR: 6
; COMPUTE_PGM_RSRC2:TRAP_HANDLER: 0
; COMPUTE_PGM_RSRC2:TGID_X_EN: 1
; COMPUTE_PGM_RSRC2:TGID_Y_EN: 0
; COMPUTE_PGM_RSRC2:TGID_Z_EN: 0
; COMPUTE_PGM_RSRC2:TIDIG_COMP_CNT: 0
; COMPUTE_PGM_RSRC3_GFX90A:ACCUM_OFFSET: 0
; COMPUTE_PGM_RSRC3_GFX90A:TG_SPLIT: 0
	.section	.text._ZN7rocprim17ROCPRIM_400000_NS6detail17trampoline_kernelINS0_14default_configENS1_20scan_config_selectorIfEEZZNS1_9scan_implILNS1_25lookback_scan_determinismE0ELb1ELb1ES3_N6thrust23THRUST_200600_302600_NS6detail15normal_iteratorINS9_10device_ptrIiEEEENSB_INSC_IfEEEEfNS9_4plusIvEEfEEDaPvRmT3_T4_T5_mT6_P12ihipStream_tbENKUlT_T0_E_clISt17integral_constantIbLb1EESW_EEDaSR_SS_EUlSR_E_NS1_11comp_targetILNS1_3genE8ELNS1_11target_archE1030ELNS1_3gpuE2ELNS1_3repE0EEENS1_30default_config_static_selectorELNS0_4arch9wavefront6targetE1EEEvT1_,"axG",@progbits,_ZN7rocprim17ROCPRIM_400000_NS6detail17trampoline_kernelINS0_14default_configENS1_20scan_config_selectorIfEEZZNS1_9scan_implILNS1_25lookback_scan_determinismE0ELb1ELb1ES3_N6thrust23THRUST_200600_302600_NS6detail15normal_iteratorINS9_10device_ptrIiEEEENSB_INSC_IfEEEEfNS9_4plusIvEEfEEDaPvRmT3_T4_T5_mT6_P12ihipStream_tbENKUlT_T0_E_clISt17integral_constantIbLb1EESW_EEDaSR_SS_EUlSR_E_NS1_11comp_targetILNS1_3genE8ELNS1_11target_archE1030ELNS1_3gpuE2ELNS1_3repE0EEENS1_30default_config_static_selectorELNS0_4arch9wavefront6targetE1EEEvT1_,comdat
	.protected	_ZN7rocprim17ROCPRIM_400000_NS6detail17trampoline_kernelINS0_14default_configENS1_20scan_config_selectorIfEEZZNS1_9scan_implILNS1_25lookback_scan_determinismE0ELb1ELb1ES3_N6thrust23THRUST_200600_302600_NS6detail15normal_iteratorINS9_10device_ptrIiEEEENSB_INSC_IfEEEEfNS9_4plusIvEEfEEDaPvRmT3_T4_T5_mT6_P12ihipStream_tbENKUlT_T0_E_clISt17integral_constantIbLb1EESW_EEDaSR_SS_EUlSR_E_NS1_11comp_targetILNS1_3genE8ELNS1_11target_archE1030ELNS1_3gpuE2ELNS1_3repE0EEENS1_30default_config_static_selectorELNS0_4arch9wavefront6targetE1EEEvT1_ ; -- Begin function _ZN7rocprim17ROCPRIM_400000_NS6detail17trampoline_kernelINS0_14default_configENS1_20scan_config_selectorIfEEZZNS1_9scan_implILNS1_25lookback_scan_determinismE0ELb1ELb1ES3_N6thrust23THRUST_200600_302600_NS6detail15normal_iteratorINS9_10device_ptrIiEEEENSB_INSC_IfEEEEfNS9_4plusIvEEfEEDaPvRmT3_T4_T5_mT6_P12ihipStream_tbENKUlT_T0_E_clISt17integral_constantIbLb1EESW_EEDaSR_SS_EUlSR_E_NS1_11comp_targetILNS1_3genE8ELNS1_11target_archE1030ELNS1_3gpuE2ELNS1_3repE0EEENS1_30default_config_static_selectorELNS0_4arch9wavefront6targetE1EEEvT1_
	.globl	_ZN7rocprim17ROCPRIM_400000_NS6detail17trampoline_kernelINS0_14default_configENS1_20scan_config_selectorIfEEZZNS1_9scan_implILNS1_25lookback_scan_determinismE0ELb1ELb1ES3_N6thrust23THRUST_200600_302600_NS6detail15normal_iteratorINS9_10device_ptrIiEEEENSB_INSC_IfEEEEfNS9_4plusIvEEfEEDaPvRmT3_T4_T5_mT6_P12ihipStream_tbENKUlT_T0_E_clISt17integral_constantIbLb1EESW_EEDaSR_SS_EUlSR_E_NS1_11comp_targetILNS1_3genE8ELNS1_11target_archE1030ELNS1_3gpuE2ELNS1_3repE0EEENS1_30default_config_static_selectorELNS0_4arch9wavefront6targetE1EEEvT1_
	.p2align	8
	.type	_ZN7rocprim17ROCPRIM_400000_NS6detail17trampoline_kernelINS0_14default_configENS1_20scan_config_selectorIfEEZZNS1_9scan_implILNS1_25lookback_scan_determinismE0ELb1ELb1ES3_N6thrust23THRUST_200600_302600_NS6detail15normal_iteratorINS9_10device_ptrIiEEEENSB_INSC_IfEEEEfNS9_4plusIvEEfEEDaPvRmT3_T4_T5_mT6_P12ihipStream_tbENKUlT_T0_E_clISt17integral_constantIbLb1EESW_EEDaSR_SS_EUlSR_E_NS1_11comp_targetILNS1_3genE8ELNS1_11target_archE1030ELNS1_3gpuE2ELNS1_3repE0EEENS1_30default_config_static_selectorELNS0_4arch9wavefront6targetE1EEEvT1_,@function
_ZN7rocprim17ROCPRIM_400000_NS6detail17trampoline_kernelINS0_14default_configENS1_20scan_config_selectorIfEEZZNS1_9scan_implILNS1_25lookback_scan_determinismE0ELb1ELb1ES3_N6thrust23THRUST_200600_302600_NS6detail15normal_iteratorINS9_10device_ptrIiEEEENSB_INSC_IfEEEEfNS9_4plusIvEEfEEDaPvRmT3_T4_T5_mT6_P12ihipStream_tbENKUlT_T0_E_clISt17integral_constantIbLb1EESW_EEDaSR_SS_EUlSR_E_NS1_11comp_targetILNS1_3genE8ELNS1_11target_archE1030ELNS1_3gpuE2ELNS1_3repE0EEENS1_30default_config_static_selectorELNS0_4arch9wavefront6targetE1EEEvT1_: ; @_ZN7rocprim17ROCPRIM_400000_NS6detail17trampoline_kernelINS0_14default_configENS1_20scan_config_selectorIfEEZZNS1_9scan_implILNS1_25lookback_scan_determinismE0ELb1ELb1ES3_N6thrust23THRUST_200600_302600_NS6detail15normal_iteratorINS9_10device_ptrIiEEEENSB_INSC_IfEEEEfNS9_4plusIvEEfEEDaPvRmT3_T4_T5_mT6_P12ihipStream_tbENKUlT_T0_E_clISt17integral_constantIbLb1EESW_EEDaSR_SS_EUlSR_E_NS1_11comp_targetILNS1_3genE8ELNS1_11target_archE1030ELNS1_3gpuE2ELNS1_3repE0EEENS1_30default_config_static_selectorELNS0_4arch9wavefront6targetE1EEEvT1_
; %bb.0:
	.section	.rodata,"a",@progbits
	.p2align	6, 0x0
	.amdhsa_kernel _ZN7rocprim17ROCPRIM_400000_NS6detail17trampoline_kernelINS0_14default_configENS1_20scan_config_selectorIfEEZZNS1_9scan_implILNS1_25lookback_scan_determinismE0ELb1ELb1ES3_N6thrust23THRUST_200600_302600_NS6detail15normal_iteratorINS9_10device_ptrIiEEEENSB_INSC_IfEEEEfNS9_4plusIvEEfEEDaPvRmT3_T4_T5_mT6_P12ihipStream_tbENKUlT_T0_E_clISt17integral_constantIbLb1EESW_EEDaSR_SS_EUlSR_E_NS1_11comp_targetILNS1_3genE8ELNS1_11target_archE1030ELNS1_3gpuE2ELNS1_3repE0EEENS1_30default_config_static_selectorELNS0_4arch9wavefront6targetE1EEEvT1_
		.amdhsa_group_segment_fixed_size 0
		.amdhsa_private_segment_fixed_size 0
		.amdhsa_kernarg_size 96
		.amdhsa_user_sgpr_count 6
		.amdhsa_user_sgpr_private_segment_buffer 1
		.amdhsa_user_sgpr_dispatch_ptr 0
		.amdhsa_user_sgpr_queue_ptr 0
		.amdhsa_user_sgpr_kernarg_segment_ptr 1
		.amdhsa_user_sgpr_dispatch_id 0
		.amdhsa_user_sgpr_flat_scratch_init 0
		.amdhsa_user_sgpr_kernarg_preload_length 0
		.amdhsa_user_sgpr_kernarg_preload_offset 0
		.amdhsa_user_sgpr_private_segment_size 0
		.amdhsa_uses_dynamic_stack 0
		.amdhsa_system_sgpr_private_segment_wavefront_offset 0
		.amdhsa_system_sgpr_workgroup_id_x 1
		.amdhsa_system_sgpr_workgroup_id_y 0
		.amdhsa_system_sgpr_workgroup_id_z 0
		.amdhsa_system_sgpr_workgroup_info 0
		.amdhsa_system_vgpr_workitem_id 0
		.amdhsa_next_free_vgpr 1
		.amdhsa_next_free_sgpr 0
		.amdhsa_accum_offset 4
		.amdhsa_reserve_vcc 0
		.amdhsa_reserve_flat_scratch 0
		.amdhsa_float_round_mode_32 0
		.amdhsa_float_round_mode_16_64 0
		.amdhsa_float_denorm_mode_32 3
		.amdhsa_float_denorm_mode_16_64 3
		.amdhsa_dx10_clamp 1
		.amdhsa_ieee_mode 1
		.amdhsa_fp16_overflow 0
		.amdhsa_tg_split 0
		.amdhsa_exception_fp_ieee_invalid_op 0
		.amdhsa_exception_fp_denorm_src 0
		.amdhsa_exception_fp_ieee_div_zero 0
		.amdhsa_exception_fp_ieee_overflow 0
		.amdhsa_exception_fp_ieee_underflow 0
		.amdhsa_exception_fp_ieee_inexact 0
		.amdhsa_exception_int_div_zero 0
	.end_amdhsa_kernel
	.section	.text._ZN7rocprim17ROCPRIM_400000_NS6detail17trampoline_kernelINS0_14default_configENS1_20scan_config_selectorIfEEZZNS1_9scan_implILNS1_25lookback_scan_determinismE0ELb1ELb1ES3_N6thrust23THRUST_200600_302600_NS6detail15normal_iteratorINS9_10device_ptrIiEEEENSB_INSC_IfEEEEfNS9_4plusIvEEfEEDaPvRmT3_T4_T5_mT6_P12ihipStream_tbENKUlT_T0_E_clISt17integral_constantIbLb1EESW_EEDaSR_SS_EUlSR_E_NS1_11comp_targetILNS1_3genE8ELNS1_11target_archE1030ELNS1_3gpuE2ELNS1_3repE0EEENS1_30default_config_static_selectorELNS0_4arch9wavefront6targetE1EEEvT1_,"axG",@progbits,_ZN7rocprim17ROCPRIM_400000_NS6detail17trampoline_kernelINS0_14default_configENS1_20scan_config_selectorIfEEZZNS1_9scan_implILNS1_25lookback_scan_determinismE0ELb1ELb1ES3_N6thrust23THRUST_200600_302600_NS6detail15normal_iteratorINS9_10device_ptrIiEEEENSB_INSC_IfEEEEfNS9_4plusIvEEfEEDaPvRmT3_T4_T5_mT6_P12ihipStream_tbENKUlT_T0_E_clISt17integral_constantIbLb1EESW_EEDaSR_SS_EUlSR_E_NS1_11comp_targetILNS1_3genE8ELNS1_11target_archE1030ELNS1_3gpuE2ELNS1_3repE0EEENS1_30default_config_static_selectorELNS0_4arch9wavefront6targetE1EEEvT1_,comdat
.Lfunc_end1740:
	.size	_ZN7rocprim17ROCPRIM_400000_NS6detail17trampoline_kernelINS0_14default_configENS1_20scan_config_selectorIfEEZZNS1_9scan_implILNS1_25lookback_scan_determinismE0ELb1ELb1ES3_N6thrust23THRUST_200600_302600_NS6detail15normal_iteratorINS9_10device_ptrIiEEEENSB_INSC_IfEEEEfNS9_4plusIvEEfEEDaPvRmT3_T4_T5_mT6_P12ihipStream_tbENKUlT_T0_E_clISt17integral_constantIbLb1EESW_EEDaSR_SS_EUlSR_E_NS1_11comp_targetILNS1_3genE8ELNS1_11target_archE1030ELNS1_3gpuE2ELNS1_3repE0EEENS1_30default_config_static_selectorELNS0_4arch9wavefront6targetE1EEEvT1_, .Lfunc_end1740-_ZN7rocprim17ROCPRIM_400000_NS6detail17trampoline_kernelINS0_14default_configENS1_20scan_config_selectorIfEEZZNS1_9scan_implILNS1_25lookback_scan_determinismE0ELb1ELb1ES3_N6thrust23THRUST_200600_302600_NS6detail15normal_iteratorINS9_10device_ptrIiEEEENSB_INSC_IfEEEEfNS9_4plusIvEEfEEDaPvRmT3_T4_T5_mT6_P12ihipStream_tbENKUlT_T0_E_clISt17integral_constantIbLb1EESW_EEDaSR_SS_EUlSR_E_NS1_11comp_targetILNS1_3genE8ELNS1_11target_archE1030ELNS1_3gpuE2ELNS1_3repE0EEENS1_30default_config_static_selectorELNS0_4arch9wavefront6targetE1EEEvT1_
                                        ; -- End function
	.section	.AMDGPU.csdata,"",@progbits
; Kernel info:
; codeLenInByte = 0
; NumSgprs: 4
; NumVgprs: 0
; NumAgprs: 0
; TotalNumVgprs: 0
; ScratchSize: 0
; MemoryBound: 0
; FloatMode: 240
; IeeeMode: 1
; LDSByteSize: 0 bytes/workgroup (compile time only)
; SGPRBlocks: 0
; VGPRBlocks: 0
; NumSGPRsForWavesPerEU: 4
; NumVGPRsForWavesPerEU: 1
; AccumOffset: 4
; Occupancy: 8
; WaveLimiterHint : 0
; COMPUTE_PGM_RSRC2:SCRATCH_EN: 0
; COMPUTE_PGM_RSRC2:USER_SGPR: 6
; COMPUTE_PGM_RSRC2:TRAP_HANDLER: 0
; COMPUTE_PGM_RSRC2:TGID_X_EN: 1
; COMPUTE_PGM_RSRC2:TGID_Y_EN: 0
; COMPUTE_PGM_RSRC2:TGID_Z_EN: 0
; COMPUTE_PGM_RSRC2:TIDIG_COMP_CNT: 0
; COMPUTE_PGM_RSRC3_GFX90A:ACCUM_OFFSET: 0
; COMPUTE_PGM_RSRC3_GFX90A:TG_SPLIT: 0
	.section	.text._ZN7rocprim17ROCPRIM_400000_NS6detail17trampoline_kernelINS0_14default_configENS1_20scan_config_selectorIfEEZZNS1_9scan_implILNS1_25lookback_scan_determinismE0ELb1ELb1ES3_N6thrust23THRUST_200600_302600_NS6detail15normal_iteratorINS9_10device_ptrIiEEEENSB_INSC_IfEEEEfNS9_4plusIvEEfEEDaPvRmT3_T4_T5_mT6_P12ihipStream_tbENKUlT_T0_E_clISt17integral_constantIbLb1EESW_EEDaSR_SS_EUlSR_E0_NS1_11comp_targetILNS1_3genE0ELNS1_11target_archE4294967295ELNS1_3gpuE0ELNS1_3repE0EEENS1_30default_config_static_selectorELNS0_4arch9wavefront6targetE1EEEvT1_,"axG",@progbits,_ZN7rocprim17ROCPRIM_400000_NS6detail17trampoline_kernelINS0_14default_configENS1_20scan_config_selectorIfEEZZNS1_9scan_implILNS1_25lookback_scan_determinismE0ELb1ELb1ES3_N6thrust23THRUST_200600_302600_NS6detail15normal_iteratorINS9_10device_ptrIiEEEENSB_INSC_IfEEEEfNS9_4plusIvEEfEEDaPvRmT3_T4_T5_mT6_P12ihipStream_tbENKUlT_T0_E_clISt17integral_constantIbLb1EESW_EEDaSR_SS_EUlSR_E0_NS1_11comp_targetILNS1_3genE0ELNS1_11target_archE4294967295ELNS1_3gpuE0ELNS1_3repE0EEENS1_30default_config_static_selectorELNS0_4arch9wavefront6targetE1EEEvT1_,comdat
	.protected	_ZN7rocprim17ROCPRIM_400000_NS6detail17trampoline_kernelINS0_14default_configENS1_20scan_config_selectorIfEEZZNS1_9scan_implILNS1_25lookback_scan_determinismE0ELb1ELb1ES3_N6thrust23THRUST_200600_302600_NS6detail15normal_iteratorINS9_10device_ptrIiEEEENSB_INSC_IfEEEEfNS9_4plusIvEEfEEDaPvRmT3_T4_T5_mT6_P12ihipStream_tbENKUlT_T0_E_clISt17integral_constantIbLb1EESW_EEDaSR_SS_EUlSR_E0_NS1_11comp_targetILNS1_3genE0ELNS1_11target_archE4294967295ELNS1_3gpuE0ELNS1_3repE0EEENS1_30default_config_static_selectorELNS0_4arch9wavefront6targetE1EEEvT1_ ; -- Begin function _ZN7rocprim17ROCPRIM_400000_NS6detail17trampoline_kernelINS0_14default_configENS1_20scan_config_selectorIfEEZZNS1_9scan_implILNS1_25lookback_scan_determinismE0ELb1ELb1ES3_N6thrust23THRUST_200600_302600_NS6detail15normal_iteratorINS9_10device_ptrIiEEEENSB_INSC_IfEEEEfNS9_4plusIvEEfEEDaPvRmT3_T4_T5_mT6_P12ihipStream_tbENKUlT_T0_E_clISt17integral_constantIbLb1EESW_EEDaSR_SS_EUlSR_E0_NS1_11comp_targetILNS1_3genE0ELNS1_11target_archE4294967295ELNS1_3gpuE0ELNS1_3repE0EEENS1_30default_config_static_selectorELNS0_4arch9wavefront6targetE1EEEvT1_
	.globl	_ZN7rocprim17ROCPRIM_400000_NS6detail17trampoline_kernelINS0_14default_configENS1_20scan_config_selectorIfEEZZNS1_9scan_implILNS1_25lookback_scan_determinismE0ELb1ELb1ES3_N6thrust23THRUST_200600_302600_NS6detail15normal_iteratorINS9_10device_ptrIiEEEENSB_INSC_IfEEEEfNS9_4plusIvEEfEEDaPvRmT3_T4_T5_mT6_P12ihipStream_tbENKUlT_T0_E_clISt17integral_constantIbLb1EESW_EEDaSR_SS_EUlSR_E0_NS1_11comp_targetILNS1_3genE0ELNS1_11target_archE4294967295ELNS1_3gpuE0ELNS1_3repE0EEENS1_30default_config_static_selectorELNS0_4arch9wavefront6targetE1EEEvT1_
	.p2align	8
	.type	_ZN7rocprim17ROCPRIM_400000_NS6detail17trampoline_kernelINS0_14default_configENS1_20scan_config_selectorIfEEZZNS1_9scan_implILNS1_25lookback_scan_determinismE0ELb1ELb1ES3_N6thrust23THRUST_200600_302600_NS6detail15normal_iteratorINS9_10device_ptrIiEEEENSB_INSC_IfEEEEfNS9_4plusIvEEfEEDaPvRmT3_T4_T5_mT6_P12ihipStream_tbENKUlT_T0_E_clISt17integral_constantIbLb1EESW_EEDaSR_SS_EUlSR_E0_NS1_11comp_targetILNS1_3genE0ELNS1_11target_archE4294967295ELNS1_3gpuE0ELNS1_3repE0EEENS1_30default_config_static_selectorELNS0_4arch9wavefront6targetE1EEEvT1_,@function
_ZN7rocprim17ROCPRIM_400000_NS6detail17trampoline_kernelINS0_14default_configENS1_20scan_config_selectorIfEEZZNS1_9scan_implILNS1_25lookback_scan_determinismE0ELb1ELb1ES3_N6thrust23THRUST_200600_302600_NS6detail15normal_iteratorINS9_10device_ptrIiEEEENSB_INSC_IfEEEEfNS9_4plusIvEEfEEDaPvRmT3_T4_T5_mT6_P12ihipStream_tbENKUlT_T0_E_clISt17integral_constantIbLb1EESW_EEDaSR_SS_EUlSR_E0_NS1_11comp_targetILNS1_3genE0ELNS1_11target_archE4294967295ELNS1_3gpuE0ELNS1_3repE0EEENS1_30default_config_static_selectorELNS0_4arch9wavefront6targetE1EEEvT1_: ; @_ZN7rocprim17ROCPRIM_400000_NS6detail17trampoline_kernelINS0_14default_configENS1_20scan_config_selectorIfEEZZNS1_9scan_implILNS1_25lookback_scan_determinismE0ELb1ELb1ES3_N6thrust23THRUST_200600_302600_NS6detail15normal_iteratorINS9_10device_ptrIiEEEENSB_INSC_IfEEEEfNS9_4plusIvEEfEEDaPvRmT3_T4_T5_mT6_P12ihipStream_tbENKUlT_T0_E_clISt17integral_constantIbLb1EESW_EEDaSR_SS_EUlSR_E0_NS1_11comp_targetILNS1_3genE0ELNS1_11target_archE4294967295ELNS1_3gpuE0ELNS1_3repE0EEENS1_30default_config_static_selectorELNS0_4arch9wavefront6targetE1EEEvT1_
; %bb.0:
	.section	.rodata,"a",@progbits
	.p2align	6, 0x0
	.amdhsa_kernel _ZN7rocprim17ROCPRIM_400000_NS6detail17trampoline_kernelINS0_14default_configENS1_20scan_config_selectorIfEEZZNS1_9scan_implILNS1_25lookback_scan_determinismE0ELb1ELb1ES3_N6thrust23THRUST_200600_302600_NS6detail15normal_iteratorINS9_10device_ptrIiEEEENSB_INSC_IfEEEEfNS9_4plusIvEEfEEDaPvRmT3_T4_T5_mT6_P12ihipStream_tbENKUlT_T0_E_clISt17integral_constantIbLb1EESW_EEDaSR_SS_EUlSR_E0_NS1_11comp_targetILNS1_3genE0ELNS1_11target_archE4294967295ELNS1_3gpuE0ELNS1_3repE0EEENS1_30default_config_static_selectorELNS0_4arch9wavefront6targetE1EEEvT1_
		.amdhsa_group_segment_fixed_size 0
		.amdhsa_private_segment_fixed_size 0
		.amdhsa_kernarg_size 32
		.amdhsa_user_sgpr_count 6
		.amdhsa_user_sgpr_private_segment_buffer 1
		.amdhsa_user_sgpr_dispatch_ptr 0
		.amdhsa_user_sgpr_queue_ptr 0
		.amdhsa_user_sgpr_kernarg_segment_ptr 1
		.amdhsa_user_sgpr_dispatch_id 0
		.amdhsa_user_sgpr_flat_scratch_init 0
		.amdhsa_user_sgpr_kernarg_preload_length 0
		.amdhsa_user_sgpr_kernarg_preload_offset 0
		.amdhsa_user_sgpr_private_segment_size 0
		.amdhsa_uses_dynamic_stack 0
		.amdhsa_system_sgpr_private_segment_wavefront_offset 0
		.amdhsa_system_sgpr_workgroup_id_x 1
		.amdhsa_system_sgpr_workgroup_id_y 0
		.amdhsa_system_sgpr_workgroup_id_z 0
		.amdhsa_system_sgpr_workgroup_info 0
		.amdhsa_system_vgpr_workitem_id 0
		.amdhsa_next_free_vgpr 1
		.amdhsa_next_free_sgpr 0
		.amdhsa_accum_offset 4
		.amdhsa_reserve_vcc 0
		.amdhsa_reserve_flat_scratch 0
		.amdhsa_float_round_mode_32 0
		.amdhsa_float_round_mode_16_64 0
		.amdhsa_float_denorm_mode_32 3
		.amdhsa_float_denorm_mode_16_64 3
		.amdhsa_dx10_clamp 1
		.amdhsa_ieee_mode 1
		.amdhsa_fp16_overflow 0
		.amdhsa_tg_split 0
		.amdhsa_exception_fp_ieee_invalid_op 0
		.amdhsa_exception_fp_denorm_src 0
		.amdhsa_exception_fp_ieee_div_zero 0
		.amdhsa_exception_fp_ieee_overflow 0
		.amdhsa_exception_fp_ieee_underflow 0
		.amdhsa_exception_fp_ieee_inexact 0
		.amdhsa_exception_int_div_zero 0
	.end_amdhsa_kernel
	.section	.text._ZN7rocprim17ROCPRIM_400000_NS6detail17trampoline_kernelINS0_14default_configENS1_20scan_config_selectorIfEEZZNS1_9scan_implILNS1_25lookback_scan_determinismE0ELb1ELb1ES3_N6thrust23THRUST_200600_302600_NS6detail15normal_iteratorINS9_10device_ptrIiEEEENSB_INSC_IfEEEEfNS9_4plusIvEEfEEDaPvRmT3_T4_T5_mT6_P12ihipStream_tbENKUlT_T0_E_clISt17integral_constantIbLb1EESW_EEDaSR_SS_EUlSR_E0_NS1_11comp_targetILNS1_3genE0ELNS1_11target_archE4294967295ELNS1_3gpuE0ELNS1_3repE0EEENS1_30default_config_static_selectorELNS0_4arch9wavefront6targetE1EEEvT1_,"axG",@progbits,_ZN7rocprim17ROCPRIM_400000_NS6detail17trampoline_kernelINS0_14default_configENS1_20scan_config_selectorIfEEZZNS1_9scan_implILNS1_25lookback_scan_determinismE0ELb1ELb1ES3_N6thrust23THRUST_200600_302600_NS6detail15normal_iteratorINS9_10device_ptrIiEEEENSB_INSC_IfEEEEfNS9_4plusIvEEfEEDaPvRmT3_T4_T5_mT6_P12ihipStream_tbENKUlT_T0_E_clISt17integral_constantIbLb1EESW_EEDaSR_SS_EUlSR_E0_NS1_11comp_targetILNS1_3genE0ELNS1_11target_archE4294967295ELNS1_3gpuE0ELNS1_3repE0EEENS1_30default_config_static_selectorELNS0_4arch9wavefront6targetE1EEEvT1_,comdat
.Lfunc_end1741:
	.size	_ZN7rocprim17ROCPRIM_400000_NS6detail17trampoline_kernelINS0_14default_configENS1_20scan_config_selectorIfEEZZNS1_9scan_implILNS1_25lookback_scan_determinismE0ELb1ELb1ES3_N6thrust23THRUST_200600_302600_NS6detail15normal_iteratorINS9_10device_ptrIiEEEENSB_INSC_IfEEEEfNS9_4plusIvEEfEEDaPvRmT3_T4_T5_mT6_P12ihipStream_tbENKUlT_T0_E_clISt17integral_constantIbLb1EESW_EEDaSR_SS_EUlSR_E0_NS1_11comp_targetILNS1_3genE0ELNS1_11target_archE4294967295ELNS1_3gpuE0ELNS1_3repE0EEENS1_30default_config_static_selectorELNS0_4arch9wavefront6targetE1EEEvT1_, .Lfunc_end1741-_ZN7rocprim17ROCPRIM_400000_NS6detail17trampoline_kernelINS0_14default_configENS1_20scan_config_selectorIfEEZZNS1_9scan_implILNS1_25lookback_scan_determinismE0ELb1ELb1ES3_N6thrust23THRUST_200600_302600_NS6detail15normal_iteratorINS9_10device_ptrIiEEEENSB_INSC_IfEEEEfNS9_4plusIvEEfEEDaPvRmT3_T4_T5_mT6_P12ihipStream_tbENKUlT_T0_E_clISt17integral_constantIbLb1EESW_EEDaSR_SS_EUlSR_E0_NS1_11comp_targetILNS1_3genE0ELNS1_11target_archE4294967295ELNS1_3gpuE0ELNS1_3repE0EEENS1_30default_config_static_selectorELNS0_4arch9wavefront6targetE1EEEvT1_
                                        ; -- End function
	.section	.AMDGPU.csdata,"",@progbits
; Kernel info:
; codeLenInByte = 0
; NumSgprs: 4
; NumVgprs: 0
; NumAgprs: 0
; TotalNumVgprs: 0
; ScratchSize: 0
; MemoryBound: 0
; FloatMode: 240
; IeeeMode: 1
; LDSByteSize: 0 bytes/workgroup (compile time only)
; SGPRBlocks: 0
; VGPRBlocks: 0
; NumSGPRsForWavesPerEU: 4
; NumVGPRsForWavesPerEU: 1
; AccumOffset: 4
; Occupancy: 8
; WaveLimiterHint : 0
; COMPUTE_PGM_RSRC2:SCRATCH_EN: 0
; COMPUTE_PGM_RSRC2:USER_SGPR: 6
; COMPUTE_PGM_RSRC2:TRAP_HANDLER: 0
; COMPUTE_PGM_RSRC2:TGID_X_EN: 1
; COMPUTE_PGM_RSRC2:TGID_Y_EN: 0
; COMPUTE_PGM_RSRC2:TGID_Z_EN: 0
; COMPUTE_PGM_RSRC2:TIDIG_COMP_CNT: 0
; COMPUTE_PGM_RSRC3_GFX90A:ACCUM_OFFSET: 0
; COMPUTE_PGM_RSRC3_GFX90A:TG_SPLIT: 0
	.section	.text._ZN7rocprim17ROCPRIM_400000_NS6detail17trampoline_kernelINS0_14default_configENS1_20scan_config_selectorIfEEZZNS1_9scan_implILNS1_25lookback_scan_determinismE0ELb1ELb1ES3_N6thrust23THRUST_200600_302600_NS6detail15normal_iteratorINS9_10device_ptrIiEEEENSB_INSC_IfEEEEfNS9_4plusIvEEfEEDaPvRmT3_T4_T5_mT6_P12ihipStream_tbENKUlT_T0_E_clISt17integral_constantIbLb1EESW_EEDaSR_SS_EUlSR_E0_NS1_11comp_targetILNS1_3genE5ELNS1_11target_archE942ELNS1_3gpuE9ELNS1_3repE0EEENS1_30default_config_static_selectorELNS0_4arch9wavefront6targetE1EEEvT1_,"axG",@progbits,_ZN7rocprim17ROCPRIM_400000_NS6detail17trampoline_kernelINS0_14default_configENS1_20scan_config_selectorIfEEZZNS1_9scan_implILNS1_25lookback_scan_determinismE0ELb1ELb1ES3_N6thrust23THRUST_200600_302600_NS6detail15normal_iteratorINS9_10device_ptrIiEEEENSB_INSC_IfEEEEfNS9_4plusIvEEfEEDaPvRmT3_T4_T5_mT6_P12ihipStream_tbENKUlT_T0_E_clISt17integral_constantIbLb1EESW_EEDaSR_SS_EUlSR_E0_NS1_11comp_targetILNS1_3genE5ELNS1_11target_archE942ELNS1_3gpuE9ELNS1_3repE0EEENS1_30default_config_static_selectorELNS0_4arch9wavefront6targetE1EEEvT1_,comdat
	.protected	_ZN7rocprim17ROCPRIM_400000_NS6detail17trampoline_kernelINS0_14default_configENS1_20scan_config_selectorIfEEZZNS1_9scan_implILNS1_25lookback_scan_determinismE0ELb1ELb1ES3_N6thrust23THRUST_200600_302600_NS6detail15normal_iteratorINS9_10device_ptrIiEEEENSB_INSC_IfEEEEfNS9_4plusIvEEfEEDaPvRmT3_T4_T5_mT6_P12ihipStream_tbENKUlT_T0_E_clISt17integral_constantIbLb1EESW_EEDaSR_SS_EUlSR_E0_NS1_11comp_targetILNS1_3genE5ELNS1_11target_archE942ELNS1_3gpuE9ELNS1_3repE0EEENS1_30default_config_static_selectorELNS0_4arch9wavefront6targetE1EEEvT1_ ; -- Begin function _ZN7rocprim17ROCPRIM_400000_NS6detail17trampoline_kernelINS0_14default_configENS1_20scan_config_selectorIfEEZZNS1_9scan_implILNS1_25lookback_scan_determinismE0ELb1ELb1ES3_N6thrust23THRUST_200600_302600_NS6detail15normal_iteratorINS9_10device_ptrIiEEEENSB_INSC_IfEEEEfNS9_4plusIvEEfEEDaPvRmT3_T4_T5_mT6_P12ihipStream_tbENKUlT_T0_E_clISt17integral_constantIbLb1EESW_EEDaSR_SS_EUlSR_E0_NS1_11comp_targetILNS1_3genE5ELNS1_11target_archE942ELNS1_3gpuE9ELNS1_3repE0EEENS1_30default_config_static_selectorELNS0_4arch9wavefront6targetE1EEEvT1_
	.globl	_ZN7rocprim17ROCPRIM_400000_NS6detail17trampoline_kernelINS0_14default_configENS1_20scan_config_selectorIfEEZZNS1_9scan_implILNS1_25lookback_scan_determinismE0ELb1ELb1ES3_N6thrust23THRUST_200600_302600_NS6detail15normal_iteratorINS9_10device_ptrIiEEEENSB_INSC_IfEEEEfNS9_4plusIvEEfEEDaPvRmT3_T4_T5_mT6_P12ihipStream_tbENKUlT_T0_E_clISt17integral_constantIbLb1EESW_EEDaSR_SS_EUlSR_E0_NS1_11comp_targetILNS1_3genE5ELNS1_11target_archE942ELNS1_3gpuE9ELNS1_3repE0EEENS1_30default_config_static_selectorELNS0_4arch9wavefront6targetE1EEEvT1_
	.p2align	8
	.type	_ZN7rocprim17ROCPRIM_400000_NS6detail17trampoline_kernelINS0_14default_configENS1_20scan_config_selectorIfEEZZNS1_9scan_implILNS1_25lookback_scan_determinismE0ELb1ELb1ES3_N6thrust23THRUST_200600_302600_NS6detail15normal_iteratorINS9_10device_ptrIiEEEENSB_INSC_IfEEEEfNS9_4plusIvEEfEEDaPvRmT3_T4_T5_mT6_P12ihipStream_tbENKUlT_T0_E_clISt17integral_constantIbLb1EESW_EEDaSR_SS_EUlSR_E0_NS1_11comp_targetILNS1_3genE5ELNS1_11target_archE942ELNS1_3gpuE9ELNS1_3repE0EEENS1_30default_config_static_selectorELNS0_4arch9wavefront6targetE1EEEvT1_,@function
_ZN7rocprim17ROCPRIM_400000_NS6detail17trampoline_kernelINS0_14default_configENS1_20scan_config_selectorIfEEZZNS1_9scan_implILNS1_25lookback_scan_determinismE0ELb1ELb1ES3_N6thrust23THRUST_200600_302600_NS6detail15normal_iteratorINS9_10device_ptrIiEEEENSB_INSC_IfEEEEfNS9_4plusIvEEfEEDaPvRmT3_T4_T5_mT6_P12ihipStream_tbENKUlT_T0_E_clISt17integral_constantIbLb1EESW_EEDaSR_SS_EUlSR_E0_NS1_11comp_targetILNS1_3genE5ELNS1_11target_archE942ELNS1_3gpuE9ELNS1_3repE0EEENS1_30default_config_static_selectorELNS0_4arch9wavefront6targetE1EEEvT1_: ; @_ZN7rocprim17ROCPRIM_400000_NS6detail17trampoline_kernelINS0_14default_configENS1_20scan_config_selectorIfEEZZNS1_9scan_implILNS1_25lookback_scan_determinismE0ELb1ELb1ES3_N6thrust23THRUST_200600_302600_NS6detail15normal_iteratorINS9_10device_ptrIiEEEENSB_INSC_IfEEEEfNS9_4plusIvEEfEEDaPvRmT3_T4_T5_mT6_P12ihipStream_tbENKUlT_T0_E_clISt17integral_constantIbLb1EESW_EEDaSR_SS_EUlSR_E0_NS1_11comp_targetILNS1_3genE5ELNS1_11target_archE942ELNS1_3gpuE9ELNS1_3repE0EEENS1_30default_config_static_selectorELNS0_4arch9wavefront6targetE1EEEvT1_
; %bb.0:
	.section	.rodata,"a",@progbits
	.p2align	6, 0x0
	.amdhsa_kernel _ZN7rocprim17ROCPRIM_400000_NS6detail17trampoline_kernelINS0_14default_configENS1_20scan_config_selectorIfEEZZNS1_9scan_implILNS1_25lookback_scan_determinismE0ELb1ELb1ES3_N6thrust23THRUST_200600_302600_NS6detail15normal_iteratorINS9_10device_ptrIiEEEENSB_INSC_IfEEEEfNS9_4plusIvEEfEEDaPvRmT3_T4_T5_mT6_P12ihipStream_tbENKUlT_T0_E_clISt17integral_constantIbLb1EESW_EEDaSR_SS_EUlSR_E0_NS1_11comp_targetILNS1_3genE5ELNS1_11target_archE942ELNS1_3gpuE9ELNS1_3repE0EEENS1_30default_config_static_selectorELNS0_4arch9wavefront6targetE1EEEvT1_
		.amdhsa_group_segment_fixed_size 0
		.amdhsa_private_segment_fixed_size 0
		.amdhsa_kernarg_size 32
		.amdhsa_user_sgpr_count 6
		.amdhsa_user_sgpr_private_segment_buffer 1
		.amdhsa_user_sgpr_dispatch_ptr 0
		.amdhsa_user_sgpr_queue_ptr 0
		.amdhsa_user_sgpr_kernarg_segment_ptr 1
		.amdhsa_user_sgpr_dispatch_id 0
		.amdhsa_user_sgpr_flat_scratch_init 0
		.amdhsa_user_sgpr_kernarg_preload_length 0
		.amdhsa_user_sgpr_kernarg_preload_offset 0
		.amdhsa_user_sgpr_private_segment_size 0
		.amdhsa_uses_dynamic_stack 0
		.amdhsa_system_sgpr_private_segment_wavefront_offset 0
		.amdhsa_system_sgpr_workgroup_id_x 1
		.amdhsa_system_sgpr_workgroup_id_y 0
		.amdhsa_system_sgpr_workgroup_id_z 0
		.amdhsa_system_sgpr_workgroup_info 0
		.amdhsa_system_vgpr_workitem_id 0
		.amdhsa_next_free_vgpr 1
		.amdhsa_next_free_sgpr 0
		.amdhsa_accum_offset 4
		.amdhsa_reserve_vcc 0
		.amdhsa_reserve_flat_scratch 0
		.amdhsa_float_round_mode_32 0
		.amdhsa_float_round_mode_16_64 0
		.amdhsa_float_denorm_mode_32 3
		.amdhsa_float_denorm_mode_16_64 3
		.amdhsa_dx10_clamp 1
		.amdhsa_ieee_mode 1
		.amdhsa_fp16_overflow 0
		.amdhsa_tg_split 0
		.amdhsa_exception_fp_ieee_invalid_op 0
		.amdhsa_exception_fp_denorm_src 0
		.amdhsa_exception_fp_ieee_div_zero 0
		.amdhsa_exception_fp_ieee_overflow 0
		.amdhsa_exception_fp_ieee_underflow 0
		.amdhsa_exception_fp_ieee_inexact 0
		.amdhsa_exception_int_div_zero 0
	.end_amdhsa_kernel
	.section	.text._ZN7rocprim17ROCPRIM_400000_NS6detail17trampoline_kernelINS0_14default_configENS1_20scan_config_selectorIfEEZZNS1_9scan_implILNS1_25lookback_scan_determinismE0ELb1ELb1ES3_N6thrust23THRUST_200600_302600_NS6detail15normal_iteratorINS9_10device_ptrIiEEEENSB_INSC_IfEEEEfNS9_4plusIvEEfEEDaPvRmT3_T4_T5_mT6_P12ihipStream_tbENKUlT_T0_E_clISt17integral_constantIbLb1EESW_EEDaSR_SS_EUlSR_E0_NS1_11comp_targetILNS1_3genE5ELNS1_11target_archE942ELNS1_3gpuE9ELNS1_3repE0EEENS1_30default_config_static_selectorELNS0_4arch9wavefront6targetE1EEEvT1_,"axG",@progbits,_ZN7rocprim17ROCPRIM_400000_NS6detail17trampoline_kernelINS0_14default_configENS1_20scan_config_selectorIfEEZZNS1_9scan_implILNS1_25lookback_scan_determinismE0ELb1ELb1ES3_N6thrust23THRUST_200600_302600_NS6detail15normal_iteratorINS9_10device_ptrIiEEEENSB_INSC_IfEEEEfNS9_4plusIvEEfEEDaPvRmT3_T4_T5_mT6_P12ihipStream_tbENKUlT_T0_E_clISt17integral_constantIbLb1EESW_EEDaSR_SS_EUlSR_E0_NS1_11comp_targetILNS1_3genE5ELNS1_11target_archE942ELNS1_3gpuE9ELNS1_3repE0EEENS1_30default_config_static_selectorELNS0_4arch9wavefront6targetE1EEEvT1_,comdat
.Lfunc_end1742:
	.size	_ZN7rocprim17ROCPRIM_400000_NS6detail17trampoline_kernelINS0_14default_configENS1_20scan_config_selectorIfEEZZNS1_9scan_implILNS1_25lookback_scan_determinismE0ELb1ELb1ES3_N6thrust23THRUST_200600_302600_NS6detail15normal_iteratorINS9_10device_ptrIiEEEENSB_INSC_IfEEEEfNS9_4plusIvEEfEEDaPvRmT3_T4_T5_mT6_P12ihipStream_tbENKUlT_T0_E_clISt17integral_constantIbLb1EESW_EEDaSR_SS_EUlSR_E0_NS1_11comp_targetILNS1_3genE5ELNS1_11target_archE942ELNS1_3gpuE9ELNS1_3repE0EEENS1_30default_config_static_selectorELNS0_4arch9wavefront6targetE1EEEvT1_, .Lfunc_end1742-_ZN7rocprim17ROCPRIM_400000_NS6detail17trampoline_kernelINS0_14default_configENS1_20scan_config_selectorIfEEZZNS1_9scan_implILNS1_25lookback_scan_determinismE0ELb1ELb1ES3_N6thrust23THRUST_200600_302600_NS6detail15normal_iteratorINS9_10device_ptrIiEEEENSB_INSC_IfEEEEfNS9_4plusIvEEfEEDaPvRmT3_T4_T5_mT6_P12ihipStream_tbENKUlT_T0_E_clISt17integral_constantIbLb1EESW_EEDaSR_SS_EUlSR_E0_NS1_11comp_targetILNS1_3genE5ELNS1_11target_archE942ELNS1_3gpuE9ELNS1_3repE0EEENS1_30default_config_static_selectorELNS0_4arch9wavefront6targetE1EEEvT1_
                                        ; -- End function
	.section	.AMDGPU.csdata,"",@progbits
; Kernel info:
; codeLenInByte = 0
; NumSgprs: 4
; NumVgprs: 0
; NumAgprs: 0
; TotalNumVgprs: 0
; ScratchSize: 0
; MemoryBound: 0
; FloatMode: 240
; IeeeMode: 1
; LDSByteSize: 0 bytes/workgroup (compile time only)
; SGPRBlocks: 0
; VGPRBlocks: 0
; NumSGPRsForWavesPerEU: 4
; NumVGPRsForWavesPerEU: 1
; AccumOffset: 4
; Occupancy: 8
; WaveLimiterHint : 0
; COMPUTE_PGM_RSRC2:SCRATCH_EN: 0
; COMPUTE_PGM_RSRC2:USER_SGPR: 6
; COMPUTE_PGM_RSRC2:TRAP_HANDLER: 0
; COMPUTE_PGM_RSRC2:TGID_X_EN: 1
; COMPUTE_PGM_RSRC2:TGID_Y_EN: 0
; COMPUTE_PGM_RSRC2:TGID_Z_EN: 0
; COMPUTE_PGM_RSRC2:TIDIG_COMP_CNT: 0
; COMPUTE_PGM_RSRC3_GFX90A:ACCUM_OFFSET: 0
; COMPUTE_PGM_RSRC3_GFX90A:TG_SPLIT: 0
	.section	.text._ZN7rocprim17ROCPRIM_400000_NS6detail17trampoline_kernelINS0_14default_configENS1_20scan_config_selectorIfEEZZNS1_9scan_implILNS1_25lookback_scan_determinismE0ELb1ELb1ES3_N6thrust23THRUST_200600_302600_NS6detail15normal_iteratorINS9_10device_ptrIiEEEENSB_INSC_IfEEEEfNS9_4plusIvEEfEEDaPvRmT3_T4_T5_mT6_P12ihipStream_tbENKUlT_T0_E_clISt17integral_constantIbLb1EESW_EEDaSR_SS_EUlSR_E0_NS1_11comp_targetILNS1_3genE4ELNS1_11target_archE910ELNS1_3gpuE8ELNS1_3repE0EEENS1_30default_config_static_selectorELNS0_4arch9wavefront6targetE1EEEvT1_,"axG",@progbits,_ZN7rocprim17ROCPRIM_400000_NS6detail17trampoline_kernelINS0_14default_configENS1_20scan_config_selectorIfEEZZNS1_9scan_implILNS1_25lookback_scan_determinismE0ELb1ELb1ES3_N6thrust23THRUST_200600_302600_NS6detail15normal_iteratorINS9_10device_ptrIiEEEENSB_INSC_IfEEEEfNS9_4plusIvEEfEEDaPvRmT3_T4_T5_mT6_P12ihipStream_tbENKUlT_T0_E_clISt17integral_constantIbLb1EESW_EEDaSR_SS_EUlSR_E0_NS1_11comp_targetILNS1_3genE4ELNS1_11target_archE910ELNS1_3gpuE8ELNS1_3repE0EEENS1_30default_config_static_selectorELNS0_4arch9wavefront6targetE1EEEvT1_,comdat
	.protected	_ZN7rocprim17ROCPRIM_400000_NS6detail17trampoline_kernelINS0_14default_configENS1_20scan_config_selectorIfEEZZNS1_9scan_implILNS1_25lookback_scan_determinismE0ELb1ELb1ES3_N6thrust23THRUST_200600_302600_NS6detail15normal_iteratorINS9_10device_ptrIiEEEENSB_INSC_IfEEEEfNS9_4plusIvEEfEEDaPvRmT3_T4_T5_mT6_P12ihipStream_tbENKUlT_T0_E_clISt17integral_constantIbLb1EESW_EEDaSR_SS_EUlSR_E0_NS1_11comp_targetILNS1_3genE4ELNS1_11target_archE910ELNS1_3gpuE8ELNS1_3repE0EEENS1_30default_config_static_selectorELNS0_4arch9wavefront6targetE1EEEvT1_ ; -- Begin function _ZN7rocprim17ROCPRIM_400000_NS6detail17trampoline_kernelINS0_14default_configENS1_20scan_config_selectorIfEEZZNS1_9scan_implILNS1_25lookback_scan_determinismE0ELb1ELb1ES3_N6thrust23THRUST_200600_302600_NS6detail15normal_iteratorINS9_10device_ptrIiEEEENSB_INSC_IfEEEEfNS9_4plusIvEEfEEDaPvRmT3_T4_T5_mT6_P12ihipStream_tbENKUlT_T0_E_clISt17integral_constantIbLb1EESW_EEDaSR_SS_EUlSR_E0_NS1_11comp_targetILNS1_3genE4ELNS1_11target_archE910ELNS1_3gpuE8ELNS1_3repE0EEENS1_30default_config_static_selectorELNS0_4arch9wavefront6targetE1EEEvT1_
	.globl	_ZN7rocprim17ROCPRIM_400000_NS6detail17trampoline_kernelINS0_14default_configENS1_20scan_config_selectorIfEEZZNS1_9scan_implILNS1_25lookback_scan_determinismE0ELb1ELb1ES3_N6thrust23THRUST_200600_302600_NS6detail15normal_iteratorINS9_10device_ptrIiEEEENSB_INSC_IfEEEEfNS9_4plusIvEEfEEDaPvRmT3_T4_T5_mT6_P12ihipStream_tbENKUlT_T0_E_clISt17integral_constantIbLb1EESW_EEDaSR_SS_EUlSR_E0_NS1_11comp_targetILNS1_3genE4ELNS1_11target_archE910ELNS1_3gpuE8ELNS1_3repE0EEENS1_30default_config_static_selectorELNS0_4arch9wavefront6targetE1EEEvT1_
	.p2align	8
	.type	_ZN7rocprim17ROCPRIM_400000_NS6detail17trampoline_kernelINS0_14default_configENS1_20scan_config_selectorIfEEZZNS1_9scan_implILNS1_25lookback_scan_determinismE0ELb1ELb1ES3_N6thrust23THRUST_200600_302600_NS6detail15normal_iteratorINS9_10device_ptrIiEEEENSB_INSC_IfEEEEfNS9_4plusIvEEfEEDaPvRmT3_T4_T5_mT6_P12ihipStream_tbENKUlT_T0_E_clISt17integral_constantIbLb1EESW_EEDaSR_SS_EUlSR_E0_NS1_11comp_targetILNS1_3genE4ELNS1_11target_archE910ELNS1_3gpuE8ELNS1_3repE0EEENS1_30default_config_static_selectorELNS0_4arch9wavefront6targetE1EEEvT1_,@function
_ZN7rocprim17ROCPRIM_400000_NS6detail17trampoline_kernelINS0_14default_configENS1_20scan_config_selectorIfEEZZNS1_9scan_implILNS1_25lookback_scan_determinismE0ELb1ELb1ES3_N6thrust23THRUST_200600_302600_NS6detail15normal_iteratorINS9_10device_ptrIiEEEENSB_INSC_IfEEEEfNS9_4plusIvEEfEEDaPvRmT3_T4_T5_mT6_P12ihipStream_tbENKUlT_T0_E_clISt17integral_constantIbLb1EESW_EEDaSR_SS_EUlSR_E0_NS1_11comp_targetILNS1_3genE4ELNS1_11target_archE910ELNS1_3gpuE8ELNS1_3repE0EEENS1_30default_config_static_selectorELNS0_4arch9wavefront6targetE1EEEvT1_: ; @_ZN7rocprim17ROCPRIM_400000_NS6detail17trampoline_kernelINS0_14default_configENS1_20scan_config_selectorIfEEZZNS1_9scan_implILNS1_25lookback_scan_determinismE0ELb1ELb1ES3_N6thrust23THRUST_200600_302600_NS6detail15normal_iteratorINS9_10device_ptrIiEEEENSB_INSC_IfEEEEfNS9_4plusIvEEfEEDaPvRmT3_T4_T5_mT6_P12ihipStream_tbENKUlT_T0_E_clISt17integral_constantIbLb1EESW_EEDaSR_SS_EUlSR_E0_NS1_11comp_targetILNS1_3genE4ELNS1_11target_archE910ELNS1_3gpuE8ELNS1_3repE0EEENS1_30default_config_static_selectorELNS0_4arch9wavefront6targetE1EEEvT1_
; %bb.0:
	s_load_dwordx4 s[28:31], s[4:5], 0x0
	v_lshlrev_b32_e32 v18, 2, v0
	s_waitcnt lgkmcnt(0)
	s_load_dword s0, s[28:29], 0x0
	v_cmp_gt_u32_e32 vcc, s30, v0
	s_waitcnt lgkmcnt(0)
	v_cvt_f32_i32_e32 v1, s0
	v_mov_b32_e32 v2, v1
	s_and_saveexec_b64 s[0:1], vcc
	s_cbranch_execz .LBB1743_2
; %bb.1:
	global_load_dword v2, v18, s[28:29]
	s_waitcnt vmcnt(0)
	v_cvt_f32_i32_e32 v2, v2
.LBB1743_2:
	s_or_b64 exec, exec, s[0:1]
	v_or_b32_e32 v3, 0x80, v0
	v_cmp_gt_u32_e64 s[0:1], s30, v3
	v_mov_b32_e32 v3, v1
	s_and_saveexec_b64 s[2:3], s[0:1]
	s_cbranch_execz .LBB1743_4
; %bb.3:
	global_load_dword v3, v18, s[28:29] offset:512
	s_waitcnt vmcnt(0)
	v_cvt_f32_i32_e32 v3, v3
.LBB1743_4:
	s_or_b64 exec, exec, s[2:3]
	v_or_b32_e32 v4, 0x100, v0
	v_cmp_gt_u32_e64 s[2:3], s30, v4
	v_mov_b32_e32 v4, v1
	s_and_saveexec_b64 s[6:7], s[2:3]
	s_cbranch_execz .LBB1743_6
; %bb.5:
	global_load_dword v4, v18, s[28:29] offset:1024
	s_waitcnt vmcnt(0)
	v_cvt_f32_i32_e32 v4, v4
.LBB1743_6:
	;; [unrolled: 11-line block ×7, first 2 shown]
	s_or_b64 exec, exec, s[14:15]
	v_or_b32_e32 v11, 0x400, v0
	v_cmp_gt_u32_e64 s[14:15], s30, v11
	v_mov_b32_e32 v10, v1
	s_and_saveexec_b64 s[16:17], s[14:15]
	s_cbranch_execz .LBB1743_18
; %bb.17:
	v_lshlrev_b32_e32 v10, 2, v11
	global_load_dword v10, v10, s[28:29]
	s_waitcnt vmcnt(0)
	v_cvt_f32_i32_e32 v10, v10
.LBB1743_18:
	s_or_b64 exec, exec, s[16:17]
	v_or_b32_e32 v12, 0x480, v0
	v_cmp_gt_u32_e64 s[16:17], s30, v12
	v_mov_b32_e32 v11, v1
	s_and_saveexec_b64 s[18:19], s[16:17]
	s_cbranch_execz .LBB1743_20
; %bb.19:
	v_lshlrev_b32_e32 v11, 2, v12
	global_load_dword v11, v11, s[28:29]
	s_waitcnt vmcnt(0)
	v_cvt_f32_i32_e32 v11, v11
.LBB1743_20:
	;; [unrolled: 12-line block ×5, first 2 shown]
	s_or_b64 exec, exec, s[24:25]
	s_load_dword s33, s[4:5], 0x10
	v_or_b32_e32 v15, 0x680, v0
	v_cmp_gt_u32_e64 s[24:25], s30, v15
	s_and_saveexec_b64 s[30:31], s[24:25]
	s_cbranch_execz .LBB1743_28
; %bb.27:
	v_lshlrev_b32_e32 v1, 2, v15
	global_load_dword v1, v1, s[28:29]
	s_waitcnt vmcnt(0)
	v_cvt_f32_i32_e32 v1, v1
.LBB1743_28:
	s_or_b64 exec, exec, s[30:31]
	ds_write2st64_b32 v18, v2, v3 offset1:2
	ds_write2st64_b32 v18, v4, v5 offset0:4 offset1:6
	ds_write2st64_b32 v18, v6, v7 offset0:8 offset1:10
	;; [unrolled: 1-line block ×6, first 2 shown]
	v_mad_u32_u24 v1, v0, 52, v18
	s_waitcnt lgkmcnt(0)
	s_barrier
	ds_read2_b64 v[10:13], v1 offset1:1
	ds_read2_b64 v[6:9], v1 offset0:2 offset1:3
	ds_read2_b64 v[2:5], v1 offset0:4 offset1:5
	ds_read_b64 v[14:15], v1 offset:48
	s_load_dwordx2 s[34:35], s[4:5], 0x18
	s_waitcnt lgkmcnt(0)
	v_add_f32_e32 v16, v10, v11
	v_add_f32_e32 v16, v16, v12
	;; [unrolled: 1-line block ×13, first 2 shown]
	v_lshrrev_b32_e32 v16, 3, v0
	v_and_b32_e32 v16, 12, v16
	v_add_u32_e32 v16, v18, v16
	v_cmp_gt_u32_e64 s[4:5], 64, v0
	s_barrier
	ds_write_b32 v16, v15
	s_waitcnt lgkmcnt(0)
	s_barrier
	s_and_saveexec_b64 s[36:37], s[4:5]
	s_cbranch_execz .LBB1743_30
; %bb.29:
	v_lshlrev_b32_e32 v16, 1, v0
	v_lshrrev_b32_e32 v17, 4, v0
	v_add_lshl_u32 v19, v17, v16, 2
	ds_read2_b32 v[16:17], v19 offset1:1
	v_mbcnt_lo_u32_b32 v20, -1, 0
	v_mbcnt_hi_u32_b32 v20, -1, v20
	v_and_b32_e32 v21, 15, v20
	v_cmp_eq_u32_e64 s[4:5], 0, v21
	s_waitcnt lgkmcnt(0)
	v_add_f32_e32 v17, v16, v17
	v_cmp_lt_u32_e64 s[28:29], 3, v21
	v_cmp_lt_u32_e64 s[30:31], 31, v20
	v_mov_b32_dpp v22, v17 row_shr:1 row_mask:0xf bank_mask:0xf
	v_add_f32_e32 v22, v17, v22
	v_cndmask_b32_e64 v17, v22, v17, s[4:5]
	v_cmp_lt_u32_e64 s[4:5], 1, v21
	s_nop 0
	v_mov_b32_dpp v22, v17 row_shr:2 row_mask:0xf bank_mask:0xf
	v_add_f32_e32 v22, v17, v22
	v_cndmask_b32_e64 v22, v17, v22, s[4:5]
	; wave barrier
	s_nop 1
	v_mov_b32_dpp v23, v22 row_shr:4 row_mask:0xf bank_mask:0xf
	v_add_f32_e32 v23, v22, v23
	v_cndmask_b32_e64 v22, v22, v23, s[28:29]
	v_cmp_lt_u32_e64 s[28:29], 7, v21
	s_nop 0
	v_mov_b32_dpp v23, v22 row_shr:8 row_mask:0xf bank_mask:0xf
	v_add_f32_e32 v23, v22, v23
	v_cndmask_b32_e64 v21, v22, v23, s[28:29]
	v_and_b32_e32 v23, 16, v20
	v_cmp_eq_u32_e64 s[28:29], 0, v23
	v_mov_b32_dpp v22, v21 row_bcast:15 row_mask:0xf bank_mask:0xf
	v_add_f32_e32 v22, v21, v22
	v_cndmask_b32_e64 v21, v22, v21, s[28:29]
	v_cmp_lt_u32_e64 s[28:29], 15, v20
	s_or_b64 s[4:5], s[28:29], s[4:5]
	v_mov_b32_dpp v22, v21 row_bcast:31 row_mask:0xf bank_mask:0xf
	v_add_f32_e32 v22, v21, v22
	v_cndmask_b32_e64 v21, v21, v22, s[30:31]
	v_cndmask_b32_e64 v17, v17, v21, s[4:5]
	v_add_u32_e32 v21, -1, v20
	v_and_b32_e32 v22, 64, v20
	v_cmp_lt_i32_e64 s[4:5], v21, v22
	v_cndmask_b32_e64 v20, v21, v20, s[4:5]
	v_lshlrev_b32_e32 v20, 2, v20
	ds_bpermute_b32 v17, v20, v17
	v_cmp_eq_u32_e64 s[4:5], 0, v0
	s_waitcnt lgkmcnt(0)
	v_add_f32_e32 v16, v16, v17
	v_cndmask_b32_e64 v15, v16, v15, s[4:5]
	ds_write_b32 v19, v15
	; wave barrier
	ds_read_b32 v16, v19 offset:4
	s_waitcnt lgkmcnt(0)
	v_add_f32_e32 v15, v15, v16
	ds_write_b32 v19, v15 offset:4
.LBB1743_30:
	s_or_b64 exec, exec, s[36:37]
	v_cmp_ne_u32_e64 s[4:5], 0, v0
	v_mov_b32_e32 v16, s33
	s_waitcnt lgkmcnt(0)
	s_barrier
	s_and_saveexec_b64 s[28:29], s[4:5]
	s_cbranch_execz .LBB1743_32
; %bb.31:
	v_add_u32_e32 v15, -1, v0
	v_lshrrev_b32_e32 v16, 5, v15
	v_add_lshl_u32 v15, v16, v15, 2
	ds_read_b32 v15, v15
	s_waitcnt lgkmcnt(0)
	v_add_f32_e32 v16, s33, v15
.LBB1743_32:
	s_or_b64 exec, exec, s[28:29]
	v_add_f32_e32 v17, v10, v16
	v_add_f32_e32 v10, v11, v17
	;; [unrolled: 1-line block ×12, first 2 shown]
	s_movk_i32 s4, 0xffcc
	v_add_f32_e32 v5, v14, v4
	v_mad_i32_i24 v0, v0, s4, v1
	s_barrier
	ds_write2_b64 v1, v[16:17], v[10:11] offset1:1
	ds_write2_b64 v1, v[12:13], v[6:7] offset0:2 offset1:3
	ds_write2_b64 v1, v[8:9], v[2:3] offset0:4 offset1:5
	ds_write_b64 v1, v[4:5] offset:48
	s_waitcnt lgkmcnt(0)
	s_barrier
	ds_read2st64_b32 v[12:13], v0 offset0:2 offset1:4
	ds_read2st64_b32 v[10:11], v0 offset0:6 offset1:8
	;; [unrolled: 1-line block ×4, first 2 shown]
	ds_read_b32 v14, v18 offset:4096
	ds_read2st64_b32 v[4:5], v0 offset0:20 offset1:22
	ds_read2st64_b32 v[0:1], v0 offset0:24 offset1:26
	v_mov_b32_e32 v3, s35
	v_add_co_u32_e64 v2, s[4:5], s34, v18
	v_addc_co_u32_e64 v3, s[4:5], 0, v3, s[4:5]
	s_and_saveexec_b64 s[4:5], vcc
	s_cbranch_execnz .LBB1743_47
; %bb.33:
	s_or_b64 exec, exec, s[4:5]
	s_and_saveexec_b64 s[4:5], s[0:1]
	s_cbranch_execnz .LBB1743_48
.LBB1743_34:
	s_or_b64 exec, exec, s[4:5]
	s_and_saveexec_b64 s[0:1], s[2:3]
	s_cbranch_execnz .LBB1743_49
.LBB1743_35:
	s_or_b64 exec, exec, s[0:1]
	s_and_saveexec_b64 s[0:1], s[26:27]
	s_cbranch_execnz .LBB1743_50
.LBB1743_36:
	s_or_b64 exec, exec, s[0:1]
	s_and_saveexec_b64 s[0:1], s[6:7]
	s_cbranch_execnz .LBB1743_51
.LBB1743_37:
	s_or_b64 exec, exec, s[0:1]
	s_and_saveexec_b64 s[0:1], s[8:9]
	s_cbranch_execnz .LBB1743_52
.LBB1743_38:
	s_or_b64 exec, exec, s[0:1]
	s_and_saveexec_b64 s[0:1], s[10:11]
	s_cbranch_execnz .LBB1743_53
.LBB1743_39:
	s_or_b64 exec, exec, s[0:1]
	s_and_saveexec_b64 s[0:1], s[12:13]
	s_cbranch_execnz .LBB1743_54
.LBB1743_40:
	s_or_b64 exec, exec, s[0:1]
	s_and_saveexec_b64 s[0:1], s[14:15]
	s_cbranch_execnz .LBB1743_55
.LBB1743_41:
	s_or_b64 exec, exec, s[0:1]
	s_and_saveexec_b64 s[0:1], s[16:17]
	s_cbranch_execnz .LBB1743_56
.LBB1743_42:
	s_or_b64 exec, exec, s[0:1]
	s_and_saveexec_b64 s[0:1], s[18:19]
	s_cbranch_execnz .LBB1743_57
.LBB1743_43:
	s_or_b64 exec, exec, s[0:1]
	s_and_saveexec_b64 s[0:1], s[20:21]
	s_cbranch_execnz .LBB1743_58
.LBB1743_44:
	s_or_b64 exec, exec, s[0:1]
	s_and_saveexec_b64 s[0:1], s[22:23]
	s_cbranch_execnz .LBB1743_59
.LBB1743_45:
	s_or_b64 exec, exec, s[0:1]
	s_and_saveexec_b64 s[0:1], s[24:25]
	s_cbranch_execnz .LBB1743_60
.LBB1743_46:
	s_endpgm
.LBB1743_47:
	ds_read_b32 v15, v18
	s_waitcnt lgkmcnt(0)
	global_store_dword v[2:3], v15, off
	s_or_b64 exec, exec, s[4:5]
	s_and_saveexec_b64 s[4:5], s[0:1]
	s_cbranch_execz .LBB1743_34
.LBB1743_48:
	s_waitcnt lgkmcnt(6)
	global_store_dword v[2:3], v12, off offset:512
	s_or_b64 exec, exec, s[4:5]
	s_and_saveexec_b64 s[0:1], s[2:3]
	s_cbranch_execz .LBB1743_35
.LBB1743_49:
	s_waitcnt lgkmcnt(6)
	global_store_dword v[2:3], v13, off offset:1024
	s_or_b64 exec, exec, s[0:1]
	s_and_saveexec_b64 s[0:1], s[26:27]
	s_cbranch_execz .LBB1743_36
.LBB1743_50:
	s_waitcnt lgkmcnt(5)
	global_store_dword v[2:3], v10, off offset:1536
	s_or_b64 exec, exec, s[0:1]
	s_and_saveexec_b64 s[0:1], s[6:7]
	s_cbranch_execz .LBB1743_37
.LBB1743_51:
	s_waitcnt lgkmcnt(5)
	global_store_dword v[2:3], v11, off offset:2048
	s_or_b64 exec, exec, s[0:1]
	s_and_saveexec_b64 s[0:1], s[8:9]
	s_cbranch_execz .LBB1743_38
.LBB1743_52:
	s_waitcnt lgkmcnt(4)
	global_store_dword v[2:3], v8, off offset:2560
	s_or_b64 exec, exec, s[0:1]
	s_and_saveexec_b64 s[0:1], s[10:11]
	s_cbranch_execz .LBB1743_39
.LBB1743_53:
	s_waitcnt lgkmcnt(4)
	global_store_dword v[2:3], v9, off offset:3072
	s_or_b64 exec, exec, s[0:1]
	s_and_saveexec_b64 s[0:1], s[12:13]
	s_cbranch_execz .LBB1743_40
.LBB1743_54:
	s_waitcnt lgkmcnt(3)
	global_store_dword v[2:3], v6, off offset:3584
	s_or_b64 exec, exec, s[0:1]
	s_and_saveexec_b64 s[0:1], s[14:15]
	s_cbranch_execz .LBB1743_41
.LBB1743_55:
	s_waitcnt lgkmcnt(4)
	v_add_co_u32_e32 v8, vcc, 0x1000, v2
	v_addc_co_u32_e32 v9, vcc, 0, v3, vcc
	s_waitcnt lgkmcnt(2)
	global_store_dword v[8:9], v14, off
	s_or_b64 exec, exec, s[0:1]
	s_and_saveexec_b64 s[0:1], s[16:17]
	s_cbranch_execz .LBB1743_42
.LBB1743_56:
	s_waitcnt lgkmcnt(4)
	v_add_co_u32_e32 v8, vcc, 0x1000, v2
	v_addc_co_u32_e32 v9, vcc, 0, v3, vcc
	s_waitcnt lgkmcnt(3)
	global_store_dword v[8:9], v7, off offset:512
	s_or_b64 exec, exec, s[0:1]
	s_and_saveexec_b64 s[0:1], s[18:19]
	s_cbranch_execz .LBB1743_43
.LBB1743_57:
	s_waitcnt lgkmcnt(3)
	v_add_co_u32_e32 v6, vcc, 0x1000, v2
	v_addc_co_u32_e32 v7, vcc, 0, v3, vcc
	s_waitcnt lgkmcnt(1)
	global_store_dword v[6:7], v4, off offset:1024
	s_or_b64 exec, exec, s[0:1]
	s_and_saveexec_b64 s[0:1], s[20:21]
	s_cbranch_execz .LBB1743_44
.LBB1743_58:
	s_waitcnt lgkmcnt(3)
	v_add_co_u32_e32 v6, vcc, 0x1000, v2
	v_addc_co_u32_e32 v7, vcc, 0, v3, vcc
	s_waitcnt lgkmcnt(1)
	global_store_dword v[6:7], v5, off offset:1536
	s_or_b64 exec, exec, s[0:1]
	s_and_saveexec_b64 s[0:1], s[22:23]
	s_cbranch_execz .LBB1743_45
.LBB1743_59:
	s_waitcnt lgkmcnt(1)
	v_add_co_u32_e32 v4, vcc, 0x1000, v2
	v_addc_co_u32_e32 v5, vcc, 0, v3, vcc
	s_waitcnt lgkmcnt(0)
	global_store_dword v[4:5], v0, off offset:2048
	s_or_b64 exec, exec, s[0:1]
	s_and_saveexec_b64 s[0:1], s[24:25]
	s_cbranch_execz .LBB1743_46
.LBB1743_60:
	v_add_co_u32_e32 v2, vcc, 0x1000, v2
	v_addc_co_u32_e32 v3, vcc, 0, v3, vcc
	s_waitcnt lgkmcnt(0)
	global_store_dword v[2:3], v1, off offset:2560
	s_endpgm
	.section	.rodata,"a",@progbits
	.p2align	6, 0x0
	.amdhsa_kernel _ZN7rocprim17ROCPRIM_400000_NS6detail17trampoline_kernelINS0_14default_configENS1_20scan_config_selectorIfEEZZNS1_9scan_implILNS1_25lookback_scan_determinismE0ELb1ELb1ES3_N6thrust23THRUST_200600_302600_NS6detail15normal_iteratorINS9_10device_ptrIiEEEENSB_INSC_IfEEEEfNS9_4plusIvEEfEEDaPvRmT3_T4_T5_mT6_P12ihipStream_tbENKUlT_T0_E_clISt17integral_constantIbLb1EESW_EEDaSR_SS_EUlSR_E0_NS1_11comp_targetILNS1_3genE4ELNS1_11target_archE910ELNS1_3gpuE8ELNS1_3repE0EEENS1_30default_config_static_selectorELNS0_4arch9wavefront6targetE1EEEvT1_
		.amdhsa_group_segment_fixed_size 7168
		.amdhsa_private_segment_fixed_size 0
		.amdhsa_kernarg_size 32
		.amdhsa_user_sgpr_count 6
		.amdhsa_user_sgpr_private_segment_buffer 1
		.amdhsa_user_sgpr_dispatch_ptr 0
		.amdhsa_user_sgpr_queue_ptr 0
		.amdhsa_user_sgpr_kernarg_segment_ptr 1
		.amdhsa_user_sgpr_dispatch_id 0
		.amdhsa_user_sgpr_flat_scratch_init 0
		.amdhsa_user_sgpr_kernarg_preload_length 0
		.amdhsa_user_sgpr_kernarg_preload_offset 0
		.amdhsa_user_sgpr_private_segment_size 0
		.amdhsa_uses_dynamic_stack 0
		.amdhsa_system_sgpr_private_segment_wavefront_offset 0
		.amdhsa_system_sgpr_workgroup_id_x 1
		.amdhsa_system_sgpr_workgroup_id_y 0
		.amdhsa_system_sgpr_workgroup_id_z 0
		.amdhsa_system_sgpr_workgroup_info 0
		.amdhsa_system_vgpr_workitem_id 0
		.amdhsa_next_free_vgpr 24
		.amdhsa_next_free_sgpr 38
		.amdhsa_accum_offset 24
		.amdhsa_reserve_vcc 1
		.amdhsa_reserve_flat_scratch 0
		.amdhsa_float_round_mode_32 0
		.amdhsa_float_round_mode_16_64 0
		.amdhsa_float_denorm_mode_32 3
		.amdhsa_float_denorm_mode_16_64 3
		.amdhsa_dx10_clamp 1
		.amdhsa_ieee_mode 1
		.amdhsa_fp16_overflow 0
		.amdhsa_tg_split 0
		.amdhsa_exception_fp_ieee_invalid_op 0
		.amdhsa_exception_fp_denorm_src 0
		.amdhsa_exception_fp_ieee_div_zero 0
		.amdhsa_exception_fp_ieee_overflow 0
		.amdhsa_exception_fp_ieee_underflow 0
		.amdhsa_exception_fp_ieee_inexact 0
		.amdhsa_exception_int_div_zero 0
	.end_amdhsa_kernel
	.section	.text._ZN7rocprim17ROCPRIM_400000_NS6detail17trampoline_kernelINS0_14default_configENS1_20scan_config_selectorIfEEZZNS1_9scan_implILNS1_25lookback_scan_determinismE0ELb1ELb1ES3_N6thrust23THRUST_200600_302600_NS6detail15normal_iteratorINS9_10device_ptrIiEEEENSB_INSC_IfEEEEfNS9_4plusIvEEfEEDaPvRmT3_T4_T5_mT6_P12ihipStream_tbENKUlT_T0_E_clISt17integral_constantIbLb1EESW_EEDaSR_SS_EUlSR_E0_NS1_11comp_targetILNS1_3genE4ELNS1_11target_archE910ELNS1_3gpuE8ELNS1_3repE0EEENS1_30default_config_static_selectorELNS0_4arch9wavefront6targetE1EEEvT1_,"axG",@progbits,_ZN7rocprim17ROCPRIM_400000_NS6detail17trampoline_kernelINS0_14default_configENS1_20scan_config_selectorIfEEZZNS1_9scan_implILNS1_25lookback_scan_determinismE0ELb1ELb1ES3_N6thrust23THRUST_200600_302600_NS6detail15normal_iteratorINS9_10device_ptrIiEEEENSB_INSC_IfEEEEfNS9_4plusIvEEfEEDaPvRmT3_T4_T5_mT6_P12ihipStream_tbENKUlT_T0_E_clISt17integral_constantIbLb1EESW_EEDaSR_SS_EUlSR_E0_NS1_11comp_targetILNS1_3genE4ELNS1_11target_archE910ELNS1_3gpuE8ELNS1_3repE0EEENS1_30default_config_static_selectorELNS0_4arch9wavefront6targetE1EEEvT1_,comdat
.Lfunc_end1743:
	.size	_ZN7rocprim17ROCPRIM_400000_NS6detail17trampoline_kernelINS0_14default_configENS1_20scan_config_selectorIfEEZZNS1_9scan_implILNS1_25lookback_scan_determinismE0ELb1ELb1ES3_N6thrust23THRUST_200600_302600_NS6detail15normal_iteratorINS9_10device_ptrIiEEEENSB_INSC_IfEEEEfNS9_4plusIvEEfEEDaPvRmT3_T4_T5_mT6_P12ihipStream_tbENKUlT_T0_E_clISt17integral_constantIbLb1EESW_EEDaSR_SS_EUlSR_E0_NS1_11comp_targetILNS1_3genE4ELNS1_11target_archE910ELNS1_3gpuE8ELNS1_3repE0EEENS1_30default_config_static_selectorELNS0_4arch9wavefront6targetE1EEEvT1_, .Lfunc_end1743-_ZN7rocprim17ROCPRIM_400000_NS6detail17trampoline_kernelINS0_14default_configENS1_20scan_config_selectorIfEEZZNS1_9scan_implILNS1_25lookback_scan_determinismE0ELb1ELb1ES3_N6thrust23THRUST_200600_302600_NS6detail15normal_iteratorINS9_10device_ptrIiEEEENSB_INSC_IfEEEEfNS9_4plusIvEEfEEDaPvRmT3_T4_T5_mT6_P12ihipStream_tbENKUlT_T0_E_clISt17integral_constantIbLb1EESW_EEDaSR_SS_EUlSR_E0_NS1_11comp_targetILNS1_3genE4ELNS1_11target_archE910ELNS1_3gpuE8ELNS1_3repE0EEENS1_30default_config_static_selectorELNS0_4arch9wavefront6targetE1EEEvT1_
                                        ; -- End function
	.section	.AMDGPU.csdata,"",@progbits
; Kernel info:
; codeLenInByte = 2132
; NumSgprs: 42
; NumVgprs: 24
; NumAgprs: 0
; TotalNumVgprs: 24
; ScratchSize: 0
; MemoryBound: 0
; FloatMode: 240
; IeeeMode: 1
; LDSByteSize: 7168 bytes/workgroup (compile time only)
; SGPRBlocks: 5
; VGPRBlocks: 2
; NumSGPRsForWavesPerEU: 42
; NumVGPRsForWavesPerEU: 24
; AccumOffset: 24
; Occupancy: 5
; WaveLimiterHint : 0
; COMPUTE_PGM_RSRC2:SCRATCH_EN: 0
; COMPUTE_PGM_RSRC2:USER_SGPR: 6
; COMPUTE_PGM_RSRC2:TRAP_HANDLER: 0
; COMPUTE_PGM_RSRC2:TGID_X_EN: 1
; COMPUTE_PGM_RSRC2:TGID_Y_EN: 0
; COMPUTE_PGM_RSRC2:TGID_Z_EN: 0
; COMPUTE_PGM_RSRC2:TIDIG_COMP_CNT: 0
; COMPUTE_PGM_RSRC3_GFX90A:ACCUM_OFFSET: 5
; COMPUTE_PGM_RSRC3_GFX90A:TG_SPLIT: 0
	.section	.text._ZN7rocprim17ROCPRIM_400000_NS6detail17trampoline_kernelINS0_14default_configENS1_20scan_config_selectorIfEEZZNS1_9scan_implILNS1_25lookback_scan_determinismE0ELb1ELb1ES3_N6thrust23THRUST_200600_302600_NS6detail15normal_iteratorINS9_10device_ptrIiEEEENSB_INSC_IfEEEEfNS9_4plusIvEEfEEDaPvRmT3_T4_T5_mT6_P12ihipStream_tbENKUlT_T0_E_clISt17integral_constantIbLb1EESW_EEDaSR_SS_EUlSR_E0_NS1_11comp_targetILNS1_3genE3ELNS1_11target_archE908ELNS1_3gpuE7ELNS1_3repE0EEENS1_30default_config_static_selectorELNS0_4arch9wavefront6targetE1EEEvT1_,"axG",@progbits,_ZN7rocprim17ROCPRIM_400000_NS6detail17trampoline_kernelINS0_14default_configENS1_20scan_config_selectorIfEEZZNS1_9scan_implILNS1_25lookback_scan_determinismE0ELb1ELb1ES3_N6thrust23THRUST_200600_302600_NS6detail15normal_iteratorINS9_10device_ptrIiEEEENSB_INSC_IfEEEEfNS9_4plusIvEEfEEDaPvRmT3_T4_T5_mT6_P12ihipStream_tbENKUlT_T0_E_clISt17integral_constantIbLb1EESW_EEDaSR_SS_EUlSR_E0_NS1_11comp_targetILNS1_3genE3ELNS1_11target_archE908ELNS1_3gpuE7ELNS1_3repE0EEENS1_30default_config_static_selectorELNS0_4arch9wavefront6targetE1EEEvT1_,comdat
	.protected	_ZN7rocprim17ROCPRIM_400000_NS6detail17trampoline_kernelINS0_14default_configENS1_20scan_config_selectorIfEEZZNS1_9scan_implILNS1_25lookback_scan_determinismE0ELb1ELb1ES3_N6thrust23THRUST_200600_302600_NS6detail15normal_iteratorINS9_10device_ptrIiEEEENSB_INSC_IfEEEEfNS9_4plusIvEEfEEDaPvRmT3_T4_T5_mT6_P12ihipStream_tbENKUlT_T0_E_clISt17integral_constantIbLb1EESW_EEDaSR_SS_EUlSR_E0_NS1_11comp_targetILNS1_3genE3ELNS1_11target_archE908ELNS1_3gpuE7ELNS1_3repE0EEENS1_30default_config_static_selectorELNS0_4arch9wavefront6targetE1EEEvT1_ ; -- Begin function _ZN7rocprim17ROCPRIM_400000_NS6detail17trampoline_kernelINS0_14default_configENS1_20scan_config_selectorIfEEZZNS1_9scan_implILNS1_25lookback_scan_determinismE0ELb1ELb1ES3_N6thrust23THRUST_200600_302600_NS6detail15normal_iteratorINS9_10device_ptrIiEEEENSB_INSC_IfEEEEfNS9_4plusIvEEfEEDaPvRmT3_T4_T5_mT6_P12ihipStream_tbENKUlT_T0_E_clISt17integral_constantIbLb1EESW_EEDaSR_SS_EUlSR_E0_NS1_11comp_targetILNS1_3genE3ELNS1_11target_archE908ELNS1_3gpuE7ELNS1_3repE0EEENS1_30default_config_static_selectorELNS0_4arch9wavefront6targetE1EEEvT1_
	.globl	_ZN7rocprim17ROCPRIM_400000_NS6detail17trampoline_kernelINS0_14default_configENS1_20scan_config_selectorIfEEZZNS1_9scan_implILNS1_25lookback_scan_determinismE0ELb1ELb1ES3_N6thrust23THRUST_200600_302600_NS6detail15normal_iteratorINS9_10device_ptrIiEEEENSB_INSC_IfEEEEfNS9_4plusIvEEfEEDaPvRmT3_T4_T5_mT6_P12ihipStream_tbENKUlT_T0_E_clISt17integral_constantIbLb1EESW_EEDaSR_SS_EUlSR_E0_NS1_11comp_targetILNS1_3genE3ELNS1_11target_archE908ELNS1_3gpuE7ELNS1_3repE0EEENS1_30default_config_static_selectorELNS0_4arch9wavefront6targetE1EEEvT1_
	.p2align	8
	.type	_ZN7rocprim17ROCPRIM_400000_NS6detail17trampoline_kernelINS0_14default_configENS1_20scan_config_selectorIfEEZZNS1_9scan_implILNS1_25lookback_scan_determinismE0ELb1ELb1ES3_N6thrust23THRUST_200600_302600_NS6detail15normal_iteratorINS9_10device_ptrIiEEEENSB_INSC_IfEEEEfNS9_4plusIvEEfEEDaPvRmT3_T4_T5_mT6_P12ihipStream_tbENKUlT_T0_E_clISt17integral_constantIbLb1EESW_EEDaSR_SS_EUlSR_E0_NS1_11comp_targetILNS1_3genE3ELNS1_11target_archE908ELNS1_3gpuE7ELNS1_3repE0EEENS1_30default_config_static_selectorELNS0_4arch9wavefront6targetE1EEEvT1_,@function
_ZN7rocprim17ROCPRIM_400000_NS6detail17trampoline_kernelINS0_14default_configENS1_20scan_config_selectorIfEEZZNS1_9scan_implILNS1_25lookback_scan_determinismE0ELb1ELb1ES3_N6thrust23THRUST_200600_302600_NS6detail15normal_iteratorINS9_10device_ptrIiEEEENSB_INSC_IfEEEEfNS9_4plusIvEEfEEDaPvRmT3_T4_T5_mT6_P12ihipStream_tbENKUlT_T0_E_clISt17integral_constantIbLb1EESW_EEDaSR_SS_EUlSR_E0_NS1_11comp_targetILNS1_3genE3ELNS1_11target_archE908ELNS1_3gpuE7ELNS1_3repE0EEENS1_30default_config_static_selectorELNS0_4arch9wavefront6targetE1EEEvT1_: ; @_ZN7rocprim17ROCPRIM_400000_NS6detail17trampoline_kernelINS0_14default_configENS1_20scan_config_selectorIfEEZZNS1_9scan_implILNS1_25lookback_scan_determinismE0ELb1ELb1ES3_N6thrust23THRUST_200600_302600_NS6detail15normal_iteratorINS9_10device_ptrIiEEEENSB_INSC_IfEEEEfNS9_4plusIvEEfEEDaPvRmT3_T4_T5_mT6_P12ihipStream_tbENKUlT_T0_E_clISt17integral_constantIbLb1EESW_EEDaSR_SS_EUlSR_E0_NS1_11comp_targetILNS1_3genE3ELNS1_11target_archE908ELNS1_3gpuE7ELNS1_3repE0EEENS1_30default_config_static_selectorELNS0_4arch9wavefront6targetE1EEEvT1_
; %bb.0:
	.section	.rodata,"a",@progbits
	.p2align	6, 0x0
	.amdhsa_kernel _ZN7rocprim17ROCPRIM_400000_NS6detail17trampoline_kernelINS0_14default_configENS1_20scan_config_selectorIfEEZZNS1_9scan_implILNS1_25lookback_scan_determinismE0ELb1ELb1ES3_N6thrust23THRUST_200600_302600_NS6detail15normal_iteratorINS9_10device_ptrIiEEEENSB_INSC_IfEEEEfNS9_4plusIvEEfEEDaPvRmT3_T4_T5_mT6_P12ihipStream_tbENKUlT_T0_E_clISt17integral_constantIbLb1EESW_EEDaSR_SS_EUlSR_E0_NS1_11comp_targetILNS1_3genE3ELNS1_11target_archE908ELNS1_3gpuE7ELNS1_3repE0EEENS1_30default_config_static_selectorELNS0_4arch9wavefront6targetE1EEEvT1_
		.amdhsa_group_segment_fixed_size 0
		.amdhsa_private_segment_fixed_size 0
		.amdhsa_kernarg_size 32
		.amdhsa_user_sgpr_count 6
		.amdhsa_user_sgpr_private_segment_buffer 1
		.amdhsa_user_sgpr_dispatch_ptr 0
		.amdhsa_user_sgpr_queue_ptr 0
		.amdhsa_user_sgpr_kernarg_segment_ptr 1
		.amdhsa_user_sgpr_dispatch_id 0
		.amdhsa_user_sgpr_flat_scratch_init 0
		.amdhsa_user_sgpr_kernarg_preload_length 0
		.amdhsa_user_sgpr_kernarg_preload_offset 0
		.amdhsa_user_sgpr_private_segment_size 0
		.amdhsa_uses_dynamic_stack 0
		.amdhsa_system_sgpr_private_segment_wavefront_offset 0
		.amdhsa_system_sgpr_workgroup_id_x 1
		.amdhsa_system_sgpr_workgroup_id_y 0
		.amdhsa_system_sgpr_workgroup_id_z 0
		.amdhsa_system_sgpr_workgroup_info 0
		.amdhsa_system_vgpr_workitem_id 0
		.amdhsa_next_free_vgpr 1
		.amdhsa_next_free_sgpr 0
		.amdhsa_accum_offset 4
		.amdhsa_reserve_vcc 0
		.amdhsa_reserve_flat_scratch 0
		.amdhsa_float_round_mode_32 0
		.amdhsa_float_round_mode_16_64 0
		.amdhsa_float_denorm_mode_32 3
		.amdhsa_float_denorm_mode_16_64 3
		.amdhsa_dx10_clamp 1
		.amdhsa_ieee_mode 1
		.amdhsa_fp16_overflow 0
		.amdhsa_tg_split 0
		.amdhsa_exception_fp_ieee_invalid_op 0
		.amdhsa_exception_fp_denorm_src 0
		.amdhsa_exception_fp_ieee_div_zero 0
		.amdhsa_exception_fp_ieee_overflow 0
		.amdhsa_exception_fp_ieee_underflow 0
		.amdhsa_exception_fp_ieee_inexact 0
		.amdhsa_exception_int_div_zero 0
	.end_amdhsa_kernel
	.section	.text._ZN7rocprim17ROCPRIM_400000_NS6detail17trampoline_kernelINS0_14default_configENS1_20scan_config_selectorIfEEZZNS1_9scan_implILNS1_25lookback_scan_determinismE0ELb1ELb1ES3_N6thrust23THRUST_200600_302600_NS6detail15normal_iteratorINS9_10device_ptrIiEEEENSB_INSC_IfEEEEfNS9_4plusIvEEfEEDaPvRmT3_T4_T5_mT6_P12ihipStream_tbENKUlT_T0_E_clISt17integral_constantIbLb1EESW_EEDaSR_SS_EUlSR_E0_NS1_11comp_targetILNS1_3genE3ELNS1_11target_archE908ELNS1_3gpuE7ELNS1_3repE0EEENS1_30default_config_static_selectorELNS0_4arch9wavefront6targetE1EEEvT1_,"axG",@progbits,_ZN7rocprim17ROCPRIM_400000_NS6detail17trampoline_kernelINS0_14default_configENS1_20scan_config_selectorIfEEZZNS1_9scan_implILNS1_25lookback_scan_determinismE0ELb1ELb1ES3_N6thrust23THRUST_200600_302600_NS6detail15normal_iteratorINS9_10device_ptrIiEEEENSB_INSC_IfEEEEfNS9_4plusIvEEfEEDaPvRmT3_T4_T5_mT6_P12ihipStream_tbENKUlT_T0_E_clISt17integral_constantIbLb1EESW_EEDaSR_SS_EUlSR_E0_NS1_11comp_targetILNS1_3genE3ELNS1_11target_archE908ELNS1_3gpuE7ELNS1_3repE0EEENS1_30default_config_static_selectorELNS0_4arch9wavefront6targetE1EEEvT1_,comdat
.Lfunc_end1744:
	.size	_ZN7rocprim17ROCPRIM_400000_NS6detail17trampoline_kernelINS0_14default_configENS1_20scan_config_selectorIfEEZZNS1_9scan_implILNS1_25lookback_scan_determinismE0ELb1ELb1ES3_N6thrust23THRUST_200600_302600_NS6detail15normal_iteratorINS9_10device_ptrIiEEEENSB_INSC_IfEEEEfNS9_4plusIvEEfEEDaPvRmT3_T4_T5_mT6_P12ihipStream_tbENKUlT_T0_E_clISt17integral_constantIbLb1EESW_EEDaSR_SS_EUlSR_E0_NS1_11comp_targetILNS1_3genE3ELNS1_11target_archE908ELNS1_3gpuE7ELNS1_3repE0EEENS1_30default_config_static_selectorELNS0_4arch9wavefront6targetE1EEEvT1_, .Lfunc_end1744-_ZN7rocprim17ROCPRIM_400000_NS6detail17trampoline_kernelINS0_14default_configENS1_20scan_config_selectorIfEEZZNS1_9scan_implILNS1_25lookback_scan_determinismE0ELb1ELb1ES3_N6thrust23THRUST_200600_302600_NS6detail15normal_iteratorINS9_10device_ptrIiEEEENSB_INSC_IfEEEEfNS9_4plusIvEEfEEDaPvRmT3_T4_T5_mT6_P12ihipStream_tbENKUlT_T0_E_clISt17integral_constantIbLb1EESW_EEDaSR_SS_EUlSR_E0_NS1_11comp_targetILNS1_3genE3ELNS1_11target_archE908ELNS1_3gpuE7ELNS1_3repE0EEENS1_30default_config_static_selectorELNS0_4arch9wavefront6targetE1EEEvT1_
                                        ; -- End function
	.section	.AMDGPU.csdata,"",@progbits
; Kernel info:
; codeLenInByte = 0
; NumSgprs: 4
; NumVgprs: 0
; NumAgprs: 0
; TotalNumVgprs: 0
; ScratchSize: 0
; MemoryBound: 0
; FloatMode: 240
; IeeeMode: 1
; LDSByteSize: 0 bytes/workgroup (compile time only)
; SGPRBlocks: 0
; VGPRBlocks: 0
; NumSGPRsForWavesPerEU: 4
; NumVGPRsForWavesPerEU: 1
; AccumOffset: 4
; Occupancy: 8
; WaveLimiterHint : 0
; COMPUTE_PGM_RSRC2:SCRATCH_EN: 0
; COMPUTE_PGM_RSRC2:USER_SGPR: 6
; COMPUTE_PGM_RSRC2:TRAP_HANDLER: 0
; COMPUTE_PGM_RSRC2:TGID_X_EN: 1
; COMPUTE_PGM_RSRC2:TGID_Y_EN: 0
; COMPUTE_PGM_RSRC2:TGID_Z_EN: 0
; COMPUTE_PGM_RSRC2:TIDIG_COMP_CNT: 0
; COMPUTE_PGM_RSRC3_GFX90A:ACCUM_OFFSET: 0
; COMPUTE_PGM_RSRC3_GFX90A:TG_SPLIT: 0
	.section	.text._ZN7rocprim17ROCPRIM_400000_NS6detail17trampoline_kernelINS0_14default_configENS1_20scan_config_selectorIfEEZZNS1_9scan_implILNS1_25lookback_scan_determinismE0ELb1ELb1ES3_N6thrust23THRUST_200600_302600_NS6detail15normal_iteratorINS9_10device_ptrIiEEEENSB_INSC_IfEEEEfNS9_4plusIvEEfEEDaPvRmT3_T4_T5_mT6_P12ihipStream_tbENKUlT_T0_E_clISt17integral_constantIbLb1EESW_EEDaSR_SS_EUlSR_E0_NS1_11comp_targetILNS1_3genE2ELNS1_11target_archE906ELNS1_3gpuE6ELNS1_3repE0EEENS1_30default_config_static_selectorELNS0_4arch9wavefront6targetE1EEEvT1_,"axG",@progbits,_ZN7rocprim17ROCPRIM_400000_NS6detail17trampoline_kernelINS0_14default_configENS1_20scan_config_selectorIfEEZZNS1_9scan_implILNS1_25lookback_scan_determinismE0ELb1ELb1ES3_N6thrust23THRUST_200600_302600_NS6detail15normal_iteratorINS9_10device_ptrIiEEEENSB_INSC_IfEEEEfNS9_4plusIvEEfEEDaPvRmT3_T4_T5_mT6_P12ihipStream_tbENKUlT_T0_E_clISt17integral_constantIbLb1EESW_EEDaSR_SS_EUlSR_E0_NS1_11comp_targetILNS1_3genE2ELNS1_11target_archE906ELNS1_3gpuE6ELNS1_3repE0EEENS1_30default_config_static_selectorELNS0_4arch9wavefront6targetE1EEEvT1_,comdat
	.protected	_ZN7rocprim17ROCPRIM_400000_NS6detail17trampoline_kernelINS0_14default_configENS1_20scan_config_selectorIfEEZZNS1_9scan_implILNS1_25lookback_scan_determinismE0ELb1ELb1ES3_N6thrust23THRUST_200600_302600_NS6detail15normal_iteratorINS9_10device_ptrIiEEEENSB_INSC_IfEEEEfNS9_4plusIvEEfEEDaPvRmT3_T4_T5_mT6_P12ihipStream_tbENKUlT_T0_E_clISt17integral_constantIbLb1EESW_EEDaSR_SS_EUlSR_E0_NS1_11comp_targetILNS1_3genE2ELNS1_11target_archE906ELNS1_3gpuE6ELNS1_3repE0EEENS1_30default_config_static_selectorELNS0_4arch9wavefront6targetE1EEEvT1_ ; -- Begin function _ZN7rocprim17ROCPRIM_400000_NS6detail17trampoline_kernelINS0_14default_configENS1_20scan_config_selectorIfEEZZNS1_9scan_implILNS1_25lookback_scan_determinismE0ELb1ELb1ES3_N6thrust23THRUST_200600_302600_NS6detail15normal_iteratorINS9_10device_ptrIiEEEENSB_INSC_IfEEEEfNS9_4plusIvEEfEEDaPvRmT3_T4_T5_mT6_P12ihipStream_tbENKUlT_T0_E_clISt17integral_constantIbLb1EESW_EEDaSR_SS_EUlSR_E0_NS1_11comp_targetILNS1_3genE2ELNS1_11target_archE906ELNS1_3gpuE6ELNS1_3repE0EEENS1_30default_config_static_selectorELNS0_4arch9wavefront6targetE1EEEvT1_
	.globl	_ZN7rocprim17ROCPRIM_400000_NS6detail17trampoline_kernelINS0_14default_configENS1_20scan_config_selectorIfEEZZNS1_9scan_implILNS1_25lookback_scan_determinismE0ELb1ELb1ES3_N6thrust23THRUST_200600_302600_NS6detail15normal_iteratorINS9_10device_ptrIiEEEENSB_INSC_IfEEEEfNS9_4plusIvEEfEEDaPvRmT3_T4_T5_mT6_P12ihipStream_tbENKUlT_T0_E_clISt17integral_constantIbLb1EESW_EEDaSR_SS_EUlSR_E0_NS1_11comp_targetILNS1_3genE2ELNS1_11target_archE906ELNS1_3gpuE6ELNS1_3repE0EEENS1_30default_config_static_selectorELNS0_4arch9wavefront6targetE1EEEvT1_
	.p2align	8
	.type	_ZN7rocprim17ROCPRIM_400000_NS6detail17trampoline_kernelINS0_14default_configENS1_20scan_config_selectorIfEEZZNS1_9scan_implILNS1_25lookback_scan_determinismE0ELb1ELb1ES3_N6thrust23THRUST_200600_302600_NS6detail15normal_iteratorINS9_10device_ptrIiEEEENSB_INSC_IfEEEEfNS9_4plusIvEEfEEDaPvRmT3_T4_T5_mT6_P12ihipStream_tbENKUlT_T0_E_clISt17integral_constantIbLb1EESW_EEDaSR_SS_EUlSR_E0_NS1_11comp_targetILNS1_3genE2ELNS1_11target_archE906ELNS1_3gpuE6ELNS1_3repE0EEENS1_30default_config_static_selectorELNS0_4arch9wavefront6targetE1EEEvT1_,@function
_ZN7rocprim17ROCPRIM_400000_NS6detail17trampoline_kernelINS0_14default_configENS1_20scan_config_selectorIfEEZZNS1_9scan_implILNS1_25lookback_scan_determinismE0ELb1ELb1ES3_N6thrust23THRUST_200600_302600_NS6detail15normal_iteratorINS9_10device_ptrIiEEEENSB_INSC_IfEEEEfNS9_4plusIvEEfEEDaPvRmT3_T4_T5_mT6_P12ihipStream_tbENKUlT_T0_E_clISt17integral_constantIbLb1EESW_EEDaSR_SS_EUlSR_E0_NS1_11comp_targetILNS1_3genE2ELNS1_11target_archE906ELNS1_3gpuE6ELNS1_3repE0EEENS1_30default_config_static_selectorELNS0_4arch9wavefront6targetE1EEEvT1_: ; @_ZN7rocprim17ROCPRIM_400000_NS6detail17trampoline_kernelINS0_14default_configENS1_20scan_config_selectorIfEEZZNS1_9scan_implILNS1_25lookback_scan_determinismE0ELb1ELb1ES3_N6thrust23THRUST_200600_302600_NS6detail15normal_iteratorINS9_10device_ptrIiEEEENSB_INSC_IfEEEEfNS9_4plusIvEEfEEDaPvRmT3_T4_T5_mT6_P12ihipStream_tbENKUlT_T0_E_clISt17integral_constantIbLb1EESW_EEDaSR_SS_EUlSR_E0_NS1_11comp_targetILNS1_3genE2ELNS1_11target_archE906ELNS1_3gpuE6ELNS1_3repE0EEENS1_30default_config_static_selectorELNS0_4arch9wavefront6targetE1EEEvT1_
; %bb.0:
	.section	.rodata,"a",@progbits
	.p2align	6, 0x0
	.amdhsa_kernel _ZN7rocprim17ROCPRIM_400000_NS6detail17trampoline_kernelINS0_14default_configENS1_20scan_config_selectorIfEEZZNS1_9scan_implILNS1_25lookback_scan_determinismE0ELb1ELb1ES3_N6thrust23THRUST_200600_302600_NS6detail15normal_iteratorINS9_10device_ptrIiEEEENSB_INSC_IfEEEEfNS9_4plusIvEEfEEDaPvRmT3_T4_T5_mT6_P12ihipStream_tbENKUlT_T0_E_clISt17integral_constantIbLb1EESW_EEDaSR_SS_EUlSR_E0_NS1_11comp_targetILNS1_3genE2ELNS1_11target_archE906ELNS1_3gpuE6ELNS1_3repE0EEENS1_30default_config_static_selectorELNS0_4arch9wavefront6targetE1EEEvT1_
		.amdhsa_group_segment_fixed_size 0
		.amdhsa_private_segment_fixed_size 0
		.amdhsa_kernarg_size 32
		.amdhsa_user_sgpr_count 6
		.amdhsa_user_sgpr_private_segment_buffer 1
		.amdhsa_user_sgpr_dispatch_ptr 0
		.amdhsa_user_sgpr_queue_ptr 0
		.amdhsa_user_sgpr_kernarg_segment_ptr 1
		.amdhsa_user_sgpr_dispatch_id 0
		.amdhsa_user_sgpr_flat_scratch_init 0
		.amdhsa_user_sgpr_kernarg_preload_length 0
		.amdhsa_user_sgpr_kernarg_preload_offset 0
		.amdhsa_user_sgpr_private_segment_size 0
		.amdhsa_uses_dynamic_stack 0
		.amdhsa_system_sgpr_private_segment_wavefront_offset 0
		.amdhsa_system_sgpr_workgroup_id_x 1
		.amdhsa_system_sgpr_workgroup_id_y 0
		.amdhsa_system_sgpr_workgroup_id_z 0
		.amdhsa_system_sgpr_workgroup_info 0
		.amdhsa_system_vgpr_workitem_id 0
		.amdhsa_next_free_vgpr 1
		.amdhsa_next_free_sgpr 0
		.amdhsa_accum_offset 4
		.amdhsa_reserve_vcc 0
		.amdhsa_reserve_flat_scratch 0
		.amdhsa_float_round_mode_32 0
		.amdhsa_float_round_mode_16_64 0
		.amdhsa_float_denorm_mode_32 3
		.amdhsa_float_denorm_mode_16_64 3
		.amdhsa_dx10_clamp 1
		.amdhsa_ieee_mode 1
		.amdhsa_fp16_overflow 0
		.amdhsa_tg_split 0
		.amdhsa_exception_fp_ieee_invalid_op 0
		.amdhsa_exception_fp_denorm_src 0
		.amdhsa_exception_fp_ieee_div_zero 0
		.amdhsa_exception_fp_ieee_overflow 0
		.amdhsa_exception_fp_ieee_underflow 0
		.amdhsa_exception_fp_ieee_inexact 0
		.amdhsa_exception_int_div_zero 0
	.end_amdhsa_kernel
	.section	.text._ZN7rocprim17ROCPRIM_400000_NS6detail17trampoline_kernelINS0_14default_configENS1_20scan_config_selectorIfEEZZNS1_9scan_implILNS1_25lookback_scan_determinismE0ELb1ELb1ES3_N6thrust23THRUST_200600_302600_NS6detail15normal_iteratorINS9_10device_ptrIiEEEENSB_INSC_IfEEEEfNS9_4plusIvEEfEEDaPvRmT3_T4_T5_mT6_P12ihipStream_tbENKUlT_T0_E_clISt17integral_constantIbLb1EESW_EEDaSR_SS_EUlSR_E0_NS1_11comp_targetILNS1_3genE2ELNS1_11target_archE906ELNS1_3gpuE6ELNS1_3repE0EEENS1_30default_config_static_selectorELNS0_4arch9wavefront6targetE1EEEvT1_,"axG",@progbits,_ZN7rocprim17ROCPRIM_400000_NS6detail17trampoline_kernelINS0_14default_configENS1_20scan_config_selectorIfEEZZNS1_9scan_implILNS1_25lookback_scan_determinismE0ELb1ELb1ES3_N6thrust23THRUST_200600_302600_NS6detail15normal_iteratorINS9_10device_ptrIiEEEENSB_INSC_IfEEEEfNS9_4plusIvEEfEEDaPvRmT3_T4_T5_mT6_P12ihipStream_tbENKUlT_T0_E_clISt17integral_constantIbLb1EESW_EEDaSR_SS_EUlSR_E0_NS1_11comp_targetILNS1_3genE2ELNS1_11target_archE906ELNS1_3gpuE6ELNS1_3repE0EEENS1_30default_config_static_selectorELNS0_4arch9wavefront6targetE1EEEvT1_,comdat
.Lfunc_end1745:
	.size	_ZN7rocprim17ROCPRIM_400000_NS6detail17trampoline_kernelINS0_14default_configENS1_20scan_config_selectorIfEEZZNS1_9scan_implILNS1_25lookback_scan_determinismE0ELb1ELb1ES3_N6thrust23THRUST_200600_302600_NS6detail15normal_iteratorINS9_10device_ptrIiEEEENSB_INSC_IfEEEEfNS9_4plusIvEEfEEDaPvRmT3_T4_T5_mT6_P12ihipStream_tbENKUlT_T0_E_clISt17integral_constantIbLb1EESW_EEDaSR_SS_EUlSR_E0_NS1_11comp_targetILNS1_3genE2ELNS1_11target_archE906ELNS1_3gpuE6ELNS1_3repE0EEENS1_30default_config_static_selectorELNS0_4arch9wavefront6targetE1EEEvT1_, .Lfunc_end1745-_ZN7rocprim17ROCPRIM_400000_NS6detail17trampoline_kernelINS0_14default_configENS1_20scan_config_selectorIfEEZZNS1_9scan_implILNS1_25lookback_scan_determinismE0ELb1ELb1ES3_N6thrust23THRUST_200600_302600_NS6detail15normal_iteratorINS9_10device_ptrIiEEEENSB_INSC_IfEEEEfNS9_4plusIvEEfEEDaPvRmT3_T4_T5_mT6_P12ihipStream_tbENKUlT_T0_E_clISt17integral_constantIbLb1EESW_EEDaSR_SS_EUlSR_E0_NS1_11comp_targetILNS1_3genE2ELNS1_11target_archE906ELNS1_3gpuE6ELNS1_3repE0EEENS1_30default_config_static_selectorELNS0_4arch9wavefront6targetE1EEEvT1_
                                        ; -- End function
	.section	.AMDGPU.csdata,"",@progbits
; Kernel info:
; codeLenInByte = 0
; NumSgprs: 4
; NumVgprs: 0
; NumAgprs: 0
; TotalNumVgprs: 0
; ScratchSize: 0
; MemoryBound: 0
; FloatMode: 240
; IeeeMode: 1
; LDSByteSize: 0 bytes/workgroup (compile time only)
; SGPRBlocks: 0
; VGPRBlocks: 0
; NumSGPRsForWavesPerEU: 4
; NumVGPRsForWavesPerEU: 1
; AccumOffset: 4
; Occupancy: 8
; WaveLimiterHint : 0
; COMPUTE_PGM_RSRC2:SCRATCH_EN: 0
; COMPUTE_PGM_RSRC2:USER_SGPR: 6
; COMPUTE_PGM_RSRC2:TRAP_HANDLER: 0
; COMPUTE_PGM_RSRC2:TGID_X_EN: 1
; COMPUTE_PGM_RSRC2:TGID_Y_EN: 0
; COMPUTE_PGM_RSRC2:TGID_Z_EN: 0
; COMPUTE_PGM_RSRC2:TIDIG_COMP_CNT: 0
; COMPUTE_PGM_RSRC3_GFX90A:ACCUM_OFFSET: 0
; COMPUTE_PGM_RSRC3_GFX90A:TG_SPLIT: 0
	.section	.text._ZN7rocprim17ROCPRIM_400000_NS6detail17trampoline_kernelINS0_14default_configENS1_20scan_config_selectorIfEEZZNS1_9scan_implILNS1_25lookback_scan_determinismE0ELb1ELb1ES3_N6thrust23THRUST_200600_302600_NS6detail15normal_iteratorINS9_10device_ptrIiEEEENSB_INSC_IfEEEEfNS9_4plusIvEEfEEDaPvRmT3_T4_T5_mT6_P12ihipStream_tbENKUlT_T0_E_clISt17integral_constantIbLb1EESW_EEDaSR_SS_EUlSR_E0_NS1_11comp_targetILNS1_3genE10ELNS1_11target_archE1201ELNS1_3gpuE5ELNS1_3repE0EEENS1_30default_config_static_selectorELNS0_4arch9wavefront6targetE1EEEvT1_,"axG",@progbits,_ZN7rocprim17ROCPRIM_400000_NS6detail17trampoline_kernelINS0_14default_configENS1_20scan_config_selectorIfEEZZNS1_9scan_implILNS1_25lookback_scan_determinismE0ELb1ELb1ES3_N6thrust23THRUST_200600_302600_NS6detail15normal_iteratorINS9_10device_ptrIiEEEENSB_INSC_IfEEEEfNS9_4plusIvEEfEEDaPvRmT3_T4_T5_mT6_P12ihipStream_tbENKUlT_T0_E_clISt17integral_constantIbLb1EESW_EEDaSR_SS_EUlSR_E0_NS1_11comp_targetILNS1_3genE10ELNS1_11target_archE1201ELNS1_3gpuE5ELNS1_3repE0EEENS1_30default_config_static_selectorELNS0_4arch9wavefront6targetE1EEEvT1_,comdat
	.protected	_ZN7rocprim17ROCPRIM_400000_NS6detail17trampoline_kernelINS0_14default_configENS1_20scan_config_selectorIfEEZZNS1_9scan_implILNS1_25lookback_scan_determinismE0ELb1ELb1ES3_N6thrust23THRUST_200600_302600_NS6detail15normal_iteratorINS9_10device_ptrIiEEEENSB_INSC_IfEEEEfNS9_4plusIvEEfEEDaPvRmT3_T4_T5_mT6_P12ihipStream_tbENKUlT_T0_E_clISt17integral_constantIbLb1EESW_EEDaSR_SS_EUlSR_E0_NS1_11comp_targetILNS1_3genE10ELNS1_11target_archE1201ELNS1_3gpuE5ELNS1_3repE0EEENS1_30default_config_static_selectorELNS0_4arch9wavefront6targetE1EEEvT1_ ; -- Begin function _ZN7rocprim17ROCPRIM_400000_NS6detail17trampoline_kernelINS0_14default_configENS1_20scan_config_selectorIfEEZZNS1_9scan_implILNS1_25lookback_scan_determinismE0ELb1ELb1ES3_N6thrust23THRUST_200600_302600_NS6detail15normal_iteratorINS9_10device_ptrIiEEEENSB_INSC_IfEEEEfNS9_4plusIvEEfEEDaPvRmT3_T4_T5_mT6_P12ihipStream_tbENKUlT_T0_E_clISt17integral_constantIbLb1EESW_EEDaSR_SS_EUlSR_E0_NS1_11comp_targetILNS1_3genE10ELNS1_11target_archE1201ELNS1_3gpuE5ELNS1_3repE0EEENS1_30default_config_static_selectorELNS0_4arch9wavefront6targetE1EEEvT1_
	.globl	_ZN7rocprim17ROCPRIM_400000_NS6detail17trampoline_kernelINS0_14default_configENS1_20scan_config_selectorIfEEZZNS1_9scan_implILNS1_25lookback_scan_determinismE0ELb1ELb1ES3_N6thrust23THRUST_200600_302600_NS6detail15normal_iteratorINS9_10device_ptrIiEEEENSB_INSC_IfEEEEfNS9_4plusIvEEfEEDaPvRmT3_T4_T5_mT6_P12ihipStream_tbENKUlT_T0_E_clISt17integral_constantIbLb1EESW_EEDaSR_SS_EUlSR_E0_NS1_11comp_targetILNS1_3genE10ELNS1_11target_archE1201ELNS1_3gpuE5ELNS1_3repE0EEENS1_30default_config_static_selectorELNS0_4arch9wavefront6targetE1EEEvT1_
	.p2align	8
	.type	_ZN7rocprim17ROCPRIM_400000_NS6detail17trampoline_kernelINS0_14default_configENS1_20scan_config_selectorIfEEZZNS1_9scan_implILNS1_25lookback_scan_determinismE0ELb1ELb1ES3_N6thrust23THRUST_200600_302600_NS6detail15normal_iteratorINS9_10device_ptrIiEEEENSB_INSC_IfEEEEfNS9_4plusIvEEfEEDaPvRmT3_T4_T5_mT6_P12ihipStream_tbENKUlT_T0_E_clISt17integral_constantIbLb1EESW_EEDaSR_SS_EUlSR_E0_NS1_11comp_targetILNS1_3genE10ELNS1_11target_archE1201ELNS1_3gpuE5ELNS1_3repE0EEENS1_30default_config_static_selectorELNS0_4arch9wavefront6targetE1EEEvT1_,@function
_ZN7rocprim17ROCPRIM_400000_NS6detail17trampoline_kernelINS0_14default_configENS1_20scan_config_selectorIfEEZZNS1_9scan_implILNS1_25lookback_scan_determinismE0ELb1ELb1ES3_N6thrust23THRUST_200600_302600_NS6detail15normal_iteratorINS9_10device_ptrIiEEEENSB_INSC_IfEEEEfNS9_4plusIvEEfEEDaPvRmT3_T4_T5_mT6_P12ihipStream_tbENKUlT_T0_E_clISt17integral_constantIbLb1EESW_EEDaSR_SS_EUlSR_E0_NS1_11comp_targetILNS1_3genE10ELNS1_11target_archE1201ELNS1_3gpuE5ELNS1_3repE0EEENS1_30default_config_static_selectorELNS0_4arch9wavefront6targetE1EEEvT1_: ; @_ZN7rocprim17ROCPRIM_400000_NS6detail17trampoline_kernelINS0_14default_configENS1_20scan_config_selectorIfEEZZNS1_9scan_implILNS1_25lookback_scan_determinismE0ELb1ELb1ES3_N6thrust23THRUST_200600_302600_NS6detail15normal_iteratorINS9_10device_ptrIiEEEENSB_INSC_IfEEEEfNS9_4plusIvEEfEEDaPvRmT3_T4_T5_mT6_P12ihipStream_tbENKUlT_T0_E_clISt17integral_constantIbLb1EESW_EEDaSR_SS_EUlSR_E0_NS1_11comp_targetILNS1_3genE10ELNS1_11target_archE1201ELNS1_3gpuE5ELNS1_3repE0EEENS1_30default_config_static_selectorELNS0_4arch9wavefront6targetE1EEEvT1_
; %bb.0:
	.section	.rodata,"a",@progbits
	.p2align	6, 0x0
	.amdhsa_kernel _ZN7rocprim17ROCPRIM_400000_NS6detail17trampoline_kernelINS0_14default_configENS1_20scan_config_selectorIfEEZZNS1_9scan_implILNS1_25lookback_scan_determinismE0ELb1ELb1ES3_N6thrust23THRUST_200600_302600_NS6detail15normal_iteratorINS9_10device_ptrIiEEEENSB_INSC_IfEEEEfNS9_4plusIvEEfEEDaPvRmT3_T4_T5_mT6_P12ihipStream_tbENKUlT_T0_E_clISt17integral_constantIbLb1EESW_EEDaSR_SS_EUlSR_E0_NS1_11comp_targetILNS1_3genE10ELNS1_11target_archE1201ELNS1_3gpuE5ELNS1_3repE0EEENS1_30default_config_static_selectorELNS0_4arch9wavefront6targetE1EEEvT1_
		.amdhsa_group_segment_fixed_size 0
		.amdhsa_private_segment_fixed_size 0
		.amdhsa_kernarg_size 32
		.amdhsa_user_sgpr_count 6
		.amdhsa_user_sgpr_private_segment_buffer 1
		.amdhsa_user_sgpr_dispatch_ptr 0
		.amdhsa_user_sgpr_queue_ptr 0
		.amdhsa_user_sgpr_kernarg_segment_ptr 1
		.amdhsa_user_sgpr_dispatch_id 0
		.amdhsa_user_sgpr_flat_scratch_init 0
		.amdhsa_user_sgpr_kernarg_preload_length 0
		.amdhsa_user_sgpr_kernarg_preload_offset 0
		.amdhsa_user_sgpr_private_segment_size 0
		.amdhsa_uses_dynamic_stack 0
		.amdhsa_system_sgpr_private_segment_wavefront_offset 0
		.amdhsa_system_sgpr_workgroup_id_x 1
		.amdhsa_system_sgpr_workgroup_id_y 0
		.amdhsa_system_sgpr_workgroup_id_z 0
		.amdhsa_system_sgpr_workgroup_info 0
		.amdhsa_system_vgpr_workitem_id 0
		.amdhsa_next_free_vgpr 1
		.amdhsa_next_free_sgpr 0
		.amdhsa_accum_offset 4
		.amdhsa_reserve_vcc 0
		.amdhsa_reserve_flat_scratch 0
		.amdhsa_float_round_mode_32 0
		.amdhsa_float_round_mode_16_64 0
		.amdhsa_float_denorm_mode_32 3
		.amdhsa_float_denorm_mode_16_64 3
		.amdhsa_dx10_clamp 1
		.amdhsa_ieee_mode 1
		.amdhsa_fp16_overflow 0
		.amdhsa_tg_split 0
		.amdhsa_exception_fp_ieee_invalid_op 0
		.amdhsa_exception_fp_denorm_src 0
		.amdhsa_exception_fp_ieee_div_zero 0
		.amdhsa_exception_fp_ieee_overflow 0
		.amdhsa_exception_fp_ieee_underflow 0
		.amdhsa_exception_fp_ieee_inexact 0
		.amdhsa_exception_int_div_zero 0
	.end_amdhsa_kernel
	.section	.text._ZN7rocprim17ROCPRIM_400000_NS6detail17trampoline_kernelINS0_14default_configENS1_20scan_config_selectorIfEEZZNS1_9scan_implILNS1_25lookback_scan_determinismE0ELb1ELb1ES3_N6thrust23THRUST_200600_302600_NS6detail15normal_iteratorINS9_10device_ptrIiEEEENSB_INSC_IfEEEEfNS9_4plusIvEEfEEDaPvRmT3_T4_T5_mT6_P12ihipStream_tbENKUlT_T0_E_clISt17integral_constantIbLb1EESW_EEDaSR_SS_EUlSR_E0_NS1_11comp_targetILNS1_3genE10ELNS1_11target_archE1201ELNS1_3gpuE5ELNS1_3repE0EEENS1_30default_config_static_selectorELNS0_4arch9wavefront6targetE1EEEvT1_,"axG",@progbits,_ZN7rocprim17ROCPRIM_400000_NS6detail17trampoline_kernelINS0_14default_configENS1_20scan_config_selectorIfEEZZNS1_9scan_implILNS1_25lookback_scan_determinismE0ELb1ELb1ES3_N6thrust23THRUST_200600_302600_NS6detail15normal_iteratorINS9_10device_ptrIiEEEENSB_INSC_IfEEEEfNS9_4plusIvEEfEEDaPvRmT3_T4_T5_mT6_P12ihipStream_tbENKUlT_T0_E_clISt17integral_constantIbLb1EESW_EEDaSR_SS_EUlSR_E0_NS1_11comp_targetILNS1_3genE10ELNS1_11target_archE1201ELNS1_3gpuE5ELNS1_3repE0EEENS1_30default_config_static_selectorELNS0_4arch9wavefront6targetE1EEEvT1_,comdat
.Lfunc_end1746:
	.size	_ZN7rocprim17ROCPRIM_400000_NS6detail17trampoline_kernelINS0_14default_configENS1_20scan_config_selectorIfEEZZNS1_9scan_implILNS1_25lookback_scan_determinismE0ELb1ELb1ES3_N6thrust23THRUST_200600_302600_NS6detail15normal_iteratorINS9_10device_ptrIiEEEENSB_INSC_IfEEEEfNS9_4plusIvEEfEEDaPvRmT3_T4_T5_mT6_P12ihipStream_tbENKUlT_T0_E_clISt17integral_constantIbLb1EESW_EEDaSR_SS_EUlSR_E0_NS1_11comp_targetILNS1_3genE10ELNS1_11target_archE1201ELNS1_3gpuE5ELNS1_3repE0EEENS1_30default_config_static_selectorELNS0_4arch9wavefront6targetE1EEEvT1_, .Lfunc_end1746-_ZN7rocprim17ROCPRIM_400000_NS6detail17trampoline_kernelINS0_14default_configENS1_20scan_config_selectorIfEEZZNS1_9scan_implILNS1_25lookback_scan_determinismE0ELb1ELb1ES3_N6thrust23THRUST_200600_302600_NS6detail15normal_iteratorINS9_10device_ptrIiEEEENSB_INSC_IfEEEEfNS9_4plusIvEEfEEDaPvRmT3_T4_T5_mT6_P12ihipStream_tbENKUlT_T0_E_clISt17integral_constantIbLb1EESW_EEDaSR_SS_EUlSR_E0_NS1_11comp_targetILNS1_3genE10ELNS1_11target_archE1201ELNS1_3gpuE5ELNS1_3repE0EEENS1_30default_config_static_selectorELNS0_4arch9wavefront6targetE1EEEvT1_
                                        ; -- End function
	.section	.AMDGPU.csdata,"",@progbits
; Kernel info:
; codeLenInByte = 0
; NumSgprs: 4
; NumVgprs: 0
; NumAgprs: 0
; TotalNumVgprs: 0
; ScratchSize: 0
; MemoryBound: 0
; FloatMode: 240
; IeeeMode: 1
; LDSByteSize: 0 bytes/workgroup (compile time only)
; SGPRBlocks: 0
; VGPRBlocks: 0
; NumSGPRsForWavesPerEU: 4
; NumVGPRsForWavesPerEU: 1
; AccumOffset: 4
; Occupancy: 8
; WaveLimiterHint : 0
; COMPUTE_PGM_RSRC2:SCRATCH_EN: 0
; COMPUTE_PGM_RSRC2:USER_SGPR: 6
; COMPUTE_PGM_RSRC2:TRAP_HANDLER: 0
; COMPUTE_PGM_RSRC2:TGID_X_EN: 1
; COMPUTE_PGM_RSRC2:TGID_Y_EN: 0
; COMPUTE_PGM_RSRC2:TGID_Z_EN: 0
; COMPUTE_PGM_RSRC2:TIDIG_COMP_CNT: 0
; COMPUTE_PGM_RSRC3_GFX90A:ACCUM_OFFSET: 0
; COMPUTE_PGM_RSRC3_GFX90A:TG_SPLIT: 0
	.section	.text._ZN7rocprim17ROCPRIM_400000_NS6detail17trampoline_kernelINS0_14default_configENS1_20scan_config_selectorIfEEZZNS1_9scan_implILNS1_25lookback_scan_determinismE0ELb1ELb1ES3_N6thrust23THRUST_200600_302600_NS6detail15normal_iteratorINS9_10device_ptrIiEEEENSB_INSC_IfEEEEfNS9_4plusIvEEfEEDaPvRmT3_T4_T5_mT6_P12ihipStream_tbENKUlT_T0_E_clISt17integral_constantIbLb1EESW_EEDaSR_SS_EUlSR_E0_NS1_11comp_targetILNS1_3genE10ELNS1_11target_archE1200ELNS1_3gpuE4ELNS1_3repE0EEENS1_30default_config_static_selectorELNS0_4arch9wavefront6targetE1EEEvT1_,"axG",@progbits,_ZN7rocprim17ROCPRIM_400000_NS6detail17trampoline_kernelINS0_14default_configENS1_20scan_config_selectorIfEEZZNS1_9scan_implILNS1_25lookback_scan_determinismE0ELb1ELb1ES3_N6thrust23THRUST_200600_302600_NS6detail15normal_iteratorINS9_10device_ptrIiEEEENSB_INSC_IfEEEEfNS9_4plusIvEEfEEDaPvRmT3_T4_T5_mT6_P12ihipStream_tbENKUlT_T0_E_clISt17integral_constantIbLb1EESW_EEDaSR_SS_EUlSR_E0_NS1_11comp_targetILNS1_3genE10ELNS1_11target_archE1200ELNS1_3gpuE4ELNS1_3repE0EEENS1_30default_config_static_selectorELNS0_4arch9wavefront6targetE1EEEvT1_,comdat
	.protected	_ZN7rocprim17ROCPRIM_400000_NS6detail17trampoline_kernelINS0_14default_configENS1_20scan_config_selectorIfEEZZNS1_9scan_implILNS1_25lookback_scan_determinismE0ELb1ELb1ES3_N6thrust23THRUST_200600_302600_NS6detail15normal_iteratorINS9_10device_ptrIiEEEENSB_INSC_IfEEEEfNS9_4plusIvEEfEEDaPvRmT3_T4_T5_mT6_P12ihipStream_tbENKUlT_T0_E_clISt17integral_constantIbLb1EESW_EEDaSR_SS_EUlSR_E0_NS1_11comp_targetILNS1_3genE10ELNS1_11target_archE1200ELNS1_3gpuE4ELNS1_3repE0EEENS1_30default_config_static_selectorELNS0_4arch9wavefront6targetE1EEEvT1_ ; -- Begin function _ZN7rocprim17ROCPRIM_400000_NS6detail17trampoline_kernelINS0_14default_configENS1_20scan_config_selectorIfEEZZNS1_9scan_implILNS1_25lookback_scan_determinismE0ELb1ELb1ES3_N6thrust23THRUST_200600_302600_NS6detail15normal_iteratorINS9_10device_ptrIiEEEENSB_INSC_IfEEEEfNS9_4plusIvEEfEEDaPvRmT3_T4_T5_mT6_P12ihipStream_tbENKUlT_T0_E_clISt17integral_constantIbLb1EESW_EEDaSR_SS_EUlSR_E0_NS1_11comp_targetILNS1_3genE10ELNS1_11target_archE1200ELNS1_3gpuE4ELNS1_3repE0EEENS1_30default_config_static_selectorELNS0_4arch9wavefront6targetE1EEEvT1_
	.globl	_ZN7rocprim17ROCPRIM_400000_NS6detail17trampoline_kernelINS0_14default_configENS1_20scan_config_selectorIfEEZZNS1_9scan_implILNS1_25lookback_scan_determinismE0ELb1ELb1ES3_N6thrust23THRUST_200600_302600_NS6detail15normal_iteratorINS9_10device_ptrIiEEEENSB_INSC_IfEEEEfNS9_4plusIvEEfEEDaPvRmT3_T4_T5_mT6_P12ihipStream_tbENKUlT_T0_E_clISt17integral_constantIbLb1EESW_EEDaSR_SS_EUlSR_E0_NS1_11comp_targetILNS1_3genE10ELNS1_11target_archE1200ELNS1_3gpuE4ELNS1_3repE0EEENS1_30default_config_static_selectorELNS0_4arch9wavefront6targetE1EEEvT1_
	.p2align	8
	.type	_ZN7rocprim17ROCPRIM_400000_NS6detail17trampoline_kernelINS0_14default_configENS1_20scan_config_selectorIfEEZZNS1_9scan_implILNS1_25lookback_scan_determinismE0ELb1ELb1ES3_N6thrust23THRUST_200600_302600_NS6detail15normal_iteratorINS9_10device_ptrIiEEEENSB_INSC_IfEEEEfNS9_4plusIvEEfEEDaPvRmT3_T4_T5_mT6_P12ihipStream_tbENKUlT_T0_E_clISt17integral_constantIbLb1EESW_EEDaSR_SS_EUlSR_E0_NS1_11comp_targetILNS1_3genE10ELNS1_11target_archE1200ELNS1_3gpuE4ELNS1_3repE0EEENS1_30default_config_static_selectorELNS0_4arch9wavefront6targetE1EEEvT1_,@function
_ZN7rocprim17ROCPRIM_400000_NS6detail17trampoline_kernelINS0_14default_configENS1_20scan_config_selectorIfEEZZNS1_9scan_implILNS1_25lookback_scan_determinismE0ELb1ELb1ES3_N6thrust23THRUST_200600_302600_NS6detail15normal_iteratorINS9_10device_ptrIiEEEENSB_INSC_IfEEEEfNS9_4plusIvEEfEEDaPvRmT3_T4_T5_mT6_P12ihipStream_tbENKUlT_T0_E_clISt17integral_constantIbLb1EESW_EEDaSR_SS_EUlSR_E0_NS1_11comp_targetILNS1_3genE10ELNS1_11target_archE1200ELNS1_3gpuE4ELNS1_3repE0EEENS1_30default_config_static_selectorELNS0_4arch9wavefront6targetE1EEEvT1_: ; @_ZN7rocprim17ROCPRIM_400000_NS6detail17trampoline_kernelINS0_14default_configENS1_20scan_config_selectorIfEEZZNS1_9scan_implILNS1_25lookback_scan_determinismE0ELb1ELb1ES3_N6thrust23THRUST_200600_302600_NS6detail15normal_iteratorINS9_10device_ptrIiEEEENSB_INSC_IfEEEEfNS9_4plusIvEEfEEDaPvRmT3_T4_T5_mT6_P12ihipStream_tbENKUlT_T0_E_clISt17integral_constantIbLb1EESW_EEDaSR_SS_EUlSR_E0_NS1_11comp_targetILNS1_3genE10ELNS1_11target_archE1200ELNS1_3gpuE4ELNS1_3repE0EEENS1_30default_config_static_selectorELNS0_4arch9wavefront6targetE1EEEvT1_
; %bb.0:
	.section	.rodata,"a",@progbits
	.p2align	6, 0x0
	.amdhsa_kernel _ZN7rocprim17ROCPRIM_400000_NS6detail17trampoline_kernelINS0_14default_configENS1_20scan_config_selectorIfEEZZNS1_9scan_implILNS1_25lookback_scan_determinismE0ELb1ELb1ES3_N6thrust23THRUST_200600_302600_NS6detail15normal_iteratorINS9_10device_ptrIiEEEENSB_INSC_IfEEEEfNS9_4plusIvEEfEEDaPvRmT3_T4_T5_mT6_P12ihipStream_tbENKUlT_T0_E_clISt17integral_constantIbLb1EESW_EEDaSR_SS_EUlSR_E0_NS1_11comp_targetILNS1_3genE10ELNS1_11target_archE1200ELNS1_3gpuE4ELNS1_3repE0EEENS1_30default_config_static_selectorELNS0_4arch9wavefront6targetE1EEEvT1_
		.amdhsa_group_segment_fixed_size 0
		.amdhsa_private_segment_fixed_size 0
		.amdhsa_kernarg_size 32
		.amdhsa_user_sgpr_count 6
		.amdhsa_user_sgpr_private_segment_buffer 1
		.amdhsa_user_sgpr_dispatch_ptr 0
		.amdhsa_user_sgpr_queue_ptr 0
		.amdhsa_user_sgpr_kernarg_segment_ptr 1
		.amdhsa_user_sgpr_dispatch_id 0
		.amdhsa_user_sgpr_flat_scratch_init 0
		.amdhsa_user_sgpr_kernarg_preload_length 0
		.amdhsa_user_sgpr_kernarg_preload_offset 0
		.amdhsa_user_sgpr_private_segment_size 0
		.amdhsa_uses_dynamic_stack 0
		.amdhsa_system_sgpr_private_segment_wavefront_offset 0
		.amdhsa_system_sgpr_workgroup_id_x 1
		.amdhsa_system_sgpr_workgroup_id_y 0
		.amdhsa_system_sgpr_workgroup_id_z 0
		.amdhsa_system_sgpr_workgroup_info 0
		.amdhsa_system_vgpr_workitem_id 0
		.amdhsa_next_free_vgpr 1
		.amdhsa_next_free_sgpr 0
		.amdhsa_accum_offset 4
		.amdhsa_reserve_vcc 0
		.amdhsa_reserve_flat_scratch 0
		.amdhsa_float_round_mode_32 0
		.amdhsa_float_round_mode_16_64 0
		.amdhsa_float_denorm_mode_32 3
		.amdhsa_float_denorm_mode_16_64 3
		.amdhsa_dx10_clamp 1
		.amdhsa_ieee_mode 1
		.amdhsa_fp16_overflow 0
		.amdhsa_tg_split 0
		.amdhsa_exception_fp_ieee_invalid_op 0
		.amdhsa_exception_fp_denorm_src 0
		.amdhsa_exception_fp_ieee_div_zero 0
		.amdhsa_exception_fp_ieee_overflow 0
		.amdhsa_exception_fp_ieee_underflow 0
		.amdhsa_exception_fp_ieee_inexact 0
		.amdhsa_exception_int_div_zero 0
	.end_amdhsa_kernel
	.section	.text._ZN7rocprim17ROCPRIM_400000_NS6detail17trampoline_kernelINS0_14default_configENS1_20scan_config_selectorIfEEZZNS1_9scan_implILNS1_25lookback_scan_determinismE0ELb1ELb1ES3_N6thrust23THRUST_200600_302600_NS6detail15normal_iteratorINS9_10device_ptrIiEEEENSB_INSC_IfEEEEfNS9_4plusIvEEfEEDaPvRmT3_T4_T5_mT6_P12ihipStream_tbENKUlT_T0_E_clISt17integral_constantIbLb1EESW_EEDaSR_SS_EUlSR_E0_NS1_11comp_targetILNS1_3genE10ELNS1_11target_archE1200ELNS1_3gpuE4ELNS1_3repE0EEENS1_30default_config_static_selectorELNS0_4arch9wavefront6targetE1EEEvT1_,"axG",@progbits,_ZN7rocprim17ROCPRIM_400000_NS6detail17trampoline_kernelINS0_14default_configENS1_20scan_config_selectorIfEEZZNS1_9scan_implILNS1_25lookback_scan_determinismE0ELb1ELb1ES3_N6thrust23THRUST_200600_302600_NS6detail15normal_iteratorINS9_10device_ptrIiEEEENSB_INSC_IfEEEEfNS9_4plusIvEEfEEDaPvRmT3_T4_T5_mT6_P12ihipStream_tbENKUlT_T0_E_clISt17integral_constantIbLb1EESW_EEDaSR_SS_EUlSR_E0_NS1_11comp_targetILNS1_3genE10ELNS1_11target_archE1200ELNS1_3gpuE4ELNS1_3repE0EEENS1_30default_config_static_selectorELNS0_4arch9wavefront6targetE1EEEvT1_,comdat
.Lfunc_end1747:
	.size	_ZN7rocprim17ROCPRIM_400000_NS6detail17trampoline_kernelINS0_14default_configENS1_20scan_config_selectorIfEEZZNS1_9scan_implILNS1_25lookback_scan_determinismE0ELb1ELb1ES3_N6thrust23THRUST_200600_302600_NS6detail15normal_iteratorINS9_10device_ptrIiEEEENSB_INSC_IfEEEEfNS9_4plusIvEEfEEDaPvRmT3_T4_T5_mT6_P12ihipStream_tbENKUlT_T0_E_clISt17integral_constantIbLb1EESW_EEDaSR_SS_EUlSR_E0_NS1_11comp_targetILNS1_3genE10ELNS1_11target_archE1200ELNS1_3gpuE4ELNS1_3repE0EEENS1_30default_config_static_selectorELNS0_4arch9wavefront6targetE1EEEvT1_, .Lfunc_end1747-_ZN7rocprim17ROCPRIM_400000_NS6detail17trampoline_kernelINS0_14default_configENS1_20scan_config_selectorIfEEZZNS1_9scan_implILNS1_25lookback_scan_determinismE0ELb1ELb1ES3_N6thrust23THRUST_200600_302600_NS6detail15normal_iteratorINS9_10device_ptrIiEEEENSB_INSC_IfEEEEfNS9_4plusIvEEfEEDaPvRmT3_T4_T5_mT6_P12ihipStream_tbENKUlT_T0_E_clISt17integral_constantIbLb1EESW_EEDaSR_SS_EUlSR_E0_NS1_11comp_targetILNS1_3genE10ELNS1_11target_archE1200ELNS1_3gpuE4ELNS1_3repE0EEENS1_30default_config_static_selectorELNS0_4arch9wavefront6targetE1EEEvT1_
                                        ; -- End function
	.section	.AMDGPU.csdata,"",@progbits
; Kernel info:
; codeLenInByte = 0
; NumSgprs: 4
; NumVgprs: 0
; NumAgprs: 0
; TotalNumVgprs: 0
; ScratchSize: 0
; MemoryBound: 0
; FloatMode: 240
; IeeeMode: 1
; LDSByteSize: 0 bytes/workgroup (compile time only)
; SGPRBlocks: 0
; VGPRBlocks: 0
; NumSGPRsForWavesPerEU: 4
; NumVGPRsForWavesPerEU: 1
; AccumOffset: 4
; Occupancy: 8
; WaveLimiterHint : 0
; COMPUTE_PGM_RSRC2:SCRATCH_EN: 0
; COMPUTE_PGM_RSRC2:USER_SGPR: 6
; COMPUTE_PGM_RSRC2:TRAP_HANDLER: 0
; COMPUTE_PGM_RSRC2:TGID_X_EN: 1
; COMPUTE_PGM_RSRC2:TGID_Y_EN: 0
; COMPUTE_PGM_RSRC2:TGID_Z_EN: 0
; COMPUTE_PGM_RSRC2:TIDIG_COMP_CNT: 0
; COMPUTE_PGM_RSRC3_GFX90A:ACCUM_OFFSET: 0
; COMPUTE_PGM_RSRC3_GFX90A:TG_SPLIT: 0
	.section	.text._ZN7rocprim17ROCPRIM_400000_NS6detail17trampoline_kernelINS0_14default_configENS1_20scan_config_selectorIfEEZZNS1_9scan_implILNS1_25lookback_scan_determinismE0ELb1ELb1ES3_N6thrust23THRUST_200600_302600_NS6detail15normal_iteratorINS9_10device_ptrIiEEEENSB_INSC_IfEEEEfNS9_4plusIvEEfEEDaPvRmT3_T4_T5_mT6_P12ihipStream_tbENKUlT_T0_E_clISt17integral_constantIbLb1EESW_EEDaSR_SS_EUlSR_E0_NS1_11comp_targetILNS1_3genE9ELNS1_11target_archE1100ELNS1_3gpuE3ELNS1_3repE0EEENS1_30default_config_static_selectorELNS0_4arch9wavefront6targetE1EEEvT1_,"axG",@progbits,_ZN7rocprim17ROCPRIM_400000_NS6detail17trampoline_kernelINS0_14default_configENS1_20scan_config_selectorIfEEZZNS1_9scan_implILNS1_25lookback_scan_determinismE0ELb1ELb1ES3_N6thrust23THRUST_200600_302600_NS6detail15normal_iteratorINS9_10device_ptrIiEEEENSB_INSC_IfEEEEfNS9_4plusIvEEfEEDaPvRmT3_T4_T5_mT6_P12ihipStream_tbENKUlT_T0_E_clISt17integral_constantIbLb1EESW_EEDaSR_SS_EUlSR_E0_NS1_11comp_targetILNS1_3genE9ELNS1_11target_archE1100ELNS1_3gpuE3ELNS1_3repE0EEENS1_30default_config_static_selectorELNS0_4arch9wavefront6targetE1EEEvT1_,comdat
	.protected	_ZN7rocprim17ROCPRIM_400000_NS6detail17trampoline_kernelINS0_14default_configENS1_20scan_config_selectorIfEEZZNS1_9scan_implILNS1_25lookback_scan_determinismE0ELb1ELb1ES3_N6thrust23THRUST_200600_302600_NS6detail15normal_iteratorINS9_10device_ptrIiEEEENSB_INSC_IfEEEEfNS9_4plusIvEEfEEDaPvRmT3_T4_T5_mT6_P12ihipStream_tbENKUlT_T0_E_clISt17integral_constantIbLb1EESW_EEDaSR_SS_EUlSR_E0_NS1_11comp_targetILNS1_3genE9ELNS1_11target_archE1100ELNS1_3gpuE3ELNS1_3repE0EEENS1_30default_config_static_selectorELNS0_4arch9wavefront6targetE1EEEvT1_ ; -- Begin function _ZN7rocprim17ROCPRIM_400000_NS6detail17trampoline_kernelINS0_14default_configENS1_20scan_config_selectorIfEEZZNS1_9scan_implILNS1_25lookback_scan_determinismE0ELb1ELb1ES3_N6thrust23THRUST_200600_302600_NS6detail15normal_iteratorINS9_10device_ptrIiEEEENSB_INSC_IfEEEEfNS9_4plusIvEEfEEDaPvRmT3_T4_T5_mT6_P12ihipStream_tbENKUlT_T0_E_clISt17integral_constantIbLb1EESW_EEDaSR_SS_EUlSR_E0_NS1_11comp_targetILNS1_3genE9ELNS1_11target_archE1100ELNS1_3gpuE3ELNS1_3repE0EEENS1_30default_config_static_selectorELNS0_4arch9wavefront6targetE1EEEvT1_
	.globl	_ZN7rocprim17ROCPRIM_400000_NS6detail17trampoline_kernelINS0_14default_configENS1_20scan_config_selectorIfEEZZNS1_9scan_implILNS1_25lookback_scan_determinismE0ELb1ELb1ES3_N6thrust23THRUST_200600_302600_NS6detail15normal_iteratorINS9_10device_ptrIiEEEENSB_INSC_IfEEEEfNS9_4plusIvEEfEEDaPvRmT3_T4_T5_mT6_P12ihipStream_tbENKUlT_T0_E_clISt17integral_constantIbLb1EESW_EEDaSR_SS_EUlSR_E0_NS1_11comp_targetILNS1_3genE9ELNS1_11target_archE1100ELNS1_3gpuE3ELNS1_3repE0EEENS1_30default_config_static_selectorELNS0_4arch9wavefront6targetE1EEEvT1_
	.p2align	8
	.type	_ZN7rocprim17ROCPRIM_400000_NS6detail17trampoline_kernelINS0_14default_configENS1_20scan_config_selectorIfEEZZNS1_9scan_implILNS1_25lookback_scan_determinismE0ELb1ELb1ES3_N6thrust23THRUST_200600_302600_NS6detail15normal_iteratorINS9_10device_ptrIiEEEENSB_INSC_IfEEEEfNS9_4plusIvEEfEEDaPvRmT3_T4_T5_mT6_P12ihipStream_tbENKUlT_T0_E_clISt17integral_constantIbLb1EESW_EEDaSR_SS_EUlSR_E0_NS1_11comp_targetILNS1_3genE9ELNS1_11target_archE1100ELNS1_3gpuE3ELNS1_3repE0EEENS1_30default_config_static_selectorELNS0_4arch9wavefront6targetE1EEEvT1_,@function
_ZN7rocprim17ROCPRIM_400000_NS6detail17trampoline_kernelINS0_14default_configENS1_20scan_config_selectorIfEEZZNS1_9scan_implILNS1_25lookback_scan_determinismE0ELb1ELb1ES3_N6thrust23THRUST_200600_302600_NS6detail15normal_iteratorINS9_10device_ptrIiEEEENSB_INSC_IfEEEEfNS9_4plusIvEEfEEDaPvRmT3_T4_T5_mT6_P12ihipStream_tbENKUlT_T0_E_clISt17integral_constantIbLb1EESW_EEDaSR_SS_EUlSR_E0_NS1_11comp_targetILNS1_3genE9ELNS1_11target_archE1100ELNS1_3gpuE3ELNS1_3repE0EEENS1_30default_config_static_selectorELNS0_4arch9wavefront6targetE1EEEvT1_: ; @_ZN7rocprim17ROCPRIM_400000_NS6detail17trampoline_kernelINS0_14default_configENS1_20scan_config_selectorIfEEZZNS1_9scan_implILNS1_25lookback_scan_determinismE0ELb1ELb1ES3_N6thrust23THRUST_200600_302600_NS6detail15normal_iteratorINS9_10device_ptrIiEEEENSB_INSC_IfEEEEfNS9_4plusIvEEfEEDaPvRmT3_T4_T5_mT6_P12ihipStream_tbENKUlT_T0_E_clISt17integral_constantIbLb1EESW_EEDaSR_SS_EUlSR_E0_NS1_11comp_targetILNS1_3genE9ELNS1_11target_archE1100ELNS1_3gpuE3ELNS1_3repE0EEENS1_30default_config_static_selectorELNS0_4arch9wavefront6targetE1EEEvT1_
; %bb.0:
	.section	.rodata,"a",@progbits
	.p2align	6, 0x0
	.amdhsa_kernel _ZN7rocprim17ROCPRIM_400000_NS6detail17trampoline_kernelINS0_14default_configENS1_20scan_config_selectorIfEEZZNS1_9scan_implILNS1_25lookback_scan_determinismE0ELb1ELb1ES3_N6thrust23THRUST_200600_302600_NS6detail15normal_iteratorINS9_10device_ptrIiEEEENSB_INSC_IfEEEEfNS9_4plusIvEEfEEDaPvRmT3_T4_T5_mT6_P12ihipStream_tbENKUlT_T0_E_clISt17integral_constantIbLb1EESW_EEDaSR_SS_EUlSR_E0_NS1_11comp_targetILNS1_3genE9ELNS1_11target_archE1100ELNS1_3gpuE3ELNS1_3repE0EEENS1_30default_config_static_selectorELNS0_4arch9wavefront6targetE1EEEvT1_
		.amdhsa_group_segment_fixed_size 0
		.amdhsa_private_segment_fixed_size 0
		.amdhsa_kernarg_size 32
		.amdhsa_user_sgpr_count 6
		.amdhsa_user_sgpr_private_segment_buffer 1
		.amdhsa_user_sgpr_dispatch_ptr 0
		.amdhsa_user_sgpr_queue_ptr 0
		.amdhsa_user_sgpr_kernarg_segment_ptr 1
		.amdhsa_user_sgpr_dispatch_id 0
		.amdhsa_user_sgpr_flat_scratch_init 0
		.amdhsa_user_sgpr_kernarg_preload_length 0
		.amdhsa_user_sgpr_kernarg_preload_offset 0
		.amdhsa_user_sgpr_private_segment_size 0
		.amdhsa_uses_dynamic_stack 0
		.amdhsa_system_sgpr_private_segment_wavefront_offset 0
		.amdhsa_system_sgpr_workgroup_id_x 1
		.amdhsa_system_sgpr_workgroup_id_y 0
		.amdhsa_system_sgpr_workgroup_id_z 0
		.amdhsa_system_sgpr_workgroup_info 0
		.amdhsa_system_vgpr_workitem_id 0
		.amdhsa_next_free_vgpr 1
		.amdhsa_next_free_sgpr 0
		.amdhsa_accum_offset 4
		.amdhsa_reserve_vcc 0
		.amdhsa_reserve_flat_scratch 0
		.amdhsa_float_round_mode_32 0
		.amdhsa_float_round_mode_16_64 0
		.amdhsa_float_denorm_mode_32 3
		.amdhsa_float_denorm_mode_16_64 3
		.amdhsa_dx10_clamp 1
		.amdhsa_ieee_mode 1
		.amdhsa_fp16_overflow 0
		.amdhsa_tg_split 0
		.amdhsa_exception_fp_ieee_invalid_op 0
		.amdhsa_exception_fp_denorm_src 0
		.amdhsa_exception_fp_ieee_div_zero 0
		.amdhsa_exception_fp_ieee_overflow 0
		.amdhsa_exception_fp_ieee_underflow 0
		.amdhsa_exception_fp_ieee_inexact 0
		.amdhsa_exception_int_div_zero 0
	.end_amdhsa_kernel
	.section	.text._ZN7rocprim17ROCPRIM_400000_NS6detail17trampoline_kernelINS0_14default_configENS1_20scan_config_selectorIfEEZZNS1_9scan_implILNS1_25lookback_scan_determinismE0ELb1ELb1ES3_N6thrust23THRUST_200600_302600_NS6detail15normal_iteratorINS9_10device_ptrIiEEEENSB_INSC_IfEEEEfNS9_4plusIvEEfEEDaPvRmT3_T4_T5_mT6_P12ihipStream_tbENKUlT_T0_E_clISt17integral_constantIbLb1EESW_EEDaSR_SS_EUlSR_E0_NS1_11comp_targetILNS1_3genE9ELNS1_11target_archE1100ELNS1_3gpuE3ELNS1_3repE0EEENS1_30default_config_static_selectorELNS0_4arch9wavefront6targetE1EEEvT1_,"axG",@progbits,_ZN7rocprim17ROCPRIM_400000_NS6detail17trampoline_kernelINS0_14default_configENS1_20scan_config_selectorIfEEZZNS1_9scan_implILNS1_25lookback_scan_determinismE0ELb1ELb1ES3_N6thrust23THRUST_200600_302600_NS6detail15normal_iteratorINS9_10device_ptrIiEEEENSB_INSC_IfEEEEfNS9_4plusIvEEfEEDaPvRmT3_T4_T5_mT6_P12ihipStream_tbENKUlT_T0_E_clISt17integral_constantIbLb1EESW_EEDaSR_SS_EUlSR_E0_NS1_11comp_targetILNS1_3genE9ELNS1_11target_archE1100ELNS1_3gpuE3ELNS1_3repE0EEENS1_30default_config_static_selectorELNS0_4arch9wavefront6targetE1EEEvT1_,comdat
.Lfunc_end1748:
	.size	_ZN7rocprim17ROCPRIM_400000_NS6detail17trampoline_kernelINS0_14default_configENS1_20scan_config_selectorIfEEZZNS1_9scan_implILNS1_25lookback_scan_determinismE0ELb1ELb1ES3_N6thrust23THRUST_200600_302600_NS6detail15normal_iteratorINS9_10device_ptrIiEEEENSB_INSC_IfEEEEfNS9_4plusIvEEfEEDaPvRmT3_T4_T5_mT6_P12ihipStream_tbENKUlT_T0_E_clISt17integral_constantIbLb1EESW_EEDaSR_SS_EUlSR_E0_NS1_11comp_targetILNS1_3genE9ELNS1_11target_archE1100ELNS1_3gpuE3ELNS1_3repE0EEENS1_30default_config_static_selectorELNS0_4arch9wavefront6targetE1EEEvT1_, .Lfunc_end1748-_ZN7rocprim17ROCPRIM_400000_NS6detail17trampoline_kernelINS0_14default_configENS1_20scan_config_selectorIfEEZZNS1_9scan_implILNS1_25lookback_scan_determinismE0ELb1ELb1ES3_N6thrust23THRUST_200600_302600_NS6detail15normal_iteratorINS9_10device_ptrIiEEEENSB_INSC_IfEEEEfNS9_4plusIvEEfEEDaPvRmT3_T4_T5_mT6_P12ihipStream_tbENKUlT_T0_E_clISt17integral_constantIbLb1EESW_EEDaSR_SS_EUlSR_E0_NS1_11comp_targetILNS1_3genE9ELNS1_11target_archE1100ELNS1_3gpuE3ELNS1_3repE0EEENS1_30default_config_static_selectorELNS0_4arch9wavefront6targetE1EEEvT1_
                                        ; -- End function
	.section	.AMDGPU.csdata,"",@progbits
; Kernel info:
; codeLenInByte = 0
; NumSgprs: 4
; NumVgprs: 0
; NumAgprs: 0
; TotalNumVgprs: 0
; ScratchSize: 0
; MemoryBound: 0
; FloatMode: 240
; IeeeMode: 1
; LDSByteSize: 0 bytes/workgroup (compile time only)
; SGPRBlocks: 0
; VGPRBlocks: 0
; NumSGPRsForWavesPerEU: 4
; NumVGPRsForWavesPerEU: 1
; AccumOffset: 4
; Occupancy: 8
; WaveLimiterHint : 0
; COMPUTE_PGM_RSRC2:SCRATCH_EN: 0
; COMPUTE_PGM_RSRC2:USER_SGPR: 6
; COMPUTE_PGM_RSRC2:TRAP_HANDLER: 0
; COMPUTE_PGM_RSRC2:TGID_X_EN: 1
; COMPUTE_PGM_RSRC2:TGID_Y_EN: 0
; COMPUTE_PGM_RSRC2:TGID_Z_EN: 0
; COMPUTE_PGM_RSRC2:TIDIG_COMP_CNT: 0
; COMPUTE_PGM_RSRC3_GFX90A:ACCUM_OFFSET: 0
; COMPUTE_PGM_RSRC3_GFX90A:TG_SPLIT: 0
	.section	.text._ZN7rocprim17ROCPRIM_400000_NS6detail17trampoline_kernelINS0_14default_configENS1_20scan_config_selectorIfEEZZNS1_9scan_implILNS1_25lookback_scan_determinismE0ELb1ELb1ES3_N6thrust23THRUST_200600_302600_NS6detail15normal_iteratorINS9_10device_ptrIiEEEENSB_INSC_IfEEEEfNS9_4plusIvEEfEEDaPvRmT3_T4_T5_mT6_P12ihipStream_tbENKUlT_T0_E_clISt17integral_constantIbLb1EESW_EEDaSR_SS_EUlSR_E0_NS1_11comp_targetILNS1_3genE8ELNS1_11target_archE1030ELNS1_3gpuE2ELNS1_3repE0EEENS1_30default_config_static_selectorELNS0_4arch9wavefront6targetE1EEEvT1_,"axG",@progbits,_ZN7rocprim17ROCPRIM_400000_NS6detail17trampoline_kernelINS0_14default_configENS1_20scan_config_selectorIfEEZZNS1_9scan_implILNS1_25lookback_scan_determinismE0ELb1ELb1ES3_N6thrust23THRUST_200600_302600_NS6detail15normal_iteratorINS9_10device_ptrIiEEEENSB_INSC_IfEEEEfNS9_4plusIvEEfEEDaPvRmT3_T4_T5_mT6_P12ihipStream_tbENKUlT_T0_E_clISt17integral_constantIbLb1EESW_EEDaSR_SS_EUlSR_E0_NS1_11comp_targetILNS1_3genE8ELNS1_11target_archE1030ELNS1_3gpuE2ELNS1_3repE0EEENS1_30default_config_static_selectorELNS0_4arch9wavefront6targetE1EEEvT1_,comdat
	.protected	_ZN7rocprim17ROCPRIM_400000_NS6detail17trampoline_kernelINS0_14default_configENS1_20scan_config_selectorIfEEZZNS1_9scan_implILNS1_25lookback_scan_determinismE0ELb1ELb1ES3_N6thrust23THRUST_200600_302600_NS6detail15normal_iteratorINS9_10device_ptrIiEEEENSB_INSC_IfEEEEfNS9_4plusIvEEfEEDaPvRmT3_T4_T5_mT6_P12ihipStream_tbENKUlT_T0_E_clISt17integral_constantIbLb1EESW_EEDaSR_SS_EUlSR_E0_NS1_11comp_targetILNS1_3genE8ELNS1_11target_archE1030ELNS1_3gpuE2ELNS1_3repE0EEENS1_30default_config_static_selectorELNS0_4arch9wavefront6targetE1EEEvT1_ ; -- Begin function _ZN7rocprim17ROCPRIM_400000_NS6detail17trampoline_kernelINS0_14default_configENS1_20scan_config_selectorIfEEZZNS1_9scan_implILNS1_25lookback_scan_determinismE0ELb1ELb1ES3_N6thrust23THRUST_200600_302600_NS6detail15normal_iteratorINS9_10device_ptrIiEEEENSB_INSC_IfEEEEfNS9_4plusIvEEfEEDaPvRmT3_T4_T5_mT6_P12ihipStream_tbENKUlT_T0_E_clISt17integral_constantIbLb1EESW_EEDaSR_SS_EUlSR_E0_NS1_11comp_targetILNS1_3genE8ELNS1_11target_archE1030ELNS1_3gpuE2ELNS1_3repE0EEENS1_30default_config_static_selectorELNS0_4arch9wavefront6targetE1EEEvT1_
	.globl	_ZN7rocprim17ROCPRIM_400000_NS6detail17trampoline_kernelINS0_14default_configENS1_20scan_config_selectorIfEEZZNS1_9scan_implILNS1_25lookback_scan_determinismE0ELb1ELb1ES3_N6thrust23THRUST_200600_302600_NS6detail15normal_iteratorINS9_10device_ptrIiEEEENSB_INSC_IfEEEEfNS9_4plusIvEEfEEDaPvRmT3_T4_T5_mT6_P12ihipStream_tbENKUlT_T0_E_clISt17integral_constantIbLb1EESW_EEDaSR_SS_EUlSR_E0_NS1_11comp_targetILNS1_3genE8ELNS1_11target_archE1030ELNS1_3gpuE2ELNS1_3repE0EEENS1_30default_config_static_selectorELNS0_4arch9wavefront6targetE1EEEvT1_
	.p2align	8
	.type	_ZN7rocprim17ROCPRIM_400000_NS6detail17trampoline_kernelINS0_14default_configENS1_20scan_config_selectorIfEEZZNS1_9scan_implILNS1_25lookback_scan_determinismE0ELb1ELb1ES3_N6thrust23THRUST_200600_302600_NS6detail15normal_iteratorINS9_10device_ptrIiEEEENSB_INSC_IfEEEEfNS9_4plusIvEEfEEDaPvRmT3_T4_T5_mT6_P12ihipStream_tbENKUlT_T0_E_clISt17integral_constantIbLb1EESW_EEDaSR_SS_EUlSR_E0_NS1_11comp_targetILNS1_3genE8ELNS1_11target_archE1030ELNS1_3gpuE2ELNS1_3repE0EEENS1_30default_config_static_selectorELNS0_4arch9wavefront6targetE1EEEvT1_,@function
_ZN7rocprim17ROCPRIM_400000_NS6detail17trampoline_kernelINS0_14default_configENS1_20scan_config_selectorIfEEZZNS1_9scan_implILNS1_25lookback_scan_determinismE0ELb1ELb1ES3_N6thrust23THRUST_200600_302600_NS6detail15normal_iteratorINS9_10device_ptrIiEEEENSB_INSC_IfEEEEfNS9_4plusIvEEfEEDaPvRmT3_T4_T5_mT6_P12ihipStream_tbENKUlT_T0_E_clISt17integral_constantIbLb1EESW_EEDaSR_SS_EUlSR_E0_NS1_11comp_targetILNS1_3genE8ELNS1_11target_archE1030ELNS1_3gpuE2ELNS1_3repE0EEENS1_30default_config_static_selectorELNS0_4arch9wavefront6targetE1EEEvT1_: ; @_ZN7rocprim17ROCPRIM_400000_NS6detail17trampoline_kernelINS0_14default_configENS1_20scan_config_selectorIfEEZZNS1_9scan_implILNS1_25lookback_scan_determinismE0ELb1ELb1ES3_N6thrust23THRUST_200600_302600_NS6detail15normal_iteratorINS9_10device_ptrIiEEEENSB_INSC_IfEEEEfNS9_4plusIvEEfEEDaPvRmT3_T4_T5_mT6_P12ihipStream_tbENKUlT_T0_E_clISt17integral_constantIbLb1EESW_EEDaSR_SS_EUlSR_E0_NS1_11comp_targetILNS1_3genE8ELNS1_11target_archE1030ELNS1_3gpuE2ELNS1_3repE0EEENS1_30default_config_static_selectorELNS0_4arch9wavefront6targetE1EEEvT1_
; %bb.0:
	.section	.rodata,"a",@progbits
	.p2align	6, 0x0
	.amdhsa_kernel _ZN7rocprim17ROCPRIM_400000_NS6detail17trampoline_kernelINS0_14default_configENS1_20scan_config_selectorIfEEZZNS1_9scan_implILNS1_25lookback_scan_determinismE0ELb1ELb1ES3_N6thrust23THRUST_200600_302600_NS6detail15normal_iteratorINS9_10device_ptrIiEEEENSB_INSC_IfEEEEfNS9_4plusIvEEfEEDaPvRmT3_T4_T5_mT6_P12ihipStream_tbENKUlT_T0_E_clISt17integral_constantIbLb1EESW_EEDaSR_SS_EUlSR_E0_NS1_11comp_targetILNS1_3genE8ELNS1_11target_archE1030ELNS1_3gpuE2ELNS1_3repE0EEENS1_30default_config_static_selectorELNS0_4arch9wavefront6targetE1EEEvT1_
		.amdhsa_group_segment_fixed_size 0
		.amdhsa_private_segment_fixed_size 0
		.amdhsa_kernarg_size 32
		.amdhsa_user_sgpr_count 6
		.amdhsa_user_sgpr_private_segment_buffer 1
		.amdhsa_user_sgpr_dispatch_ptr 0
		.amdhsa_user_sgpr_queue_ptr 0
		.amdhsa_user_sgpr_kernarg_segment_ptr 1
		.amdhsa_user_sgpr_dispatch_id 0
		.amdhsa_user_sgpr_flat_scratch_init 0
		.amdhsa_user_sgpr_kernarg_preload_length 0
		.amdhsa_user_sgpr_kernarg_preload_offset 0
		.amdhsa_user_sgpr_private_segment_size 0
		.amdhsa_uses_dynamic_stack 0
		.amdhsa_system_sgpr_private_segment_wavefront_offset 0
		.amdhsa_system_sgpr_workgroup_id_x 1
		.amdhsa_system_sgpr_workgroup_id_y 0
		.amdhsa_system_sgpr_workgroup_id_z 0
		.amdhsa_system_sgpr_workgroup_info 0
		.amdhsa_system_vgpr_workitem_id 0
		.amdhsa_next_free_vgpr 1
		.amdhsa_next_free_sgpr 0
		.amdhsa_accum_offset 4
		.amdhsa_reserve_vcc 0
		.amdhsa_reserve_flat_scratch 0
		.amdhsa_float_round_mode_32 0
		.amdhsa_float_round_mode_16_64 0
		.amdhsa_float_denorm_mode_32 3
		.amdhsa_float_denorm_mode_16_64 3
		.amdhsa_dx10_clamp 1
		.amdhsa_ieee_mode 1
		.amdhsa_fp16_overflow 0
		.amdhsa_tg_split 0
		.amdhsa_exception_fp_ieee_invalid_op 0
		.amdhsa_exception_fp_denorm_src 0
		.amdhsa_exception_fp_ieee_div_zero 0
		.amdhsa_exception_fp_ieee_overflow 0
		.amdhsa_exception_fp_ieee_underflow 0
		.amdhsa_exception_fp_ieee_inexact 0
		.amdhsa_exception_int_div_zero 0
	.end_amdhsa_kernel
	.section	.text._ZN7rocprim17ROCPRIM_400000_NS6detail17trampoline_kernelINS0_14default_configENS1_20scan_config_selectorIfEEZZNS1_9scan_implILNS1_25lookback_scan_determinismE0ELb1ELb1ES3_N6thrust23THRUST_200600_302600_NS6detail15normal_iteratorINS9_10device_ptrIiEEEENSB_INSC_IfEEEEfNS9_4plusIvEEfEEDaPvRmT3_T4_T5_mT6_P12ihipStream_tbENKUlT_T0_E_clISt17integral_constantIbLb1EESW_EEDaSR_SS_EUlSR_E0_NS1_11comp_targetILNS1_3genE8ELNS1_11target_archE1030ELNS1_3gpuE2ELNS1_3repE0EEENS1_30default_config_static_selectorELNS0_4arch9wavefront6targetE1EEEvT1_,"axG",@progbits,_ZN7rocprim17ROCPRIM_400000_NS6detail17trampoline_kernelINS0_14default_configENS1_20scan_config_selectorIfEEZZNS1_9scan_implILNS1_25lookback_scan_determinismE0ELb1ELb1ES3_N6thrust23THRUST_200600_302600_NS6detail15normal_iteratorINS9_10device_ptrIiEEEENSB_INSC_IfEEEEfNS9_4plusIvEEfEEDaPvRmT3_T4_T5_mT6_P12ihipStream_tbENKUlT_T0_E_clISt17integral_constantIbLb1EESW_EEDaSR_SS_EUlSR_E0_NS1_11comp_targetILNS1_3genE8ELNS1_11target_archE1030ELNS1_3gpuE2ELNS1_3repE0EEENS1_30default_config_static_selectorELNS0_4arch9wavefront6targetE1EEEvT1_,comdat
.Lfunc_end1749:
	.size	_ZN7rocprim17ROCPRIM_400000_NS6detail17trampoline_kernelINS0_14default_configENS1_20scan_config_selectorIfEEZZNS1_9scan_implILNS1_25lookback_scan_determinismE0ELb1ELb1ES3_N6thrust23THRUST_200600_302600_NS6detail15normal_iteratorINS9_10device_ptrIiEEEENSB_INSC_IfEEEEfNS9_4plusIvEEfEEDaPvRmT3_T4_T5_mT6_P12ihipStream_tbENKUlT_T0_E_clISt17integral_constantIbLb1EESW_EEDaSR_SS_EUlSR_E0_NS1_11comp_targetILNS1_3genE8ELNS1_11target_archE1030ELNS1_3gpuE2ELNS1_3repE0EEENS1_30default_config_static_selectorELNS0_4arch9wavefront6targetE1EEEvT1_, .Lfunc_end1749-_ZN7rocprim17ROCPRIM_400000_NS6detail17trampoline_kernelINS0_14default_configENS1_20scan_config_selectorIfEEZZNS1_9scan_implILNS1_25lookback_scan_determinismE0ELb1ELb1ES3_N6thrust23THRUST_200600_302600_NS6detail15normal_iteratorINS9_10device_ptrIiEEEENSB_INSC_IfEEEEfNS9_4plusIvEEfEEDaPvRmT3_T4_T5_mT6_P12ihipStream_tbENKUlT_T0_E_clISt17integral_constantIbLb1EESW_EEDaSR_SS_EUlSR_E0_NS1_11comp_targetILNS1_3genE8ELNS1_11target_archE1030ELNS1_3gpuE2ELNS1_3repE0EEENS1_30default_config_static_selectorELNS0_4arch9wavefront6targetE1EEEvT1_
                                        ; -- End function
	.section	.AMDGPU.csdata,"",@progbits
; Kernel info:
; codeLenInByte = 0
; NumSgprs: 4
; NumVgprs: 0
; NumAgprs: 0
; TotalNumVgprs: 0
; ScratchSize: 0
; MemoryBound: 0
; FloatMode: 240
; IeeeMode: 1
; LDSByteSize: 0 bytes/workgroup (compile time only)
; SGPRBlocks: 0
; VGPRBlocks: 0
; NumSGPRsForWavesPerEU: 4
; NumVGPRsForWavesPerEU: 1
; AccumOffset: 4
; Occupancy: 8
; WaveLimiterHint : 0
; COMPUTE_PGM_RSRC2:SCRATCH_EN: 0
; COMPUTE_PGM_RSRC2:USER_SGPR: 6
; COMPUTE_PGM_RSRC2:TRAP_HANDLER: 0
; COMPUTE_PGM_RSRC2:TGID_X_EN: 1
; COMPUTE_PGM_RSRC2:TGID_Y_EN: 0
; COMPUTE_PGM_RSRC2:TGID_Z_EN: 0
; COMPUTE_PGM_RSRC2:TIDIG_COMP_CNT: 0
; COMPUTE_PGM_RSRC3_GFX90A:ACCUM_OFFSET: 0
; COMPUTE_PGM_RSRC3_GFX90A:TG_SPLIT: 0
	.section	.text._ZN7rocprim17ROCPRIM_400000_NS6detail17trampoline_kernelINS0_14default_configENS1_20scan_config_selectorIfEEZZNS1_9scan_implILNS1_25lookback_scan_determinismE0ELb1ELb1ES3_N6thrust23THRUST_200600_302600_NS6detail15normal_iteratorINS9_10device_ptrIiEEEENSB_INSC_IfEEEEfNS9_4plusIvEEfEEDaPvRmT3_T4_T5_mT6_P12ihipStream_tbENKUlT_T0_E_clISt17integral_constantIbLb1EESV_IbLb0EEEEDaSR_SS_EUlSR_E_NS1_11comp_targetILNS1_3genE0ELNS1_11target_archE4294967295ELNS1_3gpuE0ELNS1_3repE0EEENS1_30default_config_static_selectorELNS0_4arch9wavefront6targetE1EEEvT1_,"axG",@progbits,_ZN7rocprim17ROCPRIM_400000_NS6detail17trampoline_kernelINS0_14default_configENS1_20scan_config_selectorIfEEZZNS1_9scan_implILNS1_25lookback_scan_determinismE0ELb1ELb1ES3_N6thrust23THRUST_200600_302600_NS6detail15normal_iteratorINS9_10device_ptrIiEEEENSB_INSC_IfEEEEfNS9_4plusIvEEfEEDaPvRmT3_T4_T5_mT6_P12ihipStream_tbENKUlT_T0_E_clISt17integral_constantIbLb1EESV_IbLb0EEEEDaSR_SS_EUlSR_E_NS1_11comp_targetILNS1_3genE0ELNS1_11target_archE4294967295ELNS1_3gpuE0ELNS1_3repE0EEENS1_30default_config_static_selectorELNS0_4arch9wavefront6targetE1EEEvT1_,comdat
	.protected	_ZN7rocprim17ROCPRIM_400000_NS6detail17trampoline_kernelINS0_14default_configENS1_20scan_config_selectorIfEEZZNS1_9scan_implILNS1_25lookback_scan_determinismE0ELb1ELb1ES3_N6thrust23THRUST_200600_302600_NS6detail15normal_iteratorINS9_10device_ptrIiEEEENSB_INSC_IfEEEEfNS9_4plusIvEEfEEDaPvRmT3_T4_T5_mT6_P12ihipStream_tbENKUlT_T0_E_clISt17integral_constantIbLb1EESV_IbLb0EEEEDaSR_SS_EUlSR_E_NS1_11comp_targetILNS1_3genE0ELNS1_11target_archE4294967295ELNS1_3gpuE0ELNS1_3repE0EEENS1_30default_config_static_selectorELNS0_4arch9wavefront6targetE1EEEvT1_ ; -- Begin function _ZN7rocprim17ROCPRIM_400000_NS6detail17trampoline_kernelINS0_14default_configENS1_20scan_config_selectorIfEEZZNS1_9scan_implILNS1_25lookback_scan_determinismE0ELb1ELb1ES3_N6thrust23THRUST_200600_302600_NS6detail15normal_iteratorINS9_10device_ptrIiEEEENSB_INSC_IfEEEEfNS9_4plusIvEEfEEDaPvRmT3_T4_T5_mT6_P12ihipStream_tbENKUlT_T0_E_clISt17integral_constantIbLb1EESV_IbLb0EEEEDaSR_SS_EUlSR_E_NS1_11comp_targetILNS1_3genE0ELNS1_11target_archE4294967295ELNS1_3gpuE0ELNS1_3repE0EEENS1_30default_config_static_selectorELNS0_4arch9wavefront6targetE1EEEvT1_
	.globl	_ZN7rocprim17ROCPRIM_400000_NS6detail17trampoline_kernelINS0_14default_configENS1_20scan_config_selectorIfEEZZNS1_9scan_implILNS1_25lookback_scan_determinismE0ELb1ELb1ES3_N6thrust23THRUST_200600_302600_NS6detail15normal_iteratorINS9_10device_ptrIiEEEENSB_INSC_IfEEEEfNS9_4plusIvEEfEEDaPvRmT3_T4_T5_mT6_P12ihipStream_tbENKUlT_T0_E_clISt17integral_constantIbLb1EESV_IbLb0EEEEDaSR_SS_EUlSR_E_NS1_11comp_targetILNS1_3genE0ELNS1_11target_archE4294967295ELNS1_3gpuE0ELNS1_3repE0EEENS1_30default_config_static_selectorELNS0_4arch9wavefront6targetE1EEEvT1_
	.p2align	8
	.type	_ZN7rocprim17ROCPRIM_400000_NS6detail17trampoline_kernelINS0_14default_configENS1_20scan_config_selectorIfEEZZNS1_9scan_implILNS1_25lookback_scan_determinismE0ELb1ELb1ES3_N6thrust23THRUST_200600_302600_NS6detail15normal_iteratorINS9_10device_ptrIiEEEENSB_INSC_IfEEEEfNS9_4plusIvEEfEEDaPvRmT3_T4_T5_mT6_P12ihipStream_tbENKUlT_T0_E_clISt17integral_constantIbLb1EESV_IbLb0EEEEDaSR_SS_EUlSR_E_NS1_11comp_targetILNS1_3genE0ELNS1_11target_archE4294967295ELNS1_3gpuE0ELNS1_3repE0EEENS1_30default_config_static_selectorELNS0_4arch9wavefront6targetE1EEEvT1_,@function
_ZN7rocprim17ROCPRIM_400000_NS6detail17trampoline_kernelINS0_14default_configENS1_20scan_config_selectorIfEEZZNS1_9scan_implILNS1_25lookback_scan_determinismE0ELb1ELb1ES3_N6thrust23THRUST_200600_302600_NS6detail15normal_iteratorINS9_10device_ptrIiEEEENSB_INSC_IfEEEEfNS9_4plusIvEEfEEDaPvRmT3_T4_T5_mT6_P12ihipStream_tbENKUlT_T0_E_clISt17integral_constantIbLb1EESV_IbLb0EEEEDaSR_SS_EUlSR_E_NS1_11comp_targetILNS1_3genE0ELNS1_11target_archE4294967295ELNS1_3gpuE0ELNS1_3repE0EEENS1_30default_config_static_selectorELNS0_4arch9wavefront6targetE1EEEvT1_: ; @_ZN7rocprim17ROCPRIM_400000_NS6detail17trampoline_kernelINS0_14default_configENS1_20scan_config_selectorIfEEZZNS1_9scan_implILNS1_25lookback_scan_determinismE0ELb1ELb1ES3_N6thrust23THRUST_200600_302600_NS6detail15normal_iteratorINS9_10device_ptrIiEEEENSB_INSC_IfEEEEfNS9_4plusIvEEfEEDaPvRmT3_T4_T5_mT6_P12ihipStream_tbENKUlT_T0_E_clISt17integral_constantIbLb1EESV_IbLb0EEEEDaSR_SS_EUlSR_E_NS1_11comp_targetILNS1_3genE0ELNS1_11target_archE4294967295ELNS1_3gpuE0ELNS1_3repE0EEENS1_30default_config_static_selectorELNS0_4arch9wavefront6targetE1EEEvT1_
; %bb.0:
	.section	.rodata,"a",@progbits
	.p2align	6, 0x0
	.amdhsa_kernel _ZN7rocprim17ROCPRIM_400000_NS6detail17trampoline_kernelINS0_14default_configENS1_20scan_config_selectorIfEEZZNS1_9scan_implILNS1_25lookback_scan_determinismE0ELb1ELb1ES3_N6thrust23THRUST_200600_302600_NS6detail15normal_iteratorINS9_10device_ptrIiEEEENSB_INSC_IfEEEEfNS9_4plusIvEEfEEDaPvRmT3_T4_T5_mT6_P12ihipStream_tbENKUlT_T0_E_clISt17integral_constantIbLb1EESV_IbLb0EEEEDaSR_SS_EUlSR_E_NS1_11comp_targetILNS1_3genE0ELNS1_11target_archE4294967295ELNS1_3gpuE0ELNS1_3repE0EEENS1_30default_config_static_selectorELNS0_4arch9wavefront6targetE1EEEvT1_
		.amdhsa_group_segment_fixed_size 0
		.amdhsa_private_segment_fixed_size 0
		.amdhsa_kernarg_size 96
		.amdhsa_user_sgpr_count 6
		.amdhsa_user_sgpr_private_segment_buffer 1
		.amdhsa_user_sgpr_dispatch_ptr 0
		.amdhsa_user_sgpr_queue_ptr 0
		.amdhsa_user_sgpr_kernarg_segment_ptr 1
		.amdhsa_user_sgpr_dispatch_id 0
		.amdhsa_user_sgpr_flat_scratch_init 0
		.amdhsa_user_sgpr_kernarg_preload_length 0
		.amdhsa_user_sgpr_kernarg_preload_offset 0
		.amdhsa_user_sgpr_private_segment_size 0
		.amdhsa_uses_dynamic_stack 0
		.amdhsa_system_sgpr_private_segment_wavefront_offset 0
		.amdhsa_system_sgpr_workgroup_id_x 1
		.amdhsa_system_sgpr_workgroup_id_y 0
		.amdhsa_system_sgpr_workgroup_id_z 0
		.amdhsa_system_sgpr_workgroup_info 0
		.amdhsa_system_vgpr_workitem_id 0
		.amdhsa_next_free_vgpr 1
		.amdhsa_next_free_sgpr 0
		.amdhsa_accum_offset 4
		.amdhsa_reserve_vcc 0
		.amdhsa_reserve_flat_scratch 0
		.amdhsa_float_round_mode_32 0
		.amdhsa_float_round_mode_16_64 0
		.amdhsa_float_denorm_mode_32 3
		.amdhsa_float_denorm_mode_16_64 3
		.amdhsa_dx10_clamp 1
		.amdhsa_ieee_mode 1
		.amdhsa_fp16_overflow 0
		.amdhsa_tg_split 0
		.amdhsa_exception_fp_ieee_invalid_op 0
		.amdhsa_exception_fp_denorm_src 0
		.amdhsa_exception_fp_ieee_div_zero 0
		.amdhsa_exception_fp_ieee_overflow 0
		.amdhsa_exception_fp_ieee_underflow 0
		.amdhsa_exception_fp_ieee_inexact 0
		.amdhsa_exception_int_div_zero 0
	.end_amdhsa_kernel
	.section	.text._ZN7rocprim17ROCPRIM_400000_NS6detail17trampoline_kernelINS0_14default_configENS1_20scan_config_selectorIfEEZZNS1_9scan_implILNS1_25lookback_scan_determinismE0ELb1ELb1ES3_N6thrust23THRUST_200600_302600_NS6detail15normal_iteratorINS9_10device_ptrIiEEEENSB_INSC_IfEEEEfNS9_4plusIvEEfEEDaPvRmT3_T4_T5_mT6_P12ihipStream_tbENKUlT_T0_E_clISt17integral_constantIbLb1EESV_IbLb0EEEEDaSR_SS_EUlSR_E_NS1_11comp_targetILNS1_3genE0ELNS1_11target_archE4294967295ELNS1_3gpuE0ELNS1_3repE0EEENS1_30default_config_static_selectorELNS0_4arch9wavefront6targetE1EEEvT1_,"axG",@progbits,_ZN7rocprim17ROCPRIM_400000_NS6detail17trampoline_kernelINS0_14default_configENS1_20scan_config_selectorIfEEZZNS1_9scan_implILNS1_25lookback_scan_determinismE0ELb1ELb1ES3_N6thrust23THRUST_200600_302600_NS6detail15normal_iteratorINS9_10device_ptrIiEEEENSB_INSC_IfEEEEfNS9_4plusIvEEfEEDaPvRmT3_T4_T5_mT6_P12ihipStream_tbENKUlT_T0_E_clISt17integral_constantIbLb1EESV_IbLb0EEEEDaSR_SS_EUlSR_E_NS1_11comp_targetILNS1_3genE0ELNS1_11target_archE4294967295ELNS1_3gpuE0ELNS1_3repE0EEENS1_30default_config_static_selectorELNS0_4arch9wavefront6targetE1EEEvT1_,comdat
.Lfunc_end1750:
	.size	_ZN7rocprim17ROCPRIM_400000_NS6detail17trampoline_kernelINS0_14default_configENS1_20scan_config_selectorIfEEZZNS1_9scan_implILNS1_25lookback_scan_determinismE0ELb1ELb1ES3_N6thrust23THRUST_200600_302600_NS6detail15normal_iteratorINS9_10device_ptrIiEEEENSB_INSC_IfEEEEfNS9_4plusIvEEfEEDaPvRmT3_T4_T5_mT6_P12ihipStream_tbENKUlT_T0_E_clISt17integral_constantIbLb1EESV_IbLb0EEEEDaSR_SS_EUlSR_E_NS1_11comp_targetILNS1_3genE0ELNS1_11target_archE4294967295ELNS1_3gpuE0ELNS1_3repE0EEENS1_30default_config_static_selectorELNS0_4arch9wavefront6targetE1EEEvT1_, .Lfunc_end1750-_ZN7rocprim17ROCPRIM_400000_NS6detail17trampoline_kernelINS0_14default_configENS1_20scan_config_selectorIfEEZZNS1_9scan_implILNS1_25lookback_scan_determinismE0ELb1ELb1ES3_N6thrust23THRUST_200600_302600_NS6detail15normal_iteratorINS9_10device_ptrIiEEEENSB_INSC_IfEEEEfNS9_4plusIvEEfEEDaPvRmT3_T4_T5_mT6_P12ihipStream_tbENKUlT_T0_E_clISt17integral_constantIbLb1EESV_IbLb0EEEEDaSR_SS_EUlSR_E_NS1_11comp_targetILNS1_3genE0ELNS1_11target_archE4294967295ELNS1_3gpuE0ELNS1_3repE0EEENS1_30default_config_static_selectorELNS0_4arch9wavefront6targetE1EEEvT1_
                                        ; -- End function
	.section	.AMDGPU.csdata,"",@progbits
; Kernel info:
; codeLenInByte = 0
; NumSgprs: 4
; NumVgprs: 0
; NumAgprs: 0
; TotalNumVgprs: 0
; ScratchSize: 0
; MemoryBound: 0
; FloatMode: 240
; IeeeMode: 1
; LDSByteSize: 0 bytes/workgroup (compile time only)
; SGPRBlocks: 0
; VGPRBlocks: 0
; NumSGPRsForWavesPerEU: 4
; NumVGPRsForWavesPerEU: 1
; AccumOffset: 4
; Occupancy: 8
; WaveLimiterHint : 0
; COMPUTE_PGM_RSRC2:SCRATCH_EN: 0
; COMPUTE_PGM_RSRC2:USER_SGPR: 6
; COMPUTE_PGM_RSRC2:TRAP_HANDLER: 0
; COMPUTE_PGM_RSRC2:TGID_X_EN: 1
; COMPUTE_PGM_RSRC2:TGID_Y_EN: 0
; COMPUTE_PGM_RSRC2:TGID_Z_EN: 0
; COMPUTE_PGM_RSRC2:TIDIG_COMP_CNT: 0
; COMPUTE_PGM_RSRC3_GFX90A:ACCUM_OFFSET: 0
; COMPUTE_PGM_RSRC3_GFX90A:TG_SPLIT: 0
	.section	.text._ZN7rocprim17ROCPRIM_400000_NS6detail17trampoline_kernelINS0_14default_configENS1_20scan_config_selectorIfEEZZNS1_9scan_implILNS1_25lookback_scan_determinismE0ELb1ELb1ES3_N6thrust23THRUST_200600_302600_NS6detail15normal_iteratorINS9_10device_ptrIiEEEENSB_INSC_IfEEEEfNS9_4plusIvEEfEEDaPvRmT3_T4_T5_mT6_P12ihipStream_tbENKUlT_T0_E_clISt17integral_constantIbLb1EESV_IbLb0EEEEDaSR_SS_EUlSR_E_NS1_11comp_targetILNS1_3genE5ELNS1_11target_archE942ELNS1_3gpuE9ELNS1_3repE0EEENS1_30default_config_static_selectorELNS0_4arch9wavefront6targetE1EEEvT1_,"axG",@progbits,_ZN7rocprim17ROCPRIM_400000_NS6detail17trampoline_kernelINS0_14default_configENS1_20scan_config_selectorIfEEZZNS1_9scan_implILNS1_25lookback_scan_determinismE0ELb1ELb1ES3_N6thrust23THRUST_200600_302600_NS6detail15normal_iteratorINS9_10device_ptrIiEEEENSB_INSC_IfEEEEfNS9_4plusIvEEfEEDaPvRmT3_T4_T5_mT6_P12ihipStream_tbENKUlT_T0_E_clISt17integral_constantIbLb1EESV_IbLb0EEEEDaSR_SS_EUlSR_E_NS1_11comp_targetILNS1_3genE5ELNS1_11target_archE942ELNS1_3gpuE9ELNS1_3repE0EEENS1_30default_config_static_selectorELNS0_4arch9wavefront6targetE1EEEvT1_,comdat
	.protected	_ZN7rocprim17ROCPRIM_400000_NS6detail17trampoline_kernelINS0_14default_configENS1_20scan_config_selectorIfEEZZNS1_9scan_implILNS1_25lookback_scan_determinismE0ELb1ELb1ES3_N6thrust23THRUST_200600_302600_NS6detail15normal_iteratorINS9_10device_ptrIiEEEENSB_INSC_IfEEEEfNS9_4plusIvEEfEEDaPvRmT3_T4_T5_mT6_P12ihipStream_tbENKUlT_T0_E_clISt17integral_constantIbLb1EESV_IbLb0EEEEDaSR_SS_EUlSR_E_NS1_11comp_targetILNS1_3genE5ELNS1_11target_archE942ELNS1_3gpuE9ELNS1_3repE0EEENS1_30default_config_static_selectorELNS0_4arch9wavefront6targetE1EEEvT1_ ; -- Begin function _ZN7rocprim17ROCPRIM_400000_NS6detail17trampoline_kernelINS0_14default_configENS1_20scan_config_selectorIfEEZZNS1_9scan_implILNS1_25lookback_scan_determinismE0ELb1ELb1ES3_N6thrust23THRUST_200600_302600_NS6detail15normal_iteratorINS9_10device_ptrIiEEEENSB_INSC_IfEEEEfNS9_4plusIvEEfEEDaPvRmT3_T4_T5_mT6_P12ihipStream_tbENKUlT_T0_E_clISt17integral_constantIbLb1EESV_IbLb0EEEEDaSR_SS_EUlSR_E_NS1_11comp_targetILNS1_3genE5ELNS1_11target_archE942ELNS1_3gpuE9ELNS1_3repE0EEENS1_30default_config_static_selectorELNS0_4arch9wavefront6targetE1EEEvT1_
	.globl	_ZN7rocprim17ROCPRIM_400000_NS6detail17trampoline_kernelINS0_14default_configENS1_20scan_config_selectorIfEEZZNS1_9scan_implILNS1_25lookback_scan_determinismE0ELb1ELb1ES3_N6thrust23THRUST_200600_302600_NS6detail15normal_iteratorINS9_10device_ptrIiEEEENSB_INSC_IfEEEEfNS9_4plusIvEEfEEDaPvRmT3_T4_T5_mT6_P12ihipStream_tbENKUlT_T0_E_clISt17integral_constantIbLb1EESV_IbLb0EEEEDaSR_SS_EUlSR_E_NS1_11comp_targetILNS1_3genE5ELNS1_11target_archE942ELNS1_3gpuE9ELNS1_3repE0EEENS1_30default_config_static_selectorELNS0_4arch9wavefront6targetE1EEEvT1_
	.p2align	8
	.type	_ZN7rocprim17ROCPRIM_400000_NS6detail17trampoline_kernelINS0_14default_configENS1_20scan_config_selectorIfEEZZNS1_9scan_implILNS1_25lookback_scan_determinismE0ELb1ELb1ES3_N6thrust23THRUST_200600_302600_NS6detail15normal_iteratorINS9_10device_ptrIiEEEENSB_INSC_IfEEEEfNS9_4plusIvEEfEEDaPvRmT3_T4_T5_mT6_P12ihipStream_tbENKUlT_T0_E_clISt17integral_constantIbLb1EESV_IbLb0EEEEDaSR_SS_EUlSR_E_NS1_11comp_targetILNS1_3genE5ELNS1_11target_archE942ELNS1_3gpuE9ELNS1_3repE0EEENS1_30default_config_static_selectorELNS0_4arch9wavefront6targetE1EEEvT1_,@function
_ZN7rocprim17ROCPRIM_400000_NS6detail17trampoline_kernelINS0_14default_configENS1_20scan_config_selectorIfEEZZNS1_9scan_implILNS1_25lookback_scan_determinismE0ELb1ELb1ES3_N6thrust23THRUST_200600_302600_NS6detail15normal_iteratorINS9_10device_ptrIiEEEENSB_INSC_IfEEEEfNS9_4plusIvEEfEEDaPvRmT3_T4_T5_mT6_P12ihipStream_tbENKUlT_T0_E_clISt17integral_constantIbLb1EESV_IbLb0EEEEDaSR_SS_EUlSR_E_NS1_11comp_targetILNS1_3genE5ELNS1_11target_archE942ELNS1_3gpuE9ELNS1_3repE0EEENS1_30default_config_static_selectorELNS0_4arch9wavefront6targetE1EEEvT1_: ; @_ZN7rocprim17ROCPRIM_400000_NS6detail17trampoline_kernelINS0_14default_configENS1_20scan_config_selectorIfEEZZNS1_9scan_implILNS1_25lookback_scan_determinismE0ELb1ELb1ES3_N6thrust23THRUST_200600_302600_NS6detail15normal_iteratorINS9_10device_ptrIiEEEENSB_INSC_IfEEEEfNS9_4plusIvEEfEEDaPvRmT3_T4_T5_mT6_P12ihipStream_tbENKUlT_T0_E_clISt17integral_constantIbLb1EESV_IbLb0EEEEDaSR_SS_EUlSR_E_NS1_11comp_targetILNS1_3genE5ELNS1_11target_archE942ELNS1_3gpuE9ELNS1_3repE0EEENS1_30default_config_static_selectorELNS0_4arch9wavefront6targetE1EEEvT1_
; %bb.0:
	.section	.rodata,"a",@progbits
	.p2align	6, 0x0
	.amdhsa_kernel _ZN7rocprim17ROCPRIM_400000_NS6detail17trampoline_kernelINS0_14default_configENS1_20scan_config_selectorIfEEZZNS1_9scan_implILNS1_25lookback_scan_determinismE0ELb1ELb1ES3_N6thrust23THRUST_200600_302600_NS6detail15normal_iteratorINS9_10device_ptrIiEEEENSB_INSC_IfEEEEfNS9_4plusIvEEfEEDaPvRmT3_T4_T5_mT6_P12ihipStream_tbENKUlT_T0_E_clISt17integral_constantIbLb1EESV_IbLb0EEEEDaSR_SS_EUlSR_E_NS1_11comp_targetILNS1_3genE5ELNS1_11target_archE942ELNS1_3gpuE9ELNS1_3repE0EEENS1_30default_config_static_selectorELNS0_4arch9wavefront6targetE1EEEvT1_
		.amdhsa_group_segment_fixed_size 0
		.amdhsa_private_segment_fixed_size 0
		.amdhsa_kernarg_size 96
		.amdhsa_user_sgpr_count 6
		.amdhsa_user_sgpr_private_segment_buffer 1
		.amdhsa_user_sgpr_dispatch_ptr 0
		.amdhsa_user_sgpr_queue_ptr 0
		.amdhsa_user_sgpr_kernarg_segment_ptr 1
		.amdhsa_user_sgpr_dispatch_id 0
		.amdhsa_user_sgpr_flat_scratch_init 0
		.amdhsa_user_sgpr_kernarg_preload_length 0
		.amdhsa_user_sgpr_kernarg_preload_offset 0
		.amdhsa_user_sgpr_private_segment_size 0
		.amdhsa_uses_dynamic_stack 0
		.amdhsa_system_sgpr_private_segment_wavefront_offset 0
		.amdhsa_system_sgpr_workgroup_id_x 1
		.amdhsa_system_sgpr_workgroup_id_y 0
		.amdhsa_system_sgpr_workgroup_id_z 0
		.amdhsa_system_sgpr_workgroup_info 0
		.amdhsa_system_vgpr_workitem_id 0
		.amdhsa_next_free_vgpr 1
		.amdhsa_next_free_sgpr 0
		.amdhsa_accum_offset 4
		.amdhsa_reserve_vcc 0
		.amdhsa_reserve_flat_scratch 0
		.amdhsa_float_round_mode_32 0
		.amdhsa_float_round_mode_16_64 0
		.amdhsa_float_denorm_mode_32 3
		.amdhsa_float_denorm_mode_16_64 3
		.amdhsa_dx10_clamp 1
		.amdhsa_ieee_mode 1
		.amdhsa_fp16_overflow 0
		.amdhsa_tg_split 0
		.amdhsa_exception_fp_ieee_invalid_op 0
		.amdhsa_exception_fp_denorm_src 0
		.amdhsa_exception_fp_ieee_div_zero 0
		.amdhsa_exception_fp_ieee_overflow 0
		.amdhsa_exception_fp_ieee_underflow 0
		.amdhsa_exception_fp_ieee_inexact 0
		.amdhsa_exception_int_div_zero 0
	.end_amdhsa_kernel
	.section	.text._ZN7rocprim17ROCPRIM_400000_NS6detail17trampoline_kernelINS0_14default_configENS1_20scan_config_selectorIfEEZZNS1_9scan_implILNS1_25lookback_scan_determinismE0ELb1ELb1ES3_N6thrust23THRUST_200600_302600_NS6detail15normal_iteratorINS9_10device_ptrIiEEEENSB_INSC_IfEEEEfNS9_4plusIvEEfEEDaPvRmT3_T4_T5_mT6_P12ihipStream_tbENKUlT_T0_E_clISt17integral_constantIbLb1EESV_IbLb0EEEEDaSR_SS_EUlSR_E_NS1_11comp_targetILNS1_3genE5ELNS1_11target_archE942ELNS1_3gpuE9ELNS1_3repE0EEENS1_30default_config_static_selectorELNS0_4arch9wavefront6targetE1EEEvT1_,"axG",@progbits,_ZN7rocprim17ROCPRIM_400000_NS6detail17trampoline_kernelINS0_14default_configENS1_20scan_config_selectorIfEEZZNS1_9scan_implILNS1_25lookback_scan_determinismE0ELb1ELb1ES3_N6thrust23THRUST_200600_302600_NS6detail15normal_iteratorINS9_10device_ptrIiEEEENSB_INSC_IfEEEEfNS9_4plusIvEEfEEDaPvRmT3_T4_T5_mT6_P12ihipStream_tbENKUlT_T0_E_clISt17integral_constantIbLb1EESV_IbLb0EEEEDaSR_SS_EUlSR_E_NS1_11comp_targetILNS1_3genE5ELNS1_11target_archE942ELNS1_3gpuE9ELNS1_3repE0EEENS1_30default_config_static_selectorELNS0_4arch9wavefront6targetE1EEEvT1_,comdat
.Lfunc_end1751:
	.size	_ZN7rocprim17ROCPRIM_400000_NS6detail17trampoline_kernelINS0_14default_configENS1_20scan_config_selectorIfEEZZNS1_9scan_implILNS1_25lookback_scan_determinismE0ELb1ELb1ES3_N6thrust23THRUST_200600_302600_NS6detail15normal_iteratorINS9_10device_ptrIiEEEENSB_INSC_IfEEEEfNS9_4plusIvEEfEEDaPvRmT3_T4_T5_mT6_P12ihipStream_tbENKUlT_T0_E_clISt17integral_constantIbLb1EESV_IbLb0EEEEDaSR_SS_EUlSR_E_NS1_11comp_targetILNS1_3genE5ELNS1_11target_archE942ELNS1_3gpuE9ELNS1_3repE0EEENS1_30default_config_static_selectorELNS0_4arch9wavefront6targetE1EEEvT1_, .Lfunc_end1751-_ZN7rocprim17ROCPRIM_400000_NS6detail17trampoline_kernelINS0_14default_configENS1_20scan_config_selectorIfEEZZNS1_9scan_implILNS1_25lookback_scan_determinismE0ELb1ELb1ES3_N6thrust23THRUST_200600_302600_NS6detail15normal_iteratorINS9_10device_ptrIiEEEENSB_INSC_IfEEEEfNS9_4plusIvEEfEEDaPvRmT3_T4_T5_mT6_P12ihipStream_tbENKUlT_T0_E_clISt17integral_constantIbLb1EESV_IbLb0EEEEDaSR_SS_EUlSR_E_NS1_11comp_targetILNS1_3genE5ELNS1_11target_archE942ELNS1_3gpuE9ELNS1_3repE0EEENS1_30default_config_static_selectorELNS0_4arch9wavefront6targetE1EEEvT1_
                                        ; -- End function
	.section	.AMDGPU.csdata,"",@progbits
; Kernel info:
; codeLenInByte = 0
; NumSgprs: 4
; NumVgprs: 0
; NumAgprs: 0
; TotalNumVgprs: 0
; ScratchSize: 0
; MemoryBound: 0
; FloatMode: 240
; IeeeMode: 1
; LDSByteSize: 0 bytes/workgroup (compile time only)
; SGPRBlocks: 0
; VGPRBlocks: 0
; NumSGPRsForWavesPerEU: 4
; NumVGPRsForWavesPerEU: 1
; AccumOffset: 4
; Occupancy: 8
; WaveLimiterHint : 0
; COMPUTE_PGM_RSRC2:SCRATCH_EN: 0
; COMPUTE_PGM_RSRC2:USER_SGPR: 6
; COMPUTE_PGM_RSRC2:TRAP_HANDLER: 0
; COMPUTE_PGM_RSRC2:TGID_X_EN: 1
; COMPUTE_PGM_RSRC2:TGID_Y_EN: 0
; COMPUTE_PGM_RSRC2:TGID_Z_EN: 0
; COMPUTE_PGM_RSRC2:TIDIG_COMP_CNT: 0
; COMPUTE_PGM_RSRC3_GFX90A:ACCUM_OFFSET: 0
; COMPUTE_PGM_RSRC3_GFX90A:TG_SPLIT: 0
	.section	.text._ZN7rocprim17ROCPRIM_400000_NS6detail17trampoline_kernelINS0_14default_configENS1_20scan_config_selectorIfEEZZNS1_9scan_implILNS1_25lookback_scan_determinismE0ELb1ELb1ES3_N6thrust23THRUST_200600_302600_NS6detail15normal_iteratorINS9_10device_ptrIiEEEENSB_INSC_IfEEEEfNS9_4plusIvEEfEEDaPvRmT3_T4_T5_mT6_P12ihipStream_tbENKUlT_T0_E_clISt17integral_constantIbLb1EESV_IbLb0EEEEDaSR_SS_EUlSR_E_NS1_11comp_targetILNS1_3genE4ELNS1_11target_archE910ELNS1_3gpuE8ELNS1_3repE0EEENS1_30default_config_static_selectorELNS0_4arch9wavefront6targetE1EEEvT1_,"axG",@progbits,_ZN7rocprim17ROCPRIM_400000_NS6detail17trampoline_kernelINS0_14default_configENS1_20scan_config_selectorIfEEZZNS1_9scan_implILNS1_25lookback_scan_determinismE0ELb1ELb1ES3_N6thrust23THRUST_200600_302600_NS6detail15normal_iteratorINS9_10device_ptrIiEEEENSB_INSC_IfEEEEfNS9_4plusIvEEfEEDaPvRmT3_T4_T5_mT6_P12ihipStream_tbENKUlT_T0_E_clISt17integral_constantIbLb1EESV_IbLb0EEEEDaSR_SS_EUlSR_E_NS1_11comp_targetILNS1_3genE4ELNS1_11target_archE910ELNS1_3gpuE8ELNS1_3repE0EEENS1_30default_config_static_selectorELNS0_4arch9wavefront6targetE1EEEvT1_,comdat
	.protected	_ZN7rocprim17ROCPRIM_400000_NS6detail17trampoline_kernelINS0_14default_configENS1_20scan_config_selectorIfEEZZNS1_9scan_implILNS1_25lookback_scan_determinismE0ELb1ELb1ES3_N6thrust23THRUST_200600_302600_NS6detail15normal_iteratorINS9_10device_ptrIiEEEENSB_INSC_IfEEEEfNS9_4plusIvEEfEEDaPvRmT3_T4_T5_mT6_P12ihipStream_tbENKUlT_T0_E_clISt17integral_constantIbLb1EESV_IbLb0EEEEDaSR_SS_EUlSR_E_NS1_11comp_targetILNS1_3genE4ELNS1_11target_archE910ELNS1_3gpuE8ELNS1_3repE0EEENS1_30default_config_static_selectorELNS0_4arch9wavefront6targetE1EEEvT1_ ; -- Begin function _ZN7rocprim17ROCPRIM_400000_NS6detail17trampoline_kernelINS0_14default_configENS1_20scan_config_selectorIfEEZZNS1_9scan_implILNS1_25lookback_scan_determinismE0ELb1ELb1ES3_N6thrust23THRUST_200600_302600_NS6detail15normal_iteratorINS9_10device_ptrIiEEEENSB_INSC_IfEEEEfNS9_4plusIvEEfEEDaPvRmT3_T4_T5_mT6_P12ihipStream_tbENKUlT_T0_E_clISt17integral_constantIbLb1EESV_IbLb0EEEEDaSR_SS_EUlSR_E_NS1_11comp_targetILNS1_3genE4ELNS1_11target_archE910ELNS1_3gpuE8ELNS1_3repE0EEENS1_30default_config_static_selectorELNS0_4arch9wavefront6targetE1EEEvT1_
	.globl	_ZN7rocprim17ROCPRIM_400000_NS6detail17trampoline_kernelINS0_14default_configENS1_20scan_config_selectorIfEEZZNS1_9scan_implILNS1_25lookback_scan_determinismE0ELb1ELb1ES3_N6thrust23THRUST_200600_302600_NS6detail15normal_iteratorINS9_10device_ptrIiEEEENSB_INSC_IfEEEEfNS9_4plusIvEEfEEDaPvRmT3_T4_T5_mT6_P12ihipStream_tbENKUlT_T0_E_clISt17integral_constantIbLb1EESV_IbLb0EEEEDaSR_SS_EUlSR_E_NS1_11comp_targetILNS1_3genE4ELNS1_11target_archE910ELNS1_3gpuE8ELNS1_3repE0EEENS1_30default_config_static_selectorELNS0_4arch9wavefront6targetE1EEEvT1_
	.p2align	8
	.type	_ZN7rocprim17ROCPRIM_400000_NS6detail17trampoline_kernelINS0_14default_configENS1_20scan_config_selectorIfEEZZNS1_9scan_implILNS1_25lookback_scan_determinismE0ELb1ELb1ES3_N6thrust23THRUST_200600_302600_NS6detail15normal_iteratorINS9_10device_ptrIiEEEENSB_INSC_IfEEEEfNS9_4plusIvEEfEEDaPvRmT3_T4_T5_mT6_P12ihipStream_tbENKUlT_T0_E_clISt17integral_constantIbLb1EESV_IbLb0EEEEDaSR_SS_EUlSR_E_NS1_11comp_targetILNS1_3genE4ELNS1_11target_archE910ELNS1_3gpuE8ELNS1_3repE0EEENS1_30default_config_static_selectorELNS0_4arch9wavefront6targetE1EEEvT1_,@function
_ZN7rocprim17ROCPRIM_400000_NS6detail17trampoline_kernelINS0_14default_configENS1_20scan_config_selectorIfEEZZNS1_9scan_implILNS1_25lookback_scan_determinismE0ELb1ELb1ES3_N6thrust23THRUST_200600_302600_NS6detail15normal_iteratorINS9_10device_ptrIiEEEENSB_INSC_IfEEEEfNS9_4plusIvEEfEEDaPvRmT3_T4_T5_mT6_P12ihipStream_tbENKUlT_T0_E_clISt17integral_constantIbLb1EESV_IbLb0EEEEDaSR_SS_EUlSR_E_NS1_11comp_targetILNS1_3genE4ELNS1_11target_archE910ELNS1_3gpuE8ELNS1_3repE0EEENS1_30default_config_static_selectorELNS0_4arch9wavefront6targetE1EEEvT1_: ; @_ZN7rocprim17ROCPRIM_400000_NS6detail17trampoline_kernelINS0_14default_configENS1_20scan_config_selectorIfEEZZNS1_9scan_implILNS1_25lookback_scan_determinismE0ELb1ELb1ES3_N6thrust23THRUST_200600_302600_NS6detail15normal_iteratorINS9_10device_ptrIiEEEENSB_INSC_IfEEEEfNS9_4plusIvEEfEEDaPvRmT3_T4_T5_mT6_P12ihipStream_tbENKUlT_T0_E_clISt17integral_constantIbLb1EESV_IbLb0EEEEDaSR_SS_EUlSR_E_NS1_11comp_targetILNS1_3genE4ELNS1_11target_archE910ELNS1_3gpuE8ELNS1_3repE0EEENS1_30default_config_static_selectorELNS0_4arch9wavefront6targetE1EEEvT1_
; %bb.0:
	s_load_dwordx8 s[12:19], s[4:5], 0x0
	s_load_dword s1, s[4:5], 0x30
	s_mul_i32 s0, s6, 0x700
	v_lshlrev_b32_e32 v32, 2, v0
	s_waitcnt lgkmcnt(0)
	s_lshl_b64 s[20:21], s[14:15], 2
	s_add_u32 s29, s12, s20
	s_addc_u32 s30, s13, s21
	s_add_i32 s2, s1, -1
	s_mul_i32 s3, s2, 0x700
	s_sub_u32 s7, s18, s3
	s_subb_u32 s28, s19, 0
	s_mov_b32 s1, 0
	s_cmp_lg_u32 s6, s2
	s_cselect_b64 s[18:19], -1, 0
	s_lshl_b64 s[22:23], s[0:1], 2
	s_add_u32 s2, s29, s22
	s_addc_u32 s3, s30, s23
	s_mov_b64 s[0:1], -1
	s_and_b64 vcc, exec, s[18:19]
	s_cbranch_vccz .LBB1752_2
; %bb.1:
	v_mov_b32_e32 v1, s3
	v_add_co_u32_e32 v2, vcc, s2, v32
	v_addc_co_u32_e32 v3, vcc, 0, v1, vcc
	s_movk_i32 s0, 0x1000
	flat_load_dword v1, v[2:3]
	flat_load_dword v4, v[2:3] offset:512
	flat_load_dword v5, v[2:3] offset:1024
	;; [unrolled: 1-line block ×7, first 2 shown]
	v_add_co_u32_e32 v2, vcc, s0, v2
	v_addc_co_u32_e32 v3, vcc, 0, v3, vcc
	flat_load_dword v11, v[2:3]
	flat_load_dword v12, v[2:3] offset:512
	flat_load_dword v13, v[2:3] offset:1024
	;; [unrolled: 1-line block ×5, first 2 shown]
	s_mov_b64 s[0:1], 0
	s_waitcnt vmcnt(0) lgkmcnt(0)
	v_cvt_f32_i32_e32 v1, v1
	v_cvt_f32_i32_e32 v2, v4
	;; [unrolled: 1-line block ×14, first 2 shown]
	ds_write2st64_b32 v32, v1, v2 offset1:2
	ds_write2st64_b32 v32, v3, v4 offset0:4 offset1:6
	ds_write2st64_b32 v32, v5, v6 offset0:8 offset1:10
	;; [unrolled: 1-line block ×6, first 2 shown]
	s_waitcnt lgkmcnt(0)
	s_barrier
.LBB1752_2:
	s_load_dwordx2 s[24:25], s[4:5], 0x28
	s_andn2_b64 vcc, exec, s[0:1]
	v_cmp_gt_u32_e64 s[0:1], s7, v0
	s_cbranch_vccnz .LBB1752_32
; %bb.3:
	v_pk_mov_b32 v[2:3], s[2:3], s[2:3] op_sel:[0,1]
	flat_load_dword v1, v[2:3]
	s_waitcnt vmcnt(0) lgkmcnt(0)
	v_cvt_f32_i32_e32 v1, v1
	v_mov_b32_e32 v2, v1
	v_mov_b32_e32 v3, v1
	;; [unrolled: 1-line block ×12, first 2 shown]
	v_pk_mov_b32 v[16:17], v[14:15], v[14:15] op_sel:[0,1]
	v_pk_mov_b32 v[14:15], v[12:13], v[12:13] op_sel:[0,1]
	;; [unrolled: 1-line block ×8, first 2 shown]
	s_and_saveexec_b64 s[8:9], s[0:1]
	s_cbranch_execz .LBB1752_5
; %bb.4:
	v_mov_b32_e32 v3, s3
	v_add_co_u32_e32 v2, vcc, s2, v32
	v_addc_co_u32_e32 v3, vcc, 0, v3, vcc
	flat_load_dword v11, v[2:3]
	v_mov_b32_e32 v2, v1
	v_mov_b32_e32 v3, v1
	;; [unrolled: 1-line block ×11, first 2 shown]
	s_waitcnt vmcnt(0) lgkmcnt(0)
	v_cvt_f32_i32_e32 v18, v11
	v_mov_b32_e32 v11, v1
	v_pk_mov_b32 v[16:17], v[14:15], v[14:15] op_sel:[0,1]
	v_pk_mov_b32 v[14:15], v[12:13], v[12:13] op_sel:[0,1]
	;; [unrolled: 1-line block ×8, first 2 shown]
	v_mov_b32_e32 v1, v18
.LBB1752_5:
	s_or_b64 exec, exec, s[8:9]
	v_or_b32_e32 v2, 0x80, v0
	v_cmp_gt_u32_e32 vcc, s7, v2
	s_and_saveexec_b64 s[0:1], vcc
	s_cbranch_execz .LBB1752_7
; %bb.6:
	v_mov_b32_e32 v3, s3
	v_add_co_u32_e32 v2, vcc, s2, v32
	v_addc_co_u32_e32 v3, vcc, 0, v3, vcc
	flat_load_dword v2, v[2:3] offset:512
	s_waitcnt vmcnt(0) lgkmcnt(0)
	v_cvt_f32_i32_e32 v3, v2
.LBB1752_7:
	s_or_b64 exec, exec, s[0:1]
	v_or_b32_e32 v2, 0x100, v0
	v_cmp_gt_u32_e32 vcc, s7, v2
	s_and_saveexec_b64 s[0:1], vcc
	s_cbranch_execz .LBB1752_9
; %bb.8:
	v_mov_b32_e32 v2, s3
	v_add_co_u32_e32 v16, vcc, s2, v32
	v_addc_co_u32_e32 v17, vcc, 0, v2, vcc
	flat_load_dword v2, v[16:17] offset:1024
	s_waitcnt vmcnt(0) lgkmcnt(0)
	v_cvt_f32_i32_e32 v4, v2
.LBB1752_9:
	;; [unrolled: 13-line block ×7, first 2 shown]
	s_or_b64 exec, exec, s[0:1]
	v_or_b32_e32 v2, 0x400, v0
	v_cmp_gt_u32_e32 vcc, s7, v2
	s_and_saveexec_b64 s[0:1], vcc
	s_cbranch_execz .LBB1752_21
; %bb.20:
	v_lshlrev_b32_e32 v2, 2, v2
	v_mov_b32_e32 v10, s3
	v_add_co_u32_e32 v16, vcc, s2, v2
	v_addc_co_u32_e32 v17, vcc, 0, v10, vcc
	flat_load_dword v2, v[16:17]
	s_waitcnt vmcnt(0) lgkmcnt(0)
	v_cvt_f32_i32_e32 v10, v2
.LBB1752_21:
	s_or_b64 exec, exec, s[0:1]
	v_or_b32_e32 v2, 0x480, v0
	v_cmp_gt_u32_e32 vcc, s7, v2
	s_and_saveexec_b64 s[0:1], vcc
	s_cbranch_execz .LBB1752_23
; %bb.22:
	v_lshlrev_b32_e32 v2, 2, v2
	v_mov_b32_e32 v11, s3
	v_add_co_u32_e32 v16, vcc, s2, v2
	v_addc_co_u32_e32 v17, vcc, 0, v11, vcc
	flat_load_dword v2, v[16:17]
	s_waitcnt vmcnt(0) lgkmcnt(0)
	v_cvt_f32_i32_e32 v11, v2
.LBB1752_23:
	;; [unrolled: 14-line block ×6, first 2 shown]
	s_or_b64 exec, exec, s[0:1]
	ds_write2st64_b32 v32, v1, v3 offset1:2
	ds_write2st64_b32 v32, v4, v5 offset0:4 offset1:6
	ds_write2st64_b32 v32, v6, v7 offset0:8 offset1:10
	;; [unrolled: 1-line block ×6, first 2 shown]
	s_waitcnt lgkmcnt(0)
	s_barrier
.LBB1752_32:
	v_mul_u32_u24_e32 v33, 14, v0
	v_lshlrev_b32_e32 v34, 2, v33
	s_waitcnt lgkmcnt(0)
	ds_read2_b64 v[26:29], v34 offset1:1
	ds_read2_b64 v[22:25], v34 offset0:2 offset1:3
	ds_read2_b64 v[18:21], v34 offset0:4 offset1:5
	ds_read_b64 v[30:31], v34 offset:48
	s_cmp_lg_u32 s6, 0
	s_waitcnt lgkmcnt(3)
	v_add_f32_e32 v35, v26, v27
	v_lshrrev_b32_e32 v1, 5, v0
	v_cmp_gt_u32_e32 vcc, 64, v0
	s_waitcnt lgkmcnt(0)
	s_barrier
	s_cbranch_scc0 .LBB1752_61
; %bb.33:
	v_add_f32_e32 v2, v28, v35
	v_add_f32_e32 v2, v29, v2
	;; [unrolled: 1-line block ×12, first 2 shown]
	v_add_lshl_u32 v2, v1, v0, 2
	ds_write_b32 v2, v12
	s_waitcnt lgkmcnt(0)
	s_barrier
	s_and_saveexec_b64 s[10:11], vcc
	s_cbranch_execz .LBB1752_35
; %bb.34:
	v_lshlrev_b32_e32 v2, 1, v0
	v_lshrrev_b32_e32 v3, 4, v0
	v_add_lshl_u32 v4, v3, v2, 2
	ds_read2_b32 v[2:3], v4 offset1:1
	v_mbcnt_lo_u32_b32 v5, -1, 0
	v_mbcnt_hi_u32_b32 v5, -1, v5
	v_and_b32_e32 v6, 15, v5
	v_cmp_eq_u32_e64 s[0:1], 0, v6
	s_waitcnt lgkmcnt(0)
	v_add_f32_e32 v3, v2, v3
	v_cmp_lt_u32_e64 s[2:3], 3, v6
	v_cmp_lt_u32_e64 s[8:9], 31, v5
	v_mov_b32_dpp v7, v3 row_shr:1 row_mask:0xf bank_mask:0xf
	v_add_f32_e32 v7, v3, v7
	v_cndmask_b32_e64 v3, v7, v3, s[0:1]
	v_cmp_lt_u32_e64 s[0:1], 1, v6
	s_nop 0
	v_mov_b32_dpp v7, v3 row_shr:2 row_mask:0xf bank_mask:0xf
	v_add_f32_e32 v7, v3, v7
	v_cndmask_b32_e64 v7, v3, v7, s[0:1]
	; wave barrier
	s_nop 1
	v_mov_b32_dpp v8, v7 row_shr:4 row_mask:0xf bank_mask:0xf
	v_add_f32_e32 v8, v7, v8
	v_cndmask_b32_e64 v7, v7, v8, s[2:3]
	v_cmp_lt_u32_e64 s[2:3], 7, v6
	s_nop 0
	v_mov_b32_dpp v8, v7 row_shr:8 row_mask:0xf bank_mask:0xf
	v_add_f32_e32 v8, v7, v8
	v_cndmask_b32_e64 v6, v7, v8, s[2:3]
	v_and_b32_e32 v8, 16, v5
	v_cmp_eq_u32_e64 s[2:3], 0, v8
	v_mov_b32_dpp v7, v6 row_bcast:15 row_mask:0xf bank_mask:0xf
	v_add_f32_e32 v7, v6, v7
	v_cndmask_b32_e64 v6, v7, v6, s[2:3]
	v_cmp_lt_u32_e64 s[2:3], 15, v5
	s_or_b64 s[0:1], s[2:3], s[0:1]
	v_mov_b32_dpp v7, v6 row_bcast:31 row_mask:0xf bank_mask:0xf
	v_add_f32_e32 v7, v6, v7
	v_cndmask_b32_e64 v6, v6, v7, s[8:9]
	v_cndmask_b32_e64 v3, v3, v6, s[0:1]
	v_add_u32_e32 v6, -1, v5
	v_and_b32_e32 v7, 64, v5
	v_cmp_lt_i32_e64 s[0:1], v6, v7
	v_cndmask_b32_e64 v5, v6, v5, s[0:1]
	v_lshlrev_b32_e32 v5, 2, v5
	ds_bpermute_b32 v3, v5, v3
	v_cmp_eq_u32_e64 s[0:1], 0, v0
	s_waitcnt lgkmcnt(0)
	v_add_f32_e32 v2, v2, v3
	v_cndmask_b32_e64 v2, v2, v12, s[0:1]
	ds_write_b32 v4, v2
	; wave barrier
	ds_read_b32 v3, v4 offset:4
	s_waitcnt lgkmcnt(0)
	v_add_f32_e32 v2, v2, v3
	ds_write_b32 v4, v2 offset:4
.LBB1752_35:
	s_or_b64 exec, exec, s[10:11]
	v_cmp_eq_u32_e64 s[0:1], 0, v0
	v_cmp_ne_u32_e64 s[2:3], 0, v0
	s_waitcnt lgkmcnt(0)
	s_barrier
	s_and_saveexec_b64 s[8:9], s[2:3]
	s_cbranch_execz .LBB1752_37
; %bb.36:
	v_add_u32_e32 v2, -1, v0
	v_lshrrev_b32_e32 v3, 5, v2
	v_add_lshl_u32 v2, v3, v2, 2
	ds_read_b32 v12, v2
.LBB1752_37:
	s_or_b64 exec, exec, s[8:9]
	s_and_saveexec_b64 s[26:27], vcc
	s_cbranch_execz .LBB1752_60
; %bb.38:
	v_mov_b32_e32 v11, 0
	ds_read_b32 v2, v11 offset:520
	v_mbcnt_lo_u32_b32 v3, -1, 0
	v_mbcnt_hi_u32_b32 v5, -1, v3
	s_mov_b32 s11, 0
	v_cmp_eq_u32_e64 s[2:3], 0, v5
	s_and_saveexec_b64 s[8:9], s[2:3]
	s_cbranch_execz .LBB1752_40
; %bb.39:
	s_add_i32 s10, s6, 64
	s_lshl_b64 s[10:11], s[10:11], 3
	s_add_u32 s10, s24, s10
	v_mov_b32_e32 v3, 1
	s_addc_u32 s11, s25, s11
	s_waitcnt lgkmcnt(0)
	global_store_dwordx2 v11, v[2:3], s[10:11]
.LBB1752_40:
	s_or_b64 exec, exec, s[8:9]
	v_xad_u32 v4, v5, -1, s6
	v_add_u32_e32 v10, 64, v4
	v_lshlrev_b64 v[6:7], 3, v[10:11]
	v_mov_b32_e32 v3, s25
	v_add_co_u32_e32 v6, vcc, s24, v6
	v_addc_co_u32_e32 v7, vcc, v3, v7, vcc
	global_load_dwordx2 v[8:9], v[6:7], off glc
	s_waitcnt vmcnt(0)
	v_cmp_eq_u16_sdwa s[10:11], v9, v11 src0_sel:BYTE_0 src1_sel:DWORD
	s_and_saveexec_b64 s[8:9], s[10:11]
	s_cbranch_execz .LBB1752_46
; %bb.41:
	s_mov_b32 s12, 1
	s_mov_b64 s[10:11], 0
	v_mov_b32_e32 v3, 0
.LBB1752_42:                            ; =>This Loop Header: Depth=1
                                        ;     Child Loop BB1752_43 Depth 2
	s_max_u32 s13, s12, 1
.LBB1752_43:                            ;   Parent Loop BB1752_42 Depth=1
                                        ; =>  This Inner Loop Header: Depth=2
	s_add_i32 s13, s13, -1
	s_cmp_eq_u32 s13, 0
	s_sleep 1
	s_cbranch_scc0 .LBB1752_43
; %bb.44:                               ;   in Loop: Header=BB1752_42 Depth=1
	global_load_dwordx2 v[8:9], v[6:7], off glc
	s_cmp_lt_u32 s12, 32
	s_cselect_b64 s[14:15], -1, 0
	s_cmp_lg_u64 s[14:15], 0
	s_addc_u32 s12, s12, 0
	s_waitcnt vmcnt(0)
	v_cmp_ne_u16_sdwa s[14:15], v9, v3 src0_sel:BYTE_0 src1_sel:DWORD
	s_or_b64 s[10:11], s[14:15], s[10:11]
	s_andn2_b64 exec, exec, s[10:11]
	s_cbranch_execnz .LBB1752_42
; %bb.45:
	s_or_b64 exec, exec, s[10:11]
.LBB1752_46:
	s_or_b64 exec, exec, s[8:9]
	v_and_b32_e32 v13, 63, v5
	v_cmp_ne_u32_e32 vcc, 63, v13
	v_addc_co_u32_e32 v14, vcc, 0, v5, vcc
	v_mov_b32_e32 v3, 2
	v_lshlrev_b32_e32 v14, 2, v14
	v_cmp_eq_u16_sdwa s[8:9], v9, v3 src0_sel:BYTE_0 src1_sel:DWORD
	v_lshlrev_b64 v[6:7], v5, -1
	ds_bpermute_b32 v15, v14, v8
	v_and_b32_e32 v10, s9, v7
	v_or_b32_e32 v10, 0x80000000, v10
	v_and_b32_e32 v11, s8, v6
	v_ffbl_b32_e32 v10, v10
	v_add_u32_e32 v10, 32, v10
	v_ffbl_b32_e32 v11, v11
	v_cmp_gt_u32_e64 s[8:9], 62, v13
	v_min_u32_e32 v10, v11, v10
	s_waitcnt lgkmcnt(0)
	v_add_f32_e32 v11, v8, v15
	v_cndmask_b32_e64 v15, 0, 1, s[8:9]
	v_cmp_lt_u32_e32 vcc, v13, v10
	v_lshlrev_b32_e32 v15, 1, v15
	v_cndmask_b32_e32 v11, v8, v11, vcc
	v_add_lshl_u32 v15, v15, v5, 2
	ds_bpermute_b32 v17, v15, v11
	v_add_u32_e32 v16, 2, v13
	v_cmp_gt_u32_e64 s[8:9], v16, v10
	v_cmp_gt_u32_e64 s[10:11], 56, v13
	v_add_u32_e32 v36, 4, v13
	s_waitcnt lgkmcnt(0)
	v_add_f32_e32 v17, v11, v17
	v_cndmask_b32_e64 v11, v17, v11, s[8:9]
	v_cmp_gt_u32_e64 s[8:9], 60, v13
	v_cndmask_b32_e64 v17, 0, 1, s[8:9]
	v_lshlrev_b32_e32 v17, 2, v17
	v_add_lshl_u32 v17, v17, v5, 2
	ds_bpermute_b32 v37, v17, v11
	v_cmp_gt_u32_e64 s[8:9], v36, v10
	v_add_u32_e32 v38, 8, v13
	v_cmp_gt_u32_e64 s[12:13], 48, v13
	v_cmp_gt_u32_e64 s[14:15], 32, v13
	s_waitcnt lgkmcnt(0)
	v_add_f32_e32 v41, v11, v37
	v_cndmask_b32_e64 v37, 0, 1, s[10:11]
	v_lshlrev_b32_e32 v37, 3, v37
	v_cndmask_b32_e64 v39, v41, v11, s[8:9]
	v_add_lshl_u32 v37, v37, v5, 2
	ds_bpermute_b32 v40, v37, v39
	v_cmp_gt_u32_e64 s[10:11], v38, v10
	v_cndmask_b32_e32 v8, v8, v11, vcc
	v_cndmask_b32_e64 v8, v41, v8, s[8:9]
	s_waitcnt lgkmcnt(0)
	v_add_f32_e32 v44, v39, v40
	v_cndmask_b32_e64 v42, v44, v39, s[10:11]
	v_cndmask_b32_e64 v39, 0, 1, s[12:13]
	v_lshlrev_b32_e32 v39, 4, v39
	v_add_lshl_u32 v39, v39, v5, 2
	ds_bpermute_b32 v43, v39, v42
	v_add_u32_e32 v40, 16, v13
	v_cmp_gt_u32_e64 s[12:13], v40, v10
	v_cndmask_b32_e64 v8, v44, v8, s[10:11]
	s_waitcnt lgkmcnt(0)
	v_add_f32_e32 v45, v42, v43
	v_cndmask_b32_e64 v46, v45, v42, s[12:13]
	v_cndmask_b32_e64 v42, 0, 1, s[14:15]
	v_lshlrev_b32_e32 v42, 5, v42
	v_add_lshl_u32 v42, v42, v5, 2
	ds_bpermute_b32 v5, v42, v46
	v_add_u32_e32 v43, 32, v13
	v_cndmask_b32_e64 v8, v45, v8, s[12:13]
	v_cmp_gt_u32_e32 vcc, v43, v10
	s_waitcnt lgkmcnt(0)
	v_add_f32_e32 v5, v46, v5
	v_cndmask_b32_e32 v8, v5, v8, vcc
	v_mov_b32_e32 v5, 0
	s_branch .LBB1752_48
.LBB1752_47:                            ;   in Loop: Header=BB1752_48 Depth=1
	s_or_b64 exec, exec, s[8:9]
	v_cmp_eq_u16_sdwa s[8:9], v9, v3 src0_sel:BYTE_0 src1_sel:DWORD
	v_and_b32_e32 v10, s9, v7
	ds_bpermute_b32 v44, v14, v8
	v_or_b32_e32 v10, 0x80000000, v10
	v_and_b32_e32 v11, s8, v6
	v_ffbl_b32_e32 v10, v10
	v_add_u32_e32 v10, 32, v10
	v_ffbl_b32_e32 v11, v11
	v_min_u32_e32 v10, v11, v10
	s_waitcnt lgkmcnt(0)
	v_add_f32_e32 v11, v8, v44
	v_cmp_lt_u32_e32 vcc, v13, v10
	v_cndmask_b32_e32 v11, v8, v11, vcc
	ds_bpermute_b32 v44, v15, v11
	v_cmp_gt_u32_e64 s[8:9], v16, v10
	v_cmp_gt_u32_e64 s[10:11], v38, v10
	v_cmp_gt_u32_e64 s[12:13], v40, v10
	v_subrev_u32_e32 v4, 64, v4
	s_waitcnt lgkmcnt(0)
	v_add_f32_e32 v44, v11, v44
	v_cndmask_b32_e64 v11, v44, v11, s[8:9]
	ds_bpermute_b32 v44, v17, v11
	v_cmp_gt_u32_e64 s[8:9], v36, v10
	v_cndmask_b32_e32 v8, v8, v11, vcc
	v_cmp_gt_u32_e32 vcc, v43, v10
	s_waitcnt lgkmcnt(0)
	v_add_f32_e32 v44, v11, v44
	v_cndmask_b32_e64 v45, v44, v11, s[8:9]
	ds_bpermute_b32 v46, v37, v45
	v_cndmask_b32_e64 v8, v44, v8, s[8:9]
	s_waitcnt lgkmcnt(0)
	v_add_f32_e32 v46, v45, v46
	v_cndmask_b32_e64 v45, v46, v45, s[10:11]
	ds_bpermute_b32 v47, v39, v45
	v_cndmask_b32_e64 v8, v46, v8, s[10:11]
	s_waitcnt lgkmcnt(0)
	v_add_f32_e32 v47, v45, v47
	v_cndmask_b32_e64 v45, v47, v45, s[12:13]
	ds_bpermute_b32 v48, v42, v45
	v_cndmask_b32_e64 v8, v47, v8, s[12:13]
	s_waitcnt lgkmcnt(0)
	v_add_f32_e32 v11, v45, v48
	v_cndmask_b32_e32 v8, v11, v8, vcc
	v_add_f32_e32 v8, v41, v8
.LBB1752_48:                            ; =>This Loop Header: Depth=1
                                        ;     Child Loop BB1752_51 Depth 2
                                        ;       Child Loop BB1752_52 Depth 3
	v_cmp_ne_u16_sdwa s[8:9], v9, v3 src0_sel:BYTE_0 src1_sel:DWORD
	v_cndmask_b32_e64 v9, 0, 1, s[8:9]
	;;#ASMSTART
	;;#ASMEND
	v_cmp_ne_u32_e32 vcc, 0, v9
	s_cmp_lg_u64 vcc, exec
	v_mov_b32_e32 v41, v8
	s_cbranch_scc1 .LBB1752_55
; %bb.49:                               ;   in Loop: Header=BB1752_48 Depth=1
	v_lshlrev_b64 v[8:9], 3, v[4:5]
	v_mov_b32_e32 v11, s25
	v_add_co_u32_e32 v10, vcc, s24, v8
	v_addc_co_u32_e32 v11, vcc, v11, v9, vcc
	global_load_dwordx2 v[8:9], v[10:11], off glc
	s_waitcnt vmcnt(0)
	v_cmp_eq_u16_sdwa s[10:11], v9, v5 src0_sel:BYTE_0 src1_sel:DWORD
	s_and_saveexec_b64 s[8:9], s[10:11]
	s_cbranch_execz .LBB1752_47
; %bb.50:                               ;   in Loop: Header=BB1752_48 Depth=1
	s_mov_b32 s12, 1
	s_mov_b64 s[10:11], 0
.LBB1752_51:                            ;   Parent Loop BB1752_48 Depth=1
                                        ; =>  This Loop Header: Depth=2
                                        ;       Child Loop BB1752_52 Depth 3
	s_max_u32 s13, s12, 1
.LBB1752_52:                            ;   Parent Loop BB1752_48 Depth=1
                                        ;     Parent Loop BB1752_51 Depth=2
                                        ; =>    This Inner Loop Header: Depth=3
	s_add_i32 s13, s13, -1
	s_cmp_eq_u32 s13, 0
	s_sleep 1
	s_cbranch_scc0 .LBB1752_52
; %bb.53:                               ;   in Loop: Header=BB1752_51 Depth=2
	global_load_dwordx2 v[8:9], v[10:11], off glc
	s_cmp_lt_u32 s12, 32
	s_cselect_b64 s[14:15], -1, 0
	s_cmp_lg_u64 s[14:15], 0
	s_addc_u32 s12, s12, 0
	s_waitcnt vmcnt(0)
	v_cmp_ne_u16_sdwa s[14:15], v9, v5 src0_sel:BYTE_0 src1_sel:DWORD
	s_or_b64 s[10:11], s[14:15], s[10:11]
	s_andn2_b64 exec, exec, s[10:11]
	s_cbranch_execnz .LBB1752_51
; %bb.54:                               ;   in Loop: Header=BB1752_48 Depth=1
	s_or_b64 exec, exec, s[10:11]
	s_branch .LBB1752_47
.LBB1752_55:                            ;   in Loop: Header=BB1752_48 Depth=1
                                        ; implicit-def: $vgpr8
                                        ; implicit-def: $vgpr9
	s_cbranch_execz .LBB1752_48
; %bb.56:
	s_and_saveexec_b64 s[8:9], s[2:3]
	s_cbranch_execz .LBB1752_58
; %bb.57:
	s_add_i32 s2, s6, 64
	s_mov_b32 s3, 0
	s_lshl_b64 s[2:3], s[2:3], 3
	s_add_u32 s2, s24, s2
	v_add_f32_e32 v2, v2, v41
	v_mov_b32_e32 v3, 2
	s_addc_u32 s3, s25, s3
	v_mov_b32_e32 v4, 0
	global_store_dwordx2 v4, v[2:3], s[2:3]
.LBB1752_58:
	s_or_b64 exec, exec, s[8:9]
	s_and_b64 exec, exec, s[0:1]
	s_cbranch_execz .LBB1752_60
; %bb.59:
	v_mov_b32_e32 v2, 0
	ds_write_b32 v2, v41
.LBB1752_60:
	s_or_b64 exec, exec, s[26:27]
	v_mov_b32_e32 v2, 0
	s_waitcnt lgkmcnt(0)
	s_barrier
	ds_read_b32 v2, v2
	s_waitcnt lgkmcnt(0)
	v_add_f32_e32 v3, v12, v2
	v_cndmask_b32_e64 v2, v3, v2, s[0:1]
	v_add_f32_e32 v3, v26, v2
	v_add_f32_e32 v4, v27, v3
	;; [unrolled: 1-line block ×13, first 2 shown]
	s_load_dwordx8 s[8:15], s[4:5], 0x38
	s_branch .LBB1752_71
.LBB1752_61:
                                        ; implicit-def: $vgpr2_vgpr3_vgpr4_vgpr5_vgpr6_vgpr7_vgpr8_vgpr9_vgpr10_vgpr11_vgpr12_vgpr13_vgpr14_vgpr15_vgpr16_vgpr17
	s_load_dwordx8 s[8:15], s[4:5], 0x38
	s_cbranch_execz .LBB1752_71
; %bb.62:
	s_load_dword s0, s[4:5], 0x20
	s_waitcnt lgkmcnt(0)
	s_cmp_eq_u64 s[12:13], 0
	v_mov_b32_e32 v16, s0
	s_cbranch_scc1 .LBB1752_64
; %bb.63:
	v_mov_b32_e32 v3, s30
	v_add_co_u32_e64 v2, vcc, -4, s29
	v_addc_co_u32_e32 v3, vcc, -1, v3, vcc
	flat_load_dword v2, v[2:3]
	v_mov_b32_e32 v3, 0
	global_load_dword v3, v3, s[8:9]
	s_waitcnt vmcnt(0) lgkmcnt(0)
	v_cvt_f32_i32_e32 v2, v2
	v_add_f32_e32 v16, v3, v2
.LBB1752_64:
	v_add_f32_e32 v2, v28, v35
	v_add_f32_e32 v2, v29, v2
	v_add_f32_e32 v2, v22, v2
	v_add_f32_e32 v2, v23, v2
	v_add_f32_e32 v2, v24, v2
	v_add_f32_e32 v2, v25, v2
	v_add_f32_e32 v2, v18, v2
	v_add_f32_e32 v2, v19, v2
	v_add_f32_e32 v2, v20, v2
	v_add_f32_e32 v2, v21, v2
	v_add_f32_e32 v2, v30, v2
	v_add_f32_e32 v2, v31, v2
	v_add_lshl_u32 v1, v1, v0, 2
	v_cmp_gt_u32_e32 vcc, 64, v0
	ds_write_b32 v1, v2
	s_waitcnt lgkmcnt(0)
	s_barrier
	s_and_saveexec_b64 s[4:5], vcc
	s_cbranch_execz .LBB1752_66
; %bb.65:
	v_lshlrev_b32_e32 v1, 1, v0
	v_lshrrev_b32_e32 v3, 4, v0
	v_add_lshl_u32 v1, v3, v1, 2
	ds_read2_b32 v[4:5], v1 offset1:1
	v_mbcnt_lo_u32_b32 v3, -1, 0
	v_mbcnt_hi_u32_b32 v3, -1, v3
	v_and_b32_e32 v6, 15, v3
	v_cmp_eq_u32_e32 vcc, 0, v6
	s_waitcnt lgkmcnt(0)
	v_add_f32_e32 v5, v4, v5
	v_cmp_lt_u32_e64 s[0:1], 3, v6
	v_cmp_lt_u32_e64 s[2:3], 31, v3
	v_mov_b32_dpp v7, v5 row_shr:1 row_mask:0xf bank_mask:0xf
	v_add_f32_e32 v7, v5, v7
	v_cndmask_b32_e32 v5, v7, v5, vcc
	v_cmp_lt_u32_e32 vcc, 1, v6
	s_nop 0
	v_mov_b32_dpp v7, v5 row_shr:2 row_mask:0xf bank_mask:0xf
	v_add_f32_e32 v7, v5, v7
	v_cndmask_b32_e32 v7, v5, v7, vcc
	; wave barrier
	s_nop 1
	v_mov_b32_dpp v8, v7 row_shr:4 row_mask:0xf bank_mask:0xf
	v_add_f32_e32 v8, v7, v8
	v_cndmask_b32_e64 v7, v7, v8, s[0:1]
	v_cmp_lt_u32_e64 s[0:1], 7, v6
	s_nop 0
	v_mov_b32_dpp v8, v7 row_shr:8 row_mask:0xf bank_mask:0xf
	v_add_f32_e32 v8, v7, v8
	v_cndmask_b32_e64 v6, v7, v8, s[0:1]
	v_and_b32_e32 v8, 16, v3
	v_cmp_eq_u32_e64 s[0:1], 0, v8
	v_mov_b32_dpp v7, v6 row_bcast:15 row_mask:0xf bank_mask:0xf
	v_add_f32_e32 v7, v6, v7
	v_cndmask_b32_e64 v6, v7, v6, s[0:1]
	v_cmp_lt_u32_e64 s[0:1], 15, v3
	s_or_b64 vcc, s[0:1], vcc
	v_mov_b32_dpp v7, v6 row_bcast:31 row_mask:0xf bank_mask:0xf
	v_add_f32_e32 v7, v6, v7
	v_cndmask_b32_e64 v6, v6, v7, s[2:3]
	v_cndmask_b32_e32 v5, v5, v6, vcc
	v_add_u32_e32 v6, -1, v3
	v_and_b32_e32 v7, 64, v3
	v_cmp_lt_i32_e32 vcc, v6, v7
	v_cndmask_b32_e32 v3, v6, v3, vcc
	v_lshlrev_b32_e32 v3, 2, v3
	ds_bpermute_b32 v3, v3, v5
	v_cmp_eq_u32_e32 vcc, 0, v0
	s_waitcnt lgkmcnt(0)
	v_add_f32_e32 v3, v4, v3
	v_cndmask_b32_e32 v2, v3, v2, vcc
	ds_write_b32 v1, v2
	; wave barrier
	ds_read_b32 v3, v1 offset:4
	s_waitcnt lgkmcnt(0)
	v_add_f32_e32 v2, v2, v3
	ds_write_b32 v1, v2 offset:4
.LBB1752_66:
	s_or_b64 exec, exec, s[4:5]
	v_cmp_eq_u32_e32 vcc, 0, v0
	v_cmp_ne_u32_e64 s[0:1], 0, v0
	v_mov_b32_e32 v2, v16
	s_waitcnt lgkmcnt(0)
	s_barrier
	s_and_saveexec_b64 s[2:3], s[0:1]
	s_cbranch_execz .LBB1752_68
; %bb.67:
	v_add_u32_e32 v1, -1, v0
	v_lshrrev_b32_e32 v2, 5, v1
	v_add_lshl_u32 v1, v2, v1, 2
	ds_read_b32 v1, v1
	s_waitcnt lgkmcnt(0)
	v_add_f32_e32 v2, v16, v1
.LBB1752_68:
	s_or_b64 exec, exec, s[2:3]
	v_add_f32_e32 v3, v26, v2
	v_add_f32_e32 v4, v27, v3
	;; [unrolled: 1-line block ×13, first 2 shown]
	s_and_saveexec_b64 s[0:1], vcc
	s_cbranch_execz .LBB1752_70
; %bb.69:
	v_mov_b32_e32 v1, 0
	ds_read_b32 v17, v1 offset:520
	s_waitcnt lgkmcnt(0)
	v_add_f32_e32 v16, v16, v17
	v_mov_b32_e32 v17, 2
	global_store_dwordx2 v1, v[16:17], s[24:25] offset:512
.LBB1752_70:
	s_or_b64 exec, exec, s[0:1]
.LBB1752_71:
	s_add_u32 s0, s16, s20
	s_addc_u32 s1, s17, s21
	s_add_u32 s2, s0, s22
	s_addc_u32 s3, s1, s23
	s_mov_b64 s[0:1], -1
	s_and_b64 vcc, exec, s[18:19]
	s_waitcnt lgkmcnt(0)
	s_barrier
	s_cbranch_vccz .LBB1752_73
; %bb.72:
	ds_write2_b64 v34, v[2:3], v[4:5] offset1:1
	ds_write2_b64 v34, v[6:7], v[8:9] offset0:2 offset1:3
	ds_write2_b64 v34, v[10:11], v[12:13] offset0:4 offset1:5
	ds_write_b64 v34, v[14:15] offset:48
	s_waitcnt lgkmcnt(0)
	s_barrier
	ds_read2st64_b32 v[16:17], v32 offset1:2
	ds_read2st64_b32 v[18:19], v32 offset0:4 offset1:6
	ds_read2st64_b32 v[20:21], v32 offset0:8 offset1:10
	;; [unrolled: 1-line block ×6, first 2 shown]
	v_mov_b32_e32 v1, s3
	v_add_co_u32_e32 v30, vcc, s2, v32
	v_addc_co_u32_e32 v31, vcc, 0, v1, vcc
	s_waitcnt lgkmcnt(6)
	flat_store_dword v[30:31], v16
	flat_store_dword v[30:31], v17 offset:512
	s_waitcnt lgkmcnt(0)
	flat_store_dword v[30:31], v18 offset:1024
	flat_store_dword v[30:31], v19 offset:1536
	;; [unrolled: 1-line block ×6, first 2 shown]
	v_add_co_u32_e32 v16, vcc, 0x1000, v30
	v_addc_co_u32_e32 v17, vcc, 0, v31, vcc
	flat_store_dword v[16:17], v24
	flat_store_dword v[16:17], v25 offset:512
	flat_store_dword v[16:17], v26 offset:1024
	;; [unrolled: 1-line block ×5, first 2 shown]
	s_mov_b64 s[0:1], 0
.LBB1752_73:
	s_andn2_b64 vcc, exec, s[0:1]
	s_cbranch_vccnz .LBB1752_153
; %bb.74:
	s_movk_i32 s0, 0xffcc
	ds_write2_b64 v34, v[2:3], v[4:5] offset1:1
	ds_write2_b64 v34, v[6:7], v[8:9] offset0:2 offset1:3
	ds_write2_b64 v34, v[10:11], v[12:13] offset0:4 offset1:5
	ds_write_b64 v34, v[14:15] offset:48
	v_mad_i32_i24 v14, v0, s0, v34
	s_waitcnt lgkmcnt(0)
	s_barrier
	ds_read2st64_b32 v[4:5], v14 offset1:2
	ds_read2st64_b32 v[6:7], v14 offset0:4 offset1:6
	ds_read2st64_b32 v[8:9], v14 offset0:8 offset1:10
	;; [unrolled: 1-line block ×6, first 2 shown]
	v_mov_b32_e32 v17, s3
	v_add_co_u32_e32 v16, vcc, s2, v32
	v_addc_co_u32_e32 v17, vcc, 0, v17, vcc
	v_mov_b32_e32 v1, 0
	v_cmp_gt_u32_e32 vcc, s7, v0
	s_and_saveexec_b64 s[0:1], vcc
	s_cbranch_execz .LBB1752_76
; %bb.75:
	s_waitcnt lgkmcnt(0)
	flat_store_dword v[16:17], v4
.LBB1752_76:
	s_or_b64 exec, exec, s[0:1]
	v_or_b32_e32 v18, 0x80, v0
	v_cmp_gt_u32_e32 vcc, s7, v18
	s_and_saveexec_b64 s[0:1], vcc
	s_cbranch_execz .LBB1752_78
; %bb.77:
	s_waitcnt lgkmcnt(0)
	flat_store_dword v[16:17], v5 offset:512
.LBB1752_78:
	s_or_b64 exec, exec, s[0:1]
	v_or_b32_e32 v18, 0x100, v0
	v_cmp_gt_u32_e32 vcc, s7, v18
	s_and_saveexec_b64 s[0:1], vcc
	s_cbranch_execz .LBB1752_80
; %bb.79:
	s_waitcnt lgkmcnt(0)
	flat_store_dword v[16:17], v6 offset:1024
.LBB1752_80:
	;; [unrolled: 9-line block ×7, first 2 shown]
	s_or_b64 exec, exec, s[0:1]
	v_or_b32_e32 v18, 0x400, v0
	v_cmp_gt_u32_e32 vcc, s7, v18
	s_and_saveexec_b64 s[0:1], vcc
	s_cbranch_execz .LBB1752_92
; %bb.91:
	v_add_co_u32_e32 v18, vcc, 0x1000, v16
	v_addc_co_u32_e32 v19, vcc, 0, v17, vcc
	s_waitcnt lgkmcnt(0)
	flat_store_dword v[18:19], v12
.LBB1752_92:
	s_or_b64 exec, exec, s[0:1]
	v_or_b32_e32 v18, 0x480, v0
	v_cmp_gt_u32_e32 vcc, s7, v18
	s_and_saveexec_b64 s[0:1], vcc
	s_cbranch_execz .LBB1752_94
; %bb.93:
	v_add_co_u32_e32 v18, vcc, 0x1000, v16
	v_addc_co_u32_e32 v19, vcc, 0, v17, vcc
	s_waitcnt lgkmcnt(0)
	flat_store_dword v[18:19], v13 offset:512
.LBB1752_94:
	s_or_b64 exec, exec, s[0:1]
	v_or_b32_e32 v18, 0x500, v0
	v_cmp_gt_u32_e32 vcc, s7, v18
	s_and_saveexec_b64 s[0:1], vcc
	s_cbranch_execz .LBB1752_96
; %bb.95:
	v_add_co_u32_e32 v18, vcc, 0x1000, v16
	v_addc_co_u32_e32 v19, vcc, 0, v17, vcc
	s_waitcnt lgkmcnt(0)
	flat_store_dword v[18:19], v10 offset:1024
.LBB1752_96:
	;; [unrolled: 11-line block ×5, first 2 shown]
	s_or_b64 exec, exec, s[0:1]
	v_cmp_lt_u64_e64 s[0:1], s[14:15], 2
	s_and_b64 vcc, exec, s[0:1]
	s_cbranch_vccnz .LBB1752_153
; %bb.103:
	s_add_u32 s0, s7, -1
	s_addc_u32 s1, s28, -1
	s_add_u32 s2, 0, 0x49240800
	s_addc_u32 s3, 0, 50
	s_add_i32 s3, s3, 0x12492460
	s_mul_hi_u32 s7, s2, -14
	s_sub_i32 s7, s7, s2
	s_mul_i32 s8, s3, -14
	s_mul_i32 s4, s2, -14
	s_add_i32 s7, s7, s8
	s_mul_hi_u32 s5, s3, s4
	s_mul_i32 s6, s3, s4
	s_mul_i32 s9, s2, s7
	s_mul_hi_u32 s4, s2, s4
	s_mul_hi_u32 s8, s2, s7
	s_add_u32 s4, s4, s9
	s_addc_u32 s8, 0, s8
	s_add_u32 s4, s4, s6
	s_mul_hi_u32 s9, s3, s7
	s_addc_u32 s4, s8, s5
	s_addc_u32 s5, s9, 0
	s_mul_i32 s6, s3, s7
	s_add_u32 s4, s4, s6
	v_mov_b32_e32 v16, s4
	s_addc_u32 s5, 0, s5
	v_add_co_u32_e32 v16, vcc, s2, v16
	s_cmp_lg_u64 vcc, 0
	s_addc_u32 s2, s3, s5
	v_readfirstlane_b32 s5, v16
	s_mul_i32 s4, s0, s2
	s_mul_hi_u32 s6, s0, s5
	s_mul_hi_u32 s3, s0, s2
	s_add_u32 s4, s6, s4
	s_addc_u32 s3, 0, s3
	s_mul_hi_u32 s7, s1, s5
	s_mul_i32 s5, s1, s5
	s_add_u32 s4, s4, s5
	s_mul_hi_u32 s6, s1, s2
	s_addc_u32 s3, s3, s7
	s_addc_u32 s4, s6, 0
	s_mul_i32 s2, s1, s2
	s_add_u32 s2, s3, s2
	s_addc_u32 s3, 0, s4
	s_add_u32 s4, s2, 1
	s_addc_u32 s5, s3, 0
	s_add_u32 s6, s2, 2
	s_mul_i32 s8, s3, 14
	s_mul_hi_u32 s9, s2, 14
	s_addc_u32 s7, s3, 0
	s_add_i32 s9, s9, s8
	s_mul_i32 s8, s2, 14
	v_mov_b32_e32 v16, s8
	v_sub_co_u32_e32 v16, vcc, s0, v16
	s_cmp_lg_u64 vcc, 0
	s_subb_u32 s8, s1, s9
	v_subrev_co_u32_e32 v17, vcc, 14, v16
	s_cmp_lg_u64 vcc, 0
	s_subb_u32 s9, s8, 0
	v_readfirstlane_b32 s12, v17
	s_cmp_gt_u32 s12, 13
	s_cselect_b32 s12, -1, 0
	s_cmp_eq_u32 s9, 0
	s_cselect_b32 s9, s12, -1
	s_cmp_lg_u32 s9, 0
	s_cselect_b32 s4, s6, s4
	v_readfirstlane_b32 s6, v16
	s_cselect_b32 s5, s7, s5
	s_cmp_gt_u32 s6, 13
	s_cselect_b32 s6, -1, 0
	s_cmp_eq_u32 s8, 0
	s_cselect_b32 s6, s6, -1
	s_cmp_lg_u32 s6, 0
	s_cselect_b32 s3, s5, s3
	s_cselect_b32 s2, s4, s2
	v_cmp_eq_u64_e32 vcc, s[2:3], v[0:1]
	s_and_saveexec_b64 s[2:3], vcc
	s_cbranch_execz .LBB1752_153
; %bb.104:
	v_mul_hi_u32_u24_e32 v1, 14, v0
	v_mov_b32_e32 v16, s1
	v_sub_co_u32_e32 v0, vcc, s0, v33
	v_subb_co_u32_e32 v1, vcc, v16, v1, vcc
	v_cmp_lt_i64_e32 vcc, 6, v[0:1]
	s_and_saveexec_b64 s[0:1], vcc
	s_xor_b64 s[0:1], exec, s[0:1]
	s_cbranch_execz .LBB1752_130
; %bb.105:
	v_cmp_lt_i64_e32 vcc, 9, v[0:1]
	s_and_saveexec_b64 s[2:3], vcc
	s_xor_b64 s[2:3], exec, s[2:3]
	s_cbranch_execz .LBB1752_119
; %bb.106:
	v_cmp_lt_i64_e32 vcc, 11, v[0:1]
	s_and_saveexec_b64 s[4:5], vcc
	s_xor_b64 s[4:5], exec, s[4:5]
	s_cbranch_execz .LBB1752_112
; %bb.107:
	v_cmp_lt_i64_e32 vcc, 12, v[0:1]
	s_and_saveexec_b64 s[6:7], vcc
	s_xor_b64 s[6:7], exec, s[6:7]
	s_cbranch_execz .LBB1752_109
; %bb.108:
	v_mov_b32_e32 v0, 0
	s_waitcnt lgkmcnt(0)
	global_store_dword v0, v15, s[10:11]
                                        ; implicit-def: $vgpr14_vgpr15
.LBB1752_109:
	s_andn2_saveexec_b64 s[6:7], s[6:7]
	s_cbranch_execz .LBB1752_111
; %bb.110:
	v_mov_b32_e32 v0, 0
	s_waitcnt lgkmcnt(0)
	global_store_dword v0, v14, s[10:11]
.LBB1752_111:
	s_or_b64 exec, exec, s[6:7]
                                        ; implicit-def: $vgpr10_vgpr11
                                        ; implicit-def: $vgpr0_vgpr1
.LBB1752_112:
	s_andn2_saveexec_b64 s[4:5], s[4:5]
	s_cbranch_execz .LBB1752_118
; %bb.113:
	v_cmp_lt_i64_e32 vcc, 10, v[0:1]
	s_and_saveexec_b64 s[6:7], vcc
	s_xor_b64 s[6:7], exec, s[6:7]
	s_cbranch_execz .LBB1752_115
; %bb.114:
	v_mov_b32_e32 v0, 0
	s_waitcnt lgkmcnt(0)
	global_store_dword v0, v11, s[10:11]
                                        ; implicit-def: $vgpr10_vgpr11
.LBB1752_115:
	s_andn2_saveexec_b64 s[6:7], s[6:7]
	s_cbranch_execz .LBB1752_117
; %bb.116:
	v_mov_b32_e32 v0, 0
	s_waitcnt lgkmcnt(0)
	global_store_dword v0, v10, s[10:11]
.LBB1752_117:
	s_or_b64 exec, exec, s[6:7]
.LBB1752_118:
	s_or_b64 exec, exec, s[4:5]
                                        ; implicit-def: $vgpr2_vgpr3
                                        ; implicit-def: $vgpr0_vgpr1
                                        ; implicit-def: $vgpr12_vgpr13
.LBB1752_119:
	s_andn2_saveexec_b64 s[2:3], s[2:3]
	s_cbranch_execz .LBB1752_129
; %bb.120:
	v_cmp_lt_i64_e32 vcc, 7, v[0:1]
	s_and_saveexec_b64 s[4:5], vcc
	s_xor_b64 s[4:5], exec, s[4:5]
	s_cbranch_execz .LBB1752_126
; %bb.121:
	v_cmp_lt_i64_e32 vcc, 8, v[0:1]
	s_and_saveexec_b64 s[6:7], vcc
	s_xor_b64 s[6:7], exec, s[6:7]
	s_cbranch_execz .LBB1752_123
; %bb.122:
	v_mov_b32_e32 v0, 0
	s_waitcnt lgkmcnt(0)
	global_store_dword v0, v13, s[10:11]
                                        ; implicit-def: $vgpr12_vgpr13
.LBB1752_123:
	s_andn2_saveexec_b64 s[6:7], s[6:7]
	s_cbranch_execz .LBB1752_125
; %bb.124:
	v_mov_b32_e32 v0, 0
	s_waitcnt lgkmcnt(0)
	global_store_dword v0, v12, s[10:11]
.LBB1752_125:
	s_or_b64 exec, exec, s[6:7]
                                        ; implicit-def: $vgpr2_vgpr3
.LBB1752_126:
	s_andn2_saveexec_b64 s[4:5], s[4:5]
	s_cbranch_execz .LBB1752_128
; %bb.127:
	v_mov_b32_e32 v0, 0
	s_waitcnt lgkmcnt(0)
	global_store_dword v0, v3, s[10:11]
.LBB1752_128:
	s_or_b64 exec, exec, s[4:5]
.LBB1752_129:
	s_or_b64 exec, exec, s[2:3]
                                        ; implicit-def: $vgpr0_vgpr1
                                        ; implicit-def: $vgpr8_vgpr9
                                        ; implicit-def: $vgpr4_vgpr5
                                        ; implicit-def: $vgpr6_vgpr7
                                        ; implicit-def: $vgpr2_vgpr3
.LBB1752_130:
	s_andn2_saveexec_b64 s[0:1], s[0:1]
	s_cbranch_execz .LBB1752_153
; %bb.131:
	v_cmp_lt_i64_e32 vcc, 3, v[0:1]
	s_and_saveexec_b64 s[0:1], vcc
	s_xor_b64 s[0:1], exec, s[0:1]
	s_cbranch_execz .LBB1752_141
; %bb.132:
	v_cmp_lt_i64_e32 vcc, 4, v[0:1]
	s_and_saveexec_b64 s[2:3], vcc
	s_xor_b64 s[2:3], exec, s[2:3]
	;; [unrolled: 5-line block ×3, first 2 shown]
	s_cbranch_execz .LBB1752_135
; %bb.134:
	v_mov_b32_e32 v0, 0
	s_waitcnt lgkmcnt(0)
	global_store_dword v0, v2, s[10:11]
                                        ; implicit-def: $vgpr8_vgpr9
.LBB1752_135:
	s_andn2_saveexec_b64 s[4:5], s[4:5]
	s_cbranch_execz .LBB1752_137
; %bb.136:
	v_mov_b32_e32 v0, 0
	s_waitcnt lgkmcnt(0)
	global_store_dword v0, v9, s[10:11]
.LBB1752_137:
	s_or_b64 exec, exec, s[4:5]
                                        ; implicit-def: $vgpr8_vgpr9
.LBB1752_138:
	s_andn2_saveexec_b64 s[2:3], s[2:3]
	s_cbranch_execz .LBB1752_140
; %bb.139:
	v_mov_b32_e32 v0, 0
	s_waitcnt lgkmcnt(0)
	global_store_dword v0, v8, s[10:11]
.LBB1752_140:
	s_or_b64 exec, exec, s[2:3]
                                        ; implicit-def: $vgpr0_vgpr1
                                        ; implicit-def: $vgpr4_vgpr5
                                        ; implicit-def: $vgpr6_vgpr7
.LBB1752_141:
	s_andn2_saveexec_b64 s[0:1], s[0:1]
	s_cbranch_execz .LBB1752_153
; %bb.142:
	v_cmp_lt_i64_e32 vcc, 1, v[0:1]
	s_and_saveexec_b64 s[0:1], vcc
	s_xor_b64 s[0:1], exec, s[0:1]
	s_cbranch_execz .LBB1752_148
; %bb.143:
	v_cmp_lt_i64_e32 vcc, 2, v[0:1]
	s_and_saveexec_b64 s[2:3], vcc
	s_xor_b64 s[2:3], exec, s[2:3]
	s_cbranch_execz .LBB1752_145
; %bb.144:
	v_mov_b32_e32 v0, 0
	s_waitcnt lgkmcnt(0)
	global_store_dword v0, v7, s[10:11]
                                        ; implicit-def: $vgpr6_vgpr7
.LBB1752_145:
	s_andn2_saveexec_b64 s[2:3], s[2:3]
	s_cbranch_execz .LBB1752_147
; %bb.146:
	v_mov_b32_e32 v0, 0
	s_waitcnt lgkmcnt(0)
	global_store_dword v0, v6, s[10:11]
.LBB1752_147:
	s_or_b64 exec, exec, s[2:3]
                                        ; implicit-def: $vgpr4_vgpr5
                                        ; implicit-def: $vgpr0_vgpr1
.LBB1752_148:
	s_andn2_saveexec_b64 s[0:1], s[0:1]
	s_cbranch_execz .LBB1752_153
; %bb.149:
	v_cmp_ne_u64_e32 vcc, 1, v[0:1]
	s_and_saveexec_b64 s[0:1], vcc
	s_xor_b64 s[0:1], exec, s[0:1]
	s_cbranch_execz .LBB1752_151
; %bb.150:
	v_mov_b32_e32 v0, 0
	s_waitcnt lgkmcnt(0)
	global_store_dword v0, v4, s[10:11]
                                        ; implicit-def: $vgpr4_vgpr5
.LBB1752_151:
	s_andn2_saveexec_b64 s[0:1], s[0:1]
	s_cbranch_execz .LBB1752_153
; %bb.152:
	v_mov_b32_e32 v0, 0
	s_waitcnt lgkmcnt(0)
	global_store_dword v0, v5, s[10:11]
.LBB1752_153:
	s_endpgm
	.section	.rodata,"a",@progbits
	.p2align	6, 0x0
	.amdhsa_kernel _ZN7rocprim17ROCPRIM_400000_NS6detail17trampoline_kernelINS0_14default_configENS1_20scan_config_selectorIfEEZZNS1_9scan_implILNS1_25lookback_scan_determinismE0ELb1ELb1ES3_N6thrust23THRUST_200600_302600_NS6detail15normal_iteratorINS9_10device_ptrIiEEEENSB_INSC_IfEEEEfNS9_4plusIvEEfEEDaPvRmT3_T4_T5_mT6_P12ihipStream_tbENKUlT_T0_E_clISt17integral_constantIbLb1EESV_IbLb0EEEEDaSR_SS_EUlSR_E_NS1_11comp_targetILNS1_3genE4ELNS1_11target_archE910ELNS1_3gpuE8ELNS1_3repE0EEENS1_30default_config_static_selectorELNS0_4arch9wavefront6targetE1EEEvT1_
		.amdhsa_group_segment_fixed_size 7168
		.amdhsa_private_segment_fixed_size 0
		.amdhsa_kernarg_size 96
		.amdhsa_user_sgpr_count 6
		.amdhsa_user_sgpr_private_segment_buffer 1
		.amdhsa_user_sgpr_dispatch_ptr 0
		.amdhsa_user_sgpr_queue_ptr 0
		.amdhsa_user_sgpr_kernarg_segment_ptr 1
		.amdhsa_user_sgpr_dispatch_id 0
		.amdhsa_user_sgpr_flat_scratch_init 0
		.amdhsa_user_sgpr_kernarg_preload_length 0
		.amdhsa_user_sgpr_kernarg_preload_offset 0
		.amdhsa_user_sgpr_private_segment_size 0
		.amdhsa_uses_dynamic_stack 0
		.amdhsa_system_sgpr_private_segment_wavefront_offset 0
		.amdhsa_system_sgpr_workgroup_id_x 1
		.amdhsa_system_sgpr_workgroup_id_y 0
		.amdhsa_system_sgpr_workgroup_id_z 0
		.amdhsa_system_sgpr_workgroup_info 0
		.amdhsa_system_vgpr_workitem_id 0
		.amdhsa_next_free_vgpr 49
		.amdhsa_next_free_sgpr 31
		.amdhsa_accum_offset 52
		.amdhsa_reserve_vcc 1
		.amdhsa_reserve_flat_scratch 0
		.amdhsa_float_round_mode_32 0
		.amdhsa_float_round_mode_16_64 0
		.amdhsa_float_denorm_mode_32 3
		.amdhsa_float_denorm_mode_16_64 3
		.amdhsa_dx10_clamp 1
		.amdhsa_ieee_mode 1
		.amdhsa_fp16_overflow 0
		.amdhsa_tg_split 0
		.amdhsa_exception_fp_ieee_invalid_op 0
		.amdhsa_exception_fp_denorm_src 0
		.amdhsa_exception_fp_ieee_div_zero 0
		.amdhsa_exception_fp_ieee_overflow 0
		.amdhsa_exception_fp_ieee_underflow 0
		.amdhsa_exception_fp_ieee_inexact 0
		.amdhsa_exception_int_div_zero 0
	.end_amdhsa_kernel
	.section	.text._ZN7rocprim17ROCPRIM_400000_NS6detail17trampoline_kernelINS0_14default_configENS1_20scan_config_selectorIfEEZZNS1_9scan_implILNS1_25lookback_scan_determinismE0ELb1ELb1ES3_N6thrust23THRUST_200600_302600_NS6detail15normal_iteratorINS9_10device_ptrIiEEEENSB_INSC_IfEEEEfNS9_4plusIvEEfEEDaPvRmT3_T4_T5_mT6_P12ihipStream_tbENKUlT_T0_E_clISt17integral_constantIbLb1EESV_IbLb0EEEEDaSR_SS_EUlSR_E_NS1_11comp_targetILNS1_3genE4ELNS1_11target_archE910ELNS1_3gpuE8ELNS1_3repE0EEENS1_30default_config_static_selectorELNS0_4arch9wavefront6targetE1EEEvT1_,"axG",@progbits,_ZN7rocprim17ROCPRIM_400000_NS6detail17trampoline_kernelINS0_14default_configENS1_20scan_config_selectorIfEEZZNS1_9scan_implILNS1_25lookback_scan_determinismE0ELb1ELb1ES3_N6thrust23THRUST_200600_302600_NS6detail15normal_iteratorINS9_10device_ptrIiEEEENSB_INSC_IfEEEEfNS9_4plusIvEEfEEDaPvRmT3_T4_T5_mT6_P12ihipStream_tbENKUlT_T0_E_clISt17integral_constantIbLb1EESV_IbLb0EEEEDaSR_SS_EUlSR_E_NS1_11comp_targetILNS1_3genE4ELNS1_11target_archE910ELNS1_3gpuE8ELNS1_3repE0EEENS1_30default_config_static_selectorELNS0_4arch9wavefront6targetE1EEEvT1_,comdat
.Lfunc_end1752:
	.size	_ZN7rocprim17ROCPRIM_400000_NS6detail17trampoline_kernelINS0_14default_configENS1_20scan_config_selectorIfEEZZNS1_9scan_implILNS1_25lookback_scan_determinismE0ELb1ELb1ES3_N6thrust23THRUST_200600_302600_NS6detail15normal_iteratorINS9_10device_ptrIiEEEENSB_INSC_IfEEEEfNS9_4plusIvEEfEEDaPvRmT3_T4_T5_mT6_P12ihipStream_tbENKUlT_T0_E_clISt17integral_constantIbLb1EESV_IbLb0EEEEDaSR_SS_EUlSR_E_NS1_11comp_targetILNS1_3genE4ELNS1_11target_archE910ELNS1_3gpuE8ELNS1_3repE0EEENS1_30default_config_static_selectorELNS0_4arch9wavefront6targetE1EEEvT1_, .Lfunc_end1752-_ZN7rocprim17ROCPRIM_400000_NS6detail17trampoline_kernelINS0_14default_configENS1_20scan_config_selectorIfEEZZNS1_9scan_implILNS1_25lookback_scan_determinismE0ELb1ELb1ES3_N6thrust23THRUST_200600_302600_NS6detail15normal_iteratorINS9_10device_ptrIiEEEENSB_INSC_IfEEEEfNS9_4plusIvEEfEEDaPvRmT3_T4_T5_mT6_P12ihipStream_tbENKUlT_T0_E_clISt17integral_constantIbLb1EESV_IbLb0EEEEDaSR_SS_EUlSR_E_NS1_11comp_targetILNS1_3genE4ELNS1_11target_archE910ELNS1_3gpuE8ELNS1_3repE0EEENS1_30default_config_static_selectorELNS0_4arch9wavefront6targetE1EEEvT1_
                                        ; -- End function
	.section	.AMDGPU.csdata,"",@progbits
; Kernel info:
; codeLenInByte = 5844
; NumSgprs: 35
; NumVgprs: 49
; NumAgprs: 0
; TotalNumVgprs: 49
; ScratchSize: 0
; MemoryBound: 0
; FloatMode: 240
; IeeeMode: 1
; LDSByteSize: 7168 bytes/workgroup (compile time only)
; SGPRBlocks: 4
; VGPRBlocks: 6
; NumSGPRsForWavesPerEU: 35
; NumVGPRsForWavesPerEU: 49
; AccumOffset: 52
; Occupancy: 5
; WaveLimiterHint : 1
; COMPUTE_PGM_RSRC2:SCRATCH_EN: 0
; COMPUTE_PGM_RSRC2:USER_SGPR: 6
; COMPUTE_PGM_RSRC2:TRAP_HANDLER: 0
; COMPUTE_PGM_RSRC2:TGID_X_EN: 1
; COMPUTE_PGM_RSRC2:TGID_Y_EN: 0
; COMPUTE_PGM_RSRC2:TGID_Z_EN: 0
; COMPUTE_PGM_RSRC2:TIDIG_COMP_CNT: 0
; COMPUTE_PGM_RSRC3_GFX90A:ACCUM_OFFSET: 12
; COMPUTE_PGM_RSRC3_GFX90A:TG_SPLIT: 0
	.section	.text._ZN7rocprim17ROCPRIM_400000_NS6detail17trampoline_kernelINS0_14default_configENS1_20scan_config_selectorIfEEZZNS1_9scan_implILNS1_25lookback_scan_determinismE0ELb1ELb1ES3_N6thrust23THRUST_200600_302600_NS6detail15normal_iteratorINS9_10device_ptrIiEEEENSB_INSC_IfEEEEfNS9_4plusIvEEfEEDaPvRmT3_T4_T5_mT6_P12ihipStream_tbENKUlT_T0_E_clISt17integral_constantIbLb1EESV_IbLb0EEEEDaSR_SS_EUlSR_E_NS1_11comp_targetILNS1_3genE3ELNS1_11target_archE908ELNS1_3gpuE7ELNS1_3repE0EEENS1_30default_config_static_selectorELNS0_4arch9wavefront6targetE1EEEvT1_,"axG",@progbits,_ZN7rocprim17ROCPRIM_400000_NS6detail17trampoline_kernelINS0_14default_configENS1_20scan_config_selectorIfEEZZNS1_9scan_implILNS1_25lookback_scan_determinismE0ELb1ELb1ES3_N6thrust23THRUST_200600_302600_NS6detail15normal_iteratorINS9_10device_ptrIiEEEENSB_INSC_IfEEEEfNS9_4plusIvEEfEEDaPvRmT3_T4_T5_mT6_P12ihipStream_tbENKUlT_T0_E_clISt17integral_constantIbLb1EESV_IbLb0EEEEDaSR_SS_EUlSR_E_NS1_11comp_targetILNS1_3genE3ELNS1_11target_archE908ELNS1_3gpuE7ELNS1_3repE0EEENS1_30default_config_static_selectorELNS0_4arch9wavefront6targetE1EEEvT1_,comdat
	.protected	_ZN7rocprim17ROCPRIM_400000_NS6detail17trampoline_kernelINS0_14default_configENS1_20scan_config_selectorIfEEZZNS1_9scan_implILNS1_25lookback_scan_determinismE0ELb1ELb1ES3_N6thrust23THRUST_200600_302600_NS6detail15normal_iteratorINS9_10device_ptrIiEEEENSB_INSC_IfEEEEfNS9_4plusIvEEfEEDaPvRmT3_T4_T5_mT6_P12ihipStream_tbENKUlT_T0_E_clISt17integral_constantIbLb1EESV_IbLb0EEEEDaSR_SS_EUlSR_E_NS1_11comp_targetILNS1_3genE3ELNS1_11target_archE908ELNS1_3gpuE7ELNS1_3repE0EEENS1_30default_config_static_selectorELNS0_4arch9wavefront6targetE1EEEvT1_ ; -- Begin function _ZN7rocprim17ROCPRIM_400000_NS6detail17trampoline_kernelINS0_14default_configENS1_20scan_config_selectorIfEEZZNS1_9scan_implILNS1_25lookback_scan_determinismE0ELb1ELb1ES3_N6thrust23THRUST_200600_302600_NS6detail15normal_iteratorINS9_10device_ptrIiEEEENSB_INSC_IfEEEEfNS9_4plusIvEEfEEDaPvRmT3_T4_T5_mT6_P12ihipStream_tbENKUlT_T0_E_clISt17integral_constantIbLb1EESV_IbLb0EEEEDaSR_SS_EUlSR_E_NS1_11comp_targetILNS1_3genE3ELNS1_11target_archE908ELNS1_3gpuE7ELNS1_3repE0EEENS1_30default_config_static_selectorELNS0_4arch9wavefront6targetE1EEEvT1_
	.globl	_ZN7rocprim17ROCPRIM_400000_NS6detail17trampoline_kernelINS0_14default_configENS1_20scan_config_selectorIfEEZZNS1_9scan_implILNS1_25lookback_scan_determinismE0ELb1ELb1ES3_N6thrust23THRUST_200600_302600_NS6detail15normal_iteratorINS9_10device_ptrIiEEEENSB_INSC_IfEEEEfNS9_4plusIvEEfEEDaPvRmT3_T4_T5_mT6_P12ihipStream_tbENKUlT_T0_E_clISt17integral_constantIbLb1EESV_IbLb0EEEEDaSR_SS_EUlSR_E_NS1_11comp_targetILNS1_3genE3ELNS1_11target_archE908ELNS1_3gpuE7ELNS1_3repE0EEENS1_30default_config_static_selectorELNS0_4arch9wavefront6targetE1EEEvT1_
	.p2align	8
	.type	_ZN7rocprim17ROCPRIM_400000_NS6detail17trampoline_kernelINS0_14default_configENS1_20scan_config_selectorIfEEZZNS1_9scan_implILNS1_25lookback_scan_determinismE0ELb1ELb1ES3_N6thrust23THRUST_200600_302600_NS6detail15normal_iteratorINS9_10device_ptrIiEEEENSB_INSC_IfEEEEfNS9_4plusIvEEfEEDaPvRmT3_T4_T5_mT6_P12ihipStream_tbENKUlT_T0_E_clISt17integral_constantIbLb1EESV_IbLb0EEEEDaSR_SS_EUlSR_E_NS1_11comp_targetILNS1_3genE3ELNS1_11target_archE908ELNS1_3gpuE7ELNS1_3repE0EEENS1_30default_config_static_selectorELNS0_4arch9wavefront6targetE1EEEvT1_,@function
_ZN7rocprim17ROCPRIM_400000_NS6detail17trampoline_kernelINS0_14default_configENS1_20scan_config_selectorIfEEZZNS1_9scan_implILNS1_25lookback_scan_determinismE0ELb1ELb1ES3_N6thrust23THRUST_200600_302600_NS6detail15normal_iteratorINS9_10device_ptrIiEEEENSB_INSC_IfEEEEfNS9_4plusIvEEfEEDaPvRmT3_T4_T5_mT6_P12ihipStream_tbENKUlT_T0_E_clISt17integral_constantIbLb1EESV_IbLb0EEEEDaSR_SS_EUlSR_E_NS1_11comp_targetILNS1_3genE3ELNS1_11target_archE908ELNS1_3gpuE7ELNS1_3repE0EEENS1_30default_config_static_selectorELNS0_4arch9wavefront6targetE1EEEvT1_: ; @_ZN7rocprim17ROCPRIM_400000_NS6detail17trampoline_kernelINS0_14default_configENS1_20scan_config_selectorIfEEZZNS1_9scan_implILNS1_25lookback_scan_determinismE0ELb1ELb1ES3_N6thrust23THRUST_200600_302600_NS6detail15normal_iteratorINS9_10device_ptrIiEEEENSB_INSC_IfEEEEfNS9_4plusIvEEfEEDaPvRmT3_T4_T5_mT6_P12ihipStream_tbENKUlT_T0_E_clISt17integral_constantIbLb1EESV_IbLb0EEEEDaSR_SS_EUlSR_E_NS1_11comp_targetILNS1_3genE3ELNS1_11target_archE908ELNS1_3gpuE7ELNS1_3repE0EEENS1_30default_config_static_selectorELNS0_4arch9wavefront6targetE1EEEvT1_
; %bb.0:
	.section	.rodata,"a",@progbits
	.p2align	6, 0x0
	.amdhsa_kernel _ZN7rocprim17ROCPRIM_400000_NS6detail17trampoline_kernelINS0_14default_configENS1_20scan_config_selectorIfEEZZNS1_9scan_implILNS1_25lookback_scan_determinismE0ELb1ELb1ES3_N6thrust23THRUST_200600_302600_NS6detail15normal_iteratorINS9_10device_ptrIiEEEENSB_INSC_IfEEEEfNS9_4plusIvEEfEEDaPvRmT3_T4_T5_mT6_P12ihipStream_tbENKUlT_T0_E_clISt17integral_constantIbLb1EESV_IbLb0EEEEDaSR_SS_EUlSR_E_NS1_11comp_targetILNS1_3genE3ELNS1_11target_archE908ELNS1_3gpuE7ELNS1_3repE0EEENS1_30default_config_static_selectorELNS0_4arch9wavefront6targetE1EEEvT1_
		.amdhsa_group_segment_fixed_size 0
		.amdhsa_private_segment_fixed_size 0
		.amdhsa_kernarg_size 96
		.amdhsa_user_sgpr_count 6
		.amdhsa_user_sgpr_private_segment_buffer 1
		.amdhsa_user_sgpr_dispatch_ptr 0
		.amdhsa_user_sgpr_queue_ptr 0
		.amdhsa_user_sgpr_kernarg_segment_ptr 1
		.amdhsa_user_sgpr_dispatch_id 0
		.amdhsa_user_sgpr_flat_scratch_init 0
		.amdhsa_user_sgpr_kernarg_preload_length 0
		.amdhsa_user_sgpr_kernarg_preload_offset 0
		.amdhsa_user_sgpr_private_segment_size 0
		.amdhsa_uses_dynamic_stack 0
		.amdhsa_system_sgpr_private_segment_wavefront_offset 0
		.amdhsa_system_sgpr_workgroup_id_x 1
		.amdhsa_system_sgpr_workgroup_id_y 0
		.amdhsa_system_sgpr_workgroup_id_z 0
		.amdhsa_system_sgpr_workgroup_info 0
		.amdhsa_system_vgpr_workitem_id 0
		.amdhsa_next_free_vgpr 1
		.amdhsa_next_free_sgpr 0
		.amdhsa_accum_offset 4
		.amdhsa_reserve_vcc 0
		.amdhsa_reserve_flat_scratch 0
		.amdhsa_float_round_mode_32 0
		.amdhsa_float_round_mode_16_64 0
		.amdhsa_float_denorm_mode_32 3
		.amdhsa_float_denorm_mode_16_64 3
		.amdhsa_dx10_clamp 1
		.amdhsa_ieee_mode 1
		.amdhsa_fp16_overflow 0
		.amdhsa_tg_split 0
		.amdhsa_exception_fp_ieee_invalid_op 0
		.amdhsa_exception_fp_denorm_src 0
		.amdhsa_exception_fp_ieee_div_zero 0
		.amdhsa_exception_fp_ieee_overflow 0
		.amdhsa_exception_fp_ieee_underflow 0
		.amdhsa_exception_fp_ieee_inexact 0
		.amdhsa_exception_int_div_zero 0
	.end_amdhsa_kernel
	.section	.text._ZN7rocprim17ROCPRIM_400000_NS6detail17trampoline_kernelINS0_14default_configENS1_20scan_config_selectorIfEEZZNS1_9scan_implILNS1_25lookback_scan_determinismE0ELb1ELb1ES3_N6thrust23THRUST_200600_302600_NS6detail15normal_iteratorINS9_10device_ptrIiEEEENSB_INSC_IfEEEEfNS9_4plusIvEEfEEDaPvRmT3_T4_T5_mT6_P12ihipStream_tbENKUlT_T0_E_clISt17integral_constantIbLb1EESV_IbLb0EEEEDaSR_SS_EUlSR_E_NS1_11comp_targetILNS1_3genE3ELNS1_11target_archE908ELNS1_3gpuE7ELNS1_3repE0EEENS1_30default_config_static_selectorELNS0_4arch9wavefront6targetE1EEEvT1_,"axG",@progbits,_ZN7rocprim17ROCPRIM_400000_NS6detail17trampoline_kernelINS0_14default_configENS1_20scan_config_selectorIfEEZZNS1_9scan_implILNS1_25lookback_scan_determinismE0ELb1ELb1ES3_N6thrust23THRUST_200600_302600_NS6detail15normal_iteratorINS9_10device_ptrIiEEEENSB_INSC_IfEEEEfNS9_4plusIvEEfEEDaPvRmT3_T4_T5_mT6_P12ihipStream_tbENKUlT_T0_E_clISt17integral_constantIbLb1EESV_IbLb0EEEEDaSR_SS_EUlSR_E_NS1_11comp_targetILNS1_3genE3ELNS1_11target_archE908ELNS1_3gpuE7ELNS1_3repE0EEENS1_30default_config_static_selectorELNS0_4arch9wavefront6targetE1EEEvT1_,comdat
.Lfunc_end1753:
	.size	_ZN7rocprim17ROCPRIM_400000_NS6detail17trampoline_kernelINS0_14default_configENS1_20scan_config_selectorIfEEZZNS1_9scan_implILNS1_25lookback_scan_determinismE0ELb1ELb1ES3_N6thrust23THRUST_200600_302600_NS6detail15normal_iteratorINS9_10device_ptrIiEEEENSB_INSC_IfEEEEfNS9_4plusIvEEfEEDaPvRmT3_T4_T5_mT6_P12ihipStream_tbENKUlT_T0_E_clISt17integral_constantIbLb1EESV_IbLb0EEEEDaSR_SS_EUlSR_E_NS1_11comp_targetILNS1_3genE3ELNS1_11target_archE908ELNS1_3gpuE7ELNS1_3repE0EEENS1_30default_config_static_selectorELNS0_4arch9wavefront6targetE1EEEvT1_, .Lfunc_end1753-_ZN7rocprim17ROCPRIM_400000_NS6detail17trampoline_kernelINS0_14default_configENS1_20scan_config_selectorIfEEZZNS1_9scan_implILNS1_25lookback_scan_determinismE0ELb1ELb1ES3_N6thrust23THRUST_200600_302600_NS6detail15normal_iteratorINS9_10device_ptrIiEEEENSB_INSC_IfEEEEfNS9_4plusIvEEfEEDaPvRmT3_T4_T5_mT6_P12ihipStream_tbENKUlT_T0_E_clISt17integral_constantIbLb1EESV_IbLb0EEEEDaSR_SS_EUlSR_E_NS1_11comp_targetILNS1_3genE3ELNS1_11target_archE908ELNS1_3gpuE7ELNS1_3repE0EEENS1_30default_config_static_selectorELNS0_4arch9wavefront6targetE1EEEvT1_
                                        ; -- End function
	.section	.AMDGPU.csdata,"",@progbits
; Kernel info:
; codeLenInByte = 0
; NumSgprs: 4
; NumVgprs: 0
; NumAgprs: 0
; TotalNumVgprs: 0
; ScratchSize: 0
; MemoryBound: 0
; FloatMode: 240
; IeeeMode: 1
; LDSByteSize: 0 bytes/workgroup (compile time only)
; SGPRBlocks: 0
; VGPRBlocks: 0
; NumSGPRsForWavesPerEU: 4
; NumVGPRsForWavesPerEU: 1
; AccumOffset: 4
; Occupancy: 8
; WaveLimiterHint : 0
; COMPUTE_PGM_RSRC2:SCRATCH_EN: 0
; COMPUTE_PGM_RSRC2:USER_SGPR: 6
; COMPUTE_PGM_RSRC2:TRAP_HANDLER: 0
; COMPUTE_PGM_RSRC2:TGID_X_EN: 1
; COMPUTE_PGM_RSRC2:TGID_Y_EN: 0
; COMPUTE_PGM_RSRC2:TGID_Z_EN: 0
; COMPUTE_PGM_RSRC2:TIDIG_COMP_CNT: 0
; COMPUTE_PGM_RSRC3_GFX90A:ACCUM_OFFSET: 0
; COMPUTE_PGM_RSRC3_GFX90A:TG_SPLIT: 0
	.section	.text._ZN7rocprim17ROCPRIM_400000_NS6detail17trampoline_kernelINS0_14default_configENS1_20scan_config_selectorIfEEZZNS1_9scan_implILNS1_25lookback_scan_determinismE0ELb1ELb1ES3_N6thrust23THRUST_200600_302600_NS6detail15normal_iteratorINS9_10device_ptrIiEEEENSB_INSC_IfEEEEfNS9_4plusIvEEfEEDaPvRmT3_T4_T5_mT6_P12ihipStream_tbENKUlT_T0_E_clISt17integral_constantIbLb1EESV_IbLb0EEEEDaSR_SS_EUlSR_E_NS1_11comp_targetILNS1_3genE2ELNS1_11target_archE906ELNS1_3gpuE6ELNS1_3repE0EEENS1_30default_config_static_selectorELNS0_4arch9wavefront6targetE1EEEvT1_,"axG",@progbits,_ZN7rocprim17ROCPRIM_400000_NS6detail17trampoline_kernelINS0_14default_configENS1_20scan_config_selectorIfEEZZNS1_9scan_implILNS1_25lookback_scan_determinismE0ELb1ELb1ES3_N6thrust23THRUST_200600_302600_NS6detail15normal_iteratorINS9_10device_ptrIiEEEENSB_INSC_IfEEEEfNS9_4plusIvEEfEEDaPvRmT3_T4_T5_mT6_P12ihipStream_tbENKUlT_T0_E_clISt17integral_constantIbLb1EESV_IbLb0EEEEDaSR_SS_EUlSR_E_NS1_11comp_targetILNS1_3genE2ELNS1_11target_archE906ELNS1_3gpuE6ELNS1_3repE0EEENS1_30default_config_static_selectorELNS0_4arch9wavefront6targetE1EEEvT1_,comdat
	.protected	_ZN7rocprim17ROCPRIM_400000_NS6detail17trampoline_kernelINS0_14default_configENS1_20scan_config_selectorIfEEZZNS1_9scan_implILNS1_25lookback_scan_determinismE0ELb1ELb1ES3_N6thrust23THRUST_200600_302600_NS6detail15normal_iteratorINS9_10device_ptrIiEEEENSB_INSC_IfEEEEfNS9_4plusIvEEfEEDaPvRmT3_T4_T5_mT6_P12ihipStream_tbENKUlT_T0_E_clISt17integral_constantIbLb1EESV_IbLb0EEEEDaSR_SS_EUlSR_E_NS1_11comp_targetILNS1_3genE2ELNS1_11target_archE906ELNS1_3gpuE6ELNS1_3repE0EEENS1_30default_config_static_selectorELNS0_4arch9wavefront6targetE1EEEvT1_ ; -- Begin function _ZN7rocprim17ROCPRIM_400000_NS6detail17trampoline_kernelINS0_14default_configENS1_20scan_config_selectorIfEEZZNS1_9scan_implILNS1_25lookback_scan_determinismE0ELb1ELb1ES3_N6thrust23THRUST_200600_302600_NS6detail15normal_iteratorINS9_10device_ptrIiEEEENSB_INSC_IfEEEEfNS9_4plusIvEEfEEDaPvRmT3_T4_T5_mT6_P12ihipStream_tbENKUlT_T0_E_clISt17integral_constantIbLb1EESV_IbLb0EEEEDaSR_SS_EUlSR_E_NS1_11comp_targetILNS1_3genE2ELNS1_11target_archE906ELNS1_3gpuE6ELNS1_3repE0EEENS1_30default_config_static_selectorELNS0_4arch9wavefront6targetE1EEEvT1_
	.globl	_ZN7rocprim17ROCPRIM_400000_NS6detail17trampoline_kernelINS0_14default_configENS1_20scan_config_selectorIfEEZZNS1_9scan_implILNS1_25lookback_scan_determinismE0ELb1ELb1ES3_N6thrust23THRUST_200600_302600_NS6detail15normal_iteratorINS9_10device_ptrIiEEEENSB_INSC_IfEEEEfNS9_4plusIvEEfEEDaPvRmT3_T4_T5_mT6_P12ihipStream_tbENKUlT_T0_E_clISt17integral_constantIbLb1EESV_IbLb0EEEEDaSR_SS_EUlSR_E_NS1_11comp_targetILNS1_3genE2ELNS1_11target_archE906ELNS1_3gpuE6ELNS1_3repE0EEENS1_30default_config_static_selectorELNS0_4arch9wavefront6targetE1EEEvT1_
	.p2align	8
	.type	_ZN7rocprim17ROCPRIM_400000_NS6detail17trampoline_kernelINS0_14default_configENS1_20scan_config_selectorIfEEZZNS1_9scan_implILNS1_25lookback_scan_determinismE0ELb1ELb1ES3_N6thrust23THRUST_200600_302600_NS6detail15normal_iteratorINS9_10device_ptrIiEEEENSB_INSC_IfEEEEfNS9_4plusIvEEfEEDaPvRmT3_T4_T5_mT6_P12ihipStream_tbENKUlT_T0_E_clISt17integral_constantIbLb1EESV_IbLb0EEEEDaSR_SS_EUlSR_E_NS1_11comp_targetILNS1_3genE2ELNS1_11target_archE906ELNS1_3gpuE6ELNS1_3repE0EEENS1_30default_config_static_selectorELNS0_4arch9wavefront6targetE1EEEvT1_,@function
_ZN7rocprim17ROCPRIM_400000_NS6detail17trampoline_kernelINS0_14default_configENS1_20scan_config_selectorIfEEZZNS1_9scan_implILNS1_25lookback_scan_determinismE0ELb1ELb1ES3_N6thrust23THRUST_200600_302600_NS6detail15normal_iteratorINS9_10device_ptrIiEEEENSB_INSC_IfEEEEfNS9_4plusIvEEfEEDaPvRmT3_T4_T5_mT6_P12ihipStream_tbENKUlT_T0_E_clISt17integral_constantIbLb1EESV_IbLb0EEEEDaSR_SS_EUlSR_E_NS1_11comp_targetILNS1_3genE2ELNS1_11target_archE906ELNS1_3gpuE6ELNS1_3repE0EEENS1_30default_config_static_selectorELNS0_4arch9wavefront6targetE1EEEvT1_: ; @_ZN7rocprim17ROCPRIM_400000_NS6detail17trampoline_kernelINS0_14default_configENS1_20scan_config_selectorIfEEZZNS1_9scan_implILNS1_25lookback_scan_determinismE0ELb1ELb1ES3_N6thrust23THRUST_200600_302600_NS6detail15normal_iteratorINS9_10device_ptrIiEEEENSB_INSC_IfEEEEfNS9_4plusIvEEfEEDaPvRmT3_T4_T5_mT6_P12ihipStream_tbENKUlT_T0_E_clISt17integral_constantIbLb1EESV_IbLb0EEEEDaSR_SS_EUlSR_E_NS1_11comp_targetILNS1_3genE2ELNS1_11target_archE906ELNS1_3gpuE6ELNS1_3repE0EEENS1_30default_config_static_selectorELNS0_4arch9wavefront6targetE1EEEvT1_
; %bb.0:
	.section	.rodata,"a",@progbits
	.p2align	6, 0x0
	.amdhsa_kernel _ZN7rocprim17ROCPRIM_400000_NS6detail17trampoline_kernelINS0_14default_configENS1_20scan_config_selectorIfEEZZNS1_9scan_implILNS1_25lookback_scan_determinismE0ELb1ELb1ES3_N6thrust23THRUST_200600_302600_NS6detail15normal_iteratorINS9_10device_ptrIiEEEENSB_INSC_IfEEEEfNS9_4plusIvEEfEEDaPvRmT3_T4_T5_mT6_P12ihipStream_tbENKUlT_T0_E_clISt17integral_constantIbLb1EESV_IbLb0EEEEDaSR_SS_EUlSR_E_NS1_11comp_targetILNS1_3genE2ELNS1_11target_archE906ELNS1_3gpuE6ELNS1_3repE0EEENS1_30default_config_static_selectorELNS0_4arch9wavefront6targetE1EEEvT1_
		.amdhsa_group_segment_fixed_size 0
		.amdhsa_private_segment_fixed_size 0
		.amdhsa_kernarg_size 96
		.amdhsa_user_sgpr_count 6
		.amdhsa_user_sgpr_private_segment_buffer 1
		.amdhsa_user_sgpr_dispatch_ptr 0
		.amdhsa_user_sgpr_queue_ptr 0
		.amdhsa_user_sgpr_kernarg_segment_ptr 1
		.amdhsa_user_sgpr_dispatch_id 0
		.amdhsa_user_sgpr_flat_scratch_init 0
		.amdhsa_user_sgpr_kernarg_preload_length 0
		.amdhsa_user_sgpr_kernarg_preload_offset 0
		.amdhsa_user_sgpr_private_segment_size 0
		.amdhsa_uses_dynamic_stack 0
		.amdhsa_system_sgpr_private_segment_wavefront_offset 0
		.amdhsa_system_sgpr_workgroup_id_x 1
		.amdhsa_system_sgpr_workgroup_id_y 0
		.amdhsa_system_sgpr_workgroup_id_z 0
		.amdhsa_system_sgpr_workgroup_info 0
		.amdhsa_system_vgpr_workitem_id 0
		.amdhsa_next_free_vgpr 1
		.amdhsa_next_free_sgpr 0
		.amdhsa_accum_offset 4
		.amdhsa_reserve_vcc 0
		.amdhsa_reserve_flat_scratch 0
		.amdhsa_float_round_mode_32 0
		.amdhsa_float_round_mode_16_64 0
		.amdhsa_float_denorm_mode_32 3
		.amdhsa_float_denorm_mode_16_64 3
		.amdhsa_dx10_clamp 1
		.amdhsa_ieee_mode 1
		.amdhsa_fp16_overflow 0
		.amdhsa_tg_split 0
		.amdhsa_exception_fp_ieee_invalid_op 0
		.amdhsa_exception_fp_denorm_src 0
		.amdhsa_exception_fp_ieee_div_zero 0
		.amdhsa_exception_fp_ieee_overflow 0
		.amdhsa_exception_fp_ieee_underflow 0
		.amdhsa_exception_fp_ieee_inexact 0
		.amdhsa_exception_int_div_zero 0
	.end_amdhsa_kernel
	.section	.text._ZN7rocprim17ROCPRIM_400000_NS6detail17trampoline_kernelINS0_14default_configENS1_20scan_config_selectorIfEEZZNS1_9scan_implILNS1_25lookback_scan_determinismE0ELb1ELb1ES3_N6thrust23THRUST_200600_302600_NS6detail15normal_iteratorINS9_10device_ptrIiEEEENSB_INSC_IfEEEEfNS9_4plusIvEEfEEDaPvRmT3_T4_T5_mT6_P12ihipStream_tbENKUlT_T0_E_clISt17integral_constantIbLb1EESV_IbLb0EEEEDaSR_SS_EUlSR_E_NS1_11comp_targetILNS1_3genE2ELNS1_11target_archE906ELNS1_3gpuE6ELNS1_3repE0EEENS1_30default_config_static_selectorELNS0_4arch9wavefront6targetE1EEEvT1_,"axG",@progbits,_ZN7rocprim17ROCPRIM_400000_NS6detail17trampoline_kernelINS0_14default_configENS1_20scan_config_selectorIfEEZZNS1_9scan_implILNS1_25lookback_scan_determinismE0ELb1ELb1ES3_N6thrust23THRUST_200600_302600_NS6detail15normal_iteratorINS9_10device_ptrIiEEEENSB_INSC_IfEEEEfNS9_4plusIvEEfEEDaPvRmT3_T4_T5_mT6_P12ihipStream_tbENKUlT_T0_E_clISt17integral_constantIbLb1EESV_IbLb0EEEEDaSR_SS_EUlSR_E_NS1_11comp_targetILNS1_3genE2ELNS1_11target_archE906ELNS1_3gpuE6ELNS1_3repE0EEENS1_30default_config_static_selectorELNS0_4arch9wavefront6targetE1EEEvT1_,comdat
.Lfunc_end1754:
	.size	_ZN7rocprim17ROCPRIM_400000_NS6detail17trampoline_kernelINS0_14default_configENS1_20scan_config_selectorIfEEZZNS1_9scan_implILNS1_25lookback_scan_determinismE0ELb1ELb1ES3_N6thrust23THRUST_200600_302600_NS6detail15normal_iteratorINS9_10device_ptrIiEEEENSB_INSC_IfEEEEfNS9_4plusIvEEfEEDaPvRmT3_T4_T5_mT6_P12ihipStream_tbENKUlT_T0_E_clISt17integral_constantIbLb1EESV_IbLb0EEEEDaSR_SS_EUlSR_E_NS1_11comp_targetILNS1_3genE2ELNS1_11target_archE906ELNS1_3gpuE6ELNS1_3repE0EEENS1_30default_config_static_selectorELNS0_4arch9wavefront6targetE1EEEvT1_, .Lfunc_end1754-_ZN7rocprim17ROCPRIM_400000_NS6detail17trampoline_kernelINS0_14default_configENS1_20scan_config_selectorIfEEZZNS1_9scan_implILNS1_25lookback_scan_determinismE0ELb1ELb1ES3_N6thrust23THRUST_200600_302600_NS6detail15normal_iteratorINS9_10device_ptrIiEEEENSB_INSC_IfEEEEfNS9_4plusIvEEfEEDaPvRmT3_T4_T5_mT6_P12ihipStream_tbENKUlT_T0_E_clISt17integral_constantIbLb1EESV_IbLb0EEEEDaSR_SS_EUlSR_E_NS1_11comp_targetILNS1_3genE2ELNS1_11target_archE906ELNS1_3gpuE6ELNS1_3repE0EEENS1_30default_config_static_selectorELNS0_4arch9wavefront6targetE1EEEvT1_
                                        ; -- End function
	.section	.AMDGPU.csdata,"",@progbits
; Kernel info:
; codeLenInByte = 0
; NumSgprs: 4
; NumVgprs: 0
; NumAgprs: 0
; TotalNumVgprs: 0
; ScratchSize: 0
; MemoryBound: 0
; FloatMode: 240
; IeeeMode: 1
; LDSByteSize: 0 bytes/workgroup (compile time only)
; SGPRBlocks: 0
; VGPRBlocks: 0
; NumSGPRsForWavesPerEU: 4
; NumVGPRsForWavesPerEU: 1
; AccumOffset: 4
; Occupancy: 8
; WaveLimiterHint : 0
; COMPUTE_PGM_RSRC2:SCRATCH_EN: 0
; COMPUTE_PGM_RSRC2:USER_SGPR: 6
; COMPUTE_PGM_RSRC2:TRAP_HANDLER: 0
; COMPUTE_PGM_RSRC2:TGID_X_EN: 1
; COMPUTE_PGM_RSRC2:TGID_Y_EN: 0
; COMPUTE_PGM_RSRC2:TGID_Z_EN: 0
; COMPUTE_PGM_RSRC2:TIDIG_COMP_CNT: 0
; COMPUTE_PGM_RSRC3_GFX90A:ACCUM_OFFSET: 0
; COMPUTE_PGM_RSRC3_GFX90A:TG_SPLIT: 0
	.section	.text._ZN7rocprim17ROCPRIM_400000_NS6detail17trampoline_kernelINS0_14default_configENS1_20scan_config_selectorIfEEZZNS1_9scan_implILNS1_25lookback_scan_determinismE0ELb1ELb1ES3_N6thrust23THRUST_200600_302600_NS6detail15normal_iteratorINS9_10device_ptrIiEEEENSB_INSC_IfEEEEfNS9_4plusIvEEfEEDaPvRmT3_T4_T5_mT6_P12ihipStream_tbENKUlT_T0_E_clISt17integral_constantIbLb1EESV_IbLb0EEEEDaSR_SS_EUlSR_E_NS1_11comp_targetILNS1_3genE10ELNS1_11target_archE1201ELNS1_3gpuE5ELNS1_3repE0EEENS1_30default_config_static_selectorELNS0_4arch9wavefront6targetE1EEEvT1_,"axG",@progbits,_ZN7rocprim17ROCPRIM_400000_NS6detail17trampoline_kernelINS0_14default_configENS1_20scan_config_selectorIfEEZZNS1_9scan_implILNS1_25lookback_scan_determinismE0ELb1ELb1ES3_N6thrust23THRUST_200600_302600_NS6detail15normal_iteratorINS9_10device_ptrIiEEEENSB_INSC_IfEEEEfNS9_4plusIvEEfEEDaPvRmT3_T4_T5_mT6_P12ihipStream_tbENKUlT_T0_E_clISt17integral_constantIbLb1EESV_IbLb0EEEEDaSR_SS_EUlSR_E_NS1_11comp_targetILNS1_3genE10ELNS1_11target_archE1201ELNS1_3gpuE5ELNS1_3repE0EEENS1_30default_config_static_selectorELNS0_4arch9wavefront6targetE1EEEvT1_,comdat
	.protected	_ZN7rocprim17ROCPRIM_400000_NS6detail17trampoline_kernelINS0_14default_configENS1_20scan_config_selectorIfEEZZNS1_9scan_implILNS1_25lookback_scan_determinismE0ELb1ELb1ES3_N6thrust23THRUST_200600_302600_NS6detail15normal_iteratorINS9_10device_ptrIiEEEENSB_INSC_IfEEEEfNS9_4plusIvEEfEEDaPvRmT3_T4_T5_mT6_P12ihipStream_tbENKUlT_T0_E_clISt17integral_constantIbLb1EESV_IbLb0EEEEDaSR_SS_EUlSR_E_NS1_11comp_targetILNS1_3genE10ELNS1_11target_archE1201ELNS1_3gpuE5ELNS1_3repE0EEENS1_30default_config_static_selectorELNS0_4arch9wavefront6targetE1EEEvT1_ ; -- Begin function _ZN7rocprim17ROCPRIM_400000_NS6detail17trampoline_kernelINS0_14default_configENS1_20scan_config_selectorIfEEZZNS1_9scan_implILNS1_25lookback_scan_determinismE0ELb1ELb1ES3_N6thrust23THRUST_200600_302600_NS6detail15normal_iteratorINS9_10device_ptrIiEEEENSB_INSC_IfEEEEfNS9_4plusIvEEfEEDaPvRmT3_T4_T5_mT6_P12ihipStream_tbENKUlT_T0_E_clISt17integral_constantIbLb1EESV_IbLb0EEEEDaSR_SS_EUlSR_E_NS1_11comp_targetILNS1_3genE10ELNS1_11target_archE1201ELNS1_3gpuE5ELNS1_3repE0EEENS1_30default_config_static_selectorELNS0_4arch9wavefront6targetE1EEEvT1_
	.globl	_ZN7rocprim17ROCPRIM_400000_NS6detail17trampoline_kernelINS0_14default_configENS1_20scan_config_selectorIfEEZZNS1_9scan_implILNS1_25lookback_scan_determinismE0ELb1ELb1ES3_N6thrust23THRUST_200600_302600_NS6detail15normal_iteratorINS9_10device_ptrIiEEEENSB_INSC_IfEEEEfNS9_4plusIvEEfEEDaPvRmT3_T4_T5_mT6_P12ihipStream_tbENKUlT_T0_E_clISt17integral_constantIbLb1EESV_IbLb0EEEEDaSR_SS_EUlSR_E_NS1_11comp_targetILNS1_3genE10ELNS1_11target_archE1201ELNS1_3gpuE5ELNS1_3repE0EEENS1_30default_config_static_selectorELNS0_4arch9wavefront6targetE1EEEvT1_
	.p2align	8
	.type	_ZN7rocprim17ROCPRIM_400000_NS6detail17trampoline_kernelINS0_14default_configENS1_20scan_config_selectorIfEEZZNS1_9scan_implILNS1_25lookback_scan_determinismE0ELb1ELb1ES3_N6thrust23THRUST_200600_302600_NS6detail15normal_iteratorINS9_10device_ptrIiEEEENSB_INSC_IfEEEEfNS9_4plusIvEEfEEDaPvRmT3_T4_T5_mT6_P12ihipStream_tbENKUlT_T0_E_clISt17integral_constantIbLb1EESV_IbLb0EEEEDaSR_SS_EUlSR_E_NS1_11comp_targetILNS1_3genE10ELNS1_11target_archE1201ELNS1_3gpuE5ELNS1_3repE0EEENS1_30default_config_static_selectorELNS0_4arch9wavefront6targetE1EEEvT1_,@function
_ZN7rocprim17ROCPRIM_400000_NS6detail17trampoline_kernelINS0_14default_configENS1_20scan_config_selectorIfEEZZNS1_9scan_implILNS1_25lookback_scan_determinismE0ELb1ELb1ES3_N6thrust23THRUST_200600_302600_NS6detail15normal_iteratorINS9_10device_ptrIiEEEENSB_INSC_IfEEEEfNS9_4plusIvEEfEEDaPvRmT3_T4_T5_mT6_P12ihipStream_tbENKUlT_T0_E_clISt17integral_constantIbLb1EESV_IbLb0EEEEDaSR_SS_EUlSR_E_NS1_11comp_targetILNS1_3genE10ELNS1_11target_archE1201ELNS1_3gpuE5ELNS1_3repE0EEENS1_30default_config_static_selectorELNS0_4arch9wavefront6targetE1EEEvT1_: ; @_ZN7rocprim17ROCPRIM_400000_NS6detail17trampoline_kernelINS0_14default_configENS1_20scan_config_selectorIfEEZZNS1_9scan_implILNS1_25lookback_scan_determinismE0ELb1ELb1ES3_N6thrust23THRUST_200600_302600_NS6detail15normal_iteratorINS9_10device_ptrIiEEEENSB_INSC_IfEEEEfNS9_4plusIvEEfEEDaPvRmT3_T4_T5_mT6_P12ihipStream_tbENKUlT_T0_E_clISt17integral_constantIbLb1EESV_IbLb0EEEEDaSR_SS_EUlSR_E_NS1_11comp_targetILNS1_3genE10ELNS1_11target_archE1201ELNS1_3gpuE5ELNS1_3repE0EEENS1_30default_config_static_selectorELNS0_4arch9wavefront6targetE1EEEvT1_
; %bb.0:
	.section	.rodata,"a",@progbits
	.p2align	6, 0x0
	.amdhsa_kernel _ZN7rocprim17ROCPRIM_400000_NS6detail17trampoline_kernelINS0_14default_configENS1_20scan_config_selectorIfEEZZNS1_9scan_implILNS1_25lookback_scan_determinismE0ELb1ELb1ES3_N6thrust23THRUST_200600_302600_NS6detail15normal_iteratorINS9_10device_ptrIiEEEENSB_INSC_IfEEEEfNS9_4plusIvEEfEEDaPvRmT3_T4_T5_mT6_P12ihipStream_tbENKUlT_T0_E_clISt17integral_constantIbLb1EESV_IbLb0EEEEDaSR_SS_EUlSR_E_NS1_11comp_targetILNS1_3genE10ELNS1_11target_archE1201ELNS1_3gpuE5ELNS1_3repE0EEENS1_30default_config_static_selectorELNS0_4arch9wavefront6targetE1EEEvT1_
		.amdhsa_group_segment_fixed_size 0
		.amdhsa_private_segment_fixed_size 0
		.amdhsa_kernarg_size 96
		.amdhsa_user_sgpr_count 6
		.amdhsa_user_sgpr_private_segment_buffer 1
		.amdhsa_user_sgpr_dispatch_ptr 0
		.amdhsa_user_sgpr_queue_ptr 0
		.amdhsa_user_sgpr_kernarg_segment_ptr 1
		.amdhsa_user_sgpr_dispatch_id 0
		.amdhsa_user_sgpr_flat_scratch_init 0
		.amdhsa_user_sgpr_kernarg_preload_length 0
		.amdhsa_user_sgpr_kernarg_preload_offset 0
		.amdhsa_user_sgpr_private_segment_size 0
		.amdhsa_uses_dynamic_stack 0
		.amdhsa_system_sgpr_private_segment_wavefront_offset 0
		.amdhsa_system_sgpr_workgroup_id_x 1
		.amdhsa_system_sgpr_workgroup_id_y 0
		.amdhsa_system_sgpr_workgroup_id_z 0
		.amdhsa_system_sgpr_workgroup_info 0
		.amdhsa_system_vgpr_workitem_id 0
		.amdhsa_next_free_vgpr 1
		.amdhsa_next_free_sgpr 0
		.amdhsa_accum_offset 4
		.amdhsa_reserve_vcc 0
		.amdhsa_reserve_flat_scratch 0
		.amdhsa_float_round_mode_32 0
		.amdhsa_float_round_mode_16_64 0
		.amdhsa_float_denorm_mode_32 3
		.amdhsa_float_denorm_mode_16_64 3
		.amdhsa_dx10_clamp 1
		.amdhsa_ieee_mode 1
		.amdhsa_fp16_overflow 0
		.amdhsa_tg_split 0
		.amdhsa_exception_fp_ieee_invalid_op 0
		.amdhsa_exception_fp_denorm_src 0
		.amdhsa_exception_fp_ieee_div_zero 0
		.amdhsa_exception_fp_ieee_overflow 0
		.amdhsa_exception_fp_ieee_underflow 0
		.amdhsa_exception_fp_ieee_inexact 0
		.amdhsa_exception_int_div_zero 0
	.end_amdhsa_kernel
	.section	.text._ZN7rocprim17ROCPRIM_400000_NS6detail17trampoline_kernelINS0_14default_configENS1_20scan_config_selectorIfEEZZNS1_9scan_implILNS1_25lookback_scan_determinismE0ELb1ELb1ES3_N6thrust23THRUST_200600_302600_NS6detail15normal_iteratorINS9_10device_ptrIiEEEENSB_INSC_IfEEEEfNS9_4plusIvEEfEEDaPvRmT3_T4_T5_mT6_P12ihipStream_tbENKUlT_T0_E_clISt17integral_constantIbLb1EESV_IbLb0EEEEDaSR_SS_EUlSR_E_NS1_11comp_targetILNS1_3genE10ELNS1_11target_archE1201ELNS1_3gpuE5ELNS1_3repE0EEENS1_30default_config_static_selectorELNS0_4arch9wavefront6targetE1EEEvT1_,"axG",@progbits,_ZN7rocprim17ROCPRIM_400000_NS6detail17trampoline_kernelINS0_14default_configENS1_20scan_config_selectorIfEEZZNS1_9scan_implILNS1_25lookback_scan_determinismE0ELb1ELb1ES3_N6thrust23THRUST_200600_302600_NS6detail15normal_iteratorINS9_10device_ptrIiEEEENSB_INSC_IfEEEEfNS9_4plusIvEEfEEDaPvRmT3_T4_T5_mT6_P12ihipStream_tbENKUlT_T0_E_clISt17integral_constantIbLb1EESV_IbLb0EEEEDaSR_SS_EUlSR_E_NS1_11comp_targetILNS1_3genE10ELNS1_11target_archE1201ELNS1_3gpuE5ELNS1_3repE0EEENS1_30default_config_static_selectorELNS0_4arch9wavefront6targetE1EEEvT1_,comdat
.Lfunc_end1755:
	.size	_ZN7rocprim17ROCPRIM_400000_NS6detail17trampoline_kernelINS0_14default_configENS1_20scan_config_selectorIfEEZZNS1_9scan_implILNS1_25lookback_scan_determinismE0ELb1ELb1ES3_N6thrust23THRUST_200600_302600_NS6detail15normal_iteratorINS9_10device_ptrIiEEEENSB_INSC_IfEEEEfNS9_4plusIvEEfEEDaPvRmT3_T4_T5_mT6_P12ihipStream_tbENKUlT_T0_E_clISt17integral_constantIbLb1EESV_IbLb0EEEEDaSR_SS_EUlSR_E_NS1_11comp_targetILNS1_3genE10ELNS1_11target_archE1201ELNS1_3gpuE5ELNS1_3repE0EEENS1_30default_config_static_selectorELNS0_4arch9wavefront6targetE1EEEvT1_, .Lfunc_end1755-_ZN7rocprim17ROCPRIM_400000_NS6detail17trampoline_kernelINS0_14default_configENS1_20scan_config_selectorIfEEZZNS1_9scan_implILNS1_25lookback_scan_determinismE0ELb1ELb1ES3_N6thrust23THRUST_200600_302600_NS6detail15normal_iteratorINS9_10device_ptrIiEEEENSB_INSC_IfEEEEfNS9_4plusIvEEfEEDaPvRmT3_T4_T5_mT6_P12ihipStream_tbENKUlT_T0_E_clISt17integral_constantIbLb1EESV_IbLb0EEEEDaSR_SS_EUlSR_E_NS1_11comp_targetILNS1_3genE10ELNS1_11target_archE1201ELNS1_3gpuE5ELNS1_3repE0EEENS1_30default_config_static_selectorELNS0_4arch9wavefront6targetE1EEEvT1_
                                        ; -- End function
	.section	.AMDGPU.csdata,"",@progbits
; Kernel info:
; codeLenInByte = 0
; NumSgprs: 4
; NumVgprs: 0
; NumAgprs: 0
; TotalNumVgprs: 0
; ScratchSize: 0
; MemoryBound: 0
; FloatMode: 240
; IeeeMode: 1
; LDSByteSize: 0 bytes/workgroup (compile time only)
; SGPRBlocks: 0
; VGPRBlocks: 0
; NumSGPRsForWavesPerEU: 4
; NumVGPRsForWavesPerEU: 1
; AccumOffset: 4
; Occupancy: 8
; WaveLimiterHint : 0
; COMPUTE_PGM_RSRC2:SCRATCH_EN: 0
; COMPUTE_PGM_RSRC2:USER_SGPR: 6
; COMPUTE_PGM_RSRC2:TRAP_HANDLER: 0
; COMPUTE_PGM_RSRC2:TGID_X_EN: 1
; COMPUTE_PGM_RSRC2:TGID_Y_EN: 0
; COMPUTE_PGM_RSRC2:TGID_Z_EN: 0
; COMPUTE_PGM_RSRC2:TIDIG_COMP_CNT: 0
; COMPUTE_PGM_RSRC3_GFX90A:ACCUM_OFFSET: 0
; COMPUTE_PGM_RSRC3_GFX90A:TG_SPLIT: 0
	.section	.text._ZN7rocprim17ROCPRIM_400000_NS6detail17trampoline_kernelINS0_14default_configENS1_20scan_config_selectorIfEEZZNS1_9scan_implILNS1_25lookback_scan_determinismE0ELb1ELb1ES3_N6thrust23THRUST_200600_302600_NS6detail15normal_iteratorINS9_10device_ptrIiEEEENSB_INSC_IfEEEEfNS9_4plusIvEEfEEDaPvRmT3_T4_T5_mT6_P12ihipStream_tbENKUlT_T0_E_clISt17integral_constantIbLb1EESV_IbLb0EEEEDaSR_SS_EUlSR_E_NS1_11comp_targetILNS1_3genE10ELNS1_11target_archE1200ELNS1_3gpuE4ELNS1_3repE0EEENS1_30default_config_static_selectorELNS0_4arch9wavefront6targetE1EEEvT1_,"axG",@progbits,_ZN7rocprim17ROCPRIM_400000_NS6detail17trampoline_kernelINS0_14default_configENS1_20scan_config_selectorIfEEZZNS1_9scan_implILNS1_25lookback_scan_determinismE0ELb1ELb1ES3_N6thrust23THRUST_200600_302600_NS6detail15normal_iteratorINS9_10device_ptrIiEEEENSB_INSC_IfEEEEfNS9_4plusIvEEfEEDaPvRmT3_T4_T5_mT6_P12ihipStream_tbENKUlT_T0_E_clISt17integral_constantIbLb1EESV_IbLb0EEEEDaSR_SS_EUlSR_E_NS1_11comp_targetILNS1_3genE10ELNS1_11target_archE1200ELNS1_3gpuE4ELNS1_3repE0EEENS1_30default_config_static_selectorELNS0_4arch9wavefront6targetE1EEEvT1_,comdat
	.protected	_ZN7rocprim17ROCPRIM_400000_NS6detail17trampoline_kernelINS0_14default_configENS1_20scan_config_selectorIfEEZZNS1_9scan_implILNS1_25lookback_scan_determinismE0ELb1ELb1ES3_N6thrust23THRUST_200600_302600_NS6detail15normal_iteratorINS9_10device_ptrIiEEEENSB_INSC_IfEEEEfNS9_4plusIvEEfEEDaPvRmT3_T4_T5_mT6_P12ihipStream_tbENKUlT_T0_E_clISt17integral_constantIbLb1EESV_IbLb0EEEEDaSR_SS_EUlSR_E_NS1_11comp_targetILNS1_3genE10ELNS1_11target_archE1200ELNS1_3gpuE4ELNS1_3repE0EEENS1_30default_config_static_selectorELNS0_4arch9wavefront6targetE1EEEvT1_ ; -- Begin function _ZN7rocprim17ROCPRIM_400000_NS6detail17trampoline_kernelINS0_14default_configENS1_20scan_config_selectorIfEEZZNS1_9scan_implILNS1_25lookback_scan_determinismE0ELb1ELb1ES3_N6thrust23THRUST_200600_302600_NS6detail15normal_iteratorINS9_10device_ptrIiEEEENSB_INSC_IfEEEEfNS9_4plusIvEEfEEDaPvRmT3_T4_T5_mT6_P12ihipStream_tbENKUlT_T0_E_clISt17integral_constantIbLb1EESV_IbLb0EEEEDaSR_SS_EUlSR_E_NS1_11comp_targetILNS1_3genE10ELNS1_11target_archE1200ELNS1_3gpuE4ELNS1_3repE0EEENS1_30default_config_static_selectorELNS0_4arch9wavefront6targetE1EEEvT1_
	.globl	_ZN7rocprim17ROCPRIM_400000_NS6detail17trampoline_kernelINS0_14default_configENS1_20scan_config_selectorIfEEZZNS1_9scan_implILNS1_25lookback_scan_determinismE0ELb1ELb1ES3_N6thrust23THRUST_200600_302600_NS6detail15normal_iteratorINS9_10device_ptrIiEEEENSB_INSC_IfEEEEfNS9_4plusIvEEfEEDaPvRmT3_T4_T5_mT6_P12ihipStream_tbENKUlT_T0_E_clISt17integral_constantIbLb1EESV_IbLb0EEEEDaSR_SS_EUlSR_E_NS1_11comp_targetILNS1_3genE10ELNS1_11target_archE1200ELNS1_3gpuE4ELNS1_3repE0EEENS1_30default_config_static_selectorELNS0_4arch9wavefront6targetE1EEEvT1_
	.p2align	8
	.type	_ZN7rocprim17ROCPRIM_400000_NS6detail17trampoline_kernelINS0_14default_configENS1_20scan_config_selectorIfEEZZNS1_9scan_implILNS1_25lookback_scan_determinismE0ELb1ELb1ES3_N6thrust23THRUST_200600_302600_NS6detail15normal_iteratorINS9_10device_ptrIiEEEENSB_INSC_IfEEEEfNS9_4plusIvEEfEEDaPvRmT3_T4_T5_mT6_P12ihipStream_tbENKUlT_T0_E_clISt17integral_constantIbLb1EESV_IbLb0EEEEDaSR_SS_EUlSR_E_NS1_11comp_targetILNS1_3genE10ELNS1_11target_archE1200ELNS1_3gpuE4ELNS1_3repE0EEENS1_30default_config_static_selectorELNS0_4arch9wavefront6targetE1EEEvT1_,@function
_ZN7rocprim17ROCPRIM_400000_NS6detail17trampoline_kernelINS0_14default_configENS1_20scan_config_selectorIfEEZZNS1_9scan_implILNS1_25lookback_scan_determinismE0ELb1ELb1ES3_N6thrust23THRUST_200600_302600_NS6detail15normal_iteratorINS9_10device_ptrIiEEEENSB_INSC_IfEEEEfNS9_4plusIvEEfEEDaPvRmT3_T4_T5_mT6_P12ihipStream_tbENKUlT_T0_E_clISt17integral_constantIbLb1EESV_IbLb0EEEEDaSR_SS_EUlSR_E_NS1_11comp_targetILNS1_3genE10ELNS1_11target_archE1200ELNS1_3gpuE4ELNS1_3repE0EEENS1_30default_config_static_selectorELNS0_4arch9wavefront6targetE1EEEvT1_: ; @_ZN7rocprim17ROCPRIM_400000_NS6detail17trampoline_kernelINS0_14default_configENS1_20scan_config_selectorIfEEZZNS1_9scan_implILNS1_25lookback_scan_determinismE0ELb1ELb1ES3_N6thrust23THRUST_200600_302600_NS6detail15normal_iteratorINS9_10device_ptrIiEEEENSB_INSC_IfEEEEfNS9_4plusIvEEfEEDaPvRmT3_T4_T5_mT6_P12ihipStream_tbENKUlT_T0_E_clISt17integral_constantIbLb1EESV_IbLb0EEEEDaSR_SS_EUlSR_E_NS1_11comp_targetILNS1_3genE10ELNS1_11target_archE1200ELNS1_3gpuE4ELNS1_3repE0EEENS1_30default_config_static_selectorELNS0_4arch9wavefront6targetE1EEEvT1_
; %bb.0:
	.section	.rodata,"a",@progbits
	.p2align	6, 0x0
	.amdhsa_kernel _ZN7rocprim17ROCPRIM_400000_NS6detail17trampoline_kernelINS0_14default_configENS1_20scan_config_selectorIfEEZZNS1_9scan_implILNS1_25lookback_scan_determinismE0ELb1ELb1ES3_N6thrust23THRUST_200600_302600_NS6detail15normal_iteratorINS9_10device_ptrIiEEEENSB_INSC_IfEEEEfNS9_4plusIvEEfEEDaPvRmT3_T4_T5_mT6_P12ihipStream_tbENKUlT_T0_E_clISt17integral_constantIbLb1EESV_IbLb0EEEEDaSR_SS_EUlSR_E_NS1_11comp_targetILNS1_3genE10ELNS1_11target_archE1200ELNS1_3gpuE4ELNS1_3repE0EEENS1_30default_config_static_selectorELNS0_4arch9wavefront6targetE1EEEvT1_
		.amdhsa_group_segment_fixed_size 0
		.amdhsa_private_segment_fixed_size 0
		.amdhsa_kernarg_size 96
		.amdhsa_user_sgpr_count 6
		.amdhsa_user_sgpr_private_segment_buffer 1
		.amdhsa_user_sgpr_dispatch_ptr 0
		.amdhsa_user_sgpr_queue_ptr 0
		.amdhsa_user_sgpr_kernarg_segment_ptr 1
		.amdhsa_user_sgpr_dispatch_id 0
		.amdhsa_user_sgpr_flat_scratch_init 0
		.amdhsa_user_sgpr_kernarg_preload_length 0
		.amdhsa_user_sgpr_kernarg_preload_offset 0
		.amdhsa_user_sgpr_private_segment_size 0
		.amdhsa_uses_dynamic_stack 0
		.amdhsa_system_sgpr_private_segment_wavefront_offset 0
		.amdhsa_system_sgpr_workgroup_id_x 1
		.amdhsa_system_sgpr_workgroup_id_y 0
		.amdhsa_system_sgpr_workgroup_id_z 0
		.amdhsa_system_sgpr_workgroup_info 0
		.amdhsa_system_vgpr_workitem_id 0
		.amdhsa_next_free_vgpr 1
		.amdhsa_next_free_sgpr 0
		.amdhsa_accum_offset 4
		.amdhsa_reserve_vcc 0
		.amdhsa_reserve_flat_scratch 0
		.amdhsa_float_round_mode_32 0
		.amdhsa_float_round_mode_16_64 0
		.amdhsa_float_denorm_mode_32 3
		.amdhsa_float_denorm_mode_16_64 3
		.amdhsa_dx10_clamp 1
		.amdhsa_ieee_mode 1
		.amdhsa_fp16_overflow 0
		.amdhsa_tg_split 0
		.amdhsa_exception_fp_ieee_invalid_op 0
		.amdhsa_exception_fp_denorm_src 0
		.amdhsa_exception_fp_ieee_div_zero 0
		.amdhsa_exception_fp_ieee_overflow 0
		.amdhsa_exception_fp_ieee_underflow 0
		.amdhsa_exception_fp_ieee_inexact 0
		.amdhsa_exception_int_div_zero 0
	.end_amdhsa_kernel
	.section	.text._ZN7rocprim17ROCPRIM_400000_NS6detail17trampoline_kernelINS0_14default_configENS1_20scan_config_selectorIfEEZZNS1_9scan_implILNS1_25lookback_scan_determinismE0ELb1ELb1ES3_N6thrust23THRUST_200600_302600_NS6detail15normal_iteratorINS9_10device_ptrIiEEEENSB_INSC_IfEEEEfNS9_4plusIvEEfEEDaPvRmT3_T4_T5_mT6_P12ihipStream_tbENKUlT_T0_E_clISt17integral_constantIbLb1EESV_IbLb0EEEEDaSR_SS_EUlSR_E_NS1_11comp_targetILNS1_3genE10ELNS1_11target_archE1200ELNS1_3gpuE4ELNS1_3repE0EEENS1_30default_config_static_selectorELNS0_4arch9wavefront6targetE1EEEvT1_,"axG",@progbits,_ZN7rocprim17ROCPRIM_400000_NS6detail17trampoline_kernelINS0_14default_configENS1_20scan_config_selectorIfEEZZNS1_9scan_implILNS1_25lookback_scan_determinismE0ELb1ELb1ES3_N6thrust23THRUST_200600_302600_NS6detail15normal_iteratorINS9_10device_ptrIiEEEENSB_INSC_IfEEEEfNS9_4plusIvEEfEEDaPvRmT3_T4_T5_mT6_P12ihipStream_tbENKUlT_T0_E_clISt17integral_constantIbLb1EESV_IbLb0EEEEDaSR_SS_EUlSR_E_NS1_11comp_targetILNS1_3genE10ELNS1_11target_archE1200ELNS1_3gpuE4ELNS1_3repE0EEENS1_30default_config_static_selectorELNS0_4arch9wavefront6targetE1EEEvT1_,comdat
.Lfunc_end1756:
	.size	_ZN7rocprim17ROCPRIM_400000_NS6detail17trampoline_kernelINS0_14default_configENS1_20scan_config_selectorIfEEZZNS1_9scan_implILNS1_25lookback_scan_determinismE0ELb1ELb1ES3_N6thrust23THRUST_200600_302600_NS6detail15normal_iteratorINS9_10device_ptrIiEEEENSB_INSC_IfEEEEfNS9_4plusIvEEfEEDaPvRmT3_T4_T5_mT6_P12ihipStream_tbENKUlT_T0_E_clISt17integral_constantIbLb1EESV_IbLb0EEEEDaSR_SS_EUlSR_E_NS1_11comp_targetILNS1_3genE10ELNS1_11target_archE1200ELNS1_3gpuE4ELNS1_3repE0EEENS1_30default_config_static_selectorELNS0_4arch9wavefront6targetE1EEEvT1_, .Lfunc_end1756-_ZN7rocprim17ROCPRIM_400000_NS6detail17trampoline_kernelINS0_14default_configENS1_20scan_config_selectorIfEEZZNS1_9scan_implILNS1_25lookback_scan_determinismE0ELb1ELb1ES3_N6thrust23THRUST_200600_302600_NS6detail15normal_iteratorINS9_10device_ptrIiEEEENSB_INSC_IfEEEEfNS9_4plusIvEEfEEDaPvRmT3_T4_T5_mT6_P12ihipStream_tbENKUlT_T0_E_clISt17integral_constantIbLb1EESV_IbLb0EEEEDaSR_SS_EUlSR_E_NS1_11comp_targetILNS1_3genE10ELNS1_11target_archE1200ELNS1_3gpuE4ELNS1_3repE0EEENS1_30default_config_static_selectorELNS0_4arch9wavefront6targetE1EEEvT1_
                                        ; -- End function
	.section	.AMDGPU.csdata,"",@progbits
; Kernel info:
; codeLenInByte = 0
; NumSgprs: 4
; NumVgprs: 0
; NumAgprs: 0
; TotalNumVgprs: 0
; ScratchSize: 0
; MemoryBound: 0
; FloatMode: 240
; IeeeMode: 1
; LDSByteSize: 0 bytes/workgroup (compile time only)
; SGPRBlocks: 0
; VGPRBlocks: 0
; NumSGPRsForWavesPerEU: 4
; NumVGPRsForWavesPerEU: 1
; AccumOffset: 4
; Occupancy: 8
; WaveLimiterHint : 0
; COMPUTE_PGM_RSRC2:SCRATCH_EN: 0
; COMPUTE_PGM_RSRC2:USER_SGPR: 6
; COMPUTE_PGM_RSRC2:TRAP_HANDLER: 0
; COMPUTE_PGM_RSRC2:TGID_X_EN: 1
; COMPUTE_PGM_RSRC2:TGID_Y_EN: 0
; COMPUTE_PGM_RSRC2:TGID_Z_EN: 0
; COMPUTE_PGM_RSRC2:TIDIG_COMP_CNT: 0
; COMPUTE_PGM_RSRC3_GFX90A:ACCUM_OFFSET: 0
; COMPUTE_PGM_RSRC3_GFX90A:TG_SPLIT: 0
	.section	.text._ZN7rocprim17ROCPRIM_400000_NS6detail17trampoline_kernelINS0_14default_configENS1_20scan_config_selectorIfEEZZNS1_9scan_implILNS1_25lookback_scan_determinismE0ELb1ELb1ES3_N6thrust23THRUST_200600_302600_NS6detail15normal_iteratorINS9_10device_ptrIiEEEENSB_INSC_IfEEEEfNS9_4plusIvEEfEEDaPvRmT3_T4_T5_mT6_P12ihipStream_tbENKUlT_T0_E_clISt17integral_constantIbLb1EESV_IbLb0EEEEDaSR_SS_EUlSR_E_NS1_11comp_targetILNS1_3genE9ELNS1_11target_archE1100ELNS1_3gpuE3ELNS1_3repE0EEENS1_30default_config_static_selectorELNS0_4arch9wavefront6targetE1EEEvT1_,"axG",@progbits,_ZN7rocprim17ROCPRIM_400000_NS6detail17trampoline_kernelINS0_14default_configENS1_20scan_config_selectorIfEEZZNS1_9scan_implILNS1_25lookback_scan_determinismE0ELb1ELb1ES3_N6thrust23THRUST_200600_302600_NS6detail15normal_iteratorINS9_10device_ptrIiEEEENSB_INSC_IfEEEEfNS9_4plusIvEEfEEDaPvRmT3_T4_T5_mT6_P12ihipStream_tbENKUlT_T0_E_clISt17integral_constantIbLb1EESV_IbLb0EEEEDaSR_SS_EUlSR_E_NS1_11comp_targetILNS1_3genE9ELNS1_11target_archE1100ELNS1_3gpuE3ELNS1_3repE0EEENS1_30default_config_static_selectorELNS0_4arch9wavefront6targetE1EEEvT1_,comdat
	.protected	_ZN7rocprim17ROCPRIM_400000_NS6detail17trampoline_kernelINS0_14default_configENS1_20scan_config_selectorIfEEZZNS1_9scan_implILNS1_25lookback_scan_determinismE0ELb1ELb1ES3_N6thrust23THRUST_200600_302600_NS6detail15normal_iteratorINS9_10device_ptrIiEEEENSB_INSC_IfEEEEfNS9_4plusIvEEfEEDaPvRmT3_T4_T5_mT6_P12ihipStream_tbENKUlT_T0_E_clISt17integral_constantIbLb1EESV_IbLb0EEEEDaSR_SS_EUlSR_E_NS1_11comp_targetILNS1_3genE9ELNS1_11target_archE1100ELNS1_3gpuE3ELNS1_3repE0EEENS1_30default_config_static_selectorELNS0_4arch9wavefront6targetE1EEEvT1_ ; -- Begin function _ZN7rocprim17ROCPRIM_400000_NS6detail17trampoline_kernelINS0_14default_configENS1_20scan_config_selectorIfEEZZNS1_9scan_implILNS1_25lookback_scan_determinismE0ELb1ELb1ES3_N6thrust23THRUST_200600_302600_NS6detail15normal_iteratorINS9_10device_ptrIiEEEENSB_INSC_IfEEEEfNS9_4plusIvEEfEEDaPvRmT3_T4_T5_mT6_P12ihipStream_tbENKUlT_T0_E_clISt17integral_constantIbLb1EESV_IbLb0EEEEDaSR_SS_EUlSR_E_NS1_11comp_targetILNS1_3genE9ELNS1_11target_archE1100ELNS1_3gpuE3ELNS1_3repE0EEENS1_30default_config_static_selectorELNS0_4arch9wavefront6targetE1EEEvT1_
	.globl	_ZN7rocprim17ROCPRIM_400000_NS6detail17trampoline_kernelINS0_14default_configENS1_20scan_config_selectorIfEEZZNS1_9scan_implILNS1_25lookback_scan_determinismE0ELb1ELb1ES3_N6thrust23THRUST_200600_302600_NS6detail15normal_iteratorINS9_10device_ptrIiEEEENSB_INSC_IfEEEEfNS9_4plusIvEEfEEDaPvRmT3_T4_T5_mT6_P12ihipStream_tbENKUlT_T0_E_clISt17integral_constantIbLb1EESV_IbLb0EEEEDaSR_SS_EUlSR_E_NS1_11comp_targetILNS1_3genE9ELNS1_11target_archE1100ELNS1_3gpuE3ELNS1_3repE0EEENS1_30default_config_static_selectorELNS0_4arch9wavefront6targetE1EEEvT1_
	.p2align	8
	.type	_ZN7rocprim17ROCPRIM_400000_NS6detail17trampoline_kernelINS0_14default_configENS1_20scan_config_selectorIfEEZZNS1_9scan_implILNS1_25lookback_scan_determinismE0ELb1ELb1ES3_N6thrust23THRUST_200600_302600_NS6detail15normal_iteratorINS9_10device_ptrIiEEEENSB_INSC_IfEEEEfNS9_4plusIvEEfEEDaPvRmT3_T4_T5_mT6_P12ihipStream_tbENKUlT_T0_E_clISt17integral_constantIbLb1EESV_IbLb0EEEEDaSR_SS_EUlSR_E_NS1_11comp_targetILNS1_3genE9ELNS1_11target_archE1100ELNS1_3gpuE3ELNS1_3repE0EEENS1_30default_config_static_selectorELNS0_4arch9wavefront6targetE1EEEvT1_,@function
_ZN7rocprim17ROCPRIM_400000_NS6detail17trampoline_kernelINS0_14default_configENS1_20scan_config_selectorIfEEZZNS1_9scan_implILNS1_25lookback_scan_determinismE0ELb1ELb1ES3_N6thrust23THRUST_200600_302600_NS6detail15normal_iteratorINS9_10device_ptrIiEEEENSB_INSC_IfEEEEfNS9_4plusIvEEfEEDaPvRmT3_T4_T5_mT6_P12ihipStream_tbENKUlT_T0_E_clISt17integral_constantIbLb1EESV_IbLb0EEEEDaSR_SS_EUlSR_E_NS1_11comp_targetILNS1_3genE9ELNS1_11target_archE1100ELNS1_3gpuE3ELNS1_3repE0EEENS1_30default_config_static_selectorELNS0_4arch9wavefront6targetE1EEEvT1_: ; @_ZN7rocprim17ROCPRIM_400000_NS6detail17trampoline_kernelINS0_14default_configENS1_20scan_config_selectorIfEEZZNS1_9scan_implILNS1_25lookback_scan_determinismE0ELb1ELb1ES3_N6thrust23THRUST_200600_302600_NS6detail15normal_iteratorINS9_10device_ptrIiEEEENSB_INSC_IfEEEEfNS9_4plusIvEEfEEDaPvRmT3_T4_T5_mT6_P12ihipStream_tbENKUlT_T0_E_clISt17integral_constantIbLb1EESV_IbLb0EEEEDaSR_SS_EUlSR_E_NS1_11comp_targetILNS1_3genE9ELNS1_11target_archE1100ELNS1_3gpuE3ELNS1_3repE0EEENS1_30default_config_static_selectorELNS0_4arch9wavefront6targetE1EEEvT1_
; %bb.0:
	.section	.rodata,"a",@progbits
	.p2align	6, 0x0
	.amdhsa_kernel _ZN7rocprim17ROCPRIM_400000_NS6detail17trampoline_kernelINS0_14default_configENS1_20scan_config_selectorIfEEZZNS1_9scan_implILNS1_25lookback_scan_determinismE0ELb1ELb1ES3_N6thrust23THRUST_200600_302600_NS6detail15normal_iteratorINS9_10device_ptrIiEEEENSB_INSC_IfEEEEfNS9_4plusIvEEfEEDaPvRmT3_T4_T5_mT6_P12ihipStream_tbENKUlT_T0_E_clISt17integral_constantIbLb1EESV_IbLb0EEEEDaSR_SS_EUlSR_E_NS1_11comp_targetILNS1_3genE9ELNS1_11target_archE1100ELNS1_3gpuE3ELNS1_3repE0EEENS1_30default_config_static_selectorELNS0_4arch9wavefront6targetE1EEEvT1_
		.amdhsa_group_segment_fixed_size 0
		.amdhsa_private_segment_fixed_size 0
		.amdhsa_kernarg_size 96
		.amdhsa_user_sgpr_count 6
		.amdhsa_user_sgpr_private_segment_buffer 1
		.amdhsa_user_sgpr_dispatch_ptr 0
		.amdhsa_user_sgpr_queue_ptr 0
		.amdhsa_user_sgpr_kernarg_segment_ptr 1
		.amdhsa_user_sgpr_dispatch_id 0
		.amdhsa_user_sgpr_flat_scratch_init 0
		.amdhsa_user_sgpr_kernarg_preload_length 0
		.amdhsa_user_sgpr_kernarg_preload_offset 0
		.amdhsa_user_sgpr_private_segment_size 0
		.amdhsa_uses_dynamic_stack 0
		.amdhsa_system_sgpr_private_segment_wavefront_offset 0
		.amdhsa_system_sgpr_workgroup_id_x 1
		.amdhsa_system_sgpr_workgroup_id_y 0
		.amdhsa_system_sgpr_workgroup_id_z 0
		.amdhsa_system_sgpr_workgroup_info 0
		.amdhsa_system_vgpr_workitem_id 0
		.amdhsa_next_free_vgpr 1
		.amdhsa_next_free_sgpr 0
		.amdhsa_accum_offset 4
		.amdhsa_reserve_vcc 0
		.amdhsa_reserve_flat_scratch 0
		.amdhsa_float_round_mode_32 0
		.amdhsa_float_round_mode_16_64 0
		.amdhsa_float_denorm_mode_32 3
		.amdhsa_float_denorm_mode_16_64 3
		.amdhsa_dx10_clamp 1
		.amdhsa_ieee_mode 1
		.amdhsa_fp16_overflow 0
		.amdhsa_tg_split 0
		.amdhsa_exception_fp_ieee_invalid_op 0
		.amdhsa_exception_fp_denorm_src 0
		.amdhsa_exception_fp_ieee_div_zero 0
		.amdhsa_exception_fp_ieee_overflow 0
		.amdhsa_exception_fp_ieee_underflow 0
		.amdhsa_exception_fp_ieee_inexact 0
		.amdhsa_exception_int_div_zero 0
	.end_amdhsa_kernel
	.section	.text._ZN7rocprim17ROCPRIM_400000_NS6detail17trampoline_kernelINS0_14default_configENS1_20scan_config_selectorIfEEZZNS1_9scan_implILNS1_25lookback_scan_determinismE0ELb1ELb1ES3_N6thrust23THRUST_200600_302600_NS6detail15normal_iteratorINS9_10device_ptrIiEEEENSB_INSC_IfEEEEfNS9_4plusIvEEfEEDaPvRmT3_T4_T5_mT6_P12ihipStream_tbENKUlT_T0_E_clISt17integral_constantIbLb1EESV_IbLb0EEEEDaSR_SS_EUlSR_E_NS1_11comp_targetILNS1_3genE9ELNS1_11target_archE1100ELNS1_3gpuE3ELNS1_3repE0EEENS1_30default_config_static_selectorELNS0_4arch9wavefront6targetE1EEEvT1_,"axG",@progbits,_ZN7rocprim17ROCPRIM_400000_NS6detail17trampoline_kernelINS0_14default_configENS1_20scan_config_selectorIfEEZZNS1_9scan_implILNS1_25lookback_scan_determinismE0ELb1ELb1ES3_N6thrust23THRUST_200600_302600_NS6detail15normal_iteratorINS9_10device_ptrIiEEEENSB_INSC_IfEEEEfNS9_4plusIvEEfEEDaPvRmT3_T4_T5_mT6_P12ihipStream_tbENKUlT_T0_E_clISt17integral_constantIbLb1EESV_IbLb0EEEEDaSR_SS_EUlSR_E_NS1_11comp_targetILNS1_3genE9ELNS1_11target_archE1100ELNS1_3gpuE3ELNS1_3repE0EEENS1_30default_config_static_selectorELNS0_4arch9wavefront6targetE1EEEvT1_,comdat
.Lfunc_end1757:
	.size	_ZN7rocprim17ROCPRIM_400000_NS6detail17trampoline_kernelINS0_14default_configENS1_20scan_config_selectorIfEEZZNS1_9scan_implILNS1_25lookback_scan_determinismE0ELb1ELb1ES3_N6thrust23THRUST_200600_302600_NS6detail15normal_iteratorINS9_10device_ptrIiEEEENSB_INSC_IfEEEEfNS9_4plusIvEEfEEDaPvRmT3_T4_T5_mT6_P12ihipStream_tbENKUlT_T0_E_clISt17integral_constantIbLb1EESV_IbLb0EEEEDaSR_SS_EUlSR_E_NS1_11comp_targetILNS1_3genE9ELNS1_11target_archE1100ELNS1_3gpuE3ELNS1_3repE0EEENS1_30default_config_static_selectorELNS0_4arch9wavefront6targetE1EEEvT1_, .Lfunc_end1757-_ZN7rocprim17ROCPRIM_400000_NS6detail17trampoline_kernelINS0_14default_configENS1_20scan_config_selectorIfEEZZNS1_9scan_implILNS1_25lookback_scan_determinismE0ELb1ELb1ES3_N6thrust23THRUST_200600_302600_NS6detail15normal_iteratorINS9_10device_ptrIiEEEENSB_INSC_IfEEEEfNS9_4plusIvEEfEEDaPvRmT3_T4_T5_mT6_P12ihipStream_tbENKUlT_T0_E_clISt17integral_constantIbLb1EESV_IbLb0EEEEDaSR_SS_EUlSR_E_NS1_11comp_targetILNS1_3genE9ELNS1_11target_archE1100ELNS1_3gpuE3ELNS1_3repE0EEENS1_30default_config_static_selectorELNS0_4arch9wavefront6targetE1EEEvT1_
                                        ; -- End function
	.section	.AMDGPU.csdata,"",@progbits
; Kernel info:
; codeLenInByte = 0
; NumSgprs: 4
; NumVgprs: 0
; NumAgprs: 0
; TotalNumVgprs: 0
; ScratchSize: 0
; MemoryBound: 0
; FloatMode: 240
; IeeeMode: 1
; LDSByteSize: 0 bytes/workgroup (compile time only)
; SGPRBlocks: 0
; VGPRBlocks: 0
; NumSGPRsForWavesPerEU: 4
; NumVGPRsForWavesPerEU: 1
; AccumOffset: 4
; Occupancy: 8
; WaveLimiterHint : 0
; COMPUTE_PGM_RSRC2:SCRATCH_EN: 0
; COMPUTE_PGM_RSRC2:USER_SGPR: 6
; COMPUTE_PGM_RSRC2:TRAP_HANDLER: 0
; COMPUTE_PGM_RSRC2:TGID_X_EN: 1
; COMPUTE_PGM_RSRC2:TGID_Y_EN: 0
; COMPUTE_PGM_RSRC2:TGID_Z_EN: 0
; COMPUTE_PGM_RSRC2:TIDIG_COMP_CNT: 0
; COMPUTE_PGM_RSRC3_GFX90A:ACCUM_OFFSET: 0
; COMPUTE_PGM_RSRC3_GFX90A:TG_SPLIT: 0
	.section	.text._ZN7rocprim17ROCPRIM_400000_NS6detail17trampoline_kernelINS0_14default_configENS1_20scan_config_selectorIfEEZZNS1_9scan_implILNS1_25lookback_scan_determinismE0ELb1ELb1ES3_N6thrust23THRUST_200600_302600_NS6detail15normal_iteratorINS9_10device_ptrIiEEEENSB_INSC_IfEEEEfNS9_4plusIvEEfEEDaPvRmT3_T4_T5_mT6_P12ihipStream_tbENKUlT_T0_E_clISt17integral_constantIbLb1EESV_IbLb0EEEEDaSR_SS_EUlSR_E_NS1_11comp_targetILNS1_3genE8ELNS1_11target_archE1030ELNS1_3gpuE2ELNS1_3repE0EEENS1_30default_config_static_selectorELNS0_4arch9wavefront6targetE1EEEvT1_,"axG",@progbits,_ZN7rocprim17ROCPRIM_400000_NS6detail17trampoline_kernelINS0_14default_configENS1_20scan_config_selectorIfEEZZNS1_9scan_implILNS1_25lookback_scan_determinismE0ELb1ELb1ES3_N6thrust23THRUST_200600_302600_NS6detail15normal_iteratorINS9_10device_ptrIiEEEENSB_INSC_IfEEEEfNS9_4plusIvEEfEEDaPvRmT3_T4_T5_mT6_P12ihipStream_tbENKUlT_T0_E_clISt17integral_constantIbLb1EESV_IbLb0EEEEDaSR_SS_EUlSR_E_NS1_11comp_targetILNS1_3genE8ELNS1_11target_archE1030ELNS1_3gpuE2ELNS1_3repE0EEENS1_30default_config_static_selectorELNS0_4arch9wavefront6targetE1EEEvT1_,comdat
	.protected	_ZN7rocprim17ROCPRIM_400000_NS6detail17trampoline_kernelINS0_14default_configENS1_20scan_config_selectorIfEEZZNS1_9scan_implILNS1_25lookback_scan_determinismE0ELb1ELb1ES3_N6thrust23THRUST_200600_302600_NS6detail15normal_iteratorINS9_10device_ptrIiEEEENSB_INSC_IfEEEEfNS9_4plusIvEEfEEDaPvRmT3_T4_T5_mT6_P12ihipStream_tbENKUlT_T0_E_clISt17integral_constantIbLb1EESV_IbLb0EEEEDaSR_SS_EUlSR_E_NS1_11comp_targetILNS1_3genE8ELNS1_11target_archE1030ELNS1_3gpuE2ELNS1_3repE0EEENS1_30default_config_static_selectorELNS0_4arch9wavefront6targetE1EEEvT1_ ; -- Begin function _ZN7rocprim17ROCPRIM_400000_NS6detail17trampoline_kernelINS0_14default_configENS1_20scan_config_selectorIfEEZZNS1_9scan_implILNS1_25lookback_scan_determinismE0ELb1ELb1ES3_N6thrust23THRUST_200600_302600_NS6detail15normal_iteratorINS9_10device_ptrIiEEEENSB_INSC_IfEEEEfNS9_4plusIvEEfEEDaPvRmT3_T4_T5_mT6_P12ihipStream_tbENKUlT_T0_E_clISt17integral_constantIbLb1EESV_IbLb0EEEEDaSR_SS_EUlSR_E_NS1_11comp_targetILNS1_3genE8ELNS1_11target_archE1030ELNS1_3gpuE2ELNS1_3repE0EEENS1_30default_config_static_selectorELNS0_4arch9wavefront6targetE1EEEvT1_
	.globl	_ZN7rocprim17ROCPRIM_400000_NS6detail17trampoline_kernelINS0_14default_configENS1_20scan_config_selectorIfEEZZNS1_9scan_implILNS1_25lookback_scan_determinismE0ELb1ELb1ES3_N6thrust23THRUST_200600_302600_NS6detail15normal_iteratorINS9_10device_ptrIiEEEENSB_INSC_IfEEEEfNS9_4plusIvEEfEEDaPvRmT3_T4_T5_mT6_P12ihipStream_tbENKUlT_T0_E_clISt17integral_constantIbLb1EESV_IbLb0EEEEDaSR_SS_EUlSR_E_NS1_11comp_targetILNS1_3genE8ELNS1_11target_archE1030ELNS1_3gpuE2ELNS1_3repE0EEENS1_30default_config_static_selectorELNS0_4arch9wavefront6targetE1EEEvT1_
	.p2align	8
	.type	_ZN7rocprim17ROCPRIM_400000_NS6detail17trampoline_kernelINS0_14default_configENS1_20scan_config_selectorIfEEZZNS1_9scan_implILNS1_25lookback_scan_determinismE0ELb1ELb1ES3_N6thrust23THRUST_200600_302600_NS6detail15normal_iteratorINS9_10device_ptrIiEEEENSB_INSC_IfEEEEfNS9_4plusIvEEfEEDaPvRmT3_T4_T5_mT6_P12ihipStream_tbENKUlT_T0_E_clISt17integral_constantIbLb1EESV_IbLb0EEEEDaSR_SS_EUlSR_E_NS1_11comp_targetILNS1_3genE8ELNS1_11target_archE1030ELNS1_3gpuE2ELNS1_3repE0EEENS1_30default_config_static_selectorELNS0_4arch9wavefront6targetE1EEEvT1_,@function
_ZN7rocprim17ROCPRIM_400000_NS6detail17trampoline_kernelINS0_14default_configENS1_20scan_config_selectorIfEEZZNS1_9scan_implILNS1_25lookback_scan_determinismE0ELb1ELb1ES3_N6thrust23THRUST_200600_302600_NS6detail15normal_iteratorINS9_10device_ptrIiEEEENSB_INSC_IfEEEEfNS9_4plusIvEEfEEDaPvRmT3_T4_T5_mT6_P12ihipStream_tbENKUlT_T0_E_clISt17integral_constantIbLb1EESV_IbLb0EEEEDaSR_SS_EUlSR_E_NS1_11comp_targetILNS1_3genE8ELNS1_11target_archE1030ELNS1_3gpuE2ELNS1_3repE0EEENS1_30default_config_static_selectorELNS0_4arch9wavefront6targetE1EEEvT1_: ; @_ZN7rocprim17ROCPRIM_400000_NS6detail17trampoline_kernelINS0_14default_configENS1_20scan_config_selectorIfEEZZNS1_9scan_implILNS1_25lookback_scan_determinismE0ELb1ELb1ES3_N6thrust23THRUST_200600_302600_NS6detail15normal_iteratorINS9_10device_ptrIiEEEENSB_INSC_IfEEEEfNS9_4plusIvEEfEEDaPvRmT3_T4_T5_mT6_P12ihipStream_tbENKUlT_T0_E_clISt17integral_constantIbLb1EESV_IbLb0EEEEDaSR_SS_EUlSR_E_NS1_11comp_targetILNS1_3genE8ELNS1_11target_archE1030ELNS1_3gpuE2ELNS1_3repE0EEENS1_30default_config_static_selectorELNS0_4arch9wavefront6targetE1EEEvT1_
; %bb.0:
	.section	.rodata,"a",@progbits
	.p2align	6, 0x0
	.amdhsa_kernel _ZN7rocprim17ROCPRIM_400000_NS6detail17trampoline_kernelINS0_14default_configENS1_20scan_config_selectorIfEEZZNS1_9scan_implILNS1_25lookback_scan_determinismE0ELb1ELb1ES3_N6thrust23THRUST_200600_302600_NS6detail15normal_iteratorINS9_10device_ptrIiEEEENSB_INSC_IfEEEEfNS9_4plusIvEEfEEDaPvRmT3_T4_T5_mT6_P12ihipStream_tbENKUlT_T0_E_clISt17integral_constantIbLb1EESV_IbLb0EEEEDaSR_SS_EUlSR_E_NS1_11comp_targetILNS1_3genE8ELNS1_11target_archE1030ELNS1_3gpuE2ELNS1_3repE0EEENS1_30default_config_static_selectorELNS0_4arch9wavefront6targetE1EEEvT1_
		.amdhsa_group_segment_fixed_size 0
		.amdhsa_private_segment_fixed_size 0
		.amdhsa_kernarg_size 96
		.amdhsa_user_sgpr_count 6
		.amdhsa_user_sgpr_private_segment_buffer 1
		.amdhsa_user_sgpr_dispatch_ptr 0
		.amdhsa_user_sgpr_queue_ptr 0
		.amdhsa_user_sgpr_kernarg_segment_ptr 1
		.amdhsa_user_sgpr_dispatch_id 0
		.amdhsa_user_sgpr_flat_scratch_init 0
		.amdhsa_user_sgpr_kernarg_preload_length 0
		.amdhsa_user_sgpr_kernarg_preload_offset 0
		.amdhsa_user_sgpr_private_segment_size 0
		.amdhsa_uses_dynamic_stack 0
		.amdhsa_system_sgpr_private_segment_wavefront_offset 0
		.amdhsa_system_sgpr_workgroup_id_x 1
		.amdhsa_system_sgpr_workgroup_id_y 0
		.amdhsa_system_sgpr_workgroup_id_z 0
		.amdhsa_system_sgpr_workgroup_info 0
		.amdhsa_system_vgpr_workitem_id 0
		.amdhsa_next_free_vgpr 1
		.amdhsa_next_free_sgpr 0
		.amdhsa_accum_offset 4
		.amdhsa_reserve_vcc 0
		.amdhsa_reserve_flat_scratch 0
		.amdhsa_float_round_mode_32 0
		.amdhsa_float_round_mode_16_64 0
		.amdhsa_float_denorm_mode_32 3
		.amdhsa_float_denorm_mode_16_64 3
		.amdhsa_dx10_clamp 1
		.amdhsa_ieee_mode 1
		.amdhsa_fp16_overflow 0
		.amdhsa_tg_split 0
		.amdhsa_exception_fp_ieee_invalid_op 0
		.amdhsa_exception_fp_denorm_src 0
		.amdhsa_exception_fp_ieee_div_zero 0
		.amdhsa_exception_fp_ieee_overflow 0
		.amdhsa_exception_fp_ieee_underflow 0
		.amdhsa_exception_fp_ieee_inexact 0
		.amdhsa_exception_int_div_zero 0
	.end_amdhsa_kernel
	.section	.text._ZN7rocprim17ROCPRIM_400000_NS6detail17trampoline_kernelINS0_14default_configENS1_20scan_config_selectorIfEEZZNS1_9scan_implILNS1_25lookback_scan_determinismE0ELb1ELb1ES3_N6thrust23THRUST_200600_302600_NS6detail15normal_iteratorINS9_10device_ptrIiEEEENSB_INSC_IfEEEEfNS9_4plusIvEEfEEDaPvRmT3_T4_T5_mT6_P12ihipStream_tbENKUlT_T0_E_clISt17integral_constantIbLb1EESV_IbLb0EEEEDaSR_SS_EUlSR_E_NS1_11comp_targetILNS1_3genE8ELNS1_11target_archE1030ELNS1_3gpuE2ELNS1_3repE0EEENS1_30default_config_static_selectorELNS0_4arch9wavefront6targetE1EEEvT1_,"axG",@progbits,_ZN7rocprim17ROCPRIM_400000_NS6detail17trampoline_kernelINS0_14default_configENS1_20scan_config_selectorIfEEZZNS1_9scan_implILNS1_25lookback_scan_determinismE0ELb1ELb1ES3_N6thrust23THRUST_200600_302600_NS6detail15normal_iteratorINS9_10device_ptrIiEEEENSB_INSC_IfEEEEfNS9_4plusIvEEfEEDaPvRmT3_T4_T5_mT6_P12ihipStream_tbENKUlT_T0_E_clISt17integral_constantIbLb1EESV_IbLb0EEEEDaSR_SS_EUlSR_E_NS1_11comp_targetILNS1_3genE8ELNS1_11target_archE1030ELNS1_3gpuE2ELNS1_3repE0EEENS1_30default_config_static_selectorELNS0_4arch9wavefront6targetE1EEEvT1_,comdat
.Lfunc_end1758:
	.size	_ZN7rocprim17ROCPRIM_400000_NS6detail17trampoline_kernelINS0_14default_configENS1_20scan_config_selectorIfEEZZNS1_9scan_implILNS1_25lookback_scan_determinismE0ELb1ELb1ES3_N6thrust23THRUST_200600_302600_NS6detail15normal_iteratorINS9_10device_ptrIiEEEENSB_INSC_IfEEEEfNS9_4plusIvEEfEEDaPvRmT3_T4_T5_mT6_P12ihipStream_tbENKUlT_T0_E_clISt17integral_constantIbLb1EESV_IbLb0EEEEDaSR_SS_EUlSR_E_NS1_11comp_targetILNS1_3genE8ELNS1_11target_archE1030ELNS1_3gpuE2ELNS1_3repE0EEENS1_30default_config_static_selectorELNS0_4arch9wavefront6targetE1EEEvT1_, .Lfunc_end1758-_ZN7rocprim17ROCPRIM_400000_NS6detail17trampoline_kernelINS0_14default_configENS1_20scan_config_selectorIfEEZZNS1_9scan_implILNS1_25lookback_scan_determinismE0ELb1ELb1ES3_N6thrust23THRUST_200600_302600_NS6detail15normal_iteratorINS9_10device_ptrIiEEEENSB_INSC_IfEEEEfNS9_4plusIvEEfEEDaPvRmT3_T4_T5_mT6_P12ihipStream_tbENKUlT_T0_E_clISt17integral_constantIbLb1EESV_IbLb0EEEEDaSR_SS_EUlSR_E_NS1_11comp_targetILNS1_3genE8ELNS1_11target_archE1030ELNS1_3gpuE2ELNS1_3repE0EEENS1_30default_config_static_selectorELNS0_4arch9wavefront6targetE1EEEvT1_
                                        ; -- End function
	.section	.AMDGPU.csdata,"",@progbits
; Kernel info:
; codeLenInByte = 0
; NumSgprs: 4
; NumVgprs: 0
; NumAgprs: 0
; TotalNumVgprs: 0
; ScratchSize: 0
; MemoryBound: 0
; FloatMode: 240
; IeeeMode: 1
; LDSByteSize: 0 bytes/workgroup (compile time only)
; SGPRBlocks: 0
; VGPRBlocks: 0
; NumSGPRsForWavesPerEU: 4
; NumVGPRsForWavesPerEU: 1
; AccumOffset: 4
; Occupancy: 8
; WaveLimiterHint : 0
; COMPUTE_PGM_RSRC2:SCRATCH_EN: 0
; COMPUTE_PGM_RSRC2:USER_SGPR: 6
; COMPUTE_PGM_RSRC2:TRAP_HANDLER: 0
; COMPUTE_PGM_RSRC2:TGID_X_EN: 1
; COMPUTE_PGM_RSRC2:TGID_Y_EN: 0
; COMPUTE_PGM_RSRC2:TGID_Z_EN: 0
; COMPUTE_PGM_RSRC2:TIDIG_COMP_CNT: 0
; COMPUTE_PGM_RSRC3_GFX90A:ACCUM_OFFSET: 0
; COMPUTE_PGM_RSRC3_GFX90A:TG_SPLIT: 0
	.section	.text._ZN7rocprim17ROCPRIM_400000_NS6detail17trampoline_kernelINS0_14default_configENS1_20scan_config_selectorIfEEZZNS1_9scan_implILNS1_25lookback_scan_determinismE0ELb1ELb1ES3_N6thrust23THRUST_200600_302600_NS6detail15normal_iteratorINS9_10device_ptrIiEEEENSB_INSC_IfEEEEfNS9_4plusIvEEfEEDaPvRmT3_T4_T5_mT6_P12ihipStream_tbENKUlT_T0_E_clISt17integral_constantIbLb1EESV_IbLb0EEEEDaSR_SS_EUlSR_E0_NS1_11comp_targetILNS1_3genE0ELNS1_11target_archE4294967295ELNS1_3gpuE0ELNS1_3repE0EEENS1_30default_config_static_selectorELNS0_4arch9wavefront6targetE1EEEvT1_,"axG",@progbits,_ZN7rocprim17ROCPRIM_400000_NS6detail17trampoline_kernelINS0_14default_configENS1_20scan_config_selectorIfEEZZNS1_9scan_implILNS1_25lookback_scan_determinismE0ELb1ELb1ES3_N6thrust23THRUST_200600_302600_NS6detail15normal_iteratorINS9_10device_ptrIiEEEENSB_INSC_IfEEEEfNS9_4plusIvEEfEEDaPvRmT3_T4_T5_mT6_P12ihipStream_tbENKUlT_T0_E_clISt17integral_constantIbLb1EESV_IbLb0EEEEDaSR_SS_EUlSR_E0_NS1_11comp_targetILNS1_3genE0ELNS1_11target_archE4294967295ELNS1_3gpuE0ELNS1_3repE0EEENS1_30default_config_static_selectorELNS0_4arch9wavefront6targetE1EEEvT1_,comdat
	.protected	_ZN7rocprim17ROCPRIM_400000_NS6detail17trampoline_kernelINS0_14default_configENS1_20scan_config_selectorIfEEZZNS1_9scan_implILNS1_25lookback_scan_determinismE0ELb1ELb1ES3_N6thrust23THRUST_200600_302600_NS6detail15normal_iteratorINS9_10device_ptrIiEEEENSB_INSC_IfEEEEfNS9_4plusIvEEfEEDaPvRmT3_T4_T5_mT6_P12ihipStream_tbENKUlT_T0_E_clISt17integral_constantIbLb1EESV_IbLb0EEEEDaSR_SS_EUlSR_E0_NS1_11comp_targetILNS1_3genE0ELNS1_11target_archE4294967295ELNS1_3gpuE0ELNS1_3repE0EEENS1_30default_config_static_selectorELNS0_4arch9wavefront6targetE1EEEvT1_ ; -- Begin function _ZN7rocprim17ROCPRIM_400000_NS6detail17trampoline_kernelINS0_14default_configENS1_20scan_config_selectorIfEEZZNS1_9scan_implILNS1_25lookback_scan_determinismE0ELb1ELb1ES3_N6thrust23THRUST_200600_302600_NS6detail15normal_iteratorINS9_10device_ptrIiEEEENSB_INSC_IfEEEEfNS9_4plusIvEEfEEDaPvRmT3_T4_T5_mT6_P12ihipStream_tbENKUlT_T0_E_clISt17integral_constantIbLb1EESV_IbLb0EEEEDaSR_SS_EUlSR_E0_NS1_11comp_targetILNS1_3genE0ELNS1_11target_archE4294967295ELNS1_3gpuE0ELNS1_3repE0EEENS1_30default_config_static_selectorELNS0_4arch9wavefront6targetE1EEEvT1_
	.globl	_ZN7rocprim17ROCPRIM_400000_NS6detail17trampoline_kernelINS0_14default_configENS1_20scan_config_selectorIfEEZZNS1_9scan_implILNS1_25lookback_scan_determinismE0ELb1ELb1ES3_N6thrust23THRUST_200600_302600_NS6detail15normal_iteratorINS9_10device_ptrIiEEEENSB_INSC_IfEEEEfNS9_4plusIvEEfEEDaPvRmT3_T4_T5_mT6_P12ihipStream_tbENKUlT_T0_E_clISt17integral_constantIbLb1EESV_IbLb0EEEEDaSR_SS_EUlSR_E0_NS1_11comp_targetILNS1_3genE0ELNS1_11target_archE4294967295ELNS1_3gpuE0ELNS1_3repE0EEENS1_30default_config_static_selectorELNS0_4arch9wavefront6targetE1EEEvT1_
	.p2align	8
	.type	_ZN7rocprim17ROCPRIM_400000_NS6detail17trampoline_kernelINS0_14default_configENS1_20scan_config_selectorIfEEZZNS1_9scan_implILNS1_25lookback_scan_determinismE0ELb1ELb1ES3_N6thrust23THRUST_200600_302600_NS6detail15normal_iteratorINS9_10device_ptrIiEEEENSB_INSC_IfEEEEfNS9_4plusIvEEfEEDaPvRmT3_T4_T5_mT6_P12ihipStream_tbENKUlT_T0_E_clISt17integral_constantIbLb1EESV_IbLb0EEEEDaSR_SS_EUlSR_E0_NS1_11comp_targetILNS1_3genE0ELNS1_11target_archE4294967295ELNS1_3gpuE0ELNS1_3repE0EEENS1_30default_config_static_selectorELNS0_4arch9wavefront6targetE1EEEvT1_,@function
_ZN7rocprim17ROCPRIM_400000_NS6detail17trampoline_kernelINS0_14default_configENS1_20scan_config_selectorIfEEZZNS1_9scan_implILNS1_25lookback_scan_determinismE0ELb1ELb1ES3_N6thrust23THRUST_200600_302600_NS6detail15normal_iteratorINS9_10device_ptrIiEEEENSB_INSC_IfEEEEfNS9_4plusIvEEfEEDaPvRmT3_T4_T5_mT6_P12ihipStream_tbENKUlT_T0_E_clISt17integral_constantIbLb1EESV_IbLb0EEEEDaSR_SS_EUlSR_E0_NS1_11comp_targetILNS1_3genE0ELNS1_11target_archE4294967295ELNS1_3gpuE0ELNS1_3repE0EEENS1_30default_config_static_selectorELNS0_4arch9wavefront6targetE1EEEvT1_: ; @_ZN7rocprim17ROCPRIM_400000_NS6detail17trampoline_kernelINS0_14default_configENS1_20scan_config_selectorIfEEZZNS1_9scan_implILNS1_25lookback_scan_determinismE0ELb1ELb1ES3_N6thrust23THRUST_200600_302600_NS6detail15normal_iteratorINS9_10device_ptrIiEEEENSB_INSC_IfEEEEfNS9_4plusIvEEfEEDaPvRmT3_T4_T5_mT6_P12ihipStream_tbENKUlT_T0_E_clISt17integral_constantIbLb1EESV_IbLb0EEEEDaSR_SS_EUlSR_E0_NS1_11comp_targetILNS1_3genE0ELNS1_11target_archE4294967295ELNS1_3gpuE0ELNS1_3repE0EEENS1_30default_config_static_selectorELNS0_4arch9wavefront6targetE1EEEvT1_
; %bb.0:
	.section	.rodata,"a",@progbits
	.p2align	6, 0x0
	.amdhsa_kernel _ZN7rocprim17ROCPRIM_400000_NS6detail17trampoline_kernelINS0_14default_configENS1_20scan_config_selectorIfEEZZNS1_9scan_implILNS1_25lookback_scan_determinismE0ELb1ELb1ES3_N6thrust23THRUST_200600_302600_NS6detail15normal_iteratorINS9_10device_ptrIiEEEENSB_INSC_IfEEEEfNS9_4plusIvEEfEEDaPvRmT3_T4_T5_mT6_P12ihipStream_tbENKUlT_T0_E_clISt17integral_constantIbLb1EESV_IbLb0EEEEDaSR_SS_EUlSR_E0_NS1_11comp_targetILNS1_3genE0ELNS1_11target_archE4294967295ELNS1_3gpuE0ELNS1_3repE0EEENS1_30default_config_static_selectorELNS0_4arch9wavefront6targetE1EEEvT1_
		.amdhsa_group_segment_fixed_size 0
		.amdhsa_private_segment_fixed_size 0
		.amdhsa_kernarg_size 32
		.amdhsa_user_sgpr_count 6
		.amdhsa_user_sgpr_private_segment_buffer 1
		.amdhsa_user_sgpr_dispatch_ptr 0
		.amdhsa_user_sgpr_queue_ptr 0
		.amdhsa_user_sgpr_kernarg_segment_ptr 1
		.amdhsa_user_sgpr_dispatch_id 0
		.amdhsa_user_sgpr_flat_scratch_init 0
		.amdhsa_user_sgpr_kernarg_preload_length 0
		.amdhsa_user_sgpr_kernarg_preload_offset 0
		.amdhsa_user_sgpr_private_segment_size 0
		.amdhsa_uses_dynamic_stack 0
		.amdhsa_system_sgpr_private_segment_wavefront_offset 0
		.amdhsa_system_sgpr_workgroup_id_x 1
		.amdhsa_system_sgpr_workgroup_id_y 0
		.amdhsa_system_sgpr_workgroup_id_z 0
		.amdhsa_system_sgpr_workgroup_info 0
		.amdhsa_system_vgpr_workitem_id 0
		.amdhsa_next_free_vgpr 1
		.amdhsa_next_free_sgpr 0
		.amdhsa_accum_offset 4
		.amdhsa_reserve_vcc 0
		.amdhsa_reserve_flat_scratch 0
		.amdhsa_float_round_mode_32 0
		.amdhsa_float_round_mode_16_64 0
		.amdhsa_float_denorm_mode_32 3
		.amdhsa_float_denorm_mode_16_64 3
		.amdhsa_dx10_clamp 1
		.amdhsa_ieee_mode 1
		.amdhsa_fp16_overflow 0
		.amdhsa_tg_split 0
		.amdhsa_exception_fp_ieee_invalid_op 0
		.amdhsa_exception_fp_denorm_src 0
		.amdhsa_exception_fp_ieee_div_zero 0
		.amdhsa_exception_fp_ieee_overflow 0
		.amdhsa_exception_fp_ieee_underflow 0
		.amdhsa_exception_fp_ieee_inexact 0
		.amdhsa_exception_int_div_zero 0
	.end_amdhsa_kernel
	.section	.text._ZN7rocprim17ROCPRIM_400000_NS6detail17trampoline_kernelINS0_14default_configENS1_20scan_config_selectorIfEEZZNS1_9scan_implILNS1_25lookback_scan_determinismE0ELb1ELb1ES3_N6thrust23THRUST_200600_302600_NS6detail15normal_iteratorINS9_10device_ptrIiEEEENSB_INSC_IfEEEEfNS9_4plusIvEEfEEDaPvRmT3_T4_T5_mT6_P12ihipStream_tbENKUlT_T0_E_clISt17integral_constantIbLb1EESV_IbLb0EEEEDaSR_SS_EUlSR_E0_NS1_11comp_targetILNS1_3genE0ELNS1_11target_archE4294967295ELNS1_3gpuE0ELNS1_3repE0EEENS1_30default_config_static_selectorELNS0_4arch9wavefront6targetE1EEEvT1_,"axG",@progbits,_ZN7rocprim17ROCPRIM_400000_NS6detail17trampoline_kernelINS0_14default_configENS1_20scan_config_selectorIfEEZZNS1_9scan_implILNS1_25lookback_scan_determinismE0ELb1ELb1ES3_N6thrust23THRUST_200600_302600_NS6detail15normal_iteratorINS9_10device_ptrIiEEEENSB_INSC_IfEEEEfNS9_4plusIvEEfEEDaPvRmT3_T4_T5_mT6_P12ihipStream_tbENKUlT_T0_E_clISt17integral_constantIbLb1EESV_IbLb0EEEEDaSR_SS_EUlSR_E0_NS1_11comp_targetILNS1_3genE0ELNS1_11target_archE4294967295ELNS1_3gpuE0ELNS1_3repE0EEENS1_30default_config_static_selectorELNS0_4arch9wavefront6targetE1EEEvT1_,comdat
.Lfunc_end1759:
	.size	_ZN7rocprim17ROCPRIM_400000_NS6detail17trampoline_kernelINS0_14default_configENS1_20scan_config_selectorIfEEZZNS1_9scan_implILNS1_25lookback_scan_determinismE0ELb1ELb1ES3_N6thrust23THRUST_200600_302600_NS6detail15normal_iteratorINS9_10device_ptrIiEEEENSB_INSC_IfEEEEfNS9_4plusIvEEfEEDaPvRmT3_T4_T5_mT6_P12ihipStream_tbENKUlT_T0_E_clISt17integral_constantIbLb1EESV_IbLb0EEEEDaSR_SS_EUlSR_E0_NS1_11comp_targetILNS1_3genE0ELNS1_11target_archE4294967295ELNS1_3gpuE0ELNS1_3repE0EEENS1_30default_config_static_selectorELNS0_4arch9wavefront6targetE1EEEvT1_, .Lfunc_end1759-_ZN7rocprim17ROCPRIM_400000_NS6detail17trampoline_kernelINS0_14default_configENS1_20scan_config_selectorIfEEZZNS1_9scan_implILNS1_25lookback_scan_determinismE0ELb1ELb1ES3_N6thrust23THRUST_200600_302600_NS6detail15normal_iteratorINS9_10device_ptrIiEEEENSB_INSC_IfEEEEfNS9_4plusIvEEfEEDaPvRmT3_T4_T5_mT6_P12ihipStream_tbENKUlT_T0_E_clISt17integral_constantIbLb1EESV_IbLb0EEEEDaSR_SS_EUlSR_E0_NS1_11comp_targetILNS1_3genE0ELNS1_11target_archE4294967295ELNS1_3gpuE0ELNS1_3repE0EEENS1_30default_config_static_selectorELNS0_4arch9wavefront6targetE1EEEvT1_
                                        ; -- End function
	.section	.AMDGPU.csdata,"",@progbits
; Kernel info:
; codeLenInByte = 0
; NumSgprs: 4
; NumVgprs: 0
; NumAgprs: 0
; TotalNumVgprs: 0
; ScratchSize: 0
; MemoryBound: 0
; FloatMode: 240
; IeeeMode: 1
; LDSByteSize: 0 bytes/workgroup (compile time only)
; SGPRBlocks: 0
; VGPRBlocks: 0
; NumSGPRsForWavesPerEU: 4
; NumVGPRsForWavesPerEU: 1
; AccumOffset: 4
; Occupancy: 8
; WaveLimiterHint : 0
; COMPUTE_PGM_RSRC2:SCRATCH_EN: 0
; COMPUTE_PGM_RSRC2:USER_SGPR: 6
; COMPUTE_PGM_RSRC2:TRAP_HANDLER: 0
; COMPUTE_PGM_RSRC2:TGID_X_EN: 1
; COMPUTE_PGM_RSRC2:TGID_Y_EN: 0
; COMPUTE_PGM_RSRC2:TGID_Z_EN: 0
; COMPUTE_PGM_RSRC2:TIDIG_COMP_CNT: 0
; COMPUTE_PGM_RSRC3_GFX90A:ACCUM_OFFSET: 0
; COMPUTE_PGM_RSRC3_GFX90A:TG_SPLIT: 0
	.section	.text._ZN7rocprim17ROCPRIM_400000_NS6detail17trampoline_kernelINS0_14default_configENS1_20scan_config_selectorIfEEZZNS1_9scan_implILNS1_25lookback_scan_determinismE0ELb1ELb1ES3_N6thrust23THRUST_200600_302600_NS6detail15normal_iteratorINS9_10device_ptrIiEEEENSB_INSC_IfEEEEfNS9_4plusIvEEfEEDaPvRmT3_T4_T5_mT6_P12ihipStream_tbENKUlT_T0_E_clISt17integral_constantIbLb1EESV_IbLb0EEEEDaSR_SS_EUlSR_E0_NS1_11comp_targetILNS1_3genE5ELNS1_11target_archE942ELNS1_3gpuE9ELNS1_3repE0EEENS1_30default_config_static_selectorELNS0_4arch9wavefront6targetE1EEEvT1_,"axG",@progbits,_ZN7rocprim17ROCPRIM_400000_NS6detail17trampoline_kernelINS0_14default_configENS1_20scan_config_selectorIfEEZZNS1_9scan_implILNS1_25lookback_scan_determinismE0ELb1ELb1ES3_N6thrust23THRUST_200600_302600_NS6detail15normal_iteratorINS9_10device_ptrIiEEEENSB_INSC_IfEEEEfNS9_4plusIvEEfEEDaPvRmT3_T4_T5_mT6_P12ihipStream_tbENKUlT_T0_E_clISt17integral_constantIbLb1EESV_IbLb0EEEEDaSR_SS_EUlSR_E0_NS1_11comp_targetILNS1_3genE5ELNS1_11target_archE942ELNS1_3gpuE9ELNS1_3repE0EEENS1_30default_config_static_selectorELNS0_4arch9wavefront6targetE1EEEvT1_,comdat
	.protected	_ZN7rocprim17ROCPRIM_400000_NS6detail17trampoline_kernelINS0_14default_configENS1_20scan_config_selectorIfEEZZNS1_9scan_implILNS1_25lookback_scan_determinismE0ELb1ELb1ES3_N6thrust23THRUST_200600_302600_NS6detail15normal_iteratorINS9_10device_ptrIiEEEENSB_INSC_IfEEEEfNS9_4plusIvEEfEEDaPvRmT3_T4_T5_mT6_P12ihipStream_tbENKUlT_T0_E_clISt17integral_constantIbLb1EESV_IbLb0EEEEDaSR_SS_EUlSR_E0_NS1_11comp_targetILNS1_3genE5ELNS1_11target_archE942ELNS1_3gpuE9ELNS1_3repE0EEENS1_30default_config_static_selectorELNS0_4arch9wavefront6targetE1EEEvT1_ ; -- Begin function _ZN7rocprim17ROCPRIM_400000_NS6detail17trampoline_kernelINS0_14default_configENS1_20scan_config_selectorIfEEZZNS1_9scan_implILNS1_25lookback_scan_determinismE0ELb1ELb1ES3_N6thrust23THRUST_200600_302600_NS6detail15normal_iteratorINS9_10device_ptrIiEEEENSB_INSC_IfEEEEfNS9_4plusIvEEfEEDaPvRmT3_T4_T5_mT6_P12ihipStream_tbENKUlT_T0_E_clISt17integral_constantIbLb1EESV_IbLb0EEEEDaSR_SS_EUlSR_E0_NS1_11comp_targetILNS1_3genE5ELNS1_11target_archE942ELNS1_3gpuE9ELNS1_3repE0EEENS1_30default_config_static_selectorELNS0_4arch9wavefront6targetE1EEEvT1_
	.globl	_ZN7rocprim17ROCPRIM_400000_NS6detail17trampoline_kernelINS0_14default_configENS1_20scan_config_selectorIfEEZZNS1_9scan_implILNS1_25lookback_scan_determinismE0ELb1ELb1ES3_N6thrust23THRUST_200600_302600_NS6detail15normal_iteratorINS9_10device_ptrIiEEEENSB_INSC_IfEEEEfNS9_4plusIvEEfEEDaPvRmT3_T4_T5_mT6_P12ihipStream_tbENKUlT_T0_E_clISt17integral_constantIbLb1EESV_IbLb0EEEEDaSR_SS_EUlSR_E0_NS1_11comp_targetILNS1_3genE5ELNS1_11target_archE942ELNS1_3gpuE9ELNS1_3repE0EEENS1_30default_config_static_selectorELNS0_4arch9wavefront6targetE1EEEvT1_
	.p2align	8
	.type	_ZN7rocprim17ROCPRIM_400000_NS6detail17trampoline_kernelINS0_14default_configENS1_20scan_config_selectorIfEEZZNS1_9scan_implILNS1_25lookback_scan_determinismE0ELb1ELb1ES3_N6thrust23THRUST_200600_302600_NS6detail15normal_iteratorINS9_10device_ptrIiEEEENSB_INSC_IfEEEEfNS9_4plusIvEEfEEDaPvRmT3_T4_T5_mT6_P12ihipStream_tbENKUlT_T0_E_clISt17integral_constantIbLb1EESV_IbLb0EEEEDaSR_SS_EUlSR_E0_NS1_11comp_targetILNS1_3genE5ELNS1_11target_archE942ELNS1_3gpuE9ELNS1_3repE0EEENS1_30default_config_static_selectorELNS0_4arch9wavefront6targetE1EEEvT1_,@function
_ZN7rocprim17ROCPRIM_400000_NS6detail17trampoline_kernelINS0_14default_configENS1_20scan_config_selectorIfEEZZNS1_9scan_implILNS1_25lookback_scan_determinismE0ELb1ELb1ES3_N6thrust23THRUST_200600_302600_NS6detail15normal_iteratorINS9_10device_ptrIiEEEENSB_INSC_IfEEEEfNS9_4plusIvEEfEEDaPvRmT3_T4_T5_mT6_P12ihipStream_tbENKUlT_T0_E_clISt17integral_constantIbLb1EESV_IbLb0EEEEDaSR_SS_EUlSR_E0_NS1_11comp_targetILNS1_3genE5ELNS1_11target_archE942ELNS1_3gpuE9ELNS1_3repE0EEENS1_30default_config_static_selectorELNS0_4arch9wavefront6targetE1EEEvT1_: ; @_ZN7rocprim17ROCPRIM_400000_NS6detail17trampoline_kernelINS0_14default_configENS1_20scan_config_selectorIfEEZZNS1_9scan_implILNS1_25lookback_scan_determinismE0ELb1ELb1ES3_N6thrust23THRUST_200600_302600_NS6detail15normal_iteratorINS9_10device_ptrIiEEEENSB_INSC_IfEEEEfNS9_4plusIvEEfEEDaPvRmT3_T4_T5_mT6_P12ihipStream_tbENKUlT_T0_E_clISt17integral_constantIbLb1EESV_IbLb0EEEEDaSR_SS_EUlSR_E0_NS1_11comp_targetILNS1_3genE5ELNS1_11target_archE942ELNS1_3gpuE9ELNS1_3repE0EEENS1_30default_config_static_selectorELNS0_4arch9wavefront6targetE1EEEvT1_
; %bb.0:
	.section	.rodata,"a",@progbits
	.p2align	6, 0x0
	.amdhsa_kernel _ZN7rocprim17ROCPRIM_400000_NS6detail17trampoline_kernelINS0_14default_configENS1_20scan_config_selectorIfEEZZNS1_9scan_implILNS1_25lookback_scan_determinismE0ELb1ELb1ES3_N6thrust23THRUST_200600_302600_NS6detail15normal_iteratorINS9_10device_ptrIiEEEENSB_INSC_IfEEEEfNS9_4plusIvEEfEEDaPvRmT3_T4_T5_mT6_P12ihipStream_tbENKUlT_T0_E_clISt17integral_constantIbLb1EESV_IbLb0EEEEDaSR_SS_EUlSR_E0_NS1_11comp_targetILNS1_3genE5ELNS1_11target_archE942ELNS1_3gpuE9ELNS1_3repE0EEENS1_30default_config_static_selectorELNS0_4arch9wavefront6targetE1EEEvT1_
		.amdhsa_group_segment_fixed_size 0
		.amdhsa_private_segment_fixed_size 0
		.amdhsa_kernarg_size 32
		.amdhsa_user_sgpr_count 6
		.amdhsa_user_sgpr_private_segment_buffer 1
		.amdhsa_user_sgpr_dispatch_ptr 0
		.amdhsa_user_sgpr_queue_ptr 0
		.amdhsa_user_sgpr_kernarg_segment_ptr 1
		.amdhsa_user_sgpr_dispatch_id 0
		.amdhsa_user_sgpr_flat_scratch_init 0
		.amdhsa_user_sgpr_kernarg_preload_length 0
		.amdhsa_user_sgpr_kernarg_preload_offset 0
		.amdhsa_user_sgpr_private_segment_size 0
		.amdhsa_uses_dynamic_stack 0
		.amdhsa_system_sgpr_private_segment_wavefront_offset 0
		.amdhsa_system_sgpr_workgroup_id_x 1
		.amdhsa_system_sgpr_workgroup_id_y 0
		.amdhsa_system_sgpr_workgroup_id_z 0
		.amdhsa_system_sgpr_workgroup_info 0
		.amdhsa_system_vgpr_workitem_id 0
		.amdhsa_next_free_vgpr 1
		.amdhsa_next_free_sgpr 0
		.amdhsa_accum_offset 4
		.amdhsa_reserve_vcc 0
		.amdhsa_reserve_flat_scratch 0
		.amdhsa_float_round_mode_32 0
		.amdhsa_float_round_mode_16_64 0
		.amdhsa_float_denorm_mode_32 3
		.amdhsa_float_denorm_mode_16_64 3
		.amdhsa_dx10_clamp 1
		.amdhsa_ieee_mode 1
		.amdhsa_fp16_overflow 0
		.amdhsa_tg_split 0
		.amdhsa_exception_fp_ieee_invalid_op 0
		.amdhsa_exception_fp_denorm_src 0
		.amdhsa_exception_fp_ieee_div_zero 0
		.amdhsa_exception_fp_ieee_overflow 0
		.amdhsa_exception_fp_ieee_underflow 0
		.amdhsa_exception_fp_ieee_inexact 0
		.amdhsa_exception_int_div_zero 0
	.end_amdhsa_kernel
	.section	.text._ZN7rocprim17ROCPRIM_400000_NS6detail17trampoline_kernelINS0_14default_configENS1_20scan_config_selectorIfEEZZNS1_9scan_implILNS1_25lookback_scan_determinismE0ELb1ELb1ES3_N6thrust23THRUST_200600_302600_NS6detail15normal_iteratorINS9_10device_ptrIiEEEENSB_INSC_IfEEEEfNS9_4plusIvEEfEEDaPvRmT3_T4_T5_mT6_P12ihipStream_tbENKUlT_T0_E_clISt17integral_constantIbLb1EESV_IbLb0EEEEDaSR_SS_EUlSR_E0_NS1_11comp_targetILNS1_3genE5ELNS1_11target_archE942ELNS1_3gpuE9ELNS1_3repE0EEENS1_30default_config_static_selectorELNS0_4arch9wavefront6targetE1EEEvT1_,"axG",@progbits,_ZN7rocprim17ROCPRIM_400000_NS6detail17trampoline_kernelINS0_14default_configENS1_20scan_config_selectorIfEEZZNS1_9scan_implILNS1_25lookback_scan_determinismE0ELb1ELb1ES3_N6thrust23THRUST_200600_302600_NS6detail15normal_iteratorINS9_10device_ptrIiEEEENSB_INSC_IfEEEEfNS9_4plusIvEEfEEDaPvRmT3_T4_T5_mT6_P12ihipStream_tbENKUlT_T0_E_clISt17integral_constantIbLb1EESV_IbLb0EEEEDaSR_SS_EUlSR_E0_NS1_11comp_targetILNS1_3genE5ELNS1_11target_archE942ELNS1_3gpuE9ELNS1_3repE0EEENS1_30default_config_static_selectorELNS0_4arch9wavefront6targetE1EEEvT1_,comdat
.Lfunc_end1760:
	.size	_ZN7rocprim17ROCPRIM_400000_NS6detail17trampoline_kernelINS0_14default_configENS1_20scan_config_selectorIfEEZZNS1_9scan_implILNS1_25lookback_scan_determinismE0ELb1ELb1ES3_N6thrust23THRUST_200600_302600_NS6detail15normal_iteratorINS9_10device_ptrIiEEEENSB_INSC_IfEEEEfNS9_4plusIvEEfEEDaPvRmT3_T4_T5_mT6_P12ihipStream_tbENKUlT_T0_E_clISt17integral_constantIbLb1EESV_IbLb0EEEEDaSR_SS_EUlSR_E0_NS1_11comp_targetILNS1_3genE5ELNS1_11target_archE942ELNS1_3gpuE9ELNS1_3repE0EEENS1_30default_config_static_selectorELNS0_4arch9wavefront6targetE1EEEvT1_, .Lfunc_end1760-_ZN7rocprim17ROCPRIM_400000_NS6detail17trampoline_kernelINS0_14default_configENS1_20scan_config_selectorIfEEZZNS1_9scan_implILNS1_25lookback_scan_determinismE0ELb1ELb1ES3_N6thrust23THRUST_200600_302600_NS6detail15normal_iteratorINS9_10device_ptrIiEEEENSB_INSC_IfEEEEfNS9_4plusIvEEfEEDaPvRmT3_T4_T5_mT6_P12ihipStream_tbENKUlT_T0_E_clISt17integral_constantIbLb1EESV_IbLb0EEEEDaSR_SS_EUlSR_E0_NS1_11comp_targetILNS1_3genE5ELNS1_11target_archE942ELNS1_3gpuE9ELNS1_3repE0EEENS1_30default_config_static_selectorELNS0_4arch9wavefront6targetE1EEEvT1_
                                        ; -- End function
	.section	.AMDGPU.csdata,"",@progbits
; Kernel info:
; codeLenInByte = 0
; NumSgprs: 4
; NumVgprs: 0
; NumAgprs: 0
; TotalNumVgprs: 0
; ScratchSize: 0
; MemoryBound: 0
; FloatMode: 240
; IeeeMode: 1
; LDSByteSize: 0 bytes/workgroup (compile time only)
; SGPRBlocks: 0
; VGPRBlocks: 0
; NumSGPRsForWavesPerEU: 4
; NumVGPRsForWavesPerEU: 1
; AccumOffset: 4
; Occupancy: 8
; WaveLimiterHint : 0
; COMPUTE_PGM_RSRC2:SCRATCH_EN: 0
; COMPUTE_PGM_RSRC2:USER_SGPR: 6
; COMPUTE_PGM_RSRC2:TRAP_HANDLER: 0
; COMPUTE_PGM_RSRC2:TGID_X_EN: 1
; COMPUTE_PGM_RSRC2:TGID_Y_EN: 0
; COMPUTE_PGM_RSRC2:TGID_Z_EN: 0
; COMPUTE_PGM_RSRC2:TIDIG_COMP_CNT: 0
; COMPUTE_PGM_RSRC3_GFX90A:ACCUM_OFFSET: 0
; COMPUTE_PGM_RSRC3_GFX90A:TG_SPLIT: 0
	.section	.text._ZN7rocprim17ROCPRIM_400000_NS6detail17trampoline_kernelINS0_14default_configENS1_20scan_config_selectorIfEEZZNS1_9scan_implILNS1_25lookback_scan_determinismE0ELb1ELb1ES3_N6thrust23THRUST_200600_302600_NS6detail15normal_iteratorINS9_10device_ptrIiEEEENSB_INSC_IfEEEEfNS9_4plusIvEEfEEDaPvRmT3_T4_T5_mT6_P12ihipStream_tbENKUlT_T0_E_clISt17integral_constantIbLb1EESV_IbLb0EEEEDaSR_SS_EUlSR_E0_NS1_11comp_targetILNS1_3genE4ELNS1_11target_archE910ELNS1_3gpuE8ELNS1_3repE0EEENS1_30default_config_static_selectorELNS0_4arch9wavefront6targetE1EEEvT1_,"axG",@progbits,_ZN7rocprim17ROCPRIM_400000_NS6detail17trampoline_kernelINS0_14default_configENS1_20scan_config_selectorIfEEZZNS1_9scan_implILNS1_25lookback_scan_determinismE0ELb1ELb1ES3_N6thrust23THRUST_200600_302600_NS6detail15normal_iteratorINS9_10device_ptrIiEEEENSB_INSC_IfEEEEfNS9_4plusIvEEfEEDaPvRmT3_T4_T5_mT6_P12ihipStream_tbENKUlT_T0_E_clISt17integral_constantIbLb1EESV_IbLb0EEEEDaSR_SS_EUlSR_E0_NS1_11comp_targetILNS1_3genE4ELNS1_11target_archE910ELNS1_3gpuE8ELNS1_3repE0EEENS1_30default_config_static_selectorELNS0_4arch9wavefront6targetE1EEEvT1_,comdat
	.protected	_ZN7rocprim17ROCPRIM_400000_NS6detail17trampoline_kernelINS0_14default_configENS1_20scan_config_selectorIfEEZZNS1_9scan_implILNS1_25lookback_scan_determinismE0ELb1ELb1ES3_N6thrust23THRUST_200600_302600_NS6detail15normal_iteratorINS9_10device_ptrIiEEEENSB_INSC_IfEEEEfNS9_4plusIvEEfEEDaPvRmT3_T4_T5_mT6_P12ihipStream_tbENKUlT_T0_E_clISt17integral_constantIbLb1EESV_IbLb0EEEEDaSR_SS_EUlSR_E0_NS1_11comp_targetILNS1_3genE4ELNS1_11target_archE910ELNS1_3gpuE8ELNS1_3repE0EEENS1_30default_config_static_selectorELNS0_4arch9wavefront6targetE1EEEvT1_ ; -- Begin function _ZN7rocprim17ROCPRIM_400000_NS6detail17trampoline_kernelINS0_14default_configENS1_20scan_config_selectorIfEEZZNS1_9scan_implILNS1_25lookback_scan_determinismE0ELb1ELb1ES3_N6thrust23THRUST_200600_302600_NS6detail15normal_iteratorINS9_10device_ptrIiEEEENSB_INSC_IfEEEEfNS9_4plusIvEEfEEDaPvRmT3_T4_T5_mT6_P12ihipStream_tbENKUlT_T0_E_clISt17integral_constantIbLb1EESV_IbLb0EEEEDaSR_SS_EUlSR_E0_NS1_11comp_targetILNS1_3genE4ELNS1_11target_archE910ELNS1_3gpuE8ELNS1_3repE0EEENS1_30default_config_static_selectorELNS0_4arch9wavefront6targetE1EEEvT1_
	.globl	_ZN7rocprim17ROCPRIM_400000_NS6detail17trampoline_kernelINS0_14default_configENS1_20scan_config_selectorIfEEZZNS1_9scan_implILNS1_25lookback_scan_determinismE0ELb1ELb1ES3_N6thrust23THRUST_200600_302600_NS6detail15normal_iteratorINS9_10device_ptrIiEEEENSB_INSC_IfEEEEfNS9_4plusIvEEfEEDaPvRmT3_T4_T5_mT6_P12ihipStream_tbENKUlT_T0_E_clISt17integral_constantIbLb1EESV_IbLb0EEEEDaSR_SS_EUlSR_E0_NS1_11comp_targetILNS1_3genE4ELNS1_11target_archE910ELNS1_3gpuE8ELNS1_3repE0EEENS1_30default_config_static_selectorELNS0_4arch9wavefront6targetE1EEEvT1_
	.p2align	8
	.type	_ZN7rocprim17ROCPRIM_400000_NS6detail17trampoline_kernelINS0_14default_configENS1_20scan_config_selectorIfEEZZNS1_9scan_implILNS1_25lookback_scan_determinismE0ELb1ELb1ES3_N6thrust23THRUST_200600_302600_NS6detail15normal_iteratorINS9_10device_ptrIiEEEENSB_INSC_IfEEEEfNS9_4plusIvEEfEEDaPvRmT3_T4_T5_mT6_P12ihipStream_tbENKUlT_T0_E_clISt17integral_constantIbLb1EESV_IbLb0EEEEDaSR_SS_EUlSR_E0_NS1_11comp_targetILNS1_3genE4ELNS1_11target_archE910ELNS1_3gpuE8ELNS1_3repE0EEENS1_30default_config_static_selectorELNS0_4arch9wavefront6targetE1EEEvT1_,@function
_ZN7rocprim17ROCPRIM_400000_NS6detail17trampoline_kernelINS0_14default_configENS1_20scan_config_selectorIfEEZZNS1_9scan_implILNS1_25lookback_scan_determinismE0ELb1ELb1ES3_N6thrust23THRUST_200600_302600_NS6detail15normal_iteratorINS9_10device_ptrIiEEEENSB_INSC_IfEEEEfNS9_4plusIvEEfEEDaPvRmT3_T4_T5_mT6_P12ihipStream_tbENKUlT_T0_E_clISt17integral_constantIbLb1EESV_IbLb0EEEEDaSR_SS_EUlSR_E0_NS1_11comp_targetILNS1_3genE4ELNS1_11target_archE910ELNS1_3gpuE8ELNS1_3repE0EEENS1_30default_config_static_selectorELNS0_4arch9wavefront6targetE1EEEvT1_: ; @_ZN7rocprim17ROCPRIM_400000_NS6detail17trampoline_kernelINS0_14default_configENS1_20scan_config_selectorIfEEZZNS1_9scan_implILNS1_25lookback_scan_determinismE0ELb1ELb1ES3_N6thrust23THRUST_200600_302600_NS6detail15normal_iteratorINS9_10device_ptrIiEEEENSB_INSC_IfEEEEfNS9_4plusIvEEfEEDaPvRmT3_T4_T5_mT6_P12ihipStream_tbENKUlT_T0_E_clISt17integral_constantIbLb1EESV_IbLb0EEEEDaSR_SS_EUlSR_E0_NS1_11comp_targetILNS1_3genE4ELNS1_11target_archE910ELNS1_3gpuE8ELNS1_3repE0EEENS1_30default_config_static_selectorELNS0_4arch9wavefront6targetE1EEEvT1_
; %bb.0:
	s_load_dwordx4 s[28:31], s[4:5], 0x0
	v_lshlrev_b32_e32 v18, 2, v0
	s_waitcnt lgkmcnt(0)
	s_load_dword s0, s[28:29], 0x0
	v_cmp_gt_u32_e32 vcc, s30, v0
	s_waitcnt lgkmcnt(0)
	v_cvt_f32_i32_e32 v1, s0
	v_mov_b32_e32 v2, v1
	s_and_saveexec_b64 s[0:1], vcc
	s_cbranch_execz .LBB1761_2
; %bb.1:
	global_load_dword v2, v18, s[28:29]
	s_waitcnt vmcnt(0)
	v_cvt_f32_i32_e32 v2, v2
.LBB1761_2:
	s_or_b64 exec, exec, s[0:1]
	v_or_b32_e32 v3, 0x80, v0
	v_cmp_gt_u32_e64 s[0:1], s30, v3
	v_mov_b32_e32 v3, v1
	s_and_saveexec_b64 s[2:3], s[0:1]
	s_cbranch_execz .LBB1761_4
; %bb.3:
	global_load_dword v3, v18, s[28:29] offset:512
	s_waitcnt vmcnt(0)
	v_cvt_f32_i32_e32 v3, v3
.LBB1761_4:
	s_or_b64 exec, exec, s[2:3]
	v_or_b32_e32 v4, 0x100, v0
	v_cmp_gt_u32_e64 s[2:3], s30, v4
	v_mov_b32_e32 v4, v1
	s_and_saveexec_b64 s[6:7], s[2:3]
	s_cbranch_execz .LBB1761_6
; %bb.5:
	global_load_dword v4, v18, s[28:29] offset:1024
	s_waitcnt vmcnt(0)
	v_cvt_f32_i32_e32 v4, v4
.LBB1761_6:
	;; [unrolled: 11-line block ×7, first 2 shown]
	s_or_b64 exec, exec, s[14:15]
	v_or_b32_e32 v11, 0x400, v0
	v_cmp_gt_u32_e64 s[14:15], s30, v11
	v_mov_b32_e32 v10, v1
	s_and_saveexec_b64 s[16:17], s[14:15]
	s_cbranch_execz .LBB1761_18
; %bb.17:
	v_lshlrev_b32_e32 v10, 2, v11
	global_load_dword v10, v10, s[28:29]
	s_waitcnt vmcnt(0)
	v_cvt_f32_i32_e32 v10, v10
.LBB1761_18:
	s_or_b64 exec, exec, s[16:17]
	v_or_b32_e32 v12, 0x480, v0
	v_cmp_gt_u32_e64 s[16:17], s30, v12
	v_mov_b32_e32 v11, v1
	s_and_saveexec_b64 s[18:19], s[16:17]
	s_cbranch_execz .LBB1761_20
; %bb.19:
	v_lshlrev_b32_e32 v11, 2, v12
	global_load_dword v11, v11, s[28:29]
	s_waitcnt vmcnt(0)
	v_cvt_f32_i32_e32 v11, v11
.LBB1761_20:
	s_or_b64 exec, exec, s[18:19]
	v_or_b32_e32 v13, 0x500, v0
	v_cmp_gt_u32_e64 s[18:19], s30, v13
	v_mov_b32_e32 v12, v1
	s_and_saveexec_b64 s[20:21], s[18:19]
	s_cbranch_execz .LBB1761_22
; %bb.21:
	v_lshlrev_b32_e32 v12, 2, v13
	global_load_dword v12, v12, s[28:29]
	s_waitcnt vmcnt(0)
	v_cvt_f32_i32_e32 v12, v12
.LBB1761_22:
	s_or_b64 exec, exec, s[20:21]
	v_or_b32_e32 v14, 0x580, v0
	v_cmp_gt_u32_e64 s[20:21], s30, v14
	v_mov_b32_e32 v13, v1
	s_and_saveexec_b64 s[22:23], s[20:21]
	s_cbranch_execz .LBB1761_24
; %bb.23:
	v_lshlrev_b32_e32 v13, 2, v14
	global_load_dword v13, v13, s[28:29]
	s_waitcnt vmcnt(0)
	v_cvt_f32_i32_e32 v13, v13
.LBB1761_24:
	s_or_b64 exec, exec, s[22:23]
	v_or_b32_e32 v15, 0x600, v0
	v_cmp_gt_u32_e64 s[22:23], s30, v15
	v_mov_b32_e32 v14, v1
	s_and_saveexec_b64 s[24:25], s[22:23]
	s_cbranch_execz .LBB1761_26
; %bb.25:
	v_lshlrev_b32_e32 v14, 2, v15
	global_load_dword v14, v14, s[28:29]
	s_waitcnt vmcnt(0)
	v_cvt_f32_i32_e32 v14, v14
.LBB1761_26:
	s_or_b64 exec, exec, s[24:25]
	s_load_dword s33, s[4:5], 0x10
	v_or_b32_e32 v15, 0x680, v0
	v_cmp_gt_u32_e64 s[24:25], s30, v15
	s_and_saveexec_b64 s[30:31], s[24:25]
	s_cbranch_execz .LBB1761_28
; %bb.27:
	v_lshlrev_b32_e32 v1, 2, v15
	global_load_dword v1, v1, s[28:29]
	s_waitcnt vmcnt(0)
	v_cvt_f32_i32_e32 v1, v1
.LBB1761_28:
	s_or_b64 exec, exec, s[30:31]
	ds_write2st64_b32 v18, v2, v3 offset1:2
	ds_write2st64_b32 v18, v4, v5 offset0:4 offset1:6
	ds_write2st64_b32 v18, v6, v7 offset0:8 offset1:10
	;; [unrolled: 1-line block ×6, first 2 shown]
	v_mad_u32_u24 v1, v0, 52, v18
	s_waitcnt lgkmcnt(0)
	s_barrier
	ds_read2_b64 v[10:13], v1 offset1:1
	ds_read2_b64 v[6:9], v1 offset0:2 offset1:3
	ds_read2_b64 v[2:5], v1 offset0:4 offset1:5
	ds_read_b64 v[14:15], v1 offset:48
	s_load_dwordx2 s[34:35], s[4:5], 0x18
	s_waitcnt lgkmcnt(0)
	v_add_f32_e32 v16, v10, v11
	v_add_f32_e32 v16, v16, v12
	;; [unrolled: 1-line block ×13, first 2 shown]
	v_lshrrev_b32_e32 v16, 3, v0
	v_and_b32_e32 v16, 12, v16
	v_add_u32_e32 v16, v18, v16
	v_cmp_gt_u32_e64 s[4:5], 64, v0
	s_barrier
	ds_write_b32 v16, v15
	s_waitcnt lgkmcnt(0)
	s_barrier
	s_and_saveexec_b64 s[36:37], s[4:5]
	s_cbranch_execz .LBB1761_30
; %bb.29:
	v_lshlrev_b32_e32 v16, 1, v0
	v_lshrrev_b32_e32 v17, 4, v0
	v_add_lshl_u32 v19, v17, v16, 2
	ds_read2_b32 v[16:17], v19 offset1:1
	v_mbcnt_lo_u32_b32 v20, -1, 0
	v_mbcnt_hi_u32_b32 v20, -1, v20
	v_and_b32_e32 v21, 15, v20
	v_cmp_eq_u32_e64 s[4:5], 0, v21
	s_waitcnt lgkmcnt(0)
	v_add_f32_e32 v17, v16, v17
	v_cmp_lt_u32_e64 s[28:29], 3, v21
	v_cmp_lt_u32_e64 s[30:31], 31, v20
	v_mov_b32_dpp v22, v17 row_shr:1 row_mask:0xf bank_mask:0xf
	v_add_f32_e32 v22, v17, v22
	v_cndmask_b32_e64 v17, v22, v17, s[4:5]
	v_cmp_lt_u32_e64 s[4:5], 1, v21
	s_nop 0
	v_mov_b32_dpp v22, v17 row_shr:2 row_mask:0xf bank_mask:0xf
	v_add_f32_e32 v22, v17, v22
	v_cndmask_b32_e64 v22, v17, v22, s[4:5]
	; wave barrier
	s_nop 1
	v_mov_b32_dpp v23, v22 row_shr:4 row_mask:0xf bank_mask:0xf
	v_add_f32_e32 v23, v22, v23
	v_cndmask_b32_e64 v22, v22, v23, s[28:29]
	v_cmp_lt_u32_e64 s[28:29], 7, v21
	s_nop 0
	v_mov_b32_dpp v23, v22 row_shr:8 row_mask:0xf bank_mask:0xf
	v_add_f32_e32 v23, v22, v23
	v_cndmask_b32_e64 v21, v22, v23, s[28:29]
	v_and_b32_e32 v23, 16, v20
	v_cmp_eq_u32_e64 s[28:29], 0, v23
	v_mov_b32_dpp v22, v21 row_bcast:15 row_mask:0xf bank_mask:0xf
	v_add_f32_e32 v22, v21, v22
	v_cndmask_b32_e64 v21, v22, v21, s[28:29]
	v_cmp_lt_u32_e64 s[28:29], 15, v20
	s_or_b64 s[4:5], s[28:29], s[4:5]
	v_mov_b32_dpp v22, v21 row_bcast:31 row_mask:0xf bank_mask:0xf
	v_add_f32_e32 v22, v21, v22
	v_cndmask_b32_e64 v21, v21, v22, s[30:31]
	v_cndmask_b32_e64 v17, v17, v21, s[4:5]
	v_add_u32_e32 v21, -1, v20
	v_and_b32_e32 v22, 64, v20
	v_cmp_lt_i32_e64 s[4:5], v21, v22
	v_cndmask_b32_e64 v20, v21, v20, s[4:5]
	v_lshlrev_b32_e32 v20, 2, v20
	ds_bpermute_b32 v17, v20, v17
	v_cmp_eq_u32_e64 s[4:5], 0, v0
	s_waitcnt lgkmcnt(0)
	v_add_f32_e32 v16, v16, v17
	v_cndmask_b32_e64 v15, v16, v15, s[4:5]
	ds_write_b32 v19, v15
	; wave barrier
	ds_read_b32 v16, v19 offset:4
	s_waitcnt lgkmcnt(0)
	v_add_f32_e32 v15, v15, v16
	ds_write_b32 v19, v15 offset:4
.LBB1761_30:
	s_or_b64 exec, exec, s[36:37]
	v_cmp_ne_u32_e64 s[4:5], 0, v0
	v_mov_b32_e32 v16, s33
	s_waitcnt lgkmcnt(0)
	s_barrier
	s_and_saveexec_b64 s[28:29], s[4:5]
	s_cbranch_execz .LBB1761_32
; %bb.31:
	v_add_u32_e32 v15, -1, v0
	v_lshrrev_b32_e32 v16, 5, v15
	v_add_lshl_u32 v15, v16, v15, 2
	ds_read_b32 v15, v15
	s_waitcnt lgkmcnt(0)
	v_add_f32_e32 v16, s33, v15
.LBB1761_32:
	s_or_b64 exec, exec, s[28:29]
	v_add_f32_e32 v17, v10, v16
	v_add_f32_e32 v10, v11, v17
	;; [unrolled: 1-line block ×12, first 2 shown]
	s_movk_i32 s4, 0xffcc
	v_add_f32_e32 v5, v14, v4
	v_mad_i32_i24 v0, v0, s4, v1
	s_barrier
	ds_write2_b64 v1, v[16:17], v[10:11] offset1:1
	ds_write2_b64 v1, v[12:13], v[6:7] offset0:2 offset1:3
	ds_write2_b64 v1, v[8:9], v[2:3] offset0:4 offset1:5
	ds_write_b64 v1, v[4:5] offset:48
	s_waitcnt lgkmcnt(0)
	s_barrier
	ds_read2st64_b32 v[12:13], v0 offset0:2 offset1:4
	ds_read2st64_b32 v[10:11], v0 offset0:6 offset1:8
	;; [unrolled: 1-line block ×4, first 2 shown]
	ds_read_b32 v14, v18 offset:4096
	ds_read2st64_b32 v[4:5], v0 offset0:20 offset1:22
	ds_read2st64_b32 v[0:1], v0 offset0:24 offset1:26
	v_mov_b32_e32 v3, s35
	v_add_co_u32_e64 v2, s[4:5], s34, v18
	v_addc_co_u32_e64 v3, s[4:5], 0, v3, s[4:5]
	s_and_saveexec_b64 s[4:5], vcc
	s_cbranch_execnz .LBB1761_47
; %bb.33:
	s_or_b64 exec, exec, s[4:5]
	s_and_saveexec_b64 s[4:5], s[0:1]
	s_cbranch_execnz .LBB1761_48
.LBB1761_34:
	s_or_b64 exec, exec, s[4:5]
	s_and_saveexec_b64 s[0:1], s[2:3]
	s_cbranch_execnz .LBB1761_49
.LBB1761_35:
	s_or_b64 exec, exec, s[0:1]
	s_and_saveexec_b64 s[0:1], s[26:27]
	s_cbranch_execnz .LBB1761_50
.LBB1761_36:
	s_or_b64 exec, exec, s[0:1]
	s_and_saveexec_b64 s[0:1], s[6:7]
	s_cbranch_execnz .LBB1761_51
.LBB1761_37:
	s_or_b64 exec, exec, s[0:1]
	s_and_saveexec_b64 s[0:1], s[8:9]
	s_cbranch_execnz .LBB1761_52
.LBB1761_38:
	s_or_b64 exec, exec, s[0:1]
	s_and_saveexec_b64 s[0:1], s[10:11]
	s_cbranch_execnz .LBB1761_53
.LBB1761_39:
	s_or_b64 exec, exec, s[0:1]
	s_and_saveexec_b64 s[0:1], s[12:13]
	s_cbranch_execnz .LBB1761_54
.LBB1761_40:
	s_or_b64 exec, exec, s[0:1]
	s_and_saveexec_b64 s[0:1], s[14:15]
	s_cbranch_execnz .LBB1761_55
.LBB1761_41:
	s_or_b64 exec, exec, s[0:1]
	s_and_saveexec_b64 s[0:1], s[16:17]
	s_cbranch_execnz .LBB1761_56
.LBB1761_42:
	s_or_b64 exec, exec, s[0:1]
	s_and_saveexec_b64 s[0:1], s[18:19]
	s_cbranch_execnz .LBB1761_57
.LBB1761_43:
	s_or_b64 exec, exec, s[0:1]
	s_and_saveexec_b64 s[0:1], s[20:21]
	s_cbranch_execnz .LBB1761_58
.LBB1761_44:
	s_or_b64 exec, exec, s[0:1]
	s_and_saveexec_b64 s[0:1], s[22:23]
	s_cbranch_execnz .LBB1761_59
.LBB1761_45:
	s_or_b64 exec, exec, s[0:1]
	s_and_saveexec_b64 s[0:1], s[24:25]
	s_cbranch_execnz .LBB1761_60
.LBB1761_46:
	s_endpgm
.LBB1761_47:
	ds_read_b32 v15, v18
	s_waitcnt lgkmcnt(0)
	global_store_dword v[2:3], v15, off
	s_or_b64 exec, exec, s[4:5]
	s_and_saveexec_b64 s[4:5], s[0:1]
	s_cbranch_execz .LBB1761_34
.LBB1761_48:
	s_waitcnt lgkmcnt(6)
	global_store_dword v[2:3], v12, off offset:512
	s_or_b64 exec, exec, s[4:5]
	s_and_saveexec_b64 s[0:1], s[2:3]
	s_cbranch_execz .LBB1761_35
.LBB1761_49:
	s_waitcnt lgkmcnt(6)
	global_store_dword v[2:3], v13, off offset:1024
	s_or_b64 exec, exec, s[0:1]
	s_and_saveexec_b64 s[0:1], s[26:27]
	s_cbranch_execz .LBB1761_36
.LBB1761_50:
	s_waitcnt lgkmcnt(5)
	global_store_dword v[2:3], v10, off offset:1536
	s_or_b64 exec, exec, s[0:1]
	s_and_saveexec_b64 s[0:1], s[6:7]
	s_cbranch_execz .LBB1761_37
.LBB1761_51:
	s_waitcnt lgkmcnt(5)
	global_store_dword v[2:3], v11, off offset:2048
	s_or_b64 exec, exec, s[0:1]
	s_and_saveexec_b64 s[0:1], s[8:9]
	s_cbranch_execz .LBB1761_38
.LBB1761_52:
	s_waitcnt lgkmcnt(4)
	global_store_dword v[2:3], v8, off offset:2560
	s_or_b64 exec, exec, s[0:1]
	s_and_saveexec_b64 s[0:1], s[10:11]
	s_cbranch_execz .LBB1761_39
.LBB1761_53:
	s_waitcnt lgkmcnt(4)
	global_store_dword v[2:3], v9, off offset:3072
	s_or_b64 exec, exec, s[0:1]
	s_and_saveexec_b64 s[0:1], s[12:13]
	s_cbranch_execz .LBB1761_40
.LBB1761_54:
	s_waitcnt lgkmcnt(3)
	global_store_dword v[2:3], v6, off offset:3584
	s_or_b64 exec, exec, s[0:1]
	s_and_saveexec_b64 s[0:1], s[14:15]
	s_cbranch_execz .LBB1761_41
.LBB1761_55:
	s_waitcnt lgkmcnt(4)
	v_add_co_u32_e32 v8, vcc, 0x1000, v2
	v_addc_co_u32_e32 v9, vcc, 0, v3, vcc
	s_waitcnt lgkmcnt(2)
	global_store_dword v[8:9], v14, off
	s_or_b64 exec, exec, s[0:1]
	s_and_saveexec_b64 s[0:1], s[16:17]
	s_cbranch_execz .LBB1761_42
.LBB1761_56:
	s_waitcnt lgkmcnt(4)
	v_add_co_u32_e32 v8, vcc, 0x1000, v2
	v_addc_co_u32_e32 v9, vcc, 0, v3, vcc
	s_waitcnt lgkmcnt(3)
	global_store_dword v[8:9], v7, off offset:512
	s_or_b64 exec, exec, s[0:1]
	s_and_saveexec_b64 s[0:1], s[18:19]
	s_cbranch_execz .LBB1761_43
.LBB1761_57:
	s_waitcnt lgkmcnt(3)
	v_add_co_u32_e32 v6, vcc, 0x1000, v2
	v_addc_co_u32_e32 v7, vcc, 0, v3, vcc
	s_waitcnt lgkmcnt(1)
	global_store_dword v[6:7], v4, off offset:1024
	s_or_b64 exec, exec, s[0:1]
	s_and_saveexec_b64 s[0:1], s[20:21]
	s_cbranch_execz .LBB1761_44
.LBB1761_58:
	s_waitcnt lgkmcnt(3)
	v_add_co_u32_e32 v6, vcc, 0x1000, v2
	v_addc_co_u32_e32 v7, vcc, 0, v3, vcc
	s_waitcnt lgkmcnt(1)
	global_store_dword v[6:7], v5, off offset:1536
	s_or_b64 exec, exec, s[0:1]
	s_and_saveexec_b64 s[0:1], s[22:23]
	s_cbranch_execz .LBB1761_45
.LBB1761_59:
	s_waitcnt lgkmcnt(1)
	v_add_co_u32_e32 v4, vcc, 0x1000, v2
	v_addc_co_u32_e32 v5, vcc, 0, v3, vcc
	s_waitcnt lgkmcnt(0)
	global_store_dword v[4:5], v0, off offset:2048
	s_or_b64 exec, exec, s[0:1]
	s_and_saveexec_b64 s[0:1], s[24:25]
	s_cbranch_execz .LBB1761_46
.LBB1761_60:
	v_add_co_u32_e32 v2, vcc, 0x1000, v2
	v_addc_co_u32_e32 v3, vcc, 0, v3, vcc
	s_waitcnt lgkmcnt(0)
	global_store_dword v[2:3], v1, off offset:2560
	s_endpgm
	.section	.rodata,"a",@progbits
	.p2align	6, 0x0
	.amdhsa_kernel _ZN7rocprim17ROCPRIM_400000_NS6detail17trampoline_kernelINS0_14default_configENS1_20scan_config_selectorIfEEZZNS1_9scan_implILNS1_25lookback_scan_determinismE0ELb1ELb1ES3_N6thrust23THRUST_200600_302600_NS6detail15normal_iteratorINS9_10device_ptrIiEEEENSB_INSC_IfEEEEfNS9_4plusIvEEfEEDaPvRmT3_T4_T5_mT6_P12ihipStream_tbENKUlT_T0_E_clISt17integral_constantIbLb1EESV_IbLb0EEEEDaSR_SS_EUlSR_E0_NS1_11comp_targetILNS1_3genE4ELNS1_11target_archE910ELNS1_3gpuE8ELNS1_3repE0EEENS1_30default_config_static_selectorELNS0_4arch9wavefront6targetE1EEEvT1_
		.amdhsa_group_segment_fixed_size 7168
		.amdhsa_private_segment_fixed_size 0
		.amdhsa_kernarg_size 32
		.amdhsa_user_sgpr_count 6
		.amdhsa_user_sgpr_private_segment_buffer 1
		.amdhsa_user_sgpr_dispatch_ptr 0
		.amdhsa_user_sgpr_queue_ptr 0
		.amdhsa_user_sgpr_kernarg_segment_ptr 1
		.amdhsa_user_sgpr_dispatch_id 0
		.amdhsa_user_sgpr_flat_scratch_init 0
		.amdhsa_user_sgpr_kernarg_preload_length 0
		.amdhsa_user_sgpr_kernarg_preload_offset 0
		.amdhsa_user_sgpr_private_segment_size 0
		.amdhsa_uses_dynamic_stack 0
		.amdhsa_system_sgpr_private_segment_wavefront_offset 0
		.amdhsa_system_sgpr_workgroup_id_x 1
		.amdhsa_system_sgpr_workgroup_id_y 0
		.amdhsa_system_sgpr_workgroup_id_z 0
		.amdhsa_system_sgpr_workgroup_info 0
		.amdhsa_system_vgpr_workitem_id 0
		.amdhsa_next_free_vgpr 24
		.amdhsa_next_free_sgpr 38
		.amdhsa_accum_offset 24
		.amdhsa_reserve_vcc 1
		.amdhsa_reserve_flat_scratch 0
		.amdhsa_float_round_mode_32 0
		.amdhsa_float_round_mode_16_64 0
		.amdhsa_float_denorm_mode_32 3
		.amdhsa_float_denorm_mode_16_64 3
		.amdhsa_dx10_clamp 1
		.amdhsa_ieee_mode 1
		.amdhsa_fp16_overflow 0
		.amdhsa_tg_split 0
		.amdhsa_exception_fp_ieee_invalid_op 0
		.amdhsa_exception_fp_denorm_src 0
		.amdhsa_exception_fp_ieee_div_zero 0
		.amdhsa_exception_fp_ieee_overflow 0
		.amdhsa_exception_fp_ieee_underflow 0
		.amdhsa_exception_fp_ieee_inexact 0
		.amdhsa_exception_int_div_zero 0
	.end_amdhsa_kernel
	.section	.text._ZN7rocprim17ROCPRIM_400000_NS6detail17trampoline_kernelINS0_14default_configENS1_20scan_config_selectorIfEEZZNS1_9scan_implILNS1_25lookback_scan_determinismE0ELb1ELb1ES3_N6thrust23THRUST_200600_302600_NS6detail15normal_iteratorINS9_10device_ptrIiEEEENSB_INSC_IfEEEEfNS9_4plusIvEEfEEDaPvRmT3_T4_T5_mT6_P12ihipStream_tbENKUlT_T0_E_clISt17integral_constantIbLb1EESV_IbLb0EEEEDaSR_SS_EUlSR_E0_NS1_11comp_targetILNS1_3genE4ELNS1_11target_archE910ELNS1_3gpuE8ELNS1_3repE0EEENS1_30default_config_static_selectorELNS0_4arch9wavefront6targetE1EEEvT1_,"axG",@progbits,_ZN7rocprim17ROCPRIM_400000_NS6detail17trampoline_kernelINS0_14default_configENS1_20scan_config_selectorIfEEZZNS1_9scan_implILNS1_25lookback_scan_determinismE0ELb1ELb1ES3_N6thrust23THRUST_200600_302600_NS6detail15normal_iteratorINS9_10device_ptrIiEEEENSB_INSC_IfEEEEfNS9_4plusIvEEfEEDaPvRmT3_T4_T5_mT6_P12ihipStream_tbENKUlT_T0_E_clISt17integral_constantIbLb1EESV_IbLb0EEEEDaSR_SS_EUlSR_E0_NS1_11comp_targetILNS1_3genE4ELNS1_11target_archE910ELNS1_3gpuE8ELNS1_3repE0EEENS1_30default_config_static_selectorELNS0_4arch9wavefront6targetE1EEEvT1_,comdat
.Lfunc_end1761:
	.size	_ZN7rocprim17ROCPRIM_400000_NS6detail17trampoline_kernelINS0_14default_configENS1_20scan_config_selectorIfEEZZNS1_9scan_implILNS1_25lookback_scan_determinismE0ELb1ELb1ES3_N6thrust23THRUST_200600_302600_NS6detail15normal_iteratorINS9_10device_ptrIiEEEENSB_INSC_IfEEEEfNS9_4plusIvEEfEEDaPvRmT3_T4_T5_mT6_P12ihipStream_tbENKUlT_T0_E_clISt17integral_constantIbLb1EESV_IbLb0EEEEDaSR_SS_EUlSR_E0_NS1_11comp_targetILNS1_3genE4ELNS1_11target_archE910ELNS1_3gpuE8ELNS1_3repE0EEENS1_30default_config_static_selectorELNS0_4arch9wavefront6targetE1EEEvT1_, .Lfunc_end1761-_ZN7rocprim17ROCPRIM_400000_NS6detail17trampoline_kernelINS0_14default_configENS1_20scan_config_selectorIfEEZZNS1_9scan_implILNS1_25lookback_scan_determinismE0ELb1ELb1ES3_N6thrust23THRUST_200600_302600_NS6detail15normal_iteratorINS9_10device_ptrIiEEEENSB_INSC_IfEEEEfNS9_4plusIvEEfEEDaPvRmT3_T4_T5_mT6_P12ihipStream_tbENKUlT_T0_E_clISt17integral_constantIbLb1EESV_IbLb0EEEEDaSR_SS_EUlSR_E0_NS1_11comp_targetILNS1_3genE4ELNS1_11target_archE910ELNS1_3gpuE8ELNS1_3repE0EEENS1_30default_config_static_selectorELNS0_4arch9wavefront6targetE1EEEvT1_
                                        ; -- End function
	.section	.AMDGPU.csdata,"",@progbits
; Kernel info:
; codeLenInByte = 2132
; NumSgprs: 42
; NumVgprs: 24
; NumAgprs: 0
; TotalNumVgprs: 24
; ScratchSize: 0
; MemoryBound: 0
; FloatMode: 240
; IeeeMode: 1
; LDSByteSize: 7168 bytes/workgroup (compile time only)
; SGPRBlocks: 5
; VGPRBlocks: 2
; NumSGPRsForWavesPerEU: 42
; NumVGPRsForWavesPerEU: 24
; AccumOffset: 24
; Occupancy: 5
; WaveLimiterHint : 0
; COMPUTE_PGM_RSRC2:SCRATCH_EN: 0
; COMPUTE_PGM_RSRC2:USER_SGPR: 6
; COMPUTE_PGM_RSRC2:TRAP_HANDLER: 0
; COMPUTE_PGM_RSRC2:TGID_X_EN: 1
; COMPUTE_PGM_RSRC2:TGID_Y_EN: 0
; COMPUTE_PGM_RSRC2:TGID_Z_EN: 0
; COMPUTE_PGM_RSRC2:TIDIG_COMP_CNT: 0
; COMPUTE_PGM_RSRC3_GFX90A:ACCUM_OFFSET: 5
; COMPUTE_PGM_RSRC3_GFX90A:TG_SPLIT: 0
	.section	.text._ZN7rocprim17ROCPRIM_400000_NS6detail17trampoline_kernelINS0_14default_configENS1_20scan_config_selectorIfEEZZNS1_9scan_implILNS1_25lookback_scan_determinismE0ELb1ELb1ES3_N6thrust23THRUST_200600_302600_NS6detail15normal_iteratorINS9_10device_ptrIiEEEENSB_INSC_IfEEEEfNS9_4plusIvEEfEEDaPvRmT3_T4_T5_mT6_P12ihipStream_tbENKUlT_T0_E_clISt17integral_constantIbLb1EESV_IbLb0EEEEDaSR_SS_EUlSR_E0_NS1_11comp_targetILNS1_3genE3ELNS1_11target_archE908ELNS1_3gpuE7ELNS1_3repE0EEENS1_30default_config_static_selectorELNS0_4arch9wavefront6targetE1EEEvT1_,"axG",@progbits,_ZN7rocprim17ROCPRIM_400000_NS6detail17trampoline_kernelINS0_14default_configENS1_20scan_config_selectorIfEEZZNS1_9scan_implILNS1_25lookback_scan_determinismE0ELb1ELb1ES3_N6thrust23THRUST_200600_302600_NS6detail15normal_iteratorINS9_10device_ptrIiEEEENSB_INSC_IfEEEEfNS9_4plusIvEEfEEDaPvRmT3_T4_T5_mT6_P12ihipStream_tbENKUlT_T0_E_clISt17integral_constantIbLb1EESV_IbLb0EEEEDaSR_SS_EUlSR_E0_NS1_11comp_targetILNS1_3genE3ELNS1_11target_archE908ELNS1_3gpuE7ELNS1_3repE0EEENS1_30default_config_static_selectorELNS0_4arch9wavefront6targetE1EEEvT1_,comdat
	.protected	_ZN7rocprim17ROCPRIM_400000_NS6detail17trampoline_kernelINS0_14default_configENS1_20scan_config_selectorIfEEZZNS1_9scan_implILNS1_25lookback_scan_determinismE0ELb1ELb1ES3_N6thrust23THRUST_200600_302600_NS6detail15normal_iteratorINS9_10device_ptrIiEEEENSB_INSC_IfEEEEfNS9_4plusIvEEfEEDaPvRmT3_T4_T5_mT6_P12ihipStream_tbENKUlT_T0_E_clISt17integral_constantIbLb1EESV_IbLb0EEEEDaSR_SS_EUlSR_E0_NS1_11comp_targetILNS1_3genE3ELNS1_11target_archE908ELNS1_3gpuE7ELNS1_3repE0EEENS1_30default_config_static_selectorELNS0_4arch9wavefront6targetE1EEEvT1_ ; -- Begin function _ZN7rocprim17ROCPRIM_400000_NS6detail17trampoline_kernelINS0_14default_configENS1_20scan_config_selectorIfEEZZNS1_9scan_implILNS1_25lookback_scan_determinismE0ELb1ELb1ES3_N6thrust23THRUST_200600_302600_NS6detail15normal_iteratorINS9_10device_ptrIiEEEENSB_INSC_IfEEEEfNS9_4plusIvEEfEEDaPvRmT3_T4_T5_mT6_P12ihipStream_tbENKUlT_T0_E_clISt17integral_constantIbLb1EESV_IbLb0EEEEDaSR_SS_EUlSR_E0_NS1_11comp_targetILNS1_3genE3ELNS1_11target_archE908ELNS1_3gpuE7ELNS1_3repE0EEENS1_30default_config_static_selectorELNS0_4arch9wavefront6targetE1EEEvT1_
	.globl	_ZN7rocprim17ROCPRIM_400000_NS6detail17trampoline_kernelINS0_14default_configENS1_20scan_config_selectorIfEEZZNS1_9scan_implILNS1_25lookback_scan_determinismE0ELb1ELb1ES3_N6thrust23THRUST_200600_302600_NS6detail15normal_iteratorINS9_10device_ptrIiEEEENSB_INSC_IfEEEEfNS9_4plusIvEEfEEDaPvRmT3_T4_T5_mT6_P12ihipStream_tbENKUlT_T0_E_clISt17integral_constantIbLb1EESV_IbLb0EEEEDaSR_SS_EUlSR_E0_NS1_11comp_targetILNS1_3genE3ELNS1_11target_archE908ELNS1_3gpuE7ELNS1_3repE0EEENS1_30default_config_static_selectorELNS0_4arch9wavefront6targetE1EEEvT1_
	.p2align	8
	.type	_ZN7rocprim17ROCPRIM_400000_NS6detail17trampoline_kernelINS0_14default_configENS1_20scan_config_selectorIfEEZZNS1_9scan_implILNS1_25lookback_scan_determinismE0ELb1ELb1ES3_N6thrust23THRUST_200600_302600_NS6detail15normal_iteratorINS9_10device_ptrIiEEEENSB_INSC_IfEEEEfNS9_4plusIvEEfEEDaPvRmT3_T4_T5_mT6_P12ihipStream_tbENKUlT_T0_E_clISt17integral_constantIbLb1EESV_IbLb0EEEEDaSR_SS_EUlSR_E0_NS1_11comp_targetILNS1_3genE3ELNS1_11target_archE908ELNS1_3gpuE7ELNS1_3repE0EEENS1_30default_config_static_selectorELNS0_4arch9wavefront6targetE1EEEvT1_,@function
_ZN7rocprim17ROCPRIM_400000_NS6detail17trampoline_kernelINS0_14default_configENS1_20scan_config_selectorIfEEZZNS1_9scan_implILNS1_25lookback_scan_determinismE0ELb1ELb1ES3_N6thrust23THRUST_200600_302600_NS6detail15normal_iteratorINS9_10device_ptrIiEEEENSB_INSC_IfEEEEfNS9_4plusIvEEfEEDaPvRmT3_T4_T5_mT6_P12ihipStream_tbENKUlT_T0_E_clISt17integral_constantIbLb1EESV_IbLb0EEEEDaSR_SS_EUlSR_E0_NS1_11comp_targetILNS1_3genE3ELNS1_11target_archE908ELNS1_3gpuE7ELNS1_3repE0EEENS1_30default_config_static_selectorELNS0_4arch9wavefront6targetE1EEEvT1_: ; @_ZN7rocprim17ROCPRIM_400000_NS6detail17trampoline_kernelINS0_14default_configENS1_20scan_config_selectorIfEEZZNS1_9scan_implILNS1_25lookback_scan_determinismE0ELb1ELb1ES3_N6thrust23THRUST_200600_302600_NS6detail15normal_iteratorINS9_10device_ptrIiEEEENSB_INSC_IfEEEEfNS9_4plusIvEEfEEDaPvRmT3_T4_T5_mT6_P12ihipStream_tbENKUlT_T0_E_clISt17integral_constantIbLb1EESV_IbLb0EEEEDaSR_SS_EUlSR_E0_NS1_11comp_targetILNS1_3genE3ELNS1_11target_archE908ELNS1_3gpuE7ELNS1_3repE0EEENS1_30default_config_static_selectorELNS0_4arch9wavefront6targetE1EEEvT1_
; %bb.0:
	.section	.rodata,"a",@progbits
	.p2align	6, 0x0
	.amdhsa_kernel _ZN7rocprim17ROCPRIM_400000_NS6detail17trampoline_kernelINS0_14default_configENS1_20scan_config_selectorIfEEZZNS1_9scan_implILNS1_25lookback_scan_determinismE0ELb1ELb1ES3_N6thrust23THRUST_200600_302600_NS6detail15normal_iteratorINS9_10device_ptrIiEEEENSB_INSC_IfEEEEfNS9_4plusIvEEfEEDaPvRmT3_T4_T5_mT6_P12ihipStream_tbENKUlT_T0_E_clISt17integral_constantIbLb1EESV_IbLb0EEEEDaSR_SS_EUlSR_E0_NS1_11comp_targetILNS1_3genE3ELNS1_11target_archE908ELNS1_3gpuE7ELNS1_3repE0EEENS1_30default_config_static_selectorELNS0_4arch9wavefront6targetE1EEEvT1_
		.amdhsa_group_segment_fixed_size 0
		.amdhsa_private_segment_fixed_size 0
		.amdhsa_kernarg_size 32
		.amdhsa_user_sgpr_count 6
		.amdhsa_user_sgpr_private_segment_buffer 1
		.amdhsa_user_sgpr_dispatch_ptr 0
		.amdhsa_user_sgpr_queue_ptr 0
		.amdhsa_user_sgpr_kernarg_segment_ptr 1
		.amdhsa_user_sgpr_dispatch_id 0
		.amdhsa_user_sgpr_flat_scratch_init 0
		.amdhsa_user_sgpr_kernarg_preload_length 0
		.amdhsa_user_sgpr_kernarg_preload_offset 0
		.amdhsa_user_sgpr_private_segment_size 0
		.amdhsa_uses_dynamic_stack 0
		.amdhsa_system_sgpr_private_segment_wavefront_offset 0
		.amdhsa_system_sgpr_workgroup_id_x 1
		.amdhsa_system_sgpr_workgroup_id_y 0
		.amdhsa_system_sgpr_workgroup_id_z 0
		.amdhsa_system_sgpr_workgroup_info 0
		.amdhsa_system_vgpr_workitem_id 0
		.amdhsa_next_free_vgpr 1
		.amdhsa_next_free_sgpr 0
		.amdhsa_accum_offset 4
		.amdhsa_reserve_vcc 0
		.amdhsa_reserve_flat_scratch 0
		.amdhsa_float_round_mode_32 0
		.amdhsa_float_round_mode_16_64 0
		.amdhsa_float_denorm_mode_32 3
		.amdhsa_float_denorm_mode_16_64 3
		.amdhsa_dx10_clamp 1
		.amdhsa_ieee_mode 1
		.amdhsa_fp16_overflow 0
		.amdhsa_tg_split 0
		.amdhsa_exception_fp_ieee_invalid_op 0
		.amdhsa_exception_fp_denorm_src 0
		.amdhsa_exception_fp_ieee_div_zero 0
		.amdhsa_exception_fp_ieee_overflow 0
		.amdhsa_exception_fp_ieee_underflow 0
		.amdhsa_exception_fp_ieee_inexact 0
		.amdhsa_exception_int_div_zero 0
	.end_amdhsa_kernel
	.section	.text._ZN7rocprim17ROCPRIM_400000_NS6detail17trampoline_kernelINS0_14default_configENS1_20scan_config_selectorIfEEZZNS1_9scan_implILNS1_25lookback_scan_determinismE0ELb1ELb1ES3_N6thrust23THRUST_200600_302600_NS6detail15normal_iteratorINS9_10device_ptrIiEEEENSB_INSC_IfEEEEfNS9_4plusIvEEfEEDaPvRmT3_T4_T5_mT6_P12ihipStream_tbENKUlT_T0_E_clISt17integral_constantIbLb1EESV_IbLb0EEEEDaSR_SS_EUlSR_E0_NS1_11comp_targetILNS1_3genE3ELNS1_11target_archE908ELNS1_3gpuE7ELNS1_3repE0EEENS1_30default_config_static_selectorELNS0_4arch9wavefront6targetE1EEEvT1_,"axG",@progbits,_ZN7rocprim17ROCPRIM_400000_NS6detail17trampoline_kernelINS0_14default_configENS1_20scan_config_selectorIfEEZZNS1_9scan_implILNS1_25lookback_scan_determinismE0ELb1ELb1ES3_N6thrust23THRUST_200600_302600_NS6detail15normal_iteratorINS9_10device_ptrIiEEEENSB_INSC_IfEEEEfNS9_4plusIvEEfEEDaPvRmT3_T4_T5_mT6_P12ihipStream_tbENKUlT_T0_E_clISt17integral_constantIbLb1EESV_IbLb0EEEEDaSR_SS_EUlSR_E0_NS1_11comp_targetILNS1_3genE3ELNS1_11target_archE908ELNS1_3gpuE7ELNS1_3repE0EEENS1_30default_config_static_selectorELNS0_4arch9wavefront6targetE1EEEvT1_,comdat
.Lfunc_end1762:
	.size	_ZN7rocprim17ROCPRIM_400000_NS6detail17trampoline_kernelINS0_14default_configENS1_20scan_config_selectorIfEEZZNS1_9scan_implILNS1_25lookback_scan_determinismE0ELb1ELb1ES3_N6thrust23THRUST_200600_302600_NS6detail15normal_iteratorINS9_10device_ptrIiEEEENSB_INSC_IfEEEEfNS9_4plusIvEEfEEDaPvRmT3_T4_T5_mT6_P12ihipStream_tbENKUlT_T0_E_clISt17integral_constantIbLb1EESV_IbLb0EEEEDaSR_SS_EUlSR_E0_NS1_11comp_targetILNS1_3genE3ELNS1_11target_archE908ELNS1_3gpuE7ELNS1_3repE0EEENS1_30default_config_static_selectorELNS0_4arch9wavefront6targetE1EEEvT1_, .Lfunc_end1762-_ZN7rocprim17ROCPRIM_400000_NS6detail17trampoline_kernelINS0_14default_configENS1_20scan_config_selectorIfEEZZNS1_9scan_implILNS1_25lookback_scan_determinismE0ELb1ELb1ES3_N6thrust23THRUST_200600_302600_NS6detail15normal_iteratorINS9_10device_ptrIiEEEENSB_INSC_IfEEEEfNS9_4plusIvEEfEEDaPvRmT3_T4_T5_mT6_P12ihipStream_tbENKUlT_T0_E_clISt17integral_constantIbLb1EESV_IbLb0EEEEDaSR_SS_EUlSR_E0_NS1_11comp_targetILNS1_3genE3ELNS1_11target_archE908ELNS1_3gpuE7ELNS1_3repE0EEENS1_30default_config_static_selectorELNS0_4arch9wavefront6targetE1EEEvT1_
                                        ; -- End function
	.section	.AMDGPU.csdata,"",@progbits
; Kernel info:
; codeLenInByte = 0
; NumSgprs: 4
; NumVgprs: 0
; NumAgprs: 0
; TotalNumVgprs: 0
; ScratchSize: 0
; MemoryBound: 0
; FloatMode: 240
; IeeeMode: 1
; LDSByteSize: 0 bytes/workgroup (compile time only)
; SGPRBlocks: 0
; VGPRBlocks: 0
; NumSGPRsForWavesPerEU: 4
; NumVGPRsForWavesPerEU: 1
; AccumOffset: 4
; Occupancy: 8
; WaveLimiterHint : 0
; COMPUTE_PGM_RSRC2:SCRATCH_EN: 0
; COMPUTE_PGM_RSRC2:USER_SGPR: 6
; COMPUTE_PGM_RSRC2:TRAP_HANDLER: 0
; COMPUTE_PGM_RSRC2:TGID_X_EN: 1
; COMPUTE_PGM_RSRC2:TGID_Y_EN: 0
; COMPUTE_PGM_RSRC2:TGID_Z_EN: 0
; COMPUTE_PGM_RSRC2:TIDIG_COMP_CNT: 0
; COMPUTE_PGM_RSRC3_GFX90A:ACCUM_OFFSET: 0
; COMPUTE_PGM_RSRC3_GFX90A:TG_SPLIT: 0
	.section	.text._ZN7rocprim17ROCPRIM_400000_NS6detail17trampoline_kernelINS0_14default_configENS1_20scan_config_selectorIfEEZZNS1_9scan_implILNS1_25lookback_scan_determinismE0ELb1ELb1ES3_N6thrust23THRUST_200600_302600_NS6detail15normal_iteratorINS9_10device_ptrIiEEEENSB_INSC_IfEEEEfNS9_4plusIvEEfEEDaPvRmT3_T4_T5_mT6_P12ihipStream_tbENKUlT_T0_E_clISt17integral_constantIbLb1EESV_IbLb0EEEEDaSR_SS_EUlSR_E0_NS1_11comp_targetILNS1_3genE2ELNS1_11target_archE906ELNS1_3gpuE6ELNS1_3repE0EEENS1_30default_config_static_selectorELNS0_4arch9wavefront6targetE1EEEvT1_,"axG",@progbits,_ZN7rocprim17ROCPRIM_400000_NS6detail17trampoline_kernelINS0_14default_configENS1_20scan_config_selectorIfEEZZNS1_9scan_implILNS1_25lookback_scan_determinismE0ELb1ELb1ES3_N6thrust23THRUST_200600_302600_NS6detail15normal_iteratorINS9_10device_ptrIiEEEENSB_INSC_IfEEEEfNS9_4plusIvEEfEEDaPvRmT3_T4_T5_mT6_P12ihipStream_tbENKUlT_T0_E_clISt17integral_constantIbLb1EESV_IbLb0EEEEDaSR_SS_EUlSR_E0_NS1_11comp_targetILNS1_3genE2ELNS1_11target_archE906ELNS1_3gpuE6ELNS1_3repE0EEENS1_30default_config_static_selectorELNS0_4arch9wavefront6targetE1EEEvT1_,comdat
	.protected	_ZN7rocprim17ROCPRIM_400000_NS6detail17trampoline_kernelINS0_14default_configENS1_20scan_config_selectorIfEEZZNS1_9scan_implILNS1_25lookback_scan_determinismE0ELb1ELb1ES3_N6thrust23THRUST_200600_302600_NS6detail15normal_iteratorINS9_10device_ptrIiEEEENSB_INSC_IfEEEEfNS9_4plusIvEEfEEDaPvRmT3_T4_T5_mT6_P12ihipStream_tbENKUlT_T0_E_clISt17integral_constantIbLb1EESV_IbLb0EEEEDaSR_SS_EUlSR_E0_NS1_11comp_targetILNS1_3genE2ELNS1_11target_archE906ELNS1_3gpuE6ELNS1_3repE0EEENS1_30default_config_static_selectorELNS0_4arch9wavefront6targetE1EEEvT1_ ; -- Begin function _ZN7rocprim17ROCPRIM_400000_NS6detail17trampoline_kernelINS0_14default_configENS1_20scan_config_selectorIfEEZZNS1_9scan_implILNS1_25lookback_scan_determinismE0ELb1ELb1ES3_N6thrust23THRUST_200600_302600_NS6detail15normal_iteratorINS9_10device_ptrIiEEEENSB_INSC_IfEEEEfNS9_4plusIvEEfEEDaPvRmT3_T4_T5_mT6_P12ihipStream_tbENKUlT_T0_E_clISt17integral_constantIbLb1EESV_IbLb0EEEEDaSR_SS_EUlSR_E0_NS1_11comp_targetILNS1_3genE2ELNS1_11target_archE906ELNS1_3gpuE6ELNS1_3repE0EEENS1_30default_config_static_selectorELNS0_4arch9wavefront6targetE1EEEvT1_
	.globl	_ZN7rocprim17ROCPRIM_400000_NS6detail17trampoline_kernelINS0_14default_configENS1_20scan_config_selectorIfEEZZNS1_9scan_implILNS1_25lookback_scan_determinismE0ELb1ELb1ES3_N6thrust23THRUST_200600_302600_NS6detail15normal_iteratorINS9_10device_ptrIiEEEENSB_INSC_IfEEEEfNS9_4plusIvEEfEEDaPvRmT3_T4_T5_mT6_P12ihipStream_tbENKUlT_T0_E_clISt17integral_constantIbLb1EESV_IbLb0EEEEDaSR_SS_EUlSR_E0_NS1_11comp_targetILNS1_3genE2ELNS1_11target_archE906ELNS1_3gpuE6ELNS1_3repE0EEENS1_30default_config_static_selectorELNS0_4arch9wavefront6targetE1EEEvT1_
	.p2align	8
	.type	_ZN7rocprim17ROCPRIM_400000_NS6detail17trampoline_kernelINS0_14default_configENS1_20scan_config_selectorIfEEZZNS1_9scan_implILNS1_25lookback_scan_determinismE0ELb1ELb1ES3_N6thrust23THRUST_200600_302600_NS6detail15normal_iteratorINS9_10device_ptrIiEEEENSB_INSC_IfEEEEfNS9_4plusIvEEfEEDaPvRmT3_T4_T5_mT6_P12ihipStream_tbENKUlT_T0_E_clISt17integral_constantIbLb1EESV_IbLb0EEEEDaSR_SS_EUlSR_E0_NS1_11comp_targetILNS1_3genE2ELNS1_11target_archE906ELNS1_3gpuE6ELNS1_3repE0EEENS1_30default_config_static_selectorELNS0_4arch9wavefront6targetE1EEEvT1_,@function
_ZN7rocprim17ROCPRIM_400000_NS6detail17trampoline_kernelINS0_14default_configENS1_20scan_config_selectorIfEEZZNS1_9scan_implILNS1_25lookback_scan_determinismE0ELb1ELb1ES3_N6thrust23THRUST_200600_302600_NS6detail15normal_iteratorINS9_10device_ptrIiEEEENSB_INSC_IfEEEEfNS9_4plusIvEEfEEDaPvRmT3_T4_T5_mT6_P12ihipStream_tbENKUlT_T0_E_clISt17integral_constantIbLb1EESV_IbLb0EEEEDaSR_SS_EUlSR_E0_NS1_11comp_targetILNS1_3genE2ELNS1_11target_archE906ELNS1_3gpuE6ELNS1_3repE0EEENS1_30default_config_static_selectorELNS0_4arch9wavefront6targetE1EEEvT1_: ; @_ZN7rocprim17ROCPRIM_400000_NS6detail17trampoline_kernelINS0_14default_configENS1_20scan_config_selectorIfEEZZNS1_9scan_implILNS1_25lookback_scan_determinismE0ELb1ELb1ES3_N6thrust23THRUST_200600_302600_NS6detail15normal_iteratorINS9_10device_ptrIiEEEENSB_INSC_IfEEEEfNS9_4plusIvEEfEEDaPvRmT3_T4_T5_mT6_P12ihipStream_tbENKUlT_T0_E_clISt17integral_constantIbLb1EESV_IbLb0EEEEDaSR_SS_EUlSR_E0_NS1_11comp_targetILNS1_3genE2ELNS1_11target_archE906ELNS1_3gpuE6ELNS1_3repE0EEENS1_30default_config_static_selectorELNS0_4arch9wavefront6targetE1EEEvT1_
; %bb.0:
	.section	.rodata,"a",@progbits
	.p2align	6, 0x0
	.amdhsa_kernel _ZN7rocprim17ROCPRIM_400000_NS6detail17trampoline_kernelINS0_14default_configENS1_20scan_config_selectorIfEEZZNS1_9scan_implILNS1_25lookback_scan_determinismE0ELb1ELb1ES3_N6thrust23THRUST_200600_302600_NS6detail15normal_iteratorINS9_10device_ptrIiEEEENSB_INSC_IfEEEEfNS9_4plusIvEEfEEDaPvRmT3_T4_T5_mT6_P12ihipStream_tbENKUlT_T0_E_clISt17integral_constantIbLb1EESV_IbLb0EEEEDaSR_SS_EUlSR_E0_NS1_11comp_targetILNS1_3genE2ELNS1_11target_archE906ELNS1_3gpuE6ELNS1_3repE0EEENS1_30default_config_static_selectorELNS0_4arch9wavefront6targetE1EEEvT1_
		.amdhsa_group_segment_fixed_size 0
		.amdhsa_private_segment_fixed_size 0
		.amdhsa_kernarg_size 32
		.amdhsa_user_sgpr_count 6
		.amdhsa_user_sgpr_private_segment_buffer 1
		.amdhsa_user_sgpr_dispatch_ptr 0
		.amdhsa_user_sgpr_queue_ptr 0
		.amdhsa_user_sgpr_kernarg_segment_ptr 1
		.amdhsa_user_sgpr_dispatch_id 0
		.amdhsa_user_sgpr_flat_scratch_init 0
		.amdhsa_user_sgpr_kernarg_preload_length 0
		.amdhsa_user_sgpr_kernarg_preload_offset 0
		.amdhsa_user_sgpr_private_segment_size 0
		.amdhsa_uses_dynamic_stack 0
		.amdhsa_system_sgpr_private_segment_wavefront_offset 0
		.amdhsa_system_sgpr_workgroup_id_x 1
		.amdhsa_system_sgpr_workgroup_id_y 0
		.amdhsa_system_sgpr_workgroup_id_z 0
		.amdhsa_system_sgpr_workgroup_info 0
		.amdhsa_system_vgpr_workitem_id 0
		.amdhsa_next_free_vgpr 1
		.amdhsa_next_free_sgpr 0
		.amdhsa_accum_offset 4
		.amdhsa_reserve_vcc 0
		.amdhsa_reserve_flat_scratch 0
		.amdhsa_float_round_mode_32 0
		.amdhsa_float_round_mode_16_64 0
		.amdhsa_float_denorm_mode_32 3
		.amdhsa_float_denorm_mode_16_64 3
		.amdhsa_dx10_clamp 1
		.amdhsa_ieee_mode 1
		.amdhsa_fp16_overflow 0
		.amdhsa_tg_split 0
		.amdhsa_exception_fp_ieee_invalid_op 0
		.amdhsa_exception_fp_denorm_src 0
		.amdhsa_exception_fp_ieee_div_zero 0
		.amdhsa_exception_fp_ieee_overflow 0
		.amdhsa_exception_fp_ieee_underflow 0
		.amdhsa_exception_fp_ieee_inexact 0
		.amdhsa_exception_int_div_zero 0
	.end_amdhsa_kernel
	.section	.text._ZN7rocprim17ROCPRIM_400000_NS6detail17trampoline_kernelINS0_14default_configENS1_20scan_config_selectorIfEEZZNS1_9scan_implILNS1_25lookback_scan_determinismE0ELb1ELb1ES3_N6thrust23THRUST_200600_302600_NS6detail15normal_iteratorINS9_10device_ptrIiEEEENSB_INSC_IfEEEEfNS9_4plusIvEEfEEDaPvRmT3_T4_T5_mT6_P12ihipStream_tbENKUlT_T0_E_clISt17integral_constantIbLb1EESV_IbLb0EEEEDaSR_SS_EUlSR_E0_NS1_11comp_targetILNS1_3genE2ELNS1_11target_archE906ELNS1_3gpuE6ELNS1_3repE0EEENS1_30default_config_static_selectorELNS0_4arch9wavefront6targetE1EEEvT1_,"axG",@progbits,_ZN7rocprim17ROCPRIM_400000_NS6detail17trampoline_kernelINS0_14default_configENS1_20scan_config_selectorIfEEZZNS1_9scan_implILNS1_25lookback_scan_determinismE0ELb1ELb1ES3_N6thrust23THRUST_200600_302600_NS6detail15normal_iteratorINS9_10device_ptrIiEEEENSB_INSC_IfEEEEfNS9_4plusIvEEfEEDaPvRmT3_T4_T5_mT6_P12ihipStream_tbENKUlT_T0_E_clISt17integral_constantIbLb1EESV_IbLb0EEEEDaSR_SS_EUlSR_E0_NS1_11comp_targetILNS1_3genE2ELNS1_11target_archE906ELNS1_3gpuE6ELNS1_3repE0EEENS1_30default_config_static_selectorELNS0_4arch9wavefront6targetE1EEEvT1_,comdat
.Lfunc_end1763:
	.size	_ZN7rocprim17ROCPRIM_400000_NS6detail17trampoline_kernelINS0_14default_configENS1_20scan_config_selectorIfEEZZNS1_9scan_implILNS1_25lookback_scan_determinismE0ELb1ELb1ES3_N6thrust23THRUST_200600_302600_NS6detail15normal_iteratorINS9_10device_ptrIiEEEENSB_INSC_IfEEEEfNS9_4plusIvEEfEEDaPvRmT3_T4_T5_mT6_P12ihipStream_tbENKUlT_T0_E_clISt17integral_constantIbLb1EESV_IbLb0EEEEDaSR_SS_EUlSR_E0_NS1_11comp_targetILNS1_3genE2ELNS1_11target_archE906ELNS1_3gpuE6ELNS1_3repE0EEENS1_30default_config_static_selectorELNS0_4arch9wavefront6targetE1EEEvT1_, .Lfunc_end1763-_ZN7rocprim17ROCPRIM_400000_NS6detail17trampoline_kernelINS0_14default_configENS1_20scan_config_selectorIfEEZZNS1_9scan_implILNS1_25lookback_scan_determinismE0ELb1ELb1ES3_N6thrust23THRUST_200600_302600_NS6detail15normal_iteratorINS9_10device_ptrIiEEEENSB_INSC_IfEEEEfNS9_4plusIvEEfEEDaPvRmT3_T4_T5_mT6_P12ihipStream_tbENKUlT_T0_E_clISt17integral_constantIbLb1EESV_IbLb0EEEEDaSR_SS_EUlSR_E0_NS1_11comp_targetILNS1_3genE2ELNS1_11target_archE906ELNS1_3gpuE6ELNS1_3repE0EEENS1_30default_config_static_selectorELNS0_4arch9wavefront6targetE1EEEvT1_
                                        ; -- End function
	.section	.AMDGPU.csdata,"",@progbits
; Kernel info:
; codeLenInByte = 0
; NumSgprs: 4
; NumVgprs: 0
; NumAgprs: 0
; TotalNumVgprs: 0
; ScratchSize: 0
; MemoryBound: 0
; FloatMode: 240
; IeeeMode: 1
; LDSByteSize: 0 bytes/workgroup (compile time only)
; SGPRBlocks: 0
; VGPRBlocks: 0
; NumSGPRsForWavesPerEU: 4
; NumVGPRsForWavesPerEU: 1
; AccumOffset: 4
; Occupancy: 8
; WaveLimiterHint : 0
; COMPUTE_PGM_RSRC2:SCRATCH_EN: 0
; COMPUTE_PGM_RSRC2:USER_SGPR: 6
; COMPUTE_PGM_RSRC2:TRAP_HANDLER: 0
; COMPUTE_PGM_RSRC2:TGID_X_EN: 1
; COMPUTE_PGM_RSRC2:TGID_Y_EN: 0
; COMPUTE_PGM_RSRC2:TGID_Z_EN: 0
; COMPUTE_PGM_RSRC2:TIDIG_COMP_CNT: 0
; COMPUTE_PGM_RSRC3_GFX90A:ACCUM_OFFSET: 0
; COMPUTE_PGM_RSRC3_GFX90A:TG_SPLIT: 0
	.section	.text._ZN7rocprim17ROCPRIM_400000_NS6detail17trampoline_kernelINS0_14default_configENS1_20scan_config_selectorIfEEZZNS1_9scan_implILNS1_25lookback_scan_determinismE0ELb1ELb1ES3_N6thrust23THRUST_200600_302600_NS6detail15normal_iteratorINS9_10device_ptrIiEEEENSB_INSC_IfEEEEfNS9_4plusIvEEfEEDaPvRmT3_T4_T5_mT6_P12ihipStream_tbENKUlT_T0_E_clISt17integral_constantIbLb1EESV_IbLb0EEEEDaSR_SS_EUlSR_E0_NS1_11comp_targetILNS1_3genE10ELNS1_11target_archE1201ELNS1_3gpuE5ELNS1_3repE0EEENS1_30default_config_static_selectorELNS0_4arch9wavefront6targetE1EEEvT1_,"axG",@progbits,_ZN7rocprim17ROCPRIM_400000_NS6detail17trampoline_kernelINS0_14default_configENS1_20scan_config_selectorIfEEZZNS1_9scan_implILNS1_25lookback_scan_determinismE0ELb1ELb1ES3_N6thrust23THRUST_200600_302600_NS6detail15normal_iteratorINS9_10device_ptrIiEEEENSB_INSC_IfEEEEfNS9_4plusIvEEfEEDaPvRmT3_T4_T5_mT6_P12ihipStream_tbENKUlT_T0_E_clISt17integral_constantIbLb1EESV_IbLb0EEEEDaSR_SS_EUlSR_E0_NS1_11comp_targetILNS1_3genE10ELNS1_11target_archE1201ELNS1_3gpuE5ELNS1_3repE0EEENS1_30default_config_static_selectorELNS0_4arch9wavefront6targetE1EEEvT1_,comdat
	.protected	_ZN7rocprim17ROCPRIM_400000_NS6detail17trampoline_kernelINS0_14default_configENS1_20scan_config_selectorIfEEZZNS1_9scan_implILNS1_25lookback_scan_determinismE0ELb1ELb1ES3_N6thrust23THRUST_200600_302600_NS6detail15normal_iteratorINS9_10device_ptrIiEEEENSB_INSC_IfEEEEfNS9_4plusIvEEfEEDaPvRmT3_T4_T5_mT6_P12ihipStream_tbENKUlT_T0_E_clISt17integral_constantIbLb1EESV_IbLb0EEEEDaSR_SS_EUlSR_E0_NS1_11comp_targetILNS1_3genE10ELNS1_11target_archE1201ELNS1_3gpuE5ELNS1_3repE0EEENS1_30default_config_static_selectorELNS0_4arch9wavefront6targetE1EEEvT1_ ; -- Begin function _ZN7rocprim17ROCPRIM_400000_NS6detail17trampoline_kernelINS0_14default_configENS1_20scan_config_selectorIfEEZZNS1_9scan_implILNS1_25lookback_scan_determinismE0ELb1ELb1ES3_N6thrust23THRUST_200600_302600_NS6detail15normal_iteratorINS9_10device_ptrIiEEEENSB_INSC_IfEEEEfNS9_4plusIvEEfEEDaPvRmT3_T4_T5_mT6_P12ihipStream_tbENKUlT_T0_E_clISt17integral_constantIbLb1EESV_IbLb0EEEEDaSR_SS_EUlSR_E0_NS1_11comp_targetILNS1_3genE10ELNS1_11target_archE1201ELNS1_3gpuE5ELNS1_3repE0EEENS1_30default_config_static_selectorELNS0_4arch9wavefront6targetE1EEEvT1_
	.globl	_ZN7rocprim17ROCPRIM_400000_NS6detail17trampoline_kernelINS0_14default_configENS1_20scan_config_selectorIfEEZZNS1_9scan_implILNS1_25lookback_scan_determinismE0ELb1ELb1ES3_N6thrust23THRUST_200600_302600_NS6detail15normal_iteratorINS9_10device_ptrIiEEEENSB_INSC_IfEEEEfNS9_4plusIvEEfEEDaPvRmT3_T4_T5_mT6_P12ihipStream_tbENKUlT_T0_E_clISt17integral_constantIbLb1EESV_IbLb0EEEEDaSR_SS_EUlSR_E0_NS1_11comp_targetILNS1_3genE10ELNS1_11target_archE1201ELNS1_3gpuE5ELNS1_3repE0EEENS1_30default_config_static_selectorELNS0_4arch9wavefront6targetE1EEEvT1_
	.p2align	8
	.type	_ZN7rocprim17ROCPRIM_400000_NS6detail17trampoline_kernelINS0_14default_configENS1_20scan_config_selectorIfEEZZNS1_9scan_implILNS1_25lookback_scan_determinismE0ELb1ELb1ES3_N6thrust23THRUST_200600_302600_NS6detail15normal_iteratorINS9_10device_ptrIiEEEENSB_INSC_IfEEEEfNS9_4plusIvEEfEEDaPvRmT3_T4_T5_mT6_P12ihipStream_tbENKUlT_T0_E_clISt17integral_constantIbLb1EESV_IbLb0EEEEDaSR_SS_EUlSR_E0_NS1_11comp_targetILNS1_3genE10ELNS1_11target_archE1201ELNS1_3gpuE5ELNS1_3repE0EEENS1_30default_config_static_selectorELNS0_4arch9wavefront6targetE1EEEvT1_,@function
_ZN7rocprim17ROCPRIM_400000_NS6detail17trampoline_kernelINS0_14default_configENS1_20scan_config_selectorIfEEZZNS1_9scan_implILNS1_25lookback_scan_determinismE0ELb1ELb1ES3_N6thrust23THRUST_200600_302600_NS6detail15normal_iteratorINS9_10device_ptrIiEEEENSB_INSC_IfEEEEfNS9_4plusIvEEfEEDaPvRmT3_T4_T5_mT6_P12ihipStream_tbENKUlT_T0_E_clISt17integral_constantIbLb1EESV_IbLb0EEEEDaSR_SS_EUlSR_E0_NS1_11comp_targetILNS1_3genE10ELNS1_11target_archE1201ELNS1_3gpuE5ELNS1_3repE0EEENS1_30default_config_static_selectorELNS0_4arch9wavefront6targetE1EEEvT1_: ; @_ZN7rocprim17ROCPRIM_400000_NS6detail17trampoline_kernelINS0_14default_configENS1_20scan_config_selectorIfEEZZNS1_9scan_implILNS1_25lookback_scan_determinismE0ELb1ELb1ES3_N6thrust23THRUST_200600_302600_NS6detail15normal_iteratorINS9_10device_ptrIiEEEENSB_INSC_IfEEEEfNS9_4plusIvEEfEEDaPvRmT3_T4_T5_mT6_P12ihipStream_tbENKUlT_T0_E_clISt17integral_constantIbLb1EESV_IbLb0EEEEDaSR_SS_EUlSR_E0_NS1_11comp_targetILNS1_3genE10ELNS1_11target_archE1201ELNS1_3gpuE5ELNS1_3repE0EEENS1_30default_config_static_selectorELNS0_4arch9wavefront6targetE1EEEvT1_
; %bb.0:
	.section	.rodata,"a",@progbits
	.p2align	6, 0x0
	.amdhsa_kernel _ZN7rocprim17ROCPRIM_400000_NS6detail17trampoline_kernelINS0_14default_configENS1_20scan_config_selectorIfEEZZNS1_9scan_implILNS1_25lookback_scan_determinismE0ELb1ELb1ES3_N6thrust23THRUST_200600_302600_NS6detail15normal_iteratorINS9_10device_ptrIiEEEENSB_INSC_IfEEEEfNS9_4plusIvEEfEEDaPvRmT3_T4_T5_mT6_P12ihipStream_tbENKUlT_T0_E_clISt17integral_constantIbLb1EESV_IbLb0EEEEDaSR_SS_EUlSR_E0_NS1_11comp_targetILNS1_3genE10ELNS1_11target_archE1201ELNS1_3gpuE5ELNS1_3repE0EEENS1_30default_config_static_selectorELNS0_4arch9wavefront6targetE1EEEvT1_
		.amdhsa_group_segment_fixed_size 0
		.amdhsa_private_segment_fixed_size 0
		.amdhsa_kernarg_size 32
		.amdhsa_user_sgpr_count 6
		.amdhsa_user_sgpr_private_segment_buffer 1
		.amdhsa_user_sgpr_dispatch_ptr 0
		.amdhsa_user_sgpr_queue_ptr 0
		.amdhsa_user_sgpr_kernarg_segment_ptr 1
		.amdhsa_user_sgpr_dispatch_id 0
		.amdhsa_user_sgpr_flat_scratch_init 0
		.amdhsa_user_sgpr_kernarg_preload_length 0
		.amdhsa_user_sgpr_kernarg_preload_offset 0
		.amdhsa_user_sgpr_private_segment_size 0
		.amdhsa_uses_dynamic_stack 0
		.amdhsa_system_sgpr_private_segment_wavefront_offset 0
		.amdhsa_system_sgpr_workgroup_id_x 1
		.amdhsa_system_sgpr_workgroup_id_y 0
		.amdhsa_system_sgpr_workgroup_id_z 0
		.amdhsa_system_sgpr_workgroup_info 0
		.amdhsa_system_vgpr_workitem_id 0
		.amdhsa_next_free_vgpr 1
		.amdhsa_next_free_sgpr 0
		.amdhsa_accum_offset 4
		.amdhsa_reserve_vcc 0
		.amdhsa_reserve_flat_scratch 0
		.amdhsa_float_round_mode_32 0
		.amdhsa_float_round_mode_16_64 0
		.amdhsa_float_denorm_mode_32 3
		.amdhsa_float_denorm_mode_16_64 3
		.amdhsa_dx10_clamp 1
		.amdhsa_ieee_mode 1
		.amdhsa_fp16_overflow 0
		.amdhsa_tg_split 0
		.amdhsa_exception_fp_ieee_invalid_op 0
		.amdhsa_exception_fp_denorm_src 0
		.amdhsa_exception_fp_ieee_div_zero 0
		.amdhsa_exception_fp_ieee_overflow 0
		.amdhsa_exception_fp_ieee_underflow 0
		.amdhsa_exception_fp_ieee_inexact 0
		.amdhsa_exception_int_div_zero 0
	.end_amdhsa_kernel
	.section	.text._ZN7rocprim17ROCPRIM_400000_NS6detail17trampoline_kernelINS0_14default_configENS1_20scan_config_selectorIfEEZZNS1_9scan_implILNS1_25lookback_scan_determinismE0ELb1ELb1ES3_N6thrust23THRUST_200600_302600_NS6detail15normal_iteratorINS9_10device_ptrIiEEEENSB_INSC_IfEEEEfNS9_4plusIvEEfEEDaPvRmT3_T4_T5_mT6_P12ihipStream_tbENKUlT_T0_E_clISt17integral_constantIbLb1EESV_IbLb0EEEEDaSR_SS_EUlSR_E0_NS1_11comp_targetILNS1_3genE10ELNS1_11target_archE1201ELNS1_3gpuE5ELNS1_3repE0EEENS1_30default_config_static_selectorELNS0_4arch9wavefront6targetE1EEEvT1_,"axG",@progbits,_ZN7rocprim17ROCPRIM_400000_NS6detail17trampoline_kernelINS0_14default_configENS1_20scan_config_selectorIfEEZZNS1_9scan_implILNS1_25lookback_scan_determinismE0ELb1ELb1ES3_N6thrust23THRUST_200600_302600_NS6detail15normal_iteratorINS9_10device_ptrIiEEEENSB_INSC_IfEEEEfNS9_4plusIvEEfEEDaPvRmT3_T4_T5_mT6_P12ihipStream_tbENKUlT_T0_E_clISt17integral_constantIbLb1EESV_IbLb0EEEEDaSR_SS_EUlSR_E0_NS1_11comp_targetILNS1_3genE10ELNS1_11target_archE1201ELNS1_3gpuE5ELNS1_3repE0EEENS1_30default_config_static_selectorELNS0_4arch9wavefront6targetE1EEEvT1_,comdat
.Lfunc_end1764:
	.size	_ZN7rocprim17ROCPRIM_400000_NS6detail17trampoline_kernelINS0_14default_configENS1_20scan_config_selectorIfEEZZNS1_9scan_implILNS1_25lookback_scan_determinismE0ELb1ELb1ES3_N6thrust23THRUST_200600_302600_NS6detail15normal_iteratorINS9_10device_ptrIiEEEENSB_INSC_IfEEEEfNS9_4plusIvEEfEEDaPvRmT3_T4_T5_mT6_P12ihipStream_tbENKUlT_T0_E_clISt17integral_constantIbLb1EESV_IbLb0EEEEDaSR_SS_EUlSR_E0_NS1_11comp_targetILNS1_3genE10ELNS1_11target_archE1201ELNS1_3gpuE5ELNS1_3repE0EEENS1_30default_config_static_selectorELNS0_4arch9wavefront6targetE1EEEvT1_, .Lfunc_end1764-_ZN7rocprim17ROCPRIM_400000_NS6detail17trampoline_kernelINS0_14default_configENS1_20scan_config_selectorIfEEZZNS1_9scan_implILNS1_25lookback_scan_determinismE0ELb1ELb1ES3_N6thrust23THRUST_200600_302600_NS6detail15normal_iteratorINS9_10device_ptrIiEEEENSB_INSC_IfEEEEfNS9_4plusIvEEfEEDaPvRmT3_T4_T5_mT6_P12ihipStream_tbENKUlT_T0_E_clISt17integral_constantIbLb1EESV_IbLb0EEEEDaSR_SS_EUlSR_E0_NS1_11comp_targetILNS1_3genE10ELNS1_11target_archE1201ELNS1_3gpuE5ELNS1_3repE0EEENS1_30default_config_static_selectorELNS0_4arch9wavefront6targetE1EEEvT1_
                                        ; -- End function
	.section	.AMDGPU.csdata,"",@progbits
; Kernel info:
; codeLenInByte = 0
; NumSgprs: 4
; NumVgprs: 0
; NumAgprs: 0
; TotalNumVgprs: 0
; ScratchSize: 0
; MemoryBound: 0
; FloatMode: 240
; IeeeMode: 1
; LDSByteSize: 0 bytes/workgroup (compile time only)
; SGPRBlocks: 0
; VGPRBlocks: 0
; NumSGPRsForWavesPerEU: 4
; NumVGPRsForWavesPerEU: 1
; AccumOffset: 4
; Occupancy: 8
; WaveLimiterHint : 0
; COMPUTE_PGM_RSRC2:SCRATCH_EN: 0
; COMPUTE_PGM_RSRC2:USER_SGPR: 6
; COMPUTE_PGM_RSRC2:TRAP_HANDLER: 0
; COMPUTE_PGM_RSRC2:TGID_X_EN: 1
; COMPUTE_PGM_RSRC2:TGID_Y_EN: 0
; COMPUTE_PGM_RSRC2:TGID_Z_EN: 0
; COMPUTE_PGM_RSRC2:TIDIG_COMP_CNT: 0
; COMPUTE_PGM_RSRC3_GFX90A:ACCUM_OFFSET: 0
; COMPUTE_PGM_RSRC3_GFX90A:TG_SPLIT: 0
	.section	.text._ZN7rocprim17ROCPRIM_400000_NS6detail17trampoline_kernelINS0_14default_configENS1_20scan_config_selectorIfEEZZNS1_9scan_implILNS1_25lookback_scan_determinismE0ELb1ELb1ES3_N6thrust23THRUST_200600_302600_NS6detail15normal_iteratorINS9_10device_ptrIiEEEENSB_INSC_IfEEEEfNS9_4plusIvEEfEEDaPvRmT3_T4_T5_mT6_P12ihipStream_tbENKUlT_T0_E_clISt17integral_constantIbLb1EESV_IbLb0EEEEDaSR_SS_EUlSR_E0_NS1_11comp_targetILNS1_3genE10ELNS1_11target_archE1200ELNS1_3gpuE4ELNS1_3repE0EEENS1_30default_config_static_selectorELNS0_4arch9wavefront6targetE1EEEvT1_,"axG",@progbits,_ZN7rocprim17ROCPRIM_400000_NS6detail17trampoline_kernelINS0_14default_configENS1_20scan_config_selectorIfEEZZNS1_9scan_implILNS1_25lookback_scan_determinismE0ELb1ELb1ES3_N6thrust23THRUST_200600_302600_NS6detail15normal_iteratorINS9_10device_ptrIiEEEENSB_INSC_IfEEEEfNS9_4plusIvEEfEEDaPvRmT3_T4_T5_mT6_P12ihipStream_tbENKUlT_T0_E_clISt17integral_constantIbLb1EESV_IbLb0EEEEDaSR_SS_EUlSR_E0_NS1_11comp_targetILNS1_3genE10ELNS1_11target_archE1200ELNS1_3gpuE4ELNS1_3repE0EEENS1_30default_config_static_selectorELNS0_4arch9wavefront6targetE1EEEvT1_,comdat
	.protected	_ZN7rocprim17ROCPRIM_400000_NS6detail17trampoline_kernelINS0_14default_configENS1_20scan_config_selectorIfEEZZNS1_9scan_implILNS1_25lookback_scan_determinismE0ELb1ELb1ES3_N6thrust23THRUST_200600_302600_NS6detail15normal_iteratorINS9_10device_ptrIiEEEENSB_INSC_IfEEEEfNS9_4plusIvEEfEEDaPvRmT3_T4_T5_mT6_P12ihipStream_tbENKUlT_T0_E_clISt17integral_constantIbLb1EESV_IbLb0EEEEDaSR_SS_EUlSR_E0_NS1_11comp_targetILNS1_3genE10ELNS1_11target_archE1200ELNS1_3gpuE4ELNS1_3repE0EEENS1_30default_config_static_selectorELNS0_4arch9wavefront6targetE1EEEvT1_ ; -- Begin function _ZN7rocprim17ROCPRIM_400000_NS6detail17trampoline_kernelINS0_14default_configENS1_20scan_config_selectorIfEEZZNS1_9scan_implILNS1_25lookback_scan_determinismE0ELb1ELb1ES3_N6thrust23THRUST_200600_302600_NS6detail15normal_iteratorINS9_10device_ptrIiEEEENSB_INSC_IfEEEEfNS9_4plusIvEEfEEDaPvRmT3_T4_T5_mT6_P12ihipStream_tbENKUlT_T0_E_clISt17integral_constantIbLb1EESV_IbLb0EEEEDaSR_SS_EUlSR_E0_NS1_11comp_targetILNS1_3genE10ELNS1_11target_archE1200ELNS1_3gpuE4ELNS1_3repE0EEENS1_30default_config_static_selectorELNS0_4arch9wavefront6targetE1EEEvT1_
	.globl	_ZN7rocprim17ROCPRIM_400000_NS6detail17trampoline_kernelINS0_14default_configENS1_20scan_config_selectorIfEEZZNS1_9scan_implILNS1_25lookback_scan_determinismE0ELb1ELb1ES3_N6thrust23THRUST_200600_302600_NS6detail15normal_iteratorINS9_10device_ptrIiEEEENSB_INSC_IfEEEEfNS9_4plusIvEEfEEDaPvRmT3_T4_T5_mT6_P12ihipStream_tbENKUlT_T0_E_clISt17integral_constantIbLb1EESV_IbLb0EEEEDaSR_SS_EUlSR_E0_NS1_11comp_targetILNS1_3genE10ELNS1_11target_archE1200ELNS1_3gpuE4ELNS1_3repE0EEENS1_30default_config_static_selectorELNS0_4arch9wavefront6targetE1EEEvT1_
	.p2align	8
	.type	_ZN7rocprim17ROCPRIM_400000_NS6detail17trampoline_kernelINS0_14default_configENS1_20scan_config_selectorIfEEZZNS1_9scan_implILNS1_25lookback_scan_determinismE0ELb1ELb1ES3_N6thrust23THRUST_200600_302600_NS6detail15normal_iteratorINS9_10device_ptrIiEEEENSB_INSC_IfEEEEfNS9_4plusIvEEfEEDaPvRmT3_T4_T5_mT6_P12ihipStream_tbENKUlT_T0_E_clISt17integral_constantIbLb1EESV_IbLb0EEEEDaSR_SS_EUlSR_E0_NS1_11comp_targetILNS1_3genE10ELNS1_11target_archE1200ELNS1_3gpuE4ELNS1_3repE0EEENS1_30default_config_static_selectorELNS0_4arch9wavefront6targetE1EEEvT1_,@function
_ZN7rocprim17ROCPRIM_400000_NS6detail17trampoline_kernelINS0_14default_configENS1_20scan_config_selectorIfEEZZNS1_9scan_implILNS1_25lookback_scan_determinismE0ELb1ELb1ES3_N6thrust23THRUST_200600_302600_NS6detail15normal_iteratorINS9_10device_ptrIiEEEENSB_INSC_IfEEEEfNS9_4plusIvEEfEEDaPvRmT3_T4_T5_mT6_P12ihipStream_tbENKUlT_T0_E_clISt17integral_constantIbLb1EESV_IbLb0EEEEDaSR_SS_EUlSR_E0_NS1_11comp_targetILNS1_3genE10ELNS1_11target_archE1200ELNS1_3gpuE4ELNS1_3repE0EEENS1_30default_config_static_selectorELNS0_4arch9wavefront6targetE1EEEvT1_: ; @_ZN7rocprim17ROCPRIM_400000_NS6detail17trampoline_kernelINS0_14default_configENS1_20scan_config_selectorIfEEZZNS1_9scan_implILNS1_25lookback_scan_determinismE0ELb1ELb1ES3_N6thrust23THRUST_200600_302600_NS6detail15normal_iteratorINS9_10device_ptrIiEEEENSB_INSC_IfEEEEfNS9_4plusIvEEfEEDaPvRmT3_T4_T5_mT6_P12ihipStream_tbENKUlT_T0_E_clISt17integral_constantIbLb1EESV_IbLb0EEEEDaSR_SS_EUlSR_E0_NS1_11comp_targetILNS1_3genE10ELNS1_11target_archE1200ELNS1_3gpuE4ELNS1_3repE0EEENS1_30default_config_static_selectorELNS0_4arch9wavefront6targetE1EEEvT1_
; %bb.0:
	.section	.rodata,"a",@progbits
	.p2align	6, 0x0
	.amdhsa_kernel _ZN7rocprim17ROCPRIM_400000_NS6detail17trampoline_kernelINS0_14default_configENS1_20scan_config_selectorIfEEZZNS1_9scan_implILNS1_25lookback_scan_determinismE0ELb1ELb1ES3_N6thrust23THRUST_200600_302600_NS6detail15normal_iteratorINS9_10device_ptrIiEEEENSB_INSC_IfEEEEfNS9_4plusIvEEfEEDaPvRmT3_T4_T5_mT6_P12ihipStream_tbENKUlT_T0_E_clISt17integral_constantIbLb1EESV_IbLb0EEEEDaSR_SS_EUlSR_E0_NS1_11comp_targetILNS1_3genE10ELNS1_11target_archE1200ELNS1_3gpuE4ELNS1_3repE0EEENS1_30default_config_static_selectorELNS0_4arch9wavefront6targetE1EEEvT1_
		.amdhsa_group_segment_fixed_size 0
		.amdhsa_private_segment_fixed_size 0
		.amdhsa_kernarg_size 32
		.amdhsa_user_sgpr_count 6
		.amdhsa_user_sgpr_private_segment_buffer 1
		.amdhsa_user_sgpr_dispatch_ptr 0
		.amdhsa_user_sgpr_queue_ptr 0
		.amdhsa_user_sgpr_kernarg_segment_ptr 1
		.amdhsa_user_sgpr_dispatch_id 0
		.amdhsa_user_sgpr_flat_scratch_init 0
		.amdhsa_user_sgpr_kernarg_preload_length 0
		.amdhsa_user_sgpr_kernarg_preload_offset 0
		.amdhsa_user_sgpr_private_segment_size 0
		.amdhsa_uses_dynamic_stack 0
		.amdhsa_system_sgpr_private_segment_wavefront_offset 0
		.amdhsa_system_sgpr_workgroup_id_x 1
		.amdhsa_system_sgpr_workgroup_id_y 0
		.amdhsa_system_sgpr_workgroup_id_z 0
		.amdhsa_system_sgpr_workgroup_info 0
		.amdhsa_system_vgpr_workitem_id 0
		.amdhsa_next_free_vgpr 1
		.amdhsa_next_free_sgpr 0
		.amdhsa_accum_offset 4
		.amdhsa_reserve_vcc 0
		.amdhsa_reserve_flat_scratch 0
		.amdhsa_float_round_mode_32 0
		.amdhsa_float_round_mode_16_64 0
		.amdhsa_float_denorm_mode_32 3
		.amdhsa_float_denorm_mode_16_64 3
		.amdhsa_dx10_clamp 1
		.amdhsa_ieee_mode 1
		.amdhsa_fp16_overflow 0
		.amdhsa_tg_split 0
		.amdhsa_exception_fp_ieee_invalid_op 0
		.amdhsa_exception_fp_denorm_src 0
		.amdhsa_exception_fp_ieee_div_zero 0
		.amdhsa_exception_fp_ieee_overflow 0
		.amdhsa_exception_fp_ieee_underflow 0
		.amdhsa_exception_fp_ieee_inexact 0
		.amdhsa_exception_int_div_zero 0
	.end_amdhsa_kernel
	.section	.text._ZN7rocprim17ROCPRIM_400000_NS6detail17trampoline_kernelINS0_14default_configENS1_20scan_config_selectorIfEEZZNS1_9scan_implILNS1_25lookback_scan_determinismE0ELb1ELb1ES3_N6thrust23THRUST_200600_302600_NS6detail15normal_iteratorINS9_10device_ptrIiEEEENSB_INSC_IfEEEEfNS9_4plusIvEEfEEDaPvRmT3_T4_T5_mT6_P12ihipStream_tbENKUlT_T0_E_clISt17integral_constantIbLb1EESV_IbLb0EEEEDaSR_SS_EUlSR_E0_NS1_11comp_targetILNS1_3genE10ELNS1_11target_archE1200ELNS1_3gpuE4ELNS1_3repE0EEENS1_30default_config_static_selectorELNS0_4arch9wavefront6targetE1EEEvT1_,"axG",@progbits,_ZN7rocprim17ROCPRIM_400000_NS6detail17trampoline_kernelINS0_14default_configENS1_20scan_config_selectorIfEEZZNS1_9scan_implILNS1_25lookback_scan_determinismE0ELb1ELb1ES3_N6thrust23THRUST_200600_302600_NS6detail15normal_iteratorINS9_10device_ptrIiEEEENSB_INSC_IfEEEEfNS9_4plusIvEEfEEDaPvRmT3_T4_T5_mT6_P12ihipStream_tbENKUlT_T0_E_clISt17integral_constantIbLb1EESV_IbLb0EEEEDaSR_SS_EUlSR_E0_NS1_11comp_targetILNS1_3genE10ELNS1_11target_archE1200ELNS1_3gpuE4ELNS1_3repE0EEENS1_30default_config_static_selectorELNS0_4arch9wavefront6targetE1EEEvT1_,comdat
.Lfunc_end1765:
	.size	_ZN7rocprim17ROCPRIM_400000_NS6detail17trampoline_kernelINS0_14default_configENS1_20scan_config_selectorIfEEZZNS1_9scan_implILNS1_25lookback_scan_determinismE0ELb1ELb1ES3_N6thrust23THRUST_200600_302600_NS6detail15normal_iteratorINS9_10device_ptrIiEEEENSB_INSC_IfEEEEfNS9_4plusIvEEfEEDaPvRmT3_T4_T5_mT6_P12ihipStream_tbENKUlT_T0_E_clISt17integral_constantIbLb1EESV_IbLb0EEEEDaSR_SS_EUlSR_E0_NS1_11comp_targetILNS1_3genE10ELNS1_11target_archE1200ELNS1_3gpuE4ELNS1_3repE0EEENS1_30default_config_static_selectorELNS0_4arch9wavefront6targetE1EEEvT1_, .Lfunc_end1765-_ZN7rocprim17ROCPRIM_400000_NS6detail17trampoline_kernelINS0_14default_configENS1_20scan_config_selectorIfEEZZNS1_9scan_implILNS1_25lookback_scan_determinismE0ELb1ELb1ES3_N6thrust23THRUST_200600_302600_NS6detail15normal_iteratorINS9_10device_ptrIiEEEENSB_INSC_IfEEEEfNS9_4plusIvEEfEEDaPvRmT3_T4_T5_mT6_P12ihipStream_tbENKUlT_T0_E_clISt17integral_constantIbLb1EESV_IbLb0EEEEDaSR_SS_EUlSR_E0_NS1_11comp_targetILNS1_3genE10ELNS1_11target_archE1200ELNS1_3gpuE4ELNS1_3repE0EEENS1_30default_config_static_selectorELNS0_4arch9wavefront6targetE1EEEvT1_
                                        ; -- End function
	.section	.AMDGPU.csdata,"",@progbits
; Kernel info:
; codeLenInByte = 0
; NumSgprs: 4
; NumVgprs: 0
; NumAgprs: 0
; TotalNumVgprs: 0
; ScratchSize: 0
; MemoryBound: 0
; FloatMode: 240
; IeeeMode: 1
; LDSByteSize: 0 bytes/workgroup (compile time only)
; SGPRBlocks: 0
; VGPRBlocks: 0
; NumSGPRsForWavesPerEU: 4
; NumVGPRsForWavesPerEU: 1
; AccumOffset: 4
; Occupancy: 8
; WaveLimiterHint : 0
; COMPUTE_PGM_RSRC2:SCRATCH_EN: 0
; COMPUTE_PGM_RSRC2:USER_SGPR: 6
; COMPUTE_PGM_RSRC2:TRAP_HANDLER: 0
; COMPUTE_PGM_RSRC2:TGID_X_EN: 1
; COMPUTE_PGM_RSRC2:TGID_Y_EN: 0
; COMPUTE_PGM_RSRC2:TGID_Z_EN: 0
; COMPUTE_PGM_RSRC2:TIDIG_COMP_CNT: 0
; COMPUTE_PGM_RSRC3_GFX90A:ACCUM_OFFSET: 0
; COMPUTE_PGM_RSRC3_GFX90A:TG_SPLIT: 0
	.section	.text._ZN7rocprim17ROCPRIM_400000_NS6detail17trampoline_kernelINS0_14default_configENS1_20scan_config_selectorIfEEZZNS1_9scan_implILNS1_25lookback_scan_determinismE0ELb1ELb1ES3_N6thrust23THRUST_200600_302600_NS6detail15normal_iteratorINS9_10device_ptrIiEEEENSB_INSC_IfEEEEfNS9_4plusIvEEfEEDaPvRmT3_T4_T5_mT6_P12ihipStream_tbENKUlT_T0_E_clISt17integral_constantIbLb1EESV_IbLb0EEEEDaSR_SS_EUlSR_E0_NS1_11comp_targetILNS1_3genE9ELNS1_11target_archE1100ELNS1_3gpuE3ELNS1_3repE0EEENS1_30default_config_static_selectorELNS0_4arch9wavefront6targetE1EEEvT1_,"axG",@progbits,_ZN7rocprim17ROCPRIM_400000_NS6detail17trampoline_kernelINS0_14default_configENS1_20scan_config_selectorIfEEZZNS1_9scan_implILNS1_25lookback_scan_determinismE0ELb1ELb1ES3_N6thrust23THRUST_200600_302600_NS6detail15normal_iteratorINS9_10device_ptrIiEEEENSB_INSC_IfEEEEfNS9_4plusIvEEfEEDaPvRmT3_T4_T5_mT6_P12ihipStream_tbENKUlT_T0_E_clISt17integral_constantIbLb1EESV_IbLb0EEEEDaSR_SS_EUlSR_E0_NS1_11comp_targetILNS1_3genE9ELNS1_11target_archE1100ELNS1_3gpuE3ELNS1_3repE0EEENS1_30default_config_static_selectorELNS0_4arch9wavefront6targetE1EEEvT1_,comdat
	.protected	_ZN7rocprim17ROCPRIM_400000_NS6detail17trampoline_kernelINS0_14default_configENS1_20scan_config_selectorIfEEZZNS1_9scan_implILNS1_25lookback_scan_determinismE0ELb1ELb1ES3_N6thrust23THRUST_200600_302600_NS6detail15normal_iteratorINS9_10device_ptrIiEEEENSB_INSC_IfEEEEfNS9_4plusIvEEfEEDaPvRmT3_T4_T5_mT6_P12ihipStream_tbENKUlT_T0_E_clISt17integral_constantIbLb1EESV_IbLb0EEEEDaSR_SS_EUlSR_E0_NS1_11comp_targetILNS1_3genE9ELNS1_11target_archE1100ELNS1_3gpuE3ELNS1_3repE0EEENS1_30default_config_static_selectorELNS0_4arch9wavefront6targetE1EEEvT1_ ; -- Begin function _ZN7rocprim17ROCPRIM_400000_NS6detail17trampoline_kernelINS0_14default_configENS1_20scan_config_selectorIfEEZZNS1_9scan_implILNS1_25lookback_scan_determinismE0ELb1ELb1ES3_N6thrust23THRUST_200600_302600_NS6detail15normal_iteratorINS9_10device_ptrIiEEEENSB_INSC_IfEEEEfNS9_4plusIvEEfEEDaPvRmT3_T4_T5_mT6_P12ihipStream_tbENKUlT_T0_E_clISt17integral_constantIbLb1EESV_IbLb0EEEEDaSR_SS_EUlSR_E0_NS1_11comp_targetILNS1_3genE9ELNS1_11target_archE1100ELNS1_3gpuE3ELNS1_3repE0EEENS1_30default_config_static_selectorELNS0_4arch9wavefront6targetE1EEEvT1_
	.globl	_ZN7rocprim17ROCPRIM_400000_NS6detail17trampoline_kernelINS0_14default_configENS1_20scan_config_selectorIfEEZZNS1_9scan_implILNS1_25lookback_scan_determinismE0ELb1ELb1ES3_N6thrust23THRUST_200600_302600_NS6detail15normal_iteratorINS9_10device_ptrIiEEEENSB_INSC_IfEEEEfNS9_4plusIvEEfEEDaPvRmT3_T4_T5_mT6_P12ihipStream_tbENKUlT_T0_E_clISt17integral_constantIbLb1EESV_IbLb0EEEEDaSR_SS_EUlSR_E0_NS1_11comp_targetILNS1_3genE9ELNS1_11target_archE1100ELNS1_3gpuE3ELNS1_3repE0EEENS1_30default_config_static_selectorELNS0_4arch9wavefront6targetE1EEEvT1_
	.p2align	8
	.type	_ZN7rocprim17ROCPRIM_400000_NS6detail17trampoline_kernelINS0_14default_configENS1_20scan_config_selectorIfEEZZNS1_9scan_implILNS1_25lookback_scan_determinismE0ELb1ELb1ES3_N6thrust23THRUST_200600_302600_NS6detail15normal_iteratorINS9_10device_ptrIiEEEENSB_INSC_IfEEEEfNS9_4plusIvEEfEEDaPvRmT3_T4_T5_mT6_P12ihipStream_tbENKUlT_T0_E_clISt17integral_constantIbLb1EESV_IbLb0EEEEDaSR_SS_EUlSR_E0_NS1_11comp_targetILNS1_3genE9ELNS1_11target_archE1100ELNS1_3gpuE3ELNS1_3repE0EEENS1_30default_config_static_selectorELNS0_4arch9wavefront6targetE1EEEvT1_,@function
_ZN7rocprim17ROCPRIM_400000_NS6detail17trampoline_kernelINS0_14default_configENS1_20scan_config_selectorIfEEZZNS1_9scan_implILNS1_25lookback_scan_determinismE0ELb1ELb1ES3_N6thrust23THRUST_200600_302600_NS6detail15normal_iteratorINS9_10device_ptrIiEEEENSB_INSC_IfEEEEfNS9_4plusIvEEfEEDaPvRmT3_T4_T5_mT6_P12ihipStream_tbENKUlT_T0_E_clISt17integral_constantIbLb1EESV_IbLb0EEEEDaSR_SS_EUlSR_E0_NS1_11comp_targetILNS1_3genE9ELNS1_11target_archE1100ELNS1_3gpuE3ELNS1_3repE0EEENS1_30default_config_static_selectorELNS0_4arch9wavefront6targetE1EEEvT1_: ; @_ZN7rocprim17ROCPRIM_400000_NS6detail17trampoline_kernelINS0_14default_configENS1_20scan_config_selectorIfEEZZNS1_9scan_implILNS1_25lookback_scan_determinismE0ELb1ELb1ES3_N6thrust23THRUST_200600_302600_NS6detail15normal_iteratorINS9_10device_ptrIiEEEENSB_INSC_IfEEEEfNS9_4plusIvEEfEEDaPvRmT3_T4_T5_mT6_P12ihipStream_tbENKUlT_T0_E_clISt17integral_constantIbLb1EESV_IbLb0EEEEDaSR_SS_EUlSR_E0_NS1_11comp_targetILNS1_3genE9ELNS1_11target_archE1100ELNS1_3gpuE3ELNS1_3repE0EEENS1_30default_config_static_selectorELNS0_4arch9wavefront6targetE1EEEvT1_
; %bb.0:
	.section	.rodata,"a",@progbits
	.p2align	6, 0x0
	.amdhsa_kernel _ZN7rocprim17ROCPRIM_400000_NS6detail17trampoline_kernelINS0_14default_configENS1_20scan_config_selectorIfEEZZNS1_9scan_implILNS1_25lookback_scan_determinismE0ELb1ELb1ES3_N6thrust23THRUST_200600_302600_NS6detail15normal_iteratorINS9_10device_ptrIiEEEENSB_INSC_IfEEEEfNS9_4plusIvEEfEEDaPvRmT3_T4_T5_mT6_P12ihipStream_tbENKUlT_T0_E_clISt17integral_constantIbLb1EESV_IbLb0EEEEDaSR_SS_EUlSR_E0_NS1_11comp_targetILNS1_3genE9ELNS1_11target_archE1100ELNS1_3gpuE3ELNS1_3repE0EEENS1_30default_config_static_selectorELNS0_4arch9wavefront6targetE1EEEvT1_
		.amdhsa_group_segment_fixed_size 0
		.amdhsa_private_segment_fixed_size 0
		.amdhsa_kernarg_size 32
		.amdhsa_user_sgpr_count 6
		.amdhsa_user_sgpr_private_segment_buffer 1
		.amdhsa_user_sgpr_dispatch_ptr 0
		.amdhsa_user_sgpr_queue_ptr 0
		.amdhsa_user_sgpr_kernarg_segment_ptr 1
		.amdhsa_user_sgpr_dispatch_id 0
		.amdhsa_user_sgpr_flat_scratch_init 0
		.amdhsa_user_sgpr_kernarg_preload_length 0
		.amdhsa_user_sgpr_kernarg_preload_offset 0
		.amdhsa_user_sgpr_private_segment_size 0
		.amdhsa_uses_dynamic_stack 0
		.amdhsa_system_sgpr_private_segment_wavefront_offset 0
		.amdhsa_system_sgpr_workgroup_id_x 1
		.amdhsa_system_sgpr_workgroup_id_y 0
		.amdhsa_system_sgpr_workgroup_id_z 0
		.amdhsa_system_sgpr_workgroup_info 0
		.amdhsa_system_vgpr_workitem_id 0
		.amdhsa_next_free_vgpr 1
		.amdhsa_next_free_sgpr 0
		.amdhsa_accum_offset 4
		.amdhsa_reserve_vcc 0
		.amdhsa_reserve_flat_scratch 0
		.amdhsa_float_round_mode_32 0
		.amdhsa_float_round_mode_16_64 0
		.amdhsa_float_denorm_mode_32 3
		.amdhsa_float_denorm_mode_16_64 3
		.amdhsa_dx10_clamp 1
		.amdhsa_ieee_mode 1
		.amdhsa_fp16_overflow 0
		.amdhsa_tg_split 0
		.amdhsa_exception_fp_ieee_invalid_op 0
		.amdhsa_exception_fp_denorm_src 0
		.amdhsa_exception_fp_ieee_div_zero 0
		.amdhsa_exception_fp_ieee_overflow 0
		.amdhsa_exception_fp_ieee_underflow 0
		.amdhsa_exception_fp_ieee_inexact 0
		.amdhsa_exception_int_div_zero 0
	.end_amdhsa_kernel
	.section	.text._ZN7rocprim17ROCPRIM_400000_NS6detail17trampoline_kernelINS0_14default_configENS1_20scan_config_selectorIfEEZZNS1_9scan_implILNS1_25lookback_scan_determinismE0ELb1ELb1ES3_N6thrust23THRUST_200600_302600_NS6detail15normal_iteratorINS9_10device_ptrIiEEEENSB_INSC_IfEEEEfNS9_4plusIvEEfEEDaPvRmT3_T4_T5_mT6_P12ihipStream_tbENKUlT_T0_E_clISt17integral_constantIbLb1EESV_IbLb0EEEEDaSR_SS_EUlSR_E0_NS1_11comp_targetILNS1_3genE9ELNS1_11target_archE1100ELNS1_3gpuE3ELNS1_3repE0EEENS1_30default_config_static_selectorELNS0_4arch9wavefront6targetE1EEEvT1_,"axG",@progbits,_ZN7rocprim17ROCPRIM_400000_NS6detail17trampoline_kernelINS0_14default_configENS1_20scan_config_selectorIfEEZZNS1_9scan_implILNS1_25lookback_scan_determinismE0ELb1ELb1ES3_N6thrust23THRUST_200600_302600_NS6detail15normal_iteratorINS9_10device_ptrIiEEEENSB_INSC_IfEEEEfNS9_4plusIvEEfEEDaPvRmT3_T4_T5_mT6_P12ihipStream_tbENKUlT_T0_E_clISt17integral_constantIbLb1EESV_IbLb0EEEEDaSR_SS_EUlSR_E0_NS1_11comp_targetILNS1_3genE9ELNS1_11target_archE1100ELNS1_3gpuE3ELNS1_3repE0EEENS1_30default_config_static_selectorELNS0_4arch9wavefront6targetE1EEEvT1_,comdat
.Lfunc_end1766:
	.size	_ZN7rocprim17ROCPRIM_400000_NS6detail17trampoline_kernelINS0_14default_configENS1_20scan_config_selectorIfEEZZNS1_9scan_implILNS1_25lookback_scan_determinismE0ELb1ELb1ES3_N6thrust23THRUST_200600_302600_NS6detail15normal_iteratorINS9_10device_ptrIiEEEENSB_INSC_IfEEEEfNS9_4plusIvEEfEEDaPvRmT3_T4_T5_mT6_P12ihipStream_tbENKUlT_T0_E_clISt17integral_constantIbLb1EESV_IbLb0EEEEDaSR_SS_EUlSR_E0_NS1_11comp_targetILNS1_3genE9ELNS1_11target_archE1100ELNS1_3gpuE3ELNS1_3repE0EEENS1_30default_config_static_selectorELNS0_4arch9wavefront6targetE1EEEvT1_, .Lfunc_end1766-_ZN7rocprim17ROCPRIM_400000_NS6detail17trampoline_kernelINS0_14default_configENS1_20scan_config_selectorIfEEZZNS1_9scan_implILNS1_25lookback_scan_determinismE0ELb1ELb1ES3_N6thrust23THRUST_200600_302600_NS6detail15normal_iteratorINS9_10device_ptrIiEEEENSB_INSC_IfEEEEfNS9_4plusIvEEfEEDaPvRmT3_T4_T5_mT6_P12ihipStream_tbENKUlT_T0_E_clISt17integral_constantIbLb1EESV_IbLb0EEEEDaSR_SS_EUlSR_E0_NS1_11comp_targetILNS1_3genE9ELNS1_11target_archE1100ELNS1_3gpuE3ELNS1_3repE0EEENS1_30default_config_static_selectorELNS0_4arch9wavefront6targetE1EEEvT1_
                                        ; -- End function
	.section	.AMDGPU.csdata,"",@progbits
; Kernel info:
; codeLenInByte = 0
; NumSgprs: 4
; NumVgprs: 0
; NumAgprs: 0
; TotalNumVgprs: 0
; ScratchSize: 0
; MemoryBound: 0
; FloatMode: 240
; IeeeMode: 1
; LDSByteSize: 0 bytes/workgroup (compile time only)
; SGPRBlocks: 0
; VGPRBlocks: 0
; NumSGPRsForWavesPerEU: 4
; NumVGPRsForWavesPerEU: 1
; AccumOffset: 4
; Occupancy: 8
; WaveLimiterHint : 0
; COMPUTE_PGM_RSRC2:SCRATCH_EN: 0
; COMPUTE_PGM_RSRC2:USER_SGPR: 6
; COMPUTE_PGM_RSRC2:TRAP_HANDLER: 0
; COMPUTE_PGM_RSRC2:TGID_X_EN: 1
; COMPUTE_PGM_RSRC2:TGID_Y_EN: 0
; COMPUTE_PGM_RSRC2:TGID_Z_EN: 0
; COMPUTE_PGM_RSRC2:TIDIG_COMP_CNT: 0
; COMPUTE_PGM_RSRC3_GFX90A:ACCUM_OFFSET: 0
; COMPUTE_PGM_RSRC3_GFX90A:TG_SPLIT: 0
	.section	.text._ZN7rocprim17ROCPRIM_400000_NS6detail17trampoline_kernelINS0_14default_configENS1_20scan_config_selectorIfEEZZNS1_9scan_implILNS1_25lookback_scan_determinismE0ELb1ELb1ES3_N6thrust23THRUST_200600_302600_NS6detail15normal_iteratorINS9_10device_ptrIiEEEENSB_INSC_IfEEEEfNS9_4plusIvEEfEEDaPvRmT3_T4_T5_mT6_P12ihipStream_tbENKUlT_T0_E_clISt17integral_constantIbLb1EESV_IbLb0EEEEDaSR_SS_EUlSR_E0_NS1_11comp_targetILNS1_3genE8ELNS1_11target_archE1030ELNS1_3gpuE2ELNS1_3repE0EEENS1_30default_config_static_selectorELNS0_4arch9wavefront6targetE1EEEvT1_,"axG",@progbits,_ZN7rocprim17ROCPRIM_400000_NS6detail17trampoline_kernelINS0_14default_configENS1_20scan_config_selectorIfEEZZNS1_9scan_implILNS1_25lookback_scan_determinismE0ELb1ELb1ES3_N6thrust23THRUST_200600_302600_NS6detail15normal_iteratorINS9_10device_ptrIiEEEENSB_INSC_IfEEEEfNS9_4plusIvEEfEEDaPvRmT3_T4_T5_mT6_P12ihipStream_tbENKUlT_T0_E_clISt17integral_constantIbLb1EESV_IbLb0EEEEDaSR_SS_EUlSR_E0_NS1_11comp_targetILNS1_3genE8ELNS1_11target_archE1030ELNS1_3gpuE2ELNS1_3repE0EEENS1_30default_config_static_selectorELNS0_4arch9wavefront6targetE1EEEvT1_,comdat
	.protected	_ZN7rocprim17ROCPRIM_400000_NS6detail17trampoline_kernelINS0_14default_configENS1_20scan_config_selectorIfEEZZNS1_9scan_implILNS1_25lookback_scan_determinismE0ELb1ELb1ES3_N6thrust23THRUST_200600_302600_NS6detail15normal_iteratorINS9_10device_ptrIiEEEENSB_INSC_IfEEEEfNS9_4plusIvEEfEEDaPvRmT3_T4_T5_mT6_P12ihipStream_tbENKUlT_T0_E_clISt17integral_constantIbLb1EESV_IbLb0EEEEDaSR_SS_EUlSR_E0_NS1_11comp_targetILNS1_3genE8ELNS1_11target_archE1030ELNS1_3gpuE2ELNS1_3repE0EEENS1_30default_config_static_selectorELNS0_4arch9wavefront6targetE1EEEvT1_ ; -- Begin function _ZN7rocprim17ROCPRIM_400000_NS6detail17trampoline_kernelINS0_14default_configENS1_20scan_config_selectorIfEEZZNS1_9scan_implILNS1_25lookback_scan_determinismE0ELb1ELb1ES3_N6thrust23THRUST_200600_302600_NS6detail15normal_iteratorINS9_10device_ptrIiEEEENSB_INSC_IfEEEEfNS9_4plusIvEEfEEDaPvRmT3_T4_T5_mT6_P12ihipStream_tbENKUlT_T0_E_clISt17integral_constantIbLb1EESV_IbLb0EEEEDaSR_SS_EUlSR_E0_NS1_11comp_targetILNS1_3genE8ELNS1_11target_archE1030ELNS1_3gpuE2ELNS1_3repE0EEENS1_30default_config_static_selectorELNS0_4arch9wavefront6targetE1EEEvT1_
	.globl	_ZN7rocprim17ROCPRIM_400000_NS6detail17trampoline_kernelINS0_14default_configENS1_20scan_config_selectorIfEEZZNS1_9scan_implILNS1_25lookback_scan_determinismE0ELb1ELb1ES3_N6thrust23THRUST_200600_302600_NS6detail15normal_iteratorINS9_10device_ptrIiEEEENSB_INSC_IfEEEEfNS9_4plusIvEEfEEDaPvRmT3_T4_T5_mT6_P12ihipStream_tbENKUlT_T0_E_clISt17integral_constantIbLb1EESV_IbLb0EEEEDaSR_SS_EUlSR_E0_NS1_11comp_targetILNS1_3genE8ELNS1_11target_archE1030ELNS1_3gpuE2ELNS1_3repE0EEENS1_30default_config_static_selectorELNS0_4arch9wavefront6targetE1EEEvT1_
	.p2align	8
	.type	_ZN7rocprim17ROCPRIM_400000_NS6detail17trampoline_kernelINS0_14default_configENS1_20scan_config_selectorIfEEZZNS1_9scan_implILNS1_25lookback_scan_determinismE0ELb1ELb1ES3_N6thrust23THRUST_200600_302600_NS6detail15normal_iteratorINS9_10device_ptrIiEEEENSB_INSC_IfEEEEfNS9_4plusIvEEfEEDaPvRmT3_T4_T5_mT6_P12ihipStream_tbENKUlT_T0_E_clISt17integral_constantIbLb1EESV_IbLb0EEEEDaSR_SS_EUlSR_E0_NS1_11comp_targetILNS1_3genE8ELNS1_11target_archE1030ELNS1_3gpuE2ELNS1_3repE0EEENS1_30default_config_static_selectorELNS0_4arch9wavefront6targetE1EEEvT1_,@function
_ZN7rocprim17ROCPRIM_400000_NS6detail17trampoline_kernelINS0_14default_configENS1_20scan_config_selectorIfEEZZNS1_9scan_implILNS1_25lookback_scan_determinismE0ELb1ELb1ES3_N6thrust23THRUST_200600_302600_NS6detail15normal_iteratorINS9_10device_ptrIiEEEENSB_INSC_IfEEEEfNS9_4plusIvEEfEEDaPvRmT3_T4_T5_mT6_P12ihipStream_tbENKUlT_T0_E_clISt17integral_constantIbLb1EESV_IbLb0EEEEDaSR_SS_EUlSR_E0_NS1_11comp_targetILNS1_3genE8ELNS1_11target_archE1030ELNS1_3gpuE2ELNS1_3repE0EEENS1_30default_config_static_selectorELNS0_4arch9wavefront6targetE1EEEvT1_: ; @_ZN7rocprim17ROCPRIM_400000_NS6detail17trampoline_kernelINS0_14default_configENS1_20scan_config_selectorIfEEZZNS1_9scan_implILNS1_25lookback_scan_determinismE0ELb1ELb1ES3_N6thrust23THRUST_200600_302600_NS6detail15normal_iteratorINS9_10device_ptrIiEEEENSB_INSC_IfEEEEfNS9_4plusIvEEfEEDaPvRmT3_T4_T5_mT6_P12ihipStream_tbENKUlT_T0_E_clISt17integral_constantIbLb1EESV_IbLb0EEEEDaSR_SS_EUlSR_E0_NS1_11comp_targetILNS1_3genE8ELNS1_11target_archE1030ELNS1_3gpuE2ELNS1_3repE0EEENS1_30default_config_static_selectorELNS0_4arch9wavefront6targetE1EEEvT1_
; %bb.0:
	.section	.rodata,"a",@progbits
	.p2align	6, 0x0
	.amdhsa_kernel _ZN7rocprim17ROCPRIM_400000_NS6detail17trampoline_kernelINS0_14default_configENS1_20scan_config_selectorIfEEZZNS1_9scan_implILNS1_25lookback_scan_determinismE0ELb1ELb1ES3_N6thrust23THRUST_200600_302600_NS6detail15normal_iteratorINS9_10device_ptrIiEEEENSB_INSC_IfEEEEfNS9_4plusIvEEfEEDaPvRmT3_T4_T5_mT6_P12ihipStream_tbENKUlT_T0_E_clISt17integral_constantIbLb1EESV_IbLb0EEEEDaSR_SS_EUlSR_E0_NS1_11comp_targetILNS1_3genE8ELNS1_11target_archE1030ELNS1_3gpuE2ELNS1_3repE0EEENS1_30default_config_static_selectorELNS0_4arch9wavefront6targetE1EEEvT1_
		.amdhsa_group_segment_fixed_size 0
		.amdhsa_private_segment_fixed_size 0
		.amdhsa_kernarg_size 32
		.amdhsa_user_sgpr_count 6
		.amdhsa_user_sgpr_private_segment_buffer 1
		.amdhsa_user_sgpr_dispatch_ptr 0
		.amdhsa_user_sgpr_queue_ptr 0
		.amdhsa_user_sgpr_kernarg_segment_ptr 1
		.amdhsa_user_sgpr_dispatch_id 0
		.amdhsa_user_sgpr_flat_scratch_init 0
		.amdhsa_user_sgpr_kernarg_preload_length 0
		.amdhsa_user_sgpr_kernarg_preload_offset 0
		.amdhsa_user_sgpr_private_segment_size 0
		.amdhsa_uses_dynamic_stack 0
		.amdhsa_system_sgpr_private_segment_wavefront_offset 0
		.amdhsa_system_sgpr_workgroup_id_x 1
		.amdhsa_system_sgpr_workgroup_id_y 0
		.amdhsa_system_sgpr_workgroup_id_z 0
		.amdhsa_system_sgpr_workgroup_info 0
		.amdhsa_system_vgpr_workitem_id 0
		.amdhsa_next_free_vgpr 1
		.amdhsa_next_free_sgpr 0
		.amdhsa_accum_offset 4
		.amdhsa_reserve_vcc 0
		.amdhsa_reserve_flat_scratch 0
		.amdhsa_float_round_mode_32 0
		.amdhsa_float_round_mode_16_64 0
		.amdhsa_float_denorm_mode_32 3
		.amdhsa_float_denorm_mode_16_64 3
		.amdhsa_dx10_clamp 1
		.amdhsa_ieee_mode 1
		.amdhsa_fp16_overflow 0
		.amdhsa_tg_split 0
		.amdhsa_exception_fp_ieee_invalid_op 0
		.amdhsa_exception_fp_denorm_src 0
		.amdhsa_exception_fp_ieee_div_zero 0
		.amdhsa_exception_fp_ieee_overflow 0
		.amdhsa_exception_fp_ieee_underflow 0
		.amdhsa_exception_fp_ieee_inexact 0
		.amdhsa_exception_int_div_zero 0
	.end_amdhsa_kernel
	.section	.text._ZN7rocprim17ROCPRIM_400000_NS6detail17trampoline_kernelINS0_14default_configENS1_20scan_config_selectorIfEEZZNS1_9scan_implILNS1_25lookback_scan_determinismE0ELb1ELb1ES3_N6thrust23THRUST_200600_302600_NS6detail15normal_iteratorINS9_10device_ptrIiEEEENSB_INSC_IfEEEEfNS9_4plusIvEEfEEDaPvRmT3_T4_T5_mT6_P12ihipStream_tbENKUlT_T0_E_clISt17integral_constantIbLb1EESV_IbLb0EEEEDaSR_SS_EUlSR_E0_NS1_11comp_targetILNS1_3genE8ELNS1_11target_archE1030ELNS1_3gpuE2ELNS1_3repE0EEENS1_30default_config_static_selectorELNS0_4arch9wavefront6targetE1EEEvT1_,"axG",@progbits,_ZN7rocprim17ROCPRIM_400000_NS6detail17trampoline_kernelINS0_14default_configENS1_20scan_config_selectorIfEEZZNS1_9scan_implILNS1_25lookback_scan_determinismE0ELb1ELb1ES3_N6thrust23THRUST_200600_302600_NS6detail15normal_iteratorINS9_10device_ptrIiEEEENSB_INSC_IfEEEEfNS9_4plusIvEEfEEDaPvRmT3_T4_T5_mT6_P12ihipStream_tbENKUlT_T0_E_clISt17integral_constantIbLb1EESV_IbLb0EEEEDaSR_SS_EUlSR_E0_NS1_11comp_targetILNS1_3genE8ELNS1_11target_archE1030ELNS1_3gpuE2ELNS1_3repE0EEENS1_30default_config_static_selectorELNS0_4arch9wavefront6targetE1EEEvT1_,comdat
.Lfunc_end1767:
	.size	_ZN7rocprim17ROCPRIM_400000_NS6detail17trampoline_kernelINS0_14default_configENS1_20scan_config_selectorIfEEZZNS1_9scan_implILNS1_25lookback_scan_determinismE0ELb1ELb1ES3_N6thrust23THRUST_200600_302600_NS6detail15normal_iteratorINS9_10device_ptrIiEEEENSB_INSC_IfEEEEfNS9_4plusIvEEfEEDaPvRmT3_T4_T5_mT6_P12ihipStream_tbENKUlT_T0_E_clISt17integral_constantIbLb1EESV_IbLb0EEEEDaSR_SS_EUlSR_E0_NS1_11comp_targetILNS1_3genE8ELNS1_11target_archE1030ELNS1_3gpuE2ELNS1_3repE0EEENS1_30default_config_static_selectorELNS0_4arch9wavefront6targetE1EEEvT1_, .Lfunc_end1767-_ZN7rocprim17ROCPRIM_400000_NS6detail17trampoline_kernelINS0_14default_configENS1_20scan_config_selectorIfEEZZNS1_9scan_implILNS1_25lookback_scan_determinismE0ELb1ELb1ES3_N6thrust23THRUST_200600_302600_NS6detail15normal_iteratorINS9_10device_ptrIiEEEENSB_INSC_IfEEEEfNS9_4plusIvEEfEEDaPvRmT3_T4_T5_mT6_P12ihipStream_tbENKUlT_T0_E_clISt17integral_constantIbLb1EESV_IbLb0EEEEDaSR_SS_EUlSR_E0_NS1_11comp_targetILNS1_3genE8ELNS1_11target_archE1030ELNS1_3gpuE2ELNS1_3repE0EEENS1_30default_config_static_selectorELNS0_4arch9wavefront6targetE1EEEvT1_
                                        ; -- End function
	.section	.AMDGPU.csdata,"",@progbits
; Kernel info:
; codeLenInByte = 0
; NumSgprs: 4
; NumVgprs: 0
; NumAgprs: 0
; TotalNumVgprs: 0
; ScratchSize: 0
; MemoryBound: 0
; FloatMode: 240
; IeeeMode: 1
; LDSByteSize: 0 bytes/workgroup (compile time only)
; SGPRBlocks: 0
; VGPRBlocks: 0
; NumSGPRsForWavesPerEU: 4
; NumVGPRsForWavesPerEU: 1
; AccumOffset: 4
; Occupancy: 8
; WaveLimiterHint : 0
; COMPUTE_PGM_RSRC2:SCRATCH_EN: 0
; COMPUTE_PGM_RSRC2:USER_SGPR: 6
; COMPUTE_PGM_RSRC2:TRAP_HANDLER: 0
; COMPUTE_PGM_RSRC2:TGID_X_EN: 1
; COMPUTE_PGM_RSRC2:TGID_Y_EN: 0
; COMPUTE_PGM_RSRC2:TGID_Z_EN: 0
; COMPUTE_PGM_RSRC2:TIDIG_COMP_CNT: 0
; COMPUTE_PGM_RSRC3_GFX90A:ACCUM_OFFSET: 0
; COMPUTE_PGM_RSRC3_GFX90A:TG_SPLIT: 0
	.section	.text._ZN7rocprim17ROCPRIM_400000_NS6detail17trampoline_kernelINS0_14default_configENS1_20scan_config_selectorIfEEZZNS1_9scan_implILNS1_25lookback_scan_determinismE0ELb1ELb1ES3_N6thrust23THRUST_200600_302600_NS6detail15normal_iteratorINS9_10device_ptrIiEEEENSB_INSC_IfEEEEfNS9_4plusIvEEfEEDaPvRmT3_T4_T5_mT6_P12ihipStream_tbENKUlT_T0_E_clISt17integral_constantIbLb0EESV_IbLb1EEEEDaSR_SS_EUlSR_E_NS1_11comp_targetILNS1_3genE0ELNS1_11target_archE4294967295ELNS1_3gpuE0ELNS1_3repE0EEENS1_30default_config_static_selectorELNS0_4arch9wavefront6targetE1EEEvT1_,"axG",@progbits,_ZN7rocprim17ROCPRIM_400000_NS6detail17trampoline_kernelINS0_14default_configENS1_20scan_config_selectorIfEEZZNS1_9scan_implILNS1_25lookback_scan_determinismE0ELb1ELb1ES3_N6thrust23THRUST_200600_302600_NS6detail15normal_iteratorINS9_10device_ptrIiEEEENSB_INSC_IfEEEEfNS9_4plusIvEEfEEDaPvRmT3_T4_T5_mT6_P12ihipStream_tbENKUlT_T0_E_clISt17integral_constantIbLb0EESV_IbLb1EEEEDaSR_SS_EUlSR_E_NS1_11comp_targetILNS1_3genE0ELNS1_11target_archE4294967295ELNS1_3gpuE0ELNS1_3repE0EEENS1_30default_config_static_selectorELNS0_4arch9wavefront6targetE1EEEvT1_,comdat
	.protected	_ZN7rocprim17ROCPRIM_400000_NS6detail17trampoline_kernelINS0_14default_configENS1_20scan_config_selectorIfEEZZNS1_9scan_implILNS1_25lookback_scan_determinismE0ELb1ELb1ES3_N6thrust23THRUST_200600_302600_NS6detail15normal_iteratorINS9_10device_ptrIiEEEENSB_INSC_IfEEEEfNS9_4plusIvEEfEEDaPvRmT3_T4_T5_mT6_P12ihipStream_tbENKUlT_T0_E_clISt17integral_constantIbLb0EESV_IbLb1EEEEDaSR_SS_EUlSR_E_NS1_11comp_targetILNS1_3genE0ELNS1_11target_archE4294967295ELNS1_3gpuE0ELNS1_3repE0EEENS1_30default_config_static_selectorELNS0_4arch9wavefront6targetE1EEEvT1_ ; -- Begin function _ZN7rocprim17ROCPRIM_400000_NS6detail17trampoline_kernelINS0_14default_configENS1_20scan_config_selectorIfEEZZNS1_9scan_implILNS1_25lookback_scan_determinismE0ELb1ELb1ES3_N6thrust23THRUST_200600_302600_NS6detail15normal_iteratorINS9_10device_ptrIiEEEENSB_INSC_IfEEEEfNS9_4plusIvEEfEEDaPvRmT3_T4_T5_mT6_P12ihipStream_tbENKUlT_T0_E_clISt17integral_constantIbLb0EESV_IbLb1EEEEDaSR_SS_EUlSR_E_NS1_11comp_targetILNS1_3genE0ELNS1_11target_archE4294967295ELNS1_3gpuE0ELNS1_3repE0EEENS1_30default_config_static_selectorELNS0_4arch9wavefront6targetE1EEEvT1_
	.globl	_ZN7rocprim17ROCPRIM_400000_NS6detail17trampoline_kernelINS0_14default_configENS1_20scan_config_selectorIfEEZZNS1_9scan_implILNS1_25lookback_scan_determinismE0ELb1ELb1ES3_N6thrust23THRUST_200600_302600_NS6detail15normal_iteratorINS9_10device_ptrIiEEEENSB_INSC_IfEEEEfNS9_4plusIvEEfEEDaPvRmT3_T4_T5_mT6_P12ihipStream_tbENKUlT_T0_E_clISt17integral_constantIbLb0EESV_IbLb1EEEEDaSR_SS_EUlSR_E_NS1_11comp_targetILNS1_3genE0ELNS1_11target_archE4294967295ELNS1_3gpuE0ELNS1_3repE0EEENS1_30default_config_static_selectorELNS0_4arch9wavefront6targetE1EEEvT1_
	.p2align	8
	.type	_ZN7rocprim17ROCPRIM_400000_NS6detail17trampoline_kernelINS0_14default_configENS1_20scan_config_selectorIfEEZZNS1_9scan_implILNS1_25lookback_scan_determinismE0ELb1ELb1ES3_N6thrust23THRUST_200600_302600_NS6detail15normal_iteratorINS9_10device_ptrIiEEEENSB_INSC_IfEEEEfNS9_4plusIvEEfEEDaPvRmT3_T4_T5_mT6_P12ihipStream_tbENKUlT_T0_E_clISt17integral_constantIbLb0EESV_IbLb1EEEEDaSR_SS_EUlSR_E_NS1_11comp_targetILNS1_3genE0ELNS1_11target_archE4294967295ELNS1_3gpuE0ELNS1_3repE0EEENS1_30default_config_static_selectorELNS0_4arch9wavefront6targetE1EEEvT1_,@function
_ZN7rocprim17ROCPRIM_400000_NS6detail17trampoline_kernelINS0_14default_configENS1_20scan_config_selectorIfEEZZNS1_9scan_implILNS1_25lookback_scan_determinismE0ELb1ELb1ES3_N6thrust23THRUST_200600_302600_NS6detail15normal_iteratorINS9_10device_ptrIiEEEENSB_INSC_IfEEEEfNS9_4plusIvEEfEEDaPvRmT3_T4_T5_mT6_P12ihipStream_tbENKUlT_T0_E_clISt17integral_constantIbLb0EESV_IbLb1EEEEDaSR_SS_EUlSR_E_NS1_11comp_targetILNS1_3genE0ELNS1_11target_archE4294967295ELNS1_3gpuE0ELNS1_3repE0EEENS1_30default_config_static_selectorELNS0_4arch9wavefront6targetE1EEEvT1_: ; @_ZN7rocprim17ROCPRIM_400000_NS6detail17trampoline_kernelINS0_14default_configENS1_20scan_config_selectorIfEEZZNS1_9scan_implILNS1_25lookback_scan_determinismE0ELb1ELb1ES3_N6thrust23THRUST_200600_302600_NS6detail15normal_iteratorINS9_10device_ptrIiEEEENSB_INSC_IfEEEEfNS9_4plusIvEEfEEDaPvRmT3_T4_T5_mT6_P12ihipStream_tbENKUlT_T0_E_clISt17integral_constantIbLb0EESV_IbLb1EEEEDaSR_SS_EUlSR_E_NS1_11comp_targetILNS1_3genE0ELNS1_11target_archE4294967295ELNS1_3gpuE0ELNS1_3repE0EEENS1_30default_config_static_selectorELNS0_4arch9wavefront6targetE1EEEvT1_
; %bb.0:
	.section	.rodata,"a",@progbits
	.p2align	6, 0x0
	.amdhsa_kernel _ZN7rocprim17ROCPRIM_400000_NS6detail17trampoline_kernelINS0_14default_configENS1_20scan_config_selectorIfEEZZNS1_9scan_implILNS1_25lookback_scan_determinismE0ELb1ELb1ES3_N6thrust23THRUST_200600_302600_NS6detail15normal_iteratorINS9_10device_ptrIiEEEENSB_INSC_IfEEEEfNS9_4plusIvEEfEEDaPvRmT3_T4_T5_mT6_P12ihipStream_tbENKUlT_T0_E_clISt17integral_constantIbLb0EESV_IbLb1EEEEDaSR_SS_EUlSR_E_NS1_11comp_targetILNS1_3genE0ELNS1_11target_archE4294967295ELNS1_3gpuE0ELNS1_3repE0EEENS1_30default_config_static_selectorELNS0_4arch9wavefront6targetE1EEEvT1_
		.amdhsa_group_segment_fixed_size 0
		.amdhsa_private_segment_fixed_size 0
		.amdhsa_kernarg_size 96
		.amdhsa_user_sgpr_count 6
		.amdhsa_user_sgpr_private_segment_buffer 1
		.amdhsa_user_sgpr_dispatch_ptr 0
		.amdhsa_user_sgpr_queue_ptr 0
		.amdhsa_user_sgpr_kernarg_segment_ptr 1
		.amdhsa_user_sgpr_dispatch_id 0
		.amdhsa_user_sgpr_flat_scratch_init 0
		.amdhsa_user_sgpr_kernarg_preload_length 0
		.amdhsa_user_sgpr_kernarg_preload_offset 0
		.amdhsa_user_sgpr_private_segment_size 0
		.amdhsa_uses_dynamic_stack 0
		.amdhsa_system_sgpr_private_segment_wavefront_offset 0
		.amdhsa_system_sgpr_workgroup_id_x 1
		.amdhsa_system_sgpr_workgroup_id_y 0
		.amdhsa_system_sgpr_workgroup_id_z 0
		.amdhsa_system_sgpr_workgroup_info 0
		.amdhsa_system_vgpr_workitem_id 0
		.amdhsa_next_free_vgpr 1
		.amdhsa_next_free_sgpr 0
		.amdhsa_accum_offset 4
		.amdhsa_reserve_vcc 0
		.amdhsa_reserve_flat_scratch 0
		.amdhsa_float_round_mode_32 0
		.amdhsa_float_round_mode_16_64 0
		.amdhsa_float_denorm_mode_32 3
		.amdhsa_float_denorm_mode_16_64 3
		.amdhsa_dx10_clamp 1
		.amdhsa_ieee_mode 1
		.amdhsa_fp16_overflow 0
		.amdhsa_tg_split 0
		.amdhsa_exception_fp_ieee_invalid_op 0
		.amdhsa_exception_fp_denorm_src 0
		.amdhsa_exception_fp_ieee_div_zero 0
		.amdhsa_exception_fp_ieee_overflow 0
		.amdhsa_exception_fp_ieee_underflow 0
		.amdhsa_exception_fp_ieee_inexact 0
		.amdhsa_exception_int_div_zero 0
	.end_amdhsa_kernel
	.section	.text._ZN7rocprim17ROCPRIM_400000_NS6detail17trampoline_kernelINS0_14default_configENS1_20scan_config_selectorIfEEZZNS1_9scan_implILNS1_25lookback_scan_determinismE0ELb1ELb1ES3_N6thrust23THRUST_200600_302600_NS6detail15normal_iteratorINS9_10device_ptrIiEEEENSB_INSC_IfEEEEfNS9_4plusIvEEfEEDaPvRmT3_T4_T5_mT6_P12ihipStream_tbENKUlT_T0_E_clISt17integral_constantIbLb0EESV_IbLb1EEEEDaSR_SS_EUlSR_E_NS1_11comp_targetILNS1_3genE0ELNS1_11target_archE4294967295ELNS1_3gpuE0ELNS1_3repE0EEENS1_30default_config_static_selectorELNS0_4arch9wavefront6targetE1EEEvT1_,"axG",@progbits,_ZN7rocprim17ROCPRIM_400000_NS6detail17trampoline_kernelINS0_14default_configENS1_20scan_config_selectorIfEEZZNS1_9scan_implILNS1_25lookback_scan_determinismE0ELb1ELb1ES3_N6thrust23THRUST_200600_302600_NS6detail15normal_iteratorINS9_10device_ptrIiEEEENSB_INSC_IfEEEEfNS9_4plusIvEEfEEDaPvRmT3_T4_T5_mT6_P12ihipStream_tbENKUlT_T0_E_clISt17integral_constantIbLb0EESV_IbLb1EEEEDaSR_SS_EUlSR_E_NS1_11comp_targetILNS1_3genE0ELNS1_11target_archE4294967295ELNS1_3gpuE0ELNS1_3repE0EEENS1_30default_config_static_selectorELNS0_4arch9wavefront6targetE1EEEvT1_,comdat
.Lfunc_end1768:
	.size	_ZN7rocprim17ROCPRIM_400000_NS6detail17trampoline_kernelINS0_14default_configENS1_20scan_config_selectorIfEEZZNS1_9scan_implILNS1_25lookback_scan_determinismE0ELb1ELb1ES3_N6thrust23THRUST_200600_302600_NS6detail15normal_iteratorINS9_10device_ptrIiEEEENSB_INSC_IfEEEEfNS9_4plusIvEEfEEDaPvRmT3_T4_T5_mT6_P12ihipStream_tbENKUlT_T0_E_clISt17integral_constantIbLb0EESV_IbLb1EEEEDaSR_SS_EUlSR_E_NS1_11comp_targetILNS1_3genE0ELNS1_11target_archE4294967295ELNS1_3gpuE0ELNS1_3repE0EEENS1_30default_config_static_selectorELNS0_4arch9wavefront6targetE1EEEvT1_, .Lfunc_end1768-_ZN7rocprim17ROCPRIM_400000_NS6detail17trampoline_kernelINS0_14default_configENS1_20scan_config_selectorIfEEZZNS1_9scan_implILNS1_25lookback_scan_determinismE0ELb1ELb1ES3_N6thrust23THRUST_200600_302600_NS6detail15normal_iteratorINS9_10device_ptrIiEEEENSB_INSC_IfEEEEfNS9_4plusIvEEfEEDaPvRmT3_T4_T5_mT6_P12ihipStream_tbENKUlT_T0_E_clISt17integral_constantIbLb0EESV_IbLb1EEEEDaSR_SS_EUlSR_E_NS1_11comp_targetILNS1_3genE0ELNS1_11target_archE4294967295ELNS1_3gpuE0ELNS1_3repE0EEENS1_30default_config_static_selectorELNS0_4arch9wavefront6targetE1EEEvT1_
                                        ; -- End function
	.section	.AMDGPU.csdata,"",@progbits
; Kernel info:
; codeLenInByte = 0
; NumSgprs: 4
; NumVgprs: 0
; NumAgprs: 0
; TotalNumVgprs: 0
; ScratchSize: 0
; MemoryBound: 0
; FloatMode: 240
; IeeeMode: 1
; LDSByteSize: 0 bytes/workgroup (compile time only)
; SGPRBlocks: 0
; VGPRBlocks: 0
; NumSGPRsForWavesPerEU: 4
; NumVGPRsForWavesPerEU: 1
; AccumOffset: 4
; Occupancy: 8
; WaveLimiterHint : 0
; COMPUTE_PGM_RSRC2:SCRATCH_EN: 0
; COMPUTE_PGM_RSRC2:USER_SGPR: 6
; COMPUTE_PGM_RSRC2:TRAP_HANDLER: 0
; COMPUTE_PGM_RSRC2:TGID_X_EN: 1
; COMPUTE_PGM_RSRC2:TGID_Y_EN: 0
; COMPUTE_PGM_RSRC2:TGID_Z_EN: 0
; COMPUTE_PGM_RSRC2:TIDIG_COMP_CNT: 0
; COMPUTE_PGM_RSRC3_GFX90A:ACCUM_OFFSET: 0
; COMPUTE_PGM_RSRC3_GFX90A:TG_SPLIT: 0
	.section	.text._ZN7rocprim17ROCPRIM_400000_NS6detail17trampoline_kernelINS0_14default_configENS1_20scan_config_selectorIfEEZZNS1_9scan_implILNS1_25lookback_scan_determinismE0ELb1ELb1ES3_N6thrust23THRUST_200600_302600_NS6detail15normal_iteratorINS9_10device_ptrIiEEEENSB_INSC_IfEEEEfNS9_4plusIvEEfEEDaPvRmT3_T4_T5_mT6_P12ihipStream_tbENKUlT_T0_E_clISt17integral_constantIbLb0EESV_IbLb1EEEEDaSR_SS_EUlSR_E_NS1_11comp_targetILNS1_3genE5ELNS1_11target_archE942ELNS1_3gpuE9ELNS1_3repE0EEENS1_30default_config_static_selectorELNS0_4arch9wavefront6targetE1EEEvT1_,"axG",@progbits,_ZN7rocprim17ROCPRIM_400000_NS6detail17trampoline_kernelINS0_14default_configENS1_20scan_config_selectorIfEEZZNS1_9scan_implILNS1_25lookback_scan_determinismE0ELb1ELb1ES3_N6thrust23THRUST_200600_302600_NS6detail15normal_iteratorINS9_10device_ptrIiEEEENSB_INSC_IfEEEEfNS9_4plusIvEEfEEDaPvRmT3_T4_T5_mT6_P12ihipStream_tbENKUlT_T0_E_clISt17integral_constantIbLb0EESV_IbLb1EEEEDaSR_SS_EUlSR_E_NS1_11comp_targetILNS1_3genE5ELNS1_11target_archE942ELNS1_3gpuE9ELNS1_3repE0EEENS1_30default_config_static_selectorELNS0_4arch9wavefront6targetE1EEEvT1_,comdat
	.protected	_ZN7rocprim17ROCPRIM_400000_NS6detail17trampoline_kernelINS0_14default_configENS1_20scan_config_selectorIfEEZZNS1_9scan_implILNS1_25lookback_scan_determinismE0ELb1ELb1ES3_N6thrust23THRUST_200600_302600_NS6detail15normal_iteratorINS9_10device_ptrIiEEEENSB_INSC_IfEEEEfNS9_4plusIvEEfEEDaPvRmT3_T4_T5_mT6_P12ihipStream_tbENKUlT_T0_E_clISt17integral_constantIbLb0EESV_IbLb1EEEEDaSR_SS_EUlSR_E_NS1_11comp_targetILNS1_3genE5ELNS1_11target_archE942ELNS1_3gpuE9ELNS1_3repE0EEENS1_30default_config_static_selectorELNS0_4arch9wavefront6targetE1EEEvT1_ ; -- Begin function _ZN7rocprim17ROCPRIM_400000_NS6detail17trampoline_kernelINS0_14default_configENS1_20scan_config_selectorIfEEZZNS1_9scan_implILNS1_25lookback_scan_determinismE0ELb1ELb1ES3_N6thrust23THRUST_200600_302600_NS6detail15normal_iteratorINS9_10device_ptrIiEEEENSB_INSC_IfEEEEfNS9_4plusIvEEfEEDaPvRmT3_T4_T5_mT6_P12ihipStream_tbENKUlT_T0_E_clISt17integral_constantIbLb0EESV_IbLb1EEEEDaSR_SS_EUlSR_E_NS1_11comp_targetILNS1_3genE5ELNS1_11target_archE942ELNS1_3gpuE9ELNS1_3repE0EEENS1_30default_config_static_selectorELNS0_4arch9wavefront6targetE1EEEvT1_
	.globl	_ZN7rocprim17ROCPRIM_400000_NS6detail17trampoline_kernelINS0_14default_configENS1_20scan_config_selectorIfEEZZNS1_9scan_implILNS1_25lookback_scan_determinismE0ELb1ELb1ES3_N6thrust23THRUST_200600_302600_NS6detail15normal_iteratorINS9_10device_ptrIiEEEENSB_INSC_IfEEEEfNS9_4plusIvEEfEEDaPvRmT3_T4_T5_mT6_P12ihipStream_tbENKUlT_T0_E_clISt17integral_constantIbLb0EESV_IbLb1EEEEDaSR_SS_EUlSR_E_NS1_11comp_targetILNS1_3genE5ELNS1_11target_archE942ELNS1_3gpuE9ELNS1_3repE0EEENS1_30default_config_static_selectorELNS0_4arch9wavefront6targetE1EEEvT1_
	.p2align	8
	.type	_ZN7rocprim17ROCPRIM_400000_NS6detail17trampoline_kernelINS0_14default_configENS1_20scan_config_selectorIfEEZZNS1_9scan_implILNS1_25lookback_scan_determinismE0ELb1ELb1ES3_N6thrust23THRUST_200600_302600_NS6detail15normal_iteratorINS9_10device_ptrIiEEEENSB_INSC_IfEEEEfNS9_4plusIvEEfEEDaPvRmT3_T4_T5_mT6_P12ihipStream_tbENKUlT_T0_E_clISt17integral_constantIbLb0EESV_IbLb1EEEEDaSR_SS_EUlSR_E_NS1_11comp_targetILNS1_3genE5ELNS1_11target_archE942ELNS1_3gpuE9ELNS1_3repE0EEENS1_30default_config_static_selectorELNS0_4arch9wavefront6targetE1EEEvT1_,@function
_ZN7rocprim17ROCPRIM_400000_NS6detail17trampoline_kernelINS0_14default_configENS1_20scan_config_selectorIfEEZZNS1_9scan_implILNS1_25lookback_scan_determinismE0ELb1ELb1ES3_N6thrust23THRUST_200600_302600_NS6detail15normal_iteratorINS9_10device_ptrIiEEEENSB_INSC_IfEEEEfNS9_4plusIvEEfEEDaPvRmT3_T4_T5_mT6_P12ihipStream_tbENKUlT_T0_E_clISt17integral_constantIbLb0EESV_IbLb1EEEEDaSR_SS_EUlSR_E_NS1_11comp_targetILNS1_3genE5ELNS1_11target_archE942ELNS1_3gpuE9ELNS1_3repE0EEENS1_30default_config_static_selectorELNS0_4arch9wavefront6targetE1EEEvT1_: ; @_ZN7rocprim17ROCPRIM_400000_NS6detail17trampoline_kernelINS0_14default_configENS1_20scan_config_selectorIfEEZZNS1_9scan_implILNS1_25lookback_scan_determinismE0ELb1ELb1ES3_N6thrust23THRUST_200600_302600_NS6detail15normal_iteratorINS9_10device_ptrIiEEEENSB_INSC_IfEEEEfNS9_4plusIvEEfEEDaPvRmT3_T4_T5_mT6_P12ihipStream_tbENKUlT_T0_E_clISt17integral_constantIbLb0EESV_IbLb1EEEEDaSR_SS_EUlSR_E_NS1_11comp_targetILNS1_3genE5ELNS1_11target_archE942ELNS1_3gpuE9ELNS1_3repE0EEENS1_30default_config_static_selectorELNS0_4arch9wavefront6targetE1EEEvT1_
; %bb.0:
	.section	.rodata,"a",@progbits
	.p2align	6, 0x0
	.amdhsa_kernel _ZN7rocprim17ROCPRIM_400000_NS6detail17trampoline_kernelINS0_14default_configENS1_20scan_config_selectorIfEEZZNS1_9scan_implILNS1_25lookback_scan_determinismE0ELb1ELb1ES3_N6thrust23THRUST_200600_302600_NS6detail15normal_iteratorINS9_10device_ptrIiEEEENSB_INSC_IfEEEEfNS9_4plusIvEEfEEDaPvRmT3_T4_T5_mT6_P12ihipStream_tbENKUlT_T0_E_clISt17integral_constantIbLb0EESV_IbLb1EEEEDaSR_SS_EUlSR_E_NS1_11comp_targetILNS1_3genE5ELNS1_11target_archE942ELNS1_3gpuE9ELNS1_3repE0EEENS1_30default_config_static_selectorELNS0_4arch9wavefront6targetE1EEEvT1_
		.amdhsa_group_segment_fixed_size 0
		.amdhsa_private_segment_fixed_size 0
		.amdhsa_kernarg_size 96
		.amdhsa_user_sgpr_count 6
		.amdhsa_user_sgpr_private_segment_buffer 1
		.amdhsa_user_sgpr_dispatch_ptr 0
		.amdhsa_user_sgpr_queue_ptr 0
		.amdhsa_user_sgpr_kernarg_segment_ptr 1
		.amdhsa_user_sgpr_dispatch_id 0
		.amdhsa_user_sgpr_flat_scratch_init 0
		.amdhsa_user_sgpr_kernarg_preload_length 0
		.amdhsa_user_sgpr_kernarg_preload_offset 0
		.amdhsa_user_sgpr_private_segment_size 0
		.amdhsa_uses_dynamic_stack 0
		.amdhsa_system_sgpr_private_segment_wavefront_offset 0
		.amdhsa_system_sgpr_workgroup_id_x 1
		.amdhsa_system_sgpr_workgroup_id_y 0
		.amdhsa_system_sgpr_workgroup_id_z 0
		.amdhsa_system_sgpr_workgroup_info 0
		.amdhsa_system_vgpr_workitem_id 0
		.amdhsa_next_free_vgpr 1
		.amdhsa_next_free_sgpr 0
		.amdhsa_accum_offset 4
		.amdhsa_reserve_vcc 0
		.amdhsa_reserve_flat_scratch 0
		.amdhsa_float_round_mode_32 0
		.amdhsa_float_round_mode_16_64 0
		.amdhsa_float_denorm_mode_32 3
		.amdhsa_float_denorm_mode_16_64 3
		.amdhsa_dx10_clamp 1
		.amdhsa_ieee_mode 1
		.amdhsa_fp16_overflow 0
		.amdhsa_tg_split 0
		.amdhsa_exception_fp_ieee_invalid_op 0
		.amdhsa_exception_fp_denorm_src 0
		.amdhsa_exception_fp_ieee_div_zero 0
		.amdhsa_exception_fp_ieee_overflow 0
		.amdhsa_exception_fp_ieee_underflow 0
		.amdhsa_exception_fp_ieee_inexact 0
		.amdhsa_exception_int_div_zero 0
	.end_amdhsa_kernel
	.section	.text._ZN7rocprim17ROCPRIM_400000_NS6detail17trampoline_kernelINS0_14default_configENS1_20scan_config_selectorIfEEZZNS1_9scan_implILNS1_25lookback_scan_determinismE0ELb1ELb1ES3_N6thrust23THRUST_200600_302600_NS6detail15normal_iteratorINS9_10device_ptrIiEEEENSB_INSC_IfEEEEfNS9_4plusIvEEfEEDaPvRmT3_T4_T5_mT6_P12ihipStream_tbENKUlT_T0_E_clISt17integral_constantIbLb0EESV_IbLb1EEEEDaSR_SS_EUlSR_E_NS1_11comp_targetILNS1_3genE5ELNS1_11target_archE942ELNS1_3gpuE9ELNS1_3repE0EEENS1_30default_config_static_selectorELNS0_4arch9wavefront6targetE1EEEvT1_,"axG",@progbits,_ZN7rocprim17ROCPRIM_400000_NS6detail17trampoline_kernelINS0_14default_configENS1_20scan_config_selectorIfEEZZNS1_9scan_implILNS1_25lookback_scan_determinismE0ELb1ELb1ES3_N6thrust23THRUST_200600_302600_NS6detail15normal_iteratorINS9_10device_ptrIiEEEENSB_INSC_IfEEEEfNS9_4plusIvEEfEEDaPvRmT3_T4_T5_mT6_P12ihipStream_tbENKUlT_T0_E_clISt17integral_constantIbLb0EESV_IbLb1EEEEDaSR_SS_EUlSR_E_NS1_11comp_targetILNS1_3genE5ELNS1_11target_archE942ELNS1_3gpuE9ELNS1_3repE0EEENS1_30default_config_static_selectorELNS0_4arch9wavefront6targetE1EEEvT1_,comdat
.Lfunc_end1769:
	.size	_ZN7rocprim17ROCPRIM_400000_NS6detail17trampoline_kernelINS0_14default_configENS1_20scan_config_selectorIfEEZZNS1_9scan_implILNS1_25lookback_scan_determinismE0ELb1ELb1ES3_N6thrust23THRUST_200600_302600_NS6detail15normal_iteratorINS9_10device_ptrIiEEEENSB_INSC_IfEEEEfNS9_4plusIvEEfEEDaPvRmT3_T4_T5_mT6_P12ihipStream_tbENKUlT_T0_E_clISt17integral_constantIbLb0EESV_IbLb1EEEEDaSR_SS_EUlSR_E_NS1_11comp_targetILNS1_3genE5ELNS1_11target_archE942ELNS1_3gpuE9ELNS1_3repE0EEENS1_30default_config_static_selectorELNS0_4arch9wavefront6targetE1EEEvT1_, .Lfunc_end1769-_ZN7rocprim17ROCPRIM_400000_NS6detail17trampoline_kernelINS0_14default_configENS1_20scan_config_selectorIfEEZZNS1_9scan_implILNS1_25lookback_scan_determinismE0ELb1ELb1ES3_N6thrust23THRUST_200600_302600_NS6detail15normal_iteratorINS9_10device_ptrIiEEEENSB_INSC_IfEEEEfNS9_4plusIvEEfEEDaPvRmT3_T4_T5_mT6_P12ihipStream_tbENKUlT_T0_E_clISt17integral_constantIbLb0EESV_IbLb1EEEEDaSR_SS_EUlSR_E_NS1_11comp_targetILNS1_3genE5ELNS1_11target_archE942ELNS1_3gpuE9ELNS1_3repE0EEENS1_30default_config_static_selectorELNS0_4arch9wavefront6targetE1EEEvT1_
                                        ; -- End function
	.section	.AMDGPU.csdata,"",@progbits
; Kernel info:
; codeLenInByte = 0
; NumSgprs: 4
; NumVgprs: 0
; NumAgprs: 0
; TotalNumVgprs: 0
; ScratchSize: 0
; MemoryBound: 0
; FloatMode: 240
; IeeeMode: 1
; LDSByteSize: 0 bytes/workgroup (compile time only)
; SGPRBlocks: 0
; VGPRBlocks: 0
; NumSGPRsForWavesPerEU: 4
; NumVGPRsForWavesPerEU: 1
; AccumOffset: 4
; Occupancy: 8
; WaveLimiterHint : 0
; COMPUTE_PGM_RSRC2:SCRATCH_EN: 0
; COMPUTE_PGM_RSRC2:USER_SGPR: 6
; COMPUTE_PGM_RSRC2:TRAP_HANDLER: 0
; COMPUTE_PGM_RSRC2:TGID_X_EN: 1
; COMPUTE_PGM_RSRC2:TGID_Y_EN: 0
; COMPUTE_PGM_RSRC2:TGID_Z_EN: 0
; COMPUTE_PGM_RSRC2:TIDIG_COMP_CNT: 0
; COMPUTE_PGM_RSRC3_GFX90A:ACCUM_OFFSET: 0
; COMPUTE_PGM_RSRC3_GFX90A:TG_SPLIT: 0
	.section	.text._ZN7rocprim17ROCPRIM_400000_NS6detail17trampoline_kernelINS0_14default_configENS1_20scan_config_selectorIfEEZZNS1_9scan_implILNS1_25lookback_scan_determinismE0ELb1ELb1ES3_N6thrust23THRUST_200600_302600_NS6detail15normal_iteratorINS9_10device_ptrIiEEEENSB_INSC_IfEEEEfNS9_4plusIvEEfEEDaPvRmT3_T4_T5_mT6_P12ihipStream_tbENKUlT_T0_E_clISt17integral_constantIbLb0EESV_IbLb1EEEEDaSR_SS_EUlSR_E_NS1_11comp_targetILNS1_3genE4ELNS1_11target_archE910ELNS1_3gpuE8ELNS1_3repE0EEENS1_30default_config_static_selectorELNS0_4arch9wavefront6targetE1EEEvT1_,"axG",@progbits,_ZN7rocprim17ROCPRIM_400000_NS6detail17trampoline_kernelINS0_14default_configENS1_20scan_config_selectorIfEEZZNS1_9scan_implILNS1_25lookback_scan_determinismE0ELb1ELb1ES3_N6thrust23THRUST_200600_302600_NS6detail15normal_iteratorINS9_10device_ptrIiEEEENSB_INSC_IfEEEEfNS9_4plusIvEEfEEDaPvRmT3_T4_T5_mT6_P12ihipStream_tbENKUlT_T0_E_clISt17integral_constantIbLb0EESV_IbLb1EEEEDaSR_SS_EUlSR_E_NS1_11comp_targetILNS1_3genE4ELNS1_11target_archE910ELNS1_3gpuE8ELNS1_3repE0EEENS1_30default_config_static_selectorELNS0_4arch9wavefront6targetE1EEEvT1_,comdat
	.protected	_ZN7rocprim17ROCPRIM_400000_NS6detail17trampoline_kernelINS0_14default_configENS1_20scan_config_selectorIfEEZZNS1_9scan_implILNS1_25lookback_scan_determinismE0ELb1ELb1ES3_N6thrust23THRUST_200600_302600_NS6detail15normal_iteratorINS9_10device_ptrIiEEEENSB_INSC_IfEEEEfNS9_4plusIvEEfEEDaPvRmT3_T4_T5_mT6_P12ihipStream_tbENKUlT_T0_E_clISt17integral_constantIbLb0EESV_IbLb1EEEEDaSR_SS_EUlSR_E_NS1_11comp_targetILNS1_3genE4ELNS1_11target_archE910ELNS1_3gpuE8ELNS1_3repE0EEENS1_30default_config_static_selectorELNS0_4arch9wavefront6targetE1EEEvT1_ ; -- Begin function _ZN7rocprim17ROCPRIM_400000_NS6detail17trampoline_kernelINS0_14default_configENS1_20scan_config_selectorIfEEZZNS1_9scan_implILNS1_25lookback_scan_determinismE0ELb1ELb1ES3_N6thrust23THRUST_200600_302600_NS6detail15normal_iteratorINS9_10device_ptrIiEEEENSB_INSC_IfEEEEfNS9_4plusIvEEfEEDaPvRmT3_T4_T5_mT6_P12ihipStream_tbENKUlT_T0_E_clISt17integral_constantIbLb0EESV_IbLb1EEEEDaSR_SS_EUlSR_E_NS1_11comp_targetILNS1_3genE4ELNS1_11target_archE910ELNS1_3gpuE8ELNS1_3repE0EEENS1_30default_config_static_selectorELNS0_4arch9wavefront6targetE1EEEvT1_
	.globl	_ZN7rocprim17ROCPRIM_400000_NS6detail17trampoline_kernelINS0_14default_configENS1_20scan_config_selectorIfEEZZNS1_9scan_implILNS1_25lookback_scan_determinismE0ELb1ELb1ES3_N6thrust23THRUST_200600_302600_NS6detail15normal_iteratorINS9_10device_ptrIiEEEENSB_INSC_IfEEEEfNS9_4plusIvEEfEEDaPvRmT3_T4_T5_mT6_P12ihipStream_tbENKUlT_T0_E_clISt17integral_constantIbLb0EESV_IbLb1EEEEDaSR_SS_EUlSR_E_NS1_11comp_targetILNS1_3genE4ELNS1_11target_archE910ELNS1_3gpuE8ELNS1_3repE0EEENS1_30default_config_static_selectorELNS0_4arch9wavefront6targetE1EEEvT1_
	.p2align	8
	.type	_ZN7rocprim17ROCPRIM_400000_NS6detail17trampoline_kernelINS0_14default_configENS1_20scan_config_selectorIfEEZZNS1_9scan_implILNS1_25lookback_scan_determinismE0ELb1ELb1ES3_N6thrust23THRUST_200600_302600_NS6detail15normal_iteratorINS9_10device_ptrIiEEEENSB_INSC_IfEEEEfNS9_4plusIvEEfEEDaPvRmT3_T4_T5_mT6_P12ihipStream_tbENKUlT_T0_E_clISt17integral_constantIbLb0EESV_IbLb1EEEEDaSR_SS_EUlSR_E_NS1_11comp_targetILNS1_3genE4ELNS1_11target_archE910ELNS1_3gpuE8ELNS1_3repE0EEENS1_30default_config_static_selectorELNS0_4arch9wavefront6targetE1EEEvT1_,@function
_ZN7rocprim17ROCPRIM_400000_NS6detail17trampoline_kernelINS0_14default_configENS1_20scan_config_selectorIfEEZZNS1_9scan_implILNS1_25lookback_scan_determinismE0ELb1ELb1ES3_N6thrust23THRUST_200600_302600_NS6detail15normal_iteratorINS9_10device_ptrIiEEEENSB_INSC_IfEEEEfNS9_4plusIvEEfEEDaPvRmT3_T4_T5_mT6_P12ihipStream_tbENKUlT_T0_E_clISt17integral_constantIbLb0EESV_IbLb1EEEEDaSR_SS_EUlSR_E_NS1_11comp_targetILNS1_3genE4ELNS1_11target_archE910ELNS1_3gpuE8ELNS1_3repE0EEENS1_30default_config_static_selectorELNS0_4arch9wavefront6targetE1EEEvT1_: ; @_ZN7rocprim17ROCPRIM_400000_NS6detail17trampoline_kernelINS0_14default_configENS1_20scan_config_selectorIfEEZZNS1_9scan_implILNS1_25lookback_scan_determinismE0ELb1ELb1ES3_N6thrust23THRUST_200600_302600_NS6detail15normal_iteratorINS9_10device_ptrIiEEEENSB_INSC_IfEEEEfNS9_4plusIvEEfEEDaPvRmT3_T4_T5_mT6_P12ihipStream_tbENKUlT_T0_E_clISt17integral_constantIbLb0EESV_IbLb1EEEEDaSR_SS_EUlSR_E_NS1_11comp_targetILNS1_3genE4ELNS1_11target_archE910ELNS1_3gpuE8ELNS1_3repE0EEENS1_30default_config_static_selectorELNS0_4arch9wavefront6targetE1EEEvT1_
; %bb.0:
	s_load_dword s37, s[4:5], 0x20
	s_load_dwordx2 s[14:15], s[4:5], 0x28
	v_cmp_ne_u32_e64 s[2:3], 0, v0
	v_cmp_eq_u32_e64 s[0:1], 0, v0
	s_and_saveexec_b64 s[6:7], s[0:1]
	s_cbranch_execz .LBB1770_4
; %bb.1:
	s_mov_b64 s[10:11], exec
	v_mbcnt_lo_u32_b32 v1, s10, 0
	v_mbcnt_hi_u32_b32 v1, s11, v1
	v_cmp_eq_u32_e32 vcc, 0, v1
                                        ; implicit-def: $vgpr2
	s_and_saveexec_b64 s[8:9], vcc
	s_cbranch_execz .LBB1770_3
; %bb.2:
	s_load_dwordx2 s[12:13], s[4:5], 0x58
	s_bcnt1_i32_b64 s10, s[10:11]
	v_mov_b32_e32 v2, 0
	v_mov_b32_e32 v3, s10
	s_waitcnt lgkmcnt(0)
	global_atomic_add v2, v2, v3, s[12:13] glc
.LBB1770_3:
	s_or_b64 exec, exec, s[8:9]
	s_waitcnt vmcnt(0)
	v_readfirstlane_b32 s8, v2
	v_add_u32_e32 v1, s8, v1
	v_mov_b32_e32 v2, 0
	ds_write_b32 v2, v1
.LBB1770_4:
	s_or_b64 exec, exec, s[6:7]
	s_load_dwordx8 s[24:31], s[4:5], 0x0
	s_load_dword s6, s[4:5], 0x30
	s_load_dwordx8 s[16:23], s[4:5], 0x38
	v_mov_b32_e32 v1, 0
	s_waitcnt lgkmcnt(0)
	s_barrier
	ds_read_b32 v1, v1
	s_lshl_b64 s[26:27], s[26:27], 2
	s_add_u32 s38, s24, s26
	s_addc_u32 s39, s25, s27
	s_add_i32 s6, s6, -1
	s_mul_i32 s7, s6, 0x700
	s_sub_u32 s33, s30, s7
	s_waitcnt lgkmcnt(0)
	v_readfirstlane_b32 s40, v1
	s_subb_u32 s36, s31, 0
	s_mul_i32 s4, s40, 0x700
	s_mov_b32 s5, 0
	s_cmp_lg_u32 s40, s6
	s_cselect_b64 s[24:25], -1, 0
	s_lshl_b64 s[30:31], s[4:5], 2
	s_add_u32 s6, s38, s30
	s_addc_u32 s7, s39, s31
	s_mov_b64 s[4:5], -1
	s_and_b64 vcc, exec, s[24:25]
	v_lshlrev_b32_e32 v32, 2, v0
	s_barrier
	s_cbranch_vccz .LBB1770_6
; %bb.5:
	v_mov_b32_e32 v1, s7
	v_add_co_u32_e32 v2, vcc, s6, v32
	v_addc_co_u32_e32 v3, vcc, 0, v1, vcc
	s_movk_i32 s4, 0x1000
	flat_load_dword v1, v[2:3]
	flat_load_dword v4, v[2:3] offset:512
	flat_load_dword v5, v[2:3] offset:1024
	;; [unrolled: 1-line block ×7, first 2 shown]
	v_add_co_u32_e32 v2, vcc, s4, v2
	v_addc_co_u32_e32 v3, vcc, 0, v3, vcc
	flat_load_dword v11, v[2:3]
	flat_load_dword v12, v[2:3] offset:512
	flat_load_dword v13, v[2:3] offset:1024
	flat_load_dword v14, v[2:3] offset:1536
	flat_load_dword v15, v[2:3] offset:2048
	flat_load_dword v16, v[2:3] offset:2560
	s_mov_b64 s[4:5], 0
	s_waitcnt vmcnt(0) lgkmcnt(0)
	v_cvt_f32_i32_e32 v1, v1
	v_cvt_f32_i32_e32 v2, v4
	;; [unrolled: 1-line block ×14, first 2 shown]
	ds_write2st64_b32 v32, v1, v2 offset1:2
	ds_write2st64_b32 v32, v3, v4 offset0:4 offset1:6
	ds_write2st64_b32 v32, v5, v6 offset0:8 offset1:10
	;; [unrolled: 1-line block ×6, first 2 shown]
	s_waitcnt lgkmcnt(0)
	s_barrier
.LBB1770_6:
	s_andn2_b64 vcc, exec, s[4:5]
	v_cmp_gt_u32_e64 s[4:5], s33, v0
	s_cbranch_vccnz .LBB1770_36
; %bb.7:
	v_pk_mov_b32 v[2:3], s[6:7], s[6:7] op_sel:[0,1]
	flat_load_dword v1, v[2:3]
	s_waitcnt vmcnt(0) lgkmcnt(0)
	v_cvt_f32_i32_e32 v1, v1
	v_mov_b32_e32 v2, v1
	v_mov_b32_e32 v3, v1
	;; [unrolled: 1-line block ×12, first 2 shown]
	v_pk_mov_b32 v[16:17], v[14:15], v[14:15] op_sel:[0,1]
	v_pk_mov_b32 v[14:15], v[12:13], v[12:13] op_sel:[0,1]
	;; [unrolled: 1-line block ×8, first 2 shown]
	s_and_saveexec_b64 s[8:9], s[4:5]
	s_cbranch_execz .LBB1770_9
; %bb.8:
	v_mov_b32_e32 v3, s7
	v_add_co_u32_e32 v2, vcc, s6, v32
	v_addc_co_u32_e32 v3, vcc, 0, v3, vcc
	flat_load_dword v11, v[2:3]
	v_mov_b32_e32 v2, v1
	v_mov_b32_e32 v3, v1
	v_mov_b32_e32 v4, v1
	v_mov_b32_e32 v5, v1
	v_mov_b32_e32 v6, v1
	v_mov_b32_e32 v7, v1
	v_mov_b32_e32 v8, v1
	v_mov_b32_e32 v9, v1
	v_mov_b32_e32 v10, v1
	v_mov_b32_e32 v12, v1
	v_mov_b32_e32 v13, v1
	s_waitcnt vmcnt(0) lgkmcnt(0)
	v_cvt_f32_i32_e32 v18, v11
	v_mov_b32_e32 v11, v1
	v_pk_mov_b32 v[16:17], v[14:15], v[14:15] op_sel:[0,1]
	v_pk_mov_b32 v[14:15], v[12:13], v[12:13] op_sel:[0,1]
	;; [unrolled: 1-line block ×8, first 2 shown]
	v_mov_b32_e32 v1, v18
.LBB1770_9:
	s_or_b64 exec, exec, s[8:9]
	v_or_b32_e32 v2, 0x80, v0
	v_cmp_gt_u32_e32 vcc, s33, v2
	s_and_saveexec_b64 s[4:5], vcc
	s_cbranch_execz .LBB1770_11
; %bb.10:
	v_mov_b32_e32 v3, s7
	v_add_co_u32_e32 v2, vcc, s6, v32
	v_addc_co_u32_e32 v3, vcc, 0, v3, vcc
	flat_load_dword v2, v[2:3] offset:512
	s_waitcnt vmcnt(0) lgkmcnt(0)
	v_cvt_f32_i32_e32 v3, v2
.LBB1770_11:
	s_or_b64 exec, exec, s[4:5]
	v_or_b32_e32 v2, 0x100, v0
	v_cmp_gt_u32_e32 vcc, s33, v2
	s_and_saveexec_b64 s[4:5], vcc
	s_cbranch_execz .LBB1770_13
; %bb.12:
	v_mov_b32_e32 v2, s7
	v_add_co_u32_e32 v16, vcc, s6, v32
	v_addc_co_u32_e32 v17, vcc, 0, v2, vcc
	flat_load_dword v2, v[16:17] offset:1024
	s_waitcnt vmcnt(0) lgkmcnt(0)
	v_cvt_f32_i32_e32 v4, v2
.LBB1770_13:
	;; [unrolled: 13-line block ×7, first 2 shown]
	s_or_b64 exec, exec, s[4:5]
	v_or_b32_e32 v2, 0x400, v0
	v_cmp_gt_u32_e32 vcc, s33, v2
	s_and_saveexec_b64 s[4:5], vcc
	s_cbranch_execz .LBB1770_25
; %bb.24:
	v_lshlrev_b32_e32 v2, 2, v2
	v_mov_b32_e32 v10, s7
	v_add_co_u32_e32 v16, vcc, s6, v2
	v_addc_co_u32_e32 v17, vcc, 0, v10, vcc
	flat_load_dword v2, v[16:17]
	s_waitcnt vmcnt(0) lgkmcnt(0)
	v_cvt_f32_i32_e32 v10, v2
.LBB1770_25:
	s_or_b64 exec, exec, s[4:5]
	v_or_b32_e32 v2, 0x480, v0
	v_cmp_gt_u32_e32 vcc, s33, v2
	s_and_saveexec_b64 s[4:5], vcc
	s_cbranch_execz .LBB1770_27
; %bb.26:
	v_lshlrev_b32_e32 v2, 2, v2
	v_mov_b32_e32 v11, s7
	v_add_co_u32_e32 v16, vcc, s6, v2
	v_addc_co_u32_e32 v17, vcc, 0, v11, vcc
	flat_load_dword v2, v[16:17]
	s_waitcnt vmcnt(0) lgkmcnt(0)
	v_cvt_f32_i32_e32 v11, v2
.LBB1770_27:
	;; [unrolled: 14-line block ×6, first 2 shown]
	s_or_b64 exec, exec, s[4:5]
	ds_write2st64_b32 v32, v1, v3 offset1:2
	ds_write2st64_b32 v32, v4, v5 offset0:4 offset1:6
	ds_write2st64_b32 v32, v6, v7 offset0:8 offset1:10
	;; [unrolled: 1-line block ×6, first 2 shown]
	s_waitcnt lgkmcnt(0)
	s_barrier
.LBB1770_36:
	v_mul_u32_u24_e32 v33, 14, v0
	v_lshlrev_b32_e32 v34, 2, v33
	ds_read2_b64 v[26:29], v34 offset1:1
	ds_read2_b64 v[22:25], v34 offset0:2 offset1:3
	ds_read2_b64 v[18:21], v34 offset0:4 offset1:5
	ds_read_b64 v[30:31], v34 offset:48
	s_cmp_lg_u32 s40, 0
	s_waitcnt lgkmcnt(3)
	v_add_f32_e32 v35, v26, v27
	v_lshrrev_b32_e32 v1, 5, v0
	v_cmp_gt_u32_e32 vcc, 64, v0
	s_waitcnt lgkmcnt(0)
	s_barrier
	s_cbranch_scc0 .LBB1770_61
; %bb.37:
	v_add_f32_e32 v2, v28, v35
	v_add_f32_e32 v2, v29, v2
	;; [unrolled: 1-line block ×12, first 2 shown]
	v_add_lshl_u32 v2, v1, v0, 2
	ds_write_b32 v2, v12
	s_waitcnt lgkmcnt(0)
	s_barrier
	s_and_saveexec_b64 s[10:11], vcc
	s_cbranch_execz .LBB1770_39
; %bb.38:
	v_lshlrev_b32_e32 v2, 1, v0
	v_lshrrev_b32_e32 v3, 4, v0
	v_add_lshl_u32 v4, v3, v2, 2
	ds_read2_b32 v[2:3], v4 offset1:1
	v_mbcnt_lo_u32_b32 v5, -1, 0
	v_mbcnt_hi_u32_b32 v5, -1, v5
	v_and_b32_e32 v6, 15, v5
	v_cmp_eq_u32_e64 s[4:5], 0, v6
	s_waitcnt lgkmcnt(0)
	v_add_f32_e32 v3, v2, v3
	v_cmp_lt_u32_e64 s[6:7], 3, v6
	v_cmp_lt_u32_e64 s[8:9], 31, v5
	v_mov_b32_dpp v7, v3 row_shr:1 row_mask:0xf bank_mask:0xf
	v_add_f32_e32 v7, v3, v7
	v_cndmask_b32_e64 v3, v7, v3, s[4:5]
	v_cmp_lt_u32_e64 s[4:5], 1, v6
	s_nop 0
	v_mov_b32_dpp v7, v3 row_shr:2 row_mask:0xf bank_mask:0xf
	v_add_f32_e32 v7, v3, v7
	v_cndmask_b32_e64 v7, v3, v7, s[4:5]
	; wave barrier
	s_nop 1
	v_mov_b32_dpp v8, v7 row_shr:4 row_mask:0xf bank_mask:0xf
	v_add_f32_e32 v8, v7, v8
	v_cndmask_b32_e64 v7, v7, v8, s[6:7]
	v_cmp_lt_u32_e64 s[6:7], 7, v6
	s_nop 0
	v_mov_b32_dpp v8, v7 row_shr:8 row_mask:0xf bank_mask:0xf
	v_add_f32_e32 v8, v7, v8
	v_cndmask_b32_e64 v6, v7, v8, s[6:7]
	v_and_b32_e32 v8, 16, v5
	v_cmp_eq_u32_e64 s[6:7], 0, v8
	v_mov_b32_dpp v7, v6 row_bcast:15 row_mask:0xf bank_mask:0xf
	v_add_f32_e32 v7, v6, v7
	v_cndmask_b32_e64 v6, v7, v6, s[6:7]
	v_cmp_lt_u32_e64 s[6:7], 15, v5
	s_or_b64 s[4:5], s[6:7], s[4:5]
	v_mov_b32_dpp v7, v6 row_bcast:31 row_mask:0xf bank_mask:0xf
	v_add_f32_e32 v7, v6, v7
	v_cndmask_b32_e64 v6, v6, v7, s[8:9]
	v_cndmask_b32_e64 v3, v3, v6, s[4:5]
	v_add_u32_e32 v6, -1, v5
	v_and_b32_e32 v7, 64, v5
	v_cmp_lt_i32_e64 s[4:5], v6, v7
	v_cndmask_b32_e64 v5, v6, v5, s[4:5]
	v_lshlrev_b32_e32 v5, 2, v5
	ds_bpermute_b32 v3, v5, v3
	s_waitcnt lgkmcnt(0)
	v_add_f32_e32 v2, v2, v3
	v_cndmask_b32_e64 v2, v2, v12, s[0:1]
	ds_write_b32 v4, v2
	; wave barrier
	ds_read_b32 v3, v4 offset:4
	s_waitcnt lgkmcnt(0)
	v_add_f32_e32 v2, v2, v3
	ds_write_b32 v4, v2 offset:4
.LBB1770_39:
	s_or_b64 exec, exec, s[10:11]
	s_waitcnt lgkmcnt(0)
	s_barrier
	s_and_saveexec_b64 s[4:5], s[2:3]
	s_cbranch_execz .LBB1770_41
; %bb.40:
	v_add_u32_e32 v2, -1, v0
	v_lshrrev_b32_e32 v3, 5, v2
	v_add_lshl_u32 v2, v3, v2, 2
	ds_read_b32 v12, v2
.LBB1770_41:
	s_or_b64 exec, exec, s[4:5]
	s_and_saveexec_b64 s[34:35], vcc
	s_cbranch_execz .LBB1770_60
; %bb.42:
	v_mov_b32_e32 v9, 0
	ds_read_b32 v2, v9 offset:520
	v_mbcnt_lo_u32_b32 v3, -1, 0
	v_mbcnt_hi_u32_b32 v5, -1, v3
	s_mov_b32 s9, 0
	v_cmp_eq_u32_e64 s[4:5], 0, v5
	s_and_saveexec_b64 s[6:7], s[4:5]
	s_cbranch_execz .LBB1770_44
; %bb.43:
	s_add_i32 s8, s40, 64
	s_lshl_b64 s[8:9], s[8:9], 3
	s_add_u32 s8, s14, s8
	v_mov_b32_e32 v3, 1
	s_addc_u32 s9, s15, s9
	s_waitcnt lgkmcnt(0)
	global_store_dwordx2 v9, v[2:3], s[8:9]
.LBB1770_44:
	s_or_b64 exec, exec, s[6:7]
	v_xad_u32 v4, v5, -1, s40
	v_add_u32_e32 v8, 64, v4
	v_lshlrev_b64 v[6:7], 3, v[8:9]
	v_mov_b32_e32 v3, s15
	v_add_co_u32_e32 v10, vcc, s14, v6
	v_addc_co_u32_e32 v11, vcc, v3, v7, vcc
	global_load_dwordx2 v[6:7], v[10:11], off glc
	s_waitcnt vmcnt(0)
	v_cmp_eq_u16_sdwa s[8:9], v7, v9 src0_sel:BYTE_0 src1_sel:DWORD
	s_and_saveexec_b64 s[6:7], s[8:9]
	s_cbranch_execz .LBB1770_48
; %bb.45:
	s_mov_b64 s[8:9], 0
	v_mov_b32_e32 v3, 0
.LBB1770_46:                            ; =>This Inner Loop Header: Depth=1
	global_load_dwordx2 v[6:7], v[10:11], off glc
	s_waitcnt vmcnt(0)
	v_cmp_ne_u16_sdwa s[10:11], v7, v3 src0_sel:BYTE_0 src1_sel:DWORD
	s_or_b64 s[8:9], s[10:11], s[8:9]
	s_andn2_b64 exec, exec, s[8:9]
	s_cbranch_execnz .LBB1770_46
; %bb.47:
	s_or_b64 exec, exec, s[8:9]
.LBB1770_48:
	s_or_b64 exec, exec, s[6:7]
	v_and_b32_e32 v13, 63, v5
	v_cmp_ne_u32_e32 vcc, 63, v13
	v_addc_co_u32_e32 v14, vcc, 0, v5, vcc
	v_mov_b32_e32 v3, 2
	v_lshlrev_b32_e32 v14, 2, v14
	v_cmp_eq_u16_sdwa s[6:7], v7, v3 src0_sel:BYTE_0 src1_sel:DWORD
	v_lshlrev_b64 v[8:9], v5, -1
	ds_bpermute_b32 v15, v14, v6
	v_and_b32_e32 v10, s7, v9
	v_or_b32_e32 v10, 0x80000000, v10
	v_and_b32_e32 v11, s6, v8
	v_ffbl_b32_e32 v10, v10
	v_add_u32_e32 v10, 32, v10
	v_ffbl_b32_e32 v11, v11
	v_cmp_gt_u32_e64 s[6:7], 62, v13
	v_min_u32_e32 v10, v11, v10
	s_waitcnt lgkmcnt(0)
	v_add_f32_e32 v11, v6, v15
	v_cndmask_b32_e64 v15, 0, 1, s[6:7]
	v_cmp_lt_u32_e32 vcc, v13, v10
	v_lshlrev_b32_e32 v15, 1, v15
	v_cndmask_b32_e32 v11, v6, v11, vcc
	v_add_lshl_u32 v15, v15, v5, 2
	ds_bpermute_b32 v17, v15, v11
	v_add_u32_e32 v16, 2, v13
	v_cmp_gt_u32_e64 s[6:7], v16, v10
	v_cmp_gt_u32_e64 s[8:9], 56, v13
	v_add_u32_e32 v36, 4, v13
	s_waitcnt lgkmcnt(0)
	v_add_f32_e32 v17, v11, v17
	v_cndmask_b32_e64 v11, v17, v11, s[6:7]
	v_cmp_gt_u32_e64 s[6:7], 60, v13
	v_cndmask_b32_e64 v17, 0, 1, s[6:7]
	v_lshlrev_b32_e32 v17, 2, v17
	v_add_lshl_u32 v17, v17, v5, 2
	ds_bpermute_b32 v37, v17, v11
	v_cmp_gt_u32_e64 s[6:7], v36, v10
	v_add_u32_e32 v38, 8, v13
	v_cmp_gt_u32_e64 s[10:11], 48, v13
	v_cmp_gt_u32_e64 s[12:13], 32, v13
	s_waitcnt lgkmcnt(0)
	v_add_f32_e32 v41, v11, v37
	v_cndmask_b32_e64 v37, 0, 1, s[8:9]
	v_lshlrev_b32_e32 v37, 3, v37
	v_cndmask_b32_e64 v39, v41, v11, s[6:7]
	v_add_lshl_u32 v37, v37, v5, 2
	ds_bpermute_b32 v40, v37, v39
	v_cmp_gt_u32_e64 s[8:9], v38, v10
	v_cndmask_b32_e32 v6, v6, v11, vcc
	v_cndmask_b32_e64 v6, v41, v6, s[6:7]
	s_waitcnt lgkmcnt(0)
	v_add_f32_e32 v44, v39, v40
	v_cndmask_b32_e64 v42, v44, v39, s[8:9]
	v_cndmask_b32_e64 v39, 0, 1, s[10:11]
	v_lshlrev_b32_e32 v39, 4, v39
	v_add_lshl_u32 v39, v39, v5, 2
	ds_bpermute_b32 v43, v39, v42
	v_add_u32_e32 v40, 16, v13
	v_cmp_gt_u32_e64 s[10:11], v40, v10
	v_cndmask_b32_e64 v6, v44, v6, s[8:9]
	s_waitcnt lgkmcnt(0)
	v_add_f32_e32 v45, v42, v43
	v_cndmask_b32_e64 v46, v45, v42, s[10:11]
	v_cndmask_b32_e64 v42, 0, 1, s[12:13]
	v_lshlrev_b32_e32 v42, 5, v42
	v_add_lshl_u32 v42, v42, v5, 2
	ds_bpermute_b32 v5, v42, v46
	v_add_u32_e32 v43, 32, v13
	v_cndmask_b32_e64 v6, v45, v6, s[10:11]
	v_cmp_gt_u32_e32 vcc, v43, v10
	s_waitcnt lgkmcnt(0)
	v_add_f32_e32 v5, v46, v5
	v_cndmask_b32_e32 v6, v5, v6, vcc
	v_mov_b32_e32 v5, 0
	s_branch .LBB1770_50
.LBB1770_49:                            ;   in Loop: Header=BB1770_50 Depth=1
	s_or_b64 exec, exec, s[6:7]
	v_cmp_eq_u16_sdwa s[6:7], v7, v3 src0_sel:BYTE_0 src1_sel:DWORD
	v_and_b32_e32 v10, s7, v9
	ds_bpermute_b32 v44, v14, v6
	v_or_b32_e32 v10, 0x80000000, v10
	v_and_b32_e32 v11, s6, v8
	v_ffbl_b32_e32 v10, v10
	v_add_u32_e32 v10, 32, v10
	v_ffbl_b32_e32 v11, v11
	v_min_u32_e32 v10, v11, v10
	s_waitcnt lgkmcnt(0)
	v_add_f32_e32 v11, v6, v44
	v_cmp_lt_u32_e32 vcc, v13, v10
	v_cndmask_b32_e32 v11, v6, v11, vcc
	ds_bpermute_b32 v44, v15, v11
	v_cmp_gt_u32_e64 s[6:7], v16, v10
	v_cmp_gt_u32_e64 s[8:9], v38, v10
	;; [unrolled: 1-line block ×3, first 2 shown]
	v_subrev_u32_e32 v4, 64, v4
	s_waitcnt lgkmcnt(0)
	v_add_f32_e32 v44, v11, v44
	v_cndmask_b32_e64 v11, v44, v11, s[6:7]
	ds_bpermute_b32 v44, v17, v11
	v_cmp_gt_u32_e64 s[6:7], v36, v10
	v_cndmask_b32_e32 v6, v6, v11, vcc
	v_cmp_gt_u32_e32 vcc, v43, v10
	s_waitcnt lgkmcnt(0)
	v_add_f32_e32 v44, v11, v44
	v_cndmask_b32_e64 v45, v44, v11, s[6:7]
	ds_bpermute_b32 v46, v37, v45
	v_cndmask_b32_e64 v6, v44, v6, s[6:7]
	s_waitcnt lgkmcnt(0)
	v_add_f32_e32 v46, v45, v46
	v_cndmask_b32_e64 v45, v46, v45, s[8:9]
	ds_bpermute_b32 v47, v39, v45
	v_cndmask_b32_e64 v6, v46, v6, s[8:9]
	s_waitcnt lgkmcnt(0)
	v_add_f32_e32 v47, v45, v47
	v_cndmask_b32_e64 v45, v47, v45, s[10:11]
	ds_bpermute_b32 v48, v42, v45
	v_cndmask_b32_e64 v6, v47, v6, s[10:11]
	s_waitcnt lgkmcnt(0)
	v_add_f32_e32 v11, v45, v48
	v_cndmask_b32_e32 v6, v11, v6, vcc
	v_add_f32_e32 v6, v41, v6
.LBB1770_50:                            ; =>This Loop Header: Depth=1
                                        ;     Child Loop BB1770_53 Depth 2
	v_cmp_ne_u16_sdwa s[6:7], v7, v3 src0_sel:BYTE_0 src1_sel:DWORD
	v_cndmask_b32_e64 v7, 0, 1, s[6:7]
	;;#ASMSTART
	;;#ASMEND
	v_cmp_ne_u32_e32 vcc, 0, v7
	s_cmp_lg_u64 vcc, exec
	v_mov_b32_e32 v41, v6
	s_cbranch_scc1 .LBB1770_55
; %bb.51:                               ;   in Loop: Header=BB1770_50 Depth=1
	v_lshlrev_b64 v[6:7], 3, v[4:5]
	v_mov_b32_e32 v11, s15
	v_add_co_u32_e32 v10, vcc, s14, v6
	v_addc_co_u32_e32 v11, vcc, v11, v7, vcc
	global_load_dwordx2 v[6:7], v[10:11], off glc
	s_waitcnt vmcnt(0)
	v_cmp_eq_u16_sdwa s[8:9], v7, v5 src0_sel:BYTE_0 src1_sel:DWORD
	s_and_saveexec_b64 s[6:7], s[8:9]
	s_cbranch_execz .LBB1770_49
; %bb.52:                               ;   in Loop: Header=BB1770_50 Depth=1
	s_mov_b64 s[8:9], 0
.LBB1770_53:                            ;   Parent Loop BB1770_50 Depth=1
                                        ; =>  This Inner Loop Header: Depth=2
	global_load_dwordx2 v[6:7], v[10:11], off glc
	s_waitcnt vmcnt(0)
	v_cmp_ne_u16_sdwa s[10:11], v7, v5 src0_sel:BYTE_0 src1_sel:DWORD
	s_or_b64 s[8:9], s[10:11], s[8:9]
	s_andn2_b64 exec, exec, s[8:9]
	s_cbranch_execnz .LBB1770_53
; %bb.54:                               ;   in Loop: Header=BB1770_50 Depth=1
	s_or_b64 exec, exec, s[8:9]
	s_branch .LBB1770_49
.LBB1770_55:                            ;   in Loop: Header=BB1770_50 Depth=1
                                        ; implicit-def: $vgpr6
                                        ; implicit-def: $vgpr7
	s_cbranch_execz .LBB1770_50
; %bb.56:
	s_and_saveexec_b64 s[6:7], s[4:5]
	s_cbranch_execz .LBB1770_58
; %bb.57:
	s_add_i32 s4, s40, 64
	s_mov_b32 s5, 0
	s_lshl_b64 s[4:5], s[4:5], 3
	s_add_u32 s4, s14, s4
	v_add_f32_e32 v2, v2, v41
	v_mov_b32_e32 v3, 2
	s_addc_u32 s5, s15, s5
	v_mov_b32_e32 v4, 0
	global_store_dwordx2 v4, v[2:3], s[4:5]
.LBB1770_58:
	s_or_b64 exec, exec, s[6:7]
	s_and_b64 exec, exec, s[0:1]
	s_cbranch_execz .LBB1770_60
; %bb.59:
	v_mov_b32_e32 v2, 0
	ds_write_b32 v2, v41
.LBB1770_60:
	s_or_b64 exec, exec, s[34:35]
	v_mov_b32_e32 v2, 0
	s_waitcnt lgkmcnt(0)
	s_barrier
	ds_read_b32 v2, v2
	s_waitcnt lgkmcnt(0)
	v_add_f32_e32 v3, v12, v2
	v_cndmask_b32_e64 v2, v3, v2, s[0:1]
	v_add_f32_e32 v3, v26, v2
	v_add_f32_e32 v4, v27, v3
	;; [unrolled: 1-line block ×13, first 2 shown]
	s_branch .LBB1770_71
.LBB1770_61:
                                        ; implicit-def: $vgpr2_vgpr3_vgpr4_vgpr5_vgpr6_vgpr7_vgpr8_vgpr9_vgpr10_vgpr11_vgpr12_vgpr13_vgpr14_vgpr15_vgpr16_vgpr17
	s_cbranch_execz .LBB1770_71
; %bb.62:
	s_cmp_eq_u64 s[20:21], 0
	v_mov_b32_e32 v16, s37
	s_cbranch_scc1 .LBB1770_64
; %bb.63:
	v_mov_b32_e32 v3, s39
	v_add_co_u32_e64 v2, vcc, -4, s38
	v_addc_co_u32_e32 v3, vcc, -1, v3, vcc
	flat_load_dword v2, v[2:3]
	v_mov_b32_e32 v3, 0
	global_load_dword v3, v3, s[16:17]
	s_waitcnt vmcnt(0) lgkmcnt(0)
	v_cvt_f32_i32_e32 v2, v2
	v_add_f32_e32 v16, v3, v2
.LBB1770_64:
	v_add_f32_e32 v2, v28, v35
	v_add_f32_e32 v2, v29, v2
	;; [unrolled: 1-line block ×12, first 2 shown]
	v_add_lshl_u32 v1, v1, v0, 2
	v_cmp_gt_u32_e32 vcc, 64, v0
	ds_write_b32 v1, v2
	s_waitcnt lgkmcnt(0)
	s_barrier
	s_and_saveexec_b64 s[8:9], vcc
	s_cbranch_execz .LBB1770_66
; %bb.65:
	v_lshlrev_b32_e32 v1, 1, v0
	v_lshrrev_b32_e32 v3, 4, v0
	v_add_lshl_u32 v1, v3, v1, 2
	ds_read2_b32 v[4:5], v1 offset1:1
	v_mbcnt_lo_u32_b32 v3, -1, 0
	v_mbcnt_hi_u32_b32 v3, -1, v3
	v_and_b32_e32 v6, 15, v3
	v_cmp_eq_u32_e32 vcc, 0, v6
	s_waitcnt lgkmcnt(0)
	v_add_f32_e32 v5, v4, v5
	v_cmp_lt_u32_e64 s[4:5], 3, v6
	v_cmp_lt_u32_e64 s[6:7], 31, v3
	v_mov_b32_dpp v7, v5 row_shr:1 row_mask:0xf bank_mask:0xf
	v_add_f32_e32 v7, v5, v7
	v_cndmask_b32_e32 v5, v7, v5, vcc
	v_cmp_lt_u32_e32 vcc, 1, v6
	s_nop 0
	v_mov_b32_dpp v7, v5 row_shr:2 row_mask:0xf bank_mask:0xf
	v_add_f32_e32 v7, v5, v7
	v_cndmask_b32_e32 v7, v5, v7, vcc
	; wave barrier
	s_nop 1
	v_mov_b32_dpp v8, v7 row_shr:4 row_mask:0xf bank_mask:0xf
	v_add_f32_e32 v8, v7, v8
	v_cndmask_b32_e64 v7, v7, v8, s[4:5]
	v_cmp_lt_u32_e64 s[4:5], 7, v6
	s_nop 0
	v_mov_b32_dpp v8, v7 row_shr:8 row_mask:0xf bank_mask:0xf
	v_add_f32_e32 v8, v7, v8
	v_cndmask_b32_e64 v6, v7, v8, s[4:5]
	v_and_b32_e32 v8, 16, v3
	v_cmp_eq_u32_e64 s[4:5], 0, v8
	v_mov_b32_dpp v7, v6 row_bcast:15 row_mask:0xf bank_mask:0xf
	v_add_f32_e32 v7, v6, v7
	v_cndmask_b32_e64 v6, v7, v6, s[4:5]
	v_cmp_lt_u32_e64 s[4:5], 15, v3
	s_or_b64 vcc, s[4:5], vcc
	v_mov_b32_dpp v7, v6 row_bcast:31 row_mask:0xf bank_mask:0xf
	v_add_f32_e32 v7, v6, v7
	v_cndmask_b32_e64 v6, v6, v7, s[6:7]
	v_cndmask_b32_e32 v5, v5, v6, vcc
	v_add_u32_e32 v6, -1, v3
	v_and_b32_e32 v7, 64, v3
	v_cmp_lt_i32_e32 vcc, v6, v7
	v_cndmask_b32_e32 v3, v6, v3, vcc
	v_lshlrev_b32_e32 v3, 2, v3
	ds_bpermute_b32 v3, v3, v5
	s_waitcnt lgkmcnt(0)
	v_add_f32_e32 v3, v4, v3
	v_cndmask_b32_e64 v2, v3, v2, s[0:1]
	ds_write_b32 v1, v2
	; wave barrier
	ds_read_b32 v3, v1 offset:4
	s_waitcnt lgkmcnt(0)
	v_add_f32_e32 v2, v2, v3
	ds_write_b32 v1, v2 offset:4
.LBB1770_66:
	s_or_b64 exec, exec, s[8:9]
	v_mov_b32_e32 v2, v16
	s_waitcnt lgkmcnt(0)
	s_barrier
	s_and_saveexec_b64 s[4:5], s[2:3]
	s_cbranch_execz .LBB1770_68
; %bb.67:
	v_add_u32_e32 v1, -1, v0
	v_lshrrev_b32_e32 v2, 5, v1
	v_add_lshl_u32 v1, v2, v1, 2
	ds_read_b32 v1, v1
	s_waitcnt lgkmcnt(0)
	v_add_f32_e32 v2, v16, v1
.LBB1770_68:
	s_or_b64 exec, exec, s[4:5]
	v_add_f32_e32 v3, v26, v2
	v_add_f32_e32 v4, v27, v3
	;; [unrolled: 1-line block ×13, first 2 shown]
	s_and_saveexec_b64 s[2:3], s[0:1]
	s_cbranch_execz .LBB1770_70
; %bb.69:
	v_mov_b32_e32 v1, 0
	ds_read_b32 v17, v1 offset:520
	s_waitcnt lgkmcnt(0)
	v_add_f32_e32 v16, v16, v17
	v_mov_b32_e32 v17, 2
	global_store_dwordx2 v1, v[16:17], s[14:15] offset:512
.LBB1770_70:
	s_or_b64 exec, exec, s[2:3]
.LBB1770_71:
	s_add_u32 s0, s28, s26
	s_addc_u32 s1, s29, s27
	s_add_u32 s2, s0, s30
	s_addc_u32 s3, s1, s31
	s_mov_b64 s[0:1], -1
	s_and_b64 vcc, exec, s[24:25]
	s_barrier
	s_cbranch_vccz .LBB1770_73
; %bb.72:
	ds_write2_b64 v34, v[2:3], v[4:5] offset1:1
	ds_write2_b64 v34, v[6:7], v[8:9] offset0:2 offset1:3
	ds_write2_b64 v34, v[10:11], v[12:13] offset0:4 offset1:5
	ds_write_b64 v34, v[14:15] offset:48
	s_waitcnt lgkmcnt(0)
	s_barrier
	ds_read2st64_b32 v[16:17], v32 offset1:2
	ds_read2st64_b32 v[18:19], v32 offset0:4 offset1:6
	ds_read2st64_b32 v[20:21], v32 offset0:8 offset1:10
	;; [unrolled: 1-line block ×6, first 2 shown]
	v_mov_b32_e32 v1, s3
	v_add_co_u32_e32 v30, vcc, s2, v32
	v_addc_co_u32_e32 v31, vcc, 0, v1, vcc
	s_waitcnt lgkmcnt(6)
	flat_store_dword v[30:31], v16
	flat_store_dword v[30:31], v17 offset:512
	s_waitcnt lgkmcnt(0)
	flat_store_dword v[30:31], v18 offset:1024
	flat_store_dword v[30:31], v19 offset:1536
	;; [unrolled: 1-line block ×6, first 2 shown]
	v_add_co_u32_e32 v16, vcc, 0x1000, v30
	v_addc_co_u32_e32 v17, vcc, 0, v31, vcc
	flat_store_dword v[16:17], v24
	flat_store_dword v[16:17], v25 offset:512
	flat_store_dword v[16:17], v26 offset:1024
	;; [unrolled: 1-line block ×5, first 2 shown]
	s_mov_b64 s[0:1], 0
.LBB1770_73:
	s_andn2_b64 vcc, exec, s[0:1]
	s_cbranch_vccnz .LBB1770_153
; %bb.74:
	s_movk_i32 s0, 0xffcc
	ds_write2_b64 v34, v[2:3], v[4:5] offset1:1
	ds_write2_b64 v34, v[6:7], v[8:9] offset0:2 offset1:3
	ds_write2_b64 v34, v[10:11], v[12:13] offset0:4 offset1:5
	ds_write_b64 v34, v[14:15] offset:48
	v_mad_i32_i24 v14, v0, s0, v34
	s_waitcnt lgkmcnt(0)
	s_barrier
	ds_read2st64_b32 v[4:5], v14 offset1:2
	ds_read2st64_b32 v[6:7], v14 offset0:4 offset1:6
	ds_read2st64_b32 v[8:9], v14 offset0:8 offset1:10
	ds_read2st64_b32 v[2:3], v14 offset0:12 offset1:14
	ds_read2st64_b32 v[12:13], v14 offset0:16 offset1:18
	ds_read2st64_b32 v[10:11], v14 offset0:20 offset1:22
	ds_read2st64_b32 v[14:15], v14 offset0:24 offset1:26
	v_mov_b32_e32 v17, s3
	v_add_co_u32_e32 v16, vcc, s2, v32
	v_addc_co_u32_e32 v17, vcc, 0, v17, vcc
	v_mov_b32_e32 v1, 0
	v_cmp_gt_u32_e32 vcc, s33, v0
	s_and_saveexec_b64 s[0:1], vcc
	s_cbranch_execz .LBB1770_76
; %bb.75:
	s_waitcnt lgkmcnt(0)
	flat_store_dword v[16:17], v4
.LBB1770_76:
	s_or_b64 exec, exec, s[0:1]
	v_or_b32_e32 v18, 0x80, v0
	v_cmp_gt_u32_e32 vcc, s33, v18
	s_and_saveexec_b64 s[0:1], vcc
	s_cbranch_execz .LBB1770_78
; %bb.77:
	s_waitcnt lgkmcnt(0)
	flat_store_dword v[16:17], v5 offset:512
.LBB1770_78:
	s_or_b64 exec, exec, s[0:1]
	v_or_b32_e32 v18, 0x100, v0
	v_cmp_gt_u32_e32 vcc, s33, v18
	s_and_saveexec_b64 s[0:1], vcc
	s_cbranch_execz .LBB1770_80
; %bb.79:
	s_waitcnt lgkmcnt(0)
	flat_store_dword v[16:17], v6 offset:1024
.LBB1770_80:
	;; [unrolled: 9-line block ×7, first 2 shown]
	s_or_b64 exec, exec, s[0:1]
	v_or_b32_e32 v18, 0x400, v0
	v_cmp_gt_u32_e32 vcc, s33, v18
	s_and_saveexec_b64 s[0:1], vcc
	s_cbranch_execz .LBB1770_92
; %bb.91:
	v_add_co_u32_e32 v18, vcc, 0x1000, v16
	v_addc_co_u32_e32 v19, vcc, 0, v17, vcc
	s_waitcnt lgkmcnt(0)
	flat_store_dword v[18:19], v12
.LBB1770_92:
	s_or_b64 exec, exec, s[0:1]
	v_or_b32_e32 v18, 0x480, v0
	v_cmp_gt_u32_e32 vcc, s33, v18
	s_and_saveexec_b64 s[0:1], vcc
	s_cbranch_execz .LBB1770_94
; %bb.93:
	v_add_co_u32_e32 v18, vcc, 0x1000, v16
	v_addc_co_u32_e32 v19, vcc, 0, v17, vcc
	s_waitcnt lgkmcnt(0)
	flat_store_dword v[18:19], v13 offset:512
.LBB1770_94:
	s_or_b64 exec, exec, s[0:1]
	v_or_b32_e32 v18, 0x500, v0
	v_cmp_gt_u32_e32 vcc, s33, v18
	s_and_saveexec_b64 s[0:1], vcc
	s_cbranch_execz .LBB1770_96
; %bb.95:
	v_add_co_u32_e32 v18, vcc, 0x1000, v16
	v_addc_co_u32_e32 v19, vcc, 0, v17, vcc
	s_waitcnt lgkmcnt(0)
	flat_store_dword v[18:19], v10 offset:1024
.LBB1770_96:
	;; [unrolled: 11-line block ×5, first 2 shown]
	s_or_b64 exec, exec, s[0:1]
	v_cmp_lt_u64_e64 s[0:1], s[22:23], 2
	s_and_b64 vcc, exec, s[0:1]
	s_cbranch_vccnz .LBB1770_153
; %bb.103:
	s_add_u32 s0, s33, -1
	s_addc_u32 s1, s36, -1
	s_add_u32 s2, 0, 0x49240800
	s_addc_u32 s3, 0, 50
	s_add_i32 s3, s3, 0x12492460
	s_mul_hi_u32 s7, s2, -14
	s_sub_i32 s7, s7, s2
	s_mul_i32 s8, s3, -14
	s_mul_i32 s4, s2, -14
	s_add_i32 s7, s7, s8
	s_mul_hi_u32 s5, s3, s4
	s_mul_i32 s6, s3, s4
	s_mul_i32 s9, s2, s7
	s_mul_hi_u32 s4, s2, s4
	s_mul_hi_u32 s8, s2, s7
	s_add_u32 s4, s4, s9
	s_addc_u32 s8, 0, s8
	s_add_u32 s4, s4, s6
	s_mul_hi_u32 s9, s3, s7
	s_addc_u32 s4, s8, s5
	s_addc_u32 s5, s9, 0
	s_mul_i32 s6, s3, s7
	s_add_u32 s4, s4, s6
	v_mov_b32_e32 v16, s4
	s_addc_u32 s5, 0, s5
	v_add_co_u32_e32 v16, vcc, s2, v16
	s_cmp_lg_u64 vcc, 0
	s_addc_u32 s2, s3, s5
	v_readfirstlane_b32 s5, v16
	s_mul_i32 s4, s0, s2
	s_mul_hi_u32 s6, s0, s5
	s_mul_hi_u32 s3, s0, s2
	s_add_u32 s4, s6, s4
	s_addc_u32 s3, 0, s3
	s_mul_hi_u32 s7, s1, s5
	s_mul_i32 s5, s1, s5
	s_add_u32 s4, s4, s5
	s_mul_hi_u32 s6, s1, s2
	s_addc_u32 s3, s3, s7
	s_addc_u32 s4, s6, 0
	s_mul_i32 s2, s1, s2
	s_add_u32 s2, s3, s2
	s_addc_u32 s3, 0, s4
	s_add_u32 s4, s2, 1
	s_addc_u32 s5, s3, 0
	s_add_u32 s6, s2, 2
	s_mul_i32 s8, s3, 14
	s_mul_hi_u32 s9, s2, 14
	s_addc_u32 s7, s3, 0
	s_add_i32 s9, s9, s8
	s_mul_i32 s8, s2, 14
	v_mov_b32_e32 v16, s8
	v_sub_co_u32_e32 v16, vcc, s0, v16
	s_cmp_lg_u64 vcc, 0
	s_subb_u32 s8, s1, s9
	v_subrev_co_u32_e32 v17, vcc, 14, v16
	s_cmp_lg_u64 vcc, 0
	s_subb_u32 s9, s8, 0
	v_readfirstlane_b32 s10, v17
	s_cmp_gt_u32 s10, 13
	s_cselect_b32 s10, -1, 0
	s_cmp_eq_u32 s9, 0
	s_cselect_b32 s9, s10, -1
	s_cmp_lg_u32 s9, 0
	s_cselect_b32 s4, s6, s4
	v_readfirstlane_b32 s6, v16
	s_cselect_b32 s5, s7, s5
	s_cmp_gt_u32 s6, 13
	s_cselect_b32 s6, -1, 0
	s_cmp_eq_u32 s8, 0
	s_cselect_b32 s6, s6, -1
	s_cmp_lg_u32 s6, 0
	s_cselect_b32 s3, s5, s3
	s_cselect_b32 s2, s4, s2
	v_cmp_eq_u64_e32 vcc, s[2:3], v[0:1]
	s_and_saveexec_b64 s[2:3], vcc
	s_cbranch_execz .LBB1770_153
; %bb.104:
	v_mul_hi_u32_u24_e32 v1, 14, v0
	v_mov_b32_e32 v16, s1
	v_sub_co_u32_e32 v0, vcc, s0, v33
	v_subb_co_u32_e32 v1, vcc, v16, v1, vcc
	v_cmp_lt_i64_e32 vcc, 6, v[0:1]
	s_and_saveexec_b64 s[0:1], vcc
	s_xor_b64 s[0:1], exec, s[0:1]
	s_cbranch_execz .LBB1770_130
; %bb.105:
	v_cmp_lt_i64_e32 vcc, 9, v[0:1]
	s_and_saveexec_b64 s[2:3], vcc
	s_xor_b64 s[2:3], exec, s[2:3]
	s_cbranch_execz .LBB1770_119
; %bb.106:
	;; [unrolled: 5-line block ×4, first 2 shown]
	v_mov_b32_e32 v0, 0
	s_waitcnt lgkmcnt(0)
	global_store_dword v0, v15, s[18:19]
                                        ; implicit-def: $vgpr14_vgpr15
.LBB1770_109:
	s_andn2_saveexec_b64 s[6:7], s[6:7]
	s_cbranch_execz .LBB1770_111
; %bb.110:
	v_mov_b32_e32 v0, 0
	s_waitcnt lgkmcnt(0)
	global_store_dword v0, v14, s[18:19]
.LBB1770_111:
	s_or_b64 exec, exec, s[6:7]
                                        ; implicit-def: $vgpr10_vgpr11
                                        ; implicit-def: $vgpr0_vgpr1
.LBB1770_112:
	s_andn2_saveexec_b64 s[4:5], s[4:5]
	s_cbranch_execz .LBB1770_118
; %bb.113:
	v_cmp_lt_i64_e32 vcc, 10, v[0:1]
	s_and_saveexec_b64 s[6:7], vcc
	s_xor_b64 s[6:7], exec, s[6:7]
	s_cbranch_execz .LBB1770_115
; %bb.114:
	v_mov_b32_e32 v0, 0
	s_waitcnt lgkmcnt(0)
	global_store_dword v0, v11, s[18:19]
                                        ; implicit-def: $vgpr10_vgpr11
.LBB1770_115:
	s_andn2_saveexec_b64 s[6:7], s[6:7]
	s_cbranch_execz .LBB1770_117
; %bb.116:
	v_mov_b32_e32 v0, 0
	s_waitcnt lgkmcnt(0)
	global_store_dword v0, v10, s[18:19]
.LBB1770_117:
	s_or_b64 exec, exec, s[6:7]
.LBB1770_118:
	s_or_b64 exec, exec, s[4:5]
                                        ; implicit-def: $vgpr2_vgpr3
                                        ; implicit-def: $vgpr0_vgpr1
                                        ; implicit-def: $vgpr12_vgpr13
.LBB1770_119:
	s_andn2_saveexec_b64 s[2:3], s[2:3]
	s_cbranch_execz .LBB1770_129
; %bb.120:
	v_cmp_lt_i64_e32 vcc, 7, v[0:1]
	s_and_saveexec_b64 s[4:5], vcc
	s_xor_b64 s[4:5], exec, s[4:5]
	s_cbranch_execz .LBB1770_126
; %bb.121:
	v_cmp_lt_i64_e32 vcc, 8, v[0:1]
	s_and_saveexec_b64 s[6:7], vcc
	s_xor_b64 s[6:7], exec, s[6:7]
	s_cbranch_execz .LBB1770_123
; %bb.122:
	v_mov_b32_e32 v0, 0
	s_waitcnt lgkmcnt(0)
	global_store_dword v0, v13, s[18:19]
                                        ; implicit-def: $vgpr12_vgpr13
.LBB1770_123:
	s_andn2_saveexec_b64 s[6:7], s[6:7]
	s_cbranch_execz .LBB1770_125
; %bb.124:
	v_mov_b32_e32 v0, 0
	s_waitcnt lgkmcnt(0)
	global_store_dword v0, v12, s[18:19]
.LBB1770_125:
	s_or_b64 exec, exec, s[6:7]
                                        ; implicit-def: $vgpr2_vgpr3
.LBB1770_126:
	s_andn2_saveexec_b64 s[4:5], s[4:5]
	s_cbranch_execz .LBB1770_128
; %bb.127:
	v_mov_b32_e32 v0, 0
	s_waitcnt lgkmcnt(0)
	global_store_dword v0, v3, s[18:19]
.LBB1770_128:
	s_or_b64 exec, exec, s[4:5]
.LBB1770_129:
	s_or_b64 exec, exec, s[2:3]
                                        ; implicit-def: $vgpr0_vgpr1
                                        ; implicit-def: $vgpr8_vgpr9
                                        ; implicit-def: $vgpr4_vgpr5
                                        ; implicit-def: $vgpr6_vgpr7
                                        ; implicit-def: $vgpr2_vgpr3
.LBB1770_130:
	s_andn2_saveexec_b64 s[0:1], s[0:1]
	s_cbranch_execz .LBB1770_153
; %bb.131:
	v_cmp_lt_i64_e32 vcc, 3, v[0:1]
	s_and_saveexec_b64 s[0:1], vcc
	s_xor_b64 s[0:1], exec, s[0:1]
	s_cbranch_execz .LBB1770_141
; %bb.132:
	v_cmp_lt_i64_e32 vcc, 4, v[0:1]
	s_and_saveexec_b64 s[2:3], vcc
	s_xor_b64 s[2:3], exec, s[2:3]
	;; [unrolled: 5-line block ×3, first 2 shown]
	s_cbranch_execz .LBB1770_135
; %bb.134:
	v_mov_b32_e32 v0, 0
	s_waitcnt lgkmcnt(0)
	global_store_dword v0, v2, s[18:19]
                                        ; implicit-def: $vgpr8_vgpr9
.LBB1770_135:
	s_andn2_saveexec_b64 s[4:5], s[4:5]
	s_cbranch_execz .LBB1770_137
; %bb.136:
	v_mov_b32_e32 v0, 0
	s_waitcnt lgkmcnt(0)
	global_store_dword v0, v9, s[18:19]
.LBB1770_137:
	s_or_b64 exec, exec, s[4:5]
                                        ; implicit-def: $vgpr8_vgpr9
.LBB1770_138:
	s_andn2_saveexec_b64 s[2:3], s[2:3]
	s_cbranch_execz .LBB1770_140
; %bb.139:
	v_mov_b32_e32 v0, 0
	s_waitcnt lgkmcnt(0)
	global_store_dword v0, v8, s[18:19]
.LBB1770_140:
	s_or_b64 exec, exec, s[2:3]
                                        ; implicit-def: $vgpr0_vgpr1
                                        ; implicit-def: $vgpr4_vgpr5
                                        ; implicit-def: $vgpr6_vgpr7
.LBB1770_141:
	s_andn2_saveexec_b64 s[0:1], s[0:1]
	s_cbranch_execz .LBB1770_153
; %bb.142:
	v_cmp_lt_i64_e32 vcc, 1, v[0:1]
	s_and_saveexec_b64 s[0:1], vcc
	s_xor_b64 s[0:1], exec, s[0:1]
	s_cbranch_execz .LBB1770_148
; %bb.143:
	v_cmp_lt_i64_e32 vcc, 2, v[0:1]
	s_and_saveexec_b64 s[2:3], vcc
	s_xor_b64 s[2:3], exec, s[2:3]
	s_cbranch_execz .LBB1770_145
; %bb.144:
	v_mov_b32_e32 v0, 0
	s_waitcnt lgkmcnt(0)
	global_store_dword v0, v7, s[18:19]
                                        ; implicit-def: $vgpr6_vgpr7
.LBB1770_145:
	s_andn2_saveexec_b64 s[2:3], s[2:3]
	s_cbranch_execz .LBB1770_147
; %bb.146:
	v_mov_b32_e32 v0, 0
	s_waitcnt lgkmcnt(0)
	global_store_dword v0, v6, s[18:19]
.LBB1770_147:
	s_or_b64 exec, exec, s[2:3]
                                        ; implicit-def: $vgpr4_vgpr5
                                        ; implicit-def: $vgpr0_vgpr1
.LBB1770_148:
	s_andn2_saveexec_b64 s[0:1], s[0:1]
	s_cbranch_execz .LBB1770_153
; %bb.149:
	v_cmp_ne_u64_e32 vcc, 1, v[0:1]
	s_and_saveexec_b64 s[0:1], vcc
	s_xor_b64 s[0:1], exec, s[0:1]
	s_cbranch_execz .LBB1770_151
; %bb.150:
	v_mov_b32_e32 v0, 0
	s_waitcnt lgkmcnt(0)
	global_store_dword v0, v4, s[18:19]
                                        ; implicit-def: $vgpr4_vgpr5
.LBB1770_151:
	s_andn2_saveexec_b64 s[0:1], s[0:1]
	s_cbranch_execz .LBB1770_153
; %bb.152:
	v_mov_b32_e32 v0, 0
	s_waitcnt lgkmcnt(0)
	global_store_dword v0, v5, s[18:19]
.LBB1770_153:
	s_endpgm
	.section	.rodata,"a",@progbits
	.p2align	6, 0x0
	.amdhsa_kernel _ZN7rocprim17ROCPRIM_400000_NS6detail17trampoline_kernelINS0_14default_configENS1_20scan_config_selectorIfEEZZNS1_9scan_implILNS1_25lookback_scan_determinismE0ELb1ELb1ES3_N6thrust23THRUST_200600_302600_NS6detail15normal_iteratorINS9_10device_ptrIiEEEENSB_INSC_IfEEEEfNS9_4plusIvEEfEEDaPvRmT3_T4_T5_mT6_P12ihipStream_tbENKUlT_T0_E_clISt17integral_constantIbLb0EESV_IbLb1EEEEDaSR_SS_EUlSR_E_NS1_11comp_targetILNS1_3genE4ELNS1_11target_archE910ELNS1_3gpuE8ELNS1_3repE0EEENS1_30default_config_static_selectorELNS0_4arch9wavefront6targetE1EEEvT1_
		.amdhsa_group_segment_fixed_size 7168
		.amdhsa_private_segment_fixed_size 0
		.amdhsa_kernarg_size 96
		.amdhsa_user_sgpr_count 6
		.amdhsa_user_sgpr_private_segment_buffer 1
		.amdhsa_user_sgpr_dispatch_ptr 0
		.amdhsa_user_sgpr_queue_ptr 0
		.amdhsa_user_sgpr_kernarg_segment_ptr 1
		.amdhsa_user_sgpr_dispatch_id 0
		.amdhsa_user_sgpr_flat_scratch_init 0
		.amdhsa_user_sgpr_kernarg_preload_length 0
		.amdhsa_user_sgpr_kernarg_preload_offset 0
		.amdhsa_user_sgpr_private_segment_size 0
		.amdhsa_uses_dynamic_stack 0
		.amdhsa_system_sgpr_private_segment_wavefront_offset 0
		.amdhsa_system_sgpr_workgroup_id_x 1
		.amdhsa_system_sgpr_workgroup_id_y 0
		.amdhsa_system_sgpr_workgroup_id_z 0
		.amdhsa_system_sgpr_workgroup_info 0
		.amdhsa_system_vgpr_workitem_id 0
		.amdhsa_next_free_vgpr 49
		.amdhsa_next_free_sgpr 41
		.amdhsa_accum_offset 52
		.amdhsa_reserve_vcc 1
		.amdhsa_reserve_flat_scratch 0
		.amdhsa_float_round_mode_32 0
		.amdhsa_float_round_mode_16_64 0
		.amdhsa_float_denorm_mode_32 3
		.amdhsa_float_denorm_mode_16_64 3
		.amdhsa_dx10_clamp 1
		.amdhsa_ieee_mode 1
		.amdhsa_fp16_overflow 0
		.amdhsa_tg_split 0
		.amdhsa_exception_fp_ieee_invalid_op 0
		.amdhsa_exception_fp_denorm_src 0
		.amdhsa_exception_fp_ieee_div_zero 0
		.amdhsa_exception_fp_ieee_overflow 0
		.amdhsa_exception_fp_ieee_underflow 0
		.amdhsa_exception_fp_ieee_inexact 0
		.amdhsa_exception_int_div_zero 0
	.end_amdhsa_kernel
	.section	.text._ZN7rocprim17ROCPRIM_400000_NS6detail17trampoline_kernelINS0_14default_configENS1_20scan_config_selectorIfEEZZNS1_9scan_implILNS1_25lookback_scan_determinismE0ELb1ELb1ES3_N6thrust23THRUST_200600_302600_NS6detail15normal_iteratorINS9_10device_ptrIiEEEENSB_INSC_IfEEEEfNS9_4plusIvEEfEEDaPvRmT3_T4_T5_mT6_P12ihipStream_tbENKUlT_T0_E_clISt17integral_constantIbLb0EESV_IbLb1EEEEDaSR_SS_EUlSR_E_NS1_11comp_targetILNS1_3genE4ELNS1_11target_archE910ELNS1_3gpuE8ELNS1_3repE0EEENS1_30default_config_static_selectorELNS0_4arch9wavefront6targetE1EEEvT1_,"axG",@progbits,_ZN7rocprim17ROCPRIM_400000_NS6detail17trampoline_kernelINS0_14default_configENS1_20scan_config_selectorIfEEZZNS1_9scan_implILNS1_25lookback_scan_determinismE0ELb1ELb1ES3_N6thrust23THRUST_200600_302600_NS6detail15normal_iteratorINS9_10device_ptrIiEEEENSB_INSC_IfEEEEfNS9_4plusIvEEfEEDaPvRmT3_T4_T5_mT6_P12ihipStream_tbENKUlT_T0_E_clISt17integral_constantIbLb0EESV_IbLb1EEEEDaSR_SS_EUlSR_E_NS1_11comp_targetILNS1_3genE4ELNS1_11target_archE910ELNS1_3gpuE8ELNS1_3repE0EEENS1_30default_config_static_selectorELNS0_4arch9wavefront6targetE1EEEvT1_,comdat
.Lfunc_end1770:
	.size	_ZN7rocprim17ROCPRIM_400000_NS6detail17trampoline_kernelINS0_14default_configENS1_20scan_config_selectorIfEEZZNS1_9scan_implILNS1_25lookback_scan_determinismE0ELb1ELb1ES3_N6thrust23THRUST_200600_302600_NS6detail15normal_iteratorINS9_10device_ptrIiEEEENSB_INSC_IfEEEEfNS9_4plusIvEEfEEDaPvRmT3_T4_T5_mT6_P12ihipStream_tbENKUlT_T0_E_clISt17integral_constantIbLb0EESV_IbLb1EEEEDaSR_SS_EUlSR_E_NS1_11comp_targetILNS1_3genE4ELNS1_11target_archE910ELNS1_3gpuE8ELNS1_3repE0EEENS1_30default_config_static_selectorELNS0_4arch9wavefront6targetE1EEEvT1_, .Lfunc_end1770-_ZN7rocprim17ROCPRIM_400000_NS6detail17trampoline_kernelINS0_14default_configENS1_20scan_config_selectorIfEEZZNS1_9scan_implILNS1_25lookback_scan_determinismE0ELb1ELb1ES3_N6thrust23THRUST_200600_302600_NS6detail15normal_iteratorINS9_10device_ptrIiEEEENSB_INSC_IfEEEEfNS9_4plusIvEEfEEDaPvRmT3_T4_T5_mT6_P12ihipStream_tbENKUlT_T0_E_clISt17integral_constantIbLb0EESV_IbLb1EEEEDaSR_SS_EUlSR_E_NS1_11comp_targetILNS1_3genE4ELNS1_11target_archE910ELNS1_3gpuE8ELNS1_3repE0EEENS1_30default_config_static_selectorELNS0_4arch9wavefront6targetE1EEEvT1_
                                        ; -- End function
	.section	.AMDGPU.csdata,"",@progbits
; Kernel info:
; codeLenInByte = 5856
; NumSgprs: 45
; NumVgprs: 49
; NumAgprs: 0
; TotalNumVgprs: 49
; ScratchSize: 0
; MemoryBound: 0
; FloatMode: 240
; IeeeMode: 1
; LDSByteSize: 7168 bytes/workgroup (compile time only)
; SGPRBlocks: 5
; VGPRBlocks: 6
; NumSGPRsForWavesPerEU: 45
; NumVGPRsForWavesPerEU: 49
; AccumOffset: 52
; Occupancy: 5
; WaveLimiterHint : 1
; COMPUTE_PGM_RSRC2:SCRATCH_EN: 0
; COMPUTE_PGM_RSRC2:USER_SGPR: 6
; COMPUTE_PGM_RSRC2:TRAP_HANDLER: 0
; COMPUTE_PGM_RSRC2:TGID_X_EN: 1
; COMPUTE_PGM_RSRC2:TGID_Y_EN: 0
; COMPUTE_PGM_RSRC2:TGID_Z_EN: 0
; COMPUTE_PGM_RSRC2:TIDIG_COMP_CNT: 0
; COMPUTE_PGM_RSRC3_GFX90A:ACCUM_OFFSET: 12
; COMPUTE_PGM_RSRC3_GFX90A:TG_SPLIT: 0
	.section	.text._ZN7rocprim17ROCPRIM_400000_NS6detail17trampoline_kernelINS0_14default_configENS1_20scan_config_selectorIfEEZZNS1_9scan_implILNS1_25lookback_scan_determinismE0ELb1ELb1ES3_N6thrust23THRUST_200600_302600_NS6detail15normal_iteratorINS9_10device_ptrIiEEEENSB_INSC_IfEEEEfNS9_4plusIvEEfEEDaPvRmT3_T4_T5_mT6_P12ihipStream_tbENKUlT_T0_E_clISt17integral_constantIbLb0EESV_IbLb1EEEEDaSR_SS_EUlSR_E_NS1_11comp_targetILNS1_3genE3ELNS1_11target_archE908ELNS1_3gpuE7ELNS1_3repE0EEENS1_30default_config_static_selectorELNS0_4arch9wavefront6targetE1EEEvT1_,"axG",@progbits,_ZN7rocprim17ROCPRIM_400000_NS6detail17trampoline_kernelINS0_14default_configENS1_20scan_config_selectorIfEEZZNS1_9scan_implILNS1_25lookback_scan_determinismE0ELb1ELb1ES3_N6thrust23THRUST_200600_302600_NS6detail15normal_iteratorINS9_10device_ptrIiEEEENSB_INSC_IfEEEEfNS9_4plusIvEEfEEDaPvRmT3_T4_T5_mT6_P12ihipStream_tbENKUlT_T0_E_clISt17integral_constantIbLb0EESV_IbLb1EEEEDaSR_SS_EUlSR_E_NS1_11comp_targetILNS1_3genE3ELNS1_11target_archE908ELNS1_3gpuE7ELNS1_3repE0EEENS1_30default_config_static_selectorELNS0_4arch9wavefront6targetE1EEEvT1_,comdat
	.protected	_ZN7rocprim17ROCPRIM_400000_NS6detail17trampoline_kernelINS0_14default_configENS1_20scan_config_selectorIfEEZZNS1_9scan_implILNS1_25lookback_scan_determinismE0ELb1ELb1ES3_N6thrust23THRUST_200600_302600_NS6detail15normal_iteratorINS9_10device_ptrIiEEEENSB_INSC_IfEEEEfNS9_4plusIvEEfEEDaPvRmT3_T4_T5_mT6_P12ihipStream_tbENKUlT_T0_E_clISt17integral_constantIbLb0EESV_IbLb1EEEEDaSR_SS_EUlSR_E_NS1_11comp_targetILNS1_3genE3ELNS1_11target_archE908ELNS1_3gpuE7ELNS1_3repE0EEENS1_30default_config_static_selectorELNS0_4arch9wavefront6targetE1EEEvT1_ ; -- Begin function _ZN7rocprim17ROCPRIM_400000_NS6detail17trampoline_kernelINS0_14default_configENS1_20scan_config_selectorIfEEZZNS1_9scan_implILNS1_25lookback_scan_determinismE0ELb1ELb1ES3_N6thrust23THRUST_200600_302600_NS6detail15normal_iteratorINS9_10device_ptrIiEEEENSB_INSC_IfEEEEfNS9_4plusIvEEfEEDaPvRmT3_T4_T5_mT6_P12ihipStream_tbENKUlT_T0_E_clISt17integral_constantIbLb0EESV_IbLb1EEEEDaSR_SS_EUlSR_E_NS1_11comp_targetILNS1_3genE3ELNS1_11target_archE908ELNS1_3gpuE7ELNS1_3repE0EEENS1_30default_config_static_selectorELNS0_4arch9wavefront6targetE1EEEvT1_
	.globl	_ZN7rocprim17ROCPRIM_400000_NS6detail17trampoline_kernelINS0_14default_configENS1_20scan_config_selectorIfEEZZNS1_9scan_implILNS1_25lookback_scan_determinismE0ELb1ELb1ES3_N6thrust23THRUST_200600_302600_NS6detail15normal_iteratorINS9_10device_ptrIiEEEENSB_INSC_IfEEEEfNS9_4plusIvEEfEEDaPvRmT3_T4_T5_mT6_P12ihipStream_tbENKUlT_T0_E_clISt17integral_constantIbLb0EESV_IbLb1EEEEDaSR_SS_EUlSR_E_NS1_11comp_targetILNS1_3genE3ELNS1_11target_archE908ELNS1_3gpuE7ELNS1_3repE0EEENS1_30default_config_static_selectorELNS0_4arch9wavefront6targetE1EEEvT1_
	.p2align	8
	.type	_ZN7rocprim17ROCPRIM_400000_NS6detail17trampoline_kernelINS0_14default_configENS1_20scan_config_selectorIfEEZZNS1_9scan_implILNS1_25lookback_scan_determinismE0ELb1ELb1ES3_N6thrust23THRUST_200600_302600_NS6detail15normal_iteratorINS9_10device_ptrIiEEEENSB_INSC_IfEEEEfNS9_4plusIvEEfEEDaPvRmT3_T4_T5_mT6_P12ihipStream_tbENKUlT_T0_E_clISt17integral_constantIbLb0EESV_IbLb1EEEEDaSR_SS_EUlSR_E_NS1_11comp_targetILNS1_3genE3ELNS1_11target_archE908ELNS1_3gpuE7ELNS1_3repE0EEENS1_30default_config_static_selectorELNS0_4arch9wavefront6targetE1EEEvT1_,@function
_ZN7rocprim17ROCPRIM_400000_NS6detail17trampoline_kernelINS0_14default_configENS1_20scan_config_selectorIfEEZZNS1_9scan_implILNS1_25lookback_scan_determinismE0ELb1ELb1ES3_N6thrust23THRUST_200600_302600_NS6detail15normal_iteratorINS9_10device_ptrIiEEEENSB_INSC_IfEEEEfNS9_4plusIvEEfEEDaPvRmT3_T4_T5_mT6_P12ihipStream_tbENKUlT_T0_E_clISt17integral_constantIbLb0EESV_IbLb1EEEEDaSR_SS_EUlSR_E_NS1_11comp_targetILNS1_3genE3ELNS1_11target_archE908ELNS1_3gpuE7ELNS1_3repE0EEENS1_30default_config_static_selectorELNS0_4arch9wavefront6targetE1EEEvT1_: ; @_ZN7rocprim17ROCPRIM_400000_NS6detail17trampoline_kernelINS0_14default_configENS1_20scan_config_selectorIfEEZZNS1_9scan_implILNS1_25lookback_scan_determinismE0ELb1ELb1ES3_N6thrust23THRUST_200600_302600_NS6detail15normal_iteratorINS9_10device_ptrIiEEEENSB_INSC_IfEEEEfNS9_4plusIvEEfEEDaPvRmT3_T4_T5_mT6_P12ihipStream_tbENKUlT_T0_E_clISt17integral_constantIbLb0EESV_IbLb1EEEEDaSR_SS_EUlSR_E_NS1_11comp_targetILNS1_3genE3ELNS1_11target_archE908ELNS1_3gpuE7ELNS1_3repE0EEENS1_30default_config_static_selectorELNS0_4arch9wavefront6targetE1EEEvT1_
; %bb.0:
	.section	.rodata,"a",@progbits
	.p2align	6, 0x0
	.amdhsa_kernel _ZN7rocprim17ROCPRIM_400000_NS6detail17trampoline_kernelINS0_14default_configENS1_20scan_config_selectorIfEEZZNS1_9scan_implILNS1_25lookback_scan_determinismE0ELb1ELb1ES3_N6thrust23THRUST_200600_302600_NS6detail15normal_iteratorINS9_10device_ptrIiEEEENSB_INSC_IfEEEEfNS9_4plusIvEEfEEDaPvRmT3_T4_T5_mT6_P12ihipStream_tbENKUlT_T0_E_clISt17integral_constantIbLb0EESV_IbLb1EEEEDaSR_SS_EUlSR_E_NS1_11comp_targetILNS1_3genE3ELNS1_11target_archE908ELNS1_3gpuE7ELNS1_3repE0EEENS1_30default_config_static_selectorELNS0_4arch9wavefront6targetE1EEEvT1_
		.amdhsa_group_segment_fixed_size 0
		.amdhsa_private_segment_fixed_size 0
		.amdhsa_kernarg_size 96
		.amdhsa_user_sgpr_count 6
		.amdhsa_user_sgpr_private_segment_buffer 1
		.amdhsa_user_sgpr_dispatch_ptr 0
		.amdhsa_user_sgpr_queue_ptr 0
		.amdhsa_user_sgpr_kernarg_segment_ptr 1
		.amdhsa_user_sgpr_dispatch_id 0
		.amdhsa_user_sgpr_flat_scratch_init 0
		.amdhsa_user_sgpr_kernarg_preload_length 0
		.amdhsa_user_sgpr_kernarg_preload_offset 0
		.amdhsa_user_sgpr_private_segment_size 0
		.amdhsa_uses_dynamic_stack 0
		.amdhsa_system_sgpr_private_segment_wavefront_offset 0
		.amdhsa_system_sgpr_workgroup_id_x 1
		.amdhsa_system_sgpr_workgroup_id_y 0
		.amdhsa_system_sgpr_workgroup_id_z 0
		.amdhsa_system_sgpr_workgroup_info 0
		.amdhsa_system_vgpr_workitem_id 0
		.amdhsa_next_free_vgpr 1
		.amdhsa_next_free_sgpr 0
		.amdhsa_accum_offset 4
		.amdhsa_reserve_vcc 0
		.amdhsa_reserve_flat_scratch 0
		.amdhsa_float_round_mode_32 0
		.amdhsa_float_round_mode_16_64 0
		.amdhsa_float_denorm_mode_32 3
		.amdhsa_float_denorm_mode_16_64 3
		.amdhsa_dx10_clamp 1
		.amdhsa_ieee_mode 1
		.amdhsa_fp16_overflow 0
		.amdhsa_tg_split 0
		.amdhsa_exception_fp_ieee_invalid_op 0
		.amdhsa_exception_fp_denorm_src 0
		.amdhsa_exception_fp_ieee_div_zero 0
		.amdhsa_exception_fp_ieee_overflow 0
		.amdhsa_exception_fp_ieee_underflow 0
		.amdhsa_exception_fp_ieee_inexact 0
		.amdhsa_exception_int_div_zero 0
	.end_amdhsa_kernel
	.section	.text._ZN7rocprim17ROCPRIM_400000_NS6detail17trampoline_kernelINS0_14default_configENS1_20scan_config_selectorIfEEZZNS1_9scan_implILNS1_25lookback_scan_determinismE0ELb1ELb1ES3_N6thrust23THRUST_200600_302600_NS6detail15normal_iteratorINS9_10device_ptrIiEEEENSB_INSC_IfEEEEfNS9_4plusIvEEfEEDaPvRmT3_T4_T5_mT6_P12ihipStream_tbENKUlT_T0_E_clISt17integral_constantIbLb0EESV_IbLb1EEEEDaSR_SS_EUlSR_E_NS1_11comp_targetILNS1_3genE3ELNS1_11target_archE908ELNS1_3gpuE7ELNS1_3repE0EEENS1_30default_config_static_selectorELNS0_4arch9wavefront6targetE1EEEvT1_,"axG",@progbits,_ZN7rocprim17ROCPRIM_400000_NS6detail17trampoline_kernelINS0_14default_configENS1_20scan_config_selectorIfEEZZNS1_9scan_implILNS1_25lookback_scan_determinismE0ELb1ELb1ES3_N6thrust23THRUST_200600_302600_NS6detail15normal_iteratorINS9_10device_ptrIiEEEENSB_INSC_IfEEEEfNS9_4plusIvEEfEEDaPvRmT3_T4_T5_mT6_P12ihipStream_tbENKUlT_T0_E_clISt17integral_constantIbLb0EESV_IbLb1EEEEDaSR_SS_EUlSR_E_NS1_11comp_targetILNS1_3genE3ELNS1_11target_archE908ELNS1_3gpuE7ELNS1_3repE0EEENS1_30default_config_static_selectorELNS0_4arch9wavefront6targetE1EEEvT1_,comdat
.Lfunc_end1771:
	.size	_ZN7rocprim17ROCPRIM_400000_NS6detail17trampoline_kernelINS0_14default_configENS1_20scan_config_selectorIfEEZZNS1_9scan_implILNS1_25lookback_scan_determinismE0ELb1ELb1ES3_N6thrust23THRUST_200600_302600_NS6detail15normal_iteratorINS9_10device_ptrIiEEEENSB_INSC_IfEEEEfNS9_4plusIvEEfEEDaPvRmT3_T4_T5_mT6_P12ihipStream_tbENKUlT_T0_E_clISt17integral_constantIbLb0EESV_IbLb1EEEEDaSR_SS_EUlSR_E_NS1_11comp_targetILNS1_3genE3ELNS1_11target_archE908ELNS1_3gpuE7ELNS1_3repE0EEENS1_30default_config_static_selectorELNS0_4arch9wavefront6targetE1EEEvT1_, .Lfunc_end1771-_ZN7rocprim17ROCPRIM_400000_NS6detail17trampoline_kernelINS0_14default_configENS1_20scan_config_selectorIfEEZZNS1_9scan_implILNS1_25lookback_scan_determinismE0ELb1ELb1ES3_N6thrust23THRUST_200600_302600_NS6detail15normal_iteratorINS9_10device_ptrIiEEEENSB_INSC_IfEEEEfNS9_4plusIvEEfEEDaPvRmT3_T4_T5_mT6_P12ihipStream_tbENKUlT_T0_E_clISt17integral_constantIbLb0EESV_IbLb1EEEEDaSR_SS_EUlSR_E_NS1_11comp_targetILNS1_3genE3ELNS1_11target_archE908ELNS1_3gpuE7ELNS1_3repE0EEENS1_30default_config_static_selectorELNS0_4arch9wavefront6targetE1EEEvT1_
                                        ; -- End function
	.section	.AMDGPU.csdata,"",@progbits
; Kernel info:
; codeLenInByte = 0
; NumSgprs: 4
; NumVgprs: 0
; NumAgprs: 0
; TotalNumVgprs: 0
; ScratchSize: 0
; MemoryBound: 0
; FloatMode: 240
; IeeeMode: 1
; LDSByteSize: 0 bytes/workgroup (compile time only)
; SGPRBlocks: 0
; VGPRBlocks: 0
; NumSGPRsForWavesPerEU: 4
; NumVGPRsForWavesPerEU: 1
; AccumOffset: 4
; Occupancy: 8
; WaveLimiterHint : 0
; COMPUTE_PGM_RSRC2:SCRATCH_EN: 0
; COMPUTE_PGM_RSRC2:USER_SGPR: 6
; COMPUTE_PGM_RSRC2:TRAP_HANDLER: 0
; COMPUTE_PGM_RSRC2:TGID_X_EN: 1
; COMPUTE_PGM_RSRC2:TGID_Y_EN: 0
; COMPUTE_PGM_RSRC2:TGID_Z_EN: 0
; COMPUTE_PGM_RSRC2:TIDIG_COMP_CNT: 0
; COMPUTE_PGM_RSRC3_GFX90A:ACCUM_OFFSET: 0
; COMPUTE_PGM_RSRC3_GFX90A:TG_SPLIT: 0
	.section	.text._ZN7rocprim17ROCPRIM_400000_NS6detail17trampoline_kernelINS0_14default_configENS1_20scan_config_selectorIfEEZZNS1_9scan_implILNS1_25lookback_scan_determinismE0ELb1ELb1ES3_N6thrust23THRUST_200600_302600_NS6detail15normal_iteratorINS9_10device_ptrIiEEEENSB_INSC_IfEEEEfNS9_4plusIvEEfEEDaPvRmT3_T4_T5_mT6_P12ihipStream_tbENKUlT_T0_E_clISt17integral_constantIbLb0EESV_IbLb1EEEEDaSR_SS_EUlSR_E_NS1_11comp_targetILNS1_3genE2ELNS1_11target_archE906ELNS1_3gpuE6ELNS1_3repE0EEENS1_30default_config_static_selectorELNS0_4arch9wavefront6targetE1EEEvT1_,"axG",@progbits,_ZN7rocprim17ROCPRIM_400000_NS6detail17trampoline_kernelINS0_14default_configENS1_20scan_config_selectorIfEEZZNS1_9scan_implILNS1_25lookback_scan_determinismE0ELb1ELb1ES3_N6thrust23THRUST_200600_302600_NS6detail15normal_iteratorINS9_10device_ptrIiEEEENSB_INSC_IfEEEEfNS9_4plusIvEEfEEDaPvRmT3_T4_T5_mT6_P12ihipStream_tbENKUlT_T0_E_clISt17integral_constantIbLb0EESV_IbLb1EEEEDaSR_SS_EUlSR_E_NS1_11comp_targetILNS1_3genE2ELNS1_11target_archE906ELNS1_3gpuE6ELNS1_3repE0EEENS1_30default_config_static_selectorELNS0_4arch9wavefront6targetE1EEEvT1_,comdat
	.protected	_ZN7rocprim17ROCPRIM_400000_NS6detail17trampoline_kernelINS0_14default_configENS1_20scan_config_selectorIfEEZZNS1_9scan_implILNS1_25lookback_scan_determinismE0ELb1ELb1ES3_N6thrust23THRUST_200600_302600_NS6detail15normal_iteratorINS9_10device_ptrIiEEEENSB_INSC_IfEEEEfNS9_4plusIvEEfEEDaPvRmT3_T4_T5_mT6_P12ihipStream_tbENKUlT_T0_E_clISt17integral_constantIbLb0EESV_IbLb1EEEEDaSR_SS_EUlSR_E_NS1_11comp_targetILNS1_3genE2ELNS1_11target_archE906ELNS1_3gpuE6ELNS1_3repE0EEENS1_30default_config_static_selectorELNS0_4arch9wavefront6targetE1EEEvT1_ ; -- Begin function _ZN7rocprim17ROCPRIM_400000_NS6detail17trampoline_kernelINS0_14default_configENS1_20scan_config_selectorIfEEZZNS1_9scan_implILNS1_25lookback_scan_determinismE0ELb1ELb1ES3_N6thrust23THRUST_200600_302600_NS6detail15normal_iteratorINS9_10device_ptrIiEEEENSB_INSC_IfEEEEfNS9_4plusIvEEfEEDaPvRmT3_T4_T5_mT6_P12ihipStream_tbENKUlT_T0_E_clISt17integral_constantIbLb0EESV_IbLb1EEEEDaSR_SS_EUlSR_E_NS1_11comp_targetILNS1_3genE2ELNS1_11target_archE906ELNS1_3gpuE6ELNS1_3repE0EEENS1_30default_config_static_selectorELNS0_4arch9wavefront6targetE1EEEvT1_
	.globl	_ZN7rocprim17ROCPRIM_400000_NS6detail17trampoline_kernelINS0_14default_configENS1_20scan_config_selectorIfEEZZNS1_9scan_implILNS1_25lookback_scan_determinismE0ELb1ELb1ES3_N6thrust23THRUST_200600_302600_NS6detail15normal_iteratorINS9_10device_ptrIiEEEENSB_INSC_IfEEEEfNS9_4plusIvEEfEEDaPvRmT3_T4_T5_mT6_P12ihipStream_tbENKUlT_T0_E_clISt17integral_constantIbLb0EESV_IbLb1EEEEDaSR_SS_EUlSR_E_NS1_11comp_targetILNS1_3genE2ELNS1_11target_archE906ELNS1_3gpuE6ELNS1_3repE0EEENS1_30default_config_static_selectorELNS0_4arch9wavefront6targetE1EEEvT1_
	.p2align	8
	.type	_ZN7rocprim17ROCPRIM_400000_NS6detail17trampoline_kernelINS0_14default_configENS1_20scan_config_selectorIfEEZZNS1_9scan_implILNS1_25lookback_scan_determinismE0ELb1ELb1ES3_N6thrust23THRUST_200600_302600_NS6detail15normal_iteratorINS9_10device_ptrIiEEEENSB_INSC_IfEEEEfNS9_4plusIvEEfEEDaPvRmT3_T4_T5_mT6_P12ihipStream_tbENKUlT_T0_E_clISt17integral_constantIbLb0EESV_IbLb1EEEEDaSR_SS_EUlSR_E_NS1_11comp_targetILNS1_3genE2ELNS1_11target_archE906ELNS1_3gpuE6ELNS1_3repE0EEENS1_30default_config_static_selectorELNS0_4arch9wavefront6targetE1EEEvT1_,@function
_ZN7rocprim17ROCPRIM_400000_NS6detail17trampoline_kernelINS0_14default_configENS1_20scan_config_selectorIfEEZZNS1_9scan_implILNS1_25lookback_scan_determinismE0ELb1ELb1ES3_N6thrust23THRUST_200600_302600_NS6detail15normal_iteratorINS9_10device_ptrIiEEEENSB_INSC_IfEEEEfNS9_4plusIvEEfEEDaPvRmT3_T4_T5_mT6_P12ihipStream_tbENKUlT_T0_E_clISt17integral_constantIbLb0EESV_IbLb1EEEEDaSR_SS_EUlSR_E_NS1_11comp_targetILNS1_3genE2ELNS1_11target_archE906ELNS1_3gpuE6ELNS1_3repE0EEENS1_30default_config_static_selectorELNS0_4arch9wavefront6targetE1EEEvT1_: ; @_ZN7rocprim17ROCPRIM_400000_NS6detail17trampoline_kernelINS0_14default_configENS1_20scan_config_selectorIfEEZZNS1_9scan_implILNS1_25lookback_scan_determinismE0ELb1ELb1ES3_N6thrust23THRUST_200600_302600_NS6detail15normal_iteratorINS9_10device_ptrIiEEEENSB_INSC_IfEEEEfNS9_4plusIvEEfEEDaPvRmT3_T4_T5_mT6_P12ihipStream_tbENKUlT_T0_E_clISt17integral_constantIbLb0EESV_IbLb1EEEEDaSR_SS_EUlSR_E_NS1_11comp_targetILNS1_3genE2ELNS1_11target_archE906ELNS1_3gpuE6ELNS1_3repE0EEENS1_30default_config_static_selectorELNS0_4arch9wavefront6targetE1EEEvT1_
; %bb.0:
	.section	.rodata,"a",@progbits
	.p2align	6, 0x0
	.amdhsa_kernel _ZN7rocprim17ROCPRIM_400000_NS6detail17trampoline_kernelINS0_14default_configENS1_20scan_config_selectorIfEEZZNS1_9scan_implILNS1_25lookback_scan_determinismE0ELb1ELb1ES3_N6thrust23THRUST_200600_302600_NS6detail15normal_iteratorINS9_10device_ptrIiEEEENSB_INSC_IfEEEEfNS9_4plusIvEEfEEDaPvRmT3_T4_T5_mT6_P12ihipStream_tbENKUlT_T0_E_clISt17integral_constantIbLb0EESV_IbLb1EEEEDaSR_SS_EUlSR_E_NS1_11comp_targetILNS1_3genE2ELNS1_11target_archE906ELNS1_3gpuE6ELNS1_3repE0EEENS1_30default_config_static_selectorELNS0_4arch9wavefront6targetE1EEEvT1_
		.amdhsa_group_segment_fixed_size 0
		.amdhsa_private_segment_fixed_size 0
		.amdhsa_kernarg_size 96
		.amdhsa_user_sgpr_count 6
		.amdhsa_user_sgpr_private_segment_buffer 1
		.amdhsa_user_sgpr_dispatch_ptr 0
		.amdhsa_user_sgpr_queue_ptr 0
		.amdhsa_user_sgpr_kernarg_segment_ptr 1
		.amdhsa_user_sgpr_dispatch_id 0
		.amdhsa_user_sgpr_flat_scratch_init 0
		.amdhsa_user_sgpr_kernarg_preload_length 0
		.amdhsa_user_sgpr_kernarg_preload_offset 0
		.amdhsa_user_sgpr_private_segment_size 0
		.amdhsa_uses_dynamic_stack 0
		.amdhsa_system_sgpr_private_segment_wavefront_offset 0
		.amdhsa_system_sgpr_workgroup_id_x 1
		.amdhsa_system_sgpr_workgroup_id_y 0
		.amdhsa_system_sgpr_workgroup_id_z 0
		.amdhsa_system_sgpr_workgroup_info 0
		.amdhsa_system_vgpr_workitem_id 0
		.amdhsa_next_free_vgpr 1
		.amdhsa_next_free_sgpr 0
		.amdhsa_accum_offset 4
		.amdhsa_reserve_vcc 0
		.amdhsa_reserve_flat_scratch 0
		.amdhsa_float_round_mode_32 0
		.amdhsa_float_round_mode_16_64 0
		.amdhsa_float_denorm_mode_32 3
		.amdhsa_float_denorm_mode_16_64 3
		.amdhsa_dx10_clamp 1
		.amdhsa_ieee_mode 1
		.amdhsa_fp16_overflow 0
		.amdhsa_tg_split 0
		.amdhsa_exception_fp_ieee_invalid_op 0
		.amdhsa_exception_fp_denorm_src 0
		.amdhsa_exception_fp_ieee_div_zero 0
		.amdhsa_exception_fp_ieee_overflow 0
		.amdhsa_exception_fp_ieee_underflow 0
		.amdhsa_exception_fp_ieee_inexact 0
		.amdhsa_exception_int_div_zero 0
	.end_amdhsa_kernel
	.section	.text._ZN7rocprim17ROCPRIM_400000_NS6detail17trampoline_kernelINS0_14default_configENS1_20scan_config_selectorIfEEZZNS1_9scan_implILNS1_25lookback_scan_determinismE0ELb1ELb1ES3_N6thrust23THRUST_200600_302600_NS6detail15normal_iteratorINS9_10device_ptrIiEEEENSB_INSC_IfEEEEfNS9_4plusIvEEfEEDaPvRmT3_T4_T5_mT6_P12ihipStream_tbENKUlT_T0_E_clISt17integral_constantIbLb0EESV_IbLb1EEEEDaSR_SS_EUlSR_E_NS1_11comp_targetILNS1_3genE2ELNS1_11target_archE906ELNS1_3gpuE6ELNS1_3repE0EEENS1_30default_config_static_selectorELNS0_4arch9wavefront6targetE1EEEvT1_,"axG",@progbits,_ZN7rocprim17ROCPRIM_400000_NS6detail17trampoline_kernelINS0_14default_configENS1_20scan_config_selectorIfEEZZNS1_9scan_implILNS1_25lookback_scan_determinismE0ELb1ELb1ES3_N6thrust23THRUST_200600_302600_NS6detail15normal_iteratorINS9_10device_ptrIiEEEENSB_INSC_IfEEEEfNS9_4plusIvEEfEEDaPvRmT3_T4_T5_mT6_P12ihipStream_tbENKUlT_T0_E_clISt17integral_constantIbLb0EESV_IbLb1EEEEDaSR_SS_EUlSR_E_NS1_11comp_targetILNS1_3genE2ELNS1_11target_archE906ELNS1_3gpuE6ELNS1_3repE0EEENS1_30default_config_static_selectorELNS0_4arch9wavefront6targetE1EEEvT1_,comdat
.Lfunc_end1772:
	.size	_ZN7rocprim17ROCPRIM_400000_NS6detail17trampoline_kernelINS0_14default_configENS1_20scan_config_selectorIfEEZZNS1_9scan_implILNS1_25lookback_scan_determinismE0ELb1ELb1ES3_N6thrust23THRUST_200600_302600_NS6detail15normal_iteratorINS9_10device_ptrIiEEEENSB_INSC_IfEEEEfNS9_4plusIvEEfEEDaPvRmT3_T4_T5_mT6_P12ihipStream_tbENKUlT_T0_E_clISt17integral_constantIbLb0EESV_IbLb1EEEEDaSR_SS_EUlSR_E_NS1_11comp_targetILNS1_3genE2ELNS1_11target_archE906ELNS1_3gpuE6ELNS1_3repE0EEENS1_30default_config_static_selectorELNS0_4arch9wavefront6targetE1EEEvT1_, .Lfunc_end1772-_ZN7rocprim17ROCPRIM_400000_NS6detail17trampoline_kernelINS0_14default_configENS1_20scan_config_selectorIfEEZZNS1_9scan_implILNS1_25lookback_scan_determinismE0ELb1ELb1ES3_N6thrust23THRUST_200600_302600_NS6detail15normal_iteratorINS9_10device_ptrIiEEEENSB_INSC_IfEEEEfNS9_4plusIvEEfEEDaPvRmT3_T4_T5_mT6_P12ihipStream_tbENKUlT_T0_E_clISt17integral_constantIbLb0EESV_IbLb1EEEEDaSR_SS_EUlSR_E_NS1_11comp_targetILNS1_3genE2ELNS1_11target_archE906ELNS1_3gpuE6ELNS1_3repE0EEENS1_30default_config_static_selectorELNS0_4arch9wavefront6targetE1EEEvT1_
                                        ; -- End function
	.section	.AMDGPU.csdata,"",@progbits
; Kernel info:
; codeLenInByte = 0
; NumSgprs: 4
; NumVgprs: 0
; NumAgprs: 0
; TotalNumVgprs: 0
; ScratchSize: 0
; MemoryBound: 0
; FloatMode: 240
; IeeeMode: 1
; LDSByteSize: 0 bytes/workgroup (compile time only)
; SGPRBlocks: 0
; VGPRBlocks: 0
; NumSGPRsForWavesPerEU: 4
; NumVGPRsForWavesPerEU: 1
; AccumOffset: 4
; Occupancy: 8
; WaveLimiterHint : 0
; COMPUTE_PGM_RSRC2:SCRATCH_EN: 0
; COMPUTE_PGM_RSRC2:USER_SGPR: 6
; COMPUTE_PGM_RSRC2:TRAP_HANDLER: 0
; COMPUTE_PGM_RSRC2:TGID_X_EN: 1
; COMPUTE_PGM_RSRC2:TGID_Y_EN: 0
; COMPUTE_PGM_RSRC2:TGID_Z_EN: 0
; COMPUTE_PGM_RSRC2:TIDIG_COMP_CNT: 0
; COMPUTE_PGM_RSRC3_GFX90A:ACCUM_OFFSET: 0
; COMPUTE_PGM_RSRC3_GFX90A:TG_SPLIT: 0
	.section	.text._ZN7rocprim17ROCPRIM_400000_NS6detail17trampoline_kernelINS0_14default_configENS1_20scan_config_selectorIfEEZZNS1_9scan_implILNS1_25lookback_scan_determinismE0ELb1ELb1ES3_N6thrust23THRUST_200600_302600_NS6detail15normal_iteratorINS9_10device_ptrIiEEEENSB_INSC_IfEEEEfNS9_4plusIvEEfEEDaPvRmT3_T4_T5_mT6_P12ihipStream_tbENKUlT_T0_E_clISt17integral_constantIbLb0EESV_IbLb1EEEEDaSR_SS_EUlSR_E_NS1_11comp_targetILNS1_3genE10ELNS1_11target_archE1201ELNS1_3gpuE5ELNS1_3repE0EEENS1_30default_config_static_selectorELNS0_4arch9wavefront6targetE1EEEvT1_,"axG",@progbits,_ZN7rocprim17ROCPRIM_400000_NS6detail17trampoline_kernelINS0_14default_configENS1_20scan_config_selectorIfEEZZNS1_9scan_implILNS1_25lookback_scan_determinismE0ELb1ELb1ES3_N6thrust23THRUST_200600_302600_NS6detail15normal_iteratorINS9_10device_ptrIiEEEENSB_INSC_IfEEEEfNS9_4plusIvEEfEEDaPvRmT3_T4_T5_mT6_P12ihipStream_tbENKUlT_T0_E_clISt17integral_constantIbLb0EESV_IbLb1EEEEDaSR_SS_EUlSR_E_NS1_11comp_targetILNS1_3genE10ELNS1_11target_archE1201ELNS1_3gpuE5ELNS1_3repE0EEENS1_30default_config_static_selectorELNS0_4arch9wavefront6targetE1EEEvT1_,comdat
	.protected	_ZN7rocprim17ROCPRIM_400000_NS6detail17trampoline_kernelINS0_14default_configENS1_20scan_config_selectorIfEEZZNS1_9scan_implILNS1_25lookback_scan_determinismE0ELb1ELb1ES3_N6thrust23THRUST_200600_302600_NS6detail15normal_iteratorINS9_10device_ptrIiEEEENSB_INSC_IfEEEEfNS9_4plusIvEEfEEDaPvRmT3_T4_T5_mT6_P12ihipStream_tbENKUlT_T0_E_clISt17integral_constantIbLb0EESV_IbLb1EEEEDaSR_SS_EUlSR_E_NS1_11comp_targetILNS1_3genE10ELNS1_11target_archE1201ELNS1_3gpuE5ELNS1_3repE0EEENS1_30default_config_static_selectorELNS0_4arch9wavefront6targetE1EEEvT1_ ; -- Begin function _ZN7rocprim17ROCPRIM_400000_NS6detail17trampoline_kernelINS0_14default_configENS1_20scan_config_selectorIfEEZZNS1_9scan_implILNS1_25lookback_scan_determinismE0ELb1ELb1ES3_N6thrust23THRUST_200600_302600_NS6detail15normal_iteratorINS9_10device_ptrIiEEEENSB_INSC_IfEEEEfNS9_4plusIvEEfEEDaPvRmT3_T4_T5_mT6_P12ihipStream_tbENKUlT_T0_E_clISt17integral_constantIbLb0EESV_IbLb1EEEEDaSR_SS_EUlSR_E_NS1_11comp_targetILNS1_3genE10ELNS1_11target_archE1201ELNS1_3gpuE5ELNS1_3repE0EEENS1_30default_config_static_selectorELNS0_4arch9wavefront6targetE1EEEvT1_
	.globl	_ZN7rocprim17ROCPRIM_400000_NS6detail17trampoline_kernelINS0_14default_configENS1_20scan_config_selectorIfEEZZNS1_9scan_implILNS1_25lookback_scan_determinismE0ELb1ELb1ES3_N6thrust23THRUST_200600_302600_NS6detail15normal_iteratorINS9_10device_ptrIiEEEENSB_INSC_IfEEEEfNS9_4plusIvEEfEEDaPvRmT3_T4_T5_mT6_P12ihipStream_tbENKUlT_T0_E_clISt17integral_constantIbLb0EESV_IbLb1EEEEDaSR_SS_EUlSR_E_NS1_11comp_targetILNS1_3genE10ELNS1_11target_archE1201ELNS1_3gpuE5ELNS1_3repE0EEENS1_30default_config_static_selectorELNS0_4arch9wavefront6targetE1EEEvT1_
	.p2align	8
	.type	_ZN7rocprim17ROCPRIM_400000_NS6detail17trampoline_kernelINS0_14default_configENS1_20scan_config_selectorIfEEZZNS1_9scan_implILNS1_25lookback_scan_determinismE0ELb1ELb1ES3_N6thrust23THRUST_200600_302600_NS6detail15normal_iteratorINS9_10device_ptrIiEEEENSB_INSC_IfEEEEfNS9_4plusIvEEfEEDaPvRmT3_T4_T5_mT6_P12ihipStream_tbENKUlT_T0_E_clISt17integral_constantIbLb0EESV_IbLb1EEEEDaSR_SS_EUlSR_E_NS1_11comp_targetILNS1_3genE10ELNS1_11target_archE1201ELNS1_3gpuE5ELNS1_3repE0EEENS1_30default_config_static_selectorELNS0_4arch9wavefront6targetE1EEEvT1_,@function
_ZN7rocprim17ROCPRIM_400000_NS6detail17trampoline_kernelINS0_14default_configENS1_20scan_config_selectorIfEEZZNS1_9scan_implILNS1_25lookback_scan_determinismE0ELb1ELb1ES3_N6thrust23THRUST_200600_302600_NS6detail15normal_iteratorINS9_10device_ptrIiEEEENSB_INSC_IfEEEEfNS9_4plusIvEEfEEDaPvRmT3_T4_T5_mT6_P12ihipStream_tbENKUlT_T0_E_clISt17integral_constantIbLb0EESV_IbLb1EEEEDaSR_SS_EUlSR_E_NS1_11comp_targetILNS1_3genE10ELNS1_11target_archE1201ELNS1_3gpuE5ELNS1_3repE0EEENS1_30default_config_static_selectorELNS0_4arch9wavefront6targetE1EEEvT1_: ; @_ZN7rocprim17ROCPRIM_400000_NS6detail17trampoline_kernelINS0_14default_configENS1_20scan_config_selectorIfEEZZNS1_9scan_implILNS1_25lookback_scan_determinismE0ELb1ELb1ES3_N6thrust23THRUST_200600_302600_NS6detail15normal_iteratorINS9_10device_ptrIiEEEENSB_INSC_IfEEEEfNS9_4plusIvEEfEEDaPvRmT3_T4_T5_mT6_P12ihipStream_tbENKUlT_T0_E_clISt17integral_constantIbLb0EESV_IbLb1EEEEDaSR_SS_EUlSR_E_NS1_11comp_targetILNS1_3genE10ELNS1_11target_archE1201ELNS1_3gpuE5ELNS1_3repE0EEENS1_30default_config_static_selectorELNS0_4arch9wavefront6targetE1EEEvT1_
; %bb.0:
	.section	.rodata,"a",@progbits
	.p2align	6, 0x0
	.amdhsa_kernel _ZN7rocprim17ROCPRIM_400000_NS6detail17trampoline_kernelINS0_14default_configENS1_20scan_config_selectorIfEEZZNS1_9scan_implILNS1_25lookback_scan_determinismE0ELb1ELb1ES3_N6thrust23THRUST_200600_302600_NS6detail15normal_iteratorINS9_10device_ptrIiEEEENSB_INSC_IfEEEEfNS9_4plusIvEEfEEDaPvRmT3_T4_T5_mT6_P12ihipStream_tbENKUlT_T0_E_clISt17integral_constantIbLb0EESV_IbLb1EEEEDaSR_SS_EUlSR_E_NS1_11comp_targetILNS1_3genE10ELNS1_11target_archE1201ELNS1_3gpuE5ELNS1_3repE0EEENS1_30default_config_static_selectorELNS0_4arch9wavefront6targetE1EEEvT1_
		.amdhsa_group_segment_fixed_size 0
		.amdhsa_private_segment_fixed_size 0
		.amdhsa_kernarg_size 96
		.amdhsa_user_sgpr_count 6
		.amdhsa_user_sgpr_private_segment_buffer 1
		.amdhsa_user_sgpr_dispatch_ptr 0
		.amdhsa_user_sgpr_queue_ptr 0
		.amdhsa_user_sgpr_kernarg_segment_ptr 1
		.amdhsa_user_sgpr_dispatch_id 0
		.amdhsa_user_sgpr_flat_scratch_init 0
		.amdhsa_user_sgpr_kernarg_preload_length 0
		.amdhsa_user_sgpr_kernarg_preload_offset 0
		.amdhsa_user_sgpr_private_segment_size 0
		.amdhsa_uses_dynamic_stack 0
		.amdhsa_system_sgpr_private_segment_wavefront_offset 0
		.amdhsa_system_sgpr_workgroup_id_x 1
		.amdhsa_system_sgpr_workgroup_id_y 0
		.amdhsa_system_sgpr_workgroup_id_z 0
		.amdhsa_system_sgpr_workgroup_info 0
		.amdhsa_system_vgpr_workitem_id 0
		.amdhsa_next_free_vgpr 1
		.amdhsa_next_free_sgpr 0
		.amdhsa_accum_offset 4
		.amdhsa_reserve_vcc 0
		.amdhsa_reserve_flat_scratch 0
		.amdhsa_float_round_mode_32 0
		.amdhsa_float_round_mode_16_64 0
		.amdhsa_float_denorm_mode_32 3
		.amdhsa_float_denorm_mode_16_64 3
		.amdhsa_dx10_clamp 1
		.amdhsa_ieee_mode 1
		.amdhsa_fp16_overflow 0
		.amdhsa_tg_split 0
		.amdhsa_exception_fp_ieee_invalid_op 0
		.amdhsa_exception_fp_denorm_src 0
		.amdhsa_exception_fp_ieee_div_zero 0
		.amdhsa_exception_fp_ieee_overflow 0
		.amdhsa_exception_fp_ieee_underflow 0
		.amdhsa_exception_fp_ieee_inexact 0
		.amdhsa_exception_int_div_zero 0
	.end_amdhsa_kernel
	.section	.text._ZN7rocprim17ROCPRIM_400000_NS6detail17trampoline_kernelINS0_14default_configENS1_20scan_config_selectorIfEEZZNS1_9scan_implILNS1_25lookback_scan_determinismE0ELb1ELb1ES3_N6thrust23THRUST_200600_302600_NS6detail15normal_iteratorINS9_10device_ptrIiEEEENSB_INSC_IfEEEEfNS9_4plusIvEEfEEDaPvRmT3_T4_T5_mT6_P12ihipStream_tbENKUlT_T0_E_clISt17integral_constantIbLb0EESV_IbLb1EEEEDaSR_SS_EUlSR_E_NS1_11comp_targetILNS1_3genE10ELNS1_11target_archE1201ELNS1_3gpuE5ELNS1_3repE0EEENS1_30default_config_static_selectorELNS0_4arch9wavefront6targetE1EEEvT1_,"axG",@progbits,_ZN7rocprim17ROCPRIM_400000_NS6detail17trampoline_kernelINS0_14default_configENS1_20scan_config_selectorIfEEZZNS1_9scan_implILNS1_25lookback_scan_determinismE0ELb1ELb1ES3_N6thrust23THRUST_200600_302600_NS6detail15normal_iteratorINS9_10device_ptrIiEEEENSB_INSC_IfEEEEfNS9_4plusIvEEfEEDaPvRmT3_T4_T5_mT6_P12ihipStream_tbENKUlT_T0_E_clISt17integral_constantIbLb0EESV_IbLb1EEEEDaSR_SS_EUlSR_E_NS1_11comp_targetILNS1_3genE10ELNS1_11target_archE1201ELNS1_3gpuE5ELNS1_3repE0EEENS1_30default_config_static_selectorELNS0_4arch9wavefront6targetE1EEEvT1_,comdat
.Lfunc_end1773:
	.size	_ZN7rocprim17ROCPRIM_400000_NS6detail17trampoline_kernelINS0_14default_configENS1_20scan_config_selectorIfEEZZNS1_9scan_implILNS1_25lookback_scan_determinismE0ELb1ELb1ES3_N6thrust23THRUST_200600_302600_NS6detail15normal_iteratorINS9_10device_ptrIiEEEENSB_INSC_IfEEEEfNS9_4plusIvEEfEEDaPvRmT3_T4_T5_mT6_P12ihipStream_tbENKUlT_T0_E_clISt17integral_constantIbLb0EESV_IbLb1EEEEDaSR_SS_EUlSR_E_NS1_11comp_targetILNS1_3genE10ELNS1_11target_archE1201ELNS1_3gpuE5ELNS1_3repE0EEENS1_30default_config_static_selectorELNS0_4arch9wavefront6targetE1EEEvT1_, .Lfunc_end1773-_ZN7rocprim17ROCPRIM_400000_NS6detail17trampoline_kernelINS0_14default_configENS1_20scan_config_selectorIfEEZZNS1_9scan_implILNS1_25lookback_scan_determinismE0ELb1ELb1ES3_N6thrust23THRUST_200600_302600_NS6detail15normal_iteratorINS9_10device_ptrIiEEEENSB_INSC_IfEEEEfNS9_4plusIvEEfEEDaPvRmT3_T4_T5_mT6_P12ihipStream_tbENKUlT_T0_E_clISt17integral_constantIbLb0EESV_IbLb1EEEEDaSR_SS_EUlSR_E_NS1_11comp_targetILNS1_3genE10ELNS1_11target_archE1201ELNS1_3gpuE5ELNS1_3repE0EEENS1_30default_config_static_selectorELNS0_4arch9wavefront6targetE1EEEvT1_
                                        ; -- End function
	.section	.AMDGPU.csdata,"",@progbits
; Kernel info:
; codeLenInByte = 0
; NumSgprs: 4
; NumVgprs: 0
; NumAgprs: 0
; TotalNumVgprs: 0
; ScratchSize: 0
; MemoryBound: 0
; FloatMode: 240
; IeeeMode: 1
; LDSByteSize: 0 bytes/workgroup (compile time only)
; SGPRBlocks: 0
; VGPRBlocks: 0
; NumSGPRsForWavesPerEU: 4
; NumVGPRsForWavesPerEU: 1
; AccumOffset: 4
; Occupancy: 8
; WaveLimiterHint : 0
; COMPUTE_PGM_RSRC2:SCRATCH_EN: 0
; COMPUTE_PGM_RSRC2:USER_SGPR: 6
; COMPUTE_PGM_RSRC2:TRAP_HANDLER: 0
; COMPUTE_PGM_RSRC2:TGID_X_EN: 1
; COMPUTE_PGM_RSRC2:TGID_Y_EN: 0
; COMPUTE_PGM_RSRC2:TGID_Z_EN: 0
; COMPUTE_PGM_RSRC2:TIDIG_COMP_CNT: 0
; COMPUTE_PGM_RSRC3_GFX90A:ACCUM_OFFSET: 0
; COMPUTE_PGM_RSRC3_GFX90A:TG_SPLIT: 0
	.section	.text._ZN7rocprim17ROCPRIM_400000_NS6detail17trampoline_kernelINS0_14default_configENS1_20scan_config_selectorIfEEZZNS1_9scan_implILNS1_25lookback_scan_determinismE0ELb1ELb1ES3_N6thrust23THRUST_200600_302600_NS6detail15normal_iteratorINS9_10device_ptrIiEEEENSB_INSC_IfEEEEfNS9_4plusIvEEfEEDaPvRmT3_T4_T5_mT6_P12ihipStream_tbENKUlT_T0_E_clISt17integral_constantIbLb0EESV_IbLb1EEEEDaSR_SS_EUlSR_E_NS1_11comp_targetILNS1_3genE10ELNS1_11target_archE1200ELNS1_3gpuE4ELNS1_3repE0EEENS1_30default_config_static_selectorELNS0_4arch9wavefront6targetE1EEEvT1_,"axG",@progbits,_ZN7rocprim17ROCPRIM_400000_NS6detail17trampoline_kernelINS0_14default_configENS1_20scan_config_selectorIfEEZZNS1_9scan_implILNS1_25lookback_scan_determinismE0ELb1ELb1ES3_N6thrust23THRUST_200600_302600_NS6detail15normal_iteratorINS9_10device_ptrIiEEEENSB_INSC_IfEEEEfNS9_4plusIvEEfEEDaPvRmT3_T4_T5_mT6_P12ihipStream_tbENKUlT_T0_E_clISt17integral_constantIbLb0EESV_IbLb1EEEEDaSR_SS_EUlSR_E_NS1_11comp_targetILNS1_3genE10ELNS1_11target_archE1200ELNS1_3gpuE4ELNS1_3repE0EEENS1_30default_config_static_selectorELNS0_4arch9wavefront6targetE1EEEvT1_,comdat
	.protected	_ZN7rocprim17ROCPRIM_400000_NS6detail17trampoline_kernelINS0_14default_configENS1_20scan_config_selectorIfEEZZNS1_9scan_implILNS1_25lookback_scan_determinismE0ELb1ELb1ES3_N6thrust23THRUST_200600_302600_NS6detail15normal_iteratorINS9_10device_ptrIiEEEENSB_INSC_IfEEEEfNS9_4plusIvEEfEEDaPvRmT3_T4_T5_mT6_P12ihipStream_tbENKUlT_T0_E_clISt17integral_constantIbLb0EESV_IbLb1EEEEDaSR_SS_EUlSR_E_NS1_11comp_targetILNS1_3genE10ELNS1_11target_archE1200ELNS1_3gpuE4ELNS1_3repE0EEENS1_30default_config_static_selectorELNS0_4arch9wavefront6targetE1EEEvT1_ ; -- Begin function _ZN7rocprim17ROCPRIM_400000_NS6detail17trampoline_kernelINS0_14default_configENS1_20scan_config_selectorIfEEZZNS1_9scan_implILNS1_25lookback_scan_determinismE0ELb1ELb1ES3_N6thrust23THRUST_200600_302600_NS6detail15normal_iteratorINS9_10device_ptrIiEEEENSB_INSC_IfEEEEfNS9_4plusIvEEfEEDaPvRmT3_T4_T5_mT6_P12ihipStream_tbENKUlT_T0_E_clISt17integral_constantIbLb0EESV_IbLb1EEEEDaSR_SS_EUlSR_E_NS1_11comp_targetILNS1_3genE10ELNS1_11target_archE1200ELNS1_3gpuE4ELNS1_3repE0EEENS1_30default_config_static_selectorELNS0_4arch9wavefront6targetE1EEEvT1_
	.globl	_ZN7rocprim17ROCPRIM_400000_NS6detail17trampoline_kernelINS0_14default_configENS1_20scan_config_selectorIfEEZZNS1_9scan_implILNS1_25lookback_scan_determinismE0ELb1ELb1ES3_N6thrust23THRUST_200600_302600_NS6detail15normal_iteratorINS9_10device_ptrIiEEEENSB_INSC_IfEEEEfNS9_4plusIvEEfEEDaPvRmT3_T4_T5_mT6_P12ihipStream_tbENKUlT_T0_E_clISt17integral_constantIbLb0EESV_IbLb1EEEEDaSR_SS_EUlSR_E_NS1_11comp_targetILNS1_3genE10ELNS1_11target_archE1200ELNS1_3gpuE4ELNS1_3repE0EEENS1_30default_config_static_selectorELNS0_4arch9wavefront6targetE1EEEvT1_
	.p2align	8
	.type	_ZN7rocprim17ROCPRIM_400000_NS6detail17trampoline_kernelINS0_14default_configENS1_20scan_config_selectorIfEEZZNS1_9scan_implILNS1_25lookback_scan_determinismE0ELb1ELb1ES3_N6thrust23THRUST_200600_302600_NS6detail15normal_iteratorINS9_10device_ptrIiEEEENSB_INSC_IfEEEEfNS9_4plusIvEEfEEDaPvRmT3_T4_T5_mT6_P12ihipStream_tbENKUlT_T0_E_clISt17integral_constantIbLb0EESV_IbLb1EEEEDaSR_SS_EUlSR_E_NS1_11comp_targetILNS1_3genE10ELNS1_11target_archE1200ELNS1_3gpuE4ELNS1_3repE0EEENS1_30default_config_static_selectorELNS0_4arch9wavefront6targetE1EEEvT1_,@function
_ZN7rocprim17ROCPRIM_400000_NS6detail17trampoline_kernelINS0_14default_configENS1_20scan_config_selectorIfEEZZNS1_9scan_implILNS1_25lookback_scan_determinismE0ELb1ELb1ES3_N6thrust23THRUST_200600_302600_NS6detail15normal_iteratorINS9_10device_ptrIiEEEENSB_INSC_IfEEEEfNS9_4plusIvEEfEEDaPvRmT3_T4_T5_mT6_P12ihipStream_tbENKUlT_T0_E_clISt17integral_constantIbLb0EESV_IbLb1EEEEDaSR_SS_EUlSR_E_NS1_11comp_targetILNS1_3genE10ELNS1_11target_archE1200ELNS1_3gpuE4ELNS1_3repE0EEENS1_30default_config_static_selectorELNS0_4arch9wavefront6targetE1EEEvT1_: ; @_ZN7rocprim17ROCPRIM_400000_NS6detail17trampoline_kernelINS0_14default_configENS1_20scan_config_selectorIfEEZZNS1_9scan_implILNS1_25lookback_scan_determinismE0ELb1ELb1ES3_N6thrust23THRUST_200600_302600_NS6detail15normal_iteratorINS9_10device_ptrIiEEEENSB_INSC_IfEEEEfNS9_4plusIvEEfEEDaPvRmT3_T4_T5_mT6_P12ihipStream_tbENKUlT_T0_E_clISt17integral_constantIbLb0EESV_IbLb1EEEEDaSR_SS_EUlSR_E_NS1_11comp_targetILNS1_3genE10ELNS1_11target_archE1200ELNS1_3gpuE4ELNS1_3repE0EEENS1_30default_config_static_selectorELNS0_4arch9wavefront6targetE1EEEvT1_
; %bb.0:
	.section	.rodata,"a",@progbits
	.p2align	6, 0x0
	.amdhsa_kernel _ZN7rocprim17ROCPRIM_400000_NS6detail17trampoline_kernelINS0_14default_configENS1_20scan_config_selectorIfEEZZNS1_9scan_implILNS1_25lookback_scan_determinismE0ELb1ELb1ES3_N6thrust23THRUST_200600_302600_NS6detail15normal_iteratorINS9_10device_ptrIiEEEENSB_INSC_IfEEEEfNS9_4plusIvEEfEEDaPvRmT3_T4_T5_mT6_P12ihipStream_tbENKUlT_T0_E_clISt17integral_constantIbLb0EESV_IbLb1EEEEDaSR_SS_EUlSR_E_NS1_11comp_targetILNS1_3genE10ELNS1_11target_archE1200ELNS1_3gpuE4ELNS1_3repE0EEENS1_30default_config_static_selectorELNS0_4arch9wavefront6targetE1EEEvT1_
		.amdhsa_group_segment_fixed_size 0
		.amdhsa_private_segment_fixed_size 0
		.amdhsa_kernarg_size 96
		.amdhsa_user_sgpr_count 6
		.amdhsa_user_sgpr_private_segment_buffer 1
		.amdhsa_user_sgpr_dispatch_ptr 0
		.amdhsa_user_sgpr_queue_ptr 0
		.amdhsa_user_sgpr_kernarg_segment_ptr 1
		.amdhsa_user_sgpr_dispatch_id 0
		.amdhsa_user_sgpr_flat_scratch_init 0
		.amdhsa_user_sgpr_kernarg_preload_length 0
		.amdhsa_user_sgpr_kernarg_preload_offset 0
		.amdhsa_user_sgpr_private_segment_size 0
		.amdhsa_uses_dynamic_stack 0
		.amdhsa_system_sgpr_private_segment_wavefront_offset 0
		.amdhsa_system_sgpr_workgroup_id_x 1
		.amdhsa_system_sgpr_workgroup_id_y 0
		.amdhsa_system_sgpr_workgroup_id_z 0
		.amdhsa_system_sgpr_workgroup_info 0
		.amdhsa_system_vgpr_workitem_id 0
		.amdhsa_next_free_vgpr 1
		.amdhsa_next_free_sgpr 0
		.amdhsa_accum_offset 4
		.amdhsa_reserve_vcc 0
		.amdhsa_reserve_flat_scratch 0
		.amdhsa_float_round_mode_32 0
		.amdhsa_float_round_mode_16_64 0
		.amdhsa_float_denorm_mode_32 3
		.amdhsa_float_denorm_mode_16_64 3
		.amdhsa_dx10_clamp 1
		.amdhsa_ieee_mode 1
		.amdhsa_fp16_overflow 0
		.amdhsa_tg_split 0
		.amdhsa_exception_fp_ieee_invalid_op 0
		.amdhsa_exception_fp_denorm_src 0
		.amdhsa_exception_fp_ieee_div_zero 0
		.amdhsa_exception_fp_ieee_overflow 0
		.amdhsa_exception_fp_ieee_underflow 0
		.amdhsa_exception_fp_ieee_inexact 0
		.amdhsa_exception_int_div_zero 0
	.end_amdhsa_kernel
	.section	.text._ZN7rocprim17ROCPRIM_400000_NS6detail17trampoline_kernelINS0_14default_configENS1_20scan_config_selectorIfEEZZNS1_9scan_implILNS1_25lookback_scan_determinismE0ELb1ELb1ES3_N6thrust23THRUST_200600_302600_NS6detail15normal_iteratorINS9_10device_ptrIiEEEENSB_INSC_IfEEEEfNS9_4plusIvEEfEEDaPvRmT3_T4_T5_mT6_P12ihipStream_tbENKUlT_T0_E_clISt17integral_constantIbLb0EESV_IbLb1EEEEDaSR_SS_EUlSR_E_NS1_11comp_targetILNS1_3genE10ELNS1_11target_archE1200ELNS1_3gpuE4ELNS1_3repE0EEENS1_30default_config_static_selectorELNS0_4arch9wavefront6targetE1EEEvT1_,"axG",@progbits,_ZN7rocprim17ROCPRIM_400000_NS6detail17trampoline_kernelINS0_14default_configENS1_20scan_config_selectorIfEEZZNS1_9scan_implILNS1_25lookback_scan_determinismE0ELb1ELb1ES3_N6thrust23THRUST_200600_302600_NS6detail15normal_iteratorINS9_10device_ptrIiEEEENSB_INSC_IfEEEEfNS9_4plusIvEEfEEDaPvRmT3_T4_T5_mT6_P12ihipStream_tbENKUlT_T0_E_clISt17integral_constantIbLb0EESV_IbLb1EEEEDaSR_SS_EUlSR_E_NS1_11comp_targetILNS1_3genE10ELNS1_11target_archE1200ELNS1_3gpuE4ELNS1_3repE0EEENS1_30default_config_static_selectorELNS0_4arch9wavefront6targetE1EEEvT1_,comdat
.Lfunc_end1774:
	.size	_ZN7rocprim17ROCPRIM_400000_NS6detail17trampoline_kernelINS0_14default_configENS1_20scan_config_selectorIfEEZZNS1_9scan_implILNS1_25lookback_scan_determinismE0ELb1ELb1ES3_N6thrust23THRUST_200600_302600_NS6detail15normal_iteratorINS9_10device_ptrIiEEEENSB_INSC_IfEEEEfNS9_4plusIvEEfEEDaPvRmT3_T4_T5_mT6_P12ihipStream_tbENKUlT_T0_E_clISt17integral_constantIbLb0EESV_IbLb1EEEEDaSR_SS_EUlSR_E_NS1_11comp_targetILNS1_3genE10ELNS1_11target_archE1200ELNS1_3gpuE4ELNS1_3repE0EEENS1_30default_config_static_selectorELNS0_4arch9wavefront6targetE1EEEvT1_, .Lfunc_end1774-_ZN7rocprim17ROCPRIM_400000_NS6detail17trampoline_kernelINS0_14default_configENS1_20scan_config_selectorIfEEZZNS1_9scan_implILNS1_25lookback_scan_determinismE0ELb1ELb1ES3_N6thrust23THRUST_200600_302600_NS6detail15normal_iteratorINS9_10device_ptrIiEEEENSB_INSC_IfEEEEfNS9_4plusIvEEfEEDaPvRmT3_T4_T5_mT6_P12ihipStream_tbENKUlT_T0_E_clISt17integral_constantIbLb0EESV_IbLb1EEEEDaSR_SS_EUlSR_E_NS1_11comp_targetILNS1_3genE10ELNS1_11target_archE1200ELNS1_3gpuE4ELNS1_3repE0EEENS1_30default_config_static_selectorELNS0_4arch9wavefront6targetE1EEEvT1_
                                        ; -- End function
	.section	.AMDGPU.csdata,"",@progbits
; Kernel info:
; codeLenInByte = 0
; NumSgprs: 4
; NumVgprs: 0
; NumAgprs: 0
; TotalNumVgprs: 0
; ScratchSize: 0
; MemoryBound: 0
; FloatMode: 240
; IeeeMode: 1
; LDSByteSize: 0 bytes/workgroup (compile time only)
; SGPRBlocks: 0
; VGPRBlocks: 0
; NumSGPRsForWavesPerEU: 4
; NumVGPRsForWavesPerEU: 1
; AccumOffset: 4
; Occupancy: 8
; WaveLimiterHint : 0
; COMPUTE_PGM_RSRC2:SCRATCH_EN: 0
; COMPUTE_PGM_RSRC2:USER_SGPR: 6
; COMPUTE_PGM_RSRC2:TRAP_HANDLER: 0
; COMPUTE_PGM_RSRC2:TGID_X_EN: 1
; COMPUTE_PGM_RSRC2:TGID_Y_EN: 0
; COMPUTE_PGM_RSRC2:TGID_Z_EN: 0
; COMPUTE_PGM_RSRC2:TIDIG_COMP_CNT: 0
; COMPUTE_PGM_RSRC3_GFX90A:ACCUM_OFFSET: 0
; COMPUTE_PGM_RSRC3_GFX90A:TG_SPLIT: 0
	.section	.text._ZN7rocprim17ROCPRIM_400000_NS6detail17trampoline_kernelINS0_14default_configENS1_20scan_config_selectorIfEEZZNS1_9scan_implILNS1_25lookback_scan_determinismE0ELb1ELb1ES3_N6thrust23THRUST_200600_302600_NS6detail15normal_iteratorINS9_10device_ptrIiEEEENSB_INSC_IfEEEEfNS9_4plusIvEEfEEDaPvRmT3_T4_T5_mT6_P12ihipStream_tbENKUlT_T0_E_clISt17integral_constantIbLb0EESV_IbLb1EEEEDaSR_SS_EUlSR_E_NS1_11comp_targetILNS1_3genE9ELNS1_11target_archE1100ELNS1_3gpuE3ELNS1_3repE0EEENS1_30default_config_static_selectorELNS0_4arch9wavefront6targetE1EEEvT1_,"axG",@progbits,_ZN7rocprim17ROCPRIM_400000_NS6detail17trampoline_kernelINS0_14default_configENS1_20scan_config_selectorIfEEZZNS1_9scan_implILNS1_25lookback_scan_determinismE0ELb1ELb1ES3_N6thrust23THRUST_200600_302600_NS6detail15normal_iteratorINS9_10device_ptrIiEEEENSB_INSC_IfEEEEfNS9_4plusIvEEfEEDaPvRmT3_T4_T5_mT6_P12ihipStream_tbENKUlT_T0_E_clISt17integral_constantIbLb0EESV_IbLb1EEEEDaSR_SS_EUlSR_E_NS1_11comp_targetILNS1_3genE9ELNS1_11target_archE1100ELNS1_3gpuE3ELNS1_3repE0EEENS1_30default_config_static_selectorELNS0_4arch9wavefront6targetE1EEEvT1_,comdat
	.protected	_ZN7rocprim17ROCPRIM_400000_NS6detail17trampoline_kernelINS0_14default_configENS1_20scan_config_selectorIfEEZZNS1_9scan_implILNS1_25lookback_scan_determinismE0ELb1ELb1ES3_N6thrust23THRUST_200600_302600_NS6detail15normal_iteratorINS9_10device_ptrIiEEEENSB_INSC_IfEEEEfNS9_4plusIvEEfEEDaPvRmT3_T4_T5_mT6_P12ihipStream_tbENKUlT_T0_E_clISt17integral_constantIbLb0EESV_IbLb1EEEEDaSR_SS_EUlSR_E_NS1_11comp_targetILNS1_3genE9ELNS1_11target_archE1100ELNS1_3gpuE3ELNS1_3repE0EEENS1_30default_config_static_selectorELNS0_4arch9wavefront6targetE1EEEvT1_ ; -- Begin function _ZN7rocprim17ROCPRIM_400000_NS6detail17trampoline_kernelINS0_14default_configENS1_20scan_config_selectorIfEEZZNS1_9scan_implILNS1_25lookback_scan_determinismE0ELb1ELb1ES3_N6thrust23THRUST_200600_302600_NS6detail15normal_iteratorINS9_10device_ptrIiEEEENSB_INSC_IfEEEEfNS9_4plusIvEEfEEDaPvRmT3_T4_T5_mT6_P12ihipStream_tbENKUlT_T0_E_clISt17integral_constantIbLb0EESV_IbLb1EEEEDaSR_SS_EUlSR_E_NS1_11comp_targetILNS1_3genE9ELNS1_11target_archE1100ELNS1_3gpuE3ELNS1_3repE0EEENS1_30default_config_static_selectorELNS0_4arch9wavefront6targetE1EEEvT1_
	.globl	_ZN7rocprim17ROCPRIM_400000_NS6detail17trampoline_kernelINS0_14default_configENS1_20scan_config_selectorIfEEZZNS1_9scan_implILNS1_25lookback_scan_determinismE0ELb1ELb1ES3_N6thrust23THRUST_200600_302600_NS6detail15normal_iteratorINS9_10device_ptrIiEEEENSB_INSC_IfEEEEfNS9_4plusIvEEfEEDaPvRmT3_T4_T5_mT6_P12ihipStream_tbENKUlT_T0_E_clISt17integral_constantIbLb0EESV_IbLb1EEEEDaSR_SS_EUlSR_E_NS1_11comp_targetILNS1_3genE9ELNS1_11target_archE1100ELNS1_3gpuE3ELNS1_3repE0EEENS1_30default_config_static_selectorELNS0_4arch9wavefront6targetE1EEEvT1_
	.p2align	8
	.type	_ZN7rocprim17ROCPRIM_400000_NS6detail17trampoline_kernelINS0_14default_configENS1_20scan_config_selectorIfEEZZNS1_9scan_implILNS1_25lookback_scan_determinismE0ELb1ELb1ES3_N6thrust23THRUST_200600_302600_NS6detail15normal_iteratorINS9_10device_ptrIiEEEENSB_INSC_IfEEEEfNS9_4plusIvEEfEEDaPvRmT3_T4_T5_mT6_P12ihipStream_tbENKUlT_T0_E_clISt17integral_constantIbLb0EESV_IbLb1EEEEDaSR_SS_EUlSR_E_NS1_11comp_targetILNS1_3genE9ELNS1_11target_archE1100ELNS1_3gpuE3ELNS1_3repE0EEENS1_30default_config_static_selectorELNS0_4arch9wavefront6targetE1EEEvT1_,@function
_ZN7rocprim17ROCPRIM_400000_NS6detail17trampoline_kernelINS0_14default_configENS1_20scan_config_selectorIfEEZZNS1_9scan_implILNS1_25lookback_scan_determinismE0ELb1ELb1ES3_N6thrust23THRUST_200600_302600_NS6detail15normal_iteratorINS9_10device_ptrIiEEEENSB_INSC_IfEEEEfNS9_4plusIvEEfEEDaPvRmT3_T4_T5_mT6_P12ihipStream_tbENKUlT_T0_E_clISt17integral_constantIbLb0EESV_IbLb1EEEEDaSR_SS_EUlSR_E_NS1_11comp_targetILNS1_3genE9ELNS1_11target_archE1100ELNS1_3gpuE3ELNS1_3repE0EEENS1_30default_config_static_selectorELNS0_4arch9wavefront6targetE1EEEvT1_: ; @_ZN7rocprim17ROCPRIM_400000_NS6detail17trampoline_kernelINS0_14default_configENS1_20scan_config_selectorIfEEZZNS1_9scan_implILNS1_25lookback_scan_determinismE0ELb1ELb1ES3_N6thrust23THRUST_200600_302600_NS6detail15normal_iteratorINS9_10device_ptrIiEEEENSB_INSC_IfEEEEfNS9_4plusIvEEfEEDaPvRmT3_T4_T5_mT6_P12ihipStream_tbENKUlT_T0_E_clISt17integral_constantIbLb0EESV_IbLb1EEEEDaSR_SS_EUlSR_E_NS1_11comp_targetILNS1_3genE9ELNS1_11target_archE1100ELNS1_3gpuE3ELNS1_3repE0EEENS1_30default_config_static_selectorELNS0_4arch9wavefront6targetE1EEEvT1_
; %bb.0:
	.section	.rodata,"a",@progbits
	.p2align	6, 0x0
	.amdhsa_kernel _ZN7rocprim17ROCPRIM_400000_NS6detail17trampoline_kernelINS0_14default_configENS1_20scan_config_selectorIfEEZZNS1_9scan_implILNS1_25lookback_scan_determinismE0ELb1ELb1ES3_N6thrust23THRUST_200600_302600_NS6detail15normal_iteratorINS9_10device_ptrIiEEEENSB_INSC_IfEEEEfNS9_4plusIvEEfEEDaPvRmT3_T4_T5_mT6_P12ihipStream_tbENKUlT_T0_E_clISt17integral_constantIbLb0EESV_IbLb1EEEEDaSR_SS_EUlSR_E_NS1_11comp_targetILNS1_3genE9ELNS1_11target_archE1100ELNS1_3gpuE3ELNS1_3repE0EEENS1_30default_config_static_selectorELNS0_4arch9wavefront6targetE1EEEvT1_
		.amdhsa_group_segment_fixed_size 0
		.amdhsa_private_segment_fixed_size 0
		.amdhsa_kernarg_size 96
		.amdhsa_user_sgpr_count 6
		.amdhsa_user_sgpr_private_segment_buffer 1
		.amdhsa_user_sgpr_dispatch_ptr 0
		.amdhsa_user_sgpr_queue_ptr 0
		.amdhsa_user_sgpr_kernarg_segment_ptr 1
		.amdhsa_user_sgpr_dispatch_id 0
		.amdhsa_user_sgpr_flat_scratch_init 0
		.amdhsa_user_sgpr_kernarg_preload_length 0
		.amdhsa_user_sgpr_kernarg_preload_offset 0
		.amdhsa_user_sgpr_private_segment_size 0
		.amdhsa_uses_dynamic_stack 0
		.amdhsa_system_sgpr_private_segment_wavefront_offset 0
		.amdhsa_system_sgpr_workgroup_id_x 1
		.amdhsa_system_sgpr_workgroup_id_y 0
		.amdhsa_system_sgpr_workgroup_id_z 0
		.amdhsa_system_sgpr_workgroup_info 0
		.amdhsa_system_vgpr_workitem_id 0
		.amdhsa_next_free_vgpr 1
		.amdhsa_next_free_sgpr 0
		.amdhsa_accum_offset 4
		.amdhsa_reserve_vcc 0
		.amdhsa_reserve_flat_scratch 0
		.amdhsa_float_round_mode_32 0
		.amdhsa_float_round_mode_16_64 0
		.amdhsa_float_denorm_mode_32 3
		.amdhsa_float_denorm_mode_16_64 3
		.amdhsa_dx10_clamp 1
		.amdhsa_ieee_mode 1
		.amdhsa_fp16_overflow 0
		.amdhsa_tg_split 0
		.amdhsa_exception_fp_ieee_invalid_op 0
		.amdhsa_exception_fp_denorm_src 0
		.amdhsa_exception_fp_ieee_div_zero 0
		.amdhsa_exception_fp_ieee_overflow 0
		.amdhsa_exception_fp_ieee_underflow 0
		.amdhsa_exception_fp_ieee_inexact 0
		.amdhsa_exception_int_div_zero 0
	.end_amdhsa_kernel
	.section	.text._ZN7rocprim17ROCPRIM_400000_NS6detail17trampoline_kernelINS0_14default_configENS1_20scan_config_selectorIfEEZZNS1_9scan_implILNS1_25lookback_scan_determinismE0ELb1ELb1ES3_N6thrust23THRUST_200600_302600_NS6detail15normal_iteratorINS9_10device_ptrIiEEEENSB_INSC_IfEEEEfNS9_4plusIvEEfEEDaPvRmT3_T4_T5_mT6_P12ihipStream_tbENKUlT_T0_E_clISt17integral_constantIbLb0EESV_IbLb1EEEEDaSR_SS_EUlSR_E_NS1_11comp_targetILNS1_3genE9ELNS1_11target_archE1100ELNS1_3gpuE3ELNS1_3repE0EEENS1_30default_config_static_selectorELNS0_4arch9wavefront6targetE1EEEvT1_,"axG",@progbits,_ZN7rocprim17ROCPRIM_400000_NS6detail17trampoline_kernelINS0_14default_configENS1_20scan_config_selectorIfEEZZNS1_9scan_implILNS1_25lookback_scan_determinismE0ELb1ELb1ES3_N6thrust23THRUST_200600_302600_NS6detail15normal_iteratorINS9_10device_ptrIiEEEENSB_INSC_IfEEEEfNS9_4plusIvEEfEEDaPvRmT3_T4_T5_mT6_P12ihipStream_tbENKUlT_T0_E_clISt17integral_constantIbLb0EESV_IbLb1EEEEDaSR_SS_EUlSR_E_NS1_11comp_targetILNS1_3genE9ELNS1_11target_archE1100ELNS1_3gpuE3ELNS1_3repE0EEENS1_30default_config_static_selectorELNS0_4arch9wavefront6targetE1EEEvT1_,comdat
.Lfunc_end1775:
	.size	_ZN7rocprim17ROCPRIM_400000_NS6detail17trampoline_kernelINS0_14default_configENS1_20scan_config_selectorIfEEZZNS1_9scan_implILNS1_25lookback_scan_determinismE0ELb1ELb1ES3_N6thrust23THRUST_200600_302600_NS6detail15normal_iteratorINS9_10device_ptrIiEEEENSB_INSC_IfEEEEfNS9_4plusIvEEfEEDaPvRmT3_T4_T5_mT6_P12ihipStream_tbENKUlT_T0_E_clISt17integral_constantIbLb0EESV_IbLb1EEEEDaSR_SS_EUlSR_E_NS1_11comp_targetILNS1_3genE9ELNS1_11target_archE1100ELNS1_3gpuE3ELNS1_3repE0EEENS1_30default_config_static_selectorELNS0_4arch9wavefront6targetE1EEEvT1_, .Lfunc_end1775-_ZN7rocprim17ROCPRIM_400000_NS6detail17trampoline_kernelINS0_14default_configENS1_20scan_config_selectorIfEEZZNS1_9scan_implILNS1_25lookback_scan_determinismE0ELb1ELb1ES3_N6thrust23THRUST_200600_302600_NS6detail15normal_iteratorINS9_10device_ptrIiEEEENSB_INSC_IfEEEEfNS9_4plusIvEEfEEDaPvRmT3_T4_T5_mT6_P12ihipStream_tbENKUlT_T0_E_clISt17integral_constantIbLb0EESV_IbLb1EEEEDaSR_SS_EUlSR_E_NS1_11comp_targetILNS1_3genE9ELNS1_11target_archE1100ELNS1_3gpuE3ELNS1_3repE0EEENS1_30default_config_static_selectorELNS0_4arch9wavefront6targetE1EEEvT1_
                                        ; -- End function
	.section	.AMDGPU.csdata,"",@progbits
; Kernel info:
; codeLenInByte = 0
; NumSgprs: 4
; NumVgprs: 0
; NumAgprs: 0
; TotalNumVgprs: 0
; ScratchSize: 0
; MemoryBound: 0
; FloatMode: 240
; IeeeMode: 1
; LDSByteSize: 0 bytes/workgroup (compile time only)
; SGPRBlocks: 0
; VGPRBlocks: 0
; NumSGPRsForWavesPerEU: 4
; NumVGPRsForWavesPerEU: 1
; AccumOffset: 4
; Occupancy: 8
; WaveLimiterHint : 0
; COMPUTE_PGM_RSRC2:SCRATCH_EN: 0
; COMPUTE_PGM_RSRC2:USER_SGPR: 6
; COMPUTE_PGM_RSRC2:TRAP_HANDLER: 0
; COMPUTE_PGM_RSRC2:TGID_X_EN: 1
; COMPUTE_PGM_RSRC2:TGID_Y_EN: 0
; COMPUTE_PGM_RSRC2:TGID_Z_EN: 0
; COMPUTE_PGM_RSRC2:TIDIG_COMP_CNT: 0
; COMPUTE_PGM_RSRC3_GFX90A:ACCUM_OFFSET: 0
; COMPUTE_PGM_RSRC3_GFX90A:TG_SPLIT: 0
	.section	.text._ZN7rocprim17ROCPRIM_400000_NS6detail17trampoline_kernelINS0_14default_configENS1_20scan_config_selectorIfEEZZNS1_9scan_implILNS1_25lookback_scan_determinismE0ELb1ELb1ES3_N6thrust23THRUST_200600_302600_NS6detail15normal_iteratorINS9_10device_ptrIiEEEENSB_INSC_IfEEEEfNS9_4plusIvEEfEEDaPvRmT3_T4_T5_mT6_P12ihipStream_tbENKUlT_T0_E_clISt17integral_constantIbLb0EESV_IbLb1EEEEDaSR_SS_EUlSR_E_NS1_11comp_targetILNS1_3genE8ELNS1_11target_archE1030ELNS1_3gpuE2ELNS1_3repE0EEENS1_30default_config_static_selectorELNS0_4arch9wavefront6targetE1EEEvT1_,"axG",@progbits,_ZN7rocprim17ROCPRIM_400000_NS6detail17trampoline_kernelINS0_14default_configENS1_20scan_config_selectorIfEEZZNS1_9scan_implILNS1_25lookback_scan_determinismE0ELb1ELb1ES3_N6thrust23THRUST_200600_302600_NS6detail15normal_iteratorINS9_10device_ptrIiEEEENSB_INSC_IfEEEEfNS9_4plusIvEEfEEDaPvRmT3_T4_T5_mT6_P12ihipStream_tbENKUlT_T0_E_clISt17integral_constantIbLb0EESV_IbLb1EEEEDaSR_SS_EUlSR_E_NS1_11comp_targetILNS1_3genE8ELNS1_11target_archE1030ELNS1_3gpuE2ELNS1_3repE0EEENS1_30default_config_static_selectorELNS0_4arch9wavefront6targetE1EEEvT1_,comdat
	.protected	_ZN7rocprim17ROCPRIM_400000_NS6detail17trampoline_kernelINS0_14default_configENS1_20scan_config_selectorIfEEZZNS1_9scan_implILNS1_25lookback_scan_determinismE0ELb1ELb1ES3_N6thrust23THRUST_200600_302600_NS6detail15normal_iteratorINS9_10device_ptrIiEEEENSB_INSC_IfEEEEfNS9_4plusIvEEfEEDaPvRmT3_T4_T5_mT6_P12ihipStream_tbENKUlT_T0_E_clISt17integral_constantIbLb0EESV_IbLb1EEEEDaSR_SS_EUlSR_E_NS1_11comp_targetILNS1_3genE8ELNS1_11target_archE1030ELNS1_3gpuE2ELNS1_3repE0EEENS1_30default_config_static_selectorELNS0_4arch9wavefront6targetE1EEEvT1_ ; -- Begin function _ZN7rocprim17ROCPRIM_400000_NS6detail17trampoline_kernelINS0_14default_configENS1_20scan_config_selectorIfEEZZNS1_9scan_implILNS1_25lookback_scan_determinismE0ELb1ELb1ES3_N6thrust23THRUST_200600_302600_NS6detail15normal_iteratorINS9_10device_ptrIiEEEENSB_INSC_IfEEEEfNS9_4plusIvEEfEEDaPvRmT3_T4_T5_mT6_P12ihipStream_tbENKUlT_T0_E_clISt17integral_constantIbLb0EESV_IbLb1EEEEDaSR_SS_EUlSR_E_NS1_11comp_targetILNS1_3genE8ELNS1_11target_archE1030ELNS1_3gpuE2ELNS1_3repE0EEENS1_30default_config_static_selectorELNS0_4arch9wavefront6targetE1EEEvT1_
	.globl	_ZN7rocprim17ROCPRIM_400000_NS6detail17trampoline_kernelINS0_14default_configENS1_20scan_config_selectorIfEEZZNS1_9scan_implILNS1_25lookback_scan_determinismE0ELb1ELb1ES3_N6thrust23THRUST_200600_302600_NS6detail15normal_iteratorINS9_10device_ptrIiEEEENSB_INSC_IfEEEEfNS9_4plusIvEEfEEDaPvRmT3_T4_T5_mT6_P12ihipStream_tbENKUlT_T0_E_clISt17integral_constantIbLb0EESV_IbLb1EEEEDaSR_SS_EUlSR_E_NS1_11comp_targetILNS1_3genE8ELNS1_11target_archE1030ELNS1_3gpuE2ELNS1_3repE0EEENS1_30default_config_static_selectorELNS0_4arch9wavefront6targetE1EEEvT1_
	.p2align	8
	.type	_ZN7rocprim17ROCPRIM_400000_NS6detail17trampoline_kernelINS0_14default_configENS1_20scan_config_selectorIfEEZZNS1_9scan_implILNS1_25lookback_scan_determinismE0ELb1ELb1ES3_N6thrust23THRUST_200600_302600_NS6detail15normal_iteratorINS9_10device_ptrIiEEEENSB_INSC_IfEEEEfNS9_4plusIvEEfEEDaPvRmT3_T4_T5_mT6_P12ihipStream_tbENKUlT_T0_E_clISt17integral_constantIbLb0EESV_IbLb1EEEEDaSR_SS_EUlSR_E_NS1_11comp_targetILNS1_3genE8ELNS1_11target_archE1030ELNS1_3gpuE2ELNS1_3repE0EEENS1_30default_config_static_selectorELNS0_4arch9wavefront6targetE1EEEvT1_,@function
_ZN7rocprim17ROCPRIM_400000_NS6detail17trampoline_kernelINS0_14default_configENS1_20scan_config_selectorIfEEZZNS1_9scan_implILNS1_25lookback_scan_determinismE0ELb1ELb1ES3_N6thrust23THRUST_200600_302600_NS6detail15normal_iteratorINS9_10device_ptrIiEEEENSB_INSC_IfEEEEfNS9_4plusIvEEfEEDaPvRmT3_T4_T5_mT6_P12ihipStream_tbENKUlT_T0_E_clISt17integral_constantIbLb0EESV_IbLb1EEEEDaSR_SS_EUlSR_E_NS1_11comp_targetILNS1_3genE8ELNS1_11target_archE1030ELNS1_3gpuE2ELNS1_3repE0EEENS1_30default_config_static_selectorELNS0_4arch9wavefront6targetE1EEEvT1_: ; @_ZN7rocprim17ROCPRIM_400000_NS6detail17trampoline_kernelINS0_14default_configENS1_20scan_config_selectorIfEEZZNS1_9scan_implILNS1_25lookback_scan_determinismE0ELb1ELb1ES3_N6thrust23THRUST_200600_302600_NS6detail15normal_iteratorINS9_10device_ptrIiEEEENSB_INSC_IfEEEEfNS9_4plusIvEEfEEDaPvRmT3_T4_T5_mT6_P12ihipStream_tbENKUlT_T0_E_clISt17integral_constantIbLb0EESV_IbLb1EEEEDaSR_SS_EUlSR_E_NS1_11comp_targetILNS1_3genE8ELNS1_11target_archE1030ELNS1_3gpuE2ELNS1_3repE0EEENS1_30default_config_static_selectorELNS0_4arch9wavefront6targetE1EEEvT1_
; %bb.0:
	.section	.rodata,"a",@progbits
	.p2align	6, 0x0
	.amdhsa_kernel _ZN7rocprim17ROCPRIM_400000_NS6detail17trampoline_kernelINS0_14default_configENS1_20scan_config_selectorIfEEZZNS1_9scan_implILNS1_25lookback_scan_determinismE0ELb1ELb1ES3_N6thrust23THRUST_200600_302600_NS6detail15normal_iteratorINS9_10device_ptrIiEEEENSB_INSC_IfEEEEfNS9_4plusIvEEfEEDaPvRmT3_T4_T5_mT6_P12ihipStream_tbENKUlT_T0_E_clISt17integral_constantIbLb0EESV_IbLb1EEEEDaSR_SS_EUlSR_E_NS1_11comp_targetILNS1_3genE8ELNS1_11target_archE1030ELNS1_3gpuE2ELNS1_3repE0EEENS1_30default_config_static_selectorELNS0_4arch9wavefront6targetE1EEEvT1_
		.amdhsa_group_segment_fixed_size 0
		.amdhsa_private_segment_fixed_size 0
		.amdhsa_kernarg_size 96
		.amdhsa_user_sgpr_count 6
		.amdhsa_user_sgpr_private_segment_buffer 1
		.amdhsa_user_sgpr_dispatch_ptr 0
		.amdhsa_user_sgpr_queue_ptr 0
		.amdhsa_user_sgpr_kernarg_segment_ptr 1
		.amdhsa_user_sgpr_dispatch_id 0
		.amdhsa_user_sgpr_flat_scratch_init 0
		.amdhsa_user_sgpr_kernarg_preload_length 0
		.amdhsa_user_sgpr_kernarg_preload_offset 0
		.amdhsa_user_sgpr_private_segment_size 0
		.amdhsa_uses_dynamic_stack 0
		.amdhsa_system_sgpr_private_segment_wavefront_offset 0
		.amdhsa_system_sgpr_workgroup_id_x 1
		.amdhsa_system_sgpr_workgroup_id_y 0
		.amdhsa_system_sgpr_workgroup_id_z 0
		.amdhsa_system_sgpr_workgroup_info 0
		.amdhsa_system_vgpr_workitem_id 0
		.amdhsa_next_free_vgpr 1
		.amdhsa_next_free_sgpr 0
		.amdhsa_accum_offset 4
		.amdhsa_reserve_vcc 0
		.amdhsa_reserve_flat_scratch 0
		.amdhsa_float_round_mode_32 0
		.amdhsa_float_round_mode_16_64 0
		.amdhsa_float_denorm_mode_32 3
		.amdhsa_float_denorm_mode_16_64 3
		.amdhsa_dx10_clamp 1
		.amdhsa_ieee_mode 1
		.amdhsa_fp16_overflow 0
		.amdhsa_tg_split 0
		.amdhsa_exception_fp_ieee_invalid_op 0
		.amdhsa_exception_fp_denorm_src 0
		.amdhsa_exception_fp_ieee_div_zero 0
		.amdhsa_exception_fp_ieee_overflow 0
		.amdhsa_exception_fp_ieee_underflow 0
		.amdhsa_exception_fp_ieee_inexact 0
		.amdhsa_exception_int_div_zero 0
	.end_amdhsa_kernel
	.section	.text._ZN7rocprim17ROCPRIM_400000_NS6detail17trampoline_kernelINS0_14default_configENS1_20scan_config_selectorIfEEZZNS1_9scan_implILNS1_25lookback_scan_determinismE0ELb1ELb1ES3_N6thrust23THRUST_200600_302600_NS6detail15normal_iteratorINS9_10device_ptrIiEEEENSB_INSC_IfEEEEfNS9_4plusIvEEfEEDaPvRmT3_T4_T5_mT6_P12ihipStream_tbENKUlT_T0_E_clISt17integral_constantIbLb0EESV_IbLb1EEEEDaSR_SS_EUlSR_E_NS1_11comp_targetILNS1_3genE8ELNS1_11target_archE1030ELNS1_3gpuE2ELNS1_3repE0EEENS1_30default_config_static_selectorELNS0_4arch9wavefront6targetE1EEEvT1_,"axG",@progbits,_ZN7rocprim17ROCPRIM_400000_NS6detail17trampoline_kernelINS0_14default_configENS1_20scan_config_selectorIfEEZZNS1_9scan_implILNS1_25lookback_scan_determinismE0ELb1ELb1ES3_N6thrust23THRUST_200600_302600_NS6detail15normal_iteratorINS9_10device_ptrIiEEEENSB_INSC_IfEEEEfNS9_4plusIvEEfEEDaPvRmT3_T4_T5_mT6_P12ihipStream_tbENKUlT_T0_E_clISt17integral_constantIbLb0EESV_IbLb1EEEEDaSR_SS_EUlSR_E_NS1_11comp_targetILNS1_3genE8ELNS1_11target_archE1030ELNS1_3gpuE2ELNS1_3repE0EEENS1_30default_config_static_selectorELNS0_4arch9wavefront6targetE1EEEvT1_,comdat
.Lfunc_end1776:
	.size	_ZN7rocprim17ROCPRIM_400000_NS6detail17trampoline_kernelINS0_14default_configENS1_20scan_config_selectorIfEEZZNS1_9scan_implILNS1_25lookback_scan_determinismE0ELb1ELb1ES3_N6thrust23THRUST_200600_302600_NS6detail15normal_iteratorINS9_10device_ptrIiEEEENSB_INSC_IfEEEEfNS9_4plusIvEEfEEDaPvRmT3_T4_T5_mT6_P12ihipStream_tbENKUlT_T0_E_clISt17integral_constantIbLb0EESV_IbLb1EEEEDaSR_SS_EUlSR_E_NS1_11comp_targetILNS1_3genE8ELNS1_11target_archE1030ELNS1_3gpuE2ELNS1_3repE0EEENS1_30default_config_static_selectorELNS0_4arch9wavefront6targetE1EEEvT1_, .Lfunc_end1776-_ZN7rocprim17ROCPRIM_400000_NS6detail17trampoline_kernelINS0_14default_configENS1_20scan_config_selectorIfEEZZNS1_9scan_implILNS1_25lookback_scan_determinismE0ELb1ELb1ES3_N6thrust23THRUST_200600_302600_NS6detail15normal_iteratorINS9_10device_ptrIiEEEENSB_INSC_IfEEEEfNS9_4plusIvEEfEEDaPvRmT3_T4_T5_mT6_P12ihipStream_tbENKUlT_T0_E_clISt17integral_constantIbLb0EESV_IbLb1EEEEDaSR_SS_EUlSR_E_NS1_11comp_targetILNS1_3genE8ELNS1_11target_archE1030ELNS1_3gpuE2ELNS1_3repE0EEENS1_30default_config_static_selectorELNS0_4arch9wavefront6targetE1EEEvT1_
                                        ; -- End function
	.section	.AMDGPU.csdata,"",@progbits
; Kernel info:
; codeLenInByte = 0
; NumSgprs: 4
; NumVgprs: 0
; NumAgprs: 0
; TotalNumVgprs: 0
; ScratchSize: 0
; MemoryBound: 0
; FloatMode: 240
; IeeeMode: 1
; LDSByteSize: 0 bytes/workgroup (compile time only)
; SGPRBlocks: 0
; VGPRBlocks: 0
; NumSGPRsForWavesPerEU: 4
; NumVGPRsForWavesPerEU: 1
; AccumOffset: 4
; Occupancy: 8
; WaveLimiterHint : 0
; COMPUTE_PGM_RSRC2:SCRATCH_EN: 0
; COMPUTE_PGM_RSRC2:USER_SGPR: 6
; COMPUTE_PGM_RSRC2:TRAP_HANDLER: 0
; COMPUTE_PGM_RSRC2:TGID_X_EN: 1
; COMPUTE_PGM_RSRC2:TGID_Y_EN: 0
; COMPUTE_PGM_RSRC2:TGID_Z_EN: 0
; COMPUTE_PGM_RSRC2:TIDIG_COMP_CNT: 0
; COMPUTE_PGM_RSRC3_GFX90A:ACCUM_OFFSET: 0
; COMPUTE_PGM_RSRC3_GFX90A:TG_SPLIT: 0
	.section	.text._ZN7rocprim17ROCPRIM_400000_NS6detail17trampoline_kernelINS0_14default_configENS1_20scan_config_selectorIfEEZZNS1_9scan_implILNS1_25lookback_scan_determinismE0ELb1ELb1ES3_N6thrust23THRUST_200600_302600_NS6detail15normal_iteratorINS9_10device_ptrIiEEEENSB_INSC_IfEEEEfNS9_4plusIvEEfEEDaPvRmT3_T4_T5_mT6_P12ihipStream_tbENKUlT_T0_E_clISt17integral_constantIbLb0EESV_IbLb1EEEEDaSR_SS_EUlSR_E0_NS1_11comp_targetILNS1_3genE0ELNS1_11target_archE4294967295ELNS1_3gpuE0ELNS1_3repE0EEENS1_30default_config_static_selectorELNS0_4arch9wavefront6targetE1EEEvT1_,"axG",@progbits,_ZN7rocprim17ROCPRIM_400000_NS6detail17trampoline_kernelINS0_14default_configENS1_20scan_config_selectorIfEEZZNS1_9scan_implILNS1_25lookback_scan_determinismE0ELb1ELb1ES3_N6thrust23THRUST_200600_302600_NS6detail15normal_iteratorINS9_10device_ptrIiEEEENSB_INSC_IfEEEEfNS9_4plusIvEEfEEDaPvRmT3_T4_T5_mT6_P12ihipStream_tbENKUlT_T0_E_clISt17integral_constantIbLb0EESV_IbLb1EEEEDaSR_SS_EUlSR_E0_NS1_11comp_targetILNS1_3genE0ELNS1_11target_archE4294967295ELNS1_3gpuE0ELNS1_3repE0EEENS1_30default_config_static_selectorELNS0_4arch9wavefront6targetE1EEEvT1_,comdat
	.protected	_ZN7rocprim17ROCPRIM_400000_NS6detail17trampoline_kernelINS0_14default_configENS1_20scan_config_selectorIfEEZZNS1_9scan_implILNS1_25lookback_scan_determinismE0ELb1ELb1ES3_N6thrust23THRUST_200600_302600_NS6detail15normal_iteratorINS9_10device_ptrIiEEEENSB_INSC_IfEEEEfNS9_4plusIvEEfEEDaPvRmT3_T4_T5_mT6_P12ihipStream_tbENKUlT_T0_E_clISt17integral_constantIbLb0EESV_IbLb1EEEEDaSR_SS_EUlSR_E0_NS1_11comp_targetILNS1_3genE0ELNS1_11target_archE4294967295ELNS1_3gpuE0ELNS1_3repE0EEENS1_30default_config_static_selectorELNS0_4arch9wavefront6targetE1EEEvT1_ ; -- Begin function _ZN7rocprim17ROCPRIM_400000_NS6detail17trampoline_kernelINS0_14default_configENS1_20scan_config_selectorIfEEZZNS1_9scan_implILNS1_25lookback_scan_determinismE0ELb1ELb1ES3_N6thrust23THRUST_200600_302600_NS6detail15normal_iteratorINS9_10device_ptrIiEEEENSB_INSC_IfEEEEfNS9_4plusIvEEfEEDaPvRmT3_T4_T5_mT6_P12ihipStream_tbENKUlT_T0_E_clISt17integral_constantIbLb0EESV_IbLb1EEEEDaSR_SS_EUlSR_E0_NS1_11comp_targetILNS1_3genE0ELNS1_11target_archE4294967295ELNS1_3gpuE0ELNS1_3repE0EEENS1_30default_config_static_selectorELNS0_4arch9wavefront6targetE1EEEvT1_
	.globl	_ZN7rocprim17ROCPRIM_400000_NS6detail17trampoline_kernelINS0_14default_configENS1_20scan_config_selectorIfEEZZNS1_9scan_implILNS1_25lookback_scan_determinismE0ELb1ELb1ES3_N6thrust23THRUST_200600_302600_NS6detail15normal_iteratorINS9_10device_ptrIiEEEENSB_INSC_IfEEEEfNS9_4plusIvEEfEEDaPvRmT3_T4_T5_mT6_P12ihipStream_tbENKUlT_T0_E_clISt17integral_constantIbLb0EESV_IbLb1EEEEDaSR_SS_EUlSR_E0_NS1_11comp_targetILNS1_3genE0ELNS1_11target_archE4294967295ELNS1_3gpuE0ELNS1_3repE0EEENS1_30default_config_static_selectorELNS0_4arch9wavefront6targetE1EEEvT1_
	.p2align	8
	.type	_ZN7rocprim17ROCPRIM_400000_NS6detail17trampoline_kernelINS0_14default_configENS1_20scan_config_selectorIfEEZZNS1_9scan_implILNS1_25lookback_scan_determinismE0ELb1ELb1ES3_N6thrust23THRUST_200600_302600_NS6detail15normal_iteratorINS9_10device_ptrIiEEEENSB_INSC_IfEEEEfNS9_4plusIvEEfEEDaPvRmT3_T4_T5_mT6_P12ihipStream_tbENKUlT_T0_E_clISt17integral_constantIbLb0EESV_IbLb1EEEEDaSR_SS_EUlSR_E0_NS1_11comp_targetILNS1_3genE0ELNS1_11target_archE4294967295ELNS1_3gpuE0ELNS1_3repE0EEENS1_30default_config_static_selectorELNS0_4arch9wavefront6targetE1EEEvT1_,@function
_ZN7rocprim17ROCPRIM_400000_NS6detail17trampoline_kernelINS0_14default_configENS1_20scan_config_selectorIfEEZZNS1_9scan_implILNS1_25lookback_scan_determinismE0ELb1ELb1ES3_N6thrust23THRUST_200600_302600_NS6detail15normal_iteratorINS9_10device_ptrIiEEEENSB_INSC_IfEEEEfNS9_4plusIvEEfEEDaPvRmT3_T4_T5_mT6_P12ihipStream_tbENKUlT_T0_E_clISt17integral_constantIbLb0EESV_IbLb1EEEEDaSR_SS_EUlSR_E0_NS1_11comp_targetILNS1_3genE0ELNS1_11target_archE4294967295ELNS1_3gpuE0ELNS1_3repE0EEENS1_30default_config_static_selectorELNS0_4arch9wavefront6targetE1EEEvT1_: ; @_ZN7rocprim17ROCPRIM_400000_NS6detail17trampoline_kernelINS0_14default_configENS1_20scan_config_selectorIfEEZZNS1_9scan_implILNS1_25lookback_scan_determinismE0ELb1ELb1ES3_N6thrust23THRUST_200600_302600_NS6detail15normal_iteratorINS9_10device_ptrIiEEEENSB_INSC_IfEEEEfNS9_4plusIvEEfEEDaPvRmT3_T4_T5_mT6_P12ihipStream_tbENKUlT_T0_E_clISt17integral_constantIbLb0EESV_IbLb1EEEEDaSR_SS_EUlSR_E0_NS1_11comp_targetILNS1_3genE0ELNS1_11target_archE4294967295ELNS1_3gpuE0ELNS1_3repE0EEENS1_30default_config_static_selectorELNS0_4arch9wavefront6targetE1EEEvT1_
; %bb.0:
	.section	.rodata,"a",@progbits
	.p2align	6, 0x0
	.amdhsa_kernel _ZN7rocprim17ROCPRIM_400000_NS6detail17trampoline_kernelINS0_14default_configENS1_20scan_config_selectorIfEEZZNS1_9scan_implILNS1_25lookback_scan_determinismE0ELb1ELb1ES3_N6thrust23THRUST_200600_302600_NS6detail15normal_iteratorINS9_10device_ptrIiEEEENSB_INSC_IfEEEEfNS9_4plusIvEEfEEDaPvRmT3_T4_T5_mT6_P12ihipStream_tbENKUlT_T0_E_clISt17integral_constantIbLb0EESV_IbLb1EEEEDaSR_SS_EUlSR_E0_NS1_11comp_targetILNS1_3genE0ELNS1_11target_archE4294967295ELNS1_3gpuE0ELNS1_3repE0EEENS1_30default_config_static_selectorELNS0_4arch9wavefront6targetE1EEEvT1_
		.amdhsa_group_segment_fixed_size 0
		.amdhsa_private_segment_fixed_size 0
		.amdhsa_kernarg_size 32
		.amdhsa_user_sgpr_count 6
		.amdhsa_user_sgpr_private_segment_buffer 1
		.amdhsa_user_sgpr_dispatch_ptr 0
		.amdhsa_user_sgpr_queue_ptr 0
		.amdhsa_user_sgpr_kernarg_segment_ptr 1
		.amdhsa_user_sgpr_dispatch_id 0
		.amdhsa_user_sgpr_flat_scratch_init 0
		.amdhsa_user_sgpr_kernarg_preload_length 0
		.amdhsa_user_sgpr_kernarg_preload_offset 0
		.amdhsa_user_sgpr_private_segment_size 0
		.amdhsa_uses_dynamic_stack 0
		.amdhsa_system_sgpr_private_segment_wavefront_offset 0
		.amdhsa_system_sgpr_workgroup_id_x 1
		.amdhsa_system_sgpr_workgroup_id_y 0
		.amdhsa_system_sgpr_workgroup_id_z 0
		.amdhsa_system_sgpr_workgroup_info 0
		.amdhsa_system_vgpr_workitem_id 0
		.amdhsa_next_free_vgpr 1
		.amdhsa_next_free_sgpr 0
		.amdhsa_accum_offset 4
		.amdhsa_reserve_vcc 0
		.amdhsa_reserve_flat_scratch 0
		.amdhsa_float_round_mode_32 0
		.amdhsa_float_round_mode_16_64 0
		.amdhsa_float_denorm_mode_32 3
		.amdhsa_float_denorm_mode_16_64 3
		.amdhsa_dx10_clamp 1
		.amdhsa_ieee_mode 1
		.amdhsa_fp16_overflow 0
		.amdhsa_tg_split 0
		.amdhsa_exception_fp_ieee_invalid_op 0
		.amdhsa_exception_fp_denorm_src 0
		.amdhsa_exception_fp_ieee_div_zero 0
		.amdhsa_exception_fp_ieee_overflow 0
		.amdhsa_exception_fp_ieee_underflow 0
		.amdhsa_exception_fp_ieee_inexact 0
		.amdhsa_exception_int_div_zero 0
	.end_amdhsa_kernel
	.section	.text._ZN7rocprim17ROCPRIM_400000_NS6detail17trampoline_kernelINS0_14default_configENS1_20scan_config_selectorIfEEZZNS1_9scan_implILNS1_25lookback_scan_determinismE0ELb1ELb1ES3_N6thrust23THRUST_200600_302600_NS6detail15normal_iteratorINS9_10device_ptrIiEEEENSB_INSC_IfEEEEfNS9_4plusIvEEfEEDaPvRmT3_T4_T5_mT6_P12ihipStream_tbENKUlT_T0_E_clISt17integral_constantIbLb0EESV_IbLb1EEEEDaSR_SS_EUlSR_E0_NS1_11comp_targetILNS1_3genE0ELNS1_11target_archE4294967295ELNS1_3gpuE0ELNS1_3repE0EEENS1_30default_config_static_selectorELNS0_4arch9wavefront6targetE1EEEvT1_,"axG",@progbits,_ZN7rocprim17ROCPRIM_400000_NS6detail17trampoline_kernelINS0_14default_configENS1_20scan_config_selectorIfEEZZNS1_9scan_implILNS1_25lookback_scan_determinismE0ELb1ELb1ES3_N6thrust23THRUST_200600_302600_NS6detail15normal_iteratorINS9_10device_ptrIiEEEENSB_INSC_IfEEEEfNS9_4plusIvEEfEEDaPvRmT3_T4_T5_mT6_P12ihipStream_tbENKUlT_T0_E_clISt17integral_constantIbLb0EESV_IbLb1EEEEDaSR_SS_EUlSR_E0_NS1_11comp_targetILNS1_3genE0ELNS1_11target_archE4294967295ELNS1_3gpuE0ELNS1_3repE0EEENS1_30default_config_static_selectorELNS0_4arch9wavefront6targetE1EEEvT1_,comdat
.Lfunc_end1777:
	.size	_ZN7rocprim17ROCPRIM_400000_NS6detail17trampoline_kernelINS0_14default_configENS1_20scan_config_selectorIfEEZZNS1_9scan_implILNS1_25lookback_scan_determinismE0ELb1ELb1ES3_N6thrust23THRUST_200600_302600_NS6detail15normal_iteratorINS9_10device_ptrIiEEEENSB_INSC_IfEEEEfNS9_4plusIvEEfEEDaPvRmT3_T4_T5_mT6_P12ihipStream_tbENKUlT_T0_E_clISt17integral_constantIbLb0EESV_IbLb1EEEEDaSR_SS_EUlSR_E0_NS1_11comp_targetILNS1_3genE0ELNS1_11target_archE4294967295ELNS1_3gpuE0ELNS1_3repE0EEENS1_30default_config_static_selectorELNS0_4arch9wavefront6targetE1EEEvT1_, .Lfunc_end1777-_ZN7rocprim17ROCPRIM_400000_NS6detail17trampoline_kernelINS0_14default_configENS1_20scan_config_selectorIfEEZZNS1_9scan_implILNS1_25lookback_scan_determinismE0ELb1ELb1ES3_N6thrust23THRUST_200600_302600_NS6detail15normal_iteratorINS9_10device_ptrIiEEEENSB_INSC_IfEEEEfNS9_4plusIvEEfEEDaPvRmT3_T4_T5_mT6_P12ihipStream_tbENKUlT_T0_E_clISt17integral_constantIbLb0EESV_IbLb1EEEEDaSR_SS_EUlSR_E0_NS1_11comp_targetILNS1_3genE0ELNS1_11target_archE4294967295ELNS1_3gpuE0ELNS1_3repE0EEENS1_30default_config_static_selectorELNS0_4arch9wavefront6targetE1EEEvT1_
                                        ; -- End function
	.section	.AMDGPU.csdata,"",@progbits
; Kernel info:
; codeLenInByte = 0
; NumSgprs: 4
; NumVgprs: 0
; NumAgprs: 0
; TotalNumVgprs: 0
; ScratchSize: 0
; MemoryBound: 0
; FloatMode: 240
; IeeeMode: 1
; LDSByteSize: 0 bytes/workgroup (compile time only)
; SGPRBlocks: 0
; VGPRBlocks: 0
; NumSGPRsForWavesPerEU: 4
; NumVGPRsForWavesPerEU: 1
; AccumOffset: 4
; Occupancy: 8
; WaveLimiterHint : 0
; COMPUTE_PGM_RSRC2:SCRATCH_EN: 0
; COMPUTE_PGM_RSRC2:USER_SGPR: 6
; COMPUTE_PGM_RSRC2:TRAP_HANDLER: 0
; COMPUTE_PGM_RSRC2:TGID_X_EN: 1
; COMPUTE_PGM_RSRC2:TGID_Y_EN: 0
; COMPUTE_PGM_RSRC2:TGID_Z_EN: 0
; COMPUTE_PGM_RSRC2:TIDIG_COMP_CNT: 0
; COMPUTE_PGM_RSRC3_GFX90A:ACCUM_OFFSET: 0
; COMPUTE_PGM_RSRC3_GFX90A:TG_SPLIT: 0
	.section	.text._ZN7rocprim17ROCPRIM_400000_NS6detail17trampoline_kernelINS0_14default_configENS1_20scan_config_selectorIfEEZZNS1_9scan_implILNS1_25lookback_scan_determinismE0ELb1ELb1ES3_N6thrust23THRUST_200600_302600_NS6detail15normal_iteratorINS9_10device_ptrIiEEEENSB_INSC_IfEEEEfNS9_4plusIvEEfEEDaPvRmT3_T4_T5_mT6_P12ihipStream_tbENKUlT_T0_E_clISt17integral_constantIbLb0EESV_IbLb1EEEEDaSR_SS_EUlSR_E0_NS1_11comp_targetILNS1_3genE5ELNS1_11target_archE942ELNS1_3gpuE9ELNS1_3repE0EEENS1_30default_config_static_selectorELNS0_4arch9wavefront6targetE1EEEvT1_,"axG",@progbits,_ZN7rocprim17ROCPRIM_400000_NS6detail17trampoline_kernelINS0_14default_configENS1_20scan_config_selectorIfEEZZNS1_9scan_implILNS1_25lookback_scan_determinismE0ELb1ELb1ES3_N6thrust23THRUST_200600_302600_NS6detail15normal_iteratorINS9_10device_ptrIiEEEENSB_INSC_IfEEEEfNS9_4plusIvEEfEEDaPvRmT3_T4_T5_mT6_P12ihipStream_tbENKUlT_T0_E_clISt17integral_constantIbLb0EESV_IbLb1EEEEDaSR_SS_EUlSR_E0_NS1_11comp_targetILNS1_3genE5ELNS1_11target_archE942ELNS1_3gpuE9ELNS1_3repE0EEENS1_30default_config_static_selectorELNS0_4arch9wavefront6targetE1EEEvT1_,comdat
	.protected	_ZN7rocprim17ROCPRIM_400000_NS6detail17trampoline_kernelINS0_14default_configENS1_20scan_config_selectorIfEEZZNS1_9scan_implILNS1_25lookback_scan_determinismE0ELb1ELb1ES3_N6thrust23THRUST_200600_302600_NS6detail15normal_iteratorINS9_10device_ptrIiEEEENSB_INSC_IfEEEEfNS9_4plusIvEEfEEDaPvRmT3_T4_T5_mT6_P12ihipStream_tbENKUlT_T0_E_clISt17integral_constantIbLb0EESV_IbLb1EEEEDaSR_SS_EUlSR_E0_NS1_11comp_targetILNS1_3genE5ELNS1_11target_archE942ELNS1_3gpuE9ELNS1_3repE0EEENS1_30default_config_static_selectorELNS0_4arch9wavefront6targetE1EEEvT1_ ; -- Begin function _ZN7rocprim17ROCPRIM_400000_NS6detail17trampoline_kernelINS0_14default_configENS1_20scan_config_selectorIfEEZZNS1_9scan_implILNS1_25lookback_scan_determinismE0ELb1ELb1ES3_N6thrust23THRUST_200600_302600_NS6detail15normal_iteratorINS9_10device_ptrIiEEEENSB_INSC_IfEEEEfNS9_4plusIvEEfEEDaPvRmT3_T4_T5_mT6_P12ihipStream_tbENKUlT_T0_E_clISt17integral_constantIbLb0EESV_IbLb1EEEEDaSR_SS_EUlSR_E0_NS1_11comp_targetILNS1_3genE5ELNS1_11target_archE942ELNS1_3gpuE9ELNS1_3repE0EEENS1_30default_config_static_selectorELNS0_4arch9wavefront6targetE1EEEvT1_
	.globl	_ZN7rocprim17ROCPRIM_400000_NS6detail17trampoline_kernelINS0_14default_configENS1_20scan_config_selectorIfEEZZNS1_9scan_implILNS1_25lookback_scan_determinismE0ELb1ELb1ES3_N6thrust23THRUST_200600_302600_NS6detail15normal_iteratorINS9_10device_ptrIiEEEENSB_INSC_IfEEEEfNS9_4plusIvEEfEEDaPvRmT3_T4_T5_mT6_P12ihipStream_tbENKUlT_T0_E_clISt17integral_constantIbLb0EESV_IbLb1EEEEDaSR_SS_EUlSR_E0_NS1_11comp_targetILNS1_3genE5ELNS1_11target_archE942ELNS1_3gpuE9ELNS1_3repE0EEENS1_30default_config_static_selectorELNS0_4arch9wavefront6targetE1EEEvT1_
	.p2align	8
	.type	_ZN7rocprim17ROCPRIM_400000_NS6detail17trampoline_kernelINS0_14default_configENS1_20scan_config_selectorIfEEZZNS1_9scan_implILNS1_25lookback_scan_determinismE0ELb1ELb1ES3_N6thrust23THRUST_200600_302600_NS6detail15normal_iteratorINS9_10device_ptrIiEEEENSB_INSC_IfEEEEfNS9_4plusIvEEfEEDaPvRmT3_T4_T5_mT6_P12ihipStream_tbENKUlT_T0_E_clISt17integral_constantIbLb0EESV_IbLb1EEEEDaSR_SS_EUlSR_E0_NS1_11comp_targetILNS1_3genE5ELNS1_11target_archE942ELNS1_3gpuE9ELNS1_3repE0EEENS1_30default_config_static_selectorELNS0_4arch9wavefront6targetE1EEEvT1_,@function
_ZN7rocprim17ROCPRIM_400000_NS6detail17trampoline_kernelINS0_14default_configENS1_20scan_config_selectorIfEEZZNS1_9scan_implILNS1_25lookback_scan_determinismE0ELb1ELb1ES3_N6thrust23THRUST_200600_302600_NS6detail15normal_iteratorINS9_10device_ptrIiEEEENSB_INSC_IfEEEEfNS9_4plusIvEEfEEDaPvRmT3_T4_T5_mT6_P12ihipStream_tbENKUlT_T0_E_clISt17integral_constantIbLb0EESV_IbLb1EEEEDaSR_SS_EUlSR_E0_NS1_11comp_targetILNS1_3genE5ELNS1_11target_archE942ELNS1_3gpuE9ELNS1_3repE0EEENS1_30default_config_static_selectorELNS0_4arch9wavefront6targetE1EEEvT1_: ; @_ZN7rocprim17ROCPRIM_400000_NS6detail17trampoline_kernelINS0_14default_configENS1_20scan_config_selectorIfEEZZNS1_9scan_implILNS1_25lookback_scan_determinismE0ELb1ELb1ES3_N6thrust23THRUST_200600_302600_NS6detail15normal_iteratorINS9_10device_ptrIiEEEENSB_INSC_IfEEEEfNS9_4plusIvEEfEEDaPvRmT3_T4_T5_mT6_P12ihipStream_tbENKUlT_T0_E_clISt17integral_constantIbLb0EESV_IbLb1EEEEDaSR_SS_EUlSR_E0_NS1_11comp_targetILNS1_3genE5ELNS1_11target_archE942ELNS1_3gpuE9ELNS1_3repE0EEENS1_30default_config_static_selectorELNS0_4arch9wavefront6targetE1EEEvT1_
; %bb.0:
	.section	.rodata,"a",@progbits
	.p2align	6, 0x0
	.amdhsa_kernel _ZN7rocprim17ROCPRIM_400000_NS6detail17trampoline_kernelINS0_14default_configENS1_20scan_config_selectorIfEEZZNS1_9scan_implILNS1_25lookback_scan_determinismE0ELb1ELb1ES3_N6thrust23THRUST_200600_302600_NS6detail15normal_iteratorINS9_10device_ptrIiEEEENSB_INSC_IfEEEEfNS9_4plusIvEEfEEDaPvRmT3_T4_T5_mT6_P12ihipStream_tbENKUlT_T0_E_clISt17integral_constantIbLb0EESV_IbLb1EEEEDaSR_SS_EUlSR_E0_NS1_11comp_targetILNS1_3genE5ELNS1_11target_archE942ELNS1_3gpuE9ELNS1_3repE0EEENS1_30default_config_static_selectorELNS0_4arch9wavefront6targetE1EEEvT1_
		.amdhsa_group_segment_fixed_size 0
		.amdhsa_private_segment_fixed_size 0
		.amdhsa_kernarg_size 32
		.amdhsa_user_sgpr_count 6
		.amdhsa_user_sgpr_private_segment_buffer 1
		.amdhsa_user_sgpr_dispatch_ptr 0
		.amdhsa_user_sgpr_queue_ptr 0
		.amdhsa_user_sgpr_kernarg_segment_ptr 1
		.amdhsa_user_sgpr_dispatch_id 0
		.amdhsa_user_sgpr_flat_scratch_init 0
		.amdhsa_user_sgpr_kernarg_preload_length 0
		.amdhsa_user_sgpr_kernarg_preload_offset 0
		.amdhsa_user_sgpr_private_segment_size 0
		.amdhsa_uses_dynamic_stack 0
		.amdhsa_system_sgpr_private_segment_wavefront_offset 0
		.amdhsa_system_sgpr_workgroup_id_x 1
		.amdhsa_system_sgpr_workgroup_id_y 0
		.amdhsa_system_sgpr_workgroup_id_z 0
		.amdhsa_system_sgpr_workgroup_info 0
		.amdhsa_system_vgpr_workitem_id 0
		.amdhsa_next_free_vgpr 1
		.amdhsa_next_free_sgpr 0
		.amdhsa_accum_offset 4
		.amdhsa_reserve_vcc 0
		.amdhsa_reserve_flat_scratch 0
		.amdhsa_float_round_mode_32 0
		.amdhsa_float_round_mode_16_64 0
		.amdhsa_float_denorm_mode_32 3
		.amdhsa_float_denorm_mode_16_64 3
		.amdhsa_dx10_clamp 1
		.amdhsa_ieee_mode 1
		.amdhsa_fp16_overflow 0
		.amdhsa_tg_split 0
		.amdhsa_exception_fp_ieee_invalid_op 0
		.amdhsa_exception_fp_denorm_src 0
		.amdhsa_exception_fp_ieee_div_zero 0
		.amdhsa_exception_fp_ieee_overflow 0
		.amdhsa_exception_fp_ieee_underflow 0
		.amdhsa_exception_fp_ieee_inexact 0
		.amdhsa_exception_int_div_zero 0
	.end_amdhsa_kernel
	.section	.text._ZN7rocprim17ROCPRIM_400000_NS6detail17trampoline_kernelINS0_14default_configENS1_20scan_config_selectorIfEEZZNS1_9scan_implILNS1_25lookback_scan_determinismE0ELb1ELb1ES3_N6thrust23THRUST_200600_302600_NS6detail15normal_iteratorINS9_10device_ptrIiEEEENSB_INSC_IfEEEEfNS9_4plusIvEEfEEDaPvRmT3_T4_T5_mT6_P12ihipStream_tbENKUlT_T0_E_clISt17integral_constantIbLb0EESV_IbLb1EEEEDaSR_SS_EUlSR_E0_NS1_11comp_targetILNS1_3genE5ELNS1_11target_archE942ELNS1_3gpuE9ELNS1_3repE0EEENS1_30default_config_static_selectorELNS0_4arch9wavefront6targetE1EEEvT1_,"axG",@progbits,_ZN7rocprim17ROCPRIM_400000_NS6detail17trampoline_kernelINS0_14default_configENS1_20scan_config_selectorIfEEZZNS1_9scan_implILNS1_25lookback_scan_determinismE0ELb1ELb1ES3_N6thrust23THRUST_200600_302600_NS6detail15normal_iteratorINS9_10device_ptrIiEEEENSB_INSC_IfEEEEfNS9_4plusIvEEfEEDaPvRmT3_T4_T5_mT6_P12ihipStream_tbENKUlT_T0_E_clISt17integral_constantIbLb0EESV_IbLb1EEEEDaSR_SS_EUlSR_E0_NS1_11comp_targetILNS1_3genE5ELNS1_11target_archE942ELNS1_3gpuE9ELNS1_3repE0EEENS1_30default_config_static_selectorELNS0_4arch9wavefront6targetE1EEEvT1_,comdat
.Lfunc_end1778:
	.size	_ZN7rocprim17ROCPRIM_400000_NS6detail17trampoline_kernelINS0_14default_configENS1_20scan_config_selectorIfEEZZNS1_9scan_implILNS1_25lookback_scan_determinismE0ELb1ELb1ES3_N6thrust23THRUST_200600_302600_NS6detail15normal_iteratorINS9_10device_ptrIiEEEENSB_INSC_IfEEEEfNS9_4plusIvEEfEEDaPvRmT3_T4_T5_mT6_P12ihipStream_tbENKUlT_T0_E_clISt17integral_constantIbLb0EESV_IbLb1EEEEDaSR_SS_EUlSR_E0_NS1_11comp_targetILNS1_3genE5ELNS1_11target_archE942ELNS1_3gpuE9ELNS1_3repE0EEENS1_30default_config_static_selectorELNS0_4arch9wavefront6targetE1EEEvT1_, .Lfunc_end1778-_ZN7rocprim17ROCPRIM_400000_NS6detail17trampoline_kernelINS0_14default_configENS1_20scan_config_selectorIfEEZZNS1_9scan_implILNS1_25lookback_scan_determinismE0ELb1ELb1ES3_N6thrust23THRUST_200600_302600_NS6detail15normal_iteratorINS9_10device_ptrIiEEEENSB_INSC_IfEEEEfNS9_4plusIvEEfEEDaPvRmT3_T4_T5_mT6_P12ihipStream_tbENKUlT_T0_E_clISt17integral_constantIbLb0EESV_IbLb1EEEEDaSR_SS_EUlSR_E0_NS1_11comp_targetILNS1_3genE5ELNS1_11target_archE942ELNS1_3gpuE9ELNS1_3repE0EEENS1_30default_config_static_selectorELNS0_4arch9wavefront6targetE1EEEvT1_
                                        ; -- End function
	.section	.AMDGPU.csdata,"",@progbits
; Kernel info:
; codeLenInByte = 0
; NumSgprs: 4
; NumVgprs: 0
; NumAgprs: 0
; TotalNumVgprs: 0
; ScratchSize: 0
; MemoryBound: 0
; FloatMode: 240
; IeeeMode: 1
; LDSByteSize: 0 bytes/workgroup (compile time only)
; SGPRBlocks: 0
; VGPRBlocks: 0
; NumSGPRsForWavesPerEU: 4
; NumVGPRsForWavesPerEU: 1
; AccumOffset: 4
; Occupancy: 8
; WaveLimiterHint : 0
; COMPUTE_PGM_RSRC2:SCRATCH_EN: 0
; COMPUTE_PGM_RSRC2:USER_SGPR: 6
; COMPUTE_PGM_RSRC2:TRAP_HANDLER: 0
; COMPUTE_PGM_RSRC2:TGID_X_EN: 1
; COMPUTE_PGM_RSRC2:TGID_Y_EN: 0
; COMPUTE_PGM_RSRC2:TGID_Z_EN: 0
; COMPUTE_PGM_RSRC2:TIDIG_COMP_CNT: 0
; COMPUTE_PGM_RSRC3_GFX90A:ACCUM_OFFSET: 0
; COMPUTE_PGM_RSRC3_GFX90A:TG_SPLIT: 0
	.section	.text._ZN7rocprim17ROCPRIM_400000_NS6detail17trampoline_kernelINS0_14default_configENS1_20scan_config_selectorIfEEZZNS1_9scan_implILNS1_25lookback_scan_determinismE0ELb1ELb1ES3_N6thrust23THRUST_200600_302600_NS6detail15normal_iteratorINS9_10device_ptrIiEEEENSB_INSC_IfEEEEfNS9_4plusIvEEfEEDaPvRmT3_T4_T5_mT6_P12ihipStream_tbENKUlT_T0_E_clISt17integral_constantIbLb0EESV_IbLb1EEEEDaSR_SS_EUlSR_E0_NS1_11comp_targetILNS1_3genE4ELNS1_11target_archE910ELNS1_3gpuE8ELNS1_3repE0EEENS1_30default_config_static_selectorELNS0_4arch9wavefront6targetE1EEEvT1_,"axG",@progbits,_ZN7rocprim17ROCPRIM_400000_NS6detail17trampoline_kernelINS0_14default_configENS1_20scan_config_selectorIfEEZZNS1_9scan_implILNS1_25lookback_scan_determinismE0ELb1ELb1ES3_N6thrust23THRUST_200600_302600_NS6detail15normal_iteratorINS9_10device_ptrIiEEEENSB_INSC_IfEEEEfNS9_4plusIvEEfEEDaPvRmT3_T4_T5_mT6_P12ihipStream_tbENKUlT_T0_E_clISt17integral_constantIbLb0EESV_IbLb1EEEEDaSR_SS_EUlSR_E0_NS1_11comp_targetILNS1_3genE4ELNS1_11target_archE910ELNS1_3gpuE8ELNS1_3repE0EEENS1_30default_config_static_selectorELNS0_4arch9wavefront6targetE1EEEvT1_,comdat
	.protected	_ZN7rocprim17ROCPRIM_400000_NS6detail17trampoline_kernelINS0_14default_configENS1_20scan_config_selectorIfEEZZNS1_9scan_implILNS1_25lookback_scan_determinismE0ELb1ELb1ES3_N6thrust23THRUST_200600_302600_NS6detail15normal_iteratorINS9_10device_ptrIiEEEENSB_INSC_IfEEEEfNS9_4plusIvEEfEEDaPvRmT3_T4_T5_mT6_P12ihipStream_tbENKUlT_T0_E_clISt17integral_constantIbLb0EESV_IbLb1EEEEDaSR_SS_EUlSR_E0_NS1_11comp_targetILNS1_3genE4ELNS1_11target_archE910ELNS1_3gpuE8ELNS1_3repE0EEENS1_30default_config_static_selectorELNS0_4arch9wavefront6targetE1EEEvT1_ ; -- Begin function _ZN7rocprim17ROCPRIM_400000_NS6detail17trampoline_kernelINS0_14default_configENS1_20scan_config_selectorIfEEZZNS1_9scan_implILNS1_25lookback_scan_determinismE0ELb1ELb1ES3_N6thrust23THRUST_200600_302600_NS6detail15normal_iteratorINS9_10device_ptrIiEEEENSB_INSC_IfEEEEfNS9_4plusIvEEfEEDaPvRmT3_T4_T5_mT6_P12ihipStream_tbENKUlT_T0_E_clISt17integral_constantIbLb0EESV_IbLb1EEEEDaSR_SS_EUlSR_E0_NS1_11comp_targetILNS1_3genE4ELNS1_11target_archE910ELNS1_3gpuE8ELNS1_3repE0EEENS1_30default_config_static_selectorELNS0_4arch9wavefront6targetE1EEEvT1_
	.globl	_ZN7rocprim17ROCPRIM_400000_NS6detail17trampoline_kernelINS0_14default_configENS1_20scan_config_selectorIfEEZZNS1_9scan_implILNS1_25lookback_scan_determinismE0ELb1ELb1ES3_N6thrust23THRUST_200600_302600_NS6detail15normal_iteratorINS9_10device_ptrIiEEEENSB_INSC_IfEEEEfNS9_4plusIvEEfEEDaPvRmT3_T4_T5_mT6_P12ihipStream_tbENKUlT_T0_E_clISt17integral_constantIbLb0EESV_IbLb1EEEEDaSR_SS_EUlSR_E0_NS1_11comp_targetILNS1_3genE4ELNS1_11target_archE910ELNS1_3gpuE8ELNS1_3repE0EEENS1_30default_config_static_selectorELNS0_4arch9wavefront6targetE1EEEvT1_
	.p2align	8
	.type	_ZN7rocprim17ROCPRIM_400000_NS6detail17trampoline_kernelINS0_14default_configENS1_20scan_config_selectorIfEEZZNS1_9scan_implILNS1_25lookback_scan_determinismE0ELb1ELb1ES3_N6thrust23THRUST_200600_302600_NS6detail15normal_iteratorINS9_10device_ptrIiEEEENSB_INSC_IfEEEEfNS9_4plusIvEEfEEDaPvRmT3_T4_T5_mT6_P12ihipStream_tbENKUlT_T0_E_clISt17integral_constantIbLb0EESV_IbLb1EEEEDaSR_SS_EUlSR_E0_NS1_11comp_targetILNS1_3genE4ELNS1_11target_archE910ELNS1_3gpuE8ELNS1_3repE0EEENS1_30default_config_static_selectorELNS0_4arch9wavefront6targetE1EEEvT1_,@function
_ZN7rocprim17ROCPRIM_400000_NS6detail17trampoline_kernelINS0_14default_configENS1_20scan_config_selectorIfEEZZNS1_9scan_implILNS1_25lookback_scan_determinismE0ELb1ELb1ES3_N6thrust23THRUST_200600_302600_NS6detail15normal_iteratorINS9_10device_ptrIiEEEENSB_INSC_IfEEEEfNS9_4plusIvEEfEEDaPvRmT3_T4_T5_mT6_P12ihipStream_tbENKUlT_T0_E_clISt17integral_constantIbLb0EESV_IbLb1EEEEDaSR_SS_EUlSR_E0_NS1_11comp_targetILNS1_3genE4ELNS1_11target_archE910ELNS1_3gpuE8ELNS1_3repE0EEENS1_30default_config_static_selectorELNS0_4arch9wavefront6targetE1EEEvT1_: ; @_ZN7rocprim17ROCPRIM_400000_NS6detail17trampoline_kernelINS0_14default_configENS1_20scan_config_selectorIfEEZZNS1_9scan_implILNS1_25lookback_scan_determinismE0ELb1ELb1ES3_N6thrust23THRUST_200600_302600_NS6detail15normal_iteratorINS9_10device_ptrIiEEEENSB_INSC_IfEEEEfNS9_4plusIvEEfEEDaPvRmT3_T4_T5_mT6_P12ihipStream_tbENKUlT_T0_E_clISt17integral_constantIbLb0EESV_IbLb1EEEEDaSR_SS_EUlSR_E0_NS1_11comp_targetILNS1_3genE4ELNS1_11target_archE910ELNS1_3gpuE8ELNS1_3repE0EEENS1_30default_config_static_selectorELNS0_4arch9wavefront6targetE1EEEvT1_
; %bb.0:
	s_load_dwordx4 s[28:31], s[4:5], 0x0
	v_lshlrev_b32_e32 v18, 2, v0
	s_waitcnt lgkmcnt(0)
	s_load_dword s0, s[28:29], 0x0
	v_cmp_gt_u32_e32 vcc, s30, v0
	s_waitcnt lgkmcnt(0)
	v_cvt_f32_i32_e32 v1, s0
	v_mov_b32_e32 v2, v1
	s_and_saveexec_b64 s[0:1], vcc
	s_cbranch_execz .LBB1779_2
; %bb.1:
	global_load_dword v2, v18, s[28:29]
	s_waitcnt vmcnt(0)
	v_cvt_f32_i32_e32 v2, v2
.LBB1779_2:
	s_or_b64 exec, exec, s[0:1]
	v_or_b32_e32 v3, 0x80, v0
	v_cmp_gt_u32_e64 s[0:1], s30, v3
	v_mov_b32_e32 v3, v1
	s_and_saveexec_b64 s[2:3], s[0:1]
	s_cbranch_execz .LBB1779_4
; %bb.3:
	global_load_dword v3, v18, s[28:29] offset:512
	s_waitcnt vmcnt(0)
	v_cvt_f32_i32_e32 v3, v3
.LBB1779_4:
	s_or_b64 exec, exec, s[2:3]
	v_or_b32_e32 v4, 0x100, v0
	v_cmp_gt_u32_e64 s[2:3], s30, v4
	v_mov_b32_e32 v4, v1
	s_and_saveexec_b64 s[6:7], s[2:3]
	s_cbranch_execz .LBB1779_6
; %bb.5:
	global_load_dword v4, v18, s[28:29] offset:1024
	s_waitcnt vmcnt(0)
	v_cvt_f32_i32_e32 v4, v4
.LBB1779_6:
	;; [unrolled: 11-line block ×7, first 2 shown]
	s_or_b64 exec, exec, s[14:15]
	v_or_b32_e32 v11, 0x400, v0
	v_cmp_gt_u32_e64 s[14:15], s30, v11
	v_mov_b32_e32 v10, v1
	s_and_saveexec_b64 s[16:17], s[14:15]
	s_cbranch_execz .LBB1779_18
; %bb.17:
	v_lshlrev_b32_e32 v10, 2, v11
	global_load_dword v10, v10, s[28:29]
	s_waitcnt vmcnt(0)
	v_cvt_f32_i32_e32 v10, v10
.LBB1779_18:
	s_or_b64 exec, exec, s[16:17]
	v_or_b32_e32 v12, 0x480, v0
	v_cmp_gt_u32_e64 s[16:17], s30, v12
	v_mov_b32_e32 v11, v1
	s_and_saveexec_b64 s[18:19], s[16:17]
	s_cbranch_execz .LBB1779_20
; %bb.19:
	v_lshlrev_b32_e32 v11, 2, v12
	global_load_dword v11, v11, s[28:29]
	s_waitcnt vmcnt(0)
	v_cvt_f32_i32_e32 v11, v11
.LBB1779_20:
	;; [unrolled: 12-line block ×5, first 2 shown]
	s_or_b64 exec, exec, s[24:25]
	s_load_dword s33, s[4:5], 0x10
	v_or_b32_e32 v15, 0x680, v0
	v_cmp_gt_u32_e64 s[24:25], s30, v15
	s_and_saveexec_b64 s[30:31], s[24:25]
	s_cbranch_execz .LBB1779_28
; %bb.27:
	v_lshlrev_b32_e32 v1, 2, v15
	global_load_dword v1, v1, s[28:29]
	s_waitcnt vmcnt(0)
	v_cvt_f32_i32_e32 v1, v1
.LBB1779_28:
	s_or_b64 exec, exec, s[30:31]
	ds_write2st64_b32 v18, v2, v3 offset1:2
	ds_write2st64_b32 v18, v4, v5 offset0:4 offset1:6
	ds_write2st64_b32 v18, v6, v7 offset0:8 offset1:10
	;; [unrolled: 1-line block ×6, first 2 shown]
	v_mad_u32_u24 v1, v0, 52, v18
	s_waitcnt lgkmcnt(0)
	s_barrier
	ds_read2_b64 v[10:13], v1 offset1:1
	ds_read2_b64 v[6:9], v1 offset0:2 offset1:3
	ds_read2_b64 v[2:5], v1 offset0:4 offset1:5
	ds_read_b64 v[14:15], v1 offset:48
	s_load_dwordx2 s[34:35], s[4:5], 0x18
	s_waitcnt lgkmcnt(0)
	v_add_f32_e32 v16, v10, v11
	v_add_f32_e32 v16, v16, v12
	;; [unrolled: 1-line block ×13, first 2 shown]
	v_lshrrev_b32_e32 v16, 3, v0
	v_and_b32_e32 v16, 12, v16
	v_add_u32_e32 v16, v18, v16
	v_cmp_gt_u32_e64 s[4:5], 64, v0
	s_barrier
	ds_write_b32 v16, v15
	s_waitcnt lgkmcnt(0)
	s_barrier
	s_and_saveexec_b64 s[36:37], s[4:5]
	s_cbranch_execz .LBB1779_30
; %bb.29:
	v_lshlrev_b32_e32 v16, 1, v0
	v_lshrrev_b32_e32 v17, 4, v0
	v_add_lshl_u32 v19, v17, v16, 2
	ds_read2_b32 v[16:17], v19 offset1:1
	v_mbcnt_lo_u32_b32 v20, -1, 0
	v_mbcnt_hi_u32_b32 v20, -1, v20
	v_and_b32_e32 v21, 15, v20
	v_cmp_eq_u32_e64 s[4:5], 0, v21
	s_waitcnt lgkmcnt(0)
	v_add_f32_e32 v17, v16, v17
	v_cmp_lt_u32_e64 s[28:29], 3, v21
	v_cmp_lt_u32_e64 s[30:31], 31, v20
	v_mov_b32_dpp v22, v17 row_shr:1 row_mask:0xf bank_mask:0xf
	v_add_f32_e32 v22, v17, v22
	v_cndmask_b32_e64 v17, v22, v17, s[4:5]
	v_cmp_lt_u32_e64 s[4:5], 1, v21
	s_nop 0
	v_mov_b32_dpp v22, v17 row_shr:2 row_mask:0xf bank_mask:0xf
	v_add_f32_e32 v22, v17, v22
	v_cndmask_b32_e64 v22, v17, v22, s[4:5]
	; wave barrier
	s_nop 1
	v_mov_b32_dpp v23, v22 row_shr:4 row_mask:0xf bank_mask:0xf
	v_add_f32_e32 v23, v22, v23
	v_cndmask_b32_e64 v22, v22, v23, s[28:29]
	v_cmp_lt_u32_e64 s[28:29], 7, v21
	s_nop 0
	v_mov_b32_dpp v23, v22 row_shr:8 row_mask:0xf bank_mask:0xf
	v_add_f32_e32 v23, v22, v23
	v_cndmask_b32_e64 v21, v22, v23, s[28:29]
	v_and_b32_e32 v23, 16, v20
	v_cmp_eq_u32_e64 s[28:29], 0, v23
	v_mov_b32_dpp v22, v21 row_bcast:15 row_mask:0xf bank_mask:0xf
	v_add_f32_e32 v22, v21, v22
	v_cndmask_b32_e64 v21, v22, v21, s[28:29]
	v_cmp_lt_u32_e64 s[28:29], 15, v20
	s_or_b64 s[4:5], s[28:29], s[4:5]
	v_mov_b32_dpp v22, v21 row_bcast:31 row_mask:0xf bank_mask:0xf
	v_add_f32_e32 v22, v21, v22
	v_cndmask_b32_e64 v21, v21, v22, s[30:31]
	v_cndmask_b32_e64 v17, v17, v21, s[4:5]
	v_add_u32_e32 v21, -1, v20
	v_and_b32_e32 v22, 64, v20
	v_cmp_lt_i32_e64 s[4:5], v21, v22
	v_cndmask_b32_e64 v20, v21, v20, s[4:5]
	v_lshlrev_b32_e32 v20, 2, v20
	ds_bpermute_b32 v17, v20, v17
	v_cmp_eq_u32_e64 s[4:5], 0, v0
	s_waitcnt lgkmcnt(0)
	v_add_f32_e32 v16, v16, v17
	v_cndmask_b32_e64 v15, v16, v15, s[4:5]
	ds_write_b32 v19, v15
	; wave barrier
	ds_read_b32 v16, v19 offset:4
	s_waitcnt lgkmcnt(0)
	v_add_f32_e32 v15, v15, v16
	ds_write_b32 v19, v15 offset:4
.LBB1779_30:
	s_or_b64 exec, exec, s[36:37]
	v_cmp_ne_u32_e64 s[4:5], 0, v0
	v_mov_b32_e32 v16, s33
	s_waitcnt lgkmcnt(0)
	s_barrier
	s_and_saveexec_b64 s[28:29], s[4:5]
	s_cbranch_execz .LBB1779_32
; %bb.31:
	v_add_u32_e32 v15, -1, v0
	v_lshrrev_b32_e32 v16, 5, v15
	v_add_lshl_u32 v15, v16, v15, 2
	ds_read_b32 v15, v15
	s_waitcnt lgkmcnt(0)
	v_add_f32_e32 v16, s33, v15
.LBB1779_32:
	s_or_b64 exec, exec, s[28:29]
	v_add_f32_e32 v17, v10, v16
	v_add_f32_e32 v10, v11, v17
	;; [unrolled: 1-line block ×12, first 2 shown]
	s_movk_i32 s4, 0xffcc
	v_add_f32_e32 v5, v14, v4
	v_mad_i32_i24 v0, v0, s4, v1
	s_barrier
	ds_write2_b64 v1, v[16:17], v[10:11] offset1:1
	ds_write2_b64 v1, v[12:13], v[6:7] offset0:2 offset1:3
	ds_write2_b64 v1, v[8:9], v[2:3] offset0:4 offset1:5
	ds_write_b64 v1, v[4:5] offset:48
	s_waitcnt lgkmcnt(0)
	s_barrier
	ds_read2st64_b32 v[12:13], v0 offset0:2 offset1:4
	ds_read2st64_b32 v[10:11], v0 offset0:6 offset1:8
	;; [unrolled: 1-line block ×4, first 2 shown]
	ds_read_b32 v14, v18 offset:4096
	ds_read2st64_b32 v[4:5], v0 offset0:20 offset1:22
	ds_read2st64_b32 v[0:1], v0 offset0:24 offset1:26
	v_mov_b32_e32 v3, s35
	v_add_co_u32_e64 v2, s[4:5], s34, v18
	v_addc_co_u32_e64 v3, s[4:5], 0, v3, s[4:5]
	s_and_saveexec_b64 s[4:5], vcc
	s_cbranch_execnz .LBB1779_47
; %bb.33:
	s_or_b64 exec, exec, s[4:5]
	s_and_saveexec_b64 s[4:5], s[0:1]
	s_cbranch_execnz .LBB1779_48
.LBB1779_34:
	s_or_b64 exec, exec, s[4:5]
	s_and_saveexec_b64 s[0:1], s[2:3]
	s_cbranch_execnz .LBB1779_49
.LBB1779_35:
	s_or_b64 exec, exec, s[0:1]
	s_and_saveexec_b64 s[0:1], s[26:27]
	s_cbranch_execnz .LBB1779_50
.LBB1779_36:
	s_or_b64 exec, exec, s[0:1]
	s_and_saveexec_b64 s[0:1], s[6:7]
	s_cbranch_execnz .LBB1779_51
.LBB1779_37:
	s_or_b64 exec, exec, s[0:1]
	s_and_saveexec_b64 s[0:1], s[8:9]
	s_cbranch_execnz .LBB1779_52
.LBB1779_38:
	s_or_b64 exec, exec, s[0:1]
	s_and_saveexec_b64 s[0:1], s[10:11]
	s_cbranch_execnz .LBB1779_53
.LBB1779_39:
	s_or_b64 exec, exec, s[0:1]
	s_and_saveexec_b64 s[0:1], s[12:13]
	s_cbranch_execnz .LBB1779_54
.LBB1779_40:
	s_or_b64 exec, exec, s[0:1]
	s_and_saveexec_b64 s[0:1], s[14:15]
	s_cbranch_execnz .LBB1779_55
.LBB1779_41:
	s_or_b64 exec, exec, s[0:1]
	s_and_saveexec_b64 s[0:1], s[16:17]
	s_cbranch_execnz .LBB1779_56
.LBB1779_42:
	s_or_b64 exec, exec, s[0:1]
	s_and_saveexec_b64 s[0:1], s[18:19]
	s_cbranch_execnz .LBB1779_57
.LBB1779_43:
	s_or_b64 exec, exec, s[0:1]
	s_and_saveexec_b64 s[0:1], s[20:21]
	s_cbranch_execnz .LBB1779_58
.LBB1779_44:
	s_or_b64 exec, exec, s[0:1]
	s_and_saveexec_b64 s[0:1], s[22:23]
	s_cbranch_execnz .LBB1779_59
.LBB1779_45:
	s_or_b64 exec, exec, s[0:1]
	s_and_saveexec_b64 s[0:1], s[24:25]
	s_cbranch_execnz .LBB1779_60
.LBB1779_46:
	s_endpgm
.LBB1779_47:
	ds_read_b32 v15, v18
	s_waitcnt lgkmcnt(0)
	global_store_dword v[2:3], v15, off
	s_or_b64 exec, exec, s[4:5]
	s_and_saveexec_b64 s[4:5], s[0:1]
	s_cbranch_execz .LBB1779_34
.LBB1779_48:
	s_waitcnt lgkmcnt(6)
	global_store_dword v[2:3], v12, off offset:512
	s_or_b64 exec, exec, s[4:5]
	s_and_saveexec_b64 s[0:1], s[2:3]
	s_cbranch_execz .LBB1779_35
.LBB1779_49:
	s_waitcnt lgkmcnt(6)
	global_store_dword v[2:3], v13, off offset:1024
	s_or_b64 exec, exec, s[0:1]
	s_and_saveexec_b64 s[0:1], s[26:27]
	s_cbranch_execz .LBB1779_36
.LBB1779_50:
	s_waitcnt lgkmcnt(5)
	global_store_dword v[2:3], v10, off offset:1536
	s_or_b64 exec, exec, s[0:1]
	s_and_saveexec_b64 s[0:1], s[6:7]
	s_cbranch_execz .LBB1779_37
.LBB1779_51:
	s_waitcnt lgkmcnt(5)
	global_store_dword v[2:3], v11, off offset:2048
	s_or_b64 exec, exec, s[0:1]
	s_and_saveexec_b64 s[0:1], s[8:9]
	s_cbranch_execz .LBB1779_38
.LBB1779_52:
	s_waitcnt lgkmcnt(4)
	global_store_dword v[2:3], v8, off offset:2560
	s_or_b64 exec, exec, s[0:1]
	s_and_saveexec_b64 s[0:1], s[10:11]
	s_cbranch_execz .LBB1779_39
.LBB1779_53:
	s_waitcnt lgkmcnt(4)
	global_store_dword v[2:3], v9, off offset:3072
	s_or_b64 exec, exec, s[0:1]
	s_and_saveexec_b64 s[0:1], s[12:13]
	s_cbranch_execz .LBB1779_40
.LBB1779_54:
	s_waitcnt lgkmcnt(3)
	global_store_dword v[2:3], v6, off offset:3584
	s_or_b64 exec, exec, s[0:1]
	s_and_saveexec_b64 s[0:1], s[14:15]
	s_cbranch_execz .LBB1779_41
.LBB1779_55:
	s_waitcnt lgkmcnt(4)
	v_add_co_u32_e32 v8, vcc, 0x1000, v2
	v_addc_co_u32_e32 v9, vcc, 0, v3, vcc
	s_waitcnt lgkmcnt(2)
	global_store_dword v[8:9], v14, off
	s_or_b64 exec, exec, s[0:1]
	s_and_saveexec_b64 s[0:1], s[16:17]
	s_cbranch_execz .LBB1779_42
.LBB1779_56:
	s_waitcnt lgkmcnt(4)
	v_add_co_u32_e32 v8, vcc, 0x1000, v2
	v_addc_co_u32_e32 v9, vcc, 0, v3, vcc
	s_waitcnt lgkmcnt(3)
	global_store_dword v[8:9], v7, off offset:512
	s_or_b64 exec, exec, s[0:1]
	s_and_saveexec_b64 s[0:1], s[18:19]
	s_cbranch_execz .LBB1779_43
.LBB1779_57:
	s_waitcnt lgkmcnt(3)
	v_add_co_u32_e32 v6, vcc, 0x1000, v2
	v_addc_co_u32_e32 v7, vcc, 0, v3, vcc
	s_waitcnt lgkmcnt(1)
	global_store_dword v[6:7], v4, off offset:1024
	s_or_b64 exec, exec, s[0:1]
	s_and_saveexec_b64 s[0:1], s[20:21]
	s_cbranch_execz .LBB1779_44
.LBB1779_58:
	s_waitcnt lgkmcnt(3)
	v_add_co_u32_e32 v6, vcc, 0x1000, v2
	v_addc_co_u32_e32 v7, vcc, 0, v3, vcc
	s_waitcnt lgkmcnt(1)
	global_store_dword v[6:7], v5, off offset:1536
	s_or_b64 exec, exec, s[0:1]
	s_and_saveexec_b64 s[0:1], s[22:23]
	s_cbranch_execz .LBB1779_45
.LBB1779_59:
	s_waitcnt lgkmcnt(1)
	v_add_co_u32_e32 v4, vcc, 0x1000, v2
	v_addc_co_u32_e32 v5, vcc, 0, v3, vcc
	s_waitcnt lgkmcnt(0)
	global_store_dword v[4:5], v0, off offset:2048
	s_or_b64 exec, exec, s[0:1]
	s_and_saveexec_b64 s[0:1], s[24:25]
	s_cbranch_execz .LBB1779_46
.LBB1779_60:
	v_add_co_u32_e32 v2, vcc, 0x1000, v2
	v_addc_co_u32_e32 v3, vcc, 0, v3, vcc
	s_waitcnt lgkmcnt(0)
	global_store_dword v[2:3], v1, off offset:2560
	s_endpgm
	.section	.rodata,"a",@progbits
	.p2align	6, 0x0
	.amdhsa_kernel _ZN7rocprim17ROCPRIM_400000_NS6detail17trampoline_kernelINS0_14default_configENS1_20scan_config_selectorIfEEZZNS1_9scan_implILNS1_25lookback_scan_determinismE0ELb1ELb1ES3_N6thrust23THRUST_200600_302600_NS6detail15normal_iteratorINS9_10device_ptrIiEEEENSB_INSC_IfEEEEfNS9_4plusIvEEfEEDaPvRmT3_T4_T5_mT6_P12ihipStream_tbENKUlT_T0_E_clISt17integral_constantIbLb0EESV_IbLb1EEEEDaSR_SS_EUlSR_E0_NS1_11comp_targetILNS1_3genE4ELNS1_11target_archE910ELNS1_3gpuE8ELNS1_3repE0EEENS1_30default_config_static_selectorELNS0_4arch9wavefront6targetE1EEEvT1_
		.amdhsa_group_segment_fixed_size 7168
		.amdhsa_private_segment_fixed_size 0
		.amdhsa_kernarg_size 32
		.amdhsa_user_sgpr_count 6
		.amdhsa_user_sgpr_private_segment_buffer 1
		.amdhsa_user_sgpr_dispatch_ptr 0
		.amdhsa_user_sgpr_queue_ptr 0
		.amdhsa_user_sgpr_kernarg_segment_ptr 1
		.amdhsa_user_sgpr_dispatch_id 0
		.amdhsa_user_sgpr_flat_scratch_init 0
		.amdhsa_user_sgpr_kernarg_preload_length 0
		.amdhsa_user_sgpr_kernarg_preload_offset 0
		.amdhsa_user_sgpr_private_segment_size 0
		.amdhsa_uses_dynamic_stack 0
		.amdhsa_system_sgpr_private_segment_wavefront_offset 0
		.amdhsa_system_sgpr_workgroup_id_x 1
		.amdhsa_system_sgpr_workgroup_id_y 0
		.amdhsa_system_sgpr_workgroup_id_z 0
		.amdhsa_system_sgpr_workgroup_info 0
		.amdhsa_system_vgpr_workitem_id 0
		.amdhsa_next_free_vgpr 24
		.amdhsa_next_free_sgpr 38
		.amdhsa_accum_offset 24
		.amdhsa_reserve_vcc 1
		.amdhsa_reserve_flat_scratch 0
		.amdhsa_float_round_mode_32 0
		.amdhsa_float_round_mode_16_64 0
		.amdhsa_float_denorm_mode_32 3
		.amdhsa_float_denorm_mode_16_64 3
		.amdhsa_dx10_clamp 1
		.amdhsa_ieee_mode 1
		.amdhsa_fp16_overflow 0
		.amdhsa_tg_split 0
		.amdhsa_exception_fp_ieee_invalid_op 0
		.amdhsa_exception_fp_denorm_src 0
		.amdhsa_exception_fp_ieee_div_zero 0
		.amdhsa_exception_fp_ieee_overflow 0
		.amdhsa_exception_fp_ieee_underflow 0
		.amdhsa_exception_fp_ieee_inexact 0
		.amdhsa_exception_int_div_zero 0
	.end_amdhsa_kernel
	.section	.text._ZN7rocprim17ROCPRIM_400000_NS6detail17trampoline_kernelINS0_14default_configENS1_20scan_config_selectorIfEEZZNS1_9scan_implILNS1_25lookback_scan_determinismE0ELb1ELb1ES3_N6thrust23THRUST_200600_302600_NS6detail15normal_iteratorINS9_10device_ptrIiEEEENSB_INSC_IfEEEEfNS9_4plusIvEEfEEDaPvRmT3_T4_T5_mT6_P12ihipStream_tbENKUlT_T0_E_clISt17integral_constantIbLb0EESV_IbLb1EEEEDaSR_SS_EUlSR_E0_NS1_11comp_targetILNS1_3genE4ELNS1_11target_archE910ELNS1_3gpuE8ELNS1_3repE0EEENS1_30default_config_static_selectorELNS0_4arch9wavefront6targetE1EEEvT1_,"axG",@progbits,_ZN7rocprim17ROCPRIM_400000_NS6detail17trampoline_kernelINS0_14default_configENS1_20scan_config_selectorIfEEZZNS1_9scan_implILNS1_25lookback_scan_determinismE0ELb1ELb1ES3_N6thrust23THRUST_200600_302600_NS6detail15normal_iteratorINS9_10device_ptrIiEEEENSB_INSC_IfEEEEfNS9_4plusIvEEfEEDaPvRmT3_T4_T5_mT6_P12ihipStream_tbENKUlT_T0_E_clISt17integral_constantIbLb0EESV_IbLb1EEEEDaSR_SS_EUlSR_E0_NS1_11comp_targetILNS1_3genE4ELNS1_11target_archE910ELNS1_3gpuE8ELNS1_3repE0EEENS1_30default_config_static_selectorELNS0_4arch9wavefront6targetE1EEEvT1_,comdat
.Lfunc_end1779:
	.size	_ZN7rocprim17ROCPRIM_400000_NS6detail17trampoline_kernelINS0_14default_configENS1_20scan_config_selectorIfEEZZNS1_9scan_implILNS1_25lookback_scan_determinismE0ELb1ELb1ES3_N6thrust23THRUST_200600_302600_NS6detail15normal_iteratorINS9_10device_ptrIiEEEENSB_INSC_IfEEEEfNS9_4plusIvEEfEEDaPvRmT3_T4_T5_mT6_P12ihipStream_tbENKUlT_T0_E_clISt17integral_constantIbLb0EESV_IbLb1EEEEDaSR_SS_EUlSR_E0_NS1_11comp_targetILNS1_3genE4ELNS1_11target_archE910ELNS1_3gpuE8ELNS1_3repE0EEENS1_30default_config_static_selectorELNS0_4arch9wavefront6targetE1EEEvT1_, .Lfunc_end1779-_ZN7rocprim17ROCPRIM_400000_NS6detail17trampoline_kernelINS0_14default_configENS1_20scan_config_selectorIfEEZZNS1_9scan_implILNS1_25lookback_scan_determinismE0ELb1ELb1ES3_N6thrust23THRUST_200600_302600_NS6detail15normal_iteratorINS9_10device_ptrIiEEEENSB_INSC_IfEEEEfNS9_4plusIvEEfEEDaPvRmT3_T4_T5_mT6_P12ihipStream_tbENKUlT_T0_E_clISt17integral_constantIbLb0EESV_IbLb1EEEEDaSR_SS_EUlSR_E0_NS1_11comp_targetILNS1_3genE4ELNS1_11target_archE910ELNS1_3gpuE8ELNS1_3repE0EEENS1_30default_config_static_selectorELNS0_4arch9wavefront6targetE1EEEvT1_
                                        ; -- End function
	.section	.AMDGPU.csdata,"",@progbits
; Kernel info:
; codeLenInByte = 2132
; NumSgprs: 42
; NumVgprs: 24
; NumAgprs: 0
; TotalNumVgprs: 24
; ScratchSize: 0
; MemoryBound: 0
; FloatMode: 240
; IeeeMode: 1
; LDSByteSize: 7168 bytes/workgroup (compile time only)
; SGPRBlocks: 5
; VGPRBlocks: 2
; NumSGPRsForWavesPerEU: 42
; NumVGPRsForWavesPerEU: 24
; AccumOffset: 24
; Occupancy: 5
; WaveLimiterHint : 0
; COMPUTE_PGM_RSRC2:SCRATCH_EN: 0
; COMPUTE_PGM_RSRC2:USER_SGPR: 6
; COMPUTE_PGM_RSRC2:TRAP_HANDLER: 0
; COMPUTE_PGM_RSRC2:TGID_X_EN: 1
; COMPUTE_PGM_RSRC2:TGID_Y_EN: 0
; COMPUTE_PGM_RSRC2:TGID_Z_EN: 0
; COMPUTE_PGM_RSRC2:TIDIG_COMP_CNT: 0
; COMPUTE_PGM_RSRC3_GFX90A:ACCUM_OFFSET: 5
; COMPUTE_PGM_RSRC3_GFX90A:TG_SPLIT: 0
	.section	.text._ZN7rocprim17ROCPRIM_400000_NS6detail17trampoline_kernelINS0_14default_configENS1_20scan_config_selectorIfEEZZNS1_9scan_implILNS1_25lookback_scan_determinismE0ELb1ELb1ES3_N6thrust23THRUST_200600_302600_NS6detail15normal_iteratorINS9_10device_ptrIiEEEENSB_INSC_IfEEEEfNS9_4plusIvEEfEEDaPvRmT3_T4_T5_mT6_P12ihipStream_tbENKUlT_T0_E_clISt17integral_constantIbLb0EESV_IbLb1EEEEDaSR_SS_EUlSR_E0_NS1_11comp_targetILNS1_3genE3ELNS1_11target_archE908ELNS1_3gpuE7ELNS1_3repE0EEENS1_30default_config_static_selectorELNS0_4arch9wavefront6targetE1EEEvT1_,"axG",@progbits,_ZN7rocprim17ROCPRIM_400000_NS6detail17trampoline_kernelINS0_14default_configENS1_20scan_config_selectorIfEEZZNS1_9scan_implILNS1_25lookback_scan_determinismE0ELb1ELb1ES3_N6thrust23THRUST_200600_302600_NS6detail15normal_iteratorINS9_10device_ptrIiEEEENSB_INSC_IfEEEEfNS9_4plusIvEEfEEDaPvRmT3_T4_T5_mT6_P12ihipStream_tbENKUlT_T0_E_clISt17integral_constantIbLb0EESV_IbLb1EEEEDaSR_SS_EUlSR_E0_NS1_11comp_targetILNS1_3genE3ELNS1_11target_archE908ELNS1_3gpuE7ELNS1_3repE0EEENS1_30default_config_static_selectorELNS0_4arch9wavefront6targetE1EEEvT1_,comdat
	.protected	_ZN7rocprim17ROCPRIM_400000_NS6detail17trampoline_kernelINS0_14default_configENS1_20scan_config_selectorIfEEZZNS1_9scan_implILNS1_25lookback_scan_determinismE0ELb1ELb1ES3_N6thrust23THRUST_200600_302600_NS6detail15normal_iteratorINS9_10device_ptrIiEEEENSB_INSC_IfEEEEfNS9_4plusIvEEfEEDaPvRmT3_T4_T5_mT6_P12ihipStream_tbENKUlT_T0_E_clISt17integral_constantIbLb0EESV_IbLb1EEEEDaSR_SS_EUlSR_E0_NS1_11comp_targetILNS1_3genE3ELNS1_11target_archE908ELNS1_3gpuE7ELNS1_3repE0EEENS1_30default_config_static_selectorELNS0_4arch9wavefront6targetE1EEEvT1_ ; -- Begin function _ZN7rocprim17ROCPRIM_400000_NS6detail17trampoline_kernelINS0_14default_configENS1_20scan_config_selectorIfEEZZNS1_9scan_implILNS1_25lookback_scan_determinismE0ELb1ELb1ES3_N6thrust23THRUST_200600_302600_NS6detail15normal_iteratorINS9_10device_ptrIiEEEENSB_INSC_IfEEEEfNS9_4plusIvEEfEEDaPvRmT3_T4_T5_mT6_P12ihipStream_tbENKUlT_T0_E_clISt17integral_constantIbLb0EESV_IbLb1EEEEDaSR_SS_EUlSR_E0_NS1_11comp_targetILNS1_3genE3ELNS1_11target_archE908ELNS1_3gpuE7ELNS1_3repE0EEENS1_30default_config_static_selectorELNS0_4arch9wavefront6targetE1EEEvT1_
	.globl	_ZN7rocprim17ROCPRIM_400000_NS6detail17trampoline_kernelINS0_14default_configENS1_20scan_config_selectorIfEEZZNS1_9scan_implILNS1_25lookback_scan_determinismE0ELb1ELb1ES3_N6thrust23THRUST_200600_302600_NS6detail15normal_iteratorINS9_10device_ptrIiEEEENSB_INSC_IfEEEEfNS9_4plusIvEEfEEDaPvRmT3_T4_T5_mT6_P12ihipStream_tbENKUlT_T0_E_clISt17integral_constantIbLb0EESV_IbLb1EEEEDaSR_SS_EUlSR_E0_NS1_11comp_targetILNS1_3genE3ELNS1_11target_archE908ELNS1_3gpuE7ELNS1_3repE0EEENS1_30default_config_static_selectorELNS0_4arch9wavefront6targetE1EEEvT1_
	.p2align	8
	.type	_ZN7rocprim17ROCPRIM_400000_NS6detail17trampoline_kernelINS0_14default_configENS1_20scan_config_selectorIfEEZZNS1_9scan_implILNS1_25lookback_scan_determinismE0ELb1ELb1ES3_N6thrust23THRUST_200600_302600_NS6detail15normal_iteratorINS9_10device_ptrIiEEEENSB_INSC_IfEEEEfNS9_4plusIvEEfEEDaPvRmT3_T4_T5_mT6_P12ihipStream_tbENKUlT_T0_E_clISt17integral_constantIbLb0EESV_IbLb1EEEEDaSR_SS_EUlSR_E0_NS1_11comp_targetILNS1_3genE3ELNS1_11target_archE908ELNS1_3gpuE7ELNS1_3repE0EEENS1_30default_config_static_selectorELNS0_4arch9wavefront6targetE1EEEvT1_,@function
_ZN7rocprim17ROCPRIM_400000_NS6detail17trampoline_kernelINS0_14default_configENS1_20scan_config_selectorIfEEZZNS1_9scan_implILNS1_25lookback_scan_determinismE0ELb1ELb1ES3_N6thrust23THRUST_200600_302600_NS6detail15normal_iteratorINS9_10device_ptrIiEEEENSB_INSC_IfEEEEfNS9_4plusIvEEfEEDaPvRmT3_T4_T5_mT6_P12ihipStream_tbENKUlT_T0_E_clISt17integral_constantIbLb0EESV_IbLb1EEEEDaSR_SS_EUlSR_E0_NS1_11comp_targetILNS1_3genE3ELNS1_11target_archE908ELNS1_3gpuE7ELNS1_3repE0EEENS1_30default_config_static_selectorELNS0_4arch9wavefront6targetE1EEEvT1_: ; @_ZN7rocprim17ROCPRIM_400000_NS6detail17trampoline_kernelINS0_14default_configENS1_20scan_config_selectorIfEEZZNS1_9scan_implILNS1_25lookback_scan_determinismE0ELb1ELb1ES3_N6thrust23THRUST_200600_302600_NS6detail15normal_iteratorINS9_10device_ptrIiEEEENSB_INSC_IfEEEEfNS9_4plusIvEEfEEDaPvRmT3_T4_T5_mT6_P12ihipStream_tbENKUlT_T0_E_clISt17integral_constantIbLb0EESV_IbLb1EEEEDaSR_SS_EUlSR_E0_NS1_11comp_targetILNS1_3genE3ELNS1_11target_archE908ELNS1_3gpuE7ELNS1_3repE0EEENS1_30default_config_static_selectorELNS0_4arch9wavefront6targetE1EEEvT1_
; %bb.0:
	.section	.rodata,"a",@progbits
	.p2align	6, 0x0
	.amdhsa_kernel _ZN7rocprim17ROCPRIM_400000_NS6detail17trampoline_kernelINS0_14default_configENS1_20scan_config_selectorIfEEZZNS1_9scan_implILNS1_25lookback_scan_determinismE0ELb1ELb1ES3_N6thrust23THRUST_200600_302600_NS6detail15normal_iteratorINS9_10device_ptrIiEEEENSB_INSC_IfEEEEfNS9_4plusIvEEfEEDaPvRmT3_T4_T5_mT6_P12ihipStream_tbENKUlT_T0_E_clISt17integral_constantIbLb0EESV_IbLb1EEEEDaSR_SS_EUlSR_E0_NS1_11comp_targetILNS1_3genE3ELNS1_11target_archE908ELNS1_3gpuE7ELNS1_3repE0EEENS1_30default_config_static_selectorELNS0_4arch9wavefront6targetE1EEEvT1_
		.amdhsa_group_segment_fixed_size 0
		.amdhsa_private_segment_fixed_size 0
		.amdhsa_kernarg_size 32
		.amdhsa_user_sgpr_count 6
		.amdhsa_user_sgpr_private_segment_buffer 1
		.amdhsa_user_sgpr_dispatch_ptr 0
		.amdhsa_user_sgpr_queue_ptr 0
		.amdhsa_user_sgpr_kernarg_segment_ptr 1
		.amdhsa_user_sgpr_dispatch_id 0
		.amdhsa_user_sgpr_flat_scratch_init 0
		.amdhsa_user_sgpr_kernarg_preload_length 0
		.amdhsa_user_sgpr_kernarg_preload_offset 0
		.amdhsa_user_sgpr_private_segment_size 0
		.amdhsa_uses_dynamic_stack 0
		.amdhsa_system_sgpr_private_segment_wavefront_offset 0
		.amdhsa_system_sgpr_workgroup_id_x 1
		.amdhsa_system_sgpr_workgroup_id_y 0
		.amdhsa_system_sgpr_workgroup_id_z 0
		.amdhsa_system_sgpr_workgroup_info 0
		.amdhsa_system_vgpr_workitem_id 0
		.amdhsa_next_free_vgpr 1
		.amdhsa_next_free_sgpr 0
		.amdhsa_accum_offset 4
		.amdhsa_reserve_vcc 0
		.amdhsa_reserve_flat_scratch 0
		.amdhsa_float_round_mode_32 0
		.amdhsa_float_round_mode_16_64 0
		.amdhsa_float_denorm_mode_32 3
		.amdhsa_float_denorm_mode_16_64 3
		.amdhsa_dx10_clamp 1
		.amdhsa_ieee_mode 1
		.amdhsa_fp16_overflow 0
		.amdhsa_tg_split 0
		.amdhsa_exception_fp_ieee_invalid_op 0
		.amdhsa_exception_fp_denorm_src 0
		.amdhsa_exception_fp_ieee_div_zero 0
		.amdhsa_exception_fp_ieee_overflow 0
		.amdhsa_exception_fp_ieee_underflow 0
		.amdhsa_exception_fp_ieee_inexact 0
		.amdhsa_exception_int_div_zero 0
	.end_amdhsa_kernel
	.section	.text._ZN7rocprim17ROCPRIM_400000_NS6detail17trampoline_kernelINS0_14default_configENS1_20scan_config_selectorIfEEZZNS1_9scan_implILNS1_25lookback_scan_determinismE0ELb1ELb1ES3_N6thrust23THRUST_200600_302600_NS6detail15normal_iteratorINS9_10device_ptrIiEEEENSB_INSC_IfEEEEfNS9_4plusIvEEfEEDaPvRmT3_T4_T5_mT6_P12ihipStream_tbENKUlT_T0_E_clISt17integral_constantIbLb0EESV_IbLb1EEEEDaSR_SS_EUlSR_E0_NS1_11comp_targetILNS1_3genE3ELNS1_11target_archE908ELNS1_3gpuE7ELNS1_3repE0EEENS1_30default_config_static_selectorELNS0_4arch9wavefront6targetE1EEEvT1_,"axG",@progbits,_ZN7rocprim17ROCPRIM_400000_NS6detail17trampoline_kernelINS0_14default_configENS1_20scan_config_selectorIfEEZZNS1_9scan_implILNS1_25lookback_scan_determinismE0ELb1ELb1ES3_N6thrust23THRUST_200600_302600_NS6detail15normal_iteratorINS9_10device_ptrIiEEEENSB_INSC_IfEEEEfNS9_4plusIvEEfEEDaPvRmT3_T4_T5_mT6_P12ihipStream_tbENKUlT_T0_E_clISt17integral_constantIbLb0EESV_IbLb1EEEEDaSR_SS_EUlSR_E0_NS1_11comp_targetILNS1_3genE3ELNS1_11target_archE908ELNS1_3gpuE7ELNS1_3repE0EEENS1_30default_config_static_selectorELNS0_4arch9wavefront6targetE1EEEvT1_,comdat
.Lfunc_end1780:
	.size	_ZN7rocprim17ROCPRIM_400000_NS6detail17trampoline_kernelINS0_14default_configENS1_20scan_config_selectorIfEEZZNS1_9scan_implILNS1_25lookback_scan_determinismE0ELb1ELb1ES3_N6thrust23THRUST_200600_302600_NS6detail15normal_iteratorINS9_10device_ptrIiEEEENSB_INSC_IfEEEEfNS9_4plusIvEEfEEDaPvRmT3_T4_T5_mT6_P12ihipStream_tbENKUlT_T0_E_clISt17integral_constantIbLb0EESV_IbLb1EEEEDaSR_SS_EUlSR_E0_NS1_11comp_targetILNS1_3genE3ELNS1_11target_archE908ELNS1_3gpuE7ELNS1_3repE0EEENS1_30default_config_static_selectorELNS0_4arch9wavefront6targetE1EEEvT1_, .Lfunc_end1780-_ZN7rocprim17ROCPRIM_400000_NS6detail17trampoline_kernelINS0_14default_configENS1_20scan_config_selectorIfEEZZNS1_9scan_implILNS1_25lookback_scan_determinismE0ELb1ELb1ES3_N6thrust23THRUST_200600_302600_NS6detail15normal_iteratorINS9_10device_ptrIiEEEENSB_INSC_IfEEEEfNS9_4plusIvEEfEEDaPvRmT3_T4_T5_mT6_P12ihipStream_tbENKUlT_T0_E_clISt17integral_constantIbLb0EESV_IbLb1EEEEDaSR_SS_EUlSR_E0_NS1_11comp_targetILNS1_3genE3ELNS1_11target_archE908ELNS1_3gpuE7ELNS1_3repE0EEENS1_30default_config_static_selectorELNS0_4arch9wavefront6targetE1EEEvT1_
                                        ; -- End function
	.section	.AMDGPU.csdata,"",@progbits
; Kernel info:
; codeLenInByte = 0
; NumSgprs: 4
; NumVgprs: 0
; NumAgprs: 0
; TotalNumVgprs: 0
; ScratchSize: 0
; MemoryBound: 0
; FloatMode: 240
; IeeeMode: 1
; LDSByteSize: 0 bytes/workgroup (compile time only)
; SGPRBlocks: 0
; VGPRBlocks: 0
; NumSGPRsForWavesPerEU: 4
; NumVGPRsForWavesPerEU: 1
; AccumOffset: 4
; Occupancy: 8
; WaveLimiterHint : 0
; COMPUTE_PGM_RSRC2:SCRATCH_EN: 0
; COMPUTE_PGM_RSRC2:USER_SGPR: 6
; COMPUTE_PGM_RSRC2:TRAP_HANDLER: 0
; COMPUTE_PGM_RSRC2:TGID_X_EN: 1
; COMPUTE_PGM_RSRC2:TGID_Y_EN: 0
; COMPUTE_PGM_RSRC2:TGID_Z_EN: 0
; COMPUTE_PGM_RSRC2:TIDIG_COMP_CNT: 0
; COMPUTE_PGM_RSRC3_GFX90A:ACCUM_OFFSET: 0
; COMPUTE_PGM_RSRC3_GFX90A:TG_SPLIT: 0
	.section	.text._ZN7rocprim17ROCPRIM_400000_NS6detail17trampoline_kernelINS0_14default_configENS1_20scan_config_selectorIfEEZZNS1_9scan_implILNS1_25lookback_scan_determinismE0ELb1ELb1ES3_N6thrust23THRUST_200600_302600_NS6detail15normal_iteratorINS9_10device_ptrIiEEEENSB_INSC_IfEEEEfNS9_4plusIvEEfEEDaPvRmT3_T4_T5_mT6_P12ihipStream_tbENKUlT_T0_E_clISt17integral_constantIbLb0EESV_IbLb1EEEEDaSR_SS_EUlSR_E0_NS1_11comp_targetILNS1_3genE2ELNS1_11target_archE906ELNS1_3gpuE6ELNS1_3repE0EEENS1_30default_config_static_selectorELNS0_4arch9wavefront6targetE1EEEvT1_,"axG",@progbits,_ZN7rocprim17ROCPRIM_400000_NS6detail17trampoline_kernelINS0_14default_configENS1_20scan_config_selectorIfEEZZNS1_9scan_implILNS1_25lookback_scan_determinismE0ELb1ELb1ES3_N6thrust23THRUST_200600_302600_NS6detail15normal_iteratorINS9_10device_ptrIiEEEENSB_INSC_IfEEEEfNS9_4plusIvEEfEEDaPvRmT3_T4_T5_mT6_P12ihipStream_tbENKUlT_T0_E_clISt17integral_constantIbLb0EESV_IbLb1EEEEDaSR_SS_EUlSR_E0_NS1_11comp_targetILNS1_3genE2ELNS1_11target_archE906ELNS1_3gpuE6ELNS1_3repE0EEENS1_30default_config_static_selectorELNS0_4arch9wavefront6targetE1EEEvT1_,comdat
	.protected	_ZN7rocprim17ROCPRIM_400000_NS6detail17trampoline_kernelINS0_14default_configENS1_20scan_config_selectorIfEEZZNS1_9scan_implILNS1_25lookback_scan_determinismE0ELb1ELb1ES3_N6thrust23THRUST_200600_302600_NS6detail15normal_iteratorINS9_10device_ptrIiEEEENSB_INSC_IfEEEEfNS9_4plusIvEEfEEDaPvRmT3_T4_T5_mT6_P12ihipStream_tbENKUlT_T0_E_clISt17integral_constantIbLb0EESV_IbLb1EEEEDaSR_SS_EUlSR_E0_NS1_11comp_targetILNS1_3genE2ELNS1_11target_archE906ELNS1_3gpuE6ELNS1_3repE0EEENS1_30default_config_static_selectorELNS0_4arch9wavefront6targetE1EEEvT1_ ; -- Begin function _ZN7rocprim17ROCPRIM_400000_NS6detail17trampoline_kernelINS0_14default_configENS1_20scan_config_selectorIfEEZZNS1_9scan_implILNS1_25lookback_scan_determinismE0ELb1ELb1ES3_N6thrust23THRUST_200600_302600_NS6detail15normal_iteratorINS9_10device_ptrIiEEEENSB_INSC_IfEEEEfNS9_4plusIvEEfEEDaPvRmT3_T4_T5_mT6_P12ihipStream_tbENKUlT_T0_E_clISt17integral_constantIbLb0EESV_IbLb1EEEEDaSR_SS_EUlSR_E0_NS1_11comp_targetILNS1_3genE2ELNS1_11target_archE906ELNS1_3gpuE6ELNS1_3repE0EEENS1_30default_config_static_selectorELNS0_4arch9wavefront6targetE1EEEvT1_
	.globl	_ZN7rocprim17ROCPRIM_400000_NS6detail17trampoline_kernelINS0_14default_configENS1_20scan_config_selectorIfEEZZNS1_9scan_implILNS1_25lookback_scan_determinismE0ELb1ELb1ES3_N6thrust23THRUST_200600_302600_NS6detail15normal_iteratorINS9_10device_ptrIiEEEENSB_INSC_IfEEEEfNS9_4plusIvEEfEEDaPvRmT3_T4_T5_mT6_P12ihipStream_tbENKUlT_T0_E_clISt17integral_constantIbLb0EESV_IbLb1EEEEDaSR_SS_EUlSR_E0_NS1_11comp_targetILNS1_3genE2ELNS1_11target_archE906ELNS1_3gpuE6ELNS1_3repE0EEENS1_30default_config_static_selectorELNS0_4arch9wavefront6targetE1EEEvT1_
	.p2align	8
	.type	_ZN7rocprim17ROCPRIM_400000_NS6detail17trampoline_kernelINS0_14default_configENS1_20scan_config_selectorIfEEZZNS1_9scan_implILNS1_25lookback_scan_determinismE0ELb1ELb1ES3_N6thrust23THRUST_200600_302600_NS6detail15normal_iteratorINS9_10device_ptrIiEEEENSB_INSC_IfEEEEfNS9_4plusIvEEfEEDaPvRmT3_T4_T5_mT6_P12ihipStream_tbENKUlT_T0_E_clISt17integral_constantIbLb0EESV_IbLb1EEEEDaSR_SS_EUlSR_E0_NS1_11comp_targetILNS1_3genE2ELNS1_11target_archE906ELNS1_3gpuE6ELNS1_3repE0EEENS1_30default_config_static_selectorELNS0_4arch9wavefront6targetE1EEEvT1_,@function
_ZN7rocprim17ROCPRIM_400000_NS6detail17trampoline_kernelINS0_14default_configENS1_20scan_config_selectorIfEEZZNS1_9scan_implILNS1_25lookback_scan_determinismE0ELb1ELb1ES3_N6thrust23THRUST_200600_302600_NS6detail15normal_iteratorINS9_10device_ptrIiEEEENSB_INSC_IfEEEEfNS9_4plusIvEEfEEDaPvRmT3_T4_T5_mT6_P12ihipStream_tbENKUlT_T0_E_clISt17integral_constantIbLb0EESV_IbLb1EEEEDaSR_SS_EUlSR_E0_NS1_11comp_targetILNS1_3genE2ELNS1_11target_archE906ELNS1_3gpuE6ELNS1_3repE0EEENS1_30default_config_static_selectorELNS0_4arch9wavefront6targetE1EEEvT1_: ; @_ZN7rocprim17ROCPRIM_400000_NS6detail17trampoline_kernelINS0_14default_configENS1_20scan_config_selectorIfEEZZNS1_9scan_implILNS1_25lookback_scan_determinismE0ELb1ELb1ES3_N6thrust23THRUST_200600_302600_NS6detail15normal_iteratorINS9_10device_ptrIiEEEENSB_INSC_IfEEEEfNS9_4plusIvEEfEEDaPvRmT3_T4_T5_mT6_P12ihipStream_tbENKUlT_T0_E_clISt17integral_constantIbLb0EESV_IbLb1EEEEDaSR_SS_EUlSR_E0_NS1_11comp_targetILNS1_3genE2ELNS1_11target_archE906ELNS1_3gpuE6ELNS1_3repE0EEENS1_30default_config_static_selectorELNS0_4arch9wavefront6targetE1EEEvT1_
; %bb.0:
	.section	.rodata,"a",@progbits
	.p2align	6, 0x0
	.amdhsa_kernel _ZN7rocprim17ROCPRIM_400000_NS6detail17trampoline_kernelINS0_14default_configENS1_20scan_config_selectorIfEEZZNS1_9scan_implILNS1_25lookback_scan_determinismE0ELb1ELb1ES3_N6thrust23THRUST_200600_302600_NS6detail15normal_iteratorINS9_10device_ptrIiEEEENSB_INSC_IfEEEEfNS9_4plusIvEEfEEDaPvRmT3_T4_T5_mT6_P12ihipStream_tbENKUlT_T0_E_clISt17integral_constantIbLb0EESV_IbLb1EEEEDaSR_SS_EUlSR_E0_NS1_11comp_targetILNS1_3genE2ELNS1_11target_archE906ELNS1_3gpuE6ELNS1_3repE0EEENS1_30default_config_static_selectorELNS0_4arch9wavefront6targetE1EEEvT1_
		.amdhsa_group_segment_fixed_size 0
		.amdhsa_private_segment_fixed_size 0
		.amdhsa_kernarg_size 32
		.amdhsa_user_sgpr_count 6
		.amdhsa_user_sgpr_private_segment_buffer 1
		.amdhsa_user_sgpr_dispatch_ptr 0
		.amdhsa_user_sgpr_queue_ptr 0
		.amdhsa_user_sgpr_kernarg_segment_ptr 1
		.amdhsa_user_sgpr_dispatch_id 0
		.amdhsa_user_sgpr_flat_scratch_init 0
		.amdhsa_user_sgpr_kernarg_preload_length 0
		.amdhsa_user_sgpr_kernarg_preload_offset 0
		.amdhsa_user_sgpr_private_segment_size 0
		.amdhsa_uses_dynamic_stack 0
		.amdhsa_system_sgpr_private_segment_wavefront_offset 0
		.amdhsa_system_sgpr_workgroup_id_x 1
		.amdhsa_system_sgpr_workgroup_id_y 0
		.amdhsa_system_sgpr_workgroup_id_z 0
		.amdhsa_system_sgpr_workgroup_info 0
		.amdhsa_system_vgpr_workitem_id 0
		.amdhsa_next_free_vgpr 1
		.amdhsa_next_free_sgpr 0
		.amdhsa_accum_offset 4
		.amdhsa_reserve_vcc 0
		.amdhsa_reserve_flat_scratch 0
		.amdhsa_float_round_mode_32 0
		.amdhsa_float_round_mode_16_64 0
		.amdhsa_float_denorm_mode_32 3
		.amdhsa_float_denorm_mode_16_64 3
		.amdhsa_dx10_clamp 1
		.amdhsa_ieee_mode 1
		.amdhsa_fp16_overflow 0
		.amdhsa_tg_split 0
		.amdhsa_exception_fp_ieee_invalid_op 0
		.amdhsa_exception_fp_denorm_src 0
		.amdhsa_exception_fp_ieee_div_zero 0
		.amdhsa_exception_fp_ieee_overflow 0
		.amdhsa_exception_fp_ieee_underflow 0
		.amdhsa_exception_fp_ieee_inexact 0
		.amdhsa_exception_int_div_zero 0
	.end_amdhsa_kernel
	.section	.text._ZN7rocprim17ROCPRIM_400000_NS6detail17trampoline_kernelINS0_14default_configENS1_20scan_config_selectorIfEEZZNS1_9scan_implILNS1_25lookback_scan_determinismE0ELb1ELb1ES3_N6thrust23THRUST_200600_302600_NS6detail15normal_iteratorINS9_10device_ptrIiEEEENSB_INSC_IfEEEEfNS9_4plusIvEEfEEDaPvRmT3_T4_T5_mT6_P12ihipStream_tbENKUlT_T0_E_clISt17integral_constantIbLb0EESV_IbLb1EEEEDaSR_SS_EUlSR_E0_NS1_11comp_targetILNS1_3genE2ELNS1_11target_archE906ELNS1_3gpuE6ELNS1_3repE0EEENS1_30default_config_static_selectorELNS0_4arch9wavefront6targetE1EEEvT1_,"axG",@progbits,_ZN7rocprim17ROCPRIM_400000_NS6detail17trampoline_kernelINS0_14default_configENS1_20scan_config_selectorIfEEZZNS1_9scan_implILNS1_25lookback_scan_determinismE0ELb1ELb1ES3_N6thrust23THRUST_200600_302600_NS6detail15normal_iteratorINS9_10device_ptrIiEEEENSB_INSC_IfEEEEfNS9_4plusIvEEfEEDaPvRmT3_T4_T5_mT6_P12ihipStream_tbENKUlT_T0_E_clISt17integral_constantIbLb0EESV_IbLb1EEEEDaSR_SS_EUlSR_E0_NS1_11comp_targetILNS1_3genE2ELNS1_11target_archE906ELNS1_3gpuE6ELNS1_3repE0EEENS1_30default_config_static_selectorELNS0_4arch9wavefront6targetE1EEEvT1_,comdat
.Lfunc_end1781:
	.size	_ZN7rocprim17ROCPRIM_400000_NS6detail17trampoline_kernelINS0_14default_configENS1_20scan_config_selectorIfEEZZNS1_9scan_implILNS1_25lookback_scan_determinismE0ELb1ELb1ES3_N6thrust23THRUST_200600_302600_NS6detail15normal_iteratorINS9_10device_ptrIiEEEENSB_INSC_IfEEEEfNS9_4plusIvEEfEEDaPvRmT3_T4_T5_mT6_P12ihipStream_tbENKUlT_T0_E_clISt17integral_constantIbLb0EESV_IbLb1EEEEDaSR_SS_EUlSR_E0_NS1_11comp_targetILNS1_3genE2ELNS1_11target_archE906ELNS1_3gpuE6ELNS1_3repE0EEENS1_30default_config_static_selectorELNS0_4arch9wavefront6targetE1EEEvT1_, .Lfunc_end1781-_ZN7rocprim17ROCPRIM_400000_NS6detail17trampoline_kernelINS0_14default_configENS1_20scan_config_selectorIfEEZZNS1_9scan_implILNS1_25lookback_scan_determinismE0ELb1ELb1ES3_N6thrust23THRUST_200600_302600_NS6detail15normal_iteratorINS9_10device_ptrIiEEEENSB_INSC_IfEEEEfNS9_4plusIvEEfEEDaPvRmT3_T4_T5_mT6_P12ihipStream_tbENKUlT_T0_E_clISt17integral_constantIbLb0EESV_IbLb1EEEEDaSR_SS_EUlSR_E0_NS1_11comp_targetILNS1_3genE2ELNS1_11target_archE906ELNS1_3gpuE6ELNS1_3repE0EEENS1_30default_config_static_selectorELNS0_4arch9wavefront6targetE1EEEvT1_
                                        ; -- End function
	.section	.AMDGPU.csdata,"",@progbits
; Kernel info:
; codeLenInByte = 0
; NumSgprs: 4
; NumVgprs: 0
; NumAgprs: 0
; TotalNumVgprs: 0
; ScratchSize: 0
; MemoryBound: 0
; FloatMode: 240
; IeeeMode: 1
; LDSByteSize: 0 bytes/workgroup (compile time only)
; SGPRBlocks: 0
; VGPRBlocks: 0
; NumSGPRsForWavesPerEU: 4
; NumVGPRsForWavesPerEU: 1
; AccumOffset: 4
; Occupancy: 8
; WaveLimiterHint : 0
; COMPUTE_PGM_RSRC2:SCRATCH_EN: 0
; COMPUTE_PGM_RSRC2:USER_SGPR: 6
; COMPUTE_PGM_RSRC2:TRAP_HANDLER: 0
; COMPUTE_PGM_RSRC2:TGID_X_EN: 1
; COMPUTE_PGM_RSRC2:TGID_Y_EN: 0
; COMPUTE_PGM_RSRC2:TGID_Z_EN: 0
; COMPUTE_PGM_RSRC2:TIDIG_COMP_CNT: 0
; COMPUTE_PGM_RSRC3_GFX90A:ACCUM_OFFSET: 0
; COMPUTE_PGM_RSRC3_GFX90A:TG_SPLIT: 0
	.section	.text._ZN7rocprim17ROCPRIM_400000_NS6detail17trampoline_kernelINS0_14default_configENS1_20scan_config_selectorIfEEZZNS1_9scan_implILNS1_25lookback_scan_determinismE0ELb1ELb1ES3_N6thrust23THRUST_200600_302600_NS6detail15normal_iteratorINS9_10device_ptrIiEEEENSB_INSC_IfEEEEfNS9_4plusIvEEfEEDaPvRmT3_T4_T5_mT6_P12ihipStream_tbENKUlT_T0_E_clISt17integral_constantIbLb0EESV_IbLb1EEEEDaSR_SS_EUlSR_E0_NS1_11comp_targetILNS1_3genE10ELNS1_11target_archE1201ELNS1_3gpuE5ELNS1_3repE0EEENS1_30default_config_static_selectorELNS0_4arch9wavefront6targetE1EEEvT1_,"axG",@progbits,_ZN7rocprim17ROCPRIM_400000_NS6detail17trampoline_kernelINS0_14default_configENS1_20scan_config_selectorIfEEZZNS1_9scan_implILNS1_25lookback_scan_determinismE0ELb1ELb1ES3_N6thrust23THRUST_200600_302600_NS6detail15normal_iteratorINS9_10device_ptrIiEEEENSB_INSC_IfEEEEfNS9_4plusIvEEfEEDaPvRmT3_T4_T5_mT6_P12ihipStream_tbENKUlT_T0_E_clISt17integral_constantIbLb0EESV_IbLb1EEEEDaSR_SS_EUlSR_E0_NS1_11comp_targetILNS1_3genE10ELNS1_11target_archE1201ELNS1_3gpuE5ELNS1_3repE0EEENS1_30default_config_static_selectorELNS0_4arch9wavefront6targetE1EEEvT1_,comdat
	.protected	_ZN7rocprim17ROCPRIM_400000_NS6detail17trampoline_kernelINS0_14default_configENS1_20scan_config_selectorIfEEZZNS1_9scan_implILNS1_25lookback_scan_determinismE0ELb1ELb1ES3_N6thrust23THRUST_200600_302600_NS6detail15normal_iteratorINS9_10device_ptrIiEEEENSB_INSC_IfEEEEfNS9_4plusIvEEfEEDaPvRmT3_T4_T5_mT6_P12ihipStream_tbENKUlT_T0_E_clISt17integral_constantIbLb0EESV_IbLb1EEEEDaSR_SS_EUlSR_E0_NS1_11comp_targetILNS1_3genE10ELNS1_11target_archE1201ELNS1_3gpuE5ELNS1_3repE0EEENS1_30default_config_static_selectorELNS0_4arch9wavefront6targetE1EEEvT1_ ; -- Begin function _ZN7rocprim17ROCPRIM_400000_NS6detail17trampoline_kernelINS0_14default_configENS1_20scan_config_selectorIfEEZZNS1_9scan_implILNS1_25lookback_scan_determinismE0ELb1ELb1ES3_N6thrust23THRUST_200600_302600_NS6detail15normal_iteratorINS9_10device_ptrIiEEEENSB_INSC_IfEEEEfNS9_4plusIvEEfEEDaPvRmT3_T4_T5_mT6_P12ihipStream_tbENKUlT_T0_E_clISt17integral_constantIbLb0EESV_IbLb1EEEEDaSR_SS_EUlSR_E0_NS1_11comp_targetILNS1_3genE10ELNS1_11target_archE1201ELNS1_3gpuE5ELNS1_3repE0EEENS1_30default_config_static_selectorELNS0_4arch9wavefront6targetE1EEEvT1_
	.globl	_ZN7rocprim17ROCPRIM_400000_NS6detail17trampoline_kernelINS0_14default_configENS1_20scan_config_selectorIfEEZZNS1_9scan_implILNS1_25lookback_scan_determinismE0ELb1ELb1ES3_N6thrust23THRUST_200600_302600_NS6detail15normal_iteratorINS9_10device_ptrIiEEEENSB_INSC_IfEEEEfNS9_4plusIvEEfEEDaPvRmT3_T4_T5_mT6_P12ihipStream_tbENKUlT_T0_E_clISt17integral_constantIbLb0EESV_IbLb1EEEEDaSR_SS_EUlSR_E0_NS1_11comp_targetILNS1_3genE10ELNS1_11target_archE1201ELNS1_3gpuE5ELNS1_3repE0EEENS1_30default_config_static_selectorELNS0_4arch9wavefront6targetE1EEEvT1_
	.p2align	8
	.type	_ZN7rocprim17ROCPRIM_400000_NS6detail17trampoline_kernelINS0_14default_configENS1_20scan_config_selectorIfEEZZNS1_9scan_implILNS1_25lookback_scan_determinismE0ELb1ELb1ES3_N6thrust23THRUST_200600_302600_NS6detail15normal_iteratorINS9_10device_ptrIiEEEENSB_INSC_IfEEEEfNS9_4plusIvEEfEEDaPvRmT3_T4_T5_mT6_P12ihipStream_tbENKUlT_T0_E_clISt17integral_constantIbLb0EESV_IbLb1EEEEDaSR_SS_EUlSR_E0_NS1_11comp_targetILNS1_3genE10ELNS1_11target_archE1201ELNS1_3gpuE5ELNS1_3repE0EEENS1_30default_config_static_selectorELNS0_4arch9wavefront6targetE1EEEvT1_,@function
_ZN7rocprim17ROCPRIM_400000_NS6detail17trampoline_kernelINS0_14default_configENS1_20scan_config_selectorIfEEZZNS1_9scan_implILNS1_25lookback_scan_determinismE0ELb1ELb1ES3_N6thrust23THRUST_200600_302600_NS6detail15normal_iteratorINS9_10device_ptrIiEEEENSB_INSC_IfEEEEfNS9_4plusIvEEfEEDaPvRmT3_T4_T5_mT6_P12ihipStream_tbENKUlT_T0_E_clISt17integral_constantIbLb0EESV_IbLb1EEEEDaSR_SS_EUlSR_E0_NS1_11comp_targetILNS1_3genE10ELNS1_11target_archE1201ELNS1_3gpuE5ELNS1_3repE0EEENS1_30default_config_static_selectorELNS0_4arch9wavefront6targetE1EEEvT1_: ; @_ZN7rocprim17ROCPRIM_400000_NS6detail17trampoline_kernelINS0_14default_configENS1_20scan_config_selectorIfEEZZNS1_9scan_implILNS1_25lookback_scan_determinismE0ELb1ELb1ES3_N6thrust23THRUST_200600_302600_NS6detail15normal_iteratorINS9_10device_ptrIiEEEENSB_INSC_IfEEEEfNS9_4plusIvEEfEEDaPvRmT3_T4_T5_mT6_P12ihipStream_tbENKUlT_T0_E_clISt17integral_constantIbLb0EESV_IbLb1EEEEDaSR_SS_EUlSR_E0_NS1_11comp_targetILNS1_3genE10ELNS1_11target_archE1201ELNS1_3gpuE5ELNS1_3repE0EEENS1_30default_config_static_selectorELNS0_4arch9wavefront6targetE1EEEvT1_
; %bb.0:
	.section	.rodata,"a",@progbits
	.p2align	6, 0x0
	.amdhsa_kernel _ZN7rocprim17ROCPRIM_400000_NS6detail17trampoline_kernelINS0_14default_configENS1_20scan_config_selectorIfEEZZNS1_9scan_implILNS1_25lookback_scan_determinismE0ELb1ELb1ES3_N6thrust23THRUST_200600_302600_NS6detail15normal_iteratorINS9_10device_ptrIiEEEENSB_INSC_IfEEEEfNS9_4plusIvEEfEEDaPvRmT3_T4_T5_mT6_P12ihipStream_tbENKUlT_T0_E_clISt17integral_constantIbLb0EESV_IbLb1EEEEDaSR_SS_EUlSR_E0_NS1_11comp_targetILNS1_3genE10ELNS1_11target_archE1201ELNS1_3gpuE5ELNS1_3repE0EEENS1_30default_config_static_selectorELNS0_4arch9wavefront6targetE1EEEvT1_
		.amdhsa_group_segment_fixed_size 0
		.amdhsa_private_segment_fixed_size 0
		.amdhsa_kernarg_size 32
		.amdhsa_user_sgpr_count 6
		.amdhsa_user_sgpr_private_segment_buffer 1
		.amdhsa_user_sgpr_dispatch_ptr 0
		.amdhsa_user_sgpr_queue_ptr 0
		.amdhsa_user_sgpr_kernarg_segment_ptr 1
		.amdhsa_user_sgpr_dispatch_id 0
		.amdhsa_user_sgpr_flat_scratch_init 0
		.amdhsa_user_sgpr_kernarg_preload_length 0
		.amdhsa_user_sgpr_kernarg_preload_offset 0
		.amdhsa_user_sgpr_private_segment_size 0
		.amdhsa_uses_dynamic_stack 0
		.amdhsa_system_sgpr_private_segment_wavefront_offset 0
		.amdhsa_system_sgpr_workgroup_id_x 1
		.amdhsa_system_sgpr_workgroup_id_y 0
		.amdhsa_system_sgpr_workgroup_id_z 0
		.amdhsa_system_sgpr_workgroup_info 0
		.amdhsa_system_vgpr_workitem_id 0
		.amdhsa_next_free_vgpr 1
		.amdhsa_next_free_sgpr 0
		.amdhsa_accum_offset 4
		.amdhsa_reserve_vcc 0
		.amdhsa_reserve_flat_scratch 0
		.amdhsa_float_round_mode_32 0
		.amdhsa_float_round_mode_16_64 0
		.amdhsa_float_denorm_mode_32 3
		.amdhsa_float_denorm_mode_16_64 3
		.amdhsa_dx10_clamp 1
		.amdhsa_ieee_mode 1
		.amdhsa_fp16_overflow 0
		.amdhsa_tg_split 0
		.amdhsa_exception_fp_ieee_invalid_op 0
		.amdhsa_exception_fp_denorm_src 0
		.amdhsa_exception_fp_ieee_div_zero 0
		.amdhsa_exception_fp_ieee_overflow 0
		.amdhsa_exception_fp_ieee_underflow 0
		.amdhsa_exception_fp_ieee_inexact 0
		.amdhsa_exception_int_div_zero 0
	.end_amdhsa_kernel
	.section	.text._ZN7rocprim17ROCPRIM_400000_NS6detail17trampoline_kernelINS0_14default_configENS1_20scan_config_selectorIfEEZZNS1_9scan_implILNS1_25lookback_scan_determinismE0ELb1ELb1ES3_N6thrust23THRUST_200600_302600_NS6detail15normal_iteratorINS9_10device_ptrIiEEEENSB_INSC_IfEEEEfNS9_4plusIvEEfEEDaPvRmT3_T4_T5_mT6_P12ihipStream_tbENKUlT_T0_E_clISt17integral_constantIbLb0EESV_IbLb1EEEEDaSR_SS_EUlSR_E0_NS1_11comp_targetILNS1_3genE10ELNS1_11target_archE1201ELNS1_3gpuE5ELNS1_3repE0EEENS1_30default_config_static_selectorELNS0_4arch9wavefront6targetE1EEEvT1_,"axG",@progbits,_ZN7rocprim17ROCPRIM_400000_NS6detail17trampoline_kernelINS0_14default_configENS1_20scan_config_selectorIfEEZZNS1_9scan_implILNS1_25lookback_scan_determinismE0ELb1ELb1ES3_N6thrust23THRUST_200600_302600_NS6detail15normal_iteratorINS9_10device_ptrIiEEEENSB_INSC_IfEEEEfNS9_4plusIvEEfEEDaPvRmT3_T4_T5_mT6_P12ihipStream_tbENKUlT_T0_E_clISt17integral_constantIbLb0EESV_IbLb1EEEEDaSR_SS_EUlSR_E0_NS1_11comp_targetILNS1_3genE10ELNS1_11target_archE1201ELNS1_3gpuE5ELNS1_3repE0EEENS1_30default_config_static_selectorELNS0_4arch9wavefront6targetE1EEEvT1_,comdat
.Lfunc_end1782:
	.size	_ZN7rocprim17ROCPRIM_400000_NS6detail17trampoline_kernelINS0_14default_configENS1_20scan_config_selectorIfEEZZNS1_9scan_implILNS1_25lookback_scan_determinismE0ELb1ELb1ES3_N6thrust23THRUST_200600_302600_NS6detail15normal_iteratorINS9_10device_ptrIiEEEENSB_INSC_IfEEEEfNS9_4plusIvEEfEEDaPvRmT3_T4_T5_mT6_P12ihipStream_tbENKUlT_T0_E_clISt17integral_constantIbLb0EESV_IbLb1EEEEDaSR_SS_EUlSR_E0_NS1_11comp_targetILNS1_3genE10ELNS1_11target_archE1201ELNS1_3gpuE5ELNS1_3repE0EEENS1_30default_config_static_selectorELNS0_4arch9wavefront6targetE1EEEvT1_, .Lfunc_end1782-_ZN7rocprim17ROCPRIM_400000_NS6detail17trampoline_kernelINS0_14default_configENS1_20scan_config_selectorIfEEZZNS1_9scan_implILNS1_25lookback_scan_determinismE0ELb1ELb1ES3_N6thrust23THRUST_200600_302600_NS6detail15normal_iteratorINS9_10device_ptrIiEEEENSB_INSC_IfEEEEfNS9_4plusIvEEfEEDaPvRmT3_T4_T5_mT6_P12ihipStream_tbENKUlT_T0_E_clISt17integral_constantIbLb0EESV_IbLb1EEEEDaSR_SS_EUlSR_E0_NS1_11comp_targetILNS1_3genE10ELNS1_11target_archE1201ELNS1_3gpuE5ELNS1_3repE0EEENS1_30default_config_static_selectorELNS0_4arch9wavefront6targetE1EEEvT1_
                                        ; -- End function
	.section	.AMDGPU.csdata,"",@progbits
; Kernel info:
; codeLenInByte = 0
; NumSgprs: 4
; NumVgprs: 0
; NumAgprs: 0
; TotalNumVgprs: 0
; ScratchSize: 0
; MemoryBound: 0
; FloatMode: 240
; IeeeMode: 1
; LDSByteSize: 0 bytes/workgroup (compile time only)
; SGPRBlocks: 0
; VGPRBlocks: 0
; NumSGPRsForWavesPerEU: 4
; NumVGPRsForWavesPerEU: 1
; AccumOffset: 4
; Occupancy: 8
; WaveLimiterHint : 0
; COMPUTE_PGM_RSRC2:SCRATCH_EN: 0
; COMPUTE_PGM_RSRC2:USER_SGPR: 6
; COMPUTE_PGM_RSRC2:TRAP_HANDLER: 0
; COMPUTE_PGM_RSRC2:TGID_X_EN: 1
; COMPUTE_PGM_RSRC2:TGID_Y_EN: 0
; COMPUTE_PGM_RSRC2:TGID_Z_EN: 0
; COMPUTE_PGM_RSRC2:TIDIG_COMP_CNT: 0
; COMPUTE_PGM_RSRC3_GFX90A:ACCUM_OFFSET: 0
; COMPUTE_PGM_RSRC3_GFX90A:TG_SPLIT: 0
	.section	.text._ZN7rocprim17ROCPRIM_400000_NS6detail17trampoline_kernelINS0_14default_configENS1_20scan_config_selectorIfEEZZNS1_9scan_implILNS1_25lookback_scan_determinismE0ELb1ELb1ES3_N6thrust23THRUST_200600_302600_NS6detail15normal_iteratorINS9_10device_ptrIiEEEENSB_INSC_IfEEEEfNS9_4plusIvEEfEEDaPvRmT3_T4_T5_mT6_P12ihipStream_tbENKUlT_T0_E_clISt17integral_constantIbLb0EESV_IbLb1EEEEDaSR_SS_EUlSR_E0_NS1_11comp_targetILNS1_3genE10ELNS1_11target_archE1200ELNS1_3gpuE4ELNS1_3repE0EEENS1_30default_config_static_selectorELNS0_4arch9wavefront6targetE1EEEvT1_,"axG",@progbits,_ZN7rocprim17ROCPRIM_400000_NS6detail17trampoline_kernelINS0_14default_configENS1_20scan_config_selectorIfEEZZNS1_9scan_implILNS1_25lookback_scan_determinismE0ELb1ELb1ES3_N6thrust23THRUST_200600_302600_NS6detail15normal_iteratorINS9_10device_ptrIiEEEENSB_INSC_IfEEEEfNS9_4plusIvEEfEEDaPvRmT3_T4_T5_mT6_P12ihipStream_tbENKUlT_T0_E_clISt17integral_constantIbLb0EESV_IbLb1EEEEDaSR_SS_EUlSR_E0_NS1_11comp_targetILNS1_3genE10ELNS1_11target_archE1200ELNS1_3gpuE4ELNS1_3repE0EEENS1_30default_config_static_selectorELNS0_4arch9wavefront6targetE1EEEvT1_,comdat
	.protected	_ZN7rocprim17ROCPRIM_400000_NS6detail17trampoline_kernelINS0_14default_configENS1_20scan_config_selectorIfEEZZNS1_9scan_implILNS1_25lookback_scan_determinismE0ELb1ELb1ES3_N6thrust23THRUST_200600_302600_NS6detail15normal_iteratorINS9_10device_ptrIiEEEENSB_INSC_IfEEEEfNS9_4plusIvEEfEEDaPvRmT3_T4_T5_mT6_P12ihipStream_tbENKUlT_T0_E_clISt17integral_constantIbLb0EESV_IbLb1EEEEDaSR_SS_EUlSR_E0_NS1_11comp_targetILNS1_3genE10ELNS1_11target_archE1200ELNS1_3gpuE4ELNS1_3repE0EEENS1_30default_config_static_selectorELNS0_4arch9wavefront6targetE1EEEvT1_ ; -- Begin function _ZN7rocprim17ROCPRIM_400000_NS6detail17trampoline_kernelINS0_14default_configENS1_20scan_config_selectorIfEEZZNS1_9scan_implILNS1_25lookback_scan_determinismE0ELb1ELb1ES3_N6thrust23THRUST_200600_302600_NS6detail15normal_iteratorINS9_10device_ptrIiEEEENSB_INSC_IfEEEEfNS9_4plusIvEEfEEDaPvRmT3_T4_T5_mT6_P12ihipStream_tbENKUlT_T0_E_clISt17integral_constantIbLb0EESV_IbLb1EEEEDaSR_SS_EUlSR_E0_NS1_11comp_targetILNS1_3genE10ELNS1_11target_archE1200ELNS1_3gpuE4ELNS1_3repE0EEENS1_30default_config_static_selectorELNS0_4arch9wavefront6targetE1EEEvT1_
	.globl	_ZN7rocprim17ROCPRIM_400000_NS6detail17trampoline_kernelINS0_14default_configENS1_20scan_config_selectorIfEEZZNS1_9scan_implILNS1_25lookback_scan_determinismE0ELb1ELb1ES3_N6thrust23THRUST_200600_302600_NS6detail15normal_iteratorINS9_10device_ptrIiEEEENSB_INSC_IfEEEEfNS9_4plusIvEEfEEDaPvRmT3_T4_T5_mT6_P12ihipStream_tbENKUlT_T0_E_clISt17integral_constantIbLb0EESV_IbLb1EEEEDaSR_SS_EUlSR_E0_NS1_11comp_targetILNS1_3genE10ELNS1_11target_archE1200ELNS1_3gpuE4ELNS1_3repE0EEENS1_30default_config_static_selectorELNS0_4arch9wavefront6targetE1EEEvT1_
	.p2align	8
	.type	_ZN7rocprim17ROCPRIM_400000_NS6detail17trampoline_kernelINS0_14default_configENS1_20scan_config_selectorIfEEZZNS1_9scan_implILNS1_25lookback_scan_determinismE0ELb1ELb1ES3_N6thrust23THRUST_200600_302600_NS6detail15normal_iteratorINS9_10device_ptrIiEEEENSB_INSC_IfEEEEfNS9_4plusIvEEfEEDaPvRmT3_T4_T5_mT6_P12ihipStream_tbENKUlT_T0_E_clISt17integral_constantIbLb0EESV_IbLb1EEEEDaSR_SS_EUlSR_E0_NS1_11comp_targetILNS1_3genE10ELNS1_11target_archE1200ELNS1_3gpuE4ELNS1_3repE0EEENS1_30default_config_static_selectorELNS0_4arch9wavefront6targetE1EEEvT1_,@function
_ZN7rocprim17ROCPRIM_400000_NS6detail17trampoline_kernelINS0_14default_configENS1_20scan_config_selectorIfEEZZNS1_9scan_implILNS1_25lookback_scan_determinismE0ELb1ELb1ES3_N6thrust23THRUST_200600_302600_NS6detail15normal_iteratorINS9_10device_ptrIiEEEENSB_INSC_IfEEEEfNS9_4plusIvEEfEEDaPvRmT3_T4_T5_mT6_P12ihipStream_tbENKUlT_T0_E_clISt17integral_constantIbLb0EESV_IbLb1EEEEDaSR_SS_EUlSR_E0_NS1_11comp_targetILNS1_3genE10ELNS1_11target_archE1200ELNS1_3gpuE4ELNS1_3repE0EEENS1_30default_config_static_selectorELNS0_4arch9wavefront6targetE1EEEvT1_: ; @_ZN7rocprim17ROCPRIM_400000_NS6detail17trampoline_kernelINS0_14default_configENS1_20scan_config_selectorIfEEZZNS1_9scan_implILNS1_25lookback_scan_determinismE0ELb1ELb1ES3_N6thrust23THRUST_200600_302600_NS6detail15normal_iteratorINS9_10device_ptrIiEEEENSB_INSC_IfEEEEfNS9_4plusIvEEfEEDaPvRmT3_T4_T5_mT6_P12ihipStream_tbENKUlT_T0_E_clISt17integral_constantIbLb0EESV_IbLb1EEEEDaSR_SS_EUlSR_E0_NS1_11comp_targetILNS1_3genE10ELNS1_11target_archE1200ELNS1_3gpuE4ELNS1_3repE0EEENS1_30default_config_static_selectorELNS0_4arch9wavefront6targetE1EEEvT1_
; %bb.0:
	.section	.rodata,"a",@progbits
	.p2align	6, 0x0
	.amdhsa_kernel _ZN7rocprim17ROCPRIM_400000_NS6detail17trampoline_kernelINS0_14default_configENS1_20scan_config_selectorIfEEZZNS1_9scan_implILNS1_25lookback_scan_determinismE0ELb1ELb1ES3_N6thrust23THRUST_200600_302600_NS6detail15normal_iteratorINS9_10device_ptrIiEEEENSB_INSC_IfEEEEfNS9_4plusIvEEfEEDaPvRmT3_T4_T5_mT6_P12ihipStream_tbENKUlT_T0_E_clISt17integral_constantIbLb0EESV_IbLb1EEEEDaSR_SS_EUlSR_E0_NS1_11comp_targetILNS1_3genE10ELNS1_11target_archE1200ELNS1_3gpuE4ELNS1_3repE0EEENS1_30default_config_static_selectorELNS0_4arch9wavefront6targetE1EEEvT1_
		.amdhsa_group_segment_fixed_size 0
		.amdhsa_private_segment_fixed_size 0
		.amdhsa_kernarg_size 32
		.amdhsa_user_sgpr_count 6
		.amdhsa_user_sgpr_private_segment_buffer 1
		.amdhsa_user_sgpr_dispatch_ptr 0
		.amdhsa_user_sgpr_queue_ptr 0
		.amdhsa_user_sgpr_kernarg_segment_ptr 1
		.amdhsa_user_sgpr_dispatch_id 0
		.amdhsa_user_sgpr_flat_scratch_init 0
		.amdhsa_user_sgpr_kernarg_preload_length 0
		.amdhsa_user_sgpr_kernarg_preload_offset 0
		.amdhsa_user_sgpr_private_segment_size 0
		.amdhsa_uses_dynamic_stack 0
		.amdhsa_system_sgpr_private_segment_wavefront_offset 0
		.amdhsa_system_sgpr_workgroup_id_x 1
		.amdhsa_system_sgpr_workgroup_id_y 0
		.amdhsa_system_sgpr_workgroup_id_z 0
		.amdhsa_system_sgpr_workgroup_info 0
		.amdhsa_system_vgpr_workitem_id 0
		.amdhsa_next_free_vgpr 1
		.amdhsa_next_free_sgpr 0
		.amdhsa_accum_offset 4
		.amdhsa_reserve_vcc 0
		.amdhsa_reserve_flat_scratch 0
		.amdhsa_float_round_mode_32 0
		.amdhsa_float_round_mode_16_64 0
		.amdhsa_float_denorm_mode_32 3
		.amdhsa_float_denorm_mode_16_64 3
		.amdhsa_dx10_clamp 1
		.amdhsa_ieee_mode 1
		.amdhsa_fp16_overflow 0
		.amdhsa_tg_split 0
		.amdhsa_exception_fp_ieee_invalid_op 0
		.amdhsa_exception_fp_denorm_src 0
		.amdhsa_exception_fp_ieee_div_zero 0
		.amdhsa_exception_fp_ieee_overflow 0
		.amdhsa_exception_fp_ieee_underflow 0
		.amdhsa_exception_fp_ieee_inexact 0
		.amdhsa_exception_int_div_zero 0
	.end_amdhsa_kernel
	.section	.text._ZN7rocprim17ROCPRIM_400000_NS6detail17trampoline_kernelINS0_14default_configENS1_20scan_config_selectorIfEEZZNS1_9scan_implILNS1_25lookback_scan_determinismE0ELb1ELb1ES3_N6thrust23THRUST_200600_302600_NS6detail15normal_iteratorINS9_10device_ptrIiEEEENSB_INSC_IfEEEEfNS9_4plusIvEEfEEDaPvRmT3_T4_T5_mT6_P12ihipStream_tbENKUlT_T0_E_clISt17integral_constantIbLb0EESV_IbLb1EEEEDaSR_SS_EUlSR_E0_NS1_11comp_targetILNS1_3genE10ELNS1_11target_archE1200ELNS1_3gpuE4ELNS1_3repE0EEENS1_30default_config_static_selectorELNS0_4arch9wavefront6targetE1EEEvT1_,"axG",@progbits,_ZN7rocprim17ROCPRIM_400000_NS6detail17trampoline_kernelINS0_14default_configENS1_20scan_config_selectorIfEEZZNS1_9scan_implILNS1_25lookback_scan_determinismE0ELb1ELb1ES3_N6thrust23THRUST_200600_302600_NS6detail15normal_iteratorINS9_10device_ptrIiEEEENSB_INSC_IfEEEEfNS9_4plusIvEEfEEDaPvRmT3_T4_T5_mT6_P12ihipStream_tbENKUlT_T0_E_clISt17integral_constantIbLb0EESV_IbLb1EEEEDaSR_SS_EUlSR_E0_NS1_11comp_targetILNS1_3genE10ELNS1_11target_archE1200ELNS1_3gpuE4ELNS1_3repE0EEENS1_30default_config_static_selectorELNS0_4arch9wavefront6targetE1EEEvT1_,comdat
.Lfunc_end1783:
	.size	_ZN7rocprim17ROCPRIM_400000_NS6detail17trampoline_kernelINS0_14default_configENS1_20scan_config_selectorIfEEZZNS1_9scan_implILNS1_25lookback_scan_determinismE0ELb1ELb1ES3_N6thrust23THRUST_200600_302600_NS6detail15normal_iteratorINS9_10device_ptrIiEEEENSB_INSC_IfEEEEfNS9_4plusIvEEfEEDaPvRmT3_T4_T5_mT6_P12ihipStream_tbENKUlT_T0_E_clISt17integral_constantIbLb0EESV_IbLb1EEEEDaSR_SS_EUlSR_E0_NS1_11comp_targetILNS1_3genE10ELNS1_11target_archE1200ELNS1_3gpuE4ELNS1_3repE0EEENS1_30default_config_static_selectorELNS0_4arch9wavefront6targetE1EEEvT1_, .Lfunc_end1783-_ZN7rocprim17ROCPRIM_400000_NS6detail17trampoline_kernelINS0_14default_configENS1_20scan_config_selectorIfEEZZNS1_9scan_implILNS1_25lookback_scan_determinismE0ELb1ELb1ES3_N6thrust23THRUST_200600_302600_NS6detail15normal_iteratorINS9_10device_ptrIiEEEENSB_INSC_IfEEEEfNS9_4plusIvEEfEEDaPvRmT3_T4_T5_mT6_P12ihipStream_tbENKUlT_T0_E_clISt17integral_constantIbLb0EESV_IbLb1EEEEDaSR_SS_EUlSR_E0_NS1_11comp_targetILNS1_3genE10ELNS1_11target_archE1200ELNS1_3gpuE4ELNS1_3repE0EEENS1_30default_config_static_selectorELNS0_4arch9wavefront6targetE1EEEvT1_
                                        ; -- End function
	.section	.AMDGPU.csdata,"",@progbits
; Kernel info:
; codeLenInByte = 0
; NumSgprs: 4
; NumVgprs: 0
; NumAgprs: 0
; TotalNumVgprs: 0
; ScratchSize: 0
; MemoryBound: 0
; FloatMode: 240
; IeeeMode: 1
; LDSByteSize: 0 bytes/workgroup (compile time only)
; SGPRBlocks: 0
; VGPRBlocks: 0
; NumSGPRsForWavesPerEU: 4
; NumVGPRsForWavesPerEU: 1
; AccumOffset: 4
; Occupancy: 8
; WaveLimiterHint : 0
; COMPUTE_PGM_RSRC2:SCRATCH_EN: 0
; COMPUTE_PGM_RSRC2:USER_SGPR: 6
; COMPUTE_PGM_RSRC2:TRAP_HANDLER: 0
; COMPUTE_PGM_RSRC2:TGID_X_EN: 1
; COMPUTE_PGM_RSRC2:TGID_Y_EN: 0
; COMPUTE_PGM_RSRC2:TGID_Z_EN: 0
; COMPUTE_PGM_RSRC2:TIDIG_COMP_CNT: 0
; COMPUTE_PGM_RSRC3_GFX90A:ACCUM_OFFSET: 0
; COMPUTE_PGM_RSRC3_GFX90A:TG_SPLIT: 0
	.section	.text._ZN7rocprim17ROCPRIM_400000_NS6detail17trampoline_kernelINS0_14default_configENS1_20scan_config_selectorIfEEZZNS1_9scan_implILNS1_25lookback_scan_determinismE0ELb1ELb1ES3_N6thrust23THRUST_200600_302600_NS6detail15normal_iteratorINS9_10device_ptrIiEEEENSB_INSC_IfEEEEfNS9_4plusIvEEfEEDaPvRmT3_T4_T5_mT6_P12ihipStream_tbENKUlT_T0_E_clISt17integral_constantIbLb0EESV_IbLb1EEEEDaSR_SS_EUlSR_E0_NS1_11comp_targetILNS1_3genE9ELNS1_11target_archE1100ELNS1_3gpuE3ELNS1_3repE0EEENS1_30default_config_static_selectorELNS0_4arch9wavefront6targetE1EEEvT1_,"axG",@progbits,_ZN7rocprim17ROCPRIM_400000_NS6detail17trampoline_kernelINS0_14default_configENS1_20scan_config_selectorIfEEZZNS1_9scan_implILNS1_25lookback_scan_determinismE0ELb1ELb1ES3_N6thrust23THRUST_200600_302600_NS6detail15normal_iteratorINS9_10device_ptrIiEEEENSB_INSC_IfEEEEfNS9_4plusIvEEfEEDaPvRmT3_T4_T5_mT6_P12ihipStream_tbENKUlT_T0_E_clISt17integral_constantIbLb0EESV_IbLb1EEEEDaSR_SS_EUlSR_E0_NS1_11comp_targetILNS1_3genE9ELNS1_11target_archE1100ELNS1_3gpuE3ELNS1_3repE0EEENS1_30default_config_static_selectorELNS0_4arch9wavefront6targetE1EEEvT1_,comdat
	.protected	_ZN7rocprim17ROCPRIM_400000_NS6detail17trampoline_kernelINS0_14default_configENS1_20scan_config_selectorIfEEZZNS1_9scan_implILNS1_25lookback_scan_determinismE0ELb1ELb1ES3_N6thrust23THRUST_200600_302600_NS6detail15normal_iteratorINS9_10device_ptrIiEEEENSB_INSC_IfEEEEfNS9_4plusIvEEfEEDaPvRmT3_T4_T5_mT6_P12ihipStream_tbENKUlT_T0_E_clISt17integral_constantIbLb0EESV_IbLb1EEEEDaSR_SS_EUlSR_E0_NS1_11comp_targetILNS1_3genE9ELNS1_11target_archE1100ELNS1_3gpuE3ELNS1_3repE0EEENS1_30default_config_static_selectorELNS0_4arch9wavefront6targetE1EEEvT1_ ; -- Begin function _ZN7rocprim17ROCPRIM_400000_NS6detail17trampoline_kernelINS0_14default_configENS1_20scan_config_selectorIfEEZZNS1_9scan_implILNS1_25lookback_scan_determinismE0ELb1ELb1ES3_N6thrust23THRUST_200600_302600_NS6detail15normal_iteratorINS9_10device_ptrIiEEEENSB_INSC_IfEEEEfNS9_4plusIvEEfEEDaPvRmT3_T4_T5_mT6_P12ihipStream_tbENKUlT_T0_E_clISt17integral_constantIbLb0EESV_IbLb1EEEEDaSR_SS_EUlSR_E0_NS1_11comp_targetILNS1_3genE9ELNS1_11target_archE1100ELNS1_3gpuE3ELNS1_3repE0EEENS1_30default_config_static_selectorELNS0_4arch9wavefront6targetE1EEEvT1_
	.globl	_ZN7rocprim17ROCPRIM_400000_NS6detail17trampoline_kernelINS0_14default_configENS1_20scan_config_selectorIfEEZZNS1_9scan_implILNS1_25lookback_scan_determinismE0ELb1ELb1ES3_N6thrust23THRUST_200600_302600_NS6detail15normal_iteratorINS9_10device_ptrIiEEEENSB_INSC_IfEEEEfNS9_4plusIvEEfEEDaPvRmT3_T4_T5_mT6_P12ihipStream_tbENKUlT_T0_E_clISt17integral_constantIbLb0EESV_IbLb1EEEEDaSR_SS_EUlSR_E0_NS1_11comp_targetILNS1_3genE9ELNS1_11target_archE1100ELNS1_3gpuE3ELNS1_3repE0EEENS1_30default_config_static_selectorELNS0_4arch9wavefront6targetE1EEEvT1_
	.p2align	8
	.type	_ZN7rocprim17ROCPRIM_400000_NS6detail17trampoline_kernelINS0_14default_configENS1_20scan_config_selectorIfEEZZNS1_9scan_implILNS1_25lookback_scan_determinismE0ELb1ELb1ES3_N6thrust23THRUST_200600_302600_NS6detail15normal_iteratorINS9_10device_ptrIiEEEENSB_INSC_IfEEEEfNS9_4plusIvEEfEEDaPvRmT3_T4_T5_mT6_P12ihipStream_tbENKUlT_T0_E_clISt17integral_constantIbLb0EESV_IbLb1EEEEDaSR_SS_EUlSR_E0_NS1_11comp_targetILNS1_3genE9ELNS1_11target_archE1100ELNS1_3gpuE3ELNS1_3repE0EEENS1_30default_config_static_selectorELNS0_4arch9wavefront6targetE1EEEvT1_,@function
_ZN7rocprim17ROCPRIM_400000_NS6detail17trampoline_kernelINS0_14default_configENS1_20scan_config_selectorIfEEZZNS1_9scan_implILNS1_25lookback_scan_determinismE0ELb1ELb1ES3_N6thrust23THRUST_200600_302600_NS6detail15normal_iteratorINS9_10device_ptrIiEEEENSB_INSC_IfEEEEfNS9_4plusIvEEfEEDaPvRmT3_T4_T5_mT6_P12ihipStream_tbENKUlT_T0_E_clISt17integral_constantIbLb0EESV_IbLb1EEEEDaSR_SS_EUlSR_E0_NS1_11comp_targetILNS1_3genE9ELNS1_11target_archE1100ELNS1_3gpuE3ELNS1_3repE0EEENS1_30default_config_static_selectorELNS0_4arch9wavefront6targetE1EEEvT1_: ; @_ZN7rocprim17ROCPRIM_400000_NS6detail17trampoline_kernelINS0_14default_configENS1_20scan_config_selectorIfEEZZNS1_9scan_implILNS1_25lookback_scan_determinismE0ELb1ELb1ES3_N6thrust23THRUST_200600_302600_NS6detail15normal_iteratorINS9_10device_ptrIiEEEENSB_INSC_IfEEEEfNS9_4plusIvEEfEEDaPvRmT3_T4_T5_mT6_P12ihipStream_tbENKUlT_T0_E_clISt17integral_constantIbLb0EESV_IbLb1EEEEDaSR_SS_EUlSR_E0_NS1_11comp_targetILNS1_3genE9ELNS1_11target_archE1100ELNS1_3gpuE3ELNS1_3repE0EEENS1_30default_config_static_selectorELNS0_4arch9wavefront6targetE1EEEvT1_
; %bb.0:
	.section	.rodata,"a",@progbits
	.p2align	6, 0x0
	.amdhsa_kernel _ZN7rocprim17ROCPRIM_400000_NS6detail17trampoline_kernelINS0_14default_configENS1_20scan_config_selectorIfEEZZNS1_9scan_implILNS1_25lookback_scan_determinismE0ELb1ELb1ES3_N6thrust23THRUST_200600_302600_NS6detail15normal_iteratorINS9_10device_ptrIiEEEENSB_INSC_IfEEEEfNS9_4plusIvEEfEEDaPvRmT3_T4_T5_mT6_P12ihipStream_tbENKUlT_T0_E_clISt17integral_constantIbLb0EESV_IbLb1EEEEDaSR_SS_EUlSR_E0_NS1_11comp_targetILNS1_3genE9ELNS1_11target_archE1100ELNS1_3gpuE3ELNS1_3repE0EEENS1_30default_config_static_selectorELNS0_4arch9wavefront6targetE1EEEvT1_
		.amdhsa_group_segment_fixed_size 0
		.amdhsa_private_segment_fixed_size 0
		.amdhsa_kernarg_size 32
		.amdhsa_user_sgpr_count 6
		.amdhsa_user_sgpr_private_segment_buffer 1
		.amdhsa_user_sgpr_dispatch_ptr 0
		.amdhsa_user_sgpr_queue_ptr 0
		.amdhsa_user_sgpr_kernarg_segment_ptr 1
		.amdhsa_user_sgpr_dispatch_id 0
		.amdhsa_user_sgpr_flat_scratch_init 0
		.amdhsa_user_sgpr_kernarg_preload_length 0
		.amdhsa_user_sgpr_kernarg_preload_offset 0
		.amdhsa_user_sgpr_private_segment_size 0
		.amdhsa_uses_dynamic_stack 0
		.amdhsa_system_sgpr_private_segment_wavefront_offset 0
		.amdhsa_system_sgpr_workgroup_id_x 1
		.amdhsa_system_sgpr_workgroup_id_y 0
		.amdhsa_system_sgpr_workgroup_id_z 0
		.amdhsa_system_sgpr_workgroup_info 0
		.amdhsa_system_vgpr_workitem_id 0
		.amdhsa_next_free_vgpr 1
		.amdhsa_next_free_sgpr 0
		.amdhsa_accum_offset 4
		.amdhsa_reserve_vcc 0
		.amdhsa_reserve_flat_scratch 0
		.amdhsa_float_round_mode_32 0
		.amdhsa_float_round_mode_16_64 0
		.amdhsa_float_denorm_mode_32 3
		.amdhsa_float_denorm_mode_16_64 3
		.amdhsa_dx10_clamp 1
		.amdhsa_ieee_mode 1
		.amdhsa_fp16_overflow 0
		.amdhsa_tg_split 0
		.amdhsa_exception_fp_ieee_invalid_op 0
		.amdhsa_exception_fp_denorm_src 0
		.amdhsa_exception_fp_ieee_div_zero 0
		.amdhsa_exception_fp_ieee_overflow 0
		.amdhsa_exception_fp_ieee_underflow 0
		.amdhsa_exception_fp_ieee_inexact 0
		.amdhsa_exception_int_div_zero 0
	.end_amdhsa_kernel
	.section	.text._ZN7rocprim17ROCPRIM_400000_NS6detail17trampoline_kernelINS0_14default_configENS1_20scan_config_selectorIfEEZZNS1_9scan_implILNS1_25lookback_scan_determinismE0ELb1ELb1ES3_N6thrust23THRUST_200600_302600_NS6detail15normal_iteratorINS9_10device_ptrIiEEEENSB_INSC_IfEEEEfNS9_4plusIvEEfEEDaPvRmT3_T4_T5_mT6_P12ihipStream_tbENKUlT_T0_E_clISt17integral_constantIbLb0EESV_IbLb1EEEEDaSR_SS_EUlSR_E0_NS1_11comp_targetILNS1_3genE9ELNS1_11target_archE1100ELNS1_3gpuE3ELNS1_3repE0EEENS1_30default_config_static_selectorELNS0_4arch9wavefront6targetE1EEEvT1_,"axG",@progbits,_ZN7rocprim17ROCPRIM_400000_NS6detail17trampoline_kernelINS0_14default_configENS1_20scan_config_selectorIfEEZZNS1_9scan_implILNS1_25lookback_scan_determinismE0ELb1ELb1ES3_N6thrust23THRUST_200600_302600_NS6detail15normal_iteratorINS9_10device_ptrIiEEEENSB_INSC_IfEEEEfNS9_4plusIvEEfEEDaPvRmT3_T4_T5_mT6_P12ihipStream_tbENKUlT_T0_E_clISt17integral_constantIbLb0EESV_IbLb1EEEEDaSR_SS_EUlSR_E0_NS1_11comp_targetILNS1_3genE9ELNS1_11target_archE1100ELNS1_3gpuE3ELNS1_3repE0EEENS1_30default_config_static_selectorELNS0_4arch9wavefront6targetE1EEEvT1_,comdat
.Lfunc_end1784:
	.size	_ZN7rocprim17ROCPRIM_400000_NS6detail17trampoline_kernelINS0_14default_configENS1_20scan_config_selectorIfEEZZNS1_9scan_implILNS1_25lookback_scan_determinismE0ELb1ELb1ES3_N6thrust23THRUST_200600_302600_NS6detail15normal_iteratorINS9_10device_ptrIiEEEENSB_INSC_IfEEEEfNS9_4plusIvEEfEEDaPvRmT3_T4_T5_mT6_P12ihipStream_tbENKUlT_T0_E_clISt17integral_constantIbLb0EESV_IbLb1EEEEDaSR_SS_EUlSR_E0_NS1_11comp_targetILNS1_3genE9ELNS1_11target_archE1100ELNS1_3gpuE3ELNS1_3repE0EEENS1_30default_config_static_selectorELNS0_4arch9wavefront6targetE1EEEvT1_, .Lfunc_end1784-_ZN7rocprim17ROCPRIM_400000_NS6detail17trampoline_kernelINS0_14default_configENS1_20scan_config_selectorIfEEZZNS1_9scan_implILNS1_25lookback_scan_determinismE0ELb1ELb1ES3_N6thrust23THRUST_200600_302600_NS6detail15normal_iteratorINS9_10device_ptrIiEEEENSB_INSC_IfEEEEfNS9_4plusIvEEfEEDaPvRmT3_T4_T5_mT6_P12ihipStream_tbENKUlT_T0_E_clISt17integral_constantIbLb0EESV_IbLb1EEEEDaSR_SS_EUlSR_E0_NS1_11comp_targetILNS1_3genE9ELNS1_11target_archE1100ELNS1_3gpuE3ELNS1_3repE0EEENS1_30default_config_static_selectorELNS0_4arch9wavefront6targetE1EEEvT1_
                                        ; -- End function
	.section	.AMDGPU.csdata,"",@progbits
; Kernel info:
; codeLenInByte = 0
; NumSgprs: 4
; NumVgprs: 0
; NumAgprs: 0
; TotalNumVgprs: 0
; ScratchSize: 0
; MemoryBound: 0
; FloatMode: 240
; IeeeMode: 1
; LDSByteSize: 0 bytes/workgroup (compile time only)
; SGPRBlocks: 0
; VGPRBlocks: 0
; NumSGPRsForWavesPerEU: 4
; NumVGPRsForWavesPerEU: 1
; AccumOffset: 4
; Occupancy: 8
; WaveLimiterHint : 0
; COMPUTE_PGM_RSRC2:SCRATCH_EN: 0
; COMPUTE_PGM_RSRC2:USER_SGPR: 6
; COMPUTE_PGM_RSRC2:TRAP_HANDLER: 0
; COMPUTE_PGM_RSRC2:TGID_X_EN: 1
; COMPUTE_PGM_RSRC2:TGID_Y_EN: 0
; COMPUTE_PGM_RSRC2:TGID_Z_EN: 0
; COMPUTE_PGM_RSRC2:TIDIG_COMP_CNT: 0
; COMPUTE_PGM_RSRC3_GFX90A:ACCUM_OFFSET: 0
; COMPUTE_PGM_RSRC3_GFX90A:TG_SPLIT: 0
	.section	.text._ZN7rocprim17ROCPRIM_400000_NS6detail17trampoline_kernelINS0_14default_configENS1_20scan_config_selectorIfEEZZNS1_9scan_implILNS1_25lookback_scan_determinismE0ELb1ELb1ES3_N6thrust23THRUST_200600_302600_NS6detail15normal_iteratorINS9_10device_ptrIiEEEENSB_INSC_IfEEEEfNS9_4plusIvEEfEEDaPvRmT3_T4_T5_mT6_P12ihipStream_tbENKUlT_T0_E_clISt17integral_constantIbLb0EESV_IbLb1EEEEDaSR_SS_EUlSR_E0_NS1_11comp_targetILNS1_3genE8ELNS1_11target_archE1030ELNS1_3gpuE2ELNS1_3repE0EEENS1_30default_config_static_selectorELNS0_4arch9wavefront6targetE1EEEvT1_,"axG",@progbits,_ZN7rocprim17ROCPRIM_400000_NS6detail17trampoline_kernelINS0_14default_configENS1_20scan_config_selectorIfEEZZNS1_9scan_implILNS1_25lookback_scan_determinismE0ELb1ELb1ES3_N6thrust23THRUST_200600_302600_NS6detail15normal_iteratorINS9_10device_ptrIiEEEENSB_INSC_IfEEEEfNS9_4plusIvEEfEEDaPvRmT3_T4_T5_mT6_P12ihipStream_tbENKUlT_T0_E_clISt17integral_constantIbLb0EESV_IbLb1EEEEDaSR_SS_EUlSR_E0_NS1_11comp_targetILNS1_3genE8ELNS1_11target_archE1030ELNS1_3gpuE2ELNS1_3repE0EEENS1_30default_config_static_selectorELNS0_4arch9wavefront6targetE1EEEvT1_,comdat
	.protected	_ZN7rocprim17ROCPRIM_400000_NS6detail17trampoline_kernelINS0_14default_configENS1_20scan_config_selectorIfEEZZNS1_9scan_implILNS1_25lookback_scan_determinismE0ELb1ELb1ES3_N6thrust23THRUST_200600_302600_NS6detail15normal_iteratorINS9_10device_ptrIiEEEENSB_INSC_IfEEEEfNS9_4plusIvEEfEEDaPvRmT3_T4_T5_mT6_P12ihipStream_tbENKUlT_T0_E_clISt17integral_constantIbLb0EESV_IbLb1EEEEDaSR_SS_EUlSR_E0_NS1_11comp_targetILNS1_3genE8ELNS1_11target_archE1030ELNS1_3gpuE2ELNS1_3repE0EEENS1_30default_config_static_selectorELNS0_4arch9wavefront6targetE1EEEvT1_ ; -- Begin function _ZN7rocprim17ROCPRIM_400000_NS6detail17trampoline_kernelINS0_14default_configENS1_20scan_config_selectorIfEEZZNS1_9scan_implILNS1_25lookback_scan_determinismE0ELb1ELb1ES3_N6thrust23THRUST_200600_302600_NS6detail15normal_iteratorINS9_10device_ptrIiEEEENSB_INSC_IfEEEEfNS9_4plusIvEEfEEDaPvRmT3_T4_T5_mT6_P12ihipStream_tbENKUlT_T0_E_clISt17integral_constantIbLb0EESV_IbLb1EEEEDaSR_SS_EUlSR_E0_NS1_11comp_targetILNS1_3genE8ELNS1_11target_archE1030ELNS1_3gpuE2ELNS1_3repE0EEENS1_30default_config_static_selectorELNS0_4arch9wavefront6targetE1EEEvT1_
	.globl	_ZN7rocprim17ROCPRIM_400000_NS6detail17trampoline_kernelINS0_14default_configENS1_20scan_config_selectorIfEEZZNS1_9scan_implILNS1_25lookback_scan_determinismE0ELb1ELb1ES3_N6thrust23THRUST_200600_302600_NS6detail15normal_iteratorINS9_10device_ptrIiEEEENSB_INSC_IfEEEEfNS9_4plusIvEEfEEDaPvRmT3_T4_T5_mT6_P12ihipStream_tbENKUlT_T0_E_clISt17integral_constantIbLb0EESV_IbLb1EEEEDaSR_SS_EUlSR_E0_NS1_11comp_targetILNS1_3genE8ELNS1_11target_archE1030ELNS1_3gpuE2ELNS1_3repE0EEENS1_30default_config_static_selectorELNS0_4arch9wavefront6targetE1EEEvT1_
	.p2align	8
	.type	_ZN7rocprim17ROCPRIM_400000_NS6detail17trampoline_kernelINS0_14default_configENS1_20scan_config_selectorIfEEZZNS1_9scan_implILNS1_25lookback_scan_determinismE0ELb1ELb1ES3_N6thrust23THRUST_200600_302600_NS6detail15normal_iteratorINS9_10device_ptrIiEEEENSB_INSC_IfEEEEfNS9_4plusIvEEfEEDaPvRmT3_T4_T5_mT6_P12ihipStream_tbENKUlT_T0_E_clISt17integral_constantIbLb0EESV_IbLb1EEEEDaSR_SS_EUlSR_E0_NS1_11comp_targetILNS1_3genE8ELNS1_11target_archE1030ELNS1_3gpuE2ELNS1_3repE0EEENS1_30default_config_static_selectorELNS0_4arch9wavefront6targetE1EEEvT1_,@function
_ZN7rocprim17ROCPRIM_400000_NS6detail17trampoline_kernelINS0_14default_configENS1_20scan_config_selectorIfEEZZNS1_9scan_implILNS1_25lookback_scan_determinismE0ELb1ELb1ES3_N6thrust23THRUST_200600_302600_NS6detail15normal_iteratorINS9_10device_ptrIiEEEENSB_INSC_IfEEEEfNS9_4plusIvEEfEEDaPvRmT3_T4_T5_mT6_P12ihipStream_tbENKUlT_T0_E_clISt17integral_constantIbLb0EESV_IbLb1EEEEDaSR_SS_EUlSR_E0_NS1_11comp_targetILNS1_3genE8ELNS1_11target_archE1030ELNS1_3gpuE2ELNS1_3repE0EEENS1_30default_config_static_selectorELNS0_4arch9wavefront6targetE1EEEvT1_: ; @_ZN7rocprim17ROCPRIM_400000_NS6detail17trampoline_kernelINS0_14default_configENS1_20scan_config_selectorIfEEZZNS1_9scan_implILNS1_25lookback_scan_determinismE0ELb1ELb1ES3_N6thrust23THRUST_200600_302600_NS6detail15normal_iteratorINS9_10device_ptrIiEEEENSB_INSC_IfEEEEfNS9_4plusIvEEfEEDaPvRmT3_T4_T5_mT6_P12ihipStream_tbENKUlT_T0_E_clISt17integral_constantIbLb0EESV_IbLb1EEEEDaSR_SS_EUlSR_E0_NS1_11comp_targetILNS1_3genE8ELNS1_11target_archE1030ELNS1_3gpuE2ELNS1_3repE0EEENS1_30default_config_static_selectorELNS0_4arch9wavefront6targetE1EEEvT1_
; %bb.0:
	.section	.rodata,"a",@progbits
	.p2align	6, 0x0
	.amdhsa_kernel _ZN7rocprim17ROCPRIM_400000_NS6detail17trampoline_kernelINS0_14default_configENS1_20scan_config_selectorIfEEZZNS1_9scan_implILNS1_25lookback_scan_determinismE0ELb1ELb1ES3_N6thrust23THRUST_200600_302600_NS6detail15normal_iteratorINS9_10device_ptrIiEEEENSB_INSC_IfEEEEfNS9_4plusIvEEfEEDaPvRmT3_T4_T5_mT6_P12ihipStream_tbENKUlT_T0_E_clISt17integral_constantIbLb0EESV_IbLb1EEEEDaSR_SS_EUlSR_E0_NS1_11comp_targetILNS1_3genE8ELNS1_11target_archE1030ELNS1_3gpuE2ELNS1_3repE0EEENS1_30default_config_static_selectorELNS0_4arch9wavefront6targetE1EEEvT1_
		.amdhsa_group_segment_fixed_size 0
		.amdhsa_private_segment_fixed_size 0
		.amdhsa_kernarg_size 32
		.amdhsa_user_sgpr_count 6
		.amdhsa_user_sgpr_private_segment_buffer 1
		.amdhsa_user_sgpr_dispatch_ptr 0
		.amdhsa_user_sgpr_queue_ptr 0
		.amdhsa_user_sgpr_kernarg_segment_ptr 1
		.amdhsa_user_sgpr_dispatch_id 0
		.amdhsa_user_sgpr_flat_scratch_init 0
		.amdhsa_user_sgpr_kernarg_preload_length 0
		.amdhsa_user_sgpr_kernarg_preload_offset 0
		.amdhsa_user_sgpr_private_segment_size 0
		.amdhsa_uses_dynamic_stack 0
		.amdhsa_system_sgpr_private_segment_wavefront_offset 0
		.amdhsa_system_sgpr_workgroup_id_x 1
		.amdhsa_system_sgpr_workgroup_id_y 0
		.amdhsa_system_sgpr_workgroup_id_z 0
		.amdhsa_system_sgpr_workgroup_info 0
		.amdhsa_system_vgpr_workitem_id 0
		.amdhsa_next_free_vgpr 1
		.amdhsa_next_free_sgpr 0
		.amdhsa_accum_offset 4
		.amdhsa_reserve_vcc 0
		.amdhsa_reserve_flat_scratch 0
		.amdhsa_float_round_mode_32 0
		.amdhsa_float_round_mode_16_64 0
		.amdhsa_float_denorm_mode_32 3
		.amdhsa_float_denorm_mode_16_64 3
		.amdhsa_dx10_clamp 1
		.amdhsa_ieee_mode 1
		.amdhsa_fp16_overflow 0
		.amdhsa_tg_split 0
		.amdhsa_exception_fp_ieee_invalid_op 0
		.amdhsa_exception_fp_denorm_src 0
		.amdhsa_exception_fp_ieee_div_zero 0
		.amdhsa_exception_fp_ieee_overflow 0
		.amdhsa_exception_fp_ieee_underflow 0
		.amdhsa_exception_fp_ieee_inexact 0
		.amdhsa_exception_int_div_zero 0
	.end_amdhsa_kernel
	.section	.text._ZN7rocprim17ROCPRIM_400000_NS6detail17trampoline_kernelINS0_14default_configENS1_20scan_config_selectorIfEEZZNS1_9scan_implILNS1_25lookback_scan_determinismE0ELb1ELb1ES3_N6thrust23THRUST_200600_302600_NS6detail15normal_iteratorINS9_10device_ptrIiEEEENSB_INSC_IfEEEEfNS9_4plusIvEEfEEDaPvRmT3_T4_T5_mT6_P12ihipStream_tbENKUlT_T0_E_clISt17integral_constantIbLb0EESV_IbLb1EEEEDaSR_SS_EUlSR_E0_NS1_11comp_targetILNS1_3genE8ELNS1_11target_archE1030ELNS1_3gpuE2ELNS1_3repE0EEENS1_30default_config_static_selectorELNS0_4arch9wavefront6targetE1EEEvT1_,"axG",@progbits,_ZN7rocprim17ROCPRIM_400000_NS6detail17trampoline_kernelINS0_14default_configENS1_20scan_config_selectorIfEEZZNS1_9scan_implILNS1_25lookback_scan_determinismE0ELb1ELb1ES3_N6thrust23THRUST_200600_302600_NS6detail15normal_iteratorINS9_10device_ptrIiEEEENSB_INSC_IfEEEEfNS9_4plusIvEEfEEDaPvRmT3_T4_T5_mT6_P12ihipStream_tbENKUlT_T0_E_clISt17integral_constantIbLb0EESV_IbLb1EEEEDaSR_SS_EUlSR_E0_NS1_11comp_targetILNS1_3genE8ELNS1_11target_archE1030ELNS1_3gpuE2ELNS1_3repE0EEENS1_30default_config_static_selectorELNS0_4arch9wavefront6targetE1EEEvT1_,comdat
.Lfunc_end1785:
	.size	_ZN7rocprim17ROCPRIM_400000_NS6detail17trampoline_kernelINS0_14default_configENS1_20scan_config_selectorIfEEZZNS1_9scan_implILNS1_25lookback_scan_determinismE0ELb1ELb1ES3_N6thrust23THRUST_200600_302600_NS6detail15normal_iteratorINS9_10device_ptrIiEEEENSB_INSC_IfEEEEfNS9_4plusIvEEfEEDaPvRmT3_T4_T5_mT6_P12ihipStream_tbENKUlT_T0_E_clISt17integral_constantIbLb0EESV_IbLb1EEEEDaSR_SS_EUlSR_E0_NS1_11comp_targetILNS1_3genE8ELNS1_11target_archE1030ELNS1_3gpuE2ELNS1_3repE0EEENS1_30default_config_static_selectorELNS0_4arch9wavefront6targetE1EEEvT1_, .Lfunc_end1785-_ZN7rocprim17ROCPRIM_400000_NS6detail17trampoline_kernelINS0_14default_configENS1_20scan_config_selectorIfEEZZNS1_9scan_implILNS1_25lookback_scan_determinismE0ELb1ELb1ES3_N6thrust23THRUST_200600_302600_NS6detail15normal_iteratorINS9_10device_ptrIiEEEENSB_INSC_IfEEEEfNS9_4plusIvEEfEEDaPvRmT3_T4_T5_mT6_P12ihipStream_tbENKUlT_T0_E_clISt17integral_constantIbLb0EESV_IbLb1EEEEDaSR_SS_EUlSR_E0_NS1_11comp_targetILNS1_3genE8ELNS1_11target_archE1030ELNS1_3gpuE2ELNS1_3repE0EEENS1_30default_config_static_selectorELNS0_4arch9wavefront6targetE1EEEvT1_
                                        ; -- End function
	.section	.AMDGPU.csdata,"",@progbits
; Kernel info:
; codeLenInByte = 0
; NumSgprs: 4
; NumVgprs: 0
; NumAgprs: 0
; TotalNumVgprs: 0
; ScratchSize: 0
; MemoryBound: 0
; FloatMode: 240
; IeeeMode: 1
; LDSByteSize: 0 bytes/workgroup (compile time only)
; SGPRBlocks: 0
; VGPRBlocks: 0
; NumSGPRsForWavesPerEU: 4
; NumVGPRsForWavesPerEU: 1
; AccumOffset: 4
; Occupancy: 8
; WaveLimiterHint : 0
; COMPUTE_PGM_RSRC2:SCRATCH_EN: 0
; COMPUTE_PGM_RSRC2:USER_SGPR: 6
; COMPUTE_PGM_RSRC2:TRAP_HANDLER: 0
; COMPUTE_PGM_RSRC2:TGID_X_EN: 1
; COMPUTE_PGM_RSRC2:TGID_Y_EN: 0
; COMPUTE_PGM_RSRC2:TGID_Z_EN: 0
; COMPUTE_PGM_RSRC2:TIDIG_COMP_CNT: 0
; COMPUTE_PGM_RSRC3_GFX90A:ACCUM_OFFSET: 0
; COMPUTE_PGM_RSRC3_GFX90A:TG_SPLIT: 0
	.section	.text._ZN6thrust23THRUST_200600_302600_NS11hip_rocprim14__parallel_for6kernelILj256ENS1_20__uninitialized_fill7functorINS0_10device_ptrIdEEdEEmLj1EEEvT0_T1_SA_,"axG",@progbits,_ZN6thrust23THRUST_200600_302600_NS11hip_rocprim14__parallel_for6kernelILj256ENS1_20__uninitialized_fill7functorINS0_10device_ptrIdEEdEEmLj1EEEvT0_T1_SA_,comdat
	.protected	_ZN6thrust23THRUST_200600_302600_NS11hip_rocprim14__parallel_for6kernelILj256ENS1_20__uninitialized_fill7functorINS0_10device_ptrIdEEdEEmLj1EEEvT0_T1_SA_ ; -- Begin function _ZN6thrust23THRUST_200600_302600_NS11hip_rocprim14__parallel_for6kernelILj256ENS1_20__uninitialized_fill7functorINS0_10device_ptrIdEEdEEmLj1EEEvT0_T1_SA_
	.globl	_ZN6thrust23THRUST_200600_302600_NS11hip_rocprim14__parallel_for6kernelILj256ENS1_20__uninitialized_fill7functorINS0_10device_ptrIdEEdEEmLj1EEEvT0_T1_SA_
	.p2align	8
	.type	_ZN6thrust23THRUST_200600_302600_NS11hip_rocprim14__parallel_for6kernelILj256ENS1_20__uninitialized_fill7functorINS0_10device_ptrIdEEdEEmLj1EEEvT0_T1_SA_,@function
_ZN6thrust23THRUST_200600_302600_NS11hip_rocprim14__parallel_for6kernelILj256ENS1_20__uninitialized_fill7functorINS0_10device_ptrIdEEdEEmLj1EEEvT0_T1_SA_: ; @_ZN6thrust23THRUST_200600_302600_NS11hip_rocprim14__parallel_for6kernelILj256ENS1_20__uninitialized_fill7functorINS0_10device_ptrIdEEdEEmLj1EEEvT0_T1_SA_
; %bb.0:
	s_load_dwordx8 s[8:15], s[4:5], 0x0
	s_lshl_b32 s0, s6, 8
	v_mov_b32_e32 v2, 0x100
	v_mov_b32_e32 v3, 0
	s_waitcnt lgkmcnt(0)
	s_add_u32 s0, s0, s14
	s_addc_u32 s1, 0, s15
	s_sub_u32 s2, s12, s0
	s_subb_u32 s3, s13, s1
	v_cmp_lt_u64_e32 vcc, s[2:3], v[2:3]
	s_cbranch_vccz .LBB1786_2
; %bb.1:
	v_cmp_gt_u32_e32 vcc, s2, v0
	s_and_b64 s[2:3], vcc, exec
	s_cbranch_execz .LBB1786_3
	s_branch .LBB1786_4
.LBB1786_2:
	s_mov_b64 s[2:3], 0
.LBB1786_3:
	s_or_b64 s[2:3], s[2:3], exec
.LBB1786_4:
	s_and_saveexec_b64 s[4:5], s[2:3]
	s_cbranch_execnz .LBB1786_6
; %bb.5:
	s_endpgm
.LBB1786_6:
	s_lshl_b64 s[0:1], s[0:1], 3
	v_mov_b32_e32 v1, 0
	s_add_u32 s0, s8, s0
	s_addc_u32 s1, s9, s1
	v_lshlrev_b64 v[0:1], 3, v[0:1]
	v_mov_b32_e32 v4, s1
	v_add_co_u32_e32 v0, vcc, s0, v0
	v_mov_b32_e32 v2, s10
	v_mov_b32_e32 v3, s11
	v_addc_co_u32_e32 v1, vcc, v4, v1, vcc
	flat_store_dwordx2 v[0:1], v[2:3]
	s_endpgm
	.section	.rodata,"a",@progbits
	.p2align	6, 0x0
	.amdhsa_kernel _ZN6thrust23THRUST_200600_302600_NS11hip_rocprim14__parallel_for6kernelILj256ENS1_20__uninitialized_fill7functorINS0_10device_ptrIdEEdEEmLj1EEEvT0_T1_SA_
		.amdhsa_group_segment_fixed_size 0
		.amdhsa_private_segment_fixed_size 0
		.amdhsa_kernarg_size 32
		.amdhsa_user_sgpr_count 6
		.amdhsa_user_sgpr_private_segment_buffer 1
		.amdhsa_user_sgpr_dispatch_ptr 0
		.amdhsa_user_sgpr_queue_ptr 0
		.amdhsa_user_sgpr_kernarg_segment_ptr 1
		.amdhsa_user_sgpr_dispatch_id 0
		.amdhsa_user_sgpr_flat_scratch_init 0
		.amdhsa_user_sgpr_kernarg_preload_length 0
		.amdhsa_user_sgpr_kernarg_preload_offset 0
		.amdhsa_user_sgpr_private_segment_size 0
		.amdhsa_uses_dynamic_stack 0
		.amdhsa_system_sgpr_private_segment_wavefront_offset 0
		.amdhsa_system_sgpr_workgroup_id_x 1
		.amdhsa_system_sgpr_workgroup_id_y 0
		.amdhsa_system_sgpr_workgroup_id_z 0
		.amdhsa_system_sgpr_workgroup_info 0
		.amdhsa_system_vgpr_workitem_id 0
		.amdhsa_next_free_vgpr 5
		.amdhsa_next_free_sgpr 16
		.amdhsa_accum_offset 8
		.amdhsa_reserve_vcc 1
		.amdhsa_reserve_flat_scratch 0
		.amdhsa_float_round_mode_32 0
		.amdhsa_float_round_mode_16_64 0
		.amdhsa_float_denorm_mode_32 3
		.amdhsa_float_denorm_mode_16_64 3
		.amdhsa_dx10_clamp 1
		.amdhsa_ieee_mode 1
		.amdhsa_fp16_overflow 0
		.amdhsa_tg_split 0
		.amdhsa_exception_fp_ieee_invalid_op 0
		.amdhsa_exception_fp_denorm_src 0
		.amdhsa_exception_fp_ieee_div_zero 0
		.amdhsa_exception_fp_ieee_overflow 0
		.amdhsa_exception_fp_ieee_underflow 0
		.amdhsa_exception_fp_ieee_inexact 0
		.amdhsa_exception_int_div_zero 0
	.end_amdhsa_kernel
	.section	.text._ZN6thrust23THRUST_200600_302600_NS11hip_rocprim14__parallel_for6kernelILj256ENS1_20__uninitialized_fill7functorINS0_10device_ptrIdEEdEEmLj1EEEvT0_T1_SA_,"axG",@progbits,_ZN6thrust23THRUST_200600_302600_NS11hip_rocprim14__parallel_for6kernelILj256ENS1_20__uninitialized_fill7functorINS0_10device_ptrIdEEdEEmLj1EEEvT0_T1_SA_,comdat
.Lfunc_end1786:
	.size	_ZN6thrust23THRUST_200600_302600_NS11hip_rocprim14__parallel_for6kernelILj256ENS1_20__uninitialized_fill7functorINS0_10device_ptrIdEEdEEmLj1EEEvT0_T1_SA_, .Lfunc_end1786-_ZN6thrust23THRUST_200600_302600_NS11hip_rocprim14__parallel_for6kernelILj256ENS1_20__uninitialized_fill7functorINS0_10device_ptrIdEEdEEmLj1EEEvT0_T1_SA_
                                        ; -- End function
	.section	.AMDGPU.csdata,"",@progbits
; Kernel info:
; codeLenInByte = 144
; NumSgprs: 20
; NumVgprs: 5
; NumAgprs: 0
; TotalNumVgprs: 5
; ScratchSize: 0
; MemoryBound: 0
; FloatMode: 240
; IeeeMode: 1
; LDSByteSize: 0 bytes/workgroup (compile time only)
; SGPRBlocks: 2
; VGPRBlocks: 0
; NumSGPRsForWavesPerEU: 20
; NumVGPRsForWavesPerEU: 5
; AccumOffset: 8
; Occupancy: 8
; WaveLimiterHint : 0
; COMPUTE_PGM_RSRC2:SCRATCH_EN: 0
; COMPUTE_PGM_RSRC2:USER_SGPR: 6
; COMPUTE_PGM_RSRC2:TRAP_HANDLER: 0
; COMPUTE_PGM_RSRC2:TGID_X_EN: 1
; COMPUTE_PGM_RSRC2:TGID_Y_EN: 0
; COMPUTE_PGM_RSRC2:TGID_Z_EN: 0
; COMPUTE_PGM_RSRC2:TIDIG_COMP_CNT: 0
; COMPUTE_PGM_RSRC3_GFX90A:ACCUM_OFFSET: 1
; COMPUTE_PGM_RSRC3_GFX90A:TG_SPLIT: 0
	.section	.text._ZN7rocprim17ROCPRIM_400000_NS6detail31init_lookback_scan_state_kernelINS1_19lookback_scan_stateIdLb0ELb1EEENS1_16block_id_wrapperIjLb0EEEEEvT_jT0_jPNS7_10value_typeE,"axG",@progbits,_ZN7rocprim17ROCPRIM_400000_NS6detail31init_lookback_scan_state_kernelINS1_19lookback_scan_stateIdLb0ELb1EEENS1_16block_id_wrapperIjLb0EEEEEvT_jT0_jPNS7_10value_typeE,comdat
	.protected	_ZN7rocprim17ROCPRIM_400000_NS6detail31init_lookback_scan_state_kernelINS1_19lookback_scan_stateIdLb0ELb1EEENS1_16block_id_wrapperIjLb0EEEEEvT_jT0_jPNS7_10value_typeE ; -- Begin function _ZN7rocprim17ROCPRIM_400000_NS6detail31init_lookback_scan_state_kernelINS1_19lookback_scan_stateIdLb0ELb1EEENS1_16block_id_wrapperIjLb0EEEEEvT_jT0_jPNS7_10value_typeE
	.globl	_ZN7rocprim17ROCPRIM_400000_NS6detail31init_lookback_scan_state_kernelINS1_19lookback_scan_stateIdLb0ELb1EEENS1_16block_id_wrapperIjLb0EEEEEvT_jT0_jPNS7_10value_typeE
	.p2align	8
	.type	_ZN7rocprim17ROCPRIM_400000_NS6detail31init_lookback_scan_state_kernelINS1_19lookback_scan_stateIdLb0ELb1EEENS1_16block_id_wrapperIjLb0EEEEEvT_jT0_jPNS7_10value_typeE,@function
_ZN7rocprim17ROCPRIM_400000_NS6detail31init_lookback_scan_state_kernelINS1_19lookback_scan_stateIdLb0ELb1EEENS1_16block_id_wrapperIjLb0EEEEEvT_jT0_jPNS7_10value_typeE: ; @_ZN7rocprim17ROCPRIM_400000_NS6detail31init_lookback_scan_state_kernelINS1_19lookback_scan_stateIdLb0ELb1EEENS1_16block_id_wrapperIjLb0EEEEEvT_jT0_jPNS7_10value_typeE
; %bb.0:
	s_load_dword s7, s[4:5], 0x2c
	s_load_dwordx2 s[2:3], s[4:5], 0x18
	s_load_dwordx2 s[0:1], s[4:5], 0x0
	s_load_dword s12, s[4:5], 0x8
	s_waitcnt lgkmcnt(0)
	s_and_b32 s7, s7, 0xffff
	s_mul_i32 s6, s6, s7
	s_cmp_eq_u64 s[2:3], 0
	v_add_u32_e32 v0, s6, v0
	s_cbranch_scc1 .LBB1787_8
; %bb.1:
	s_load_dword s6, s[4:5], 0x10
	s_mov_b32 s7, 0
	s_waitcnt lgkmcnt(0)
	s_cmp_lt_u32 s6, s12
	s_cselect_b32 s4, s6, 0
	v_cmp_eq_u32_e32 vcc, s4, v0
	s_and_saveexec_b64 s[4:5], vcc
	s_cbranch_execz .LBB1787_7
; %bb.2:
	s_add_i32 s6, s6, 64
	s_lshl_b64 s[6:7], s[6:7], 4
	s_add_u32 s10, s0, s6
	s_addc_u32 s11, s1, s7
	v_pk_mov_b32 v[2:3], s[10:11], s[10:11] op_sel:[0,1]
	;;#ASMSTART
	global_load_dwordx4 v[2:5], v[2:3] off glc	
s_waitcnt vmcnt(0)
	;;#ASMEND
	v_mov_b32_e32 v7, 0
	v_and_b32_e32 v6, 0xff, v4
	s_mov_b64 s[8:9], 0
	v_cmp_eq_u64_e32 vcc, 0, v[6:7]
	s_and_saveexec_b64 s[6:7], vcc
	s_cbranch_execz .LBB1787_6
; %bb.3:
	v_pk_mov_b32 v[8:9], s[10:11], s[10:11] op_sel:[0,1]
.LBB1787_4:                             ; =>This Inner Loop Header: Depth=1
	;;#ASMSTART
	global_load_dwordx4 v[2:5], v[8:9] off glc	
s_waitcnt vmcnt(0)
	;;#ASMEND
	v_and_b32_e32 v6, 0xff, v4
	v_cmp_ne_u64_e32 vcc, 0, v[6:7]
	s_or_b64 s[8:9], vcc, s[8:9]
	s_andn2_b64 exec, exec, s[8:9]
	s_cbranch_execnz .LBB1787_4
; %bb.5:
	s_or_b64 exec, exec, s[8:9]
.LBB1787_6:
	s_or_b64 exec, exec, s[6:7]
	v_mov_b32_e32 v1, 0
	global_store_dwordx2 v1, v[2:3], s[2:3]
.LBB1787_7:
	s_or_b64 exec, exec, s[4:5]
.LBB1787_8:
	v_cmp_gt_u32_e32 vcc, s12, v0
	s_and_saveexec_b64 s[2:3], vcc
	s_cbranch_execnz .LBB1787_11
; %bb.9:
	s_or_b64 exec, exec, s[2:3]
	v_cmp_gt_u32_e32 vcc, 64, v0
	s_and_saveexec_b64 s[2:3], vcc
	s_cbranch_execnz .LBB1787_12
.LBB1787_10:
	s_endpgm
.LBB1787_11:
	v_add_u32_e32 v2, 64, v0
	v_mov_b32_e32 v3, 0
	v_lshlrev_b64 v[4:5], 4, v[2:3]
	v_mov_b32_e32 v1, s1
	v_add_co_u32_e32 v6, vcc, s0, v4
	v_addc_co_u32_e32 v7, vcc, v1, v5, vcc
	v_mov_b32_e32 v2, v3
	v_mov_b32_e32 v4, v3
	v_mov_b32_e32 v5, v3
	global_store_dwordx4 v[6:7], v[2:5], off
	s_or_b64 exec, exec, s[2:3]
	v_cmp_gt_u32_e32 vcc, 64, v0
	s_and_saveexec_b64 s[2:3], vcc
	s_cbranch_execz .LBB1787_10
.LBB1787_12:
	v_mov_b32_e32 v1, 0
	v_lshlrev_b64 v[2:3], 4, v[0:1]
	v_mov_b32_e32 v0, s1
	v_add_co_u32_e32 v4, vcc, s0, v2
	v_addc_co_u32_e32 v5, vcc, v0, v3, vcc
	v_mov_b32_e32 v2, 0xff
	v_mov_b32_e32 v0, v1
	;; [unrolled: 1-line block ×3, first 2 shown]
	global_store_dwordx4 v[4:5], v[0:3], off
	s_endpgm
	.section	.rodata,"a",@progbits
	.p2align	6, 0x0
	.amdhsa_kernel _ZN7rocprim17ROCPRIM_400000_NS6detail31init_lookback_scan_state_kernelINS1_19lookback_scan_stateIdLb0ELb1EEENS1_16block_id_wrapperIjLb0EEEEEvT_jT0_jPNS7_10value_typeE
		.amdhsa_group_segment_fixed_size 0
		.amdhsa_private_segment_fixed_size 0
		.amdhsa_kernarg_size 288
		.amdhsa_user_sgpr_count 6
		.amdhsa_user_sgpr_private_segment_buffer 1
		.amdhsa_user_sgpr_dispatch_ptr 0
		.amdhsa_user_sgpr_queue_ptr 0
		.amdhsa_user_sgpr_kernarg_segment_ptr 1
		.amdhsa_user_sgpr_dispatch_id 0
		.amdhsa_user_sgpr_flat_scratch_init 0
		.amdhsa_user_sgpr_kernarg_preload_length 0
		.amdhsa_user_sgpr_kernarg_preload_offset 0
		.amdhsa_user_sgpr_private_segment_size 0
		.amdhsa_uses_dynamic_stack 0
		.amdhsa_system_sgpr_private_segment_wavefront_offset 0
		.amdhsa_system_sgpr_workgroup_id_x 1
		.amdhsa_system_sgpr_workgroup_id_y 0
		.amdhsa_system_sgpr_workgroup_id_z 0
		.amdhsa_system_sgpr_workgroup_info 0
		.amdhsa_system_vgpr_workitem_id 0
		.amdhsa_next_free_vgpr 10
		.amdhsa_next_free_sgpr 13
		.amdhsa_accum_offset 12
		.amdhsa_reserve_vcc 1
		.amdhsa_reserve_flat_scratch 0
		.amdhsa_float_round_mode_32 0
		.amdhsa_float_round_mode_16_64 0
		.amdhsa_float_denorm_mode_32 3
		.amdhsa_float_denorm_mode_16_64 3
		.amdhsa_dx10_clamp 1
		.amdhsa_ieee_mode 1
		.amdhsa_fp16_overflow 0
		.amdhsa_tg_split 0
		.amdhsa_exception_fp_ieee_invalid_op 0
		.amdhsa_exception_fp_denorm_src 0
		.amdhsa_exception_fp_ieee_div_zero 0
		.amdhsa_exception_fp_ieee_overflow 0
		.amdhsa_exception_fp_ieee_underflow 0
		.amdhsa_exception_fp_ieee_inexact 0
		.amdhsa_exception_int_div_zero 0
	.end_amdhsa_kernel
	.section	.text._ZN7rocprim17ROCPRIM_400000_NS6detail31init_lookback_scan_state_kernelINS1_19lookback_scan_stateIdLb0ELb1EEENS1_16block_id_wrapperIjLb0EEEEEvT_jT0_jPNS7_10value_typeE,"axG",@progbits,_ZN7rocprim17ROCPRIM_400000_NS6detail31init_lookback_scan_state_kernelINS1_19lookback_scan_stateIdLb0ELb1EEENS1_16block_id_wrapperIjLb0EEEEEvT_jT0_jPNS7_10value_typeE,comdat
.Lfunc_end1787:
	.size	_ZN7rocprim17ROCPRIM_400000_NS6detail31init_lookback_scan_state_kernelINS1_19lookback_scan_stateIdLb0ELb1EEENS1_16block_id_wrapperIjLb0EEEEEvT_jT0_jPNS7_10value_typeE, .Lfunc_end1787-_ZN7rocprim17ROCPRIM_400000_NS6detail31init_lookback_scan_state_kernelINS1_19lookback_scan_stateIdLb0ELb1EEENS1_16block_id_wrapperIjLb0EEEEEvT_jT0_jPNS7_10value_typeE
                                        ; -- End function
	.section	.AMDGPU.csdata,"",@progbits
; Kernel info:
; codeLenInByte = 384
; NumSgprs: 17
; NumVgprs: 10
; NumAgprs: 0
; TotalNumVgprs: 10
; ScratchSize: 0
; MemoryBound: 0
; FloatMode: 240
; IeeeMode: 1
; LDSByteSize: 0 bytes/workgroup (compile time only)
; SGPRBlocks: 2
; VGPRBlocks: 1
; NumSGPRsForWavesPerEU: 17
; NumVGPRsForWavesPerEU: 10
; AccumOffset: 12
; Occupancy: 8
; WaveLimiterHint : 0
; COMPUTE_PGM_RSRC2:SCRATCH_EN: 0
; COMPUTE_PGM_RSRC2:USER_SGPR: 6
; COMPUTE_PGM_RSRC2:TRAP_HANDLER: 0
; COMPUTE_PGM_RSRC2:TGID_X_EN: 1
; COMPUTE_PGM_RSRC2:TGID_Y_EN: 0
; COMPUTE_PGM_RSRC2:TGID_Z_EN: 0
; COMPUTE_PGM_RSRC2:TIDIG_COMP_CNT: 0
; COMPUTE_PGM_RSRC3_GFX90A:ACCUM_OFFSET: 2
; COMPUTE_PGM_RSRC3_GFX90A:TG_SPLIT: 0
	.section	.text._ZN7rocprim17ROCPRIM_400000_NS6detail17trampoline_kernelINS0_14default_configENS1_20scan_config_selectorIdEEZZNS1_9scan_implILNS1_25lookback_scan_determinismE0ELb0ELb0ES3_N6thrust23THRUST_200600_302600_NS6detail15normal_iteratorINS9_10device_ptrIdEEEESE_d11max_functorIdEdEEDaPvRmT3_T4_T5_mT6_P12ihipStream_tbENKUlT_T0_E_clISt17integral_constantIbLb0EESU_EEDaSP_SQ_EUlSP_E_NS1_11comp_targetILNS1_3genE0ELNS1_11target_archE4294967295ELNS1_3gpuE0ELNS1_3repE0EEENS1_30default_config_static_selectorELNS0_4arch9wavefront6targetE1EEEvT1_,"axG",@progbits,_ZN7rocprim17ROCPRIM_400000_NS6detail17trampoline_kernelINS0_14default_configENS1_20scan_config_selectorIdEEZZNS1_9scan_implILNS1_25lookback_scan_determinismE0ELb0ELb0ES3_N6thrust23THRUST_200600_302600_NS6detail15normal_iteratorINS9_10device_ptrIdEEEESE_d11max_functorIdEdEEDaPvRmT3_T4_T5_mT6_P12ihipStream_tbENKUlT_T0_E_clISt17integral_constantIbLb0EESU_EEDaSP_SQ_EUlSP_E_NS1_11comp_targetILNS1_3genE0ELNS1_11target_archE4294967295ELNS1_3gpuE0ELNS1_3repE0EEENS1_30default_config_static_selectorELNS0_4arch9wavefront6targetE1EEEvT1_,comdat
	.protected	_ZN7rocprim17ROCPRIM_400000_NS6detail17trampoline_kernelINS0_14default_configENS1_20scan_config_selectorIdEEZZNS1_9scan_implILNS1_25lookback_scan_determinismE0ELb0ELb0ES3_N6thrust23THRUST_200600_302600_NS6detail15normal_iteratorINS9_10device_ptrIdEEEESE_d11max_functorIdEdEEDaPvRmT3_T4_T5_mT6_P12ihipStream_tbENKUlT_T0_E_clISt17integral_constantIbLb0EESU_EEDaSP_SQ_EUlSP_E_NS1_11comp_targetILNS1_3genE0ELNS1_11target_archE4294967295ELNS1_3gpuE0ELNS1_3repE0EEENS1_30default_config_static_selectorELNS0_4arch9wavefront6targetE1EEEvT1_ ; -- Begin function _ZN7rocprim17ROCPRIM_400000_NS6detail17trampoline_kernelINS0_14default_configENS1_20scan_config_selectorIdEEZZNS1_9scan_implILNS1_25lookback_scan_determinismE0ELb0ELb0ES3_N6thrust23THRUST_200600_302600_NS6detail15normal_iteratorINS9_10device_ptrIdEEEESE_d11max_functorIdEdEEDaPvRmT3_T4_T5_mT6_P12ihipStream_tbENKUlT_T0_E_clISt17integral_constantIbLb0EESU_EEDaSP_SQ_EUlSP_E_NS1_11comp_targetILNS1_3genE0ELNS1_11target_archE4294967295ELNS1_3gpuE0ELNS1_3repE0EEENS1_30default_config_static_selectorELNS0_4arch9wavefront6targetE1EEEvT1_
	.globl	_ZN7rocprim17ROCPRIM_400000_NS6detail17trampoline_kernelINS0_14default_configENS1_20scan_config_selectorIdEEZZNS1_9scan_implILNS1_25lookback_scan_determinismE0ELb0ELb0ES3_N6thrust23THRUST_200600_302600_NS6detail15normal_iteratorINS9_10device_ptrIdEEEESE_d11max_functorIdEdEEDaPvRmT3_T4_T5_mT6_P12ihipStream_tbENKUlT_T0_E_clISt17integral_constantIbLb0EESU_EEDaSP_SQ_EUlSP_E_NS1_11comp_targetILNS1_3genE0ELNS1_11target_archE4294967295ELNS1_3gpuE0ELNS1_3repE0EEENS1_30default_config_static_selectorELNS0_4arch9wavefront6targetE1EEEvT1_
	.p2align	8
	.type	_ZN7rocprim17ROCPRIM_400000_NS6detail17trampoline_kernelINS0_14default_configENS1_20scan_config_selectorIdEEZZNS1_9scan_implILNS1_25lookback_scan_determinismE0ELb0ELb0ES3_N6thrust23THRUST_200600_302600_NS6detail15normal_iteratorINS9_10device_ptrIdEEEESE_d11max_functorIdEdEEDaPvRmT3_T4_T5_mT6_P12ihipStream_tbENKUlT_T0_E_clISt17integral_constantIbLb0EESU_EEDaSP_SQ_EUlSP_E_NS1_11comp_targetILNS1_3genE0ELNS1_11target_archE4294967295ELNS1_3gpuE0ELNS1_3repE0EEENS1_30default_config_static_selectorELNS0_4arch9wavefront6targetE1EEEvT1_,@function
_ZN7rocprim17ROCPRIM_400000_NS6detail17trampoline_kernelINS0_14default_configENS1_20scan_config_selectorIdEEZZNS1_9scan_implILNS1_25lookback_scan_determinismE0ELb0ELb0ES3_N6thrust23THRUST_200600_302600_NS6detail15normal_iteratorINS9_10device_ptrIdEEEESE_d11max_functorIdEdEEDaPvRmT3_T4_T5_mT6_P12ihipStream_tbENKUlT_T0_E_clISt17integral_constantIbLb0EESU_EEDaSP_SQ_EUlSP_E_NS1_11comp_targetILNS1_3genE0ELNS1_11target_archE4294967295ELNS1_3gpuE0ELNS1_3repE0EEENS1_30default_config_static_selectorELNS0_4arch9wavefront6targetE1EEEvT1_: ; @_ZN7rocprim17ROCPRIM_400000_NS6detail17trampoline_kernelINS0_14default_configENS1_20scan_config_selectorIdEEZZNS1_9scan_implILNS1_25lookback_scan_determinismE0ELb0ELb0ES3_N6thrust23THRUST_200600_302600_NS6detail15normal_iteratorINS9_10device_ptrIdEEEESE_d11max_functorIdEdEEDaPvRmT3_T4_T5_mT6_P12ihipStream_tbENKUlT_T0_E_clISt17integral_constantIbLb0EESU_EEDaSP_SQ_EUlSP_E_NS1_11comp_targetILNS1_3genE0ELNS1_11target_archE4294967295ELNS1_3gpuE0ELNS1_3repE0EEENS1_30default_config_static_selectorELNS0_4arch9wavefront6targetE1EEEvT1_
; %bb.0:
	.section	.rodata,"a",@progbits
	.p2align	6, 0x0
	.amdhsa_kernel _ZN7rocprim17ROCPRIM_400000_NS6detail17trampoline_kernelINS0_14default_configENS1_20scan_config_selectorIdEEZZNS1_9scan_implILNS1_25lookback_scan_determinismE0ELb0ELb0ES3_N6thrust23THRUST_200600_302600_NS6detail15normal_iteratorINS9_10device_ptrIdEEEESE_d11max_functorIdEdEEDaPvRmT3_T4_T5_mT6_P12ihipStream_tbENKUlT_T0_E_clISt17integral_constantIbLb0EESU_EEDaSP_SQ_EUlSP_E_NS1_11comp_targetILNS1_3genE0ELNS1_11target_archE4294967295ELNS1_3gpuE0ELNS1_3repE0EEENS1_30default_config_static_selectorELNS0_4arch9wavefront6targetE1EEEvT1_
		.amdhsa_group_segment_fixed_size 0
		.amdhsa_private_segment_fixed_size 0
		.amdhsa_kernarg_size 104
		.amdhsa_user_sgpr_count 6
		.amdhsa_user_sgpr_private_segment_buffer 1
		.amdhsa_user_sgpr_dispatch_ptr 0
		.amdhsa_user_sgpr_queue_ptr 0
		.amdhsa_user_sgpr_kernarg_segment_ptr 1
		.amdhsa_user_sgpr_dispatch_id 0
		.amdhsa_user_sgpr_flat_scratch_init 0
		.amdhsa_user_sgpr_kernarg_preload_length 0
		.amdhsa_user_sgpr_kernarg_preload_offset 0
		.amdhsa_user_sgpr_private_segment_size 0
		.amdhsa_uses_dynamic_stack 0
		.amdhsa_system_sgpr_private_segment_wavefront_offset 0
		.amdhsa_system_sgpr_workgroup_id_x 1
		.amdhsa_system_sgpr_workgroup_id_y 0
		.amdhsa_system_sgpr_workgroup_id_z 0
		.amdhsa_system_sgpr_workgroup_info 0
		.amdhsa_system_vgpr_workitem_id 0
		.amdhsa_next_free_vgpr 1
		.amdhsa_next_free_sgpr 0
		.amdhsa_accum_offset 4
		.amdhsa_reserve_vcc 0
		.amdhsa_reserve_flat_scratch 0
		.amdhsa_float_round_mode_32 0
		.amdhsa_float_round_mode_16_64 0
		.amdhsa_float_denorm_mode_32 3
		.amdhsa_float_denorm_mode_16_64 3
		.amdhsa_dx10_clamp 1
		.amdhsa_ieee_mode 1
		.amdhsa_fp16_overflow 0
		.amdhsa_tg_split 0
		.amdhsa_exception_fp_ieee_invalid_op 0
		.amdhsa_exception_fp_denorm_src 0
		.amdhsa_exception_fp_ieee_div_zero 0
		.amdhsa_exception_fp_ieee_overflow 0
		.amdhsa_exception_fp_ieee_underflow 0
		.amdhsa_exception_fp_ieee_inexact 0
		.amdhsa_exception_int_div_zero 0
	.end_amdhsa_kernel
	.section	.text._ZN7rocprim17ROCPRIM_400000_NS6detail17trampoline_kernelINS0_14default_configENS1_20scan_config_selectorIdEEZZNS1_9scan_implILNS1_25lookback_scan_determinismE0ELb0ELb0ES3_N6thrust23THRUST_200600_302600_NS6detail15normal_iteratorINS9_10device_ptrIdEEEESE_d11max_functorIdEdEEDaPvRmT3_T4_T5_mT6_P12ihipStream_tbENKUlT_T0_E_clISt17integral_constantIbLb0EESU_EEDaSP_SQ_EUlSP_E_NS1_11comp_targetILNS1_3genE0ELNS1_11target_archE4294967295ELNS1_3gpuE0ELNS1_3repE0EEENS1_30default_config_static_selectorELNS0_4arch9wavefront6targetE1EEEvT1_,"axG",@progbits,_ZN7rocprim17ROCPRIM_400000_NS6detail17trampoline_kernelINS0_14default_configENS1_20scan_config_selectorIdEEZZNS1_9scan_implILNS1_25lookback_scan_determinismE0ELb0ELb0ES3_N6thrust23THRUST_200600_302600_NS6detail15normal_iteratorINS9_10device_ptrIdEEEESE_d11max_functorIdEdEEDaPvRmT3_T4_T5_mT6_P12ihipStream_tbENKUlT_T0_E_clISt17integral_constantIbLb0EESU_EEDaSP_SQ_EUlSP_E_NS1_11comp_targetILNS1_3genE0ELNS1_11target_archE4294967295ELNS1_3gpuE0ELNS1_3repE0EEENS1_30default_config_static_selectorELNS0_4arch9wavefront6targetE1EEEvT1_,comdat
.Lfunc_end1788:
	.size	_ZN7rocprim17ROCPRIM_400000_NS6detail17trampoline_kernelINS0_14default_configENS1_20scan_config_selectorIdEEZZNS1_9scan_implILNS1_25lookback_scan_determinismE0ELb0ELb0ES3_N6thrust23THRUST_200600_302600_NS6detail15normal_iteratorINS9_10device_ptrIdEEEESE_d11max_functorIdEdEEDaPvRmT3_T4_T5_mT6_P12ihipStream_tbENKUlT_T0_E_clISt17integral_constantIbLb0EESU_EEDaSP_SQ_EUlSP_E_NS1_11comp_targetILNS1_3genE0ELNS1_11target_archE4294967295ELNS1_3gpuE0ELNS1_3repE0EEENS1_30default_config_static_selectorELNS0_4arch9wavefront6targetE1EEEvT1_, .Lfunc_end1788-_ZN7rocprim17ROCPRIM_400000_NS6detail17trampoline_kernelINS0_14default_configENS1_20scan_config_selectorIdEEZZNS1_9scan_implILNS1_25lookback_scan_determinismE0ELb0ELb0ES3_N6thrust23THRUST_200600_302600_NS6detail15normal_iteratorINS9_10device_ptrIdEEEESE_d11max_functorIdEdEEDaPvRmT3_T4_T5_mT6_P12ihipStream_tbENKUlT_T0_E_clISt17integral_constantIbLb0EESU_EEDaSP_SQ_EUlSP_E_NS1_11comp_targetILNS1_3genE0ELNS1_11target_archE4294967295ELNS1_3gpuE0ELNS1_3repE0EEENS1_30default_config_static_selectorELNS0_4arch9wavefront6targetE1EEEvT1_
                                        ; -- End function
	.section	.AMDGPU.csdata,"",@progbits
; Kernel info:
; codeLenInByte = 0
; NumSgprs: 4
; NumVgprs: 0
; NumAgprs: 0
; TotalNumVgprs: 0
; ScratchSize: 0
; MemoryBound: 0
; FloatMode: 240
; IeeeMode: 1
; LDSByteSize: 0 bytes/workgroup (compile time only)
; SGPRBlocks: 0
; VGPRBlocks: 0
; NumSGPRsForWavesPerEU: 4
; NumVGPRsForWavesPerEU: 1
; AccumOffset: 4
; Occupancy: 8
; WaveLimiterHint : 0
; COMPUTE_PGM_RSRC2:SCRATCH_EN: 0
; COMPUTE_PGM_RSRC2:USER_SGPR: 6
; COMPUTE_PGM_RSRC2:TRAP_HANDLER: 0
; COMPUTE_PGM_RSRC2:TGID_X_EN: 1
; COMPUTE_PGM_RSRC2:TGID_Y_EN: 0
; COMPUTE_PGM_RSRC2:TGID_Z_EN: 0
; COMPUTE_PGM_RSRC2:TIDIG_COMP_CNT: 0
; COMPUTE_PGM_RSRC3_GFX90A:ACCUM_OFFSET: 0
; COMPUTE_PGM_RSRC3_GFX90A:TG_SPLIT: 0
	.section	.text._ZN7rocprim17ROCPRIM_400000_NS6detail17trampoline_kernelINS0_14default_configENS1_20scan_config_selectorIdEEZZNS1_9scan_implILNS1_25lookback_scan_determinismE0ELb0ELb0ES3_N6thrust23THRUST_200600_302600_NS6detail15normal_iteratorINS9_10device_ptrIdEEEESE_d11max_functorIdEdEEDaPvRmT3_T4_T5_mT6_P12ihipStream_tbENKUlT_T0_E_clISt17integral_constantIbLb0EESU_EEDaSP_SQ_EUlSP_E_NS1_11comp_targetILNS1_3genE5ELNS1_11target_archE942ELNS1_3gpuE9ELNS1_3repE0EEENS1_30default_config_static_selectorELNS0_4arch9wavefront6targetE1EEEvT1_,"axG",@progbits,_ZN7rocprim17ROCPRIM_400000_NS6detail17trampoline_kernelINS0_14default_configENS1_20scan_config_selectorIdEEZZNS1_9scan_implILNS1_25lookback_scan_determinismE0ELb0ELb0ES3_N6thrust23THRUST_200600_302600_NS6detail15normal_iteratorINS9_10device_ptrIdEEEESE_d11max_functorIdEdEEDaPvRmT3_T4_T5_mT6_P12ihipStream_tbENKUlT_T0_E_clISt17integral_constantIbLb0EESU_EEDaSP_SQ_EUlSP_E_NS1_11comp_targetILNS1_3genE5ELNS1_11target_archE942ELNS1_3gpuE9ELNS1_3repE0EEENS1_30default_config_static_selectorELNS0_4arch9wavefront6targetE1EEEvT1_,comdat
	.protected	_ZN7rocprim17ROCPRIM_400000_NS6detail17trampoline_kernelINS0_14default_configENS1_20scan_config_selectorIdEEZZNS1_9scan_implILNS1_25lookback_scan_determinismE0ELb0ELb0ES3_N6thrust23THRUST_200600_302600_NS6detail15normal_iteratorINS9_10device_ptrIdEEEESE_d11max_functorIdEdEEDaPvRmT3_T4_T5_mT6_P12ihipStream_tbENKUlT_T0_E_clISt17integral_constantIbLb0EESU_EEDaSP_SQ_EUlSP_E_NS1_11comp_targetILNS1_3genE5ELNS1_11target_archE942ELNS1_3gpuE9ELNS1_3repE0EEENS1_30default_config_static_selectorELNS0_4arch9wavefront6targetE1EEEvT1_ ; -- Begin function _ZN7rocprim17ROCPRIM_400000_NS6detail17trampoline_kernelINS0_14default_configENS1_20scan_config_selectorIdEEZZNS1_9scan_implILNS1_25lookback_scan_determinismE0ELb0ELb0ES3_N6thrust23THRUST_200600_302600_NS6detail15normal_iteratorINS9_10device_ptrIdEEEESE_d11max_functorIdEdEEDaPvRmT3_T4_T5_mT6_P12ihipStream_tbENKUlT_T0_E_clISt17integral_constantIbLb0EESU_EEDaSP_SQ_EUlSP_E_NS1_11comp_targetILNS1_3genE5ELNS1_11target_archE942ELNS1_3gpuE9ELNS1_3repE0EEENS1_30default_config_static_selectorELNS0_4arch9wavefront6targetE1EEEvT1_
	.globl	_ZN7rocprim17ROCPRIM_400000_NS6detail17trampoline_kernelINS0_14default_configENS1_20scan_config_selectorIdEEZZNS1_9scan_implILNS1_25lookback_scan_determinismE0ELb0ELb0ES3_N6thrust23THRUST_200600_302600_NS6detail15normal_iteratorINS9_10device_ptrIdEEEESE_d11max_functorIdEdEEDaPvRmT3_T4_T5_mT6_P12ihipStream_tbENKUlT_T0_E_clISt17integral_constantIbLb0EESU_EEDaSP_SQ_EUlSP_E_NS1_11comp_targetILNS1_3genE5ELNS1_11target_archE942ELNS1_3gpuE9ELNS1_3repE0EEENS1_30default_config_static_selectorELNS0_4arch9wavefront6targetE1EEEvT1_
	.p2align	8
	.type	_ZN7rocprim17ROCPRIM_400000_NS6detail17trampoline_kernelINS0_14default_configENS1_20scan_config_selectorIdEEZZNS1_9scan_implILNS1_25lookback_scan_determinismE0ELb0ELb0ES3_N6thrust23THRUST_200600_302600_NS6detail15normal_iteratorINS9_10device_ptrIdEEEESE_d11max_functorIdEdEEDaPvRmT3_T4_T5_mT6_P12ihipStream_tbENKUlT_T0_E_clISt17integral_constantIbLb0EESU_EEDaSP_SQ_EUlSP_E_NS1_11comp_targetILNS1_3genE5ELNS1_11target_archE942ELNS1_3gpuE9ELNS1_3repE0EEENS1_30default_config_static_selectorELNS0_4arch9wavefront6targetE1EEEvT1_,@function
_ZN7rocprim17ROCPRIM_400000_NS6detail17trampoline_kernelINS0_14default_configENS1_20scan_config_selectorIdEEZZNS1_9scan_implILNS1_25lookback_scan_determinismE0ELb0ELb0ES3_N6thrust23THRUST_200600_302600_NS6detail15normal_iteratorINS9_10device_ptrIdEEEESE_d11max_functorIdEdEEDaPvRmT3_T4_T5_mT6_P12ihipStream_tbENKUlT_T0_E_clISt17integral_constantIbLb0EESU_EEDaSP_SQ_EUlSP_E_NS1_11comp_targetILNS1_3genE5ELNS1_11target_archE942ELNS1_3gpuE9ELNS1_3repE0EEENS1_30default_config_static_selectorELNS0_4arch9wavefront6targetE1EEEvT1_: ; @_ZN7rocprim17ROCPRIM_400000_NS6detail17trampoline_kernelINS0_14default_configENS1_20scan_config_selectorIdEEZZNS1_9scan_implILNS1_25lookback_scan_determinismE0ELb0ELb0ES3_N6thrust23THRUST_200600_302600_NS6detail15normal_iteratorINS9_10device_ptrIdEEEESE_d11max_functorIdEdEEDaPvRmT3_T4_T5_mT6_P12ihipStream_tbENKUlT_T0_E_clISt17integral_constantIbLb0EESU_EEDaSP_SQ_EUlSP_E_NS1_11comp_targetILNS1_3genE5ELNS1_11target_archE942ELNS1_3gpuE9ELNS1_3repE0EEENS1_30default_config_static_selectorELNS0_4arch9wavefront6targetE1EEEvT1_
; %bb.0:
	.section	.rodata,"a",@progbits
	.p2align	6, 0x0
	.amdhsa_kernel _ZN7rocprim17ROCPRIM_400000_NS6detail17trampoline_kernelINS0_14default_configENS1_20scan_config_selectorIdEEZZNS1_9scan_implILNS1_25lookback_scan_determinismE0ELb0ELb0ES3_N6thrust23THRUST_200600_302600_NS6detail15normal_iteratorINS9_10device_ptrIdEEEESE_d11max_functorIdEdEEDaPvRmT3_T4_T5_mT6_P12ihipStream_tbENKUlT_T0_E_clISt17integral_constantIbLb0EESU_EEDaSP_SQ_EUlSP_E_NS1_11comp_targetILNS1_3genE5ELNS1_11target_archE942ELNS1_3gpuE9ELNS1_3repE0EEENS1_30default_config_static_selectorELNS0_4arch9wavefront6targetE1EEEvT1_
		.amdhsa_group_segment_fixed_size 0
		.amdhsa_private_segment_fixed_size 0
		.amdhsa_kernarg_size 104
		.amdhsa_user_sgpr_count 6
		.amdhsa_user_sgpr_private_segment_buffer 1
		.amdhsa_user_sgpr_dispatch_ptr 0
		.amdhsa_user_sgpr_queue_ptr 0
		.amdhsa_user_sgpr_kernarg_segment_ptr 1
		.amdhsa_user_sgpr_dispatch_id 0
		.amdhsa_user_sgpr_flat_scratch_init 0
		.amdhsa_user_sgpr_kernarg_preload_length 0
		.amdhsa_user_sgpr_kernarg_preload_offset 0
		.amdhsa_user_sgpr_private_segment_size 0
		.amdhsa_uses_dynamic_stack 0
		.amdhsa_system_sgpr_private_segment_wavefront_offset 0
		.amdhsa_system_sgpr_workgroup_id_x 1
		.amdhsa_system_sgpr_workgroup_id_y 0
		.amdhsa_system_sgpr_workgroup_id_z 0
		.amdhsa_system_sgpr_workgroup_info 0
		.amdhsa_system_vgpr_workitem_id 0
		.amdhsa_next_free_vgpr 1
		.amdhsa_next_free_sgpr 0
		.amdhsa_accum_offset 4
		.amdhsa_reserve_vcc 0
		.amdhsa_reserve_flat_scratch 0
		.amdhsa_float_round_mode_32 0
		.amdhsa_float_round_mode_16_64 0
		.amdhsa_float_denorm_mode_32 3
		.amdhsa_float_denorm_mode_16_64 3
		.amdhsa_dx10_clamp 1
		.amdhsa_ieee_mode 1
		.amdhsa_fp16_overflow 0
		.amdhsa_tg_split 0
		.amdhsa_exception_fp_ieee_invalid_op 0
		.amdhsa_exception_fp_denorm_src 0
		.amdhsa_exception_fp_ieee_div_zero 0
		.amdhsa_exception_fp_ieee_overflow 0
		.amdhsa_exception_fp_ieee_underflow 0
		.amdhsa_exception_fp_ieee_inexact 0
		.amdhsa_exception_int_div_zero 0
	.end_amdhsa_kernel
	.section	.text._ZN7rocprim17ROCPRIM_400000_NS6detail17trampoline_kernelINS0_14default_configENS1_20scan_config_selectorIdEEZZNS1_9scan_implILNS1_25lookback_scan_determinismE0ELb0ELb0ES3_N6thrust23THRUST_200600_302600_NS6detail15normal_iteratorINS9_10device_ptrIdEEEESE_d11max_functorIdEdEEDaPvRmT3_T4_T5_mT6_P12ihipStream_tbENKUlT_T0_E_clISt17integral_constantIbLb0EESU_EEDaSP_SQ_EUlSP_E_NS1_11comp_targetILNS1_3genE5ELNS1_11target_archE942ELNS1_3gpuE9ELNS1_3repE0EEENS1_30default_config_static_selectorELNS0_4arch9wavefront6targetE1EEEvT1_,"axG",@progbits,_ZN7rocprim17ROCPRIM_400000_NS6detail17trampoline_kernelINS0_14default_configENS1_20scan_config_selectorIdEEZZNS1_9scan_implILNS1_25lookback_scan_determinismE0ELb0ELb0ES3_N6thrust23THRUST_200600_302600_NS6detail15normal_iteratorINS9_10device_ptrIdEEEESE_d11max_functorIdEdEEDaPvRmT3_T4_T5_mT6_P12ihipStream_tbENKUlT_T0_E_clISt17integral_constantIbLb0EESU_EEDaSP_SQ_EUlSP_E_NS1_11comp_targetILNS1_3genE5ELNS1_11target_archE942ELNS1_3gpuE9ELNS1_3repE0EEENS1_30default_config_static_selectorELNS0_4arch9wavefront6targetE1EEEvT1_,comdat
.Lfunc_end1789:
	.size	_ZN7rocprim17ROCPRIM_400000_NS6detail17trampoline_kernelINS0_14default_configENS1_20scan_config_selectorIdEEZZNS1_9scan_implILNS1_25lookback_scan_determinismE0ELb0ELb0ES3_N6thrust23THRUST_200600_302600_NS6detail15normal_iteratorINS9_10device_ptrIdEEEESE_d11max_functorIdEdEEDaPvRmT3_T4_T5_mT6_P12ihipStream_tbENKUlT_T0_E_clISt17integral_constantIbLb0EESU_EEDaSP_SQ_EUlSP_E_NS1_11comp_targetILNS1_3genE5ELNS1_11target_archE942ELNS1_3gpuE9ELNS1_3repE0EEENS1_30default_config_static_selectorELNS0_4arch9wavefront6targetE1EEEvT1_, .Lfunc_end1789-_ZN7rocprim17ROCPRIM_400000_NS6detail17trampoline_kernelINS0_14default_configENS1_20scan_config_selectorIdEEZZNS1_9scan_implILNS1_25lookback_scan_determinismE0ELb0ELb0ES3_N6thrust23THRUST_200600_302600_NS6detail15normal_iteratorINS9_10device_ptrIdEEEESE_d11max_functorIdEdEEDaPvRmT3_T4_T5_mT6_P12ihipStream_tbENKUlT_T0_E_clISt17integral_constantIbLb0EESU_EEDaSP_SQ_EUlSP_E_NS1_11comp_targetILNS1_3genE5ELNS1_11target_archE942ELNS1_3gpuE9ELNS1_3repE0EEENS1_30default_config_static_selectorELNS0_4arch9wavefront6targetE1EEEvT1_
                                        ; -- End function
	.section	.AMDGPU.csdata,"",@progbits
; Kernel info:
; codeLenInByte = 0
; NumSgprs: 4
; NumVgprs: 0
; NumAgprs: 0
; TotalNumVgprs: 0
; ScratchSize: 0
; MemoryBound: 0
; FloatMode: 240
; IeeeMode: 1
; LDSByteSize: 0 bytes/workgroup (compile time only)
; SGPRBlocks: 0
; VGPRBlocks: 0
; NumSGPRsForWavesPerEU: 4
; NumVGPRsForWavesPerEU: 1
; AccumOffset: 4
; Occupancy: 8
; WaveLimiterHint : 0
; COMPUTE_PGM_RSRC2:SCRATCH_EN: 0
; COMPUTE_PGM_RSRC2:USER_SGPR: 6
; COMPUTE_PGM_RSRC2:TRAP_HANDLER: 0
; COMPUTE_PGM_RSRC2:TGID_X_EN: 1
; COMPUTE_PGM_RSRC2:TGID_Y_EN: 0
; COMPUTE_PGM_RSRC2:TGID_Z_EN: 0
; COMPUTE_PGM_RSRC2:TIDIG_COMP_CNT: 0
; COMPUTE_PGM_RSRC3_GFX90A:ACCUM_OFFSET: 0
; COMPUTE_PGM_RSRC3_GFX90A:TG_SPLIT: 0
	.section	.text._ZN7rocprim17ROCPRIM_400000_NS6detail17trampoline_kernelINS0_14default_configENS1_20scan_config_selectorIdEEZZNS1_9scan_implILNS1_25lookback_scan_determinismE0ELb0ELb0ES3_N6thrust23THRUST_200600_302600_NS6detail15normal_iteratorINS9_10device_ptrIdEEEESE_d11max_functorIdEdEEDaPvRmT3_T4_T5_mT6_P12ihipStream_tbENKUlT_T0_E_clISt17integral_constantIbLb0EESU_EEDaSP_SQ_EUlSP_E_NS1_11comp_targetILNS1_3genE4ELNS1_11target_archE910ELNS1_3gpuE8ELNS1_3repE0EEENS1_30default_config_static_selectorELNS0_4arch9wavefront6targetE1EEEvT1_,"axG",@progbits,_ZN7rocprim17ROCPRIM_400000_NS6detail17trampoline_kernelINS0_14default_configENS1_20scan_config_selectorIdEEZZNS1_9scan_implILNS1_25lookback_scan_determinismE0ELb0ELb0ES3_N6thrust23THRUST_200600_302600_NS6detail15normal_iteratorINS9_10device_ptrIdEEEESE_d11max_functorIdEdEEDaPvRmT3_T4_T5_mT6_P12ihipStream_tbENKUlT_T0_E_clISt17integral_constantIbLb0EESU_EEDaSP_SQ_EUlSP_E_NS1_11comp_targetILNS1_3genE4ELNS1_11target_archE910ELNS1_3gpuE8ELNS1_3repE0EEENS1_30default_config_static_selectorELNS0_4arch9wavefront6targetE1EEEvT1_,comdat
	.protected	_ZN7rocprim17ROCPRIM_400000_NS6detail17trampoline_kernelINS0_14default_configENS1_20scan_config_selectorIdEEZZNS1_9scan_implILNS1_25lookback_scan_determinismE0ELb0ELb0ES3_N6thrust23THRUST_200600_302600_NS6detail15normal_iteratorINS9_10device_ptrIdEEEESE_d11max_functorIdEdEEDaPvRmT3_T4_T5_mT6_P12ihipStream_tbENKUlT_T0_E_clISt17integral_constantIbLb0EESU_EEDaSP_SQ_EUlSP_E_NS1_11comp_targetILNS1_3genE4ELNS1_11target_archE910ELNS1_3gpuE8ELNS1_3repE0EEENS1_30default_config_static_selectorELNS0_4arch9wavefront6targetE1EEEvT1_ ; -- Begin function _ZN7rocprim17ROCPRIM_400000_NS6detail17trampoline_kernelINS0_14default_configENS1_20scan_config_selectorIdEEZZNS1_9scan_implILNS1_25lookback_scan_determinismE0ELb0ELb0ES3_N6thrust23THRUST_200600_302600_NS6detail15normal_iteratorINS9_10device_ptrIdEEEESE_d11max_functorIdEdEEDaPvRmT3_T4_T5_mT6_P12ihipStream_tbENKUlT_T0_E_clISt17integral_constantIbLb0EESU_EEDaSP_SQ_EUlSP_E_NS1_11comp_targetILNS1_3genE4ELNS1_11target_archE910ELNS1_3gpuE8ELNS1_3repE0EEENS1_30default_config_static_selectorELNS0_4arch9wavefront6targetE1EEEvT1_
	.globl	_ZN7rocprim17ROCPRIM_400000_NS6detail17trampoline_kernelINS0_14default_configENS1_20scan_config_selectorIdEEZZNS1_9scan_implILNS1_25lookback_scan_determinismE0ELb0ELb0ES3_N6thrust23THRUST_200600_302600_NS6detail15normal_iteratorINS9_10device_ptrIdEEEESE_d11max_functorIdEdEEDaPvRmT3_T4_T5_mT6_P12ihipStream_tbENKUlT_T0_E_clISt17integral_constantIbLb0EESU_EEDaSP_SQ_EUlSP_E_NS1_11comp_targetILNS1_3genE4ELNS1_11target_archE910ELNS1_3gpuE8ELNS1_3repE0EEENS1_30default_config_static_selectorELNS0_4arch9wavefront6targetE1EEEvT1_
	.p2align	8
	.type	_ZN7rocprim17ROCPRIM_400000_NS6detail17trampoline_kernelINS0_14default_configENS1_20scan_config_selectorIdEEZZNS1_9scan_implILNS1_25lookback_scan_determinismE0ELb0ELb0ES3_N6thrust23THRUST_200600_302600_NS6detail15normal_iteratorINS9_10device_ptrIdEEEESE_d11max_functorIdEdEEDaPvRmT3_T4_T5_mT6_P12ihipStream_tbENKUlT_T0_E_clISt17integral_constantIbLb0EESU_EEDaSP_SQ_EUlSP_E_NS1_11comp_targetILNS1_3genE4ELNS1_11target_archE910ELNS1_3gpuE8ELNS1_3repE0EEENS1_30default_config_static_selectorELNS0_4arch9wavefront6targetE1EEEvT1_,@function
_ZN7rocprim17ROCPRIM_400000_NS6detail17trampoline_kernelINS0_14default_configENS1_20scan_config_selectorIdEEZZNS1_9scan_implILNS1_25lookback_scan_determinismE0ELb0ELb0ES3_N6thrust23THRUST_200600_302600_NS6detail15normal_iteratorINS9_10device_ptrIdEEEESE_d11max_functorIdEdEEDaPvRmT3_T4_T5_mT6_P12ihipStream_tbENKUlT_T0_E_clISt17integral_constantIbLb0EESU_EEDaSP_SQ_EUlSP_E_NS1_11comp_targetILNS1_3genE4ELNS1_11target_archE910ELNS1_3gpuE8ELNS1_3repE0EEENS1_30default_config_static_selectorELNS0_4arch9wavefront6targetE1EEEvT1_: ; @_ZN7rocprim17ROCPRIM_400000_NS6detail17trampoline_kernelINS0_14default_configENS1_20scan_config_selectorIdEEZZNS1_9scan_implILNS1_25lookback_scan_determinismE0ELb0ELb0ES3_N6thrust23THRUST_200600_302600_NS6detail15normal_iteratorINS9_10device_ptrIdEEEESE_d11max_functorIdEdEEDaPvRmT3_T4_T5_mT6_P12ihipStream_tbENKUlT_T0_E_clISt17integral_constantIbLb0EESU_EEDaSP_SQ_EUlSP_E_NS1_11comp_targetILNS1_3genE4ELNS1_11target_archE910ELNS1_3gpuE8ELNS1_3repE0EEENS1_30default_config_static_selectorELNS0_4arch9wavefront6targetE1EEEvT1_
; %bb.0:
	s_load_dwordx8 s[8:15], s[4:5], 0x0
	s_load_dword s1, s[4:5], 0x38
	s_mul_i32 s0, s6, 0x500
	v_lshlrev_b32_e32 v42, 3, v0
	s_waitcnt lgkmcnt(0)
	s_lshl_b64 s[16:17], s[10:11], 3
	s_add_u32 s2, s8, s16
	s_addc_u32 s3, s9, s17
	s_add_i32 s7, s1, -1
	s_mul_i32 s8, s7, 0x500
	s_sub_u32 s22, s14, s8
	s_subb_u32 s23, s15, 0
	s_mov_b32 s1, 0
	s_cmp_lg_u32 s6, s7
	s_cselect_b64 s[14:15], -1, 0
	s_lshl_b64 s[18:19], s[0:1], 3
	s_add_u32 s2, s2, s18
	s_addc_u32 s3, s3, s19
	s_mov_b64 s[0:1], -1
	s_and_b64 vcc, exec, s[14:15]
	s_cbranch_vccz .LBB1790_2
; %bb.1:
	v_mov_b32_e32 v1, s3
	v_add_co_u32_e32 v2, vcc, s2, v42
	v_addc_co_u32_e32 v3, vcc, 0, v1, vcc
	v_add_co_u32_e32 v12, vcc, 0x1000, v2
	v_addc_co_u32_e32 v13, vcc, 0, v3, vcc
	flat_load_dwordx2 v[4:5], v[2:3]
	flat_load_dwordx2 v[6:7], v[2:3] offset:1024
	flat_load_dwordx2 v[8:9], v[2:3] offset:2048
	;; [unrolled: 1-line block ×3, first 2 shown]
	v_add_co_u32_e32 v2, vcc, 0x2000, v2
	v_addc_co_u32_e32 v3, vcc, 0, v3, vcc
	flat_load_dwordx2 v[14:15], v[12:13]
	flat_load_dwordx2 v[16:17], v[12:13] offset:1024
	flat_load_dwordx2 v[18:19], v[12:13] offset:2048
	;; [unrolled: 1-line block ×3, first 2 shown]
	s_nop 0
	flat_load_dwordx2 v[12:13], v[2:3]
	flat_load_dwordx2 v[22:23], v[2:3] offset:1024
	s_mov_b64 s[0:1], 0
	s_waitcnt vmcnt(0) lgkmcnt(0)
	ds_write2st64_b64 v42, v[4:5], v[6:7] offset1:2
	ds_write2st64_b64 v42, v[8:9], v[10:11] offset0:4 offset1:6
	ds_write2st64_b64 v42, v[14:15], v[16:17] offset0:8 offset1:10
	;; [unrolled: 1-line block ×4, first 2 shown]
	s_waitcnt lgkmcnt(0)
	s_barrier
.LBB1790_2:
	s_load_dwordx2 s[20:21], s[4:5], 0x30
	s_andn2_b64 vcc, exec, s[0:1]
	v_cmp_gt_u32_e64 s[0:1], s22, v0
	s_cbranch_vccnz .LBB1790_24
; %bb.3:
	v_pk_mov_b32 v[2:3], s[2:3], s[2:3] op_sel:[0,1]
	flat_load_dwordx2 v[2:3], v[2:3]
	s_waitcnt vmcnt(0) lgkmcnt(0)
	v_mov_b32_e32 v4, v2
	v_mov_b32_e32 v5, v3
	;; [unrolled: 1-line block ×16, first 2 shown]
	v_pk_mov_b32 v[34:35], v[30:31], v[30:31] op_sel:[0,1]
	v_pk_mov_b32 v[32:33], v[28:29], v[28:29] op_sel:[0,1]
	;; [unrolled: 1-line block ×16, first 2 shown]
	s_and_saveexec_b64 s[8:9], s[0:1]
	s_cbranch_execz .LBB1790_5
; %bb.4:
	v_mov_b32_e32 v1, s3
	v_add_co_u32_e32 v4, vcc, s2, v42
	v_addc_co_u32_e32 v5, vcc, 0, v1, vcc
	flat_load_dwordx2 v[36:37], v[4:5]
	v_mov_b32_e32 v4, v2
	v_mov_b32_e32 v5, v3
	;; [unrolled: 1-line block ×16, first 2 shown]
	v_pk_mov_b32 v[34:35], v[30:31], v[30:31] op_sel:[0,1]
	v_pk_mov_b32 v[32:33], v[28:29], v[28:29] op_sel:[0,1]
	;; [unrolled: 1-line block ×16, first 2 shown]
	s_waitcnt vmcnt(0) lgkmcnt(0)
	v_pk_mov_b32 v[2:3], v[36:37], v[36:37] op_sel:[0,1]
.LBB1790_5:
	s_or_b64 exec, exec, s[8:9]
	v_or_b32_e32 v1, 0x80, v0
	v_cmp_gt_u32_e32 vcc, s22, v1
	s_and_saveexec_b64 s[0:1], vcc
	s_cbranch_execz .LBB1790_7
; %bb.6:
	v_mov_b32_e32 v1, s3
	v_add_co_u32_e32 v4, vcc, s2, v42
	v_addc_co_u32_e32 v5, vcc, 0, v1, vcc
	flat_load_dwordx2 v[6:7], v[4:5] offset:1024
.LBB1790_7:
	s_or_b64 exec, exec, s[0:1]
	v_or_b32_e32 v1, 0x100, v0
	v_cmp_gt_u32_e32 vcc, s22, v1
	s_and_saveexec_b64 s[0:1], vcc
	s_cbranch_execz .LBB1790_9
; %bb.8:
	v_mov_b32_e32 v1, s3
	v_add_co_u32_e32 v4, vcc, s2, v42
	v_addc_co_u32_e32 v5, vcc, 0, v1, vcc
	flat_load_dwordx2 v[8:9], v[4:5] offset:2048
.LBB1790_9:
	;; [unrolled: 11-line block ×3, first 2 shown]
	s_or_b64 exec, exec, s[0:1]
	v_or_b32_e32 v1, 0x200, v0
	v_cmp_gt_u32_e32 vcc, s22, v1
	s_and_saveexec_b64 s[0:1], vcc
	s_cbranch_execz .LBB1790_13
; %bb.12:
	v_lshlrev_b32_e32 v1, 3, v1
	v_mov_b32_e32 v5, s3
	v_add_co_u32_e32 v4, vcc, s2, v1
	v_addc_co_u32_e32 v5, vcc, 0, v5, vcc
	flat_load_dwordx2 v[12:13], v[4:5]
.LBB1790_13:
	s_or_b64 exec, exec, s[0:1]
	v_or_b32_e32 v1, 0x280, v0
	v_cmp_gt_u32_e32 vcc, s22, v1
	s_and_saveexec_b64 s[0:1], vcc
	s_cbranch_execz .LBB1790_15
; %bb.14:
	v_lshlrev_b32_e32 v1, 3, v1
	v_mov_b32_e32 v5, s3
	v_add_co_u32_e32 v4, vcc, s2, v1
	v_addc_co_u32_e32 v5, vcc, 0, v5, vcc
	flat_load_dwordx2 v[14:15], v[4:5]
.LBB1790_15:
	;; [unrolled: 12-line block ×6, first 2 shown]
	s_or_b64 exec, exec, s[0:1]
	s_waitcnt vmcnt(0) lgkmcnt(0)
	ds_write2st64_b64 v42, v[2:3], v[6:7] offset1:2
	ds_write2st64_b64 v42, v[8:9], v[10:11] offset0:4 offset1:6
	ds_write2st64_b64 v42, v[12:13], v[14:15] offset0:8 offset1:10
	;; [unrolled: 1-line block ×4, first 2 shown]
	s_waitcnt lgkmcnt(0)
	s_barrier
.LBB1790_24:
	v_mul_u32_u24_e32 v43, 10, v0
	v_lshlrev_b32_e32 v44, 3, v43
	s_waitcnt lgkmcnt(0)
	ds_read_b128 v[2:5], v44
	ds_read_b128 v[14:17], v44 offset:16
	ds_read_b128 v[10:13], v44 offset:32
	;; [unrolled: 1-line block ×4, first 2 shown]
	s_cmp_lg_u32 s6, 0
	v_mbcnt_lo_u32_b32 v1, -1, 0
	s_waitcnt lgkmcnt(0)
	s_barrier
	s_cbranch_scc0 .LBB1790_81
; %bb.25:
	v_cmp_lt_f64_e32 vcc, v[2:3], v[4:5]
	v_cndmask_b32_e32 v23, v3, v5, vcc
	v_cndmask_b32_e32 v22, v2, v4, vcc
	v_cmp_lt_f64_e32 vcc, v[22:23], v[14:15]
	v_cndmask_b32_e32 v23, v23, v15, vcc
	v_cndmask_b32_e32 v22, v22, v14, vcc
	;; [unrolled: 3-line block ×8, first 2 shown]
	v_cmp_lt_f64_e32 vcc, v[22:23], v[20:21]
	v_mbcnt_hi_u32_b32 v33, -1, v1
	v_cndmask_b32_e32 v23, v23, v21, vcc
	v_cndmask_b32_e32 v22, v22, v20, vcc
	v_and_b32_e32 v26, 15, v33
	v_mov_b32_dpp v25, v23 row_shr:1 row_mask:0xf bank_mask:0xf
	v_mov_b32_dpp v24, v22 row_shr:1 row_mask:0xf bank_mask:0xf
	v_cmp_ne_u32_e32 vcc, 0, v26
	s_and_saveexec_b64 s[0:1], vcc
; %bb.26:
	v_cmp_gt_f64_e32 vcc, v[22:23], v[24:25]
	v_cndmask_b32_e32 v23, v25, v23, vcc
	v_cndmask_b32_e32 v22, v24, v22, vcc
; %bb.27:
	s_or_b64 exec, exec, s[0:1]
	s_nop 0
	v_mov_b32_dpp v24, v22 row_shr:2 row_mask:0xf bank_mask:0xf
	v_mov_b32_dpp v25, v23 row_shr:2 row_mask:0xf bank_mask:0xf
	v_cmp_lt_u32_e32 vcc, 1, v26
	s_and_saveexec_b64 s[0:1], vcc
; %bb.28:
	v_cmp_gt_f64_e32 vcc, v[22:23], v[24:25]
	v_cndmask_b32_e32 v23, v25, v23, vcc
	v_cndmask_b32_e32 v22, v24, v22, vcc
; %bb.29:
	s_or_b64 exec, exec, s[0:1]
	s_nop 0
	v_mov_b32_dpp v24, v22 row_shr:4 row_mask:0xf bank_mask:0xf
	v_mov_b32_dpp v25, v23 row_shr:4 row_mask:0xf bank_mask:0xf
	v_cmp_lt_u32_e32 vcc, 3, v26
	;; [unrolled: 11-line block ×3, first 2 shown]
	s_and_saveexec_b64 s[0:1], vcc
; %bb.32:
	v_cmp_gt_f64_e32 vcc, v[22:23], v[24:25]
	v_cndmask_b32_e32 v23, v25, v23, vcc
	v_cndmask_b32_e32 v22, v24, v22, vcc
; %bb.33:
	s_or_b64 exec, exec, s[0:1]
	v_and_b32_e32 v26, 16, v33
	v_mov_b32_dpp v24, v22 row_bcast:15 row_mask:0xf bank_mask:0xf
	v_mov_b32_dpp v25, v23 row_bcast:15 row_mask:0xf bank_mask:0xf
	v_cmp_ne_u32_e32 vcc, 0, v26
	s_and_saveexec_b64 s[0:1], vcc
; %bb.34:
	v_cmp_gt_f64_e32 vcc, v[22:23], v[24:25]
	v_cndmask_b32_e32 v23, v25, v23, vcc
	v_cndmask_b32_e32 v22, v24, v22, vcc
; %bb.35:
	s_or_b64 exec, exec, s[0:1]
	s_nop 0
	v_mov_b32_dpp v24, v22 row_bcast:31 row_mask:0xf bank_mask:0xf
	v_mov_b32_dpp v25, v23 row_bcast:31 row_mask:0xf bank_mask:0xf
	v_cmp_gt_f64_e32 vcc, v[22:23], v[24:25]
	v_cndmask_b32_e32 v24, v24, v22, vcc
	v_cndmask_b32_e32 v25, v25, v23, vcc
	v_cmp_lt_u32_e32 vcc, 31, v33
	v_cndmask_b32_e32 v23, v23, v25, vcc
	v_or_b32_e32 v25, 63, v0
	v_cndmask_b32_e32 v22, v22, v24, vcc
	v_lshrrev_b32_e32 v24, 6, v0
	v_cmp_eq_u32_e32 vcc, v25, v0
	s_and_saveexec_b64 s[0:1], vcc
	s_cbranch_execz .LBB1790_37
; %bb.36:
	v_lshlrev_b32_e32 v25, 3, v24
	ds_write_b64 v25, v[22:23]
.LBB1790_37:
	s_or_b64 exec, exec, s[0:1]
	v_cmp_gt_u32_e32 vcc, 2, v0
	s_waitcnt lgkmcnt(0)
	s_barrier
	s_and_saveexec_b64 s[2:3], vcc
	s_cbranch_execz .LBB1790_39
; %bb.38:
	ds_read_b64 v[26:27], v42
	v_and_b32_e32 v25, 1, v33
	v_cmp_eq_u32_e32 vcc, 0, v25
	s_waitcnt lgkmcnt(0)
	v_mov_b32_dpp v30, v27 row_shr:1 row_mask:0xf bank_mask:0xf
	v_mov_b32_dpp v28, v26 row_shr:1 row_mask:0xf bank_mask:0xf
	v_mov_b32_e32 v29, v30
	v_cmp_gt_f64_e64 s[0:1], v[26:27], v[28:29]
	s_or_b64 vcc, vcc, s[0:1]
	v_cndmask_b32_e32 v27, v30, v27, vcc
	v_cndmask_b32_e32 v26, v28, v26, vcc
	ds_write_b64 v42, v[26:27]
.LBB1790_39:
	s_or_b64 exec, exec, s[2:3]
	v_cmp_gt_u32_e32 vcc, 64, v0
	v_cmp_lt_u32_e64 s[0:1], 63, v0
	s_waitcnt lgkmcnt(0)
	s_barrier
	s_waitcnt lgkmcnt(0)
                                        ; implicit-def: $vgpr30_vgpr31
	s_and_saveexec_b64 s[2:3], s[0:1]
	s_cbranch_execz .LBB1790_41
; %bb.40:
	v_lshl_add_u32 v24, v24, 3, -8
	ds_read_b64 v[30:31], v24
	s_waitcnt lgkmcnt(0)
	v_cmp_lt_f64_e64 s[0:1], v[30:31], v[22:23]
	v_cndmask_b32_e64 v23, v31, v23, s[0:1]
	v_cndmask_b32_e64 v22, v30, v22, s[0:1]
.LBB1790_41:
	s_or_b64 exec, exec, s[2:3]
	v_add_u32_e32 v24, -1, v33
	v_and_b32_e32 v25, 64, v33
	v_cmp_lt_i32_e64 s[0:1], v24, v25
	v_cndmask_b32_e64 v24, v24, v33, s[0:1]
	v_lshlrev_b32_e32 v24, 2, v24
	ds_bpermute_b32 v38, v24, v22
	ds_bpermute_b32 v39, v24, v23
	v_cmp_eq_u32_e64 s[0:1], 0, v33
	s_and_saveexec_b64 s[8:9], vcc
	s_cbranch_execz .LBB1790_80
; %bb.42:
	v_mov_b32_e32 v25, 0
	ds_read_b64 v[22:23], v25 offset:8
	s_and_saveexec_b64 s[2:3], s[0:1]
	s_cbranch_execz .LBB1790_44
; %bb.43:
	s_add_i32 s10, s6, 64
	s_mov_b32 s11, 0
	s_lshl_b64 s[10:11], s[10:11], 4
	s_add_u32 s10, s20, s10
	s_addc_u32 s11, s21, s11
	v_mov_b32_e32 v24, 1
	v_pk_mov_b32 v[26:27], s[10:11], s[10:11] op_sel:[0,1]
	s_waitcnt lgkmcnt(0)
	;;#ASMSTART
	global_store_dwordx4 v[26:27], v[22:25] off	
s_waitcnt vmcnt(0)
	;;#ASMEND
.LBB1790_44:
	s_or_b64 exec, exec, s[2:3]
	v_xad_u32 v32, v33, -1, s6
	v_add_u32_e32 v24, 64, v32
	v_lshlrev_b64 v[26:27], 4, v[24:25]
	v_mov_b32_e32 v24, s21
	v_add_co_u32_e32 v34, vcc, s20, v26
	v_addc_co_u32_e32 v35, vcc, v24, v27, vcc
	;;#ASMSTART
	global_load_dwordx4 v[26:29], v[34:35] off glc	
s_waitcnt vmcnt(0)
	;;#ASMEND
	v_and_b32_e32 v24, 0xff, v27
	v_and_b32_e32 v29, 0xff00, v27
	v_or3_b32 v24, 0, v24, v29
	v_or3_b32 v26, v26, 0, 0
	v_and_b32_e32 v29, 0xff000000, v27
	v_and_b32_e32 v27, 0xff0000, v27
	v_or3_b32 v27, v24, v27, v29
	v_or3_b32 v26, v26, 0, 0
	v_cmp_eq_u16_sdwa s[10:11], v28, v25 src0_sel:BYTE_0 src1_sel:DWORD
	s_and_saveexec_b64 s[2:3], s[10:11]
	s_cbranch_execz .LBB1790_48
; %bb.45:
	s_mov_b64 s[10:11], 0
	v_mov_b32_e32 v24, 0
.LBB1790_46:                            ; =>This Inner Loop Header: Depth=1
	;;#ASMSTART
	global_load_dwordx4 v[26:29], v[34:35] off glc	
s_waitcnt vmcnt(0)
	;;#ASMEND
	v_cmp_ne_u16_sdwa s[24:25], v28, v24 src0_sel:BYTE_0 src1_sel:DWORD
	s_or_b64 s[10:11], s[24:25], s[10:11]
	s_andn2_b64 exec, exec, s[10:11]
	s_cbranch_execnz .LBB1790_46
; %bb.47:
	s_or_b64 exec, exec, s[10:11]
.LBB1790_48:
	s_or_b64 exec, exec, s[2:3]
	v_and_b32_e32 v40, 63, v33
	v_mov_b32_e32 v24, 2
	v_cmp_ne_u32_e32 vcc, 63, v40
	v_cmp_eq_u16_sdwa s[2:3], v28, v24 src0_sel:BYTE_0 src1_sel:DWORD
	v_lshlrev_b64 v[24:25], v33, -1
	v_addc_co_u32_e32 v34, vcc, 0, v33, vcc
	v_and_b32_e32 v29, s3, v25
	v_lshlrev_b32_e32 v41, 2, v34
	v_or_b32_e32 v29, 0x80000000, v29
	ds_bpermute_b32 v34, v41, v26
	ds_bpermute_b32 v35, v41, v27
	v_and_b32_e32 v36, s2, v24
	v_ffbl_b32_e32 v29, v29
	v_add_u32_e32 v29, 32, v29
	v_ffbl_b32_e32 v36, v36
	v_min_u32_e32 v29, v36, v29
	v_cmp_lt_u32_e32 vcc, v40, v29
	s_and_saveexec_b64 s[2:3], vcc
	s_cbranch_execz .LBB1790_50
; %bb.49:
	s_waitcnt lgkmcnt(0)
	v_cmp_lt_f64_e32 vcc, v[34:35], v[26:27]
	v_cndmask_b32_e32 v27, v35, v27, vcc
	v_cndmask_b32_e32 v26, v34, v26, vcc
.LBB1790_50:
	s_or_b64 exec, exec, s[2:3]
	v_cmp_gt_u32_e32 vcc, 62, v40
	s_waitcnt lgkmcnt(1)
	v_cndmask_b32_e64 v34, 0, 1, vcc
	v_lshlrev_b32_e32 v34, 1, v34
	v_add_lshl_u32 v45, v34, v33, 2
	ds_bpermute_b32 v34, v45, v26
	s_waitcnt lgkmcnt(1)
	ds_bpermute_b32 v35, v45, v27
	v_add_u32_e32 v46, 2, v40
	v_cmp_le_u32_e32 vcc, v46, v29
	s_and_saveexec_b64 s[2:3], vcc
	s_cbranch_execz .LBB1790_52
; %bb.51:
	s_waitcnt lgkmcnt(0)
	v_cmp_gt_f64_e32 vcc, v[26:27], v[34:35]
	v_cndmask_b32_e32 v27, v35, v27, vcc
	v_cndmask_b32_e32 v26, v34, v26, vcc
.LBB1790_52:
	s_or_b64 exec, exec, s[2:3]
	v_cmp_gt_u32_e32 vcc, 60, v40
	s_waitcnt lgkmcnt(1)
	v_cndmask_b32_e64 v34, 0, 1, vcc
	v_lshlrev_b32_e32 v34, 2, v34
	v_add_lshl_u32 v47, v34, v33, 2
	ds_bpermute_b32 v34, v47, v26
	s_waitcnt lgkmcnt(1)
	ds_bpermute_b32 v35, v47, v27
	v_add_u32_e32 v48, 4, v40
	v_cmp_le_u32_e32 vcc, v48, v29
	s_and_saveexec_b64 s[2:3], vcc
	s_cbranch_execz .LBB1790_54
; %bb.53:
	s_waitcnt lgkmcnt(0)
	v_cmp_gt_f64_e32 vcc, v[26:27], v[34:35]
	v_cndmask_b32_e32 v27, v35, v27, vcc
	v_cndmask_b32_e32 v26, v34, v26, vcc
.LBB1790_54:
	;; [unrolled: 19-line block ×4, first 2 shown]
	s_or_b64 exec, exec, s[2:3]
	v_cmp_gt_u32_e32 vcc, 32, v40
	s_waitcnt lgkmcnt(1)
	v_cndmask_b32_e64 v34, 0, 1, vcc
	v_lshlrev_b32_e32 v34, 5, v34
	v_add_lshl_u32 v53, v34, v33, 2
	ds_bpermute_b32 v34, v53, v27
	ds_bpermute_b32 v36, v53, v26
	v_add_u32_e32 v54, 32, v40
	v_cmp_gt_u32_e32 vcc, v54, v29
	v_mov_b32_e32 v33, 0
	s_waitcnt lgkmcnt(1)
	v_mov_b32_e32 v37, v34
	s_waitcnt lgkmcnt(0)
	v_cmp_gt_f64_e64 s[2:3], v[26:27], v[36:37]
	s_or_b64 vcc, vcc, s[2:3]
	v_cndmask_b32_e32 v27, v34, v27, vcc
	v_cndmask_b32_e32 v26, v36, v26, vcc
	v_mov_b32_e32 v55, 2
	s_branch .LBB1790_60
.LBB1790_59:                            ;   in Loop: Header=BB1790_60 Depth=1
	s_or_b64 exec, exec, s[2:3]
	s_waitcnt lgkmcnt(1)
	ds_bpermute_b32 v36, v53, v27
	ds_bpermute_b32 v56, v53, v26
	v_cmp_gt_u32_e32 vcc, v54, v29
	v_subrev_u32_e32 v32, 64, v32
	s_waitcnt lgkmcnt(1)
	v_mov_b32_e32 v57, v36
	s_waitcnt lgkmcnt(0)
	v_cmp_gt_f64_e64 s[2:3], v[26:27], v[56:57]
	s_or_b64 vcc, vcc, s[2:3]
	v_cndmask_b32_e32 v27, v36, v27, vcc
	v_cndmask_b32_e32 v26, v56, v26, vcc
	v_cmp_lt_f64_e32 vcc, v[26:27], v[34:35]
	v_cndmask_b32_e32 v27, v27, v35, vcc
	v_cndmask_b32_e32 v26, v26, v34, vcc
.LBB1790_60:                            ; =>This Loop Header: Depth=1
                                        ;     Child Loop BB1790_63 Depth 2
	v_cmp_ne_u16_sdwa s[2:3], v28, v55 src0_sel:BYTE_0 src1_sel:DWORD
	v_cndmask_b32_e64 v28, 0, 1, s[2:3]
	;;#ASMSTART
	;;#ASMEND
	v_cmp_ne_u32_e32 vcc, 0, v28
	s_cmp_lg_u64 vcc, exec
	v_pk_mov_b32 v[34:35], v[26:27], v[26:27] op_sel:[0,1]
	s_cbranch_scc1 .LBB1790_75
; %bb.61:                               ;   in Loop: Header=BB1790_60 Depth=1
	v_lshlrev_b64 v[26:27], 4, v[32:33]
	v_mov_b32_e32 v28, s21
	v_add_co_u32_e32 v36, vcc, s20, v26
	v_addc_co_u32_e32 v37, vcc, v28, v27, vcc
	;;#ASMSTART
	global_load_dwordx4 v[26:29], v[36:37] off glc	
s_waitcnt vmcnt(0)
	;;#ASMEND
	v_and_b32_e32 v29, 0xff, v27
	v_and_b32_e32 v56, 0xff00, v27
	v_or3_b32 v29, 0, v29, v56
	v_or3_b32 v26, v26, 0, 0
	v_and_b32_e32 v56, 0xff000000, v27
	v_and_b32_e32 v27, 0xff0000, v27
	v_or3_b32 v27, v29, v27, v56
	v_or3_b32 v26, v26, 0, 0
	v_cmp_eq_u16_sdwa s[10:11], v28, v33 src0_sel:BYTE_0 src1_sel:DWORD
	s_and_saveexec_b64 s[2:3], s[10:11]
	s_cbranch_execz .LBB1790_65
; %bb.62:                               ;   in Loop: Header=BB1790_60 Depth=1
	s_mov_b64 s[10:11], 0
.LBB1790_63:                            ;   Parent Loop BB1790_60 Depth=1
                                        ; =>  This Inner Loop Header: Depth=2
	;;#ASMSTART
	global_load_dwordx4 v[26:29], v[36:37] off glc	
s_waitcnt vmcnt(0)
	;;#ASMEND
	v_cmp_ne_u16_sdwa s[24:25], v28, v33 src0_sel:BYTE_0 src1_sel:DWORD
	s_or_b64 s[10:11], s[24:25], s[10:11]
	s_andn2_b64 exec, exec, s[10:11]
	s_cbranch_execnz .LBB1790_63
; %bb.64:                               ;   in Loop: Header=BB1790_60 Depth=1
	s_or_b64 exec, exec, s[10:11]
.LBB1790_65:                            ;   in Loop: Header=BB1790_60 Depth=1
	s_or_b64 exec, exec, s[2:3]
	v_cmp_eq_u16_sdwa s[2:3], v28, v55 src0_sel:BYTE_0 src1_sel:DWORD
	v_and_b32_e32 v29, s3, v25
	v_or_b32_e32 v29, 0x80000000, v29
	ds_bpermute_b32 v36, v41, v26
	ds_bpermute_b32 v37, v41, v27
	v_and_b32_e32 v56, s2, v24
	v_ffbl_b32_e32 v29, v29
	v_add_u32_e32 v29, 32, v29
	v_ffbl_b32_e32 v56, v56
	v_min_u32_e32 v29, v56, v29
	v_cmp_lt_u32_e32 vcc, v40, v29
	s_and_saveexec_b64 s[2:3], vcc
	s_cbranch_execz .LBB1790_67
; %bb.66:                               ;   in Loop: Header=BB1790_60 Depth=1
	s_waitcnt lgkmcnt(0)
	v_cmp_lt_f64_e32 vcc, v[36:37], v[26:27]
	v_cndmask_b32_e32 v27, v37, v27, vcc
	v_cndmask_b32_e32 v26, v36, v26, vcc
.LBB1790_67:                            ;   in Loop: Header=BB1790_60 Depth=1
	s_or_b64 exec, exec, s[2:3]
	s_waitcnt lgkmcnt(1)
	ds_bpermute_b32 v36, v45, v26
	s_waitcnt lgkmcnt(1)
	ds_bpermute_b32 v37, v45, v27
	v_cmp_le_u32_e32 vcc, v46, v29
	s_and_saveexec_b64 s[2:3], vcc
	s_cbranch_execz .LBB1790_69
; %bb.68:                               ;   in Loop: Header=BB1790_60 Depth=1
	s_waitcnt lgkmcnt(0)
	v_cmp_gt_f64_e32 vcc, v[26:27], v[36:37]
	v_cndmask_b32_e32 v27, v37, v27, vcc
	v_cndmask_b32_e32 v26, v36, v26, vcc
.LBB1790_69:                            ;   in Loop: Header=BB1790_60 Depth=1
	s_or_b64 exec, exec, s[2:3]
	s_waitcnt lgkmcnt(1)
	ds_bpermute_b32 v36, v47, v26
	s_waitcnt lgkmcnt(1)
	ds_bpermute_b32 v37, v47, v27
	v_cmp_le_u32_e32 vcc, v48, v29
	s_and_saveexec_b64 s[2:3], vcc
	s_cbranch_execz .LBB1790_71
; %bb.70:                               ;   in Loop: Header=BB1790_60 Depth=1
	s_waitcnt lgkmcnt(0)
	v_cmp_gt_f64_e32 vcc, v[26:27], v[36:37]
	v_cndmask_b32_e32 v27, v37, v27, vcc
	v_cndmask_b32_e32 v26, v36, v26, vcc
.LBB1790_71:                            ;   in Loop: Header=BB1790_60 Depth=1
	;; [unrolled: 14-line block ×3, first 2 shown]
	s_or_b64 exec, exec, s[2:3]
	s_waitcnt lgkmcnt(1)
	ds_bpermute_b32 v36, v51, v26
	s_waitcnt lgkmcnt(1)
	ds_bpermute_b32 v37, v51, v27
	v_cmp_le_u32_e32 vcc, v52, v29
	s_and_saveexec_b64 s[2:3], vcc
	s_cbranch_execz .LBB1790_59
; %bb.74:                               ;   in Loop: Header=BB1790_60 Depth=1
	s_waitcnt lgkmcnt(0)
	v_cmp_gt_f64_e32 vcc, v[26:27], v[36:37]
	v_cndmask_b32_e32 v27, v37, v27, vcc
	v_cndmask_b32_e32 v26, v36, v26, vcc
	s_branch .LBB1790_59
.LBB1790_75:                            ;   in Loop: Header=BB1790_60 Depth=1
                                        ; implicit-def: $vgpr26_vgpr27
                                        ; implicit-def: $vgpr28
	s_cbranch_execz .LBB1790_60
; %bb.76:
	s_and_saveexec_b64 s[2:3], s[0:1]
	s_cbranch_execz .LBB1790_78
; %bb.77:
	s_add_i32 s6, s6, 64
	s_mov_b32 s7, 0
	s_lshl_b64 s[6:7], s[6:7], 4
	s_add_u32 s6, s20, s6
	v_cmp_lt_f64_e32 vcc, v[34:35], v[22:23]
	s_addc_u32 s7, s21, s7
	v_cndmask_b32_e32 v23, v35, v23, vcc
	v_cndmask_b32_e32 v22, v34, v22, vcc
	v_mov_b32_e32 v24, 2
	v_mov_b32_e32 v25, 0
	v_pk_mov_b32 v[26:27], s[6:7], s[6:7] op_sel:[0,1]
	;;#ASMSTART
	global_store_dwordx4 v[26:27], v[22:25] off	
s_waitcnt vmcnt(0)
	;;#ASMEND
.LBB1790_78:
	s_or_b64 exec, exec, s[2:3]
	v_cmp_eq_u32_e32 vcc, 0, v0
	s_and_b64 exec, exec, vcc
	s_cbranch_execz .LBB1790_80
; %bb.79:
	v_mov_b32_e32 v22, 0
	ds_write_b64 v22, v[34:35] offset:8
.LBB1790_80:
	s_or_b64 exec, exec, s[8:9]
	v_mov_b32_e32 v24, 0
	s_waitcnt lgkmcnt(0)
	s_barrier
	ds_read_b64 v[24:25], v24 offset:8
	v_cndmask_b32_e64 v23, v39, v31, s[0:1]
	v_cndmask_b32_e64 v22, v38, v30, s[0:1]
	v_cmp_eq_u32_e32 vcc, 0, v0
	v_cmp_lt_f64_e64 s[0:1], v[22:23], v[2:3]
	s_or_b64 vcc, vcc, s[0:1]
	v_cndmask_b32_e32 v23, v23, v3, vcc
	v_cndmask_b32_e32 v22, v22, v2, vcc
	s_waitcnt lgkmcnt(0)
	v_cmp_lt_f64_e32 vcc, v[24:25], v[22:23]
	v_cndmask_b32_e32 v23, v25, v23, vcc
	v_cndmask_b32_e32 v22, v24, v22, vcc
	v_cmp_lt_f64_e32 vcc, v[22:23], v[4:5]
	v_cndmask_b32_e32 v25, v23, v5, vcc
	v_cndmask_b32_e32 v24, v22, v4, vcc
	;; [unrolled: 3-line block ×10, first 2 shown]
	s_load_dwordx8 s[4:11], s[4:5], 0x40
	s_branch .LBB1790_105
.LBB1790_81:
                                        ; implicit-def: $vgpr40_vgpr41
                                        ; implicit-def: $vgpr36_vgpr37
                                        ; implicit-def: $vgpr32_vgpr33
                                        ; implicit-def: $vgpr28_vgpr29
                                        ; implicit-def: $vgpr24_vgpr25
	s_load_dwordx8 s[4:11], s[4:5], 0x40
	s_cbranch_execz .LBB1790_105
; %bb.82:
	s_waitcnt lgkmcnt(0)
	s_cmp_lg_u64 s[8:9], 0
	s_cselect_b64 s[2:3], -1, 0
	v_cmp_eq_u32_e64 s[0:1], 0, v0
	v_cmp_ne_u32_e32 vcc, 0, v0
	s_and_b64 s[0:1], s[0:1], s[2:3]
	s_and_saveexec_b64 s[2:3], s[0:1]
	s_cbranch_execz .LBB1790_84
; %bb.83:
	v_mov_b32_e32 v22, 0
	global_load_dwordx2 v[22:23], v22, s[4:5]
	s_waitcnt vmcnt(0)
	v_cmp_lt_f64_e64 s[0:1], v[22:23], v[2:3]
	v_cndmask_b32_e64 v3, v23, v3, s[0:1]
	v_cndmask_b32_e64 v2, v22, v2, s[0:1]
.LBB1790_84:
	s_or_b64 exec, exec, s[2:3]
	v_cmp_lt_f64_e64 s[0:1], v[2:3], v[4:5]
	v_cndmask_b32_e64 v23, v3, v5, s[0:1]
	v_cndmask_b32_e64 v22, v2, v4, s[0:1]
	v_cmp_lt_f64_e64 s[0:1], v[22:23], v[14:15]
	v_cndmask_b32_e64 v23, v23, v15, s[0:1]
	v_cndmask_b32_e64 v22, v22, v14, s[0:1]
	;; [unrolled: 3-line block ×8, first 2 shown]
	v_cmp_lt_f64_e64 s[0:1], v[22:23], v[20:21]
	v_mbcnt_hi_u32_b32 v1, -1, v1
	v_cndmask_b32_e64 v23, v23, v21, s[0:1]
	v_cndmask_b32_e64 v22, v22, v20, s[0:1]
	v_and_b32_e32 v26, 15, v1
	v_mov_b32_dpp v25, v23 row_shr:1 row_mask:0xf bank_mask:0xf
	v_mov_b32_dpp v24, v22 row_shr:1 row_mask:0xf bank_mask:0xf
	v_cmp_ne_u32_e64 s[0:1], 0, v26
	s_and_saveexec_b64 s[2:3], s[0:1]
; %bb.85:
	v_cmp_gt_f64_e64 s[0:1], v[22:23], v[24:25]
	v_cndmask_b32_e64 v23, v25, v23, s[0:1]
	v_cndmask_b32_e64 v22, v24, v22, s[0:1]
; %bb.86:
	s_or_b64 exec, exec, s[2:3]
	s_nop 0
	v_mov_b32_dpp v24, v22 row_shr:2 row_mask:0xf bank_mask:0xf
	v_mov_b32_dpp v25, v23 row_shr:2 row_mask:0xf bank_mask:0xf
	v_cmp_lt_u32_e64 s[0:1], 1, v26
	s_and_saveexec_b64 s[2:3], s[0:1]
; %bb.87:
	v_cmp_gt_f64_e64 s[0:1], v[22:23], v[24:25]
	v_cndmask_b32_e64 v23, v25, v23, s[0:1]
	v_cndmask_b32_e64 v22, v24, v22, s[0:1]
; %bb.88:
	s_or_b64 exec, exec, s[2:3]
	s_nop 0
	v_mov_b32_dpp v24, v22 row_shr:4 row_mask:0xf bank_mask:0xf
	v_mov_b32_dpp v25, v23 row_shr:4 row_mask:0xf bank_mask:0xf
	v_cmp_lt_u32_e64 s[0:1], 3, v26
	;; [unrolled: 11-line block ×3, first 2 shown]
	s_and_saveexec_b64 s[2:3], s[0:1]
; %bb.91:
	v_cmp_gt_f64_e64 s[0:1], v[22:23], v[24:25]
	v_cndmask_b32_e64 v23, v25, v23, s[0:1]
	v_cndmask_b32_e64 v22, v24, v22, s[0:1]
; %bb.92:
	s_or_b64 exec, exec, s[2:3]
	v_and_b32_e32 v26, 16, v1
	v_mov_b32_dpp v24, v22 row_bcast:15 row_mask:0xf bank_mask:0xf
	v_mov_b32_dpp v25, v23 row_bcast:15 row_mask:0xf bank_mask:0xf
	v_cmp_ne_u32_e64 s[0:1], 0, v26
	s_and_saveexec_b64 s[2:3], s[0:1]
; %bb.93:
	v_cmp_gt_f64_e64 s[0:1], v[22:23], v[24:25]
	v_cndmask_b32_e64 v23, v25, v23, s[0:1]
	v_cndmask_b32_e64 v22, v24, v22, s[0:1]
; %bb.94:
	s_or_b64 exec, exec, s[2:3]
	s_nop 0
	v_mov_b32_dpp v24, v22 row_bcast:31 row_mask:0xf bank_mask:0xf
	v_mov_b32_dpp v25, v23 row_bcast:31 row_mask:0xf bank_mask:0xf
	v_cmp_gt_f64_e64 s[0:1], v[22:23], v[24:25]
	v_cndmask_b32_e64 v24, v24, v22, s[0:1]
	v_cndmask_b32_e64 v25, v25, v23, s[0:1]
	v_cmp_lt_u32_e64 s[0:1], 31, v1
	v_cndmask_b32_e64 v22, v22, v24, s[0:1]
	v_or_b32_e32 v24, 63, v0
	v_cndmask_b32_e64 v23, v23, v25, s[0:1]
	v_lshrrev_b32_e32 v26, 6, v0
	v_cmp_eq_u32_e64 s[0:1], v24, v0
	s_and_saveexec_b64 s[2:3], s[0:1]
	s_cbranch_execz .LBB1790_96
; %bb.95:
	v_lshlrev_b32_e32 v24, 3, v26
	ds_write_b64 v24, v[22:23]
.LBB1790_96:
	s_or_b64 exec, exec, s[2:3]
	v_cmp_gt_u32_e64 s[0:1], 2, v0
	s_waitcnt lgkmcnt(0)
	s_barrier
	s_and_saveexec_b64 s[4:5], s[0:1]
	s_cbranch_execz .LBB1790_98
; %bb.97:
	s_movk_i32 s0, 0xffb8
	v_mad_i32_i24 v27, v0, s0, v44
	ds_read_b64 v[24:25], v27
	v_and_b32_e32 v28, 1, v1
	v_cmp_eq_u32_e64 s[0:1], 0, v28
	s_waitcnt lgkmcnt(0)
	v_mov_b32_dpp v30, v25 row_shr:1 row_mask:0xf bank_mask:0xf
	v_mov_b32_dpp v28, v24 row_shr:1 row_mask:0xf bank_mask:0xf
	v_mov_b32_e32 v29, v30
	v_cmp_gt_f64_e64 s[2:3], v[24:25], v[28:29]
	s_or_b64 s[0:1], s[0:1], s[2:3]
	v_cndmask_b32_e64 v25, v30, v25, s[0:1]
	v_cndmask_b32_e64 v24, v28, v24, s[0:1]
	ds_write_b64 v27, v[24:25]
.LBB1790_98:
	s_or_b64 exec, exec, s[4:5]
	v_cmp_lt_u32_e64 s[0:1], 63, v0
	s_waitcnt lgkmcnt(0)
	s_barrier
	s_waitcnt lgkmcnt(0)
                                        ; implicit-def: $vgpr24_vgpr25
	s_and_saveexec_b64 s[2:3], s[0:1]
	s_cbranch_execz .LBB1790_100
; %bb.99:
	v_lshl_add_u32 v24, v26, 3, -8
	ds_read_b64 v[24:25], v24
	s_waitcnt lgkmcnt(0)
	v_cmp_lt_f64_e64 s[0:1], v[24:25], v[22:23]
	v_cndmask_b32_e64 v23, v25, v23, s[0:1]
	v_cndmask_b32_e64 v22, v24, v22, s[0:1]
.LBB1790_100:
	s_or_b64 exec, exec, s[2:3]
	v_add_u32_e32 v26, -1, v1
	v_and_b32_e32 v27, 64, v1
	v_cmp_lt_i32_e64 s[0:1], v26, v27
	v_cndmask_b32_e64 v26, v26, v1, s[0:1]
	v_lshlrev_b32_e32 v26, 2, v26
	ds_bpermute_b32 v22, v26, v22
	ds_bpermute_b32 v23, v26, v23
	s_and_saveexec_b64 s[0:1], vcc
	s_cbranch_execz .LBB1790_102
; %bb.101:
	v_cmp_eq_u32_e32 vcc, 0, v1
	s_waitcnt lgkmcnt(0)
	v_cndmask_b32_e32 v23, v23, v25, vcc
	v_cndmask_b32_e32 v22, v22, v24, vcc
	v_cmp_gt_f64_e32 vcc, v[2:3], v[22:23]
	v_cndmask_b32_e32 v3, v23, v3, vcc
	v_cndmask_b32_e32 v2, v22, v2, vcc
	;;#ASMSTART
	;;#ASMEND
.LBB1790_102:
	s_or_b64 exec, exec, s[0:1]
	v_cmp_gt_f64_e32 vcc, v[4:5], v[2:3]
	v_cndmask_b32_e32 v25, v3, v5, vcc
	v_cndmask_b32_e32 v24, v2, v4, vcc
	v_cmp_lt_f64_e32 vcc, v[24:25], v[14:15]
	v_cndmask_b32_e32 v27, v25, v15, vcc
	v_cndmask_b32_e32 v26, v24, v14, vcc
	v_cmp_lt_f64_e32 vcc, v[26:27], v[16:17]
	v_cndmask_b32_e32 v29, v27, v17, vcc
	v_cndmask_b32_e32 v28, v26, v16, vcc
	v_cmp_lt_f64_e32 vcc, v[28:29], v[10:11]
	v_cndmask_b32_e32 v31, v29, v11, vcc
	v_cndmask_b32_e32 v30, v28, v10, vcc
	v_cmp_lt_f64_e32 vcc, v[30:31], v[12:13]
	v_cndmask_b32_e32 v33, v31, v13, vcc
	v_cndmask_b32_e32 v32, v30, v12, vcc
	v_cmp_lt_f64_e32 vcc, v[32:33], v[6:7]
	v_cndmask_b32_e32 v35, v33, v7, vcc
	v_cndmask_b32_e32 v34, v32, v6, vcc
	v_cmp_lt_f64_e32 vcc, v[34:35], v[8:9]
	v_cndmask_b32_e32 v37, v35, v9, vcc
	v_cndmask_b32_e32 v36, v34, v8, vcc
	v_cmp_lt_f64_e32 vcc, v[36:37], v[18:19]
	v_cndmask_b32_e32 v39, v37, v19, vcc
	v_cndmask_b32_e32 v38, v36, v18, vcc
	v_cmp_lt_f64_e32 vcc, v[38:39], v[20:21]
	s_movk_i32 s0, 0x7f
	v_cndmask_b32_e32 v41, v39, v21, vcc
	v_cndmask_b32_e32 v40, v38, v20, vcc
	v_cmp_eq_u32_e32 vcc, s0, v0
	s_and_saveexec_b64 s[0:1], vcc
	s_cbranch_execz .LBB1790_104
; %bb.103:
	s_add_u32 s2, s20, 0x400
	s_addc_u32 s3, s21, 0
	v_mov_b32_e32 v6, 2
	v_mov_b32_e32 v7, 0
	;; [unrolled: 1-line block ×4, first 2 shown]
	v_pk_mov_b32 v[8:9], s[2:3], s[2:3] op_sel:[0,1]
	;;#ASMSTART
	global_store_dwordx4 v[8:9], v[4:7] off	
s_waitcnt vmcnt(0)
	;;#ASMEND
.LBB1790_104:
	s_or_b64 exec, exec, s[0:1]
	s_waitcnt lgkmcnt(0)
	v_pk_mov_b32 v[22:23], v[2:3], v[2:3] op_sel:[0,1]
.LBB1790_105:
	s_add_u32 s0, s12, s16
	s_addc_u32 s1, s13, s17
	s_add_u32 s2, s0, s18
	s_addc_u32 s3, s1, s19
	s_mov_b64 s[0:1], -1
	s_and_b64 vcc, exec, s[14:15]
	s_waitcnt lgkmcnt(0)
	s_barrier
	s_cbranch_vccz .LBB1790_107
; %bb.106:
	ds_write_b128 v44, v[22:25]
	ds_write_b128 v44, v[26:29] offset:16
	ds_write_b128 v44, v[30:33] offset:32
	;; [unrolled: 1-line block ×4, first 2 shown]
	s_waitcnt lgkmcnt(0)
	s_barrier
	ds_read2st64_b64 v[2:5], v42 offset1:2
	ds_read2st64_b64 v[6:9], v42 offset0:4 offset1:6
	ds_read2st64_b64 v[10:13], v42 offset0:8 offset1:10
	;; [unrolled: 1-line block ×4, first 2 shown]
	v_mov_b32_e32 v1, s3
	v_add_co_u32_e32 v46, vcc, s2, v42
	v_addc_co_u32_e32 v47, vcc, 0, v1, vcc
	s_movk_i32 s0, 0x1000
	s_waitcnt lgkmcnt(4)
	flat_store_dwordx2 v[46:47], v[2:3]
	flat_store_dwordx2 v[46:47], v[4:5] offset:1024
	s_waitcnt lgkmcnt(0)
	flat_store_dwordx2 v[46:47], v[6:7] offset:2048
	flat_store_dwordx2 v[46:47], v[8:9] offset:3072
	v_add_co_u32_e32 v2, vcc, s0, v46
	v_addc_co_u32_e32 v3, vcc, 0, v47, vcc
	flat_store_dwordx2 v[2:3], v[10:11]
	flat_store_dwordx2 v[2:3], v[12:13] offset:1024
	flat_store_dwordx2 v[2:3], v[14:15] offset:2048
	;; [unrolled: 1-line block ×3, first 2 shown]
	v_add_co_u32_e32 v2, vcc, 0x2000, v46
	v_addc_co_u32_e32 v3, vcc, 0, v47, vcc
	flat_store_dwordx2 v[2:3], v[18:19]
	flat_store_dwordx2 v[2:3], v[20:21] offset:1024
	s_mov_b64 s[0:1], 0
.LBB1790_107:
	s_andn2_b64 vcc, exec, s[0:1]
	s_cbranch_vccnz .LBB1790_163
; %bb.108:
	s_movk_i32 s0, 0xffb8
	v_mad_i32_i24 v18, v0, s0, v44
	ds_write_b128 v44, v[22:25]
	ds_write_b128 v44, v[26:29] offset:16
	ds_write_b128 v44, v[30:33] offset:32
	ds_write_b128 v44, v[34:37] offset:48
	ds_write_b128 v44, v[38:41] offset:64
	s_waitcnt lgkmcnt(0)
	s_barrier
	ds_read2st64_b64 v[2:5], v18 offset1:2
	ds_read2st64_b64 v[10:13], v18 offset0:4 offset1:6
	ds_read2st64_b64 v[6:9], v18 offset0:8 offset1:10
	;; [unrolled: 1-line block ×4, first 2 shown]
	v_mov_b32_e32 v23, s3
	v_add_co_u32_e32 v22, vcc, s2, v42
	v_addc_co_u32_e32 v23, vcc, 0, v23, vcc
	v_mov_b32_e32 v1, 0
	v_cmp_gt_u32_e32 vcc, s22, v0
	s_and_saveexec_b64 s[0:1], vcc
	s_cbranch_execz .LBB1790_110
; %bb.109:
	s_waitcnt lgkmcnt(0)
	flat_store_dwordx2 v[22:23], v[2:3]
.LBB1790_110:
	s_or_b64 exec, exec, s[0:1]
	v_or_b32_e32 v24, 0x80, v0
	v_cmp_gt_u32_e32 vcc, s22, v24
	s_and_saveexec_b64 s[0:1], vcc
	s_cbranch_execz .LBB1790_112
; %bb.111:
	s_waitcnt lgkmcnt(0)
	flat_store_dwordx2 v[22:23], v[4:5] offset:1024
.LBB1790_112:
	s_or_b64 exec, exec, s[0:1]
	v_or_b32_e32 v24, 0x100, v0
	v_cmp_gt_u32_e32 vcc, s22, v24
	s_and_saveexec_b64 s[0:1], vcc
	s_cbranch_execz .LBB1790_114
; %bb.113:
	s_waitcnt lgkmcnt(0)
	flat_store_dwordx2 v[22:23], v[10:11] offset:2048
.LBB1790_114:
	;; [unrolled: 9-line block ×3, first 2 shown]
	s_or_b64 exec, exec, s[0:1]
	v_or_b32_e32 v24, 0x200, v0
	v_cmp_gt_u32_e32 vcc, s22, v24
	s_and_saveexec_b64 s[0:1], vcc
	s_cbranch_execz .LBB1790_118
; %bb.117:
	v_add_co_u32_e32 v24, vcc, 0x1000, v22
	v_addc_co_u32_e32 v25, vcc, 0, v23, vcc
	s_waitcnt lgkmcnt(0)
	flat_store_dwordx2 v[24:25], v[6:7]
.LBB1790_118:
	s_or_b64 exec, exec, s[0:1]
	v_or_b32_e32 v24, 0x280, v0
	v_cmp_gt_u32_e32 vcc, s22, v24
	s_and_saveexec_b64 s[0:1], vcc
	s_cbranch_execz .LBB1790_120
; %bb.119:
	v_add_co_u32_e32 v24, vcc, 0x1000, v22
	v_addc_co_u32_e32 v25, vcc, 0, v23, vcc
	s_waitcnt lgkmcnt(0)
	flat_store_dwordx2 v[24:25], v[8:9] offset:1024
.LBB1790_120:
	s_or_b64 exec, exec, s[0:1]
	v_or_b32_e32 v24, 0x300, v0
	v_cmp_gt_u32_e32 vcc, s22, v24
	s_and_saveexec_b64 s[0:1], vcc
	s_cbranch_execz .LBB1790_122
; %bb.121:
	v_add_co_u32_e32 v24, vcc, 0x1000, v22
	v_addc_co_u32_e32 v25, vcc, 0, v23, vcc
	s_waitcnt lgkmcnt(0)
	flat_store_dwordx2 v[24:25], v[14:15] offset:2048
.LBB1790_122:
	s_or_b64 exec, exec, s[0:1]
	v_or_b32_e32 v24, 0x380, v0
	v_cmp_gt_u32_e32 vcc, s22, v24
	s_and_saveexec_b64 s[0:1], vcc
	s_cbranch_execz .LBB1790_124
; %bb.123:
	v_add_co_u32_e32 v24, vcc, 0x1000, v22
	v_addc_co_u32_e32 v25, vcc, 0, v23, vcc
	s_waitcnt lgkmcnt(0)
	flat_store_dwordx2 v[24:25], v[16:17] offset:3072
.LBB1790_124:
	s_or_b64 exec, exec, s[0:1]
	v_or_b32_e32 v24, 0x400, v0
	v_cmp_gt_u32_e32 vcc, s22, v24
	s_and_saveexec_b64 s[0:1], vcc
	s_cbranch_execz .LBB1790_126
; %bb.125:
	v_add_co_u32_e32 v24, vcc, 0x2000, v22
	v_addc_co_u32_e32 v25, vcc, 0, v23, vcc
	s_waitcnt lgkmcnt(0)
	flat_store_dwordx2 v[24:25], v[18:19]
.LBB1790_126:
	s_or_b64 exec, exec, s[0:1]
	v_or_b32_e32 v24, 0x480, v0
	v_cmp_gt_u32_e32 vcc, s22, v24
	s_and_saveexec_b64 s[0:1], vcc
	s_cbranch_execz .LBB1790_128
; %bb.127:
	v_add_co_u32_e32 v22, vcc, 0x2000, v22
	v_addc_co_u32_e32 v23, vcc, 0, v23, vcc
	s_waitcnt lgkmcnt(0)
	flat_store_dwordx2 v[22:23], v[20:21] offset:1024
.LBB1790_128:
	s_or_b64 exec, exec, s[0:1]
	v_cmp_lt_u64_e64 s[0:1], s[10:11], 2
	s_and_b64 vcc, exec, s[0:1]
	s_cbranch_vccnz .LBB1790_163
; %bb.129:
	s_add_u32 s0, s22, -1
	s_addc_u32 s1, s23, -1
	s_add_u32 s2, 0, 0x99986000
	s_addc_u32 s3, 0, 0x59
	s_add_i32 s3, s3, 0x19999940
	s_mul_hi_u32 s9, s2, -10
	s_sub_i32 s9, s9, s2
	s_mul_i32 s10, s3, -10
	s_mul_i32 s4, s2, -10
	s_add_i32 s9, s9, s10
	s_mul_hi_u32 s5, s3, s4
	s_mul_i32 s8, s3, s4
	s_mul_i32 s11, s2, s9
	s_mul_hi_u32 s4, s2, s4
	s_mul_hi_u32 s10, s2, s9
	s_add_u32 s4, s4, s11
	s_addc_u32 s10, 0, s10
	s_add_u32 s4, s4, s8
	s_mul_hi_u32 s11, s3, s9
	s_addc_u32 s4, s10, s5
	s_addc_u32 s5, s11, 0
	s_mul_i32 s8, s3, s9
	s_add_u32 s4, s4, s8
	v_mov_b32_e32 v22, s4
	s_addc_u32 s5, 0, s5
	v_add_co_u32_e32 v22, vcc, s2, v22
	s_cmp_lg_u64 vcc, 0
	s_addc_u32 s2, s3, s5
	v_readfirstlane_b32 s5, v22
	s_mul_i32 s4, s0, s2
	s_mul_hi_u32 s8, s0, s5
	s_mul_hi_u32 s3, s0, s2
	s_add_u32 s4, s8, s4
	s_addc_u32 s3, 0, s3
	s_mul_hi_u32 s9, s1, s5
	s_mul_i32 s5, s1, s5
	s_add_u32 s4, s4, s5
	s_mul_hi_u32 s8, s1, s2
	s_addc_u32 s3, s3, s9
	s_addc_u32 s4, s8, 0
	s_mul_i32 s2, s1, s2
	s_add_u32 s2, s3, s2
	s_addc_u32 s3, 0, s4
	s_add_u32 s4, s2, 1
	s_addc_u32 s5, s3, 0
	s_add_u32 s8, s2, 2
	s_mul_i32 s10, s3, 10
	s_mul_hi_u32 s11, s2, 10
	s_addc_u32 s9, s3, 0
	s_add_i32 s11, s11, s10
	s_mul_i32 s10, s2, 10
	v_mov_b32_e32 v22, s10
	v_sub_co_u32_e32 v22, vcc, s0, v22
	s_cmp_lg_u64 vcc, 0
	s_subb_u32 s10, s1, s11
	v_subrev_co_u32_e32 v23, vcc, 10, v22
	s_cmp_lg_u64 vcc, 0
	s_subb_u32 s11, s10, 0
	v_readfirstlane_b32 s12, v23
	s_cmp_gt_u32 s12, 9
	s_cselect_b32 s12, -1, 0
	s_cmp_eq_u32 s11, 0
	s_cselect_b32 s11, s12, -1
	s_cmp_lg_u32 s11, 0
	s_cselect_b32 s4, s8, s4
	v_readfirstlane_b32 s8, v22
	s_cselect_b32 s5, s9, s5
	s_cmp_gt_u32 s8, 9
	s_cselect_b32 s8, -1, 0
	s_cmp_eq_u32 s10, 0
	s_cselect_b32 s8, s8, -1
	s_cmp_lg_u32 s8, 0
	s_cselect_b32 s3, s5, s3
	s_cselect_b32 s2, s4, s2
	v_cmp_eq_u64_e32 vcc, s[2:3], v[0:1]
	s_and_saveexec_b64 s[2:3], vcc
	s_cbranch_execz .LBB1790_163
; %bb.130:
	v_mul_hi_u32_u24_e32 v1, 10, v0
	v_mov_b32_e32 v22, s1
	v_sub_co_u32_e32 v0, vcc, s0, v43
	v_subb_co_u32_e32 v1, vcc, v22, v1, vcc
	v_cmp_lt_i64_e32 vcc, 4, v[0:1]
	s_and_saveexec_b64 s[0:1], vcc
	s_xor_b64 s[0:1], exec, s[0:1]
	s_cbranch_execz .LBB1790_148
; %bb.131:
	v_cmp_lt_i64_e32 vcc, 6, v[0:1]
	s_and_saveexec_b64 s[2:3], vcc
	s_xor_b64 s[2:3], exec, s[2:3]
	s_cbranch_execz .LBB1790_141
; %bb.132:
	;; [unrolled: 5-line block ×4, first 2 shown]
	v_mov_b32_e32 v0, 0
	s_waitcnt lgkmcnt(0)
	global_store_dwordx2 v0, v[20:21], s[6:7]
                                        ; implicit-def: $vgpr18_vgpr19_vgpr20_vgpr21
.LBB1790_135:
	s_andn2_saveexec_b64 s[8:9], s[8:9]
	s_cbranch_execz .LBB1790_137
; %bb.136:
	v_mov_b32_e32 v0, 0
	s_waitcnt lgkmcnt(0)
	global_store_dwordx2 v0, v[18:19], s[6:7]
.LBB1790_137:
	s_or_b64 exec, exec, s[8:9]
                                        ; implicit-def: $vgpr14_vgpr15_vgpr16_vgpr17
.LBB1790_138:
	s_andn2_saveexec_b64 s[4:5], s[4:5]
	s_cbranch_execz .LBB1790_140
; %bb.139:
	v_mov_b32_e32 v0, 0
	s_waitcnt lgkmcnt(0)
	global_store_dwordx2 v0, v[16:17], s[6:7]
.LBB1790_140:
	s_or_b64 exec, exec, s[4:5]
                                        ; implicit-def: $vgpr6_vgpr7_vgpr8_vgpr9
                                        ; implicit-def: $vgpr0_vgpr1
                                        ; implicit-def: $vgpr14_vgpr15_vgpr16_vgpr17
.LBB1790_141:
	s_andn2_saveexec_b64 s[2:3], s[2:3]
	s_cbranch_execz .LBB1790_147
; %bb.142:
	v_cmp_lt_i64_e32 vcc, 5, v[0:1]
	s_and_saveexec_b64 s[4:5], vcc
	s_xor_b64 s[4:5], exec, s[4:5]
	s_cbranch_execz .LBB1790_144
; %bb.143:
	v_mov_b32_e32 v0, 0
	s_waitcnt lgkmcnt(0)
	global_store_dwordx2 v0, v[14:15], s[6:7]
                                        ; implicit-def: $vgpr6_vgpr7_vgpr8_vgpr9
.LBB1790_144:
	s_andn2_saveexec_b64 s[4:5], s[4:5]
	s_cbranch_execz .LBB1790_146
; %bb.145:
	v_mov_b32_e32 v0, 0
	s_waitcnt lgkmcnt(0)
	global_store_dwordx2 v0, v[8:9], s[6:7]
.LBB1790_146:
	s_or_b64 exec, exec, s[4:5]
.LBB1790_147:
	s_or_b64 exec, exec, s[2:3]
                                        ; implicit-def: $vgpr0_vgpr1
                                        ; implicit-def: $vgpr10_vgpr11_vgpr12_vgpr13
                                        ; implicit-def: $vgpr2_vgpr3_vgpr4_vgpr5
                                        ; implicit-def: $vgpr6_vgpr7_vgpr8_vgpr9
.LBB1790_148:
	s_andn2_saveexec_b64 s[0:1], s[0:1]
	s_cbranch_execz .LBB1790_163
; %bb.149:
	v_cmp_lt_i64_e32 vcc, 2, v[0:1]
	s_and_saveexec_b64 s[0:1], vcc
	s_xor_b64 s[0:1], exec, s[0:1]
	s_cbranch_execz .LBB1790_155
; %bb.150:
	v_cmp_lt_i64_e32 vcc, 3, v[0:1]
	s_and_saveexec_b64 s[2:3], vcc
	s_xor_b64 s[2:3], exec, s[2:3]
	s_cbranch_execz .LBB1790_152
; %bb.151:
	v_mov_b32_e32 v0, 0
	s_waitcnt lgkmcnt(0)
	global_store_dwordx2 v0, v[6:7], s[6:7]
                                        ; implicit-def: $vgpr10_vgpr11_vgpr12_vgpr13
.LBB1790_152:
	s_andn2_saveexec_b64 s[2:3], s[2:3]
	s_cbranch_execz .LBB1790_154
; %bb.153:
	v_mov_b32_e32 v0, 0
	s_waitcnt lgkmcnt(0)
	global_store_dwordx2 v0, v[12:13], s[6:7]
.LBB1790_154:
	s_or_b64 exec, exec, s[2:3]
                                        ; implicit-def: $vgpr0_vgpr1
                                        ; implicit-def: $vgpr10_vgpr11_vgpr12_vgpr13
                                        ; implicit-def: $vgpr2_vgpr3_vgpr4_vgpr5
.LBB1790_155:
	s_andn2_saveexec_b64 s[0:1], s[0:1]
	s_cbranch_execz .LBB1790_163
; %bb.156:
	v_cmp_lt_i64_e32 vcc, 1, v[0:1]
	s_and_saveexec_b64 s[0:1], vcc
	s_xor_b64 s[0:1], exec, s[0:1]
	s_cbranch_execz .LBB1790_158
; %bb.157:
	v_mov_b32_e32 v0, 0
	s_waitcnt lgkmcnt(0)
	global_store_dwordx2 v0, v[10:11], s[6:7]
                                        ; implicit-def: $vgpr2_vgpr3_vgpr4_vgpr5
                                        ; implicit-def: $vgpr0_vgpr1
.LBB1790_158:
	s_andn2_saveexec_b64 s[0:1], s[0:1]
	s_cbranch_execz .LBB1790_163
; %bb.159:
	v_cmp_ne_u64_e32 vcc, 1, v[0:1]
	s_and_saveexec_b64 s[0:1], vcc
	s_xor_b64 s[0:1], exec, s[0:1]
	s_cbranch_execz .LBB1790_161
; %bb.160:
	v_mov_b32_e32 v0, 0
	s_waitcnt lgkmcnt(0)
	global_store_dwordx2 v0, v[2:3], s[6:7]
                                        ; implicit-def: $vgpr2_vgpr3_vgpr4_vgpr5
.LBB1790_161:
	s_andn2_saveexec_b64 s[0:1], s[0:1]
	s_cbranch_execz .LBB1790_163
; %bb.162:
	v_mov_b32_e32 v0, 0
	s_waitcnt lgkmcnt(0)
	global_store_dwordx2 v0, v[4:5], s[6:7]
.LBB1790_163:
	s_endpgm
	.section	.rodata,"a",@progbits
	.p2align	6, 0x0
	.amdhsa_kernel _ZN7rocprim17ROCPRIM_400000_NS6detail17trampoline_kernelINS0_14default_configENS1_20scan_config_selectorIdEEZZNS1_9scan_implILNS1_25lookback_scan_determinismE0ELb0ELb0ES3_N6thrust23THRUST_200600_302600_NS6detail15normal_iteratorINS9_10device_ptrIdEEEESE_d11max_functorIdEdEEDaPvRmT3_T4_T5_mT6_P12ihipStream_tbENKUlT_T0_E_clISt17integral_constantIbLb0EESU_EEDaSP_SQ_EUlSP_E_NS1_11comp_targetILNS1_3genE4ELNS1_11target_archE910ELNS1_3gpuE8ELNS1_3repE0EEENS1_30default_config_static_selectorELNS0_4arch9wavefront6targetE1EEEvT1_
		.amdhsa_group_segment_fixed_size 10240
		.amdhsa_private_segment_fixed_size 0
		.amdhsa_kernarg_size 104
		.amdhsa_user_sgpr_count 6
		.amdhsa_user_sgpr_private_segment_buffer 1
		.amdhsa_user_sgpr_dispatch_ptr 0
		.amdhsa_user_sgpr_queue_ptr 0
		.amdhsa_user_sgpr_kernarg_segment_ptr 1
		.amdhsa_user_sgpr_dispatch_id 0
		.amdhsa_user_sgpr_flat_scratch_init 0
		.amdhsa_user_sgpr_kernarg_preload_length 0
		.amdhsa_user_sgpr_kernarg_preload_offset 0
		.amdhsa_user_sgpr_private_segment_size 0
		.amdhsa_uses_dynamic_stack 0
		.amdhsa_system_sgpr_private_segment_wavefront_offset 0
		.amdhsa_system_sgpr_workgroup_id_x 1
		.amdhsa_system_sgpr_workgroup_id_y 0
		.amdhsa_system_sgpr_workgroup_id_z 0
		.amdhsa_system_sgpr_workgroup_info 0
		.amdhsa_system_vgpr_workitem_id 0
		.amdhsa_next_free_vgpr 58
		.amdhsa_next_free_sgpr 26
		.amdhsa_accum_offset 60
		.amdhsa_reserve_vcc 1
		.amdhsa_reserve_flat_scratch 0
		.amdhsa_float_round_mode_32 0
		.amdhsa_float_round_mode_16_64 0
		.amdhsa_float_denorm_mode_32 3
		.amdhsa_float_denorm_mode_16_64 3
		.amdhsa_dx10_clamp 1
		.amdhsa_ieee_mode 1
		.amdhsa_fp16_overflow 0
		.amdhsa_tg_split 0
		.amdhsa_exception_fp_ieee_invalid_op 0
		.amdhsa_exception_fp_denorm_src 0
		.amdhsa_exception_fp_ieee_div_zero 0
		.amdhsa_exception_fp_ieee_overflow 0
		.amdhsa_exception_fp_ieee_underflow 0
		.amdhsa_exception_fp_ieee_inexact 0
		.amdhsa_exception_int_div_zero 0
	.end_amdhsa_kernel
	.section	.text._ZN7rocprim17ROCPRIM_400000_NS6detail17trampoline_kernelINS0_14default_configENS1_20scan_config_selectorIdEEZZNS1_9scan_implILNS1_25lookback_scan_determinismE0ELb0ELb0ES3_N6thrust23THRUST_200600_302600_NS6detail15normal_iteratorINS9_10device_ptrIdEEEESE_d11max_functorIdEdEEDaPvRmT3_T4_T5_mT6_P12ihipStream_tbENKUlT_T0_E_clISt17integral_constantIbLb0EESU_EEDaSP_SQ_EUlSP_E_NS1_11comp_targetILNS1_3genE4ELNS1_11target_archE910ELNS1_3gpuE8ELNS1_3repE0EEENS1_30default_config_static_selectorELNS0_4arch9wavefront6targetE1EEEvT1_,"axG",@progbits,_ZN7rocprim17ROCPRIM_400000_NS6detail17trampoline_kernelINS0_14default_configENS1_20scan_config_selectorIdEEZZNS1_9scan_implILNS1_25lookback_scan_determinismE0ELb0ELb0ES3_N6thrust23THRUST_200600_302600_NS6detail15normal_iteratorINS9_10device_ptrIdEEEESE_d11max_functorIdEdEEDaPvRmT3_T4_T5_mT6_P12ihipStream_tbENKUlT_T0_E_clISt17integral_constantIbLb0EESU_EEDaSP_SQ_EUlSP_E_NS1_11comp_targetILNS1_3genE4ELNS1_11target_archE910ELNS1_3gpuE8ELNS1_3repE0EEENS1_30default_config_static_selectorELNS0_4arch9wavefront6targetE1EEEvT1_,comdat
.Lfunc_end1790:
	.size	_ZN7rocprim17ROCPRIM_400000_NS6detail17trampoline_kernelINS0_14default_configENS1_20scan_config_selectorIdEEZZNS1_9scan_implILNS1_25lookback_scan_determinismE0ELb0ELb0ES3_N6thrust23THRUST_200600_302600_NS6detail15normal_iteratorINS9_10device_ptrIdEEEESE_d11max_functorIdEdEEDaPvRmT3_T4_T5_mT6_P12ihipStream_tbENKUlT_T0_E_clISt17integral_constantIbLb0EESU_EEDaSP_SQ_EUlSP_E_NS1_11comp_targetILNS1_3genE4ELNS1_11target_archE910ELNS1_3gpuE8ELNS1_3repE0EEENS1_30default_config_static_selectorELNS0_4arch9wavefront6targetE1EEEvT1_, .Lfunc_end1790-_ZN7rocprim17ROCPRIM_400000_NS6detail17trampoline_kernelINS0_14default_configENS1_20scan_config_selectorIdEEZZNS1_9scan_implILNS1_25lookback_scan_determinismE0ELb0ELb0ES3_N6thrust23THRUST_200600_302600_NS6detail15normal_iteratorINS9_10device_ptrIdEEEESE_d11max_functorIdEdEEDaPvRmT3_T4_T5_mT6_P12ihipStream_tbENKUlT_T0_E_clISt17integral_constantIbLb0EESU_EEDaSP_SQ_EUlSP_E_NS1_11comp_targetILNS1_3genE4ELNS1_11target_archE910ELNS1_3gpuE8ELNS1_3repE0EEENS1_30default_config_static_selectorELNS0_4arch9wavefront6targetE1EEEvT1_
                                        ; -- End function
	.section	.AMDGPU.csdata,"",@progbits
; Kernel info:
; codeLenInByte = 6388
; NumSgprs: 30
; NumVgprs: 58
; NumAgprs: 0
; TotalNumVgprs: 58
; ScratchSize: 0
; MemoryBound: 0
; FloatMode: 240
; IeeeMode: 1
; LDSByteSize: 10240 bytes/workgroup (compile time only)
; SGPRBlocks: 3
; VGPRBlocks: 7
; NumSGPRsForWavesPerEU: 30
; NumVGPRsForWavesPerEU: 58
; AccumOffset: 60
; Occupancy: 3
; WaveLimiterHint : 1
; COMPUTE_PGM_RSRC2:SCRATCH_EN: 0
; COMPUTE_PGM_RSRC2:USER_SGPR: 6
; COMPUTE_PGM_RSRC2:TRAP_HANDLER: 0
; COMPUTE_PGM_RSRC2:TGID_X_EN: 1
; COMPUTE_PGM_RSRC2:TGID_Y_EN: 0
; COMPUTE_PGM_RSRC2:TGID_Z_EN: 0
; COMPUTE_PGM_RSRC2:TIDIG_COMP_CNT: 0
; COMPUTE_PGM_RSRC3_GFX90A:ACCUM_OFFSET: 14
; COMPUTE_PGM_RSRC3_GFX90A:TG_SPLIT: 0
	.section	.text._ZN7rocprim17ROCPRIM_400000_NS6detail17trampoline_kernelINS0_14default_configENS1_20scan_config_selectorIdEEZZNS1_9scan_implILNS1_25lookback_scan_determinismE0ELb0ELb0ES3_N6thrust23THRUST_200600_302600_NS6detail15normal_iteratorINS9_10device_ptrIdEEEESE_d11max_functorIdEdEEDaPvRmT3_T4_T5_mT6_P12ihipStream_tbENKUlT_T0_E_clISt17integral_constantIbLb0EESU_EEDaSP_SQ_EUlSP_E_NS1_11comp_targetILNS1_3genE3ELNS1_11target_archE908ELNS1_3gpuE7ELNS1_3repE0EEENS1_30default_config_static_selectorELNS0_4arch9wavefront6targetE1EEEvT1_,"axG",@progbits,_ZN7rocprim17ROCPRIM_400000_NS6detail17trampoline_kernelINS0_14default_configENS1_20scan_config_selectorIdEEZZNS1_9scan_implILNS1_25lookback_scan_determinismE0ELb0ELb0ES3_N6thrust23THRUST_200600_302600_NS6detail15normal_iteratorINS9_10device_ptrIdEEEESE_d11max_functorIdEdEEDaPvRmT3_T4_T5_mT6_P12ihipStream_tbENKUlT_T0_E_clISt17integral_constantIbLb0EESU_EEDaSP_SQ_EUlSP_E_NS1_11comp_targetILNS1_3genE3ELNS1_11target_archE908ELNS1_3gpuE7ELNS1_3repE0EEENS1_30default_config_static_selectorELNS0_4arch9wavefront6targetE1EEEvT1_,comdat
	.protected	_ZN7rocprim17ROCPRIM_400000_NS6detail17trampoline_kernelINS0_14default_configENS1_20scan_config_selectorIdEEZZNS1_9scan_implILNS1_25lookback_scan_determinismE0ELb0ELb0ES3_N6thrust23THRUST_200600_302600_NS6detail15normal_iteratorINS9_10device_ptrIdEEEESE_d11max_functorIdEdEEDaPvRmT3_T4_T5_mT6_P12ihipStream_tbENKUlT_T0_E_clISt17integral_constantIbLb0EESU_EEDaSP_SQ_EUlSP_E_NS1_11comp_targetILNS1_3genE3ELNS1_11target_archE908ELNS1_3gpuE7ELNS1_3repE0EEENS1_30default_config_static_selectorELNS0_4arch9wavefront6targetE1EEEvT1_ ; -- Begin function _ZN7rocprim17ROCPRIM_400000_NS6detail17trampoline_kernelINS0_14default_configENS1_20scan_config_selectorIdEEZZNS1_9scan_implILNS1_25lookback_scan_determinismE0ELb0ELb0ES3_N6thrust23THRUST_200600_302600_NS6detail15normal_iteratorINS9_10device_ptrIdEEEESE_d11max_functorIdEdEEDaPvRmT3_T4_T5_mT6_P12ihipStream_tbENKUlT_T0_E_clISt17integral_constantIbLb0EESU_EEDaSP_SQ_EUlSP_E_NS1_11comp_targetILNS1_3genE3ELNS1_11target_archE908ELNS1_3gpuE7ELNS1_3repE0EEENS1_30default_config_static_selectorELNS0_4arch9wavefront6targetE1EEEvT1_
	.globl	_ZN7rocprim17ROCPRIM_400000_NS6detail17trampoline_kernelINS0_14default_configENS1_20scan_config_selectorIdEEZZNS1_9scan_implILNS1_25lookback_scan_determinismE0ELb0ELb0ES3_N6thrust23THRUST_200600_302600_NS6detail15normal_iteratorINS9_10device_ptrIdEEEESE_d11max_functorIdEdEEDaPvRmT3_T4_T5_mT6_P12ihipStream_tbENKUlT_T0_E_clISt17integral_constantIbLb0EESU_EEDaSP_SQ_EUlSP_E_NS1_11comp_targetILNS1_3genE3ELNS1_11target_archE908ELNS1_3gpuE7ELNS1_3repE0EEENS1_30default_config_static_selectorELNS0_4arch9wavefront6targetE1EEEvT1_
	.p2align	8
	.type	_ZN7rocprim17ROCPRIM_400000_NS6detail17trampoline_kernelINS0_14default_configENS1_20scan_config_selectorIdEEZZNS1_9scan_implILNS1_25lookback_scan_determinismE0ELb0ELb0ES3_N6thrust23THRUST_200600_302600_NS6detail15normal_iteratorINS9_10device_ptrIdEEEESE_d11max_functorIdEdEEDaPvRmT3_T4_T5_mT6_P12ihipStream_tbENKUlT_T0_E_clISt17integral_constantIbLb0EESU_EEDaSP_SQ_EUlSP_E_NS1_11comp_targetILNS1_3genE3ELNS1_11target_archE908ELNS1_3gpuE7ELNS1_3repE0EEENS1_30default_config_static_selectorELNS0_4arch9wavefront6targetE1EEEvT1_,@function
_ZN7rocprim17ROCPRIM_400000_NS6detail17trampoline_kernelINS0_14default_configENS1_20scan_config_selectorIdEEZZNS1_9scan_implILNS1_25lookback_scan_determinismE0ELb0ELb0ES3_N6thrust23THRUST_200600_302600_NS6detail15normal_iteratorINS9_10device_ptrIdEEEESE_d11max_functorIdEdEEDaPvRmT3_T4_T5_mT6_P12ihipStream_tbENKUlT_T0_E_clISt17integral_constantIbLb0EESU_EEDaSP_SQ_EUlSP_E_NS1_11comp_targetILNS1_3genE3ELNS1_11target_archE908ELNS1_3gpuE7ELNS1_3repE0EEENS1_30default_config_static_selectorELNS0_4arch9wavefront6targetE1EEEvT1_: ; @_ZN7rocprim17ROCPRIM_400000_NS6detail17trampoline_kernelINS0_14default_configENS1_20scan_config_selectorIdEEZZNS1_9scan_implILNS1_25lookback_scan_determinismE0ELb0ELb0ES3_N6thrust23THRUST_200600_302600_NS6detail15normal_iteratorINS9_10device_ptrIdEEEESE_d11max_functorIdEdEEDaPvRmT3_T4_T5_mT6_P12ihipStream_tbENKUlT_T0_E_clISt17integral_constantIbLb0EESU_EEDaSP_SQ_EUlSP_E_NS1_11comp_targetILNS1_3genE3ELNS1_11target_archE908ELNS1_3gpuE7ELNS1_3repE0EEENS1_30default_config_static_selectorELNS0_4arch9wavefront6targetE1EEEvT1_
; %bb.0:
	.section	.rodata,"a",@progbits
	.p2align	6, 0x0
	.amdhsa_kernel _ZN7rocprim17ROCPRIM_400000_NS6detail17trampoline_kernelINS0_14default_configENS1_20scan_config_selectorIdEEZZNS1_9scan_implILNS1_25lookback_scan_determinismE0ELb0ELb0ES3_N6thrust23THRUST_200600_302600_NS6detail15normal_iteratorINS9_10device_ptrIdEEEESE_d11max_functorIdEdEEDaPvRmT3_T4_T5_mT6_P12ihipStream_tbENKUlT_T0_E_clISt17integral_constantIbLb0EESU_EEDaSP_SQ_EUlSP_E_NS1_11comp_targetILNS1_3genE3ELNS1_11target_archE908ELNS1_3gpuE7ELNS1_3repE0EEENS1_30default_config_static_selectorELNS0_4arch9wavefront6targetE1EEEvT1_
		.amdhsa_group_segment_fixed_size 0
		.amdhsa_private_segment_fixed_size 0
		.amdhsa_kernarg_size 104
		.amdhsa_user_sgpr_count 6
		.amdhsa_user_sgpr_private_segment_buffer 1
		.amdhsa_user_sgpr_dispatch_ptr 0
		.amdhsa_user_sgpr_queue_ptr 0
		.amdhsa_user_sgpr_kernarg_segment_ptr 1
		.amdhsa_user_sgpr_dispatch_id 0
		.amdhsa_user_sgpr_flat_scratch_init 0
		.amdhsa_user_sgpr_kernarg_preload_length 0
		.amdhsa_user_sgpr_kernarg_preload_offset 0
		.amdhsa_user_sgpr_private_segment_size 0
		.amdhsa_uses_dynamic_stack 0
		.amdhsa_system_sgpr_private_segment_wavefront_offset 0
		.amdhsa_system_sgpr_workgroup_id_x 1
		.amdhsa_system_sgpr_workgroup_id_y 0
		.amdhsa_system_sgpr_workgroup_id_z 0
		.amdhsa_system_sgpr_workgroup_info 0
		.amdhsa_system_vgpr_workitem_id 0
		.amdhsa_next_free_vgpr 1
		.amdhsa_next_free_sgpr 0
		.amdhsa_accum_offset 4
		.amdhsa_reserve_vcc 0
		.amdhsa_reserve_flat_scratch 0
		.amdhsa_float_round_mode_32 0
		.amdhsa_float_round_mode_16_64 0
		.amdhsa_float_denorm_mode_32 3
		.amdhsa_float_denorm_mode_16_64 3
		.amdhsa_dx10_clamp 1
		.amdhsa_ieee_mode 1
		.amdhsa_fp16_overflow 0
		.amdhsa_tg_split 0
		.amdhsa_exception_fp_ieee_invalid_op 0
		.amdhsa_exception_fp_denorm_src 0
		.amdhsa_exception_fp_ieee_div_zero 0
		.amdhsa_exception_fp_ieee_overflow 0
		.amdhsa_exception_fp_ieee_underflow 0
		.amdhsa_exception_fp_ieee_inexact 0
		.amdhsa_exception_int_div_zero 0
	.end_amdhsa_kernel
	.section	.text._ZN7rocprim17ROCPRIM_400000_NS6detail17trampoline_kernelINS0_14default_configENS1_20scan_config_selectorIdEEZZNS1_9scan_implILNS1_25lookback_scan_determinismE0ELb0ELb0ES3_N6thrust23THRUST_200600_302600_NS6detail15normal_iteratorINS9_10device_ptrIdEEEESE_d11max_functorIdEdEEDaPvRmT3_T4_T5_mT6_P12ihipStream_tbENKUlT_T0_E_clISt17integral_constantIbLb0EESU_EEDaSP_SQ_EUlSP_E_NS1_11comp_targetILNS1_3genE3ELNS1_11target_archE908ELNS1_3gpuE7ELNS1_3repE0EEENS1_30default_config_static_selectorELNS0_4arch9wavefront6targetE1EEEvT1_,"axG",@progbits,_ZN7rocprim17ROCPRIM_400000_NS6detail17trampoline_kernelINS0_14default_configENS1_20scan_config_selectorIdEEZZNS1_9scan_implILNS1_25lookback_scan_determinismE0ELb0ELb0ES3_N6thrust23THRUST_200600_302600_NS6detail15normal_iteratorINS9_10device_ptrIdEEEESE_d11max_functorIdEdEEDaPvRmT3_T4_T5_mT6_P12ihipStream_tbENKUlT_T0_E_clISt17integral_constantIbLb0EESU_EEDaSP_SQ_EUlSP_E_NS1_11comp_targetILNS1_3genE3ELNS1_11target_archE908ELNS1_3gpuE7ELNS1_3repE0EEENS1_30default_config_static_selectorELNS0_4arch9wavefront6targetE1EEEvT1_,comdat
.Lfunc_end1791:
	.size	_ZN7rocprim17ROCPRIM_400000_NS6detail17trampoline_kernelINS0_14default_configENS1_20scan_config_selectorIdEEZZNS1_9scan_implILNS1_25lookback_scan_determinismE0ELb0ELb0ES3_N6thrust23THRUST_200600_302600_NS6detail15normal_iteratorINS9_10device_ptrIdEEEESE_d11max_functorIdEdEEDaPvRmT3_T4_T5_mT6_P12ihipStream_tbENKUlT_T0_E_clISt17integral_constantIbLb0EESU_EEDaSP_SQ_EUlSP_E_NS1_11comp_targetILNS1_3genE3ELNS1_11target_archE908ELNS1_3gpuE7ELNS1_3repE0EEENS1_30default_config_static_selectorELNS0_4arch9wavefront6targetE1EEEvT1_, .Lfunc_end1791-_ZN7rocprim17ROCPRIM_400000_NS6detail17trampoline_kernelINS0_14default_configENS1_20scan_config_selectorIdEEZZNS1_9scan_implILNS1_25lookback_scan_determinismE0ELb0ELb0ES3_N6thrust23THRUST_200600_302600_NS6detail15normal_iteratorINS9_10device_ptrIdEEEESE_d11max_functorIdEdEEDaPvRmT3_T4_T5_mT6_P12ihipStream_tbENKUlT_T0_E_clISt17integral_constantIbLb0EESU_EEDaSP_SQ_EUlSP_E_NS1_11comp_targetILNS1_3genE3ELNS1_11target_archE908ELNS1_3gpuE7ELNS1_3repE0EEENS1_30default_config_static_selectorELNS0_4arch9wavefront6targetE1EEEvT1_
                                        ; -- End function
	.section	.AMDGPU.csdata,"",@progbits
; Kernel info:
; codeLenInByte = 0
; NumSgprs: 4
; NumVgprs: 0
; NumAgprs: 0
; TotalNumVgprs: 0
; ScratchSize: 0
; MemoryBound: 0
; FloatMode: 240
; IeeeMode: 1
; LDSByteSize: 0 bytes/workgroup (compile time only)
; SGPRBlocks: 0
; VGPRBlocks: 0
; NumSGPRsForWavesPerEU: 4
; NumVGPRsForWavesPerEU: 1
; AccumOffset: 4
; Occupancy: 8
; WaveLimiterHint : 0
; COMPUTE_PGM_RSRC2:SCRATCH_EN: 0
; COMPUTE_PGM_RSRC2:USER_SGPR: 6
; COMPUTE_PGM_RSRC2:TRAP_HANDLER: 0
; COMPUTE_PGM_RSRC2:TGID_X_EN: 1
; COMPUTE_PGM_RSRC2:TGID_Y_EN: 0
; COMPUTE_PGM_RSRC2:TGID_Z_EN: 0
; COMPUTE_PGM_RSRC2:TIDIG_COMP_CNT: 0
; COMPUTE_PGM_RSRC3_GFX90A:ACCUM_OFFSET: 0
; COMPUTE_PGM_RSRC3_GFX90A:TG_SPLIT: 0
	.section	.text._ZN7rocprim17ROCPRIM_400000_NS6detail17trampoline_kernelINS0_14default_configENS1_20scan_config_selectorIdEEZZNS1_9scan_implILNS1_25lookback_scan_determinismE0ELb0ELb0ES3_N6thrust23THRUST_200600_302600_NS6detail15normal_iteratorINS9_10device_ptrIdEEEESE_d11max_functorIdEdEEDaPvRmT3_T4_T5_mT6_P12ihipStream_tbENKUlT_T0_E_clISt17integral_constantIbLb0EESU_EEDaSP_SQ_EUlSP_E_NS1_11comp_targetILNS1_3genE2ELNS1_11target_archE906ELNS1_3gpuE6ELNS1_3repE0EEENS1_30default_config_static_selectorELNS0_4arch9wavefront6targetE1EEEvT1_,"axG",@progbits,_ZN7rocprim17ROCPRIM_400000_NS6detail17trampoline_kernelINS0_14default_configENS1_20scan_config_selectorIdEEZZNS1_9scan_implILNS1_25lookback_scan_determinismE0ELb0ELb0ES3_N6thrust23THRUST_200600_302600_NS6detail15normal_iteratorINS9_10device_ptrIdEEEESE_d11max_functorIdEdEEDaPvRmT3_T4_T5_mT6_P12ihipStream_tbENKUlT_T0_E_clISt17integral_constantIbLb0EESU_EEDaSP_SQ_EUlSP_E_NS1_11comp_targetILNS1_3genE2ELNS1_11target_archE906ELNS1_3gpuE6ELNS1_3repE0EEENS1_30default_config_static_selectorELNS0_4arch9wavefront6targetE1EEEvT1_,comdat
	.protected	_ZN7rocprim17ROCPRIM_400000_NS6detail17trampoline_kernelINS0_14default_configENS1_20scan_config_selectorIdEEZZNS1_9scan_implILNS1_25lookback_scan_determinismE0ELb0ELb0ES3_N6thrust23THRUST_200600_302600_NS6detail15normal_iteratorINS9_10device_ptrIdEEEESE_d11max_functorIdEdEEDaPvRmT3_T4_T5_mT6_P12ihipStream_tbENKUlT_T0_E_clISt17integral_constantIbLb0EESU_EEDaSP_SQ_EUlSP_E_NS1_11comp_targetILNS1_3genE2ELNS1_11target_archE906ELNS1_3gpuE6ELNS1_3repE0EEENS1_30default_config_static_selectorELNS0_4arch9wavefront6targetE1EEEvT1_ ; -- Begin function _ZN7rocprim17ROCPRIM_400000_NS6detail17trampoline_kernelINS0_14default_configENS1_20scan_config_selectorIdEEZZNS1_9scan_implILNS1_25lookback_scan_determinismE0ELb0ELb0ES3_N6thrust23THRUST_200600_302600_NS6detail15normal_iteratorINS9_10device_ptrIdEEEESE_d11max_functorIdEdEEDaPvRmT3_T4_T5_mT6_P12ihipStream_tbENKUlT_T0_E_clISt17integral_constantIbLb0EESU_EEDaSP_SQ_EUlSP_E_NS1_11comp_targetILNS1_3genE2ELNS1_11target_archE906ELNS1_3gpuE6ELNS1_3repE0EEENS1_30default_config_static_selectorELNS0_4arch9wavefront6targetE1EEEvT1_
	.globl	_ZN7rocprim17ROCPRIM_400000_NS6detail17trampoline_kernelINS0_14default_configENS1_20scan_config_selectorIdEEZZNS1_9scan_implILNS1_25lookback_scan_determinismE0ELb0ELb0ES3_N6thrust23THRUST_200600_302600_NS6detail15normal_iteratorINS9_10device_ptrIdEEEESE_d11max_functorIdEdEEDaPvRmT3_T4_T5_mT6_P12ihipStream_tbENKUlT_T0_E_clISt17integral_constantIbLb0EESU_EEDaSP_SQ_EUlSP_E_NS1_11comp_targetILNS1_3genE2ELNS1_11target_archE906ELNS1_3gpuE6ELNS1_3repE0EEENS1_30default_config_static_selectorELNS0_4arch9wavefront6targetE1EEEvT1_
	.p2align	8
	.type	_ZN7rocprim17ROCPRIM_400000_NS6detail17trampoline_kernelINS0_14default_configENS1_20scan_config_selectorIdEEZZNS1_9scan_implILNS1_25lookback_scan_determinismE0ELb0ELb0ES3_N6thrust23THRUST_200600_302600_NS6detail15normal_iteratorINS9_10device_ptrIdEEEESE_d11max_functorIdEdEEDaPvRmT3_T4_T5_mT6_P12ihipStream_tbENKUlT_T0_E_clISt17integral_constantIbLb0EESU_EEDaSP_SQ_EUlSP_E_NS1_11comp_targetILNS1_3genE2ELNS1_11target_archE906ELNS1_3gpuE6ELNS1_3repE0EEENS1_30default_config_static_selectorELNS0_4arch9wavefront6targetE1EEEvT1_,@function
_ZN7rocprim17ROCPRIM_400000_NS6detail17trampoline_kernelINS0_14default_configENS1_20scan_config_selectorIdEEZZNS1_9scan_implILNS1_25lookback_scan_determinismE0ELb0ELb0ES3_N6thrust23THRUST_200600_302600_NS6detail15normal_iteratorINS9_10device_ptrIdEEEESE_d11max_functorIdEdEEDaPvRmT3_T4_T5_mT6_P12ihipStream_tbENKUlT_T0_E_clISt17integral_constantIbLb0EESU_EEDaSP_SQ_EUlSP_E_NS1_11comp_targetILNS1_3genE2ELNS1_11target_archE906ELNS1_3gpuE6ELNS1_3repE0EEENS1_30default_config_static_selectorELNS0_4arch9wavefront6targetE1EEEvT1_: ; @_ZN7rocprim17ROCPRIM_400000_NS6detail17trampoline_kernelINS0_14default_configENS1_20scan_config_selectorIdEEZZNS1_9scan_implILNS1_25lookback_scan_determinismE0ELb0ELb0ES3_N6thrust23THRUST_200600_302600_NS6detail15normal_iteratorINS9_10device_ptrIdEEEESE_d11max_functorIdEdEEDaPvRmT3_T4_T5_mT6_P12ihipStream_tbENKUlT_T0_E_clISt17integral_constantIbLb0EESU_EEDaSP_SQ_EUlSP_E_NS1_11comp_targetILNS1_3genE2ELNS1_11target_archE906ELNS1_3gpuE6ELNS1_3repE0EEENS1_30default_config_static_selectorELNS0_4arch9wavefront6targetE1EEEvT1_
; %bb.0:
	.section	.rodata,"a",@progbits
	.p2align	6, 0x0
	.amdhsa_kernel _ZN7rocprim17ROCPRIM_400000_NS6detail17trampoline_kernelINS0_14default_configENS1_20scan_config_selectorIdEEZZNS1_9scan_implILNS1_25lookback_scan_determinismE0ELb0ELb0ES3_N6thrust23THRUST_200600_302600_NS6detail15normal_iteratorINS9_10device_ptrIdEEEESE_d11max_functorIdEdEEDaPvRmT3_T4_T5_mT6_P12ihipStream_tbENKUlT_T0_E_clISt17integral_constantIbLb0EESU_EEDaSP_SQ_EUlSP_E_NS1_11comp_targetILNS1_3genE2ELNS1_11target_archE906ELNS1_3gpuE6ELNS1_3repE0EEENS1_30default_config_static_selectorELNS0_4arch9wavefront6targetE1EEEvT1_
		.amdhsa_group_segment_fixed_size 0
		.amdhsa_private_segment_fixed_size 0
		.amdhsa_kernarg_size 104
		.amdhsa_user_sgpr_count 6
		.amdhsa_user_sgpr_private_segment_buffer 1
		.amdhsa_user_sgpr_dispatch_ptr 0
		.amdhsa_user_sgpr_queue_ptr 0
		.amdhsa_user_sgpr_kernarg_segment_ptr 1
		.amdhsa_user_sgpr_dispatch_id 0
		.amdhsa_user_sgpr_flat_scratch_init 0
		.amdhsa_user_sgpr_kernarg_preload_length 0
		.amdhsa_user_sgpr_kernarg_preload_offset 0
		.amdhsa_user_sgpr_private_segment_size 0
		.amdhsa_uses_dynamic_stack 0
		.amdhsa_system_sgpr_private_segment_wavefront_offset 0
		.amdhsa_system_sgpr_workgroup_id_x 1
		.amdhsa_system_sgpr_workgroup_id_y 0
		.amdhsa_system_sgpr_workgroup_id_z 0
		.amdhsa_system_sgpr_workgroup_info 0
		.amdhsa_system_vgpr_workitem_id 0
		.amdhsa_next_free_vgpr 1
		.amdhsa_next_free_sgpr 0
		.amdhsa_accum_offset 4
		.amdhsa_reserve_vcc 0
		.amdhsa_reserve_flat_scratch 0
		.amdhsa_float_round_mode_32 0
		.amdhsa_float_round_mode_16_64 0
		.amdhsa_float_denorm_mode_32 3
		.amdhsa_float_denorm_mode_16_64 3
		.amdhsa_dx10_clamp 1
		.amdhsa_ieee_mode 1
		.amdhsa_fp16_overflow 0
		.amdhsa_tg_split 0
		.amdhsa_exception_fp_ieee_invalid_op 0
		.amdhsa_exception_fp_denorm_src 0
		.amdhsa_exception_fp_ieee_div_zero 0
		.amdhsa_exception_fp_ieee_overflow 0
		.amdhsa_exception_fp_ieee_underflow 0
		.amdhsa_exception_fp_ieee_inexact 0
		.amdhsa_exception_int_div_zero 0
	.end_amdhsa_kernel
	.section	.text._ZN7rocprim17ROCPRIM_400000_NS6detail17trampoline_kernelINS0_14default_configENS1_20scan_config_selectorIdEEZZNS1_9scan_implILNS1_25lookback_scan_determinismE0ELb0ELb0ES3_N6thrust23THRUST_200600_302600_NS6detail15normal_iteratorINS9_10device_ptrIdEEEESE_d11max_functorIdEdEEDaPvRmT3_T4_T5_mT6_P12ihipStream_tbENKUlT_T0_E_clISt17integral_constantIbLb0EESU_EEDaSP_SQ_EUlSP_E_NS1_11comp_targetILNS1_3genE2ELNS1_11target_archE906ELNS1_3gpuE6ELNS1_3repE0EEENS1_30default_config_static_selectorELNS0_4arch9wavefront6targetE1EEEvT1_,"axG",@progbits,_ZN7rocprim17ROCPRIM_400000_NS6detail17trampoline_kernelINS0_14default_configENS1_20scan_config_selectorIdEEZZNS1_9scan_implILNS1_25lookback_scan_determinismE0ELb0ELb0ES3_N6thrust23THRUST_200600_302600_NS6detail15normal_iteratorINS9_10device_ptrIdEEEESE_d11max_functorIdEdEEDaPvRmT3_T4_T5_mT6_P12ihipStream_tbENKUlT_T0_E_clISt17integral_constantIbLb0EESU_EEDaSP_SQ_EUlSP_E_NS1_11comp_targetILNS1_3genE2ELNS1_11target_archE906ELNS1_3gpuE6ELNS1_3repE0EEENS1_30default_config_static_selectorELNS0_4arch9wavefront6targetE1EEEvT1_,comdat
.Lfunc_end1792:
	.size	_ZN7rocprim17ROCPRIM_400000_NS6detail17trampoline_kernelINS0_14default_configENS1_20scan_config_selectorIdEEZZNS1_9scan_implILNS1_25lookback_scan_determinismE0ELb0ELb0ES3_N6thrust23THRUST_200600_302600_NS6detail15normal_iteratorINS9_10device_ptrIdEEEESE_d11max_functorIdEdEEDaPvRmT3_T4_T5_mT6_P12ihipStream_tbENKUlT_T0_E_clISt17integral_constantIbLb0EESU_EEDaSP_SQ_EUlSP_E_NS1_11comp_targetILNS1_3genE2ELNS1_11target_archE906ELNS1_3gpuE6ELNS1_3repE0EEENS1_30default_config_static_selectorELNS0_4arch9wavefront6targetE1EEEvT1_, .Lfunc_end1792-_ZN7rocprim17ROCPRIM_400000_NS6detail17trampoline_kernelINS0_14default_configENS1_20scan_config_selectorIdEEZZNS1_9scan_implILNS1_25lookback_scan_determinismE0ELb0ELb0ES3_N6thrust23THRUST_200600_302600_NS6detail15normal_iteratorINS9_10device_ptrIdEEEESE_d11max_functorIdEdEEDaPvRmT3_T4_T5_mT6_P12ihipStream_tbENKUlT_T0_E_clISt17integral_constantIbLb0EESU_EEDaSP_SQ_EUlSP_E_NS1_11comp_targetILNS1_3genE2ELNS1_11target_archE906ELNS1_3gpuE6ELNS1_3repE0EEENS1_30default_config_static_selectorELNS0_4arch9wavefront6targetE1EEEvT1_
                                        ; -- End function
	.section	.AMDGPU.csdata,"",@progbits
; Kernel info:
; codeLenInByte = 0
; NumSgprs: 4
; NumVgprs: 0
; NumAgprs: 0
; TotalNumVgprs: 0
; ScratchSize: 0
; MemoryBound: 0
; FloatMode: 240
; IeeeMode: 1
; LDSByteSize: 0 bytes/workgroup (compile time only)
; SGPRBlocks: 0
; VGPRBlocks: 0
; NumSGPRsForWavesPerEU: 4
; NumVGPRsForWavesPerEU: 1
; AccumOffset: 4
; Occupancy: 8
; WaveLimiterHint : 0
; COMPUTE_PGM_RSRC2:SCRATCH_EN: 0
; COMPUTE_PGM_RSRC2:USER_SGPR: 6
; COMPUTE_PGM_RSRC2:TRAP_HANDLER: 0
; COMPUTE_PGM_RSRC2:TGID_X_EN: 1
; COMPUTE_PGM_RSRC2:TGID_Y_EN: 0
; COMPUTE_PGM_RSRC2:TGID_Z_EN: 0
; COMPUTE_PGM_RSRC2:TIDIG_COMP_CNT: 0
; COMPUTE_PGM_RSRC3_GFX90A:ACCUM_OFFSET: 0
; COMPUTE_PGM_RSRC3_GFX90A:TG_SPLIT: 0
	.section	.text._ZN7rocprim17ROCPRIM_400000_NS6detail17trampoline_kernelINS0_14default_configENS1_20scan_config_selectorIdEEZZNS1_9scan_implILNS1_25lookback_scan_determinismE0ELb0ELb0ES3_N6thrust23THRUST_200600_302600_NS6detail15normal_iteratorINS9_10device_ptrIdEEEESE_d11max_functorIdEdEEDaPvRmT3_T4_T5_mT6_P12ihipStream_tbENKUlT_T0_E_clISt17integral_constantIbLb0EESU_EEDaSP_SQ_EUlSP_E_NS1_11comp_targetILNS1_3genE10ELNS1_11target_archE1201ELNS1_3gpuE5ELNS1_3repE0EEENS1_30default_config_static_selectorELNS0_4arch9wavefront6targetE1EEEvT1_,"axG",@progbits,_ZN7rocprim17ROCPRIM_400000_NS6detail17trampoline_kernelINS0_14default_configENS1_20scan_config_selectorIdEEZZNS1_9scan_implILNS1_25lookback_scan_determinismE0ELb0ELb0ES3_N6thrust23THRUST_200600_302600_NS6detail15normal_iteratorINS9_10device_ptrIdEEEESE_d11max_functorIdEdEEDaPvRmT3_T4_T5_mT6_P12ihipStream_tbENKUlT_T0_E_clISt17integral_constantIbLb0EESU_EEDaSP_SQ_EUlSP_E_NS1_11comp_targetILNS1_3genE10ELNS1_11target_archE1201ELNS1_3gpuE5ELNS1_3repE0EEENS1_30default_config_static_selectorELNS0_4arch9wavefront6targetE1EEEvT1_,comdat
	.protected	_ZN7rocprim17ROCPRIM_400000_NS6detail17trampoline_kernelINS0_14default_configENS1_20scan_config_selectorIdEEZZNS1_9scan_implILNS1_25lookback_scan_determinismE0ELb0ELb0ES3_N6thrust23THRUST_200600_302600_NS6detail15normal_iteratorINS9_10device_ptrIdEEEESE_d11max_functorIdEdEEDaPvRmT3_T4_T5_mT6_P12ihipStream_tbENKUlT_T0_E_clISt17integral_constantIbLb0EESU_EEDaSP_SQ_EUlSP_E_NS1_11comp_targetILNS1_3genE10ELNS1_11target_archE1201ELNS1_3gpuE5ELNS1_3repE0EEENS1_30default_config_static_selectorELNS0_4arch9wavefront6targetE1EEEvT1_ ; -- Begin function _ZN7rocprim17ROCPRIM_400000_NS6detail17trampoline_kernelINS0_14default_configENS1_20scan_config_selectorIdEEZZNS1_9scan_implILNS1_25lookback_scan_determinismE0ELb0ELb0ES3_N6thrust23THRUST_200600_302600_NS6detail15normal_iteratorINS9_10device_ptrIdEEEESE_d11max_functorIdEdEEDaPvRmT3_T4_T5_mT6_P12ihipStream_tbENKUlT_T0_E_clISt17integral_constantIbLb0EESU_EEDaSP_SQ_EUlSP_E_NS1_11comp_targetILNS1_3genE10ELNS1_11target_archE1201ELNS1_3gpuE5ELNS1_3repE0EEENS1_30default_config_static_selectorELNS0_4arch9wavefront6targetE1EEEvT1_
	.globl	_ZN7rocprim17ROCPRIM_400000_NS6detail17trampoline_kernelINS0_14default_configENS1_20scan_config_selectorIdEEZZNS1_9scan_implILNS1_25lookback_scan_determinismE0ELb0ELb0ES3_N6thrust23THRUST_200600_302600_NS6detail15normal_iteratorINS9_10device_ptrIdEEEESE_d11max_functorIdEdEEDaPvRmT3_T4_T5_mT6_P12ihipStream_tbENKUlT_T0_E_clISt17integral_constantIbLb0EESU_EEDaSP_SQ_EUlSP_E_NS1_11comp_targetILNS1_3genE10ELNS1_11target_archE1201ELNS1_3gpuE5ELNS1_3repE0EEENS1_30default_config_static_selectorELNS0_4arch9wavefront6targetE1EEEvT1_
	.p2align	8
	.type	_ZN7rocprim17ROCPRIM_400000_NS6detail17trampoline_kernelINS0_14default_configENS1_20scan_config_selectorIdEEZZNS1_9scan_implILNS1_25lookback_scan_determinismE0ELb0ELb0ES3_N6thrust23THRUST_200600_302600_NS6detail15normal_iteratorINS9_10device_ptrIdEEEESE_d11max_functorIdEdEEDaPvRmT3_T4_T5_mT6_P12ihipStream_tbENKUlT_T0_E_clISt17integral_constantIbLb0EESU_EEDaSP_SQ_EUlSP_E_NS1_11comp_targetILNS1_3genE10ELNS1_11target_archE1201ELNS1_3gpuE5ELNS1_3repE0EEENS1_30default_config_static_selectorELNS0_4arch9wavefront6targetE1EEEvT1_,@function
_ZN7rocprim17ROCPRIM_400000_NS6detail17trampoline_kernelINS0_14default_configENS1_20scan_config_selectorIdEEZZNS1_9scan_implILNS1_25lookback_scan_determinismE0ELb0ELb0ES3_N6thrust23THRUST_200600_302600_NS6detail15normal_iteratorINS9_10device_ptrIdEEEESE_d11max_functorIdEdEEDaPvRmT3_T4_T5_mT6_P12ihipStream_tbENKUlT_T0_E_clISt17integral_constantIbLb0EESU_EEDaSP_SQ_EUlSP_E_NS1_11comp_targetILNS1_3genE10ELNS1_11target_archE1201ELNS1_3gpuE5ELNS1_3repE0EEENS1_30default_config_static_selectorELNS0_4arch9wavefront6targetE1EEEvT1_: ; @_ZN7rocprim17ROCPRIM_400000_NS6detail17trampoline_kernelINS0_14default_configENS1_20scan_config_selectorIdEEZZNS1_9scan_implILNS1_25lookback_scan_determinismE0ELb0ELb0ES3_N6thrust23THRUST_200600_302600_NS6detail15normal_iteratorINS9_10device_ptrIdEEEESE_d11max_functorIdEdEEDaPvRmT3_T4_T5_mT6_P12ihipStream_tbENKUlT_T0_E_clISt17integral_constantIbLb0EESU_EEDaSP_SQ_EUlSP_E_NS1_11comp_targetILNS1_3genE10ELNS1_11target_archE1201ELNS1_3gpuE5ELNS1_3repE0EEENS1_30default_config_static_selectorELNS0_4arch9wavefront6targetE1EEEvT1_
; %bb.0:
	.section	.rodata,"a",@progbits
	.p2align	6, 0x0
	.amdhsa_kernel _ZN7rocprim17ROCPRIM_400000_NS6detail17trampoline_kernelINS0_14default_configENS1_20scan_config_selectorIdEEZZNS1_9scan_implILNS1_25lookback_scan_determinismE0ELb0ELb0ES3_N6thrust23THRUST_200600_302600_NS6detail15normal_iteratorINS9_10device_ptrIdEEEESE_d11max_functorIdEdEEDaPvRmT3_T4_T5_mT6_P12ihipStream_tbENKUlT_T0_E_clISt17integral_constantIbLb0EESU_EEDaSP_SQ_EUlSP_E_NS1_11comp_targetILNS1_3genE10ELNS1_11target_archE1201ELNS1_3gpuE5ELNS1_3repE0EEENS1_30default_config_static_selectorELNS0_4arch9wavefront6targetE1EEEvT1_
		.amdhsa_group_segment_fixed_size 0
		.amdhsa_private_segment_fixed_size 0
		.amdhsa_kernarg_size 104
		.amdhsa_user_sgpr_count 6
		.amdhsa_user_sgpr_private_segment_buffer 1
		.amdhsa_user_sgpr_dispatch_ptr 0
		.amdhsa_user_sgpr_queue_ptr 0
		.amdhsa_user_sgpr_kernarg_segment_ptr 1
		.amdhsa_user_sgpr_dispatch_id 0
		.amdhsa_user_sgpr_flat_scratch_init 0
		.amdhsa_user_sgpr_kernarg_preload_length 0
		.amdhsa_user_sgpr_kernarg_preload_offset 0
		.amdhsa_user_sgpr_private_segment_size 0
		.amdhsa_uses_dynamic_stack 0
		.amdhsa_system_sgpr_private_segment_wavefront_offset 0
		.amdhsa_system_sgpr_workgroup_id_x 1
		.amdhsa_system_sgpr_workgroup_id_y 0
		.amdhsa_system_sgpr_workgroup_id_z 0
		.amdhsa_system_sgpr_workgroup_info 0
		.amdhsa_system_vgpr_workitem_id 0
		.amdhsa_next_free_vgpr 1
		.amdhsa_next_free_sgpr 0
		.amdhsa_accum_offset 4
		.amdhsa_reserve_vcc 0
		.amdhsa_reserve_flat_scratch 0
		.amdhsa_float_round_mode_32 0
		.amdhsa_float_round_mode_16_64 0
		.amdhsa_float_denorm_mode_32 3
		.amdhsa_float_denorm_mode_16_64 3
		.amdhsa_dx10_clamp 1
		.amdhsa_ieee_mode 1
		.amdhsa_fp16_overflow 0
		.amdhsa_tg_split 0
		.amdhsa_exception_fp_ieee_invalid_op 0
		.amdhsa_exception_fp_denorm_src 0
		.amdhsa_exception_fp_ieee_div_zero 0
		.amdhsa_exception_fp_ieee_overflow 0
		.amdhsa_exception_fp_ieee_underflow 0
		.amdhsa_exception_fp_ieee_inexact 0
		.amdhsa_exception_int_div_zero 0
	.end_amdhsa_kernel
	.section	.text._ZN7rocprim17ROCPRIM_400000_NS6detail17trampoline_kernelINS0_14default_configENS1_20scan_config_selectorIdEEZZNS1_9scan_implILNS1_25lookback_scan_determinismE0ELb0ELb0ES3_N6thrust23THRUST_200600_302600_NS6detail15normal_iteratorINS9_10device_ptrIdEEEESE_d11max_functorIdEdEEDaPvRmT3_T4_T5_mT6_P12ihipStream_tbENKUlT_T0_E_clISt17integral_constantIbLb0EESU_EEDaSP_SQ_EUlSP_E_NS1_11comp_targetILNS1_3genE10ELNS1_11target_archE1201ELNS1_3gpuE5ELNS1_3repE0EEENS1_30default_config_static_selectorELNS0_4arch9wavefront6targetE1EEEvT1_,"axG",@progbits,_ZN7rocprim17ROCPRIM_400000_NS6detail17trampoline_kernelINS0_14default_configENS1_20scan_config_selectorIdEEZZNS1_9scan_implILNS1_25lookback_scan_determinismE0ELb0ELb0ES3_N6thrust23THRUST_200600_302600_NS6detail15normal_iteratorINS9_10device_ptrIdEEEESE_d11max_functorIdEdEEDaPvRmT3_T4_T5_mT6_P12ihipStream_tbENKUlT_T0_E_clISt17integral_constantIbLb0EESU_EEDaSP_SQ_EUlSP_E_NS1_11comp_targetILNS1_3genE10ELNS1_11target_archE1201ELNS1_3gpuE5ELNS1_3repE0EEENS1_30default_config_static_selectorELNS0_4arch9wavefront6targetE1EEEvT1_,comdat
.Lfunc_end1793:
	.size	_ZN7rocprim17ROCPRIM_400000_NS6detail17trampoline_kernelINS0_14default_configENS1_20scan_config_selectorIdEEZZNS1_9scan_implILNS1_25lookback_scan_determinismE0ELb0ELb0ES3_N6thrust23THRUST_200600_302600_NS6detail15normal_iteratorINS9_10device_ptrIdEEEESE_d11max_functorIdEdEEDaPvRmT3_T4_T5_mT6_P12ihipStream_tbENKUlT_T0_E_clISt17integral_constantIbLb0EESU_EEDaSP_SQ_EUlSP_E_NS1_11comp_targetILNS1_3genE10ELNS1_11target_archE1201ELNS1_3gpuE5ELNS1_3repE0EEENS1_30default_config_static_selectorELNS0_4arch9wavefront6targetE1EEEvT1_, .Lfunc_end1793-_ZN7rocprim17ROCPRIM_400000_NS6detail17trampoline_kernelINS0_14default_configENS1_20scan_config_selectorIdEEZZNS1_9scan_implILNS1_25lookback_scan_determinismE0ELb0ELb0ES3_N6thrust23THRUST_200600_302600_NS6detail15normal_iteratorINS9_10device_ptrIdEEEESE_d11max_functorIdEdEEDaPvRmT3_T4_T5_mT6_P12ihipStream_tbENKUlT_T0_E_clISt17integral_constantIbLb0EESU_EEDaSP_SQ_EUlSP_E_NS1_11comp_targetILNS1_3genE10ELNS1_11target_archE1201ELNS1_3gpuE5ELNS1_3repE0EEENS1_30default_config_static_selectorELNS0_4arch9wavefront6targetE1EEEvT1_
                                        ; -- End function
	.section	.AMDGPU.csdata,"",@progbits
; Kernel info:
; codeLenInByte = 0
; NumSgprs: 4
; NumVgprs: 0
; NumAgprs: 0
; TotalNumVgprs: 0
; ScratchSize: 0
; MemoryBound: 0
; FloatMode: 240
; IeeeMode: 1
; LDSByteSize: 0 bytes/workgroup (compile time only)
; SGPRBlocks: 0
; VGPRBlocks: 0
; NumSGPRsForWavesPerEU: 4
; NumVGPRsForWavesPerEU: 1
; AccumOffset: 4
; Occupancy: 8
; WaveLimiterHint : 0
; COMPUTE_PGM_RSRC2:SCRATCH_EN: 0
; COMPUTE_PGM_RSRC2:USER_SGPR: 6
; COMPUTE_PGM_RSRC2:TRAP_HANDLER: 0
; COMPUTE_PGM_RSRC2:TGID_X_EN: 1
; COMPUTE_PGM_RSRC2:TGID_Y_EN: 0
; COMPUTE_PGM_RSRC2:TGID_Z_EN: 0
; COMPUTE_PGM_RSRC2:TIDIG_COMP_CNT: 0
; COMPUTE_PGM_RSRC3_GFX90A:ACCUM_OFFSET: 0
; COMPUTE_PGM_RSRC3_GFX90A:TG_SPLIT: 0
	.section	.text._ZN7rocprim17ROCPRIM_400000_NS6detail17trampoline_kernelINS0_14default_configENS1_20scan_config_selectorIdEEZZNS1_9scan_implILNS1_25lookback_scan_determinismE0ELb0ELb0ES3_N6thrust23THRUST_200600_302600_NS6detail15normal_iteratorINS9_10device_ptrIdEEEESE_d11max_functorIdEdEEDaPvRmT3_T4_T5_mT6_P12ihipStream_tbENKUlT_T0_E_clISt17integral_constantIbLb0EESU_EEDaSP_SQ_EUlSP_E_NS1_11comp_targetILNS1_3genE10ELNS1_11target_archE1200ELNS1_3gpuE4ELNS1_3repE0EEENS1_30default_config_static_selectorELNS0_4arch9wavefront6targetE1EEEvT1_,"axG",@progbits,_ZN7rocprim17ROCPRIM_400000_NS6detail17trampoline_kernelINS0_14default_configENS1_20scan_config_selectorIdEEZZNS1_9scan_implILNS1_25lookback_scan_determinismE0ELb0ELb0ES3_N6thrust23THRUST_200600_302600_NS6detail15normal_iteratorINS9_10device_ptrIdEEEESE_d11max_functorIdEdEEDaPvRmT3_T4_T5_mT6_P12ihipStream_tbENKUlT_T0_E_clISt17integral_constantIbLb0EESU_EEDaSP_SQ_EUlSP_E_NS1_11comp_targetILNS1_3genE10ELNS1_11target_archE1200ELNS1_3gpuE4ELNS1_3repE0EEENS1_30default_config_static_selectorELNS0_4arch9wavefront6targetE1EEEvT1_,comdat
	.protected	_ZN7rocprim17ROCPRIM_400000_NS6detail17trampoline_kernelINS0_14default_configENS1_20scan_config_selectorIdEEZZNS1_9scan_implILNS1_25lookback_scan_determinismE0ELb0ELb0ES3_N6thrust23THRUST_200600_302600_NS6detail15normal_iteratorINS9_10device_ptrIdEEEESE_d11max_functorIdEdEEDaPvRmT3_T4_T5_mT6_P12ihipStream_tbENKUlT_T0_E_clISt17integral_constantIbLb0EESU_EEDaSP_SQ_EUlSP_E_NS1_11comp_targetILNS1_3genE10ELNS1_11target_archE1200ELNS1_3gpuE4ELNS1_3repE0EEENS1_30default_config_static_selectorELNS0_4arch9wavefront6targetE1EEEvT1_ ; -- Begin function _ZN7rocprim17ROCPRIM_400000_NS6detail17trampoline_kernelINS0_14default_configENS1_20scan_config_selectorIdEEZZNS1_9scan_implILNS1_25lookback_scan_determinismE0ELb0ELb0ES3_N6thrust23THRUST_200600_302600_NS6detail15normal_iteratorINS9_10device_ptrIdEEEESE_d11max_functorIdEdEEDaPvRmT3_T4_T5_mT6_P12ihipStream_tbENKUlT_T0_E_clISt17integral_constantIbLb0EESU_EEDaSP_SQ_EUlSP_E_NS1_11comp_targetILNS1_3genE10ELNS1_11target_archE1200ELNS1_3gpuE4ELNS1_3repE0EEENS1_30default_config_static_selectorELNS0_4arch9wavefront6targetE1EEEvT1_
	.globl	_ZN7rocprim17ROCPRIM_400000_NS6detail17trampoline_kernelINS0_14default_configENS1_20scan_config_selectorIdEEZZNS1_9scan_implILNS1_25lookback_scan_determinismE0ELb0ELb0ES3_N6thrust23THRUST_200600_302600_NS6detail15normal_iteratorINS9_10device_ptrIdEEEESE_d11max_functorIdEdEEDaPvRmT3_T4_T5_mT6_P12ihipStream_tbENKUlT_T0_E_clISt17integral_constantIbLb0EESU_EEDaSP_SQ_EUlSP_E_NS1_11comp_targetILNS1_3genE10ELNS1_11target_archE1200ELNS1_3gpuE4ELNS1_3repE0EEENS1_30default_config_static_selectorELNS0_4arch9wavefront6targetE1EEEvT1_
	.p2align	8
	.type	_ZN7rocprim17ROCPRIM_400000_NS6detail17trampoline_kernelINS0_14default_configENS1_20scan_config_selectorIdEEZZNS1_9scan_implILNS1_25lookback_scan_determinismE0ELb0ELb0ES3_N6thrust23THRUST_200600_302600_NS6detail15normal_iteratorINS9_10device_ptrIdEEEESE_d11max_functorIdEdEEDaPvRmT3_T4_T5_mT6_P12ihipStream_tbENKUlT_T0_E_clISt17integral_constantIbLb0EESU_EEDaSP_SQ_EUlSP_E_NS1_11comp_targetILNS1_3genE10ELNS1_11target_archE1200ELNS1_3gpuE4ELNS1_3repE0EEENS1_30default_config_static_selectorELNS0_4arch9wavefront6targetE1EEEvT1_,@function
_ZN7rocprim17ROCPRIM_400000_NS6detail17trampoline_kernelINS0_14default_configENS1_20scan_config_selectorIdEEZZNS1_9scan_implILNS1_25lookback_scan_determinismE0ELb0ELb0ES3_N6thrust23THRUST_200600_302600_NS6detail15normal_iteratorINS9_10device_ptrIdEEEESE_d11max_functorIdEdEEDaPvRmT3_T4_T5_mT6_P12ihipStream_tbENKUlT_T0_E_clISt17integral_constantIbLb0EESU_EEDaSP_SQ_EUlSP_E_NS1_11comp_targetILNS1_3genE10ELNS1_11target_archE1200ELNS1_3gpuE4ELNS1_3repE0EEENS1_30default_config_static_selectorELNS0_4arch9wavefront6targetE1EEEvT1_: ; @_ZN7rocprim17ROCPRIM_400000_NS6detail17trampoline_kernelINS0_14default_configENS1_20scan_config_selectorIdEEZZNS1_9scan_implILNS1_25lookback_scan_determinismE0ELb0ELb0ES3_N6thrust23THRUST_200600_302600_NS6detail15normal_iteratorINS9_10device_ptrIdEEEESE_d11max_functorIdEdEEDaPvRmT3_T4_T5_mT6_P12ihipStream_tbENKUlT_T0_E_clISt17integral_constantIbLb0EESU_EEDaSP_SQ_EUlSP_E_NS1_11comp_targetILNS1_3genE10ELNS1_11target_archE1200ELNS1_3gpuE4ELNS1_3repE0EEENS1_30default_config_static_selectorELNS0_4arch9wavefront6targetE1EEEvT1_
; %bb.0:
	.section	.rodata,"a",@progbits
	.p2align	6, 0x0
	.amdhsa_kernel _ZN7rocprim17ROCPRIM_400000_NS6detail17trampoline_kernelINS0_14default_configENS1_20scan_config_selectorIdEEZZNS1_9scan_implILNS1_25lookback_scan_determinismE0ELb0ELb0ES3_N6thrust23THRUST_200600_302600_NS6detail15normal_iteratorINS9_10device_ptrIdEEEESE_d11max_functorIdEdEEDaPvRmT3_T4_T5_mT6_P12ihipStream_tbENKUlT_T0_E_clISt17integral_constantIbLb0EESU_EEDaSP_SQ_EUlSP_E_NS1_11comp_targetILNS1_3genE10ELNS1_11target_archE1200ELNS1_3gpuE4ELNS1_3repE0EEENS1_30default_config_static_selectorELNS0_4arch9wavefront6targetE1EEEvT1_
		.amdhsa_group_segment_fixed_size 0
		.amdhsa_private_segment_fixed_size 0
		.amdhsa_kernarg_size 104
		.amdhsa_user_sgpr_count 6
		.amdhsa_user_sgpr_private_segment_buffer 1
		.amdhsa_user_sgpr_dispatch_ptr 0
		.amdhsa_user_sgpr_queue_ptr 0
		.amdhsa_user_sgpr_kernarg_segment_ptr 1
		.amdhsa_user_sgpr_dispatch_id 0
		.amdhsa_user_sgpr_flat_scratch_init 0
		.amdhsa_user_sgpr_kernarg_preload_length 0
		.amdhsa_user_sgpr_kernarg_preload_offset 0
		.amdhsa_user_sgpr_private_segment_size 0
		.amdhsa_uses_dynamic_stack 0
		.amdhsa_system_sgpr_private_segment_wavefront_offset 0
		.amdhsa_system_sgpr_workgroup_id_x 1
		.amdhsa_system_sgpr_workgroup_id_y 0
		.amdhsa_system_sgpr_workgroup_id_z 0
		.amdhsa_system_sgpr_workgroup_info 0
		.amdhsa_system_vgpr_workitem_id 0
		.amdhsa_next_free_vgpr 1
		.amdhsa_next_free_sgpr 0
		.amdhsa_accum_offset 4
		.amdhsa_reserve_vcc 0
		.amdhsa_reserve_flat_scratch 0
		.amdhsa_float_round_mode_32 0
		.amdhsa_float_round_mode_16_64 0
		.amdhsa_float_denorm_mode_32 3
		.amdhsa_float_denorm_mode_16_64 3
		.amdhsa_dx10_clamp 1
		.amdhsa_ieee_mode 1
		.amdhsa_fp16_overflow 0
		.amdhsa_tg_split 0
		.amdhsa_exception_fp_ieee_invalid_op 0
		.amdhsa_exception_fp_denorm_src 0
		.amdhsa_exception_fp_ieee_div_zero 0
		.amdhsa_exception_fp_ieee_overflow 0
		.amdhsa_exception_fp_ieee_underflow 0
		.amdhsa_exception_fp_ieee_inexact 0
		.amdhsa_exception_int_div_zero 0
	.end_amdhsa_kernel
	.section	.text._ZN7rocprim17ROCPRIM_400000_NS6detail17trampoline_kernelINS0_14default_configENS1_20scan_config_selectorIdEEZZNS1_9scan_implILNS1_25lookback_scan_determinismE0ELb0ELb0ES3_N6thrust23THRUST_200600_302600_NS6detail15normal_iteratorINS9_10device_ptrIdEEEESE_d11max_functorIdEdEEDaPvRmT3_T4_T5_mT6_P12ihipStream_tbENKUlT_T0_E_clISt17integral_constantIbLb0EESU_EEDaSP_SQ_EUlSP_E_NS1_11comp_targetILNS1_3genE10ELNS1_11target_archE1200ELNS1_3gpuE4ELNS1_3repE0EEENS1_30default_config_static_selectorELNS0_4arch9wavefront6targetE1EEEvT1_,"axG",@progbits,_ZN7rocprim17ROCPRIM_400000_NS6detail17trampoline_kernelINS0_14default_configENS1_20scan_config_selectorIdEEZZNS1_9scan_implILNS1_25lookback_scan_determinismE0ELb0ELb0ES3_N6thrust23THRUST_200600_302600_NS6detail15normal_iteratorINS9_10device_ptrIdEEEESE_d11max_functorIdEdEEDaPvRmT3_T4_T5_mT6_P12ihipStream_tbENKUlT_T0_E_clISt17integral_constantIbLb0EESU_EEDaSP_SQ_EUlSP_E_NS1_11comp_targetILNS1_3genE10ELNS1_11target_archE1200ELNS1_3gpuE4ELNS1_3repE0EEENS1_30default_config_static_selectorELNS0_4arch9wavefront6targetE1EEEvT1_,comdat
.Lfunc_end1794:
	.size	_ZN7rocprim17ROCPRIM_400000_NS6detail17trampoline_kernelINS0_14default_configENS1_20scan_config_selectorIdEEZZNS1_9scan_implILNS1_25lookback_scan_determinismE0ELb0ELb0ES3_N6thrust23THRUST_200600_302600_NS6detail15normal_iteratorINS9_10device_ptrIdEEEESE_d11max_functorIdEdEEDaPvRmT3_T4_T5_mT6_P12ihipStream_tbENKUlT_T0_E_clISt17integral_constantIbLb0EESU_EEDaSP_SQ_EUlSP_E_NS1_11comp_targetILNS1_3genE10ELNS1_11target_archE1200ELNS1_3gpuE4ELNS1_3repE0EEENS1_30default_config_static_selectorELNS0_4arch9wavefront6targetE1EEEvT1_, .Lfunc_end1794-_ZN7rocprim17ROCPRIM_400000_NS6detail17trampoline_kernelINS0_14default_configENS1_20scan_config_selectorIdEEZZNS1_9scan_implILNS1_25lookback_scan_determinismE0ELb0ELb0ES3_N6thrust23THRUST_200600_302600_NS6detail15normal_iteratorINS9_10device_ptrIdEEEESE_d11max_functorIdEdEEDaPvRmT3_T4_T5_mT6_P12ihipStream_tbENKUlT_T0_E_clISt17integral_constantIbLb0EESU_EEDaSP_SQ_EUlSP_E_NS1_11comp_targetILNS1_3genE10ELNS1_11target_archE1200ELNS1_3gpuE4ELNS1_3repE0EEENS1_30default_config_static_selectorELNS0_4arch9wavefront6targetE1EEEvT1_
                                        ; -- End function
	.section	.AMDGPU.csdata,"",@progbits
; Kernel info:
; codeLenInByte = 0
; NumSgprs: 4
; NumVgprs: 0
; NumAgprs: 0
; TotalNumVgprs: 0
; ScratchSize: 0
; MemoryBound: 0
; FloatMode: 240
; IeeeMode: 1
; LDSByteSize: 0 bytes/workgroup (compile time only)
; SGPRBlocks: 0
; VGPRBlocks: 0
; NumSGPRsForWavesPerEU: 4
; NumVGPRsForWavesPerEU: 1
; AccumOffset: 4
; Occupancy: 8
; WaveLimiterHint : 0
; COMPUTE_PGM_RSRC2:SCRATCH_EN: 0
; COMPUTE_PGM_RSRC2:USER_SGPR: 6
; COMPUTE_PGM_RSRC2:TRAP_HANDLER: 0
; COMPUTE_PGM_RSRC2:TGID_X_EN: 1
; COMPUTE_PGM_RSRC2:TGID_Y_EN: 0
; COMPUTE_PGM_RSRC2:TGID_Z_EN: 0
; COMPUTE_PGM_RSRC2:TIDIG_COMP_CNT: 0
; COMPUTE_PGM_RSRC3_GFX90A:ACCUM_OFFSET: 0
; COMPUTE_PGM_RSRC3_GFX90A:TG_SPLIT: 0
	.section	.text._ZN7rocprim17ROCPRIM_400000_NS6detail17trampoline_kernelINS0_14default_configENS1_20scan_config_selectorIdEEZZNS1_9scan_implILNS1_25lookback_scan_determinismE0ELb0ELb0ES3_N6thrust23THRUST_200600_302600_NS6detail15normal_iteratorINS9_10device_ptrIdEEEESE_d11max_functorIdEdEEDaPvRmT3_T4_T5_mT6_P12ihipStream_tbENKUlT_T0_E_clISt17integral_constantIbLb0EESU_EEDaSP_SQ_EUlSP_E_NS1_11comp_targetILNS1_3genE9ELNS1_11target_archE1100ELNS1_3gpuE3ELNS1_3repE0EEENS1_30default_config_static_selectorELNS0_4arch9wavefront6targetE1EEEvT1_,"axG",@progbits,_ZN7rocprim17ROCPRIM_400000_NS6detail17trampoline_kernelINS0_14default_configENS1_20scan_config_selectorIdEEZZNS1_9scan_implILNS1_25lookback_scan_determinismE0ELb0ELb0ES3_N6thrust23THRUST_200600_302600_NS6detail15normal_iteratorINS9_10device_ptrIdEEEESE_d11max_functorIdEdEEDaPvRmT3_T4_T5_mT6_P12ihipStream_tbENKUlT_T0_E_clISt17integral_constantIbLb0EESU_EEDaSP_SQ_EUlSP_E_NS1_11comp_targetILNS1_3genE9ELNS1_11target_archE1100ELNS1_3gpuE3ELNS1_3repE0EEENS1_30default_config_static_selectorELNS0_4arch9wavefront6targetE1EEEvT1_,comdat
	.protected	_ZN7rocprim17ROCPRIM_400000_NS6detail17trampoline_kernelINS0_14default_configENS1_20scan_config_selectorIdEEZZNS1_9scan_implILNS1_25lookback_scan_determinismE0ELb0ELb0ES3_N6thrust23THRUST_200600_302600_NS6detail15normal_iteratorINS9_10device_ptrIdEEEESE_d11max_functorIdEdEEDaPvRmT3_T4_T5_mT6_P12ihipStream_tbENKUlT_T0_E_clISt17integral_constantIbLb0EESU_EEDaSP_SQ_EUlSP_E_NS1_11comp_targetILNS1_3genE9ELNS1_11target_archE1100ELNS1_3gpuE3ELNS1_3repE0EEENS1_30default_config_static_selectorELNS0_4arch9wavefront6targetE1EEEvT1_ ; -- Begin function _ZN7rocprim17ROCPRIM_400000_NS6detail17trampoline_kernelINS0_14default_configENS1_20scan_config_selectorIdEEZZNS1_9scan_implILNS1_25lookback_scan_determinismE0ELb0ELb0ES3_N6thrust23THRUST_200600_302600_NS6detail15normal_iteratorINS9_10device_ptrIdEEEESE_d11max_functorIdEdEEDaPvRmT3_T4_T5_mT6_P12ihipStream_tbENKUlT_T0_E_clISt17integral_constantIbLb0EESU_EEDaSP_SQ_EUlSP_E_NS1_11comp_targetILNS1_3genE9ELNS1_11target_archE1100ELNS1_3gpuE3ELNS1_3repE0EEENS1_30default_config_static_selectorELNS0_4arch9wavefront6targetE1EEEvT1_
	.globl	_ZN7rocprim17ROCPRIM_400000_NS6detail17trampoline_kernelINS0_14default_configENS1_20scan_config_selectorIdEEZZNS1_9scan_implILNS1_25lookback_scan_determinismE0ELb0ELb0ES3_N6thrust23THRUST_200600_302600_NS6detail15normal_iteratorINS9_10device_ptrIdEEEESE_d11max_functorIdEdEEDaPvRmT3_T4_T5_mT6_P12ihipStream_tbENKUlT_T0_E_clISt17integral_constantIbLb0EESU_EEDaSP_SQ_EUlSP_E_NS1_11comp_targetILNS1_3genE9ELNS1_11target_archE1100ELNS1_3gpuE3ELNS1_3repE0EEENS1_30default_config_static_selectorELNS0_4arch9wavefront6targetE1EEEvT1_
	.p2align	8
	.type	_ZN7rocprim17ROCPRIM_400000_NS6detail17trampoline_kernelINS0_14default_configENS1_20scan_config_selectorIdEEZZNS1_9scan_implILNS1_25lookback_scan_determinismE0ELb0ELb0ES3_N6thrust23THRUST_200600_302600_NS6detail15normal_iteratorINS9_10device_ptrIdEEEESE_d11max_functorIdEdEEDaPvRmT3_T4_T5_mT6_P12ihipStream_tbENKUlT_T0_E_clISt17integral_constantIbLb0EESU_EEDaSP_SQ_EUlSP_E_NS1_11comp_targetILNS1_3genE9ELNS1_11target_archE1100ELNS1_3gpuE3ELNS1_3repE0EEENS1_30default_config_static_selectorELNS0_4arch9wavefront6targetE1EEEvT1_,@function
_ZN7rocprim17ROCPRIM_400000_NS6detail17trampoline_kernelINS0_14default_configENS1_20scan_config_selectorIdEEZZNS1_9scan_implILNS1_25lookback_scan_determinismE0ELb0ELb0ES3_N6thrust23THRUST_200600_302600_NS6detail15normal_iteratorINS9_10device_ptrIdEEEESE_d11max_functorIdEdEEDaPvRmT3_T4_T5_mT6_P12ihipStream_tbENKUlT_T0_E_clISt17integral_constantIbLb0EESU_EEDaSP_SQ_EUlSP_E_NS1_11comp_targetILNS1_3genE9ELNS1_11target_archE1100ELNS1_3gpuE3ELNS1_3repE0EEENS1_30default_config_static_selectorELNS0_4arch9wavefront6targetE1EEEvT1_: ; @_ZN7rocprim17ROCPRIM_400000_NS6detail17trampoline_kernelINS0_14default_configENS1_20scan_config_selectorIdEEZZNS1_9scan_implILNS1_25lookback_scan_determinismE0ELb0ELb0ES3_N6thrust23THRUST_200600_302600_NS6detail15normal_iteratorINS9_10device_ptrIdEEEESE_d11max_functorIdEdEEDaPvRmT3_T4_T5_mT6_P12ihipStream_tbENKUlT_T0_E_clISt17integral_constantIbLb0EESU_EEDaSP_SQ_EUlSP_E_NS1_11comp_targetILNS1_3genE9ELNS1_11target_archE1100ELNS1_3gpuE3ELNS1_3repE0EEENS1_30default_config_static_selectorELNS0_4arch9wavefront6targetE1EEEvT1_
; %bb.0:
	.section	.rodata,"a",@progbits
	.p2align	6, 0x0
	.amdhsa_kernel _ZN7rocprim17ROCPRIM_400000_NS6detail17trampoline_kernelINS0_14default_configENS1_20scan_config_selectorIdEEZZNS1_9scan_implILNS1_25lookback_scan_determinismE0ELb0ELb0ES3_N6thrust23THRUST_200600_302600_NS6detail15normal_iteratorINS9_10device_ptrIdEEEESE_d11max_functorIdEdEEDaPvRmT3_T4_T5_mT6_P12ihipStream_tbENKUlT_T0_E_clISt17integral_constantIbLb0EESU_EEDaSP_SQ_EUlSP_E_NS1_11comp_targetILNS1_3genE9ELNS1_11target_archE1100ELNS1_3gpuE3ELNS1_3repE0EEENS1_30default_config_static_selectorELNS0_4arch9wavefront6targetE1EEEvT1_
		.amdhsa_group_segment_fixed_size 0
		.amdhsa_private_segment_fixed_size 0
		.amdhsa_kernarg_size 104
		.amdhsa_user_sgpr_count 6
		.amdhsa_user_sgpr_private_segment_buffer 1
		.amdhsa_user_sgpr_dispatch_ptr 0
		.amdhsa_user_sgpr_queue_ptr 0
		.amdhsa_user_sgpr_kernarg_segment_ptr 1
		.amdhsa_user_sgpr_dispatch_id 0
		.amdhsa_user_sgpr_flat_scratch_init 0
		.amdhsa_user_sgpr_kernarg_preload_length 0
		.amdhsa_user_sgpr_kernarg_preload_offset 0
		.amdhsa_user_sgpr_private_segment_size 0
		.amdhsa_uses_dynamic_stack 0
		.amdhsa_system_sgpr_private_segment_wavefront_offset 0
		.amdhsa_system_sgpr_workgroup_id_x 1
		.amdhsa_system_sgpr_workgroup_id_y 0
		.amdhsa_system_sgpr_workgroup_id_z 0
		.amdhsa_system_sgpr_workgroup_info 0
		.amdhsa_system_vgpr_workitem_id 0
		.amdhsa_next_free_vgpr 1
		.amdhsa_next_free_sgpr 0
		.amdhsa_accum_offset 4
		.amdhsa_reserve_vcc 0
		.amdhsa_reserve_flat_scratch 0
		.amdhsa_float_round_mode_32 0
		.amdhsa_float_round_mode_16_64 0
		.amdhsa_float_denorm_mode_32 3
		.amdhsa_float_denorm_mode_16_64 3
		.amdhsa_dx10_clamp 1
		.amdhsa_ieee_mode 1
		.amdhsa_fp16_overflow 0
		.amdhsa_tg_split 0
		.amdhsa_exception_fp_ieee_invalid_op 0
		.amdhsa_exception_fp_denorm_src 0
		.amdhsa_exception_fp_ieee_div_zero 0
		.amdhsa_exception_fp_ieee_overflow 0
		.amdhsa_exception_fp_ieee_underflow 0
		.amdhsa_exception_fp_ieee_inexact 0
		.amdhsa_exception_int_div_zero 0
	.end_amdhsa_kernel
	.section	.text._ZN7rocprim17ROCPRIM_400000_NS6detail17trampoline_kernelINS0_14default_configENS1_20scan_config_selectorIdEEZZNS1_9scan_implILNS1_25lookback_scan_determinismE0ELb0ELb0ES3_N6thrust23THRUST_200600_302600_NS6detail15normal_iteratorINS9_10device_ptrIdEEEESE_d11max_functorIdEdEEDaPvRmT3_T4_T5_mT6_P12ihipStream_tbENKUlT_T0_E_clISt17integral_constantIbLb0EESU_EEDaSP_SQ_EUlSP_E_NS1_11comp_targetILNS1_3genE9ELNS1_11target_archE1100ELNS1_3gpuE3ELNS1_3repE0EEENS1_30default_config_static_selectorELNS0_4arch9wavefront6targetE1EEEvT1_,"axG",@progbits,_ZN7rocprim17ROCPRIM_400000_NS6detail17trampoline_kernelINS0_14default_configENS1_20scan_config_selectorIdEEZZNS1_9scan_implILNS1_25lookback_scan_determinismE0ELb0ELb0ES3_N6thrust23THRUST_200600_302600_NS6detail15normal_iteratorINS9_10device_ptrIdEEEESE_d11max_functorIdEdEEDaPvRmT3_T4_T5_mT6_P12ihipStream_tbENKUlT_T0_E_clISt17integral_constantIbLb0EESU_EEDaSP_SQ_EUlSP_E_NS1_11comp_targetILNS1_3genE9ELNS1_11target_archE1100ELNS1_3gpuE3ELNS1_3repE0EEENS1_30default_config_static_selectorELNS0_4arch9wavefront6targetE1EEEvT1_,comdat
.Lfunc_end1795:
	.size	_ZN7rocprim17ROCPRIM_400000_NS6detail17trampoline_kernelINS0_14default_configENS1_20scan_config_selectorIdEEZZNS1_9scan_implILNS1_25lookback_scan_determinismE0ELb0ELb0ES3_N6thrust23THRUST_200600_302600_NS6detail15normal_iteratorINS9_10device_ptrIdEEEESE_d11max_functorIdEdEEDaPvRmT3_T4_T5_mT6_P12ihipStream_tbENKUlT_T0_E_clISt17integral_constantIbLb0EESU_EEDaSP_SQ_EUlSP_E_NS1_11comp_targetILNS1_3genE9ELNS1_11target_archE1100ELNS1_3gpuE3ELNS1_3repE0EEENS1_30default_config_static_selectorELNS0_4arch9wavefront6targetE1EEEvT1_, .Lfunc_end1795-_ZN7rocprim17ROCPRIM_400000_NS6detail17trampoline_kernelINS0_14default_configENS1_20scan_config_selectorIdEEZZNS1_9scan_implILNS1_25lookback_scan_determinismE0ELb0ELb0ES3_N6thrust23THRUST_200600_302600_NS6detail15normal_iteratorINS9_10device_ptrIdEEEESE_d11max_functorIdEdEEDaPvRmT3_T4_T5_mT6_P12ihipStream_tbENKUlT_T0_E_clISt17integral_constantIbLb0EESU_EEDaSP_SQ_EUlSP_E_NS1_11comp_targetILNS1_3genE9ELNS1_11target_archE1100ELNS1_3gpuE3ELNS1_3repE0EEENS1_30default_config_static_selectorELNS0_4arch9wavefront6targetE1EEEvT1_
                                        ; -- End function
	.section	.AMDGPU.csdata,"",@progbits
; Kernel info:
; codeLenInByte = 0
; NumSgprs: 4
; NumVgprs: 0
; NumAgprs: 0
; TotalNumVgprs: 0
; ScratchSize: 0
; MemoryBound: 0
; FloatMode: 240
; IeeeMode: 1
; LDSByteSize: 0 bytes/workgroup (compile time only)
; SGPRBlocks: 0
; VGPRBlocks: 0
; NumSGPRsForWavesPerEU: 4
; NumVGPRsForWavesPerEU: 1
; AccumOffset: 4
; Occupancy: 8
; WaveLimiterHint : 0
; COMPUTE_PGM_RSRC2:SCRATCH_EN: 0
; COMPUTE_PGM_RSRC2:USER_SGPR: 6
; COMPUTE_PGM_RSRC2:TRAP_HANDLER: 0
; COMPUTE_PGM_RSRC2:TGID_X_EN: 1
; COMPUTE_PGM_RSRC2:TGID_Y_EN: 0
; COMPUTE_PGM_RSRC2:TGID_Z_EN: 0
; COMPUTE_PGM_RSRC2:TIDIG_COMP_CNT: 0
; COMPUTE_PGM_RSRC3_GFX90A:ACCUM_OFFSET: 0
; COMPUTE_PGM_RSRC3_GFX90A:TG_SPLIT: 0
	.section	.text._ZN7rocprim17ROCPRIM_400000_NS6detail17trampoline_kernelINS0_14default_configENS1_20scan_config_selectorIdEEZZNS1_9scan_implILNS1_25lookback_scan_determinismE0ELb0ELb0ES3_N6thrust23THRUST_200600_302600_NS6detail15normal_iteratorINS9_10device_ptrIdEEEESE_d11max_functorIdEdEEDaPvRmT3_T4_T5_mT6_P12ihipStream_tbENKUlT_T0_E_clISt17integral_constantIbLb0EESU_EEDaSP_SQ_EUlSP_E_NS1_11comp_targetILNS1_3genE8ELNS1_11target_archE1030ELNS1_3gpuE2ELNS1_3repE0EEENS1_30default_config_static_selectorELNS0_4arch9wavefront6targetE1EEEvT1_,"axG",@progbits,_ZN7rocprim17ROCPRIM_400000_NS6detail17trampoline_kernelINS0_14default_configENS1_20scan_config_selectorIdEEZZNS1_9scan_implILNS1_25lookback_scan_determinismE0ELb0ELb0ES3_N6thrust23THRUST_200600_302600_NS6detail15normal_iteratorINS9_10device_ptrIdEEEESE_d11max_functorIdEdEEDaPvRmT3_T4_T5_mT6_P12ihipStream_tbENKUlT_T0_E_clISt17integral_constantIbLb0EESU_EEDaSP_SQ_EUlSP_E_NS1_11comp_targetILNS1_3genE8ELNS1_11target_archE1030ELNS1_3gpuE2ELNS1_3repE0EEENS1_30default_config_static_selectorELNS0_4arch9wavefront6targetE1EEEvT1_,comdat
	.protected	_ZN7rocprim17ROCPRIM_400000_NS6detail17trampoline_kernelINS0_14default_configENS1_20scan_config_selectorIdEEZZNS1_9scan_implILNS1_25lookback_scan_determinismE0ELb0ELb0ES3_N6thrust23THRUST_200600_302600_NS6detail15normal_iteratorINS9_10device_ptrIdEEEESE_d11max_functorIdEdEEDaPvRmT3_T4_T5_mT6_P12ihipStream_tbENKUlT_T0_E_clISt17integral_constantIbLb0EESU_EEDaSP_SQ_EUlSP_E_NS1_11comp_targetILNS1_3genE8ELNS1_11target_archE1030ELNS1_3gpuE2ELNS1_3repE0EEENS1_30default_config_static_selectorELNS0_4arch9wavefront6targetE1EEEvT1_ ; -- Begin function _ZN7rocprim17ROCPRIM_400000_NS6detail17trampoline_kernelINS0_14default_configENS1_20scan_config_selectorIdEEZZNS1_9scan_implILNS1_25lookback_scan_determinismE0ELb0ELb0ES3_N6thrust23THRUST_200600_302600_NS6detail15normal_iteratorINS9_10device_ptrIdEEEESE_d11max_functorIdEdEEDaPvRmT3_T4_T5_mT6_P12ihipStream_tbENKUlT_T0_E_clISt17integral_constantIbLb0EESU_EEDaSP_SQ_EUlSP_E_NS1_11comp_targetILNS1_3genE8ELNS1_11target_archE1030ELNS1_3gpuE2ELNS1_3repE0EEENS1_30default_config_static_selectorELNS0_4arch9wavefront6targetE1EEEvT1_
	.globl	_ZN7rocprim17ROCPRIM_400000_NS6detail17trampoline_kernelINS0_14default_configENS1_20scan_config_selectorIdEEZZNS1_9scan_implILNS1_25lookback_scan_determinismE0ELb0ELb0ES3_N6thrust23THRUST_200600_302600_NS6detail15normal_iteratorINS9_10device_ptrIdEEEESE_d11max_functorIdEdEEDaPvRmT3_T4_T5_mT6_P12ihipStream_tbENKUlT_T0_E_clISt17integral_constantIbLb0EESU_EEDaSP_SQ_EUlSP_E_NS1_11comp_targetILNS1_3genE8ELNS1_11target_archE1030ELNS1_3gpuE2ELNS1_3repE0EEENS1_30default_config_static_selectorELNS0_4arch9wavefront6targetE1EEEvT1_
	.p2align	8
	.type	_ZN7rocprim17ROCPRIM_400000_NS6detail17trampoline_kernelINS0_14default_configENS1_20scan_config_selectorIdEEZZNS1_9scan_implILNS1_25lookback_scan_determinismE0ELb0ELb0ES3_N6thrust23THRUST_200600_302600_NS6detail15normal_iteratorINS9_10device_ptrIdEEEESE_d11max_functorIdEdEEDaPvRmT3_T4_T5_mT6_P12ihipStream_tbENKUlT_T0_E_clISt17integral_constantIbLb0EESU_EEDaSP_SQ_EUlSP_E_NS1_11comp_targetILNS1_3genE8ELNS1_11target_archE1030ELNS1_3gpuE2ELNS1_3repE0EEENS1_30default_config_static_selectorELNS0_4arch9wavefront6targetE1EEEvT1_,@function
_ZN7rocprim17ROCPRIM_400000_NS6detail17trampoline_kernelINS0_14default_configENS1_20scan_config_selectorIdEEZZNS1_9scan_implILNS1_25lookback_scan_determinismE0ELb0ELb0ES3_N6thrust23THRUST_200600_302600_NS6detail15normal_iteratorINS9_10device_ptrIdEEEESE_d11max_functorIdEdEEDaPvRmT3_T4_T5_mT6_P12ihipStream_tbENKUlT_T0_E_clISt17integral_constantIbLb0EESU_EEDaSP_SQ_EUlSP_E_NS1_11comp_targetILNS1_3genE8ELNS1_11target_archE1030ELNS1_3gpuE2ELNS1_3repE0EEENS1_30default_config_static_selectorELNS0_4arch9wavefront6targetE1EEEvT1_: ; @_ZN7rocprim17ROCPRIM_400000_NS6detail17trampoline_kernelINS0_14default_configENS1_20scan_config_selectorIdEEZZNS1_9scan_implILNS1_25lookback_scan_determinismE0ELb0ELb0ES3_N6thrust23THRUST_200600_302600_NS6detail15normal_iteratorINS9_10device_ptrIdEEEESE_d11max_functorIdEdEEDaPvRmT3_T4_T5_mT6_P12ihipStream_tbENKUlT_T0_E_clISt17integral_constantIbLb0EESU_EEDaSP_SQ_EUlSP_E_NS1_11comp_targetILNS1_3genE8ELNS1_11target_archE1030ELNS1_3gpuE2ELNS1_3repE0EEENS1_30default_config_static_selectorELNS0_4arch9wavefront6targetE1EEEvT1_
; %bb.0:
	.section	.rodata,"a",@progbits
	.p2align	6, 0x0
	.amdhsa_kernel _ZN7rocprim17ROCPRIM_400000_NS6detail17trampoline_kernelINS0_14default_configENS1_20scan_config_selectorIdEEZZNS1_9scan_implILNS1_25lookback_scan_determinismE0ELb0ELb0ES3_N6thrust23THRUST_200600_302600_NS6detail15normal_iteratorINS9_10device_ptrIdEEEESE_d11max_functorIdEdEEDaPvRmT3_T4_T5_mT6_P12ihipStream_tbENKUlT_T0_E_clISt17integral_constantIbLb0EESU_EEDaSP_SQ_EUlSP_E_NS1_11comp_targetILNS1_3genE8ELNS1_11target_archE1030ELNS1_3gpuE2ELNS1_3repE0EEENS1_30default_config_static_selectorELNS0_4arch9wavefront6targetE1EEEvT1_
		.amdhsa_group_segment_fixed_size 0
		.amdhsa_private_segment_fixed_size 0
		.amdhsa_kernarg_size 104
		.amdhsa_user_sgpr_count 6
		.amdhsa_user_sgpr_private_segment_buffer 1
		.amdhsa_user_sgpr_dispatch_ptr 0
		.amdhsa_user_sgpr_queue_ptr 0
		.amdhsa_user_sgpr_kernarg_segment_ptr 1
		.amdhsa_user_sgpr_dispatch_id 0
		.amdhsa_user_sgpr_flat_scratch_init 0
		.amdhsa_user_sgpr_kernarg_preload_length 0
		.amdhsa_user_sgpr_kernarg_preload_offset 0
		.amdhsa_user_sgpr_private_segment_size 0
		.amdhsa_uses_dynamic_stack 0
		.amdhsa_system_sgpr_private_segment_wavefront_offset 0
		.amdhsa_system_sgpr_workgroup_id_x 1
		.amdhsa_system_sgpr_workgroup_id_y 0
		.amdhsa_system_sgpr_workgroup_id_z 0
		.amdhsa_system_sgpr_workgroup_info 0
		.amdhsa_system_vgpr_workitem_id 0
		.amdhsa_next_free_vgpr 1
		.amdhsa_next_free_sgpr 0
		.amdhsa_accum_offset 4
		.amdhsa_reserve_vcc 0
		.amdhsa_reserve_flat_scratch 0
		.amdhsa_float_round_mode_32 0
		.amdhsa_float_round_mode_16_64 0
		.amdhsa_float_denorm_mode_32 3
		.amdhsa_float_denorm_mode_16_64 3
		.amdhsa_dx10_clamp 1
		.amdhsa_ieee_mode 1
		.amdhsa_fp16_overflow 0
		.amdhsa_tg_split 0
		.amdhsa_exception_fp_ieee_invalid_op 0
		.amdhsa_exception_fp_denorm_src 0
		.amdhsa_exception_fp_ieee_div_zero 0
		.amdhsa_exception_fp_ieee_overflow 0
		.amdhsa_exception_fp_ieee_underflow 0
		.amdhsa_exception_fp_ieee_inexact 0
		.amdhsa_exception_int_div_zero 0
	.end_amdhsa_kernel
	.section	.text._ZN7rocprim17ROCPRIM_400000_NS6detail17trampoline_kernelINS0_14default_configENS1_20scan_config_selectorIdEEZZNS1_9scan_implILNS1_25lookback_scan_determinismE0ELb0ELb0ES3_N6thrust23THRUST_200600_302600_NS6detail15normal_iteratorINS9_10device_ptrIdEEEESE_d11max_functorIdEdEEDaPvRmT3_T4_T5_mT6_P12ihipStream_tbENKUlT_T0_E_clISt17integral_constantIbLb0EESU_EEDaSP_SQ_EUlSP_E_NS1_11comp_targetILNS1_3genE8ELNS1_11target_archE1030ELNS1_3gpuE2ELNS1_3repE0EEENS1_30default_config_static_selectorELNS0_4arch9wavefront6targetE1EEEvT1_,"axG",@progbits,_ZN7rocprim17ROCPRIM_400000_NS6detail17trampoline_kernelINS0_14default_configENS1_20scan_config_selectorIdEEZZNS1_9scan_implILNS1_25lookback_scan_determinismE0ELb0ELb0ES3_N6thrust23THRUST_200600_302600_NS6detail15normal_iteratorINS9_10device_ptrIdEEEESE_d11max_functorIdEdEEDaPvRmT3_T4_T5_mT6_P12ihipStream_tbENKUlT_T0_E_clISt17integral_constantIbLb0EESU_EEDaSP_SQ_EUlSP_E_NS1_11comp_targetILNS1_3genE8ELNS1_11target_archE1030ELNS1_3gpuE2ELNS1_3repE0EEENS1_30default_config_static_selectorELNS0_4arch9wavefront6targetE1EEEvT1_,comdat
.Lfunc_end1796:
	.size	_ZN7rocprim17ROCPRIM_400000_NS6detail17trampoline_kernelINS0_14default_configENS1_20scan_config_selectorIdEEZZNS1_9scan_implILNS1_25lookback_scan_determinismE0ELb0ELb0ES3_N6thrust23THRUST_200600_302600_NS6detail15normal_iteratorINS9_10device_ptrIdEEEESE_d11max_functorIdEdEEDaPvRmT3_T4_T5_mT6_P12ihipStream_tbENKUlT_T0_E_clISt17integral_constantIbLb0EESU_EEDaSP_SQ_EUlSP_E_NS1_11comp_targetILNS1_3genE8ELNS1_11target_archE1030ELNS1_3gpuE2ELNS1_3repE0EEENS1_30default_config_static_selectorELNS0_4arch9wavefront6targetE1EEEvT1_, .Lfunc_end1796-_ZN7rocprim17ROCPRIM_400000_NS6detail17trampoline_kernelINS0_14default_configENS1_20scan_config_selectorIdEEZZNS1_9scan_implILNS1_25lookback_scan_determinismE0ELb0ELb0ES3_N6thrust23THRUST_200600_302600_NS6detail15normal_iteratorINS9_10device_ptrIdEEEESE_d11max_functorIdEdEEDaPvRmT3_T4_T5_mT6_P12ihipStream_tbENKUlT_T0_E_clISt17integral_constantIbLb0EESU_EEDaSP_SQ_EUlSP_E_NS1_11comp_targetILNS1_3genE8ELNS1_11target_archE1030ELNS1_3gpuE2ELNS1_3repE0EEENS1_30default_config_static_selectorELNS0_4arch9wavefront6targetE1EEEvT1_
                                        ; -- End function
	.section	.AMDGPU.csdata,"",@progbits
; Kernel info:
; codeLenInByte = 0
; NumSgprs: 4
; NumVgprs: 0
; NumAgprs: 0
; TotalNumVgprs: 0
; ScratchSize: 0
; MemoryBound: 0
; FloatMode: 240
; IeeeMode: 1
; LDSByteSize: 0 bytes/workgroup (compile time only)
; SGPRBlocks: 0
; VGPRBlocks: 0
; NumSGPRsForWavesPerEU: 4
; NumVGPRsForWavesPerEU: 1
; AccumOffset: 4
; Occupancy: 8
; WaveLimiterHint : 0
; COMPUTE_PGM_RSRC2:SCRATCH_EN: 0
; COMPUTE_PGM_RSRC2:USER_SGPR: 6
; COMPUTE_PGM_RSRC2:TRAP_HANDLER: 0
; COMPUTE_PGM_RSRC2:TGID_X_EN: 1
; COMPUTE_PGM_RSRC2:TGID_Y_EN: 0
; COMPUTE_PGM_RSRC2:TGID_Z_EN: 0
; COMPUTE_PGM_RSRC2:TIDIG_COMP_CNT: 0
; COMPUTE_PGM_RSRC3_GFX90A:ACCUM_OFFSET: 0
; COMPUTE_PGM_RSRC3_GFX90A:TG_SPLIT: 0
	.section	.text._ZN7rocprim17ROCPRIM_400000_NS6detail17trampoline_kernelINS0_14default_configENS1_25transform_config_selectorIdLb1EEEZNS1_14transform_implILb1ES3_S5_PdS7_NS0_8identityIdEEEE10hipError_tT2_T3_mT4_P12ihipStream_tbEUlT_E_NS1_11comp_targetILNS1_3genE0ELNS1_11target_archE4294967295ELNS1_3gpuE0ELNS1_3repE0EEENS1_30default_config_static_selectorELNS0_4arch9wavefront6targetE1EEEvT1_,"axG",@progbits,_ZN7rocprim17ROCPRIM_400000_NS6detail17trampoline_kernelINS0_14default_configENS1_25transform_config_selectorIdLb1EEEZNS1_14transform_implILb1ES3_S5_PdS7_NS0_8identityIdEEEE10hipError_tT2_T3_mT4_P12ihipStream_tbEUlT_E_NS1_11comp_targetILNS1_3genE0ELNS1_11target_archE4294967295ELNS1_3gpuE0ELNS1_3repE0EEENS1_30default_config_static_selectorELNS0_4arch9wavefront6targetE1EEEvT1_,comdat
	.protected	_ZN7rocprim17ROCPRIM_400000_NS6detail17trampoline_kernelINS0_14default_configENS1_25transform_config_selectorIdLb1EEEZNS1_14transform_implILb1ES3_S5_PdS7_NS0_8identityIdEEEE10hipError_tT2_T3_mT4_P12ihipStream_tbEUlT_E_NS1_11comp_targetILNS1_3genE0ELNS1_11target_archE4294967295ELNS1_3gpuE0ELNS1_3repE0EEENS1_30default_config_static_selectorELNS0_4arch9wavefront6targetE1EEEvT1_ ; -- Begin function _ZN7rocprim17ROCPRIM_400000_NS6detail17trampoline_kernelINS0_14default_configENS1_25transform_config_selectorIdLb1EEEZNS1_14transform_implILb1ES3_S5_PdS7_NS0_8identityIdEEEE10hipError_tT2_T3_mT4_P12ihipStream_tbEUlT_E_NS1_11comp_targetILNS1_3genE0ELNS1_11target_archE4294967295ELNS1_3gpuE0ELNS1_3repE0EEENS1_30default_config_static_selectorELNS0_4arch9wavefront6targetE1EEEvT1_
	.globl	_ZN7rocprim17ROCPRIM_400000_NS6detail17trampoline_kernelINS0_14default_configENS1_25transform_config_selectorIdLb1EEEZNS1_14transform_implILb1ES3_S5_PdS7_NS0_8identityIdEEEE10hipError_tT2_T3_mT4_P12ihipStream_tbEUlT_E_NS1_11comp_targetILNS1_3genE0ELNS1_11target_archE4294967295ELNS1_3gpuE0ELNS1_3repE0EEENS1_30default_config_static_selectorELNS0_4arch9wavefront6targetE1EEEvT1_
	.p2align	8
	.type	_ZN7rocprim17ROCPRIM_400000_NS6detail17trampoline_kernelINS0_14default_configENS1_25transform_config_selectorIdLb1EEEZNS1_14transform_implILb1ES3_S5_PdS7_NS0_8identityIdEEEE10hipError_tT2_T3_mT4_P12ihipStream_tbEUlT_E_NS1_11comp_targetILNS1_3genE0ELNS1_11target_archE4294967295ELNS1_3gpuE0ELNS1_3repE0EEENS1_30default_config_static_selectorELNS0_4arch9wavefront6targetE1EEEvT1_,@function
_ZN7rocprim17ROCPRIM_400000_NS6detail17trampoline_kernelINS0_14default_configENS1_25transform_config_selectorIdLb1EEEZNS1_14transform_implILb1ES3_S5_PdS7_NS0_8identityIdEEEE10hipError_tT2_T3_mT4_P12ihipStream_tbEUlT_E_NS1_11comp_targetILNS1_3genE0ELNS1_11target_archE4294967295ELNS1_3gpuE0ELNS1_3repE0EEENS1_30default_config_static_selectorELNS0_4arch9wavefront6targetE1EEEvT1_: ; @_ZN7rocprim17ROCPRIM_400000_NS6detail17trampoline_kernelINS0_14default_configENS1_25transform_config_selectorIdLb1EEEZNS1_14transform_implILb1ES3_S5_PdS7_NS0_8identityIdEEEE10hipError_tT2_T3_mT4_P12ihipStream_tbEUlT_E_NS1_11comp_targetILNS1_3genE0ELNS1_11target_archE4294967295ELNS1_3gpuE0ELNS1_3repE0EEENS1_30default_config_static_selectorELNS0_4arch9wavefront6targetE1EEEvT1_
; %bb.0:
	.section	.rodata,"a",@progbits
	.p2align	6, 0x0
	.amdhsa_kernel _ZN7rocprim17ROCPRIM_400000_NS6detail17trampoline_kernelINS0_14default_configENS1_25transform_config_selectorIdLb1EEEZNS1_14transform_implILb1ES3_S5_PdS7_NS0_8identityIdEEEE10hipError_tT2_T3_mT4_P12ihipStream_tbEUlT_E_NS1_11comp_targetILNS1_3genE0ELNS1_11target_archE4294967295ELNS1_3gpuE0ELNS1_3repE0EEENS1_30default_config_static_selectorELNS0_4arch9wavefront6targetE1EEEvT1_
		.amdhsa_group_segment_fixed_size 0
		.amdhsa_private_segment_fixed_size 0
		.amdhsa_kernarg_size 40
		.amdhsa_user_sgpr_count 6
		.amdhsa_user_sgpr_private_segment_buffer 1
		.amdhsa_user_sgpr_dispatch_ptr 0
		.amdhsa_user_sgpr_queue_ptr 0
		.amdhsa_user_sgpr_kernarg_segment_ptr 1
		.amdhsa_user_sgpr_dispatch_id 0
		.amdhsa_user_sgpr_flat_scratch_init 0
		.amdhsa_user_sgpr_kernarg_preload_length 0
		.amdhsa_user_sgpr_kernarg_preload_offset 0
		.amdhsa_user_sgpr_private_segment_size 0
		.amdhsa_uses_dynamic_stack 0
		.amdhsa_system_sgpr_private_segment_wavefront_offset 0
		.amdhsa_system_sgpr_workgroup_id_x 1
		.amdhsa_system_sgpr_workgroup_id_y 0
		.amdhsa_system_sgpr_workgroup_id_z 0
		.amdhsa_system_sgpr_workgroup_info 0
		.amdhsa_system_vgpr_workitem_id 0
		.amdhsa_next_free_vgpr 1
		.amdhsa_next_free_sgpr 0
		.amdhsa_accum_offset 4
		.amdhsa_reserve_vcc 0
		.amdhsa_reserve_flat_scratch 0
		.amdhsa_float_round_mode_32 0
		.amdhsa_float_round_mode_16_64 0
		.amdhsa_float_denorm_mode_32 3
		.amdhsa_float_denorm_mode_16_64 3
		.amdhsa_dx10_clamp 1
		.amdhsa_ieee_mode 1
		.amdhsa_fp16_overflow 0
		.amdhsa_tg_split 0
		.amdhsa_exception_fp_ieee_invalid_op 0
		.amdhsa_exception_fp_denorm_src 0
		.amdhsa_exception_fp_ieee_div_zero 0
		.amdhsa_exception_fp_ieee_overflow 0
		.amdhsa_exception_fp_ieee_underflow 0
		.amdhsa_exception_fp_ieee_inexact 0
		.amdhsa_exception_int_div_zero 0
	.end_amdhsa_kernel
	.section	.text._ZN7rocprim17ROCPRIM_400000_NS6detail17trampoline_kernelINS0_14default_configENS1_25transform_config_selectorIdLb1EEEZNS1_14transform_implILb1ES3_S5_PdS7_NS0_8identityIdEEEE10hipError_tT2_T3_mT4_P12ihipStream_tbEUlT_E_NS1_11comp_targetILNS1_3genE0ELNS1_11target_archE4294967295ELNS1_3gpuE0ELNS1_3repE0EEENS1_30default_config_static_selectorELNS0_4arch9wavefront6targetE1EEEvT1_,"axG",@progbits,_ZN7rocprim17ROCPRIM_400000_NS6detail17trampoline_kernelINS0_14default_configENS1_25transform_config_selectorIdLb1EEEZNS1_14transform_implILb1ES3_S5_PdS7_NS0_8identityIdEEEE10hipError_tT2_T3_mT4_P12ihipStream_tbEUlT_E_NS1_11comp_targetILNS1_3genE0ELNS1_11target_archE4294967295ELNS1_3gpuE0ELNS1_3repE0EEENS1_30default_config_static_selectorELNS0_4arch9wavefront6targetE1EEEvT1_,comdat
.Lfunc_end1797:
	.size	_ZN7rocprim17ROCPRIM_400000_NS6detail17trampoline_kernelINS0_14default_configENS1_25transform_config_selectorIdLb1EEEZNS1_14transform_implILb1ES3_S5_PdS7_NS0_8identityIdEEEE10hipError_tT2_T3_mT4_P12ihipStream_tbEUlT_E_NS1_11comp_targetILNS1_3genE0ELNS1_11target_archE4294967295ELNS1_3gpuE0ELNS1_3repE0EEENS1_30default_config_static_selectorELNS0_4arch9wavefront6targetE1EEEvT1_, .Lfunc_end1797-_ZN7rocprim17ROCPRIM_400000_NS6detail17trampoline_kernelINS0_14default_configENS1_25transform_config_selectorIdLb1EEEZNS1_14transform_implILb1ES3_S5_PdS7_NS0_8identityIdEEEE10hipError_tT2_T3_mT4_P12ihipStream_tbEUlT_E_NS1_11comp_targetILNS1_3genE0ELNS1_11target_archE4294967295ELNS1_3gpuE0ELNS1_3repE0EEENS1_30default_config_static_selectorELNS0_4arch9wavefront6targetE1EEEvT1_
                                        ; -- End function
	.section	.AMDGPU.csdata,"",@progbits
; Kernel info:
; codeLenInByte = 0
; NumSgprs: 4
; NumVgprs: 0
; NumAgprs: 0
; TotalNumVgprs: 0
; ScratchSize: 0
; MemoryBound: 0
; FloatMode: 240
; IeeeMode: 1
; LDSByteSize: 0 bytes/workgroup (compile time only)
; SGPRBlocks: 0
; VGPRBlocks: 0
; NumSGPRsForWavesPerEU: 4
; NumVGPRsForWavesPerEU: 1
; AccumOffset: 4
; Occupancy: 8
; WaveLimiterHint : 0
; COMPUTE_PGM_RSRC2:SCRATCH_EN: 0
; COMPUTE_PGM_RSRC2:USER_SGPR: 6
; COMPUTE_PGM_RSRC2:TRAP_HANDLER: 0
; COMPUTE_PGM_RSRC2:TGID_X_EN: 1
; COMPUTE_PGM_RSRC2:TGID_Y_EN: 0
; COMPUTE_PGM_RSRC2:TGID_Z_EN: 0
; COMPUTE_PGM_RSRC2:TIDIG_COMP_CNT: 0
; COMPUTE_PGM_RSRC3_GFX90A:ACCUM_OFFSET: 0
; COMPUTE_PGM_RSRC3_GFX90A:TG_SPLIT: 0
	.section	.text._ZN7rocprim17ROCPRIM_400000_NS6detail17trampoline_kernelINS0_14default_configENS1_25transform_config_selectorIdLb1EEEZNS1_14transform_implILb1ES3_S5_PdS7_NS0_8identityIdEEEE10hipError_tT2_T3_mT4_P12ihipStream_tbEUlT_E_NS1_11comp_targetILNS1_3genE10ELNS1_11target_archE1201ELNS1_3gpuE5ELNS1_3repE0EEENS1_30default_config_static_selectorELNS0_4arch9wavefront6targetE1EEEvT1_,"axG",@progbits,_ZN7rocprim17ROCPRIM_400000_NS6detail17trampoline_kernelINS0_14default_configENS1_25transform_config_selectorIdLb1EEEZNS1_14transform_implILb1ES3_S5_PdS7_NS0_8identityIdEEEE10hipError_tT2_T3_mT4_P12ihipStream_tbEUlT_E_NS1_11comp_targetILNS1_3genE10ELNS1_11target_archE1201ELNS1_3gpuE5ELNS1_3repE0EEENS1_30default_config_static_selectorELNS0_4arch9wavefront6targetE1EEEvT1_,comdat
	.protected	_ZN7rocprim17ROCPRIM_400000_NS6detail17trampoline_kernelINS0_14default_configENS1_25transform_config_selectorIdLb1EEEZNS1_14transform_implILb1ES3_S5_PdS7_NS0_8identityIdEEEE10hipError_tT2_T3_mT4_P12ihipStream_tbEUlT_E_NS1_11comp_targetILNS1_3genE10ELNS1_11target_archE1201ELNS1_3gpuE5ELNS1_3repE0EEENS1_30default_config_static_selectorELNS0_4arch9wavefront6targetE1EEEvT1_ ; -- Begin function _ZN7rocprim17ROCPRIM_400000_NS6detail17trampoline_kernelINS0_14default_configENS1_25transform_config_selectorIdLb1EEEZNS1_14transform_implILb1ES3_S5_PdS7_NS0_8identityIdEEEE10hipError_tT2_T3_mT4_P12ihipStream_tbEUlT_E_NS1_11comp_targetILNS1_3genE10ELNS1_11target_archE1201ELNS1_3gpuE5ELNS1_3repE0EEENS1_30default_config_static_selectorELNS0_4arch9wavefront6targetE1EEEvT1_
	.globl	_ZN7rocprim17ROCPRIM_400000_NS6detail17trampoline_kernelINS0_14default_configENS1_25transform_config_selectorIdLb1EEEZNS1_14transform_implILb1ES3_S5_PdS7_NS0_8identityIdEEEE10hipError_tT2_T3_mT4_P12ihipStream_tbEUlT_E_NS1_11comp_targetILNS1_3genE10ELNS1_11target_archE1201ELNS1_3gpuE5ELNS1_3repE0EEENS1_30default_config_static_selectorELNS0_4arch9wavefront6targetE1EEEvT1_
	.p2align	8
	.type	_ZN7rocprim17ROCPRIM_400000_NS6detail17trampoline_kernelINS0_14default_configENS1_25transform_config_selectorIdLb1EEEZNS1_14transform_implILb1ES3_S5_PdS7_NS0_8identityIdEEEE10hipError_tT2_T3_mT4_P12ihipStream_tbEUlT_E_NS1_11comp_targetILNS1_3genE10ELNS1_11target_archE1201ELNS1_3gpuE5ELNS1_3repE0EEENS1_30default_config_static_selectorELNS0_4arch9wavefront6targetE1EEEvT1_,@function
_ZN7rocprim17ROCPRIM_400000_NS6detail17trampoline_kernelINS0_14default_configENS1_25transform_config_selectorIdLb1EEEZNS1_14transform_implILb1ES3_S5_PdS7_NS0_8identityIdEEEE10hipError_tT2_T3_mT4_P12ihipStream_tbEUlT_E_NS1_11comp_targetILNS1_3genE10ELNS1_11target_archE1201ELNS1_3gpuE5ELNS1_3repE0EEENS1_30default_config_static_selectorELNS0_4arch9wavefront6targetE1EEEvT1_: ; @_ZN7rocprim17ROCPRIM_400000_NS6detail17trampoline_kernelINS0_14default_configENS1_25transform_config_selectorIdLb1EEEZNS1_14transform_implILb1ES3_S5_PdS7_NS0_8identityIdEEEE10hipError_tT2_T3_mT4_P12ihipStream_tbEUlT_E_NS1_11comp_targetILNS1_3genE10ELNS1_11target_archE1201ELNS1_3gpuE5ELNS1_3repE0EEENS1_30default_config_static_selectorELNS0_4arch9wavefront6targetE1EEEvT1_
; %bb.0:
	.section	.rodata,"a",@progbits
	.p2align	6, 0x0
	.amdhsa_kernel _ZN7rocprim17ROCPRIM_400000_NS6detail17trampoline_kernelINS0_14default_configENS1_25transform_config_selectorIdLb1EEEZNS1_14transform_implILb1ES3_S5_PdS7_NS0_8identityIdEEEE10hipError_tT2_T3_mT4_P12ihipStream_tbEUlT_E_NS1_11comp_targetILNS1_3genE10ELNS1_11target_archE1201ELNS1_3gpuE5ELNS1_3repE0EEENS1_30default_config_static_selectorELNS0_4arch9wavefront6targetE1EEEvT1_
		.amdhsa_group_segment_fixed_size 0
		.amdhsa_private_segment_fixed_size 0
		.amdhsa_kernarg_size 40
		.amdhsa_user_sgpr_count 6
		.amdhsa_user_sgpr_private_segment_buffer 1
		.amdhsa_user_sgpr_dispatch_ptr 0
		.amdhsa_user_sgpr_queue_ptr 0
		.amdhsa_user_sgpr_kernarg_segment_ptr 1
		.amdhsa_user_sgpr_dispatch_id 0
		.amdhsa_user_sgpr_flat_scratch_init 0
		.amdhsa_user_sgpr_kernarg_preload_length 0
		.amdhsa_user_sgpr_kernarg_preload_offset 0
		.amdhsa_user_sgpr_private_segment_size 0
		.amdhsa_uses_dynamic_stack 0
		.amdhsa_system_sgpr_private_segment_wavefront_offset 0
		.amdhsa_system_sgpr_workgroup_id_x 1
		.amdhsa_system_sgpr_workgroup_id_y 0
		.amdhsa_system_sgpr_workgroup_id_z 0
		.amdhsa_system_sgpr_workgroup_info 0
		.amdhsa_system_vgpr_workitem_id 0
		.amdhsa_next_free_vgpr 1
		.amdhsa_next_free_sgpr 0
		.amdhsa_accum_offset 4
		.amdhsa_reserve_vcc 0
		.amdhsa_reserve_flat_scratch 0
		.amdhsa_float_round_mode_32 0
		.amdhsa_float_round_mode_16_64 0
		.amdhsa_float_denorm_mode_32 3
		.amdhsa_float_denorm_mode_16_64 3
		.amdhsa_dx10_clamp 1
		.amdhsa_ieee_mode 1
		.amdhsa_fp16_overflow 0
		.amdhsa_tg_split 0
		.amdhsa_exception_fp_ieee_invalid_op 0
		.amdhsa_exception_fp_denorm_src 0
		.amdhsa_exception_fp_ieee_div_zero 0
		.amdhsa_exception_fp_ieee_overflow 0
		.amdhsa_exception_fp_ieee_underflow 0
		.amdhsa_exception_fp_ieee_inexact 0
		.amdhsa_exception_int_div_zero 0
	.end_amdhsa_kernel
	.section	.text._ZN7rocprim17ROCPRIM_400000_NS6detail17trampoline_kernelINS0_14default_configENS1_25transform_config_selectorIdLb1EEEZNS1_14transform_implILb1ES3_S5_PdS7_NS0_8identityIdEEEE10hipError_tT2_T3_mT4_P12ihipStream_tbEUlT_E_NS1_11comp_targetILNS1_3genE10ELNS1_11target_archE1201ELNS1_3gpuE5ELNS1_3repE0EEENS1_30default_config_static_selectorELNS0_4arch9wavefront6targetE1EEEvT1_,"axG",@progbits,_ZN7rocprim17ROCPRIM_400000_NS6detail17trampoline_kernelINS0_14default_configENS1_25transform_config_selectorIdLb1EEEZNS1_14transform_implILb1ES3_S5_PdS7_NS0_8identityIdEEEE10hipError_tT2_T3_mT4_P12ihipStream_tbEUlT_E_NS1_11comp_targetILNS1_3genE10ELNS1_11target_archE1201ELNS1_3gpuE5ELNS1_3repE0EEENS1_30default_config_static_selectorELNS0_4arch9wavefront6targetE1EEEvT1_,comdat
.Lfunc_end1798:
	.size	_ZN7rocprim17ROCPRIM_400000_NS6detail17trampoline_kernelINS0_14default_configENS1_25transform_config_selectorIdLb1EEEZNS1_14transform_implILb1ES3_S5_PdS7_NS0_8identityIdEEEE10hipError_tT2_T3_mT4_P12ihipStream_tbEUlT_E_NS1_11comp_targetILNS1_3genE10ELNS1_11target_archE1201ELNS1_3gpuE5ELNS1_3repE0EEENS1_30default_config_static_selectorELNS0_4arch9wavefront6targetE1EEEvT1_, .Lfunc_end1798-_ZN7rocprim17ROCPRIM_400000_NS6detail17trampoline_kernelINS0_14default_configENS1_25transform_config_selectorIdLb1EEEZNS1_14transform_implILb1ES3_S5_PdS7_NS0_8identityIdEEEE10hipError_tT2_T3_mT4_P12ihipStream_tbEUlT_E_NS1_11comp_targetILNS1_3genE10ELNS1_11target_archE1201ELNS1_3gpuE5ELNS1_3repE0EEENS1_30default_config_static_selectorELNS0_4arch9wavefront6targetE1EEEvT1_
                                        ; -- End function
	.section	.AMDGPU.csdata,"",@progbits
; Kernel info:
; codeLenInByte = 0
; NumSgprs: 4
; NumVgprs: 0
; NumAgprs: 0
; TotalNumVgprs: 0
; ScratchSize: 0
; MemoryBound: 0
; FloatMode: 240
; IeeeMode: 1
; LDSByteSize: 0 bytes/workgroup (compile time only)
; SGPRBlocks: 0
; VGPRBlocks: 0
; NumSGPRsForWavesPerEU: 4
; NumVGPRsForWavesPerEU: 1
; AccumOffset: 4
; Occupancy: 8
; WaveLimiterHint : 0
; COMPUTE_PGM_RSRC2:SCRATCH_EN: 0
; COMPUTE_PGM_RSRC2:USER_SGPR: 6
; COMPUTE_PGM_RSRC2:TRAP_HANDLER: 0
; COMPUTE_PGM_RSRC2:TGID_X_EN: 1
; COMPUTE_PGM_RSRC2:TGID_Y_EN: 0
; COMPUTE_PGM_RSRC2:TGID_Z_EN: 0
; COMPUTE_PGM_RSRC2:TIDIG_COMP_CNT: 0
; COMPUTE_PGM_RSRC3_GFX90A:ACCUM_OFFSET: 0
; COMPUTE_PGM_RSRC3_GFX90A:TG_SPLIT: 0
	.section	.text._ZN7rocprim17ROCPRIM_400000_NS6detail17trampoline_kernelINS0_14default_configENS1_25transform_config_selectorIdLb1EEEZNS1_14transform_implILb1ES3_S5_PdS7_NS0_8identityIdEEEE10hipError_tT2_T3_mT4_P12ihipStream_tbEUlT_E_NS1_11comp_targetILNS1_3genE5ELNS1_11target_archE942ELNS1_3gpuE9ELNS1_3repE0EEENS1_30default_config_static_selectorELNS0_4arch9wavefront6targetE1EEEvT1_,"axG",@progbits,_ZN7rocprim17ROCPRIM_400000_NS6detail17trampoline_kernelINS0_14default_configENS1_25transform_config_selectorIdLb1EEEZNS1_14transform_implILb1ES3_S5_PdS7_NS0_8identityIdEEEE10hipError_tT2_T3_mT4_P12ihipStream_tbEUlT_E_NS1_11comp_targetILNS1_3genE5ELNS1_11target_archE942ELNS1_3gpuE9ELNS1_3repE0EEENS1_30default_config_static_selectorELNS0_4arch9wavefront6targetE1EEEvT1_,comdat
	.protected	_ZN7rocprim17ROCPRIM_400000_NS6detail17trampoline_kernelINS0_14default_configENS1_25transform_config_selectorIdLb1EEEZNS1_14transform_implILb1ES3_S5_PdS7_NS0_8identityIdEEEE10hipError_tT2_T3_mT4_P12ihipStream_tbEUlT_E_NS1_11comp_targetILNS1_3genE5ELNS1_11target_archE942ELNS1_3gpuE9ELNS1_3repE0EEENS1_30default_config_static_selectorELNS0_4arch9wavefront6targetE1EEEvT1_ ; -- Begin function _ZN7rocprim17ROCPRIM_400000_NS6detail17trampoline_kernelINS0_14default_configENS1_25transform_config_selectorIdLb1EEEZNS1_14transform_implILb1ES3_S5_PdS7_NS0_8identityIdEEEE10hipError_tT2_T3_mT4_P12ihipStream_tbEUlT_E_NS1_11comp_targetILNS1_3genE5ELNS1_11target_archE942ELNS1_3gpuE9ELNS1_3repE0EEENS1_30default_config_static_selectorELNS0_4arch9wavefront6targetE1EEEvT1_
	.globl	_ZN7rocprim17ROCPRIM_400000_NS6detail17trampoline_kernelINS0_14default_configENS1_25transform_config_selectorIdLb1EEEZNS1_14transform_implILb1ES3_S5_PdS7_NS0_8identityIdEEEE10hipError_tT2_T3_mT4_P12ihipStream_tbEUlT_E_NS1_11comp_targetILNS1_3genE5ELNS1_11target_archE942ELNS1_3gpuE9ELNS1_3repE0EEENS1_30default_config_static_selectorELNS0_4arch9wavefront6targetE1EEEvT1_
	.p2align	8
	.type	_ZN7rocprim17ROCPRIM_400000_NS6detail17trampoline_kernelINS0_14default_configENS1_25transform_config_selectorIdLb1EEEZNS1_14transform_implILb1ES3_S5_PdS7_NS0_8identityIdEEEE10hipError_tT2_T3_mT4_P12ihipStream_tbEUlT_E_NS1_11comp_targetILNS1_3genE5ELNS1_11target_archE942ELNS1_3gpuE9ELNS1_3repE0EEENS1_30default_config_static_selectorELNS0_4arch9wavefront6targetE1EEEvT1_,@function
_ZN7rocprim17ROCPRIM_400000_NS6detail17trampoline_kernelINS0_14default_configENS1_25transform_config_selectorIdLb1EEEZNS1_14transform_implILb1ES3_S5_PdS7_NS0_8identityIdEEEE10hipError_tT2_T3_mT4_P12ihipStream_tbEUlT_E_NS1_11comp_targetILNS1_3genE5ELNS1_11target_archE942ELNS1_3gpuE9ELNS1_3repE0EEENS1_30default_config_static_selectorELNS0_4arch9wavefront6targetE1EEEvT1_: ; @_ZN7rocprim17ROCPRIM_400000_NS6detail17trampoline_kernelINS0_14default_configENS1_25transform_config_selectorIdLb1EEEZNS1_14transform_implILb1ES3_S5_PdS7_NS0_8identityIdEEEE10hipError_tT2_T3_mT4_P12ihipStream_tbEUlT_E_NS1_11comp_targetILNS1_3genE5ELNS1_11target_archE942ELNS1_3gpuE9ELNS1_3repE0EEENS1_30default_config_static_selectorELNS0_4arch9wavefront6targetE1EEEvT1_
; %bb.0:
	.section	.rodata,"a",@progbits
	.p2align	6, 0x0
	.amdhsa_kernel _ZN7rocprim17ROCPRIM_400000_NS6detail17trampoline_kernelINS0_14default_configENS1_25transform_config_selectorIdLb1EEEZNS1_14transform_implILb1ES3_S5_PdS7_NS0_8identityIdEEEE10hipError_tT2_T3_mT4_P12ihipStream_tbEUlT_E_NS1_11comp_targetILNS1_3genE5ELNS1_11target_archE942ELNS1_3gpuE9ELNS1_3repE0EEENS1_30default_config_static_selectorELNS0_4arch9wavefront6targetE1EEEvT1_
		.amdhsa_group_segment_fixed_size 0
		.amdhsa_private_segment_fixed_size 0
		.amdhsa_kernarg_size 40
		.amdhsa_user_sgpr_count 6
		.amdhsa_user_sgpr_private_segment_buffer 1
		.amdhsa_user_sgpr_dispatch_ptr 0
		.amdhsa_user_sgpr_queue_ptr 0
		.amdhsa_user_sgpr_kernarg_segment_ptr 1
		.amdhsa_user_sgpr_dispatch_id 0
		.amdhsa_user_sgpr_flat_scratch_init 0
		.amdhsa_user_sgpr_kernarg_preload_length 0
		.amdhsa_user_sgpr_kernarg_preload_offset 0
		.amdhsa_user_sgpr_private_segment_size 0
		.amdhsa_uses_dynamic_stack 0
		.amdhsa_system_sgpr_private_segment_wavefront_offset 0
		.amdhsa_system_sgpr_workgroup_id_x 1
		.amdhsa_system_sgpr_workgroup_id_y 0
		.amdhsa_system_sgpr_workgroup_id_z 0
		.amdhsa_system_sgpr_workgroup_info 0
		.amdhsa_system_vgpr_workitem_id 0
		.amdhsa_next_free_vgpr 1
		.amdhsa_next_free_sgpr 0
		.amdhsa_accum_offset 4
		.amdhsa_reserve_vcc 0
		.amdhsa_reserve_flat_scratch 0
		.amdhsa_float_round_mode_32 0
		.amdhsa_float_round_mode_16_64 0
		.amdhsa_float_denorm_mode_32 3
		.amdhsa_float_denorm_mode_16_64 3
		.amdhsa_dx10_clamp 1
		.amdhsa_ieee_mode 1
		.amdhsa_fp16_overflow 0
		.amdhsa_tg_split 0
		.amdhsa_exception_fp_ieee_invalid_op 0
		.amdhsa_exception_fp_denorm_src 0
		.amdhsa_exception_fp_ieee_div_zero 0
		.amdhsa_exception_fp_ieee_overflow 0
		.amdhsa_exception_fp_ieee_underflow 0
		.amdhsa_exception_fp_ieee_inexact 0
		.amdhsa_exception_int_div_zero 0
	.end_amdhsa_kernel
	.section	.text._ZN7rocprim17ROCPRIM_400000_NS6detail17trampoline_kernelINS0_14default_configENS1_25transform_config_selectorIdLb1EEEZNS1_14transform_implILb1ES3_S5_PdS7_NS0_8identityIdEEEE10hipError_tT2_T3_mT4_P12ihipStream_tbEUlT_E_NS1_11comp_targetILNS1_3genE5ELNS1_11target_archE942ELNS1_3gpuE9ELNS1_3repE0EEENS1_30default_config_static_selectorELNS0_4arch9wavefront6targetE1EEEvT1_,"axG",@progbits,_ZN7rocprim17ROCPRIM_400000_NS6detail17trampoline_kernelINS0_14default_configENS1_25transform_config_selectorIdLb1EEEZNS1_14transform_implILb1ES3_S5_PdS7_NS0_8identityIdEEEE10hipError_tT2_T3_mT4_P12ihipStream_tbEUlT_E_NS1_11comp_targetILNS1_3genE5ELNS1_11target_archE942ELNS1_3gpuE9ELNS1_3repE0EEENS1_30default_config_static_selectorELNS0_4arch9wavefront6targetE1EEEvT1_,comdat
.Lfunc_end1799:
	.size	_ZN7rocprim17ROCPRIM_400000_NS6detail17trampoline_kernelINS0_14default_configENS1_25transform_config_selectorIdLb1EEEZNS1_14transform_implILb1ES3_S5_PdS7_NS0_8identityIdEEEE10hipError_tT2_T3_mT4_P12ihipStream_tbEUlT_E_NS1_11comp_targetILNS1_3genE5ELNS1_11target_archE942ELNS1_3gpuE9ELNS1_3repE0EEENS1_30default_config_static_selectorELNS0_4arch9wavefront6targetE1EEEvT1_, .Lfunc_end1799-_ZN7rocprim17ROCPRIM_400000_NS6detail17trampoline_kernelINS0_14default_configENS1_25transform_config_selectorIdLb1EEEZNS1_14transform_implILb1ES3_S5_PdS7_NS0_8identityIdEEEE10hipError_tT2_T3_mT4_P12ihipStream_tbEUlT_E_NS1_11comp_targetILNS1_3genE5ELNS1_11target_archE942ELNS1_3gpuE9ELNS1_3repE0EEENS1_30default_config_static_selectorELNS0_4arch9wavefront6targetE1EEEvT1_
                                        ; -- End function
	.section	.AMDGPU.csdata,"",@progbits
; Kernel info:
; codeLenInByte = 0
; NumSgprs: 4
; NumVgprs: 0
; NumAgprs: 0
; TotalNumVgprs: 0
; ScratchSize: 0
; MemoryBound: 0
; FloatMode: 240
; IeeeMode: 1
; LDSByteSize: 0 bytes/workgroup (compile time only)
; SGPRBlocks: 0
; VGPRBlocks: 0
; NumSGPRsForWavesPerEU: 4
; NumVGPRsForWavesPerEU: 1
; AccumOffset: 4
; Occupancy: 8
; WaveLimiterHint : 0
; COMPUTE_PGM_RSRC2:SCRATCH_EN: 0
; COMPUTE_PGM_RSRC2:USER_SGPR: 6
; COMPUTE_PGM_RSRC2:TRAP_HANDLER: 0
; COMPUTE_PGM_RSRC2:TGID_X_EN: 1
; COMPUTE_PGM_RSRC2:TGID_Y_EN: 0
; COMPUTE_PGM_RSRC2:TGID_Z_EN: 0
; COMPUTE_PGM_RSRC2:TIDIG_COMP_CNT: 0
; COMPUTE_PGM_RSRC3_GFX90A:ACCUM_OFFSET: 0
; COMPUTE_PGM_RSRC3_GFX90A:TG_SPLIT: 0
	.section	.text._ZN7rocprim17ROCPRIM_400000_NS6detail17trampoline_kernelINS0_14default_configENS1_25transform_config_selectorIdLb1EEEZNS1_14transform_implILb1ES3_S5_PdS7_NS0_8identityIdEEEE10hipError_tT2_T3_mT4_P12ihipStream_tbEUlT_E_NS1_11comp_targetILNS1_3genE4ELNS1_11target_archE910ELNS1_3gpuE8ELNS1_3repE0EEENS1_30default_config_static_selectorELNS0_4arch9wavefront6targetE1EEEvT1_,"axG",@progbits,_ZN7rocprim17ROCPRIM_400000_NS6detail17trampoline_kernelINS0_14default_configENS1_25transform_config_selectorIdLb1EEEZNS1_14transform_implILb1ES3_S5_PdS7_NS0_8identityIdEEEE10hipError_tT2_T3_mT4_P12ihipStream_tbEUlT_E_NS1_11comp_targetILNS1_3genE4ELNS1_11target_archE910ELNS1_3gpuE8ELNS1_3repE0EEENS1_30default_config_static_selectorELNS0_4arch9wavefront6targetE1EEEvT1_,comdat
	.protected	_ZN7rocprim17ROCPRIM_400000_NS6detail17trampoline_kernelINS0_14default_configENS1_25transform_config_selectorIdLb1EEEZNS1_14transform_implILb1ES3_S5_PdS7_NS0_8identityIdEEEE10hipError_tT2_T3_mT4_P12ihipStream_tbEUlT_E_NS1_11comp_targetILNS1_3genE4ELNS1_11target_archE910ELNS1_3gpuE8ELNS1_3repE0EEENS1_30default_config_static_selectorELNS0_4arch9wavefront6targetE1EEEvT1_ ; -- Begin function _ZN7rocprim17ROCPRIM_400000_NS6detail17trampoline_kernelINS0_14default_configENS1_25transform_config_selectorIdLb1EEEZNS1_14transform_implILb1ES3_S5_PdS7_NS0_8identityIdEEEE10hipError_tT2_T3_mT4_P12ihipStream_tbEUlT_E_NS1_11comp_targetILNS1_3genE4ELNS1_11target_archE910ELNS1_3gpuE8ELNS1_3repE0EEENS1_30default_config_static_selectorELNS0_4arch9wavefront6targetE1EEEvT1_
	.globl	_ZN7rocprim17ROCPRIM_400000_NS6detail17trampoline_kernelINS0_14default_configENS1_25transform_config_selectorIdLb1EEEZNS1_14transform_implILb1ES3_S5_PdS7_NS0_8identityIdEEEE10hipError_tT2_T3_mT4_P12ihipStream_tbEUlT_E_NS1_11comp_targetILNS1_3genE4ELNS1_11target_archE910ELNS1_3gpuE8ELNS1_3repE0EEENS1_30default_config_static_selectorELNS0_4arch9wavefront6targetE1EEEvT1_
	.p2align	8
	.type	_ZN7rocprim17ROCPRIM_400000_NS6detail17trampoline_kernelINS0_14default_configENS1_25transform_config_selectorIdLb1EEEZNS1_14transform_implILb1ES3_S5_PdS7_NS0_8identityIdEEEE10hipError_tT2_T3_mT4_P12ihipStream_tbEUlT_E_NS1_11comp_targetILNS1_3genE4ELNS1_11target_archE910ELNS1_3gpuE8ELNS1_3repE0EEENS1_30default_config_static_selectorELNS0_4arch9wavefront6targetE1EEEvT1_,@function
_ZN7rocprim17ROCPRIM_400000_NS6detail17trampoline_kernelINS0_14default_configENS1_25transform_config_selectorIdLb1EEEZNS1_14transform_implILb1ES3_S5_PdS7_NS0_8identityIdEEEE10hipError_tT2_T3_mT4_P12ihipStream_tbEUlT_E_NS1_11comp_targetILNS1_3genE4ELNS1_11target_archE910ELNS1_3gpuE8ELNS1_3repE0EEENS1_30default_config_static_selectorELNS0_4arch9wavefront6targetE1EEEvT1_: ; @_ZN7rocprim17ROCPRIM_400000_NS6detail17trampoline_kernelINS0_14default_configENS1_25transform_config_selectorIdLb1EEEZNS1_14transform_implILb1ES3_S5_PdS7_NS0_8identityIdEEEE10hipError_tT2_T3_mT4_P12ihipStream_tbEUlT_E_NS1_11comp_targetILNS1_3genE4ELNS1_11target_archE910ELNS1_3gpuE8ELNS1_3repE0EEENS1_30default_config_static_selectorELNS0_4arch9wavefront6targetE1EEEvT1_
; %bb.0:
	s_load_dwordx8 s[8:15], s[4:5], 0x0
	s_load_dword s2, s[4:5], 0x28
	s_waitcnt lgkmcnt(0)
	s_lshl_b64 s[0:1], s[10:11], 3
	s_add_u32 s4, s8, s0
	s_addc_u32 s5, s9, s1
	s_add_u32 s8, s14, s0
	s_addc_u32 s9, s15, s1
	s_lshl_b32 s0, s6, 11
	s_mov_b32 s1, 0
	s_add_i32 s7, s2, -1
	s_lshl_b64 s[2:3], s[0:1], 3
	s_add_u32 s4, s4, s2
	s_addc_u32 s5, s5, s3
	s_cmp_lg_u32 s6, s7
	s_mov_b64 s[6:7], -1
	s_cbranch_scc0 .LBB1800_2
; %bb.1:
	v_lshlrev_b32_e32 v1, 4, v0
	global_load_dwordx4 v[2:5], v1, s[4:5]
	s_add_u32 s6, s8, s2
	s_addc_u32 s7, s9, s3
	s_waitcnt vmcnt(0)
	global_store_dwordx4 v1, v[2:5], s[6:7]
	s_mov_b64 s[6:7], 0
.LBB1800_2:
	s_andn2_b64 vcc, exec, s[6:7]
	s_cbranch_vccnz .LBB1800_11
; %bb.3:
	s_sub_i32 s6, s12, s0
	v_cmp_gt_u32_e32 vcc, s6, v0
	v_lshlrev_b32_e32 v1, 3, v0
                                        ; implicit-def: $vgpr2_vgpr3_vgpr4_vgpr5
	s_and_saveexec_b64 s[0:1], vcc
	s_cbranch_execz .LBB1800_5
; %bb.4:
	global_load_dwordx2 v[2:3], v1, s[4:5]
.LBB1800_5:
	s_or_b64 exec, exec, s[0:1]
	v_or_b32_e32 v0, 0x400, v0
	v_cmp_gt_u32_e64 s[0:1], s6, v0
	s_and_saveexec_b64 s[6:7], s[0:1]
	s_cbranch_execz .LBB1800_7
; %bb.6:
	v_lshlrev_b32_e32 v0, 3, v0
	global_load_dwordx2 v[4:5], v0, s[4:5]
.LBB1800_7:
	s_or_b64 exec, exec, s[6:7]
	s_add_u32 s2, s8, s2
	s_addc_u32 s3, s9, s3
	v_mov_b32_e32 v6, s3
	v_add_co_u32_e64 v0, s[2:3], s2, v1
	v_addc_co_u32_e64 v1, s[2:3], 0, v6, s[2:3]
	s_and_saveexec_b64 s[2:3], vcc
	s_cbranch_execz .LBB1800_9
; %bb.8:
	s_waitcnt vmcnt(0)
	global_store_dwordx2 v[0:1], v[2:3], off
.LBB1800_9:
	s_or_b64 exec, exec, s[2:3]
	s_and_saveexec_b64 s[2:3], s[0:1]
	s_cbranch_execz .LBB1800_11
; %bb.10:
	v_add_co_u32_e32 v0, vcc, 0x2000, v0
	v_addc_co_u32_e32 v1, vcc, 0, v1, vcc
	s_waitcnt vmcnt(0)
	global_store_dwordx2 v[0:1], v[4:5], off
.LBB1800_11:
	s_endpgm
	.section	.rodata,"a",@progbits
	.p2align	6, 0x0
	.amdhsa_kernel _ZN7rocprim17ROCPRIM_400000_NS6detail17trampoline_kernelINS0_14default_configENS1_25transform_config_selectorIdLb1EEEZNS1_14transform_implILb1ES3_S5_PdS7_NS0_8identityIdEEEE10hipError_tT2_T3_mT4_P12ihipStream_tbEUlT_E_NS1_11comp_targetILNS1_3genE4ELNS1_11target_archE910ELNS1_3gpuE8ELNS1_3repE0EEENS1_30default_config_static_selectorELNS0_4arch9wavefront6targetE1EEEvT1_
		.amdhsa_group_segment_fixed_size 0
		.amdhsa_private_segment_fixed_size 0
		.amdhsa_kernarg_size 296
		.amdhsa_user_sgpr_count 6
		.amdhsa_user_sgpr_private_segment_buffer 1
		.amdhsa_user_sgpr_dispatch_ptr 0
		.amdhsa_user_sgpr_queue_ptr 0
		.amdhsa_user_sgpr_kernarg_segment_ptr 1
		.amdhsa_user_sgpr_dispatch_id 0
		.amdhsa_user_sgpr_flat_scratch_init 0
		.amdhsa_user_sgpr_kernarg_preload_length 0
		.amdhsa_user_sgpr_kernarg_preload_offset 0
		.amdhsa_user_sgpr_private_segment_size 0
		.amdhsa_uses_dynamic_stack 0
		.amdhsa_system_sgpr_private_segment_wavefront_offset 0
		.amdhsa_system_sgpr_workgroup_id_x 1
		.amdhsa_system_sgpr_workgroup_id_y 0
		.amdhsa_system_sgpr_workgroup_id_z 0
		.amdhsa_system_sgpr_workgroup_info 0
		.amdhsa_system_vgpr_workitem_id 0
		.amdhsa_next_free_vgpr 7
		.amdhsa_next_free_sgpr 16
		.amdhsa_accum_offset 8
		.amdhsa_reserve_vcc 1
		.amdhsa_reserve_flat_scratch 0
		.amdhsa_float_round_mode_32 0
		.amdhsa_float_round_mode_16_64 0
		.amdhsa_float_denorm_mode_32 3
		.amdhsa_float_denorm_mode_16_64 3
		.amdhsa_dx10_clamp 1
		.amdhsa_ieee_mode 1
		.amdhsa_fp16_overflow 0
		.amdhsa_tg_split 0
		.amdhsa_exception_fp_ieee_invalid_op 0
		.amdhsa_exception_fp_denorm_src 0
		.amdhsa_exception_fp_ieee_div_zero 0
		.amdhsa_exception_fp_ieee_overflow 0
		.amdhsa_exception_fp_ieee_underflow 0
		.amdhsa_exception_fp_ieee_inexact 0
		.amdhsa_exception_int_div_zero 0
	.end_amdhsa_kernel
	.section	.text._ZN7rocprim17ROCPRIM_400000_NS6detail17trampoline_kernelINS0_14default_configENS1_25transform_config_selectorIdLb1EEEZNS1_14transform_implILb1ES3_S5_PdS7_NS0_8identityIdEEEE10hipError_tT2_T3_mT4_P12ihipStream_tbEUlT_E_NS1_11comp_targetILNS1_3genE4ELNS1_11target_archE910ELNS1_3gpuE8ELNS1_3repE0EEENS1_30default_config_static_selectorELNS0_4arch9wavefront6targetE1EEEvT1_,"axG",@progbits,_ZN7rocprim17ROCPRIM_400000_NS6detail17trampoline_kernelINS0_14default_configENS1_25transform_config_selectorIdLb1EEEZNS1_14transform_implILb1ES3_S5_PdS7_NS0_8identityIdEEEE10hipError_tT2_T3_mT4_P12ihipStream_tbEUlT_E_NS1_11comp_targetILNS1_3genE4ELNS1_11target_archE910ELNS1_3gpuE8ELNS1_3repE0EEENS1_30default_config_static_selectorELNS0_4arch9wavefront6targetE1EEEvT1_,comdat
.Lfunc_end1800:
	.size	_ZN7rocprim17ROCPRIM_400000_NS6detail17trampoline_kernelINS0_14default_configENS1_25transform_config_selectorIdLb1EEEZNS1_14transform_implILb1ES3_S5_PdS7_NS0_8identityIdEEEE10hipError_tT2_T3_mT4_P12ihipStream_tbEUlT_E_NS1_11comp_targetILNS1_3genE4ELNS1_11target_archE910ELNS1_3gpuE8ELNS1_3repE0EEENS1_30default_config_static_selectorELNS0_4arch9wavefront6targetE1EEEvT1_, .Lfunc_end1800-_ZN7rocprim17ROCPRIM_400000_NS6detail17trampoline_kernelINS0_14default_configENS1_25transform_config_selectorIdLb1EEEZNS1_14transform_implILb1ES3_S5_PdS7_NS0_8identityIdEEEE10hipError_tT2_T3_mT4_P12ihipStream_tbEUlT_E_NS1_11comp_targetILNS1_3genE4ELNS1_11target_archE910ELNS1_3gpuE8ELNS1_3repE0EEENS1_30default_config_static_selectorELNS0_4arch9wavefront6targetE1EEEvT1_
                                        ; -- End function
	.section	.AMDGPU.csdata,"",@progbits
; Kernel info:
; codeLenInByte = 280
; NumSgprs: 20
; NumVgprs: 7
; NumAgprs: 0
; TotalNumVgprs: 7
; ScratchSize: 0
; MemoryBound: 1
; FloatMode: 240
; IeeeMode: 1
; LDSByteSize: 0 bytes/workgroup (compile time only)
; SGPRBlocks: 2
; VGPRBlocks: 0
; NumSGPRsForWavesPerEU: 20
; NumVGPRsForWavesPerEU: 7
; AccumOffset: 8
; Occupancy: 8
; WaveLimiterHint : 0
; COMPUTE_PGM_RSRC2:SCRATCH_EN: 0
; COMPUTE_PGM_RSRC2:USER_SGPR: 6
; COMPUTE_PGM_RSRC2:TRAP_HANDLER: 0
; COMPUTE_PGM_RSRC2:TGID_X_EN: 1
; COMPUTE_PGM_RSRC2:TGID_Y_EN: 0
; COMPUTE_PGM_RSRC2:TGID_Z_EN: 0
; COMPUTE_PGM_RSRC2:TIDIG_COMP_CNT: 0
; COMPUTE_PGM_RSRC3_GFX90A:ACCUM_OFFSET: 1
; COMPUTE_PGM_RSRC3_GFX90A:TG_SPLIT: 0
	.section	.text._ZN7rocprim17ROCPRIM_400000_NS6detail17trampoline_kernelINS0_14default_configENS1_25transform_config_selectorIdLb1EEEZNS1_14transform_implILb1ES3_S5_PdS7_NS0_8identityIdEEEE10hipError_tT2_T3_mT4_P12ihipStream_tbEUlT_E_NS1_11comp_targetILNS1_3genE3ELNS1_11target_archE908ELNS1_3gpuE7ELNS1_3repE0EEENS1_30default_config_static_selectorELNS0_4arch9wavefront6targetE1EEEvT1_,"axG",@progbits,_ZN7rocprim17ROCPRIM_400000_NS6detail17trampoline_kernelINS0_14default_configENS1_25transform_config_selectorIdLb1EEEZNS1_14transform_implILb1ES3_S5_PdS7_NS0_8identityIdEEEE10hipError_tT2_T3_mT4_P12ihipStream_tbEUlT_E_NS1_11comp_targetILNS1_3genE3ELNS1_11target_archE908ELNS1_3gpuE7ELNS1_3repE0EEENS1_30default_config_static_selectorELNS0_4arch9wavefront6targetE1EEEvT1_,comdat
	.protected	_ZN7rocprim17ROCPRIM_400000_NS6detail17trampoline_kernelINS0_14default_configENS1_25transform_config_selectorIdLb1EEEZNS1_14transform_implILb1ES3_S5_PdS7_NS0_8identityIdEEEE10hipError_tT2_T3_mT4_P12ihipStream_tbEUlT_E_NS1_11comp_targetILNS1_3genE3ELNS1_11target_archE908ELNS1_3gpuE7ELNS1_3repE0EEENS1_30default_config_static_selectorELNS0_4arch9wavefront6targetE1EEEvT1_ ; -- Begin function _ZN7rocprim17ROCPRIM_400000_NS6detail17trampoline_kernelINS0_14default_configENS1_25transform_config_selectorIdLb1EEEZNS1_14transform_implILb1ES3_S5_PdS7_NS0_8identityIdEEEE10hipError_tT2_T3_mT4_P12ihipStream_tbEUlT_E_NS1_11comp_targetILNS1_3genE3ELNS1_11target_archE908ELNS1_3gpuE7ELNS1_3repE0EEENS1_30default_config_static_selectorELNS0_4arch9wavefront6targetE1EEEvT1_
	.globl	_ZN7rocprim17ROCPRIM_400000_NS6detail17trampoline_kernelINS0_14default_configENS1_25transform_config_selectorIdLb1EEEZNS1_14transform_implILb1ES3_S5_PdS7_NS0_8identityIdEEEE10hipError_tT2_T3_mT4_P12ihipStream_tbEUlT_E_NS1_11comp_targetILNS1_3genE3ELNS1_11target_archE908ELNS1_3gpuE7ELNS1_3repE0EEENS1_30default_config_static_selectorELNS0_4arch9wavefront6targetE1EEEvT1_
	.p2align	8
	.type	_ZN7rocprim17ROCPRIM_400000_NS6detail17trampoline_kernelINS0_14default_configENS1_25transform_config_selectorIdLb1EEEZNS1_14transform_implILb1ES3_S5_PdS7_NS0_8identityIdEEEE10hipError_tT2_T3_mT4_P12ihipStream_tbEUlT_E_NS1_11comp_targetILNS1_3genE3ELNS1_11target_archE908ELNS1_3gpuE7ELNS1_3repE0EEENS1_30default_config_static_selectorELNS0_4arch9wavefront6targetE1EEEvT1_,@function
_ZN7rocprim17ROCPRIM_400000_NS6detail17trampoline_kernelINS0_14default_configENS1_25transform_config_selectorIdLb1EEEZNS1_14transform_implILb1ES3_S5_PdS7_NS0_8identityIdEEEE10hipError_tT2_T3_mT4_P12ihipStream_tbEUlT_E_NS1_11comp_targetILNS1_3genE3ELNS1_11target_archE908ELNS1_3gpuE7ELNS1_3repE0EEENS1_30default_config_static_selectorELNS0_4arch9wavefront6targetE1EEEvT1_: ; @_ZN7rocprim17ROCPRIM_400000_NS6detail17trampoline_kernelINS0_14default_configENS1_25transform_config_selectorIdLb1EEEZNS1_14transform_implILb1ES3_S5_PdS7_NS0_8identityIdEEEE10hipError_tT2_T3_mT4_P12ihipStream_tbEUlT_E_NS1_11comp_targetILNS1_3genE3ELNS1_11target_archE908ELNS1_3gpuE7ELNS1_3repE0EEENS1_30default_config_static_selectorELNS0_4arch9wavefront6targetE1EEEvT1_
; %bb.0:
	.section	.rodata,"a",@progbits
	.p2align	6, 0x0
	.amdhsa_kernel _ZN7rocprim17ROCPRIM_400000_NS6detail17trampoline_kernelINS0_14default_configENS1_25transform_config_selectorIdLb1EEEZNS1_14transform_implILb1ES3_S5_PdS7_NS0_8identityIdEEEE10hipError_tT2_T3_mT4_P12ihipStream_tbEUlT_E_NS1_11comp_targetILNS1_3genE3ELNS1_11target_archE908ELNS1_3gpuE7ELNS1_3repE0EEENS1_30default_config_static_selectorELNS0_4arch9wavefront6targetE1EEEvT1_
		.amdhsa_group_segment_fixed_size 0
		.amdhsa_private_segment_fixed_size 0
		.amdhsa_kernarg_size 40
		.amdhsa_user_sgpr_count 6
		.amdhsa_user_sgpr_private_segment_buffer 1
		.amdhsa_user_sgpr_dispatch_ptr 0
		.amdhsa_user_sgpr_queue_ptr 0
		.amdhsa_user_sgpr_kernarg_segment_ptr 1
		.amdhsa_user_sgpr_dispatch_id 0
		.amdhsa_user_sgpr_flat_scratch_init 0
		.amdhsa_user_sgpr_kernarg_preload_length 0
		.amdhsa_user_sgpr_kernarg_preload_offset 0
		.amdhsa_user_sgpr_private_segment_size 0
		.amdhsa_uses_dynamic_stack 0
		.amdhsa_system_sgpr_private_segment_wavefront_offset 0
		.amdhsa_system_sgpr_workgroup_id_x 1
		.amdhsa_system_sgpr_workgroup_id_y 0
		.amdhsa_system_sgpr_workgroup_id_z 0
		.amdhsa_system_sgpr_workgroup_info 0
		.amdhsa_system_vgpr_workitem_id 0
		.amdhsa_next_free_vgpr 1
		.amdhsa_next_free_sgpr 0
		.amdhsa_accum_offset 4
		.amdhsa_reserve_vcc 0
		.amdhsa_reserve_flat_scratch 0
		.amdhsa_float_round_mode_32 0
		.amdhsa_float_round_mode_16_64 0
		.amdhsa_float_denorm_mode_32 3
		.amdhsa_float_denorm_mode_16_64 3
		.amdhsa_dx10_clamp 1
		.amdhsa_ieee_mode 1
		.amdhsa_fp16_overflow 0
		.amdhsa_tg_split 0
		.amdhsa_exception_fp_ieee_invalid_op 0
		.amdhsa_exception_fp_denorm_src 0
		.amdhsa_exception_fp_ieee_div_zero 0
		.amdhsa_exception_fp_ieee_overflow 0
		.amdhsa_exception_fp_ieee_underflow 0
		.amdhsa_exception_fp_ieee_inexact 0
		.amdhsa_exception_int_div_zero 0
	.end_amdhsa_kernel
	.section	.text._ZN7rocprim17ROCPRIM_400000_NS6detail17trampoline_kernelINS0_14default_configENS1_25transform_config_selectorIdLb1EEEZNS1_14transform_implILb1ES3_S5_PdS7_NS0_8identityIdEEEE10hipError_tT2_T3_mT4_P12ihipStream_tbEUlT_E_NS1_11comp_targetILNS1_3genE3ELNS1_11target_archE908ELNS1_3gpuE7ELNS1_3repE0EEENS1_30default_config_static_selectorELNS0_4arch9wavefront6targetE1EEEvT1_,"axG",@progbits,_ZN7rocprim17ROCPRIM_400000_NS6detail17trampoline_kernelINS0_14default_configENS1_25transform_config_selectorIdLb1EEEZNS1_14transform_implILb1ES3_S5_PdS7_NS0_8identityIdEEEE10hipError_tT2_T3_mT4_P12ihipStream_tbEUlT_E_NS1_11comp_targetILNS1_3genE3ELNS1_11target_archE908ELNS1_3gpuE7ELNS1_3repE0EEENS1_30default_config_static_selectorELNS0_4arch9wavefront6targetE1EEEvT1_,comdat
.Lfunc_end1801:
	.size	_ZN7rocprim17ROCPRIM_400000_NS6detail17trampoline_kernelINS0_14default_configENS1_25transform_config_selectorIdLb1EEEZNS1_14transform_implILb1ES3_S5_PdS7_NS0_8identityIdEEEE10hipError_tT2_T3_mT4_P12ihipStream_tbEUlT_E_NS1_11comp_targetILNS1_3genE3ELNS1_11target_archE908ELNS1_3gpuE7ELNS1_3repE0EEENS1_30default_config_static_selectorELNS0_4arch9wavefront6targetE1EEEvT1_, .Lfunc_end1801-_ZN7rocprim17ROCPRIM_400000_NS6detail17trampoline_kernelINS0_14default_configENS1_25transform_config_selectorIdLb1EEEZNS1_14transform_implILb1ES3_S5_PdS7_NS0_8identityIdEEEE10hipError_tT2_T3_mT4_P12ihipStream_tbEUlT_E_NS1_11comp_targetILNS1_3genE3ELNS1_11target_archE908ELNS1_3gpuE7ELNS1_3repE0EEENS1_30default_config_static_selectorELNS0_4arch9wavefront6targetE1EEEvT1_
                                        ; -- End function
	.section	.AMDGPU.csdata,"",@progbits
; Kernel info:
; codeLenInByte = 0
; NumSgprs: 4
; NumVgprs: 0
; NumAgprs: 0
; TotalNumVgprs: 0
; ScratchSize: 0
; MemoryBound: 0
; FloatMode: 240
; IeeeMode: 1
; LDSByteSize: 0 bytes/workgroup (compile time only)
; SGPRBlocks: 0
; VGPRBlocks: 0
; NumSGPRsForWavesPerEU: 4
; NumVGPRsForWavesPerEU: 1
; AccumOffset: 4
; Occupancy: 8
; WaveLimiterHint : 0
; COMPUTE_PGM_RSRC2:SCRATCH_EN: 0
; COMPUTE_PGM_RSRC2:USER_SGPR: 6
; COMPUTE_PGM_RSRC2:TRAP_HANDLER: 0
; COMPUTE_PGM_RSRC2:TGID_X_EN: 1
; COMPUTE_PGM_RSRC2:TGID_Y_EN: 0
; COMPUTE_PGM_RSRC2:TGID_Z_EN: 0
; COMPUTE_PGM_RSRC2:TIDIG_COMP_CNT: 0
; COMPUTE_PGM_RSRC3_GFX90A:ACCUM_OFFSET: 0
; COMPUTE_PGM_RSRC3_GFX90A:TG_SPLIT: 0
	.section	.text._ZN7rocprim17ROCPRIM_400000_NS6detail17trampoline_kernelINS0_14default_configENS1_25transform_config_selectorIdLb1EEEZNS1_14transform_implILb1ES3_S5_PdS7_NS0_8identityIdEEEE10hipError_tT2_T3_mT4_P12ihipStream_tbEUlT_E_NS1_11comp_targetILNS1_3genE2ELNS1_11target_archE906ELNS1_3gpuE6ELNS1_3repE0EEENS1_30default_config_static_selectorELNS0_4arch9wavefront6targetE1EEEvT1_,"axG",@progbits,_ZN7rocprim17ROCPRIM_400000_NS6detail17trampoline_kernelINS0_14default_configENS1_25transform_config_selectorIdLb1EEEZNS1_14transform_implILb1ES3_S5_PdS7_NS0_8identityIdEEEE10hipError_tT2_T3_mT4_P12ihipStream_tbEUlT_E_NS1_11comp_targetILNS1_3genE2ELNS1_11target_archE906ELNS1_3gpuE6ELNS1_3repE0EEENS1_30default_config_static_selectorELNS0_4arch9wavefront6targetE1EEEvT1_,comdat
	.protected	_ZN7rocprim17ROCPRIM_400000_NS6detail17trampoline_kernelINS0_14default_configENS1_25transform_config_selectorIdLb1EEEZNS1_14transform_implILb1ES3_S5_PdS7_NS0_8identityIdEEEE10hipError_tT2_T3_mT4_P12ihipStream_tbEUlT_E_NS1_11comp_targetILNS1_3genE2ELNS1_11target_archE906ELNS1_3gpuE6ELNS1_3repE0EEENS1_30default_config_static_selectorELNS0_4arch9wavefront6targetE1EEEvT1_ ; -- Begin function _ZN7rocprim17ROCPRIM_400000_NS6detail17trampoline_kernelINS0_14default_configENS1_25transform_config_selectorIdLb1EEEZNS1_14transform_implILb1ES3_S5_PdS7_NS0_8identityIdEEEE10hipError_tT2_T3_mT4_P12ihipStream_tbEUlT_E_NS1_11comp_targetILNS1_3genE2ELNS1_11target_archE906ELNS1_3gpuE6ELNS1_3repE0EEENS1_30default_config_static_selectorELNS0_4arch9wavefront6targetE1EEEvT1_
	.globl	_ZN7rocprim17ROCPRIM_400000_NS6detail17trampoline_kernelINS0_14default_configENS1_25transform_config_selectorIdLb1EEEZNS1_14transform_implILb1ES3_S5_PdS7_NS0_8identityIdEEEE10hipError_tT2_T3_mT4_P12ihipStream_tbEUlT_E_NS1_11comp_targetILNS1_3genE2ELNS1_11target_archE906ELNS1_3gpuE6ELNS1_3repE0EEENS1_30default_config_static_selectorELNS0_4arch9wavefront6targetE1EEEvT1_
	.p2align	8
	.type	_ZN7rocprim17ROCPRIM_400000_NS6detail17trampoline_kernelINS0_14default_configENS1_25transform_config_selectorIdLb1EEEZNS1_14transform_implILb1ES3_S5_PdS7_NS0_8identityIdEEEE10hipError_tT2_T3_mT4_P12ihipStream_tbEUlT_E_NS1_11comp_targetILNS1_3genE2ELNS1_11target_archE906ELNS1_3gpuE6ELNS1_3repE0EEENS1_30default_config_static_selectorELNS0_4arch9wavefront6targetE1EEEvT1_,@function
_ZN7rocprim17ROCPRIM_400000_NS6detail17trampoline_kernelINS0_14default_configENS1_25transform_config_selectorIdLb1EEEZNS1_14transform_implILb1ES3_S5_PdS7_NS0_8identityIdEEEE10hipError_tT2_T3_mT4_P12ihipStream_tbEUlT_E_NS1_11comp_targetILNS1_3genE2ELNS1_11target_archE906ELNS1_3gpuE6ELNS1_3repE0EEENS1_30default_config_static_selectorELNS0_4arch9wavefront6targetE1EEEvT1_: ; @_ZN7rocprim17ROCPRIM_400000_NS6detail17trampoline_kernelINS0_14default_configENS1_25transform_config_selectorIdLb1EEEZNS1_14transform_implILb1ES3_S5_PdS7_NS0_8identityIdEEEE10hipError_tT2_T3_mT4_P12ihipStream_tbEUlT_E_NS1_11comp_targetILNS1_3genE2ELNS1_11target_archE906ELNS1_3gpuE6ELNS1_3repE0EEENS1_30default_config_static_selectorELNS0_4arch9wavefront6targetE1EEEvT1_
; %bb.0:
	.section	.rodata,"a",@progbits
	.p2align	6, 0x0
	.amdhsa_kernel _ZN7rocprim17ROCPRIM_400000_NS6detail17trampoline_kernelINS0_14default_configENS1_25transform_config_selectorIdLb1EEEZNS1_14transform_implILb1ES3_S5_PdS7_NS0_8identityIdEEEE10hipError_tT2_T3_mT4_P12ihipStream_tbEUlT_E_NS1_11comp_targetILNS1_3genE2ELNS1_11target_archE906ELNS1_3gpuE6ELNS1_3repE0EEENS1_30default_config_static_selectorELNS0_4arch9wavefront6targetE1EEEvT1_
		.amdhsa_group_segment_fixed_size 0
		.amdhsa_private_segment_fixed_size 0
		.amdhsa_kernarg_size 40
		.amdhsa_user_sgpr_count 6
		.amdhsa_user_sgpr_private_segment_buffer 1
		.amdhsa_user_sgpr_dispatch_ptr 0
		.amdhsa_user_sgpr_queue_ptr 0
		.amdhsa_user_sgpr_kernarg_segment_ptr 1
		.amdhsa_user_sgpr_dispatch_id 0
		.amdhsa_user_sgpr_flat_scratch_init 0
		.amdhsa_user_sgpr_kernarg_preload_length 0
		.amdhsa_user_sgpr_kernarg_preload_offset 0
		.amdhsa_user_sgpr_private_segment_size 0
		.amdhsa_uses_dynamic_stack 0
		.amdhsa_system_sgpr_private_segment_wavefront_offset 0
		.amdhsa_system_sgpr_workgroup_id_x 1
		.amdhsa_system_sgpr_workgroup_id_y 0
		.amdhsa_system_sgpr_workgroup_id_z 0
		.amdhsa_system_sgpr_workgroup_info 0
		.amdhsa_system_vgpr_workitem_id 0
		.amdhsa_next_free_vgpr 1
		.amdhsa_next_free_sgpr 0
		.amdhsa_accum_offset 4
		.amdhsa_reserve_vcc 0
		.amdhsa_reserve_flat_scratch 0
		.amdhsa_float_round_mode_32 0
		.amdhsa_float_round_mode_16_64 0
		.amdhsa_float_denorm_mode_32 3
		.amdhsa_float_denorm_mode_16_64 3
		.amdhsa_dx10_clamp 1
		.amdhsa_ieee_mode 1
		.amdhsa_fp16_overflow 0
		.amdhsa_tg_split 0
		.amdhsa_exception_fp_ieee_invalid_op 0
		.amdhsa_exception_fp_denorm_src 0
		.amdhsa_exception_fp_ieee_div_zero 0
		.amdhsa_exception_fp_ieee_overflow 0
		.amdhsa_exception_fp_ieee_underflow 0
		.amdhsa_exception_fp_ieee_inexact 0
		.amdhsa_exception_int_div_zero 0
	.end_amdhsa_kernel
	.section	.text._ZN7rocprim17ROCPRIM_400000_NS6detail17trampoline_kernelINS0_14default_configENS1_25transform_config_selectorIdLb1EEEZNS1_14transform_implILb1ES3_S5_PdS7_NS0_8identityIdEEEE10hipError_tT2_T3_mT4_P12ihipStream_tbEUlT_E_NS1_11comp_targetILNS1_3genE2ELNS1_11target_archE906ELNS1_3gpuE6ELNS1_3repE0EEENS1_30default_config_static_selectorELNS0_4arch9wavefront6targetE1EEEvT1_,"axG",@progbits,_ZN7rocprim17ROCPRIM_400000_NS6detail17trampoline_kernelINS0_14default_configENS1_25transform_config_selectorIdLb1EEEZNS1_14transform_implILb1ES3_S5_PdS7_NS0_8identityIdEEEE10hipError_tT2_T3_mT4_P12ihipStream_tbEUlT_E_NS1_11comp_targetILNS1_3genE2ELNS1_11target_archE906ELNS1_3gpuE6ELNS1_3repE0EEENS1_30default_config_static_selectorELNS0_4arch9wavefront6targetE1EEEvT1_,comdat
.Lfunc_end1802:
	.size	_ZN7rocprim17ROCPRIM_400000_NS6detail17trampoline_kernelINS0_14default_configENS1_25transform_config_selectorIdLb1EEEZNS1_14transform_implILb1ES3_S5_PdS7_NS0_8identityIdEEEE10hipError_tT2_T3_mT4_P12ihipStream_tbEUlT_E_NS1_11comp_targetILNS1_3genE2ELNS1_11target_archE906ELNS1_3gpuE6ELNS1_3repE0EEENS1_30default_config_static_selectorELNS0_4arch9wavefront6targetE1EEEvT1_, .Lfunc_end1802-_ZN7rocprim17ROCPRIM_400000_NS6detail17trampoline_kernelINS0_14default_configENS1_25transform_config_selectorIdLb1EEEZNS1_14transform_implILb1ES3_S5_PdS7_NS0_8identityIdEEEE10hipError_tT2_T3_mT4_P12ihipStream_tbEUlT_E_NS1_11comp_targetILNS1_3genE2ELNS1_11target_archE906ELNS1_3gpuE6ELNS1_3repE0EEENS1_30default_config_static_selectorELNS0_4arch9wavefront6targetE1EEEvT1_
                                        ; -- End function
	.section	.AMDGPU.csdata,"",@progbits
; Kernel info:
; codeLenInByte = 0
; NumSgprs: 4
; NumVgprs: 0
; NumAgprs: 0
; TotalNumVgprs: 0
; ScratchSize: 0
; MemoryBound: 0
; FloatMode: 240
; IeeeMode: 1
; LDSByteSize: 0 bytes/workgroup (compile time only)
; SGPRBlocks: 0
; VGPRBlocks: 0
; NumSGPRsForWavesPerEU: 4
; NumVGPRsForWavesPerEU: 1
; AccumOffset: 4
; Occupancy: 8
; WaveLimiterHint : 0
; COMPUTE_PGM_RSRC2:SCRATCH_EN: 0
; COMPUTE_PGM_RSRC2:USER_SGPR: 6
; COMPUTE_PGM_RSRC2:TRAP_HANDLER: 0
; COMPUTE_PGM_RSRC2:TGID_X_EN: 1
; COMPUTE_PGM_RSRC2:TGID_Y_EN: 0
; COMPUTE_PGM_RSRC2:TGID_Z_EN: 0
; COMPUTE_PGM_RSRC2:TIDIG_COMP_CNT: 0
; COMPUTE_PGM_RSRC3_GFX90A:ACCUM_OFFSET: 0
; COMPUTE_PGM_RSRC3_GFX90A:TG_SPLIT: 0
	.section	.text._ZN7rocprim17ROCPRIM_400000_NS6detail17trampoline_kernelINS0_14default_configENS1_25transform_config_selectorIdLb1EEEZNS1_14transform_implILb1ES3_S5_PdS7_NS0_8identityIdEEEE10hipError_tT2_T3_mT4_P12ihipStream_tbEUlT_E_NS1_11comp_targetILNS1_3genE9ELNS1_11target_archE1100ELNS1_3gpuE3ELNS1_3repE0EEENS1_30default_config_static_selectorELNS0_4arch9wavefront6targetE1EEEvT1_,"axG",@progbits,_ZN7rocprim17ROCPRIM_400000_NS6detail17trampoline_kernelINS0_14default_configENS1_25transform_config_selectorIdLb1EEEZNS1_14transform_implILb1ES3_S5_PdS7_NS0_8identityIdEEEE10hipError_tT2_T3_mT4_P12ihipStream_tbEUlT_E_NS1_11comp_targetILNS1_3genE9ELNS1_11target_archE1100ELNS1_3gpuE3ELNS1_3repE0EEENS1_30default_config_static_selectorELNS0_4arch9wavefront6targetE1EEEvT1_,comdat
	.protected	_ZN7rocprim17ROCPRIM_400000_NS6detail17trampoline_kernelINS0_14default_configENS1_25transform_config_selectorIdLb1EEEZNS1_14transform_implILb1ES3_S5_PdS7_NS0_8identityIdEEEE10hipError_tT2_T3_mT4_P12ihipStream_tbEUlT_E_NS1_11comp_targetILNS1_3genE9ELNS1_11target_archE1100ELNS1_3gpuE3ELNS1_3repE0EEENS1_30default_config_static_selectorELNS0_4arch9wavefront6targetE1EEEvT1_ ; -- Begin function _ZN7rocprim17ROCPRIM_400000_NS6detail17trampoline_kernelINS0_14default_configENS1_25transform_config_selectorIdLb1EEEZNS1_14transform_implILb1ES3_S5_PdS7_NS0_8identityIdEEEE10hipError_tT2_T3_mT4_P12ihipStream_tbEUlT_E_NS1_11comp_targetILNS1_3genE9ELNS1_11target_archE1100ELNS1_3gpuE3ELNS1_3repE0EEENS1_30default_config_static_selectorELNS0_4arch9wavefront6targetE1EEEvT1_
	.globl	_ZN7rocprim17ROCPRIM_400000_NS6detail17trampoline_kernelINS0_14default_configENS1_25transform_config_selectorIdLb1EEEZNS1_14transform_implILb1ES3_S5_PdS7_NS0_8identityIdEEEE10hipError_tT2_T3_mT4_P12ihipStream_tbEUlT_E_NS1_11comp_targetILNS1_3genE9ELNS1_11target_archE1100ELNS1_3gpuE3ELNS1_3repE0EEENS1_30default_config_static_selectorELNS0_4arch9wavefront6targetE1EEEvT1_
	.p2align	8
	.type	_ZN7rocprim17ROCPRIM_400000_NS6detail17trampoline_kernelINS0_14default_configENS1_25transform_config_selectorIdLb1EEEZNS1_14transform_implILb1ES3_S5_PdS7_NS0_8identityIdEEEE10hipError_tT2_T3_mT4_P12ihipStream_tbEUlT_E_NS1_11comp_targetILNS1_3genE9ELNS1_11target_archE1100ELNS1_3gpuE3ELNS1_3repE0EEENS1_30default_config_static_selectorELNS0_4arch9wavefront6targetE1EEEvT1_,@function
_ZN7rocprim17ROCPRIM_400000_NS6detail17trampoline_kernelINS0_14default_configENS1_25transform_config_selectorIdLb1EEEZNS1_14transform_implILb1ES3_S5_PdS7_NS0_8identityIdEEEE10hipError_tT2_T3_mT4_P12ihipStream_tbEUlT_E_NS1_11comp_targetILNS1_3genE9ELNS1_11target_archE1100ELNS1_3gpuE3ELNS1_3repE0EEENS1_30default_config_static_selectorELNS0_4arch9wavefront6targetE1EEEvT1_: ; @_ZN7rocprim17ROCPRIM_400000_NS6detail17trampoline_kernelINS0_14default_configENS1_25transform_config_selectorIdLb1EEEZNS1_14transform_implILb1ES3_S5_PdS7_NS0_8identityIdEEEE10hipError_tT2_T3_mT4_P12ihipStream_tbEUlT_E_NS1_11comp_targetILNS1_3genE9ELNS1_11target_archE1100ELNS1_3gpuE3ELNS1_3repE0EEENS1_30default_config_static_selectorELNS0_4arch9wavefront6targetE1EEEvT1_
; %bb.0:
	.section	.rodata,"a",@progbits
	.p2align	6, 0x0
	.amdhsa_kernel _ZN7rocprim17ROCPRIM_400000_NS6detail17trampoline_kernelINS0_14default_configENS1_25transform_config_selectorIdLb1EEEZNS1_14transform_implILb1ES3_S5_PdS7_NS0_8identityIdEEEE10hipError_tT2_T3_mT4_P12ihipStream_tbEUlT_E_NS1_11comp_targetILNS1_3genE9ELNS1_11target_archE1100ELNS1_3gpuE3ELNS1_3repE0EEENS1_30default_config_static_selectorELNS0_4arch9wavefront6targetE1EEEvT1_
		.amdhsa_group_segment_fixed_size 0
		.amdhsa_private_segment_fixed_size 0
		.amdhsa_kernarg_size 40
		.amdhsa_user_sgpr_count 6
		.amdhsa_user_sgpr_private_segment_buffer 1
		.amdhsa_user_sgpr_dispatch_ptr 0
		.amdhsa_user_sgpr_queue_ptr 0
		.amdhsa_user_sgpr_kernarg_segment_ptr 1
		.amdhsa_user_sgpr_dispatch_id 0
		.amdhsa_user_sgpr_flat_scratch_init 0
		.amdhsa_user_sgpr_kernarg_preload_length 0
		.amdhsa_user_sgpr_kernarg_preload_offset 0
		.amdhsa_user_sgpr_private_segment_size 0
		.amdhsa_uses_dynamic_stack 0
		.amdhsa_system_sgpr_private_segment_wavefront_offset 0
		.amdhsa_system_sgpr_workgroup_id_x 1
		.amdhsa_system_sgpr_workgroup_id_y 0
		.amdhsa_system_sgpr_workgroup_id_z 0
		.amdhsa_system_sgpr_workgroup_info 0
		.amdhsa_system_vgpr_workitem_id 0
		.amdhsa_next_free_vgpr 1
		.amdhsa_next_free_sgpr 0
		.amdhsa_accum_offset 4
		.amdhsa_reserve_vcc 0
		.amdhsa_reserve_flat_scratch 0
		.amdhsa_float_round_mode_32 0
		.amdhsa_float_round_mode_16_64 0
		.amdhsa_float_denorm_mode_32 3
		.amdhsa_float_denorm_mode_16_64 3
		.amdhsa_dx10_clamp 1
		.amdhsa_ieee_mode 1
		.amdhsa_fp16_overflow 0
		.amdhsa_tg_split 0
		.amdhsa_exception_fp_ieee_invalid_op 0
		.amdhsa_exception_fp_denorm_src 0
		.amdhsa_exception_fp_ieee_div_zero 0
		.amdhsa_exception_fp_ieee_overflow 0
		.amdhsa_exception_fp_ieee_underflow 0
		.amdhsa_exception_fp_ieee_inexact 0
		.amdhsa_exception_int_div_zero 0
	.end_amdhsa_kernel
	.section	.text._ZN7rocprim17ROCPRIM_400000_NS6detail17trampoline_kernelINS0_14default_configENS1_25transform_config_selectorIdLb1EEEZNS1_14transform_implILb1ES3_S5_PdS7_NS0_8identityIdEEEE10hipError_tT2_T3_mT4_P12ihipStream_tbEUlT_E_NS1_11comp_targetILNS1_3genE9ELNS1_11target_archE1100ELNS1_3gpuE3ELNS1_3repE0EEENS1_30default_config_static_selectorELNS0_4arch9wavefront6targetE1EEEvT1_,"axG",@progbits,_ZN7rocprim17ROCPRIM_400000_NS6detail17trampoline_kernelINS0_14default_configENS1_25transform_config_selectorIdLb1EEEZNS1_14transform_implILb1ES3_S5_PdS7_NS0_8identityIdEEEE10hipError_tT2_T3_mT4_P12ihipStream_tbEUlT_E_NS1_11comp_targetILNS1_3genE9ELNS1_11target_archE1100ELNS1_3gpuE3ELNS1_3repE0EEENS1_30default_config_static_selectorELNS0_4arch9wavefront6targetE1EEEvT1_,comdat
.Lfunc_end1803:
	.size	_ZN7rocprim17ROCPRIM_400000_NS6detail17trampoline_kernelINS0_14default_configENS1_25transform_config_selectorIdLb1EEEZNS1_14transform_implILb1ES3_S5_PdS7_NS0_8identityIdEEEE10hipError_tT2_T3_mT4_P12ihipStream_tbEUlT_E_NS1_11comp_targetILNS1_3genE9ELNS1_11target_archE1100ELNS1_3gpuE3ELNS1_3repE0EEENS1_30default_config_static_selectorELNS0_4arch9wavefront6targetE1EEEvT1_, .Lfunc_end1803-_ZN7rocprim17ROCPRIM_400000_NS6detail17trampoline_kernelINS0_14default_configENS1_25transform_config_selectorIdLb1EEEZNS1_14transform_implILb1ES3_S5_PdS7_NS0_8identityIdEEEE10hipError_tT2_T3_mT4_P12ihipStream_tbEUlT_E_NS1_11comp_targetILNS1_3genE9ELNS1_11target_archE1100ELNS1_3gpuE3ELNS1_3repE0EEENS1_30default_config_static_selectorELNS0_4arch9wavefront6targetE1EEEvT1_
                                        ; -- End function
	.section	.AMDGPU.csdata,"",@progbits
; Kernel info:
; codeLenInByte = 0
; NumSgprs: 4
; NumVgprs: 0
; NumAgprs: 0
; TotalNumVgprs: 0
; ScratchSize: 0
; MemoryBound: 0
; FloatMode: 240
; IeeeMode: 1
; LDSByteSize: 0 bytes/workgroup (compile time only)
; SGPRBlocks: 0
; VGPRBlocks: 0
; NumSGPRsForWavesPerEU: 4
; NumVGPRsForWavesPerEU: 1
; AccumOffset: 4
; Occupancy: 8
; WaveLimiterHint : 0
; COMPUTE_PGM_RSRC2:SCRATCH_EN: 0
; COMPUTE_PGM_RSRC2:USER_SGPR: 6
; COMPUTE_PGM_RSRC2:TRAP_HANDLER: 0
; COMPUTE_PGM_RSRC2:TGID_X_EN: 1
; COMPUTE_PGM_RSRC2:TGID_Y_EN: 0
; COMPUTE_PGM_RSRC2:TGID_Z_EN: 0
; COMPUTE_PGM_RSRC2:TIDIG_COMP_CNT: 0
; COMPUTE_PGM_RSRC3_GFX90A:ACCUM_OFFSET: 0
; COMPUTE_PGM_RSRC3_GFX90A:TG_SPLIT: 0
	.section	.text._ZN7rocprim17ROCPRIM_400000_NS6detail17trampoline_kernelINS0_14default_configENS1_25transform_config_selectorIdLb1EEEZNS1_14transform_implILb1ES3_S5_PdS7_NS0_8identityIdEEEE10hipError_tT2_T3_mT4_P12ihipStream_tbEUlT_E_NS1_11comp_targetILNS1_3genE8ELNS1_11target_archE1030ELNS1_3gpuE2ELNS1_3repE0EEENS1_30default_config_static_selectorELNS0_4arch9wavefront6targetE1EEEvT1_,"axG",@progbits,_ZN7rocprim17ROCPRIM_400000_NS6detail17trampoline_kernelINS0_14default_configENS1_25transform_config_selectorIdLb1EEEZNS1_14transform_implILb1ES3_S5_PdS7_NS0_8identityIdEEEE10hipError_tT2_T3_mT4_P12ihipStream_tbEUlT_E_NS1_11comp_targetILNS1_3genE8ELNS1_11target_archE1030ELNS1_3gpuE2ELNS1_3repE0EEENS1_30default_config_static_selectorELNS0_4arch9wavefront6targetE1EEEvT1_,comdat
	.protected	_ZN7rocprim17ROCPRIM_400000_NS6detail17trampoline_kernelINS0_14default_configENS1_25transform_config_selectorIdLb1EEEZNS1_14transform_implILb1ES3_S5_PdS7_NS0_8identityIdEEEE10hipError_tT2_T3_mT4_P12ihipStream_tbEUlT_E_NS1_11comp_targetILNS1_3genE8ELNS1_11target_archE1030ELNS1_3gpuE2ELNS1_3repE0EEENS1_30default_config_static_selectorELNS0_4arch9wavefront6targetE1EEEvT1_ ; -- Begin function _ZN7rocprim17ROCPRIM_400000_NS6detail17trampoline_kernelINS0_14default_configENS1_25transform_config_selectorIdLb1EEEZNS1_14transform_implILb1ES3_S5_PdS7_NS0_8identityIdEEEE10hipError_tT2_T3_mT4_P12ihipStream_tbEUlT_E_NS1_11comp_targetILNS1_3genE8ELNS1_11target_archE1030ELNS1_3gpuE2ELNS1_3repE0EEENS1_30default_config_static_selectorELNS0_4arch9wavefront6targetE1EEEvT1_
	.globl	_ZN7rocprim17ROCPRIM_400000_NS6detail17trampoline_kernelINS0_14default_configENS1_25transform_config_selectorIdLb1EEEZNS1_14transform_implILb1ES3_S5_PdS7_NS0_8identityIdEEEE10hipError_tT2_T3_mT4_P12ihipStream_tbEUlT_E_NS1_11comp_targetILNS1_3genE8ELNS1_11target_archE1030ELNS1_3gpuE2ELNS1_3repE0EEENS1_30default_config_static_selectorELNS0_4arch9wavefront6targetE1EEEvT1_
	.p2align	8
	.type	_ZN7rocprim17ROCPRIM_400000_NS6detail17trampoline_kernelINS0_14default_configENS1_25transform_config_selectorIdLb1EEEZNS1_14transform_implILb1ES3_S5_PdS7_NS0_8identityIdEEEE10hipError_tT2_T3_mT4_P12ihipStream_tbEUlT_E_NS1_11comp_targetILNS1_3genE8ELNS1_11target_archE1030ELNS1_3gpuE2ELNS1_3repE0EEENS1_30default_config_static_selectorELNS0_4arch9wavefront6targetE1EEEvT1_,@function
_ZN7rocprim17ROCPRIM_400000_NS6detail17trampoline_kernelINS0_14default_configENS1_25transform_config_selectorIdLb1EEEZNS1_14transform_implILb1ES3_S5_PdS7_NS0_8identityIdEEEE10hipError_tT2_T3_mT4_P12ihipStream_tbEUlT_E_NS1_11comp_targetILNS1_3genE8ELNS1_11target_archE1030ELNS1_3gpuE2ELNS1_3repE0EEENS1_30default_config_static_selectorELNS0_4arch9wavefront6targetE1EEEvT1_: ; @_ZN7rocprim17ROCPRIM_400000_NS6detail17trampoline_kernelINS0_14default_configENS1_25transform_config_selectorIdLb1EEEZNS1_14transform_implILb1ES3_S5_PdS7_NS0_8identityIdEEEE10hipError_tT2_T3_mT4_P12ihipStream_tbEUlT_E_NS1_11comp_targetILNS1_3genE8ELNS1_11target_archE1030ELNS1_3gpuE2ELNS1_3repE0EEENS1_30default_config_static_selectorELNS0_4arch9wavefront6targetE1EEEvT1_
; %bb.0:
	.section	.rodata,"a",@progbits
	.p2align	6, 0x0
	.amdhsa_kernel _ZN7rocprim17ROCPRIM_400000_NS6detail17trampoline_kernelINS0_14default_configENS1_25transform_config_selectorIdLb1EEEZNS1_14transform_implILb1ES3_S5_PdS7_NS0_8identityIdEEEE10hipError_tT2_T3_mT4_P12ihipStream_tbEUlT_E_NS1_11comp_targetILNS1_3genE8ELNS1_11target_archE1030ELNS1_3gpuE2ELNS1_3repE0EEENS1_30default_config_static_selectorELNS0_4arch9wavefront6targetE1EEEvT1_
		.amdhsa_group_segment_fixed_size 0
		.amdhsa_private_segment_fixed_size 0
		.amdhsa_kernarg_size 40
		.amdhsa_user_sgpr_count 6
		.amdhsa_user_sgpr_private_segment_buffer 1
		.amdhsa_user_sgpr_dispatch_ptr 0
		.amdhsa_user_sgpr_queue_ptr 0
		.amdhsa_user_sgpr_kernarg_segment_ptr 1
		.amdhsa_user_sgpr_dispatch_id 0
		.amdhsa_user_sgpr_flat_scratch_init 0
		.amdhsa_user_sgpr_kernarg_preload_length 0
		.amdhsa_user_sgpr_kernarg_preload_offset 0
		.amdhsa_user_sgpr_private_segment_size 0
		.amdhsa_uses_dynamic_stack 0
		.amdhsa_system_sgpr_private_segment_wavefront_offset 0
		.amdhsa_system_sgpr_workgroup_id_x 1
		.amdhsa_system_sgpr_workgroup_id_y 0
		.amdhsa_system_sgpr_workgroup_id_z 0
		.amdhsa_system_sgpr_workgroup_info 0
		.amdhsa_system_vgpr_workitem_id 0
		.amdhsa_next_free_vgpr 1
		.amdhsa_next_free_sgpr 0
		.amdhsa_accum_offset 4
		.amdhsa_reserve_vcc 0
		.amdhsa_reserve_flat_scratch 0
		.amdhsa_float_round_mode_32 0
		.amdhsa_float_round_mode_16_64 0
		.amdhsa_float_denorm_mode_32 3
		.amdhsa_float_denorm_mode_16_64 3
		.amdhsa_dx10_clamp 1
		.amdhsa_ieee_mode 1
		.amdhsa_fp16_overflow 0
		.amdhsa_tg_split 0
		.amdhsa_exception_fp_ieee_invalid_op 0
		.amdhsa_exception_fp_denorm_src 0
		.amdhsa_exception_fp_ieee_div_zero 0
		.amdhsa_exception_fp_ieee_overflow 0
		.amdhsa_exception_fp_ieee_underflow 0
		.amdhsa_exception_fp_ieee_inexact 0
		.amdhsa_exception_int_div_zero 0
	.end_amdhsa_kernel
	.section	.text._ZN7rocprim17ROCPRIM_400000_NS6detail17trampoline_kernelINS0_14default_configENS1_25transform_config_selectorIdLb1EEEZNS1_14transform_implILb1ES3_S5_PdS7_NS0_8identityIdEEEE10hipError_tT2_T3_mT4_P12ihipStream_tbEUlT_E_NS1_11comp_targetILNS1_3genE8ELNS1_11target_archE1030ELNS1_3gpuE2ELNS1_3repE0EEENS1_30default_config_static_selectorELNS0_4arch9wavefront6targetE1EEEvT1_,"axG",@progbits,_ZN7rocprim17ROCPRIM_400000_NS6detail17trampoline_kernelINS0_14default_configENS1_25transform_config_selectorIdLb1EEEZNS1_14transform_implILb1ES3_S5_PdS7_NS0_8identityIdEEEE10hipError_tT2_T3_mT4_P12ihipStream_tbEUlT_E_NS1_11comp_targetILNS1_3genE8ELNS1_11target_archE1030ELNS1_3gpuE2ELNS1_3repE0EEENS1_30default_config_static_selectorELNS0_4arch9wavefront6targetE1EEEvT1_,comdat
.Lfunc_end1804:
	.size	_ZN7rocprim17ROCPRIM_400000_NS6detail17trampoline_kernelINS0_14default_configENS1_25transform_config_selectorIdLb1EEEZNS1_14transform_implILb1ES3_S5_PdS7_NS0_8identityIdEEEE10hipError_tT2_T3_mT4_P12ihipStream_tbEUlT_E_NS1_11comp_targetILNS1_3genE8ELNS1_11target_archE1030ELNS1_3gpuE2ELNS1_3repE0EEENS1_30default_config_static_selectorELNS0_4arch9wavefront6targetE1EEEvT1_, .Lfunc_end1804-_ZN7rocprim17ROCPRIM_400000_NS6detail17trampoline_kernelINS0_14default_configENS1_25transform_config_selectorIdLb1EEEZNS1_14transform_implILb1ES3_S5_PdS7_NS0_8identityIdEEEE10hipError_tT2_T3_mT4_P12ihipStream_tbEUlT_E_NS1_11comp_targetILNS1_3genE8ELNS1_11target_archE1030ELNS1_3gpuE2ELNS1_3repE0EEENS1_30default_config_static_selectorELNS0_4arch9wavefront6targetE1EEEvT1_
                                        ; -- End function
	.section	.AMDGPU.csdata,"",@progbits
; Kernel info:
; codeLenInByte = 0
; NumSgprs: 4
; NumVgprs: 0
; NumAgprs: 0
; TotalNumVgprs: 0
; ScratchSize: 0
; MemoryBound: 0
; FloatMode: 240
; IeeeMode: 1
; LDSByteSize: 0 bytes/workgroup (compile time only)
; SGPRBlocks: 0
; VGPRBlocks: 0
; NumSGPRsForWavesPerEU: 4
; NumVGPRsForWavesPerEU: 1
; AccumOffset: 4
; Occupancy: 8
; WaveLimiterHint : 0
; COMPUTE_PGM_RSRC2:SCRATCH_EN: 0
; COMPUTE_PGM_RSRC2:USER_SGPR: 6
; COMPUTE_PGM_RSRC2:TRAP_HANDLER: 0
; COMPUTE_PGM_RSRC2:TGID_X_EN: 1
; COMPUTE_PGM_RSRC2:TGID_Y_EN: 0
; COMPUTE_PGM_RSRC2:TGID_Z_EN: 0
; COMPUTE_PGM_RSRC2:TIDIG_COMP_CNT: 0
; COMPUTE_PGM_RSRC3_GFX90A:ACCUM_OFFSET: 0
; COMPUTE_PGM_RSRC3_GFX90A:TG_SPLIT: 0
	.section	.text._ZN7rocprim17ROCPRIM_400000_NS6detail17trampoline_kernelINS0_14default_configENS1_20scan_config_selectorIdEEZZNS1_9scan_implILNS1_25lookback_scan_determinismE0ELb0ELb0ES3_N6thrust23THRUST_200600_302600_NS6detail15normal_iteratorINS9_10device_ptrIdEEEESE_d11max_functorIdEdEEDaPvRmT3_T4_T5_mT6_P12ihipStream_tbENKUlT_T0_E_clISt17integral_constantIbLb0EESU_EEDaSP_SQ_EUlSP_E0_NS1_11comp_targetILNS1_3genE0ELNS1_11target_archE4294967295ELNS1_3gpuE0ELNS1_3repE0EEENS1_30default_config_static_selectorELNS0_4arch9wavefront6targetE1EEEvT1_,"axG",@progbits,_ZN7rocprim17ROCPRIM_400000_NS6detail17trampoline_kernelINS0_14default_configENS1_20scan_config_selectorIdEEZZNS1_9scan_implILNS1_25lookback_scan_determinismE0ELb0ELb0ES3_N6thrust23THRUST_200600_302600_NS6detail15normal_iteratorINS9_10device_ptrIdEEEESE_d11max_functorIdEdEEDaPvRmT3_T4_T5_mT6_P12ihipStream_tbENKUlT_T0_E_clISt17integral_constantIbLb0EESU_EEDaSP_SQ_EUlSP_E0_NS1_11comp_targetILNS1_3genE0ELNS1_11target_archE4294967295ELNS1_3gpuE0ELNS1_3repE0EEENS1_30default_config_static_selectorELNS0_4arch9wavefront6targetE1EEEvT1_,comdat
	.protected	_ZN7rocprim17ROCPRIM_400000_NS6detail17trampoline_kernelINS0_14default_configENS1_20scan_config_selectorIdEEZZNS1_9scan_implILNS1_25lookback_scan_determinismE0ELb0ELb0ES3_N6thrust23THRUST_200600_302600_NS6detail15normal_iteratorINS9_10device_ptrIdEEEESE_d11max_functorIdEdEEDaPvRmT3_T4_T5_mT6_P12ihipStream_tbENKUlT_T0_E_clISt17integral_constantIbLb0EESU_EEDaSP_SQ_EUlSP_E0_NS1_11comp_targetILNS1_3genE0ELNS1_11target_archE4294967295ELNS1_3gpuE0ELNS1_3repE0EEENS1_30default_config_static_selectorELNS0_4arch9wavefront6targetE1EEEvT1_ ; -- Begin function _ZN7rocprim17ROCPRIM_400000_NS6detail17trampoline_kernelINS0_14default_configENS1_20scan_config_selectorIdEEZZNS1_9scan_implILNS1_25lookback_scan_determinismE0ELb0ELb0ES3_N6thrust23THRUST_200600_302600_NS6detail15normal_iteratorINS9_10device_ptrIdEEEESE_d11max_functorIdEdEEDaPvRmT3_T4_T5_mT6_P12ihipStream_tbENKUlT_T0_E_clISt17integral_constantIbLb0EESU_EEDaSP_SQ_EUlSP_E0_NS1_11comp_targetILNS1_3genE0ELNS1_11target_archE4294967295ELNS1_3gpuE0ELNS1_3repE0EEENS1_30default_config_static_selectorELNS0_4arch9wavefront6targetE1EEEvT1_
	.globl	_ZN7rocprim17ROCPRIM_400000_NS6detail17trampoline_kernelINS0_14default_configENS1_20scan_config_selectorIdEEZZNS1_9scan_implILNS1_25lookback_scan_determinismE0ELb0ELb0ES3_N6thrust23THRUST_200600_302600_NS6detail15normal_iteratorINS9_10device_ptrIdEEEESE_d11max_functorIdEdEEDaPvRmT3_T4_T5_mT6_P12ihipStream_tbENKUlT_T0_E_clISt17integral_constantIbLb0EESU_EEDaSP_SQ_EUlSP_E0_NS1_11comp_targetILNS1_3genE0ELNS1_11target_archE4294967295ELNS1_3gpuE0ELNS1_3repE0EEENS1_30default_config_static_selectorELNS0_4arch9wavefront6targetE1EEEvT1_
	.p2align	8
	.type	_ZN7rocprim17ROCPRIM_400000_NS6detail17trampoline_kernelINS0_14default_configENS1_20scan_config_selectorIdEEZZNS1_9scan_implILNS1_25lookback_scan_determinismE0ELb0ELb0ES3_N6thrust23THRUST_200600_302600_NS6detail15normal_iteratorINS9_10device_ptrIdEEEESE_d11max_functorIdEdEEDaPvRmT3_T4_T5_mT6_P12ihipStream_tbENKUlT_T0_E_clISt17integral_constantIbLb0EESU_EEDaSP_SQ_EUlSP_E0_NS1_11comp_targetILNS1_3genE0ELNS1_11target_archE4294967295ELNS1_3gpuE0ELNS1_3repE0EEENS1_30default_config_static_selectorELNS0_4arch9wavefront6targetE1EEEvT1_,@function
_ZN7rocprim17ROCPRIM_400000_NS6detail17trampoline_kernelINS0_14default_configENS1_20scan_config_selectorIdEEZZNS1_9scan_implILNS1_25lookback_scan_determinismE0ELb0ELb0ES3_N6thrust23THRUST_200600_302600_NS6detail15normal_iteratorINS9_10device_ptrIdEEEESE_d11max_functorIdEdEEDaPvRmT3_T4_T5_mT6_P12ihipStream_tbENKUlT_T0_E_clISt17integral_constantIbLb0EESU_EEDaSP_SQ_EUlSP_E0_NS1_11comp_targetILNS1_3genE0ELNS1_11target_archE4294967295ELNS1_3gpuE0ELNS1_3repE0EEENS1_30default_config_static_selectorELNS0_4arch9wavefront6targetE1EEEvT1_: ; @_ZN7rocprim17ROCPRIM_400000_NS6detail17trampoline_kernelINS0_14default_configENS1_20scan_config_selectorIdEEZZNS1_9scan_implILNS1_25lookback_scan_determinismE0ELb0ELb0ES3_N6thrust23THRUST_200600_302600_NS6detail15normal_iteratorINS9_10device_ptrIdEEEESE_d11max_functorIdEdEEDaPvRmT3_T4_T5_mT6_P12ihipStream_tbENKUlT_T0_E_clISt17integral_constantIbLb0EESU_EEDaSP_SQ_EUlSP_E0_NS1_11comp_targetILNS1_3genE0ELNS1_11target_archE4294967295ELNS1_3gpuE0ELNS1_3repE0EEENS1_30default_config_static_selectorELNS0_4arch9wavefront6targetE1EEEvT1_
; %bb.0:
	.section	.rodata,"a",@progbits
	.p2align	6, 0x0
	.amdhsa_kernel _ZN7rocprim17ROCPRIM_400000_NS6detail17trampoline_kernelINS0_14default_configENS1_20scan_config_selectorIdEEZZNS1_9scan_implILNS1_25lookback_scan_determinismE0ELb0ELb0ES3_N6thrust23THRUST_200600_302600_NS6detail15normal_iteratorINS9_10device_ptrIdEEEESE_d11max_functorIdEdEEDaPvRmT3_T4_T5_mT6_P12ihipStream_tbENKUlT_T0_E_clISt17integral_constantIbLb0EESU_EEDaSP_SQ_EUlSP_E0_NS1_11comp_targetILNS1_3genE0ELNS1_11target_archE4294967295ELNS1_3gpuE0ELNS1_3repE0EEENS1_30default_config_static_selectorELNS0_4arch9wavefront6targetE1EEEvT1_
		.amdhsa_group_segment_fixed_size 0
		.amdhsa_private_segment_fixed_size 0
		.amdhsa_kernarg_size 40
		.amdhsa_user_sgpr_count 6
		.amdhsa_user_sgpr_private_segment_buffer 1
		.amdhsa_user_sgpr_dispatch_ptr 0
		.amdhsa_user_sgpr_queue_ptr 0
		.amdhsa_user_sgpr_kernarg_segment_ptr 1
		.amdhsa_user_sgpr_dispatch_id 0
		.amdhsa_user_sgpr_flat_scratch_init 0
		.amdhsa_user_sgpr_kernarg_preload_length 0
		.amdhsa_user_sgpr_kernarg_preload_offset 0
		.amdhsa_user_sgpr_private_segment_size 0
		.amdhsa_uses_dynamic_stack 0
		.amdhsa_system_sgpr_private_segment_wavefront_offset 0
		.amdhsa_system_sgpr_workgroup_id_x 1
		.amdhsa_system_sgpr_workgroup_id_y 0
		.amdhsa_system_sgpr_workgroup_id_z 0
		.amdhsa_system_sgpr_workgroup_info 0
		.amdhsa_system_vgpr_workitem_id 0
		.amdhsa_next_free_vgpr 1
		.amdhsa_next_free_sgpr 0
		.amdhsa_accum_offset 4
		.amdhsa_reserve_vcc 0
		.amdhsa_reserve_flat_scratch 0
		.amdhsa_float_round_mode_32 0
		.amdhsa_float_round_mode_16_64 0
		.amdhsa_float_denorm_mode_32 3
		.amdhsa_float_denorm_mode_16_64 3
		.amdhsa_dx10_clamp 1
		.amdhsa_ieee_mode 1
		.amdhsa_fp16_overflow 0
		.amdhsa_tg_split 0
		.amdhsa_exception_fp_ieee_invalid_op 0
		.amdhsa_exception_fp_denorm_src 0
		.amdhsa_exception_fp_ieee_div_zero 0
		.amdhsa_exception_fp_ieee_overflow 0
		.amdhsa_exception_fp_ieee_underflow 0
		.amdhsa_exception_fp_ieee_inexact 0
		.amdhsa_exception_int_div_zero 0
	.end_amdhsa_kernel
	.section	.text._ZN7rocprim17ROCPRIM_400000_NS6detail17trampoline_kernelINS0_14default_configENS1_20scan_config_selectorIdEEZZNS1_9scan_implILNS1_25lookback_scan_determinismE0ELb0ELb0ES3_N6thrust23THRUST_200600_302600_NS6detail15normal_iteratorINS9_10device_ptrIdEEEESE_d11max_functorIdEdEEDaPvRmT3_T4_T5_mT6_P12ihipStream_tbENKUlT_T0_E_clISt17integral_constantIbLb0EESU_EEDaSP_SQ_EUlSP_E0_NS1_11comp_targetILNS1_3genE0ELNS1_11target_archE4294967295ELNS1_3gpuE0ELNS1_3repE0EEENS1_30default_config_static_selectorELNS0_4arch9wavefront6targetE1EEEvT1_,"axG",@progbits,_ZN7rocprim17ROCPRIM_400000_NS6detail17trampoline_kernelINS0_14default_configENS1_20scan_config_selectorIdEEZZNS1_9scan_implILNS1_25lookback_scan_determinismE0ELb0ELb0ES3_N6thrust23THRUST_200600_302600_NS6detail15normal_iteratorINS9_10device_ptrIdEEEESE_d11max_functorIdEdEEDaPvRmT3_T4_T5_mT6_P12ihipStream_tbENKUlT_T0_E_clISt17integral_constantIbLb0EESU_EEDaSP_SQ_EUlSP_E0_NS1_11comp_targetILNS1_3genE0ELNS1_11target_archE4294967295ELNS1_3gpuE0ELNS1_3repE0EEENS1_30default_config_static_selectorELNS0_4arch9wavefront6targetE1EEEvT1_,comdat
.Lfunc_end1805:
	.size	_ZN7rocprim17ROCPRIM_400000_NS6detail17trampoline_kernelINS0_14default_configENS1_20scan_config_selectorIdEEZZNS1_9scan_implILNS1_25lookback_scan_determinismE0ELb0ELb0ES3_N6thrust23THRUST_200600_302600_NS6detail15normal_iteratorINS9_10device_ptrIdEEEESE_d11max_functorIdEdEEDaPvRmT3_T4_T5_mT6_P12ihipStream_tbENKUlT_T0_E_clISt17integral_constantIbLb0EESU_EEDaSP_SQ_EUlSP_E0_NS1_11comp_targetILNS1_3genE0ELNS1_11target_archE4294967295ELNS1_3gpuE0ELNS1_3repE0EEENS1_30default_config_static_selectorELNS0_4arch9wavefront6targetE1EEEvT1_, .Lfunc_end1805-_ZN7rocprim17ROCPRIM_400000_NS6detail17trampoline_kernelINS0_14default_configENS1_20scan_config_selectorIdEEZZNS1_9scan_implILNS1_25lookback_scan_determinismE0ELb0ELb0ES3_N6thrust23THRUST_200600_302600_NS6detail15normal_iteratorINS9_10device_ptrIdEEEESE_d11max_functorIdEdEEDaPvRmT3_T4_T5_mT6_P12ihipStream_tbENKUlT_T0_E_clISt17integral_constantIbLb0EESU_EEDaSP_SQ_EUlSP_E0_NS1_11comp_targetILNS1_3genE0ELNS1_11target_archE4294967295ELNS1_3gpuE0ELNS1_3repE0EEENS1_30default_config_static_selectorELNS0_4arch9wavefront6targetE1EEEvT1_
                                        ; -- End function
	.section	.AMDGPU.csdata,"",@progbits
; Kernel info:
; codeLenInByte = 0
; NumSgprs: 4
; NumVgprs: 0
; NumAgprs: 0
; TotalNumVgprs: 0
; ScratchSize: 0
; MemoryBound: 0
; FloatMode: 240
; IeeeMode: 1
; LDSByteSize: 0 bytes/workgroup (compile time only)
; SGPRBlocks: 0
; VGPRBlocks: 0
; NumSGPRsForWavesPerEU: 4
; NumVGPRsForWavesPerEU: 1
; AccumOffset: 4
; Occupancy: 8
; WaveLimiterHint : 0
; COMPUTE_PGM_RSRC2:SCRATCH_EN: 0
; COMPUTE_PGM_RSRC2:USER_SGPR: 6
; COMPUTE_PGM_RSRC2:TRAP_HANDLER: 0
; COMPUTE_PGM_RSRC2:TGID_X_EN: 1
; COMPUTE_PGM_RSRC2:TGID_Y_EN: 0
; COMPUTE_PGM_RSRC2:TGID_Z_EN: 0
; COMPUTE_PGM_RSRC2:TIDIG_COMP_CNT: 0
; COMPUTE_PGM_RSRC3_GFX90A:ACCUM_OFFSET: 0
; COMPUTE_PGM_RSRC3_GFX90A:TG_SPLIT: 0
	.section	.text._ZN7rocprim17ROCPRIM_400000_NS6detail17trampoline_kernelINS0_14default_configENS1_20scan_config_selectorIdEEZZNS1_9scan_implILNS1_25lookback_scan_determinismE0ELb0ELb0ES3_N6thrust23THRUST_200600_302600_NS6detail15normal_iteratorINS9_10device_ptrIdEEEESE_d11max_functorIdEdEEDaPvRmT3_T4_T5_mT6_P12ihipStream_tbENKUlT_T0_E_clISt17integral_constantIbLb0EESU_EEDaSP_SQ_EUlSP_E0_NS1_11comp_targetILNS1_3genE5ELNS1_11target_archE942ELNS1_3gpuE9ELNS1_3repE0EEENS1_30default_config_static_selectorELNS0_4arch9wavefront6targetE1EEEvT1_,"axG",@progbits,_ZN7rocprim17ROCPRIM_400000_NS6detail17trampoline_kernelINS0_14default_configENS1_20scan_config_selectorIdEEZZNS1_9scan_implILNS1_25lookback_scan_determinismE0ELb0ELb0ES3_N6thrust23THRUST_200600_302600_NS6detail15normal_iteratorINS9_10device_ptrIdEEEESE_d11max_functorIdEdEEDaPvRmT3_T4_T5_mT6_P12ihipStream_tbENKUlT_T0_E_clISt17integral_constantIbLb0EESU_EEDaSP_SQ_EUlSP_E0_NS1_11comp_targetILNS1_3genE5ELNS1_11target_archE942ELNS1_3gpuE9ELNS1_3repE0EEENS1_30default_config_static_selectorELNS0_4arch9wavefront6targetE1EEEvT1_,comdat
	.protected	_ZN7rocprim17ROCPRIM_400000_NS6detail17trampoline_kernelINS0_14default_configENS1_20scan_config_selectorIdEEZZNS1_9scan_implILNS1_25lookback_scan_determinismE0ELb0ELb0ES3_N6thrust23THRUST_200600_302600_NS6detail15normal_iteratorINS9_10device_ptrIdEEEESE_d11max_functorIdEdEEDaPvRmT3_T4_T5_mT6_P12ihipStream_tbENKUlT_T0_E_clISt17integral_constantIbLb0EESU_EEDaSP_SQ_EUlSP_E0_NS1_11comp_targetILNS1_3genE5ELNS1_11target_archE942ELNS1_3gpuE9ELNS1_3repE0EEENS1_30default_config_static_selectorELNS0_4arch9wavefront6targetE1EEEvT1_ ; -- Begin function _ZN7rocprim17ROCPRIM_400000_NS6detail17trampoline_kernelINS0_14default_configENS1_20scan_config_selectorIdEEZZNS1_9scan_implILNS1_25lookback_scan_determinismE0ELb0ELb0ES3_N6thrust23THRUST_200600_302600_NS6detail15normal_iteratorINS9_10device_ptrIdEEEESE_d11max_functorIdEdEEDaPvRmT3_T4_T5_mT6_P12ihipStream_tbENKUlT_T0_E_clISt17integral_constantIbLb0EESU_EEDaSP_SQ_EUlSP_E0_NS1_11comp_targetILNS1_3genE5ELNS1_11target_archE942ELNS1_3gpuE9ELNS1_3repE0EEENS1_30default_config_static_selectorELNS0_4arch9wavefront6targetE1EEEvT1_
	.globl	_ZN7rocprim17ROCPRIM_400000_NS6detail17trampoline_kernelINS0_14default_configENS1_20scan_config_selectorIdEEZZNS1_9scan_implILNS1_25lookback_scan_determinismE0ELb0ELb0ES3_N6thrust23THRUST_200600_302600_NS6detail15normal_iteratorINS9_10device_ptrIdEEEESE_d11max_functorIdEdEEDaPvRmT3_T4_T5_mT6_P12ihipStream_tbENKUlT_T0_E_clISt17integral_constantIbLb0EESU_EEDaSP_SQ_EUlSP_E0_NS1_11comp_targetILNS1_3genE5ELNS1_11target_archE942ELNS1_3gpuE9ELNS1_3repE0EEENS1_30default_config_static_selectorELNS0_4arch9wavefront6targetE1EEEvT1_
	.p2align	8
	.type	_ZN7rocprim17ROCPRIM_400000_NS6detail17trampoline_kernelINS0_14default_configENS1_20scan_config_selectorIdEEZZNS1_9scan_implILNS1_25lookback_scan_determinismE0ELb0ELb0ES3_N6thrust23THRUST_200600_302600_NS6detail15normal_iteratorINS9_10device_ptrIdEEEESE_d11max_functorIdEdEEDaPvRmT3_T4_T5_mT6_P12ihipStream_tbENKUlT_T0_E_clISt17integral_constantIbLb0EESU_EEDaSP_SQ_EUlSP_E0_NS1_11comp_targetILNS1_3genE5ELNS1_11target_archE942ELNS1_3gpuE9ELNS1_3repE0EEENS1_30default_config_static_selectorELNS0_4arch9wavefront6targetE1EEEvT1_,@function
_ZN7rocprim17ROCPRIM_400000_NS6detail17trampoline_kernelINS0_14default_configENS1_20scan_config_selectorIdEEZZNS1_9scan_implILNS1_25lookback_scan_determinismE0ELb0ELb0ES3_N6thrust23THRUST_200600_302600_NS6detail15normal_iteratorINS9_10device_ptrIdEEEESE_d11max_functorIdEdEEDaPvRmT3_T4_T5_mT6_P12ihipStream_tbENKUlT_T0_E_clISt17integral_constantIbLb0EESU_EEDaSP_SQ_EUlSP_E0_NS1_11comp_targetILNS1_3genE5ELNS1_11target_archE942ELNS1_3gpuE9ELNS1_3repE0EEENS1_30default_config_static_selectorELNS0_4arch9wavefront6targetE1EEEvT1_: ; @_ZN7rocprim17ROCPRIM_400000_NS6detail17trampoline_kernelINS0_14default_configENS1_20scan_config_selectorIdEEZZNS1_9scan_implILNS1_25lookback_scan_determinismE0ELb0ELb0ES3_N6thrust23THRUST_200600_302600_NS6detail15normal_iteratorINS9_10device_ptrIdEEEESE_d11max_functorIdEdEEDaPvRmT3_T4_T5_mT6_P12ihipStream_tbENKUlT_T0_E_clISt17integral_constantIbLb0EESU_EEDaSP_SQ_EUlSP_E0_NS1_11comp_targetILNS1_3genE5ELNS1_11target_archE942ELNS1_3gpuE9ELNS1_3repE0EEENS1_30default_config_static_selectorELNS0_4arch9wavefront6targetE1EEEvT1_
; %bb.0:
	.section	.rodata,"a",@progbits
	.p2align	6, 0x0
	.amdhsa_kernel _ZN7rocprim17ROCPRIM_400000_NS6detail17trampoline_kernelINS0_14default_configENS1_20scan_config_selectorIdEEZZNS1_9scan_implILNS1_25lookback_scan_determinismE0ELb0ELb0ES3_N6thrust23THRUST_200600_302600_NS6detail15normal_iteratorINS9_10device_ptrIdEEEESE_d11max_functorIdEdEEDaPvRmT3_T4_T5_mT6_P12ihipStream_tbENKUlT_T0_E_clISt17integral_constantIbLb0EESU_EEDaSP_SQ_EUlSP_E0_NS1_11comp_targetILNS1_3genE5ELNS1_11target_archE942ELNS1_3gpuE9ELNS1_3repE0EEENS1_30default_config_static_selectorELNS0_4arch9wavefront6targetE1EEEvT1_
		.amdhsa_group_segment_fixed_size 0
		.amdhsa_private_segment_fixed_size 0
		.amdhsa_kernarg_size 40
		.amdhsa_user_sgpr_count 6
		.amdhsa_user_sgpr_private_segment_buffer 1
		.amdhsa_user_sgpr_dispatch_ptr 0
		.amdhsa_user_sgpr_queue_ptr 0
		.amdhsa_user_sgpr_kernarg_segment_ptr 1
		.amdhsa_user_sgpr_dispatch_id 0
		.amdhsa_user_sgpr_flat_scratch_init 0
		.amdhsa_user_sgpr_kernarg_preload_length 0
		.amdhsa_user_sgpr_kernarg_preload_offset 0
		.amdhsa_user_sgpr_private_segment_size 0
		.amdhsa_uses_dynamic_stack 0
		.amdhsa_system_sgpr_private_segment_wavefront_offset 0
		.amdhsa_system_sgpr_workgroup_id_x 1
		.amdhsa_system_sgpr_workgroup_id_y 0
		.amdhsa_system_sgpr_workgroup_id_z 0
		.amdhsa_system_sgpr_workgroup_info 0
		.amdhsa_system_vgpr_workitem_id 0
		.amdhsa_next_free_vgpr 1
		.amdhsa_next_free_sgpr 0
		.amdhsa_accum_offset 4
		.amdhsa_reserve_vcc 0
		.amdhsa_reserve_flat_scratch 0
		.amdhsa_float_round_mode_32 0
		.amdhsa_float_round_mode_16_64 0
		.amdhsa_float_denorm_mode_32 3
		.amdhsa_float_denorm_mode_16_64 3
		.amdhsa_dx10_clamp 1
		.amdhsa_ieee_mode 1
		.amdhsa_fp16_overflow 0
		.amdhsa_tg_split 0
		.amdhsa_exception_fp_ieee_invalid_op 0
		.amdhsa_exception_fp_denorm_src 0
		.amdhsa_exception_fp_ieee_div_zero 0
		.amdhsa_exception_fp_ieee_overflow 0
		.amdhsa_exception_fp_ieee_underflow 0
		.amdhsa_exception_fp_ieee_inexact 0
		.amdhsa_exception_int_div_zero 0
	.end_amdhsa_kernel
	.section	.text._ZN7rocprim17ROCPRIM_400000_NS6detail17trampoline_kernelINS0_14default_configENS1_20scan_config_selectorIdEEZZNS1_9scan_implILNS1_25lookback_scan_determinismE0ELb0ELb0ES3_N6thrust23THRUST_200600_302600_NS6detail15normal_iteratorINS9_10device_ptrIdEEEESE_d11max_functorIdEdEEDaPvRmT3_T4_T5_mT6_P12ihipStream_tbENKUlT_T0_E_clISt17integral_constantIbLb0EESU_EEDaSP_SQ_EUlSP_E0_NS1_11comp_targetILNS1_3genE5ELNS1_11target_archE942ELNS1_3gpuE9ELNS1_3repE0EEENS1_30default_config_static_selectorELNS0_4arch9wavefront6targetE1EEEvT1_,"axG",@progbits,_ZN7rocprim17ROCPRIM_400000_NS6detail17trampoline_kernelINS0_14default_configENS1_20scan_config_selectorIdEEZZNS1_9scan_implILNS1_25lookback_scan_determinismE0ELb0ELb0ES3_N6thrust23THRUST_200600_302600_NS6detail15normal_iteratorINS9_10device_ptrIdEEEESE_d11max_functorIdEdEEDaPvRmT3_T4_T5_mT6_P12ihipStream_tbENKUlT_T0_E_clISt17integral_constantIbLb0EESU_EEDaSP_SQ_EUlSP_E0_NS1_11comp_targetILNS1_3genE5ELNS1_11target_archE942ELNS1_3gpuE9ELNS1_3repE0EEENS1_30default_config_static_selectorELNS0_4arch9wavefront6targetE1EEEvT1_,comdat
.Lfunc_end1806:
	.size	_ZN7rocprim17ROCPRIM_400000_NS6detail17trampoline_kernelINS0_14default_configENS1_20scan_config_selectorIdEEZZNS1_9scan_implILNS1_25lookback_scan_determinismE0ELb0ELb0ES3_N6thrust23THRUST_200600_302600_NS6detail15normal_iteratorINS9_10device_ptrIdEEEESE_d11max_functorIdEdEEDaPvRmT3_T4_T5_mT6_P12ihipStream_tbENKUlT_T0_E_clISt17integral_constantIbLb0EESU_EEDaSP_SQ_EUlSP_E0_NS1_11comp_targetILNS1_3genE5ELNS1_11target_archE942ELNS1_3gpuE9ELNS1_3repE0EEENS1_30default_config_static_selectorELNS0_4arch9wavefront6targetE1EEEvT1_, .Lfunc_end1806-_ZN7rocprim17ROCPRIM_400000_NS6detail17trampoline_kernelINS0_14default_configENS1_20scan_config_selectorIdEEZZNS1_9scan_implILNS1_25lookback_scan_determinismE0ELb0ELb0ES3_N6thrust23THRUST_200600_302600_NS6detail15normal_iteratorINS9_10device_ptrIdEEEESE_d11max_functorIdEdEEDaPvRmT3_T4_T5_mT6_P12ihipStream_tbENKUlT_T0_E_clISt17integral_constantIbLb0EESU_EEDaSP_SQ_EUlSP_E0_NS1_11comp_targetILNS1_3genE5ELNS1_11target_archE942ELNS1_3gpuE9ELNS1_3repE0EEENS1_30default_config_static_selectorELNS0_4arch9wavefront6targetE1EEEvT1_
                                        ; -- End function
	.section	.AMDGPU.csdata,"",@progbits
; Kernel info:
; codeLenInByte = 0
; NumSgprs: 4
; NumVgprs: 0
; NumAgprs: 0
; TotalNumVgprs: 0
; ScratchSize: 0
; MemoryBound: 0
; FloatMode: 240
; IeeeMode: 1
; LDSByteSize: 0 bytes/workgroup (compile time only)
; SGPRBlocks: 0
; VGPRBlocks: 0
; NumSGPRsForWavesPerEU: 4
; NumVGPRsForWavesPerEU: 1
; AccumOffset: 4
; Occupancy: 8
; WaveLimiterHint : 0
; COMPUTE_PGM_RSRC2:SCRATCH_EN: 0
; COMPUTE_PGM_RSRC2:USER_SGPR: 6
; COMPUTE_PGM_RSRC2:TRAP_HANDLER: 0
; COMPUTE_PGM_RSRC2:TGID_X_EN: 1
; COMPUTE_PGM_RSRC2:TGID_Y_EN: 0
; COMPUTE_PGM_RSRC2:TGID_Z_EN: 0
; COMPUTE_PGM_RSRC2:TIDIG_COMP_CNT: 0
; COMPUTE_PGM_RSRC3_GFX90A:ACCUM_OFFSET: 0
; COMPUTE_PGM_RSRC3_GFX90A:TG_SPLIT: 0
	.section	.text._ZN7rocprim17ROCPRIM_400000_NS6detail17trampoline_kernelINS0_14default_configENS1_20scan_config_selectorIdEEZZNS1_9scan_implILNS1_25lookback_scan_determinismE0ELb0ELb0ES3_N6thrust23THRUST_200600_302600_NS6detail15normal_iteratorINS9_10device_ptrIdEEEESE_d11max_functorIdEdEEDaPvRmT3_T4_T5_mT6_P12ihipStream_tbENKUlT_T0_E_clISt17integral_constantIbLb0EESU_EEDaSP_SQ_EUlSP_E0_NS1_11comp_targetILNS1_3genE4ELNS1_11target_archE910ELNS1_3gpuE8ELNS1_3repE0EEENS1_30default_config_static_selectorELNS0_4arch9wavefront6targetE1EEEvT1_,"axG",@progbits,_ZN7rocprim17ROCPRIM_400000_NS6detail17trampoline_kernelINS0_14default_configENS1_20scan_config_selectorIdEEZZNS1_9scan_implILNS1_25lookback_scan_determinismE0ELb0ELb0ES3_N6thrust23THRUST_200600_302600_NS6detail15normal_iteratorINS9_10device_ptrIdEEEESE_d11max_functorIdEdEEDaPvRmT3_T4_T5_mT6_P12ihipStream_tbENKUlT_T0_E_clISt17integral_constantIbLb0EESU_EEDaSP_SQ_EUlSP_E0_NS1_11comp_targetILNS1_3genE4ELNS1_11target_archE910ELNS1_3gpuE8ELNS1_3repE0EEENS1_30default_config_static_selectorELNS0_4arch9wavefront6targetE1EEEvT1_,comdat
	.protected	_ZN7rocprim17ROCPRIM_400000_NS6detail17trampoline_kernelINS0_14default_configENS1_20scan_config_selectorIdEEZZNS1_9scan_implILNS1_25lookback_scan_determinismE0ELb0ELb0ES3_N6thrust23THRUST_200600_302600_NS6detail15normal_iteratorINS9_10device_ptrIdEEEESE_d11max_functorIdEdEEDaPvRmT3_T4_T5_mT6_P12ihipStream_tbENKUlT_T0_E_clISt17integral_constantIbLb0EESU_EEDaSP_SQ_EUlSP_E0_NS1_11comp_targetILNS1_3genE4ELNS1_11target_archE910ELNS1_3gpuE8ELNS1_3repE0EEENS1_30default_config_static_selectorELNS0_4arch9wavefront6targetE1EEEvT1_ ; -- Begin function _ZN7rocprim17ROCPRIM_400000_NS6detail17trampoline_kernelINS0_14default_configENS1_20scan_config_selectorIdEEZZNS1_9scan_implILNS1_25lookback_scan_determinismE0ELb0ELb0ES3_N6thrust23THRUST_200600_302600_NS6detail15normal_iteratorINS9_10device_ptrIdEEEESE_d11max_functorIdEdEEDaPvRmT3_T4_T5_mT6_P12ihipStream_tbENKUlT_T0_E_clISt17integral_constantIbLb0EESU_EEDaSP_SQ_EUlSP_E0_NS1_11comp_targetILNS1_3genE4ELNS1_11target_archE910ELNS1_3gpuE8ELNS1_3repE0EEENS1_30default_config_static_selectorELNS0_4arch9wavefront6targetE1EEEvT1_
	.globl	_ZN7rocprim17ROCPRIM_400000_NS6detail17trampoline_kernelINS0_14default_configENS1_20scan_config_selectorIdEEZZNS1_9scan_implILNS1_25lookback_scan_determinismE0ELb0ELb0ES3_N6thrust23THRUST_200600_302600_NS6detail15normal_iteratorINS9_10device_ptrIdEEEESE_d11max_functorIdEdEEDaPvRmT3_T4_T5_mT6_P12ihipStream_tbENKUlT_T0_E_clISt17integral_constantIbLb0EESU_EEDaSP_SQ_EUlSP_E0_NS1_11comp_targetILNS1_3genE4ELNS1_11target_archE910ELNS1_3gpuE8ELNS1_3repE0EEENS1_30default_config_static_selectorELNS0_4arch9wavefront6targetE1EEEvT1_
	.p2align	8
	.type	_ZN7rocprim17ROCPRIM_400000_NS6detail17trampoline_kernelINS0_14default_configENS1_20scan_config_selectorIdEEZZNS1_9scan_implILNS1_25lookback_scan_determinismE0ELb0ELb0ES3_N6thrust23THRUST_200600_302600_NS6detail15normal_iteratorINS9_10device_ptrIdEEEESE_d11max_functorIdEdEEDaPvRmT3_T4_T5_mT6_P12ihipStream_tbENKUlT_T0_E_clISt17integral_constantIbLb0EESU_EEDaSP_SQ_EUlSP_E0_NS1_11comp_targetILNS1_3genE4ELNS1_11target_archE910ELNS1_3gpuE8ELNS1_3repE0EEENS1_30default_config_static_selectorELNS0_4arch9wavefront6targetE1EEEvT1_,@function
_ZN7rocprim17ROCPRIM_400000_NS6detail17trampoline_kernelINS0_14default_configENS1_20scan_config_selectorIdEEZZNS1_9scan_implILNS1_25lookback_scan_determinismE0ELb0ELb0ES3_N6thrust23THRUST_200600_302600_NS6detail15normal_iteratorINS9_10device_ptrIdEEEESE_d11max_functorIdEdEEDaPvRmT3_T4_T5_mT6_P12ihipStream_tbENKUlT_T0_E_clISt17integral_constantIbLb0EESU_EEDaSP_SQ_EUlSP_E0_NS1_11comp_targetILNS1_3genE4ELNS1_11target_archE910ELNS1_3gpuE8ELNS1_3repE0EEENS1_30default_config_static_selectorELNS0_4arch9wavefront6targetE1EEEvT1_: ; @_ZN7rocprim17ROCPRIM_400000_NS6detail17trampoline_kernelINS0_14default_configENS1_20scan_config_selectorIdEEZZNS1_9scan_implILNS1_25lookback_scan_determinismE0ELb0ELb0ES3_N6thrust23THRUST_200600_302600_NS6detail15normal_iteratorINS9_10device_ptrIdEEEESE_d11max_functorIdEdEEDaPvRmT3_T4_T5_mT6_P12ihipStream_tbENKUlT_T0_E_clISt17integral_constantIbLb0EESU_EEDaSP_SQ_EUlSP_E0_NS1_11comp_targetILNS1_3genE4ELNS1_11target_archE910ELNS1_3gpuE8ELNS1_3repE0EEENS1_30default_config_static_selectorELNS0_4arch9wavefront6targetE1EEEvT1_
; %bb.0:
	s_load_dwordx4 s[20:23], s[4:5], 0x0
	v_lshlrev_b32_e32 v26, 3, v0
	s_waitcnt lgkmcnt(0)
	s_load_dwordx2 s[24:25], s[20:21], 0x0
	v_cmp_gt_u32_e32 vcc, s22, v0
	s_waitcnt lgkmcnt(0)
	v_pk_mov_b32 v[2:3], s[24:25], s[24:25] op_sel:[0,1]
	s_and_saveexec_b64 s[0:1], vcc
	s_cbranch_execz .LBB1807_2
; %bb.1:
	global_load_dwordx2 v[2:3], v26, s[20:21]
.LBB1807_2:
	s_or_b64 exec, exec, s[0:1]
	v_or_b32_e32 v1, 0x80, v0
	v_cmp_gt_u32_e64 s[0:1], s22, v1
	v_pk_mov_b32 v[4:5], s[24:25], s[24:25] op_sel:[0,1]
	s_and_saveexec_b64 s[2:3], s[0:1]
	s_cbranch_execz .LBB1807_4
; %bb.3:
	global_load_dwordx2 v[4:5], v26, s[20:21] offset:1024
.LBB1807_4:
	s_or_b64 exec, exec, s[2:3]
	v_or_b32_e32 v1, 0x100, v0
	v_cmp_gt_u32_e64 s[2:3], s22, v1
	v_pk_mov_b32 v[6:7], s[24:25], s[24:25] op_sel:[0,1]
	s_and_saveexec_b64 s[6:7], s[2:3]
	s_cbranch_execz .LBB1807_6
; %bb.5:
	global_load_dwordx2 v[6:7], v26, s[20:21] offset:2048
.LBB1807_6:
	;; [unrolled: 9-line block ×3, first 2 shown]
	s_or_b64 exec, exec, s[6:7]
	v_or_b32_e32 v1, 0x200, v0
	v_cmp_gt_u32_e64 s[6:7], s22, v1
	v_pk_mov_b32 v[10:11], s[24:25], s[24:25] op_sel:[0,1]
	s_and_saveexec_b64 s[8:9], s[6:7]
	s_cbranch_execz .LBB1807_10
; %bb.9:
	v_lshlrev_b32_e32 v1, 3, v1
	global_load_dwordx2 v[10:11], v1, s[20:21]
.LBB1807_10:
	s_or_b64 exec, exec, s[8:9]
	v_or_b32_e32 v1, 0x280, v0
	v_cmp_gt_u32_e64 s[8:9], s22, v1
	v_pk_mov_b32 v[12:13], s[24:25], s[24:25] op_sel:[0,1]
	s_and_saveexec_b64 s[10:11], s[8:9]
	s_cbranch_execz .LBB1807_12
; %bb.11:
	v_lshlrev_b32_e32 v1, 3, v1
	global_load_dwordx2 v[12:13], v1, s[20:21]
.LBB1807_12:
	;; [unrolled: 10-line block ×6, first 2 shown]
	s_or_b64 exec, exec, s[22:23]
	s_movk_i32 s20, 0x48
	v_mad_u32_u24 v1, v0, s20, v26
	s_waitcnt vmcnt(0)
	ds_write2st64_b64 v26, v[2:3], v[4:5] offset1:2
	ds_write2st64_b64 v26, v[6:7], v[8:9] offset0:4 offset1:6
	ds_write2st64_b64 v26, v[10:11], v[12:13] offset0:8 offset1:10
	;; [unrolled: 1-line block ×4, first 2 shown]
	s_waitcnt lgkmcnt(0)
	s_barrier
	ds_read_b128 v[2:5], v1
	ds_read_b128 v[18:21], v1 offset:16
	ds_read_b128 v[10:13], v1 offset:32
	;; [unrolled: 1-line block ×4, first 2 shown]
	s_waitcnt lgkmcnt(4)
	v_cmp_lt_f64_e64 s[20:21], v[2:3], v[4:5]
	v_cndmask_b32_e64 v23, v3, v5, s[20:21]
	v_cndmask_b32_e64 v22, v2, v4, s[20:21]
	s_waitcnt lgkmcnt(3)
	v_cmp_lt_f64_e64 s[20:21], v[22:23], v[18:19]
	v_cndmask_b32_e64 v23, v23, v19, s[20:21]
	v_cndmask_b32_e64 v22, v22, v18, s[20:21]
	v_cmp_lt_f64_e64 s[20:21], v[22:23], v[20:21]
	v_cndmask_b32_e64 v23, v23, v21, s[20:21]
	v_cndmask_b32_e64 v22, v22, v20, s[20:21]
	s_waitcnt lgkmcnt(2)
	v_cmp_lt_f64_e64 s[20:21], v[22:23], v[10:11]
	v_cndmask_b32_e64 v23, v23, v11, s[20:21]
	v_cndmask_b32_e64 v22, v22, v10, s[20:21]
	;; [unrolled: 7-line block ×4, first 2 shown]
	v_mbcnt_lo_u32_b32 v24, -1, 0
	v_cmp_lt_f64_e64 s[20:21], v[22:23], v[16:17]
	v_mbcnt_hi_u32_b32 v27, -1, v24
	v_cndmask_b32_e64 v23, v23, v17, s[20:21]
	v_cndmask_b32_e64 v22, v22, v16, s[20:21]
	v_and_b32_e32 v28, 15, v27
	v_mov_b32_dpp v25, v23 row_shr:1 row_mask:0xf bank_mask:0xf
	v_mov_b32_dpp v24, v22 row_shr:1 row_mask:0xf bank_mask:0xf
	v_cmp_ne_u32_e64 s[20:21], 0, v28
	s_barrier
	s_and_saveexec_b64 s[22:23], s[20:21]
; %bb.21:
	v_cmp_gt_f64_e64 s[20:21], v[22:23], v[24:25]
	v_cndmask_b32_e64 v23, v25, v23, s[20:21]
	v_cndmask_b32_e64 v22, v24, v22, s[20:21]
; %bb.22:
	s_or_b64 exec, exec, s[22:23]
	s_nop 0
	v_mov_b32_dpp v24, v22 row_shr:2 row_mask:0xf bank_mask:0xf
	v_mov_b32_dpp v25, v23 row_shr:2 row_mask:0xf bank_mask:0xf
	v_cmp_lt_u32_e64 s[20:21], 1, v28
	s_and_saveexec_b64 s[22:23], s[20:21]
; %bb.23:
	v_cmp_gt_f64_e64 s[20:21], v[22:23], v[24:25]
	v_cndmask_b32_e64 v23, v25, v23, s[20:21]
	v_cndmask_b32_e64 v22, v24, v22, s[20:21]
; %bb.24:
	s_or_b64 exec, exec, s[22:23]
	s_nop 0
	v_mov_b32_dpp v24, v22 row_shr:4 row_mask:0xf bank_mask:0xf
	v_mov_b32_dpp v25, v23 row_shr:4 row_mask:0xf bank_mask:0xf
	v_cmp_lt_u32_e64 s[20:21], 3, v28
	;; [unrolled: 11-line block ×3, first 2 shown]
	s_and_saveexec_b64 s[22:23], s[20:21]
; %bb.27:
	v_cmp_gt_f64_e64 s[20:21], v[22:23], v[24:25]
	v_cndmask_b32_e64 v23, v25, v23, s[20:21]
	v_cndmask_b32_e64 v22, v24, v22, s[20:21]
; %bb.28:
	s_or_b64 exec, exec, s[22:23]
	v_and_b32_e32 v28, 16, v27
	v_mov_b32_dpp v24, v22 row_bcast:15 row_mask:0xf bank_mask:0xf
	v_mov_b32_dpp v25, v23 row_bcast:15 row_mask:0xf bank_mask:0xf
	v_cmp_ne_u32_e64 s[20:21], 0, v28
	s_and_saveexec_b64 s[22:23], s[20:21]
; %bb.29:
	v_cmp_gt_f64_e64 s[20:21], v[22:23], v[24:25]
	v_cndmask_b32_e64 v23, v25, v23, s[20:21]
	v_cndmask_b32_e64 v22, v24, v22, s[20:21]
; %bb.30:
	s_or_b64 exec, exec, s[22:23]
	s_nop 0
	v_mov_b32_dpp v24, v22 row_bcast:31 row_mask:0xf bank_mask:0xf
	v_mov_b32_dpp v25, v23 row_bcast:31 row_mask:0xf bank_mask:0xf
	v_cmp_gt_f64_e64 s[20:21], v[22:23], v[24:25]
	v_cndmask_b32_e64 v24, v24, v22, s[20:21]
	v_cndmask_b32_e64 v25, v25, v23, s[20:21]
	v_cmp_lt_u32_e64 s[20:21], 31, v27
	v_cndmask_b32_e64 v22, v22, v24, s[20:21]
	v_or_b32_e32 v24, 63, v0
	v_cndmask_b32_e64 v23, v23, v25, s[20:21]
	v_lshrrev_b32_e32 v28, 6, v0
	v_cmp_eq_u32_e64 s[20:21], v24, v0
	s_and_saveexec_b64 s[22:23], s[20:21]
	s_cbranch_execz .LBB1807_32
; %bb.31:
	v_lshlrev_b32_e32 v24, 3, v28
	ds_write_b64 v24, v[22:23]
.LBB1807_32:
	s_or_b64 exec, exec, s[22:23]
	v_cmp_gt_u32_e64 s[20:21], 2, v0
	s_waitcnt lgkmcnt(0)
	s_barrier
	s_and_saveexec_b64 s[24:25], s[20:21]
	s_cbranch_execz .LBB1807_34
; %bb.33:
	ds_read_b64 v[24:25], v26
	v_and_b32_e32 v29, 1, v27
	v_cmp_eq_u32_e64 s[20:21], 0, v29
	s_waitcnt lgkmcnt(0)
	v_mov_b32_dpp v32, v25 row_shr:1 row_mask:0xf bank_mask:0xf
	v_mov_b32_dpp v30, v24 row_shr:1 row_mask:0xf bank_mask:0xf
	v_mov_b32_e32 v31, v32
	v_cmp_gt_f64_e64 s[22:23], v[24:25], v[30:31]
	s_or_b64 s[20:21], s[20:21], s[22:23]
	v_cndmask_b32_e64 v25, v32, v25, s[20:21]
	v_cndmask_b32_e64 v24, v30, v24, s[20:21]
	ds_write_b64 v26, v[24:25]
.LBB1807_34:
	s_or_b64 exec, exec, s[24:25]
	s_load_dwordx2 s[20:21], s[4:5], 0x20
	v_cmp_lt_u32_e64 s[4:5], 63, v0
	s_waitcnt lgkmcnt(0)
	s_barrier
	s_waitcnt lgkmcnt(0)
                                        ; implicit-def: $vgpr24_vgpr25
	s_and_saveexec_b64 s[22:23], s[4:5]
	s_cbranch_execz .LBB1807_36
; %bb.35:
	v_lshl_add_u32 v24, v28, 3, -8
	ds_read_b64 v[24:25], v24
	s_waitcnt lgkmcnt(0)
	v_cmp_lt_f64_e64 s[4:5], v[24:25], v[22:23]
	v_cndmask_b32_e64 v23, v25, v23, s[4:5]
	v_cndmask_b32_e64 v22, v24, v22, s[4:5]
.LBB1807_36:
	s_or_b64 exec, exec, s[22:23]
	v_add_u32_e32 v28, -1, v27
	v_and_b32_e32 v29, 64, v27
	v_cmp_lt_i32_e64 s[4:5], v28, v29
	v_cndmask_b32_e64 v28, v28, v27, s[4:5]
	v_lshlrev_b32_e32 v28, 2, v28
	ds_bpermute_b32 v22, v28, v22
	ds_bpermute_b32 v23, v28, v23
	v_cmp_ne_u32_e64 s[4:5], 0, v0
	s_and_saveexec_b64 s[22:23], s[4:5]
	s_cbranch_execz .LBB1807_38
; %bb.37:
	v_cmp_eq_u32_e64 s[4:5], 0, v27
	s_waitcnt lgkmcnt(0)
	v_cndmask_b32_e64 v23, v23, v25, s[4:5]
	v_cndmask_b32_e64 v22, v22, v24, s[4:5]
	v_cmp_gt_f64_e64 s[4:5], v[2:3], v[22:23]
	v_cndmask_b32_e64 v3, v23, v3, s[4:5]
	v_cndmask_b32_e64 v2, v22, v2, s[4:5]
	;;#ASMSTART
	;;#ASMEND
.LBB1807_38:
	s_or_b64 exec, exec, s[22:23]
	v_cmp_gt_f64_e64 s[4:5], v[4:5], v[2:3]
	v_cndmask_b32_e64 v5, v3, v5, s[4:5]
	v_cndmask_b32_e64 v4, v2, v4, s[4:5]
	v_cmp_lt_f64_e64 s[4:5], v[4:5], v[18:19]
	v_cndmask_b32_e64 v19, v5, v19, s[4:5]
	v_cndmask_b32_e64 v18, v4, v18, s[4:5]
	v_cmp_lt_f64_e64 s[4:5], v[18:19], v[20:21]
	;; [unrolled: 3-line block ×8, first 2 shown]
	v_cndmask_b32_e64 v17, v15, v17, s[4:5]
	v_cndmask_b32_e64 v16, v14, v16, s[4:5]
	s_movk_i32 s4, 0xffb8
	v_mad_i32_i24 v0, v0, s4, v1
	s_waitcnt lgkmcnt(0)
	s_barrier
	ds_write_b128 v1, v[2:5]
	ds_write_b128 v1, v[18:21] offset:16
	ds_write_b128 v1, v[10:13] offset:32
	;; [unrolled: 1-line block ×4, first 2 shown]
	s_waitcnt lgkmcnt(0)
	s_barrier
	ds_read2st64_b64 v[12:15], v0 offset0:2 offset1:4
	ds_read2st64_b64 v[8:11], v0 offset0:6 offset1:8
	;; [unrolled: 1-line block ×4, first 2 shown]
	ds_read_b64 v[18:19], v26 offset:8192
	v_mov_b32_e32 v17, s21
	v_add_co_u32_e64 v16, s[4:5], s20, v26
	v_addc_co_u32_e64 v17, s[4:5], 0, v17, s[4:5]
	s_and_saveexec_b64 s[4:5], vcc
	s_cbranch_execnz .LBB1807_49
; %bb.39:
	s_or_b64 exec, exec, s[4:5]
	s_and_saveexec_b64 s[4:5], s[0:1]
	s_cbranch_execnz .LBB1807_50
.LBB1807_40:
	s_or_b64 exec, exec, s[4:5]
	s_and_saveexec_b64 s[0:1], s[2:3]
	s_cbranch_execnz .LBB1807_51
.LBB1807_41:
	s_or_b64 exec, exec, s[0:1]
	s_and_saveexec_b64 s[0:1], s[18:19]
	s_cbranch_execnz .LBB1807_52
.LBB1807_42:
	s_or_b64 exec, exec, s[0:1]
	s_and_saveexec_b64 s[0:1], s[6:7]
	s_cbranch_execnz .LBB1807_53
.LBB1807_43:
	s_or_b64 exec, exec, s[0:1]
	s_and_saveexec_b64 s[0:1], s[8:9]
	s_cbranch_execnz .LBB1807_54
.LBB1807_44:
	s_or_b64 exec, exec, s[0:1]
	s_and_saveexec_b64 s[0:1], s[10:11]
	s_cbranch_execnz .LBB1807_55
.LBB1807_45:
	s_or_b64 exec, exec, s[0:1]
	s_and_saveexec_b64 s[0:1], s[12:13]
	s_cbranch_execnz .LBB1807_56
.LBB1807_46:
	s_or_b64 exec, exec, s[0:1]
	s_and_saveexec_b64 s[0:1], s[14:15]
	s_cbranch_execnz .LBB1807_57
.LBB1807_47:
	s_or_b64 exec, exec, s[0:1]
	s_and_saveexec_b64 s[0:1], s[16:17]
	s_cbranch_execnz .LBB1807_58
.LBB1807_48:
	s_endpgm
.LBB1807_49:
	ds_read_b64 v[20:21], v26
	s_waitcnt lgkmcnt(0)
	global_store_dwordx2 v[16:17], v[20:21], off
	s_or_b64 exec, exec, s[4:5]
	s_and_saveexec_b64 s[4:5], s[0:1]
	s_cbranch_execz .LBB1807_40
.LBB1807_50:
	s_waitcnt lgkmcnt(4)
	global_store_dwordx2 v[16:17], v[12:13], off offset:1024
	s_or_b64 exec, exec, s[4:5]
	s_and_saveexec_b64 s[0:1], s[2:3]
	s_cbranch_execz .LBB1807_41
.LBB1807_51:
	s_waitcnt lgkmcnt(4)
	global_store_dwordx2 v[16:17], v[14:15], off offset:2048
	s_or_b64 exec, exec, s[0:1]
	s_and_saveexec_b64 s[0:1], s[18:19]
	s_cbranch_execz .LBB1807_42
.LBB1807_52:
	s_waitcnt lgkmcnt(3)
	global_store_dwordx2 v[16:17], v[8:9], off offset:3072
	s_or_b64 exec, exec, s[0:1]
	s_and_saveexec_b64 s[0:1], s[6:7]
	s_cbranch_execz .LBB1807_43
.LBB1807_53:
	s_waitcnt lgkmcnt(3)
	v_add_co_u32_e32 v8, vcc, 0x1000, v16
	v_addc_co_u32_e32 v9, vcc, 0, v17, vcc
	global_store_dwordx2 v[8:9], v[10:11], off
	s_or_b64 exec, exec, s[0:1]
	s_and_saveexec_b64 s[0:1], s[8:9]
	s_cbranch_execz .LBB1807_44
.LBB1807_54:
	s_waitcnt lgkmcnt(3)
	v_add_co_u32_e32 v8, vcc, 0x1000, v16
	v_addc_co_u32_e32 v9, vcc, 0, v17, vcc
	s_waitcnt lgkmcnt(2)
	global_store_dwordx2 v[8:9], v[4:5], off offset:1024
	s_or_b64 exec, exec, s[0:1]
	s_and_saveexec_b64 s[0:1], s[10:11]
	s_cbranch_execz .LBB1807_45
.LBB1807_55:
	s_waitcnt lgkmcnt(2)
	v_add_co_u32_e32 v4, vcc, 0x1000, v16
	v_addc_co_u32_e32 v5, vcc, 0, v17, vcc
	global_store_dwordx2 v[4:5], v[6:7], off offset:2048
	s_or_b64 exec, exec, s[0:1]
	s_and_saveexec_b64 s[0:1], s[12:13]
	s_cbranch_execz .LBB1807_46
.LBB1807_56:
	s_waitcnt lgkmcnt(2)
	v_add_co_u32_e32 v4, vcc, 0x1000, v16
	v_addc_co_u32_e32 v5, vcc, 0, v17, vcc
	s_waitcnt lgkmcnt(1)
	global_store_dwordx2 v[4:5], v[0:1], off offset:3072
	s_or_b64 exec, exec, s[0:1]
	s_and_saveexec_b64 s[0:1], s[14:15]
	s_cbranch_execz .LBB1807_47
.LBB1807_57:
	s_waitcnt lgkmcnt(1)
	v_add_co_u32_e32 v0, vcc, 0x2000, v16
	v_addc_co_u32_e32 v1, vcc, 0, v17, vcc
	s_waitcnt lgkmcnt(0)
	global_store_dwordx2 v[0:1], v[18:19], off
	s_or_b64 exec, exec, s[0:1]
	s_and_saveexec_b64 s[0:1], s[16:17]
	s_cbranch_execz .LBB1807_48
.LBB1807_58:
	s_waitcnt lgkmcnt(1)
	v_add_co_u32_e32 v0, vcc, 0x2000, v16
	v_addc_co_u32_e32 v1, vcc, 0, v17, vcc
	global_store_dwordx2 v[0:1], v[2:3], off offset:1024
	s_endpgm
	.section	.rodata,"a",@progbits
	.p2align	6, 0x0
	.amdhsa_kernel _ZN7rocprim17ROCPRIM_400000_NS6detail17trampoline_kernelINS0_14default_configENS1_20scan_config_selectorIdEEZZNS1_9scan_implILNS1_25lookback_scan_determinismE0ELb0ELb0ES3_N6thrust23THRUST_200600_302600_NS6detail15normal_iteratorINS9_10device_ptrIdEEEESE_d11max_functorIdEdEEDaPvRmT3_T4_T5_mT6_P12ihipStream_tbENKUlT_T0_E_clISt17integral_constantIbLb0EESU_EEDaSP_SQ_EUlSP_E0_NS1_11comp_targetILNS1_3genE4ELNS1_11target_archE910ELNS1_3gpuE8ELNS1_3repE0EEENS1_30default_config_static_selectorELNS0_4arch9wavefront6targetE1EEEvT1_
		.amdhsa_group_segment_fixed_size 10240
		.amdhsa_private_segment_fixed_size 0
		.amdhsa_kernarg_size 40
		.amdhsa_user_sgpr_count 6
		.amdhsa_user_sgpr_private_segment_buffer 1
		.amdhsa_user_sgpr_dispatch_ptr 0
		.amdhsa_user_sgpr_queue_ptr 0
		.amdhsa_user_sgpr_kernarg_segment_ptr 1
		.amdhsa_user_sgpr_dispatch_id 0
		.amdhsa_user_sgpr_flat_scratch_init 0
		.amdhsa_user_sgpr_kernarg_preload_length 0
		.amdhsa_user_sgpr_kernarg_preload_offset 0
		.amdhsa_user_sgpr_private_segment_size 0
		.amdhsa_uses_dynamic_stack 0
		.amdhsa_system_sgpr_private_segment_wavefront_offset 0
		.amdhsa_system_sgpr_workgroup_id_x 1
		.amdhsa_system_sgpr_workgroup_id_y 0
		.amdhsa_system_sgpr_workgroup_id_z 0
		.amdhsa_system_sgpr_workgroup_info 0
		.amdhsa_system_vgpr_workitem_id 0
		.amdhsa_next_free_vgpr 33
		.amdhsa_next_free_sgpr 26
		.amdhsa_accum_offset 36
		.amdhsa_reserve_vcc 1
		.amdhsa_reserve_flat_scratch 0
		.amdhsa_float_round_mode_32 0
		.amdhsa_float_round_mode_16_64 0
		.amdhsa_float_denorm_mode_32 3
		.amdhsa_float_denorm_mode_16_64 3
		.amdhsa_dx10_clamp 1
		.amdhsa_ieee_mode 1
		.amdhsa_fp16_overflow 0
		.amdhsa_tg_split 0
		.amdhsa_exception_fp_ieee_invalid_op 0
		.amdhsa_exception_fp_denorm_src 0
		.amdhsa_exception_fp_ieee_div_zero 0
		.amdhsa_exception_fp_ieee_overflow 0
		.amdhsa_exception_fp_ieee_underflow 0
		.amdhsa_exception_fp_ieee_inexact 0
		.amdhsa_exception_int_div_zero 0
	.end_amdhsa_kernel
	.section	.text._ZN7rocprim17ROCPRIM_400000_NS6detail17trampoline_kernelINS0_14default_configENS1_20scan_config_selectorIdEEZZNS1_9scan_implILNS1_25lookback_scan_determinismE0ELb0ELb0ES3_N6thrust23THRUST_200600_302600_NS6detail15normal_iteratorINS9_10device_ptrIdEEEESE_d11max_functorIdEdEEDaPvRmT3_T4_T5_mT6_P12ihipStream_tbENKUlT_T0_E_clISt17integral_constantIbLb0EESU_EEDaSP_SQ_EUlSP_E0_NS1_11comp_targetILNS1_3genE4ELNS1_11target_archE910ELNS1_3gpuE8ELNS1_3repE0EEENS1_30default_config_static_selectorELNS0_4arch9wavefront6targetE1EEEvT1_,"axG",@progbits,_ZN7rocprim17ROCPRIM_400000_NS6detail17trampoline_kernelINS0_14default_configENS1_20scan_config_selectorIdEEZZNS1_9scan_implILNS1_25lookback_scan_determinismE0ELb0ELb0ES3_N6thrust23THRUST_200600_302600_NS6detail15normal_iteratorINS9_10device_ptrIdEEEESE_d11max_functorIdEdEEDaPvRmT3_T4_T5_mT6_P12ihipStream_tbENKUlT_T0_E_clISt17integral_constantIbLb0EESU_EEDaSP_SQ_EUlSP_E0_NS1_11comp_targetILNS1_3genE4ELNS1_11target_archE910ELNS1_3gpuE8ELNS1_3repE0EEENS1_30default_config_static_selectorELNS0_4arch9wavefront6targetE1EEEvT1_,comdat
.Lfunc_end1807:
	.size	_ZN7rocprim17ROCPRIM_400000_NS6detail17trampoline_kernelINS0_14default_configENS1_20scan_config_selectorIdEEZZNS1_9scan_implILNS1_25lookback_scan_determinismE0ELb0ELb0ES3_N6thrust23THRUST_200600_302600_NS6detail15normal_iteratorINS9_10device_ptrIdEEEESE_d11max_functorIdEdEEDaPvRmT3_T4_T5_mT6_P12ihipStream_tbENKUlT_T0_E_clISt17integral_constantIbLb0EESU_EEDaSP_SQ_EUlSP_E0_NS1_11comp_targetILNS1_3genE4ELNS1_11target_archE910ELNS1_3gpuE8ELNS1_3repE0EEENS1_30default_config_static_selectorELNS0_4arch9wavefront6targetE1EEEvT1_, .Lfunc_end1807-_ZN7rocprim17ROCPRIM_400000_NS6detail17trampoline_kernelINS0_14default_configENS1_20scan_config_selectorIdEEZZNS1_9scan_implILNS1_25lookback_scan_determinismE0ELb0ELb0ES3_N6thrust23THRUST_200600_302600_NS6detail15normal_iteratorINS9_10device_ptrIdEEEESE_d11max_functorIdEdEEDaPvRmT3_T4_T5_mT6_P12ihipStream_tbENKUlT_T0_E_clISt17integral_constantIbLb0EESU_EEDaSP_SQ_EUlSP_E0_NS1_11comp_targetILNS1_3genE4ELNS1_11target_archE910ELNS1_3gpuE8ELNS1_3repE0EEENS1_30default_config_static_selectorELNS0_4arch9wavefront6targetE1EEEvT1_
                                        ; -- End function
	.section	.AMDGPU.csdata,"",@progbits
; Kernel info:
; codeLenInByte = 2344
; NumSgprs: 30
; NumVgprs: 33
; NumAgprs: 0
; TotalNumVgprs: 33
; ScratchSize: 0
; MemoryBound: 0
; FloatMode: 240
; IeeeMode: 1
; LDSByteSize: 10240 bytes/workgroup (compile time only)
; SGPRBlocks: 3
; VGPRBlocks: 4
; NumSGPRsForWavesPerEU: 30
; NumVGPRsForWavesPerEU: 33
; AccumOffset: 36
; Occupancy: 3
; WaveLimiterHint : 0
; COMPUTE_PGM_RSRC2:SCRATCH_EN: 0
; COMPUTE_PGM_RSRC2:USER_SGPR: 6
; COMPUTE_PGM_RSRC2:TRAP_HANDLER: 0
; COMPUTE_PGM_RSRC2:TGID_X_EN: 1
; COMPUTE_PGM_RSRC2:TGID_Y_EN: 0
; COMPUTE_PGM_RSRC2:TGID_Z_EN: 0
; COMPUTE_PGM_RSRC2:TIDIG_COMP_CNT: 0
; COMPUTE_PGM_RSRC3_GFX90A:ACCUM_OFFSET: 8
; COMPUTE_PGM_RSRC3_GFX90A:TG_SPLIT: 0
	.section	.text._ZN7rocprim17ROCPRIM_400000_NS6detail17trampoline_kernelINS0_14default_configENS1_20scan_config_selectorIdEEZZNS1_9scan_implILNS1_25lookback_scan_determinismE0ELb0ELb0ES3_N6thrust23THRUST_200600_302600_NS6detail15normal_iteratorINS9_10device_ptrIdEEEESE_d11max_functorIdEdEEDaPvRmT3_T4_T5_mT6_P12ihipStream_tbENKUlT_T0_E_clISt17integral_constantIbLb0EESU_EEDaSP_SQ_EUlSP_E0_NS1_11comp_targetILNS1_3genE3ELNS1_11target_archE908ELNS1_3gpuE7ELNS1_3repE0EEENS1_30default_config_static_selectorELNS0_4arch9wavefront6targetE1EEEvT1_,"axG",@progbits,_ZN7rocprim17ROCPRIM_400000_NS6detail17trampoline_kernelINS0_14default_configENS1_20scan_config_selectorIdEEZZNS1_9scan_implILNS1_25lookback_scan_determinismE0ELb0ELb0ES3_N6thrust23THRUST_200600_302600_NS6detail15normal_iteratorINS9_10device_ptrIdEEEESE_d11max_functorIdEdEEDaPvRmT3_T4_T5_mT6_P12ihipStream_tbENKUlT_T0_E_clISt17integral_constantIbLb0EESU_EEDaSP_SQ_EUlSP_E0_NS1_11comp_targetILNS1_3genE3ELNS1_11target_archE908ELNS1_3gpuE7ELNS1_3repE0EEENS1_30default_config_static_selectorELNS0_4arch9wavefront6targetE1EEEvT1_,comdat
	.protected	_ZN7rocprim17ROCPRIM_400000_NS6detail17trampoline_kernelINS0_14default_configENS1_20scan_config_selectorIdEEZZNS1_9scan_implILNS1_25lookback_scan_determinismE0ELb0ELb0ES3_N6thrust23THRUST_200600_302600_NS6detail15normal_iteratorINS9_10device_ptrIdEEEESE_d11max_functorIdEdEEDaPvRmT3_T4_T5_mT6_P12ihipStream_tbENKUlT_T0_E_clISt17integral_constantIbLb0EESU_EEDaSP_SQ_EUlSP_E0_NS1_11comp_targetILNS1_3genE3ELNS1_11target_archE908ELNS1_3gpuE7ELNS1_3repE0EEENS1_30default_config_static_selectorELNS0_4arch9wavefront6targetE1EEEvT1_ ; -- Begin function _ZN7rocprim17ROCPRIM_400000_NS6detail17trampoline_kernelINS0_14default_configENS1_20scan_config_selectorIdEEZZNS1_9scan_implILNS1_25lookback_scan_determinismE0ELb0ELb0ES3_N6thrust23THRUST_200600_302600_NS6detail15normal_iteratorINS9_10device_ptrIdEEEESE_d11max_functorIdEdEEDaPvRmT3_T4_T5_mT6_P12ihipStream_tbENKUlT_T0_E_clISt17integral_constantIbLb0EESU_EEDaSP_SQ_EUlSP_E0_NS1_11comp_targetILNS1_3genE3ELNS1_11target_archE908ELNS1_3gpuE7ELNS1_3repE0EEENS1_30default_config_static_selectorELNS0_4arch9wavefront6targetE1EEEvT1_
	.globl	_ZN7rocprim17ROCPRIM_400000_NS6detail17trampoline_kernelINS0_14default_configENS1_20scan_config_selectorIdEEZZNS1_9scan_implILNS1_25lookback_scan_determinismE0ELb0ELb0ES3_N6thrust23THRUST_200600_302600_NS6detail15normal_iteratorINS9_10device_ptrIdEEEESE_d11max_functorIdEdEEDaPvRmT3_T4_T5_mT6_P12ihipStream_tbENKUlT_T0_E_clISt17integral_constantIbLb0EESU_EEDaSP_SQ_EUlSP_E0_NS1_11comp_targetILNS1_3genE3ELNS1_11target_archE908ELNS1_3gpuE7ELNS1_3repE0EEENS1_30default_config_static_selectorELNS0_4arch9wavefront6targetE1EEEvT1_
	.p2align	8
	.type	_ZN7rocprim17ROCPRIM_400000_NS6detail17trampoline_kernelINS0_14default_configENS1_20scan_config_selectorIdEEZZNS1_9scan_implILNS1_25lookback_scan_determinismE0ELb0ELb0ES3_N6thrust23THRUST_200600_302600_NS6detail15normal_iteratorINS9_10device_ptrIdEEEESE_d11max_functorIdEdEEDaPvRmT3_T4_T5_mT6_P12ihipStream_tbENKUlT_T0_E_clISt17integral_constantIbLb0EESU_EEDaSP_SQ_EUlSP_E0_NS1_11comp_targetILNS1_3genE3ELNS1_11target_archE908ELNS1_3gpuE7ELNS1_3repE0EEENS1_30default_config_static_selectorELNS0_4arch9wavefront6targetE1EEEvT1_,@function
_ZN7rocprim17ROCPRIM_400000_NS6detail17trampoline_kernelINS0_14default_configENS1_20scan_config_selectorIdEEZZNS1_9scan_implILNS1_25lookback_scan_determinismE0ELb0ELb0ES3_N6thrust23THRUST_200600_302600_NS6detail15normal_iteratorINS9_10device_ptrIdEEEESE_d11max_functorIdEdEEDaPvRmT3_T4_T5_mT6_P12ihipStream_tbENKUlT_T0_E_clISt17integral_constantIbLb0EESU_EEDaSP_SQ_EUlSP_E0_NS1_11comp_targetILNS1_3genE3ELNS1_11target_archE908ELNS1_3gpuE7ELNS1_3repE0EEENS1_30default_config_static_selectorELNS0_4arch9wavefront6targetE1EEEvT1_: ; @_ZN7rocprim17ROCPRIM_400000_NS6detail17trampoline_kernelINS0_14default_configENS1_20scan_config_selectorIdEEZZNS1_9scan_implILNS1_25lookback_scan_determinismE0ELb0ELb0ES3_N6thrust23THRUST_200600_302600_NS6detail15normal_iteratorINS9_10device_ptrIdEEEESE_d11max_functorIdEdEEDaPvRmT3_T4_T5_mT6_P12ihipStream_tbENKUlT_T0_E_clISt17integral_constantIbLb0EESU_EEDaSP_SQ_EUlSP_E0_NS1_11comp_targetILNS1_3genE3ELNS1_11target_archE908ELNS1_3gpuE7ELNS1_3repE0EEENS1_30default_config_static_selectorELNS0_4arch9wavefront6targetE1EEEvT1_
; %bb.0:
	.section	.rodata,"a",@progbits
	.p2align	6, 0x0
	.amdhsa_kernel _ZN7rocprim17ROCPRIM_400000_NS6detail17trampoline_kernelINS0_14default_configENS1_20scan_config_selectorIdEEZZNS1_9scan_implILNS1_25lookback_scan_determinismE0ELb0ELb0ES3_N6thrust23THRUST_200600_302600_NS6detail15normal_iteratorINS9_10device_ptrIdEEEESE_d11max_functorIdEdEEDaPvRmT3_T4_T5_mT6_P12ihipStream_tbENKUlT_T0_E_clISt17integral_constantIbLb0EESU_EEDaSP_SQ_EUlSP_E0_NS1_11comp_targetILNS1_3genE3ELNS1_11target_archE908ELNS1_3gpuE7ELNS1_3repE0EEENS1_30default_config_static_selectorELNS0_4arch9wavefront6targetE1EEEvT1_
		.amdhsa_group_segment_fixed_size 0
		.amdhsa_private_segment_fixed_size 0
		.amdhsa_kernarg_size 40
		.amdhsa_user_sgpr_count 6
		.amdhsa_user_sgpr_private_segment_buffer 1
		.amdhsa_user_sgpr_dispatch_ptr 0
		.amdhsa_user_sgpr_queue_ptr 0
		.amdhsa_user_sgpr_kernarg_segment_ptr 1
		.amdhsa_user_sgpr_dispatch_id 0
		.amdhsa_user_sgpr_flat_scratch_init 0
		.amdhsa_user_sgpr_kernarg_preload_length 0
		.amdhsa_user_sgpr_kernarg_preload_offset 0
		.amdhsa_user_sgpr_private_segment_size 0
		.amdhsa_uses_dynamic_stack 0
		.amdhsa_system_sgpr_private_segment_wavefront_offset 0
		.amdhsa_system_sgpr_workgroup_id_x 1
		.amdhsa_system_sgpr_workgroup_id_y 0
		.amdhsa_system_sgpr_workgroup_id_z 0
		.amdhsa_system_sgpr_workgroup_info 0
		.amdhsa_system_vgpr_workitem_id 0
		.amdhsa_next_free_vgpr 1
		.amdhsa_next_free_sgpr 0
		.amdhsa_accum_offset 4
		.amdhsa_reserve_vcc 0
		.amdhsa_reserve_flat_scratch 0
		.amdhsa_float_round_mode_32 0
		.amdhsa_float_round_mode_16_64 0
		.amdhsa_float_denorm_mode_32 3
		.amdhsa_float_denorm_mode_16_64 3
		.amdhsa_dx10_clamp 1
		.amdhsa_ieee_mode 1
		.amdhsa_fp16_overflow 0
		.amdhsa_tg_split 0
		.amdhsa_exception_fp_ieee_invalid_op 0
		.amdhsa_exception_fp_denorm_src 0
		.amdhsa_exception_fp_ieee_div_zero 0
		.amdhsa_exception_fp_ieee_overflow 0
		.amdhsa_exception_fp_ieee_underflow 0
		.amdhsa_exception_fp_ieee_inexact 0
		.amdhsa_exception_int_div_zero 0
	.end_amdhsa_kernel
	.section	.text._ZN7rocprim17ROCPRIM_400000_NS6detail17trampoline_kernelINS0_14default_configENS1_20scan_config_selectorIdEEZZNS1_9scan_implILNS1_25lookback_scan_determinismE0ELb0ELb0ES3_N6thrust23THRUST_200600_302600_NS6detail15normal_iteratorINS9_10device_ptrIdEEEESE_d11max_functorIdEdEEDaPvRmT3_T4_T5_mT6_P12ihipStream_tbENKUlT_T0_E_clISt17integral_constantIbLb0EESU_EEDaSP_SQ_EUlSP_E0_NS1_11comp_targetILNS1_3genE3ELNS1_11target_archE908ELNS1_3gpuE7ELNS1_3repE0EEENS1_30default_config_static_selectorELNS0_4arch9wavefront6targetE1EEEvT1_,"axG",@progbits,_ZN7rocprim17ROCPRIM_400000_NS6detail17trampoline_kernelINS0_14default_configENS1_20scan_config_selectorIdEEZZNS1_9scan_implILNS1_25lookback_scan_determinismE0ELb0ELb0ES3_N6thrust23THRUST_200600_302600_NS6detail15normal_iteratorINS9_10device_ptrIdEEEESE_d11max_functorIdEdEEDaPvRmT3_T4_T5_mT6_P12ihipStream_tbENKUlT_T0_E_clISt17integral_constantIbLb0EESU_EEDaSP_SQ_EUlSP_E0_NS1_11comp_targetILNS1_3genE3ELNS1_11target_archE908ELNS1_3gpuE7ELNS1_3repE0EEENS1_30default_config_static_selectorELNS0_4arch9wavefront6targetE1EEEvT1_,comdat
.Lfunc_end1808:
	.size	_ZN7rocprim17ROCPRIM_400000_NS6detail17trampoline_kernelINS0_14default_configENS1_20scan_config_selectorIdEEZZNS1_9scan_implILNS1_25lookback_scan_determinismE0ELb0ELb0ES3_N6thrust23THRUST_200600_302600_NS6detail15normal_iteratorINS9_10device_ptrIdEEEESE_d11max_functorIdEdEEDaPvRmT3_T4_T5_mT6_P12ihipStream_tbENKUlT_T0_E_clISt17integral_constantIbLb0EESU_EEDaSP_SQ_EUlSP_E0_NS1_11comp_targetILNS1_3genE3ELNS1_11target_archE908ELNS1_3gpuE7ELNS1_3repE0EEENS1_30default_config_static_selectorELNS0_4arch9wavefront6targetE1EEEvT1_, .Lfunc_end1808-_ZN7rocprim17ROCPRIM_400000_NS6detail17trampoline_kernelINS0_14default_configENS1_20scan_config_selectorIdEEZZNS1_9scan_implILNS1_25lookback_scan_determinismE0ELb0ELb0ES3_N6thrust23THRUST_200600_302600_NS6detail15normal_iteratorINS9_10device_ptrIdEEEESE_d11max_functorIdEdEEDaPvRmT3_T4_T5_mT6_P12ihipStream_tbENKUlT_T0_E_clISt17integral_constantIbLb0EESU_EEDaSP_SQ_EUlSP_E0_NS1_11comp_targetILNS1_3genE3ELNS1_11target_archE908ELNS1_3gpuE7ELNS1_3repE0EEENS1_30default_config_static_selectorELNS0_4arch9wavefront6targetE1EEEvT1_
                                        ; -- End function
	.section	.AMDGPU.csdata,"",@progbits
; Kernel info:
; codeLenInByte = 0
; NumSgprs: 4
; NumVgprs: 0
; NumAgprs: 0
; TotalNumVgprs: 0
; ScratchSize: 0
; MemoryBound: 0
; FloatMode: 240
; IeeeMode: 1
; LDSByteSize: 0 bytes/workgroup (compile time only)
; SGPRBlocks: 0
; VGPRBlocks: 0
; NumSGPRsForWavesPerEU: 4
; NumVGPRsForWavesPerEU: 1
; AccumOffset: 4
; Occupancy: 8
; WaveLimiterHint : 0
; COMPUTE_PGM_RSRC2:SCRATCH_EN: 0
; COMPUTE_PGM_RSRC2:USER_SGPR: 6
; COMPUTE_PGM_RSRC2:TRAP_HANDLER: 0
; COMPUTE_PGM_RSRC2:TGID_X_EN: 1
; COMPUTE_PGM_RSRC2:TGID_Y_EN: 0
; COMPUTE_PGM_RSRC2:TGID_Z_EN: 0
; COMPUTE_PGM_RSRC2:TIDIG_COMP_CNT: 0
; COMPUTE_PGM_RSRC3_GFX90A:ACCUM_OFFSET: 0
; COMPUTE_PGM_RSRC3_GFX90A:TG_SPLIT: 0
	.section	.text._ZN7rocprim17ROCPRIM_400000_NS6detail17trampoline_kernelINS0_14default_configENS1_20scan_config_selectorIdEEZZNS1_9scan_implILNS1_25lookback_scan_determinismE0ELb0ELb0ES3_N6thrust23THRUST_200600_302600_NS6detail15normal_iteratorINS9_10device_ptrIdEEEESE_d11max_functorIdEdEEDaPvRmT3_T4_T5_mT6_P12ihipStream_tbENKUlT_T0_E_clISt17integral_constantIbLb0EESU_EEDaSP_SQ_EUlSP_E0_NS1_11comp_targetILNS1_3genE2ELNS1_11target_archE906ELNS1_3gpuE6ELNS1_3repE0EEENS1_30default_config_static_selectorELNS0_4arch9wavefront6targetE1EEEvT1_,"axG",@progbits,_ZN7rocprim17ROCPRIM_400000_NS6detail17trampoline_kernelINS0_14default_configENS1_20scan_config_selectorIdEEZZNS1_9scan_implILNS1_25lookback_scan_determinismE0ELb0ELb0ES3_N6thrust23THRUST_200600_302600_NS6detail15normal_iteratorINS9_10device_ptrIdEEEESE_d11max_functorIdEdEEDaPvRmT3_T4_T5_mT6_P12ihipStream_tbENKUlT_T0_E_clISt17integral_constantIbLb0EESU_EEDaSP_SQ_EUlSP_E0_NS1_11comp_targetILNS1_3genE2ELNS1_11target_archE906ELNS1_3gpuE6ELNS1_3repE0EEENS1_30default_config_static_selectorELNS0_4arch9wavefront6targetE1EEEvT1_,comdat
	.protected	_ZN7rocprim17ROCPRIM_400000_NS6detail17trampoline_kernelINS0_14default_configENS1_20scan_config_selectorIdEEZZNS1_9scan_implILNS1_25lookback_scan_determinismE0ELb0ELb0ES3_N6thrust23THRUST_200600_302600_NS6detail15normal_iteratorINS9_10device_ptrIdEEEESE_d11max_functorIdEdEEDaPvRmT3_T4_T5_mT6_P12ihipStream_tbENKUlT_T0_E_clISt17integral_constantIbLb0EESU_EEDaSP_SQ_EUlSP_E0_NS1_11comp_targetILNS1_3genE2ELNS1_11target_archE906ELNS1_3gpuE6ELNS1_3repE0EEENS1_30default_config_static_selectorELNS0_4arch9wavefront6targetE1EEEvT1_ ; -- Begin function _ZN7rocprim17ROCPRIM_400000_NS6detail17trampoline_kernelINS0_14default_configENS1_20scan_config_selectorIdEEZZNS1_9scan_implILNS1_25lookback_scan_determinismE0ELb0ELb0ES3_N6thrust23THRUST_200600_302600_NS6detail15normal_iteratorINS9_10device_ptrIdEEEESE_d11max_functorIdEdEEDaPvRmT3_T4_T5_mT6_P12ihipStream_tbENKUlT_T0_E_clISt17integral_constantIbLb0EESU_EEDaSP_SQ_EUlSP_E0_NS1_11comp_targetILNS1_3genE2ELNS1_11target_archE906ELNS1_3gpuE6ELNS1_3repE0EEENS1_30default_config_static_selectorELNS0_4arch9wavefront6targetE1EEEvT1_
	.globl	_ZN7rocprim17ROCPRIM_400000_NS6detail17trampoline_kernelINS0_14default_configENS1_20scan_config_selectorIdEEZZNS1_9scan_implILNS1_25lookback_scan_determinismE0ELb0ELb0ES3_N6thrust23THRUST_200600_302600_NS6detail15normal_iteratorINS9_10device_ptrIdEEEESE_d11max_functorIdEdEEDaPvRmT3_T4_T5_mT6_P12ihipStream_tbENKUlT_T0_E_clISt17integral_constantIbLb0EESU_EEDaSP_SQ_EUlSP_E0_NS1_11comp_targetILNS1_3genE2ELNS1_11target_archE906ELNS1_3gpuE6ELNS1_3repE0EEENS1_30default_config_static_selectorELNS0_4arch9wavefront6targetE1EEEvT1_
	.p2align	8
	.type	_ZN7rocprim17ROCPRIM_400000_NS6detail17trampoline_kernelINS0_14default_configENS1_20scan_config_selectorIdEEZZNS1_9scan_implILNS1_25lookback_scan_determinismE0ELb0ELb0ES3_N6thrust23THRUST_200600_302600_NS6detail15normal_iteratorINS9_10device_ptrIdEEEESE_d11max_functorIdEdEEDaPvRmT3_T4_T5_mT6_P12ihipStream_tbENKUlT_T0_E_clISt17integral_constantIbLb0EESU_EEDaSP_SQ_EUlSP_E0_NS1_11comp_targetILNS1_3genE2ELNS1_11target_archE906ELNS1_3gpuE6ELNS1_3repE0EEENS1_30default_config_static_selectorELNS0_4arch9wavefront6targetE1EEEvT1_,@function
_ZN7rocprim17ROCPRIM_400000_NS6detail17trampoline_kernelINS0_14default_configENS1_20scan_config_selectorIdEEZZNS1_9scan_implILNS1_25lookback_scan_determinismE0ELb0ELb0ES3_N6thrust23THRUST_200600_302600_NS6detail15normal_iteratorINS9_10device_ptrIdEEEESE_d11max_functorIdEdEEDaPvRmT3_T4_T5_mT6_P12ihipStream_tbENKUlT_T0_E_clISt17integral_constantIbLb0EESU_EEDaSP_SQ_EUlSP_E0_NS1_11comp_targetILNS1_3genE2ELNS1_11target_archE906ELNS1_3gpuE6ELNS1_3repE0EEENS1_30default_config_static_selectorELNS0_4arch9wavefront6targetE1EEEvT1_: ; @_ZN7rocprim17ROCPRIM_400000_NS6detail17trampoline_kernelINS0_14default_configENS1_20scan_config_selectorIdEEZZNS1_9scan_implILNS1_25lookback_scan_determinismE0ELb0ELb0ES3_N6thrust23THRUST_200600_302600_NS6detail15normal_iteratorINS9_10device_ptrIdEEEESE_d11max_functorIdEdEEDaPvRmT3_T4_T5_mT6_P12ihipStream_tbENKUlT_T0_E_clISt17integral_constantIbLb0EESU_EEDaSP_SQ_EUlSP_E0_NS1_11comp_targetILNS1_3genE2ELNS1_11target_archE906ELNS1_3gpuE6ELNS1_3repE0EEENS1_30default_config_static_selectorELNS0_4arch9wavefront6targetE1EEEvT1_
; %bb.0:
	.section	.rodata,"a",@progbits
	.p2align	6, 0x0
	.amdhsa_kernel _ZN7rocprim17ROCPRIM_400000_NS6detail17trampoline_kernelINS0_14default_configENS1_20scan_config_selectorIdEEZZNS1_9scan_implILNS1_25lookback_scan_determinismE0ELb0ELb0ES3_N6thrust23THRUST_200600_302600_NS6detail15normal_iteratorINS9_10device_ptrIdEEEESE_d11max_functorIdEdEEDaPvRmT3_T4_T5_mT6_P12ihipStream_tbENKUlT_T0_E_clISt17integral_constantIbLb0EESU_EEDaSP_SQ_EUlSP_E0_NS1_11comp_targetILNS1_3genE2ELNS1_11target_archE906ELNS1_3gpuE6ELNS1_3repE0EEENS1_30default_config_static_selectorELNS0_4arch9wavefront6targetE1EEEvT1_
		.amdhsa_group_segment_fixed_size 0
		.amdhsa_private_segment_fixed_size 0
		.amdhsa_kernarg_size 40
		.amdhsa_user_sgpr_count 6
		.amdhsa_user_sgpr_private_segment_buffer 1
		.amdhsa_user_sgpr_dispatch_ptr 0
		.amdhsa_user_sgpr_queue_ptr 0
		.amdhsa_user_sgpr_kernarg_segment_ptr 1
		.amdhsa_user_sgpr_dispatch_id 0
		.amdhsa_user_sgpr_flat_scratch_init 0
		.amdhsa_user_sgpr_kernarg_preload_length 0
		.amdhsa_user_sgpr_kernarg_preload_offset 0
		.amdhsa_user_sgpr_private_segment_size 0
		.amdhsa_uses_dynamic_stack 0
		.amdhsa_system_sgpr_private_segment_wavefront_offset 0
		.amdhsa_system_sgpr_workgroup_id_x 1
		.amdhsa_system_sgpr_workgroup_id_y 0
		.amdhsa_system_sgpr_workgroup_id_z 0
		.amdhsa_system_sgpr_workgroup_info 0
		.amdhsa_system_vgpr_workitem_id 0
		.amdhsa_next_free_vgpr 1
		.amdhsa_next_free_sgpr 0
		.amdhsa_accum_offset 4
		.amdhsa_reserve_vcc 0
		.amdhsa_reserve_flat_scratch 0
		.amdhsa_float_round_mode_32 0
		.amdhsa_float_round_mode_16_64 0
		.amdhsa_float_denorm_mode_32 3
		.amdhsa_float_denorm_mode_16_64 3
		.amdhsa_dx10_clamp 1
		.amdhsa_ieee_mode 1
		.amdhsa_fp16_overflow 0
		.amdhsa_tg_split 0
		.amdhsa_exception_fp_ieee_invalid_op 0
		.amdhsa_exception_fp_denorm_src 0
		.amdhsa_exception_fp_ieee_div_zero 0
		.amdhsa_exception_fp_ieee_overflow 0
		.amdhsa_exception_fp_ieee_underflow 0
		.amdhsa_exception_fp_ieee_inexact 0
		.amdhsa_exception_int_div_zero 0
	.end_amdhsa_kernel
	.section	.text._ZN7rocprim17ROCPRIM_400000_NS6detail17trampoline_kernelINS0_14default_configENS1_20scan_config_selectorIdEEZZNS1_9scan_implILNS1_25lookback_scan_determinismE0ELb0ELb0ES3_N6thrust23THRUST_200600_302600_NS6detail15normal_iteratorINS9_10device_ptrIdEEEESE_d11max_functorIdEdEEDaPvRmT3_T4_T5_mT6_P12ihipStream_tbENKUlT_T0_E_clISt17integral_constantIbLb0EESU_EEDaSP_SQ_EUlSP_E0_NS1_11comp_targetILNS1_3genE2ELNS1_11target_archE906ELNS1_3gpuE6ELNS1_3repE0EEENS1_30default_config_static_selectorELNS0_4arch9wavefront6targetE1EEEvT1_,"axG",@progbits,_ZN7rocprim17ROCPRIM_400000_NS6detail17trampoline_kernelINS0_14default_configENS1_20scan_config_selectorIdEEZZNS1_9scan_implILNS1_25lookback_scan_determinismE0ELb0ELb0ES3_N6thrust23THRUST_200600_302600_NS6detail15normal_iteratorINS9_10device_ptrIdEEEESE_d11max_functorIdEdEEDaPvRmT3_T4_T5_mT6_P12ihipStream_tbENKUlT_T0_E_clISt17integral_constantIbLb0EESU_EEDaSP_SQ_EUlSP_E0_NS1_11comp_targetILNS1_3genE2ELNS1_11target_archE906ELNS1_3gpuE6ELNS1_3repE0EEENS1_30default_config_static_selectorELNS0_4arch9wavefront6targetE1EEEvT1_,comdat
.Lfunc_end1809:
	.size	_ZN7rocprim17ROCPRIM_400000_NS6detail17trampoline_kernelINS0_14default_configENS1_20scan_config_selectorIdEEZZNS1_9scan_implILNS1_25lookback_scan_determinismE0ELb0ELb0ES3_N6thrust23THRUST_200600_302600_NS6detail15normal_iteratorINS9_10device_ptrIdEEEESE_d11max_functorIdEdEEDaPvRmT3_T4_T5_mT6_P12ihipStream_tbENKUlT_T0_E_clISt17integral_constantIbLb0EESU_EEDaSP_SQ_EUlSP_E0_NS1_11comp_targetILNS1_3genE2ELNS1_11target_archE906ELNS1_3gpuE6ELNS1_3repE0EEENS1_30default_config_static_selectorELNS0_4arch9wavefront6targetE1EEEvT1_, .Lfunc_end1809-_ZN7rocprim17ROCPRIM_400000_NS6detail17trampoline_kernelINS0_14default_configENS1_20scan_config_selectorIdEEZZNS1_9scan_implILNS1_25lookback_scan_determinismE0ELb0ELb0ES3_N6thrust23THRUST_200600_302600_NS6detail15normal_iteratorINS9_10device_ptrIdEEEESE_d11max_functorIdEdEEDaPvRmT3_T4_T5_mT6_P12ihipStream_tbENKUlT_T0_E_clISt17integral_constantIbLb0EESU_EEDaSP_SQ_EUlSP_E0_NS1_11comp_targetILNS1_3genE2ELNS1_11target_archE906ELNS1_3gpuE6ELNS1_3repE0EEENS1_30default_config_static_selectorELNS0_4arch9wavefront6targetE1EEEvT1_
                                        ; -- End function
	.section	.AMDGPU.csdata,"",@progbits
; Kernel info:
; codeLenInByte = 0
; NumSgprs: 4
; NumVgprs: 0
; NumAgprs: 0
; TotalNumVgprs: 0
; ScratchSize: 0
; MemoryBound: 0
; FloatMode: 240
; IeeeMode: 1
; LDSByteSize: 0 bytes/workgroup (compile time only)
; SGPRBlocks: 0
; VGPRBlocks: 0
; NumSGPRsForWavesPerEU: 4
; NumVGPRsForWavesPerEU: 1
; AccumOffset: 4
; Occupancy: 8
; WaveLimiterHint : 0
; COMPUTE_PGM_RSRC2:SCRATCH_EN: 0
; COMPUTE_PGM_RSRC2:USER_SGPR: 6
; COMPUTE_PGM_RSRC2:TRAP_HANDLER: 0
; COMPUTE_PGM_RSRC2:TGID_X_EN: 1
; COMPUTE_PGM_RSRC2:TGID_Y_EN: 0
; COMPUTE_PGM_RSRC2:TGID_Z_EN: 0
; COMPUTE_PGM_RSRC2:TIDIG_COMP_CNT: 0
; COMPUTE_PGM_RSRC3_GFX90A:ACCUM_OFFSET: 0
; COMPUTE_PGM_RSRC3_GFX90A:TG_SPLIT: 0
	.section	.text._ZN7rocprim17ROCPRIM_400000_NS6detail17trampoline_kernelINS0_14default_configENS1_20scan_config_selectorIdEEZZNS1_9scan_implILNS1_25lookback_scan_determinismE0ELb0ELb0ES3_N6thrust23THRUST_200600_302600_NS6detail15normal_iteratorINS9_10device_ptrIdEEEESE_d11max_functorIdEdEEDaPvRmT3_T4_T5_mT6_P12ihipStream_tbENKUlT_T0_E_clISt17integral_constantIbLb0EESU_EEDaSP_SQ_EUlSP_E0_NS1_11comp_targetILNS1_3genE10ELNS1_11target_archE1201ELNS1_3gpuE5ELNS1_3repE0EEENS1_30default_config_static_selectorELNS0_4arch9wavefront6targetE1EEEvT1_,"axG",@progbits,_ZN7rocprim17ROCPRIM_400000_NS6detail17trampoline_kernelINS0_14default_configENS1_20scan_config_selectorIdEEZZNS1_9scan_implILNS1_25lookback_scan_determinismE0ELb0ELb0ES3_N6thrust23THRUST_200600_302600_NS6detail15normal_iteratorINS9_10device_ptrIdEEEESE_d11max_functorIdEdEEDaPvRmT3_T4_T5_mT6_P12ihipStream_tbENKUlT_T0_E_clISt17integral_constantIbLb0EESU_EEDaSP_SQ_EUlSP_E0_NS1_11comp_targetILNS1_3genE10ELNS1_11target_archE1201ELNS1_3gpuE5ELNS1_3repE0EEENS1_30default_config_static_selectorELNS0_4arch9wavefront6targetE1EEEvT1_,comdat
	.protected	_ZN7rocprim17ROCPRIM_400000_NS6detail17trampoline_kernelINS0_14default_configENS1_20scan_config_selectorIdEEZZNS1_9scan_implILNS1_25lookback_scan_determinismE0ELb0ELb0ES3_N6thrust23THRUST_200600_302600_NS6detail15normal_iteratorINS9_10device_ptrIdEEEESE_d11max_functorIdEdEEDaPvRmT3_T4_T5_mT6_P12ihipStream_tbENKUlT_T0_E_clISt17integral_constantIbLb0EESU_EEDaSP_SQ_EUlSP_E0_NS1_11comp_targetILNS1_3genE10ELNS1_11target_archE1201ELNS1_3gpuE5ELNS1_3repE0EEENS1_30default_config_static_selectorELNS0_4arch9wavefront6targetE1EEEvT1_ ; -- Begin function _ZN7rocprim17ROCPRIM_400000_NS6detail17trampoline_kernelINS0_14default_configENS1_20scan_config_selectorIdEEZZNS1_9scan_implILNS1_25lookback_scan_determinismE0ELb0ELb0ES3_N6thrust23THRUST_200600_302600_NS6detail15normal_iteratorINS9_10device_ptrIdEEEESE_d11max_functorIdEdEEDaPvRmT3_T4_T5_mT6_P12ihipStream_tbENKUlT_T0_E_clISt17integral_constantIbLb0EESU_EEDaSP_SQ_EUlSP_E0_NS1_11comp_targetILNS1_3genE10ELNS1_11target_archE1201ELNS1_3gpuE5ELNS1_3repE0EEENS1_30default_config_static_selectorELNS0_4arch9wavefront6targetE1EEEvT1_
	.globl	_ZN7rocprim17ROCPRIM_400000_NS6detail17trampoline_kernelINS0_14default_configENS1_20scan_config_selectorIdEEZZNS1_9scan_implILNS1_25lookback_scan_determinismE0ELb0ELb0ES3_N6thrust23THRUST_200600_302600_NS6detail15normal_iteratorINS9_10device_ptrIdEEEESE_d11max_functorIdEdEEDaPvRmT3_T4_T5_mT6_P12ihipStream_tbENKUlT_T0_E_clISt17integral_constantIbLb0EESU_EEDaSP_SQ_EUlSP_E0_NS1_11comp_targetILNS1_3genE10ELNS1_11target_archE1201ELNS1_3gpuE5ELNS1_3repE0EEENS1_30default_config_static_selectorELNS0_4arch9wavefront6targetE1EEEvT1_
	.p2align	8
	.type	_ZN7rocprim17ROCPRIM_400000_NS6detail17trampoline_kernelINS0_14default_configENS1_20scan_config_selectorIdEEZZNS1_9scan_implILNS1_25lookback_scan_determinismE0ELb0ELb0ES3_N6thrust23THRUST_200600_302600_NS6detail15normal_iteratorINS9_10device_ptrIdEEEESE_d11max_functorIdEdEEDaPvRmT3_T4_T5_mT6_P12ihipStream_tbENKUlT_T0_E_clISt17integral_constantIbLb0EESU_EEDaSP_SQ_EUlSP_E0_NS1_11comp_targetILNS1_3genE10ELNS1_11target_archE1201ELNS1_3gpuE5ELNS1_3repE0EEENS1_30default_config_static_selectorELNS0_4arch9wavefront6targetE1EEEvT1_,@function
_ZN7rocprim17ROCPRIM_400000_NS6detail17trampoline_kernelINS0_14default_configENS1_20scan_config_selectorIdEEZZNS1_9scan_implILNS1_25lookback_scan_determinismE0ELb0ELb0ES3_N6thrust23THRUST_200600_302600_NS6detail15normal_iteratorINS9_10device_ptrIdEEEESE_d11max_functorIdEdEEDaPvRmT3_T4_T5_mT6_P12ihipStream_tbENKUlT_T0_E_clISt17integral_constantIbLb0EESU_EEDaSP_SQ_EUlSP_E0_NS1_11comp_targetILNS1_3genE10ELNS1_11target_archE1201ELNS1_3gpuE5ELNS1_3repE0EEENS1_30default_config_static_selectorELNS0_4arch9wavefront6targetE1EEEvT1_: ; @_ZN7rocprim17ROCPRIM_400000_NS6detail17trampoline_kernelINS0_14default_configENS1_20scan_config_selectorIdEEZZNS1_9scan_implILNS1_25lookback_scan_determinismE0ELb0ELb0ES3_N6thrust23THRUST_200600_302600_NS6detail15normal_iteratorINS9_10device_ptrIdEEEESE_d11max_functorIdEdEEDaPvRmT3_T4_T5_mT6_P12ihipStream_tbENKUlT_T0_E_clISt17integral_constantIbLb0EESU_EEDaSP_SQ_EUlSP_E0_NS1_11comp_targetILNS1_3genE10ELNS1_11target_archE1201ELNS1_3gpuE5ELNS1_3repE0EEENS1_30default_config_static_selectorELNS0_4arch9wavefront6targetE1EEEvT1_
; %bb.0:
	.section	.rodata,"a",@progbits
	.p2align	6, 0x0
	.amdhsa_kernel _ZN7rocprim17ROCPRIM_400000_NS6detail17trampoline_kernelINS0_14default_configENS1_20scan_config_selectorIdEEZZNS1_9scan_implILNS1_25lookback_scan_determinismE0ELb0ELb0ES3_N6thrust23THRUST_200600_302600_NS6detail15normal_iteratorINS9_10device_ptrIdEEEESE_d11max_functorIdEdEEDaPvRmT3_T4_T5_mT6_P12ihipStream_tbENKUlT_T0_E_clISt17integral_constantIbLb0EESU_EEDaSP_SQ_EUlSP_E0_NS1_11comp_targetILNS1_3genE10ELNS1_11target_archE1201ELNS1_3gpuE5ELNS1_3repE0EEENS1_30default_config_static_selectorELNS0_4arch9wavefront6targetE1EEEvT1_
		.amdhsa_group_segment_fixed_size 0
		.amdhsa_private_segment_fixed_size 0
		.amdhsa_kernarg_size 40
		.amdhsa_user_sgpr_count 6
		.amdhsa_user_sgpr_private_segment_buffer 1
		.amdhsa_user_sgpr_dispatch_ptr 0
		.amdhsa_user_sgpr_queue_ptr 0
		.amdhsa_user_sgpr_kernarg_segment_ptr 1
		.amdhsa_user_sgpr_dispatch_id 0
		.amdhsa_user_sgpr_flat_scratch_init 0
		.amdhsa_user_sgpr_kernarg_preload_length 0
		.amdhsa_user_sgpr_kernarg_preload_offset 0
		.amdhsa_user_sgpr_private_segment_size 0
		.amdhsa_uses_dynamic_stack 0
		.amdhsa_system_sgpr_private_segment_wavefront_offset 0
		.amdhsa_system_sgpr_workgroup_id_x 1
		.amdhsa_system_sgpr_workgroup_id_y 0
		.amdhsa_system_sgpr_workgroup_id_z 0
		.amdhsa_system_sgpr_workgroup_info 0
		.amdhsa_system_vgpr_workitem_id 0
		.amdhsa_next_free_vgpr 1
		.amdhsa_next_free_sgpr 0
		.amdhsa_accum_offset 4
		.amdhsa_reserve_vcc 0
		.amdhsa_reserve_flat_scratch 0
		.amdhsa_float_round_mode_32 0
		.amdhsa_float_round_mode_16_64 0
		.amdhsa_float_denorm_mode_32 3
		.amdhsa_float_denorm_mode_16_64 3
		.amdhsa_dx10_clamp 1
		.amdhsa_ieee_mode 1
		.amdhsa_fp16_overflow 0
		.amdhsa_tg_split 0
		.amdhsa_exception_fp_ieee_invalid_op 0
		.amdhsa_exception_fp_denorm_src 0
		.amdhsa_exception_fp_ieee_div_zero 0
		.amdhsa_exception_fp_ieee_overflow 0
		.amdhsa_exception_fp_ieee_underflow 0
		.amdhsa_exception_fp_ieee_inexact 0
		.amdhsa_exception_int_div_zero 0
	.end_amdhsa_kernel
	.section	.text._ZN7rocprim17ROCPRIM_400000_NS6detail17trampoline_kernelINS0_14default_configENS1_20scan_config_selectorIdEEZZNS1_9scan_implILNS1_25lookback_scan_determinismE0ELb0ELb0ES3_N6thrust23THRUST_200600_302600_NS6detail15normal_iteratorINS9_10device_ptrIdEEEESE_d11max_functorIdEdEEDaPvRmT3_T4_T5_mT6_P12ihipStream_tbENKUlT_T0_E_clISt17integral_constantIbLb0EESU_EEDaSP_SQ_EUlSP_E0_NS1_11comp_targetILNS1_3genE10ELNS1_11target_archE1201ELNS1_3gpuE5ELNS1_3repE0EEENS1_30default_config_static_selectorELNS0_4arch9wavefront6targetE1EEEvT1_,"axG",@progbits,_ZN7rocprim17ROCPRIM_400000_NS6detail17trampoline_kernelINS0_14default_configENS1_20scan_config_selectorIdEEZZNS1_9scan_implILNS1_25lookback_scan_determinismE0ELb0ELb0ES3_N6thrust23THRUST_200600_302600_NS6detail15normal_iteratorINS9_10device_ptrIdEEEESE_d11max_functorIdEdEEDaPvRmT3_T4_T5_mT6_P12ihipStream_tbENKUlT_T0_E_clISt17integral_constantIbLb0EESU_EEDaSP_SQ_EUlSP_E0_NS1_11comp_targetILNS1_3genE10ELNS1_11target_archE1201ELNS1_3gpuE5ELNS1_3repE0EEENS1_30default_config_static_selectorELNS0_4arch9wavefront6targetE1EEEvT1_,comdat
.Lfunc_end1810:
	.size	_ZN7rocprim17ROCPRIM_400000_NS6detail17trampoline_kernelINS0_14default_configENS1_20scan_config_selectorIdEEZZNS1_9scan_implILNS1_25lookback_scan_determinismE0ELb0ELb0ES3_N6thrust23THRUST_200600_302600_NS6detail15normal_iteratorINS9_10device_ptrIdEEEESE_d11max_functorIdEdEEDaPvRmT3_T4_T5_mT6_P12ihipStream_tbENKUlT_T0_E_clISt17integral_constantIbLb0EESU_EEDaSP_SQ_EUlSP_E0_NS1_11comp_targetILNS1_3genE10ELNS1_11target_archE1201ELNS1_3gpuE5ELNS1_3repE0EEENS1_30default_config_static_selectorELNS0_4arch9wavefront6targetE1EEEvT1_, .Lfunc_end1810-_ZN7rocprim17ROCPRIM_400000_NS6detail17trampoline_kernelINS0_14default_configENS1_20scan_config_selectorIdEEZZNS1_9scan_implILNS1_25lookback_scan_determinismE0ELb0ELb0ES3_N6thrust23THRUST_200600_302600_NS6detail15normal_iteratorINS9_10device_ptrIdEEEESE_d11max_functorIdEdEEDaPvRmT3_T4_T5_mT6_P12ihipStream_tbENKUlT_T0_E_clISt17integral_constantIbLb0EESU_EEDaSP_SQ_EUlSP_E0_NS1_11comp_targetILNS1_3genE10ELNS1_11target_archE1201ELNS1_3gpuE5ELNS1_3repE0EEENS1_30default_config_static_selectorELNS0_4arch9wavefront6targetE1EEEvT1_
                                        ; -- End function
	.section	.AMDGPU.csdata,"",@progbits
; Kernel info:
; codeLenInByte = 0
; NumSgprs: 4
; NumVgprs: 0
; NumAgprs: 0
; TotalNumVgprs: 0
; ScratchSize: 0
; MemoryBound: 0
; FloatMode: 240
; IeeeMode: 1
; LDSByteSize: 0 bytes/workgroup (compile time only)
; SGPRBlocks: 0
; VGPRBlocks: 0
; NumSGPRsForWavesPerEU: 4
; NumVGPRsForWavesPerEU: 1
; AccumOffset: 4
; Occupancy: 8
; WaveLimiterHint : 0
; COMPUTE_PGM_RSRC2:SCRATCH_EN: 0
; COMPUTE_PGM_RSRC2:USER_SGPR: 6
; COMPUTE_PGM_RSRC2:TRAP_HANDLER: 0
; COMPUTE_PGM_RSRC2:TGID_X_EN: 1
; COMPUTE_PGM_RSRC2:TGID_Y_EN: 0
; COMPUTE_PGM_RSRC2:TGID_Z_EN: 0
; COMPUTE_PGM_RSRC2:TIDIG_COMP_CNT: 0
; COMPUTE_PGM_RSRC3_GFX90A:ACCUM_OFFSET: 0
; COMPUTE_PGM_RSRC3_GFX90A:TG_SPLIT: 0
	.section	.text._ZN7rocprim17ROCPRIM_400000_NS6detail17trampoline_kernelINS0_14default_configENS1_20scan_config_selectorIdEEZZNS1_9scan_implILNS1_25lookback_scan_determinismE0ELb0ELb0ES3_N6thrust23THRUST_200600_302600_NS6detail15normal_iteratorINS9_10device_ptrIdEEEESE_d11max_functorIdEdEEDaPvRmT3_T4_T5_mT6_P12ihipStream_tbENKUlT_T0_E_clISt17integral_constantIbLb0EESU_EEDaSP_SQ_EUlSP_E0_NS1_11comp_targetILNS1_3genE10ELNS1_11target_archE1200ELNS1_3gpuE4ELNS1_3repE0EEENS1_30default_config_static_selectorELNS0_4arch9wavefront6targetE1EEEvT1_,"axG",@progbits,_ZN7rocprim17ROCPRIM_400000_NS6detail17trampoline_kernelINS0_14default_configENS1_20scan_config_selectorIdEEZZNS1_9scan_implILNS1_25lookback_scan_determinismE0ELb0ELb0ES3_N6thrust23THRUST_200600_302600_NS6detail15normal_iteratorINS9_10device_ptrIdEEEESE_d11max_functorIdEdEEDaPvRmT3_T4_T5_mT6_P12ihipStream_tbENKUlT_T0_E_clISt17integral_constantIbLb0EESU_EEDaSP_SQ_EUlSP_E0_NS1_11comp_targetILNS1_3genE10ELNS1_11target_archE1200ELNS1_3gpuE4ELNS1_3repE0EEENS1_30default_config_static_selectorELNS0_4arch9wavefront6targetE1EEEvT1_,comdat
	.protected	_ZN7rocprim17ROCPRIM_400000_NS6detail17trampoline_kernelINS0_14default_configENS1_20scan_config_selectorIdEEZZNS1_9scan_implILNS1_25lookback_scan_determinismE0ELb0ELb0ES3_N6thrust23THRUST_200600_302600_NS6detail15normal_iteratorINS9_10device_ptrIdEEEESE_d11max_functorIdEdEEDaPvRmT3_T4_T5_mT6_P12ihipStream_tbENKUlT_T0_E_clISt17integral_constantIbLb0EESU_EEDaSP_SQ_EUlSP_E0_NS1_11comp_targetILNS1_3genE10ELNS1_11target_archE1200ELNS1_3gpuE4ELNS1_3repE0EEENS1_30default_config_static_selectorELNS0_4arch9wavefront6targetE1EEEvT1_ ; -- Begin function _ZN7rocprim17ROCPRIM_400000_NS6detail17trampoline_kernelINS0_14default_configENS1_20scan_config_selectorIdEEZZNS1_9scan_implILNS1_25lookback_scan_determinismE0ELb0ELb0ES3_N6thrust23THRUST_200600_302600_NS6detail15normal_iteratorINS9_10device_ptrIdEEEESE_d11max_functorIdEdEEDaPvRmT3_T4_T5_mT6_P12ihipStream_tbENKUlT_T0_E_clISt17integral_constantIbLb0EESU_EEDaSP_SQ_EUlSP_E0_NS1_11comp_targetILNS1_3genE10ELNS1_11target_archE1200ELNS1_3gpuE4ELNS1_3repE0EEENS1_30default_config_static_selectorELNS0_4arch9wavefront6targetE1EEEvT1_
	.globl	_ZN7rocprim17ROCPRIM_400000_NS6detail17trampoline_kernelINS0_14default_configENS1_20scan_config_selectorIdEEZZNS1_9scan_implILNS1_25lookback_scan_determinismE0ELb0ELb0ES3_N6thrust23THRUST_200600_302600_NS6detail15normal_iteratorINS9_10device_ptrIdEEEESE_d11max_functorIdEdEEDaPvRmT3_T4_T5_mT6_P12ihipStream_tbENKUlT_T0_E_clISt17integral_constantIbLb0EESU_EEDaSP_SQ_EUlSP_E0_NS1_11comp_targetILNS1_3genE10ELNS1_11target_archE1200ELNS1_3gpuE4ELNS1_3repE0EEENS1_30default_config_static_selectorELNS0_4arch9wavefront6targetE1EEEvT1_
	.p2align	8
	.type	_ZN7rocprim17ROCPRIM_400000_NS6detail17trampoline_kernelINS0_14default_configENS1_20scan_config_selectorIdEEZZNS1_9scan_implILNS1_25lookback_scan_determinismE0ELb0ELb0ES3_N6thrust23THRUST_200600_302600_NS6detail15normal_iteratorINS9_10device_ptrIdEEEESE_d11max_functorIdEdEEDaPvRmT3_T4_T5_mT6_P12ihipStream_tbENKUlT_T0_E_clISt17integral_constantIbLb0EESU_EEDaSP_SQ_EUlSP_E0_NS1_11comp_targetILNS1_3genE10ELNS1_11target_archE1200ELNS1_3gpuE4ELNS1_3repE0EEENS1_30default_config_static_selectorELNS0_4arch9wavefront6targetE1EEEvT1_,@function
_ZN7rocprim17ROCPRIM_400000_NS6detail17trampoline_kernelINS0_14default_configENS1_20scan_config_selectorIdEEZZNS1_9scan_implILNS1_25lookback_scan_determinismE0ELb0ELb0ES3_N6thrust23THRUST_200600_302600_NS6detail15normal_iteratorINS9_10device_ptrIdEEEESE_d11max_functorIdEdEEDaPvRmT3_T4_T5_mT6_P12ihipStream_tbENKUlT_T0_E_clISt17integral_constantIbLb0EESU_EEDaSP_SQ_EUlSP_E0_NS1_11comp_targetILNS1_3genE10ELNS1_11target_archE1200ELNS1_3gpuE4ELNS1_3repE0EEENS1_30default_config_static_selectorELNS0_4arch9wavefront6targetE1EEEvT1_: ; @_ZN7rocprim17ROCPRIM_400000_NS6detail17trampoline_kernelINS0_14default_configENS1_20scan_config_selectorIdEEZZNS1_9scan_implILNS1_25lookback_scan_determinismE0ELb0ELb0ES3_N6thrust23THRUST_200600_302600_NS6detail15normal_iteratorINS9_10device_ptrIdEEEESE_d11max_functorIdEdEEDaPvRmT3_T4_T5_mT6_P12ihipStream_tbENKUlT_T0_E_clISt17integral_constantIbLb0EESU_EEDaSP_SQ_EUlSP_E0_NS1_11comp_targetILNS1_3genE10ELNS1_11target_archE1200ELNS1_3gpuE4ELNS1_3repE0EEENS1_30default_config_static_selectorELNS0_4arch9wavefront6targetE1EEEvT1_
; %bb.0:
	.section	.rodata,"a",@progbits
	.p2align	6, 0x0
	.amdhsa_kernel _ZN7rocprim17ROCPRIM_400000_NS6detail17trampoline_kernelINS0_14default_configENS1_20scan_config_selectorIdEEZZNS1_9scan_implILNS1_25lookback_scan_determinismE0ELb0ELb0ES3_N6thrust23THRUST_200600_302600_NS6detail15normal_iteratorINS9_10device_ptrIdEEEESE_d11max_functorIdEdEEDaPvRmT3_T4_T5_mT6_P12ihipStream_tbENKUlT_T0_E_clISt17integral_constantIbLb0EESU_EEDaSP_SQ_EUlSP_E0_NS1_11comp_targetILNS1_3genE10ELNS1_11target_archE1200ELNS1_3gpuE4ELNS1_3repE0EEENS1_30default_config_static_selectorELNS0_4arch9wavefront6targetE1EEEvT1_
		.amdhsa_group_segment_fixed_size 0
		.amdhsa_private_segment_fixed_size 0
		.amdhsa_kernarg_size 40
		.amdhsa_user_sgpr_count 6
		.amdhsa_user_sgpr_private_segment_buffer 1
		.amdhsa_user_sgpr_dispatch_ptr 0
		.amdhsa_user_sgpr_queue_ptr 0
		.amdhsa_user_sgpr_kernarg_segment_ptr 1
		.amdhsa_user_sgpr_dispatch_id 0
		.amdhsa_user_sgpr_flat_scratch_init 0
		.amdhsa_user_sgpr_kernarg_preload_length 0
		.amdhsa_user_sgpr_kernarg_preload_offset 0
		.amdhsa_user_sgpr_private_segment_size 0
		.amdhsa_uses_dynamic_stack 0
		.amdhsa_system_sgpr_private_segment_wavefront_offset 0
		.amdhsa_system_sgpr_workgroup_id_x 1
		.amdhsa_system_sgpr_workgroup_id_y 0
		.amdhsa_system_sgpr_workgroup_id_z 0
		.amdhsa_system_sgpr_workgroup_info 0
		.amdhsa_system_vgpr_workitem_id 0
		.amdhsa_next_free_vgpr 1
		.amdhsa_next_free_sgpr 0
		.amdhsa_accum_offset 4
		.amdhsa_reserve_vcc 0
		.amdhsa_reserve_flat_scratch 0
		.amdhsa_float_round_mode_32 0
		.amdhsa_float_round_mode_16_64 0
		.amdhsa_float_denorm_mode_32 3
		.amdhsa_float_denorm_mode_16_64 3
		.amdhsa_dx10_clamp 1
		.amdhsa_ieee_mode 1
		.amdhsa_fp16_overflow 0
		.amdhsa_tg_split 0
		.amdhsa_exception_fp_ieee_invalid_op 0
		.amdhsa_exception_fp_denorm_src 0
		.amdhsa_exception_fp_ieee_div_zero 0
		.amdhsa_exception_fp_ieee_overflow 0
		.amdhsa_exception_fp_ieee_underflow 0
		.amdhsa_exception_fp_ieee_inexact 0
		.amdhsa_exception_int_div_zero 0
	.end_amdhsa_kernel
	.section	.text._ZN7rocprim17ROCPRIM_400000_NS6detail17trampoline_kernelINS0_14default_configENS1_20scan_config_selectorIdEEZZNS1_9scan_implILNS1_25lookback_scan_determinismE0ELb0ELb0ES3_N6thrust23THRUST_200600_302600_NS6detail15normal_iteratorINS9_10device_ptrIdEEEESE_d11max_functorIdEdEEDaPvRmT3_T4_T5_mT6_P12ihipStream_tbENKUlT_T0_E_clISt17integral_constantIbLb0EESU_EEDaSP_SQ_EUlSP_E0_NS1_11comp_targetILNS1_3genE10ELNS1_11target_archE1200ELNS1_3gpuE4ELNS1_3repE0EEENS1_30default_config_static_selectorELNS0_4arch9wavefront6targetE1EEEvT1_,"axG",@progbits,_ZN7rocprim17ROCPRIM_400000_NS6detail17trampoline_kernelINS0_14default_configENS1_20scan_config_selectorIdEEZZNS1_9scan_implILNS1_25lookback_scan_determinismE0ELb0ELb0ES3_N6thrust23THRUST_200600_302600_NS6detail15normal_iteratorINS9_10device_ptrIdEEEESE_d11max_functorIdEdEEDaPvRmT3_T4_T5_mT6_P12ihipStream_tbENKUlT_T0_E_clISt17integral_constantIbLb0EESU_EEDaSP_SQ_EUlSP_E0_NS1_11comp_targetILNS1_3genE10ELNS1_11target_archE1200ELNS1_3gpuE4ELNS1_3repE0EEENS1_30default_config_static_selectorELNS0_4arch9wavefront6targetE1EEEvT1_,comdat
.Lfunc_end1811:
	.size	_ZN7rocprim17ROCPRIM_400000_NS6detail17trampoline_kernelINS0_14default_configENS1_20scan_config_selectorIdEEZZNS1_9scan_implILNS1_25lookback_scan_determinismE0ELb0ELb0ES3_N6thrust23THRUST_200600_302600_NS6detail15normal_iteratorINS9_10device_ptrIdEEEESE_d11max_functorIdEdEEDaPvRmT3_T4_T5_mT6_P12ihipStream_tbENKUlT_T0_E_clISt17integral_constantIbLb0EESU_EEDaSP_SQ_EUlSP_E0_NS1_11comp_targetILNS1_3genE10ELNS1_11target_archE1200ELNS1_3gpuE4ELNS1_3repE0EEENS1_30default_config_static_selectorELNS0_4arch9wavefront6targetE1EEEvT1_, .Lfunc_end1811-_ZN7rocprim17ROCPRIM_400000_NS6detail17trampoline_kernelINS0_14default_configENS1_20scan_config_selectorIdEEZZNS1_9scan_implILNS1_25lookback_scan_determinismE0ELb0ELb0ES3_N6thrust23THRUST_200600_302600_NS6detail15normal_iteratorINS9_10device_ptrIdEEEESE_d11max_functorIdEdEEDaPvRmT3_T4_T5_mT6_P12ihipStream_tbENKUlT_T0_E_clISt17integral_constantIbLb0EESU_EEDaSP_SQ_EUlSP_E0_NS1_11comp_targetILNS1_3genE10ELNS1_11target_archE1200ELNS1_3gpuE4ELNS1_3repE0EEENS1_30default_config_static_selectorELNS0_4arch9wavefront6targetE1EEEvT1_
                                        ; -- End function
	.section	.AMDGPU.csdata,"",@progbits
; Kernel info:
; codeLenInByte = 0
; NumSgprs: 4
; NumVgprs: 0
; NumAgprs: 0
; TotalNumVgprs: 0
; ScratchSize: 0
; MemoryBound: 0
; FloatMode: 240
; IeeeMode: 1
; LDSByteSize: 0 bytes/workgroup (compile time only)
; SGPRBlocks: 0
; VGPRBlocks: 0
; NumSGPRsForWavesPerEU: 4
; NumVGPRsForWavesPerEU: 1
; AccumOffset: 4
; Occupancy: 8
; WaveLimiterHint : 0
; COMPUTE_PGM_RSRC2:SCRATCH_EN: 0
; COMPUTE_PGM_RSRC2:USER_SGPR: 6
; COMPUTE_PGM_RSRC2:TRAP_HANDLER: 0
; COMPUTE_PGM_RSRC2:TGID_X_EN: 1
; COMPUTE_PGM_RSRC2:TGID_Y_EN: 0
; COMPUTE_PGM_RSRC2:TGID_Z_EN: 0
; COMPUTE_PGM_RSRC2:TIDIG_COMP_CNT: 0
; COMPUTE_PGM_RSRC3_GFX90A:ACCUM_OFFSET: 0
; COMPUTE_PGM_RSRC3_GFX90A:TG_SPLIT: 0
	.section	.text._ZN7rocprim17ROCPRIM_400000_NS6detail17trampoline_kernelINS0_14default_configENS1_20scan_config_selectorIdEEZZNS1_9scan_implILNS1_25lookback_scan_determinismE0ELb0ELb0ES3_N6thrust23THRUST_200600_302600_NS6detail15normal_iteratorINS9_10device_ptrIdEEEESE_d11max_functorIdEdEEDaPvRmT3_T4_T5_mT6_P12ihipStream_tbENKUlT_T0_E_clISt17integral_constantIbLb0EESU_EEDaSP_SQ_EUlSP_E0_NS1_11comp_targetILNS1_3genE9ELNS1_11target_archE1100ELNS1_3gpuE3ELNS1_3repE0EEENS1_30default_config_static_selectorELNS0_4arch9wavefront6targetE1EEEvT1_,"axG",@progbits,_ZN7rocprim17ROCPRIM_400000_NS6detail17trampoline_kernelINS0_14default_configENS1_20scan_config_selectorIdEEZZNS1_9scan_implILNS1_25lookback_scan_determinismE0ELb0ELb0ES3_N6thrust23THRUST_200600_302600_NS6detail15normal_iteratorINS9_10device_ptrIdEEEESE_d11max_functorIdEdEEDaPvRmT3_T4_T5_mT6_P12ihipStream_tbENKUlT_T0_E_clISt17integral_constantIbLb0EESU_EEDaSP_SQ_EUlSP_E0_NS1_11comp_targetILNS1_3genE9ELNS1_11target_archE1100ELNS1_3gpuE3ELNS1_3repE0EEENS1_30default_config_static_selectorELNS0_4arch9wavefront6targetE1EEEvT1_,comdat
	.protected	_ZN7rocprim17ROCPRIM_400000_NS6detail17trampoline_kernelINS0_14default_configENS1_20scan_config_selectorIdEEZZNS1_9scan_implILNS1_25lookback_scan_determinismE0ELb0ELb0ES3_N6thrust23THRUST_200600_302600_NS6detail15normal_iteratorINS9_10device_ptrIdEEEESE_d11max_functorIdEdEEDaPvRmT3_T4_T5_mT6_P12ihipStream_tbENKUlT_T0_E_clISt17integral_constantIbLb0EESU_EEDaSP_SQ_EUlSP_E0_NS1_11comp_targetILNS1_3genE9ELNS1_11target_archE1100ELNS1_3gpuE3ELNS1_3repE0EEENS1_30default_config_static_selectorELNS0_4arch9wavefront6targetE1EEEvT1_ ; -- Begin function _ZN7rocprim17ROCPRIM_400000_NS6detail17trampoline_kernelINS0_14default_configENS1_20scan_config_selectorIdEEZZNS1_9scan_implILNS1_25lookback_scan_determinismE0ELb0ELb0ES3_N6thrust23THRUST_200600_302600_NS6detail15normal_iteratorINS9_10device_ptrIdEEEESE_d11max_functorIdEdEEDaPvRmT3_T4_T5_mT6_P12ihipStream_tbENKUlT_T0_E_clISt17integral_constantIbLb0EESU_EEDaSP_SQ_EUlSP_E0_NS1_11comp_targetILNS1_3genE9ELNS1_11target_archE1100ELNS1_3gpuE3ELNS1_3repE0EEENS1_30default_config_static_selectorELNS0_4arch9wavefront6targetE1EEEvT1_
	.globl	_ZN7rocprim17ROCPRIM_400000_NS6detail17trampoline_kernelINS0_14default_configENS1_20scan_config_selectorIdEEZZNS1_9scan_implILNS1_25lookback_scan_determinismE0ELb0ELb0ES3_N6thrust23THRUST_200600_302600_NS6detail15normal_iteratorINS9_10device_ptrIdEEEESE_d11max_functorIdEdEEDaPvRmT3_T4_T5_mT6_P12ihipStream_tbENKUlT_T0_E_clISt17integral_constantIbLb0EESU_EEDaSP_SQ_EUlSP_E0_NS1_11comp_targetILNS1_3genE9ELNS1_11target_archE1100ELNS1_3gpuE3ELNS1_3repE0EEENS1_30default_config_static_selectorELNS0_4arch9wavefront6targetE1EEEvT1_
	.p2align	8
	.type	_ZN7rocprim17ROCPRIM_400000_NS6detail17trampoline_kernelINS0_14default_configENS1_20scan_config_selectorIdEEZZNS1_9scan_implILNS1_25lookback_scan_determinismE0ELb0ELb0ES3_N6thrust23THRUST_200600_302600_NS6detail15normal_iteratorINS9_10device_ptrIdEEEESE_d11max_functorIdEdEEDaPvRmT3_T4_T5_mT6_P12ihipStream_tbENKUlT_T0_E_clISt17integral_constantIbLb0EESU_EEDaSP_SQ_EUlSP_E0_NS1_11comp_targetILNS1_3genE9ELNS1_11target_archE1100ELNS1_3gpuE3ELNS1_3repE0EEENS1_30default_config_static_selectorELNS0_4arch9wavefront6targetE1EEEvT1_,@function
_ZN7rocprim17ROCPRIM_400000_NS6detail17trampoline_kernelINS0_14default_configENS1_20scan_config_selectorIdEEZZNS1_9scan_implILNS1_25lookback_scan_determinismE0ELb0ELb0ES3_N6thrust23THRUST_200600_302600_NS6detail15normal_iteratorINS9_10device_ptrIdEEEESE_d11max_functorIdEdEEDaPvRmT3_T4_T5_mT6_P12ihipStream_tbENKUlT_T0_E_clISt17integral_constantIbLb0EESU_EEDaSP_SQ_EUlSP_E0_NS1_11comp_targetILNS1_3genE9ELNS1_11target_archE1100ELNS1_3gpuE3ELNS1_3repE0EEENS1_30default_config_static_selectorELNS0_4arch9wavefront6targetE1EEEvT1_: ; @_ZN7rocprim17ROCPRIM_400000_NS6detail17trampoline_kernelINS0_14default_configENS1_20scan_config_selectorIdEEZZNS1_9scan_implILNS1_25lookback_scan_determinismE0ELb0ELb0ES3_N6thrust23THRUST_200600_302600_NS6detail15normal_iteratorINS9_10device_ptrIdEEEESE_d11max_functorIdEdEEDaPvRmT3_T4_T5_mT6_P12ihipStream_tbENKUlT_T0_E_clISt17integral_constantIbLb0EESU_EEDaSP_SQ_EUlSP_E0_NS1_11comp_targetILNS1_3genE9ELNS1_11target_archE1100ELNS1_3gpuE3ELNS1_3repE0EEENS1_30default_config_static_selectorELNS0_4arch9wavefront6targetE1EEEvT1_
; %bb.0:
	.section	.rodata,"a",@progbits
	.p2align	6, 0x0
	.amdhsa_kernel _ZN7rocprim17ROCPRIM_400000_NS6detail17trampoline_kernelINS0_14default_configENS1_20scan_config_selectorIdEEZZNS1_9scan_implILNS1_25lookback_scan_determinismE0ELb0ELb0ES3_N6thrust23THRUST_200600_302600_NS6detail15normal_iteratorINS9_10device_ptrIdEEEESE_d11max_functorIdEdEEDaPvRmT3_T4_T5_mT6_P12ihipStream_tbENKUlT_T0_E_clISt17integral_constantIbLb0EESU_EEDaSP_SQ_EUlSP_E0_NS1_11comp_targetILNS1_3genE9ELNS1_11target_archE1100ELNS1_3gpuE3ELNS1_3repE0EEENS1_30default_config_static_selectorELNS0_4arch9wavefront6targetE1EEEvT1_
		.amdhsa_group_segment_fixed_size 0
		.amdhsa_private_segment_fixed_size 0
		.amdhsa_kernarg_size 40
		.amdhsa_user_sgpr_count 6
		.amdhsa_user_sgpr_private_segment_buffer 1
		.amdhsa_user_sgpr_dispatch_ptr 0
		.amdhsa_user_sgpr_queue_ptr 0
		.amdhsa_user_sgpr_kernarg_segment_ptr 1
		.amdhsa_user_sgpr_dispatch_id 0
		.amdhsa_user_sgpr_flat_scratch_init 0
		.amdhsa_user_sgpr_kernarg_preload_length 0
		.amdhsa_user_sgpr_kernarg_preload_offset 0
		.amdhsa_user_sgpr_private_segment_size 0
		.amdhsa_uses_dynamic_stack 0
		.amdhsa_system_sgpr_private_segment_wavefront_offset 0
		.amdhsa_system_sgpr_workgroup_id_x 1
		.amdhsa_system_sgpr_workgroup_id_y 0
		.amdhsa_system_sgpr_workgroup_id_z 0
		.amdhsa_system_sgpr_workgroup_info 0
		.amdhsa_system_vgpr_workitem_id 0
		.amdhsa_next_free_vgpr 1
		.amdhsa_next_free_sgpr 0
		.amdhsa_accum_offset 4
		.amdhsa_reserve_vcc 0
		.amdhsa_reserve_flat_scratch 0
		.amdhsa_float_round_mode_32 0
		.amdhsa_float_round_mode_16_64 0
		.amdhsa_float_denorm_mode_32 3
		.amdhsa_float_denorm_mode_16_64 3
		.amdhsa_dx10_clamp 1
		.amdhsa_ieee_mode 1
		.amdhsa_fp16_overflow 0
		.amdhsa_tg_split 0
		.amdhsa_exception_fp_ieee_invalid_op 0
		.amdhsa_exception_fp_denorm_src 0
		.amdhsa_exception_fp_ieee_div_zero 0
		.amdhsa_exception_fp_ieee_overflow 0
		.amdhsa_exception_fp_ieee_underflow 0
		.amdhsa_exception_fp_ieee_inexact 0
		.amdhsa_exception_int_div_zero 0
	.end_amdhsa_kernel
	.section	.text._ZN7rocprim17ROCPRIM_400000_NS6detail17trampoline_kernelINS0_14default_configENS1_20scan_config_selectorIdEEZZNS1_9scan_implILNS1_25lookback_scan_determinismE0ELb0ELb0ES3_N6thrust23THRUST_200600_302600_NS6detail15normal_iteratorINS9_10device_ptrIdEEEESE_d11max_functorIdEdEEDaPvRmT3_T4_T5_mT6_P12ihipStream_tbENKUlT_T0_E_clISt17integral_constantIbLb0EESU_EEDaSP_SQ_EUlSP_E0_NS1_11comp_targetILNS1_3genE9ELNS1_11target_archE1100ELNS1_3gpuE3ELNS1_3repE0EEENS1_30default_config_static_selectorELNS0_4arch9wavefront6targetE1EEEvT1_,"axG",@progbits,_ZN7rocprim17ROCPRIM_400000_NS6detail17trampoline_kernelINS0_14default_configENS1_20scan_config_selectorIdEEZZNS1_9scan_implILNS1_25lookback_scan_determinismE0ELb0ELb0ES3_N6thrust23THRUST_200600_302600_NS6detail15normal_iteratorINS9_10device_ptrIdEEEESE_d11max_functorIdEdEEDaPvRmT3_T4_T5_mT6_P12ihipStream_tbENKUlT_T0_E_clISt17integral_constantIbLb0EESU_EEDaSP_SQ_EUlSP_E0_NS1_11comp_targetILNS1_3genE9ELNS1_11target_archE1100ELNS1_3gpuE3ELNS1_3repE0EEENS1_30default_config_static_selectorELNS0_4arch9wavefront6targetE1EEEvT1_,comdat
.Lfunc_end1812:
	.size	_ZN7rocprim17ROCPRIM_400000_NS6detail17trampoline_kernelINS0_14default_configENS1_20scan_config_selectorIdEEZZNS1_9scan_implILNS1_25lookback_scan_determinismE0ELb0ELb0ES3_N6thrust23THRUST_200600_302600_NS6detail15normal_iteratorINS9_10device_ptrIdEEEESE_d11max_functorIdEdEEDaPvRmT3_T4_T5_mT6_P12ihipStream_tbENKUlT_T0_E_clISt17integral_constantIbLb0EESU_EEDaSP_SQ_EUlSP_E0_NS1_11comp_targetILNS1_3genE9ELNS1_11target_archE1100ELNS1_3gpuE3ELNS1_3repE0EEENS1_30default_config_static_selectorELNS0_4arch9wavefront6targetE1EEEvT1_, .Lfunc_end1812-_ZN7rocprim17ROCPRIM_400000_NS6detail17trampoline_kernelINS0_14default_configENS1_20scan_config_selectorIdEEZZNS1_9scan_implILNS1_25lookback_scan_determinismE0ELb0ELb0ES3_N6thrust23THRUST_200600_302600_NS6detail15normal_iteratorINS9_10device_ptrIdEEEESE_d11max_functorIdEdEEDaPvRmT3_T4_T5_mT6_P12ihipStream_tbENKUlT_T0_E_clISt17integral_constantIbLb0EESU_EEDaSP_SQ_EUlSP_E0_NS1_11comp_targetILNS1_3genE9ELNS1_11target_archE1100ELNS1_3gpuE3ELNS1_3repE0EEENS1_30default_config_static_selectorELNS0_4arch9wavefront6targetE1EEEvT1_
                                        ; -- End function
	.section	.AMDGPU.csdata,"",@progbits
; Kernel info:
; codeLenInByte = 0
; NumSgprs: 4
; NumVgprs: 0
; NumAgprs: 0
; TotalNumVgprs: 0
; ScratchSize: 0
; MemoryBound: 0
; FloatMode: 240
; IeeeMode: 1
; LDSByteSize: 0 bytes/workgroup (compile time only)
; SGPRBlocks: 0
; VGPRBlocks: 0
; NumSGPRsForWavesPerEU: 4
; NumVGPRsForWavesPerEU: 1
; AccumOffset: 4
; Occupancy: 8
; WaveLimiterHint : 0
; COMPUTE_PGM_RSRC2:SCRATCH_EN: 0
; COMPUTE_PGM_RSRC2:USER_SGPR: 6
; COMPUTE_PGM_RSRC2:TRAP_HANDLER: 0
; COMPUTE_PGM_RSRC2:TGID_X_EN: 1
; COMPUTE_PGM_RSRC2:TGID_Y_EN: 0
; COMPUTE_PGM_RSRC2:TGID_Z_EN: 0
; COMPUTE_PGM_RSRC2:TIDIG_COMP_CNT: 0
; COMPUTE_PGM_RSRC3_GFX90A:ACCUM_OFFSET: 0
; COMPUTE_PGM_RSRC3_GFX90A:TG_SPLIT: 0
	.section	.text._ZN7rocprim17ROCPRIM_400000_NS6detail17trampoline_kernelINS0_14default_configENS1_20scan_config_selectorIdEEZZNS1_9scan_implILNS1_25lookback_scan_determinismE0ELb0ELb0ES3_N6thrust23THRUST_200600_302600_NS6detail15normal_iteratorINS9_10device_ptrIdEEEESE_d11max_functorIdEdEEDaPvRmT3_T4_T5_mT6_P12ihipStream_tbENKUlT_T0_E_clISt17integral_constantIbLb0EESU_EEDaSP_SQ_EUlSP_E0_NS1_11comp_targetILNS1_3genE8ELNS1_11target_archE1030ELNS1_3gpuE2ELNS1_3repE0EEENS1_30default_config_static_selectorELNS0_4arch9wavefront6targetE1EEEvT1_,"axG",@progbits,_ZN7rocprim17ROCPRIM_400000_NS6detail17trampoline_kernelINS0_14default_configENS1_20scan_config_selectorIdEEZZNS1_9scan_implILNS1_25lookback_scan_determinismE0ELb0ELb0ES3_N6thrust23THRUST_200600_302600_NS6detail15normal_iteratorINS9_10device_ptrIdEEEESE_d11max_functorIdEdEEDaPvRmT3_T4_T5_mT6_P12ihipStream_tbENKUlT_T0_E_clISt17integral_constantIbLb0EESU_EEDaSP_SQ_EUlSP_E0_NS1_11comp_targetILNS1_3genE8ELNS1_11target_archE1030ELNS1_3gpuE2ELNS1_3repE0EEENS1_30default_config_static_selectorELNS0_4arch9wavefront6targetE1EEEvT1_,comdat
	.protected	_ZN7rocprim17ROCPRIM_400000_NS6detail17trampoline_kernelINS0_14default_configENS1_20scan_config_selectorIdEEZZNS1_9scan_implILNS1_25lookback_scan_determinismE0ELb0ELb0ES3_N6thrust23THRUST_200600_302600_NS6detail15normal_iteratorINS9_10device_ptrIdEEEESE_d11max_functorIdEdEEDaPvRmT3_T4_T5_mT6_P12ihipStream_tbENKUlT_T0_E_clISt17integral_constantIbLb0EESU_EEDaSP_SQ_EUlSP_E0_NS1_11comp_targetILNS1_3genE8ELNS1_11target_archE1030ELNS1_3gpuE2ELNS1_3repE0EEENS1_30default_config_static_selectorELNS0_4arch9wavefront6targetE1EEEvT1_ ; -- Begin function _ZN7rocprim17ROCPRIM_400000_NS6detail17trampoline_kernelINS0_14default_configENS1_20scan_config_selectorIdEEZZNS1_9scan_implILNS1_25lookback_scan_determinismE0ELb0ELb0ES3_N6thrust23THRUST_200600_302600_NS6detail15normal_iteratorINS9_10device_ptrIdEEEESE_d11max_functorIdEdEEDaPvRmT3_T4_T5_mT6_P12ihipStream_tbENKUlT_T0_E_clISt17integral_constantIbLb0EESU_EEDaSP_SQ_EUlSP_E0_NS1_11comp_targetILNS1_3genE8ELNS1_11target_archE1030ELNS1_3gpuE2ELNS1_3repE0EEENS1_30default_config_static_selectorELNS0_4arch9wavefront6targetE1EEEvT1_
	.globl	_ZN7rocprim17ROCPRIM_400000_NS6detail17trampoline_kernelINS0_14default_configENS1_20scan_config_selectorIdEEZZNS1_9scan_implILNS1_25lookback_scan_determinismE0ELb0ELb0ES3_N6thrust23THRUST_200600_302600_NS6detail15normal_iteratorINS9_10device_ptrIdEEEESE_d11max_functorIdEdEEDaPvRmT3_T4_T5_mT6_P12ihipStream_tbENKUlT_T0_E_clISt17integral_constantIbLb0EESU_EEDaSP_SQ_EUlSP_E0_NS1_11comp_targetILNS1_3genE8ELNS1_11target_archE1030ELNS1_3gpuE2ELNS1_3repE0EEENS1_30default_config_static_selectorELNS0_4arch9wavefront6targetE1EEEvT1_
	.p2align	8
	.type	_ZN7rocprim17ROCPRIM_400000_NS6detail17trampoline_kernelINS0_14default_configENS1_20scan_config_selectorIdEEZZNS1_9scan_implILNS1_25lookback_scan_determinismE0ELb0ELb0ES3_N6thrust23THRUST_200600_302600_NS6detail15normal_iteratorINS9_10device_ptrIdEEEESE_d11max_functorIdEdEEDaPvRmT3_T4_T5_mT6_P12ihipStream_tbENKUlT_T0_E_clISt17integral_constantIbLb0EESU_EEDaSP_SQ_EUlSP_E0_NS1_11comp_targetILNS1_3genE8ELNS1_11target_archE1030ELNS1_3gpuE2ELNS1_3repE0EEENS1_30default_config_static_selectorELNS0_4arch9wavefront6targetE1EEEvT1_,@function
_ZN7rocprim17ROCPRIM_400000_NS6detail17trampoline_kernelINS0_14default_configENS1_20scan_config_selectorIdEEZZNS1_9scan_implILNS1_25lookback_scan_determinismE0ELb0ELb0ES3_N6thrust23THRUST_200600_302600_NS6detail15normal_iteratorINS9_10device_ptrIdEEEESE_d11max_functorIdEdEEDaPvRmT3_T4_T5_mT6_P12ihipStream_tbENKUlT_T0_E_clISt17integral_constantIbLb0EESU_EEDaSP_SQ_EUlSP_E0_NS1_11comp_targetILNS1_3genE8ELNS1_11target_archE1030ELNS1_3gpuE2ELNS1_3repE0EEENS1_30default_config_static_selectorELNS0_4arch9wavefront6targetE1EEEvT1_: ; @_ZN7rocprim17ROCPRIM_400000_NS6detail17trampoline_kernelINS0_14default_configENS1_20scan_config_selectorIdEEZZNS1_9scan_implILNS1_25lookback_scan_determinismE0ELb0ELb0ES3_N6thrust23THRUST_200600_302600_NS6detail15normal_iteratorINS9_10device_ptrIdEEEESE_d11max_functorIdEdEEDaPvRmT3_T4_T5_mT6_P12ihipStream_tbENKUlT_T0_E_clISt17integral_constantIbLb0EESU_EEDaSP_SQ_EUlSP_E0_NS1_11comp_targetILNS1_3genE8ELNS1_11target_archE1030ELNS1_3gpuE2ELNS1_3repE0EEENS1_30default_config_static_selectorELNS0_4arch9wavefront6targetE1EEEvT1_
; %bb.0:
	.section	.rodata,"a",@progbits
	.p2align	6, 0x0
	.amdhsa_kernel _ZN7rocprim17ROCPRIM_400000_NS6detail17trampoline_kernelINS0_14default_configENS1_20scan_config_selectorIdEEZZNS1_9scan_implILNS1_25lookback_scan_determinismE0ELb0ELb0ES3_N6thrust23THRUST_200600_302600_NS6detail15normal_iteratorINS9_10device_ptrIdEEEESE_d11max_functorIdEdEEDaPvRmT3_T4_T5_mT6_P12ihipStream_tbENKUlT_T0_E_clISt17integral_constantIbLb0EESU_EEDaSP_SQ_EUlSP_E0_NS1_11comp_targetILNS1_3genE8ELNS1_11target_archE1030ELNS1_3gpuE2ELNS1_3repE0EEENS1_30default_config_static_selectorELNS0_4arch9wavefront6targetE1EEEvT1_
		.amdhsa_group_segment_fixed_size 0
		.amdhsa_private_segment_fixed_size 0
		.amdhsa_kernarg_size 40
		.amdhsa_user_sgpr_count 6
		.amdhsa_user_sgpr_private_segment_buffer 1
		.amdhsa_user_sgpr_dispatch_ptr 0
		.amdhsa_user_sgpr_queue_ptr 0
		.amdhsa_user_sgpr_kernarg_segment_ptr 1
		.amdhsa_user_sgpr_dispatch_id 0
		.amdhsa_user_sgpr_flat_scratch_init 0
		.amdhsa_user_sgpr_kernarg_preload_length 0
		.amdhsa_user_sgpr_kernarg_preload_offset 0
		.amdhsa_user_sgpr_private_segment_size 0
		.amdhsa_uses_dynamic_stack 0
		.amdhsa_system_sgpr_private_segment_wavefront_offset 0
		.amdhsa_system_sgpr_workgroup_id_x 1
		.amdhsa_system_sgpr_workgroup_id_y 0
		.amdhsa_system_sgpr_workgroup_id_z 0
		.amdhsa_system_sgpr_workgroup_info 0
		.amdhsa_system_vgpr_workitem_id 0
		.amdhsa_next_free_vgpr 1
		.amdhsa_next_free_sgpr 0
		.amdhsa_accum_offset 4
		.amdhsa_reserve_vcc 0
		.amdhsa_reserve_flat_scratch 0
		.amdhsa_float_round_mode_32 0
		.amdhsa_float_round_mode_16_64 0
		.amdhsa_float_denorm_mode_32 3
		.amdhsa_float_denorm_mode_16_64 3
		.amdhsa_dx10_clamp 1
		.amdhsa_ieee_mode 1
		.amdhsa_fp16_overflow 0
		.amdhsa_tg_split 0
		.amdhsa_exception_fp_ieee_invalid_op 0
		.amdhsa_exception_fp_denorm_src 0
		.amdhsa_exception_fp_ieee_div_zero 0
		.amdhsa_exception_fp_ieee_overflow 0
		.amdhsa_exception_fp_ieee_underflow 0
		.amdhsa_exception_fp_ieee_inexact 0
		.amdhsa_exception_int_div_zero 0
	.end_amdhsa_kernel
	.section	.text._ZN7rocprim17ROCPRIM_400000_NS6detail17trampoline_kernelINS0_14default_configENS1_20scan_config_selectorIdEEZZNS1_9scan_implILNS1_25lookback_scan_determinismE0ELb0ELb0ES3_N6thrust23THRUST_200600_302600_NS6detail15normal_iteratorINS9_10device_ptrIdEEEESE_d11max_functorIdEdEEDaPvRmT3_T4_T5_mT6_P12ihipStream_tbENKUlT_T0_E_clISt17integral_constantIbLb0EESU_EEDaSP_SQ_EUlSP_E0_NS1_11comp_targetILNS1_3genE8ELNS1_11target_archE1030ELNS1_3gpuE2ELNS1_3repE0EEENS1_30default_config_static_selectorELNS0_4arch9wavefront6targetE1EEEvT1_,"axG",@progbits,_ZN7rocprim17ROCPRIM_400000_NS6detail17trampoline_kernelINS0_14default_configENS1_20scan_config_selectorIdEEZZNS1_9scan_implILNS1_25lookback_scan_determinismE0ELb0ELb0ES3_N6thrust23THRUST_200600_302600_NS6detail15normal_iteratorINS9_10device_ptrIdEEEESE_d11max_functorIdEdEEDaPvRmT3_T4_T5_mT6_P12ihipStream_tbENKUlT_T0_E_clISt17integral_constantIbLb0EESU_EEDaSP_SQ_EUlSP_E0_NS1_11comp_targetILNS1_3genE8ELNS1_11target_archE1030ELNS1_3gpuE2ELNS1_3repE0EEENS1_30default_config_static_selectorELNS0_4arch9wavefront6targetE1EEEvT1_,comdat
.Lfunc_end1813:
	.size	_ZN7rocprim17ROCPRIM_400000_NS6detail17trampoline_kernelINS0_14default_configENS1_20scan_config_selectorIdEEZZNS1_9scan_implILNS1_25lookback_scan_determinismE0ELb0ELb0ES3_N6thrust23THRUST_200600_302600_NS6detail15normal_iteratorINS9_10device_ptrIdEEEESE_d11max_functorIdEdEEDaPvRmT3_T4_T5_mT6_P12ihipStream_tbENKUlT_T0_E_clISt17integral_constantIbLb0EESU_EEDaSP_SQ_EUlSP_E0_NS1_11comp_targetILNS1_3genE8ELNS1_11target_archE1030ELNS1_3gpuE2ELNS1_3repE0EEENS1_30default_config_static_selectorELNS0_4arch9wavefront6targetE1EEEvT1_, .Lfunc_end1813-_ZN7rocprim17ROCPRIM_400000_NS6detail17trampoline_kernelINS0_14default_configENS1_20scan_config_selectorIdEEZZNS1_9scan_implILNS1_25lookback_scan_determinismE0ELb0ELb0ES3_N6thrust23THRUST_200600_302600_NS6detail15normal_iteratorINS9_10device_ptrIdEEEESE_d11max_functorIdEdEEDaPvRmT3_T4_T5_mT6_P12ihipStream_tbENKUlT_T0_E_clISt17integral_constantIbLb0EESU_EEDaSP_SQ_EUlSP_E0_NS1_11comp_targetILNS1_3genE8ELNS1_11target_archE1030ELNS1_3gpuE2ELNS1_3repE0EEENS1_30default_config_static_selectorELNS0_4arch9wavefront6targetE1EEEvT1_
                                        ; -- End function
	.section	.AMDGPU.csdata,"",@progbits
; Kernel info:
; codeLenInByte = 0
; NumSgprs: 4
; NumVgprs: 0
; NumAgprs: 0
; TotalNumVgprs: 0
; ScratchSize: 0
; MemoryBound: 0
; FloatMode: 240
; IeeeMode: 1
; LDSByteSize: 0 bytes/workgroup (compile time only)
; SGPRBlocks: 0
; VGPRBlocks: 0
; NumSGPRsForWavesPerEU: 4
; NumVGPRsForWavesPerEU: 1
; AccumOffset: 4
; Occupancy: 8
; WaveLimiterHint : 0
; COMPUTE_PGM_RSRC2:SCRATCH_EN: 0
; COMPUTE_PGM_RSRC2:USER_SGPR: 6
; COMPUTE_PGM_RSRC2:TRAP_HANDLER: 0
; COMPUTE_PGM_RSRC2:TGID_X_EN: 1
; COMPUTE_PGM_RSRC2:TGID_Y_EN: 0
; COMPUTE_PGM_RSRC2:TGID_Z_EN: 0
; COMPUTE_PGM_RSRC2:TIDIG_COMP_CNT: 0
; COMPUTE_PGM_RSRC3_GFX90A:ACCUM_OFFSET: 0
; COMPUTE_PGM_RSRC3_GFX90A:TG_SPLIT: 0
	.section	.text._ZN7rocprim17ROCPRIM_400000_NS6detail31init_lookback_scan_state_kernelINS1_19lookback_scan_stateIdLb1ELb1EEENS1_16block_id_wrapperIjLb1EEEEEvT_jT0_jPNS7_10value_typeE,"axG",@progbits,_ZN7rocprim17ROCPRIM_400000_NS6detail31init_lookback_scan_state_kernelINS1_19lookback_scan_stateIdLb1ELb1EEENS1_16block_id_wrapperIjLb1EEEEEvT_jT0_jPNS7_10value_typeE,comdat
	.protected	_ZN7rocprim17ROCPRIM_400000_NS6detail31init_lookback_scan_state_kernelINS1_19lookback_scan_stateIdLb1ELb1EEENS1_16block_id_wrapperIjLb1EEEEEvT_jT0_jPNS7_10value_typeE ; -- Begin function _ZN7rocprim17ROCPRIM_400000_NS6detail31init_lookback_scan_state_kernelINS1_19lookback_scan_stateIdLb1ELb1EEENS1_16block_id_wrapperIjLb1EEEEEvT_jT0_jPNS7_10value_typeE
	.globl	_ZN7rocprim17ROCPRIM_400000_NS6detail31init_lookback_scan_state_kernelINS1_19lookback_scan_stateIdLb1ELb1EEENS1_16block_id_wrapperIjLb1EEEEEvT_jT0_jPNS7_10value_typeE
	.p2align	8
	.type	_ZN7rocprim17ROCPRIM_400000_NS6detail31init_lookback_scan_state_kernelINS1_19lookback_scan_stateIdLb1ELb1EEENS1_16block_id_wrapperIjLb1EEEEEvT_jT0_jPNS7_10value_typeE,@function
_ZN7rocprim17ROCPRIM_400000_NS6detail31init_lookback_scan_state_kernelINS1_19lookback_scan_stateIdLb1ELb1EEENS1_16block_id_wrapperIjLb1EEEEEvT_jT0_jPNS7_10value_typeE: ; @_ZN7rocprim17ROCPRIM_400000_NS6detail31init_lookback_scan_state_kernelINS1_19lookback_scan_stateIdLb1ELb1EEENS1_16block_id_wrapperIjLb1EEEEEvT_jT0_jPNS7_10value_typeE
; %bb.0:
	s_load_dword s7, s[4:5], 0x34
	s_load_dwordx2 s[2:3], s[4:5], 0x20
	s_load_dwordx2 s[0:1], s[4:5], 0x0
	s_load_dword s14, s[4:5], 0x8
	s_waitcnt lgkmcnt(0)
	s_and_b32 s7, s7, 0xffff
	s_mul_i32 s6, s6, s7
	s_cmp_eq_u64 s[2:3], 0
	v_add_u32_e32 v0, s6, v0
	s_cbranch_scc1 .LBB1814_10
; %bb.1:
	s_load_dword s8, s[4:5], 0x18
	s_mov_b32 s9, 0
	s_waitcnt lgkmcnt(0)
	s_cmp_lt_u32 s8, s14
	s_cselect_b32 s6, s8, 0
	v_cmp_eq_u32_e32 vcc, s6, v0
	s_and_saveexec_b64 s[6:7], vcc
	s_cbranch_execz .LBB1814_9
; %bb.2:
	s_add_i32 s8, s8, 64
	s_lshl_b64 s[8:9], s[8:9], 4
	s_add_u32 s12, s0, s8
	s_addc_u32 s13, s1, s9
	v_pk_mov_b32 v[2:3], s[12:13], s[12:13] op_sel:[0,1]
	;;#ASMSTART
	global_load_dwordx4 v[2:5], v[2:3] off glc	
s_waitcnt vmcnt(0)
	;;#ASMEND
	v_mov_b32_e32 v7, 0
	v_and_b32_e32 v6, 0xff, v4
	s_mov_b64 s[10:11], 0
	v_cmp_eq_u64_e32 vcc, 0, v[6:7]
	s_and_saveexec_b64 s[8:9], vcc
	s_cbranch_execz .LBB1814_8
; %bb.3:
	s_mov_b32 s15, 1
	v_pk_mov_b32 v[8:9], s[12:13], s[12:13] op_sel:[0,1]
.LBB1814_4:                             ; =>This Loop Header: Depth=1
                                        ;     Child Loop BB1814_5 Depth 2
	s_max_u32 s12, s15, 1
.LBB1814_5:                             ;   Parent Loop BB1814_4 Depth=1
                                        ; =>  This Inner Loop Header: Depth=2
	s_add_i32 s12, s12, -1
	s_cmp_eq_u32 s12, 0
	s_sleep 1
	s_cbranch_scc0 .LBB1814_5
; %bb.6:                                ;   in Loop: Header=BB1814_4 Depth=1
	s_cmp_lt_u32 s15, 32
	s_cselect_b64 s[12:13], -1, 0
	s_cmp_lg_u64 s[12:13], 0
	;;#ASMSTART
	global_load_dwordx4 v[2:5], v[8:9] off glc	
s_waitcnt vmcnt(0)
	;;#ASMEND
	v_and_b32_e32 v6, 0xff, v4
	s_addc_u32 s15, s15, 0
	v_cmp_ne_u64_e32 vcc, 0, v[6:7]
	s_or_b64 s[10:11], vcc, s[10:11]
	s_andn2_b64 exec, exec, s[10:11]
	s_cbranch_execnz .LBB1814_4
; %bb.7:
	s_or_b64 exec, exec, s[10:11]
.LBB1814_8:
	s_or_b64 exec, exec, s[8:9]
	v_mov_b32_e32 v1, 0
	global_store_dwordx2 v1, v[2:3], s[2:3]
.LBB1814_9:
	s_or_b64 exec, exec, s[6:7]
.LBB1814_10:
	v_cmp_eq_u32_e32 vcc, 0, v0
	s_and_saveexec_b64 s[2:3], vcc
	s_cbranch_execnz .LBB1814_14
; %bb.11:
	s_or_b64 exec, exec, s[2:3]
	v_cmp_gt_u32_e32 vcc, s14, v0
	s_and_saveexec_b64 s[2:3], vcc
	s_cbranch_execnz .LBB1814_15
.LBB1814_12:
	s_or_b64 exec, exec, s[2:3]
	v_cmp_gt_u32_e32 vcc, 64, v0
	s_and_saveexec_b64 s[2:3], vcc
	s_cbranch_execnz .LBB1814_16
.LBB1814_13:
	s_endpgm
.LBB1814_14:
	s_load_dwordx2 s[4:5], s[4:5], 0x10
	v_mov_b32_e32 v1, 0
	s_waitcnt lgkmcnt(0)
	global_store_dword v1, v1, s[4:5]
	s_or_b64 exec, exec, s[2:3]
	v_cmp_gt_u32_e32 vcc, s14, v0
	s_and_saveexec_b64 s[2:3], vcc
	s_cbranch_execz .LBB1814_12
.LBB1814_15:
	v_add_u32_e32 v2, 64, v0
	v_mov_b32_e32 v3, 0
	v_lshlrev_b64 v[4:5], 4, v[2:3]
	v_mov_b32_e32 v1, s1
	v_add_co_u32_e32 v6, vcc, s0, v4
	v_addc_co_u32_e32 v7, vcc, v1, v5, vcc
	v_mov_b32_e32 v2, v3
	v_mov_b32_e32 v4, v3
	;; [unrolled: 1-line block ×3, first 2 shown]
	global_store_dwordx4 v[6:7], v[2:5], off
	s_or_b64 exec, exec, s[2:3]
	v_cmp_gt_u32_e32 vcc, 64, v0
	s_and_saveexec_b64 s[2:3], vcc
	s_cbranch_execz .LBB1814_13
.LBB1814_16:
	v_mov_b32_e32 v1, 0
	v_lshlrev_b64 v[2:3], 4, v[0:1]
	v_mov_b32_e32 v0, s1
	v_add_co_u32_e32 v4, vcc, s0, v2
	v_addc_co_u32_e32 v5, vcc, v0, v3, vcc
	v_mov_b32_e32 v2, 0xff
	v_mov_b32_e32 v0, v1
	;; [unrolled: 1-line block ×3, first 2 shown]
	global_store_dwordx4 v[4:5], v[0:3], off
	s_endpgm
	.section	.rodata,"a",@progbits
	.p2align	6, 0x0
	.amdhsa_kernel _ZN7rocprim17ROCPRIM_400000_NS6detail31init_lookback_scan_state_kernelINS1_19lookback_scan_stateIdLb1ELb1EEENS1_16block_id_wrapperIjLb1EEEEEvT_jT0_jPNS7_10value_typeE
		.amdhsa_group_segment_fixed_size 0
		.amdhsa_private_segment_fixed_size 0
		.amdhsa_kernarg_size 296
		.amdhsa_user_sgpr_count 6
		.amdhsa_user_sgpr_private_segment_buffer 1
		.amdhsa_user_sgpr_dispatch_ptr 0
		.amdhsa_user_sgpr_queue_ptr 0
		.amdhsa_user_sgpr_kernarg_segment_ptr 1
		.amdhsa_user_sgpr_dispatch_id 0
		.amdhsa_user_sgpr_flat_scratch_init 0
		.amdhsa_user_sgpr_kernarg_preload_length 0
		.amdhsa_user_sgpr_kernarg_preload_offset 0
		.amdhsa_user_sgpr_private_segment_size 0
		.amdhsa_uses_dynamic_stack 0
		.amdhsa_system_sgpr_private_segment_wavefront_offset 0
		.amdhsa_system_sgpr_workgroup_id_x 1
		.amdhsa_system_sgpr_workgroup_id_y 0
		.amdhsa_system_sgpr_workgroup_id_z 0
		.amdhsa_system_sgpr_workgroup_info 0
		.amdhsa_system_vgpr_workitem_id 0
		.amdhsa_next_free_vgpr 10
		.amdhsa_next_free_sgpr 16
		.amdhsa_accum_offset 12
		.amdhsa_reserve_vcc 1
		.amdhsa_reserve_flat_scratch 0
		.amdhsa_float_round_mode_32 0
		.amdhsa_float_round_mode_16_64 0
		.amdhsa_float_denorm_mode_32 3
		.amdhsa_float_denorm_mode_16_64 3
		.amdhsa_dx10_clamp 1
		.amdhsa_ieee_mode 1
		.amdhsa_fp16_overflow 0
		.amdhsa_tg_split 0
		.amdhsa_exception_fp_ieee_invalid_op 0
		.amdhsa_exception_fp_denorm_src 0
		.amdhsa_exception_fp_ieee_div_zero 0
		.amdhsa_exception_fp_ieee_overflow 0
		.amdhsa_exception_fp_ieee_underflow 0
		.amdhsa_exception_fp_ieee_inexact 0
		.amdhsa_exception_int_div_zero 0
	.end_amdhsa_kernel
	.section	.text._ZN7rocprim17ROCPRIM_400000_NS6detail31init_lookback_scan_state_kernelINS1_19lookback_scan_stateIdLb1ELb1EEENS1_16block_id_wrapperIjLb1EEEEEvT_jT0_jPNS7_10value_typeE,"axG",@progbits,_ZN7rocprim17ROCPRIM_400000_NS6detail31init_lookback_scan_state_kernelINS1_19lookback_scan_stateIdLb1ELb1EEENS1_16block_id_wrapperIjLb1EEEEEvT_jT0_jPNS7_10value_typeE,comdat
.Lfunc_end1814:
	.size	_ZN7rocprim17ROCPRIM_400000_NS6detail31init_lookback_scan_state_kernelINS1_19lookback_scan_stateIdLb1ELb1EEENS1_16block_id_wrapperIjLb1EEEEEvT_jT0_jPNS7_10value_typeE, .Lfunc_end1814-_ZN7rocprim17ROCPRIM_400000_NS6detail31init_lookback_scan_state_kernelINS1_19lookback_scan_stateIdLb1ELb1EEENS1_16block_id_wrapperIjLb1EEEEEvT_jT0_jPNS7_10value_typeE
                                        ; -- End function
	.section	.AMDGPU.csdata,"",@progbits
; Kernel info:
; codeLenInByte = 480
; NumSgprs: 20
; NumVgprs: 10
; NumAgprs: 0
; TotalNumVgprs: 10
; ScratchSize: 0
; MemoryBound: 0
; FloatMode: 240
; IeeeMode: 1
; LDSByteSize: 0 bytes/workgroup (compile time only)
; SGPRBlocks: 2
; VGPRBlocks: 1
; NumSGPRsForWavesPerEU: 20
; NumVGPRsForWavesPerEU: 10
; AccumOffset: 12
; Occupancy: 8
; WaveLimiterHint : 0
; COMPUTE_PGM_RSRC2:SCRATCH_EN: 0
; COMPUTE_PGM_RSRC2:USER_SGPR: 6
; COMPUTE_PGM_RSRC2:TRAP_HANDLER: 0
; COMPUTE_PGM_RSRC2:TGID_X_EN: 1
; COMPUTE_PGM_RSRC2:TGID_Y_EN: 0
; COMPUTE_PGM_RSRC2:TGID_Z_EN: 0
; COMPUTE_PGM_RSRC2:TIDIG_COMP_CNT: 0
; COMPUTE_PGM_RSRC3_GFX90A:ACCUM_OFFSET: 2
; COMPUTE_PGM_RSRC3_GFX90A:TG_SPLIT: 0
	.section	.text._ZN7rocprim17ROCPRIM_400000_NS6detail17trampoline_kernelINS0_14default_configENS1_20scan_config_selectorIdEEZZNS1_9scan_implILNS1_25lookback_scan_determinismE0ELb0ELb0ES3_N6thrust23THRUST_200600_302600_NS6detail15normal_iteratorINS9_10device_ptrIdEEEESE_d11max_functorIdEdEEDaPvRmT3_T4_T5_mT6_P12ihipStream_tbENKUlT_T0_E_clISt17integral_constantIbLb1EESU_EEDaSP_SQ_EUlSP_E_NS1_11comp_targetILNS1_3genE0ELNS1_11target_archE4294967295ELNS1_3gpuE0ELNS1_3repE0EEENS1_30default_config_static_selectorELNS0_4arch9wavefront6targetE1EEEvT1_,"axG",@progbits,_ZN7rocprim17ROCPRIM_400000_NS6detail17trampoline_kernelINS0_14default_configENS1_20scan_config_selectorIdEEZZNS1_9scan_implILNS1_25lookback_scan_determinismE0ELb0ELb0ES3_N6thrust23THRUST_200600_302600_NS6detail15normal_iteratorINS9_10device_ptrIdEEEESE_d11max_functorIdEdEEDaPvRmT3_T4_T5_mT6_P12ihipStream_tbENKUlT_T0_E_clISt17integral_constantIbLb1EESU_EEDaSP_SQ_EUlSP_E_NS1_11comp_targetILNS1_3genE0ELNS1_11target_archE4294967295ELNS1_3gpuE0ELNS1_3repE0EEENS1_30default_config_static_selectorELNS0_4arch9wavefront6targetE1EEEvT1_,comdat
	.protected	_ZN7rocprim17ROCPRIM_400000_NS6detail17trampoline_kernelINS0_14default_configENS1_20scan_config_selectorIdEEZZNS1_9scan_implILNS1_25lookback_scan_determinismE0ELb0ELb0ES3_N6thrust23THRUST_200600_302600_NS6detail15normal_iteratorINS9_10device_ptrIdEEEESE_d11max_functorIdEdEEDaPvRmT3_T4_T5_mT6_P12ihipStream_tbENKUlT_T0_E_clISt17integral_constantIbLb1EESU_EEDaSP_SQ_EUlSP_E_NS1_11comp_targetILNS1_3genE0ELNS1_11target_archE4294967295ELNS1_3gpuE0ELNS1_3repE0EEENS1_30default_config_static_selectorELNS0_4arch9wavefront6targetE1EEEvT1_ ; -- Begin function _ZN7rocprim17ROCPRIM_400000_NS6detail17trampoline_kernelINS0_14default_configENS1_20scan_config_selectorIdEEZZNS1_9scan_implILNS1_25lookback_scan_determinismE0ELb0ELb0ES3_N6thrust23THRUST_200600_302600_NS6detail15normal_iteratorINS9_10device_ptrIdEEEESE_d11max_functorIdEdEEDaPvRmT3_T4_T5_mT6_P12ihipStream_tbENKUlT_T0_E_clISt17integral_constantIbLb1EESU_EEDaSP_SQ_EUlSP_E_NS1_11comp_targetILNS1_3genE0ELNS1_11target_archE4294967295ELNS1_3gpuE0ELNS1_3repE0EEENS1_30default_config_static_selectorELNS0_4arch9wavefront6targetE1EEEvT1_
	.globl	_ZN7rocprim17ROCPRIM_400000_NS6detail17trampoline_kernelINS0_14default_configENS1_20scan_config_selectorIdEEZZNS1_9scan_implILNS1_25lookback_scan_determinismE0ELb0ELb0ES3_N6thrust23THRUST_200600_302600_NS6detail15normal_iteratorINS9_10device_ptrIdEEEESE_d11max_functorIdEdEEDaPvRmT3_T4_T5_mT6_P12ihipStream_tbENKUlT_T0_E_clISt17integral_constantIbLb1EESU_EEDaSP_SQ_EUlSP_E_NS1_11comp_targetILNS1_3genE0ELNS1_11target_archE4294967295ELNS1_3gpuE0ELNS1_3repE0EEENS1_30default_config_static_selectorELNS0_4arch9wavefront6targetE1EEEvT1_
	.p2align	8
	.type	_ZN7rocprim17ROCPRIM_400000_NS6detail17trampoline_kernelINS0_14default_configENS1_20scan_config_selectorIdEEZZNS1_9scan_implILNS1_25lookback_scan_determinismE0ELb0ELb0ES3_N6thrust23THRUST_200600_302600_NS6detail15normal_iteratorINS9_10device_ptrIdEEEESE_d11max_functorIdEdEEDaPvRmT3_T4_T5_mT6_P12ihipStream_tbENKUlT_T0_E_clISt17integral_constantIbLb1EESU_EEDaSP_SQ_EUlSP_E_NS1_11comp_targetILNS1_3genE0ELNS1_11target_archE4294967295ELNS1_3gpuE0ELNS1_3repE0EEENS1_30default_config_static_selectorELNS0_4arch9wavefront6targetE1EEEvT1_,@function
_ZN7rocprim17ROCPRIM_400000_NS6detail17trampoline_kernelINS0_14default_configENS1_20scan_config_selectorIdEEZZNS1_9scan_implILNS1_25lookback_scan_determinismE0ELb0ELb0ES3_N6thrust23THRUST_200600_302600_NS6detail15normal_iteratorINS9_10device_ptrIdEEEESE_d11max_functorIdEdEEDaPvRmT3_T4_T5_mT6_P12ihipStream_tbENKUlT_T0_E_clISt17integral_constantIbLb1EESU_EEDaSP_SQ_EUlSP_E_NS1_11comp_targetILNS1_3genE0ELNS1_11target_archE4294967295ELNS1_3gpuE0ELNS1_3repE0EEENS1_30default_config_static_selectorELNS0_4arch9wavefront6targetE1EEEvT1_: ; @_ZN7rocprim17ROCPRIM_400000_NS6detail17trampoline_kernelINS0_14default_configENS1_20scan_config_selectorIdEEZZNS1_9scan_implILNS1_25lookback_scan_determinismE0ELb0ELb0ES3_N6thrust23THRUST_200600_302600_NS6detail15normal_iteratorINS9_10device_ptrIdEEEESE_d11max_functorIdEdEEDaPvRmT3_T4_T5_mT6_P12ihipStream_tbENKUlT_T0_E_clISt17integral_constantIbLb1EESU_EEDaSP_SQ_EUlSP_E_NS1_11comp_targetILNS1_3genE0ELNS1_11target_archE4294967295ELNS1_3gpuE0ELNS1_3repE0EEENS1_30default_config_static_selectorELNS0_4arch9wavefront6targetE1EEEvT1_
; %bb.0:
	.section	.rodata,"a",@progbits
	.p2align	6, 0x0
	.amdhsa_kernel _ZN7rocprim17ROCPRIM_400000_NS6detail17trampoline_kernelINS0_14default_configENS1_20scan_config_selectorIdEEZZNS1_9scan_implILNS1_25lookback_scan_determinismE0ELb0ELb0ES3_N6thrust23THRUST_200600_302600_NS6detail15normal_iteratorINS9_10device_ptrIdEEEESE_d11max_functorIdEdEEDaPvRmT3_T4_T5_mT6_P12ihipStream_tbENKUlT_T0_E_clISt17integral_constantIbLb1EESU_EEDaSP_SQ_EUlSP_E_NS1_11comp_targetILNS1_3genE0ELNS1_11target_archE4294967295ELNS1_3gpuE0ELNS1_3repE0EEENS1_30default_config_static_selectorELNS0_4arch9wavefront6targetE1EEEvT1_
		.amdhsa_group_segment_fixed_size 0
		.amdhsa_private_segment_fixed_size 0
		.amdhsa_kernarg_size 104
		.amdhsa_user_sgpr_count 6
		.amdhsa_user_sgpr_private_segment_buffer 1
		.amdhsa_user_sgpr_dispatch_ptr 0
		.amdhsa_user_sgpr_queue_ptr 0
		.amdhsa_user_sgpr_kernarg_segment_ptr 1
		.amdhsa_user_sgpr_dispatch_id 0
		.amdhsa_user_sgpr_flat_scratch_init 0
		.amdhsa_user_sgpr_kernarg_preload_length 0
		.amdhsa_user_sgpr_kernarg_preload_offset 0
		.amdhsa_user_sgpr_private_segment_size 0
		.amdhsa_uses_dynamic_stack 0
		.amdhsa_system_sgpr_private_segment_wavefront_offset 0
		.amdhsa_system_sgpr_workgroup_id_x 1
		.amdhsa_system_sgpr_workgroup_id_y 0
		.amdhsa_system_sgpr_workgroup_id_z 0
		.amdhsa_system_sgpr_workgroup_info 0
		.amdhsa_system_vgpr_workitem_id 0
		.amdhsa_next_free_vgpr 1
		.amdhsa_next_free_sgpr 0
		.amdhsa_accum_offset 4
		.amdhsa_reserve_vcc 0
		.amdhsa_reserve_flat_scratch 0
		.amdhsa_float_round_mode_32 0
		.amdhsa_float_round_mode_16_64 0
		.amdhsa_float_denorm_mode_32 3
		.amdhsa_float_denorm_mode_16_64 3
		.amdhsa_dx10_clamp 1
		.amdhsa_ieee_mode 1
		.amdhsa_fp16_overflow 0
		.amdhsa_tg_split 0
		.amdhsa_exception_fp_ieee_invalid_op 0
		.amdhsa_exception_fp_denorm_src 0
		.amdhsa_exception_fp_ieee_div_zero 0
		.amdhsa_exception_fp_ieee_overflow 0
		.amdhsa_exception_fp_ieee_underflow 0
		.amdhsa_exception_fp_ieee_inexact 0
		.amdhsa_exception_int_div_zero 0
	.end_amdhsa_kernel
	.section	.text._ZN7rocprim17ROCPRIM_400000_NS6detail17trampoline_kernelINS0_14default_configENS1_20scan_config_selectorIdEEZZNS1_9scan_implILNS1_25lookback_scan_determinismE0ELb0ELb0ES3_N6thrust23THRUST_200600_302600_NS6detail15normal_iteratorINS9_10device_ptrIdEEEESE_d11max_functorIdEdEEDaPvRmT3_T4_T5_mT6_P12ihipStream_tbENKUlT_T0_E_clISt17integral_constantIbLb1EESU_EEDaSP_SQ_EUlSP_E_NS1_11comp_targetILNS1_3genE0ELNS1_11target_archE4294967295ELNS1_3gpuE0ELNS1_3repE0EEENS1_30default_config_static_selectorELNS0_4arch9wavefront6targetE1EEEvT1_,"axG",@progbits,_ZN7rocprim17ROCPRIM_400000_NS6detail17trampoline_kernelINS0_14default_configENS1_20scan_config_selectorIdEEZZNS1_9scan_implILNS1_25lookback_scan_determinismE0ELb0ELb0ES3_N6thrust23THRUST_200600_302600_NS6detail15normal_iteratorINS9_10device_ptrIdEEEESE_d11max_functorIdEdEEDaPvRmT3_T4_T5_mT6_P12ihipStream_tbENKUlT_T0_E_clISt17integral_constantIbLb1EESU_EEDaSP_SQ_EUlSP_E_NS1_11comp_targetILNS1_3genE0ELNS1_11target_archE4294967295ELNS1_3gpuE0ELNS1_3repE0EEENS1_30default_config_static_selectorELNS0_4arch9wavefront6targetE1EEEvT1_,comdat
.Lfunc_end1815:
	.size	_ZN7rocprim17ROCPRIM_400000_NS6detail17trampoline_kernelINS0_14default_configENS1_20scan_config_selectorIdEEZZNS1_9scan_implILNS1_25lookback_scan_determinismE0ELb0ELb0ES3_N6thrust23THRUST_200600_302600_NS6detail15normal_iteratorINS9_10device_ptrIdEEEESE_d11max_functorIdEdEEDaPvRmT3_T4_T5_mT6_P12ihipStream_tbENKUlT_T0_E_clISt17integral_constantIbLb1EESU_EEDaSP_SQ_EUlSP_E_NS1_11comp_targetILNS1_3genE0ELNS1_11target_archE4294967295ELNS1_3gpuE0ELNS1_3repE0EEENS1_30default_config_static_selectorELNS0_4arch9wavefront6targetE1EEEvT1_, .Lfunc_end1815-_ZN7rocprim17ROCPRIM_400000_NS6detail17trampoline_kernelINS0_14default_configENS1_20scan_config_selectorIdEEZZNS1_9scan_implILNS1_25lookback_scan_determinismE0ELb0ELb0ES3_N6thrust23THRUST_200600_302600_NS6detail15normal_iteratorINS9_10device_ptrIdEEEESE_d11max_functorIdEdEEDaPvRmT3_T4_T5_mT6_P12ihipStream_tbENKUlT_T0_E_clISt17integral_constantIbLb1EESU_EEDaSP_SQ_EUlSP_E_NS1_11comp_targetILNS1_3genE0ELNS1_11target_archE4294967295ELNS1_3gpuE0ELNS1_3repE0EEENS1_30default_config_static_selectorELNS0_4arch9wavefront6targetE1EEEvT1_
                                        ; -- End function
	.section	.AMDGPU.csdata,"",@progbits
; Kernel info:
; codeLenInByte = 0
; NumSgprs: 4
; NumVgprs: 0
; NumAgprs: 0
; TotalNumVgprs: 0
; ScratchSize: 0
; MemoryBound: 0
; FloatMode: 240
; IeeeMode: 1
; LDSByteSize: 0 bytes/workgroup (compile time only)
; SGPRBlocks: 0
; VGPRBlocks: 0
; NumSGPRsForWavesPerEU: 4
; NumVGPRsForWavesPerEU: 1
; AccumOffset: 4
; Occupancy: 8
; WaveLimiterHint : 0
; COMPUTE_PGM_RSRC2:SCRATCH_EN: 0
; COMPUTE_PGM_RSRC2:USER_SGPR: 6
; COMPUTE_PGM_RSRC2:TRAP_HANDLER: 0
; COMPUTE_PGM_RSRC2:TGID_X_EN: 1
; COMPUTE_PGM_RSRC2:TGID_Y_EN: 0
; COMPUTE_PGM_RSRC2:TGID_Z_EN: 0
; COMPUTE_PGM_RSRC2:TIDIG_COMP_CNT: 0
; COMPUTE_PGM_RSRC3_GFX90A:ACCUM_OFFSET: 0
; COMPUTE_PGM_RSRC3_GFX90A:TG_SPLIT: 0
	.section	.text._ZN7rocprim17ROCPRIM_400000_NS6detail17trampoline_kernelINS0_14default_configENS1_20scan_config_selectorIdEEZZNS1_9scan_implILNS1_25lookback_scan_determinismE0ELb0ELb0ES3_N6thrust23THRUST_200600_302600_NS6detail15normal_iteratorINS9_10device_ptrIdEEEESE_d11max_functorIdEdEEDaPvRmT3_T4_T5_mT6_P12ihipStream_tbENKUlT_T0_E_clISt17integral_constantIbLb1EESU_EEDaSP_SQ_EUlSP_E_NS1_11comp_targetILNS1_3genE5ELNS1_11target_archE942ELNS1_3gpuE9ELNS1_3repE0EEENS1_30default_config_static_selectorELNS0_4arch9wavefront6targetE1EEEvT1_,"axG",@progbits,_ZN7rocprim17ROCPRIM_400000_NS6detail17trampoline_kernelINS0_14default_configENS1_20scan_config_selectorIdEEZZNS1_9scan_implILNS1_25lookback_scan_determinismE0ELb0ELb0ES3_N6thrust23THRUST_200600_302600_NS6detail15normal_iteratorINS9_10device_ptrIdEEEESE_d11max_functorIdEdEEDaPvRmT3_T4_T5_mT6_P12ihipStream_tbENKUlT_T0_E_clISt17integral_constantIbLb1EESU_EEDaSP_SQ_EUlSP_E_NS1_11comp_targetILNS1_3genE5ELNS1_11target_archE942ELNS1_3gpuE9ELNS1_3repE0EEENS1_30default_config_static_selectorELNS0_4arch9wavefront6targetE1EEEvT1_,comdat
	.protected	_ZN7rocprim17ROCPRIM_400000_NS6detail17trampoline_kernelINS0_14default_configENS1_20scan_config_selectorIdEEZZNS1_9scan_implILNS1_25lookback_scan_determinismE0ELb0ELb0ES3_N6thrust23THRUST_200600_302600_NS6detail15normal_iteratorINS9_10device_ptrIdEEEESE_d11max_functorIdEdEEDaPvRmT3_T4_T5_mT6_P12ihipStream_tbENKUlT_T0_E_clISt17integral_constantIbLb1EESU_EEDaSP_SQ_EUlSP_E_NS1_11comp_targetILNS1_3genE5ELNS1_11target_archE942ELNS1_3gpuE9ELNS1_3repE0EEENS1_30default_config_static_selectorELNS0_4arch9wavefront6targetE1EEEvT1_ ; -- Begin function _ZN7rocprim17ROCPRIM_400000_NS6detail17trampoline_kernelINS0_14default_configENS1_20scan_config_selectorIdEEZZNS1_9scan_implILNS1_25lookback_scan_determinismE0ELb0ELb0ES3_N6thrust23THRUST_200600_302600_NS6detail15normal_iteratorINS9_10device_ptrIdEEEESE_d11max_functorIdEdEEDaPvRmT3_T4_T5_mT6_P12ihipStream_tbENKUlT_T0_E_clISt17integral_constantIbLb1EESU_EEDaSP_SQ_EUlSP_E_NS1_11comp_targetILNS1_3genE5ELNS1_11target_archE942ELNS1_3gpuE9ELNS1_3repE0EEENS1_30default_config_static_selectorELNS0_4arch9wavefront6targetE1EEEvT1_
	.globl	_ZN7rocprim17ROCPRIM_400000_NS6detail17trampoline_kernelINS0_14default_configENS1_20scan_config_selectorIdEEZZNS1_9scan_implILNS1_25lookback_scan_determinismE0ELb0ELb0ES3_N6thrust23THRUST_200600_302600_NS6detail15normal_iteratorINS9_10device_ptrIdEEEESE_d11max_functorIdEdEEDaPvRmT3_T4_T5_mT6_P12ihipStream_tbENKUlT_T0_E_clISt17integral_constantIbLb1EESU_EEDaSP_SQ_EUlSP_E_NS1_11comp_targetILNS1_3genE5ELNS1_11target_archE942ELNS1_3gpuE9ELNS1_3repE0EEENS1_30default_config_static_selectorELNS0_4arch9wavefront6targetE1EEEvT1_
	.p2align	8
	.type	_ZN7rocprim17ROCPRIM_400000_NS6detail17trampoline_kernelINS0_14default_configENS1_20scan_config_selectorIdEEZZNS1_9scan_implILNS1_25lookback_scan_determinismE0ELb0ELb0ES3_N6thrust23THRUST_200600_302600_NS6detail15normal_iteratorINS9_10device_ptrIdEEEESE_d11max_functorIdEdEEDaPvRmT3_T4_T5_mT6_P12ihipStream_tbENKUlT_T0_E_clISt17integral_constantIbLb1EESU_EEDaSP_SQ_EUlSP_E_NS1_11comp_targetILNS1_3genE5ELNS1_11target_archE942ELNS1_3gpuE9ELNS1_3repE0EEENS1_30default_config_static_selectorELNS0_4arch9wavefront6targetE1EEEvT1_,@function
_ZN7rocprim17ROCPRIM_400000_NS6detail17trampoline_kernelINS0_14default_configENS1_20scan_config_selectorIdEEZZNS1_9scan_implILNS1_25lookback_scan_determinismE0ELb0ELb0ES3_N6thrust23THRUST_200600_302600_NS6detail15normal_iteratorINS9_10device_ptrIdEEEESE_d11max_functorIdEdEEDaPvRmT3_T4_T5_mT6_P12ihipStream_tbENKUlT_T0_E_clISt17integral_constantIbLb1EESU_EEDaSP_SQ_EUlSP_E_NS1_11comp_targetILNS1_3genE5ELNS1_11target_archE942ELNS1_3gpuE9ELNS1_3repE0EEENS1_30default_config_static_selectorELNS0_4arch9wavefront6targetE1EEEvT1_: ; @_ZN7rocprim17ROCPRIM_400000_NS6detail17trampoline_kernelINS0_14default_configENS1_20scan_config_selectorIdEEZZNS1_9scan_implILNS1_25lookback_scan_determinismE0ELb0ELb0ES3_N6thrust23THRUST_200600_302600_NS6detail15normal_iteratorINS9_10device_ptrIdEEEESE_d11max_functorIdEdEEDaPvRmT3_T4_T5_mT6_P12ihipStream_tbENKUlT_T0_E_clISt17integral_constantIbLb1EESU_EEDaSP_SQ_EUlSP_E_NS1_11comp_targetILNS1_3genE5ELNS1_11target_archE942ELNS1_3gpuE9ELNS1_3repE0EEENS1_30default_config_static_selectorELNS0_4arch9wavefront6targetE1EEEvT1_
; %bb.0:
	.section	.rodata,"a",@progbits
	.p2align	6, 0x0
	.amdhsa_kernel _ZN7rocprim17ROCPRIM_400000_NS6detail17trampoline_kernelINS0_14default_configENS1_20scan_config_selectorIdEEZZNS1_9scan_implILNS1_25lookback_scan_determinismE0ELb0ELb0ES3_N6thrust23THRUST_200600_302600_NS6detail15normal_iteratorINS9_10device_ptrIdEEEESE_d11max_functorIdEdEEDaPvRmT3_T4_T5_mT6_P12ihipStream_tbENKUlT_T0_E_clISt17integral_constantIbLb1EESU_EEDaSP_SQ_EUlSP_E_NS1_11comp_targetILNS1_3genE5ELNS1_11target_archE942ELNS1_3gpuE9ELNS1_3repE0EEENS1_30default_config_static_selectorELNS0_4arch9wavefront6targetE1EEEvT1_
		.amdhsa_group_segment_fixed_size 0
		.amdhsa_private_segment_fixed_size 0
		.amdhsa_kernarg_size 104
		.amdhsa_user_sgpr_count 6
		.amdhsa_user_sgpr_private_segment_buffer 1
		.amdhsa_user_sgpr_dispatch_ptr 0
		.amdhsa_user_sgpr_queue_ptr 0
		.amdhsa_user_sgpr_kernarg_segment_ptr 1
		.amdhsa_user_sgpr_dispatch_id 0
		.amdhsa_user_sgpr_flat_scratch_init 0
		.amdhsa_user_sgpr_kernarg_preload_length 0
		.amdhsa_user_sgpr_kernarg_preload_offset 0
		.amdhsa_user_sgpr_private_segment_size 0
		.amdhsa_uses_dynamic_stack 0
		.amdhsa_system_sgpr_private_segment_wavefront_offset 0
		.amdhsa_system_sgpr_workgroup_id_x 1
		.amdhsa_system_sgpr_workgroup_id_y 0
		.amdhsa_system_sgpr_workgroup_id_z 0
		.amdhsa_system_sgpr_workgroup_info 0
		.amdhsa_system_vgpr_workitem_id 0
		.amdhsa_next_free_vgpr 1
		.amdhsa_next_free_sgpr 0
		.amdhsa_accum_offset 4
		.amdhsa_reserve_vcc 0
		.amdhsa_reserve_flat_scratch 0
		.amdhsa_float_round_mode_32 0
		.amdhsa_float_round_mode_16_64 0
		.amdhsa_float_denorm_mode_32 3
		.amdhsa_float_denorm_mode_16_64 3
		.amdhsa_dx10_clamp 1
		.amdhsa_ieee_mode 1
		.amdhsa_fp16_overflow 0
		.amdhsa_tg_split 0
		.amdhsa_exception_fp_ieee_invalid_op 0
		.amdhsa_exception_fp_denorm_src 0
		.amdhsa_exception_fp_ieee_div_zero 0
		.amdhsa_exception_fp_ieee_overflow 0
		.amdhsa_exception_fp_ieee_underflow 0
		.amdhsa_exception_fp_ieee_inexact 0
		.amdhsa_exception_int_div_zero 0
	.end_amdhsa_kernel
	.section	.text._ZN7rocprim17ROCPRIM_400000_NS6detail17trampoline_kernelINS0_14default_configENS1_20scan_config_selectorIdEEZZNS1_9scan_implILNS1_25lookback_scan_determinismE0ELb0ELb0ES3_N6thrust23THRUST_200600_302600_NS6detail15normal_iteratorINS9_10device_ptrIdEEEESE_d11max_functorIdEdEEDaPvRmT3_T4_T5_mT6_P12ihipStream_tbENKUlT_T0_E_clISt17integral_constantIbLb1EESU_EEDaSP_SQ_EUlSP_E_NS1_11comp_targetILNS1_3genE5ELNS1_11target_archE942ELNS1_3gpuE9ELNS1_3repE0EEENS1_30default_config_static_selectorELNS0_4arch9wavefront6targetE1EEEvT1_,"axG",@progbits,_ZN7rocprim17ROCPRIM_400000_NS6detail17trampoline_kernelINS0_14default_configENS1_20scan_config_selectorIdEEZZNS1_9scan_implILNS1_25lookback_scan_determinismE0ELb0ELb0ES3_N6thrust23THRUST_200600_302600_NS6detail15normal_iteratorINS9_10device_ptrIdEEEESE_d11max_functorIdEdEEDaPvRmT3_T4_T5_mT6_P12ihipStream_tbENKUlT_T0_E_clISt17integral_constantIbLb1EESU_EEDaSP_SQ_EUlSP_E_NS1_11comp_targetILNS1_3genE5ELNS1_11target_archE942ELNS1_3gpuE9ELNS1_3repE0EEENS1_30default_config_static_selectorELNS0_4arch9wavefront6targetE1EEEvT1_,comdat
.Lfunc_end1816:
	.size	_ZN7rocprim17ROCPRIM_400000_NS6detail17trampoline_kernelINS0_14default_configENS1_20scan_config_selectorIdEEZZNS1_9scan_implILNS1_25lookback_scan_determinismE0ELb0ELb0ES3_N6thrust23THRUST_200600_302600_NS6detail15normal_iteratorINS9_10device_ptrIdEEEESE_d11max_functorIdEdEEDaPvRmT3_T4_T5_mT6_P12ihipStream_tbENKUlT_T0_E_clISt17integral_constantIbLb1EESU_EEDaSP_SQ_EUlSP_E_NS1_11comp_targetILNS1_3genE5ELNS1_11target_archE942ELNS1_3gpuE9ELNS1_3repE0EEENS1_30default_config_static_selectorELNS0_4arch9wavefront6targetE1EEEvT1_, .Lfunc_end1816-_ZN7rocprim17ROCPRIM_400000_NS6detail17trampoline_kernelINS0_14default_configENS1_20scan_config_selectorIdEEZZNS1_9scan_implILNS1_25lookback_scan_determinismE0ELb0ELb0ES3_N6thrust23THRUST_200600_302600_NS6detail15normal_iteratorINS9_10device_ptrIdEEEESE_d11max_functorIdEdEEDaPvRmT3_T4_T5_mT6_P12ihipStream_tbENKUlT_T0_E_clISt17integral_constantIbLb1EESU_EEDaSP_SQ_EUlSP_E_NS1_11comp_targetILNS1_3genE5ELNS1_11target_archE942ELNS1_3gpuE9ELNS1_3repE0EEENS1_30default_config_static_selectorELNS0_4arch9wavefront6targetE1EEEvT1_
                                        ; -- End function
	.section	.AMDGPU.csdata,"",@progbits
; Kernel info:
; codeLenInByte = 0
; NumSgprs: 4
; NumVgprs: 0
; NumAgprs: 0
; TotalNumVgprs: 0
; ScratchSize: 0
; MemoryBound: 0
; FloatMode: 240
; IeeeMode: 1
; LDSByteSize: 0 bytes/workgroup (compile time only)
; SGPRBlocks: 0
; VGPRBlocks: 0
; NumSGPRsForWavesPerEU: 4
; NumVGPRsForWavesPerEU: 1
; AccumOffset: 4
; Occupancy: 8
; WaveLimiterHint : 0
; COMPUTE_PGM_RSRC2:SCRATCH_EN: 0
; COMPUTE_PGM_RSRC2:USER_SGPR: 6
; COMPUTE_PGM_RSRC2:TRAP_HANDLER: 0
; COMPUTE_PGM_RSRC2:TGID_X_EN: 1
; COMPUTE_PGM_RSRC2:TGID_Y_EN: 0
; COMPUTE_PGM_RSRC2:TGID_Z_EN: 0
; COMPUTE_PGM_RSRC2:TIDIG_COMP_CNT: 0
; COMPUTE_PGM_RSRC3_GFX90A:ACCUM_OFFSET: 0
; COMPUTE_PGM_RSRC3_GFX90A:TG_SPLIT: 0
	.section	.text._ZN7rocprim17ROCPRIM_400000_NS6detail17trampoline_kernelINS0_14default_configENS1_20scan_config_selectorIdEEZZNS1_9scan_implILNS1_25lookback_scan_determinismE0ELb0ELb0ES3_N6thrust23THRUST_200600_302600_NS6detail15normal_iteratorINS9_10device_ptrIdEEEESE_d11max_functorIdEdEEDaPvRmT3_T4_T5_mT6_P12ihipStream_tbENKUlT_T0_E_clISt17integral_constantIbLb1EESU_EEDaSP_SQ_EUlSP_E_NS1_11comp_targetILNS1_3genE4ELNS1_11target_archE910ELNS1_3gpuE8ELNS1_3repE0EEENS1_30default_config_static_selectorELNS0_4arch9wavefront6targetE1EEEvT1_,"axG",@progbits,_ZN7rocprim17ROCPRIM_400000_NS6detail17trampoline_kernelINS0_14default_configENS1_20scan_config_selectorIdEEZZNS1_9scan_implILNS1_25lookback_scan_determinismE0ELb0ELb0ES3_N6thrust23THRUST_200600_302600_NS6detail15normal_iteratorINS9_10device_ptrIdEEEESE_d11max_functorIdEdEEDaPvRmT3_T4_T5_mT6_P12ihipStream_tbENKUlT_T0_E_clISt17integral_constantIbLb1EESU_EEDaSP_SQ_EUlSP_E_NS1_11comp_targetILNS1_3genE4ELNS1_11target_archE910ELNS1_3gpuE8ELNS1_3repE0EEENS1_30default_config_static_selectorELNS0_4arch9wavefront6targetE1EEEvT1_,comdat
	.protected	_ZN7rocprim17ROCPRIM_400000_NS6detail17trampoline_kernelINS0_14default_configENS1_20scan_config_selectorIdEEZZNS1_9scan_implILNS1_25lookback_scan_determinismE0ELb0ELb0ES3_N6thrust23THRUST_200600_302600_NS6detail15normal_iteratorINS9_10device_ptrIdEEEESE_d11max_functorIdEdEEDaPvRmT3_T4_T5_mT6_P12ihipStream_tbENKUlT_T0_E_clISt17integral_constantIbLb1EESU_EEDaSP_SQ_EUlSP_E_NS1_11comp_targetILNS1_3genE4ELNS1_11target_archE910ELNS1_3gpuE8ELNS1_3repE0EEENS1_30default_config_static_selectorELNS0_4arch9wavefront6targetE1EEEvT1_ ; -- Begin function _ZN7rocprim17ROCPRIM_400000_NS6detail17trampoline_kernelINS0_14default_configENS1_20scan_config_selectorIdEEZZNS1_9scan_implILNS1_25lookback_scan_determinismE0ELb0ELb0ES3_N6thrust23THRUST_200600_302600_NS6detail15normal_iteratorINS9_10device_ptrIdEEEESE_d11max_functorIdEdEEDaPvRmT3_T4_T5_mT6_P12ihipStream_tbENKUlT_T0_E_clISt17integral_constantIbLb1EESU_EEDaSP_SQ_EUlSP_E_NS1_11comp_targetILNS1_3genE4ELNS1_11target_archE910ELNS1_3gpuE8ELNS1_3repE0EEENS1_30default_config_static_selectorELNS0_4arch9wavefront6targetE1EEEvT1_
	.globl	_ZN7rocprim17ROCPRIM_400000_NS6detail17trampoline_kernelINS0_14default_configENS1_20scan_config_selectorIdEEZZNS1_9scan_implILNS1_25lookback_scan_determinismE0ELb0ELb0ES3_N6thrust23THRUST_200600_302600_NS6detail15normal_iteratorINS9_10device_ptrIdEEEESE_d11max_functorIdEdEEDaPvRmT3_T4_T5_mT6_P12ihipStream_tbENKUlT_T0_E_clISt17integral_constantIbLb1EESU_EEDaSP_SQ_EUlSP_E_NS1_11comp_targetILNS1_3genE4ELNS1_11target_archE910ELNS1_3gpuE8ELNS1_3repE0EEENS1_30default_config_static_selectorELNS0_4arch9wavefront6targetE1EEEvT1_
	.p2align	8
	.type	_ZN7rocprim17ROCPRIM_400000_NS6detail17trampoline_kernelINS0_14default_configENS1_20scan_config_selectorIdEEZZNS1_9scan_implILNS1_25lookback_scan_determinismE0ELb0ELb0ES3_N6thrust23THRUST_200600_302600_NS6detail15normal_iteratorINS9_10device_ptrIdEEEESE_d11max_functorIdEdEEDaPvRmT3_T4_T5_mT6_P12ihipStream_tbENKUlT_T0_E_clISt17integral_constantIbLb1EESU_EEDaSP_SQ_EUlSP_E_NS1_11comp_targetILNS1_3genE4ELNS1_11target_archE910ELNS1_3gpuE8ELNS1_3repE0EEENS1_30default_config_static_selectorELNS0_4arch9wavefront6targetE1EEEvT1_,@function
_ZN7rocprim17ROCPRIM_400000_NS6detail17trampoline_kernelINS0_14default_configENS1_20scan_config_selectorIdEEZZNS1_9scan_implILNS1_25lookback_scan_determinismE0ELb0ELb0ES3_N6thrust23THRUST_200600_302600_NS6detail15normal_iteratorINS9_10device_ptrIdEEEESE_d11max_functorIdEdEEDaPvRmT3_T4_T5_mT6_P12ihipStream_tbENKUlT_T0_E_clISt17integral_constantIbLb1EESU_EEDaSP_SQ_EUlSP_E_NS1_11comp_targetILNS1_3genE4ELNS1_11target_archE910ELNS1_3gpuE8ELNS1_3repE0EEENS1_30default_config_static_selectorELNS0_4arch9wavefront6targetE1EEEvT1_: ; @_ZN7rocprim17ROCPRIM_400000_NS6detail17trampoline_kernelINS0_14default_configENS1_20scan_config_selectorIdEEZZNS1_9scan_implILNS1_25lookback_scan_determinismE0ELb0ELb0ES3_N6thrust23THRUST_200600_302600_NS6detail15normal_iteratorINS9_10device_ptrIdEEEESE_d11max_functorIdEdEEDaPvRmT3_T4_T5_mT6_P12ihipStream_tbENKUlT_T0_E_clISt17integral_constantIbLb1EESU_EEDaSP_SQ_EUlSP_E_NS1_11comp_targetILNS1_3genE4ELNS1_11target_archE910ELNS1_3gpuE8ELNS1_3repE0EEENS1_30default_config_static_selectorELNS0_4arch9wavefront6targetE1EEEvT1_
; %bb.0:
	s_load_dwordx2 s[24:25], s[4:5], 0x30
	v_cmp_ne_u32_e64 s[0:1], 0, v0
	v_cmp_eq_u32_e64 s[2:3], 0, v0
	s_and_saveexec_b64 s[6:7], s[2:3]
	s_cbranch_execz .LBB1817_4
; %bb.1:
	s_mov_b64 s[10:11], exec
	v_mbcnt_lo_u32_b32 v1, s10, 0
	v_mbcnt_hi_u32_b32 v1, s11, v1
	v_cmp_eq_u32_e32 vcc, 0, v1
                                        ; implicit-def: $vgpr2
	s_and_saveexec_b64 s[8:9], vcc
	s_cbranch_execz .LBB1817_3
; %bb.2:
	s_load_dwordx2 s[12:13], s[4:5], 0x60
	s_bcnt1_i32_b64 s10, s[10:11]
	v_mov_b32_e32 v2, 0
	v_mov_b32_e32 v3, s10
	s_waitcnt lgkmcnt(0)
	global_atomic_add v2, v2, v3, s[12:13] glc
.LBB1817_3:
	s_or_b64 exec, exec, s[8:9]
	s_waitcnt vmcnt(0)
	v_readfirstlane_b32 s8, v2
	v_add_u32_e32 v1, s8, v1
	v_mov_b32_e32 v2, 0
	ds_write_b32 v2, v1
.LBB1817_4:
	s_or_b64 exec, exec, s[6:7]
	s_load_dwordx8 s[16:23], s[4:5], 0x0
	s_load_dword s6, s[4:5], 0x38
	s_load_dwordx8 s[8:15], s[4:5], 0x40
	v_mov_b32_e32 v1, 0
	s_waitcnt lgkmcnt(0)
	s_barrier
	ds_read_b32 v1, v1
	s_lshl_b64 s[18:19], s[18:19], 3
	s_add_u32 s7, s16, s18
	s_addc_u32 s26, s17, s19
	s_add_i32 s6, s6, -1
	s_mul_i32 s16, s6, 0x500
	s_sub_u32 s30, s22, s16
	s_waitcnt lgkmcnt(0)
	v_readfirstlane_b32 s33, v1
	s_subb_u32 s31, s23, 0
	s_mul_i32 s4, s33, 0x500
	s_mov_b32 s5, 0
	s_cmp_lg_u32 s33, s6
	s_cselect_b64 s[16:17], -1, 0
	s_lshl_b64 s[22:23], s[4:5], 3
	s_add_u32 s6, s7, s22
	s_addc_u32 s7, s26, s23
	s_mov_b64 s[4:5], -1
	s_and_b64 vcc, exec, s[16:17]
	v_lshlrev_b32_e32 v42, 3, v0
	s_barrier
	s_cbranch_vccz .LBB1817_6
; %bb.5:
	v_mov_b32_e32 v1, s7
	v_add_co_u32_e32 v2, vcc, s6, v42
	v_addc_co_u32_e32 v3, vcc, 0, v1, vcc
	v_add_co_u32_e32 v12, vcc, 0x1000, v2
	v_addc_co_u32_e32 v13, vcc, 0, v3, vcc
	flat_load_dwordx2 v[4:5], v[2:3]
	flat_load_dwordx2 v[6:7], v[2:3] offset:1024
	flat_load_dwordx2 v[8:9], v[2:3] offset:2048
	flat_load_dwordx2 v[10:11], v[2:3] offset:3072
	v_add_co_u32_e32 v2, vcc, 0x2000, v2
	v_addc_co_u32_e32 v3, vcc, 0, v3, vcc
	flat_load_dwordx2 v[14:15], v[12:13]
	flat_load_dwordx2 v[16:17], v[12:13] offset:1024
	flat_load_dwordx2 v[18:19], v[12:13] offset:2048
	;; [unrolled: 1-line block ×3, first 2 shown]
	s_nop 0
	flat_load_dwordx2 v[12:13], v[2:3]
	flat_load_dwordx2 v[22:23], v[2:3] offset:1024
	s_mov_b64 s[4:5], 0
	s_waitcnt vmcnt(0) lgkmcnt(0)
	ds_write2st64_b64 v42, v[4:5], v[6:7] offset1:2
	ds_write2st64_b64 v42, v[8:9], v[10:11] offset0:4 offset1:6
	ds_write2st64_b64 v42, v[14:15], v[16:17] offset0:8 offset1:10
	;; [unrolled: 1-line block ×4, first 2 shown]
	s_waitcnt lgkmcnt(0)
	s_barrier
.LBB1817_6:
	s_andn2_b64 vcc, exec, s[4:5]
	v_cmp_gt_u32_e64 s[4:5], s30, v0
	s_cbranch_vccnz .LBB1817_28
; %bb.7:
	v_pk_mov_b32 v[2:3], s[6:7], s[6:7] op_sel:[0,1]
	flat_load_dwordx2 v[2:3], v[2:3]
	s_waitcnt vmcnt(0) lgkmcnt(0)
	v_mov_b32_e32 v4, v2
	v_mov_b32_e32 v5, v3
	;; [unrolled: 1-line block ×16, first 2 shown]
	v_pk_mov_b32 v[34:35], v[30:31], v[30:31] op_sel:[0,1]
	v_pk_mov_b32 v[32:33], v[28:29], v[28:29] op_sel:[0,1]
	;; [unrolled: 1-line block ×16, first 2 shown]
	s_and_saveexec_b64 s[26:27], s[4:5]
	s_cbranch_execz .LBB1817_9
; %bb.8:
	v_mov_b32_e32 v1, s7
	v_add_co_u32_e32 v4, vcc, s6, v42
	v_addc_co_u32_e32 v5, vcc, 0, v1, vcc
	flat_load_dwordx2 v[36:37], v[4:5]
	v_mov_b32_e32 v4, v2
	v_mov_b32_e32 v5, v3
	;; [unrolled: 1-line block ×16, first 2 shown]
	v_pk_mov_b32 v[34:35], v[30:31], v[30:31] op_sel:[0,1]
	v_pk_mov_b32 v[32:33], v[28:29], v[28:29] op_sel:[0,1]
	;; [unrolled: 1-line block ×16, first 2 shown]
	s_waitcnt vmcnt(0) lgkmcnt(0)
	v_pk_mov_b32 v[2:3], v[36:37], v[36:37] op_sel:[0,1]
.LBB1817_9:
	s_or_b64 exec, exec, s[26:27]
	v_or_b32_e32 v1, 0x80, v0
	v_cmp_gt_u32_e32 vcc, s30, v1
	s_and_saveexec_b64 s[4:5], vcc
	s_cbranch_execz .LBB1817_11
; %bb.10:
	v_mov_b32_e32 v1, s7
	v_add_co_u32_e32 v4, vcc, s6, v42
	v_addc_co_u32_e32 v5, vcc, 0, v1, vcc
	flat_load_dwordx2 v[6:7], v[4:5] offset:1024
.LBB1817_11:
	s_or_b64 exec, exec, s[4:5]
	v_or_b32_e32 v1, 0x100, v0
	v_cmp_gt_u32_e32 vcc, s30, v1
	s_and_saveexec_b64 s[4:5], vcc
	s_cbranch_execz .LBB1817_13
; %bb.12:
	v_mov_b32_e32 v1, s7
	v_add_co_u32_e32 v4, vcc, s6, v42
	v_addc_co_u32_e32 v5, vcc, 0, v1, vcc
	flat_load_dwordx2 v[8:9], v[4:5] offset:2048
.LBB1817_13:
	;; [unrolled: 11-line block ×3, first 2 shown]
	s_or_b64 exec, exec, s[4:5]
	v_or_b32_e32 v1, 0x200, v0
	v_cmp_gt_u32_e32 vcc, s30, v1
	s_and_saveexec_b64 s[4:5], vcc
	s_cbranch_execz .LBB1817_17
; %bb.16:
	v_lshlrev_b32_e32 v1, 3, v1
	v_mov_b32_e32 v5, s7
	v_add_co_u32_e32 v4, vcc, s6, v1
	v_addc_co_u32_e32 v5, vcc, 0, v5, vcc
	flat_load_dwordx2 v[12:13], v[4:5]
.LBB1817_17:
	s_or_b64 exec, exec, s[4:5]
	v_or_b32_e32 v1, 0x280, v0
	v_cmp_gt_u32_e32 vcc, s30, v1
	s_and_saveexec_b64 s[4:5], vcc
	s_cbranch_execz .LBB1817_19
; %bb.18:
	v_lshlrev_b32_e32 v1, 3, v1
	v_mov_b32_e32 v5, s7
	v_add_co_u32_e32 v4, vcc, s6, v1
	v_addc_co_u32_e32 v5, vcc, 0, v5, vcc
	flat_load_dwordx2 v[14:15], v[4:5]
.LBB1817_19:
	;; [unrolled: 12-line block ×6, first 2 shown]
	s_or_b64 exec, exec, s[4:5]
	s_waitcnt vmcnt(0) lgkmcnt(0)
	ds_write2st64_b64 v42, v[2:3], v[6:7] offset1:2
	ds_write2st64_b64 v42, v[8:9], v[10:11] offset0:4 offset1:6
	ds_write2st64_b64 v42, v[12:13], v[14:15] offset0:8 offset1:10
	;; [unrolled: 1-line block ×4, first 2 shown]
	s_waitcnt lgkmcnt(0)
	s_barrier
.LBB1817_28:
	v_mul_u32_u24_e32 v43, 10, v0
	v_lshlrev_b32_e32 v44, 3, v43
	ds_read_b128 v[2:5], v44
	ds_read_b128 v[14:17], v44 offset:16
	ds_read_b128 v[10:13], v44 offset:32
	;; [unrolled: 1-line block ×4, first 2 shown]
	s_cmp_lg_u32 s33, 0
	v_mbcnt_lo_u32_b32 v1, -1, 0
	s_waitcnt lgkmcnt(0)
	s_barrier
	s_cbranch_scc0 .LBB1817_89
; %bb.29:
	v_cmp_lt_f64_e32 vcc, v[2:3], v[4:5]
	v_cndmask_b32_e32 v23, v3, v5, vcc
	v_cndmask_b32_e32 v22, v2, v4, vcc
	v_cmp_lt_f64_e32 vcc, v[22:23], v[14:15]
	v_cndmask_b32_e32 v23, v23, v15, vcc
	v_cndmask_b32_e32 v22, v22, v14, vcc
	v_cmp_lt_f64_e32 vcc, v[22:23], v[16:17]
	v_cndmask_b32_e32 v23, v23, v17, vcc
	v_cndmask_b32_e32 v22, v22, v16, vcc
	v_cmp_lt_f64_e32 vcc, v[22:23], v[10:11]
	v_cndmask_b32_e32 v23, v23, v11, vcc
	v_cndmask_b32_e32 v22, v22, v10, vcc
	v_cmp_lt_f64_e32 vcc, v[22:23], v[12:13]
	v_cndmask_b32_e32 v23, v23, v13, vcc
	v_cndmask_b32_e32 v22, v22, v12, vcc
	v_cmp_lt_f64_e32 vcc, v[22:23], v[6:7]
	v_cndmask_b32_e32 v23, v23, v7, vcc
	v_cndmask_b32_e32 v22, v22, v6, vcc
	v_cmp_lt_f64_e32 vcc, v[22:23], v[8:9]
	v_cndmask_b32_e32 v23, v23, v9, vcc
	v_cndmask_b32_e32 v22, v22, v8, vcc
	v_cmp_lt_f64_e32 vcc, v[22:23], v[18:19]
	v_cndmask_b32_e32 v23, v23, v19, vcc
	v_cndmask_b32_e32 v22, v22, v18, vcc
	v_cmp_lt_f64_e32 vcc, v[22:23], v[20:21]
	v_mbcnt_hi_u32_b32 v33, -1, v1
	v_cndmask_b32_e32 v23, v23, v21, vcc
	v_cndmask_b32_e32 v22, v22, v20, vcc
	v_and_b32_e32 v26, 15, v33
	v_mov_b32_dpp v25, v23 row_shr:1 row_mask:0xf bank_mask:0xf
	v_mov_b32_dpp v24, v22 row_shr:1 row_mask:0xf bank_mask:0xf
	v_cmp_ne_u32_e32 vcc, 0, v26
	s_and_saveexec_b64 s[4:5], vcc
; %bb.30:
	v_cmp_gt_f64_e32 vcc, v[22:23], v[24:25]
	v_cndmask_b32_e32 v23, v25, v23, vcc
	v_cndmask_b32_e32 v22, v24, v22, vcc
; %bb.31:
	s_or_b64 exec, exec, s[4:5]
	s_nop 0
	v_mov_b32_dpp v24, v22 row_shr:2 row_mask:0xf bank_mask:0xf
	v_mov_b32_dpp v25, v23 row_shr:2 row_mask:0xf bank_mask:0xf
	v_cmp_lt_u32_e32 vcc, 1, v26
	s_and_saveexec_b64 s[4:5], vcc
; %bb.32:
	v_cmp_gt_f64_e32 vcc, v[22:23], v[24:25]
	v_cndmask_b32_e32 v23, v25, v23, vcc
	v_cndmask_b32_e32 v22, v24, v22, vcc
; %bb.33:
	s_or_b64 exec, exec, s[4:5]
	s_nop 0
	v_mov_b32_dpp v24, v22 row_shr:4 row_mask:0xf bank_mask:0xf
	v_mov_b32_dpp v25, v23 row_shr:4 row_mask:0xf bank_mask:0xf
	v_cmp_lt_u32_e32 vcc, 3, v26
	;; [unrolled: 11-line block ×3, first 2 shown]
	s_and_saveexec_b64 s[4:5], vcc
; %bb.36:
	v_cmp_gt_f64_e32 vcc, v[22:23], v[24:25]
	v_cndmask_b32_e32 v23, v25, v23, vcc
	v_cndmask_b32_e32 v22, v24, v22, vcc
; %bb.37:
	s_or_b64 exec, exec, s[4:5]
	v_and_b32_e32 v26, 16, v33
	v_mov_b32_dpp v24, v22 row_bcast:15 row_mask:0xf bank_mask:0xf
	v_mov_b32_dpp v25, v23 row_bcast:15 row_mask:0xf bank_mask:0xf
	v_cmp_ne_u32_e32 vcc, 0, v26
	s_and_saveexec_b64 s[4:5], vcc
; %bb.38:
	v_cmp_gt_f64_e32 vcc, v[22:23], v[24:25]
	v_cndmask_b32_e32 v23, v25, v23, vcc
	v_cndmask_b32_e32 v22, v24, v22, vcc
; %bb.39:
	s_or_b64 exec, exec, s[4:5]
	s_nop 0
	v_mov_b32_dpp v24, v22 row_bcast:31 row_mask:0xf bank_mask:0xf
	v_mov_b32_dpp v25, v23 row_bcast:31 row_mask:0xf bank_mask:0xf
	v_cmp_gt_f64_e32 vcc, v[22:23], v[24:25]
	v_cndmask_b32_e32 v24, v24, v22, vcc
	v_cndmask_b32_e32 v25, v25, v23, vcc
	v_cmp_lt_u32_e32 vcc, 31, v33
	v_cndmask_b32_e32 v23, v23, v25, vcc
	v_or_b32_e32 v25, 63, v0
	v_cndmask_b32_e32 v22, v22, v24, vcc
	v_lshrrev_b32_e32 v24, 6, v0
	v_cmp_eq_u32_e32 vcc, v25, v0
	s_and_saveexec_b64 s[4:5], vcc
	s_cbranch_execz .LBB1817_41
; %bb.40:
	v_lshlrev_b32_e32 v25, 3, v24
	ds_write_b64 v25, v[22:23]
.LBB1817_41:
	s_or_b64 exec, exec, s[4:5]
	v_cmp_gt_u32_e32 vcc, 2, v0
	s_waitcnt lgkmcnt(0)
	s_barrier
	s_and_saveexec_b64 s[6:7], vcc
	s_cbranch_execz .LBB1817_43
; %bb.42:
	ds_read_b64 v[26:27], v42
	v_and_b32_e32 v25, 1, v33
	v_cmp_eq_u32_e32 vcc, 0, v25
	s_waitcnt lgkmcnt(0)
	v_mov_b32_dpp v30, v27 row_shr:1 row_mask:0xf bank_mask:0xf
	v_mov_b32_dpp v28, v26 row_shr:1 row_mask:0xf bank_mask:0xf
	v_mov_b32_e32 v29, v30
	v_cmp_gt_f64_e64 s[4:5], v[26:27], v[28:29]
	s_or_b64 vcc, vcc, s[4:5]
	v_cndmask_b32_e32 v27, v30, v27, vcc
	v_cndmask_b32_e32 v26, v28, v26, vcc
	ds_write_b64 v42, v[26:27]
.LBB1817_43:
	s_or_b64 exec, exec, s[6:7]
	v_cmp_gt_u32_e32 vcc, 64, v0
	v_cmp_lt_u32_e64 s[4:5], 63, v0
	s_waitcnt lgkmcnt(0)
	s_barrier
	s_waitcnt lgkmcnt(0)
                                        ; implicit-def: $vgpr30_vgpr31
	s_and_saveexec_b64 s[6:7], s[4:5]
	s_cbranch_execz .LBB1817_45
; %bb.44:
	v_lshl_add_u32 v24, v24, 3, -8
	ds_read_b64 v[30:31], v24
	s_waitcnt lgkmcnt(0)
	v_cmp_lt_f64_e64 s[4:5], v[30:31], v[22:23]
	v_cndmask_b32_e64 v23, v31, v23, s[4:5]
	v_cndmask_b32_e64 v22, v30, v22, s[4:5]
.LBB1817_45:
	s_or_b64 exec, exec, s[6:7]
	v_add_u32_e32 v24, -1, v33
	v_and_b32_e32 v25, 64, v33
	v_cmp_lt_i32_e64 s[4:5], v24, v25
	v_cndmask_b32_e64 v24, v24, v33, s[4:5]
	v_lshlrev_b32_e32 v24, 2, v24
	ds_bpermute_b32 v38, v24, v22
	ds_bpermute_b32 v39, v24, v23
	v_cmp_eq_u32_e64 s[4:5], 0, v33
	s_and_saveexec_b64 s[26:27], vcc
	s_cbranch_execz .LBB1817_88
; %bb.46:
	v_mov_b32_e32 v25, 0
	ds_read_b64 v[22:23], v25 offset:8
	s_and_saveexec_b64 s[6:7], s[4:5]
	s_cbranch_execz .LBB1817_48
; %bb.47:
	s_add_i32 s28, s33, 64
	s_mov_b32 s29, 0
	s_lshl_b64 s[28:29], s[28:29], 4
	s_add_u32 s28, s24, s28
	s_addc_u32 s29, s25, s29
	v_mov_b32_e32 v24, 1
	v_pk_mov_b32 v[26:27], s[28:29], s[28:29] op_sel:[0,1]
	s_waitcnt lgkmcnt(0)
	;;#ASMSTART
	global_store_dwordx4 v[26:27], v[22:25] off	
s_waitcnt vmcnt(0)
	;;#ASMEND
.LBB1817_48:
	s_or_b64 exec, exec, s[6:7]
	v_xad_u32 v32, v33, -1, s33
	v_add_u32_e32 v24, 64, v32
	v_lshlrev_b64 v[26:27], 4, v[24:25]
	v_mov_b32_e32 v24, s25
	v_add_co_u32_e32 v34, vcc, s24, v26
	v_addc_co_u32_e32 v35, vcc, v24, v27, vcc
	;;#ASMSTART
	global_load_dwordx4 v[26:29], v[34:35] off glc	
s_waitcnt vmcnt(0)
	;;#ASMEND
	v_and_b32_e32 v24, 0xff, v27
	v_and_b32_e32 v29, 0xff00, v27
	v_or3_b32 v24, 0, v24, v29
	v_or3_b32 v26, v26, 0, 0
	v_and_b32_e32 v29, 0xff000000, v27
	v_and_b32_e32 v27, 0xff0000, v27
	v_or3_b32 v27, v24, v27, v29
	v_or3_b32 v26, v26, 0, 0
	v_cmp_eq_u16_sdwa s[28:29], v28, v25 src0_sel:BYTE_0 src1_sel:DWORD
	s_and_saveexec_b64 s[6:7], s[28:29]
	s_cbranch_execz .LBB1817_54
; %bb.49:
	s_mov_b32 s34, 1
	s_mov_b64 s[28:29], 0
	v_mov_b32_e32 v24, 0
.LBB1817_50:                            ; =>This Loop Header: Depth=1
                                        ;     Child Loop BB1817_51 Depth 2
	s_max_u32 s35, s34, 1
.LBB1817_51:                            ;   Parent Loop BB1817_50 Depth=1
                                        ; =>  This Inner Loop Header: Depth=2
	s_add_i32 s35, s35, -1
	s_cmp_eq_u32 s35, 0
	s_sleep 1
	s_cbranch_scc0 .LBB1817_51
; %bb.52:                               ;   in Loop: Header=BB1817_50 Depth=1
	s_cmp_lt_u32 s34, 32
	s_cselect_b64 s[36:37], -1, 0
	s_cmp_lg_u64 s[36:37], 0
	s_addc_u32 s34, s34, 0
	;;#ASMSTART
	global_load_dwordx4 v[26:29], v[34:35] off glc	
s_waitcnt vmcnt(0)
	;;#ASMEND
	v_cmp_ne_u16_sdwa s[36:37], v28, v24 src0_sel:BYTE_0 src1_sel:DWORD
	s_or_b64 s[28:29], s[36:37], s[28:29]
	s_andn2_b64 exec, exec, s[28:29]
	s_cbranch_execnz .LBB1817_50
; %bb.53:
	s_or_b64 exec, exec, s[28:29]
.LBB1817_54:
	s_or_b64 exec, exec, s[6:7]
	v_and_b32_e32 v40, 63, v33
	v_mov_b32_e32 v24, 2
	v_cmp_ne_u32_e32 vcc, 63, v40
	v_cmp_eq_u16_sdwa s[6:7], v28, v24 src0_sel:BYTE_0 src1_sel:DWORD
	v_lshlrev_b64 v[24:25], v33, -1
	v_addc_co_u32_e32 v34, vcc, 0, v33, vcc
	v_and_b32_e32 v29, s7, v25
	v_lshlrev_b32_e32 v41, 2, v34
	v_or_b32_e32 v29, 0x80000000, v29
	ds_bpermute_b32 v34, v41, v26
	ds_bpermute_b32 v35, v41, v27
	v_and_b32_e32 v36, s6, v24
	v_ffbl_b32_e32 v29, v29
	v_add_u32_e32 v29, 32, v29
	v_ffbl_b32_e32 v36, v36
	v_min_u32_e32 v29, v36, v29
	v_cmp_lt_u32_e32 vcc, v40, v29
	s_and_saveexec_b64 s[6:7], vcc
	s_cbranch_execz .LBB1817_56
; %bb.55:
	s_waitcnt lgkmcnt(0)
	v_cmp_lt_f64_e32 vcc, v[34:35], v[26:27]
	v_cndmask_b32_e32 v27, v35, v27, vcc
	v_cndmask_b32_e32 v26, v34, v26, vcc
.LBB1817_56:
	s_or_b64 exec, exec, s[6:7]
	v_cmp_gt_u32_e32 vcc, 62, v40
	s_waitcnt lgkmcnt(1)
	v_cndmask_b32_e64 v34, 0, 1, vcc
	v_lshlrev_b32_e32 v34, 1, v34
	v_add_lshl_u32 v45, v34, v33, 2
	ds_bpermute_b32 v34, v45, v26
	s_waitcnt lgkmcnt(1)
	ds_bpermute_b32 v35, v45, v27
	v_add_u32_e32 v46, 2, v40
	v_cmp_le_u32_e32 vcc, v46, v29
	s_and_saveexec_b64 s[6:7], vcc
	s_cbranch_execz .LBB1817_58
; %bb.57:
	s_waitcnt lgkmcnt(0)
	v_cmp_gt_f64_e32 vcc, v[26:27], v[34:35]
	v_cndmask_b32_e32 v27, v35, v27, vcc
	v_cndmask_b32_e32 v26, v34, v26, vcc
.LBB1817_58:
	s_or_b64 exec, exec, s[6:7]
	v_cmp_gt_u32_e32 vcc, 60, v40
	s_waitcnt lgkmcnt(1)
	v_cndmask_b32_e64 v34, 0, 1, vcc
	v_lshlrev_b32_e32 v34, 2, v34
	v_add_lshl_u32 v47, v34, v33, 2
	ds_bpermute_b32 v34, v47, v26
	s_waitcnt lgkmcnt(1)
	ds_bpermute_b32 v35, v47, v27
	v_add_u32_e32 v48, 4, v40
	v_cmp_le_u32_e32 vcc, v48, v29
	s_and_saveexec_b64 s[6:7], vcc
	s_cbranch_execz .LBB1817_60
; %bb.59:
	s_waitcnt lgkmcnt(0)
	v_cmp_gt_f64_e32 vcc, v[26:27], v[34:35]
	v_cndmask_b32_e32 v27, v35, v27, vcc
	v_cndmask_b32_e32 v26, v34, v26, vcc
.LBB1817_60:
	;; [unrolled: 19-line block ×4, first 2 shown]
	s_or_b64 exec, exec, s[6:7]
	v_cmp_gt_u32_e32 vcc, 32, v40
	s_waitcnt lgkmcnt(1)
	v_cndmask_b32_e64 v34, 0, 1, vcc
	v_lshlrev_b32_e32 v34, 5, v34
	v_add_lshl_u32 v53, v34, v33, 2
	ds_bpermute_b32 v34, v53, v27
	ds_bpermute_b32 v36, v53, v26
	v_add_u32_e32 v54, 32, v40
	v_cmp_gt_u32_e32 vcc, v54, v29
	v_mov_b32_e32 v33, 0
	s_waitcnt lgkmcnt(1)
	v_mov_b32_e32 v37, v34
	s_waitcnt lgkmcnt(0)
	v_cmp_gt_f64_e64 s[6:7], v[26:27], v[36:37]
	s_or_b64 vcc, vcc, s[6:7]
	v_cndmask_b32_e32 v27, v34, v27, vcc
	v_cndmask_b32_e32 v26, v36, v26, vcc
	v_mov_b32_e32 v55, 2
	s_branch .LBB1817_66
.LBB1817_65:                            ;   in Loop: Header=BB1817_66 Depth=1
	s_or_b64 exec, exec, s[6:7]
	s_waitcnt lgkmcnt(1)
	ds_bpermute_b32 v36, v53, v27
	ds_bpermute_b32 v56, v53, v26
	v_cmp_gt_u32_e32 vcc, v54, v29
	v_subrev_u32_e32 v32, 64, v32
	s_waitcnt lgkmcnt(1)
	v_mov_b32_e32 v57, v36
	s_waitcnt lgkmcnt(0)
	v_cmp_gt_f64_e64 s[6:7], v[26:27], v[56:57]
	s_or_b64 vcc, vcc, s[6:7]
	v_cndmask_b32_e32 v27, v36, v27, vcc
	v_cndmask_b32_e32 v26, v56, v26, vcc
	v_cmp_lt_f64_e32 vcc, v[26:27], v[34:35]
	v_cndmask_b32_e32 v27, v27, v35, vcc
	v_cndmask_b32_e32 v26, v26, v34, vcc
.LBB1817_66:                            ; =>This Loop Header: Depth=1
                                        ;     Child Loop BB1817_69 Depth 2
                                        ;       Child Loop BB1817_70 Depth 3
	v_cmp_ne_u16_sdwa s[6:7], v28, v55 src0_sel:BYTE_0 src1_sel:DWORD
	v_cndmask_b32_e64 v28, 0, 1, s[6:7]
	;;#ASMSTART
	;;#ASMEND
	v_cmp_ne_u32_e32 vcc, 0, v28
	s_cmp_lg_u64 vcc, exec
	v_pk_mov_b32 v[34:35], v[26:27], v[26:27] op_sel:[0,1]
	s_cbranch_scc1 .LBB1817_83
; %bb.67:                               ;   in Loop: Header=BB1817_66 Depth=1
	v_lshlrev_b64 v[26:27], 4, v[32:33]
	v_mov_b32_e32 v28, s25
	v_add_co_u32_e32 v36, vcc, s24, v26
	v_addc_co_u32_e32 v37, vcc, v28, v27, vcc
	;;#ASMSTART
	global_load_dwordx4 v[26:29], v[36:37] off glc	
s_waitcnt vmcnt(0)
	;;#ASMEND
	v_and_b32_e32 v29, 0xff, v27
	v_and_b32_e32 v56, 0xff00, v27
	v_or3_b32 v29, 0, v29, v56
	v_or3_b32 v26, v26, 0, 0
	v_and_b32_e32 v56, 0xff000000, v27
	v_and_b32_e32 v27, 0xff0000, v27
	v_or3_b32 v27, v29, v27, v56
	v_or3_b32 v26, v26, 0, 0
	v_cmp_eq_u16_sdwa s[28:29], v28, v33 src0_sel:BYTE_0 src1_sel:DWORD
	s_and_saveexec_b64 s[6:7], s[28:29]
	s_cbranch_execz .LBB1817_73
; %bb.68:                               ;   in Loop: Header=BB1817_66 Depth=1
	s_mov_b32 s34, 1
	s_mov_b64 s[28:29], 0
.LBB1817_69:                            ;   Parent Loop BB1817_66 Depth=1
                                        ; =>  This Loop Header: Depth=2
                                        ;       Child Loop BB1817_70 Depth 3
	s_max_u32 s35, s34, 1
.LBB1817_70:                            ;   Parent Loop BB1817_66 Depth=1
                                        ;     Parent Loop BB1817_69 Depth=2
                                        ; =>    This Inner Loop Header: Depth=3
	s_add_i32 s35, s35, -1
	s_cmp_eq_u32 s35, 0
	s_sleep 1
	s_cbranch_scc0 .LBB1817_70
; %bb.71:                               ;   in Loop: Header=BB1817_69 Depth=2
	s_cmp_lt_u32 s34, 32
	s_cselect_b64 s[36:37], -1, 0
	s_cmp_lg_u64 s[36:37], 0
	s_addc_u32 s34, s34, 0
	;;#ASMSTART
	global_load_dwordx4 v[26:29], v[36:37] off glc	
s_waitcnt vmcnt(0)
	;;#ASMEND
	v_cmp_ne_u16_sdwa s[36:37], v28, v33 src0_sel:BYTE_0 src1_sel:DWORD
	s_or_b64 s[28:29], s[36:37], s[28:29]
	s_andn2_b64 exec, exec, s[28:29]
	s_cbranch_execnz .LBB1817_69
; %bb.72:                               ;   in Loop: Header=BB1817_66 Depth=1
	s_or_b64 exec, exec, s[28:29]
.LBB1817_73:                            ;   in Loop: Header=BB1817_66 Depth=1
	s_or_b64 exec, exec, s[6:7]
	v_cmp_eq_u16_sdwa s[6:7], v28, v55 src0_sel:BYTE_0 src1_sel:DWORD
	v_and_b32_e32 v29, s7, v25
	v_or_b32_e32 v29, 0x80000000, v29
	ds_bpermute_b32 v36, v41, v26
	ds_bpermute_b32 v37, v41, v27
	v_and_b32_e32 v56, s6, v24
	v_ffbl_b32_e32 v29, v29
	v_add_u32_e32 v29, 32, v29
	v_ffbl_b32_e32 v56, v56
	v_min_u32_e32 v29, v56, v29
	v_cmp_lt_u32_e32 vcc, v40, v29
	s_and_saveexec_b64 s[6:7], vcc
	s_cbranch_execz .LBB1817_75
; %bb.74:                               ;   in Loop: Header=BB1817_66 Depth=1
	s_waitcnt lgkmcnt(0)
	v_cmp_lt_f64_e32 vcc, v[36:37], v[26:27]
	v_cndmask_b32_e32 v27, v37, v27, vcc
	v_cndmask_b32_e32 v26, v36, v26, vcc
.LBB1817_75:                            ;   in Loop: Header=BB1817_66 Depth=1
	s_or_b64 exec, exec, s[6:7]
	s_waitcnt lgkmcnt(1)
	ds_bpermute_b32 v36, v45, v26
	s_waitcnt lgkmcnt(1)
	ds_bpermute_b32 v37, v45, v27
	v_cmp_le_u32_e32 vcc, v46, v29
	s_and_saveexec_b64 s[6:7], vcc
	s_cbranch_execz .LBB1817_77
; %bb.76:                               ;   in Loop: Header=BB1817_66 Depth=1
	s_waitcnt lgkmcnt(0)
	v_cmp_gt_f64_e32 vcc, v[26:27], v[36:37]
	v_cndmask_b32_e32 v27, v37, v27, vcc
	v_cndmask_b32_e32 v26, v36, v26, vcc
.LBB1817_77:                            ;   in Loop: Header=BB1817_66 Depth=1
	s_or_b64 exec, exec, s[6:7]
	s_waitcnt lgkmcnt(1)
	ds_bpermute_b32 v36, v47, v26
	s_waitcnt lgkmcnt(1)
	ds_bpermute_b32 v37, v47, v27
	v_cmp_le_u32_e32 vcc, v48, v29
	s_and_saveexec_b64 s[6:7], vcc
	s_cbranch_execz .LBB1817_79
; %bb.78:                               ;   in Loop: Header=BB1817_66 Depth=1
	s_waitcnt lgkmcnt(0)
	v_cmp_gt_f64_e32 vcc, v[26:27], v[36:37]
	v_cndmask_b32_e32 v27, v37, v27, vcc
	v_cndmask_b32_e32 v26, v36, v26, vcc
.LBB1817_79:                            ;   in Loop: Header=BB1817_66 Depth=1
	;; [unrolled: 14-line block ×3, first 2 shown]
	s_or_b64 exec, exec, s[6:7]
	s_waitcnt lgkmcnt(1)
	ds_bpermute_b32 v36, v51, v26
	s_waitcnt lgkmcnt(1)
	ds_bpermute_b32 v37, v51, v27
	v_cmp_le_u32_e32 vcc, v52, v29
	s_and_saveexec_b64 s[6:7], vcc
	s_cbranch_execz .LBB1817_65
; %bb.82:                               ;   in Loop: Header=BB1817_66 Depth=1
	s_waitcnt lgkmcnt(0)
	v_cmp_gt_f64_e32 vcc, v[26:27], v[36:37]
	v_cndmask_b32_e32 v27, v37, v27, vcc
	v_cndmask_b32_e32 v26, v36, v26, vcc
	s_branch .LBB1817_65
.LBB1817_83:                            ;   in Loop: Header=BB1817_66 Depth=1
                                        ; implicit-def: $vgpr26_vgpr27
                                        ; implicit-def: $vgpr28
	s_cbranch_execz .LBB1817_66
; %bb.84:
	s_and_saveexec_b64 s[6:7], s[4:5]
	s_cbranch_execz .LBB1817_86
; %bb.85:
	s_add_i32 s28, s33, 64
	s_mov_b32 s29, 0
	s_lshl_b64 s[28:29], s[28:29], 4
	s_add_u32 s28, s24, s28
	v_cmp_lt_f64_e32 vcc, v[34:35], v[22:23]
	s_addc_u32 s29, s25, s29
	v_cndmask_b32_e32 v23, v35, v23, vcc
	v_cndmask_b32_e32 v22, v34, v22, vcc
	v_mov_b32_e32 v24, 2
	v_mov_b32_e32 v25, 0
	v_pk_mov_b32 v[26:27], s[28:29], s[28:29] op_sel:[0,1]
	;;#ASMSTART
	global_store_dwordx4 v[26:27], v[22:25] off	
s_waitcnt vmcnt(0)
	;;#ASMEND
.LBB1817_86:
	s_or_b64 exec, exec, s[6:7]
	s_and_b64 exec, exec, s[2:3]
	s_cbranch_execz .LBB1817_88
; %bb.87:
	v_mov_b32_e32 v22, 0
	ds_write_b64 v22, v[34:35] offset:8
.LBB1817_88:
	s_or_b64 exec, exec, s[26:27]
	v_mov_b32_e32 v24, 0
	s_waitcnt lgkmcnt(0)
	s_barrier
	ds_read_b64 v[24:25], v24 offset:8
	v_cndmask_b32_e64 v23, v39, v31, s[4:5]
	v_cndmask_b32_e64 v22, v38, v30, s[4:5]
	v_cmp_lt_f64_e32 vcc, v[22:23], v[2:3]
	s_or_b64 vcc, s[2:3], vcc
	v_cndmask_b32_e32 v23, v23, v3, vcc
	v_cndmask_b32_e32 v22, v22, v2, vcc
	s_waitcnt lgkmcnt(0)
	v_cmp_lt_f64_e32 vcc, v[24:25], v[22:23]
	v_cndmask_b32_e32 v23, v25, v23, vcc
	v_cndmask_b32_e32 v22, v24, v22, vcc
	v_cmp_lt_f64_e32 vcc, v[22:23], v[4:5]
	v_cndmask_b32_e32 v25, v23, v5, vcc
	v_cndmask_b32_e32 v24, v22, v4, vcc
	;; [unrolled: 3-line block ×10, first 2 shown]
	s_branch .LBB1817_113
.LBB1817_89:
                                        ; implicit-def: $vgpr40_vgpr41
                                        ; implicit-def: $vgpr36_vgpr37
                                        ; implicit-def: $vgpr32_vgpr33
                                        ; implicit-def: $vgpr28_vgpr29
                                        ; implicit-def: $vgpr24_vgpr25
	s_cbranch_execz .LBB1817_113
; %bb.90:
	s_cmp_lg_u64 s[12:13], 0
	s_cselect_b64 s[4:5], -1, 0
	s_and_b64 s[4:5], s[2:3], s[4:5]
	s_and_saveexec_b64 s[2:3], s[4:5]
	s_cbranch_execz .LBB1817_92
; %bb.91:
	v_mov_b32_e32 v22, 0
	global_load_dwordx2 v[22:23], v22, s[8:9]
	s_waitcnt vmcnt(0)
	v_cmp_lt_f64_e32 vcc, v[22:23], v[2:3]
	v_cndmask_b32_e32 v3, v23, v3, vcc
	v_cndmask_b32_e32 v2, v22, v2, vcc
.LBB1817_92:
	s_or_b64 exec, exec, s[2:3]
	v_cmp_lt_f64_e32 vcc, v[2:3], v[4:5]
	v_cndmask_b32_e32 v23, v3, v5, vcc
	v_cndmask_b32_e32 v22, v2, v4, vcc
	v_cmp_lt_f64_e32 vcc, v[22:23], v[14:15]
	v_cndmask_b32_e32 v23, v23, v15, vcc
	v_cndmask_b32_e32 v22, v22, v14, vcc
	;; [unrolled: 3-line block ×8, first 2 shown]
	v_cmp_lt_f64_e32 vcc, v[22:23], v[20:21]
	v_mbcnt_hi_u32_b32 v1, -1, v1
	v_cndmask_b32_e32 v23, v23, v21, vcc
	v_cndmask_b32_e32 v22, v22, v20, vcc
	v_and_b32_e32 v26, 15, v1
	v_mov_b32_dpp v25, v23 row_shr:1 row_mask:0xf bank_mask:0xf
	v_mov_b32_dpp v24, v22 row_shr:1 row_mask:0xf bank_mask:0xf
	v_cmp_ne_u32_e32 vcc, 0, v26
	s_and_saveexec_b64 s[2:3], vcc
; %bb.93:
	v_cmp_gt_f64_e32 vcc, v[22:23], v[24:25]
	v_cndmask_b32_e32 v23, v25, v23, vcc
	v_cndmask_b32_e32 v22, v24, v22, vcc
; %bb.94:
	s_or_b64 exec, exec, s[2:3]
	s_nop 0
	v_mov_b32_dpp v24, v22 row_shr:2 row_mask:0xf bank_mask:0xf
	v_mov_b32_dpp v25, v23 row_shr:2 row_mask:0xf bank_mask:0xf
	v_cmp_lt_u32_e32 vcc, 1, v26
	s_and_saveexec_b64 s[2:3], vcc
; %bb.95:
	v_cmp_gt_f64_e32 vcc, v[22:23], v[24:25]
	v_cndmask_b32_e32 v23, v25, v23, vcc
	v_cndmask_b32_e32 v22, v24, v22, vcc
; %bb.96:
	s_or_b64 exec, exec, s[2:3]
	s_nop 0
	v_mov_b32_dpp v24, v22 row_shr:4 row_mask:0xf bank_mask:0xf
	v_mov_b32_dpp v25, v23 row_shr:4 row_mask:0xf bank_mask:0xf
	v_cmp_lt_u32_e32 vcc, 3, v26
	;; [unrolled: 11-line block ×3, first 2 shown]
	s_and_saveexec_b64 s[2:3], vcc
; %bb.99:
	v_cmp_gt_f64_e32 vcc, v[22:23], v[24:25]
	v_cndmask_b32_e32 v23, v25, v23, vcc
	v_cndmask_b32_e32 v22, v24, v22, vcc
; %bb.100:
	s_or_b64 exec, exec, s[2:3]
	v_and_b32_e32 v26, 16, v1
	v_mov_b32_dpp v24, v22 row_bcast:15 row_mask:0xf bank_mask:0xf
	v_mov_b32_dpp v25, v23 row_bcast:15 row_mask:0xf bank_mask:0xf
	v_cmp_ne_u32_e32 vcc, 0, v26
	s_and_saveexec_b64 s[2:3], vcc
; %bb.101:
	v_cmp_gt_f64_e32 vcc, v[22:23], v[24:25]
	v_cndmask_b32_e32 v23, v25, v23, vcc
	v_cndmask_b32_e32 v22, v24, v22, vcc
; %bb.102:
	s_or_b64 exec, exec, s[2:3]
	s_nop 0
	v_mov_b32_dpp v24, v22 row_bcast:31 row_mask:0xf bank_mask:0xf
	v_mov_b32_dpp v25, v23 row_bcast:31 row_mask:0xf bank_mask:0xf
	v_cmp_gt_f64_e32 vcc, v[22:23], v[24:25]
	v_cndmask_b32_e32 v24, v24, v22, vcc
	v_cndmask_b32_e32 v25, v25, v23, vcc
	v_cmp_lt_u32_e32 vcc, 31, v1
	v_cndmask_b32_e32 v22, v22, v24, vcc
	v_or_b32_e32 v24, 63, v0
	v_cndmask_b32_e32 v23, v23, v25, vcc
	v_lshrrev_b32_e32 v26, 6, v0
	v_cmp_eq_u32_e32 vcc, v24, v0
	s_and_saveexec_b64 s[2:3], vcc
	s_cbranch_execz .LBB1817_104
; %bb.103:
	v_lshlrev_b32_e32 v24, 3, v26
	ds_write_b64 v24, v[22:23]
.LBB1817_104:
	s_or_b64 exec, exec, s[2:3]
	v_cmp_gt_u32_e32 vcc, 2, v0
	s_waitcnt lgkmcnt(0)
	s_barrier
	s_and_saveexec_b64 s[4:5], vcc
	s_cbranch_execz .LBB1817_106
; %bb.105:
	s_movk_i32 s2, 0xffb8
	v_mad_i32_i24 v27, v0, s2, v44
	ds_read_b64 v[24:25], v27
	v_and_b32_e32 v28, 1, v1
	v_cmp_eq_u32_e32 vcc, 0, v28
	s_waitcnt lgkmcnt(0)
	v_mov_b32_dpp v30, v25 row_shr:1 row_mask:0xf bank_mask:0xf
	v_mov_b32_dpp v28, v24 row_shr:1 row_mask:0xf bank_mask:0xf
	v_mov_b32_e32 v29, v30
	v_cmp_gt_f64_e64 s[2:3], v[24:25], v[28:29]
	s_or_b64 vcc, vcc, s[2:3]
	v_cndmask_b32_e32 v25, v30, v25, vcc
	v_cndmask_b32_e32 v24, v28, v24, vcc
	ds_write_b64 v27, v[24:25]
.LBB1817_106:
	s_or_b64 exec, exec, s[4:5]
	v_cmp_lt_u32_e32 vcc, 63, v0
	s_waitcnt lgkmcnt(0)
	s_barrier
	s_waitcnt lgkmcnt(0)
                                        ; implicit-def: $vgpr24_vgpr25
	s_and_saveexec_b64 s[2:3], vcc
	s_cbranch_execz .LBB1817_108
; %bb.107:
	v_lshl_add_u32 v24, v26, 3, -8
	ds_read_b64 v[24:25], v24
	s_waitcnt lgkmcnt(0)
	v_cmp_lt_f64_e32 vcc, v[24:25], v[22:23]
	v_cndmask_b32_e32 v23, v25, v23, vcc
	v_cndmask_b32_e32 v22, v24, v22, vcc
.LBB1817_108:
	s_or_b64 exec, exec, s[2:3]
	v_add_u32_e32 v26, -1, v1
	v_and_b32_e32 v27, 64, v1
	v_cmp_lt_i32_e32 vcc, v26, v27
	v_cndmask_b32_e32 v26, v26, v1, vcc
	v_lshlrev_b32_e32 v26, 2, v26
	ds_bpermute_b32 v22, v26, v22
	ds_bpermute_b32 v23, v26, v23
	s_and_saveexec_b64 s[2:3], s[0:1]
	s_cbranch_execz .LBB1817_110
; %bb.109:
	v_cmp_eq_u32_e32 vcc, 0, v1
	s_waitcnt lgkmcnt(0)
	v_cndmask_b32_e32 v23, v23, v25, vcc
	v_cndmask_b32_e32 v22, v22, v24, vcc
	v_cmp_gt_f64_e32 vcc, v[2:3], v[22:23]
	v_cndmask_b32_e32 v3, v23, v3, vcc
	v_cndmask_b32_e32 v2, v22, v2, vcc
	;;#ASMSTART
	;;#ASMEND
.LBB1817_110:
	s_or_b64 exec, exec, s[2:3]
	v_cmp_gt_f64_e32 vcc, v[4:5], v[2:3]
	v_cndmask_b32_e32 v25, v3, v5, vcc
	v_cndmask_b32_e32 v24, v2, v4, vcc
	v_cmp_lt_f64_e32 vcc, v[24:25], v[14:15]
	v_cndmask_b32_e32 v27, v25, v15, vcc
	v_cndmask_b32_e32 v26, v24, v14, vcc
	v_cmp_lt_f64_e32 vcc, v[26:27], v[16:17]
	;; [unrolled: 3-line block ×8, first 2 shown]
	s_movk_i32 s0, 0x7f
	v_cndmask_b32_e32 v41, v39, v21, vcc
	v_cndmask_b32_e32 v40, v38, v20, vcc
	v_cmp_eq_u32_e32 vcc, s0, v0
	s_and_saveexec_b64 s[0:1], vcc
	s_cbranch_execz .LBB1817_112
; %bb.111:
	s_add_u32 s2, s24, 0x400
	s_addc_u32 s3, s25, 0
	v_mov_b32_e32 v6, 2
	v_mov_b32_e32 v7, 0
	;; [unrolled: 1-line block ×4, first 2 shown]
	v_pk_mov_b32 v[8:9], s[2:3], s[2:3] op_sel:[0,1]
	;;#ASMSTART
	global_store_dwordx4 v[8:9], v[4:7] off	
s_waitcnt vmcnt(0)
	;;#ASMEND
.LBB1817_112:
	s_or_b64 exec, exec, s[0:1]
	s_waitcnt lgkmcnt(0)
	v_pk_mov_b32 v[22:23], v[2:3], v[2:3] op_sel:[0,1]
.LBB1817_113:
	s_add_u32 s0, s20, s18
	s_addc_u32 s1, s21, s19
	s_add_u32 s2, s0, s22
	s_addc_u32 s3, s1, s23
	s_mov_b64 s[0:1], -1
	s_and_b64 vcc, exec, s[16:17]
	s_barrier
	s_cbranch_vccz .LBB1817_115
; %bb.114:
	ds_write_b128 v44, v[22:25]
	ds_write_b128 v44, v[26:29] offset:16
	ds_write_b128 v44, v[30:33] offset:32
	;; [unrolled: 1-line block ×4, first 2 shown]
	s_waitcnt lgkmcnt(0)
	s_barrier
	ds_read2st64_b64 v[2:5], v42 offset1:2
	ds_read2st64_b64 v[6:9], v42 offset0:4 offset1:6
	ds_read2st64_b64 v[10:13], v42 offset0:8 offset1:10
	;; [unrolled: 1-line block ×4, first 2 shown]
	v_mov_b32_e32 v1, s3
	v_add_co_u32_e32 v46, vcc, s2, v42
	v_addc_co_u32_e32 v47, vcc, 0, v1, vcc
	s_movk_i32 s0, 0x1000
	s_waitcnt lgkmcnt(4)
	flat_store_dwordx2 v[46:47], v[2:3]
	flat_store_dwordx2 v[46:47], v[4:5] offset:1024
	s_waitcnt lgkmcnt(0)
	flat_store_dwordx2 v[46:47], v[6:7] offset:2048
	flat_store_dwordx2 v[46:47], v[8:9] offset:3072
	v_add_co_u32_e32 v2, vcc, s0, v46
	v_addc_co_u32_e32 v3, vcc, 0, v47, vcc
	flat_store_dwordx2 v[2:3], v[10:11]
	flat_store_dwordx2 v[2:3], v[12:13] offset:1024
	flat_store_dwordx2 v[2:3], v[14:15] offset:2048
	;; [unrolled: 1-line block ×3, first 2 shown]
	v_add_co_u32_e32 v2, vcc, 0x2000, v46
	v_addc_co_u32_e32 v3, vcc, 0, v47, vcc
	flat_store_dwordx2 v[2:3], v[18:19]
	flat_store_dwordx2 v[2:3], v[20:21] offset:1024
	s_mov_b64 s[0:1], 0
.LBB1817_115:
	s_andn2_b64 vcc, exec, s[0:1]
	s_cbranch_vccnz .LBB1817_171
; %bb.116:
	s_movk_i32 s0, 0xffb8
	v_mad_i32_i24 v18, v0, s0, v44
	ds_write_b128 v44, v[22:25]
	ds_write_b128 v44, v[26:29] offset:16
	ds_write_b128 v44, v[30:33] offset:32
	;; [unrolled: 1-line block ×4, first 2 shown]
	s_waitcnt lgkmcnt(0)
	s_barrier
	ds_read2st64_b64 v[2:5], v18 offset1:2
	ds_read2st64_b64 v[10:13], v18 offset0:4 offset1:6
	ds_read2st64_b64 v[6:9], v18 offset0:8 offset1:10
	;; [unrolled: 1-line block ×4, first 2 shown]
	v_mov_b32_e32 v23, s3
	v_add_co_u32_e32 v22, vcc, s2, v42
	v_addc_co_u32_e32 v23, vcc, 0, v23, vcc
	v_mov_b32_e32 v1, 0
	v_cmp_gt_u32_e32 vcc, s30, v0
	s_and_saveexec_b64 s[0:1], vcc
	s_cbranch_execz .LBB1817_118
; %bb.117:
	s_waitcnt lgkmcnt(0)
	flat_store_dwordx2 v[22:23], v[2:3]
.LBB1817_118:
	s_or_b64 exec, exec, s[0:1]
	v_or_b32_e32 v24, 0x80, v0
	v_cmp_gt_u32_e32 vcc, s30, v24
	s_and_saveexec_b64 s[0:1], vcc
	s_cbranch_execz .LBB1817_120
; %bb.119:
	s_waitcnt lgkmcnt(0)
	flat_store_dwordx2 v[22:23], v[4:5] offset:1024
.LBB1817_120:
	s_or_b64 exec, exec, s[0:1]
	v_or_b32_e32 v24, 0x100, v0
	v_cmp_gt_u32_e32 vcc, s30, v24
	s_and_saveexec_b64 s[0:1], vcc
	s_cbranch_execz .LBB1817_122
; %bb.121:
	s_waitcnt lgkmcnt(0)
	flat_store_dwordx2 v[22:23], v[10:11] offset:2048
.LBB1817_122:
	;; [unrolled: 9-line block ×3, first 2 shown]
	s_or_b64 exec, exec, s[0:1]
	v_or_b32_e32 v24, 0x200, v0
	v_cmp_gt_u32_e32 vcc, s30, v24
	s_and_saveexec_b64 s[0:1], vcc
	s_cbranch_execz .LBB1817_126
; %bb.125:
	v_add_co_u32_e32 v24, vcc, 0x1000, v22
	v_addc_co_u32_e32 v25, vcc, 0, v23, vcc
	s_waitcnt lgkmcnt(0)
	flat_store_dwordx2 v[24:25], v[6:7]
.LBB1817_126:
	s_or_b64 exec, exec, s[0:1]
	v_or_b32_e32 v24, 0x280, v0
	v_cmp_gt_u32_e32 vcc, s30, v24
	s_and_saveexec_b64 s[0:1], vcc
	s_cbranch_execz .LBB1817_128
; %bb.127:
	v_add_co_u32_e32 v24, vcc, 0x1000, v22
	v_addc_co_u32_e32 v25, vcc, 0, v23, vcc
	s_waitcnt lgkmcnt(0)
	flat_store_dwordx2 v[24:25], v[8:9] offset:1024
.LBB1817_128:
	s_or_b64 exec, exec, s[0:1]
	v_or_b32_e32 v24, 0x300, v0
	v_cmp_gt_u32_e32 vcc, s30, v24
	s_and_saveexec_b64 s[0:1], vcc
	s_cbranch_execz .LBB1817_130
; %bb.129:
	v_add_co_u32_e32 v24, vcc, 0x1000, v22
	v_addc_co_u32_e32 v25, vcc, 0, v23, vcc
	s_waitcnt lgkmcnt(0)
	flat_store_dwordx2 v[24:25], v[14:15] offset:2048
.LBB1817_130:
	;; [unrolled: 11-line block ×3, first 2 shown]
	s_or_b64 exec, exec, s[0:1]
	v_or_b32_e32 v24, 0x400, v0
	v_cmp_gt_u32_e32 vcc, s30, v24
	s_and_saveexec_b64 s[0:1], vcc
	s_cbranch_execz .LBB1817_134
; %bb.133:
	v_add_co_u32_e32 v24, vcc, 0x2000, v22
	v_addc_co_u32_e32 v25, vcc, 0, v23, vcc
	s_waitcnt lgkmcnt(0)
	flat_store_dwordx2 v[24:25], v[18:19]
.LBB1817_134:
	s_or_b64 exec, exec, s[0:1]
	v_or_b32_e32 v24, 0x480, v0
	v_cmp_gt_u32_e32 vcc, s30, v24
	s_and_saveexec_b64 s[0:1], vcc
	s_cbranch_execz .LBB1817_136
; %bb.135:
	v_add_co_u32_e32 v22, vcc, 0x2000, v22
	v_addc_co_u32_e32 v23, vcc, 0, v23, vcc
	s_waitcnt lgkmcnt(0)
	flat_store_dwordx2 v[22:23], v[20:21] offset:1024
.LBB1817_136:
	s_or_b64 exec, exec, s[0:1]
	v_cmp_lt_u64_e64 s[0:1], s[14:15], 2
	s_and_b64 vcc, exec, s[0:1]
	s_cbranch_vccnz .LBB1817_171
; %bb.137:
	s_add_u32 s0, s30, -1
	s_addc_u32 s1, s31, -1
	s_add_u32 s2, 0, 0x99986000
	s_addc_u32 s3, 0, 0x59
	s_add_i32 s3, s3, 0x19999940
	s_mul_hi_u32 s7, s2, -10
	s_sub_i32 s7, s7, s2
	s_mul_i32 s8, s3, -10
	s_mul_i32 s4, s2, -10
	s_add_i32 s7, s7, s8
	s_mul_hi_u32 s5, s3, s4
	s_mul_i32 s6, s3, s4
	s_mul_i32 s9, s2, s7
	s_mul_hi_u32 s4, s2, s4
	s_mul_hi_u32 s8, s2, s7
	s_add_u32 s4, s4, s9
	s_addc_u32 s8, 0, s8
	s_add_u32 s4, s4, s6
	s_mul_hi_u32 s9, s3, s7
	s_addc_u32 s4, s8, s5
	s_addc_u32 s5, s9, 0
	s_mul_i32 s6, s3, s7
	s_add_u32 s4, s4, s6
	v_mov_b32_e32 v22, s4
	s_addc_u32 s5, 0, s5
	v_add_co_u32_e32 v22, vcc, s2, v22
	s_cmp_lg_u64 vcc, 0
	s_addc_u32 s2, s3, s5
	v_readfirstlane_b32 s5, v22
	s_mul_i32 s4, s0, s2
	s_mul_hi_u32 s6, s0, s5
	s_mul_hi_u32 s3, s0, s2
	s_add_u32 s4, s6, s4
	s_addc_u32 s3, 0, s3
	s_mul_hi_u32 s7, s1, s5
	s_mul_i32 s5, s1, s5
	s_add_u32 s4, s4, s5
	s_mul_hi_u32 s6, s1, s2
	s_addc_u32 s3, s3, s7
	s_addc_u32 s4, s6, 0
	s_mul_i32 s2, s1, s2
	s_add_u32 s2, s3, s2
	s_addc_u32 s3, 0, s4
	s_add_u32 s4, s2, 1
	s_addc_u32 s5, s3, 0
	s_add_u32 s6, s2, 2
	s_mul_i32 s8, s3, 10
	s_mul_hi_u32 s9, s2, 10
	s_addc_u32 s7, s3, 0
	s_add_i32 s9, s9, s8
	s_mul_i32 s8, s2, 10
	v_mov_b32_e32 v22, s8
	v_sub_co_u32_e32 v22, vcc, s0, v22
	s_cmp_lg_u64 vcc, 0
	s_subb_u32 s8, s1, s9
	v_subrev_co_u32_e32 v23, vcc, 10, v22
	s_cmp_lg_u64 vcc, 0
	s_subb_u32 s9, s8, 0
	v_readfirstlane_b32 s12, v23
	s_cmp_gt_u32 s12, 9
	s_cselect_b32 s12, -1, 0
	s_cmp_eq_u32 s9, 0
	s_cselect_b32 s9, s12, -1
	s_cmp_lg_u32 s9, 0
	s_cselect_b32 s4, s6, s4
	v_readfirstlane_b32 s6, v22
	s_cselect_b32 s5, s7, s5
	s_cmp_gt_u32 s6, 9
	s_cselect_b32 s6, -1, 0
	s_cmp_eq_u32 s8, 0
	s_cselect_b32 s6, s6, -1
	s_cmp_lg_u32 s6, 0
	s_cselect_b32 s3, s5, s3
	s_cselect_b32 s2, s4, s2
	v_cmp_eq_u64_e32 vcc, s[2:3], v[0:1]
	s_and_saveexec_b64 s[2:3], vcc
	s_cbranch_execz .LBB1817_171
; %bb.138:
	v_mul_hi_u32_u24_e32 v1, 10, v0
	v_mov_b32_e32 v22, s1
	v_sub_co_u32_e32 v0, vcc, s0, v43
	v_subb_co_u32_e32 v1, vcc, v22, v1, vcc
	v_cmp_lt_i64_e32 vcc, 4, v[0:1]
	s_and_saveexec_b64 s[0:1], vcc
	s_xor_b64 s[0:1], exec, s[0:1]
	s_cbranch_execz .LBB1817_156
; %bb.139:
	v_cmp_lt_i64_e32 vcc, 6, v[0:1]
	s_and_saveexec_b64 s[2:3], vcc
	s_xor_b64 s[2:3], exec, s[2:3]
	s_cbranch_execz .LBB1817_149
; %bb.140:
	;; [unrolled: 5-line block ×4, first 2 shown]
	v_mov_b32_e32 v0, 0
	s_waitcnt lgkmcnt(0)
	global_store_dwordx2 v0, v[20:21], s[10:11]
                                        ; implicit-def: $vgpr18_vgpr19_vgpr20_vgpr21
.LBB1817_143:
	s_andn2_saveexec_b64 s[6:7], s[6:7]
	s_cbranch_execz .LBB1817_145
; %bb.144:
	v_mov_b32_e32 v0, 0
	s_waitcnt lgkmcnt(0)
	global_store_dwordx2 v0, v[18:19], s[10:11]
.LBB1817_145:
	s_or_b64 exec, exec, s[6:7]
                                        ; implicit-def: $vgpr14_vgpr15_vgpr16_vgpr17
.LBB1817_146:
	s_andn2_saveexec_b64 s[4:5], s[4:5]
	s_cbranch_execz .LBB1817_148
; %bb.147:
	v_mov_b32_e32 v0, 0
	s_waitcnt lgkmcnt(0)
	global_store_dwordx2 v0, v[16:17], s[10:11]
.LBB1817_148:
	s_or_b64 exec, exec, s[4:5]
                                        ; implicit-def: $vgpr6_vgpr7_vgpr8_vgpr9
                                        ; implicit-def: $vgpr0_vgpr1
                                        ; implicit-def: $vgpr14_vgpr15_vgpr16_vgpr17
.LBB1817_149:
	s_andn2_saveexec_b64 s[2:3], s[2:3]
	s_cbranch_execz .LBB1817_155
; %bb.150:
	v_cmp_lt_i64_e32 vcc, 5, v[0:1]
	s_and_saveexec_b64 s[4:5], vcc
	s_xor_b64 s[4:5], exec, s[4:5]
	s_cbranch_execz .LBB1817_152
; %bb.151:
	v_mov_b32_e32 v0, 0
	s_waitcnt lgkmcnt(0)
	global_store_dwordx2 v0, v[14:15], s[10:11]
                                        ; implicit-def: $vgpr6_vgpr7_vgpr8_vgpr9
.LBB1817_152:
	s_andn2_saveexec_b64 s[4:5], s[4:5]
	s_cbranch_execz .LBB1817_154
; %bb.153:
	v_mov_b32_e32 v0, 0
	s_waitcnt lgkmcnt(0)
	global_store_dwordx2 v0, v[8:9], s[10:11]
.LBB1817_154:
	s_or_b64 exec, exec, s[4:5]
.LBB1817_155:
	s_or_b64 exec, exec, s[2:3]
                                        ; implicit-def: $vgpr0_vgpr1
                                        ; implicit-def: $vgpr10_vgpr11_vgpr12_vgpr13
                                        ; implicit-def: $vgpr2_vgpr3_vgpr4_vgpr5
                                        ; implicit-def: $vgpr6_vgpr7_vgpr8_vgpr9
.LBB1817_156:
	s_andn2_saveexec_b64 s[0:1], s[0:1]
	s_cbranch_execz .LBB1817_171
; %bb.157:
	v_cmp_lt_i64_e32 vcc, 2, v[0:1]
	s_and_saveexec_b64 s[0:1], vcc
	s_xor_b64 s[0:1], exec, s[0:1]
	s_cbranch_execz .LBB1817_163
; %bb.158:
	v_cmp_lt_i64_e32 vcc, 3, v[0:1]
	s_and_saveexec_b64 s[2:3], vcc
	s_xor_b64 s[2:3], exec, s[2:3]
	s_cbranch_execz .LBB1817_160
; %bb.159:
	v_mov_b32_e32 v0, 0
	s_waitcnt lgkmcnt(0)
	global_store_dwordx2 v0, v[6:7], s[10:11]
                                        ; implicit-def: $vgpr10_vgpr11_vgpr12_vgpr13
.LBB1817_160:
	s_andn2_saveexec_b64 s[2:3], s[2:3]
	s_cbranch_execz .LBB1817_162
; %bb.161:
	v_mov_b32_e32 v0, 0
	s_waitcnt lgkmcnt(0)
	global_store_dwordx2 v0, v[12:13], s[10:11]
.LBB1817_162:
	s_or_b64 exec, exec, s[2:3]
                                        ; implicit-def: $vgpr0_vgpr1
                                        ; implicit-def: $vgpr10_vgpr11_vgpr12_vgpr13
                                        ; implicit-def: $vgpr2_vgpr3_vgpr4_vgpr5
.LBB1817_163:
	s_andn2_saveexec_b64 s[0:1], s[0:1]
	s_cbranch_execz .LBB1817_171
; %bb.164:
	v_cmp_lt_i64_e32 vcc, 1, v[0:1]
	s_and_saveexec_b64 s[0:1], vcc
	s_xor_b64 s[0:1], exec, s[0:1]
	s_cbranch_execz .LBB1817_166
; %bb.165:
	v_mov_b32_e32 v0, 0
	s_waitcnt lgkmcnt(0)
	global_store_dwordx2 v0, v[10:11], s[10:11]
                                        ; implicit-def: $vgpr2_vgpr3_vgpr4_vgpr5
                                        ; implicit-def: $vgpr0_vgpr1
.LBB1817_166:
	s_andn2_saveexec_b64 s[0:1], s[0:1]
	s_cbranch_execz .LBB1817_171
; %bb.167:
	v_cmp_ne_u64_e32 vcc, 1, v[0:1]
	s_and_saveexec_b64 s[0:1], vcc
	s_xor_b64 s[0:1], exec, s[0:1]
	s_cbranch_execz .LBB1817_169
; %bb.168:
	v_mov_b32_e32 v0, 0
	s_waitcnt lgkmcnt(0)
	global_store_dwordx2 v0, v[2:3], s[10:11]
                                        ; implicit-def: $vgpr2_vgpr3_vgpr4_vgpr5
.LBB1817_169:
	s_andn2_saveexec_b64 s[0:1], s[0:1]
	s_cbranch_execz .LBB1817_171
; %bb.170:
	v_mov_b32_e32 v0, 0
	s_waitcnt lgkmcnt(0)
	global_store_dwordx2 v0, v[4:5], s[10:11]
.LBB1817_171:
	s_endpgm
	.section	.rodata,"a",@progbits
	.p2align	6, 0x0
	.amdhsa_kernel _ZN7rocprim17ROCPRIM_400000_NS6detail17trampoline_kernelINS0_14default_configENS1_20scan_config_selectorIdEEZZNS1_9scan_implILNS1_25lookback_scan_determinismE0ELb0ELb0ES3_N6thrust23THRUST_200600_302600_NS6detail15normal_iteratorINS9_10device_ptrIdEEEESE_d11max_functorIdEdEEDaPvRmT3_T4_T5_mT6_P12ihipStream_tbENKUlT_T0_E_clISt17integral_constantIbLb1EESU_EEDaSP_SQ_EUlSP_E_NS1_11comp_targetILNS1_3genE4ELNS1_11target_archE910ELNS1_3gpuE8ELNS1_3repE0EEENS1_30default_config_static_selectorELNS0_4arch9wavefront6targetE1EEEvT1_
		.amdhsa_group_segment_fixed_size 10240
		.amdhsa_private_segment_fixed_size 0
		.amdhsa_kernarg_size 104
		.amdhsa_user_sgpr_count 6
		.amdhsa_user_sgpr_private_segment_buffer 1
		.amdhsa_user_sgpr_dispatch_ptr 0
		.amdhsa_user_sgpr_queue_ptr 0
		.amdhsa_user_sgpr_kernarg_segment_ptr 1
		.amdhsa_user_sgpr_dispatch_id 0
		.amdhsa_user_sgpr_flat_scratch_init 0
		.amdhsa_user_sgpr_kernarg_preload_length 0
		.amdhsa_user_sgpr_kernarg_preload_offset 0
		.amdhsa_user_sgpr_private_segment_size 0
		.amdhsa_uses_dynamic_stack 0
		.amdhsa_system_sgpr_private_segment_wavefront_offset 0
		.amdhsa_system_sgpr_workgroup_id_x 1
		.amdhsa_system_sgpr_workgroup_id_y 0
		.amdhsa_system_sgpr_workgroup_id_z 0
		.amdhsa_system_sgpr_workgroup_info 0
		.amdhsa_system_vgpr_workitem_id 0
		.amdhsa_next_free_vgpr 58
		.amdhsa_next_free_sgpr 38
		.amdhsa_accum_offset 60
		.amdhsa_reserve_vcc 1
		.amdhsa_reserve_flat_scratch 0
		.amdhsa_float_round_mode_32 0
		.amdhsa_float_round_mode_16_64 0
		.amdhsa_float_denorm_mode_32 3
		.amdhsa_float_denorm_mode_16_64 3
		.amdhsa_dx10_clamp 1
		.amdhsa_ieee_mode 1
		.amdhsa_fp16_overflow 0
		.amdhsa_tg_split 0
		.amdhsa_exception_fp_ieee_invalid_op 0
		.amdhsa_exception_fp_denorm_src 0
		.amdhsa_exception_fp_ieee_div_zero 0
		.amdhsa_exception_fp_ieee_overflow 0
		.amdhsa_exception_fp_ieee_underflow 0
		.amdhsa_exception_fp_ieee_inexact 0
		.amdhsa_exception_int_div_zero 0
	.end_amdhsa_kernel
	.section	.text._ZN7rocprim17ROCPRIM_400000_NS6detail17trampoline_kernelINS0_14default_configENS1_20scan_config_selectorIdEEZZNS1_9scan_implILNS1_25lookback_scan_determinismE0ELb0ELb0ES3_N6thrust23THRUST_200600_302600_NS6detail15normal_iteratorINS9_10device_ptrIdEEEESE_d11max_functorIdEdEEDaPvRmT3_T4_T5_mT6_P12ihipStream_tbENKUlT_T0_E_clISt17integral_constantIbLb1EESU_EEDaSP_SQ_EUlSP_E_NS1_11comp_targetILNS1_3genE4ELNS1_11target_archE910ELNS1_3gpuE8ELNS1_3repE0EEENS1_30default_config_static_selectorELNS0_4arch9wavefront6targetE1EEEvT1_,"axG",@progbits,_ZN7rocprim17ROCPRIM_400000_NS6detail17trampoline_kernelINS0_14default_configENS1_20scan_config_selectorIdEEZZNS1_9scan_implILNS1_25lookback_scan_determinismE0ELb0ELb0ES3_N6thrust23THRUST_200600_302600_NS6detail15normal_iteratorINS9_10device_ptrIdEEEESE_d11max_functorIdEdEEDaPvRmT3_T4_T5_mT6_P12ihipStream_tbENKUlT_T0_E_clISt17integral_constantIbLb1EESU_EEDaSP_SQ_EUlSP_E_NS1_11comp_targetILNS1_3genE4ELNS1_11target_archE910ELNS1_3gpuE8ELNS1_3repE0EEENS1_30default_config_static_selectorELNS0_4arch9wavefront6targetE1EEEvT1_,comdat
.Lfunc_end1817:
	.size	_ZN7rocprim17ROCPRIM_400000_NS6detail17trampoline_kernelINS0_14default_configENS1_20scan_config_selectorIdEEZZNS1_9scan_implILNS1_25lookback_scan_determinismE0ELb0ELb0ES3_N6thrust23THRUST_200600_302600_NS6detail15normal_iteratorINS9_10device_ptrIdEEEESE_d11max_functorIdEdEEDaPvRmT3_T4_T5_mT6_P12ihipStream_tbENKUlT_T0_E_clISt17integral_constantIbLb1EESU_EEDaSP_SQ_EUlSP_E_NS1_11comp_targetILNS1_3genE4ELNS1_11target_archE910ELNS1_3gpuE8ELNS1_3repE0EEENS1_30default_config_static_selectorELNS0_4arch9wavefront6targetE1EEEvT1_, .Lfunc_end1817-_ZN7rocprim17ROCPRIM_400000_NS6detail17trampoline_kernelINS0_14default_configENS1_20scan_config_selectorIdEEZZNS1_9scan_implILNS1_25lookback_scan_determinismE0ELb0ELb0ES3_N6thrust23THRUST_200600_302600_NS6detail15normal_iteratorINS9_10device_ptrIdEEEESE_d11max_functorIdEdEEDaPvRmT3_T4_T5_mT6_P12ihipStream_tbENKUlT_T0_E_clISt17integral_constantIbLb1EESU_EEDaSP_SQ_EUlSP_E_NS1_11comp_targetILNS1_3genE4ELNS1_11target_archE910ELNS1_3gpuE8ELNS1_3repE0EEENS1_30default_config_static_selectorELNS0_4arch9wavefront6targetE1EEEvT1_
                                        ; -- End function
	.section	.AMDGPU.csdata,"",@progbits
; Kernel info:
; codeLenInByte = 6304
; NumSgprs: 42
; NumVgprs: 58
; NumAgprs: 0
; TotalNumVgprs: 58
; ScratchSize: 0
; MemoryBound: 0
; FloatMode: 240
; IeeeMode: 1
; LDSByteSize: 10240 bytes/workgroup (compile time only)
; SGPRBlocks: 5
; VGPRBlocks: 7
; NumSGPRsForWavesPerEU: 42
; NumVGPRsForWavesPerEU: 58
; AccumOffset: 60
; Occupancy: 3
; WaveLimiterHint : 1
; COMPUTE_PGM_RSRC2:SCRATCH_EN: 0
; COMPUTE_PGM_RSRC2:USER_SGPR: 6
; COMPUTE_PGM_RSRC2:TRAP_HANDLER: 0
; COMPUTE_PGM_RSRC2:TGID_X_EN: 1
; COMPUTE_PGM_RSRC2:TGID_Y_EN: 0
; COMPUTE_PGM_RSRC2:TGID_Z_EN: 0
; COMPUTE_PGM_RSRC2:TIDIG_COMP_CNT: 0
; COMPUTE_PGM_RSRC3_GFX90A:ACCUM_OFFSET: 14
; COMPUTE_PGM_RSRC3_GFX90A:TG_SPLIT: 0
	.section	.text._ZN7rocprim17ROCPRIM_400000_NS6detail17trampoline_kernelINS0_14default_configENS1_20scan_config_selectorIdEEZZNS1_9scan_implILNS1_25lookback_scan_determinismE0ELb0ELb0ES3_N6thrust23THRUST_200600_302600_NS6detail15normal_iteratorINS9_10device_ptrIdEEEESE_d11max_functorIdEdEEDaPvRmT3_T4_T5_mT6_P12ihipStream_tbENKUlT_T0_E_clISt17integral_constantIbLb1EESU_EEDaSP_SQ_EUlSP_E_NS1_11comp_targetILNS1_3genE3ELNS1_11target_archE908ELNS1_3gpuE7ELNS1_3repE0EEENS1_30default_config_static_selectorELNS0_4arch9wavefront6targetE1EEEvT1_,"axG",@progbits,_ZN7rocprim17ROCPRIM_400000_NS6detail17trampoline_kernelINS0_14default_configENS1_20scan_config_selectorIdEEZZNS1_9scan_implILNS1_25lookback_scan_determinismE0ELb0ELb0ES3_N6thrust23THRUST_200600_302600_NS6detail15normal_iteratorINS9_10device_ptrIdEEEESE_d11max_functorIdEdEEDaPvRmT3_T4_T5_mT6_P12ihipStream_tbENKUlT_T0_E_clISt17integral_constantIbLb1EESU_EEDaSP_SQ_EUlSP_E_NS1_11comp_targetILNS1_3genE3ELNS1_11target_archE908ELNS1_3gpuE7ELNS1_3repE0EEENS1_30default_config_static_selectorELNS0_4arch9wavefront6targetE1EEEvT1_,comdat
	.protected	_ZN7rocprim17ROCPRIM_400000_NS6detail17trampoline_kernelINS0_14default_configENS1_20scan_config_selectorIdEEZZNS1_9scan_implILNS1_25lookback_scan_determinismE0ELb0ELb0ES3_N6thrust23THRUST_200600_302600_NS6detail15normal_iteratorINS9_10device_ptrIdEEEESE_d11max_functorIdEdEEDaPvRmT3_T4_T5_mT6_P12ihipStream_tbENKUlT_T0_E_clISt17integral_constantIbLb1EESU_EEDaSP_SQ_EUlSP_E_NS1_11comp_targetILNS1_3genE3ELNS1_11target_archE908ELNS1_3gpuE7ELNS1_3repE0EEENS1_30default_config_static_selectorELNS0_4arch9wavefront6targetE1EEEvT1_ ; -- Begin function _ZN7rocprim17ROCPRIM_400000_NS6detail17trampoline_kernelINS0_14default_configENS1_20scan_config_selectorIdEEZZNS1_9scan_implILNS1_25lookback_scan_determinismE0ELb0ELb0ES3_N6thrust23THRUST_200600_302600_NS6detail15normal_iteratorINS9_10device_ptrIdEEEESE_d11max_functorIdEdEEDaPvRmT3_T4_T5_mT6_P12ihipStream_tbENKUlT_T0_E_clISt17integral_constantIbLb1EESU_EEDaSP_SQ_EUlSP_E_NS1_11comp_targetILNS1_3genE3ELNS1_11target_archE908ELNS1_3gpuE7ELNS1_3repE0EEENS1_30default_config_static_selectorELNS0_4arch9wavefront6targetE1EEEvT1_
	.globl	_ZN7rocprim17ROCPRIM_400000_NS6detail17trampoline_kernelINS0_14default_configENS1_20scan_config_selectorIdEEZZNS1_9scan_implILNS1_25lookback_scan_determinismE0ELb0ELb0ES3_N6thrust23THRUST_200600_302600_NS6detail15normal_iteratorINS9_10device_ptrIdEEEESE_d11max_functorIdEdEEDaPvRmT3_T4_T5_mT6_P12ihipStream_tbENKUlT_T0_E_clISt17integral_constantIbLb1EESU_EEDaSP_SQ_EUlSP_E_NS1_11comp_targetILNS1_3genE3ELNS1_11target_archE908ELNS1_3gpuE7ELNS1_3repE0EEENS1_30default_config_static_selectorELNS0_4arch9wavefront6targetE1EEEvT1_
	.p2align	8
	.type	_ZN7rocprim17ROCPRIM_400000_NS6detail17trampoline_kernelINS0_14default_configENS1_20scan_config_selectorIdEEZZNS1_9scan_implILNS1_25lookback_scan_determinismE0ELb0ELb0ES3_N6thrust23THRUST_200600_302600_NS6detail15normal_iteratorINS9_10device_ptrIdEEEESE_d11max_functorIdEdEEDaPvRmT3_T4_T5_mT6_P12ihipStream_tbENKUlT_T0_E_clISt17integral_constantIbLb1EESU_EEDaSP_SQ_EUlSP_E_NS1_11comp_targetILNS1_3genE3ELNS1_11target_archE908ELNS1_3gpuE7ELNS1_3repE0EEENS1_30default_config_static_selectorELNS0_4arch9wavefront6targetE1EEEvT1_,@function
_ZN7rocprim17ROCPRIM_400000_NS6detail17trampoline_kernelINS0_14default_configENS1_20scan_config_selectorIdEEZZNS1_9scan_implILNS1_25lookback_scan_determinismE0ELb0ELb0ES3_N6thrust23THRUST_200600_302600_NS6detail15normal_iteratorINS9_10device_ptrIdEEEESE_d11max_functorIdEdEEDaPvRmT3_T4_T5_mT6_P12ihipStream_tbENKUlT_T0_E_clISt17integral_constantIbLb1EESU_EEDaSP_SQ_EUlSP_E_NS1_11comp_targetILNS1_3genE3ELNS1_11target_archE908ELNS1_3gpuE7ELNS1_3repE0EEENS1_30default_config_static_selectorELNS0_4arch9wavefront6targetE1EEEvT1_: ; @_ZN7rocprim17ROCPRIM_400000_NS6detail17trampoline_kernelINS0_14default_configENS1_20scan_config_selectorIdEEZZNS1_9scan_implILNS1_25lookback_scan_determinismE0ELb0ELb0ES3_N6thrust23THRUST_200600_302600_NS6detail15normal_iteratorINS9_10device_ptrIdEEEESE_d11max_functorIdEdEEDaPvRmT3_T4_T5_mT6_P12ihipStream_tbENKUlT_T0_E_clISt17integral_constantIbLb1EESU_EEDaSP_SQ_EUlSP_E_NS1_11comp_targetILNS1_3genE3ELNS1_11target_archE908ELNS1_3gpuE7ELNS1_3repE0EEENS1_30default_config_static_selectorELNS0_4arch9wavefront6targetE1EEEvT1_
; %bb.0:
	.section	.rodata,"a",@progbits
	.p2align	6, 0x0
	.amdhsa_kernel _ZN7rocprim17ROCPRIM_400000_NS6detail17trampoline_kernelINS0_14default_configENS1_20scan_config_selectorIdEEZZNS1_9scan_implILNS1_25lookback_scan_determinismE0ELb0ELb0ES3_N6thrust23THRUST_200600_302600_NS6detail15normal_iteratorINS9_10device_ptrIdEEEESE_d11max_functorIdEdEEDaPvRmT3_T4_T5_mT6_P12ihipStream_tbENKUlT_T0_E_clISt17integral_constantIbLb1EESU_EEDaSP_SQ_EUlSP_E_NS1_11comp_targetILNS1_3genE3ELNS1_11target_archE908ELNS1_3gpuE7ELNS1_3repE0EEENS1_30default_config_static_selectorELNS0_4arch9wavefront6targetE1EEEvT1_
		.amdhsa_group_segment_fixed_size 0
		.amdhsa_private_segment_fixed_size 0
		.amdhsa_kernarg_size 104
		.amdhsa_user_sgpr_count 6
		.amdhsa_user_sgpr_private_segment_buffer 1
		.amdhsa_user_sgpr_dispatch_ptr 0
		.amdhsa_user_sgpr_queue_ptr 0
		.amdhsa_user_sgpr_kernarg_segment_ptr 1
		.amdhsa_user_sgpr_dispatch_id 0
		.amdhsa_user_sgpr_flat_scratch_init 0
		.amdhsa_user_sgpr_kernarg_preload_length 0
		.amdhsa_user_sgpr_kernarg_preload_offset 0
		.amdhsa_user_sgpr_private_segment_size 0
		.amdhsa_uses_dynamic_stack 0
		.amdhsa_system_sgpr_private_segment_wavefront_offset 0
		.amdhsa_system_sgpr_workgroup_id_x 1
		.amdhsa_system_sgpr_workgroup_id_y 0
		.amdhsa_system_sgpr_workgroup_id_z 0
		.amdhsa_system_sgpr_workgroup_info 0
		.amdhsa_system_vgpr_workitem_id 0
		.amdhsa_next_free_vgpr 1
		.amdhsa_next_free_sgpr 0
		.amdhsa_accum_offset 4
		.amdhsa_reserve_vcc 0
		.amdhsa_reserve_flat_scratch 0
		.amdhsa_float_round_mode_32 0
		.amdhsa_float_round_mode_16_64 0
		.amdhsa_float_denorm_mode_32 3
		.amdhsa_float_denorm_mode_16_64 3
		.amdhsa_dx10_clamp 1
		.amdhsa_ieee_mode 1
		.amdhsa_fp16_overflow 0
		.amdhsa_tg_split 0
		.amdhsa_exception_fp_ieee_invalid_op 0
		.amdhsa_exception_fp_denorm_src 0
		.amdhsa_exception_fp_ieee_div_zero 0
		.amdhsa_exception_fp_ieee_overflow 0
		.amdhsa_exception_fp_ieee_underflow 0
		.amdhsa_exception_fp_ieee_inexact 0
		.amdhsa_exception_int_div_zero 0
	.end_amdhsa_kernel
	.section	.text._ZN7rocprim17ROCPRIM_400000_NS6detail17trampoline_kernelINS0_14default_configENS1_20scan_config_selectorIdEEZZNS1_9scan_implILNS1_25lookback_scan_determinismE0ELb0ELb0ES3_N6thrust23THRUST_200600_302600_NS6detail15normal_iteratorINS9_10device_ptrIdEEEESE_d11max_functorIdEdEEDaPvRmT3_T4_T5_mT6_P12ihipStream_tbENKUlT_T0_E_clISt17integral_constantIbLb1EESU_EEDaSP_SQ_EUlSP_E_NS1_11comp_targetILNS1_3genE3ELNS1_11target_archE908ELNS1_3gpuE7ELNS1_3repE0EEENS1_30default_config_static_selectorELNS0_4arch9wavefront6targetE1EEEvT1_,"axG",@progbits,_ZN7rocprim17ROCPRIM_400000_NS6detail17trampoline_kernelINS0_14default_configENS1_20scan_config_selectorIdEEZZNS1_9scan_implILNS1_25lookback_scan_determinismE0ELb0ELb0ES3_N6thrust23THRUST_200600_302600_NS6detail15normal_iteratorINS9_10device_ptrIdEEEESE_d11max_functorIdEdEEDaPvRmT3_T4_T5_mT6_P12ihipStream_tbENKUlT_T0_E_clISt17integral_constantIbLb1EESU_EEDaSP_SQ_EUlSP_E_NS1_11comp_targetILNS1_3genE3ELNS1_11target_archE908ELNS1_3gpuE7ELNS1_3repE0EEENS1_30default_config_static_selectorELNS0_4arch9wavefront6targetE1EEEvT1_,comdat
.Lfunc_end1818:
	.size	_ZN7rocprim17ROCPRIM_400000_NS6detail17trampoline_kernelINS0_14default_configENS1_20scan_config_selectorIdEEZZNS1_9scan_implILNS1_25lookback_scan_determinismE0ELb0ELb0ES3_N6thrust23THRUST_200600_302600_NS6detail15normal_iteratorINS9_10device_ptrIdEEEESE_d11max_functorIdEdEEDaPvRmT3_T4_T5_mT6_P12ihipStream_tbENKUlT_T0_E_clISt17integral_constantIbLb1EESU_EEDaSP_SQ_EUlSP_E_NS1_11comp_targetILNS1_3genE3ELNS1_11target_archE908ELNS1_3gpuE7ELNS1_3repE0EEENS1_30default_config_static_selectorELNS0_4arch9wavefront6targetE1EEEvT1_, .Lfunc_end1818-_ZN7rocprim17ROCPRIM_400000_NS6detail17trampoline_kernelINS0_14default_configENS1_20scan_config_selectorIdEEZZNS1_9scan_implILNS1_25lookback_scan_determinismE0ELb0ELb0ES3_N6thrust23THRUST_200600_302600_NS6detail15normal_iteratorINS9_10device_ptrIdEEEESE_d11max_functorIdEdEEDaPvRmT3_T4_T5_mT6_P12ihipStream_tbENKUlT_T0_E_clISt17integral_constantIbLb1EESU_EEDaSP_SQ_EUlSP_E_NS1_11comp_targetILNS1_3genE3ELNS1_11target_archE908ELNS1_3gpuE7ELNS1_3repE0EEENS1_30default_config_static_selectorELNS0_4arch9wavefront6targetE1EEEvT1_
                                        ; -- End function
	.section	.AMDGPU.csdata,"",@progbits
; Kernel info:
; codeLenInByte = 0
; NumSgprs: 4
; NumVgprs: 0
; NumAgprs: 0
; TotalNumVgprs: 0
; ScratchSize: 0
; MemoryBound: 0
; FloatMode: 240
; IeeeMode: 1
; LDSByteSize: 0 bytes/workgroup (compile time only)
; SGPRBlocks: 0
; VGPRBlocks: 0
; NumSGPRsForWavesPerEU: 4
; NumVGPRsForWavesPerEU: 1
; AccumOffset: 4
; Occupancy: 8
; WaveLimiterHint : 0
; COMPUTE_PGM_RSRC2:SCRATCH_EN: 0
; COMPUTE_PGM_RSRC2:USER_SGPR: 6
; COMPUTE_PGM_RSRC2:TRAP_HANDLER: 0
; COMPUTE_PGM_RSRC2:TGID_X_EN: 1
; COMPUTE_PGM_RSRC2:TGID_Y_EN: 0
; COMPUTE_PGM_RSRC2:TGID_Z_EN: 0
; COMPUTE_PGM_RSRC2:TIDIG_COMP_CNT: 0
; COMPUTE_PGM_RSRC3_GFX90A:ACCUM_OFFSET: 0
; COMPUTE_PGM_RSRC3_GFX90A:TG_SPLIT: 0
	.section	.text._ZN7rocprim17ROCPRIM_400000_NS6detail17trampoline_kernelINS0_14default_configENS1_20scan_config_selectorIdEEZZNS1_9scan_implILNS1_25lookback_scan_determinismE0ELb0ELb0ES3_N6thrust23THRUST_200600_302600_NS6detail15normal_iteratorINS9_10device_ptrIdEEEESE_d11max_functorIdEdEEDaPvRmT3_T4_T5_mT6_P12ihipStream_tbENKUlT_T0_E_clISt17integral_constantIbLb1EESU_EEDaSP_SQ_EUlSP_E_NS1_11comp_targetILNS1_3genE2ELNS1_11target_archE906ELNS1_3gpuE6ELNS1_3repE0EEENS1_30default_config_static_selectorELNS0_4arch9wavefront6targetE1EEEvT1_,"axG",@progbits,_ZN7rocprim17ROCPRIM_400000_NS6detail17trampoline_kernelINS0_14default_configENS1_20scan_config_selectorIdEEZZNS1_9scan_implILNS1_25lookback_scan_determinismE0ELb0ELb0ES3_N6thrust23THRUST_200600_302600_NS6detail15normal_iteratorINS9_10device_ptrIdEEEESE_d11max_functorIdEdEEDaPvRmT3_T4_T5_mT6_P12ihipStream_tbENKUlT_T0_E_clISt17integral_constantIbLb1EESU_EEDaSP_SQ_EUlSP_E_NS1_11comp_targetILNS1_3genE2ELNS1_11target_archE906ELNS1_3gpuE6ELNS1_3repE0EEENS1_30default_config_static_selectorELNS0_4arch9wavefront6targetE1EEEvT1_,comdat
	.protected	_ZN7rocprim17ROCPRIM_400000_NS6detail17trampoline_kernelINS0_14default_configENS1_20scan_config_selectorIdEEZZNS1_9scan_implILNS1_25lookback_scan_determinismE0ELb0ELb0ES3_N6thrust23THRUST_200600_302600_NS6detail15normal_iteratorINS9_10device_ptrIdEEEESE_d11max_functorIdEdEEDaPvRmT3_T4_T5_mT6_P12ihipStream_tbENKUlT_T0_E_clISt17integral_constantIbLb1EESU_EEDaSP_SQ_EUlSP_E_NS1_11comp_targetILNS1_3genE2ELNS1_11target_archE906ELNS1_3gpuE6ELNS1_3repE0EEENS1_30default_config_static_selectorELNS0_4arch9wavefront6targetE1EEEvT1_ ; -- Begin function _ZN7rocprim17ROCPRIM_400000_NS6detail17trampoline_kernelINS0_14default_configENS1_20scan_config_selectorIdEEZZNS1_9scan_implILNS1_25lookback_scan_determinismE0ELb0ELb0ES3_N6thrust23THRUST_200600_302600_NS6detail15normal_iteratorINS9_10device_ptrIdEEEESE_d11max_functorIdEdEEDaPvRmT3_T4_T5_mT6_P12ihipStream_tbENKUlT_T0_E_clISt17integral_constantIbLb1EESU_EEDaSP_SQ_EUlSP_E_NS1_11comp_targetILNS1_3genE2ELNS1_11target_archE906ELNS1_3gpuE6ELNS1_3repE0EEENS1_30default_config_static_selectorELNS0_4arch9wavefront6targetE1EEEvT1_
	.globl	_ZN7rocprim17ROCPRIM_400000_NS6detail17trampoline_kernelINS0_14default_configENS1_20scan_config_selectorIdEEZZNS1_9scan_implILNS1_25lookback_scan_determinismE0ELb0ELb0ES3_N6thrust23THRUST_200600_302600_NS6detail15normal_iteratorINS9_10device_ptrIdEEEESE_d11max_functorIdEdEEDaPvRmT3_T4_T5_mT6_P12ihipStream_tbENKUlT_T0_E_clISt17integral_constantIbLb1EESU_EEDaSP_SQ_EUlSP_E_NS1_11comp_targetILNS1_3genE2ELNS1_11target_archE906ELNS1_3gpuE6ELNS1_3repE0EEENS1_30default_config_static_selectorELNS0_4arch9wavefront6targetE1EEEvT1_
	.p2align	8
	.type	_ZN7rocprim17ROCPRIM_400000_NS6detail17trampoline_kernelINS0_14default_configENS1_20scan_config_selectorIdEEZZNS1_9scan_implILNS1_25lookback_scan_determinismE0ELb0ELb0ES3_N6thrust23THRUST_200600_302600_NS6detail15normal_iteratorINS9_10device_ptrIdEEEESE_d11max_functorIdEdEEDaPvRmT3_T4_T5_mT6_P12ihipStream_tbENKUlT_T0_E_clISt17integral_constantIbLb1EESU_EEDaSP_SQ_EUlSP_E_NS1_11comp_targetILNS1_3genE2ELNS1_11target_archE906ELNS1_3gpuE6ELNS1_3repE0EEENS1_30default_config_static_selectorELNS0_4arch9wavefront6targetE1EEEvT1_,@function
_ZN7rocprim17ROCPRIM_400000_NS6detail17trampoline_kernelINS0_14default_configENS1_20scan_config_selectorIdEEZZNS1_9scan_implILNS1_25lookback_scan_determinismE0ELb0ELb0ES3_N6thrust23THRUST_200600_302600_NS6detail15normal_iteratorINS9_10device_ptrIdEEEESE_d11max_functorIdEdEEDaPvRmT3_T4_T5_mT6_P12ihipStream_tbENKUlT_T0_E_clISt17integral_constantIbLb1EESU_EEDaSP_SQ_EUlSP_E_NS1_11comp_targetILNS1_3genE2ELNS1_11target_archE906ELNS1_3gpuE6ELNS1_3repE0EEENS1_30default_config_static_selectorELNS0_4arch9wavefront6targetE1EEEvT1_: ; @_ZN7rocprim17ROCPRIM_400000_NS6detail17trampoline_kernelINS0_14default_configENS1_20scan_config_selectorIdEEZZNS1_9scan_implILNS1_25lookback_scan_determinismE0ELb0ELb0ES3_N6thrust23THRUST_200600_302600_NS6detail15normal_iteratorINS9_10device_ptrIdEEEESE_d11max_functorIdEdEEDaPvRmT3_T4_T5_mT6_P12ihipStream_tbENKUlT_T0_E_clISt17integral_constantIbLb1EESU_EEDaSP_SQ_EUlSP_E_NS1_11comp_targetILNS1_3genE2ELNS1_11target_archE906ELNS1_3gpuE6ELNS1_3repE0EEENS1_30default_config_static_selectorELNS0_4arch9wavefront6targetE1EEEvT1_
; %bb.0:
	.section	.rodata,"a",@progbits
	.p2align	6, 0x0
	.amdhsa_kernel _ZN7rocprim17ROCPRIM_400000_NS6detail17trampoline_kernelINS0_14default_configENS1_20scan_config_selectorIdEEZZNS1_9scan_implILNS1_25lookback_scan_determinismE0ELb0ELb0ES3_N6thrust23THRUST_200600_302600_NS6detail15normal_iteratorINS9_10device_ptrIdEEEESE_d11max_functorIdEdEEDaPvRmT3_T4_T5_mT6_P12ihipStream_tbENKUlT_T0_E_clISt17integral_constantIbLb1EESU_EEDaSP_SQ_EUlSP_E_NS1_11comp_targetILNS1_3genE2ELNS1_11target_archE906ELNS1_3gpuE6ELNS1_3repE0EEENS1_30default_config_static_selectorELNS0_4arch9wavefront6targetE1EEEvT1_
		.amdhsa_group_segment_fixed_size 0
		.amdhsa_private_segment_fixed_size 0
		.amdhsa_kernarg_size 104
		.amdhsa_user_sgpr_count 6
		.amdhsa_user_sgpr_private_segment_buffer 1
		.amdhsa_user_sgpr_dispatch_ptr 0
		.amdhsa_user_sgpr_queue_ptr 0
		.amdhsa_user_sgpr_kernarg_segment_ptr 1
		.amdhsa_user_sgpr_dispatch_id 0
		.amdhsa_user_sgpr_flat_scratch_init 0
		.amdhsa_user_sgpr_kernarg_preload_length 0
		.amdhsa_user_sgpr_kernarg_preload_offset 0
		.amdhsa_user_sgpr_private_segment_size 0
		.amdhsa_uses_dynamic_stack 0
		.amdhsa_system_sgpr_private_segment_wavefront_offset 0
		.amdhsa_system_sgpr_workgroup_id_x 1
		.amdhsa_system_sgpr_workgroup_id_y 0
		.amdhsa_system_sgpr_workgroup_id_z 0
		.amdhsa_system_sgpr_workgroup_info 0
		.amdhsa_system_vgpr_workitem_id 0
		.amdhsa_next_free_vgpr 1
		.amdhsa_next_free_sgpr 0
		.amdhsa_accum_offset 4
		.amdhsa_reserve_vcc 0
		.amdhsa_reserve_flat_scratch 0
		.amdhsa_float_round_mode_32 0
		.amdhsa_float_round_mode_16_64 0
		.amdhsa_float_denorm_mode_32 3
		.amdhsa_float_denorm_mode_16_64 3
		.amdhsa_dx10_clamp 1
		.amdhsa_ieee_mode 1
		.amdhsa_fp16_overflow 0
		.amdhsa_tg_split 0
		.amdhsa_exception_fp_ieee_invalid_op 0
		.amdhsa_exception_fp_denorm_src 0
		.amdhsa_exception_fp_ieee_div_zero 0
		.amdhsa_exception_fp_ieee_overflow 0
		.amdhsa_exception_fp_ieee_underflow 0
		.amdhsa_exception_fp_ieee_inexact 0
		.amdhsa_exception_int_div_zero 0
	.end_amdhsa_kernel
	.section	.text._ZN7rocprim17ROCPRIM_400000_NS6detail17trampoline_kernelINS0_14default_configENS1_20scan_config_selectorIdEEZZNS1_9scan_implILNS1_25lookback_scan_determinismE0ELb0ELb0ES3_N6thrust23THRUST_200600_302600_NS6detail15normal_iteratorINS9_10device_ptrIdEEEESE_d11max_functorIdEdEEDaPvRmT3_T4_T5_mT6_P12ihipStream_tbENKUlT_T0_E_clISt17integral_constantIbLb1EESU_EEDaSP_SQ_EUlSP_E_NS1_11comp_targetILNS1_3genE2ELNS1_11target_archE906ELNS1_3gpuE6ELNS1_3repE0EEENS1_30default_config_static_selectorELNS0_4arch9wavefront6targetE1EEEvT1_,"axG",@progbits,_ZN7rocprim17ROCPRIM_400000_NS6detail17trampoline_kernelINS0_14default_configENS1_20scan_config_selectorIdEEZZNS1_9scan_implILNS1_25lookback_scan_determinismE0ELb0ELb0ES3_N6thrust23THRUST_200600_302600_NS6detail15normal_iteratorINS9_10device_ptrIdEEEESE_d11max_functorIdEdEEDaPvRmT3_T4_T5_mT6_P12ihipStream_tbENKUlT_T0_E_clISt17integral_constantIbLb1EESU_EEDaSP_SQ_EUlSP_E_NS1_11comp_targetILNS1_3genE2ELNS1_11target_archE906ELNS1_3gpuE6ELNS1_3repE0EEENS1_30default_config_static_selectorELNS0_4arch9wavefront6targetE1EEEvT1_,comdat
.Lfunc_end1819:
	.size	_ZN7rocprim17ROCPRIM_400000_NS6detail17trampoline_kernelINS0_14default_configENS1_20scan_config_selectorIdEEZZNS1_9scan_implILNS1_25lookback_scan_determinismE0ELb0ELb0ES3_N6thrust23THRUST_200600_302600_NS6detail15normal_iteratorINS9_10device_ptrIdEEEESE_d11max_functorIdEdEEDaPvRmT3_T4_T5_mT6_P12ihipStream_tbENKUlT_T0_E_clISt17integral_constantIbLb1EESU_EEDaSP_SQ_EUlSP_E_NS1_11comp_targetILNS1_3genE2ELNS1_11target_archE906ELNS1_3gpuE6ELNS1_3repE0EEENS1_30default_config_static_selectorELNS0_4arch9wavefront6targetE1EEEvT1_, .Lfunc_end1819-_ZN7rocprim17ROCPRIM_400000_NS6detail17trampoline_kernelINS0_14default_configENS1_20scan_config_selectorIdEEZZNS1_9scan_implILNS1_25lookback_scan_determinismE0ELb0ELb0ES3_N6thrust23THRUST_200600_302600_NS6detail15normal_iteratorINS9_10device_ptrIdEEEESE_d11max_functorIdEdEEDaPvRmT3_T4_T5_mT6_P12ihipStream_tbENKUlT_T0_E_clISt17integral_constantIbLb1EESU_EEDaSP_SQ_EUlSP_E_NS1_11comp_targetILNS1_3genE2ELNS1_11target_archE906ELNS1_3gpuE6ELNS1_3repE0EEENS1_30default_config_static_selectorELNS0_4arch9wavefront6targetE1EEEvT1_
                                        ; -- End function
	.section	.AMDGPU.csdata,"",@progbits
; Kernel info:
; codeLenInByte = 0
; NumSgprs: 4
; NumVgprs: 0
; NumAgprs: 0
; TotalNumVgprs: 0
; ScratchSize: 0
; MemoryBound: 0
; FloatMode: 240
; IeeeMode: 1
; LDSByteSize: 0 bytes/workgroup (compile time only)
; SGPRBlocks: 0
; VGPRBlocks: 0
; NumSGPRsForWavesPerEU: 4
; NumVGPRsForWavesPerEU: 1
; AccumOffset: 4
; Occupancy: 8
; WaveLimiterHint : 0
; COMPUTE_PGM_RSRC2:SCRATCH_EN: 0
; COMPUTE_PGM_RSRC2:USER_SGPR: 6
; COMPUTE_PGM_RSRC2:TRAP_HANDLER: 0
; COMPUTE_PGM_RSRC2:TGID_X_EN: 1
; COMPUTE_PGM_RSRC2:TGID_Y_EN: 0
; COMPUTE_PGM_RSRC2:TGID_Z_EN: 0
; COMPUTE_PGM_RSRC2:TIDIG_COMP_CNT: 0
; COMPUTE_PGM_RSRC3_GFX90A:ACCUM_OFFSET: 0
; COMPUTE_PGM_RSRC3_GFX90A:TG_SPLIT: 0
	.section	.text._ZN7rocprim17ROCPRIM_400000_NS6detail17trampoline_kernelINS0_14default_configENS1_20scan_config_selectorIdEEZZNS1_9scan_implILNS1_25lookback_scan_determinismE0ELb0ELb0ES3_N6thrust23THRUST_200600_302600_NS6detail15normal_iteratorINS9_10device_ptrIdEEEESE_d11max_functorIdEdEEDaPvRmT3_T4_T5_mT6_P12ihipStream_tbENKUlT_T0_E_clISt17integral_constantIbLb1EESU_EEDaSP_SQ_EUlSP_E_NS1_11comp_targetILNS1_3genE10ELNS1_11target_archE1201ELNS1_3gpuE5ELNS1_3repE0EEENS1_30default_config_static_selectorELNS0_4arch9wavefront6targetE1EEEvT1_,"axG",@progbits,_ZN7rocprim17ROCPRIM_400000_NS6detail17trampoline_kernelINS0_14default_configENS1_20scan_config_selectorIdEEZZNS1_9scan_implILNS1_25lookback_scan_determinismE0ELb0ELb0ES3_N6thrust23THRUST_200600_302600_NS6detail15normal_iteratorINS9_10device_ptrIdEEEESE_d11max_functorIdEdEEDaPvRmT3_T4_T5_mT6_P12ihipStream_tbENKUlT_T0_E_clISt17integral_constantIbLb1EESU_EEDaSP_SQ_EUlSP_E_NS1_11comp_targetILNS1_3genE10ELNS1_11target_archE1201ELNS1_3gpuE5ELNS1_3repE0EEENS1_30default_config_static_selectorELNS0_4arch9wavefront6targetE1EEEvT1_,comdat
	.protected	_ZN7rocprim17ROCPRIM_400000_NS6detail17trampoline_kernelINS0_14default_configENS1_20scan_config_selectorIdEEZZNS1_9scan_implILNS1_25lookback_scan_determinismE0ELb0ELb0ES3_N6thrust23THRUST_200600_302600_NS6detail15normal_iteratorINS9_10device_ptrIdEEEESE_d11max_functorIdEdEEDaPvRmT3_T4_T5_mT6_P12ihipStream_tbENKUlT_T0_E_clISt17integral_constantIbLb1EESU_EEDaSP_SQ_EUlSP_E_NS1_11comp_targetILNS1_3genE10ELNS1_11target_archE1201ELNS1_3gpuE5ELNS1_3repE0EEENS1_30default_config_static_selectorELNS0_4arch9wavefront6targetE1EEEvT1_ ; -- Begin function _ZN7rocprim17ROCPRIM_400000_NS6detail17trampoline_kernelINS0_14default_configENS1_20scan_config_selectorIdEEZZNS1_9scan_implILNS1_25lookback_scan_determinismE0ELb0ELb0ES3_N6thrust23THRUST_200600_302600_NS6detail15normal_iteratorINS9_10device_ptrIdEEEESE_d11max_functorIdEdEEDaPvRmT3_T4_T5_mT6_P12ihipStream_tbENKUlT_T0_E_clISt17integral_constantIbLb1EESU_EEDaSP_SQ_EUlSP_E_NS1_11comp_targetILNS1_3genE10ELNS1_11target_archE1201ELNS1_3gpuE5ELNS1_3repE0EEENS1_30default_config_static_selectorELNS0_4arch9wavefront6targetE1EEEvT1_
	.globl	_ZN7rocprim17ROCPRIM_400000_NS6detail17trampoline_kernelINS0_14default_configENS1_20scan_config_selectorIdEEZZNS1_9scan_implILNS1_25lookback_scan_determinismE0ELb0ELb0ES3_N6thrust23THRUST_200600_302600_NS6detail15normal_iteratorINS9_10device_ptrIdEEEESE_d11max_functorIdEdEEDaPvRmT3_T4_T5_mT6_P12ihipStream_tbENKUlT_T0_E_clISt17integral_constantIbLb1EESU_EEDaSP_SQ_EUlSP_E_NS1_11comp_targetILNS1_3genE10ELNS1_11target_archE1201ELNS1_3gpuE5ELNS1_3repE0EEENS1_30default_config_static_selectorELNS0_4arch9wavefront6targetE1EEEvT1_
	.p2align	8
	.type	_ZN7rocprim17ROCPRIM_400000_NS6detail17trampoline_kernelINS0_14default_configENS1_20scan_config_selectorIdEEZZNS1_9scan_implILNS1_25lookback_scan_determinismE0ELb0ELb0ES3_N6thrust23THRUST_200600_302600_NS6detail15normal_iteratorINS9_10device_ptrIdEEEESE_d11max_functorIdEdEEDaPvRmT3_T4_T5_mT6_P12ihipStream_tbENKUlT_T0_E_clISt17integral_constantIbLb1EESU_EEDaSP_SQ_EUlSP_E_NS1_11comp_targetILNS1_3genE10ELNS1_11target_archE1201ELNS1_3gpuE5ELNS1_3repE0EEENS1_30default_config_static_selectorELNS0_4arch9wavefront6targetE1EEEvT1_,@function
_ZN7rocprim17ROCPRIM_400000_NS6detail17trampoline_kernelINS0_14default_configENS1_20scan_config_selectorIdEEZZNS1_9scan_implILNS1_25lookback_scan_determinismE0ELb0ELb0ES3_N6thrust23THRUST_200600_302600_NS6detail15normal_iteratorINS9_10device_ptrIdEEEESE_d11max_functorIdEdEEDaPvRmT3_T4_T5_mT6_P12ihipStream_tbENKUlT_T0_E_clISt17integral_constantIbLb1EESU_EEDaSP_SQ_EUlSP_E_NS1_11comp_targetILNS1_3genE10ELNS1_11target_archE1201ELNS1_3gpuE5ELNS1_3repE0EEENS1_30default_config_static_selectorELNS0_4arch9wavefront6targetE1EEEvT1_: ; @_ZN7rocprim17ROCPRIM_400000_NS6detail17trampoline_kernelINS0_14default_configENS1_20scan_config_selectorIdEEZZNS1_9scan_implILNS1_25lookback_scan_determinismE0ELb0ELb0ES3_N6thrust23THRUST_200600_302600_NS6detail15normal_iteratorINS9_10device_ptrIdEEEESE_d11max_functorIdEdEEDaPvRmT3_T4_T5_mT6_P12ihipStream_tbENKUlT_T0_E_clISt17integral_constantIbLb1EESU_EEDaSP_SQ_EUlSP_E_NS1_11comp_targetILNS1_3genE10ELNS1_11target_archE1201ELNS1_3gpuE5ELNS1_3repE0EEENS1_30default_config_static_selectorELNS0_4arch9wavefront6targetE1EEEvT1_
; %bb.0:
	.section	.rodata,"a",@progbits
	.p2align	6, 0x0
	.amdhsa_kernel _ZN7rocprim17ROCPRIM_400000_NS6detail17trampoline_kernelINS0_14default_configENS1_20scan_config_selectorIdEEZZNS1_9scan_implILNS1_25lookback_scan_determinismE0ELb0ELb0ES3_N6thrust23THRUST_200600_302600_NS6detail15normal_iteratorINS9_10device_ptrIdEEEESE_d11max_functorIdEdEEDaPvRmT3_T4_T5_mT6_P12ihipStream_tbENKUlT_T0_E_clISt17integral_constantIbLb1EESU_EEDaSP_SQ_EUlSP_E_NS1_11comp_targetILNS1_3genE10ELNS1_11target_archE1201ELNS1_3gpuE5ELNS1_3repE0EEENS1_30default_config_static_selectorELNS0_4arch9wavefront6targetE1EEEvT1_
		.amdhsa_group_segment_fixed_size 0
		.amdhsa_private_segment_fixed_size 0
		.amdhsa_kernarg_size 104
		.amdhsa_user_sgpr_count 6
		.amdhsa_user_sgpr_private_segment_buffer 1
		.amdhsa_user_sgpr_dispatch_ptr 0
		.amdhsa_user_sgpr_queue_ptr 0
		.amdhsa_user_sgpr_kernarg_segment_ptr 1
		.amdhsa_user_sgpr_dispatch_id 0
		.amdhsa_user_sgpr_flat_scratch_init 0
		.amdhsa_user_sgpr_kernarg_preload_length 0
		.amdhsa_user_sgpr_kernarg_preload_offset 0
		.amdhsa_user_sgpr_private_segment_size 0
		.amdhsa_uses_dynamic_stack 0
		.amdhsa_system_sgpr_private_segment_wavefront_offset 0
		.amdhsa_system_sgpr_workgroup_id_x 1
		.amdhsa_system_sgpr_workgroup_id_y 0
		.amdhsa_system_sgpr_workgroup_id_z 0
		.amdhsa_system_sgpr_workgroup_info 0
		.amdhsa_system_vgpr_workitem_id 0
		.amdhsa_next_free_vgpr 1
		.amdhsa_next_free_sgpr 0
		.amdhsa_accum_offset 4
		.amdhsa_reserve_vcc 0
		.amdhsa_reserve_flat_scratch 0
		.amdhsa_float_round_mode_32 0
		.amdhsa_float_round_mode_16_64 0
		.amdhsa_float_denorm_mode_32 3
		.amdhsa_float_denorm_mode_16_64 3
		.amdhsa_dx10_clamp 1
		.amdhsa_ieee_mode 1
		.amdhsa_fp16_overflow 0
		.amdhsa_tg_split 0
		.amdhsa_exception_fp_ieee_invalid_op 0
		.amdhsa_exception_fp_denorm_src 0
		.amdhsa_exception_fp_ieee_div_zero 0
		.amdhsa_exception_fp_ieee_overflow 0
		.amdhsa_exception_fp_ieee_underflow 0
		.amdhsa_exception_fp_ieee_inexact 0
		.amdhsa_exception_int_div_zero 0
	.end_amdhsa_kernel
	.section	.text._ZN7rocprim17ROCPRIM_400000_NS6detail17trampoline_kernelINS0_14default_configENS1_20scan_config_selectorIdEEZZNS1_9scan_implILNS1_25lookback_scan_determinismE0ELb0ELb0ES3_N6thrust23THRUST_200600_302600_NS6detail15normal_iteratorINS9_10device_ptrIdEEEESE_d11max_functorIdEdEEDaPvRmT3_T4_T5_mT6_P12ihipStream_tbENKUlT_T0_E_clISt17integral_constantIbLb1EESU_EEDaSP_SQ_EUlSP_E_NS1_11comp_targetILNS1_3genE10ELNS1_11target_archE1201ELNS1_3gpuE5ELNS1_3repE0EEENS1_30default_config_static_selectorELNS0_4arch9wavefront6targetE1EEEvT1_,"axG",@progbits,_ZN7rocprim17ROCPRIM_400000_NS6detail17trampoline_kernelINS0_14default_configENS1_20scan_config_selectorIdEEZZNS1_9scan_implILNS1_25lookback_scan_determinismE0ELb0ELb0ES3_N6thrust23THRUST_200600_302600_NS6detail15normal_iteratorINS9_10device_ptrIdEEEESE_d11max_functorIdEdEEDaPvRmT3_T4_T5_mT6_P12ihipStream_tbENKUlT_T0_E_clISt17integral_constantIbLb1EESU_EEDaSP_SQ_EUlSP_E_NS1_11comp_targetILNS1_3genE10ELNS1_11target_archE1201ELNS1_3gpuE5ELNS1_3repE0EEENS1_30default_config_static_selectorELNS0_4arch9wavefront6targetE1EEEvT1_,comdat
.Lfunc_end1820:
	.size	_ZN7rocprim17ROCPRIM_400000_NS6detail17trampoline_kernelINS0_14default_configENS1_20scan_config_selectorIdEEZZNS1_9scan_implILNS1_25lookback_scan_determinismE0ELb0ELb0ES3_N6thrust23THRUST_200600_302600_NS6detail15normal_iteratorINS9_10device_ptrIdEEEESE_d11max_functorIdEdEEDaPvRmT3_T4_T5_mT6_P12ihipStream_tbENKUlT_T0_E_clISt17integral_constantIbLb1EESU_EEDaSP_SQ_EUlSP_E_NS1_11comp_targetILNS1_3genE10ELNS1_11target_archE1201ELNS1_3gpuE5ELNS1_3repE0EEENS1_30default_config_static_selectorELNS0_4arch9wavefront6targetE1EEEvT1_, .Lfunc_end1820-_ZN7rocprim17ROCPRIM_400000_NS6detail17trampoline_kernelINS0_14default_configENS1_20scan_config_selectorIdEEZZNS1_9scan_implILNS1_25lookback_scan_determinismE0ELb0ELb0ES3_N6thrust23THRUST_200600_302600_NS6detail15normal_iteratorINS9_10device_ptrIdEEEESE_d11max_functorIdEdEEDaPvRmT3_T4_T5_mT6_P12ihipStream_tbENKUlT_T0_E_clISt17integral_constantIbLb1EESU_EEDaSP_SQ_EUlSP_E_NS1_11comp_targetILNS1_3genE10ELNS1_11target_archE1201ELNS1_3gpuE5ELNS1_3repE0EEENS1_30default_config_static_selectorELNS0_4arch9wavefront6targetE1EEEvT1_
                                        ; -- End function
	.section	.AMDGPU.csdata,"",@progbits
; Kernel info:
; codeLenInByte = 0
; NumSgprs: 4
; NumVgprs: 0
; NumAgprs: 0
; TotalNumVgprs: 0
; ScratchSize: 0
; MemoryBound: 0
; FloatMode: 240
; IeeeMode: 1
; LDSByteSize: 0 bytes/workgroup (compile time only)
; SGPRBlocks: 0
; VGPRBlocks: 0
; NumSGPRsForWavesPerEU: 4
; NumVGPRsForWavesPerEU: 1
; AccumOffset: 4
; Occupancy: 8
; WaveLimiterHint : 0
; COMPUTE_PGM_RSRC2:SCRATCH_EN: 0
; COMPUTE_PGM_RSRC2:USER_SGPR: 6
; COMPUTE_PGM_RSRC2:TRAP_HANDLER: 0
; COMPUTE_PGM_RSRC2:TGID_X_EN: 1
; COMPUTE_PGM_RSRC2:TGID_Y_EN: 0
; COMPUTE_PGM_RSRC2:TGID_Z_EN: 0
; COMPUTE_PGM_RSRC2:TIDIG_COMP_CNT: 0
; COMPUTE_PGM_RSRC3_GFX90A:ACCUM_OFFSET: 0
; COMPUTE_PGM_RSRC3_GFX90A:TG_SPLIT: 0
	.section	.text._ZN7rocprim17ROCPRIM_400000_NS6detail17trampoline_kernelINS0_14default_configENS1_20scan_config_selectorIdEEZZNS1_9scan_implILNS1_25lookback_scan_determinismE0ELb0ELb0ES3_N6thrust23THRUST_200600_302600_NS6detail15normal_iteratorINS9_10device_ptrIdEEEESE_d11max_functorIdEdEEDaPvRmT3_T4_T5_mT6_P12ihipStream_tbENKUlT_T0_E_clISt17integral_constantIbLb1EESU_EEDaSP_SQ_EUlSP_E_NS1_11comp_targetILNS1_3genE10ELNS1_11target_archE1200ELNS1_3gpuE4ELNS1_3repE0EEENS1_30default_config_static_selectorELNS0_4arch9wavefront6targetE1EEEvT1_,"axG",@progbits,_ZN7rocprim17ROCPRIM_400000_NS6detail17trampoline_kernelINS0_14default_configENS1_20scan_config_selectorIdEEZZNS1_9scan_implILNS1_25lookback_scan_determinismE0ELb0ELb0ES3_N6thrust23THRUST_200600_302600_NS6detail15normal_iteratorINS9_10device_ptrIdEEEESE_d11max_functorIdEdEEDaPvRmT3_T4_T5_mT6_P12ihipStream_tbENKUlT_T0_E_clISt17integral_constantIbLb1EESU_EEDaSP_SQ_EUlSP_E_NS1_11comp_targetILNS1_3genE10ELNS1_11target_archE1200ELNS1_3gpuE4ELNS1_3repE0EEENS1_30default_config_static_selectorELNS0_4arch9wavefront6targetE1EEEvT1_,comdat
	.protected	_ZN7rocprim17ROCPRIM_400000_NS6detail17trampoline_kernelINS0_14default_configENS1_20scan_config_selectorIdEEZZNS1_9scan_implILNS1_25lookback_scan_determinismE0ELb0ELb0ES3_N6thrust23THRUST_200600_302600_NS6detail15normal_iteratorINS9_10device_ptrIdEEEESE_d11max_functorIdEdEEDaPvRmT3_T4_T5_mT6_P12ihipStream_tbENKUlT_T0_E_clISt17integral_constantIbLb1EESU_EEDaSP_SQ_EUlSP_E_NS1_11comp_targetILNS1_3genE10ELNS1_11target_archE1200ELNS1_3gpuE4ELNS1_3repE0EEENS1_30default_config_static_selectorELNS0_4arch9wavefront6targetE1EEEvT1_ ; -- Begin function _ZN7rocprim17ROCPRIM_400000_NS6detail17trampoline_kernelINS0_14default_configENS1_20scan_config_selectorIdEEZZNS1_9scan_implILNS1_25lookback_scan_determinismE0ELb0ELb0ES3_N6thrust23THRUST_200600_302600_NS6detail15normal_iteratorINS9_10device_ptrIdEEEESE_d11max_functorIdEdEEDaPvRmT3_T4_T5_mT6_P12ihipStream_tbENKUlT_T0_E_clISt17integral_constantIbLb1EESU_EEDaSP_SQ_EUlSP_E_NS1_11comp_targetILNS1_3genE10ELNS1_11target_archE1200ELNS1_3gpuE4ELNS1_3repE0EEENS1_30default_config_static_selectorELNS0_4arch9wavefront6targetE1EEEvT1_
	.globl	_ZN7rocprim17ROCPRIM_400000_NS6detail17trampoline_kernelINS0_14default_configENS1_20scan_config_selectorIdEEZZNS1_9scan_implILNS1_25lookback_scan_determinismE0ELb0ELb0ES3_N6thrust23THRUST_200600_302600_NS6detail15normal_iteratorINS9_10device_ptrIdEEEESE_d11max_functorIdEdEEDaPvRmT3_T4_T5_mT6_P12ihipStream_tbENKUlT_T0_E_clISt17integral_constantIbLb1EESU_EEDaSP_SQ_EUlSP_E_NS1_11comp_targetILNS1_3genE10ELNS1_11target_archE1200ELNS1_3gpuE4ELNS1_3repE0EEENS1_30default_config_static_selectorELNS0_4arch9wavefront6targetE1EEEvT1_
	.p2align	8
	.type	_ZN7rocprim17ROCPRIM_400000_NS6detail17trampoline_kernelINS0_14default_configENS1_20scan_config_selectorIdEEZZNS1_9scan_implILNS1_25lookback_scan_determinismE0ELb0ELb0ES3_N6thrust23THRUST_200600_302600_NS6detail15normal_iteratorINS9_10device_ptrIdEEEESE_d11max_functorIdEdEEDaPvRmT3_T4_T5_mT6_P12ihipStream_tbENKUlT_T0_E_clISt17integral_constantIbLb1EESU_EEDaSP_SQ_EUlSP_E_NS1_11comp_targetILNS1_3genE10ELNS1_11target_archE1200ELNS1_3gpuE4ELNS1_3repE0EEENS1_30default_config_static_selectorELNS0_4arch9wavefront6targetE1EEEvT1_,@function
_ZN7rocprim17ROCPRIM_400000_NS6detail17trampoline_kernelINS0_14default_configENS1_20scan_config_selectorIdEEZZNS1_9scan_implILNS1_25lookback_scan_determinismE0ELb0ELb0ES3_N6thrust23THRUST_200600_302600_NS6detail15normal_iteratorINS9_10device_ptrIdEEEESE_d11max_functorIdEdEEDaPvRmT3_T4_T5_mT6_P12ihipStream_tbENKUlT_T0_E_clISt17integral_constantIbLb1EESU_EEDaSP_SQ_EUlSP_E_NS1_11comp_targetILNS1_3genE10ELNS1_11target_archE1200ELNS1_3gpuE4ELNS1_3repE0EEENS1_30default_config_static_selectorELNS0_4arch9wavefront6targetE1EEEvT1_: ; @_ZN7rocprim17ROCPRIM_400000_NS6detail17trampoline_kernelINS0_14default_configENS1_20scan_config_selectorIdEEZZNS1_9scan_implILNS1_25lookback_scan_determinismE0ELb0ELb0ES3_N6thrust23THRUST_200600_302600_NS6detail15normal_iteratorINS9_10device_ptrIdEEEESE_d11max_functorIdEdEEDaPvRmT3_T4_T5_mT6_P12ihipStream_tbENKUlT_T0_E_clISt17integral_constantIbLb1EESU_EEDaSP_SQ_EUlSP_E_NS1_11comp_targetILNS1_3genE10ELNS1_11target_archE1200ELNS1_3gpuE4ELNS1_3repE0EEENS1_30default_config_static_selectorELNS0_4arch9wavefront6targetE1EEEvT1_
; %bb.0:
	.section	.rodata,"a",@progbits
	.p2align	6, 0x0
	.amdhsa_kernel _ZN7rocprim17ROCPRIM_400000_NS6detail17trampoline_kernelINS0_14default_configENS1_20scan_config_selectorIdEEZZNS1_9scan_implILNS1_25lookback_scan_determinismE0ELb0ELb0ES3_N6thrust23THRUST_200600_302600_NS6detail15normal_iteratorINS9_10device_ptrIdEEEESE_d11max_functorIdEdEEDaPvRmT3_T4_T5_mT6_P12ihipStream_tbENKUlT_T0_E_clISt17integral_constantIbLb1EESU_EEDaSP_SQ_EUlSP_E_NS1_11comp_targetILNS1_3genE10ELNS1_11target_archE1200ELNS1_3gpuE4ELNS1_3repE0EEENS1_30default_config_static_selectorELNS0_4arch9wavefront6targetE1EEEvT1_
		.amdhsa_group_segment_fixed_size 0
		.amdhsa_private_segment_fixed_size 0
		.amdhsa_kernarg_size 104
		.amdhsa_user_sgpr_count 6
		.amdhsa_user_sgpr_private_segment_buffer 1
		.amdhsa_user_sgpr_dispatch_ptr 0
		.amdhsa_user_sgpr_queue_ptr 0
		.amdhsa_user_sgpr_kernarg_segment_ptr 1
		.amdhsa_user_sgpr_dispatch_id 0
		.amdhsa_user_sgpr_flat_scratch_init 0
		.amdhsa_user_sgpr_kernarg_preload_length 0
		.amdhsa_user_sgpr_kernarg_preload_offset 0
		.amdhsa_user_sgpr_private_segment_size 0
		.amdhsa_uses_dynamic_stack 0
		.amdhsa_system_sgpr_private_segment_wavefront_offset 0
		.amdhsa_system_sgpr_workgroup_id_x 1
		.amdhsa_system_sgpr_workgroup_id_y 0
		.amdhsa_system_sgpr_workgroup_id_z 0
		.amdhsa_system_sgpr_workgroup_info 0
		.amdhsa_system_vgpr_workitem_id 0
		.amdhsa_next_free_vgpr 1
		.amdhsa_next_free_sgpr 0
		.amdhsa_accum_offset 4
		.amdhsa_reserve_vcc 0
		.amdhsa_reserve_flat_scratch 0
		.amdhsa_float_round_mode_32 0
		.amdhsa_float_round_mode_16_64 0
		.amdhsa_float_denorm_mode_32 3
		.amdhsa_float_denorm_mode_16_64 3
		.amdhsa_dx10_clamp 1
		.amdhsa_ieee_mode 1
		.amdhsa_fp16_overflow 0
		.amdhsa_tg_split 0
		.amdhsa_exception_fp_ieee_invalid_op 0
		.amdhsa_exception_fp_denorm_src 0
		.amdhsa_exception_fp_ieee_div_zero 0
		.amdhsa_exception_fp_ieee_overflow 0
		.amdhsa_exception_fp_ieee_underflow 0
		.amdhsa_exception_fp_ieee_inexact 0
		.amdhsa_exception_int_div_zero 0
	.end_amdhsa_kernel
	.section	.text._ZN7rocprim17ROCPRIM_400000_NS6detail17trampoline_kernelINS0_14default_configENS1_20scan_config_selectorIdEEZZNS1_9scan_implILNS1_25lookback_scan_determinismE0ELb0ELb0ES3_N6thrust23THRUST_200600_302600_NS6detail15normal_iteratorINS9_10device_ptrIdEEEESE_d11max_functorIdEdEEDaPvRmT3_T4_T5_mT6_P12ihipStream_tbENKUlT_T0_E_clISt17integral_constantIbLb1EESU_EEDaSP_SQ_EUlSP_E_NS1_11comp_targetILNS1_3genE10ELNS1_11target_archE1200ELNS1_3gpuE4ELNS1_3repE0EEENS1_30default_config_static_selectorELNS0_4arch9wavefront6targetE1EEEvT1_,"axG",@progbits,_ZN7rocprim17ROCPRIM_400000_NS6detail17trampoline_kernelINS0_14default_configENS1_20scan_config_selectorIdEEZZNS1_9scan_implILNS1_25lookback_scan_determinismE0ELb0ELb0ES3_N6thrust23THRUST_200600_302600_NS6detail15normal_iteratorINS9_10device_ptrIdEEEESE_d11max_functorIdEdEEDaPvRmT3_T4_T5_mT6_P12ihipStream_tbENKUlT_T0_E_clISt17integral_constantIbLb1EESU_EEDaSP_SQ_EUlSP_E_NS1_11comp_targetILNS1_3genE10ELNS1_11target_archE1200ELNS1_3gpuE4ELNS1_3repE0EEENS1_30default_config_static_selectorELNS0_4arch9wavefront6targetE1EEEvT1_,comdat
.Lfunc_end1821:
	.size	_ZN7rocprim17ROCPRIM_400000_NS6detail17trampoline_kernelINS0_14default_configENS1_20scan_config_selectorIdEEZZNS1_9scan_implILNS1_25lookback_scan_determinismE0ELb0ELb0ES3_N6thrust23THRUST_200600_302600_NS6detail15normal_iteratorINS9_10device_ptrIdEEEESE_d11max_functorIdEdEEDaPvRmT3_T4_T5_mT6_P12ihipStream_tbENKUlT_T0_E_clISt17integral_constantIbLb1EESU_EEDaSP_SQ_EUlSP_E_NS1_11comp_targetILNS1_3genE10ELNS1_11target_archE1200ELNS1_3gpuE4ELNS1_3repE0EEENS1_30default_config_static_selectorELNS0_4arch9wavefront6targetE1EEEvT1_, .Lfunc_end1821-_ZN7rocprim17ROCPRIM_400000_NS6detail17trampoline_kernelINS0_14default_configENS1_20scan_config_selectorIdEEZZNS1_9scan_implILNS1_25lookback_scan_determinismE0ELb0ELb0ES3_N6thrust23THRUST_200600_302600_NS6detail15normal_iteratorINS9_10device_ptrIdEEEESE_d11max_functorIdEdEEDaPvRmT3_T4_T5_mT6_P12ihipStream_tbENKUlT_T0_E_clISt17integral_constantIbLb1EESU_EEDaSP_SQ_EUlSP_E_NS1_11comp_targetILNS1_3genE10ELNS1_11target_archE1200ELNS1_3gpuE4ELNS1_3repE0EEENS1_30default_config_static_selectorELNS0_4arch9wavefront6targetE1EEEvT1_
                                        ; -- End function
	.section	.AMDGPU.csdata,"",@progbits
; Kernel info:
; codeLenInByte = 0
; NumSgprs: 4
; NumVgprs: 0
; NumAgprs: 0
; TotalNumVgprs: 0
; ScratchSize: 0
; MemoryBound: 0
; FloatMode: 240
; IeeeMode: 1
; LDSByteSize: 0 bytes/workgroup (compile time only)
; SGPRBlocks: 0
; VGPRBlocks: 0
; NumSGPRsForWavesPerEU: 4
; NumVGPRsForWavesPerEU: 1
; AccumOffset: 4
; Occupancy: 8
; WaveLimiterHint : 0
; COMPUTE_PGM_RSRC2:SCRATCH_EN: 0
; COMPUTE_PGM_RSRC2:USER_SGPR: 6
; COMPUTE_PGM_RSRC2:TRAP_HANDLER: 0
; COMPUTE_PGM_RSRC2:TGID_X_EN: 1
; COMPUTE_PGM_RSRC2:TGID_Y_EN: 0
; COMPUTE_PGM_RSRC2:TGID_Z_EN: 0
; COMPUTE_PGM_RSRC2:TIDIG_COMP_CNT: 0
; COMPUTE_PGM_RSRC3_GFX90A:ACCUM_OFFSET: 0
; COMPUTE_PGM_RSRC3_GFX90A:TG_SPLIT: 0
	.section	.text._ZN7rocprim17ROCPRIM_400000_NS6detail17trampoline_kernelINS0_14default_configENS1_20scan_config_selectorIdEEZZNS1_9scan_implILNS1_25lookback_scan_determinismE0ELb0ELb0ES3_N6thrust23THRUST_200600_302600_NS6detail15normal_iteratorINS9_10device_ptrIdEEEESE_d11max_functorIdEdEEDaPvRmT3_T4_T5_mT6_P12ihipStream_tbENKUlT_T0_E_clISt17integral_constantIbLb1EESU_EEDaSP_SQ_EUlSP_E_NS1_11comp_targetILNS1_3genE9ELNS1_11target_archE1100ELNS1_3gpuE3ELNS1_3repE0EEENS1_30default_config_static_selectorELNS0_4arch9wavefront6targetE1EEEvT1_,"axG",@progbits,_ZN7rocprim17ROCPRIM_400000_NS6detail17trampoline_kernelINS0_14default_configENS1_20scan_config_selectorIdEEZZNS1_9scan_implILNS1_25lookback_scan_determinismE0ELb0ELb0ES3_N6thrust23THRUST_200600_302600_NS6detail15normal_iteratorINS9_10device_ptrIdEEEESE_d11max_functorIdEdEEDaPvRmT3_T4_T5_mT6_P12ihipStream_tbENKUlT_T0_E_clISt17integral_constantIbLb1EESU_EEDaSP_SQ_EUlSP_E_NS1_11comp_targetILNS1_3genE9ELNS1_11target_archE1100ELNS1_3gpuE3ELNS1_3repE0EEENS1_30default_config_static_selectorELNS0_4arch9wavefront6targetE1EEEvT1_,comdat
	.protected	_ZN7rocprim17ROCPRIM_400000_NS6detail17trampoline_kernelINS0_14default_configENS1_20scan_config_selectorIdEEZZNS1_9scan_implILNS1_25lookback_scan_determinismE0ELb0ELb0ES3_N6thrust23THRUST_200600_302600_NS6detail15normal_iteratorINS9_10device_ptrIdEEEESE_d11max_functorIdEdEEDaPvRmT3_T4_T5_mT6_P12ihipStream_tbENKUlT_T0_E_clISt17integral_constantIbLb1EESU_EEDaSP_SQ_EUlSP_E_NS1_11comp_targetILNS1_3genE9ELNS1_11target_archE1100ELNS1_3gpuE3ELNS1_3repE0EEENS1_30default_config_static_selectorELNS0_4arch9wavefront6targetE1EEEvT1_ ; -- Begin function _ZN7rocprim17ROCPRIM_400000_NS6detail17trampoline_kernelINS0_14default_configENS1_20scan_config_selectorIdEEZZNS1_9scan_implILNS1_25lookback_scan_determinismE0ELb0ELb0ES3_N6thrust23THRUST_200600_302600_NS6detail15normal_iteratorINS9_10device_ptrIdEEEESE_d11max_functorIdEdEEDaPvRmT3_T4_T5_mT6_P12ihipStream_tbENKUlT_T0_E_clISt17integral_constantIbLb1EESU_EEDaSP_SQ_EUlSP_E_NS1_11comp_targetILNS1_3genE9ELNS1_11target_archE1100ELNS1_3gpuE3ELNS1_3repE0EEENS1_30default_config_static_selectorELNS0_4arch9wavefront6targetE1EEEvT1_
	.globl	_ZN7rocprim17ROCPRIM_400000_NS6detail17trampoline_kernelINS0_14default_configENS1_20scan_config_selectorIdEEZZNS1_9scan_implILNS1_25lookback_scan_determinismE0ELb0ELb0ES3_N6thrust23THRUST_200600_302600_NS6detail15normal_iteratorINS9_10device_ptrIdEEEESE_d11max_functorIdEdEEDaPvRmT3_T4_T5_mT6_P12ihipStream_tbENKUlT_T0_E_clISt17integral_constantIbLb1EESU_EEDaSP_SQ_EUlSP_E_NS1_11comp_targetILNS1_3genE9ELNS1_11target_archE1100ELNS1_3gpuE3ELNS1_3repE0EEENS1_30default_config_static_selectorELNS0_4arch9wavefront6targetE1EEEvT1_
	.p2align	8
	.type	_ZN7rocprim17ROCPRIM_400000_NS6detail17trampoline_kernelINS0_14default_configENS1_20scan_config_selectorIdEEZZNS1_9scan_implILNS1_25lookback_scan_determinismE0ELb0ELb0ES3_N6thrust23THRUST_200600_302600_NS6detail15normal_iteratorINS9_10device_ptrIdEEEESE_d11max_functorIdEdEEDaPvRmT3_T4_T5_mT6_P12ihipStream_tbENKUlT_T0_E_clISt17integral_constantIbLb1EESU_EEDaSP_SQ_EUlSP_E_NS1_11comp_targetILNS1_3genE9ELNS1_11target_archE1100ELNS1_3gpuE3ELNS1_3repE0EEENS1_30default_config_static_selectorELNS0_4arch9wavefront6targetE1EEEvT1_,@function
_ZN7rocprim17ROCPRIM_400000_NS6detail17trampoline_kernelINS0_14default_configENS1_20scan_config_selectorIdEEZZNS1_9scan_implILNS1_25lookback_scan_determinismE0ELb0ELb0ES3_N6thrust23THRUST_200600_302600_NS6detail15normal_iteratorINS9_10device_ptrIdEEEESE_d11max_functorIdEdEEDaPvRmT3_T4_T5_mT6_P12ihipStream_tbENKUlT_T0_E_clISt17integral_constantIbLb1EESU_EEDaSP_SQ_EUlSP_E_NS1_11comp_targetILNS1_3genE9ELNS1_11target_archE1100ELNS1_3gpuE3ELNS1_3repE0EEENS1_30default_config_static_selectorELNS0_4arch9wavefront6targetE1EEEvT1_: ; @_ZN7rocprim17ROCPRIM_400000_NS6detail17trampoline_kernelINS0_14default_configENS1_20scan_config_selectorIdEEZZNS1_9scan_implILNS1_25lookback_scan_determinismE0ELb0ELb0ES3_N6thrust23THRUST_200600_302600_NS6detail15normal_iteratorINS9_10device_ptrIdEEEESE_d11max_functorIdEdEEDaPvRmT3_T4_T5_mT6_P12ihipStream_tbENKUlT_T0_E_clISt17integral_constantIbLb1EESU_EEDaSP_SQ_EUlSP_E_NS1_11comp_targetILNS1_3genE9ELNS1_11target_archE1100ELNS1_3gpuE3ELNS1_3repE0EEENS1_30default_config_static_selectorELNS0_4arch9wavefront6targetE1EEEvT1_
; %bb.0:
	.section	.rodata,"a",@progbits
	.p2align	6, 0x0
	.amdhsa_kernel _ZN7rocprim17ROCPRIM_400000_NS6detail17trampoline_kernelINS0_14default_configENS1_20scan_config_selectorIdEEZZNS1_9scan_implILNS1_25lookback_scan_determinismE0ELb0ELb0ES3_N6thrust23THRUST_200600_302600_NS6detail15normal_iteratorINS9_10device_ptrIdEEEESE_d11max_functorIdEdEEDaPvRmT3_T4_T5_mT6_P12ihipStream_tbENKUlT_T0_E_clISt17integral_constantIbLb1EESU_EEDaSP_SQ_EUlSP_E_NS1_11comp_targetILNS1_3genE9ELNS1_11target_archE1100ELNS1_3gpuE3ELNS1_3repE0EEENS1_30default_config_static_selectorELNS0_4arch9wavefront6targetE1EEEvT1_
		.amdhsa_group_segment_fixed_size 0
		.amdhsa_private_segment_fixed_size 0
		.amdhsa_kernarg_size 104
		.amdhsa_user_sgpr_count 6
		.amdhsa_user_sgpr_private_segment_buffer 1
		.amdhsa_user_sgpr_dispatch_ptr 0
		.amdhsa_user_sgpr_queue_ptr 0
		.amdhsa_user_sgpr_kernarg_segment_ptr 1
		.amdhsa_user_sgpr_dispatch_id 0
		.amdhsa_user_sgpr_flat_scratch_init 0
		.amdhsa_user_sgpr_kernarg_preload_length 0
		.amdhsa_user_sgpr_kernarg_preload_offset 0
		.amdhsa_user_sgpr_private_segment_size 0
		.amdhsa_uses_dynamic_stack 0
		.amdhsa_system_sgpr_private_segment_wavefront_offset 0
		.amdhsa_system_sgpr_workgroup_id_x 1
		.amdhsa_system_sgpr_workgroup_id_y 0
		.amdhsa_system_sgpr_workgroup_id_z 0
		.amdhsa_system_sgpr_workgroup_info 0
		.amdhsa_system_vgpr_workitem_id 0
		.amdhsa_next_free_vgpr 1
		.amdhsa_next_free_sgpr 0
		.amdhsa_accum_offset 4
		.amdhsa_reserve_vcc 0
		.amdhsa_reserve_flat_scratch 0
		.amdhsa_float_round_mode_32 0
		.amdhsa_float_round_mode_16_64 0
		.amdhsa_float_denorm_mode_32 3
		.amdhsa_float_denorm_mode_16_64 3
		.amdhsa_dx10_clamp 1
		.amdhsa_ieee_mode 1
		.amdhsa_fp16_overflow 0
		.amdhsa_tg_split 0
		.amdhsa_exception_fp_ieee_invalid_op 0
		.amdhsa_exception_fp_denorm_src 0
		.amdhsa_exception_fp_ieee_div_zero 0
		.amdhsa_exception_fp_ieee_overflow 0
		.amdhsa_exception_fp_ieee_underflow 0
		.amdhsa_exception_fp_ieee_inexact 0
		.amdhsa_exception_int_div_zero 0
	.end_amdhsa_kernel
	.section	.text._ZN7rocprim17ROCPRIM_400000_NS6detail17trampoline_kernelINS0_14default_configENS1_20scan_config_selectorIdEEZZNS1_9scan_implILNS1_25lookback_scan_determinismE0ELb0ELb0ES3_N6thrust23THRUST_200600_302600_NS6detail15normal_iteratorINS9_10device_ptrIdEEEESE_d11max_functorIdEdEEDaPvRmT3_T4_T5_mT6_P12ihipStream_tbENKUlT_T0_E_clISt17integral_constantIbLb1EESU_EEDaSP_SQ_EUlSP_E_NS1_11comp_targetILNS1_3genE9ELNS1_11target_archE1100ELNS1_3gpuE3ELNS1_3repE0EEENS1_30default_config_static_selectorELNS0_4arch9wavefront6targetE1EEEvT1_,"axG",@progbits,_ZN7rocprim17ROCPRIM_400000_NS6detail17trampoline_kernelINS0_14default_configENS1_20scan_config_selectorIdEEZZNS1_9scan_implILNS1_25lookback_scan_determinismE0ELb0ELb0ES3_N6thrust23THRUST_200600_302600_NS6detail15normal_iteratorINS9_10device_ptrIdEEEESE_d11max_functorIdEdEEDaPvRmT3_T4_T5_mT6_P12ihipStream_tbENKUlT_T0_E_clISt17integral_constantIbLb1EESU_EEDaSP_SQ_EUlSP_E_NS1_11comp_targetILNS1_3genE9ELNS1_11target_archE1100ELNS1_3gpuE3ELNS1_3repE0EEENS1_30default_config_static_selectorELNS0_4arch9wavefront6targetE1EEEvT1_,comdat
.Lfunc_end1822:
	.size	_ZN7rocprim17ROCPRIM_400000_NS6detail17trampoline_kernelINS0_14default_configENS1_20scan_config_selectorIdEEZZNS1_9scan_implILNS1_25lookback_scan_determinismE0ELb0ELb0ES3_N6thrust23THRUST_200600_302600_NS6detail15normal_iteratorINS9_10device_ptrIdEEEESE_d11max_functorIdEdEEDaPvRmT3_T4_T5_mT6_P12ihipStream_tbENKUlT_T0_E_clISt17integral_constantIbLb1EESU_EEDaSP_SQ_EUlSP_E_NS1_11comp_targetILNS1_3genE9ELNS1_11target_archE1100ELNS1_3gpuE3ELNS1_3repE0EEENS1_30default_config_static_selectorELNS0_4arch9wavefront6targetE1EEEvT1_, .Lfunc_end1822-_ZN7rocprim17ROCPRIM_400000_NS6detail17trampoline_kernelINS0_14default_configENS1_20scan_config_selectorIdEEZZNS1_9scan_implILNS1_25lookback_scan_determinismE0ELb0ELb0ES3_N6thrust23THRUST_200600_302600_NS6detail15normal_iteratorINS9_10device_ptrIdEEEESE_d11max_functorIdEdEEDaPvRmT3_T4_T5_mT6_P12ihipStream_tbENKUlT_T0_E_clISt17integral_constantIbLb1EESU_EEDaSP_SQ_EUlSP_E_NS1_11comp_targetILNS1_3genE9ELNS1_11target_archE1100ELNS1_3gpuE3ELNS1_3repE0EEENS1_30default_config_static_selectorELNS0_4arch9wavefront6targetE1EEEvT1_
                                        ; -- End function
	.section	.AMDGPU.csdata,"",@progbits
; Kernel info:
; codeLenInByte = 0
; NumSgprs: 4
; NumVgprs: 0
; NumAgprs: 0
; TotalNumVgprs: 0
; ScratchSize: 0
; MemoryBound: 0
; FloatMode: 240
; IeeeMode: 1
; LDSByteSize: 0 bytes/workgroup (compile time only)
; SGPRBlocks: 0
; VGPRBlocks: 0
; NumSGPRsForWavesPerEU: 4
; NumVGPRsForWavesPerEU: 1
; AccumOffset: 4
; Occupancy: 8
; WaveLimiterHint : 0
; COMPUTE_PGM_RSRC2:SCRATCH_EN: 0
; COMPUTE_PGM_RSRC2:USER_SGPR: 6
; COMPUTE_PGM_RSRC2:TRAP_HANDLER: 0
; COMPUTE_PGM_RSRC2:TGID_X_EN: 1
; COMPUTE_PGM_RSRC2:TGID_Y_EN: 0
; COMPUTE_PGM_RSRC2:TGID_Z_EN: 0
; COMPUTE_PGM_RSRC2:TIDIG_COMP_CNT: 0
; COMPUTE_PGM_RSRC3_GFX90A:ACCUM_OFFSET: 0
; COMPUTE_PGM_RSRC3_GFX90A:TG_SPLIT: 0
	.section	.text._ZN7rocprim17ROCPRIM_400000_NS6detail17trampoline_kernelINS0_14default_configENS1_20scan_config_selectorIdEEZZNS1_9scan_implILNS1_25lookback_scan_determinismE0ELb0ELb0ES3_N6thrust23THRUST_200600_302600_NS6detail15normal_iteratorINS9_10device_ptrIdEEEESE_d11max_functorIdEdEEDaPvRmT3_T4_T5_mT6_P12ihipStream_tbENKUlT_T0_E_clISt17integral_constantIbLb1EESU_EEDaSP_SQ_EUlSP_E_NS1_11comp_targetILNS1_3genE8ELNS1_11target_archE1030ELNS1_3gpuE2ELNS1_3repE0EEENS1_30default_config_static_selectorELNS0_4arch9wavefront6targetE1EEEvT1_,"axG",@progbits,_ZN7rocprim17ROCPRIM_400000_NS6detail17trampoline_kernelINS0_14default_configENS1_20scan_config_selectorIdEEZZNS1_9scan_implILNS1_25lookback_scan_determinismE0ELb0ELb0ES3_N6thrust23THRUST_200600_302600_NS6detail15normal_iteratorINS9_10device_ptrIdEEEESE_d11max_functorIdEdEEDaPvRmT3_T4_T5_mT6_P12ihipStream_tbENKUlT_T0_E_clISt17integral_constantIbLb1EESU_EEDaSP_SQ_EUlSP_E_NS1_11comp_targetILNS1_3genE8ELNS1_11target_archE1030ELNS1_3gpuE2ELNS1_3repE0EEENS1_30default_config_static_selectorELNS0_4arch9wavefront6targetE1EEEvT1_,comdat
	.protected	_ZN7rocprim17ROCPRIM_400000_NS6detail17trampoline_kernelINS0_14default_configENS1_20scan_config_selectorIdEEZZNS1_9scan_implILNS1_25lookback_scan_determinismE0ELb0ELb0ES3_N6thrust23THRUST_200600_302600_NS6detail15normal_iteratorINS9_10device_ptrIdEEEESE_d11max_functorIdEdEEDaPvRmT3_T4_T5_mT6_P12ihipStream_tbENKUlT_T0_E_clISt17integral_constantIbLb1EESU_EEDaSP_SQ_EUlSP_E_NS1_11comp_targetILNS1_3genE8ELNS1_11target_archE1030ELNS1_3gpuE2ELNS1_3repE0EEENS1_30default_config_static_selectorELNS0_4arch9wavefront6targetE1EEEvT1_ ; -- Begin function _ZN7rocprim17ROCPRIM_400000_NS6detail17trampoline_kernelINS0_14default_configENS1_20scan_config_selectorIdEEZZNS1_9scan_implILNS1_25lookback_scan_determinismE0ELb0ELb0ES3_N6thrust23THRUST_200600_302600_NS6detail15normal_iteratorINS9_10device_ptrIdEEEESE_d11max_functorIdEdEEDaPvRmT3_T4_T5_mT6_P12ihipStream_tbENKUlT_T0_E_clISt17integral_constantIbLb1EESU_EEDaSP_SQ_EUlSP_E_NS1_11comp_targetILNS1_3genE8ELNS1_11target_archE1030ELNS1_3gpuE2ELNS1_3repE0EEENS1_30default_config_static_selectorELNS0_4arch9wavefront6targetE1EEEvT1_
	.globl	_ZN7rocprim17ROCPRIM_400000_NS6detail17trampoline_kernelINS0_14default_configENS1_20scan_config_selectorIdEEZZNS1_9scan_implILNS1_25lookback_scan_determinismE0ELb0ELb0ES3_N6thrust23THRUST_200600_302600_NS6detail15normal_iteratorINS9_10device_ptrIdEEEESE_d11max_functorIdEdEEDaPvRmT3_T4_T5_mT6_P12ihipStream_tbENKUlT_T0_E_clISt17integral_constantIbLb1EESU_EEDaSP_SQ_EUlSP_E_NS1_11comp_targetILNS1_3genE8ELNS1_11target_archE1030ELNS1_3gpuE2ELNS1_3repE0EEENS1_30default_config_static_selectorELNS0_4arch9wavefront6targetE1EEEvT1_
	.p2align	8
	.type	_ZN7rocprim17ROCPRIM_400000_NS6detail17trampoline_kernelINS0_14default_configENS1_20scan_config_selectorIdEEZZNS1_9scan_implILNS1_25lookback_scan_determinismE0ELb0ELb0ES3_N6thrust23THRUST_200600_302600_NS6detail15normal_iteratorINS9_10device_ptrIdEEEESE_d11max_functorIdEdEEDaPvRmT3_T4_T5_mT6_P12ihipStream_tbENKUlT_T0_E_clISt17integral_constantIbLb1EESU_EEDaSP_SQ_EUlSP_E_NS1_11comp_targetILNS1_3genE8ELNS1_11target_archE1030ELNS1_3gpuE2ELNS1_3repE0EEENS1_30default_config_static_selectorELNS0_4arch9wavefront6targetE1EEEvT1_,@function
_ZN7rocprim17ROCPRIM_400000_NS6detail17trampoline_kernelINS0_14default_configENS1_20scan_config_selectorIdEEZZNS1_9scan_implILNS1_25lookback_scan_determinismE0ELb0ELb0ES3_N6thrust23THRUST_200600_302600_NS6detail15normal_iteratorINS9_10device_ptrIdEEEESE_d11max_functorIdEdEEDaPvRmT3_T4_T5_mT6_P12ihipStream_tbENKUlT_T0_E_clISt17integral_constantIbLb1EESU_EEDaSP_SQ_EUlSP_E_NS1_11comp_targetILNS1_3genE8ELNS1_11target_archE1030ELNS1_3gpuE2ELNS1_3repE0EEENS1_30default_config_static_selectorELNS0_4arch9wavefront6targetE1EEEvT1_: ; @_ZN7rocprim17ROCPRIM_400000_NS6detail17trampoline_kernelINS0_14default_configENS1_20scan_config_selectorIdEEZZNS1_9scan_implILNS1_25lookback_scan_determinismE0ELb0ELb0ES3_N6thrust23THRUST_200600_302600_NS6detail15normal_iteratorINS9_10device_ptrIdEEEESE_d11max_functorIdEdEEDaPvRmT3_T4_T5_mT6_P12ihipStream_tbENKUlT_T0_E_clISt17integral_constantIbLb1EESU_EEDaSP_SQ_EUlSP_E_NS1_11comp_targetILNS1_3genE8ELNS1_11target_archE1030ELNS1_3gpuE2ELNS1_3repE0EEENS1_30default_config_static_selectorELNS0_4arch9wavefront6targetE1EEEvT1_
; %bb.0:
	.section	.rodata,"a",@progbits
	.p2align	6, 0x0
	.amdhsa_kernel _ZN7rocprim17ROCPRIM_400000_NS6detail17trampoline_kernelINS0_14default_configENS1_20scan_config_selectorIdEEZZNS1_9scan_implILNS1_25lookback_scan_determinismE0ELb0ELb0ES3_N6thrust23THRUST_200600_302600_NS6detail15normal_iteratorINS9_10device_ptrIdEEEESE_d11max_functorIdEdEEDaPvRmT3_T4_T5_mT6_P12ihipStream_tbENKUlT_T0_E_clISt17integral_constantIbLb1EESU_EEDaSP_SQ_EUlSP_E_NS1_11comp_targetILNS1_3genE8ELNS1_11target_archE1030ELNS1_3gpuE2ELNS1_3repE0EEENS1_30default_config_static_selectorELNS0_4arch9wavefront6targetE1EEEvT1_
		.amdhsa_group_segment_fixed_size 0
		.amdhsa_private_segment_fixed_size 0
		.amdhsa_kernarg_size 104
		.amdhsa_user_sgpr_count 6
		.amdhsa_user_sgpr_private_segment_buffer 1
		.amdhsa_user_sgpr_dispatch_ptr 0
		.amdhsa_user_sgpr_queue_ptr 0
		.amdhsa_user_sgpr_kernarg_segment_ptr 1
		.amdhsa_user_sgpr_dispatch_id 0
		.amdhsa_user_sgpr_flat_scratch_init 0
		.amdhsa_user_sgpr_kernarg_preload_length 0
		.amdhsa_user_sgpr_kernarg_preload_offset 0
		.amdhsa_user_sgpr_private_segment_size 0
		.amdhsa_uses_dynamic_stack 0
		.amdhsa_system_sgpr_private_segment_wavefront_offset 0
		.amdhsa_system_sgpr_workgroup_id_x 1
		.amdhsa_system_sgpr_workgroup_id_y 0
		.amdhsa_system_sgpr_workgroup_id_z 0
		.amdhsa_system_sgpr_workgroup_info 0
		.amdhsa_system_vgpr_workitem_id 0
		.amdhsa_next_free_vgpr 1
		.amdhsa_next_free_sgpr 0
		.amdhsa_accum_offset 4
		.amdhsa_reserve_vcc 0
		.amdhsa_reserve_flat_scratch 0
		.amdhsa_float_round_mode_32 0
		.amdhsa_float_round_mode_16_64 0
		.amdhsa_float_denorm_mode_32 3
		.amdhsa_float_denorm_mode_16_64 3
		.amdhsa_dx10_clamp 1
		.amdhsa_ieee_mode 1
		.amdhsa_fp16_overflow 0
		.amdhsa_tg_split 0
		.amdhsa_exception_fp_ieee_invalid_op 0
		.amdhsa_exception_fp_denorm_src 0
		.amdhsa_exception_fp_ieee_div_zero 0
		.amdhsa_exception_fp_ieee_overflow 0
		.amdhsa_exception_fp_ieee_underflow 0
		.amdhsa_exception_fp_ieee_inexact 0
		.amdhsa_exception_int_div_zero 0
	.end_amdhsa_kernel
	.section	.text._ZN7rocprim17ROCPRIM_400000_NS6detail17trampoline_kernelINS0_14default_configENS1_20scan_config_selectorIdEEZZNS1_9scan_implILNS1_25lookback_scan_determinismE0ELb0ELb0ES3_N6thrust23THRUST_200600_302600_NS6detail15normal_iteratorINS9_10device_ptrIdEEEESE_d11max_functorIdEdEEDaPvRmT3_T4_T5_mT6_P12ihipStream_tbENKUlT_T0_E_clISt17integral_constantIbLb1EESU_EEDaSP_SQ_EUlSP_E_NS1_11comp_targetILNS1_3genE8ELNS1_11target_archE1030ELNS1_3gpuE2ELNS1_3repE0EEENS1_30default_config_static_selectorELNS0_4arch9wavefront6targetE1EEEvT1_,"axG",@progbits,_ZN7rocprim17ROCPRIM_400000_NS6detail17trampoline_kernelINS0_14default_configENS1_20scan_config_selectorIdEEZZNS1_9scan_implILNS1_25lookback_scan_determinismE0ELb0ELb0ES3_N6thrust23THRUST_200600_302600_NS6detail15normal_iteratorINS9_10device_ptrIdEEEESE_d11max_functorIdEdEEDaPvRmT3_T4_T5_mT6_P12ihipStream_tbENKUlT_T0_E_clISt17integral_constantIbLb1EESU_EEDaSP_SQ_EUlSP_E_NS1_11comp_targetILNS1_3genE8ELNS1_11target_archE1030ELNS1_3gpuE2ELNS1_3repE0EEENS1_30default_config_static_selectorELNS0_4arch9wavefront6targetE1EEEvT1_,comdat
.Lfunc_end1823:
	.size	_ZN7rocprim17ROCPRIM_400000_NS6detail17trampoline_kernelINS0_14default_configENS1_20scan_config_selectorIdEEZZNS1_9scan_implILNS1_25lookback_scan_determinismE0ELb0ELb0ES3_N6thrust23THRUST_200600_302600_NS6detail15normal_iteratorINS9_10device_ptrIdEEEESE_d11max_functorIdEdEEDaPvRmT3_T4_T5_mT6_P12ihipStream_tbENKUlT_T0_E_clISt17integral_constantIbLb1EESU_EEDaSP_SQ_EUlSP_E_NS1_11comp_targetILNS1_3genE8ELNS1_11target_archE1030ELNS1_3gpuE2ELNS1_3repE0EEENS1_30default_config_static_selectorELNS0_4arch9wavefront6targetE1EEEvT1_, .Lfunc_end1823-_ZN7rocprim17ROCPRIM_400000_NS6detail17trampoline_kernelINS0_14default_configENS1_20scan_config_selectorIdEEZZNS1_9scan_implILNS1_25lookback_scan_determinismE0ELb0ELb0ES3_N6thrust23THRUST_200600_302600_NS6detail15normal_iteratorINS9_10device_ptrIdEEEESE_d11max_functorIdEdEEDaPvRmT3_T4_T5_mT6_P12ihipStream_tbENKUlT_T0_E_clISt17integral_constantIbLb1EESU_EEDaSP_SQ_EUlSP_E_NS1_11comp_targetILNS1_3genE8ELNS1_11target_archE1030ELNS1_3gpuE2ELNS1_3repE0EEENS1_30default_config_static_selectorELNS0_4arch9wavefront6targetE1EEEvT1_
                                        ; -- End function
	.section	.AMDGPU.csdata,"",@progbits
; Kernel info:
; codeLenInByte = 0
; NumSgprs: 4
; NumVgprs: 0
; NumAgprs: 0
; TotalNumVgprs: 0
; ScratchSize: 0
; MemoryBound: 0
; FloatMode: 240
; IeeeMode: 1
; LDSByteSize: 0 bytes/workgroup (compile time only)
; SGPRBlocks: 0
; VGPRBlocks: 0
; NumSGPRsForWavesPerEU: 4
; NumVGPRsForWavesPerEU: 1
; AccumOffset: 4
; Occupancy: 8
; WaveLimiterHint : 0
; COMPUTE_PGM_RSRC2:SCRATCH_EN: 0
; COMPUTE_PGM_RSRC2:USER_SGPR: 6
; COMPUTE_PGM_RSRC2:TRAP_HANDLER: 0
; COMPUTE_PGM_RSRC2:TGID_X_EN: 1
; COMPUTE_PGM_RSRC2:TGID_Y_EN: 0
; COMPUTE_PGM_RSRC2:TGID_Z_EN: 0
; COMPUTE_PGM_RSRC2:TIDIG_COMP_CNT: 0
; COMPUTE_PGM_RSRC3_GFX90A:ACCUM_OFFSET: 0
; COMPUTE_PGM_RSRC3_GFX90A:TG_SPLIT: 0
	.section	.text._ZN7rocprim17ROCPRIM_400000_NS6detail17trampoline_kernelINS0_14default_configENS1_20scan_config_selectorIdEEZZNS1_9scan_implILNS1_25lookback_scan_determinismE0ELb0ELb0ES3_N6thrust23THRUST_200600_302600_NS6detail15normal_iteratorINS9_10device_ptrIdEEEESE_d11max_functorIdEdEEDaPvRmT3_T4_T5_mT6_P12ihipStream_tbENKUlT_T0_E_clISt17integral_constantIbLb1EESU_EEDaSP_SQ_EUlSP_E0_NS1_11comp_targetILNS1_3genE0ELNS1_11target_archE4294967295ELNS1_3gpuE0ELNS1_3repE0EEENS1_30default_config_static_selectorELNS0_4arch9wavefront6targetE1EEEvT1_,"axG",@progbits,_ZN7rocprim17ROCPRIM_400000_NS6detail17trampoline_kernelINS0_14default_configENS1_20scan_config_selectorIdEEZZNS1_9scan_implILNS1_25lookback_scan_determinismE0ELb0ELb0ES3_N6thrust23THRUST_200600_302600_NS6detail15normal_iteratorINS9_10device_ptrIdEEEESE_d11max_functorIdEdEEDaPvRmT3_T4_T5_mT6_P12ihipStream_tbENKUlT_T0_E_clISt17integral_constantIbLb1EESU_EEDaSP_SQ_EUlSP_E0_NS1_11comp_targetILNS1_3genE0ELNS1_11target_archE4294967295ELNS1_3gpuE0ELNS1_3repE0EEENS1_30default_config_static_selectorELNS0_4arch9wavefront6targetE1EEEvT1_,comdat
	.protected	_ZN7rocprim17ROCPRIM_400000_NS6detail17trampoline_kernelINS0_14default_configENS1_20scan_config_selectorIdEEZZNS1_9scan_implILNS1_25lookback_scan_determinismE0ELb0ELb0ES3_N6thrust23THRUST_200600_302600_NS6detail15normal_iteratorINS9_10device_ptrIdEEEESE_d11max_functorIdEdEEDaPvRmT3_T4_T5_mT6_P12ihipStream_tbENKUlT_T0_E_clISt17integral_constantIbLb1EESU_EEDaSP_SQ_EUlSP_E0_NS1_11comp_targetILNS1_3genE0ELNS1_11target_archE4294967295ELNS1_3gpuE0ELNS1_3repE0EEENS1_30default_config_static_selectorELNS0_4arch9wavefront6targetE1EEEvT1_ ; -- Begin function _ZN7rocprim17ROCPRIM_400000_NS6detail17trampoline_kernelINS0_14default_configENS1_20scan_config_selectorIdEEZZNS1_9scan_implILNS1_25lookback_scan_determinismE0ELb0ELb0ES3_N6thrust23THRUST_200600_302600_NS6detail15normal_iteratorINS9_10device_ptrIdEEEESE_d11max_functorIdEdEEDaPvRmT3_T4_T5_mT6_P12ihipStream_tbENKUlT_T0_E_clISt17integral_constantIbLb1EESU_EEDaSP_SQ_EUlSP_E0_NS1_11comp_targetILNS1_3genE0ELNS1_11target_archE4294967295ELNS1_3gpuE0ELNS1_3repE0EEENS1_30default_config_static_selectorELNS0_4arch9wavefront6targetE1EEEvT1_
	.globl	_ZN7rocprim17ROCPRIM_400000_NS6detail17trampoline_kernelINS0_14default_configENS1_20scan_config_selectorIdEEZZNS1_9scan_implILNS1_25lookback_scan_determinismE0ELb0ELb0ES3_N6thrust23THRUST_200600_302600_NS6detail15normal_iteratorINS9_10device_ptrIdEEEESE_d11max_functorIdEdEEDaPvRmT3_T4_T5_mT6_P12ihipStream_tbENKUlT_T0_E_clISt17integral_constantIbLb1EESU_EEDaSP_SQ_EUlSP_E0_NS1_11comp_targetILNS1_3genE0ELNS1_11target_archE4294967295ELNS1_3gpuE0ELNS1_3repE0EEENS1_30default_config_static_selectorELNS0_4arch9wavefront6targetE1EEEvT1_
	.p2align	8
	.type	_ZN7rocprim17ROCPRIM_400000_NS6detail17trampoline_kernelINS0_14default_configENS1_20scan_config_selectorIdEEZZNS1_9scan_implILNS1_25lookback_scan_determinismE0ELb0ELb0ES3_N6thrust23THRUST_200600_302600_NS6detail15normal_iteratorINS9_10device_ptrIdEEEESE_d11max_functorIdEdEEDaPvRmT3_T4_T5_mT6_P12ihipStream_tbENKUlT_T0_E_clISt17integral_constantIbLb1EESU_EEDaSP_SQ_EUlSP_E0_NS1_11comp_targetILNS1_3genE0ELNS1_11target_archE4294967295ELNS1_3gpuE0ELNS1_3repE0EEENS1_30default_config_static_selectorELNS0_4arch9wavefront6targetE1EEEvT1_,@function
_ZN7rocprim17ROCPRIM_400000_NS6detail17trampoline_kernelINS0_14default_configENS1_20scan_config_selectorIdEEZZNS1_9scan_implILNS1_25lookback_scan_determinismE0ELb0ELb0ES3_N6thrust23THRUST_200600_302600_NS6detail15normal_iteratorINS9_10device_ptrIdEEEESE_d11max_functorIdEdEEDaPvRmT3_T4_T5_mT6_P12ihipStream_tbENKUlT_T0_E_clISt17integral_constantIbLb1EESU_EEDaSP_SQ_EUlSP_E0_NS1_11comp_targetILNS1_3genE0ELNS1_11target_archE4294967295ELNS1_3gpuE0ELNS1_3repE0EEENS1_30default_config_static_selectorELNS0_4arch9wavefront6targetE1EEEvT1_: ; @_ZN7rocprim17ROCPRIM_400000_NS6detail17trampoline_kernelINS0_14default_configENS1_20scan_config_selectorIdEEZZNS1_9scan_implILNS1_25lookback_scan_determinismE0ELb0ELb0ES3_N6thrust23THRUST_200600_302600_NS6detail15normal_iteratorINS9_10device_ptrIdEEEESE_d11max_functorIdEdEEDaPvRmT3_T4_T5_mT6_P12ihipStream_tbENKUlT_T0_E_clISt17integral_constantIbLb1EESU_EEDaSP_SQ_EUlSP_E0_NS1_11comp_targetILNS1_3genE0ELNS1_11target_archE4294967295ELNS1_3gpuE0ELNS1_3repE0EEENS1_30default_config_static_selectorELNS0_4arch9wavefront6targetE1EEEvT1_
; %bb.0:
	.section	.rodata,"a",@progbits
	.p2align	6, 0x0
	.amdhsa_kernel _ZN7rocprim17ROCPRIM_400000_NS6detail17trampoline_kernelINS0_14default_configENS1_20scan_config_selectorIdEEZZNS1_9scan_implILNS1_25lookback_scan_determinismE0ELb0ELb0ES3_N6thrust23THRUST_200600_302600_NS6detail15normal_iteratorINS9_10device_ptrIdEEEESE_d11max_functorIdEdEEDaPvRmT3_T4_T5_mT6_P12ihipStream_tbENKUlT_T0_E_clISt17integral_constantIbLb1EESU_EEDaSP_SQ_EUlSP_E0_NS1_11comp_targetILNS1_3genE0ELNS1_11target_archE4294967295ELNS1_3gpuE0ELNS1_3repE0EEENS1_30default_config_static_selectorELNS0_4arch9wavefront6targetE1EEEvT1_
		.amdhsa_group_segment_fixed_size 0
		.amdhsa_private_segment_fixed_size 0
		.amdhsa_kernarg_size 40
		.amdhsa_user_sgpr_count 6
		.amdhsa_user_sgpr_private_segment_buffer 1
		.amdhsa_user_sgpr_dispatch_ptr 0
		.amdhsa_user_sgpr_queue_ptr 0
		.amdhsa_user_sgpr_kernarg_segment_ptr 1
		.amdhsa_user_sgpr_dispatch_id 0
		.amdhsa_user_sgpr_flat_scratch_init 0
		.amdhsa_user_sgpr_kernarg_preload_length 0
		.amdhsa_user_sgpr_kernarg_preload_offset 0
		.amdhsa_user_sgpr_private_segment_size 0
		.amdhsa_uses_dynamic_stack 0
		.amdhsa_system_sgpr_private_segment_wavefront_offset 0
		.amdhsa_system_sgpr_workgroup_id_x 1
		.amdhsa_system_sgpr_workgroup_id_y 0
		.amdhsa_system_sgpr_workgroup_id_z 0
		.amdhsa_system_sgpr_workgroup_info 0
		.amdhsa_system_vgpr_workitem_id 0
		.amdhsa_next_free_vgpr 1
		.amdhsa_next_free_sgpr 0
		.amdhsa_accum_offset 4
		.amdhsa_reserve_vcc 0
		.amdhsa_reserve_flat_scratch 0
		.amdhsa_float_round_mode_32 0
		.amdhsa_float_round_mode_16_64 0
		.amdhsa_float_denorm_mode_32 3
		.amdhsa_float_denorm_mode_16_64 3
		.amdhsa_dx10_clamp 1
		.amdhsa_ieee_mode 1
		.amdhsa_fp16_overflow 0
		.amdhsa_tg_split 0
		.amdhsa_exception_fp_ieee_invalid_op 0
		.amdhsa_exception_fp_denorm_src 0
		.amdhsa_exception_fp_ieee_div_zero 0
		.amdhsa_exception_fp_ieee_overflow 0
		.amdhsa_exception_fp_ieee_underflow 0
		.amdhsa_exception_fp_ieee_inexact 0
		.amdhsa_exception_int_div_zero 0
	.end_amdhsa_kernel
	.section	.text._ZN7rocprim17ROCPRIM_400000_NS6detail17trampoline_kernelINS0_14default_configENS1_20scan_config_selectorIdEEZZNS1_9scan_implILNS1_25lookback_scan_determinismE0ELb0ELb0ES3_N6thrust23THRUST_200600_302600_NS6detail15normal_iteratorINS9_10device_ptrIdEEEESE_d11max_functorIdEdEEDaPvRmT3_T4_T5_mT6_P12ihipStream_tbENKUlT_T0_E_clISt17integral_constantIbLb1EESU_EEDaSP_SQ_EUlSP_E0_NS1_11comp_targetILNS1_3genE0ELNS1_11target_archE4294967295ELNS1_3gpuE0ELNS1_3repE0EEENS1_30default_config_static_selectorELNS0_4arch9wavefront6targetE1EEEvT1_,"axG",@progbits,_ZN7rocprim17ROCPRIM_400000_NS6detail17trampoline_kernelINS0_14default_configENS1_20scan_config_selectorIdEEZZNS1_9scan_implILNS1_25lookback_scan_determinismE0ELb0ELb0ES3_N6thrust23THRUST_200600_302600_NS6detail15normal_iteratorINS9_10device_ptrIdEEEESE_d11max_functorIdEdEEDaPvRmT3_T4_T5_mT6_P12ihipStream_tbENKUlT_T0_E_clISt17integral_constantIbLb1EESU_EEDaSP_SQ_EUlSP_E0_NS1_11comp_targetILNS1_3genE0ELNS1_11target_archE4294967295ELNS1_3gpuE0ELNS1_3repE0EEENS1_30default_config_static_selectorELNS0_4arch9wavefront6targetE1EEEvT1_,comdat
.Lfunc_end1824:
	.size	_ZN7rocprim17ROCPRIM_400000_NS6detail17trampoline_kernelINS0_14default_configENS1_20scan_config_selectorIdEEZZNS1_9scan_implILNS1_25lookback_scan_determinismE0ELb0ELb0ES3_N6thrust23THRUST_200600_302600_NS6detail15normal_iteratorINS9_10device_ptrIdEEEESE_d11max_functorIdEdEEDaPvRmT3_T4_T5_mT6_P12ihipStream_tbENKUlT_T0_E_clISt17integral_constantIbLb1EESU_EEDaSP_SQ_EUlSP_E0_NS1_11comp_targetILNS1_3genE0ELNS1_11target_archE4294967295ELNS1_3gpuE0ELNS1_3repE0EEENS1_30default_config_static_selectorELNS0_4arch9wavefront6targetE1EEEvT1_, .Lfunc_end1824-_ZN7rocprim17ROCPRIM_400000_NS6detail17trampoline_kernelINS0_14default_configENS1_20scan_config_selectorIdEEZZNS1_9scan_implILNS1_25lookback_scan_determinismE0ELb0ELb0ES3_N6thrust23THRUST_200600_302600_NS6detail15normal_iteratorINS9_10device_ptrIdEEEESE_d11max_functorIdEdEEDaPvRmT3_T4_T5_mT6_P12ihipStream_tbENKUlT_T0_E_clISt17integral_constantIbLb1EESU_EEDaSP_SQ_EUlSP_E0_NS1_11comp_targetILNS1_3genE0ELNS1_11target_archE4294967295ELNS1_3gpuE0ELNS1_3repE0EEENS1_30default_config_static_selectorELNS0_4arch9wavefront6targetE1EEEvT1_
                                        ; -- End function
	.section	.AMDGPU.csdata,"",@progbits
; Kernel info:
; codeLenInByte = 0
; NumSgprs: 4
; NumVgprs: 0
; NumAgprs: 0
; TotalNumVgprs: 0
; ScratchSize: 0
; MemoryBound: 0
; FloatMode: 240
; IeeeMode: 1
; LDSByteSize: 0 bytes/workgroup (compile time only)
; SGPRBlocks: 0
; VGPRBlocks: 0
; NumSGPRsForWavesPerEU: 4
; NumVGPRsForWavesPerEU: 1
; AccumOffset: 4
; Occupancy: 8
; WaveLimiterHint : 0
; COMPUTE_PGM_RSRC2:SCRATCH_EN: 0
; COMPUTE_PGM_RSRC2:USER_SGPR: 6
; COMPUTE_PGM_RSRC2:TRAP_HANDLER: 0
; COMPUTE_PGM_RSRC2:TGID_X_EN: 1
; COMPUTE_PGM_RSRC2:TGID_Y_EN: 0
; COMPUTE_PGM_RSRC2:TGID_Z_EN: 0
; COMPUTE_PGM_RSRC2:TIDIG_COMP_CNT: 0
; COMPUTE_PGM_RSRC3_GFX90A:ACCUM_OFFSET: 0
; COMPUTE_PGM_RSRC3_GFX90A:TG_SPLIT: 0
	.section	.text._ZN7rocprim17ROCPRIM_400000_NS6detail17trampoline_kernelINS0_14default_configENS1_20scan_config_selectorIdEEZZNS1_9scan_implILNS1_25lookback_scan_determinismE0ELb0ELb0ES3_N6thrust23THRUST_200600_302600_NS6detail15normal_iteratorINS9_10device_ptrIdEEEESE_d11max_functorIdEdEEDaPvRmT3_T4_T5_mT6_P12ihipStream_tbENKUlT_T0_E_clISt17integral_constantIbLb1EESU_EEDaSP_SQ_EUlSP_E0_NS1_11comp_targetILNS1_3genE5ELNS1_11target_archE942ELNS1_3gpuE9ELNS1_3repE0EEENS1_30default_config_static_selectorELNS0_4arch9wavefront6targetE1EEEvT1_,"axG",@progbits,_ZN7rocprim17ROCPRIM_400000_NS6detail17trampoline_kernelINS0_14default_configENS1_20scan_config_selectorIdEEZZNS1_9scan_implILNS1_25lookback_scan_determinismE0ELb0ELb0ES3_N6thrust23THRUST_200600_302600_NS6detail15normal_iteratorINS9_10device_ptrIdEEEESE_d11max_functorIdEdEEDaPvRmT3_T4_T5_mT6_P12ihipStream_tbENKUlT_T0_E_clISt17integral_constantIbLb1EESU_EEDaSP_SQ_EUlSP_E0_NS1_11comp_targetILNS1_3genE5ELNS1_11target_archE942ELNS1_3gpuE9ELNS1_3repE0EEENS1_30default_config_static_selectorELNS0_4arch9wavefront6targetE1EEEvT1_,comdat
	.protected	_ZN7rocprim17ROCPRIM_400000_NS6detail17trampoline_kernelINS0_14default_configENS1_20scan_config_selectorIdEEZZNS1_9scan_implILNS1_25lookback_scan_determinismE0ELb0ELb0ES3_N6thrust23THRUST_200600_302600_NS6detail15normal_iteratorINS9_10device_ptrIdEEEESE_d11max_functorIdEdEEDaPvRmT3_T4_T5_mT6_P12ihipStream_tbENKUlT_T0_E_clISt17integral_constantIbLb1EESU_EEDaSP_SQ_EUlSP_E0_NS1_11comp_targetILNS1_3genE5ELNS1_11target_archE942ELNS1_3gpuE9ELNS1_3repE0EEENS1_30default_config_static_selectorELNS0_4arch9wavefront6targetE1EEEvT1_ ; -- Begin function _ZN7rocprim17ROCPRIM_400000_NS6detail17trampoline_kernelINS0_14default_configENS1_20scan_config_selectorIdEEZZNS1_9scan_implILNS1_25lookback_scan_determinismE0ELb0ELb0ES3_N6thrust23THRUST_200600_302600_NS6detail15normal_iteratorINS9_10device_ptrIdEEEESE_d11max_functorIdEdEEDaPvRmT3_T4_T5_mT6_P12ihipStream_tbENKUlT_T0_E_clISt17integral_constantIbLb1EESU_EEDaSP_SQ_EUlSP_E0_NS1_11comp_targetILNS1_3genE5ELNS1_11target_archE942ELNS1_3gpuE9ELNS1_3repE0EEENS1_30default_config_static_selectorELNS0_4arch9wavefront6targetE1EEEvT1_
	.globl	_ZN7rocprim17ROCPRIM_400000_NS6detail17trampoline_kernelINS0_14default_configENS1_20scan_config_selectorIdEEZZNS1_9scan_implILNS1_25lookback_scan_determinismE0ELb0ELb0ES3_N6thrust23THRUST_200600_302600_NS6detail15normal_iteratorINS9_10device_ptrIdEEEESE_d11max_functorIdEdEEDaPvRmT3_T4_T5_mT6_P12ihipStream_tbENKUlT_T0_E_clISt17integral_constantIbLb1EESU_EEDaSP_SQ_EUlSP_E0_NS1_11comp_targetILNS1_3genE5ELNS1_11target_archE942ELNS1_3gpuE9ELNS1_3repE0EEENS1_30default_config_static_selectorELNS0_4arch9wavefront6targetE1EEEvT1_
	.p2align	8
	.type	_ZN7rocprim17ROCPRIM_400000_NS6detail17trampoline_kernelINS0_14default_configENS1_20scan_config_selectorIdEEZZNS1_9scan_implILNS1_25lookback_scan_determinismE0ELb0ELb0ES3_N6thrust23THRUST_200600_302600_NS6detail15normal_iteratorINS9_10device_ptrIdEEEESE_d11max_functorIdEdEEDaPvRmT3_T4_T5_mT6_P12ihipStream_tbENKUlT_T0_E_clISt17integral_constantIbLb1EESU_EEDaSP_SQ_EUlSP_E0_NS1_11comp_targetILNS1_3genE5ELNS1_11target_archE942ELNS1_3gpuE9ELNS1_3repE0EEENS1_30default_config_static_selectorELNS0_4arch9wavefront6targetE1EEEvT1_,@function
_ZN7rocprim17ROCPRIM_400000_NS6detail17trampoline_kernelINS0_14default_configENS1_20scan_config_selectorIdEEZZNS1_9scan_implILNS1_25lookback_scan_determinismE0ELb0ELb0ES3_N6thrust23THRUST_200600_302600_NS6detail15normal_iteratorINS9_10device_ptrIdEEEESE_d11max_functorIdEdEEDaPvRmT3_T4_T5_mT6_P12ihipStream_tbENKUlT_T0_E_clISt17integral_constantIbLb1EESU_EEDaSP_SQ_EUlSP_E0_NS1_11comp_targetILNS1_3genE5ELNS1_11target_archE942ELNS1_3gpuE9ELNS1_3repE0EEENS1_30default_config_static_selectorELNS0_4arch9wavefront6targetE1EEEvT1_: ; @_ZN7rocprim17ROCPRIM_400000_NS6detail17trampoline_kernelINS0_14default_configENS1_20scan_config_selectorIdEEZZNS1_9scan_implILNS1_25lookback_scan_determinismE0ELb0ELb0ES3_N6thrust23THRUST_200600_302600_NS6detail15normal_iteratorINS9_10device_ptrIdEEEESE_d11max_functorIdEdEEDaPvRmT3_T4_T5_mT6_P12ihipStream_tbENKUlT_T0_E_clISt17integral_constantIbLb1EESU_EEDaSP_SQ_EUlSP_E0_NS1_11comp_targetILNS1_3genE5ELNS1_11target_archE942ELNS1_3gpuE9ELNS1_3repE0EEENS1_30default_config_static_selectorELNS0_4arch9wavefront6targetE1EEEvT1_
; %bb.0:
	.section	.rodata,"a",@progbits
	.p2align	6, 0x0
	.amdhsa_kernel _ZN7rocprim17ROCPRIM_400000_NS6detail17trampoline_kernelINS0_14default_configENS1_20scan_config_selectorIdEEZZNS1_9scan_implILNS1_25lookback_scan_determinismE0ELb0ELb0ES3_N6thrust23THRUST_200600_302600_NS6detail15normal_iteratorINS9_10device_ptrIdEEEESE_d11max_functorIdEdEEDaPvRmT3_T4_T5_mT6_P12ihipStream_tbENKUlT_T0_E_clISt17integral_constantIbLb1EESU_EEDaSP_SQ_EUlSP_E0_NS1_11comp_targetILNS1_3genE5ELNS1_11target_archE942ELNS1_3gpuE9ELNS1_3repE0EEENS1_30default_config_static_selectorELNS0_4arch9wavefront6targetE1EEEvT1_
		.amdhsa_group_segment_fixed_size 0
		.amdhsa_private_segment_fixed_size 0
		.amdhsa_kernarg_size 40
		.amdhsa_user_sgpr_count 6
		.amdhsa_user_sgpr_private_segment_buffer 1
		.amdhsa_user_sgpr_dispatch_ptr 0
		.amdhsa_user_sgpr_queue_ptr 0
		.amdhsa_user_sgpr_kernarg_segment_ptr 1
		.amdhsa_user_sgpr_dispatch_id 0
		.amdhsa_user_sgpr_flat_scratch_init 0
		.amdhsa_user_sgpr_kernarg_preload_length 0
		.amdhsa_user_sgpr_kernarg_preload_offset 0
		.amdhsa_user_sgpr_private_segment_size 0
		.amdhsa_uses_dynamic_stack 0
		.amdhsa_system_sgpr_private_segment_wavefront_offset 0
		.amdhsa_system_sgpr_workgroup_id_x 1
		.amdhsa_system_sgpr_workgroup_id_y 0
		.amdhsa_system_sgpr_workgroup_id_z 0
		.amdhsa_system_sgpr_workgroup_info 0
		.amdhsa_system_vgpr_workitem_id 0
		.amdhsa_next_free_vgpr 1
		.amdhsa_next_free_sgpr 0
		.amdhsa_accum_offset 4
		.amdhsa_reserve_vcc 0
		.amdhsa_reserve_flat_scratch 0
		.amdhsa_float_round_mode_32 0
		.amdhsa_float_round_mode_16_64 0
		.amdhsa_float_denorm_mode_32 3
		.amdhsa_float_denorm_mode_16_64 3
		.amdhsa_dx10_clamp 1
		.amdhsa_ieee_mode 1
		.amdhsa_fp16_overflow 0
		.amdhsa_tg_split 0
		.amdhsa_exception_fp_ieee_invalid_op 0
		.amdhsa_exception_fp_denorm_src 0
		.amdhsa_exception_fp_ieee_div_zero 0
		.amdhsa_exception_fp_ieee_overflow 0
		.amdhsa_exception_fp_ieee_underflow 0
		.amdhsa_exception_fp_ieee_inexact 0
		.amdhsa_exception_int_div_zero 0
	.end_amdhsa_kernel
	.section	.text._ZN7rocprim17ROCPRIM_400000_NS6detail17trampoline_kernelINS0_14default_configENS1_20scan_config_selectorIdEEZZNS1_9scan_implILNS1_25lookback_scan_determinismE0ELb0ELb0ES3_N6thrust23THRUST_200600_302600_NS6detail15normal_iteratorINS9_10device_ptrIdEEEESE_d11max_functorIdEdEEDaPvRmT3_T4_T5_mT6_P12ihipStream_tbENKUlT_T0_E_clISt17integral_constantIbLb1EESU_EEDaSP_SQ_EUlSP_E0_NS1_11comp_targetILNS1_3genE5ELNS1_11target_archE942ELNS1_3gpuE9ELNS1_3repE0EEENS1_30default_config_static_selectorELNS0_4arch9wavefront6targetE1EEEvT1_,"axG",@progbits,_ZN7rocprim17ROCPRIM_400000_NS6detail17trampoline_kernelINS0_14default_configENS1_20scan_config_selectorIdEEZZNS1_9scan_implILNS1_25lookback_scan_determinismE0ELb0ELb0ES3_N6thrust23THRUST_200600_302600_NS6detail15normal_iteratorINS9_10device_ptrIdEEEESE_d11max_functorIdEdEEDaPvRmT3_T4_T5_mT6_P12ihipStream_tbENKUlT_T0_E_clISt17integral_constantIbLb1EESU_EEDaSP_SQ_EUlSP_E0_NS1_11comp_targetILNS1_3genE5ELNS1_11target_archE942ELNS1_3gpuE9ELNS1_3repE0EEENS1_30default_config_static_selectorELNS0_4arch9wavefront6targetE1EEEvT1_,comdat
.Lfunc_end1825:
	.size	_ZN7rocprim17ROCPRIM_400000_NS6detail17trampoline_kernelINS0_14default_configENS1_20scan_config_selectorIdEEZZNS1_9scan_implILNS1_25lookback_scan_determinismE0ELb0ELb0ES3_N6thrust23THRUST_200600_302600_NS6detail15normal_iteratorINS9_10device_ptrIdEEEESE_d11max_functorIdEdEEDaPvRmT3_T4_T5_mT6_P12ihipStream_tbENKUlT_T0_E_clISt17integral_constantIbLb1EESU_EEDaSP_SQ_EUlSP_E0_NS1_11comp_targetILNS1_3genE5ELNS1_11target_archE942ELNS1_3gpuE9ELNS1_3repE0EEENS1_30default_config_static_selectorELNS0_4arch9wavefront6targetE1EEEvT1_, .Lfunc_end1825-_ZN7rocprim17ROCPRIM_400000_NS6detail17trampoline_kernelINS0_14default_configENS1_20scan_config_selectorIdEEZZNS1_9scan_implILNS1_25lookback_scan_determinismE0ELb0ELb0ES3_N6thrust23THRUST_200600_302600_NS6detail15normal_iteratorINS9_10device_ptrIdEEEESE_d11max_functorIdEdEEDaPvRmT3_T4_T5_mT6_P12ihipStream_tbENKUlT_T0_E_clISt17integral_constantIbLb1EESU_EEDaSP_SQ_EUlSP_E0_NS1_11comp_targetILNS1_3genE5ELNS1_11target_archE942ELNS1_3gpuE9ELNS1_3repE0EEENS1_30default_config_static_selectorELNS0_4arch9wavefront6targetE1EEEvT1_
                                        ; -- End function
	.section	.AMDGPU.csdata,"",@progbits
; Kernel info:
; codeLenInByte = 0
; NumSgprs: 4
; NumVgprs: 0
; NumAgprs: 0
; TotalNumVgprs: 0
; ScratchSize: 0
; MemoryBound: 0
; FloatMode: 240
; IeeeMode: 1
; LDSByteSize: 0 bytes/workgroup (compile time only)
; SGPRBlocks: 0
; VGPRBlocks: 0
; NumSGPRsForWavesPerEU: 4
; NumVGPRsForWavesPerEU: 1
; AccumOffset: 4
; Occupancy: 8
; WaveLimiterHint : 0
; COMPUTE_PGM_RSRC2:SCRATCH_EN: 0
; COMPUTE_PGM_RSRC2:USER_SGPR: 6
; COMPUTE_PGM_RSRC2:TRAP_HANDLER: 0
; COMPUTE_PGM_RSRC2:TGID_X_EN: 1
; COMPUTE_PGM_RSRC2:TGID_Y_EN: 0
; COMPUTE_PGM_RSRC2:TGID_Z_EN: 0
; COMPUTE_PGM_RSRC2:TIDIG_COMP_CNT: 0
; COMPUTE_PGM_RSRC3_GFX90A:ACCUM_OFFSET: 0
; COMPUTE_PGM_RSRC3_GFX90A:TG_SPLIT: 0
	.section	.text._ZN7rocprim17ROCPRIM_400000_NS6detail17trampoline_kernelINS0_14default_configENS1_20scan_config_selectorIdEEZZNS1_9scan_implILNS1_25lookback_scan_determinismE0ELb0ELb0ES3_N6thrust23THRUST_200600_302600_NS6detail15normal_iteratorINS9_10device_ptrIdEEEESE_d11max_functorIdEdEEDaPvRmT3_T4_T5_mT6_P12ihipStream_tbENKUlT_T0_E_clISt17integral_constantIbLb1EESU_EEDaSP_SQ_EUlSP_E0_NS1_11comp_targetILNS1_3genE4ELNS1_11target_archE910ELNS1_3gpuE8ELNS1_3repE0EEENS1_30default_config_static_selectorELNS0_4arch9wavefront6targetE1EEEvT1_,"axG",@progbits,_ZN7rocprim17ROCPRIM_400000_NS6detail17trampoline_kernelINS0_14default_configENS1_20scan_config_selectorIdEEZZNS1_9scan_implILNS1_25lookback_scan_determinismE0ELb0ELb0ES3_N6thrust23THRUST_200600_302600_NS6detail15normal_iteratorINS9_10device_ptrIdEEEESE_d11max_functorIdEdEEDaPvRmT3_T4_T5_mT6_P12ihipStream_tbENKUlT_T0_E_clISt17integral_constantIbLb1EESU_EEDaSP_SQ_EUlSP_E0_NS1_11comp_targetILNS1_3genE4ELNS1_11target_archE910ELNS1_3gpuE8ELNS1_3repE0EEENS1_30default_config_static_selectorELNS0_4arch9wavefront6targetE1EEEvT1_,comdat
	.protected	_ZN7rocprim17ROCPRIM_400000_NS6detail17trampoline_kernelINS0_14default_configENS1_20scan_config_selectorIdEEZZNS1_9scan_implILNS1_25lookback_scan_determinismE0ELb0ELb0ES3_N6thrust23THRUST_200600_302600_NS6detail15normal_iteratorINS9_10device_ptrIdEEEESE_d11max_functorIdEdEEDaPvRmT3_T4_T5_mT6_P12ihipStream_tbENKUlT_T0_E_clISt17integral_constantIbLb1EESU_EEDaSP_SQ_EUlSP_E0_NS1_11comp_targetILNS1_3genE4ELNS1_11target_archE910ELNS1_3gpuE8ELNS1_3repE0EEENS1_30default_config_static_selectorELNS0_4arch9wavefront6targetE1EEEvT1_ ; -- Begin function _ZN7rocprim17ROCPRIM_400000_NS6detail17trampoline_kernelINS0_14default_configENS1_20scan_config_selectorIdEEZZNS1_9scan_implILNS1_25lookback_scan_determinismE0ELb0ELb0ES3_N6thrust23THRUST_200600_302600_NS6detail15normal_iteratorINS9_10device_ptrIdEEEESE_d11max_functorIdEdEEDaPvRmT3_T4_T5_mT6_P12ihipStream_tbENKUlT_T0_E_clISt17integral_constantIbLb1EESU_EEDaSP_SQ_EUlSP_E0_NS1_11comp_targetILNS1_3genE4ELNS1_11target_archE910ELNS1_3gpuE8ELNS1_3repE0EEENS1_30default_config_static_selectorELNS0_4arch9wavefront6targetE1EEEvT1_
	.globl	_ZN7rocprim17ROCPRIM_400000_NS6detail17trampoline_kernelINS0_14default_configENS1_20scan_config_selectorIdEEZZNS1_9scan_implILNS1_25lookback_scan_determinismE0ELb0ELb0ES3_N6thrust23THRUST_200600_302600_NS6detail15normal_iteratorINS9_10device_ptrIdEEEESE_d11max_functorIdEdEEDaPvRmT3_T4_T5_mT6_P12ihipStream_tbENKUlT_T0_E_clISt17integral_constantIbLb1EESU_EEDaSP_SQ_EUlSP_E0_NS1_11comp_targetILNS1_3genE4ELNS1_11target_archE910ELNS1_3gpuE8ELNS1_3repE0EEENS1_30default_config_static_selectorELNS0_4arch9wavefront6targetE1EEEvT1_
	.p2align	8
	.type	_ZN7rocprim17ROCPRIM_400000_NS6detail17trampoline_kernelINS0_14default_configENS1_20scan_config_selectorIdEEZZNS1_9scan_implILNS1_25lookback_scan_determinismE0ELb0ELb0ES3_N6thrust23THRUST_200600_302600_NS6detail15normal_iteratorINS9_10device_ptrIdEEEESE_d11max_functorIdEdEEDaPvRmT3_T4_T5_mT6_P12ihipStream_tbENKUlT_T0_E_clISt17integral_constantIbLb1EESU_EEDaSP_SQ_EUlSP_E0_NS1_11comp_targetILNS1_3genE4ELNS1_11target_archE910ELNS1_3gpuE8ELNS1_3repE0EEENS1_30default_config_static_selectorELNS0_4arch9wavefront6targetE1EEEvT1_,@function
_ZN7rocprim17ROCPRIM_400000_NS6detail17trampoline_kernelINS0_14default_configENS1_20scan_config_selectorIdEEZZNS1_9scan_implILNS1_25lookback_scan_determinismE0ELb0ELb0ES3_N6thrust23THRUST_200600_302600_NS6detail15normal_iteratorINS9_10device_ptrIdEEEESE_d11max_functorIdEdEEDaPvRmT3_T4_T5_mT6_P12ihipStream_tbENKUlT_T0_E_clISt17integral_constantIbLb1EESU_EEDaSP_SQ_EUlSP_E0_NS1_11comp_targetILNS1_3genE4ELNS1_11target_archE910ELNS1_3gpuE8ELNS1_3repE0EEENS1_30default_config_static_selectorELNS0_4arch9wavefront6targetE1EEEvT1_: ; @_ZN7rocprim17ROCPRIM_400000_NS6detail17trampoline_kernelINS0_14default_configENS1_20scan_config_selectorIdEEZZNS1_9scan_implILNS1_25lookback_scan_determinismE0ELb0ELb0ES3_N6thrust23THRUST_200600_302600_NS6detail15normal_iteratorINS9_10device_ptrIdEEEESE_d11max_functorIdEdEEDaPvRmT3_T4_T5_mT6_P12ihipStream_tbENKUlT_T0_E_clISt17integral_constantIbLb1EESU_EEDaSP_SQ_EUlSP_E0_NS1_11comp_targetILNS1_3genE4ELNS1_11target_archE910ELNS1_3gpuE8ELNS1_3repE0EEENS1_30default_config_static_selectorELNS0_4arch9wavefront6targetE1EEEvT1_
; %bb.0:
	s_load_dwordx4 s[20:23], s[4:5], 0x0
	v_lshlrev_b32_e32 v26, 3, v0
	s_waitcnt lgkmcnt(0)
	s_load_dwordx2 s[24:25], s[20:21], 0x0
	v_cmp_gt_u32_e32 vcc, s22, v0
	s_waitcnt lgkmcnt(0)
	v_pk_mov_b32 v[2:3], s[24:25], s[24:25] op_sel:[0,1]
	s_and_saveexec_b64 s[0:1], vcc
	s_cbranch_execz .LBB1826_2
; %bb.1:
	global_load_dwordx2 v[2:3], v26, s[20:21]
.LBB1826_2:
	s_or_b64 exec, exec, s[0:1]
	v_or_b32_e32 v1, 0x80, v0
	v_cmp_gt_u32_e64 s[0:1], s22, v1
	v_pk_mov_b32 v[4:5], s[24:25], s[24:25] op_sel:[0,1]
	s_and_saveexec_b64 s[2:3], s[0:1]
	s_cbranch_execz .LBB1826_4
; %bb.3:
	global_load_dwordx2 v[4:5], v26, s[20:21] offset:1024
.LBB1826_4:
	s_or_b64 exec, exec, s[2:3]
	v_or_b32_e32 v1, 0x100, v0
	v_cmp_gt_u32_e64 s[2:3], s22, v1
	v_pk_mov_b32 v[6:7], s[24:25], s[24:25] op_sel:[0,1]
	s_and_saveexec_b64 s[6:7], s[2:3]
	s_cbranch_execz .LBB1826_6
; %bb.5:
	global_load_dwordx2 v[6:7], v26, s[20:21] offset:2048
.LBB1826_6:
	;; [unrolled: 9-line block ×3, first 2 shown]
	s_or_b64 exec, exec, s[6:7]
	v_or_b32_e32 v1, 0x200, v0
	v_cmp_gt_u32_e64 s[6:7], s22, v1
	v_pk_mov_b32 v[10:11], s[24:25], s[24:25] op_sel:[0,1]
	s_and_saveexec_b64 s[8:9], s[6:7]
	s_cbranch_execz .LBB1826_10
; %bb.9:
	v_lshlrev_b32_e32 v1, 3, v1
	global_load_dwordx2 v[10:11], v1, s[20:21]
.LBB1826_10:
	s_or_b64 exec, exec, s[8:9]
	v_or_b32_e32 v1, 0x280, v0
	v_cmp_gt_u32_e64 s[8:9], s22, v1
	v_pk_mov_b32 v[12:13], s[24:25], s[24:25] op_sel:[0,1]
	s_and_saveexec_b64 s[10:11], s[8:9]
	s_cbranch_execz .LBB1826_12
; %bb.11:
	v_lshlrev_b32_e32 v1, 3, v1
	global_load_dwordx2 v[12:13], v1, s[20:21]
.LBB1826_12:
	s_or_b64 exec, exec, s[10:11]
	v_or_b32_e32 v1, 0x300, v0
	v_cmp_gt_u32_e64 s[10:11], s22, v1
	v_pk_mov_b32 v[14:15], s[24:25], s[24:25] op_sel:[0,1]
	s_and_saveexec_b64 s[12:13], s[10:11]
	s_cbranch_execz .LBB1826_14
; %bb.13:
	v_lshlrev_b32_e32 v1, 3, v1
	global_load_dwordx2 v[14:15], v1, s[20:21]
.LBB1826_14:
	s_or_b64 exec, exec, s[12:13]
	v_or_b32_e32 v1, 0x380, v0
	v_cmp_gt_u32_e64 s[12:13], s22, v1
	v_pk_mov_b32 v[16:17], s[24:25], s[24:25] op_sel:[0,1]
	s_and_saveexec_b64 s[14:15], s[12:13]
	s_cbranch_execz .LBB1826_16
; %bb.15:
	v_lshlrev_b32_e32 v1, 3, v1
	global_load_dwordx2 v[16:17], v1, s[20:21]
.LBB1826_16:
	s_or_b64 exec, exec, s[14:15]
	v_or_b32_e32 v1, 0x400, v0
	v_cmp_gt_u32_e64 s[14:15], s22, v1
	v_pk_mov_b32 v[18:19], s[24:25], s[24:25] op_sel:[0,1]
	s_and_saveexec_b64 s[16:17], s[14:15]
	s_cbranch_execz .LBB1826_18
; %bb.17:
	v_lshlrev_b32_e32 v1, 3, v1
	global_load_dwordx2 v[18:19], v1, s[20:21]
.LBB1826_18:
	s_or_b64 exec, exec, s[16:17]
	v_or_b32_e32 v1, 0x480, v0
	v_cmp_gt_u32_e64 s[16:17], s22, v1
	v_pk_mov_b32 v[20:21], s[24:25], s[24:25] op_sel:[0,1]
	s_and_saveexec_b64 s[22:23], s[16:17]
	s_cbranch_execz .LBB1826_20
; %bb.19:
	v_lshlrev_b32_e32 v1, 3, v1
	global_load_dwordx2 v[20:21], v1, s[20:21]
.LBB1826_20:
	s_or_b64 exec, exec, s[22:23]
	s_movk_i32 s20, 0x48
	v_mad_u32_u24 v1, v0, s20, v26
	s_waitcnt vmcnt(0)
	ds_write2st64_b64 v26, v[2:3], v[4:5] offset1:2
	ds_write2st64_b64 v26, v[6:7], v[8:9] offset0:4 offset1:6
	ds_write2st64_b64 v26, v[10:11], v[12:13] offset0:8 offset1:10
	;; [unrolled: 1-line block ×4, first 2 shown]
	s_waitcnt lgkmcnt(0)
	s_barrier
	ds_read_b128 v[2:5], v1
	ds_read_b128 v[18:21], v1 offset:16
	ds_read_b128 v[10:13], v1 offset:32
	;; [unrolled: 1-line block ×4, first 2 shown]
	s_waitcnt lgkmcnt(4)
	v_cmp_lt_f64_e64 s[20:21], v[2:3], v[4:5]
	v_cndmask_b32_e64 v23, v3, v5, s[20:21]
	v_cndmask_b32_e64 v22, v2, v4, s[20:21]
	s_waitcnt lgkmcnt(3)
	v_cmp_lt_f64_e64 s[20:21], v[22:23], v[18:19]
	v_cndmask_b32_e64 v23, v23, v19, s[20:21]
	v_cndmask_b32_e64 v22, v22, v18, s[20:21]
	v_cmp_lt_f64_e64 s[20:21], v[22:23], v[20:21]
	v_cndmask_b32_e64 v23, v23, v21, s[20:21]
	v_cndmask_b32_e64 v22, v22, v20, s[20:21]
	s_waitcnt lgkmcnt(2)
	v_cmp_lt_f64_e64 s[20:21], v[22:23], v[10:11]
	v_cndmask_b32_e64 v23, v23, v11, s[20:21]
	v_cndmask_b32_e64 v22, v22, v10, s[20:21]
	;; [unrolled: 7-line block ×4, first 2 shown]
	v_mbcnt_lo_u32_b32 v24, -1, 0
	v_cmp_lt_f64_e64 s[20:21], v[22:23], v[16:17]
	v_mbcnt_hi_u32_b32 v27, -1, v24
	v_cndmask_b32_e64 v23, v23, v17, s[20:21]
	v_cndmask_b32_e64 v22, v22, v16, s[20:21]
	v_and_b32_e32 v28, 15, v27
	v_mov_b32_dpp v25, v23 row_shr:1 row_mask:0xf bank_mask:0xf
	v_mov_b32_dpp v24, v22 row_shr:1 row_mask:0xf bank_mask:0xf
	v_cmp_ne_u32_e64 s[20:21], 0, v28
	s_barrier
	s_and_saveexec_b64 s[22:23], s[20:21]
; %bb.21:
	v_cmp_gt_f64_e64 s[20:21], v[22:23], v[24:25]
	v_cndmask_b32_e64 v23, v25, v23, s[20:21]
	v_cndmask_b32_e64 v22, v24, v22, s[20:21]
; %bb.22:
	s_or_b64 exec, exec, s[22:23]
	s_nop 0
	v_mov_b32_dpp v24, v22 row_shr:2 row_mask:0xf bank_mask:0xf
	v_mov_b32_dpp v25, v23 row_shr:2 row_mask:0xf bank_mask:0xf
	v_cmp_lt_u32_e64 s[20:21], 1, v28
	s_and_saveexec_b64 s[22:23], s[20:21]
; %bb.23:
	v_cmp_gt_f64_e64 s[20:21], v[22:23], v[24:25]
	v_cndmask_b32_e64 v23, v25, v23, s[20:21]
	v_cndmask_b32_e64 v22, v24, v22, s[20:21]
; %bb.24:
	s_or_b64 exec, exec, s[22:23]
	s_nop 0
	v_mov_b32_dpp v24, v22 row_shr:4 row_mask:0xf bank_mask:0xf
	v_mov_b32_dpp v25, v23 row_shr:4 row_mask:0xf bank_mask:0xf
	v_cmp_lt_u32_e64 s[20:21], 3, v28
	;; [unrolled: 11-line block ×3, first 2 shown]
	s_and_saveexec_b64 s[22:23], s[20:21]
; %bb.27:
	v_cmp_gt_f64_e64 s[20:21], v[22:23], v[24:25]
	v_cndmask_b32_e64 v23, v25, v23, s[20:21]
	v_cndmask_b32_e64 v22, v24, v22, s[20:21]
; %bb.28:
	s_or_b64 exec, exec, s[22:23]
	v_and_b32_e32 v28, 16, v27
	v_mov_b32_dpp v24, v22 row_bcast:15 row_mask:0xf bank_mask:0xf
	v_mov_b32_dpp v25, v23 row_bcast:15 row_mask:0xf bank_mask:0xf
	v_cmp_ne_u32_e64 s[20:21], 0, v28
	s_and_saveexec_b64 s[22:23], s[20:21]
; %bb.29:
	v_cmp_gt_f64_e64 s[20:21], v[22:23], v[24:25]
	v_cndmask_b32_e64 v23, v25, v23, s[20:21]
	v_cndmask_b32_e64 v22, v24, v22, s[20:21]
; %bb.30:
	s_or_b64 exec, exec, s[22:23]
	s_nop 0
	v_mov_b32_dpp v24, v22 row_bcast:31 row_mask:0xf bank_mask:0xf
	v_mov_b32_dpp v25, v23 row_bcast:31 row_mask:0xf bank_mask:0xf
	v_cmp_gt_f64_e64 s[20:21], v[22:23], v[24:25]
	v_cndmask_b32_e64 v24, v24, v22, s[20:21]
	v_cndmask_b32_e64 v25, v25, v23, s[20:21]
	v_cmp_lt_u32_e64 s[20:21], 31, v27
	v_cndmask_b32_e64 v22, v22, v24, s[20:21]
	v_or_b32_e32 v24, 63, v0
	v_cndmask_b32_e64 v23, v23, v25, s[20:21]
	v_lshrrev_b32_e32 v28, 6, v0
	v_cmp_eq_u32_e64 s[20:21], v24, v0
	s_and_saveexec_b64 s[22:23], s[20:21]
	s_cbranch_execz .LBB1826_32
; %bb.31:
	v_lshlrev_b32_e32 v24, 3, v28
	ds_write_b64 v24, v[22:23]
.LBB1826_32:
	s_or_b64 exec, exec, s[22:23]
	v_cmp_gt_u32_e64 s[20:21], 2, v0
	s_waitcnt lgkmcnt(0)
	s_barrier
	s_and_saveexec_b64 s[24:25], s[20:21]
	s_cbranch_execz .LBB1826_34
; %bb.33:
	ds_read_b64 v[24:25], v26
	v_and_b32_e32 v29, 1, v27
	v_cmp_eq_u32_e64 s[20:21], 0, v29
	s_waitcnt lgkmcnt(0)
	v_mov_b32_dpp v32, v25 row_shr:1 row_mask:0xf bank_mask:0xf
	v_mov_b32_dpp v30, v24 row_shr:1 row_mask:0xf bank_mask:0xf
	v_mov_b32_e32 v31, v32
	v_cmp_gt_f64_e64 s[22:23], v[24:25], v[30:31]
	s_or_b64 s[20:21], s[20:21], s[22:23]
	v_cndmask_b32_e64 v25, v32, v25, s[20:21]
	v_cndmask_b32_e64 v24, v30, v24, s[20:21]
	ds_write_b64 v26, v[24:25]
.LBB1826_34:
	s_or_b64 exec, exec, s[24:25]
	s_load_dwordx2 s[20:21], s[4:5], 0x20
	v_cmp_lt_u32_e64 s[4:5], 63, v0
	s_waitcnt lgkmcnt(0)
	s_barrier
	s_waitcnt lgkmcnt(0)
                                        ; implicit-def: $vgpr24_vgpr25
	s_and_saveexec_b64 s[22:23], s[4:5]
	s_cbranch_execz .LBB1826_36
; %bb.35:
	v_lshl_add_u32 v24, v28, 3, -8
	ds_read_b64 v[24:25], v24
	s_waitcnt lgkmcnt(0)
	v_cmp_lt_f64_e64 s[4:5], v[24:25], v[22:23]
	v_cndmask_b32_e64 v23, v25, v23, s[4:5]
	v_cndmask_b32_e64 v22, v24, v22, s[4:5]
.LBB1826_36:
	s_or_b64 exec, exec, s[22:23]
	v_add_u32_e32 v28, -1, v27
	v_and_b32_e32 v29, 64, v27
	v_cmp_lt_i32_e64 s[4:5], v28, v29
	v_cndmask_b32_e64 v28, v28, v27, s[4:5]
	v_lshlrev_b32_e32 v28, 2, v28
	ds_bpermute_b32 v22, v28, v22
	ds_bpermute_b32 v23, v28, v23
	v_cmp_ne_u32_e64 s[4:5], 0, v0
	s_and_saveexec_b64 s[22:23], s[4:5]
	s_cbranch_execz .LBB1826_38
; %bb.37:
	v_cmp_eq_u32_e64 s[4:5], 0, v27
	s_waitcnt lgkmcnt(0)
	v_cndmask_b32_e64 v23, v23, v25, s[4:5]
	v_cndmask_b32_e64 v22, v22, v24, s[4:5]
	v_cmp_gt_f64_e64 s[4:5], v[2:3], v[22:23]
	v_cndmask_b32_e64 v3, v23, v3, s[4:5]
	v_cndmask_b32_e64 v2, v22, v2, s[4:5]
	;;#ASMSTART
	;;#ASMEND
.LBB1826_38:
	s_or_b64 exec, exec, s[22:23]
	v_cmp_gt_f64_e64 s[4:5], v[4:5], v[2:3]
	v_cndmask_b32_e64 v5, v3, v5, s[4:5]
	v_cndmask_b32_e64 v4, v2, v4, s[4:5]
	v_cmp_lt_f64_e64 s[4:5], v[4:5], v[18:19]
	v_cndmask_b32_e64 v19, v5, v19, s[4:5]
	v_cndmask_b32_e64 v18, v4, v18, s[4:5]
	v_cmp_lt_f64_e64 s[4:5], v[18:19], v[20:21]
	v_cndmask_b32_e64 v21, v19, v21, s[4:5]
	v_cndmask_b32_e64 v20, v18, v20, s[4:5]
	v_cmp_lt_f64_e64 s[4:5], v[20:21], v[10:11]
	v_cndmask_b32_e64 v11, v21, v11, s[4:5]
	v_cndmask_b32_e64 v10, v20, v10, s[4:5]
	v_cmp_lt_f64_e64 s[4:5], v[10:11], v[12:13]
	v_cndmask_b32_e64 v13, v11, v13, s[4:5]
	v_cndmask_b32_e64 v12, v10, v12, s[4:5]
	v_cmp_lt_f64_e64 s[4:5], v[12:13], v[6:7]
	v_cndmask_b32_e64 v7, v13, v7, s[4:5]
	v_cndmask_b32_e64 v6, v12, v6, s[4:5]
	v_cmp_lt_f64_e64 s[4:5], v[6:7], v[8:9]
	v_cndmask_b32_e64 v9, v7, v9, s[4:5]
	v_cndmask_b32_e64 v8, v6, v8, s[4:5]
	v_cmp_lt_f64_e64 s[4:5], v[8:9], v[14:15]
	v_cndmask_b32_e64 v15, v9, v15, s[4:5]
	v_cndmask_b32_e64 v14, v8, v14, s[4:5]
	v_cmp_lt_f64_e64 s[4:5], v[14:15], v[16:17]
	v_cndmask_b32_e64 v17, v15, v17, s[4:5]
	v_cndmask_b32_e64 v16, v14, v16, s[4:5]
	s_movk_i32 s4, 0xffb8
	v_mad_i32_i24 v0, v0, s4, v1
	s_waitcnt lgkmcnt(0)
	s_barrier
	ds_write_b128 v1, v[2:5]
	ds_write_b128 v1, v[18:21] offset:16
	ds_write_b128 v1, v[10:13] offset:32
	;; [unrolled: 1-line block ×4, first 2 shown]
	s_waitcnt lgkmcnt(0)
	s_barrier
	ds_read2st64_b64 v[12:15], v0 offset0:2 offset1:4
	ds_read2st64_b64 v[8:11], v0 offset0:6 offset1:8
	;; [unrolled: 1-line block ×4, first 2 shown]
	ds_read_b64 v[18:19], v26 offset:8192
	v_mov_b32_e32 v17, s21
	v_add_co_u32_e64 v16, s[4:5], s20, v26
	v_addc_co_u32_e64 v17, s[4:5], 0, v17, s[4:5]
	s_and_saveexec_b64 s[4:5], vcc
	s_cbranch_execnz .LBB1826_49
; %bb.39:
	s_or_b64 exec, exec, s[4:5]
	s_and_saveexec_b64 s[4:5], s[0:1]
	s_cbranch_execnz .LBB1826_50
.LBB1826_40:
	s_or_b64 exec, exec, s[4:5]
	s_and_saveexec_b64 s[0:1], s[2:3]
	s_cbranch_execnz .LBB1826_51
.LBB1826_41:
	s_or_b64 exec, exec, s[0:1]
	s_and_saveexec_b64 s[0:1], s[18:19]
	s_cbranch_execnz .LBB1826_52
.LBB1826_42:
	s_or_b64 exec, exec, s[0:1]
	s_and_saveexec_b64 s[0:1], s[6:7]
	s_cbranch_execnz .LBB1826_53
.LBB1826_43:
	s_or_b64 exec, exec, s[0:1]
	s_and_saveexec_b64 s[0:1], s[8:9]
	s_cbranch_execnz .LBB1826_54
.LBB1826_44:
	s_or_b64 exec, exec, s[0:1]
	s_and_saveexec_b64 s[0:1], s[10:11]
	s_cbranch_execnz .LBB1826_55
.LBB1826_45:
	s_or_b64 exec, exec, s[0:1]
	s_and_saveexec_b64 s[0:1], s[12:13]
	s_cbranch_execnz .LBB1826_56
.LBB1826_46:
	s_or_b64 exec, exec, s[0:1]
	s_and_saveexec_b64 s[0:1], s[14:15]
	s_cbranch_execnz .LBB1826_57
.LBB1826_47:
	s_or_b64 exec, exec, s[0:1]
	s_and_saveexec_b64 s[0:1], s[16:17]
	s_cbranch_execnz .LBB1826_58
.LBB1826_48:
	s_endpgm
.LBB1826_49:
	ds_read_b64 v[20:21], v26
	s_waitcnt lgkmcnt(0)
	global_store_dwordx2 v[16:17], v[20:21], off
	s_or_b64 exec, exec, s[4:5]
	s_and_saveexec_b64 s[4:5], s[0:1]
	s_cbranch_execz .LBB1826_40
.LBB1826_50:
	s_waitcnt lgkmcnt(4)
	global_store_dwordx2 v[16:17], v[12:13], off offset:1024
	s_or_b64 exec, exec, s[4:5]
	s_and_saveexec_b64 s[0:1], s[2:3]
	s_cbranch_execz .LBB1826_41
.LBB1826_51:
	s_waitcnt lgkmcnt(4)
	global_store_dwordx2 v[16:17], v[14:15], off offset:2048
	s_or_b64 exec, exec, s[0:1]
	s_and_saveexec_b64 s[0:1], s[18:19]
	s_cbranch_execz .LBB1826_42
.LBB1826_52:
	s_waitcnt lgkmcnt(3)
	global_store_dwordx2 v[16:17], v[8:9], off offset:3072
	s_or_b64 exec, exec, s[0:1]
	s_and_saveexec_b64 s[0:1], s[6:7]
	s_cbranch_execz .LBB1826_43
.LBB1826_53:
	s_waitcnt lgkmcnt(3)
	v_add_co_u32_e32 v8, vcc, 0x1000, v16
	v_addc_co_u32_e32 v9, vcc, 0, v17, vcc
	global_store_dwordx2 v[8:9], v[10:11], off
	s_or_b64 exec, exec, s[0:1]
	s_and_saveexec_b64 s[0:1], s[8:9]
	s_cbranch_execz .LBB1826_44
.LBB1826_54:
	s_waitcnt lgkmcnt(3)
	v_add_co_u32_e32 v8, vcc, 0x1000, v16
	v_addc_co_u32_e32 v9, vcc, 0, v17, vcc
	s_waitcnt lgkmcnt(2)
	global_store_dwordx2 v[8:9], v[4:5], off offset:1024
	s_or_b64 exec, exec, s[0:1]
	s_and_saveexec_b64 s[0:1], s[10:11]
	s_cbranch_execz .LBB1826_45
.LBB1826_55:
	s_waitcnt lgkmcnt(2)
	v_add_co_u32_e32 v4, vcc, 0x1000, v16
	v_addc_co_u32_e32 v5, vcc, 0, v17, vcc
	global_store_dwordx2 v[4:5], v[6:7], off offset:2048
	s_or_b64 exec, exec, s[0:1]
	s_and_saveexec_b64 s[0:1], s[12:13]
	s_cbranch_execz .LBB1826_46
.LBB1826_56:
	s_waitcnt lgkmcnt(2)
	v_add_co_u32_e32 v4, vcc, 0x1000, v16
	v_addc_co_u32_e32 v5, vcc, 0, v17, vcc
	s_waitcnt lgkmcnt(1)
	global_store_dwordx2 v[4:5], v[0:1], off offset:3072
	s_or_b64 exec, exec, s[0:1]
	s_and_saveexec_b64 s[0:1], s[14:15]
	s_cbranch_execz .LBB1826_47
.LBB1826_57:
	s_waitcnt lgkmcnt(1)
	v_add_co_u32_e32 v0, vcc, 0x2000, v16
	v_addc_co_u32_e32 v1, vcc, 0, v17, vcc
	s_waitcnt lgkmcnt(0)
	global_store_dwordx2 v[0:1], v[18:19], off
	s_or_b64 exec, exec, s[0:1]
	s_and_saveexec_b64 s[0:1], s[16:17]
	s_cbranch_execz .LBB1826_48
.LBB1826_58:
	s_waitcnt lgkmcnt(1)
	v_add_co_u32_e32 v0, vcc, 0x2000, v16
	v_addc_co_u32_e32 v1, vcc, 0, v17, vcc
	global_store_dwordx2 v[0:1], v[2:3], off offset:1024
	s_endpgm
	.section	.rodata,"a",@progbits
	.p2align	6, 0x0
	.amdhsa_kernel _ZN7rocprim17ROCPRIM_400000_NS6detail17trampoline_kernelINS0_14default_configENS1_20scan_config_selectorIdEEZZNS1_9scan_implILNS1_25lookback_scan_determinismE0ELb0ELb0ES3_N6thrust23THRUST_200600_302600_NS6detail15normal_iteratorINS9_10device_ptrIdEEEESE_d11max_functorIdEdEEDaPvRmT3_T4_T5_mT6_P12ihipStream_tbENKUlT_T0_E_clISt17integral_constantIbLb1EESU_EEDaSP_SQ_EUlSP_E0_NS1_11comp_targetILNS1_3genE4ELNS1_11target_archE910ELNS1_3gpuE8ELNS1_3repE0EEENS1_30default_config_static_selectorELNS0_4arch9wavefront6targetE1EEEvT1_
		.amdhsa_group_segment_fixed_size 10240
		.amdhsa_private_segment_fixed_size 0
		.amdhsa_kernarg_size 40
		.amdhsa_user_sgpr_count 6
		.amdhsa_user_sgpr_private_segment_buffer 1
		.amdhsa_user_sgpr_dispatch_ptr 0
		.amdhsa_user_sgpr_queue_ptr 0
		.amdhsa_user_sgpr_kernarg_segment_ptr 1
		.amdhsa_user_sgpr_dispatch_id 0
		.amdhsa_user_sgpr_flat_scratch_init 0
		.amdhsa_user_sgpr_kernarg_preload_length 0
		.amdhsa_user_sgpr_kernarg_preload_offset 0
		.amdhsa_user_sgpr_private_segment_size 0
		.amdhsa_uses_dynamic_stack 0
		.amdhsa_system_sgpr_private_segment_wavefront_offset 0
		.amdhsa_system_sgpr_workgroup_id_x 1
		.amdhsa_system_sgpr_workgroup_id_y 0
		.amdhsa_system_sgpr_workgroup_id_z 0
		.amdhsa_system_sgpr_workgroup_info 0
		.amdhsa_system_vgpr_workitem_id 0
		.amdhsa_next_free_vgpr 33
		.amdhsa_next_free_sgpr 26
		.amdhsa_accum_offset 36
		.amdhsa_reserve_vcc 1
		.amdhsa_reserve_flat_scratch 0
		.amdhsa_float_round_mode_32 0
		.amdhsa_float_round_mode_16_64 0
		.amdhsa_float_denorm_mode_32 3
		.amdhsa_float_denorm_mode_16_64 3
		.amdhsa_dx10_clamp 1
		.amdhsa_ieee_mode 1
		.amdhsa_fp16_overflow 0
		.amdhsa_tg_split 0
		.amdhsa_exception_fp_ieee_invalid_op 0
		.amdhsa_exception_fp_denorm_src 0
		.amdhsa_exception_fp_ieee_div_zero 0
		.amdhsa_exception_fp_ieee_overflow 0
		.amdhsa_exception_fp_ieee_underflow 0
		.amdhsa_exception_fp_ieee_inexact 0
		.amdhsa_exception_int_div_zero 0
	.end_amdhsa_kernel
	.section	.text._ZN7rocprim17ROCPRIM_400000_NS6detail17trampoline_kernelINS0_14default_configENS1_20scan_config_selectorIdEEZZNS1_9scan_implILNS1_25lookback_scan_determinismE0ELb0ELb0ES3_N6thrust23THRUST_200600_302600_NS6detail15normal_iteratorINS9_10device_ptrIdEEEESE_d11max_functorIdEdEEDaPvRmT3_T4_T5_mT6_P12ihipStream_tbENKUlT_T0_E_clISt17integral_constantIbLb1EESU_EEDaSP_SQ_EUlSP_E0_NS1_11comp_targetILNS1_3genE4ELNS1_11target_archE910ELNS1_3gpuE8ELNS1_3repE0EEENS1_30default_config_static_selectorELNS0_4arch9wavefront6targetE1EEEvT1_,"axG",@progbits,_ZN7rocprim17ROCPRIM_400000_NS6detail17trampoline_kernelINS0_14default_configENS1_20scan_config_selectorIdEEZZNS1_9scan_implILNS1_25lookback_scan_determinismE0ELb0ELb0ES3_N6thrust23THRUST_200600_302600_NS6detail15normal_iteratorINS9_10device_ptrIdEEEESE_d11max_functorIdEdEEDaPvRmT3_T4_T5_mT6_P12ihipStream_tbENKUlT_T0_E_clISt17integral_constantIbLb1EESU_EEDaSP_SQ_EUlSP_E0_NS1_11comp_targetILNS1_3genE4ELNS1_11target_archE910ELNS1_3gpuE8ELNS1_3repE0EEENS1_30default_config_static_selectorELNS0_4arch9wavefront6targetE1EEEvT1_,comdat
.Lfunc_end1826:
	.size	_ZN7rocprim17ROCPRIM_400000_NS6detail17trampoline_kernelINS0_14default_configENS1_20scan_config_selectorIdEEZZNS1_9scan_implILNS1_25lookback_scan_determinismE0ELb0ELb0ES3_N6thrust23THRUST_200600_302600_NS6detail15normal_iteratorINS9_10device_ptrIdEEEESE_d11max_functorIdEdEEDaPvRmT3_T4_T5_mT6_P12ihipStream_tbENKUlT_T0_E_clISt17integral_constantIbLb1EESU_EEDaSP_SQ_EUlSP_E0_NS1_11comp_targetILNS1_3genE4ELNS1_11target_archE910ELNS1_3gpuE8ELNS1_3repE0EEENS1_30default_config_static_selectorELNS0_4arch9wavefront6targetE1EEEvT1_, .Lfunc_end1826-_ZN7rocprim17ROCPRIM_400000_NS6detail17trampoline_kernelINS0_14default_configENS1_20scan_config_selectorIdEEZZNS1_9scan_implILNS1_25lookback_scan_determinismE0ELb0ELb0ES3_N6thrust23THRUST_200600_302600_NS6detail15normal_iteratorINS9_10device_ptrIdEEEESE_d11max_functorIdEdEEDaPvRmT3_T4_T5_mT6_P12ihipStream_tbENKUlT_T0_E_clISt17integral_constantIbLb1EESU_EEDaSP_SQ_EUlSP_E0_NS1_11comp_targetILNS1_3genE4ELNS1_11target_archE910ELNS1_3gpuE8ELNS1_3repE0EEENS1_30default_config_static_selectorELNS0_4arch9wavefront6targetE1EEEvT1_
                                        ; -- End function
	.section	.AMDGPU.csdata,"",@progbits
; Kernel info:
; codeLenInByte = 2344
; NumSgprs: 30
; NumVgprs: 33
; NumAgprs: 0
; TotalNumVgprs: 33
; ScratchSize: 0
; MemoryBound: 0
; FloatMode: 240
; IeeeMode: 1
; LDSByteSize: 10240 bytes/workgroup (compile time only)
; SGPRBlocks: 3
; VGPRBlocks: 4
; NumSGPRsForWavesPerEU: 30
; NumVGPRsForWavesPerEU: 33
; AccumOffset: 36
; Occupancy: 3
; WaveLimiterHint : 0
; COMPUTE_PGM_RSRC2:SCRATCH_EN: 0
; COMPUTE_PGM_RSRC2:USER_SGPR: 6
; COMPUTE_PGM_RSRC2:TRAP_HANDLER: 0
; COMPUTE_PGM_RSRC2:TGID_X_EN: 1
; COMPUTE_PGM_RSRC2:TGID_Y_EN: 0
; COMPUTE_PGM_RSRC2:TGID_Z_EN: 0
; COMPUTE_PGM_RSRC2:TIDIG_COMP_CNT: 0
; COMPUTE_PGM_RSRC3_GFX90A:ACCUM_OFFSET: 8
; COMPUTE_PGM_RSRC3_GFX90A:TG_SPLIT: 0
	.section	.text._ZN7rocprim17ROCPRIM_400000_NS6detail17trampoline_kernelINS0_14default_configENS1_20scan_config_selectorIdEEZZNS1_9scan_implILNS1_25lookback_scan_determinismE0ELb0ELb0ES3_N6thrust23THRUST_200600_302600_NS6detail15normal_iteratorINS9_10device_ptrIdEEEESE_d11max_functorIdEdEEDaPvRmT3_T4_T5_mT6_P12ihipStream_tbENKUlT_T0_E_clISt17integral_constantIbLb1EESU_EEDaSP_SQ_EUlSP_E0_NS1_11comp_targetILNS1_3genE3ELNS1_11target_archE908ELNS1_3gpuE7ELNS1_3repE0EEENS1_30default_config_static_selectorELNS0_4arch9wavefront6targetE1EEEvT1_,"axG",@progbits,_ZN7rocprim17ROCPRIM_400000_NS6detail17trampoline_kernelINS0_14default_configENS1_20scan_config_selectorIdEEZZNS1_9scan_implILNS1_25lookback_scan_determinismE0ELb0ELb0ES3_N6thrust23THRUST_200600_302600_NS6detail15normal_iteratorINS9_10device_ptrIdEEEESE_d11max_functorIdEdEEDaPvRmT3_T4_T5_mT6_P12ihipStream_tbENKUlT_T0_E_clISt17integral_constantIbLb1EESU_EEDaSP_SQ_EUlSP_E0_NS1_11comp_targetILNS1_3genE3ELNS1_11target_archE908ELNS1_3gpuE7ELNS1_3repE0EEENS1_30default_config_static_selectorELNS0_4arch9wavefront6targetE1EEEvT1_,comdat
	.protected	_ZN7rocprim17ROCPRIM_400000_NS6detail17trampoline_kernelINS0_14default_configENS1_20scan_config_selectorIdEEZZNS1_9scan_implILNS1_25lookback_scan_determinismE0ELb0ELb0ES3_N6thrust23THRUST_200600_302600_NS6detail15normal_iteratorINS9_10device_ptrIdEEEESE_d11max_functorIdEdEEDaPvRmT3_T4_T5_mT6_P12ihipStream_tbENKUlT_T0_E_clISt17integral_constantIbLb1EESU_EEDaSP_SQ_EUlSP_E0_NS1_11comp_targetILNS1_3genE3ELNS1_11target_archE908ELNS1_3gpuE7ELNS1_3repE0EEENS1_30default_config_static_selectorELNS0_4arch9wavefront6targetE1EEEvT1_ ; -- Begin function _ZN7rocprim17ROCPRIM_400000_NS6detail17trampoline_kernelINS0_14default_configENS1_20scan_config_selectorIdEEZZNS1_9scan_implILNS1_25lookback_scan_determinismE0ELb0ELb0ES3_N6thrust23THRUST_200600_302600_NS6detail15normal_iteratorINS9_10device_ptrIdEEEESE_d11max_functorIdEdEEDaPvRmT3_T4_T5_mT6_P12ihipStream_tbENKUlT_T0_E_clISt17integral_constantIbLb1EESU_EEDaSP_SQ_EUlSP_E0_NS1_11comp_targetILNS1_3genE3ELNS1_11target_archE908ELNS1_3gpuE7ELNS1_3repE0EEENS1_30default_config_static_selectorELNS0_4arch9wavefront6targetE1EEEvT1_
	.globl	_ZN7rocprim17ROCPRIM_400000_NS6detail17trampoline_kernelINS0_14default_configENS1_20scan_config_selectorIdEEZZNS1_9scan_implILNS1_25lookback_scan_determinismE0ELb0ELb0ES3_N6thrust23THRUST_200600_302600_NS6detail15normal_iteratorINS9_10device_ptrIdEEEESE_d11max_functorIdEdEEDaPvRmT3_T4_T5_mT6_P12ihipStream_tbENKUlT_T0_E_clISt17integral_constantIbLb1EESU_EEDaSP_SQ_EUlSP_E0_NS1_11comp_targetILNS1_3genE3ELNS1_11target_archE908ELNS1_3gpuE7ELNS1_3repE0EEENS1_30default_config_static_selectorELNS0_4arch9wavefront6targetE1EEEvT1_
	.p2align	8
	.type	_ZN7rocprim17ROCPRIM_400000_NS6detail17trampoline_kernelINS0_14default_configENS1_20scan_config_selectorIdEEZZNS1_9scan_implILNS1_25lookback_scan_determinismE0ELb0ELb0ES3_N6thrust23THRUST_200600_302600_NS6detail15normal_iteratorINS9_10device_ptrIdEEEESE_d11max_functorIdEdEEDaPvRmT3_T4_T5_mT6_P12ihipStream_tbENKUlT_T0_E_clISt17integral_constantIbLb1EESU_EEDaSP_SQ_EUlSP_E0_NS1_11comp_targetILNS1_3genE3ELNS1_11target_archE908ELNS1_3gpuE7ELNS1_3repE0EEENS1_30default_config_static_selectorELNS0_4arch9wavefront6targetE1EEEvT1_,@function
_ZN7rocprim17ROCPRIM_400000_NS6detail17trampoline_kernelINS0_14default_configENS1_20scan_config_selectorIdEEZZNS1_9scan_implILNS1_25lookback_scan_determinismE0ELb0ELb0ES3_N6thrust23THRUST_200600_302600_NS6detail15normal_iteratorINS9_10device_ptrIdEEEESE_d11max_functorIdEdEEDaPvRmT3_T4_T5_mT6_P12ihipStream_tbENKUlT_T0_E_clISt17integral_constantIbLb1EESU_EEDaSP_SQ_EUlSP_E0_NS1_11comp_targetILNS1_3genE3ELNS1_11target_archE908ELNS1_3gpuE7ELNS1_3repE0EEENS1_30default_config_static_selectorELNS0_4arch9wavefront6targetE1EEEvT1_: ; @_ZN7rocprim17ROCPRIM_400000_NS6detail17trampoline_kernelINS0_14default_configENS1_20scan_config_selectorIdEEZZNS1_9scan_implILNS1_25lookback_scan_determinismE0ELb0ELb0ES3_N6thrust23THRUST_200600_302600_NS6detail15normal_iteratorINS9_10device_ptrIdEEEESE_d11max_functorIdEdEEDaPvRmT3_T4_T5_mT6_P12ihipStream_tbENKUlT_T0_E_clISt17integral_constantIbLb1EESU_EEDaSP_SQ_EUlSP_E0_NS1_11comp_targetILNS1_3genE3ELNS1_11target_archE908ELNS1_3gpuE7ELNS1_3repE0EEENS1_30default_config_static_selectorELNS0_4arch9wavefront6targetE1EEEvT1_
; %bb.0:
	.section	.rodata,"a",@progbits
	.p2align	6, 0x0
	.amdhsa_kernel _ZN7rocprim17ROCPRIM_400000_NS6detail17trampoline_kernelINS0_14default_configENS1_20scan_config_selectorIdEEZZNS1_9scan_implILNS1_25lookback_scan_determinismE0ELb0ELb0ES3_N6thrust23THRUST_200600_302600_NS6detail15normal_iteratorINS9_10device_ptrIdEEEESE_d11max_functorIdEdEEDaPvRmT3_T4_T5_mT6_P12ihipStream_tbENKUlT_T0_E_clISt17integral_constantIbLb1EESU_EEDaSP_SQ_EUlSP_E0_NS1_11comp_targetILNS1_3genE3ELNS1_11target_archE908ELNS1_3gpuE7ELNS1_3repE0EEENS1_30default_config_static_selectorELNS0_4arch9wavefront6targetE1EEEvT1_
		.amdhsa_group_segment_fixed_size 0
		.amdhsa_private_segment_fixed_size 0
		.amdhsa_kernarg_size 40
		.amdhsa_user_sgpr_count 6
		.amdhsa_user_sgpr_private_segment_buffer 1
		.amdhsa_user_sgpr_dispatch_ptr 0
		.amdhsa_user_sgpr_queue_ptr 0
		.amdhsa_user_sgpr_kernarg_segment_ptr 1
		.amdhsa_user_sgpr_dispatch_id 0
		.amdhsa_user_sgpr_flat_scratch_init 0
		.amdhsa_user_sgpr_kernarg_preload_length 0
		.amdhsa_user_sgpr_kernarg_preload_offset 0
		.amdhsa_user_sgpr_private_segment_size 0
		.amdhsa_uses_dynamic_stack 0
		.amdhsa_system_sgpr_private_segment_wavefront_offset 0
		.amdhsa_system_sgpr_workgroup_id_x 1
		.amdhsa_system_sgpr_workgroup_id_y 0
		.amdhsa_system_sgpr_workgroup_id_z 0
		.amdhsa_system_sgpr_workgroup_info 0
		.amdhsa_system_vgpr_workitem_id 0
		.amdhsa_next_free_vgpr 1
		.amdhsa_next_free_sgpr 0
		.amdhsa_accum_offset 4
		.amdhsa_reserve_vcc 0
		.amdhsa_reserve_flat_scratch 0
		.amdhsa_float_round_mode_32 0
		.amdhsa_float_round_mode_16_64 0
		.amdhsa_float_denorm_mode_32 3
		.amdhsa_float_denorm_mode_16_64 3
		.amdhsa_dx10_clamp 1
		.amdhsa_ieee_mode 1
		.amdhsa_fp16_overflow 0
		.amdhsa_tg_split 0
		.amdhsa_exception_fp_ieee_invalid_op 0
		.amdhsa_exception_fp_denorm_src 0
		.amdhsa_exception_fp_ieee_div_zero 0
		.amdhsa_exception_fp_ieee_overflow 0
		.amdhsa_exception_fp_ieee_underflow 0
		.amdhsa_exception_fp_ieee_inexact 0
		.amdhsa_exception_int_div_zero 0
	.end_amdhsa_kernel
	.section	.text._ZN7rocprim17ROCPRIM_400000_NS6detail17trampoline_kernelINS0_14default_configENS1_20scan_config_selectorIdEEZZNS1_9scan_implILNS1_25lookback_scan_determinismE0ELb0ELb0ES3_N6thrust23THRUST_200600_302600_NS6detail15normal_iteratorINS9_10device_ptrIdEEEESE_d11max_functorIdEdEEDaPvRmT3_T4_T5_mT6_P12ihipStream_tbENKUlT_T0_E_clISt17integral_constantIbLb1EESU_EEDaSP_SQ_EUlSP_E0_NS1_11comp_targetILNS1_3genE3ELNS1_11target_archE908ELNS1_3gpuE7ELNS1_3repE0EEENS1_30default_config_static_selectorELNS0_4arch9wavefront6targetE1EEEvT1_,"axG",@progbits,_ZN7rocprim17ROCPRIM_400000_NS6detail17trampoline_kernelINS0_14default_configENS1_20scan_config_selectorIdEEZZNS1_9scan_implILNS1_25lookback_scan_determinismE0ELb0ELb0ES3_N6thrust23THRUST_200600_302600_NS6detail15normal_iteratorINS9_10device_ptrIdEEEESE_d11max_functorIdEdEEDaPvRmT3_T4_T5_mT6_P12ihipStream_tbENKUlT_T0_E_clISt17integral_constantIbLb1EESU_EEDaSP_SQ_EUlSP_E0_NS1_11comp_targetILNS1_3genE3ELNS1_11target_archE908ELNS1_3gpuE7ELNS1_3repE0EEENS1_30default_config_static_selectorELNS0_4arch9wavefront6targetE1EEEvT1_,comdat
.Lfunc_end1827:
	.size	_ZN7rocprim17ROCPRIM_400000_NS6detail17trampoline_kernelINS0_14default_configENS1_20scan_config_selectorIdEEZZNS1_9scan_implILNS1_25lookback_scan_determinismE0ELb0ELb0ES3_N6thrust23THRUST_200600_302600_NS6detail15normal_iteratorINS9_10device_ptrIdEEEESE_d11max_functorIdEdEEDaPvRmT3_T4_T5_mT6_P12ihipStream_tbENKUlT_T0_E_clISt17integral_constantIbLb1EESU_EEDaSP_SQ_EUlSP_E0_NS1_11comp_targetILNS1_3genE3ELNS1_11target_archE908ELNS1_3gpuE7ELNS1_3repE0EEENS1_30default_config_static_selectorELNS0_4arch9wavefront6targetE1EEEvT1_, .Lfunc_end1827-_ZN7rocprim17ROCPRIM_400000_NS6detail17trampoline_kernelINS0_14default_configENS1_20scan_config_selectorIdEEZZNS1_9scan_implILNS1_25lookback_scan_determinismE0ELb0ELb0ES3_N6thrust23THRUST_200600_302600_NS6detail15normal_iteratorINS9_10device_ptrIdEEEESE_d11max_functorIdEdEEDaPvRmT3_T4_T5_mT6_P12ihipStream_tbENKUlT_T0_E_clISt17integral_constantIbLb1EESU_EEDaSP_SQ_EUlSP_E0_NS1_11comp_targetILNS1_3genE3ELNS1_11target_archE908ELNS1_3gpuE7ELNS1_3repE0EEENS1_30default_config_static_selectorELNS0_4arch9wavefront6targetE1EEEvT1_
                                        ; -- End function
	.section	.AMDGPU.csdata,"",@progbits
; Kernel info:
; codeLenInByte = 0
; NumSgprs: 4
; NumVgprs: 0
; NumAgprs: 0
; TotalNumVgprs: 0
; ScratchSize: 0
; MemoryBound: 0
; FloatMode: 240
; IeeeMode: 1
; LDSByteSize: 0 bytes/workgroup (compile time only)
; SGPRBlocks: 0
; VGPRBlocks: 0
; NumSGPRsForWavesPerEU: 4
; NumVGPRsForWavesPerEU: 1
; AccumOffset: 4
; Occupancy: 8
; WaveLimiterHint : 0
; COMPUTE_PGM_RSRC2:SCRATCH_EN: 0
; COMPUTE_PGM_RSRC2:USER_SGPR: 6
; COMPUTE_PGM_RSRC2:TRAP_HANDLER: 0
; COMPUTE_PGM_RSRC2:TGID_X_EN: 1
; COMPUTE_PGM_RSRC2:TGID_Y_EN: 0
; COMPUTE_PGM_RSRC2:TGID_Z_EN: 0
; COMPUTE_PGM_RSRC2:TIDIG_COMP_CNT: 0
; COMPUTE_PGM_RSRC3_GFX90A:ACCUM_OFFSET: 0
; COMPUTE_PGM_RSRC3_GFX90A:TG_SPLIT: 0
	.section	.text._ZN7rocprim17ROCPRIM_400000_NS6detail17trampoline_kernelINS0_14default_configENS1_20scan_config_selectorIdEEZZNS1_9scan_implILNS1_25lookback_scan_determinismE0ELb0ELb0ES3_N6thrust23THRUST_200600_302600_NS6detail15normal_iteratorINS9_10device_ptrIdEEEESE_d11max_functorIdEdEEDaPvRmT3_T4_T5_mT6_P12ihipStream_tbENKUlT_T0_E_clISt17integral_constantIbLb1EESU_EEDaSP_SQ_EUlSP_E0_NS1_11comp_targetILNS1_3genE2ELNS1_11target_archE906ELNS1_3gpuE6ELNS1_3repE0EEENS1_30default_config_static_selectorELNS0_4arch9wavefront6targetE1EEEvT1_,"axG",@progbits,_ZN7rocprim17ROCPRIM_400000_NS6detail17trampoline_kernelINS0_14default_configENS1_20scan_config_selectorIdEEZZNS1_9scan_implILNS1_25lookback_scan_determinismE0ELb0ELb0ES3_N6thrust23THRUST_200600_302600_NS6detail15normal_iteratorINS9_10device_ptrIdEEEESE_d11max_functorIdEdEEDaPvRmT3_T4_T5_mT6_P12ihipStream_tbENKUlT_T0_E_clISt17integral_constantIbLb1EESU_EEDaSP_SQ_EUlSP_E0_NS1_11comp_targetILNS1_3genE2ELNS1_11target_archE906ELNS1_3gpuE6ELNS1_3repE0EEENS1_30default_config_static_selectorELNS0_4arch9wavefront6targetE1EEEvT1_,comdat
	.protected	_ZN7rocprim17ROCPRIM_400000_NS6detail17trampoline_kernelINS0_14default_configENS1_20scan_config_selectorIdEEZZNS1_9scan_implILNS1_25lookback_scan_determinismE0ELb0ELb0ES3_N6thrust23THRUST_200600_302600_NS6detail15normal_iteratorINS9_10device_ptrIdEEEESE_d11max_functorIdEdEEDaPvRmT3_T4_T5_mT6_P12ihipStream_tbENKUlT_T0_E_clISt17integral_constantIbLb1EESU_EEDaSP_SQ_EUlSP_E0_NS1_11comp_targetILNS1_3genE2ELNS1_11target_archE906ELNS1_3gpuE6ELNS1_3repE0EEENS1_30default_config_static_selectorELNS0_4arch9wavefront6targetE1EEEvT1_ ; -- Begin function _ZN7rocprim17ROCPRIM_400000_NS6detail17trampoline_kernelINS0_14default_configENS1_20scan_config_selectorIdEEZZNS1_9scan_implILNS1_25lookback_scan_determinismE0ELb0ELb0ES3_N6thrust23THRUST_200600_302600_NS6detail15normal_iteratorINS9_10device_ptrIdEEEESE_d11max_functorIdEdEEDaPvRmT3_T4_T5_mT6_P12ihipStream_tbENKUlT_T0_E_clISt17integral_constantIbLb1EESU_EEDaSP_SQ_EUlSP_E0_NS1_11comp_targetILNS1_3genE2ELNS1_11target_archE906ELNS1_3gpuE6ELNS1_3repE0EEENS1_30default_config_static_selectorELNS0_4arch9wavefront6targetE1EEEvT1_
	.globl	_ZN7rocprim17ROCPRIM_400000_NS6detail17trampoline_kernelINS0_14default_configENS1_20scan_config_selectorIdEEZZNS1_9scan_implILNS1_25lookback_scan_determinismE0ELb0ELb0ES3_N6thrust23THRUST_200600_302600_NS6detail15normal_iteratorINS9_10device_ptrIdEEEESE_d11max_functorIdEdEEDaPvRmT3_T4_T5_mT6_P12ihipStream_tbENKUlT_T0_E_clISt17integral_constantIbLb1EESU_EEDaSP_SQ_EUlSP_E0_NS1_11comp_targetILNS1_3genE2ELNS1_11target_archE906ELNS1_3gpuE6ELNS1_3repE0EEENS1_30default_config_static_selectorELNS0_4arch9wavefront6targetE1EEEvT1_
	.p2align	8
	.type	_ZN7rocprim17ROCPRIM_400000_NS6detail17trampoline_kernelINS0_14default_configENS1_20scan_config_selectorIdEEZZNS1_9scan_implILNS1_25lookback_scan_determinismE0ELb0ELb0ES3_N6thrust23THRUST_200600_302600_NS6detail15normal_iteratorINS9_10device_ptrIdEEEESE_d11max_functorIdEdEEDaPvRmT3_T4_T5_mT6_P12ihipStream_tbENKUlT_T0_E_clISt17integral_constantIbLb1EESU_EEDaSP_SQ_EUlSP_E0_NS1_11comp_targetILNS1_3genE2ELNS1_11target_archE906ELNS1_3gpuE6ELNS1_3repE0EEENS1_30default_config_static_selectorELNS0_4arch9wavefront6targetE1EEEvT1_,@function
_ZN7rocprim17ROCPRIM_400000_NS6detail17trampoline_kernelINS0_14default_configENS1_20scan_config_selectorIdEEZZNS1_9scan_implILNS1_25lookback_scan_determinismE0ELb0ELb0ES3_N6thrust23THRUST_200600_302600_NS6detail15normal_iteratorINS9_10device_ptrIdEEEESE_d11max_functorIdEdEEDaPvRmT3_T4_T5_mT6_P12ihipStream_tbENKUlT_T0_E_clISt17integral_constantIbLb1EESU_EEDaSP_SQ_EUlSP_E0_NS1_11comp_targetILNS1_3genE2ELNS1_11target_archE906ELNS1_3gpuE6ELNS1_3repE0EEENS1_30default_config_static_selectorELNS0_4arch9wavefront6targetE1EEEvT1_: ; @_ZN7rocprim17ROCPRIM_400000_NS6detail17trampoline_kernelINS0_14default_configENS1_20scan_config_selectorIdEEZZNS1_9scan_implILNS1_25lookback_scan_determinismE0ELb0ELb0ES3_N6thrust23THRUST_200600_302600_NS6detail15normal_iteratorINS9_10device_ptrIdEEEESE_d11max_functorIdEdEEDaPvRmT3_T4_T5_mT6_P12ihipStream_tbENKUlT_T0_E_clISt17integral_constantIbLb1EESU_EEDaSP_SQ_EUlSP_E0_NS1_11comp_targetILNS1_3genE2ELNS1_11target_archE906ELNS1_3gpuE6ELNS1_3repE0EEENS1_30default_config_static_selectorELNS0_4arch9wavefront6targetE1EEEvT1_
; %bb.0:
	.section	.rodata,"a",@progbits
	.p2align	6, 0x0
	.amdhsa_kernel _ZN7rocprim17ROCPRIM_400000_NS6detail17trampoline_kernelINS0_14default_configENS1_20scan_config_selectorIdEEZZNS1_9scan_implILNS1_25lookback_scan_determinismE0ELb0ELb0ES3_N6thrust23THRUST_200600_302600_NS6detail15normal_iteratorINS9_10device_ptrIdEEEESE_d11max_functorIdEdEEDaPvRmT3_T4_T5_mT6_P12ihipStream_tbENKUlT_T0_E_clISt17integral_constantIbLb1EESU_EEDaSP_SQ_EUlSP_E0_NS1_11comp_targetILNS1_3genE2ELNS1_11target_archE906ELNS1_3gpuE6ELNS1_3repE0EEENS1_30default_config_static_selectorELNS0_4arch9wavefront6targetE1EEEvT1_
		.amdhsa_group_segment_fixed_size 0
		.amdhsa_private_segment_fixed_size 0
		.amdhsa_kernarg_size 40
		.amdhsa_user_sgpr_count 6
		.amdhsa_user_sgpr_private_segment_buffer 1
		.amdhsa_user_sgpr_dispatch_ptr 0
		.amdhsa_user_sgpr_queue_ptr 0
		.amdhsa_user_sgpr_kernarg_segment_ptr 1
		.amdhsa_user_sgpr_dispatch_id 0
		.amdhsa_user_sgpr_flat_scratch_init 0
		.amdhsa_user_sgpr_kernarg_preload_length 0
		.amdhsa_user_sgpr_kernarg_preload_offset 0
		.amdhsa_user_sgpr_private_segment_size 0
		.amdhsa_uses_dynamic_stack 0
		.amdhsa_system_sgpr_private_segment_wavefront_offset 0
		.amdhsa_system_sgpr_workgroup_id_x 1
		.amdhsa_system_sgpr_workgroup_id_y 0
		.amdhsa_system_sgpr_workgroup_id_z 0
		.amdhsa_system_sgpr_workgroup_info 0
		.amdhsa_system_vgpr_workitem_id 0
		.amdhsa_next_free_vgpr 1
		.amdhsa_next_free_sgpr 0
		.amdhsa_accum_offset 4
		.amdhsa_reserve_vcc 0
		.amdhsa_reserve_flat_scratch 0
		.amdhsa_float_round_mode_32 0
		.amdhsa_float_round_mode_16_64 0
		.amdhsa_float_denorm_mode_32 3
		.amdhsa_float_denorm_mode_16_64 3
		.amdhsa_dx10_clamp 1
		.amdhsa_ieee_mode 1
		.amdhsa_fp16_overflow 0
		.amdhsa_tg_split 0
		.amdhsa_exception_fp_ieee_invalid_op 0
		.amdhsa_exception_fp_denorm_src 0
		.amdhsa_exception_fp_ieee_div_zero 0
		.amdhsa_exception_fp_ieee_overflow 0
		.amdhsa_exception_fp_ieee_underflow 0
		.amdhsa_exception_fp_ieee_inexact 0
		.amdhsa_exception_int_div_zero 0
	.end_amdhsa_kernel
	.section	.text._ZN7rocprim17ROCPRIM_400000_NS6detail17trampoline_kernelINS0_14default_configENS1_20scan_config_selectorIdEEZZNS1_9scan_implILNS1_25lookback_scan_determinismE0ELb0ELb0ES3_N6thrust23THRUST_200600_302600_NS6detail15normal_iteratorINS9_10device_ptrIdEEEESE_d11max_functorIdEdEEDaPvRmT3_T4_T5_mT6_P12ihipStream_tbENKUlT_T0_E_clISt17integral_constantIbLb1EESU_EEDaSP_SQ_EUlSP_E0_NS1_11comp_targetILNS1_3genE2ELNS1_11target_archE906ELNS1_3gpuE6ELNS1_3repE0EEENS1_30default_config_static_selectorELNS0_4arch9wavefront6targetE1EEEvT1_,"axG",@progbits,_ZN7rocprim17ROCPRIM_400000_NS6detail17trampoline_kernelINS0_14default_configENS1_20scan_config_selectorIdEEZZNS1_9scan_implILNS1_25lookback_scan_determinismE0ELb0ELb0ES3_N6thrust23THRUST_200600_302600_NS6detail15normal_iteratorINS9_10device_ptrIdEEEESE_d11max_functorIdEdEEDaPvRmT3_T4_T5_mT6_P12ihipStream_tbENKUlT_T0_E_clISt17integral_constantIbLb1EESU_EEDaSP_SQ_EUlSP_E0_NS1_11comp_targetILNS1_3genE2ELNS1_11target_archE906ELNS1_3gpuE6ELNS1_3repE0EEENS1_30default_config_static_selectorELNS0_4arch9wavefront6targetE1EEEvT1_,comdat
.Lfunc_end1828:
	.size	_ZN7rocprim17ROCPRIM_400000_NS6detail17trampoline_kernelINS0_14default_configENS1_20scan_config_selectorIdEEZZNS1_9scan_implILNS1_25lookback_scan_determinismE0ELb0ELb0ES3_N6thrust23THRUST_200600_302600_NS6detail15normal_iteratorINS9_10device_ptrIdEEEESE_d11max_functorIdEdEEDaPvRmT3_T4_T5_mT6_P12ihipStream_tbENKUlT_T0_E_clISt17integral_constantIbLb1EESU_EEDaSP_SQ_EUlSP_E0_NS1_11comp_targetILNS1_3genE2ELNS1_11target_archE906ELNS1_3gpuE6ELNS1_3repE0EEENS1_30default_config_static_selectorELNS0_4arch9wavefront6targetE1EEEvT1_, .Lfunc_end1828-_ZN7rocprim17ROCPRIM_400000_NS6detail17trampoline_kernelINS0_14default_configENS1_20scan_config_selectorIdEEZZNS1_9scan_implILNS1_25lookback_scan_determinismE0ELb0ELb0ES3_N6thrust23THRUST_200600_302600_NS6detail15normal_iteratorINS9_10device_ptrIdEEEESE_d11max_functorIdEdEEDaPvRmT3_T4_T5_mT6_P12ihipStream_tbENKUlT_T0_E_clISt17integral_constantIbLb1EESU_EEDaSP_SQ_EUlSP_E0_NS1_11comp_targetILNS1_3genE2ELNS1_11target_archE906ELNS1_3gpuE6ELNS1_3repE0EEENS1_30default_config_static_selectorELNS0_4arch9wavefront6targetE1EEEvT1_
                                        ; -- End function
	.section	.AMDGPU.csdata,"",@progbits
; Kernel info:
; codeLenInByte = 0
; NumSgprs: 4
; NumVgprs: 0
; NumAgprs: 0
; TotalNumVgprs: 0
; ScratchSize: 0
; MemoryBound: 0
; FloatMode: 240
; IeeeMode: 1
; LDSByteSize: 0 bytes/workgroup (compile time only)
; SGPRBlocks: 0
; VGPRBlocks: 0
; NumSGPRsForWavesPerEU: 4
; NumVGPRsForWavesPerEU: 1
; AccumOffset: 4
; Occupancy: 8
; WaveLimiterHint : 0
; COMPUTE_PGM_RSRC2:SCRATCH_EN: 0
; COMPUTE_PGM_RSRC2:USER_SGPR: 6
; COMPUTE_PGM_RSRC2:TRAP_HANDLER: 0
; COMPUTE_PGM_RSRC2:TGID_X_EN: 1
; COMPUTE_PGM_RSRC2:TGID_Y_EN: 0
; COMPUTE_PGM_RSRC2:TGID_Z_EN: 0
; COMPUTE_PGM_RSRC2:TIDIG_COMP_CNT: 0
; COMPUTE_PGM_RSRC3_GFX90A:ACCUM_OFFSET: 0
; COMPUTE_PGM_RSRC3_GFX90A:TG_SPLIT: 0
	.section	.text._ZN7rocprim17ROCPRIM_400000_NS6detail17trampoline_kernelINS0_14default_configENS1_20scan_config_selectorIdEEZZNS1_9scan_implILNS1_25lookback_scan_determinismE0ELb0ELb0ES3_N6thrust23THRUST_200600_302600_NS6detail15normal_iteratorINS9_10device_ptrIdEEEESE_d11max_functorIdEdEEDaPvRmT3_T4_T5_mT6_P12ihipStream_tbENKUlT_T0_E_clISt17integral_constantIbLb1EESU_EEDaSP_SQ_EUlSP_E0_NS1_11comp_targetILNS1_3genE10ELNS1_11target_archE1201ELNS1_3gpuE5ELNS1_3repE0EEENS1_30default_config_static_selectorELNS0_4arch9wavefront6targetE1EEEvT1_,"axG",@progbits,_ZN7rocprim17ROCPRIM_400000_NS6detail17trampoline_kernelINS0_14default_configENS1_20scan_config_selectorIdEEZZNS1_9scan_implILNS1_25lookback_scan_determinismE0ELb0ELb0ES3_N6thrust23THRUST_200600_302600_NS6detail15normal_iteratorINS9_10device_ptrIdEEEESE_d11max_functorIdEdEEDaPvRmT3_T4_T5_mT6_P12ihipStream_tbENKUlT_T0_E_clISt17integral_constantIbLb1EESU_EEDaSP_SQ_EUlSP_E0_NS1_11comp_targetILNS1_3genE10ELNS1_11target_archE1201ELNS1_3gpuE5ELNS1_3repE0EEENS1_30default_config_static_selectorELNS0_4arch9wavefront6targetE1EEEvT1_,comdat
	.protected	_ZN7rocprim17ROCPRIM_400000_NS6detail17trampoline_kernelINS0_14default_configENS1_20scan_config_selectorIdEEZZNS1_9scan_implILNS1_25lookback_scan_determinismE0ELb0ELb0ES3_N6thrust23THRUST_200600_302600_NS6detail15normal_iteratorINS9_10device_ptrIdEEEESE_d11max_functorIdEdEEDaPvRmT3_T4_T5_mT6_P12ihipStream_tbENKUlT_T0_E_clISt17integral_constantIbLb1EESU_EEDaSP_SQ_EUlSP_E0_NS1_11comp_targetILNS1_3genE10ELNS1_11target_archE1201ELNS1_3gpuE5ELNS1_3repE0EEENS1_30default_config_static_selectorELNS0_4arch9wavefront6targetE1EEEvT1_ ; -- Begin function _ZN7rocprim17ROCPRIM_400000_NS6detail17trampoline_kernelINS0_14default_configENS1_20scan_config_selectorIdEEZZNS1_9scan_implILNS1_25lookback_scan_determinismE0ELb0ELb0ES3_N6thrust23THRUST_200600_302600_NS6detail15normal_iteratorINS9_10device_ptrIdEEEESE_d11max_functorIdEdEEDaPvRmT3_T4_T5_mT6_P12ihipStream_tbENKUlT_T0_E_clISt17integral_constantIbLb1EESU_EEDaSP_SQ_EUlSP_E0_NS1_11comp_targetILNS1_3genE10ELNS1_11target_archE1201ELNS1_3gpuE5ELNS1_3repE0EEENS1_30default_config_static_selectorELNS0_4arch9wavefront6targetE1EEEvT1_
	.globl	_ZN7rocprim17ROCPRIM_400000_NS6detail17trampoline_kernelINS0_14default_configENS1_20scan_config_selectorIdEEZZNS1_9scan_implILNS1_25lookback_scan_determinismE0ELb0ELb0ES3_N6thrust23THRUST_200600_302600_NS6detail15normal_iteratorINS9_10device_ptrIdEEEESE_d11max_functorIdEdEEDaPvRmT3_T4_T5_mT6_P12ihipStream_tbENKUlT_T0_E_clISt17integral_constantIbLb1EESU_EEDaSP_SQ_EUlSP_E0_NS1_11comp_targetILNS1_3genE10ELNS1_11target_archE1201ELNS1_3gpuE5ELNS1_3repE0EEENS1_30default_config_static_selectorELNS0_4arch9wavefront6targetE1EEEvT1_
	.p2align	8
	.type	_ZN7rocprim17ROCPRIM_400000_NS6detail17trampoline_kernelINS0_14default_configENS1_20scan_config_selectorIdEEZZNS1_9scan_implILNS1_25lookback_scan_determinismE0ELb0ELb0ES3_N6thrust23THRUST_200600_302600_NS6detail15normal_iteratorINS9_10device_ptrIdEEEESE_d11max_functorIdEdEEDaPvRmT3_T4_T5_mT6_P12ihipStream_tbENKUlT_T0_E_clISt17integral_constantIbLb1EESU_EEDaSP_SQ_EUlSP_E0_NS1_11comp_targetILNS1_3genE10ELNS1_11target_archE1201ELNS1_3gpuE5ELNS1_3repE0EEENS1_30default_config_static_selectorELNS0_4arch9wavefront6targetE1EEEvT1_,@function
_ZN7rocprim17ROCPRIM_400000_NS6detail17trampoline_kernelINS0_14default_configENS1_20scan_config_selectorIdEEZZNS1_9scan_implILNS1_25lookback_scan_determinismE0ELb0ELb0ES3_N6thrust23THRUST_200600_302600_NS6detail15normal_iteratorINS9_10device_ptrIdEEEESE_d11max_functorIdEdEEDaPvRmT3_T4_T5_mT6_P12ihipStream_tbENKUlT_T0_E_clISt17integral_constantIbLb1EESU_EEDaSP_SQ_EUlSP_E0_NS1_11comp_targetILNS1_3genE10ELNS1_11target_archE1201ELNS1_3gpuE5ELNS1_3repE0EEENS1_30default_config_static_selectorELNS0_4arch9wavefront6targetE1EEEvT1_: ; @_ZN7rocprim17ROCPRIM_400000_NS6detail17trampoline_kernelINS0_14default_configENS1_20scan_config_selectorIdEEZZNS1_9scan_implILNS1_25lookback_scan_determinismE0ELb0ELb0ES3_N6thrust23THRUST_200600_302600_NS6detail15normal_iteratorINS9_10device_ptrIdEEEESE_d11max_functorIdEdEEDaPvRmT3_T4_T5_mT6_P12ihipStream_tbENKUlT_T0_E_clISt17integral_constantIbLb1EESU_EEDaSP_SQ_EUlSP_E0_NS1_11comp_targetILNS1_3genE10ELNS1_11target_archE1201ELNS1_3gpuE5ELNS1_3repE0EEENS1_30default_config_static_selectorELNS0_4arch9wavefront6targetE1EEEvT1_
; %bb.0:
	.section	.rodata,"a",@progbits
	.p2align	6, 0x0
	.amdhsa_kernel _ZN7rocprim17ROCPRIM_400000_NS6detail17trampoline_kernelINS0_14default_configENS1_20scan_config_selectorIdEEZZNS1_9scan_implILNS1_25lookback_scan_determinismE0ELb0ELb0ES3_N6thrust23THRUST_200600_302600_NS6detail15normal_iteratorINS9_10device_ptrIdEEEESE_d11max_functorIdEdEEDaPvRmT3_T4_T5_mT6_P12ihipStream_tbENKUlT_T0_E_clISt17integral_constantIbLb1EESU_EEDaSP_SQ_EUlSP_E0_NS1_11comp_targetILNS1_3genE10ELNS1_11target_archE1201ELNS1_3gpuE5ELNS1_3repE0EEENS1_30default_config_static_selectorELNS0_4arch9wavefront6targetE1EEEvT1_
		.amdhsa_group_segment_fixed_size 0
		.amdhsa_private_segment_fixed_size 0
		.amdhsa_kernarg_size 40
		.amdhsa_user_sgpr_count 6
		.amdhsa_user_sgpr_private_segment_buffer 1
		.amdhsa_user_sgpr_dispatch_ptr 0
		.amdhsa_user_sgpr_queue_ptr 0
		.amdhsa_user_sgpr_kernarg_segment_ptr 1
		.amdhsa_user_sgpr_dispatch_id 0
		.amdhsa_user_sgpr_flat_scratch_init 0
		.amdhsa_user_sgpr_kernarg_preload_length 0
		.amdhsa_user_sgpr_kernarg_preload_offset 0
		.amdhsa_user_sgpr_private_segment_size 0
		.amdhsa_uses_dynamic_stack 0
		.amdhsa_system_sgpr_private_segment_wavefront_offset 0
		.amdhsa_system_sgpr_workgroup_id_x 1
		.amdhsa_system_sgpr_workgroup_id_y 0
		.amdhsa_system_sgpr_workgroup_id_z 0
		.amdhsa_system_sgpr_workgroup_info 0
		.amdhsa_system_vgpr_workitem_id 0
		.amdhsa_next_free_vgpr 1
		.amdhsa_next_free_sgpr 0
		.amdhsa_accum_offset 4
		.amdhsa_reserve_vcc 0
		.amdhsa_reserve_flat_scratch 0
		.amdhsa_float_round_mode_32 0
		.amdhsa_float_round_mode_16_64 0
		.amdhsa_float_denorm_mode_32 3
		.amdhsa_float_denorm_mode_16_64 3
		.amdhsa_dx10_clamp 1
		.amdhsa_ieee_mode 1
		.amdhsa_fp16_overflow 0
		.amdhsa_tg_split 0
		.amdhsa_exception_fp_ieee_invalid_op 0
		.amdhsa_exception_fp_denorm_src 0
		.amdhsa_exception_fp_ieee_div_zero 0
		.amdhsa_exception_fp_ieee_overflow 0
		.amdhsa_exception_fp_ieee_underflow 0
		.amdhsa_exception_fp_ieee_inexact 0
		.amdhsa_exception_int_div_zero 0
	.end_amdhsa_kernel
	.section	.text._ZN7rocprim17ROCPRIM_400000_NS6detail17trampoline_kernelINS0_14default_configENS1_20scan_config_selectorIdEEZZNS1_9scan_implILNS1_25lookback_scan_determinismE0ELb0ELb0ES3_N6thrust23THRUST_200600_302600_NS6detail15normal_iteratorINS9_10device_ptrIdEEEESE_d11max_functorIdEdEEDaPvRmT3_T4_T5_mT6_P12ihipStream_tbENKUlT_T0_E_clISt17integral_constantIbLb1EESU_EEDaSP_SQ_EUlSP_E0_NS1_11comp_targetILNS1_3genE10ELNS1_11target_archE1201ELNS1_3gpuE5ELNS1_3repE0EEENS1_30default_config_static_selectorELNS0_4arch9wavefront6targetE1EEEvT1_,"axG",@progbits,_ZN7rocprim17ROCPRIM_400000_NS6detail17trampoline_kernelINS0_14default_configENS1_20scan_config_selectorIdEEZZNS1_9scan_implILNS1_25lookback_scan_determinismE0ELb0ELb0ES3_N6thrust23THRUST_200600_302600_NS6detail15normal_iteratorINS9_10device_ptrIdEEEESE_d11max_functorIdEdEEDaPvRmT3_T4_T5_mT6_P12ihipStream_tbENKUlT_T0_E_clISt17integral_constantIbLb1EESU_EEDaSP_SQ_EUlSP_E0_NS1_11comp_targetILNS1_3genE10ELNS1_11target_archE1201ELNS1_3gpuE5ELNS1_3repE0EEENS1_30default_config_static_selectorELNS0_4arch9wavefront6targetE1EEEvT1_,comdat
.Lfunc_end1829:
	.size	_ZN7rocprim17ROCPRIM_400000_NS6detail17trampoline_kernelINS0_14default_configENS1_20scan_config_selectorIdEEZZNS1_9scan_implILNS1_25lookback_scan_determinismE0ELb0ELb0ES3_N6thrust23THRUST_200600_302600_NS6detail15normal_iteratorINS9_10device_ptrIdEEEESE_d11max_functorIdEdEEDaPvRmT3_T4_T5_mT6_P12ihipStream_tbENKUlT_T0_E_clISt17integral_constantIbLb1EESU_EEDaSP_SQ_EUlSP_E0_NS1_11comp_targetILNS1_3genE10ELNS1_11target_archE1201ELNS1_3gpuE5ELNS1_3repE0EEENS1_30default_config_static_selectorELNS0_4arch9wavefront6targetE1EEEvT1_, .Lfunc_end1829-_ZN7rocprim17ROCPRIM_400000_NS6detail17trampoline_kernelINS0_14default_configENS1_20scan_config_selectorIdEEZZNS1_9scan_implILNS1_25lookback_scan_determinismE0ELb0ELb0ES3_N6thrust23THRUST_200600_302600_NS6detail15normal_iteratorINS9_10device_ptrIdEEEESE_d11max_functorIdEdEEDaPvRmT3_T4_T5_mT6_P12ihipStream_tbENKUlT_T0_E_clISt17integral_constantIbLb1EESU_EEDaSP_SQ_EUlSP_E0_NS1_11comp_targetILNS1_3genE10ELNS1_11target_archE1201ELNS1_3gpuE5ELNS1_3repE0EEENS1_30default_config_static_selectorELNS0_4arch9wavefront6targetE1EEEvT1_
                                        ; -- End function
	.section	.AMDGPU.csdata,"",@progbits
; Kernel info:
; codeLenInByte = 0
; NumSgprs: 4
; NumVgprs: 0
; NumAgprs: 0
; TotalNumVgprs: 0
; ScratchSize: 0
; MemoryBound: 0
; FloatMode: 240
; IeeeMode: 1
; LDSByteSize: 0 bytes/workgroup (compile time only)
; SGPRBlocks: 0
; VGPRBlocks: 0
; NumSGPRsForWavesPerEU: 4
; NumVGPRsForWavesPerEU: 1
; AccumOffset: 4
; Occupancy: 8
; WaveLimiterHint : 0
; COMPUTE_PGM_RSRC2:SCRATCH_EN: 0
; COMPUTE_PGM_RSRC2:USER_SGPR: 6
; COMPUTE_PGM_RSRC2:TRAP_HANDLER: 0
; COMPUTE_PGM_RSRC2:TGID_X_EN: 1
; COMPUTE_PGM_RSRC2:TGID_Y_EN: 0
; COMPUTE_PGM_RSRC2:TGID_Z_EN: 0
; COMPUTE_PGM_RSRC2:TIDIG_COMP_CNT: 0
; COMPUTE_PGM_RSRC3_GFX90A:ACCUM_OFFSET: 0
; COMPUTE_PGM_RSRC3_GFX90A:TG_SPLIT: 0
	.section	.text._ZN7rocprim17ROCPRIM_400000_NS6detail17trampoline_kernelINS0_14default_configENS1_20scan_config_selectorIdEEZZNS1_9scan_implILNS1_25lookback_scan_determinismE0ELb0ELb0ES3_N6thrust23THRUST_200600_302600_NS6detail15normal_iteratorINS9_10device_ptrIdEEEESE_d11max_functorIdEdEEDaPvRmT3_T4_T5_mT6_P12ihipStream_tbENKUlT_T0_E_clISt17integral_constantIbLb1EESU_EEDaSP_SQ_EUlSP_E0_NS1_11comp_targetILNS1_3genE10ELNS1_11target_archE1200ELNS1_3gpuE4ELNS1_3repE0EEENS1_30default_config_static_selectorELNS0_4arch9wavefront6targetE1EEEvT1_,"axG",@progbits,_ZN7rocprim17ROCPRIM_400000_NS6detail17trampoline_kernelINS0_14default_configENS1_20scan_config_selectorIdEEZZNS1_9scan_implILNS1_25lookback_scan_determinismE0ELb0ELb0ES3_N6thrust23THRUST_200600_302600_NS6detail15normal_iteratorINS9_10device_ptrIdEEEESE_d11max_functorIdEdEEDaPvRmT3_T4_T5_mT6_P12ihipStream_tbENKUlT_T0_E_clISt17integral_constantIbLb1EESU_EEDaSP_SQ_EUlSP_E0_NS1_11comp_targetILNS1_3genE10ELNS1_11target_archE1200ELNS1_3gpuE4ELNS1_3repE0EEENS1_30default_config_static_selectorELNS0_4arch9wavefront6targetE1EEEvT1_,comdat
	.protected	_ZN7rocprim17ROCPRIM_400000_NS6detail17trampoline_kernelINS0_14default_configENS1_20scan_config_selectorIdEEZZNS1_9scan_implILNS1_25lookback_scan_determinismE0ELb0ELb0ES3_N6thrust23THRUST_200600_302600_NS6detail15normal_iteratorINS9_10device_ptrIdEEEESE_d11max_functorIdEdEEDaPvRmT3_T4_T5_mT6_P12ihipStream_tbENKUlT_T0_E_clISt17integral_constantIbLb1EESU_EEDaSP_SQ_EUlSP_E0_NS1_11comp_targetILNS1_3genE10ELNS1_11target_archE1200ELNS1_3gpuE4ELNS1_3repE0EEENS1_30default_config_static_selectorELNS0_4arch9wavefront6targetE1EEEvT1_ ; -- Begin function _ZN7rocprim17ROCPRIM_400000_NS6detail17trampoline_kernelINS0_14default_configENS1_20scan_config_selectorIdEEZZNS1_9scan_implILNS1_25lookback_scan_determinismE0ELb0ELb0ES3_N6thrust23THRUST_200600_302600_NS6detail15normal_iteratorINS9_10device_ptrIdEEEESE_d11max_functorIdEdEEDaPvRmT3_T4_T5_mT6_P12ihipStream_tbENKUlT_T0_E_clISt17integral_constantIbLb1EESU_EEDaSP_SQ_EUlSP_E0_NS1_11comp_targetILNS1_3genE10ELNS1_11target_archE1200ELNS1_3gpuE4ELNS1_3repE0EEENS1_30default_config_static_selectorELNS0_4arch9wavefront6targetE1EEEvT1_
	.globl	_ZN7rocprim17ROCPRIM_400000_NS6detail17trampoline_kernelINS0_14default_configENS1_20scan_config_selectorIdEEZZNS1_9scan_implILNS1_25lookback_scan_determinismE0ELb0ELb0ES3_N6thrust23THRUST_200600_302600_NS6detail15normal_iteratorINS9_10device_ptrIdEEEESE_d11max_functorIdEdEEDaPvRmT3_T4_T5_mT6_P12ihipStream_tbENKUlT_T0_E_clISt17integral_constantIbLb1EESU_EEDaSP_SQ_EUlSP_E0_NS1_11comp_targetILNS1_3genE10ELNS1_11target_archE1200ELNS1_3gpuE4ELNS1_3repE0EEENS1_30default_config_static_selectorELNS0_4arch9wavefront6targetE1EEEvT1_
	.p2align	8
	.type	_ZN7rocprim17ROCPRIM_400000_NS6detail17trampoline_kernelINS0_14default_configENS1_20scan_config_selectorIdEEZZNS1_9scan_implILNS1_25lookback_scan_determinismE0ELb0ELb0ES3_N6thrust23THRUST_200600_302600_NS6detail15normal_iteratorINS9_10device_ptrIdEEEESE_d11max_functorIdEdEEDaPvRmT3_T4_T5_mT6_P12ihipStream_tbENKUlT_T0_E_clISt17integral_constantIbLb1EESU_EEDaSP_SQ_EUlSP_E0_NS1_11comp_targetILNS1_3genE10ELNS1_11target_archE1200ELNS1_3gpuE4ELNS1_3repE0EEENS1_30default_config_static_selectorELNS0_4arch9wavefront6targetE1EEEvT1_,@function
_ZN7rocprim17ROCPRIM_400000_NS6detail17trampoline_kernelINS0_14default_configENS1_20scan_config_selectorIdEEZZNS1_9scan_implILNS1_25lookback_scan_determinismE0ELb0ELb0ES3_N6thrust23THRUST_200600_302600_NS6detail15normal_iteratorINS9_10device_ptrIdEEEESE_d11max_functorIdEdEEDaPvRmT3_T4_T5_mT6_P12ihipStream_tbENKUlT_T0_E_clISt17integral_constantIbLb1EESU_EEDaSP_SQ_EUlSP_E0_NS1_11comp_targetILNS1_3genE10ELNS1_11target_archE1200ELNS1_3gpuE4ELNS1_3repE0EEENS1_30default_config_static_selectorELNS0_4arch9wavefront6targetE1EEEvT1_: ; @_ZN7rocprim17ROCPRIM_400000_NS6detail17trampoline_kernelINS0_14default_configENS1_20scan_config_selectorIdEEZZNS1_9scan_implILNS1_25lookback_scan_determinismE0ELb0ELb0ES3_N6thrust23THRUST_200600_302600_NS6detail15normal_iteratorINS9_10device_ptrIdEEEESE_d11max_functorIdEdEEDaPvRmT3_T4_T5_mT6_P12ihipStream_tbENKUlT_T0_E_clISt17integral_constantIbLb1EESU_EEDaSP_SQ_EUlSP_E0_NS1_11comp_targetILNS1_3genE10ELNS1_11target_archE1200ELNS1_3gpuE4ELNS1_3repE0EEENS1_30default_config_static_selectorELNS0_4arch9wavefront6targetE1EEEvT1_
; %bb.0:
	.section	.rodata,"a",@progbits
	.p2align	6, 0x0
	.amdhsa_kernel _ZN7rocprim17ROCPRIM_400000_NS6detail17trampoline_kernelINS0_14default_configENS1_20scan_config_selectorIdEEZZNS1_9scan_implILNS1_25lookback_scan_determinismE0ELb0ELb0ES3_N6thrust23THRUST_200600_302600_NS6detail15normal_iteratorINS9_10device_ptrIdEEEESE_d11max_functorIdEdEEDaPvRmT3_T4_T5_mT6_P12ihipStream_tbENKUlT_T0_E_clISt17integral_constantIbLb1EESU_EEDaSP_SQ_EUlSP_E0_NS1_11comp_targetILNS1_3genE10ELNS1_11target_archE1200ELNS1_3gpuE4ELNS1_3repE0EEENS1_30default_config_static_selectorELNS0_4arch9wavefront6targetE1EEEvT1_
		.amdhsa_group_segment_fixed_size 0
		.amdhsa_private_segment_fixed_size 0
		.amdhsa_kernarg_size 40
		.amdhsa_user_sgpr_count 6
		.amdhsa_user_sgpr_private_segment_buffer 1
		.amdhsa_user_sgpr_dispatch_ptr 0
		.amdhsa_user_sgpr_queue_ptr 0
		.amdhsa_user_sgpr_kernarg_segment_ptr 1
		.amdhsa_user_sgpr_dispatch_id 0
		.amdhsa_user_sgpr_flat_scratch_init 0
		.amdhsa_user_sgpr_kernarg_preload_length 0
		.amdhsa_user_sgpr_kernarg_preload_offset 0
		.amdhsa_user_sgpr_private_segment_size 0
		.amdhsa_uses_dynamic_stack 0
		.amdhsa_system_sgpr_private_segment_wavefront_offset 0
		.amdhsa_system_sgpr_workgroup_id_x 1
		.amdhsa_system_sgpr_workgroup_id_y 0
		.amdhsa_system_sgpr_workgroup_id_z 0
		.amdhsa_system_sgpr_workgroup_info 0
		.amdhsa_system_vgpr_workitem_id 0
		.amdhsa_next_free_vgpr 1
		.amdhsa_next_free_sgpr 0
		.amdhsa_accum_offset 4
		.amdhsa_reserve_vcc 0
		.amdhsa_reserve_flat_scratch 0
		.amdhsa_float_round_mode_32 0
		.amdhsa_float_round_mode_16_64 0
		.amdhsa_float_denorm_mode_32 3
		.amdhsa_float_denorm_mode_16_64 3
		.amdhsa_dx10_clamp 1
		.amdhsa_ieee_mode 1
		.amdhsa_fp16_overflow 0
		.amdhsa_tg_split 0
		.amdhsa_exception_fp_ieee_invalid_op 0
		.amdhsa_exception_fp_denorm_src 0
		.amdhsa_exception_fp_ieee_div_zero 0
		.amdhsa_exception_fp_ieee_overflow 0
		.amdhsa_exception_fp_ieee_underflow 0
		.amdhsa_exception_fp_ieee_inexact 0
		.amdhsa_exception_int_div_zero 0
	.end_amdhsa_kernel
	.section	.text._ZN7rocprim17ROCPRIM_400000_NS6detail17trampoline_kernelINS0_14default_configENS1_20scan_config_selectorIdEEZZNS1_9scan_implILNS1_25lookback_scan_determinismE0ELb0ELb0ES3_N6thrust23THRUST_200600_302600_NS6detail15normal_iteratorINS9_10device_ptrIdEEEESE_d11max_functorIdEdEEDaPvRmT3_T4_T5_mT6_P12ihipStream_tbENKUlT_T0_E_clISt17integral_constantIbLb1EESU_EEDaSP_SQ_EUlSP_E0_NS1_11comp_targetILNS1_3genE10ELNS1_11target_archE1200ELNS1_3gpuE4ELNS1_3repE0EEENS1_30default_config_static_selectorELNS0_4arch9wavefront6targetE1EEEvT1_,"axG",@progbits,_ZN7rocprim17ROCPRIM_400000_NS6detail17trampoline_kernelINS0_14default_configENS1_20scan_config_selectorIdEEZZNS1_9scan_implILNS1_25lookback_scan_determinismE0ELb0ELb0ES3_N6thrust23THRUST_200600_302600_NS6detail15normal_iteratorINS9_10device_ptrIdEEEESE_d11max_functorIdEdEEDaPvRmT3_T4_T5_mT6_P12ihipStream_tbENKUlT_T0_E_clISt17integral_constantIbLb1EESU_EEDaSP_SQ_EUlSP_E0_NS1_11comp_targetILNS1_3genE10ELNS1_11target_archE1200ELNS1_3gpuE4ELNS1_3repE0EEENS1_30default_config_static_selectorELNS0_4arch9wavefront6targetE1EEEvT1_,comdat
.Lfunc_end1830:
	.size	_ZN7rocprim17ROCPRIM_400000_NS6detail17trampoline_kernelINS0_14default_configENS1_20scan_config_selectorIdEEZZNS1_9scan_implILNS1_25lookback_scan_determinismE0ELb0ELb0ES3_N6thrust23THRUST_200600_302600_NS6detail15normal_iteratorINS9_10device_ptrIdEEEESE_d11max_functorIdEdEEDaPvRmT3_T4_T5_mT6_P12ihipStream_tbENKUlT_T0_E_clISt17integral_constantIbLb1EESU_EEDaSP_SQ_EUlSP_E0_NS1_11comp_targetILNS1_3genE10ELNS1_11target_archE1200ELNS1_3gpuE4ELNS1_3repE0EEENS1_30default_config_static_selectorELNS0_4arch9wavefront6targetE1EEEvT1_, .Lfunc_end1830-_ZN7rocprim17ROCPRIM_400000_NS6detail17trampoline_kernelINS0_14default_configENS1_20scan_config_selectorIdEEZZNS1_9scan_implILNS1_25lookback_scan_determinismE0ELb0ELb0ES3_N6thrust23THRUST_200600_302600_NS6detail15normal_iteratorINS9_10device_ptrIdEEEESE_d11max_functorIdEdEEDaPvRmT3_T4_T5_mT6_P12ihipStream_tbENKUlT_T0_E_clISt17integral_constantIbLb1EESU_EEDaSP_SQ_EUlSP_E0_NS1_11comp_targetILNS1_3genE10ELNS1_11target_archE1200ELNS1_3gpuE4ELNS1_3repE0EEENS1_30default_config_static_selectorELNS0_4arch9wavefront6targetE1EEEvT1_
                                        ; -- End function
	.section	.AMDGPU.csdata,"",@progbits
; Kernel info:
; codeLenInByte = 0
; NumSgprs: 4
; NumVgprs: 0
; NumAgprs: 0
; TotalNumVgprs: 0
; ScratchSize: 0
; MemoryBound: 0
; FloatMode: 240
; IeeeMode: 1
; LDSByteSize: 0 bytes/workgroup (compile time only)
; SGPRBlocks: 0
; VGPRBlocks: 0
; NumSGPRsForWavesPerEU: 4
; NumVGPRsForWavesPerEU: 1
; AccumOffset: 4
; Occupancy: 8
; WaveLimiterHint : 0
; COMPUTE_PGM_RSRC2:SCRATCH_EN: 0
; COMPUTE_PGM_RSRC2:USER_SGPR: 6
; COMPUTE_PGM_RSRC2:TRAP_HANDLER: 0
; COMPUTE_PGM_RSRC2:TGID_X_EN: 1
; COMPUTE_PGM_RSRC2:TGID_Y_EN: 0
; COMPUTE_PGM_RSRC2:TGID_Z_EN: 0
; COMPUTE_PGM_RSRC2:TIDIG_COMP_CNT: 0
; COMPUTE_PGM_RSRC3_GFX90A:ACCUM_OFFSET: 0
; COMPUTE_PGM_RSRC3_GFX90A:TG_SPLIT: 0
	.section	.text._ZN7rocprim17ROCPRIM_400000_NS6detail17trampoline_kernelINS0_14default_configENS1_20scan_config_selectorIdEEZZNS1_9scan_implILNS1_25lookback_scan_determinismE0ELb0ELb0ES3_N6thrust23THRUST_200600_302600_NS6detail15normal_iteratorINS9_10device_ptrIdEEEESE_d11max_functorIdEdEEDaPvRmT3_T4_T5_mT6_P12ihipStream_tbENKUlT_T0_E_clISt17integral_constantIbLb1EESU_EEDaSP_SQ_EUlSP_E0_NS1_11comp_targetILNS1_3genE9ELNS1_11target_archE1100ELNS1_3gpuE3ELNS1_3repE0EEENS1_30default_config_static_selectorELNS0_4arch9wavefront6targetE1EEEvT1_,"axG",@progbits,_ZN7rocprim17ROCPRIM_400000_NS6detail17trampoline_kernelINS0_14default_configENS1_20scan_config_selectorIdEEZZNS1_9scan_implILNS1_25lookback_scan_determinismE0ELb0ELb0ES3_N6thrust23THRUST_200600_302600_NS6detail15normal_iteratorINS9_10device_ptrIdEEEESE_d11max_functorIdEdEEDaPvRmT3_T4_T5_mT6_P12ihipStream_tbENKUlT_T0_E_clISt17integral_constantIbLb1EESU_EEDaSP_SQ_EUlSP_E0_NS1_11comp_targetILNS1_3genE9ELNS1_11target_archE1100ELNS1_3gpuE3ELNS1_3repE0EEENS1_30default_config_static_selectorELNS0_4arch9wavefront6targetE1EEEvT1_,comdat
	.protected	_ZN7rocprim17ROCPRIM_400000_NS6detail17trampoline_kernelINS0_14default_configENS1_20scan_config_selectorIdEEZZNS1_9scan_implILNS1_25lookback_scan_determinismE0ELb0ELb0ES3_N6thrust23THRUST_200600_302600_NS6detail15normal_iteratorINS9_10device_ptrIdEEEESE_d11max_functorIdEdEEDaPvRmT3_T4_T5_mT6_P12ihipStream_tbENKUlT_T0_E_clISt17integral_constantIbLb1EESU_EEDaSP_SQ_EUlSP_E0_NS1_11comp_targetILNS1_3genE9ELNS1_11target_archE1100ELNS1_3gpuE3ELNS1_3repE0EEENS1_30default_config_static_selectorELNS0_4arch9wavefront6targetE1EEEvT1_ ; -- Begin function _ZN7rocprim17ROCPRIM_400000_NS6detail17trampoline_kernelINS0_14default_configENS1_20scan_config_selectorIdEEZZNS1_9scan_implILNS1_25lookback_scan_determinismE0ELb0ELb0ES3_N6thrust23THRUST_200600_302600_NS6detail15normal_iteratorINS9_10device_ptrIdEEEESE_d11max_functorIdEdEEDaPvRmT3_T4_T5_mT6_P12ihipStream_tbENKUlT_T0_E_clISt17integral_constantIbLb1EESU_EEDaSP_SQ_EUlSP_E0_NS1_11comp_targetILNS1_3genE9ELNS1_11target_archE1100ELNS1_3gpuE3ELNS1_3repE0EEENS1_30default_config_static_selectorELNS0_4arch9wavefront6targetE1EEEvT1_
	.globl	_ZN7rocprim17ROCPRIM_400000_NS6detail17trampoline_kernelINS0_14default_configENS1_20scan_config_selectorIdEEZZNS1_9scan_implILNS1_25lookback_scan_determinismE0ELb0ELb0ES3_N6thrust23THRUST_200600_302600_NS6detail15normal_iteratorINS9_10device_ptrIdEEEESE_d11max_functorIdEdEEDaPvRmT3_T4_T5_mT6_P12ihipStream_tbENKUlT_T0_E_clISt17integral_constantIbLb1EESU_EEDaSP_SQ_EUlSP_E0_NS1_11comp_targetILNS1_3genE9ELNS1_11target_archE1100ELNS1_3gpuE3ELNS1_3repE0EEENS1_30default_config_static_selectorELNS0_4arch9wavefront6targetE1EEEvT1_
	.p2align	8
	.type	_ZN7rocprim17ROCPRIM_400000_NS6detail17trampoline_kernelINS0_14default_configENS1_20scan_config_selectorIdEEZZNS1_9scan_implILNS1_25lookback_scan_determinismE0ELb0ELb0ES3_N6thrust23THRUST_200600_302600_NS6detail15normal_iteratorINS9_10device_ptrIdEEEESE_d11max_functorIdEdEEDaPvRmT3_T4_T5_mT6_P12ihipStream_tbENKUlT_T0_E_clISt17integral_constantIbLb1EESU_EEDaSP_SQ_EUlSP_E0_NS1_11comp_targetILNS1_3genE9ELNS1_11target_archE1100ELNS1_3gpuE3ELNS1_3repE0EEENS1_30default_config_static_selectorELNS0_4arch9wavefront6targetE1EEEvT1_,@function
_ZN7rocprim17ROCPRIM_400000_NS6detail17trampoline_kernelINS0_14default_configENS1_20scan_config_selectorIdEEZZNS1_9scan_implILNS1_25lookback_scan_determinismE0ELb0ELb0ES3_N6thrust23THRUST_200600_302600_NS6detail15normal_iteratorINS9_10device_ptrIdEEEESE_d11max_functorIdEdEEDaPvRmT3_T4_T5_mT6_P12ihipStream_tbENKUlT_T0_E_clISt17integral_constantIbLb1EESU_EEDaSP_SQ_EUlSP_E0_NS1_11comp_targetILNS1_3genE9ELNS1_11target_archE1100ELNS1_3gpuE3ELNS1_3repE0EEENS1_30default_config_static_selectorELNS0_4arch9wavefront6targetE1EEEvT1_: ; @_ZN7rocprim17ROCPRIM_400000_NS6detail17trampoline_kernelINS0_14default_configENS1_20scan_config_selectorIdEEZZNS1_9scan_implILNS1_25lookback_scan_determinismE0ELb0ELb0ES3_N6thrust23THRUST_200600_302600_NS6detail15normal_iteratorINS9_10device_ptrIdEEEESE_d11max_functorIdEdEEDaPvRmT3_T4_T5_mT6_P12ihipStream_tbENKUlT_T0_E_clISt17integral_constantIbLb1EESU_EEDaSP_SQ_EUlSP_E0_NS1_11comp_targetILNS1_3genE9ELNS1_11target_archE1100ELNS1_3gpuE3ELNS1_3repE0EEENS1_30default_config_static_selectorELNS0_4arch9wavefront6targetE1EEEvT1_
; %bb.0:
	.section	.rodata,"a",@progbits
	.p2align	6, 0x0
	.amdhsa_kernel _ZN7rocprim17ROCPRIM_400000_NS6detail17trampoline_kernelINS0_14default_configENS1_20scan_config_selectorIdEEZZNS1_9scan_implILNS1_25lookback_scan_determinismE0ELb0ELb0ES3_N6thrust23THRUST_200600_302600_NS6detail15normal_iteratorINS9_10device_ptrIdEEEESE_d11max_functorIdEdEEDaPvRmT3_T4_T5_mT6_P12ihipStream_tbENKUlT_T0_E_clISt17integral_constantIbLb1EESU_EEDaSP_SQ_EUlSP_E0_NS1_11comp_targetILNS1_3genE9ELNS1_11target_archE1100ELNS1_3gpuE3ELNS1_3repE0EEENS1_30default_config_static_selectorELNS0_4arch9wavefront6targetE1EEEvT1_
		.amdhsa_group_segment_fixed_size 0
		.amdhsa_private_segment_fixed_size 0
		.amdhsa_kernarg_size 40
		.amdhsa_user_sgpr_count 6
		.amdhsa_user_sgpr_private_segment_buffer 1
		.amdhsa_user_sgpr_dispatch_ptr 0
		.amdhsa_user_sgpr_queue_ptr 0
		.amdhsa_user_sgpr_kernarg_segment_ptr 1
		.amdhsa_user_sgpr_dispatch_id 0
		.amdhsa_user_sgpr_flat_scratch_init 0
		.amdhsa_user_sgpr_kernarg_preload_length 0
		.amdhsa_user_sgpr_kernarg_preload_offset 0
		.amdhsa_user_sgpr_private_segment_size 0
		.amdhsa_uses_dynamic_stack 0
		.amdhsa_system_sgpr_private_segment_wavefront_offset 0
		.amdhsa_system_sgpr_workgroup_id_x 1
		.amdhsa_system_sgpr_workgroup_id_y 0
		.amdhsa_system_sgpr_workgroup_id_z 0
		.amdhsa_system_sgpr_workgroup_info 0
		.amdhsa_system_vgpr_workitem_id 0
		.amdhsa_next_free_vgpr 1
		.amdhsa_next_free_sgpr 0
		.amdhsa_accum_offset 4
		.amdhsa_reserve_vcc 0
		.amdhsa_reserve_flat_scratch 0
		.amdhsa_float_round_mode_32 0
		.amdhsa_float_round_mode_16_64 0
		.amdhsa_float_denorm_mode_32 3
		.amdhsa_float_denorm_mode_16_64 3
		.amdhsa_dx10_clamp 1
		.amdhsa_ieee_mode 1
		.amdhsa_fp16_overflow 0
		.amdhsa_tg_split 0
		.amdhsa_exception_fp_ieee_invalid_op 0
		.amdhsa_exception_fp_denorm_src 0
		.amdhsa_exception_fp_ieee_div_zero 0
		.amdhsa_exception_fp_ieee_overflow 0
		.amdhsa_exception_fp_ieee_underflow 0
		.amdhsa_exception_fp_ieee_inexact 0
		.amdhsa_exception_int_div_zero 0
	.end_amdhsa_kernel
	.section	.text._ZN7rocprim17ROCPRIM_400000_NS6detail17trampoline_kernelINS0_14default_configENS1_20scan_config_selectorIdEEZZNS1_9scan_implILNS1_25lookback_scan_determinismE0ELb0ELb0ES3_N6thrust23THRUST_200600_302600_NS6detail15normal_iteratorINS9_10device_ptrIdEEEESE_d11max_functorIdEdEEDaPvRmT3_T4_T5_mT6_P12ihipStream_tbENKUlT_T0_E_clISt17integral_constantIbLb1EESU_EEDaSP_SQ_EUlSP_E0_NS1_11comp_targetILNS1_3genE9ELNS1_11target_archE1100ELNS1_3gpuE3ELNS1_3repE0EEENS1_30default_config_static_selectorELNS0_4arch9wavefront6targetE1EEEvT1_,"axG",@progbits,_ZN7rocprim17ROCPRIM_400000_NS6detail17trampoline_kernelINS0_14default_configENS1_20scan_config_selectorIdEEZZNS1_9scan_implILNS1_25lookback_scan_determinismE0ELb0ELb0ES3_N6thrust23THRUST_200600_302600_NS6detail15normal_iteratorINS9_10device_ptrIdEEEESE_d11max_functorIdEdEEDaPvRmT3_T4_T5_mT6_P12ihipStream_tbENKUlT_T0_E_clISt17integral_constantIbLb1EESU_EEDaSP_SQ_EUlSP_E0_NS1_11comp_targetILNS1_3genE9ELNS1_11target_archE1100ELNS1_3gpuE3ELNS1_3repE0EEENS1_30default_config_static_selectorELNS0_4arch9wavefront6targetE1EEEvT1_,comdat
.Lfunc_end1831:
	.size	_ZN7rocprim17ROCPRIM_400000_NS6detail17trampoline_kernelINS0_14default_configENS1_20scan_config_selectorIdEEZZNS1_9scan_implILNS1_25lookback_scan_determinismE0ELb0ELb0ES3_N6thrust23THRUST_200600_302600_NS6detail15normal_iteratorINS9_10device_ptrIdEEEESE_d11max_functorIdEdEEDaPvRmT3_T4_T5_mT6_P12ihipStream_tbENKUlT_T0_E_clISt17integral_constantIbLb1EESU_EEDaSP_SQ_EUlSP_E0_NS1_11comp_targetILNS1_3genE9ELNS1_11target_archE1100ELNS1_3gpuE3ELNS1_3repE0EEENS1_30default_config_static_selectorELNS0_4arch9wavefront6targetE1EEEvT1_, .Lfunc_end1831-_ZN7rocprim17ROCPRIM_400000_NS6detail17trampoline_kernelINS0_14default_configENS1_20scan_config_selectorIdEEZZNS1_9scan_implILNS1_25lookback_scan_determinismE0ELb0ELb0ES3_N6thrust23THRUST_200600_302600_NS6detail15normal_iteratorINS9_10device_ptrIdEEEESE_d11max_functorIdEdEEDaPvRmT3_T4_T5_mT6_P12ihipStream_tbENKUlT_T0_E_clISt17integral_constantIbLb1EESU_EEDaSP_SQ_EUlSP_E0_NS1_11comp_targetILNS1_3genE9ELNS1_11target_archE1100ELNS1_3gpuE3ELNS1_3repE0EEENS1_30default_config_static_selectorELNS0_4arch9wavefront6targetE1EEEvT1_
                                        ; -- End function
	.section	.AMDGPU.csdata,"",@progbits
; Kernel info:
; codeLenInByte = 0
; NumSgprs: 4
; NumVgprs: 0
; NumAgprs: 0
; TotalNumVgprs: 0
; ScratchSize: 0
; MemoryBound: 0
; FloatMode: 240
; IeeeMode: 1
; LDSByteSize: 0 bytes/workgroup (compile time only)
; SGPRBlocks: 0
; VGPRBlocks: 0
; NumSGPRsForWavesPerEU: 4
; NumVGPRsForWavesPerEU: 1
; AccumOffset: 4
; Occupancy: 8
; WaveLimiterHint : 0
; COMPUTE_PGM_RSRC2:SCRATCH_EN: 0
; COMPUTE_PGM_RSRC2:USER_SGPR: 6
; COMPUTE_PGM_RSRC2:TRAP_HANDLER: 0
; COMPUTE_PGM_RSRC2:TGID_X_EN: 1
; COMPUTE_PGM_RSRC2:TGID_Y_EN: 0
; COMPUTE_PGM_RSRC2:TGID_Z_EN: 0
; COMPUTE_PGM_RSRC2:TIDIG_COMP_CNT: 0
; COMPUTE_PGM_RSRC3_GFX90A:ACCUM_OFFSET: 0
; COMPUTE_PGM_RSRC3_GFX90A:TG_SPLIT: 0
	.section	.text._ZN7rocprim17ROCPRIM_400000_NS6detail17trampoline_kernelINS0_14default_configENS1_20scan_config_selectorIdEEZZNS1_9scan_implILNS1_25lookback_scan_determinismE0ELb0ELb0ES3_N6thrust23THRUST_200600_302600_NS6detail15normal_iteratorINS9_10device_ptrIdEEEESE_d11max_functorIdEdEEDaPvRmT3_T4_T5_mT6_P12ihipStream_tbENKUlT_T0_E_clISt17integral_constantIbLb1EESU_EEDaSP_SQ_EUlSP_E0_NS1_11comp_targetILNS1_3genE8ELNS1_11target_archE1030ELNS1_3gpuE2ELNS1_3repE0EEENS1_30default_config_static_selectorELNS0_4arch9wavefront6targetE1EEEvT1_,"axG",@progbits,_ZN7rocprim17ROCPRIM_400000_NS6detail17trampoline_kernelINS0_14default_configENS1_20scan_config_selectorIdEEZZNS1_9scan_implILNS1_25lookback_scan_determinismE0ELb0ELb0ES3_N6thrust23THRUST_200600_302600_NS6detail15normal_iteratorINS9_10device_ptrIdEEEESE_d11max_functorIdEdEEDaPvRmT3_T4_T5_mT6_P12ihipStream_tbENKUlT_T0_E_clISt17integral_constantIbLb1EESU_EEDaSP_SQ_EUlSP_E0_NS1_11comp_targetILNS1_3genE8ELNS1_11target_archE1030ELNS1_3gpuE2ELNS1_3repE0EEENS1_30default_config_static_selectorELNS0_4arch9wavefront6targetE1EEEvT1_,comdat
	.protected	_ZN7rocprim17ROCPRIM_400000_NS6detail17trampoline_kernelINS0_14default_configENS1_20scan_config_selectorIdEEZZNS1_9scan_implILNS1_25lookback_scan_determinismE0ELb0ELb0ES3_N6thrust23THRUST_200600_302600_NS6detail15normal_iteratorINS9_10device_ptrIdEEEESE_d11max_functorIdEdEEDaPvRmT3_T4_T5_mT6_P12ihipStream_tbENKUlT_T0_E_clISt17integral_constantIbLb1EESU_EEDaSP_SQ_EUlSP_E0_NS1_11comp_targetILNS1_3genE8ELNS1_11target_archE1030ELNS1_3gpuE2ELNS1_3repE0EEENS1_30default_config_static_selectorELNS0_4arch9wavefront6targetE1EEEvT1_ ; -- Begin function _ZN7rocprim17ROCPRIM_400000_NS6detail17trampoline_kernelINS0_14default_configENS1_20scan_config_selectorIdEEZZNS1_9scan_implILNS1_25lookback_scan_determinismE0ELb0ELb0ES3_N6thrust23THRUST_200600_302600_NS6detail15normal_iteratorINS9_10device_ptrIdEEEESE_d11max_functorIdEdEEDaPvRmT3_T4_T5_mT6_P12ihipStream_tbENKUlT_T0_E_clISt17integral_constantIbLb1EESU_EEDaSP_SQ_EUlSP_E0_NS1_11comp_targetILNS1_3genE8ELNS1_11target_archE1030ELNS1_3gpuE2ELNS1_3repE0EEENS1_30default_config_static_selectorELNS0_4arch9wavefront6targetE1EEEvT1_
	.globl	_ZN7rocprim17ROCPRIM_400000_NS6detail17trampoline_kernelINS0_14default_configENS1_20scan_config_selectorIdEEZZNS1_9scan_implILNS1_25lookback_scan_determinismE0ELb0ELb0ES3_N6thrust23THRUST_200600_302600_NS6detail15normal_iteratorINS9_10device_ptrIdEEEESE_d11max_functorIdEdEEDaPvRmT3_T4_T5_mT6_P12ihipStream_tbENKUlT_T0_E_clISt17integral_constantIbLb1EESU_EEDaSP_SQ_EUlSP_E0_NS1_11comp_targetILNS1_3genE8ELNS1_11target_archE1030ELNS1_3gpuE2ELNS1_3repE0EEENS1_30default_config_static_selectorELNS0_4arch9wavefront6targetE1EEEvT1_
	.p2align	8
	.type	_ZN7rocprim17ROCPRIM_400000_NS6detail17trampoline_kernelINS0_14default_configENS1_20scan_config_selectorIdEEZZNS1_9scan_implILNS1_25lookback_scan_determinismE0ELb0ELb0ES3_N6thrust23THRUST_200600_302600_NS6detail15normal_iteratorINS9_10device_ptrIdEEEESE_d11max_functorIdEdEEDaPvRmT3_T4_T5_mT6_P12ihipStream_tbENKUlT_T0_E_clISt17integral_constantIbLb1EESU_EEDaSP_SQ_EUlSP_E0_NS1_11comp_targetILNS1_3genE8ELNS1_11target_archE1030ELNS1_3gpuE2ELNS1_3repE0EEENS1_30default_config_static_selectorELNS0_4arch9wavefront6targetE1EEEvT1_,@function
_ZN7rocprim17ROCPRIM_400000_NS6detail17trampoline_kernelINS0_14default_configENS1_20scan_config_selectorIdEEZZNS1_9scan_implILNS1_25lookback_scan_determinismE0ELb0ELb0ES3_N6thrust23THRUST_200600_302600_NS6detail15normal_iteratorINS9_10device_ptrIdEEEESE_d11max_functorIdEdEEDaPvRmT3_T4_T5_mT6_P12ihipStream_tbENKUlT_T0_E_clISt17integral_constantIbLb1EESU_EEDaSP_SQ_EUlSP_E0_NS1_11comp_targetILNS1_3genE8ELNS1_11target_archE1030ELNS1_3gpuE2ELNS1_3repE0EEENS1_30default_config_static_selectorELNS0_4arch9wavefront6targetE1EEEvT1_: ; @_ZN7rocprim17ROCPRIM_400000_NS6detail17trampoline_kernelINS0_14default_configENS1_20scan_config_selectorIdEEZZNS1_9scan_implILNS1_25lookback_scan_determinismE0ELb0ELb0ES3_N6thrust23THRUST_200600_302600_NS6detail15normal_iteratorINS9_10device_ptrIdEEEESE_d11max_functorIdEdEEDaPvRmT3_T4_T5_mT6_P12ihipStream_tbENKUlT_T0_E_clISt17integral_constantIbLb1EESU_EEDaSP_SQ_EUlSP_E0_NS1_11comp_targetILNS1_3genE8ELNS1_11target_archE1030ELNS1_3gpuE2ELNS1_3repE0EEENS1_30default_config_static_selectorELNS0_4arch9wavefront6targetE1EEEvT1_
; %bb.0:
	.section	.rodata,"a",@progbits
	.p2align	6, 0x0
	.amdhsa_kernel _ZN7rocprim17ROCPRIM_400000_NS6detail17trampoline_kernelINS0_14default_configENS1_20scan_config_selectorIdEEZZNS1_9scan_implILNS1_25lookback_scan_determinismE0ELb0ELb0ES3_N6thrust23THRUST_200600_302600_NS6detail15normal_iteratorINS9_10device_ptrIdEEEESE_d11max_functorIdEdEEDaPvRmT3_T4_T5_mT6_P12ihipStream_tbENKUlT_T0_E_clISt17integral_constantIbLb1EESU_EEDaSP_SQ_EUlSP_E0_NS1_11comp_targetILNS1_3genE8ELNS1_11target_archE1030ELNS1_3gpuE2ELNS1_3repE0EEENS1_30default_config_static_selectorELNS0_4arch9wavefront6targetE1EEEvT1_
		.amdhsa_group_segment_fixed_size 0
		.amdhsa_private_segment_fixed_size 0
		.amdhsa_kernarg_size 40
		.amdhsa_user_sgpr_count 6
		.amdhsa_user_sgpr_private_segment_buffer 1
		.amdhsa_user_sgpr_dispatch_ptr 0
		.amdhsa_user_sgpr_queue_ptr 0
		.amdhsa_user_sgpr_kernarg_segment_ptr 1
		.amdhsa_user_sgpr_dispatch_id 0
		.amdhsa_user_sgpr_flat_scratch_init 0
		.amdhsa_user_sgpr_kernarg_preload_length 0
		.amdhsa_user_sgpr_kernarg_preload_offset 0
		.amdhsa_user_sgpr_private_segment_size 0
		.amdhsa_uses_dynamic_stack 0
		.amdhsa_system_sgpr_private_segment_wavefront_offset 0
		.amdhsa_system_sgpr_workgroup_id_x 1
		.amdhsa_system_sgpr_workgroup_id_y 0
		.amdhsa_system_sgpr_workgroup_id_z 0
		.amdhsa_system_sgpr_workgroup_info 0
		.amdhsa_system_vgpr_workitem_id 0
		.amdhsa_next_free_vgpr 1
		.amdhsa_next_free_sgpr 0
		.amdhsa_accum_offset 4
		.amdhsa_reserve_vcc 0
		.amdhsa_reserve_flat_scratch 0
		.amdhsa_float_round_mode_32 0
		.amdhsa_float_round_mode_16_64 0
		.amdhsa_float_denorm_mode_32 3
		.amdhsa_float_denorm_mode_16_64 3
		.amdhsa_dx10_clamp 1
		.amdhsa_ieee_mode 1
		.amdhsa_fp16_overflow 0
		.amdhsa_tg_split 0
		.amdhsa_exception_fp_ieee_invalid_op 0
		.amdhsa_exception_fp_denorm_src 0
		.amdhsa_exception_fp_ieee_div_zero 0
		.amdhsa_exception_fp_ieee_overflow 0
		.amdhsa_exception_fp_ieee_underflow 0
		.amdhsa_exception_fp_ieee_inexact 0
		.amdhsa_exception_int_div_zero 0
	.end_amdhsa_kernel
	.section	.text._ZN7rocprim17ROCPRIM_400000_NS6detail17trampoline_kernelINS0_14default_configENS1_20scan_config_selectorIdEEZZNS1_9scan_implILNS1_25lookback_scan_determinismE0ELb0ELb0ES3_N6thrust23THRUST_200600_302600_NS6detail15normal_iteratorINS9_10device_ptrIdEEEESE_d11max_functorIdEdEEDaPvRmT3_T4_T5_mT6_P12ihipStream_tbENKUlT_T0_E_clISt17integral_constantIbLb1EESU_EEDaSP_SQ_EUlSP_E0_NS1_11comp_targetILNS1_3genE8ELNS1_11target_archE1030ELNS1_3gpuE2ELNS1_3repE0EEENS1_30default_config_static_selectorELNS0_4arch9wavefront6targetE1EEEvT1_,"axG",@progbits,_ZN7rocprim17ROCPRIM_400000_NS6detail17trampoline_kernelINS0_14default_configENS1_20scan_config_selectorIdEEZZNS1_9scan_implILNS1_25lookback_scan_determinismE0ELb0ELb0ES3_N6thrust23THRUST_200600_302600_NS6detail15normal_iteratorINS9_10device_ptrIdEEEESE_d11max_functorIdEdEEDaPvRmT3_T4_T5_mT6_P12ihipStream_tbENKUlT_T0_E_clISt17integral_constantIbLb1EESU_EEDaSP_SQ_EUlSP_E0_NS1_11comp_targetILNS1_3genE8ELNS1_11target_archE1030ELNS1_3gpuE2ELNS1_3repE0EEENS1_30default_config_static_selectorELNS0_4arch9wavefront6targetE1EEEvT1_,comdat
.Lfunc_end1832:
	.size	_ZN7rocprim17ROCPRIM_400000_NS6detail17trampoline_kernelINS0_14default_configENS1_20scan_config_selectorIdEEZZNS1_9scan_implILNS1_25lookback_scan_determinismE0ELb0ELb0ES3_N6thrust23THRUST_200600_302600_NS6detail15normal_iteratorINS9_10device_ptrIdEEEESE_d11max_functorIdEdEEDaPvRmT3_T4_T5_mT6_P12ihipStream_tbENKUlT_T0_E_clISt17integral_constantIbLb1EESU_EEDaSP_SQ_EUlSP_E0_NS1_11comp_targetILNS1_3genE8ELNS1_11target_archE1030ELNS1_3gpuE2ELNS1_3repE0EEENS1_30default_config_static_selectorELNS0_4arch9wavefront6targetE1EEEvT1_, .Lfunc_end1832-_ZN7rocprim17ROCPRIM_400000_NS6detail17trampoline_kernelINS0_14default_configENS1_20scan_config_selectorIdEEZZNS1_9scan_implILNS1_25lookback_scan_determinismE0ELb0ELb0ES3_N6thrust23THRUST_200600_302600_NS6detail15normal_iteratorINS9_10device_ptrIdEEEESE_d11max_functorIdEdEEDaPvRmT3_T4_T5_mT6_P12ihipStream_tbENKUlT_T0_E_clISt17integral_constantIbLb1EESU_EEDaSP_SQ_EUlSP_E0_NS1_11comp_targetILNS1_3genE8ELNS1_11target_archE1030ELNS1_3gpuE2ELNS1_3repE0EEENS1_30default_config_static_selectorELNS0_4arch9wavefront6targetE1EEEvT1_
                                        ; -- End function
	.section	.AMDGPU.csdata,"",@progbits
; Kernel info:
; codeLenInByte = 0
; NumSgprs: 4
; NumVgprs: 0
; NumAgprs: 0
; TotalNumVgprs: 0
; ScratchSize: 0
; MemoryBound: 0
; FloatMode: 240
; IeeeMode: 1
; LDSByteSize: 0 bytes/workgroup (compile time only)
; SGPRBlocks: 0
; VGPRBlocks: 0
; NumSGPRsForWavesPerEU: 4
; NumVGPRsForWavesPerEU: 1
; AccumOffset: 4
; Occupancy: 8
; WaveLimiterHint : 0
; COMPUTE_PGM_RSRC2:SCRATCH_EN: 0
; COMPUTE_PGM_RSRC2:USER_SGPR: 6
; COMPUTE_PGM_RSRC2:TRAP_HANDLER: 0
; COMPUTE_PGM_RSRC2:TGID_X_EN: 1
; COMPUTE_PGM_RSRC2:TGID_Y_EN: 0
; COMPUTE_PGM_RSRC2:TGID_Z_EN: 0
; COMPUTE_PGM_RSRC2:TIDIG_COMP_CNT: 0
; COMPUTE_PGM_RSRC3_GFX90A:ACCUM_OFFSET: 0
; COMPUTE_PGM_RSRC3_GFX90A:TG_SPLIT: 0
	.section	.text._ZN7rocprim17ROCPRIM_400000_NS6detail31init_lookback_scan_state_kernelINS1_19lookback_scan_stateIdLb1ELb1EEENS1_16block_id_wrapperIjLb0EEEEEvT_jT0_jPNS7_10value_typeE,"axG",@progbits,_ZN7rocprim17ROCPRIM_400000_NS6detail31init_lookback_scan_state_kernelINS1_19lookback_scan_stateIdLb1ELb1EEENS1_16block_id_wrapperIjLb0EEEEEvT_jT0_jPNS7_10value_typeE,comdat
	.protected	_ZN7rocprim17ROCPRIM_400000_NS6detail31init_lookback_scan_state_kernelINS1_19lookback_scan_stateIdLb1ELb1EEENS1_16block_id_wrapperIjLb0EEEEEvT_jT0_jPNS7_10value_typeE ; -- Begin function _ZN7rocprim17ROCPRIM_400000_NS6detail31init_lookback_scan_state_kernelINS1_19lookback_scan_stateIdLb1ELb1EEENS1_16block_id_wrapperIjLb0EEEEEvT_jT0_jPNS7_10value_typeE
	.globl	_ZN7rocprim17ROCPRIM_400000_NS6detail31init_lookback_scan_state_kernelINS1_19lookback_scan_stateIdLb1ELb1EEENS1_16block_id_wrapperIjLb0EEEEEvT_jT0_jPNS7_10value_typeE
	.p2align	8
	.type	_ZN7rocprim17ROCPRIM_400000_NS6detail31init_lookback_scan_state_kernelINS1_19lookback_scan_stateIdLb1ELb1EEENS1_16block_id_wrapperIjLb0EEEEEvT_jT0_jPNS7_10value_typeE,@function
_ZN7rocprim17ROCPRIM_400000_NS6detail31init_lookback_scan_state_kernelINS1_19lookback_scan_stateIdLb1ELb1EEENS1_16block_id_wrapperIjLb0EEEEEvT_jT0_jPNS7_10value_typeE: ; @_ZN7rocprim17ROCPRIM_400000_NS6detail31init_lookback_scan_state_kernelINS1_19lookback_scan_stateIdLb1ELb1EEENS1_16block_id_wrapperIjLb0EEEEEvT_jT0_jPNS7_10value_typeE
; %bb.0:
	s_load_dword s7, s[4:5], 0x2c
	s_load_dwordx2 s[2:3], s[4:5], 0x18
	s_load_dwordx2 s[0:1], s[4:5], 0x0
	s_load_dword s12, s[4:5], 0x8
	s_waitcnt lgkmcnt(0)
	s_and_b32 s7, s7, 0xffff
	s_mul_i32 s6, s6, s7
	s_cmp_eq_u64 s[2:3], 0
	v_add_u32_e32 v0, s6, v0
	s_cbranch_scc1 .LBB1833_10
; %bb.1:
	s_load_dword s6, s[4:5], 0x10
	s_mov_b32 s7, 0
	s_waitcnt lgkmcnt(0)
	s_cmp_lt_u32 s6, s12
	s_cselect_b32 s4, s6, 0
	v_cmp_eq_u32_e32 vcc, s4, v0
	s_and_saveexec_b64 s[4:5], vcc
	s_cbranch_execz .LBB1833_9
; %bb.2:
	s_add_i32 s6, s6, 64
	s_lshl_b64 s[6:7], s[6:7], 4
	s_add_u32 s10, s0, s6
	s_addc_u32 s11, s1, s7
	v_pk_mov_b32 v[2:3], s[10:11], s[10:11] op_sel:[0,1]
	;;#ASMSTART
	global_load_dwordx4 v[2:5], v[2:3] off glc	
s_waitcnt vmcnt(0)
	;;#ASMEND
	v_mov_b32_e32 v7, 0
	v_and_b32_e32 v6, 0xff, v4
	s_mov_b64 s[8:9], 0
	v_cmp_eq_u64_e32 vcc, 0, v[6:7]
	s_and_saveexec_b64 s[6:7], vcc
	s_cbranch_execz .LBB1833_8
; %bb.3:
	s_mov_b32 s13, 1
	v_pk_mov_b32 v[8:9], s[10:11], s[10:11] op_sel:[0,1]
.LBB1833_4:                             ; =>This Loop Header: Depth=1
                                        ;     Child Loop BB1833_5 Depth 2
	s_max_u32 s10, s13, 1
.LBB1833_5:                             ;   Parent Loop BB1833_4 Depth=1
                                        ; =>  This Inner Loop Header: Depth=2
	s_add_i32 s10, s10, -1
	s_cmp_eq_u32 s10, 0
	s_sleep 1
	s_cbranch_scc0 .LBB1833_5
; %bb.6:                                ;   in Loop: Header=BB1833_4 Depth=1
	s_cmp_lt_u32 s13, 32
	s_cselect_b64 s[10:11], -1, 0
	s_cmp_lg_u64 s[10:11], 0
	;;#ASMSTART
	global_load_dwordx4 v[2:5], v[8:9] off glc	
s_waitcnt vmcnt(0)
	;;#ASMEND
	v_and_b32_e32 v6, 0xff, v4
	s_addc_u32 s13, s13, 0
	v_cmp_ne_u64_e32 vcc, 0, v[6:7]
	s_or_b64 s[8:9], vcc, s[8:9]
	s_andn2_b64 exec, exec, s[8:9]
	s_cbranch_execnz .LBB1833_4
; %bb.7:
	s_or_b64 exec, exec, s[8:9]
.LBB1833_8:
	s_or_b64 exec, exec, s[6:7]
	v_mov_b32_e32 v1, 0
	global_store_dwordx2 v1, v[2:3], s[2:3]
.LBB1833_9:
	s_or_b64 exec, exec, s[4:5]
.LBB1833_10:
	v_cmp_gt_u32_e32 vcc, s12, v0
	s_and_saveexec_b64 s[2:3], vcc
	s_cbranch_execnz .LBB1833_13
; %bb.11:
	s_or_b64 exec, exec, s[2:3]
	v_cmp_gt_u32_e32 vcc, 64, v0
	s_and_saveexec_b64 s[2:3], vcc
	s_cbranch_execnz .LBB1833_14
.LBB1833_12:
	s_endpgm
.LBB1833_13:
	v_add_u32_e32 v2, 64, v0
	v_mov_b32_e32 v3, 0
	v_lshlrev_b64 v[4:5], 4, v[2:3]
	v_mov_b32_e32 v1, s1
	v_add_co_u32_e32 v6, vcc, s0, v4
	v_addc_co_u32_e32 v7, vcc, v1, v5, vcc
	v_mov_b32_e32 v2, v3
	v_mov_b32_e32 v4, v3
	;; [unrolled: 1-line block ×3, first 2 shown]
	global_store_dwordx4 v[6:7], v[2:5], off
	s_or_b64 exec, exec, s[2:3]
	v_cmp_gt_u32_e32 vcc, 64, v0
	s_and_saveexec_b64 s[2:3], vcc
	s_cbranch_execz .LBB1833_12
.LBB1833_14:
	v_mov_b32_e32 v1, 0
	v_lshlrev_b64 v[2:3], 4, v[0:1]
	v_mov_b32_e32 v0, s1
	v_add_co_u32_e32 v4, vcc, s0, v2
	v_addc_co_u32_e32 v5, vcc, v0, v3, vcc
	v_mov_b32_e32 v2, 0xff
	v_mov_b32_e32 v0, v1
	;; [unrolled: 1-line block ×3, first 2 shown]
	global_store_dwordx4 v[4:5], v[0:3], off
	s_endpgm
	.section	.rodata,"a",@progbits
	.p2align	6, 0x0
	.amdhsa_kernel _ZN7rocprim17ROCPRIM_400000_NS6detail31init_lookback_scan_state_kernelINS1_19lookback_scan_stateIdLb1ELb1EEENS1_16block_id_wrapperIjLb0EEEEEvT_jT0_jPNS7_10value_typeE
		.amdhsa_group_segment_fixed_size 0
		.amdhsa_private_segment_fixed_size 0
		.amdhsa_kernarg_size 288
		.amdhsa_user_sgpr_count 6
		.amdhsa_user_sgpr_private_segment_buffer 1
		.amdhsa_user_sgpr_dispatch_ptr 0
		.amdhsa_user_sgpr_queue_ptr 0
		.amdhsa_user_sgpr_kernarg_segment_ptr 1
		.amdhsa_user_sgpr_dispatch_id 0
		.amdhsa_user_sgpr_flat_scratch_init 0
		.amdhsa_user_sgpr_kernarg_preload_length 0
		.amdhsa_user_sgpr_kernarg_preload_offset 0
		.amdhsa_user_sgpr_private_segment_size 0
		.amdhsa_uses_dynamic_stack 0
		.amdhsa_system_sgpr_private_segment_wavefront_offset 0
		.amdhsa_system_sgpr_workgroup_id_x 1
		.amdhsa_system_sgpr_workgroup_id_y 0
		.amdhsa_system_sgpr_workgroup_id_z 0
		.amdhsa_system_sgpr_workgroup_info 0
		.amdhsa_system_vgpr_workitem_id 0
		.amdhsa_next_free_vgpr 10
		.amdhsa_next_free_sgpr 14
		.amdhsa_accum_offset 12
		.amdhsa_reserve_vcc 1
		.amdhsa_reserve_flat_scratch 0
		.amdhsa_float_round_mode_32 0
		.amdhsa_float_round_mode_16_64 0
		.amdhsa_float_denorm_mode_32 3
		.amdhsa_float_denorm_mode_16_64 3
		.amdhsa_dx10_clamp 1
		.amdhsa_ieee_mode 1
		.amdhsa_fp16_overflow 0
		.amdhsa_tg_split 0
		.amdhsa_exception_fp_ieee_invalid_op 0
		.amdhsa_exception_fp_denorm_src 0
		.amdhsa_exception_fp_ieee_div_zero 0
		.amdhsa_exception_fp_ieee_overflow 0
		.amdhsa_exception_fp_ieee_underflow 0
		.amdhsa_exception_fp_ieee_inexact 0
		.amdhsa_exception_int_div_zero 0
	.end_amdhsa_kernel
	.section	.text._ZN7rocprim17ROCPRIM_400000_NS6detail31init_lookback_scan_state_kernelINS1_19lookback_scan_stateIdLb1ELb1EEENS1_16block_id_wrapperIjLb0EEEEEvT_jT0_jPNS7_10value_typeE,"axG",@progbits,_ZN7rocprim17ROCPRIM_400000_NS6detail31init_lookback_scan_state_kernelINS1_19lookback_scan_stateIdLb1ELb1EEENS1_16block_id_wrapperIjLb0EEEEEvT_jT0_jPNS7_10value_typeE,comdat
.Lfunc_end1833:
	.size	_ZN7rocprim17ROCPRIM_400000_NS6detail31init_lookback_scan_state_kernelINS1_19lookback_scan_stateIdLb1ELb1EEENS1_16block_id_wrapperIjLb0EEEEEvT_jT0_jPNS7_10value_typeE, .Lfunc_end1833-_ZN7rocprim17ROCPRIM_400000_NS6detail31init_lookback_scan_state_kernelINS1_19lookback_scan_stateIdLb1ELb1EEENS1_16block_id_wrapperIjLb0EEEEEvT_jT0_jPNS7_10value_typeE
                                        ; -- End function
	.section	.AMDGPU.csdata,"",@progbits
; Kernel info:
; codeLenInByte = 424
; NumSgprs: 18
; NumVgprs: 10
; NumAgprs: 0
; TotalNumVgprs: 10
; ScratchSize: 0
; MemoryBound: 0
; FloatMode: 240
; IeeeMode: 1
; LDSByteSize: 0 bytes/workgroup (compile time only)
; SGPRBlocks: 2
; VGPRBlocks: 1
; NumSGPRsForWavesPerEU: 18
; NumVGPRsForWavesPerEU: 10
; AccumOffset: 12
; Occupancy: 8
; WaveLimiterHint : 0
; COMPUTE_PGM_RSRC2:SCRATCH_EN: 0
; COMPUTE_PGM_RSRC2:USER_SGPR: 6
; COMPUTE_PGM_RSRC2:TRAP_HANDLER: 0
; COMPUTE_PGM_RSRC2:TGID_X_EN: 1
; COMPUTE_PGM_RSRC2:TGID_Y_EN: 0
; COMPUTE_PGM_RSRC2:TGID_Z_EN: 0
; COMPUTE_PGM_RSRC2:TIDIG_COMP_CNT: 0
; COMPUTE_PGM_RSRC3_GFX90A:ACCUM_OFFSET: 2
; COMPUTE_PGM_RSRC3_GFX90A:TG_SPLIT: 0
	.section	.text._ZN7rocprim17ROCPRIM_400000_NS6detail17trampoline_kernelINS0_14default_configENS1_20scan_config_selectorIdEEZZNS1_9scan_implILNS1_25lookback_scan_determinismE0ELb0ELb0ES3_N6thrust23THRUST_200600_302600_NS6detail15normal_iteratorINS9_10device_ptrIdEEEESE_d11max_functorIdEdEEDaPvRmT3_T4_T5_mT6_P12ihipStream_tbENKUlT_T0_E_clISt17integral_constantIbLb1EEST_IbLb0EEEEDaSP_SQ_EUlSP_E_NS1_11comp_targetILNS1_3genE0ELNS1_11target_archE4294967295ELNS1_3gpuE0ELNS1_3repE0EEENS1_30default_config_static_selectorELNS0_4arch9wavefront6targetE1EEEvT1_,"axG",@progbits,_ZN7rocprim17ROCPRIM_400000_NS6detail17trampoline_kernelINS0_14default_configENS1_20scan_config_selectorIdEEZZNS1_9scan_implILNS1_25lookback_scan_determinismE0ELb0ELb0ES3_N6thrust23THRUST_200600_302600_NS6detail15normal_iteratorINS9_10device_ptrIdEEEESE_d11max_functorIdEdEEDaPvRmT3_T4_T5_mT6_P12ihipStream_tbENKUlT_T0_E_clISt17integral_constantIbLb1EEST_IbLb0EEEEDaSP_SQ_EUlSP_E_NS1_11comp_targetILNS1_3genE0ELNS1_11target_archE4294967295ELNS1_3gpuE0ELNS1_3repE0EEENS1_30default_config_static_selectorELNS0_4arch9wavefront6targetE1EEEvT1_,comdat
	.protected	_ZN7rocprim17ROCPRIM_400000_NS6detail17trampoline_kernelINS0_14default_configENS1_20scan_config_selectorIdEEZZNS1_9scan_implILNS1_25lookback_scan_determinismE0ELb0ELb0ES3_N6thrust23THRUST_200600_302600_NS6detail15normal_iteratorINS9_10device_ptrIdEEEESE_d11max_functorIdEdEEDaPvRmT3_T4_T5_mT6_P12ihipStream_tbENKUlT_T0_E_clISt17integral_constantIbLb1EEST_IbLb0EEEEDaSP_SQ_EUlSP_E_NS1_11comp_targetILNS1_3genE0ELNS1_11target_archE4294967295ELNS1_3gpuE0ELNS1_3repE0EEENS1_30default_config_static_selectorELNS0_4arch9wavefront6targetE1EEEvT1_ ; -- Begin function _ZN7rocprim17ROCPRIM_400000_NS6detail17trampoline_kernelINS0_14default_configENS1_20scan_config_selectorIdEEZZNS1_9scan_implILNS1_25lookback_scan_determinismE0ELb0ELb0ES3_N6thrust23THRUST_200600_302600_NS6detail15normal_iteratorINS9_10device_ptrIdEEEESE_d11max_functorIdEdEEDaPvRmT3_T4_T5_mT6_P12ihipStream_tbENKUlT_T0_E_clISt17integral_constantIbLb1EEST_IbLb0EEEEDaSP_SQ_EUlSP_E_NS1_11comp_targetILNS1_3genE0ELNS1_11target_archE4294967295ELNS1_3gpuE0ELNS1_3repE0EEENS1_30default_config_static_selectorELNS0_4arch9wavefront6targetE1EEEvT1_
	.globl	_ZN7rocprim17ROCPRIM_400000_NS6detail17trampoline_kernelINS0_14default_configENS1_20scan_config_selectorIdEEZZNS1_9scan_implILNS1_25lookback_scan_determinismE0ELb0ELb0ES3_N6thrust23THRUST_200600_302600_NS6detail15normal_iteratorINS9_10device_ptrIdEEEESE_d11max_functorIdEdEEDaPvRmT3_T4_T5_mT6_P12ihipStream_tbENKUlT_T0_E_clISt17integral_constantIbLb1EEST_IbLb0EEEEDaSP_SQ_EUlSP_E_NS1_11comp_targetILNS1_3genE0ELNS1_11target_archE4294967295ELNS1_3gpuE0ELNS1_3repE0EEENS1_30default_config_static_selectorELNS0_4arch9wavefront6targetE1EEEvT1_
	.p2align	8
	.type	_ZN7rocprim17ROCPRIM_400000_NS6detail17trampoline_kernelINS0_14default_configENS1_20scan_config_selectorIdEEZZNS1_9scan_implILNS1_25lookback_scan_determinismE0ELb0ELb0ES3_N6thrust23THRUST_200600_302600_NS6detail15normal_iteratorINS9_10device_ptrIdEEEESE_d11max_functorIdEdEEDaPvRmT3_T4_T5_mT6_P12ihipStream_tbENKUlT_T0_E_clISt17integral_constantIbLb1EEST_IbLb0EEEEDaSP_SQ_EUlSP_E_NS1_11comp_targetILNS1_3genE0ELNS1_11target_archE4294967295ELNS1_3gpuE0ELNS1_3repE0EEENS1_30default_config_static_selectorELNS0_4arch9wavefront6targetE1EEEvT1_,@function
_ZN7rocprim17ROCPRIM_400000_NS6detail17trampoline_kernelINS0_14default_configENS1_20scan_config_selectorIdEEZZNS1_9scan_implILNS1_25lookback_scan_determinismE0ELb0ELb0ES3_N6thrust23THRUST_200600_302600_NS6detail15normal_iteratorINS9_10device_ptrIdEEEESE_d11max_functorIdEdEEDaPvRmT3_T4_T5_mT6_P12ihipStream_tbENKUlT_T0_E_clISt17integral_constantIbLb1EEST_IbLb0EEEEDaSP_SQ_EUlSP_E_NS1_11comp_targetILNS1_3genE0ELNS1_11target_archE4294967295ELNS1_3gpuE0ELNS1_3repE0EEENS1_30default_config_static_selectorELNS0_4arch9wavefront6targetE1EEEvT1_: ; @_ZN7rocprim17ROCPRIM_400000_NS6detail17trampoline_kernelINS0_14default_configENS1_20scan_config_selectorIdEEZZNS1_9scan_implILNS1_25lookback_scan_determinismE0ELb0ELb0ES3_N6thrust23THRUST_200600_302600_NS6detail15normal_iteratorINS9_10device_ptrIdEEEESE_d11max_functorIdEdEEDaPvRmT3_T4_T5_mT6_P12ihipStream_tbENKUlT_T0_E_clISt17integral_constantIbLb1EEST_IbLb0EEEEDaSP_SQ_EUlSP_E_NS1_11comp_targetILNS1_3genE0ELNS1_11target_archE4294967295ELNS1_3gpuE0ELNS1_3repE0EEENS1_30default_config_static_selectorELNS0_4arch9wavefront6targetE1EEEvT1_
; %bb.0:
	.section	.rodata,"a",@progbits
	.p2align	6, 0x0
	.amdhsa_kernel _ZN7rocprim17ROCPRIM_400000_NS6detail17trampoline_kernelINS0_14default_configENS1_20scan_config_selectorIdEEZZNS1_9scan_implILNS1_25lookback_scan_determinismE0ELb0ELb0ES3_N6thrust23THRUST_200600_302600_NS6detail15normal_iteratorINS9_10device_ptrIdEEEESE_d11max_functorIdEdEEDaPvRmT3_T4_T5_mT6_P12ihipStream_tbENKUlT_T0_E_clISt17integral_constantIbLb1EEST_IbLb0EEEEDaSP_SQ_EUlSP_E_NS1_11comp_targetILNS1_3genE0ELNS1_11target_archE4294967295ELNS1_3gpuE0ELNS1_3repE0EEENS1_30default_config_static_selectorELNS0_4arch9wavefront6targetE1EEEvT1_
		.amdhsa_group_segment_fixed_size 0
		.amdhsa_private_segment_fixed_size 0
		.amdhsa_kernarg_size 104
		.amdhsa_user_sgpr_count 6
		.amdhsa_user_sgpr_private_segment_buffer 1
		.amdhsa_user_sgpr_dispatch_ptr 0
		.amdhsa_user_sgpr_queue_ptr 0
		.amdhsa_user_sgpr_kernarg_segment_ptr 1
		.amdhsa_user_sgpr_dispatch_id 0
		.amdhsa_user_sgpr_flat_scratch_init 0
		.amdhsa_user_sgpr_kernarg_preload_length 0
		.amdhsa_user_sgpr_kernarg_preload_offset 0
		.amdhsa_user_sgpr_private_segment_size 0
		.amdhsa_uses_dynamic_stack 0
		.amdhsa_system_sgpr_private_segment_wavefront_offset 0
		.amdhsa_system_sgpr_workgroup_id_x 1
		.amdhsa_system_sgpr_workgroup_id_y 0
		.amdhsa_system_sgpr_workgroup_id_z 0
		.amdhsa_system_sgpr_workgroup_info 0
		.amdhsa_system_vgpr_workitem_id 0
		.amdhsa_next_free_vgpr 1
		.amdhsa_next_free_sgpr 0
		.amdhsa_accum_offset 4
		.amdhsa_reserve_vcc 0
		.amdhsa_reserve_flat_scratch 0
		.amdhsa_float_round_mode_32 0
		.amdhsa_float_round_mode_16_64 0
		.amdhsa_float_denorm_mode_32 3
		.amdhsa_float_denorm_mode_16_64 3
		.amdhsa_dx10_clamp 1
		.amdhsa_ieee_mode 1
		.amdhsa_fp16_overflow 0
		.amdhsa_tg_split 0
		.amdhsa_exception_fp_ieee_invalid_op 0
		.amdhsa_exception_fp_denorm_src 0
		.amdhsa_exception_fp_ieee_div_zero 0
		.amdhsa_exception_fp_ieee_overflow 0
		.amdhsa_exception_fp_ieee_underflow 0
		.amdhsa_exception_fp_ieee_inexact 0
		.amdhsa_exception_int_div_zero 0
	.end_amdhsa_kernel
	.section	.text._ZN7rocprim17ROCPRIM_400000_NS6detail17trampoline_kernelINS0_14default_configENS1_20scan_config_selectorIdEEZZNS1_9scan_implILNS1_25lookback_scan_determinismE0ELb0ELb0ES3_N6thrust23THRUST_200600_302600_NS6detail15normal_iteratorINS9_10device_ptrIdEEEESE_d11max_functorIdEdEEDaPvRmT3_T4_T5_mT6_P12ihipStream_tbENKUlT_T0_E_clISt17integral_constantIbLb1EEST_IbLb0EEEEDaSP_SQ_EUlSP_E_NS1_11comp_targetILNS1_3genE0ELNS1_11target_archE4294967295ELNS1_3gpuE0ELNS1_3repE0EEENS1_30default_config_static_selectorELNS0_4arch9wavefront6targetE1EEEvT1_,"axG",@progbits,_ZN7rocprim17ROCPRIM_400000_NS6detail17trampoline_kernelINS0_14default_configENS1_20scan_config_selectorIdEEZZNS1_9scan_implILNS1_25lookback_scan_determinismE0ELb0ELb0ES3_N6thrust23THRUST_200600_302600_NS6detail15normal_iteratorINS9_10device_ptrIdEEEESE_d11max_functorIdEdEEDaPvRmT3_T4_T5_mT6_P12ihipStream_tbENKUlT_T0_E_clISt17integral_constantIbLb1EEST_IbLb0EEEEDaSP_SQ_EUlSP_E_NS1_11comp_targetILNS1_3genE0ELNS1_11target_archE4294967295ELNS1_3gpuE0ELNS1_3repE0EEENS1_30default_config_static_selectorELNS0_4arch9wavefront6targetE1EEEvT1_,comdat
.Lfunc_end1834:
	.size	_ZN7rocprim17ROCPRIM_400000_NS6detail17trampoline_kernelINS0_14default_configENS1_20scan_config_selectorIdEEZZNS1_9scan_implILNS1_25lookback_scan_determinismE0ELb0ELb0ES3_N6thrust23THRUST_200600_302600_NS6detail15normal_iteratorINS9_10device_ptrIdEEEESE_d11max_functorIdEdEEDaPvRmT3_T4_T5_mT6_P12ihipStream_tbENKUlT_T0_E_clISt17integral_constantIbLb1EEST_IbLb0EEEEDaSP_SQ_EUlSP_E_NS1_11comp_targetILNS1_3genE0ELNS1_11target_archE4294967295ELNS1_3gpuE0ELNS1_3repE0EEENS1_30default_config_static_selectorELNS0_4arch9wavefront6targetE1EEEvT1_, .Lfunc_end1834-_ZN7rocprim17ROCPRIM_400000_NS6detail17trampoline_kernelINS0_14default_configENS1_20scan_config_selectorIdEEZZNS1_9scan_implILNS1_25lookback_scan_determinismE0ELb0ELb0ES3_N6thrust23THRUST_200600_302600_NS6detail15normal_iteratorINS9_10device_ptrIdEEEESE_d11max_functorIdEdEEDaPvRmT3_T4_T5_mT6_P12ihipStream_tbENKUlT_T0_E_clISt17integral_constantIbLb1EEST_IbLb0EEEEDaSP_SQ_EUlSP_E_NS1_11comp_targetILNS1_3genE0ELNS1_11target_archE4294967295ELNS1_3gpuE0ELNS1_3repE0EEENS1_30default_config_static_selectorELNS0_4arch9wavefront6targetE1EEEvT1_
                                        ; -- End function
	.section	.AMDGPU.csdata,"",@progbits
; Kernel info:
; codeLenInByte = 0
; NumSgprs: 4
; NumVgprs: 0
; NumAgprs: 0
; TotalNumVgprs: 0
; ScratchSize: 0
; MemoryBound: 0
; FloatMode: 240
; IeeeMode: 1
; LDSByteSize: 0 bytes/workgroup (compile time only)
; SGPRBlocks: 0
; VGPRBlocks: 0
; NumSGPRsForWavesPerEU: 4
; NumVGPRsForWavesPerEU: 1
; AccumOffset: 4
; Occupancy: 8
; WaveLimiterHint : 0
; COMPUTE_PGM_RSRC2:SCRATCH_EN: 0
; COMPUTE_PGM_RSRC2:USER_SGPR: 6
; COMPUTE_PGM_RSRC2:TRAP_HANDLER: 0
; COMPUTE_PGM_RSRC2:TGID_X_EN: 1
; COMPUTE_PGM_RSRC2:TGID_Y_EN: 0
; COMPUTE_PGM_RSRC2:TGID_Z_EN: 0
; COMPUTE_PGM_RSRC2:TIDIG_COMP_CNT: 0
; COMPUTE_PGM_RSRC3_GFX90A:ACCUM_OFFSET: 0
; COMPUTE_PGM_RSRC3_GFX90A:TG_SPLIT: 0
	.section	.text._ZN7rocprim17ROCPRIM_400000_NS6detail17trampoline_kernelINS0_14default_configENS1_20scan_config_selectorIdEEZZNS1_9scan_implILNS1_25lookback_scan_determinismE0ELb0ELb0ES3_N6thrust23THRUST_200600_302600_NS6detail15normal_iteratorINS9_10device_ptrIdEEEESE_d11max_functorIdEdEEDaPvRmT3_T4_T5_mT6_P12ihipStream_tbENKUlT_T0_E_clISt17integral_constantIbLb1EEST_IbLb0EEEEDaSP_SQ_EUlSP_E_NS1_11comp_targetILNS1_3genE5ELNS1_11target_archE942ELNS1_3gpuE9ELNS1_3repE0EEENS1_30default_config_static_selectorELNS0_4arch9wavefront6targetE1EEEvT1_,"axG",@progbits,_ZN7rocprim17ROCPRIM_400000_NS6detail17trampoline_kernelINS0_14default_configENS1_20scan_config_selectorIdEEZZNS1_9scan_implILNS1_25lookback_scan_determinismE0ELb0ELb0ES3_N6thrust23THRUST_200600_302600_NS6detail15normal_iteratorINS9_10device_ptrIdEEEESE_d11max_functorIdEdEEDaPvRmT3_T4_T5_mT6_P12ihipStream_tbENKUlT_T0_E_clISt17integral_constantIbLb1EEST_IbLb0EEEEDaSP_SQ_EUlSP_E_NS1_11comp_targetILNS1_3genE5ELNS1_11target_archE942ELNS1_3gpuE9ELNS1_3repE0EEENS1_30default_config_static_selectorELNS0_4arch9wavefront6targetE1EEEvT1_,comdat
	.protected	_ZN7rocprim17ROCPRIM_400000_NS6detail17trampoline_kernelINS0_14default_configENS1_20scan_config_selectorIdEEZZNS1_9scan_implILNS1_25lookback_scan_determinismE0ELb0ELb0ES3_N6thrust23THRUST_200600_302600_NS6detail15normal_iteratorINS9_10device_ptrIdEEEESE_d11max_functorIdEdEEDaPvRmT3_T4_T5_mT6_P12ihipStream_tbENKUlT_T0_E_clISt17integral_constantIbLb1EEST_IbLb0EEEEDaSP_SQ_EUlSP_E_NS1_11comp_targetILNS1_3genE5ELNS1_11target_archE942ELNS1_3gpuE9ELNS1_3repE0EEENS1_30default_config_static_selectorELNS0_4arch9wavefront6targetE1EEEvT1_ ; -- Begin function _ZN7rocprim17ROCPRIM_400000_NS6detail17trampoline_kernelINS0_14default_configENS1_20scan_config_selectorIdEEZZNS1_9scan_implILNS1_25lookback_scan_determinismE0ELb0ELb0ES3_N6thrust23THRUST_200600_302600_NS6detail15normal_iteratorINS9_10device_ptrIdEEEESE_d11max_functorIdEdEEDaPvRmT3_T4_T5_mT6_P12ihipStream_tbENKUlT_T0_E_clISt17integral_constantIbLb1EEST_IbLb0EEEEDaSP_SQ_EUlSP_E_NS1_11comp_targetILNS1_3genE5ELNS1_11target_archE942ELNS1_3gpuE9ELNS1_3repE0EEENS1_30default_config_static_selectorELNS0_4arch9wavefront6targetE1EEEvT1_
	.globl	_ZN7rocprim17ROCPRIM_400000_NS6detail17trampoline_kernelINS0_14default_configENS1_20scan_config_selectorIdEEZZNS1_9scan_implILNS1_25lookback_scan_determinismE0ELb0ELb0ES3_N6thrust23THRUST_200600_302600_NS6detail15normal_iteratorINS9_10device_ptrIdEEEESE_d11max_functorIdEdEEDaPvRmT3_T4_T5_mT6_P12ihipStream_tbENKUlT_T0_E_clISt17integral_constantIbLb1EEST_IbLb0EEEEDaSP_SQ_EUlSP_E_NS1_11comp_targetILNS1_3genE5ELNS1_11target_archE942ELNS1_3gpuE9ELNS1_3repE0EEENS1_30default_config_static_selectorELNS0_4arch9wavefront6targetE1EEEvT1_
	.p2align	8
	.type	_ZN7rocprim17ROCPRIM_400000_NS6detail17trampoline_kernelINS0_14default_configENS1_20scan_config_selectorIdEEZZNS1_9scan_implILNS1_25lookback_scan_determinismE0ELb0ELb0ES3_N6thrust23THRUST_200600_302600_NS6detail15normal_iteratorINS9_10device_ptrIdEEEESE_d11max_functorIdEdEEDaPvRmT3_T4_T5_mT6_P12ihipStream_tbENKUlT_T0_E_clISt17integral_constantIbLb1EEST_IbLb0EEEEDaSP_SQ_EUlSP_E_NS1_11comp_targetILNS1_3genE5ELNS1_11target_archE942ELNS1_3gpuE9ELNS1_3repE0EEENS1_30default_config_static_selectorELNS0_4arch9wavefront6targetE1EEEvT1_,@function
_ZN7rocprim17ROCPRIM_400000_NS6detail17trampoline_kernelINS0_14default_configENS1_20scan_config_selectorIdEEZZNS1_9scan_implILNS1_25lookback_scan_determinismE0ELb0ELb0ES3_N6thrust23THRUST_200600_302600_NS6detail15normal_iteratorINS9_10device_ptrIdEEEESE_d11max_functorIdEdEEDaPvRmT3_T4_T5_mT6_P12ihipStream_tbENKUlT_T0_E_clISt17integral_constantIbLb1EEST_IbLb0EEEEDaSP_SQ_EUlSP_E_NS1_11comp_targetILNS1_3genE5ELNS1_11target_archE942ELNS1_3gpuE9ELNS1_3repE0EEENS1_30default_config_static_selectorELNS0_4arch9wavefront6targetE1EEEvT1_: ; @_ZN7rocprim17ROCPRIM_400000_NS6detail17trampoline_kernelINS0_14default_configENS1_20scan_config_selectorIdEEZZNS1_9scan_implILNS1_25lookback_scan_determinismE0ELb0ELb0ES3_N6thrust23THRUST_200600_302600_NS6detail15normal_iteratorINS9_10device_ptrIdEEEESE_d11max_functorIdEdEEDaPvRmT3_T4_T5_mT6_P12ihipStream_tbENKUlT_T0_E_clISt17integral_constantIbLb1EEST_IbLb0EEEEDaSP_SQ_EUlSP_E_NS1_11comp_targetILNS1_3genE5ELNS1_11target_archE942ELNS1_3gpuE9ELNS1_3repE0EEENS1_30default_config_static_selectorELNS0_4arch9wavefront6targetE1EEEvT1_
; %bb.0:
	.section	.rodata,"a",@progbits
	.p2align	6, 0x0
	.amdhsa_kernel _ZN7rocprim17ROCPRIM_400000_NS6detail17trampoline_kernelINS0_14default_configENS1_20scan_config_selectorIdEEZZNS1_9scan_implILNS1_25lookback_scan_determinismE0ELb0ELb0ES3_N6thrust23THRUST_200600_302600_NS6detail15normal_iteratorINS9_10device_ptrIdEEEESE_d11max_functorIdEdEEDaPvRmT3_T4_T5_mT6_P12ihipStream_tbENKUlT_T0_E_clISt17integral_constantIbLb1EEST_IbLb0EEEEDaSP_SQ_EUlSP_E_NS1_11comp_targetILNS1_3genE5ELNS1_11target_archE942ELNS1_3gpuE9ELNS1_3repE0EEENS1_30default_config_static_selectorELNS0_4arch9wavefront6targetE1EEEvT1_
		.amdhsa_group_segment_fixed_size 0
		.amdhsa_private_segment_fixed_size 0
		.amdhsa_kernarg_size 104
		.amdhsa_user_sgpr_count 6
		.amdhsa_user_sgpr_private_segment_buffer 1
		.amdhsa_user_sgpr_dispatch_ptr 0
		.amdhsa_user_sgpr_queue_ptr 0
		.amdhsa_user_sgpr_kernarg_segment_ptr 1
		.amdhsa_user_sgpr_dispatch_id 0
		.amdhsa_user_sgpr_flat_scratch_init 0
		.amdhsa_user_sgpr_kernarg_preload_length 0
		.amdhsa_user_sgpr_kernarg_preload_offset 0
		.amdhsa_user_sgpr_private_segment_size 0
		.amdhsa_uses_dynamic_stack 0
		.amdhsa_system_sgpr_private_segment_wavefront_offset 0
		.amdhsa_system_sgpr_workgroup_id_x 1
		.amdhsa_system_sgpr_workgroup_id_y 0
		.amdhsa_system_sgpr_workgroup_id_z 0
		.amdhsa_system_sgpr_workgroup_info 0
		.amdhsa_system_vgpr_workitem_id 0
		.amdhsa_next_free_vgpr 1
		.amdhsa_next_free_sgpr 0
		.amdhsa_accum_offset 4
		.amdhsa_reserve_vcc 0
		.amdhsa_reserve_flat_scratch 0
		.amdhsa_float_round_mode_32 0
		.amdhsa_float_round_mode_16_64 0
		.amdhsa_float_denorm_mode_32 3
		.amdhsa_float_denorm_mode_16_64 3
		.amdhsa_dx10_clamp 1
		.amdhsa_ieee_mode 1
		.amdhsa_fp16_overflow 0
		.amdhsa_tg_split 0
		.amdhsa_exception_fp_ieee_invalid_op 0
		.amdhsa_exception_fp_denorm_src 0
		.amdhsa_exception_fp_ieee_div_zero 0
		.amdhsa_exception_fp_ieee_overflow 0
		.amdhsa_exception_fp_ieee_underflow 0
		.amdhsa_exception_fp_ieee_inexact 0
		.amdhsa_exception_int_div_zero 0
	.end_amdhsa_kernel
	.section	.text._ZN7rocprim17ROCPRIM_400000_NS6detail17trampoline_kernelINS0_14default_configENS1_20scan_config_selectorIdEEZZNS1_9scan_implILNS1_25lookback_scan_determinismE0ELb0ELb0ES3_N6thrust23THRUST_200600_302600_NS6detail15normal_iteratorINS9_10device_ptrIdEEEESE_d11max_functorIdEdEEDaPvRmT3_T4_T5_mT6_P12ihipStream_tbENKUlT_T0_E_clISt17integral_constantIbLb1EEST_IbLb0EEEEDaSP_SQ_EUlSP_E_NS1_11comp_targetILNS1_3genE5ELNS1_11target_archE942ELNS1_3gpuE9ELNS1_3repE0EEENS1_30default_config_static_selectorELNS0_4arch9wavefront6targetE1EEEvT1_,"axG",@progbits,_ZN7rocprim17ROCPRIM_400000_NS6detail17trampoline_kernelINS0_14default_configENS1_20scan_config_selectorIdEEZZNS1_9scan_implILNS1_25lookback_scan_determinismE0ELb0ELb0ES3_N6thrust23THRUST_200600_302600_NS6detail15normal_iteratorINS9_10device_ptrIdEEEESE_d11max_functorIdEdEEDaPvRmT3_T4_T5_mT6_P12ihipStream_tbENKUlT_T0_E_clISt17integral_constantIbLb1EEST_IbLb0EEEEDaSP_SQ_EUlSP_E_NS1_11comp_targetILNS1_3genE5ELNS1_11target_archE942ELNS1_3gpuE9ELNS1_3repE0EEENS1_30default_config_static_selectorELNS0_4arch9wavefront6targetE1EEEvT1_,comdat
.Lfunc_end1835:
	.size	_ZN7rocprim17ROCPRIM_400000_NS6detail17trampoline_kernelINS0_14default_configENS1_20scan_config_selectorIdEEZZNS1_9scan_implILNS1_25lookback_scan_determinismE0ELb0ELb0ES3_N6thrust23THRUST_200600_302600_NS6detail15normal_iteratorINS9_10device_ptrIdEEEESE_d11max_functorIdEdEEDaPvRmT3_T4_T5_mT6_P12ihipStream_tbENKUlT_T0_E_clISt17integral_constantIbLb1EEST_IbLb0EEEEDaSP_SQ_EUlSP_E_NS1_11comp_targetILNS1_3genE5ELNS1_11target_archE942ELNS1_3gpuE9ELNS1_3repE0EEENS1_30default_config_static_selectorELNS0_4arch9wavefront6targetE1EEEvT1_, .Lfunc_end1835-_ZN7rocprim17ROCPRIM_400000_NS6detail17trampoline_kernelINS0_14default_configENS1_20scan_config_selectorIdEEZZNS1_9scan_implILNS1_25lookback_scan_determinismE0ELb0ELb0ES3_N6thrust23THRUST_200600_302600_NS6detail15normal_iteratorINS9_10device_ptrIdEEEESE_d11max_functorIdEdEEDaPvRmT3_T4_T5_mT6_P12ihipStream_tbENKUlT_T0_E_clISt17integral_constantIbLb1EEST_IbLb0EEEEDaSP_SQ_EUlSP_E_NS1_11comp_targetILNS1_3genE5ELNS1_11target_archE942ELNS1_3gpuE9ELNS1_3repE0EEENS1_30default_config_static_selectorELNS0_4arch9wavefront6targetE1EEEvT1_
                                        ; -- End function
	.section	.AMDGPU.csdata,"",@progbits
; Kernel info:
; codeLenInByte = 0
; NumSgprs: 4
; NumVgprs: 0
; NumAgprs: 0
; TotalNumVgprs: 0
; ScratchSize: 0
; MemoryBound: 0
; FloatMode: 240
; IeeeMode: 1
; LDSByteSize: 0 bytes/workgroup (compile time only)
; SGPRBlocks: 0
; VGPRBlocks: 0
; NumSGPRsForWavesPerEU: 4
; NumVGPRsForWavesPerEU: 1
; AccumOffset: 4
; Occupancy: 8
; WaveLimiterHint : 0
; COMPUTE_PGM_RSRC2:SCRATCH_EN: 0
; COMPUTE_PGM_RSRC2:USER_SGPR: 6
; COMPUTE_PGM_RSRC2:TRAP_HANDLER: 0
; COMPUTE_PGM_RSRC2:TGID_X_EN: 1
; COMPUTE_PGM_RSRC2:TGID_Y_EN: 0
; COMPUTE_PGM_RSRC2:TGID_Z_EN: 0
; COMPUTE_PGM_RSRC2:TIDIG_COMP_CNT: 0
; COMPUTE_PGM_RSRC3_GFX90A:ACCUM_OFFSET: 0
; COMPUTE_PGM_RSRC3_GFX90A:TG_SPLIT: 0
	.section	.text._ZN7rocprim17ROCPRIM_400000_NS6detail17trampoline_kernelINS0_14default_configENS1_20scan_config_selectorIdEEZZNS1_9scan_implILNS1_25lookback_scan_determinismE0ELb0ELb0ES3_N6thrust23THRUST_200600_302600_NS6detail15normal_iteratorINS9_10device_ptrIdEEEESE_d11max_functorIdEdEEDaPvRmT3_T4_T5_mT6_P12ihipStream_tbENKUlT_T0_E_clISt17integral_constantIbLb1EEST_IbLb0EEEEDaSP_SQ_EUlSP_E_NS1_11comp_targetILNS1_3genE4ELNS1_11target_archE910ELNS1_3gpuE8ELNS1_3repE0EEENS1_30default_config_static_selectorELNS0_4arch9wavefront6targetE1EEEvT1_,"axG",@progbits,_ZN7rocprim17ROCPRIM_400000_NS6detail17trampoline_kernelINS0_14default_configENS1_20scan_config_selectorIdEEZZNS1_9scan_implILNS1_25lookback_scan_determinismE0ELb0ELb0ES3_N6thrust23THRUST_200600_302600_NS6detail15normal_iteratorINS9_10device_ptrIdEEEESE_d11max_functorIdEdEEDaPvRmT3_T4_T5_mT6_P12ihipStream_tbENKUlT_T0_E_clISt17integral_constantIbLb1EEST_IbLb0EEEEDaSP_SQ_EUlSP_E_NS1_11comp_targetILNS1_3genE4ELNS1_11target_archE910ELNS1_3gpuE8ELNS1_3repE0EEENS1_30default_config_static_selectorELNS0_4arch9wavefront6targetE1EEEvT1_,comdat
	.protected	_ZN7rocprim17ROCPRIM_400000_NS6detail17trampoline_kernelINS0_14default_configENS1_20scan_config_selectorIdEEZZNS1_9scan_implILNS1_25lookback_scan_determinismE0ELb0ELb0ES3_N6thrust23THRUST_200600_302600_NS6detail15normal_iteratorINS9_10device_ptrIdEEEESE_d11max_functorIdEdEEDaPvRmT3_T4_T5_mT6_P12ihipStream_tbENKUlT_T0_E_clISt17integral_constantIbLb1EEST_IbLb0EEEEDaSP_SQ_EUlSP_E_NS1_11comp_targetILNS1_3genE4ELNS1_11target_archE910ELNS1_3gpuE8ELNS1_3repE0EEENS1_30default_config_static_selectorELNS0_4arch9wavefront6targetE1EEEvT1_ ; -- Begin function _ZN7rocprim17ROCPRIM_400000_NS6detail17trampoline_kernelINS0_14default_configENS1_20scan_config_selectorIdEEZZNS1_9scan_implILNS1_25lookback_scan_determinismE0ELb0ELb0ES3_N6thrust23THRUST_200600_302600_NS6detail15normal_iteratorINS9_10device_ptrIdEEEESE_d11max_functorIdEdEEDaPvRmT3_T4_T5_mT6_P12ihipStream_tbENKUlT_T0_E_clISt17integral_constantIbLb1EEST_IbLb0EEEEDaSP_SQ_EUlSP_E_NS1_11comp_targetILNS1_3genE4ELNS1_11target_archE910ELNS1_3gpuE8ELNS1_3repE0EEENS1_30default_config_static_selectorELNS0_4arch9wavefront6targetE1EEEvT1_
	.globl	_ZN7rocprim17ROCPRIM_400000_NS6detail17trampoline_kernelINS0_14default_configENS1_20scan_config_selectorIdEEZZNS1_9scan_implILNS1_25lookback_scan_determinismE0ELb0ELb0ES3_N6thrust23THRUST_200600_302600_NS6detail15normal_iteratorINS9_10device_ptrIdEEEESE_d11max_functorIdEdEEDaPvRmT3_T4_T5_mT6_P12ihipStream_tbENKUlT_T0_E_clISt17integral_constantIbLb1EEST_IbLb0EEEEDaSP_SQ_EUlSP_E_NS1_11comp_targetILNS1_3genE4ELNS1_11target_archE910ELNS1_3gpuE8ELNS1_3repE0EEENS1_30default_config_static_selectorELNS0_4arch9wavefront6targetE1EEEvT1_
	.p2align	8
	.type	_ZN7rocprim17ROCPRIM_400000_NS6detail17trampoline_kernelINS0_14default_configENS1_20scan_config_selectorIdEEZZNS1_9scan_implILNS1_25lookback_scan_determinismE0ELb0ELb0ES3_N6thrust23THRUST_200600_302600_NS6detail15normal_iteratorINS9_10device_ptrIdEEEESE_d11max_functorIdEdEEDaPvRmT3_T4_T5_mT6_P12ihipStream_tbENKUlT_T0_E_clISt17integral_constantIbLb1EEST_IbLb0EEEEDaSP_SQ_EUlSP_E_NS1_11comp_targetILNS1_3genE4ELNS1_11target_archE910ELNS1_3gpuE8ELNS1_3repE0EEENS1_30default_config_static_selectorELNS0_4arch9wavefront6targetE1EEEvT1_,@function
_ZN7rocprim17ROCPRIM_400000_NS6detail17trampoline_kernelINS0_14default_configENS1_20scan_config_selectorIdEEZZNS1_9scan_implILNS1_25lookback_scan_determinismE0ELb0ELb0ES3_N6thrust23THRUST_200600_302600_NS6detail15normal_iteratorINS9_10device_ptrIdEEEESE_d11max_functorIdEdEEDaPvRmT3_T4_T5_mT6_P12ihipStream_tbENKUlT_T0_E_clISt17integral_constantIbLb1EEST_IbLb0EEEEDaSP_SQ_EUlSP_E_NS1_11comp_targetILNS1_3genE4ELNS1_11target_archE910ELNS1_3gpuE8ELNS1_3repE0EEENS1_30default_config_static_selectorELNS0_4arch9wavefront6targetE1EEEvT1_: ; @_ZN7rocprim17ROCPRIM_400000_NS6detail17trampoline_kernelINS0_14default_configENS1_20scan_config_selectorIdEEZZNS1_9scan_implILNS1_25lookback_scan_determinismE0ELb0ELb0ES3_N6thrust23THRUST_200600_302600_NS6detail15normal_iteratorINS9_10device_ptrIdEEEESE_d11max_functorIdEdEEDaPvRmT3_T4_T5_mT6_P12ihipStream_tbENKUlT_T0_E_clISt17integral_constantIbLb1EEST_IbLb0EEEEDaSP_SQ_EUlSP_E_NS1_11comp_targetILNS1_3genE4ELNS1_11target_archE910ELNS1_3gpuE8ELNS1_3repE0EEENS1_30default_config_static_selectorELNS0_4arch9wavefront6targetE1EEEvT1_
; %bb.0:
	s_load_dwordx8 s[8:15], s[4:5], 0x0
	s_load_dword s1, s[4:5], 0x38
	s_mul_i32 s0, s6, 0x500
	v_lshlrev_b32_e32 v42, 3, v0
	s_waitcnt lgkmcnt(0)
	s_lshl_b64 s[16:17], s[10:11], 3
	s_add_u32 s2, s8, s16
	s_addc_u32 s3, s9, s17
	s_add_i32 s7, s1, -1
	s_mul_i32 s8, s7, 0x500
	s_sub_u32 s22, s14, s8
	s_subb_u32 s23, s15, 0
	s_mov_b32 s1, 0
	s_cmp_lg_u32 s6, s7
	s_cselect_b64 s[14:15], -1, 0
	s_lshl_b64 s[18:19], s[0:1], 3
	s_add_u32 s2, s2, s18
	s_addc_u32 s3, s3, s19
	s_mov_b64 s[0:1], -1
	s_and_b64 vcc, exec, s[14:15]
	s_cbranch_vccz .LBB1836_2
; %bb.1:
	v_mov_b32_e32 v1, s3
	v_add_co_u32_e32 v2, vcc, s2, v42
	v_addc_co_u32_e32 v3, vcc, 0, v1, vcc
	v_add_co_u32_e32 v12, vcc, 0x1000, v2
	v_addc_co_u32_e32 v13, vcc, 0, v3, vcc
	flat_load_dwordx2 v[4:5], v[2:3]
	flat_load_dwordx2 v[6:7], v[2:3] offset:1024
	flat_load_dwordx2 v[8:9], v[2:3] offset:2048
	;; [unrolled: 1-line block ×3, first 2 shown]
	v_add_co_u32_e32 v2, vcc, 0x2000, v2
	v_addc_co_u32_e32 v3, vcc, 0, v3, vcc
	flat_load_dwordx2 v[14:15], v[12:13]
	flat_load_dwordx2 v[16:17], v[12:13] offset:1024
	flat_load_dwordx2 v[18:19], v[12:13] offset:2048
	;; [unrolled: 1-line block ×3, first 2 shown]
	s_nop 0
	flat_load_dwordx2 v[12:13], v[2:3]
	flat_load_dwordx2 v[22:23], v[2:3] offset:1024
	s_mov_b64 s[0:1], 0
	s_waitcnt vmcnt(0) lgkmcnt(0)
	ds_write2st64_b64 v42, v[4:5], v[6:7] offset1:2
	ds_write2st64_b64 v42, v[8:9], v[10:11] offset0:4 offset1:6
	ds_write2st64_b64 v42, v[14:15], v[16:17] offset0:8 offset1:10
	;; [unrolled: 1-line block ×4, first 2 shown]
	s_waitcnt lgkmcnt(0)
	s_barrier
.LBB1836_2:
	s_load_dwordx2 s[20:21], s[4:5], 0x30
	s_andn2_b64 vcc, exec, s[0:1]
	v_cmp_gt_u32_e64 s[0:1], s22, v0
	s_cbranch_vccnz .LBB1836_24
; %bb.3:
	v_pk_mov_b32 v[2:3], s[2:3], s[2:3] op_sel:[0,1]
	flat_load_dwordx2 v[2:3], v[2:3]
	s_waitcnt vmcnt(0) lgkmcnt(0)
	v_mov_b32_e32 v4, v2
	v_mov_b32_e32 v5, v3
	;; [unrolled: 1-line block ×16, first 2 shown]
	v_pk_mov_b32 v[34:35], v[30:31], v[30:31] op_sel:[0,1]
	v_pk_mov_b32 v[32:33], v[28:29], v[28:29] op_sel:[0,1]
	;; [unrolled: 1-line block ×16, first 2 shown]
	s_and_saveexec_b64 s[8:9], s[0:1]
	s_cbranch_execz .LBB1836_5
; %bb.4:
	v_mov_b32_e32 v1, s3
	v_add_co_u32_e32 v4, vcc, s2, v42
	v_addc_co_u32_e32 v5, vcc, 0, v1, vcc
	flat_load_dwordx2 v[36:37], v[4:5]
	v_mov_b32_e32 v4, v2
	v_mov_b32_e32 v5, v3
	;; [unrolled: 1-line block ×16, first 2 shown]
	v_pk_mov_b32 v[34:35], v[30:31], v[30:31] op_sel:[0,1]
	v_pk_mov_b32 v[32:33], v[28:29], v[28:29] op_sel:[0,1]
	;; [unrolled: 1-line block ×16, first 2 shown]
	s_waitcnt vmcnt(0) lgkmcnt(0)
	v_pk_mov_b32 v[2:3], v[36:37], v[36:37] op_sel:[0,1]
.LBB1836_5:
	s_or_b64 exec, exec, s[8:9]
	v_or_b32_e32 v1, 0x80, v0
	v_cmp_gt_u32_e32 vcc, s22, v1
	s_and_saveexec_b64 s[0:1], vcc
	s_cbranch_execz .LBB1836_7
; %bb.6:
	v_mov_b32_e32 v1, s3
	v_add_co_u32_e32 v4, vcc, s2, v42
	v_addc_co_u32_e32 v5, vcc, 0, v1, vcc
	flat_load_dwordx2 v[6:7], v[4:5] offset:1024
.LBB1836_7:
	s_or_b64 exec, exec, s[0:1]
	v_or_b32_e32 v1, 0x100, v0
	v_cmp_gt_u32_e32 vcc, s22, v1
	s_and_saveexec_b64 s[0:1], vcc
	s_cbranch_execz .LBB1836_9
; %bb.8:
	v_mov_b32_e32 v1, s3
	v_add_co_u32_e32 v4, vcc, s2, v42
	v_addc_co_u32_e32 v5, vcc, 0, v1, vcc
	flat_load_dwordx2 v[8:9], v[4:5] offset:2048
.LBB1836_9:
	;; [unrolled: 11-line block ×3, first 2 shown]
	s_or_b64 exec, exec, s[0:1]
	v_or_b32_e32 v1, 0x200, v0
	v_cmp_gt_u32_e32 vcc, s22, v1
	s_and_saveexec_b64 s[0:1], vcc
	s_cbranch_execz .LBB1836_13
; %bb.12:
	v_lshlrev_b32_e32 v1, 3, v1
	v_mov_b32_e32 v5, s3
	v_add_co_u32_e32 v4, vcc, s2, v1
	v_addc_co_u32_e32 v5, vcc, 0, v5, vcc
	flat_load_dwordx2 v[12:13], v[4:5]
.LBB1836_13:
	s_or_b64 exec, exec, s[0:1]
	v_or_b32_e32 v1, 0x280, v0
	v_cmp_gt_u32_e32 vcc, s22, v1
	s_and_saveexec_b64 s[0:1], vcc
	s_cbranch_execz .LBB1836_15
; %bb.14:
	v_lshlrev_b32_e32 v1, 3, v1
	v_mov_b32_e32 v5, s3
	v_add_co_u32_e32 v4, vcc, s2, v1
	v_addc_co_u32_e32 v5, vcc, 0, v5, vcc
	flat_load_dwordx2 v[14:15], v[4:5]
.LBB1836_15:
	;; [unrolled: 12-line block ×6, first 2 shown]
	s_or_b64 exec, exec, s[0:1]
	s_waitcnt vmcnt(0) lgkmcnt(0)
	ds_write2st64_b64 v42, v[2:3], v[6:7] offset1:2
	ds_write2st64_b64 v42, v[8:9], v[10:11] offset0:4 offset1:6
	ds_write2st64_b64 v42, v[12:13], v[14:15] offset0:8 offset1:10
	;; [unrolled: 1-line block ×4, first 2 shown]
	s_waitcnt lgkmcnt(0)
	s_barrier
.LBB1836_24:
	v_mul_u32_u24_e32 v43, 10, v0
	v_lshlrev_b32_e32 v44, 3, v43
	s_waitcnt lgkmcnt(0)
	ds_read_b128 v[2:5], v44
	ds_read_b128 v[14:17], v44 offset:16
	ds_read_b128 v[10:13], v44 offset:32
	;; [unrolled: 1-line block ×4, first 2 shown]
	s_cmp_lg_u32 s6, 0
	v_mbcnt_lo_u32_b32 v1, -1, 0
	s_waitcnt lgkmcnt(0)
	s_barrier
	s_cbranch_scc0 .LBB1836_85
; %bb.25:
	v_cmp_lt_f64_e32 vcc, v[2:3], v[4:5]
	v_cndmask_b32_e32 v23, v3, v5, vcc
	v_cndmask_b32_e32 v22, v2, v4, vcc
	v_cmp_lt_f64_e32 vcc, v[22:23], v[14:15]
	v_cndmask_b32_e32 v23, v23, v15, vcc
	v_cndmask_b32_e32 v22, v22, v14, vcc
	;; [unrolled: 3-line block ×8, first 2 shown]
	v_cmp_lt_f64_e32 vcc, v[22:23], v[20:21]
	v_mbcnt_hi_u32_b32 v33, -1, v1
	v_cndmask_b32_e32 v23, v23, v21, vcc
	v_cndmask_b32_e32 v22, v22, v20, vcc
	v_and_b32_e32 v26, 15, v33
	v_mov_b32_dpp v25, v23 row_shr:1 row_mask:0xf bank_mask:0xf
	v_mov_b32_dpp v24, v22 row_shr:1 row_mask:0xf bank_mask:0xf
	v_cmp_ne_u32_e32 vcc, 0, v26
	s_and_saveexec_b64 s[0:1], vcc
; %bb.26:
	v_cmp_gt_f64_e32 vcc, v[22:23], v[24:25]
	v_cndmask_b32_e32 v23, v25, v23, vcc
	v_cndmask_b32_e32 v22, v24, v22, vcc
; %bb.27:
	s_or_b64 exec, exec, s[0:1]
	s_nop 0
	v_mov_b32_dpp v24, v22 row_shr:2 row_mask:0xf bank_mask:0xf
	v_mov_b32_dpp v25, v23 row_shr:2 row_mask:0xf bank_mask:0xf
	v_cmp_lt_u32_e32 vcc, 1, v26
	s_and_saveexec_b64 s[0:1], vcc
; %bb.28:
	v_cmp_gt_f64_e32 vcc, v[22:23], v[24:25]
	v_cndmask_b32_e32 v23, v25, v23, vcc
	v_cndmask_b32_e32 v22, v24, v22, vcc
; %bb.29:
	s_or_b64 exec, exec, s[0:1]
	s_nop 0
	v_mov_b32_dpp v24, v22 row_shr:4 row_mask:0xf bank_mask:0xf
	v_mov_b32_dpp v25, v23 row_shr:4 row_mask:0xf bank_mask:0xf
	v_cmp_lt_u32_e32 vcc, 3, v26
	;; [unrolled: 11-line block ×3, first 2 shown]
	s_and_saveexec_b64 s[0:1], vcc
; %bb.32:
	v_cmp_gt_f64_e32 vcc, v[22:23], v[24:25]
	v_cndmask_b32_e32 v23, v25, v23, vcc
	v_cndmask_b32_e32 v22, v24, v22, vcc
; %bb.33:
	s_or_b64 exec, exec, s[0:1]
	v_and_b32_e32 v26, 16, v33
	v_mov_b32_dpp v24, v22 row_bcast:15 row_mask:0xf bank_mask:0xf
	v_mov_b32_dpp v25, v23 row_bcast:15 row_mask:0xf bank_mask:0xf
	v_cmp_ne_u32_e32 vcc, 0, v26
	s_and_saveexec_b64 s[0:1], vcc
; %bb.34:
	v_cmp_gt_f64_e32 vcc, v[22:23], v[24:25]
	v_cndmask_b32_e32 v23, v25, v23, vcc
	v_cndmask_b32_e32 v22, v24, v22, vcc
; %bb.35:
	s_or_b64 exec, exec, s[0:1]
	s_nop 0
	v_mov_b32_dpp v24, v22 row_bcast:31 row_mask:0xf bank_mask:0xf
	v_mov_b32_dpp v25, v23 row_bcast:31 row_mask:0xf bank_mask:0xf
	v_cmp_gt_f64_e32 vcc, v[22:23], v[24:25]
	v_cndmask_b32_e32 v24, v24, v22, vcc
	v_cndmask_b32_e32 v25, v25, v23, vcc
	v_cmp_lt_u32_e32 vcc, 31, v33
	v_cndmask_b32_e32 v23, v23, v25, vcc
	v_or_b32_e32 v25, 63, v0
	v_cndmask_b32_e32 v22, v22, v24, vcc
	v_lshrrev_b32_e32 v24, 6, v0
	v_cmp_eq_u32_e32 vcc, v25, v0
	s_and_saveexec_b64 s[0:1], vcc
	s_cbranch_execz .LBB1836_37
; %bb.36:
	v_lshlrev_b32_e32 v25, 3, v24
	ds_write_b64 v25, v[22:23]
.LBB1836_37:
	s_or_b64 exec, exec, s[0:1]
	v_cmp_gt_u32_e32 vcc, 2, v0
	s_waitcnt lgkmcnt(0)
	s_barrier
	s_and_saveexec_b64 s[2:3], vcc
	s_cbranch_execz .LBB1836_39
; %bb.38:
	ds_read_b64 v[26:27], v42
	v_and_b32_e32 v25, 1, v33
	v_cmp_eq_u32_e32 vcc, 0, v25
	s_waitcnt lgkmcnt(0)
	v_mov_b32_dpp v30, v27 row_shr:1 row_mask:0xf bank_mask:0xf
	v_mov_b32_dpp v28, v26 row_shr:1 row_mask:0xf bank_mask:0xf
	v_mov_b32_e32 v29, v30
	v_cmp_gt_f64_e64 s[0:1], v[26:27], v[28:29]
	s_or_b64 vcc, vcc, s[0:1]
	v_cndmask_b32_e32 v27, v30, v27, vcc
	v_cndmask_b32_e32 v26, v28, v26, vcc
	ds_write_b64 v42, v[26:27]
.LBB1836_39:
	s_or_b64 exec, exec, s[2:3]
	v_cmp_gt_u32_e32 vcc, 64, v0
	v_cmp_lt_u32_e64 s[0:1], 63, v0
	s_waitcnt lgkmcnt(0)
	s_barrier
	s_waitcnt lgkmcnt(0)
                                        ; implicit-def: $vgpr30_vgpr31
	s_and_saveexec_b64 s[2:3], s[0:1]
	s_cbranch_execz .LBB1836_41
; %bb.40:
	v_lshl_add_u32 v24, v24, 3, -8
	ds_read_b64 v[30:31], v24
	s_waitcnt lgkmcnt(0)
	v_cmp_lt_f64_e64 s[0:1], v[30:31], v[22:23]
	v_cndmask_b32_e64 v23, v31, v23, s[0:1]
	v_cndmask_b32_e64 v22, v30, v22, s[0:1]
.LBB1836_41:
	s_or_b64 exec, exec, s[2:3]
	v_add_u32_e32 v24, -1, v33
	v_and_b32_e32 v25, 64, v33
	v_cmp_lt_i32_e64 s[0:1], v24, v25
	v_cndmask_b32_e64 v24, v24, v33, s[0:1]
	v_lshlrev_b32_e32 v24, 2, v24
	ds_bpermute_b32 v38, v24, v22
	ds_bpermute_b32 v39, v24, v23
	v_cmp_eq_u32_e64 s[0:1], 0, v33
	s_and_saveexec_b64 s[8:9], vcc
	s_cbranch_execz .LBB1836_84
; %bb.42:
	v_mov_b32_e32 v25, 0
	ds_read_b64 v[22:23], v25 offset:8
	s_and_saveexec_b64 s[2:3], s[0:1]
	s_cbranch_execz .LBB1836_44
; %bb.43:
	s_add_i32 s10, s6, 64
	s_mov_b32 s11, 0
	s_lshl_b64 s[10:11], s[10:11], 4
	s_add_u32 s10, s20, s10
	s_addc_u32 s11, s21, s11
	v_mov_b32_e32 v24, 1
	v_pk_mov_b32 v[26:27], s[10:11], s[10:11] op_sel:[0,1]
	s_waitcnt lgkmcnt(0)
	;;#ASMSTART
	global_store_dwordx4 v[26:27], v[22:25] off	
s_waitcnt vmcnt(0)
	;;#ASMEND
.LBB1836_44:
	s_or_b64 exec, exec, s[2:3]
	v_xad_u32 v32, v33, -1, s6
	v_add_u32_e32 v24, 64, v32
	v_lshlrev_b64 v[26:27], 4, v[24:25]
	v_mov_b32_e32 v24, s21
	v_add_co_u32_e32 v34, vcc, s20, v26
	v_addc_co_u32_e32 v35, vcc, v24, v27, vcc
	;;#ASMSTART
	global_load_dwordx4 v[26:29], v[34:35] off glc	
s_waitcnt vmcnt(0)
	;;#ASMEND
	v_and_b32_e32 v24, 0xff, v27
	v_and_b32_e32 v29, 0xff00, v27
	v_or3_b32 v24, 0, v24, v29
	v_or3_b32 v26, v26, 0, 0
	v_and_b32_e32 v29, 0xff000000, v27
	v_and_b32_e32 v27, 0xff0000, v27
	v_or3_b32 v27, v24, v27, v29
	v_or3_b32 v26, v26, 0, 0
	v_cmp_eq_u16_sdwa s[10:11], v28, v25 src0_sel:BYTE_0 src1_sel:DWORD
	s_and_saveexec_b64 s[2:3], s[10:11]
	s_cbranch_execz .LBB1836_50
; %bb.45:
	s_mov_b32 s7, 1
	s_mov_b64 s[10:11], 0
	v_mov_b32_e32 v24, 0
.LBB1836_46:                            ; =>This Loop Header: Depth=1
                                        ;     Child Loop BB1836_47 Depth 2
	s_max_u32 s24, s7, 1
.LBB1836_47:                            ;   Parent Loop BB1836_46 Depth=1
                                        ; =>  This Inner Loop Header: Depth=2
	s_add_i32 s24, s24, -1
	s_cmp_eq_u32 s24, 0
	s_sleep 1
	s_cbranch_scc0 .LBB1836_47
; %bb.48:                               ;   in Loop: Header=BB1836_46 Depth=1
	s_cmp_lt_u32 s7, 32
	s_cselect_b64 s[24:25], -1, 0
	s_cmp_lg_u64 s[24:25], 0
	s_addc_u32 s7, s7, 0
	;;#ASMSTART
	global_load_dwordx4 v[26:29], v[34:35] off glc	
s_waitcnt vmcnt(0)
	;;#ASMEND
	v_cmp_ne_u16_sdwa s[24:25], v28, v24 src0_sel:BYTE_0 src1_sel:DWORD
	s_or_b64 s[10:11], s[24:25], s[10:11]
	s_andn2_b64 exec, exec, s[10:11]
	s_cbranch_execnz .LBB1836_46
; %bb.49:
	s_or_b64 exec, exec, s[10:11]
.LBB1836_50:
	s_or_b64 exec, exec, s[2:3]
	v_and_b32_e32 v40, 63, v33
	v_mov_b32_e32 v24, 2
	v_cmp_ne_u32_e32 vcc, 63, v40
	v_cmp_eq_u16_sdwa s[2:3], v28, v24 src0_sel:BYTE_0 src1_sel:DWORD
	v_lshlrev_b64 v[24:25], v33, -1
	v_addc_co_u32_e32 v34, vcc, 0, v33, vcc
	v_and_b32_e32 v29, s3, v25
	v_lshlrev_b32_e32 v41, 2, v34
	v_or_b32_e32 v29, 0x80000000, v29
	ds_bpermute_b32 v34, v41, v26
	ds_bpermute_b32 v35, v41, v27
	v_and_b32_e32 v36, s2, v24
	v_ffbl_b32_e32 v29, v29
	v_add_u32_e32 v29, 32, v29
	v_ffbl_b32_e32 v36, v36
	v_min_u32_e32 v29, v36, v29
	v_cmp_lt_u32_e32 vcc, v40, v29
	s_and_saveexec_b64 s[2:3], vcc
	s_cbranch_execz .LBB1836_52
; %bb.51:
	s_waitcnt lgkmcnt(0)
	v_cmp_lt_f64_e32 vcc, v[34:35], v[26:27]
	v_cndmask_b32_e32 v27, v35, v27, vcc
	v_cndmask_b32_e32 v26, v34, v26, vcc
.LBB1836_52:
	s_or_b64 exec, exec, s[2:3]
	v_cmp_gt_u32_e32 vcc, 62, v40
	s_waitcnt lgkmcnt(1)
	v_cndmask_b32_e64 v34, 0, 1, vcc
	v_lshlrev_b32_e32 v34, 1, v34
	v_add_lshl_u32 v45, v34, v33, 2
	ds_bpermute_b32 v34, v45, v26
	s_waitcnt lgkmcnt(1)
	ds_bpermute_b32 v35, v45, v27
	v_add_u32_e32 v46, 2, v40
	v_cmp_le_u32_e32 vcc, v46, v29
	s_and_saveexec_b64 s[2:3], vcc
	s_cbranch_execz .LBB1836_54
; %bb.53:
	s_waitcnt lgkmcnt(0)
	v_cmp_gt_f64_e32 vcc, v[26:27], v[34:35]
	v_cndmask_b32_e32 v27, v35, v27, vcc
	v_cndmask_b32_e32 v26, v34, v26, vcc
.LBB1836_54:
	s_or_b64 exec, exec, s[2:3]
	v_cmp_gt_u32_e32 vcc, 60, v40
	s_waitcnt lgkmcnt(1)
	v_cndmask_b32_e64 v34, 0, 1, vcc
	v_lshlrev_b32_e32 v34, 2, v34
	v_add_lshl_u32 v47, v34, v33, 2
	ds_bpermute_b32 v34, v47, v26
	s_waitcnt lgkmcnt(1)
	ds_bpermute_b32 v35, v47, v27
	v_add_u32_e32 v48, 4, v40
	v_cmp_le_u32_e32 vcc, v48, v29
	s_and_saveexec_b64 s[2:3], vcc
	s_cbranch_execz .LBB1836_56
; %bb.55:
	s_waitcnt lgkmcnt(0)
	v_cmp_gt_f64_e32 vcc, v[26:27], v[34:35]
	v_cndmask_b32_e32 v27, v35, v27, vcc
	v_cndmask_b32_e32 v26, v34, v26, vcc
.LBB1836_56:
	;; [unrolled: 19-line block ×4, first 2 shown]
	s_or_b64 exec, exec, s[2:3]
	v_cmp_gt_u32_e32 vcc, 32, v40
	s_waitcnt lgkmcnt(1)
	v_cndmask_b32_e64 v34, 0, 1, vcc
	v_lshlrev_b32_e32 v34, 5, v34
	v_add_lshl_u32 v53, v34, v33, 2
	ds_bpermute_b32 v34, v53, v27
	ds_bpermute_b32 v36, v53, v26
	v_add_u32_e32 v54, 32, v40
	v_cmp_gt_u32_e32 vcc, v54, v29
	v_mov_b32_e32 v33, 0
	s_waitcnt lgkmcnt(1)
	v_mov_b32_e32 v37, v34
	s_waitcnt lgkmcnt(0)
	v_cmp_gt_f64_e64 s[2:3], v[26:27], v[36:37]
	s_or_b64 vcc, vcc, s[2:3]
	v_cndmask_b32_e32 v27, v34, v27, vcc
	v_cndmask_b32_e32 v26, v36, v26, vcc
	v_mov_b32_e32 v55, 2
	s_branch .LBB1836_62
.LBB1836_61:                            ;   in Loop: Header=BB1836_62 Depth=1
	s_or_b64 exec, exec, s[2:3]
	s_waitcnt lgkmcnt(1)
	ds_bpermute_b32 v36, v53, v27
	ds_bpermute_b32 v56, v53, v26
	v_cmp_gt_u32_e32 vcc, v54, v29
	v_subrev_u32_e32 v32, 64, v32
	s_waitcnt lgkmcnt(1)
	v_mov_b32_e32 v57, v36
	s_waitcnt lgkmcnt(0)
	v_cmp_gt_f64_e64 s[2:3], v[26:27], v[56:57]
	s_or_b64 vcc, vcc, s[2:3]
	v_cndmask_b32_e32 v27, v36, v27, vcc
	v_cndmask_b32_e32 v26, v56, v26, vcc
	v_cmp_lt_f64_e32 vcc, v[26:27], v[34:35]
	v_cndmask_b32_e32 v27, v27, v35, vcc
	v_cndmask_b32_e32 v26, v26, v34, vcc
.LBB1836_62:                            ; =>This Loop Header: Depth=1
                                        ;     Child Loop BB1836_65 Depth 2
                                        ;       Child Loop BB1836_66 Depth 3
	v_cmp_ne_u16_sdwa s[2:3], v28, v55 src0_sel:BYTE_0 src1_sel:DWORD
	v_cndmask_b32_e64 v28, 0, 1, s[2:3]
	;;#ASMSTART
	;;#ASMEND
	v_cmp_ne_u32_e32 vcc, 0, v28
	s_cmp_lg_u64 vcc, exec
	v_pk_mov_b32 v[34:35], v[26:27], v[26:27] op_sel:[0,1]
	s_cbranch_scc1 .LBB1836_79
; %bb.63:                               ;   in Loop: Header=BB1836_62 Depth=1
	v_lshlrev_b64 v[26:27], 4, v[32:33]
	v_mov_b32_e32 v28, s21
	v_add_co_u32_e32 v36, vcc, s20, v26
	v_addc_co_u32_e32 v37, vcc, v28, v27, vcc
	;;#ASMSTART
	global_load_dwordx4 v[26:29], v[36:37] off glc	
s_waitcnt vmcnt(0)
	;;#ASMEND
	v_and_b32_e32 v29, 0xff, v27
	v_and_b32_e32 v56, 0xff00, v27
	v_or3_b32 v29, 0, v29, v56
	v_or3_b32 v26, v26, 0, 0
	v_and_b32_e32 v56, 0xff000000, v27
	v_and_b32_e32 v27, 0xff0000, v27
	v_or3_b32 v27, v29, v27, v56
	v_or3_b32 v26, v26, 0, 0
	v_cmp_eq_u16_sdwa s[10:11], v28, v33 src0_sel:BYTE_0 src1_sel:DWORD
	s_and_saveexec_b64 s[2:3], s[10:11]
	s_cbranch_execz .LBB1836_69
; %bb.64:                               ;   in Loop: Header=BB1836_62 Depth=1
	s_mov_b32 s7, 1
	s_mov_b64 s[10:11], 0
.LBB1836_65:                            ;   Parent Loop BB1836_62 Depth=1
                                        ; =>  This Loop Header: Depth=2
                                        ;       Child Loop BB1836_66 Depth 3
	s_max_u32 s24, s7, 1
.LBB1836_66:                            ;   Parent Loop BB1836_62 Depth=1
                                        ;     Parent Loop BB1836_65 Depth=2
                                        ; =>    This Inner Loop Header: Depth=3
	s_add_i32 s24, s24, -1
	s_cmp_eq_u32 s24, 0
	s_sleep 1
	s_cbranch_scc0 .LBB1836_66
; %bb.67:                               ;   in Loop: Header=BB1836_65 Depth=2
	s_cmp_lt_u32 s7, 32
	s_cselect_b64 s[24:25], -1, 0
	s_cmp_lg_u64 s[24:25], 0
	s_addc_u32 s7, s7, 0
	;;#ASMSTART
	global_load_dwordx4 v[26:29], v[36:37] off glc	
s_waitcnt vmcnt(0)
	;;#ASMEND
	v_cmp_ne_u16_sdwa s[24:25], v28, v33 src0_sel:BYTE_0 src1_sel:DWORD
	s_or_b64 s[10:11], s[24:25], s[10:11]
	s_andn2_b64 exec, exec, s[10:11]
	s_cbranch_execnz .LBB1836_65
; %bb.68:                               ;   in Loop: Header=BB1836_62 Depth=1
	s_or_b64 exec, exec, s[10:11]
.LBB1836_69:                            ;   in Loop: Header=BB1836_62 Depth=1
	s_or_b64 exec, exec, s[2:3]
	v_cmp_eq_u16_sdwa s[2:3], v28, v55 src0_sel:BYTE_0 src1_sel:DWORD
	v_and_b32_e32 v29, s3, v25
	v_or_b32_e32 v29, 0x80000000, v29
	ds_bpermute_b32 v36, v41, v26
	ds_bpermute_b32 v37, v41, v27
	v_and_b32_e32 v56, s2, v24
	v_ffbl_b32_e32 v29, v29
	v_add_u32_e32 v29, 32, v29
	v_ffbl_b32_e32 v56, v56
	v_min_u32_e32 v29, v56, v29
	v_cmp_lt_u32_e32 vcc, v40, v29
	s_and_saveexec_b64 s[2:3], vcc
	s_cbranch_execz .LBB1836_71
; %bb.70:                               ;   in Loop: Header=BB1836_62 Depth=1
	s_waitcnt lgkmcnt(0)
	v_cmp_lt_f64_e32 vcc, v[36:37], v[26:27]
	v_cndmask_b32_e32 v27, v37, v27, vcc
	v_cndmask_b32_e32 v26, v36, v26, vcc
.LBB1836_71:                            ;   in Loop: Header=BB1836_62 Depth=1
	s_or_b64 exec, exec, s[2:3]
	s_waitcnt lgkmcnt(1)
	ds_bpermute_b32 v36, v45, v26
	s_waitcnt lgkmcnt(1)
	ds_bpermute_b32 v37, v45, v27
	v_cmp_le_u32_e32 vcc, v46, v29
	s_and_saveexec_b64 s[2:3], vcc
	s_cbranch_execz .LBB1836_73
; %bb.72:                               ;   in Loop: Header=BB1836_62 Depth=1
	s_waitcnt lgkmcnt(0)
	v_cmp_gt_f64_e32 vcc, v[26:27], v[36:37]
	v_cndmask_b32_e32 v27, v37, v27, vcc
	v_cndmask_b32_e32 v26, v36, v26, vcc
.LBB1836_73:                            ;   in Loop: Header=BB1836_62 Depth=1
	s_or_b64 exec, exec, s[2:3]
	s_waitcnt lgkmcnt(1)
	ds_bpermute_b32 v36, v47, v26
	s_waitcnt lgkmcnt(1)
	ds_bpermute_b32 v37, v47, v27
	v_cmp_le_u32_e32 vcc, v48, v29
	s_and_saveexec_b64 s[2:3], vcc
	s_cbranch_execz .LBB1836_75
; %bb.74:                               ;   in Loop: Header=BB1836_62 Depth=1
	s_waitcnt lgkmcnt(0)
	v_cmp_gt_f64_e32 vcc, v[26:27], v[36:37]
	v_cndmask_b32_e32 v27, v37, v27, vcc
	v_cndmask_b32_e32 v26, v36, v26, vcc
.LBB1836_75:                            ;   in Loop: Header=BB1836_62 Depth=1
	;; [unrolled: 14-line block ×3, first 2 shown]
	s_or_b64 exec, exec, s[2:3]
	s_waitcnt lgkmcnt(1)
	ds_bpermute_b32 v36, v51, v26
	s_waitcnt lgkmcnt(1)
	ds_bpermute_b32 v37, v51, v27
	v_cmp_le_u32_e32 vcc, v52, v29
	s_and_saveexec_b64 s[2:3], vcc
	s_cbranch_execz .LBB1836_61
; %bb.78:                               ;   in Loop: Header=BB1836_62 Depth=1
	s_waitcnt lgkmcnt(0)
	v_cmp_gt_f64_e32 vcc, v[26:27], v[36:37]
	v_cndmask_b32_e32 v27, v37, v27, vcc
	v_cndmask_b32_e32 v26, v36, v26, vcc
	s_branch .LBB1836_61
.LBB1836_79:                            ;   in Loop: Header=BB1836_62 Depth=1
                                        ; implicit-def: $vgpr26_vgpr27
                                        ; implicit-def: $vgpr28
	s_cbranch_execz .LBB1836_62
; %bb.80:
	s_and_saveexec_b64 s[2:3], s[0:1]
	s_cbranch_execz .LBB1836_82
; %bb.81:
	s_add_i32 s6, s6, 64
	s_mov_b32 s7, 0
	s_lshl_b64 s[6:7], s[6:7], 4
	s_add_u32 s6, s20, s6
	v_cmp_lt_f64_e32 vcc, v[34:35], v[22:23]
	s_addc_u32 s7, s21, s7
	v_cndmask_b32_e32 v23, v35, v23, vcc
	v_cndmask_b32_e32 v22, v34, v22, vcc
	v_mov_b32_e32 v24, 2
	v_mov_b32_e32 v25, 0
	v_pk_mov_b32 v[26:27], s[6:7], s[6:7] op_sel:[0,1]
	;;#ASMSTART
	global_store_dwordx4 v[26:27], v[22:25] off	
s_waitcnt vmcnt(0)
	;;#ASMEND
.LBB1836_82:
	s_or_b64 exec, exec, s[2:3]
	v_cmp_eq_u32_e32 vcc, 0, v0
	s_and_b64 exec, exec, vcc
	s_cbranch_execz .LBB1836_84
; %bb.83:
	v_mov_b32_e32 v22, 0
	ds_write_b64 v22, v[34:35] offset:8
.LBB1836_84:
	s_or_b64 exec, exec, s[8:9]
	v_mov_b32_e32 v24, 0
	s_waitcnt lgkmcnt(0)
	s_barrier
	ds_read_b64 v[24:25], v24 offset:8
	v_cndmask_b32_e64 v23, v39, v31, s[0:1]
	v_cndmask_b32_e64 v22, v38, v30, s[0:1]
	v_cmp_eq_u32_e32 vcc, 0, v0
	v_cmp_lt_f64_e64 s[0:1], v[22:23], v[2:3]
	s_or_b64 vcc, vcc, s[0:1]
	v_cndmask_b32_e32 v23, v23, v3, vcc
	v_cndmask_b32_e32 v22, v22, v2, vcc
	s_waitcnt lgkmcnt(0)
	v_cmp_lt_f64_e32 vcc, v[24:25], v[22:23]
	v_cndmask_b32_e32 v23, v25, v23, vcc
	v_cndmask_b32_e32 v22, v24, v22, vcc
	v_cmp_lt_f64_e32 vcc, v[22:23], v[4:5]
	v_cndmask_b32_e32 v25, v23, v5, vcc
	v_cndmask_b32_e32 v24, v22, v4, vcc
	;; [unrolled: 3-line block ×10, first 2 shown]
	s_load_dwordx8 s[4:11], s[4:5], 0x40
	s_branch .LBB1836_109
.LBB1836_85:
                                        ; implicit-def: $vgpr40_vgpr41
                                        ; implicit-def: $vgpr36_vgpr37
                                        ; implicit-def: $vgpr32_vgpr33
                                        ; implicit-def: $vgpr28_vgpr29
                                        ; implicit-def: $vgpr24_vgpr25
	s_load_dwordx8 s[4:11], s[4:5], 0x40
	s_cbranch_execz .LBB1836_109
; %bb.86:
	s_waitcnt lgkmcnt(0)
	s_cmp_lg_u64 s[8:9], 0
	s_cselect_b64 s[2:3], -1, 0
	v_cmp_eq_u32_e64 s[0:1], 0, v0
	v_cmp_ne_u32_e32 vcc, 0, v0
	s_and_b64 s[0:1], s[0:1], s[2:3]
	s_and_saveexec_b64 s[2:3], s[0:1]
	s_cbranch_execz .LBB1836_88
; %bb.87:
	v_mov_b32_e32 v22, 0
	global_load_dwordx2 v[22:23], v22, s[4:5]
	s_waitcnt vmcnt(0)
	v_cmp_lt_f64_e64 s[0:1], v[22:23], v[2:3]
	v_cndmask_b32_e64 v3, v23, v3, s[0:1]
	v_cndmask_b32_e64 v2, v22, v2, s[0:1]
.LBB1836_88:
	s_or_b64 exec, exec, s[2:3]
	v_cmp_lt_f64_e64 s[0:1], v[2:3], v[4:5]
	v_cndmask_b32_e64 v23, v3, v5, s[0:1]
	v_cndmask_b32_e64 v22, v2, v4, s[0:1]
	v_cmp_lt_f64_e64 s[0:1], v[22:23], v[14:15]
	v_cndmask_b32_e64 v23, v23, v15, s[0:1]
	v_cndmask_b32_e64 v22, v22, v14, s[0:1]
	;; [unrolled: 3-line block ×8, first 2 shown]
	v_cmp_lt_f64_e64 s[0:1], v[22:23], v[20:21]
	v_mbcnt_hi_u32_b32 v1, -1, v1
	v_cndmask_b32_e64 v23, v23, v21, s[0:1]
	v_cndmask_b32_e64 v22, v22, v20, s[0:1]
	v_and_b32_e32 v26, 15, v1
	v_mov_b32_dpp v25, v23 row_shr:1 row_mask:0xf bank_mask:0xf
	v_mov_b32_dpp v24, v22 row_shr:1 row_mask:0xf bank_mask:0xf
	v_cmp_ne_u32_e64 s[0:1], 0, v26
	s_and_saveexec_b64 s[2:3], s[0:1]
; %bb.89:
	v_cmp_gt_f64_e64 s[0:1], v[22:23], v[24:25]
	v_cndmask_b32_e64 v23, v25, v23, s[0:1]
	v_cndmask_b32_e64 v22, v24, v22, s[0:1]
; %bb.90:
	s_or_b64 exec, exec, s[2:3]
	s_nop 0
	v_mov_b32_dpp v24, v22 row_shr:2 row_mask:0xf bank_mask:0xf
	v_mov_b32_dpp v25, v23 row_shr:2 row_mask:0xf bank_mask:0xf
	v_cmp_lt_u32_e64 s[0:1], 1, v26
	s_and_saveexec_b64 s[2:3], s[0:1]
; %bb.91:
	v_cmp_gt_f64_e64 s[0:1], v[22:23], v[24:25]
	v_cndmask_b32_e64 v23, v25, v23, s[0:1]
	v_cndmask_b32_e64 v22, v24, v22, s[0:1]
; %bb.92:
	s_or_b64 exec, exec, s[2:3]
	s_nop 0
	v_mov_b32_dpp v24, v22 row_shr:4 row_mask:0xf bank_mask:0xf
	v_mov_b32_dpp v25, v23 row_shr:4 row_mask:0xf bank_mask:0xf
	v_cmp_lt_u32_e64 s[0:1], 3, v26
	s_and_saveexec_b64 s[2:3], s[0:1]
; %bb.93:
	v_cmp_gt_f64_e64 s[0:1], v[22:23], v[24:25]
	v_cndmask_b32_e64 v23, v25, v23, s[0:1]
	v_cndmask_b32_e64 v22, v24, v22, s[0:1]
; %bb.94:
	s_or_b64 exec, exec, s[2:3]
	s_nop 0
	v_mov_b32_dpp v24, v22 row_shr:8 row_mask:0xf bank_mask:0xf
	v_mov_b32_dpp v25, v23 row_shr:8 row_mask:0xf bank_mask:0xf
	v_cmp_lt_u32_e64 s[0:1], 7, v26
	s_and_saveexec_b64 s[2:3], s[0:1]
; %bb.95:
	v_cmp_gt_f64_e64 s[0:1], v[22:23], v[24:25]
	v_cndmask_b32_e64 v23, v25, v23, s[0:1]
	v_cndmask_b32_e64 v22, v24, v22, s[0:1]
; %bb.96:
	s_or_b64 exec, exec, s[2:3]
	v_and_b32_e32 v26, 16, v1
	v_mov_b32_dpp v24, v22 row_bcast:15 row_mask:0xf bank_mask:0xf
	v_mov_b32_dpp v25, v23 row_bcast:15 row_mask:0xf bank_mask:0xf
	v_cmp_ne_u32_e64 s[0:1], 0, v26
	s_and_saveexec_b64 s[2:3], s[0:1]
; %bb.97:
	v_cmp_gt_f64_e64 s[0:1], v[22:23], v[24:25]
	v_cndmask_b32_e64 v23, v25, v23, s[0:1]
	v_cndmask_b32_e64 v22, v24, v22, s[0:1]
; %bb.98:
	s_or_b64 exec, exec, s[2:3]
	s_nop 0
	v_mov_b32_dpp v24, v22 row_bcast:31 row_mask:0xf bank_mask:0xf
	v_mov_b32_dpp v25, v23 row_bcast:31 row_mask:0xf bank_mask:0xf
	v_cmp_gt_f64_e64 s[0:1], v[22:23], v[24:25]
	v_cndmask_b32_e64 v24, v24, v22, s[0:1]
	v_cndmask_b32_e64 v25, v25, v23, s[0:1]
	v_cmp_lt_u32_e64 s[0:1], 31, v1
	v_cndmask_b32_e64 v22, v22, v24, s[0:1]
	v_or_b32_e32 v24, 63, v0
	v_cndmask_b32_e64 v23, v23, v25, s[0:1]
	v_lshrrev_b32_e32 v26, 6, v0
	v_cmp_eq_u32_e64 s[0:1], v24, v0
	s_and_saveexec_b64 s[2:3], s[0:1]
	s_cbranch_execz .LBB1836_100
; %bb.99:
	v_lshlrev_b32_e32 v24, 3, v26
	ds_write_b64 v24, v[22:23]
.LBB1836_100:
	s_or_b64 exec, exec, s[2:3]
	v_cmp_gt_u32_e64 s[0:1], 2, v0
	s_waitcnt lgkmcnt(0)
	s_barrier
	s_and_saveexec_b64 s[4:5], s[0:1]
	s_cbranch_execz .LBB1836_102
; %bb.101:
	s_movk_i32 s0, 0xffb8
	v_mad_i32_i24 v27, v0, s0, v44
	ds_read_b64 v[24:25], v27
	v_and_b32_e32 v28, 1, v1
	v_cmp_eq_u32_e64 s[0:1], 0, v28
	s_waitcnt lgkmcnt(0)
	v_mov_b32_dpp v30, v25 row_shr:1 row_mask:0xf bank_mask:0xf
	v_mov_b32_dpp v28, v24 row_shr:1 row_mask:0xf bank_mask:0xf
	v_mov_b32_e32 v29, v30
	v_cmp_gt_f64_e64 s[2:3], v[24:25], v[28:29]
	s_or_b64 s[0:1], s[0:1], s[2:3]
	v_cndmask_b32_e64 v25, v30, v25, s[0:1]
	v_cndmask_b32_e64 v24, v28, v24, s[0:1]
	ds_write_b64 v27, v[24:25]
.LBB1836_102:
	s_or_b64 exec, exec, s[4:5]
	v_cmp_lt_u32_e64 s[0:1], 63, v0
	s_waitcnt lgkmcnt(0)
	s_barrier
	s_waitcnt lgkmcnt(0)
                                        ; implicit-def: $vgpr24_vgpr25
	s_and_saveexec_b64 s[2:3], s[0:1]
	s_cbranch_execz .LBB1836_104
; %bb.103:
	v_lshl_add_u32 v24, v26, 3, -8
	ds_read_b64 v[24:25], v24
	s_waitcnt lgkmcnt(0)
	v_cmp_lt_f64_e64 s[0:1], v[24:25], v[22:23]
	v_cndmask_b32_e64 v23, v25, v23, s[0:1]
	v_cndmask_b32_e64 v22, v24, v22, s[0:1]
.LBB1836_104:
	s_or_b64 exec, exec, s[2:3]
	v_add_u32_e32 v26, -1, v1
	v_and_b32_e32 v27, 64, v1
	v_cmp_lt_i32_e64 s[0:1], v26, v27
	v_cndmask_b32_e64 v26, v26, v1, s[0:1]
	v_lshlrev_b32_e32 v26, 2, v26
	ds_bpermute_b32 v22, v26, v22
	ds_bpermute_b32 v23, v26, v23
	s_and_saveexec_b64 s[0:1], vcc
	s_cbranch_execz .LBB1836_106
; %bb.105:
	v_cmp_eq_u32_e32 vcc, 0, v1
	s_waitcnt lgkmcnt(0)
	v_cndmask_b32_e32 v23, v23, v25, vcc
	v_cndmask_b32_e32 v22, v22, v24, vcc
	v_cmp_gt_f64_e32 vcc, v[2:3], v[22:23]
	v_cndmask_b32_e32 v3, v23, v3, vcc
	v_cndmask_b32_e32 v2, v22, v2, vcc
	;;#ASMSTART
	;;#ASMEND
.LBB1836_106:
	s_or_b64 exec, exec, s[0:1]
	v_cmp_gt_f64_e32 vcc, v[4:5], v[2:3]
	v_cndmask_b32_e32 v25, v3, v5, vcc
	v_cndmask_b32_e32 v24, v2, v4, vcc
	v_cmp_lt_f64_e32 vcc, v[24:25], v[14:15]
	v_cndmask_b32_e32 v27, v25, v15, vcc
	v_cndmask_b32_e32 v26, v24, v14, vcc
	v_cmp_lt_f64_e32 vcc, v[26:27], v[16:17]
	;; [unrolled: 3-line block ×8, first 2 shown]
	s_movk_i32 s0, 0x7f
	v_cndmask_b32_e32 v41, v39, v21, vcc
	v_cndmask_b32_e32 v40, v38, v20, vcc
	v_cmp_eq_u32_e32 vcc, s0, v0
	s_and_saveexec_b64 s[0:1], vcc
	s_cbranch_execz .LBB1836_108
; %bb.107:
	s_add_u32 s2, s20, 0x400
	s_addc_u32 s3, s21, 0
	v_mov_b32_e32 v6, 2
	v_mov_b32_e32 v7, 0
	;; [unrolled: 1-line block ×4, first 2 shown]
	v_pk_mov_b32 v[8:9], s[2:3], s[2:3] op_sel:[0,1]
	;;#ASMSTART
	global_store_dwordx4 v[8:9], v[4:7] off	
s_waitcnt vmcnt(0)
	;;#ASMEND
.LBB1836_108:
	s_or_b64 exec, exec, s[0:1]
	s_waitcnt lgkmcnt(0)
	v_pk_mov_b32 v[22:23], v[2:3], v[2:3] op_sel:[0,1]
.LBB1836_109:
	s_add_u32 s0, s12, s16
	s_addc_u32 s1, s13, s17
	s_add_u32 s2, s0, s18
	s_addc_u32 s3, s1, s19
	s_mov_b64 s[0:1], -1
	s_and_b64 vcc, exec, s[14:15]
	s_waitcnt lgkmcnt(0)
	s_barrier
	s_cbranch_vccz .LBB1836_111
; %bb.110:
	ds_write_b128 v44, v[22:25]
	ds_write_b128 v44, v[26:29] offset:16
	ds_write_b128 v44, v[30:33] offset:32
	;; [unrolled: 1-line block ×4, first 2 shown]
	s_waitcnt lgkmcnt(0)
	s_barrier
	ds_read2st64_b64 v[2:5], v42 offset1:2
	ds_read2st64_b64 v[6:9], v42 offset0:4 offset1:6
	ds_read2st64_b64 v[10:13], v42 offset0:8 offset1:10
	;; [unrolled: 1-line block ×4, first 2 shown]
	v_mov_b32_e32 v1, s3
	v_add_co_u32_e32 v46, vcc, s2, v42
	v_addc_co_u32_e32 v47, vcc, 0, v1, vcc
	s_movk_i32 s0, 0x1000
	s_waitcnt lgkmcnt(4)
	flat_store_dwordx2 v[46:47], v[2:3]
	flat_store_dwordx2 v[46:47], v[4:5] offset:1024
	s_waitcnt lgkmcnt(0)
	flat_store_dwordx2 v[46:47], v[6:7] offset:2048
	flat_store_dwordx2 v[46:47], v[8:9] offset:3072
	v_add_co_u32_e32 v2, vcc, s0, v46
	v_addc_co_u32_e32 v3, vcc, 0, v47, vcc
	flat_store_dwordx2 v[2:3], v[10:11]
	flat_store_dwordx2 v[2:3], v[12:13] offset:1024
	flat_store_dwordx2 v[2:3], v[14:15] offset:2048
	;; [unrolled: 1-line block ×3, first 2 shown]
	v_add_co_u32_e32 v2, vcc, 0x2000, v46
	v_addc_co_u32_e32 v3, vcc, 0, v47, vcc
	flat_store_dwordx2 v[2:3], v[18:19]
	flat_store_dwordx2 v[2:3], v[20:21] offset:1024
	s_mov_b64 s[0:1], 0
.LBB1836_111:
	s_andn2_b64 vcc, exec, s[0:1]
	s_cbranch_vccnz .LBB1836_167
; %bb.112:
	s_movk_i32 s0, 0xffb8
	v_mad_i32_i24 v18, v0, s0, v44
	ds_write_b128 v44, v[22:25]
	ds_write_b128 v44, v[26:29] offset:16
	ds_write_b128 v44, v[30:33] offset:32
	;; [unrolled: 1-line block ×4, first 2 shown]
	s_waitcnt lgkmcnt(0)
	s_barrier
	ds_read2st64_b64 v[2:5], v18 offset1:2
	ds_read2st64_b64 v[10:13], v18 offset0:4 offset1:6
	ds_read2st64_b64 v[6:9], v18 offset0:8 offset1:10
	;; [unrolled: 1-line block ×4, first 2 shown]
	v_mov_b32_e32 v23, s3
	v_add_co_u32_e32 v22, vcc, s2, v42
	v_addc_co_u32_e32 v23, vcc, 0, v23, vcc
	v_mov_b32_e32 v1, 0
	v_cmp_gt_u32_e32 vcc, s22, v0
	s_and_saveexec_b64 s[0:1], vcc
	s_cbranch_execz .LBB1836_114
; %bb.113:
	s_waitcnt lgkmcnt(0)
	flat_store_dwordx2 v[22:23], v[2:3]
.LBB1836_114:
	s_or_b64 exec, exec, s[0:1]
	v_or_b32_e32 v24, 0x80, v0
	v_cmp_gt_u32_e32 vcc, s22, v24
	s_and_saveexec_b64 s[0:1], vcc
	s_cbranch_execz .LBB1836_116
; %bb.115:
	s_waitcnt lgkmcnt(0)
	flat_store_dwordx2 v[22:23], v[4:5] offset:1024
.LBB1836_116:
	s_or_b64 exec, exec, s[0:1]
	v_or_b32_e32 v24, 0x100, v0
	v_cmp_gt_u32_e32 vcc, s22, v24
	s_and_saveexec_b64 s[0:1], vcc
	s_cbranch_execz .LBB1836_118
; %bb.117:
	s_waitcnt lgkmcnt(0)
	flat_store_dwordx2 v[22:23], v[10:11] offset:2048
.LBB1836_118:
	;; [unrolled: 9-line block ×3, first 2 shown]
	s_or_b64 exec, exec, s[0:1]
	v_or_b32_e32 v24, 0x200, v0
	v_cmp_gt_u32_e32 vcc, s22, v24
	s_and_saveexec_b64 s[0:1], vcc
	s_cbranch_execz .LBB1836_122
; %bb.121:
	v_add_co_u32_e32 v24, vcc, 0x1000, v22
	v_addc_co_u32_e32 v25, vcc, 0, v23, vcc
	s_waitcnt lgkmcnt(0)
	flat_store_dwordx2 v[24:25], v[6:7]
.LBB1836_122:
	s_or_b64 exec, exec, s[0:1]
	v_or_b32_e32 v24, 0x280, v0
	v_cmp_gt_u32_e32 vcc, s22, v24
	s_and_saveexec_b64 s[0:1], vcc
	s_cbranch_execz .LBB1836_124
; %bb.123:
	v_add_co_u32_e32 v24, vcc, 0x1000, v22
	v_addc_co_u32_e32 v25, vcc, 0, v23, vcc
	s_waitcnt lgkmcnt(0)
	flat_store_dwordx2 v[24:25], v[8:9] offset:1024
.LBB1836_124:
	s_or_b64 exec, exec, s[0:1]
	v_or_b32_e32 v24, 0x300, v0
	v_cmp_gt_u32_e32 vcc, s22, v24
	s_and_saveexec_b64 s[0:1], vcc
	s_cbranch_execz .LBB1836_126
; %bb.125:
	v_add_co_u32_e32 v24, vcc, 0x1000, v22
	v_addc_co_u32_e32 v25, vcc, 0, v23, vcc
	s_waitcnt lgkmcnt(0)
	flat_store_dwordx2 v[24:25], v[14:15] offset:2048
.LBB1836_126:
	;; [unrolled: 11-line block ×3, first 2 shown]
	s_or_b64 exec, exec, s[0:1]
	v_or_b32_e32 v24, 0x400, v0
	v_cmp_gt_u32_e32 vcc, s22, v24
	s_and_saveexec_b64 s[0:1], vcc
	s_cbranch_execz .LBB1836_130
; %bb.129:
	v_add_co_u32_e32 v24, vcc, 0x2000, v22
	v_addc_co_u32_e32 v25, vcc, 0, v23, vcc
	s_waitcnt lgkmcnt(0)
	flat_store_dwordx2 v[24:25], v[18:19]
.LBB1836_130:
	s_or_b64 exec, exec, s[0:1]
	v_or_b32_e32 v24, 0x480, v0
	v_cmp_gt_u32_e32 vcc, s22, v24
	s_and_saveexec_b64 s[0:1], vcc
	s_cbranch_execz .LBB1836_132
; %bb.131:
	v_add_co_u32_e32 v22, vcc, 0x2000, v22
	v_addc_co_u32_e32 v23, vcc, 0, v23, vcc
	s_waitcnt lgkmcnt(0)
	flat_store_dwordx2 v[22:23], v[20:21] offset:1024
.LBB1836_132:
	s_or_b64 exec, exec, s[0:1]
	v_cmp_lt_u64_e64 s[0:1], s[10:11], 2
	s_and_b64 vcc, exec, s[0:1]
	s_cbranch_vccnz .LBB1836_167
; %bb.133:
	s_add_u32 s0, s22, -1
	s_addc_u32 s1, s23, -1
	s_add_u32 s2, 0, 0x99986000
	s_addc_u32 s3, 0, 0x59
	s_add_i32 s3, s3, 0x19999940
	s_mul_hi_u32 s9, s2, -10
	s_sub_i32 s9, s9, s2
	s_mul_i32 s10, s3, -10
	s_mul_i32 s4, s2, -10
	s_add_i32 s9, s9, s10
	s_mul_hi_u32 s5, s3, s4
	s_mul_i32 s8, s3, s4
	s_mul_i32 s11, s2, s9
	s_mul_hi_u32 s4, s2, s4
	s_mul_hi_u32 s10, s2, s9
	s_add_u32 s4, s4, s11
	s_addc_u32 s10, 0, s10
	s_add_u32 s4, s4, s8
	s_mul_hi_u32 s11, s3, s9
	s_addc_u32 s4, s10, s5
	s_addc_u32 s5, s11, 0
	s_mul_i32 s8, s3, s9
	s_add_u32 s4, s4, s8
	v_mov_b32_e32 v22, s4
	s_addc_u32 s5, 0, s5
	v_add_co_u32_e32 v22, vcc, s2, v22
	s_cmp_lg_u64 vcc, 0
	s_addc_u32 s2, s3, s5
	v_readfirstlane_b32 s5, v22
	s_mul_i32 s4, s0, s2
	s_mul_hi_u32 s8, s0, s5
	s_mul_hi_u32 s3, s0, s2
	s_add_u32 s4, s8, s4
	s_addc_u32 s3, 0, s3
	s_mul_hi_u32 s9, s1, s5
	s_mul_i32 s5, s1, s5
	s_add_u32 s4, s4, s5
	s_mul_hi_u32 s8, s1, s2
	s_addc_u32 s3, s3, s9
	s_addc_u32 s4, s8, 0
	s_mul_i32 s2, s1, s2
	s_add_u32 s2, s3, s2
	s_addc_u32 s3, 0, s4
	s_add_u32 s4, s2, 1
	s_addc_u32 s5, s3, 0
	s_add_u32 s8, s2, 2
	s_mul_i32 s10, s3, 10
	s_mul_hi_u32 s11, s2, 10
	s_addc_u32 s9, s3, 0
	s_add_i32 s11, s11, s10
	s_mul_i32 s10, s2, 10
	v_mov_b32_e32 v22, s10
	v_sub_co_u32_e32 v22, vcc, s0, v22
	s_cmp_lg_u64 vcc, 0
	s_subb_u32 s10, s1, s11
	v_subrev_co_u32_e32 v23, vcc, 10, v22
	s_cmp_lg_u64 vcc, 0
	s_subb_u32 s11, s10, 0
	v_readfirstlane_b32 s12, v23
	s_cmp_gt_u32 s12, 9
	s_cselect_b32 s12, -1, 0
	s_cmp_eq_u32 s11, 0
	s_cselect_b32 s11, s12, -1
	s_cmp_lg_u32 s11, 0
	s_cselect_b32 s4, s8, s4
	v_readfirstlane_b32 s8, v22
	s_cselect_b32 s5, s9, s5
	s_cmp_gt_u32 s8, 9
	s_cselect_b32 s8, -1, 0
	s_cmp_eq_u32 s10, 0
	s_cselect_b32 s8, s8, -1
	s_cmp_lg_u32 s8, 0
	s_cselect_b32 s3, s5, s3
	s_cselect_b32 s2, s4, s2
	v_cmp_eq_u64_e32 vcc, s[2:3], v[0:1]
	s_and_saveexec_b64 s[2:3], vcc
	s_cbranch_execz .LBB1836_167
; %bb.134:
	v_mul_hi_u32_u24_e32 v1, 10, v0
	v_mov_b32_e32 v22, s1
	v_sub_co_u32_e32 v0, vcc, s0, v43
	v_subb_co_u32_e32 v1, vcc, v22, v1, vcc
	v_cmp_lt_i64_e32 vcc, 4, v[0:1]
	s_and_saveexec_b64 s[0:1], vcc
	s_xor_b64 s[0:1], exec, s[0:1]
	s_cbranch_execz .LBB1836_152
; %bb.135:
	v_cmp_lt_i64_e32 vcc, 6, v[0:1]
	s_and_saveexec_b64 s[2:3], vcc
	s_xor_b64 s[2:3], exec, s[2:3]
	s_cbranch_execz .LBB1836_145
; %bb.136:
	;; [unrolled: 5-line block ×4, first 2 shown]
	v_mov_b32_e32 v0, 0
	s_waitcnt lgkmcnt(0)
	global_store_dwordx2 v0, v[20:21], s[6:7]
                                        ; implicit-def: $vgpr18_vgpr19_vgpr20_vgpr21
.LBB1836_139:
	s_andn2_saveexec_b64 s[8:9], s[8:9]
	s_cbranch_execz .LBB1836_141
; %bb.140:
	v_mov_b32_e32 v0, 0
	s_waitcnt lgkmcnt(0)
	global_store_dwordx2 v0, v[18:19], s[6:7]
.LBB1836_141:
	s_or_b64 exec, exec, s[8:9]
                                        ; implicit-def: $vgpr14_vgpr15_vgpr16_vgpr17
.LBB1836_142:
	s_andn2_saveexec_b64 s[4:5], s[4:5]
	s_cbranch_execz .LBB1836_144
; %bb.143:
	v_mov_b32_e32 v0, 0
	s_waitcnt lgkmcnt(0)
	global_store_dwordx2 v0, v[16:17], s[6:7]
.LBB1836_144:
	s_or_b64 exec, exec, s[4:5]
                                        ; implicit-def: $vgpr6_vgpr7_vgpr8_vgpr9
                                        ; implicit-def: $vgpr0_vgpr1
                                        ; implicit-def: $vgpr14_vgpr15_vgpr16_vgpr17
.LBB1836_145:
	s_andn2_saveexec_b64 s[2:3], s[2:3]
	s_cbranch_execz .LBB1836_151
; %bb.146:
	v_cmp_lt_i64_e32 vcc, 5, v[0:1]
	s_and_saveexec_b64 s[4:5], vcc
	s_xor_b64 s[4:5], exec, s[4:5]
	s_cbranch_execz .LBB1836_148
; %bb.147:
	v_mov_b32_e32 v0, 0
	s_waitcnt lgkmcnt(0)
	global_store_dwordx2 v0, v[14:15], s[6:7]
                                        ; implicit-def: $vgpr6_vgpr7_vgpr8_vgpr9
.LBB1836_148:
	s_andn2_saveexec_b64 s[4:5], s[4:5]
	s_cbranch_execz .LBB1836_150
; %bb.149:
	v_mov_b32_e32 v0, 0
	s_waitcnt lgkmcnt(0)
	global_store_dwordx2 v0, v[8:9], s[6:7]
.LBB1836_150:
	s_or_b64 exec, exec, s[4:5]
.LBB1836_151:
	s_or_b64 exec, exec, s[2:3]
                                        ; implicit-def: $vgpr0_vgpr1
                                        ; implicit-def: $vgpr10_vgpr11_vgpr12_vgpr13
                                        ; implicit-def: $vgpr2_vgpr3_vgpr4_vgpr5
                                        ; implicit-def: $vgpr6_vgpr7_vgpr8_vgpr9
.LBB1836_152:
	s_andn2_saveexec_b64 s[0:1], s[0:1]
	s_cbranch_execz .LBB1836_167
; %bb.153:
	v_cmp_lt_i64_e32 vcc, 2, v[0:1]
	s_and_saveexec_b64 s[0:1], vcc
	s_xor_b64 s[0:1], exec, s[0:1]
	s_cbranch_execz .LBB1836_159
; %bb.154:
	v_cmp_lt_i64_e32 vcc, 3, v[0:1]
	s_and_saveexec_b64 s[2:3], vcc
	s_xor_b64 s[2:3], exec, s[2:3]
	s_cbranch_execz .LBB1836_156
; %bb.155:
	v_mov_b32_e32 v0, 0
	s_waitcnt lgkmcnt(0)
	global_store_dwordx2 v0, v[6:7], s[6:7]
                                        ; implicit-def: $vgpr10_vgpr11_vgpr12_vgpr13
.LBB1836_156:
	s_andn2_saveexec_b64 s[2:3], s[2:3]
	s_cbranch_execz .LBB1836_158
; %bb.157:
	v_mov_b32_e32 v0, 0
	s_waitcnt lgkmcnt(0)
	global_store_dwordx2 v0, v[12:13], s[6:7]
.LBB1836_158:
	s_or_b64 exec, exec, s[2:3]
                                        ; implicit-def: $vgpr0_vgpr1
                                        ; implicit-def: $vgpr10_vgpr11_vgpr12_vgpr13
                                        ; implicit-def: $vgpr2_vgpr3_vgpr4_vgpr5
.LBB1836_159:
	s_andn2_saveexec_b64 s[0:1], s[0:1]
	s_cbranch_execz .LBB1836_167
; %bb.160:
	v_cmp_lt_i64_e32 vcc, 1, v[0:1]
	s_and_saveexec_b64 s[0:1], vcc
	s_xor_b64 s[0:1], exec, s[0:1]
	s_cbranch_execz .LBB1836_162
; %bb.161:
	v_mov_b32_e32 v0, 0
	s_waitcnt lgkmcnt(0)
	global_store_dwordx2 v0, v[10:11], s[6:7]
                                        ; implicit-def: $vgpr2_vgpr3_vgpr4_vgpr5
                                        ; implicit-def: $vgpr0_vgpr1
.LBB1836_162:
	s_andn2_saveexec_b64 s[0:1], s[0:1]
	s_cbranch_execz .LBB1836_167
; %bb.163:
	v_cmp_ne_u64_e32 vcc, 1, v[0:1]
	s_and_saveexec_b64 s[0:1], vcc
	s_xor_b64 s[0:1], exec, s[0:1]
	s_cbranch_execz .LBB1836_165
; %bb.164:
	v_mov_b32_e32 v0, 0
	s_waitcnt lgkmcnt(0)
	global_store_dwordx2 v0, v[2:3], s[6:7]
                                        ; implicit-def: $vgpr2_vgpr3_vgpr4_vgpr5
.LBB1836_165:
	s_andn2_saveexec_b64 s[0:1], s[0:1]
	s_cbranch_execz .LBB1836_167
; %bb.166:
	v_mov_b32_e32 v0, 0
	s_waitcnt lgkmcnt(0)
	global_store_dwordx2 v0, v[4:5], s[6:7]
.LBB1836_167:
	s_endpgm
	.section	.rodata,"a",@progbits
	.p2align	6, 0x0
	.amdhsa_kernel _ZN7rocprim17ROCPRIM_400000_NS6detail17trampoline_kernelINS0_14default_configENS1_20scan_config_selectorIdEEZZNS1_9scan_implILNS1_25lookback_scan_determinismE0ELb0ELb0ES3_N6thrust23THRUST_200600_302600_NS6detail15normal_iteratorINS9_10device_ptrIdEEEESE_d11max_functorIdEdEEDaPvRmT3_T4_T5_mT6_P12ihipStream_tbENKUlT_T0_E_clISt17integral_constantIbLb1EEST_IbLb0EEEEDaSP_SQ_EUlSP_E_NS1_11comp_targetILNS1_3genE4ELNS1_11target_archE910ELNS1_3gpuE8ELNS1_3repE0EEENS1_30default_config_static_selectorELNS0_4arch9wavefront6targetE1EEEvT1_
		.amdhsa_group_segment_fixed_size 10240
		.amdhsa_private_segment_fixed_size 0
		.amdhsa_kernarg_size 104
		.amdhsa_user_sgpr_count 6
		.amdhsa_user_sgpr_private_segment_buffer 1
		.amdhsa_user_sgpr_dispatch_ptr 0
		.amdhsa_user_sgpr_queue_ptr 0
		.amdhsa_user_sgpr_kernarg_segment_ptr 1
		.amdhsa_user_sgpr_dispatch_id 0
		.amdhsa_user_sgpr_flat_scratch_init 0
		.amdhsa_user_sgpr_kernarg_preload_length 0
		.amdhsa_user_sgpr_kernarg_preload_offset 0
		.amdhsa_user_sgpr_private_segment_size 0
		.amdhsa_uses_dynamic_stack 0
		.amdhsa_system_sgpr_private_segment_wavefront_offset 0
		.amdhsa_system_sgpr_workgroup_id_x 1
		.amdhsa_system_sgpr_workgroup_id_y 0
		.amdhsa_system_sgpr_workgroup_id_z 0
		.amdhsa_system_sgpr_workgroup_info 0
		.amdhsa_system_vgpr_workitem_id 0
		.amdhsa_next_free_vgpr 58
		.amdhsa_next_free_sgpr 26
		.amdhsa_accum_offset 60
		.amdhsa_reserve_vcc 1
		.amdhsa_reserve_flat_scratch 0
		.amdhsa_float_round_mode_32 0
		.amdhsa_float_round_mode_16_64 0
		.amdhsa_float_denorm_mode_32 3
		.amdhsa_float_denorm_mode_16_64 3
		.amdhsa_dx10_clamp 1
		.amdhsa_ieee_mode 1
		.amdhsa_fp16_overflow 0
		.amdhsa_tg_split 0
		.amdhsa_exception_fp_ieee_invalid_op 0
		.amdhsa_exception_fp_denorm_src 0
		.amdhsa_exception_fp_ieee_div_zero 0
		.amdhsa_exception_fp_ieee_overflow 0
		.amdhsa_exception_fp_ieee_underflow 0
		.amdhsa_exception_fp_ieee_inexact 0
		.amdhsa_exception_int_div_zero 0
	.end_amdhsa_kernel
	.section	.text._ZN7rocprim17ROCPRIM_400000_NS6detail17trampoline_kernelINS0_14default_configENS1_20scan_config_selectorIdEEZZNS1_9scan_implILNS1_25lookback_scan_determinismE0ELb0ELb0ES3_N6thrust23THRUST_200600_302600_NS6detail15normal_iteratorINS9_10device_ptrIdEEEESE_d11max_functorIdEdEEDaPvRmT3_T4_T5_mT6_P12ihipStream_tbENKUlT_T0_E_clISt17integral_constantIbLb1EEST_IbLb0EEEEDaSP_SQ_EUlSP_E_NS1_11comp_targetILNS1_3genE4ELNS1_11target_archE910ELNS1_3gpuE8ELNS1_3repE0EEENS1_30default_config_static_selectorELNS0_4arch9wavefront6targetE1EEEvT1_,"axG",@progbits,_ZN7rocprim17ROCPRIM_400000_NS6detail17trampoline_kernelINS0_14default_configENS1_20scan_config_selectorIdEEZZNS1_9scan_implILNS1_25lookback_scan_determinismE0ELb0ELb0ES3_N6thrust23THRUST_200600_302600_NS6detail15normal_iteratorINS9_10device_ptrIdEEEESE_d11max_functorIdEdEEDaPvRmT3_T4_T5_mT6_P12ihipStream_tbENKUlT_T0_E_clISt17integral_constantIbLb1EEST_IbLb0EEEEDaSP_SQ_EUlSP_E_NS1_11comp_targetILNS1_3genE4ELNS1_11target_archE910ELNS1_3gpuE8ELNS1_3repE0EEENS1_30default_config_static_selectorELNS0_4arch9wavefront6targetE1EEEvT1_,comdat
.Lfunc_end1836:
	.size	_ZN7rocprim17ROCPRIM_400000_NS6detail17trampoline_kernelINS0_14default_configENS1_20scan_config_selectorIdEEZZNS1_9scan_implILNS1_25lookback_scan_determinismE0ELb0ELb0ES3_N6thrust23THRUST_200600_302600_NS6detail15normal_iteratorINS9_10device_ptrIdEEEESE_d11max_functorIdEdEEDaPvRmT3_T4_T5_mT6_P12ihipStream_tbENKUlT_T0_E_clISt17integral_constantIbLb1EEST_IbLb0EEEEDaSP_SQ_EUlSP_E_NS1_11comp_targetILNS1_3genE4ELNS1_11target_archE910ELNS1_3gpuE8ELNS1_3repE0EEENS1_30default_config_static_selectorELNS0_4arch9wavefront6targetE1EEEvT1_, .Lfunc_end1836-_ZN7rocprim17ROCPRIM_400000_NS6detail17trampoline_kernelINS0_14default_configENS1_20scan_config_selectorIdEEZZNS1_9scan_implILNS1_25lookback_scan_determinismE0ELb0ELb0ES3_N6thrust23THRUST_200600_302600_NS6detail15normal_iteratorINS9_10device_ptrIdEEEESE_d11max_functorIdEdEEDaPvRmT3_T4_T5_mT6_P12ihipStream_tbENKUlT_T0_E_clISt17integral_constantIbLb1EEST_IbLb0EEEEDaSP_SQ_EUlSP_E_NS1_11comp_targetILNS1_3genE4ELNS1_11target_archE910ELNS1_3gpuE8ELNS1_3repE0EEENS1_30default_config_static_selectorELNS0_4arch9wavefront6targetE1EEEvT1_
                                        ; -- End function
	.section	.AMDGPU.csdata,"",@progbits
; Kernel info:
; codeLenInByte = 6468
; NumSgprs: 30
; NumVgprs: 58
; NumAgprs: 0
; TotalNumVgprs: 58
; ScratchSize: 0
; MemoryBound: 0
; FloatMode: 240
; IeeeMode: 1
; LDSByteSize: 10240 bytes/workgroup (compile time only)
; SGPRBlocks: 3
; VGPRBlocks: 7
; NumSGPRsForWavesPerEU: 30
; NumVGPRsForWavesPerEU: 58
; AccumOffset: 60
; Occupancy: 3
; WaveLimiterHint : 1
; COMPUTE_PGM_RSRC2:SCRATCH_EN: 0
; COMPUTE_PGM_RSRC2:USER_SGPR: 6
; COMPUTE_PGM_RSRC2:TRAP_HANDLER: 0
; COMPUTE_PGM_RSRC2:TGID_X_EN: 1
; COMPUTE_PGM_RSRC2:TGID_Y_EN: 0
; COMPUTE_PGM_RSRC2:TGID_Z_EN: 0
; COMPUTE_PGM_RSRC2:TIDIG_COMP_CNT: 0
; COMPUTE_PGM_RSRC3_GFX90A:ACCUM_OFFSET: 14
; COMPUTE_PGM_RSRC3_GFX90A:TG_SPLIT: 0
	.section	.text._ZN7rocprim17ROCPRIM_400000_NS6detail17trampoline_kernelINS0_14default_configENS1_20scan_config_selectorIdEEZZNS1_9scan_implILNS1_25lookback_scan_determinismE0ELb0ELb0ES3_N6thrust23THRUST_200600_302600_NS6detail15normal_iteratorINS9_10device_ptrIdEEEESE_d11max_functorIdEdEEDaPvRmT3_T4_T5_mT6_P12ihipStream_tbENKUlT_T0_E_clISt17integral_constantIbLb1EEST_IbLb0EEEEDaSP_SQ_EUlSP_E_NS1_11comp_targetILNS1_3genE3ELNS1_11target_archE908ELNS1_3gpuE7ELNS1_3repE0EEENS1_30default_config_static_selectorELNS0_4arch9wavefront6targetE1EEEvT1_,"axG",@progbits,_ZN7rocprim17ROCPRIM_400000_NS6detail17trampoline_kernelINS0_14default_configENS1_20scan_config_selectorIdEEZZNS1_9scan_implILNS1_25lookback_scan_determinismE0ELb0ELb0ES3_N6thrust23THRUST_200600_302600_NS6detail15normal_iteratorINS9_10device_ptrIdEEEESE_d11max_functorIdEdEEDaPvRmT3_T4_T5_mT6_P12ihipStream_tbENKUlT_T0_E_clISt17integral_constantIbLb1EEST_IbLb0EEEEDaSP_SQ_EUlSP_E_NS1_11comp_targetILNS1_3genE3ELNS1_11target_archE908ELNS1_3gpuE7ELNS1_3repE0EEENS1_30default_config_static_selectorELNS0_4arch9wavefront6targetE1EEEvT1_,comdat
	.protected	_ZN7rocprim17ROCPRIM_400000_NS6detail17trampoline_kernelINS0_14default_configENS1_20scan_config_selectorIdEEZZNS1_9scan_implILNS1_25lookback_scan_determinismE0ELb0ELb0ES3_N6thrust23THRUST_200600_302600_NS6detail15normal_iteratorINS9_10device_ptrIdEEEESE_d11max_functorIdEdEEDaPvRmT3_T4_T5_mT6_P12ihipStream_tbENKUlT_T0_E_clISt17integral_constantIbLb1EEST_IbLb0EEEEDaSP_SQ_EUlSP_E_NS1_11comp_targetILNS1_3genE3ELNS1_11target_archE908ELNS1_3gpuE7ELNS1_3repE0EEENS1_30default_config_static_selectorELNS0_4arch9wavefront6targetE1EEEvT1_ ; -- Begin function _ZN7rocprim17ROCPRIM_400000_NS6detail17trampoline_kernelINS0_14default_configENS1_20scan_config_selectorIdEEZZNS1_9scan_implILNS1_25lookback_scan_determinismE0ELb0ELb0ES3_N6thrust23THRUST_200600_302600_NS6detail15normal_iteratorINS9_10device_ptrIdEEEESE_d11max_functorIdEdEEDaPvRmT3_T4_T5_mT6_P12ihipStream_tbENKUlT_T0_E_clISt17integral_constantIbLb1EEST_IbLb0EEEEDaSP_SQ_EUlSP_E_NS1_11comp_targetILNS1_3genE3ELNS1_11target_archE908ELNS1_3gpuE7ELNS1_3repE0EEENS1_30default_config_static_selectorELNS0_4arch9wavefront6targetE1EEEvT1_
	.globl	_ZN7rocprim17ROCPRIM_400000_NS6detail17trampoline_kernelINS0_14default_configENS1_20scan_config_selectorIdEEZZNS1_9scan_implILNS1_25lookback_scan_determinismE0ELb0ELb0ES3_N6thrust23THRUST_200600_302600_NS6detail15normal_iteratorINS9_10device_ptrIdEEEESE_d11max_functorIdEdEEDaPvRmT3_T4_T5_mT6_P12ihipStream_tbENKUlT_T0_E_clISt17integral_constantIbLb1EEST_IbLb0EEEEDaSP_SQ_EUlSP_E_NS1_11comp_targetILNS1_3genE3ELNS1_11target_archE908ELNS1_3gpuE7ELNS1_3repE0EEENS1_30default_config_static_selectorELNS0_4arch9wavefront6targetE1EEEvT1_
	.p2align	8
	.type	_ZN7rocprim17ROCPRIM_400000_NS6detail17trampoline_kernelINS0_14default_configENS1_20scan_config_selectorIdEEZZNS1_9scan_implILNS1_25lookback_scan_determinismE0ELb0ELb0ES3_N6thrust23THRUST_200600_302600_NS6detail15normal_iteratorINS9_10device_ptrIdEEEESE_d11max_functorIdEdEEDaPvRmT3_T4_T5_mT6_P12ihipStream_tbENKUlT_T0_E_clISt17integral_constantIbLb1EEST_IbLb0EEEEDaSP_SQ_EUlSP_E_NS1_11comp_targetILNS1_3genE3ELNS1_11target_archE908ELNS1_3gpuE7ELNS1_3repE0EEENS1_30default_config_static_selectorELNS0_4arch9wavefront6targetE1EEEvT1_,@function
_ZN7rocprim17ROCPRIM_400000_NS6detail17trampoline_kernelINS0_14default_configENS1_20scan_config_selectorIdEEZZNS1_9scan_implILNS1_25lookback_scan_determinismE0ELb0ELb0ES3_N6thrust23THRUST_200600_302600_NS6detail15normal_iteratorINS9_10device_ptrIdEEEESE_d11max_functorIdEdEEDaPvRmT3_T4_T5_mT6_P12ihipStream_tbENKUlT_T0_E_clISt17integral_constantIbLb1EEST_IbLb0EEEEDaSP_SQ_EUlSP_E_NS1_11comp_targetILNS1_3genE3ELNS1_11target_archE908ELNS1_3gpuE7ELNS1_3repE0EEENS1_30default_config_static_selectorELNS0_4arch9wavefront6targetE1EEEvT1_: ; @_ZN7rocprim17ROCPRIM_400000_NS6detail17trampoline_kernelINS0_14default_configENS1_20scan_config_selectorIdEEZZNS1_9scan_implILNS1_25lookback_scan_determinismE0ELb0ELb0ES3_N6thrust23THRUST_200600_302600_NS6detail15normal_iteratorINS9_10device_ptrIdEEEESE_d11max_functorIdEdEEDaPvRmT3_T4_T5_mT6_P12ihipStream_tbENKUlT_T0_E_clISt17integral_constantIbLb1EEST_IbLb0EEEEDaSP_SQ_EUlSP_E_NS1_11comp_targetILNS1_3genE3ELNS1_11target_archE908ELNS1_3gpuE7ELNS1_3repE0EEENS1_30default_config_static_selectorELNS0_4arch9wavefront6targetE1EEEvT1_
; %bb.0:
	.section	.rodata,"a",@progbits
	.p2align	6, 0x0
	.amdhsa_kernel _ZN7rocprim17ROCPRIM_400000_NS6detail17trampoline_kernelINS0_14default_configENS1_20scan_config_selectorIdEEZZNS1_9scan_implILNS1_25lookback_scan_determinismE0ELb0ELb0ES3_N6thrust23THRUST_200600_302600_NS6detail15normal_iteratorINS9_10device_ptrIdEEEESE_d11max_functorIdEdEEDaPvRmT3_T4_T5_mT6_P12ihipStream_tbENKUlT_T0_E_clISt17integral_constantIbLb1EEST_IbLb0EEEEDaSP_SQ_EUlSP_E_NS1_11comp_targetILNS1_3genE3ELNS1_11target_archE908ELNS1_3gpuE7ELNS1_3repE0EEENS1_30default_config_static_selectorELNS0_4arch9wavefront6targetE1EEEvT1_
		.amdhsa_group_segment_fixed_size 0
		.amdhsa_private_segment_fixed_size 0
		.amdhsa_kernarg_size 104
		.amdhsa_user_sgpr_count 6
		.amdhsa_user_sgpr_private_segment_buffer 1
		.amdhsa_user_sgpr_dispatch_ptr 0
		.amdhsa_user_sgpr_queue_ptr 0
		.amdhsa_user_sgpr_kernarg_segment_ptr 1
		.amdhsa_user_sgpr_dispatch_id 0
		.amdhsa_user_sgpr_flat_scratch_init 0
		.amdhsa_user_sgpr_kernarg_preload_length 0
		.amdhsa_user_sgpr_kernarg_preload_offset 0
		.amdhsa_user_sgpr_private_segment_size 0
		.amdhsa_uses_dynamic_stack 0
		.amdhsa_system_sgpr_private_segment_wavefront_offset 0
		.amdhsa_system_sgpr_workgroup_id_x 1
		.amdhsa_system_sgpr_workgroup_id_y 0
		.amdhsa_system_sgpr_workgroup_id_z 0
		.amdhsa_system_sgpr_workgroup_info 0
		.amdhsa_system_vgpr_workitem_id 0
		.amdhsa_next_free_vgpr 1
		.amdhsa_next_free_sgpr 0
		.amdhsa_accum_offset 4
		.amdhsa_reserve_vcc 0
		.amdhsa_reserve_flat_scratch 0
		.amdhsa_float_round_mode_32 0
		.amdhsa_float_round_mode_16_64 0
		.amdhsa_float_denorm_mode_32 3
		.amdhsa_float_denorm_mode_16_64 3
		.amdhsa_dx10_clamp 1
		.amdhsa_ieee_mode 1
		.amdhsa_fp16_overflow 0
		.amdhsa_tg_split 0
		.amdhsa_exception_fp_ieee_invalid_op 0
		.amdhsa_exception_fp_denorm_src 0
		.amdhsa_exception_fp_ieee_div_zero 0
		.amdhsa_exception_fp_ieee_overflow 0
		.amdhsa_exception_fp_ieee_underflow 0
		.amdhsa_exception_fp_ieee_inexact 0
		.amdhsa_exception_int_div_zero 0
	.end_amdhsa_kernel
	.section	.text._ZN7rocprim17ROCPRIM_400000_NS6detail17trampoline_kernelINS0_14default_configENS1_20scan_config_selectorIdEEZZNS1_9scan_implILNS1_25lookback_scan_determinismE0ELb0ELb0ES3_N6thrust23THRUST_200600_302600_NS6detail15normal_iteratorINS9_10device_ptrIdEEEESE_d11max_functorIdEdEEDaPvRmT3_T4_T5_mT6_P12ihipStream_tbENKUlT_T0_E_clISt17integral_constantIbLb1EEST_IbLb0EEEEDaSP_SQ_EUlSP_E_NS1_11comp_targetILNS1_3genE3ELNS1_11target_archE908ELNS1_3gpuE7ELNS1_3repE0EEENS1_30default_config_static_selectorELNS0_4arch9wavefront6targetE1EEEvT1_,"axG",@progbits,_ZN7rocprim17ROCPRIM_400000_NS6detail17trampoline_kernelINS0_14default_configENS1_20scan_config_selectorIdEEZZNS1_9scan_implILNS1_25lookback_scan_determinismE0ELb0ELb0ES3_N6thrust23THRUST_200600_302600_NS6detail15normal_iteratorINS9_10device_ptrIdEEEESE_d11max_functorIdEdEEDaPvRmT3_T4_T5_mT6_P12ihipStream_tbENKUlT_T0_E_clISt17integral_constantIbLb1EEST_IbLb0EEEEDaSP_SQ_EUlSP_E_NS1_11comp_targetILNS1_3genE3ELNS1_11target_archE908ELNS1_3gpuE7ELNS1_3repE0EEENS1_30default_config_static_selectorELNS0_4arch9wavefront6targetE1EEEvT1_,comdat
.Lfunc_end1837:
	.size	_ZN7rocprim17ROCPRIM_400000_NS6detail17trampoline_kernelINS0_14default_configENS1_20scan_config_selectorIdEEZZNS1_9scan_implILNS1_25lookback_scan_determinismE0ELb0ELb0ES3_N6thrust23THRUST_200600_302600_NS6detail15normal_iteratorINS9_10device_ptrIdEEEESE_d11max_functorIdEdEEDaPvRmT3_T4_T5_mT6_P12ihipStream_tbENKUlT_T0_E_clISt17integral_constantIbLb1EEST_IbLb0EEEEDaSP_SQ_EUlSP_E_NS1_11comp_targetILNS1_3genE3ELNS1_11target_archE908ELNS1_3gpuE7ELNS1_3repE0EEENS1_30default_config_static_selectorELNS0_4arch9wavefront6targetE1EEEvT1_, .Lfunc_end1837-_ZN7rocprim17ROCPRIM_400000_NS6detail17trampoline_kernelINS0_14default_configENS1_20scan_config_selectorIdEEZZNS1_9scan_implILNS1_25lookback_scan_determinismE0ELb0ELb0ES3_N6thrust23THRUST_200600_302600_NS6detail15normal_iteratorINS9_10device_ptrIdEEEESE_d11max_functorIdEdEEDaPvRmT3_T4_T5_mT6_P12ihipStream_tbENKUlT_T0_E_clISt17integral_constantIbLb1EEST_IbLb0EEEEDaSP_SQ_EUlSP_E_NS1_11comp_targetILNS1_3genE3ELNS1_11target_archE908ELNS1_3gpuE7ELNS1_3repE0EEENS1_30default_config_static_selectorELNS0_4arch9wavefront6targetE1EEEvT1_
                                        ; -- End function
	.section	.AMDGPU.csdata,"",@progbits
; Kernel info:
; codeLenInByte = 0
; NumSgprs: 4
; NumVgprs: 0
; NumAgprs: 0
; TotalNumVgprs: 0
; ScratchSize: 0
; MemoryBound: 0
; FloatMode: 240
; IeeeMode: 1
; LDSByteSize: 0 bytes/workgroup (compile time only)
; SGPRBlocks: 0
; VGPRBlocks: 0
; NumSGPRsForWavesPerEU: 4
; NumVGPRsForWavesPerEU: 1
; AccumOffset: 4
; Occupancy: 8
; WaveLimiterHint : 0
; COMPUTE_PGM_RSRC2:SCRATCH_EN: 0
; COMPUTE_PGM_RSRC2:USER_SGPR: 6
; COMPUTE_PGM_RSRC2:TRAP_HANDLER: 0
; COMPUTE_PGM_RSRC2:TGID_X_EN: 1
; COMPUTE_PGM_RSRC2:TGID_Y_EN: 0
; COMPUTE_PGM_RSRC2:TGID_Z_EN: 0
; COMPUTE_PGM_RSRC2:TIDIG_COMP_CNT: 0
; COMPUTE_PGM_RSRC3_GFX90A:ACCUM_OFFSET: 0
; COMPUTE_PGM_RSRC3_GFX90A:TG_SPLIT: 0
	.section	.text._ZN7rocprim17ROCPRIM_400000_NS6detail17trampoline_kernelINS0_14default_configENS1_20scan_config_selectorIdEEZZNS1_9scan_implILNS1_25lookback_scan_determinismE0ELb0ELb0ES3_N6thrust23THRUST_200600_302600_NS6detail15normal_iteratorINS9_10device_ptrIdEEEESE_d11max_functorIdEdEEDaPvRmT3_T4_T5_mT6_P12ihipStream_tbENKUlT_T0_E_clISt17integral_constantIbLb1EEST_IbLb0EEEEDaSP_SQ_EUlSP_E_NS1_11comp_targetILNS1_3genE2ELNS1_11target_archE906ELNS1_3gpuE6ELNS1_3repE0EEENS1_30default_config_static_selectorELNS0_4arch9wavefront6targetE1EEEvT1_,"axG",@progbits,_ZN7rocprim17ROCPRIM_400000_NS6detail17trampoline_kernelINS0_14default_configENS1_20scan_config_selectorIdEEZZNS1_9scan_implILNS1_25lookback_scan_determinismE0ELb0ELb0ES3_N6thrust23THRUST_200600_302600_NS6detail15normal_iteratorINS9_10device_ptrIdEEEESE_d11max_functorIdEdEEDaPvRmT3_T4_T5_mT6_P12ihipStream_tbENKUlT_T0_E_clISt17integral_constantIbLb1EEST_IbLb0EEEEDaSP_SQ_EUlSP_E_NS1_11comp_targetILNS1_3genE2ELNS1_11target_archE906ELNS1_3gpuE6ELNS1_3repE0EEENS1_30default_config_static_selectorELNS0_4arch9wavefront6targetE1EEEvT1_,comdat
	.protected	_ZN7rocprim17ROCPRIM_400000_NS6detail17trampoline_kernelINS0_14default_configENS1_20scan_config_selectorIdEEZZNS1_9scan_implILNS1_25lookback_scan_determinismE0ELb0ELb0ES3_N6thrust23THRUST_200600_302600_NS6detail15normal_iteratorINS9_10device_ptrIdEEEESE_d11max_functorIdEdEEDaPvRmT3_T4_T5_mT6_P12ihipStream_tbENKUlT_T0_E_clISt17integral_constantIbLb1EEST_IbLb0EEEEDaSP_SQ_EUlSP_E_NS1_11comp_targetILNS1_3genE2ELNS1_11target_archE906ELNS1_3gpuE6ELNS1_3repE0EEENS1_30default_config_static_selectorELNS0_4arch9wavefront6targetE1EEEvT1_ ; -- Begin function _ZN7rocprim17ROCPRIM_400000_NS6detail17trampoline_kernelINS0_14default_configENS1_20scan_config_selectorIdEEZZNS1_9scan_implILNS1_25lookback_scan_determinismE0ELb0ELb0ES3_N6thrust23THRUST_200600_302600_NS6detail15normal_iteratorINS9_10device_ptrIdEEEESE_d11max_functorIdEdEEDaPvRmT3_T4_T5_mT6_P12ihipStream_tbENKUlT_T0_E_clISt17integral_constantIbLb1EEST_IbLb0EEEEDaSP_SQ_EUlSP_E_NS1_11comp_targetILNS1_3genE2ELNS1_11target_archE906ELNS1_3gpuE6ELNS1_3repE0EEENS1_30default_config_static_selectorELNS0_4arch9wavefront6targetE1EEEvT1_
	.globl	_ZN7rocprim17ROCPRIM_400000_NS6detail17trampoline_kernelINS0_14default_configENS1_20scan_config_selectorIdEEZZNS1_9scan_implILNS1_25lookback_scan_determinismE0ELb0ELb0ES3_N6thrust23THRUST_200600_302600_NS6detail15normal_iteratorINS9_10device_ptrIdEEEESE_d11max_functorIdEdEEDaPvRmT3_T4_T5_mT6_P12ihipStream_tbENKUlT_T0_E_clISt17integral_constantIbLb1EEST_IbLb0EEEEDaSP_SQ_EUlSP_E_NS1_11comp_targetILNS1_3genE2ELNS1_11target_archE906ELNS1_3gpuE6ELNS1_3repE0EEENS1_30default_config_static_selectorELNS0_4arch9wavefront6targetE1EEEvT1_
	.p2align	8
	.type	_ZN7rocprim17ROCPRIM_400000_NS6detail17trampoline_kernelINS0_14default_configENS1_20scan_config_selectorIdEEZZNS1_9scan_implILNS1_25lookback_scan_determinismE0ELb0ELb0ES3_N6thrust23THRUST_200600_302600_NS6detail15normal_iteratorINS9_10device_ptrIdEEEESE_d11max_functorIdEdEEDaPvRmT3_T4_T5_mT6_P12ihipStream_tbENKUlT_T0_E_clISt17integral_constantIbLb1EEST_IbLb0EEEEDaSP_SQ_EUlSP_E_NS1_11comp_targetILNS1_3genE2ELNS1_11target_archE906ELNS1_3gpuE6ELNS1_3repE0EEENS1_30default_config_static_selectorELNS0_4arch9wavefront6targetE1EEEvT1_,@function
_ZN7rocprim17ROCPRIM_400000_NS6detail17trampoline_kernelINS0_14default_configENS1_20scan_config_selectorIdEEZZNS1_9scan_implILNS1_25lookback_scan_determinismE0ELb0ELb0ES3_N6thrust23THRUST_200600_302600_NS6detail15normal_iteratorINS9_10device_ptrIdEEEESE_d11max_functorIdEdEEDaPvRmT3_T4_T5_mT6_P12ihipStream_tbENKUlT_T0_E_clISt17integral_constantIbLb1EEST_IbLb0EEEEDaSP_SQ_EUlSP_E_NS1_11comp_targetILNS1_3genE2ELNS1_11target_archE906ELNS1_3gpuE6ELNS1_3repE0EEENS1_30default_config_static_selectorELNS0_4arch9wavefront6targetE1EEEvT1_: ; @_ZN7rocprim17ROCPRIM_400000_NS6detail17trampoline_kernelINS0_14default_configENS1_20scan_config_selectorIdEEZZNS1_9scan_implILNS1_25lookback_scan_determinismE0ELb0ELb0ES3_N6thrust23THRUST_200600_302600_NS6detail15normal_iteratorINS9_10device_ptrIdEEEESE_d11max_functorIdEdEEDaPvRmT3_T4_T5_mT6_P12ihipStream_tbENKUlT_T0_E_clISt17integral_constantIbLb1EEST_IbLb0EEEEDaSP_SQ_EUlSP_E_NS1_11comp_targetILNS1_3genE2ELNS1_11target_archE906ELNS1_3gpuE6ELNS1_3repE0EEENS1_30default_config_static_selectorELNS0_4arch9wavefront6targetE1EEEvT1_
; %bb.0:
	.section	.rodata,"a",@progbits
	.p2align	6, 0x0
	.amdhsa_kernel _ZN7rocprim17ROCPRIM_400000_NS6detail17trampoline_kernelINS0_14default_configENS1_20scan_config_selectorIdEEZZNS1_9scan_implILNS1_25lookback_scan_determinismE0ELb0ELb0ES3_N6thrust23THRUST_200600_302600_NS6detail15normal_iteratorINS9_10device_ptrIdEEEESE_d11max_functorIdEdEEDaPvRmT3_T4_T5_mT6_P12ihipStream_tbENKUlT_T0_E_clISt17integral_constantIbLb1EEST_IbLb0EEEEDaSP_SQ_EUlSP_E_NS1_11comp_targetILNS1_3genE2ELNS1_11target_archE906ELNS1_3gpuE6ELNS1_3repE0EEENS1_30default_config_static_selectorELNS0_4arch9wavefront6targetE1EEEvT1_
		.amdhsa_group_segment_fixed_size 0
		.amdhsa_private_segment_fixed_size 0
		.amdhsa_kernarg_size 104
		.amdhsa_user_sgpr_count 6
		.amdhsa_user_sgpr_private_segment_buffer 1
		.amdhsa_user_sgpr_dispatch_ptr 0
		.amdhsa_user_sgpr_queue_ptr 0
		.amdhsa_user_sgpr_kernarg_segment_ptr 1
		.amdhsa_user_sgpr_dispatch_id 0
		.amdhsa_user_sgpr_flat_scratch_init 0
		.amdhsa_user_sgpr_kernarg_preload_length 0
		.amdhsa_user_sgpr_kernarg_preload_offset 0
		.amdhsa_user_sgpr_private_segment_size 0
		.amdhsa_uses_dynamic_stack 0
		.amdhsa_system_sgpr_private_segment_wavefront_offset 0
		.amdhsa_system_sgpr_workgroup_id_x 1
		.amdhsa_system_sgpr_workgroup_id_y 0
		.amdhsa_system_sgpr_workgroup_id_z 0
		.amdhsa_system_sgpr_workgroup_info 0
		.amdhsa_system_vgpr_workitem_id 0
		.amdhsa_next_free_vgpr 1
		.amdhsa_next_free_sgpr 0
		.amdhsa_accum_offset 4
		.amdhsa_reserve_vcc 0
		.amdhsa_reserve_flat_scratch 0
		.amdhsa_float_round_mode_32 0
		.amdhsa_float_round_mode_16_64 0
		.amdhsa_float_denorm_mode_32 3
		.amdhsa_float_denorm_mode_16_64 3
		.amdhsa_dx10_clamp 1
		.amdhsa_ieee_mode 1
		.amdhsa_fp16_overflow 0
		.amdhsa_tg_split 0
		.amdhsa_exception_fp_ieee_invalid_op 0
		.amdhsa_exception_fp_denorm_src 0
		.amdhsa_exception_fp_ieee_div_zero 0
		.amdhsa_exception_fp_ieee_overflow 0
		.amdhsa_exception_fp_ieee_underflow 0
		.amdhsa_exception_fp_ieee_inexact 0
		.amdhsa_exception_int_div_zero 0
	.end_amdhsa_kernel
	.section	.text._ZN7rocprim17ROCPRIM_400000_NS6detail17trampoline_kernelINS0_14default_configENS1_20scan_config_selectorIdEEZZNS1_9scan_implILNS1_25lookback_scan_determinismE0ELb0ELb0ES3_N6thrust23THRUST_200600_302600_NS6detail15normal_iteratorINS9_10device_ptrIdEEEESE_d11max_functorIdEdEEDaPvRmT3_T4_T5_mT6_P12ihipStream_tbENKUlT_T0_E_clISt17integral_constantIbLb1EEST_IbLb0EEEEDaSP_SQ_EUlSP_E_NS1_11comp_targetILNS1_3genE2ELNS1_11target_archE906ELNS1_3gpuE6ELNS1_3repE0EEENS1_30default_config_static_selectorELNS0_4arch9wavefront6targetE1EEEvT1_,"axG",@progbits,_ZN7rocprim17ROCPRIM_400000_NS6detail17trampoline_kernelINS0_14default_configENS1_20scan_config_selectorIdEEZZNS1_9scan_implILNS1_25lookback_scan_determinismE0ELb0ELb0ES3_N6thrust23THRUST_200600_302600_NS6detail15normal_iteratorINS9_10device_ptrIdEEEESE_d11max_functorIdEdEEDaPvRmT3_T4_T5_mT6_P12ihipStream_tbENKUlT_T0_E_clISt17integral_constantIbLb1EEST_IbLb0EEEEDaSP_SQ_EUlSP_E_NS1_11comp_targetILNS1_3genE2ELNS1_11target_archE906ELNS1_3gpuE6ELNS1_3repE0EEENS1_30default_config_static_selectorELNS0_4arch9wavefront6targetE1EEEvT1_,comdat
.Lfunc_end1838:
	.size	_ZN7rocprim17ROCPRIM_400000_NS6detail17trampoline_kernelINS0_14default_configENS1_20scan_config_selectorIdEEZZNS1_9scan_implILNS1_25lookback_scan_determinismE0ELb0ELb0ES3_N6thrust23THRUST_200600_302600_NS6detail15normal_iteratorINS9_10device_ptrIdEEEESE_d11max_functorIdEdEEDaPvRmT3_T4_T5_mT6_P12ihipStream_tbENKUlT_T0_E_clISt17integral_constantIbLb1EEST_IbLb0EEEEDaSP_SQ_EUlSP_E_NS1_11comp_targetILNS1_3genE2ELNS1_11target_archE906ELNS1_3gpuE6ELNS1_3repE0EEENS1_30default_config_static_selectorELNS0_4arch9wavefront6targetE1EEEvT1_, .Lfunc_end1838-_ZN7rocprim17ROCPRIM_400000_NS6detail17trampoline_kernelINS0_14default_configENS1_20scan_config_selectorIdEEZZNS1_9scan_implILNS1_25lookback_scan_determinismE0ELb0ELb0ES3_N6thrust23THRUST_200600_302600_NS6detail15normal_iteratorINS9_10device_ptrIdEEEESE_d11max_functorIdEdEEDaPvRmT3_T4_T5_mT6_P12ihipStream_tbENKUlT_T0_E_clISt17integral_constantIbLb1EEST_IbLb0EEEEDaSP_SQ_EUlSP_E_NS1_11comp_targetILNS1_3genE2ELNS1_11target_archE906ELNS1_3gpuE6ELNS1_3repE0EEENS1_30default_config_static_selectorELNS0_4arch9wavefront6targetE1EEEvT1_
                                        ; -- End function
	.section	.AMDGPU.csdata,"",@progbits
; Kernel info:
; codeLenInByte = 0
; NumSgprs: 4
; NumVgprs: 0
; NumAgprs: 0
; TotalNumVgprs: 0
; ScratchSize: 0
; MemoryBound: 0
; FloatMode: 240
; IeeeMode: 1
; LDSByteSize: 0 bytes/workgroup (compile time only)
; SGPRBlocks: 0
; VGPRBlocks: 0
; NumSGPRsForWavesPerEU: 4
; NumVGPRsForWavesPerEU: 1
; AccumOffset: 4
; Occupancy: 8
; WaveLimiterHint : 0
; COMPUTE_PGM_RSRC2:SCRATCH_EN: 0
; COMPUTE_PGM_RSRC2:USER_SGPR: 6
; COMPUTE_PGM_RSRC2:TRAP_HANDLER: 0
; COMPUTE_PGM_RSRC2:TGID_X_EN: 1
; COMPUTE_PGM_RSRC2:TGID_Y_EN: 0
; COMPUTE_PGM_RSRC2:TGID_Z_EN: 0
; COMPUTE_PGM_RSRC2:TIDIG_COMP_CNT: 0
; COMPUTE_PGM_RSRC3_GFX90A:ACCUM_OFFSET: 0
; COMPUTE_PGM_RSRC3_GFX90A:TG_SPLIT: 0
	.section	.text._ZN7rocprim17ROCPRIM_400000_NS6detail17trampoline_kernelINS0_14default_configENS1_20scan_config_selectorIdEEZZNS1_9scan_implILNS1_25lookback_scan_determinismE0ELb0ELb0ES3_N6thrust23THRUST_200600_302600_NS6detail15normal_iteratorINS9_10device_ptrIdEEEESE_d11max_functorIdEdEEDaPvRmT3_T4_T5_mT6_P12ihipStream_tbENKUlT_T0_E_clISt17integral_constantIbLb1EEST_IbLb0EEEEDaSP_SQ_EUlSP_E_NS1_11comp_targetILNS1_3genE10ELNS1_11target_archE1201ELNS1_3gpuE5ELNS1_3repE0EEENS1_30default_config_static_selectorELNS0_4arch9wavefront6targetE1EEEvT1_,"axG",@progbits,_ZN7rocprim17ROCPRIM_400000_NS6detail17trampoline_kernelINS0_14default_configENS1_20scan_config_selectorIdEEZZNS1_9scan_implILNS1_25lookback_scan_determinismE0ELb0ELb0ES3_N6thrust23THRUST_200600_302600_NS6detail15normal_iteratorINS9_10device_ptrIdEEEESE_d11max_functorIdEdEEDaPvRmT3_T4_T5_mT6_P12ihipStream_tbENKUlT_T0_E_clISt17integral_constantIbLb1EEST_IbLb0EEEEDaSP_SQ_EUlSP_E_NS1_11comp_targetILNS1_3genE10ELNS1_11target_archE1201ELNS1_3gpuE5ELNS1_3repE0EEENS1_30default_config_static_selectorELNS0_4arch9wavefront6targetE1EEEvT1_,comdat
	.protected	_ZN7rocprim17ROCPRIM_400000_NS6detail17trampoline_kernelINS0_14default_configENS1_20scan_config_selectorIdEEZZNS1_9scan_implILNS1_25lookback_scan_determinismE0ELb0ELb0ES3_N6thrust23THRUST_200600_302600_NS6detail15normal_iteratorINS9_10device_ptrIdEEEESE_d11max_functorIdEdEEDaPvRmT3_T4_T5_mT6_P12ihipStream_tbENKUlT_T0_E_clISt17integral_constantIbLb1EEST_IbLb0EEEEDaSP_SQ_EUlSP_E_NS1_11comp_targetILNS1_3genE10ELNS1_11target_archE1201ELNS1_3gpuE5ELNS1_3repE0EEENS1_30default_config_static_selectorELNS0_4arch9wavefront6targetE1EEEvT1_ ; -- Begin function _ZN7rocprim17ROCPRIM_400000_NS6detail17trampoline_kernelINS0_14default_configENS1_20scan_config_selectorIdEEZZNS1_9scan_implILNS1_25lookback_scan_determinismE0ELb0ELb0ES3_N6thrust23THRUST_200600_302600_NS6detail15normal_iteratorINS9_10device_ptrIdEEEESE_d11max_functorIdEdEEDaPvRmT3_T4_T5_mT6_P12ihipStream_tbENKUlT_T0_E_clISt17integral_constantIbLb1EEST_IbLb0EEEEDaSP_SQ_EUlSP_E_NS1_11comp_targetILNS1_3genE10ELNS1_11target_archE1201ELNS1_3gpuE5ELNS1_3repE0EEENS1_30default_config_static_selectorELNS0_4arch9wavefront6targetE1EEEvT1_
	.globl	_ZN7rocprim17ROCPRIM_400000_NS6detail17trampoline_kernelINS0_14default_configENS1_20scan_config_selectorIdEEZZNS1_9scan_implILNS1_25lookback_scan_determinismE0ELb0ELb0ES3_N6thrust23THRUST_200600_302600_NS6detail15normal_iteratorINS9_10device_ptrIdEEEESE_d11max_functorIdEdEEDaPvRmT3_T4_T5_mT6_P12ihipStream_tbENKUlT_T0_E_clISt17integral_constantIbLb1EEST_IbLb0EEEEDaSP_SQ_EUlSP_E_NS1_11comp_targetILNS1_3genE10ELNS1_11target_archE1201ELNS1_3gpuE5ELNS1_3repE0EEENS1_30default_config_static_selectorELNS0_4arch9wavefront6targetE1EEEvT1_
	.p2align	8
	.type	_ZN7rocprim17ROCPRIM_400000_NS6detail17trampoline_kernelINS0_14default_configENS1_20scan_config_selectorIdEEZZNS1_9scan_implILNS1_25lookback_scan_determinismE0ELb0ELb0ES3_N6thrust23THRUST_200600_302600_NS6detail15normal_iteratorINS9_10device_ptrIdEEEESE_d11max_functorIdEdEEDaPvRmT3_T4_T5_mT6_P12ihipStream_tbENKUlT_T0_E_clISt17integral_constantIbLb1EEST_IbLb0EEEEDaSP_SQ_EUlSP_E_NS1_11comp_targetILNS1_3genE10ELNS1_11target_archE1201ELNS1_3gpuE5ELNS1_3repE0EEENS1_30default_config_static_selectorELNS0_4arch9wavefront6targetE1EEEvT1_,@function
_ZN7rocprim17ROCPRIM_400000_NS6detail17trampoline_kernelINS0_14default_configENS1_20scan_config_selectorIdEEZZNS1_9scan_implILNS1_25lookback_scan_determinismE0ELb0ELb0ES3_N6thrust23THRUST_200600_302600_NS6detail15normal_iteratorINS9_10device_ptrIdEEEESE_d11max_functorIdEdEEDaPvRmT3_T4_T5_mT6_P12ihipStream_tbENKUlT_T0_E_clISt17integral_constantIbLb1EEST_IbLb0EEEEDaSP_SQ_EUlSP_E_NS1_11comp_targetILNS1_3genE10ELNS1_11target_archE1201ELNS1_3gpuE5ELNS1_3repE0EEENS1_30default_config_static_selectorELNS0_4arch9wavefront6targetE1EEEvT1_: ; @_ZN7rocprim17ROCPRIM_400000_NS6detail17trampoline_kernelINS0_14default_configENS1_20scan_config_selectorIdEEZZNS1_9scan_implILNS1_25lookback_scan_determinismE0ELb0ELb0ES3_N6thrust23THRUST_200600_302600_NS6detail15normal_iteratorINS9_10device_ptrIdEEEESE_d11max_functorIdEdEEDaPvRmT3_T4_T5_mT6_P12ihipStream_tbENKUlT_T0_E_clISt17integral_constantIbLb1EEST_IbLb0EEEEDaSP_SQ_EUlSP_E_NS1_11comp_targetILNS1_3genE10ELNS1_11target_archE1201ELNS1_3gpuE5ELNS1_3repE0EEENS1_30default_config_static_selectorELNS0_4arch9wavefront6targetE1EEEvT1_
; %bb.0:
	.section	.rodata,"a",@progbits
	.p2align	6, 0x0
	.amdhsa_kernel _ZN7rocprim17ROCPRIM_400000_NS6detail17trampoline_kernelINS0_14default_configENS1_20scan_config_selectorIdEEZZNS1_9scan_implILNS1_25lookback_scan_determinismE0ELb0ELb0ES3_N6thrust23THRUST_200600_302600_NS6detail15normal_iteratorINS9_10device_ptrIdEEEESE_d11max_functorIdEdEEDaPvRmT3_T4_T5_mT6_P12ihipStream_tbENKUlT_T0_E_clISt17integral_constantIbLb1EEST_IbLb0EEEEDaSP_SQ_EUlSP_E_NS1_11comp_targetILNS1_3genE10ELNS1_11target_archE1201ELNS1_3gpuE5ELNS1_3repE0EEENS1_30default_config_static_selectorELNS0_4arch9wavefront6targetE1EEEvT1_
		.amdhsa_group_segment_fixed_size 0
		.amdhsa_private_segment_fixed_size 0
		.amdhsa_kernarg_size 104
		.amdhsa_user_sgpr_count 6
		.amdhsa_user_sgpr_private_segment_buffer 1
		.amdhsa_user_sgpr_dispatch_ptr 0
		.amdhsa_user_sgpr_queue_ptr 0
		.amdhsa_user_sgpr_kernarg_segment_ptr 1
		.amdhsa_user_sgpr_dispatch_id 0
		.amdhsa_user_sgpr_flat_scratch_init 0
		.amdhsa_user_sgpr_kernarg_preload_length 0
		.amdhsa_user_sgpr_kernarg_preload_offset 0
		.amdhsa_user_sgpr_private_segment_size 0
		.amdhsa_uses_dynamic_stack 0
		.amdhsa_system_sgpr_private_segment_wavefront_offset 0
		.amdhsa_system_sgpr_workgroup_id_x 1
		.amdhsa_system_sgpr_workgroup_id_y 0
		.amdhsa_system_sgpr_workgroup_id_z 0
		.amdhsa_system_sgpr_workgroup_info 0
		.amdhsa_system_vgpr_workitem_id 0
		.amdhsa_next_free_vgpr 1
		.amdhsa_next_free_sgpr 0
		.amdhsa_accum_offset 4
		.amdhsa_reserve_vcc 0
		.amdhsa_reserve_flat_scratch 0
		.amdhsa_float_round_mode_32 0
		.amdhsa_float_round_mode_16_64 0
		.amdhsa_float_denorm_mode_32 3
		.amdhsa_float_denorm_mode_16_64 3
		.amdhsa_dx10_clamp 1
		.amdhsa_ieee_mode 1
		.amdhsa_fp16_overflow 0
		.amdhsa_tg_split 0
		.amdhsa_exception_fp_ieee_invalid_op 0
		.amdhsa_exception_fp_denorm_src 0
		.amdhsa_exception_fp_ieee_div_zero 0
		.amdhsa_exception_fp_ieee_overflow 0
		.amdhsa_exception_fp_ieee_underflow 0
		.amdhsa_exception_fp_ieee_inexact 0
		.amdhsa_exception_int_div_zero 0
	.end_amdhsa_kernel
	.section	.text._ZN7rocprim17ROCPRIM_400000_NS6detail17trampoline_kernelINS0_14default_configENS1_20scan_config_selectorIdEEZZNS1_9scan_implILNS1_25lookback_scan_determinismE0ELb0ELb0ES3_N6thrust23THRUST_200600_302600_NS6detail15normal_iteratorINS9_10device_ptrIdEEEESE_d11max_functorIdEdEEDaPvRmT3_T4_T5_mT6_P12ihipStream_tbENKUlT_T0_E_clISt17integral_constantIbLb1EEST_IbLb0EEEEDaSP_SQ_EUlSP_E_NS1_11comp_targetILNS1_3genE10ELNS1_11target_archE1201ELNS1_3gpuE5ELNS1_3repE0EEENS1_30default_config_static_selectorELNS0_4arch9wavefront6targetE1EEEvT1_,"axG",@progbits,_ZN7rocprim17ROCPRIM_400000_NS6detail17trampoline_kernelINS0_14default_configENS1_20scan_config_selectorIdEEZZNS1_9scan_implILNS1_25lookback_scan_determinismE0ELb0ELb0ES3_N6thrust23THRUST_200600_302600_NS6detail15normal_iteratorINS9_10device_ptrIdEEEESE_d11max_functorIdEdEEDaPvRmT3_T4_T5_mT6_P12ihipStream_tbENKUlT_T0_E_clISt17integral_constantIbLb1EEST_IbLb0EEEEDaSP_SQ_EUlSP_E_NS1_11comp_targetILNS1_3genE10ELNS1_11target_archE1201ELNS1_3gpuE5ELNS1_3repE0EEENS1_30default_config_static_selectorELNS0_4arch9wavefront6targetE1EEEvT1_,comdat
.Lfunc_end1839:
	.size	_ZN7rocprim17ROCPRIM_400000_NS6detail17trampoline_kernelINS0_14default_configENS1_20scan_config_selectorIdEEZZNS1_9scan_implILNS1_25lookback_scan_determinismE0ELb0ELb0ES3_N6thrust23THRUST_200600_302600_NS6detail15normal_iteratorINS9_10device_ptrIdEEEESE_d11max_functorIdEdEEDaPvRmT3_T4_T5_mT6_P12ihipStream_tbENKUlT_T0_E_clISt17integral_constantIbLb1EEST_IbLb0EEEEDaSP_SQ_EUlSP_E_NS1_11comp_targetILNS1_3genE10ELNS1_11target_archE1201ELNS1_3gpuE5ELNS1_3repE0EEENS1_30default_config_static_selectorELNS0_4arch9wavefront6targetE1EEEvT1_, .Lfunc_end1839-_ZN7rocprim17ROCPRIM_400000_NS6detail17trampoline_kernelINS0_14default_configENS1_20scan_config_selectorIdEEZZNS1_9scan_implILNS1_25lookback_scan_determinismE0ELb0ELb0ES3_N6thrust23THRUST_200600_302600_NS6detail15normal_iteratorINS9_10device_ptrIdEEEESE_d11max_functorIdEdEEDaPvRmT3_T4_T5_mT6_P12ihipStream_tbENKUlT_T0_E_clISt17integral_constantIbLb1EEST_IbLb0EEEEDaSP_SQ_EUlSP_E_NS1_11comp_targetILNS1_3genE10ELNS1_11target_archE1201ELNS1_3gpuE5ELNS1_3repE0EEENS1_30default_config_static_selectorELNS0_4arch9wavefront6targetE1EEEvT1_
                                        ; -- End function
	.section	.AMDGPU.csdata,"",@progbits
; Kernel info:
; codeLenInByte = 0
; NumSgprs: 4
; NumVgprs: 0
; NumAgprs: 0
; TotalNumVgprs: 0
; ScratchSize: 0
; MemoryBound: 0
; FloatMode: 240
; IeeeMode: 1
; LDSByteSize: 0 bytes/workgroup (compile time only)
; SGPRBlocks: 0
; VGPRBlocks: 0
; NumSGPRsForWavesPerEU: 4
; NumVGPRsForWavesPerEU: 1
; AccumOffset: 4
; Occupancy: 8
; WaveLimiterHint : 0
; COMPUTE_PGM_RSRC2:SCRATCH_EN: 0
; COMPUTE_PGM_RSRC2:USER_SGPR: 6
; COMPUTE_PGM_RSRC2:TRAP_HANDLER: 0
; COMPUTE_PGM_RSRC2:TGID_X_EN: 1
; COMPUTE_PGM_RSRC2:TGID_Y_EN: 0
; COMPUTE_PGM_RSRC2:TGID_Z_EN: 0
; COMPUTE_PGM_RSRC2:TIDIG_COMP_CNT: 0
; COMPUTE_PGM_RSRC3_GFX90A:ACCUM_OFFSET: 0
; COMPUTE_PGM_RSRC3_GFX90A:TG_SPLIT: 0
	.section	.text._ZN7rocprim17ROCPRIM_400000_NS6detail17trampoline_kernelINS0_14default_configENS1_20scan_config_selectorIdEEZZNS1_9scan_implILNS1_25lookback_scan_determinismE0ELb0ELb0ES3_N6thrust23THRUST_200600_302600_NS6detail15normal_iteratorINS9_10device_ptrIdEEEESE_d11max_functorIdEdEEDaPvRmT3_T4_T5_mT6_P12ihipStream_tbENKUlT_T0_E_clISt17integral_constantIbLb1EEST_IbLb0EEEEDaSP_SQ_EUlSP_E_NS1_11comp_targetILNS1_3genE10ELNS1_11target_archE1200ELNS1_3gpuE4ELNS1_3repE0EEENS1_30default_config_static_selectorELNS0_4arch9wavefront6targetE1EEEvT1_,"axG",@progbits,_ZN7rocprim17ROCPRIM_400000_NS6detail17trampoline_kernelINS0_14default_configENS1_20scan_config_selectorIdEEZZNS1_9scan_implILNS1_25lookback_scan_determinismE0ELb0ELb0ES3_N6thrust23THRUST_200600_302600_NS6detail15normal_iteratorINS9_10device_ptrIdEEEESE_d11max_functorIdEdEEDaPvRmT3_T4_T5_mT6_P12ihipStream_tbENKUlT_T0_E_clISt17integral_constantIbLb1EEST_IbLb0EEEEDaSP_SQ_EUlSP_E_NS1_11comp_targetILNS1_3genE10ELNS1_11target_archE1200ELNS1_3gpuE4ELNS1_3repE0EEENS1_30default_config_static_selectorELNS0_4arch9wavefront6targetE1EEEvT1_,comdat
	.protected	_ZN7rocprim17ROCPRIM_400000_NS6detail17trampoline_kernelINS0_14default_configENS1_20scan_config_selectorIdEEZZNS1_9scan_implILNS1_25lookback_scan_determinismE0ELb0ELb0ES3_N6thrust23THRUST_200600_302600_NS6detail15normal_iteratorINS9_10device_ptrIdEEEESE_d11max_functorIdEdEEDaPvRmT3_T4_T5_mT6_P12ihipStream_tbENKUlT_T0_E_clISt17integral_constantIbLb1EEST_IbLb0EEEEDaSP_SQ_EUlSP_E_NS1_11comp_targetILNS1_3genE10ELNS1_11target_archE1200ELNS1_3gpuE4ELNS1_3repE0EEENS1_30default_config_static_selectorELNS0_4arch9wavefront6targetE1EEEvT1_ ; -- Begin function _ZN7rocprim17ROCPRIM_400000_NS6detail17trampoline_kernelINS0_14default_configENS1_20scan_config_selectorIdEEZZNS1_9scan_implILNS1_25lookback_scan_determinismE0ELb0ELb0ES3_N6thrust23THRUST_200600_302600_NS6detail15normal_iteratorINS9_10device_ptrIdEEEESE_d11max_functorIdEdEEDaPvRmT3_T4_T5_mT6_P12ihipStream_tbENKUlT_T0_E_clISt17integral_constantIbLb1EEST_IbLb0EEEEDaSP_SQ_EUlSP_E_NS1_11comp_targetILNS1_3genE10ELNS1_11target_archE1200ELNS1_3gpuE4ELNS1_3repE0EEENS1_30default_config_static_selectorELNS0_4arch9wavefront6targetE1EEEvT1_
	.globl	_ZN7rocprim17ROCPRIM_400000_NS6detail17trampoline_kernelINS0_14default_configENS1_20scan_config_selectorIdEEZZNS1_9scan_implILNS1_25lookback_scan_determinismE0ELb0ELb0ES3_N6thrust23THRUST_200600_302600_NS6detail15normal_iteratorINS9_10device_ptrIdEEEESE_d11max_functorIdEdEEDaPvRmT3_T4_T5_mT6_P12ihipStream_tbENKUlT_T0_E_clISt17integral_constantIbLb1EEST_IbLb0EEEEDaSP_SQ_EUlSP_E_NS1_11comp_targetILNS1_3genE10ELNS1_11target_archE1200ELNS1_3gpuE4ELNS1_3repE0EEENS1_30default_config_static_selectorELNS0_4arch9wavefront6targetE1EEEvT1_
	.p2align	8
	.type	_ZN7rocprim17ROCPRIM_400000_NS6detail17trampoline_kernelINS0_14default_configENS1_20scan_config_selectorIdEEZZNS1_9scan_implILNS1_25lookback_scan_determinismE0ELb0ELb0ES3_N6thrust23THRUST_200600_302600_NS6detail15normal_iteratorINS9_10device_ptrIdEEEESE_d11max_functorIdEdEEDaPvRmT3_T4_T5_mT6_P12ihipStream_tbENKUlT_T0_E_clISt17integral_constantIbLb1EEST_IbLb0EEEEDaSP_SQ_EUlSP_E_NS1_11comp_targetILNS1_3genE10ELNS1_11target_archE1200ELNS1_3gpuE4ELNS1_3repE0EEENS1_30default_config_static_selectorELNS0_4arch9wavefront6targetE1EEEvT1_,@function
_ZN7rocprim17ROCPRIM_400000_NS6detail17trampoline_kernelINS0_14default_configENS1_20scan_config_selectorIdEEZZNS1_9scan_implILNS1_25lookback_scan_determinismE0ELb0ELb0ES3_N6thrust23THRUST_200600_302600_NS6detail15normal_iteratorINS9_10device_ptrIdEEEESE_d11max_functorIdEdEEDaPvRmT3_T4_T5_mT6_P12ihipStream_tbENKUlT_T0_E_clISt17integral_constantIbLb1EEST_IbLb0EEEEDaSP_SQ_EUlSP_E_NS1_11comp_targetILNS1_3genE10ELNS1_11target_archE1200ELNS1_3gpuE4ELNS1_3repE0EEENS1_30default_config_static_selectorELNS0_4arch9wavefront6targetE1EEEvT1_: ; @_ZN7rocprim17ROCPRIM_400000_NS6detail17trampoline_kernelINS0_14default_configENS1_20scan_config_selectorIdEEZZNS1_9scan_implILNS1_25lookback_scan_determinismE0ELb0ELb0ES3_N6thrust23THRUST_200600_302600_NS6detail15normal_iteratorINS9_10device_ptrIdEEEESE_d11max_functorIdEdEEDaPvRmT3_T4_T5_mT6_P12ihipStream_tbENKUlT_T0_E_clISt17integral_constantIbLb1EEST_IbLb0EEEEDaSP_SQ_EUlSP_E_NS1_11comp_targetILNS1_3genE10ELNS1_11target_archE1200ELNS1_3gpuE4ELNS1_3repE0EEENS1_30default_config_static_selectorELNS0_4arch9wavefront6targetE1EEEvT1_
; %bb.0:
	.section	.rodata,"a",@progbits
	.p2align	6, 0x0
	.amdhsa_kernel _ZN7rocprim17ROCPRIM_400000_NS6detail17trampoline_kernelINS0_14default_configENS1_20scan_config_selectorIdEEZZNS1_9scan_implILNS1_25lookback_scan_determinismE0ELb0ELb0ES3_N6thrust23THRUST_200600_302600_NS6detail15normal_iteratorINS9_10device_ptrIdEEEESE_d11max_functorIdEdEEDaPvRmT3_T4_T5_mT6_P12ihipStream_tbENKUlT_T0_E_clISt17integral_constantIbLb1EEST_IbLb0EEEEDaSP_SQ_EUlSP_E_NS1_11comp_targetILNS1_3genE10ELNS1_11target_archE1200ELNS1_3gpuE4ELNS1_3repE0EEENS1_30default_config_static_selectorELNS0_4arch9wavefront6targetE1EEEvT1_
		.amdhsa_group_segment_fixed_size 0
		.amdhsa_private_segment_fixed_size 0
		.amdhsa_kernarg_size 104
		.amdhsa_user_sgpr_count 6
		.amdhsa_user_sgpr_private_segment_buffer 1
		.amdhsa_user_sgpr_dispatch_ptr 0
		.amdhsa_user_sgpr_queue_ptr 0
		.amdhsa_user_sgpr_kernarg_segment_ptr 1
		.amdhsa_user_sgpr_dispatch_id 0
		.amdhsa_user_sgpr_flat_scratch_init 0
		.amdhsa_user_sgpr_kernarg_preload_length 0
		.amdhsa_user_sgpr_kernarg_preload_offset 0
		.amdhsa_user_sgpr_private_segment_size 0
		.amdhsa_uses_dynamic_stack 0
		.amdhsa_system_sgpr_private_segment_wavefront_offset 0
		.amdhsa_system_sgpr_workgroup_id_x 1
		.amdhsa_system_sgpr_workgroup_id_y 0
		.amdhsa_system_sgpr_workgroup_id_z 0
		.amdhsa_system_sgpr_workgroup_info 0
		.amdhsa_system_vgpr_workitem_id 0
		.amdhsa_next_free_vgpr 1
		.amdhsa_next_free_sgpr 0
		.amdhsa_accum_offset 4
		.amdhsa_reserve_vcc 0
		.amdhsa_reserve_flat_scratch 0
		.amdhsa_float_round_mode_32 0
		.amdhsa_float_round_mode_16_64 0
		.amdhsa_float_denorm_mode_32 3
		.amdhsa_float_denorm_mode_16_64 3
		.amdhsa_dx10_clamp 1
		.amdhsa_ieee_mode 1
		.amdhsa_fp16_overflow 0
		.amdhsa_tg_split 0
		.amdhsa_exception_fp_ieee_invalid_op 0
		.amdhsa_exception_fp_denorm_src 0
		.amdhsa_exception_fp_ieee_div_zero 0
		.amdhsa_exception_fp_ieee_overflow 0
		.amdhsa_exception_fp_ieee_underflow 0
		.amdhsa_exception_fp_ieee_inexact 0
		.amdhsa_exception_int_div_zero 0
	.end_amdhsa_kernel
	.section	.text._ZN7rocprim17ROCPRIM_400000_NS6detail17trampoline_kernelINS0_14default_configENS1_20scan_config_selectorIdEEZZNS1_9scan_implILNS1_25lookback_scan_determinismE0ELb0ELb0ES3_N6thrust23THRUST_200600_302600_NS6detail15normal_iteratorINS9_10device_ptrIdEEEESE_d11max_functorIdEdEEDaPvRmT3_T4_T5_mT6_P12ihipStream_tbENKUlT_T0_E_clISt17integral_constantIbLb1EEST_IbLb0EEEEDaSP_SQ_EUlSP_E_NS1_11comp_targetILNS1_3genE10ELNS1_11target_archE1200ELNS1_3gpuE4ELNS1_3repE0EEENS1_30default_config_static_selectorELNS0_4arch9wavefront6targetE1EEEvT1_,"axG",@progbits,_ZN7rocprim17ROCPRIM_400000_NS6detail17trampoline_kernelINS0_14default_configENS1_20scan_config_selectorIdEEZZNS1_9scan_implILNS1_25lookback_scan_determinismE0ELb0ELb0ES3_N6thrust23THRUST_200600_302600_NS6detail15normal_iteratorINS9_10device_ptrIdEEEESE_d11max_functorIdEdEEDaPvRmT3_T4_T5_mT6_P12ihipStream_tbENKUlT_T0_E_clISt17integral_constantIbLb1EEST_IbLb0EEEEDaSP_SQ_EUlSP_E_NS1_11comp_targetILNS1_3genE10ELNS1_11target_archE1200ELNS1_3gpuE4ELNS1_3repE0EEENS1_30default_config_static_selectorELNS0_4arch9wavefront6targetE1EEEvT1_,comdat
.Lfunc_end1840:
	.size	_ZN7rocprim17ROCPRIM_400000_NS6detail17trampoline_kernelINS0_14default_configENS1_20scan_config_selectorIdEEZZNS1_9scan_implILNS1_25lookback_scan_determinismE0ELb0ELb0ES3_N6thrust23THRUST_200600_302600_NS6detail15normal_iteratorINS9_10device_ptrIdEEEESE_d11max_functorIdEdEEDaPvRmT3_T4_T5_mT6_P12ihipStream_tbENKUlT_T0_E_clISt17integral_constantIbLb1EEST_IbLb0EEEEDaSP_SQ_EUlSP_E_NS1_11comp_targetILNS1_3genE10ELNS1_11target_archE1200ELNS1_3gpuE4ELNS1_3repE0EEENS1_30default_config_static_selectorELNS0_4arch9wavefront6targetE1EEEvT1_, .Lfunc_end1840-_ZN7rocprim17ROCPRIM_400000_NS6detail17trampoline_kernelINS0_14default_configENS1_20scan_config_selectorIdEEZZNS1_9scan_implILNS1_25lookback_scan_determinismE0ELb0ELb0ES3_N6thrust23THRUST_200600_302600_NS6detail15normal_iteratorINS9_10device_ptrIdEEEESE_d11max_functorIdEdEEDaPvRmT3_T4_T5_mT6_P12ihipStream_tbENKUlT_T0_E_clISt17integral_constantIbLb1EEST_IbLb0EEEEDaSP_SQ_EUlSP_E_NS1_11comp_targetILNS1_3genE10ELNS1_11target_archE1200ELNS1_3gpuE4ELNS1_3repE0EEENS1_30default_config_static_selectorELNS0_4arch9wavefront6targetE1EEEvT1_
                                        ; -- End function
	.section	.AMDGPU.csdata,"",@progbits
; Kernel info:
; codeLenInByte = 0
; NumSgprs: 4
; NumVgprs: 0
; NumAgprs: 0
; TotalNumVgprs: 0
; ScratchSize: 0
; MemoryBound: 0
; FloatMode: 240
; IeeeMode: 1
; LDSByteSize: 0 bytes/workgroup (compile time only)
; SGPRBlocks: 0
; VGPRBlocks: 0
; NumSGPRsForWavesPerEU: 4
; NumVGPRsForWavesPerEU: 1
; AccumOffset: 4
; Occupancy: 8
; WaveLimiterHint : 0
; COMPUTE_PGM_RSRC2:SCRATCH_EN: 0
; COMPUTE_PGM_RSRC2:USER_SGPR: 6
; COMPUTE_PGM_RSRC2:TRAP_HANDLER: 0
; COMPUTE_PGM_RSRC2:TGID_X_EN: 1
; COMPUTE_PGM_RSRC2:TGID_Y_EN: 0
; COMPUTE_PGM_RSRC2:TGID_Z_EN: 0
; COMPUTE_PGM_RSRC2:TIDIG_COMP_CNT: 0
; COMPUTE_PGM_RSRC3_GFX90A:ACCUM_OFFSET: 0
; COMPUTE_PGM_RSRC3_GFX90A:TG_SPLIT: 0
	.section	.text._ZN7rocprim17ROCPRIM_400000_NS6detail17trampoline_kernelINS0_14default_configENS1_20scan_config_selectorIdEEZZNS1_9scan_implILNS1_25lookback_scan_determinismE0ELb0ELb0ES3_N6thrust23THRUST_200600_302600_NS6detail15normal_iteratorINS9_10device_ptrIdEEEESE_d11max_functorIdEdEEDaPvRmT3_T4_T5_mT6_P12ihipStream_tbENKUlT_T0_E_clISt17integral_constantIbLb1EEST_IbLb0EEEEDaSP_SQ_EUlSP_E_NS1_11comp_targetILNS1_3genE9ELNS1_11target_archE1100ELNS1_3gpuE3ELNS1_3repE0EEENS1_30default_config_static_selectorELNS0_4arch9wavefront6targetE1EEEvT1_,"axG",@progbits,_ZN7rocprim17ROCPRIM_400000_NS6detail17trampoline_kernelINS0_14default_configENS1_20scan_config_selectorIdEEZZNS1_9scan_implILNS1_25lookback_scan_determinismE0ELb0ELb0ES3_N6thrust23THRUST_200600_302600_NS6detail15normal_iteratorINS9_10device_ptrIdEEEESE_d11max_functorIdEdEEDaPvRmT3_T4_T5_mT6_P12ihipStream_tbENKUlT_T0_E_clISt17integral_constantIbLb1EEST_IbLb0EEEEDaSP_SQ_EUlSP_E_NS1_11comp_targetILNS1_3genE9ELNS1_11target_archE1100ELNS1_3gpuE3ELNS1_3repE0EEENS1_30default_config_static_selectorELNS0_4arch9wavefront6targetE1EEEvT1_,comdat
	.protected	_ZN7rocprim17ROCPRIM_400000_NS6detail17trampoline_kernelINS0_14default_configENS1_20scan_config_selectorIdEEZZNS1_9scan_implILNS1_25lookback_scan_determinismE0ELb0ELb0ES3_N6thrust23THRUST_200600_302600_NS6detail15normal_iteratorINS9_10device_ptrIdEEEESE_d11max_functorIdEdEEDaPvRmT3_T4_T5_mT6_P12ihipStream_tbENKUlT_T0_E_clISt17integral_constantIbLb1EEST_IbLb0EEEEDaSP_SQ_EUlSP_E_NS1_11comp_targetILNS1_3genE9ELNS1_11target_archE1100ELNS1_3gpuE3ELNS1_3repE0EEENS1_30default_config_static_selectorELNS0_4arch9wavefront6targetE1EEEvT1_ ; -- Begin function _ZN7rocprim17ROCPRIM_400000_NS6detail17trampoline_kernelINS0_14default_configENS1_20scan_config_selectorIdEEZZNS1_9scan_implILNS1_25lookback_scan_determinismE0ELb0ELb0ES3_N6thrust23THRUST_200600_302600_NS6detail15normal_iteratorINS9_10device_ptrIdEEEESE_d11max_functorIdEdEEDaPvRmT3_T4_T5_mT6_P12ihipStream_tbENKUlT_T0_E_clISt17integral_constantIbLb1EEST_IbLb0EEEEDaSP_SQ_EUlSP_E_NS1_11comp_targetILNS1_3genE9ELNS1_11target_archE1100ELNS1_3gpuE3ELNS1_3repE0EEENS1_30default_config_static_selectorELNS0_4arch9wavefront6targetE1EEEvT1_
	.globl	_ZN7rocprim17ROCPRIM_400000_NS6detail17trampoline_kernelINS0_14default_configENS1_20scan_config_selectorIdEEZZNS1_9scan_implILNS1_25lookback_scan_determinismE0ELb0ELb0ES3_N6thrust23THRUST_200600_302600_NS6detail15normal_iteratorINS9_10device_ptrIdEEEESE_d11max_functorIdEdEEDaPvRmT3_T4_T5_mT6_P12ihipStream_tbENKUlT_T0_E_clISt17integral_constantIbLb1EEST_IbLb0EEEEDaSP_SQ_EUlSP_E_NS1_11comp_targetILNS1_3genE9ELNS1_11target_archE1100ELNS1_3gpuE3ELNS1_3repE0EEENS1_30default_config_static_selectorELNS0_4arch9wavefront6targetE1EEEvT1_
	.p2align	8
	.type	_ZN7rocprim17ROCPRIM_400000_NS6detail17trampoline_kernelINS0_14default_configENS1_20scan_config_selectorIdEEZZNS1_9scan_implILNS1_25lookback_scan_determinismE0ELb0ELb0ES3_N6thrust23THRUST_200600_302600_NS6detail15normal_iteratorINS9_10device_ptrIdEEEESE_d11max_functorIdEdEEDaPvRmT3_T4_T5_mT6_P12ihipStream_tbENKUlT_T0_E_clISt17integral_constantIbLb1EEST_IbLb0EEEEDaSP_SQ_EUlSP_E_NS1_11comp_targetILNS1_3genE9ELNS1_11target_archE1100ELNS1_3gpuE3ELNS1_3repE0EEENS1_30default_config_static_selectorELNS0_4arch9wavefront6targetE1EEEvT1_,@function
_ZN7rocprim17ROCPRIM_400000_NS6detail17trampoline_kernelINS0_14default_configENS1_20scan_config_selectorIdEEZZNS1_9scan_implILNS1_25lookback_scan_determinismE0ELb0ELb0ES3_N6thrust23THRUST_200600_302600_NS6detail15normal_iteratorINS9_10device_ptrIdEEEESE_d11max_functorIdEdEEDaPvRmT3_T4_T5_mT6_P12ihipStream_tbENKUlT_T0_E_clISt17integral_constantIbLb1EEST_IbLb0EEEEDaSP_SQ_EUlSP_E_NS1_11comp_targetILNS1_3genE9ELNS1_11target_archE1100ELNS1_3gpuE3ELNS1_3repE0EEENS1_30default_config_static_selectorELNS0_4arch9wavefront6targetE1EEEvT1_: ; @_ZN7rocprim17ROCPRIM_400000_NS6detail17trampoline_kernelINS0_14default_configENS1_20scan_config_selectorIdEEZZNS1_9scan_implILNS1_25lookback_scan_determinismE0ELb0ELb0ES3_N6thrust23THRUST_200600_302600_NS6detail15normal_iteratorINS9_10device_ptrIdEEEESE_d11max_functorIdEdEEDaPvRmT3_T4_T5_mT6_P12ihipStream_tbENKUlT_T0_E_clISt17integral_constantIbLb1EEST_IbLb0EEEEDaSP_SQ_EUlSP_E_NS1_11comp_targetILNS1_3genE9ELNS1_11target_archE1100ELNS1_3gpuE3ELNS1_3repE0EEENS1_30default_config_static_selectorELNS0_4arch9wavefront6targetE1EEEvT1_
; %bb.0:
	.section	.rodata,"a",@progbits
	.p2align	6, 0x0
	.amdhsa_kernel _ZN7rocprim17ROCPRIM_400000_NS6detail17trampoline_kernelINS0_14default_configENS1_20scan_config_selectorIdEEZZNS1_9scan_implILNS1_25lookback_scan_determinismE0ELb0ELb0ES3_N6thrust23THRUST_200600_302600_NS6detail15normal_iteratorINS9_10device_ptrIdEEEESE_d11max_functorIdEdEEDaPvRmT3_T4_T5_mT6_P12ihipStream_tbENKUlT_T0_E_clISt17integral_constantIbLb1EEST_IbLb0EEEEDaSP_SQ_EUlSP_E_NS1_11comp_targetILNS1_3genE9ELNS1_11target_archE1100ELNS1_3gpuE3ELNS1_3repE0EEENS1_30default_config_static_selectorELNS0_4arch9wavefront6targetE1EEEvT1_
		.amdhsa_group_segment_fixed_size 0
		.amdhsa_private_segment_fixed_size 0
		.amdhsa_kernarg_size 104
		.amdhsa_user_sgpr_count 6
		.amdhsa_user_sgpr_private_segment_buffer 1
		.amdhsa_user_sgpr_dispatch_ptr 0
		.amdhsa_user_sgpr_queue_ptr 0
		.amdhsa_user_sgpr_kernarg_segment_ptr 1
		.amdhsa_user_sgpr_dispatch_id 0
		.amdhsa_user_sgpr_flat_scratch_init 0
		.amdhsa_user_sgpr_kernarg_preload_length 0
		.amdhsa_user_sgpr_kernarg_preload_offset 0
		.amdhsa_user_sgpr_private_segment_size 0
		.amdhsa_uses_dynamic_stack 0
		.amdhsa_system_sgpr_private_segment_wavefront_offset 0
		.amdhsa_system_sgpr_workgroup_id_x 1
		.amdhsa_system_sgpr_workgroup_id_y 0
		.amdhsa_system_sgpr_workgroup_id_z 0
		.amdhsa_system_sgpr_workgroup_info 0
		.amdhsa_system_vgpr_workitem_id 0
		.amdhsa_next_free_vgpr 1
		.amdhsa_next_free_sgpr 0
		.amdhsa_accum_offset 4
		.amdhsa_reserve_vcc 0
		.amdhsa_reserve_flat_scratch 0
		.amdhsa_float_round_mode_32 0
		.amdhsa_float_round_mode_16_64 0
		.amdhsa_float_denorm_mode_32 3
		.amdhsa_float_denorm_mode_16_64 3
		.amdhsa_dx10_clamp 1
		.amdhsa_ieee_mode 1
		.amdhsa_fp16_overflow 0
		.amdhsa_tg_split 0
		.amdhsa_exception_fp_ieee_invalid_op 0
		.amdhsa_exception_fp_denorm_src 0
		.amdhsa_exception_fp_ieee_div_zero 0
		.amdhsa_exception_fp_ieee_overflow 0
		.amdhsa_exception_fp_ieee_underflow 0
		.amdhsa_exception_fp_ieee_inexact 0
		.amdhsa_exception_int_div_zero 0
	.end_amdhsa_kernel
	.section	.text._ZN7rocprim17ROCPRIM_400000_NS6detail17trampoline_kernelINS0_14default_configENS1_20scan_config_selectorIdEEZZNS1_9scan_implILNS1_25lookback_scan_determinismE0ELb0ELb0ES3_N6thrust23THRUST_200600_302600_NS6detail15normal_iteratorINS9_10device_ptrIdEEEESE_d11max_functorIdEdEEDaPvRmT3_T4_T5_mT6_P12ihipStream_tbENKUlT_T0_E_clISt17integral_constantIbLb1EEST_IbLb0EEEEDaSP_SQ_EUlSP_E_NS1_11comp_targetILNS1_3genE9ELNS1_11target_archE1100ELNS1_3gpuE3ELNS1_3repE0EEENS1_30default_config_static_selectorELNS0_4arch9wavefront6targetE1EEEvT1_,"axG",@progbits,_ZN7rocprim17ROCPRIM_400000_NS6detail17trampoline_kernelINS0_14default_configENS1_20scan_config_selectorIdEEZZNS1_9scan_implILNS1_25lookback_scan_determinismE0ELb0ELb0ES3_N6thrust23THRUST_200600_302600_NS6detail15normal_iteratorINS9_10device_ptrIdEEEESE_d11max_functorIdEdEEDaPvRmT3_T4_T5_mT6_P12ihipStream_tbENKUlT_T0_E_clISt17integral_constantIbLb1EEST_IbLb0EEEEDaSP_SQ_EUlSP_E_NS1_11comp_targetILNS1_3genE9ELNS1_11target_archE1100ELNS1_3gpuE3ELNS1_3repE0EEENS1_30default_config_static_selectorELNS0_4arch9wavefront6targetE1EEEvT1_,comdat
.Lfunc_end1841:
	.size	_ZN7rocprim17ROCPRIM_400000_NS6detail17trampoline_kernelINS0_14default_configENS1_20scan_config_selectorIdEEZZNS1_9scan_implILNS1_25lookback_scan_determinismE0ELb0ELb0ES3_N6thrust23THRUST_200600_302600_NS6detail15normal_iteratorINS9_10device_ptrIdEEEESE_d11max_functorIdEdEEDaPvRmT3_T4_T5_mT6_P12ihipStream_tbENKUlT_T0_E_clISt17integral_constantIbLb1EEST_IbLb0EEEEDaSP_SQ_EUlSP_E_NS1_11comp_targetILNS1_3genE9ELNS1_11target_archE1100ELNS1_3gpuE3ELNS1_3repE0EEENS1_30default_config_static_selectorELNS0_4arch9wavefront6targetE1EEEvT1_, .Lfunc_end1841-_ZN7rocprim17ROCPRIM_400000_NS6detail17trampoline_kernelINS0_14default_configENS1_20scan_config_selectorIdEEZZNS1_9scan_implILNS1_25lookback_scan_determinismE0ELb0ELb0ES3_N6thrust23THRUST_200600_302600_NS6detail15normal_iteratorINS9_10device_ptrIdEEEESE_d11max_functorIdEdEEDaPvRmT3_T4_T5_mT6_P12ihipStream_tbENKUlT_T0_E_clISt17integral_constantIbLb1EEST_IbLb0EEEEDaSP_SQ_EUlSP_E_NS1_11comp_targetILNS1_3genE9ELNS1_11target_archE1100ELNS1_3gpuE3ELNS1_3repE0EEENS1_30default_config_static_selectorELNS0_4arch9wavefront6targetE1EEEvT1_
                                        ; -- End function
	.section	.AMDGPU.csdata,"",@progbits
; Kernel info:
; codeLenInByte = 0
; NumSgprs: 4
; NumVgprs: 0
; NumAgprs: 0
; TotalNumVgprs: 0
; ScratchSize: 0
; MemoryBound: 0
; FloatMode: 240
; IeeeMode: 1
; LDSByteSize: 0 bytes/workgroup (compile time only)
; SGPRBlocks: 0
; VGPRBlocks: 0
; NumSGPRsForWavesPerEU: 4
; NumVGPRsForWavesPerEU: 1
; AccumOffset: 4
; Occupancy: 8
; WaveLimiterHint : 0
; COMPUTE_PGM_RSRC2:SCRATCH_EN: 0
; COMPUTE_PGM_RSRC2:USER_SGPR: 6
; COMPUTE_PGM_RSRC2:TRAP_HANDLER: 0
; COMPUTE_PGM_RSRC2:TGID_X_EN: 1
; COMPUTE_PGM_RSRC2:TGID_Y_EN: 0
; COMPUTE_PGM_RSRC2:TGID_Z_EN: 0
; COMPUTE_PGM_RSRC2:TIDIG_COMP_CNT: 0
; COMPUTE_PGM_RSRC3_GFX90A:ACCUM_OFFSET: 0
; COMPUTE_PGM_RSRC3_GFX90A:TG_SPLIT: 0
	.section	.text._ZN7rocprim17ROCPRIM_400000_NS6detail17trampoline_kernelINS0_14default_configENS1_20scan_config_selectorIdEEZZNS1_9scan_implILNS1_25lookback_scan_determinismE0ELb0ELb0ES3_N6thrust23THRUST_200600_302600_NS6detail15normal_iteratorINS9_10device_ptrIdEEEESE_d11max_functorIdEdEEDaPvRmT3_T4_T5_mT6_P12ihipStream_tbENKUlT_T0_E_clISt17integral_constantIbLb1EEST_IbLb0EEEEDaSP_SQ_EUlSP_E_NS1_11comp_targetILNS1_3genE8ELNS1_11target_archE1030ELNS1_3gpuE2ELNS1_3repE0EEENS1_30default_config_static_selectorELNS0_4arch9wavefront6targetE1EEEvT1_,"axG",@progbits,_ZN7rocprim17ROCPRIM_400000_NS6detail17trampoline_kernelINS0_14default_configENS1_20scan_config_selectorIdEEZZNS1_9scan_implILNS1_25lookback_scan_determinismE0ELb0ELb0ES3_N6thrust23THRUST_200600_302600_NS6detail15normal_iteratorINS9_10device_ptrIdEEEESE_d11max_functorIdEdEEDaPvRmT3_T4_T5_mT6_P12ihipStream_tbENKUlT_T0_E_clISt17integral_constantIbLb1EEST_IbLb0EEEEDaSP_SQ_EUlSP_E_NS1_11comp_targetILNS1_3genE8ELNS1_11target_archE1030ELNS1_3gpuE2ELNS1_3repE0EEENS1_30default_config_static_selectorELNS0_4arch9wavefront6targetE1EEEvT1_,comdat
	.protected	_ZN7rocprim17ROCPRIM_400000_NS6detail17trampoline_kernelINS0_14default_configENS1_20scan_config_selectorIdEEZZNS1_9scan_implILNS1_25lookback_scan_determinismE0ELb0ELb0ES3_N6thrust23THRUST_200600_302600_NS6detail15normal_iteratorINS9_10device_ptrIdEEEESE_d11max_functorIdEdEEDaPvRmT3_T4_T5_mT6_P12ihipStream_tbENKUlT_T0_E_clISt17integral_constantIbLb1EEST_IbLb0EEEEDaSP_SQ_EUlSP_E_NS1_11comp_targetILNS1_3genE8ELNS1_11target_archE1030ELNS1_3gpuE2ELNS1_3repE0EEENS1_30default_config_static_selectorELNS0_4arch9wavefront6targetE1EEEvT1_ ; -- Begin function _ZN7rocprim17ROCPRIM_400000_NS6detail17trampoline_kernelINS0_14default_configENS1_20scan_config_selectorIdEEZZNS1_9scan_implILNS1_25lookback_scan_determinismE0ELb0ELb0ES3_N6thrust23THRUST_200600_302600_NS6detail15normal_iteratorINS9_10device_ptrIdEEEESE_d11max_functorIdEdEEDaPvRmT3_T4_T5_mT6_P12ihipStream_tbENKUlT_T0_E_clISt17integral_constantIbLb1EEST_IbLb0EEEEDaSP_SQ_EUlSP_E_NS1_11comp_targetILNS1_3genE8ELNS1_11target_archE1030ELNS1_3gpuE2ELNS1_3repE0EEENS1_30default_config_static_selectorELNS0_4arch9wavefront6targetE1EEEvT1_
	.globl	_ZN7rocprim17ROCPRIM_400000_NS6detail17trampoline_kernelINS0_14default_configENS1_20scan_config_selectorIdEEZZNS1_9scan_implILNS1_25lookback_scan_determinismE0ELb0ELb0ES3_N6thrust23THRUST_200600_302600_NS6detail15normal_iteratorINS9_10device_ptrIdEEEESE_d11max_functorIdEdEEDaPvRmT3_T4_T5_mT6_P12ihipStream_tbENKUlT_T0_E_clISt17integral_constantIbLb1EEST_IbLb0EEEEDaSP_SQ_EUlSP_E_NS1_11comp_targetILNS1_3genE8ELNS1_11target_archE1030ELNS1_3gpuE2ELNS1_3repE0EEENS1_30default_config_static_selectorELNS0_4arch9wavefront6targetE1EEEvT1_
	.p2align	8
	.type	_ZN7rocprim17ROCPRIM_400000_NS6detail17trampoline_kernelINS0_14default_configENS1_20scan_config_selectorIdEEZZNS1_9scan_implILNS1_25lookback_scan_determinismE0ELb0ELb0ES3_N6thrust23THRUST_200600_302600_NS6detail15normal_iteratorINS9_10device_ptrIdEEEESE_d11max_functorIdEdEEDaPvRmT3_T4_T5_mT6_P12ihipStream_tbENKUlT_T0_E_clISt17integral_constantIbLb1EEST_IbLb0EEEEDaSP_SQ_EUlSP_E_NS1_11comp_targetILNS1_3genE8ELNS1_11target_archE1030ELNS1_3gpuE2ELNS1_3repE0EEENS1_30default_config_static_selectorELNS0_4arch9wavefront6targetE1EEEvT1_,@function
_ZN7rocprim17ROCPRIM_400000_NS6detail17trampoline_kernelINS0_14default_configENS1_20scan_config_selectorIdEEZZNS1_9scan_implILNS1_25lookback_scan_determinismE0ELb0ELb0ES3_N6thrust23THRUST_200600_302600_NS6detail15normal_iteratorINS9_10device_ptrIdEEEESE_d11max_functorIdEdEEDaPvRmT3_T4_T5_mT6_P12ihipStream_tbENKUlT_T0_E_clISt17integral_constantIbLb1EEST_IbLb0EEEEDaSP_SQ_EUlSP_E_NS1_11comp_targetILNS1_3genE8ELNS1_11target_archE1030ELNS1_3gpuE2ELNS1_3repE0EEENS1_30default_config_static_selectorELNS0_4arch9wavefront6targetE1EEEvT1_: ; @_ZN7rocprim17ROCPRIM_400000_NS6detail17trampoline_kernelINS0_14default_configENS1_20scan_config_selectorIdEEZZNS1_9scan_implILNS1_25lookback_scan_determinismE0ELb0ELb0ES3_N6thrust23THRUST_200600_302600_NS6detail15normal_iteratorINS9_10device_ptrIdEEEESE_d11max_functorIdEdEEDaPvRmT3_T4_T5_mT6_P12ihipStream_tbENKUlT_T0_E_clISt17integral_constantIbLb1EEST_IbLb0EEEEDaSP_SQ_EUlSP_E_NS1_11comp_targetILNS1_3genE8ELNS1_11target_archE1030ELNS1_3gpuE2ELNS1_3repE0EEENS1_30default_config_static_selectorELNS0_4arch9wavefront6targetE1EEEvT1_
; %bb.0:
	.section	.rodata,"a",@progbits
	.p2align	6, 0x0
	.amdhsa_kernel _ZN7rocprim17ROCPRIM_400000_NS6detail17trampoline_kernelINS0_14default_configENS1_20scan_config_selectorIdEEZZNS1_9scan_implILNS1_25lookback_scan_determinismE0ELb0ELb0ES3_N6thrust23THRUST_200600_302600_NS6detail15normal_iteratorINS9_10device_ptrIdEEEESE_d11max_functorIdEdEEDaPvRmT3_T4_T5_mT6_P12ihipStream_tbENKUlT_T0_E_clISt17integral_constantIbLb1EEST_IbLb0EEEEDaSP_SQ_EUlSP_E_NS1_11comp_targetILNS1_3genE8ELNS1_11target_archE1030ELNS1_3gpuE2ELNS1_3repE0EEENS1_30default_config_static_selectorELNS0_4arch9wavefront6targetE1EEEvT1_
		.amdhsa_group_segment_fixed_size 0
		.amdhsa_private_segment_fixed_size 0
		.amdhsa_kernarg_size 104
		.amdhsa_user_sgpr_count 6
		.amdhsa_user_sgpr_private_segment_buffer 1
		.amdhsa_user_sgpr_dispatch_ptr 0
		.amdhsa_user_sgpr_queue_ptr 0
		.amdhsa_user_sgpr_kernarg_segment_ptr 1
		.amdhsa_user_sgpr_dispatch_id 0
		.amdhsa_user_sgpr_flat_scratch_init 0
		.amdhsa_user_sgpr_kernarg_preload_length 0
		.amdhsa_user_sgpr_kernarg_preload_offset 0
		.amdhsa_user_sgpr_private_segment_size 0
		.amdhsa_uses_dynamic_stack 0
		.amdhsa_system_sgpr_private_segment_wavefront_offset 0
		.amdhsa_system_sgpr_workgroup_id_x 1
		.amdhsa_system_sgpr_workgroup_id_y 0
		.amdhsa_system_sgpr_workgroup_id_z 0
		.amdhsa_system_sgpr_workgroup_info 0
		.amdhsa_system_vgpr_workitem_id 0
		.amdhsa_next_free_vgpr 1
		.amdhsa_next_free_sgpr 0
		.amdhsa_accum_offset 4
		.amdhsa_reserve_vcc 0
		.amdhsa_reserve_flat_scratch 0
		.amdhsa_float_round_mode_32 0
		.amdhsa_float_round_mode_16_64 0
		.amdhsa_float_denorm_mode_32 3
		.amdhsa_float_denorm_mode_16_64 3
		.amdhsa_dx10_clamp 1
		.amdhsa_ieee_mode 1
		.amdhsa_fp16_overflow 0
		.amdhsa_tg_split 0
		.amdhsa_exception_fp_ieee_invalid_op 0
		.amdhsa_exception_fp_denorm_src 0
		.amdhsa_exception_fp_ieee_div_zero 0
		.amdhsa_exception_fp_ieee_overflow 0
		.amdhsa_exception_fp_ieee_underflow 0
		.amdhsa_exception_fp_ieee_inexact 0
		.amdhsa_exception_int_div_zero 0
	.end_amdhsa_kernel
	.section	.text._ZN7rocprim17ROCPRIM_400000_NS6detail17trampoline_kernelINS0_14default_configENS1_20scan_config_selectorIdEEZZNS1_9scan_implILNS1_25lookback_scan_determinismE0ELb0ELb0ES3_N6thrust23THRUST_200600_302600_NS6detail15normal_iteratorINS9_10device_ptrIdEEEESE_d11max_functorIdEdEEDaPvRmT3_T4_T5_mT6_P12ihipStream_tbENKUlT_T0_E_clISt17integral_constantIbLb1EEST_IbLb0EEEEDaSP_SQ_EUlSP_E_NS1_11comp_targetILNS1_3genE8ELNS1_11target_archE1030ELNS1_3gpuE2ELNS1_3repE0EEENS1_30default_config_static_selectorELNS0_4arch9wavefront6targetE1EEEvT1_,"axG",@progbits,_ZN7rocprim17ROCPRIM_400000_NS6detail17trampoline_kernelINS0_14default_configENS1_20scan_config_selectorIdEEZZNS1_9scan_implILNS1_25lookback_scan_determinismE0ELb0ELb0ES3_N6thrust23THRUST_200600_302600_NS6detail15normal_iteratorINS9_10device_ptrIdEEEESE_d11max_functorIdEdEEDaPvRmT3_T4_T5_mT6_P12ihipStream_tbENKUlT_T0_E_clISt17integral_constantIbLb1EEST_IbLb0EEEEDaSP_SQ_EUlSP_E_NS1_11comp_targetILNS1_3genE8ELNS1_11target_archE1030ELNS1_3gpuE2ELNS1_3repE0EEENS1_30default_config_static_selectorELNS0_4arch9wavefront6targetE1EEEvT1_,comdat
.Lfunc_end1842:
	.size	_ZN7rocprim17ROCPRIM_400000_NS6detail17trampoline_kernelINS0_14default_configENS1_20scan_config_selectorIdEEZZNS1_9scan_implILNS1_25lookback_scan_determinismE0ELb0ELb0ES3_N6thrust23THRUST_200600_302600_NS6detail15normal_iteratorINS9_10device_ptrIdEEEESE_d11max_functorIdEdEEDaPvRmT3_T4_T5_mT6_P12ihipStream_tbENKUlT_T0_E_clISt17integral_constantIbLb1EEST_IbLb0EEEEDaSP_SQ_EUlSP_E_NS1_11comp_targetILNS1_3genE8ELNS1_11target_archE1030ELNS1_3gpuE2ELNS1_3repE0EEENS1_30default_config_static_selectorELNS0_4arch9wavefront6targetE1EEEvT1_, .Lfunc_end1842-_ZN7rocprim17ROCPRIM_400000_NS6detail17trampoline_kernelINS0_14default_configENS1_20scan_config_selectorIdEEZZNS1_9scan_implILNS1_25lookback_scan_determinismE0ELb0ELb0ES3_N6thrust23THRUST_200600_302600_NS6detail15normal_iteratorINS9_10device_ptrIdEEEESE_d11max_functorIdEdEEDaPvRmT3_T4_T5_mT6_P12ihipStream_tbENKUlT_T0_E_clISt17integral_constantIbLb1EEST_IbLb0EEEEDaSP_SQ_EUlSP_E_NS1_11comp_targetILNS1_3genE8ELNS1_11target_archE1030ELNS1_3gpuE2ELNS1_3repE0EEENS1_30default_config_static_selectorELNS0_4arch9wavefront6targetE1EEEvT1_
                                        ; -- End function
	.section	.AMDGPU.csdata,"",@progbits
; Kernel info:
; codeLenInByte = 0
; NumSgprs: 4
; NumVgprs: 0
; NumAgprs: 0
; TotalNumVgprs: 0
; ScratchSize: 0
; MemoryBound: 0
; FloatMode: 240
; IeeeMode: 1
; LDSByteSize: 0 bytes/workgroup (compile time only)
; SGPRBlocks: 0
; VGPRBlocks: 0
; NumSGPRsForWavesPerEU: 4
; NumVGPRsForWavesPerEU: 1
; AccumOffset: 4
; Occupancy: 8
; WaveLimiterHint : 0
; COMPUTE_PGM_RSRC2:SCRATCH_EN: 0
; COMPUTE_PGM_RSRC2:USER_SGPR: 6
; COMPUTE_PGM_RSRC2:TRAP_HANDLER: 0
; COMPUTE_PGM_RSRC2:TGID_X_EN: 1
; COMPUTE_PGM_RSRC2:TGID_Y_EN: 0
; COMPUTE_PGM_RSRC2:TGID_Z_EN: 0
; COMPUTE_PGM_RSRC2:TIDIG_COMP_CNT: 0
; COMPUTE_PGM_RSRC3_GFX90A:ACCUM_OFFSET: 0
; COMPUTE_PGM_RSRC3_GFX90A:TG_SPLIT: 0
	.section	.text._ZN7rocprim17ROCPRIM_400000_NS6detail17trampoline_kernelINS0_14default_configENS1_20scan_config_selectorIdEEZZNS1_9scan_implILNS1_25lookback_scan_determinismE0ELb0ELb0ES3_N6thrust23THRUST_200600_302600_NS6detail15normal_iteratorINS9_10device_ptrIdEEEESE_d11max_functorIdEdEEDaPvRmT3_T4_T5_mT6_P12ihipStream_tbENKUlT_T0_E_clISt17integral_constantIbLb1EEST_IbLb0EEEEDaSP_SQ_EUlSP_E0_NS1_11comp_targetILNS1_3genE0ELNS1_11target_archE4294967295ELNS1_3gpuE0ELNS1_3repE0EEENS1_30default_config_static_selectorELNS0_4arch9wavefront6targetE1EEEvT1_,"axG",@progbits,_ZN7rocprim17ROCPRIM_400000_NS6detail17trampoline_kernelINS0_14default_configENS1_20scan_config_selectorIdEEZZNS1_9scan_implILNS1_25lookback_scan_determinismE0ELb0ELb0ES3_N6thrust23THRUST_200600_302600_NS6detail15normal_iteratorINS9_10device_ptrIdEEEESE_d11max_functorIdEdEEDaPvRmT3_T4_T5_mT6_P12ihipStream_tbENKUlT_T0_E_clISt17integral_constantIbLb1EEST_IbLb0EEEEDaSP_SQ_EUlSP_E0_NS1_11comp_targetILNS1_3genE0ELNS1_11target_archE4294967295ELNS1_3gpuE0ELNS1_3repE0EEENS1_30default_config_static_selectorELNS0_4arch9wavefront6targetE1EEEvT1_,comdat
	.protected	_ZN7rocprim17ROCPRIM_400000_NS6detail17trampoline_kernelINS0_14default_configENS1_20scan_config_selectorIdEEZZNS1_9scan_implILNS1_25lookback_scan_determinismE0ELb0ELb0ES3_N6thrust23THRUST_200600_302600_NS6detail15normal_iteratorINS9_10device_ptrIdEEEESE_d11max_functorIdEdEEDaPvRmT3_T4_T5_mT6_P12ihipStream_tbENKUlT_T0_E_clISt17integral_constantIbLb1EEST_IbLb0EEEEDaSP_SQ_EUlSP_E0_NS1_11comp_targetILNS1_3genE0ELNS1_11target_archE4294967295ELNS1_3gpuE0ELNS1_3repE0EEENS1_30default_config_static_selectorELNS0_4arch9wavefront6targetE1EEEvT1_ ; -- Begin function _ZN7rocprim17ROCPRIM_400000_NS6detail17trampoline_kernelINS0_14default_configENS1_20scan_config_selectorIdEEZZNS1_9scan_implILNS1_25lookback_scan_determinismE0ELb0ELb0ES3_N6thrust23THRUST_200600_302600_NS6detail15normal_iteratorINS9_10device_ptrIdEEEESE_d11max_functorIdEdEEDaPvRmT3_T4_T5_mT6_P12ihipStream_tbENKUlT_T0_E_clISt17integral_constantIbLb1EEST_IbLb0EEEEDaSP_SQ_EUlSP_E0_NS1_11comp_targetILNS1_3genE0ELNS1_11target_archE4294967295ELNS1_3gpuE0ELNS1_3repE0EEENS1_30default_config_static_selectorELNS0_4arch9wavefront6targetE1EEEvT1_
	.globl	_ZN7rocprim17ROCPRIM_400000_NS6detail17trampoline_kernelINS0_14default_configENS1_20scan_config_selectorIdEEZZNS1_9scan_implILNS1_25lookback_scan_determinismE0ELb0ELb0ES3_N6thrust23THRUST_200600_302600_NS6detail15normal_iteratorINS9_10device_ptrIdEEEESE_d11max_functorIdEdEEDaPvRmT3_T4_T5_mT6_P12ihipStream_tbENKUlT_T0_E_clISt17integral_constantIbLb1EEST_IbLb0EEEEDaSP_SQ_EUlSP_E0_NS1_11comp_targetILNS1_3genE0ELNS1_11target_archE4294967295ELNS1_3gpuE0ELNS1_3repE0EEENS1_30default_config_static_selectorELNS0_4arch9wavefront6targetE1EEEvT1_
	.p2align	8
	.type	_ZN7rocprim17ROCPRIM_400000_NS6detail17trampoline_kernelINS0_14default_configENS1_20scan_config_selectorIdEEZZNS1_9scan_implILNS1_25lookback_scan_determinismE0ELb0ELb0ES3_N6thrust23THRUST_200600_302600_NS6detail15normal_iteratorINS9_10device_ptrIdEEEESE_d11max_functorIdEdEEDaPvRmT3_T4_T5_mT6_P12ihipStream_tbENKUlT_T0_E_clISt17integral_constantIbLb1EEST_IbLb0EEEEDaSP_SQ_EUlSP_E0_NS1_11comp_targetILNS1_3genE0ELNS1_11target_archE4294967295ELNS1_3gpuE0ELNS1_3repE0EEENS1_30default_config_static_selectorELNS0_4arch9wavefront6targetE1EEEvT1_,@function
_ZN7rocprim17ROCPRIM_400000_NS6detail17trampoline_kernelINS0_14default_configENS1_20scan_config_selectorIdEEZZNS1_9scan_implILNS1_25lookback_scan_determinismE0ELb0ELb0ES3_N6thrust23THRUST_200600_302600_NS6detail15normal_iteratorINS9_10device_ptrIdEEEESE_d11max_functorIdEdEEDaPvRmT3_T4_T5_mT6_P12ihipStream_tbENKUlT_T0_E_clISt17integral_constantIbLb1EEST_IbLb0EEEEDaSP_SQ_EUlSP_E0_NS1_11comp_targetILNS1_3genE0ELNS1_11target_archE4294967295ELNS1_3gpuE0ELNS1_3repE0EEENS1_30default_config_static_selectorELNS0_4arch9wavefront6targetE1EEEvT1_: ; @_ZN7rocprim17ROCPRIM_400000_NS6detail17trampoline_kernelINS0_14default_configENS1_20scan_config_selectorIdEEZZNS1_9scan_implILNS1_25lookback_scan_determinismE0ELb0ELb0ES3_N6thrust23THRUST_200600_302600_NS6detail15normal_iteratorINS9_10device_ptrIdEEEESE_d11max_functorIdEdEEDaPvRmT3_T4_T5_mT6_P12ihipStream_tbENKUlT_T0_E_clISt17integral_constantIbLb1EEST_IbLb0EEEEDaSP_SQ_EUlSP_E0_NS1_11comp_targetILNS1_3genE0ELNS1_11target_archE4294967295ELNS1_3gpuE0ELNS1_3repE0EEENS1_30default_config_static_selectorELNS0_4arch9wavefront6targetE1EEEvT1_
; %bb.0:
	.section	.rodata,"a",@progbits
	.p2align	6, 0x0
	.amdhsa_kernel _ZN7rocprim17ROCPRIM_400000_NS6detail17trampoline_kernelINS0_14default_configENS1_20scan_config_selectorIdEEZZNS1_9scan_implILNS1_25lookback_scan_determinismE0ELb0ELb0ES3_N6thrust23THRUST_200600_302600_NS6detail15normal_iteratorINS9_10device_ptrIdEEEESE_d11max_functorIdEdEEDaPvRmT3_T4_T5_mT6_P12ihipStream_tbENKUlT_T0_E_clISt17integral_constantIbLb1EEST_IbLb0EEEEDaSP_SQ_EUlSP_E0_NS1_11comp_targetILNS1_3genE0ELNS1_11target_archE4294967295ELNS1_3gpuE0ELNS1_3repE0EEENS1_30default_config_static_selectorELNS0_4arch9wavefront6targetE1EEEvT1_
		.amdhsa_group_segment_fixed_size 0
		.amdhsa_private_segment_fixed_size 0
		.amdhsa_kernarg_size 40
		.amdhsa_user_sgpr_count 6
		.amdhsa_user_sgpr_private_segment_buffer 1
		.amdhsa_user_sgpr_dispatch_ptr 0
		.amdhsa_user_sgpr_queue_ptr 0
		.amdhsa_user_sgpr_kernarg_segment_ptr 1
		.amdhsa_user_sgpr_dispatch_id 0
		.amdhsa_user_sgpr_flat_scratch_init 0
		.amdhsa_user_sgpr_kernarg_preload_length 0
		.amdhsa_user_sgpr_kernarg_preload_offset 0
		.amdhsa_user_sgpr_private_segment_size 0
		.amdhsa_uses_dynamic_stack 0
		.amdhsa_system_sgpr_private_segment_wavefront_offset 0
		.amdhsa_system_sgpr_workgroup_id_x 1
		.amdhsa_system_sgpr_workgroup_id_y 0
		.amdhsa_system_sgpr_workgroup_id_z 0
		.amdhsa_system_sgpr_workgroup_info 0
		.amdhsa_system_vgpr_workitem_id 0
		.amdhsa_next_free_vgpr 1
		.amdhsa_next_free_sgpr 0
		.amdhsa_accum_offset 4
		.amdhsa_reserve_vcc 0
		.amdhsa_reserve_flat_scratch 0
		.amdhsa_float_round_mode_32 0
		.amdhsa_float_round_mode_16_64 0
		.amdhsa_float_denorm_mode_32 3
		.amdhsa_float_denorm_mode_16_64 3
		.amdhsa_dx10_clamp 1
		.amdhsa_ieee_mode 1
		.amdhsa_fp16_overflow 0
		.amdhsa_tg_split 0
		.amdhsa_exception_fp_ieee_invalid_op 0
		.amdhsa_exception_fp_denorm_src 0
		.amdhsa_exception_fp_ieee_div_zero 0
		.amdhsa_exception_fp_ieee_overflow 0
		.amdhsa_exception_fp_ieee_underflow 0
		.amdhsa_exception_fp_ieee_inexact 0
		.amdhsa_exception_int_div_zero 0
	.end_amdhsa_kernel
	.section	.text._ZN7rocprim17ROCPRIM_400000_NS6detail17trampoline_kernelINS0_14default_configENS1_20scan_config_selectorIdEEZZNS1_9scan_implILNS1_25lookback_scan_determinismE0ELb0ELb0ES3_N6thrust23THRUST_200600_302600_NS6detail15normal_iteratorINS9_10device_ptrIdEEEESE_d11max_functorIdEdEEDaPvRmT3_T4_T5_mT6_P12ihipStream_tbENKUlT_T0_E_clISt17integral_constantIbLb1EEST_IbLb0EEEEDaSP_SQ_EUlSP_E0_NS1_11comp_targetILNS1_3genE0ELNS1_11target_archE4294967295ELNS1_3gpuE0ELNS1_3repE0EEENS1_30default_config_static_selectorELNS0_4arch9wavefront6targetE1EEEvT1_,"axG",@progbits,_ZN7rocprim17ROCPRIM_400000_NS6detail17trampoline_kernelINS0_14default_configENS1_20scan_config_selectorIdEEZZNS1_9scan_implILNS1_25lookback_scan_determinismE0ELb0ELb0ES3_N6thrust23THRUST_200600_302600_NS6detail15normal_iteratorINS9_10device_ptrIdEEEESE_d11max_functorIdEdEEDaPvRmT3_T4_T5_mT6_P12ihipStream_tbENKUlT_T0_E_clISt17integral_constantIbLb1EEST_IbLb0EEEEDaSP_SQ_EUlSP_E0_NS1_11comp_targetILNS1_3genE0ELNS1_11target_archE4294967295ELNS1_3gpuE0ELNS1_3repE0EEENS1_30default_config_static_selectorELNS0_4arch9wavefront6targetE1EEEvT1_,comdat
.Lfunc_end1843:
	.size	_ZN7rocprim17ROCPRIM_400000_NS6detail17trampoline_kernelINS0_14default_configENS1_20scan_config_selectorIdEEZZNS1_9scan_implILNS1_25lookback_scan_determinismE0ELb0ELb0ES3_N6thrust23THRUST_200600_302600_NS6detail15normal_iteratorINS9_10device_ptrIdEEEESE_d11max_functorIdEdEEDaPvRmT3_T4_T5_mT6_P12ihipStream_tbENKUlT_T0_E_clISt17integral_constantIbLb1EEST_IbLb0EEEEDaSP_SQ_EUlSP_E0_NS1_11comp_targetILNS1_3genE0ELNS1_11target_archE4294967295ELNS1_3gpuE0ELNS1_3repE0EEENS1_30default_config_static_selectorELNS0_4arch9wavefront6targetE1EEEvT1_, .Lfunc_end1843-_ZN7rocprim17ROCPRIM_400000_NS6detail17trampoline_kernelINS0_14default_configENS1_20scan_config_selectorIdEEZZNS1_9scan_implILNS1_25lookback_scan_determinismE0ELb0ELb0ES3_N6thrust23THRUST_200600_302600_NS6detail15normal_iteratorINS9_10device_ptrIdEEEESE_d11max_functorIdEdEEDaPvRmT3_T4_T5_mT6_P12ihipStream_tbENKUlT_T0_E_clISt17integral_constantIbLb1EEST_IbLb0EEEEDaSP_SQ_EUlSP_E0_NS1_11comp_targetILNS1_3genE0ELNS1_11target_archE4294967295ELNS1_3gpuE0ELNS1_3repE0EEENS1_30default_config_static_selectorELNS0_4arch9wavefront6targetE1EEEvT1_
                                        ; -- End function
	.section	.AMDGPU.csdata,"",@progbits
; Kernel info:
; codeLenInByte = 0
; NumSgprs: 4
; NumVgprs: 0
; NumAgprs: 0
; TotalNumVgprs: 0
; ScratchSize: 0
; MemoryBound: 0
; FloatMode: 240
; IeeeMode: 1
; LDSByteSize: 0 bytes/workgroup (compile time only)
; SGPRBlocks: 0
; VGPRBlocks: 0
; NumSGPRsForWavesPerEU: 4
; NumVGPRsForWavesPerEU: 1
; AccumOffset: 4
; Occupancy: 8
; WaveLimiterHint : 0
; COMPUTE_PGM_RSRC2:SCRATCH_EN: 0
; COMPUTE_PGM_RSRC2:USER_SGPR: 6
; COMPUTE_PGM_RSRC2:TRAP_HANDLER: 0
; COMPUTE_PGM_RSRC2:TGID_X_EN: 1
; COMPUTE_PGM_RSRC2:TGID_Y_EN: 0
; COMPUTE_PGM_RSRC2:TGID_Z_EN: 0
; COMPUTE_PGM_RSRC2:TIDIG_COMP_CNT: 0
; COMPUTE_PGM_RSRC3_GFX90A:ACCUM_OFFSET: 0
; COMPUTE_PGM_RSRC3_GFX90A:TG_SPLIT: 0
	.section	.text._ZN7rocprim17ROCPRIM_400000_NS6detail17trampoline_kernelINS0_14default_configENS1_20scan_config_selectorIdEEZZNS1_9scan_implILNS1_25lookback_scan_determinismE0ELb0ELb0ES3_N6thrust23THRUST_200600_302600_NS6detail15normal_iteratorINS9_10device_ptrIdEEEESE_d11max_functorIdEdEEDaPvRmT3_T4_T5_mT6_P12ihipStream_tbENKUlT_T0_E_clISt17integral_constantIbLb1EEST_IbLb0EEEEDaSP_SQ_EUlSP_E0_NS1_11comp_targetILNS1_3genE5ELNS1_11target_archE942ELNS1_3gpuE9ELNS1_3repE0EEENS1_30default_config_static_selectorELNS0_4arch9wavefront6targetE1EEEvT1_,"axG",@progbits,_ZN7rocprim17ROCPRIM_400000_NS6detail17trampoline_kernelINS0_14default_configENS1_20scan_config_selectorIdEEZZNS1_9scan_implILNS1_25lookback_scan_determinismE0ELb0ELb0ES3_N6thrust23THRUST_200600_302600_NS6detail15normal_iteratorINS9_10device_ptrIdEEEESE_d11max_functorIdEdEEDaPvRmT3_T4_T5_mT6_P12ihipStream_tbENKUlT_T0_E_clISt17integral_constantIbLb1EEST_IbLb0EEEEDaSP_SQ_EUlSP_E0_NS1_11comp_targetILNS1_3genE5ELNS1_11target_archE942ELNS1_3gpuE9ELNS1_3repE0EEENS1_30default_config_static_selectorELNS0_4arch9wavefront6targetE1EEEvT1_,comdat
	.protected	_ZN7rocprim17ROCPRIM_400000_NS6detail17trampoline_kernelINS0_14default_configENS1_20scan_config_selectorIdEEZZNS1_9scan_implILNS1_25lookback_scan_determinismE0ELb0ELb0ES3_N6thrust23THRUST_200600_302600_NS6detail15normal_iteratorINS9_10device_ptrIdEEEESE_d11max_functorIdEdEEDaPvRmT3_T4_T5_mT6_P12ihipStream_tbENKUlT_T0_E_clISt17integral_constantIbLb1EEST_IbLb0EEEEDaSP_SQ_EUlSP_E0_NS1_11comp_targetILNS1_3genE5ELNS1_11target_archE942ELNS1_3gpuE9ELNS1_3repE0EEENS1_30default_config_static_selectorELNS0_4arch9wavefront6targetE1EEEvT1_ ; -- Begin function _ZN7rocprim17ROCPRIM_400000_NS6detail17trampoline_kernelINS0_14default_configENS1_20scan_config_selectorIdEEZZNS1_9scan_implILNS1_25lookback_scan_determinismE0ELb0ELb0ES3_N6thrust23THRUST_200600_302600_NS6detail15normal_iteratorINS9_10device_ptrIdEEEESE_d11max_functorIdEdEEDaPvRmT3_T4_T5_mT6_P12ihipStream_tbENKUlT_T0_E_clISt17integral_constantIbLb1EEST_IbLb0EEEEDaSP_SQ_EUlSP_E0_NS1_11comp_targetILNS1_3genE5ELNS1_11target_archE942ELNS1_3gpuE9ELNS1_3repE0EEENS1_30default_config_static_selectorELNS0_4arch9wavefront6targetE1EEEvT1_
	.globl	_ZN7rocprim17ROCPRIM_400000_NS6detail17trampoline_kernelINS0_14default_configENS1_20scan_config_selectorIdEEZZNS1_9scan_implILNS1_25lookback_scan_determinismE0ELb0ELb0ES3_N6thrust23THRUST_200600_302600_NS6detail15normal_iteratorINS9_10device_ptrIdEEEESE_d11max_functorIdEdEEDaPvRmT3_T4_T5_mT6_P12ihipStream_tbENKUlT_T0_E_clISt17integral_constantIbLb1EEST_IbLb0EEEEDaSP_SQ_EUlSP_E0_NS1_11comp_targetILNS1_3genE5ELNS1_11target_archE942ELNS1_3gpuE9ELNS1_3repE0EEENS1_30default_config_static_selectorELNS0_4arch9wavefront6targetE1EEEvT1_
	.p2align	8
	.type	_ZN7rocprim17ROCPRIM_400000_NS6detail17trampoline_kernelINS0_14default_configENS1_20scan_config_selectorIdEEZZNS1_9scan_implILNS1_25lookback_scan_determinismE0ELb0ELb0ES3_N6thrust23THRUST_200600_302600_NS6detail15normal_iteratorINS9_10device_ptrIdEEEESE_d11max_functorIdEdEEDaPvRmT3_T4_T5_mT6_P12ihipStream_tbENKUlT_T0_E_clISt17integral_constantIbLb1EEST_IbLb0EEEEDaSP_SQ_EUlSP_E0_NS1_11comp_targetILNS1_3genE5ELNS1_11target_archE942ELNS1_3gpuE9ELNS1_3repE0EEENS1_30default_config_static_selectorELNS0_4arch9wavefront6targetE1EEEvT1_,@function
_ZN7rocprim17ROCPRIM_400000_NS6detail17trampoline_kernelINS0_14default_configENS1_20scan_config_selectorIdEEZZNS1_9scan_implILNS1_25lookback_scan_determinismE0ELb0ELb0ES3_N6thrust23THRUST_200600_302600_NS6detail15normal_iteratorINS9_10device_ptrIdEEEESE_d11max_functorIdEdEEDaPvRmT3_T4_T5_mT6_P12ihipStream_tbENKUlT_T0_E_clISt17integral_constantIbLb1EEST_IbLb0EEEEDaSP_SQ_EUlSP_E0_NS1_11comp_targetILNS1_3genE5ELNS1_11target_archE942ELNS1_3gpuE9ELNS1_3repE0EEENS1_30default_config_static_selectorELNS0_4arch9wavefront6targetE1EEEvT1_: ; @_ZN7rocprim17ROCPRIM_400000_NS6detail17trampoline_kernelINS0_14default_configENS1_20scan_config_selectorIdEEZZNS1_9scan_implILNS1_25lookback_scan_determinismE0ELb0ELb0ES3_N6thrust23THRUST_200600_302600_NS6detail15normal_iteratorINS9_10device_ptrIdEEEESE_d11max_functorIdEdEEDaPvRmT3_T4_T5_mT6_P12ihipStream_tbENKUlT_T0_E_clISt17integral_constantIbLb1EEST_IbLb0EEEEDaSP_SQ_EUlSP_E0_NS1_11comp_targetILNS1_3genE5ELNS1_11target_archE942ELNS1_3gpuE9ELNS1_3repE0EEENS1_30default_config_static_selectorELNS0_4arch9wavefront6targetE1EEEvT1_
; %bb.0:
	.section	.rodata,"a",@progbits
	.p2align	6, 0x0
	.amdhsa_kernel _ZN7rocprim17ROCPRIM_400000_NS6detail17trampoline_kernelINS0_14default_configENS1_20scan_config_selectorIdEEZZNS1_9scan_implILNS1_25lookback_scan_determinismE0ELb0ELb0ES3_N6thrust23THRUST_200600_302600_NS6detail15normal_iteratorINS9_10device_ptrIdEEEESE_d11max_functorIdEdEEDaPvRmT3_T4_T5_mT6_P12ihipStream_tbENKUlT_T0_E_clISt17integral_constantIbLb1EEST_IbLb0EEEEDaSP_SQ_EUlSP_E0_NS1_11comp_targetILNS1_3genE5ELNS1_11target_archE942ELNS1_3gpuE9ELNS1_3repE0EEENS1_30default_config_static_selectorELNS0_4arch9wavefront6targetE1EEEvT1_
		.amdhsa_group_segment_fixed_size 0
		.amdhsa_private_segment_fixed_size 0
		.amdhsa_kernarg_size 40
		.amdhsa_user_sgpr_count 6
		.amdhsa_user_sgpr_private_segment_buffer 1
		.amdhsa_user_sgpr_dispatch_ptr 0
		.amdhsa_user_sgpr_queue_ptr 0
		.amdhsa_user_sgpr_kernarg_segment_ptr 1
		.amdhsa_user_sgpr_dispatch_id 0
		.amdhsa_user_sgpr_flat_scratch_init 0
		.amdhsa_user_sgpr_kernarg_preload_length 0
		.amdhsa_user_sgpr_kernarg_preload_offset 0
		.amdhsa_user_sgpr_private_segment_size 0
		.amdhsa_uses_dynamic_stack 0
		.amdhsa_system_sgpr_private_segment_wavefront_offset 0
		.amdhsa_system_sgpr_workgroup_id_x 1
		.amdhsa_system_sgpr_workgroup_id_y 0
		.amdhsa_system_sgpr_workgroup_id_z 0
		.amdhsa_system_sgpr_workgroup_info 0
		.amdhsa_system_vgpr_workitem_id 0
		.amdhsa_next_free_vgpr 1
		.amdhsa_next_free_sgpr 0
		.amdhsa_accum_offset 4
		.amdhsa_reserve_vcc 0
		.amdhsa_reserve_flat_scratch 0
		.amdhsa_float_round_mode_32 0
		.amdhsa_float_round_mode_16_64 0
		.amdhsa_float_denorm_mode_32 3
		.amdhsa_float_denorm_mode_16_64 3
		.amdhsa_dx10_clamp 1
		.amdhsa_ieee_mode 1
		.amdhsa_fp16_overflow 0
		.amdhsa_tg_split 0
		.amdhsa_exception_fp_ieee_invalid_op 0
		.amdhsa_exception_fp_denorm_src 0
		.amdhsa_exception_fp_ieee_div_zero 0
		.amdhsa_exception_fp_ieee_overflow 0
		.amdhsa_exception_fp_ieee_underflow 0
		.amdhsa_exception_fp_ieee_inexact 0
		.amdhsa_exception_int_div_zero 0
	.end_amdhsa_kernel
	.section	.text._ZN7rocprim17ROCPRIM_400000_NS6detail17trampoline_kernelINS0_14default_configENS1_20scan_config_selectorIdEEZZNS1_9scan_implILNS1_25lookback_scan_determinismE0ELb0ELb0ES3_N6thrust23THRUST_200600_302600_NS6detail15normal_iteratorINS9_10device_ptrIdEEEESE_d11max_functorIdEdEEDaPvRmT3_T4_T5_mT6_P12ihipStream_tbENKUlT_T0_E_clISt17integral_constantIbLb1EEST_IbLb0EEEEDaSP_SQ_EUlSP_E0_NS1_11comp_targetILNS1_3genE5ELNS1_11target_archE942ELNS1_3gpuE9ELNS1_3repE0EEENS1_30default_config_static_selectorELNS0_4arch9wavefront6targetE1EEEvT1_,"axG",@progbits,_ZN7rocprim17ROCPRIM_400000_NS6detail17trampoline_kernelINS0_14default_configENS1_20scan_config_selectorIdEEZZNS1_9scan_implILNS1_25lookback_scan_determinismE0ELb0ELb0ES3_N6thrust23THRUST_200600_302600_NS6detail15normal_iteratorINS9_10device_ptrIdEEEESE_d11max_functorIdEdEEDaPvRmT3_T4_T5_mT6_P12ihipStream_tbENKUlT_T0_E_clISt17integral_constantIbLb1EEST_IbLb0EEEEDaSP_SQ_EUlSP_E0_NS1_11comp_targetILNS1_3genE5ELNS1_11target_archE942ELNS1_3gpuE9ELNS1_3repE0EEENS1_30default_config_static_selectorELNS0_4arch9wavefront6targetE1EEEvT1_,comdat
.Lfunc_end1844:
	.size	_ZN7rocprim17ROCPRIM_400000_NS6detail17trampoline_kernelINS0_14default_configENS1_20scan_config_selectorIdEEZZNS1_9scan_implILNS1_25lookback_scan_determinismE0ELb0ELb0ES3_N6thrust23THRUST_200600_302600_NS6detail15normal_iteratorINS9_10device_ptrIdEEEESE_d11max_functorIdEdEEDaPvRmT3_T4_T5_mT6_P12ihipStream_tbENKUlT_T0_E_clISt17integral_constantIbLb1EEST_IbLb0EEEEDaSP_SQ_EUlSP_E0_NS1_11comp_targetILNS1_3genE5ELNS1_11target_archE942ELNS1_3gpuE9ELNS1_3repE0EEENS1_30default_config_static_selectorELNS0_4arch9wavefront6targetE1EEEvT1_, .Lfunc_end1844-_ZN7rocprim17ROCPRIM_400000_NS6detail17trampoline_kernelINS0_14default_configENS1_20scan_config_selectorIdEEZZNS1_9scan_implILNS1_25lookback_scan_determinismE0ELb0ELb0ES3_N6thrust23THRUST_200600_302600_NS6detail15normal_iteratorINS9_10device_ptrIdEEEESE_d11max_functorIdEdEEDaPvRmT3_T4_T5_mT6_P12ihipStream_tbENKUlT_T0_E_clISt17integral_constantIbLb1EEST_IbLb0EEEEDaSP_SQ_EUlSP_E0_NS1_11comp_targetILNS1_3genE5ELNS1_11target_archE942ELNS1_3gpuE9ELNS1_3repE0EEENS1_30default_config_static_selectorELNS0_4arch9wavefront6targetE1EEEvT1_
                                        ; -- End function
	.section	.AMDGPU.csdata,"",@progbits
; Kernel info:
; codeLenInByte = 0
; NumSgprs: 4
; NumVgprs: 0
; NumAgprs: 0
; TotalNumVgprs: 0
; ScratchSize: 0
; MemoryBound: 0
; FloatMode: 240
; IeeeMode: 1
; LDSByteSize: 0 bytes/workgroup (compile time only)
; SGPRBlocks: 0
; VGPRBlocks: 0
; NumSGPRsForWavesPerEU: 4
; NumVGPRsForWavesPerEU: 1
; AccumOffset: 4
; Occupancy: 8
; WaveLimiterHint : 0
; COMPUTE_PGM_RSRC2:SCRATCH_EN: 0
; COMPUTE_PGM_RSRC2:USER_SGPR: 6
; COMPUTE_PGM_RSRC2:TRAP_HANDLER: 0
; COMPUTE_PGM_RSRC2:TGID_X_EN: 1
; COMPUTE_PGM_RSRC2:TGID_Y_EN: 0
; COMPUTE_PGM_RSRC2:TGID_Z_EN: 0
; COMPUTE_PGM_RSRC2:TIDIG_COMP_CNT: 0
; COMPUTE_PGM_RSRC3_GFX90A:ACCUM_OFFSET: 0
; COMPUTE_PGM_RSRC3_GFX90A:TG_SPLIT: 0
	.section	.text._ZN7rocprim17ROCPRIM_400000_NS6detail17trampoline_kernelINS0_14default_configENS1_20scan_config_selectorIdEEZZNS1_9scan_implILNS1_25lookback_scan_determinismE0ELb0ELb0ES3_N6thrust23THRUST_200600_302600_NS6detail15normal_iteratorINS9_10device_ptrIdEEEESE_d11max_functorIdEdEEDaPvRmT3_T4_T5_mT6_P12ihipStream_tbENKUlT_T0_E_clISt17integral_constantIbLb1EEST_IbLb0EEEEDaSP_SQ_EUlSP_E0_NS1_11comp_targetILNS1_3genE4ELNS1_11target_archE910ELNS1_3gpuE8ELNS1_3repE0EEENS1_30default_config_static_selectorELNS0_4arch9wavefront6targetE1EEEvT1_,"axG",@progbits,_ZN7rocprim17ROCPRIM_400000_NS6detail17trampoline_kernelINS0_14default_configENS1_20scan_config_selectorIdEEZZNS1_9scan_implILNS1_25lookback_scan_determinismE0ELb0ELb0ES3_N6thrust23THRUST_200600_302600_NS6detail15normal_iteratorINS9_10device_ptrIdEEEESE_d11max_functorIdEdEEDaPvRmT3_T4_T5_mT6_P12ihipStream_tbENKUlT_T0_E_clISt17integral_constantIbLb1EEST_IbLb0EEEEDaSP_SQ_EUlSP_E0_NS1_11comp_targetILNS1_3genE4ELNS1_11target_archE910ELNS1_3gpuE8ELNS1_3repE0EEENS1_30default_config_static_selectorELNS0_4arch9wavefront6targetE1EEEvT1_,comdat
	.protected	_ZN7rocprim17ROCPRIM_400000_NS6detail17trampoline_kernelINS0_14default_configENS1_20scan_config_selectorIdEEZZNS1_9scan_implILNS1_25lookback_scan_determinismE0ELb0ELb0ES3_N6thrust23THRUST_200600_302600_NS6detail15normal_iteratorINS9_10device_ptrIdEEEESE_d11max_functorIdEdEEDaPvRmT3_T4_T5_mT6_P12ihipStream_tbENKUlT_T0_E_clISt17integral_constantIbLb1EEST_IbLb0EEEEDaSP_SQ_EUlSP_E0_NS1_11comp_targetILNS1_3genE4ELNS1_11target_archE910ELNS1_3gpuE8ELNS1_3repE0EEENS1_30default_config_static_selectorELNS0_4arch9wavefront6targetE1EEEvT1_ ; -- Begin function _ZN7rocprim17ROCPRIM_400000_NS6detail17trampoline_kernelINS0_14default_configENS1_20scan_config_selectorIdEEZZNS1_9scan_implILNS1_25lookback_scan_determinismE0ELb0ELb0ES3_N6thrust23THRUST_200600_302600_NS6detail15normal_iteratorINS9_10device_ptrIdEEEESE_d11max_functorIdEdEEDaPvRmT3_T4_T5_mT6_P12ihipStream_tbENKUlT_T0_E_clISt17integral_constantIbLb1EEST_IbLb0EEEEDaSP_SQ_EUlSP_E0_NS1_11comp_targetILNS1_3genE4ELNS1_11target_archE910ELNS1_3gpuE8ELNS1_3repE0EEENS1_30default_config_static_selectorELNS0_4arch9wavefront6targetE1EEEvT1_
	.globl	_ZN7rocprim17ROCPRIM_400000_NS6detail17trampoline_kernelINS0_14default_configENS1_20scan_config_selectorIdEEZZNS1_9scan_implILNS1_25lookback_scan_determinismE0ELb0ELb0ES3_N6thrust23THRUST_200600_302600_NS6detail15normal_iteratorINS9_10device_ptrIdEEEESE_d11max_functorIdEdEEDaPvRmT3_T4_T5_mT6_P12ihipStream_tbENKUlT_T0_E_clISt17integral_constantIbLb1EEST_IbLb0EEEEDaSP_SQ_EUlSP_E0_NS1_11comp_targetILNS1_3genE4ELNS1_11target_archE910ELNS1_3gpuE8ELNS1_3repE0EEENS1_30default_config_static_selectorELNS0_4arch9wavefront6targetE1EEEvT1_
	.p2align	8
	.type	_ZN7rocprim17ROCPRIM_400000_NS6detail17trampoline_kernelINS0_14default_configENS1_20scan_config_selectorIdEEZZNS1_9scan_implILNS1_25lookback_scan_determinismE0ELb0ELb0ES3_N6thrust23THRUST_200600_302600_NS6detail15normal_iteratorINS9_10device_ptrIdEEEESE_d11max_functorIdEdEEDaPvRmT3_T4_T5_mT6_P12ihipStream_tbENKUlT_T0_E_clISt17integral_constantIbLb1EEST_IbLb0EEEEDaSP_SQ_EUlSP_E0_NS1_11comp_targetILNS1_3genE4ELNS1_11target_archE910ELNS1_3gpuE8ELNS1_3repE0EEENS1_30default_config_static_selectorELNS0_4arch9wavefront6targetE1EEEvT1_,@function
_ZN7rocprim17ROCPRIM_400000_NS6detail17trampoline_kernelINS0_14default_configENS1_20scan_config_selectorIdEEZZNS1_9scan_implILNS1_25lookback_scan_determinismE0ELb0ELb0ES3_N6thrust23THRUST_200600_302600_NS6detail15normal_iteratorINS9_10device_ptrIdEEEESE_d11max_functorIdEdEEDaPvRmT3_T4_T5_mT6_P12ihipStream_tbENKUlT_T0_E_clISt17integral_constantIbLb1EEST_IbLb0EEEEDaSP_SQ_EUlSP_E0_NS1_11comp_targetILNS1_3genE4ELNS1_11target_archE910ELNS1_3gpuE8ELNS1_3repE0EEENS1_30default_config_static_selectorELNS0_4arch9wavefront6targetE1EEEvT1_: ; @_ZN7rocprim17ROCPRIM_400000_NS6detail17trampoline_kernelINS0_14default_configENS1_20scan_config_selectorIdEEZZNS1_9scan_implILNS1_25lookback_scan_determinismE0ELb0ELb0ES3_N6thrust23THRUST_200600_302600_NS6detail15normal_iteratorINS9_10device_ptrIdEEEESE_d11max_functorIdEdEEDaPvRmT3_T4_T5_mT6_P12ihipStream_tbENKUlT_T0_E_clISt17integral_constantIbLb1EEST_IbLb0EEEEDaSP_SQ_EUlSP_E0_NS1_11comp_targetILNS1_3genE4ELNS1_11target_archE910ELNS1_3gpuE8ELNS1_3repE0EEENS1_30default_config_static_selectorELNS0_4arch9wavefront6targetE1EEEvT1_
; %bb.0:
	s_load_dwordx4 s[20:23], s[4:5], 0x0
	v_lshlrev_b32_e32 v26, 3, v0
	s_waitcnt lgkmcnt(0)
	s_load_dwordx2 s[24:25], s[20:21], 0x0
	v_cmp_gt_u32_e32 vcc, s22, v0
	s_waitcnt lgkmcnt(0)
	v_pk_mov_b32 v[2:3], s[24:25], s[24:25] op_sel:[0,1]
	s_and_saveexec_b64 s[0:1], vcc
	s_cbranch_execz .LBB1845_2
; %bb.1:
	global_load_dwordx2 v[2:3], v26, s[20:21]
.LBB1845_2:
	s_or_b64 exec, exec, s[0:1]
	v_or_b32_e32 v1, 0x80, v0
	v_cmp_gt_u32_e64 s[0:1], s22, v1
	v_pk_mov_b32 v[4:5], s[24:25], s[24:25] op_sel:[0,1]
	s_and_saveexec_b64 s[2:3], s[0:1]
	s_cbranch_execz .LBB1845_4
; %bb.3:
	global_load_dwordx2 v[4:5], v26, s[20:21] offset:1024
.LBB1845_4:
	s_or_b64 exec, exec, s[2:3]
	v_or_b32_e32 v1, 0x100, v0
	v_cmp_gt_u32_e64 s[2:3], s22, v1
	v_pk_mov_b32 v[6:7], s[24:25], s[24:25] op_sel:[0,1]
	s_and_saveexec_b64 s[6:7], s[2:3]
	s_cbranch_execz .LBB1845_6
; %bb.5:
	global_load_dwordx2 v[6:7], v26, s[20:21] offset:2048
.LBB1845_6:
	;; [unrolled: 9-line block ×3, first 2 shown]
	s_or_b64 exec, exec, s[6:7]
	v_or_b32_e32 v1, 0x200, v0
	v_cmp_gt_u32_e64 s[6:7], s22, v1
	v_pk_mov_b32 v[10:11], s[24:25], s[24:25] op_sel:[0,1]
	s_and_saveexec_b64 s[8:9], s[6:7]
	s_cbranch_execz .LBB1845_10
; %bb.9:
	v_lshlrev_b32_e32 v1, 3, v1
	global_load_dwordx2 v[10:11], v1, s[20:21]
.LBB1845_10:
	s_or_b64 exec, exec, s[8:9]
	v_or_b32_e32 v1, 0x280, v0
	v_cmp_gt_u32_e64 s[8:9], s22, v1
	v_pk_mov_b32 v[12:13], s[24:25], s[24:25] op_sel:[0,1]
	s_and_saveexec_b64 s[10:11], s[8:9]
	s_cbranch_execz .LBB1845_12
; %bb.11:
	v_lshlrev_b32_e32 v1, 3, v1
	global_load_dwordx2 v[12:13], v1, s[20:21]
.LBB1845_12:
	;; [unrolled: 10-line block ×6, first 2 shown]
	s_or_b64 exec, exec, s[22:23]
	s_movk_i32 s20, 0x48
	v_mad_u32_u24 v1, v0, s20, v26
	s_waitcnt vmcnt(0)
	ds_write2st64_b64 v26, v[2:3], v[4:5] offset1:2
	ds_write2st64_b64 v26, v[6:7], v[8:9] offset0:4 offset1:6
	ds_write2st64_b64 v26, v[10:11], v[12:13] offset0:8 offset1:10
	;; [unrolled: 1-line block ×4, first 2 shown]
	s_waitcnt lgkmcnt(0)
	s_barrier
	ds_read_b128 v[2:5], v1
	ds_read_b128 v[18:21], v1 offset:16
	ds_read_b128 v[10:13], v1 offset:32
	;; [unrolled: 1-line block ×4, first 2 shown]
	s_waitcnt lgkmcnt(4)
	v_cmp_lt_f64_e64 s[20:21], v[2:3], v[4:5]
	v_cndmask_b32_e64 v23, v3, v5, s[20:21]
	v_cndmask_b32_e64 v22, v2, v4, s[20:21]
	s_waitcnt lgkmcnt(3)
	v_cmp_lt_f64_e64 s[20:21], v[22:23], v[18:19]
	v_cndmask_b32_e64 v23, v23, v19, s[20:21]
	v_cndmask_b32_e64 v22, v22, v18, s[20:21]
	v_cmp_lt_f64_e64 s[20:21], v[22:23], v[20:21]
	v_cndmask_b32_e64 v23, v23, v21, s[20:21]
	v_cndmask_b32_e64 v22, v22, v20, s[20:21]
	s_waitcnt lgkmcnt(2)
	v_cmp_lt_f64_e64 s[20:21], v[22:23], v[10:11]
	v_cndmask_b32_e64 v23, v23, v11, s[20:21]
	v_cndmask_b32_e64 v22, v22, v10, s[20:21]
	;; [unrolled: 7-line block ×4, first 2 shown]
	v_mbcnt_lo_u32_b32 v24, -1, 0
	v_cmp_lt_f64_e64 s[20:21], v[22:23], v[16:17]
	v_mbcnt_hi_u32_b32 v27, -1, v24
	v_cndmask_b32_e64 v23, v23, v17, s[20:21]
	v_cndmask_b32_e64 v22, v22, v16, s[20:21]
	v_and_b32_e32 v28, 15, v27
	v_mov_b32_dpp v25, v23 row_shr:1 row_mask:0xf bank_mask:0xf
	v_mov_b32_dpp v24, v22 row_shr:1 row_mask:0xf bank_mask:0xf
	v_cmp_ne_u32_e64 s[20:21], 0, v28
	s_barrier
	s_and_saveexec_b64 s[22:23], s[20:21]
; %bb.21:
	v_cmp_gt_f64_e64 s[20:21], v[22:23], v[24:25]
	v_cndmask_b32_e64 v23, v25, v23, s[20:21]
	v_cndmask_b32_e64 v22, v24, v22, s[20:21]
; %bb.22:
	s_or_b64 exec, exec, s[22:23]
	s_nop 0
	v_mov_b32_dpp v24, v22 row_shr:2 row_mask:0xf bank_mask:0xf
	v_mov_b32_dpp v25, v23 row_shr:2 row_mask:0xf bank_mask:0xf
	v_cmp_lt_u32_e64 s[20:21], 1, v28
	s_and_saveexec_b64 s[22:23], s[20:21]
; %bb.23:
	v_cmp_gt_f64_e64 s[20:21], v[22:23], v[24:25]
	v_cndmask_b32_e64 v23, v25, v23, s[20:21]
	v_cndmask_b32_e64 v22, v24, v22, s[20:21]
; %bb.24:
	s_or_b64 exec, exec, s[22:23]
	s_nop 0
	v_mov_b32_dpp v24, v22 row_shr:4 row_mask:0xf bank_mask:0xf
	v_mov_b32_dpp v25, v23 row_shr:4 row_mask:0xf bank_mask:0xf
	v_cmp_lt_u32_e64 s[20:21], 3, v28
	;; [unrolled: 11-line block ×3, first 2 shown]
	s_and_saveexec_b64 s[22:23], s[20:21]
; %bb.27:
	v_cmp_gt_f64_e64 s[20:21], v[22:23], v[24:25]
	v_cndmask_b32_e64 v23, v25, v23, s[20:21]
	v_cndmask_b32_e64 v22, v24, v22, s[20:21]
; %bb.28:
	s_or_b64 exec, exec, s[22:23]
	v_and_b32_e32 v28, 16, v27
	v_mov_b32_dpp v24, v22 row_bcast:15 row_mask:0xf bank_mask:0xf
	v_mov_b32_dpp v25, v23 row_bcast:15 row_mask:0xf bank_mask:0xf
	v_cmp_ne_u32_e64 s[20:21], 0, v28
	s_and_saveexec_b64 s[22:23], s[20:21]
; %bb.29:
	v_cmp_gt_f64_e64 s[20:21], v[22:23], v[24:25]
	v_cndmask_b32_e64 v23, v25, v23, s[20:21]
	v_cndmask_b32_e64 v22, v24, v22, s[20:21]
; %bb.30:
	s_or_b64 exec, exec, s[22:23]
	s_nop 0
	v_mov_b32_dpp v24, v22 row_bcast:31 row_mask:0xf bank_mask:0xf
	v_mov_b32_dpp v25, v23 row_bcast:31 row_mask:0xf bank_mask:0xf
	v_cmp_gt_f64_e64 s[20:21], v[22:23], v[24:25]
	v_cndmask_b32_e64 v24, v24, v22, s[20:21]
	v_cndmask_b32_e64 v25, v25, v23, s[20:21]
	v_cmp_lt_u32_e64 s[20:21], 31, v27
	v_cndmask_b32_e64 v22, v22, v24, s[20:21]
	v_or_b32_e32 v24, 63, v0
	v_cndmask_b32_e64 v23, v23, v25, s[20:21]
	v_lshrrev_b32_e32 v28, 6, v0
	v_cmp_eq_u32_e64 s[20:21], v24, v0
	s_and_saveexec_b64 s[22:23], s[20:21]
	s_cbranch_execz .LBB1845_32
; %bb.31:
	v_lshlrev_b32_e32 v24, 3, v28
	ds_write_b64 v24, v[22:23]
.LBB1845_32:
	s_or_b64 exec, exec, s[22:23]
	v_cmp_gt_u32_e64 s[20:21], 2, v0
	s_waitcnt lgkmcnt(0)
	s_barrier
	s_and_saveexec_b64 s[24:25], s[20:21]
	s_cbranch_execz .LBB1845_34
; %bb.33:
	ds_read_b64 v[24:25], v26
	v_and_b32_e32 v29, 1, v27
	v_cmp_eq_u32_e64 s[20:21], 0, v29
	s_waitcnt lgkmcnt(0)
	v_mov_b32_dpp v32, v25 row_shr:1 row_mask:0xf bank_mask:0xf
	v_mov_b32_dpp v30, v24 row_shr:1 row_mask:0xf bank_mask:0xf
	v_mov_b32_e32 v31, v32
	v_cmp_gt_f64_e64 s[22:23], v[24:25], v[30:31]
	s_or_b64 s[20:21], s[20:21], s[22:23]
	v_cndmask_b32_e64 v25, v32, v25, s[20:21]
	v_cndmask_b32_e64 v24, v30, v24, s[20:21]
	ds_write_b64 v26, v[24:25]
.LBB1845_34:
	s_or_b64 exec, exec, s[24:25]
	s_load_dwordx2 s[20:21], s[4:5], 0x20
	v_cmp_lt_u32_e64 s[4:5], 63, v0
	s_waitcnt lgkmcnt(0)
	s_barrier
	s_waitcnt lgkmcnt(0)
                                        ; implicit-def: $vgpr24_vgpr25
	s_and_saveexec_b64 s[22:23], s[4:5]
	s_cbranch_execz .LBB1845_36
; %bb.35:
	v_lshl_add_u32 v24, v28, 3, -8
	ds_read_b64 v[24:25], v24
	s_waitcnt lgkmcnt(0)
	v_cmp_lt_f64_e64 s[4:5], v[24:25], v[22:23]
	v_cndmask_b32_e64 v23, v25, v23, s[4:5]
	v_cndmask_b32_e64 v22, v24, v22, s[4:5]
.LBB1845_36:
	s_or_b64 exec, exec, s[22:23]
	v_add_u32_e32 v28, -1, v27
	v_and_b32_e32 v29, 64, v27
	v_cmp_lt_i32_e64 s[4:5], v28, v29
	v_cndmask_b32_e64 v28, v28, v27, s[4:5]
	v_lshlrev_b32_e32 v28, 2, v28
	ds_bpermute_b32 v22, v28, v22
	ds_bpermute_b32 v23, v28, v23
	v_cmp_ne_u32_e64 s[4:5], 0, v0
	s_and_saveexec_b64 s[22:23], s[4:5]
	s_cbranch_execz .LBB1845_38
; %bb.37:
	v_cmp_eq_u32_e64 s[4:5], 0, v27
	s_waitcnt lgkmcnt(0)
	v_cndmask_b32_e64 v23, v23, v25, s[4:5]
	v_cndmask_b32_e64 v22, v22, v24, s[4:5]
	v_cmp_gt_f64_e64 s[4:5], v[2:3], v[22:23]
	v_cndmask_b32_e64 v3, v23, v3, s[4:5]
	v_cndmask_b32_e64 v2, v22, v2, s[4:5]
	;;#ASMSTART
	;;#ASMEND
.LBB1845_38:
	s_or_b64 exec, exec, s[22:23]
	v_cmp_gt_f64_e64 s[4:5], v[4:5], v[2:3]
	v_cndmask_b32_e64 v5, v3, v5, s[4:5]
	v_cndmask_b32_e64 v4, v2, v4, s[4:5]
	v_cmp_lt_f64_e64 s[4:5], v[4:5], v[18:19]
	v_cndmask_b32_e64 v19, v5, v19, s[4:5]
	v_cndmask_b32_e64 v18, v4, v18, s[4:5]
	v_cmp_lt_f64_e64 s[4:5], v[18:19], v[20:21]
	;; [unrolled: 3-line block ×8, first 2 shown]
	v_cndmask_b32_e64 v17, v15, v17, s[4:5]
	v_cndmask_b32_e64 v16, v14, v16, s[4:5]
	s_movk_i32 s4, 0xffb8
	v_mad_i32_i24 v0, v0, s4, v1
	s_waitcnt lgkmcnt(0)
	s_barrier
	ds_write_b128 v1, v[2:5]
	ds_write_b128 v1, v[18:21] offset:16
	ds_write_b128 v1, v[10:13] offset:32
	;; [unrolled: 1-line block ×4, first 2 shown]
	s_waitcnt lgkmcnt(0)
	s_barrier
	ds_read2st64_b64 v[12:15], v0 offset0:2 offset1:4
	ds_read2st64_b64 v[8:11], v0 offset0:6 offset1:8
	;; [unrolled: 1-line block ×4, first 2 shown]
	ds_read_b64 v[18:19], v26 offset:8192
	v_mov_b32_e32 v17, s21
	v_add_co_u32_e64 v16, s[4:5], s20, v26
	v_addc_co_u32_e64 v17, s[4:5], 0, v17, s[4:5]
	s_and_saveexec_b64 s[4:5], vcc
	s_cbranch_execnz .LBB1845_49
; %bb.39:
	s_or_b64 exec, exec, s[4:5]
	s_and_saveexec_b64 s[4:5], s[0:1]
	s_cbranch_execnz .LBB1845_50
.LBB1845_40:
	s_or_b64 exec, exec, s[4:5]
	s_and_saveexec_b64 s[0:1], s[2:3]
	s_cbranch_execnz .LBB1845_51
.LBB1845_41:
	s_or_b64 exec, exec, s[0:1]
	s_and_saveexec_b64 s[0:1], s[18:19]
	s_cbranch_execnz .LBB1845_52
.LBB1845_42:
	s_or_b64 exec, exec, s[0:1]
	s_and_saveexec_b64 s[0:1], s[6:7]
	s_cbranch_execnz .LBB1845_53
.LBB1845_43:
	s_or_b64 exec, exec, s[0:1]
	s_and_saveexec_b64 s[0:1], s[8:9]
	s_cbranch_execnz .LBB1845_54
.LBB1845_44:
	s_or_b64 exec, exec, s[0:1]
	s_and_saveexec_b64 s[0:1], s[10:11]
	s_cbranch_execnz .LBB1845_55
.LBB1845_45:
	s_or_b64 exec, exec, s[0:1]
	s_and_saveexec_b64 s[0:1], s[12:13]
	s_cbranch_execnz .LBB1845_56
.LBB1845_46:
	s_or_b64 exec, exec, s[0:1]
	s_and_saveexec_b64 s[0:1], s[14:15]
	s_cbranch_execnz .LBB1845_57
.LBB1845_47:
	s_or_b64 exec, exec, s[0:1]
	s_and_saveexec_b64 s[0:1], s[16:17]
	s_cbranch_execnz .LBB1845_58
.LBB1845_48:
	s_endpgm
.LBB1845_49:
	ds_read_b64 v[20:21], v26
	s_waitcnt lgkmcnt(0)
	global_store_dwordx2 v[16:17], v[20:21], off
	s_or_b64 exec, exec, s[4:5]
	s_and_saveexec_b64 s[4:5], s[0:1]
	s_cbranch_execz .LBB1845_40
.LBB1845_50:
	s_waitcnt lgkmcnt(4)
	global_store_dwordx2 v[16:17], v[12:13], off offset:1024
	s_or_b64 exec, exec, s[4:5]
	s_and_saveexec_b64 s[0:1], s[2:3]
	s_cbranch_execz .LBB1845_41
.LBB1845_51:
	s_waitcnt lgkmcnt(4)
	global_store_dwordx2 v[16:17], v[14:15], off offset:2048
	s_or_b64 exec, exec, s[0:1]
	s_and_saveexec_b64 s[0:1], s[18:19]
	s_cbranch_execz .LBB1845_42
.LBB1845_52:
	s_waitcnt lgkmcnt(3)
	global_store_dwordx2 v[16:17], v[8:9], off offset:3072
	s_or_b64 exec, exec, s[0:1]
	s_and_saveexec_b64 s[0:1], s[6:7]
	s_cbranch_execz .LBB1845_43
.LBB1845_53:
	s_waitcnt lgkmcnt(3)
	v_add_co_u32_e32 v8, vcc, 0x1000, v16
	v_addc_co_u32_e32 v9, vcc, 0, v17, vcc
	global_store_dwordx2 v[8:9], v[10:11], off
	s_or_b64 exec, exec, s[0:1]
	s_and_saveexec_b64 s[0:1], s[8:9]
	s_cbranch_execz .LBB1845_44
.LBB1845_54:
	s_waitcnt lgkmcnt(3)
	v_add_co_u32_e32 v8, vcc, 0x1000, v16
	v_addc_co_u32_e32 v9, vcc, 0, v17, vcc
	s_waitcnt lgkmcnt(2)
	global_store_dwordx2 v[8:9], v[4:5], off offset:1024
	s_or_b64 exec, exec, s[0:1]
	s_and_saveexec_b64 s[0:1], s[10:11]
	s_cbranch_execz .LBB1845_45
.LBB1845_55:
	s_waitcnt lgkmcnt(2)
	v_add_co_u32_e32 v4, vcc, 0x1000, v16
	v_addc_co_u32_e32 v5, vcc, 0, v17, vcc
	global_store_dwordx2 v[4:5], v[6:7], off offset:2048
	s_or_b64 exec, exec, s[0:1]
	s_and_saveexec_b64 s[0:1], s[12:13]
	s_cbranch_execz .LBB1845_46
.LBB1845_56:
	s_waitcnt lgkmcnt(2)
	v_add_co_u32_e32 v4, vcc, 0x1000, v16
	v_addc_co_u32_e32 v5, vcc, 0, v17, vcc
	s_waitcnt lgkmcnt(1)
	global_store_dwordx2 v[4:5], v[0:1], off offset:3072
	s_or_b64 exec, exec, s[0:1]
	s_and_saveexec_b64 s[0:1], s[14:15]
	s_cbranch_execz .LBB1845_47
.LBB1845_57:
	s_waitcnt lgkmcnt(1)
	v_add_co_u32_e32 v0, vcc, 0x2000, v16
	v_addc_co_u32_e32 v1, vcc, 0, v17, vcc
	s_waitcnt lgkmcnt(0)
	global_store_dwordx2 v[0:1], v[18:19], off
	s_or_b64 exec, exec, s[0:1]
	s_and_saveexec_b64 s[0:1], s[16:17]
	s_cbranch_execz .LBB1845_48
.LBB1845_58:
	s_waitcnt lgkmcnt(1)
	v_add_co_u32_e32 v0, vcc, 0x2000, v16
	v_addc_co_u32_e32 v1, vcc, 0, v17, vcc
	global_store_dwordx2 v[0:1], v[2:3], off offset:1024
	s_endpgm
	.section	.rodata,"a",@progbits
	.p2align	6, 0x0
	.amdhsa_kernel _ZN7rocprim17ROCPRIM_400000_NS6detail17trampoline_kernelINS0_14default_configENS1_20scan_config_selectorIdEEZZNS1_9scan_implILNS1_25lookback_scan_determinismE0ELb0ELb0ES3_N6thrust23THRUST_200600_302600_NS6detail15normal_iteratorINS9_10device_ptrIdEEEESE_d11max_functorIdEdEEDaPvRmT3_T4_T5_mT6_P12ihipStream_tbENKUlT_T0_E_clISt17integral_constantIbLb1EEST_IbLb0EEEEDaSP_SQ_EUlSP_E0_NS1_11comp_targetILNS1_3genE4ELNS1_11target_archE910ELNS1_3gpuE8ELNS1_3repE0EEENS1_30default_config_static_selectorELNS0_4arch9wavefront6targetE1EEEvT1_
		.amdhsa_group_segment_fixed_size 10240
		.amdhsa_private_segment_fixed_size 0
		.amdhsa_kernarg_size 40
		.amdhsa_user_sgpr_count 6
		.amdhsa_user_sgpr_private_segment_buffer 1
		.amdhsa_user_sgpr_dispatch_ptr 0
		.amdhsa_user_sgpr_queue_ptr 0
		.amdhsa_user_sgpr_kernarg_segment_ptr 1
		.amdhsa_user_sgpr_dispatch_id 0
		.amdhsa_user_sgpr_flat_scratch_init 0
		.amdhsa_user_sgpr_kernarg_preload_length 0
		.amdhsa_user_sgpr_kernarg_preload_offset 0
		.amdhsa_user_sgpr_private_segment_size 0
		.amdhsa_uses_dynamic_stack 0
		.amdhsa_system_sgpr_private_segment_wavefront_offset 0
		.amdhsa_system_sgpr_workgroup_id_x 1
		.amdhsa_system_sgpr_workgroup_id_y 0
		.amdhsa_system_sgpr_workgroup_id_z 0
		.amdhsa_system_sgpr_workgroup_info 0
		.amdhsa_system_vgpr_workitem_id 0
		.amdhsa_next_free_vgpr 33
		.amdhsa_next_free_sgpr 26
		.amdhsa_accum_offset 36
		.amdhsa_reserve_vcc 1
		.amdhsa_reserve_flat_scratch 0
		.amdhsa_float_round_mode_32 0
		.amdhsa_float_round_mode_16_64 0
		.amdhsa_float_denorm_mode_32 3
		.amdhsa_float_denorm_mode_16_64 3
		.amdhsa_dx10_clamp 1
		.amdhsa_ieee_mode 1
		.amdhsa_fp16_overflow 0
		.amdhsa_tg_split 0
		.amdhsa_exception_fp_ieee_invalid_op 0
		.amdhsa_exception_fp_denorm_src 0
		.amdhsa_exception_fp_ieee_div_zero 0
		.amdhsa_exception_fp_ieee_overflow 0
		.amdhsa_exception_fp_ieee_underflow 0
		.amdhsa_exception_fp_ieee_inexact 0
		.amdhsa_exception_int_div_zero 0
	.end_amdhsa_kernel
	.section	.text._ZN7rocprim17ROCPRIM_400000_NS6detail17trampoline_kernelINS0_14default_configENS1_20scan_config_selectorIdEEZZNS1_9scan_implILNS1_25lookback_scan_determinismE0ELb0ELb0ES3_N6thrust23THRUST_200600_302600_NS6detail15normal_iteratorINS9_10device_ptrIdEEEESE_d11max_functorIdEdEEDaPvRmT3_T4_T5_mT6_P12ihipStream_tbENKUlT_T0_E_clISt17integral_constantIbLb1EEST_IbLb0EEEEDaSP_SQ_EUlSP_E0_NS1_11comp_targetILNS1_3genE4ELNS1_11target_archE910ELNS1_3gpuE8ELNS1_3repE0EEENS1_30default_config_static_selectorELNS0_4arch9wavefront6targetE1EEEvT1_,"axG",@progbits,_ZN7rocprim17ROCPRIM_400000_NS6detail17trampoline_kernelINS0_14default_configENS1_20scan_config_selectorIdEEZZNS1_9scan_implILNS1_25lookback_scan_determinismE0ELb0ELb0ES3_N6thrust23THRUST_200600_302600_NS6detail15normal_iteratorINS9_10device_ptrIdEEEESE_d11max_functorIdEdEEDaPvRmT3_T4_T5_mT6_P12ihipStream_tbENKUlT_T0_E_clISt17integral_constantIbLb1EEST_IbLb0EEEEDaSP_SQ_EUlSP_E0_NS1_11comp_targetILNS1_3genE4ELNS1_11target_archE910ELNS1_3gpuE8ELNS1_3repE0EEENS1_30default_config_static_selectorELNS0_4arch9wavefront6targetE1EEEvT1_,comdat
.Lfunc_end1845:
	.size	_ZN7rocprim17ROCPRIM_400000_NS6detail17trampoline_kernelINS0_14default_configENS1_20scan_config_selectorIdEEZZNS1_9scan_implILNS1_25lookback_scan_determinismE0ELb0ELb0ES3_N6thrust23THRUST_200600_302600_NS6detail15normal_iteratorINS9_10device_ptrIdEEEESE_d11max_functorIdEdEEDaPvRmT3_T4_T5_mT6_P12ihipStream_tbENKUlT_T0_E_clISt17integral_constantIbLb1EEST_IbLb0EEEEDaSP_SQ_EUlSP_E0_NS1_11comp_targetILNS1_3genE4ELNS1_11target_archE910ELNS1_3gpuE8ELNS1_3repE0EEENS1_30default_config_static_selectorELNS0_4arch9wavefront6targetE1EEEvT1_, .Lfunc_end1845-_ZN7rocprim17ROCPRIM_400000_NS6detail17trampoline_kernelINS0_14default_configENS1_20scan_config_selectorIdEEZZNS1_9scan_implILNS1_25lookback_scan_determinismE0ELb0ELb0ES3_N6thrust23THRUST_200600_302600_NS6detail15normal_iteratorINS9_10device_ptrIdEEEESE_d11max_functorIdEdEEDaPvRmT3_T4_T5_mT6_P12ihipStream_tbENKUlT_T0_E_clISt17integral_constantIbLb1EEST_IbLb0EEEEDaSP_SQ_EUlSP_E0_NS1_11comp_targetILNS1_3genE4ELNS1_11target_archE910ELNS1_3gpuE8ELNS1_3repE0EEENS1_30default_config_static_selectorELNS0_4arch9wavefront6targetE1EEEvT1_
                                        ; -- End function
	.section	.AMDGPU.csdata,"",@progbits
; Kernel info:
; codeLenInByte = 2344
; NumSgprs: 30
; NumVgprs: 33
; NumAgprs: 0
; TotalNumVgprs: 33
; ScratchSize: 0
; MemoryBound: 0
; FloatMode: 240
; IeeeMode: 1
; LDSByteSize: 10240 bytes/workgroup (compile time only)
; SGPRBlocks: 3
; VGPRBlocks: 4
; NumSGPRsForWavesPerEU: 30
; NumVGPRsForWavesPerEU: 33
; AccumOffset: 36
; Occupancy: 3
; WaveLimiterHint : 0
; COMPUTE_PGM_RSRC2:SCRATCH_EN: 0
; COMPUTE_PGM_RSRC2:USER_SGPR: 6
; COMPUTE_PGM_RSRC2:TRAP_HANDLER: 0
; COMPUTE_PGM_RSRC2:TGID_X_EN: 1
; COMPUTE_PGM_RSRC2:TGID_Y_EN: 0
; COMPUTE_PGM_RSRC2:TGID_Z_EN: 0
; COMPUTE_PGM_RSRC2:TIDIG_COMP_CNT: 0
; COMPUTE_PGM_RSRC3_GFX90A:ACCUM_OFFSET: 8
; COMPUTE_PGM_RSRC3_GFX90A:TG_SPLIT: 0
	.section	.text._ZN7rocprim17ROCPRIM_400000_NS6detail17trampoline_kernelINS0_14default_configENS1_20scan_config_selectorIdEEZZNS1_9scan_implILNS1_25lookback_scan_determinismE0ELb0ELb0ES3_N6thrust23THRUST_200600_302600_NS6detail15normal_iteratorINS9_10device_ptrIdEEEESE_d11max_functorIdEdEEDaPvRmT3_T4_T5_mT6_P12ihipStream_tbENKUlT_T0_E_clISt17integral_constantIbLb1EEST_IbLb0EEEEDaSP_SQ_EUlSP_E0_NS1_11comp_targetILNS1_3genE3ELNS1_11target_archE908ELNS1_3gpuE7ELNS1_3repE0EEENS1_30default_config_static_selectorELNS0_4arch9wavefront6targetE1EEEvT1_,"axG",@progbits,_ZN7rocprim17ROCPRIM_400000_NS6detail17trampoline_kernelINS0_14default_configENS1_20scan_config_selectorIdEEZZNS1_9scan_implILNS1_25lookback_scan_determinismE0ELb0ELb0ES3_N6thrust23THRUST_200600_302600_NS6detail15normal_iteratorINS9_10device_ptrIdEEEESE_d11max_functorIdEdEEDaPvRmT3_T4_T5_mT6_P12ihipStream_tbENKUlT_T0_E_clISt17integral_constantIbLb1EEST_IbLb0EEEEDaSP_SQ_EUlSP_E0_NS1_11comp_targetILNS1_3genE3ELNS1_11target_archE908ELNS1_3gpuE7ELNS1_3repE0EEENS1_30default_config_static_selectorELNS0_4arch9wavefront6targetE1EEEvT1_,comdat
	.protected	_ZN7rocprim17ROCPRIM_400000_NS6detail17trampoline_kernelINS0_14default_configENS1_20scan_config_selectorIdEEZZNS1_9scan_implILNS1_25lookback_scan_determinismE0ELb0ELb0ES3_N6thrust23THRUST_200600_302600_NS6detail15normal_iteratorINS9_10device_ptrIdEEEESE_d11max_functorIdEdEEDaPvRmT3_T4_T5_mT6_P12ihipStream_tbENKUlT_T0_E_clISt17integral_constantIbLb1EEST_IbLb0EEEEDaSP_SQ_EUlSP_E0_NS1_11comp_targetILNS1_3genE3ELNS1_11target_archE908ELNS1_3gpuE7ELNS1_3repE0EEENS1_30default_config_static_selectorELNS0_4arch9wavefront6targetE1EEEvT1_ ; -- Begin function _ZN7rocprim17ROCPRIM_400000_NS6detail17trampoline_kernelINS0_14default_configENS1_20scan_config_selectorIdEEZZNS1_9scan_implILNS1_25lookback_scan_determinismE0ELb0ELb0ES3_N6thrust23THRUST_200600_302600_NS6detail15normal_iteratorINS9_10device_ptrIdEEEESE_d11max_functorIdEdEEDaPvRmT3_T4_T5_mT6_P12ihipStream_tbENKUlT_T0_E_clISt17integral_constantIbLb1EEST_IbLb0EEEEDaSP_SQ_EUlSP_E0_NS1_11comp_targetILNS1_3genE3ELNS1_11target_archE908ELNS1_3gpuE7ELNS1_3repE0EEENS1_30default_config_static_selectorELNS0_4arch9wavefront6targetE1EEEvT1_
	.globl	_ZN7rocprim17ROCPRIM_400000_NS6detail17trampoline_kernelINS0_14default_configENS1_20scan_config_selectorIdEEZZNS1_9scan_implILNS1_25lookback_scan_determinismE0ELb0ELb0ES3_N6thrust23THRUST_200600_302600_NS6detail15normal_iteratorINS9_10device_ptrIdEEEESE_d11max_functorIdEdEEDaPvRmT3_T4_T5_mT6_P12ihipStream_tbENKUlT_T0_E_clISt17integral_constantIbLb1EEST_IbLb0EEEEDaSP_SQ_EUlSP_E0_NS1_11comp_targetILNS1_3genE3ELNS1_11target_archE908ELNS1_3gpuE7ELNS1_3repE0EEENS1_30default_config_static_selectorELNS0_4arch9wavefront6targetE1EEEvT1_
	.p2align	8
	.type	_ZN7rocprim17ROCPRIM_400000_NS6detail17trampoline_kernelINS0_14default_configENS1_20scan_config_selectorIdEEZZNS1_9scan_implILNS1_25lookback_scan_determinismE0ELb0ELb0ES3_N6thrust23THRUST_200600_302600_NS6detail15normal_iteratorINS9_10device_ptrIdEEEESE_d11max_functorIdEdEEDaPvRmT3_T4_T5_mT6_P12ihipStream_tbENKUlT_T0_E_clISt17integral_constantIbLb1EEST_IbLb0EEEEDaSP_SQ_EUlSP_E0_NS1_11comp_targetILNS1_3genE3ELNS1_11target_archE908ELNS1_3gpuE7ELNS1_3repE0EEENS1_30default_config_static_selectorELNS0_4arch9wavefront6targetE1EEEvT1_,@function
_ZN7rocprim17ROCPRIM_400000_NS6detail17trampoline_kernelINS0_14default_configENS1_20scan_config_selectorIdEEZZNS1_9scan_implILNS1_25lookback_scan_determinismE0ELb0ELb0ES3_N6thrust23THRUST_200600_302600_NS6detail15normal_iteratorINS9_10device_ptrIdEEEESE_d11max_functorIdEdEEDaPvRmT3_T4_T5_mT6_P12ihipStream_tbENKUlT_T0_E_clISt17integral_constantIbLb1EEST_IbLb0EEEEDaSP_SQ_EUlSP_E0_NS1_11comp_targetILNS1_3genE3ELNS1_11target_archE908ELNS1_3gpuE7ELNS1_3repE0EEENS1_30default_config_static_selectorELNS0_4arch9wavefront6targetE1EEEvT1_: ; @_ZN7rocprim17ROCPRIM_400000_NS6detail17trampoline_kernelINS0_14default_configENS1_20scan_config_selectorIdEEZZNS1_9scan_implILNS1_25lookback_scan_determinismE0ELb0ELb0ES3_N6thrust23THRUST_200600_302600_NS6detail15normal_iteratorINS9_10device_ptrIdEEEESE_d11max_functorIdEdEEDaPvRmT3_T4_T5_mT6_P12ihipStream_tbENKUlT_T0_E_clISt17integral_constantIbLb1EEST_IbLb0EEEEDaSP_SQ_EUlSP_E0_NS1_11comp_targetILNS1_3genE3ELNS1_11target_archE908ELNS1_3gpuE7ELNS1_3repE0EEENS1_30default_config_static_selectorELNS0_4arch9wavefront6targetE1EEEvT1_
; %bb.0:
	.section	.rodata,"a",@progbits
	.p2align	6, 0x0
	.amdhsa_kernel _ZN7rocprim17ROCPRIM_400000_NS6detail17trampoline_kernelINS0_14default_configENS1_20scan_config_selectorIdEEZZNS1_9scan_implILNS1_25lookback_scan_determinismE0ELb0ELb0ES3_N6thrust23THRUST_200600_302600_NS6detail15normal_iteratorINS9_10device_ptrIdEEEESE_d11max_functorIdEdEEDaPvRmT3_T4_T5_mT6_P12ihipStream_tbENKUlT_T0_E_clISt17integral_constantIbLb1EEST_IbLb0EEEEDaSP_SQ_EUlSP_E0_NS1_11comp_targetILNS1_3genE3ELNS1_11target_archE908ELNS1_3gpuE7ELNS1_3repE0EEENS1_30default_config_static_selectorELNS0_4arch9wavefront6targetE1EEEvT1_
		.amdhsa_group_segment_fixed_size 0
		.amdhsa_private_segment_fixed_size 0
		.amdhsa_kernarg_size 40
		.amdhsa_user_sgpr_count 6
		.amdhsa_user_sgpr_private_segment_buffer 1
		.amdhsa_user_sgpr_dispatch_ptr 0
		.amdhsa_user_sgpr_queue_ptr 0
		.amdhsa_user_sgpr_kernarg_segment_ptr 1
		.amdhsa_user_sgpr_dispatch_id 0
		.amdhsa_user_sgpr_flat_scratch_init 0
		.amdhsa_user_sgpr_kernarg_preload_length 0
		.amdhsa_user_sgpr_kernarg_preload_offset 0
		.amdhsa_user_sgpr_private_segment_size 0
		.amdhsa_uses_dynamic_stack 0
		.amdhsa_system_sgpr_private_segment_wavefront_offset 0
		.amdhsa_system_sgpr_workgroup_id_x 1
		.amdhsa_system_sgpr_workgroup_id_y 0
		.amdhsa_system_sgpr_workgroup_id_z 0
		.amdhsa_system_sgpr_workgroup_info 0
		.amdhsa_system_vgpr_workitem_id 0
		.amdhsa_next_free_vgpr 1
		.amdhsa_next_free_sgpr 0
		.amdhsa_accum_offset 4
		.amdhsa_reserve_vcc 0
		.amdhsa_reserve_flat_scratch 0
		.amdhsa_float_round_mode_32 0
		.amdhsa_float_round_mode_16_64 0
		.amdhsa_float_denorm_mode_32 3
		.amdhsa_float_denorm_mode_16_64 3
		.amdhsa_dx10_clamp 1
		.amdhsa_ieee_mode 1
		.amdhsa_fp16_overflow 0
		.amdhsa_tg_split 0
		.amdhsa_exception_fp_ieee_invalid_op 0
		.amdhsa_exception_fp_denorm_src 0
		.amdhsa_exception_fp_ieee_div_zero 0
		.amdhsa_exception_fp_ieee_overflow 0
		.amdhsa_exception_fp_ieee_underflow 0
		.amdhsa_exception_fp_ieee_inexact 0
		.amdhsa_exception_int_div_zero 0
	.end_amdhsa_kernel
	.section	.text._ZN7rocprim17ROCPRIM_400000_NS6detail17trampoline_kernelINS0_14default_configENS1_20scan_config_selectorIdEEZZNS1_9scan_implILNS1_25lookback_scan_determinismE0ELb0ELb0ES3_N6thrust23THRUST_200600_302600_NS6detail15normal_iteratorINS9_10device_ptrIdEEEESE_d11max_functorIdEdEEDaPvRmT3_T4_T5_mT6_P12ihipStream_tbENKUlT_T0_E_clISt17integral_constantIbLb1EEST_IbLb0EEEEDaSP_SQ_EUlSP_E0_NS1_11comp_targetILNS1_3genE3ELNS1_11target_archE908ELNS1_3gpuE7ELNS1_3repE0EEENS1_30default_config_static_selectorELNS0_4arch9wavefront6targetE1EEEvT1_,"axG",@progbits,_ZN7rocprim17ROCPRIM_400000_NS6detail17trampoline_kernelINS0_14default_configENS1_20scan_config_selectorIdEEZZNS1_9scan_implILNS1_25lookback_scan_determinismE0ELb0ELb0ES3_N6thrust23THRUST_200600_302600_NS6detail15normal_iteratorINS9_10device_ptrIdEEEESE_d11max_functorIdEdEEDaPvRmT3_T4_T5_mT6_P12ihipStream_tbENKUlT_T0_E_clISt17integral_constantIbLb1EEST_IbLb0EEEEDaSP_SQ_EUlSP_E0_NS1_11comp_targetILNS1_3genE3ELNS1_11target_archE908ELNS1_3gpuE7ELNS1_3repE0EEENS1_30default_config_static_selectorELNS0_4arch9wavefront6targetE1EEEvT1_,comdat
.Lfunc_end1846:
	.size	_ZN7rocprim17ROCPRIM_400000_NS6detail17trampoline_kernelINS0_14default_configENS1_20scan_config_selectorIdEEZZNS1_9scan_implILNS1_25lookback_scan_determinismE0ELb0ELb0ES3_N6thrust23THRUST_200600_302600_NS6detail15normal_iteratorINS9_10device_ptrIdEEEESE_d11max_functorIdEdEEDaPvRmT3_T4_T5_mT6_P12ihipStream_tbENKUlT_T0_E_clISt17integral_constantIbLb1EEST_IbLb0EEEEDaSP_SQ_EUlSP_E0_NS1_11comp_targetILNS1_3genE3ELNS1_11target_archE908ELNS1_3gpuE7ELNS1_3repE0EEENS1_30default_config_static_selectorELNS0_4arch9wavefront6targetE1EEEvT1_, .Lfunc_end1846-_ZN7rocprim17ROCPRIM_400000_NS6detail17trampoline_kernelINS0_14default_configENS1_20scan_config_selectorIdEEZZNS1_9scan_implILNS1_25lookback_scan_determinismE0ELb0ELb0ES3_N6thrust23THRUST_200600_302600_NS6detail15normal_iteratorINS9_10device_ptrIdEEEESE_d11max_functorIdEdEEDaPvRmT3_T4_T5_mT6_P12ihipStream_tbENKUlT_T0_E_clISt17integral_constantIbLb1EEST_IbLb0EEEEDaSP_SQ_EUlSP_E0_NS1_11comp_targetILNS1_3genE3ELNS1_11target_archE908ELNS1_3gpuE7ELNS1_3repE0EEENS1_30default_config_static_selectorELNS0_4arch9wavefront6targetE1EEEvT1_
                                        ; -- End function
	.section	.AMDGPU.csdata,"",@progbits
; Kernel info:
; codeLenInByte = 0
; NumSgprs: 4
; NumVgprs: 0
; NumAgprs: 0
; TotalNumVgprs: 0
; ScratchSize: 0
; MemoryBound: 0
; FloatMode: 240
; IeeeMode: 1
; LDSByteSize: 0 bytes/workgroup (compile time only)
; SGPRBlocks: 0
; VGPRBlocks: 0
; NumSGPRsForWavesPerEU: 4
; NumVGPRsForWavesPerEU: 1
; AccumOffset: 4
; Occupancy: 8
; WaveLimiterHint : 0
; COMPUTE_PGM_RSRC2:SCRATCH_EN: 0
; COMPUTE_PGM_RSRC2:USER_SGPR: 6
; COMPUTE_PGM_RSRC2:TRAP_HANDLER: 0
; COMPUTE_PGM_RSRC2:TGID_X_EN: 1
; COMPUTE_PGM_RSRC2:TGID_Y_EN: 0
; COMPUTE_PGM_RSRC2:TGID_Z_EN: 0
; COMPUTE_PGM_RSRC2:TIDIG_COMP_CNT: 0
; COMPUTE_PGM_RSRC3_GFX90A:ACCUM_OFFSET: 0
; COMPUTE_PGM_RSRC3_GFX90A:TG_SPLIT: 0
	.section	.text._ZN7rocprim17ROCPRIM_400000_NS6detail17trampoline_kernelINS0_14default_configENS1_20scan_config_selectorIdEEZZNS1_9scan_implILNS1_25lookback_scan_determinismE0ELb0ELb0ES3_N6thrust23THRUST_200600_302600_NS6detail15normal_iteratorINS9_10device_ptrIdEEEESE_d11max_functorIdEdEEDaPvRmT3_T4_T5_mT6_P12ihipStream_tbENKUlT_T0_E_clISt17integral_constantIbLb1EEST_IbLb0EEEEDaSP_SQ_EUlSP_E0_NS1_11comp_targetILNS1_3genE2ELNS1_11target_archE906ELNS1_3gpuE6ELNS1_3repE0EEENS1_30default_config_static_selectorELNS0_4arch9wavefront6targetE1EEEvT1_,"axG",@progbits,_ZN7rocprim17ROCPRIM_400000_NS6detail17trampoline_kernelINS0_14default_configENS1_20scan_config_selectorIdEEZZNS1_9scan_implILNS1_25lookback_scan_determinismE0ELb0ELb0ES3_N6thrust23THRUST_200600_302600_NS6detail15normal_iteratorINS9_10device_ptrIdEEEESE_d11max_functorIdEdEEDaPvRmT3_T4_T5_mT6_P12ihipStream_tbENKUlT_T0_E_clISt17integral_constantIbLb1EEST_IbLb0EEEEDaSP_SQ_EUlSP_E0_NS1_11comp_targetILNS1_3genE2ELNS1_11target_archE906ELNS1_3gpuE6ELNS1_3repE0EEENS1_30default_config_static_selectorELNS0_4arch9wavefront6targetE1EEEvT1_,comdat
	.protected	_ZN7rocprim17ROCPRIM_400000_NS6detail17trampoline_kernelINS0_14default_configENS1_20scan_config_selectorIdEEZZNS1_9scan_implILNS1_25lookback_scan_determinismE0ELb0ELb0ES3_N6thrust23THRUST_200600_302600_NS6detail15normal_iteratorINS9_10device_ptrIdEEEESE_d11max_functorIdEdEEDaPvRmT3_T4_T5_mT6_P12ihipStream_tbENKUlT_T0_E_clISt17integral_constantIbLb1EEST_IbLb0EEEEDaSP_SQ_EUlSP_E0_NS1_11comp_targetILNS1_3genE2ELNS1_11target_archE906ELNS1_3gpuE6ELNS1_3repE0EEENS1_30default_config_static_selectorELNS0_4arch9wavefront6targetE1EEEvT1_ ; -- Begin function _ZN7rocprim17ROCPRIM_400000_NS6detail17trampoline_kernelINS0_14default_configENS1_20scan_config_selectorIdEEZZNS1_9scan_implILNS1_25lookback_scan_determinismE0ELb0ELb0ES3_N6thrust23THRUST_200600_302600_NS6detail15normal_iteratorINS9_10device_ptrIdEEEESE_d11max_functorIdEdEEDaPvRmT3_T4_T5_mT6_P12ihipStream_tbENKUlT_T0_E_clISt17integral_constantIbLb1EEST_IbLb0EEEEDaSP_SQ_EUlSP_E0_NS1_11comp_targetILNS1_3genE2ELNS1_11target_archE906ELNS1_3gpuE6ELNS1_3repE0EEENS1_30default_config_static_selectorELNS0_4arch9wavefront6targetE1EEEvT1_
	.globl	_ZN7rocprim17ROCPRIM_400000_NS6detail17trampoline_kernelINS0_14default_configENS1_20scan_config_selectorIdEEZZNS1_9scan_implILNS1_25lookback_scan_determinismE0ELb0ELb0ES3_N6thrust23THRUST_200600_302600_NS6detail15normal_iteratorINS9_10device_ptrIdEEEESE_d11max_functorIdEdEEDaPvRmT3_T4_T5_mT6_P12ihipStream_tbENKUlT_T0_E_clISt17integral_constantIbLb1EEST_IbLb0EEEEDaSP_SQ_EUlSP_E0_NS1_11comp_targetILNS1_3genE2ELNS1_11target_archE906ELNS1_3gpuE6ELNS1_3repE0EEENS1_30default_config_static_selectorELNS0_4arch9wavefront6targetE1EEEvT1_
	.p2align	8
	.type	_ZN7rocprim17ROCPRIM_400000_NS6detail17trampoline_kernelINS0_14default_configENS1_20scan_config_selectorIdEEZZNS1_9scan_implILNS1_25lookback_scan_determinismE0ELb0ELb0ES3_N6thrust23THRUST_200600_302600_NS6detail15normal_iteratorINS9_10device_ptrIdEEEESE_d11max_functorIdEdEEDaPvRmT3_T4_T5_mT6_P12ihipStream_tbENKUlT_T0_E_clISt17integral_constantIbLb1EEST_IbLb0EEEEDaSP_SQ_EUlSP_E0_NS1_11comp_targetILNS1_3genE2ELNS1_11target_archE906ELNS1_3gpuE6ELNS1_3repE0EEENS1_30default_config_static_selectorELNS0_4arch9wavefront6targetE1EEEvT1_,@function
_ZN7rocprim17ROCPRIM_400000_NS6detail17trampoline_kernelINS0_14default_configENS1_20scan_config_selectorIdEEZZNS1_9scan_implILNS1_25lookback_scan_determinismE0ELb0ELb0ES3_N6thrust23THRUST_200600_302600_NS6detail15normal_iteratorINS9_10device_ptrIdEEEESE_d11max_functorIdEdEEDaPvRmT3_T4_T5_mT6_P12ihipStream_tbENKUlT_T0_E_clISt17integral_constantIbLb1EEST_IbLb0EEEEDaSP_SQ_EUlSP_E0_NS1_11comp_targetILNS1_3genE2ELNS1_11target_archE906ELNS1_3gpuE6ELNS1_3repE0EEENS1_30default_config_static_selectorELNS0_4arch9wavefront6targetE1EEEvT1_: ; @_ZN7rocprim17ROCPRIM_400000_NS6detail17trampoline_kernelINS0_14default_configENS1_20scan_config_selectorIdEEZZNS1_9scan_implILNS1_25lookback_scan_determinismE0ELb0ELb0ES3_N6thrust23THRUST_200600_302600_NS6detail15normal_iteratorINS9_10device_ptrIdEEEESE_d11max_functorIdEdEEDaPvRmT3_T4_T5_mT6_P12ihipStream_tbENKUlT_T0_E_clISt17integral_constantIbLb1EEST_IbLb0EEEEDaSP_SQ_EUlSP_E0_NS1_11comp_targetILNS1_3genE2ELNS1_11target_archE906ELNS1_3gpuE6ELNS1_3repE0EEENS1_30default_config_static_selectorELNS0_4arch9wavefront6targetE1EEEvT1_
; %bb.0:
	.section	.rodata,"a",@progbits
	.p2align	6, 0x0
	.amdhsa_kernel _ZN7rocprim17ROCPRIM_400000_NS6detail17trampoline_kernelINS0_14default_configENS1_20scan_config_selectorIdEEZZNS1_9scan_implILNS1_25lookback_scan_determinismE0ELb0ELb0ES3_N6thrust23THRUST_200600_302600_NS6detail15normal_iteratorINS9_10device_ptrIdEEEESE_d11max_functorIdEdEEDaPvRmT3_T4_T5_mT6_P12ihipStream_tbENKUlT_T0_E_clISt17integral_constantIbLb1EEST_IbLb0EEEEDaSP_SQ_EUlSP_E0_NS1_11comp_targetILNS1_3genE2ELNS1_11target_archE906ELNS1_3gpuE6ELNS1_3repE0EEENS1_30default_config_static_selectorELNS0_4arch9wavefront6targetE1EEEvT1_
		.amdhsa_group_segment_fixed_size 0
		.amdhsa_private_segment_fixed_size 0
		.amdhsa_kernarg_size 40
		.amdhsa_user_sgpr_count 6
		.amdhsa_user_sgpr_private_segment_buffer 1
		.amdhsa_user_sgpr_dispatch_ptr 0
		.amdhsa_user_sgpr_queue_ptr 0
		.amdhsa_user_sgpr_kernarg_segment_ptr 1
		.amdhsa_user_sgpr_dispatch_id 0
		.amdhsa_user_sgpr_flat_scratch_init 0
		.amdhsa_user_sgpr_kernarg_preload_length 0
		.amdhsa_user_sgpr_kernarg_preload_offset 0
		.amdhsa_user_sgpr_private_segment_size 0
		.amdhsa_uses_dynamic_stack 0
		.amdhsa_system_sgpr_private_segment_wavefront_offset 0
		.amdhsa_system_sgpr_workgroup_id_x 1
		.amdhsa_system_sgpr_workgroup_id_y 0
		.amdhsa_system_sgpr_workgroup_id_z 0
		.amdhsa_system_sgpr_workgroup_info 0
		.amdhsa_system_vgpr_workitem_id 0
		.amdhsa_next_free_vgpr 1
		.amdhsa_next_free_sgpr 0
		.amdhsa_accum_offset 4
		.amdhsa_reserve_vcc 0
		.amdhsa_reserve_flat_scratch 0
		.amdhsa_float_round_mode_32 0
		.amdhsa_float_round_mode_16_64 0
		.amdhsa_float_denorm_mode_32 3
		.amdhsa_float_denorm_mode_16_64 3
		.amdhsa_dx10_clamp 1
		.amdhsa_ieee_mode 1
		.amdhsa_fp16_overflow 0
		.amdhsa_tg_split 0
		.amdhsa_exception_fp_ieee_invalid_op 0
		.amdhsa_exception_fp_denorm_src 0
		.amdhsa_exception_fp_ieee_div_zero 0
		.amdhsa_exception_fp_ieee_overflow 0
		.amdhsa_exception_fp_ieee_underflow 0
		.amdhsa_exception_fp_ieee_inexact 0
		.amdhsa_exception_int_div_zero 0
	.end_amdhsa_kernel
	.section	.text._ZN7rocprim17ROCPRIM_400000_NS6detail17trampoline_kernelINS0_14default_configENS1_20scan_config_selectorIdEEZZNS1_9scan_implILNS1_25lookback_scan_determinismE0ELb0ELb0ES3_N6thrust23THRUST_200600_302600_NS6detail15normal_iteratorINS9_10device_ptrIdEEEESE_d11max_functorIdEdEEDaPvRmT3_T4_T5_mT6_P12ihipStream_tbENKUlT_T0_E_clISt17integral_constantIbLb1EEST_IbLb0EEEEDaSP_SQ_EUlSP_E0_NS1_11comp_targetILNS1_3genE2ELNS1_11target_archE906ELNS1_3gpuE6ELNS1_3repE0EEENS1_30default_config_static_selectorELNS0_4arch9wavefront6targetE1EEEvT1_,"axG",@progbits,_ZN7rocprim17ROCPRIM_400000_NS6detail17trampoline_kernelINS0_14default_configENS1_20scan_config_selectorIdEEZZNS1_9scan_implILNS1_25lookback_scan_determinismE0ELb0ELb0ES3_N6thrust23THRUST_200600_302600_NS6detail15normal_iteratorINS9_10device_ptrIdEEEESE_d11max_functorIdEdEEDaPvRmT3_T4_T5_mT6_P12ihipStream_tbENKUlT_T0_E_clISt17integral_constantIbLb1EEST_IbLb0EEEEDaSP_SQ_EUlSP_E0_NS1_11comp_targetILNS1_3genE2ELNS1_11target_archE906ELNS1_3gpuE6ELNS1_3repE0EEENS1_30default_config_static_selectorELNS0_4arch9wavefront6targetE1EEEvT1_,comdat
.Lfunc_end1847:
	.size	_ZN7rocprim17ROCPRIM_400000_NS6detail17trampoline_kernelINS0_14default_configENS1_20scan_config_selectorIdEEZZNS1_9scan_implILNS1_25lookback_scan_determinismE0ELb0ELb0ES3_N6thrust23THRUST_200600_302600_NS6detail15normal_iteratorINS9_10device_ptrIdEEEESE_d11max_functorIdEdEEDaPvRmT3_T4_T5_mT6_P12ihipStream_tbENKUlT_T0_E_clISt17integral_constantIbLb1EEST_IbLb0EEEEDaSP_SQ_EUlSP_E0_NS1_11comp_targetILNS1_3genE2ELNS1_11target_archE906ELNS1_3gpuE6ELNS1_3repE0EEENS1_30default_config_static_selectorELNS0_4arch9wavefront6targetE1EEEvT1_, .Lfunc_end1847-_ZN7rocprim17ROCPRIM_400000_NS6detail17trampoline_kernelINS0_14default_configENS1_20scan_config_selectorIdEEZZNS1_9scan_implILNS1_25lookback_scan_determinismE0ELb0ELb0ES3_N6thrust23THRUST_200600_302600_NS6detail15normal_iteratorINS9_10device_ptrIdEEEESE_d11max_functorIdEdEEDaPvRmT3_T4_T5_mT6_P12ihipStream_tbENKUlT_T0_E_clISt17integral_constantIbLb1EEST_IbLb0EEEEDaSP_SQ_EUlSP_E0_NS1_11comp_targetILNS1_3genE2ELNS1_11target_archE906ELNS1_3gpuE6ELNS1_3repE0EEENS1_30default_config_static_selectorELNS0_4arch9wavefront6targetE1EEEvT1_
                                        ; -- End function
	.section	.AMDGPU.csdata,"",@progbits
; Kernel info:
; codeLenInByte = 0
; NumSgprs: 4
; NumVgprs: 0
; NumAgprs: 0
; TotalNumVgprs: 0
; ScratchSize: 0
; MemoryBound: 0
; FloatMode: 240
; IeeeMode: 1
; LDSByteSize: 0 bytes/workgroup (compile time only)
; SGPRBlocks: 0
; VGPRBlocks: 0
; NumSGPRsForWavesPerEU: 4
; NumVGPRsForWavesPerEU: 1
; AccumOffset: 4
; Occupancy: 8
; WaveLimiterHint : 0
; COMPUTE_PGM_RSRC2:SCRATCH_EN: 0
; COMPUTE_PGM_RSRC2:USER_SGPR: 6
; COMPUTE_PGM_RSRC2:TRAP_HANDLER: 0
; COMPUTE_PGM_RSRC2:TGID_X_EN: 1
; COMPUTE_PGM_RSRC2:TGID_Y_EN: 0
; COMPUTE_PGM_RSRC2:TGID_Z_EN: 0
; COMPUTE_PGM_RSRC2:TIDIG_COMP_CNT: 0
; COMPUTE_PGM_RSRC3_GFX90A:ACCUM_OFFSET: 0
; COMPUTE_PGM_RSRC3_GFX90A:TG_SPLIT: 0
	.section	.text._ZN7rocprim17ROCPRIM_400000_NS6detail17trampoline_kernelINS0_14default_configENS1_20scan_config_selectorIdEEZZNS1_9scan_implILNS1_25lookback_scan_determinismE0ELb0ELb0ES3_N6thrust23THRUST_200600_302600_NS6detail15normal_iteratorINS9_10device_ptrIdEEEESE_d11max_functorIdEdEEDaPvRmT3_T4_T5_mT6_P12ihipStream_tbENKUlT_T0_E_clISt17integral_constantIbLb1EEST_IbLb0EEEEDaSP_SQ_EUlSP_E0_NS1_11comp_targetILNS1_3genE10ELNS1_11target_archE1201ELNS1_3gpuE5ELNS1_3repE0EEENS1_30default_config_static_selectorELNS0_4arch9wavefront6targetE1EEEvT1_,"axG",@progbits,_ZN7rocprim17ROCPRIM_400000_NS6detail17trampoline_kernelINS0_14default_configENS1_20scan_config_selectorIdEEZZNS1_9scan_implILNS1_25lookback_scan_determinismE0ELb0ELb0ES3_N6thrust23THRUST_200600_302600_NS6detail15normal_iteratorINS9_10device_ptrIdEEEESE_d11max_functorIdEdEEDaPvRmT3_T4_T5_mT6_P12ihipStream_tbENKUlT_T0_E_clISt17integral_constantIbLb1EEST_IbLb0EEEEDaSP_SQ_EUlSP_E0_NS1_11comp_targetILNS1_3genE10ELNS1_11target_archE1201ELNS1_3gpuE5ELNS1_3repE0EEENS1_30default_config_static_selectorELNS0_4arch9wavefront6targetE1EEEvT1_,comdat
	.protected	_ZN7rocprim17ROCPRIM_400000_NS6detail17trampoline_kernelINS0_14default_configENS1_20scan_config_selectorIdEEZZNS1_9scan_implILNS1_25lookback_scan_determinismE0ELb0ELb0ES3_N6thrust23THRUST_200600_302600_NS6detail15normal_iteratorINS9_10device_ptrIdEEEESE_d11max_functorIdEdEEDaPvRmT3_T4_T5_mT6_P12ihipStream_tbENKUlT_T0_E_clISt17integral_constantIbLb1EEST_IbLb0EEEEDaSP_SQ_EUlSP_E0_NS1_11comp_targetILNS1_3genE10ELNS1_11target_archE1201ELNS1_3gpuE5ELNS1_3repE0EEENS1_30default_config_static_selectorELNS0_4arch9wavefront6targetE1EEEvT1_ ; -- Begin function _ZN7rocprim17ROCPRIM_400000_NS6detail17trampoline_kernelINS0_14default_configENS1_20scan_config_selectorIdEEZZNS1_9scan_implILNS1_25lookback_scan_determinismE0ELb0ELb0ES3_N6thrust23THRUST_200600_302600_NS6detail15normal_iteratorINS9_10device_ptrIdEEEESE_d11max_functorIdEdEEDaPvRmT3_T4_T5_mT6_P12ihipStream_tbENKUlT_T0_E_clISt17integral_constantIbLb1EEST_IbLb0EEEEDaSP_SQ_EUlSP_E0_NS1_11comp_targetILNS1_3genE10ELNS1_11target_archE1201ELNS1_3gpuE5ELNS1_3repE0EEENS1_30default_config_static_selectorELNS0_4arch9wavefront6targetE1EEEvT1_
	.globl	_ZN7rocprim17ROCPRIM_400000_NS6detail17trampoline_kernelINS0_14default_configENS1_20scan_config_selectorIdEEZZNS1_9scan_implILNS1_25lookback_scan_determinismE0ELb0ELb0ES3_N6thrust23THRUST_200600_302600_NS6detail15normal_iteratorINS9_10device_ptrIdEEEESE_d11max_functorIdEdEEDaPvRmT3_T4_T5_mT6_P12ihipStream_tbENKUlT_T0_E_clISt17integral_constantIbLb1EEST_IbLb0EEEEDaSP_SQ_EUlSP_E0_NS1_11comp_targetILNS1_3genE10ELNS1_11target_archE1201ELNS1_3gpuE5ELNS1_3repE0EEENS1_30default_config_static_selectorELNS0_4arch9wavefront6targetE1EEEvT1_
	.p2align	8
	.type	_ZN7rocprim17ROCPRIM_400000_NS6detail17trampoline_kernelINS0_14default_configENS1_20scan_config_selectorIdEEZZNS1_9scan_implILNS1_25lookback_scan_determinismE0ELb0ELb0ES3_N6thrust23THRUST_200600_302600_NS6detail15normal_iteratorINS9_10device_ptrIdEEEESE_d11max_functorIdEdEEDaPvRmT3_T4_T5_mT6_P12ihipStream_tbENKUlT_T0_E_clISt17integral_constantIbLb1EEST_IbLb0EEEEDaSP_SQ_EUlSP_E0_NS1_11comp_targetILNS1_3genE10ELNS1_11target_archE1201ELNS1_3gpuE5ELNS1_3repE0EEENS1_30default_config_static_selectorELNS0_4arch9wavefront6targetE1EEEvT1_,@function
_ZN7rocprim17ROCPRIM_400000_NS6detail17trampoline_kernelINS0_14default_configENS1_20scan_config_selectorIdEEZZNS1_9scan_implILNS1_25lookback_scan_determinismE0ELb0ELb0ES3_N6thrust23THRUST_200600_302600_NS6detail15normal_iteratorINS9_10device_ptrIdEEEESE_d11max_functorIdEdEEDaPvRmT3_T4_T5_mT6_P12ihipStream_tbENKUlT_T0_E_clISt17integral_constantIbLb1EEST_IbLb0EEEEDaSP_SQ_EUlSP_E0_NS1_11comp_targetILNS1_3genE10ELNS1_11target_archE1201ELNS1_3gpuE5ELNS1_3repE0EEENS1_30default_config_static_selectorELNS0_4arch9wavefront6targetE1EEEvT1_: ; @_ZN7rocprim17ROCPRIM_400000_NS6detail17trampoline_kernelINS0_14default_configENS1_20scan_config_selectorIdEEZZNS1_9scan_implILNS1_25lookback_scan_determinismE0ELb0ELb0ES3_N6thrust23THRUST_200600_302600_NS6detail15normal_iteratorINS9_10device_ptrIdEEEESE_d11max_functorIdEdEEDaPvRmT3_T4_T5_mT6_P12ihipStream_tbENKUlT_T0_E_clISt17integral_constantIbLb1EEST_IbLb0EEEEDaSP_SQ_EUlSP_E0_NS1_11comp_targetILNS1_3genE10ELNS1_11target_archE1201ELNS1_3gpuE5ELNS1_3repE0EEENS1_30default_config_static_selectorELNS0_4arch9wavefront6targetE1EEEvT1_
; %bb.0:
	.section	.rodata,"a",@progbits
	.p2align	6, 0x0
	.amdhsa_kernel _ZN7rocprim17ROCPRIM_400000_NS6detail17trampoline_kernelINS0_14default_configENS1_20scan_config_selectorIdEEZZNS1_9scan_implILNS1_25lookback_scan_determinismE0ELb0ELb0ES3_N6thrust23THRUST_200600_302600_NS6detail15normal_iteratorINS9_10device_ptrIdEEEESE_d11max_functorIdEdEEDaPvRmT3_T4_T5_mT6_P12ihipStream_tbENKUlT_T0_E_clISt17integral_constantIbLb1EEST_IbLb0EEEEDaSP_SQ_EUlSP_E0_NS1_11comp_targetILNS1_3genE10ELNS1_11target_archE1201ELNS1_3gpuE5ELNS1_3repE0EEENS1_30default_config_static_selectorELNS0_4arch9wavefront6targetE1EEEvT1_
		.amdhsa_group_segment_fixed_size 0
		.amdhsa_private_segment_fixed_size 0
		.amdhsa_kernarg_size 40
		.amdhsa_user_sgpr_count 6
		.amdhsa_user_sgpr_private_segment_buffer 1
		.amdhsa_user_sgpr_dispatch_ptr 0
		.amdhsa_user_sgpr_queue_ptr 0
		.amdhsa_user_sgpr_kernarg_segment_ptr 1
		.amdhsa_user_sgpr_dispatch_id 0
		.amdhsa_user_sgpr_flat_scratch_init 0
		.amdhsa_user_sgpr_kernarg_preload_length 0
		.amdhsa_user_sgpr_kernarg_preload_offset 0
		.amdhsa_user_sgpr_private_segment_size 0
		.amdhsa_uses_dynamic_stack 0
		.amdhsa_system_sgpr_private_segment_wavefront_offset 0
		.amdhsa_system_sgpr_workgroup_id_x 1
		.amdhsa_system_sgpr_workgroup_id_y 0
		.amdhsa_system_sgpr_workgroup_id_z 0
		.amdhsa_system_sgpr_workgroup_info 0
		.amdhsa_system_vgpr_workitem_id 0
		.amdhsa_next_free_vgpr 1
		.amdhsa_next_free_sgpr 0
		.amdhsa_accum_offset 4
		.amdhsa_reserve_vcc 0
		.amdhsa_reserve_flat_scratch 0
		.amdhsa_float_round_mode_32 0
		.amdhsa_float_round_mode_16_64 0
		.amdhsa_float_denorm_mode_32 3
		.amdhsa_float_denorm_mode_16_64 3
		.amdhsa_dx10_clamp 1
		.amdhsa_ieee_mode 1
		.amdhsa_fp16_overflow 0
		.amdhsa_tg_split 0
		.amdhsa_exception_fp_ieee_invalid_op 0
		.amdhsa_exception_fp_denorm_src 0
		.amdhsa_exception_fp_ieee_div_zero 0
		.amdhsa_exception_fp_ieee_overflow 0
		.amdhsa_exception_fp_ieee_underflow 0
		.amdhsa_exception_fp_ieee_inexact 0
		.amdhsa_exception_int_div_zero 0
	.end_amdhsa_kernel
	.section	.text._ZN7rocprim17ROCPRIM_400000_NS6detail17trampoline_kernelINS0_14default_configENS1_20scan_config_selectorIdEEZZNS1_9scan_implILNS1_25lookback_scan_determinismE0ELb0ELb0ES3_N6thrust23THRUST_200600_302600_NS6detail15normal_iteratorINS9_10device_ptrIdEEEESE_d11max_functorIdEdEEDaPvRmT3_T4_T5_mT6_P12ihipStream_tbENKUlT_T0_E_clISt17integral_constantIbLb1EEST_IbLb0EEEEDaSP_SQ_EUlSP_E0_NS1_11comp_targetILNS1_3genE10ELNS1_11target_archE1201ELNS1_3gpuE5ELNS1_3repE0EEENS1_30default_config_static_selectorELNS0_4arch9wavefront6targetE1EEEvT1_,"axG",@progbits,_ZN7rocprim17ROCPRIM_400000_NS6detail17trampoline_kernelINS0_14default_configENS1_20scan_config_selectorIdEEZZNS1_9scan_implILNS1_25lookback_scan_determinismE0ELb0ELb0ES3_N6thrust23THRUST_200600_302600_NS6detail15normal_iteratorINS9_10device_ptrIdEEEESE_d11max_functorIdEdEEDaPvRmT3_T4_T5_mT6_P12ihipStream_tbENKUlT_T0_E_clISt17integral_constantIbLb1EEST_IbLb0EEEEDaSP_SQ_EUlSP_E0_NS1_11comp_targetILNS1_3genE10ELNS1_11target_archE1201ELNS1_3gpuE5ELNS1_3repE0EEENS1_30default_config_static_selectorELNS0_4arch9wavefront6targetE1EEEvT1_,comdat
.Lfunc_end1848:
	.size	_ZN7rocprim17ROCPRIM_400000_NS6detail17trampoline_kernelINS0_14default_configENS1_20scan_config_selectorIdEEZZNS1_9scan_implILNS1_25lookback_scan_determinismE0ELb0ELb0ES3_N6thrust23THRUST_200600_302600_NS6detail15normal_iteratorINS9_10device_ptrIdEEEESE_d11max_functorIdEdEEDaPvRmT3_T4_T5_mT6_P12ihipStream_tbENKUlT_T0_E_clISt17integral_constantIbLb1EEST_IbLb0EEEEDaSP_SQ_EUlSP_E0_NS1_11comp_targetILNS1_3genE10ELNS1_11target_archE1201ELNS1_3gpuE5ELNS1_3repE0EEENS1_30default_config_static_selectorELNS0_4arch9wavefront6targetE1EEEvT1_, .Lfunc_end1848-_ZN7rocprim17ROCPRIM_400000_NS6detail17trampoline_kernelINS0_14default_configENS1_20scan_config_selectorIdEEZZNS1_9scan_implILNS1_25lookback_scan_determinismE0ELb0ELb0ES3_N6thrust23THRUST_200600_302600_NS6detail15normal_iteratorINS9_10device_ptrIdEEEESE_d11max_functorIdEdEEDaPvRmT3_T4_T5_mT6_P12ihipStream_tbENKUlT_T0_E_clISt17integral_constantIbLb1EEST_IbLb0EEEEDaSP_SQ_EUlSP_E0_NS1_11comp_targetILNS1_3genE10ELNS1_11target_archE1201ELNS1_3gpuE5ELNS1_3repE0EEENS1_30default_config_static_selectorELNS0_4arch9wavefront6targetE1EEEvT1_
                                        ; -- End function
	.section	.AMDGPU.csdata,"",@progbits
; Kernel info:
; codeLenInByte = 0
; NumSgprs: 4
; NumVgprs: 0
; NumAgprs: 0
; TotalNumVgprs: 0
; ScratchSize: 0
; MemoryBound: 0
; FloatMode: 240
; IeeeMode: 1
; LDSByteSize: 0 bytes/workgroup (compile time only)
; SGPRBlocks: 0
; VGPRBlocks: 0
; NumSGPRsForWavesPerEU: 4
; NumVGPRsForWavesPerEU: 1
; AccumOffset: 4
; Occupancy: 8
; WaveLimiterHint : 0
; COMPUTE_PGM_RSRC2:SCRATCH_EN: 0
; COMPUTE_PGM_RSRC2:USER_SGPR: 6
; COMPUTE_PGM_RSRC2:TRAP_HANDLER: 0
; COMPUTE_PGM_RSRC2:TGID_X_EN: 1
; COMPUTE_PGM_RSRC2:TGID_Y_EN: 0
; COMPUTE_PGM_RSRC2:TGID_Z_EN: 0
; COMPUTE_PGM_RSRC2:TIDIG_COMP_CNT: 0
; COMPUTE_PGM_RSRC3_GFX90A:ACCUM_OFFSET: 0
; COMPUTE_PGM_RSRC3_GFX90A:TG_SPLIT: 0
	.section	.text._ZN7rocprim17ROCPRIM_400000_NS6detail17trampoline_kernelINS0_14default_configENS1_20scan_config_selectorIdEEZZNS1_9scan_implILNS1_25lookback_scan_determinismE0ELb0ELb0ES3_N6thrust23THRUST_200600_302600_NS6detail15normal_iteratorINS9_10device_ptrIdEEEESE_d11max_functorIdEdEEDaPvRmT3_T4_T5_mT6_P12ihipStream_tbENKUlT_T0_E_clISt17integral_constantIbLb1EEST_IbLb0EEEEDaSP_SQ_EUlSP_E0_NS1_11comp_targetILNS1_3genE10ELNS1_11target_archE1200ELNS1_3gpuE4ELNS1_3repE0EEENS1_30default_config_static_selectorELNS0_4arch9wavefront6targetE1EEEvT1_,"axG",@progbits,_ZN7rocprim17ROCPRIM_400000_NS6detail17trampoline_kernelINS0_14default_configENS1_20scan_config_selectorIdEEZZNS1_9scan_implILNS1_25lookback_scan_determinismE0ELb0ELb0ES3_N6thrust23THRUST_200600_302600_NS6detail15normal_iteratorINS9_10device_ptrIdEEEESE_d11max_functorIdEdEEDaPvRmT3_T4_T5_mT6_P12ihipStream_tbENKUlT_T0_E_clISt17integral_constantIbLb1EEST_IbLb0EEEEDaSP_SQ_EUlSP_E0_NS1_11comp_targetILNS1_3genE10ELNS1_11target_archE1200ELNS1_3gpuE4ELNS1_3repE0EEENS1_30default_config_static_selectorELNS0_4arch9wavefront6targetE1EEEvT1_,comdat
	.protected	_ZN7rocprim17ROCPRIM_400000_NS6detail17trampoline_kernelINS0_14default_configENS1_20scan_config_selectorIdEEZZNS1_9scan_implILNS1_25lookback_scan_determinismE0ELb0ELb0ES3_N6thrust23THRUST_200600_302600_NS6detail15normal_iteratorINS9_10device_ptrIdEEEESE_d11max_functorIdEdEEDaPvRmT3_T4_T5_mT6_P12ihipStream_tbENKUlT_T0_E_clISt17integral_constantIbLb1EEST_IbLb0EEEEDaSP_SQ_EUlSP_E0_NS1_11comp_targetILNS1_3genE10ELNS1_11target_archE1200ELNS1_3gpuE4ELNS1_3repE0EEENS1_30default_config_static_selectorELNS0_4arch9wavefront6targetE1EEEvT1_ ; -- Begin function _ZN7rocprim17ROCPRIM_400000_NS6detail17trampoline_kernelINS0_14default_configENS1_20scan_config_selectorIdEEZZNS1_9scan_implILNS1_25lookback_scan_determinismE0ELb0ELb0ES3_N6thrust23THRUST_200600_302600_NS6detail15normal_iteratorINS9_10device_ptrIdEEEESE_d11max_functorIdEdEEDaPvRmT3_T4_T5_mT6_P12ihipStream_tbENKUlT_T0_E_clISt17integral_constantIbLb1EEST_IbLb0EEEEDaSP_SQ_EUlSP_E0_NS1_11comp_targetILNS1_3genE10ELNS1_11target_archE1200ELNS1_3gpuE4ELNS1_3repE0EEENS1_30default_config_static_selectorELNS0_4arch9wavefront6targetE1EEEvT1_
	.globl	_ZN7rocprim17ROCPRIM_400000_NS6detail17trampoline_kernelINS0_14default_configENS1_20scan_config_selectorIdEEZZNS1_9scan_implILNS1_25lookback_scan_determinismE0ELb0ELb0ES3_N6thrust23THRUST_200600_302600_NS6detail15normal_iteratorINS9_10device_ptrIdEEEESE_d11max_functorIdEdEEDaPvRmT3_T4_T5_mT6_P12ihipStream_tbENKUlT_T0_E_clISt17integral_constantIbLb1EEST_IbLb0EEEEDaSP_SQ_EUlSP_E0_NS1_11comp_targetILNS1_3genE10ELNS1_11target_archE1200ELNS1_3gpuE4ELNS1_3repE0EEENS1_30default_config_static_selectorELNS0_4arch9wavefront6targetE1EEEvT1_
	.p2align	8
	.type	_ZN7rocprim17ROCPRIM_400000_NS6detail17trampoline_kernelINS0_14default_configENS1_20scan_config_selectorIdEEZZNS1_9scan_implILNS1_25lookback_scan_determinismE0ELb0ELb0ES3_N6thrust23THRUST_200600_302600_NS6detail15normal_iteratorINS9_10device_ptrIdEEEESE_d11max_functorIdEdEEDaPvRmT3_T4_T5_mT6_P12ihipStream_tbENKUlT_T0_E_clISt17integral_constantIbLb1EEST_IbLb0EEEEDaSP_SQ_EUlSP_E0_NS1_11comp_targetILNS1_3genE10ELNS1_11target_archE1200ELNS1_3gpuE4ELNS1_3repE0EEENS1_30default_config_static_selectorELNS0_4arch9wavefront6targetE1EEEvT1_,@function
_ZN7rocprim17ROCPRIM_400000_NS6detail17trampoline_kernelINS0_14default_configENS1_20scan_config_selectorIdEEZZNS1_9scan_implILNS1_25lookback_scan_determinismE0ELb0ELb0ES3_N6thrust23THRUST_200600_302600_NS6detail15normal_iteratorINS9_10device_ptrIdEEEESE_d11max_functorIdEdEEDaPvRmT3_T4_T5_mT6_P12ihipStream_tbENKUlT_T0_E_clISt17integral_constantIbLb1EEST_IbLb0EEEEDaSP_SQ_EUlSP_E0_NS1_11comp_targetILNS1_3genE10ELNS1_11target_archE1200ELNS1_3gpuE4ELNS1_3repE0EEENS1_30default_config_static_selectorELNS0_4arch9wavefront6targetE1EEEvT1_: ; @_ZN7rocprim17ROCPRIM_400000_NS6detail17trampoline_kernelINS0_14default_configENS1_20scan_config_selectorIdEEZZNS1_9scan_implILNS1_25lookback_scan_determinismE0ELb0ELb0ES3_N6thrust23THRUST_200600_302600_NS6detail15normal_iteratorINS9_10device_ptrIdEEEESE_d11max_functorIdEdEEDaPvRmT3_T4_T5_mT6_P12ihipStream_tbENKUlT_T0_E_clISt17integral_constantIbLb1EEST_IbLb0EEEEDaSP_SQ_EUlSP_E0_NS1_11comp_targetILNS1_3genE10ELNS1_11target_archE1200ELNS1_3gpuE4ELNS1_3repE0EEENS1_30default_config_static_selectorELNS0_4arch9wavefront6targetE1EEEvT1_
; %bb.0:
	.section	.rodata,"a",@progbits
	.p2align	6, 0x0
	.amdhsa_kernel _ZN7rocprim17ROCPRIM_400000_NS6detail17trampoline_kernelINS0_14default_configENS1_20scan_config_selectorIdEEZZNS1_9scan_implILNS1_25lookback_scan_determinismE0ELb0ELb0ES3_N6thrust23THRUST_200600_302600_NS6detail15normal_iteratorINS9_10device_ptrIdEEEESE_d11max_functorIdEdEEDaPvRmT3_T4_T5_mT6_P12ihipStream_tbENKUlT_T0_E_clISt17integral_constantIbLb1EEST_IbLb0EEEEDaSP_SQ_EUlSP_E0_NS1_11comp_targetILNS1_3genE10ELNS1_11target_archE1200ELNS1_3gpuE4ELNS1_3repE0EEENS1_30default_config_static_selectorELNS0_4arch9wavefront6targetE1EEEvT1_
		.amdhsa_group_segment_fixed_size 0
		.amdhsa_private_segment_fixed_size 0
		.amdhsa_kernarg_size 40
		.amdhsa_user_sgpr_count 6
		.amdhsa_user_sgpr_private_segment_buffer 1
		.amdhsa_user_sgpr_dispatch_ptr 0
		.amdhsa_user_sgpr_queue_ptr 0
		.amdhsa_user_sgpr_kernarg_segment_ptr 1
		.amdhsa_user_sgpr_dispatch_id 0
		.amdhsa_user_sgpr_flat_scratch_init 0
		.amdhsa_user_sgpr_kernarg_preload_length 0
		.amdhsa_user_sgpr_kernarg_preload_offset 0
		.amdhsa_user_sgpr_private_segment_size 0
		.amdhsa_uses_dynamic_stack 0
		.amdhsa_system_sgpr_private_segment_wavefront_offset 0
		.amdhsa_system_sgpr_workgroup_id_x 1
		.amdhsa_system_sgpr_workgroup_id_y 0
		.amdhsa_system_sgpr_workgroup_id_z 0
		.amdhsa_system_sgpr_workgroup_info 0
		.amdhsa_system_vgpr_workitem_id 0
		.amdhsa_next_free_vgpr 1
		.amdhsa_next_free_sgpr 0
		.amdhsa_accum_offset 4
		.amdhsa_reserve_vcc 0
		.amdhsa_reserve_flat_scratch 0
		.amdhsa_float_round_mode_32 0
		.amdhsa_float_round_mode_16_64 0
		.amdhsa_float_denorm_mode_32 3
		.amdhsa_float_denorm_mode_16_64 3
		.amdhsa_dx10_clamp 1
		.amdhsa_ieee_mode 1
		.amdhsa_fp16_overflow 0
		.amdhsa_tg_split 0
		.amdhsa_exception_fp_ieee_invalid_op 0
		.amdhsa_exception_fp_denorm_src 0
		.amdhsa_exception_fp_ieee_div_zero 0
		.amdhsa_exception_fp_ieee_overflow 0
		.amdhsa_exception_fp_ieee_underflow 0
		.amdhsa_exception_fp_ieee_inexact 0
		.amdhsa_exception_int_div_zero 0
	.end_amdhsa_kernel
	.section	.text._ZN7rocprim17ROCPRIM_400000_NS6detail17trampoline_kernelINS0_14default_configENS1_20scan_config_selectorIdEEZZNS1_9scan_implILNS1_25lookback_scan_determinismE0ELb0ELb0ES3_N6thrust23THRUST_200600_302600_NS6detail15normal_iteratorINS9_10device_ptrIdEEEESE_d11max_functorIdEdEEDaPvRmT3_T4_T5_mT6_P12ihipStream_tbENKUlT_T0_E_clISt17integral_constantIbLb1EEST_IbLb0EEEEDaSP_SQ_EUlSP_E0_NS1_11comp_targetILNS1_3genE10ELNS1_11target_archE1200ELNS1_3gpuE4ELNS1_3repE0EEENS1_30default_config_static_selectorELNS0_4arch9wavefront6targetE1EEEvT1_,"axG",@progbits,_ZN7rocprim17ROCPRIM_400000_NS6detail17trampoline_kernelINS0_14default_configENS1_20scan_config_selectorIdEEZZNS1_9scan_implILNS1_25lookback_scan_determinismE0ELb0ELb0ES3_N6thrust23THRUST_200600_302600_NS6detail15normal_iteratorINS9_10device_ptrIdEEEESE_d11max_functorIdEdEEDaPvRmT3_T4_T5_mT6_P12ihipStream_tbENKUlT_T0_E_clISt17integral_constantIbLb1EEST_IbLb0EEEEDaSP_SQ_EUlSP_E0_NS1_11comp_targetILNS1_3genE10ELNS1_11target_archE1200ELNS1_3gpuE4ELNS1_3repE0EEENS1_30default_config_static_selectorELNS0_4arch9wavefront6targetE1EEEvT1_,comdat
.Lfunc_end1849:
	.size	_ZN7rocprim17ROCPRIM_400000_NS6detail17trampoline_kernelINS0_14default_configENS1_20scan_config_selectorIdEEZZNS1_9scan_implILNS1_25lookback_scan_determinismE0ELb0ELb0ES3_N6thrust23THRUST_200600_302600_NS6detail15normal_iteratorINS9_10device_ptrIdEEEESE_d11max_functorIdEdEEDaPvRmT3_T4_T5_mT6_P12ihipStream_tbENKUlT_T0_E_clISt17integral_constantIbLb1EEST_IbLb0EEEEDaSP_SQ_EUlSP_E0_NS1_11comp_targetILNS1_3genE10ELNS1_11target_archE1200ELNS1_3gpuE4ELNS1_3repE0EEENS1_30default_config_static_selectorELNS0_4arch9wavefront6targetE1EEEvT1_, .Lfunc_end1849-_ZN7rocprim17ROCPRIM_400000_NS6detail17trampoline_kernelINS0_14default_configENS1_20scan_config_selectorIdEEZZNS1_9scan_implILNS1_25lookback_scan_determinismE0ELb0ELb0ES3_N6thrust23THRUST_200600_302600_NS6detail15normal_iteratorINS9_10device_ptrIdEEEESE_d11max_functorIdEdEEDaPvRmT3_T4_T5_mT6_P12ihipStream_tbENKUlT_T0_E_clISt17integral_constantIbLb1EEST_IbLb0EEEEDaSP_SQ_EUlSP_E0_NS1_11comp_targetILNS1_3genE10ELNS1_11target_archE1200ELNS1_3gpuE4ELNS1_3repE0EEENS1_30default_config_static_selectorELNS0_4arch9wavefront6targetE1EEEvT1_
                                        ; -- End function
	.section	.AMDGPU.csdata,"",@progbits
; Kernel info:
; codeLenInByte = 0
; NumSgprs: 4
; NumVgprs: 0
; NumAgprs: 0
; TotalNumVgprs: 0
; ScratchSize: 0
; MemoryBound: 0
; FloatMode: 240
; IeeeMode: 1
; LDSByteSize: 0 bytes/workgroup (compile time only)
; SGPRBlocks: 0
; VGPRBlocks: 0
; NumSGPRsForWavesPerEU: 4
; NumVGPRsForWavesPerEU: 1
; AccumOffset: 4
; Occupancy: 8
; WaveLimiterHint : 0
; COMPUTE_PGM_RSRC2:SCRATCH_EN: 0
; COMPUTE_PGM_RSRC2:USER_SGPR: 6
; COMPUTE_PGM_RSRC2:TRAP_HANDLER: 0
; COMPUTE_PGM_RSRC2:TGID_X_EN: 1
; COMPUTE_PGM_RSRC2:TGID_Y_EN: 0
; COMPUTE_PGM_RSRC2:TGID_Z_EN: 0
; COMPUTE_PGM_RSRC2:TIDIG_COMP_CNT: 0
; COMPUTE_PGM_RSRC3_GFX90A:ACCUM_OFFSET: 0
; COMPUTE_PGM_RSRC3_GFX90A:TG_SPLIT: 0
	.section	.text._ZN7rocprim17ROCPRIM_400000_NS6detail17trampoline_kernelINS0_14default_configENS1_20scan_config_selectorIdEEZZNS1_9scan_implILNS1_25lookback_scan_determinismE0ELb0ELb0ES3_N6thrust23THRUST_200600_302600_NS6detail15normal_iteratorINS9_10device_ptrIdEEEESE_d11max_functorIdEdEEDaPvRmT3_T4_T5_mT6_P12ihipStream_tbENKUlT_T0_E_clISt17integral_constantIbLb1EEST_IbLb0EEEEDaSP_SQ_EUlSP_E0_NS1_11comp_targetILNS1_3genE9ELNS1_11target_archE1100ELNS1_3gpuE3ELNS1_3repE0EEENS1_30default_config_static_selectorELNS0_4arch9wavefront6targetE1EEEvT1_,"axG",@progbits,_ZN7rocprim17ROCPRIM_400000_NS6detail17trampoline_kernelINS0_14default_configENS1_20scan_config_selectorIdEEZZNS1_9scan_implILNS1_25lookback_scan_determinismE0ELb0ELb0ES3_N6thrust23THRUST_200600_302600_NS6detail15normal_iteratorINS9_10device_ptrIdEEEESE_d11max_functorIdEdEEDaPvRmT3_T4_T5_mT6_P12ihipStream_tbENKUlT_T0_E_clISt17integral_constantIbLb1EEST_IbLb0EEEEDaSP_SQ_EUlSP_E0_NS1_11comp_targetILNS1_3genE9ELNS1_11target_archE1100ELNS1_3gpuE3ELNS1_3repE0EEENS1_30default_config_static_selectorELNS0_4arch9wavefront6targetE1EEEvT1_,comdat
	.protected	_ZN7rocprim17ROCPRIM_400000_NS6detail17trampoline_kernelINS0_14default_configENS1_20scan_config_selectorIdEEZZNS1_9scan_implILNS1_25lookback_scan_determinismE0ELb0ELb0ES3_N6thrust23THRUST_200600_302600_NS6detail15normal_iteratorINS9_10device_ptrIdEEEESE_d11max_functorIdEdEEDaPvRmT3_T4_T5_mT6_P12ihipStream_tbENKUlT_T0_E_clISt17integral_constantIbLb1EEST_IbLb0EEEEDaSP_SQ_EUlSP_E0_NS1_11comp_targetILNS1_3genE9ELNS1_11target_archE1100ELNS1_3gpuE3ELNS1_3repE0EEENS1_30default_config_static_selectorELNS0_4arch9wavefront6targetE1EEEvT1_ ; -- Begin function _ZN7rocprim17ROCPRIM_400000_NS6detail17trampoline_kernelINS0_14default_configENS1_20scan_config_selectorIdEEZZNS1_9scan_implILNS1_25lookback_scan_determinismE0ELb0ELb0ES3_N6thrust23THRUST_200600_302600_NS6detail15normal_iteratorINS9_10device_ptrIdEEEESE_d11max_functorIdEdEEDaPvRmT3_T4_T5_mT6_P12ihipStream_tbENKUlT_T0_E_clISt17integral_constantIbLb1EEST_IbLb0EEEEDaSP_SQ_EUlSP_E0_NS1_11comp_targetILNS1_3genE9ELNS1_11target_archE1100ELNS1_3gpuE3ELNS1_3repE0EEENS1_30default_config_static_selectorELNS0_4arch9wavefront6targetE1EEEvT1_
	.globl	_ZN7rocprim17ROCPRIM_400000_NS6detail17trampoline_kernelINS0_14default_configENS1_20scan_config_selectorIdEEZZNS1_9scan_implILNS1_25lookback_scan_determinismE0ELb0ELb0ES3_N6thrust23THRUST_200600_302600_NS6detail15normal_iteratorINS9_10device_ptrIdEEEESE_d11max_functorIdEdEEDaPvRmT3_T4_T5_mT6_P12ihipStream_tbENKUlT_T0_E_clISt17integral_constantIbLb1EEST_IbLb0EEEEDaSP_SQ_EUlSP_E0_NS1_11comp_targetILNS1_3genE9ELNS1_11target_archE1100ELNS1_3gpuE3ELNS1_3repE0EEENS1_30default_config_static_selectorELNS0_4arch9wavefront6targetE1EEEvT1_
	.p2align	8
	.type	_ZN7rocprim17ROCPRIM_400000_NS6detail17trampoline_kernelINS0_14default_configENS1_20scan_config_selectorIdEEZZNS1_9scan_implILNS1_25lookback_scan_determinismE0ELb0ELb0ES3_N6thrust23THRUST_200600_302600_NS6detail15normal_iteratorINS9_10device_ptrIdEEEESE_d11max_functorIdEdEEDaPvRmT3_T4_T5_mT6_P12ihipStream_tbENKUlT_T0_E_clISt17integral_constantIbLb1EEST_IbLb0EEEEDaSP_SQ_EUlSP_E0_NS1_11comp_targetILNS1_3genE9ELNS1_11target_archE1100ELNS1_3gpuE3ELNS1_3repE0EEENS1_30default_config_static_selectorELNS0_4arch9wavefront6targetE1EEEvT1_,@function
_ZN7rocprim17ROCPRIM_400000_NS6detail17trampoline_kernelINS0_14default_configENS1_20scan_config_selectorIdEEZZNS1_9scan_implILNS1_25lookback_scan_determinismE0ELb0ELb0ES3_N6thrust23THRUST_200600_302600_NS6detail15normal_iteratorINS9_10device_ptrIdEEEESE_d11max_functorIdEdEEDaPvRmT3_T4_T5_mT6_P12ihipStream_tbENKUlT_T0_E_clISt17integral_constantIbLb1EEST_IbLb0EEEEDaSP_SQ_EUlSP_E0_NS1_11comp_targetILNS1_3genE9ELNS1_11target_archE1100ELNS1_3gpuE3ELNS1_3repE0EEENS1_30default_config_static_selectorELNS0_4arch9wavefront6targetE1EEEvT1_: ; @_ZN7rocprim17ROCPRIM_400000_NS6detail17trampoline_kernelINS0_14default_configENS1_20scan_config_selectorIdEEZZNS1_9scan_implILNS1_25lookback_scan_determinismE0ELb0ELb0ES3_N6thrust23THRUST_200600_302600_NS6detail15normal_iteratorINS9_10device_ptrIdEEEESE_d11max_functorIdEdEEDaPvRmT3_T4_T5_mT6_P12ihipStream_tbENKUlT_T0_E_clISt17integral_constantIbLb1EEST_IbLb0EEEEDaSP_SQ_EUlSP_E0_NS1_11comp_targetILNS1_3genE9ELNS1_11target_archE1100ELNS1_3gpuE3ELNS1_3repE0EEENS1_30default_config_static_selectorELNS0_4arch9wavefront6targetE1EEEvT1_
; %bb.0:
	.section	.rodata,"a",@progbits
	.p2align	6, 0x0
	.amdhsa_kernel _ZN7rocprim17ROCPRIM_400000_NS6detail17trampoline_kernelINS0_14default_configENS1_20scan_config_selectorIdEEZZNS1_9scan_implILNS1_25lookback_scan_determinismE0ELb0ELb0ES3_N6thrust23THRUST_200600_302600_NS6detail15normal_iteratorINS9_10device_ptrIdEEEESE_d11max_functorIdEdEEDaPvRmT3_T4_T5_mT6_P12ihipStream_tbENKUlT_T0_E_clISt17integral_constantIbLb1EEST_IbLb0EEEEDaSP_SQ_EUlSP_E0_NS1_11comp_targetILNS1_3genE9ELNS1_11target_archE1100ELNS1_3gpuE3ELNS1_3repE0EEENS1_30default_config_static_selectorELNS0_4arch9wavefront6targetE1EEEvT1_
		.amdhsa_group_segment_fixed_size 0
		.amdhsa_private_segment_fixed_size 0
		.amdhsa_kernarg_size 40
		.amdhsa_user_sgpr_count 6
		.amdhsa_user_sgpr_private_segment_buffer 1
		.amdhsa_user_sgpr_dispatch_ptr 0
		.amdhsa_user_sgpr_queue_ptr 0
		.amdhsa_user_sgpr_kernarg_segment_ptr 1
		.amdhsa_user_sgpr_dispatch_id 0
		.amdhsa_user_sgpr_flat_scratch_init 0
		.amdhsa_user_sgpr_kernarg_preload_length 0
		.amdhsa_user_sgpr_kernarg_preload_offset 0
		.amdhsa_user_sgpr_private_segment_size 0
		.amdhsa_uses_dynamic_stack 0
		.amdhsa_system_sgpr_private_segment_wavefront_offset 0
		.amdhsa_system_sgpr_workgroup_id_x 1
		.amdhsa_system_sgpr_workgroup_id_y 0
		.amdhsa_system_sgpr_workgroup_id_z 0
		.amdhsa_system_sgpr_workgroup_info 0
		.amdhsa_system_vgpr_workitem_id 0
		.amdhsa_next_free_vgpr 1
		.amdhsa_next_free_sgpr 0
		.amdhsa_accum_offset 4
		.amdhsa_reserve_vcc 0
		.amdhsa_reserve_flat_scratch 0
		.amdhsa_float_round_mode_32 0
		.amdhsa_float_round_mode_16_64 0
		.amdhsa_float_denorm_mode_32 3
		.amdhsa_float_denorm_mode_16_64 3
		.amdhsa_dx10_clamp 1
		.amdhsa_ieee_mode 1
		.amdhsa_fp16_overflow 0
		.amdhsa_tg_split 0
		.amdhsa_exception_fp_ieee_invalid_op 0
		.amdhsa_exception_fp_denorm_src 0
		.amdhsa_exception_fp_ieee_div_zero 0
		.amdhsa_exception_fp_ieee_overflow 0
		.amdhsa_exception_fp_ieee_underflow 0
		.amdhsa_exception_fp_ieee_inexact 0
		.amdhsa_exception_int_div_zero 0
	.end_amdhsa_kernel
	.section	.text._ZN7rocprim17ROCPRIM_400000_NS6detail17trampoline_kernelINS0_14default_configENS1_20scan_config_selectorIdEEZZNS1_9scan_implILNS1_25lookback_scan_determinismE0ELb0ELb0ES3_N6thrust23THRUST_200600_302600_NS6detail15normal_iteratorINS9_10device_ptrIdEEEESE_d11max_functorIdEdEEDaPvRmT3_T4_T5_mT6_P12ihipStream_tbENKUlT_T0_E_clISt17integral_constantIbLb1EEST_IbLb0EEEEDaSP_SQ_EUlSP_E0_NS1_11comp_targetILNS1_3genE9ELNS1_11target_archE1100ELNS1_3gpuE3ELNS1_3repE0EEENS1_30default_config_static_selectorELNS0_4arch9wavefront6targetE1EEEvT1_,"axG",@progbits,_ZN7rocprim17ROCPRIM_400000_NS6detail17trampoline_kernelINS0_14default_configENS1_20scan_config_selectorIdEEZZNS1_9scan_implILNS1_25lookback_scan_determinismE0ELb0ELb0ES3_N6thrust23THRUST_200600_302600_NS6detail15normal_iteratorINS9_10device_ptrIdEEEESE_d11max_functorIdEdEEDaPvRmT3_T4_T5_mT6_P12ihipStream_tbENKUlT_T0_E_clISt17integral_constantIbLb1EEST_IbLb0EEEEDaSP_SQ_EUlSP_E0_NS1_11comp_targetILNS1_3genE9ELNS1_11target_archE1100ELNS1_3gpuE3ELNS1_3repE0EEENS1_30default_config_static_selectorELNS0_4arch9wavefront6targetE1EEEvT1_,comdat
.Lfunc_end1850:
	.size	_ZN7rocprim17ROCPRIM_400000_NS6detail17trampoline_kernelINS0_14default_configENS1_20scan_config_selectorIdEEZZNS1_9scan_implILNS1_25lookback_scan_determinismE0ELb0ELb0ES3_N6thrust23THRUST_200600_302600_NS6detail15normal_iteratorINS9_10device_ptrIdEEEESE_d11max_functorIdEdEEDaPvRmT3_T4_T5_mT6_P12ihipStream_tbENKUlT_T0_E_clISt17integral_constantIbLb1EEST_IbLb0EEEEDaSP_SQ_EUlSP_E0_NS1_11comp_targetILNS1_3genE9ELNS1_11target_archE1100ELNS1_3gpuE3ELNS1_3repE0EEENS1_30default_config_static_selectorELNS0_4arch9wavefront6targetE1EEEvT1_, .Lfunc_end1850-_ZN7rocprim17ROCPRIM_400000_NS6detail17trampoline_kernelINS0_14default_configENS1_20scan_config_selectorIdEEZZNS1_9scan_implILNS1_25lookback_scan_determinismE0ELb0ELb0ES3_N6thrust23THRUST_200600_302600_NS6detail15normal_iteratorINS9_10device_ptrIdEEEESE_d11max_functorIdEdEEDaPvRmT3_T4_T5_mT6_P12ihipStream_tbENKUlT_T0_E_clISt17integral_constantIbLb1EEST_IbLb0EEEEDaSP_SQ_EUlSP_E0_NS1_11comp_targetILNS1_3genE9ELNS1_11target_archE1100ELNS1_3gpuE3ELNS1_3repE0EEENS1_30default_config_static_selectorELNS0_4arch9wavefront6targetE1EEEvT1_
                                        ; -- End function
	.section	.AMDGPU.csdata,"",@progbits
; Kernel info:
; codeLenInByte = 0
; NumSgprs: 4
; NumVgprs: 0
; NumAgprs: 0
; TotalNumVgprs: 0
; ScratchSize: 0
; MemoryBound: 0
; FloatMode: 240
; IeeeMode: 1
; LDSByteSize: 0 bytes/workgroup (compile time only)
; SGPRBlocks: 0
; VGPRBlocks: 0
; NumSGPRsForWavesPerEU: 4
; NumVGPRsForWavesPerEU: 1
; AccumOffset: 4
; Occupancy: 8
; WaveLimiterHint : 0
; COMPUTE_PGM_RSRC2:SCRATCH_EN: 0
; COMPUTE_PGM_RSRC2:USER_SGPR: 6
; COMPUTE_PGM_RSRC2:TRAP_HANDLER: 0
; COMPUTE_PGM_RSRC2:TGID_X_EN: 1
; COMPUTE_PGM_RSRC2:TGID_Y_EN: 0
; COMPUTE_PGM_RSRC2:TGID_Z_EN: 0
; COMPUTE_PGM_RSRC2:TIDIG_COMP_CNT: 0
; COMPUTE_PGM_RSRC3_GFX90A:ACCUM_OFFSET: 0
; COMPUTE_PGM_RSRC3_GFX90A:TG_SPLIT: 0
	.section	.text._ZN7rocprim17ROCPRIM_400000_NS6detail17trampoline_kernelINS0_14default_configENS1_20scan_config_selectorIdEEZZNS1_9scan_implILNS1_25lookback_scan_determinismE0ELb0ELb0ES3_N6thrust23THRUST_200600_302600_NS6detail15normal_iteratorINS9_10device_ptrIdEEEESE_d11max_functorIdEdEEDaPvRmT3_T4_T5_mT6_P12ihipStream_tbENKUlT_T0_E_clISt17integral_constantIbLb1EEST_IbLb0EEEEDaSP_SQ_EUlSP_E0_NS1_11comp_targetILNS1_3genE8ELNS1_11target_archE1030ELNS1_3gpuE2ELNS1_3repE0EEENS1_30default_config_static_selectorELNS0_4arch9wavefront6targetE1EEEvT1_,"axG",@progbits,_ZN7rocprim17ROCPRIM_400000_NS6detail17trampoline_kernelINS0_14default_configENS1_20scan_config_selectorIdEEZZNS1_9scan_implILNS1_25lookback_scan_determinismE0ELb0ELb0ES3_N6thrust23THRUST_200600_302600_NS6detail15normal_iteratorINS9_10device_ptrIdEEEESE_d11max_functorIdEdEEDaPvRmT3_T4_T5_mT6_P12ihipStream_tbENKUlT_T0_E_clISt17integral_constantIbLb1EEST_IbLb0EEEEDaSP_SQ_EUlSP_E0_NS1_11comp_targetILNS1_3genE8ELNS1_11target_archE1030ELNS1_3gpuE2ELNS1_3repE0EEENS1_30default_config_static_selectorELNS0_4arch9wavefront6targetE1EEEvT1_,comdat
	.protected	_ZN7rocprim17ROCPRIM_400000_NS6detail17trampoline_kernelINS0_14default_configENS1_20scan_config_selectorIdEEZZNS1_9scan_implILNS1_25lookback_scan_determinismE0ELb0ELb0ES3_N6thrust23THRUST_200600_302600_NS6detail15normal_iteratorINS9_10device_ptrIdEEEESE_d11max_functorIdEdEEDaPvRmT3_T4_T5_mT6_P12ihipStream_tbENKUlT_T0_E_clISt17integral_constantIbLb1EEST_IbLb0EEEEDaSP_SQ_EUlSP_E0_NS1_11comp_targetILNS1_3genE8ELNS1_11target_archE1030ELNS1_3gpuE2ELNS1_3repE0EEENS1_30default_config_static_selectorELNS0_4arch9wavefront6targetE1EEEvT1_ ; -- Begin function _ZN7rocprim17ROCPRIM_400000_NS6detail17trampoline_kernelINS0_14default_configENS1_20scan_config_selectorIdEEZZNS1_9scan_implILNS1_25lookback_scan_determinismE0ELb0ELb0ES3_N6thrust23THRUST_200600_302600_NS6detail15normal_iteratorINS9_10device_ptrIdEEEESE_d11max_functorIdEdEEDaPvRmT3_T4_T5_mT6_P12ihipStream_tbENKUlT_T0_E_clISt17integral_constantIbLb1EEST_IbLb0EEEEDaSP_SQ_EUlSP_E0_NS1_11comp_targetILNS1_3genE8ELNS1_11target_archE1030ELNS1_3gpuE2ELNS1_3repE0EEENS1_30default_config_static_selectorELNS0_4arch9wavefront6targetE1EEEvT1_
	.globl	_ZN7rocprim17ROCPRIM_400000_NS6detail17trampoline_kernelINS0_14default_configENS1_20scan_config_selectorIdEEZZNS1_9scan_implILNS1_25lookback_scan_determinismE0ELb0ELb0ES3_N6thrust23THRUST_200600_302600_NS6detail15normal_iteratorINS9_10device_ptrIdEEEESE_d11max_functorIdEdEEDaPvRmT3_T4_T5_mT6_P12ihipStream_tbENKUlT_T0_E_clISt17integral_constantIbLb1EEST_IbLb0EEEEDaSP_SQ_EUlSP_E0_NS1_11comp_targetILNS1_3genE8ELNS1_11target_archE1030ELNS1_3gpuE2ELNS1_3repE0EEENS1_30default_config_static_selectorELNS0_4arch9wavefront6targetE1EEEvT1_
	.p2align	8
	.type	_ZN7rocprim17ROCPRIM_400000_NS6detail17trampoline_kernelINS0_14default_configENS1_20scan_config_selectorIdEEZZNS1_9scan_implILNS1_25lookback_scan_determinismE0ELb0ELb0ES3_N6thrust23THRUST_200600_302600_NS6detail15normal_iteratorINS9_10device_ptrIdEEEESE_d11max_functorIdEdEEDaPvRmT3_T4_T5_mT6_P12ihipStream_tbENKUlT_T0_E_clISt17integral_constantIbLb1EEST_IbLb0EEEEDaSP_SQ_EUlSP_E0_NS1_11comp_targetILNS1_3genE8ELNS1_11target_archE1030ELNS1_3gpuE2ELNS1_3repE0EEENS1_30default_config_static_selectorELNS0_4arch9wavefront6targetE1EEEvT1_,@function
_ZN7rocprim17ROCPRIM_400000_NS6detail17trampoline_kernelINS0_14default_configENS1_20scan_config_selectorIdEEZZNS1_9scan_implILNS1_25lookback_scan_determinismE0ELb0ELb0ES3_N6thrust23THRUST_200600_302600_NS6detail15normal_iteratorINS9_10device_ptrIdEEEESE_d11max_functorIdEdEEDaPvRmT3_T4_T5_mT6_P12ihipStream_tbENKUlT_T0_E_clISt17integral_constantIbLb1EEST_IbLb0EEEEDaSP_SQ_EUlSP_E0_NS1_11comp_targetILNS1_3genE8ELNS1_11target_archE1030ELNS1_3gpuE2ELNS1_3repE0EEENS1_30default_config_static_selectorELNS0_4arch9wavefront6targetE1EEEvT1_: ; @_ZN7rocprim17ROCPRIM_400000_NS6detail17trampoline_kernelINS0_14default_configENS1_20scan_config_selectorIdEEZZNS1_9scan_implILNS1_25lookback_scan_determinismE0ELb0ELb0ES3_N6thrust23THRUST_200600_302600_NS6detail15normal_iteratorINS9_10device_ptrIdEEEESE_d11max_functorIdEdEEDaPvRmT3_T4_T5_mT6_P12ihipStream_tbENKUlT_T0_E_clISt17integral_constantIbLb1EEST_IbLb0EEEEDaSP_SQ_EUlSP_E0_NS1_11comp_targetILNS1_3genE8ELNS1_11target_archE1030ELNS1_3gpuE2ELNS1_3repE0EEENS1_30default_config_static_selectorELNS0_4arch9wavefront6targetE1EEEvT1_
; %bb.0:
	.section	.rodata,"a",@progbits
	.p2align	6, 0x0
	.amdhsa_kernel _ZN7rocprim17ROCPRIM_400000_NS6detail17trampoline_kernelINS0_14default_configENS1_20scan_config_selectorIdEEZZNS1_9scan_implILNS1_25lookback_scan_determinismE0ELb0ELb0ES3_N6thrust23THRUST_200600_302600_NS6detail15normal_iteratorINS9_10device_ptrIdEEEESE_d11max_functorIdEdEEDaPvRmT3_T4_T5_mT6_P12ihipStream_tbENKUlT_T0_E_clISt17integral_constantIbLb1EEST_IbLb0EEEEDaSP_SQ_EUlSP_E0_NS1_11comp_targetILNS1_3genE8ELNS1_11target_archE1030ELNS1_3gpuE2ELNS1_3repE0EEENS1_30default_config_static_selectorELNS0_4arch9wavefront6targetE1EEEvT1_
		.amdhsa_group_segment_fixed_size 0
		.amdhsa_private_segment_fixed_size 0
		.amdhsa_kernarg_size 40
		.amdhsa_user_sgpr_count 6
		.amdhsa_user_sgpr_private_segment_buffer 1
		.amdhsa_user_sgpr_dispatch_ptr 0
		.amdhsa_user_sgpr_queue_ptr 0
		.amdhsa_user_sgpr_kernarg_segment_ptr 1
		.amdhsa_user_sgpr_dispatch_id 0
		.amdhsa_user_sgpr_flat_scratch_init 0
		.amdhsa_user_sgpr_kernarg_preload_length 0
		.amdhsa_user_sgpr_kernarg_preload_offset 0
		.amdhsa_user_sgpr_private_segment_size 0
		.amdhsa_uses_dynamic_stack 0
		.amdhsa_system_sgpr_private_segment_wavefront_offset 0
		.amdhsa_system_sgpr_workgroup_id_x 1
		.amdhsa_system_sgpr_workgroup_id_y 0
		.amdhsa_system_sgpr_workgroup_id_z 0
		.amdhsa_system_sgpr_workgroup_info 0
		.amdhsa_system_vgpr_workitem_id 0
		.amdhsa_next_free_vgpr 1
		.amdhsa_next_free_sgpr 0
		.amdhsa_accum_offset 4
		.amdhsa_reserve_vcc 0
		.amdhsa_reserve_flat_scratch 0
		.amdhsa_float_round_mode_32 0
		.amdhsa_float_round_mode_16_64 0
		.amdhsa_float_denorm_mode_32 3
		.amdhsa_float_denorm_mode_16_64 3
		.amdhsa_dx10_clamp 1
		.amdhsa_ieee_mode 1
		.amdhsa_fp16_overflow 0
		.amdhsa_tg_split 0
		.amdhsa_exception_fp_ieee_invalid_op 0
		.amdhsa_exception_fp_denorm_src 0
		.amdhsa_exception_fp_ieee_div_zero 0
		.amdhsa_exception_fp_ieee_overflow 0
		.amdhsa_exception_fp_ieee_underflow 0
		.amdhsa_exception_fp_ieee_inexact 0
		.amdhsa_exception_int_div_zero 0
	.end_amdhsa_kernel
	.section	.text._ZN7rocprim17ROCPRIM_400000_NS6detail17trampoline_kernelINS0_14default_configENS1_20scan_config_selectorIdEEZZNS1_9scan_implILNS1_25lookback_scan_determinismE0ELb0ELb0ES3_N6thrust23THRUST_200600_302600_NS6detail15normal_iteratorINS9_10device_ptrIdEEEESE_d11max_functorIdEdEEDaPvRmT3_T4_T5_mT6_P12ihipStream_tbENKUlT_T0_E_clISt17integral_constantIbLb1EEST_IbLb0EEEEDaSP_SQ_EUlSP_E0_NS1_11comp_targetILNS1_3genE8ELNS1_11target_archE1030ELNS1_3gpuE2ELNS1_3repE0EEENS1_30default_config_static_selectorELNS0_4arch9wavefront6targetE1EEEvT1_,"axG",@progbits,_ZN7rocprim17ROCPRIM_400000_NS6detail17trampoline_kernelINS0_14default_configENS1_20scan_config_selectorIdEEZZNS1_9scan_implILNS1_25lookback_scan_determinismE0ELb0ELb0ES3_N6thrust23THRUST_200600_302600_NS6detail15normal_iteratorINS9_10device_ptrIdEEEESE_d11max_functorIdEdEEDaPvRmT3_T4_T5_mT6_P12ihipStream_tbENKUlT_T0_E_clISt17integral_constantIbLb1EEST_IbLb0EEEEDaSP_SQ_EUlSP_E0_NS1_11comp_targetILNS1_3genE8ELNS1_11target_archE1030ELNS1_3gpuE2ELNS1_3repE0EEENS1_30default_config_static_selectorELNS0_4arch9wavefront6targetE1EEEvT1_,comdat
.Lfunc_end1851:
	.size	_ZN7rocprim17ROCPRIM_400000_NS6detail17trampoline_kernelINS0_14default_configENS1_20scan_config_selectorIdEEZZNS1_9scan_implILNS1_25lookback_scan_determinismE0ELb0ELb0ES3_N6thrust23THRUST_200600_302600_NS6detail15normal_iteratorINS9_10device_ptrIdEEEESE_d11max_functorIdEdEEDaPvRmT3_T4_T5_mT6_P12ihipStream_tbENKUlT_T0_E_clISt17integral_constantIbLb1EEST_IbLb0EEEEDaSP_SQ_EUlSP_E0_NS1_11comp_targetILNS1_3genE8ELNS1_11target_archE1030ELNS1_3gpuE2ELNS1_3repE0EEENS1_30default_config_static_selectorELNS0_4arch9wavefront6targetE1EEEvT1_, .Lfunc_end1851-_ZN7rocprim17ROCPRIM_400000_NS6detail17trampoline_kernelINS0_14default_configENS1_20scan_config_selectorIdEEZZNS1_9scan_implILNS1_25lookback_scan_determinismE0ELb0ELb0ES3_N6thrust23THRUST_200600_302600_NS6detail15normal_iteratorINS9_10device_ptrIdEEEESE_d11max_functorIdEdEEDaPvRmT3_T4_T5_mT6_P12ihipStream_tbENKUlT_T0_E_clISt17integral_constantIbLb1EEST_IbLb0EEEEDaSP_SQ_EUlSP_E0_NS1_11comp_targetILNS1_3genE8ELNS1_11target_archE1030ELNS1_3gpuE2ELNS1_3repE0EEENS1_30default_config_static_selectorELNS0_4arch9wavefront6targetE1EEEvT1_
                                        ; -- End function
	.section	.AMDGPU.csdata,"",@progbits
; Kernel info:
; codeLenInByte = 0
; NumSgprs: 4
; NumVgprs: 0
; NumAgprs: 0
; TotalNumVgprs: 0
; ScratchSize: 0
; MemoryBound: 0
; FloatMode: 240
; IeeeMode: 1
; LDSByteSize: 0 bytes/workgroup (compile time only)
; SGPRBlocks: 0
; VGPRBlocks: 0
; NumSGPRsForWavesPerEU: 4
; NumVGPRsForWavesPerEU: 1
; AccumOffset: 4
; Occupancy: 8
; WaveLimiterHint : 0
; COMPUTE_PGM_RSRC2:SCRATCH_EN: 0
; COMPUTE_PGM_RSRC2:USER_SGPR: 6
; COMPUTE_PGM_RSRC2:TRAP_HANDLER: 0
; COMPUTE_PGM_RSRC2:TGID_X_EN: 1
; COMPUTE_PGM_RSRC2:TGID_Y_EN: 0
; COMPUTE_PGM_RSRC2:TGID_Z_EN: 0
; COMPUTE_PGM_RSRC2:TIDIG_COMP_CNT: 0
; COMPUTE_PGM_RSRC3_GFX90A:ACCUM_OFFSET: 0
; COMPUTE_PGM_RSRC3_GFX90A:TG_SPLIT: 0
	.section	.text._ZN7rocprim17ROCPRIM_400000_NS6detail31init_lookback_scan_state_kernelINS1_19lookback_scan_stateIdLb0ELb1EEENS1_16block_id_wrapperIjLb1EEEEEvT_jT0_jPNS7_10value_typeE,"axG",@progbits,_ZN7rocprim17ROCPRIM_400000_NS6detail31init_lookback_scan_state_kernelINS1_19lookback_scan_stateIdLb0ELb1EEENS1_16block_id_wrapperIjLb1EEEEEvT_jT0_jPNS7_10value_typeE,comdat
	.protected	_ZN7rocprim17ROCPRIM_400000_NS6detail31init_lookback_scan_state_kernelINS1_19lookback_scan_stateIdLb0ELb1EEENS1_16block_id_wrapperIjLb1EEEEEvT_jT0_jPNS7_10value_typeE ; -- Begin function _ZN7rocprim17ROCPRIM_400000_NS6detail31init_lookback_scan_state_kernelINS1_19lookback_scan_stateIdLb0ELb1EEENS1_16block_id_wrapperIjLb1EEEEEvT_jT0_jPNS7_10value_typeE
	.globl	_ZN7rocprim17ROCPRIM_400000_NS6detail31init_lookback_scan_state_kernelINS1_19lookback_scan_stateIdLb0ELb1EEENS1_16block_id_wrapperIjLb1EEEEEvT_jT0_jPNS7_10value_typeE
	.p2align	8
	.type	_ZN7rocprim17ROCPRIM_400000_NS6detail31init_lookback_scan_state_kernelINS1_19lookback_scan_stateIdLb0ELb1EEENS1_16block_id_wrapperIjLb1EEEEEvT_jT0_jPNS7_10value_typeE,@function
_ZN7rocprim17ROCPRIM_400000_NS6detail31init_lookback_scan_state_kernelINS1_19lookback_scan_stateIdLb0ELb1EEENS1_16block_id_wrapperIjLb1EEEEEvT_jT0_jPNS7_10value_typeE: ; @_ZN7rocprim17ROCPRIM_400000_NS6detail31init_lookback_scan_state_kernelINS1_19lookback_scan_stateIdLb0ELb1EEENS1_16block_id_wrapperIjLb1EEEEEvT_jT0_jPNS7_10value_typeE
; %bb.0:
	s_load_dword s7, s[4:5], 0x34
	s_load_dwordx2 s[2:3], s[4:5], 0x20
	s_load_dwordx2 s[0:1], s[4:5], 0x0
	s_load_dword s14, s[4:5], 0x8
	s_waitcnt lgkmcnt(0)
	s_and_b32 s7, s7, 0xffff
	s_mul_i32 s6, s6, s7
	s_cmp_eq_u64 s[2:3], 0
	v_add_u32_e32 v0, s6, v0
	s_cbranch_scc1 .LBB1852_8
; %bb.1:
	s_load_dword s8, s[4:5], 0x18
	s_mov_b32 s9, 0
	s_waitcnt lgkmcnt(0)
	s_cmp_lt_u32 s8, s14
	s_cselect_b32 s6, s8, 0
	v_cmp_eq_u32_e32 vcc, s6, v0
	s_and_saveexec_b64 s[6:7], vcc
	s_cbranch_execz .LBB1852_7
; %bb.2:
	s_add_i32 s8, s8, 64
	s_lshl_b64 s[8:9], s[8:9], 4
	s_add_u32 s12, s0, s8
	s_addc_u32 s13, s1, s9
	v_pk_mov_b32 v[2:3], s[12:13], s[12:13] op_sel:[0,1]
	;;#ASMSTART
	global_load_dwordx4 v[2:5], v[2:3] off glc	
s_waitcnt vmcnt(0)
	;;#ASMEND
	v_mov_b32_e32 v7, 0
	v_and_b32_e32 v6, 0xff, v4
	s_mov_b64 s[10:11], 0
	v_cmp_eq_u64_e32 vcc, 0, v[6:7]
	s_and_saveexec_b64 s[8:9], vcc
	s_cbranch_execz .LBB1852_6
; %bb.3:
	v_pk_mov_b32 v[8:9], s[12:13], s[12:13] op_sel:[0,1]
.LBB1852_4:                             ; =>This Inner Loop Header: Depth=1
	;;#ASMSTART
	global_load_dwordx4 v[2:5], v[8:9] off glc	
s_waitcnt vmcnt(0)
	;;#ASMEND
	v_and_b32_e32 v6, 0xff, v4
	v_cmp_ne_u64_e32 vcc, 0, v[6:7]
	s_or_b64 s[10:11], vcc, s[10:11]
	s_andn2_b64 exec, exec, s[10:11]
	s_cbranch_execnz .LBB1852_4
; %bb.5:
	s_or_b64 exec, exec, s[10:11]
.LBB1852_6:
	s_or_b64 exec, exec, s[8:9]
	v_mov_b32_e32 v1, 0
	global_store_dwordx2 v1, v[2:3], s[2:3]
.LBB1852_7:
	s_or_b64 exec, exec, s[6:7]
.LBB1852_8:
	v_cmp_eq_u32_e32 vcc, 0, v0
	s_and_saveexec_b64 s[2:3], vcc
	s_cbranch_execnz .LBB1852_12
; %bb.9:
	s_or_b64 exec, exec, s[2:3]
	v_cmp_gt_u32_e32 vcc, s14, v0
	s_and_saveexec_b64 s[2:3], vcc
	s_cbranch_execnz .LBB1852_13
.LBB1852_10:
	s_or_b64 exec, exec, s[2:3]
	v_cmp_gt_u32_e32 vcc, 64, v0
	s_and_saveexec_b64 s[2:3], vcc
	s_cbranch_execnz .LBB1852_14
.LBB1852_11:
	s_endpgm
.LBB1852_12:
	s_load_dwordx2 s[4:5], s[4:5], 0x10
	v_mov_b32_e32 v1, 0
	s_waitcnt lgkmcnt(0)
	global_store_dword v1, v1, s[4:5]
	s_or_b64 exec, exec, s[2:3]
	v_cmp_gt_u32_e32 vcc, s14, v0
	s_and_saveexec_b64 s[2:3], vcc
	s_cbranch_execz .LBB1852_10
.LBB1852_13:
	v_add_u32_e32 v2, 64, v0
	v_mov_b32_e32 v3, 0
	v_lshlrev_b64 v[4:5], 4, v[2:3]
	v_mov_b32_e32 v1, s1
	v_add_co_u32_e32 v6, vcc, s0, v4
	v_addc_co_u32_e32 v7, vcc, v1, v5, vcc
	v_mov_b32_e32 v2, v3
	v_mov_b32_e32 v4, v3
	;; [unrolled: 1-line block ×3, first 2 shown]
	global_store_dwordx4 v[6:7], v[2:5], off
	s_or_b64 exec, exec, s[2:3]
	v_cmp_gt_u32_e32 vcc, 64, v0
	s_and_saveexec_b64 s[2:3], vcc
	s_cbranch_execz .LBB1852_11
.LBB1852_14:
	v_mov_b32_e32 v1, 0
	v_lshlrev_b64 v[2:3], 4, v[0:1]
	v_mov_b32_e32 v0, s1
	v_add_co_u32_e32 v4, vcc, s0, v2
	v_addc_co_u32_e32 v5, vcc, v0, v3, vcc
	v_mov_b32_e32 v2, 0xff
	v_mov_b32_e32 v0, v1
	;; [unrolled: 1-line block ×3, first 2 shown]
	global_store_dwordx4 v[4:5], v[0:3], off
	s_endpgm
	.section	.rodata,"a",@progbits
	.p2align	6, 0x0
	.amdhsa_kernel _ZN7rocprim17ROCPRIM_400000_NS6detail31init_lookback_scan_state_kernelINS1_19lookback_scan_stateIdLb0ELb1EEENS1_16block_id_wrapperIjLb1EEEEEvT_jT0_jPNS7_10value_typeE
		.amdhsa_group_segment_fixed_size 0
		.amdhsa_private_segment_fixed_size 0
		.amdhsa_kernarg_size 296
		.amdhsa_user_sgpr_count 6
		.amdhsa_user_sgpr_private_segment_buffer 1
		.amdhsa_user_sgpr_dispatch_ptr 0
		.amdhsa_user_sgpr_queue_ptr 0
		.amdhsa_user_sgpr_kernarg_segment_ptr 1
		.amdhsa_user_sgpr_dispatch_id 0
		.amdhsa_user_sgpr_flat_scratch_init 0
		.amdhsa_user_sgpr_kernarg_preload_length 0
		.amdhsa_user_sgpr_kernarg_preload_offset 0
		.amdhsa_user_sgpr_private_segment_size 0
		.amdhsa_uses_dynamic_stack 0
		.amdhsa_system_sgpr_private_segment_wavefront_offset 0
		.amdhsa_system_sgpr_workgroup_id_x 1
		.amdhsa_system_sgpr_workgroup_id_y 0
		.amdhsa_system_sgpr_workgroup_id_z 0
		.amdhsa_system_sgpr_workgroup_info 0
		.amdhsa_system_vgpr_workitem_id 0
		.amdhsa_next_free_vgpr 10
		.amdhsa_next_free_sgpr 15
		.amdhsa_accum_offset 12
		.amdhsa_reserve_vcc 1
		.amdhsa_reserve_flat_scratch 0
		.amdhsa_float_round_mode_32 0
		.amdhsa_float_round_mode_16_64 0
		.amdhsa_float_denorm_mode_32 3
		.amdhsa_float_denorm_mode_16_64 3
		.amdhsa_dx10_clamp 1
		.amdhsa_ieee_mode 1
		.amdhsa_fp16_overflow 0
		.amdhsa_tg_split 0
		.amdhsa_exception_fp_ieee_invalid_op 0
		.amdhsa_exception_fp_denorm_src 0
		.amdhsa_exception_fp_ieee_div_zero 0
		.amdhsa_exception_fp_ieee_overflow 0
		.amdhsa_exception_fp_ieee_underflow 0
		.amdhsa_exception_fp_ieee_inexact 0
		.amdhsa_exception_int_div_zero 0
	.end_amdhsa_kernel
	.section	.text._ZN7rocprim17ROCPRIM_400000_NS6detail31init_lookback_scan_state_kernelINS1_19lookback_scan_stateIdLb0ELb1EEENS1_16block_id_wrapperIjLb1EEEEEvT_jT0_jPNS7_10value_typeE,"axG",@progbits,_ZN7rocprim17ROCPRIM_400000_NS6detail31init_lookback_scan_state_kernelINS1_19lookback_scan_stateIdLb0ELb1EEENS1_16block_id_wrapperIjLb1EEEEEvT_jT0_jPNS7_10value_typeE,comdat
.Lfunc_end1852:
	.size	_ZN7rocprim17ROCPRIM_400000_NS6detail31init_lookback_scan_state_kernelINS1_19lookback_scan_stateIdLb0ELb1EEENS1_16block_id_wrapperIjLb1EEEEEvT_jT0_jPNS7_10value_typeE, .Lfunc_end1852-_ZN7rocprim17ROCPRIM_400000_NS6detail31init_lookback_scan_state_kernelINS1_19lookback_scan_stateIdLb0ELb1EEENS1_16block_id_wrapperIjLb1EEEEEvT_jT0_jPNS7_10value_typeE
                                        ; -- End function
	.section	.AMDGPU.csdata,"",@progbits
; Kernel info:
; codeLenInByte = 440
; NumSgprs: 19
; NumVgprs: 10
; NumAgprs: 0
; TotalNumVgprs: 10
; ScratchSize: 0
; MemoryBound: 0
; FloatMode: 240
; IeeeMode: 1
; LDSByteSize: 0 bytes/workgroup (compile time only)
; SGPRBlocks: 2
; VGPRBlocks: 1
; NumSGPRsForWavesPerEU: 19
; NumVGPRsForWavesPerEU: 10
; AccumOffset: 12
; Occupancy: 8
; WaveLimiterHint : 0
; COMPUTE_PGM_RSRC2:SCRATCH_EN: 0
; COMPUTE_PGM_RSRC2:USER_SGPR: 6
; COMPUTE_PGM_RSRC2:TRAP_HANDLER: 0
; COMPUTE_PGM_RSRC2:TGID_X_EN: 1
; COMPUTE_PGM_RSRC2:TGID_Y_EN: 0
; COMPUTE_PGM_RSRC2:TGID_Z_EN: 0
; COMPUTE_PGM_RSRC2:TIDIG_COMP_CNT: 0
; COMPUTE_PGM_RSRC3_GFX90A:ACCUM_OFFSET: 2
; COMPUTE_PGM_RSRC3_GFX90A:TG_SPLIT: 0
	.section	.text._ZN7rocprim17ROCPRIM_400000_NS6detail17trampoline_kernelINS0_14default_configENS1_20scan_config_selectorIdEEZZNS1_9scan_implILNS1_25lookback_scan_determinismE0ELb0ELb0ES3_N6thrust23THRUST_200600_302600_NS6detail15normal_iteratorINS9_10device_ptrIdEEEESE_d11max_functorIdEdEEDaPvRmT3_T4_T5_mT6_P12ihipStream_tbENKUlT_T0_E_clISt17integral_constantIbLb0EEST_IbLb1EEEEDaSP_SQ_EUlSP_E_NS1_11comp_targetILNS1_3genE0ELNS1_11target_archE4294967295ELNS1_3gpuE0ELNS1_3repE0EEENS1_30default_config_static_selectorELNS0_4arch9wavefront6targetE1EEEvT1_,"axG",@progbits,_ZN7rocprim17ROCPRIM_400000_NS6detail17trampoline_kernelINS0_14default_configENS1_20scan_config_selectorIdEEZZNS1_9scan_implILNS1_25lookback_scan_determinismE0ELb0ELb0ES3_N6thrust23THRUST_200600_302600_NS6detail15normal_iteratorINS9_10device_ptrIdEEEESE_d11max_functorIdEdEEDaPvRmT3_T4_T5_mT6_P12ihipStream_tbENKUlT_T0_E_clISt17integral_constantIbLb0EEST_IbLb1EEEEDaSP_SQ_EUlSP_E_NS1_11comp_targetILNS1_3genE0ELNS1_11target_archE4294967295ELNS1_3gpuE0ELNS1_3repE0EEENS1_30default_config_static_selectorELNS0_4arch9wavefront6targetE1EEEvT1_,comdat
	.protected	_ZN7rocprim17ROCPRIM_400000_NS6detail17trampoline_kernelINS0_14default_configENS1_20scan_config_selectorIdEEZZNS1_9scan_implILNS1_25lookback_scan_determinismE0ELb0ELb0ES3_N6thrust23THRUST_200600_302600_NS6detail15normal_iteratorINS9_10device_ptrIdEEEESE_d11max_functorIdEdEEDaPvRmT3_T4_T5_mT6_P12ihipStream_tbENKUlT_T0_E_clISt17integral_constantIbLb0EEST_IbLb1EEEEDaSP_SQ_EUlSP_E_NS1_11comp_targetILNS1_3genE0ELNS1_11target_archE4294967295ELNS1_3gpuE0ELNS1_3repE0EEENS1_30default_config_static_selectorELNS0_4arch9wavefront6targetE1EEEvT1_ ; -- Begin function _ZN7rocprim17ROCPRIM_400000_NS6detail17trampoline_kernelINS0_14default_configENS1_20scan_config_selectorIdEEZZNS1_9scan_implILNS1_25lookback_scan_determinismE0ELb0ELb0ES3_N6thrust23THRUST_200600_302600_NS6detail15normal_iteratorINS9_10device_ptrIdEEEESE_d11max_functorIdEdEEDaPvRmT3_T4_T5_mT6_P12ihipStream_tbENKUlT_T0_E_clISt17integral_constantIbLb0EEST_IbLb1EEEEDaSP_SQ_EUlSP_E_NS1_11comp_targetILNS1_3genE0ELNS1_11target_archE4294967295ELNS1_3gpuE0ELNS1_3repE0EEENS1_30default_config_static_selectorELNS0_4arch9wavefront6targetE1EEEvT1_
	.globl	_ZN7rocprim17ROCPRIM_400000_NS6detail17trampoline_kernelINS0_14default_configENS1_20scan_config_selectorIdEEZZNS1_9scan_implILNS1_25lookback_scan_determinismE0ELb0ELb0ES3_N6thrust23THRUST_200600_302600_NS6detail15normal_iteratorINS9_10device_ptrIdEEEESE_d11max_functorIdEdEEDaPvRmT3_T4_T5_mT6_P12ihipStream_tbENKUlT_T0_E_clISt17integral_constantIbLb0EEST_IbLb1EEEEDaSP_SQ_EUlSP_E_NS1_11comp_targetILNS1_3genE0ELNS1_11target_archE4294967295ELNS1_3gpuE0ELNS1_3repE0EEENS1_30default_config_static_selectorELNS0_4arch9wavefront6targetE1EEEvT1_
	.p2align	8
	.type	_ZN7rocprim17ROCPRIM_400000_NS6detail17trampoline_kernelINS0_14default_configENS1_20scan_config_selectorIdEEZZNS1_9scan_implILNS1_25lookback_scan_determinismE0ELb0ELb0ES3_N6thrust23THRUST_200600_302600_NS6detail15normal_iteratorINS9_10device_ptrIdEEEESE_d11max_functorIdEdEEDaPvRmT3_T4_T5_mT6_P12ihipStream_tbENKUlT_T0_E_clISt17integral_constantIbLb0EEST_IbLb1EEEEDaSP_SQ_EUlSP_E_NS1_11comp_targetILNS1_3genE0ELNS1_11target_archE4294967295ELNS1_3gpuE0ELNS1_3repE0EEENS1_30default_config_static_selectorELNS0_4arch9wavefront6targetE1EEEvT1_,@function
_ZN7rocprim17ROCPRIM_400000_NS6detail17trampoline_kernelINS0_14default_configENS1_20scan_config_selectorIdEEZZNS1_9scan_implILNS1_25lookback_scan_determinismE0ELb0ELb0ES3_N6thrust23THRUST_200600_302600_NS6detail15normal_iteratorINS9_10device_ptrIdEEEESE_d11max_functorIdEdEEDaPvRmT3_T4_T5_mT6_P12ihipStream_tbENKUlT_T0_E_clISt17integral_constantIbLb0EEST_IbLb1EEEEDaSP_SQ_EUlSP_E_NS1_11comp_targetILNS1_3genE0ELNS1_11target_archE4294967295ELNS1_3gpuE0ELNS1_3repE0EEENS1_30default_config_static_selectorELNS0_4arch9wavefront6targetE1EEEvT1_: ; @_ZN7rocprim17ROCPRIM_400000_NS6detail17trampoline_kernelINS0_14default_configENS1_20scan_config_selectorIdEEZZNS1_9scan_implILNS1_25lookback_scan_determinismE0ELb0ELb0ES3_N6thrust23THRUST_200600_302600_NS6detail15normal_iteratorINS9_10device_ptrIdEEEESE_d11max_functorIdEdEEDaPvRmT3_T4_T5_mT6_P12ihipStream_tbENKUlT_T0_E_clISt17integral_constantIbLb0EEST_IbLb1EEEEDaSP_SQ_EUlSP_E_NS1_11comp_targetILNS1_3genE0ELNS1_11target_archE4294967295ELNS1_3gpuE0ELNS1_3repE0EEENS1_30default_config_static_selectorELNS0_4arch9wavefront6targetE1EEEvT1_
; %bb.0:
	.section	.rodata,"a",@progbits
	.p2align	6, 0x0
	.amdhsa_kernel _ZN7rocprim17ROCPRIM_400000_NS6detail17trampoline_kernelINS0_14default_configENS1_20scan_config_selectorIdEEZZNS1_9scan_implILNS1_25lookback_scan_determinismE0ELb0ELb0ES3_N6thrust23THRUST_200600_302600_NS6detail15normal_iteratorINS9_10device_ptrIdEEEESE_d11max_functorIdEdEEDaPvRmT3_T4_T5_mT6_P12ihipStream_tbENKUlT_T0_E_clISt17integral_constantIbLb0EEST_IbLb1EEEEDaSP_SQ_EUlSP_E_NS1_11comp_targetILNS1_3genE0ELNS1_11target_archE4294967295ELNS1_3gpuE0ELNS1_3repE0EEENS1_30default_config_static_selectorELNS0_4arch9wavefront6targetE1EEEvT1_
		.amdhsa_group_segment_fixed_size 0
		.amdhsa_private_segment_fixed_size 0
		.amdhsa_kernarg_size 104
		.amdhsa_user_sgpr_count 6
		.amdhsa_user_sgpr_private_segment_buffer 1
		.amdhsa_user_sgpr_dispatch_ptr 0
		.amdhsa_user_sgpr_queue_ptr 0
		.amdhsa_user_sgpr_kernarg_segment_ptr 1
		.amdhsa_user_sgpr_dispatch_id 0
		.amdhsa_user_sgpr_flat_scratch_init 0
		.amdhsa_user_sgpr_kernarg_preload_length 0
		.amdhsa_user_sgpr_kernarg_preload_offset 0
		.amdhsa_user_sgpr_private_segment_size 0
		.amdhsa_uses_dynamic_stack 0
		.amdhsa_system_sgpr_private_segment_wavefront_offset 0
		.amdhsa_system_sgpr_workgroup_id_x 1
		.amdhsa_system_sgpr_workgroup_id_y 0
		.amdhsa_system_sgpr_workgroup_id_z 0
		.amdhsa_system_sgpr_workgroup_info 0
		.amdhsa_system_vgpr_workitem_id 0
		.amdhsa_next_free_vgpr 1
		.amdhsa_next_free_sgpr 0
		.amdhsa_accum_offset 4
		.amdhsa_reserve_vcc 0
		.amdhsa_reserve_flat_scratch 0
		.amdhsa_float_round_mode_32 0
		.amdhsa_float_round_mode_16_64 0
		.amdhsa_float_denorm_mode_32 3
		.amdhsa_float_denorm_mode_16_64 3
		.amdhsa_dx10_clamp 1
		.amdhsa_ieee_mode 1
		.amdhsa_fp16_overflow 0
		.amdhsa_tg_split 0
		.amdhsa_exception_fp_ieee_invalid_op 0
		.amdhsa_exception_fp_denorm_src 0
		.amdhsa_exception_fp_ieee_div_zero 0
		.amdhsa_exception_fp_ieee_overflow 0
		.amdhsa_exception_fp_ieee_underflow 0
		.amdhsa_exception_fp_ieee_inexact 0
		.amdhsa_exception_int_div_zero 0
	.end_amdhsa_kernel
	.section	.text._ZN7rocprim17ROCPRIM_400000_NS6detail17trampoline_kernelINS0_14default_configENS1_20scan_config_selectorIdEEZZNS1_9scan_implILNS1_25lookback_scan_determinismE0ELb0ELb0ES3_N6thrust23THRUST_200600_302600_NS6detail15normal_iteratorINS9_10device_ptrIdEEEESE_d11max_functorIdEdEEDaPvRmT3_T4_T5_mT6_P12ihipStream_tbENKUlT_T0_E_clISt17integral_constantIbLb0EEST_IbLb1EEEEDaSP_SQ_EUlSP_E_NS1_11comp_targetILNS1_3genE0ELNS1_11target_archE4294967295ELNS1_3gpuE0ELNS1_3repE0EEENS1_30default_config_static_selectorELNS0_4arch9wavefront6targetE1EEEvT1_,"axG",@progbits,_ZN7rocprim17ROCPRIM_400000_NS6detail17trampoline_kernelINS0_14default_configENS1_20scan_config_selectorIdEEZZNS1_9scan_implILNS1_25lookback_scan_determinismE0ELb0ELb0ES3_N6thrust23THRUST_200600_302600_NS6detail15normal_iteratorINS9_10device_ptrIdEEEESE_d11max_functorIdEdEEDaPvRmT3_T4_T5_mT6_P12ihipStream_tbENKUlT_T0_E_clISt17integral_constantIbLb0EEST_IbLb1EEEEDaSP_SQ_EUlSP_E_NS1_11comp_targetILNS1_3genE0ELNS1_11target_archE4294967295ELNS1_3gpuE0ELNS1_3repE0EEENS1_30default_config_static_selectorELNS0_4arch9wavefront6targetE1EEEvT1_,comdat
.Lfunc_end1853:
	.size	_ZN7rocprim17ROCPRIM_400000_NS6detail17trampoline_kernelINS0_14default_configENS1_20scan_config_selectorIdEEZZNS1_9scan_implILNS1_25lookback_scan_determinismE0ELb0ELb0ES3_N6thrust23THRUST_200600_302600_NS6detail15normal_iteratorINS9_10device_ptrIdEEEESE_d11max_functorIdEdEEDaPvRmT3_T4_T5_mT6_P12ihipStream_tbENKUlT_T0_E_clISt17integral_constantIbLb0EEST_IbLb1EEEEDaSP_SQ_EUlSP_E_NS1_11comp_targetILNS1_3genE0ELNS1_11target_archE4294967295ELNS1_3gpuE0ELNS1_3repE0EEENS1_30default_config_static_selectorELNS0_4arch9wavefront6targetE1EEEvT1_, .Lfunc_end1853-_ZN7rocprim17ROCPRIM_400000_NS6detail17trampoline_kernelINS0_14default_configENS1_20scan_config_selectorIdEEZZNS1_9scan_implILNS1_25lookback_scan_determinismE0ELb0ELb0ES3_N6thrust23THRUST_200600_302600_NS6detail15normal_iteratorINS9_10device_ptrIdEEEESE_d11max_functorIdEdEEDaPvRmT3_T4_T5_mT6_P12ihipStream_tbENKUlT_T0_E_clISt17integral_constantIbLb0EEST_IbLb1EEEEDaSP_SQ_EUlSP_E_NS1_11comp_targetILNS1_3genE0ELNS1_11target_archE4294967295ELNS1_3gpuE0ELNS1_3repE0EEENS1_30default_config_static_selectorELNS0_4arch9wavefront6targetE1EEEvT1_
                                        ; -- End function
	.section	.AMDGPU.csdata,"",@progbits
; Kernel info:
; codeLenInByte = 0
; NumSgprs: 4
; NumVgprs: 0
; NumAgprs: 0
; TotalNumVgprs: 0
; ScratchSize: 0
; MemoryBound: 0
; FloatMode: 240
; IeeeMode: 1
; LDSByteSize: 0 bytes/workgroup (compile time only)
; SGPRBlocks: 0
; VGPRBlocks: 0
; NumSGPRsForWavesPerEU: 4
; NumVGPRsForWavesPerEU: 1
; AccumOffset: 4
; Occupancy: 8
; WaveLimiterHint : 0
; COMPUTE_PGM_RSRC2:SCRATCH_EN: 0
; COMPUTE_PGM_RSRC2:USER_SGPR: 6
; COMPUTE_PGM_RSRC2:TRAP_HANDLER: 0
; COMPUTE_PGM_RSRC2:TGID_X_EN: 1
; COMPUTE_PGM_RSRC2:TGID_Y_EN: 0
; COMPUTE_PGM_RSRC2:TGID_Z_EN: 0
; COMPUTE_PGM_RSRC2:TIDIG_COMP_CNT: 0
; COMPUTE_PGM_RSRC3_GFX90A:ACCUM_OFFSET: 0
; COMPUTE_PGM_RSRC3_GFX90A:TG_SPLIT: 0
	.section	.text._ZN7rocprim17ROCPRIM_400000_NS6detail17trampoline_kernelINS0_14default_configENS1_20scan_config_selectorIdEEZZNS1_9scan_implILNS1_25lookback_scan_determinismE0ELb0ELb0ES3_N6thrust23THRUST_200600_302600_NS6detail15normal_iteratorINS9_10device_ptrIdEEEESE_d11max_functorIdEdEEDaPvRmT3_T4_T5_mT6_P12ihipStream_tbENKUlT_T0_E_clISt17integral_constantIbLb0EEST_IbLb1EEEEDaSP_SQ_EUlSP_E_NS1_11comp_targetILNS1_3genE5ELNS1_11target_archE942ELNS1_3gpuE9ELNS1_3repE0EEENS1_30default_config_static_selectorELNS0_4arch9wavefront6targetE1EEEvT1_,"axG",@progbits,_ZN7rocprim17ROCPRIM_400000_NS6detail17trampoline_kernelINS0_14default_configENS1_20scan_config_selectorIdEEZZNS1_9scan_implILNS1_25lookback_scan_determinismE0ELb0ELb0ES3_N6thrust23THRUST_200600_302600_NS6detail15normal_iteratorINS9_10device_ptrIdEEEESE_d11max_functorIdEdEEDaPvRmT3_T4_T5_mT6_P12ihipStream_tbENKUlT_T0_E_clISt17integral_constantIbLb0EEST_IbLb1EEEEDaSP_SQ_EUlSP_E_NS1_11comp_targetILNS1_3genE5ELNS1_11target_archE942ELNS1_3gpuE9ELNS1_3repE0EEENS1_30default_config_static_selectorELNS0_4arch9wavefront6targetE1EEEvT1_,comdat
	.protected	_ZN7rocprim17ROCPRIM_400000_NS6detail17trampoline_kernelINS0_14default_configENS1_20scan_config_selectorIdEEZZNS1_9scan_implILNS1_25lookback_scan_determinismE0ELb0ELb0ES3_N6thrust23THRUST_200600_302600_NS6detail15normal_iteratorINS9_10device_ptrIdEEEESE_d11max_functorIdEdEEDaPvRmT3_T4_T5_mT6_P12ihipStream_tbENKUlT_T0_E_clISt17integral_constantIbLb0EEST_IbLb1EEEEDaSP_SQ_EUlSP_E_NS1_11comp_targetILNS1_3genE5ELNS1_11target_archE942ELNS1_3gpuE9ELNS1_3repE0EEENS1_30default_config_static_selectorELNS0_4arch9wavefront6targetE1EEEvT1_ ; -- Begin function _ZN7rocprim17ROCPRIM_400000_NS6detail17trampoline_kernelINS0_14default_configENS1_20scan_config_selectorIdEEZZNS1_9scan_implILNS1_25lookback_scan_determinismE0ELb0ELb0ES3_N6thrust23THRUST_200600_302600_NS6detail15normal_iteratorINS9_10device_ptrIdEEEESE_d11max_functorIdEdEEDaPvRmT3_T4_T5_mT6_P12ihipStream_tbENKUlT_T0_E_clISt17integral_constantIbLb0EEST_IbLb1EEEEDaSP_SQ_EUlSP_E_NS1_11comp_targetILNS1_3genE5ELNS1_11target_archE942ELNS1_3gpuE9ELNS1_3repE0EEENS1_30default_config_static_selectorELNS0_4arch9wavefront6targetE1EEEvT1_
	.globl	_ZN7rocprim17ROCPRIM_400000_NS6detail17trampoline_kernelINS0_14default_configENS1_20scan_config_selectorIdEEZZNS1_9scan_implILNS1_25lookback_scan_determinismE0ELb0ELb0ES3_N6thrust23THRUST_200600_302600_NS6detail15normal_iteratorINS9_10device_ptrIdEEEESE_d11max_functorIdEdEEDaPvRmT3_T4_T5_mT6_P12ihipStream_tbENKUlT_T0_E_clISt17integral_constantIbLb0EEST_IbLb1EEEEDaSP_SQ_EUlSP_E_NS1_11comp_targetILNS1_3genE5ELNS1_11target_archE942ELNS1_3gpuE9ELNS1_3repE0EEENS1_30default_config_static_selectorELNS0_4arch9wavefront6targetE1EEEvT1_
	.p2align	8
	.type	_ZN7rocprim17ROCPRIM_400000_NS6detail17trampoline_kernelINS0_14default_configENS1_20scan_config_selectorIdEEZZNS1_9scan_implILNS1_25lookback_scan_determinismE0ELb0ELb0ES3_N6thrust23THRUST_200600_302600_NS6detail15normal_iteratorINS9_10device_ptrIdEEEESE_d11max_functorIdEdEEDaPvRmT3_T4_T5_mT6_P12ihipStream_tbENKUlT_T0_E_clISt17integral_constantIbLb0EEST_IbLb1EEEEDaSP_SQ_EUlSP_E_NS1_11comp_targetILNS1_3genE5ELNS1_11target_archE942ELNS1_3gpuE9ELNS1_3repE0EEENS1_30default_config_static_selectorELNS0_4arch9wavefront6targetE1EEEvT1_,@function
_ZN7rocprim17ROCPRIM_400000_NS6detail17trampoline_kernelINS0_14default_configENS1_20scan_config_selectorIdEEZZNS1_9scan_implILNS1_25lookback_scan_determinismE0ELb0ELb0ES3_N6thrust23THRUST_200600_302600_NS6detail15normal_iteratorINS9_10device_ptrIdEEEESE_d11max_functorIdEdEEDaPvRmT3_T4_T5_mT6_P12ihipStream_tbENKUlT_T0_E_clISt17integral_constantIbLb0EEST_IbLb1EEEEDaSP_SQ_EUlSP_E_NS1_11comp_targetILNS1_3genE5ELNS1_11target_archE942ELNS1_3gpuE9ELNS1_3repE0EEENS1_30default_config_static_selectorELNS0_4arch9wavefront6targetE1EEEvT1_: ; @_ZN7rocprim17ROCPRIM_400000_NS6detail17trampoline_kernelINS0_14default_configENS1_20scan_config_selectorIdEEZZNS1_9scan_implILNS1_25lookback_scan_determinismE0ELb0ELb0ES3_N6thrust23THRUST_200600_302600_NS6detail15normal_iteratorINS9_10device_ptrIdEEEESE_d11max_functorIdEdEEDaPvRmT3_T4_T5_mT6_P12ihipStream_tbENKUlT_T0_E_clISt17integral_constantIbLb0EEST_IbLb1EEEEDaSP_SQ_EUlSP_E_NS1_11comp_targetILNS1_3genE5ELNS1_11target_archE942ELNS1_3gpuE9ELNS1_3repE0EEENS1_30default_config_static_selectorELNS0_4arch9wavefront6targetE1EEEvT1_
; %bb.0:
	.section	.rodata,"a",@progbits
	.p2align	6, 0x0
	.amdhsa_kernel _ZN7rocprim17ROCPRIM_400000_NS6detail17trampoline_kernelINS0_14default_configENS1_20scan_config_selectorIdEEZZNS1_9scan_implILNS1_25lookback_scan_determinismE0ELb0ELb0ES3_N6thrust23THRUST_200600_302600_NS6detail15normal_iteratorINS9_10device_ptrIdEEEESE_d11max_functorIdEdEEDaPvRmT3_T4_T5_mT6_P12ihipStream_tbENKUlT_T0_E_clISt17integral_constantIbLb0EEST_IbLb1EEEEDaSP_SQ_EUlSP_E_NS1_11comp_targetILNS1_3genE5ELNS1_11target_archE942ELNS1_3gpuE9ELNS1_3repE0EEENS1_30default_config_static_selectorELNS0_4arch9wavefront6targetE1EEEvT1_
		.amdhsa_group_segment_fixed_size 0
		.amdhsa_private_segment_fixed_size 0
		.amdhsa_kernarg_size 104
		.amdhsa_user_sgpr_count 6
		.amdhsa_user_sgpr_private_segment_buffer 1
		.amdhsa_user_sgpr_dispatch_ptr 0
		.amdhsa_user_sgpr_queue_ptr 0
		.amdhsa_user_sgpr_kernarg_segment_ptr 1
		.amdhsa_user_sgpr_dispatch_id 0
		.amdhsa_user_sgpr_flat_scratch_init 0
		.amdhsa_user_sgpr_kernarg_preload_length 0
		.amdhsa_user_sgpr_kernarg_preload_offset 0
		.amdhsa_user_sgpr_private_segment_size 0
		.amdhsa_uses_dynamic_stack 0
		.amdhsa_system_sgpr_private_segment_wavefront_offset 0
		.amdhsa_system_sgpr_workgroup_id_x 1
		.amdhsa_system_sgpr_workgroup_id_y 0
		.amdhsa_system_sgpr_workgroup_id_z 0
		.amdhsa_system_sgpr_workgroup_info 0
		.amdhsa_system_vgpr_workitem_id 0
		.amdhsa_next_free_vgpr 1
		.amdhsa_next_free_sgpr 0
		.amdhsa_accum_offset 4
		.amdhsa_reserve_vcc 0
		.amdhsa_reserve_flat_scratch 0
		.amdhsa_float_round_mode_32 0
		.amdhsa_float_round_mode_16_64 0
		.amdhsa_float_denorm_mode_32 3
		.amdhsa_float_denorm_mode_16_64 3
		.amdhsa_dx10_clamp 1
		.amdhsa_ieee_mode 1
		.amdhsa_fp16_overflow 0
		.amdhsa_tg_split 0
		.amdhsa_exception_fp_ieee_invalid_op 0
		.amdhsa_exception_fp_denorm_src 0
		.amdhsa_exception_fp_ieee_div_zero 0
		.amdhsa_exception_fp_ieee_overflow 0
		.amdhsa_exception_fp_ieee_underflow 0
		.amdhsa_exception_fp_ieee_inexact 0
		.amdhsa_exception_int_div_zero 0
	.end_amdhsa_kernel
	.section	.text._ZN7rocprim17ROCPRIM_400000_NS6detail17trampoline_kernelINS0_14default_configENS1_20scan_config_selectorIdEEZZNS1_9scan_implILNS1_25lookback_scan_determinismE0ELb0ELb0ES3_N6thrust23THRUST_200600_302600_NS6detail15normal_iteratorINS9_10device_ptrIdEEEESE_d11max_functorIdEdEEDaPvRmT3_T4_T5_mT6_P12ihipStream_tbENKUlT_T0_E_clISt17integral_constantIbLb0EEST_IbLb1EEEEDaSP_SQ_EUlSP_E_NS1_11comp_targetILNS1_3genE5ELNS1_11target_archE942ELNS1_3gpuE9ELNS1_3repE0EEENS1_30default_config_static_selectorELNS0_4arch9wavefront6targetE1EEEvT1_,"axG",@progbits,_ZN7rocprim17ROCPRIM_400000_NS6detail17trampoline_kernelINS0_14default_configENS1_20scan_config_selectorIdEEZZNS1_9scan_implILNS1_25lookback_scan_determinismE0ELb0ELb0ES3_N6thrust23THRUST_200600_302600_NS6detail15normal_iteratorINS9_10device_ptrIdEEEESE_d11max_functorIdEdEEDaPvRmT3_T4_T5_mT6_P12ihipStream_tbENKUlT_T0_E_clISt17integral_constantIbLb0EEST_IbLb1EEEEDaSP_SQ_EUlSP_E_NS1_11comp_targetILNS1_3genE5ELNS1_11target_archE942ELNS1_3gpuE9ELNS1_3repE0EEENS1_30default_config_static_selectorELNS0_4arch9wavefront6targetE1EEEvT1_,comdat
.Lfunc_end1854:
	.size	_ZN7rocprim17ROCPRIM_400000_NS6detail17trampoline_kernelINS0_14default_configENS1_20scan_config_selectorIdEEZZNS1_9scan_implILNS1_25lookback_scan_determinismE0ELb0ELb0ES3_N6thrust23THRUST_200600_302600_NS6detail15normal_iteratorINS9_10device_ptrIdEEEESE_d11max_functorIdEdEEDaPvRmT3_T4_T5_mT6_P12ihipStream_tbENKUlT_T0_E_clISt17integral_constantIbLb0EEST_IbLb1EEEEDaSP_SQ_EUlSP_E_NS1_11comp_targetILNS1_3genE5ELNS1_11target_archE942ELNS1_3gpuE9ELNS1_3repE0EEENS1_30default_config_static_selectorELNS0_4arch9wavefront6targetE1EEEvT1_, .Lfunc_end1854-_ZN7rocprim17ROCPRIM_400000_NS6detail17trampoline_kernelINS0_14default_configENS1_20scan_config_selectorIdEEZZNS1_9scan_implILNS1_25lookback_scan_determinismE0ELb0ELb0ES3_N6thrust23THRUST_200600_302600_NS6detail15normal_iteratorINS9_10device_ptrIdEEEESE_d11max_functorIdEdEEDaPvRmT3_T4_T5_mT6_P12ihipStream_tbENKUlT_T0_E_clISt17integral_constantIbLb0EEST_IbLb1EEEEDaSP_SQ_EUlSP_E_NS1_11comp_targetILNS1_3genE5ELNS1_11target_archE942ELNS1_3gpuE9ELNS1_3repE0EEENS1_30default_config_static_selectorELNS0_4arch9wavefront6targetE1EEEvT1_
                                        ; -- End function
	.section	.AMDGPU.csdata,"",@progbits
; Kernel info:
; codeLenInByte = 0
; NumSgprs: 4
; NumVgprs: 0
; NumAgprs: 0
; TotalNumVgprs: 0
; ScratchSize: 0
; MemoryBound: 0
; FloatMode: 240
; IeeeMode: 1
; LDSByteSize: 0 bytes/workgroup (compile time only)
; SGPRBlocks: 0
; VGPRBlocks: 0
; NumSGPRsForWavesPerEU: 4
; NumVGPRsForWavesPerEU: 1
; AccumOffset: 4
; Occupancy: 8
; WaveLimiterHint : 0
; COMPUTE_PGM_RSRC2:SCRATCH_EN: 0
; COMPUTE_PGM_RSRC2:USER_SGPR: 6
; COMPUTE_PGM_RSRC2:TRAP_HANDLER: 0
; COMPUTE_PGM_RSRC2:TGID_X_EN: 1
; COMPUTE_PGM_RSRC2:TGID_Y_EN: 0
; COMPUTE_PGM_RSRC2:TGID_Z_EN: 0
; COMPUTE_PGM_RSRC2:TIDIG_COMP_CNT: 0
; COMPUTE_PGM_RSRC3_GFX90A:ACCUM_OFFSET: 0
; COMPUTE_PGM_RSRC3_GFX90A:TG_SPLIT: 0
	.section	.text._ZN7rocprim17ROCPRIM_400000_NS6detail17trampoline_kernelINS0_14default_configENS1_20scan_config_selectorIdEEZZNS1_9scan_implILNS1_25lookback_scan_determinismE0ELb0ELb0ES3_N6thrust23THRUST_200600_302600_NS6detail15normal_iteratorINS9_10device_ptrIdEEEESE_d11max_functorIdEdEEDaPvRmT3_T4_T5_mT6_P12ihipStream_tbENKUlT_T0_E_clISt17integral_constantIbLb0EEST_IbLb1EEEEDaSP_SQ_EUlSP_E_NS1_11comp_targetILNS1_3genE4ELNS1_11target_archE910ELNS1_3gpuE8ELNS1_3repE0EEENS1_30default_config_static_selectorELNS0_4arch9wavefront6targetE1EEEvT1_,"axG",@progbits,_ZN7rocprim17ROCPRIM_400000_NS6detail17trampoline_kernelINS0_14default_configENS1_20scan_config_selectorIdEEZZNS1_9scan_implILNS1_25lookback_scan_determinismE0ELb0ELb0ES3_N6thrust23THRUST_200600_302600_NS6detail15normal_iteratorINS9_10device_ptrIdEEEESE_d11max_functorIdEdEEDaPvRmT3_T4_T5_mT6_P12ihipStream_tbENKUlT_T0_E_clISt17integral_constantIbLb0EEST_IbLb1EEEEDaSP_SQ_EUlSP_E_NS1_11comp_targetILNS1_3genE4ELNS1_11target_archE910ELNS1_3gpuE8ELNS1_3repE0EEENS1_30default_config_static_selectorELNS0_4arch9wavefront6targetE1EEEvT1_,comdat
	.protected	_ZN7rocprim17ROCPRIM_400000_NS6detail17trampoline_kernelINS0_14default_configENS1_20scan_config_selectorIdEEZZNS1_9scan_implILNS1_25lookback_scan_determinismE0ELb0ELb0ES3_N6thrust23THRUST_200600_302600_NS6detail15normal_iteratorINS9_10device_ptrIdEEEESE_d11max_functorIdEdEEDaPvRmT3_T4_T5_mT6_P12ihipStream_tbENKUlT_T0_E_clISt17integral_constantIbLb0EEST_IbLb1EEEEDaSP_SQ_EUlSP_E_NS1_11comp_targetILNS1_3genE4ELNS1_11target_archE910ELNS1_3gpuE8ELNS1_3repE0EEENS1_30default_config_static_selectorELNS0_4arch9wavefront6targetE1EEEvT1_ ; -- Begin function _ZN7rocprim17ROCPRIM_400000_NS6detail17trampoline_kernelINS0_14default_configENS1_20scan_config_selectorIdEEZZNS1_9scan_implILNS1_25lookback_scan_determinismE0ELb0ELb0ES3_N6thrust23THRUST_200600_302600_NS6detail15normal_iteratorINS9_10device_ptrIdEEEESE_d11max_functorIdEdEEDaPvRmT3_T4_T5_mT6_P12ihipStream_tbENKUlT_T0_E_clISt17integral_constantIbLb0EEST_IbLb1EEEEDaSP_SQ_EUlSP_E_NS1_11comp_targetILNS1_3genE4ELNS1_11target_archE910ELNS1_3gpuE8ELNS1_3repE0EEENS1_30default_config_static_selectorELNS0_4arch9wavefront6targetE1EEEvT1_
	.globl	_ZN7rocprim17ROCPRIM_400000_NS6detail17trampoline_kernelINS0_14default_configENS1_20scan_config_selectorIdEEZZNS1_9scan_implILNS1_25lookback_scan_determinismE0ELb0ELb0ES3_N6thrust23THRUST_200600_302600_NS6detail15normal_iteratorINS9_10device_ptrIdEEEESE_d11max_functorIdEdEEDaPvRmT3_T4_T5_mT6_P12ihipStream_tbENKUlT_T0_E_clISt17integral_constantIbLb0EEST_IbLb1EEEEDaSP_SQ_EUlSP_E_NS1_11comp_targetILNS1_3genE4ELNS1_11target_archE910ELNS1_3gpuE8ELNS1_3repE0EEENS1_30default_config_static_selectorELNS0_4arch9wavefront6targetE1EEEvT1_
	.p2align	8
	.type	_ZN7rocprim17ROCPRIM_400000_NS6detail17trampoline_kernelINS0_14default_configENS1_20scan_config_selectorIdEEZZNS1_9scan_implILNS1_25lookback_scan_determinismE0ELb0ELb0ES3_N6thrust23THRUST_200600_302600_NS6detail15normal_iteratorINS9_10device_ptrIdEEEESE_d11max_functorIdEdEEDaPvRmT3_T4_T5_mT6_P12ihipStream_tbENKUlT_T0_E_clISt17integral_constantIbLb0EEST_IbLb1EEEEDaSP_SQ_EUlSP_E_NS1_11comp_targetILNS1_3genE4ELNS1_11target_archE910ELNS1_3gpuE8ELNS1_3repE0EEENS1_30default_config_static_selectorELNS0_4arch9wavefront6targetE1EEEvT1_,@function
_ZN7rocprim17ROCPRIM_400000_NS6detail17trampoline_kernelINS0_14default_configENS1_20scan_config_selectorIdEEZZNS1_9scan_implILNS1_25lookback_scan_determinismE0ELb0ELb0ES3_N6thrust23THRUST_200600_302600_NS6detail15normal_iteratorINS9_10device_ptrIdEEEESE_d11max_functorIdEdEEDaPvRmT3_T4_T5_mT6_P12ihipStream_tbENKUlT_T0_E_clISt17integral_constantIbLb0EEST_IbLb1EEEEDaSP_SQ_EUlSP_E_NS1_11comp_targetILNS1_3genE4ELNS1_11target_archE910ELNS1_3gpuE8ELNS1_3repE0EEENS1_30default_config_static_selectorELNS0_4arch9wavefront6targetE1EEEvT1_: ; @_ZN7rocprim17ROCPRIM_400000_NS6detail17trampoline_kernelINS0_14default_configENS1_20scan_config_selectorIdEEZZNS1_9scan_implILNS1_25lookback_scan_determinismE0ELb0ELb0ES3_N6thrust23THRUST_200600_302600_NS6detail15normal_iteratorINS9_10device_ptrIdEEEESE_d11max_functorIdEdEEDaPvRmT3_T4_T5_mT6_P12ihipStream_tbENKUlT_T0_E_clISt17integral_constantIbLb0EEST_IbLb1EEEEDaSP_SQ_EUlSP_E_NS1_11comp_targetILNS1_3genE4ELNS1_11target_archE910ELNS1_3gpuE8ELNS1_3repE0EEENS1_30default_config_static_selectorELNS0_4arch9wavefront6targetE1EEEvT1_
; %bb.0:
	s_load_dwordx2 s[24:25], s[4:5], 0x30
	v_cmp_ne_u32_e64 s[0:1], 0, v0
	v_cmp_eq_u32_e64 s[2:3], 0, v0
	s_and_saveexec_b64 s[6:7], s[2:3]
	s_cbranch_execz .LBB1855_4
; %bb.1:
	s_mov_b64 s[10:11], exec
	v_mbcnt_lo_u32_b32 v1, s10, 0
	v_mbcnt_hi_u32_b32 v1, s11, v1
	v_cmp_eq_u32_e32 vcc, 0, v1
                                        ; implicit-def: $vgpr2
	s_and_saveexec_b64 s[8:9], vcc
	s_cbranch_execz .LBB1855_3
; %bb.2:
	s_load_dwordx2 s[12:13], s[4:5], 0x60
	s_bcnt1_i32_b64 s10, s[10:11]
	v_mov_b32_e32 v2, 0
	v_mov_b32_e32 v3, s10
	s_waitcnt lgkmcnt(0)
	global_atomic_add v2, v2, v3, s[12:13] glc
.LBB1855_3:
	s_or_b64 exec, exec, s[8:9]
	s_waitcnt vmcnt(0)
	v_readfirstlane_b32 s8, v2
	v_add_u32_e32 v1, s8, v1
	v_mov_b32_e32 v2, 0
	ds_write_b32 v2, v1
.LBB1855_4:
	s_or_b64 exec, exec, s[6:7]
	s_load_dwordx8 s[16:23], s[4:5], 0x0
	s_load_dword s6, s[4:5], 0x38
	s_load_dwordx8 s[8:15], s[4:5], 0x40
	v_mov_b32_e32 v1, 0
	s_waitcnt lgkmcnt(0)
	s_barrier
	ds_read_b32 v1, v1
	s_lshl_b64 s[18:19], s[18:19], 3
	s_add_u32 s7, s16, s18
	s_addc_u32 s26, s17, s19
	s_add_i32 s6, s6, -1
	s_mul_i32 s16, s6, 0x500
	s_sub_u32 s30, s22, s16
	s_waitcnt lgkmcnt(0)
	v_readfirstlane_b32 s33, v1
	s_subb_u32 s31, s23, 0
	s_mul_i32 s4, s33, 0x500
	s_mov_b32 s5, 0
	s_cmp_lg_u32 s33, s6
	s_cselect_b64 s[16:17], -1, 0
	s_lshl_b64 s[22:23], s[4:5], 3
	s_add_u32 s6, s7, s22
	s_addc_u32 s7, s26, s23
	s_mov_b64 s[4:5], -1
	s_and_b64 vcc, exec, s[16:17]
	v_lshlrev_b32_e32 v42, 3, v0
	s_barrier
	s_cbranch_vccz .LBB1855_6
; %bb.5:
	v_mov_b32_e32 v1, s7
	v_add_co_u32_e32 v2, vcc, s6, v42
	v_addc_co_u32_e32 v3, vcc, 0, v1, vcc
	v_add_co_u32_e32 v12, vcc, 0x1000, v2
	v_addc_co_u32_e32 v13, vcc, 0, v3, vcc
	flat_load_dwordx2 v[4:5], v[2:3]
	flat_load_dwordx2 v[6:7], v[2:3] offset:1024
	flat_load_dwordx2 v[8:9], v[2:3] offset:2048
	flat_load_dwordx2 v[10:11], v[2:3] offset:3072
	v_add_co_u32_e32 v2, vcc, 0x2000, v2
	v_addc_co_u32_e32 v3, vcc, 0, v3, vcc
	flat_load_dwordx2 v[14:15], v[12:13]
	flat_load_dwordx2 v[16:17], v[12:13] offset:1024
	flat_load_dwordx2 v[18:19], v[12:13] offset:2048
	;; [unrolled: 1-line block ×3, first 2 shown]
	s_nop 0
	flat_load_dwordx2 v[12:13], v[2:3]
	flat_load_dwordx2 v[22:23], v[2:3] offset:1024
	s_mov_b64 s[4:5], 0
	s_waitcnt vmcnt(0) lgkmcnt(0)
	ds_write2st64_b64 v42, v[4:5], v[6:7] offset1:2
	ds_write2st64_b64 v42, v[8:9], v[10:11] offset0:4 offset1:6
	ds_write2st64_b64 v42, v[14:15], v[16:17] offset0:8 offset1:10
	;; [unrolled: 1-line block ×4, first 2 shown]
	s_waitcnt lgkmcnt(0)
	s_barrier
.LBB1855_6:
	s_andn2_b64 vcc, exec, s[4:5]
	v_cmp_gt_u32_e64 s[4:5], s30, v0
	s_cbranch_vccnz .LBB1855_28
; %bb.7:
	v_pk_mov_b32 v[2:3], s[6:7], s[6:7] op_sel:[0,1]
	flat_load_dwordx2 v[2:3], v[2:3]
	s_waitcnt vmcnt(0) lgkmcnt(0)
	v_mov_b32_e32 v4, v2
	v_mov_b32_e32 v5, v3
	;; [unrolled: 1-line block ×16, first 2 shown]
	v_pk_mov_b32 v[34:35], v[30:31], v[30:31] op_sel:[0,1]
	v_pk_mov_b32 v[32:33], v[28:29], v[28:29] op_sel:[0,1]
	;; [unrolled: 1-line block ×16, first 2 shown]
	s_and_saveexec_b64 s[26:27], s[4:5]
	s_cbranch_execz .LBB1855_9
; %bb.8:
	v_mov_b32_e32 v1, s7
	v_add_co_u32_e32 v4, vcc, s6, v42
	v_addc_co_u32_e32 v5, vcc, 0, v1, vcc
	flat_load_dwordx2 v[36:37], v[4:5]
	v_mov_b32_e32 v4, v2
	v_mov_b32_e32 v5, v3
	;; [unrolled: 1-line block ×16, first 2 shown]
	v_pk_mov_b32 v[34:35], v[30:31], v[30:31] op_sel:[0,1]
	v_pk_mov_b32 v[32:33], v[28:29], v[28:29] op_sel:[0,1]
	v_pk_mov_b32 v[30:31], v[26:27], v[26:27] op_sel:[0,1]
	v_pk_mov_b32 v[28:29], v[24:25], v[24:25] op_sel:[0,1]
	v_pk_mov_b32 v[26:27], v[22:23], v[22:23] op_sel:[0,1]
	v_pk_mov_b32 v[24:25], v[20:21], v[20:21] op_sel:[0,1]
	v_pk_mov_b32 v[22:23], v[18:19], v[18:19] op_sel:[0,1]
	v_pk_mov_b32 v[20:21], v[16:17], v[16:17] op_sel:[0,1]
	v_pk_mov_b32 v[18:19], v[14:15], v[14:15] op_sel:[0,1]
	v_pk_mov_b32 v[16:17], v[12:13], v[12:13] op_sel:[0,1]
	v_pk_mov_b32 v[14:15], v[10:11], v[10:11] op_sel:[0,1]
	v_pk_mov_b32 v[12:13], v[8:9], v[8:9] op_sel:[0,1]
	v_pk_mov_b32 v[10:11], v[6:7], v[6:7] op_sel:[0,1]
	v_pk_mov_b32 v[8:9], v[4:5], v[4:5] op_sel:[0,1]
	v_pk_mov_b32 v[6:7], v[2:3], v[2:3] op_sel:[0,1]
	v_pk_mov_b32 v[4:5], v[0:1], v[0:1] op_sel:[0,1]
	s_waitcnt vmcnt(0) lgkmcnt(0)
	v_pk_mov_b32 v[2:3], v[36:37], v[36:37] op_sel:[0,1]
.LBB1855_9:
	s_or_b64 exec, exec, s[26:27]
	v_or_b32_e32 v1, 0x80, v0
	v_cmp_gt_u32_e32 vcc, s30, v1
	s_and_saveexec_b64 s[4:5], vcc
	s_cbranch_execz .LBB1855_11
; %bb.10:
	v_mov_b32_e32 v1, s7
	v_add_co_u32_e32 v4, vcc, s6, v42
	v_addc_co_u32_e32 v5, vcc, 0, v1, vcc
	flat_load_dwordx2 v[6:7], v[4:5] offset:1024
.LBB1855_11:
	s_or_b64 exec, exec, s[4:5]
	v_or_b32_e32 v1, 0x100, v0
	v_cmp_gt_u32_e32 vcc, s30, v1
	s_and_saveexec_b64 s[4:5], vcc
	s_cbranch_execz .LBB1855_13
; %bb.12:
	v_mov_b32_e32 v1, s7
	v_add_co_u32_e32 v4, vcc, s6, v42
	v_addc_co_u32_e32 v5, vcc, 0, v1, vcc
	flat_load_dwordx2 v[8:9], v[4:5] offset:2048
.LBB1855_13:
	;; [unrolled: 11-line block ×3, first 2 shown]
	s_or_b64 exec, exec, s[4:5]
	v_or_b32_e32 v1, 0x200, v0
	v_cmp_gt_u32_e32 vcc, s30, v1
	s_and_saveexec_b64 s[4:5], vcc
	s_cbranch_execz .LBB1855_17
; %bb.16:
	v_lshlrev_b32_e32 v1, 3, v1
	v_mov_b32_e32 v5, s7
	v_add_co_u32_e32 v4, vcc, s6, v1
	v_addc_co_u32_e32 v5, vcc, 0, v5, vcc
	flat_load_dwordx2 v[12:13], v[4:5]
.LBB1855_17:
	s_or_b64 exec, exec, s[4:5]
	v_or_b32_e32 v1, 0x280, v0
	v_cmp_gt_u32_e32 vcc, s30, v1
	s_and_saveexec_b64 s[4:5], vcc
	s_cbranch_execz .LBB1855_19
; %bb.18:
	v_lshlrev_b32_e32 v1, 3, v1
	v_mov_b32_e32 v5, s7
	v_add_co_u32_e32 v4, vcc, s6, v1
	v_addc_co_u32_e32 v5, vcc, 0, v5, vcc
	flat_load_dwordx2 v[14:15], v[4:5]
.LBB1855_19:
	;; [unrolled: 12-line block ×6, first 2 shown]
	s_or_b64 exec, exec, s[4:5]
	s_waitcnt vmcnt(0) lgkmcnt(0)
	ds_write2st64_b64 v42, v[2:3], v[6:7] offset1:2
	ds_write2st64_b64 v42, v[8:9], v[10:11] offset0:4 offset1:6
	ds_write2st64_b64 v42, v[12:13], v[14:15] offset0:8 offset1:10
	;; [unrolled: 1-line block ×4, first 2 shown]
	s_waitcnt lgkmcnt(0)
	s_barrier
.LBB1855_28:
	v_mul_u32_u24_e32 v43, 10, v0
	v_lshlrev_b32_e32 v44, 3, v43
	ds_read_b128 v[2:5], v44
	ds_read_b128 v[14:17], v44 offset:16
	ds_read_b128 v[10:13], v44 offset:32
	;; [unrolled: 1-line block ×4, first 2 shown]
	s_cmp_lg_u32 s33, 0
	v_mbcnt_lo_u32_b32 v1, -1, 0
	s_waitcnt lgkmcnt(0)
	s_barrier
	s_cbranch_scc0 .LBB1855_85
; %bb.29:
	v_cmp_lt_f64_e32 vcc, v[2:3], v[4:5]
	v_cndmask_b32_e32 v23, v3, v5, vcc
	v_cndmask_b32_e32 v22, v2, v4, vcc
	v_cmp_lt_f64_e32 vcc, v[22:23], v[14:15]
	v_cndmask_b32_e32 v23, v23, v15, vcc
	v_cndmask_b32_e32 v22, v22, v14, vcc
	;; [unrolled: 3-line block ×8, first 2 shown]
	v_cmp_lt_f64_e32 vcc, v[22:23], v[20:21]
	v_mbcnt_hi_u32_b32 v33, -1, v1
	v_cndmask_b32_e32 v23, v23, v21, vcc
	v_cndmask_b32_e32 v22, v22, v20, vcc
	v_and_b32_e32 v26, 15, v33
	v_mov_b32_dpp v25, v23 row_shr:1 row_mask:0xf bank_mask:0xf
	v_mov_b32_dpp v24, v22 row_shr:1 row_mask:0xf bank_mask:0xf
	v_cmp_ne_u32_e32 vcc, 0, v26
	s_and_saveexec_b64 s[4:5], vcc
; %bb.30:
	v_cmp_gt_f64_e32 vcc, v[22:23], v[24:25]
	v_cndmask_b32_e32 v23, v25, v23, vcc
	v_cndmask_b32_e32 v22, v24, v22, vcc
; %bb.31:
	s_or_b64 exec, exec, s[4:5]
	s_nop 0
	v_mov_b32_dpp v24, v22 row_shr:2 row_mask:0xf bank_mask:0xf
	v_mov_b32_dpp v25, v23 row_shr:2 row_mask:0xf bank_mask:0xf
	v_cmp_lt_u32_e32 vcc, 1, v26
	s_and_saveexec_b64 s[4:5], vcc
; %bb.32:
	v_cmp_gt_f64_e32 vcc, v[22:23], v[24:25]
	v_cndmask_b32_e32 v23, v25, v23, vcc
	v_cndmask_b32_e32 v22, v24, v22, vcc
; %bb.33:
	s_or_b64 exec, exec, s[4:5]
	s_nop 0
	v_mov_b32_dpp v24, v22 row_shr:4 row_mask:0xf bank_mask:0xf
	v_mov_b32_dpp v25, v23 row_shr:4 row_mask:0xf bank_mask:0xf
	v_cmp_lt_u32_e32 vcc, 3, v26
	;; [unrolled: 11-line block ×3, first 2 shown]
	s_and_saveexec_b64 s[4:5], vcc
; %bb.36:
	v_cmp_gt_f64_e32 vcc, v[22:23], v[24:25]
	v_cndmask_b32_e32 v23, v25, v23, vcc
	v_cndmask_b32_e32 v22, v24, v22, vcc
; %bb.37:
	s_or_b64 exec, exec, s[4:5]
	v_and_b32_e32 v26, 16, v33
	v_mov_b32_dpp v24, v22 row_bcast:15 row_mask:0xf bank_mask:0xf
	v_mov_b32_dpp v25, v23 row_bcast:15 row_mask:0xf bank_mask:0xf
	v_cmp_ne_u32_e32 vcc, 0, v26
	s_and_saveexec_b64 s[4:5], vcc
; %bb.38:
	v_cmp_gt_f64_e32 vcc, v[22:23], v[24:25]
	v_cndmask_b32_e32 v23, v25, v23, vcc
	v_cndmask_b32_e32 v22, v24, v22, vcc
; %bb.39:
	s_or_b64 exec, exec, s[4:5]
	s_nop 0
	v_mov_b32_dpp v24, v22 row_bcast:31 row_mask:0xf bank_mask:0xf
	v_mov_b32_dpp v25, v23 row_bcast:31 row_mask:0xf bank_mask:0xf
	v_cmp_gt_f64_e32 vcc, v[22:23], v[24:25]
	v_cndmask_b32_e32 v24, v24, v22, vcc
	v_cndmask_b32_e32 v25, v25, v23, vcc
	v_cmp_lt_u32_e32 vcc, 31, v33
	v_cndmask_b32_e32 v23, v23, v25, vcc
	v_or_b32_e32 v25, 63, v0
	v_cndmask_b32_e32 v22, v22, v24, vcc
	v_lshrrev_b32_e32 v24, 6, v0
	v_cmp_eq_u32_e32 vcc, v25, v0
	s_and_saveexec_b64 s[4:5], vcc
	s_cbranch_execz .LBB1855_41
; %bb.40:
	v_lshlrev_b32_e32 v25, 3, v24
	ds_write_b64 v25, v[22:23]
.LBB1855_41:
	s_or_b64 exec, exec, s[4:5]
	v_cmp_gt_u32_e32 vcc, 2, v0
	s_waitcnt lgkmcnt(0)
	s_barrier
	s_and_saveexec_b64 s[6:7], vcc
	s_cbranch_execz .LBB1855_43
; %bb.42:
	ds_read_b64 v[26:27], v42
	v_and_b32_e32 v25, 1, v33
	v_cmp_eq_u32_e32 vcc, 0, v25
	s_waitcnt lgkmcnt(0)
	v_mov_b32_dpp v30, v27 row_shr:1 row_mask:0xf bank_mask:0xf
	v_mov_b32_dpp v28, v26 row_shr:1 row_mask:0xf bank_mask:0xf
	v_mov_b32_e32 v29, v30
	v_cmp_gt_f64_e64 s[4:5], v[26:27], v[28:29]
	s_or_b64 vcc, vcc, s[4:5]
	v_cndmask_b32_e32 v27, v30, v27, vcc
	v_cndmask_b32_e32 v26, v28, v26, vcc
	ds_write_b64 v42, v[26:27]
.LBB1855_43:
	s_or_b64 exec, exec, s[6:7]
	v_cmp_gt_u32_e32 vcc, 64, v0
	v_cmp_lt_u32_e64 s[4:5], 63, v0
	s_waitcnt lgkmcnt(0)
	s_barrier
	s_waitcnt lgkmcnt(0)
                                        ; implicit-def: $vgpr30_vgpr31
	s_and_saveexec_b64 s[6:7], s[4:5]
	s_cbranch_execz .LBB1855_45
; %bb.44:
	v_lshl_add_u32 v24, v24, 3, -8
	ds_read_b64 v[30:31], v24
	s_waitcnt lgkmcnt(0)
	v_cmp_lt_f64_e64 s[4:5], v[30:31], v[22:23]
	v_cndmask_b32_e64 v23, v31, v23, s[4:5]
	v_cndmask_b32_e64 v22, v30, v22, s[4:5]
.LBB1855_45:
	s_or_b64 exec, exec, s[6:7]
	v_add_u32_e32 v24, -1, v33
	v_and_b32_e32 v25, 64, v33
	v_cmp_lt_i32_e64 s[4:5], v24, v25
	v_cndmask_b32_e64 v24, v24, v33, s[4:5]
	v_lshlrev_b32_e32 v24, 2, v24
	ds_bpermute_b32 v38, v24, v22
	ds_bpermute_b32 v39, v24, v23
	v_cmp_eq_u32_e64 s[4:5], 0, v33
	s_and_saveexec_b64 s[26:27], vcc
	s_cbranch_execz .LBB1855_84
; %bb.46:
	v_mov_b32_e32 v25, 0
	ds_read_b64 v[22:23], v25 offset:8
	s_and_saveexec_b64 s[6:7], s[4:5]
	s_cbranch_execz .LBB1855_48
; %bb.47:
	s_add_i32 s28, s33, 64
	s_mov_b32 s29, 0
	s_lshl_b64 s[28:29], s[28:29], 4
	s_add_u32 s28, s24, s28
	s_addc_u32 s29, s25, s29
	v_mov_b32_e32 v24, 1
	v_pk_mov_b32 v[26:27], s[28:29], s[28:29] op_sel:[0,1]
	s_waitcnt lgkmcnt(0)
	;;#ASMSTART
	global_store_dwordx4 v[26:27], v[22:25] off	
s_waitcnt vmcnt(0)
	;;#ASMEND
.LBB1855_48:
	s_or_b64 exec, exec, s[6:7]
	v_xad_u32 v32, v33, -1, s33
	v_add_u32_e32 v24, 64, v32
	v_lshlrev_b64 v[26:27], 4, v[24:25]
	v_mov_b32_e32 v24, s25
	v_add_co_u32_e32 v34, vcc, s24, v26
	v_addc_co_u32_e32 v35, vcc, v24, v27, vcc
	;;#ASMSTART
	global_load_dwordx4 v[26:29], v[34:35] off glc	
s_waitcnt vmcnt(0)
	;;#ASMEND
	v_and_b32_e32 v24, 0xff, v27
	v_and_b32_e32 v29, 0xff00, v27
	v_or3_b32 v24, 0, v24, v29
	v_or3_b32 v26, v26, 0, 0
	v_and_b32_e32 v29, 0xff000000, v27
	v_and_b32_e32 v27, 0xff0000, v27
	v_or3_b32 v27, v24, v27, v29
	v_or3_b32 v26, v26, 0, 0
	v_cmp_eq_u16_sdwa s[28:29], v28, v25 src0_sel:BYTE_0 src1_sel:DWORD
	s_and_saveexec_b64 s[6:7], s[28:29]
	s_cbranch_execz .LBB1855_52
; %bb.49:
	s_mov_b64 s[28:29], 0
	v_mov_b32_e32 v24, 0
.LBB1855_50:                            ; =>This Inner Loop Header: Depth=1
	;;#ASMSTART
	global_load_dwordx4 v[26:29], v[34:35] off glc	
s_waitcnt vmcnt(0)
	;;#ASMEND
	v_cmp_ne_u16_sdwa s[34:35], v28, v24 src0_sel:BYTE_0 src1_sel:DWORD
	s_or_b64 s[28:29], s[34:35], s[28:29]
	s_andn2_b64 exec, exec, s[28:29]
	s_cbranch_execnz .LBB1855_50
; %bb.51:
	s_or_b64 exec, exec, s[28:29]
.LBB1855_52:
	s_or_b64 exec, exec, s[6:7]
	v_and_b32_e32 v40, 63, v33
	v_mov_b32_e32 v24, 2
	v_cmp_ne_u32_e32 vcc, 63, v40
	v_cmp_eq_u16_sdwa s[6:7], v28, v24 src0_sel:BYTE_0 src1_sel:DWORD
	v_lshlrev_b64 v[24:25], v33, -1
	v_addc_co_u32_e32 v34, vcc, 0, v33, vcc
	v_and_b32_e32 v29, s7, v25
	v_lshlrev_b32_e32 v41, 2, v34
	v_or_b32_e32 v29, 0x80000000, v29
	ds_bpermute_b32 v34, v41, v26
	ds_bpermute_b32 v35, v41, v27
	v_and_b32_e32 v36, s6, v24
	v_ffbl_b32_e32 v29, v29
	v_add_u32_e32 v29, 32, v29
	v_ffbl_b32_e32 v36, v36
	v_min_u32_e32 v29, v36, v29
	v_cmp_lt_u32_e32 vcc, v40, v29
	s_and_saveexec_b64 s[6:7], vcc
	s_cbranch_execz .LBB1855_54
; %bb.53:
	s_waitcnt lgkmcnt(0)
	v_cmp_lt_f64_e32 vcc, v[34:35], v[26:27]
	v_cndmask_b32_e32 v27, v35, v27, vcc
	v_cndmask_b32_e32 v26, v34, v26, vcc
.LBB1855_54:
	s_or_b64 exec, exec, s[6:7]
	v_cmp_gt_u32_e32 vcc, 62, v40
	s_waitcnt lgkmcnt(1)
	v_cndmask_b32_e64 v34, 0, 1, vcc
	v_lshlrev_b32_e32 v34, 1, v34
	v_add_lshl_u32 v45, v34, v33, 2
	ds_bpermute_b32 v34, v45, v26
	s_waitcnt lgkmcnt(1)
	ds_bpermute_b32 v35, v45, v27
	v_add_u32_e32 v46, 2, v40
	v_cmp_le_u32_e32 vcc, v46, v29
	s_and_saveexec_b64 s[6:7], vcc
	s_cbranch_execz .LBB1855_56
; %bb.55:
	s_waitcnt lgkmcnt(0)
	v_cmp_gt_f64_e32 vcc, v[26:27], v[34:35]
	v_cndmask_b32_e32 v27, v35, v27, vcc
	v_cndmask_b32_e32 v26, v34, v26, vcc
.LBB1855_56:
	s_or_b64 exec, exec, s[6:7]
	v_cmp_gt_u32_e32 vcc, 60, v40
	s_waitcnt lgkmcnt(1)
	v_cndmask_b32_e64 v34, 0, 1, vcc
	v_lshlrev_b32_e32 v34, 2, v34
	v_add_lshl_u32 v47, v34, v33, 2
	ds_bpermute_b32 v34, v47, v26
	s_waitcnt lgkmcnt(1)
	ds_bpermute_b32 v35, v47, v27
	v_add_u32_e32 v48, 4, v40
	v_cmp_le_u32_e32 vcc, v48, v29
	s_and_saveexec_b64 s[6:7], vcc
	s_cbranch_execz .LBB1855_58
; %bb.57:
	s_waitcnt lgkmcnt(0)
	v_cmp_gt_f64_e32 vcc, v[26:27], v[34:35]
	v_cndmask_b32_e32 v27, v35, v27, vcc
	v_cndmask_b32_e32 v26, v34, v26, vcc
.LBB1855_58:
	;; [unrolled: 19-line block ×4, first 2 shown]
	s_or_b64 exec, exec, s[6:7]
	v_cmp_gt_u32_e32 vcc, 32, v40
	s_waitcnt lgkmcnt(1)
	v_cndmask_b32_e64 v34, 0, 1, vcc
	v_lshlrev_b32_e32 v34, 5, v34
	v_add_lshl_u32 v53, v34, v33, 2
	ds_bpermute_b32 v34, v53, v27
	ds_bpermute_b32 v36, v53, v26
	v_add_u32_e32 v54, 32, v40
	v_cmp_gt_u32_e32 vcc, v54, v29
	v_mov_b32_e32 v33, 0
	s_waitcnt lgkmcnt(1)
	v_mov_b32_e32 v37, v34
	s_waitcnt lgkmcnt(0)
	v_cmp_gt_f64_e64 s[6:7], v[26:27], v[36:37]
	s_or_b64 vcc, vcc, s[6:7]
	v_cndmask_b32_e32 v27, v34, v27, vcc
	v_cndmask_b32_e32 v26, v36, v26, vcc
	v_mov_b32_e32 v55, 2
	s_branch .LBB1855_64
.LBB1855_63:                            ;   in Loop: Header=BB1855_64 Depth=1
	s_or_b64 exec, exec, s[6:7]
	s_waitcnt lgkmcnt(1)
	ds_bpermute_b32 v36, v53, v27
	ds_bpermute_b32 v56, v53, v26
	v_cmp_gt_u32_e32 vcc, v54, v29
	v_subrev_u32_e32 v32, 64, v32
	s_waitcnt lgkmcnt(1)
	v_mov_b32_e32 v57, v36
	s_waitcnt lgkmcnt(0)
	v_cmp_gt_f64_e64 s[6:7], v[26:27], v[56:57]
	s_or_b64 vcc, vcc, s[6:7]
	v_cndmask_b32_e32 v27, v36, v27, vcc
	v_cndmask_b32_e32 v26, v56, v26, vcc
	v_cmp_lt_f64_e32 vcc, v[26:27], v[34:35]
	v_cndmask_b32_e32 v27, v27, v35, vcc
	v_cndmask_b32_e32 v26, v26, v34, vcc
.LBB1855_64:                            ; =>This Loop Header: Depth=1
                                        ;     Child Loop BB1855_67 Depth 2
	v_cmp_ne_u16_sdwa s[6:7], v28, v55 src0_sel:BYTE_0 src1_sel:DWORD
	v_cndmask_b32_e64 v28, 0, 1, s[6:7]
	;;#ASMSTART
	;;#ASMEND
	v_cmp_ne_u32_e32 vcc, 0, v28
	s_cmp_lg_u64 vcc, exec
	v_pk_mov_b32 v[34:35], v[26:27], v[26:27] op_sel:[0,1]
	s_cbranch_scc1 .LBB1855_79
; %bb.65:                               ;   in Loop: Header=BB1855_64 Depth=1
	v_lshlrev_b64 v[26:27], 4, v[32:33]
	v_mov_b32_e32 v28, s25
	v_add_co_u32_e32 v36, vcc, s24, v26
	v_addc_co_u32_e32 v37, vcc, v28, v27, vcc
	;;#ASMSTART
	global_load_dwordx4 v[26:29], v[36:37] off glc	
s_waitcnt vmcnt(0)
	;;#ASMEND
	v_and_b32_e32 v29, 0xff, v27
	v_and_b32_e32 v56, 0xff00, v27
	v_or3_b32 v29, 0, v29, v56
	v_or3_b32 v26, v26, 0, 0
	v_and_b32_e32 v56, 0xff000000, v27
	v_and_b32_e32 v27, 0xff0000, v27
	v_or3_b32 v27, v29, v27, v56
	v_or3_b32 v26, v26, 0, 0
	v_cmp_eq_u16_sdwa s[28:29], v28, v33 src0_sel:BYTE_0 src1_sel:DWORD
	s_and_saveexec_b64 s[6:7], s[28:29]
	s_cbranch_execz .LBB1855_69
; %bb.66:                               ;   in Loop: Header=BB1855_64 Depth=1
	s_mov_b64 s[28:29], 0
.LBB1855_67:                            ;   Parent Loop BB1855_64 Depth=1
                                        ; =>  This Inner Loop Header: Depth=2
	;;#ASMSTART
	global_load_dwordx4 v[26:29], v[36:37] off glc	
s_waitcnt vmcnt(0)
	;;#ASMEND
	v_cmp_ne_u16_sdwa s[34:35], v28, v33 src0_sel:BYTE_0 src1_sel:DWORD
	s_or_b64 s[28:29], s[34:35], s[28:29]
	s_andn2_b64 exec, exec, s[28:29]
	s_cbranch_execnz .LBB1855_67
; %bb.68:                               ;   in Loop: Header=BB1855_64 Depth=1
	s_or_b64 exec, exec, s[28:29]
.LBB1855_69:                            ;   in Loop: Header=BB1855_64 Depth=1
	s_or_b64 exec, exec, s[6:7]
	v_cmp_eq_u16_sdwa s[6:7], v28, v55 src0_sel:BYTE_0 src1_sel:DWORD
	v_and_b32_e32 v29, s7, v25
	v_or_b32_e32 v29, 0x80000000, v29
	ds_bpermute_b32 v36, v41, v26
	ds_bpermute_b32 v37, v41, v27
	v_and_b32_e32 v56, s6, v24
	v_ffbl_b32_e32 v29, v29
	v_add_u32_e32 v29, 32, v29
	v_ffbl_b32_e32 v56, v56
	v_min_u32_e32 v29, v56, v29
	v_cmp_lt_u32_e32 vcc, v40, v29
	s_and_saveexec_b64 s[6:7], vcc
	s_cbranch_execz .LBB1855_71
; %bb.70:                               ;   in Loop: Header=BB1855_64 Depth=1
	s_waitcnt lgkmcnt(0)
	v_cmp_lt_f64_e32 vcc, v[36:37], v[26:27]
	v_cndmask_b32_e32 v27, v37, v27, vcc
	v_cndmask_b32_e32 v26, v36, v26, vcc
.LBB1855_71:                            ;   in Loop: Header=BB1855_64 Depth=1
	s_or_b64 exec, exec, s[6:7]
	s_waitcnt lgkmcnt(1)
	ds_bpermute_b32 v36, v45, v26
	s_waitcnt lgkmcnt(1)
	ds_bpermute_b32 v37, v45, v27
	v_cmp_le_u32_e32 vcc, v46, v29
	s_and_saveexec_b64 s[6:7], vcc
	s_cbranch_execz .LBB1855_73
; %bb.72:                               ;   in Loop: Header=BB1855_64 Depth=1
	s_waitcnt lgkmcnt(0)
	v_cmp_gt_f64_e32 vcc, v[26:27], v[36:37]
	v_cndmask_b32_e32 v27, v37, v27, vcc
	v_cndmask_b32_e32 v26, v36, v26, vcc
.LBB1855_73:                            ;   in Loop: Header=BB1855_64 Depth=1
	s_or_b64 exec, exec, s[6:7]
	s_waitcnt lgkmcnt(1)
	ds_bpermute_b32 v36, v47, v26
	s_waitcnt lgkmcnt(1)
	ds_bpermute_b32 v37, v47, v27
	v_cmp_le_u32_e32 vcc, v48, v29
	s_and_saveexec_b64 s[6:7], vcc
	s_cbranch_execz .LBB1855_75
; %bb.74:                               ;   in Loop: Header=BB1855_64 Depth=1
	s_waitcnt lgkmcnt(0)
	v_cmp_gt_f64_e32 vcc, v[26:27], v[36:37]
	v_cndmask_b32_e32 v27, v37, v27, vcc
	v_cndmask_b32_e32 v26, v36, v26, vcc
.LBB1855_75:                            ;   in Loop: Header=BB1855_64 Depth=1
	;; [unrolled: 14-line block ×3, first 2 shown]
	s_or_b64 exec, exec, s[6:7]
	s_waitcnt lgkmcnt(1)
	ds_bpermute_b32 v36, v51, v26
	s_waitcnt lgkmcnt(1)
	ds_bpermute_b32 v37, v51, v27
	v_cmp_le_u32_e32 vcc, v52, v29
	s_and_saveexec_b64 s[6:7], vcc
	s_cbranch_execz .LBB1855_63
; %bb.78:                               ;   in Loop: Header=BB1855_64 Depth=1
	s_waitcnt lgkmcnt(0)
	v_cmp_gt_f64_e32 vcc, v[26:27], v[36:37]
	v_cndmask_b32_e32 v27, v37, v27, vcc
	v_cndmask_b32_e32 v26, v36, v26, vcc
	s_branch .LBB1855_63
.LBB1855_79:                            ;   in Loop: Header=BB1855_64 Depth=1
                                        ; implicit-def: $vgpr26_vgpr27
                                        ; implicit-def: $vgpr28
	s_cbranch_execz .LBB1855_64
; %bb.80:
	s_and_saveexec_b64 s[6:7], s[4:5]
	s_cbranch_execz .LBB1855_82
; %bb.81:
	s_add_i32 s28, s33, 64
	s_mov_b32 s29, 0
	s_lshl_b64 s[28:29], s[28:29], 4
	s_add_u32 s28, s24, s28
	v_cmp_lt_f64_e32 vcc, v[34:35], v[22:23]
	s_addc_u32 s29, s25, s29
	v_cndmask_b32_e32 v23, v35, v23, vcc
	v_cndmask_b32_e32 v22, v34, v22, vcc
	v_mov_b32_e32 v24, 2
	v_mov_b32_e32 v25, 0
	v_pk_mov_b32 v[26:27], s[28:29], s[28:29] op_sel:[0,1]
	;;#ASMSTART
	global_store_dwordx4 v[26:27], v[22:25] off	
s_waitcnt vmcnt(0)
	;;#ASMEND
.LBB1855_82:
	s_or_b64 exec, exec, s[6:7]
	s_and_b64 exec, exec, s[2:3]
	s_cbranch_execz .LBB1855_84
; %bb.83:
	v_mov_b32_e32 v22, 0
	ds_write_b64 v22, v[34:35] offset:8
.LBB1855_84:
	s_or_b64 exec, exec, s[26:27]
	v_mov_b32_e32 v24, 0
	s_waitcnt lgkmcnt(0)
	s_barrier
	ds_read_b64 v[24:25], v24 offset:8
	v_cndmask_b32_e64 v23, v39, v31, s[4:5]
	v_cndmask_b32_e64 v22, v38, v30, s[4:5]
	v_cmp_lt_f64_e32 vcc, v[22:23], v[2:3]
	s_or_b64 vcc, s[2:3], vcc
	v_cndmask_b32_e32 v23, v23, v3, vcc
	v_cndmask_b32_e32 v22, v22, v2, vcc
	s_waitcnt lgkmcnt(0)
	v_cmp_lt_f64_e32 vcc, v[24:25], v[22:23]
	v_cndmask_b32_e32 v23, v25, v23, vcc
	v_cndmask_b32_e32 v22, v24, v22, vcc
	v_cmp_lt_f64_e32 vcc, v[22:23], v[4:5]
	v_cndmask_b32_e32 v25, v23, v5, vcc
	v_cndmask_b32_e32 v24, v22, v4, vcc
	;; [unrolled: 3-line block ×10, first 2 shown]
	s_branch .LBB1855_109
.LBB1855_85:
                                        ; implicit-def: $vgpr40_vgpr41
                                        ; implicit-def: $vgpr36_vgpr37
                                        ; implicit-def: $vgpr32_vgpr33
                                        ; implicit-def: $vgpr28_vgpr29
                                        ; implicit-def: $vgpr24_vgpr25
	s_cbranch_execz .LBB1855_109
; %bb.86:
	s_cmp_lg_u64 s[12:13], 0
	s_cselect_b64 s[4:5], -1, 0
	s_and_b64 s[4:5], s[2:3], s[4:5]
	s_and_saveexec_b64 s[2:3], s[4:5]
	s_cbranch_execz .LBB1855_88
; %bb.87:
	v_mov_b32_e32 v22, 0
	global_load_dwordx2 v[22:23], v22, s[8:9]
	s_waitcnt vmcnt(0)
	v_cmp_lt_f64_e32 vcc, v[22:23], v[2:3]
	v_cndmask_b32_e32 v3, v23, v3, vcc
	v_cndmask_b32_e32 v2, v22, v2, vcc
.LBB1855_88:
	s_or_b64 exec, exec, s[2:3]
	v_cmp_lt_f64_e32 vcc, v[2:3], v[4:5]
	v_cndmask_b32_e32 v23, v3, v5, vcc
	v_cndmask_b32_e32 v22, v2, v4, vcc
	v_cmp_lt_f64_e32 vcc, v[22:23], v[14:15]
	v_cndmask_b32_e32 v23, v23, v15, vcc
	v_cndmask_b32_e32 v22, v22, v14, vcc
	;; [unrolled: 3-line block ×8, first 2 shown]
	v_cmp_lt_f64_e32 vcc, v[22:23], v[20:21]
	v_mbcnt_hi_u32_b32 v1, -1, v1
	v_cndmask_b32_e32 v23, v23, v21, vcc
	v_cndmask_b32_e32 v22, v22, v20, vcc
	v_and_b32_e32 v26, 15, v1
	v_mov_b32_dpp v25, v23 row_shr:1 row_mask:0xf bank_mask:0xf
	v_mov_b32_dpp v24, v22 row_shr:1 row_mask:0xf bank_mask:0xf
	v_cmp_ne_u32_e32 vcc, 0, v26
	s_and_saveexec_b64 s[2:3], vcc
; %bb.89:
	v_cmp_gt_f64_e32 vcc, v[22:23], v[24:25]
	v_cndmask_b32_e32 v23, v25, v23, vcc
	v_cndmask_b32_e32 v22, v24, v22, vcc
; %bb.90:
	s_or_b64 exec, exec, s[2:3]
	s_nop 0
	v_mov_b32_dpp v24, v22 row_shr:2 row_mask:0xf bank_mask:0xf
	v_mov_b32_dpp v25, v23 row_shr:2 row_mask:0xf bank_mask:0xf
	v_cmp_lt_u32_e32 vcc, 1, v26
	s_and_saveexec_b64 s[2:3], vcc
; %bb.91:
	v_cmp_gt_f64_e32 vcc, v[22:23], v[24:25]
	v_cndmask_b32_e32 v23, v25, v23, vcc
	v_cndmask_b32_e32 v22, v24, v22, vcc
; %bb.92:
	s_or_b64 exec, exec, s[2:3]
	s_nop 0
	v_mov_b32_dpp v24, v22 row_shr:4 row_mask:0xf bank_mask:0xf
	v_mov_b32_dpp v25, v23 row_shr:4 row_mask:0xf bank_mask:0xf
	v_cmp_lt_u32_e32 vcc, 3, v26
	;; [unrolled: 11-line block ×3, first 2 shown]
	s_and_saveexec_b64 s[2:3], vcc
; %bb.95:
	v_cmp_gt_f64_e32 vcc, v[22:23], v[24:25]
	v_cndmask_b32_e32 v23, v25, v23, vcc
	v_cndmask_b32_e32 v22, v24, v22, vcc
; %bb.96:
	s_or_b64 exec, exec, s[2:3]
	v_and_b32_e32 v26, 16, v1
	v_mov_b32_dpp v24, v22 row_bcast:15 row_mask:0xf bank_mask:0xf
	v_mov_b32_dpp v25, v23 row_bcast:15 row_mask:0xf bank_mask:0xf
	v_cmp_ne_u32_e32 vcc, 0, v26
	s_and_saveexec_b64 s[2:3], vcc
; %bb.97:
	v_cmp_gt_f64_e32 vcc, v[22:23], v[24:25]
	v_cndmask_b32_e32 v23, v25, v23, vcc
	v_cndmask_b32_e32 v22, v24, v22, vcc
; %bb.98:
	s_or_b64 exec, exec, s[2:3]
	s_nop 0
	v_mov_b32_dpp v24, v22 row_bcast:31 row_mask:0xf bank_mask:0xf
	v_mov_b32_dpp v25, v23 row_bcast:31 row_mask:0xf bank_mask:0xf
	v_cmp_gt_f64_e32 vcc, v[22:23], v[24:25]
	v_cndmask_b32_e32 v24, v24, v22, vcc
	v_cndmask_b32_e32 v25, v25, v23, vcc
	v_cmp_lt_u32_e32 vcc, 31, v1
	v_cndmask_b32_e32 v22, v22, v24, vcc
	v_or_b32_e32 v24, 63, v0
	v_cndmask_b32_e32 v23, v23, v25, vcc
	v_lshrrev_b32_e32 v26, 6, v0
	v_cmp_eq_u32_e32 vcc, v24, v0
	s_and_saveexec_b64 s[2:3], vcc
	s_cbranch_execz .LBB1855_100
; %bb.99:
	v_lshlrev_b32_e32 v24, 3, v26
	ds_write_b64 v24, v[22:23]
.LBB1855_100:
	s_or_b64 exec, exec, s[2:3]
	v_cmp_gt_u32_e32 vcc, 2, v0
	s_waitcnt lgkmcnt(0)
	s_barrier
	s_and_saveexec_b64 s[4:5], vcc
	s_cbranch_execz .LBB1855_102
; %bb.101:
	s_movk_i32 s2, 0xffb8
	v_mad_i32_i24 v27, v0, s2, v44
	ds_read_b64 v[24:25], v27
	v_and_b32_e32 v28, 1, v1
	v_cmp_eq_u32_e32 vcc, 0, v28
	s_waitcnt lgkmcnt(0)
	v_mov_b32_dpp v30, v25 row_shr:1 row_mask:0xf bank_mask:0xf
	v_mov_b32_dpp v28, v24 row_shr:1 row_mask:0xf bank_mask:0xf
	v_mov_b32_e32 v29, v30
	v_cmp_gt_f64_e64 s[2:3], v[24:25], v[28:29]
	s_or_b64 vcc, vcc, s[2:3]
	v_cndmask_b32_e32 v25, v30, v25, vcc
	v_cndmask_b32_e32 v24, v28, v24, vcc
	ds_write_b64 v27, v[24:25]
.LBB1855_102:
	s_or_b64 exec, exec, s[4:5]
	v_cmp_lt_u32_e32 vcc, 63, v0
	s_waitcnt lgkmcnt(0)
	s_barrier
	s_waitcnt lgkmcnt(0)
                                        ; implicit-def: $vgpr24_vgpr25
	s_and_saveexec_b64 s[2:3], vcc
	s_cbranch_execz .LBB1855_104
; %bb.103:
	v_lshl_add_u32 v24, v26, 3, -8
	ds_read_b64 v[24:25], v24
	s_waitcnt lgkmcnt(0)
	v_cmp_lt_f64_e32 vcc, v[24:25], v[22:23]
	v_cndmask_b32_e32 v23, v25, v23, vcc
	v_cndmask_b32_e32 v22, v24, v22, vcc
.LBB1855_104:
	s_or_b64 exec, exec, s[2:3]
	v_add_u32_e32 v26, -1, v1
	v_and_b32_e32 v27, 64, v1
	v_cmp_lt_i32_e32 vcc, v26, v27
	v_cndmask_b32_e32 v26, v26, v1, vcc
	v_lshlrev_b32_e32 v26, 2, v26
	ds_bpermute_b32 v22, v26, v22
	ds_bpermute_b32 v23, v26, v23
	s_and_saveexec_b64 s[2:3], s[0:1]
	s_cbranch_execz .LBB1855_106
; %bb.105:
	v_cmp_eq_u32_e32 vcc, 0, v1
	s_waitcnt lgkmcnt(0)
	v_cndmask_b32_e32 v23, v23, v25, vcc
	v_cndmask_b32_e32 v22, v22, v24, vcc
	v_cmp_gt_f64_e32 vcc, v[2:3], v[22:23]
	v_cndmask_b32_e32 v3, v23, v3, vcc
	v_cndmask_b32_e32 v2, v22, v2, vcc
	;;#ASMSTART
	;;#ASMEND
.LBB1855_106:
	s_or_b64 exec, exec, s[2:3]
	v_cmp_gt_f64_e32 vcc, v[4:5], v[2:3]
	v_cndmask_b32_e32 v25, v3, v5, vcc
	v_cndmask_b32_e32 v24, v2, v4, vcc
	v_cmp_lt_f64_e32 vcc, v[24:25], v[14:15]
	v_cndmask_b32_e32 v27, v25, v15, vcc
	v_cndmask_b32_e32 v26, v24, v14, vcc
	v_cmp_lt_f64_e32 vcc, v[26:27], v[16:17]
	;; [unrolled: 3-line block ×8, first 2 shown]
	s_movk_i32 s0, 0x7f
	v_cndmask_b32_e32 v41, v39, v21, vcc
	v_cndmask_b32_e32 v40, v38, v20, vcc
	v_cmp_eq_u32_e32 vcc, s0, v0
	s_and_saveexec_b64 s[0:1], vcc
	s_cbranch_execz .LBB1855_108
; %bb.107:
	s_add_u32 s2, s24, 0x400
	s_addc_u32 s3, s25, 0
	v_mov_b32_e32 v6, 2
	v_mov_b32_e32 v7, 0
	;; [unrolled: 1-line block ×4, first 2 shown]
	v_pk_mov_b32 v[8:9], s[2:3], s[2:3] op_sel:[0,1]
	;;#ASMSTART
	global_store_dwordx4 v[8:9], v[4:7] off	
s_waitcnt vmcnt(0)
	;;#ASMEND
.LBB1855_108:
	s_or_b64 exec, exec, s[0:1]
	s_waitcnt lgkmcnt(0)
	v_pk_mov_b32 v[22:23], v[2:3], v[2:3] op_sel:[0,1]
.LBB1855_109:
	s_add_u32 s0, s20, s18
	s_addc_u32 s1, s21, s19
	s_add_u32 s2, s0, s22
	s_addc_u32 s3, s1, s23
	s_mov_b64 s[0:1], -1
	s_and_b64 vcc, exec, s[16:17]
	s_barrier
	s_cbranch_vccz .LBB1855_111
; %bb.110:
	ds_write_b128 v44, v[22:25]
	ds_write_b128 v44, v[26:29] offset:16
	ds_write_b128 v44, v[30:33] offset:32
	;; [unrolled: 1-line block ×4, first 2 shown]
	s_waitcnt lgkmcnt(0)
	s_barrier
	ds_read2st64_b64 v[2:5], v42 offset1:2
	ds_read2st64_b64 v[6:9], v42 offset0:4 offset1:6
	ds_read2st64_b64 v[10:13], v42 offset0:8 offset1:10
	;; [unrolled: 1-line block ×4, first 2 shown]
	v_mov_b32_e32 v1, s3
	v_add_co_u32_e32 v46, vcc, s2, v42
	v_addc_co_u32_e32 v47, vcc, 0, v1, vcc
	s_movk_i32 s0, 0x1000
	s_waitcnt lgkmcnt(4)
	flat_store_dwordx2 v[46:47], v[2:3]
	flat_store_dwordx2 v[46:47], v[4:5] offset:1024
	s_waitcnt lgkmcnt(0)
	flat_store_dwordx2 v[46:47], v[6:7] offset:2048
	flat_store_dwordx2 v[46:47], v[8:9] offset:3072
	v_add_co_u32_e32 v2, vcc, s0, v46
	v_addc_co_u32_e32 v3, vcc, 0, v47, vcc
	flat_store_dwordx2 v[2:3], v[10:11]
	flat_store_dwordx2 v[2:3], v[12:13] offset:1024
	flat_store_dwordx2 v[2:3], v[14:15] offset:2048
	;; [unrolled: 1-line block ×3, first 2 shown]
	v_add_co_u32_e32 v2, vcc, 0x2000, v46
	v_addc_co_u32_e32 v3, vcc, 0, v47, vcc
	flat_store_dwordx2 v[2:3], v[18:19]
	flat_store_dwordx2 v[2:3], v[20:21] offset:1024
	s_mov_b64 s[0:1], 0
.LBB1855_111:
	s_andn2_b64 vcc, exec, s[0:1]
	s_cbranch_vccnz .LBB1855_167
; %bb.112:
	s_movk_i32 s0, 0xffb8
	v_mad_i32_i24 v18, v0, s0, v44
	ds_write_b128 v44, v[22:25]
	ds_write_b128 v44, v[26:29] offset:16
	ds_write_b128 v44, v[30:33] offset:32
	;; [unrolled: 1-line block ×4, first 2 shown]
	s_waitcnt lgkmcnt(0)
	s_barrier
	ds_read2st64_b64 v[2:5], v18 offset1:2
	ds_read2st64_b64 v[10:13], v18 offset0:4 offset1:6
	ds_read2st64_b64 v[6:9], v18 offset0:8 offset1:10
	;; [unrolled: 1-line block ×4, first 2 shown]
	v_mov_b32_e32 v23, s3
	v_add_co_u32_e32 v22, vcc, s2, v42
	v_addc_co_u32_e32 v23, vcc, 0, v23, vcc
	v_mov_b32_e32 v1, 0
	v_cmp_gt_u32_e32 vcc, s30, v0
	s_and_saveexec_b64 s[0:1], vcc
	s_cbranch_execz .LBB1855_114
; %bb.113:
	s_waitcnt lgkmcnt(0)
	flat_store_dwordx2 v[22:23], v[2:3]
.LBB1855_114:
	s_or_b64 exec, exec, s[0:1]
	v_or_b32_e32 v24, 0x80, v0
	v_cmp_gt_u32_e32 vcc, s30, v24
	s_and_saveexec_b64 s[0:1], vcc
	s_cbranch_execz .LBB1855_116
; %bb.115:
	s_waitcnt lgkmcnt(0)
	flat_store_dwordx2 v[22:23], v[4:5] offset:1024
.LBB1855_116:
	s_or_b64 exec, exec, s[0:1]
	v_or_b32_e32 v24, 0x100, v0
	v_cmp_gt_u32_e32 vcc, s30, v24
	s_and_saveexec_b64 s[0:1], vcc
	s_cbranch_execz .LBB1855_118
; %bb.117:
	s_waitcnt lgkmcnt(0)
	flat_store_dwordx2 v[22:23], v[10:11] offset:2048
.LBB1855_118:
	;; [unrolled: 9-line block ×3, first 2 shown]
	s_or_b64 exec, exec, s[0:1]
	v_or_b32_e32 v24, 0x200, v0
	v_cmp_gt_u32_e32 vcc, s30, v24
	s_and_saveexec_b64 s[0:1], vcc
	s_cbranch_execz .LBB1855_122
; %bb.121:
	v_add_co_u32_e32 v24, vcc, 0x1000, v22
	v_addc_co_u32_e32 v25, vcc, 0, v23, vcc
	s_waitcnt lgkmcnt(0)
	flat_store_dwordx2 v[24:25], v[6:7]
.LBB1855_122:
	s_or_b64 exec, exec, s[0:1]
	v_or_b32_e32 v24, 0x280, v0
	v_cmp_gt_u32_e32 vcc, s30, v24
	s_and_saveexec_b64 s[0:1], vcc
	s_cbranch_execz .LBB1855_124
; %bb.123:
	v_add_co_u32_e32 v24, vcc, 0x1000, v22
	v_addc_co_u32_e32 v25, vcc, 0, v23, vcc
	s_waitcnt lgkmcnt(0)
	flat_store_dwordx2 v[24:25], v[8:9] offset:1024
.LBB1855_124:
	s_or_b64 exec, exec, s[0:1]
	v_or_b32_e32 v24, 0x300, v0
	v_cmp_gt_u32_e32 vcc, s30, v24
	s_and_saveexec_b64 s[0:1], vcc
	s_cbranch_execz .LBB1855_126
; %bb.125:
	v_add_co_u32_e32 v24, vcc, 0x1000, v22
	v_addc_co_u32_e32 v25, vcc, 0, v23, vcc
	s_waitcnt lgkmcnt(0)
	flat_store_dwordx2 v[24:25], v[14:15] offset:2048
.LBB1855_126:
	;; [unrolled: 11-line block ×3, first 2 shown]
	s_or_b64 exec, exec, s[0:1]
	v_or_b32_e32 v24, 0x400, v0
	v_cmp_gt_u32_e32 vcc, s30, v24
	s_and_saveexec_b64 s[0:1], vcc
	s_cbranch_execz .LBB1855_130
; %bb.129:
	v_add_co_u32_e32 v24, vcc, 0x2000, v22
	v_addc_co_u32_e32 v25, vcc, 0, v23, vcc
	s_waitcnt lgkmcnt(0)
	flat_store_dwordx2 v[24:25], v[18:19]
.LBB1855_130:
	s_or_b64 exec, exec, s[0:1]
	v_or_b32_e32 v24, 0x480, v0
	v_cmp_gt_u32_e32 vcc, s30, v24
	s_and_saveexec_b64 s[0:1], vcc
	s_cbranch_execz .LBB1855_132
; %bb.131:
	v_add_co_u32_e32 v22, vcc, 0x2000, v22
	v_addc_co_u32_e32 v23, vcc, 0, v23, vcc
	s_waitcnt lgkmcnt(0)
	flat_store_dwordx2 v[22:23], v[20:21] offset:1024
.LBB1855_132:
	s_or_b64 exec, exec, s[0:1]
	v_cmp_lt_u64_e64 s[0:1], s[14:15], 2
	s_and_b64 vcc, exec, s[0:1]
	s_cbranch_vccnz .LBB1855_167
; %bb.133:
	s_add_u32 s0, s30, -1
	s_addc_u32 s1, s31, -1
	s_add_u32 s2, 0, 0x99986000
	s_addc_u32 s3, 0, 0x59
	s_add_i32 s3, s3, 0x19999940
	s_mul_hi_u32 s7, s2, -10
	s_sub_i32 s7, s7, s2
	s_mul_i32 s8, s3, -10
	s_mul_i32 s4, s2, -10
	s_add_i32 s7, s7, s8
	s_mul_hi_u32 s5, s3, s4
	s_mul_i32 s6, s3, s4
	s_mul_i32 s9, s2, s7
	s_mul_hi_u32 s4, s2, s4
	s_mul_hi_u32 s8, s2, s7
	s_add_u32 s4, s4, s9
	s_addc_u32 s8, 0, s8
	s_add_u32 s4, s4, s6
	s_mul_hi_u32 s9, s3, s7
	s_addc_u32 s4, s8, s5
	s_addc_u32 s5, s9, 0
	s_mul_i32 s6, s3, s7
	s_add_u32 s4, s4, s6
	v_mov_b32_e32 v22, s4
	s_addc_u32 s5, 0, s5
	v_add_co_u32_e32 v22, vcc, s2, v22
	s_cmp_lg_u64 vcc, 0
	s_addc_u32 s2, s3, s5
	v_readfirstlane_b32 s5, v22
	s_mul_i32 s4, s0, s2
	s_mul_hi_u32 s6, s0, s5
	s_mul_hi_u32 s3, s0, s2
	s_add_u32 s4, s6, s4
	s_addc_u32 s3, 0, s3
	s_mul_hi_u32 s7, s1, s5
	s_mul_i32 s5, s1, s5
	s_add_u32 s4, s4, s5
	s_mul_hi_u32 s6, s1, s2
	s_addc_u32 s3, s3, s7
	s_addc_u32 s4, s6, 0
	s_mul_i32 s2, s1, s2
	s_add_u32 s2, s3, s2
	s_addc_u32 s3, 0, s4
	s_add_u32 s4, s2, 1
	s_addc_u32 s5, s3, 0
	s_add_u32 s6, s2, 2
	s_mul_i32 s8, s3, 10
	s_mul_hi_u32 s9, s2, 10
	s_addc_u32 s7, s3, 0
	s_add_i32 s9, s9, s8
	s_mul_i32 s8, s2, 10
	v_mov_b32_e32 v22, s8
	v_sub_co_u32_e32 v22, vcc, s0, v22
	s_cmp_lg_u64 vcc, 0
	s_subb_u32 s8, s1, s9
	v_subrev_co_u32_e32 v23, vcc, 10, v22
	s_cmp_lg_u64 vcc, 0
	s_subb_u32 s9, s8, 0
	v_readfirstlane_b32 s12, v23
	s_cmp_gt_u32 s12, 9
	s_cselect_b32 s12, -1, 0
	s_cmp_eq_u32 s9, 0
	s_cselect_b32 s9, s12, -1
	s_cmp_lg_u32 s9, 0
	s_cselect_b32 s4, s6, s4
	v_readfirstlane_b32 s6, v22
	s_cselect_b32 s5, s7, s5
	s_cmp_gt_u32 s6, 9
	s_cselect_b32 s6, -1, 0
	s_cmp_eq_u32 s8, 0
	s_cselect_b32 s6, s6, -1
	s_cmp_lg_u32 s6, 0
	s_cselect_b32 s3, s5, s3
	s_cselect_b32 s2, s4, s2
	v_cmp_eq_u64_e32 vcc, s[2:3], v[0:1]
	s_and_saveexec_b64 s[2:3], vcc
	s_cbranch_execz .LBB1855_167
; %bb.134:
	v_mul_hi_u32_u24_e32 v1, 10, v0
	v_mov_b32_e32 v22, s1
	v_sub_co_u32_e32 v0, vcc, s0, v43
	v_subb_co_u32_e32 v1, vcc, v22, v1, vcc
	v_cmp_lt_i64_e32 vcc, 4, v[0:1]
	s_and_saveexec_b64 s[0:1], vcc
	s_xor_b64 s[0:1], exec, s[0:1]
	s_cbranch_execz .LBB1855_152
; %bb.135:
	v_cmp_lt_i64_e32 vcc, 6, v[0:1]
	s_and_saveexec_b64 s[2:3], vcc
	s_xor_b64 s[2:3], exec, s[2:3]
	s_cbranch_execz .LBB1855_145
; %bb.136:
	;; [unrolled: 5-line block ×4, first 2 shown]
	v_mov_b32_e32 v0, 0
	s_waitcnt lgkmcnt(0)
	global_store_dwordx2 v0, v[20:21], s[10:11]
                                        ; implicit-def: $vgpr18_vgpr19_vgpr20_vgpr21
.LBB1855_139:
	s_andn2_saveexec_b64 s[6:7], s[6:7]
	s_cbranch_execz .LBB1855_141
; %bb.140:
	v_mov_b32_e32 v0, 0
	s_waitcnt lgkmcnt(0)
	global_store_dwordx2 v0, v[18:19], s[10:11]
.LBB1855_141:
	s_or_b64 exec, exec, s[6:7]
                                        ; implicit-def: $vgpr14_vgpr15_vgpr16_vgpr17
.LBB1855_142:
	s_andn2_saveexec_b64 s[4:5], s[4:5]
	s_cbranch_execz .LBB1855_144
; %bb.143:
	v_mov_b32_e32 v0, 0
	s_waitcnt lgkmcnt(0)
	global_store_dwordx2 v0, v[16:17], s[10:11]
.LBB1855_144:
	s_or_b64 exec, exec, s[4:5]
                                        ; implicit-def: $vgpr6_vgpr7_vgpr8_vgpr9
                                        ; implicit-def: $vgpr0_vgpr1
                                        ; implicit-def: $vgpr14_vgpr15_vgpr16_vgpr17
.LBB1855_145:
	s_andn2_saveexec_b64 s[2:3], s[2:3]
	s_cbranch_execz .LBB1855_151
; %bb.146:
	v_cmp_lt_i64_e32 vcc, 5, v[0:1]
	s_and_saveexec_b64 s[4:5], vcc
	s_xor_b64 s[4:5], exec, s[4:5]
	s_cbranch_execz .LBB1855_148
; %bb.147:
	v_mov_b32_e32 v0, 0
	s_waitcnt lgkmcnt(0)
	global_store_dwordx2 v0, v[14:15], s[10:11]
                                        ; implicit-def: $vgpr6_vgpr7_vgpr8_vgpr9
.LBB1855_148:
	s_andn2_saveexec_b64 s[4:5], s[4:5]
	s_cbranch_execz .LBB1855_150
; %bb.149:
	v_mov_b32_e32 v0, 0
	s_waitcnt lgkmcnt(0)
	global_store_dwordx2 v0, v[8:9], s[10:11]
.LBB1855_150:
	s_or_b64 exec, exec, s[4:5]
.LBB1855_151:
	s_or_b64 exec, exec, s[2:3]
                                        ; implicit-def: $vgpr0_vgpr1
                                        ; implicit-def: $vgpr10_vgpr11_vgpr12_vgpr13
                                        ; implicit-def: $vgpr2_vgpr3_vgpr4_vgpr5
                                        ; implicit-def: $vgpr6_vgpr7_vgpr8_vgpr9
.LBB1855_152:
	s_andn2_saveexec_b64 s[0:1], s[0:1]
	s_cbranch_execz .LBB1855_167
; %bb.153:
	v_cmp_lt_i64_e32 vcc, 2, v[0:1]
	s_and_saveexec_b64 s[0:1], vcc
	s_xor_b64 s[0:1], exec, s[0:1]
	s_cbranch_execz .LBB1855_159
; %bb.154:
	v_cmp_lt_i64_e32 vcc, 3, v[0:1]
	s_and_saveexec_b64 s[2:3], vcc
	s_xor_b64 s[2:3], exec, s[2:3]
	s_cbranch_execz .LBB1855_156
; %bb.155:
	v_mov_b32_e32 v0, 0
	s_waitcnt lgkmcnt(0)
	global_store_dwordx2 v0, v[6:7], s[10:11]
                                        ; implicit-def: $vgpr10_vgpr11_vgpr12_vgpr13
.LBB1855_156:
	s_andn2_saveexec_b64 s[2:3], s[2:3]
	s_cbranch_execz .LBB1855_158
; %bb.157:
	v_mov_b32_e32 v0, 0
	s_waitcnt lgkmcnt(0)
	global_store_dwordx2 v0, v[12:13], s[10:11]
.LBB1855_158:
	s_or_b64 exec, exec, s[2:3]
                                        ; implicit-def: $vgpr0_vgpr1
                                        ; implicit-def: $vgpr10_vgpr11_vgpr12_vgpr13
                                        ; implicit-def: $vgpr2_vgpr3_vgpr4_vgpr5
.LBB1855_159:
	s_andn2_saveexec_b64 s[0:1], s[0:1]
	s_cbranch_execz .LBB1855_167
; %bb.160:
	v_cmp_lt_i64_e32 vcc, 1, v[0:1]
	s_and_saveexec_b64 s[0:1], vcc
	s_xor_b64 s[0:1], exec, s[0:1]
	s_cbranch_execz .LBB1855_162
; %bb.161:
	v_mov_b32_e32 v0, 0
	s_waitcnt lgkmcnt(0)
	global_store_dwordx2 v0, v[10:11], s[10:11]
                                        ; implicit-def: $vgpr2_vgpr3_vgpr4_vgpr5
                                        ; implicit-def: $vgpr0_vgpr1
.LBB1855_162:
	s_andn2_saveexec_b64 s[0:1], s[0:1]
	s_cbranch_execz .LBB1855_167
; %bb.163:
	v_cmp_ne_u64_e32 vcc, 1, v[0:1]
	s_and_saveexec_b64 s[0:1], vcc
	s_xor_b64 s[0:1], exec, s[0:1]
	s_cbranch_execz .LBB1855_165
; %bb.164:
	v_mov_b32_e32 v0, 0
	s_waitcnt lgkmcnt(0)
	global_store_dwordx2 v0, v[2:3], s[10:11]
                                        ; implicit-def: $vgpr2_vgpr3_vgpr4_vgpr5
.LBB1855_165:
	s_andn2_saveexec_b64 s[0:1], s[0:1]
	s_cbranch_execz .LBB1855_167
; %bb.166:
	v_mov_b32_e32 v0, 0
	s_waitcnt lgkmcnt(0)
	global_store_dwordx2 v0, v[4:5], s[10:11]
.LBB1855_167:
	s_endpgm
	.section	.rodata,"a",@progbits
	.p2align	6, 0x0
	.amdhsa_kernel _ZN7rocprim17ROCPRIM_400000_NS6detail17trampoline_kernelINS0_14default_configENS1_20scan_config_selectorIdEEZZNS1_9scan_implILNS1_25lookback_scan_determinismE0ELb0ELb0ES3_N6thrust23THRUST_200600_302600_NS6detail15normal_iteratorINS9_10device_ptrIdEEEESE_d11max_functorIdEdEEDaPvRmT3_T4_T5_mT6_P12ihipStream_tbENKUlT_T0_E_clISt17integral_constantIbLb0EEST_IbLb1EEEEDaSP_SQ_EUlSP_E_NS1_11comp_targetILNS1_3genE4ELNS1_11target_archE910ELNS1_3gpuE8ELNS1_3repE0EEENS1_30default_config_static_selectorELNS0_4arch9wavefront6targetE1EEEvT1_
		.amdhsa_group_segment_fixed_size 10240
		.amdhsa_private_segment_fixed_size 0
		.amdhsa_kernarg_size 104
		.amdhsa_user_sgpr_count 6
		.amdhsa_user_sgpr_private_segment_buffer 1
		.amdhsa_user_sgpr_dispatch_ptr 0
		.amdhsa_user_sgpr_queue_ptr 0
		.amdhsa_user_sgpr_kernarg_segment_ptr 1
		.amdhsa_user_sgpr_dispatch_id 0
		.amdhsa_user_sgpr_flat_scratch_init 0
		.amdhsa_user_sgpr_kernarg_preload_length 0
		.amdhsa_user_sgpr_kernarg_preload_offset 0
		.amdhsa_user_sgpr_private_segment_size 0
		.amdhsa_uses_dynamic_stack 0
		.amdhsa_system_sgpr_private_segment_wavefront_offset 0
		.amdhsa_system_sgpr_workgroup_id_x 1
		.amdhsa_system_sgpr_workgroup_id_y 0
		.amdhsa_system_sgpr_workgroup_id_z 0
		.amdhsa_system_sgpr_workgroup_info 0
		.amdhsa_system_vgpr_workitem_id 0
		.amdhsa_next_free_vgpr 58
		.amdhsa_next_free_sgpr 36
		.amdhsa_accum_offset 60
		.amdhsa_reserve_vcc 1
		.amdhsa_reserve_flat_scratch 0
		.amdhsa_float_round_mode_32 0
		.amdhsa_float_round_mode_16_64 0
		.amdhsa_float_denorm_mode_32 3
		.amdhsa_float_denorm_mode_16_64 3
		.amdhsa_dx10_clamp 1
		.amdhsa_ieee_mode 1
		.amdhsa_fp16_overflow 0
		.amdhsa_tg_split 0
		.amdhsa_exception_fp_ieee_invalid_op 0
		.amdhsa_exception_fp_denorm_src 0
		.amdhsa_exception_fp_ieee_div_zero 0
		.amdhsa_exception_fp_ieee_overflow 0
		.amdhsa_exception_fp_ieee_underflow 0
		.amdhsa_exception_fp_ieee_inexact 0
		.amdhsa_exception_int_div_zero 0
	.end_amdhsa_kernel
	.section	.text._ZN7rocprim17ROCPRIM_400000_NS6detail17trampoline_kernelINS0_14default_configENS1_20scan_config_selectorIdEEZZNS1_9scan_implILNS1_25lookback_scan_determinismE0ELb0ELb0ES3_N6thrust23THRUST_200600_302600_NS6detail15normal_iteratorINS9_10device_ptrIdEEEESE_d11max_functorIdEdEEDaPvRmT3_T4_T5_mT6_P12ihipStream_tbENKUlT_T0_E_clISt17integral_constantIbLb0EEST_IbLb1EEEEDaSP_SQ_EUlSP_E_NS1_11comp_targetILNS1_3genE4ELNS1_11target_archE910ELNS1_3gpuE8ELNS1_3repE0EEENS1_30default_config_static_selectorELNS0_4arch9wavefront6targetE1EEEvT1_,"axG",@progbits,_ZN7rocprim17ROCPRIM_400000_NS6detail17trampoline_kernelINS0_14default_configENS1_20scan_config_selectorIdEEZZNS1_9scan_implILNS1_25lookback_scan_determinismE0ELb0ELb0ES3_N6thrust23THRUST_200600_302600_NS6detail15normal_iteratorINS9_10device_ptrIdEEEESE_d11max_functorIdEdEEDaPvRmT3_T4_T5_mT6_P12ihipStream_tbENKUlT_T0_E_clISt17integral_constantIbLb0EEST_IbLb1EEEEDaSP_SQ_EUlSP_E_NS1_11comp_targetILNS1_3genE4ELNS1_11target_archE910ELNS1_3gpuE8ELNS1_3repE0EEENS1_30default_config_static_selectorELNS0_4arch9wavefront6targetE1EEEvT1_,comdat
.Lfunc_end1855:
	.size	_ZN7rocprim17ROCPRIM_400000_NS6detail17trampoline_kernelINS0_14default_configENS1_20scan_config_selectorIdEEZZNS1_9scan_implILNS1_25lookback_scan_determinismE0ELb0ELb0ES3_N6thrust23THRUST_200600_302600_NS6detail15normal_iteratorINS9_10device_ptrIdEEEESE_d11max_functorIdEdEEDaPvRmT3_T4_T5_mT6_P12ihipStream_tbENKUlT_T0_E_clISt17integral_constantIbLb0EEST_IbLb1EEEEDaSP_SQ_EUlSP_E_NS1_11comp_targetILNS1_3genE4ELNS1_11target_archE910ELNS1_3gpuE8ELNS1_3repE0EEENS1_30default_config_static_selectorELNS0_4arch9wavefront6targetE1EEEvT1_, .Lfunc_end1855-_ZN7rocprim17ROCPRIM_400000_NS6detail17trampoline_kernelINS0_14default_configENS1_20scan_config_selectorIdEEZZNS1_9scan_implILNS1_25lookback_scan_determinismE0ELb0ELb0ES3_N6thrust23THRUST_200600_302600_NS6detail15normal_iteratorINS9_10device_ptrIdEEEESE_d11max_functorIdEdEEDaPvRmT3_T4_T5_mT6_P12ihipStream_tbENKUlT_T0_E_clISt17integral_constantIbLb0EEST_IbLb1EEEEDaSP_SQ_EUlSP_E_NS1_11comp_targetILNS1_3genE4ELNS1_11target_archE910ELNS1_3gpuE8ELNS1_3repE0EEENS1_30default_config_static_selectorELNS0_4arch9wavefront6targetE1EEEvT1_
                                        ; -- End function
	.section	.AMDGPU.csdata,"",@progbits
; Kernel info:
; codeLenInByte = 6224
; NumSgprs: 40
; NumVgprs: 58
; NumAgprs: 0
; TotalNumVgprs: 58
; ScratchSize: 0
; MemoryBound: 0
; FloatMode: 240
; IeeeMode: 1
; LDSByteSize: 10240 bytes/workgroup (compile time only)
; SGPRBlocks: 4
; VGPRBlocks: 7
; NumSGPRsForWavesPerEU: 40
; NumVGPRsForWavesPerEU: 58
; AccumOffset: 60
; Occupancy: 3
; WaveLimiterHint : 1
; COMPUTE_PGM_RSRC2:SCRATCH_EN: 0
; COMPUTE_PGM_RSRC2:USER_SGPR: 6
; COMPUTE_PGM_RSRC2:TRAP_HANDLER: 0
; COMPUTE_PGM_RSRC2:TGID_X_EN: 1
; COMPUTE_PGM_RSRC2:TGID_Y_EN: 0
; COMPUTE_PGM_RSRC2:TGID_Z_EN: 0
; COMPUTE_PGM_RSRC2:TIDIG_COMP_CNT: 0
; COMPUTE_PGM_RSRC3_GFX90A:ACCUM_OFFSET: 14
; COMPUTE_PGM_RSRC3_GFX90A:TG_SPLIT: 0
	.section	.text._ZN7rocprim17ROCPRIM_400000_NS6detail17trampoline_kernelINS0_14default_configENS1_20scan_config_selectorIdEEZZNS1_9scan_implILNS1_25lookback_scan_determinismE0ELb0ELb0ES3_N6thrust23THRUST_200600_302600_NS6detail15normal_iteratorINS9_10device_ptrIdEEEESE_d11max_functorIdEdEEDaPvRmT3_T4_T5_mT6_P12ihipStream_tbENKUlT_T0_E_clISt17integral_constantIbLb0EEST_IbLb1EEEEDaSP_SQ_EUlSP_E_NS1_11comp_targetILNS1_3genE3ELNS1_11target_archE908ELNS1_3gpuE7ELNS1_3repE0EEENS1_30default_config_static_selectorELNS0_4arch9wavefront6targetE1EEEvT1_,"axG",@progbits,_ZN7rocprim17ROCPRIM_400000_NS6detail17trampoline_kernelINS0_14default_configENS1_20scan_config_selectorIdEEZZNS1_9scan_implILNS1_25lookback_scan_determinismE0ELb0ELb0ES3_N6thrust23THRUST_200600_302600_NS6detail15normal_iteratorINS9_10device_ptrIdEEEESE_d11max_functorIdEdEEDaPvRmT3_T4_T5_mT6_P12ihipStream_tbENKUlT_T0_E_clISt17integral_constantIbLb0EEST_IbLb1EEEEDaSP_SQ_EUlSP_E_NS1_11comp_targetILNS1_3genE3ELNS1_11target_archE908ELNS1_3gpuE7ELNS1_3repE0EEENS1_30default_config_static_selectorELNS0_4arch9wavefront6targetE1EEEvT1_,comdat
	.protected	_ZN7rocprim17ROCPRIM_400000_NS6detail17trampoline_kernelINS0_14default_configENS1_20scan_config_selectorIdEEZZNS1_9scan_implILNS1_25lookback_scan_determinismE0ELb0ELb0ES3_N6thrust23THRUST_200600_302600_NS6detail15normal_iteratorINS9_10device_ptrIdEEEESE_d11max_functorIdEdEEDaPvRmT3_T4_T5_mT6_P12ihipStream_tbENKUlT_T0_E_clISt17integral_constantIbLb0EEST_IbLb1EEEEDaSP_SQ_EUlSP_E_NS1_11comp_targetILNS1_3genE3ELNS1_11target_archE908ELNS1_3gpuE7ELNS1_3repE0EEENS1_30default_config_static_selectorELNS0_4arch9wavefront6targetE1EEEvT1_ ; -- Begin function _ZN7rocprim17ROCPRIM_400000_NS6detail17trampoline_kernelINS0_14default_configENS1_20scan_config_selectorIdEEZZNS1_9scan_implILNS1_25lookback_scan_determinismE0ELb0ELb0ES3_N6thrust23THRUST_200600_302600_NS6detail15normal_iteratorINS9_10device_ptrIdEEEESE_d11max_functorIdEdEEDaPvRmT3_T4_T5_mT6_P12ihipStream_tbENKUlT_T0_E_clISt17integral_constantIbLb0EEST_IbLb1EEEEDaSP_SQ_EUlSP_E_NS1_11comp_targetILNS1_3genE3ELNS1_11target_archE908ELNS1_3gpuE7ELNS1_3repE0EEENS1_30default_config_static_selectorELNS0_4arch9wavefront6targetE1EEEvT1_
	.globl	_ZN7rocprim17ROCPRIM_400000_NS6detail17trampoline_kernelINS0_14default_configENS1_20scan_config_selectorIdEEZZNS1_9scan_implILNS1_25lookback_scan_determinismE0ELb0ELb0ES3_N6thrust23THRUST_200600_302600_NS6detail15normal_iteratorINS9_10device_ptrIdEEEESE_d11max_functorIdEdEEDaPvRmT3_T4_T5_mT6_P12ihipStream_tbENKUlT_T0_E_clISt17integral_constantIbLb0EEST_IbLb1EEEEDaSP_SQ_EUlSP_E_NS1_11comp_targetILNS1_3genE3ELNS1_11target_archE908ELNS1_3gpuE7ELNS1_3repE0EEENS1_30default_config_static_selectorELNS0_4arch9wavefront6targetE1EEEvT1_
	.p2align	8
	.type	_ZN7rocprim17ROCPRIM_400000_NS6detail17trampoline_kernelINS0_14default_configENS1_20scan_config_selectorIdEEZZNS1_9scan_implILNS1_25lookback_scan_determinismE0ELb0ELb0ES3_N6thrust23THRUST_200600_302600_NS6detail15normal_iteratorINS9_10device_ptrIdEEEESE_d11max_functorIdEdEEDaPvRmT3_T4_T5_mT6_P12ihipStream_tbENKUlT_T0_E_clISt17integral_constantIbLb0EEST_IbLb1EEEEDaSP_SQ_EUlSP_E_NS1_11comp_targetILNS1_3genE3ELNS1_11target_archE908ELNS1_3gpuE7ELNS1_3repE0EEENS1_30default_config_static_selectorELNS0_4arch9wavefront6targetE1EEEvT1_,@function
_ZN7rocprim17ROCPRIM_400000_NS6detail17trampoline_kernelINS0_14default_configENS1_20scan_config_selectorIdEEZZNS1_9scan_implILNS1_25lookback_scan_determinismE0ELb0ELb0ES3_N6thrust23THRUST_200600_302600_NS6detail15normal_iteratorINS9_10device_ptrIdEEEESE_d11max_functorIdEdEEDaPvRmT3_T4_T5_mT6_P12ihipStream_tbENKUlT_T0_E_clISt17integral_constantIbLb0EEST_IbLb1EEEEDaSP_SQ_EUlSP_E_NS1_11comp_targetILNS1_3genE3ELNS1_11target_archE908ELNS1_3gpuE7ELNS1_3repE0EEENS1_30default_config_static_selectorELNS0_4arch9wavefront6targetE1EEEvT1_: ; @_ZN7rocprim17ROCPRIM_400000_NS6detail17trampoline_kernelINS0_14default_configENS1_20scan_config_selectorIdEEZZNS1_9scan_implILNS1_25lookback_scan_determinismE0ELb0ELb0ES3_N6thrust23THRUST_200600_302600_NS6detail15normal_iteratorINS9_10device_ptrIdEEEESE_d11max_functorIdEdEEDaPvRmT3_T4_T5_mT6_P12ihipStream_tbENKUlT_T0_E_clISt17integral_constantIbLb0EEST_IbLb1EEEEDaSP_SQ_EUlSP_E_NS1_11comp_targetILNS1_3genE3ELNS1_11target_archE908ELNS1_3gpuE7ELNS1_3repE0EEENS1_30default_config_static_selectorELNS0_4arch9wavefront6targetE1EEEvT1_
; %bb.0:
	.section	.rodata,"a",@progbits
	.p2align	6, 0x0
	.amdhsa_kernel _ZN7rocprim17ROCPRIM_400000_NS6detail17trampoline_kernelINS0_14default_configENS1_20scan_config_selectorIdEEZZNS1_9scan_implILNS1_25lookback_scan_determinismE0ELb0ELb0ES3_N6thrust23THRUST_200600_302600_NS6detail15normal_iteratorINS9_10device_ptrIdEEEESE_d11max_functorIdEdEEDaPvRmT3_T4_T5_mT6_P12ihipStream_tbENKUlT_T0_E_clISt17integral_constantIbLb0EEST_IbLb1EEEEDaSP_SQ_EUlSP_E_NS1_11comp_targetILNS1_3genE3ELNS1_11target_archE908ELNS1_3gpuE7ELNS1_3repE0EEENS1_30default_config_static_selectorELNS0_4arch9wavefront6targetE1EEEvT1_
		.amdhsa_group_segment_fixed_size 0
		.amdhsa_private_segment_fixed_size 0
		.amdhsa_kernarg_size 104
		.amdhsa_user_sgpr_count 6
		.amdhsa_user_sgpr_private_segment_buffer 1
		.amdhsa_user_sgpr_dispatch_ptr 0
		.amdhsa_user_sgpr_queue_ptr 0
		.amdhsa_user_sgpr_kernarg_segment_ptr 1
		.amdhsa_user_sgpr_dispatch_id 0
		.amdhsa_user_sgpr_flat_scratch_init 0
		.amdhsa_user_sgpr_kernarg_preload_length 0
		.amdhsa_user_sgpr_kernarg_preload_offset 0
		.amdhsa_user_sgpr_private_segment_size 0
		.amdhsa_uses_dynamic_stack 0
		.amdhsa_system_sgpr_private_segment_wavefront_offset 0
		.amdhsa_system_sgpr_workgroup_id_x 1
		.amdhsa_system_sgpr_workgroup_id_y 0
		.amdhsa_system_sgpr_workgroup_id_z 0
		.amdhsa_system_sgpr_workgroup_info 0
		.amdhsa_system_vgpr_workitem_id 0
		.amdhsa_next_free_vgpr 1
		.amdhsa_next_free_sgpr 0
		.amdhsa_accum_offset 4
		.amdhsa_reserve_vcc 0
		.amdhsa_reserve_flat_scratch 0
		.amdhsa_float_round_mode_32 0
		.amdhsa_float_round_mode_16_64 0
		.amdhsa_float_denorm_mode_32 3
		.amdhsa_float_denorm_mode_16_64 3
		.amdhsa_dx10_clamp 1
		.amdhsa_ieee_mode 1
		.amdhsa_fp16_overflow 0
		.amdhsa_tg_split 0
		.amdhsa_exception_fp_ieee_invalid_op 0
		.amdhsa_exception_fp_denorm_src 0
		.amdhsa_exception_fp_ieee_div_zero 0
		.amdhsa_exception_fp_ieee_overflow 0
		.amdhsa_exception_fp_ieee_underflow 0
		.amdhsa_exception_fp_ieee_inexact 0
		.amdhsa_exception_int_div_zero 0
	.end_amdhsa_kernel
	.section	.text._ZN7rocprim17ROCPRIM_400000_NS6detail17trampoline_kernelINS0_14default_configENS1_20scan_config_selectorIdEEZZNS1_9scan_implILNS1_25lookback_scan_determinismE0ELb0ELb0ES3_N6thrust23THRUST_200600_302600_NS6detail15normal_iteratorINS9_10device_ptrIdEEEESE_d11max_functorIdEdEEDaPvRmT3_T4_T5_mT6_P12ihipStream_tbENKUlT_T0_E_clISt17integral_constantIbLb0EEST_IbLb1EEEEDaSP_SQ_EUlSP_E_NS1_11comp_targetILNS1_3genE3ELNS1_11target_archE908ELNS1_3gpuE7ELNS1_3repE0EEENS1_30default_config_static_selectorELNS0_4arch9wavefront6targetE1EEEvT1_,"axG",@progbits,_ZN7rocprim17ROCPRIM_400000_NS6detail17trampoline_kernelINS0_14default_configENS1_20scan_config_selectorIdEEZZNS1_9scan_implILNS1_25lookback_scan_determinismE0ELb0ELb0ES3_N6thrust23THRUST_200600_302600_NS6detail15normal_iteratorINS9_10device_ptrIdEEEESE_d11max_functorIdEdEEDaPvRmT3_T4_T5_mT6_P12ihipStream_tbENKUlT_T0_E_clISt17integral_constantIbLb0EEST_IbLb1EEEEDaSP_SQ_EUlSP_E_NS1_11comp_targetILNS1_3genE3ELNS1_11target_archE908ELNS1_3gpuE7ELNS1_3repE0EEENS1_30default_config_static_selectorELNS0_4arch9wavefront6targetE1EEEvT1_,comdat
.Lfunc_end1856:
	.size	_ZN7rocprim17ROCPRIM_400000_NS6detail17trampoline_kernelINS0_14default_configENS1_20scan_config_selectorIdEEZZNS1_9scan_implILNS1_25lookback_scan_determinismE0ELb0ELb0ES3_N6thrust23THRUST_200600_302600_NS6detail15normal_iteratorINS9_10device_ptrIdEEEESE_d11max_functorIdEdEEDaPvRmT3_T4_T5_mT6_P12ihipStream_tbENKUlT_T0_E_clISt17integral_constantIbLb0EEST_IbLb1EEEEDaSP_SQ_EUlSP_E_NS1_11comp_targetILNS1_3genE3ELNS1_11target_archE908ELNS1_3gpuE7ELNS1_3repE0EEENS1_30default_config_static_selectorELNS0_4arch9wavefront6targetE1EEEvT1_, .Lfunc_end1856-_ZN7rocprim17ROCPRIM_400000_NS6detail17trampoline_kernelINS0_14default_configENS1_20scan_config_selectorIdEEZZNS1_9scan_implILNS1_25lookback_scan_determinismE0ELb0ELb0ES3_N6thrust23THRUST_200600_302600_NS6detail15normal_iteratorINS9_10device_ptrIdEEEESE_d11max_functorIdEdEEDaPvRmT3_T4_T5_mT6_P12ihipStream_tbENKUlT_T0_E_clISt17integral_constantIbLb0EEST_IbLb1EEEEDaSP_SQ_EUlSP_E_NS1_11comp_targetILNS1_3genE3ELNS1_11target_archE908ELNS1_3gpuE7ELNS1_3repE0EEENS1_30default_config_static_selectorELNS0_4arch9wavefront6targetE1EEEvT1_
                                        ; -- End function
	.section	.AMDGPU.csdata,"",@progbits
; Kernel info:
; codeLenInByte = 0
; NumSgprs: 4
; NumVgprs: 0
; NumAgprs: 0
; TotalNumVgprs: 0
; ScratchSize: 0
; MemoryBound: 0
; FloatMode: 240
; IeeeMode: 1
; LDSByteSize: 0 bytes/workgroup (compile time only)
; SGPRBlocks: 0
; VGPRBlocks: 0
; NumSGPRsForWavesPerEU: 4
; NumVGPRsForWavesPerEU: 1
; AccumOffset: 4
; Occupancy: 8
; WaveLimiterHint : 0
; COMPUTE_PGM_RSRC2:SCRATCH_EN: 0
; COMPUTE_PGM_RSRC2:USER_SGPR: 6
; COMPUTE_PGM_RSRC2:TRAP_HANDLER: 0
; COMPUTE_PGM_RSRC2:TGID_X_EN: 1
; COMPUTE_PGM_RSRC2:TGID_Y_EN: 0
; COMPUTE_PGM_RSRC2:TGID_Z_EN: 0
; COMPUTE_PGM_RSRC2:TIDIG_COMP_CNT: 0
; COMPUTE_PGM_RSRC3_GFX90A:ACCUM_OFFSET: 0
; COMPUTE_PGM_RSRC3_GFX90A:TG_SPLIT: 0
	.section	.text._ZN7rocprim17ROCPRIM_400000_NS6detail17trampoline_kernelINS0_14default_configENS1_20scan_config_selectorIdEEZZNS1_9scan_implILNS1_25lookback_scan_determinismE0ELb0ELb0ES3_N6thrust23THRUST_200600_302600_NS6detail15normal_iteratorINS9_10device_ptrIdEEEESE_d11max_functorIdEdEEDaPvRmT3_T4_T5_mT6_P12ihipStream_tbENKUlT_T0_E_clISt17integral_constantIbLb0EEST_IbLb1EEEEDaSP_SQ_EUlSP_E_NS1_11comp_targetILNS1_3genE2ELNS1_11target_archE906ELNS1_3gpuE6ELNS1_3repE0EEENS1_30default_config_static_selectorELNS0_4arch9wavefront6targetE1EEEvT1_,"axG",@progbits,_ZN7rocprim17ROCPRIM_400000_NS6detail17trampoline_kernelINS0_14default_configENS1_20scan_config_selectorIdEEZZNS1_9scan_implILNS1_25lookback_scan_determinismE0ELb0ELb0ES3_N6thrust23THRUST_200600_302600_NS6detail15normal_iteratorINS9_10device_ptrIdEEEESE_d11max_functorIdEdEEDaPvRmT3_T4_T5_mT6_P12ihipStream_tbENKUlT_T0_E_clISt17integral_constantIbLb0EEST_IbLb1EEEEDaSP_SQ_EUlSP_E_NS1_11comp_targetILNS1_3genE2ELNS1_11target_archE906ELNS1_3gpuE6ELNS1_3repE0EEENS1_30default_config_static_selectorELNS0_4arch9wavefront6targetE1EEEvT1_,comdat
	.protected	_ZN7rocprim17ROCPRIM_400000_NS6detail17trampoline_kernelINS0_14default_configENS1_20scan_config_selectorIdEEZZNS1_9scan_implILNS1_25lookback_scan_determinismE0ELb0ELb0ES3_N6thrust23THRUST_200600_302600_NS6detail15normal_iteratorINS9_10device_ptrIdEEEESE_d11max_functorIdEdEEDaPvRmT3_T4_T5_mT6_P12ihipStream_tbENKUlT_T0_E_clISt17integral_constantIbLb0EEST_IbLb1EEEEDaSP_SQ_EUlSP_E_NS1_11comp_targetILNS1_3genE2ELNS1_11target_archE906ELNS1_3gpuE6ELNS1_3repE0EEENS1_30default_config_static_selectorELNS0_4arch9wavefront6targetE1EEEvT1_ ; -- Begin function _ZN7rocprim17ROCPRIM_400000_NS6detail17trampoline_kernelINS0_14default_configENS1_20scan_config_selectorIdEEZZNS1_9scan_implILNS1_25lookback_scan_determinismE0ELb0ELb0ES3_N6thrust23THRUST_200600_302600_NS6detail15normal_iteratorINS9_10device_ptrIdEEEESE_d11max_functorIdEdEEDaPvRmT3_T4_T5_mT6_P12ihipStream_tbENKUlT_T0_E_clISt17integral_constantIbLb0EEST_IbLb1EEEEDaSP_SQ_EUlSP_E_NS1_11comp_targetILNS1_3genE2ELNS1_11target_archE906ELNS1_3gpuE6ELNS1_3repE0EEENS1_30default_config_static_selectorELNS0_4arch9wavefront6targetE1EEEvT1_
	.globl	_ZN7rocprim17ROCPRIM_400000_NS6detail17trampoline_kernelINS0_14default_configENS1_20scan_config_selectorIdEEZZNS1_9scan_implILNS1_25lookback_scan_determinismE0ELb0ELb0ES3_N6thrust23THRUST_200600_302600_NS6detail15normal_iteratorINS9_10device_ptrIdEEEESE_d11max_functorIdEdEEDaPvRmT3_T4_T5_mT6_P12ihipStream_tbENKUlT_T0_E_clISt17integral_constantIbLb0EEST_IbLb1EEEEDaSP_SQ_EUlSP_E_NS1_11comp_targetILNS1_3genE2ELNS1_11target_archE906ELNS1_3gpuE6ELNS1_3repE0EEENS1_30default_config_static_selectorELNS0_4arch9wavefront6targetE1EEEvT1_
	.p2align	8
	.type	_ZN7rocprim17ROCPRIM_400000_NS6detail17trampoline_kernelINS0_14default_configENS1_20scan_config_selectorIdEEZZNS1_9scan_implILNS1_25lookback_scan_determinismE0ELb0ELb0ES3_N6thrust23THRUST_200600_302600_NS6detail15normal_iteratorINS9_10device_ptrIdEEEESE_d11max_functorIdEdEEDaPvRmT3_T4_T5_mT6_P12ihipStream_tbENKUlT_T0_E_clISt17integral_constantIbLb0EEST_IbLb1EEEEDaSP_SQ_EUlSP_E_NS1_11comp_targetILNS1_3genE2ELNS1_11target_archE906ELNS1_3gpuE6ELNS1_3repE0EEENS1_30default_config_static_selectorELNS0_4arch9wavefront6targetE1EEEvT1_,@function
_ZN7rocprim17ROCPRIM_400000_NS6detail17trampoline_kernelINS0_14default_configENS1_20scan_config_selectorIdEEZZNS1_9scan_implILNS1_25lookback_scan_determinismE0ELb0ELb0ES3_N6thrust23THRUST_200600_302600_NS6detail15normal_iteratorINS9_10device_ptrIdEEEESE_d11max_functorIdEdEEDaPvRmT3_T4_T5_mT6_P12ihipStream_tbENKUlT_T0_E_clISt17integral_constantIbLb0EEST_IbLb1EEEEDaSP_SQ_EUlSP_E_NS1_11comp_targetILNS1_3genE2ELNS1_11target_archE906ELNS1_3gpuE6ELNS1_3repE0EEENS1_30default_config_static_selectorELNS0_4arch9wavefront6targetE1EEEvT1_: ; @_ZN7rocprim17ROCPRIM_400000_NS6detail17trampoline_kernelINS0_14default_configENS1_20scan_config_selectorIdEEZZNS1_9scan_implILNS1_25lookback_scan_determinismE0ELb0ELb0ES3_N6thrust23THRUST_200600_302600_NS6detail15normal_iteratorINS9_10device_ptrIdEEEESE_d11max_functorIdEdEEDaPvRmT3_T4_T5_mT6_P12ihipStream_tbENKUlT_T0_E_clISt17integral_constantIbLb0EEST_IbLb1EEEEDaSP_SQ_EUlSP_E_NS1_11comp_targetILNS1_3genE2ELNS1_11target_archE906ELNS1_3gpuE6ELNS1_3repE0EEENS1_30default_config_static_selectorELNS0_4arch9wavefront6targetE1EEEvT1_
; %bb.0:
	.section	.rodata,"a",@progbits
	.p2align	6, 0x0
	.amdhsa_kernel _ZN7rocprim17ROCPRIM_400000_NS6detail17trampoline_kernelINS0_14default_configENS1_20scan_config_selectorIdEEZZNS1_9scan_implILNS1_25lookback_scan_determinismE0ELb0ELb0ES3_N6thrust23THRUST_200600_302600_NS6detail15normal_iteratorINS9_10device_ptrIdEEEESE_d11max_functorIdEdEEDaPvRmT3_T4_T5_mT6_P12ihipStream_tbENKUlT_T0_E_clISt17integral_constantIbLb0EEST_IbLb1EEEEDaSP_SQ_EUlSP_E_NS1_11comp_targetILNS1_3genE2ELNS1_11target_archE906ELNS1_3gpuE6ELNS1_3repE0EEENS1_30default_config_static_selectorELNS0_4arch9wavefront6targetE1EEEvT1_
		.amdhsa_group_segment_fixed_size 0
		.amdhsa_private_segment_fixed_size 0
		.amdhsa_kernarg_size 104
		.amdhsa_user_sgpr_count 6
		.amdhsa_user_sgpr_private_segment_buffer 1
		.amdhsa_user_sgpr_dispatch_ptr 0
		.amdhsa_user_sgpr_queue_ptr 0
		.amdhsa_user_sgpr_kernarg_segment_ptr 1
		.amdhsa_user_sgpr_dispatch_id 0
		.amdhsa_user_sgpr_flat_scratch_init 0
		.amdhsa_user_sgpr_kernarg_preload_length 0
		.amdhsa_user_sgpr_kernarg_preload_offset 0
		.amdhsa_user_sgpr_private_segment_size 0
		.amdhsa_uses_dynamic_stack 0
		.amdhsa_system_sgpr_private_segment_wavefront_offset 0
		.amdhsa_system_sgpr_workgroup_id_x 1
		.amdhsa_system_sgpr_workgroup_id_y 0
		.amdhsa_system_sgpr_workgroup_id_z 0
		.amdhsa_system_sgpr_workgroup_info 0
		.amdhsa_system_vgpr_workitem_id 0
		.amdhsa_next_free_vgpr 1
		.amdhsa_next_free_sgpr 0
		.amdhsa_accum_offset 4
		.amdhsa_reserve_vcc 0
		.amdhsa_reserve_flat_scratch 0
		.amdhsa_float_round_mode_32 0
		.amdhsa_float_round_mode_16_64 0
		.amdhsa_float_denorm_mode_32 3
		.amdhsa_float_denorm_mode_16_64 3
		.amdhsa_dx10_clamp 1
		.amdhsa_ieee_mode 1
		.amdhsa_fp16_overflow 0
		.amdhsa_tg_split 0
		.amdhsa_exception_fp_ieee_invalid_op 0
		.amdhsa_exception_fp_denorm_src 0
		.amdhsa_exception_fp_ieee_div_zero 0
		.amdhsa_exception_fp_ieee_overflow 0
		.amdhsa_exception_fp_ieee_underflow 0
		.amdhsa_exception_fp_ieee_inexact 0
		.amdhsa_exception_int_div_zero 0
	.end_amdhsa_kernel
	.section	.text._ZN7rocprim17ROCPRIM_400000_NS6detail17trampoline_kernelINS0_14default_configENS1_20scan_config_selectorIdEEZZNS1_9scan_implILNS1_25lookback_scan_determinismE0ELb0ELb0ES3_N6thrust23THRUST_200600_302600_NS6detail15normal_iteratorINS9_10device_ptrIdEEEESE_d11max_functorIdEdEEDaPvRmT3_T4_T5_mT6_P12ihipStream_tbENKUlT_T0_E_clISt17integral_constantIbLb0EEST_IbLb1EEEEDaSP_SQ_EUlSP_E_NS1_11comp_targetILNS1_3genE2ELNS1_11target_archE906ELNS1_3gpuE6ELNS1_3repE0EEENS1_30default_config_static_selectorELNS0_4arch9wavefront6targetE1EEEvT1_,"axG",@progbits,_ZN7rocprim17ROCPRIM_400000_NS6detail17trampoline_kernelINS0_14default_configENS1_20scan_config_selectorIdEEZZNS1_9scan_implILNS1_25lookback_scan_determinismE0ELb0ELb0ES3_N6thrust23THRUST_200600_302600_NS6detail15normal_iteratorINS9_10device_ptrIdEEEESE_d11max_functorIdEdEEDaPvRmT3_T4_T5_mT6_P12ihipStream_tbENKUlT_T0_E_clISt17integral_constantIbLb0EEST_IbLb1EEEEDaSP_SQ_EUlSP_E_NS1_11comp_targetILNS1_3genE2ELNS1_11target_archE906ELNS1_3gpuE6ELNS1_3repE0EEENS1_30default_config_static_selectorELNS0_4arch9wavefront6targetE1EEEvT1_,comdat
.Lfunc_end1857:
	.size	_ZN7rocprim17ROCPRIM_400000_NS6detail17trampoline_kernelINS0_14default_configENS1_20scan_config_selectorIdEEZZNS1_9scan_implILNS1_25lookback_scan_determinismE0ELb0ELb0ES3_N6thrust23THRUST_200600_302600_NS6detail15normal_iteratorINS9_10device_ptrIdEEEESE_d11max_functorIdEdEEDaPvRmT3_T4_T5_mT6_P12ihipStream_tbENKUlT_T0_E_clISt17integral_constantIbLb0EEST_IbLb1EEEEDaSP_SQ_EUlSP_E_NS1_11comp_targetILNS1_3genE2ELNS1_11target_archE906ELNS1_3gpuE6ELNS1_3repE0EEENS1_30default_config_static_selectorELNS0_4arch9wavefront6targetE1EEEvT1_, .Lfunc_end1857-_ZN7rocprim17ROCPRIM_400000_NS6detail17trampoline_kernelINS0_14default_configENS1_20scan_config_selectorIdEEZZNS1_9scan_implILNS1_25lookback_scan_determinismE0ELb0ELb0ES3_N6thrust23THRUST_200600_302600_NS6detail15normal_iteratorINS9_10device_ptrIdEEEESE_d11max_functorIdEdEEDaPvRmT3_T4_T5_mT6_P12ihipStream_tbENKUlT_T0_E_clISt17integral_constantIbLb0EEST_IbLb1EEEEDaSP_SQ_EUlSP_E_NS1_11comp_targetILNS1_3genE2ELNS1_11target_archE906ELNS1_3gpuE6ELNS1_3repE0EEENS1_30default_config_static_selectorELNS0_4arch9wavefront6targetE1EEEvT1_
                                        ; -- End function
	.section	.AMDGPU.csdata,"",@progbits
; Kernel info:
; codeLenInByte = 0
; NumSgprs: 4
; NumVgprs: 0
; NumAgprs: 0
; TotalNumVgprs: 0
; ScratchSize: 0
; MemoryBound: 0
; FloatMode: 240
; IeeeMode: 1
; LDSByteSize: 0 bytes/workgroup (compile time only)
; SGPRBlocks: 0
; VGPRBlocks: 0
; NumSGPRsForWavesPerEU: 4
; NumVGPRsForWavesPerEU: 1
; AccumOffset: 4
; Occupancy: 8
; WaveLimiterHint : 0
; COMPUTE_PGM_RSRC2:SCRATCH_EN: 0
; COMPUTE_PGM_RSRC2:USER_SGPR: 6
; COMPUTE_PGM_RSRC2:TRAP_HANDLER: 0
; COMPUTE_PGM_RSRC2:TGID_X_EN: 1
; COMPUTE_PGM_RSRC2:TGID_Y_EN: 0
; COMPUTE_PGM_RSRC2:TGID_Z_EN: 0
; COMPUTE_PGM_RSRC2:TIDIG_COMP_CNT: 0
; COMPUTE_PGM_RSRC3_GFX90A:ACCUM_OFFSET: 0
; COMPUTE_PGM_RSRC3_GFX90A:TG_SPLIT: 0
	.section	.text._ZN7rocprim17ROCPRIM_400000_NS6detail17trampoline_kernelINS0_14default_configENS1_20scan_config_selectorIdEEZZNS1_9scan_implILNS1_25lookback_scan_determinismE0ELb0ELb0ES3_N6thrust23THRUST_200600_302600_NS6detail15normal_iteratorINS9_10device_ptrIdEEEESE_d11max_functorIdEdEEDaPvRmT3_T4_T5_mT6_P12ihipStream_tbENKUlT_T0_E_clISt17integral_constantIbLb0EEST_IbLb1EEEEDaSP_SQ_EUlSP_E_NS1_11comp_targetILNS1_3genE10ELNS1_11target_archE1201ELNS1_3gpuE5ELNS1_3repE0EEENS1_30default_config_static_selectorELNS0_4arch9wavefront6targetE1EEEvT1_,"axG",@progbits,_ZN7rocprim17ROCPRIM_400000_NS6detail17trampoline_kernelINS0_14default_configENS1_20scan_config_selectorIdEEZZNS1_9scan_implILNS1_25lookback_scan_determinismE0ELb0ELb0ES3_N6thrust23THRUST_200600_302600_NS6detail15normal_iteratorINS9_10device_ptrIdEEEESE_d11max_functorIdEdEEDaPvRmT3_T4_T5_mT6_P12ihipStream_tbENKUlT_T0_E_clISt17integral_constantIbLb0EEST_IbLb1EEEEDaSP_SQ_EUlSP_E_NS1_11comp_targetILNS1_3genE10ELNS1_11target_archE1201ELNS1_3gpuE5ELNS1_3repE0EEENS1_30default_config_static_selectorELNS0_4arch9wavefront6targetE1EEEvT1_,comdat
	.protected	_ZN7rocprim17ROCPRIM_400000_NS6detail17trampoline_kernelINS0_14default_configENS1_20scan_config_selectorIdEEZZNS1_9scan_implILNS1_25lookback_scan_determinismE0ELb0ELb0ES3_N6thrust23THRUST_200600_302600_NS6detail15normal_iteratorINS9_10device_ptrIdEEEESE_d11max_functorIdEdEEDaPvRmT3_T4_T5_mT6_P12ihipStream_tbENKUlT_T0_E_clISt17integral_constantIbLb0EEST_IbLb1EEEEDaSP_SQ_EUlSP_E_NS1_11comp_targetILNS1_3genE10ELNS1_11target_archE1201ELNS1_3gpuE5ELNS1_3repE0EEENS1_30default_config_static_selectorELNS0_4arch9wavefront6targetE1EEEvT1_ ; -- Begin function _ZN7rocprim17ROCPRIM_400000_NS6detail17trampoline_kernelINS0_14default_configENS1_20scan_config_selectorIdEEZZNS1_9scan_implILNS1_25lookback_scan_determinismE0ELb0ELb0ES3_N6thrust23THRUST_200600_302600_NS6detail15normal_iteratorINS9_10device_ptrIdEEEESE_d11max_functorIdEdEEDaPvRmT3_T4_T5_mT6_P12ihipStream_tbENKUlT_T0_E_clISt17integral_constantIbLb0EEST_IbLb1EEEEDaSP_SQ_EUlSP_E_NS1_11comp_targetILNS1_3genE10ELNS1_11target_archE1201ELNS1_3gpuE5ELNS1_3repE0EEENS1_30default_config_static_selectorELNS0_4arch9wavefront6targetE1EEEvT1_
	.globl	_ZN7rocprim17ROCPRIM_400000_NS6detail17trampoline_kernelINS0_14default_configENS1_20scan_config_selectorIdEEZZNS1_9scan_implILNS1_25lookback_scan_determinismE0ELb0ELb0ES3_N6thrust23THRUST_200600_302600_NS6detail15normal_iteratorINS9_10device_ptrIdEEEESE_d11max_functorIdEdEEDaPvRmT3_T4_T5_mT6_P12ihipStream_tbENKUlT_T0_E_clISt17integral_constantIbLb0EEST_IbLb1EEEEDaSP_SQ_EUlSP_E_NS1_11comp_targetILNS1_3genE10ELNS1_11target_archE1201ELNS1_3gpuE5ELNS1_3repE0EEENS1_30default_config_static_selectorELNS0_4arch9wavefront6targetE1EEEvT1_
	.p2align	8
	.type	_ZN7rocprim17ROCPRIM_400000_NS6detail17trampoline_kernelINS0_14default_configENS1_20scan_config_selectorIdEEZZNS1_9scan_implILNS1_25lookback_scan_determinismE0ELb0ELb0ES3_N6thrust23THRUST_200600_302600_NS6detail15normal_iteratorINS9_10device_ptrIdEEEESE_d11max_functorIdEdEEDaPvRmT3_T4_T5_mT6_P12ihipStream_tbENKUlT_T0_E_clISt17integral_constantIbLb0EEST_IbLb1EEEEDaSP_SQ_EUlSP_E_NS1_11comp_targetILNS1_3genE10ELNS1_11target_archE1201ELNS1_3gpuE5ELNS1_3repE0EEENS1_30default_config_static_selectorELNS0_4arch9wavefront6targetE1EEEvT1_,@function
_ZN7rocprim17ROCPRIM_400000_NS6detail17trampoline_kernelINS0_14default_configENS1_20scan_config_selectorIdEEZZNS1_9scan_implILNS1_25lookback_scan_determinismE0ELb0ELb0ES3_N6thrust23THRUST_200600_302600_NS6detail15normal_iteratorINS9_10device_ptrIdEEEESE_d11max_functorIdEdEEDaPvRmT3_T4_T5_mT6_P12ihipStream_tbENKUlT_T0_E_clISt17integral_constantIbLb0EEST_IbLb1EEEEDaSP_SQ_EUlSP_E_NS1_11comp_targetILNS1_3genE10ELNS1_11target_archE1201ELNS1_3gpuE5ELNS1_3repE0EEENS1_30default_config_static_selectorELNS0_4arch9wavefront6targetE1EEEvT1_: ; @_ZN7rocprim17ROCPRIM_400000_NS6detail17trampoline_kernelINS0_14default_configENS1_20scan_config_selectorIdEEZZNS1_9scan_implILNS1_25lookback_scan_determinismE0ELb0ELb0ES3_N6thrust23THRUST_200600_302600_NS6detail15normal_iteratorINS9_10device_ptrIdEEEESE_d11max_functorIdEdEEDaPvRmT3_T4_T5_mT6_P12ihipStream_tbENKUlT_T0_E_clISt17integral_constantIbLb0EEST_IbLb1EEEEDaSP_SQ_EUlSP_E_NS1_11comp_targetILNS1_3genE10ELNS1_11target_archE1201ELNS1_3gpuE5ELNS1_3repE0EEENS1_30default_config_static_selectorELNS0_4arch9wavefront6targetE1EEEvT1_
; %bb.0:
	.section	.rodata,"a",@progbits
	.p2align	6, 0x0
	.amdhsa_kernel _ZN7rocprim17ROCPRIM_400000_NS6detail17trampoline_kernelINS0_14default_configENS1_20scan_config_selectorIdEEZZNS1_9scan_implILNS1_25lookback_scan_determinismE0ELb0ELb0ES3_N6thrust23THRUST_200600_302600_NS6detail15normal_iteratorINS9_10device_ptrIdEEEESE_d11max_functorIdEdEEDaPvRmT3_T4_T5_mT6_P12ihipStream_tbENKUlT_T0_E_clISt17integral_constantIbLb0EEST_IbLb1EEEEDaSP_SQ_EUlSP_E_NS1_11comp_targetILNS1_3genE10ELNS1_11target_archE1201ELNS1_3gpuE5ELNS1_3repE0EEENS1_30default_config_static_selectorELNS0_4arch9wavefront6targetE1EEEvT1_
		.amdhsa_group_segment_fixed_size 0
		.amdhsa_private_segment_fixed_size 0
		.amdhsa_kernarg_size 104
		.amdhsa_user_sgpr_count 6
		.amdhsa_user_sgpr_private_segment_buffer 1
		.amdhsa_user_sgpr_dispatch_ptr 0
		.amdhsa_user_sgpr_queue_ptr 0
		.amdhsa_user_sgpr_kernarg_segment_ptr 1
		.amdhsa_user_sgpr_dispatch_id 0
		.amdhsa_user_sgpr_flat_scratch_init 0
		.amdhsa_user_sgpr_kernarg_preload_length 0
		.amdhsa_user_sgpr_kernarg_preload_offset 0
		.amdhsa_user_sgpr_private_segment_size 0
		.amdhsa_uses_dynamic_stack 0
		.amdhsa_system_sgpr_private_segment_wavefront_offset 0
		.amdhsa_system_sgpr_workgroup_id_x 1
		.amdhsa_system_sgpr_workgroup_id_y 0
		.amdhsa_system_sgpr_workgroup_id_z 0
		.amdhsa_system_sgpr_workgroup_info 0
		.amdhsa_system_vgpr_workitem_id 0
		.amdhsa_next_free_vgpr 1
		.amdhsa_next_free_sgpr 0
		.amdhsa_accum_offset 4
		.amdhsa_reserve_vcc 0
		.amdhsa_reserve_flat_scratch 0
		.amdhsa_float_round_mode_32 0
		.amdhsa_float_round_mode_16_64 0
		.amdhsa_float_denorm_mode_32 3
		.amdhsa_float_denorm_mode_16_64 3
		.amdhsa_dx10_clamp 1
		.amdhsa_ieee_mode 1
		.amdhsa_fp16_overflow 0
		.amdhsa_tg_split 0
		.amdhsa_exception_fp_ieee_invalid_op 0
		.amdhsa_exception_fp_denorm_src 0
		.amdhsa_exception_fp_ieee_div_zero 0
		.amdhsa_exception_fp_ieee_overflow 0
		.amdhsa_exception_fp_ieee_underflow 0
		.amdhsa_exception_fp_ieee_inexact 0
		.amdhsa_exception_int_div_zero 0
	.end_amdhsa_kernel
	.section	.text._ZN7rocprim17ROCPRIM_400000_NS6detail17trampoline_kernelINS0_14default_configENS1_20scan_config_selectorIdEEZZNS1_9scan_implILNS1_25lookback_scan_determinismE0ELb0ELb0ES3_N6thrust23THRUST_200600_302600_NS6detail15normal_iteratorINS9_10device_ptrIdEEEESE_d11max_functorIdEdEEDaPvRmT3_T4_T5_mT6_P12ihipStream_tbENKUlT_T0_E_clISt17integral_constantIbLb0EEST_IbLb1EEEEDaSP_SQ_EUlSP_E_NS1_11comp_targetILNS1_3genE10ELNS1_11target_archE1201ELNS1_3gpuE5ELNS1_3repE0EEENS1_30default_config_static_selectorELNS0_4arch9wavefront6targetE1EEEvT1_,"axG",@progbits,_ZN7rocprim17ROCPRIM_400000_NS6detail17trampoline_kernelINS0_14default_configENS1_20scan_config_selectorIdEEZZNS1_9scan_implILNS1_25lookback_scan_determinismE0ELb0ELb0ES3_N6thrust23THRUST_200600_302600_NS6detail15normal_iteratorINS9_10device_ptrIdEEEESE_d11max_functorIdEdEEDaPvRmT3_T4_T5_mT6_P12ihipStream_tbENKUlT_T0_E_clISt17integral_constantIbLb0EEST_IbLb1EEEEDaSP_SQ_EUlSP_E_NS1_11comp_targetILNS1_3genE10ELNS1_11target_archE1201ELNS1_3gpuE5ELNS1_3repE0EEENS1_30default_config_static_selectorELNS0_4arch9wavefront6targetE1EEEvT1_,comdat
.Lfunc_end1858:
	.size	_ZN7rocprim17ROCPRIM_400000_NS6detail17trampoline_kernelINS0_14default_configENS1_20scan_config_selectorIdEEZZNS1_9scan_implILNS1_25lookback_scan_determinismE0ELb0ELb0ES3_N6thrust23THRUST_200600_302600_NS6detail15normal_iteratorINS9_10device_ptrIdEEEESE_d11max_functorIdEdEEDaPvRmT3_T4_T5_mT6_P12ihipStream_tbENKUlT_T0_E_clISt17integral_constantIbLb0EEST_IbLb1EEEEDaSP_SQ_EUlSP_E_NS1_11comp_targetILNS1_3genE10ELNS1_11target_archE1201ELNS1_3gpuE5ELNS1_3repE0EEENS1_30default_config_static_selectorELNS0_4arch9wavefront6targetE1EEEvT1_, .Lfunc_end1858-_ZN7rocprim17ROCPRIM_400000_NS6detail17trampoline_kernelINS0_14default_configENS1_20scan_config_selectorIdEEZZNS1_9scan_implILNS1_25lookback_scan_determinismE0ELb0ELb0ES3_N6thrust23THRUST_200600_302600_NS6detail15normal_iteratorINS9_10device_ptrIdEEEESE_d11max_functorIdEdEEDaPvRmT3_T4_T5_mT6_P12ihipStream_tbENKUlT_T0_E_clISt17integral_constantIbLb0EEST_IbLb1EEEEDaSP_SQ_EUlSP_E_NS1_11comp_targetILNS1_3genE10ELNS1_11target_archE1201ELNS1_3gpuE5ELNS1_3repE0EEENS1_30default_config_static_selectorELNS0_4arch9wavefront6targetE1EEEvT1_
                                        ; -- End function
	.section	.AMDGPU.csdata,"",@progbits
; Kernel info:
; codeLenInByte = 0
; NumSgprs: 4
; NumVgprs: 0
; NumAgprs: 0
; TotalNumVgprs: 0
; ScratchSize: 0
; MemoryBound: 0
; FloatMode: 240
; IeeeMode: 1
; LDSByteSize: 0 bytes/workgroup (compile time only)
; SGPRBlocks: 0
; VGPRBlocks: 0
; NumSGPRsForWavesPerEU: 4
; NumVGPRsForWavesPerEU: 1
; AccumOffset: 4
; Occupancy: 8
; WaveLimiterHint : 0
; COMPUTE_PGM_RSRC2:SCRATCH_EN: 0
; COMPUTE_PGM_RSRC2:USER_SGPR: 6
; COMPUTE_PGM_RSRC2:TRAP_HANDLER: 0
; COMPUTE_PGM_RSRC2:TGID_X_EN: 1
; COMPUTE_PGM_RSRC2:TGID_Y_EN: 0
; COMPUTE_PGM_RSRC2:TGID_Z_EN: 0
; COMPUTE_PGM_RSRC2:TIDIG_COMP_CNT: 0
; COMPUTE_PGM_RSRC3_GFX90A:ACCUM_OFFSET: 0
; COMPUTE_PGM_RSRC3_GFX90A:TG_SPLIT: 0
	.section	.text._ZN7rocprim17ROCPRIM_400000_NS6detail17trampoline_kernelINS0_14default_configENS1_20scan_config_selectorIdEEZZNS1_9scan_implILNS1_25lookback_scan_determinismE0ELb0ELb0ES3_N6thrust23THRUST_200600_302600_NS6detail15normal_iteratorINS9_10device_ptrIdEEEESE_d11max_functorIdEdEEDaPvRmT3_T4_T5_mT6_P12ihipStream_tbENKUlT_T0_E_clISt17integral_constantIbLb0EEST_IbLb1EEEEDaSP_SQ_EUlSP_E_NS1_11comp_targetILNS1_3genE10ELNS1_11target_archE1200ELNS1_3gpuE4ELNS1_3repE0EEENS1_30default_config_static_selectorELNS0_4arch9wavefront6targetE1EEEvT1_,"axG",@progbits,_ZN7rocprim17ROCPRIM_400000_NS6detail17trampoline_kernelINS0_14default_configENS1_20scan_config_selectorIdEEZZNS1_9scan_implILNS1_25lookback_scan_determinismE0ELb0ELb0ES3_N6thrust23THRUST_200600_302600_NS6detail15normal_iteratorINS9_10device_ptrIdEEEESE_d11max_functorIdEdEEDaPvRmT3_T4_T5_mT6_P12ihipStream_tbENKUlT_T0_E_clISt17integral_constantIbLb0EEST_IbLb1EEEEDaSP_SQ_EUlSP_E_NS1_11comp_targetILNS1_3genE10ELNS1_11target_archE1200ELNS1_3gpuE4ELNS1_3repE0EEENS1_30default_config_static_selectorELNS0_4arch9wavefront6targetE1EEEvT1_,comdat
	.protected	_ZN7rocprim17ROCPRIM_400000_NS6detail17trampoline_kernelINS0_14default_configENS1_20scan_config_selectorIdEEZZNS1_9scan_implILNS1_25lookback_scan_determinismE0ELb0ELb0ES3_N6thrust23THRUST_200600_302600_NS6detail15normal_iteratorINS9_10device_ptrIdEEEESE_d11max_functorIdEdEEDaPvRmT3_T4_T5_mT6_P12ihipStream_tbENKUlT_T0_E_clISt17integral_constantIbLb0EEST_IbLb1EEEEDaSP_SQ_EUlSP_E_NS1_11comp_targetILNS1_3genE10ELNS1_11target_archE1200ELNS1_3gpuE4ELNS1_3repE0EEENS1_30default_config_static_selectorELNS0_4arch9wavefront6targetE1EEEvT1_ ; -- Begin function _ZN7rocprim17ROCPRIM_400000_NS6detail17trampoline_kernelINS0_14default_configENS1_20scan_config_selectorIdEEZZNS1_9scan_implILNS1_25lookback_scan_determinismE0ELb0ELb0ES3_N6thrust23THRUST_200600_302600_NS6detail15normal_iteratorINS9_10device_ptrIdEEEESE_d11max_functorIdEdEEDaPvRmT3_T4_T5_mT6_P12ihipStream_tbENKUlT_T0_E_clISt17integral_constantIbLb0EEST_IbLb1EEEEDaSP_SQ_EUlSP_E_NS1_11comp_targetILNS1_3genE10ELNS1_11target_archE1200ELNS1_3gpuE4ELNS1_3repE0EEENS1_30default_config_static_selectorELNS0_4arch9wavefront6targetE1EEEvT1_
	.globl	_ZN7rocprim17ROCPRIM_400000_NS6detail17trampoline_kernelINS0_14default_configENS1_20scan_config_selectorIdEEZZNS1_9scan_implILNS1_25lookback_scan_determinismE0ELb0ELb0ES3_N6thrust23THRUST_200600_302600_NS6detail15normal_iteratorINS9_10device_ptrIdEEEESE_d11max_functorIdEdEEDaPvRmT3_T4_T5_mT6_P12ihipStream_tbENKUlT_T0_E_clISt17integral_constantIbLb0EEST_IbLb1EEEEDaSP_SQ_EUlSP_E_NS1_11comp_targetILNS1_3genE10ELNS1_11target_archE1200ELNS1_3gpuE4ELNS1_3repE0EEENS1_30default_config_static_selectorELNS0_4arch9wavefront6targetE1EEEvT1_
	.p2align	8
	.type	_ZN7rocprim17ROCPRIM_400000_NS6detail17trampoline_kernelINS0_14default_configENS1_20scan_config_selectorIdEEZZNS1_9scan_implILNS1_25lookback_scan_determinismE0ELb0ELb0ES3_N6thrust23THRUST_200600_302600_NS6detail15normal_iteratorINS9_10device_ptrIdEEEESE_d11max_functorIdEdEEDaPvRmT3_T4_T5_mT6_P12ihipStream_tbENKUlT_T0_E_clISt17integral_constantIbLb0EEST_IbLb1EEEEDaSP_SQ_EUlSP_E_NS1_11comp_targetILNS1_3genE10ELNS1_11target_archE1200ELNS1_3gpuE4ELNS1_3repE0EEENS1_30default_config_static_selectorELNS0_4arch9wavefront6targetE1EEEvT1_,@function
_ZN7rocprim17ROCPRIM_400000_NS6detail17trampoline_kernelINS0_14default_configENS1_20scan_config_selectorIdEEZZNS1_9scan_implILNS1_25lookback_scan_determinismE0ELb0ELb0ES3_N6thrust23THRUST_200600_302600_NS6detail15normal_iteratorINS9_10device_ptrIdEEEESE_d11max_functorIdEdEEDaPvRmT3_T4_T5_mT6_P12ihipStream_tbENKUlT_T0_E_clISt17integral_constantIbLb0EEST_IbLb1EEEEDaSP_SQ_EUlSP_E_NS1_11comp_targetILNS1_3genE10ELNS1_11target_archE1200ELNS1_3gpuE4ELNS1_3repE0EEENS1_30default_config_static_selectorELNS0_4arch9wavefront6targetE1EEEvT1_: ; @_ZN7rocprim17ROCPRIM_400000_NS6detail17trampoline_kernelINS0_14default_configENS1_20scan_config_selectorIdEEZZNS1_9scan_implILNS1_25lookback_scan_determinismE0ELb0ELb0ES3_N6thrust23THRUST_200600_302600_NS6detail15normal_iteratorINS9_10device_ptrIdEEEESE_d11max_functorIdEdEEDaPvRmT3_T4_T5_mT6_P12ihipStream_tbENKUlT_T0_E_clISt17integral_constantIbLb0EEST_IbLb1EEEEDaSP_SQ_EUlSP_E_NS1_11comp_targetILNS1_3genE10ELNS1_11target_archE1200ELNS1_3gpuE4ELNS1_3repE0EEENS1_30default_config_static_selectorELNS0_4arch9wavefront6targetE1EEEvT1_
; %bb.0:
	.section	.rodata,"a",@progbits
	.p2align	6, 0x0
	.amdhsa_kernel _ZN7rocprim17ROCPRIM_400000_NS6detail17trampoline_kernelINS0_14default_configENS1_20scan_config_selectorIdEEZZNS1_9scan_implILNS1_25lookback_scan_determinismE0ELb0ELb0ES3_N6thrust23THRUST_200600_302600_NS6detail15normal_iteratorINS9_10device_ptrIdEEEESE_d11max_functorIdEdEEDaPvRmT3_T4_T5_mT6_P12ihipStream_tbENKUlT_T0_E_clISt17integral_constantIbLb0EEST_IbLb1EEEEDaSP_SQ_EUlSP_E_NS1_11comp_targetILNS1_3genE10ELNS1_11target_archE1200ELNS1_3gpuE4ELNS1_3repE0EEENS1_30default_config_static_selectorELNS0_4arch9wavefront6targetE1EEEvT1_
		.amdhsa_group_segment_fixed_size 0
		.amdhsa_private_segment_fixed_size 0
		.amdhsa_kernarg_size 104
		.amdhsa_user_sgpr_count 6
		.amdhsa_user_sgpr_private_segment_buffer 1
		.amdhsa_user_sgpr_dispatch_ptr 0
		.amdhsa_user_sgpr_queue_ptr 0
		.amdhsa_user_sgpr_kernarg_segment_ptr 1
		.amdhsa_user_sgpr_dispatch_id 0
		.amdhsa_user_sgpr_flat_scratch_init 0
		.amdhsa_user_sgpr_kernarg_preload_length 0
		.amdhsa_user_sgpr_kernarg_preload_offset 0
		.amdhsa_user_sgpr_private_segment_size 0
		.amdhsa_uses_dynamic_stack 0
		.amdhsa_system_sgpr_private_segment_wavefront_offset 0
		.amdhsa_system_sgpr_workgroup_id_x 1
		.amdhsa_system_sgpr_workgroup_id_y 0
		.amdhsa_system_sgpr_workgroup_id_z 0
		.amdhsa_system_sgpr_workgroup_info 0
		.amdhsa_system_vgpr_workitem_id 0
		.amdhsa_next_free_vgpr 1
		.amdhsa_next_free_sgpr 0
		.amdhsa_accum_offset 4
		.amdhsa_reserve_vcc 0
		.amdhsa_reserve_flat_scratch 0
		.amdhsa_float_round_mode_32 0
		.amdhsa_float_round_mode_16_64 0
		.amdhsa_float_denorm_mode_32 3
		.amdhsa_float_denorm_mode_16_64 3
		.amdhsa_dx10_clamp 1
		.amdhsa_ieee_mode 1
		.amdhsa_fp16_overflow 0
		.amdhsa_tg_split 0
		.amdhsa_exception_fp_ieee_invalid_op 0
		.amdhsa_exception_fp_denorm_src 0
		.amdhsa_exception_fp_ieee_div_zero 0
		.amdhsa_exception_fp_ieee_overflow 0
		.amdhsa_exception_fp_ieee_underflow 0
		.amdhsa_exception_fp_ieee_inexact 0
		.amdhsa_exception_int_div_zero 0
	.end_amdhsa_kernel
	.section	.text._ZN7rocprim17ROCPRIM_400000_NS6detail17trampoline_kernelINS0_14default_configENS1_20scan_config_selectorIdEEZZNS1_9scan_implILNS1_25lookback_scan_determinismE0ELb0ELb0ES3_N6thrust23THRUST_200600_302600_NS6detail15normal_iteratorINS9_10device_ptrIdEEEESE_d11max_functorIdEdEEDaPvRmT3_T4_T5_mT6_P12ihipStream_tbENKUlT_T0_E_clISt17integral_constantIbLb0EEST_IbLb1EEEEDaSP_SQ_EUlSP_E_NS1_11comp_targetILNS1_3genE10ELNS1_11target_archE1200ELNS1_3gpuE4ELNS1_3repE0EEENS1_30default_config_static_selectorELNS0_4arch9wavefront6targetE1EEEvT1_,"axG",@progbits,_ZN7rocprim17ROCPRIM_400000_NS6detail17trampoline_kernelINS0_14default_configENS1_20scan_config_selectorIdEEZZNS1_9scan_implILNS1_25lookback_scan_determinismE0ELb0ELb0ES3_N6thrust23THRUST_200600_302600_NS6detail15normal_iteratorINS9_10device_ptrIdEEEESE_d11max_functorIdEdEEDaPvRmT3_T4_T5_mT6_P12ihipStream_tbENKUlT_T0_E_clISt17integral_constantIbLb0EEST_IbLb1EEEEDaSP_SQ_EUlSP_E_NS1_11comp_targetILNS1_3genE10ELNS1_11target_archE1200ELNS1_3gpuE4ELNS1_3repE0EEENS1_30default_config_static_selectorELNS0_4arch9wavefront6targetE1EEEvT1_,comdat
.Lfunc_end1859:
	.size	_ZN7rocprim17ROCPRIM_400000_NS6detail17trampoline_kernelINS0_14default_configENS1_20scan_config_selectorIdEEZZNS1_9scan_implILNS1_25lookback_scan_determinismE0ELb0ELb0ES3_N6thrust23THRUST_200600_302600_NS6detail15normal_iteratorINS9_10device_ptrIdEEEESE_d11max_functorIdEdEEDaPvRmT3_T4_T5_mT6_P12ihipStream_tbENKUlT_T0_E_clISt17integral_constantIbLb0EEST_IbLb1EEEEDaSP_SQ_EUlSP_E_NS1_11comp_targetILNS1_3genE10ELNS1_11target_archE1200ELNS1_3gpuE4ELNS1_3repE0EEENS1_30default_config_static_selectorELNS0_4arch9wavefront6targetE1EEEvT1_, .Lfunc_end1859-_ZN7rocprim17ROCPRIM_400000_NS6detail17trampoline_kernelINS0_14default_configENS1_20scan_config_selectorIdEEZZNS1_9scan_implILNS1_25lookback_scan_determinismE0ELb0ELb0ES3_N6thrust23THRUST_200600_302600_NS6detail15normal_iteratorINS9_10device_ptrIdEEEESE_d11max_functorIdEdEEDaPvRmT3_T4_T5_mT6_P12ihipStream_tbENKUlT_T0_E_clISt17integral_constantIbLb0EEST_IbLb1EEEEDaSP_SQ_EUlSP_E_NS1_11comp_targetILNS1_3genE10ELNS1_11target_archE1200ELNS1_3gpuE4ELNS1_3repE0EEENS1_30default_config_static_selectorELNS0_4arch9wavefront6targetE1EEEvT1_
                                        ; -- End function
	.section	.AMDGPU.csdata,"",@progbits
; Kernel info:
; codeLenInByte = 0
; NumSgprs: 4
; NumVgprs: 0
; NumAgprs: 0
; TotalNumVgprs: 0
; ScratchSize: 0
; MemoryBound: 0
; FloatMode: 240
; IeeeMode: 1
; LDSByteSize: 0 bytes/workgroup (compile time only)
; SGPRBlocks: 0
; VGPRBlocks: 0
; NumSGPRsForWavesPerEU: 4
; NumVGPRsForWavesPerEU: 1
; AccumOffset: 4
; Occupancy: 8
; WaveLimiterHint : 0
; COMPUTE_PGM_RSRC2:SCRATCH_EN: 0
; COMPUTE_PGM_RSRC2:USER_SGPR: 6
; COMPUTE_PGM_RSRC2:TRAP_HANDLER: 0
; COMPUTE_PGM_RSRC2:TGID_X_EN: 1
; COMPUTE_PGM_RSRC2:TGID_Y_EN: 0
; COMPUTE_PGM_RSRC2:TGID_Z_EN: 0
; COMPUTE_PGM_RSRC2:TIDIG_COMP_CNT: 0
; COMPUTE_PGM_RSRC3_GFX90A:ACCUM_OFFSET: 0
; COMPUTE_PGM_RSRC3_GFX90A:TG_SPLIT: 0
	.section	.text._ZN7rocprim17ROCPRIM_400000_NS6detail17trampoline_kernelINS0_14default_configENS1_20scan_config_selectorIdEEZZNS1_9scan_implILNS1_25lookback_scan_determinismE0ELb0ELb0ES3_N6thrust23THRUST_200600_302600_NS6detail15normal_iteratorINS9_10device_ptrIdEEEESE_d11max_functorIdEdEEDaPvRmT3_T4_T5_mT6_P12ihipStream_tbENKUlT_T0_E_clISt17integral_constantIbLb0EEST_IbLb1EEEEDaSP_SQ_EUlSP_E_NS1_11comp_targetILNS1_3genE9ELNS1_11target_archE1100ELNS1_3gpuE3ELNS1_3repE0EEENS1_30default_config_static_selectorELNS0_4arch9wavefront6targetE1EEEvT1_,"axG",@progbits,_ZN7rocprim17ROCPRIM_400000_NS6detail17trampoline_kernelINS0_14default_configENS1_20scan_config_selectorIdEEZZNS1_9scan_implILNS1_25lookback_scan_determinismE0ELb0ELb0ES3_N6thrust23THRUST_200600_302600_NS6detail15normal_iteratorINS9_10device_ptrIdEEEESE_d11max_functorIdEdEEDaPvRmT3_T4_T5_mT6_P12ihipStream_tbENKUlT_T0_E_clISt17integral_constantIbLb0EEST_IbLb1EEEEDaSP_SQ_EUlSP_E_NS1_11comp_targetILNS1_3genE9ELNS1_11target_archE1100ELNS1_3gpuE3ELNS1_3repE0EEENS1_30default_config_static_selectorELNS0_4arch9wavefront6targetE1EEEvT1_,comdat
	.protected	_ZN7rocprim17ROCPRIM_400000_NS6detail17trampoline_kernelINS0_14default_configENS1_20scan_config_selectorIdEEZZNS1_9scan_implILNS1_25lookback_scan_determinismE0ELb0ELb0ES3_N6thrust23THRUST_200600_302600_NS6detail15normal_iteratorINS9_10device_ptrIdEEEESE_d11max_functorIdEdEEDaPvRmT3_T4_T5_mT6_P12ihipStream_tbENKUlT_T0_E_clISt17integral_constantIbLb0EEST_IbLb1EEEEDaSP_SQ_EUlSP_E_NS1_11comp_targetILNS1_3genE9ELNS1_11target_archE1100ELNS1_3gpuE3ELNS1_3repE0EEENS1_30default_config_static_selectorELNS0_4arch9wavefront6targetE1EEEvT1_ ; -- Begin function _ZN7rocprim17ROCPRIM_400000_NS6detail17trampoline_kernelINS0_14default_configENS1_20scan_config_selectorIdEEZZNS1_9scan_implILNS1_25lookback_scan_determinismE0ELb0ELb0ES3_N6thrust23THRUST_200600_302600_NS6detail15normal_iteratorINS9_10device_ptrIdEEEESE_d11max_functorIdEdEEDaPvRmT3_T4_T5_mT6_P12ihipStream_tbENKUlT_T0_E_clISt17integral_constantIbLb0EEST_IbLb1EEEEDaSP_SQ_EUlSP_E_NS1_11comp_targetILNS1_3genE9ELNS1_11target_archE1100ELNS1_3gpuE3ELNS1_3repE0EEENS1_30default_config_static_selectorELNS0_4arch9wavefront6targetE1EEEvT1_
	.globl	_ZN7rocprim17ROCPRIM_400000_NS6detail17trampoline_kernelINS0_14default_configENS1_20scan_config_selectorIdEEZZNS1_9scan_implILNS1_25lookback_scan_determinismE0ELb0ELb0ES3_N6thrust23THRUST_200600_302600_NS6detail15normal_iteratorINS9_10device_ptrIdEEEESE_d11max_functorIdEdEEDaPvRmT3_T4_T5_mT6_P12ihipStream_tbENKUlT_T0_E_clISt17integral_constantIbLb0EEST_IbLb1EEEEDaSP_SQ_EUlSP_E_NS1_11comp_targetILNS1_3genE9ELNS1_11target_archE1100ELNS1_3gpuE3ELNS1_3repE0EEENS1_30default_config_static_selectorELNS0_4arch9wavefront6targetE1EEEvT1_
	.p2align	8
	.type	_ZN7rocprim17ROCPRIM_400000_NS6detail17trampoline_kernelINS0_14default_configENS1_20scan_config_selectorIdEEZZNS1_9scan_implILNS1_25lookback_scan_determinismE0ELb0ELb0ES3_N6thrust23THRUST_200600_302600_NS6detail15normal_iteratorINS9_10device_ptrIdEEEESE_d11max_functorIdEdEEDaPvRmT3_T4_T5_mT6_P12ihipStream_tbENKUlT_T0_E_clISt17integral_constantIbLb0EEST_IbLb1EEEEDaSP_SQ_EUlSP_E_NS1_11comp_targetILNS1_3genE9ELNS1_11target_archE1100ELNS1_3gpuE3ELNS1_3repE0EEENS1_30default_config_static_selectorELNS0_4arch9wavefront6targetE1EEEvT1_,@function
_ZN7rocprim17ROCPRIM_400000_NS6detail17trampoline_kernelINS0_14default_configENS1_20scan_config_selectorIdEEZZNS1_9scan_implILNS1_25lookback_scan_determinismE0ELb0ELb0ES3_N6thrust23THRUST_200600_302600_NS6detail15normal_iteratorINS9_10device_ptrIdEEEESE_d11max_functorIdEdEEDaPvRmT3_T4_T5_mT6_P12ihipStream_tbENKUlT_T0_E_clISt17integral_constantIbLb0EEST_IbLb1EEEEDaSP_SQ_EUlSP_E_NS1_11comp_targetILNS1_3genE9ELNS1_11target_archE1100ELNS1_3gpuE3ELNS1_3repE0EEENS1_30default_config_static_selectorELNS0_4arch9wavefront6targetE1EEEvT1_: ; @_ZN7rocprim17ROCPRIM_400000_NS6detail17trampoline_kernelINS0_14default_configENS1_20scan_config_selectorIdEEZZNS1_9scan_implILNS1_25lookback_scan_determinismE0ELb0ELb0ES3_N6thrust23THRUST_200600_302600_NS6detail15normal_iteratorINS9_10device_ptrIdEEEESE_d11max_functorIdEdEEDaPvRmT3_T4_T5_mT6_P12ihipStream_tbENKUlT_T0_E_clISt17integral_constantIbLb0EEST_IbLb1EEEEDaSP_SQ_EUlSP_E_NS1_11comp_targetILNS1_3genE9ELNS1_11target_archE1100ELNS1_3gpuE3ELNS1_3repE0EEENS1_30default_config_static_selectorELNS0_4arch9wavefront6targetE1EEEvT1_
; %bb.0:
	.section	.rodata,"a",@progbits
	.p2align	6, 0x0
	.amdhsa_kernel _ZN7rocprim17ROCPRIM_400000_NS6detail17trampoline_kernelINS0_14default_configENS1_20scan_config_selectorIdEEZZNS1_9scan_implILNS1_25lookback_scan_determinismE0ELb0ELb0ES3_N6thrust23THRUST_200600_302600_NS6detail15normal_iteratorINS9_10device_ptrIdEEEESE_d11max_functorIdEdEEDaPvRmT3_T4_T5_mT6_P12ihipStream_tbENKUlT_T0_E_clISt17integral_constantIbLb0EEST_IbLb1EEEEDaSP_SQ_EUlSP_E_NS1_11comp_targetILNS1_3genE9ELNS1_11target_archE1100ELNS1_3gpuE3ELNS1_3repE0EEENS1_30default_config_static_selectorELNS0_4arch9wavefront6targetE1EEEvT1_
		.amdhsa_group_segment_fixed_size 0
		.amdhsa_private_segment_fixed_size 0
		.amdhsa_kernarg_size 104
		.amdhsa_user_sgpr_count 6
		.amdhsa_user_sgpr_private_segment_buffer 1
		.amdhsa_user_sgpr_dispatch_ptr 0
		.amdhsa_user_sgpr_queue_ptr 0
		.amdhsa_user_sgpr_kernarg_segment_ptr 1
		.amdhsa_user_sgpr_dispatch_id 0
		.amdhsa_user_sgpr_flat_scratch_init 0
		.amdhsa_user_sgpr_kernarg_preload_length 0
		.amdhsa_user_sgpr_kernarg_preload_offset 0
		.amdhsa_user_sgpr_private_segment_size 0
		.amdhsa_uses_dynamic_stack 0
		.amdhsa_system_sgpr_private_segment_wavefront_offset 0
		.amdhsa_system_sgpr_workgroup_id_x 1
		.amdhsa_system_sgpr_workgroup_id_y 0
		.amdhsa_system_sgpr_workgroup_id_z 0
		.amdhsa_system_sgpr_workgroup_info 0
		.amdhsa_system_vgpr_workitem_id 0
		.amdhsa_next_free_vgpr 1
		.amdhsa_next_free_sgpr 0
		.amdhsa_accum_offset 4
		.amdhsa_reserve_vcc 0
		.amdhsa_reserve_flat_scratch 0
		.amdhsa_float_round_mode_32 0
		.amdhsa_float_round_mode_16_64 0
		.amdhsa_float_denorm_mode_32 3
		.amdhsa_float_denorm_mode_16_64 3
		.amdhsa_dx10_clamp 1
		.amdhsa_ieee_mode 1
		.amdhsa_fp16_overflow 0
		.amdhsa_tg_split 0
		.amdhsa_exception_fp_ieee_invalid_op 0
		.amdhsa_exception_fp_denorm_src 0
		.amdhsa_exception_fp_ieee_div_zero 0
		.amdhsa_exception_fp_ieee_overflow 0
		.amdhsa_exception_fp_ieee_underflow 0
		.amdhsa_exception_fp_ieee_inexact 0
		.amdhsa_exception_int_div_zero 0
	.end_amdhsa_kernel
	.section	.text._ZN7rocprim17ROCPRIM_400000_NS6detail17trampoline_kernelINS0_14default_configENS1_20scan_config_selectorIdEEZZNS1_9scan_implILNS1_25lookback_scan_determinismE0ELb0ELb0ES3_N6thrust23THRUST_200600_302600_NS6detail15normal_iteratorINS9_10device_ptrIdEEEESE_d11max_functorIdEdEEDaPvRmT3_T4_T5_mT6_P12ihipStream_tbENKUlT_T0_E_clISt17integral_constantIbLb0EEST_IbLb1EEEEDaSP_SQ_EUlSP_E_NS1_11comp_targetILNS1_3genE9ELNS1_11target_archE1100ELNS1_3gpuE3ELNS1_3repE0EEENS1_30default_config_static_selectorELNS0_4arch9wavefront6targetE1EEEvT1_,"axG",@progbits,_ZN7rocprim17ROCPRIM_400000_NS6detail17trampoline_kernelINS0_14default_configENS1_20scan_config_selectorIdEEZZNS1_9scan_implILNS1_25lookback_scan_determinismE0ELb0ELb0ES3_N6thrust23THRUST_200600_302600_NS6detail15normal_iteratorINS9_10device_ptrIdEEEESE_d11max_functorIdEdEEDaPvRmT3_T4_T5_mT6_P12ihipStream_tbENKUlT_T0_E_clISt17integral_constantIbLb0EEST_IbLb1EEEEDaSP_SQ_EUlSP_E_NS1_11comp_targetILNS1_3genE9ELNS1_11target_archE1100ELNS1_3gpuE3ELNS1_3repE0EEENS1_30default_config_static_selectorELNS0_4arch9wavefront6targetE1EEEvT1_,comdat
.Lfunc_end1860:
	.size	_ZN7rocprim17ROCPRIM_400000_NS6detail17trampoline_kernelINS0_14default_configENS1_20scan_config_selectorIdEEZZNS1_9scan_implILNS1_25lookback_scan_determinismE0ELb0ELb0ES3_N6thrust23THRUST_200600_302600_NS6detail15normal_iteratorINS9_10device_ptrIdEEEESE_d11max_functorIdEdEEDaPvRmT3_T4_T5_mT6_P12ihipStream_tbENKUlT_T0_E_clISt17integral_constantIbLb0EEST_IbLb1EEEEDaSP_SQ_EUlSP_E_NS1_11comp_targetILNS1_3genE9ELNS1_11target_archE1100ELNS1_3gpuE3ELNS1_3repE0EEENS1_30default_config_static_selectorELNS0_4arch9wavefront6targetE1EEEvT1_, .Lfunc_end1860-_ZN7rocprim17ROCPRIM_400000_NS6detail17trampoline_kernelINS0_14default_configENS1_20scan_config_selectorIdEEZZNS1_9scan_implILNS1_25lookback_scan_determinismE0ELb0ELb0ES3_N6thrust23THRUST_200600_302600_NS6detail15normal_iteratorINS9_10device_ptrIdEEEESE_d11max_functorIdEdEEDaPvRmT3_T4_T5_mT6_P12ihipStream_tbENKUlT_T0_E_clISt17integral_constantIbLb0EEST_IbLb1EEEEDaSP_SQ_EUlSP_E_NS1_11comp_targetILNS1_3genE9ELNS1_11target_archE1100ELNS1_3gpuE3ELNS1_3repE0EEENS1_30default_config_static_selectorELNS0_4arch9wavefront6targetE1EEEvT1_
                                        ; -- End function
	.section	.AMDGPU.csdata,"",@progbits
; Kernel info:
; codeLenInByte = 0
; NumSgprs: 4
; NumVgprs: 0
; NumAgprs: 0
; TotalNumVgprs: 0
; ScratchSize: 0
; MemoryBound: 0
; FloatMode: 240
; IeeeMode: 1
; LDSByteSize: 0 bytes/workgroup (compile time only)
; SGPRBlocks: 0
; VGPRBlocks: 0
; NumSGPRsForWavesPerEU: 4
; NumVGPRsForWavesPerEU: 1
; AccumOffset: 4
; Occupancy: 8
; WaveLimiterHint : 0
; COMPUTE_PGM_RSRC2:SCRATCH_EN: 0
; COMPUTE_PGM_RSRC2:USER_SGPR: 6
; COMPUTE_PGM_RSRC2:TRAP_HANDLER: 0
; COMPUTE_PGM_RSRC2:TGID_X_EN: 1
; COMPUTE_PGM_RSRC2:TGID_Y_EN: 0
; COMPUTE_PGM_RSRC2:TGID_Z_EN: 0
; COMPUTE_PGM_RSRC2:TIDIG_COMP_CNT: 0
; COMPUTE_PGM_RSRC3_GFX90A:ACCUM_OFFSET: 0
; COMPUTE_PGM_RSRC3_GFX90A:TG_SPLIT: 0
	.section	.text._ZN7rocprim17ROCPRIM_400000_NS6detail17trampoline_kernelINS0_14default_configENS1_20scan_config_selectorIdEEZZNS1_9scan_implILNS1_25lookback_scan_determinismE0ELb0ELb0ES3_N6thrust23THRUST_200600_302600_NS6detail15normal_iteratorINS9_10device_ptrIdEEEESE_d11max_functorIdEdEEDaPvRmT3_T4_T5_mT6_P12ihipStream_tbENKUlT_T0_E_clISt17integral_constantIbLb0EEST_IbLb1EEEEDaSP_SQ_EUlSP_E_NS1_11comp_targetILNS1_3genE8ELNS1_11target_archE1030ELNS1_3gpuE2ELNS1_3repE0EEENS1_30default_config_static_selectorELNS0_4arch9wavefront6targetE1EEEvT1_,"axG",@progbits,_ZN7rocprim17ROCPRIM_400000_NS6detail17trampoline_kernelINS0_14default_configENS1_20scan_config_selectorIdEEZZNS1_9scan_implILNS1_25lookback_scan_determinismE0ELb0ELb0ES3_N6thrust23THRUST_200600_302600_NS6detail15normal_iteratorINS9_10device_ptrIdEEEESE_d11max_functorIdEdEEDaPvRmT3_T4_T5_mT6_P12ihipStream_tbENKUlT_T0_E_clISt17integral_constantIbLb0EEST_IbLb1EEEEDaSP_SQ_EUlSP_E_NS1_11comp_targetILNS1_3genE8ELNS1_11target_archE1030ELNS1_3gpuE2ELNS1_3repE0EEENS1_30default_config_static_selectorELNS0_4arch9wavefront6targetE1EEEvT1_,comdat
	.protected	_ZN7rocprim17ROCPRIM_400000_NS6detail17trampoline_kernelINS0_14default_configENS1_20scan_config_selectorIdEEZZNS1_9scan_implILNS1_25lookback_scan_determinismE0ELb0ELb0ES3_N6thrust23THRUST_200600_302600_NS6detail15normal_iteratorINS9_10device_ptrIdEEEESE_d11max_functorIdEdEEDaPvRmT3_T4_T5_mT6_P12ihipStream_tbENKUlT_T0_E_clISt17integral_constantIbLb0EEST_IbLb1EEEEDaSP_SQ_EUlSP_E_NS1_11comp_targetILNS1_3genE8ELNS1_11target_archE1030ELNS1_3gpuE2ELNS1_3repE0EEENS1_30default_config_static_selectorELNS0_4arch9wavefront6targetE1EEEvT1_ ; -- Begin function _ZN7rocprim17ROCPRIM_400000_NS6detail17trampoline_kernelINS0_14default_configENS1_20scan_config_selectorIdEEZZNS1_9scan_implILNS1_25lookback_scan_determinismE0ELb0ELb0ES3_N6thrust23THRUST_200600_302600_NS6detail15normal_iteratorINS9_10device_ptrIdEEEESE_d11max_functorIdEdEEDaPvRmT3_T4_T5_mT6_P12ihipStream_tbENKUlT_T0_E_clISt17integral_constantIbLb0EEST_IbLb1EEEEDaSP_SQ_EUlSP_E_NS1_11comp_targetILNS1_3genE8ELNS1_11target_archE1030ELNS1_3gpuE2ELNS1_3repE0EEENS1_30default_config_static_selectorELNS0_4arch9wavefront6targetE1EEEvT1_
	.globl	_ZN7rocprim17ROCPRIM_400000_NS6detail17trampoline_kernelINS0_14default_configENS1_20scan_config_selectorIdEEZZNS1_9scan_implILNS1_25lookback_scan_determinismE0ELb0ELb0ES3_N6thrust23THRUST_200600_302600_NS6detail15normal_iteratorINS9_10device_ptrIdEEEESE_d11max_functorIdEdEEDaPvRmT3_T4_T5_mT6_P12ihipStream_tbENKUlT_T0_E_clISt17integral_constantIbLb0EEST_IbLb1EEEEDaSP_SQ_EUlSP_E_NS1_11comp_targetILNS1_3genE8ELNS1_11target_archE1030ELNS1_3gpuE2ELNS1_3repE0EEENS1_30default_config_static_selectorELNS0_4arch9wavefront6targetE1EEEvT1_
	.p2align	8
	.type	_ZN7rocprim17ROCPRIM_400000_NS6detail17trampoline_kernelINS0_14default_configENS1_20scan_config_selectorIdEEZZNS1_9scan_implILNS1_25lookback_scan_determinismE0ELb0ELb0ES3_N6thrust23THRUST_200600_302600_NS6detail15normal_iteratorINS9_10device_ptrIdEEEESE_d11max_functorIdEdEEDaPvRmT3_T4_T5_mT6_P12ihipStream_tbENKUlT_T0_E_clISt17integral_constantIbLb0EEST_IbLb1EEEEDaSP_SQ_EUlSP_E_NS1_11comp_targetILNS1_3genE8ELNS1_11target_archE1030ELNS1_3gpuE2ELNS1_3repE0EEENS1_30default_config_static_selectorELNS0_4arch9wavefront6targetE1EEEvT1_,@function
_ZN7rocprim17ROCPRIM_400000_NS6detail17trampoline_kernelINS0_14default_configENS1_20scan_config_selectorIdEEZZNS1_9scan_implILNS1_25lookback_scan_determinismE0ELb0ELb0ES3_N6thrust23THRUST_200600_302600_NS6detail15normal_iteratorINS9_10device_ptrIdEEEESE_d11max_functorIdEdEEDaPvRmT3_T4_T5_mT6_P12ihipStream_tbENKUlT_T0_E_clISt17integral_constantIbLb0EEST_IbLb1EEEEDaSP_SQ_EUlSP_E_NS1_11comp_targetILNS1_3genE8ELNS1_11target_archE1030ELNS1_3gpuE2ELNS1_3repE0EEENS1_30default_config_static_selectorELNS0_4arch9wavefront6targetE1EEEvT1_: ; @_ZN7rocprim17ROCPRIM_400000_NS6detail17trampoline_kernelINS0_14default_configENS1_20scan_config_selectorIdEEZZNS1_9scan_implILNS1_25lookback_scan_determinismE0ELb0ELb0ES3_N6thrust23THRUST_200600_302600_NS6detail15normal_iteratorINS9_10device_ptrIdEEEESE_d11max_functorIdEdEEDaPvRmT3_T4_T5_mT6_P12ihipStream_tbENKUlT_T0_E_clISt17integral_constantIbLb0EEST_IbLb1EEEEDaSP_SQ_EUlSP_E_NS1_11comp_targetILNS1_3genE8ELNS1_11target_archE1030ELNS1_3gpuE2ELNS1_3repE0EEENS1_30default_config_static_selectorELNS0_4arch9wavefront6targetE1EEEvT1_
; %bb.0:
	.section	.rodata,"a",@progbits
	.p2align	6, 0x0
	.amdhsa_kernel _ZN7rocprim17ROCPRIM_400000_NS6detail17trampoline_kernelINS0_14default_configENS1_20scan_config_selectorIdEEZZNS1_9scan_implILNS1_25lookback_scan_determinismE0ELb0ELb0ES3_N6thrust23THRUST_200600_302600_NS6detail15normal_iteratorINS9_10device_ptrIdEEEESE_d11max_functorIdEdEEDaPvRmT3_T4_T5_mT6_P12ihipStream_tbENKUlT_T0_E_clISt17integral_constantIbLb0EEST_IbLb1EEEEDaSP_SQ_EUlSP_E_NS1_11comp_targetILNS1_3genE8ELNS1_11target_archE1030ELNS1_3gpuE2ELNS1_3repE0EEENS1_30default_config_static_selectorELNS0_4arch9wavefront6targetE1EEEvT1_
		.amdhsa_group_segment_fixed_size 0
		.amdhsa_private_segment_fixed_size 0
		.amdhsa_kernarg_size 104
		.amdhsa_user_sgpr_count 6
		.amdhsa_user_sgpr_private_segment_buffer 1
		.amdhsa_user_sgpr_dispatch_ptr 0
		.amdhsa_user_sgpr_queue_ptr 0
		.amdhsa_user_sgpr_kernarg_segment_ptr 1
		.amdhsa_user_sgpr_dispatch_id 0
		.amdhsa_user_sgpr_flat_scratch_init 0
		.amdhsa_user_sgpr_kernarg_preload_length 0
		.amdhsa_user_sgpr_kernarg_preload_offset 0
		.amdhsa_user_sgpr_private_segment_size 0
		.amdhsa_uses_dynamic_stack 0
		.amdhsa_system_sgpr_private_segment_wavefront_offset 0
		.amdhsa_system_sgpr_workgroup_id_x 1
		.amdhsa_system_sgpr_workgroup_id_y 0
		.amdhsa_system_sgpr_workgroup_id_z 0
		.amdhsa_system_sgpr_workgroup_info 0
		.amdhsa_system_vgpr_workitem_id 0
		.amdhsa_next_free_vgpr 1
		.amdhsa_next_free_sgpr 0
		.amdhsa_accum_offset 4
		.amdhsa_reserve_vcc 0
		.amdhsa_reserve_flat_scratch 0
		.amdhsa_float_round_mode_32 0
		.amdhsa_float_round_mode_16_64 0
		.amdhsa_float_denorm_mode_32 3
		.amdhsa_float_denorm_mode_16_64 3
		.amdhsa_dx10_clamp 1
		.amdhsa_ieee_mode 1
		.amdhsa_fp16_overflow 0
		.amdhsa_tg_split 0
		.amdhsa_exception_fp_ieee_invalid_op 0
		.amdhsa_exception_fp_denorm_src 0
		.amdhsa_exception_fp_ieee_div_zero 0
		.amdhsa_exception_fp_ieee_overflow 0
		.amdhsa_exception_fp_ieee_underflow 0
		.amdhsa_exception_fp_ieee_inexact 0
		.amdhsa_exception_int_div_zero 0
	.end_amdhsa_kernel
	.section	.text._ZN7rocprim17ROCPRIM_400000_NS6detail17trampoline_kernelINS0_14default_configENS1_20scan_config_selectorIdEEZZNS1_9scan_implILNS1_25lookback_scan_determinismE0ELb0ELb0ES3_N6thrust23THRUST_200600_302600_NS6detail15normal_iteratorINS9_10device_ptrIdEEEESE_d11max_functorIdEdEEDaPvRmT3_T4_T5_mT6_P12ihipStream_tbENKUlT_T0_E_clISt17integral_constantIbLb0EEST_IbLb1EEEEDaSP_SQ_EUlSP_E_NS1_11comp_targetILNS1_3genE8ELNS1_11target_archE1030ELNS1_3gpuE2ELNS1_3repE0EEENS1_30default_config_static_selectorELNS0_4arch9wavefront6targetE1EEEvT1_,"axG",@progbits,_ZN7rocprim17ROCPRIM_400000_NS6detail17trampoline_kernelINS0_14default_configENS1_20scan_config_selectorIdEEZZNS1_9scan_implILNS1_25lookback_scan_determinismE0ELb0ELb0ES3_N6thrust23THRUST_200600_302600_NS6detail15normal_iteratorINS9_10device_ptrIdEEEESE_d11max_functorIdEdEEDaPvRmT3_T4_T5_mT6_P12ihipStream_tbENKUlT_T0_E_clISt17integral_constantIbLb0EEST_IbLb1EEEEDaSP_SQ_EUlSP_E_NS1_11comp_targetILNS1_3genE8ELNS1_11target_archE1030ELNS1_3gpuE2ELNS1_3repE0EEENS1_30default_config_static_selectorELNS0_4arch9wavefront6targetE1EEEvT1_,comdat
.Lfunc_end1861:
	.size	_ZN7rocprim17ROCPRIM_400000_NS6detail17trampoline_kernelINS0_14default_configENS1_20scan_config_selectorIdEEZZNS1_9scan_implILNS1_25lookback_scan_determinismE0ELb0ELb0ES3_N6thrust23THRUST_200600_302600_NS6detail15normal_iteratorINS9_10device_ptrIdEEEESE_d11max_functorIdEdEEDaPvRmT3_T4_T5_mT6_P12ihipStream_tbENKUlT_T0_E_clISt17integral_constantIbLb0EEST_IbLb1EEEEDaSP_SQ_EUlSP_E_NS1_11comp_targetILNS1_3genE8ELNS1_11target_archE1030ELNS1_3gpuE2ELNS1_3repE0EEENS1_30default_config_static_selectorELNS0_4arch9wavefront6targetE1EEEvT1_, .Lfunc_end1861-_ZN7rocprim17ROCPRIM_400000_NS6detail17trampoline_kernelINS0_14default_configENS1_20scan_config_selectorIdEEZZNS1_9scan_implILNS1_25lookback_scan_determinismE0ELb0ELb0ES3_N6thrust23THRUST_200600_302600_NS6detail15normal_iteratorINS9_10device_ptrIdEEEESE_d11max_functorIdEdEEDaPvRmT3_T4_T5_mT6_P12ihipStream_tbENKUlT_T0_E_clISt17integral_constantIbLb0EEST_IbLb1EEEEDaSP_SQ_EUlSP_E_NS1_11comp_targetILNS1_3genE8ELNS1_11target_archE1030ELNS1_3gpuE2ELNS1_3repE0EEENS1_30default_config_static_selectorELNS0_4arch9wavefront6targetE1EEEvT1_
                                        ; -- End function
	.section	.AMDGPU.csdata,"",@progbits
; Kernel info:
; codeLenInByte = 0
; NumSgprs: 4
; NumVgprs: 0
; NumAgprs: 0
; TotalNumVgprs: 0
; ScratchSize: 0
; MemoryBound: 0
; FloatMode: 240
; IeeeMode: 1
; LDSByteSize: 0 bytes/workgroup (compile time only)
; SGPRBlocks: 0
; VGPRBlocks: 0
; NumSGPRsForWavesPerEU: 4
; NumVGPRsForWavesPerEU: 1
; AccumOffset: 4
; Occupancy: 8
; WaveLimiterHint : 0
; COMPUTE_PGM_RSRC2:SCRATCH_EN: 0
; COMPUTE_PGM_RSRC2:USER_SGPR: 6
; COMPUTE_PGM_RSRC2:TRAP_HANDLER: 0
; COMPUTE_PGM_RSRC2:TGID_X_EN: 1
; COMPUTE_PGM_RSRC2:TGID_Y_EN: 0
; COMPUTE_PGM_RSRC2:TGID_Z_EN: 0
; COMPUTE_PGM_RSRC2:TIDIG_COMP_CNT: 0
; COMPUTE_PGM_RSRC3_GFX90A:ACCUM_OFFSET: 0
; COMPUTE_PGM_RSRC3_GFX90A:TG_SPLIT: 0
	.section	.text._ZN7rocprim17ROCPRIM_400000_NS6detail17trampoline_kernelINS0_14default_configENS1_20scan_config_selectorIdEEZZNS1_9scan_implILNS1_25lookback_scan_determinismE0ELb0ELb0ES3_N6thrust23THRUST_200600_302600_NS6detail15normal_iteratorINS9_10device_ptrIdEEEESE_d11max_functorIdEdEEDaPvRmT3_T4_T5_mT6_P12ihipStream_tbENKUlT_T0_E_clISt17integral_constantIbLb0EEST_IbLb1EEEEDaSP_SQ_EUlSP_E0_NS1_11comp_targetILNS1_3genE0ELNS1_11target_archE4294967295ELNS1_3gpuE0ELNS1_3repE0EEENS1_30default_config_static_selectorELNS0_4arch9wavefront6targetE1EEEvT1_,"axG",@progbits,_ZN7rocprim17ROCPRIM_400000_NS6detail17trampoline_kernelINS0_14default_configENS1_20scan_config_selectorIdEEZZNS1_9scan_implILNS1_25lookback_scan_determinismE0ELb0ELb0ES3_N6thrust23THRUST_200600_302600_NS6detail15normal_iteratorINS9_10device_ptrIdEEEESE_d11max_functorIdEdEEDaPvRmT3_T4_T5_mT6_P12ihipStream_tbENKUlT_T0_E_clISt17integral_constantIbLb0EEST_IbLb1EEEEDaSP_SQ_EUlSP_E0_NS1_11comp_targetILNS1_3genE0ELNS1_11target_archE4294967295ELNS1_3gpuE0ELNS1_3repE0EEENS1_30default_config_static_selectorELNS0_4arch9wavefront6targetE1EEEvT1_,comdat
	.protected	_ZN7rocprim17ROCPRIM_400000_NS6detail17trampoline_kernelINS0_14default_configENS1_20scan_config_selectorIdEEZZNS1_9scan_implILNS1_25lookback_scan_determinismE0ELb0ELb0ES3_N6thrust23THRUST_200600_302600_NS6detail15normal_iteratorINS9_10device_ptrIdEEEESE_d11max_functorIdEdEEDaPvRmT3_T4_T5_mT6_P12ihipStream_tbENKUlT_T0_E_clISt17integral_constantIbLb0EEST_IbLb1EEEEDaSP_SQ_EUlSP_E0_NS1_11comp_targetILNS1_3genE0ELNS1_11target_archE4294967295ELNS1_3gpuE0ELNS1_3repE0EEENS1_30default_config_static_selectorELNS0_4arch9wavefront6targetE1EEEvT1_ ; -- Begin function _ZN7rocprim17ROCPRIM_400000_NS6detail17trampoline_kernelINS0_14default_configENS1_20scan_config_selectorIdEEZZNS1_9scan_implILNS1_25lookback_scan_determinismE0ELb0ELb0ES3_N6thrust23THRUST_200600_302600_NS6detail15normal_iteratorINS9_10device_ptrIdEEEESE_d11max_functorIdEdEEDaPvRmT3_T4_T5_mT6_P12ihipStream_tbENKUlT_T0_E_clISt17integral_constantIbLb0EEST_IbLb1EEEEDaSP_SQ_EUlSP_E0_NS1_11comp_targetILNS1_3genE0ELNS1_11target_archE4294967295ELNS1_3gpuE0ELNS1_3repE0EEENS1_30default_config_static_selectorELNS0_4arch9wavefront6targetE1EEEvT1_
	.globl	_ZN7rocprim17ROCPRIM_400000_NS6detail17trampoline_kernelINS0_14default_configENS1_20scan_config_selectorIdEEZZNS1_9scan_implILNS1_25lookback_scan_determinismE0ELb0ELb0ES3_N6thrust23THRUST_200600_302600_NS6detail15normal_iteratorINS9_10device_ptrIdEEEESE_d11max_functorIdEdEEDaPvRmT3_T4_T5_mT6_P12ihipStream_tbENKUlT_T0_E_clISt17integral_constantIbLb0EEST_IbLb1EEEEDaSP_SQ_EUlSP_E0_NS1_11comp_targetILNS1_3genE0ELNS1_11target_archE4294967295ELNS1_3gpuE0ELNS1_3repE0EEENS1_30default_config_static_selectorELNS0_4arch9wavefront6targetE1EEEvT1_
	.p2align	8
	.type	_ZN7rocprim17ROCPRIM_400000_NS6detail17trampoline_kernelINS0_14default_configENS1_20scan_config_selectorIdEEZZNS1_9scan_implILNS1_25lookback_scan_determinismE0ELb0ELb0ES3_N6thrust23THRUST_200600_302600_NS6detail15normal_iteratorINS9_10device_ptrIdEEEESE_d11max_functorIdEdEEDaPvRmT3_T4_T5_mT6_P12ihipStream_tbENKUlT_T0_E_clISt17integral_constantIbLb0EEST_IbLb1EEEEDaSP_SQ_EUlSP_E0_NS1_11comp_targetILNS1_3genE0ELNS1_11target_archE4294967295ELNS1_3gpuE0ELNS1_3repE0EEENS1_30default_config_static_selectorELNS0_4arch9wavefront6targetE1EEEvT1_,@function
_ZN7rocprim17ROCPRIM_400000_NS6detail17trampoline_kernelINS0_14default_configENS1_20scan_config_selectorIdEEZZNS1_9scan_implILNS1_25lookback_scan_determinismE0ELb0ELb0ES3_N6thrust23THRUST_200600_302600_NS6detail15normal_iteratorINS9_10device_ptrIdEEEESE_d11max_functorIdEdEEDaPvRmT3_T4_T5_mT6_P12ihipStream_tbENKUlT_T0_E_clISt17integral_constantIbLb0EEST_IbLb1EEEEDaSP_SQ_EUlSP_E0_NS1_11comp_targetILNS1_3genE0ELNS1_11target_archE4294967295ELNS1_3gpuE0ELNS1_3repE0EEENS1_30default_config_static_selectorELNS0_4arch9wavefront6targetE1EEEvT1_: ; @_ZN7rocprim17ROCPRIM_400000_NS6detail17trampoline_kernelINS0_14default_configENS1_20scan_config_selectorIdEEZZNS1_9scan_implILNS1_25lookback_scan_determinismE0ELb0ELb0ES3_N6thrust23THRUST_200600_302600_NS6detail15normal_iteratorINS9_10device_ptrIdEEEESE_d11max_functorIdEdEEDaPvRmT3_T4_T5_mT6_P12ihipStream_tbENKUlT_T0_E_clISt17integral_constantIbLb0EEST_IbLb1EEEEDaSP_SQ_EUlSP_E0_NS1_11comp_targetILNS1_3genE0ELNS1_11target_archE4294967295ELNS1_3gpuE0ELNS1_3repE0EEENS1_30default_config_static_selectorELNS0_4arch9wavefront6targetE1EEEvT1_
; %bb.0:
	.section	.rodata,"a",@progbits
	.p2align	6, 0x0
	.amdhsa_kernel _ZN7rocprim17ROCPRIM_400000_NS6detail17trampoline_kernelINS0_14default_configENS1_20scan_config_selectorIdEEZZNS1_9scan_implILNS1_25lookback_scan_determinismE0ELb0ELb0ES3_N6thrust23THRUST_200600_302600_NS6detail15normal_iteratorINS9_10device_ptrIdEEEESE_d11max_functorIdEdEEDaPvRmT3_T4_T5_mT6_P12ihipStream_tbENKUlT_T0_E_clISt17integral_constantIbLb0EEST_IbLb1EEEEDaSP_SQ_EUlSP_E0_NS1_11comp_targetILNS1_3genE0ELNS1_11target_archE4294967295ELNS1_3gpuE0ELNS1_3repE0EEENS1_30default_config_static_selectorELNS0_4arch9wavefront6targetE1EEEvT1_
		.amdhsa_group_segment_fixed_size 0
		.amdhsa_private_segment_fixed_size 0
		.amdhsa_kernarg_size 40
		.amdhsa_user_sgpr_count 6
		.amdhsa_user_sgpr_private_segment_buffer 1
		.amdhsa_user_sgpr_dispatch_ptr 0
		.amdhsa_user_sgpr_queue_ptr 0
		.amdhsa_user_sgpr_kernarg_segment_ptr 1
		.amdhsa_user_sgpr_dispatch_id 0
		.amdhsa_user_sgpr_flat_scratch_init 0
		.amdhsa_user_sgpr_kernarg_preload_length 0
		.amdhsa_user_sgpr_kernarg_preload_offset 0
		.amdhsa_user_sgpr_private_segment_size 0
		.amdhsa_uses_dynamic_stack 0
		.amdhsa_system_sgpr_private_segment_wavefront_offset 0
		.amdhsa_system_sgpr_workgroup_id_x 1
		.amdhsa_system_sgpr_workgroup_id_y 0
		.amdhsa_system_sgpr_workgroup_id_z 0
		.amdhsa_system_sgpr_workgroup_info 0
		.amdhsa_system_vgpr_workitem_id 0
		.amdhsa_next_free_vgpr 1
		.amdhsa_next_free_sgpr 0
		.amdhsa_accum_offset 4
		.amdhsa_reserve_vcc 0
		.amdhsa_reserve_flat_scratch 0
		.amdhsa_float_round_mode_32 0
		.amdhsa_float_round_mode_16_64 0
		.amdhsa_float_denorm_mode_32 3
		.amdhsa_float_denorm_mode_16_64 3
		.amdhsa_dx10_clamp 1
		.amdhsa_ieee_mode 1
		.amdhsa_fp16_overflow 0
		.amdhsa_tg_split 0
		.amdhsa_exception_fp_ieee_invalid_op 0
		.amdhsa_exception_fp_denorm_src 0
		.amdhsa_exception_fp_ieee_div_zero 0
		.amdhsa_exception_fp_ieee_overflow 0
		.amdhsa_exception_fp_ieee_underflow 0
		.amdhsa_exception_fp_ieee_inexact 0
		.amdhsa_exception_int_div_zero 0
	.end_amdhsa_kernel
	.section	.text._ZN7rocprim17ROCPRIM_400000_NS6detail17trampoline_kernelINS0_14default_configENS1_20scan_config_selectorIdEEZZNS1_9scan_implILNS1_25lookback_scan_determinismE0ELb0ELb0ES3_N6thrust23THRUST_200600_302600_NS6detail15normal_iteratorINS9_10device_ptrIdEEEESE_d11max_functorIdEdEEDaPvRmT3_T4_T5_mT6_P12ihipStream_tbENKUlT_T0_E_clISt17integral_constantIbLb0EEST_IbLb1EEEEDaSP_SQ_EUlSP_E0_NS1_11comp_targetILNS1_3genE0ELNS1_11target_archE4294967295ELNS1_3gpuE0ELNS1_3repE0EEENS1_30default_config_static_selectorELNS0_4arch9wavefront6targetE1EEEvT1_,"axG",@progbits,_ZN7rocprim17ROCPRIM_400000_NS6detail17trampoline_kernelINS0_14default_configENS1_20scan_config_selectorIdEEZZNS1_9scan_implILNS1_25lookback_scan_determinismE0ELb0ELb0ES3_N6thrust23THRUST_200600_302600_NS6detail15normal_iteratorINS9_10device_ptrIdEEEESE_d11max_functorIdEdEEDaPvRmT3_T4_T5_mT6_P12ihipStream_tbENKUlT_T0_E_clISt17integral_constantIbLb0EEST_IbLb1EEEEDaSP_SQ_EUlSP_E0_NS1_11comp_targetILNS1_3genE0ELNS1_11target_archE4294967295ELNS1_3gpuE0ELNS1_3repE0EEENS1_30default_config_static_selectorELNS0_4arch9wavefront6targetE1EEEvT1_,comdat
.Lfunc_end1862:
	.size	_ZN7rocprim17ROCPRIM_400000_NS6detail17trampoline_kernelINS0_14default_configENS1_20scan_config_selectorIdEEZZNS1_9scan_implILNS1_25lookback_scan_determinismE0ELb0ELb0ES3_N6thrust23THRUST_200600_302600_NS6detail15normal_iteratorINS9_10device_ptrIdEEEESE_d11max_functorIdEdEEDaPvRmT3_T4_T5_mT6_P12ihipStream_tbENKUlT_T0_E_clISt17integral_constantIbLb0EEST_IbLb1EEEEDaSP_SQ_EUlSP_E0_NS1_11comp_targetILNS1_3genE0ELNS1_11target_archE4294967295ELNS1_3gpuE0ELNS1_3repE0EEENS1_30default_config_static_selectorELNS0_4arch9wavefront6targetE1EEEvT1_, .Lfunc_end1862-_ZN7rocprim17ROCPRIM_400000_NS6detail17trampoline_kernelINS0_14default_configENS1_20scan_config_selectorIdEEZZNS1_9scan_implILNS1_25lookback_scan_determinismE0ELb0ELb0ES3_N6thrust23THRUST_200600_302600_NS6detail15normal_iteratorINS9_10device_ptrIdEEEESE_d11max_functorIdEdEEDaPvRmT3_T4_T5_mT6_P12ihipStream_tbENKUlT_T0_E_clISt17integral_constantIbLb0EEST_IbLb1EEEEDaSP_SQ_EUlSP_E0_NS1_11comp_targetILNS1_3genE0ELNS1_11target_archE4294967295ELNS1_3gpuE0ELNS1_3repE0EEENS1_30default_config_static_selectorELNS0_4arch9wavefront6targetE1EEEvT1_
                                        ; -- End function
	.section	.AMDGPU.csdata,"",@progbits
; Kernel info:
; codeLenInByte = 0
; NumSgprs: 4
; NumVgprs: 0
; NumAgprs: 0
; TotalNumVgprs: 0
; ScratchSize: 0
; MemoryBound: 0
; FloatMode: 240
; IeeeMode: 1
; LDSByteSize: 0 bytes/workgroup (compile time only)
; SGPRBlocks: 0
; VGPRBlocks: 0
; NumSGPRsForWavesPerEU: 4
; NumVGPRsForWavesPerEU: 1
; AccumOffset: 4
; Occupancy: 8
; WaveLimiterHint : 0
; COMPUTE_PGM_RSRC2:SCRATCH_EN: 0
; COMPUTE_PGM_RSRC2:USER_SGPR: 6
; COMPUTE_PGM_RSRC2:TRAP_HANDLER: 0
; COMPUTE_PGM_RSRC2:TGID_X_EN: 1
; COMPUTE_PGM_RSRC2:TGID_Y_EN: 0
; COMPUTE_PGM_RSRC2:TGID_Z_EN: 0
; COMPUTE_PGM_RSRC2:TIDIG_COMP_CNT: 0
; COMPUTE_PGM_RSRC3_GFX90A:ACCUM_OFFSET: 0
; COMPUTE_PGM_RSRC3_GFX90A:TG_SPLIT: 0
	.section	.text._ZN7rocprim17ROCPRIM_400000_NS6detail17trampoline_kernelINS0_14default_configENS1_20scan_config_selectorIdEEZZNS1_9scan_implILNS1_25lookback_scan_determinismE0ELb0ELb0ES3_N6thrust23THRUST_200600_302600_NS6detail15normal_iteratorINS9_10device_ptrIdEEEESE_d11max_functorIdEdEEDaPvRmT3_T4_T5_mT6_P12ihipStream_tbENKUlT_T0_E_clISt17integral_constantIbLb0EEST_IbLb1EEEEDaSP_SQ_EUlSP_E0_NS1_11comp_targetILNS1_3genE5ELNS1_11target_archE942ELNS1_3gpuE9ELNS1_3repE0EEENS1_30default_config_static_selectorELNS0_4arch9wavefront6targetE1EEEvT1_,"axG",@progbits,_ZN7rocprim17ROCPRIM_400000_NS6detail17trampoline_kernelINS0_14default_configENS1_20scan_config_selectorIdEEZZNS1_9scan_implILNS1_25lookback_scan_determinismE0ELb0ELb0ES3_N6thrust23THRUST_200600_302600_NS6detail15normal_iteratorINS9_10device_ptrIdEEEESE_d11max_functorIdEdEEDaPvRmT3_T4_T5_mT6_P12ihipStream_tbENKUlT_T0_E_clISt17integral_constantIbLb0EEST_IbLb1EEEEDaSP_SQ_EUlSP_E0_NS1_11comp_targetILNS1_3genE5ELNS1_11target_archE942ELNS1_3gpuE9ELNS1_3repE0EEENS1_30default_config_static_selectorELNS0_4arch9wavefront6targetE1EEEvT1_,comdat
	.protected	_ZN7rocprim17ROCPRIM_400000_NS6detail17trampoline_kernelINS0_14default_configENS1_20scan_config_selectorIdEEZZNS1_9scan_implILNS1_25lookback_scan_determinismE0ELb0ELb0ES3_N6thrust23THRUST_200600_302600_NS6detail15normal_iteratorINS9_10device_ptrIdEEEESE_d11max_functorIdEdEEDaPvRmT3_T4_T5_mT6_P12ihipStream_tbENKUlT_T0_E_clISt17integral_constantIbLb0EEST_IbLb1EEEEDaSP_SQ_EUlSP_E0_NS1_11comp_targetILNS1_3genE5ELNS1_11target_archE942ELNS1_3gpuE9ELNS1_3repE0EEENS1_30default_config_static_selectorELNS0_4arch9wavefront6targetE1EEEvT1_ ; -- Begin function _ZN7rocprim17ROCPRIM_400000_NS6detail17trampoline_kernelINS0_14default_configENS1_20scan_config_selectorIdEEZZNS1_9scan_implILNS1_25lookback_scan_determinismE0ELb0ELb0ES3_N6thrust23THRUST_200600_302600_NS6detail15normal_iteratorINS9_10device_ptrIdEEEESE_d11max_functorIdEdEEDaPvRmT3_T4_T5_mT6_P12ihipStream_tbENKUlT_T0_E_clISt17integral_constantIbLb0EEST_IbLb1EEEEDaSP_SQ_EUlSP_E0_NS1_11comp_targetILNS1_3genE5ELNS1_11target_archE942ELNS1_3gpuE9ELNS1_3repE0EEENS1_30default_config_static_selectorELNS0_4arch9wavefront6targetE1EEEvT1_
	.globl	_ZN7rocprim17ROCPRIM_400000_NS6detail17trampoline_kernelINS0_14default_configENS1_20scan_config_selectorIdEEZZNS1_9scan_implILNS1_25lookback_scan_determinismE0ELb0ELb0ES3_N6thrust23THRUST_200600_302600_NS6detail15normal_iteratorINS9_10device_ptrIdEEEESE_d11max_functorIdEdEEDaPvRmT3_T4_T5_mT6_P12ihipStream_tbENKUlT_T0_E_clISt17integral_constantIbLb0EEST_IbLb1EEEEDaSP_SQ_EUlSP_E0_NS1_11comp_targetILNS1_3genE5ELNS1_11target_archE942ELNS1_3gpuE9ELNS1_3repE0EEENS1_30default_config_static_selectorELNS0_4arch9wavefront6targetE1EEEvT1_
	.p2align	8
	.type	_ZN7rocprim17ROCPRIM_400000_NS6detail17trampoline_kernelINS0_14default_configENS1_20scan_config_selectorIdEEZZNS1_9scan_implILNS1_25lookback_scan_determinismE0ELb0ELb0ES3_N6thrust23THRUST_200600_302600_NS6detail15normal_iteratorINS9_10device_ptrIdEEEESE_d11max_functorIdEdEEDaPvRmT3_T4_T5_mT6_P12ihipStream_tbENKUlT_T0_E_clISt17integral_constantIbLb0EEST_IbLb1EEEEDaSP_SQ_EUlSP_E0_NS1_11comp_targetILNS1_3genE5ELNS1_11target_archE942ELNS1_3gpuE9ELNS1_3repE0EEENS1_30default_config_static_selectorELNS0_4arch9wavefront6targetE1EEEvT1_,@function
_ZN7rocprim17ROCPRIM_400000_NS6detail17trampoline_kernelINS0_14default_configENS1_20scan_config_selectorIdEEZZNS1_9scan_implILNS1_25lookback_scan_determinismE0ELb0ELb0ES3_N6thrust23THRUST_200600_302600_NS6detail15normal_iteratorINS9_10device_ptrIdEEEESE_d11max_functorIdEdEEDaPvRmT3_T4_T5_mT6_P12ihipStream_tbENKUlT_T0_E_clISt17integral_constantIbLb0EEST_IbLb1EEEEDaSP_SQ_EUlSP_E0_NS1_11comp_targetILNS1_3genE5ELNS1_11target_archE942ELNS1_3gpuE9ELNS1_3repE0EEENS1_30default_config_static_selectorELNS0_4arch9wavefront6targetE1EEEvT1_: ; @_ZN7rocprim17ROCPRIM_400000_NS6detail17trampoline_kernelINS0_14default_configENS1_20scan_config_selectorIdEEZZNS1_9scan_implILNS1_25lookback_scan_determinismE0ELb0ELb0ES3_N6thrust23THRUST_200600_302600_NS6detail15normal_iteratorINS9_10device_ptrIdEEEESE_d11max_functorIdEdEEDaPvRmT3_T4_T5_mT6_P12ihipStream_tbENKUlT_T0_E_clISt17integral_constantIbLb0EEST_IbLb1EEEEDaSP_SQ_EUlSP_E0_NS1_11comp_targetILNS1_3genE5ELNS1_11target_archE942ELNS1_3gpuE9ELNS1_3repE0EEENS1_30default_config_static_selectorELNS0_4arch9wavefront6targetE1EEEvT1_
; %bb.0:
	.section	.rodata,"a",@progbits
	.p2align	6, 0x0
	.amdhsa_kernel _ZN7rocprim17ROCPRIM_400000_NS6detail17trampoline_kernelINS0_14default_configENS1_20scan_config_selectorIdEEZZNS1_9scan_implILNS1_25lookback_scan_determinismE0ELb0ELb0ES3_N6thrust23THRUST_200600_302600_NS6detail15normal_iteratorINS9_10device_ptrIdEEEESE_d11max_functorIdEdEEDaPvRmT3_T4_T5_mT6_P12ihipStream_tbENKUlT_T0_E_clISt17integral_constantIbLb0EEST_IbLb1EEEEDaSP_SQ_EUlSP_E0_NS1_11comp_targetILNS1_3genE5ELNS1_11target_archE942ELNS1_3gpuE9ELNS1_3repE0EEENS1_30default_config_static_selectorELNS0_4arch9wavefront6targetE1EEEvT1_
		.amdhsa_group_segment_fixed_size 0
		.amdhsa_private_segment_fixed_size 0
		.amdhsa_kernarg_size 40
		.amdhsa_user_sgpr_count 6
		.amdhsa_user_sgpr_private_segment_buffer 1
		.amdhsa_user_sgpr_dispatch_ptr 0
		.amdhsa_user_sgpr_queue_ptr 0
		.amdhsa_user_sgpr_kernarg_segment_ptr 1
		.amdhsa_user_sgpr_dispatch_id 0
		.amdhsa_user_sgpr_flat_scratch_init 0
		.amdhsa_user_sgpr_kernarg_preload_length 0
		.amdhsa_user_sgpr_kernarg_preload_offset 0
		.amdhsa_user_sgpr_private_segment_size 0
		.amdhsa_uses_dynamic_stack 0
		.amdhsa_system_sgpr_private_segment_wavefront_offset 0
		.amdhsa_system_sgpr_workgroup_id_x 1
		.amdhsa_system_sgpr_workgroup_id_y 0
		.amdhsa_system_sgpr_workgroup_id_z 0
		.amdhsa_system_sgpr_workgroup_info 0
		.amdhsa_system_vgpr_workitem_id 0
		.amdhsa_next_free_vgpr 1
		.amdhsa_next_free_sgpr 0
		.amdhsa_accum_offset 4
		.amdhsa_reserve_vcc 0
		.amdhsa_reserve_flat_scratch 0
		.amdhsa_float_round_mode_32 0
		.amdhsa_float_round_mode_16_64 0
		.amdhsa_float_denorm_mode_32 3
		.amdhsa_float_denorm_mode_16_64 3
		.amdhsa_dx10_clamp 1
		.amdhsa_ieee_mode 1
		.amdhsa_fp16_overflow 0
		.amdhsa_tg_split 0
		.amdhsa_exception_fp_ieee_invalid_op 0
		.amdhsa_exception_fp_denorm_src 0
		.amdhsa_exception_fp_ieee_div_zero 0
		.amdhsa_exception_fp_ieee_overflow 0
		.amdhsa_exception_fp_ieee_underflow 0
		.amdhsa_exception_fp_ieee_inexact 0
		.amdhsa_exception_int_div_zero 0
	.end_amdhsa_kernel
	.section	.text._ZN7rocprim17ROCPRIM_400000_NS6detail17trampoline_kernelINS0_14default_configENS1_20scan_config_selectorIdEEZZNS1_9scan_implILNS1_25lookback_scan_determinismE0ELb0ELb0ES3_N6thrust23THRUST_200600_302600_NS6detail15normal_iteratorINS9_10device_ptrIdEEEESE_d11max_functorIdEdEEDaPvRmT3_T4_T5_mT6_P12ihipStream_tbENKUlT_T0_E_clISt17integral_constantIbLb0EEST_IbLb1EEEEDaSP_SQ_EUlSP_E0_NS1_11comp_targetILNS1_3genE5ELNS1_11target_archE942ELNS1_3gpuE9ELNS1_3repE0EEENS1_30default_config_static_selectorELNS0_4arch9wavefront6targetE1EEEvT1_,"axG",@progbits,_ZN7rocprim17ROCPRIM_400000_NS6detail17trampoline_kernelINS0_14default_configENS1_20scan_config_selectorIdEEZZNS1_9scan_implILNS1_25lookback_scan_determinismE0ELb0ELb0ES3_N6thrust23THRUST_200600_302600_NS6detail15normal_iteratorINS9_10device_ptrIdEEEESE_d11max_functorIdEdEEDaPvRmT3_T4_T5_mT6_P12ihipStream_tbENKUlT_T0_E_clISt17integral_constantIbLb0EEST_IbLb1EEEEDaSP_SQ_EUlSP_E0_NS1_11comp_targetILNS1_3genE5ELNS1_11target_archE942ELNS1_3gpuE9ELNS1_3repE0EEENS1_30default_config_static_selectorELNS0_4arch9wavefront6targetE1EEEvT1_,comdat
.Lfunc_end1863:
	.size	_ZN7rocprim17ROCPRIM_400000_NS6detail17trampoline_kernelINS0_14default_configENS1_20scan_config_selectorIdEEZZNS1_9scan_implILNS1_25lookback_scan_determinismE0ELb0ELb0ES3_N6thrust23THRUST_200600_302600_NS6detail15normal_iteratorINS9_10device_ptrIdEEEESE_d11max_functorIdEdEEDaPvRmT3_T4_T5_mT6_P12ihipStream_tbENKUlT_T0_E_clISt17integral_constantIbLb0EEST_IbLb1EEEEDaSP_SQ_EUlSP_E0_NS1_11comp_targetILNS1_3genE5ELNS1_11target_archE942ELNS1_3gpuE9ELNS1_3repE0EEENS1_30default_config_static_selectorELNS0_4arch9wavefront6targetE1EEEvT1_, .Lfunc_end1863-_ZN7rocprim17ROCPRIM_400000_NS6detail17trampoline_kernelINS0_14default_configENS1_20scan_config_selectorIdEEZZNS1_9scan_implILNS1_25lookback_scan_determinismE0ELb0ELb0ES3_N6thrust23THRUST_200600_302600_NS6detail15normal_iteratorINS9_10device_ptrIdEEEESE_d11max_functorIdEdEEDaPvRmT3_T4_T5_mT6_P12ihipStream_tbENKUlT_T0_E_clISt17integral_constantIbLb0EEST_IbLb1EEEEDaSP_SQ_EUlSP_E0_NS1_11comp_targetILNS1_3genE5ELNS1_11target_archE942ELNS1_3gpuE9ELNS1_3repE0EEENS1_30default_config_static_selectorELNS0_4arch9wavefront6targetE1EEEvT1_
                                        ; -- End function
	.section	.AMDGPU.csdata,"",@progbits
; Kernel info:
; codeLenInByte = 0
; NumSgprs: 4
; NumVgprs: 0
; NumAgprs: 0
; TotalNumVgprs: 0
; ScratchSize: 0
; MemoryBound: 0
; FloatMode: 240
; IeeeMode: 1
; LDSByteSize: 0 bytes/workgroup (compile time only)
; SGPRBlocks: 0
; VGPRBlocks: 0
; NumSGPRsForWavesPerEU: 4
; NumVGPRsForWavesPerEU: 1
; AccumOffset: 4
; Occupancy: 8
; WaveLimiterHint : 0
; COMPUTE_PGM_RSRC2:SCRATCH_EN: 0
; COMPUTE_PGM_RSRC2:USER_SGPR: 6
; COMPUTE_PGM_RSRC2:TRAP_HANDLER: 0
; COMPUTE_PGM_RSRC2:TGID_X_EN: 1
; COMPUTE_PGM_RSRC2:TGID_Y_EN: 0
; COMPUTE_PGM_RSRC2:TGID_Z_EN: 0
; COMPUTE_PGM_RSRC2:TIDIG_COMP_CNT: 0
; COMPUTE_PGM_RSRC3_GFX90A:ACCUM_OFFSET: 0
; COMPUTE_PGM_RSRC3_GFX90A:TG_SPLIT: 0
	.section	.text._ZN7rocprim17ROCPRIM_400000_NS6detail17trampoline_kernelINS0_14default_configENS1_20scan_config_selectorIdEEZZNS1_9scan_implILNS1_25lookback_scan_determinismE0ELb0ELb0ES3_N6thrust23THRUST_200600_302600_NS6detail15normal_iteratorINS9_10device_ptrIdEEEESE_d11max_functorIdEdEEDaPvRmT3_T4_T5_mT6_P12ihipStream_tbENKUlT_T0_E_clISt17integral_constantIbLb0EEST_IbLb1EEEEDaSP_SQ_EUlSP_E0_NS1_11comp_targetILNS1_3genE4ELNS1_11target_archE910ELNS1_3gpuE8ELNS1_3repE0EEENS1_30default_config_static_selectorELNS0_4arch9wavefront6targetE1EEEvT1_,"axG",@progbits,_ZN7rocprim17ROCPRIM_400000_NS6detail17trampoline_kernelINS0_14default_configENS1_20scan_config_selectorIdEEZZNS1_9scan_implILNS1_25lookback_scan_determinismE0ELb0ELb0ES3_N6thrust23THRUST_200600_302600_NS6detail15normal_iteratorINS9_10device_ptrIdEEEESE_d11max_functorIdEdEEDaPvRmT3_T4_T5_mT6_P12ihipStream_tbENKUlT_T0_E_clISt17integral_constantIbLb0EEST_IbLb1EEEEDaSP_SQ_EUlSP_E0_NS1_11comp_targetILNS1_3genE4ELNS1_11target_archE910ELNS1_3gpuE8ELNS1_3repE0EEENS1_30default_config_static_selectorELNS0_4arch9wavefront6targetE1EEEvT1_,comdat
	.protected	_ZN7rocprim17ROCPRIM_400000_NS6detail17trampoline_kernelINS0_14default_configENS1_20scan_config_selectorIdEEZZNS1_9scan_implILNS1_25lookback_scan_determinismE0ELb0ELb0ES3_N6thrust23THRUST_200600_302600_NS6detail15normal_iteratorINS9_10device_ptrIdEEEESE_d11max_functorIdEdEEDaPvRmT3_T4_T5_mT6_P12ihipStream_tbENKUlT_T0_E_clISt17integral_constantIbLb0EEST_IbLb1EEEEDaSP_SQ_EUlSP_E0_NS1_11comp_targetILNS1_3genE4ELNS1_11target_archE910ELNS1_3gpuE8ELNS1_3repE0EEENS1_30default_config_static_selectorELNS0_4arch9wavefront6targetE1EEEvT1_ ; -- Begin function _ZN7rocprim17ROCPRIM_400000_NS6detail17trampoline_kernelINS0_14default_configENS1_20scan_config_selectorIdEEZZNS1_9scan_implILNS1_25lookback_scan_determinismE0ELb0ELb0ES3_N6thrust23THRUST_200600_302600_NS6detail15normal_iteratorINS9_10device_ptrIdEEEESE_d11max_functorIdEdEEDaPvRmT3_T4_T5_mT6_P12ihipStream_tbENKUlT_T0_E_clISt17integral_constantIbLb0EEST_IbLb1EEEEDaSP_SQ_EUlSP_E0_NS1_11comp_targetILNS1_3genE4ELNS1_11target_archE910ELNS1_3gpuE8ELNS1_3repE0EEENS1_30default_config_static_selectorELNS0_4arch9wavefront6targetE1EEEvT1_
	.globl	_ZN7rocprim17ROCPRIM_400000_NS6detail17trampoline_kernelINS0_14default_configENS1_20scan_config_selectorIdEEZZNS1_9scan_implILNS1_25lookback_scan_determinismE0ELb0ELb0ES3_N6thrust23THRUST_200600_302600_NS6detail15normal_iteratorINS9_10device_ptrIdEEEESE_d11max_functorIdEdEEDaPvRmT3_T4_T5_mT6_P12ihipStream_tbENKUlT_T0_E_clISt17integral_constantIbLb0EEST_IbLb1EEEEDaSP_SQ_EUlSP_E0_NS1_11comp_targetILNS1_3genE4ELNS1_11target_archE910ELNS1_3gpuE8ELNS1_3repE0EEENS1_30default_config_static_selectorELNS0_4arch9wavefront6targetE1EEEvT1_
	.p2align	8
	.type	_ZN7rocprim17ROCPRIM_400000_NS6detail17trampoline_kernelINS0_14default_configENS1_20scan_config_selectorIdEEZZNS1_9scan_implILNS1_25lookback_scan_determinismE0ELb0ELb0ES3_N6thrust23THRUST_200600_302600_NS6detail15normal_iteratorINS9_10device_ptrIdEEEESE_d11max_functorIdEdEEDaPvRmT3_T4_T5_mT6_P12ihipStream_tbENKUlT_T0_E_clISt17integral_constantIbLb0EEST_IbLb1EEEEDaSP_SQ_EUlSP_E0_NS1_11comp_targetILNS1_3genE4ELNS1_11target_archE910ELNS1_3gpuE8ELNS1_3repE0EEENS1_30default_config_static_selectorELNS0_4arch9wavefront6targetE1EEEvT1_,@function
_ZN7rocprim17ROCPRIM_400000_NS6detail17trampoline_kernelINS0_14default_configENS1_20scan_config_selectorIdEEZZNS1_9scan_implILNS1_25lookback_scan_determinismE0ELb0ELb0ES3_N6thrust23THRUST_200600_302600_NS6detail15normal_iteratorINS9_10device_ptrIdEEEESE_d11max_functorIdEdEEDaPvRmT3_T4_T5_mT6_P12ihipStream_tbENKUlT_T0_E_clISt17integral_constantIbLb0EEST_IbLb1EEEEDaSP_SQ_EUlSP_E0_NS1_11comp_targetILNS1_3genE4ELNS1_11target_archE910ELNS1_3gpuE8ELNS1_3repE0EEENS1_30default_config_static_selectorELNS0_4arch9wavefront6targetE1EEEvT1_: ; @_ZN7rocprim17ROCPRIM_400000_NS6detail17trampoline_kernelINS0_14default_configENS1_20scan_config_selectorIdEEZZNS1_9scan_implILNS1_25lookback_scan_determinismE0ELb0ELb0ES3_N6thrust23THRUST_200600_302600_NS6detail15normal_iteratorINS9_10device_ptrIdEEEESE_d11max_functorIdEdEEDaPvRmT3_T4_T5_mT6_P12ihipStream_tbENKUlT_T0_E_clISt17integral_constantIbLb0EEST_IbLb1EEEEDaSP_SQ_EUlSP_E0_NS1_11comp_targetILNS1_3genE4ELNS1_11target_archE910ELNS1_3gpuE8ELNS1_3repE0EEENS1_30default_config_static_selectorELNS0_4arch9wavefront6targetE1EEEvT1_
; %bb.0:
	s_load_dwordx4 s[20:23], s[4:5], 0x0
	v_lshlrev_b32_e32 v26, 3, v0
	s_waitcnt lgkmcnt(0)
	s_load_dwordx2 s[24:25], s[20:21], 0x0
	v_cmp_gt_u32_e32 vcc, s22, v0
	s_waitcnt lgkmcnt(0)
	v_pk_mov_b32 v[2:3], s[24:25], s[24:25] op_sel:[0,1]
	s_and_saveexec_b64 s[0:1], vcc
	s_cbranch_execz .LBB1864_2
; %bb.1:
	global_load_dwordx2 v[2:3], v26, s[20:21]
.LBB1864_2:
	s_or_b64 exec, exec, s[0:1]
	v_or_b32_e32 v1, 0x80, v0
	v_cmp_gt_u32_e64 s[0:1], s22, v1
	v_pk_mov_b32 v[4:5], s[24:25], s[24:25] op_sel:[0,1]
	s_and_saveexec_b64 s[2:3], s[0:1]
	s_cbranch_execz .LBB1864_4
; %bb.3:
	global_load_dwordx2 v[4:5], v26, s[20:21] offset:1024
.LBB1864_4:
	s_or_b64 exec, exec, s[2:3]
	v_or_b32_e32 v1, 0x100, v0
	v_cmp_gt_u32_e64 s[2:3], s22, v1
	v_pk_mov_b32 v[6:7], s[24:25], s[24:25] op_sel:[0,1]
	s_and_saveexec_b64 s[6:7], s[2:3]
	s_cbranch_execz .LBB1864_6
; %bb.5:
	global_load_dwordx2 v[6:7], v26, s[20:21] offset:2048
.LBB1864_6:
	;; [unrolled: 9-line block ×3, first 2 shown]
	s_or_b64 exec, exec, s[6:7]
	v_or_b32_e32 v1, 0x200, v0
	v_cmp_gt_u32_e64 s[6:7], s22, v1
	v_pk_mov_b32 v[10:11], s[24:25], s[24:25] op_sel:[0,1]
	s_and_saveexec_b64 s[8:9], s[6:7]
	s_cbranch_execz .LBB1864_10
; %bb.9:
	v_lshlrev_b32_e32 v1, 3, v1
	global_load_dwordx2 v[10:11], v1, s[20:21]
.LBB1864_10:
	s_or_b64 exec, exec, s[8:9]
	v_or_b32_e32 v1, 0x280, v0
	v_cmp_gt_u32_e64 s[8:9], s22, v1
	v_pk_mov_b32 v[12:13], s[24:25], s[24:25] op_sel:[0,1]
	s_and_saveexec_b64 s[10:11], s[8:9]
	s_cbranch_execz .LBB1864_12
; %bb.11:
	v_lshlrev_b32_e32 v1, 3, v1
	global_load_dwordx2 v[12:13], v1, s[20:21]
.LBB1864_12:
	;; [unrolled: 10-line block ×6, first 2 shown]
	s_or_b64 exec, exec, s[22:23]
	s_movk_i32 s20, 0x48
	v_mad_u32_u24 v1, v0, s20, v26
	s_waitcnt vmcnt(0)
	ds_write2st64_b64 v26, v[2:3], v[4:5] offset1:2
	ds_write2st64_b64 v26, v[6:7], v[8:9] offset0:4 offset1:6
	ds_write2st64_b64 v26, v[10:11], v[12:13] offset0:8 offset1:10
	;; [unrolled: 1-line block ×4, first 2 shown]
	s_waitcnt lgkmcnt(0)
	s_barrier
	ds_read_b128 v[2:5], v1
	ds_read_b128 v[18:21], v1 offset:16
	ds_read_b128 v[10:13], v1 offset:32
	;; [unrolled: 1-line block ×4, first 2 shown]
	s_waitcnt lgkmcnt(4)
	v_cmp_lt_f64_e64 s[20:21], v[2:3], v[4:5]
	v_cndmask_b32_e64 v23, v3, v5, s[20:21]
	v_cndmask_b32_e64 v22, v2, v4, s[20:21]
	s_waitcnt lgkmcnt(3)
	v_cmp_lt_f64_e64 s[20:21], v[22:23], v[18:19]
	v_cndmask_b32_e64 v23, v23, v19, s[20:21]
	v_cndmask_b32_e64 v22, v22, v18, s[20:21]
	v_cmp_lt_f64_e64 s[20:21], v[22:23], v[20:21]
	v_cndmask_b32_e64 v23, v23, v21, s[20:21]
	v_cndmask_b32_e64 v22, v22, v20, s[20:21]
	s_waitcnt lgkmcnt(2)
	v_cmp_lt_f64_e64 s[20:21], v[22:23], v[10:11]
	v_cndmask_b32_e64 v23, v23, v11, s[20:21]
	v_cndmask_b32_e64 v22, v22, v10, s[20:21]
	;; [unrolled: 7-line block ×4, first 2 shown]
	v_mbcnt_lo_u32_b32 v24, -1, 0
	v_cmp_lt_f64_e64 s[20:21], v[22:23], v[16:17]
	v_mbcnt_hi_u32_b32 v27, -1, v24
	v_cndmask_b32_e64 v23, v23, v17, s[20:21]
	v_cndmask_b32_e64 v22, v22, v16, s[20:21]
	v_and_b32_e32 v28, 15, v27
	v_mov_b32_dpp v25, v23 row_shr:1 row_mask:0xf bank_mask:0xf
	v_mov_b32_dpp v24, v22 row_shr:1 row_mask:0xf bank_mask:0xf
	v_cmp_ne_u32_e64 s[20:21], 0, v28
	s_barrier
	s_and_saveexec_b64 s[22:23], s[20:21]
; %bb.21:
	v_cmp_gt_f64_e64 s[20:21], v[22:23], v[24:25]
	v_cndmask_b32_e64 v23, v25, v23, s[20:21]
	v_cndmask_b32_e64 v22, v24, v22, s[20:21]
; %bb.22:
	s_or_b64 exec, exec, s[22:23]
	s_nop 0
	v_mov_b32_dpp v24, v22 row_shr:2 row_mask:0xf bank_mask:0xf
	v_mov_b32_dpp v25, v23 row_shr:2 row_mask:0xf bank_mask:0xf
	v_cmp_lt_u32_e64 s[20:21], 1, v28
	s_and_saveexec_b64 s[22:23], s[20:21]
; %bb.23:
	v_cmp_gt_f64_e64 s[20:21], v[22:23], v[24:25]
	v_cndmask_b32_e64 v23, v25, v23, s[20:21]
	v_cndmask_b32_e64 v22, v24, v22, s[20:21]
; %bb.24:
	s_or_b64 exec, exec, s[22:23]
	s_nop 0
	v_mov_b32_dpp v24, v22 row_shr:4 row_mask:0xf bank_mask:0xf
	v_mov_b32_dpp v25, v23 row_shr:4 row_mask:0xf bank_mask:0xf
	v_cmp_lt_u32_e64 s[20:21], 3, v28
	;; [unrolled: 11-line block ×3, first 2 shown]
	s_and_saveexec_b64 s[22:23], s[20:21]
; %bb.27:
	v_cmp_gt_f64_e64 s[20:21], v[22:23], v[24:25]
	v_cndmask_b32_e64 v23, v25, v23, s[20:21]
	v_cndmask_b32_e64 v22, v24, v22, s[20:21]
; %bb.28:
	s_or_b64 exec, exec, s[22:23]
	v_and_b32_e32 v28, 16, v27
	v_mov_b32_dpp v24, v22 row_bcast:15 row_mask:0xf bank_mask:0xf
	v_mov_b32_dpp v25, v23 row_bcast:15 row_mask:0xf bank_mask:0xf
	v_cmp_ne_u32_e64 s[20:21], 0, v28
	s_and_saveexec_b64 s[22:23], s[20:21]
; %bb.29:
	v_cmp_gt_f64_e64 s[20:21], v[22:23], v[24:25]
	v_cndmask_b32_e64 v23, v25, v23, s[20:21]
	v_cndmask_b32_e64 v22, v24, v22, s[20:21]
; %bb.30:
	s_or_b64 exec, exec, s[22:23]
	s_nop 0
	v_mov_b32_dpp v24, v22 row_bcast:31 row_mask:0xf bank_mask:0xf
	v_mov_b32_dpp v25, v23 row_bcast:31 row_mask:0xf bank_mask:0xf
	v_cmp_gt_f64_e64 s[20:21], v[22:23], v[24:25]
	v_cndmask_b32_e64 v24, v24, v22, s[20:21]
	v_cndmask_b32_e64 v25, v25, v23, s[20:21]
	v_cmp_lt_u32_e64 s[20:21], 31, v27
	v_cndmask_b32_e64 v22, v22, v24, s[20:21]
	v_or_b32_e32 v24, 63, v0
	v_cndmask_b32_e64 v23, v23, v25, s[20:21]
	v_lshrrev_b32_e32 v28, 6, v0
	v_cmp_eq_u32_e64 s[20:21], v24, v0
	s_and_saveexec_b64 s[22:23], s[20:21]
	s_cbranch_execz .LBB1864_32
; %bb.31:
	v_lshlrev_b32_e32 v24, 3, v28
	ds_write_b64 v24, v[22:23]
.LBB1864_32:
	s_or_b64 exec, exec, s[22:23]
	v_cmp_gt_u32_e64 s[20:21], 2, v0
	s_waitcnt lgkmcnt(0)
	s_barrier
	s_and_saveexec_b64 s[24:25], s[20:21]
	s_cbranch_execz .LBB1864_34
; %bb.33:
	ds_read_b64 v[24:25], v26
	v_and_b32_e32 v29, 1, v27
	v_cmp_eq_u32_e64 s[20:21], 0, v29
	s_waitcnt lgkmcnt(0)
	v_mov_b32_dpp v32, v25 row_shr:1 row_mask:0xf bank_mask:0xf
	v_mov_b32_dpp v30, v24 row_shr:1 row_mask:0xf bank_mask:0xf
	v_mov_b32_e32 v31, v32
	v_cmp_gt_f64_e64 s[22:23], v[24:25], v[30:31]
	s_or_b64 s[20:21], s[20:21], s[22:23]
	v_cndmask_b32_e64 v25, v32, v25, s[20:21]
	v_cndmask_b32_e64 v24, v30, v24, s[20:21]
	ds_write_b64 v26, v[24:25]
.LBB1864_34:
	s_or_b64 exec, exec, s[24:25]
	s_load_dwordx2 s[20:21], s[4:5], 0x20
	v_cmp_lt_u32_e64 s[4:5], 63, v0
	s_waitcnt lgkmcnt(0)
	s_barrier
	s_waitcnt lgkmcnt(0)
                                        ; implicit-def: $vgpr24_vgpr25
	s_and_saveexec_b64 s[22:23], s[4:5]
	s_cbranch_execz .LBB1864_36
; %bb.35:
	v_lshl_add_u32 v24, v28, 3, -8
	ds_read_b64 v[24:25], v24
	s_waitcnt lgkmcnt(0)
	v_cmp_lt_f64_e64 s[4:5], v[24:25], v[22:23]
	v_cndmask_b32_e64 v23, v25, v23, s[4:5]
	v_cndmask_b32_e64 v22, v24, v22, s[4:5]
.LBB1864_36:
	s_or_b64 exec, exec, s[22:23]
	v_add_u32_e32 v28, -1, v27
	v_and_b32_e32 v29, 64, v27
	v_cmp_lt_i32_e64 s[4:5], v28, v29
	v_cndmask_b32_e64 v28, v28, v27, s[4:5]
	v_lshlrev_b32_e32 v28, 2, v28
	ds_bpermute_b32 v22, v28, v22
	ds_bpermute_b32 v23, v28, v23
	v_cmp_ne_u32_e64 s[4:5], 0, v0
	s_and_saveexec_b64 s[22:23], s[4:5]
	s_cbranch_execz .LBB1864_38
; %bb.37:
	v_cmp_eq_u32_e64 s[4:5], 0, v27
	s_waitcnt lgkmcnt(0)
	v_cndmask_b32_e64 v23, v23, v25, s[4:5]
	v_cndmask_b32_e64 v22, v22, v24, s[4:5]
	v_cmp_gt_f64_e64 s[4:5], v[2:3], v[22:23]
	v_cndmask_b32_e64 v3, v23, v3, s[4:5]
	v_cndmask_b32_e64 v2, v22, v2, s[4:5]
	;;#ASMSTART
	;;#ASMEND
.LBB1864_38:
	s_or_b64 exec, exec, s[22:23]
	v_cmp_gt_f64_e64 s[4:5], v[4:5], v[2:3]
	v_cndmask_b32_e64 v5, v3, v5, s[4:5]
	v_cndmask_b32_e64 v4, v2, v4, s[4:5]
	v_cmp_lt_f64_e64 s[4:5], v[4:5], v[18:19]
	v_cndmask_b32_e64 v19, v5, v19, s[4:5]
	v_cndmask_b32_e64 v18, v4, v18, s[4:5]
	v_cmp_lt_f64_e64 s[4:5], v[18:19], v[20:21]
	;; [unrolled: 3-line block ×8, first 2 shown]
	v_cndmask_b32_e64 v17, v15, v17, s[4:5]
	v_cndmask_b32_e64 v16, v14, v16, s[4:5]
	s_movk_i32 s4, 0xffb8
	v_mad_i32_i24 v0, v0, s4, v1
	s_waitcnt lgkmcnt(0)
	s_barrier
	ds_write_b128 v1, v[2:5]
	ds_write_b128 v1, v[18:21] offset:16
	ds_write_b128 v1, v[10:13] offset:32
	;; [unrolled: 1-line block ×4, first 2 shown]
	s_waitcnt lgkmcnt(0)
	s_barrier
	ds_read2st64_b64 v[12:15], v0 offset0:2 offset1:4
	ds_read2st64_b64 v[8:11], v0 offset0:6 offset1:8
	;; [unrolled: 1-line block ×4, first 2 shown]
	ds_read_b64 v[18:19], v26 offset:8192
	v_mov_b32_e32 v17, s21
	v_add_co_u32_e64 v16, s[4:5], s20, v26
	v_addc_co_u32_e64 v17, s[4:5], 0, v17, s[4:5]
	s_and_saveexec_b64 s[4:5], vcc
	s_cbranch_execnz .LBB1864_49
; %bb.39:
	s_or_b64 exec, exec, s[4:5]
	s_and_saveexec_b64 s[4:5], s[0:1]
	s_cbranch_execnz .LBB1864_50
.LBB1864_40:
	s_or_b64 exec, exec, s[4:5]
	s_and_saveexec_b64 s[0:1], s[2:3]
	s_cbranch_execnz .LBB1864_51
.LBB1864_41:
	s_or_b64 exec, exec, s[0:1]
	s_and_saveexec_b64 s[0:1], s[18:19]
	s_cbranch_execnz .LBB1864_52
.LBB1864_42:
	s_or_b64 exec, exec, s[0:1]
	s_and_saveexec_b64 s[0:1], s[6:7]
	s_cbranch_execnz .LBB1864_53
.LBB1864_43:
	s_or_b64 exec, exec, s[0:1]
	s_and_saveexec_b64 s[0:1], s[8:9]
	s_cbranch_execnz .LBB1864_54
.LBB1864_44:
	s_or_b64 exec, exec, s[0:1]
	s_and_saveexec_b64 s[0:1], s[10:11]
	s_cbranch_execnz .LBB1864_55
.LBB1864_45:
	s_or_b64 exec, exec, s[0:1]
	s_and_saveexec_b64 s[0:1], s[12:13]
	s_cbranch_execnz .LBB1864_56
.LBB1864_46:
	s_or_b64 exec, exec, s[0:1]
	s_and_saveexec_b64 s[0:1], s[14:15]
	s_cbranch_execnz .LBB1864_57
.LBB1864_47:
	s_or_b64 exec, exec, s[0:1]
	s_and_saveexec_b64 s[0:1], s[16:17]
	s_cbranch_execnz .LBB1864_58
.LBB1864_48:
	s_endpgm
.LBB1864_49:
	ds_read_b64 v[20:21], v26
	s_waitcnt lgkmcnt(0)
	global_store_dwordx2 v[16:17], v[20:21], off
	s_or_b64 exec, exec, s[4:5]
	s_and_saveexec_b64 s[4:5], s[0:1]
	s_cbranch_execz .LBB1864_40
.LBB1864_50:
	s_waitcnt lgkmcnt(4)
	global_store_dwordx2 v[16:17], v[12:13], off offset:1024
	s_or_b64 exec, exec, s[4:5]
	s_and_saveexec_b64 s[0:1], s[2:3]
	s_cbranch_execz .LBB1864_41
.LBB1864_51:
	s_waitcnt lgkmcnt(4)
	global_store_dwordx2 v[16:17], v[14:15], off offset:2048
	s_or_b64 exec, exec, s[0:1]
	s_and_saveexec_b64 s[0:1], s[18:19]
	s_cbranch_execz .LBB1864_42
.LBB1864_52:
	s_waitcnt lgkmcnt(3)
	global_store_dwordx2 v[16:17], v[8:9], off offset:3072
	s_or_b64 exec, exec, s[0:1]
	s_and_saveexec_b64 s[0:1], s[6:7]
	s_cbranch_execz .LBB1864_43
.LBB1864_53:
	s_waitcnt lgkmcnt(3)
	v_add_co_u32_e32 v8, vcc, 0x1000, v16
	v_addc_co_u32_e32 v9, vcc, 0, v17, vcc
	global_store_dwordx2 v[8:9], v[10:11], off
	s_or_b64 exec, exec, s[0:1]
	s_and_saveexec_b64 s[0:1], s[8:9]
	s_cbranch_execz .LBB1864_44
.LBB1864_54:
	s_waitcnt lgkmcnt(3)
	v_add_co_u32_e32 v8, vcc, 0x1000, v16
	v_addc_co_u32_e32 v9, vcc, 0, v17, vcc
	s_waitcnt lgkmcnt(2)
	global_store_dwordx2 v[8:9], v[4:5], off offset:1024
	s_or_b64 exec, exec, s[0:1]
	s_and_saveexec_b64 s[0:1], s[10:11]
	s_cbranch_execz .LBB1864_45
.LBB1864_55:
	s_waitcnt lgkmcnt(2)
	v_add_co_u32_e32 v4, vcc, 0x1000, v16
	v_addc_co_u32_e32 v5, vcc, 0, v17, vcc
	global_store_dwordx2 v[4:5], v[6:7], off offset:2048
	s_or_b64 exec, exec, s[0:1]
	s_and_saveexec_b64 s[0:1], s[12:13]
	s_cbranch_execz .LBB1864_46
.LBB1864_56:
	s_waitcnt lgkmcnt(2)
	v_add_co_u32_e32 v4, vcc, 0x1000, v16
	v_addc_co_u32_e32 v5, vcc, 0, v17, vcc
	s_waitcnt lgkmcnt(1)
	global_store_dwordx2 v[4:5], v[0:1], off offset:3072
	s_or_b64 exec, exec, s[0:1]
	s_and_saveexec_b64 s[0:1], s[14:15]
	s_cbranch_execz .LBB1864_47
.LBB1864_57:
	s_waitcnt lgkmcnt(1)
	v_add_co_u32_e32 v0, vcc, 0x2000, v16
	v_addc_co_u32_e32 v1, vcc, 0, v17, vcc
	s_waitcnt lgkmcnt(0)
	global_store_dwordx2 v[0:1], v[18:19], off
	s_or_b64 exec, exec, s[0:1]
	s_and_saveexec_b64 s[0:1], s[16:17]
	s_cbranch_execz .LBB1864_48
.LBB1864_58:
	s_waitcnt lgkmcnt(1)
	v_add_co_u32_e32 v0, vcc, 0x2000, v16
	v_addc_co_u32_e32 v1, vcc, 0, v17, vcc
	global_store_dwordx2 v[0:1], v[2:3], off offset:1024
	s_endpgm
	.section	.rodata,"a",@progbits
	.p2align	6, 0x0
	.amdhsa_kernel _ZN7rocprim17ROCPRIM_400000_NS6detail17trampoline_kernelINS0_14default_configENS1_20scan_config_selectorIdEEZZNS1_9scan_implILNS1_25lookback_scan_determinismE0ELb0ELb0ES3_N6thrust23THRUST_200600_302600_NS6detail15normal_iteratorINS9_10device_ptrIdEEEESE_d11max_functorIdEdEEDaPvRmT3_T4_T5_mT6_P12ihipStream_tbENKUlT_T0_E_clISt17integral_constantIbLb0EEST_IbLb1EEEEDaSP_SQ_EUlSP_E0_NS1_11comp_targetILNS1_3genE4ELNS1_11target_archE910ELNS1_3gpuE8ELNS1_3repE0EEENS1_30default_config_static_selectorELNS0_4arch9wavefront6targetE1EEEvT1_
		.amdhsa_group_segment_fixed_size 10240
		.amdhsa_private_segment_fixed_size 0
		.amdhsa_kernarg_size 40
		.amdhsa_user_sgpr_count 6
		.amdhsa_user_sgpr_private_segment_buffer 1
		.amdhsa_user_sgpr_dispatch_ptr 0
		.amdhsa_user_sgpr_queue_ptr 0
		.amdhsa_user_sgpr_kernarg_segment_ptr 1
		.amdhsa_user_sgpr_dispatch_id 0
		.amdhsa_user_sgpr_flat_scratch_init 0
		.amdhsa_user_sgpr_kernarg_preload_length 0
		.amdhsa_user_sgpr_kernarg_preload_offset 0
		.amdhsa_user_sgpr_private_segment_size 0
		.amdhsa_uses_dynamic_stack 0
		.amdhsa_system_sgpr_private_segment_wavefront_offset 0
		.amdhsa_system_sgpr_workgroup_id_x 1
		.amdhsa_system_sgpr_workgroup_id_y 0
		.amdhsa_system_sgpr_workgroup_id_z 0
		.amdhsa_system_sgpr_workgroup_info 0
		.amdhsa_system_vgpr_workitem_id 0
		.amdhsa_next_free_vgpr 33
		.amdhsa_next_free_sgpr 26
		.amdhsa_accum_offset 36
		.amdhsa_reserve_vcc 1
		.amdhsa_reserve_flat_scratch 0
		.amdhsa_float_round_mode_32 0
		.amdhsa_float_round_mode_16_64 0
		.amdhsa_float_denorm_mode_32 3
		.amdhsa_float_denorm_mode_16_64 3
		.amdhsa_dx10_clamp 1
		.amdhsa_ieee_mode 1
		.amdhsa_fp16_overflow 0
		.amdhsa_tg_split 0
		.amdhsa_exception_fp_ieee_invalid_op 0
		.amdhsa_exception_fp_denorm_src 0
		.amdhsa_exception_fp_ieee_div_zero 0
		.amdhsa_exception_fp_ieee_overflow 0
		.amdhsa_exception_fp_ieee_underflow 0
		.amdhsa_exception_fp_ieee_inexact 0
		.amdhsa_exception_int_div_zero 0
	.end_amdhsa_kernel
	.section	.text._ZN7rocprim17ROCPRIM_400000_NS6detail17trampoline_kernelINS0_14default_configENS1_20scan_config_selectorIdEEZZNS1_9scan_implILNS1_25lookback_scan_determinismE0ELb0ELb0ES3_N6thrust23THRUST_200600_302600_NS6detail15normal_iteratorINS9_10device_ptrIdEEEESE_d11max_functorIdEdEEDaPvRmT3_T4_T5_mT6_P12ihipStream_tbENKUlT_T0_E_clISt17integral_constantIbLb0EEST_IbLb1EEEEDaSP_SQ_EUlSP_E0_NS1_11comp_targetILNS1_3genE4ELNS1_11target_archE910ELNS1_3gpuE8ELNS1_3repE0EEENS1_30default_config_static_selectorELNS0_4arch9wavefront6targetE1EEEvT1_,"axG",@progbits,_ZN7rocprim17ROCPRIM_400000_NS6detail17trampoline_kernelINS0_14default_configENS1_20scan_config_selectorIdEEZZNS1_9scan_implILNS1_25lookback_scan_determinismE0ELb0ELb0ES3_N6thrust23THRUST_200600_302600_NS6detail15normal_iteratorINS9_10device_ptrIdEEEESE_d11max_functorIdEdEEDaPvRmT3_T4_T5_mT6_P12ihipStream_tbENKUlT_T0_E_clISt17integral_constantIbLb0EEST_IbLb1EEEEDaSP_SQ_EUlSP_E0_NS1_11comp_targetILNS1_3genE4ELNS1_11target_archE910ELNS1_3gpuE8ELNS1_3repE0EEENS1_30default_config_static_selectorELNS0_4arch9wavefront6targetE1EEEvT1_,comdat
.Lfunc_end1864:
	.size	_ZN7rocprim17ROCPRIM_400000_NS6detail17trampoline_kernelINS0_14default_configENS1_20scan_config_selectorIdEEZZNS1_9scan_implILNS1_25lookback_scan_determinismE0ELb0ELb0ES3_N6thrust23THRUST_200600_302600_NS6detail15normal_iteratorINS9_10device_ptrIdEEEESE_d11max_functorIdEdEEDaPvRmT3_T4_T5_mT6_P12ihipStream_tbENKUlT_T0_E_clISt17integral_constantIbLb0EEST_IbLb1EEEEDaSP_SQ_EUlSP_E0_NS1_11comp_targetILNS1_3genE4ELNS1_11target_archE910ELNS1_3gpuE8ELNS1_3repE0EEENS1_30default_config_static_selectorELNS0_4arch9wavefront6targetE1EEEvT1_, .Lfunc_end1864-_ZN7rocprim17ROCPRIM_400000_NS6detail17trampoline_kernelINS0_14default_configENS1_20scan_config_selectorIdEEZZNS1_9scan_implILNS1_25lookback_scan_determinismE0ELb0ELb0ES3_N6thrust23THRUST_200600_302600_NS6detail15normal_iteratorINS9_10device_ptrIdEEEESE_d11max_functorIdEdEEDaPvRmT3_T4_T5_mT6_P12ihipStream_tbENKUlT_T0_E_clISt17integral_constantIbLb0EEST_IbLb1EEEEDaSP_SQ_EUlSP_E0_NS1_11comp_targetILNS1_3genE4ELNS1_11target_archE910ELNS1_3gpuE8ELNS1_3repE0EEENS1_30default_config_static_selectorELNS0_4arch9wavefront6targetE1EEEvT1_
                                        ; -- End function
	.section	.AMDGPU.csdata,"",@progbits
; Kernel info:
; codeLenInByte = 2344
; NumSgprs: 30
; NumVgprs: 33
; NumAgprs: 0
; TotalNumVgprs: 33
; ScratchSize: 0
; MemoryBound: 0
; FloatMode: 240
; IeeeMode: 1
; LDSByteSize: 10240 bytes/workgroup (compile time only)
; SGPRBlocks: 3
; VGPRBlocks: 4
; NumSGPRsForWavesPerEU: 30
; NumVGPRsForWavesPerEU: 33
; AccumOffset: 36
; Occupancy: 3
; WaveLimiterHint : 0
; COMPUTE_PGM_RSRC2:SCRATCH_EN: 0
; COMPUTE_PGM_RSRC2:USER_SGPR: 6
; COMPUTE_PGM_RSRC2:TRAP_HANDLER: 0
; COMPUTE_PGM_RSRC2:TGID_X_EN: 1
; COMPUTE_PGM_RSRC2:TGID_Y_EN: 0
; COMPUTE_PGM_RSRC2:TGID_Z_EN: 0
; COMPUTE_PGM_RSRC2:TIDIG_COMP_CNT: 0
; COMPUTE_PGM_RSRC3_GFX90A:ACCUM_OFFSET: 8
; COMPUTE_PGM_RSRC3_GFX90A:TG_SPLIT: 0
	.section	.text._ZN7rocprim17ROCPRIM_400000_NS6detail17trampoline_kernelINS0_14default_configENS1_20scan_config_selectorIdEEZZNS1_9scan_implILNS1_25lookback_scan_determinismE0ELb0ELb0ES3_N6thrust23THRUST_200600_302600_NS6detail15normal_iteratorINS9_10device_ptrIdEEEESE_d11max_functorIdEdEEDaPvRmT3_T4_T5_mT6_P12ihipStream_tbENKUlT_T0_E_clISt17integral_constantIbLb0EEST_IbLb1EEEEDaSP_SQ_EUlSP_E0_NS1_11comp_targetILNS1_3genE3ELNS1_11target_archE908ELNS1_3gpuE7ELNS1_3repE0EEENS1_30default_config_static_selectorELNS0_4arch9wavefront6targetE1EEEvT1_,"axG",@progbits,_ZN7rocprim17ROCPRIM_400000_NS6detail17trampoline_kernelINS0_14default_configENS1_20scan_config_selectorIdEEZZNS1_9scan_implILNS1_25lookback_scan_determinismE0ELb0ELb0ES3_N6thrust23THRUST_200600_302600_NS6detail15normal_iteratorINS9_10device_ptrIdEEEESE_d11max_functorIdEdEEDaPvRmT3_T4_T5_mT6_P12ihipStream_tbENKUlT_T0_E_clISt17integral_constantIbLb0EEST_IbLb1EEEEDaSP_SQ_EUlSP_E0_NS1_11comp_targetILNS1_3genE3ELNS1_11target_archE908ELNS1_3gpuE7ELNS1_3repE0EEENS1_30default_config_static_selectorELNS0_4arch9wavefront6targetE1EEEvT1_,comdat
	.protected	_ZN7rocprim17ROCPRIM_400000_NS6detail17trampoline_kernelINS0_14default_configENS1_20scan_config_selectorIdEEZZNS1_9scan_implILNS1_25lookback_scan_determinismE0ELb0ELb0ES3_N6thrust23THRUST_200600_302600_NS6detail15normal_iteratorINS9_10device_ptrIdEEEESE_d11max_functorIdEdEEDaPvRmT3_T4_T5_mT6_P12ihipStream_tbENKUlT_T0_E_clISt17integral_constantIbLb0EEST_IbLb1EEEEDaSP_SQ_EUlSP_E0_NS1_11comp_targetILNS1_3genE3ELNS1_11target_archE908ELNS1_3gpuE7ELNS1_3repE0EEENS1_30default_config_static_selectorELNS0_4arch9wavefront6targetE1EEEvT1_ ; -- Begin function _ZN7rocprim17ROCPRIM_400000_NS6detail17trampoline_kernelINS0_14default_configENS1_20scan_config_selectorIdEEZZNS1_9scan_implILNS1_25lookback_scan_determinismE0ELb0ELb0ES3_N6thrust23THRUST_200600_302600_NS6detail15normal_iteratorINS9_10device_ptrIdEEEESE_d11max_functorIdEdEEDaPvRmT3_T4_T5_mT6_P12ihipStream_tbENKUlT_T0_E_clISt17integral_constantIbLb0EEST_IbLb1EEEEDaSP_SQ_EUlSP_E0_NS1_11comp_targetILNS1_3genE3ELNS1_11target_archE908ELNS1_3gpuE7ELNS1_3repE0EEENS1_30default_config_static_selectorELNS0_4arch9wavefront6targetE1EEEvT1_
	.globl	_ZN7rocprim17ROCPRIM_400000_NS6detail17trampoline_kernelINS0_14default_configENS1_20scan_config_selectorIdEEZZNS1_9scan_implILNS1_25lookback_scan_determinismE0ELb0ELb0ES3_N6thrust23THRUST_200600_302600_NS6detail15normal_iteratorINS9_10device_ptrIdEEEESE_d11max_functorIdEdEEDaPvRmT3_T4_T5_mT6_P12ihipStream_tbENKUlT_T0_E_clISt17integral_constantIbLb0EEST_IbLb1EEEEDaSP_SQ_EUlSP_E0_NS1_11comp_targetILNS1_3genE3ELNS1_11target_archE908ELNS1_3gpuE7ELNS1_3repE0EEENS1_30default_config_static_selectorELNS0_4arch9wavefront6targetE1EEEvT1_
	.p2align	8
	.type	_ZN7rocprim17ROCPRIM_400000_NS6detail17trampoline_kernelINS0_14default_configENS1_20scan_config_selectorIdEEZZNS1_9scan_implILNS1_25lookback_scan_determinismE0ELb0ELb0ES3_N6thrust23THRUST_200600_302600_NS6detail15normal_iteratorINS9_10device_ptrIdEEEESE_d11max_functorIdEdEEDaPvRmT3_T4_T5_mT6_P12ihipStream_tbENKUlT_T0_E_clISt17integral_constantIbLb0EEST_IbLb1EEEEDaSP_SQ_EUlSP_E0_NS1_11comp_targetILNS1_3genE3ELNS1_11target_archE908ELNS1_3gpuE7ELNS1_3repE0EEENS1_30default_config_static_selectorELNS0_4arch9wavefront6targetE1EEEvT1_,@function
_ZN7rocprim17ROCPRIM_400000_NS6detail17trampoline_kernelINS0_14default_configENS1_20scan_config_selectorIdEEZZNS1_9scan_implILNS1_25lookback_scan_determinismE0ELb0ELb0ES3_N6thrust23THRUST_200600_302600_NS6detail15normal_iteratorINS9_10device_ptrIdEEEESE_d11max_functorIdEdEEDaPvRmT3_T4_T5_mT6_P12ihipStream_tbENKUlT_T0_E_clISt17integral_constantIbLb0EEST_IbLb1EEEEDaSP_SQ_EUlSP_E0_NS1_11comp_targetILNS1_3genE3ELNS1_11target_archE908ELNS1_3gpuE7ELNS1_3repE0EEENS1_30default_config_static_selectorELNS0_4arch9wavefront6targetE1EEEvT1_: ; @_ZN7rocprim17ROCPRIM_400000_NS6detail17trampoline_kernelINS0_14default_configENS1_20scan_config_selectorIdEEZZNS1_9scan_implILNS1_25lookback_scan_determinismE0ELb0ELb0ES3_N6thrust23THRUST_200600_302600_NS6detail15normal_iteratorINS9_10device_ptrIdEEEESE_d11max_functorIdEdEEDaPvRmT3_T4_T5_mT6_P12ihipStream_tbENKUlT_T0_E_clISt17integral_constantIbLb0EEST_IbLb1EEEEDaSP_SQ_EUlSP_E0_NS1_11comp_targetILNS1_3genE3ELNS1_11target_archE908ELNS1_3gpuE7ELNS1_3repE0EEENS1_30default_config_static_selectorELNS0_4arch9wavefront6targetE1EEEvT1_
; %bb.0:
	.section	.rodata,"a",@progbits
	.p2align	6, 0x0
	.amdhsa_kernel _ZN7rocprim17ROCPRIM_400000_NS6detail17trampoline_kernelINS0_14default_configENS1_20scan_config_selectorIdEEZZNS1_9scan_implILNS1_25lookback_scan_determinismE0ELb0ELb0ES3_N6thrust23THRUST_200600_302600_NS6detail15normal_iteratorINS9_10device_ptrIdEEEESE_d11max_functorIdEdEEDaPvRmT3_T4_T5_mT6_P12ihipStream_tbENKUlT_T0_E_clISt17integral_constantIbLb0EEST_IbLb1EEEEDaSP_SQ_EUlSP_E0_NS1_11comp_targetILNS1_3genE3ELNS1_11target_archE908ELNS1_3gpuE7ELNS1_3repE0EEENS1_30default_config_static_selectorELNS0_4arch9wavefront6targetE1EEEvT1_
		.amdhsa_group_segment_fixed_size 0
		.amdhsa_private_segment_fixed_size 0
		.amdhsa_kernarg_size 40
		.amdhsa_user_sgpr_count 6
		.amdhsa_user_sgpr_private_segment_buffer 1
		.amdhsa_user_sgpr_dispatch_ptr 0
		.amdhsa_user_sgpr_queue_ptr 0
		.amdhsa_user_sgpr_kernarg_segment_ptr 1
		.amdhsa_user_sgpr_dispatch_id 0
		.amdhsa_user_sgpr_flat_scratch_init 0
		.amdhsa_user_sgpr_kernarg_preload_length 0
		.amdhsa_user_sgpr_kernarg_preload_offset 0
		.amdhsa_user_sgpr_private_segment_size 0
		.amdhsa_uses_dynamic_stack 0
		.amdhsa_system_sgpr_private_segment_wavefront_offset 0
		.amdhsa_system_sgpr_workgroup_id_x 1
		.amdhsa_system_sgpr_workgroup_id_y 0
		.amdhsa_system_sgpr_workgroup_id_z 0
		.amdhsa_system_sgpr_workgroup_info 0
		.amdhsa_system_vgpr_workitem_id 0
		.amdhsa_next_free_vgpr 1
		.amdhsa_next_free_sgpr 0
		.amdhsa_accum_offset 4
		.amdhsa_reserve_vcc 0
		.amdhsa_reserve_flat_scratch 0
		.amdhsa_float_round_mode_32 0
		.amdhsa_float_round_mode_16_64 0
		.amdhsa_float_denorm_mode_32 3
		.amdhsa_float_denorm_mode_16_64 3
		.amdhsa_dx10_clamp 1
		.amdhsa_ieee_mode 1
		.amdhsa_fp16_overflow 0
		.amdhsa_tg_split 0
		.amdhsa_exception_fp_ieee_invalid_op 0
		.amdhsa_exception_fp_denorm_src 0
		.amdhsa_exception_fp_ieee_div_zero 0
		.amdhsa_exception_fp_ieee_overflow 0
		.amdhsa_exception_fp_ieee_underflow 0
		.amdhsa_exception_fp_ieee_inexact 0
		.amdhsa_exception_int_div_zero 0
	.end_amdhsa_kernel
	.section	.text._ZN7rocprim17ROCPRIM_400000_NS6detail17trampoline_kernelINS0_14default_configENS1_20scan_config_selectorIdEEZZNS1_9scan_implILNS1_25lookback_scan_determinismE0ELb0ELb0ES3_N6thrust23THRUST_200600_302600_NS6detail15normal_iteratorINS9_10device_ptrIdEEEESE_d11max_functorIdEdEEDaPvRmT3_T4_T5_mT6_P12ihipStream_tbENKUlT_T0_E_clISt17integral_constantIbLb0EEST_IbLb1EEEEDaSP_SQ_EUlSP_E0_NS1_11comp_targetILNS1_3genE3ELNS1_11target_archE908ELNS1_3gpuE7ELNS1_3repE0EEENS1_30default_config_static_selectorELNS0_4arch9wavefront6targetE1EEEvT1_,"axG",@progbits,_ZN7rocprim17ROCPRIM_400000_NS6detail17trampoline_kernelINS0_14default_configENS1_20scan_config_selectorIdEEZZNS1_9scan_implILNS1_25lookback_scan_determinismE0ELb0ELb0ES3_N6thrust23THRUST_200600_302600_NS6detail15normal_iteratorINS9_10device_ptrIdEEEESE_d11max_functorIdEdEEDaPvRmT3_T4_T5_mT6_P12ihipStream_tbENKUlT_T0_E_clISt17integral_constantIbLb0EEST_IbLb1EEEEDaSP_SQ_EUlSP_E0_NS1_11comp_targetILNS1_3genE3ELNS1_11target_archE908ELNS1_3gpuE7ELNS1_3repE0EEENS1_30default_config_static_selectorELNS0_4arch9wavefront6targetE1EEEvT1_,comdat
.Lfunc_end1865:
	.size	_ZN7rocprim17ROCPRIM_400000_NS6detail17trampoline_kernelINS0_14default_configENS1_20scan_config_selectorIdEEZZNS1_9scan_implILNS1_25lookback_scan_determinismE0ELb0ELb0ES3_N6thrust23THRUST_200600_302600_NS6detail15normal_iteratorINS9_10device_ptrIdEEEESE_d11max_functorIdEdEEDaPvRmT3_T4_T5_mT6_P12ihipStream_tbENKUlT_T0_E_clISt17integral_constantIbLb0EEST_IbLb1EEEEDaSP_SQ_EUlSP_E0_NS1_11comp_targetILNS1_3genE3ELNS1_11target_archE908ELNS1_3gpuE7ELNS1_3repE0EEENS1_30default_config_static_selectorELNS0_4arch9wavefront6targetE1EEEvT1_, .Lfunc_end1865-_ZN7rocprim17ROCPRIM_400000_NS6detail17trampoline_kernelINS0_14default_configENS1_20scan_config_selectorIdEEZZNS1_9scan_implILNS1_25lookback_scan_determinismE0ELb0ELb0ES3_N6thrust23THRUST_200600_302600_NS6detail15normal_iteratorINS9_10device_ptrIdEEEESE_d11max_functorIdEdEEDaPvRmT3_T4_T5_mT6_P12ihipStream_tbENKUlT_T0_E_clISt17integral_constantIbLb0EEST_IbLb1EEEEDaSP_SQ_EUlSP_E0_NS1_11comp_targetILNS1_3genE3ELNS1_11target_archE908ELNS1_3gpuE7ELNS1_3repE0EEENS1_30default_config_static_selectorELNS0_4arch9wavefront6targetE1EEEvT1_
                                        ; -- End function
	.section	.AMDGPU.csdata,"",@progbits
; Kernel info:
; codeLenInByte = 0
; NumSgprs: 4
; NumVgprs: 0
; NumAgprs: 0
; TotalNumVgprs: 0
; ScratchSize: 0
; MemoryBound: 0
; FloatMode: 240
; IeeeMode: 1
; LDSByteSize: 0 bytes/workgroup (compile time only)
; SGPRBlocks: 0
; VGPRBlocks: 0
; NumSGPRsForWavesPerEU: 4
; NumVGPRsForWavesPerEU: 1
; AccumOffset: 4
; Occupancy: 8
; WaveLimiterHint : 0
; COMPUTE_PGM_RSRC2:SCRATCH_EN: 0
; COMPUTE_PGM_RSRC2:USER_SGPR: 6
; COMPUTE_PGM_RSRC2:TRAP_HANDLER: 0
; COMPUTE_PGM_RSRC2:TGID_X_EN: 1
; COMPUTE_PGM_RSRC2:TGID_Y_EN: 0
; COMPUTE_PGM_RSRC2:TGID_Z_EN: 0
; COMPUTE_PGM_RSRC2:TIDIG_COMP_CNT: 0
; COMPUTE_PGM_RSRC3_GFX90A:ACCUM_OFFSET: 0
; COMPUTE_PGM_RSRC3_GFX90A:TG_SPLIT: 0
	.section	.text._ZN7rocprim17ROCPRIM_400000_NS6detail17trampoline_kernelINS0_14default_configENS1_20scan_config_selectorIdEEZZNS1_9scan_implILNS1_25lookback_scan_determinismE0ELb0ELb0ES3_N6thrust23THRUST_200600_302600_NS6detail15normal_iteratorINS9_10device_ptrIdEEEESE_d11max_functorIdEdEEDaPvRmT3_T4_T5_mT6_P12ihipStream_tbENKUlT_T0_E_clISt17integral_constantIbLb0EEST_IbLb1EEEEDaSP_SQ_EUlSP_E0_NS1_11comp_targetILNS1_3genE2ELNS1_11target_archE906ELNS1_3gpuE6ELNS1_3repE0EEENS1_30default_config_static_selectorELNS0_4arch9wavefront6targetE1EEEvT1_,"axG",@progbits,_ZN7rocprim17ROCPRIM_400000_NS6detail17trampoline_kernelINS0_14default_configENS1_20scan_config_selectorIdEEZZNS1_9scan_implILNS1_25lookback_scan_determinismE0ELb0ELb0ES3_N6thrust23THRUST_200600_302600_NS6detail15normal_iteratorINS9_10device_ptrIdEEEESE_d11max_functorIdEdEEDaPvRmT3_T4_T5_mT6_P12ihipStream_tbENKUlT_T0_E_clISt17integral_constantIbLb0EEST_IbLb1EEEEDaSP_SQ_EUlSP_E0_NS1_11comp_targetILNS1_3genE2ELNS1_11target_archE906ELNS1_3gpuE6ELNS1_3repE0EEENS1_30default_config_static_selectorELNS0_4arch9wavefront6targetE1EEEvT1_,comdat
	.protected	_ZN7rocprim17ROCPRIM_400000_NS6detail17trampoline_kernelINS0_14default_configENS1_20scan_config_selectorIdEEZZNS1_9scan_implILNS1_25lookback_scan_determinismE0ELb0ELb0ES3_N6thrust23THRUST_200600_302600_NS6detail15normal_iteratorINS9_10device_ptrIdEEEESE_d11max_functorIdEdEEDaPvRmT3_T4_T5_mT6_P12ihipStream_tbENKUlT_T0_E_clISt17integral_constantIbLb0EEST_IbLb1EEEEDaSP_SQ_EUlSP_E0_NS1_11comp_targetILNS1_3genE2ELNS1_11target_archE906ELNS1_3gpuE6ELNS1_3repE0EEENS1_30default_config_static_selectorELNS0_4arch9wavefront6targetE1EEEvT1_ ; -- Begin function _ZN7rocprim17ROCPRIM_400000_NS6detail17trampoline_kernelINS0_14default_configENS1_20scan_config_selectorIdEEZZNS1_9scan_implILNS1_25lookback_scan_determinismE0ELb0ELb0ES3_N6thrust23THRUST_200600_302600_NS6detail15normal_iteratorINS9_10device_ptrIdEEEESE_d11max_functorIdEdEEDaPvRmT3_T4_T5_mT6_P12ihipStream_tbENKUlT_T0_E_clISt17integral_constantIbLb0EEST_IbLb1EEEEDaSP_SQ_EUlSP_E0_NS1_11comp_targetILNS1_3genE2ELNS1_11target_archE906ELNS1_3gpuE6ELNS1_3repE0EEENS1_30default_config_static_selectorELNS0_4arch9wavefront6targetE1EEEvT1_
	.globl	_ZN7rocprim17ROCPRIM_400000_NS6detail17trampoline_kernelINS0_14default_configENS1_20scan_config_selectorIdEEZZNS1_9scan_implILNS1_25lookback_scan_determinismE0ELb0ELb0ES3_N6thrust23THRUST_200600_302600_NS6detail15normal_iteratorINS9_10device_ptrIdEEEESE_d11max_functorIdEdEEDaPvRmT3_T4_T5_mT6_P12ihipStream_tbENKUlT_T0_E_clISt17integral_constantIbLb0EEST_IbLb1EEEEDaSP_SQ_EUlSP_E0_NS1_11comp_targetILNS1_3genE2ELNS1_11target_archE906ELNS1_3gpuE6ELNS1_3repE0EEENS1_30default_config_static_selectorELNS0_4arch9wavefront6targetE1EEEvT1_
	.p2align	8
	.type	_ZN7rocprim17ROCPRIM_400000_NS6detail17trampoline_kernelINS0_14default_configENS1_20scan_config_selectorIdEEZZNS1_9scan_implILNS1_25lookback_scan_determinismE0ELb0ELb0ES3_N6thrust23THRUST_200600_302600_NS6detail15normal_iteratorINS9_10device_ptrIdEEEESE_d11max_functorIdEdEEDaPvRmT3_T4_T5_mT6_P12ihipStream_tbENKUlT_T0_E_clISt17integral_constantIbLb0EEST_IbLb1EEEEDaSP_SQ_EUlSP_E0_NS1_11comp_targetILNS1_3genE2ELNS1_11target_archE906ELNS1_3gpuE6ELNS1_3repE0EEENS1_30default_config_static_selectorELNS0_4arch9wavefront6targetE1EEEvT1_,@function
_ZN7rocprim17ROCPRIM_400000_NS6detail17trampoline_kernelINS0_14default_configENS1_20scan_config_selectorIdEEZZNS1_9scan_implILNS1_25lookback_scan_determinismE0ELb0ELb0ES3_N6thrust23THRUST_200600_302600_NS6detail15normal_iteratorINS9_10device_ptrIdEEEESE_d11max_functorIdEdEEDaPvRmT3_T4_T5_mT6_P12ihipStream_tbENKUlT_T0_E_clISt17integral_constantIbLb0EEST_IbLb1EEEEDaSP_SQ_EUlSP_E0_NS1_11comp_targetILNS1_3genE2ELNS1_11target_archE906ELNS1_3gpuE6ELNS1_3repE0EEENS1_30default_config_static_selectorELNS0_4arch9wavefront6targetE1EEEvT1_: ; @_ZN7rocprim17ROCPRIM_400000_NS6detail17trampoline_kernelINS0_14default_configENS1_20scan_config_selectorIdEEZZNS1_9scan_implILNS1_25lookback_scan_determinismE0ELb0ELb0ES3_N6thrust23THRUST_200600_302600_NS6detail15normal_iteratorINS9_10device_ptrIdEEEESE_d11max_functorIdEdEEDaPvRmT3_T4_T5_mT6_P12ihipStream_tbENKUlT_T0_E_clISt17integral_constantIbLb0EEST_IbLb1EEEEDaSP_SQ_EUlSP_E0_NS1_11comp_targetILNS1_3genE2ELNS1_11target_archE906ELNS1_3gpuE6ELNS1_3repE0EEENS1_30default_config_static_selectorELNS0_4arch9wavefront6targetE1EEEvT1_
; %bb.0:
	.section	.rodata,"a",@progbits
	.p2align	6, 0x0
	.amdhsa_kernel _ZN7rocprim17ROCPRIM_400000_NS6detail17trampoline_kernelINS0_14default_configENS1_20scan_config_selectorIdEEZZNS1_9scan_implILNS1_25lookback_scan_determinismE0ELb0ELb0ES3_N6thrust23THRUST_200600_302600_NS6detail15normal_iteratorINS9_10device_ptrIdEEEESE_d11max_functorIdEdEEDaPvRmT3_T4_T5_mT6_P12ihipStream_tbENKUlT_T0_E_clISt17integral_constantIbLb0EEST_IbLb1EEEEDaSP_SQ_EUlSP_E0_NS1_11comp_targetILNS1_3genE2ELNS1_11target_archE906ELNS1_3gpuE6ELNS1_3repE0EEENS1_30default_config_static_selectorELNS0_4arch9wavefront6targetE1EEEvT1_
		.amdhsa_group_segment_fixed_size 0
		.amdhsa_private_segment_fixed_size 0
		.amdhsa_kernarg_size 40
		.amdhsa_user_sgpr_count 6
		.amdhsa_user_sgpr_private_segment_buffer 1
		.amdhsa_user_sgpr_dispatch_ptr 0
		.amdhsa_user_sgpr_queue_ptr 0
		.amdhsa_user_sgpr_kernarg_segment_ptr 1
		.amdhsa_user_sgpr_dispatch_id 0
		.amdhsa_user_sgpr_flat_scratch_init 0
		.amdhsa_user_sgpr_kernarg_preload_length 0
		.amdhsa_user_sgpr_kernarg_preload_offset 0
		.amdhsa_user_sgpr_private_segment_size 0
		.amdhsa_uses_dynamic_stack 0
		.amdhsa_system_sgpr_private_segment_wavefront_offset 0
		.amdhsa_system_sgpr_workgroup_id_x 1
		.amdhsa_system_sgpr_workgroup_id_y 0
		.amdhsa_system_sgpr_workgroup_id_z 0
		.amdhsa_system_sgpr_workgroup_info 0
		.amdhsa_system_vgpr_workitem_id 0
		.amdhsa_next_free_vgpr 1
		.amdhsa_next_free_sgpr 0
		.amdhsa_accum_offset 4
		.amdhsa_reserve_vcc 0
		.amdhsa_reserve_flat_scratch 0
		.amdhsa_float_round_mode_32 0
		.amdhsa_float_round_mode_16_64 0
		.amdhsa_float_denorm_mode_32 3
		.amdhsa_float_denorm_mode_16_64 3
		.amdhsa_dx10_clamp 1
		.amdhsa_ieee_mode 1
		.amdhsa_fp16_overflow 0
		.amdhsa_tg_split 0
		.amdhsa_exception_fp_ieee_invalid_op 0
		.amdhsa_exception_fp_denorm_src 0
		.amdhsa_exception_fp_ieee_div_zero 0
		.amdhsa_exception_fp_ieee_overflow 0
		.amdhsa_exception_fp_ieee_underflow 0
		.amdhsa_exception_fp_ieee_inexact 0
		.amdhsa_exception_int_div_zero 0
	.end_amdhsa_kernel
	.section	.text._ZN7rocprim17ROCPRIM_400000_NS6detail17trampoline_kernelINS0_14default_configENS1_20scan_config_selectorIdEEZZNS1_9scan_implILNS1_25lookback_scan_determinismE0ELb0ELb0ES3_N6thrust23THRUST_200600_302600_NS6detail15normal_iteratorINS9_10device_ptrIdEEEESE_d11max_functorIdEdEEDaPvRmT3_T4_T5_mT6_P12ihipStream_tbENKUlT_T0_E_clISt17integral_constantIbLb0EEST_IbLb1EEEEDaSP_SQ_EUlSP_E0_NS1_11comp_targetILNS1_3genE2ELNS1_11target_archE906ELNS1_3gpuE6ELNS1_3repE0EEENS1_30default_config_static_selectorELNS0_4arch9wavefront6targetE1EEEvT1_,"axG",@progbits,_ZN7rocprim17ROCPRIM_400000_NS6detail17trampoline_kernelINS0_14default_configENS1_20scan_config_selectorIdEEZZNS1_9scan_implILNS1_25lookback_scan_determinismE0ELb0ELb0ES3_N6thrust23THRUST_200600_302600_NS6detail15normal_iteratorINS9_10device_ptrIdEEEESE_d11max_functorIdEdEEDaPvRmT3_T4_T5_mT6_P12ihipStream_tbENKUlT_T0_E_clISt17integral_constantIbLb0EEST_IbLb1EEEEDaSP_SQ_EUlSP_E0_NS1_11comp_targetILNS1_3genE2ELNS1_11target_archE906ELNS1_3gpuE6ELNS1_3repE0EEENS1_30default_config_static_selectorELNS0_4arch9wavefront6targetE1EEEvT1_,comdat
.Lfunc_end1866:
	.size	_ZN7rocprim17ROCPRIM_400000_NS6detail17trampoline_kernelINS0_14default_configENS1_20scan_config_selectorIdEEZZNS1_9scan_implILNS1_25lookback_scan_determinismE0ELb0ELb0ES3_N6thrust23THRUST_200600_302600_NS6detail15normal_iteratorINS9_10device_ptrIdEEEESE_d11max_functorIdEdEEDaPvRmT3_T4_T5_mT6_P12ihipStream_tbENKUlT_T0_E_clISt17integral_constantIbLb0EEST_IbLb1EEEEDaSP_SQ_EUlSP_E0_NS1_11comp_targetILNS1_3genE2ELNS1_11target_archE906ELNS1_3gpuE6ELNS1_3repE0EEENS1_30default_config_static_selectorELNS0_4arch9wavefront6targetE1EEEvT1_, .Lfunc_end1866-_ZN7rocprim17ROCPRIM_400000_NS6detail17trampoline_kernelINS0_14default_configENS1_20scan_config_selectorIdEEZZNS1_9scan_implILNS1_25lookback_scan_determinismE0ELb0ELb0ES3_N6thrust23THRUST_200600_302600_NS6detail15normal_iteratorINS9_10device_ptrIdEEEESE_d11max_functorIdEdEEDaPvRmT3_T4_T5_mT6_P12ihipStream_tbENKUlT_T0_E_clISt17integral_constantIbLb0EEST_IbLb1EEEEDaSP_SQ_EUlSP_E0_NS1_11comp_targetILNS1_3genE2ELNS1_11target_archE906ELNS1_3gpuE6ELNS1_3repE0EEENS1_30default_config_static_selectorELNS0_4arch9wavefront6targetE1EEEvT1_
                                        ; -- End function
	.section	.AMDGPU.csdata,"",@progbits
; Kernel info:
; codeLenInByte = 0
; NumSgprs: 4
; NumVgprs: 0
; NumAgprs: 0
; TotalNumVgprs: 0
; ScratchSize: 0
; MemoryBound: 0
; FloatMode: 240
; IeeeMode: 1
; LDSByteSize: 0 bytes/workgroup (compile time only)
; SGPRBlocks: 0
; VGPRBlocks: 0
; NumSGPRsForWavesPerEU: 4
; NumVGPRsForWavesPerEU: 1
; AccumOffset: 4
; Occupancy: 8
; WaveLimiterHint : 0
; COMPUTE_PGM_RSRC2:SCRATCH_EN: 0
; COMPUTE_PGM_RSRC2:USER_SGPR: 6
; COMPUTE_PGM_RSRC2:TRAP_HANDLER: 0
; COMPUTE_PGM_RSRC2:TGID_X_EN: 1
; COMPUTE_PGM_RSRC2:TGID_Y_EN: 0
; COMPUTE_PGM_RSRC2:TGID_Z_EN: 0
; COMPUTE_PGM_RSRC2:TIDIG_COMP_CNT: 0
; COMPUTE_PGM_RSRC3_GFX90A:ACCUM_OFFSET: 0
; COMPUTE_PGM_RSRC3_GFX90A:TG_SPLIT: 0
	.section	.text._ZN7rocprim17ROCPRIM_400000_NS6detail17trampoline_kernelINS0_14default_configENS1_20scan_config_selectorIdEEZZNS1_9scan_implILNS1_25lookback_scan_determinismE0ELb0ELb0ES3_N6thrust23THRUST_200600_302600_NS6detail15normal_iteratorINS9_10device_ptrIdEEEESE_d11max_functorIdEdEEDaPvRmT3_T4_T5_mT6_P12ihipStream_tbENKUlT_T0_E_clISt17integral_constantIbLb0EEST_IbLb1EEEEDaSP_SQ_EUlSP_E0_NS1_11comp_targetILNS1_3genE10ELNS1_11target_archE1201ELNS1_3gpuE5ELNS1_3repE0EEENS1_30default_config_static_selectorELNS0_4arch9wavefront6targetE1EEEvT1_,"axG",@progbits,_ZN7rocprim17ROCPRIM_400000_NS6detail17trampoline_kernelINS0_14default_configENS1_20scan_config_selectorIdEEZZNS1_9scan_implILNS1_25lookback_scan_determinismE0ELb0ELb0ES3_N6thrust23THRUST_200600_302600_NS6detail15normal_iteratorINS9_10device_ptrIdEEEESE_d11max_functorIdEdEEDaPvRmT3_T4_T5_mT6_P12ihipStream_tbENKUlT_T0_E_clISt17integral_constantIbLb0EEST_IbLb1EEEEDaSP_SQ_EUlSP_E0_NS1_11comp_targetILNS1_3genE10ELNS1_11target_archE1201ELNS1_3gpuE5ELNS1_3repE0EEENS1_30default_config_static_selectorELNS0_4arch9wavefront6targetE1EEEvT1_,comdat
	.protected	_ZN7rocprim17ROCPRIM_400000_NS6detail17trampoline_kernelINS0_14default_configENS1_20scan_config_selectorIdEEZZNS1_9scan_implILNS1_25lookback_scan_determinismE0ELb0ELb0ES3_N6thrust23THRUST_200600_302600_NS6detail15normal_iteratorINS9_10device_ptrIdEEEESE_d11max_functorIdEdEEDaPvRmT3_T4_T5_mT6_P12ihipStream_tbENKUlT_T0_E_clISt17integral_constantIbLb0EEST_IbLb1EEEEDaSP_SQ_EUlSP_E0_NS1_11comp_targetILNS1_3genE10ELNS1_11target_archE1201ELNS1_3gpuE5ELNS1_3repE0EEENS1_30default_config_static_selectorELNS0_4arch9wavefront6targetE1EEEvT1_ ; -- Begin function _ZN7rocprim17ROCPRIM_400000_NS6detail17trampoline_kernelINS0_14default_configENS1_20scan_config_selectorIdEEZZNS1_9scan_implILNS1_25lookback_scan_determinismE0ELb0ELb0ES3_N6thrust23THRUST_200600_302600_NS6detail15normal_iteratorINS9_10device_ptrIdEEEESE_d11max_functorIdEdEEDaPvRmT3_T4_T5_mT6_P12ihipStream_tbENKUlT_T0_E_clISt17integral_constantIbLb0EEST_IbLb1EEEEDaSP_SQ_EUlSP_E0_NS1_11comp_targetILNS1_3genE10ELNS1_11target_archE1201ELNS1_3gpuE5ELNS1_3repE0EEENS1_30default_config_static_selectorELNS0_4arch9wavefront6targetE1EEEvT1_
	.globl	_ZN7rocprim17ROCPRIM_400000_NS6detail17trampoline_kernelINS0_14default_configENS1_20scan_config_selectorIdEEZZNS1_9scan_implILNS1_25lookback_scan_determinismE0ELb0ELb0ES3_N6thrust23THRUST_200600_302600_NS6detail15normal_iteratorINS9_10device_ptrIdEEEESE_d11max_functorIdEdEEDaPvRmT3_T4_T5_mT6_P12ihipStream_tbENKUlT_T0_E_clISt17integral_constantIbLb0EEST_IbLb1EEEEDaSP_SQ_EUlSP_E0_NS1_11comp_targetILNS1_3genE10ELNS1_11target_archE1201ELNS1_3gpuE5ELNS1_3repE0EEENS1_30default_config_static_selectorELNS0_4arch9wavefront6targetE1EEEvT1_
	.p2align	8
	.type	_ZN7rocprim17ROCPRIM_400000_NS6detail17trampoline_kernelINS0_14default_configENS1_20scan_config_selectorIdEEZZNS1_9scan_implILNS1_25lookback_scan_determinismE0ELb0ELb0ES3_N6thrust23THRUST_200600_302600_NS6detail15normal_iteratorINS9_10device_ptrIdEEEESE_d11max_functorIdEdEEDaPvRmT3_T4_T5_mT6_P12ihipStream_tbENKUlT_T0_E_clISt17integral_constantIbLb0EEST_IbLb1EEEEDaSP_SQ_EUlSP_E0_NS1_11comp_targetILNS1_3genE10ELNS1_11target_archE1201ELNS1_3gpuE5ELNS1_3repE0EEENS1_30default_config_static_selectorELNS0_4arch9wavefront6targetE1EEEvT1_,@function
_ZN7rocprim17ROCPRIM_400000_NS6detail17trampoline_kernelINS0_14default_configENS1_20scan_config_selectorIdEEZZNS1_9scan_implILNS1_25lookback_scan_determinismE0ELb0ELb0ES3_N6thrust23THRUST_200600_302600_NS6detail15normal_iteratorINS9_10device_ptrIdEEEESE_d11max_functorIdEdEEDaPvRmT3_T4_T5_mT6_P12ihipStream_tbENKUlT_T0_E_clISt17integral_constantIbLb0EEST_IbLb1EEEEDaSP_SQ_EUlSP_E0_NS1_11comp_targetILNS1_3genE10ELNS1_11target_archE1201ELNS1_3gpuE5ELNS1_3repE0EEENS1_30default_config_static_selectorELNS0_4arch9wavefront6targetE1EEEvT1_: ; @_ZN7rocprim17ROCPRIM_400000_NS6detail17trampoline_kernelINS0_14default_configENS1_20scan_config_selectorIdEEZZNS1_9scan_implILNS1_25lookback_scan_determinismE0ELb0ELb0ES3_N6thrust23THRUST_200600_302600_NS6detail15normal_iteratorINS9_10device_ptrIdEEEESE_d11max_functorIdEdEEDaPvRmT3_T4_T5_mT6_P12ihipStream_tbENKUlT_T0_E_clISt17integral_constantIbLb0EEST_IbLb1EEEEDaSP_SQ_EUlSP_E0_NS1_11comp_targetILNS1_3genE10ELNS1_11target_archE1201ELNS1_3gpuE5ELNS1_3repE0EEENS1_30default_config_static_selectorELNS0_4arch9wavefront6targetE1EEEvT1_
; %bb.0:
	.section	.rodata,"a",@progbits
	.p2align	6, 0x0
	.amdhsa_kernel _ZN7rocprim17ROCPRIM_400000_NS6detail17trampoline_kernelINS0_14default_configENS1_20scan_config_selectorIdEEZZNS1_9scan_implILNS1_25lookback_scan_determinismE0ELb0ELb0ES3_N6thrust23THRUST_200600_302600_NS6detail15normal_iteratorINS9_10device_ptrIdEEEESE_d11max_functorIdEdEEDaPvRmT3_T4_T5_mT6_P12ihipStream_tbENKUlT_T0_E_clISt17integral_constantIbLb0EEST_IbLb1EEEEDaSP_SQ_EUlSP_E0_NS1_11comp_targetILNS1_3genE10ELNS1_11target_archE1201ELNS1_3gpuE5ELNS1_3repE0EEENS1_30default_config_static_selectorELNS0_4arch9wavefront6targetE1EEEvT1_
		.amdhsa_group_segment_fixed_size 0
		.amdhsa_private_segment_fixed_size 0
		.amdhsa_kernarg_size 40
		.amdhsa_user_sgpr_count 6
		.amdhsa_user_sgpr_private_segment_buffer 1
		.amdhsa_user_sgpr_dispatch_ptr 0
		.amdhsa_user_sgpr_queue_ptr 0
		.amdhsa_user_sgpr_kernarg_segment_ptr 1
		.amdhsa_user_sgpr_dispatch_id 0
		.amdhsa_user_sgpr_flat_scratch_init 0
		.amdhsa_user_sgpr_kernarg_preload_length 0
		.amdhsa_user_sgpr_kernarg_preload_offset 0
		.amdhsa_user_sgpr_private_segment_size 0
		.amdhsa_uses_dynamic_stack 0
		.amdhsa_system_sgpr_private_segment_wavefront_offset 0
		.amdhsa_system_sgpr_workgroup_id_x 1
		.amdhsa_system_sgpr_workgroup_id_y 0
		.amdhsa_system_sgpr_workgroup_id_z 0
		.amdhsa_system_sgpr_workgroup_info 0
		.amdhsa_system_vgpr_workitem_id 0
		.amdhsa_next_free_vgpr 1
		.amdhsa_next_free_sgpr 0
		.amdhsa_accum_offset 4
		.amdhsa_reserve_vcc 0
		.amdhsa_reserve_flat_scratch 0
		.amdhsa_float_round_mode_32 0
		.amdhsa_float_round_mode_16_64 0
		.amdhsa_float_denorm_mode_32 3
		.amdhsa_float_denorm_mode_16_64 3
		.amdhsa_dx10_clamp 1
		.amdhsa_ieee_mode 1
		.amdhsa_fp16_overflow 0
		.amdhsa_tg_split 0
		.amdhsa_exception_fp_ieee_invalid_op 0
		.amdhsa_exception_fp_denorm_src 0
		.amdhsa_exception_fp_ieee_div_zero 0
		.amdhsa_exception_fp_ieee_overflow 0
		.amdhsa_exception_fp_ieee_underflow 0
		.amdhsa_exception_fp_ieee_inexact 0
		.amdhsa_exception_int_div_zero 0
	.end_amdhsa_kernel
	.section	.text._ZN7rocprim17ROCPRIM_400000_NS6detail17trampoline_kernelINS0_14default_configENS1_20scan_config_selectorIdEEZZNS1_9scan_implILNS1_25lookback_scan_determinismE0ELb0ELb0ES3_N6thrust23THRUST_200600_302600_NS6detail15normal_iteratorINS9_10device_ptrIdEEEESE_d11max_functorIdEdEEDaPvRmT3_T4_T5_mT6_P12ihipStream_tbENKUlT_T0_E_clISt17integral_constantIbLb0EEST_IbLb1EEEEDaSP_SQ_EUlSP_E0_NS1_11comp_targetILNS1_3genE10ELNS1_11target_archE1201ELNS1_3gpuE5ELNS1_3repE0EEENS1_30default_config_static_selectorELNS0_4arch9wavefront6targetE1EEEvT1_,"axG",@progbits,_ZN7rocprim17ROCPRIM_400000_NS6detail17trampoline_kernelINS0_14default_configENS1_20scan_config_selectorIdEEZZNS1_9scan_implILNS1_25lookback_scan_determinismE0ELb0ELb0ES3_N6thrust23THRUST_200600_302600_NS6detail15normal_iteratorINS9_10device_ptrIdEEEESE_d11max_functorIdEdEEDaPvRmT3_T4_T5_mT6_P12ihipStream_tbENKUlT_T0_E_clISt17integral_constantIbLb0EEST_IbLb1EEEEDaSP_SQ_EUlSP_E0_NS1_11comp_targetILNS1_3genE10ELNS1_11target_archE1201ELNS1_3gpuE5ELNS1_3repE0EEENS1_30default_config_static_selectorELNS0_4arch9wavefront6targetE1EEEvT1_,comdat
.Lfunc_end1867:
	.size	_ZN7rocprim17ROCPRIM_400000_NS6detail17trampoline_kernelINS0_14default_configENS1_20scan_config_selectorIdEEZZNS1_9scan_implILNS1_25lookback_scan_determinismE0ELb0ELb0ES3_N6thrust23THRUST_200600_302600_NS6detail15normal_iteratorINS9_10device_ptrIdEEEESE_d11max_functorIdEdEEDaPvRmT3_T4_T5_mT6_P12ihipStream_tbENKUlT_T0_E_clISt17integral_constantIbLb0EEST_IbLb1EEEEDaSP_SQ_EUlSP_E0_NS1_11comp_targetILNS1_3genE10ELNS1_11target_archE1201ELNS1_3gpuE5ELNS1_3repE0EEENS1_30default_config_static_selectorELNS0_4arch9wavefront6targetE1EEEvT1_, .Lfunc_end1867-_ZN7rocprim17ROCPRIM_400000_NS6detail17trampoline_kernelINS0_14default_configENS1_20scan_config_selectorIdEEZZNS1_9scan_implILNS1_25lookback_scan_determinismE0ELb0ELb0ES3_N6thrust23THRUST_200600_302600_NS6detail15normal_iteratorINS9_10device_ptrIdEEEESE_d11max_functorIdEdEEDaPvRmT3_T4_T5_mT6_P12ihipStream_tbENKUlT_T0_E_clISt17integral_constantIbLb0EEST_IbLb1EEEEDaSP_SQ_EUlSP_E0_NS1_11comp_targetILNS1_3genE10ELNS1_11target_archE1201ELNS1_3gpuE5ELNS1_3repE0EEENS1_30default_config_static_selectorELNS0_4arch9wavefront6targetE1EEEvT1_
                                        ; -- End function
	.section	.AMDGPU.csdata,"",@progbits
; Kernel info:
; codeLenInByte = 0
; NumSgprs: 4
; NumVgprs: 0
; NumAgprs: 0
; TotalNumVgprs: 0
; ScratchSize: 0
; MemoryBound: 0
; FloatMode: 240
; IeeeMode: 1
; LDSByteSize: 0 bytes/workgroup (compile time only)
; SGPRBlocks: 0
; VGPRBlocks: 0
; NumSGPRsForWavesPerEU: 4
; NumVGPRsForWavesPerEU: 1
; AccumOffset: 4
; Occupancy: 8
; WaveLimiterHint : 0
; COMPUTE_PGM_RSRC2:SCRATCH_EN: 0
; COMPUTE_PGM_RSRC2:USER_SGPR: 6
; COMPUTE_PGM_RSRC2:TRAP_HANDLER: 0
; COMPUTE_PGM_RSRC2:TGID_X_EN: 1
; COMPUTE_PGM_RSRC2:TGID_Y_EN: 0
; COMPUTE_PGM_RSRC2:TGID_Z_EN: 0
; COMPUTE_PGM_RSRC2:TIDIG_COMP_CNT: 0
; COMPUTE_PGM_RSRC3_GFX90A:ACCUM_OFFSET: 0
; COMPUTE_PGM_RSRC3_GFX90A:TG_SPLIT: 0
	.section	.text._ZN7rocprim17ROCPRIM_400000_NS6detail17trampoline_kernelINS0_14default_configENS1_20scan_config_selectorIdEEZZNS1_9scan_implILNS1_25lookback_scan_determinismE0ELb0ELb0ES3_N6thrust23THRUST_200600_302600_NS6detail15normal_iteratorINS9_10device_ptrIdEEEESE_d11max_functorIdEdEEDaPvRmT3_T4_T5_mT6_P12ihipStream_tbENKUlT_T0_E_clISt17integral_constantIbLb0EEST_IbLb1EEEEDaSP_SQ_EUlSP_E0_NS1_11comp_targetILNS1_3genE10ELNS1_11target_archE1200ELNS1_3gpuE4ELNS1_3repE0EEENS1_30default_config_static_selectorELNS0_4arch9wavefront6targetE1EEEvT1_,"axG",@progbits,_ZN7rocprim17ROCPRIM_400000_NS6detail17trampoline_kernelINS0_14default_configENS1_20scan_config_selectorIdEEZZNS1_9scan_implILNS1_25lookback_scan_determinismE0ELb0ELb0ES3_N6thrust23THRUST_200600_302600_NS6detail15normal_iteratorINS9_10device_ptrIdEEEESE_d11max_functorIdEdEEDaPvRmT3_T4_T5_mT6_P12ihipStream_tbENKUlT_T0_E_clISt17integral_constantIbLb0EEST_IbLb1EEEEDaSP_SQ_EUlSP_E0_NS1_11comp_targetILNS1_3genE10ELNS1_11target_archE1200ELNS1_3gpuE4ELNS1_3repE0EEENS1_30default_config_static_selectorELNS0_4arch9wavefront6targetE1EEEvT1_,comdat
	.protected	_ZN7rocprim17ROCPRIM_400000_NS6detail17trampoline_kernelINS0_14default_configENS1_20scan_config_selectorIdEEZZNS1_9scan_implILNS1_25lookback_scan_determinismE0ELb0ELb0ES3_N6thrust23THRUST_200600_302600_NS6detail15normal_iteratorINS9_10device_ptrIdEEEESE_d11max_functorIdEdEEDaPvRmT3_T4_T5_mT6_P12ihipStream_tbENKUlT_T0_E_clISt17integral_constantIbLb0EEST_IbLb1EEEEDaSP_SQ_EUlSP_E0_NS1_11comp_targetILNS1_3genE10ELNS1_11target_archE1200ELNS1_3gpuE4ELNS1_3repE0EEENS1_30default_config_static_selectorELNS0_4arch9wavefront6targetE1EEEvT1_ ; -- Begin function _ZN7rocprim17ROCPRIM_400000_NS6detail17trampoline_kernelINS0_14default_configENS1_20scan_config_selectorIdEEZZNS1_9scan_implILNS1_25lookback_scan_determinismE0ELb0ELb0ES3_N6thrust23THRUST_200600_302600_NS6detail15normal_iteratorINS9_10device_ptrIdEEEESE_d11max_functorIdEdEEDaPvRmT3_T4_T5_mT6_P12ihipStream_tbENKUlT_T0_E_clISt17integral_constantIbLb0EEST_IbLb1EEEEDaSP_SQ_EUlSP_E0_NS1_11comp_targetILNS1_3genE10ELNS1_11target_archE1200ELNS1_3gpuE4ELNS1_3repE0EEENS1_30default_config_static_selectorELNS0_4arch9wavefront6targetE1EEEvT1_
	.globl	_ZN7rocprim17ROCPRIM_400000_NS6detail17trampoline_kernelINS0_14default_configENS1_20scan_config_selectorIdEEZZNS1_9scan_implILNS1_25lookback_scan_determinismE0ELb0ELb0ES3_N6thrust23THRUST_200600_302600_NS6detail15normal_iteratorINS9_10device_ptrIdEEEESE_d11max_functorIdEdEEDaPvRmT3_T4_T5_mT6_P12ihipStream_tbENKUlT_T0_E_clISt17integral_constantIbLb0EEST_IbLb1EEEEDaSP_SQ_EUlSP_E0_NS1_11comp_targetILNS1_3genE10ELNS1_11target_archE1200ELNS1_3gpuE4ELNS1_3repE0EEENS1_30default_config_static_selectorELNS0_4arch9wavefront6targetE1EEEvT1_
	.p2align	8
	.type	_ZN7rocprim17ROCPRIM_400000_NS6detail17trampoline_kernelINS0_14default_configENS1_20scan_config_selectorIdEEZZNS1_9scan_implILNS1_25lookback_scan_determinismE0ELb0ELb0ES3_N6thrust23THRUST_200600_302600_NS6detail15normal_iteratorINS9_10device_ptrIdEEEESE_d11max_functorIdEdEEDaPvRmT3_T4_T5_mT6_P12ihipStream_tbENKUlT_T0_E_clISt17integral_constantIbLb0EEST_IbLb1EEEEDaSP_SQ_EUlSP_E0_NS1_11comp_targetILNS1_3genE10ELNS1_11target_archE1200ELNS1_3gpuE4ELNS1_3repE0EEENS1_30default_config_static_selectorELNS0_4arch9wavefront6targetE1EEEvT1_,@function
_ZN7rocprim17ROCPRIM_400000_NS6detail17trampoline_kernelINS0_14default_configENS1_20scan_config_selectorIdEEZZNS1_9scan_implILNS1_25lookback_scan_determinismE0ELb0ELb0ES3_N6thrust23THRUST_200600_302600_NS6detail15normal_iteratorINS9_10device_ptrIdEEEESE_d11max_functorIdEdEEDaPvRmT3_T4_T5_mT6_P12ihipStream_tbENKUlT_T0_E_clISt17integral_constantIbLb0EEST_IbLb1EEEEDaSP_SQ_EUlSP_E0_NS1_11comp_targetILNS1_3genE10ELNS1_11target_archE1200ELNS1_3gpuE4ELNS1_3repE0EEENS1_30default_config_static_selectorELNS0_4arch9wavefront6targetE1EEEvT1_: ; @_ZN7rocprim17ROCPRIM_400000_NS6detail17trampoline_kernelINS0_14default_configENS1_20scan_config_selectorIdEEZZNS1_9scan_implILNS1_25lookback_scan_determinismE0ELb0ELb0ES3_N6thrust23THRUST_200600_302600_NS6detail15normal_iteratorINS9_10device_ptrIdEEEESE_d11max_functorIdEdEEDaPvRmT3_T4_T5_mT6_P12ihipStream_tbENKUlT_T0_E_clISt17integral_constantIbLb0EEST_IbLb1EEEEDaSP_SQ_EUlSP_E0_NS1_11comp_targetILNS1_3genE10ELNS1_11target_archE1200ELNS1_3gpuE4ELNS1_3repE0EEENS1_30default_config_static_selectorELNS0_4arch9wavefront6targetE1EEEvT1_
; %bb.0:
	.section	.rodata,"a",@progbits
	.p2align	6, 0x0
	.amdhsa_kernel _ZN7rocprim17ROCPRIM_400000_NS6detail17trampoline_kernelINS0_14default_configENS1_20scan_config_selectorIdEEZZNS1_9scan_implILNS1_25lookback_scan_determinismE0ELb0ELb0ES3_N6thrust23THRUST_200600_302600_NS6detail15normal_iteratorINS9_10device_ptrIdEEEESE_d11max_functorIdEdEEDaPvRmT3_T4_T5_mT6_P12ihipStream_tbENKUlT_T0_E_clISt17integral_constantIbLb0EEST_IbLb1EEEEDaSP_SQ_EUlSP_E0_NS1_11comp_targetILNS1_3genE10ELNS1_11target_archE1200ELNS1_3gpuE4ELNS1_3repE0EEENS1_30default_config_static_selectorELNS0_4arch9wavefront6targetE1EEEvT1_
		.amdhsa_group_segment_fixed_size 0
		.amdhsa_private_segment_fixed_size 0
		.amdhsa_kernarg_size 40
		.amdhsa_user_sgpr_count 6
		.amdhsa_user_sgpr_private_segment_buffer 1
		.amdhsa_user_sgpr_dispatch_ptr 0
		.amdhsa_user_sgpr_queue_ptr 0
		.amdhsa_user_sgpr_kernarg_segment_ptr 1
		.amdhsa_user_sgpr_dispatch_id 0
		.amdhsa_user_sgpr_flat_scratch_init 0
		.amdhsa_user_sgpr_kernarg_preload_length 0
		.amdhsa_user_sgpr_kernarg_preload_offset 0
		.amdhsa_user_sgpr_private_segment_size 0
		.amdhsa_uses_dynamic_stack 0
		.amdhsa_system_sgpr_private_segment_wavefront_offset 0
		.amdhsa_system_sgpr_workgroup_id_x 1
		.amdhsa_system_sgpr_workgroup_id_y 0
		.amdhsa_system_sgpr_workgroup_id_z 0
		.amdhsa_system_sgpr_workgroup_info 0
		.amdhsa_system_vgpr_workitem_id 0
		.amdhsa_next_free_vgpr 1
		.amdhsa_next_free_sgpr 0
		.amdhsa_accum_offset 4
		.amdhsa_reserve_vcc 0
		.amdhsa_reserve_flat_scratch 0
		.amdhsa_float_round_mode_32 0
		.amdhsa_float_round_mode_16_64 0
		.amdhsa_float_denorm_mode_32 3
		.amdhsa_float_denorm_mode_16_64 3
		.amdhsa_dx10_clamp 1
		.amdhsa_ieee_mode 1
		.amdhsa_fp16_overflow 0
		.amdhsa_tg_split 0
		.amdhsa_exception_fp_ieee_invalid_op 0
		.amdhsa_exception_fp_denorm_src 0
		.amdhsa_exception_fp_ieee_div_zero 0
		.amdhsa_exception_fp_ieee_overflow 0
		.amdhsa_exception_fp_ieee_underflow 0
		.amdhsa_exception_fp_ieee_inexact 0
		.amdhsa_exception_int_div_zero 0
	.end_amdhsa_kernel
	.section	.text._ZN7rocprim17ROCPRIM_400000_NS6detail17trampoline_kernelINS0_14default_configENS1_20scan_config_selectorIdEEZZNS1_9scan_implILNS1_25lookback_scan_determinismE0ELb0ELb0ES3_N6thrust23THRUST_200600_302600_NS6detail15normal_iteratorINS9_10device_ptrIdEEEESE_d11max_functorIdEdEEDaPvRmT3_T4_T5_mT6_P12ihipStream_tbENKUlT_T0_E_clISt17integral_constantIbLb0EEST_IbLb1EEEEDaSP_SQ_EUlSP_E0_NS1_11comp_targetILNS1_3genE10ELNS1_11target_archE1200ELNS1_3gpuE4ELNS1_3repE0EEENS1_30default_config_static_selectorELNS0_4arch9wavefront6targetE1EEEvT1_,"axG",@progbits,_ZN7rocprim17ROCPRIM_400000_NS6detail17trampoline_kernelINS0_14default_configENS1_20scan_config_selectorIdEEZZNS1_9scan_implILNS1_25lookback_scan_determinismE0ELb0ELb0ES3_N6thrust23THRUST_200600_302600_NS6detail15normal_iteratorINS9_10device_ptrIdEEEESE_d11max_functorIdEdEEDaPvRmT3_T4_T5_mT6_P12ihipStream_tbENKUlT_T0_E_clISt17integral_constantIbLb0EEST_IbLb1EEEEDaSP_SQ_EUlSP_E0_NS1_11comp_targetILNS1_3genE10ELNS1_11target_archE1200ELNS1_3gpuE4ELNS1_3repE0EEENS1_30default_config_static_selectorELNS0_4arch9wavefront6targetE1EEEvT1_,comdat
.Lfunc_end1868:
	.size	_ZN7rocprim17ROCPRIM_400000_NS6detail17trampoline_kernelINS0_14default_configENS1_20scan_config_selectorIdEEZZNS1_9scan_implILNS1_25lookback_scan_determinismE0ELb0ELb0ES3_N6thrust23THRUST_200600_302600_NS6detail15normal_iteratorINS9_10device_ptrIdEEEESE_d11max_functorIdEdEEDaPvRmT3_T4_T5_mT6_P12ihipStream_tbENKUlT_T0_E_clISt17integral_constantIbLb0EEST_IbLb1EEEEDaSP_SQ_EUlSP_E0_NS1_11comp_targetILNS1_3genE10ELNS1_11target_archE1200ELNS1_3gpuE4ELNS1_3repE0EEENS1_30default_config_static_selectorELNS0_4arch9wavefront6targetE1EEEvT1_, .Lfunc_end1868-_ZN7rocprim17ROCPRIM_400000_NS6detail17trampoline_kernelINS0_14default_configENS1_20scan_config_selectorIdEEZZNS1_9scan_implILNS1_25lookback_scan_determinismE0ELb0ELb0ES3_N6thrust23THRUST_200600_302600_NS6detail15normal_iteratorINS9_10device_ptrIdEEEESE_d11max_functorIdEdEEDaPvRmT3_T4_T5_mT6_P12ihipStream_tbENKUlT_T0_E_clISt17integral_constantIbLb0EEST_IbLb1EEEEDaSP_SQ_EUlSP_E0_NS1_11comp_targetILNS1_3genE10ELNS1_11target_archE1200ELNS1_3gpuE4ELNS1_3repE0EEENS1_30default_config_static_selectorELNS0_4arch9wavefront6targetE1EEEvT1_
                                        ; -- End function
	.section	.AMDGPU.csdata,"",@progbits
; Kernel info:
; codeLenInByte = 0
; NumSgprs: 4
; NumVgprs: 0
; NumAgprs: 0
; TotalNumVgprs: 0
; ScratchSize: 0
; MemoryBound: 0
; FloatMode: 240
; IeeeMode: 1
; LDSByteSize: 0 bytes/workgroup (compile time only)
; SGPRBlocks: 0
; VGPRBlocks: 0
; NumSGPRsForWavesPerEU: 4
; NumVGPRsForWavesPerEU: 1
; AccumOffset: 4
; Occupancy: 8
; WaveLimiterHint : 0
; COMPUTE_PGM_RSRC2:SCRATCH_EN: 0
; COMPUTE_PGM_RSRC2:USER_SGPR: 6
; COMPUTE_PGM_RSRC2:TRAP_HANDLER: 0
; COMPUTE_PGM_RSRC2:TGID_X_EN: 1
; COMPUTE_PGM_RSRC2:TGID_Y_EN: 0
; COMPUTE_PGM_RSRC2:TGID_Z_EN: 0
; COMPUTE_PGM_RSRC2:TIDIG_COMP_CNT: 0
; COMPUTE_PGM_RSRC3_GFX90A:ACCUM_OFFSET: 0
; COMPUTE_PGM_RSRC3_GFX90A:TG_SPLIT: 0
	.section	.text._ZN7rocprim17ROCPRIM_400000_NS6detail17trampoline_kernelINS0_14default_configENS1_20scan_config_selectorIdEEZZNS1_9scan_implILNS1_25lookback_scan_determinismE0ELb0ELb0ES3_N6thrust23THRUST_200600_302600_NS6detail15normal_iteratorINS9_10device_ptrIdEEEESE_d11max_functorIdEdEEDaPvRmT3_T4_T5_mT6_P12ihipStream_tbENKUlT_T0_E_clISt17integral_constantIbLb0EEST_IbLb1EEEEDaSP_SQ_EUlSP_E0_NS1_11comp_targetILNS1_3genE9ELNS1_11target_archE1100ELNS1_3gpuE3ELNS1_3repE0EEENS1_30default_config_static_selectorELNS0_4arch9wavefront6targetE1EEEvT1_,"axG",@progbits,_ZN7rocprim17ROCPRIM_400000_NS6detail17trampoline_kernelINS0_14default_configENS1_20scan_config_selectorIdEEZZNS1_9scan_implILNS1_25lookback_scan_determinismE0ELb0ELb0ES3_N6thrust23THRUST_200600_302600_NS6detail15normal_iteratorINS9_10device_ptrIdEEEESE_d11max_functorIdEdEEDaPvRmT3_T4_T5_mT6_P12ihipStream_tbENKUlT_T0_E_clISt17integral_constantIbLb0EEST_IbLb1EEEEDaSP_SQ_EUlSP_E0_NS1_11comp_targetILNS1_3genE9ELNS1_11target_archE1100ELNS1_3gpuE3ELNS1_3repE0EEENS1_30default_config_static_selectorELNS0_4arch9wavefront6targetE1EEEvT1_,comdat
	.protected	_ZN7rocprim17ROCPRIM_400000_NS6detail17trampoline_kernelINS0_14default_configENS1_20scan_config_selectorIdEEZZNS1_9scan_implILNS1_25lookback_scan_determinismE0ELb0ELb0ES3_N6thrust23THRUST_200600_302600_NS6detail15normal_iteratorINS9_10device_ptrIdEEEESE_d11max_functorIdEdEEDaPvRmT3_T4_T5_mT6_P12ihipStream_tbENKUlT_T0_E_clISt17integral_constantIbLb0EEST_IbLb1EEEEDaSP_SQ_EUlSP_E0_NS1_11comp_targetILNS1_3genE9ELNS1_11target_archE1100ELNS1_3gpuE3ELNS1_3repE0EEENS1_30default_config_static_selectorELNS0_4arch9wavefront6targetE1EEEvT1_ ; -- Begin function _ZN7rocprim17ROCPRIM_400000_NS6detail17trampoline_kernelINS0_14default_configENS1_20scan_config_selectorIdEEZZNS1_9scan_implILNS1_25lookback_scan_determinismE0ELb0ELb0ES3_N6thrust23THRUST_200600_302600_NS6detail15normal_iteratorINS9_10device_ptrIdEEEESE_d11max_functorIdEdEEDaPvRmT3_T4_T5_mT6_P12ihipStream_tbENKUlT_T0_E_clISt17integral_constantIbLb0EEST_IbLb1EEEEDaSP_SQ_EUlSP_E0_NS1_11comp_targetILNS1_3genE9ELNS1_11target_archE1100ELNS1_3gpuE3ELNS1_3repE0EEENS1_30default_config_static_selectorELNS0_4arch9wavefront6targetE1EEEvT1_
	.globl	_ZN7rocprim17ROCPRIM_400000_NS6detail17trampoline_kernelINS0_14default_configENS1_20scan_config_selectorIdEEZZNS1_9scan_implILNS1_25lookback_scan_determinismE0ELb0ELb0ES3_N6thrust23THRUST_200600_302600_NS6detail15normal_iteratorINS9_10device_ptrIdEEEESE_d11max_functorIdEdEEDaPvRmT3_T4_T5_mT6_P12ihipStream_tbENKUlT_T0_E_clISt17integral_constantIbLb0EEST_IbLb1EEEEDaSP_SQ_EUlSP_E0_NS1_11comp_targetILNS1_3genE9ELNS1_11target_archE1100ELNS1_3gpuE3ELNS1_3repE0EEENS1_30default_config_static_selectorELNS0_4arch9wavefront6targetE1EEEvT1_
	.p2align	8
	.type	_ZN7rocprim17ROCPRIM_400000_NS6detail17trampoline_kernelINS0_14default_configENS1_20scan_config_selectorIdEEZZNS1_9scan_implILNS1_25lookback_scan_determinismE0ELb0ELb0ES3_N6thrust23THRUST_200600_302600_NS6detail15normal_iteratorINS9_10device_ptrIdEEEESE_d11max_functorIdEdEEDaPvRmT3_T4_T5_mT6_P12ihipStream_tbENKUlT_T0_E_clISt17integral_constantIbLb0EEST_IbLb1EEEEDaSP_SQ_EUlSP_E0_NS1_11comp_targetILNS1_3genE9ELNS1_11target_archE1100ELNS1_3gpuE3ELNS1_3repE0EEENS1_30default_config_static_selectorELNS0_4arch9wavefront6targetE1EEEvT1_,@function
_ZN7rocprim17ROCPRIM_400000_NS6detail17trampoline_kernelINS0_14default_configENS1_20scan_config_selectorIdEEZZNS1_9scan_implILNS1_25lookback_scan_determinismE0ELb0ELb0ES3_N6thrust23THRUST_200600_302600_NS6detail15normal_iteratorINS9_10device_ptrIdEEEESE_d11max_functorIdEdEEDaPvRmT3_T4_T5_mT6_P12ihipStream_tbENKUlT_T0_E_clISt17integral_constantIbLb0EEST_IbLb1EEEEDaSP_SQ_EUlSP_E0_NS1_11comp_targetILNS1_3genE9ELNS1_11target_archE1100ELNS1_3gpuE3ELNS1_3repE0EEENS1_30default_config_static_selectorELNS0_4arch9wavefront6targetE1EEEvT1_: ; @_ZN7rocprim17ROCPRIM_400000_NS6detail17trampoline_kernelINS0_14default_configENS1_20scan_config_selectorIdEEZZNS1_9scan_implILNS1_25lookback_scan_determinismE0ELb0ELb0ES3_N6thrust23THRUST_200600_302600_NS6detail15normal_iteratorINS9_10device_ptrIdEEEESE_d11max_functorIdEdEEDaPvRmT3_T4_T5_mT6_P12ihipStream_tbENKUlT_T0_E_clISt17integral_constantIbLb0EEST_IbLb1EEEEDaSP_SQ_EUlSP_E0_NS1_11comp_targetILNS1_3genE9ELNS1_11target_archE1100ELNS1_3gpuE3ELNS1_3repE0EEENS1_30default_config_static_selectorELNS0_4arch9wavefront6targetE1EEEvT1_
; %bb.0:
	.section	.rodata,"a",@progbits
	.p2align	6, 0x0
	.amdhsa_kernel _ZN7rocprim17ROCPRIM_400000_NS6detail17trampoline_kernelINS0_14default_configENS1_20scan_config_selectorIdEEZZNS1_9scan_implILNS1_25lookback_scan_determinismE0ELb0ELb0ES3_N6thrust23THRUST_200600_302600_NS6detail15normal_iteratorINS9_10device_ptrIdEEEESE_d11max_functorIdEdEEDaPvRmT3_T4_T5_mT6_P12ihipStream_tbENKUlT_T0_E_clISt17integral_constantIbLb0EEST_IbLb1EEEEDaSP_SQ_EUlSP_E0_NS1_11comp_targetILNS1_3genE9ELNS1_11target_archE1100ELNS1_3gpuE3ELNS1_3repE0EEENS1_30default_config_static_selectorELNS0_4arch9wavefront6targetE1EEEvT1_
		.amdhsa_group_segment_fixed_size 0
		.amdhsa_private_segment_fixed_size 0
		.amdhsa_kernarg_size 40
		.amdhsa_user_sgpr_count 6
		.amdhsa_user_sgpr_private_segment_buffer 1
		.amdhsa_user_sgpr_dispatch_ptr 0
		.amdhsa_user_sgpr_queue_ptr 0
		.amdhsa_user_sgpr_kernarg_segment_ptr 1
		.amdhsa_user_sgpr_dispatch_id 0
		.amdhsa_user_sgpr_flat_scratch_init 0
		.amdhsa_user_sgpr_kernarg_preload_length 0
		.amdhsa_user_sgpr_kernarg_preload_offset 0
		.amdhsa_user_sgpr_private_segment_size 0
		.amdhsa_uses_dynamic_stack 0
		.amdhsa_system_sgpr_private_segment_wavefront_offset 0
		.amdhsa_system_sgpr_workgroup_id_x 1
		.amdhsa_system_sgpr_workgroup_id_y 0
		.amdhsa_system_sgpr_workgroup_id_z 0
		.amdhsa_system_sgpr_workgroup_info 0
		.amdhsa_system_vgpr_workitem_id 0
		.amdhsa_next_free_vgpr 1
		.amdhsa_next_free_sgpr 0
		.amdhsa_accum_offset 4
		.amdhsa_reserve_vcc 0
		.amdhsa_reserve_flat_scratch 0
		.amdhsa_float_round_mode_32 0
		.amdhsa_float_round_mode_16_64 0
		.amdhsa_float_denorm_mode_32 3
		.amdhsa_float_denorm_mode_16_64 3
		.amdhsa_dx10_clamp 1
		.amdhsa_ieee_mode 1
		.amdhsa_fp16_overflow 0
		.amdhsa_tg_split 0
		.amdhsa_exception_fp_ieee_invalid_op 0
		.amdhsa_exception_fp_denorm_src 0
		.amdhsa_exception_fp_ieee_div_zero 0
		.amdhsa_exception_fp_ieee_overflow 0
		.amdhsa_exception_fp_ieee_underflow 0
		.amdhsa_exception_fp_ieee_inexact 0
		.amdhsa_exception_int_div_zero 0
	.end_amdhsa_kernel
	.section	.text._ZN7rocprim17ROCPRIM_400000_NS6detail17trampoline_kernelINS0_14default_configENS1_20scan_config_selectorIdEEZZNS1_9scan_implILNS1_25lookback_scan_determinismE0ELb0ELb0ES3_N6thrust23THRUST_200600_302600_NS6detail15normal_iteratorINS9_10device_ptrIdEEEESE_d11max_functorIdEdEEDaPvRmT3_T4_T5_mT6_P12ihipStream_tbENKUlT_T0_E_clISt17integral_constantIbLb0EEST_IbLb1EEEEDaSP_SQ_EUlSP_E0_NS1_11comp_targetILNS1_3genE9ELNS1_11target_archE1100ELNS1_3gpuE3ELNS1_3repE0EEENS1_30default_config_static_selectorELNS0_4arch9wavefront6targetE1EEEvT1_,"axG",@progbits,_ZN7rocprim17ROCPRIM_400000_NS6detail17trampoline_kernelINS0_14default_configENS1_20scan_config_selectorIdEEZZNS1_9scan_implILNS1_25lookback_scan_determinismE0ELb0ELb0ES3_N6thrust23THRUST_200600_302600_NS6detail15normal_iteratorINS9_10device_ptrIdEEEESE_d11max_functorIdEdEEDaPvRmT3_T4_T5_mT6_P12ihipStream_tbENKUlT_T0_E_clISt17integral_constantIbLb0EEST_IbLb1EEEEDaSP_SQ_EUlSP_E0_NS1_11comp_targetILNS1_3genE9ELNS1_11target_archE1100ELNS1_3gpuE3ELNS1_3repE0EEENS1_30default_config_static_selectorELNS0_4arch9wavefront6targetE1EEEvT1_,comdat
.Lfunc_end1869:
	.size	_ZN7rocprim17ROCPRIM_400000_NS6detail17trampoline_kernelINS0_14default_configENS1_20scan_config_selectorIdEEZZNS1_9scan_implILNS1_25lookback_scan_determinismE0ELb0ELb0ES3_N6thrust23THRUST_200600_302600_NS6detail15normal_iteratorINS9_10device_ptrIdEEEESE_d11max_functorIdEdEEDaPvRmT3_T4_T5_mT6_P12ihipStream_tbENKUlT_T0_E_clISt17integral_constantIbLb0EEST_IbLb1EEEEDaSP_SQ_EUlSP_E0_NS1_11comp_targetILNS1_3genE9ELNS1_11target_archE1100ELNS1_3gpuE3ELNS1_3repE0EEENS1_30default_config_static_selectorELNS0_4arch9wavefront6targetE1EEEvT1_, .Lfunc_end1869-_ZN7rocprim17ROCPRIM_400000_NS6detail17trampoline_kernelINS0_14default_configENS1_20scan_config_selectorIdEEZZNS1_9scan_implILNS1_25lookback_scan_determinismE0ELb0ELb0ES3_N6thrust23THRUST_200600_302600_NS6detail15normal_iteratorINS9_10device_ptrIdEEEESE_d11max_functorIdEdEEDaPvRmT3_T4_T5_mT6_P12ihipStream_tbENKUlT_T0_E_clISt17integral_constantIbLb0EEST_IbLb1EEEEDaSP_SQ_EUlSP_E0_NS1_11comp_targetILNS1_3genE9ELNS1_11target_archE1100ELNS1_3gpuE3ELNS1_3repE0EEENS1_30default_config_static_selectorELNS0_4arch9wavefront6targetE1EEEvT1_
                                        ; -- End function
	.section	.AMDGPU.csdata,"",@progbits
; Kernel info:
; codeLenInByte = 0
; NumSgprs: 4
; NumVgprs: 0
; NumAgprs: 0
; TotalNumVgprs: 0
; ScratchSize: 0
; MemoryBound: 0
; FloatMode: 240
; IeeeMode: 1
; LDSByteSize: 0 bytes/workgroup (compile time only)
; SGPRBlocks: 0
; VGPRBlocks: 0
; NumSGPRsForWavesPerEU: 4
; NumVGPRsForWavesPerEU: 1
; AccumOffset: 4
; Occupancy: 8
; WaveLimiterHint : 0
; COMPUTE_PGM_RSRC2:SCRATCH_EN: 0
; COMPUTE_PGM_RSRC2:USER_SGPR: 6
; COMPUTE_PGM_RSRC2:TRAP_HANDLER: 0
; COMPUTE_PGM_RSRC2:TGID_X_EN: 1
; COMPUTE_PGM_RSRC2:TGID_Y_EN: 0
; COMPUTE_PGM_RSRC2:TGID_Z_EN: 0
; COMPUTE_PGM_RSRC2:TIDIG_COMP_CNT: 0
; COMPUTE_PGM_RSRC3_GFX90A:ACCUM_OFFSET: 0
; COMPUTE_PGM_RSRC3_GFX90A:TG_SPLIT: 0
	.section	.text._ZN7rocprim17ROCPRIM_400000_NS6detail17trampoline_kernelINS0_14default_configENS1_20scan_config_selectorIdEEZZNS1_9scan_implILNS1_25lookback_scan_determinismE0ELb0ELb0ES3_N6thrust23THRUST_200600_302600_NS6detail15normal_iteratorINS9_10device_ptrIdEEEESE_d11max_functorIdEdEEDaPvRmT3_T4_T5_mT6_P12ihipStream_tbENKUlT_T0_E_clISt17integral_constantIbLb0EEST_IbLb1EEEEDaSP_SQ_EUlSP_E0_NS1_11comp_targetILNS1_3genE8ELNS1_11target_archE1030ELNS1_3gpuE2ELNS1_3repE0EEENS1_30default_config_static_selectorELNS0_4arch9wavefront6targetE1EEEvT1_,"axG",@progbits,_ZN7rocprim17ROCPRIM_400000_NS6detail17trampoline_kernelINS0_14default_configENS1_20scan_config_selectorIdEEZZNS1_9scan_implILNS1_25lookback_scan_determinismE0ELb0ELb0ES3_N6thrust23THRUST_200600_302600_NS6detail15normal_iteratorINS9_10device_ptrIdEEEESE_d11max_functorIdEdEEDaPvRmT3_T4_T5_mT6_P12ihipStream_tbENKUlT_T0_E_clISt17integral_constantIbLb0EEST_IbLb1EEEEDaSP_SQ_EUlSP_E0_NS1_11comp_targetILNS1_3genE8ELNS1_11target_archE1030ELNS1_3gpuE2ELNS1_3repE0EEENS1_30default_config_static_selectorELNS0_4arch9wavefront6targetE1EEEvT1_,comdat
	.protected	_ZN7rocprim17ROCPRIM_400000_NS6detail17trampoline_kernelINS0_14default_configENS1_20scan_config_selectorIdEEZZNS1_9scan_implILNS1_25lookback_scan_determinismE0ELb0ELb0ES3_N6thrust23THRUST_200600_302600_NS6detail15normal_iteratorINS9_10device_ptrIdEEEESE_d11max_functorIdEdEEDaPvRmT3_T4_T5_mT6_P12ihipStream_tbENKUlT_T0_E_clISt17integral_constantIbLb0EEST_IbLb1EEEEDaSP_SQ_EUlSP_E0_NS1_11comp_targetILNS1_3genE8ELNS1_11target_archE1030ELNS1_3gpuE2ELNS1_3repE0EEENS1_30default_config_static_selectorELNS0_4arch9wavefront6targetE1EEEvT1_ ; -- Begin function _ZN7rocprim17ROCPRIM_400000_NS6detail17trampoline_kernelINS0_14default_configENS1_20scan_config_selectorIdEEZZNS1_9scan_implILNS1_25lookback_scan_determinismE0ELb0ELb0ES3_N6thrust23THRUST_200600_302600_NS6detail15normal_iteratorINS9_10device_ptrIdEEEESE_d11max_functorIdEdEEDaPvRmT3_T4_T5_mT6_P12ihipStream_tbENKUlT_T0_E_clISt17integral_constantIbLb0EEST_IbLb1EEEEDaSP_SQ_EUlSP_E0_NS1_11comp_targetILNS1_3genE8ELNS1_11target_archE1030ELNS1_3gpuE2ELNS1_3repE0EEENS1_30default_config_static_selectorELNS0_4arch9wavefront6targetE1EEEvT1_
	.globl	_ZN7rocprim17ROCPRIM_400000_NS6detail17trampoline_kernelINS0_14default_configENS1_20scan_config_selectorIdEEZZNS1_9scan_implILNS1_25lookback_scan_determinismE0ELb0ELb0ES3_N6thrust23THRUST_200600_302600_NS6detail15normal_iteratorINS9_10device_ptrIdEEEESE_d11max_functorIdEdEEDaPvRmT3_T4_T5_mT6_P12ihipStream_tbENKUlT_T0_E_clISt17integral_constantIbLb0EEST_IbLb1EEEEDaSP_SQ_EUlSP_E0_NS1_11comp_targetILNS1_3genE8ELNS1_11target_archE1030ELNS1_3gpuE2ELNS1_3repE0EEENS1_30default_config_static_selectorELNS0_4arch9wavefront6targetE1EEEvT1_
	.p2align	8
	.type	_ZN7rocprim17ROCPRIM_400000_NS6detail17trampoline_kernelINS0_14default_configENS1_20scan_config_selectorIdEEZZNS1_9scan_implILNS1_25lookback_scan_determinismE0ELb0ELb0ES3_N6thrust23THRUST_200600_302600_NS6detail15normal_iteratorINS9_10device_ptrIdEEEESE_d11max_functorIdEdEEDaPvRmT3_T4_T5_mT6_P12ihipStream_tbENKUlT_T0_E_clISt17integral_constantIbLb0EEST_IbLb1EEEEDaSP_SQ_EUlSP_E0_NS1_11comp_targetILNS1_3genE8ELNS1_11target_archE1030ELNS1_3gpuE2ELNS1_3repE0EEENS1_30default_config_static_selectorELNS0_4arch9wavefront6targetE1EEEvT1_,@function
_ZN7rocprim17ROCPRIM_400000_NS6detail17trampoline_kernelINS0_14default_configENS1_20scan_config_selectorIdEEZZNS1_9scan_implILNS1_25lookback_scan_determinismE0ELb0ELb0ES3_N6thrust23THRUST_200600_302600_NS6detail15normal_iteratorINS9_10device_ptrIdEEEESE_d11max_functorIdEdEEDaPvRmT3_T4_T5_mT6_P12ihipStream_tbENKUlT_T0_E_clISt17integral_constantIbLb0EEST_IbLb1EEEEDaSP_SQ_EUlSP_E0_NS1_11comp_targetILNS1_3genE8ELNS1_11target_archE1030ELNS1_3gpuE2ELNS1_3repE0EEENS1_30default_config_static_selectorELNS0_4arch9wavefront6targetE1EEEvT1_: ; @_ZN7rocprim17ROCPRIM_400000_NS6detail17trampoline_kernelINS0_14default_configENS1_20scan_config_selectorIdEEZZNS1_9scan_implILNS1_25lookback_scan_determinismE0ELb0ELb0ES3_N6thrust23THRUST_200600_302600_NS6detail15normal_iteratorINS9_10device_ptrIdEEEESE_d11max_functorIdEdEEDaPvRmT3_T4_T5_mT6_P12ihipStream_tbENKUlT_T0_E_clISt17integral_constantIbLb0EEST_IbLb1EEEEDaSP_SQ_EUlSP_E0_NS1_11comp_targetILNS1_3genE8ELNS1_11target_archE1030ELNS1_3gpuE2ELNS1_3repE0EEENS1_30default_config_static_selectorELNS0_4arch9wavefront6targetE1EEEvT1_
; %bb.0:
	.section	.rodata,"a",@progbits
	.p2align	6, 0x0
	.amdhsa_kernel _ZN7rocprim17ROCPRIM_400000_NS6detail17trampoline_kernelINS0_14default_configENS1_20scan_config_selectorIdEEZZNS1_9scan_implILNS1_25lookback_scan_determinismE0ELb0ELb0ES3_N6thrust23THRUST_200600_302600_NS6detail15normal_iteratorINS9_10device_ptrIdEEEESE_d11max_functorIdEdEEDaPvRmT3_T4_T5_mT6_P12ihipStream_tbENKUlT_T0_E_clISt17integral_constantIbLb0EEST_IbLb1EEEEDaSP_SQ_EUlSP_E0_NS1_11comp_targetILNS1_3genE8ELNS1_11target_archE1030ELNS1_3gpuE2ELNS1_3repE0EEENS1_30default_config_static_selectorELNS0_4arch9wavefront6targetE1EEEvT1_
		.amdhsa_group_segment_fixed_size 0
		.amdhsa_private_segment_fixed_size 0
		.amdhsa_kernarg_size 40
		.amdhsa_user_sgpr_count 6
		.amdhsa_user_sgpr_private_segment_buffer 1
		.amdhsa_user_sgpr_dispatch_ptr 0
		.amdhsa_user_sgpr_queue_ptr 0
		.amdhsa_user_sgpr_kernarg_segment_ptr 1
		.amdhsa_user_sgpr_dispatch_id 0
		.amdhsa_user_sgpr_flat_scratch_init 0
		.amdhsa_user_sgpr_kernarg_preload_length 0
		.amdhsa_user_sgpr_kernarg_preload_offset 0
		.amdhsa_user_sgpr_private_segment_size 0
		.amdhsa_uses_dynamic_stack 0
		.amdhsa_system_sgpr_private_segment_wavefront_offset 0
		.amdhsa_system_sgpr_workgroup_id_x 1
		.amdhsa_system_sgpr_workgroup_id_y 0
		.amdhsa_system_sgpr_workgroup_id_z 0
		.amdhsa_system_sgpr_workgroup_info 0
		.amdhsa_system_vgpr_workitem_id 0
		.amdhsa_next_free_vgpr 1
		.amdhsa_next_free_sgpr 0
		.amdhsa_accum_offset 4
		.amdhsa_reserve_vcc 0
		.amdhsa_reserve_flat_scratch 0
		.amdhsa_float_round_mode_32 0
		.amdhsa_float_round_mode_16_64 0
		.amdhsa_float_denorm_mode_32 3
		.amdhsa_float_denorm_mode_16_64 3
		.amdhsa_dx10_clamp 1
		.amdhsa_ieee_mode 1
		.amdhsa_fp16_overflow 0
		.amdhsa_tg_split 0
		.amdhsa_exception_fp_ieee_invalid_op 0
		.amdhsa_exception_fp_denorm_src 0
		.amdhsa_exception_fp_ieee_div_zero 0
		.amdhsa_exception_fp_ieee_overflow 0
		.amdhsa_exception_fp_ieee_underflow 0
		.amdhsa_exception_fp_ieee_inexact 0
		.amdhsa_exception_int_div_zero 0
	.end_amdhsa_kernel
	.section	.text._ZN7rocprim17ROCPRIM_400000_NS6detail17trampoline_kernelINS0_14default_configENS1_20scan_config_selectorIdEEZZNS1_9scan_implILNS1_25lookback_scan_determinismE0ELb0ELb0ES3_N6thrust23THRUST_200600_302600_NS6detail15normal_iteratorINS9_10device_ptrIdEEEESE_d11max_functorIdEdEEDaPvRmT3_T4_T5_mT6_P12ihipStream_tbENKUlT_T0_E_clISt17integral_constantIbLb0EEST_IbLb1EEEEDaSP_SQ_EUlSP_E0_NS1_11comp_targetILNS1_3genE8ELNS1_11target_archE1030ELNS1_3gpuE2ELNS1_3repE0EEENS1_30default_config_static_selectorELNS0_4arch9wavefront6targetE1EEEvT1_,"axG",@progbits,_ZN7rocprim17ROCPRIM_400000_NS6detail17trampoline_kernelINS0_14default_configENS1_20scan_config_selectorIdEEZZNS1_9scan_implILNS1_25lookback_scan_determinismE0ELb0ELb0ES3_N6thrust23THRUST_200600_302600_NS6detail15normal_iteratorINS9_10device_ptrIdEEEESE_d11max_functorIdEdEEDaPvRmT3_T4_T5_mT6_P12ihipStream_tbENKUlT_T0_E_clISt17integral_constantIbLb0EEST_IbLb1EEEEDaSP_SQ_EUlSP_E0_NS1_11comp_targetILNS1_3genE8ELNS1_11target_archE1030ELNS1_3gpuE2ELNS1_3repE0EEENS1_30default_config_static_selectorELNS0_4arch9wavefront6targetE1EEEvT1_,comdat
.Lfunc_end1870:
	.size	_ZN7rocprim17ROCPRIM_400000_NS6detail17trampoline_kernelINS0_14default_configENS1_20scan_config_selectorIdEEZZNS1_9scan_implILNS1_25lookback_scan_determinismE0ELb0ELb0ES3_N6thrust23THRUST_200600_302600_NS6detail15normal_iteratorINS9_10device_ptrIdEEEESE_d11max_functorIdEdEEDaPvRmT3_T4_T5_mT6_P12ihipStream_tbENKUlT_T0_E_clISt17integral_constantIbLb0EEST_IbLb1EEEEDaSP_SQ_EUlSP_E0_NS1_11comp_targetILNS1_3genE8ELNS1_11target_archE1030ELNS1_3gpuE2ELNS1_3repE0EEENS1_30default_config_static_selectorELNS0_4arch9wavefront6targetE1EEEvT1_, .Lfunc_end1870-_ZN7rocprim17ROCPRIM_400000_NS6detail17trampoline_kernelINS0_14default_configENS1_20scan_config_selectorIdEEZZNS1_9scan_implILNS1_25lookback_scan_determinismE0ELb0ELb0ES3_N6thrust23THRUST_200600_302600_NS6detail15normal_iteratorINS9_10device_ptrIdEEEESE_d11max_functorIdEdEEDaPvRmT3_T4_T5_mT6_P12ihipStream_tbENKUlT_T0_E_clISt17integral_constantIbLb0EEST_IbLb1EEEEDaSP_SQ_EUlSP_E0_NS1_11comp_targetILNS1_3genE8ELNS1_11target_archE1030ELNS1_3gpuE2ELNS1_3repE0EEENS1_30default_config_static_selectorELNS0_4arch9wavefront6targetE1EEEvT1_
                                        ; -- End function
	.section	.AMDGPU.csdata,"",@progbits
; Kernel info:
; codeLenInByte = 0
; NumSgprs: 4
; NumVgprs: 0
; NumAgprs: 0
; TotalNumVgprs: 0
; ScratchSize: 0
; MemoryBound: 0
; FloatMode: 240
; IeeeMode: 1
; LDSByteSize: 0 bytes/workgroup (compile time only)
; SGPRBlocks: 0
; VGPRBlocks: 0
; NumSGPRsForWavesPerEU: 4
; NumVGPRsForWavesPerEU: 1
; AccumOffset: 4
; Occupancy: 8
; WaveLimiterHint : 0
; COMPUTE_PGM_RSRC2:SCRATCH_EN: 0
; COMPUTE_PGM_RSRC2:USER_SGPR: 6
; COMPUTE_PGM_RSRC2:TRAP_HANDLER: 0
; COMPUTE_PGM_RSRC2:TGID_X_EN: 1
; COMPUTE_PGM_RSRC2:TGID_Y_EN: 0
; COMPUTE_PGM_RSRC2:TGID_Z_EN: 0
; COMPUTE_PGM_RSRC2:TIDIG_COMP_CNT: 0
; COMPUTE_PGM_RSRC3_GFX90A:ACCUM_OFFSET: 0
; COMPUTE_PGM_RSRC3_GFX90A:TG_SPLIT: 0
	.section	.text._ZN7rocprim17ROCPRIM_400000_NS6detail17trampoline_kernelINS0_14default_configENS1_20scan_config_selectorIdEEZZNS1_9scan_implILNS1_25lookback_scan_determinismE0ELb1ELb1ES3_N6thrust23THRUST_200600_302600_NS6detail15normal_iteratorINS9_10device_ptrIdEEEESE_d11max_functorIdEdEEDaPvRmT3_T4_T5_mT6_P12ihipStream_tbENKUlT_T0_E_clISt17integral_constantIbLb0EESU_EEDaSP_SQ_EUlSP_E_NS1_11comp_targetILNS1_3genE0ELNS1_11target_archE4294967295ELNS1_3gpuE0ELNS1_3repE0EEENS1_30default_config_static_selectorELNS0_4arch9wavefront6targetE1EEEvT1_,"axG",@progbits,_ZN7rocprim17ROCPRIM_400000_NS6detail17trampoline_kernelINS0_14default_configENS1_20scan_config_selectorIdEEZZNS1_9scan_implILNS1_25lookback_scan_determinismE0ELb1ELb1ES3_N6thrust23THRUST_200600_302600_NS6detail15normal_iteratorINS9_10device_ptrIdEEEESE_d11max_functorIdEdEEDaPvRmT3_T4_T5_mT6_P12ihipStream_tbENKUlT_T0_E_clISt17integral_constantIbLb0EESU_EEDaSP_SQ_EUlSP_E_NS1_11comp_targetILNS1_3genE0ELNS1_11target_archE4294967295ELNS1_3gpuE0ELNS1_3repE0EEENS1_30default_config_static_selectorELNS0_4arch9wavefront6targetE1EEEvT1_,comdat
	.protected	_ZN7rocprim17ROCPRIM_400000_NS6detail17trampoline_kernelINS0_14default_configENS1_20scan_config_selectorIdEEZZNS1_9scan_implILNS1_25lookback_scan_determinismE0ELb1ELb1ES3_N6thrust23THRUST_200600_302600_NS6detail15normal_iteratorINS9_10device_ptrIdEEEESE_d11max_functorIdEdEEDaPvRmT3_T4_T5_mT6_P12ihipStream_tbENKUlT_T0_E_clISt17integral_constantIbLb0EESU_EEDaSP_SQ_EUlSP_E_NS1_11comp_targetILNS1_3genE0ELNS1_11target_archE4294967295ELNS1_3gpuE0ELNS1_3repE0EEENS1_30default_config_static_selectorELNS0_4arch9wavefront6targetE1EEEvT1_ ; -- Begin function _ZN7rocprim17ROCPRIM_400000_NS6detail17trampoline_kernelINS0_14default_configENS1_20scan_config_selectorIdEEZZNS1_9scan_implILNS1_25lookback_scan_determinismE0ELb1ELb1ES3_N6thrust23THRUST_200600_302600_NS6detail15normal_iteratorINS9_10device_ptrIdEEEESE_d11max_functorIdEdEEDaPvRmT3_T4_T5_mT6_P12ihipStream_tbENKUlT_T0_E_clISt17integral_constantIbLb0EESU_EEDaSP_SQ_EUlSP_E_NS1_11comp_targetILNS1_3genE0ELNS1_11target_archE4294967295ELNS1_3gpuE0ELNS1_3repE0EEENS1_30default_config_static_selectorELNS0_4arch9wavefront6targetE1EEEvT1_
	.globl	_ZN7rocprim17ROCPRIM_400000_NS6detail17trampoline_kernelINS0_14default_configENS1_20scan_config_selectorIdEEZZNS1_9scan_implILNS1_25lookback_scan_determinismE0ELb1ELb1ES3_N6thrust23THRUST_200600_302600_NS6detail15normal_iteratorINS9_10device_ptrIdEEEESE_d11max_functorIdEdEEDaPvRmT3_T4_T5_mT6_P12ihipStream_tbENKUlT_T0_E_clISt17integral_constantIbLb0EESU_EEDaSP_SQ_EUlSP_E_NS1_11comp_targetILNS1_3genE0ELNS1_11target_archE4294967295ELNS1_3gpuE0ELNS1_3repE0EEENS1_30default_config_static_selectorELNS0_4arch9wavefront6targetE1EEEvT1_
	.p2align	8
	.type	_ZN7rocprim17ROCPRIM_400000_NS6detail17trampoline_kernelINS0_14default_configENS1_20scan_config_selectorIdEEZZNS1_9scan_implILNS1_25lookback_scan_determinismE0ELb1ELb1ES3_N6thrust23THRUST_200600_302600_NS6detail15normal_iteratorINS9_10device_ptrIdEEEESE_d11max_functorIdEdEEDaPvRmT3_T4_T5_mT6_P12ihipStream_tbENKUlT_T0_E_clISt17integral_constantIbLb0EESU_EEDaSP_SQ_EUlSP_E_NS1_11comp_targetILNS1_3genE0ELNS1_11target_archE4294967295ELNS1_3gpuE0ELNS1_3repE0EEENS1_30default_config_static_selectorELNS0_4arch9wavefront6targetE1EEEvT1_,@function
_ZN7rocprim17ROCPRIM_400000_NS6detail17trampoline_kernelINS0_14default_configENS1_20scan_config_selectorIdEEZZNS1_9scan_implILNS1_25lookback_scan_determinismE0ELb1ELb1ES3_N6thrust23THRUST_200600_302600_NS6detail15normal_iteratorINS9_10device_ptrIdEEEESE_d11max_functorIdEdEEDaPvRmT3_T4_T5_mT6_P12ihipStream_tbENKUlT_T0_E_clISt17integral_constantIbLb0EESU_EEDaSP_SQ_EUlSP_E_NS1_11comp_targetILNS1_3genE0ELNS1_11target_archE4294967295ELNS1_3gpuE0ELNS1_3repE0EEENS1_30default_config_static_selectorELNS0_4arch9wavefront6targetE1EEEvT1_: ; @_ZN7rocprim17ROCPRIM_400000_NS6detail17trampoline_kernelINS0_14default_configENS1_20scan_config_selectorIdEEZZNS1_9scan_implILNS1_25lookback_scan_determinismE0ELb1ELb1ES3_N6thrust23THRUST_200600_302600_NS6detail15normal_iteratorINS9_10device_ptrIdEEEESE_d11max_functorIdEdEEDaPvRmT3_T4_T5_mT6_P12ihipStream_tbENKUlT_T0_E_clISt17integral_constantIbLb0EESU_EEDaSP_SQ_EUlSP_E_NS1_11comp_targetILNS1_3genE0ELNS1_11target_archE4294967295ELNS1_3gpuE0ELNS1_3repE0EEENS1_30default_config_static_selectorELNS0_4arch9wavefront6targetE1EEEvT1_
; %bb.0:
	.section	.rodata,"a",@progbits
	.p2align	6, 0x0
	.amdhsa_kernel _ZN7rocprim17ROCPRIM_400000_NS6detail17trampoline_kernelINS0_14default_configENS1_20scan_config_selectorIdEEZZNS1_9scan_implILNS1_25lookback_scan_determinismE0ELb1ELb1ES3_N6thrust23THRUST_200600_302600_NS6detail15normal_iteratorINS9_10device_ptrIdEEEESE_d11max_functorIdEdEEDaPvRmT3_T4_T5_mT6_P12ihipStream_tbENKUlT_T0_E_clISt17integral_constantIbLb0EESU_EEDaSP_SQ_EUlSP_E_NS1_11comp_targetILNS1_3genE0ELNS1_11target_archE4294967295ELNS1_3gpuE0ELNS1_3repE0EEENS1_30default_config_static_selectorELNS0_4arch9wavefront6targetE1EEEvT1_
		.amdhsa_group_segment_fixed_size 0
		.amdhsa_private_segment_fixed_size 0
		.amdhsa_kernarg_size 104
		.amdhsa_user_sgpr_count 6
		.amdhsa_user_sgpr_private_segment_buffer 1
		.amdhsa_user_sgpr_dispatch_ptr 0
		.amdhsa_user_sgpr_queue_ptr 0
		.amdhsa_user_sgpr_kernarg_segment_ptr 1
		.amdhsa_user_sgpr_dispatch_id 0
		.amdhsa_user_sgpr_flat_scratch_init 0
		.amdhsa_user_sgpr_kernarg_preload_length 0
		.amdhsa_user_sgpr_kernarg_preload_offset 0
		.amdhsa_user_sgpr_private_segment_size 0
		.amdhsa_uses_dynamic_stack 0
		.amdhsa_system_sgpr_private_segment_wavefront_offset 0
		.amdhsa_system_sgpr_workgroup_id_x 1
		.amdhsa_system_sgpr_workgroup_id_y 0
		.amdhsa_system_sgpr_workgroup_id_z 0
		.amdhsa_system_sgpr_workgroup_info 0
		.amdhsa_system_vgpr_workitem_id 0
		.amdhsa_next_free_vgpr 1
		.amdhsa_next_free_sgpr 0
		.amdhsa_accum_offset 4
		.amdhsa_reserve_vcc 0
		.amdhsa_reserve_flat_scratch 0
		.amdhsa_float_round_mode_32 0
		.amdhsa_float_round_mode_16_64 0
		.amdhsa_float_denorm_mode_32 3
		.amdhsa_float_denorm_mode_16_64 3
		.amdhsa_dx10_clamp 1
		.amdhsa_ieee_mode 1
		.amdhsa_fp16_overflow 0
		.amdhsa_tg_split 0
		.amdhsa_exception_fp_ieee_invalid_op 0
		.amdhsa_exception_fp_denorm_src 0
		.amdhsa_exception_fp_ieee_div_zero 0
		.amdhsa_exception_fp_ieee_overflow 0
		.amdhsa_exception_fp_ieee_underflow 0
		.amdhsa_exception_fp_ieee_inexact 0
		.amdhsa_exception_int_div_zero 0
	.end_amdhsa_kernel
	.section	.text._ZN7rocprim17ROCPRIM_400000_NS6detail17trampoline_kernelINS0_14default_configENS1_20scan_config_selectorIdEEZZNS1_9scan_implILNS1_25lookback_scan_determinismE0ELb1ELb1ES3_N6thrust23THRUST_200600_302600_NS6detail15normal_iteratorINS9_10device_ptrIdEEEESE_d11max_functorIdEdEEDaPvRmT3_T4_T5_mT6_P12ihipStream_tbENKUlT_T0_E_clISt17integral_constantIbLb0EESU_EEDaSP_SQ_EUlSP_E_NS1_11comp_targetILNS1_3genE0ELNS1_11target_archE4294967295ELNS1_3gpuE0ELNS1_3repE0EEENS1_30default_config_static_selectorELNS0_4arch9wavefront6targetE1EEEvT1_,"axG",@progbits,_ZN7rocprim17ROCPRIM_400000_NS6detail17trampoline_kernelINS0_14default_configENS1_20scan_config_selectorIdEEZZNS1_9scan_implILNS1_25lookback_scan_determinismE0ELb1ELb1ES3_N6thrust23THRUST_200600_302600_NS6detail15normal_iteratorINS9_10device_ptrIdEEEESE_d11max_functorIdEdEEDaPvRmT3_T4_T5_mT6_P12ihipStream_tbENKUlT_T0_E_clISt17integral_constantIbLb0EESU_EEDaSP_SQ_EUlSP_E_NS1_11comp_targetILNS1_3genE0ELNS1_11target_archE4294967295ELNS1_3gpuE0ELNS1_3repE0EEENS1_30default_config_static_selectorELNS0_4arch9wavefront6targetE1EEEvT1_,comdat
.Lfunc_end1871:
	.size	_ZN7rocprim17ROCPRIM_400000_NS6detail17trampoline_kernelINS0_14default_configENS1_20scan_config_selectorIdEEZZNS1_9scan_implILNS1_25lookback_scan_determinismE0ELb1ELb1ES3_N6thrust23THRUST_200600_302600_NS6detail15normal_iteratorINS9_10device_ptrIdEEEESE_d11max_functorIdEdEEDaPvRmT3_T4_T5_mT6_P12ihipStream_tbENKUlT_T0_E_clISt17integral_constantIbLb0EESU_EEDaSP_SQ_EUlSP_E_NS1_11comp_targetILNS1_3genE0ELNS1_11target_archE4294967295ELNS1_3gpuE0ELNS1_3repE0EEENS1_30default_config_static_selectorELNS0_4arch9wavefront6targetE1EEEvT1_, .Lfunc_end1871-_ZN7rocprim17ROCPRIM_400000_NS6detail17trampoline_kernelINS0_14default_configENS1_20scan_config_selectorIdEEZZNS1_9scan_implILNS1_25lookback_scan_determinismE0ELb1ELb1ES3_N6thrust23THRUST_200600_302600_NS6detail15normal_iteratorINS9_10device_ptrIdEEEESE_d11max_functorIdEdEEDaPvRmT3_T4_T5_mT6_P12ihipStream_tbENKUlT_T0_E_clISt17integral_constantIbLb0EESU_EEDaSP_SQ_EUlSP_E_NS1_11comp_targetILNS1_3genE0ELNS1_11target_archE4294967295ELNS1_3gpuE0ELNS1_3repE0EEENS1_30default_config_static_selectorELNS0_4arch9wavefront6targetE1EEEvT1_
                                        ; -- End function
	.section	.AMDGPU.csdata,"",@progbits
; Kernel info:
; codeLenInByte = 0
; NumSgprs: 4
; NumVgprs: 0
; NumAgprs: 0
; TotalNumVgprs: 0
; ScratchSize: 0
; MemoryBound: 0
; FloatMode: 240
; IeeeMode: 1
; LDSByteSize: 0 bytes/workgroup (compile time only)
; SGPRBlocks: 0
; VGPRBlocks: 0
; NumSGPRsForWavesPerEU: 4
; NumVGPRsForWavesPerEU: 1
; AccumOffset: 4
; Occupancy: 8
; WaveLimiterHint : 0
; COMPUTE_PGM_RSRC2:SCRATCH_EN: 0
; COMPUTE_PGM_RSRC2:USER_SGPR: 6
; COMPUTE_PGM_RSRC2:TRAP_HANDLER: 0
; COMPUTE_PGM_RSRC2:TGID_X_EN: 1
; COMPUTE_PGM_RSRC2:TGID_Y_EN: 0
; COMPUTE_PGM_RSRC2:TGID_Z_EN: 0
; COMPUTE_PGM_RSRC2:TIDIG_COMP_CNT: 0
; COMPUTE_PGM_RSRC3_GFX90A:ACCUM_OFFSET: 0
; COMPUTE_PGM_RSRC3_GFX90A:TG_SPLIT: 0
	.section	.text._ZN7rocprim17ROCPRIM_400000_NS6detail17trampoline_kernelINS0_14default_configENS1_20scan_config_selectorIdEEZZNS1_9scan_implILNS1_25lookback_scan_determinismE0ELb1ELb1ES3_N6thrust23THRUST_200600_302600_NS6detail15normal_iteratorINS9_10device_ptrIdEEEESE_d11max_functorIdEdEEDaPvRmT3_T4_T5_mT6_P12ihipStream_tbENKUlT_T0_E_clISt17integral_constantIbLb0EESU_EEDaSP_SQ_EUlSP_E_NS1_11comp_targetILNS1_3genE5ELNS1_11target_archE942ELNS1_3gpuE9ELNS1_3repE0EEENS1_30default_config_static_selectorELNS0_4arch9wavefront6targetE1EEEvT1_,"axG",@progbits,_ZN7rocprim17ROCPRIM_400000_NS6detail17trampoline_kernelINS0_14default_configENS1_20scan_config_selectorIdEEZZNS1_9scan_implILNS1_25lookback_scan_determinismE0ELb1ELb1ES3_N6thrust23THRUST_200600_302600_NS6detail15normal_iteratorINS9_10device_ptrIdEEEESE_d11max_functorIdEdEEDaPvRmT3_T4_T5_mT6_P12ihipStream_tbENKUlT_T0_E_clISt17integral_constantIbLb0EESU_EEDaSP_SQ_EUlSP_E_NS1_11comp_targetILNS1_3genE5ELNS1_11target_archE942ELNS1_3gpuE9ELNS1_3repE0EEENS1_30default_config_static_selectorELNS0_4arch9wavefront6targetE1EEEvT1_,comdat
	.protected	_ZN7rocprim17ROCPRIM_400000_NS6detail17trampoline_kernelINS0_14default_configENS1_20scan_config_selectorIdEEZZNS1_9scan_implILNS1_25lookback_scan_determinismE0ELb1ELb1ES3_N6thrust23THRUST_200600_302600_NS6detail15normal_iteratorINS9_10device_ptrIdEEEESE_d11max_functorIdEdEEDaPvRmT3_T4_T5_mT6_P12ihipStream_tbENKUlT_T0_E_clISt17integral_constantIbLb0EESU_EEDaSP_SQ_EUlSP_E_NS1_11comp_targetILNS1_3genE5ELNS1_11target_archE942ELNS1_3gpuE9ELNS1_3repE0EEENS1_30default_config_static_selectorELNS0_4arch9wavefront6targetE1EEEvT1_ ; -- Begin function _ZN7rocprim17ROCPRIM_400000_NS6detail17trampoline_kernelINS0_14default_configENS1_20scan_config_selectorIdEEZZNS1_9scan_implILNS1_25lookback_scan_determinismE0ELb1ELb1ES3_N6thrust23THRUST_200600_302600_NS6detail15normal_iteratorINS9_10device_ptrIdEEEESE_d11max_functorIdEdEEDaPvRmT3_T4_T5_mT6_P12ihipStream_tbENKUlT_T0_E_clISt17integral_constantIbLb0EESU_EEDaSP_SQ_EUlSP_E_NS1_11comp_targetILNS1_3genE5ELNS1_11target_archE942ELNS1_3gpuE9ELNS1_3repE0EEENS1_30default_config_static_selectorELNS0_4arch9wavefront6targetE1EEEvT1_
	.globl	_ZN7rocprim17ROCPRIM_400000_NS6detail17trampoline_kernelINS0_14default_configENS1_20scan_config_selectorIdEEZZNS1_9scan_implILNS1_25lookback_scan_determinismE0ELb1ELb1ES3_N6thrust23THRUST_200600_302600_NS6detail15normal_iteratorINS9_10device_ptrIdEEEESE_d11max_functorIdEdEEDaPvRmT3_T4_T5_mT6_P12ihipStream_tbENKUlT_T0_E_clISt17integral_constantIbLb0EESU_EEDaSP_SQ_EUlSP_E_NS1_11comp_targetILNS1_3genE5ELNS1_11target_archE942ELNS1_3gpuE9ELNS1_3repE0EEENS1_30default_config_static_selectorELNS0_4arch9wavefront6targetE1EEEvT1_
	.p2align	8
	.type	_ZN7rocprim17ROCPRIM_400000_NS6detail17trampoline_kernelINS0_14default_configENS1_20scan_config_selectorIdEEZZNS1_9scan_implILNS1_25lookback_scan_determinismE0ELb1ELb1ES3_N6thrust23THRUST_200600_302600_NS6detail15normal_iteratorINS9_10device_ptrIdEEEESE_d11max_functorIdEdEEDaPvRmT3_T4_T5_mT6_P12ihipStream_tbENKUlT_T0_E_clISt17integral_constantIbLb0EESU_EEDaSP_SQ_EUlSP_E_NS1_11comp_targetILNS1_3genE5ELNS1_11target_archE942ELNS1_3gpuE9ELNS1_3repE0EEENS1_30default_config_static_selectorELNS0_4arch9wavefront6targetE1EEEvT1_,@function
_ZN7rocprim17ROCPRIM_400000_NS6detail17trampoline_kernelINS0_14default_configENS1_20scan_config_selectorIdEEZZNS1_9scan_implILNS1_25lookback_scan_determinismE0ELb1ELb1ES3_N6thrust23THRUST_200600_302600_NS6detail15normal_iteratorINS9_10device_ptrIdEEEESE_d11max_functorIdEdEEDaPvRmT3_T4_T5_mT6_P12ihipStream_tbENKUlT_T0_E_clISt17integral_constantIbLb0EESU_EEDaSP_SQ_EUlSP_E_NS1_11comp_targetILNS1_3genE5ELNS1_11target_archE942ELNS1_3gpuE9ELNS1_3repE0EEENS1_30default_config_static_selectorELNS0_4arch9wavefront6targetE1EEEvT1_: ; @_ZN7rocprim17ROCPRIM_400000_NS6detail17trampoline_kernelINS0_14default_configENS1_20scan_config_selectorIdEEZZNS1_9scan_implILNS1_25lookback_scan_determinismE0ELb1ELb1ES3_N6thrust23THRUST_200600_302600_NS6detail15normal_iteratorINS9_10device_ptrIdEEEESE_d11max_functorIdEdEEDaPvRmT3_T4_T5_mT6_P12ihipStream_tbENKUlT_T0_E_clISt17integral_constantIbLb0EESU_EEDaSP_SQ_EUlSP_E_NS1_11comp_targetILNS1_3genE5ELNS1_11target_archE942ELNS1_3gpuE9ELNS1_3repE0EEENS1_30default_config_static_selectorELNS0_4arch9wavefront6targetE1EEEvT1_
; %bb.0:
	.section	.rodata,"a",@progbits
	.p2align	6, 0x0
	.amdhsa_kernel _ZN7rocprim17ROCPRIM_400000_NS6detail17trampoline_kernelINS0_14default_configENS1_20scan_config_selectorIdEEZZNS1_9scan_implILNS1_25lookback_scan_determinismE0ELb1ELb1ES3_N6thrust23THRUST_200600_302600_NS6detail15normal_iteratorINS9_10device_ptrIdEEEESE_d11max_functorIdEdEEDaPvRmT3_T4_T5_mT6_P12ihipStream_tbENKUlT_T0_E_clISt17integral_constantIbLb0EESU_EEDaSP_SQ_EUlSP_E_NS1_11comp_targetILNS1_3genE5ELNS1_11target_archE942ELNS1_3gpuE9ELNS1_3repE0EEENS1_30default_config_static_selectorELNS0_4arch9wavefront6targetE1EEEvT1_
		.amdhsa_group_segment_fixed_size 0
		.amdhsa_private_segment_fixed_size 0
		.amdhsa_kernarg_size 104
		.amdhsa_user_sgpr_count 6
		.amdhsa_user_sgpr_private_segment_buffer 1
		.amdhsa_user_sgpr_dispatch_ptr 0
		.amdhsa_user_sgpr_queue_ptr 0
		.amdhsa_user_sgpr_kernarg_segment_ptr 1
		.amdhsa_user_sgpr_dispatch_id 0
		.amdhsa_user_sgpr_flat_scratch_init 0
		.amdhsa_user_sgpr_kernarg_preload_length 0
		.amdhsa_user_sgpr_kernarg_preload_offset 0
		.amdhsa_user_sgpr_private_segment_size 0
		.amdhsa_uses_dynamic_stack 0
		.amdhsa_system_sgpr_private_segment_wavefront_offset 0
		.amdhsa_system_sgpr_workgroup_id_x 1
		.amdhsa_system_sgpr_workgroup_id_y 0
		.amdhsa_system_sgpr_workgroup_id_z 0
		.amdhsa_system_sgpr_workgroup_info 0
		.amdhsa_system_vgpr_workitem_id 0
		.amdhsa_next_free_vgpr 1
		.amdhsa_next_free_sgpr 0
		.amdhsa_accum_offset 4
		.amdhsa_reserve_vcc 0
		.amdhsa_reserve_flat_scratch 0
		.amdhsa_float_round_mode_32 0
		.amdhsa_float_round_mode_16_64 0
		.amdhsa_float_denorm_mode_32 3
		.amdhsa_float_denorm_mode_16_64 3
		.amdhsa_dx10_clamp 1
		.amdhsa_ieee_mode 1
		.amdhsa_fp16_overflow 0
		.amdhsa_tg_split 0
		.amdhsa_exception_fp_ieee_invalid_op 0
		.amdhsa_exception_fp_denorm_src 0
		.amdhsa_exception_fp_ieee_div_zero 0
		.amdhsa_exception_fp_ieee_overflow 0
		.amdhsa_exception_fp_ieee_underflow 0
		.amdhsa_exception_fp_ieee_inexact 0
		.amdhsa_exception_int_div_zero 0
	.end_amdhsa_kernel
	.section	.text._ZN7rocprim17ROCPRIM_400000_NS6detail17trampoline_kernelINS0_14default_configENS1_20scan_config_selectorIdEEZZNS1_9scan_implILNS1_25lookback_scan_determinismE0ELb1ELb1ES3_N6thrust23THRUST_200600_302600_NS6detail15normal_iteratorINS9_10device_ptrIdEEEESE_d11max_functorIdEdEEDaPvRmT3_T4_T5_mT6_P12ihipStream_tbENKUlT_T0_E_clISt17integral_constantIbLb0EESU_EEDaSP_SQ_EUlSP_E_NS1_11comp_targetILNS1_3genE5ELNS1_11target_archE942ELNS1_3gpuE9ELNS1_3repE0EEENS1_30default_config_static_selectorELNS0_4arch9wavefront6targetE1EEEvT1_,"axG",@progbits,_ZN7rocprim17ROCPRIM_400000_NS6detail17trampoline_kernelINS0_14default_configENS1_20scan_config_selectorIdEEZZNS1_9scan_implILNS1_25lookback_scan_determinismE0ELb1ELb1ES3_N6thrust23THRUST_200600_302600_NS6detail15normal_iteratorINS9_10device_ptrIdEEEESE_d11max_functorIdEdEEDaPvRmT3_T4_T5_mT6_P12ihipStream_tbENKUlT_T0_E_clISt17integral_constantIbLb0EESU_EEDaSP_SQ_EUlSP_E_NS1_11comp_targetILNS1_3genE5ELNS1_11target_archE942ELNS1_3gpuE9ELNS1_3repE0EEENS1_30default_config_static_selectorELNS0_4arch9wavefront6targetE1EEEvT1_,comdat
.Lfunc_end1872:
	.size	_ZN7rocprim17ROCPRIM_400000_NS6detail17trampoline_kernelINS0_14default_configENS1_20scan_config_selectorIdEEZZNS1_9scan_implILNS1_25lookback_scan_determinismE0ELb1ELb1ES3_N6thrust23THRUST_200600_302600_NS6detail15normal_iteratorINS9_10device_ptrIdEEEESE_d11max_functorIdEdEEDaPvRmT3_T4_T5_mT6_P12ihipStream_tbENKUlT_T0_E_clISt17integral_constantIbLb0EESU_EEDaSP_SQ_EUlSP_E_NS1_11comp_targetILNS1_3genE5ELNS1_11target_archE942ELNS1_3gpuE9ELNS1_3repE0EEENS1_30default_config_static_selectorELNS0_4arch9wavefront6targetE1EEEvT1_, .Lfunc_end1872-_ZN7rocprim17ROCPRIM_400000_NS6detail17trampoline_kernelINS0_14default_configENS1_20scan_config_selectorIdEEZZNS1_9scan_implILNS1_25lookback_scan_determinismE0ELb1ELb1ES3_N6thrust23THRUST_200600_302600_NS6detail15normal_iteratorINS9_10device_ptrIdEEEESE_d11max_functorIdEdEEDaPvRmT3_T4_T5_mT6_P12ihipStream_tbENKUlT_T0_E_clISt17integral_constantIbLb0EESU_EEDaSP_SQ_EUlSP_E_NS1_11comp_targetILNS1_3genE5ELNS1_11target_archE942ELNS1_3gpuE9ELNS1_3repE0EEENS1_30default_config_static_selectorELNS0_4arch9wavefront6targetE1EEEvT1_
                                        ; -- End function
	.section	.AMDGPU.csdata,"",@progbits
; Kernel info:
; codeLenInByte = 0
; NumSgprs: 4
; NumVgprs: 0
; NumAgprs: 0
; TotalNumVgprs: 0
; ScratchSize: 0
; MemoryBound: 0
; FloatMode: 240
; IeeeMode: 1
; LDSByteSize: 0 bytes/workgroup (compile time only)
; SGPRBlocks: 0
; VGPRBlocks: 0
; NumSGPRsForWavesPerEU: 4
; NumVGPRsForWavesPerEU: 1
; AccumOffset: 4
; Occupancy: 8
; WaveLimiterHint : 0
; COMPUTE_PGM_RSRC2:SCRATCH_EN: 0
; COMPUTE_PGM_RSRC2:USER_SGPR: 6
; COMPUTE_PGM_RSRC2:TRAP_HANDLER: 0
; COMPUTE_PGM_RSRC2:TGID_X_EN: 1
; COMPUTE_PGM_RSRC2:TGID_Y_EN: 0
; COMPUTE_PGM_RSRC2:TGID_Z_EN: 0
; COMPUTE_PGM_RSRC2:TIDIG_COMP_CNT: 0
; COMPUTE_PGM_RSRC3_GFX90A:ACCUM_OFFSET: 0
; COMPUTE_PGM_RSRC3_GFX90A:TG_SPLIT: 0
	.section	.text._ZN7rocprim17ROCPRIM_400000_NS6detail17trampoline_kernelINS0_14default_configENS1_20scan_config_selectorIdEEZZNS1_9scan_implILNS1_25lookback_scan_determinismE0ELb1ELb1ES3_N6thrust23THRUST_200600_302600_NS6detail15normal_iteratorINS9_10device_ptrIdEEEESE_d11max_functorIdEdEEDaPvRmT3_T4_T5_mT6_P12ihipStream_tbENKUlT_T0_E_clISt17integral_constantIbLb0EESU_EEDaSP_SQ_EUlSP_E_NS1_11comp_targetILNS1_3genE4ELNS1_11target_archE910ELNS1_3gpuE8ELNS1_3repE0EEENS1_30default_config_static_selectorELNS0_4arch9wavefront6targetE1EEEvT1_,"axG",@progbits,_ZN7rocprim17ROCPRIM_400000_NS6detail17trampoline_kernelINS0_14default_configENS1_20scan_config_selectorIdEEZZNS1_9scan_implILNS1_25lookback_scan_determinismE0ELb1ELb1ES3_N6thrust23THRUST_200600_302600_NS6detail15normal_iteratorINS9_10device_ptrIdEEEESE_d11max_functorIdEdEEDaPvRmT3_T4_T5_mT6_P12ihipStream_tbENKUlT_T0_E_clISt17integral_constantIbLb0EESU_EEDaSP_SQ_EUlSP_E_NS1_11comp_targetILNS1_3genE4ELNS1_11target_archE910ELNS1_3gpuE8ELNS1_3repE0EEENS1_30default_config_static_selectorELNS0_4arch9wavefront6targetE1EEEvT1_,comdat
	.protected	_ZN7rocprim17ROCPRIM_400000_NS6detail17trampoline_kernelINS0_14default_configENS1_20scan_config_selectorIdEEZZNS1_9scan_implILNS1_25lookback_scan_determinismE0ELb1ELb1ES3_N6thrust23THRUST_200600_302600_NS6detail15normal_iteratorINS9_10device_ptrIdEEEESE_d11max_functorIdEdEEDaPvRmT3_T4_T5_mT6_P12ihipStream_tbENKUlT_T0_E_clISt17integral_constantIbLb0EESU_EEDaSP_SQ_EUlSP_E_NS1_11comp_targetILNS1_3genE4ELNS1_11target_archE910ELNS1_3gpuE8ELNS1_3repE0EEENS1_30default_config_static_selectorELNS0_4arch9wavefront6targetE1EEEvT1_ ; -- Begin function _ZN7rocprim17ROCPRIM_400000_NS6detail17trampoline_kernelINS0_14default_configENS1_20scan_config_selectorIdEEZZNS1_9scan_implILNS1_25lookback_scan_determinismE0ELb1ELb1ES3_N6thrust23THRUST_200600_302600_NS6detail15normal_iteratorINS9_10device_ptrIdEEEESE_d11max_functorIdEdEEDaPvRmT3_T4_T5_mT6_P12ihipStream_tbENKUlT_T0_E_clISt17integral_constantIbLb0EESU_EEDaSP_SQ_EUlSP_E_NS1_11comp_targetILNS1_3genE4ELNS1_11target_archE910ELNS1_3gpuE8ELNS1_3repE0EEENS1_30default_config_static_selectorELNS0_4arch9wavefront6targetE1EEEvT1_
	.globl	_ZN7rocprim17ROCPRIM_400000_NS6detail17trampoline_kernelINS0_14default_configENS1_20scan_config_selectorIdEEZZNS1_9scan_implILNS1_25lookback_scan_determinismE0ELb1ELb1ES3_N6thrust23THRUST_200600_302600_NS6detail15normal_iteratorINS9_10device_ptrIdEEEESE_d11max_functorIdEdEEDaPvRmT3_T4_T5_mT6_P12ihipStream_tbENKUlT_T0_E_clISt17integral_constantIbLb0EESU_EEDaSP_SQ_EUlSP_E_NS1_11comp_targetILNS1_3genE4ELNS1_11target_archE910ELNS1_3gpuE8ELNS1_3repE0EEENS1_30default_config_static_selectorELNS0_4arch9wavefront6targetE1EEEvT1_
	.p2align	8
	.type	_ZN7rocprim17ROCPRIM_400000_NS6detail17trampoline_kernelINS0_14default_configENS1_20scan_config_selectorIdEEZZNS1_9scan_implILNS1_25lookback_scan_determinismE0ELb1ELb1ES3_N6thrust23THRUST_200600_302600_NS6detail15normal_iteratorINS9_10device_ptrIdEEEESE_d11max_functorIdEdEEDaPvRmT3_T4_T5_mT6_P12ihipStream_tbENKUlT_T0_E_clISt17integral_constantIbLb0EESU_EEDaSP_SQ_EUlSP_E_NS1_11comp_targetILNS1_3genE4ELNS1_11target_archE910ELNS1_3gpuE8ELNS1_3repE0EEENS1_30default_config_static_selectorELNS0_4arch9wavefront6targetE1EEEvT1_,@function
_ZN7rocprim17ROCPRIM_400000_NS6detail17trampoline_kernelINS0_14default_configENS1_20scan_config_selectorIdEEZZNS1_9scan_implILNS1_25lookback_scan_determinismE0ELb1ELb1ES3_N6thrust23THRUST_200600_302600_NS6detail15normal_iteratorINS9_10device_ptrIdEEEESE_d11max_functorIdEdEEDaPvRmT3_T4_T5_mT6_P12ihipStream_tbENKUlT_T0_E_clISt17integral_constantIbLb0EESU_EEDaSP_SQ_EUlSP_E_NS1_11comp_targetILNS1_3genE4ELNS1_11target_archE910ELNS1_3gpuE8ELNS1_3repE0EEENS1_30default_config_static_selectorELNS0_4arch9wavefront6targetE1EEEvT1_: ; @_ZN7rocprim17ROCPRIM_400000_NS6detail17trampoline_kernelINS0_14default_configENS1_20scan_config_selectorIdEEZZNS1_9scan_implILNS1_25lookback_scan_determinismE0ELb1ELb1ES3_N6thrust23THRUST_200600_302600_NS6detail15normal_iteratorINS9_10device_ptrIdEEEESE_d11max_functorIdEdEEDaPvRmT3_T4_T5_mT6_P12ihipStream_tbENKUlT_T0_E_clISt17integral_constantIbLb0EESU_EEDaSP_SQ_EUlSP_E_NS1_11comp_targetILNS1_3genE4ELNS1_11target_archE910ELNS1_3gpuE8ELNS1_3repE0EEENS1_30default_config_static_selectorELNS0_4arch9wavefront6targetE1EEEvT1_
; %bb.0:
	s_load_dwordx8 s[8:15], s[4:5], 0x0
	s_load_dword s1, s[4:5], 0x38
	s_mul_i32 s0, s6, 0x500
	v_lshlrev_b32_e32 v44, 3, v0
	s_waitcnt lgkmcnt(0)
	s_lshl_b64 s[10:11], s[10:11], 3
	s_add_u32 s26, s8, s10
	s_addc_u32 s27, s9, s11
	s_add_i32 s2, s1, -1
	s_mul_i32 s3, s2, 0x500
	s_sub_u32 s24, s14, s3
	s_subb_u32 s25, s15, 0
	s_mov_b32 s1, 0
	s_cmp_lg_u32 s6, s2
	s_cselect_b64 s[8:9], -1, 0
	s_lshl_b64 s[14:15], s[0:1], 3
	s_add_u32 s2, s26, s14
	s_addc_u32 s3, s27, s15
	s_mov_b64 s[0:1], -1
	s_and_b64 vcc, exec, s[8:9]
	s_cbranch_vccz .LBB1873_2
; %bb.1:
	v_mov_b32_e32 v1, s3
	v_add_co_u32_e32 v2, vcc, s2, v44
	v_addc_co_u32_e32 v3, vcc, 0, v1, vcc
	v_add_co_u32_e32 v12, vcc, 0x1000, v2
	v_addc_co_u32_e32 v13, vcc, 0, v3, vcc
	flat_load_dwordx2 v[4:5], v[2:3]
	flat_load_dwordx2 v[6:7], v[2:3] offset:1024
	flat_load_dwordx2 v[8:9], v[2:3] offset:2048
	;; [unrolled: 1-line block ×3, first 2 shown]
	v_add_co_u32_e32 v2, vcc, 0x2000, v2
	v_addc_co_u32_e32 v3, vcc, 0, v3, vcc
	flat_load_dwordx2 v[14:15], v[12:13]
	flat_load_dwordx2 v[16:17], v[12:13] offset:1024
	flat_load_dwordx2 v[18:19], v[12:13] offset:2048
	;; [unrolled: 1-line block ×3, first 2 shown]
	s_nop 0
	flat_load_dwordx2 v[12:13], v[2:3]
	flat_load_dwordx2 v[22:23], v[2:3] offset:1024
	s_mov_b64 s[0:1], 0
	s_waitcnt vmcnt(0) lgkmcnt(0)
	ds_write2st64_b64 v44, v[4:5], v[6:7] offset1:2
	ds_write2st64_b64 v44, v[8:9], v[10:11] offset0:4 offset1:6
	ds_write2st64_b64 v44, v[14:15], v[16:17] offset0:8 offset1:10
	;; [unrolled: 1-line block ×4, first 2 shown]
	s_waitcnt lgkmcnt(0)
	s_barrier
.LBB1873_2:
	s_load_dwordx2 s[18:19], s[4:5], 0x20
	s_load_dwordx2 s[16:17], s[4:5], 0x30
	s_andn2_b64 vcc, exec, s[0:1]
	v_cmp_gt_u32_e64 s[0:1], s24, v0
	s_cbranch_vccnz .LBB1873_24
; %bb.3:
	v_pk_mov_b32 v[2:3], s[2:3], s[2:3] op_sel:[0,1]
	flat_load_dwordx2 v[2:3], v[2:3]
	s_waitcnt vmcnt(0) lgkmcnt(0)
	v_mov_b32_e32 v4, v2
	v_mov_b32_e32 v5, v3
	;; [unrolled: 1-line block ×16, first 2 shown]
	v_pk_mov_b32 v[34:35], v[30:31], v[30:31] op_sel:[0,1]
	v_pk_mov_b32 v[32:33], v[28:29], v[28:29] op_sel:[0,1]
	;; [unrolled: 1-line block ×16, first 2 shown]
	s_and_saveexec_b64 s[20:21], s[0:1]
	s_cbranch_execz .LBB1873_5
; %bb.4:
	v_mov_b32_e32 v1, s3
	v_add_co_u32_e32 v4, vcc, s2, v44
	v_addc_co_u32_e32 v5, vcc, 0, v1, vcc
	flat_load_dwordx2 v[36:37], v[4:5]
	v_mov_b32_e32 v4, v2
	v_mov_b32_e32 v5, v3
	;; [unrolled: 1-line block ×16, first 2 shown]
	v_pk_mov_b32 v[34:35], v[30:31], v[30:31] op_sel:[0,1]
	v_pk_mov_b32 v[32:33], v[28:29], v[28:29] op_sel:[0,1]
	;; [unrolled: 1-line block ×16, first 2 shown]
	s_waitcnt vmcnt(0) lgkmcnt(0)
	v_pk_mov_b32 v[2:3], v[36:37], v[36:37] op_sel:[0,1]
.LBB1873_5:
	s_or_b64 exec, exec, s[20:21]
	v_or_b32_e32 v1, 0x80, v0
	v_cmp_gt_u32_e32 vcc, s24, v1
	s_and_saveexec_b64 s[0:1], vcc
	s_cbranch_execz .LBB1873_7
; %bb.6:
	v_mov_b32_e32 v1, s3
	v_add_co_u32_e32 v4, vcc, s2, v44
	v_addc_co_u32_e32 v5, vcc, 0, v1, vcc
	flat_load_dwordx2 v[6:7], v[4:5] offset:1024
.LBB1873_7:
	s_or_b64 exec, exec, s[0:1]
	v_or_b32_e32 v1, 0x100, v0
	v_cmp_gt_u32_e32 vcc, s24, v1
	s_and_saveexec_b64 s[0:1], vcc
	s_cbranch_execz .LBB1873_9
; %bb.8:
	v_mov_b32_e32 v1, s3
	v_add_co_u32_e32 v4, vcc, s2, v44
	v_addc_co_u32_e32 v5, vcc, 0, v1, vcc
	flat_load_dwordx2 v[8:9], v[4:5] offset:2048
.LBB1873_9:
	;; [unrolled: 11-line block ×3, first 2 shown]
	s_or_b64 exec, exec, s[0:1]
	v_or_b32_e32 v1, 0x200, v0
	v_cmp_gt_u32_e32 vcc, s24, v1
	s_and_saveexec_b64 s[0:1], vcc
	s_cbranch_execz .LBB1873_13
; %bb.12:
	v_lshlrev_b32_e32 v1, 3, v1
	v_mov_b32_e32 v5, s3
	v_add_co_u32_e32 v4, vcc, s2, v1
	v_addc_co_u32_e32 v5, vcc, 0, v5, vcc
	flat_load_dwordx2 v[12:13], v[4:5]
.LBB1873_13:
	s_or_b64 exec, exec, s[0:1]
	v_or_b32_e32 v1, 0x280, v0
	v_cmp_gt_u32_e32 vcc, s24, v1
	s_and_saveexec_b64 s[0:1], vcc
	s_cbranch_execz .LBB1873_15
; %bb.14:
	v_lshlrev_b32_e32 v1, 3, v1
	v_mov_b32_e32 v5, s3
	v_add_co_u32_e32 v4, vcc, s2, v1
	v_addc_co_u32_e32 v5, vcc, 0, v5, vcc
	flat_load_dwordx2 v[14:15], v[4:5]
.LBB1873_15:
	;; [unrolled: 12-line block ×6, first 2 shown]
	s_or_b64 exec, exec, s[0:1]
	s_waitcnt vmcnt(0) lgkmcnt(0)
	ds_write2st64_b64 v44, v[2:3], v[6:7] offset1:2
	ds_write2st64_b64 v44, v[8:9], v[10:11] offset0:4 offset1:6
	ds_write2st64_b64 v44, v[12:13], v[14:15] offset0:8 offset1:10
	;; [unrolled: 1-line block ×4, first 2 shown]
	s_waitcnt lgkmcnt(0)
	s_barrier
.LBB1873_24:
	v_mul_u32_u24_e32 v45, 10, v0
	v_lshlrev_b32_e32 v46, 3, v45
	s_waitcnt lgkmcnt(0)
	ds_read_b128 v[14:17], v46
	ds_read_b128 v[10:13], v46 offset:16
	ds_read_b128 v[6:9], v46 offset:32
	;; [unrolled: 1-line block ×4, first 2 shown]
	s_cmp_lg_u32 s6, 0
	s_waitcnt lgkmcnt(4)
	v_cmp_lt_f64_e32 vcc, v[14:15], v[16:17]
	v_mbcnt_lo_u32_b32 v1, -1, 0
	s_waitcnt lgkmcnt(0)
	s_barrier
	s_cbranch_scc0 .LBB1873_81
; %bb.25:
	v_cndmask_b32_e32 v23, v15, v17, vcc
	v_cndmask_b32_e32 v22, v14, v16, vcc
	v_cmp_lt_f64_e32 vcc, v[22:23], v[10:11]
	v_cndmask_b32_e32 v23, v23, v11, vcc
	v_cndmask_b32_e32 v22, v22, v10, vcc
	v_cmp_lt_f64_e32 vcc, v[22:23], v[12:13]
	;; [unrolled: 3-line block ×8, first 2 shown]
	v_mbcnt_hi_u32_b32 v33, -1, v1
	v_cndmask_b32_e32 v23, v23, v21, vcc
	v_cndmask_b32_e32 v22, v22, v20, vcc
	v_and_b32_e32 v26, 15, v33
	v_mov_b32_dpp v25, v23 row_shr:1 row_mask:0xf bank_mask:0xf
	v_mov_b32_dpp v24, v22 row_shr:1 row_mask:0xf bank_mask:0xf
	v_cmp_ne_u32_e32 vcc, 0, v26
	s_and_saveexec_b64 s[0:1], vcc
; %bb.26:
	v_cmp_gt_f64_e32 vcc, v[22:23], v[24:25]
	v_cndmask_b32_e32 v23, v25, v23, vcc
	v_cndmask_b32_e32 v22, v24, v22, vcc
; %bb.27:
	s_or_b64 exec, exec, s[0:1]
	s_nop 0
	v_mov_b32_dpp v24, v22 row_shr:2 row_mask:0xf bank_mask:0xf
	v_mov_b32_dpp v25, v23 row_shr:2 row_mask:0xf bank_mask:0xf
	v_cmp_lt_u32_e32 vcc, 1, v26
	s_and_saveexec_b64 s[0:1], vcc
; %bb.28:
	v_cmp_gt_f64_e32 vcc, v[22:23], v[24:25]
	v_cndmask_b32_e32 v23, v25, v23, vcc
	v_cndmask_b32_e32 v22, v24, v22, vcc
; %bb.29:
	s_or_b64 exec, exec, s[0:1]
	s_nop 0
	v_mov_b32_dpp v24, v22 row_shr:4 row_mask:0xf bank_mask:0xf
	v_mov_b32_dpp v25, v23 row_shr:4 row_mask:0xf bank_mask:0xf
	v_cmp_lt_u32_e32 vcc, 3, v26
	;; [unrolled: 11-line block ×3, first 2 shown]
	s_and_saveexec_b64 s[0:1], vcc
; %bb.32:
	v_cmp_gt_f64_e32 vcc, v[22:23], v[24:25]
	v_cndmask_b32_e32 v23, v25, v23, vcc
	v_cndmask_b32_e32 v22, v24, v22, vcc
; %bb.33:
	s_or_b64 exec, exec, s[0:1]
	v_and_b32_e32 v26, 16, v33
	v_mov_b32_dpp v24, v22 row_bcast:15 row_mask:0xf bank_mask:0xf
	v_mov_b32_dpp v25, v23 row_bcast:15 row_mask:0xf bank_mask:0xf
	v_cmp_ne_u32_e32 vcc, 0, v26
	s_and_saveexec_b64 s[0:1], vcc
; %bb.34:
	v_cmp_gt_f64_e32 vcc, v[22:23], v[24:25]
	v_cndmask_b32_e32 v23, v25, v23, vcc
	v_cndmask_b32_e32 v22, v24, v22, vcc
; %bb.35:
	s_or_b64 exec, exec, s[0:1]
	s_nop 0
	v_mov_b32_dpp v24, v22 row_bcast:31 row_mask:0xf bank_mask:0xf
	v_mov_b32_dpp v25, v23 row_bcast:31 row_mask:0xf bank_mask:0xf
	v_cmp_gt_f64_e32 vcc, v[22:23], v[24:25]
	v_cndmask_b32_e32 v24, v24, v22, vcc
	v_cndmask_b32_e32 v25, v25, v23, vcc
	v_cmp_lt_u32_e32 vcc, 31, v33
	v_cndmask_b32_e32 v23, v23, v25, vcc
	v_or_b32_e32 v25, 63, v0
	v_cndmask_b32_e32 v22, v22, v24, vcc
	v_lshrrev_b32_e32 v24, 6, v0
	v_cmp_eq_u32_e32 vcc, v25, v0
	s_and_saveexec_b64 s[0:1], vcc
	s_cbranch_execz .LBB1873_37
; %bb.36:
	v_lshlrev_b32_e32 v25, 3, v24
	ds_write_b64 v25, v[22:23]
.LBB1873_37:
	s_or_b64 exec, exec, s[0:1]
	v_cmp_gt_u32_e32 vcc, 2, v0
	s_waitcnt lgkmcnt(0)
	s_barrier
	s_and_saveexec_b64 s[2:3], vcc
	s_cbranch_execz .LBB1873_39
; %bb.38:
	ds_read_b64 v[26:27], v44
	v_and_b32_e32 v25, 1, v33
	v_cmp_eq_u32_e32 vcc, 0, v25
	s_waitcnt lgkmcnt(0)
	v_mov_b32_dpp v30, v27 row_shr:1 row_mask:0xf bank_mask:0xf
	v_mov_b32_dpp v28, v26 row_shr:1 row_mask:0xf bank_mask:0xf
	v_mov_b32_e32 v29, v30
	v_cmp_gt_f64_e64 s[0:1], v[26:27], v[28:29]
	s_or_b64 vcc, vcc, s[0:1]
	v_cndmask_b32_e32 v27, v30, v27, vcc
	v_cndmask_b32_e32 v26, v28, v26, vcc
	ds_write_b64 v44, v[26:27]
.LBB1873_39:
	s_or_b64 exec, exec, s[2:3]
	v_cmp_gt_u32_e32 vcc, 64, v0
	v_cmp_lt_u32_e64 s[0:1], 63, v0
	s_waitcnt lgkmcnt(0)
	s_barrier
	s_waitcnt lgkmcnt(0)
                                        ; implicit-def: $vgpr30_vgpr31
	s_and_saveexec_b64 s[2:3], s[0:1]
	s_cbranch_execz .LBB1873_41
; %bb.40:
	v_lshl_add_u32 v24, v24, 3, -8
	ds_read_b64 v[30:31], v24
	s_waitcnt lgkmcnt(0)
	v_cmp_lt_f64_e64 s[0:1], v[30:31], v[22:23]
	v_cndmask_b32_e64 v23, v31, v23, s[0:1]
	v_cndmask_b32_e64 v22, v30, v22, s[0:1]
.LBB1873_41:
	s_or_b64 exec, exec, s[2:3]
	v_add_u32_e32 v24, -1, v33
	v_and_b32_e32 v25, 64, v33
	v_cmp_lt_i32_e64 s[0:1], v24, v25
	v_cndmask_b32_e64 v24, v24, v33, s[0:1]
	v_lshlrev_b32_e32 v24, 2, v24
	ds_bpermute_b32 v38, v24, v22
	ds_bpermute_b32 v39, v24, v23
	v_cmp_eq_u32_e64 s[0:1], 0, v33
	s_and_saveexec_b64 s[20:21], vcc
	s_cbranch_execz .LBB1873_80
; %bb.42:
	v_mov_b32_e32 v25, 0
	ds_read_b64 v[22:23], v25 offset:8
	s_and_saveexec_b64 s[2:3], s[0:1]
	s_cbranch_execz .LBB1873_44
; %bb.43:
	s_add_i32 s22, s6, 64
	s_mov_b32 s23, 0
	s_lshl_b64 s[22:23], s[22:23], 4
	s_add_u32 s22, s16, s22
	s_addc_u32 s23, s17, s23
	v_mov_b32_e32 v24, 1
	v_pk_mov_b32 v[26:27], s[22:23], s[22:23] op_sel:[0,1]
	s_waitcnt lgkmcnt(0)
	;;#ASMSTART
	global_store_dwordx4 v[26:27], v[22:25] off	
s_waitcnt vmcnt(0)
	;;#ASMEND
.LBB1873_44:
	s_or_b64 exec, exec, s[2:3]
	v_xad_u32 v32, v33, -1, s6
	v_add_u32_e32 v24, 64, v32
	v_lshlrev_b64 v[26:27], 4, v[24:25]
	v_mov_b32_e32 v24, s17
	v_add_co_u32_e32 v34, vcc, s16, v26
	v_addc_co_u32_e32 v35, vcc, v24, v27, vcc
	;;#ASMSTART
	global_load_dwordx4 v[26:29], v[34:35] off glc	
s_waitcnt vmcnt(0)
	;;#ASMEND
	v_and_b32_e32 v24, 0xff, v27
	v_and_b32_e32 v29, 0xff00, v27
	v_or3_b32 v24, 0, v24, v29
	v_or3_b32 v26, v26, 0, 0
	v_and_b32_e32 v29, 0xff000000, v27
	v_and_b32_e32 v27, 0xff0000, v27
	v_or3_b32 v27, v24, v27, v29
	v_or3_b32 v26, v26, 0, 0
	v_cmp_eq_u16_sdwa s[22:23], v28, v25 src0_sel:BYTE_0 src1_sel:DWORD
	s_and_saveexec_b64 s[2:3], s[22:23]
	s_cbranch_execz .LBB1873_48
; %bb.45:
	s_mov_b64 s[22:23], 0
	v_mov_b32_e32 v24, 0
.LBB1873_46:                            ; =>This Inner Loop Header: Depth=1
	;;#ASMSTART
	global_load_dwordx4 v[26:29], v[34:35] off glc	
s_waitcnt vmcnt(0)
	;;#ASMEND
	v_cmp_ne_u16_sdwa s[28:29], v28, v24 src0_sel:BYTE_0 src1_sel:DWORD
	s_or_b64 s[22:23], s[28:29], s[22:23]
	s_andn2_b64 exec, exec, s[22:23]
	s_cbranch_execnz .LBB1873_46
; %bb.47:
	s_or_b64 exec, exec, s[22:23]
.LBB1873_48:
	s_or_b64 exec, exec, s[2:3]
	v_and_b32_e32 v40, 63, v33
	v_mov_b32_e32 v24, 2
	v_cmp_ne_u32_e32 vcc, 63, v40
	v_cmp_eq_u16_sdwa s[2:3], v28, v24 src0_sel:BYTE_0 src1_sel:DWORD
	v_lshlrev_b64 v[24:25], v33, -1
	v_addc_co_u32_e32 v34, vcc, 0, v33, vcc
	v_and_b32_e32 v29, s3, v25
	v_lshlrev_b32_e32 v41, 2, v34
	v_or_b32_e32 v29, 0x80000000, v29
	ds_bpermute_b32 v34, v41, v26
	ds_bpermute_b32 v35, v41, v27
	v_and_b32_e32 v36, s2, v24
	v_ffbl_b32_e32 v29, v29
	v_add_u32_e32 v29, 32, v29
	v_ffbl_b32_e32 v36, v36
	v_min_u32_e32 v29, v36, v29
	v_cmp_lt_u32_e32 vcc, v40, v29
	s_and_saveexec_b64 s[2:3], vcc
	s_cbranch_execz .LBB1873_50
; %bb.49:
	s_waitcnt lgkmcnt(0)
	v_cmp_lt_f64_e32 vcc, v[34:35], v[26:27]
	v_cndmask_b32_e32 v27, v35, v27, vcc
	v_cndmask_b32_e32 v26, v34, v26, vcc
.LBB1873_50:
	s_or_b64 exec, exec, s[2:3]
	v_cmp_gt_u32_e32 vcc, 62, v40
	s_waitcnt lgkmcnt(1)
	v_cndmask_b32_e64 v34, 0, 1, vcc
	v_lshlrev_b32_e32 v34, 1, v34
	v_add_lshl_u32 v42, v34, v33, 2
	ds_bpermute_b32 v34, v42, v26
	s_waitcnt lgkmcnt(1)
	ds_bpermute_b32 v35, v42, v27
	v_add_u32_e32 v43, 2, v40
	v_cmp_le_u32_e32 vcc, v43, v29
	s_and_saveexec_b64 s[2:3], vcc
	s_cbranch_execz .LBB1873_52
; %bb.51:
	s_waitcnt lgkmcnt(0)
	v_cmp_gt_f64_e32 vcc, v[26:27], v[34:35]
	v_cndmask_b32_e32 v27, v35, v27, vcc
	v_cndmask_b32_e32 v26, v34, v26, vcc
.LBB1873_52:
	s_or_b64 exec, exec, s[2:3]
	v_cmp_gt_u32_e32 vcc, 60, v40
	s_waitcnt lgkmcnt(1)
	v_cndmask_b32_e64 v34, 0, 1, vcc
	v_lshlrev_b32_e32 v34, 2, v34
	v_add_lshl_u32 v47, v34, v33, 2
	ds_bpermute_b32 v34, v47, v26
	s_waitcnt lgkmcnt(1)
	ds_bpermute_b32 v35, v47, v27
	v_add_u32_e32 v48, 4, v40
	v_cmp_le_u32_e32 vcc, v48, v29
	s_and_saveexec_b64 s[2:3], vcc
	s_cbranch_execz .LBB1873_54
; %bb.53:
	s_waitcnt lgkmcnt(0)
	v_cmp_gt_f64_e32 vcc, v[26:27], v[34:35]
	v_cndmask_b32_e32 v27, v35, v27, vcc
	v_cndmask_b32_e32 v26, v34, v26, vcc
.LBB1873_54:
	;; [unrolled: 19-line block ×4, first 2 shown]
	s_or_b64 exec, exec, s[2:3]
	v_cmp_gt_u32_e32 vcc, 32, v40
	s_waitcnt lgkmcnt(1)
	v_cndmask_b32_e64 v34, 0, 1, vcc
	v_lshlrev_b32_e32 v34, 5, v34
	v_add_lshl_u32 v53, v34, v33, 2
	ds_bpermute_b32 v34, v53, v27
	ds_bpermute_b32 v36, v53, v26
	v_add_u32_e32 v54, 32, v40
	v_cmp_gt_u32_e32 vcc, v54, v29
	v_mov_b32_e32 v33, 0
	s_waitcnt lgkmcnt(1)
	v_mov_b32_e32 v37, v34
	s_waitcnt lgkmcnt(0)
	v_cmp_gt_f64_e64 s[2:3], v[26:27], v[36:37]
	s_or_b64 vcc, vcc, s[2:3]
	v_cndmask_b32_e32 v27, v34, v27, vcc
	v_cndmask_b32_e32 v26, v36, v26, vcc
	v_mov_b32_e32 v55, 2
	s_branch .LBB1873_60
.LBB1873_59:                            ;   in Loop: Header=BB1873_60 Depth=1
	s_or_b64 exec, exec, s[2:3]
	s_waitcnt lgkmcnt(1)
	ds_bpermute_b32 v36, v53, v27
	ds_bpermute_b32 v56, v53, v26
	v_cmp_gt_u32_e32 vcc, v54, v29
	v_subrev_u32_e32 v32, 64, v32
	s_waitcnt lgkmcnt(1)
	v_mov_b32_e32 v57, v36
	s_waitcnt lgkmcnt(0)
	v_cmp_gt_f64_e64 s[2:3], v[26:27], v[56:57]
	s_or_b64 vcc, vcc, s[2:3]
	v_cndmask_b32_e32 v27, v36, v27, vcc
	v_cndmask_b32_e32 v26, v56, v26, vcc
	v_cmp_lt_f64_e32 vcc, v[26:27], v[34:35]
	v_cndmask_b32_e32 v27, v27, v35, vcc
	v_cndmask_b32_e32 v26, v26, v34, vcc
.LBB1873_60:                            ; =>This Loop Header: Depth=1
                                        ;     Child Loop BB1873_63 Depth 2
	v_cmp_ne_u16_sdwa s[2:3], v28, v55 src0_sel:BYTE_0 src1_sel:DWORD
	v_cndmask_b32_e64 v28, 0, 1, s[2:3]
	;;#ASMSTART
	;;#ASMEND
	v_cmp_ne_u32_e32 vcc, 0, v28
	s_cmp_lg_u64 vcc, exec
	v_pk_mov_b32 v[34:35], v[26:27], v[26:27] op_sel:[0,1]
	s_cbranch_scc1 .LBB1873_75
; %bb.61:                               ;   in Loop: Header=BB1873_60 Depth=1
	v_lshlrev_b64 v[26:27], 4, v[32:33]
	v_mov_b32_e32 v28, s17
	v_add_co_u32_e32 v36, vcc, s16, v26
	v_addc_co_u32_e32 v37, vcc, v28, v27, vcc
	;;#ASMSTART
	global_load_dwordx4 v[26:29], v[36:37] off glc	
s_waitcnt vmcnt(0)
	;;#ASMEND
	v_and_b32_e32 v29, 0xff, v27
	v_and_b32_e32 v56, 0xff00, v27
	v_or3_b32 v29, 0, v29, v56
	v_or3_b32 v26, v26, 0, 0
	v_and_b32_e32 v56, 0xff000000, v27
	v_and_b32_e32 v27, 0xff0000, v27
	v_or3_b32 v27, v29, v27, v56
	v_or3_b32 v26, v26, 0, 0
	v_cmp_eq_u16_sdwa s[22:23], v28, v33 src0_sel:BYTE_0 src1_sel:DWORD
	s_and_saveexec_b64 s[2:3], s[22:23]
	s_cbranch_execz .LBB1873_65
; %bb.62:                               ;   in Loop: Header=BB1873_60 Depth=1
	s_mov_b64 s[22:23], 0
.LBB1873_63:                            ;   Parent Loop BB1873_60 Depth=1
                                        ; =>  This Inner Loop Header: Depth=2
	;;#ASMSTART
	global_load_dwordx4 v[26:29], v[36:37] off glc	
s_waitcnt vmcnt(0)
	;;#ASMEND
	v_cmp_ne_u16_sdwa s[28:29], v28, v33 src0_sel:BYTE_0 src1_sel:DWORD
	s_or_b64 s[22:23], s[28:29], s[22:23]
	s_andn2_b64 exec, exec, s[22:23]
	s_cbranch_execnz .LBB1873_63
; %bb.64:                               ;   in Loop: Header=BB1873_60 Depth=1
	s_or_b64 exec, exec, s[22:23]
.LBB1873_65:                            ;   in Loop: Header=BB1873_60 Depth=1
	s_or_b64 exec, exec, s[2:3]
	v_cmp_eq_u16_sdwa s[2:3], v28, v55 src0_sel:BYTE_0 src1_sel:DWORD
	v_and_b32_e32 v29, s3, v25
	v_or_b32_e32 v29, 0x80000000, v29
	ds_bpermute_b32 v36, v41, v26
	ds_bpermute_b32 v37, v41, v27
	v_and_b32_e32 v56, s2, v24
	v_ffbl_b32_e32 v29, v29
	v_add_u32_e32 v29, 32, v29
	v_ffbl_b32_e32 v56, v56
	v_min_u32_e32 v29, v56, v29
	v_cmp_lt_u32_e32 vcc, v40, v29
	s_and_saveexec_b64 s[2:3], vcc
	s_cbranch_execz .LBB1873_67
; %bb.66:                               ;   in Loop: Header=BB1873_60 Depth=1
	s_waitcnt lgkmcnt(0)
	v_cmp_lt_f64_e32 vcc, v[36:37], v[26:27]
	v_cndmask_b32_e32 v27, v37, v27, vcc
	v_cndmask_b32_e32 v26, v36, v26, vcc
.LBB1873_67:                            ;   in Loop: Header=BB1873_60 Depth=1
	s_or_b64 exec, exec, s[2:3]
	s_waitcnt lgkmcnt(1)
	ds_bpermute_b32 v36, v42, v26
	s_waitcnt lgkmcnt(1)
	ds_bpermute_b32 v37, v42, v27
	v_cmp_le_u32_e32 vcc, v43, v29
	s_and_saveexec_b64 s[2:3], vcc
	s_cbranch_execz .LBB1873_69
; %bb.68:                               ;   in Loop: Header=BB1873_60 Depth=1
	s_waitcnt lgkmcnt(0)
	v_cmp_gt_f64_e32 vcc, v[26:27], v[36:37]
	v_cndmask_b32_e32 v27, v37, v27, vcc
	v_cndmask_b32_e32 v26, v36, v26, vcc
.LBB1873_69:                            ;   in Loop: Header=BB1873_60 Depth=1
	s_or_b64 exec, exec, s[2:3]
	s_waitcnt lgkmcnt(1)
	ds_bpermute_b32 v36, v47, v26
	s_waitcnt lgkmcnt(1)
	ds_bpermute_b32 v37, v47, v27
	v_cmp_le_u32_e32 vcc, v48, v29
	s_and_saveexec_b64 s[2:3], vcc
	s_cbranch_execz .LBB1873_71
; %bb.70:                               ;   in Loop: Header=BB1873_60 Depth=1
	s_waitcnt lgkmcnt(0)
	v_cmp_gt_f64_e32 vcc, v[26:27], v[36:37]
	v_cndmask_b32_e32 v27, v37, v27, vcc
	v_cndmask_b32_e32 v26, v36, v26, vcc
.LBB1873_71:                            ;   in Loop: Header=BB1873_60 Depth=1
	;; [unrolled: 14-line block ×3, first 2 shown]
	s_or_b64 exec, exec, s[2:3]
	s_waitcnt lgkmcnt(1)
	ds_bpermute_b32 v36, v51, v26
	s_waitcnt lgkmcnt(1)
	ds_bpermute_b32 v37, v51, v27
	v_cmp_le_u32_e32 vcc, v52, v29
	s_and_saveexec_b64 s[2:3], vcc
	s_cbranch_execz .LBB1873_59
; %bb.74:                               ;   in Loop: Header=BB1873_60 Depth=1
	s_waitcnt lgkmcnt(0)
	v_cmp_gt_f64_e32 vcc, v[26:27], v[36:37]
	v_cndmask_b32_e32 v27, v37, v27, vcc
	v_cndmask_b32_e32 v26, v36, v26, vcc
	s_branch .LBB1873_59
.LBB1873_75:                            ;   in Loop: Header=BB1873_60 Depth=1
                                        ; implicit-def: $vgpr26_vgpr27
                                        ; implicit-def: $vgpr28
	s_cbranch_execz .LBB1873_60
; %bb.76:
	s_and_saveexec_b64 s[2:3], s[0:1]
	s_cbranch_execz .LBB1873_78
; %bb.77:
	s_add_i32 s6, s6, 64
	s_mov_b32 s7, 0
	s_lshl_b64 s[6:7], s[6:7], 4
	s_add_u32 s6, s16, s6
	v_cmp_lt_f64_e32 vcc, v[34:35], v[22:23]
	s_addc_u32 s7, s17, s7
	v_cndmask_b32_e32 v23, v35, v23, vcc
	v_cndmask_b32_e32 v22, v34, v22, vcc
	v_mov_b32_e32 v24, 2
	v_mov_b32_e32 v25, 0
	v_pk_mov_b32 v[26:27], s[6:7], s[6:7] op_sel:[0,1]
	;;#ASMSTART
	global_store_dwordx4 v[26:27], v[22:25] off	
s_waitcnt vmcnt(0)
	;;#ASMEND
.LBB1873_78:
	s_or_b64 exec, exec, s[2:3]
	v_cmp_eq_u32_e32 vcc, 0, v0
	s_and_b64 exec, exec, vcc
	s_cbranch_execz .LBB1873_80
; %bb.79:
	v_mov_b32_e32 v22, 0
	ds_write_b64 v22, v[34:35] offset:8
.LBB1873_80:
	s_or_b64 exec, exec, s[20:21]
	v_mov_b32_e32 v22, 0
	s_waitcnt lgkmcnt(0)
	s_barrier
	ds_read_b64 v[22:23], v22 offset:8
	v_cndmask_b32_e64 v25, v39, v31, s[0:1]
	v_cndmask_b32_e64 v24, v38, v30, s[0:1]
	s_waitcnt lgkmcnt(0)
	v_cmp_lt_f64_e32 vcc, v[22:23], v[24:25]
	v_cndmask_b32_e32 v24, v22, v24, vcc
	v_cndmask_b32_e32 v25, v23, v25, vcc
	v_cmp_eq_u32_e32 vcc, 0, v0
	v_cndmask_b32_e32 v23, v25, v23, vcc
	v_cndmask_b32_e32 v22, v24, v22, vcc
	v_cmp_lt_f64_e32 vcc, v[22:23], v[14:15]
	v_cndmask_b32_e32 v25, v23, v15, vcc
	v_cndmask_b32_e32 v24, v22, v14, vcc
	v_cmp_lt_f64_e32 vcc, v[24:25], v[16:17]
	;; [unrolled: 3-line block ×9, first 2 shown]
	v_cndmask_b32_e32 v41, v39, v19, vcc
	v_cndmask_b32_e32 v40, v38, v18, vcc
	s_load_dwordx8 s[0:7], s[4:5], 0x40
	s_branch .LBB1873_103
.LBB1873_81:
                                        ; implicit-def: $vgpr40_vgpr41
                                        ; implicit-def: $vgpr36_vgpr37
                                        ; implicit-def: $vgpr32_vgpr33
                                        ; implicit-def: $vgpr28_vgpr29
                                        ; implicit-def: $vgpr24_vgpr25
	s_load_dwordx8 s[0:7], s[4:5], 0x40
	s_cbranch_execz .LBB1873_103
; %bb.82:
	s_waitcnt lgkmcnt(0)
	s_cmp_eq_u64 s[4:5], 0
	v_pk_mov_b32 v[42:43], s[18:19], s[18:19] op_sel:[0,1]
	s_cbranch_scc1 .LBB1873_84
; %bb.83:
	v_mov_b32_e32 v25, s27
	v_add_co_u32_e64 v24, vcc, -8, s26
	v_mov_b32_e32 v22, 0
	v_addc_co_u32_e32 v25, vcc, -1, v25, vcc
	global_load_dwordx2 v[22:23], v22, s[0:1]
	s_nop 0
	flat_load_dwordx2 v[24:25], v[24:25]
	s_waitcnt vmcnt(0) lgkmcnt(0)
	v_cmp_lt_f64_e32 vcc, v[22:23], v[24:25]
	v_cndmask_b32_e32 v43, v23, v25, vcc
	v_cndmask_b32_e32 v42, v22, v24, vcc
.LBB1873_84:
	v_cmp_lt_f64_e32 vcc, v[14:15], v[16:17]
	v_cndmask_b32_e32 v23, v15, v17, vcc
	v_cndmask_b32_e32 v22, v14, v16, vcc
	v_cmp_lt_f64_e32 vcc, v[22:23], v[10:11]
	v_cndmask_b32_e32 v23, v23, v11, vcc
	v_cndmask_b32_e32 v22, v22, v10, vcc
	;; [unrolled: 3-line block ×8, first 2 shown]
	v_cmp_lt_f64_e32 vcc, v[22:23], v[20:21]
	v_mbcnt_hi_u32_b32 v1, -1, v1
	v_cndmask_b32_e32 v21, v23, v21, vcc
	v_cndmask_b32_e32 v20, v22, v20, vcc
	v_and_b32_e32 v24, 15, v1
	v_mov_b32_dpp v23, v21 row_shr:1 row_mask:0xf bank_mask:0xf
	v_mov_b32_dpp v22, v20 row_shr:1 row_mask:0xf bank_mask:0xf
	v_cmp_ne_u32_e32 vcc, 0, v24
	s_and_saveexec_b64 s[0:1], vcc
; %bb.85:
	v_cmp_gt_f64_e32 vcc, v[20:21], v[22:23]
	v_cndmask_b32_e32 v21, v23, v21, vcc
	v_cndmask_b32_e32 v20, v22, v20, vcc
; %bb.86:
	s_or_b64 exec, exec, s[0:1]
	s_nop 0
	v_mov_b32_dpp v22, v20 row_shr:2 row_mask:0xf bank_mask:0xf
	v_mov_b32_dpp v23, v21 row_shr:2 row_mask:0xf bank_mask:0xf
	v_cmp_lt_u32_e32 vcc, 1, v24
	s_and_saveexec_b64 s[0:1], vcc
; %bb.87:
	v_cmp_gt_f64_e32 vcc, v[20:21], v[22:23]
	v_cndmask_b32_e32 v21, v23, v21, vcc
	v_cndmask_b32_e32 v20, v22, v20, vcc
; %bb.88:
	s_or_b64 exec, exec, s[0:1]
	s_nop 0
	v_mov_b32_dpp v22, v20 row_shr:4 row_mask:0xf bank_mask:0xf
	v_mov_b32_dpp v23, v21 row_shr:4 row_mask:0xf bank_mask:0xf
	v_cmp_lt_u32_e32 vcc, 3, v24
	;; [unrolled: 11-line block ×3, first 2 shown]
	s_and_saveexec_b64 s[0:1], vcc
; %bb.91:
	v_cmp_gt_f64_e32 vcc, v[20:21], v[22:23]
	v_cndmask_b32_e32 v21, v23, v21, vcc
	v_cndmask_b32_e32 v20, v22, v20, vcc
; %bb.92:
	s_or_b64 exec, exec, s[0:1]
	v_and_b32_e32 v24, 16, v1
	v_mov_b32_dpp v22, v20 row_bcast:15 row_mask:0xf bank_mask:0xf
	v_mov_b32_dpp v23, v21 row_bcast:15 row_mask:0xf bank_mask:0xf
	v_cmp_ne_u32_e32 vcc, 0, v24
	s_and_saveexec_b64 s[0:1], vcc
; %bb.93:
	v_cmp_gt_f64_e32 vcc, v[20:21], v[22:23]
	v_cndmask_b32_e32 v21, v23, v21, vcc
	v_cndmask_b32_e32 v20, v22, v20, vcc
; %bb.94:
	s_or_b64 exec, exec, s[0:1]
	s_nop 0
	v_mov_b32_dpp v22, v20 row_bcast:31 row_mask:0xf bank_mask:0xf
	v_mov_b32_dpp v23, v21 row_bcast:31 row_mask:0xf bank_mask:0xf
	v_cmp_gt_f64_e32 vcc, v[20:21], v[22:23]
	v_cndmask_b32_e32 v22, v22, v20, vcc
	v_cndmask_b32_e32 v23, v23, v21, vcc
	v_cmp_lt_u32_e32 vcc, 31, v1
	v_cndmask_b32_e32 v20, v20, v22, vcc
	v_or_b32_e32 v22, 63, v0
	v_cndmask_b32_e32 v21, v21, v23, vcc
	v_lshrrev_b32_e32 v24, 6, v0
	v_cmp_eq_u32_e32 vcc, v22, v0
	s_and_saveexec_b64 s[0:1], vcc
	s_cbranch_execz .LBB1873_96
; %bb.95:
	v_lshlrev_b32_e32 v22, 3, v24
	ds_write_b64 v22, v[20:21]
.LBB1873_96:
	s_or_b64 exec, exec, s[0:1]
	v_cmp_gt_u32_e32 vcc, 2, v0
	s_waitcnt lgkmcnt(0)
	s_barrier
	s_and_saveexec_b64 s[4:5], vcc
	s_cbranch_execz .LBB1873_98
; %bb.97:
	s_movk_i32 s0, 0xffb8
	v_mad_i32_i24 v25, v0, s0, v46
	ds_read_b64 v[22:23], v25
	v_and_b32_e32 v26, 1, v1
	v_cmp_eq_u32_e32 vcc, 0, v26
	s_waitcnt lgkmcnt(0)
	v_mov_b32_dpp v28, v23 row_shr:1 row_mask:0xf bank_mask:0xf
	v_mov_b32_dpp v26, v22 row_shr:1 row_mask:0xf bank_mask:0xf
	v_mov_b32_e32 v27, v28
	v_cmp_gt_f64_e64 s[0:1], v[22:23], v[26:27]
	s_or_b64 vcc, vcc, s[0:1]
	v_cndmask_b32_e32 v23, v28, v23, vcc
	v_cndmask_b32_e32 v22, v26, v22, vcc
	ds_write_b64 v25, v[22:23]
.LBB1873_98:
	s_or_b64 exec, exec, s[4:5]
	v_cmp_lt_u32_e32 vcc, 63, v0
	v_pk_mov_b32 v[22:23], v[42:43], v[42:43] op_sel:[0,1]
	s_waitcnt lgkmcnt(0)
	s_barrier
	s_and_saveexec_b64 s[0:1], vcc
	s_cbranch_execz .LBB1873_100
; %bb.99:
	v_lshl_add_u32 v22, v24, 3, -8
	ds_read_b64 v[22:23], v22
	s_waitcnt lgkmcnt(0)
	v_cmp_gt_f64_e32 vcc, v[22:23], v[42:43]
	v_cndmask_b32_e32 v23, v43, v23, vcc
	v_cndmask_b32_e32 v22, v42, v22, vcc
.LBB1873_100:
	s_or_b64 exec, exec, s[0:1]
	v_cmp_lt_f64_e32 vcc, v[22:23], v[20:21]
	v_add_u32_e32 v24, -1, v1
	v_and_b32_e32 v25, 64, v1
	v_cndmask_b32_e32 v21, v23, v21, vcc
	v_cndmask_b32_e32 v20, v22, v20, vcc
	v_cmp_lt_i32_e32 vcc, v24, v25
	v_cndmask_b32_e32 v24, v24, v1, vcc
	v_lshlrev_b32_e32 v24, 2, v24
	ds_bpermute_b32 v20, v24, v20
	ds_bpermute_b32 v21, v24, v21
	v_cmp_eq_u32_e32 vcc, 0, v1
	s_waitcnt lgkmcnt(1)
	v_cndmask_b32_e32 v1, v20, v22, vcc
	s_waitcnt lgkmcnt(0)
	v_cndmask_b32_e32 v20, v21, v23, vcc
	v_cmp_eq_u32_e32 vcc, 0, v0
	v_cndmask_b32_e32 v23, v20, v43, vcc
	v_cndmask_b32_e32 v22, v1, v42, vcc
	v_cmp_lt_f64_e64 s[0:1], v[22:23], v[14:15]
	v_cndmask_b32_e64 v25, v23, v15, s[0:1]
	v_cndmask_b32_e64 v24, v22, v14, s[0:1]
	v_cmp_lt_f64_e64 s[0:1], v[24:25], v[16:17]
	v_cndmask_b32_e64 v27, v25, v17, s[0:1]
	v_cndmask_b32_e64 v26, v24, v16, s[0:1]
	;; [unrolled: 3-line block ×9, first 2 shown]
	s_and_saveexec_b64 s[0:1], vcc
	s_cbranch_execz .LBB1873_102
; %bb.101:
	v_mov_b32_e32 v5, 0
	ds_read_b64 v[2:3], v5 offset:8
	s_add_u32 s4, s16, 0x400
	s_addc_u32 s5, s17, 0
	v_mov_b32_e32 v4, 2
	v_pk_mov_b32 v[6:7], s[4:5], s[4:5] op_sel:[0,1]
	s_waitcnt lgkmcnt(0)
	v_cmp_gt_f64_e32 vcc, v[2:3], v[42:43]
	v_cndmask_b32_e32 v3, v43, v3, vcc
	v_cndmask_b32_e32 v2, v42, v2, vcc
	;;#ASMSTART
	global_store_dwordx4 v[6:7], v[2:5] off	
s_waitcnt vmcnt(0)
	;;#ASMEND
.LBB1873_102:
	s_or_b64 exec, exec, s[0:1]
.LBB1873_103:
	s_waitcnt lgkmcnt(0)
	s_add_u32 s0, s12, s10
	s_addc_u32 s1, s13, s11
	s_add_u32 s4, s0, s14
	s_addc_u32 s5, s1, s15
	s_mov_b64 s[0:1], -1
	s_and_b64 vcc, exec, s[8:9]
	s_barrier
	s_cbranch_vccz .LBB1873_105
; %bb.104:
	ds_write_b128 v46, v[22:25]
	ds_write_b128 v46, v[26:29] offset:16
	ds_write_b128 v46, v[30:33] offset:32
	;; [unrolled: 1-line block ×4, first 2 shown]
	s_waitcnt lgkmcnt(0)
	s_barrier
	ds_read2st64_b64 v[2:5], v44 offset1:2
	ds_read2st64_b64 v[6:9], v44 offset0:4 offset1:6
	ds_read2st64_b64 v[10:13], v44 offset0:8 offset1:10
	;; [unrolled: 1-line block ×4, first 2 shown]
	v_mov_b32_e32 v1, s5
	v_add_co_u32_e32 v42, vcc, s4, v44
	v_addc_co_u32_e32 v43, vcc, 0, v1, vcc
	s_movk_i32 s0, 0x1000
	s_waitcnt lgkmcnt(4)
	flat_store_dwordx2 v[42:43], v[2:3]
	flat_store_dwordx2 v[42:43], v[4:5] offset:1024
	s_waitcnt lgkmcnt(0)
	flat_store_dwordx2 v[42:43], v[6:7] offset:2048
	flat_store_dwordx2 v[42:43], v[8:9] offset:3072
	v_add_co_u32_e32 v2, vcc, s0, v42
	v_addc_co_u32_e32 v3, vcc, 0, v43, vcc
	flat_store_dwordx2 v[2:3], v[10:11]
	flat_store_dwordx2 v[2:3], v[12:13] offset:1024
	flat_store_dwordx2 v[2:3], v[14:15] offset:2048
	;; [unrolled: 1-line block ×3, first 2 shown]
	v_add_co_u32_e32 v2, vcc, 0x2000, v42
	v_addc_co_u32_e32 v3, vcc, 0, v43, vcc
	flat_store_dwordx2 v[2:3], v[18:19]
	flat_store_dwordx2 v[2:3], v[20:21] offset:1024
	s_mov_b64 s[0:1], 0
.LBB1873_105:
	s_andn2_b64 vcc, exec, s[0:1]
	s_cbranch_vccnz .LBB1873_161
; %bb.106:
	s_movk_i32 s0, 0xffb8
	v_mad_i32_i24 v18, v0, s0, v46
	ds_write_b128 v46, v[22:25]
	ds_write_b128 v46, v[26:29] offset:16
	ds_write_b128 v46, v[30:33] offset:32
	;; [unrolled: 1-line block ×4, first 2 shown]
	s_waitcnt lgkmcnt(0)
	s_barrier
	ds_read2st64_b64 v[2:5], v18 offset1:2
	ds_read2st64_b64 v[10:13], v18 offset0:4 offset1:6
	ds_read2st64_b64 v[6:9], v18 offset0:8 offset1:10
	;; [unrolled: 1-line block ×4, first 2 shown]
	v_mov_b32_e32 v23, s5
	v_add_co_u32_e32 v22, vcc, s4, v44
	v_addc_co_u32_e32 v23, vcc, 0, v23, vcc
	v_mov_b32_e32 v1, 0
	v_cmp_gt_u32_e32 vcc, s24, v0
	s_and_saveexec_b64 s[0:1], vcc
	s_cbranch_execz .LBB1873_108
; %bb.107:
	s_waitcnt lgkmcnt(0)
	flat_store_dwordx2 v[22:23], v[2:3]
.LBB1873_108:
	s_or_b64 exec, exec, s[0:1]
	v_or_b32_e32 v24, 0x80, v0
	v_cmp_gt_u32_e32 vcc, s24, v24
	s_and_saveexec_b64 s[0:1], vcc
	s_cbranch_execz .LBB1873_110
; %bb.109:
	s_waitcnt lgkmcnt(0)
	flat_store_dwordx2 v[22:23], v[4:5] offset:1024
.LBB1873_110:
	s_or_b64 exec, exec, s[0:1]
	v_or_b32_e32 v24, 0x100, v0
	v_cmp_gt_u32_e32 vcc, s24, v24
	s_and_saveexec_b64 s[0:1], vcc
	s_cbranch_execz .LBB1873_112
; %bb.111:
	s_waitcnt lgkmcnt(0)
	flat_store_dwordx2 v[22:23], v[10:11] offset:2048
.LBB1873_112:
	;; [unrolled: 9-line block ×3, first 2 shown]
	s_or_b64 exec, exec, s[0:1]
	v_or_b32_e32 v24, 0x200, v0
	v_cmp_gt_u32_e32 vcc, s24, v24
	s_and_saveexec_b64 s[0:1], vcc
	s_cbranch_execz .LBB1873_116
; %bb.115:
	v_add_co_u32_e32 v24, vcc, 0x1000, v22
	v_addc_co_u32_e32 v25, vcc, 0, v23, vcc
	s_waitcnt lgkmcnt(0)
	flat_store_dwordx2 v[24:25], v[6:7]
.LBB1873_116:
	s_or_b64 exec, exec, s[0:1]
	v_or_b32_e32 v24, 0x280, v0
	v_cmp_gt_u32_e32 vcc, s24, v24
	s_and_saveexec_b64 s[0:1], vcc
	s_cbranch_execz .LBB1873_118
; %bb.117:
	v_add_co_u32_e32 v24, vcc, 0x1000, v22
	v_addc_co_u32_e32 v25, vcc, 0, v23, vcc
	s_waitcnt lgkmcnt(0)
	flat_store_dwordx2 v[24:25], v[8:9] offset:1024
.LBB1873_118:
	s_or_b64 exec, exec, s[0:1]
	v_or_b32_e32 v24, 0x300, v0
	v_cmp_gt_u32_e32 vcc, s24, v24
	s_and_saveexec_b64 s[0:1], vcc
	s_cbranch_execz .LBB1873_120
; %bb.119:
	v_add_co_u32_e32 v24, vcc, 0x1000, v22
	v_addc_co_u32_e32 v25, vcc, 0, v23, vcc
	s_waitcnt lgkmcnt(0)
	flat_store_dwordx2 v[24:25], v[14:15] offset:2048
.LBB1873_120:
	;; [unrolled: 11-line block ×3, first 2 shown]
	s_or_b64 exec, exec, s[0:1]
	v_or_b32_e32 v24, 0x400, v0
	v_cmp_gt_u32_e32 vcc, s24, v24
	s_and_saveexec_b64 s[0:1], vcc
	s_cbranch_execz .LBB1873_124
; %bb.123:
	v_add_co_u32_e32 v24, vcc, 0x2000, v22
	v_addc_co_u32_e32 v25, vcc, 0, v23, vcc
	s_waitcnt lgkmcnt(0)
	flat_store_dwordx2 v[24:25], v[18:19]
.LBB1873_124:
	s_or_b64 exec, exec, s[0:1]
	v_or_b32_e32 v24, 0x480, v0
	v_cmp_gt_u32_e32 vcc, s24, v24
	s_and_saveexec_b64 s[0:1], vcc
	s_cbranch_execz .LBB1873_126
; %bb.125:
	v_add_co_u32_e32 v22, vcc, 0x2000, v22
	v_addc_co_u32_e32 v23, vcc, 0, v23, vcc
	s_waitcnt lgkmcnt(0)
	flat_store_dwordx2 v[22:23], v[20:21] offset:1024
.LBB1873_126:
	s_or_b64 exec, exec, s[0:1]
	v_cmp_lt_u64_e64 s[0:1], s[6:7], 2
	s_and_b64 vcc, exec, s[0:1]
	s_cbranch_vccnz .LBB1873_161
; %bb.127:
	s_add_u32 s0, s24, -1
	s_addc_u32 s1, s25, -1
	s_add_u32 s4, 0, 0x99986000
	s_addc_u32 s5, 0, 0x59
	s_add_i32 s5, s5, 0x19999940
	s_mul_hi_u32 s9, s4, -10
	s_sub_i32 s9, s9, s4
	s_mul_i32 s10, s5, -10
	s_mul_i32 s6, s4, -10
	s_add_i32 s9, s9, s10
	s_mul_hi_u32 s7, s5, s6
	s_mul_i32 s8, s5, s6
	s_mul_i32 s11, s4, s9
	s_mul_hi_u32 s6, s4, s6
	s_mul_hi_u32 s10, s4, s9
	s_add_u32 s6, s6, s11
	s_addc_u32 s10, 0, s10
	s_add_u32 s6, s6, s8
	s_mul_hi_u32 s11, s5, s9
	s_addc_u32 s6, s10, s7
	s_addc_u32 s7, s11, 0
	s_mul_i32 s8, s5, s9
	s_add_u32 s6, s6, s8
	v_mov_b32_e32 v22, s6
	s_addc_u32 s7, 0, s7
	v_add_co_u32_e32 v22, vcc, s4, v22
	s_cmp_lg_u64 vcc, 0
	s_addc_u32 s4, s5, s7
	v_readfirstlane_b32 s7, v22
	s_mul_i32 s6, s0, s4
	s_mul_hi_u32 s8, s0, s7
	s_mul_hi_u32 s5, s0, s4
	s_add_u32 s6, s8, s6
	s_addc_u32 s5, 0, s5
	s_mul_hi_u32 s9, s1, s7
	s_mul_i32 s7, s1, s7
	s_add_u32 s6, s6, s7
	s_mul_hi_u32 s8, s1, s4
	s_addc_u32 s5, s5, s9
	s_addc_u32 s6, s8, 0
	s_mul_i32 s4, s1, s4
	s_add_u32 s4, s5, s4
	s_addc_u32 s5, 0, s6
	s_add_u32 s6, s4, 1
	s_addc_u32 s7, s5, 0
	s_add_u32 s8, s4, 2
	s_mul_i32 s10, s5, 10
	s_mul_hi_u32 s11, s4, 10
	s_addc_u32 s9, s5, 0
	s_add_i32 s11, s11, s10
	s_mul_i32 s10, s4, 10
	v_mov_b32_e32 v22, s10
	v_sub_co_u32_e32 v22, vcc, s0, v22
	s_cmp_lg_u64 vcc, 0
	s_subb_u32 s10, s1, s11
	v_subrev_co_u32_e32 v23, vcc, 10, v22
	s_cmp_lg_u64 vcc, 0
	s_subb_u32 s11, s10, 0
	v_readfirstlane_b32 s12, v23
	s_cmp_gt_u32 s12, 9
	s_cselect_b32 s12, -1, 0
	s_cmp_eq_u32 s11, 0
	s_cselect_b32 s11, s12, -1
	s_cmp_lg_u32 s11, 0
	s_cselect_b32 s6, s8, s6
	v_readfirstlane_b32 s8, v22
	s_cselect_b32 s7, s9, s7
	s_cmp_gt_u32 s8, 9
	s_cselect_b32 s8, -1, 0
	s_cmp_eq_u32 s10, 0
	s_cselect_b32 s8, s8, -1
	s_cmp_lg_u32 s8, 0
	s_cselect_b32 s5, s7, s5
	s_cselect_b32 s4, s6, s4
	v_cmp_eq_u64_e32 vcc, s[4:5], v[0:1]
	s_and_saveexec_b64 s[4:5], vcc
	s_cbranch_execz .LBB1873_161
; %bb.128:
	v_mul_hi_u32_u24_e32 v1, 10, v0
	v_mov_b32_e32 v22, s1
	v_sub_co_u32_e32 v0, vcc, s0, v45
	v_subb_co_u32_e32 v1, vcc, v22, v1, vcc
	v_cmp_lt_i64_e32 vcc, 4, v[0:1]
	s_and_saveexec_b64 s[0:1], vcc
	s_xor_b64 s[0:1], exec, s[0:1]
	s_cbranch_execz .LBB1873_146
; %bb.129:
	v_cmp_lt_i64_e32 vcc, 6, v[0:1]
	s_and_saveexec_b64 s[4:5], vcc
	s_xor_b64 s[4:5], exec, s[4:5]
	s_cbranch_execz .LBB1873_139
; %bb.130:
	;; [unrolled: 5-line block ×4, first 2 shown]
	v_mov_b32_e32 v0, 0
	s_waitcnt lgkmcnt(0)
	global_store_dwordx2 v0, v[20:21], s[2:3]
                                        ; implicit-def: $vgpr18_vgpr19_vgpr20_vgpr21
.LBB1873_133:
	s_andn2_saveexec_b64 s[8:9], s[8:9]
	s_cbranch_execz .LBB1873_135
; %bb.134:
	v_mov_b32_e32 v0, 0
	s_waitcnt lgkmcnt(0)
	global_store_dwordx2 v0, v[18:19], s[2:3]
.LBB1873_135:
	s_or_b64 exec, exec, s[8:9]
                                        ; implicit-def: $vgpr14_vgpr15_vgpr16_vgpr17
.LBB1873_136:
	s_andn2_saveexec_b64 s[6:7], s[6:7]
	s_cbranch_execz .LBB1873_138
; %bb.137:
	v_mov_b32_e32 v0, 0
	s_waitcnt lgkmcnt(0)
	global_store_dwordx2 v0, v[16:17], s[2:3]
.LBB1873_138:
	s_or_b64 exec, exec, s[6:7]
                                        ; implicit-def: $vgpr6_vgpr7_vgpr8_vgpr9
                                        ; implicit-def: $vgpr0_vgpr1
                                        ; implicit-def: $vgpr14_vgpr15_vgpr16_vgpr17
.LBB1873_139:
	s_andn2_saveexec_b64 s[4:5], s[4:5]
	s_cbranch_execz .LBB1873_145
; %bb.140:
	v_cmp_lt_i64_e32 vcc, 5, v[0:1]
	s_and_saveexec_b64 s[6:7], vcc
	s_xor_b64 s[6:7], exec, s[6:7]
	s_cbranch_execz .LBB1873_142
; %bb.141:
	v_mov_b32_e32 v0, 0
	s_waitcnt lgkmcnt(0)
	global_store_dwordx2 v0, v[14:15], s[2:3]
                                        ; implicit-def: $vgpr6_vgpr7_vgpr8_vgpr9
.LBB1873_142:
	s_andn2_saveexec_b64 s[6:7], s[6:7]
	s_cbranch_execz .LBB1873_144
; %bb.143:
	v_mov_b32_e32 v0, 0
	s_waitcnt lgkmcnt(0)
	global_store_dwordx2 v0, v[8:9], s[2:3]
.LBB1873_144:
	s_or_b64 exec, exec, s[6:7]
.LBB1873_145:
	s_or_b64 exec, exec, s[4:5]
                                        ; implicit-def: $vgpr0_vgpr1
                                        ; implicit-def: $vgpr10_vgpr11_vgpr12_vgpr13
                                        ; implicit-def: $vgpr2_vgpr3_vgpr4_vgpr5
                                        ; implicit-def: $vgpr6_vgpr7_vgpr8_vgpr9
.LBB1873_146:
	s_andn2_saveexec_b64 s[0:1], s[0:1]
	s_cbranch_execz .LBB1873_161
; %bb.147:
	v_cmp_lt_i64_e32 vcc, 2, v[0:1]
	s_and_saveexec_b64 s[0:1], vcc
	s_xor_b64 s[0:1], exec, s[0:1]
	s_cbranch_execz .LBB1873_153
; %bb.148:
	v_cmp_lt_i64_e32 vcc, 3, v[0:1]
	s_and_saveexec_b64 s[4:5], vcc
	s_xor_b64 s[4:5], exec, s[4:5]
	s_cbranch_execz .LBB1873_150
; %bb.149:
	v_mov_b32_e32 v0, 0
	s_waitcnt lgkmcnt(0)
	global_store_dwordx2 v0, v[6:7], s[2:3]
                                        ; implicit-def: $vgpr10_vgpr11_vgpr12_vgpr13
.LBB1873_150:
	s_andn2_saveexec_b64 s[4:5], s[4:5]
	s_cbranch_execz .LBB1873_152
; %bb.151:
	v_mov_b32_e32 v0, 0
	s_waitcnt lgkmcnt(0)
	global_store_dwordx2 v0, v[12:13], s[2:3]
.LBB1873_152:
	s_or_b64 exec, exec, s[4:5]
                                        ; implicit-def: $vgpr0_vgpr1
                                        ; implicit-def: $vgpr10_vgpr11_vgpr12_vgpr13
                                        ; implicit-def: $vgpr2_vgpr3_vgpr4_vgpr5
.LBB1873_153:
	s_andn2_saveexec_b64 s[0:1], s[0:1]
	s_cbranch_execz .LBB1873_161
; %bb.154:
	v_cmp_lt_i64_e32 vcc, 1, v[0:1]
	s_and_saveexec_b64 s[0:1], vcc
	s_xor_b64 s[0:1], exec, s[0:1]
	s_cbranch_execz .LBB1873_156
; %bb.155:
	v_mov_b32_e32 v0, 0
	s_waitcnt lgkmcnt(0)
	global_store_dwordx2 v0, v[10:11], s[2:3]
                                        ; implicit-def: $vgpr2_vgpr3_vgpr4_vgpr5
                                        ; implicit-def: $vgpr0_vgpr1
.LBB1873_156:
	s_andn2_saveexec_b64 s[0:1], s[0:1]
	s_cbranch_execz .LBB1873_161
; %bb.157:
	v_cmp_ne_u64_e32 vcc, 1, v[0:1]
	s_and_saveexec_b64 s[0:1], vcc
	s_xor_b64 s[0:1], exec, s[0:1]
	s_cbranch_execz .LBB1873_159
; %bb.158:
	v_mov_b32_e32 v0, 0
	s_waitcnt lgkmcnt(0)
	global_store_dwordx2 v0, v[2:3], s[2:3]
                                        ; implicit-def: $vgpr2_vgpr3_vgpr4_vgpr5
.LBB1873_159:
	s_andn2_saveexec_b64 s[0:1], s[0:1]
	s_cbranch_execz .LBB1873_161
; %bb.160:
	v_mov_b32_e32 v0, 0
	s_waitcnt lgkmcnt(0)
	global_store_dwordx2 v0, v[4:5], s[2:3]
.LBB1873_161:
	s_endpgm
	.section	.rodata,"a",@progbits
	.p2align	6, 0x0
	.amdhsa_kernel _ZN7rocprim17ROCPRIM_400000_NS6detail17trampoline_kernelINS0_14default_configENS1_20scan_config_selectorIdEEZZNS1_9scan_implILNS1_25lookback_scan_determinismE0ELb1ELb1ES3_N6thrust23THRUST_200600_302600_NS6detail15normal_iteratorINS9_10device_ptrIdEEEESE_d11max_functorIdEdEEDaPvRmT3_T4_T5_mT6_P12ihipStream_tbENKUlT_T0_E_clISt17integral_constantIbLb0EESU_EEDaSP_SQ_EUlSP_E_NS1_11comp_targetILNS1_3genE4ELNS1_11target_archE910ELNS1_3gpuE8ELNS1_3repE0EEENS1_30default_config_static_selectorELNS0_4arch9wavefront6targetE1EEEvT1_
		.amdhsa_group_segment_fixed_size 10240
		.amdhsa_private_segment_fixed_size 0
		.amdhsa_kernarg_size 104
		.amdhsa_user_sgpr_count 6
		.amdhsa_user_sgpr_private_segment_buffer 1
		.amdhsa_user_sgpr_dispatch_ptr 0
		.amdhsa_user_sgpr_queue_ptr 0
		.amdhsa_user_sgpr_kernarg_segment_ptr 1
		.amdhsa_user_sgpr_dispatch_id 0
		.amdhsa_user_sgpr_flat_scratch_init 0
		.amdhsa_user_sgpr_kernarg_preload_length 0
		.amdhsa_user_sgpr_kernarg_preload_offset 0
		.amdhsa_user_sgpr_private_segment_size 0
		.amdhsa_uses_dynamic_stack 0
		.amdhsa_system_sgpr_private_segment_wavefront_offset 0
		.amdhsa_system_sgpr_workgroup_id_x 1
		.amdhsa_system_sgpr_workgroup_id_y 0
		.amdhsa_system_sgpr_workgroup_id_z 0
		.amdhsa_system_sgpr_workgroup_info 0
		.amdhsa_system_vgpr_workitem_id 0
		.amdhsa_next_free_vgpr 58
		.amdhsa_next_free_sgpr 30
		.amdhsa_accum_offset 60
		.amdhsa_reserve_vcc 1
		.amdhsa_reserve_flat_scratch 0
		.amdhsa_float_round_mode_32 0
		.amdhsa_float_round_mode_16_64 0
		.amdhsa_float_denorm_mode_32 3
		.amdhsa_float_denorm_mode_16_64 3
		.amdhsa_dx10_clamp 1
		.amdhsa_ieee_mode 1
		.amdhsa_fp16_overflow 0
		.amdhsa_tg_split 0
		.amdhsa_exception_fp_ieee_invalid_op 0
		.amdhsa_exception_fp_denorm_src 0
		.amdhsa_exception_fp_ieee_div_zero 0
		.amdhsa_exception_fp_ieee_overflow 0
		.amdhsa_exception_fp_ieee_underflow 0
		.amdhsa_exception_fp_ieee_inexact 0
		.amdhsa_exception_int_div_zero 0
	.end_amdhsa_kernel
	.section	.text._ZN7rocprim17ROCPRIM_400000_NS6detail17trampoline_kernelINS0_14default_configENS1_20scan_config_selectorIdEEZZNS1_9scan_implILNS1_25lookback_scan_determinismE0ELb1ELb1ES3_N6thrust23THRUST_200600_302600_NS6detail15normal_iteratorINS9_10device_ptrIdEEEESE_d11max_functorIdEdEEDaPvRmT3_T4_T5_mT6_P12ihipStream_tbENKUlT_T0_E_clISt17integral_constantIbLb0EESU_EEDaSP_SQ_EUlSP_E_NS1_11comp_targetILNS1_3genE4ELNS1_11target_archE910ELNS1_3gpuE8ELNS1_3repE0EEENS1_30default_config_static_selectorELNS0_4arch9wavefront6targetE1EEEvT1_,"axG",@progbits,_ZN7rocprim17ROCPRIM_400000_NS6detail17trampoline_kernelINS0_14default_configENS1_20scan_config_selectorIdEEZZNS1_9scan_implILNS1_25lookback_scan_determinismE0ELb1ELb1ES3_N6thrust23THRUST_200600_302600_NS6detail15normal_iteratorINS9_10device_ptrIdEEEESE_d11max_functorIdEdEEDaPvRmT3_T4_T5_mT6_P12ihipStream_tbENKUlT_T0_E_clISt17integral_constantIbLb0EESU_EEDaSP_SQ_EUlSP_E_NS1_11comp_targetILNS1_3genE4ELNS1_11target_archE910ELNS1_3gpuE8ELNS1_3repE0EEENS1_30default_config_static_selectorELNS0_4arch9wavefront6targetE1EEEvT1_,comdat
.Lfunc_end1873:
	.size	_ZN7rocprim17ROCPRIM_400000_NS6detail17trampoline_kernelINS0_14default_configENS1_20scan_config_selectorIdEEZZNS1_9scan_implILNS1_25lookback_scan_determinismE0ELb1ELb1ES3_N6thrust23THRUST_200600_302600_NS6detail15normal_iteratorINS9_10device_ptrIdEEEESE_d11max_functorIdEdEEDaPvRmT3_T4_T5_mT6_P12ihipStream_tbENKUlT_T0_E_clISt17integral_constantIbLb0EESU_EEDaSP_SQ_EUlSP_E_NS1_11comp_targetILNS1_3genE4ELNS1_11target_archE910ELNS1_3gpuE8ELNS1_3repE0EEENS1_30default_config_static_selectorELNS0_4arch9wavefront6targetE1EEEvT1_, .Lfunc_end1873-_ZN7rocprim17ROCPRIM_400000_NS6detail17trampoline_kernelINS0_14default_configENS1_20scan_config_selectorIdEEZZNS1_9scan_implILNS1_25lookback_scan_determinismE0ELb1ELb1ES3_N6thrust23THRUST_200600_302600_NS6detail15normal_iteratorINS9_10device_ptrIdEEEESE_d11max_functorIdEdEEDaPvRmT3_T4_T5_mT6_P12ihipStream_tbENKUlT_T0_E_clISt17integral_constantIbLb0EESU_EEDaSP_SQ_EUlSP_E_NS1_11comp_targetILNS1_3genE4ELNS1_11target_archE910ELNS1_3gpuE8ELNS1_3repE0EEENS1_30default_config_static_selectorELNS0_4arch9wavefront6targetE1EEEvT1_
                                        ; -- End function
	.section	.AMDGPU.csdata,"",@progbits
; Kernel info:
; codeLenInByte = 6240
; NumSgprs: 34
; NumVgprs: 58
; NumAgprs: 0
; TotalNumVgprs: 58
; ScratchSize: 0
; MemoryBound: 0
; FloatMode: 240
; IeeeMode: 1
; LDSByteSize: 10240 bytes/workgroup (compile time only)
; SGPRBlocks: 4
; VGPRBlocks: 7
; NumSGPRsForWavesPerEU: 34
; NumVGPRsForWavesPerEU: 58
; AccumOffset: 60
; Occupancy: 3
; WaveLimiterHint : 1
; COMPUTE_PGM_RSRC2:SCRATCH_EN: 0
; COMPUTE_PGM_RSRC2:USER_SGPR: 6
; COMPUTE_PGM_RSRC2:TRAP_HANDLER: 0
; COMPUTE_PGM_RSRC2:TGID_X_EN: 1
; COMPUTE_PGM_RSRC2:TGID_Y_EN: 0
; COMPUTE_PGM_RSRC2:TGID_Z_EN: 0
; COMPUTE_PGM_RSRC2:TIDIG_COMP_CNT: 0
; COMPUTE_PGM_RSRC3_GFX90A:ACCUM_OFFSET: 14
; COMPUTE_PGM_RSRC3_GFX90A:TG_SPLIT: 0
	.section	.text._ZN7rocprim17ROCPRIM_400000_NS6detail17trampoline_kernelINS0_14default_configENS1_20scan_config_selectorIdEEZZNS1_9scan_implILNS1_25lookback_scan_determinismE0ELb1ELb1ES3_N6thrust23THRUST_200600_302600_NS6detail15normal_iteratorINS9_10device_ptrIdEEEESE_d11max_functorIdEdEEDaPvRmT3_T4_T5_mT6_P12ihipStream_tbENKUlT_T0_E_clISt17integral_constantIbLb0EESU_EEDaSP_SQ_EUlSP_E_NS1_11comp_targetILNS1_3genE3ELNS1_11target_archE908ELNS1_3gpuE7ELNS1_3repE0EEENS1_30default_config_static_selectorELNS0_4arch9wavefront6targetE1EEEvT1_,"axG",@progbits,_ZN7rocprim17ROCPRIM_400000_NS6detail17trampoline_kernelINS0_14default_configENS1_20scan_config_selectorIdEEZZNS1_9scan_implILNS1_25lookback_scan_determinismE0ELb1ELb1ES3_N6thrust23THRUST_200600_302600_NS6detail15normal_iteratorINS9_10device_ptrIdEEEESE_d11max_functorIdEdEEDaPvRmT3_T4_T5_mT6_P12ihipStream_tbENKUlT_T0_E_clISt17integral_constantIbLb0EESU_EEDaSP_SQ_EUlSP_E_NS1_11comp_targetILNS1_3genE3ELNS1_11target_archE908ELNS1_3gpuE7ELNS1_3repE0EEENS1_30default_config_static_selectorELNS0_4arch9wavefront6targetE1EEEvT1_,comdat
	.protected	_ZN7rocprim17ROCPRIM_400000_NS6detail17trampoline_kernelINS0_14default_configENS1_20scan_config_selectorIdEEZZNS1_9scan_implILNS1_25lookback_scan_determinismE0ELb1ELb1ES3_N6thrust23THRUST_200600_302600_NS6detail15normal_iteratorINS9_10device_ptrIdEEEESE_d11max_functorIdEdEEDaPvRmT3_T4_T5_mT6_P12ihipStream_tbENKUlT_T0_E_clISt17integral_constantIbLb0EESU_EEDaSP_SQ_EUlSP_E_NS1_11comp_targetILNS1_3genE3ELNS1_11target_archE908ELNS1_3gpuE7ELNS1_3repE0EEENS1_30default_config_static_selectorELNS0_4arch9wavefront6targetE1EEEvT1_ ; -- Begin function _ZN7rocprim17ROCPRIM_400000_NS6detail17trampoline_kernelINS0_14default_configENS1_20scan_config_selectorIdEEZZNS1_9scan_implILNS1_25lookback_scan_determinismE0ELb1ELb1ES3_N6thrust23THRUST_200600_302600_NS6detail15normal_iteratorINS9_10device_ptrIdEEEESE_d11max_functorIdEdEEDaPvRmT3_T4_T5_mT6_P12ihipStream_tbENKUlT_T0_E_clISt17integral_constantIbLb0EESU_EEDaSP_SQ_EUlSP_E_NS1_11comp_targetILNS1_3genE3ELNS1_11target_archE908ELNS1_3gpuE7ELNS1_3repE0EEENS1_30default_config_static_selectorELNS0_4arch9wavefront6targetE1EEEvT1_
	.globl	_ZN7rocprim17ROCPRIM_400000_NS6detail17trampoline_kernelINS0_14default_configENS1_20scan_config_selectorIdEEZZNS1_9scan_implILNS1_25lookback_scan_determinismE0ELb1ELb1ES3_N6thrust23THRUST_200600_302600_NS6detail15normal_iteratorINS9_10device_ptrIdEEEESE_d11max_functorIdEdEEDaPvRmT3_T4_T5_mT6_P12ihipStream_tbENKUlT_T0_E_clISt17integral_constantIbLb0EESU_EEDaSP_SQ_EUlSP_E_NS1_11comp_targetILNS1_3genE3ELNS1_11target_archE908ELNS1_3gpuE7ELNS1_3repE0EEENS1_30default_config_static_selectorELNS0_4arch9wavefront6targetE1EEEvT1_
	.p2align	8
	.type	_ZN7rocprim17ROCPRIM_400000_NS6detail17trampoline_kernelINS0_14default_configENS1_20scan_config_selectorIdEEZZNS1_9scan_implILNS1_25lookback_scan_determinismE0ELb1ELb1ES3_N6thrust23THRUST_200600_302600_NS6detail15normal_iteratorINS9_10device_ptrIdEEEESE_d11max_functorIdEdEEDaPvRmT3_T4_T5_mT6_P12ihipStream_tbENKUlT_T0_E_clISt17integral_constantIbLb0EESU_EEDaSP_SQ_EUlSP_E_NS1_11comp_targetILNS1_3genE3ELNS1_11target_archE908ELNS1_3gpuE7ELNS1_3repE0EEENS1_30default_config_static_selectorELNS0_4arch9wavefront6targetE1EEEvT1_,@function
_ZN7rocprim17ROCPRIM_400000_NS6detail17trampoline_kernelINS0_14default_configENS1_20scan_config_selectorIdEEZZNS1_9scan_implILNS1_25lookback_scan_determinismE0ELb1ELb1ES3_N6thrust23THRUST_200600_302600_NS6detail15normal_iteratorINS9_10device_ptrIdEEEESE_d11max_functorIdEdEEDaPvRmT3_T4_T5_mT6_P12ihipStream_tbENKUlT_T0_E_clISt17integral_constantIbLb0EESU_EEDaSP_SQ_EUlSP_E_NS1_11comp_targetILNS1_3genE3ELNS1_11target_archE908ELNS1_3gpuE7ELNS1_3repE0EEENS1_30default_config_static_selectorELNS0_4arch9wavefront6targetE1EEEvT1_: ; @_ZN7rocprim17ROCPRIM_400000_NS6detail17trampoline_kernelINS0_14default_configENS1_20scan_config_selectorIdEEZZNS1_9scan_implILNS1_25lookback_scan_determinismE0ELb1ELb1ES3_N6thrust23THRUST_200600_302600_NS6detail15normal_iteratorINS9_10device_ptrIdEEEESE_d11max_functorIdEdEEDaPvRmT3_T4_T5_mT6_P12ihipStream_tbENKUlT_T0_E_clISt17integral_constantIbLb0EESU_EEDaSP_SQ_EUlSP_E_NS1_11comp_targetILNS1_3genE3ELNS1_11target_archE908ELNS1_3gpuE7ELNS1_3repE0EEENS1_30default_config_static_selectorELNS0_4arch9wavefront6targetE1EEEvT1_
; %bb.0:
	.section	.rodata,"a",@progbits
	.p2align	6, 0x0
	.amdhsa_kernel _ZN7rocprim17ROCPRIM_400000_NS6detail17trampoline_kernelINS0_14default_configENS1_20scan_config_selectorIdEEZZNS1_9scan_implILNS1_25lookback_scan_determinismE0ELb1ELb1ES3_N6thrust23THRUST_200600_302600_NS6detail15normal_iteratorINS9_10device_ptrIdEEEESE_d11max_functorIdEdEEDaPvRmT3_T4_T5_mT6_P12ihipStream_tbENKUlT_T0_E_clISt17integral_constantIbLb0EESU_EEDaSP_SQ_EUlSP_E_NS1_11comp_targetILNS1_3genE3ELNS1_11target_archE908ELNS1_3gpuE7ELNS1_3repE0EEENS1_30default_config_static_selectorELNS0_4arch9wavefront6targetE1EEEvT1_
		.amdhsa_group_segment_fixed_size 0
		.amdhsa_private_segment_fixed_size 0
		.amdhsa_kernarg_size 104
		.amdhsa_user_sgpr_count 6
		.amdhsa_user_sgpr_private_segment_buffer 1
		.amdhsa_user_sgpr_dispatch_ptr 0
		.amdhsa_user_sgpr_queue_ptr 0
		.amdhsa_user_sgpr_kernarg_segment_ptr 1
		.amdhsa_user_sgpr_dispatch_id 0
		.amdhsa_user_sgpr_flat_scratch_init 0
		.amdhsa_user_sgpr_kernarg_preload_length 0
		.amdhsa_user_sgpr_kernarg_preload_offset 0
		.amdhsa_user_sgpr_private_segment_size 0
		.amdhsa_uses_dynamic_stack 0
		.amdhsa_system_sgpr_private_segment_wavefront_offset 0
		.amdhsa_system_sgpr_workgroup_id_x 1
		.amdhsa_system_sgpr_workgroup_id_y 0
		.amdhsa_system_sgpr_workgroup_id_z 0
		.amdhsa_system_sgpr_workgroup_info 0
		.amdhsa_system_vgpr_workitem_id 0
		.amdhsa_next_free_vgpr 1
		.amdhsa_next_free_sgpr 0
		.amdhsa_accum_offset 4
		.amdhsa_reserve_vcc 0
		.amdhsa_reserve_flat_scratch 0
		.amdhsa_float_round_mode_32 0
		.amdhsa_float_round_mode_16_64 0
		.amdhsa_float_denorm_mode_32 3
		.amdhsa_float_denorm_mode_16_64 3
		.amdhsa_dx10_clamp 1
		.amdhsa_ieee_mode 1
		.amdhsa_fp16_overflow 0
		.amdhsa_tg_split 0
		.amdhsa_exception_fp_ieee_invalid_op 0
		.amdhsa_exception_fp_denorm_src 0
		.amdhsa_exception_fp_ieee_div_zero 0
		.amdhsa_exception_fp_ieee_overflow 0
		.amdhsa_exception_fp_ieee_underflow 0
		.amdhsa_exception_fp_ieee_inexact 0
		.amdhsa_exception_int_div_zero 0
	.end_amdhsa_kernel
	.section	.text._ZN7rocprim17ROCPRIM_400000_NS6detail17trampoline_kernelINS0_14default_configENS1_20scan_config_selectorIdEEZZNS1_9scan_implILNS1_25lookback_scan_determinismE0ELb1ELb1ES3_N6thrust23THRUST_200600_302600_NS6detail15normal_iteratorINS9_10device_ptrIdEEEESE_d11max_functorIdEdEEDaPvRmT3_T4_T5_mT6_P12ihipStream_tbENKUlT_T0_E_clISt17integral_constantIbLb0EESU_EEDaSP_SQ_EUlSP_E_NS1_11comp_targetILNS1_3genE3ELNS1_11target_archE908ELNS1_3gpuE7ELNS1_3repE0EEENS1_30default_config_static_selectorELNS0_4arch9wavefront6targetE1EEEvT1_,"axG",@progbits,_ZN7rocprim17ROCPRIM_400000_NS6detail17trampoline_kernelINS0_14default_configENS1_20scan_config_selectorIdEEZZNS1_9scan_implILNS1_25lookback_scan_determinismE0ELb1ELb1ES3_N6thrust23THRUST_200600_302600_NS6detail15normal_iteratorINS9_10device_ptrIdEEEESE_d11max_functorIdEdEEDaPvRmT3_T4_T5_mT6_P12ihipStream_tbENKUlT_T0_E_clISt17integral_constantIbLb0EESU_EEDaSP_SQ_EUlSP_E_NS1_11comp_targetILNS1_3genE3ELNS1_11target_archE908ELNS1_3gpuE7ELNS1_3repE0EEENS1_30default_config_static_selectorELNS0_4arch9wavefront6targetE1EEEvT1_,comdat
.Lfunc_end1874:
	.size	_ZN7rocprim17ROCPRIM_400000_NS6detail17trampoline_kernelINS0_14default_configENS1_20scan_config_selectorIdEEZZNS1_9scan_implILNS1_25lookback_scan_determinismE0ELb1ELb1ES3_N6thrust23THRUST_200600_302600_NS6detail15normal_iteratorINS9_10device_ptrIdEEEESE_d11max_functorIdEdEEDaPvRmT3_T4_T5_mT6_P12ihipStream_tbENKUlT_T0_E_clISt17integral_constantIbLb0EESU_EEDaSP_SQ_EUlSP_E_NS1_11comp_targetILNS1_3genE3ELNS1_11target_archE908ELNS1_3gpuE7ELNS1_3repE0EEENS1_30default_config_static_selectorELNS0_4arch9wavefront6targetE1EEEvT1_, .Lfunc_end1874-_ZN7rocprim17ROCPRIM_400000_NS6detail17trampoline_kernelINS0_14default_configENS1_20scan_config_selectorIdEEZZNS1_9scan_implILNS1_25lookback_scan_determinismE0ELb1ELb1ES3_N6thrust23THRUST_200600_302600_NS6detail15normal_iteratorINS9_10device_ptrIdEEEESE_d11max_functorIdEdEEDaPvRmT3_T4_T5_mT6_P12ihipStream_tbENKUlT_T0_E_clISt17integral_constantIbLb0EESU_EEDaSP_SQ_EUlSP_E_NS1_11comp_targetILNS1_3genE3ELNS1_11target_archE908ELNS1_3gpuE7ELNS1_3repE0EEENS1_30default_config_static_selectorELNS0_4arch9wavefront6targetE1EEEvT1_
                                        ; -- End function
	.section	.AMDGPU.csdata,"",@progbits
; Kernel info:
; codeLenInByte = 0
; NumSgprs: 4
; NumVgprs: 0
; NumAgprs: 0
; TotalNumVgprs: 0
; ScratchSize: 0
; MemoryBound: 0
; FloatMode: 240
; IeeeMode: 1
; LDSByteSize: 0 bytes/workgroup (compile time only)
; SGPRBlocks: 0
; VGPRBlocks: 0
; NumSGPRsForWavesPerEU: 4
; NumVGPRsForWavesPerEU: 1
; AccumOffset: 4
; Occupancy: 8
; WaveLimiterHint : 0
; COMPUTE_PGM_RSRC2:SCRATCH_EN: 0
; COMPUTE_PGM_RSRC2:USER_SGPR: 6
; COMPUTE_PGM_RSRC2:TRAP_HANDLER: 0
; COMPUTE_PGM_RSRC2:TGID_X_EN: 1
; COMPUTE_PGM_RSRC2:TGID_Y_EN: 0
; COMPUTE_PGM_RSRC2:TGID_Z_EN: 0
; COMPUTE_PGM_RSRC2:TIDIG_COMP_CNT: 0
; COMPUTE_PGM_RSRC3_GFX90A:ACCUM_OFFSET: 0
; COMPUTE_PGM_RSRC3_GFX90A:TG_SPLIT: 0
	.section	.text._ZN7rocprim17ROCPRIM_400000_NS6detail17trampoline_kernelINS0_14default_configENS1_20scan_config_selectorIdEEZZNS1_9scan_implILNS1_25lookback_scan_determinismE0ELb1ELb1ES3_N6thrust23THRUST_200600_302600_NS6detail15normal_iteratorINS9_10device_ptrIdEEEESE_d11max_functorIdEdEEDaPvRmT3_T4_T5_mT6_P12ihipStream_tbENKUlT_T0_E_clISt17integral_constantIbLb0EESU_EEDaSP_SQ_EUlSP_E_NS1_11comp_targetILNS1_3genE2ELNS1_11target_archE906ELNS1_3gpuE6ELNS1_3repE0EEENS1_30default_config_static_selectorELNS0_4arch9wavefront6targetE1EEEvT1_,"axG",@progbits,_ZN7rocprim17ROCPRIM_400000_NS6detail17trampoline_kernelINS0_14default_configENS1_20scan_config_selectorIdEEZZNS1_9scan_implILNS1_25lookback_scan_determinismE0ELb1ELb1ES3_N6thrust23THRUST_200600_302600_NS6detail15normal_iteratorINS9_10device_ptrIdEEEESE_d11max_functorIdEdEEDaPvRmT3_T4_T5_mT6_P12ihipStream_tbENKUlT_T0_E_clISt17integral_constantIbLb0EESU_EEDaSP_SQ_EUlSP_E_NS1_11comp_targetILNS1_3genE2ELNS1_11target_archE906ELNS1_3gpuE6ELNS1_3repE0EEENS1_30default_config_static_selectorELNS0_4arch9wavefront6targetE1EEEvT1_,comdat
	.protected	_ZN7rocprim17ROCPRIM_400000_NS6detail17trampoline_kernelINS0_14default_configENS1_20scan_config_selectorIdEEZZNS1_9scan_implILNS1_25lookback_scan_determinismE0ELb1ELb1ES3_N6thrust23THRUST_200600_302600_NS6detail15normal_iteratorINS9_10device_ptrIdEEEESE_d11max_functorIdEdEEDaPvRmT3_T4_T5_mT6_P12ihipStream_tbENKUlT_T0_E_clISt17integral_constantIbLb0EESU_EEDaSP_SQ_EUlSP_E_NS1_11comp_targetILNS1_3genE2ELNS1_11target_archE906ELNS1_3gpuE6ELNS1_3repE0EEENS1_30default_config_static_selectorELNS0_4arch9wavefront6targetE1EEEvT1_ ; -- Begin function _ZN7rocprim17ROCPRIM_400000_NS6detail17trampoline_kernelINS0_14default_configENS1_20scan_config_selectorIdEEZZNS1_9scan_implILNS1_25lookback_scan_determinismE0ELb1ELb1ES3_N6thrust23THRUST_200600_302600_NS6detail15normal_iteratorINS9_10device_ptrIdEEEESE_d11max_functorIdEdEEDaPvRmT3_T4_T5_mT6_P12ihipStream_tbENKUlT_T0_E_clISt17integral_constantIbLb0EESU_EEDaSP_SQ_EUlSP_E_NS1_11comp_targetILNS1_3genE2ELNS1_11target_archE906ELNS1_3gpuE6ELNS1_3repE0EEENS1_30default_config_static_selectorELNS0_4arch9wavefront6targetE1EEEvT1_
	.globl	_ZN7rocprim17ROCPRIM_400000_NS6detail17trampoline_kernelINS0_14default_configENS1_20scan_config_selectorIdEEZZNS1_9scan_implILNS1_25lookback_scan_determinismE0ELb1ELb1ES3_N6thrust23THRUST_200600_302600_NS6detail15normal_iteratorINS9_10device_ptrIdEEEESE_d11max_functorIdEdEEDaPvRmT3_T4_T5_mT6_P12ihipStream_tbENKUlT_T0_E_clISt17integral_constantIbLb0EESU_EEDaSP_SQ_EUlSP_E_NS1_11comp_targetILNS1_3genE2ELNS1_11target_archE906ELNS1_3gpuE6ELNS1_3repE0EEENS1_30default_config_static_selectorELNS0_4arch9wavefront6targetE1EEEvT1_
	.p2align	8
	.type	_ZN7rocprim17ROCPRIM_400000_NS6detail17trampoline_kernelINS0_14default_configENS1_20scan_config_selectorIdEEZZNS1_9scan_implILNS1_25lookback_scan_determinismE0ELb1ELb1ES3_N6thrust23THRUST_200600_302600_NS6detail15normal_iteratorINS9_10device_ptrIdEEEESE_d11max_functorIdEdEEDaPvRmT3_T4_T5_mT6_P12ihipStream_tbENKUlT_T0_E_clISt17integral_constantIbLb0EESU_EEDaSP_SQ_EUlSP_E_NS1_11comp_targetILNS1_3genE2ELNS1_11target_archE906ELNS1_3gpuE6ELNS1_3repE0EEENS1_30default_config_static_selectorELNS0_4arch9wavefront6targetE1EEEvT1_,@function
_ZN7rocprim17ROCPRIM_400000_NS6detail17trampoline_kernelINS0_14default_configENS1_20scan_config_selectorIdEEZZNS1_9scan_implILNS1_25lookback_scan_determinismE0ELb1ELb1ES3_N6thrust23THRUST_200600_302600_NS6detail15normal_iteratorINS9_10device_ptrIdEEEESE_d11max_functorIdEdEEDaPvRmT3_T4_T5_mT6_P12ihipStream_tbENKUlT_T0_E_clISt17integral_constantIbLb0EESU_EEDaSP_SQ_EUlSP_E_NS1_11comp_targetILNS1_3genE2ELNS1_11target_archE906ELNS1_3gpuE6ELNS1_3repE0EEENS1_30default_config_static_selectorELNS0_4arch9wavefront6targetE1EEEvT1_: ; @_ZN7rocprim17ROCPRIM_400000_NS6detail17trampoline_kernelINS0_14default_configENS1_20scan_config_selectorIdEEZZNS1_9scan_implILNS1_25lookback_scan_determinismE0ELb1ELb1ES3_N6thrust23THRUST_200600_302600_NS6detail15normal_iteratorINS9_10device_ptrIdEEEESE_d11max_functorIdEdEEDaPvRmT3_T4_T5_mT6_P12ihipStream_tbENKUlT_T0_E_clISt17integral_constantIbLb0EESU_EEDaSP_SQ_EUlSP_E_NS1_11comp_targetILNS1_3genE2ELNS1_11target_archE906ELNS1_3gpuE6ELNS1_3repE0EEENS1_30default_config_static_selectorELNS0_4arch9wavefront6targetE1EEEvT1_
; %bb.0:
	.section	.rodata,"a",@progbits
	.p2align	6, 0x0
	.amdhsa_kernel _ZN7rocprim17ROCPRIM_400000_NS6detail17trampoline_kernelINS0_14default_configENS1_20scan_config_selectorIdEEZZNS1_9scan_implILNS1_25lookback_scan_determinismE0ELb1ELb1ES3_N6thrust23THRUST_200600_302600_NS6detail15normal_iteratorINS9_10device_ptrIdEEEESE_d11max_functorIdEdEEDaPvRmT3_T4_T5_mT6_P12ihipStream_tbENKUlT_T0_E_clISt17integral_constantIbLb0EESU_EEDaSP_SQ_EUlSP_E_NS1_11comp_targetILNS1_3genE2ELNS1_11target_archE906ELNS1_3gpuE6ELNS1_3repE0EEENS1_30default_config_static_selectorELNS0_4arch9wavefront6targetE1EEEvT1_
		.amdhsa_group_segment_fixed_size 0
		.amdhsa_private_segment_fixed_size 0
		.amdhsa_kernarg_size 104
		.amdhsa_user_sgpr_count 6
		.amdhsa_user_sgpr_private_segment_buffer 1
		.amdhsa_user_sgpr_dispatch_ptr 0
		.amdhsa_user_sgpr_queue_ptr 0
		.amdhsa_user_sgpr_kernarg_segment_ptr 1
		.amdhsa_user_sgpr_dispatch_id 0
		.amdhsa_user_sgpr_flat_scratch_init 0
		.amdhsa_user_sgpr_kernarg_preload_length 0
		.amdhsa_user_sgpr_kernarg_preload_offset 0
		.amdhsa_user_sgpr_private_segment_size 0
		.amdhsa_uses_dynamic_stack 0
		.amdhsa_system_sgpr_private_segment_wavefront_offset 0
		.amdhsa_system_sgpr_workgroup_id_x 1
		.amdhsa_system_sgpr_workgroup_id_y 0
		.amdhsa_system_sgpr_workgroup_id_z 0
		.amdhsa_system_sgpr_workgroup_info 0
		.amdhsa_system_vgpr_workitem_id 0
		.amdhsa_next_free_vgpr 1
		.amdhsa_next_free_sgpr 0
		.amdhsa_accum_offset 4
		.amdhsa_reserve_vcc 0
		.amdhsa_reserve_flat_scratch 0
		.amdhsa_float_round_mode_32 0
		.amdhsa_float_round_mode_16_64 0
		.amdhsa_float_denorm_mode_32 3
		.amdhsa_float_denorm_mode_16_64 3
		.amdhsa_dx10_clamp 1
		.amdhsa_ieee_mode 1
		.amdhsa_fp16_overflow 0
		.amdhsa_tg_split 0
		.amdhsa_exception_fp_ieee_invalid_op 0
		.amdhsa_exception_fp_denorm_src 0
		.amdhsa_exception_fp_ieee_div_zero 0
		.amdhsa_exception_fp_ieee_overflow 0
		.amdhsa_exception_fp_ieee_underflow 0
		.amdhsa_exception_fp_ieee_inexact 0
		.amdhsa_exception_int_div_zero 0
	.end_amdhsa_kernel
	.section	.text._ZN7rocprim17ROCPRIM_400000_NS6detail17trampoline_kernelINS0_14default_configENS1_20scan_config_selectorIdEEZZNS1_9scan_implILNS1_25lookback_scan_determinismE0ELb1ELb1ES3_N6thrust23THRUST_200600_302600_NS6detail15normal_iteratorINS9_10device_ptrIdEEEESE_d11max_functorIdEdEEDaPvRmT3_T4_T5_mT6_P12ihipStream_tbENKUlT_T0_E_clISt17integral_constantIbLb0EESU_EEDaSP_SQ_EUlSP_E_NS1_11comp_targetILNS1_3genE2ELNS1_11target_archE906ELNS1_3gpuE6ELNS1_3repE0EEENS1_30default_config_static_selectorELNS0_4arch9wavefront6targetE1EEEvT1_,"axG",@progbits,_ZN7rocprim17ROCPRIM_400000_NS6detail17trampoline_kernelINS0_14default_configENS1_20scan_config_selectorIdEEZZNS1_9scan_implILNS1_25lookback_scan_determinismE0ELb1ELb1ES3_N6thrust23THRUST_200600_302600_NS6detail15normal_iteratorINS9_10device_ptrIdEEEESE_d11max_functorIdEdEEDaPvRmT3_T4_T5_mT6_P12ihipStream_tbENKUlT_T0_E_clISt17integral_constantIbLb0EESU_EEDaSP_SQ_EUlSP_E_NS1_11comp_targetILNS1_3genE2ELNS1_11target_archE906ELNS1_3gpuE6ELNS1_3repE0EEENS1_30default_config_static_selectorELNS0_4arch9wavefront6targetE1EEEvT1_,comdat
.Lfunc_end1875:
	.size	_ZN7rocprim17ROCPRIM_400000_NS6detail17trampoline_kernelINS0_14default_configENS1_20scan_config_selectorIdEEZZNS1_9scan_implILNS1_25lookback_scan_determinismE0ELb1ELb1ES3_N6thrust23THRUST_200600_302600_NS6detail15normal_iteratorINS9_10device_ptrIdEEEESE_d11max_functorIdEdEEDaPvRmT3_T4_T5_mT6_P12ihipStream_tbENKUlT_T0_E_clISt17integral_constantIbLb0EESU_EEDaSP_SQ_EUlSP_E_NS1_11comp_targetILNS1_3genE2ELNS1_11target_archE906ELNS1_3gpuE6ELNS1_3repE0EEENS1_30default_config_static_selectorELNS0_4arch9wavefront6targetE1EEEvT1_, .Lfunc_end1875-_ZN7rocprim17ROCPRIM_400000_NS6detail17trampoline_kernelINS0_14default_configENS1_20scan_config_selectorIdEEZZNS1_9scan_implILNS1_25lookback_scan_determinismE0ELb1ELb1ES3_N6thrust23THRUST_200600_302600_NS6detail15normal_iteratorINS9_10device_ptrIdEEEESE_d11max_functorIdEdEEDaPvRmT3_T4_T5_mT6_P12ihipStream_tbENKUlT_T0_E_clISt17integral_constantIbLb0EESU_EEDaSP_SQ_EUlSP_E_NS1_11comp_targetILNS1_3genE2ELNS1_11target_archE906ELNS1_3gpuE6ELNS1_3repE0EEENS1_30default_config_static_selectorELNS0_4arch9wavefront6targetE1EEEvT1_
                                        ; -- End function
	.section	.AMDGPU.csdata,"",@progbits
; Kernel info:
; codeLenInByte = 0
; NumSgprs: 4
; NumVgprs: 0
; NumAgprs: 0
; TotalNumVgprs: 0
; ScratchSize: 0
; MemoryBound: 0
; FloatMode: 240
; IeeeMode: 1
; LDSByteSize: 0 bytes/workgroup (compile time only)
; SGPRBlocks: 0
; VGPRBlocks: 0
; NumSGPRsForWavesPerEU: 4
; NumVGPRsForWavesPerEU: 1
; AccumOffset: 4
; Occupancy: 8
; WaveLimiterHint : 0
; COMPUTE_PGM_RSRC2:SCRATCH_EN: 0
; COMPUTE_PGM_RSRC2:USER_SGPR: 6
; COMPUTE_PGM_RSRC2:TRAP_HANDLER: 0
; COMPUTE_PGM_RSRC2:TGID_X_EN: 1
; COMPUTE_PGM_RSRC2:TGID_Y_EN: 0
; COMPUTE_PGM_RSRC2:TGID_Z_EN: 0
; COMPUTE_PGM_RSRC2:TIDIG_COMP_CNT: 0
; COMPUTE_PGM_RSRC3_GFX90A:ACCUM_OFFSET: 0
; COMPUTE_PGM_RSRC3_GFX90A:TG_SPLIT: 0
	.section	.text._ZN7rocprim17ROCPRIM_400000_NS6detail17trampoline_kernelINS0_14default_configENS1_20scan_config_selectorIdEEZZNS1_9scan_implILNS1_25lookback_scan_determinismE0ELb1ELb1ES3_N6thrust23THRUST_200600_302600_NS6detail15normal_iteratorINS9_10device_ptrIdEEEESE_d11max_functorIdEdEEDaPvRmT3_T4_T5_mT6_P12ihipStream_tbENKUlT_T0_E_clISt17integral_constantIbLb0EESU_EEDaSP_SQ_EUlSP_E_NS1_11comp_targetILNS1_3genE10ELNS1_11target_archE1201ELNS1_3gpuE5ELNS1_3repE0EEENS1_30default_config_static_selectorELNS0_4arch9wavefront6targetE1EEEvT1_,"axG",@progbits,_ZN7rocprim17ROCPRIM_400000_NS6detail17trampoline_kernelINS0_14default_configENS1_20scan_config_selectorIdEEZZNS1_9scan_implILNS1_25lookback_scan_determinismE0ELb1ELb1ES3_N6thrust23THRUST_200600_302600_NS6detail15normal_iteratorINS9_10device_ptrIdEEEESE_d11max_functorIdEdEEDaPvRmT3_T4_T5_mT6_P12ihipStream_tbENKUlT_T0_E_clISt17integral_constantIbLb0EESU_EEDaSP_SQ_EUlSP_E_NS1_11comp_targetILNS1_3genE10ELNS1_11target_archE1201ELNS1_3gpuE5ELNS1_3repE0EEENS1_30default_config_static_selectorELNS0_4arch9wavefront6targetE1EEEvT1_,comdat
	.protected	_ZN7rocprim17ROCPRIM_400000_NS6detail17trampoline_kernelINS0_14default_configENS1_20scan_config_selectorIdEEZZNS1_9scan_implILNS1_25lookback_scan_determinismE0ELb1ELb1ES3_N6thrust23THRUST_200600_302600_NS6detail15normal_iteratorINS9_10device_ptrIdEEEESE_d11max_functorIdEdEEDaPvRmT3_T4_T5_mT6_P12ihipStream_tbENKUlT_T0_E_clISt17integral_constantIbLb0EESU_EEDaSP_SQ_EUlSP_E_NS1_11comp_targetILNS1_3genE10ELNS1_11target_archE1201ELNS1_3gpuE5ELNS1_3repE0EEENS1_30default_config_static_selectorELNS0_4arch9wavefront6targetE1EEEvT1_ ; -- Begin function _ZN7rocprim17ROCPRIM_400000_NS6detail17trampoline_kernelINS0_14default_configENS1_20scan_config_selectorIdEEZZNS1_9scan_implILNS1_25lookback_scan_determinismE0ELb1ELb1ES3_N6thrust23THRUST_200600_302600_NS6detail15normal_iteratorINS9_10device_ptrIdEEEESE_d11max_functorIdEdEEDaPvRmT3_T4_T5_mT6_P12ihipStream_tbENKUlT_T0_E_clISt17integral_constantIbLb0EESU_EEDaSP_SQ_EUlSP_E_NS1_11comp_targetILNS1_3genE10ELNS1_11target_archE1201ELNS1_3gpuE5ELNS1_3repE0EEENS1_30default_config_static_selectorELNS0_4arch9wavefront6targetE1EEEvT1_
	.globl	_ZN7rocprim17ROCPRIM_400000_NS6detail17trampoline_kernelINS0_14default_configENS1_20scan_config_selectorIdEEZZNS1_9scan_implILNS1_25lookback_scan_determinismE0ELb1ELb1ES3_N6thrust23THRUST_200600_302600_NS6detail15normal_iteratorINS9_10device_ptrIdEEEESE_d11max_functorIdEdEEDaPvRmT3_T4_T5_mT6_P12ihipStream_tbENKUlT_T0_E_clISt17integral_constantIbLb0EESU_EEDaSP_SQ_EUlSP_E_NS1_11comp_targetILNS1_3genE10ELNS1_11target_archE1201ELNS1_3gpuE5ELNS1_3repE0EEENS1_30default_config_static_selectorELNS0_4arch9wavefront6targetE1EEEvT1_
	.p2align	8
	.type	_ZN7rocprim17ROCPRIM_400000_NS6detail17trampoline_kernelINS0_14default_configENS1_20scan_config_selectorIdEEZZNS1_9scan_implILNS1_25lookback_scan_determinismE0ELb1ELb1ES3_N6thrust23THRUST_200600_302600_NS6detail15normal_iteratorINS9_10device_ptrIdEEEESE_d11max_functorIdEdEEDaPvRmT3_T4_T5_mT6_P12ihipStream_tbENKUlT_T0_E_clISt17integral_constantIbLb0EESU_EEDaSP_SQ_EUlSP_E_NS1_11comp_targetILNS1_3genE10ELNS1_11target_archE1201ELNS1_3gpuE5ELNS1_3repE0EEENS1_30default_config_static_selectorELNS0_4arch9wavefront6targetE1EEEvT1_,@function
_ZN7rocprim17ROCPRIM_400000_NS6detail17trampoline_kernelINS0_14default_configENS1_20scan_config_selectorIdEEZZNS1_9scan_implILNS1_25lookback_scan_determinismE0ELb1ELb1ES3_N6thrust23THRUST_200600_302600_NS6detail15normal_iteratorINS9_10device_ptrIdEEEESE_d11max_functorIdEdEEDaPvRmT3_T4_T5_mT6_P12ihipStream_tbENKUlT_T0_E_clISt17integral_constantIbLb0EESU_EEDaSP_SQ_EUlSP_E_NS1_11comp_targetILNS1_3genE10ELNS1_11target_archE1201ELNS1_3gpuE5ELNS1_3repE0EEENS1_30default_config_static_selectorELNS0_4arch9wavefront6targetE1EEEvT1_: ; @_ZN7rocprim17ROCPRIM_400000_NS6detail17trampoline_kernelINS0_14default_configENS1_20scan_config_selectorIdEEZZNS1_9scan_implILNS1_25lookback_scan_determinismE0ELb1ELb1ES3_N6thrust23THRUST_200600_302600_NS6detail15normal_iteratorINS9_10device_ptrIdEEEESE_d11max_functorIdEdEEDaPvRmT3_T4_T5_mT6_P12ihipStream_tbENKUlT_T0_E_clISt17integral_constantIbLb0EESU_EEDaSP_SQ_EUlSP_E_NS1_11comp_targetILNS1_3genE10ELNS1_11target_archE1201ELNS1_3gpuE5ELNS1_3repE0EEENS1_30default_config_static_selectorELNS0_4arch9wavefront6targetE1EEEvT1_
; %bb.0:
	.section	.rodata,"a",@progbits
	.p2align	6, 0x0
	.amdhsa_kernel _ZN7rocprim17ROCPRIM_400000_NS6detail17trampoline_kernelINS0_14default_configENS1_20scan_config_selectorIdEEZZNS1_9scan_implILNS1_25lookback_scan_determinismE0ELb1ELb1ES3_N6thrust23THRUST_200600_302600_NS6detail15normal_iteratorINS9_10device_ptrIdEEEESE_d11max_functorIdEdEEDaPvRmT3_T4_T5_mT6_P12ihipStream_tbENKUlT_T0_E_clISt17integral_constantIbLb0EESU_EEDaSP_SQ_EUlSP_E_NS1_11comp_targetILNS1_3genE10ELNS1_11target_archE1201ELNS1_3gpuE5ELNS1_3repE0EEENS1_30default_config_static_selectorELNS0_4arch9wavefront6targetE1EEEvT1_
		.amdhsa_group_segment_fixed_size 0
		.amdhsa_private_segment_fixed_size 0
		.amdhsa_kernarg_size 104
		.amdhsa_user_sgpr_count 6
		.amdhsa_user_sgpr_private_segment_buffer 1
		.amdhsa_user_sgpr_dispatch_ptr 0
		.amdhsa_user_sgpr_queue_ptr 0
		.amdhsa_user_sgpr_kernarg_segment_ptr 1
		.amdhsa_user_sgpr_dispatch_id 0
		.amdhsa_user_sgpr_flat_scratch_init 0
		.amdhsa_user_sgpr_kernarg_preload_length 0
		.amdhsa_user_sgpr_kernarg_preload_offset 0
		.amdhsa_user_sgpr_private_segment_size 0
		.amdhsa_uses_dynamic_stack 0
		.amdhsa_system_sgpr_private_segment_wavefront_offset 0
		.amdhsa_system_sgpr_workgroup_id_x 1
		.amdhsa_system_sgpr_workgroup_id_y 0
		.amdhsa_system_sgpr_workgroup_id_z 0
		.amdhsa_system_sgpr_workgroup_info 0
		.amdhsa_system_vgpr_workitem_id 0
		.amdhsa_next_free_vgpr 1
		.amdhsa_next_free_sgpr 0
		.amdhsa_accum_offset 4
		.amdhsa_reserve_vcc 0
		.amdhsa_reserve_flat_scratch 0
		.amdhsa_float_round_mode_32 0
		.amdhsa_float_round_mode_16_64 0
		.amdhsa_float_denorm_mode_32 3
		.amdhsa_float_denorm_mode_16_64 3
		.amdhsa_dx10_clamp 1
		.amdhsa_ieee_mode 1
		.amdhsa_fp16_overflow 0
		.amdhsa_tg_split 0
		.amdhsa_exception_fp_ieee_invalid_op 0
		.amdhsa_exception_fp_denorm_src 0
		.amdhsa_exception_fp_ieee_div_zero 0
		.amdhsa_exception_fp_ieee_overflow 0
		.amdhsa_exception_fp_ieee_underflow 0
		.amdhsa_exception_fp_ieee_inexact 0
		.amdhsa_exception_int_div_zero 0
	.end_amdhsa_kernel
	.section	.text._ZN7rocprim17ROCPRIM_400000_NS6detail17trampoline_kernelINS0_14default_configENS1_20scan_config_selectorIdEEZZNS1_9scan_implILNS1_25lookback_scan_determinismE0ELb1ELb1ES3_N6thrust23THRUST_200600_302600_NS6detail15normal_iteratorINS9_10device_ptrIdEEEESE_d11max_functorIdEdEEDaPvRmT3_T4_T5_mT6_P12ihipStream_tbENKUlT_T0_E_clISt17integral_constantIbLb0EESU_EEDaSP_SQ_EUlSP_E_NS1_11comp_targetILNS1_3genE10ELNS1_11target_archE1201ELNS1_3gpuE5ELNS1_3repE0EEENS1_30default_config_static_selectorELNS0_4arch9wavefront6targetE1EEEvT1_,"axG",@progbits,_ZN7rocprim17ROCPRIM_400000_NS6detail17trampoline_kernelINS0_14default_configENS1_20scan_config_selectorIdEEZZNS1_9scan_implILNS1_25lookback_scan_determinismE0ELb1ELb1ES3_N6thrust23THRUST_200600_302600_NS6detail15normal_iteratorINS9_10device_ptrIdEEEESE_d11max_functorIdEdEEDaPvRmT3_T4_T5_mT6_P12ihipStream_tbENKUlT_T0_E_clISt17integral_constantIbLb0EESU_EEDaSP_SQ_EUlSP_E_NS1_11comp_targetILNS1_3genE10ELNS1_11target_archE1201ELNS1_3gpuE5ELNS1_3repE0EEENS1_30default_config_static_selectorELNS0_4arch9wavefront6targetE1EEEvT1_,comdat
.Lfunc_end1876:
	.size	_ZN7rocprim17ROCPRIM_400000_NS6detail17trampoline_kernelINS0_14default_configENS1_20scan_config_selectorIdEEZZNS1_9scan_implILNS1_25lookback_scan_determinismE0ELb1ELb1ES3_N6thrust23THRUST_200600_302600_NS6detail15normal_iteratorINS9_10device_ptrIdEEEESE_d11max_functorIdEdEEDaPvRmT3_T4_T5_mT6_P12ihipStream_tbENKUlT_T0_E_clISt17integral_constantIbLb0EESU_EEDaSP_SQ_EUlSP_E_NS1_11comp_targetILNS1_3genE10ELNS1_11target_archE1201ELNS1_3gpuE5ELNS1_3repE0EEENS1_30default_config_static_selectorELNS0_4arch9wavefront6targetE1EEEvT1_, .Lfunc_end1876-_ZN7rocprim17ROCPRIM_400000_NS6detail17trampoline_kernelINS0_14default_configENS1_20scan_config_selectorIdEEZZNS1_9scan_implILNS1_25lookback_scan_determinismE0ELb1ELb1ES3_N6thrust23THRUST_200600_302600_NS6detail15normal_iteratorINS9_10device_ptrIdEEEESE_d11max_functorIdEdEEDaPvRmT3_T4_T5_mT6_P12ihipStream_tbENKUlT_T0_E_clISt17integral_constantIbLb0EESU_EEDaSP_SQ_EUlSP_E_NS1_11comp_targetILNS1_3genE10ELNS1_11target_archE1201ELNS1_3gpuE5ELNS1_3repE0EEENS1_30default_config_static_selectorELNS0_4arch9wavefront6targetE1EEEvT1_
                                        ; -- End function
	.section	.AMDGPU.csdata,"",@progbits
; Kernel info:
; codeLenInByte = 0
; NumSgprs: 4
; NumVgprs: 0
; NumAgprs: 0
; TotalNumVgprs: 0
; ScratchSize: 0
; MemoryBound: 0
; FloatMode: 240
; IeeeMode: 1
; LDSByteSize: 0 bytes/workgroup (compile time only)
; SGPRBlocks: 0
; VGPRBlocks: 0
; NumSGPRsForWavesPerEU: 4
; NumVGPRsForWavesPerEU: 1
; AccumOffset: 4
; Occupancy: 8
; WaveLimiterHint : 0
; COMPUTE_PGM_RSRC2:SCRATCH_EN: 0
; COMPUTE_PGM_RSRC2:USER_SGPR: 6
; COMPUTE_PGM_RSRC2:TRAP_HANDLER: 0
; COMPUTE_PGM_RSRC2:TGID_X_EN: 1
; COMPUTE_PGM_RSRC2:TGID_Y_EN: 0
; COMPUTE_PGM_RSRC2:TGID_Z_EN: 0
; COMPUTE_PGM_RSRC2:TIDIG_COMP_CNT: 0
; COMPUTE_PGM_RSRC3_GFX90A:ACCUM_OFFSET: 0
; COMPUTE_PGM_RSRC3_GFX90A:TG_SPLIT: 0
	.section	.text._ZN7rocprim17ROCPRIM_400000_NS6detail17trampoline_kernelINS0_14default_configENS1_20scan_config_selectorIdEEZZNS1_9scan_implILNS1_25lookback_scan_determinismE0ELb1ELb1ES3_N6thrust23THRUST_200600_302600_NS6detail15normal_iteratorINS9_10device_ptrIdEEEESE_d11max_functorIdEdEEDaPvRmT3_T4_T5_mT6_P12ihipStream_tbENKUlT_T0_E_clISt17integral_constantIbLb0EESU_EEDaSP_SQ_EUlSP_E_NS1_11comp_targetILNS1_3genE10ELNS1_11target_archE1200ELNS1_3gpuE4ELNS1_3repE0EEENS1_30default_config_static_selectorELNS0_4arch9wavefront6targetE1EEEvT1_,"axG",@progbits,_ZN7rocprim17ROCPRIM_400000_NS6detail17trampoline_kernelINS0_14default_configENS1_20scan_config_selectorIdEEZZNS1_9scan_implILNS1_25lookback_scan_determinismE0ELb1ELb1ES3_N6thrust23THRUST_200600_302600_NS6detail15normal_iteratorINS9_10device_ptrIdEEEESE_d11max_functorIdEdEEDaPvRmT3_T4_T5_mT6_P12ihipStream_tbENKUlT_T0_E_clISt17integral_constantIbLb0EESU_EEDaSP_SQ_EUlSP_E_NS1_11comp_targetILNS1_3genE10ELNS1_11target_archE1200ELNS1_3gpuE4ELNS1_3repE0EEENS1_30default_config_static_selectorELNS0_4arch9wavefront6targetE1EEEvT1_,comdat
	.protected	_ZN7rocprim17ROCPRIM_400000_NS6detail17trampoline_kernelINS0_14default_configENS1_20scan_config_selectorIdEEZZNS1_9scan_implILNS1_25lookback_scan_determinismE0ELb1ELb1ES3_N6thrust23THRUST_200600_302600_NS6detail15normal_iteratorINS9_10device_ptrIdEEEESE_d11max_functorIdEdEEDaPvRmT3_T4_T5_mT6_P12ihipStream_tbENKUlT_T0_E_clISt17integral_constantIbLb0EESU_EEDaSP_SQ_EUlSP_E_NS1_11comp_targetILNS1_3genE10ELNS1_11target_archE1200ELNS1_3gpuE4ELNS1_3repE0EEENS1_30default_config_static_selectorELNS0_4arch9wavefront6targetE1EEEvT1_ ; -- Begin function _ZN7rocprim17ROCPRIM_400000_NS6detail17trampoline_kernelINS0_14default_configENS1_20scan_config_selectorIdEEZZNS1_9scan_implILNS1_25lookback_scan_determinismE0ELb1ELb1ES3_N6thrust23THRUST_200600_302600_NS6detail15normal_iteratorINS9_10device_ptrIdEEEESE_d11max_functorIdEdEEDaPvRmT3_T4_T5_mT6_P12ihipStream_tbENKUlT_T0_E_clISt17integral_constantIbLb0EESU_EEDaSP_SQ_EUlSP_E_NS1_11comp_targetILNS1_3genE10ELNS1_11target_archE1200ELNS1_3gpuE4ELNS1_3repE0EEENS1_30default_config_static_selectorELNS0_4arch9wavefront6targetE1EEEvT1_
	.globl	_ZN7rocprim17ROCPRIM_400000_NS6detail17trampoline_kernelINS0_14default_configENS1_20scan_config_selectorIdEEZZNS1_9scan_implILNS1_25lookback_scan_determinismE0ELb1ELb1ES3_N6thrust23THRUST_200600_302600_NS6detail15normal_iteratorINS9_10device_ptrIdEEEESE_d11max_functorIdEdEEDaPvRmT3_T4_T5_mT6_P12ihipStream_tbENKUlT_T0_E_clISt17integral_constantIbLb0EESU_EEDaSP_SQ_EUlSP_E_NS1_11comp_targetILNS1_3genE10ELNS1_11target_archE1200ELNS1_3gpuE4ELNS1_3repE0EEENS1_30default_config_static_selectorELNS0_4arch9wavefront6targetE1EEEvT1_
	.p2align	8
	.type	_ZN7rocprim17ROCPRIM_400000_NS6detail17trampoline_kernelINS0_14default_configENS1_20scan_config_selectorIdEEZZNS1_9scan_implILNS1_25lookback_scan_determinismE0ELb1ELb1ES3_N6thrust23THRUST_200600_302600_NS6detail15normal_iteratorINS9_10device_ptrIdEEEESE_d11max_functorIdEdEEDaPvRmT3_T4_T5_mT6_P12ihipStream_tbENKUlT_T0_E_clISt17integral_constantIbLb0EESU_EEDaSP_SQ_EUlSP_E_NS1_11comp_targetILNS1_3genE10ELNS1_11target_archE1200ELNS1_3gpuE4ELNS1_3repE0EEENS1_30default_config_static_selectorELNS0_4arch9wavefront6targetE1EEEvT1_,@function
_ZN7rocprim17ROCPRIM_400000_NS6detail17trampoline_kernelINS0_14default_configENS1_20scan_config_selectorIdEEZZNS1_9scan_implILNS1_25lookback_scan_determinismE0ELb1ELb1ES3_N6thrust23THRUST_200600_302600_NS6detail15normal_iteratorINS9_10device_ptrIdEEEESE_d11max_functorIdEdEEDaPvRmT3_T4_T5_mT6_P12ihipStream_tbENKUlT_T0_E_clISt17integral_constantIbLb0EESU_EEDaSP_SQ_EUlSP_E_NS1_11comp_targetILNS1_3genE10ELNS1_11target_archE1200ELNS1_3gpuE4ELNS1_3repE0EEENS1_30default_config_static_selectorELNS0_4arch9wavefront6targetE1EEEvT1_: ; @_ZN7rocprim17ROCPRIM_400000_NS6detail17trampoline_kernelINS0_14default_configENS1_20scan_config_selectorIdEEZZNS1_9scan_implILNS1_25lookback_scan_determinismE0ELb1ELb1ES3_N6thrust23THRUST_200600_302600_NS6detail15normal_iteratorINS9_10device_ptrIdEEEESE_d11max_functorIdEdEEDaPvRmT3_T4_T5_mT6_P12ihipStream_tbENKUlT_T0_E_clISt17integral_constantIbLb0EESU_EEDaSP_SQ_EUlSP_E_NS1_11comp_targetILNS1_3genE10ELNS1_11target_archE1200ELNS1_3gpuE4ELNS1_3repE0EEENS1_30default_config_static_selectorELNS0_4arch9wavefront6targetE1EEEvT1_
; %bb.0:
	.section	.rodata,"a",@progbits
	.p2align	6, 0x0
	.amdhsa_kernel _ZN7rocprim17ROCPRIM_400000_NS6detail17trampoline_kernelINS0_14default_configENS1_20scan_config_selectorIdEEZZNS1_9scan_implILNS1_25lookback_scan_determinismE0ELb1ELb1ES3_N6thrust23THRUST_200600_302600_NS6detail15normal_iteratorINS9_10device_ptrIdEEEESE_d11max_functorIdEdEEDaPvRmT3_T4_T5_mT6_P12ihipStream_tbENKUlT_T0_E_clISt17integral_constantIbLb0EESU_EEDaSP_SQ_EUlSP_E_NS1_11comp_targetILNS1_3genE10ELNS1_11target_archE1200ELNS1_3gpuE4ELNS1_3repE0EEENS1_30default_config_static_selectorELNS0_4arch9wavefront6targetE1EEEvT1_
		.amdhsa_group_segment_fixed_size 0
		.amdhsa_private_segment_fixed_size 0
		.amdhsa_kernarg_size 104
		.amdhsa_user_sgpr_count 6
		.amdhsa_user_sgpr_private_segment_buffer 1
		.amdhsa_user_sgpr_dispatch_ptr 0
		.amdhsa_user_sgpr_queue_ptr 0
		.amdhsa_user_sgpr_kernarg_segment_ptr 1
		.amdhsa_user_sgpr_dispatch_id 0
		.amdhsa_user_sgpr_flat_scratch_init 0
		.amdhsa_user_sgpr_kernarg_preload_length 0
		.amdhsa_user_sgpr_kernarg_preload_offset 0
		.amdhsa_user_sgpr_private_segment_size 0
		.amdhsa_uses_dynamic_stack 0
		.amdhsa_system_sgpr_private_segment_wavefront_offset 0
		.amdhsa_system_sgpr_workgroup_id_x 1
		.amdhsa_system_sgpr_workgroup_id_y 0
		.amdhsa_system_sgpr_workgroup_id_z 0
		.amdhsa_system_sgpr_workgroup_info 0
		.amdhsa_system_vgpr_workitem_id 0
		.amdhsa_next_free_vgpr 1
		.amdhsa_next_free_sgpr 0
		.amdhsa_accum_offset 4
		.amdhsa_reserve_vcc 0
		.amdhsa_reserve_flat_scratch 0
		.amdhsa_float_round_mode_32 0
		.amdhsa_float_round_mode_16_64 0
		.amdhsa_float_denorm_mode_32 3
		.amdhsa_float_denorm_mode_16_64 3
		.amdhsa_dx10_clamp 1
		.amdhsa_ieee_mode 1
		.amdhsa_fp16_overflow 0
		.amdhsa_tg_split 0
		.amdhsa_exception_fp_ieee_invalid_op 0
		.amdhsa_exception_fp_denorm_src 0
		.amdhsa_exception_fp_ieee_div_zero 0
		.amdhsa_exception_fp_ieee_overflow 0
		.amdhsa_exception_fp_ieee_underflow 0
		.amdhsa_exception_fp_ieee_inexact 0
		.amdhsa_exception_int_div_zero 0
	.end_amdhsa_kernel
	.section	.text._ZN7rocprim17ROCPRIM_400000_NS6detail17trampoline_kernelINS0_14default_configENS1_20scan_config_selectorIdEEZZNS1_9scan_implILNS1_25lookback_scan_determinismE0ELb1ELb1ES3_N6thrust23THRUST_200600_302600_NS6detail15normal_iteratorINS9_10device_ptrIdEEEESE_d11max_functorIdEdEEDaPvRmT3_T4_T5_mT6_P12ihipStream_tbENKUlT_T0_E_clISt17integral_constantIbLb0EESU_EEDaSP_SQ_EUlSP_E_NS1_11comp_targetILNS1_3genE10ELNS1_11target_archE1200ELNS1_3gpuE4ELNS1_3repE0EEENS1_30default_config_static_selectorELNS0_4arch9wavefront6targetE1EEEvT1_,"axG",@progbits,_ZN7rocprim17ROCPRIM_400000_NS6detail17trampoline_kernelINS0_14default_configENS1_20scan_config_selectorIdEEZZNS1_9scan_implILNS1_25lookback_scan_determinismE0ELb1ELb1ES3_N6thrust23THRUST_200600_302600_NS6detail15normal_iteratorINS9_10device_ptrIdEEEESE_d11max_functorIdEdEEDaPvRmT3_T4_T5_mT6_P12ihipStream_tbENKUlT_T0_E_clISt17integral_constantIbLb0EESU_EEDaSP_SQ_EUlSP_E_NS1_11comp_targetILNS1_3genE10ELNS1_11target_archE1200ELNS1_3gpuE4ELNS1_3repE0EEENS1_30default_config_static_selectorELNS0_4arch9wavefront6targetE1EEEvT1_,comdat
.Lfunc_end1877:
	.size	_ZN7rocprim17ROCPRIM_400000_NS6detail17trampoline_kernelINS0_14default_configENS1_20scan_config_selectorIdEEZZNS1_9scan_implILNS1_25lookback_scan_determinismE0ELb1ELb1ES3_N6thrust23THRUST_200600_302600_NS6detail15normal_iteratorINS9_10device_ptrIdEEEESE_d11max_functorIdEdEEDaPvRmT3_T4_T5_mT6_P12ihipStream_tbENKUlT_T0_E_clISt17integral_constantIbLb0EESU_EEDaSP_SQ_EUlSP_E_NS1_11comp_targetILNS1_3genE10ELNS1_11target_archE1200ELNS1_3gpuE4ELNS1_3repE0EEENS1_30default_config_static_selectorELNS0_4arch9wavefront6targetE1EEEvT1_, .Lfunc_end1877-_ZN7rocprim17ROCPRIM_400000_NS6detail17trampoline_kernelINS0_14default_configENS1_20scan_config_selectorIdEEZZNS1_9scan_implILNS1_25lookback_scan_determinismE0ELb1ELb1ES3_N6thrust23THRUST_200600_302600_NS6detail15normal_iteratorINS9_10device_ptrIdEEEESE_d11max_functorIdEdEEDaPvRmT3_T4_T5_mT6_P12ihipStream_tbENKUlT_T0_E_clISt17integral_constantIbLb0EESU_EEDaSP_SQ_EUlSP_E_NS1_11comp_targetILNS1_3genE10ELNS1_11target_archE1200ELNS1_3gpuE4ELNS1_3repE0EEENS1_30default_config_static_selectorELNS0_4arch9wavefront6targetE1EEEvT1_
                                        ; -- End function
	.section	.AMDGPU.csdata,"",@progbits
; Kernel info:
; codeLenInByte = 0
; NumSgprs: 4
; NumVgprs: 0
; NumAgprs: 0
; TotalNumVgprs: 0
; ScratchSize: 0
; MemoryBound: 0
; FloatMode: 240
; IeeeMode: 1
; LDSByteSize: 0 bytes/workgroup (compile time only)
; SGPRBlocks: 0
; VGPRBlocks: 0
; NumSGPRsForWavesPerEU: 4
; NumVGPRsForWavesPerEU: 1
; AccumOffset: 4
; Occupancy: 8
; WaveLimiterHint : 0
; COMPUTE_PGM_RSRC2:SCRATCH_EN: 0
; COMPUTE_PGM_RSRC2:USER_SGPR: 6
; COMPUTE_PGM_RSRC2:TRAP_HANDLER: 0
; COMPUTE_PGM_RSRC2:TGID_X_EN: 1
; COMPUTE_PGM_RSRC2:TGID_Y_EN: 0
; COMPUTE_PGM_RSRC2:TGID_Z_EN: 0
; COMPUTE_PGM_RSRC2:TIDIG_COMP_CNT: 0
; COMPUTE_PGM_RSRC3_GFX90A:ACCUM_OFFSET: 0
; COMPUTE_PGM_RSRC3_GFX90A:TG_SPLIT: 0
	.section	.text._ZN7rocprim17ROCPRIM_400000_NS6detail17trampoline_kernelINS0_14default_configENS1_20scan_config_selectorIdEEZZNS1_9scan_implILNS1_25lookback_scan_determinismE0ELb1ELb1ES3_N6thrust23THRUST_200600_302600_NS6detail15normal_iteratorINS9_10device_ptrIdEEEESE_d11max_functorIdEdEEDaPvRmT3_T4_T5_mT6_P12ihipStream_tbENKUlT_T0_E_clISt17integral_constantIbLb0EESU_EEDaSP_SQ_EUlSP_E_NS1_11comp_targetILNS1_3genE9ELNS1_11target_archE1100ELNS1_3gpuE3ELNS1_3repE0EEENS1_30default_config_static_selectorELNS0_4arch9wavefront6targetE1EEEvT1_,"axG",@progbits,_ZN7rocprim17ROCPRIM_400000_NS6detail17trampoline_kernelINS0_14default_configENS1_20scan_config_selectorIdEEZZNS1_9scan_implILNS1_25lookback_scan_determinismE0ELb1ELb1ES3_N6thrust23THRUST_200600_302600_NS6detail15normal_iteratorINS9_10device_ptrIdEEEESE_d11max_functorIdEdEEDaPvRmT3_T4_T5_mT6_P12ihipStream_tbENKUlT_T0_E_clISt17integral_constantIbLb0EESU_EEDaSP_SQ_EUlSP_E_NS1_11comp_targetILNS1_3genE9ELNS1_11target_archE1100ELNS1_3gpuE3ELNS1_3repE0EEENS1_30default_config_static_selectorELNS0_4arch9wavefront6targetE1EEEvT1_,comdat
	.protected	_ZN7rocprim17ROCPRIM_400000_NS6detail17trampoline_kernelINS0_14default_configENS1_20scan_config_selectorIdEEZZNS1_9scan_implILNS1_25lookback_scan_determinismE0ELb1ELb1ES3_N6thrust23THRUST_200600_302600_NS6detail15normal_iteratorINS9_10device_ptrIdEEEESE_d11max_functorIdEdEEDaPvRmT3_T4_T5_mT6_P12ihipStream_tbENKUlT_T0_E_clISt17integral_constantIbLb0EESU_EEDaSP_SQ_EUlSP_E_NS1_11comp_targetILNS1_3genE9ELNS1_11target_archE1100ELNS1_3gpuE3ELNS1_3repE0EEENS1_30default_config_static_selectorELNS0_4arch9wavefront6targetE1EEEvT1_ ; -- Begin function _ZN7rocprim17ROCPRIM_400000_NS6detail17trampoline_kernelINS0_14default_configENS1_20scan_config_selectorIdEEZZNS1_9scan_implILNS1_25lookback_scan_determinismE0ELb1ELb1ES3_N6thrust23THRUST_200600_302600_NS6detail15normal_iteratorINS9_10device_ptrIdEEEESE_d11max_functorIdEdEEDaPvRmT3_T4_T5_mT6_P12ihipStream_tbENKUlT_T0_E_clISt17integral_constantIbLb0EESU_EEDaSP_SQ_EUlSP_E_NS1_11comp_targetILNS1_3genE9ELNS1_11target_archE1100ELNS1_3gpuE3ELNS1_3repE0EEENS1_30default_config_static_selectorELNS0_4arch9wavefront6targetE1EEEvT1_
	.globl	_ZN7rocprim17ROCPRIM_400000_NS6detail17trampoline_kernelINS0_14default_configENS1_20scan_config_selectorIdEEZZNS1_9scan_implILNS1_25lookback_scan_determinismE0ELb1ELb1ES3_N6thrust23THRUST_200600_302600_NS6detail15normal_iteratorINS9_10device_ptrIdEEEESE_d11max_functorIdEdEEDaPvRmT3_T4_T5_mT6_P12ihipStream_tbENKUlT_T0_E_clISt17integral_constantIbLb0EESU_EEDaSP_SQ_EUlSP_E_NS1_11comp_targetILNS1_3genE9ELNS1_11target_archE1100ELNS1_3gpuE3ELNS1_3repE0EEENS1_30default_config_static_selectorELNS0_4arch9wavefront6targetE1EEEvT1_
	.p2align	8
	.type	_ZN7rocprim17ROCPRIM_400000_NS6detail17trampoline_kernelINS0_14default_configENS1_20scan_config_selectorIdEEZZNS1_9scan_implILNS1_25lookback_scan_determinismE0ELb1ELb1ES3_N6thrust23THRUST_200600_302600_NS6detail15normal_iteratorINS9_10device_ptrIdEEEESE_d11max_functorIdEdEEDaPvRmT3_T4_T5_mT6_P12ihipStream_tbENKUlT_T0_E_clISt17integral_constantIbLb0EESU_EEDaSP_SQ_EUlSP_E_NS1_11comp_targetILNS1_3genE9ELNS1_11target_archE1100ELNS1_3gpuE3ELNS1_3repE0EEENS1_30default_config_static_selectorELNS0_4arch9wavefront6targetE1EEEvT1_,@function
_ZN7rocprim17ROCPRIM_400000_NS6detail17trampoline_kernelINS0_14default_configENS1_20scan_config_selectorIdEEZZNS1_9scan_implILNS1_25lookback_scan_determinismE0ELb1ELb1ES3_N6thrust23THRUST_200600_302600_NS6detail15normal_iteratorINS9_10device_ptrIdEEEESE_d11max_functorIdEdEEDaPvRmT3_T4_T5_mT6_P12ihipStream_tbENKUlT_T0_E_clISt17integral_constantIbLb0EESU_EEDaSP_SQ_EUlSP_E_NS1_11comp_targetILNS1_3genE9ELNS1_11target_archE1100ELNS1_3gpuE3ELNS1_3repE0EEENS1_30default_config_static_selectorELNS0_4arch9wavefront6targetE1EEEvT1_: ; @_ZN7rocprim17ROCPRIM_400000_NS6detail17trampoline_kernelINS0_14default_configENS1_20scan_config_selectorIdEEZZNS1_9scan_implILNS1_25lookback_scan_determinismE0ELb1ELb1ES3_N6thrust23THRUST_200600_302600_NS6detail15normal_iteratorINS9_10device_ptrIdEEEESE_d11max_functorIdEdEEDaPvRmT3_T4_T5_mT6_P12ihipStream_tbENKUlT_T0_E_clISt17integral_constantIbLb0EESU_EEDaSP_SQ_EUlSP_E_NS1_11comp_targetILNS1_3genE9ELNS1_11target_archE1100ELNS1_3gpuE3ELNS1_3repE0EEENS1_30default_config_static_selectorELNS0_4arch9wavefront6targetE1EEEvT1_
; %bb.0:
	.section	.rodata,"a",@progbits
	.p2align	6, 0x0
	.amdhsa_kernel _ZN7rocprim17ROCPRIM_400000_NS6detail17trampoline_kernelINS0_14default_configENS1_20scan_config_selectorIdEEZZNS1_9scan_implILNS1_25lookback_scan_determinismE0ELb1ELb1ES3_N6thrust23THRUST_200600_302600_NS6detail15normal_iteratorINS9_10device_ptrIdEEEESE_d11max_functorIdEdEEDaPvRmT3_T4_T5_mT6_P12ihipStream_tbENKUlT_T0_E_clISt17integral_constantIbLb0EESU_EEDaSP_SQ_EUlSP_E_NS1_11comp_targetILNS1_3genE9ELNS1_11target_archE1100ELNS1_3gpuE3ELNS1_3repE0EEENS1_30default_config_static_selectorELNS0_4arch9wavefront6targetE1EEEvT1_
		.amdhsa_group_segment_fixed_size 0
		.amdhsa_private_segment_fixed_size 0
		.amdhsa_kernarg_size 104
		.amdhsa_user_sgpr_count 6
		.amdhsa_user_sgpr_private_segment_buffer 1
		.amdhsa_user_sgpr_dispatch_ptr 0
		.amdhsa_user_sgpr_queue_ptr 0
		.amdhsa_user_sgpr_kernarg_segment_ptr 1
		.amdhsa_user_sgpr_dispatch_id 0
		.amdhsa_user_sgpr_flat_scratch_init 0
		.amdhsa_user_sgpr_kernarg_preload_length 0
		.amdhsa_user_sgpr_kernarg_preload_offset 0
		.amdhsa_user_sgpr_private_segment_size 0
		.amdhsa_uses_dynamic_stack 0
		.amdhsa_system_sgpr_private_segment_wavefront_offset 0
		.amdhsa_system_sgpr_workgroup_id_x 1
		.amdhsa_system_sgpr_workgroup_id_y 0
		.amdhsa_system_sgpr_workgroup_id_z 0
		.amdhsa_system_sgpr_workgroup_info 0
		.amdhsa_system_vgpr_workitem_id 0
		.amdhsa_next_free_vgpr 1
		.amdhsa_next_free_sgpr 0
		.amdhsa_accum_offset 4
		.amdhsa_reserve_vcc 0
		.amdhsa_reserve_flat_scratch 0
		.amdhsa_float_round_mode_32 0
		.amdhsa_float_round_mode_16_64 0
		.amdhsa_float_denorm_mode_32 3
		.amdhsa_float_denorm_mode_16_64 3
		.amdhsa_dx10_clamp 1
		.amdhsa_ieee_mode 1
		.amdhsa_fp16_overflow 0
		.amdhsa_tg_split 0
		.amdhsa_exception_fp_ieee_invalid_op 0
		.amdhsa_exception_fp_denorm_src 0
		.amdhsa_exception_fp_ieee_div_zero 0
		.amdhsa_exception_fp_ieee_overflow 0
		.amdhsa_exception_fp_ieee_underflow 0
		.amdhsa_exception_fp_ieee_inexact 0
		.amdhsa_exception_int_div_zero 0
	.end_amdhsa_kernel
	.section	.text._ZN7rocprim17ROCPRIM_400000_NS6detail17trampoline_kernelINS0_14default_configENS1_20scan_config_selectorIdEEZZNS1_9scan_implILNS1_25lookback_scan_determinismE0ELb1ELb1ES3_N6thrust23THRUST_200600_302600_NS6detail15normal_iteratorINS9_10device_ptrIdEEEESE_d11max_functorIdEdEEDaPvRmT3_T4_T5_mT6_P12ihipStream_tbENKUlT_T0_E_clISt17integral_constantIbLb0EESU_EEDaSP_SQ_EUlSP_E_NS1_11comp_targetILNS1_3genE9ELNS1_11target_archE1100ELNS1_3gpuE3ELNS1_3repE0EEENS1_30default_config_static_selectorELNS0_4arch9wavefront6targetE1EEEvT1_,"axG",@progbits,_ZN7rocprim17ROCPRIM_400000_NS6detail17trampoline_kernelINS0_14default_configENS1_20scan_config_selectorIdEEZZNS1_9scan_implILNS1_25lookback_scan_determinismE0ELb1ELb1ES3_N6thrust23THRUST_200600_302600_NS6detail15normal_iteratorINS9_10device_ptrIdEEEESE_d11max_functorIdEdEEDaPvRmT3_T4_T5_mT6_P12ihipStream_tbENKUlT_T0_E_clISt17integral_constantIbLb0EESU_EEDaSP_SQ_EUlSP_E_NS1_11comp_targetILNS1_3genE9ELNS1_11target_archE1100ELNS1_3gpuE3ELNS1_3repE0EEENS1_30default_config_static_selectorELNS0_4arch9wavefront6targetE1EEEvT1_,comdat
.Lfunc_end1878:
	.size	_ZN7rocprim17ROCPRIM_400000_NS6detail17trampoline_kernelINS0_14default_configENS1_20scan_config_selectorIdEEZZNS1_9scan_implILNS1_25lookback_scan_determinismE0ELb1ELb1ES3_N6thrust23THRUST_200600_302600_NS6detail15normal_iteratorINS9_10device_ptrIdEEEESE_d11max_functorIdEdEEDaPvRmT3_T4_T5_mT6_P12ihipStream_tbENKUlT_T0_E_clISt17integral_constantIbLb0EESU_EEDaSP_SQ_EUlSP_E_NS1_11comp_targetILNS1_3genE9ELNS1_11target_archE1100ELNS1_3gpuE3ELNS1_3repE0EEENS1_30default_config_static_selectorELNS0_4arch9wavefront6targetE1EEEvT1_, .Lfunc_end1878-_ZN7rocprim17ROCPRIM_400000_NS6detail17trampoline_kernelINS0_14default_configENS1_20scan_config_selectorIdEEZZNS1_9scan_implILNS1_25lookback_scan_determinismE0ELb1ELb1ES3_N6thrust23THRUST_200600_302600_NS6detail15normal_iteratorINS9_10device_ptrIdEEEESE_d11max_functorIdEdEEDaPvRmT3_T4_T5_mT6_P12ihipStream_tbENKUlT_T0_E_clISt17integral_constantIbLb0EESU_EEDaSP_SQ_EUlSP_E_NS1_11comp_targetILNS1_3genE9ELNS1_11target_archE1100ELNS1_3gpuE3ELNS1_3repE0EEENS1_30default_config_static_selectorELNS0_4arch9wavefront6targetE1EEEvT1_
                                        ; -- End function
	.section	.AMDGPU.csdata,"",@progbits
; Kernel info:
; codeLenInByte = 0
; NumSgprs: 4
; NumVgprs: 0
; NumAgprs: 0
; TotalNumVgprs: 0
; ScratchSize: 0
; MemoryBound: 0
; FloatMode: 240
; IeeeMode: 1
; LDSByteSize: 0 bytes/workgroup (compile time only)
; SGPRBlocks: 0
; VGPRBlocks: 0
; NumSGPRsForWavesPerEU: 4
; NumVGPRsForWavesPerEU: 1
; AccumOffset: 4
; Occupancy: 8
; WaveLimiterHint : 0
; COMPUTE_PGM_RSRC2:SCRATCH_EN: 0
; COMPUTE_PGM_RSRC2:USER_SGPR: 6
; COMPUTE_PGM_RSRC2:TRAP_HANDLER: 0
; COMPUTE_PGM_RSRC2:TGID_X_EN: 1
; COMPUTE_PGM_RSRC2:TGID_Y_EN: 0
; COMPUTE_PGM_RSRC2:TGID_Z_EN: 0
; COMPUTE_PGM_RSRC2:TIDIG_COMP_CNT: 0
; COMPUTE_PGM_RSRC3_GFX90A:ACCUM_OFFSET: 0
; COMPUTE_PGM_RSRC3_GFX90A:TG_SPLIT: 0
	.section	.text._ZN7rocprim17ROCPRIM_400000_NS6detail17trampoline_kernelINS0_14default_configENS1_20scan_config_selectorIdEEZZNS1_9scan_implILNS1_25lookback_scan_determinismE0ELb1ELb1ES3_N6thrust23THRUST_200600_302600_NS6detail15normal_iteratorINS9_10device_ptrIdEEEESE_d11max_functorIdEdEEDaPvRmT3_T4_T5_mT6_P12ihipStream_tbENKUlT_T0_E_clISt17integral_constantIbLb0EESU_EEDaSP_SQ_EUlSP_E_NS1_11comp_targetILNS1_3genE8ELNS1_11target_archE1030ELNS1_3gpuE2ELNS1_3repE0EEENS1_30default_config_static_selectorELNS0_4arch9wavefront6targetE1EEEvT1_,"axG",@progbits,_ZN7rocprim17ROCPRIM_400000_NS6detail17trampoline_kernelINS0_14default_configENS1_20scan_config_selectorIdEEZZNS1_9scan_implILNS1_25lookback_scan_determinismE0ELb1ELb1ES3_N6thrust23THRUST_200600_302600_NS6detail15normal_iteratorINS9_10device_ptrIdEEEESE_d11max_functorIdEdEEDaPvRmT3_T4_T5_mT6_P12ihipStream_tbENKUlT_T0_E_clISt17integral_constantIbLb0EESU_EEDaSP_SQ_EUlSP_E_NS1_11comp_targetILNS1_3genE8ELNS1_11target_archE1030ELNS1_3gpuE2ELNS1_3repE0EEENS1_30default_config_static_selectorELNS0_4arch9wavefront6targetE1EEEvT1_,comdat
	.protected	_ZN7rocprim17ROCPRIM_400000_NS6detail17trampoline_kernelINS0_14default_configENS1_20scan_config_selectorIdEEZZNS1_9scan_implILNS1_25lookback_scan_determinismE0ELb1ELb1ES3_N6thrust23THRUST_200600_302600_NS6detail15normal_iteratorINS9_10device_ptrIdEEEESE_d11max_functorIdEdEEDaPvRmT3_T4_T5_mT6_P12ihipStream_tbENKUlT_T0_E_clISt17integral_constantIbLb0EESU_EEDaSP_SQ_EUlSP_E_NS1_11comp_targetILNS1_3genE8ELNS1_11target_archE1030ELNS1_3gpuE2ELNS1_3repE0EEENS1_30default_config_static_selectorELNS0_4arch9wavefront6targetE1EEEvT1_ ; -- Begin function _ZN7rocprim17ROCPRIM_400000_NS6detail17trampoline_kernelINS0_14default_configENS1_20scan_config_selectorIdEEZZNS1_9scan_implILNS1_25lookback_scan_determinismE0ELb1ELb1ES3_N6thrust23THRUST_200600_302600_NS6detail15normal_iteratorINS9_10device_ptrIdEEEESE_d11max_functorIdEdEEDaPvRmT3_T4_T5_mT6_P12ihipStream_tbENKUlT_T0_E_clISt17integral_constantIbLb0EESU_EEDaSP_SQ_EUlSP_E_NS1_11comp_targetILNS1_3genE8ELNS1_11target_archE1030ELNS1_3gpuE2ELNS1_3repE0EEENS1_30default_config_static_selectorELNS0_4arch9wavefront6targetE1EEEvT1_
	.globl	_ZN7rocprim17ROCPRIM_400000_NS6detail17trampoline_kernelINS0_14default_configENS1_20scan_config_selectorIdEEZZNS1_9scan_implILNS1_25lookback_scan_determinismE0ELb1ELb1ES3_N6thrust23THRUST_200600_302600_NS6detail15normal_iteratorINS9_10device_ptrIdEEEESE_d11max_functorIdEdEEDaPvRmT3_T4_T5_mT6_P12ihipStream_tbENKUlT_T0_E_clISt17integral_constantIbLb0EESU_EEDaSP_SQ_EUlSP_E_NS1_11comp_targetILNS1_3genE8ELNS1_11target_archE1030ELNS1_3gpuE2ELNS1_3repE0EEENS1_30default_config_static_selectorELNS0_4arch9wavefront6targetE1EEEvT1_
	.p2align	8
	.type	_ZN7rocprim17ROCPRIM_400000_NS6detail17trampoline_kernelINS0_14default_configENS1_20scan_config_selectorIdEEZZNS1_9scan_implILNS1_25lookback_scan_determinismE0ELb1ELb1ES3_N6thrust23THRUST_200600_302600_NS6detail15normal_iteratorINS9_10device_ptrIdEEEESE_d11max_functorIdEdEEDaPvRmT3_T4_T5_mT6_P12ihipStream_tbENKUlT_T0_E_clISt17integral_constantIbLb0EESU_EEDaSP_SQ_EUlSP_E_NS1_11comp_targetILNS1_3genE8ELNS1_11target_archE1030ELNS1_3gpuE2ELNS1_3repE0EEENS1_30default_config_static_selectorELNS0_4arch9wavefront6targetE1EEEvT1_,@function
_ZN7rocprim17ROCPRIM_400000_NS6detail17trampoline_kernelINS0_14default_configENS1_20scan_config_selectorIdEEZZNS1_9scan_implILNS1_25lookback_scan_determinismE0ELb1ELb1ES3_N6thrust23THRUST_200600_302600_NS6detail15normal_iteratorINS9_10device_ptrIdEEEESE_d11max_functorIdEdEEDaPvRmT3_T4_T5_mT6_P12ihipStream_tbENKUlT_T0_E_clISt17integral_constantIbLb0EESU_EEDaSP_SQ_EUlSP_E_NS1_11comp_targetILNS1_3genE8ELNS1_11target_archE1030ELNS1_3gpuE2ELNS1_3repE0EEENS1_30default_config_static_selectorELNS0_4arch9wavefront6targetE1EEEvT1_: ; @_ZN7rocprim17ROCPRIM_400000_NS6detail17trampoline_kernelINS0_14default_configENS1_20scan_config_selectorIdEEZZNS1_9scan_implILNS1_25lookback_scan_determinismE0ELb1ELb1ES3_N6thrust23THRUST_200600_302600_NS6detail15normal_iteratorINS9_10device_ptrIdEEEESE_d11max_functorIdEdEEDaPvRmT3_T4_T5_mT6_P12ihipStream_tbENKUlT_T0_E_clISt17integral_constantIbLb0EESU_EEDaSP_SQ_EUlSP_E_NS1_11comp_targetILNS1_3genE8ELNS1_11target_archE1030ELNS1_3gpuE2ELNS1_3repE0EEENS1_30default_config_static_selectorELNS0_4arch9wavefront6targetE1EEEvT1_
; %bb.0:
	.section	.rodata,"a",@progbits
	.p2align	6, 0x0
	.amdhsa_kernel _ZN7rocprim17ROCPRIM_400000_NS6detail17trampoline_kernelINS0_14default_configENS1_20scan_config_selectorIdEEZZNS1_9scan_implILNS1_25lookback_scan_determinismE0ELb1ELb1ES3_N6thrust23THRUST_200600_302600_NS6detail15normal_iteratorINS9_10device_ptrIdEEEESE_d11max_functorIdEdEEDaPvRmT3_T4_T5_mT6_P12ihipStream_tbENKUlT_T0_E_clISt17integral_constantIbLb0EESU_EEDaSP_SQ_EUlSP_E_NS1_11comp_targetILNS1_3genE8ELNS1_11target_archE1030ELNS1_3gpuE2ELNS1_3repE0EEENS1_30default_config_static_selectorELNS0_4arch9wavefront6targetE1EEEvT1_
		.amdhsa_group_segment_fixed_size 0
		.amdhsa_private_segment_fixed_size 0
		.amdhsa_kernarg_size 104
		.amdhsa_user_sgpr_count 6
		.amdhsa_user_sgpr_private_segment_buffer 1
		.amdhsa_user_sgpr_dispatch_ptr 0
		.amdhsa_user_sgpr_queue_ptr 0
		.amdhsa_user_sgpr_kernarg_segment_ptr 1
		.amdhsa_user_sgpr_dispatch_id 0
		.amdhsa_user_sgpr_flat_scratch_init 0
		.amdhsa_user_sgpr_kernarg_preload_length 0
		.amdhsa_user_sgpr_kernarg_preload_offset 0
		.amdhsa_user_sgpr_private_segment_size 0
		.amdhsa_uses_dynamic_stack 0
		.amdhsa_system_sgpr_private_segment_wavefront_offset 0
		.amdhsa_system_sgpr_workgroup_id_x 1
		.amdhsa_system_sgpr_workgroup_id_y 0
		.amdhsa_system_sgpr_workgroup_id_z 0
		.amdhsa_system_sgpr_workgroup_info 0
		.amdhsa_system_vgpr_workitem_id 0
		.amdhsa_next_free_vgpr 1
		.amdhsa_next_free_sgpr 0
		.amdhsa_accum_offset 4
		.amdhsa_reserve_vcc 0
		.amdhsa_reserve_flat_scratch 0
		.amdhsa_float_round_mode_32 0
		.amdhsa_float_round_mode_16_64 0
		.amdhsa_float_denorm_mode_32 3
		.amdhsa_float_denorm_mode_16_64 3
		.amdhsa_dx10_clamp 1
		.amdhsa_ieee_mode 1
		.amdhsa_fp16_overflow 0
		.amdhsa_tg_split 0
		.amdhsa_exception_fp_ieee_invalid_op 0
		.amdhsa_exception_fp_denorm_src 0
		.amdhsa_exception_fp_ieee_div_zero 0
		.amdhsa_exception_fp_ieee_overflow 0
		.amdhsa_exception_fp_ieee_underflow 0
		.amdhsa_exception_fp_ieee_inexact 0
		.amdhsa_exception_int_div_zero 0
	.end_amdhsa_kernel
	.section	.text._ZN7rocprim17ROCPRIM_400000_NS6detail17trampoline_kernelINS0_14default_configENS1_20scan_config_selectorIdEEZZNS1_9scan_implILNS1_25lookback_scan_determinismE0ELb1ELb1ES3_N6thrust23THRUST_200600_302600_NS6detail15normal_iteratorINS9_10device_ptrIdEEEESE_d11max_functorIdEdEEDaPvRmT3_T4_T5_mT6_P12ihipStream_tbENKUlT_T0_E_clISt17integral_constantIbLb0EESU_EEDaSP_SQ_EUlSP_E_NS1_11comp_targetILNS1_3genE8ELNS1_11target_archE1030ELNS1_3gpuE2ELNS1_3repE0EEENS1_30default_config_static_selectorELNS0_4arch9wavefront6targetE1EEEvT1_,"axG",@progbits,_ZN7rocprim17ROCPRIM_400000_NS6detail17trampoline_kernelINS0_14default_configENS1_20scan_config_selectorIdEEZZNS1_9scan_implILNS1_25lookback_scan_determinismE0ELb1ELb1ES3_N6thrust23THRUST_200600_302600_NS6detail15normal_iteratorINS9_10device_ptrIdEEEESE_d11max_functorIdEdEEDaPvRmT3_T4_T5_mT6_P12ihipStream_tbENKUlT_T0_E_clISt17integral_constantIbLb0EESU_EEDaSP_SQ_EUlSP_E_NS1_11comp_targetILNS1_3genE8ELNS1_11target_archE1030ELNS1_3gpuE2ELNS1_3repE0EEENS1_30default_config_static_selectorELNS0_4arch9wavefront6targetE1EEEvT1_,comdat
.Lfunc_end1879:
	.size	_ZN7rocprim17ROCPRIM_400000_NS6detail17trampoline_kernelINS0_14default_configENS1_20scan_config_selectorIdEEZZNS1_9scan_implILNS1_25lookback_scan_determinismE0ELb1ELb1ES3_N6thrust23THRUST_200600_302600_NS6detail15normal_iteratorINS9_10device_ptrIdEEEESE_d11max_functorIdEdEEDaPvRmT3_T4_T5_mT6_P12ihipStream_tbENKUlT_T0_E_clISt17integral_constantIbLb0EESU_EEDaSP_SQ_EUlSP_E_NS1_11comp_targetILNS1_3genE8ELNS1_11target_archE1030ELNS1_3gpuE2ELNS1_3repE0EEENS1_30default_config_static_selectorELNS0_4arch9wavefront6targetE1EEEvT1_, .Lfunc_end1879-_ZN7rocprim17ROCPRIM_400000_NS6detail17trampoline_kernelINS0_14default_configENS1_20scan_config_selectorIdEEZZNS1_9scan_implILNS1_25lookback_scan_determinismE0ELb1ELb1ES3_N6thrust23THRUST_200600_302600_NS6detail15normal_iteratorINS9_10device_ptrIdEEEESE_d11max_functorIdEdEEDaPvRmT3_T4_T5_mT6_P12ihipStream_tbENKUlT_T0_E_clISt17integral_constantIbLb0EESU_EEDaSP_SQ_EUlSP_E_NS1_11comp_targetILNS1_3genE8ELNS1_11target_archE1030ELNS1_3gpuE2ELNS1_3repE0EEENS1_30default_config_static_selectorELNS0_4arch9wavefront6targetE1EEEvT1_
                                        ; -- End function
	.section	.AMDGPU.csdata,"",@progbits
; Kernel info:
; codeLenInByte = 0
; NumSgprs: 4
; NumVgprs: 0
; NumAgprs: 0
; TotalNumVgprs: 0
; ScratchSize: 0
; MemoryBound: 0
; FloatMode: 240
; IeeeMode: 1
; LDSByteSize: 0 bytes/workgroup (compile time only)
; SGPRBlocks: 0
; VGPRBlocks: 0
; NumSGPRsForWavesPerEU: 4
; NumVGPRsForWavesPerEU: 1
; AccumOffset: 4
; Occupancy: 8
; WaveLimiterHint : 0
; COMPUTE_PGM_RSRC2:SCRATCH_EN: 0
; COMPUTE_PGM_RSRC2:USER_SGPR: 6
; COMPUTE_PGM_RSRC2:TRAP_HANDLER: 0
; COMPUTE_PGM_RSRC2:TGID_X_EN: 1
; COMPUTE_PGM_RSRC2:TGID_Y_EN: 0
; COMPUTE_PGM_RSRC2:TGID_Z_EN: 0
; COMPUTE_PGM_RSRC2:TIDIG_COMP_CNT: 0
; COMPUTE_PGM_RSRC3_GFX90A:ACCUM_OFFSET: 0
; COMPUTE_PGM_RSRC3_GFX90A:TG_SPLIT: 0
	.section	.text._ZN7rocprim17ROCPRIM_400000_NS6detail17trampoline_kernelINS0_14default_configENS1_20scan_config_selectorIdEEZZNS1_9scan_implILNS1_25lookback_scan_determinismE0ELb1ELb1ES3_N6thrust23THRUST_200600_302600_NS6detail15normal_iteratorINS9_10device_ptrIdEEEESE_d11max_functorIdEdEEDaPvRmT3_T4_T5_mT6_P12ihipStream_tbENKUlT_T0_E_clISt17integral_constantIbLb0EESU_EEDaSP_SQ_EUlSP_E0_NS1_11comp_targetILNS1_3genE0ELNS1_11target_archE4294967295ELNS1_3gpuE0ELNS1_3repE0EEENS1_30default_config_static_selectorELNS0_4arch9wavefront6targetE1EEEvT1_,"axG",@progbits,_ZN7rocprim17ROCPRIM_400000_NS6detail17trampoline_kernelINS0_14default_configENS1_20scan_config_selectorIdEEZZNS1_9scan_implILNS1_25lookback_scan_determinismE0ELb1ELb1ES3_N6thrust23THRUST_200600_302600_NS6detail15normal_iteratorINS9_10device_ptrIdEEEESE_d11max_functorIdEdEEDaPvRmT3_T4_T5_mT6_P12ihipStream_tbENKUlT_T0_E_clISt17integral_constantIbLb0EESU_EEDaSP_SQ_EUlSP_E0_NS1_11comp_targetILNS1_3genE0ELNS1_11target_archE4294967295ELNS1_3gpuE0ELNS1_3repE0EEENS1_30default_config_static_selectorELNS0_4arch9wavefront6targetE1EEEvT1_,comdat
	.protected	_ZN7rocprim17ROCPRIM_400000_NS6detail17trampoline_kernelINS0_14default_configENS1_20scan_config_selectorIdEEZZNS1_9scan_implILNS1_25lookback_scan_determinismE0ELb1ELb1ES3_N6thrust23THRUST_200600_302600_NS6detail15normal_iteratorINS9_10device_ptrIdEEEESE_d11max_functorIdEdEEDaPvRmT3_T4_T5_mT6_P12ihipStream_tbENKUlT_T0_E_clISt17integral_constantIbLb0EESU_EEDaSP_SQ_EUlSP_E0_NS1_11comp_targetILNS1_3genE0ELNS1_11target_archE4294967295ELNS1_3gpuE0ELNS1_3repE0EEENS1_30default_config_static_selectorELNS0_4arch9wavefront6targetE1EEEvT1_ ; -- Begin function _ZN7rocprim17ROCPRIM_400000_NS6detail17trampoline_kernelINS0_14default_configENS1_20scan_config_selectorIdEEZZNS1_9scan_implILNS1_25lookback_scan_determinismE0ELb1ELb1ES3_N6thrust23THRUST_200600_302600_NS6detail15normal_iteratorINS9_10device_ptrIdEEEESE_d11max_functorIdEdEEDaPvRmT3_T4_T5_mT6_P12ihipStream_tbENKUlT_T0_E_clISt17integral_constantIbLb0EESU_EEDaSP_SQ_EUlSP_E0_NS1_11comp_targetILNS1_3genE0ELNS1_11target_archE4294967295ELNS1_3gpuE0ELNS1_3repE0EEENS1_30default_config_static_selectorELNS0_4arch9wavefront6targetE1EEEvT1_
	.globl	_ZN7rocprim17ROCPRIM_400000_NS6detail17trampoline_kernelINS0_14default_configENS1_20scan_config_selectorIdEEZZNS1_9scan_implILNS1_25lookback_scan_determinismE0ELb1ELb1ES3_N6thrust23THRUST_200600_302600_NS6detail15normal_iteratorINS9_10device_ptrIdEEEESE_d11max_functorIdEdEEDaPvRmT3_T4_T5_mT6_P12ihipStream_tbENKUlT_T0_E_clISt17integral_constantIbLb0EESU_EEDaSP_SQ_EUlSP_E0_NS1_11comp_targetILNS1_3genE0ELNS1_11target_archE4294967295ELNS1_3gpuE0ELNS1_3repE0EEENS1_30default_config_static_selectorELNS0_4arch9wavefront6targetE1EEEvT1_
	.p2align	8
	.type	_ZN7rocprim17ROCPRIM_400000_NS6detail17trampoline_kernelINS0_14default_configENS1_20scan_config_selectorIdEEZZNS1_9scan_implILNS1_25lookback_scan_determinismE0ELb1ELb1ES3_N6thrust23THRUST_200600_302600_NS6detail15normal_iteratorINS9_10device_ptrIdEEEESE_d11max_functorIdEdEEDaPvRmT3_T4_T5_mT6_P12ihipStream_tbENKUlT_T0_E_clISt17integral_constantIbLb0EESU_EEDaSP_SQ_EUlSP_E0_NS1_11comp_targetILNS1_3genE0ELNS1_11target_archE4294967295ELNS1_3gpuE0ELNS1_3repE0EEENS1_30default_config_static_selectorELNS0_4arch9wavefront6targetE1EEEvT1_,@function
_ZN7rocprim17ROCPRIM_400000_NS6detail17trampoline_kernelINS0_14default_configENS1_20scan_config_selectorIdEEZZNS1_9scan_implILNS1_25lookback_scan_determinismE0ELb1ELb1ES3_N6thrust23THRUST_200600_302600_NS6detail15normal_iteratorINS9_10device_ptrIdEEEESE_d11max_functorIdEdEEDaPvRmT3_T4_T5_mT6_P12ihipStream_tbENKUlT_T0_E_clISt17integral_constantIbLb0EESU_EEDaSP_SQ_EUlSP_E0_NS1_11comp_targetILNS1_3genE0ELNS1_11target_archE4294967295ELNS1_3gpuE0ELNS1_3repE0EEENS1_30default_config_static_selectorELNS0_4arch9wavefront6targetE1EEEvT1_: ; @_ZN7rocprim17ROCPRIM_400000_NS6detail17trampoline_kernelINS0_14default_configENS1_20scan_config_selectorIdEEZZNS1_9scan_implILNS1_25lookback_scan_determinismE0ELb1ELb1ES3_N6thrust23THRUST_200600_302600_NS6detail15normal_iteratorINS9_10device_ptrIdEEEESE_d11max_functorIdEdEEDaPvRmT3_T4_T5_mT6_P12ihipStream_tbENKUlT_T0_E_clISt17integral_constantIbLb0EESU_EEDaSP_SQ_EUlSP_E0_NS1_11comp_targetILNS1_3genE0ELNS1_11target_archE4294967295ELNS1_3gpuE0ELNS1_3repE0EEENS1_30default_config_static_selectorELNS0_4arch9wavefront6targetE1EEEvT1_
; %bb.0:
	.section	.rodata,"a",@progbits
	.p2align	6, 0x0
	.amdhsa_kernel _ZN7rocprim17ROCPRIM_400000_NS6detail17trampoline_kernelINS0_14default_configENS1_20scan_config_selectorIdEEZZNS1_9scan_implILNS1_25lookback_scan_determinismE0ELb1ELb1ES3_N6thrust23THRUST_200600_302600_NS6detail15normal_iteratorINS9_10device_ptrIdEEEESE_d11max_functorIdEdEEDaPvRmT3_T4_T5_mT6_P12ihipStream_tbENKUlT_T0_E_clISt17integral_constantIbLb0EESU_EEDaSP_SQ_EUlSP_E0_NS1_11comp_targetILNS1_3genE0ELNS1_11target_archE4294967295ELNS1_3gpuE0ELNS1_3repE0EEENS1_30default_config_static_selectorELNS0_4arch9wavefront6targetE1EEEvT1_
		.amdhsa_group_segment_fixed_size 0
		.amdhsa_private_segment_fixed_size 0
		.amdhsa_kernarg_size 40
		.amdhsa_user_sgpr_count 6
		.amdhsa_user_sgpr_private_segment_buffer 1
		.amdhsa_user_sgpr_dispatch_ptr 0
		.amdhsa_user_sgpr_queue_ptr 0
		.amdhsa_user_sgpr_kernarg_segment_ptr 1
		.amdhsa_user_sgpr_dispatch_id 0
		.amdhsa_user_sgpr_flat_scratch_init 0
		.amdhsa_user_sgpr_kernarg_preload_length 0
		.amdhsa_user_sgpr_kernarg_preload_offset 0
		.amdhsa_user_sgpr_private_segment_size 0
		.amdhsa_uses_dynamic_stack 0
		.amdhsa_system_sgpr_private_segment_wavefront_offset 0
		.amdhsa_system_sgpr_workgroup_id_x 1
		.amdhsa_system_sgpr_workgroup_id_y 0
		.amdhsa_system_sgpr_workgroup_id_z 0
		.amdhsa_system_sgpr_workgroup_info 0
		.amdhsa_system_vgpr_workitem_id 0
		.amdhsa_next_free_vgpr 1
		.amdhsa_next_free_sgpr 0
		.amdhsa_accum_offset 4
		.amdhsa_reserve_vcc 0
		.amdhsa_reserve_flat_scratch 0
		.amdhsa_float_round_mode_32 0
		.amdhsa_float_round_mode_16_64 0
		.amdhsa_float_denorm_mode_32 3
		.amdhsa_float_denorm_mode_16_64 3
		.amdhsa_dx10_clamp 1
		.amdhsa_ieee_mode 1
		.amdhsa_fp16_overflow 0
		.amdhsa_tg_split 0
		.amdhsa_exception_fp_ieee_invalid_op 0
		.amdhsa_exception_fp_denorm_src 0
		.amdhsa_exception_fp_ieee_div_zero 0
		.amdhsa_exception_fp_ieee_overflow 0
		.amdhsa_exception_fp_ieee_underflow 0
		.amdhsa_exception_fp_ieee_inexact 0
		.amdhsa_exception_int_div_zero 0
	.end_amdhsa_kernel
	.section	.text._ZN7rocprim17ROCPRIM_400000_NS6detail17trampoline_kernelINS0_14default_configENS1_20scan_config_selectorIdEEZZNS1_9scan_implILNS1_25lookback_scan_determinismE0ELb1ELb1ES3_N6thrust23THRUST_200600_302600_NS6detail15normal_iteratorINS9_10device_ptrIdEEEESE_d11max_functorIdEdEEDaPvRmT3_T4_T5_mT6_P12ihipStream_tbENKUlT_T0_E_clISt17integral_constantIbLb0EESU_EEDaSP_SQ_EUlSP_E0_NS1_11comp_targetILNS1_3genE0ELNS1_11target_archE4294967295ELNS1_3gpuE0ELNS1_3repE0EEENS1_30default_config_static_selectorELNS0_4arch9wavefront6targetE1EEEvT1_,"axG",@progbits,_ZN7rocprim17ROCPRIM_400000_NS6detail17trampoline_kernelINS0_14default_configENS1_20scan_config_selectorIdEEZZNS1_9scan_implILNS1_25lookback_scan_determinismE0ELb1ELb1ES3_N6thrust23THRUST_200600_302600_NS6detail15normal_iteratorINS9_10device_ptrIdEEEESE_d11max_functorIdEdEEDaPvRmT3_T4_T5_mT6_P12ihipStream_tbENKUlT_T0_E_clISt17integral_constantIbLb0EESU_EEDaSP_SQ_EUlSP_E0_NS1_11comp_targetILNS1_3genE0ELNS1_11target_archE4294967295ELNS1_3gpuE0ELNS1_3repE0EEENS1_30default_config_static_selectorELNS0_4arch9wavefront6targetE1EEEvT1_,comdat
.Lfunc_end1880:
	.size	_ZN7rocprim17ROCPRIM_400000_NS6detail17trampoline_kernelINS0_14default_configENS1_20scan_config_selectorIdEEZZNS1_9scan_implILNS1_25lookback_scan_determinismE0ELb1ELb1ES3_N6thrust23THRUST_200600_302600_NS6detail15normal_iteratorINS9_10device_ptrIdEEEESE_d11max_functorIdEdEEDaPvRmT3_T4_T5_mT6_P12ihipStream_tbENKUlT_T0_E_clISt17integral_constantIbLb0EESU_EEDaSP_SQ_EUlSP_E0_NS1_11comp_targetILNS1_3genE0ELNS1_11target_archE4294967295ELNS1_3gpuE0ELNS1_3repE0EEENS1_30default_config_static_selectorELNS0_4arch9wavefront6targetE1EEEvT1_, .Lfunc_end1880-_ZN7rocprim17ROCPRIM_400000_NS6detail17trampoline_kernelINS0_14default_configENS1_20scan_config_selectorIdEEZZNS1_9scan_implILNS1_25lookback_scan_determinismE0ELb1ELb1ES3_N6thrust23THRUST_200600_302600_NS6detail15normal_iteratorINS9_10device_ptrIdEEEESE_d11max_functorIdEdEEDaPvRmT3_T4_T5_mT6_P12ihipStream_tbENKUlT_T0_E_clISt17integral_constantIbLb0EESU_EEDaSP_SQ_EUlSP_E0_NS1_11comp_targetILNS1_3genE0ELNS1_11target_archE4294967295ELNS1_3gpuE0ELNS1_3repE0EEENS1_30default_config_static_selectorELNS0_4arch9wavefront6targetE1EEEvT1_
                                        ; -- End function
	.section	.AMDGPU.csdata,"",@progbits
; Kernel info:
; codeLenInByte = 0
; NumSgprs: 4
; NumVgprs: 0
; NumAgprs: 0
; TotalNumVgprs: 0
; ScratchSize: 0
; MemoryBound: 0
; FloatMode: 240
; IeeeMode: 1
; LDSByteSize: 0 bytes/workgroup (compile time only)
; SGPRBlocks: 0
; VGPRBlocks: 0
; NumSGPRsForWavesPerEU: 4
; NumVGPRsForWavesPerEU: 1
; AccumOffset: 4
; Occupancy: 8
; WaveLimiterHint : 0
; COMPUTE_PGM_RSRC2:SCRATCH_EN: 0
; COMPUTE_PGM_RSRC2:USER_SGPR: 6
; COMPUTE_PGM_RSRC2:TRAP_HANDLER: 0
; COMPUTE_PGM_RSRC2:TGID_X_EN: 1
; COMPUTE_PGM_RSRC2:TGID_Y_EN: 0
; COMPUTE_PGM_RSRC2:TGID_Z_EN: 0
; COMPUTE_PGM_RSRC2:TIDIG_COMP_CNT: 0
; COMPUTE_PGM_RSRC3_GFX90A:ACCUM_OFFSET: 0
; COMPUTE_PGM_RSRC3_GFX90A:TG_SPLIT: 0
	.section	.text._ZN7rocprim17ROCPRIM_400000_NS6detail17trampoline_kernelINS0_14default_configENS1_20scan_config_selectorIdEEZZNS1_9scan_implILNS1_25lookback_scan_determinismE0ELb1ELb1ES3_N6thrust23THRUST_200600_302600_NS6detail15normal_iteratorINS9_10device_ptrIdEEEESE_d11max_functorIdEdEEDaPvRmT3_T4_T5_mT6_P12ihipStream_tbENKUlT_T0_E_clISt17integral_constantIbLb0EESU_EEDaSP_SQ_EUlSP_E0_NS1_11comp_targetILNS1_3genE5ELNS1_11target_archE942ELNS1_3gpuE9ELNS1_3repE0EEENS1_30default_config_static_selectorELNS0_4arch9wavefront6targetE1EEEvT1_,"axG",@progbits,_ZN7rocprim17ROCPRIM_400000_NS6detail17trampoline_kernelINS0_14default_configENS1_20scan_config_selectorIdEEZZNS1_9scan_implILNS1_25lookback_scan_determinismE0ELb1ELb1ES3_N6thrust23THRUST_200600_302600_NS6detail15normal_iteratorINS9_10device_ptrIdEEEESE_d11max_functorIdEdEEDaPvRmT3_T4_T5_mT6_P12ihipStream_tbENKUlT_T0_E_clISt17integral_constantIbLb0EESU_EEDaSP_SQ_EUlSP_E0_NS1_11comp_targetILNS1_3genE5ELNS1_11target_archE942ELNS1_3gpuE9ELNS1_3repE0EEENS1_30default_config_static_selectorELNS0_4arch9wavefront6targetE1EEEvT1_,comdat
	.protected	_ZN7rocprim17ROCPRIM_400000_NS6detail17trampoline_kernelINS0_14default_configENS1_20scan_config_selectorIdEEZZNS1_9scan_implILNS1_25lookback_scan_determinismE0ELb1ELb1ES3_N6thrust23THRUST_200600_302600_NS6detail15normal_iteratorINS9_10device_ptrIdEEEESE_d11max_functorIdEdEEDaPvRmT3_T4_T5_mT6_P12ihipStream_tbENKUlT_T0_E_clISt17integral_constantIbLb0EESU_EEDaSP_SQ_EUlSP_E0_NS1_11comp_targetILNS1_3genE5ELNS1_11target_archE942ELNS1_3gpuE9ELNS1_3repE0EEENS1_30default_config_static_selectorELNS0_4arch9wavefront6targetE1EEEvT1_ ; -- Begin function _ZN7rocprim17ROCPRIM_400000_NS6detail17trampoline_kernelINS0_14default_configENS1_20scan_config_selectorIdEEZZNS1_9scan_implILNS1_25lookback_scan_determinismE0ELb1ELb1ES3_N6thrust23THRUST_200600_302600_NS6detail15normal_iteratorINS9_10device_ptrIdEEEESE_d11max_functorIdEdEEDaPvRmT3_T4_T5_mT6_P12ihipStream_tbENKUlT_T0_E_clISt17integral_constantIbLb0EESU_EEDaSP_SQ_EUlSP_E0_NS1_11comp_targetILNS1_3genE5ELNS1_11target_archE942ELNS1_3gpuE9ELNS1_3repE0EEENS1_30default_config_static_selectorELNS0_4arch9wavefront6targetE1EEEvT1_
	.globl	_ZN7rocprim17ROCPRIM_400000_NS6detail17trampoline_kernelINS0_14default_configENS1_20scan_config_selectorIdEEZZNS1_9scan_implILNS1_25lookback_scan_determinismE0ELb1ELb1ES3_N6thrust23THRUST_200600_302600_NS6detail15normal_iteratorINS9_10device_ptrIdEEEESE_d11max_functorIdEdEEDaPvRmT3_T4_T5_mT6_P12ihipStream_tbENKUlT_T0_E_clISt17integral_constantIbLb0EESU_EEDaSP_SQ_EUlSP_E0_NS1_11comp_targetILNS1_3genE5ELNS1_11target_archE942ELNS1_3gpuE9ELNS1_3repE0EEENS1_30default_config_static_selectorELNS0_4arch9wavefront6targetE1EEEvT1_
	.p2align	8
	.type	_ZN7rocprim17ROCPRIM_400000_NS6detail17trampoline_kernelINS0_14default_configENS1_20scan_config_selectorIdEEZZNS1_9scan_implILNS1_25lookback_scan_determinismE0ELb1ELb1ES3_N6thrust23THRUST_200600_302600_NS6detail15normal_iteratorINS9_10device_ptrIdEEEESE_d11max_functorIdEdEEDaPvRmT3_T4_T5_mT6_P12ihipStream_tbENKUlT_T0_E_clISt17integral_constantIbLb0EESU_EEDaSP_SQ_EUlSP_E0_NS1_11comp_targetILNS1_3genE5ELNS1_11target_archE942ELNS1_3gpuE9ELNS1_3repE0EEENS1_30default_config_static_selectorELNS0_4arch9wavefront6targetE1EEEvT1_,@function
_ZN7rocprim17ROCPRIM_400000_NS6detail17trampoline_kernelINS0_14default_configENS1_20scan_config_selectorIdEEZZNS1_9scan_implILNS1_25lookback_scan_determinismE0ELb1ELb1ES3_N6thrust23THRUST_200600_302600_NS6detail15normal_iteratorINS9_10device_ptrIdEEEESE_d11max_functorIdEdEEDaPvRmT3_T4_T5_mT6_P12ihipStream_tbENKUlT_T0_E_clISt17integral_constantIbLb0EESU_EEDaSP_SQ_EUlSP_E0_NS1_11comp_targetILNS1_3genE5ELNS1_11target_archE942ELNS1_3gpuE9ELNS1_3repE0EEENS1_30default_config_static_selectorELNS0_4arch9wavefront6targetE1EEEvT1_: ; @_ZN7rocprim17ROCPRIM_400000_NS6detail17trampoline_kernelINS0_14default_configENS1_20scan_config_selectorIdEEZZNS1_9scan_implILNS1_25lookback_scan_determinismE0ELb1ELb1ES3_N6thrust23THRUST_200600_302600_NS6detail15normal_iteratorINS9_10device_ptrIdEEEESE_d11max_functorIdEdEEDaPvRmT3_T4_T5_mT6_P12ihipStream_tbENKUlT_T0_E_clISt17integral_constantIbLb0EESU_EEDaSP_SQ_EUlSP_E0_NS1_11comp_targetILNS1_3genE5ELNS1_11target_archE942ELNS1_3gpuE9ELNS1_3repE0EEENS1_30default_config_static_selectorELNS0_4arch9wavefront6targetE1EEEvT1_
; %bb.0:
	.section	.rodata,"a",@progbits
	.p2align	6, 0x0
	.amdhsa_kernel _ZN7rocprim17ROCPRIM_400000_NS6detail17trampoline_kernelINS0_14default_configENS1_20scan_config_selectorIdEEZZNS1_9scan_implILNS1_25lookback_scan_determinismE0ELb1ELb1ES3_N6thrust23THRUST_200600_302600_NS6detail15normal_iteratorINS9_10device_ptrIdEEEESE_d11max_functorIdEdEEDaPvRmT3_T4_T5_mT6_P12ihipStream_tbENKUlT_T0_E_clISt17integral_constantIbLb0EESU_EEDaSP_SQ_EUlSP_E0_NS1_11comp_targetILNS1_3genE5ELNS1_11target_archE942ELNS1_3gpuE9ELNS1_3repE0EEENS1_30default_config_static_selectorELNS0_4arch9wavefront6targetE1EEEvT1_
		.amdhsa_group_segment_fixed_size 0
		.amdhsa_private_segment_fixed_size 0
		.amdhsa_kernarg_size 40
		.amdhsa_user_sgpr_count 6
		.amdhsa_user_sgpr_private_segment_buffer 1
		.amdhsa_user_sgpr_dispatch_ptr 0
		.amdhsa_user_sgpr_queue_ptr 0
		.amdhsa_user_sgpr_kernarg_segment_ptr 1
		.amdhsa_user_sgpr_dispatch_id 0
		.amdhsa_user_sgpr_flat_scratch_init 0
		.amdhsa_user_sgpr_kernarg_preload_length 0
		.amdhsa_user_sgpr_kernarg_preload_offset 0
		.amdhsa_user_sgpr_private_segment_size 0
		.amdhsa_uses_dynamic_stack 0
		.amdhsa_system_sgpr_private_segment_wavefront_offset 0
		.amdhsa_system_sgpr_workgroup_id_x 1
		.amdhsa_system_sgpr_workgroup_id_y 0
		.amdhsa_system_sgpr_workgroup_id_z 0
		.amdhsa_system_sgpr_workgroup_info 0
		.amdhsa_system_vgpr_workitem_id 0
		.amdhsa_next_free_vgpr 1
		.amdhsa_next_free_sgpr 0
		.amdhsa_accum_offset 4
		.amdhsa_reserve_vcc 0
		.amdhsa_reserve_flat_scratch 0
		.amdhsa_float_round_mode_32 0
		.amdhsa_float_round_mode_16_64 0
		.amdhsa_float_denorm_mode_32 3
		.amdhsa_float_denorm_mode_16_64 3
		.amdhsa_dx10_clamp 1
		.amdhsa_ieee_mode 1
		.amdhsa_fp16_overflow 0
		.amdhsa_tg_split 0
		.amdhsa_exception_fp_ieee_invalid_op 0
		.amdhsa_exception_fp_denorm_src 0
		.amdhsa_exception_fp_ieee_div_zero 0
		.amdhsa_exception_fp_ieee_overflow 0
		.amdhsa_exception_fp_ieee_underflow 0
		.amdhsa_exception_fp_ieee_inexact 0
		.amdhsa_exception_int_div_zero 0
	.end_amdhsa_kernel
	.section	.text._ZN7rocprim17ROCPRIM_400000_NS6detail17trampoline_kernelINS0_14default_configENS1_20scan_config_selectorIdEEZZNS1_9scan_implILNS1_25lookback_scan_determinismE0ELb1ELb1ES3_N6thrust23THRUST_200600_302600_NS6detail15normal_iteratorINS9_10device_ptrIdEEEESE_d11max_functorIdEdEEDaPvRmT3_T4_T5_mT6_P12ihipStream_tbENKUlT_T0_E_clISt17integral_constantIbLb0EESU_EEDaSP_SQ_EUlSP_E0_NS1_11comp_targetILNS1_3genE5ELNS1_11target_archE942ELNS1_3gpuE9ELNS1_3repE0EEENS1_30default_config_static_selectorELNS0_4arch9wavefront6targetE1EEEvT1_,"axG",@progbits,_ZN7rocprim17ROCPRIM_400000_NS6detail17trampoline_kernelINS0_14default_configENS1_20scan_config_selectorIdEEZZNS1_9scan_implILNS1_25lookback_scan_determinismE0ELb1ELb1ES3_N6thrust23THRUST_200600_302600_NS6detail15normal_iteratorINS9_10device_ptrIdEEEESE_d11max_functorIdEdEEDaPvRmT3_T4_T5_mT6_P12ihipStream_tbENKUlT_T0_E_clISt17integral_constantIbLb0EESU_EEDaSP_SQ_EUlSP_E0_NS1_11comp_targetILNS1_3genE5ELNS1_11target_archE942ELNS1_3gpuE9ELNS1_3repE0EEENS1_30default_config_static_selectorELNS0_4arch9wavefront6targetE1EEEvT1_,comdat
.Lfunc_end1881:
	.size	_ZN7rocprim17ROCPRIM_400000_NS6detail17trampoline_kernelINS0_14default_configENS1_20scan_config_selectorIdEEZZNS1_9scan_implILNS1_25lookback_scan_determinismE0ELb1ELb1ES3_N6thrust23THRUST_200600_302600_NS6detail15normal_iteratorINS9_10device_ptrIdEEEESE_d11max_functorIdEdEEDaPvRmT3_T4_T5_mT6_P12ihipStream_tbENKUlT_T0_E_clISt17integral_constantIbLb0EESU_EEDaSP_SQ_EUlSP_E0_NS1_11comp_targetILNS1_3genE5ELNS1_11target_archE942ELNS1_3gpuE9ELNS1_3repE0EEENS1_30default_config_static_selectorELNS0_4arch9wavefront6targetE1EEEvT1_, .Lfunc_end1881-_ZN7rocprim17ROCPRIM_400000_NS6detail17trampoline_kernelINS0_14default_configENS1_20scan_config_selectorIdEEZZNS1_9scan_implILNS1_25lookback_scan_determinismE0ELb1ELb1ES3_N6thrust23THRUST_200600_302600_NS6detail15normal_iteratorINS9_10device_ptrIdEEEESE_d11max_functorIdEdEEDaPvRmT3_T4_T5_mT6_P12ihipStream_tbENKUlT_T0_E_clISt17integral_constantIbLb0EESU_EEDaSP_SQ_EUlSP_E0_NS1_11comp_targetILNS1_3genE5ELNS1_11target_archE942ELNS1_3gpuE9ELNS1_3repE0EEENS1_30default_config_static_selectorELNS0_4arch9wavefront6targetE1EEEvT1_
                                        ; -- End function
	.section	.AMDGPU.csdata,"",@progbits
; Kernel info:
; codeLenInByte = 0
; NumSgprs: 4
; NumVgprs: 0
; NumAgprs: 0
; TotalNumVgprs: 0
; ScratchSize: 0
; MemoryBound: 0
; FloatMode: 240
; IeeeMode: 1
; LDSByteSize: 0 bytes/workgroup (compile time only)
; SGPRBlocks: 0
; VGPRBlocks: 0
; NumSGPRsForWavesPerEU: 4
; NumVGPRsForWavesPerEU: 1
; AccumOffset: 4
; Occupancy: 8
; WaveLimiterHint : 0
; COMPUTE_PGM_RSRC2:SCRATCH_EN: 0
; COMPUTE_PGM_RSRC2:USER_SGPR: 6
; COMPUTE_PGM_RSRC2:TRAP_HANDLER: 0
; COMPUTE_PGM_RSRC2:TGID_X_EN: 1
; COMPUTE_PGM_RSRC2:TGID_Y_EN: 0
; COMPUTE_PGM_RSRC2:TGID_Z_EN: 0
; COMPUTE_PGM_RSRC2:TIDIG_COMP_CNT: 0
; COMPUTE_PGM_RSRC3_GFX90A:ACCUM_OFFSET: 0
; COMPUTE_PGM_RSRC3_GFX90A:TG_SPLIT: 0
	.section	.text._ZN7rocprim17ROCPRIM_400000_NS6detail17trampoline_kernelINS0_14default_configENS1_20scan_config_selectorIdEEZZNS1_9scan_implILNS1_25lookback_scan_determinismE0ELb1ELb1ES3_N6thrust23THRUST_200600_302600_NS6detail15normal_iteratorINS9_10device_ptrIdEEEESE_d11max_functorIdEdEEDaPvRmT3_T4_T5_mT6_P12ihipStream_tbENKUlT_T0_E_clISt17integral_constantIbLb0EESU_EEDaSP_SQ_EUlSP_E0_NS1_11comp_targetILNS1_3genE4ELNS1_11target_archE910ELNS1_3gpuE8ELNS1_3repE0EEENS1_30default_config_static_selectorELNS0_4arch9wavefront6targetE1EEEvT1_,"axG",@progbits,_ZN7rocprim17ROCPRIM_400000_NS6detail17trampoline_kernelINS0_14default_configENS1_20scan_config_selectorIdEEZZNS1_9scan_implILNS1_25lookback_scan_determinismE0ELb1ELb1ES3_N6thrust23THRUST_200600_302600_NS6detail15normal_iteratorINS9_10device_ptrIdEEEESE_d11max_functorIdEdEEDaPvRmT3_T4_T5_mT6_P12ihipStream_tbENKUlT_T0_E_clISt17integral_constantIbLb0EESU_EEDaSP_SQ_EUlSP_E0_NS1_11comp_targetILNS1_3genE4ELNS1_11target_archE910ELNS1_3gpuE8ELNS1_3repE0EEENS1_30default_config_static_selectorELNS0_4arch9wavefront6targetE1EEEvT1_,comdat
	.protected	_ZN7rocprim17ROCPRIM_400000_NS6detail17trampoline_kernelINS0_14default_configENS1_20scan_config_selectorIdEEZZNS1_9scan_implILNS1_25lookback_scan_determinismE0ELb1ELb1ES3_N6thrust23THRUST_200600_302600_NS6detail15normal_iteratorINS9_10device_ptrIdEEEESE_d11max_functorIdEdEEDaPvRmT3_T4_T5_mT6_P12ihipStream_tbENKUlT_T0_E_clISt17integral_constantIbLb0EESU_EEDaSP_SQ_EUlSP_E0_NS1_11comp_targetILNS1_3genE4ELNS1_11target_archE910ELNS1_3gpuE8ELNS1_3repE0EEENS1_30default_config_static_selectorELNS0_4arch9wavefront6targetE1EEEvT1_ ; -- Begin function _ZN7rocprim17ROCPRIM_400000_NS6detail17trampoline_kernelINS0_14default_configENS1_20scan_config_selectorIdEEZZNS1_9scan_implILNS1_25lookback_scan_determinismE0ELb1ELb1ES3_N6thrust23THRUST_200600_302600_NS6detail15normal_iteratorINS9_10device_ptrIdEEEESE_d11max_functorIdEdEEDaPvRmT3_T4_T5_mT6_P12ihipStream_tbENKUlT_T0_E_clISt17integral_constantIbLb0EESU_EEDaSP_SQ_EUlSP_E0_NS1_11comp_targetILNS1_3genE4ELNS1_11target_archE910ELNS1_3gpuE8ELNS1_3repE0EEENS1_30default_config_static_selectorELNS0_4arch9wavefront6targetE1EEEvT1_
	.globl	_ZN7rocprim17ROCPRIM_400000_NS6detail17trampoline_kernelINS0_14default_configENS1_20scan_config_selectorIdEEZZNS1_9scan_implILNS1_25lookback_scan_determinismE0ELb1ELb1ES3_N6thrust23THRUST_200600_302600_NS6detail15normal_iteratorINS9_10device_ptrIdEEEESE_d11max_functorIdEdEEDaPvRmT3_T4_T5_mT6_P12ihipStream_tbENKUlT_T0_E_clISt17integral_constantIbLb0EESU_EEDaSP_SQ_EUlSP_E0_NS1_11comp_targetILNS1_3genE4ELNS1_11target_archE910ELNS1_3gpuE8ELNS1_3repE0EEENS1_30default_config_static_selectorELNS0_4arch9wavefront6targetE1EEEvT1_
	.p2align	8
	.type	_ZN7rocprim17ROCPRIM_400000_NS6detail17trampoline_kernelINS0_14default_configENS1_20scan_config_selectorIdEEZZNS1_9scan_implILNS1_25lookback_scan_determinismE0ELb1ELb1ES3_N6thrust23THRUST_200600_302600_NS6detail15normal_iteratorINS9_10device_ptrIdEEEESE_d11max_functorIdEdEEDaPvRmT3_T4_T5_mT6_P12ihipStream_tbENKUlT_T0_E_clISt17integral_constantIbLb0EESU_EEDaSP_SQ_EUlSP_E0_NS1_11comp_targetILNS1_3genE4ELNS1_11target_archE910ELNS1_3gpuE8ELNS1_3repE0EEENS1_30default_config_static_selectorELNS0_4arch9wavefront6targetE1EEEvT1_,@function
_ZN7rocprim17ROCPRIM_400000_NS6detail17trampoline_kernelINS0_14default_configENS1_20scan_config_selectorIdEEZZNS1_9scan_implILNS1_25lookback_scan_determinismE0ELb1ELb1ES3_N6thrust23THRUST_200600_302600_NS6detail15normal_iteratorINS9_10device_ptrIdEEEESE_d11max_functorIdEdEEDaPvRmT3_T4_T5_mT6_P12ihipStream_tbENKUlT_T0_E_clISt17integral_constantIbLb0EESU_EEDaSP_SQ_EUlSP_E0_NS1_11comp_targetILNS1_3genE4ELNS1_11target_archE910ELNS1_3gpuE8ELNS1_3repE0EEENS1_30default_config_static_selectorELNS0_4arch9wavefront6targetE1EEEvT1_: ; @_ZN7rocprim17ROCPRIM_400000_NS6detail17trampoline_kernelINS0_14default_configENS1_20scan_config_selectorIdEEZZNS1_9scan_implILNS1_25lookback_scan_determinismE0ELb1ELb1ES3_N6thrust23THRUST_200600_302600_NS6detail15normal_iteratorINS9_10device_ptrIdEEEESE_d11max_functorIdEdEEDaPvRmT3_T4_T5_mT6_P12ihipStream_tbENKUlT_T0_E_clISt17integral_constantIbLb0EESU_EEDaSP_SQ_EUlSP_E0_NS1_11comp_targetILNS1_3genE4ELNS1_11target_archE910ELNS1_3gpuE8ELNS1_3repE0EEENS1_30default_config_static_selectorELNS0_4arch9wavefront6targetE1EEEvT1_
; %bb.0:
	s_load_dwordx4 s[20:23], s[4:5], 0x0
	v_lshlrev_b32_e32 v24, 3, v0
	s_waitcnt lgkmcnt(0)
	s_load_dwordx2 s[24:25], s[20:21], 0x0
	v_cmp_gt_u32_e32 vcc, s22, v0
	s_waitcnt lgkmcnt(0)
	v_pk_mov_b32 v[2:3], s[24:25], s[24:25] op_sel:[0,1]
	s_and_saveexec_b64 s[0:1], vcc
	s_cbranch_execz .LBB1882_2
; %bb.1:
	global_load_dwordx2 v[2:3], v24, s[20:21]
.LBB1882_2:
	s_or_b64 exec, exec, s[0:1]
	v_or_b32_e32 v1, 0x80, v0
	v_cmp_gt_u32_e64 s[0:1], s22, v1
	v_pk_mov_b32 v[4:5], s[24:25], s[24:25] op_sel:[0,1]
	s_and_saveexec_b64 s[2:3], s[0:1]
	s_cbranch_execz .LBB1882_4
; %bb.3:
	global_load_dwordx2 v[4:5], v24, s[20:21] offset:1024
.LBB1882_4:
	s_or_b64 exec, exec, s[2:3]
	v_or_b32_e32 v1, 0x100, v0
	v_cmp_gt_u32_e64 s[2:3], s22, v1
	v_pk_mov_b32 v[6:7], s[24:25], s[24:25] op_sel:[0,1]
	s_and_saveexec_b64 s[6:7], s[2:3]
	s_cbranch_execz .LBB1882_6
; %bb.5:
	global_load_dwordx2 v[6:7], v24, s[20:21] offset:2048
.LBB1882_6:
	;; [unrolled: 9-line block ×3, first 2 shown]
	s_or_b64 exec, exec, s[6:7]
	v_or_b32_e32 v1, 0x200, v0
	v_cmp_gt_u32_e64 s[6:7], s22, v1
	v_pk_mov_b32 v[10:11], s[24:25], s[24:25] op_sel:[0,1]
	s_and_saveexec_b64 s[8:9], s[6:7]
	s_cbranch_execz .LBB1882_10
; %bb.9:
	v_lshlrev_b32_e32 v1, 3, v1
	global_load_dwordx2 v[10:11], v1, s[20:21]
.LBB1882_10:
	s_or_b64 exec, exec, s[8:9]
	v_or_b32_e32 v1, 0x280, v0
	v_cmp_gt_u32_e64 s[8:9], s22, v1
	v_pk_mov_b32 v[12:13], s[24:25], s[24:25] op_sel:[0,1]
	s_and_saveexec_b64 s[10:11], s[8:9]
	s_cbranch_execz .LBB1882_12
; %bb.11:
	v_lshlrev_b32_e32 v1, 3, v1
	global_load_dwordx2 v[12:13], v1, s[20:21]
.LBB1882_12:
	;; [unrolled: 10-line block ×6, first 2 shown]
	s_or_b64 exec, exec, s[22:23]
	s_movk_i32 s20, 0x48
	v_mad_u32_u24 v1, v0, s20, v24
	s_waitcnt vmcnt(0)
	ds_write2st64_b64 v24, v[2:3], v[4:5] offset1:2
	ds_write2st64_b64 v24, v[6:7], v[8:9] offset0:4 offset1:6
	ds_write2st64_b64 v24, v[10:11], v[12:13] offset0:8 offset1:10
	;; [unrolled: 1-line block ×4, first 2 shown]
	s_waitcnt lgkmcnt(0)
	s_barrier
	ds_read_b128 v[18:21], v1
	ds_read_b128 v[10:13], v1 offset:16
	ds_read_b128 v[6:9], v1 offset:32
	;; [unrolled: 1-line block ×4, first 2 shown]
	s_waitcnt lgkmcnt(4)
	v_cmp_lt_f64_e64 s[20:21], v[18:19], v[20:21]
	v_cndmask_b32_e64 v23, v19, v21, s[20:21]
	v_cndmask_b32_e64 v22, v18, v20, s[20:21]
	s_waitcnt lgkmcnt(3)
	v_cmp_lt_f64_e64 s[20:21], v[22:23], v[10:11]
	v_cndmask_b32_e64 v23, v23, v11, s[20:21]
	v_cndmask_b32_e64 v22, v22, v10, s[20:21]
	v_cmp_lt_f64_e64 s[20:21], v[22:23], v[12:13]
	v_cndmask_b32_e64 v23, v23, v13, s[20:21]
	v_cndmask_b32_e64 v22, v22, v12, s[20:21]
	s_waitcnt lgkmcnt(2)
	v_cmp_lt_f64_e64 s[20:21], v[22:23], v[6:7]
	v_cndmask_b32_e64 v23, v23, v7, s[20:21]
	v_cndmask_b32_e64 v22, v22, v6, s[20:21]
	;; [unrolled: 7-line block ×4, first 2 shown]
	v_cmp_lt_f64_e64 s[20:21], v[22:23], v[16:17]
	v_cndmask_b32_e64 v16, v22, v16, s[20:21]
	v_mbcnt_lo_u32_b32 v22, -1, 0
	v_mbcnt_hi_u32_b32 v25, -1, v22
	v_cndmask_b32_e64 v17, v23, v17, s[20:21]
	v_and_b32_e32 v26, 15, v25
	v_mov_b32_dpp v22, v16 row_shr:1 row_mask:0xf bank_mask:0xf
	v_mov_b32_dpp v23, v17 row_shr:1 row_mask:0xf bank_mask:0xf
	v_cmp_ne_u32_e64 s[20:21], 0, v26
	s_barrier
	s_and_saveexec_b64 s[22:23], s[20:21]
; %bb.21:
	v_cmp_gt_f64_e64 s[20:21], v[16:17], v[22:23]
	v_cndmask_b32_e64 v17, v23, v17, s[20:21]
	v_cndmask_b32_e64 v16, v22, v16, s[20:21]
; %bb.22:
	s_or_b64 exec, exec, s[22:23]
	s_nop 0
	v_mov_b32_dpp v22, v16 row_shr:2 row_mask:0xf bank_mask:0xf
	v_mov_b32_dpp v23, v17 row_shr:2 row_mask:0xf bank_mask:0xf
	v_cmp_lt_u32_e64 s[20:21], 1, v26
	s_and_saveexec_b64 s[22:23], s[20:21]
; %bb.23:
	v_cmp_gt_f64_e64 s[20:21], v[16:17], v[22:23]
	v_cndmask_b32_e64 v17, v23, v17, s[20:21]
	v_cndmask_b32_e64 v16, v22, v16, s[20:21]
; %bb.24:
	s_or_b64 exec, exec, s[22:23]
	s_nop 0
	v_mov_b32_dpp v22, v16 row_shr:4 row_mask:0xf bank_mask:0xf
	v_mov_b32_dpp v23, v17 row_shr:4 row_mask:0xf bank_mask:0xf
	v_cmp_lt_u32_e64 s[20:21], 3, v26
	;; [unrolled: 11-line block ×3, first 2 shown]
	s_and_saveexec_b64 s[22:23], s[20:21]
; %bb.27:
	v_cmp_gt_f64_e64 s[20:21], v[16:17], v[22:23]
	v_cndmask_b32_e64 v17, v23, v17, s[20:21]
	v_cndmask_b32_e64 v16, v22, v16, s[20:21]
; %bb.28:
	s_or_b64 exec, exec, s[22:23]
	s_load_dwordx2 s[24:25], s[4:5], 0x10
	v_and_b32_e32 v26, 16, v25
	v_mov_b32_dpp v22, v16 row_bcast:15 row_mask:0xf bank_mask:0xf
	v_mov_b32_dpp v23, v17 row_bcast:15 row_mask:0xf bank_mask:0xf
	v_cmp_ne_u32_e64 s[20:21], 0, v26
	s_and_saveexec_b64 s[22:23], s[20:21]
; %bb.29:
	v_cmp_gt_f64_e64 s[20:21], v[16:17], v[22:23]
	v_cndmask_b32_e64 v17, v23, v17, s[20:21]
	v_cndmask_b32_e64 v16, v22, v16, s[20:21]
; %bb.30:
	s_or_b64 exec, exec, s[22:23]
	s_nop 0
	v_mov_b32_dpp v22, v16 row_bcast:31 row_mask:0xf bank_mask:0xf
	v_mov_b32_dpp v23, v17 row_bcast:31 row_mask:0xf bank_mask:0xf
	v_cmp_gt_f64_e64 s[20:21], v[16:17], v[22:23]
	v_cndmask_b32_e64 v22, v22, v16, s[20:21]
	v_cndmask_b32_e64 v23, v23, v17, s[20:21]
	v_cmp_lt_u32_e64 s[20:21], 31, v25
	v_cndmask_b32_e64 v16, v16, v22, s[20:21]
	v_or_b32_e32 v22, 63, v0
	v_cndmask_b32_e64 v17, v17, v23, s[20:21]
	v_lshrrev_b32_e32 v26, 6, v0
	v_cmp_eq_u32_e64 s[20:21], v22, v0
	s_and_saveexec_b64 s[22:23], s[20:21]
	s_cbranch_execz .LBB1882_32
; %bb.31:
	v_lshlrev_b32_e32 v22, 3, v26
	ds_write_b64 v22, v[16:17]
.LBB1882_32:
	s_or_b64 exec, exec, s[22:23]
	s_load_dwordx2 s[22:23], s[4:5], 0x20
	v_cmp_gt_u32_e64 s[4:5], 2, v0
	s_waitcnt lgkmcnt(0)
	s_barrier
	s_and_saveexec_b64 s[26:27], s[4:5]
	s_cbranch_execz .LBB1882_34
; %bb.33:
	ds_read_b64 v[22:23], v24
	v_and_b32_e32 v27, 1, v25
	v_cmp_eq_u32_e64 s[4:5], 0, v27
	s_waitcnt lgkmcnt(0)
	v_mov_b32_dpp v30, v23 row_shr:1 row_mask:0xf bank_mask:0xf
	v_mov_b32_dpp v28, v22 row_shr:1 row_mask:0xf bank_mask:0xf
	v_mov_b32_e32 v29, v30
	v_cmp_gt_f64_e64 s[20:21], v[22:23], v[28:29]
	s_or_b64 s[4:5], s[4:5], s[20:21]
	v_cndmask_b32_e64 v23, v30, v23, s[4:5]
	v_cndmask_b32_e64 v22, v28, v22, s[4:5]
	ds_write_b64 v24, v[22:23]
.LBB1882_34:
	s_or_b64 exec, exec, s[26:27]
	v_cmp_lt_u32_e64 s[4:5], 63, v0
	v_pk_mov_b32 v[22:23], s[24:25], s[24:25] op_sel:[0,1]
	s_waitcnt lgkmcnt(0)
	s_barrier
	s_and_saveexec_b64 s[20:21], s[4:5]
	s_cbranch_execz .LBB1882_36
; %bb.35:
	v_lshl_add_u32 v22, v26, 3, -8
	ds_read_b64 v[22:23], v22
	v_mov_b32_e32 v26, s25
	s_waitcnt lgkmcnt(0)
	v_cmp_lt_f64_e64 s[4:5], s[24:25], v[22:23]
	v_cndmask_b32_e64 v23, v26, v23, s[4:5]
	v_mov_b32_e32 v26, s24
	v_cndmask_b32_e64 v22, v26, v22, s[4:5]
.LBB1882_36:
	s_or_b64 exec, exec, s[20:21]
	v_cmp_lt_f64_e64 s[4:5], v[22:23], v[16:17]
	v_add_u32_e32 v26, -1, v25
	v_and_b32_e32 v27, 64, v25
	v_cndmask_b32_e64 v17, v23, v17, s[4:5]
	v_cndmask_b32_e64 v16, v22, v16, s[4:5]
	v_cmp_lt_i32_e64 s[4:5], v26, v27
	v_cndmask_b32_e64 v26, v26, v25, s[4:5]
	v_lshlrev_b32_e32 v26, 2, v26
	ds_bpermute_b32 v16, v26, v16
	ds_bpermute_b32 v17, v26, v17
	v_cmp_eq_u32_e64 s[4:5], 0, v25
	s_waitcnt lgkmcnt(0)
	s_barrier
	v_cndmask_b32_e64 v16, v16, v22, s[4:5]
	v_cndmask_b32_e64 v17, v17, v23, s[4:5]
	v_mov_b32_e32 v22, s25
	v_cmp_eq_u32_e64 s[4:5], 0, v0
	v_cndmask_b32_e64 v17, v17, v22, s[4:5]
	v_mov_b32_e32 v22, s24
	v_cndmask_b32_e64 v16, v16, v22, s[4:5]
	v_cmp_lt_f64_e64 s[4:5], v[16:17], v[18:19]
	v_cndmask_b32_e64 v19, v17, v19, s[4:5]
	v_cndmask_b32_e64 v18, v16, v18, s[4:5]
	v_cmp_lt_f64_e64 s[4:5], v[18:19], v[20:21]
	v_cndmask_b32_e64 v21, v19, v21, s[4:5]
	v_cndmask_b32_e64 v20, v18, v20, s[4:5]
	v_cmp_lt_f64_e64 s[4:5], v[20:21], v[10:11]
	v_cndmask_b32_e64 v23, v21, v11, s[4:5]
	v_cndmask_b32_e64 v22, v20, v10, s[4:5]
	v_cmp_lt_f64_e64 s[4:5], v[22:23], v[12:13]
	v_cndmask_b32_e64 v11, v23, v13, s[4:5]
	v_cndmask_b32_e64 v10, v22, v12, s[4:5]
	v_cmp_lt_f64_e64 s[4:5], v[10:11], v[6:7]
	v_cndmask_b32_e64 v13, v11, v7, s[4:5]
	v_cndmask_b32_e64 v12, v10, v6, s[4:5]
	v_cmp_lt_f64_e64 s[4:5], v[12:13], v[8:9]
	v_cndmask_b32_e64 v7, v13, v9, s[4:5]
	v_cndmask_b32_e64 v6, v12, v8, s[4:5]
	v_cmp_lt_f64_e64 s[4:5], v[6:7], v[2:3]
	v_cndmask_b32_e64 v9, v7, v3, s[4:5]
	v_cndmask_b32_e64 v8, v6, v2, s[4:5]
	v_cmp_lt_f64_e64 s[4:5], v[8:9], v[4:5]
	v_cndmask_b32_e64 v3, v9, v5, s[4:5]
	v_cndmask_b32_e64 v2, v8, v4, s[4:5]
	v_cmp_lt_f64_e64 s[4:5], v[2:3], v[14:15]
	v_cndmask_b32_e64 v5, v3, v15, s[4:5]
	v_cndmask_b32_e64 v4, v2, v14, s[4:5]
	s_movk_i32 s4, 0xffb8
	v_mad_i32_i24 v0, v0, s4, v1
	ds_write_b128 v1, v[16:19]
	ds_write_b128 v1, v[20:23] offset:16
	ds_write_b128 v1, v[10:13] offset:32
	;; [unrolled: 1-line block ×4, first 2 shown]
	s_waitcnt lgkmcnt(0)
	s_barrier
	ds_read2st64_b64 v[12:15], v0 offset0:2 offset1:4
	ds_read2st64_b64 v[8:11], v0 offset0:6 offset1:8
	;; [unrolled: 1-line block ×4, first 2 shown]
	ds_read_b64 v[18:19], v24 offset:8192
	v_mov_b32_e32 v17, s23
	v_add_co_u32_e64 v16, s[4:5], s22, v24
	v_addc_co_u32_e64 v17, s[4:5], 0, v17, s[4:5]
	s_and_saveexec_b64 s[4:5], vcc
	s_cbranch_execnz .LBB1882_47
; %bb.37:
	s_or_b64 exec, exec, s[4:5]
	s_and_saveexec_b64 s[4:5], s[0:1]
	s_cbranch_execnz .LBB1882_48
.LBB1882_38:
	s_or_b64 exec, exec, s[4:5]
	s_and_saveexec_b64 s[0:1], s[2:3]
	s_cbranch_execnz .LBB1882_49
.LBB1882_39:
	s_or_b64 exec, exec, s[0:1]
	s_and_saveexec_b64 s[0:1], s[18:19]
	s_cbranch_execnz .LBB1882_50
.LBB1882_40:
	s_or_b64 exec, exec, s[0:1]
	s_and_saveexec_b64 s[0:1], s[6:7]
	s_cbranch_execnz .LBB1882_51
.LBB1882_41:
	s_or_b64 exec, exec, s[0:1]
	s_and_saveexec_b64 s[0:1], s[8:9]
	s_cbranch_execnz .LBB1882_52
.LBB1882_42:
	s_or_b64 exec, exec, s[0:1]
	s_and_saveexec_b64 s[0:1], s[10:11]
	s_cbranch_execnz .LBB1882_53
.LBB1882_43:
	s_or_b64 exec, exec, s[0:1]
	s_and_saveexec_b64 s[0:1], s[12:13]
	s_cbranch_execnz .LBB1882_54
.LBB1882_44:
	s_or_b64 exec, exec, s[0:1]
	s_and_saveexec_b64 s[0:1], s[14:15]
	s_cbranch_execnz .LBB1882_55
.LBB1882_45:
	s_or_b64 exec, exec, s[0:1]
	s_and_saveexec_b64 s[0:1], s[16:17]
	s_cbranch_execnz .LBB1882_56
.LBB1882_46:
	s_endpgm
.LBB1882_47:
	ds_read_b64 v[20:21], v24
	s_waitcnt lgkmcnt(0)
	global_store_dwordx2 v[16:17], v[20:21], off
	s_or_b64 exec, exec, s[4:5]
	s_and_saveexec_b64 s[4:5], s[0:1]
	s_cbranch_execz .LBB1882_38
.LBB1882_48:
	s_waitcnt lgkmcnt(4)
	global_store_dwordx2 v[16:17], v[12:13], off offset:1024
	s_or_b64 exec, exec, s[4:5]
	s_and_saveexec_b64 s[0:1], s[2:3]
	s_cbranch_execz .LBB1882_39
.LBB1882_49:
	s_waitcnt lgkmcnt(4)
	global_store_dwordx2 v[16:17], v[14:15], off offset:2048
	s_or_b64 exec, exec, s[0:1]
	s_and_saveexec_b64 s[0:1], s[18:19]
	s_cbranch_execz .LBB1882_40
.LBB1882_50:
	s_waitcnt lgkmcnt(3)
	global_store_dwordx2 v[16:17], v[8:9], off offset:3072
	s_or_b64 exec, exec, s[0:1]
	s_and_saveexec_b64 s[0:1], s[6:7]
	s_cbranch_execz .LBB1882_41
.LBB1882_51:
	s_waitcnt lgkmcnt(3)
	v_add_co_u32_e32 v8, vcc, 0x1000, v16
	v_addc_co_u32_e32 v9, vcc, 0, v17, vcc
	global_store_dwordx2 v[8:9], v[10:11], off
	s_or_b64 exec, exec, s[0:1]
	s_and_saveexec_b64 s[0:1], s[8:9]
	s_cbranch_execz .LBB1882_42
.LBB1882_52:
	s_waitcnt lgkmcnt(3)
	v_add_co_u32_e32 v8, vcc, 0x1000, v16
	v_addc_co_u32_e32 v9, vcc, 0, v17, vcc
	s_waitcnt lgkmcnt(2)
	global_store_dwordx2 v[8:9], v[4:5], off offset:1024
	s_or_b64 exec, exec, s[0:1]
	s_and_saveexec_b64 s[0:1], s[10:11]
	s_cbranch_execz .LBB1882_43
.LBB1882_53:
	s_waitcnt lgkmcnt(2)
	v_add_co_u32_e32 v4, vcc, 0x1000, v16
	v_addc_co_u32_e32 v5, vcc, 0, v17, vcc
	global_store_dwordx2 v[4:5], v[6:7], off offset:2048
	s_or_b64 exec, exec, s[0:1]
	s_and_saveexec_b64 s[0:1], s[12:13]
	s_cbranch_execz .LBB1882_44
.LBB1882_54:
	s_waitcnt lgkmcnt(2)
	v_add_co_u32_e32 v4, vcc, 0x1000, v16
	v_addc_co_u32_e32 v5, vcc, 0, v17, vcc
	s_waitcnt lgkmcnt(1)
	global_store_dwordx2 v[4:5], v[0:1], off offset:3072
	s_or_b64 exec, exec, s[0:1]
	s_and_saveexec_b64 s[0:1], s[14:15]
	s_cbranch_execz .LBB1882_45
.LBB1882_55:
	s_waitcnt lgkmcnt(1)
	v_add_co_u32_e32 v0, vcc, 0x2000, v16
	v_addc_co_u32_e32 v1, vcc, 0, v17, vcc
	s_waitcnt lgkmcnt(0)
	global_store_dwordx2 v[0:1], v[18:19], off
	s_or_b64 exec, exec, s[0:1]
	s_and_saveexec_b64 s[0:1], s[16:17]
	s_cbranch_execz .LBB1882_46
.LBB1882_56:
	s_waitcnt lgkmcnt(1)
	v_add_co_u32_e32 v0, vcc, 0x2000, v16
	v_addc_co_u32_e32 v1, vcc, 0, v17, vcc
	global_store_dwordx2 v[0:1], v[2:3], off offset:1024
	s_endpgm
	.section	.rodata,"a",@progbits
	.p2align	6, 0x0
	.amdhsa_kernel _ZN7rocprim17ROCPRIM_400000_NS6detail17trampoline_kernelINS0_14default_configENS1_20scan_config_selectorIdEEZZNS1_9scan_implILNS1_25lookback_scan_determinismE0ELb1ELb1ES3_N6thrust23THRUST_200600_302600_NS6detail15normal_iteratorINS9_10device_ptrIdEEEESE_d11max_functorIdEdEEDaPvRmT3_T4_T5_mT6_P12ihipStream_tbENKUlT_T0_E_clISt17integral_constantIbLb0EESU_EEDaSP_SQ_EUlSP_E0_NS1_11comp_targetILNS1_3genE4ELNS1_11target_archE910ELNS1_3gpuE8ELNS1_3repE0EEENS1_30default_config_static_selectorELNS0_4arch9wavefront6targetE1EEEvT1_
		.amdhsa_group_segment_fixed_size 10240
		.amdhsa_private_segment_fixed_size 0
		.amdhsa_kernarg_size 40
		.amdhsa_user_sgpr_count 6
		.amdhsa_user_sgpr_private_segment_buffer 1
		.amdhsa_user_sgpr_dispatch_ptr 0
		.amdhsa_user_sgpr_queue_ptr 0
		.amdhsa_user_sgpr_kernarg_segment_ptr 1
		.amdhsa_user_sgpr_dispatch_id 0
		.amdhsa_user_sgpr_flat_scratch_init 0
		.amdhsa_user_sgpr_kernarg_preload_length 0
		.amdhsa_user_sgpr_kernarg_preload_offset 0
		.amdhsa_user_sgpr_private_segment_size 0
		.amdhsa_uses_dynamic_stack 0
		.amdhsa_system_sgpr_private_segment_wavefront_offset 0
		.amdhsa_system_sgpr_workgroup_id_x 1
		.amdhsa_system_sgpr_workgroup_id_y 0
		.amdhsa_system_sgpr_workgroup_id_z 0
		.amdhsa_system_sgpr_workgroup_info 0
		.amdhsa_system_vgpr_workitem_id 0
		.amdhsa_next_free_vgpr 31
		.amdhsa_next_free_sgpr 28
		.amdhsa_accum_offset 32
		.amdhsa_reserve_vcc 1
		.amdhsa_reserve_flat_scratch 0
		.amdhsa_float_round_mode_32 0
		.amdhsa_float_round_mode_16_64 0
		.amdhsa_float_denorm_mode_32 3
		.amdhsa_float_denorm_mode_16_64 3
		.amdhsa_dx10_clamp 1
		.amdhsa_ieee_mode 1
		.amdhsa_fp16_overflow 0
		.amdhsa_tg_split 0
		.amdhsa_exception_fp_ieee_invalid_op 0
		.amdhsa_exception_fp_denorm_src 0
		.amdhsa_exception_fp_ieee_div_zero 0
		.amdhsa_exception_fp_ieee_overflow 0
		.amdhsa_exception_fp_ieee_underflow 0
		.amdhsa_exception_fp_ieee_inexact 0
		.amdhsa_exception_int_div_zero 0
	.end_amdhsa_kernel
	.section	.text._ZN7rocprim17ROCPRIM_400000_NS6detail17trampoline_kernelINS0_14default_configENS1_20scan_config_selectorIdEEZZNS1_9scan_implILNS1_25lookback_scan_determinismE0ELb1ELb1ES3_N6thrust23THRUST_200600_302600_NS6detail15normal_iteratorINS9_10device_ptrIdEEEESE_d11max_functorIdEdEEDaPvRmT3_T4_T5_mT6_P12ihipStream_tbENKUlT_T0_E_clISt17integral_constantIbLb0EESU_EEDaSP_SQ_EUlSP_E0_NS1_11comp_targetILNS1_3genE4ELNS1_11target_archE910ELNS1_3gpuE8ELNS1_3repE0EEENS1_30default_config_static_selectorELNS0_4arch9wavefront6targetE1EEEvT1_,"axG",@progbits,_ZN7rocprim17ROCPRIM_400000_NS6detail17trampoline_kernelINS0_14default_configENS1_20scan_config_selectorIdEEZZNS1_9scan_implILNS1_25lookback_scan_determinismE0ELb1ELb1ES3_N6thrust23THRUST_200600_302600_NS6detail15normal_iteratorINS9_10device_ptrIdEEEESE_d11max_functorIdEdEEDaPvRmT3_T4_T5_mT6_P12ihipStream_tbENKUlT_T0_E_clISt17integral_constantIbLb0EESU_EEDaSP_SQ_EUlSP_E0_NS1_11comp_targetILNS1_3genE4ELNS1_11target_archE910ELNS1_3gpuE8ELNS1_3repE0EEENS1_30default_config_static_selectorELNS0_4arch9wavefront6targetE1EEEvT1_,comdat
.Lfunc_end1882:
	.size	_ZN7rocprim17ROCPRIM_400000_NS6detail17trampoline_kernelINS0_14default_configENS1_20scan_config_selectorIdEEZZNS1_9scan_implILNS1_25lookback_scan_determinismE0ELb1ELb1ES3_N6thrust23THRUST_200600_302600_NS6detail15normal_iteratorINS9_10device_ptrIdEEEESE_d11max_functorIdEdEEDaPvRmT3_T4_T5_mT6_P12ihipStream_tbENKUlT_T0_E_clISt17integral_constantIbLb0EESU_EEDaSP_SQ_EUlSP_E0_NS1_11comp_targetILNS1_3genE4ELNS1_11target_archE910ELNS1_3gpuE8ELNS1_3repE0EEENS1_30default_config_static_selectorELNS0_4arch9wavefront6targetE1EEEvT1_, .Lfunc_end1882-_ZN7rocprim17ROCPRIM_400000_NS6detail17trampoline_kernelINS0_14default_configENS1_20scan_config_selectorIdEEZZNS1_9scan_implILNS1_25lookback_scan_determinismE0ELb1ELb1ES3_N6thrust23THRUST_200600_302600_NS6detail15normal_iteratorINS9_10device_ptrIdEEEESE_d11max_functorIdEdEEDaPvRmT3_T4_T5_mT6_P12ihipStream_tbENKUlT_T0_E_clISt17integral_constantIbLb0EESU_EEDaSP_SQ_EUlSP_E0_NS1_11comp_targetILNS1_3genE4ELNS1_11target_archE910ELNS1_3gpuE8ELNS1_3repE0EEENS1_30default_config_static_selectorELNS0_4arch9wavefront6targetE1EEEvT1_
                                        ; -- End function
	.section	.AMDGPU.csdata,"",@progbits
; Kernel info:
; codeLenInByte = 2372
; NumSgprs: 32
; NumVgprs: 31
; NumAgprs: 0
; TotalNumVgprs: 31
; ScratchSize: 0
; MemoryBound: 0
; FloatMode: 240
; IeeeMode: 1
; LDSByteSize: 10240 bytes/workgroup (compile time only)
; SGPRBlocks: 3
; VGPRBlocks: 3
; NumSGPRsForWavesPerEU: 32
; NumVGPRsForWavesPerEU: 31
; AccumOffset: 32
; Occupancy: 3
; WaveLimiterHint : 0
; COMPUTE_PGM_RSRC2:SCRATCH_EN: 0
; COMPUTE_PGM_RSRC2:USER_SGPR: 6
; COMPUTE_PGM_RSRC2:TRAP_HANDLER: 0
; COMPUTE_PGM_RSRC2:TGID_X_EN: 1
; COMPUTE_PGM_RSRC2:TGID_Y_EN: 0
; COMPUTE_PGM_RSRC2:TGID_Z_EN: 0
; COMPUTE_PGM_RSRC2:TIDIG_COMP_CNT: 0
; COMPUTE_PGM_RSRC3_GFX90A:ACCUM_OFFSET: 7
; COMPUTE_PGM_RSRC3_GFX90A:TG_SPLIT: 0
	.section	.text._ZN7rocprim17ROCPRIM_400000_NS6detail17trampoline_kernelINS0_14default_configENS1_20scan_config_selectorIdEEZZNS1_9scan_implILNS1_25lookback_scan_determinismE0ELb1ELb1ES3_N6thrust23THRUST_200600_302600_NS6detail15normal_iteratorINS9_10device_ptrIdEEEESE_d11max_functorIdEdEEDaPvRmT3_T4_T5_mT6_P12ihipStream_tbENKUlT_T0_E_clISt17integral_constantIbLb0EESU_EEDaSP_SQ_EUlSP_E0_NS1_11comp_targetILNS1_3genE3ELNS1_11target_archE908ELNS1_3gpuE7ELNS1_3repE0EEENS1_30default_config_static_selectorELNS0_4arch9wavefront6targetE1EEEvT1_,"axG",@progbits,_ZN7rocprim17ROCPRIM_400000_NS6detail17trampoline_kernelINS0_14default_configENS1_20scan_config_selectorIdEEZZNS1_9scan_implILNS1_25lookback_scan_determinismE0ELb1ELb1ES3_N6thrust23THRUST_200600_302600_NS6detail15normal_iteratorINS9_10device_ptrIdEEEESE_d11max_functorIdEdEEDaPvRmT3_T4_T5_mT6_P12ihipStream_tbENKUlT_T0_E_clISt17integral_constantIbLb0EESU_EEDaSP_SQ_EUlSP_E0_NS1_11comp_targetILNS1_3genE3ELNS1_11target_archE908ELNS1_3gpuE7ELNS1_3repE0EEENS1_30default_config_static_selectorELNS0_4arch9wavefront6targetE1EEEvT1_,comdat
	.protected	_ZN7rocprim17ROCPRIM_400000_NS6detail17trampoline_kernelINS0_14default_configENS1_20scan_config_selectorIdEEZZNS1_9scan_implILNS1_25lookback_scan_determinismE0ELb1ELb1ES3_N6thrust23THRUST_200600_302600_NS6detail15normal_iteratorINS9_10device_ptrIdEEEESE_d11max_functorIdEdEEDaPvRmT3_T4_T5_mT6_P12ihipStream_tbENKUlT_T0_E_clISt17integral_constantIbLb0EESU_EEDaSP_SQ_EUlSP_E0_NS1_11comp_targetILNS1_3genE3ELNS1_11target_archE908ELNS1_3gpuE7ELNS1_3repE0EEENS1_30default_config_static_selectorELNS0_4arch9wavefront6targetE1EEEvT1_ ; -- Begin function _ZN7rocprim17ROCPRIM_400000_NS6detail17trampoline_kernelINS0_14default_configENS1_20scan_config_selectorIdEEZZNS1_9scan_implILNS1_25lookback_scan_determinismE0ELb1ELb1ES3_N6thrust23THRUST_200600_302600_NS6detail15normal_iteratorINS9_10device_ptrIdEEEESE_d11max_functorIdEdEEDaPvRmT3_T4_T5_mT6_P12ihipStream_tbENKUlT_T0_E_clISt17integral_constantIbLb0EESU_EEDaSP_SQ_EUlSP_E0_NS1_11comp_targetILNS1_3genE3ELNS1_11target_archE908ELNS1_3gpuE7ELNS1_3repE0EEENS1_30default_config_static_selectorELNS0_4arch9wavefront6targetE1EEEvT1_
	.globl	_ZN7rocprim17ROCPRIM_400000_NS6detail17trampoline_kernelINS0_14default_configENS1_20scan_config_selectorIdEEZZNS1_9scan_implILNS1_25lookback_scan_determinismE0ELb1ELb1ES3_N6thrust23THRUST_200600_302600_NS6detail15normal_iteratorINS9_10device_ptrIdEEEESE_d11max_functorIdEdEEDaPvRmT3_T4_T5_mT6_P12ihipStream_tbENKUlT_T0_E_clISt17integral_constantIbLb0EESU_EEDaSP_SQ_EUlSP_E0_NS1_11comp_targetILNS1_3genE3ELNS1_11target_archE908ELNS1_3gpuE7ELNS1_3repE0EEENS1_30default_config_static_selectorELNS0_4arch9wavefront6targetE1EEEvT1_
	.p2align	8
	.type	_ZN7rocprim17ROCPRIM_400000_NS6detail17trampoline_kernelINS0_14default_configENS1_20scan_config_selectorIdEEZZNS1_9scan_implILNS1_25lookback_scan_determinismE0ELb1ELb1ES3_N6thrust23THRUST_200600_302600_NS6detail15normal_iteratorINS9_10device_ptrIdEEEESE_d11max_functorIdEdEEDaPvRmT3_T4_T5_mT6_P12ihipStream_tbENKUlT_T0_E_clISt17integral_constantIbLb0EESU_EEDaSP_SQ_EUlSP_E0_NS1_11comp_targetILNS1_3genE3ELNS1_11target_archE908ELNS1_3gpuE7ELNS1_3repE0EEENS1_30default_config_static_selectorELNS0_4arch9wavefront6targetE1EEEvT1_,@function
_ZN7rocprim17ROCPRIM_400000_NS6detail17trampoline_kernelINS0_14default_configENS1_20scan_config_selectorIdEEZZNS1_9scan_implILNS1_25lookback_scan_determinismE0ELb1ELb1ES3_N6thrust23THRUST_200600_302600_NS6detail15normal_iteratorINS9_10device_ptrIdEEEESE_d11max_functorIdEdEEDaPvRmT3_T4_T5_mT6_P12ihipStream_tbENKUlT_T0_E_clISt17integral_constantIbLb0EESU_EEDaSP_SQ_EUlSP_E0_NS1_11comp_targetILNS1_3genE3ELNS1_11target_archE908ELNS1_3gpuE7ELNS1_3repE0EEENS1_30default_config_static_selectorELNS0_4arch9wavefront6targetE1EEEvT1_: ; @_ZN7rocprim17ROCPRIM_400000_NS6detail17trampoline_kernelINS0_14default_configENS1_20scan_config_selectorIdEEZZNS1_9scan_implILNS1_25lookback_scan_determinismE0ELb1ELb1ES3_N6thrust23THRUST_200600_302600_NS6detail15normal_iteratorINS9_10device_ptrIdEEEESE_d11max_functorIdEdEEDaPvRmT3_T4_T5_mT6_P12ihipStream_tbENKUlT_T0_E_clISt17integral_constantIbLb0EESU_EEDaSP_SQ_EUlSP_E0_NS1_11comp_targetILNS1_3genE3ELNS1_11target_archE908ELNS1_3gpuE7ELNS1_3repE0EEENS1_30default_config_static_selectorELNS0_4arch9wavefront6targetE1EEEvT1_
; %bb.0:
	.section	.rodata,"a",@progbits
	.p2align	6, 0x0
	.amdhsa_kernel _ZN7rocprim17ROCPRIM_400000_NS6detail17trampoline_kernelINS0_14default_configENS1_20scan_config_selectorIdEEZZNS1_9scan_implILNS1_25lookback_scan_determinismE0ELb1ELb1ES3_N6thrust23THRUST_200600_302600_NS6detail15normal_iteratorINS9_10device_ptrIdEEEESE_d11max_functorIdEdEEDaPvRmT3_T4_T5_mT6_P12ihipStream_tbENKUlT_T0_E_clISt17integral_constantIbLb0EESU_EEDaSP_SQ_EUlSP_E0_NS1_11comp_targetILNS1_3genE3ELNS1_11target_archE908ELNS1_3gpuE7ELNS1_3repE0EEENS1_30default_config_static_selectorELNS0_4arch9wavefront6targetE1EEEvT1_
		.amdhsa_group_segment_fixed_size 0
		.amdhsa_private_segment_fixed_size 0
		.amdhsa_kernarg_size 40
		.amdhsa_user_sgpr_count 6
		.amdhsa_user_sgpr_private_segment_buffer 1
		.amdhsa_user_sgpr_dispatch_ptr 0
		.amdhsa_user_sgpr_queue_ptr 0
		.amdhsa_user_sgpr_kernarg_segment_ptr 1
		.amdhsa_user_sgpr_dispatch_id 0
		.amdhsa_user_sgpr_flat_scratch_init 0
		.amdhsa_user_sgpr_kernarg_preload_length 0
		.amdhsa_user_sgpr_kernarg_preload_offset 0
		.amdhsa_user_sgpr_private_segment_size 0
		.amdhsa_uses_dynamic_stack 0
		.amdhsa_system_sgpr_private_segment_wavefront_offset 0
		.amdhsa_system_sgpr_workgroup_id_x 1
		.amdhsa_system_sgpr_workgroup_id_y 0
		.amdhsa_system_sgpr_workgroup_id_z 0
		.amdhsa_system_sgpr_workgroup_info 0
		.amdhsa_system_vgpr_workitem_id 0
		.amdhsa_next_free_vgpr 1
		.amdhsa_next_free_sgpr 0
		.amdhsa_accum_offset 4
		.amdhsa_reserve_vcc 0
		.amdhsa_reserve_flat_scratch 0
		.amdhsa_float_round_mode_32 0
		.amdhsa_float_round_mode_16_64 0
		.amdhsa_float_denorm_mode_32 3
		.amdhsa_float_denorm_mode_16_64 3
		.amdhsa_dx10_clamp 1
		.amdhsa_ieee_mode 1
		.amdhsa_fp16_overflow 0
		.amdhsa_tg_split 0
		.amdhsa_exception_fp_ieee_invalid_op 0
		.amdhsa_exception_fp_denorm_src 0
		.amdhsa_exception_fp_ieee_div_zero 0
		.amdhsa_exception_fp_ieee_overflow 0
		.amdhsa_exception_fp_ieee_underflow 0
		.amdhsa_exception_fp_ieee_inexact 0
		.amdhsa_exception_int_div_zero 0
	.end_amdhsa_kernel
	.section	.text._ZN7rocprim17ROCPRIM_400000_NS6detail17trampoline_kernelINS0_14default_configENS1_20scan_config_selectorIdEEZZNS1_9scan_implILNS1_25lookback_scan_determinismE0ELb1ELb1ES3_N6thrust23THRUST_200600_302600_NS6detail15normal_iteratorINS9_10device_ptrIdEEEESE_d11max_functorIdEdEEDaPvRmT3_T4_T5_mT6_P12ihipStream_tbENKUlT_T0_E_clISt17integral_constantIbLb0EESU_EEDaSP_SQ_EUlSP_E0_NS1_11comp_targetILNS1_3genE3ELNS1_11target_archE908ELNS1_3gpuE7ELNS1_3repE0EEENS1_30default_config_static_selectorELNS0_4arch9wavefront6targetE1EEEvT1_,"axG",@progbits,_ZN7rocprim17ROCPRIM_400000_NS6detail17trampoline_kernelINS0_14default_configENS1_20scan_config_selectorIdEEZZNS1_9scan_implILNS1_25lookback_scan_determinismE0ELb1ELb1ES3_N6thrust23THRUST_200600_302600_NS6detail15normal_iteratorINS9_10device_ptrIdEEEESE_d11max_functorIdEdEEDaPvRmT3_T4_T5_mT6_P12ihipStream_tbENKUlT_T0_E_clISt17integral_constantIbLb0EESU_EEDaSP_SQ_EUlSP_E0_NS1_11comp_targetILNS1_3genE3ELNS1_11target_archE908ELNS1_3gpuE7ELNS1_3repE0EEENS1_30default_config_static_selectorELNS0_4arch9wavefront6targetE1EEEvT1_,comdat
.Lfunc_end1883:
	.size	_ZN7rocprim17ROCPRIM_400000_NS6detail17trampoline_kernelINS0_14default_configENS1_20scan_config_selectorIdEEZZNS1_9scan_implILNS1_25lookback_scan_determinismE0ELb1ELb1ES3_N6thrust23THRUST_200600_302600_NS6detail15normal_iteratorINS9_10device_ptrIdEEEESE_d11max_functorIdEdEEDaPvRmT3_T4_T5_mT6_P12ihipStream_tbENKUlT_T0_E_clISt17integral_constantIbLb0EESU_EEDaSP_SQ_EUlSP_E0_NS1_11comp_targetILNS1_3genE3ELNS1_11target_archE908ELNS1_3gpuE7ELNS1_3repE0EEENS1_30default_config_static_selectorELNS0_4arch9wavefront6targetE1EEEvT1_, .Lfunc_end1883-_ZN7rocprim17ROCPRIM_400000_NS6detail17trampoline_kernelINS0_14default_configENS1_20scan_config_selectorIdEEZZNS1_9scan_implILNS1_25lookback_scan_determinismE0ELb1ELb1ES3_N6thrust23THRUST_200600_302600_NS6detail15normal_iteratorINS9_10device_ptrIdEEEESE_d11max_functorIdEdEEDaPvRmT3_T4_T5_mT6_P12ihipStream_tbENKUlT_T0_E_clISt17integral_constantIbLb0EESU_EEDaSP_SQ_EUlSP_E0_NS1_11comp_targetILNS1_3genE3ELNS1_11target_archE908ELNS1_3gpuE7ELNS1_3repE0EEENS1_30default_config_static_selectorELNS0_4arch9wavefront6targetE1EEEvT1_
                                        ; -- End function
	.section	.AMDGPU.csdata,"",@progbits
; Kernel info:
; codeLenInByte = 0
; NumSgprs: 4
; NumVgprs: 0
; NumAgprs: 0
; TotalNumVgprs: 0
; ScratchSize: 0
; MemoryBound: 0
; FloatMode: 240
; IeeeMode: 1
; LDSByteSize: 0 bytes/workgroup (compile time only)
; SGPRBlocks: 0
; VGPRBlocks: 0
; NumSGPRsForWavesPerEU: 4
; NumVGPRsForWavesPerEU: 1
; AccumOffset: 4
; Occupancy: 8
; WaveLimiterHint : 0
; COMPUTE_PGM_RSRC2:SCRATCH_EN: 0
; COMPUTE_PGM_RSRC2:USER_SGPR: 6
; COMPUTE_PGM_RSRC2:TRAP_HANDLER: 0
; COMPUTE_PGM_RSRC2:TGID_X_EN: 1
; COMPUTE_PGM_RSRC2:TGID_Y_EN: 0
; COMPUTE_PGM_RSRC2:TGID_Z_EN: 0
; COMPUTE_PGM_RSRC2:TIDIG_COMP_CNT: 0
; COMPUTE_PGM_RSRC3_GFX90A:ACCUM_OFFSET: 0
; COMPUTE_PGM_RSRC3_GFX90A:TG_SPLIT: 0
	.section	.text._ZN7rocprim17ROCPRIM_400000_NS6detail17trampoline_kernelINS0_14default_configENS1_20scan_config_selectorIdEEZZNS1_9scan_implILNS1_25lookback_scan_determinismE0ELb1ELb1ES3_N6thrust23THRUST_200600_302600_NS6detail15normal_iteratorINS9_10device_ptrIdEEEESE_d11max_functorIdEdEEDaPvRmT3_T4_T5_mT6_P12ihipStream_tbENKUlT_T0_E_clISt17integral_constantIbLb0EESU_EEDaSP_SQ_EUlSP_E0_NS1_11comp_targetILNS1_3genE2ELNS1_11target_archE906ELNS1_3gpuE6ELNS1_3repE0EEENS1_30default_config_static_selectorELNS0_4arch9wavefront6targetE1EEEvT1_,"axG",@progbits,_ZN7rocprim17ROCPRIM_400000_NS6detail17trampoline_kernelINS0_14default_configENS1_20scan_config_selectorIdEEZZNS1_9scan_implILNS1_25lookback_scan_determinismE0ELb1ELb1ES3_N6thrust23THRUST_200600_302600_NS6detail15normal_iteratorINS9_10device_ptrIdEEEESE_d11max_functorIdEdEEDaPvRmT3_T4_T5_mT6_P12ihipStream_tbENKUlT_T0_E_clISt17integral_constantIbLb0EESU_EEDaSP_SQ_EUlSP_E0_NS1_11comp_targetILNS1_3genE2ELNS1_11target_archE906ELNS1_3gpuE6ELNS1_3repE0EEENS1_30default_config_static_selectorELNS0_4arch9wavefront6targetE1EEEvT1_,comdat
	.protected	_ZN7rocprim17ROCPRIM_400000_NS6detail17trampoline_kernelINS0_14default_configENS1_20scan_config_selectorIdEEZZNS1_9scan_implILNS1_25lookback_scan_determinismE0ELb1ELb1ES3_N6thrust23THRUST_200600_302600_NS6detail15normal_iteratorINS9_10device_ptrIdEEEESE_d11max_functorIdEdEEDaPvRmT3_T4_T5_mT6_P12ihipStream_tbENKUlT_T0_E_clISt17integral_constantIbLb0EESU_EEDaSP_SQ_EUlSP_E0_NS1_11comp_targetILNS1_3genE2ELNS1_11target_archE906ELNS1_3gpuE6ELNS1_3repE0EEENS1_30default_config_static_selectorELNS0_4arch9wavefront6targetE1EEEvT1_ ; -- Begin function _ZN7rocprim17ROCPRIM_400000_NS6detail17trampoline_kernelINS0_14default_configENS1_20scan_config_selectorIdEEZZNS1_9scan_implILNS1_25lookback_scan_determinismE0ELb1ELb1ES3_N6thrust23THRUST_200600_302600_NS6detail15normal_iteratorINS9_10device_ptrIdEEEESE_d11max_functorIdEdEEDaPvRmT3_T4_T5_mT6_P12ihipStream_tbENKUlT_T0_E_clISt17integral_constantIbLb0EESU_EEDaSP_SQ_EUlSP_E0_NS1_11comp_targetILNS1_3genE2ELNS1_11target_archE906ELNS1_3gpuE6ELNS1_3repE0EEENS1_30default_config_static_selectorELNS0_4arch9wavefront6targetE1EEEvT1_
	.globl	_ZN7rocprim17ROCPRIM_400000_NS6detail17trampoline_kernelINS0_14default_configENS1_20scan_config_selectorIdEEZZNS1_9scan_implILNS1_25lookback_scan_determinismE0ELb1ELb1ES3_N6thrust23THRUST_200600_302600_NS6detail15normal_iteratorINS9_10device_ptrIdEEEESE_d11max_functorIdEdEEDaPvRmT3_T4_T5_mT6_P12ihipStream_tbENKUlT_T0_E_clISt17integral_constantIbLb0EESU_EEDaSP_SQ_EUlSP_E0_NS1_11comp_targetILNS1_3genE2ELNS1_11target_archE906ELNS1_3gpuE6ELNS1_3repE0EEENS1_30default_config_static_selectorELNS0_4arch9wavefront6targetE1EEEvT1_
	.p2align	8
	.type	_ZN7rocprim17ROCPRIM_400000_NS6detail17trampoline_kernelINS0_14default_configENS1_20scan_config_selectorIdEEZZNS1_9scan_implILNS1_25lookback_scan_determinismE0ELb1ELb1ES3_N6thrust23THRUST_200600_302600_NS6detail15normal_iteratorINS9_10device_ptrIdEEEESE_d11max_functorIdEdEEDaPvRmT3_T4_T5_mT6_P12ihipStream_tbENKUlT_T0_E_clISt17integral_constantIbLb0EESU_EEDaSP_SQ_EUlSP_E0_NS1_11comp_targetILNS1_3genE2ELNS1_11target_archE906ELNS1_3gpuE6ELNS1_3repE0EEENS1_30default_config_static_selectorELNS0_4arch9wavefront6targetE1EEEvT1_,@function
_ZN7rocprim17ROCPRIM_400000_NS6detail17trampoline_kernelINS0_14default_configENS1_20scan_config_selectorIdEEZZNS1_9scan_implILNS1_25lookback_scan_determinismE0ELb1ELb1ES3_N6thrust23THRUST_200600_302600_NS6detail15normal_iteratorINS9_10device_ptrIdEEEESE_d11max_functorIdEdEEDaPvRmT3_T4_T5_mT6_P12ihipStream_tbENKUlT_T0_E_clISt17integral_constantIbLb0EESU_EEDaSP_SQ_EUlSP_E0_NS1_11comp_targetILNS1_3genE2ELNS1_11target_archE906ELNS1_3gpuE6ELNS1_3repE0EEENS1_30default_config_static_selectorELNS0_4arch9wavefront6targetE1EEEvT1_: ; @_ZN7rocprim17ROCPRIM_400000_NS6detail17trampoline_kernelINS0_14default_configENS1_20scan_config_selectorIdEEZZNS1_9scan_implILNS1_25lookback_scan_determinismE0ELb1ELb1ES3_N6thrust23THRUST_200600_302600_NS6detail15normal_iteratorINS9_10device_ptrIdEEEESE_d11max_functorIdEdEEDaPvRmT3_T4_T5_mT6_P12ihipStream_tbENKUlT_T0_E_clISt17integral_constantIbLb0EESU_EEDaSP_SQ_EUlSP_E0_NS1_11comp_targetILNS1_3genE2ELNS1_11target_archE906ELNS1_3gpuE6ELNS1_3repE0EEENS1_30default_config_static_selectorELNS0_4arch9wavefront6targetE1EEEvT1_
; %bb.0:
	.section	.rodata,"a",@progbits
	.p2align	6, 0x0
	.amdhsa_kernel _ZN7rocprim17ROCPRIM_400000_NS6detail17trampoline_kernelINS0_14default_configENS1_20scan_config_selectorIdEEZZNS1_9scan_implILNS1_25lookback_scan_determinismE0ELb1ELb1ES3_N6thrust23THRUST_200600_302600_NS6detail15normal_iteratorINS9_10device_ptrIdEEEESE_d11max_functorIdEdEEDaPvRmT3_T4_T5_mT6_P12ihipStream_tbENKUlT_T0_E_clISt17integral_constantIbLb0EESU_EEDaSP_SQ_EUlSP_E0_NS1_11comp_targetILNS1_3genE2ELNS1_11target_archE906ELNS1_3gpuE6ELNS1_3repE0EEENS1_30default_config_static_selectorELNS0_4arch9wavefront6targetE1EEEvT1_
		.amdhsa_group_segment_fixed_size 0
		.amdhsa_private_segment_fixed_size 0
		.amdhsa_kernarg_size 40
		.amdhsa_user_sgpr_count 6
		.amdhsa_user_sgpr_private_segment_buffer 1
		.amdhsa_user_sgpr_dispatch_ptr 0
		.amdhsa_user_sgpr_queue_ptr 0
		.amdhsa_user_sgpr_kernarg_segment_ptr 1
		.amdhsa_user_sgpr_dispatch_id 0
		.amdhsa_user_sgpr_flat_scratch_init 0
		.amdhsa_user_sgpr_kernarg_preload_length 0
		.amdhsa_user_sgpr_kernarg_preload_offset 0
		.amdhsa_user_sgpr_private_segment_size 0
		.amdhsa_uses_dynamic_stack 0
		.amdhsa_system_sgpr_private_segment_wavefront_offset 0
		.amdhsa_system_sgpr_workgroup_id_x 1
		.amdhsa_system_sgpr_workgroup_id_y 0
		.amdhsa_system_sgpr_workgroup_id_z 0
		.amdhsa_system_sgpr_workgroup_info 0
		.amdhsa_system_vgpr_workitem_id 0
		.amdhsa_next_free_vgpr 1
		.amdhsa_next_free_sgpr 0
		.amdhsa_accum_offset 4
		.amdhsa_reserve_vcc 0
		.amdhsa_reserve_flat_scratch 0
		.amdhsa_float_round_mode_32 0
		.amdhsa_float_round_mode_16_64 0
		.amdhsa_float_denorm_mode_32 3
		.amdhsa_float_denorm_mode_16_64 3
		.amdhsa_dx10_clamp 1
		.amdhsa_ieee_mode 1
		.amdhsa_fp16_overflow 0
		.amdhsa_tg_split 0
		.amdhsa_exception_fp_ieee_invalid_op 0
		.amdhsa_exception_fp_denorm_src 0
		.amdhsa_exception_fp_ieee_div_zero 0
		.amdhsa_exception_fp_ieee_overflow 0
		.amdhsa_exception_fp_ieee_underflow 0
		.amdhsa_exception_fp_ieee_inexact 0
		.amdhsa_exception_int_div_zero 0
	.end_amdhsa_kernel
	.section	.text._ZN7rocprim17ROCPRIM_400000_NS6detail17trampoline_kernelINS0_14default_configENS1_20scan_config_selectorIdEEZZNS1_9scan_implILNS1_25lookback_scan_determinismE0ELb1ELb1ES3_N6thrust23THRUST_200600_302600_NS6detail15normal_iteratorINS9_10device_ptrIdEEEESE_d11max_functorIdEdEEDaPvRmT3_T4_T5_mT6_P12ihipStream_tbENKUlT_T0_E_clISt17integral_constantIbLb0EESU_EEDaSP_SQ_EUlSP_E0_NS1_11comp_targetILNS1_3genE2ELNS1_11target_archE906ELNS1_3gpuE6ELNS1_3repE0EEENS1_30default_config_static_selectorELNS0_4arch9wavefront6targetE1EEEvT1_,"axG",@progbits,_ZN7rocprim17ROCPRIM_400000_NS6detail17trampoline_kernelINS0_14default_configENS1_20scan_config_selectorIdEEZZNS1_9scan_implILNS1_25lookback_scan_determinismE0ELb1ELb1ES3_N6thrust23THRUST_200600_302600_NS6detail15normal_iteratorINS9_10device_ptrIdEEEESE_d11max_functorIdEdEEDaPvRmT3_T4_T5_mT6_P12ihipStream_tbENKUlT_T0_E_clISt17integral_constantIbLb0EESU_EEDaSP_SQ_EUlSP_E0_NS1_11comp_targetILNS1_3genE2ELNS1_11target_archE906ELNS1_3gpuE6ELNS1_3repE0EEENS1_30default_config_static_selectorELNS0_4arch9wavefront6targetE1EEEvT1_,comdat
.Lfunc_end1884:
	.size	_ZN7rocprim17ROCPRIM_400000_NS6detail17trampoline_kernelINS0_14default_configENS1_20scan_config_selectorIdEEZZNS1_9scan_implILNS1_25lookback_scan_determinismE0ELb1ELb1ES3_N6thrust23THRUST_200600_302600_NS6detail15normal_iteratorINS9_10device_ptrIdEEEESE_d11max_functorIdEdEEDaPvRmT3_T4_T5_mT6_P12ihipStream_tbENKUlT_T0_E_clISt17integral_constantIbLb0EESU_EEDaSP_SQ_EUlSP_E0_NS1_11comp_targetILNS1_3genE2ELNS1_11target_archE906ELNS1_3gpuE6ELNS1_3repE0EEENS1_30default_config_static_selectorELNS0_4arch9wavefront6targetE1EEEvT1_, .Lfunc_end1884-_ZN7rocprim17ROCPRIM_400000_NS6detail17trampoline_kernelINS0_14default_configENS1_20scan_config_selectorIdEEZZNS1_9scan_implILNS1_25lookback_scan_determinismE0ELb1ELb1ES3_N6thrust23THRUST_200600_302600_NS6detail15normal_iteratorINS9_10device_ptrIdEEEESE_d11max_functorIdEdEEDaPvRmT3_T4_T5_mT6_P12ihipStream_tbENKUlT_T0_E_clISt17integral_constantIbLb0EESU_EEDaSP_SQ_EUlSP_E0_NS1_11comp_targetILNS1_3genE2ELNS1_11target_archE906ELNS1_3gpuE6ELNS1_3repE0EEENS1_30default_config_static_selectorELNS0_4arch9wavefront6targetE1EEEvT1_
                                        ; -- End function
	.section	.AMDGPU.csdata,"",@progbits
; Kernel info:
; codeLenInByte = 0
; NumSgprs: 4
; NumVgprs: 0
; NumAgprs: 0
; TotalNumVgprs: 0
; ScratchSize: 0
; MemoryBound: 0
; FloatMode: 240
; IeeeMode: 1
; LDSByteSize: 0 bytes/workgroup (compile time only)
; SGPRBlocks: 0
; VGPRBlocks: 0
; NumSGPRsForWavesPerEU: 4
; NumVGPRsForWavesPerEU: 1
; AccumOffset: 4
; Occupancy: 8
; WaveLimiterHint : 0
; COMPUTE_PGM_RSRC2:SCRATCH_EN: 0
; COMPUTE_PGM_RSRC2:USER_SGPR: 6
; COMPUTE_PGM_RSRC2:TRAP_HANDLER: 0
; COMPUTE_PGM_RSRC2:TGID_X_EN: 1
; COMPUTE_PGM_RSRC2:TGID_Y_EN: 0
; COMPUTE_PGM_RSRC2:TGID_Z_EN: 0
; COMPUTE_PGM_RSRC2:TIDIG_COMP_CNT: 0
; COMPUTE_PGM_RSRC3_GFX90A:ACCUM_OFFSET: 0
; COMPUTE_PGM_RSRC3_GFX90A:TG_SPLIT: 0
	.section	.text._ZN7rocprim17ROCPRIM_400000_NS6detail17trampoline_kernelINS0_14default_configENS1_20scan_config_selectorIdEEZZNS1_9scan_implILNS1_25lookback_scan_determinismE0ELb1ELb1ES3_N6thrust23THRUST_200600_302600_NS6detail15normal_iteratorINS9_10device_ptrIdEEEESE_d11max_functorIdEdEEDaPvRmT3_T4_T5_mT6_P12ihipStream_tbENKUlT_T0_E_clISt17integral_constantIbLb0EESU_EEDaSP_SQ_EUlSP_E0_NS1_11comp_targetILNS1_3genE10ELNS1_11target_archE1201ELNS1_3gpuE5ELNS1_3repE0EEENS1_30default_config_static_selectorELNS0_4arch9wavefront6targetE1EEEvT1_,"axG",@progbits,_ZN7rocprim17ROCPRIM_400000_NS6detail17trampoline_kernelINS0_14default_configENS1_20scan_config_selectorIdEEZZNS1_9scan_implILNS1_25lookback_scan_determinismE0ELb1ELb1ES3_N6thrust23THRUST_200600_302600_NS6detail15normal_iteratorINS9_10device_ptrIdEEEESE_d11max_functorIdEdEEDaPvRmT3_T4_T5_mT6_P12ihipStream_tbENKUlT_T0_E_clISt17integral_constantIbLb0EESU_EEDaSP_SQ_EUlSP_E0_NS1_11comp_targetILNS1_3genE10ELNS1_11target_archE1201ELNS1_3gpuE5ELNS1_3repE0EEENS1_30default_config_static_selectorELNS0_4arch9wavefront6targetE1EEEvT1_,comdat
	.protected	_ZN7rocprim17ROCPRIM_400000_NS6detail17trampoline_kernelINS0_14default_configENS1_20scan_config_selectorIdEEZZNS1_9scan_implILNS1_25lookback_scan_determinismE0ELb1ELb1ES3_N6thrust23THRUST_200600_302600_NS6detail15normal_iteratorINS9_10device_ptrIdEEEESE_d11max_functorIdEdEEDaPvRmT3_T4_T5_mT6_P12ihipStream_tbENKUlT_T0_E_clISt17integral_constantIbLb0EESU_EEDaSP_SQ_EUlSP_E0_NS1_11comp_targetILNS1_3genE10ELNS1_11target_archE1201ELNS1_3gpuE5ELNS1_3repE0EEENS1_30default_config_static_selectorELNS0_4arch9wavefront6targetE1EEEvT1_ ; -- Begin function _ZN7rocprim17ROCPRIM_400000_NS6detail17trampoline_kernelINS0_14default_configENS1_20scan_config_selectorIdEEZZNS1_9scan_implILNS1_25lookback_scan_determinismE0ELb1ELb1ES3_N6thrust23THRUST_200600_302600_NS6detail15normal_iteratorINS9_10device_ptrIdEEEESE_d11max_functorIdEdEEDaPvRmT3_T4_T5_mT6_P12ihipStream_tbENKUlT_T0_E_clISt17integral_constantIbLb0EESU_EEDaSP_SQ_EUlSP_E0_NS1_11comp_targetILNS1_3genE10ELNS1_11target_archE1201ELNS1_3gpuE5ELNS1_3repE0EEENS1_30default_config_static_selectorELNS0_4arch9wavefront6targetE1EEEvT1_
	.globl	_ZN7rocprim17ROCPRIM_400000_NS6detail17trampoline_kernelINS0_14default_configENS1_20scan_config_selectorIdEEZZNS1_9scan_implILNS1_25lookback_scan_determinismE0ELb1ELb1ES3_N6thrust23THRUST_200600_302600_NS6detail15normal_iteratorINS9_10device_ptrIdEEEESE_d11max_functorIdEdEEDaPvRmT3_T4_T5_mT6_P12ihipStream_tbENKUlT_T0_E_clISt17integral_constantIbLb0EESU_EEDaSP_SQ_EUlSP_E0_NS1_11comp_targetILNS1_3genE10ELNS1_11target_archE1201ELNS1_3gpuE5ELNS1_3repE0EEENS1_30default_config_static_selectorELNS0_4arch9wavefront6targetE1EEEvT1_
	.p2align	8
	.type	_ZN7rocprim17ROCPRIM_400000_NS6detail17trampoline_kernelINS0_14default_configENS1_20scan_config_selectorIdEEZZNS1_9scan_implILNS1_25lookback_scan_determinismE0ELb1ELb1ES3_N6thrust23THRUST_200600_302600_NS6detail15normal_iteratorINS9_10device_ptrIdEEEESE_d11max_functorIdEdEEDaPvRmT3_T4_T5_mT6_P12ihipStream_tbENKUlT_T0_E_clISt17integral_constantIbLb0EESU_EEDaSP_SQ_EUlSP_E0_NS1_11comp_targetILNS1_3genE10ELNS1_11target_archE1201ELNS1_3gpuE5ELNS1_3repE0EEENS1_30default_config_static_selectorELNS0_4arch9wavefront6targetE1EEEvT1_,@function
_ZN7rocprim17ROCPRIM_400000_NS6detail17trampoline_kernelINS0_14default_configENS1_20scan_config_selectorIdEEZZNS1_9scan_implILNS1_25lookback_scan_determinismE0ELb1ELb1ES3_N6thrust23THRUST_200600_302600_NS6detail15normal_iteratorINS9_10device_ptrIdEEEESE_d11max_functorIdEdEEDaPvRmT3_T4_T5_mT6_P12ihipStream_tbENKUlT_T0_E_clISt17integral_constantIbLb0EESU_EEDaSP_SQ_EUlSP_E0_NS1_11comp_targetILNS1_3genE10ELNS1_11target_archE1201ELNS1_3gpuE5ELNS1_3repE0EEENS1_30default_config_static_selectorELNS0_4arch9wavefront6targetE1EEEvT1_: ; @_ZN7rocprim17ROCPRIM_400000_NS6detail17trampoline_kernelINS0_14default_configENS1_20scan_config_selectorIdEEZZNS1_9scan_implILNS1_25lookback_scan_determinismE0ELb1ELb1ES3_N6thrust23THRUST_200600_302600_NS6detail15normal_iteratorINS9_10device_ptrIdEEEESE_d11max_functorIdEdEEDaPvRmT3_T4_T5_mT6_P12ihipStream_tbENKUlT_T0_E_clISt17integral_constantIbLb0EESU_EEDaSP_SQ_EUlSP_E0_NS1_11comp_targetILNS1_3genE10ELNS1_11target_archE1201ELNS1_3gpuE5ELNS1_3repE0EEENS1_30default_config_static_selectorELNS0_4arch9wavefront6targetE1EEEvT1_
; %bb.0:
	.section	.rodata,"a",@progbits
	.p2align	6, 0x0
	.amdhsa_kernel _ZN7rocprim17ROCPRIM_400000_NS6detail17trampoline_kernelINS0_14default_configENS1_20scan_config_selectorIdEEZZNS1_9scan_implILNS1_25lookback_scan_determinismE0ELb1ELb1ES3_N6thrust23THRUST_200600_302600_NS6detail15normal_iteratorINS9_10device_ptrIdEEEESE_d11max_functorIdEdEEDaPvRmT3_T4_T5_mT6_P12ihipStream_tbENKUlT_T0_E_clISt17integral_constantIbLb0EESU_EEDaSP_SQ_EUlSP_E0_NS1_11comp_targetILNS1_3genE10ELNS1_11target_archE1201ELNS1_3gpuE5ELNS1_3repE0EEENS1_30default_config_static_selectorELNS0_4arch9wavefront6targetE1EEEvT1_
		.amdhsa_group_segment_fixed_size 0
		.amdhsa_private_segment_fixed_size 0
		.amdhsa_kernarg_size 40
		.amdhsa_user_sgpr_count 6
		.amdhsa_user_sgpr_private_segment_buffer 1
		.amdhsa_user_sgpr_dispatch_ptr 0
		.amdhsa_user_sgpr_queue_ptr 0
		.amdhsa_user_sgpr_kernarg_segment_ptr 1
		.amdhsa_user_sgpr_dispatch_id 0
		.amdhsa_user_sgpr_flat_scratch_init 0
		.amdhsa_user_sgpr_kernarg_preload_length 0
		.amdhsa_user_sgpr_kernarg_preload_offset 0
		.amdhsa_user_sgpr_private_segment_size 0
		.amdhsa_uses_dynamic_stack 0
		.amdhsa_system_sgpr_private_segment_wavefront_offset 0
		.amdhsa_system_sgpr_workgroup_id_x 1
		.amdhsa_system_sgpr_workgroup_id_y 0
		.amdhsa_system_sgpr_workgroup_id_z 0
		.amdhsa_system_sgpr_workgroup_info 0
		.amdhsa_system_vgpr_workitem_id 0
		.amdhsa_next_free_vgpr 1
		.amdhsa_next_free_sgpr 0
		.amdhsa_accum_offset 4
		.amdhsa_reserve_vcc 0
		.amdhsa_reserve_flat_scratch 0
		.amdhsa_float_round_mode_32 0
		.amdhsa_float_round_mode_16_64 0
		.amdhsa_float_denorm_mode_32 3
		.amdhsa_float_denorm_mode_16_64 3
		.amdhsa_dx10_clamp 1
		.amdhsa_ieee_mode 1
		.amdhsa_fp16_overflow 0
		.amdhsa_tg_split 0
		.amdhsa_exception_fp_ieee_invalid_op 0
		.amdhsa_exception_fp_denorm_src 0
		.amdhsa_exception_fp_ieee_div_zero 0
		.amdhsa_exception_fp_ieee_overflow 0
		.amdhsa_exception_fp_ieee_underflow 0
		.amdhsa_exception_fp_ieee_inexact 0
		.amdhsa_exception_int_div_zero 0
	.end_amdhsa_kernel
	.section	.text._ZN7rocprim17ROCPRIM_400000_NS6detail17trampoline_kernelINS0_14default_configENS1_20scan_config_selectorIdEEZZNS1_9scan_implILNS1_25lookback_scan_determinismE0ELb1ELb1ES3_N6thrust23THRUST_200600_302600_NS6detail15normal_iteratorINS9_10device_ptrIdEEEESE_d11max_functorIdEdEEDaPvRmT3_T4_T5_mT6_P12ihipStream_tbENKUlT_T0_E_clISt17integral_constantIbLb0EESU_EEDaSP_SQ_EUlSP_E0_NS1_11comp_targetILNS1_3genE10ELNS1_11target_archE1201ELNS1_3gpuE5ELNS1_3repE0EEENS1_30default_config_static_selectorELNS0_4arch9wavefront6targetE1EEEvT1_,"axG",@progbits,_ZN7rocprim17ROCPRIM_400000_NS6detail17trampoline_kernelINS0_14default_configENS1_20scan_config_selectorIdEEZZNS1_9scan_implILNS1_25lookback_scan_determinismE0ELb1ELb1ES3_N6thrust23THRUST_200600_302600_NS6detail15normal_iteratorINS9_10device_ptrIdEEEESE_d11max_functorIdEdEEDaPvRmT3_T4_T5_mT6_P12ihipStream_tbENKUlT_T0_E_clISt17integral_constantIbLb0EESU_EEDaSP_SQ_EUlSP_E0_NS1_11comp_targetILNS1_3genE10ELNS1_11target_archE1201ELNS1_3gpuE5ELNS1_3repE0EEENS1_30default_config_static_selectorELNS0_4arch9wavefront6targetE1EEEvT1_,comdat
.Lfunc_end1885:
	.size	_ZN7rocprim17ROCPRIM_400000_NS6detail17trampoline_kernelINS0_14default_configENS1_20scan_config_selectorIdEEZZNS1_9scan_implILNS1_25lookback_scan_determinismE0ELb1ELb1ES3_N6thrust23THRUST_200600_302600_NS6detail15normal_iteratorINS9_10device_ptrIdEEEESE_d11max_functorIdEdEEDaPvRmT3_T4_T5_mT6_P12ihipStream_tbENKUlT_T0_E_clISt17integral_constantIbLb0EESU_EEDaSP_SQ_EUlSP_E0_NS1_11comp_targetILNS1_3genE10ELNS1_11target_archE1201ELNS1_3gpuE5ELNS1_3repE0EEENS1_30default_config_static_selectorELNS0_4arch9wavefront6targetE1EEEvT1_, .Lfunc_end1885-_ZN7rocprim17ROCPRIM_400000_NS6detail17trampoline_kernelINS0_14default_configENS1_20scan_config_selectorIdEEZZNS1_9scan_implILNS1_25lookback_scan_determinismE0ELb1ELb1ES3_N6thrust23THRUST_200600_302600_NS6detail15normal_iteratorINS9_10device_ptrIdEEEESE_d11max_functorIdEdEEDaPvRmT3_T4_T5_mT6_P12ihipStream_tbENKUlT_T0_E_clISt17integral_constantIbLb0EESU_EEDaSP_SQ_EUlSP_E0_NS1_11comp_targetILNS1_3genE10ELNS1_11target_archE1201ELNS1_3gpuE5ELNS1_3repE0EEENS1_30default_config_static_selectorELNS0_4arch9wavefront6targetE1EEEvT1_
                                        ; -- End function
	.section	.AMDGPU.csdata,"",@progbits
; Kernel info:
; codeLenInByte = 0
; NumSgprs: 4
; NumVgprs: 0
; NumAgprs: 0
; TotalNumVgprs: 0
; ScratchSize: 0
; MemoryBound: 0
; FloatMode: 240
; IeeeMode: 1
; LDSByteSize: 0 bytes/workgroup (compile time only)
; SGPRBlocks: 0
; VGPRBlocks: 0
; NumSGPRsForWavesPerEU: 4
; NumVGPRsForWavesPerEU: 1
; AccumOffset: 4
; Occupancy: 8
; WaveLimiterHint : 0
; COMPUTE_PGM_RSRC2:SCRATCH_EN: 0
; COMPUTE_PGM_RSRC2:USER_SGPR: 6
; COMPUTE_PGM_RSRC2:TRAP_HANDLER: 0
; COMPUTE_PGM_RSRC2:TGID_X_EN: 1
; COMPUTE_PGM_RSRC2:TGID_Y_EN: 0
; COMPUTE_PGM_RSRC2:TGID_Z_EN: 0
; COMPUTE_PGM_RSRC2:TIDIG_COMP_CNT: 0
; COMPUTE_PGM_RSRC3_GFX90A:ACCUM_OFFSET: 0
; COMPUTE_PGM_RSRC3_GFX90A:TG_SPLIT: 0
	.section	.text._ZN7rocprim17ROCPRIM_400000_NS6detail17trampoline_kernelINS0_14default_configENS1_20scan_config_selectorIdEEZZNS1_9scan_implILNS1_25lookback_scan_determinismE0ELb1ELb1ES3_N6thrust23THRUST_200600_302600_NS6detail15normal_iteratorINS9_10device_ptrIdEEEESE_d11max_functorIdEdEEDaPvRmT3_T4_T5_mT6_P12ihipStream_tbENKUlT_T0_E_clISt17integral_constantIbLb0EESU_EEDaSP_SQ_EUlSP_E0_NS1_11comp_targetILNS1_3genE10ELNS1_11target_archE1200ELNS1_3gpuE4ELNS1_3repE0EEENS1_30default_config_static_selectorELNS0_4arch9wavefront6targetE1EEEvT1_,"axG",@progbits,_ZN7rocprim17ROCPRIM_400000_NS6detail17trampoline_kernelINS0_14default_configENS1_20scan_config_selectorIdEEZZNS1_9scan_implILNS1_25lookback_scan_determinismE0ELb1ELb1ES3_N6thrust23THRUST_200600_302600_NS6detail15normal_iteratorINS9_10device_ptrIdEEEESE_d11max_functorIdEdEEDaPvRmT3_T4_T5_mT6_P12ihipStream_tbENKUlT_T0_E_clISt17integral_constantIbLb0EESU_EEDaSP_SQ_EUlSP_E0_NS1_11comp_targetILNS1_3genE10ELNS1_11target_archE1200ELNS1_3gpuE4ELNS1_3repE0EEENS1_30default_config_static_selectorELNS0_4arch9wavefront6targetE1EEEvT1_,comdat
	.protected	_ZN7rocprim17ROCPRIM_400000_NS6detail17trampoline_kernelINS0_14default_configENS1_20scan_config_selectorIdEEZZNS1_9scan_implILNS1_25lookback_scan_determinismE0ELb1ELb1ES3_N6thrust23THRUST_200600_302600_NS6detail15normal_iteratorINS9_10device_ptrIdEEEESE_d11max_functorIdEdEEDaPvRmT3_T4_T5_mT6_P12ihipStream_tbENKUlT_T0_E_clISt17integral_constantIbLb0EESU_EEDaSP_SQ_EUlSP_E0_NS1_11comp_targetILNS1_3genE10ELNS1_11target_archE1200ELNS1_3gpuE4ELNS1_3repE0EEENS1_30default_config_static_selectorELNS0_4arch9wavefront6targetE1EEEvT1_ ; -- Begin function _ZN7rocprim17ROCPRIM_400000_NS6detail17trampoline_kernelINS0_14default_configENS1_20scan_config_selectorIdEEZZNS1_9scan_implILNS1_25lookback_scan_determinismE0ELb1ELb1ES3_N6thrust23THRUST_200600_302600_NS6detail15normal_iteratorINS9_10device_ptrIdEEEESE_d11max_functorIdEdEEDaPvRmT3_T4_T5_mT6_P12ihipStream_tbENKUlT_T0_E_clISt17integral_constantIbLb0EESU_EEDaSP_SQ_EUlSP_E0_NS1_11comp_targetILNS1_3genE10ELNS1_11target_archE1200ELNS1_3gpuE4ELNS1_3repE0EEENS1_30default_config_static_selectorELNS0_4arch9wavefront6targetE1EEEvT1_
	.globl	_ZN7rocprim17ROCPRIM_400000_NS6detail17trampoline_kernelINS0_14default_configENS1_20scan_config_selectorIdEEZZNS1_9scan_implILNS1_25lookback_scan_determinismE0ELb1ELb1ES3_N6thrust23THRUST_200600_302600_NS6detail15normal_iteratorINS9_10device_ptrIdEEEESE_d11max_functorIdEdEEDaPvRmT3_T4_T5_mT6_P12ihipStream_tbENKUlT_T0_E_clISt17integral_constantIbLb0EESU_EEDaSP_SQ_EUlSP_E0_NS1_11comp_targetILNS1_3genE10ELNS1_11target_archE1200ELNS1_3gpuE4ELNS1_3repE0EEENS1_30default_config_static_selectorELNS0_4arch9wavefront6targetE1EEEvT1_
	.p2align	8
	.type	_ZN7rocprim17ROCPRIM_400000_NS6detail17trampoline_kernelINS0_14default_configENS1_20scan_config_selectorIdEEZZNS1_9scan_implILNS1_25lookback_scan_determinismE0ELb1ELb1ES3_N6thrust23THRUST_200600_302600_NS6detail15normal_iteratorINS9_10device_ptrIdEEEESE_d11max_functorIdEdEEDaPvRmT3_T4_T5_mT6_P12ihipStream_tbENKUlT_T0_E_clISt17integral_constantIbLb0EESU_EEDaSP_SQ_EUlSP_E0_NS1_11comp_targetILNS1_3genE10ELNS1_11target_archE1200ELNS1_3gpuE4ELNS1_3repE0EEENS1_30default_config_static_selectorELNS0_4arch9wavefront6targetE1EEEvT1_,@function
_ZN7rocprim17ROCPRIM_400000_NS6detail17trampoline_kernelINS0_14default_configENS1_20scan_config_selectorIdEEZZNS1_9scan_implILNS1_25lookback_scan_determinismE0ELb1ELb1ES3_N6thrust23THRUST_200600_302600_NS6detail15normal_iteratorINS9_10device_ptrIdEEEESE_d11max_functorIdEdEEDaPvRmT3_T4_T5_mT6_P12ihipStream_tbENKUlT_T0_E_clISt17integral_constantIbLb0EESU_EEDaSP_SQ_EUlSP_E0_NS1_11comp_targetILNS1_3genE10ELNS1_11target_archE1200ELNS1_3gpuE4ELNS1_3repE0EEENS1_30default_config_static_selectorELNS0_4arch9wavefront6targetE1EEEvT1_: ; @_ZN7rocprim17ROCPRIM_400000_NS6detail17trampoline_kernelINS0_14default_configENS1_20scan_config_selectorIdEEZZNS1_9scan_implILNS1_25lookback_scan_determinismE0ELb1ELb1ES3_N6thrust23THRUST_200600_302600_NS6detail15normal_iteratorINS9_10device_ptrIdEEEESE_d11max_functorIdEdEEDaPvRmT3_T4_T5_mT6_P12ihipStream_tbENKUlT_T0_E_clISt17integral_constantIbLb0EESU_EEDaSP_SQ_EUlSP_E0_NS1_11comp_targetILNS1_3genE10ELNS1_11target_archE1200ELNS1_3gpuE4ELNS1_3repE0EEENS1_30default_config_static_selectorELNS0_4arch9wavefront6targetE1EEEvT1_
; %bb.0:
	.section	.rodata,"a",@progbits
	.p2align	6, 0x0
	.amdhsa_kernel _ZN7rocprim17ROCPRIM_400000_NS6detail17trampoline_kernelINS0_14default_configENS1_20scan_config_selectorIdEEZZNS1_9scan_implILNS1_25lookback_scan_determinismE0ELb1ELb1ES3_N6thrust23THRUST_200600_302600_NS6detail15normal_iteratorINS9_10device_ptrIdEEEESE_d11max_functorIdEdEEDaPvRmT3_T4_T5_mT6_P12ihipStream_tbENKUlT_T0_E_clISt17integral_constantIbLb0EESU_EEDaSP_SQ_EUlSP_E0_NS1_11comp_targetILNS1_3genE10ELNS1_11target_archE1200ELNS1_3gpuE4ELNS1_3repE0EEENS1_30default_config_static_selectorELNS0_4arch9wavefront6targetE1EEEvT1_
		.amdhsa_group_segment_fixed_size 0
		.amdhsa_private_segment_fixed_size 0
		.amdhsa_kernarg_size 40
		.amdhsa_user_sgpr_count 6
		.amdhsa_user_sgpr_private_segment_buffer 1
		.amdhsa_user_sgpr_dispatch_ptr 0
		.amdhsa_user_sgpr_queue_ptr 0
		.amdhsa_user_sgpr_kernarg_segment_ptr 1
		.amdhsa_user_sgpr_dispatch_id 0
		.amdhsa_user_sgpr_flat_scratch_init 0
		.amdhsa_user_sgpr_kernarg_preload_length 0
		.amdhsa_user_sgpr_kernarg_preload_offset 0
		.amdhsa_user_sgpr_private_segment_size 0
		.amdhsa_uses_dynamic_stack 0
		.amdhsa_system_sgpr_private_segment_wavefront_offset 0
		.amdhsa_system_sgpr_workgroup_id_x 1
		.amdhsa_system_sgpr_workgroup_id_y 0
		.amdhsa_system_sgpr_workgroup_id_z 0
		.amdhsa_system_sgpr_workgroup_info 0
		.amdhsa_system_vgpr_workitem_id 0
		.amdhsa_next_free_vgpr 1
		.amdhsa_next_free_sgpr 0
		.amdhsa_accum_offset 4
		.amdhsa_reserve_vcc 0
		.amdhsa_reserve_flat_scratch 0
		.amdhsa_float_round_mode_32 0
		.amdhsa_float_round_mode_16_64 0
		.amdhsa_float_denorm_mode_32 3
		.amdhsa_float_denorm_mode_16_64 3
		.amdhsa_dx10_clamp 1
		.amdhsa_ieee_mode 1
		.amdhsa_fp16_overflow 0
		.amdhsa_tg_split 0
		.amdhsa_exception_fp_ieee_invalid_op 0
		.amdhsa_exception_fp_denorm_src 0
		.amdhsa_exception_fp_ieee_div_zero 0
		.amdhsa_exception_fp_ieee_overflow 0
		.amdhsa_exception_fp_ieee_underflow 0
		.amdhsa_exception_fp_ieee_inexact 0
		.amdhsa_exception_int_div_zero 0
	.end_amdhsa_kernel
	.section	.text._ZN7rocprim17ROCPRIM_400000_NS6detail17trampoline_kernelINS0_14default_configENS1_20scan_config_selectorIdEEZZNS1_9scan_implILNS1_25lookback_scan_determinismE0ELb1ELb1ES3_N6thrust23THRUST_200600_302600_NS6detail15normal_iteratorINS9_10device_ptrIdEEEESE_d11max_functorIdEdEEDaPvRmT3_T4_T5_mT6_P12ihipStream_tbENKUlT_T0_E_clISt17integral_constantIbLb0EESU_EEDaSP_SQ_EUlSP_E0_NS1_11comp_targetILNS1_3genE10ELNS1_11target_archE1200ELNS1_3gpuE4ELNS1_3repE0EEENS1_30default_config_static_selectorELNS0_4arch9wavefront6targetE1EEEvT1_,"axG",@progbits,_ZN7rocprim17ROCPRIM_400000_NS6detail17trampoline_kernelINS0_14default_configENS1_20scan_config_selectorIdEEZZNS1_9scan_implILNS1_25lookback_scan_determinismE0ELb1ELb1ES3_N6thrust23THRUST_200600_302600_NS6detail15normal_iteratorINS9_10device_ptrIdEEEESE_d11max_functorIdEdEEDaPvRmT3_T4_T5_mT6_P12ihipStream_tbENKUlT_T0_E_clISt17integral_constantIbLb0EESU_EEDaSP_SQ_EUlSP_E0_NS1_11comp_targetILNS1_3genE10ELNS1_11target_archE1200ELNS1_3gpuE4ELNS1_3repE0EEENS1_30default_config_static_selectorELNS0_4arch9wavefront6targetE1EEEvT1_,comdat
.Lfunc_end1886:
	.size	_ZN7rocprim17ROCPRIM_400000_NS6detail17trampoline_kernelINS0_14default_configENS1_20scan_config_selectorIdEEZZNS1_9scan_implILNS1_25lookback_scan_determinismE0ELb1ELb1ES3_N6thrust23THRUST_200600_302600_NS6detail15normal_iteratorINS9_10device_ptrIdEEEESE_d11max_functorIdEdEEDaPvRmT3_T4_T5_mT6_P12ihipStream_tbENKUlT_T0_E_clISt17integral_constantIbLb0EESU_EEDaSP_SQ_EUlSP_E0_NS1_11comp_targetILNS1_3genE10ELNS1_11target_archE1200ELNS1_3gpuE4ELNS1_3repE0EEENS1_30default_config_static_selectorELNS0_4arch9wavefront6targetE1EEEvT1_, .Lfunc_end1886-_ZN7rocprim17ROCPRIM_400000_NS6detail17trampoline_kernelINS0_14default_configENS1_20scan_config_selectorIdEEZZNS1_9scan_implILNS1_25lookback_scan_determinismE0ELb1ELb1ES3_N6thrust23THRUST_200600_302600_NS6detail15normal_iteratorINS9_10device_ptrIdEEEESE_d11max_functorIdEdEEDaPvRmT3_T4_T5_mT6_P12ihipStream_tbENKUlT_T0_E_clISt17integral_constantIbLb0EESU_EEDaSP_SQ_EUlSP_E0_NS1_11comp_targetILNS1_3genE10ELNS1_11target_archE1200ELNS1_3gpuE4ELNS1_3repE0EEENS1_30default_config_static_selectorELNS0_4arch9wavefront6targetE1EEEvT1_
                                        ; -- End function
	.section	.AMDGPU.csdata,"",@progbits
; Kernel info:
; codeLenInByte = 0
; NumSgprs: 4
; NumVgprs: 0
; NumAgprs: 0
; TotalNumVgprs: 0
; ScratchSize: 0
; MemoryBound: 0
; FloatMode: 240
; IeeeMode: 1
; LDSByteSize: 0 bytes/workgroup (compile time only)
; SGPRBlocks: 0
; VGPRBlocks: 0
; NumSGPRsForWavesPerEU: 4
; NumVGPRsForWavesPerEU: 1
; AccumOffset: 4
; Occupancy: 8
; WaveLimiterHint : 0
; COMPUTE_PGM_RSRC2:SCRATCH_EN: 0
; COMPUTE_PGM_RSRC2:USER_SGPR: 6
; COMPUTE_PGM_RSRC2:TRAP_HANDLER: 0
; COMPUTE_PGM_RSRC2:TGID_X_EN: 1
; COMPUTE_PGM_RSRC2:TGID_Y_EN: 0
; COMPUTE_PGM_RSRC2:TGID_Z_EN: 0
; COMPUTE_PGM_RSRC2:TIDIG_COMP_CNT: 0
; COMPUTE_PGM_RSRC3_GFX90A:ACCUM_OFFSET: 0
; COMPUTE_PGM_RSRC3_GFX90A:TG_SPLIT: 0
	.section	.text._ZN7rocprim17ROCPRIM_400000_NS6detail17trampoline_kernelINS0_14default_configENS1_20scan_config_selectorIdEEZZNS1_9scan_implILNS1_25lookback_scan_determinismE0ELb1ELb1ES3_N6thrust23THRUST_200600_302600_NS6detail15normal_iteratorINS9_10device_ptrIdEEEESE_d11max_functorIdEdEEDaPvRmT3_T4_T5_mT6_P12ihipStream_tbENKUlT_T0_E_clISt17integral_constantIbLb0EESU_EEDaSP_SQ_EUlSP_E0_NS1_11comp_targetILNS1_3genE9ELNS1_11target_archE1100ELNS1_3gpuE3ELNS1_3repE0EEENS1_30default_config_static_selectorELNS0_4arch9wavefront6targetE1EEEvT1_,"axG",@progbits,_ZN7rocprim17ROCPRIM_400000_NS6detail17trampoline_kernelINS0_14default_configENS1_20scan_config_selectorIdEEZZNS1_9scan_implILNS1_25lookback_scan_determinismE0ELb1ELb1ES3_N6thrust23THRUST_200600_302600_NS6detail15normal_iteratorINS9_10device_ptrIdEEEESE_d11max_functorIdEdEEDaPvRmT3_T4_T5_mT6_P12ihipStream_tbENKUlT_T0_E_clISt17integral_constantIbLb0EESU_EEDaSP_SQ_EUlSP_E0_NS1_11comp_targetILNS1_3genE9ELNS1_11target_archE1100ELNS1_3gpuE3ELNS1_3repE0EEENS1_30default_config_static_selectorELNS0_4arch9wavefront6targetE1EEEvT1_,comdat
	.protected	_ZN7rocprim17ROCPRIM_400000_NS6detail17trampoline_kernelINS0_14default_configENS1_20scan_config_selectorIdEEZZNS1_9scan_implILNS1_25lookback_scan_determinismE0ELb1ELb1ES3_N6thrust23THRUST_200600_302600_NS6detail15normal_iteratorINS9_10device_ptrIdEEEESE_d11max_functorIdEdEEDaPvRmT3_T4_T5_mT6_P12ihipStream_tbENKUlT_T0_E_clISt17integral_constantIbLb0EESU_EEDaSP_SQ_EUlSP_E0_NS1_11comp_targetILNS1_3genE9ELNS1_11target_archE1100ELNS1_3gpuE3ELNS1_3repE0EEENS1_30default_config_static_selectorELNS0_4arch9wavefront6targetE1EEEvT1_ ; -- Begin function _ZN7rocprim17ROCPRIM_400000_NS6detail17trampoline_kernelINS0_14default_configENS1_20scan_config_selectorIdEEZZNS1_9scan_implILNS1_25lookback_scan_determinismE0ELb1ELb1ES3_N6thrust23THRUST_200600_302600_NS6detail15normal_iteratorINS9_10device_ptrIdEEEESE_d11max_functorIdEdEEDaPvRmT3_T4_T5_mT6_P12ihipStream_tbENKUlT_T0_E_clISt17integral_constantIbLb0EESU_EEDaSP_SQ_EUlSP_E0_NS1_11comp_targetILNS1_3genE9ELNS1_11target_archE1100ELNS1_3gpuE3ELNS1_3repE0EEENS1_30default_config_static_selectorELNS0_4arch9wavefront6targetE1EEEvT1_
	.globl	_ZN7rocprim17ROCPRIM_400000_NS6detail17trampoline_kernelINS0_14default_configENS1_20scan_config_selectorIdEEZZNS1_9scan_implILNS1_25lookback_scan_determinismE0ELb1ELb1ES3_N6thrust23THRUST_200600_302600_NS6detail15normal_iteratorINS9_10device_ptrIdEEEESE_d11max_functorIdEdEEDaPvRmT3_T4_T5_mT6_P12ihipStream_tbENKUlT_T0_E_clISt17integral_constantIbLb0EESU_EEDaSP_SQ_EUlSP_E0_NS1_11comp_targetILNS1_3genE9ELNS1_11target_archE1100ELNS1_3gpuE3ELNS1_3repE0EEENS1_30default_config_static_selectorELNS0_4arch9wavefront6targetE1EEEvT1_
	.p2align	8
	.type	_ZN7rocprim17ROCPRIM_400000_NS6detail17trampoline_kernelINS0_14default_configENS1_20scan_config_selectorIdEEZZNS1_9scan_implILNS1_25lookback_scan_determinismE0ELb1ELb1ES3_N6thrust23THRUST_200600_302600_NS6detail15normal_iteratorINS9_10device_ptrIdEEEESE_d11max_functorIdEdEEDaPvRmT3_T4_T5_mT6_P12ihipStream_tbENKUlT_T0_E_clISt17integral_constantIbLb0EESU_EEDaSP_SQ_EUlSP_E0_NS1_11comp_targetILNS1_3genE9ELNS1_11target_archE1100ELNS1_3gpuE3ELNS1_3repE0EEENS1_30default_config_static_selectorELNS0_4arch9wavefront6targetE1EEEvT1_,@function
_ZN7rocprim17ROCPRIM_400000_NS6detail17trampoline_kernelINS0_14default_configENS1_20scan_config_selectorIdEEZZNS1_9scan_implILNS1_25lookback_scan_determinismE0ELb1ELb1ES3_N6thrust23THRUST_200600_302600_NS6detail15normal_iteratorINS9_10device_ptrIdEEEESE_d11max_functorIdEdEEDaPvRmT3_T4_T5_mT6_P12ihipStream_tbENKUlT_T0_E_clISt17integral_constantIbLb0EESU_EEDaSP_SQ_EUlSP_E0_NS1_11comp_targetILNS1_3genE9ELNS1_11target_archE1100ELNS1_3gpuE3ELNS1_3repE0EEENS1_30default_config_static_selectorELNS0_4arch9wavefront6targetE1EEEvT1_: ; @_ZN7rocprim17ROCPRIM_400000_NS6detail17trampoline_kernelINS0_14default_configENS1_20scan_config_selectorIdEEZZNS1_9scan_implILNS1_25lookback_scan_determinismE0ELb1ELb1ES3_N6thrust23THRUST_200600_302600_NS6detail15normal_iteratorINS9_10device_ptrIdEEEESE_d11max_functorIdEdEEDaPvRmT3_T4_T5_mT6_P12ihipStream_tbENKUlT_T0_E_clISt17integral_constantIbLb0EESU_EEDaSP_SQ_EUlSP_E0_NS1_11comp_targetILNS1_3genE9ELNS1_11target_archE1100ELNS1_3gpuE3ELNS1_3repE0EEENS1_30default_config_static_selectorELNS0_4arch9wavefront6targetE1EEEvT1_
; %bb.0:
	.section	.rodata,"a",@progbits
	.p2align	6, 0x0
	.amdhsa_kernel _ZN7rocprim17ROCPRIM_400000_NS6detail17trampoline_kernelINS0_14default_configENS1_20scan_config_selectorIdEEZZNS1_9scan_implILNS1_25lookback_scan_determinismE0ELb1ELb1ES3_N6thrust23THRUST_200600_302600_NS6detail15normal_iteratorINS9_10device_ptrIdEEEESE_d11max_functorIdEdEEDaPvRmT3_T4_T5_mT6_P12ihipStream_tbENKUlT_T0_E_clISt17integral_constantIbLb0EESU_EEDaSP_SQ_EUlSP_E0_NS1_11comp_targetILNS1_3genE9ELNS1_11target_archE1100ELNS1_3gpuE3ELNS1_3repE0EEENS1_30default_config_static_selectorELNS0_4arch9wavefront6targetE1EEEvT1_
		.amdhsa_group_segment_fixed_size 0
		.amdhsa_private_segment_fixed_size 0
		.amdhsa_kernarg_size 40
		.amdhsa_user_sgpr_count 6
		.amdhsa_user_sgpr_private_segment_buffer 1
		.amdhsa_user_sgpr_dispatch_ptr 0
		.amdhsa_user_sgpr_queue_ptr 0
		.amdhsa_user_sgpr_kernarg_segment_ptr 1
		.amdhsa_user_sgpr_dispatch_id 0
		.amdhsa_user_sgpr_flat_scratch_init 0
		.amdhsa_user_sgpr_kernarg_preload_length 0
		.amdhsa_user_sgpr_kernarg_preload_offset 0
		.amdhsa_user_sgpr_private_segment_size 0
		.amdhsa_uses_dynamic_stack 0
		.amdhsa_system_sgpr_private_segment_wavefront_offset 0
		.amdhsa_system_sgpr_workgroup_id_x 1
		.amdhsa_system_sgpr_workgroup_id_y 0
		.amdhsa_system_sgpr_workgroup_id_z 0
		.amdhsa_system_sgpr_workgroup_info 0
		.amdhsa_system_vgpr_workitem_id 0
		.amdhsa_next_free_vgpr 1
		.amdhsa_next_free_sgpr 0
		.amdhsa_accum_offset 4
		.amdhsa_reserve_vcc 0
		.amdhsa_reserve_flat_scratch 0
		.amdhsa_float_round_mode_32 0
		.amdhsa_float_round_mode_16_64 0
		.amdhsa_float_denorm_mode_32 3
		.amdhsa_float_denorm_mode_16_64 3
		.amdhsa_dx10_clamp 1
		.amdhsa_ieee_mode 1
		.amdhsa_fp16_overflow 0
		.amdhsa_tg_split 0
		.amdhsa_exception_fp_ieee_invalid_op 0
		.amdhsa_exception_fp_denorm_src 0
		.amdhsa_exception_fp_ieee_div_zero 0
		.amdhsa_exception_fp_ieee_overflow 0
		.amdhsa_exception_fp_ieee_underflow 0
		.amdhsa_exception_fp_ieee_inexact 0
		.amdhsa_exception_int_div_zero 0
	.end_amdhsa_kernel
	.section	.text._ZN7rocprim17ROCPRIM_400000_NS6detail17trampoline_kernelINS0_14default_configENS1_20scan_config_selectorIdEEZZNS1_9scan_implILNS1_25lookback_scan_determinismE0ELb1ELb1ES3_N6thrust23THRUST_200600_302600_NS6detail15normal_iteratorINS9_10device_ptrIdEEEESE_d11max_functorIdEdEEDaPvRmT3_T4_T5_mT6_P12ihipStream_tbENKUlT_T0_E_clISt17integral_constantIbLb0EESU_EEDaSP_SQ_EUlSP_E0_NS1_11comp_targetILNS1_3genE9ELNS1_11target_archE1100ELNS1_3gpuE3ELNS1_3repE0EEENS1_30default_config_static_selectorELNS0_4arch9wavefront6targetE1EEEvT1_,"axG",@progbits,_ZN7rocprim17ROCPRIM_400000_NS6detail17trampoline_kernelINS0_14default_configENS1_20scan_config_selectorIdEEZZNS1_9scan_implILNS1_25lookback_scan_determinismE0ELb1ELb1ES3_N6thrust23THRUST_200600_302600_NS6detail15normal_iteratorINS9_10device_ptrIdEEEESE_d11max_functorIdEdEEDaPvRmT3_T4_T5_mT6_P12ihipStream_tbENKUlT_T0_E_clISt17integral_constantIbLb0EESU_EEDaSP_SQ_EUlSP_E0_NS1_11comp_targetILNS1_3genE9ELNS1_11target_archE1100ELNS1_3gpuE3ELNS1_3repE0EEENS1_30default_config_static_selectorELNS0_4arch9wavefront6targetE1EEEvT1_,comdat
.Lfunc_end1887:
	.size	_ZN7rocprim17ROCPRIM_400000_NS6detail17trampoline_kernelINS0_14default_configENS1_20scan_config_selectorIdEEZZNS1_9scan_implILNS1_25lookback_scan_determinismE0ELb1ELb1ES3_N6thrust23THRUST_200600_302600_NS6detail15normal_iteratorINS9_10device_ptrIdEEEESE_d11max_functorIdEdEEDaPvRmT3_T4_T5_mT6_P12ihipStream_tbENKUlT_T0_E_clISt17integral_constantIbLb0EESU_EEDaSP_SQ_EUlSP_E0_NS1_11comp_targetILNS1_3genE9ELNS1_11target_archE1100ELNS1_3gpuE3ELNS1_3repE0EEENS1_30default_config_static_selectorELNS0_4arch9wavefront6targetE1EEEvT1_, .Lfunc_end1887-_ZN7rocprim17ROCPRIM_400000_NS6detail17trampoline_kernelINS0_14default_configENS1_20scan_config_selectorIdEEZZNS1_9scan_implILNS1_25lookback_scan_determinismE0ELb1ELb1ES3_N6thrust23THRUST_200600_302600_NS6detail15normal_iteratorINS9_10device_ptrIdEEEESE_d11max_functorIdEdEEDaPvRmT3_T4_T5_mT6_P12ihipStream_tbENKUlT_T0_E_clISt17integral_constantIbLb0EESU_EEDaSP_SQ_EUlSP_E0_NS1_11comp_targetILNS1_3genE9ELNS1_11target_archE1100ELNS1_3gpuE3ELNS1_3repE0EEENS1_30default_config_static_selectorELNS0_4arch9wavefront6targetE1EEEvT1_
                                        ; -- End function
	.section	.AMDGPU.csdata,"",@progbits
; Kernel info:
; codeLenInByte = 0
; NumSgprs: 4
; NumVgprs: 0
; NumAgprs: 0
; TotalNumVgprs: 0
; ScratchSize: 0
; MemoryBound: 0
; FloatMode: 240
; IeeeMode: 1
; LDSByteSize: 0 bytes/workgroup (compile time only)
; SGPRBlocks: 0
; VGPRBlocks: 0
; NumSGPRsForWavesPerEU: 4
; NumVGPRsForWavesPerEU: 1
; AccumOffset: 4
; Occupancy: 8
; WaveLimiterHint : 0
; COMPUTE_PGM_RSRC2:SCRATCH_EN: 0
; COMPUTE_PGM_RSRC2:USER_SGPR: 6
; COMPUTE_PGM_RSRC2:TRAP_HANDLER: 0
; COMPUTE_PGM_RSRC2:TGID_X_EN: 1
; COMPUTE_PGM_RSRC2:TGID_Y_EN: 0
; COMPUTE_PGM_RSRC2:TGID_Z_EN: 0
; COMPUTE_PGM_RSRC2:TIDIG_COMP_CNT: 0
; COMPUTE_PGM_RSRC3_GFX90A:ACCUM_OFFSET: 0
; COMPUTE_PGM_RSRC3_GFX90A:TG_SPLIT: 0
	.section	.text._ZN7rocprim17ROCPRIM_400000_NS6detail17trampoline_kernelINS0_14default_configENS1_20scan_config_selectorIdEEZZNS1_9scan_implILNS1_25lookback_scan_determinismE0ELb1ELb1ES3_N6thrust23THRUST_200600_302600_NS6detail15normal_iteratorINS9_10device_ptrIdEEEESE_d11max_functorIdEdEEDaPvRmT3_T4_T5_mT6_P12ihipStream_tbENKUlT_T0_E_clISt17integral_constantIbLb0EESU_EEDaSP_SQ_EUlSP_E0_NS1_11comp_targetILNS1_3genE8ELNS1_11target_archE1030ELNS1_3gpuE2ELNS1_3repE0EEENS1_30default_config_static_selectorELNS0_4arch9wavefront6targetE1EEEvT1_,"axG",@progbits,_ZN7rocprim17ROCPRIM_400000_NS6detail17trampoline_kernelINS0_14default_configENS1_20scan_config_selectorIdEEZZNS1_9scan_implILNS1_25lookback_scan_determinismE0ELb1ELb1ES3_N6thrust23THRUST_200600_302600_NS6detail15normal_iteratorINS9_10device_ptrIdEEEESE_d11max_functorIdEdEEDaPvRmT3_T4_T5_mT6_P12ihipStream_tbENKUlT_T0_E_clISt17integral_constantIbLb0EESU_EEDaSP_SQ_EUlSP_E0_NS1_11comp_targetILNS1_3genE8ELNS1_11target_archE1030ELNS1_3gpuE2ELNS1_3repE0EEENS1_30default_config_static_selectorELNS0_4arch9wavefront6targetE1EEEvT1_,comdat
	.protected	_ZN7rocprim17ROCPRIM_400000_NS6detail17trampoline_kernelINS0_14default_configENS1_20scan_config_selectorIdEEZZNS1_9scan_implILNS1_25lookback_scan_determinismE0ELb1ELb1ES3_N6thrust23THRUST_200600_302600_NS6detail15normal_iteratorINS9_10device_ptrIdEEEESE_d11max_functorIdEdEEDaPvRmT3_T4_T5_mT6_P12ihipStream_tbENKUlT_T0_E_clISt17integral_constantIbLb0EESU_EEDaSP_SQ_EUlSP_E0_NS1_11comp_targetILNS1_3genE8ELNS1_11target_archE1030ELNS1_3gpuE2ELNS1_3repE0EEENS1_30default_config_static_selectorELNS0_4arch9wavefront6targetE1EEEvT1_ ; -- Begin function _ZN7rocprim17ROCPRIM_400000_NS6detail17trampoline_kernelINS0_14default_configENS1_20scan_config_selectorIdEEZZNS1_9scan_implILNS1_25lookback_scan_determinismE0ELb1ELb1ES3_N6thrust23THRUST_200600_302600_NS6detail15normal_iteratorINS9_10device_ptrIdEEEESE_d11max_functorIdEdEEDaPvRmT3_T4_T5_mT6_P12ihipStream_tbENKUlT_T0_E_clISt17integral_constantIbLb0EESU_EEDaSP_SQ_EUlSP_E0_NS1_11comp_targetILNS1_3genE8ELNS1_11target_archE1030ELNS1_3gpuE2ELNS1_3repE0EEENS1_30default_config_static_selectorELNS0_4arch9wavefront6targetE1EEEvT1_
	.globl	_ZN7rocprim17ROCPRIM_400000_NS6detail17trampoline_kernelINS0_14default_configENS1_20scan_config_selectorIdEEZZNS1_9scan_implILNS1_25lookback_scan_determinismE0ELb1ELb1ES3_N6thrust23THRUST_200600_302600_NS6detail15normal_iteratorINS9_10device_ptrIdEEEESE_d11max_functorIdEdEEDaPvRmT3_T4_T5_mT6_P12ihipStream_tbENKUlT_T0_E_clISt17integral_constantIbLb0EESU_EEDaSP_SQ_EUlSP_E0_NS1_11comp_targetILNS1_3genE8ELNS1_11target_archE1030ELNS1_3gpuE2ELNS1_3repE0EEENS1_30default_config_static_selectorELNS0_4arch9wavefront6targetE1EEEvT1_
	.p2align	8
	.type	_ZN7rocprim17ROCPRIM_400000_NS6detail17trampoline_kernelINS0_14default_configENS1_20scan_config_selectorIdEEZZNS1_9scan_implILNS1_25lookback_scan_determinismE0ELb1ELb1ES3_N6thrust23THRUST_200600_302600_NS6detail15normal_iteratorINS9_10device_ptrIdEEEESE_d11max_functorIdEdEEDaPvRmT3_T4_T5_mT6_P12ihipStream_tbENKUlT_T0_E_clISt17integral_constantIbLb0EESU_EEDaSP_SQ_EUlSP_E0_NS1_11comp_targetILNS1_3genE8ELNS1_11target_archE1030ELNS1_3gpuE2ELNS1_3repE0EEENS1_30default_config_static_selectorELNS0_4arch9wavefront6targetE1EEEvT1_,@function
_ZN7rocprim17ROCPRIM_400000_NS6detail17trampoline_kernelINS0_14default_configENS1_20scan_config_selectorIdEEZZNS1_9scan_implILNS1_25lookback_scan_determinismE0ELb1ELb1ES3_N6thrust23THRUST_200600_302600_NS6detail15normal_iteratorINS9_10device_ptrIdEEEESE_d11max_functorIdEdEEDaPvRmT3_T4_T5_mT6_P12ihipStream_tbENKUlT_T0_E_clISt17integral_constantIbLb0EESU_EEDaSP_SQ_EUlSP_E0_NS1_11comp_targetILNS1_3genE8ELNS1_11target_archE1030ELNS1_3gpuE2ELNS1_3repE0EEENS1_30default_config_static_selectorELNS0_4arch9wavefront6targetE1EEEvT1_: ; @_ZN7rocprim17ROCPRIM_400000_NS6detail17trampoline_kernelINS0_14default_configENS1_20scan_config_selectorIdEEZZNS1_9scan_implILNS1_25lookback_scan_determinismE0ELb1ELb1ES3_N6thrust23THRUST_200600_302600_NS6detail15normal_iteratorINS9_10device_ptrIdEEEESE_d11max_functorIdEdEEDaPvRmT3_T4_T5_mT6_P12ihipStream_tbENKUlT_T0_E_clISt17integral_constantIbLb0EESU_EEDaSP_SQ_EUlSP_E0_NS1_11comp_targetILNS1_3genE8ELNS1_11target_archE1030ELNS1_3gpuE2ELNS1_3repE0EEENS1_30default_config_static_selectorELNS0_4arch9wavefront6targetE1EEEvT1_
; %bb.0:
	.section	.rodata,"a",@progbits
	.p2align	6, 0x0
	.amdhsa_kernel _ZN7rocprim17ROCPRIM_400000_NS6detail17trampoline_kernelINS0_14default_configENS1_20scan_config_selectorIdEEZZNS1_9scan_implILNS1_25lookback_scan_determinismE0ELb1ELb1ES3_N6thrust23THRUST_200600_302600_NS6detail15normal_iteratorINS9_10device_ptrIdEEEESE_d11max_functorIdEdEEDaPvRmT3_T4_T5_mT6_P12ihipStream_tbENKUlT_T0_E_clISt17integral_constantIbLb0EESU_EEDaSP_SQ_EUlSP_E0_NS1_11comp_targetILNS1_3genE8ELNS1_11target_archE1030ELNS1_3gpuE2ELNS1_3repE0EEENS1_30default_config_static_selectorELNS0_4arch9wavefront6targetE1EEEvT1_
		.amdhsa_group_segment_fixed_size 0
		.amdhsa_private_segment_fixed_size 0
		.amdhsa_kernarg_size 40
		.amdhsa_user_sgpr_count 6
		.amdhsa_user_sgpr_private_segment_buffer 1
		.amdhsa_user_sgpr_dispatch_ptr 0
		.amdhsa_user_sgpr_queue_ptr 0
		.amdhsa_user_sgpr_kernarg_segment_ptr 1
		.amdhsa_user_sgpr_dispatch_id 0
		.amdhsa_user_sgpr_flat_scratch_init 0
		.amdhsa_user_sgpr_kernarg_preload_length 0
		.amdhsa_user_sgpr_kernarg_preload_offset 0
		.amdhsa_user_sgpr_private_segment_size 0
		.amdhsa_uses_dynamic_stack 0
		.amdhsa_system_sgpr_private_segment_wavefront_offset 0
		.amdhsa_system_sgpr_workgroup_id_x 1
		.amdhsa_system_sgpr_workgroup_id_y 0
		.amdhsa_system_sgpr_workgroup_id_z 0
		.amdhsa_system_sgpr_workgroup_info 0
		.amdhsa_system_vgpr_workitem_id 0
		.amdhsa_next_free_vgpr 1
		.amdhsa_next_free_sgpr 0
		.amdhsa_accum_offset 4
		.amdhsa_reserve_vcc 0
		.amdhsa_reserve_flat_scratch 0
		.amdhsa_float_round_mode_32 0
		.amdhsa_float_round_mode_16_64 0
		.amdhsa_float_denorm_mode_32 3
		.amdhsa_float_denorm_mode_16_64 3
		.amdhsa_dx10_clamp 1
		.amdhsa_ieee_mode 1
		.amdhsa_fp16_overflow 0
		.amdhsa_tg_split 0
		.amdhsa_exception_fp_ieee_invalid_op 0
		.amdhsa_exception_fp_denorm_src 0
		.amdhsa_exception_fp_ieee_div_zero 0
		.amdhsa_exception_fp_ieee_overflow 0
		.amdhsa_exception_fp_ieee_underflow 0
		.amdhsa_exception_fp_ieee_inexact 0
		.amdhsa_exception_int_div_zero 0
	.end_amdhsa_kernel
	.section	.text._ZN7rocprim17ROCPRIM_400000_NS6detail17trampoline_kernelINS0_14default_configENS1_20scan_config_selectorIdEEZZNS1_9scan_implILNS1_25lookback_scan_determinismE0ELb1ELb1ES3_N6thrust23THRUST_200600_302600_NS6detail15normal_iteratorINS9_10device_ptrIdEEEESE_d11max_functorIdEdEEDaPvRmT3_T4_T5_mT6_P12ihipStream_tbENKUlT_T0_E_clISt17integral_constantIbLb0EESU_EEDaSP_SQ_EUlSP_E0_NS1_11comp_targetILNS1_3genE8ELNS1_11target_archE1030ELNS1_3gpuE2ELNS1_3repE0EEENS1_30default_config_static_selectorELNS0_4arch9wavefront6targetE1EEEvT1_,"axG",@progbits,_ZN7rocprim17ROCPRIM_400000_NS6detail17trampoline_kernelINS0_14default_configENS1_20scan_config_selectorIdEEZZNS1_9scan_implILNS1_25lookback_scan_determinismE0ELb1ELb1ES3_N6thrust23THRUST_200600_302600_NS6detail15normal_iteratorINS9_10device_ptrIdEEEESE_d11max_functorIdEdEEDaPvRmT3_T4_T5_mT6_P12ihipStream_tbENKUlT_T0_E_clISt17integral_constantIbLb0EESU_EEDaSP_SQ_EUlSP_E0_NS1_11comp_targetILNS1_3genE8ELNS1_11target_archE1030ELNS1_3gpuE2ELNS1_3repE0EEENS1_30default_config_static_selectorELNS0_4arch9wavefront6targetE1EEEvT1_,comdat
.Lfunc_end1888:
	.size	_ZN7rocprim17ROCPRIM_400000_NS6detail17trampoline_kernelINS0_14default_configENS1_20scan_config_selectorIdEEZZNS1_9scan_implILNS1_25lookback_scan_determinismE0ELb1ELb1ES3_N6thrust23THRUST_200600_302600_NS6detail15normal_iteratorINS9_10device_ptrIdEEEESE_d11max_functorIdEdEEDaPvRmT3_T4_T5_mT6_P12ihipStream_tbENKUlT_T0_E_clISt17integral_constantIbLb0EESU_EEDaSP_SQ_EUlSP_E0_NS1_11comp_targetILNS1_3genE8ELNS1_11target_archE1030ELNS1_3gpuE2ELNS1_3repE0EEENS1_30default_config_static_selectorELNS0_4arch9wavefront6targetE1EEEvT1_, .Lfunc_end1888-_ZN7rocprim17ROCPRIM_400000_NS6detail17trampoline_kernelINS0_14default_configENS1_20scan_config_selectorIdEEZZNS1_9scan_implILNS1_25lookback_scan_determinismE0ELb1ELb1ES3_N6thrust23THRUST_200600_302600_NS6detail15normal_iteratorINS9_10device_ptrIdEEEESE_d11max_functorIdEdEEDaPvRmT3_T4_T5_mT6_P12ihipStream_tbENKUlT_T0_E_clISt17integral_constantIbLb0EESU_EEDaSP_SQ_EUlSP_E0_NS1_11comp_targetILNS1_3genE8ELNS1_11target_archE1030ELNS1_3gpuE2ELNS1_3repE0EEENS1_30default_config_static_selectorELNS0_4arch9wavefront6targetE1EEEvT1_
                                        ; -- End function
	.section	.AMDGPU.csdata,"",@progbits
; Kernel info:
; codeLenInByte = 0
; NumSgprs: 4
; NumVgprs: 0
; NumAgprs: 0
; TotalNumVgprs: 0
; ScratchSize: 0
; MemoryBound: 0
; FloatMode: 240
; IeeeMode: 1
; LDSByteSize: 0 bytes/workgroup (compile time only)
; SGPRBlocks: 0
; VGPRBlocks: 0
; NumSGPRsForWavesPerEU: 4
; NumVGPRsForWavesPerEU: 1
; AccumOffset: 4
; Occupancy: 8
; WaveLimiterHint : 0
; COMPUTE_PGM_RSRC2:SCRATCH_EN: 0
; COMPUTE_PGM_RSRC2:USER_SGPR: 6
; COMPUTE_PGM_RSRC2:TRAP_HANDLER: 0
; COMPUTE_PGM_RSRC2:TGID_X_EN: 1
; COMPUTE_PGM_RSRC2:TGID_Y_EN: 0
; COMPUTE_PGM_RSRC2:TGID_Z_EN: 0
; COMPUTE_PGM_RSRC2:TIDIG_COMP_CNT: 0
; COMPUTE_PGM_RSRC3_GFX90A:ACCUM_OFFSET: 0
; COMPUTE_PGM_RSRC3_GFX90A:TG_SPLIT: 0
	.section	.text._ZN7rocprim17ROCPRIM_400000_NS6detail17trampoline_kernelINS0_14default_configENS1_20scan_config_selectorIdEEZZNS1_9scan_implILNS1_25lookback_scan_determinismE0ELb1ELb1ES3_N6thrust23THRUST_200600_302600_NS6detail15normal_iteratorINS9_10device_ptrIdEEEESE_d11max_functorIdEdEEDaPvRmT3_T4_T5_mT6_P12ihipStream_tbENKUlT_T0_E_clISt17integral_constantIbLb1EESU_EEDaSP_SQ_EUlSP_E_NS1_11comp_targetILNS1_3genE0ELNS1_11target_archE4294967295ELNS1_3gpuE0ELNS1_3repE0EEENS1_30default_config_static_selectorELNS0_4arch9wavefront6targetE1EEEvT1_,"axG",@progbits,_ZN7rocprim17ROCPRIM_400000_NS6detail17trampoline_kernelINS0_14default_configENS1_20scan_config_selectorIdEEZZNS1_9scan_implILNS1_25lookback_scan_determinismE0ELb1ELb1ES3_N6thrust23THRUST_200600_302600_NS6detail15normal_iteratorINS9_10device_ptrIdEEEESE_d11max_functorIdEdEEDaPvRmT3_T4_T5_mT6_P12ihipStream_tbENKUlT_T0_E_clISt17integral_constantIbLb1EESU_EEDaSP_SQ_EUlSP_E_NS1_11comp_targetILNS1_3genE0ELNS1_11target_archE4294967295ELNS1_3gpuE0ELNS1_3repE0EEENS1_30default_config_static_selectorELNS0_4arch9wavefront6targetE1EEEvT1_,comdat
	.protected	_ZN7rocprim17ROCPRIM_400000_NS6detail17trampoline_kernelINS0_14default_configENS1_20scan_config_selectorIdEEZZNS1_9scan_implILNS1_25lookback_scan_determinismE0ELb1ELb1ES3_N6thrust23THRUST_200600_302600_NS6detail15normal_iteratorINS9_10device_ptrIdEEEESE_d11max_functorIdEdEEDaPvRmT3_T4_T5_mT6_P12ihipStream_tbENKUlT_T0_E_clISt17integral_constantIbLb1EESU_EEDaSP_SQ_EUlSP_E_NS1_11comp_targetILNS1_3genE0ELNS1_11target_archE4294967295ELNS1_3gpuE0ELNS1_3repE0EEENS1_30default_config_static_selectorELNS0_4arch9wavefront6targetE1EEEvT1_ ; -- Begin function _ZN7rocprim17ROCPRIM_400000_NS6detail17trampoline_kernelINS0_14default_configENS1_20scan_config_selectorIdEEZZNS1_9scan_implILNS1_25lookback_scan_determinismE0ELb1ELb1ES3_N6thrust23THRUST_200600_302600_NS6detail15normal_iteratorINS9_10device_ptrIdEEEESE_d11max_functorIdEdEEDaPvRmT3_T4_T5_mT6_P12ihipStream_tbENKUlT_T0_E_clISt17integral_constantIbLb1EESU_EEDaSP_SQ_EUlSP_E_NS1_11comp_targetILNS1_3genE0ELNS1_11target_archE4294967295ELNS1_3gpuE0ELNS1_3repE0EEENS1_30default_config_static_selectorELNS0_4arch9wavefront6targetE1EEEvT1_
	.globl	_ZN7rocprim17ROCPRIM_400000_NS6detail17trampoline_kernelINS0_14default_configENS1_20scan_config_selectorIdEEZZNS1_9scan_implILNS1_25lookback_scan_determinismE0ELb1ELb1ES3_N6thrust23THRUST_200600_302600_NS6detail15normal_iteratorINS9_10device_ptrIdEEEESE_d11max_functorIdEdEEDaPvRmT3_T4_T5_mT6_P12ihipStream_tbENKUlT_T0_E_clISt17integral_constantIbLb1EESU_EEDaSP_SQ_EUlSP_E_NS1_11comp_targetILNS1_3genE0ELNS1_11target_archE4294967295ELNS1_3gpuE0ELNS1_3repE0EEENS1_30default_config_static_selectorELNS0_4arch9wavefront6targetE1EEEvT1_
	.p2align	8
	.type	_ZN7rocprim17ROCPRIM_400000_NS6detail17trampoline_kernelINS0_14default_configENS1_20scan_config_selectorIdEEZZNS1_9scan_implILNS1_25lookback_scan_determinismE0ELb1ELb1ES3_N6thrust23THRUST_200600_302600_NS6detail15normal_iteratorINS9_10device_ptrIdEEEESE_d11max_functorIdEdEEDaPvRmT3_T4_T5_mT6_P12ihipStream_tbENKUlT_T0_E_clISt17integral_constantIbLb1EESU_EEDaSP_SQ_EUlSP_E_NS1_11comp_targetILNS1_3genE0ELNS1_11target_archE4294967295ELNS1_3gpuE0ELNS1_3repE0EEENS1_30default_config_static_selectorELNS0_4arch9wavefront6targetE1EEEvT1_,@function
_ZN7rocprim17ROCPRIM_400000_NS6detail17trampoline_kernelINS0_14default_configENS1_20scan_config_selectorIdEEZZNS1_9scan_implILNS1_25lookback_scan_determinismE0ELb1ELb1ES3_N6thrust23THRUST_200600_302600_NS6detail15normal_iteratorINS9_10device_ptrIdEEEESE_d11max_functorIdEdEEDaPvRmT3_T4_T5_mT6_P12ihipStream_tbENKUlT_T0_E_clISt17integral_constantIbLb1EESU_EEDaSP_SQ_EUlSP_E_NS1_11comp_targetILNS1_3genE0ELNS1_11target_archE4294967295ELNS1_3gpuE0ELNS1_3repE0EEENS1_30default_config_static_selectorELNS0_4arch9wavefront6targetE1EEEvT1_: ; @_ZN7rocprim17ROCPRIM_400000_NS6detail17trampoline_kernelINS0_14default_configENS1_20scan_config_selectorIdEEZZNS1_9scan_implILNS1_25lookback_scan_determinismE0ELb1ELb1ES3_N6thrust23THRUST_200600_302600_NS6detail15normal_iteratorINS9_10device_ptrIdEEEESE_d11max_functorIdEdEEDaPvRmT3_T4_T5_mT6_P12ihipStream_tbENKUlT_T0_E_clISt17integral_constantIbLb1EESU_EEDaSP_SQ_EUlSP_E_NS1_11comp_targetILNS1_3genE0ELNS1_11target_archE4294967295ELNS1_3gpuE0ELNS1_3repE0EEENS1_30default_config_static_selectorELNS0_4arch9wavefront6targetE1EEEvT1_
; %bb.0:
	.section	.rodata,"a",@progbits
	.p2align	6, 0x0
	.amdhsa_kernel _ZN7rocprim17ROCPRIM_400000_NS6detail17trampoline_kernelINS0_14default_configENS1_20scan_config_selectorIdEEZZNS1_9scan_implILNS1_25lookback_scan_determinismE0ELb1ELb1ES3_N6thrust23THRUST_200600_302600_NS6detail15normal_iteratorINS9_10device_ptrIdEEEESE_d11max_functorIdEdEEDaPvRmT3_T4_T5_mT6_P12ihipStream_tbENKUlT_T0_E_clISt17integral_constantIbLb1EESU_EEDaSP_SQ_EUlSP_E_NS1_11comp_targetILNS1_3genE0ELNS1_11target_archE4294967295ELNS1_3gpuE0ELNS1_3repE0EEENS1_30default_config_static_selectorELNS0_4arch9wavefront6targetE1EEEvT1_
		.amdhsa_group_segment_fixed_size 0
		.amdhsa_private_segment_fixed_size 0
		.amdhsa_kernarg_size 104
		.amdhsa_user_sgpr_count 6
		.amdhsa_user_sgpr_private_segment_buffer 1
		.amdhsa_user_sgpr_dispatch_ptr 0
		.amdhsa_user_sgpr_queue_ptr 0
		.amdhsa_user_sgpr_kernarg_segment_ptr 1
		.amdhsa_user_sgpr_dispatch_id 0
		.amdhsa_user_sgpr_flat_scratch_init 0
		.amdhsa_user_sgpr_kernarg_preload_length 0
		.amdhsa_user_sgpr_kernarg_preload_offset 0
		.amdhsa_user_sgpr_private_segment_size 0
		.amdhsa_uses_dynamic_stack 0
		.amdhsa_system_sgpr_private_segment_wavefront_offset 0
		.amdhsa_system_sgpr_workgroup_id_x 1
		.amdhsa_system_sgpr_workgroup_id_y 0
		.amdhsa_system_sgpr_workgroup_id_z 0
		.amdhsa_system_sgpr_workgroup_info 0
		.amdhsa_system_vgpr_workitem_id 0
		.amdhsa_next_free_vgpr 1
		.amdhsa_next_free_sgpr 0
		.amdhsa_accum_offset 4
		.amdhsa_reserve_vcc 0
		.amdhsa_reserve_flat_scratch 0
		.amdhsa_float_round_mode_32 0
		.amdhsa_float_round_mode_16_64 0
		.amdhsa_float_denorm_mode_32 3
		.amdhsa_float_denorm_mode_16_64 3
		.amdhsa_dx10_clamp 1
		.amdhsa_ieee_mode 1
		.amdhsa_fp16_overflow 0
		.amdhsa_tg_split 0
		.amdhsa_exception_fp_ieee_invalid_op 0
		.amdhsa_exception_fp_denorm_src 0
		.amdhsa_exception_fp_ieee_div_zero 0
		.amdhsa_exception_fp_ieee_overflow 0
		.amdhsa_exception_fp_ieee_underflow 0
		.amdhsa_exception_fp_ieee_inexact 0
		.amdhsa_exception_int_div_zero 0
	.end_amdhsa_kernel
	.section	.text._ZN7rocprim17ROCPRIM_400000_NS6detail17trampoline_kernelINS0_14default_configENS1_20scan_config_selectorIdEEZZNS1_9scan_implILNS1_25lookback_scan_determinismE0ELb1ELb1ES3_N6thrust23THRUST_200600_302600_NS6detail15normal_iteratorINS9_10device_ptrIdEEEESE_d11max_functorIdEdEEDaPvRmT3_T4_T5_mT6_P12ihipStream_tbENKUlT_T0_E_clISt17integral_constantIbLb1EESU_EEDaSP_SQ_EUlSP_E_NS1_11comp_targetILNS1_3genE0ELNS1_11target_archE4294967295ELNS1_3gpuE0ELNS1_3repE0EEENS1_30default_config_static_selectorELNS0_4arch9wavefront6targetE1EEEvT1_,"axG",@progbits,_ZN7rocprim17ROCPRIM_400000_NS6detail17trampoline_kernelINS0_14default_configENS1_20scan_config_selectorIdEEZZNS1_9scan_implILNS1_25lookback_scan_determinismE0ELb1ELb1ES3_N6thrust23THRUST_200600_302600_NS6detail15normal_iteratorINS9_10device_ptrIdEEEESE_d11max_functorIdEdEEDaPvRmT3_T4_T5_mT6_P12ihipStream_tbENKUlT_T0_E_clISt17integral_constantIbLb1EESU_EEDaSP_SQ_EUlSP_E_NS1_11comp_targetILNS1_3genE0ELNS1_11target_archE4294967295ELNS1_3gpuE0ELNS1_3repE0EEENS1_30default_config_static_selectorELNS0_4arch9wavefront6targetE1EEEvT1_,comdat
.Lfunc_end1889:
	.size	_ZN7rocprim17ROCPRIM_400000_NS6detail17trampoline_kernelINS0_14default_configENS1_20scan_config_selectorIdEEZZNS1_9scan_implILNS1_25lookback_scan_determinismE0ELb1ELb1ES3_N6thrust23THRUST_200600_302600_NS6detail15normal_iteratorINS9_10device_ptrIdEEEESE_d11max_functorIdEdEEDaPvRmT3_T4_T5_mT6_P12ihipStream_tbENKUlT_T0_E_clISt17integral_constantIbLb1EESU_EEDaSP_SQ_EUlSP_E_NS1_11comp_targetILNS1_3genE0ELNS1_11target_archE4294967295ELNS1_3gpuE0ELNS1_3repE0EEENS1_30default_config_static_selectorELNS0_4arch9wavefront6targetE1EEEvT1_, .Lfunc_end1889-_ZN7rocprim17ROCPRIM_400000_NS6detail17trampoline_kernelINS0_14default_configENS1_20scan_config_selectorIdEEZZNS1_9scan_implILNS1_25lookback_scan_determinismE0ELb1ELb1ES3_N6thrust23THRUST_200600_302600_NS6detail15normal_iteratorINS9_10device_ptrIdEEEESE_d11max_functorIdEdEEDaPvRmT3_T4_T5_mT6_P12ihipStream_tbENKUlT_T0_E_clISt17integral_constantIbLb1EESU_EEDaSP_SQ_EUlSP_E_NS1_11comp_targetILNS1_3genE0ELNS1_11target_archE4294967295ELNS1_3gpuE0ELNS1_3repE0EEENS1_30default_config_static_selectorELNS0_4arch9wavefront6targetE1EEEvT1_
                                        ; -- End function
	.section	.AMDGPU.csdata,"",@progbits
; Kernel info:
; codeLenInByte = 0
; NumSgprs: 4
; NumVgprs: 0
; NumAgprs: 0
; TotalNumVgprs: 0
; ScratchSize: 0
; MemoryBound: 0
; FloatMode: 240
; IeeeMode: 1
; LDSByteSize: 0 bytes/workgroup (compile time only)
; SGPRBlocks: 0
; VGPRBlocks: 0
; NumSGPRsForWavesPerEU: 4
; NumVGPRsForWavesPerEU: 1
; AccumOffset: 4
; Occupancy: 8
; WaveLimiterHint : 0
; COMPUTE_PGM_RSRC2:SCRATCH_EN: 0
; COMPUTE_PGM_RSRC2:USER_SGPR: 6
; COMPUTE_PGM_RSRC2:TRAP_HANDLER: 0
; COMPUTE_PGM_RSRC2:TGID_X_EN: 1
; COMPUTE_PGM_RSRC2:TGID_Y_EN: 0
; COMPUTE_PGM_RSRC2:TGID_Z_EN: 0
; COMPUTE_PGM_RSRC2:TIDIG_COMP_CNT: 0
; COMPUTE_PGM_RSRC3_GFX90A:ACCUM_OFFSET: 0
; COMPUTE_PGM_RSRC3_GFX90A:TG_SPLIT: 0
	.section	.text._ZN7rocprim17ROCPRIM_400000_NS6detail17trampoline_kernelINS0_14default_configENS1_20scan_config_selectorIdEEZZNS1_9scan_implILNS1_25lookback_scan_determinismE0ELb1ELb1ES3_N6thrust23THRUST_200600_302600_NS6detail15normal_iteratorINS9_10device_ptrIdEEEESE_d11max_functorIdEdEEDaPvRmT3_T4_T5_mT6_P12ihipStream_tbENKUlT_T0_E_clISt17integral_constantIbLb1EESU_EEDaSP_SQ_EUlSP_E_NS1_11comp_targetILNS1_3genE5ELNS1_11target_archE942ELNS1_3gpuE9ELNS1_3repE0EEENS1_30default_config_static_selectorELNS0_4arch9wavefront6targetE1EEEvT1_,"axG",@progbits,_ZN7rocprim17ROCPRIM_400000_NS6detail17trampoline_kernelINS0_14default_configENS1_20scan_config_selectorIdEEZZNS1_9scan_implILNS1_25lookback_scan_determinismE0ELb1ELb1ES3_N6thrust23THRUST_200600_302600_NS6detail15normal_iteratorINS9_10device_ptrIdEEEESE_d11max_functorIdEdEEDaPvRmT3_T4_T5_mT6_P12ihipStream_tbENKUlT_T0_E_clISt17integral_constantIbLb1EESU_EEDaSP_SQ_EUlSP_E_NS1_11comp_targetILNS1_3genE5ELNS1_11target_archE942ELNS1_3gpuE9ELNS1_3repE0EEENS1_30default_config_static_selectorELNS0_4arch9wavefront6targetE1EEEvT1_,comdat
	.protected	_ZN7rocprim17ROCPRIM_400000_NS6detail17trampoline_kernelINS0_14default_configENS1_20scan_config_selectorIdEEZZNS1_9scan_implILNS1_25lookback_scan_determinismE0ELb1ELb1ES3_N6thrust23THRUST_200600_302600_NS6detail15normal_iteratorINS9_10device_ptrIdEEEESE_d11max_functorIdEdEEDaPvRmT3_T4_T5_mT6_P12ihipStream_tbENKUlT_T0_E_clISt17integral_constantIbLb1EESU_EEDaSP_SQ_EUlSP_E_NS1_11comp_targetILNS1_3genE5ELNS1_11target_archE942ELNS1_3gpuE9ELNS1_3repE0EEENS1_30default_config_static_selectorELNS0_4arch9wavefront6targetE1EEEvT1_ ; -- Begin function _ZN7rocprim17ROCPRIM_400000_NS6detail17trampoline_kernelINS0_14default_configENS1_20scan_config_selectorIdEEZZNS1_9scan_implILNS1_25lookback_scan_determinismE0ELb1ELb1ES3_N6thrust23THRUST_200600_302600_NS6detail15normal_iteratorINS9_10device_ptrIdEEEESE_d11max_functorIdEdEEDaPvRmT3_T4_T5_mT6_P12ihipStream_tbENKUlT_T0_E_clISt17integral_constantIbLb1EESU_EEDaSP_SQ_EUlSP_E_NS1_11comp_targetILNS1_3genE5ELNS1_11target_archE942ELNS1_3gpuE9ELNS1_3repE0EEENS1_30default_config_static_selectorELNS0_4arch9wavefront6targetE1EEEvT1_
	.globl	_ZN7rocprim17ROCPRIM_400000_NS6detail17trampoline_kernelINS0_14default_configENS1_20scan_config_selectorIdEEZZNS1_9scan_implILNS1_25lookback_scan_determinismE0ELb1ELb1ES3_N6thrust23THRUST_200600_302600_NS6detail15normal_iteratorINS9_10device_ptrIdEEEESE_d11max_functorIdEdEEDaPvRmT3_T4_T5_mT6_P12ihipStream_tbENKUlT_T0_E_clISt17integral_constantIbLb1EESU_EEDaSP_SQ_EUlSP_E_NS1_11comp_targetILNS1_3genE5ELNS1_11target_archE942ELNS1_3gpuE9ELNS1_3repE0EEENS1_30default_config_static_selectorELNS0_4arch9wavefront6targetE1EEEvT1_
	.p2align	8
	.type	_ZN7rocprim17ROCPRIM_400000_NS6detail17trampoline_kernelINS0_14default_configENS1_20scan_config_selectorIdEEZZNS1_9scan_implILNS1_25lookback_scan_determinismE0ELb1ELb1ES3_N6thrust23THRUST_200600_302600_NS6detail15normal_iteratorINS9_10device_ptrIdEEEESE_d11max_functorIdEdEEDaPvRmT3_T4_T5_mT6_P12ihipStream_tbENKUlT_T0_E_clISt17integral_constantIbLb1EESU_EEDaSP_SQ_EUlSP_E_NS1_11comp_targetILNS1_3genE5ELNS1_11target_archE942ELNS1_3gpuE9ELNS1_3repE0EEENS1_30default_config_static_selectorELNS0_4arch9wavefront6targetE1EEEvT1_,@function
_ZN7rocprim17ROCPRIM_400000_NS6detail17trampoline_kernelINS0_14default_configENS1_20scan_config_selectorIdEEZZNS1_9scan_implILNS1_25lookback_scan_determinismE0ELb1ELb1ES3_N6thrust23THRUST_200600_302600_NS6detail15normal_iteratorINS9_10device_ptrIdEEEESE_d11max_functorIdEdEEDaPvRmT3_T4_T5_mT6_P12ihipStream_tbENKUlT_T0_E_clISt17integral_constantIbLb1EESU_EEDaSP_SQ_EUlSP_E_NS1_11comp_targetILNS1_3genE5ELNS1_11target_archE942ELNS1_3gpuE9ELNS1_3repE0EEENS1_30default_config_static_selectorELNS0_4arch9wavefront6targetE1EEEvT1_: ; @_ZN7rocprim17ROCPRIM_400000_NS6detail17trampoline_kernelINS0_14default_configENS1_20scan_config_selectorIdEEZZNS1_9scan_implILNS1_25lookback_scan_determinismE0ELb1ELb1ES3_N6thrust23THRUST_200600_302600_NS6detail15normal_iteratorINS9_10device_ptrIdEEEESE_d11max_functorIdEdEEDaPvRmT3_T4_T5_mT6_P12ihipStream_tbENKUlT_T0_E_clISt17integral_constantIbLb1EESU_EEDaSP_SQ_EUlSP_E_NS1_11comp_targetILNS1_3genE5ELNS1_11target_archE942ELNS1_3gpuE9ELNS1_3repE0EEENS1_30default_config_static_selectorELNS0_4arch9wavefront6targetE1EEEvT1_
; %bb.0:
	.section	.rodata,"a",@progbits
	.p2align	6, 0x0
	.amdhsa_kernel _ZN7rocprim17ROCPRIM_400000_NS6detail17trampoline_kernelINS0_14default_configENS1_20scan_config_selectorIdEEZZNS1_9scan_implILNS1_25lookback_scan_determinismE0ELb1ELb1ES3_N6thrust23THRUST_200600_302600_NS6detail15normal_iteratorINS9_10device_ptrIdEEEESE_d11max_functorIdEdEEDaPvRmT3_T4_T5_mT6_P12ihipStream_tbENKUlT_T0_E_clISt17integral_constantIbLb1EESU_EEDaSP_SQ_EUlSP_E_NS1_11comp_targetILNS1_3genE5ELNS1_11target_archE942ELNS1_3gpuE9ELNS1_3repE0EEENS1_30default_config_static_selectorELNS0_4arch9wavefront6targetE1EEEvT1_
		.amdhsa_group_segment_fixed_size 0
		.amdhsa_private_segment_fixed_size 0
		.amdhsa_kernarg_size 104
		.amdhsa_user_sgpr_count 6
		.amdhsa_user_sgpr_private_segment_buffer 1
		.amdhsa_user_sgpr_dispatch_ptr 0
		.amdhsa_user_sgpr_queue_ptr 0
		.amdhsa_user_sgpr_kernarg_segment_ptr 1
		.amdhsa_user_sgpr_dispatch_id 0
		.amdhsa_user_sgpr_flat_scratch_init 0
		.amdhsa_user_sgpr_kernarg_preload_length 0
		.amdhsa_user_sgpr_kernarg_preload_offset 0
		.amdhsa_user_sgpr_private_segment_size 0
		.amdhsa_uses_dynamic_stack 0
		.amdhsa_system_sgpr_private_segment_wavefront_offset 0
		.amdhsa_system_sgpr_workgroup_id_x 1
		.amdhsa_system_sgpr_workgroup_id_y 0
		.amdhsa_system_sgpr_workgroup_id_z 0
		.amdhsa_system_sgpr_workgroup_info 0
		.amdhsa_system_vgpr_workitem_id 0
		.amdhsa_next_free_vgpr 1
		.amdhsa_next_free_sgpr 0
		.amdhsa_accum_offset 4
		.amdhsa_reserve_vcc 0
		.amdhsa_reserve_flat_scratch 0
		.amdhsa_float_round_mode_32 0
		.amdhsa_float_round_mode_16_64 0
		.amdhsa_float_denorm_mode_32 3
		.amdhsa_float_denorm_mode_16_64 3
		.amdhsa_dx10_clamp 1
		.amdhsa_ieee_mode 1
		.amdhsa_fp16_overflow 0
		.amdhsa_tg_split 0
		.amdhsa_exception_fp_ieee_invalid_op 0
		.amdhsa_exception_fp_denorm_src 0
		.amdhsa_exception_fp_ieee_div_zero 0
		.amdhsa_exception_fp_ieee_overflow 0
		.amdhsa_exception_fp_ieee_underflow 0
		.amdhsa_exception_fp_ieee_inexact 0
		.amdhsa_exception_int_div_zero 0
	.end_amdhsa_kernel
	.section	.text._ZN7rocprim17ROCPRIM_400000_NS6detail17trampoline_kernelINS0_14default_configENS1_20scan_config_selectorIdEEZZNS1_9scan_implILNS1_25lookback_scan_determinismE0ELb1ELb1ES3_N6thrust23THRUST_200600_302600_NS6detail15normal_iteratorINS9_10device_ptrIdEEEESE_d11max_functorIdEdEEDaPvRmT3_T4_T5_mT6_P12ihipStream_tbENKUlT_T0_E_clISt17integral_constantIbLb1EESU_EEDaSP_SQ_EUlSP_E_NS1_11comp_targetILNS1_3genE5ELNS1_11target_archE942ELNS1_3gpuE9ELNS1_3repE0EEENS1_30default_config_static_selectorELNS0_4arch9wavefront6targetE1EEEvT1_,"axG",@progbits,_ZN7rocprim17ROCPRIM_400000_NS6detail17trampoline_kernelINS0_14default_configENS1_20scan_config_selectorIdEEZZNS1_9scan_implILNS1_25lookback_scan_determinismE0ELb1ELb1ES3_N6thrust23THRUST_200600_302600_NS6detail15normal_iteratorINS9_10device_ptrIdEEEESE_d11max_functorIdEdEEDaPvRmT3_T4_T5_mT6_P12ihipStream_tbENKUlT_T0_E_clISt17integral_constantIbLb1EESU_EEDaSP_SQ_EUlSP_E_NS1_11comp_targetILNS1_3genE5ELNS1_11target_archE942ELNS1_3gpuE9ELNS1_3repE0EEENS1_30default_config_static_selectorELNS0_4arch9wavefront6targetE1EEEvT1_,comdat
.Lfunc_end1890:
	.size	_ZN7rocprim17ROCPRIM_400000_NS6detail17trampoline_kernelINS0_14default_configENS1_20scan_config_selectorIdEEZZNS1_9scan_implILNS1_25lookback_scan_determinismE0ELb1ELb1ES3_N6thrust23THRUST_200600_302600_NS6detail15normal_iteratorINS9_10device_ptrIdEEEESE_d11max_functorIdEdEEDaPvRmT3_T4_T5_mT6_P12ihipStream_tbENKUlT_T0_E_clISt17integral_constantIbLb1EESU_EEDaSP_SQ_EUlSP_E_NS1_11comp_targetILNS1_3genE5ELNS1_11target_archE942ELNS1_3gpuE9ELNS1_3repE0EEENS1_30default_config_static_selectorELNS0_4arch9wavefront6targetE1EEEvT1_, .Lfunc_end1890-_ZN7rocprim17ROCPRIM_400000_NS6detail17trampoline_kernelINS0_14default_configENS1_20scan_config_selectorIdEEZZNS1_9scan_implILNS1_25lookback_scan_determinismE0ELb1ELb1ES3_N6thrust23THRUST_200600_302600_NS6detail15normal_iteratorINS9_10device_ptrIdEEEESE_d11max_functorIdEdEEDaPvRmT3_T4_T5_mT6_P12ihipStream_tbENKUlT_T0_E_clISt17integral_constantIbLb1EESU_EEDaSP_SQ_EUlSP_E_NS1_11comp_targetILNS1_3genE5ELNS1_11target_archE942ELNS1_3gpuE9ELNS1_3repE0EEENS1_30default_config_static_selectorELNS0_4arch9wavefront6targetE1EEEvT1_
                                        ; -- End function
	.section	.AMDGPU.csdata,"",@progbits
; Kernel info:
; codeLenInByte = 0
; NumSgprs: 4
; NumVgprs: 0
; NumAgprs: 0
; TotalNumVgprs: 0
; ScratchSize: 0
; MemoryBound: 0
; FloatMode: 240
; IeeeMode: 1
; LDSByteSize: 0 bytes/workgroup (compile time only)
; SGPRBlocks: 0
; VGPRBlocks: 0
; NumSGPRsForWavesPerEU: 4
; NumVGPRsForWavesPerEU: 1
; AccumOffset: 4
; Occupancy: 8
; WaveLimiterHint : 0
; COMPUTE_PGM_RSRC2:SCRATCH_EN: 0
; COMPUTE_PGM_RSRC2:USER_SGPR: 6
; COMPUTE_PGM_RSRC2:TRAP_HANDLER: 0
; COMPUTE_PGM_RSRC2:TGID_X_EN: 1
; COMPUTE_PGM_RSRC2:TGID_Y_EN: 0
; COMPUTE_PGM_RSRC2:TGID_Z_EN: 0
; COMPUTE_PGM_RSRC2:TIDIG_COMP_CNT: 0
; COMPUTE_PGM_RSRC3_GFX90A:ACCUM_OFFSET: 0
; COMPUTE_PGM_RSRC3_GFX90A:TG_SPLIT: 0
	.section	.text._ZN7rocprim17ROCPRIM_400000_NS6detail17trampoline_kernelINS0_14default_configENS1_20scan_config_selectorIdEEZZNS1_9scan_implILNS1_25lookback_scan_determinismE0ELb1ELb1ES3_N6thrust23THRUST_200600_302600_NS6detail15normal_iteratorINS9_10device_ptrIdEEEESE_d11max_functorIdEdEEDaPvRmT3_T4_T5_mT6_P12ihipStream_tbENKUlT_T0_E_clISt17integral_constantIbLb1EESU_EEDaSP_SQ_EUlSP_E_NS1_11comp_targetILNS1_3genE4ELNS1_11target_archE910ELNS1_3gpuE8ELNS1_3repE0EEENS1_30default_config_static_selectorELNS0_4arch9wavefront6targetE1EEEvT1_,"axG",@progbits,_ZN7rocprim17ROCPRIM_400000_NS6detail17trampoline_kernelINS0_14default_configENS1_20scan_config_selectorIdEEZZNS1_9scan_implILNS1_25lookback_scan_determinismE0ELb1ELb1ES3_N6thrust23THRUST_200600_302600_NS6detail15normal_iteratorINS9_10device_ptrIdEEEESE_d11max_functorIdEdEEDaPvRmT3_T4_T5_mT6_P12ihipStream_tbENKUlT_T0_E_clISt17integral_constantIbLb1EESU_EEDaSP_SQ_EUlSP_E_NS1_11comp_targetILNS1_3genE4ELNS1_11target_archE910ELNS1_3gpuE8ELNS1_3repE0EEENS1_30default_config_static_selectorELNS0_4arch9wavefront6targetE1EEEvT1_,comdat
	.protected	_ZN7rocprim17ROCPRIM_400000_NS6detail17trampoline_kernelINS0_14default_configENS1_20scan_config_selectorIdEEZZNS1_9scan_implILNS1_25lookback_scan_determinismE0ELb1ELb1ES3_N6thrust23THRUST_200600_302600_NS6detail15normal_iteratorINS9_10device_ptrIdEEEESE_d11max_functorIdEdEEDaPvRmT3_T4_T5_mT6_P12ihipStream_tbENKUlT_T0_E_clISt17integral_constantIbLb1EESU_EEDaSP_SQ_EUlSP_E_NS1_11comp_targetILNS1_3genE4ELNS1_11target_archE910ELNS1_3gpuE8ELNS1_3repE0EEENS1_30default_config_static_selectorELNS0_4arch9wavefront6targetE1EEEvT1_ ; -- Begin function _ZN7rocprim17ROCPRIM_400000_NS6detail17trampoline_kernelINS0_14default_configENS1_20scan_config_selectorIdEEZZNS1_9scan_implILNS1_25lookback_scan_determinismE0ELb1ELb1ES3_N6thrust23THRUST_200600_302600_NS6detail15normal_iteratorINS9_10device_ptrIdEEEESE_d11max_functorIdEdEEDaPvRmT3_T4_T5_mT6_P12ihipStream_tbENKUlT_T0_E_clISt17integral_constantIbLb1EESU_EEDaSP_SQ_EUlSP_E_NS1_11comp_targetILNS1_3genE4ELNS1_11target_archE910ELNS1_3gpuE8ELNS1_3repE0EEENS1_30default_config_static_selectorELNS0_4arch9wavefront6targetE1EEEvT1_
	.globl	_ZN7rocprim17ROCPRIM_400000_NS6detail17trampoline_kernelINS0_14default_configENS1_20scan_config_selectorIdEEZZNS1_9scan_implILNS1_25lookback_scan_determinismE0ELb1ELb1ES3_N6thrust23THRUST_200600_302600_NS6detail15normal_iteratorINS9_10device_ptrIdEEEESE_d11max_functorIdEdEEDaPvRmT3_T4_T5_mT6_P12ihipStream_tbENKUlT_T0_E_clISt17integral_constantIbLb1EESU_EEDaSP_SQ_EUlSP_E_NS1_11comp_targetILNS1_3genE4ELNS1_11target_archE910ELNS1_3gpuE8ELNS1_3repE0EEENS1_30default_config_static_selectorELNS0_4arch9wavefront6targetE1EEEvT1_
	.p2align	8
	.type	_ZN7rocprim17ROCPRIM_400000_NS6detail17trampoline_kernelINS0_14default_configENS1_20scan_config_selectorIdEEZZNS1_9scan_implILNS1_25lookback_scan_determinismE0ELb1ELb1ES3_N6thrust23THRUST_200600_302600_NS6detail15normal_iteratorINS9_10device_ptrIdEEEESE_d11max_functorIdEdEEDaPvRmT3_T4_T5_mT6_P12ihipStream_tbENKUlT_T0_E_clISt17integral_constantIbLb1EESU_EEDaSP_SQ_EUlSP_E_NS1_11comp_targetILNS1_3genE4ELNS1_11target_archE910ELNS1_3gpuE8ELNS1_3repE0EEENS1_30default_config_static_selectorELNS0_4arch9wavefront6targetE1EEEvT1_,@function
_ZN7rocprim17ROCPRIM_400000_NS6detail17trampoline_kernelINS0_14default_configENS1_20scan_config_selectorIdEEZZNS1_9scan_implILNS1_25lookback_scan_determinismE0ELb1ELb1ES3_N6thrust23THRUST_200600_302600_NS6detail15normal_iteratorINS9_10device_ptrIdEEEESE_d11max_functorIdEdEEDaPvRmT3_T4_T5_mT6_P12ihipStream_tbENKUlT_T0_E_clISt17integral_constantIbLb1EESU_EEDaSP_SQ_EUlSP_E_NS1_11comp_targetILNS1_3genE4ELNS1_11target_archE910ELNS1_3gpuE8ELNS1_3repE0EEENS1_30default_config_static_selectorELNS0_4arch9wavefront6targetE1EEEvT1_: ; @_ZN7rocprim17ROCPRIM_400000_NS6detail17trampoline_kernelINS0_14default_configENS1_20scan_config_selectorIdEEZZNS1_9scan_implILNS1_25lookback_scan_determinismE0ELb1ELb1ES3_N6thrust23THRUST_200600_302600_NS6detail15normal_iteratorINS9_10device_ptrIdEEEESE_d11max_functorIdEdEEDaPvRmT3_T4_T5_mT6_P12ihipStream_tbENKUlT_T0_E_clISt17integral_constantIbLb1EESU_EEDaSP_SQ_EUlSP_E_NS1_11comp_targetILNS1_3genE4ELNS1_11target_archE910ELNS1_3gpuE8ELNS1_3repE0EEENS1_30default_config_static_selectorELNS0_4arch9wavefront6targetE1EEEvT1_
; %bb.0:
	s_load_dwordx8 s[16:23], s[4:5], 0x0
	s_load_dwordx2 s[24:25], s[4:5], 0x20
	s_load_dwordx2 s[6:7], s[4:5], 0x30
	v_cmp_eq_u32_e64 s[0:1], 0, v0
	s_and_saveexec_b64 s[2:3], s[0:1]
	s_cbranch_execz .LBB1891_4
; %bb.1:
	s_mov_b64 s[10:11], exec
	v_mbcnt_lo_u32_b32 v1, s10, 0
	v_mbcnt_hi_u32_b32 v1, s11, v1
	v_cmp_eq_u32_e32 vcc, 0, v1
                                        ; implicit-def: $vgpr2
	s_and_saveexec_b64 s[8:9], vcc
	s_cbranch_execz .LBB1891_3
; %bb.2:
	s_load_dwordx2 s[12:13], s[4:5], 0x60
	s_bcnt1_i32_b64 s10, s[10:11]
	v_mov_b32_e32 v2, 0
	v_mov_b32_e32 v3, s10
	s_waitcnt lgkmcnt(0)
	global_atomic_add v2, v2, v3, s[12:13] glc
.LBB1891_3:
	s_or_b64 exec, exec, s[8:9]
	s_waitcnt vmcnt(0)
	v_readfirstlane_b32 s8, v2
	v_add_u32_e32 v1, s8, v1
	v_mov_b32_e32 v2, 0
	ds_write_b32 v2, v1
.LBB1891_4:
	s_or_b64 exec, exec, s[2:3]
	s_load_dword s2, s[4:5], 0x38
	s_load_dwordx8 s[8:15], s[4:5], 0x40
	v_mov_b32_e32 v1, 0
	s_waitcnt lgkmcnt(0)
	s_barrier
	ds_read_b32 v1, v1
	s_lshl_b64 s[18:19], s[18:19], 3
	s_add_u32 s33, s16, s18
	s_addc_u32 s34, s17, s19
	s_add_i32 s2, s2, -1
	s_mul_i32 s3, s2, 0x500
	s_sub_u32 s30, s22, s3
	s_waitcnt lgkmcnt(0)
	v_readfirstlane_b32 s35, v1
	s_subb_u32 s31, s23, 0
	s_mul_i32 s4, s35, 0x500
	s_mov_b32 s5, 0
	s_cmp_lg_u32 s35, s2
	s_cselect_b64 s[16:17], -1, 0
	s_lshl_b64 s[22:23], s[4:5], 3
	s_add_u32 s4, s33, s22
	s_addc_u32 s5, s34, s23
	s_mov_b64 s[2:3], -1
	s_and_b64 vcc, exec, s[16:17]
	v_lshlrev_b32_e32 v44, 3, v0
	s_barrier
	s_cbranch_vccz .LBB1891_6
; %bb.5:
	v_mov_b32_e32 v1, s5
	v_add_co_u32_e32 v2, vcc, s4, v44
	v_addc_co_u32_e32 v3, vcc, 0, v1, vcc
	v_add_co_u32_e32 v12, vcc, 0x1000, v2
	v_addc_co_u32_e32 v13, vcc, 0, v3, vcc
	flat_load_dwordx2 v[4:5], v[2:3]
	flat_load_dwordx2 v[6:7], v[2:3] offset:1024
	flat_load_dwordx2 v[8:9], v[2:3] offset:2048
	;; [unrolled: 1-line block ×3, first 2 shown]
	v_add_co_u32_e32 v2, vcc, 0x2000, v2
	v_addc_co_u32_e32 v3, vcc, 0, v3, vcc
	flat_load_dwordx2 v[14:15], v[12:13]
	flat_load_dwordx2 v[16:17], v[12:13] offset:1024
	flat_load_dwordx2 v[18:19], v[12:13] offset:2048
	;; [unrolled: 1-line block ×3, first 2 shown]
	s_nop 0
	flat_load_dwordx2 v[12:13], v[2:3]
	flat_load_dwordx2 v[22:23], v[2:3] offset:1024
	s_mov_b64 s[2:3], 0
	s_waitcnt vmcnt(0) lgkmcnt(0)
	ds_write2st64_b64 v44, v[4:5], v[6:7] offset1:2
	ds_write2st64_b64 v44, v[8:9], v[10:11] offset0:4 offset1:6
	ds_write2st64_b64 v44, v[14:15], v[16:17] offset0:8 offset1:10
	;; [unrolled: 1-line block ×4, first 2 shown]
	s_waitcnt lgkmcnt(0)
	s_barrier
.LBB1891_6:
	s_andn2_b64 vcc, exec, s[2:3]
	v_cmp_gt_u32_e64 s[2:3], s30, v0
	s_cbranch_vccnz .LBB1891_28
; %bb.7:
	v_pk_mov_b32 v[2:3], s[4:5], s[4:5] op_sel:[0,1]
	flat_load_dwordx2 v[2:3], v[2:3]
	s_waitcnt vmcnt(0) lgkmcnt(0)
	v_mov_b32_e32 v4, v2
	v_mov_b32_e32 v5, v3
	;; [unrolled: 1-line block ×16, first 2 shown]
	v_pk_mov_b32 v[34:35], v[30:31], v[30:31] op_sel:[0,1]
	v_pk_mov_b32 v[32:33], v[28:29], v[28:29] op_sel:[0,1]
	;; [unrolled: 1-line block ×16, first 2 shown]
	s_and_saveexec_b64 s[26:27], s[2:3]
	s_cbranch_execz .LBB1891_9
; %bb.8:
	v_mov_b32_e32 v1, s5
	v_add_co_u32_e32 v4, vcc, s4, v44
	v_addc_co_u32_e32 v5, vcc, 0, v1, vcc
	flat_load_dwordx2 v[36:37], v[4:5]
	v_mov_b32_e32 v4, v2
	v_mov_b32_e32 v5, v3
	;; [unrolled: 1-line block ×16, first 2 shown]
	v_pk_mov_b32 v[34:35], v[30:31], v[30:31] op_sel:[0,1]
	v_pk_mov_b32 v[32:33], v[28:29], v[28:29] op_sel:[0,1]
	;; [unrolled: 1-line block ×16, first 2 shown]
	s_waitcnt vmcnt(0) lgkmcnt(0)
	v_pk_mov_b32 v[2:3], v[36:37], v[36:37] op_sel:[0,1]
.LBB1891_9:
	s_or_b64 exec, exec, s[26:27]
	v_or_b32_e32 v1, 0x80, v0
	v_cmp_gt_u32_e32 vcc, s30, v1
	s_and_saveexec_b64 s[2:3], vcc
	s_cbranch_execz .LBB1891_11
; %bb.10:
	v_mov_b32_e32 v1, s5
	v_add_co_u32_e32 v4, vcc, s4, v44
	v_addc_co_u32_e32 v5, vcc, 0, v1, vcc
	flat_load_dwordx2 v[6:7], v[4:5] offset:1024
.LBB1891_11:
	s_or_b64 exec, exec, s[2:3]
	v_or_b32_e32 v1, 0x100, v0
	v_cmp_gt_u32_e32 vcc, s30, v1
	s_and_saveexec_b64 s[2:3], vcc
	s_cbranch_execz .LBB1891_13
; %bb.12:
	v_mov_b32_e32 v1, s5
	v_add_co_u32_e32 v4, vcc, s4, v44
	v_addc_co_u32_e32 v5, vcc, 0, v1, vcc
	flat_load_dwordx2 v[8:9], v[4:5] offset:2048
.LBB1891_13:
	;; [unrolled: 11-line block ×3, first 2 shown]
	s_or_b64 exec, exec, s[2:3]
	v_or_b32_e32 v1, 0x200, v0
	v_cmp_gt_u32_e32 vcc, s30, v1
	s_and_saveexec_b64 s[2:3], vcc
	s_cbranch_execz .LBB1891_17
; %bb.16:
	v_lshlrev_b32_e32 v1, 3, v1
	v_mov_b32_e32 v5, s5
	v_add_co_u32_e32 v4, vcc, s4, v1
	v_addc_co_u32_e32 v5, vcc, 0, v5, vcc
	flat_load_dwordx2 v[12:13], v[4:5]
.LBB1891_17:
	s_or_b64 exec, exec, s[2:3]
	v_or_b32_e32 v1, 0x280, v0
	v_cmp_gt_u32_e32 vcc, s30, v1
	s_and_saveexec_b64 s[2:3], vcc
	s_cbranch_execz .LBB1891_19
; %bb.18:
	v_lshlrev_b32_e32 v1, 3, v1
	v_mov_b32_e32 v5, s5
	v_add_co_u32_e32 v4, vcc, s4, v1
	v_addc_co_u32_e32 v5, vcc, 0, v5, vcc
	flat_load_dwordx2 v[14:15], v[4:5]
.LBB1891_19:
	;; [unrolled: 12-line block ×6, first 2 shown]
	s_or_b64 exec, exec, s[2:3]
	s_waitcnt vmcnt(0) lgkmcnt(0)
	ds_write2st64_b64 v44, v[2:3], v[6:7] offset1:2
	ds_write2st64_b64 v44, v[8:9], v[10:11] offset0:4 offset1:6
	ds_write2st64_b64 v44, v[12:13], v[14:15] offset0:8 offset1:10
	;; [unrolled: 1-line block ×4, first 2 shown]
	s_waitcnt lgkmcnt(0)
	s_barrier
.LBB1891_28:
	v_mul_u32_u24_e32 v45, 10, v0
	v_lshlrev_b32_e32 v46, 3, v45
	ds_read_b128 v[14:17], v46
	ds_read_b128 v[10:13], v46 offset:16
	ds_read_b128 v[6:9], v46 offset:32
	;; [unrolled: 1-line block ×4, first 2 shown]
	s_cmp_lg_u32 s35, 0
	s_waitcnt lgkmcnt(4)
	v_cmp_lt_f64_e32 vcc, v[14:15], v[16:17]
	v_mbcnt_lo_u32_b32 v1, -1, 0
	s_waitcnt lgkmcnt(0)
	s_barrier
	s_cbranch_scc0 .LBB1891_89
; %bb.29:
	v_cndmask_b32_e32 v23, v15, v17, vcc
	v_cndmask_b32_e32 v22, v14, v16, vcc
	v_cmp_lt_f64_e32 vcc, v[22:23], v[10:11]
	v_cndmask_b32_e32 v23, v23, v11, vcc
	v_cndmask_b32_e32 v22, v22, v10, vcc
	v_cmp_lt_f64_e32 vcc, v[22:23], v[12:13]
	v_cndmask_b32_e32 v23, v23, v13, vcc
	v_cndmask_b32_e32 v22, v22, v12, vcc
	v_cmp_lt_f64_e32 vcc, v[22:23], v[6:7]
	v_cndmask_b32_e32 v23, v23, v7, vcc
	v_cndmask_b32_e32 v22, v22, v6, vcc
	v_cmp_lt_f64_e32 vcc, v[22:23], v[8:9]
	v_cndmask_b32_e32 v23, v23, v9, vcc
	v_cndmask_b32_e32 v22, v22, v8, vcc
	v_cmp_lt_f64_e32 vcc, v[22:23], v[2:3]
	v_cndmask_b32_e32 v23, v23, v3, vcc
	v_cndmask_b32_e32 v22, v22, v2, vcc
	v_cmp_lt_f64_e32 vcc, v[22:23], v[4:5]
	v_cndmask_b32_e32 v23, v23, v5, vcc
	v_cndmask_b32_e32 v22, v22, v4, vcc
	v_cmp_lt_f64_e32 vcc, v[22:23], v[18:19]
	v_cndmask_b32_e32 v23, v23, v19, vcc
	v_cndmask_b32_e32 v22, v22, v18, vcc
	v_cmp_lt_f64_e32 vcc, v[22:23], v[20:21]
	v_mbcnt_hi_u32_b32 v33, -1, v1
	v_cndmask_b32_e32 v23, v23, v21, vcc
	v_cndmask_b32_e32 v22, v22, v20, vcc
	v_and_b32_e32 v26, 15, v33
	v_mov_b32_dpp v25, v23 row_shr:1 row_mask:0xf bank_mask:0xf
	v_mov_b32_dpp v24, v22 row_shr:1 row_mask:0xf bank_mask:0xf
	v_cmp_ne_u32_e32 vcc, 0, v26
	s_and_saveexec_b64 s[2:3], vcc
; %bb.30:
	v_cmp_gt_f64_e32 vcc, v[22:23], v[24:25]
	v_cndmask_b32_e32 v23, v25, v23, vcc
	v_cndmask_b32_e32 v22, v24, v22, vcc
; %bb.31:
	s_or_b64 exec, exec, s[2:3]
	s_nop 0
	v_mov_b32_dpp v24, v22 row_shr:2 row_mask:0xf bank_mask:0xf
	v_mov_b32_dpp v25, v23 row_shr:2 row_mask:0xf bank_mask:0xf
	v_cmp_lt_u32_e32 vcc, 1, v26
	s_and_saveexec_b64 s[2:3], vcc
; %bb.32:
	v_cmp_gt_f64_e32 vcc, v[22:23], v[24:25]
	v_cndmask_b32_e32 v23, v25, v23, vcc
	v_cndmask_b32_e32 v22, v24, v22, vcc
; %bb.33:
	s_or_b64 exec, exec, s[2:3]
	s_nop 0
	v_mov_b32_dpp v24, v22 row_shr:4 row_mask:0xf bank_mask:0xf
	v_mov_b32_dpp v25, v23 row_shr:4 row_mask:0xf bank_mask:0xf
	v_cmp_lt_u32_e32 vcc, 3, v26
	;; [unrolled: 11-line block ×3, first 2 shown]
	s_and_saveexec_b64 s[2:3], vcc
; %bb.36:
	v_cmp_gt_f64_e32 vcc, v[22:23], v[24:25]
	v_cndmask_b32_e32 v23, v25, v23, vcc
	v_cndmask_b32_e32 v22, v24, v22, vcc
; %bb.37:
	s_or_b64 exec, exec, s[2:3]
	v_and_b32_e32 v26, 16, v33
	v_mov_b32_dpp v24, v22 row_bcast:15 row_mask:0xf bank_mask:0xf
	v_mov_b32_dpp v25, v23 row_bcast:15 row_mask:0xf bank_mask:0xf
	v_cmp_ne_u32_e32 vcc, 0, v26
	s_and_saveexec_b64 s[2:3], vcc
; %bb.38:
	v_cmp_gt_f64_e32 vcc, v[22:23], v[24:25]
	v_cndmask_b32_e32 v23, v25, v23, vcc
	v_cndmask_b32_e32 v22, v24, v22, vcc
; %bb.39:
	s_or_b64 exec, exec, s[2:3]
	s_nop 0
	v_mov_b32_dpp v24, v22 row_bcast:31 row_mask:0xf bank_mask:0xf
	v_mov_b32_dpp v25, v23 row_bcast:31 row_mask:0xf bank_mask:0xf
	v_cmp_gt_f64_e32 vcc, v[22:23], v[24:25]
	v_cndmask_b32_e32 v24, v24, v22, vcc
	v_cndmask_b32_e32 v25, v25, v23, vcc
	v_cmp_lt_u32_e32 vcc, 31, v33
	v_cndmask_b32_e32 v23, v23, v25, vcc
	v_or_b32_e32 v25, 63, v0
	v_cndmask_b32_e32 v22, v22, v24, vcc
	v_lshrrev_b32_e32 v24, 6, v0
	v_cmp_eq_u32_e32 vcc, v25, v0
	s_and_saveexec_b64 s[2:3], vcc
	s_cbranch_execz .LBB1891_41
; %bb.40:
	v_lshlrev_b32_e32 v25, 3, v24
	ds_write_b64 v25, v[22:23]
.LBB1891_41:
	s_or_b64 exec, exec, s[2:3]
	v_cmp_gt_u32_e32 vcc, 2, v0
	s_waitcnt lgkmcnt(0)
	s_barrier
	s_and_saveexec_b64 s[4:5], vcc
	s_cbranch_execz .LBB1891_43
; %bb.42:
	ds_read_b64 v[26:27], v44
	v_and_b32_e32 v25, 1, v33
	v_cmp_eq_u32_e32 vcc, 0, v25
	s_waitcnt lgkmcnt(0)
	v_mov_b32_dpp v30, v27 row_shr:1 row_mask:0xf bank_mask:0xf
	v_mov_b32_dpp v28, v26 row_shr:1 row_mask:0xf bank_mask:0xf
	v_mov_b32_e32 v29, v30
	v_cmp_gt_f64_e64 s[2:3], v[26:27], v[28:29]
	s_or_b64 vcc, vcc, s[2:3]
	v_cndmask_b32_e32 v27, v30, v27, vcc
	v_cndmask_b32_e32 v26, v28, v26, vcc
	ds_write_b64 v44, v[26:27]
.LBB1891_43:
	s_or_b64 exec, exec, s[4:5]
	v_cmp_gt_u32_e32 vcc, 64, v0
	v_cmp_lt_u32_e64 s[2:3], 63, v0
	s_waitcnt lgkmcnt(0)
	s_barrier
	s_waitcnt lgkmcnt(0)
                                        ; implicit-def: $vgpr30_vgpr31
	s_and_saveexec_b64 s[4:5], s[2:3]
	s_cbranch_execz .LBB1891_45
; %bb.44:
	v_lshl_add_u32 v24, v24, 3, -8
	ds_read_b64 v[30:31], v24
	s_waitcnt lgkmcnt(0)
	v_cmp_lt_f64_e64 s[2:3], v[30:31], v[22:23]
	v_cndmask_b32_e64 v23, v31, v23, s[2:3]
	v_cndmask_b32_e64 v22, v30, v22, s[2:3]
.LBB1891_45:
	s_or_b64 exec, exec, s[4:5]
	v_add_u32_e32 v24, -1, v33
	v_and_b32_e32 v25, 64, v33
	v_cmp_lt_i32_e64 s[2:3], v24, v25
	v_cndmask_b32_e64 v24, v24, v33, s[2:3]
	v_lshlrev_b32_e32 v24, 2, v24
	ds_bpermute_b32 v38, v24, v22
	ds_bpermute_b32 v39, v24, v23
	v_cmp_eq_u32_e64 s[2:3], 0, v33
	s_and_saveexec_b64 s[26:27], vcc
	s_cbranch_execz .LBB1891_88
; %bb.46:
	v_mov_b32_e32 v25, 0
	ds_read_b64 v[22:23], v25 offset:8
	s_and_saveexec_b64 s[4:5], s[2:3]
	s_cbranch_execz .LBB1891_48
; %bb.47:
	s_add_i32 s28, s35, 64
	s_mov_b32 s29, 0
	s_lshl_b64 s[28:29], s[28:29], 4
	s_add_u32 s28, s6, s28
	s_addc_u32 s29, s7, s29
	v_mov_b32_e32 v24, 1
	v_pk_mov_b32 v[26:27], s[28:29], s[28:29] op_sel:[0,1]
	s_waitcnt lgkmcnt(0)
	;;#ASMSTART
	global_store_dwordx4 v[26:27], v[22:25] off	
s_waitcnt vmcnt(0)
	;;#ASMEND
.LBB1891_48:
	s_or_b64 exec, exec, s[4:5]
	v_xad_u32 v32, v33, -1, s35
	v_add_u32_e32 v24, 64, v32
	v_lshlrev_b64 v[26:27], 4, v[24:25]
	v_mov_b32_e32 v24, s7
	v_add_co_u32_e32 v34, vcc, s6, v26
	v_addc_co_u32_e32 v35, vcc, v24, v27, vcc
	;;#ASMSTART
	global_load_dwordx4 v[26:29], v[34:35] off glc	
s_waitcnt vmcnt(0)
	;;#ASMEND
	v_and_b32_e32 v24, 0xff, v27
	v_and_b32_e32 v29, 0xff00, v27
	v_or3_b32 v24, 0, v24, v29
	v_or3_b32 v26, v26, 0, 0
	v_and_b32_e32 v29, 0xff000000, v27
	v_and_b32_e32 v27, 0xff0000, v27
	v_or3_b32 v27, v24, v27, v29
	v_or3_b32 v26, v26, 0, 0
	v_cmp_eq_u16_sdwa s[28:29], v28, v25 src0_sel:BYTE_0 src1_sel:DWORD
	s_and_saveexec_b64 s[4:5], s[28:29]
	s_cbranch_execz .LBB1891_54
; %bb.49:
	s_mov_b32 s36, 1
	s_mov_b64 s[28:29], 0
	v_mov_b32_e32 v24, 0
.LBB1891_50:                            ; =>This Loop Header: Depth=1
                                        ;     Child Loop BB1891_51 Depth 2
	s_max_u32 s37, s36, 1
.LBB1891_51:                            ;   Parent Loop BB1891_50 Depth=1
                                        ; =>  This Inner Loop Header: Depth=2
	s_add_i32 s37, s37, -1
	s_cmp_eq_u32 s37, 0
	s_sleep 1
	s_cbranch_scc0 .LBB1891_51
; %bb.52:                               ;   in Loop: Header=BB1891_50 Depth=1
	s_cmp_lt_u32 s36, 32
	s_cselect_b64 s[38:39], -1, 0
	s_cmp_lg_u64 s[38:39], 0
	s_addc_u32 s36, s36, 0
	;;#ASMSTART
	global_load_dwordx4 v[26:29], v[34:35] off glc	
s_waitcnt vmcnt(0)
	;;#ASMEND
	v_cmp_ne_u16_sdwa s[38:39], v28, v24 src0_sel:BYTE_0 src1_sel:DWORD
	s_or_b64 s[28:29], s[38:39], s[28:29]
	s_andn2_b64 exec, exec, s[28:29]
	s_cbranch_execnz .LBB1891_50
; %bb.53:
	s_or_b64 exec, exec, s[28:29]
.LBB1891_54:
	s_or_b64 exec, exec, s[4:5]
	v_and_b32_e32 v40, 63, v33
	v_mov_b32_e32 v24, 2
	v_cmp_ne_u32_e32 vcc, 63, v40
	v_cmp_eq_u16_sdwa s[4:5], v28, v24 src0_sel:BYTE_0 src1_sel:DWORD
	v_lshlrev_b64 v[24:25], v33, -1
	v_addc_co_u32_e32 v34, vcc, 0, v33, vcc
	v_and_b32_e32 v29, s5, v25
	v_lshlrev_b32_e32 v41, 2, v34
	v_or_b32_e32 v29, 0x80000000, v29
	ds_bpermute_b32 v34, v41, v26
	ds_bpermute_b32 v35, v41, v27
	v_and_b32_e32 v36, s4, v24
	v_ffbl_b32_e32 v29, v29
	v_add_u32_e32 v29, 32, v29
	v_ffbl_b32_e32 v36, v36
	v_min_u32_e32 v29, v36, v29
	v_cmp_lt_u32_e32 vcc, v40, v29
	s_and_saveexec_b64 s[4:5], vcc
	s_cbranch_execz .LBB1891_56
; %bb.55:
	s_waitcnt lgkmcnt(0)
	v_cmp_lt_f64_e32 vcc, v[34:35], v[26:27]
	v_cndmask_b32_e32 v27, v35, v27, vcc
	v_cndmask_b32_e32 v26, v34, v26, vcc
.LBB1891_56:
	s_or_b64 exec, exec, s[4:5]
	v_cmp_gt_u32_e32 vcc, 62, v40
	s_waitcnt lgkmcnt(1)
	v_cndmask_b32_e64 v34, 0, 1, vcc
	v_lshlrev_b32_e32 v34, 1, v34
	v_add_lshl_u32 v42, v34, v33, 2
	ds_bpermute_b32 v34, v42, v26
	s_waitcnt lgkmcnt(1)
	ds_bpermute_b32 v35, v42, v27
	v_add_u32_e32 v43, 2, v40
	v_cmp_le_u32_e32 vcc, v43, v29
	s_and_saveexec_b64 s[4:5], vcc
	s_cbranch_execz .LBB1891_58
; %bb.57:
	s_waitcnt lgkmcnt(0)
	v_cmp_gt_f64_e32 vcc, v[26:27], v[34:35]
	v_cndmask_b32_e32 v27, v35, v27, vcc
	v_cndmask_b32_e32 v26, v34, v26, vcc
.LBB1891_58:
	s_or_b64 exec, exec, s[4:5]
	v_cmp_gt_u32_e32 vcc, 60, v40
	s_waitcnt lgkmcnt(1)
	v_cndmask_b32_e64 v34, 0, 1, vcc
	v_lshlrev_b32_e32 v34, 2, v34
	v_add_lshl_u32 v47, v34, v33, 2
	ds_bpermute_b32 v34, v47, v26
	s_waitcnt lgkmcnt(1)
	ds_bpermute_b32 v35, v47, v27
	v_add_u32_e32 v48, 4, v40
	v_cmp_le_u32_e32 vcc, v48, v29
	s_and_saveexec_b64 s[4:5], vcc
	s_cbranch_execz .LBB1891_60
; %bb.59:
	s_waitcnt lgkmcnt(0)
	v_cmp_gt_f64_e32 vcc, v[26:27], v[34:35]
	v_cndmask_b32_e32 v27, v35, v27, vcc
	v_cndmask_b32_e32 v26, v34, v26, vcc
.LBB1891_60:
	;; [unrolled: 19-line block ×4, first 2 shown]
	s_or_b64 exec, exec, s[4:5]
	v_cmp_gt_u32_e32 vcc, 32, v40
	s_waitcnt lgkmcnt(1)
	v_cndmask_b32_e64 v34, 0, 1, vcc
	v_lshlrev_b32_e32 v34, 5, v34
	v_add_lshl_u32 v53, v34, v33, 2
	ds_bpermute_b32 v34, v53, v27
	ds_bpermute_b32 v36, v53, v26
	v_add_u32_e32 v54, 32, v40
	v_cmp_gt_u32_e32 vcc, v54, v29
	v_mov_b32_e32 v33, 0
	s_waitcnt lgkmcnt(1)
	v_mov_b32_e32 v37, v34
	s_waitcnt lgkmcnt(0)
	v_cmp_gt_f64_e64 s[4:5], v[26:27], v[36:37]
	s_or_b64 vcc, vcc, s[4:5]
	v_cndmask_b32_e32 v27, v34, v27, vcc
	v_cndmask_b32_e32 v26, v36, v26, vcc
	v_mov_b32_e32 v55, 2
	s_branch .LBB1891_66
.LBB1891_65:                            ;   in Loop: Header=BB1891_66 Depth=1
	s_or_b64 exec, exec, s[4:5]
	s_waitcnt lgkmcnt(1)
	ds_bpermute_b32 v36, v53, v27
	ds_bpermute_b32 v56, v53, v26
	v_cmp_gt_u32_e32 vcc, v54, v29
	v_subrev_u32_e32 v32, 64, v32
	s_waitcnt lgkmcnt(1)
	v_mov_b32_e32 v57, v36
	s_waitcnt lgkmcnt(0)
	v_cmp_gt_f64_e64 s[4:5], v[26:27], v[56:57]
	s_or_b64 vcc, vcc, s[4:5]
	v_cndmask_b32_e32 v27, v36, v27, vcc
	v_cndmask_b32_e32 v26, v56, v26, vcc
	v_cmp_lt_f64_e32 vcc, v[26:27], v[34:35]
	v_cndmask_b32_e32 v27, v27, v35, vcc
	v_cndmask_b32_e32 v26, v26, v34, vcc
.LBB1891_66:                            ; =>This Loop Header: Depth=1
                                        ;     Child Loop BB1891_69 Depth 2
                                        ;       Child Loop BB1891_70 Depth 3
	v_cmp_ne_u16_sdwa s[4:5], v28, v55 src0_sel:BYTE_0 src1_sel:DWORD
	v_cndmask_b32_e64 v28, 0, 1, s[4:5]
	;;#ASMSTART
	;;#ASMEND
	v_cmp_ne_u32_e32 vcc, 0, v28
	s_cmp_lg_u64 vcc, exec
	v_pk_mov_b32 v[34:35], v[26:27], v[26:27] op_sel:[0,1]
	s_cbranch_scc1 .LBB1891_83
; %bb.67:                               ;   in Loop: Header=BB1891_66 Depth=1
	v_lshlrev_b64 v[26:27], 4, v[32:33]
	v_mov_b32_e32 v28, s7
	v_add_co_u32_e32 v36, vcc, s6, v26
	v_addc_co_u32_e32 v37, vcc, v28, v27, vcc
	;;#ASMSTART
	global_load_dwordx4 v[26:29], v[36:37] off glc	
s_waitcnt vmcnt(0)
	;;#ASMEND
	v_and_b32_e32 v29, 0xff, v27
	v_and_b32_e32 v56, 0xff00, v27
	v_or3_b32 v29, 0, v29, v56
	v_or3_b32 v26, v26, 0, 0
	v_and_b32_e32 v56, 0xff000000, v27
	v_and_b32_e32 v27, 0xff0000, v27
	v_or3_b32 v27, v29, v27, v56
	v_or3_b32 v26, v26, 0, 0
	v_cmp_eq_u16_sdwa s[28:29], v28, v33 src0_sel:BYTE_0 src1_sel:DWORD
	s_and_saveexec_b64 s[4:5], s[28:29]
	s_cbranch_execz .LBB1891_73
; %bb.68:                               ;   in Loop: Header=BB1891_66 Depth=1
	s_mov_b32 s36, 1
	s_mov_b64 s[28:29], 0
.LBB1891_69:                            ;   Parent Loop BB1891_66 Depth=1
                                        ; =>  This Loop Header: Depth=2
                                        ;       Child Loop BB1891_70 Depth 3
	s_max_u32 s37, s36, 1
.LBB1891_70:                            ;   Parent Loop BB1891_66 Depth=1
                                        ;     Parent Loop BB1891_69 Depth=2
                                        ; =>    This Inner Loop Header: Depth=3
	s_add_i32 s37, s37, -1
	s_cmp_eq_u32 s37, 0
	s_sleep 1
	s_cbranch_scc0 .LBB1891_70
; %bb.71:                               ;   in Loop: Header=BB1891_69 Depth=2
	s_cmp_lt_u32 s36, 32
	s_cselect_b64 s[38:39], -1, 0
	s_cmp_lg_u64 s[38:39], 0
	s_addc_u32 s36, s36, 0
	;;#ASMSTART
	global_load_dwordx4 v[26:29], v[36:37] off glc	
s_waitcnt vmcnt(0)
	;;#ASMEND
	v_cmp_ne_u16_sdwa s[38:39], v28, v33 src0_sel:BYTE_0 src1_sel:DWORD
	s_or_b64 s[28:29], s[38:39], s[28:29]
	s_andn2_b64 exec, exec, s[28:29]
	s_cbranch_execnz .LBB1891_69
; %bb.72:                               ;   in Loop: Header=BB1891_66 Depth=1
	s_or_b64 exec, exec, s[28:29]
.LBB1891_73:                            ;   in Loop: Header=BB1891_66 Depth=1
	s_or_b64 exec, exec, s[4:5]
	v_cmp_eq_u16_sdwa s[4:5], v28, v55 src0_sel:BYTE_0 src1_sel:DWORD
	v_and_b32_e32 v29, s5, v25
	v_or_b32_e32 v29, 0x80000000, v29
	ds_bpermute_b32 v36, v41, v26
	ds_bpermute_b32 v37, v41, v27
	v_and_b32_e32 v56, s4, v24
	v_ffbl_b32_e32 v29, v29
	v_add_u32_e32 v29, 32, v29
	v_ffbl_b32_e32 v56, v56
	v_min_u32_e32 v29, v56, v29
	v_cmp_lt_u32_e32 vcc, v40, v29
	s_and_saveexec_b64 s[4:5], vcc
	s_cbranch_execz .LBB1891_75
; %bb.74:                               ;   in Loop: Header=BB1891_66 Depth=1
	s_waitcnt lgkmcnt(0)
	v_cmp_lt_f64_e32 vcc, v[36:37], v[26:27]
	v_cndmask_b32_e32 v27, v37, v27, vcc
	v_cndmask_b32_e32 v26, v36, v26, vcc
.LBB1891_75:                            ;   in Loop: Header=BB1891_66 Depth=1
	s_or_b64 exec, exec, s[4:5]
	s_waitcnt lgkmcnt(1)
	ds_bpermute_b32 v36, v42, v26
	s_waitcnt lgkmcnt(1)
	ds_bpermute_b32 v37, v42, v27
	v_cmp_le_u32_e32 vcc, v43, v29
	s_and_saveexec_b64 s[4:5], vcc
	s_cbranch_execz .LBB1891_77
; %bb.76:                               ;   in Loop: Header=BB1891_66 Depth=1
	s_waitcnt lgkmcnt(0)
	v_cmp_gt_f64_e32 vcc, v[26:27], v[36:37]
	v_cndmask_b32_e32 v27, v37, v27, vcc
	v_cndmask_b32_e32 v26, v36, v26, vcc
.LBB1891_77:                            ;   in Loop: Header=BB1891_66 Depth=1
	s_or_b64 exec, exec, s[4:5]
	s_waitcnt lgkmcnt(1)
	ds_bpermute_b32 v36, v47, v26
	s_waitcnt lgkmcnt(1)
	ds_bpermute_b32 v37, v47, v27
	v_cmp_le_u32_e32 vcc, v48, v29
	s_and_saveexec_b64 s[4:5], vcc
	s_cbranch_execz .LBB1891_79
; %bb.78:                               ;   in Loop: Header=BB1891_66 Depth=1
	s_waitcnt lgkmcnt(0)
	v_cmp_gt_f64_e32 vcc, v[26:27], v[36:37]
	v_cndmask_b32_e32 v27, v37, v27, vcc
	v_cndmask_b32_e32 v26, v36, v26, vcc
.LBB1891_79:                            ;   in Loop: Header=BB1891_66 Depth=1
	;; [unrolled: 14-line block ×3, first 2 shown]
	s_or_b64 exec, exec, s[4:5]
	s_waitcnt lgkmcnt(1)
	ds_bpermute_b32 v36, v51, v26
	s_waitcnt lgkmcnt(1)
	ds_bpermute_b32 v37, v51, v27
	v_cmp_le_u32_e32 vcc, v52, v29
	s_and_saveexec_b64 s[4:5], vcc
	s_cbranch_execz .LBB1891_65
; %bb.82:                               ;   in Loop: Header=BB1891_66 Depth=1
	s_waitcnt lgkmcnt(0)
	v_cmp_gt_f64_e32 vcc, v[26:27], v[36:37]
	v_cndmask_b32_e32 v27, v37, v27, vcc
	v_cndmask_b32_e32 v26, v36, v26, vcc
	s_branch .LBB1891_65
.LBB1891_83:                            ;   in Loop: Header=BB1891_66 Depth=1
                                        ; implicit-def: $vgpr26_vgpr27
                                        ; implicit-def: $vgpr28
	s_cbranch_execz .LBB1891_66
; %bb.84:
	s_and_saveexec_b64 s[4:5], s[2:3]
	s_cbranch_execz .LBB1891_86
; %bb.85:
	s_add_i32 s28, s35, 64
	s_mov_b32 s29, 0
	s_lshl_b64 s[28:29], s[28:29], 4
	s_add_u32 s28, s6, s28
	v_cmp_lt_f64_e32 vcc, v[34:35], v[22:23]
	s_addc_u32 s29, s7, s29
	v_cndmask_b32_e32 v23, v35, v23, vcc
	v_cndmask_b32_e32 v22, v34, v22, vcc
	v_mov_b32_e32 v24, 2
	v_mov_b32_e32 v25, 0
	v_pk_mov_b32 v[26:27], s[28:29], s[28:29] op_sel:[0,1]
	;;#ASMSTART
	global_store_dwordx4 v[26:27], v[22:25] off	
s_waitcnt vmcnt(0)
	;;#ASMEND
.LBB1891_86:
	s_or_b64 exec, exec, s[4:5]
	s_and_b64 exec, exec, s[0:1]
	s_cbranch_execz .LBB1891_88
; %bb.87:
	v_mov_b32_e32 v22, 0
	ds_write_b64 v22, v[34:35] offset:8
.LBB1891_88:
	s_or_b64 exec, exec, s[26:27]
	v_mov_b32_e32 v22, 0
	s_waitcnt lgkmcnt(0)
	s_barrier
	ds_read_b64 v[22:23], v22 offset:8
	v_cndmask_b32_e64 v25, v39, v31, s[2:3]
	v_cndmask_b32_e64 v24, v38, v30, s[2:3]
	s_waitcnt lgkmcnt(0)
	v_cmp_lt_f64_e32 vcc, v[22:23], v[24:25]
	v_cndmask_b32_e32 v24, v22, v24, vcc
	v_cndmask_b32_e32 v25, v23, v25, vcc
	v_cndmask_b32_e64 v23, v25, v23, s[0:1]
	v_cndmask_b32_e64 v22, v24, v22, s[0:1]
	v_cmp_lt_f64_e32 vcc, v[22:23], v[14:15]
	v_cndmask_b32_e32 v25, v23, v15, vcc
	v_cndmask_b32_e32 v24, v22, v14, vcc
	v_cmp_lt_f64_e32 vcc, v[24:25], v[16:17]
	v_cndmask_b32_e32 v27, v25, v17, vcc
	v_cndmask_b32_e32 v26, v24, v16, vcc
	;; [unrolled: 3-line block ×9, first 2 shown]
	s_branch .LBB1891_111
.LBB1891_89:
                                        ; implicit-def: $vgpr40_vgpr41
                                        ; implicit-def: $vgpr36_vgpr37
                                        ; implicit-def: $vgpr32_vgpr33
                                        ; implicit-def: $vgpr28_vgpr29
                                        ; implicit-def: $vgpr24_vgpr25
	s_cbranch_execz .LBB1891_111
; %bb.90:
	s_cmp_eq_u64 s[12:13], 0
	v_pk_mov_b32 v[42:43], s[24:25], s[24:25] op_sel:[0,1]
	s_cbranch_scc1 .LBB1891_92
; %bb.91:
	v_mov_b32_e32 v25, s34
	v_add_co_u32_e64 v24, vcc, -8, s33
	v_mov_b32_e32 v22, 0
	v_addc_co_u32_e32 v25, vcc, -1, v25, vcc
	global_load_dwordx2 v[22:23], v22, s[8:9]
	s_nop 0
	flat_load_dwordx2 v[24:25], v[24:25]
	s_waitcnt vmcnt(0) lgkmcnt(0)
	v_cmp_lt_f64_e32 vcc, v[22:23], v[24:25]
	v_cndmask_b32_e32 v43, v23, v25, vcc
	v_cndmask_b32_e32 v42, v22, v24, vcc
.LBB1891_92:
	v_cmp_lt_f64_e32 vcc, v[14:15], v[16:17]
	v_cndmask_b32_e32 v23, v15, v17, vcc
	v_cndmask_b32_e32 v22, v14, v16, vcc
	v_cmp_lt_f64_e32 vcc, v[22:23], v[10:11]
	v_cndmask_b32_e32 v23, v23, v11, vcc
	v_cndmask_b32_e32 v22, v22, v10, vcc
	;; [unrolled: 3-line block ×8, first 2 shown]
	v_cmp_lt_f64_e32 vcc, v[22:23], v[20:21]
	v_mbcnt_hi_u32_b32 v1, -1, v1
	v_cndmask_b32_e32 v21, v23, v21, vcc
	v_cndmask_b32_e32 v20, v22, v20, vcc
	v_and_b32_e32 v24, 15, v1
	v_mov_b32_dpp v23, v21 row_shr:1 row_mask:0xf bank_mask:0xf
	v_mov_b32_dpp v22, v20 row_shr:1 row_mask:0xf bank_mask:0xf
	v_cmp_ne_u32_e32 vcc, 0, v24
	s_and_saveexec_b64 s[2:3], vcc
; %bb.93:
	v_cmp_gt_f64_e32 vcc, v[20:21], v[22:23]
	v_cndmask_b32_e32 v21, v23, v21, vcc
	v_cndmask_b32_e32 v20, v22, v20, vcc
; %bb.94:
	s_or_b64 exec, exec, s[2:3]
	s_nop 0
	v_mov_b32_dpp v22, v20 row_shr:2 row_mask:0xf bank_mask:0xf
	v_mov_b32_dpp v23, v21 row_shr:2 row_mask:0xf bank_mask:0xf
	v_cmp_lt_u32_e32 vcc, 1, v24
	s_and_saveexec_b64 s[2:3], vcc
; %bb.95:
	v_cmp_gt_f64_e32 vcc, v[20:21], v[22:23]
	v_cndmask_b32_e32 v21, v23, v21, vcc
	v_cndmask_b32_e32 v20, v22, v20, vcc
; %bb.96:
	s_or_b64 exec, exec, s[2:3]
	s_nop 0
	v_mov_b32_dpp v22, v20 row_shr:4 row_mask:0xf bank_mask:0xf
	v_mov_b32_dpp v23, v21 row_shr:4 row_mask:0xf bank_mask:0xf
	v_cmp_lt_u32_e32 vcc, 3, v24
	;; [unrolled: 11-line block ×3, first 2 shown]
	s_and_saveexec_b64 s[2:3], vcc
; %bb.99:
	v_cmp_gt_f64_e32 vcc, v[20:21], v[22:23]
	v_cndmask_b32_e32 v21, v23, v21, vcc
	v_cndmask_b32_e32 v20, v22, v20, vcc
; %bb.100:
	s_or_b64 exec, exec, s[2:3]
	v_and_b32_e32 v24, 16, v1
	v_mov_b32_dpp v22, v20 row_bcast:15 row_mask:0xf bank_mask:0xf
	v_mov_b32_dpp v23, v21 row_bcast:15 row_mask:0xf bank_mask:0xf
	v_cmp_ne_u32_e32 vcc, 0, v24
	s_and_saveexec_b64 s[2:3], vcc
; %bb.101:
	v_cmp_gt_f64_e32 vcc, v[20:21], v[22:23]
	v_cndmask_b32_e32 v21, v23, v21, vcc
	v_cndmask_b32_e32 v20, v22, v20, vcc
; %bb.102:
	s_or_b64 exec, exec, s[2:3]
	s_nop 0
	v_mov_b32_dpp v22, v20 row_bcast:31 row_mask:0xf bank_mask:0xf
	v_mov_b32_dpp v23, v21 row_bcast:31 row_mask:0xf bank_mask:0xf
	v_cmp_gt_f64_e32 vcc, v[20:21], v[22:23]
	v_cndmask_b32_e32 v22, v22, v20, vcc
	v_cndmask_b32_e32 v23, v23, v21, vcc
	v_cmp_lt_u32_e32 vcc, 31, v1
	v_cndmask_b32_e32 v20, v20, v22, vcc
	v_or_b32_e32 v22, 63, v0
	v_cndmask_b32_e32 v21, v21, v23, vcc
	v_lshrrev_b32_e32 v24, 6, v0
	v_cmp_eq_u32_e32 vcc, v22, v0
	s_and_saveexec_b64 s[2:3], vcc
	s_cbranch_execz .LBB1891_104
; %bb.103:
	v_lshlrev_b32_e32 v22, 3, v24
	ds_write_b64 v22, v[20:21]
.LBB1891_104:
	s_or_b64 exec, exec, s[2:3]
	v_cmp_gt_u32_e32 vcc, 2, v0
	s_waitcnt lgkmcnt(0)
	s_barrier
	s_and_saveexec_b64 s[4:5], vcc
	s_cbranch_execz .LBB1891_106
; %bb.105:
	s_movk_i32 s2, 0xffb8
	v_mad_i32_i24 v25, v0, s2, v46
	ds_read_b64 v[22:23], v25
	v_and_b32_e32 v26, 1, v1
	v_cmp_eq_u32_e32 vcc, 0, v26
	s_waitcnt lgkmcnt(0)
	v_mov_b32_dpp v28, v23 row_shr:1 row_mask:0xf bank_mask:0xf
	v_mov_b32_dpp v26, v22 row_shr:1 row_mask:0xf bank_mask:0xf
	v_mov_b32_e32 v27, v28
	v_cmp_gt_f64_e64 s[2:3], v[22:23], v[26:27]
	s_or_b64 vcc, vcc, s[2:3]
	v_cndmask_b32_e32 v23, v28, v23, vcc
	v_cndmask_b32_e32 v22, v26, v22, vcc
	ds_write_b64 v25, v[22:23]
.LBB1891_106:
	s_or_b64 exec, exec, s[4:5]
	v_cmp_lt_u32_e32 vcc, 63, v0
	v_pk_mov_b32 v[22:23], v[42:43], v[42:43] op_sel:[0,1]
	s_waitcnt lgkmcnt(0)
	s_barrier
	s_and_saveexec_b64 s[2:3], vcc
	s_cbranch_execz .LBB1891_108
; %bb.107:
	v_lshl_add_u32 v22, v24, 3, -8
	ds_read_b64 v[22:23], v22
	s_waitcnt lgkmcnt(0)
	v_cmp_gt_f64_e32 vcc, v[22:23], v[42:43]
	v_cndmask_b32_e32 v23, v43, v23, vcc
	v_cndmask_b32_e32 v22, v42, v22, vcc
.LBB1891_108:
	s_or_b64 exec, exec, s[2:3]
	v_cmp_lt_f64_e32 vcc, v[22:23], v[20:21]
	v_add_u32_e32 v24, -1, v1
	v_and_b32_e32 v25, 64, v1
	v_cndmask_b32_e32 v21, v23, v21, vcc
	v_cndmask_b32_e32 v20, v22, v20, vcc
	v_cmp_lt_i32_e32 vcc, v24, v25
	v_cndmask_b32_e32 v24, v24, v1, vcc
	v_lshlrev_b32_e32 v24, 2, v24
	ds_bpermute_b32 v20, v24, v20
	ds_bpermute_b32 v21, v24, v21
	v_cmp_eq_u32_e32 vcc, 0, v1
	s_waitcnt lgkmcnt(1)
	v_cndmask_b32_e32 v1, v20, v22, vcc
	s_waitcnt lgkmcnt(0)
	v_cndmask_b32_e32 v20, v21, v23, vcc
	v_cndmask_b32_e64 v23, v20, v43, s[0:1]
	v_cndmask_b32_e64 v22, v1, v42, s[0:1]
	v_cmp_lt_f64_e32 vcc, v[22:23], v[14:15]
	v_cndmask_b32_e32 v25, v23, v15, vcc
	v_cndmask_b32_e32 v24, v22, v14, vcc
	v_cmp_lt_f64_e32 vcc, v[24:25], v[16:17]
	v_cndmask_b32_e32 v27, v25, v17, vcc
	v_cndmask_b32_e32 v26, v24, v16, vcc
	;; [unrolled: 3-line block ×9, first 2 shown]
	s_and_saveexec_b64 s[2:3], s[0:1]
	s_cbranch_execz .LBB1891_110
; %bb.109:
	v_mov_b32_e32 v5, 0
	ds_read_b64 v[2:3], v5 offset:8
	s_add_u32 s0, s6, 0x400
	s_addc_u32 s1, s7, 0
	v_mov_b32_e32 v4, 2
	v_pk_mov_b32 v[6:7], s[0:1], s[0:1] op_sel:[0,1]
	s_waitcnt lgkmcnt(0)
	v_cmp_gt_f64_e32 vcc, v[2:3], v[42:43]
	v_cndmask_b32_e32 v3, v43, v3, vcc
	v_cndmask_b32_e32 v2, v42, v2, vcc
	;;#ASMSTART
	global_store_dwordx4 v[6:7], v[2:5] off	
s_waitcnt vmcnt(0)
	;;#ASMEND
.LBB1891_110:
	s_or_b64 exec, exec, s[2:3]
.LBB1891_111:
	s_add_u32 s0, s20, s18
	s_addc_u32 s1, s21, s19
	s_add_u32 s2, s0, s22
	s_addc_u32 s3, s1, s23
	s_mov_b64 s[0:1], -1
	s_and_b64 vcc, exec, s[16:17]
	s_barrier
	s_cbranch_vccz .LBB1891_113
; %bb.112:
	ds_write_b128 v46, v[22:25]
	ds_write_b128 v46, v[26:29] offset:16
	ds_write_b128 v46, v[30:33] offset:32
	;; [unrolled: 1-line block ×4, first 2 shown]
	s_waitcnt lgkmcnt(0)
	s_barrier
	ds_read2st64_b64 v[2:5], v44 offset1:2
	ds_read2st64_b64 v[6:9], v44 offset0:4 offset1:6
	ds_read2st64_b64 v[10:13], v44 offset0:8 offset1:10
	;; [unrolled: 1-line block ×4, first 2 shown]
	v_mov_b32_e32 v1, s3
	v_add_co_u32_e32 v42, vcc, s2, v44
	v_addc_co_u32_e32 v43, vcc, 0, v1, vcc
	s_movk_i32 s0, 0x1000
	s_waitcnt lgkmcnt(4)
	flat_store_dwordx2 v[42:43], v[2:3]
	flat_store_dwordx2 v[42:43], v[4:5] offset:1024
	s_waitcnt lgkmcnt(0)
	flat_store_dwordx2 v[42:43], v[6:7] offset:2048
	flat_store_dwordx2 v[42:43], v[8:9] offset:3072
	v_add_co_u32_e32 v2, vcc, s0, v42
	v_addc_co_u32_e32 v3, vcc, 0, v43, vcc
	flat_store_dwordx2 v[2:3], v[10:11]
	flat_store_dwordx2 v[2:3], v[12:13] offset:1024
	flat_store_dwordx2 v[2:3], v[14:15] offset:2048
	;; [unrolled: 1-line block ×3, first 2 shown]
	v_add_co_u32_e32 v2, vcc, 0x2000, v42
	v_addc_co_u32_e32 v3, vcc, 0, v43, vcc
	flat_store_dwordx2 v[2:3], v[18:19]
	flat_store_dwordx2 v[2:3], v[20:21] offset:1024
	s_mov_b64 s[0:1], 0
.LBB1891_113:
	s_andn2_b64 vcc, exec, s[0:1]
	s_cbranch_vccnz .LBB1891_169
; %bb.114:
	s_movk_i32 s0, 0xffb8
	v_mad_i32_i24 v18, v0, s0, v46
	ds_write_b128 v46, v[22:25]
	ds_write_b128 v46, v[26:29] offset:16
	ds_write_b128 v46, v[30:33] offset:32
	ds_write_b128 v46, v[34:37] offset:48
	ds_write_b128 v46, v[38:41] offset:64
	s_waitcnt lgkmcnt(0)
	s_barrier
	ds_read2st64_b64 v[2:5], v18 offset1:2
	ds_read2st64_b64 v[10:13], v18 offset0:4 offset1:6
	ds_read2st64_b64 v[6:9], v18 offset0:8 offset1:10
	ds_read2st64_b64 v[14:17], v18 offset0:12 offset1:14
	ds_read2st64_b64 v[18:21], v18 offset0:16 offset1:18
	v_mov_b32_e32 v23, s3
	v_add_co_u32_e32 v22, vcc, s2, v44
	v_addc_co_u32_e32 v23, vcc, 0, v23, vcc
	v_mov_b32_e32 v1, 0
	v_cmp_gt_u32_e32 vcc, s30, v0
	s_and_saveexec_b64 s[0:1], vcc
	s_cbranch_execz .LBB1891_116
; %bb.115:
	s_waitcnt lgkmcnt(0)
	flat_store_dwordx2 v[22:23], v[2:3]
.LBB1891_116:
	s_or_b64 exec, exec, s[0:1]
	v_or_b32_e32 v24, 0x80, v0
	v_cmp_gt_u32_e32 vcc, s30, v24
	s_and_saveexec_b64 s[0:1], vcc
	s_cbranch_execz .LBB1891_118
; %bb.117:
	s_waitcnt lgkmcnt(0)
	flat_store_dwordx2 v[22:23], v[4:5] offset:1024
.LBB1891_118:
	s_or_b64 exec, exec, s[0:1]
	v_or_b32_e32 v24, 0x100, v0
	v_cmp_gt_u32_e32 vcc, s30, v24
	s_and_saveexec_b64 s[0:1], vcc
	s_cbranch_execz .LBB1891_120
; %bb.119:
	s_waitcnt lgkmcnt(0)
	flat_store_dwordx2 v[22:23], v[10:11] offset:2048
.LBB1891_120:
	;; [unrolled: 9-line block ×3, first 2 shown]
	s_or_b64 exec, exec, s[0:1]
	v_or_b32_e32 v24, 0x200, v0
	v_cmp_gt_u32_e32 vcc, s30, v24
	s_and_saveexec_b64 s[0:1], vcc
	s_cbranch_execz .LBB1891_124
; %bb.123:
	v_add_co_u32_e32 v24, vcc, 0x1000, v22
	v_addc_co_u32_e32 v25, vcc, 0, v23, vcc
	s_waitcnt lgkmcnt(0)
	flat_store_dwordx2 v[24:25], v[6:7]
.LBB1891_124:
	s_or_b64 exec, exec, s[0:1]
	v_or_b32_e32 v24, 0x280, v0
	v_cmp_gt_u32_e32 vcc, s30, v24
	s_and_saveexec_b64 s[0:1], vcc
	s_cbranch_execz .LBB1891_126
; %bb.125:
	v_add_co_u32_e32 v24, vcc, 0x1000, v22
	v_addc_co_u32_e32 v25, vcc, 0, v23, vcc
	s_waitcnt lgkmcnt(0)
	flat_store_dwordx2 v[24:25], v[8:9] offset:1024
.LBB1891_126:
	s_or_b64 exec, exec, s[0:1]
	v_or_b32_e32 v24, 0x300, v0
	v_cmp_gt_u32_e32 vcc, s30, v24
	s_and_saveexec_b64 s[0:1], vcc
	s_cbranch_execz .LBB1891_128
; %bb.127:
	v_add_co_u32_e32 v24, vcc, 0x1000, v22
	v_addc_co_u32_e32 v25, vcc, 0, v23, vcc
	s_waitcnt lgkmcnt(0)
	flat_store_dwordx2 v[24:25], v[14:15] offset:2048
.LBB1891_128:
	;; [unrolled: 11-line block ×3, first 2 shown]
	s_or_b64 exec, exec, s[0:1]
	v_or_b32_e32 v24, 0x400, v0
	v_cmp_gt_u32_e32 vcc, s30, v24
	s_and_saveexec_b64 s[0:1], vcc
	s_cbranch_execz .LBB1891_132
; %bb.131:
	v_add_co_u32_e32 v24, vcc, 0x2000, v22
	v_addc_co_u32_e32 v25, vcc, 0, v23, vcc
	s_waitcnt lgkmcnt(0)
	flat_store_dwordx2 v[24:25], v[18:19]
.LBB1891_132:
	s_or_b64 exec, exec, s[0:1]
	v_or_b32_e32 v24, 0x480, v0
	v_cmp_gt_u32_e32 vcc, s30, v24
	s_and_saveexec_b64 s[0:1], vcc
	s_cbranch_execz .LBB1891_134
; %bb.133:
	v_add_co_u32_e32 v22, vcc, 0x2000, v22
	v_addc_co_u32_e32 v23, vcc, 0, v23, vcc
	s_waitcnt lgkmcnt(0)
	flat_store_dwordx2 v[22:23], v[20:21] offset:1024
.LBB1891_134:
	s_or_b64 exec, exec, s[0:1]
	v_cmp_lt_u64_e64 s[0:1], s[14:15], 2
	s_and_b64 vcc, exec, s[0:1]
	s_cbranch_vccnz .LBB1891_169
; %bb.135:
	s_add_u32 s0, s30, -1
	s_addc_u32 s1, s31, -1
	s_add_u32 s2, 0, 0x99986000
	s_addc_u32 s3, 0, 0x59
	s_add_i32 s3, s3, 0x19999940
	s_mul_hi_u32 s7, s2, -10
	s_sub_i32 s7, s7, s2
	s_mul_i32 s8, s3, -10
	s_mul_i32 s4, s2, -10
	s_add_i32 s7, s7, s8
	s_mul_hi_u32 s5, s3, s4
	s_mul_i32 s6, s3, s4
	s_mul_i32 s9, s2, s7
	s_mul_hi_u32 s4, s2, s4
	s_mul_hi_u32 s8, s2, s7
	s_add_u32 s4, s4, s9
	s_addc_u32 s8, 0, s8
	s_add_u32 s4, s4, s6
	s_mul_hi_u32 s9, s3, s7
	s_addc_u32 s4, s8, s5
	s_addc_u32 s5, s9, 0
	s_mul_i32 s6, s3, s7
	s_add_u32 s4, s4, s6
	v_mov_b32_e32 v22, s4
	s_addc_u32 s5, 0, s5
	v_add_co_u32_e32 v22, vcc, s2, v22
	s_cmp_lg_u64 vcc, 0
	s_addc_u32 s2, s3, s5
	v_readfirstlane_b32 s5, v22
	s_mul_i32 s4, s0, s2
	s_mul_hi_u32 s6, s0, s5
	s_mul_hi_u32 s3, s0, s2
	s_add_u32 s4, s6, s4
	s_addc_u32 s3, 0, s3
	s_mul_hi_u32 s7, s1, s5
	s_mul_i32 s5, s1, s5
	s_add_u32 s4, s4, s5
	s_mul_hi_u32 s6, s1, s2
	s_addc_u32 s3, s3, s7
	s_addc_u32 s4, s6, 0
	s_mul_i32 s2, s1, s2
	s_add_u32 s2, s3, s2
	s_addc_u32 s3, 0, s4
	s_add_u32 s4, s2, 1
	s_addc_u32 s5, s3, 0
	s_add_u32 s6, s2, 2
	s_mul_i32 s8, s3, 10
	s_mul_hi_u32 s9, s2, 10
	s_addc_u32 s7, s3, 0
	s_add_i32 s9, s9, s8
	s_mul_i32 s8, s2, 10
	v_mov_b32_e32 v22, s8
	v_sub_co_u32_e32 v22, vcc, s0, v22
	s_cmp_lg_u64 vcc, 0
	s_subb_u32 s8, s1, s9
	v_subrev_co_u32_e32 v23, vcc, 10, v22
	s_cmp_lg_u64 vcc, 0
	s_subb_u32 s9, s8, 0
	v_readfirstlane_b32 s12, v23
	s_cmp_gt_u32 s12, 9
	s_cselect_b32 s12, -1, 0
	s_cmp_eq_u32 s9, 0
	s_cselect_b32 s9, s12, -1
	s_cmp_lg_u32 s9, 0
	s_cselect_b32 s4, s6, s4
	v_readfirstlane_b32 s6, v22
	s_cselect_b32 s5, s7, s5
	s_cmp_gt_u32 s6, 9
	s_cselect_b32 s6, -1, 0
	s_cmp_eq_u32 s8, 0
	s_cselect_b32 s6, s6, -1
	s_cmp_lg_u32 s6, 0
	s_cselect_b32 s3, s5, s3
	s_cselect_b32 s2, s4, s2
	v_cmp_eq_u64_e32 vcc, s[2:3], v[0:1]
	s_and_saveexec_b64 s[2:3], vcc
	s_cbranch_execz .LBB1891_169
; %bb.136:
	v_mul_hi_u32_u24_e32 v1, 10, v0
	v_mov_b32_e32 v22, s1
	v_sub_co_u32_e32 v0, vcc, s0, v45
	v_subb_co_u32_e32 v1, vcc, v22, v1, vcc
	v_cmp_lt_i64_e32 vcc, 4, v[0:1]
	s_and_saveexec_b64 s[0:1], vcc
	s_xor_b64 s[0:1], exec, s[0:1]
	s_cbranch_execz .LBB1891_154
; %bb.137:
	v_cmp_lt_i64_e32 vcc, 6, v[0:1]
	s_and_saveexec_b64 s[2:3], vcc
	s_xor_b64 s[2:3], exec, s[2:3]
	s_cbranch_execz .LBB1891_147
; %bb.138:
	;; [unrolled: 5-line block ×4, first 2 shown]
	v_mov_b32_e32 v0, 0
	s_waitcnt lgkmcnt(0)
	global_store_dwordx2 v0, v[20:21], s[10:11]
                                        ; implicit-def: $vgpr18_vgpr19_vgpr20_vgpr21
.LBB1891_141:
	s_andn2_saveexec_b64 s[6:7], s[6:7]
	s_cbranch_execz .LBB1891_143
; %bb.142:
	v_mov_b32_e32 v0, 0
	s_waitcnt lgkmcnt(0)
	global_store_dwordx2 v0, v[18:19], s[10:11]
.LBB1891_143:
	s_or_b64 exec, exec, s[6:7]
                                        ; implicit-def: $vgpr14_vgpr15_vgpr16_vgpr17
.LBB1891_144:
	s_andn2_saveexec_b64 s[4:5], s[4:5]
	s_cbranch_execz .LBB1891_146
; %bb.145:
	v_mov_b32_e32 v0, 0
	s_waitcnt lgkmcnt(0)
	global_store_dwordx2 v0, v[16:17], s[10:11]
.LBB1891_146:
	s_or_b64 exec, exec, s[4:5]
                                        ; implicit-def: $vgpr6_vgpr7_vgpr8_vgpr9
                                        ; implicit-def: $vgpr0_vgpr1
                                        ; implicit-def: $vgpr14_vgpr15_vgpr16_vgpr17
.LBB1891_147:
	s_andn2_saveexec_b64 s[2:3], s[2:3]
	s_cbranch_execz .LBB1891_153
; %bb.148:
	v_cmp_lt_i64_e32 vcc, 5, v[0:1]
	s_and_saveexec_b64 s[4:5], vcc
	s_xor_b64 s[4:5], exec, s[4:5]
	s_cbranch_execz .LBB1891_150
; %bb.149:
	v_mov_b32_e32 v0, 0
	s_waitcnt lgkmcnt(0)
	global_store_dwordx2 v0, v[14:15], s[10:11]
                                        ; implicit-def: $vgpr6_vgpr7_vgpr8_vgpr9
.LBB1891_150:
	s_andn2_saveexec_b64 s[4:5], s[4:5]
	s_cbranch_execz .LBB1891_152
; %bb.151:
	v_mov_b32_e32 v0, 0
	s_waitcnt lgkmcnt(0)
	global_store_dwordx2 v0, v[8:9], s[10:11]
.LBB1891_152:
	s_or_b64 exec, exec, s[4:5]
.LBB1891_153:
	s_or_b64 exec, exec, s[2:3]
                                        ; implicit-def: $vgpr0_vgpr1
                                        ; implicit-def: $vgpr10_vgpr11_vgpr12_vgpr13
                                        ; implicit-def: $vgpr2_vgpr3_vgpr4_vgpr5
                                        ; implicit-def: $vgpr6_vgpr7_vgpr8_vgpr9
.LBB1891_154:
	s_andn2_saveexec_b64 s[0:1], s[0:1]
	s_cbranch_execz .LBB1891_169
; %bb.155:
	v_cmp_lt_i64_e32 vcc, 2, v[0:1]
	s_and_saveexec_b64 s[0:1], vcc
	s_xor_b64 s[0:1], exec, s[0:1]
	s_cbranch_execz .LBB1891_161
; %bb.156:
	v_cmp_lt_i64_e32 vcc, 3, v[0:1]
	s_and_saveexec_b64 s[2:3], vcc
	s_xor_b64 s[2:3], exec, s[2:3]
	s_cbranch_execz .LBB1891_158
; %bb.157:
	v_mov_b32_e32 v0, 0
	s_waitcnt lgkmcnt(0)
	global_store_dwordx2 v0, v[6:7], s[10:11]
                                        ; implicit-def: $vgpr10_vgpr11_vgpr12_vgpr13
.LBB1891_158:
	s_andn2_saveexec_b64 s[2:3], s[2:3]
	s_cbranch_execz .LBB1891_160
; %bb.159:
	v_mov_b32_e32 v0, 0
	s_waitcnt lgkmcnt(0)
	global_store_dwordx2 v0, v[12:13], s[10:11]
.LBB1891_160:
	s_or_b64 exec, exec, s[2:3]
                                        ; implicit-def: $vgpr0_vgpr1
                                        ; implicit-def: $vgpr10_vgpr11_vgpr12_vgpr13
                                        ; implicit-def: $vgpr2_vgpr3_vgpr4_vgpr5
.LBB1891_161:
	s_andn2_saveexec_b64 s[0:1], s[0:1]
	s_cbranch_execz .LBB1891_169
; %bb.162:
	v_cmp_lt_i64_e32 vcc, 1, v[0:1]
	s_and_saveexec_b64 s[0:1], vcc
	s_xor_b64 s[0:1], exec, s[0:1]
	s_cbranch_execz .LBB1891_164
; %bb.163:
	v_mov_b32_e32 v0, 0
	s_waitcnt lgkmcnt(0)
	global_store_dwordx2 v0, v[10:11], s[10:11]
                                        ; implicit-def: $vgpr2_vgpr3_vgpr4_vgpr5
                                        ; implicit-def: $vgpr0_vgpr1
.LBB1891_164:
	s_andn2_saveexec_b64 s[0:1], s[0:1]
	s_cbranch_execz .LBB1891_169
; %bb.165:
	v_cmp_ne_u64_e32 vcc, 1, v[0:1]
	s_and_saveexec_b64 s[0:1], vcc
	s_xor_b64 s[0:1], exec, s[0:1]
	s_cbranch_execz .LBB1891_167
; %bb.166:
	v_mov_b32_e32 v0, 0
	s_waitcnt lgkmcnt(0)
	global_store_dwordx2 v0, v[2:3], s[10:11]
                                        ; implicit-def: $vgpr2_vgpr3_vgpr4_vgpr5
.LBB1891_167:
	s_andn2_saveexec_b64 s[0:1], s[0:1]
	s_cbranch_execz .LBB1891_169
; %bb.168:
	v_mov_b32_e32 v0, 0
	s_waitcnt lgkmcnt(0)
	global_store_dwordx2 v0, v[4:5], s[10:11]
.LBB1891_169:
	s_endpgm
	.section	.rodata,"a",@progbits
	.p2align	6, 0x0
	.amdhsa_kernel _ZN7rocprim17ROCPRIM_400000_NS6detail17trampoline_kernelINS0_14default_configENS1_20scan_config_selectorIdEEZZNS1_9scan_implILNS1_25lookback_scan_determinismE0ELb1ELb1ES3_N6thrust23THRUST_200600_302600_NS6detail15normal_iteratorINS9_10device_ptrIdEEEESE_d11max_functorIdEdEEDaPvRmT3_T4_T5_mT6_P12ihipStream_tbENKUlT_T0_E_clISt17integral_constantIbLb1EESU_EEDaSP_SQ_EUlSP_E_NS1_11comp_targetILNS1_3genE4ELNS1_11target_archE910ELNS1_3gpuE8ELNS1_3repE0EEENS1_30default_config_static_selectorELNS0_4arch9wavefront6targetE1EEEvT1_
		.amdhsa_group_segment_fixed_size 10240
		.amdhsa_private_segment_fixed_size 0
		.amdhsa_kernarg_size 104
		.amdhsa_user_sgpr_count 6
		.amdhsa_user_sgpr_private_segment_buffer 1
		.amdhsa_user_sgpr_dispatch_ptr 0
		.amdhsa_user_sgpr_queue_ptr 0
		.amdhsa_user_sgpr_kernarg_segment_ptr 1
		.amdhsa_user_sgpr_dispatch_id 0
		.amdhsa_user_sgpr_flat_scratch_init 0
		.amdhsa_user_sgpr_kernarg_preload_length 0
		.amdhsa_user_sgpr_kernarg_preload_offset 0
		.amdhsa_user_sgpr_private_segment_size 0
		.amdhsa_uses_dynamic_stack 0
		.amdhsa_system_sgpr_private_segment_wavefront_offset 0
		.amdhsa_system_sgpr_workgroup_id_x 1
		.amdhsa_system_sgpr_workgroup_id_y 0
		.amdhsa_system_sgpr_workgroup_id_z 0
		.amdhsa_system_sgpr_workgroup_info 0
		.amdhsa_system_vgpr_workitem_id 0
		.amdhsa_next_free_vgpr 58
		.amdhsa_next_free_sgpr 40
		.amdhsa_accum_offset 60
		.amdhsa_reserve_vcc 1
		.amdhsa_reserve_flat_scratch 0
		.amdhsa_float_round_mode_32 0
		.amdhsa_float_round_mode_16_64 0
		.amdhsa_float_denorm_mode_32 3
		.amdhsa_float_denorm_mode_16_64 3
		.amdhsa_dx10_clamp 1
		.amdhsa_ieee_mode 1
		.amdhsa_fp16_overflow 0
		.amdhsa_tg_split 0
		.amdhsa_exception_fp_ieee_invalid_op 0
		.amdhsa_exception_fp_denorm_src 0
		.amdhsa_exception_fp_ieee_div_zero 0
		.amdhsa_exception_fp_ieee_overflow 0
		.amdhsa_exception_fp_ieee_underflow 0
		.amdhsa_exception_fp_ieee_inexact 0
		.amdhsa_exception_int_div_zero 0
	.end_amdhsa_kernel
	.section	.text._ZN7rocprim17ROCPRIM_400000_NS6detail17trampoline_kernelINS0_14default_configENS1_20scan_config_selectorIdEEZZNS1_9scan_implILNS1_25lookback_scan_determinismE0ELb1ELb1ES3_N6thrust23THRUST_200600_302600_NS6detail15normal_iteratorINS9_10device_ptrIdEEEESE_d11max_functorIdEdEEDaPvRmT3_T4_T5_mT6_P12ihipStream_tbENKUlT_T0_E_clISt17integral_constantIbLb1EESU_EEDaSP_SQ_EUlSP_E_NS1_11comp_targetILNS1_3genE4ELNS1_11target_archE910ELNS1_3gpuE8ELNS1_3repE0EEENS1_30default_config_static_selectorELNS0_4arch9wavefront6targetE1EEEvT1_,"axG",@progbits,_ZN7rocprim17ROCPRIM_400000_NS6detail17trampoline_kernelINS0_14default_configENS1_20scan_config_selectorIdEEZZNS1_9scan_implILNS1_25lookback_scan_determinismE0ELb1ELb1ES3_N6thrust23THRUST_200600_302600_NS6detail15normal_iteratorINS9_10device_ptrIdEEEESE_d11max_functorIdEdEEDaPvRmT3_T4_T5_mT6_P12ihipStream_tbENKUlT_T0_E_clISt17integral_constantIbLb1EESU_EEDaSP_SQ_EUlSP_E_NS1_11comp_targetILNS1_3genE4ELNS1_11target_archE910ELNS1_3gpuE8ELNS1_3repE0EEENS1_30default_config_static_selectorELNS0_4arch9wavefront6targetE1EEEvT1_,comdat
.Lfunc_end1891:
	.size	_ZN7rocprim17ROCPRIM_400000_NS6detail17trampoline_kernelINS0_14default_configENS1_20scan_config_selectorIdEEZZNS1_9scan_implILNS1_25lookback_scan_determinismE0ELb1ELb1ES3_N6thrust23THRUST_200600_302600_NS6detail15normal_iteratorINS9_10device_ptrIdEEEESE_d11max_functorIdEdEEDaPvRmT3_T4_T5_mT6_P12ihipStream_tbENKUlT_T0_E_clISt17integral_constantIbLb1EESU_EEDaSP_SQ_EUlSP_E_NS1_11comp_targetILNS1_3genE4ELNS1_11target_archE910ELNS1_3gpuE8ELNS1_3repE0EEENS1_30default_config_static_selectorELNS0_4arch9wavefront6targetE1EEEvT1_, .Lfunc_end1891-_ZN7rocprim17ROCPRIM_400000_NS6detail17trampoline_kernelINS0_14default_configENS1_20scan_config_selectorIdEEZZNS1_9scan_implILNS1_25lookback_scan_determinismE0ELb1ELb1ES3_N6thrust23THRUST_200600_302600_NS6detail15normal_iteratorINS9_10device_ptrIdEEEESE_d11max_functorIdEdEEDaPvRmT3_T4_T5_mT6_P12ihipStream_tbENKUlT_T0_E_clISt17integral_constantIbLb1EESU_EEDaSP_SQ_EUlSP_E_NS1_11comp_targetILNS1_3genE4ELNS1_11target_archE910ELNS1_3gpuE8ELNS1_3repE0EEENS1_30default_config_static_selectorELNS0_4arch9wavefront6targetE1EEEvT1_
                                        ; -- End function
	.section	.AMDGPU.csdata,"",@progbits
; Kernel info:
; codeLenInByte = 6336
; NumSgprs: 44
; NumVgprs: 58
; NumAgprs: 0
; TotalNumVgprs: 58
; ScratchSize: 0
; MemoryBound: 0
; FloatMode: 240
; IeeeMode: 1
; LDSByteSize: 10240 bytes/workgroup (compile time only)
; SGPRBlocks: 5
; VGPRBlocks: 7
; NumSGPRsForWavesPerEU: 44
; NumVGPRsForWavesPerEU: 58
; AccumOffset: 60
; Occupancy: 3
; WaveLimiterHint : 1
; COMPUTE_PGM_RSRC2:SCRATCH_EN: 0
; COMPUTE_PGM_RSRC2:USER_SGPR: 6
; COMPUTE_PGM_RSRC2:TRAP_HANDLER: 0
; COMPUTE_PGM_RSRC2:TGID_X_EN: 1
; COMPUTE_PGM_RSRC2:TGID_Y_EN: 0
; COMPUTE_PGM_RSRC2:TGID_Z_EN: 0
; COMPUTE_PGM_RSRC2:TIDIG_COMP_CNT: 0
; COMPUTE_PGM_RSRC3_GFX90A:ACCUM_OFFSET: 14
; COMPUTE_PGM_RSRC3_GFX90A:TG_SPLIT: 0
	.section	.text._ZN7rocprim17ROCPRIM_400000_NS6detail17trampoline_kernelINS0_14default_configENS1_20scan_config_selectorIdEEZZNS1_9scan_implILNS1_25lookback_scan_determinismE0ELb1ELb1ES3_N6thrust23THRUST_200600_302600_NS6detail15normal_iteratorINS9_10device_ptrIdEEEESE_d11max_functorIdEdEEDaPvRmT3_T4_T5_mT6_P12ihipStream_tbENKUlT_T0_E_clISt17integral_constantIbLb1EESU_EEDaSP_SQ_EUlSP_E_NS1_11comp_targetILNS1_3genE3ELNS1_11target_archE908ELNS1_3gpuE7ELNS1_3repE0EEENS1_30default_config_static_selectorELNS0_4arch9wavefront6targetE1EEEvT1_,"axG",@progbits,_ZN7rocprim17ROCPRIM_400000_NS6detail17trampoline_kernelINS0_14default_configENS1_20scan_config_selectorIdEEZZNS1_9scan_implILNS1_25lookback_scan_determinismE0ELb1ELb1ES3_N6thrust23THRUST_200600_302600_NS6detail15normal_iteratorINS9_10device_ptrIdEEEESE_d11max_functorIdEdEEDaPvRmT3_T4_T5_mT6_P12ihipStream_tbENKUlT_T0_E_clISt17integral_constantIbLb1EESU_EEDaSP_SQ_EUlSP_E_NS1_11comp_targetILNS1_3genE3ELNS1_11target_archE908ELNS1_3gpuE7ELNS1_3repE0EEENS1_30default_config_static_selectorELNS0_4arch9wavefront6targetE1EEEvT1_,comdat
	.protected	_ZN7rocprim17ROCPRIM_400000_NS6detail17trampoline_kernelINS0_14default_configENS1_20scan_config_selectorIdEEZZNS1_9scan_implILNS1_25lookback_scan_determinismE0ELb1ELb1ES3_N6thrust23THRUST_200600_302600_NS6detail15normal_iteratorINS9_10device_ptrIdEEEESE_d11max_functorIdEdEEDaPvRmT3_T4_T5_mT6_P12ihipStream_tbENKUlT_T0_E_clISt17integral_constantIbLb1EESU_EEDaSP_SQ_EUlSP_E_NS1_11comp_targetILNS1_3genE3ELNS1_11target_archE908ELNS1_3gpuE7ELNS1_3repE0EEENS1_30default_config_static_selectorELNS0_4arch9wavefront6targetE1EEEvT1_ ; -- Begin function _ZN7rocprim17ROCPRIM_400000_NS6detail17trampoline_kernelINS0_14default_configENS1_20scan_config_selectorIdEEZZNS1_9scan_implILNS1_25lookback_scan_determinismE0ELb1ELb1ES3_N6thrust23THRUST_200600_302600_NS6detail15normal_iteratorINS9_10device_ptrIdEEEESE_d11max_functorIdEdEEDaPvRmT3_T4_T5_mT6_P12ihipStream_tbENKUlT_T0_E_clISt17integral_constantIbLb1EESU_EEDaSP_SQ_EUlSP_E_NS1_11comp_targetILNS1_3genE3ELNS1_11target_archE908ELNS1_3gpuE7ELNS1_3repE0EEENS1_30default_config_static_selectorELNS0_4arch9wavefront6targetE1EEEvT1_
	.globl	_ZN7rocprim17ROCPRIM_400000_NS6detail17trampoline_kernelINS0_14default_configENS1_20scan_config_selectorIdEEZZNS1_9scan_implILNS1_25lookback_scan_determinismE0ELb1ELb1ES3_N6thrust23THRUST_200600_302600_NS6detail15normal_iteratorINS9_10device_ptrIdEEEESE_d11max_functorIdEdEEDaPvRmT3_T4_T5_mT6_P12ihipStream_tbENKUlT_T0_E_clISt17integral_constantIbLb1EESU_EEDaSP_SQ_EUlSP_E_NS1_11comp_targetILNS1_3genE3ELNS1_11target_archE908ELNS1_3gpuE7ELNS1_3repE0EEENS1_30default_config_static_selectorELNS0_4arch9wavefront6targetE1EEEvT1_
	.p2align	8
	.type	_ZN7rocprim17ROCPRIM_400000_NS6detail17trampoline_kernelINS0_14default_configENS1_20scan_config_selectorIdEEZZNS1_9scan_implILNS1_25lookback_scan_determinismE0ELb1ELb1ES3_N6thrust23THRUST_200600_302600_NS6detail15normal_iteratorINS9_10device_ptrIdEEEESE_d11max_functorIdEdEEDaPvRmT3_T4_T5_mT6_P12ihipStream_tbENKUlT_T0_E_clISt17integral_constantIbLb1EESU_EEDaSP_SQ_EUlSP_E_NS1_11comp_targetILNS1_3genE3ELNS1_11target_archE908ELNS1_3gpuE7ELNS1_3repE0EEENS1_30default_config_static_selectorELNS0_4arch9wavefront6targetE1EEEvT1_,@function
_ZN7rocprim17ROCPRIM_400000_NS6detail17trampoline_kernelINS0_14default_configENS1_20scan_config_selectorIdEEZZNS1_9scan_implILNS1_25lookback_scan_determinismE0ELb1ELb1ES3_N6thrust23THRUST_200600_302600_NS6detail15normal_iteratorINS9_10device_ptrIdEEEESE_d11max_functorIdEdEEDaPvRmT3_T4_T5_mT6_P12ihipStream_tbENKUlT_T0_E_clISt17integral_constantIbLb1EESU_EEDaSP_SQ_EUlSP_E_NS1_11comp_targetILNS1_3genE3ELNS1_11target_archE908ELNS1_3gpuE7ELNS1_3repE0EEENS1_30default_config_static_selectorELNS0_4arch9wavefront6targetE1EEEvT1_: ; @_ZN7rocprim17ROCPRIM_400000_NS6detail17trampoline_kernelINS0_14default_configENS1_20scan_config_selectorIdEEZZNS1_9scan_implILNS1_25lookback_scan_determinismE0ELb1ELb1ES3_N6thrust23THRUST_200600_302600_NS6detail15normal_iteratorINS9_10device_ptrIdEEEESE_d11max_functorIdEdEEDaPvRmT3_T4_T5_mT6_P12ihipStream_tbENKUlT_T0_E_clISt17integral_constantIbLb1EESU_EEDaSP_SQ_EUlSP_E_NS1_11comp_targetILNS1_3genE3ELNS1_11target_archE908ELNS1_3gpuE7ELNS1_3repE0EEENS1_30default_config_static_selectorELNS0_4arch9wavefront6targetE1EEEvT1_
; %bb.0:
	.section	.rodata,"a",@progbits
	.p2align	6, 0x0
	.amdhsa_kernel _ZN7rocprim17ROCPRIM_400000_NS6detail17trampoline_kernelINS0_14default_configENS1_20scan_config_selectorIdEEZZNS1_9scan_implILNS1_25lookback_scan_determinismE0ELb1ELb1ES3_N6thrust23THRUST_200600_302600_NS6detail15normal_iteratorINS9_10device_ptrIdEEEESE_d11max_functorIdEdEEDaPvRmT3_T4_T5_mT6_P12ihipStream_tbENKUlT_T0_E_clISt17integral_constantIbLb1EESU_EEDaSP_SQ_EUlSP_E_NS1_11comp_targetILNS1_3genE3ELNS1_11target_archE908ELNS1_3gpuE7ELNS1_3repE0EEENS1_30default_config_static_selectorELNS0_4arch9wavefront6targetE1EEEvT1_
		.amdhsa_group_segment_fixed_size 0
		.amdhsa_private_segment_fixed_size 0
		.amdhsa_kernarg_size 104
		.amdhsa_user_sgpr_count 6
		.amdhsa_user_sgpr_private_segment_buffer 1
		.amdhsa_user_sgpr_dispatch_ptr 0
		.amdhsa_user_sgpr_queue_ptr 0
		.amdhsa_user_sgpr_kernarg_segment_ptr 1
		.amdhsa_user_sgpr_dispatch_id 0
		.amdhsa_user_sgpr_flat_scratch_init 0
		.amdhsa_user_sgpr_kernarg_preload_length 0
		.amdhsa_user_sgpr_kernarg_preload_offset 0
		.amdhsa_user_sgpr_private_segment_size 0
		.amdhsa_uses_dynamic_stack 0
		.amdhsa_system_sgpr_private_segment_wavefront_offset 0
		.amdhsa_system_sgpr_workgroup_id_x 1
		.amdhsa_system_sgpr_workgroup_id_y 0
		.amdhsa_system_sgpr_workgroup_id_z 0
		.amdhsa_system_sgpr_workgroup_info 0
		.amdhsa_system_vgpr_workitem_id 0
		.amdhsa_next_free_vgpr 1
		.amdhsa_next_free_sgpr 0
		.amdhsa_accum_offset 4
		.amdhsa_reserve_vcc 0
		.amdhsa_reserve_flat_scratch 0
		.amdhsa_float_round_mode_32 0
		.amdhsa_float_round_mode_16_64 0
		.amdhsa_float_denorm_mode_32 3
		.amdhsa_float_denorm_mode_16_64 3
		.amdhsa_dx10_clamp 1
		.amdhsa_ieee_mode 1
		.amdhsa_fp16_overflow 0
		.amdhsa_tg_split 0
		.amdhsa_exception_fp_ieee_invalid_op 0
		.amdhsa_exception_fp_denorm_src 0
		.amdhsa_exception_fp_ieee_div_zero 0
		.amdhsa_exception_fp_ieee_overflow 0
		.amdhsa_exception_fp_ieee_underflow 0
		.amdhsa_exception_fp_ieee_inexact 0
		.amdhsa_exception_int_div_zero 0
	.end_amdhsa_kernel
	.section	.text._ZN7rocprim17ROCPRIM_400000_NS6detail17trampoline_kernelINS0_14default_configENS1_20scan_config_selectorIdEEZZNS1_9scan_implILNS1_25lookback_scan_determinismE0ELb1ELb1ES3_N6thrust23THRUST_200600_302600_NS6detail15normal_iteratorINS9_10device_ptrIdEEEESE_d11max_functorIdEdEEDaPvRmT3_T4_T5_mT6_P12ihipStream_tbENKUlT_T0_E_clISt17integral_constantIbLb1EESU_EEDaSP_SQ_EUlSP_E_NS1_11comp_targetILNS1_3genE3ELNS1_11target_archE908ELNS1_3gpuE7ELNS1_3repE0EEENS1_30default_config_static_selectorELNS0_4arch9wavefront6targetE1EEEvT1_,"axG",@progbits,_ZN7rocprim17ROCPRIM_400000_NS6detail17trampoline_kernelINS0_14default_configENS1_20scan_config_selectorIdEEZZNS1_9scan_implILNS1_25lookback_scan_determinismE0ELb1ELb1ES3_N6thrust23THRUST_200600_302600_NS6detail15normal_iteratorINS9_10device_ptrIdEEEESE_d11max_functorIdEdEEDaPvRmT3_T4_T5_mT6_P12ihipStream_tbENKUlT_T0_E_clISt17integral_constantIbLb1EESU_EEDaSP_SQ_EUlSP_E_NS1_11comp_targetILNS1_3genE3ELNS1_11target_archE908ELNS1_3gpuE7ELNS1_3repE0EEENS1_30default_config_static_selectorELNS0_4arch9wavefront6targetE1EEEvT1_,comdat
.Lfunc_end1892:
	.size	_ZN7rocprim17ROCPRIM_400000_NS6detail17trampoline_kernelINS0_14default_configENS1_20scan_config_selectorIdEEZZNS1_9scan_implILNS1_25lookback_scan_determinismE0ELb1ELb1ES3_N6thrust23THRUST_200600_302600_NS6detail15normal_iteratorINS9_10device_ptrIdEEEESE_d11max_functorIdEdEEDaPvRmT3_T4_T5_mT6_P12ihipStream_tbENKUlT_T0_E_clISt17integral_constantIbLb1EESU_EEDaSP_SQ_EUlSP_E_NS1_11comp_targetILNS1_3genE3ELNS1_11target_archE908ELNS1_3gpuE7ELNS1_3repE0EEENS1_30default_config_static_selectorELNS0_4arch9wavefront6targetE1EEEvT1_, .Lfunc_end1892-_ZN7rocprim17ROCPRIM_400000_NS6detail17trampoline_kernelINS0_14default_configENS1_20scan_config_selectorIdEEZZNS1_9scan_implILNS1_25lookback_scan_determinismE0ELb1ELb1ES3_N6thrust23THRUST_200600_302600_NS6detail15normal_iteratorINS9_10device_ptrIdEEEESE_d11max_functorIdEdEEDaPvRmT3_T4_T5_mT6_P12ihipStream_tbENKUlT_T0_E_clISt17integral_constantIbLb1EESU_EEDaSP_SQ_EUlSP_E_NS1_11comp_targetILNS1_3genE3ELNS1_11target_archE908ELNS1_3gpuE7ELNS1_3repE0EEENS1_30default_config_static_selectorELNS0_4arch9wavefront6targetE1EEEvT1_
                                        ; -- End function
	.section	.AMDGPU.csdata,"",@progbits
; Kernel info:
; codeLenInByte = 0
; NumSgprs: 4
; NumVgprs: 0
; NumAgprs: 0
; TotalNumVgprs: 0
; ScratchSize: 0
; MemoryBound: 0
; FloatMode: 240
; IeeeMode: 1
; LDSByteSize: 0 bytes/workgroup (compile time only)
; SGPRBlocks: 0
; VGPRBlocks: 0
; NumSGPRsForWavesPerEU: 4
; NumVGPRsForWavesPerEU: 1
; AccumOffset: 4
; Occupancy: 8
; WaveLimiterHint : 0
; COMPUTE_PGM_RSRC2:SCRATCH_EN: 0
; COMPUTE_PGM_RSRC2:USER_SGPR: 6
; COMPUTE_PGM_RSRC2:TRAP_HANDLER: 0
; COMPUTE_PGM_RSRC2:TGID_X_EN: 1
; COMPUTE_PGM_RSRC2:TGID_Y_EN: 0
; COMPUTE_PGM_RSRC2:TGID_Z_EN: 0
; COMPUTE_PGM_RSRC2:TIDIG_COMP_CNT: 0
; COMPUTE_PGM_RSRC3_GFX90A:ACCUM_OFFSET: 0
; COMPUTE_PGM_RSRC3_GFX90A:TG_SPLIT: 0
	.section	.text._ZN7rocprim17ROCPRIM_400000_NS6detail17trampoline_kernelINS0_14default_configENS1_20scan_config_selectorIdEEZZNS1_9scan_implILNS1_25lookback_scan_determinismE0ELb1ELb1ES3_N6thrust23THRUST_200600_302600_NS6detail15normal_iteratorINS9_10device_ptrIdEEEESE_d11max_functorIdEdEEDaPvRmT3_T4_T5_mT6_P12ihipStream_tbENKUlT_T0_E_clISt17integral_constantIbLb1EESU_EEDaSP_SQ_EUlSP_E_NS1_11comp_targetILNS1_3genE2ELNS1_11target_archE906ELNS1_3gpuE6ELNS1_3repE0EEENS1_30default_config_static_selectorELNS0_4arch9wavefront6targetE1EEEvT1_,"axG",@progbits,_ZN7rocprim17ROCPRIM_400000_NS6detail17trampoline_kernelINS0_14default_configENS1_20scan_config_selectorIdEEZZNS1_9scan_implILNS1_25lookback_scan_determinismE0ELb1ELb1ES3_N6thrust23THRUST_200600_302600_NS6detail15normal_iteratorINS9_10device_ptrIdEEEESE_d11max_functorIdEdEEDaPvRmT3_T4_T5_mT6_P12ihipStream_tbENKUlT_T0_E_clISt17integral_constantIbLb1EESU_EEDaSP_SQ_EUlSP_E_NS1_11comp_targetILNS1_3genE2ELNS1_11target_archE906ELNS1_3gpuE6ELNS1_3repE0EEENS1_30default_config_static_selectorELNS0_4arch9wavefront6targetE1EEEvT1_,comdat
	.protected	_ZN7rocprim17ROCPRIM_400000_NS6detail17trampoline_kernelINS0_14default_configENS1_20scan_config_selectorIdEEZZNS1_9scan_implILNS1_25lookback_scan_determinismE0ELb1ELb1ES3_N6thrust23THRUST_200600_302600_NS6detail15normal_iteratorINS9_10device_ptrIdEEEESE_d11max_functorIdEdEEDaPvRmT3_T4_T5_mT6_P12ihipStream_tbENKUlT_T0_E_clISt17integral_constantIbLb1EESU_EEDaSP_SQ_EUlSP_E_NS1_11comp_targetILNS1_3genE2ELNS1_11target_archE906ELNS1_3gpuE6ELNS1_3repE0EEENS1_30default_config_static_selectorELNS0_4arch9wavefront6targetE1EEEvT1_ ; -- Begin function _ZN7rocprim17ROCPRIM_400000_NS6detail17trampoline_kernelINS0_14default_configENS1_20scan_config_selectorIdEEZZNS1_9scan_implILNS1_25lookback_scan_determinismE0ELb1ELb1ES3_N6thrust23THRUST_200600_302600_NS6detail15normal_iteratorINS9_10device_ptrIdEEEESE_d11max_functorIdEdEEDaPvRmT3_T4_T5_mT6_P12ihipStream_tbENKUlT_T0_E_clISt17integral_constantIbLb1EESU_EEDaSP_SQ_EUlSP_E_NS1_11comp_targetILNS1_3genE2ELNS1_11target_archE906ELNS1_3gpuE6ELNS1_3repE0EEENS1_30default_config_static_selectorELNS0_4arch9wavefront6targetE1EEEvT1_
	.globl	_ZN7rocprim17ROCPRIM_400000_NS6detail17trampoline_kernelINS0_14default_configENS1_20scan_config_selectorIdEEZZNS1_9scan_implILNS1_25lookback_scan_determinismE0ELb1ELb1ES3_N6thrust23THRUST_200600_302600_NS6detail15normal_iteratorINS9_10device_ptrIdEEEESE_d11max_functorIdEdEEDaPvRmT3_T4_T5_mT6_P12ihipStream_tbENKUlT_T0_E_clISt17integral_constantIbLb1EESU_EEDaSP_SQ_EUlSP_E_NS1_11comp_targetILNS1_3genE2ELNS1_11target_archE906ELNS1_3gpuE6ELNS1_3repE0EEENS1_30default_config_static_selectorELNS0_4arch9wavefront6targetE1EEEvT1_
	.p2align	8
	.type	_ZN7rocprim17ROCPRIM_400000_NS6detail17trampoline_kernelINS0_14default_configENS1_20scan_config_selectorIdEEZZNS1_9scan_implILNS1_25lookback_scan_determinismE0ELb1ELb1ES3_N6thrust23THRUST_200600_302600_NS6detail15normal_iteratorINS9_10device_ptrIdEEEESE_d11max_functorIdEdEEDaPvRmT3_T4_T5_mT6_P12ihipStream_tbENKUlT_T0_E_clISt17integral_constantIbLb1EESU_EEDaSP_SQ_EUlSP_E_NS1_11comp_targetILNS1_3genE2ELNS1_11target_archE906ELNS1_3gpuE6ELNS1_3repE0EEENS1_30default_config_static_selectorELNS0_4arch9wavefront6targetE1EEEvT1_,@function
_ZN7rocprim17ROCPRIM_400000_NS6detail17trampoline_kernelINS0_14default_configENS1_20scan_config_selectorIdEEZZNS1_9scan_implILNS1_25lookback_scan_determinismE0ELb1ELb1ES3_N6thrust23THRUST_200600_302600_NS6detail15normal_iteratorINS9_10device_ptrIdEEEESE_d11max_functorIdEdEEDaPvRmT3_T4_T5_mT6_P12ihipStream_tbENKUlT_T0_E_clISt17integral_constantIbLb1EESU_EEDaSP_SQ_EUlSP_E_NS1_11comp_targetILNS1_3genE2ELNS1_11target_archE906ELNS1_3gpuE6ELNS1_3repE0EEENS1_30default_config_static_selectorELNS0_4arch9wavefront6targetE1EEEvT1_: ; @_ZN7rocprim17ROCPRIM_400000_NS6detail17trampoline_kernelINS0_14default_configENS1_20scan_config_selectorIdEEZZNS1_9scan_implILNS1_25lookback_scan_determinismE0ELb1ELb1ES3_N6thrust23THRUST_200600_302600_NS6detail15normal_iteratorINS9_10device_ptrIdEEEESE_d11max_functorIdEdEEDaPvRmT3_T4_T5_mT6_P12ihipStream_tbENKUlT_T0_E_clISt17integral_constantIbLb1EESU_EEDaSP_SQ_EUlSP_E_NS1_11comp_targetILNS1_3genE2ELNS1_11target_archE906ELNS1_3gpuE6ELNS1_3repE0EEENS1_30default_config_static_selectorELNS0_4arch9wavefront6targetE1EEEvT1_
; %bb.0:
	.section	.rodata,"a",@progbits
	.p2align	6, 0x0
	.amdhsa_kernel _ZN7rocprim17ROCPRIM_400000_NS6detail17trampoline_kernelINS0_14default_configENS1_20scan_config_selectorIdEEZZNS1_9scan_implILNS1_25lookback_scan_determinismE0ELb1ELb1ES3_N6thrust23THRUST_200600_302600_NS6detail15normal_iteratorINS9_10device_ptrIdEEEESE_d11max_functorIdEdEEDaPvRmT3_T4_T5_mT6_P12ihipStream_tbENKUlT_T0_E_clISt17integral_constantIbLb1EESU_EEDaSP_SQ_EUlSP_E_NS1_11comp_targetILNS1_3genE2ELNS1_11target_archE906ELNS1_3gpuE6ELNS1_3repE0EEENS1_30default_config_static_selectorELNS0_4arch9wavefront6targetE1EEEvT1_
		.amdhsa_group_segment_fixed_size 0
		.amdhsa_private_segment_fixed_size 0
		.amdhsa_kernarg_size 104
		.amdhsa_user_sgpr_count 6
		.amdhsa_user_sgpr_private_segment_buffer 1
		.amdhsa_user_sgpr_dispatch_ptr 0
		.amdhsa_user_sgpr_queue_ptr 0
		.amdhsa_user_sgpr_kernarg_segment_ptr 1
		.amdhsa_user_sgpr_dispatch_id 0
		.amdhsa_user_sgpr_flat_scratch_init 0
		.amdhsa_user_sgpr_kernarg_preload_length 0
		.amdhsa_user_sgpr_kernarg_preload_offset 0
		.amdhsa_user_sgpr_private_segment_size 0
		.amdhsa_uses_dynamic_stack 0
		.amdhsa_system_sgpr_private_segment_wavefront_offset 0
		.amdhsa_system_sgpr_workgroup_id_x 1
		.amdhsa_system_sgpr_workgroup_id_y 0
		.amdhsa_system_sgpr_workgroup_id_z 0
		.amdhsa_system_sgpr_workgroup_info 0
		.amdhsa_system_vgpr_workitem_id 0
		.amdhsa_next_free_vgpr 1
		.amdhsa_next_free_sgpr 0
		.amdhsa_accum_offset 4
		.amdhsa_reserve_vcc 0
		.amdhsa_reserve_flat_scratch 0
		.amdhsa_float_round_mode_32 0
		.amdhsa_float_round_mode_16_64 0
		.amdhsa_float_denorm_mode_32 3
		.amdhsa_float_denorm_mode_16_64 3
		.amdhsa_dx10_clamp 1
		.amdhsa_ieee_mode 1
		.amdhsa_fp16_overflow 0
		.amdhsa_tg_split 0
		.amdhsa_exception_fp_ieee_invalid_op 0
		.amdhsa_exception_fp_denorm_src 0
		.amdhsa_exception_fp_ieee_div_zero 0
		.amdhsa_exception_fp_ieee_overflow 0
		.amdhsa_exception_fp_ieee_underflow 0
		.amdhsa_exception_fp_ieee_inexact 0
		.amdhsa_exception_int_div_zero 0
	.end_amdhsa_kernel
	.section	.text._ZN7rocprim17ROCPRIM_400000_NS6detail17trampoline_kernelINS0_14default_configENS1_20scan_config_selectorIdEEZZNS1_9scan_implILNS1_25lookback_scan_determinismE0ELb1ELb1ES3_N6thrust23THRUST_200600_302600_NS6detail15normal_iteratorINS9_10device_ptrIdEEEESE_d11max_functorIdEdEEDaPvRmT3_T4_T5_mT6_P12ihipStream_tbENKUlT_T0_E_clISt17integral_constantIbLb1EESU_EEDaSP_SQ_EUlSP_E_NS1_11comp_targetILNS1_3genE2ELNS1_11target_archE906ELNS1_3gpuE6ELNS1_3repE0EEENS1_30default_config_static_selectorELNS0_4arch9wavefront6targetE1EEEvT1_,"axG",@progbits,_ZN7rocprim17ROCPRIM_400000_NS6detail17trampoline_kernelINS0_14default_configENS1_20scan_config_selectorIdEEZZNS1_9scan_implILNS1_25lookback_scan_determinismE0ELb1ELb1ES3_N6thrust23THRUST_200600_302600_NS6detail15normal_iteratorINS9_10device_ptrIdEEEESE_d11max_functorIdEdEEDaPvRmT3_T4_T5_mT6_P12ihipStream_tbENKUlT_T0_E_clISt17integral_constantIbLb1EESU_EEDaSP_SQ_EUlSP_E_NS1_11comp_targetILNS1_3genE2ELNS1_11target_archE906ELNS1_3gpuE6ELNS1_3repE0EEENS1_30default_config_static_selectorELNS0_4arch9wavefront6targetE1EEEvT1_,comdat
.Lfunc_end1893:
	.size	_ZN7rocprim17ROCPRIM_400000_NS6detail17trampoline_kernelINS0_14default_configENS1_20scan_config_selectorIdEEZZNS1_9scan_implILNS1_25lookback_scan_determinismE0ELb1ELb1ES3_N6thrust23THRUST_200600_302600_NS6detail15normal_iteratorINS9_10device_ptrIdEEEESE_d11max_functorIdEdEEDaPvRmT3_T4_T5_mT6_P12ihipStream_tbENKUlT_T0_E_clISt17integral_constantIbLb1EESU_EEDaSP_SQ_EUlSP_E_NS1_11comp_targetILNS1_3genE2ELNS1_11target_archE906ELNS1_3gpuE6ELNS1_3repE0EEENS1_30default_config_static_selectorELNS0_4arch9wavefront6targetE1EEEvT1_, .Lfunc_end1893-_ZN7rocprim17ROCPRIM_400000_NS6detail17trampoline_kernelINS0_14default_configENS1_20scan_config_selectorIdEEZZNS1_9scan_implILNS1_25lookback_scan_determinismE0ELb1ELb1ES3_N6thrust23THRUST_200600_302600_NS6detail15normal_iteratorINS9_10device_ptrIdEEEESE_d11max_functorIdEdEEDaPvRmT3_T4_T5_mT6_P12ihipStream_tbENKUlT_T0_E_clISt17integral_constantIbLb1EESU_EEDaSP_SQ_EUlSP_E_NS1_11comp_targetILNS1_3genE2ELNS1_11target_archE906ELNS1_3gpuE6ELNS1_3repE0EEENS1_30default_config_static_selectorELNS0_4arch9wavefront6targetE1EEEvT1_
                                        ; -- End function
	.section	.AMDGPU.csdata,"",@progbits
; Kernel info:
; codeLenInByte = 0
; NumSgprs: 4
; NumVgprs: 0
; NumAgprs: 0
; TotalNumVgprs: 0
; ScratchSize: 0
; MemoryBound: 0
; FloatMode: 240
; IeeeMode: 1
; LDSByteSize: 0 bytes/workgroup (compile time only)
; SGPRBlocks: 0
; VGPRBlocks: 0
; NumSGPRsForWavesPerEU: 4
; NumVGPRsForWavesPerEU: 1
; AccumOffset: 4
; Occupancy: 8
; WaveLimiterHint : 0
; COMPUTE_PGM_RSRC2:SCRATCH_EN: 0
; COMPUTE_PGM_RSRC2:USER_SGPR: 6
; COMPUTE_PGM_RSRC2:TRAP_HANDLER: 0
; COMPUTE_PGM_RSRC2:TGID_X_EN: 1
; COMPUTE_PGM_RSRC2:TGID_Y_EN: 0
; COMPUTE_PGM_RSRC2:TGID_Z_EN: 0
; COMPUTE_PGM_RSRC2:TIDIG_COMP_CNT: 0
; COMPUTE_PGM_RSRC3_GFX90A:ACCUM_OFFSET: 0
; COMPUTE_PGM_RSRC3_GFX90A:TG_SPLIT: 0
	.section	.text._ZN7rocprim17ROCPRIM_400000_NS6detail17trampoline_kernelINS0_14default_configENS1_20scan_config_selectorIdEEZZNS1_9scan_implILNS1_25lookback_scan_determinismE0ELb1ELb1ES3_N6thrust23THRUST_200600_302600_NS6detail15normal_iteratorINS9_10device_ptrIdEEEESE_d11max_functorIdEdEEDaPvRmT3_T4_T5_mT6_P12ihipStream_tbENKUlT_T0_E_clISt17integral_constantIbLb1EESU_EEDaSP_SQ_EUlSP_E_NS1_11comp_targetILNS1_3genE10ELNS1_11target_archE1201ELNS1_3gpuE5ELNS1_3repE0EEENS1_30default_config_static_selectorELNS0_4arch9wavefront6targetE1EEEvT1_,"axG",@progbits,_ZN7rocprim17ROCPRIM_400000_NS6detail17trampoline_kernelINS0_14default_configENS1_20scan_config_selectorIdEEZZNS1_9scan_implILNS1_25lookback_scan_determinismE0ELb1ELb1ES3_N6thrust23THRUST_200600_302600_NS6detail15normal_iteratorINS9_10device_ptrIdEEEESE_d11max_functorIdEdEEDaPvRmT3_T4_T5_mT6_P12ihipStream_tbENKUlT_T0_E_clISt17integral_constantIbLb1EESU_EEDaSP_SQ_EUlSP_E_NS1_11comp_targetILNS1_3genE10ELNS1_11target_archE1201ELNS1_3gpuE5ELNS1_3repE0EEENS1_30default_config_static_selectorELNS0_4arch9wavefront6targetE1EEEvT1_,comdat
	.protected	_ZN7rocprim17ROCPRIM_400000_NS6detail17trampoline_kernelINS0_14default_configENS1_20scan_config_selectorIdEEZZNS1_9scan_implILNS1_25lookback_scan_determinismE0ELb1ELb1ES3_N6thrust23THRUST_200600_302600_NS6detail15normal_iteratorINS9_10device_ptrIdEEEESE_d11max_functorIdEdEEDaPvRmT3_T4_T5_mT6_P12ihipStream_tbENKUlT_T0_E_clISt17integral_constantIbLb1EESU_EEDaSP_SQ_EUlSP_E_NS1_11comp_targetILNS1_3genE10ELNS1_11target_archE1201ELNS1_3gpuE5ELNS1_3repE0EEENS1_30default_config_static_selectorELNS0_4arch9wavefront6targetE1EEEvT1_ ; -- Begin function _ZN7rocprim17ROCPRIM_400000_NS6detail17trampoline_kernelINS0_14default_configENS1_20scan_config_selectorIdEEZZNS1_9scan_implILNS1_25lookback_scan_determinismE0ELb1ELb1ES3_N6thrust23THRUST_200600_302600_NS6detail15normal_iteratorINS9_10device_ptrIdEEEESE_d11max_functorIdEdEEDaPvRmT3_T4_T5_mT6_P12ihipStream_tbENKUlT_T0_E_clISt17integral_constantIbLb1EESU_EEDaSP_SQ_EUlSP_E_NS1_11comp_targetILNS1_3genE10ELNS1_11target_archE1201ELNS1_3gpuE5ELNS1_3repE0EEENS1_30default_config_static_selectorELNS0_4arch9wavefront6targetE1EEEvT1_
	.globl	_ZN7rocprim17ROCPRIM_400000_NS6detail17trampoline_kernelINS0_14default_configENS1_20scan_config_selectorIdEEZZNS1_9scan_implILNS1_25lookback_scan_determinismE0ELb1ELb1ES3_N6thrust23THRUST_200600_302600_NS6detail15normal_iteratorINS9_10device_ptrIdEEEESE_d11max_functorIdEdEEDaPvRmT3_T4_T5_mT6_P12ihipStream_tbENKUlT_T0_E_clISt17integral_constantIbLb1EESU_EEDaSP_SQ_EUlSP_E_NS1_11comp_targetILNS1_3genE10ELNS1_11target_archE1201ELNS1_3gpuE5ELNS1_3repE0EEENS1_30default_config_static_selectorELNS0_4arch9wavefront6targetE1EEEvT1_
	.p2align	8
	.type	_ZN7rocprim17ROCPRIM_400000_NS6detail17trampoline_kernelINS0_14default_configENS1_20scan_config_selectorIdEEZZNS1_9scan_implILNS1_25lookback_scan_determinismE0ELb1ELb1ES3_N6thrust23THRUST_200600_302600_NS6detail15normal_iteratorINS9_10device_ptrIdEEEESE_d11max_functorIdEdEEDaPvRmT3_T4_T5_mT6_P12ihipStream_tbENKUlT_T0_E_clISt17integral_constantIbLb1EESU_EEDaSP_SQ_EUlSP_E_NS1_11comp_targetILNS1_3genE10ELNS1_11target_archE1201ELNS1_3gpuE5ELNS1_3repE0EEENS1_30default_config_static_selectorELNS0_4arch9wavefront6targetE1EEEvT1_,@function
_ZN7rocprim17ROCPRIM_400000_NS6detail17trampoline_kernelINS0_14default_configENS1_20scan_config_selectorIdEEZZNS1_9scan_implILNS1_25lookback_scan_determinismE0ELb1ELb1ES3_N6thrust23THRUST_200600_302600_NS6detail15normal_iteratorINS9_10device_ptrIdEEEESE_d11max_functorIdEdEEDaPvRmT3_T4_T5_mT6_P12ihipStream_tbENKUlT_T0_E_clISt17integral_constantIbLb1EESU_EEDaSP_SQ_EUlSP_E_NS1_11comp_targetILNS1_3genE10ELNS1_11target_archE1201ELNS1_3gpuE5ELNS1_3repE0EEENS1_30default_config_static_selectorELNS0_4arch9wavefront6targetE1EEEvT1_: ; @_ZN7rocprim17ROCPRIM_400000_NS6detail17trampoline_kernelINS0_14default_configENS1_20scan_config_selectorIdEEZZNS1_9scan_implILNS1_25lookback_scan_determinismE0ELb1ELb1ES3_N6thrust23THRUST_200600_302600_NS6detail15normal_iteratorINS9_10device_ptrIdEEEESE_d11max_functorIdEdEEDaPvRmT3_T4_T5_mT6_P12ihipStream_tbENKUlT_T0_E_clISt17integral_constantIbLb1EESU_EEDaSP_SQ_EUlSP_E_NS1_11comp_targetILNS1_3genE10ELNS1_11target_archE1201ELNS1_3gpuE5ELNS1_3repE0EEENS1_30default_config_static_selectorELNS0_4arch9wavefront6targetE1EEEvT1_
; %bb.0:
	.section	.rodata,"a",@progbits
	.p2align	6, 0x0
	.amdhsa_kernel _ZN7rocprim17ROCPRIM_400000_NS6detail17trampoline_kernelINS0_14default_configENS1_20scan_config_selectorIdEEZZNS1_9scan_implILNS1_25lookback_scan_determinismE0ELb1ELb1ES3_N6thrust23THRUST_200600_302600_NS6detail15normal_iteratorINS9_10device_ptrIdEEEESE_d11max_functorIdEdEEDaPvRmT3_T4_T5_mT6_P12ihipStream_tbENKUlT_T0_E_clISt17integral_constantIbLb1EESU_EEDaSP_SQ_EUlSP_E_NS1_11comp_targetILNS1_3genE10ELNS1_11target_archE1201ELNS1_3gpuE5ELNS1_3repE0EEENS1_30default_config_static_selectorELNS0_4arch9wavefront6targetE1EEEvT1_
		.amdhsa_group_segment_fixed_size 0
		.amdhsa_private_segment_fixed_size 0
		.amdhsa_kernarg_size 104
		.amdhsa_user_sgpr_count 6
		.amdhsa_user_sgpr_private_segment_buffer 1
		.amdhsa_user_sgpr_dispatch_ptr 0
		.amdhsa_user_sgpr_queue_ptr 0
		.amdhsa_user_sgpr_kernarg_segment_ptr 1
		.amdhsa_user_sgpr_dispatch_id 0
		.amdhsa_user_sgpr_flat_scratch_init 0
		.amdhsa_user_sgpr_kernarg_preload_length 0
		.amdhsa_user_sgpr_kernarg_preload_offset 0
		.amdhsa_user_sgpr_private_segment_size 0
		.amdhsa_uses_dynamic_stack 0
		.amdhsa_system_sgpr_private_segment_wavefront_offset 0
		.amdhsa_system_sgpr_workgroup_id_x 1
		.amdhsa_system_sgpr_workgroup_id_y 0
		.amdhsa_system_sgpr_workgroup_id_z 0
		.amdhsa_system_sgpr_workgroup_info 0
		.amdhsa_system_vgpr_workitem_id 0
		.amdhsa_next_free_vgpr 1
		.amdhsa_next_free_sgpr 0
		.amdhsa_accum_offset 4
		.amdhsa_reserve_vcc 0
		.amdhsa_reserve_flat_scratch 0
		.amdhsa_float_round_mode_32 0
		.amdhsa_float_round_mode_16_64 0
		.amdhsa_float_denorm_mode_32 3
		.amdhsa_float_denorm_mode_16_64 3
		.amdhsa_dx10_clamp 1
		.amdhsa_ieee_mode 1
		.amdhsa_fp16_overflow 0
		.amdhsa_tg_split 0
		.amdhsa_exception_fp_ieee_invalid_op 0
		.amdhsa_exception_fp_denorm_src 0
		.amdhsa_exception_fp_ieee_div_zero 0
		.amdhsa_exception_fp_ieee_overflow 0
		.amdhsa_exception_fp_ieee_underflow 0
		.amdhsa_exception_fp_ieee_inexact 0
		.amdhsa_exception_int_div_zero 0
	.end_amdhsa_kernel
	.section	.text._ZN7rocprim17ROCPRIM_400000_NS6detail17trampoline_kernelINS0_14default_configENS1_20scan_config_selectorIdEEZZNS1_9scan_implILNS1_25lookback_scan_determinismE0ELb1ELb1ES3_N6thrust23THRUST_200600_302600_NS6detail15normal_iteratorINS9_10device_ptrIdEEEESE_d11max_functorIdEdEEDaPvRmT3_T4_T5_mT6_P12ihipStream_tbENKUlT_T0_E_clISt17integral_constantIbLb1EESU_EEDaSP_SQ_EUlSP_E_NS1_11comp_targetILNS1_3genE10ELNS1_11target_archE1201ELNS1_3gpuE5ELNS1_3repE0EEENS1_30default_config_static_selectorELNS0_4arch9wavefront6targetE1EEEvT1_,"axG",@progbits,_ZN7rocprim17ROCPRIM_400000_NS6detail17trampoline_kernelINS0_14default_configENS1_20scan_config_selectorIdEEZZNS1_9scan_implILNS1_25lookback_scan_determinismE0ELb1ELb1ES3_N6thrust23THRUST_200600_302600_NS6detail15normal_iteratorINS9_10device_ptrIdEEEESE_d11max_functorIdEdEEDaPvRmT3_T4_T5_mT6_P12ihipStream_tbENKUlT_T0_E_clISt17integral_constantIbLb1EESU_EEDaSP_SQ_EUlSP_E_NS1_11comp_targetILNS1_3genE10ELNS1_11target_archE1201ELNS1_3gpuE5ELNS1_3repE0EEENS1_30default_config_static_selectorELNS0_4arch9wavefront6targetE1EEEvT1_,comdat
.Lfunc_end1894:
	.size	_ZN7rocprim17ROCPRIM_400000_NS6detail17trampoline_kernelINS0_14default_configENS1_20scan_config_selectorIdEEZZNS1_9scan_implILNS1_25lookback_scan_determinismE0ELb1ELb1ES3_N6thrust23THRUST_200600_302600_NS6detail15normal_iteratorINS9_10device_ptrIdEEEESE_d11max_functorIdEdEEDaPvRmT3_T4_T5_mT6_P12ihipStream_tbENKUlT_T0_E_clISt17integral_constantIbLb1EESU_EEDaSP_SQ_EUlSP_E_NS1_11comp_targetILNS1_3genE10ELNS1_11target_archE1201ELNS1_3gpuE5ELNS1_3repE0EEENS1_30default_config_static_selectorELNS0_4arch9wavefront6targetE1EEEvT1_, .Lfunc_end1894-_ZN7rocprim17ROCPRIM_400000_NS6detail17trampoline_kernelINS0_14default_configENS1_20scan_config_selectorIdEEZZNS1_9scan_implILNS1_25lookback_scan_determinismE0ELb1ELb1ES3_N6thrust23THRUST_200600_302600_NS6detail15normal_iteratorINS9_10device_ptrIdEEEESE_d11max_functorIdEdEEDaPvRmT3_T4_T5_mT6_P12ihipStream_tbENKUlT_T0_E_clISt17integral_constantIbLb1EESU_EEDaSP_SQ_EUlSP_E_NS1_11comp_targetILNS1_3genE10ELNS1_11target_archE1201ELNS1_3gpuE5ELNS1_3repE0EEENS1_30default_config_static_selectorELNS0_4arch9wavefront6targetE1EEEvT1_
                                        ; -- End function
	.section	.AMDGPU.csdata,"",@progbits
; Kernel info:
; codeLenInByte = 0
; NumSgprs: 4
; NumVgprs: 0
; NumAgprs: 0
; TotalNumVgprs: 0
; ScratchSize: 0
; MemoryBound: 0
; FloatMode: 240
; IeeeMode: 1
; LDSByteSize: 0 bytes/workgroup (compile time only)
; SGPRBlocks: 0
; VGPRBlocks: 0
; NumSGPRsForWavesPerEU: 4
; NumVGPRsForWavesPerEU: 1
; AccumOffset: 4
; Occupancy: 8
; WaveLimiterHint : 0
; COMPUTE_PGM_RSRC2:SCRATCH_EN: 0
; COMPUTE_PGM_RSRC2:USER_SGPR: 6
; COMPUTE_PGM_RSRC2:TRAP_HANDLER: 0
; COMPUTE_PGM_RSRC2:TGID_X_EN: 1
; COMPUTE_PGM_RSRC2:TGID_Y_EN: 0
; COMPUTE_PGM_RSRC2:TGID_Z_EN: 0
; COMPUTE_PGM_RSRC2:TIDIG_COMP_CNT: 0
; COMPUTE_PGM_RSRC3_GFX90A:ACCUM_OFFSET: 0
; COMPUTE_PGM_RSRC3_GFX90A:TG_SPLIT: 0
	.section	.text._ZN7rocprim17ROCPRIM_400000_NS6detail17trampoline_kernelINS0_14default_configENS1_20scan_config_selectorIdEEZZNS1_9scan_implILNS1_25lookback_scan_determinismE0ELb1ELb1ES3_N6thrust23THRUST_200600_302600_NS6detail15normal_iteratorINS9_10device_ptrIdEEEESE_d11max_functorIdEdEEDaPvRmT3_T4_T5_mT6_P12ihipStream_tbENKUlT_T0_E_clISt17integral_constantIbLb1EESU_EEDaSP_SQ_EUlSP_E_NS1_11comp_targetILNS1_3genE10ELNS1_11target_archE1200ELNS1_3gpuE4ELNS1_3repE0EEENS1_30default_config_static_selectorELNS0_4arch9wavefront6targetE1EEEvT1_,"axG",@progbits,_ZN7rocprim17ROCPRIM_400000_NS6detail17trampoline_kernelINS0_14default_configENS1_20scan_config_selectorIdEEZZNS1_9scan_implILNS1_25lookback_scan_determinismE0ELb1ELb1ES3_N6thrust23THRUST_200600_302600_NS6detail15normal_iteratorINS9_10device_ptrIdEEEESE_d11max_functorIdEdEEDaPvRmT3_T4_T5_mT6_P12ihipStream_tbENKUlT_T0_E_clISt17integral_constantIbLb1EESU_EEDaSP_SQ_EUlSP_E_NS1_11comp_targetILNS1_3genE10ELNS1_11target_archE1200ELNS1_3gpuE4ELNS1_3repE0EEENS1_30default_config_static_selectorELNS0_4arch9wavefront6targetE1EEEvT1_,comdat
	.protected	_ZN7rocprim17ROCPRIM_400000_NS6detail17trampoline_kernelINS0_14default_configENS1_20scan_config_selectorIdEEZZNS1_9scan_implILNS1_25lookback_scan_determinismE0ELb1ELb1ES3_N6thrust23THRUST_200600_302600_NS6detail15normal_iteratorINS9_10device_ptrIdEEEESE_d11max_functorIdEdEEDaPvRmT3_T4_T5_mT6_P12ihipStream_tbENKUlT_T0_E_clISt17integral_constantIbLb1EESU_EEDaSP_SQ_EUlSP_E_NS1_11comp_targetILNS1_3genE10ELNS1_11target_archE1200ELNS1_3gpuE4ELNS1_3repE0EEENS1_30default_config_static_selectorELNS0_4arch9wavefront6targetE1EEEvT1_ ; -- Begin function _ZN7rocprim17ROCPRIM_400000_NS6detail17trampoline_kernelINS0_14default_configENS1_20scan_config_selectorIdEEZZNS1_9scan_implILNS1_25lookback_scan_determinismE0ELb1ELb1ES3_N6thrust23THRUST_200600_302600_NS6detail15normal_iteratorINS9_10device_ptrIdEEEESE_d11max_functorIdEdEEDaPvRmT3_T4_T5_mT6_P12ihipStream_tbENKUlT_T0_E_clISt17integral_constantIbLb1EESU_EEDaSP_SQ_EUlSP_E_NS1_11comp_targetILNS1_3genE10ELNS1_11target_archE1200ELNS1_3gpuE4ELNS1_3repE0EEENS1_30default_config_static_selectorELNS0_4arch9wavefront6targetE1EEEvT1_
	.globl	_ZN7rocprim17ROCPRIM_400000_NS6detail17trampoline_kernelINS0_14default_configENS1_20scan_config_selectorIdEEZZNS1_9scan_implILNS1_25lookback_scan_determinismE0ELb1ELb1ES3_N6thrust23THRUST_200600_302600_NS6detail15normal_iteratorINS9_10device_ptrIdEEEESE_d11max_functorIdEdEEDaPvRmT3_T4_T5_mT6_P12ihipStream_tbENKUlT_T0_E_clISt17integral_constantIbLb1EESU_EEDaSP_SQ_EUlSP_E_NS1_11comp_targetILNS1_3genE10ELNS1_11target_archE1200ELNS1_3gpuE4ELNS1_3repE0EEENS1_30default_config_static_selectorELNS0_4arch9wavefront6targetE1EEEvT1_
	.p2align	8
	.type	_ZN7rocprim17ROCPRIM_400000_NS6detail17trampoline_kernelINS0_14default_configENS1_20scan_config_selectorIdEEZZNS1_9scan_implILNS1_25lookback_scan_determinismE0ELb1ELb1ES3_N6thrust23THRUST_200600_302600_NS6detail15normal_iteratorINS9_10device_ptrIdEEEESE_d11max_functorIdEdEEDaPvRmT3_T4_T5_mT6_P12ihipStream_tbENKUlT_T0_E_clISt17integral_constantIbLb1EESU_EEDaSP_SQ_EUlSP_E_NS1_11comp_targetILNS1_3genE10ELNS1_11target_archE1200ELNS1_3gpuE4ELNS1_3repE0EEENS1_30default_config_static_selectorELNS0_4arch9wavefront6targetE1EEEvT1_,@function
_ZN7rocprim17ROCPRIM_400000_NS6detail17trampoline_kernelINS0_14default_configENS1_20scan_config_selectorIdEEZZNS1_9scan_implILNS1_25lookback_scan_determinismE0ELb1ELb1ES3_N6thrust23THRUST_200600_302600_NS6detail15normal_iteratorINS9_10device_ptrIdEEEESE_d11max_functorIdEdEEDaPvRmT3_T4_T5_mT6_P12ihipStream_tbENKUlT_T0_E_clISt17integral_constantIbLb1EESU_EEDaSP_SQ_EUlSP_E_NS1_11comp_targetILNS1_3genE10ELNS1_11target_archE1200ELNS1_3gpuE4ELNS1_3repE0EEENS1_30default_config_static_selectorELNS0_4arch9wavefront6targetE1EEEvT1_: ; @_ZN7rocprim17ROCPRIM_400000_NS6detail17trampoline_kernelINS0_14default_configENS1_20scan_config_selectorIdEEZZNS1_9scan_implILNS1_25lookback_scan_determinismE0ELb1ELb1ES3_N6thrust23THRUST_200600_302600_NS6detail15normal_iteratorINS9_10device_ptrIdEEEESE_d11max_functorIdEdEEDaPvRmT3_T4_T5_mT6_P12ihipStream_tbENKUlT_T0_E_clISt17integral_constantIbLb1EESU_EEDaSP_SQ_EUlSP_E_NS1_11comp_targetILNS1_3genE10ELNS1_11target_archE1200ELNS1_3gpuE4ELNS1_3repE0EEENS1_30default_config_static_selectorELNS0_4arch9wavefront6targetE1EEEvT1_
; %bb.0:
	.section	.rodata,"a",@progbits
	.p2align	6, 0x0
	.amdhsa_kernel _ZN7rocprim17ROCPRIM_400000_NS6detail17trampoline_kernelINS0_14default_configENS1_20scan_config_selectorIdEEZZNS1_9scan_implILNS1_25lookback_scan_determinismE0ELb1ELb1ES3_N6thrust23THRUST_200600_302600_NS6detail15normal_iteratorINS9_10device_ptrIdEEEESE_d11max_functorIdEdEEDaPvRmT3_T4_T5_mT6_P12ihipStream_tbENKUlT_T0_E_clISt17integral_constantIbLb1EESU_EEDaSP_SQ_EUlSP_E_NS1_11comp_targetILNS1_3genE10ELNS1_11target_archE1200ELNS1_3gpuE4ELNS1_3repE0EEENS1_30default_config_static_selectorELNS0_4arch9wavefront6targetE1EEEvT1_
		.amdhsa_group_segment_fixed_size 0
		.amdhsa_private_segment_fixed_size 0
		.amdhsa_kernarg_size 104
		.amdhsa_user_sgpr_count 6
		.amdhsa_user_sgpr_private_segment_buffer 1
		.amdhsa_user_sgpr_dispatch_ptr 0
		.amdhsa_user_sgpr_queue_ptr 0
		.amdhsa_user_sgpr_kernarg_segment_ptr 1
		.amdhsa_user_sgpr_dispatch_id 0
		.amdhsa_user_sgpr_flat_scratch_init 0
		.amdhsa_user_sgpr_kernarg_preload_length 0
		.amdhsa_user_sgpr_kernarg_preload_offset 0
		.amdhsa_user_sgpr_private_segment_size 0
		.amdhsa_uses_dynamic_stack 0
		.amdhsa_system_sgpr_private_segment_wavefront_offset 0
		.amdhsa_system_sgpr_workgroup_id_x 1
		.amdhsa_system_sgpr_workgroup_id_y 0
		.amdhsa_system_sgpr_workgroup_id_z 0
		.amdhsa_system_sgpr_workgroup_info 0
		.amdhsa_system_vgpr_workitem_id 0
		.amdhsa_next_free_vgpr 1
		.amdhsa_next_free_sgpr 0
		.amdhsa_accum_offset 4
		.amdhsa_reserve_vcc 0
		.amdhsa_reserve_flat_scratch 0
		.amdhsa_float_round_mode_32 0
		.amdhsa_float_round_mode_16_64 0
		.amdhsa_float_denorm_mode_32 3
		.amdhsa_float_denorm_mode_16_64 3
		.amdhsa_dx10_clamp 1
		.amdhsa_ieee_mode 1
		.amdhsa_fp16_overflow 0
		.amdhsa_tg_split 0
		.amdhsa_exception_fp_ieee_invalid_op 0
		.amdhsa_exception_fp_denorm_src 0
		.amdhsa_exception_fp_ieee_div_zero 0
		.amdhsa_exception_fp_ieee_overflow 0
		.amdhsa_exception_fp_ieee_underflow 0
		.amdhsa_exception_fp_ieee_inexact 0
		.amdhsa_exception_int_div_zero 0
	.end_amdhsa_kernel
	.section	.text._ZN7rocprim17ROCPRIM_400000_NS6detail17trampoline_kernelINS0_14default_configENS1_20scan_config_selectorIdEEZZNS1_9scan_implILNS1_25lookback_scan_determinismE0ELb1ELb1ES3_N6thrust23THRUST_200600_302600_NS6detail15normal_iteratorINS9_10device_ptrIdEEEESE_d11max_functorIdEdEEDaPvRmT3_T4_T5_mT6_P12ihipStream_tbENKUlT_T0_E_clISt17integral_constantIbLb1EESU_EEDaSP_SQ_EUlSP_E_NS1_11comp_targetILNS1_3genE10ELNS1_11target_archE1200ELNS1_3gpuE4ELNS1_3repE0EEENS1_30default_config_static_selectorELNS0_4arch9wavefront6targetE1EEEvT1_,"axG",@progbits,_ZN7rocprim17ROCPRIM_400000_NS6detail17trampoline_kernelINS0_14default_configENS1_20scan_config_selectorIdEEZZNS1_9scan_implILNS1_25lookback_scan_determinismE0ELb1ELb1ES3_N6thrust23THRUST_200600_302600_NS6detail15normal_iteratorINS9_10device_ptrIdEEEESE_d11max_functorIdEdEEDaPvRmT3_T4_T5_mT6_P12ihipStream_tbENKUlT_T0_E_clISt17integral_constantIbLb1EESU_EEDaSP_SQ_EUlSP_E_NS1_11comp_targetILNS1_3genE10ELNS1_11target_archE1200ELNS1_3gpuE4ELNS1_3repE0EEENS1_30default_config_static_selectorELNS0_4arch9wavefront6targetE1EEEvT1_,comdat
.Lfunc_end1895:
	.size	_ZN7rocprim17ROCPRIM_400000_NS6detail17trampoline_kernelINS0_14default_configENS1_20scan_config_selectorIdEEZZNS1_9scan_implILNS1_25lookback_scan_determinismE0ELb1ELb1ES3_N6thrust23THRUST_200600_302600_NS6detail15normal_iteratorINS9_10device_ptrIdEEEESE_d11max_functorIdEdEEDaPvRmT3_T4_T5_mT6_P12ihipStream_tbENKUlT_T0_E_clISt17integral_constantIbLb1EESU_EEDaSP_SQ_EUlSP_E_NS1_11comp_targetILNS1_3genE10ELNS1_11target_archE1200ELNS1_3gpuE4ELNS1_3repE0EEENS1_30default_config_static_selectorELNS0_4arch9wavefront6targetE1EEEvT1_, .Lfunc_end1895-_ZN7rocprim17ROCPRIM_400000_NS6detail17trampoline_kernelINS0_14default_configENS1_20scan_config_selectorIdEEZZNS1_9scan_implILNS1_25lookback_scan_determinismE0ELb1ELb1ES3_N6thrust23THRUST_200600_302600_NS6detail15normal_iteratorINS9_10device_ptrIdEEEESE_d11max_functorIdEdEEDaPvRmT3_T4_T5_mT6_P12ihipStream_tbENKUlT_T0_E_clISt17integral_constantIbLb1EESU_EEDaSP_SQ_EUlSP_E_NS1_11comp_targetILNS1_3genE10ELNS1_11target_archE1200ELNS1_3gpuE4ELNS1_3repE0EEENS1_30default_config_static_selectorELNS0_4arch9wavefront6targetE1EEEvT1_
                                        ; -- End function
	.section	.AMDGPU.csdata,"",@progbits
; Kernel info:
; codeLenInByte = 0
; NumSgprs: 4
; NumVgprs: 0
; NumAgprs: 0
; TotalNumVgprs: 0
; ScratchSize: 0
; MemoryBound: 0
; FloatMode: 240
; IeeeMode: 1
; LDSByteSize: 0 bytes/workgroup (compile time only)
; SGPRBlocks: 0
; VGPRBlocks: 0
; NumSGPRsForWavesPerEU: 4
; NumVGPRsForWavesPerEU: 1
; AccumOffset: 4
; Occupancy: 8
; WaveLimiterHint : 0
; COMPUTE_PGM_RSRC2:SCRATCH_EN: 0
; COMPUTE_PGM_RSRC2:USER_SGPR: 6
; COMPUTE_PGM_RSRC2:TRAP_HANDLER: 0
; COMPUTE_PGM_RSRC2:TGID_X_EN: 1
; COMPUTE_PGM_RSRC2:TGID_Y_EN: 0
; COMPUTE_PGM_RSRC2:TGID_Z_EN: 0
; COMPUTE_PGM_RSRC2:TIDIG_COMP_CNT: 0
; COMPUTE_PGM_RSRC3_GFX90A:ACCUM_OFFSET: 0
; COMPUTE_PGM_RSRC3_GFX90A:TG_SPLIT: 0
	.section	.text._ZN7rocprim17ROCPRIM_400000_NS6detail17trampoline_kernelINS0_14default_configENS1_20scan_config_selectorIdEEZZNS1_9scan_implILNS1_25lookback_scan_determinismE0ELb1ELb1ES3_N6thrust23THRUST_200600_302600_NS6detail15normal_iteratorINS9_10device_ptrIdEEEESE_d11max_functorIdEdEEDaPvRmT3_T4_T5_mT6_P12ihipStream_tbENKUlT_T0_E_clISt17integral_constantIbLb1EESU_EEDaSP_SQ_EUlSP_E_NS1_11comp_targetILNS1_3genE9ELNS1_11target_archE1100ELNS1_3gpuE3ELNS1_3repE0EEENS1_30default_config_static_selectorELNS0_4arch9wavefront6targetE1EEEvT1_,"axG",@progbits,_ZN7rocprim17ROCPRIM_400000_NS6detail17trampoline_kernelINS0_14default_configENS1_20scan_config_selectorIdEEZZNS1_9scan_implILNS1_25lookback_scan_determinismE0ELb1ELb1ES3_N6thrust23THRUST_200600_302600_NS6detail15normal_iteratorINS9_10device_ptrIdEEEESE_d11max_functorIdEdEEDaPvRmT3_T4_T5_mT6_P12ihipStream_tbENKUlT_T0_E_clISt17integral_constantIbLb1EESU_EEDaSP_SQ_EUlSP_E_NS1_11comp_targetILNS1_3genE9ELNS1_11target_archE1100ELNS1_3gpuE3ELNS1_3repE0EEENS1_30default_config_static_selectorELNS0_4arch9wavefront6targetE1EEEvT1_,comdat
	.protected	_ZN7rocprim17ROCPRIM_400000_NS6detail17trampoline_kernelINS0_14default_configENS1_20scan_config_selectorIdEEZZNS1_9scan_implILNS1_25lookback_scan_determinismE0ELb1ELb1ES3_N6thrust23THRUST_200600_302600_NS6detail15normal_iteratorINS9_10device_ptrIdEEEESE_d11max_functorIdEdEEDaPvRmT3_T4_T5_mT6_P12ihipStream_tbENKUlT_T0_E_clISt17integral_constantIbLb1EESU_EEDaSP_SQ_EUlSP_E_NS1_11comp_targetILNS1_3genE9ELNS1_11target_archE1100ELNS1_3gpuE3ELNS1_3repE0EEENS1_30default_config_static_selectorELNS0_4arch9wavefront6targetE1EEEvT1_ ; -- Begin function _ZN7rocprim17ROCPRIM_400000_NS6detail17trampoline_kernelINS0_14default_configENS1_20scan_config_selectorIdEEZZNS1_9scan_implILNS1_25lookback_scan_determinismE0ELb1ELb1ES3_N6thrust23THRUST_200600_302600_NS6detail15normal_iteratorINS9_10device_ptrIdEEEESE_d11max_functorIdEdEEDaPvRmT3_T4_T5_mT6_P12ihipStream_tbENKUlT_T0_E_clISt17integral_constantIbLb1EESU_EEDaSP_SQ_EUlSP_E_NS1_11comp_targetILNS1_3genE9ELNS1_11target_archE1100ELNS1_3gpuE3ELNS1_3repE0EEENS1_30default_config_static_selectorELNS0_4arch9wavefront6targetE1EEEvT1_
	.globl	_ZN7rocprim17ROCPRIM_400000_NS6detail17trampoline_kernelINS0_14default_configENS1_20scan_config_selectorIdEEZZNS1_9scan_implILNS1_25lookback_scan_determinismE0ELb1ELb1ES3_N6thrust23THRUST_200600_302600_NS6detail15normal_iteratorINS9_10device_ptrIdEEEESE_d11max_functorIdEdEEDaPvRmT3_T4_T5_mT6_P12ihipStream_tbENKUlT_T0_E_clISt17integral_constantIbLb1EESU_EEDaSP_SQ_EUlSP_E_NS1_11comp_targetILNS1_3genE9ELNS1_11target_archE1100ELNS1_3gpuE3ELNS1_3repE0EEENS1_30default_config_static_selectorELNS0_4arch9wavefront6targetE1EEEvT1_
	.p2align	8
	.type	_ZN7rocprim17ROCPRIM_400000_NS6detail17trampoline_kernelINS0_14default_configENS1_20scan_config_selectorIdEEZZNS1_9scan_implILNS1_25lookback_scan_determinismE0ELb1ELb1ES3_N6thrust23THRUST_200600_302600_NS6detail15normal_iteratorINS9_10device_ptrIdEEEESE_d11max_functorIdEdEEDaPvRmT3_T4_T5_mT6_P12ihipStream_tbENKUlT_T0_E_clISt17integral_constantIbLb1EESU_EEDaSP_SQ_EUlSP_E_NS1_11comp_targetILNS1_3genE9ELNS1_11target_archE1100ELNS1_3gpuE3ELNS1_3repE0EEENS1_30default_config_static_selectorELNS0_4arch9wavefront6targetE1EEEvT1_,@function
_ZN7rocprim17ROCPRIM_400000_NS6detail17trampoline_kernelINS0_14default_configENS1_20scan_config_selectorIdEEZZNS1_9scan_implILNS1_25lookback_scan_determinismE0ELb1ELb1ES3_N6thrust23THRUST_200600_302600_NS6detail15normal_iteratorINS9_10device_ptrIdEEEESE_d11max_functorIdEdEEDaPvRmT3_T4_T5_mT6_P12ihipStream_tbENKUlT_T0_E_clISt17integral_constantIbLb1EESU_EEDaSP_SQ_EUlSP_E_NS1_11comp_targetILNS1_3genE9ELNS1_11target_archE1100ELNS1_3gpuE3ELNS1_3repE0EEENS1_30default_config_static_selectorELNS0_4arch9wavefront6targetE1EEEvT1_: ; @_ZN7rocprim17ROCPRIM_400000_NS6detail17trampoline_kernelINS0_14default_configENS1_20scan_config_selectorIdEEZZNS1_9scan_implILNS1_25lookback_scan_determinismE0ELb1ELb1ES3_N6thrust23THRUST_200600_302600_NS6detail15normal_iteratorINS9_10device_ptrIdEEEESE_d11max_functorIdEdEEDaPvRmT3_T4_T5_mT6_P12ihipStream_tbENKUlT_T0_E_clISt17integral_constantIbLb1EESU_EEDaSP_SQ_EUlSP_E_NS1_11comp_targetILNS1_3genE9ELNS1_11target_archE1100ELNS1_3gpuE3ELNS1_3repE0EEENS1_30default_config_static_selectorELNS0_4arch9wavefront6targetE1EEEvT1_
; %bb.0:
	.section	.rodata,"a",@progbits
	.p2align	6, 0x0
	.amdhsa_kernel _ZN7rocprim17ROCPRIM_400000_NS6detail17trampoline_kernelINS0_14default_configENS1_20scan_config_selectorIdEEZZNS1_9scan_implILNS1_25lookback_scan_determinismE0ELb1ELb1ES3_N6thrust23THRUST_200600_302600_NS6detail15normal_iteratorINS9_10device_ptrIdEEEESE_d11max_functorIdEdEEDaPvRmT3_T4_T5_mT6_P12ihipStream_tbENKUlT_T0_E_clISt17integral_constantIbLb1EESU_EEDaSP_SQ_EUlSP_E_NS1_11comp_targetILNS1_3genE9ELNS1_11target_archE1100ELNS1_3gpuE3ELNS1_3repE0EEENS1_30default_config_static_selectorELNS0_4arch9wavefront6targetE1EEEvT1_
		.amdhsa_group_segment_fixed_size 0
		.amdhsa_private_segment_fixed_size 0
		.amdhsa_kernarg_size 104
		.amdhsa_user_sgpr_count 6
		.amdhsa_user_sgpr_private_segment_buffer 1
		.amdhsa_user_sgpr_dispatch_ptr 0
		.amdhsa_user_sgpr_queue_ptr 0
		.amdhsa_user_sgpr_kernarg_segment_ptr 1
		.amdhsa_user_sgpr_dispatch_id 0
		.amdhsa_user_sgpr_flat_scratch_init 0
		.amdhsa_user_sgpr_kernarg_preload_length 0
		.amdhsa_user_sgpr_kernarg_preload_offset 0
		.amdhsa_user_sgpr_private_segment_size 0
		.amdhsa_uses_dynamic_stack 0
		.amdhsa_system_sgpr_private_segment_wavefront_offset 0
		.amdhsa_system_sgpr_workgroup_id_x 1
		.amdhsa_system_sgpr_workgroup_id_y 0
		.amdhsa_system_sgpr_workgroup_id_z 0
		.amdhsa_system_sgpr_workgroup_info 0
		.amdhsa_system_vgpr_workitem_id 0
		.amdhsa_next_free_vgpr 1
		.amdhsa_next_free_sgpr 0
		.amdhsa_accum_offset 4
		.amdhsa_reserve_vcc 0
		.amdhsa_reserve_flat_scratch 0
		.amdhsa_float_round_mode_32 0
		.amdhsa_float_round_mode_16_64 0
		.amdhsa_float_denorm_mode_32 3
		.amdhsa_float_denorm_mode_16_64 3
		.amdhsa_dx10_clamp 1
		.amdhsa_ieee_mode 1
		.amdhsa_fp16_overflow 0
		.amdhsa_tg_split 0
		.amdhsa_exception_fp_ieee_invalid_op 0
		.amdhsa_exception_fp_denorm_src 0
		.amdhsa_exception_fp_ieee_div_zero 0
		.amdhsa_exception_fp_ieee_overflow 0
		.amdhsa_exception_fp_ieee_underflow 0
		.amdhsa_exception_fp_ieee_inexact 0
		.amdhsa_exception_int_div_zero 0
	.end_amdhsa_kernel
	.section	.text._ZN7rocprim17ROCPRIM_400000_NS6detail17trampoline_kernelINS0_14default_configENS1_20scan_config_selectorIdEEZZNS1_9scan_implILNS1_25lookback_scan_determinismE0ELb1ELb1ES3_N6thrust23THRUST_200600_302600_NS6detail15normal_iteratorINS9_10device_ptrIdEEEESE_d11max_functorIdEdEEDaPvRmT3_T4_T5_mT6_P12ihipStream_tbENKUlT_T0_E_clISt17integral_constantIbLb1EESU_EEDaSP_SQ_EUlSP_E_NS1_11comp_targetILNS1_3genE9ELNS1_11target_archE1100ELNS1_3gpuE3ELNS1_3repE0EEENS1_30default_config_static_selectorELNS0_4arch9wavefront6targetE1EEEvT1_,"axG",@progbits,_ZN7rocprim17ROCPRIM_400000_NS6detail17trampoline_kernelINS0_14default_configENS1_20scan_config_selectorIdEEZZNS1_9scan_implILNS1_25lookback_scan_determinismE0ELb1ELb1ES3_N6thrust23THRUST_200600_302600_NS6detail15normal_iteratorINS9_10device_ptrIdEEEESE_d11max_functorIdEdEEDaPvRmT3_T4_T5_mT6_P12ihipStream_tbENKUlT_T0_E_clISt17integral_constantIbLb1EESU_EEDaSP_SQ_EUlSP_E_NS1_11comp_targetILNS1_3genE9ELNS1_11target_archE1100ELNS1_3gpuE3ELNS1_3repE0EEENS1_30default_config_static_selectorELNS0_4arch9wavefront6targetE1EEEvT1_,comdat
.Lfunc_end1896:
	.size	_ZN7rocprim17ROCPRIM_400000_NS6detail17trampoline_kernelINS0_14default_configENS1_20scan_config_selectorIdEEZZNS1_9scan_implILNS1_25lookback_scan_determinismE0ELb1ELb1ES3_N6thrust23THRUST_200600_302600_NS6detail15normal_iteratorINS9_10device_ptrIdEEEESE_d11max_functorIdEdEEDaPvRmT3_T4_T5_mT6_P12ihipStream_tbENKUlT_T0_E_clISt17integral_constantIbLb1EESU_EEDaSP_SQ_EUlSP_E_NS1_11comp_targetILNS1_3genE9ELNS1_11target_archE1100ELNS1_3gpuE3ELNS1_3repE0EEENS1_30default_config_static_selectorELNS0_4arch9wavefront6targetE1EEEvT1_, .Lfunc_end1896-_ZN7rocprim17ROCPRIM_400000_NS6detail17trampoline_kernelINS0_14default_configENS1_20scan_config_selectorIdEEZZNS1_9scan_implILNS1_25lookback_scan_determinismE0ELb1ELb1ES3_N6thrust23THRUST_200600_302600_NS6detail15normal_iteratorINS9_10device_ptrIdEEEESE_d11max_functorIdEdEEDaPvRmT3_T4_T5_mT6_P12ihipStream_tbENKUlT_T0_E_clISt17integral_constantIbLb1EESU_EEDaSP_SQ_EUlSP_E_NS1_11comp_targetILNS1_3genE9ELNS1_11target_archE1100ELNS1_3gpuE3ELNS1_3repE0EEENS1_30default_config_static_selectorELNS0_4arch9wavefront6targetE1EEEvT1_
                                        ; -- End function
	.section	.AMDGPU.csdata,"",@progbits
; Kernel info:
; codeLenInByte = 0
; NumSgprs: 4
; NumVgprs: 0
; NumAgprs: 0
; TotalNumVgprs: 0
; ScratchSize: 0
; MemoryBound: 0
; FloatMode: 240
; IeeeMode: 1
; LDSByteSize: 0 bytes/workgroup (compile time only)
; SGPRBlocks: 0
; VGPRBlocks: 0
; NumSGPRsForWavesPerEU: 4
; NumVGPRsForWavesPerEU: 1
; AccumOffset: 4
; Occupancy: 8
; WaveLimiterHint : 0
; COMPUTE_PGM_RSRC2:SCRATCH_EN: 0
; COMPUTE_PGM_RSRC2:USER_SGPR: 6
; COMPUTE_PGM_RSRC2:TRAP_HANDLER: 0
; COMPUTE_PGM_RSRC2:TGID_X_EN: 1
; COMPUTE_PGM_RSRC2:TGID_Y_EN: 0
; COMPUTE_PGM_RSRC2:TGID_Z_EN: 0
; COMPUTE_PGM_RSRC2:TIDIG_COMP_CNT: 0
; COMPUTE_PGM_RSRC3_GFX90A:ACCUM_OFFSET: 0
; COMPUTE_PGM_RSRC3_GFX90A:TG_SPLIT: 0
	.section	.text._ZN7rocprim17ROCPRIM_400000_NS6detail17trampoline_kernelINS0_14default_configENS1_20scan_config_selectorIdEEZZNS1_9scan_implILNS1_25lookback_scan_determinismE0ELb1ELb1ES3_N6thrust23THRUST_200600_302600_NS6detail15normal_iteratorINS9_10device_ptrIdEEEESE_d11max_functorIdEdEEDaPvRmT3_T4_T5_mT6_P12ihipStream_tbENKUlT_T0_E_clISt17integral_constantIbLb1EESU_EEDaSP_SQ_EUlSP_E_NS1_11comp_targetILNS1_3genE8ELNS1_11target_archE1030ELNS1_3gpuE2ELNS1_3repE0EEENS1_30default_config_static_selectorELNS0_4arch9wavefront6targetE1EEEvT1_,"axG",@progbits,_ZN7rocprim17ROCPRIM_400000_NS6detail17trampoline_kernelINS0_14default_configENS1_20scan_config_selectorIdEEZZNS1_9scan_implILNS1_25lookback_scan_determinismE0ELb1ELb1ES3_N6thrust23THRUST_200600_302600_NS6detail15normal_iteratorINS9_10device_ptrIdEEEESE_d11max_functorIdEdEEDaPvRmT3_T4_T5_mT6_P12ihipStream_tbENKUlT_T0_E_clISt17integral_constantIbLb1EESU_EEDaSP_SQ_EUlSP_E_NS1_11comp_targetILNS1_3genE8ELNS1_11target_archE1030ELNS1_3gpuE2ELNS1_3repE0EEENS1_30default_config_static_selectorELNS0_4arch9wavefront6targetE1EEEvT1_,comdat
	.protected	_ZN7rocprim17ROCPRIM_400000_NS6detail17trampoline_kernelINS0_14default_configENS1_20scan_config_selectorIdEEZZNS1_9scan_implILNS1_25lookback_scan_determinismE0ELb1ELb1ES3_N6thrust23THRUST_200600_302600_NS6detail15normal_iteratorINS9_10device_ptrIdEEEESE_d11max_functorIdEdEEDaPvRmT3_T4_T5_mT6_P12ihipStream_tbENKUlT_T0_E_clISt17integral_constantIbLb1EESU_EEDaSP_SQ_EUlSP_E_NS1_11comp_targetILNS1_3genE8ELNS1_11target_archE1030ELNS1_3gpuE2ELNS1_3repE0EEENS1_30default_config_static_selectorELNS0_4arch9wavefront6targetE1EEEvT1_ ; -- Begin function _ZN7rocprim17ROCPRIM_400000_NS6detail17trampoline_kernelINS0_14default_configENS1_20scan_config_selectorIdEEZZNS1_9scan_implILNS1_25lookback_scan_determinismE0ELb1ELb1ES3_N6thrust23THRUST_200600_302600_NS6detail15normal_iteratorINS9_10device_ptrIdEEEESE_d11max_functorIdEdEEDaPvRmT3_T4_T5_mT6_P12ihipStream_tbENKUlT_T0_E_clISt17integral_constantIbLb1EESU_EEDaSP_SQ_EUlSP_E_NS1_11comp_targetILNS1_3genE8ELNS1_11target_archE1030ELNS1_3gpuE2ELNS1_3repE0EEENS1_30default_config_static_selectorELNS0_4arch9wavefront6targetE1EEEvT1_
	.globl	_ZN7rocprim17ROCPRIM_400000_NS6detail17trampoline_kernelINS0_14default_configENS1_20scan_config_selectorIdEEZZNS1_9scan_implILNS1_25lookback_scan_determinismE0ELb1ELb1ES3_N6thrust23THRUST_200600_302600_NS6detail15normal_iteratorINS9_10device_ptrIdEEEESE_d11max_functorIdEdEEDaPvRmT3_T4_T5_mT6_P12ihipStream_tbENKUlT_T0_E_clISt17integral_constantIbLb1EESU_EEDaSP_SQ_EUlSP_E_NS1_11comp_targetILNS1_3genE8ELNS1_11target_archE1030ELNS1_3gpuE2ELNS1_3repE0EEENS1_30default_config_static_selectorELNS0_4arch9wavefront6targetE1EEEvT1_
	.p2align	8
	.type	_ZN7rocprim17ROCPRIM_400000_NS6detail17trampoline_kernelINS0_14default_configENS1_20scan_config_selectorIdEEZZNS1_9scan_implILNS1_25lookback_scan_determinismE0ELb1ELb1ES3_N6thrust23THRUST_200600_302600_NS6detail15normal_iteratorINS9_10device_ptrIdEEEESE_d11max_functorIdEdEEDaPvRmT3_T4_T5_mT6_P12ihipStream_tbENKUlT_T0_E_clISt17integral_constantIbLb1EESU_EEDaSP_SQ_EUlSP_E_NS1_11comp_targetILNS1_3genE8ELNS1_11target_archE1030ELNS1_3gpuE2ELNS1_3repE0EEENS1_30default_config_static_selectorELNS0_4arch9wavefront6targetE1EEEvT1_,@function
_ZN7rocprim17ROCPRIM_400000_NS6detail17trampoline_kernelINS0_14default_configENS1_20scan_config_selectorIdEEZZNS1_9scan_implILNS1_25lookback_scan_determinismE0ELb1ELb1ES3_N6thrust23THRUST_200600_302600_NS6detail15normal_iteratorINS9_10device_ptrIdEEEESE_d11max_functorIdEdEEDaPvRmT3_T4_T5_mT6_P12ihipStream_tbENKUlT_T0_E_clISt17integral_constantIbLb1EESU_EEDaSP_SQ_EUlSP_E_NS1_11comp_targetILNS1_3genE8ELNS1_11target_archE1030ELNS1_3gpuE2ELNS1_3repE0EEENS1_30default_config_static_selectorELNS0_4arch9wavefront6targetE1EEEvT1_: ; @_ZN7rocprim17ROCPRIM_400000_NS6detail17trampoline_kernelINS0_14default_configENS1_20scan_config_selectorIdEEZZNS1_9scan_implILNS1_25lookback_scan_determinismE0ELb1ELb1ES3_N6thrust23THRUST_200600_302600_NS6detail15normal_iteratorINS9_10device_ptrIdEEEESE_d11max_functorIdEdEEDaPvRmT3_T4_T5_mT6_P12ihipStream_tbENKUlT_T0_E_clISt17integral_constantIbLb1EESU_EEDaSP_SQ_EUlSP_E_NS1_11comp_targetILNS1_3genE8ELNS1_11target_archE1030ELNS1_3gpuE2ELNS1_3repE0EEENS1_30default_config_static_selectorELNS0_4arch9wavefront6targetE1EEEvT1_
; %bb.0:
	.section	.rodata,"a",@progbits
	.p2align	6, 0x0
	.amdhsa_kernel _ZN7rocprim17ROCPRIM_400000_NS6detail17trampoline_kernelINS0_14default_configENS1_20scan_config_selectorIdEEZZNS1_9scan_implILNS1_25lookback_scan_determinismE0ELb1ELb1ES3_N6thrust23THRUST_200600_302600_NS6detail15normal_iteratorINS9_10device_ptrIdEEEESE_d11max_functorIdEdEEDaPvRmT3_T4_T5_mT6_P12ihipStream_tbENKUlT_T0_E_clISt17integral_constantIbLb1EESU_EEDaSP_SQ_EUlSP_E_NS1_11comp_targetILNS1_3genE8ELNS1_11target_archE1030ELNS1_3gpuE2ELNS1_3repE0EEENS1_30default_config_static_selectorELNS0_4arch9wavefront6targetE1EEEvT1_
		.amdhsa_group_segment_fixed_size 0
		.amdhsa_private_segment_fixed_size 0
		.amdhsa_kernarg_size 104
		.amdhsa_user_sgpr_count 6
		.amdhsa_user_sgpr_private_segment_buffer 1
		.amdhsa_user_sgpr_dispatch_ptr 0
		.amdhsa_user_sgpr_queue_ptr 0
		.amdhsa_user_sgpr_kernarg_segment_ptr 1
		.amdhsa_user_sgpr_dispatch_id 0
		.amdhsa_user_sgpr_flat_scratch_init 0
		.amdhsa_user_sgpr_kernarg_preload_length 0
		.amdhsa_user_sgpr_kernarg_preload_offset 0
		.amdhsa_user_sgpr_private_segment_size 0
		.amdhsa_uses_dynamic_stack 0
		.amdhsa_system_sgpr_private_segment_wavefront_offset 0
		.amdhsa_system_sgpr_workgroup_id_x 1
		.amdhsa_system_sgpr_workgroup_id_y 0
		.amdhsa_system_sgpr_workgroup_id_z 0
		.amdhsa_system_sgpr_workgroup_info 0
		.amdhsa_system_vgpr_workitem_id 0
		.amdhsa_next_free_vgpr 1
		.amdhsa_next_free_sgpr 0
		.amdhsa_accum_offset 4
		.amdhsa_reserve_vcc 0
		.amdhsa_reserve_flat_scratch 0
		.amdhsa_float_round_mode_32 0
		.amdhsa_float_round_mode_16_64 0
		.amdhsa_float_denorm_mode_32 3
		.amdhsa_float_denorm_mode_16_64 3
		.amdhsa_dx10_clamp 1
		.amdhsa_ieee_mode 1
		.amdhsa_fp16_overflow 0
		.amdhsa_tg_split 0
		.amdhsa_exception_fp_ieee_invalid_op 0
		.amdhsa_exception_fp_denorm_src 0
		.amdhsa_exception_fp_ieee_div_zero 0
		.amdhsa_exception_fp_ieee_overflow 0
		.amdhsa_exception_fp_ieee_underflow 0
		.amdhsa_exception_fp_ieee_inexact 0
		.amdhsa_exception_int_div_zero 0
	.end_amdhsa_kernel
	.section	.text._ZN7rocprim17ROCPRIM_400000_NS6detail17trampoline_kernelINS0_14default_configENS1_20scan_config_selectorIdEEZZNS1_9scan_implILNS1_25lookback_scan_determinismE0ELb1ELb1ES3_N6thrust23THRUST_200600_302600_NS6detail15normal_iteratorINS9_10device_ptrIdEEEESE_d11max_functorIdEdEEDaPvRmT3_T4_T5_mT6_P12ihipStream_tbENKUlT_T0_E_clISt17integral_constantIbLb1EESU_EEDaSP_SQ_EUlSP_E_NS1_11comp_targetILNS1_3genE8ELNS1_11target_archE1030ELNS1_3gpuE2ELNS1_3repE0EEENS1_30default_config_static_selectorELNS0_4arch9wavefront6targetE1EEEvT1_,"axG",@progbits,_ZN7rocprim17ROCPRIM_400000_NS6detail17trampoline_kernelINS0_14default_configENS1_20scan_config_selectorIdEEZZNS1_9scan_implILNS1_25lookback_scan_determinismE0ELb1ELb1ES3_N6thrust23THRUST_200600_302600_NS6detail15normal_iteratorINS9_10device_ptrIdEEEESE_d11max_functorIdEdEEDaPvRmT3_T4_T5_mT6_P12ihipStream_tbENKUlT_T0_E_clISt17integral_constantIbLb1EESU_EEDaSP_SQ_EUlSP_E_NS1_11comp_targetILNS1_3genE8ELNS1_11target_archE1030ELNS1_3gpuE2ELNS1_3repE0EEENS1_30default_config_static_selectorELNS0_4arch9wavefront6targetE1EEEvT1_,comdat
.Lfunc_end1897:
	.size	_ZN7rocprim17ROCPRIM_400000_NS6detail17trampoline_kernelINS0_14default_configENS1_20scan_config_selectorIdEEZZNS1_9scan_implILNS1_25lookback_scan_determinismE0ELb1ELb1ES3_N6thrust23THRUST_200600_302600_NS6detail15normal_iteratorINS9_10device_ptrIdEEEESE_d11max_functorIdEdEEDaPvRmT3_T4_T5_mT6_P12ihipStream_tbENKUlT_T0_E_clISt17integral_constantIbLb1EESU_EEDaSP_SQ_EUlSP_E_NS1_11comp_targetILNS1_3genE8ELNS1_11target_archE1030ELNS1_3gpuE2ELNS1_3repE0EEENS1_30default_config_static_selectorELNS0_4arch9wavefront6targetE1EEEvT1_, .Lfunc_end1897-_ZN7rocprim17ROCPRIM_400000_NS6detail17trampoline_kernelINS0_14default_configENS1_20scan_config_selectorIdEEZZNS1_9scan_implILNS1_25lookback_scan_determinismE0ELb1ELb1ES3_N6thrust23THRUST_200600_302600_NS6detail15normal_iteratorINS9_10device_ptrIdEEEESE_d11max_functorIdEdEEDaPvRmT3_T4_T5_mT6_P12ihipStream_tbENKUlT_T0_E_clISt17integral_constantIbLb1EESU_EEDaSP_SQ_EUlSP_E_NS1_11comp_targetILNS1_3genE8ELNS1_11target_archE1030ELNS1_3gpuE2ELNS1_3repE0EEENS1_30default_config_static_selectorELNS0_4arch9wavefront6targetE1EEEvT1_
                                        ; -- End function
	.section	.AMDGPU.csdata,"",@progbits
; Kernel info:
; codeLenInByte = 0
; NumSgprs: 4
; NumVgprs: 0
; NumAgprs: 0
; TotalNumVgprs: 0
; ScratchSize: 0
; MemoryBound: 0
; FloatMode: 240
; IeeeMode: 1
; LDSByteSize: 0 bytes/workgroup (compile time only)
; SGPRBlocks: 0
; VGPRBlocks: 0
; NumSGPRsForWavesPerEU: 4
; NumVGPRsForWavesPerEU: 1
; AccumOffset: 4
; Occupancy: 8
; WaveLimiterHint : 0
; COMPUTE_PGM_RSRC2:SCRATCH_EN: 0
; COMPUTE_PGM_RSRC2:USER_SGPR: 6
; COMPUTE_PGM_RSRC2:TRAP_HANDLER: 0
; COMPUTE_PGM_RSRC2:TGID_X_EN: 1
; COMPUTE_PGM_RSRC2:TGID_Y_EN: 0
; COMPUTE_PGM_RSRC2:TGID_Z_EN: 0
; COMPUTE_PGM_RSRC2:TIDIG_COMP_CNT: 0
; COMPUTE_PGM_RSRC3_GFX90A:ACCUM_OFFSET: 0
; COMPUTE_PGM_RSRC3_GFX90A:TG_SPLIT: 0
	.section	.text._ZN7rocprim17ROCPRIM_400000_NS6detail17trampoline_kernelINS0_14default_configENS1_20scan_config_selectorIdEEZZNS1_9scan_implILNS1_25lookback_scan_determinismE0ELb1ELb1ES3_N6thrust23THRUST_200600_302600_NS6detail15normal_iteratorINS9_10device_ptrIdEEEESE_d11max_functorIdEdEEDaPvRmT3_T4_T5_mT6_P12ihipStream_tbENKUlT_T0_E_clISt17integral_constantIbLb1EESU_EEDaSP_SQ_EUlSP_E0_NS1_11comp_targetILNS1_3genE0ELNS1_11target_archE4294967295ELNS1_3gpuE0ELNS1_3repE0EEENS1_30default_config_static_selectorELNS0_4arch9wavefront6targetE1EEEvT1_,"axG",@progbits,_ZN7rocprim17ROCPRIM_400000_NS6detail17trampoline_kernelINS0_14default_configENS1_20scan_config_selectorIdEEZZNS1_9scan_implILNS1_25lookback_scan_determinismE0ELb1ELb1ES3_N6thrust23THRUST_200600_302600_NS6detail15normal_iteratorINS9_10device_ptrIdEEEESE_d11max_functorIdEdEEDaPvRmT3_T4_T5_mT6_P12ihipStream_tbENKUlT_T0_E_clISt17integral_constantIbLb1EESU_EEDaSP_SQ_EUlSP_E0_NS1_11comp_targetILNS1_3genE0ELNS1_11target_archE4294967295ELNS1_3gpuE0ELNS1_3repE0EEENS1_30default_config_static_selectorELNS0_4arch9wavefront6targetE1EEEvT1_,comdat
	.protected	_ZN7rocprim17ROCPRIM_400000_NS6detail17trampoline_kernelINS0_14default_configENS1_20scan_config_selectorIdEEZZNS1_9scan_implILNS1_25lookback_scan_determinismE0ELb1ELb1ES3_N6thrust23THRUST_200600_302600_NS6detail15normal_iteratorINS9_10device_ptrIdEEEESE_d11max_functorIdEdEEDaPvRmT3_T4_T5_mT6_P12ihipStream_tbENKUlT_T0_E_clISt17integral_constantIbLb1EESU_EEDaSP_SQ_EUlSP_E0_NS1_11comp_targetILNS1_3genE0ELNS1_11target_archE4294967295ELNS1_3gpuE0ELNS1_3repE0EEENS1_30default_config_static_selectorELNS0_4arch9wavefront6targetE1EEEvT1_ ; -- Begin function _ZN7rocprim17ROCPRIM_400000_NS6detail17trampoline_kernelINS0_14default_configENS1_20scan_config_selectorIdEEZZNS1_9scan_implILNS1_25lookback_scan_determinismE0ELb1ELb1ES3_N6thrust23THRUST_200600_302600_NS6detail15normal_iteratorINS9_10device_ptrIdEEEESE_d11max_functorIdEdEEDaPvRmT3_T4_T5_mT6_P12ihipStream_tbENKUlT_T0_E_clISt17integral_constantIbLb1EESU_EEDaSP_SQ_EUlSP_E0_NS1_11comp_targetILNS1_3genE0ELNS1_11target_archE4294967295ELNS1_3gpuE0ELNS1_3repE0EEENS1_30default_config_static_selectorELNS0_4arch9wavefront6targetE1EEEvT1_
	.globl	_ZN7rocprim17ROCPRIM_400000_NS6detail17trampoline_kernelINS0_14default_configENS1_20scan_config_selectorIdEEZZNS1_9scan_implILNS1_25lookback_scan_determinismE0ELb1ELb1ES3_N6thrust23THRUST_200600_302600_NS6detail15normal_iteratorINS9_10device_ptrIdEEEESE_d11max_functorIdEdEEDaPvRmT3_T4_T5_mT6_P12ihipStream_tbENKUlT_T0_E_clISt17integral_constantIbLb1EESU_EEDaSP_SQ_EUlSP_E0_NS1_11comp_targetILNS1_3genE0ELNS1_11target_archE4294967295ELNS1_3gpuE0ELNS1_3repE0EEENS1_30default_config_static_selectorELNS0_4arch9wavefront6targetE1EEEvT1_
	.p2align	8
	.type	_ZN7rocprim17ROCPRIM_400000_NS6detail17trampoline_kernelINS0_14default_configENS1_20scan_config_selectorIdEEZZNS1_9scan_implILNS1_25lookback_scan_determinismE0ELb1ELb1ES3_N6thrust23THRUST_200600_302600_NS6detail15normal_iteratorINS9_10device_ptrIdEEEESE_d11max_functorIdEdEEDaPvRmT3_T4_T5_mT6_P12ihipStream_tbENKUlT_T0_E_clISt17integral_constantIbLb1EESU_EEDaSP_SQ_EUlSP_E0_NS1_11comp_targetILNS1_3genE0ELNS1_11target_archE4294967295ELNS1_3gpuE0ELNS1_3repE0EEENS1_30default_config_static_selectorELNS0_4arch9wavefront6targetE1EEEvT1_,@function
_ZN7rocprim17ROCPRIM_400000_NS6detail17trampoline_kernelINS0_14default_configENS1_20scan_config_selectorIdEEZZNS1_9scan_implILNS1_25lookback_scan_determinismE0ELb1ELb1ES3_N6thrust23THRUST_200600_302600_NS6detail15normal_iteratorINS9_10device_ptrIdEEEESE_d11max_functorIdEdEEDaPvRmT3_T4_T5_mT6_P12ihipStream_tbENKUlT_T0_E_clISt17integral_constantIbLb1EESU_EEDaSP_SQ_EUlSP_E0_NS1_11comp_targetILNS1_3genE0ELNS1_11target_archE4294967295ELNS1_3gpuE0ELNS1_3repE0EEENS1_30default_config_static_selectorELNS0_4arch9wavefront6targetE1EEEvT1_: ; @_ZN7rocprim17ROCPRIM_400000_NS6detail17trampoline_kernelINS0_14default_configENS1_20scan_config_selectorIdEEZZNS1_9scan_implILNS1_25lookback_scan_determinismE0ELb1ELb1ES3_N6thrust23THRUST_200600_302600_NS6detail15normal_iteratorINS9_10device_ptrIdEEEESE_d11max_functorIdEdEEDaPvRmT3_T4_T5_mT6_P12ihipStream_tbENKUlT_T0_E_clISt17integral_constantIbLb1EESU_EEDaSP_SQ_EUlSP_E0_NS1_11comp_targetILNS1_3genE0ELNS1_11target_archE4294967295ELNS1_3gpuE0ELNS1_3repE0EEENS1_30default_config_static_selectorELNS0_4arch9wavefront6targetE1EEEvT1_
; %bb.0:
	.section	.rodata,"a",@progbits
	.p2align	6, 0x0
	.amdhsa_kernel _ZN7rocprim17ROCPRIM_400000_NS6detail17trampoline_kernelINS0_14default_configENS1_20scan_config_selectorIdEEZZNS1_9scan_implILNS1_25lookback_scan_determinismE0ELb1ELb1ES3_N6thrust23THRUST_200600_302600_NS6detail15normal_iteratorINS9_10device_ptrIdEEEESE_d11max_functorIdEdEEDaPvRmT3_T4_T5_mT6_P12ihipStream_tbENKUlT_T0_E_clISt17integral_constantIbLb1EESU_EEDaSP_SQ_EUlSP_E0_NS1_11comp_targetILNS1_3genE0ELNS1_11target_archE4294967295ELNS1_3gpuE0ELNS1_3repE0EEENS1_30default_config_static_selectorELNS0_4arch9wavefront6targetE1EEEvT1_
		.amdhsa_group_segment_fixed_size 0
		.amdhsa_private_segment_fixed_size 0
		.amdhsa_kernarg_size 40
		.amdhsa_user_sgpr_count 6
		.amdhsa_user_sgpr_private_segment_buffer 1
		.amdhsa_user_sgpr_dispatch_ptr 0
		.amdhsa_user_sgpr_queue_ptr 0
		.amdhsa_user_sgpr_kernarg_segment_ptr 1
		.amdhsa_user_sgpr_dispatch_id 0
		.amdhsa_user_sgpr_flat_scratch_init 0
		.amdhsa_user_sgpr_kernarg_preload_length 0
		.amdhsa_user_sgpr_kernarg_preload_offset 0
		.amdhsa_user_sgpr_private_segment_size 0
		.amdhsa_uses_dynamic_stack 0
		.amdhsa_system_sgpr_private_segment_wavefront_offset 0
		.amdhsa_system_sgpr_workgroup_id_x 1
		.amdhsa_system_sgpr_workgroup_id_y 0
		.amdhsa_system_sgpr_workgroup_id_z 0
		.amdhsa_system_sgpr_workgroup_info 0
		.amdhsa_system_vgpr_workitem_id 0
		.amdhsa_next_free_vgpr 1
		.amdhsa_next_free_sgpr 0
		.amdhsa_accum_offset 4
		.amdhsa_reserve_vcc 0
		.amdhsa_reserve_flat_scratch 0
		.amdhsa_float_round_mode_32 0
		.amdhsa_float_round_mode_16_64 0
		.amdhsa_float_denorm_mode_32 3
		.amdhsa_float_denorm_mode_16_64 3
		.amdhsa_dx10_clamp 1
		.amdhsa_ieee_mode 1
		.amdhsa_fp16_overflow 0
		.amdhsa_tg_split 0
		.amdhsa_exception_fp_ieee_invalid_op 0
		.amdhsa_exception_fp_denorm_src 0
		.amdhsa_exception_fp_ieee_div_zero 0
		.amdhsa_exception_fp_ieee_overflow 0
		.amdhsa_exception_fp_ieee_underflow 0
		.amdhsa_exception_fp_ieee_inexact 0
		.amdhsa_exception_int_div_zero 0
	.end_amdhsa_kernel
	.section	.text._ZN7rocprim17ROCPRIM_400000_NS6detail17trampoline_kernelINS0_14default_configENS1_20scan_config_selectorIdEEZZNS1_9scan_implILNS1_25lookback_scan_determinismE0ELb1ELb1ES3_N6thrust23THRUST_200600_302600_NS6detail15normal_iteratorINS9_10device_ptrIdEEEESE_d11max_functorIdEdEEDaPvRmT3_T4_T5_mT6_P12ihipStream_tbENKUlT_T0_E_clISt17integral_constantIbLb1EESU_EEDaSP_SQ_EUlSP_E0_NS1_11comp_targetILNS1_3genE0ELNS1_11target_archE4294967295ELNS1_3gpuE0ELNS1_3repE0EEENS1_30default_config_static_selectorELNS0_4arch9wavefront6targetE1EEEvT1_,"axG",@progbits,_ZN7rocprim17ROCPRIM_400000_NS6detail17trampoline_kernelINS0_14default_configENS1_20scan_config_selectorIdEEZZNS1_9scan_implILNS1_25lookback_scan_determinismE0ELb1ELb1ES3_N6thrust23THRUST_200600_302600_NS6detail15normal_iteratorINS9_10device_ptrIdEEEESE_d11max_functorIdEdEEDaPvRmT3_T4_T5_mT6_P12ihipStream_tbENKUlT_T0_E_clISt17integral_constantIbLb1EESU_EEDaSP_SQ_EUlSP_E0_NS1_11comp_targetILNS1_3genE0ELNS1_11target_archE4294967295ELNS1_3gpuE0ELNS1_3repE0EEENS1_30default_config_static_selectorELNS0_4arch9wavefront6targetE1EEEvT1_,comdat
.Lfunc_end1898:
	.size	_ZN7rocprim17ROCPRIM_400000_NS6detail17trampoline_kernelINS0_14default_configENS1_20scan_config_selectorIdEEZZNS1_9scan_implILNS1_25lookback_scan_determinismE0ELb1ELb1ES3_N6thrust23THRUST_200600_302600_NS6detail15normal_iteratorINS9_10device_ptrIdEEEESE_d11max_functorIdEdEEDaPvRmT3_T4_T5_mT6_P12ihipStream_tbENKUlT_T0_E_clISt17integral_constantIbLb1EESU_EEDaSP_SQ_EUlSP_E0_NS1_11comp_targetILNS1_3genE0ELNS1_11target_archE4294967295ELNS1_3gpuE0ELNS1_3repE0EEENS1_30default_config_static_selectorELNS0_4arch9wavefront6targetE1EEEvT1_, .Lfunc_end1898-_ZN7rocprim17ROCPRIM_400000_NS6detail17trampoline_kernelINS0_14default_configENS1_20scan_config_selectorIdEEZZNS1_9scan_implILNS1_25lookback_scan_determinismE0ELb1ELb1ES3_N6thrust23THRUST_200600_302600_NS6detail15normal_iteratorINS9_10device_ptrIdEEEESE_d11max_functorIdEdEEDaPvRmT3_T4_T5_mT6_P12ihipStream_tbENKUlT_T0_E_clISt17integral_constantIbLb1EESU_EEDaSP_SQ_EUlSP_E0_NS1_11comp_targetILNS1_3genE0ELNS1_11target_archE4294967295ELNS1_3gpuE0ELNS1_3repE0EEENS1_30default_config_static_selectorELNS0_4arch9wavefront6targetE1EEEvT1_
                                        ; -- End function
	.section	.AMDGPU.csdata,"",@progbits
; Kernel info:
; codeLenInByte = 0
; NumSgprs: 4
; NumVgprs: 0
; NumAgprs: 0
; TotalNumVgprs: 0
; ScratchSize: 0
; MemoryBound: 0
; FloatMode: 240
; IeeeMode: 1
; LDSByteSize: 0 bytes/workgroup (compile time only)
; SGPRBlocks: 0
; VGPRBlocks: 0
; NumSGPRsForWavesPerEU: 4
; NumVGPRsForWavesPerEU: 1
; AccumOffset: 4
; Occupancy: 8
; WaveLimiterHint : 0
; COMPUTE_PGM_RSRC2:SCRATCH_EN: 0
; COMPUTE_PGM_RSRC2:USER_SGPR: 6
; COMPUTE_PGM_RSRC2:TRAP_HANDLER: 0
; COMPUTE_PGM_RSRC2:TGID_X_EN: 1
; COMPUTE_PGM_RSRC2:TGID_Y_EN: 0
; COMPUTE_PGM_RSRC2:TGID_Z_EN: 0
; COMPUTE_PGM_RSRC2:TIDIG_COMP_CNT: 0
; COMPUTE_PGM_RSRC3_GFX90A:ACCUM_OFFSET: 0
; COMPUTE_PGM_RSRC3_GFX90A:TG_SPLIT: 0
	.section	.text._ZN7rocprim17ROCPRIM_400000_NS6detail17trampoline_kernelINS0_14default_configENS1_20scan_config_selectorIdEEZZNS1_9scan_implILNS1_25lookback_scan_determinismE0ELb1ELb1ES3_N6thrust23THRUST_200600_302600_NS6detail15normal_iteratorINS9_10device_ptrIdEEEESE_d11max_functorIdEdEEDaPvRmT3_T4_T5_mT6_P12ihipStream_tbENKUlT_T0_E_clISt17integral_constantIbLb1EESU_EEDaSP_SQ_EUlSP_E0_NS1_11comp_targetILNS1_3genE5ELNS1_11target_archE942ELNS1_3gpuE9ELNS1_3repE0EEENS1_30default_config_static_selectorELNS0_4arch9wavefront6targetE1EEEvT1_,"axG",@progbits,_ZN7rocprim17ROCPRIM_400000_NS6detail17trampoline_kernelINS0_14default_configENS1_20scan_config_selectorIdEEZZNS1_9scan_implILNS1_25lookback_scan_determinismE0ELb1ELb1ES3_N6thrust23THRUST_200600_302600_NS6detail15normal_iteratorINS9_10device_ptrIdEEEESE_d11max_functorIdEdEEDaPvRmT3_T4_T5_mT6_P12ihipStream_tbENKUlT_T0_E_clISt17integral_constantIbLb1EESU_EEDaSP_SQ_EUlSP_E0_NS1_11comp_targetILNS1_3genE5ELNS1_11target_archE942ELNS1_3gpuE9ELNS1_3repE0EEENS1_30default_config_static_selectorELNS0_4arch9wavefront6targetE1EEEvT1_,comdat
	.protected	_ZN7rocprim17ROCPRIM_400000_NS6detail17trampoline_kernelINS0_14default_configENS1_20scan_config_selectorIdEEZZNS1_9scan_implILNS1_25lookback_scan_determinismE0ELb1ELb1ES3_N6thrust23THRUST_200600_302600_NS6detail15normal_iteratorINS9_10device_ptrIdEEEESE_d11max_functorIdEdEEDaPvRmT3_T4_T5_mT6_P12ihipStream_tbENKUlT_T0_E_clISt17integral_constantIbLb1EESU_EEDaSP_SQ_EUlSP_E0_NS1_11comp_targetILNS1_3genE5ELNS1_11target_archE942ELNS1_3gpuE9ELNS1_3repE0EEENS1_30default_config_static_selectorELNS0_4arch9wavefront6targetE1EEEvT1_ ; -- Begin function _ZN7rocprim17ROCPRIM_400000_NS6detail17trampoline_kernelINS0_14default_configENS1_20scan_config_selectorIdEEZZNS1_9scan_implILNS1_25lookback_scan_determinismE0ELb1ELb1ES3_N6thrust23THRUST_200600_302600_NS6detail15normal_iteratorINS9_10device_ptrIdEEEESE_d11max_functorIdEdEEDaPvRmT3_T4_T5_mT6_P12ihipStream_tbENKUlT_T0_E_clISt17integral_constantIbLb1EESU_EEDaSP_SQ_EUlSP_E0_NS1_11comp_targetILNS1_3genE5ELNS1_11target_archE942ELNS1_3gpuE9ELNS1_3repE0EEENS1_30default_config_static_selectorELNS0_4arch9wavefront6targetE1EEEvT1_
	.globl	_ZN7rocprim17ROCPRIM_400000_NS6detail17trampoline_kernelINS0_14default_configENS1_20scan_config_selectorIdEEZZNS1_9scan_implILNS1_25lookback_scan_determinismE0ELb1ELb1ES3_N6thrust23THRUST_200600_302600_NS6detail15normal_iteratorINS9_10device_ptrIdEEEESE_d11max_functorIdEdEEDaPvRmT3_T4_T5_mT6_P12ihipStream_tbENKUlT_T0_E_clISt17integral_constantIbLb1EESU_EEDaSP_SQ_EUlSP_E0_NS1_11comp_targetILNS1_3genE5ELNS1_11target_archE942ELNS1_3gpuE9ELNS1_3repE0EEENS1_30default_config_static_selectorELNS0_4arch9wavefront6targetE1EEEvT1_
	.p2align	8
	.type	_ZN7rocprim17ROCPRIM_400000_NS6detail17trampoline_kernelINS0_14default_configENS1_20scan_config_selectorIdEEZZNS1_9scan_implILNS1_25lookback_scan_determinismE0ELb1ELb1ES3_N6thrust23THRUST_200600_302600_NS6detail15normal_iteratorINS9_10device_ptrIdEEEESE_d11max_functorIdEdEEDaPvRmT3_T4_T5_mT6_P12ihipStream_tbENKUlT_T0_E_clISt17integral_constantIbLb1EESU_EEDaSP_SQ_EUlSP_E0_NS1_11comp_targetILNS1_3genE5ELNS1_11target_archE942ELNS1_3gpuE9ELNS1_3repE0EEENS1_30default_config_static_selectorELNS0_4arch9wavefront6targetE1EEEvT1_,@function
_ZN7rocprim17ROCPRIM_400000_NS6detail17trampoline_kernelINS0_14default_configENS1_20scan_config_selectorIdEEZZNS1_9scan_implILNS1_25lookback_scan_determinismE0ELb1ELb1ES3_N6thrust23THRUST_200600_302600_NS6detail15normal_iteratorINS9_10device_ptrIdEEEESE_d11max_functorIdEdEEDaPvRmT3_T4_T5_mT6_P12ihipStream_tbENKUlT_T0_E_clISt17integral_constantIbLb1EESU_EEDaSP_SQ_EUlSP_E0_NS1_11comp_targetILNS1_3genE5ELNS1_11target_archE942ELNS1_3gpuE9ELNS1_3repE0EEENS1_30default_config_static_selectorELNS0_4arch9wavefront6targetE1EEEvT1_: ; @_ZN7rocprim17ROCPRIM_400000_NS6detail17trampoline_kernelINS0_14default_configENS1_20scan_config_selectorIdEEZZNS1_9scan_implILNS1_25lookback_scan_determinismE0ELb1ELb1ES3_N6thrust23THRUST_200600_302600_NS6detail15normal_iteratorINS9_10device_ptrIdEEEESE_d11max_functorIdEdEEDaPvRmT3_T4_T5_mT6_P12ihipStream_tbENKUlT_T0_E_clISt17integral_constantIbLb1EESU_EEDaSP_SQ_EUlSP_E0_NS1_11comp_targetILNS1_3genE5ELNS1_11target_archE942ELNS1_3gpuE9ELNS1_3repE0EEENS1_30default_config_static_selectorELNS0_4arch9wavefront6targetE1EEEvT1_
; %bb.0:
	.section	.rodata,"a",@progbits
	.p2align	6, 0x0
	.amdhsa_kernel _ZN7rocprim17ROCPRIM_400000_NS6detail17trampoline_kernelINS0_14default_configENS1_20scan_config_selectorIdEEZZNS1_9scan_implILNS1_25lookback_scan_determinismE0ELb1ELb1ES3_N6thrust23THRUST_200600_302600_NS6detail15normal_iteratorINS9_10device_ptrIdEEEESE_d11max_functorIdEdEEDaPvRmT3_T4_T5_mT6_P12ihipStream_tbENKUlT_T0_E_clISt17integral_constantIbLb1EESU_EEDaSP_SQ_EUlSP_E0_NS1_11comp_targetILNS1_3genE5ELNS1_11target_archE942ELNS1_3gpuE9ELNS1_3repE0EEENS1_30default_config_static_selectorELNS0_4arch9wavefront6targetE1EEEvT1_
		.amdhsa_group_segment_fixed_size 0
		.amdhsa_private_segment_fixed_size 0
		.amdhsa_kernarg_size 40
		.amdhsa_user_sgpr_count 6
		.amdhsa_user_sgpr_private_segment_buffer 1
		.amdhsa_user_sgpr_dispatch_ptr 0
		.amdhsa_user_sgpr_queue_ptr 0
		.amdhsa_user_sgpr_kernarg_segment_ptr 1
		.amdhsa_user_sgpr_dispatch_id 0
		.amdhsa_user_sgpr_flat_scratch_init 0
		.amdhsa_user_sgpr_kernarg_preload_length 0
		.amdhsa_user_sgpr_kernarg_preload_offset 0
		.amdhsa_user_sgpr_private_segment_size 0
		.amdhsa_uses_dynamic_stack 0
		.amdhsa_system_sgpr_private_segment_wavefront_offset 0
		.amdhsa_system_sgpr_workgroup_id_x 1
		.amdhsa_system_sgpr_workgroup_id_y 0
		.amdhsa_system_sgpr_workgroup_id_z 0
		.amdhsa_system_sgpr_workgroup_info 0
		.amdhsa_system_vgpr_workitem_id 0
		.amdhsa_next_free_vgpr 1
		.amdhsa_next_free_sgpr 0
		.amdhsa_accum_offset 4
		.amdhsa_reserve_vcc 0
		.amdhsa_reserve_flat_scratch 0
		.amdhsa_float_round_mode_32 0
		.amdhsa_float_round_mode_16_64 0
		.amdhsa_float_denorm_mode_32 3
		.amdhsa_float_denorm_mode_16_64 3
		.amdhsa_dx10_clamp 1
		.amdhsa_ieee_mode 1
		.amdhsa_fp16_overflow 0
		.amdhsa_tg_split 0
		.amdhsa_exception_fp_ieee_invalid_op 0
		.amdhsa_exception_fp_denorm_src 0
		.amdhsa_exception_fp_ieee_div_zero 0
		.amdhsa_exception_fp_ieee_overflow 0
		.amdhsa_exception_fp_ieee_underflow 0
		.amdhsa_exception_fp_ieee_inexact 0
		.amdhsa_exception_int_div_zero 0
	.end_amdhsa_kernel
	.section	.text._ZN7rocprim17ROCPRIM_400000_NS6detail17trampoline_kernelINS0_14default_configENS1_20scan_config_selectorIdEEZZNS1_9scan_implILNS1_25lookback_scan_determinismE0ELb1ELb1ES3_N6thrust23THRUST_200600_302600_NS6detail15normal_iteratorINS9_10device_ptrIdEEEESE_d11max_functorIdEdEEDaPvRmT3_T4_T5_mT6_P12ihipStream_tbENKUlT_T0_E_clISt17integral_constantIbLb1EESU_EEDaSP_SQ_EUlSP_E0_NS1_11comp_targetILNS1_3genE5ELNS1_11target_archE942ELNS1_3gpuE9ELNS1_3repE0EEENS1_30default_config_static_selectorELNS0_4arch9wavefront6targetE1EEEvT1_,"axG",@progbits,_ZN7rocprim17ROCPRIM_400000_NS6detail17trampoline_kernelINS0_14default_configENS1_20scan_config_selectorIdEEZZNS1_9scan_implILNS1_25lookback_scan_determinismE0ELb1ELb1ES3_N6thrust23THRUST_200600_302600_NS6detail15normal_iteratorINS9_10device_ptrIdEEEESE_d11max_functorIdEdEEDaPvRmT3_T4_T5_mT6_P12ihipStream_tbENKUlT_T0_E_clISt17integral_constantIbLb1EESU_EEDaSP_SQ_EUlSP_E0_NS1_11comp_targetILNS1_3genE5ELNS1_11target_archE942ELNS1_3gpuE9ELNS1_3repE0EEENS1_30default_config_static_selectorELNS0_4arch9wavefront6targetE1EEEvT1_,comdat
.Lfunc_end1899:
	.size	_ZN7rocprim17ROCPRIM_400000_NS6detail17trampoline_kernelINS0_14default_configENS1_20scan_config_selectorIdEEZZNS1_9scan_implILNS1_25lookback_scan_determinismE0ELb1ELb1ES3_N6thrust23THRUST_200600_302600_NS6detail15normal_iteratorINS9_10device_ptrIdEEEESE_d11max_functorIdEdEEDaPvRmT3_T4_T5_mT6_P12ihipStream_tbENKUlT_T0_E_clISt17integral_constantIbLb1EESU_EEDaSP_SQ_EUlSP_E0_NS1_11comp_targetILNS1_3genE5ELNS1_11target_archE942ELNS1_3gpuE9ELNS1_3repE0EEENS1_30default_config_static_selectorELNS0_4arch9wavefront6targetE1EEEvT1_, .Lfunc_end1899-_ZN7rocprim17ROCPRIM_400000_NS6detail17trampoline_kernelINS0_14default_configENS1_20scan_config_selectorIdEEZZNS1_9scan_implILNS1_25lookback_scan_determinismE0ELb1ELb1ES3_N6thrust23THRUST_200600_302600_NS6detail15normal_iteratorINS9_10device_ptrIdEEEESE_d11max_functorIdEdEEDaPvRmT3_T4_T5_mT6_P12ihipStream_tbENKUlT_T0_E_clISt17integral_constantIbLb1EESU_EEDaSP_SQ_EUlSP_E0_NS1_11comp_targetILNS1_3genE5ELNS1_11target_archE942ELNS1_3gpuE9ELNS1_3repE0EEENS1_30default_config_static_selectorELNS0_4arch9wavefront6targetE1EEEvT1_
                                        ; -- End function
	.section	.AMDGPU.csdata,"",@progbits
; Kernel info:
; codeLenInByte = 0
; NumSgprs: 4
; NumVgprs: 0
; NumAgprs: 0
; TotalNumVgprs: 0
; ScratchSize: 0
; MemoryBound: 0
; FloatMode: 240
; IeeeMode: 1
; LDSByteSize: 0 bytes/workgroup (compile time only)
; SGPRBlocks: 0
; VGPRBlocks: 0
; NumSGPRsForWavesPerEU: 4
; NumVGPRsForWavesPerEU: 1
; AccumOffset: 4
; Occupancy: 8
; WaveLimiterHint : 0
; COMPUTE_PGM_RSRC2:SCRATCH_EN: 0
; COMPUTE_PGM_RSRC2:USER_SGPR: 6
; COMPUTE_PGM_RSRC2:TRAP_HANDLER: 0
; COMPUTE_PGM_RSRC2:TGID_X_EN: 1
; COMPUTE_PGM_RSRC2:TGID_Y_EN: 0
; COMPUTE_PGM_RSRC2:TGID_Z_EN: 0
; COMPUTE_PGM_RSRC2:TIDIG_COMP_CNT: 0
; COMPUTE_PGM_RSRC3_GFX90A:ACCUM_OFFSET: 0
; COMPUTE_PGM_RSRC3_GFX90A:TG_SPLIT: 0
	.section	.text._ZN7rocprim17ROCPRIM_400000_NS6detail17trampoline_kernelINS0_14default_configENS1_20scan_config_selectorIdEEZZNS1_9scan_implILNS1_25lookback_scan_determinismE0ELb1ELb1ES3_N6thrust23THRUST_200600_302600_NS6detail15normal_iteratorINS9_10device_ptrIdEEEESE_d11max_functorIdEdEEDaPvRmT3_T4_T5_mT6_P12ihipStream_tbENKUlT_T0_E_clISt17integral_constantIbLb1EESU_EEDaSP_SQ_EUlSP_E0_NS1_11comp_targetILNS1_3genE4ELNS1_11target_archE910ELNS1_3gpuE8ELNS1_3repE0EEENS1_30default_config_static_selectorELNS0_4arch9wavefront6targetE1EEEvT1_,"axG",@progbits,_ZN7rocprim17ROCPRIM_400000_NS6detail17trampoline_kernelINS0_14default_configENS1_20scan_config_selectorIdEEZZNS1_9scan_implILNS1_25lookback_scan_determinismE0ELb1ELb1ES3_N6thrust23THRUST_200600_302600_NS6detail15normal_iteratorINS9_10device_ptrIdEEEESE_d11max_functorIdEdEEDaPvRmT3_T4_T5_mT6_P12ihipStream_tbENKUlT_T0_E_clISt17integral_constantIbLb1EESU_EEDaSP_SQ_EUlSP_E0_NS1_11comp_targetILNS1_3genE4ELNS1_11target_archE910ELNS1_3gpuE8ELNS1_3repE0EEENS1_30default_config_static_selectorELNS0_4arch9wavefront6targetE1EEEvT1_,comdat
	.protected	_ZN7rocprim17ROCPRIM_400000_NS6detail17trampoline_kernelINS0_14default_configENS1_20scan_config_selectorIdEEZZNS1_9scan_implILNS1_25lookback_scan_determinismE0ELb1ELb1ES3_N6thrust23THRUST_200600_302600_NS6detail15normal_iteratorINS9_10device_ptrIdEEEESE_d11max_functorIdEdEEDaPvRmT3_T4_T5_mT6_P12ihipStream_tbENKUlT_T0_E_clISt17integral_constantIbLb1EESU_EEDaSP_SQ_EUlSP_E0_NS1_11comp_targetILNS1_3genE4ELNS1_11target_archE910ELNS1_3gpuE8ELNS1_3repE0EEENS1_30default_config_static_selectorELNS0_4arch9wavefront6targetE1EEEvT1_ ; -- Begin function _ZN7rocprim17ROCPRIM_400000_NS6detail17trampoline_kernelINS0_14default_configENS1_20scan_config_selectorIdEEZZNS1_9scan_implILNS1_25lookback_scan_determinismE0ELb1ELb1ES3_N6thrust23THRUST_200600_302600_NS6detail15normal_iteratorINS9_10device_ptrIdEEEESE_d11max_functorIdEdEEDaPvRmT3_T4_T5_mT6_P12ihipStream_tbENKUlT_T0_E_clISt17integral_constantIbLb1EESU_EEDaSP_SQ_EUlSP_E0_NS1_11comp_targetILNS1_3genE4ELNS1_11target_archE910ELNS1_3gpuE8ELNS1_3repE0EEENS1_30default_config_static_selectorELNS0_4arch9wavefront6targetE1EEEvT1_
	.globl	_ZN7rocprim17ROCPRIM_400000_NS6detail17trampoline_kernelINS0_14default_configENS1_20scan_config_selectorIdEEZZNS1_9scan_implILNS1_25lookback_scan_determinismE0ELb1ELb1ES3_N6thrust23THRUST_200600_302600_NS6detail15normal_iteratorINS9_10device_ptrIdEEEESE_d11max_functorIdEdEEDaPvRmT3_T4_T5_mT6_P12ihipStream_tbENKUlT_T0_E_clISt17integral_constantIbLb1EESU_EEDaSP_SQ_EUlSP_E0_NS1_11comp_targetILNS1_3genE4ELNS1_11target_archE910ELNS1_3gpuE8ELNS1_3repE0EEENS1_30default_config_static_selectorELNS0_4arch9wavefront6targetE1EEEvT1_
	.p2align	8
	.type	_ZN7rocprim17ROCPRIM_400000_NS6detail17trampoline_kernelINS0_14default_configENS1_20scan_config_selectorIdEEZZNS1_9scan_implILNS1_25lookback_scan_determinismE0ELb1ELb1ES3_N6thrust23THRUST_200600_302600_NS6detail15normal_iteratorINS9_10device_ptrIdEEEESE_d11max_functorIdEdEEDaPvRmT3_T4_T5_mT6_P12ihipStream_tbENKUlT_T0_E_clISt17integral_constantIbLb1EESU_EEDaSP_SQ_EUlSP_E0_NS1_11comp_targetILNS1_3genE4ELNS1_11target_archE910ELNS1_3gpuE8ELNS1_3repE0EEENS1_30default_config_static_selectorELNS0_4arch9wavefront6targetE1EEEvT1_,@function
_ZN7rocprim17ROCPRIM_400000_NS6detail17trampoline_kernelINS0_14default_configENS1_20scan_config_selectorIdEEZZNS1_9scan_implILNS1_25lookback_scan_determinismE0ELb1ELb1ES3_N6thrust23THRUST_200600_302600_NS6detail15normal_iteratorINS9_10device_ptrIdEEEESE_d11max_functorIdEdEEDaPvRmT3_T4_T5_mT6_P12ihipStream_tbENKUlT_T0_E_clISt17integral_constantIbLb1EESU_EEDaSP_SQ_EUlSP_E0_NS1_11comp_targetILNS1_3genE4ELNS1_11target_archE910ELNS1_3gpuE8ELNS1_3repE0EEENS1_30default_config_static_selectorELNS0_4arch9wavefront6targetE1EEEvT1_: ; @_ZN7rocprim17ROCPRIM_400000_NS6detail17trampoline_kernelINS0_14default_configENS1_20scan_config_selectorIdEEZZNS1_9scan_implILNS1_25lookback_scan_determinismE0ELb1ELb1ES3_N6thrust23THRUST_200600_302600_NS6detail15normal_iteratorINS9_10device_ptrIdEEEESE_d11max_functorIdEdEEDaPvRmT3_T4_T5_mT6_P12ihipStream_tbENKUlT_T0_E_clISt17integral_constantIbLb1EESU_EEDaSP_SQ_EUlSP_E0_NS1_11comp_targetILNS1_3genE4ELNS1_11target_archE910ELNS1_3gpuE8ELNS1_3repE0EEENS1_30default_config_static_selectorELNS0_4arch9wavefront6targetE1EEEvT1_
; %bb.0:
	s_load_dwordx4 s[20:23], s[4:5], 0x0
	v_lshlrev_b32_e32 v24, 3, v0
	s_waitcnt lgkmcnt(0)
	s_load_dwordx2 s[24:25], s[20:21], 0x0
	v_cmp_gt_u32_e32 vcc, s22, v0
	s_waitcnt lgkmcnt(0)
	v_pk_mov_b32 v[2:3], s[24:25], s[24:25] op_sel:[0,1]
	s_and_saveexec_b64 s[0:1], vcc
	s_cbranch_execz .LBB1900_2
; %bb.1:
	global_load_dwordx2 v[2:3], v24, s[20:21]
.LBB1900_2:
	s_or_b64 exec, exec, s[0:1]
	v_or_b32_e32 v1, 0x80, v0
	v_cmp_gt_u32_e64 s[0:1], s22, v1
	v_pk_mov_b32 v[4:5], s[24:25], s[24:25] op_sel:[0,1]
	s_and_saveexec_b64 s[2:3], s[0:1]
	s_cbranch_execz .LBB1900_4
; %bb.3:
	global_load_dwordx2 v[4:5], v24, s[20:21] offset:1024
.LBB1900_4:
	s_or_b64 exec, exec, s[2:3]
	v_or_b32_e32 v1, 0x100, v0
	v_cmp_gt_u32_e64 s[2:3], s22, v1
	v_pk_mov_b32 v[6:7], s[24:25], s[24:25] op_sel:[0,1]
	s_and_saveexec_b64 s[6:7], s[2:3]
	s_cbranch_execz .LBB1900_6
; %bb.5:
	global_load_dwordx2 v[6:7], v24, s[20:21] offset:2048
.LBB1900_6:
	;; [unrolled: 9-line block ×3, first 2 shown]
	s_or_b64 exec, exec, s[6:7]
	v_or_b32_e32 v1, 0x200, v0
	v_cmp_gt_u32_e64 s[6:7], s22, v1
	v_pk_mov_b32 v[10:11], s[24:25], s[24:25] op_sel:[0,1]
	s_and_saveexec_b64 s[8:9], s[6:7]
	s_cbranch_execz .LBB1900_10
; %bb.9:
	v_lshlrev_b32_e32 v1, 3, v1
	global_load_dwordx2 v[10:11], v1, s[20:21]
.LBB1900_10:
	s_or_b64 exec, exec, s[8:9]
	v_or_b32_e32 v1, 0x280, v0
	v_cmp_gt_u32_e64 s[8:9], s22, v1
	v_pk_mov_b32 v[12:13], s[24:25], s[24:25] op_sel:[0,1]
	s_and_saveexec_b64 s[10:11], s[8:9]
	s_cbranch_execz .LBB1900_12
; %bb.11:
	v_lshlrev_b32_e32 v1, 3, v1
	global_load_dwordx2 v[12:13], v1, s[20:21]
.LBB1900_12:
	;; [unrolled: 10-line block ×6, first 2 shown]
	s_or_b64 exec, exec, s[22:23]
	s_movk_i32 s20, 0x48
	v_mad_u32_u24 v1, v0, s20, v24
	s_waitcnt vmcnt(0)
	ds_write2st64_b64 v24, v[2:3], v[4:5] offset1:2
	ds_write2st64_b64 v24, v[6:7], v[8:9] offset0:4 offset1:6
	ds_write2st64_b64 v24, v[10:11], v[12:13] offset0:8 offset1:10
	ds_write2st64_b64 v24, v[14:15], v[16:17] offset0:12 offset1:14
	ds_write2st64_b64 v24, v[18:19], v[20:21] offset0:16 offset1:18
	s_waitcnt lgkmcnt(0)
	s_barrier
	ds_read_b128 v[18:21], v1
	ds_read_b128 v[10:13], v1 offset:16
	ds_read_b128 v[6:9], v1 offset:32
	;; [unrolled: 1-line block ×4, first 2 shown]
	s_waitcnt lgkmcnt(4)
	v_cmp_lt_f64_e64 s[20:21], v[18:19], v[20:21]
	v_cndmask_b32_e64 v23, v19, v21, s[20:21]
	v_cndmask_b32_e64 v22, v18, v20, s[20:21]
	s_waitcnt lgkmcnt(3)
	v_cmp_lt_f64_e64 s[20:21], v[22:23], v[10:11]
	v_cndmask_b32_e64 v23, v23, v11, s[20:21]
	v_cndmask_b32_e64 v22, v22, v10, s[20:21]
	v_cmp_lt_f64_e64 s[20:21], v[22:23], v[12:13]
	v_cndmask_b32_e64 v23, v23, v13, s[20:21]
	v_cndmask_b32_e64 v22, v22, v12, s[20:21]
	s_waitcnt lgkmcnt(2)
	v_cmp_lt_f64_e64 s[20:21], v[22:23], v[6:7]
	v_cndmask_b32_e64 v23, v23, v7, s[20:21]
	v_cndmask_b32_e64 v22, v22, v6, s[20:21]
	;; [unrolled: 7-line block ×4, first 2 shown]
	v_cmp_lt_f64_e64 s[20:21], v[22:23], v[16:17]
	v_cndmask_b32_e64 v16, v22, v16, s[20:21]
	v_mbcnt_lo_u32_b32 v22, -1, 0
	v_mbcnt_hi_u32_b32 v25, -1, v22
	v_cndmask_b32_e64 v17, v23, v17, s[20:21]
	v_and_b32_e32 v26, 15, v25
	v_mov_b32_dpp v22, v16 row_shr:1 row_mask:0xf bank_mask:0xf
	v_mov_b32_dpp v23, v17 row_shr:1 row_mask:0xf bank_mask:0xf
	v_cmp_ne_u32_e64 s[20:21], 0, v26
	s_barrier
	s_and_saveexec_b64 s[22:23], s[20:21]
; %bb.21:
	v_cmp_gt_f64_e64 s[20:21], v[16:17], v[22:23]
	v_cndmask_b32_e64 v17, v23, v17, s[20:21]
	v_cndmask_b32_e64 v16, v22, v16, s[20:21]
; %bb.22:
	s_or_b64 exec, exec, s[22:23]
	s_nop 0
	v_mov_b32_dpp v22, v16 row_shr:2 row_mask:0xf bank_mask:0xf
	v_mov_b32_dpp v23, v17 row_shr:2 row_mask:0xf bank_mask:0xf
	v_cmp_lt_u32_e64 s[20:21], 1, v26
	s_and_saveexec_b64 s[22:23], s[20:21]
; %bb.23:
	v_cmp_gt_f64_e64 s[20:21], v[16:17], v[22:23]
	v_cndmask_b32_e64 v17, v23, v17, s[20:21]
	v_cndmask_b32_e64 v16, v22, v16, s[20:21]
; %bb.24:
	s_or_b64 exec, exec, s[22:23]
	s_nop 0
	v_mov_b32_dpp v22, v16 row_shr:4 row_mask:0xf bank_mask:0xf
	v_mov_b32_dpp v23, v17 row_shr:4 row_mask:0xf bank_mask:0xf
	v_cmp_lt_u32_e64 s[20:21], 3, v26
	;; [unrolled: 11-line block ×3, first 2 shown]
	s_and_saveexec_b64 s[22:23], s[20:21]
; %bb.27:
	v_cmp_gt_f64_e64 s[20:21], v[16:17], v[22:23]
	v_cndmask_b32_e64 v17, v23, v17, s[20:21]
	v_cndmask_b32_e64 v16, v22, v16, s[20:21]
; %bb.28:
	s_or_b64 exec, exec, s[22:23]
	s_load_dwordx2 s[24:25], s[4:5], 0x10
	v_and_b32_e32 v26, 16, v25
	v_mov_b32_dpp v22, v16 row_bcast:15 row_mask:0xf bank_mask:0xf
	v_mov_b32_dpp v23, v17 row_bcast:15 row_mask:0xf bank_mask:0xf
	v_cmp_ne_u32_e64 s[20:21], 0, v26
	s_and_saveexec_b64 s[22:23], s[20:21]
; %bb.29:
	v_cmp_gt_f64_e64 s[20:21], v[16:17], v[22:23]
	v_cndmask_b32_e64 v17, v23, v17, s[20:21]
	v_cndmask_b32_e64 v16, v22, v16, s[20:21]
; %bb.30:
	s_or_b64 exec, exec, s[22:23]
	s_nop 0
	v_mov_b32_dpp v22, v16 row_bcast:31 row_mask:0xf bank_mask:0xf
	v_mov_b32_dpp v23, v17 row_bcast:31 row_mask:0xf bank_mask:0xf
	v_cmp_gt_f64_e64 s[20:21], v[16:17], v[22:23]
	v_cndmask_b32_e64 v22, v22, v16, s[20:21]
	v_cndmask_b32_e64 v23, v23, v17, s[20:21]
	v_cmp_lt_u32_e64 s[20:21], 31, v25
	v_cndmask_b32_e64 v16, v16, v22, s[20:21]
	v_or_b32_e32 v22, 63, v0
	v_cndmask_b32_e64 v17, v17, v23, s[20:21]
	v_lshrrev_b32_e32 v26, 6, v0
	v_cmp_eq_u32_e64 s[20:21], v22, v0
	s_and_saveexec_b64 s[22:23], s[20:21]
	s_cbranch_execz .LBB1900_32
; %bb.31:
	v_lshlrev_b32_e32 v22, 3, v26
	ds_write_b64 v22, v[16:17]
.LBB1900_32:
	s_or_b64 exec, exec, s[22:23]
	s_load_dwordx2 s[22:23], s[4:5], 0x20
	v_cmp_gt_u32_e64 s[4:5], 2, v0
	s_waitcnt lgkmcnt(0)
	s_barrier
	s_and_saveexec_b64 s[26:27], s[4:5]
	s_cbranch_execz .LBB1900_34
; %bb.33:
	ds_read_b64 v[22:23], v24
	v_and_b32_e32 v27, 1, v25
	v_cmp_eq_u32_e64 s[4:5], 0, v27
	s_waitcnt lgkmcnt(0)
	v_mov_b32_dpp v30, v23 row_shr:1 row_mask:0xf bank_mask:0xf
	v_mov_b32_dpp v28, v22 row_shr:1 row_mask:0xf bank_mask:0xf
	v_mov_b32_e32 v29, v30
	v_cmp_gt_f64_e64 s[20:21], v[22:23], v[28:29]
	s_or_b64 s[4:5], s[4:5], s[20:21]
	v_cndmask_b32_e64 v23, v30, v23, s[4:5]
	v_cndmask_b32_e64 v22, v28, v22, s[4:5]
	ds_write_b64 v24, v[22:23]
.LBB1900_34:
	s_or_b64 exec, exec, s[26:27]
	v_cmp_lt_u32_e64 s[4:5], 63, v0
	v_pk_mov_b32 v[22:23], s[24:25], s[24:25] op_sel:[0,1]
	s_waitcnt lgkmcnt(0)
	s_barrier
	s_and_saveexec_b64 s[20:21], s[4:5]
	s_cbranch_execz .LBB1900_36
; %bb.35:
	v_lshl_add_u32 v22, v26, 3, -8
	ds_read_b64 v[22:23], v22
	v_mov_b32_e32 v26, s25
	s_waitcnt lgkmcnt(0)
	v_cmp_lt_f64_e64 s[4:5], s[24:25], v[22:23]
	v_cndmask_b32_e64 v23, v26, v23, s[4:5]
	v_mov_b32_e32 v26, s24
	v_cndmask_b32_e64 v22, v26, v22, s[4:5]
.LBB1900_36:
	s_or_b64 exec, exec, s[20:21]
	v_cmp_lt_f64_e64 s[4:5], v[22:23], v[16:17]
	v_add_u32_e32 v26, -1, v25
	v_and_b32_e32 v27, 64, v25
	v_cndmask_b32_e64 v17, v23, v17, s[4:5]
	v_cndmask_b32_e64 v16, v22, v16, s[4:5]
	v_cmp_lt_i32_e64 s[4:5], v26, v27
	v_cndmask_b32_e64 v26, v26, v25, s[4:5]
	v_lshlrev_b32_e32 v26, 2, v26
	ds_bpermute_b32 v16, v26, v16
	ds_bpermute_b32 v17, v26, v17
	v_cmp_eq_u32_e64 s[4:5], 0, v25
	s_waitcnt lgkmcnt(0)
	s_barrier
	v_cndmask_b32_e64 v16, v16, v22, s[4:5]
	v_cndmask_b32_e64 v17, v17, v23, s[4:5]
	v_mov_b32_e32 v22, s25
	v_cmp_eq_u32_e64 s[4:5], 0, v0
	v_cndmask_b32_e64 v17, v17, v22, s[4:5]
	v_mov_b32_e32 v22, s24
	v_cndmask_b32_e64 v16, v16, v22, s[4:5]
	v_cmp_lt_f64_e64 s[4:5], v[16:17], v[18:19]
	v_cndmask_b32_e64 v19, v17, v19, s[4:5]
	v_cndmask_b32_e64 v18, v16, v18, s[4:5]
	v_cmp_lt_f64_e64 s[4:5], v[18:19], v[20:21]
	v_cndmask_b32_e64 v21, v19, v21, s[4:5]
	;; [unrolled: 3-line block ×9, first 2 shown]
	v_cndmask_b32_e64 v4, v2, v14, s[4:5]
	s_movk_i32 s4, 0xffb8
	v_mad_i32_i24 v0, v0, s4, v1
	ds_write_b128 v1, v[16:19]
	ds_write_b128 v1, v[20:23] offset:16
	ds_write_b128 v1, v[10:13] offset:32
	ds_write_b128 v1, v[6:9] offset:48
	ds_write_b128 v1, v[2:5] offset:64
	s_waitcnt lgkmcnt(0)
	s_barrier
	ds_read2st64_b64 v[12:15], v0 offset0:2 offset1:4
	ds_read2st64_b64 v[8:11], v0 offset0:6 offset1:8
	;; [unrolled: 1-line block ×4, first 2 shown]
	ds_read_b64 v[18:19], v24 offset:8192
	v_mov_b32_e32 v17, s23
	v_add_co_u32_e64 v16, s[4:5], s22, v24
	v_addc_co_u32_e64 v17, s[4:5], 0, v17, s[4:5]
	s_and_saveexec_b64 s[4:5], vcc
	s_cbranch_execnz .LBB1900_47
; %bb.37:
	s_or_b64 exec, exec, s[4:5]
	s_and_saveexec_b64 s[4:5], s[0:1]
	s_cbranch_execnz .LBB1900_48
.LBB1900_38:
	s_or_b64 exec, exec, s[4:5]
	s_and_saveexec_b64 s[0:1], s[2:3]
	s_cbranch_execnz .LBB1900_49
.LBB1900_39:
	s_or_b64 exec, exec, s[0:1]
	s_and_saveexec_b64 s[0:1], s[18:19]
	s_cbranch_execnz .LBB1900_50
.LBB1900_40:
	s_or_b64 exec, exec, s[0:1]
	s_and_saveexec_b64 s[0:1], s[6:7]
	s_cbranch_execnz .LBB1900_51
.LBB1900_41:
	s_or_b64 exec, exec, s[0:1]
	s_and_saveexec_b64 s[0:1], s[8:9]
	s_cbranch_execnz .LBB1900_52
.LBB1900_42:
	s_or_b64 exec, exec, s[0:1]
	s_and_saveexec_b64 s[0:1], s[10:11]
	s_cbranch_execnz .LBB1900_53
.LBB1900_43:
	s_or_b64 exec, exec, s[0:1]
	s_and_saveexec_b64 s[0:1], s[12:13]
	s_cbranch_execnz .LBB1900_54
.LBB1900_44:
	s_or_b64 exec, exec, s[0:1]
	s_and_saveexec_b64 s[0:1], s[14:15]
	s_cbranch_execnz .LBB1900_55
.LBB1900_45:
	s_or_b64 exec, exec, s[0:1]
	s_and_saveexec_b64 s[0:1], s[16:17]
	s_cbranch_execnz .LBB1900_56
.LBB1900_46:
	s_endpgm
.LBB1900_47:
	ds_read_b64 v[20:21], v24
	s_waitcnt lgkmcnt(0)
	global_store_dwordx2 v[16:17], v[20:21], off
	s_or_b64 exec, exec, s[4:5]
	s_and_saveexec_b64 s[4:5], s[0:1]
	s_cbranch_execz .LBB1900_38
.LBB1900_48:
	s_waitcnt lgkmcnt(4)
	global_store_dwordx2 v[16:17], v[12:13], off offset:1024
	s_or_b64 exec, exec, s[4:5]
	s_and_saveexec_b64 s[0:1], s[2:3]
	s_cbranch_execz .LBB1900_39
.LBB1900_49:
	s_waitcnt lgkmcnt(4)
	global_store_dwordx2 v[16:17], v[14:15], off offset:2048
	s_or_b64 exec, exec, s[0:1]
	s_and_saveexec_b64 s[0:1], s[18:19]
	s_cbranch_execz .LBB1900_40
.LBB1900_50:
	s_waitcnt lgkmcnt(3)
	global_store_dwordx2 v[16:17], v[8:9], off offset:3072
	s_or_b64 exec, exec, s[0:1]
	s_and_saveexec_b64 s[0:1], s[6:7]
	s_cbranch_execz .LBB1900_41
.LBB1900_51:
	s_waitcnt lgkmcnt(3)
	v_add_co_u32_e32 v8, vcc, 0x1000, v16
	v_addc_co_u32_e32 v9, vcc, 0, v17, vcc
	global_store_dwordx2 v[8:9], v[10:11], off
	s_or_b64 exec, exec, s[0:1]
	s_and_saveexec_b64 s[0:1], s[8:9]
	s_cbranch_execz .LBB1900_42
.LBB1900_52:
	s_waitcnt lgkmcnt(3)
	v_add_co_u32_e32 v8, vcc, 0x1000, v16
	v_addc_co_u32_e32 v9, vcc, 0, v17, vcc
	s_waitcnt lgkmcnt(2)
	global_store_dwordx2 v[8:9], v[4:5], off offset:1024
	s_or_b64 exec, exec, s[0:1]
	s_and_saveexec_b64 s[0:1], s[10:11]
	s_cbranch_execz .LBB1900_43
.LBB1900_53:
	s_waitcnt lgkmcnt(2)
	v_add_co_u32_e32 v4, vcc, 0x1000, v16
	v_addc_co_u32_e32 v5, vcc, 0, v17, vcc
	global_store_dwordx2 v[4:5], v[6:7], off offset:2048
	s_or_b64 exec, exec, s[0:1]
	s_and_saveexec_b64 s[0:1], s[12:13]
	s_cbranch_execz .LBB1900_44
.LBB1900_54:
	s_waitcnt lgkmcnt(2)
	v_add_co_u32_e32 v4, vcc, 0x1000, v16
	v_addc_co_u32_e32 v5, vcc, 0, v17, vcc
	s_waitcnt lgkmcnt(1)
	global_store_dwordx2 v[4:5], v[0:1], off offset:3072
	s_or_b64 exec, exec, s[0:1]
	s_and_saveexec_b64 s[0:1], s[14:15]
	s_cbranch_execz .LBB1900_45
.LBB1900_55:
	s_waitcnt lgkmcnt(1)
	v_add_co_u32_e32 v0, vcc, 0x2000, v16
	v_addc_co_u32_e32 v1, vcc, 0, v17, vcc
	s_waitcnt lgkmcnt(0)
	global_store_dwordx2 v[0:1], v[18:19], off
	s_or_b64 exec, exec, s[0:1]
	s_and_saveexec_b64 s[0:1], s[16:17]
	s_cbranch_execz .LBB1900_46
.LBB1900_56:
	s_waitcnt lgkmcnt(1)
	v_add_co_u32_e32 v0, vcc, 0x2000, v16
	v_addc_co_u32_e32 v1, vcc, 0, v17, vcc
	global_store_dwordx2 v[0:1], v[2:3], off offset:1024
	s_endpgm
	.section	.rodata,"a",@progbits
	.p2align	6, 0x0
	.amdhsa_kernel _ZN7rocprim17ROCPRIM_400000_NS6detail17trampoline_kernelINS0_14default_configENS1_20scan_config_selectorIdEEZZNS1_9scan_implILNS1_25lookback_scan_determinismE0ELb1ELb1ES3_N6thrust23THRUST_200600_302600_NS6detail15normal_iteratorINS9_10device_ptrIdEEEESE_d11max_functorIdEdEEDaPvRmT3_T4_T5_mT6_P12ihipStream_tbENKUlT_T0_E_clISt17integral_constantIbLb1EESU_EEDaSP_SQ_EUlSP_E0_NS1_11comp_targetILNS1_3genE4ELNS1_11target_archE910ELNS1_3gpuE8ELNS1_3repE0EEENS1_30default_config_static_selectorELNS0_4arch9wavefront6targetE1EEEvT1_
		.amdhsa_group_segment_fixed_size 10240
		.amdhsa_private_segment_fixed_size 0
		.amdhsa_kernarg_size 40
		.amdhsa_user_sgpr_count 6
		.amdhsa_user_sgpr_private_segment_buffer 1
		.amdhsa_user_sgpr_dispatch_ptr 0
		.amdhsa_user_sgpr_queue_ptr 0
		.amdhsa_user_sgpr_kernarg_segment_ptr 1
		.amdhsa_user_sgpr_dispatch_id 0
		.amdhsa_user_sgpr_flat_scratch_init 0
		.amdhsa_user_sgpr_kernarg_preload_length 0
		.amdhsa_user_sgpr_kernarg_preload_offset 0
		.amdhsa_user_sgpr_private_segment_size 0
		.amdhsa_uses_dynamic_stack 0
		.amdhsa_system_sgpr_private_segment_wavefront_offset 0
		.amdhsa_system_sgpr_workgroup_id_x 1
		.amdhsa_system_sgpr_workgroup_id_y 0
		.amdhsa_system_sgpr_workgroup_id_z 0
		.amdhsa_system_sgpr_workgroup_info 0
		.amdhsa_system_vgpr_workitem_id 0
		.amdhsa_next_free_vgpr 31
		.amdhsa_next_free_sgpr 28
		.amdhsa_accum_offset 32
		.amdhsa_reserve_vcc 1
		.amdhsa_reserve_flat_scratch 0
		.amdhsa_float_round_mode_32 0
		.amdhsa_float_round_mode_16_64 0
		.amdhsa_float_denorm_mode_32 3
		.amdhsa_float_denorm_mode_16_64 3
		.amdhsa_dx10_clamp 1
		.amdhsa_ieee_mode 1
		.amdhsa_fp16_overflow 0
		.amdhsa_tg_split 0
		.amdhsa_exception_fp_ieee_invalid_op 0
		.amdhsa_exception_fp_denorm_src 0
		.amdhsa_exception_fp_ieee_div_zero 0
		.amdhsa_exception_fp_ieee_overflow 0
		.amdhsa_exception_fp_ieee_underflow 0
		.amdhsa_exception_fp_ieee_inexact 0
		.amdhsa_exception_int_div_zero 0
	.end_amdhsa_kernel
	.section	.text._ZN7rocprim17ROCPRIM_400000_NS6detail17trampoline_kernelINS0_14default_configENS1_20scan_config_selectorIdEEZZNS1_9scan_implILNS1_25lookback_scan_determinismE0ELb1ELb1ES3_N6thrust23THRUST_200600_302600_NS6detail15normal_iteratorINS9_10device_ptrIdEEEESE_d11max_functorIdEdEEDaPvRmT3_T4_T5_mT6_P12ihipStream_tbENKUlT_T0_E_clISt17integral_constantIbLb1EESU_EEDaSP_SQ_EUlSP_E0_NS1_11comp_targetILNS1_3genE4ELNS1_11target_archE910ELNS1_3gpuE8ELNS1_3repE0EEENS1_30default_config_static_selectorELNS0_4arch9wavefront6targetE1EEEvT1_,"axG",@progbits,_ZN7rocprim17ROCPRIM_400000_NS6detail17trampoline_kernelINS0_14default_configENS1_20scan_config_selectorIdEEZZNS1_9scan_implILNS1_25lookback_scan_determinismE0ELb1ELb1ES3_N6thrust23THRUST_200600_302600_NS6detail15normal_iteratorINS9_10device_ptrIdEEEESE_d11max_functorIdEdEEDaPvRmT3_T4_T5_mT6_P12ihipStream_tbENKUlT_T0_E_clISt17integral_constantIbLb1EESU_EEDaSP_SQ_EUlSP_E0_NS1_11comp_targetILNS1_3genE4ELNS1_11target_archE910ELNS1_3gpuE8ELNS1_3repE0EEENS1_30default_config_static_selectorELNS0_4arch9wavefront6targetE1EEEvT1_,comdat
.Lfunc_end1900:
	.size	_ZN7rocprim17ROCPRIM_400000_NS6detail17trampoline_kernelINS0_14default_configENS1_20scan_config_selectorIdEEZZNS1_9scan_implILNS1_25lookback_scan_determinismE0ELb1ELb1ES3_N6thrust23THRUST_200600_302600_NS6detail15normal_iteratorINS9_10device_ptrIdEEEESE_d11max_functorIdEdEEDaPvRmT3_T4_T5_mT6_P12ihipStream_tbENKUlT_T0_E_clISt17integral_constantIbLb1EESU_EEDaSP_SQ_EUlSP_E0_NS1_11comp_targetILNS1_3genE4ELNS1_11target_archE910ELNS1_3gpuE8ELNS1_3repE0EEENS1_30default_config_static_selectorELNS0_4arch9wavefront6targetE1EEEvT1_, .Lfunc_end1900-_ZN7rocprim17ROCPRIM_400000_NS6detail17trampoline_kernelINS0_14default_configENS1_20scan_config_selectorIdEEZZNS1_9scan_implILNS1_25lookback_scan_determinismE0ELb1ELb1ES3_N6thrust23THRUST_200600_302600_NS6detail15normal_iteratorINS9_10device_ptrIdEEEESE_d11max_functorIdEdEEDaPvRmT3_T4_T5_mT6_P12ihipStream_tbENKUlT_T0_E_clISt17integral_constantIbLb1EESU_EEDaSP_SQ_EUlSP_E0_NS1_11comp_targetILNS1_3genE4ELNS1_11target_archE910ELNS1_3gpuE8ELNS1_3repE0EEENS1_30default_config_static_selectorELNS0_4arch9wavefront6targetE1EEEvT1_
                                        ; -- End function
	.section	.AMDGPU.csdata,"",@progbits
; Kernel info:
; codeLenInByte = 2372
; NumSgprs: 32
; NumVgprs: 31
; NumAgprs: 0
; TotalNumVgprs: 31
; ScratchSize: 0
; MemoryBound: 0
; FloatMode: 240
; IeeeMode: 1
; LDSByteSize: 10240 bytes/workgroup (compile time only)
; SGPRBlocks: 3
; VGPRBlocks: 3
; NumSGPRsForWavesPerEU: 32
; NumVGPRsForWavesPerEU: 31
; AccumOffset: 32
; Occupancy: 3
; WaveLimiterHint : 0
; COMPUTE_PGM_RSRC2:SCRATCH_EN: 0
; COMPUTE_PGM_RSRC2:USER_SGPR: 6
; COMPUTE_PGM_RSRC2:TRAP_HANDLER: 0
; COMPUTE_PGM_RSRC2:TGID_X_EN: 1
; COMPUTE_PGM_RSRC2:TGID_Y_EN: 0
; COMPUTE_PGM_RSRC2:TGID_Z_EN: 0
; COMPUTE_PGM_RSRC2:TIDIG_COMP_CNT: 0
; COMPUTE_PGM_RSRC3_GFX90A:ACCUM_OFFSET: 7
; COMPUTE_PGM_RSRC3_GFX90A:TG_SPLIT: 0
	.section	.text._ZN7rocprim17ROCPRIM_400000_NS6detail17trampoline_kernelINS0_14default_configENS1_20scan_config_selectorIdEEZZNS1_9scan_implILNS1_25lookback_scan_determinismE0ELb1ELb1ES3_N6thrust23THRUST_200600_302600_NS6detail15normal_iteratorINS9_10device_ptrIdEEEESE_d11max_functorIdEdEEDaPvRmT3_T4_T5_mT6_P12ihipStream_tbENKUlT_T0_E_clISt17integral_constantIbLb1EESU_EEDaSP_SQ_EUlSP_E0_NS1_11comp_targetILNS1_3genE3ELNS1_11target_archE908ELNS1_3gpuE7ELNS1_3repE0EEENS1_30default_config_static_selectorELNS0_4arch9wavefront6targetE1EEEvT1_,"axG",@progbits,_ZN7rocprim17ROCPRIM_400000_NS6detail17trampoline_kernelINS0_14default_configENS1_20scan_config_selectorIdEEZZNS1_9scan_implILNS1_25lookback_scan_determinismE0ELb1ELb1ES3_N6thrust23THRUST_200600_302600_NS6detail15normal_iteratorINS9_10device_ptrIdEEEESE_d11max_functorIdEdEEDaPvRmT3_T4_T5_mT6_P12ihipStream_tbENKUlT_T0_E_clISt17integral_constantIbLb1EESU_EEDaSP_SQ_EUlSP_E0_NS1_11comp_targetILNS1_3genE3ELNS1_11target_archE908ELNS1_3gpuE7ELNS1_3repE0EEENS1_30default_config_static_selectorELNS0_4arch9wavefront6targetE1EEEvT1_,comdat
	.protected	_ZN7rocprim17ROCPRIM_400000_NS6detail17trampoline_kernelINS0_14default_configENS1_20scan_config_selectorIdEEZZNS1_9scan_implILNS1_25lookback_scan_determinismE0ELb1ELb1ES3_N6thrust23THRUST_200600_302600_NS6detail15normal_iteratorINS9_10device_ptrIdEEEESE_d11max_functorIdEdEEDaPvRmT3_T4_T5_mT6_P12ihipStream_tbENKUlT_T0_E_clISt17integral_constantIbLb1EESU_EEDaSP_SQ_EUlSP_E0_NS1_11comp_targetILNS1_3genE3ELNS1_11target_archE908ELNS1_3gpuE7ELNS1_3repE0EEENS1_30default_config_static_selectorELNS0_4arch9wavefront6targetE1EEEvT1_ ; -- Begin function _ZN7rocprim17ROCPRIM_400000_NS6detail17trampoline_kernelINS0_14default_configENS1_20scan_config_selectorIdEEZZNS1_9scan_implILNS1_25lookback_scan_determinismE0ELb1ELb1ES3_N6thrust23THRUST_200600_302600_NS6detail15normal_iteratorINS9_10device_ptrIdEEEESE_d11max_functorIdEdEEDaPvRmT3_T4_T5_mT6_P12ihipStream_tbENKUlT_T0_E_clISt17integral_constantIbLb1EESU_EEDaSP_SQ_EUlSP_E0_NS1_11comp_targetILNS1_3genE3ELNS1_11target_archE908ELNS1_3gpuE7ELNS1_3repE0EEENS1_30default_config_static_selectorELNS0_4arch9wavefront6targetE1EEEvT1_
	.globl	_ZN7rocprim17ROCPRIM_400000_NS6detail17trampoline_kernelINS0_14default_configENS1_20scan_config_selectorIdEEZZNS1_9scan_implILNS1_25lookback_scan_determinismE0ELb1ELb1ES3_N6thrust23THRUST_200600_302600_NS6detail15normal_iteratorINS9_10device_ptrIdEEEESE_d11max_functorIdEdEEDaPvRmT3_T4_T5_mT6_P12ihipStream_tbENKUlT_T0_E_clISt17integral_constantIbLb1EESU_EEDaSP_SQ_EUlSP_E0_NS1_11comp_targetILNS1_3genE3ELNS1_11target_archE908ELNS1_3gpuE7ELNS1_3repE0EEENS1_30default_config_static_selectorELNS0_4arch9wavefront6targetE1EEEvT1_
	.p2align	8
	.type	_ZN7rocprim17ROCPRIM_400000_NS6detail17trampoline_kernelINS0_14default_configENS1_20scan_config_selectorIdEEZZNS1_9scan_implILNS1_25lookback_scan_determinismE0ELb1ELb1ES3_N6thrust23THRUST_200600_302600_NS6detail15normal_iteratorINS9_10device_ptrIdEEEESE_d11max_functorIdEdEEDaPvRmT3_T4_T5_mT6_P12ihipStream_tbENKUlT_T0_E_clISt17integral_constantIbLb1EESU_EEDaSP_SQ_EUlSP_E0_NS1_11comp_targetILNS1_3genE3ELNS1_11target_archE908ELNS1_3gpuE7ELNS1_3repE0EEENS1_30default_config_static_selectorELNS0_4arch9wavefront6targetE1EEEvT1_,@function
_ZN7rocprim17ROCPRIM_400000_NS6detail17trampoline_kernelINS0_14default_configENS1_20scan_config_selectorIdEEZZNS1_9scan_implILNS1_25lookback_scan_determinismE0ELb1ELb1ES3_N6thrust23THRUST_200600_302600_NS6detail15normal_iteratorINS9_10device_ptrIdEEEESE_d11max_functorIdEdEEDaPvRmT3_T4_T5_mT6_P12ihipStream_tbENKUlT_T0_E_clISt17integral_constantIbLb1EESU_EEDaSP_SQ_EUlSP_E0_NS1_11comp_targetILNS1_3genE3ELNS1_11target_archE908ELNS1_3gpuE7ELNS1_3repE0EEENS1_30default_config_static_selectorELNS0_4arch9wavefront6targetE1EEEvT1_: ; @_ZN7rocprim17ROCPRIM_400000_NS6detail17trampoline_kernelINS0_14default_configENS1_20scan_config_selectorIdEEZZNS1_9scan_implILNS1_25lookback_scan_determinismE0ELb1ELb1ES3_N6thrust23THRUST_200600_302600_NS6detail15normal_iteratorINS9_10device_ptrIdEEEESE_d11max_functorIdEdEEDaPvRmT3_T4_T5_mT6_P12ihipStream_tbENKUlT_T0_E_clISt17integral_constantIbLb1EESU_EEDaSP_SQ_EUlSP_E0_NS1_11comp_targetILNS1_3genE3ELNS1_11target_archE908ELNS1_3gpuE7ELNS1_3repE0EEENS1_30default_config_static_selectorELNS0_4arch9wavefront6targetE1EEEvT1_
; %bb.0:
	.section	.rodata,"a",@progbits
	.p2align	6, 0x0
	.amdhsa_kernel _ZN7rocprim17ROCPRIM_400000_NS6detail17trampoline_kernelINS0_14default_configENS1_20scan_config_selectorIdEEZZNS1_9scan_implILNS1_25lookback_scan_determinismE0ELb1ELb1ES3_N6thrust23THRUST_200600_302600_NS6detail15normal_iteratorINS9_10device_ptrIdEEEESE_d11max_functorIdEdEEDaPvRmT3_T4_T5_mT6_P12ihipStream_tbENKUlT_T0_E_clISt17integral_constantIbLb1EESU_EEDaSP_SQ_EUlSP_E0_NS1_11comp_targetILNS1_3genE3ELNS1_11target_archE908ELNS1_3gpuE7ELNS1_3repE0EEENS1_30default_config_static_selectorELNS0_4arch9wavefront6targetE1EEEvT1_
		.amdhsa_group_segment_fixed_size 0
		.amdhsa_private_segment_fixed_size 0
		.amdhsa_kernarg_size 40
		.amdhsa_user_sgpr_count 6
		.amdhsa_user_sgpr_private_segment_buffer 1
		.amdhsa_user_sgpr_dispatch_ptr 0
		.amdhsa_user_sgpr_queue_ptr 0
		.amdhsa_user_sgpr_kernarg_segment_ptr 1
		.amdhsa_user_sgpr_dispatch_id 0
		.amdhsa_user_sgpr_flat_scratch_init 0
		.amdhsa_user_sgpr_kernarg_preload_length 0
		.amdhsa_user_sgpr_kernarg_preload_offset 0
		.amdhsa_user_sgpr_private_segment_size 0
		.amdhsa_uses_dynamic_stack 0
		.amdhsa_system_sgpr_private_segment_wavefront_offset 0
		.amdhsa_system_sgpr_workgroup_id_x 1
		.amdhsa_system_sgpr_workgroup_id_y 0
		.amdhsa_system_sgpr_workgroup_id_z 0
		.amdhsa_system_sgpr_workgroup_info 0
		.amdhsa_system_vgpr_workitem_id 0
		.amdhsa_next_free_vgpr 1
		.amdhsa_next_free_sgpr 0
		.amdhsa_accum_offset 4
		.amdhsa_reserve_vcc 0
		.amdhsa_reserve_flat_scratch 0
		.amdhsa_float_round_mode_32 0
		.amdhsa_float_round_mode_16_64 0
		.amdhsa_float_denorm_mode_32 3
		.amdhsa_float_denorm_mode_16_64 3
		.amdhsa_dx10_clamp 1
		.amdhsa_ieee_mode 1
		.amdhsa_fp16_overflow 0
		.amdhsa_tg_split 0
		.amdhsa_exception_fp_ieee_invalid_op 0
		.amdhsa_exception_fp_denorm_src 0
		.amdhsa_exception_fp_ieee_div_zero 0
		.amdhsa_exception_fp_ieee_overflow 0
		.amdhsa_exception_fp_ieee_underflow 0
		.amdhsa_exception_fp_ieee_inexact 0
		.amdhsa_exception_int_div_zero 0
	.end_amdhsa_kernel
	.section	.text._ZN7rocprim17ROCPRIM_400000_NS6detail17trampoline_kernelINS0_14default_configENS1_20scan_config_selectorIdEEZZNS1_9scan_implILNS1_25lookback_scan_determinismE0ELb1ELb1ES3_N6thrust23THRUST_200600_302600_NS6detail15normal_iteratorINS9_10device_ptrIdEEEESE_d11max_functorIdEdEEDaPvRmT3_T4_T5_mT6_P12ihipStream_tbENKUlT_T0_E_clISt17integral_constantIbLb1EESU_EEDaSP_SQ_EUlSP_E0_NS1_11comp_targetILNS1_3genE3ELNS1_11target_archE908ELNS1_3gpuE7ELNS1_3repE0EEENS1_30default_config_static_selectorELNS0_4arch9wavefront6targetE1EEEvT1_,"axG",@progbits,_ZN7rocprim17ROCPRIM_400000_NS6detail17trampoline_kernelINS0_14default_configENS1_20scan_config_selectorIdEEZZNS1_9scan_implILNS1_25lookback_scan_determinismE0ELb1ELb1ES3_N6thrust23THRUST_200600_302600_NS6detail15normal_iteratorINS9_10device_ptrIdEEEESE_d11max_functorIdEdEEDaPvRmT3_T4_T5_mT6_P12ihipStream_tbENKUlT_T0_E_clISt17integral_constantIbLb1EESU_EEDaSP_SQ_EUlSP_E0_NS1_11comp_targetILNS1_3genE3ELNS1_11target_archE908ELNS1_3gpuE7ELNS1_3repE0EEENS1_30default_config_static_selectorELNS0_4arch9wavefront6targetE1EEEvT1_,comdat
.Lfunc_end1901:
	.size	_ZN7rocprim17ROCPRIM_400000_NS6detail17trampoline_kernelINS0_14default_configENS1_20scan_config_selectorIdEEZZNS1_9scan_implILNS1_25lookback_scan_determinismE0ELb1ELb1ES3_N6thrust23THRUST_200600_302600_NS6detail15normal_iteratorINS9_10device_ptrIdEEEESE_d11max_functorIdEdEEDaPvRmT3_T4_T5_mT6_P12ihipStream_tbENKUlT_T0_E_clISt17integral_constantIbLb1EESU_EEDaSP_SQ_EUlSP_E0_NS1_11comp_targetILNS1_3genE3ELNS1_11target_archE908ELNS1_3gpuE7ELNS1_3repE0EEENS1_30default_config_static_selectorELNS0_4arch9wavefront6targetE1EEEvT1_, .Lfunc_end1901-_ZN7rocprim17ROCPRIM_400000_NS6detail17trampoline_kernelINS0_14default_configENS1_20scan_config_selectorIdEEZZNS1_9scan_implILNS1_25lookback_scan_determinismE0ELb1ELb1ES3_N6thrust23THRUST_200600_302600_NS6detail15normal_iteratorINS9_10device_ptrIdEEEESE_d11max_functorIdEdEEDaPvRmT3_T4_T5_mT6_P12ihipStream_tbENKUlT_T0_E_clISt17integral_constantIbLb1EESU_EEDaSP_SQ_EUlSP_E0_NS1_11comp_targetILNS1_3genE3ELNS1_11target_archE908ELNS1_3gpuE7ELNS1_3repE0EEENS1_30default_config_static_selectorELNS0_4arch9wavefront6targetE1EEEvT1_
                                        ; -- End function
	.section	.AMDGPU.csdata,"",@progbits
; Kernel info:
; codeLenInByte = 0
; NumSgprs: 4
; NumVgprs: 0
; NumAgprs: 0
; TotalNumVgprs: 0
; ScratchSize: 0
; MemoryBound: 0
; FloatMode: 240
; IeeeMode: 1
; LDSByteSize: 0 bytes/workgroup (compile time only)
; SGPRBlocks: 0
; VGPRBlocks: 0
; NumSGPRsForWavesPerEU: 4
; NumVGPRsForWavesPerEU: 1
; AccumOffset: 4
; Occupancy: 8
; WaveLimiterHint : 0
; COMPUTE_PGM_RSRC2:SCRATCH_EN: 0
; COMPUTE_PGM_RSRC2:USER_SGPR: 6
; COMPUTE_PGM_RSRC2:TRAP_HANDLER: 0
; COMPUTE_PGM_RSRC2:TGID_X_EN: 1
; COMPUTE_PGM_RSRC2:TGID_Y_EN: 0
; COMPUTE_PGM_RSRC2:TGID_Z_EN: 0
; COMPUTE_PGM_RSRC2:TIDIG_COMP_CNT: 0
; COMPUTE_PGM_RSRC3_GFX90A:ACCUM_OFFSET: 0
; COMPUTE_PGM_RSRC3_GFX90A:TG_SPLIT: 0
	.section	.text._ZN7rocprim17ROCPRIM_400000_NS6detail17trampoline_kernelINS0_14default_configENS1_20scan_config_selectorIdEEZZNS1_9scan_implILNS1_25lookback_scan_determinismE0ELb1ELb1ES3_N6thrust23THRUST_200600_302600_NS6detail15normal_iteratorINS9_10device_ptrIdEEEESE_d11max_functorIdEdEEDaPvRmT3_T4_T5_mT6_P12ihipStream_tbENKUlT_T0_E_clISt17integral_constantIbLb1EESU_EEDaSP_SQ_EUlSP_E0_NS1_11comp_targetILNS1_3genE2ELNS1_11target_archE906ELNS1_3gpuE6ELNS1_3repE0EEENS1_30default_config_static_selectorELNS0_4arch9wavefront6targetE1EEEvT1_,"axG",@progbits,_ZN7rocprim17ROCPRIM_400000_NS6detail17trampoline_kernelINS0_14default_configENS1_20scan_config_selectorIdEEZZNS1_9scan_implILNS1_25lookback_scan_determinismE0ELb1ELb1ES3_N6thrust23THRUST_200600_302600_NS6detail15normal_iteratorINS9_10device_ptrIdEEEESE_d11max_functorIdEdEEDaPvRmT3_T4_T5_mT6_P12ihipStream_tbENKUlT_T0_E_clISt17integral_constantIbLb1EESU_EEDaSP_SQ_EUlSP_E0_NS1_11comp_targetILNS1_3genE2ELNS1_11target_archE906ELNS1_3gpuE6ELNS1_3repE0EEENS1_30default_config_static_selectorELNS0_4arch9wavefront6targetE1EEEvT1_,comdat
	.protected	_ZN7rocprim17ROCPRIM_400000_NS6detail17trampoline_kernelINS0_14default_configENS1_20scan_config_selectorIdEEZZNS1_9scan_implILNS1_25lookback_scan_determinismE0ELb1ELb1ES3_N6thrust23THRUST_200600_302600_NS6detail15normal_iteratorINS9_10device_ptrIdEEEESE_d11max_functorIdEdEEDaPvRmT3_T4_T5_mT6_P12ihipStream_tbENKUlT_T0_E_clISt17integral_constantIbLb1EESU_EEDaSP_SQ_EUlSP_E0_NS1_11comp_targetILNS1_3genE2ELNS1_11target_archE906ELNS1_3gpuE6ELNS1_3repE0EEENS1_30default_config_static_selectorELNS0_4arch9wavefront6targetE1EEEvT1_ ; -- Begin function _ZN7rocprim17ROCPRIM_400000_NS6detail17trampoline_kernelINS0_14default_configENS1_20scan_config_selectorIdEEZZNS1_9scan_implILNS1_25lookback_scan_determinismE0ELb1ELb1ES3_N6thrust23THRUST_200600_302600_NS6detail15normal_iteratorINS9_10device_ptrIdEEEESE_d11max_functorIdEdEEDaPvRmT3_T4_T5_mT6_P12ihipStream_tbENKUlT_T0_E_clISt17integral_constantIbLb1EESU_EEDaSP_SQ_EUlSP_E0_NS1_11comp_targetILNS1_3genE2ELNS1_11target_archE906ELNS1_3gpuE6ELNS1_3repE0EEENS1_30default_config_static_selectorELNS0_4arch9wavefront6targetE1EEEvT1_
	.globl	_ZN7rocprim17ROCPRIM_400000_NS6detail17trampoline_kernelINS0_14default_configENS1_20scan_config_selectorIdEEZZNS1_9scan_implILNS1_25lookback_scan_determinismE0ELb1ELb1ES3_N6thrust23THRUST_200600_302600_NS6detail15normal_iteratorINS9_10device_ptrIdEEEESE_d11max_functorIdEdEEDaPvRmT3_T4_T5_mT6_P12ihipStream_tbENKUlT_T0_E_clISt17integral_constantIbLb1EESU_EEDaSP_SQ_EUlSP_E0_NS1_11comp_targetILNS1_3genE2ELNS1_11target_archE906ELNS1_3gpuE6ELNS1_3repE0EEENS1_30default_config_static_selectorELNS0_4arch9wavefront6targetE1EEEvT1_
	.p2align	8
	.type	_ZN7rocprim17ROCPRIM_400000_NS6detail17trampoline_kernelINS0_14default_configENS1_20scan_config_selectorIdEEZZNS1_9scan_implILNS1_25lookback_scan_determinismE0ELb1ELb1ES3_N6thrust23THRUST_200600_302600_NS6detail15normal_iteratorINS9_10device_ptrIdEEEESE_d11max_functorIdEdEEDaPvRmT3_T4_T5_mT6_P12ihipStream_tbENKUlT_T0_E_clISt17integral_constantIbLb1EESU_EEDaSP_SQ_EUlSP_E0_NS1_11comp_targetILNS1_3genE2ELNS1_11target_archE906ELNS1_3gpuE6ELNS1_3repE0EEENS1_30default_config_static_selectorELNS0_4arch9wavefront6targetE1EEEvT1_,@function
_ZN7rocprim17ROCPRIM_400000_NS6detail17trampoline_kernelINS0_14default_configENS1_20scan_config_selectorIdEEZZNS1_9scan_implILNS1_25lookback_scan_determinismE0ELb1ELb1ES3_N6thrust23THRUST_200600_302600_NS6detail15normal_iteratorINS9_10device_ptrIdEEEESE_d11max_functorIdEdEEDaPvRmT3_T4_T5_mT6_P12ihipStream_tbENKUlT_T0_E_clISt17integral_constantIbLb1EESU_EEDaSP_SQ_EUlSP_E0_NS1_11comp_targetILNS1_3genE2ELNS1_11target_archE906ELNS1_3gpuE6ELNS1_3repE0EEENS1_30default_config_static_selectorELNS0_4arch9wavefront6targetE1EEEvT1_: ; @_ZN7rocprim17ROCPRIM_400000_NS6detail17trampoline_kernelINS0_14default_configENS1_20scan_config_selectorIdEEZZNS1_9scan_implILNS1_25lookback_scan_determinismE0ELb1ELb1ES3_N6thrust23THRUST_200600_302600_NS6detail15normal_iteratorINS9_10device_ptrIdEEEESE_d11max_functorIdEdEEDaPvRmT3_T4_T5_mT6_P12ihipStream_tbENKUlT_T0_E_clISt17integral_constantIbLb1EESU_EEDaSP_SQ_EUlSP_E0_NS1_11comp_targetILNS1_3genE2ELNS1_11target_archE906ELNS1_3gpuE6ELNS1_3repE0EEENS1_30default_config_static_selectorELNS0_4arch9wavefront6targetE1EEEvT1_
; %bb.0:
	.section	.rodata,"a",@progbits
	.p2align	6, 0x0
	.amdhsa_kernel _ZN7rocprim17ROCPRIM_400000_NS6detail17trampoline_kernelINS0_14default_configENS1_20scan_config_selectorIdEEZZNS1_9scan_implILNS1_25lookback_scan_determinismE0ELb1ELb1ES3_N6thrust23THRUST_200600_302600_NS6detail15normal_iteratorINS9_10device_ptrIdEEEESE_d11max_functorIdEdEEDaPvRmT3_T4_T5_mT6_P12ihipStream_tbENKUlT_T0_E_clISt17integral_constantIbLb1EESU_EEDaSP_SQ_EUlSP_E0_NS1_11comp_targetILNS1_3genE2ELNS1_11target_archE906ELNS1_3gpuE6ELNS1_3repE0EEENS1_30default_config_static_selectorELNS0_4arch9wavefront6targetE1EEEvT1_
		.amdhsa_group_segment_fixed_size 0
		.amdhsa_private_segment_fixed_size 0
		.amdhsa_kernarg_size 40
		.amdhsa_user_sgpr_count 6
		.amdhsa_user_sgpr_private_segment_buffer 1
		.amdhsa_user_sgpr_dispatch_ptr 0
		.amdhsa_user_sgpr_queue_ptr 0
		.amdhsa_user_sgpr_kernarg_segment_ptr 1
		.amdhsa_user_sgpr_dispatch_id 0
		.amdhsa_user_sgpr_flat_scratch_init 0
		.amdhsa_user_sgpr_kernarg_preload_length 0
		.amdhsa_user_sgpr_kernarg_preload_offset 0
		.amdhsa_user_sgpr_private_segment_size 0
		.amdhsa_uses_dynamic_stack 0
		.amdhsa_system_sgpr_private_segment_wavefront_offset 0
		.amdhsa_system_sgpr_workgroup_id_x 1
		.amdhsa_system_sgpr_workgroup_id_y 0
		.amdhsa_system_sgpr_workgroup_id_z 0
		.amdhsa_system_sgpr_workgroup_info 0
		.amdhsa_system_vgpr_workitem_id 0
		.amdhsa_next_free_vgpr 1
		.amdhsa_next_free_sgpr 0
		.amdhsa_accum_offset 4
		.amdhsa_reserve_vcc 0
		.amdhsa_reserve_flat_scratch 0
		.amdhsa_float_round_mode_32 0
		.amdhsa_float_round_mode_16_64 0
		.amdhsa_float_denorm_mode_32 3
		.amdhsa_float_denorm_mode_16_64 3
		.amdhsa_dx10_clamp 1
		.amdhsa_ieee_mode 1
		.amdhsa_fp16_overflow 0
		.amdhsa_tg_split 0
		.amdhsa_exception_fp_ieee_invalid_op 0
		.amdhsa_exception_fp_denorm_src 0
		.amdhsa_exception_fp_ieee_div_zero 0
		.amdhsa_exception_fp_ieee_overflow 0
		.amdhsa_exception_fp_ieee_underflow 0
		.amdhsa_exception_fp_ieee_inexact 0
		.amdhsa_exception_int_div_zero 0
	.end_amdhsa_kernel
	.section	.text._ZN7rocprim17ROCPRIM_400000_NS6detail17trampoline_kernelINS0_14default_configENS1_20scan_config_selectorIdEEZZNS1_9scan_implILNS1_25lookback_scan_determinismE0ELb1ELb1ES3_N6thrust23THRUST_200600_302600_NS6detail15normal_iteratorINS9_10device_ptrIdEEEESE_d11max_functorIdEdEEDaPvRmT3_T4_T5_mT6_P12ihipStream_tbENKUlT_T0_E_clISt17integral_constantIbLb1EESU_EEDaSP_SQ_EUlSP_E0_NS1_11comp_targetILNS1_3genE2ELNS1_11target_archE906ELNS1_3gpuE6ELNS1_3repE0EEENS1_30default_config_static_selectorELNS0_4arch9wavefront6targetE1EEEvT1_,"axG",@progbits,_ZN7rocprim17ROCPRIM_400000_NS6detail17trampoline_kernelINS0_14default_configENS1_20scan_config_selectorIdEEZZNS1_9scan_implILNS1_25lookback_scan_determinismE0ELb1ELb1ES3_N6thrust23THRUST_200600_302600_NS6detail15normal_iteratorINS9_10device_ptrIdEEEESE_d11max_functorIdEdEEDaPvRmT3_T4_T5_mT6_P12ihipStream_tbENKUlT_T0_E_clISt17integral_constantIbLb1EESU_EEDaSP_SQ_EUlSP_E0_NS1_11comp_targetILNS1_3genE2ELNS1_11target_archE906ELNS1_3gpuE6ELNS1_3repE0EEENS1_30default_config_static_selectorELNS0_4arch9wavefront6targetE1EEEvT1_,comdat
.Lfunc_end1902:
	.size	_ZN7rocprim17ROCPRIM_400000_NS6detail17trampoline_kernelINS0_14default_configENS1_20scan_config_selectorIdEEZZNS1_9scan_implILNS1_25lookback_scan_determinismE0ELb1ELb1ES3_N6thrust23THRUST_200600_302600_NS6detail15normal_iteratorINS9_10device_ptrIdEEEESE_d11max_functorIdEdEEDaPvRmT3_T4_T5_mT6_P12ihipStream_tbENKUlT_T0_E_clISt17integral_constantIbLb1EESU_EEDaSP_SQ_EUlSP_E0_NS1_11comp_targetILNS1_3genE2ELNS1_11target_archE906ELNS1_3gpuE6ELNS1_3repE0EEENS1_30default_config_static_selectorELNS0_4arch9wavefront6targetE1EEEvT1_, .Lfunc_end1902-_ZN7rocprim17ROCPRIM_400000_NS6detail17trampoline_kernelINS0_14default_configENS1_20scan_config_selectorIdEEZZNS1_9scan_implILNS1_25lookback_scan_determinismE0ELb1ELb1ES3_N6thrust23THRUST_200600_302600_NS6detail15normal_iteratorINS9_10device_ptrIdEEEESE_d11max_functorIdEdEEDaPvRmT3_T4_T5_mT6_P12ihipStream_tbENKUlT_T0_E_clISt17integral_constantIbLb1EESU_EEDaSP_SQ_EUlSP_E0_NS1_11comp_targetILNS1_3genE2ELNS1_11target_archE906ELNS1_3gpuE6ELNS1_3repE0EEENS1_30default_config_static_selectorELNS0_4arch9wavefront6targetE1EEEvT1_
                                        ; -- End function
	.section	.AMDGPU.csdata,"",@progbits
; Kernel info:
; codeLenInByte = 0
; NumSgprs: 4
; NumVgprs: 0
; NumAgprs: 0
; TotalNumVgprs: 0
; ScratchSize: 0
; MemoryBound: 0
; FloatMode: 240
; IeeeMode: 1
; LDSByteSize: 0 bytes/workgroup (compile time only)
; SGPRBlocks: 0
; VGPRBlocks: 0
; NumSGPRsForWavesPerEU: 4
; NumVGPRsForWavesPerEU: 1
; AccumOffset: 4
; Occupancy: 8
; WaveLimiterHint : 0
; COMPUTE_PGM_RSRC2:SCRATCH_EN: 0
; COMPUTE_PGM_RSRC2:USER_SGPR: 6
; COMPUTE_PGM_RSRC2:TRAP_HANDLER: 0
; COMPUTE_PGM_RSRC2:TGID_X_EN: 1
; COMPUTE_PGM_RSRC2:TGID_Y_EN: 0
; COMPUTE_PGM_RSRC2:TGID_Z_EN: 0
; COMPUTE_PGM_RSRC2:TIDIG_COMP_CNT: 0
; COMPUTE_PGM_RSRC3_GFX90A:ACCUM_OFFSET: 0
; COMPUTE_PGM_RSRC3_GFX90A:TG_SPLIT: 0
	.section	.text._ZN7rocprim17ROCPRIM_400000_NS6detail17trampoline_kernelINS0_14default_configENS1_20scan_config_selectorIdEEZZNS1_9scan_implILNS1_25lookback_scan_determinismE0ELb1ELb1ES3_N6thrust23THRUST_200600_302600_NS6detail15normal_iteratorINS9_10device_ptrIdEEEESE_d11max_functorIdEdEEDaPvRmT3_T4_T5_mT6_P12ihipStream_tbENKUlT_T0_E_clISt17integral_constantIbLb1EESU_EEDaSP_SQ_EUlSP_E0_NS1_11comp_targetILNS1_3genE10ELNS1_11target_archE1201ELNS1_3gpuE5ELNS1_3repE0EEENS1_30default_config_static_selectorELNS0_4arch9wavefront6targetE1EEEvT1_,"axG",@progbits,_ZN7rocprim17ROCPRIM_400000_NS6detail17trampoline_kernelINS0_14default_configENS1_20scan_config_selectorIdEEZZNS1_9scan_implILNS1_25lookback_scan_determinismE0ELb1ELb1ES3_N6thrust23THRUST_200600_302600_NS6detail15normal_iteratorINS9_10device_ptrIdEEEESE_d11max_functorIdEdEEDaPvRmT3_T4_T5_mT6_P12ihipStream_tbENKUlT_T0_E_clISt17integral_constantIbLb1EESU_EEDaSP_SQ_EUlSP_E0_NS1_11comp_targetILNS1_3genE10ELNS1_11target_archE1201ELNS1_3gpuE5ELNS1_3repE0EEENS1_30default_config_static_selectorELNS0_4arch9wavefront6targetE1EEEvT1_,comdat
	.protected	_ZN7rocprim17ROCPRIM_400000_NS6detail17trampoline_kernelINS0_14default_configENS1_20scan_config_selectorIdEEZZNS1_9scan_implILNS1_25lookback_scan_determinismE0ELb1ELb1ES3_N6thrust23THRUST_200600_302600_NS6detail15normal_iteratorINS9_10device_ptrIdEEEESE_d11max_functorIdEdEEDaPvRmT3_T4_T5_mT6_P12ihipStream_tbENKUlT_T0_E_clISt17integral_constantIbLb1EESU_EEDaSP_SQ_EUlSP_E0_NS1_11comp_targetILNS1_3genE10ELNS1_11target_archE1201ELNS1_3gpuE5ELNS1_3repE0EEENS1_30default_config_static_selectorELNS0_4arch9wavefront6targetE1EEEvT1_ ; -- Begin function _ZN7rocprim17ROCPRIM_400000_NS6detail17trampoline_kernelINS0_14default_configENS1_20scan_config_selectorIdEEZZNS1_9scan_implILNS1_25lookback_scan_determinismE0ELb1ELb1ES3_N6thrust23THRUST_200600_302600_NS6detail15normal_iteratorINS9_10device_ptrIdEEEESE_d11max_functorIdEdEEDaPvRmT3_T4_T5_mT6_P12ihipStream_tbENKUlT_T0_E_clISt17integral_constantIbLb1EESU_EEDaSP_SQ_EUlSP_E0_NS1_11comp_targetILNS1_3genE10ELNS1_11target_archE1201ELNS1_3gpuE5ELNS1_3repE0EEENS1_30default_config_static_selectorELNS0_4arch9wavefront6targetE1EEEvT1_
	.globl	_ZN7rocprim17ROCPRIM_400000_NS6detail17trampoline_kernelINS0_14default_configENS1_20scan_config_selectorIdEEZZNS1_9scan_implILNS1_25lookback_scan_determinismE0ELb1ELb1ES3_N6thrust23THRUST_200600_302600_NS6detail15normal_iteratorINS9_10device_ptrIdEEEESE_d11max_functorIdEdEEDaPvRmT3_T4_T5_mT6_P12ihipStream_tbENKUlT_T0_E_clISt17integral_constantIbLb1EESU_EEDaSP_SQ_EUlSP_E0_NS1_11comp_targetILNS1_3genE10ELNS1_11target_archE1201ELNS1_3gpuE5ELNS1_3repE0EEENS1_30default_config_static_selectorELNS0_4arch9wavefront6targetE1EEEvT1_
	.p2align	8
	.type	_ZN7rocprim17ROCPRIM_400000_NS6detail17trampoline_kernelINS0_14default_configENS1_20scan_config_selectorIdEEZZNS1_9scan_implILNS1_25lookback_scan_determinismE0ELb1ELb1ES3_N6thrust23THRUST_200600_302600_NS6detail15normal_iteratorINS9_10device_ptrIdEEEESE_d11max_functorIdEdEEDaPvRmT3_T4_T5_mT6_P12ihipStream_tbENKUlT_T0_E_clISt17integral_constantIbLb1EESU_EEDaSP_SQ_EUlSP_E0_NS1_11comp_targetILNS1_3genE10ELNS1_11target_archE1201ELNS1_3gpuE5ELNS1_3repE0EEENS1_30default_config_static_selectorELNS0_4arch9wavefront6targetE1EEEvT1_,@function
_ZN7rocprim17ROCPRIM_400000_NS6detail17trampoline_kernelINS0_14default_configENS1_20scan_config_selectorIdEEZZNS1_9scan_implILNS1_25lookback_scan_determinismE0ELb1ELb1ES3_N6thrust23THRUST_200600_302600_NS6detail15normal_iteratorINS9_10device_ptrIdEEEESE_d11max_functorIdEdEEDaPvRmT3_T4_T5_mT6_P12ihipStream_tbENKUlT_T0_E_clISt17integral_constantIbLb1EESU_EEDaSP_SQ_EUlSP_E0_NS1_11comp_targetILNS1_3genE10ELNS1_11target_archE1201ELNS1_3gpuE5ELNS1_3repE0EEENS1_30default_config_static_selectorELNS0_4arch9wavefront6targetE1EEEvT1_: ; @_ZN7rocprim17ROCPRIM_400000_NS6detail17trampoline_kernelINS0_14default_configENS1_20scan_config_selectorIdEEZZNS1_9scan_implILNS1_25lookback_scan_determinismE0ELb1ELb1ES3_N6thrust23THRUST_200600_302600_NS6detail15normal_iteratorINS9_10device_ptrIdEEEESE_d11max_functorIdEdEEDaPvRmT3_T4_T5_mT6_P12ihipStream_tbENKUlT_T0_E_clISt17integral_constantIbLb1EESU_EEDaSP_SQ_EUlSP_E0_NS1_11comp_targetILNS1_3genE10ELNS1_11target_archE1201ELNS1_3gpuE5ELNS1_3repE0EEENS1_30default_config_static_selectorELNS0_4arch9wavefront6targetE1EEEvT1_
; %bb.0:
	.section	.rodata,"a",@progbits
	.p2align	6, 0x0
	.amdhsa_kernel _ZN7rocprim17ROCPRIM_400000_NS6detail17trampoline_kernelINS0_14default_configENS1_20scan_config_selectorIdEEZZNS1_9scan_implILNS1_25lookback_scan_determinismE0ELb1ELb1ES3_N6thrust23THRUST_200600_302600_NS6detail15normal_iteratorINS9_10device_ptrIdEEEESE_d11max_functorIdEdEEDaPvRmT3_T4_T5_mT6_P12ihipStream_tbENKUlT_T0_E_clISt17integral_constantIbLb1EESU_EEDaSP_SQ_EUlSP_E0_NS1_11comp_targetILNS1_3genE10ELNS1_11target_archE1201ELNS1_3gpuE5ELNS1_3repE0EEENS1_30default_config_static_selectorELNS0_4arch9wavefront6targetE1EEEvT1_
		.amdhsa_group_segment_fixed_size 0
		.amdhsa_private_segment_fixed_size 0
		.amdhsa_kernarg_size 40
		.amdhsa_user_sgpr_count 6
		.amdhsa_user_sgpr_private_segment_buffer 1
		.amdhsa_user_sgpr_dispatch_ptr 0
		.amdhsa_user_sgpr_queue_ptr 0
		.amdhsa_user_sgpr_kernarg_segment_ptr 1
		.amdhsa_user_sgpr_dispatch_id 0
		.amdhsa_user_sgpr_flat_scratch_init 0
		.amdhsa_user_sgpr_kernarg_preload_length 0
		.amdhsa_user_sgpr_kernarg_preload_offset 0
		.amdhsa_user_sgpr_private_segment_size 0
		.amdhsa_uses_dynamic_stack 0
		.amdhsa_system_sgpr_private_segment_wavefront_offset 0
		.amdhsa_system_sgpr_workgroup_id_x 1
		.amdhsa_system_sgpr_workgroup_id_y 0
		.amdhsa_system_sgpr_workgroup_id_z 0
		.amdhsa_system_sgpr_workgroup_info 0
		.amdhsa_system_vgpr_workitem_id 0
		.amdhsa_next_free_vgpr 1
		.amdhsa_next_free_sgpr 0
		.amdhsa_accum_offset 4
		.amdhsa_reserve_vcc 0
		.amdhsa_reserve_flat_scratch 0
		.amdhsa_float_round_mode_32 0
		.amdhsa_float_round_mode_16_64 0
		.amdhsa_float_denorm_mode_32 3
		.amdhsa_float_denorm_mode_16_64 3
		.amdhsa_dx10_clamp 1
		.amdhsa_ieee_mode 1
		.amdhsa_fp16_overflow 0
		.amdhsa_tg_split 0
		.amdhsa_exception_fp_ieee_invalid_op 0
		.amdhsa_exception_fp_denorm_src 0
		.amdhsa_exception_fp_ieee_div_zero 0
		.amdhsa_exception_fp_ieee_overflow 0
		.amdhsa_exception_fp_ieee_underflow 0
		.amdhsa_exception_fp_ieee_inexact 0
		.amdhsa_exception_int_div_zero 0
	.end_amdhsa_kernel
	.section	.text._ZN7rocprim17ROCPRIM_400000_NS6detail17trampoline_kernelINS0_14default_configENS1_20scan_config_selectorIdEEZZNS1_9scan_implILNS1_25lookback_scan_determinismE0ELb1ELb1ES3_N6thrust23THRUST_200600_302600_NS6detail15normal_iteratorINS9_10device_ptrIdEEEESE_d11max_functorIdEdEEDaPvRmT3_T4_T5_mT6_P12ihipStream_tbENKUlT_T0_E_clISt17integral_constantIbLb1EESU_EEDaSP_SQ_EUlSP_E0_NS1_11comp_targetILNS1_3genE10ELNS1_11target_archE1201ELNS1_3gpuE5ELNS1_3repE0EEENS1_30default_config_static_selectorELNS0_4arch9wavefront6targetE1EEEvT1_,"axG",@progbits,_ZN7rocprim17ROCPRIM_400000_NS6detail17trampoline_kernelINS0_14default_configENS1_20scan_config_selectorIdEEZZNS1_9scan_implILNS1_25lookback_scan_determinismE0ELb1ELb1ES3_N6thrust23THRUST_200600_302600_NS6detail15normal_iteratorINS9_10device_ptrIdEEEESE_d11max_functorIdEdEEDaPvRmT3_T4_T5_mT6_P12ihipStream_tbENKUlT_T0_E_clISt17integral_constantIbLb1EESU_EEDaSP_SQ_EUlSP_E0_NS1_11comp_targetILNS1_3genE10ELNS1_11target_archE1201ELNS1_3gpuE5ELNS1_3repE0EEENS1_30default_config_static_selectorELNS0_4arch9wavefront6targetE1EEEvT1_,comdat
.Lfunc_end1903:
	.size	_ZN7rocprim17ROCPRIM_400000_NS6detail17trampoline_kernelINS0_14default_configENS1_20scan_config_selectorIdEEZZNS1_9scan_implILNS1_25lookback_scan_determinismE0ELb1ELb1ES3_N6thrust23THRUST_200600_302600_NS6detail15normal_iteratorINS9_10device_ptrIdEEEESE_d11max_functorIdEdEEDaPvRmT3_T4_T5_mT6_P12ihipStream_tbENKUlT_T0_E_clISt17integral_constantIbLb1EESU_EEDaSP_SQ_EUlSP_E0_NS1_11comp_targetILNS1_3genE10ELNS1_11target_archE1201ELNS1_3gpuE5ELNS1_3repE0EEENS1_30default_config_static_selectorELNS0_4arch9wavefront6targetE1EEEvT1_, .Lfunc_end1903-_ZN7rocprim17ROCPRIM_400000_NS6detail17trampoline_kernelINS0_14default_configENS1_20scan_config_selectorIdEEZZNS1_9scan_implILNS1_25lookback_scan_determinismE0ELb1ELb1ES3_N6thrust23THRUST_200600_302600_NS6detail15normal_iteratorINS9_10device_ptrIdEEEESE_d11max_functorIdEdEEDaPvRmT3_T4_T5_mT6_P12ihipStream_tbENKUlT_T0_E_clISt17integral_constantIbLb1EESU_EEDaSP_SQ_EUlSP_E0_NS1_11comp_targetILNS1_3genE10ELNS1_11target_archE1201ELNS1_3gpuE5ELNS1_3repE0EEENS1_30default_config_static_selectorELNS0_4arch9wavefront6targetE1EEEvT1_
                                        ; -- End function
	.section	.AMDGPU.csdata,"",@progbits
; Kernel info:
; codeLenInByte = 0
; NumSgprs: 4
; NumVgprs: 0
; NumAgprs: 0
; TotalNumVgprs: 0
; ScratchSize: 0
; MemoryBound: 0
; FloatMode: 240
; IeeeMode: 1
; LDSByteSize: 0 bytes/workgroup (compile time only)
; SGPRBlocks: 0
; VGPRBlocks: 0
; NumSGPRsForWavesPerEU: 4
; NumVGPRsForWavesPerEU: 1
; AccumOffset: 4
; Occupancy: 8
; WaveLimiterHint : 0
; COMPUTE_PGM_RSRC2:SCRATCH_EN: 0
; COMPUTE_PGM_RSRC2:USER_SGPR: 6
; COMPUTE_PGM_RSRC2:TRAP_HANDLER: 0
; COMPUTE_PGM_RSRC2:TGID_X_EN: 1
; COMPUTE_PGM_RSRC2:TGID_Y_EN: 0
; COMPUTE_PGM_RSRC2:TGID_Z_EN: 0
; COMPUTE_PGM_RSRC2:TIDIG_COMP_CNT: 0
; COMPUTE_PGM_RSRC3_GFX90A:ACCUM_OFFSET: 0
; COMPUTE_PGM_RSRC3_GFX90A:TG_SPLIT: 0
	.section	.text._ZN7rocprim17ROCPRIM_400000_NS6detail17trampoline_kernelINS0_14default_configENS1_20scan_config_selectorIdEEZZNS1_9scan_implILNS1_25lookback_scan_determinismE0ELb1ELb1ES3_N6thrust23THRUST_200600_302600_NS6detail15normal_iteratorINS9_10device_ptrIdEEEESE_d11max_functorIdEdEEDaPvRmT3_T4_T5_mT6_P12ihipStream_tbENKUlT_T0_E_clISt17integral_constantIbLb1EESU_EEDaSP_SQ_EUlSP_E0_NS1_11comp_targetILNS1_3genE10ELNS1_11target_archE1200ELNS1_3gpuE4ELNS1_3repE0EEENS1_30default_config_static_selectorELNS0_4arch9wavefront6targetE1EEEvT1_,"axG",@progbits,_ZN7rocprim17ROCPRIM_400000_NS6detail17trampoline_kernelINS0_14default_configENS1_20scan_config_selectorIdEEZZNS1_9scan_implILNS1_25lookback_scan_determinismE0ELb1ELb1ES3_N6thrust23THRUST_200600_302600_NS6detail15normal_iteratorINS9_10device_ptrIdEEEESE_d11max_functorIdEdEEDaPvRmT3_T4_T5_mT6_P12ihipStream_tbENKUlT_T0_E_clISt17integral_constantIbLb1EESU_EEDaSP_SQ_EUlSP_E0_NS1_11comp_targetILNS1_3genE10ELNS1_11target_archE1200ELNS1_3gpuE4ELNS1_3repE0EEENS1_30default_config_static_selectorELNS0_4arch9wavefront6targetE1EEEvT1_,comdat
	.protected	_ZN7rocprim17ROCPRIM_400000_NS6detail17trampoline_kernelINS0_14default_configENS1_20scan_config_selectorIdEEZZNS1_9scan_implILNS1_25lookback_scan_determinismE0ELb1ELb1ES3_N6thrust23THRUST_200600_302600_NS6detail15normal_iteratorINS9_10device_ptrIdEEEESE_d11max_functorIdEdEEDaPvRmT3_T4_T5_mT6_P12ihipStream_tbENKUlT_T0_E_clISt17integral_constantIbLb1EESU_EEDaSP_SQ_EUlSP_E0_NS1_11comp_targetILNS1_3genE10ELNS1_11target_archE1200ELNS1_3gpuE4ELNS1_3repE0EEENS1_30default_config_static_selectorELNS0_4arch9wavefront6targetE1EEEvT1_ ; -- Begin function _ZN7rocprim17ROCPRIM_400000_NS6detail17trampoline_kernelINS0_14default_configENS1_20scan_config_selectorIdEEZZNS1_9scan_implILNS1_25lookback_scan_determinismE0ELb1ELb1ES3_N6thrust23THRUST_200600_302600_NS6detail15normal_iteratorINS9_10device_ptrIdEEEESE_d11max_functorIdEdEEDaPvRmT3_T4_T5_mT6_P12ihipStream_tbENKUlT_T0_E_clISt17integral_constantIbLb1EESU_EEDaSP_SQ_EUlSP_E0_NS1_11comp_targetILNS1_3genE10ELNS1_11target_archE1200ELNS1_3gpuE4ELNS1_3repE0EEENS1_30default_config_static_selectorELNS0_4arch9wavefront6targetE1EEEvT1_
	.globl	_ZN7rocprim17ROCPRIM_400000_NS6detail17trampoline_kernelINS0_14default_configENS1_20scan_config_selectorIdEEZZNS1_9scan_implILNS1_25lookback_scan_determinismE0ELb1ELb1ES3_N6thrust23THRUST_200600_302600_NS6detail15normal_iteratorINS9_10device_ptrIdEEEESE_d11max_functorIdEdEEDaPvRmT3_T4_T5_mT6_P12ihipStream_tbENKUlT_T0_E_clISt17integral_constantIbLb1EESU_EEDaSP_SQ_EUlSP_E0_NS1_11comp_targetILNS1_3genE10ELNS1_11target_archE1200ELNS1_3gpuE4ELNS1_3repE0EEENS1_30default_config_static_selectorELNS0_4arch9wavefront6targetE1EEEvT1_
	.p2align	8
	.type	_ZN7rocprim17ROCPRIM_400000_NS6detail17trampoline_kernelINS0_14default_configENS1_20scan_config_selectorIdEEZZNS1_9scan_implILNS1_25lookback_scan_determinismE0ELb1ELb1ES3_N6thrust23THRUST_200600_302600_NS6detail15normal_iteratorINS9_10device_ptrIdEEEESE_d11max_functorIdEdEEDaPvRmT3_T4_T5_mT6_P12ihipStream_tbENKUlT_T0_E_clISt17integral_constantIbLb1EESU_EEDaSP_SQ_EUlSP_E0_NS1_11comp_targetILNS1_3genE10ELNS1_11target_archE1200ELNS1_3gpuE4ELNS1_3repE0EEENS1_30default_config_static_selectorELNS0_4arch9wavefront6targetE1EEEvT1_,@function
_ZN7rocprim17ROCPRIM_400000_NS6detail17trampoline_kernelINS0_14default_configENS1_20scan_config_selectorIdEEZZNS1_9scan_implILNS1_25lookback_scan_determinismE0ELb1ELb1ES3_N6thrust23THRUST_200600_302600_NS6detail15normal_iteratorINS9_10device_ptrIdEEEESE_d11max_functorIdEdEEDaPvRmT3_T4_T5_mT6_P12ihipStream_tbENKUlT_T0_E_clISt17integral_constantIbLb1EESU_EEDaSP_SQ_EUlSP_E0_NS1_11comp_targetILNS1_3genE10ELNS1_11target_archE1200ELNS1_3gpuE4ELNS1_3repE0EEENS1_30default_config_static_selectorELNS0_4arch9wavefront6targetE1EEEvT1_: ; @_ZN7rocprim17ROCPRIM_400000_NS6detail17trampoline_kernelINS0_14default_configENS1_20scan_config_selectorIdEEZZNS1_9scan_implILNS1_25lookback_scan_determinismE0ELb1ELb1ES3_N6thrust23THRUST_200600_302600_NS6detail15normal_iteratorINS9_10device_ptrIdEEEESE_d11max_functorIdEdEEDaPvRmT3_T4_T5_mT6_P12ihipStream_tbENKUlT_T0_E_clISt17integral_constantIbLb1EESU_EEDaSP_SQ_EUlSP_E0_NS1_11comp_targetILNS1_3genE10ELNS1_11target_archE1200ELNS1_3gpuE4ELNS1_3repE0EEENS1_30default_config_static_selectorELNS0_4arch9wavefront6targetE1EEEvT1_
; %bb.0:
	.section	.rodata,"a",@progbits
	.p2align	6, 0x0
	.amdhsa_kernel _ZN7rocprim17ROCPRIM_400000_NS6detail17trampoline_kernelINS0_14default_configENS1_20scan_config_selectorIdEEZZNS1_9scan_implILNS1_25lookback_scan_determinismE0ELb1ELb1ES3_N6thrust23THRUST_200600_302600_NS6detail15normal_iteratorINS9_10device_ptrIdEEEESE_d11max_functorIdEdEEDaPvRmT3_T4_T5_mT6_P12ihipStream_tbENKUlT_T0_E_clISt17integral_constantIbLb1EESU_EEDaSP_SQ_EUlSP_E0_NS1_11comp_targetILNS1_3genE10ELNS1_11target_archE1200ELNS1_3gpuE4ELNS1_3repE0EEENS1_30default_config_static_selectorELNS0_4arch9wavefront6targetE1EEEvT1_
		.amdhsa_group_segment_fixed_size 0
		.amdhsa_private_segment_fixed_size 0
		.amdhsa_kernarg_size 40
		.amdhsa_user_sgpr_count 6
		.amdhsa_user_sgpr_private_segment_buffer 1
		.amdhsa_user_sgpr_dispatch_ptr 0
		.amdhsa_user_sgpr_queue_ptr 0
		.amdhsa_user_sgpr_kernarg_segment_ptr 1
		.amdhsa_user_sgpr_dispatch_id 0
		.amdhsa_user_sgpr_flat_scratch_init 0
		.amdhsa_user_sgpr_kernarg_preload_length 0
		.amdhsa_user_sgpr_kernarg_preload_offset 0
		.amdhsa_user_sgpr_private_segment_size 0
		.amdhsa_uses_dynamic_stack 0
		.amdhsa_system_sgpr_private_segment_wavefront_offset 0
		.amdhsa_system_sgpr_workgroup_id_x 1
		.amdhsa_system_sgpr_workgroup_id_y 0
		.amdhsa_system_sgpr_workgroup_id_z 0
		.amdhsa_system_sgpr_workgroup_info 0
		.amdhsa_system_vgpr_workitem_id 0
		.amdhsa_next_free_vgpr 1
		.amdhsa_next_free_sgpr 0
		.amdhsa_accum_offset 4
		.amdhsa_reserve_vcc 0
		.amdhsa_reserve_flat_scratch 0
		.amdhsa_float_round_mode_32 0
		.amdhsa_float_round_mode_16_64 0
		.amdhsa_float_denorm_mode_32 3
		.amdhsa_float_denorm_mode_16_64 3
		.amdhsa_dx10_clamp 1
		.amdhsa_ieee_mode 1
		.amdhsa_fp16_overflow 0
		.amdhsa_tg_split 0
		.amdhsa_exception_fp_ieee_invalid_op 0
		.amdhsa_exception_fp_denorm_src 0
		.amdhsa_exception_fp_ieee_div_zero 0
		.amdhsa_exception_fp_ieee_overflow 0
		.amdhsa_exception_fp_ieee_underflow 0
		.amdhsa_exception_fp_ieee_inexact 0
		.amdhsa_exception_int_div_zero 0
	.end_amdhsa_kernel
	.section	.text._ZN7rocprim17ROCPRIM_400000_NS6detail17trampoline_kernelINS0_14default_configENS1_20scan_config_selectorIdEEZZNS1_9scan_implILNS1_25lookback_scan_determinismE0ELb1ELb1ES3_N6thrust23THRUST_200600_302600_NS6detail15normal_iteratorINS9_10device_ptrIdEEEESE_d11max_functorIdEdEEDaPvRmT3_T4_T5_mT6_P12ihipStream_tbENKUlT_T0_E_clISt17integral_constantIbLb1EESU_EEDaSP_SQ_EUlSP_E0_NS1_11comp_targetILNS1_3genE10ELNS1_11target_archE1200ELNS1_3gpuE4ELNS1_3repE0EEENS1_30default_config_static_selectorELNS0_4arch9wavefront6targetE1EEEvT1_,"axG",@progbits,_ZN7rocprim17ROCPRIM_400000_NS6detail17trampoline_kernelINS0_14default_configENS1_20scan_config_selectorIdEEZZNS1_9scan_implILNS1_25lookback_scan_determinismE0ELb1ELb1ES3_N6thrust23THRUST_200600_302600_NS6detail15normal_iteratorINS9_10device_ptrIdEEEESE_d11max_functorIdEdEEDaPvRmT3_T4_T5_mT6_P12ihipStream_tbENKUlT_T0_E_clISt17integral_constantIbLb1EESU_EEDaSP_SQ_EUlSP_E0_NS1_11comp_targetILNS1_3genE10ELNS1_11target_archE1200ELNS1_3gpuE4ELNS1_3repE0EEENS1_30default_config_static_selectorELNS0_4arch9wavefront6targetE1EEEvT1_,comdat
.Lfunc_end1904:
	.size	_ZN7rocprim17ROCPRIM_400000_NS6detail17trampoline_kernelINS0_14default_configENS1_20scan_config_selectorIdEEZZNS1_9scan_implILNS1_25lookback_scan_determinismE0ELb1ELb1ES3_N6thrust23THRUST_200600_302600_NS6detail15normal_iteratorINS9_10device_ptrIdEEEESE_d11max_functorIdEdEEDaPvRmT3_T4_T5_mT6_P12ihipStream_tbENKUlT_T0_E_clISt17integral_constantIbLb1EESU_EEDaSP_SQ_EUlSP_E0_NS1_11comp_targetILNS1_3genE10ELNS1_11target_archE1200ELNS1_3gpuE4ELNS1_3repE0EEENS1_30default_config_static_selectorELNS0_4arch9wavefront6targetE1EEEvT1_, .Lfunc_end1904-_ZN7rocprim17ROCPRIM_400000_NS6detail17trampoline_kernelINS0_14default_configENS1_20scan_config_selectorIdEEZZNS1_9scan_implILNS1_25lookback_scan_determinismE0ELb1ELb1ES3_N6thrust23THRUST_200600_302600_NS6detail15normal_iteratorINS9_10device_ptrIdEEEESE_d11max_functorIdEdEEDaPvRmT3_T4_T5_mT6_P12ihipStream_tbENKUlT_T0_E_clISt17integral_constantIbLb1EESU_EEDaSP_SQ_EUlSP_E0_NS1_11comp_targetILNS1_3genE10ELNS1_11target_archE1200ELNS1_3gpuE4ELNS1_3repE0EEENS1_30default_config_static_selectorELNS0_4arch9wavefront6targetE1EEEvT1_
                                        ; -- End function
	.section	.AMDGPU.csdata,"",@progbits
; Kernel info:
; codeLenInByte = 0
; NumSgprs: 4
; NumVgprs: 0
; NumAgprs: 0
; TotalNumVgprs: 0
; ScratchSize: 0
; MemoryBound: 0
; FloatMode: 240
; IeeeMode: 1
; LDSByteSize: 0 bytes/workgroup (compile time only)
; SGPRBlocks: 0
; VGPRBlocks: 0
; NumSGPRsForWavesPerEU: 4
; NumVGPRsForWavesPerEU: 1
; AccumOffset: 4
; Occupancy: 8
; WaveLimiterHint : 0
; COMPUTE_PGM_RSRC2:SCRATCH_EN: 0
; COMPUTE_PGM_RSRC2:USER_SGPR: 6
; COMPUTE_PGM_RSRC2:TRAP_HANDLER: 0
; COMPUTE_PGM_RSRC2:TGID_X_EN: 1
; COMPUTE_PGM_RSRC2:TGID_Y_EN: 0
; COMPUTE_PGM_RSRC2:TGID_Z_EN: 0
; COMPUTE_PGM_RSRC2:TIDIG_COMP_CNT: 0
; COMPUTE_PGM_RSRC3_GFX90A:ACCUM_OFFSET: 0
; COMPUTE_PGM_RSRC3_GFX90A:TG_SPLIT: 0
	.section	.text._ZN7rocprim17ROCPRIM_400000_NS6detail17trampoline_kernelINS0_14default_configENS1_20scan_config_selectorIdEEZZNS1_9scan_implILNS1_25lookback_scan_determinismE0ELb1ELb1ES3_N6thrust23THRUST_200600_302600_NS6detail15normal_iteratorINS9_10device_ptrIdEEEESE_d11max_functorIdEdEEDaPvRmT3_T4_T5_mT6_P12ihipStream_tbENKUlT_T0_E_clISt17integral_constantIbLb1EESU_EEDaSP_SQ_EUlSP_E0_NS1_11comp_targetILNS1_3genE9ELNS1_11target_archE1100ELNS1_3gpuE3ELNS1_3repE0EEENS1_30default_config_static_selectorELNS0_4arch9wavefront6targetE1EEEvT1_,"axG",@progbits,_ZN7rocprim17ROCPRIM_400000_NS6detail17trampoline_kernelINS0_14default_configENS1_20scan_config_selectorIdEEZZNS1_9scan_implILNS1_25lookback_scan_determinismE0ELb1ELb1ES3_N6thrust23THRUST_200600_302600_NS6detail15normal_iteratorINS9_10device_ptrIdEEEESE_d11max_functorIdEdEEDaPvRmT3_T4_T5_mT6_P12ihipStream_tbENKUlT_T0_E_clISt17integral_constantIbLb1EESU_EEDaSP_SQ_EUlSP_E0_NS1_11comp_targetILNS1_3genE9ELNS1_11target_archE1100ELNS1_3gpuE3ELNS1_3repE0EEENS1_30default_config_static_selectorELNS0_4arch9wavefront6targetE1EEEvT1_,comdat
	.protected	_ZN7rocprim17ROCPRIM_400000_NS6detail17trampoline_kernelINS0_14default_configENS1_20scan_config_selectorIdEEZZNS1_9scan_implILNS1_25lookback_scan_determinismE0ELb1ELb1ES3_N6thrust23THRUST_200600_302600_NS6detail15normal_iteratorINS9_10device_ptrIdEEEESE_d11max_functorIdEdEEDaPvRmT3_T4_T5_mT6_P12ihipStream_tbENKUlT_T0_E_clISt17integral_constantIbLb1EESU_EEDaSP_SQ_EUlSP_E0_NS1_11comp_targetILNS1_3genE9ELNS1_11target_archE1100ELNS1_3gpuE3ELNS1_3repE0EEENS1_30default_config_static_selectorELNS0_4arch9wavefront6targetE1EEEvT1_ ; -- Begin function _ZN7rocprim17ROCPRIM_400000_NS6detail17trampoline_kernelINS0_14default_configENS1_20scan_config_selectorIdEEZZNS1_9scan_implILNS1_25lookback_scan_determinismE0ELb1ELb1ES3_N6thrust23THRUST_200600_302600_NS6detail15normal_iteratorINS9_10device_ptrIdEEEESE_d11max_functorIdEdEEDaPvRmT3_T4_T5_mT6_P12ihipStream_tbENKUlT_T0_E_clISt17integral_constantIbLb1EESU_EEDaSP_SQ_EUlSP_E0_NS1_11comp_targetILNS1_3genE9ELNS1_11target_archE1100ELNS1_3gpuE3ELNS1_3repE0EEENS1_30default_config_static_selectorELNS0_4arch9wavefront6targetE1EEEvT1_
	.globl	_ZN7rocprim17ROCPRIM_400000_NS6detail17trampoline_kernelINS0_14default_configENS1_20scan_config_selectorIdEEZZNS1_9scan_implILNS1_25lookback_scan_determinismE0ELb1ELb1ES3_N6thrust23THRUST_200600_302600_NS6detail15normal_iteratorINS9_10device_ptrIdEEEESE_d11max_functorIdEdEEDaPvRmT3_T4_T5_mT6_P12ihipStream_tbENKUlT_T0_E_clISt17integral_constantIbLb1EESU_EEDaSP_SQ_EUlSP_E0_NS1_11comp_targetILNS1_3genE9ELNS1_11target_archE1100ELNS1_3gpuE3ELNS1_3repE0EEENS1_30default_config_static_selectorELNS0_4arch9wavefront6targetE1EEEvT1_
	.p2align	8
	.type	_ZN7rocprim17ROCPRIM_400000_NS6detail17trampoline_kernelINS0_14default_configENS1_20scan_config_selectorIdEEZZNS1_9scan_implILNS1_25lookback_scan_determinismE0ELb1ELb1ES3_N6thrust23THRUST_200600_302600_NS6detail15normal_iteratorINS9_10device_ptrIdEEEESE_d11max_functorIdEdEEDaPvRmT3_T4_T5_mT6_P12ihipStream_tbENKUlT_T0_E_clISt17integral_constantIbLb1EESU_EEDaSP_SQ_EUlSP_E0_NS1_11comp_targetILNS1_3genE9ELNS1_11target_archE1100ELNS1_3gpuE3ELNS1_3repE0EEENS1_30default_config_static_selectorELNS0_4arch9wavefront6targetE1EEEvT1_,@function
_ZN7rocprim17ROCPRIM_400000_NS6detail17trampoline_kernelINS0_14default_configENS1_20scan_config_selectorIdEEZZNS1_9scan_implILNS1_25lookback_scan_determinismE0ELb1ELb1ES3_N6thrust23THRUST_200600_302600_NS6detail15normal_iteratorINS9_10device_ptrIdEEEESE_d11max_functorIdEdEEDaPvRmT3_T4_T5_mT6_P12ihipStream_tbENKUlT_T0_E_clISt17integral_constantIbLb1EESU_EEDaSP_SQ_EUlSP_E0_NS1_11comp_targetILNS1_3genE9ELNS1_11target_archE1100ELNS1_3gpuE3ELNS1_3repE0EEENS1_30default_config_static_selectorELNS0_4arch9wavefront6targetE1EEEvT1_: ; @_ZN7rocprim17ROCPRIM_400000_NS6detail17trampoline_kernelINS0_14default_configENS1_20scan_config_selectorIdEEZZNS1_9scan_implILNS1_25lookback_scan_determinismE0ELb1ELb1ES3_N6thrust23THRUST_200600_302600_NS6detail15normal_iteratorINS9_10device_ptrIdEEEESE_d11max_functorIdEdEEDaPvRmT3_T4_T5_mT6_P12ihipStream_tbENKUlT_T0_E_clISt17integral_constantIbLb1EESU_EEDaSP_SQ_EUlSP_E0_NS1_11comp_targetILNS1_3genE9ELNS1_11target_archE1100ELNS1_3gpuE3ELNS1_3repE0EEENS1_30default_config_static_selectorELNS0_4arch9wavefront6targetE1EEEvT1_
; %bb.0:
	.section	.rodata,"a",@progbits
	.p2align	6, 0x0
	.amdhsa_kernel _ZN7rocprim17ROCPRIM_400000_NS6detail17trampoline_kernelINS0_14default_configENS1_20scan_config_selectorIdEEZZNS1_9scan_implILNS1_25lookback_scan_determinismE0ELb1ELb1ES3_N6thrust23THRUST_200600_302600_NS6detail15normal_iteratorINS9_10device_ptrIdEEEESE_d11max_functorIdEdEEDaPvRmT3_T4_T5_mT6_P12ihipStream_tbENKUlT_T0_E_clISt17integral_constantIbLb1EESU_EEDaSP_SQ_EUlSP_E0_NS1_11comp_targetILNS1_3genE9ELNS1_11target_archE1100ELNS1_3gpuE3ELNS1_3repE0EEENS1_30default_config_static_selectorELNS0_4arch9wavefront6targetE1EEEvT1_
		.amdhsa_group_segment_fixed_size 0
		.amdhsa_private_segment_fixed_size 0
		.amdhsa_kernarg_size 40
		.amdhsa_user_sgpr_count 6
		.amdhsa_user_sgpr_private_segment_buffer 1
		.amdhsa_user_sgpr_dispatch_ptr 0
		.amdhsa_user_sgpr_queue_ptr 0
		.amdhsa_user_sgpr_kernarg_segment_ptr 1
		.amdhsa_user_sgpr_dispatch_id 0
		.amdhsa_user_sgpr_flat_scratch_init 0
		.amdhsa_user_sgpr_kernarg_preload_length 0
		.amdhsa_user_sgpr_kernarg_preload_offset 0
		.amdhsa_user_sgpr_private_segment_size 0
		.amdhsa_uses_dynamic_stack 0
		.amdhsa_system_sgpr_private_segment_wavefront_offset 0
		.amdhsa_system_sgpr_workgroup_id_x 1
		.amdhsa_system_sgpr_workgroup_id_y 0
		.amdhsa_system_sgpr_workgroup_id_z 0
		.amdhsa_system_sgpr_workgroup_info 0
		.amdhsa_system_vgpr_workitem_id 0
		.amdhsa_next_free_vgpr 1
		.amdhsa_next_free_sgpr 0
		.amdhsa_accum_offset 4
		.amdhsa_reserve_vcc 0
		.amdhsa_reserve_flat_scratch 0
		.amdhsa_float_round_mode_32 0
		.amdhsa_float_round_mode_16_64 0
		.amdhsa_float_denorm_mode_32 3
		.amdhsa_float_denorm_mode_16_64 3
		.amdhsa_dx10_clamp 1
		.amdhsa_ieee_mode 1
		.amdhsa_fp16_overflow 0
		.amdhsa_tg_split 0
		.amdhsa_exception_fp_ieee_invalid_op 0
		.amdhsa_exception_fp_denorm_src 0
		.amdhsa_exception_fp_ieee_div_zero 0
		.amdhsa_exception_fp_ieee_overflow 0
		.amdhsa_exception_fp_ieee_underflow 0
		.amdhsa_exception_fp_ieee_inexact 0
		.amdhsa_exception_int_div_zero 0
	.end_amdhsa_kernel
	.section	.text._ZN7rocprim17ROCPRIM_400000_NS6detail17trampoline_kernelINS0_14default_configENS1_20scan_config_selectorIdEEZZNS1_9scan_implILNS1_25lookback_scan_determinismE0ELb1ELb1ES3_N6thrust23THRUST_200600_302600_NS6detail15normal_iteratorINS9_10device_ptrIdEEEESE_d11max_functorIdEdEEDaPvRmT3_T4_T5_mT6_P12ihipStream_tbENKUlT_T0_E_clISt17integral_constantIbLb1EESU_EEDaSP_SQ_EUlSP_E0_NS1_11comp_targetILNS1_3genE9ELNS1_11target_archE1100ELNS1_3gpuE3ELNS1_3repE0EEENS1_30default_config_static_selectorELNS0_4arch9wavefront6targetE1EEEvT1_,"axG",@progbits,_ZN7rocprim17ROCPRIM_400000_NS6detail17trampoline_kernelINS0_14default_configENS1_20scan_config_selectorIdEEZZNS1_9scan_implILNS1_25lookback_scan_determinismE0ELb1ELb1ES3_N6thrust23THRUST_200600_302600_NS6detail15normal_iteratorINS9_10device_ptrIdEEEESE_d11max_functorIdEdEEDaPvRmT3_T4_T5_mT6_P12ihipStream_tbENKUlT_T0_E_clISt17integral_constantIbLb1EESU_EEDaSP_SQ_EUlSP_E0_NS1_11comp_targetILNS1_3genE9ELNS1_11target_archE1100ELNS1_3gpuE3ELNS1_3repE0EEENS1_30default_config_static_selectorELNS0_4arch9wavefront6targetE1EEEvT1_,comdat
.Lfunc_end1905:
	.size	_ZN7rocprim17ROCPRIM_400000_NS6detail17trampoline_kernelINS0_14default_configENS1_20scan_config_selectorIdEEZZNS1_9scan_implILNS1_25lookback_scan_determinismE0ELb1ELb1ES3_N6thrust23THRUST_200600_302600_NS6detail15normal_iteratorINS9_10device_ptrIdEEEESE_d11max_functorIdEdEEDaPvRmT3_T4_T5_mT6_P12ihipStream_tbENKUlT_T0_E_clISt17integral_constantIbLb1EESU_EEDaSP_SQ_EUlSP_E0_NS1_11comp_targetILNS1_3genE9ELNS1_11target_archE1100ELNS1_3gpuE3ELNS1_3repE0EEENS1_30default_config_static_selectorELNS0_4arch9wavefront6targetE1EEEvT1_, .Lfunc_end1905-_ZN7rocprim17ROCPRIM_400000_NS6detail17trampoline_kernelINS0_14default_configENS1_20scan_config_selectorIdEEZZNS1_9scan_implILNS1_25lookback_scan_determinismE0ELb1ELb1ES3_N6thrust23THRUST_200600_302600_NS6detail15normal_iteratorINS9_10device_ptrIdEEEESE_d11max_functorIdEdEEDaPvRmT3_T4_T5_mT6_P12ihipStream_tbENKUlT_T0_E_clISt17integral_constantIbLb1EESU_EEDaSP_SQ_EUlSP_E0_NS1_11comp_targetILNS1_3genE9ELNS1_11target_archE1100ELNS1_3gpuE3ELNS1_3repE0EEENS1_30default_config_static_selectorELNS0_4arch9wavefront6targetE1EEEvT1_
                                        ; -- End function
	.section	.AMDGPU.csdata,"",@progbits
; Kernel info:
; codeLenInByte = 0
; NumSgprs: 4
; NumVgprs: 0
; NumAgprs: 0
; TotalNumVgprs: 0
; ScratchSize: 0
; MemoryBound: 0
; FloatMode: 240
; IeeeMode: 1
; LDSByteSize: 0 bytes/workgroup (compile time only)
; SGPRBlocks: 0
; VGPRBlocks: 0
; NumSGPRsForWavesPerEU: 4
; NumVGPRsForWavesPerEU: 1
; AccumOffset: 4
; Occupancy: 8
; WaveLimiterHint : 0
; COMPUTE_PGM_RSRC2:SCRATCH_EN: 0
; COMPUTE_PGM_RSRC2:USER_SGPR: 6
; COMPUTE_PGM_RSRC2:TRAP_HANDLER: 0
; COMPUTE_PGM_RSRC2:TGID_X_EN: 1
; COMPUTE_PGM_RSRC2:TGID_Y_EN: 0
; COMPUTE_PGM_RSRC2:TGID_Z_EN: 0
; COMPUTE_PGM_RSRC2:TIDIG_COMP_CNT: 0
; COMPUTE_PGM_RSRC3_GFX90A:ACCUM_OFFSET: 0
; COMPUTE_PGM_RSRC3_GFX90A:TG_SPLIT: 0
	.section	.text._ZN7rocprim17ROCPRIM_400000_NS6detail17trampoline_kernelINS0_14default_configENS1_20scan_config_selectorIdEEZZNS1_9scan_implILNS1_25lookback_scan_determinismE0ELb1ELb1ES3_N6thrust23THRUST_200600_302600_NS6detail15normal_iteratorINS9_10device_ptrIdEEEESE_d11max_functorIdEdEEDaPvRmT3_T4_T5_mT6_P12ihipStream_tbENKUlT_T0_E_clISt17integral_constantIbLb1EESU_EEDaSP_SQ_EUlSP_E0_NS1_11comp_targetILNS1_3genE8ELNS1_11target_archE1030ELNS1_3gpuE2ELNS1_3repE0EEENS1_30default_config_static_selectorELNS0_4arch9wavefront6targetE1EEEvT1_,"axG",@progbits,_ZN7rocprim17ROCPRIM_400000_NS6detail17trampoline_kernelINS0_14default_configENS1_20scan_config_selectorIdEEZZNS1_9scan_implILNS1_25lookback_scan_determinismE0ELb1ELb1ES3_N6thrust23THRUST_200600_302600_NS6detail15normal_iteratorINS9_10device_ptrIdEEEESE_d11max_functorIdEdEEDaPvRmT3_T4_T5_mT6_P12ihipStream_tbENKUlT_T0_E_clISt17integral_constantIbLb1EESU_EEDaSP_SQ_EUlSP_E0_NS1_11comp_targetILNS1_3genE8ELNS1_11target_archE1030ELNS1_3gpuE2ELNS1_3repE0EEENS1_30default_config_static_selectorELNS0_4arch9wavefront6targetE1EEEvT1_,comdat
	.protected	_ZN7rocprim17ROCPRIM_400000_NS6detail17trampoline_kernelINS0_14default_configENS1_20scan_config_selectorIdEEZZNS1_9scan_implILNS1_25lookback_scan_determinismE0ELb1ELb1ES3_N6thrust23THRUST_200600_302600_NS6detail15normal_iteratorINS9_10device_ptrIdEEEESE_d11max_functorIdEdEEDaPvRmT3_T4_T5_mT6_P12ihipStream_tbENKUlT_T0_E_clISt17integral_constantIbLb1EESU_EEDaSP_SQ_EUlSP_E0_NS1_11comp_targetILNS1_3genE8ELNS1_11target_archE1030ELNS1_3gpuE2ELNS1_3repE0EEENS1_30default_config_static_selectorELNS0_4arch9wavefront6targetE1EEEvT1_ ; -- Begin function _ZN7rocprim17ROCPRIM_400000_NS6detail17trampoline_kernelINS0_14default_configENS1_20scan_config_selectorIdEEZZNS1_9scan_implILNS1_25lookback_scan_determinismE0ELb1ELb1ES3_N6thrust23THRUST_200600_302600_NS6detail15normal_iteratorINS9_10device_ptrIdEEEESE_d11max_functorIdEdEEDaPvRmT3_T4_T5_mT6_P12ihipStream_tbENKUlT_T0_E_clISt17integral_constantIbLb1EESU_EEDaSP_SQ_EUlSP_E0_NS1_11comp_targetILNS1_3genE8ELNS1_11target_archE1030ELNS1_3gpuE2ELNS1_3repE0EEENS1_30default_config_static_selectorELNS0_4arch9wavefront6targetE1EEEvT1_
	.globl	_ZN7rocprim17ROCPRIM_400000_NS6detail17trampoline_kernelINS0_14default_configENS1_20scan_config_selectorIdEEZZNS1_9scan_implILNS1_25lookback_scan_determinismE0ELb1ELb1ES3_N6thrust23THRUST_200600_302600_NS6detail15normal_iteratorINS9_10device_ptrIdEEEESE_d11max_functorIdEdEEDaPvRmT3_T4_T5_mT6_P12ihipStream_tbENKUlT_T0_E_clISt17integral_constantIbLb1EESU_EEDaSP_SQ_EUlSP_E0_NS1_11comp_targetILNS1_3genE8ELNS1_11target_archE1030ELNS1_3gpuE2ELNS1_3repE0EEENS1_30default_config_static_selectorELNS0_4arch9wavefront6targetE1EEEvT1_
	.p2align	8
	.type	_ZN7rocprim17ROCPRIM_400000_NS6detail17trampoline_kernelINS0_14default_configENS1_20scan_config_selectorIdEEZZNS1_9scan_implILNS1_25lookback_scan_determinismE0ELb1ELb1ES3_N6thrust23THRUST_200600_302600_NS6detail15normal_iteratorINS9_10device_ptrIdEEEESE_d11max_functorIdEdEEDaPvRmT3_T4_T5_mT6_P12ihipStream_tbENKUlT_T0_E_clISt17integral_constantIbLb1EESU_EEDaSP_SQ_EUlSP_E0_NS1_11comp_targetILNS1_3genE8ELNS1_11target_archE1030ELNS1_3gpuE2ELNS1_3repE0EEENS1_30default_config_static_selectorELNS0_4arch9wavefront6targetE1EEEvT1_,@function
_ZN7rocprim17ROCPRIM_400000_NS6detail17trampoline_kernelINS0_14default_configENS1_20scan_config_selectorIdEEZZNS1_9scan_implILNS1_25lookback_scan_determinismE0ELb1ELb1ES3_N6thrust23THRUST_200600_302600_NS6detail15normal_iteratorINS9_10device_ptrIdEEEESE_d11max_functorIdEdEEDaPvRmT3_T4_T5_mT6_P12ihipStream_tbENKUlT_T0_E_clISt17integral_constantIbLb1EESU_EEDaSP_SQ_EUlSP_E0_NS1_11comp_targetILNS1_3genE8ELNS1_11target_archE1030ELNS1_3gpuE2ELNS1_3repE0EEENS1_30default_config_static_selectorELNS0_4arch9wavefront6targetE1EEEvT1_: ; @_ZN7rocprim17ROCPRIM_400000_NS6detail17trampoline_kernelINS0_14default_configENS1_20scan_config_selectorIdEEZZNS1_9scan_implILNS1_25lookback_scan_determinismE0ELb1ELb1ES3_N6thrust23THRUST_200600_302600_NS6detail15normal_iteratorINS9_10device_ptrIdEEEESE_d11max_functorIdEdEEDaPvRmT3_T4_T5_mT6_P12ihipStream_tbENKUlT_T0_E_clISt17integral_constantIbLb1EESU_EEDaSP_SQ_EUlSP_E0_NS1_11comp_targetILNS1_3genE8ELNS1_11target_archE1030ELNS1_3gpuE2ELNS1_3repE0EEENS1_30default_config_static_selectorELNS0_4arch9wavefront6targetE1EEEvT1_
; %bb.0:
	.section	.rodata,"a",@progbits
	.p2align	6, 0x0
	.amdhsa_kernel _ZN7rocprim17ROCPRIM_400000_NS6detail17trampoline_kernelINS0_14default_configENS1_20scan_config_selectorIdEEZZNS1_9scan_implILNS1_25lookback_scan_determinismE0ELb1ELb1ES3_N6thrust23THRUST_200600_302600_NS6detail15normal_iteratorINS9_10device_ptrIdEEEESE_d11max_functorIdEdEEDaPvRmT3_T4_T5_mT6_P12ihipStream_tbENKUlT_T0_E_clISt17integral_constantIbLb1EESU_EEDaSP_SQ_EUlSP_E0_NS1_11comp_targetILNS1_3genE8ELNS1_11target_archE1030ELNS1_3gpuE2ELNS1_3repE0EEENS1_30default_config_static_selectorELNS0_4arch9wavefront6targetE1EEEvT1_
		.amdhsa_group_segment_fixed_size 0
		.amdhsa_private_segment_fixed_size 0
		.amdhsa_kernarg_size 40
		.amdhsa_user_sgpr_count 6
		.amdhsa_user_sgpr_private_segment_buffer 1
		.amdhsa_user_sgpr_dispatch_ptr 0
		.amdhsa_user_sgpr_queue_ptr 0
		.amdhsa_user_sgpr_kernarg_segment_ptr 1
		.amdhsa_user_sgpr_dispatch_id 0
		.amdhsa_user_sgpr_flat_scratch_init 0
		.amdhsa_user_sgpr_kernarg_preload_length 0
		.amdhsa_user_sgpr_kernarg_preload_offset 0
		.amdhsa_user_sgpr_private_segment_size 0
		.amdhsa_uses_dynamic_stack 0
		.amdhsa_system_sgpr_private_segment_wavefront_offset 0
		.amdhsa_system_sgpr_workgroup_id_x 1
		.amdhsa_system_sgpr_workgroup_id_y 0
		.amdhsa_system_sgpr_workgroup_id_z 0
		.amdhsa_system_sgpr_workgroup_info 0
		.amdhsa_system_vgpr_workitem_id 0
		.amdhsa_next_free_vgpr 1
		.amdhsa_next_free_sgpr 0
		.amdhsa_accum_offset 4
		.amdhsa_reserve_vcc 0
		.amdhsa_reserve_flat_scratch 0
		.amdhsa_float_round_mode_32 0
		.amdhsa_float_round_mode_16_64 0
		.amdhsa_float_denorm_mode_32 3
		.amdhsa_float_denorm_mode_16_64 3
		.amdhsa_dx10_clamp 1
		.amdhsa_ieee_mode 1
		.amdhsa_fp16_overflow 0
		.amdhsa_tg_split 0
		.amdhsa_exception_fp_ieee_invalid_op 0
		.amdhsa_exception_fp_denorm_src 0
		.amdhsa_exception_fp_ieee_div_zero 0
		.amdhsa_exception_fp_ieee_overflow 0
		.amdhsa_exception_fp_ieee_underflow 0
		.amdhsa_exception_fp_ieee_inexact 0
		.amdhsa_exception_int_div_zero 0
	.end_amdhsa_kernel
	.section	.text._ZN7rocprim17ROCPRIM_400000_NS6detail17trampoline_kernelINS0_14default_configENS1_20scan_config_selectorIdEEZZNS1_9scan_implILNS1_25lookback_scan_determinismE0ELb1ELb1ES3_N6thrust23THRUST_200600_302600_NS6detail15normal_iteratorINS9_10device_ptrIdEEEESE_d11max_functorIdEdEEDaPvRmT3_T4_T5_mT6_P12ihipStream_tbENKUlT_T0_E_clISt17integral_constantIbLb1EESU_EEDaSP_SQ_EUlSP_E0_NS1_11comp_targetILNS1_3genE8ELNS1_11target_archE1030ELNS1_3gpuE2ELNS1_3repE0EEENS1_30default_config_static_selectorELNS0_4arch9wavefront6targetE1EEEvT1_,"axG",@progbits,_ZN7rocprim17ROCPRIM_400000_NS6detail17trampoline_kernelINS0_14default_configENS1_20scan_config_selectorIdEEZZNS1_9scan_implILNS1_25lookback_scan_determinismE0ELb1ELb1ES3_N6thrust23THRUST_200600_302600_NS6detail15normal_iteratorINS9_10device_ptrIdEEEESE_d11max_functorIdEdEEDaPvRmT3_T4_T5_mT6_P12ihipStream_tbENKUlT_T0_E_clISt17integral_constantIbLb1EESU_EEDaSP_SQ_EUlSP_E0_NS1_11comp_targetILNS1_3genE8ELNS1_11target_archE1030ELNS1_3gpuE2ELNS1_3repE0EEENS1_30default_config_static_selectorELNS0_4arch9wavefront6targetE1EEEvT1_,comdat
.Lfunc_end1906:
	.size	_ZN7rocprim17ROCPRIM_400000_NS6detail17trampoline_kernelINS0_14default_configENS1_20scan_config_selectorIdEEZZNS1_9scan_implILNS1_25lookback_scan_determinismE0ELb1ELb1ES3_N6thrust23THRUST_200600_302600_NS6detail15normal_iteratorINS9_10device_ptrIdEEEESE_d11max_functorIdEdEEDaPvRmT3_T4_T5_mT6_P12ihipStream_tbENKUlT_T0_E_clISt17integral_constantIbLb1EESU_EEDaSP_SQ_EUlSP_E0_NS1_11comp_targetILNS1_3genE8ELNS1_11target_archE1030ELNS1_3gpuE2ELNS1_3repE0EEENS1_30default_config_static_selectorELNS0_4arch9wavefront6targetE1EEEvT1_, .Lfunc_end1906-_ZN7rocprim17ROCPRIM_400000_NS6detail17trampoline_kernelINS0_14default_configENS1_20scan_config_selectorIdEEZZNS1_9scan_implILNS1_25lookback_scan_determinismE0ELb1ELb1ES3_N6thrust23THRUST_200600_302600_NS6detail15normal_iteratorINS9_10device_ptrIdEEEESE_d11max_functorIdEdEEDaPvRmT3_T4_T5_mT6_P12ihipStream_tbENKUlT_T0_E_clISt17integral_constantIbLb1EESU_EEDaSP_SQ_EUlSP_E0_NS1_11comp_targetILNS1_3genE8ELNS1_11target_archE1030ELNS1_3gpuE2ELNS1_3repE0EEENS1_30default_config_static_selectorELNS0_4arch9wavefront6targetE1EEEvT1_
                                        ; -- End function
	.section	.AMDGPU.csdata,"",@progbits
; Kernel info:
; codeLenInByte = 0
; NumSgprs: 4
; NumVgprs: 0
; NumAgprs: 0
; TotalNumVgprs: 0
; ScratchSize: 0
; MemoryBound: 0
; FloatMode: 240
; IeeeMode: 1
; LDSByteSize: 0 bytes/workgroup (compile time only)
; SGPRBlocks: 0
; VGPRBlocks: 0
; NumSGPRsForWavesPerEU: 4
; NumVGPRsForWavesPerEU: 1
; AccumOffset: 4
; Occupancy: 8
; WaveLimiterHint : 0
; COMPUTE_PGM_RSRC2:SCRATCH_EN: 0
; COMPUTE_PGM_RSRC2:USER_SGPR: 6
; COMPUTE_PGM_RSRC2:TRAP_HANDLER: 0
; COMPUTE_PGM_RSRC2:TGID_X_EN: 1
; COMPUTE_PGM_RSRC2:TGID_Y_EN: 0
; COMPUTE_PGM_RSRC2:TGID_Z_EN: 0
; COMPUTE_PGM_RSRC2:TIDIG_COMP_CNT: 0
; COMPUTE_PGM_RSRC3_GFX90A:ACCUM_OFFSET: 0
; COMPUTE_PGM_RSRC3_GFX90A:TG_SPLIT: 0
	.section	.text._ZN7rocprim17ROCPRIM_400000_NS6detail17trampoline_kernelINS0_14default_configENS1_20scan_config_selectorIdEEZZNS1_9scan_implILNS1_25lookback_scan_determinismE0ELb1ELb1ES3_N6thrust23THRUST_200600_302600_NS6detail15normal_iteratorINS9_10device_ptrIdEEEESE_d11max_functorIdEdEEDaPvRmT3_T4_T5_mT6_P12ihipStream_tbENKUlT_T0_E_clISt17integral_constantIbLb1EEST_IbLb0EEEEDaSP_SQ_EUlSP_E_NS1_11comp_targetILNS1_3genE0ELNS1_11target_archE4294967295ELNS1_3gpuE0ELNS1_3repE0EEENS1_30default_config_static_selectorELNS0_4arch9wavefront6targetE1EEEvT1_,"axG",@progbits,_ZN7rocprim17ROCPRIM_400000_NS6detail17trampoline_kernelINS0_14default_configENS1_20scan_config_selectorIdEEZZNS1_9scan_implILNS1_25lookback_scan_determinismE0ELb1ELb1ES3_N6thrust23THRUST_200600_302600_NS6detail15normal_iteratorINS9_10device_ptrIdEEEESE_d11max_functorIdEdEEDaPvRmT3_T4_T5_mT6_P12ihipStream_tbENKUlT_T0_E_clISt17integral_constantIbLb1EEST_IbLb0EEEEDaSP_SQ_EUlSP_E_NS1_11comp_targetILNS1_3genE0ELNS1_11target_archE4294967295ELNS1_3gpuE0ELNS1_3repE0EEENS1_30default_config_static_selectorELNS0_4arch9wavefront6targetE1EEEvT1_,comdat
	.protected	_ZN7rocprim17ROCPRIM_400000_NS6detail17trampoline_kernelINS0_14default_configENS1_20scan_config_selectorIdEEZZNS1_9scan_implILNS1_25lookback_scan_determinismE0ELb1ELb1ES3_N6thrust23THRUST_200600_302600_NS6detail15normal_iteratorINS9_10device_ptrIdEEEESE_d11max_functorIdEdEEDaPvRmT3_T4_T5_mT6_P12ihipStream_tbENKUlT_T0_E_clISt17integral_constantIbLb1EEST_IbLb0EEEEDaSP_SQ_EUlSP_E_NS1_11comp_targetILNS1_3genE0ELNS1_11target_archE4294967295ELNS1_3gpuE0ELNS1_3repE0EEENS1_30default_config_static_selectorELNS0_4arch9wavefront6targetE1EEEvT1_ ; -- Begin function _ZN7rocprim17ROCPRIM_400000_NS6detail17trampoline_kernelINS0_14default_configENS1_20scan_config_selectorIdEEZZNS1_9scan_implILNS1_25lookback_scan_determinismE0ELb1ELb1ES3_N6thrust23THRUST_200600_302600_NS6detail15normal_iteratorINS9_10device_ptrIdEEEESE_d11max_functorIdEdEEDaPvRmT3_T4_T5_mT6_P12ihipStream_tbENKUlT_T0_E_clISt17integral_constantIbLb1EEST_IbLb0EEEEDaSP_SQ_EUlSP_E_NS1_11comp_targetILNS1_3genE0ELNS1_11target_archE4294967295ELNS1_3gpuE0ELNS1_3repE0EEENS1_30default_config_static_selectorELNS0_4arch9wavefront6targetE1EEEvT1_
	.globl	_ZN7rocprim17ROCPRIM_400000_NS6detail17trampoline_kernelINS0_14default_configENS1_20scan_config_selectorIdEEZZNS1_9scan_implILNS1_25lookback_scan_determinismE0ELb1ELb1ES3_N6thrust23THRUST_200600_302600_NS6detail15normal_iteratorINS9_10device_ptrIdEEEESE_d11max_functorIdEdEEDaPvRmT3_T4_T5_mT6_P12ihipStream_tbENKUlT_T0_E_clISt17integral_constantIbLb1EEST_IbLb0EEEEDaSP_SQ_EUlSP_E_NS1_11comp_targetILNS1_3genE0ELNS1_11target_archE4294967295ELNS1_3gpuE0ELNS1_3repE0EEENS1_30default_config_static_selectorELNS0_4arch9wavefront6targetE1EEEvT1_
	.p2align	8
	.type	_ZN7rocprim17ROCPRIM_400000_NS6detail17trampoline_kernelINS0_14default_configENS1_20scan_config_selectorIdEEZZNS1_9scan_implILNS1_25lookback_scan_determinismE0ELb1ELb1ES3_N6thrust23THRUST_200600_302600_NS6detail15normal_iteratorINS9_10device_ptrIdEEEESE_d11max_functorIdEdEEDaPvRmT3_T4_T5_mT6_P12ihipStream_tbENKUlT_T0_E_clISt17integral_constantIbLb1EEST_IbLb0EEEEDaSP_SQ_EUlSP_E_NS1_11comp_targetILNS1_3genE0ELNS1_11target_archE4294967295ELNS1_3gpuE0ELNS1_3repE0EEENS1_30default_config_static_selectorELNS0_4arch9wavefront6targetE1EEEvT1_,@function
_ZN7rocprim17ROCPRIM_400000_NS6detail17trampoline_kernelINS0_14default_configENS1_20scan_config_selectorIdEEZZNS1_9scan_implILNS1_25lookback_scan_determinismE0ELb1ELb1ES3_N6thrust23THRUST_200600_302600_NS6detail15normal_iteratorINS9_10device_ptrIdEEEESE_d11max_functorIdEdEEDaPvRmT3_T4_T5_mT6_P12ihipStream_tbENKUlT_T0_E_clISt17integral_constantIbLb1EEST_IbLb0EEEEDaSP_SQ_EUlSP_E_NS1_11comp_targetILNS1_3genE0ELNS1_11target_archE4294967295ELNS1_3gpuE0ELNS1_3repE0EEENS1_30default_config_static_selectorELNS0_4arch9wavefront6targetE1EEEvT1_: ; @_ZN7rocprim17ROCPRIM_400000_NS6detail17trampoline_kernelINS0_14default_configENS1_20scan_config_selectorIdEEZZNS1_9scan_implILNS1_25lookback_scan_determinismE0ELb1ELb1ES3_N6thrust23THRUST_200600_302600_NS6detail15normal_iteratorINS9_10device_ptrIdEEEESE_d11max_functorIdEdEEDaPvRmT3_T4_T5_mT6_P12ihipStream_tbENKUlT_T0_E_clISt17integral_constantIbLb1EEST_IbLb0EEEEDaSP_SQ_EUlSP_E_NS1_11comp_targetILNS1_3genE0ELNS1_11target_archE4294967295ELNS1_3gpuE0ELNS1_3repE0EEENS1_30default_config_static_selectorELNS0_4arch9wavefront6targetE1EEEvT1_
; %bb.0:
	.section	.rodata,"a",@progbits
	.p2align	6, 0x0
	.amdhsa_kernel _ZN7rocprim17ROCPRIM_400000_NS6detail17trampoline_kernelINS0_14default_configENS1_20scan_config_selectorIdEEZZNS1_9scan_implILNS1_25lookback_scan_determinismE0ELb1ELb1ES3_N6thrust23THRUST_200600_302600_NS6detail15normal_iteratorINS9_10device_ptrIdEEEESE_d11max_functorIdEdEEDaPvRmT3_T4_T5_mT6_P12ihipStream_tbENKUlT_T0_E_clISt17integral_constantIbLb1EEST_IbLb0EEEEDaSP_SQ_EUlSP_E_NS1_11comp_targetILNS1_3genE0ELNS1_11target_archE4294967295ELNS1_3gpuE0ELNS1_3repE0EEENS1_30default_config_static_selectorELNS0_4arch9wavefront6targetE1EEEvT1_
		.amdhsa_group_segment_fixed_size 0
		.amdhsa_private_segment_fixed_size 0
		.amdhsa_kernarg_size 104
		.amdhsa_user_sgpr_count 6
		.amdhsa_user_sgpr_private_segment_buffer 1
		.amdhsa_user_sgpr_dispatch_ptr 0
		.amdhsa_user_sgpr_queue_ptr 0
		.amdhsa_user_sgpr_kernarg_segment_ptr 1
		.amdhsa_user_sgpr_dispatch_id 0
		.amdhsa_user_sgpr_flat_scratch_init 0
		.amdhsa_user_sgpr_kernarg_preload_length 0
		.amdhsa_user_sgpr_kernarg_preload_offset 0
		.amdhsa_user_sgpr_private_segment_size 0
		.amdhsa_uses_dynamic_stack 0
		.amdhsa_system_sgpr_private_segment_wavefront_offset 0
		.amdhsa_system_sgpr_workgroup_id_x 1
		.amdhsa_system_sgpr_workgroup_id_y 0
		.amdhsa_system_sgpr_workgroup_id_z 0
		.amdhsa_system_sgpr_workgroup_info 0
		.amdhsa_system_vgpr_workitem_id 0
		.amdhsa_next_free_vgpr 1
		.amdhsa_next_free_sgpr 0
		.amdhsa_accum_offset 4
		.amdhsa_reserve_vcc 0
		.amdhsa_reserve_flat_scratch 0
		.amdhsa_float_round_mode_32 0
		.amdhsa_float_round_mode_16_64 0
		.amdhsa_float_denorm_mode_32 3
		.amdhsa_float_denorm_mode_16_64 3
		.amdhsa_dx10_clamp 1
		.amdhsa_ieee_mode 1
		.amdhsa_fp16_overflow 0
		.amdhsa_tg_split 0
		.amdhsa_exception_fp_ieee_invalid_op 0
		.amdhsa_exception_fp_denorm_src 0
		.amdhsa_exception_fp_ieee_div_zero 0
		.amdhsa_exception_fp_ieee_overflow 0
		.amdhsa_exception_fp_ieee_underflow 0
		.amdhsa_exception_fp_ieee_inexact 0
		.amdhsa_exception_int_div_zero 0
	.end_amdhsa_kernel
	.section	.text._ZN7rocprim17ROCPRIM_400000_NS6detail17trampoline_kernelINS0_14default_configENS1_20scan_config_selectorIdEEZZNS1_9scan_implILNS1_25lookback_scan_determinismE0ELb1ELb1ES3_N6thrust23THRUST_200600_302600_NS6detail15normal_iteratorINS9_10device_ptrIdEEEESE_d11max_functorIdEdEEDaPvRmT3_T4_T5_mT6_P12ihipStream_tbENKUlT_T0_E_clISt17integral_constantIbLb1EEST_IbLb0EEEEDaSP_SQ_EUlSP_E_NS1_11comp_targetILNS1_3genE0ELNS1_11target_archE4294967295ELNS1_3gpuE0ELNS1_3repE0EEENS1_30default_config_static_selectorELNS0_4arch9wavefront6targetE1EEEvT1_,"axG",@progbits,_ZN7rocprim17ROCPRIM_400000_NS6detail17trampoline_kernelINS0_14default_configENS1_20scan_config_selectorIdEEZZNS1_9scan_implILNS1_25lookback_scan_determinismE0ELb1ELb1ES3_N6thrust23THRUST_200600_302600_NS6detail15normal_iteratorINS9_10device_ptrIdEEEESE_d11max_functorIdEdEEDaPvRmT3_T4_T5_mT6_P12ihipStream_tbENKUlT_T0_E_clISt17integral_constantIbLb1EEST_IbLb0EEEEDaSP_SQ_EUlSP_E_NS1_11comp_targetILNS1_3genE0ELNS1_11target_archE4294967295ELNS1_3gpuE0ELNS1_3repE0EEENS1_30default_config_static_selectorELNS0_4arch9wavefront6targetE1EEEvT1_,comdat
.Lfunc_end1907:
	.size	_ZN7rocprim17ROCPRIM_400000_NS6detail17trampoline_kernelINS0_14default_configENS1_20scan_config_selectorIdEEZZNS1_9scan_implILNS1_25lookback_scan_determinismE0ELb1ELb1ES3_N6thrust23THRUST_200600_302600_NS6detail15normal_iteratorINS9_10device_ptrIdEEEESE_d11max_functorIdEdEEDaPvRmT3_T4_T5_mT6_P12ihipStream_tbENKUlT_T0_E_clISt17integral_constantIbLb1EEST_IbLb0EEEEDaSP_SQ_EUlSP_E_NS1_11comp_targetILNS1_3genE0ELNS1_11target_archE4294967295ELNS1_3gpuE0ELNS1_3repE0EEENS1_30default_config_static_selectorELNS0_4arch9wavefront6targetE1EEEvT1_, .Lfunc_end1907-_ZN7rocprim17ROCPRIM_400000_NS6detail17trampoline_kernelINS0_14default_configENS1_20scan_config_selectorIdEEZZNS1_9scan_implILNS1_25lookback_scan_determinismE0ELb1ELb1ES3_N6thrust23THRUST_200600_302600_NS6detail15normal_iteratorINS9_10device_ptrIdEEEESE_d11max_functorIdEdEEDaPvRmT3_T4_T5_mT6_P12ihipStream_tbENKUlT_T0_E_clISt17integral_constantIbLb1EEST_IbLb0EEEEDaSP_SQ_EUlSP_E_NS1_11comp_targetILNS1_3genE0ELNS1_11target_archE4294967295ELNS1_3gpuE0ELNS1_3repE0EEENS1_30default_config_static_selectorELNS0_4arch9wavefront6targetE1EEEvT1_
                                        ; -- End function
	.section	.AMDGPU.csdata,"",@progbits
; Kernel info:
; codeLenInByte = 0
; NumSgprs: 4
; NumVgprs: 0
; NumAgprs: 0
; TotalNumVgprs: 0
; ScratchSize: 0
; MemoryBound: 0
; FloatMode: 240
; IeeeMode: 1
; LDSByteSize: 0 bytes/workgroup (compile time only)
; SGPRBlocks: 0
; VGPRBlocks: 0
; NumSGPRsForWavesPerEU: 4
; NumVGPRsForWavesPerEU: 1
; AccumOffset: 4
; Occupancy: 8
; WaveLimiterHint : 0
; COMPUTE_PGM_RSRC2:SCRATCH_EN: 0
; COMPUTE_PGM_RSRC2:USER_SGPR: 6
; COMPUTE_PGM_RSRC2:TRAP_HANDLER: 0
; COMPUTE_PGM_RSRC2:TGID_X_EN: 1
; COMPUTE_PGM_RSRC2:TGID_Y_EN: 0
; COMPUTE_PGM_RSRC2:TGID_Z_EN: 0
; COMPUTE_PGM_RSRC2:TIDIG_COMP_CNT: 0
; COMPUTE_PGM_RSRC3_GFX90A:ACCUM_OFFSET: 0
; COMPUTE_PGM_RSRC3_GFX90A:TG_SPLIT: 0
	.section	.text._ZN7rocprim17ROCPRIM_400000_NS6detail17trampoline_kernelINS0_14default_configENS1_20scan_config_selectorIdEEZZNS1_9scan_implILNS1_25lookback_scan_determinismE0ELb1ELb1ES3_N6thrust23THRUST_200600_302600_NS6detail15normal_iteratorINS9_10device_ptrIdEEEESE_d11max_functorIdEdEEDaPvRmT3_T4_T5_mT6_P12ihipStream_tbENKUlT_T0_E_clISt17integral_constantIbLb1EEST_IbLb0EEEEDaSP_SQ_EUlSP_E_NS1_11comp_targetILNS1_3genE5ELNS1_11target_archE942ELNS1_3gpuE9ELNS1_3repE0EEENS1_30default_config_static_selectorELNS0_4arch9wavefront6targetE1EEEvT1_,"axG",@progbits,_ZN7rocprim17ROCPRIM_400000_NS6detail17trampoline_kernelINS0_14default_configENS1_20scan_config_selectorIdEEZZNS1_9scan_implILNS1_25lookback_scan_determinismE0ELb1ELb1ES3_N6thrust23THRUST_200600_302600_NS6detail15normal_iteratorINS9_10device_ptrIdEEEESE_d11max_functorIdEdEEDaPvRmT3_T4_T5_mT6_P12ihipStream_tbENKUlT_T0_E_clISt17integral_constantIbLb1EEST_IbLb0EEEEDaSP_SQ_EUlSP_E_NS1_11comp_targetILNS1_3genE5ELNS1_11target_archE942ELNS1_3gpuE9ELNS1_3repE0EEENS1_30default_config_static_selectorELNS0_4arch9wavefront6targetE1EEEvT1_,comdat
	.protected	_ZN7rocprim17ROCPRIM_400000_NS6detail17trampoline_kernelINS0_14default_configENS1_20scan_config_selectorIdEEZZNS1_9scan_implILNS1_25lookback_scan_determinismE0ELb1ELb1ES3_N6thrust23THRUST_200600_302600_NS6detail15normal_iteratorINS9_10device_ptrIdEEEESE_d11max_functorIdEdEEDaPvRmT3_T4_T5_mT6_P12ihipStream_tbENKUlT_T0_E_clISt17integral_constantIbLb1EEST_IbLb0EEEEDaSP_SQ_EUlSP_E_NS1_11comp_targetILNS1_3genE5ELNS1_11target_archE942ELNS1_3gpuE9ELNS1_3repE0EEENS1_30default_config_static_selectorELNS0_4arch9wavefront6targetE1EEEvT1_ ; -- Begin function _ZN7rocprim17ROCPRIM_400000_NS6detail17trampoline_kernelINS0_14default_configENS1_20scan_config_selectorIdEEZZNS1_9scan_implILNS1_25lookback_scan_determinismE0ELb1ELb1ES3_N6thrust23THRUST_200600_302600_NS6detail15normal_iteratorINS9_10device_ptrIdEEEESE_d11max_functorIdEdEEDaPvRmT3_T4_T5_mT6_P12ihipStream_tbENKUlT_T0_E_clISt17integral_constantIbLb1EEST_IbLb0EEEEDaSP_SQ_EUlSP_E_NS1_11comp_targetILNS1_3genE5ELNS1_11target_archE942ELNS1_3gpuE9ELNS1_3repE0EEENS1_30default_config_static_selectorELNS0_4arch9wavefront6targetE1EEEvT1_
	.globl	_ZN7rocprim17ROCPRIM_400000_NS6detail17trampoline_kernelINS0_14default_configENS1_20scan_config_selectorIdEEZZNS1_9scan_implILNS1_25lookback_scan_determinismE0ELb1ELb1ES3_N6thrust23THRUST_200600_302600_NS6detail15normal_iteratorINS9_10device_ptrIdEEEESE_d11max_functorIdEdEEDaPvRmT3_T4_T5_mT6_P12ihipStream_tbENKUlT_T0_E_clISt17integral_constantIbLb1EEST_IbLb0EEEEDaSP_SQ_EUlSP_E_NS1_11comp_targetILNS1_3genE5ELNS1_11target_archE942ELNS1_3gpuE9ELNS1_3repE0EEENS1_30default_config_static_selectorELNS0_4arch9wavefront6targetE1EEEvT1_
	.p2align	8
	.type	_ZN7rocprim17ROCPRIM_400000_NS6detail17trampoline_kernelINS0_14default_configENS1_20scan_config_selectorIdEEZZNS1_9scan_implILNS1_25lookback_scan_determinismE0ELb1ELb1ES3_N6thrust23THRUST_200600_302600_NS6detail15normal_iteratorINS9_10device_ptrIdEEEESE_d11max_functorIdEdEEDaPvRmT3_T4_T5_mT6_P12ihipStream_tbENKUlT_T0_E_clISt17integral_constantIbLb1EEST_IbLb0EEEEDaSP_SQ_EUlSP_E_NS1_11comp_targetILNS1_3genE5ELNS1_11target_archE942ELNS1_3gpuE9ELNS1_3repE0EEENS1_30default_config_static_selectorELNS0_4arch9wavefront6targetE1EEEvT1_,@function
_ZN7rocprim17ROCPRIM_400000_NS6detail17trampoline_kernelINS0_14default_configENS1_20scan_config_selectorIdEEZZNS1_9scan_implILNS1_25lookback_scan_determinismE0ELb1ELb1ES3_N6thrust23THRUST_200600_302600_NS6detail15normal_iteratorINS9_10device_ptrIdEEEESE_d11max_functorIdEdEEDaPvRmT3_T4_T5_mT6_P12ihipStream_tbENKUlT_T0_E_clISt17integral_constantIbLb1EEST_IbLb0EEEEDaSP_SQ_EUlSP_E_NS1_11comp_targetILNS1_3genE5ELNS1_11target_archE942ELNS1_3gpuE9ELNS1_3repE0EEENS1_30default_config_static_selectorELNS0_4arch9wavefront6targetE1EEEvT1_: ; @_ZN7rocprim17ROCPRIM_400000_NS6detail17trampoline_kernelINS0_14default_configENS1_20scan_config_selectorIdEEZZNS1_9scan_implILNS1_25lookback_scan_determinismE0ELb1ELb1ES3_N6thrust23THRUST_200600_302600_NS6detail15normal_iteratorINS9_10device_ptrIdEEEESE_d11max_functorIdEdEEDaPvRmT3_T4_T5_mT6_P12ihipStream_tbENKUlT_T0_E_clISt17integral_constantIbLb1EEST_IbLb0EEEEDaSP_SQ_EUlSP_E_NS1_11comp_targetILNS1_3genE5ELNS1_11target_archE942ELNS1_3gpuE9ELNS1_3repE0EEENS1_30default_config_static_selectorELNS0_4arch9wavefront6targetE1EEEvT1_
; %bb.0:
	.section	.rodata,"a",@progbits
	.p2align	6, 0x0
	.amdhsa_kernel _ZN7rocprim17ROCPRIM_400000_NS6detail17trampoline_kernelINS0_14default_configENS1_20scan_config_selectorIdEEZZNS1_9scan_implILNS1_25lookback_scan_determinismE0ELb1ELb1ES3_N6thrust23THRUST_200600_302600_NS6detail15normal_iteratorINS9_10device_ptrIdEEEESE_d11max_functorIdEdEEDaPvRmT3_T4_T5_mT6_P12ihipStream_tbENKUlT_T0_E_clISt17integral_constantIbLb1EEST_IbLb0EEEEDaSP_SQ_EUlSP_E_NS1_11comp_targetILNS1_3genE5ELNS1_11target_archE942ELNS1_3gpuE9ELNS1_3repE0EEENS1_30default_config_static_selectorELNS0_4arch9wavefront6targetE1EEEvT1_
		.amdhsa_group_segment_fixed_size 0
		.amdhsa_private_segment_fixed_size 0
		.amdhsa_kernarg_size 104
		.amdhsa_user_sgpr_count 6
		.amdhsa_user_sgpr_private_segment_buffer 1
		.amdhsa_user_sgpr_dispatch_ptr 0
		.amdhsa_user_sgpr_queue_ptr 0
		.amdhsa_user_sgpr_kernarg_segment_ptr 1
		.amdhsa_user_sgpr_dispatch_id 0
		.amdhsa_user_sgpr_flat_scratch_init 0
		.amdhsa_user_sgpr_kernarg_preload_length 0
		.amdhsa_user_sgpr_kernarg_preload_offset 0
		.amdhsa_user_sgpr_private_segment_size 0
		.amdhsa_uses_dynamic_stack 0
		.amdhsa_system_sgpr_private_segment_wavefront_offset 0
		.amdhsa_system_sgpr_workgroup_id_x 1
		.amdhsa_system_sgpr_workgroup_id_y 0
		.amdhsa_system_sgpr_workgroup_id_z 0
		.amdhsa_system_sgpr_workgroup_info 0
		.amdhsa_system_vgpr_workitem_id 0
		.amdhsa_next_free_vgpr 1
		.amdhsa_next_free_sgpr 0
		.amdhsa_accum_offset 4
		.amdhsa_reserve_vcc 0
		.amdhsa_reserve_flat_scratch 0
		.amdhsa_float_round_mode_32 0
		.amdhsa_float_round_mode_16_64 0
		.amdhsa_float_denorm_mode_32 3
		.amdhsa_float_denorm_mode_16_64 3
		.amdhsa_dx10_clamp 1
		.amdhsa_ieee_mode 1
		.amdhsa_fp16_overflow 0
		.amdhsa_tg_split 0
		.amdhsa_exception_fp_ieee_invalid_op 0
		.amdhsa_exception_fp_denorm_src 0
		.amdhsa_exception_fp_ieee_div_zero 0
		.amdhsa_exception_fp_ieee_overflow 0
		.amdhsa_exception_fp_ieee_underflow 0
		.amdhsa_exception_fp_ieee_inexact 0
		.amdhsa_exception_int_div_zero 0
	.end_amdhsa_kernel
	.section	.text._ZN7rocprim17ROCPRIM_400000_NS6detail17trampoline_kernelINS0_14default_configENS1_20scan_config_selectorIdEEZZNS1_9scan_implILNS1_25lookback_scan_determinismE0ELb1ELb1ES3_N6thrust23THRUST_200600_302600_NS6detail15normal_iteratorINS9_10device_ptrIdEEEESE_d11max_functorIdEdEEDaPvRmT3_T4_T5_mT6_P12ihipStream_tbENKUlT_T0_E_clISt17integral_constantIbLb1EEST_IbLb0EEEEDaSP_SQ_EUlSP_E_NS1_11comp_targetILNS1_3genE5ELNS1_11target_archE942ELNS1_3gpuE9ELNS1_3repE0EEENS1_30default_config_static_selectorELNS0_4arch9wavefront6targetE1EEEvT1_,"axG",@progbits,_ZN7rocprim17ROCPRIM_400000_NS6detail17trampoline_kernelINS0_14default_configENS1_20scan_config_selectorIdEEZZNS1_9scan_implILNS1_25lookback_scan_determinismE0ELb1ELb1ES3_N6thrust23THRUST_200600_302600_NS6detail15normal_iteratorINS9_10device_ptrIdEEEESE_d11max_functorIdEdEEDaPvRmT3_T4_T5_mT6_P12ihipStream_tbENKUlT_T0_E_clISt17integral_constantIbLb1EEST_IbLb0EEEEDaSP_SQ_EUlSP_E_NS1_11comp_targetILNS1_3genE5ELNS1_11target_archE942ELNS1_3gpuE9ELNS1_3repE0EEENS1_30default_config_static_selectorELNS0_4arch9wavefront6targetE1EEEvT1_,comdat
.Lfunc_end1908:
	.size	_ZN7rocprim17ROCPRIM_400000_NS6detail17trampoline_kernelINS0_14default_configENS1_20scan_config_selectorIdEEZZNS1_9scan_implILNS1_25lookback_scan_determinismE0ELb1ELb1ES3_N6thrust23THRUST_200600_302600_NS6detail15normal_iteratorINS9_10device_ptrIdEEEESE_d11max_functorIdEdEEDaPvRmT3_T4_T5_mT6_P12ihipStream_tbENKUlT_T0_E_clISt17integral_constantIbLb1EEST_IbLb0EEEEDaSP_SQ_EUlSP_E_NS1_11comp_targetILNS1_3genE5ELNS1_11target_archE942ELNS1_3gpuE9ELNS1_3repE0EEENS1_30default_config_static_selectorELNS0_4arch9wavefront6targetE1EEEvT1_, .Lfunc_end1908-_ZN7rocprim17ROCPRIM_400000_NS6detail17trampoline_kernelINS0_14default_configENS1_20scan_config_selectorIdEEZZNS1_9scan_implILNS1_25lookback_scan_determinismE0ELb1ELb1ES3_N6thrust23THRUST_200600_302600_NS6detail15normal_iteratorINS9_10device_ptrIdEEEESE_d11max_functorIdEdEEDaPvRmT3_T4_T5_mT6_P12ihipStream_tbENKUlT_T0_E_clISt17integral_constantIbLb1EEST_IbLb0EEEEDaSP_SQ_EUlSP_E_NS1_11comp_targetILNS1_3genE5ELNS1_11target_archE942ELNS1_3gpuE9ELNS1_3repE0EEENS1_30default_config_static_selectorELNS0_4arch9wavefront6targetE1EEEvT1_
                                        ; -- End function
	.section	.AMDGPU.csdata,"",@progbits
; Kernel info:
; codeLenInByte = 0
; NumSgprs: 4
; NumVgprs: 0
; NumAgprs: 0
; TotalNumVgprs: 0
; ScratchSize: 0
; MemoryBound: 0
; FloatMode: 240
; IeeeMode: 1
; LDSByteSize: 0 bytes/workgroup (compile time only)
; SGPRBlocks: 0
; VGPRBlocks: 0
; NumSGPRsForWavesPerEU: 4
; NumVGPRsForWavesPerEU: 1
; AccumOffset: 4
; Occupancy: 8
; WaveLimiterHint : 0
; COMPUTE_PGM_RSRC2:SCRATCH_EN: 0
; COMPUTE_PGM_RSRC2:USER_SGPR: 6
; COMPUTE_PGM_RSRC2:TRAP_HANDLER: 0
; COMPUTE_PGM_RSRC2:TGID_X_EN: 1
; COMPUTE_PGM_RSRC2:TGID_Y_EN: 0
; COMPUTE_PGM_RSRC2:TGID_Z_EN: 0
; COMPUTE_PGM_RSRC2:TIDIG_COMP_CNT: 0
; COMPUTE_PGM_RSRC3_GFX90A:ACCUM_OFFSET: 0
; COMPUTE_PGM_RSRC3_GFX90A:TG_SPLIT: 0
	.section	.text._ZN7rocprim17ROCPRIM_400000_NS6detail17trampoline_kernelINS0_14default_configENS1_20scan_config_selectorIdEEZZNS1_9scan_implILNS1_25lookback_scan_determinismE0ELb1ELb1ES3_N6thrust23THRUST_200600_302600_NS6detail15normal_iteratorINS9_10device_ptrIdEEEESE_d11max_functorIdEdEEDaPvRmT3_T4_T5_mT6_P12ihipStream_tbENKUlT_T0_E_clISt17integral_constantIbLb1EEST_IbLb0EEEEDaSP_SQ_EUlSP_E_NS1_11comp_targetILNS1_3genE4ELNS1_11target_archE910ELNS1_3gpuE8ELNS1_3repE0EEENS1_30default_config_static_selectorELNS0_4arch9wavefront6targetE1EEEvT1_,"axG",@progbits,_ZN7rocprim17ROCPRIM_400000_NS6detail17trampoline_kernelINS0_14default_configENS1_20scan_config_selectorIdEEZZNS1_9scan_implILNS1_25lookback_scan_determinismE0ELb1ELb1ES3_N6thrust23THRUST_200600_302600_NS6detail15normal_iteratorINS9_10device_ptrIdEEEESE_d11max_functorIdEdEEDaPvRmT3_T4_T5_mT6_P12ihipStream_tbENKUlT_T0_E_clISt17integral_constantIbLb1EEST_IbLb0EEEEDaSP_SQ_EUlSP_E_NS1_11comp_targetILNS1_3genE4ELNS1_11target_archE910ELNS1_3gpuE8ELNS1_3repE0EEENS1_30default_config_static_selectorELNS0_4arch9wavefront6targetE1EEEvT1_,comdat
	.protected	_ZN7rocprim17ROCPRIM_400000_NS6detail17trampoline_kernelINS0_14default_configENS1_20scan_config_selectorIdEEZZNS1_9scan_implILNS1_25lookback_scan_determinismE0ELb1ELb1ES3_N6thrust23THRUST_200600_302600_NS6detail15normal_iteratorINS9_10device_ptrIdEEEESE_d11max_functorIdEdEEDaPvRmT3_T4_T5_mT6_P12ihipStream_tbENKUlT_T0_E_clISt17integral_constantIbLb1EEST_IbLb0EEEEDaSP_SQ_EUlSP_E_NS1_11comp_targetILNS1_3genE4ELNS1_11target_archE910ELNS1_3gpuE8ELNS1_3repE0EEENS1_30default_config_static_selectorELNS0_4arch9wavefront6targetE1EEEvT1_ ; -- Begin function _ZN7rocprim17ROCPRIM_400000_NS6detail17trampoline_kernelINS0_14default_configENS1_20scan_config_selectorIdEEZZNS1_9scan_implILNS1_25lookback_scan_determinismE0ELb1ELb1ES3_N6thrust23THRUST_200600_302600_NS6detail15normal_iteratorINS9_10device_ptrIdEEEESE_d11max_functorIdEdEEDaPvRmT3_T4_T5_mT6_P12ihipStream_tbENKUlT_T0_E_clISt17integral_constantIbLb1EEST_IbLb0EEEEDaSP_SQ_EUlSP_E_NS1_11comp_targetILNS1_3genE4ELNS1_11target_archE910ELNS1_3gpuE8ELNS1_3repE0EEENS1_30default_config_static_selectorELNS0_4arch9wavefront6targetE1EEEvT1_
	.globl	_ZN7rocprim17ROCPRIM_400000_NS6detail17trampoline_kernelINS0_14default_configENS1_20scan_config_selectorIdEEZZNS1_9scan_implILNS1_25lookback_scan_determinismE0ELb1ELb1ES3_N6thrust23THRUST_200600_302600_NS6detail15normal_iteratorINS9_10device_ptrIdEEEESE_d11max_functorIdEdEEDaPvRmT3_T4_T5_mT6_P12ihipStream_tbENKUlT_T0_E_clISt17integral_constantIbLb1EEST_IbLb0EEEEDaSP_SQ_EUlSP_E_NS1_11comp_targetILNS1_3genE4ELNS1_11target_archE910ELNS1_3gpuE8ELNS1_3repE0EEENS1_30default_config_static_selectorELNS0_4arch9wavefront6targetE1EEEvT1_
	.p2align	8
	.type	_ZN7rocprim17ROCPRIM_400000_NS6detail17trampoline_kernelINS0_14default_configENS1_20scan_config_selectorIdEEZZNS1_9scan_implILNS1_25lookback_scan_determinismE0ELb1ELb1ES3_N6thrust23THRUST_200600_302600_NS6detail15normal_iteratorINS9_10device_ptrIdEEEESE_d11max_functorIdEdEEDaPvRmT3_T4_T5_mT6_P12ihipStream_tbENKUlT_T0_E_clISt17integral_constantIbLb1EEST_IbLb0EEEEDaSP_SQ_EUlSP_E_NS1_11comp_targetILNS1_3genE4ELNS1_11target_archE910ELNS1_3gpuE8ELNS1_3repE0EEENS1_30default_config_static_selectorELNS0_4arch9wavefront6targetE1EEEvT1_,@function
_ZN7rocprim17ROCPRIM_400000_NS6detail17trampoline_kernelINS0_14default_configENS1_20scan_config_selectorIdEEZZNS1_9scan_implILNS1_25lookback_scan_determinismE0ELb1ELb1ES3_N6thrust23THRUST_200600_302600_NS6detail15normal_iteratorINS9_10device_ptrIdEEEESE_d11max_functorIdEdEEDaPvRmT3_T4_T5_mT6_P12ihipStream_tbENKUlT_T0_E_clISt17integral_constantIbLb1EEST_IbLb0EEEEDaSP_SQ_EUlSP_E_NS1_11comp_targetILNS1_3genE4ELNS1_11target_archE910ELNS1_3gpuE8ELNS1_3repE0EEENS1_30default_config_static_selectorELNS0_4arch9wavefront6targetE1EEEvT1_: ; @_ZN7rocprim17ROCPRIM_400000_NS6detail17trampoline_kernelINS0_14default_configENS1_20scan_config_selectorIdEEZZNS1_9scan_implILNS1_25lookback_scan_determinismE0ELb1ELb1ES3_N6thrust23THRUST_200600_302600_NS6detail15normal_iteratorINS9_10device_ptrIdEEEESE_d11max_functorIdEdEEDaPvRmT3_T4_T5_mT6_P12ihipStream_tbENKUlT_T0_E_clISt17integral_constantIbLb1EEST_IbLb0EEEEDaSP_SQ_EUlSP_E_NS1_11comp_targetILNS1_3genE4ELNS1_11target_archE910ELNS1_3gpuE8ELNS1_3repE0EEENS1_30default_config_static_selectorELNS0_4arch9wavefront6targetE1EEEvT1_
; %bb.0:
	s_load_dwordx8 s[8:15], s[4:5], 0x0
	s_load_dword s1, s[4:5], 0x38
	s_mul_i32 s0, s6, 0x500
	v_lshlrev_b32_e32 v44, 3, v0
	s_waitcnt lgkmcnt(0)
	s_lshl_b64 s[10:11], s[10:11], 3
	s_add_u32 s26, s8, s10
	s_addc_u32 s27, s9, s11
	s_add_i32 s2, s1, -1
	s_mul_i32 s3, s2, 0x500
	s_sub_u32 s24, s14, s3
	s_subb_u32 s25, s15, 0
	s_mov_b32 s1, 0
	s_cmp_lg_u32 s6, s2
	s_cselect_b64 s[8:9], -1, 0
	s_lshl_b64 s[14:15], s[0:1], 3
	s_add_u32 s2, s26, s14
	s_addc_u32 s3, s27, s15
	s_mov_b64 s[0:1], -1
	s_and_b64 vcc, exec, s[8:9]
	s_cbranch_vccz .LBB1909_2
; %bb.1:
	v_mov_b32_e32 v1, s3
	v_add_co_u32_e32 v2, vcc, s2, v44
	v_addc_co_u32_e32 v3, vcc, 0, v1, vcc
	v_add_co_u32_e32 v12, vcc, 0x1000, v2
	v_addc_co_u32_e32 v13, vcc, 0, v3, vcc
	flat_load_dwordx2 v[4:5], v[2:3]
	flat_load_dwordx2 v[6:7], v[2:3] offset:1024
	flat_load_dwordx2 v[8:9], v[2:3] offset:2048
	;; [unrolled: 1-line block ×3, first 2 shown]
	v_add_co_u32_e32 v2, vcc, 0x2000, v2
	v_addc_co_u32_e32 v3, vcc, 0, v3, vcc
	flat_load_dwordx2 v[14:15], v[12:13]
	flat_load_dwordx2 v[16:17], v[12:13] offset:1024
	flat_load_dwordx2 v[18:19], v[12:13] offset:2048
	;; [unrolled: 1-line block ×3, first 2 shown]
	s_nop 0
	flat_load_dwordx2 v[12:13], v[2:3]
	flat_load_dwordx2 v[22:23], v[2:3] offset:1024
	s_mov_b64 s[0:1], 0
	s_waitcnt vmcnt(0) lgkmcnt(0)
	ds_write2st64_b64 v44, v[4:5], v[6:7] offset1:2
	ds_write2st64_b64 v44, v[8:9], v[10:11] offset0:4 offset1:6
	ds_write2st64_b64 v44, v[14:15], v[16:17] offset0:8 offset1:10
	;; [unrolled: 1-line block ×4, first 2 shown]
	s_waitcnt lgkmcnt(0)
	s_barrier
.LBB1909_2:
	s_load_dwordx2 s[18:19], s[4:5], 0x20
	s_load_dwordx2 s[16:17], s[4:5], 0x30
	s_andn2_b64 vcc, exec, s[0:1]
	v_cmp_gt_u32_e64 s[0:1], s24, v0
	s_cbranch_vccnz .LBB1909_24
; %bb.3:
	v_pk_mov_b32 v[2:3], s[2:3], s[2:3] op_sel:[0,1]
	flat_load_dwordx2 v[2:3], v[2:3]
	s_waitcnt vmcnt(0) lgkmcnt(0)
	v_mov_b32_e32 v4, v2
	v_mov_b32_e32 v5, v3
	;; [unrolled: 1-line block ×16, first 2 shown]
	v_pk_mov_b32 v[34:35], v[30:31], v[30:31] op_sel:[0,1]
	v_pk_mov_b32 v[32:33], v[28:29], v[28:29] op_sel:[0,1]
	;; [unrolled: 1-line block ×16, first 2 shown]
	s_and_saveexec_b64 s[20:21], s[0:1]
	s_cbranch_execz .LBB1909_5
; %bb.4:
	v_mov_b32_e32 v1, s3
	v_add_co_u32_e32 v4, vcc, s2, v44
	v_addc_co_u32_e32 v5, vcc, 0, v1, vcc
	flat_load_dwordx2 v[36:37], v[4:5]
	v_mov_b32_e32 v4, v2
	v_mov_b32_e32 v5, v3
	;; [unrolled: 1-line block ×16, first 2 shown]
	v_pk_mov_b32 v[34:35], v[30:31], v[30:31] op_sel:[0,1]
	v_pk_mov_b32 v[32:33], v[28:29], v[28:29] op_sel:[0,1]
	;; [unrolled: 1-line block ×16, first 2 shown]
	s_waitcnt vmcnt(0) lgkmcnt(0)
	v_pk_mov_b32 v[2:3], v[36:37], v[36:37] op_sel:[0,1]
.LBB1909_5:
	s_or_b64 exec, exec, s[20:21]
	v_or_b32_e32 v1, 0x80, v0
	v_cmp_gt_u32_e32 vcc, s24, v1
	s_and_saveexec_b64 s[0:1], vcc
	s_cbranch_execz .LBB1909_7
; %bb.6:
	v_mov_b32_e32 v1, s3
	v_add_co_u32_e32 v4, vcc, s2, v44
	v_addc_co_u32_e32 v5, vcc, 0, v1, vcc
	flat_load_dwordx2 v[6:7], v[4:5] offset:1024
.LBB1909_7:
	s_or_b64 exec, exec, s[0:1]
	v_or_b32_e32 v1, 0x100, v0
	v_cmp_gt_u32_e32 vcc, s24, v1
	s_and_saveexec_b64 s[0:1], vcc
	s_cbranch_execz .LBB1909_9
; %bb.8:
	v_mov_b32_e32 v1, s3
	v_add_co_u32_e32 v4, vcc, s2, v44
	v_addc_co_u32_e32 v5, vcc, 0, v1, vcc
	flat_load_dwordx2 v[8:9], v[4:5] offset:2048
.LBB1909_9:
	;; [unrolled: 11-line block ×3, first 2 shown]
	s_or_b64 exec, exec, s[0:1]
	v_or_b32_e32 v1, 0x200, v0
	v_cmp_gt_u32_e32 vcc, s24, v1
	s_and_saveexec_b64 s[0:1], vcc
	s_cbranch_execz .LBB1909_13
; %bb.12:
	v_lshlrev_b32_e32 v1, 3, v1
	v_mov_b32_e32 v5, s3
	v_add_co_u32_e32 v4, vcc, s2, v1
	v_addc_co_u32_e32 v5, vcc, 0, v5, vcc
	flat_load_dwordx2 v[12:13], v[4:5]
.LBB1909_13:
	s_or_b64 exec, exec, s[0:1]
	v_or_b32_e32 v1, 0x280, v0
	v_cmp_gt_u32_e32 vcc, s24, v1
	s_and_saveexec_b64 s[0:1], vcc
	s_cbranch_execz .LBB1909_15
; %bb.14:
	v_lshlrev_b32_e32 v1, 3, v1
	v_mov_b32_e32 v5, s3
	v_add_co_u32_e32 v4, vcc, s2, v1
	v_addc_co_u32_e32 v5, vcc, 0, v5, vcc
	flat_load_dwordx2 v[14:15], v[4:5]
.LBB1909_15:
	;; [unrolled: 12-line block ×6, first 2 shown]
	s_or_b64 exec, exec, s[0:1]
	s_waitcnt vmcnt(0) lgkmcnt(0)
	ds_write2st64_b64 v44, v[2:3], v[6:7] offset1:2
	ds_write2st64_b64 v44, v[8:9], v[10:11] offset0:4 offset1:6
	ds_write2st64_b64 v44, v[12:13], v[14:15] offset0:8 offset1:10
	;; [unrolled: 1-line block ×4, first 2 shown]
	s_waitcnt lgkmcnt(0)
	s_barrier
.LBB1909_24:
	v_mul_u32_u24_e32 v45, 10, v0
	v_lshlrev_b32_e32 v46, 3, v45
	s_waitcnt lgkmcnt(0)
	ds_read_b128 v[14:17], v46
	ds_read_b128 v[10:13], v46 offset:16
	ds_read_b128 v[6:9], v46 offset:32
	;; [unrolled: 1-line block ×4, first 2 shown]
	s_cmp_lg_u32 s6, 0
	s_waitcnt lgkmcnt(4)
	v_cmp_lt_f64_e32 vcc, v[14:15], v[16:17]
	v_mbcnt_lo_u32_b32 v1, -1, 0
	s_waitcnt lgkmcnt(0)
	s_barrier
	s_cbranch_scc0 .LBB1909_85
; %bb.25:
	v_cndmask_b32_e32 v23, v15, v17, vcc
	v_cndmask_b32_e32 v22, v14, v16, vcc
	v_cmp_lt_f64_e32 vcc, v[22:23], v[10:11]
	v_cndmask_b32_e32 v23, v23, v11, vcc
	v_cndmask_b32_e32 v22, v22, v10, vcc
	v_cmp_lt_f64_e32 vcc, v[22:23], v[12:13]
	;; [unrolled: 3-line block ×8, first 2 shown]
	v_mbcnt_hi_u32_b32 v33, -1, v1
	v_cndmask_b32_e32 v23, v23, v21, vcc
	v_cndmask_b32_e32 v22, v22, v20, vcc
	v_and_b32_e32 v26, 15, v33
	v_mov_b32_dpp v25, v23 row_shr:1 row_mask:0xf bank_mask:0xf
	v_mov_b32_dpp v24, v22 row_shr:1 row_mask:0xf bank_mask:0xf
	v_cmp_ne_u32_e32 vcc, 0, v26
	s_and_saveexec_b64 s[0:1], vcc
; %bb.26:
	v_cmp_gt_f64_e32 vcc, v[22:23], v[24:25]
	v_cndmask_b32_e32 v23, v25, v23, vcc
	v_cndmask_b32_e32 v22, v24, v22, vcc
; %bb.27:
	s_or_b64 exec, exec, s[0:1]
	s_nop 0
	v_mov_b32_dpp v24, v22 row_shr:2 row_mask:0xf bank_mask:0xf
	v_mov_b32_dpp v25, v23 row_shr:2 row_mask:0xf bank_mask:0xf
	v_cmp_lt_u32_e32 vcc, 1, v26
	s_and_saveexec_b64 s[0:1], vcc
; %bb.28:
	v_cmp_gt_f64_e32 vcc, v[22:23], v[24:25]
	v_cndmask_b32_e32 v23, v25, v23, vcc
	v_cndmask_b32_e32 v22, v24, v22, vcc
; %bb.29:
	s_or_b64 exec, exec, s[0:1]
	s_nop 0
	v_mov_b32_dpp v24, v22 row_shr:4 row_mask:0xf bank_mask:0xf
	v_mov_b32_dpp v25, v23 row_shr:4 row_mask:0xf bank_mask:0xf
	v_cmp_lt_u32_e32 vcc, 3, v26
	;; [unrolled: 11-line block ×3, first 2 shown]
	s_and_saveexec_b64 s[0:1], vcc
; %bb.32:
	v_cmp_gt_f64_e32 vcc, v[22:23], v[24:25]
	v_cndmask_b32_e32 v23, v25, v23, vcc
	v_cndmask_b32_e32 v22, v24, v22, vcc
; %bb.33:
	s_or_b64 exec, exec, s[0:1]
	v_and_b32_e32 v26, 16, v33
	v_mov_b32_dpp v24, v22 row_bcast:15 row_mask:0xf bank_mask:0xf
	v_mov_b32_dpp v25, v23 row_bcast:15 row_mask:0xf bank_mask:0xf
	v_cmp_ne_u32_e32 vcc, 0, v26
	s_and_saveexec_b64 s[0:1], vcc
; %bb.34:
	v_cmp_gt_f64_e32 vcc, v[22:23], v[24:25]
	v_cndmask_b32_e32 v23, v25, v23, vcc
	v_cndmask_b32_e32 v22, v24, v22, vcc
; %bb.35:
	s_or_b64 exec, exec, s[0:1]
	s_nop 0
	v_mov_b32_dpp v24, v22 row_bcast:31 row_mask:0xf bank_mask:0xf
	v_mov_b32_dpp v25, v23 row_bcast:31 row_mask:0xf bank_mask:0xf
	v_cmp_gt_f64_e32 vcc, v[22:23], v[24:25]
	v_cndmask_b32_e32 v24, v24, v22, vcc
	v_cndmask_b32_e32 v25, v25, v23, vcc
	v_cmp_lt_u32_e32 vcc, 31, v33
	v_cndmask_b32_e32 v23, v23, v25, vcc
	v_or_b32_e32 v25, 63, v0
	v_cndmask_b32_e32 v22, v22, v24, vcc
	v_lshrrev_b32_e32 v24, 6, v0
	v_cmp_eq_u32_e32 vcc, v25, v0
	s_and_saveexec_b64 s[0:1], vcc
	s_cbranch_execz .LBB1909_37
; %bb.36:
	v_lshlrev_b32_e32 v25, 3, v24
	ds_write_b64 v25, v[22:23]
.LBB1909_37:
	s_or_b64 exec, exec, s[0:1]
	v_cmp_gt_u32_e32 vcc, 2, v0
	s_waitcnt lgkmcnt(0)
	s_barrier
	s_and_saveexec_b64 s[2:3], vcc
	s_cbranch_execz .LBB1909_39
; %bb.38:
	ds_read_b64 v[26:27], v44
	v_and_b32_e32 v25, 1, v33
	v_cmp_eq_u32_e32 vcc, 0, v25
	s_waitcnt lgkmcnt(0)
	v_mov_b32_dpp v30, v27 row_shr:1 row_mask:0xf bank_mask:0xf
	v_mov_b32_dpp v28, v26 row_shr:1 row_mask:0xf bank_mask:0xf
	v_mov_b32_e32 v29, v30
	v_cmp_gt_f64_e64 s[0:1], v[26:27], v[28:29]
	s_or_b64 vcc, vcc, s[0:1]
	v_cndmask_b32_e32 v27, v30, v27, vcc
	v_cndmask_b32_e32 v26, v28, v26, vcc
	ds_write_b64 v44, v[26:27]
.LBB1909_39:
	s_or_b64 exec, exec, s[2:3]
	v_cmp_gt_u32_e32 vcc, 64, v0
	v_cmp_lt_u32_e64 s[0:1], 63, v0
	s_waitcnt lgkmcnt(0)
	s_barrier
	s_waitcnt lgkmcnt(0)
                                        ; implicit-def: $vgpr30_vgpr31
	s_and_saveexec_b64 s[2:3], s[0:1]
	s_cbranch_execz .LBB1909_41
; %bb.40:
	v_lshl_add_u32 v24, v24, 3, -8
	ds_read_b64 v[30:31], v24
	s_waitcnt lgkmcnt(0)
	v_cmp_lt_f64_e64 s[0:1], v[30:31], v[22:23]
	v_cndmask_b32_e64 v23, v31, v23, s[0:1]
	v_cndmask_b32_e64 v22, v30, v22, s[0:1]
.LBB1909_41:
	s_or_b64 exec, exec, s[2:3]
	v_add_u32_e32 v24, -1, v33
	v_and_b32_e32 v25, 64, v33
	v_cmp_lt_i32_e64 s[0:1], v24, v25
	v_cndmask_b32_e64 v24, v24, v33, s[0:1]
	v_lshlrev_b32_e32 v24, 2, v24
	ds_bpermute_b32 v38, v24, v22
	ds_bpermute_b32 v39, v24, v23
	v_cmp_eq_u32_e64 s[0:1], 0, v33
	s_and_saveexec_b64 s[20:21], vcc
	s_cbranch_execz .LBB1909_84
; %bb.42:
	v_mov_b32_e32 v25, 0
	ds_read_b64 v[22:23], v25 offset:8
	s_and_saveexec_b64 s[2:3], s[0:1]
	s_cbranch_execz .LBB1909_44
; %bb.43:
	s_add_i32 s22, s6, 64
	s_mov_b32 s23, 0
	s_lshl_b64 s[22:23], s[22:23], 4
	s_add_u32 s22, s16, s22
	s_addc_u32 s23, s17, s23
	v_mov_b32_e32 v24, 1
	v_pk_mov_b32 v[26:27], s[22:23], s[22:23] op_sel:[0,1]
	s_waitcnt lgkmcnt(0)
	;;#ASMSTART
	global_store_dwordx4 v[26:27], v[22:25] off	
s_waitcnt vmcnt(0)
	;;#ASMEND
.LBB1909_44:
	s_or_b64 exec, exec, s[2:3]
	v_xad_u32 v32, v33, -1, s6
	v_add_u32_e32 v24, 64, v32
	v_lshlrev_b64 v[26:27], 4, v[24:25]
	v_mov_b32_e32 v24, s17
	v_add_co_u32_e32 v34, vcc, s16, v26
	v_addc_co_u32_e32 v35, vcc, v24, v27, vcc
	;;#ASMSTART
	global_load_dwordx4 v[26:29], v[34:35] off glc	
s_waitcnt vmcnt(0)
	;;#ASMEND
	v_and_b32_e32 v24, 0xff, v27
	v_and_b32_e32 v29, 0xff00, v27
	v_or3_b32 v24, 0, v24, v29
	v_or3_b32 v26, v26, 0, 0
	v_and_b32_e32 v29, 0xff000000, v27
	v_and_b32_e32 v27, 0xff0000, v27
	v_or3_b32 v27, v24, v27, v29
	v_or3_b32 v26, v26, 0, 0
	v_cmp_eq_u16_sdwa s[22:23], v28, v25 src0_sel:BYTE_0 src1_sel:DWORD
	s_and_saveexec_b64 s[2:3], s[22:23]
	s_cbranch_execz .LBB1909_50
; %bb.45:
	s_mov_b32 s7, 1
	s_mov_b64 s[22:23], 0
	v_mov_b32_e32 v24, 0
.LBB1909_46:                            ; =>This Loop Header: Depth=1
                                        ;     Child Loop BB1909_47 Depth 2
	s_max_u32 s28, s7, 1
.LBB1909_47:                            ;   Parent Loop BB1909_46 Depth=1
                                        ; =>  This Inner Loop Header: Depth=2
	s_add_i32 s28, s28, -1
	s_cmp_eq_u32 s28, 0
	s_sleep 1
	s_cbranch_scc0 .LBB1909_47
; %bb.48:                               ;   in Loop: Header=BB1909_46 Depth=1
	s_cmp_lt_u32 s7, 32
	s_cselect_b64 s[28:29], -1, 0
	s_cmp_lg_u64 s[28:29], 0
	s_addc_u32 s7, s7, 0
	;;#ASMSTART
	global_load_dwordx4 v[26:29], v[34:35] off glc	
s_waitcnt vmcnt(0)
	;;#ASMEND
	v_cmp_ne_u16_sdwa s[28:29], v28, v24 src0_sel:BYTE_0 src1_sel:DWORD
	s_or_b64 s[22:23], s[28:29], s[22:23]
	s_andn2_b64 exec, exec, s[22:23]
	s_cbranch_execnz .LBB1909_46
; %bb.49:
	s_or_b64 exec, exec, s[22:23]
.LBB1909_50:
	s_or_b64 exec, exec, s[2:3]
	v_and_b32_e32 v40, 63, v33
	v_mov_b32_e32 v24, 2
	v_cmp_ne_u32_e32 vcc, 63, v40
	v_cmp_eq_u16_sdwa s[2:3], v28, v24 src0_sel:BYTE_0 src1_sel:DWORD
	v_lshlrev_b64 v[24:25], v33, -1
	v_addc_co_u32_e32 v34, vcc, 0, v33, vcc
	v_and_b32_e32 v29, s3, v25
	v_lshlrev_b32_e32 v41, 2, v34
	v_or_b32_e32 v29, 0x80000000, v29
	ds_bpermute_b32 v34, v41, v26
	ds_bpermute_b32 v35, v41, v27
	v_and_b32_e32 v36, s2, v24
	v_ffbl_b32_e32 v29, v29
	v_add_u32_e32 v29, 32, v29
	v_ffbl_b32_e32 v36, v36
	v_min_u32_e32 v29, v36, v29
	v_cmp_lt_u32_e32 vcc, v40, v29
	s_and_saveexec_b64 s[2:3], vcc
	s_cbranch_execz .LBB1909_52
; %bb.51:
	s_waitcnt lgkmcnt(0)
	v_cmp_lt_f64_e32 vcc, v[34:35], v[26:27]
	v_cndmask_b32_e32 v27, v35, v27, vcc
	v_cndmask_b32_e32 v26, v34, v26, vcc
.LBB1909_52:
	s_or_b64 exec, exec, s[2:3]
	v_cmp_gt_u32_e32 vcc, 62, v40
	s_waitcnt lgkmcnt(1)
	v_cndmask_b32_e64 v34, 0, 1, vcc
	v_lshlrev_b32_e32 v34, 1, v34
	v_add_lshl_u32 v42, v34, v33, 2
	ds_bpermute_b32 v34, v42, v26
	s_waitcnt lgkmcnt(1)
	ds_bpermute_b32 v35, v42, v27
	v_add_u32_e32 v43, 2, v40
	v_cmp_le_u32_e32 vcc, v43, v29
	s_and_saveexec_b64 s[2:3], vcc
	s_cbranch_execz .LBB1909_54
; %bb.53:
	s_waitcnt lgkmcnt(0)
	v_cmp_gt_f64_e32 vcc, v[26:27], v[34:35]
	v_cndmask_b32_e32 v27, v35, v27, vcc
	v_cndmask_b32_e32 v26, v34, v26, vcc
.LBB1909_54:
	s_or_b64 exec, exec, s[2:3]
	v_cmp_gt_u32_e32 vcc, 60, v40
	s_waitcnt lgkmcnt(1)
	v_cndmask_b32_e64 v34, 0, 1, vcc
	v_lshlrev_b32_e32 v34, 2, v34
	v_add_lshl_u32 v47, v34, v33, 2
	ds_bpermute_b32 v34, v47, v26
	s_waitcnt lgkmcnt(1)
	ds_bpermute_b32 v35, v47, v27
	v_add_u32_e32 v48, 4, v40
	v_cmp_le_u32_e32 vcc, v48, v29
	s_and_saveexec_b64 s[2:3], vcc
	s_cbranch_execz .LBB1909_56
; %bb.55:
	s_waitcnt lgkmcnt(0)
	v_cmp_gt_f64_e32 vcc, v[26:27], v[34:35]
	v_cndmask_b32_e32 v27, v35, v27, vcc
	v_cndmask_b32_e32 v26, v34, v26, vcc
.LBB1909_56:
	;; [unrolled: 19-line block ×4, first 2 shown]
	s_or_b64 exec, exec, s[2:3]
	v_cmp_gt_u32_e32 vcc, 32, v40
	s_waitcnt lgkmcnt(1)
	v_cndmask_b32_e64 v34, 0, 1, vcc
	v_lshlrev_b32_e32 v34, 5, v34
	v_add_lshl_u32 v53, v34, v33, 2
	ds_bpermute_b32 v34, v53, v27
	ds_bpermute_b32 v36, v53, v26
	v_add_u32_e32 v54, 32, v40
	v_cmp_gt_u32_e32 vcc, v54, v29
	v_mov_b32_e32 v33, 0
	s_waitcnt lgkmcnt(1)
	v_mov_b32_e32 v37, v34
	s_waitcnt lgkmcnt(0)
	v_cmp_gt_f64_e64 s[2:3], v[26:27], v[36:37]
	s_or_b64 vcc, vcc, s[2:3]
	v_cndmask_b32_e32 v27, v34, v27, vcc
	v_cndmask_b32_e32 v26, v36, v26, vcc
	v_mov_b32_e32 v55, 2
	s_branch .LBB1909_62
.LBB1909_61:                            ;   in Loop: Header=BB1909_62 Depth=1
	s_or_b64 exec, exec, s[2:3]
	s_waitcnt lgkmcnt(1)
	ds_bpermute_b32 v36, v53, v27
	ds_bpermute_b32 v56, v53, v26
	v_cmp_gt_u32_e32 vcc, v54, v29
	v_subrev_u32_e32 v32, 64, v32
	s_waitcnt lgkmcnt(1)
	v_mov_b32_e32 v57, v36
	s_waitcnt lgkmcnt(0)
	v_cmp_gt_f64_e64 s[2:3], v[26:27], v[56:57]
	s_or_b64 vcc, vcc, s[2:3]
	v_cndmask_b32_e32 v27, v36, v27, vcc
	v_cndmask_b32_e32 v26, v56, v26, vcc
	v_cmp_lt_f64_e32 vcc, v[26:27], v[34:35]
	v_cndmask_b32_e32 v27, v27, v35, vcc
	v_cndmask_b32_e32 v26, v26, v34, vcc
.LBB1909_62:                            ; =>This Loop Header: Depth=1
                                        ;     Child Loop BB1909_65 Depth 2
                                        ;       Child Loop BB1909_66 Depth 3
	v_cmp_ne_u16_sdwa s[2:3], v28, v55 src0_sel:BYTE_0 src1_sel:DWORD
	v_cndmask_b32_e64 v28, 0, 1, s[2:3]
	;;#ASMSTART
	;;#ASMEND
	v_cmp_ne_u32_e32 vcc, 0, v28
	s_cmp_lg_u64 vcc, exec
	v_pk_mov_b32 v[34:35], v[26:27], v[26:27] op_sel:[0,1]
	s_cbranch_scc1 .LBB1909_79
; %bb.63:                               ;   in Loop: Header=BB1909_62 Depth=1
	v_lshlrev_b64 v[26:27], 4, v[32:33]
	v_mov_b32_e32 v28, s17
	v_add_co_u32_e32 v36, vcc, s16, v26
	v_addc_co_u32_e32 v37, vcc, v28, v27, vcc
	;;#ASMSTART
	global_load_dwordx4 v[26:29], v[36:37] off glc	
s_waitcnt vmcnt(0)
	;;#ASMEND
	v_and_b32_e32 v29, 0xff, v27
	v_and_b32_e32 v56, 0xff00, v27
	v_or3_b32 v29, 0, v29, v56
	v_or3_b32 v26, v26, 0, 0
	v_and_b32_e32 v56, 0xff000000, v27
	v_and_b32_e32 v27, 0xff0000, v27
	v_or3_b32 v27, v29, v27, v56
	v_or3_b32 v26, v26, 0, 0
	v_cmp_eq_u16_sdwa s[22:23], v28, v33 src0_sel:BYTE_0 src1_sel:DWORD
	s_and_saveexec_b64 s[2:3], s[22:23]
	s_cbranch_execz .LBB1909_69
; %bb.64:                               ;   in Loop: Header=BB1909_62 Depth=1
	s_mov_b32 s7, 1
	s_mov_b64 s[22:23], 0
.LBB1909_65:                            ;   Parent Loop BB1909_62 Depth=1
                                        ; =>  This Loop Header: Depth=2
                                        ;       Child Loop BB1909_66 Depth 3
	s_max_u32 s28, s7, 1
.LBB1909_66:                            ;   Parent Loop BB1909_62 Depth=1
                                        ;     Parent Loop BB1909_65 Depth=2
                                        ; =>    This Inner Loop Header: Depth=3
	s_add_i32 s28, s28, -1
	s_cmp_eq_u32 s28, 0
	s_sleep 1
	s_cbranch_scc0 .LBB1909_66
; %bb.67:                               ;   in Loop: Header=BB1909_65 Depth=2
	s_cmp_lt_u32 s7, 32
	s_cselect_b64 s[28:29], -1, 0
	s_cmp_lg_u64 s[28:29], 0
	s_addc_u32 s7, s7, 0
	;;#ASMSTART
	global_load_dwordx4 v[26:29], v[36:37] off glc	
s_waitcnt vmcnt(0)
	;;#ASMEND
	v_cmp_ne_u16_sdwa s[28:29], v28, v33 src0_sel:BYTE_0 src1_sel:DWORD
	s_or_b64 s[22:23], s[28:29], s[22:23]
	s_andn2_b64 exec, exec, s[22:23]
	s_cbranch_execnz .LBB1909_65
; %bb.68:                               ;   in Loop: Header=BB1909_62 Depth=1
	s_or_b64 exec, exec, s[22:23]
.LBB1909_69:                            ;   in Loop: Header=BB1909_62 Depth=1
	s_or_b64 exec, exec, s[2:3]
	v_cmp_eq_u16_sdwa s[2:3], v28, v55 src0_sel:BYTE_0 src1_sel:DWORD
	v_and_b32_e32 v29, s3, v25
	v_or_b32_e32 v29, 0x80000000, v29
	ds_bpermute_b32 v36, v41, v26
	ds_bpermute_b32 v37, v41, v27
	v_and_b32_e32 v56, s2, v24
	v_ffbl_b32_e32 v29, v29
	v_add_u32_e32 v29, 32, v29
	v_ffbl_b32_e32 v56, v56
	v_min_u32_e32 v29, v56, v29
	v_cmp_lt_u32_e32 vcc, v40, v29
	s_and_saveexec_b64 s[2:3], vcc
	s_cbranch_execz .LBB1909_71
; %bb.70:                               ;   in Loop: Header=BB1909_62 Depth=1
	s_waitcnt lgkmcnt(0)
	v_cmp_lt_f64_e32 vcc, v[36:37], v[26:27]
	v_cndmask_b32_e32 v27, v37, v27, vcc
	v_cndmask_b32_e32 v26, v36, v26, vcc
.LBB1909_71:                            ;   in Loop: Header=BB1909_62 Depth=1
	s_or_b64 exec, exec, s[2:3]
	s_waitcnt lgkmcnt(1)
	ds_bpermute_b32 v36, v42, v26
	s_waitcnt lgkmcnt(1)
	ds_bpermute_b32 v37, v42, v27
	v_cmp_le_u32_e32 vcc, v43, v29
	s_and_saveexec_b64 s[2:3], vcc
	s_cbranch_execz .LBB1909_73
; %bb.72:                               ;   in Loop: Header=BB1909_62 Depth=1
	s_waitcnt lgkmcnt(0)
	v_cmp_gt_f64_e32 vcc, v[26:27], v[36:37]
	v_cndmask_b32_e32 v27, v37, v27, vcc
	v_cndmask_b32_e32 v26, v36, v26, vcc
.LBB1909_73:                            ;   in Loop: Header=BB1909_62 Depth=1
	s_or_b64 exec, exec, s[2:3]
	s_waitcnt lgkmcnt(1)
	ds_bpermute_b32 v36, v47, v26
	s_waitcnt lgkmcnt(1)
	ds_bpermute_b32 v37, v47, v27
	v_cmp_le_u32_e32 vcc, v48, v29
	s_and_saveexec_b64 s[2:3], vcc
	s_cbranch_execz .LBB1909_75
; %bb.74:                               ;   in Loop: Header=BB1909_62 Depth=1
	s_waitcnt lgkmcnt(0)
	v_cmp_gt_f64_e32 vcc, v[26:27], v[36:37]
	v_cndmask_b32_e32 v27, v37, v27, vcc
	v_cndmask_b32_e32 v26, v36, v26, vcc
.LBB1909_75:                            ;   in Loop: Header=BB1909_62 Depth=1
	;; [unrolled: 14-line block ×3, first 2 shown]
	s_or_b64 exec, exec, s[2:3]
	s_waitcnt lgkmcnt(1)
	ds_bpermute_b32 v36, v51, v26
	s_waitcnt lgkmcnt(1)
	ds_bpermute_b32 v37, v51, v27
	v_cmp_le_u32_e32 vcc, v52, v29
	s_and_saveexec_b64 s[2:3], vcc
	s_cbranch_execz .LBB1909_61
; %bb.78:                               ;   in Loop: Header=BB1909_62 Depth=1
	s_waitcnt lgkmcnt(0)
	v_cmp_gt_f64_e32 vcc, v[26:27], v[36:37]
	v_cndmask_b32_e32 v27, v37, v27, vcc
	v_cndmask_b32_e32 v26, v36, v26, vcc
	s_branch .LBB1909_61
.LBB1909_79:                            ;   in Loop: Header=BB1909_62 Depth=1
                                        ; implicit-def: $vgpr26_vgpr27
                                        ; implicit-def: $vgpr28
	s_cbranch_execz .LBB1909_62
; %bb.80:
	s_and_saveexec_b64 s[2:3], s[0:1]
	s_cbranch_execz .LBB1909_82
; %bb.81:
	s_add_i32 s6, s6, 64
	s_mov_b32 s7, 0
	s_lshl_b64 s[6:7], s[6:7], 4
	s_add_u32 s6, s16, s6
	v_cmp_lt_f64_e32 vcc, v[34:35], v[22:23]
	s_addc_u32 s7, s17, s7
	v_cndmask_b32_e32 v23, v35, v23, vcc
	v_cndmask_b32_e32 v22, v34, v22, vcc
	v_mov_b32_e32 v24, 2
	v_mov_b32_e32 v25, 0
	v_pk_mov_b32 v[26:27], s[6:7], s[6:7] op_sel:[0,1]
	;;#ASMSTART
	global_store_dwordx4 v[26:27], v[22:25] off	
s_waitcnt vmcnt(0)
	;;#ASMEND
.LBB1909_82:
	s_or_b64 exec, exec, s[2:3]
	v_cmp_eq_u32_e32 vcc, 0, v0
	s_and_b64 exec, exec, vcc
	s_cbranch_execz .LBB1909_84
; %bb.83:
	v_mov_b32_e32 v22, 0
	ds_write_b64 v22, v[34:35] offset:8
.LBB1909_84:
	s_or_b64 exec, exec, s[20:21]
	v_mov_b32_e32 v22, 0
	s_waitcnt lgkmcnt(0)
	s_barrier
	ds_read_b64 v[22:23], v22 offset:8
	v_cndmask_b32_e64 v25, v39, v31, s[0:1]
	v_cndmask_b32_e64 v24, v38, v30, s[0:1]
	s_waitcnt lgkmcnt(0)
	v_cmp_lt_f64_e32 vcc, v[22:23], v[24:25]
	v_cndmask_b32_e32 v24, v22, v24, vcc
	v_cndmask_b32_e32 v25, v23, v25, vcc
	v_cmp_eq_u32_e32 vcc, 0, v0
	v_cndmask_b32_e32 v23, v25, v23, vcc
	v_cndmask_b32_e32 v22, v24, v22, vcc
	v_cmp_lt_f64_e32 vcc, v[22:23], v[14:15]
	v_cndmask_b32_e32 v25, v23, v15, vcc
	v_cndmask_b32_e32 v24, v22, v14, vcc
	v_cmp_lt_f64_e32 vcc, v[24:25], v[16:17]
	v_cndmask_b32_e32 v27, v25, v17, vcc
	v_cndmask_b32_e32 v26, v24, v16, vcc
	v_cmp_lt_f64_e32 vcc, v[26:27], v[10:11]
	v_cndmask_b32_e32 v29, v27, v11, vcc
	v_cndmask_b32_e32 v28, v26, v10, vcc
	v_cmp_lt_f64_e32 vcc, v[28:29], v[12:13]
	v_cndmask_b32_e32 v31, v29, v13, vcc
	v_cndmask_b32_e32 v30, v28, v12, vcc
	v_cmp_lt_f64_e32 vcc, v[30:31], v[6:7]
	v_cndmask_b32_e32 v33, v31, v7, vcc
	v_cndmask_b32_e32 v32, v30, v6, vcc
	v_cmp_lt_f64_e32 vcc, v[32:33], v[8:9]
	v_cndmask_b32_e32 v35, v33, v9, vcc
	v_cndmask_b32_e32 v34, v32, v8, vcc
	v_cmp_lt_f64_e32 vcc, v[34:35], v[2:3]
	v_cndmask_b32_e32 v37, v35, v3, vcc
	v_cndmask_b32_e32 v36, v34, v2, vcc
	v_cmp_lt_f64_e32 vcc, v[36:37], v[4:5]
	v_cndmask_b32_e32 v39, v37, v5, vcc
	v_cndmask_b32_e32 v38, v36, v4, vcc
	v_cmp_lt_f64_e32 vcc, v[38:39], v[18:19]
	v_cndmask_b32_e32 v41, v39, v19, vcc
	v_cndmask_b32_e32 v40, v38, v18, vcc
	s_load_dwordx8 s[0:7], s[4:5], 0x40
	s_branch .LBB1909_107
.LBB1909_85:
                                        ; implicit-def: $vgpr40_vgpr41
                                        ; implicit-def: $vgpr36_vgpr37
                                        ; implicit-def: $vgpr32_vgpr33
                                        ; implicit-def: $vgpr28_vgpr29
                                        ; implicit-def: $vgpr24_vgpr25
	s_load_dwordx8 s[0:7], s[4:5], 0x40
	s_cbranch_execz .LBB1909_107
; %bb.86:
	s_waitcnt lgkmcnt(0)
	s_cmp_eq_u64 s[4:5], 0
	v_pk_mov_b32 v[42:43], s[18:19], s[18:19] op_sel:[0,1]
	s_cbranch_scc1 .LBB1909_88
; %bb.87:
	v_mov_b32_e32 v25, s27
	v_add_co_u32_e64 v24, vcc, -8, s26
	v_mov_b32_e32 v22, 0
	v_addc_co_u32_e32 v25, vcc, -1, v25, vcc
	global_load_dwordx2 v[22:23], v22, s[0:1]
	s_nop 0
	flat_load_dwordx2 v[24:25], v[24:25]
	s_waitcnt vmcnt(0) lgkmcnt(0)
	v_cmp_lt_f64_e32 vcc, v[22:23], v[24:25]
	v_cndmask_b32_e32 v43, v23, v25, vcc
	v_cndmask_b32_e32 v42, v22, v24, vcc
.LBB1909_88:
	v_cmp_lt_f64_e32 vcc, v[14:15], v[16:17]
	v_cndmask_b32_e32 v23, v15, v17, vcc
	v_cndmask_b32_e32 v22, v14, v16, vcc
	v_cmp_lt_f64_e32 vcc, v[22:23], v[10:11]
	v_cndmask_b32_e32 v23, v23, v11, vcc
	v_cndmask_b32_e32 v22, v22, v10, vcc
	;; [unrolled: 3-line block ×8, first 2 shown]
	v_cmp_lt_f64_e32 vcc, v[22:23], v[20:21]
	v_mbcnt_hi_u32_b32 v1, -1, v1
	v_cndmask_b32_e32 v21, v23, v21, vcc
	v_cndmask_b32_e32 v20, v22, v20, vcc
	v_and_b32_e32 v24, 15, v1
	v_mov_b32_dpp v23, v21 row_shr:1 row_mask:0xf bank_mask:0xf
	v_mov_b32_dpp v22, v20 row_shr:1 row_mask:0xf bank_mask:0xf
	v_cmp_ne_u32_e32 vcc, 0, v24
	s_and_saveexec_b64 s[0:1], vcc
; %bb.89:
	v_cmp_gt_f64_e32 vcc, v[20:21], v[22:23]
	v_cndmask_b32_e32 v21, v23, v21, vcc
	v_cndmask_b32_e32 v20, v22, v20, vcc
; %bb.90:
	s_or_b64 exec, exec, s[0:1]
	s_nop 0
	v_mov_b32_dpp v22, v20 row_shr:2 row_mask:0xf bank_mask:0xf
	v_mov_b32_dpp v23, v21 row_shr:2 row_mask:0xf bank_mask:0xf
	v_cmp_lt_u32_e32 vcc, 1, v24
	s_and_saveexec_b64 s[0:1], vcc
; %bb.91:
	v_cmp_gt_f64_e32 vcc, v[20:21], v[22:23]
	v_cndmask_b32_e32 v21, v23, v21, vcc
	v_cndmask_b32_e32 v20, v22, v20, vcc
; %bb.92:
	s_or_b64 exec, exec, s[0:1]
	s_nop 0
	v_mov_b32_dpp v22, v20 row_shr:4 row_mask:0xf bank_mask:0xf
	v_mov_b32_dpp v23, v21 row_shr:4 row_mask:0xf bank_mask:0xf
	v_cmp_lt_u32_e32 vcc, 3, v24
	;; [unrolled: 11-line block ×3, first 2 shown]
	s_and_saveexec_b64 s[0:1], vcc
; %bb.95:
	v_cmp_gt_f64_e32 vcc, v[20:21], v[22:23]
	v_cndmask_b32_e32 v21, v23, v21, vcc
	v_cndmask_b32_e32 v20, v22, v20, vcc
; %bb.96:
	s_or_b64 exec, exec, s[0:1]
	v_and_b32_e32 v24, 16, v1
	v_mov_b32_dpp v22, v20 row_bcast:15 row_mask:0xf bank_mask:0xf
	v_mov_b32_dpp v23, v21 row_bcast:15 row_mask:0xf bank_mask:0xf
	v_cmp_ne_u32_e32 vcc, 0, v24
	s_and_saveexec_b64 s[0:1], vcc
; %bb.97:
	v_cmp_gt_f64_e32 vcc, v[20:21], v[22:23]
	v_cndmask_b32_e32 v21, v23, v21, vcc
	v_cndmask_b32_e32 v20, v22, v20, vcc
; %bb.98:
	s_or_b64 exec, exec, s[0:1]
	s_nop 0
	v_mov_b32_dpp v22, v20 row_bcast:31 row_mask:0xf bank_mask:0xf
	v_mov_b32_dpp v23, v21 row_bcast:31 row_mask:0xf bank_mask:0xf
	v_cmp_gt_f64_e32 vcc, v[20:21], v[22:23]
	v_cndmask_b32_e32 v22, v22, v20, vcc
	v_cndmask_b32_e32 v23, v23, v21, vcc
	v_cmp_lt_u32_e32 vcc, 31, v1
	v_cndmask_b32_e32 v20, v20, v22, vcc
	v_or_b32_e32 v22, 63, v0
	v_cndmask_b32_e32 v21, v21, v23, vcc
	v_lshrrev_b32_e32 v24, 6, v0
	v_cmp_eq_u32_e32 vcc, v22, v0
	s_and_saveexec_b64 s[0:1], vcc
	s_cbranch_execz .LBB1909_100
; %bb.99:
	v_lshlrev_b32_e32 v22, 3, v24
	ds_write_b64 v22, v[20:21]
.LBB1909_100:
	s_or_b64 exec, exec, s[0:1]
	v_cmp_gt_u32_e32 vcc, 2, v0
	s_waitcnt lgkmcnt(0)
	s_barrier
	s_and_saveexec_b64 s[4:5], vcc
	s_cbranch_execz .LBB1909_102
; %bb.101:
	s_movk_i32 s0, 0xffb8
	v_mad_i32_i24 v25, v0, s0, v46
	ds_read_b64 v[22:23], v25
	v_and_b32_e32 v26, 1, v1
	v_cmp_eq_u32_e32 vcc, 0, v26
	s_waitcnt lgkmcnt(0)
	v_mov_b32_dpp v28, v23 row_shr:1 row_mask:0xf bank_mask:0xf
	v_mov_b32_dpp v26, v22 row_shr:1 row_mask:0xf bank_mask:0xf
	v_mov_b32_e32 v27, v28
	v_cmp_gt_f64_e64 s[0:1], v[22:23], v[26:27]
	s_or_b64 vcc, vcc, s[0:1]
	v_cndmask_b32_e32 v23, v28, v23, vcc
	v_cndmask_b32_e32 v22, v26, v22, vcc
	ds_write_b64 v25, v[22:23]
.LBB1909_102:
	s_or_b64 exec, exec, s[4:5]
	v_cmp_lt_u32_e32 vcc, 63, v0
	v_pk_mov_b32 v[22:23], v[42:43], v[42:43] op_sel:[0,1]
	s_waitcnt lgkmcnt(0)
	s_barrier
	s_and_saveexec_b64 s[0:1], vcc
	s_cbranch_execz .LBB1909_104
; %bb.103:
	v_lshl_add_u32 v22, v24, 3, -8
	ds_read_b64 v[22:23], v22
	s_waitcnt lgkmcnt(0)
	v_cmp_gt_f64_e32 vcc, v[22:23], v[42:43]
	v_cndmask_b32_e32 v23, v43, v23, vcc
	v_cndmask_b32_e32 v22, v42, v22, vcc
.LBB1909_104:
	s_or_b64 exec, exec, s[0:1]
	v_cmp_lt_f64_e32 vcc, v[22:23], v[20:21]
	v_add_u32_e32 v24, -1, v1
	v_and_b32_e32 v25, 64, v1
	v_cndmask_b32_e32 v21, v23, v21, vcc
	v_cndmask_b32_e32 v20, v22, v20, vcc
	v_cmp_lt_i32_e32 vcc, v24, v25
	v_cndmask_b32_e32 v24, v24, v1, vcc
	v_lshlrev_b32_e32 v24, 2, v24
	ds_bpermute_b32 v20, v24, v20
	ds_bpermute_b32 v21, v24, v21
	v_cmp_eq_u32_e32 vcc, 0, v1
	s_waitcnt lgkmcnt(1)
	v_cndmask_b32_e32 v1, v20, v22, vcc
	s_waitcnt lgkmcnt(0)
	v_cndmask_b32_e32 v20, v21, v23, vcc
	v_cmp_eq_u32_e32 vcc, 0, v0
	v_cndmask_b32_e32 v23, v20, v43, vcc
	v_cndmask_b32_e32 v22, v1, v42, vcc
	v_cmp_lt_f64_e64 s[0:1], v[22:23], v[14:15]
	v_cndmask_b32_e64 v25, v23, v15, s[0:1]
	v_cndmask_b32_e64 v24, v22, v14, s[0:1]
	v_cmp_lt_f64_e64 s[0:1], v[24:25], v[16:17]
	v_cndmask_b32_e64 v27, v25, v17, s[0:1]
	v_cndmask_b32_e64 v26, v24, v16, s[0:1]
	;; [unrolled: 3-line block ×9, first 2 shown]
	s_and_saveexec_b64 s[0:1], vcc
	s_cbranch_execz .LBB1909_106
; %bb.105:
	v_mov_b32_e32 v5, 0
	ds_read_b64 v[2:3], v5 offset:8
	s_add_u32 s4, s16, 0x400
	s_addc_u32 s5, s17, 0
	v_mov_b32_e32 v4, 2
	v_pk_mov_b32 v[6:7], s[4:5], s[4:5] op_sel:[0,1]
	s_waitcnt lgkmcnt(0)
	v_cmp_gt_f64_e32 vcc, v[2:3], v[42:43]
	v_cndmask_b32_e32 v3, v43, v3, vcc
	v_cndmask_b32_e32 v2, v42, v2, vcc
	;;#ASMSTART
	global_store_dwordx4 v[6:7], v[2:5] off	
s_waitcnt vmcnt(0)
	;;#ASMEND
.LBB1909_106:
	s_or_b64 exec, exec, s[0:1]
.LBB1909_107:
	s_waitcnt lgkmcnt(0)
	s_add_u32 s0, s12, s10
	s_addc_u32 s1, s13, s11
	s_add_u32 s4, s0, s14
	s_addc_u32 s5, s1, s15
	s_mov_b64 s[0:1], -1
	s_and_b64 vcc, exec, s[8:9]
	s_barrier
	s_cbranch_vccz .LBB1909_109
; %bb.108:
	ds_write_b128 v46, v[22:25]
	ds_write_b128 v46, v[26:29] offset:16
	ds_write_b128 v46, v[30:33] offset:32
	;; [unrolled: 1-line block ×4, first 2 shown]
	s_waitcnt lgkmcnt(0)
	s_barrier
	ds_read2st64_b64 v[2:5], v44 offset1:2
	ds_read2st64_b64 v[6:9], v44 offset0:4 offset1:6
	ds_read2st64_b64 v[10:13], v44 offset0:8 offset1:10
	;; [unrolled: 1-line block ×4, first 2 shown]
	v_mov_b32_e32 v1, s5
	v_add_co_u32_e32 v42, vcc, s4, v44
	v_addc_co_u32_e32 v43, vcc, 0, v1, vcc
	s_movk_i32 s0, 0x1000
	s_waitcnt lgkmcnt(4)
	flat_store_dwordx2 v[42:43], v[2:3]
	flat_store_dwordx2 v[42:43], v[4:5] offset:1024
	s_waitcnt lgkmcnt(0)
	flat_store_dwordx2 v[42:43], v[6:7] offset:2048
	flat_store_dwordx2 v[42:43], v[8:9] offset:3072
	v_add_co_u32_e32 v2, vcc, s0, v42
	v_addc_co_u32_e32 v3, vcc, 0, v43, vcc
	flat_store_dwordx2 v[2:3], v[10:11]
	flat_store_dwordx2 v[2:3], v[12:13] offset:1024
	flat_store_dwordx2 v[2:3], v[14:15] offset:2048
	;; [unrolled: 1-line block ×3, first 2 shown]
	v_add_co_u32_e32 v2, vcc, 0x2000, v42
	v_addc_co_u32_e32 v3, vcc, 0, v43, vcc
	flat_store_dwordx2 v[2:3], v[18:19]
	flat_store_dwordx2 v[2:3], v[20:21] offset:1024
	s_mov_b64 s[0:1], 0
.LBB1909_109:
	s_andn2_b64 vcc, exec, s[0:1]
	s_cbranch_vccnz .LBB1909_165
; %bb.110:
	s_movk_i32 s0, 0xffb8
	v_mad_i32_i24 v18, v0, s0, v46
	ds_write_b128 v46, v[22:25]
	ds_write_b128 v46, v[26:29] offset:16
	ds_write_b128 v46, v[30:33] offset:32
	;; [unrolled: 1-line block ×4, first 2 shown]
	s_waitcnt lgkmcnt(0)
	s_barrier
	ds_read2st64_b64 v[2:5], v18 offset1:2
	ds_read2st64_b64 v[10:13], v18 offset0:4 offset1:6
	ds_read2st64_b64 v[6:9], v18 offset0:8 offset1:10
	ds_read2st64_b64 v[14:17], v18 offset0:12 offset1:14
	ds_read2st64_b64 v[18:21], v18 offset0:16 offset1:18
	v_mov_b32_e32 v23, s5
	v_add_co_u32_e32 v22, vcc, s4, v44
	v_addc_co_u32_e32 v23, vcc, 0, v23, vcc
	v_mov_b32_e32 v1, 0
	v_cmp_gt_u32_e32 vcc, s24, v0
	s_and_saveexec_b64 s[0:1], vcc
	s_cbranch_execz .LBB1909_112
; %bb.111:
	s_waitcnt lgkmcnt(0)
	flat_store_dwordx2 v[22:23], v[2:3]
.LBB1909_112:
	s_or_b64 exec, exec, s[0:1]
	v_or_b32_e32 v24, 0x80, v0
	v_cmp_gt_u32_e32 vcc, s24, v24
	s_and_saveexec_b64 s[0:1], vcc
	s_cbranch_execz .LBB1909_114
; %bb.113:
	s_waitcnt lgkmcnt(0)
	flat_store_dwordx2 v[22:23], v[4:5] offset:1024
.LBB1909_114:
	s_or_b64 exec, exec, s[0:1]
	v_or_b32_e32 v24, 0x100, v0
	v_cmp_gt_u32_e32 vcc, s24, v24
	s_and_saveexec_b64 s[0:1], vcc
	s_cbranch_execz .LBB1909_116
; %bb.115:
	s_waitcnt lgkmcnt(0)
	flat_store_dwordx2 v[22:23], v[10:11] offset:2048
.LBB1909_116:
	s_or_b64 exec, exec, s[0:1]
	v_or_b32_e32 v24, 0x180, v0
	v_cmp_gt_u32_e32 vcc, s24, v24
	s_and_saveexec_b64 s[0:1], vcc
	s_cbranch_execz .LBB1909_118
; %bb.117:
	s_waitcnt lgkmcnt(0)
	flat_store_dwordx2 v[22:23], v[12:13] offset:3072
.LBB1909_118:
	s_or_b64 exec, exec, s[0:1]
	v_or_b32_e32 v24, 0x200, v0
	v_cmp_gt_u32_e32 vcc, s24, v24
	s_and_saveexec_b64 s[0:1], vcc
	s_cbranch_execz .LBB1909_120
; %bb.119:
	v_add_co_u32_e32 v24, vcc, 0x1000, v22
	v_addc_co_u32_e32 v25, vcc, 0, v23, vcc
	s_waitcnt lgkmcnt(0)
	flat_store_dwordx2 v[24:25], v[6:7]
.LBB1909_120:
	s_or_b64 exec, exec, s[0:1]
	v_or_b32_e32 v24, 0x280, v0
	v_cmp_gt_u32_e32 vcc, s24, v24
	s_and_saveexec_b64 s[0:1], vcc
	s_cbranch_execz .LBB1909_122
; %bb.121:
	v_add_co_u32_e32 v24, vcc, 0x1000, v22
	v_addc_co_u32_e32 v25, vcc, 0, v23, vcc
	s_waitcnt lgkmcnt(0)
	flat_store_dwordx2 v[24:25], v[8:9] offset:1024
.LBB1909_122:
	s_or_b64 exec, exec, s[0:1]
	v_or_b32_e32 v24, 0x300, v0
	v_cmp_gt_u32_e32 vcc, s24, v24
	s_and_saveexec_b64 s[0:1], vcc
	s_cbranch_execz .LBB1909_124
; %bb.123:
	v_add_co_u32_e32 v24, vcc, 0x1000, v22
	v_addc_co_u32_e32 v25, vcc, 0, v23, vcc
	s_waitcnt lgkmcnt(0)
	flat_store_dwordx2 v[24:25], v[14:15] offset:2048
.LBB1909_124:
	;; [unrolled: 11-line block ×3, first 2 shown]
	s_or_b64 exec, exec, s[0:1]
	v_or_b32_e32 v24, 0x400, v0
	v_cmp_gt_u32_e32 vcc, s24, v24
	s_and_saveexec_b64 s[0:1], vcc
	s_cbranch_execz .LBB1909_128
; %bb.127:
	v_add_co_u32_e32 v24, vcc, 0x2000, v22
	v_addc_co_u32_e32 v25, vcc, 0, v23, vcc
	s_waitcnt lgkmcnt(0)
	flat_store_dwordx2 v[24:25], v[18:19]
.LBB1909_128:
	s_or_b64 exec, exec, s[0:1]
	v_or_b32_e32 v24, 0x480, v0
	v_cmp_gt_u32_e32 vcc, s24, v24
	s_and_saveexec_b64 s[0:1], vcc
	s_cbranch_execz .LBB1909_130
; %bb.129:
	v_add_co_u32_e32 v22, vcc, 0x2000, v22
	v_addc_co_u32_e32 v23, vcc, 0, v23, vcc
	s_waitcnt lgkmcnt(0)
	flat_store_dwordx2 v[22:23], v[20:21] offset:1024
.LBB1909_130:
	s_or_b64 exec, exec, s[0:1]
	v_cmp_lt_u64_e64 s[0:1], s[6:7], 2
	s_and_b64 vcc, exec, s[0:1]
	s_cbranch_vccnz .LBB1909_165
; %bb.131:
	s_add_u32 s0, s24, -1
	s_addc_u32 s1, s25, -1
	s_add_u32 s4, 0, 0x99986000
	s_addc_u32 s5, 0, 0x59
	s_add_i32 s5, s5, 0x19999940
	s_mul_hi_u32 s9, s4, -10
	s_sub_i32 s9, s9, s4
	s_mul_i32 s10, s5, -10
	s_mul_i32 s6, s4, -10
	s_add_i32 s9, s9, s10
	s_mul_hi_u32 s7, s5, s6
	s_mul_i32 s8, s5, s6
	s_mul_i32 s11, s4, s9
	s_mul_hi_u32 s6, s4, s6
	s_mul_hi_u32 s10, s4, s9
	s_add_u32 s6, s6, s11
	s_addc_u32 s10, 0, s10
	s_add_u32 s6, s6, s8
	s_mul_hi_u32 s11, s5, s9
	s_addc_u32 s6, s10, s7
	s_addc_u32 s7, s11, 0
	s_mul_i32 s8, s5, s9
	s_add_u32 s6, s6, s8
	v_mov_b32_e32 v22, s6
	s_addc_u32 s7, 0, s7
	v_add_co_u32_e32 v22, vcc, s4, v22
	s_cmp_lg_u64 vcc, 0
	s_addc_u32 s4, s5, s7
	v_readfirstlane_b32 s7, v22
	s_mul_i32 s6, s0, s4
	s_mul_hi_u32 s8, s0, s7
	s_mul_hi_u32 s5, s0, s4
	s_add_u32 s6, s8, s6
	s_addc_u32 s5, 0, s5
	s_mul_hi_u32 s9, s1, s7
	s_mul_i32 s7, s1, s7
	s_add_u32 s6, s6, s7
	s_mul_hi_u32 s8, s1, s4
	s_addc_u32 s5, s5, s9
	s_addc_u32 s6, s8, 0
	s_mul_i32 s4, s1, s4
	s_add_u32 s4, s5, s4
	s_addc_u32 s5, 0, s6
	s_add_u32 s6, s4, 1
	s_addc_u32 s7, s5, 0
	s_add_u32 s8, s4, 2
	s_mul_i32 s10, s5, 10
	s_mul_hi_u32 s11, s4, 10
	s_addc_u32 s9, s5, 0
	s_add_i32 s11, s11, s10
	s_mul_i32 s10, s4, 10
	v_mov_b32_e32 v22, s10
	v_sub_co_u32_e32 v22, vcc, s0, v22
	s_cmp_lg_u64 vcc, 0
	s_subb_u32 s10, s1, s11
	v_subrev_co_u32_e32 v23, vcc, 10, v22
	s_cmp_lg_u64 vcc, 0
	s_subb_u32 s11, s10, 0
	v_readfirstlane_b32 s12, v23
	s_cmp_gt_u32 s12, 9
	s_cselect_b32 s12, -1, 0
	s_cmp_eq_u32 s11, 0
	s_cselect_b32 s11, s12, -1
	s_cmp_lg_u32 s11, 0
	s_cselect_b32 s6, s8, s6
	v_readfirstlane_b32 s8, v22
	s_cselect_b32 s7, s9, s7
	s_cmp_gt_u32 s8, 9
	s_cselect_b32 s8, -1, 0
	s_cmp_eq_u32 s10, 0
	s_cselect_b32 s8, s8, -1
	s_cmp_lg_u32 s8, 0
	s_cselect_b32 s5, s7, s5
	s_cselect_b32 s4, s6, s4
	v_cmp_eq_u64_e32 vcc, s[4:5], v[0:1]
	s_and_saveexec_b64 s[4:5], vcc
	s_cbranch_execz .LBB1909_165
; %bb.132:
	v_mul_hi_u32_u24_e32 v1, 10, v0
	v_mov_b32_e32 v22, s1
	v_sub_co_u32_e32 v0, vcc, s0, v45
	v_subb_co_u32_e32 v1, vcc, v22, v1, vcc
	v_cmp_lt_i64_e32 vcc, 4, v[0:1]
	s_and_saveexec_b64 s[0:1], vcc
	s_xor_b64 s[0:1], exec, s[0:1]
	s_cbranch_execz .LBB1909_150
; %bb.133:
	v_cmp_lt_i64_e32 vcc, 6, v[0:1]
	s_and_saveexec_b64 s[4:5], vcc
	s_xor_b64 s[4:5], exec, s[4:5]
	s_cbranch_execz .LBB1909_143
; %bb.134:
	;; [unrolled: 5-line block ×4, first 2 shown]
	v_mov_b32_e32 v0, 0
	s_waitcnt lgkmcnt(0)
	global_store_dwordx2 v0, v[20:21], s[2:3]
                                        ; implicit-def: $vgpr18_vgpr19_vgpr20_vgpr21
.LBB1909_137:
	s_andn2_saveexec_b64 s[8:9], s[8:9]
	s_cbranch_execz .LBB1909_139
; %bb.138:
	v_mov_b32_e32 v0, 0
	s_waitcnt lgkmcnt(0)
	global_store_dwordx2 v0, v[18:19], s[2:3]
.LBB1909_139:
	s_or_b64 exec, exec, s[8:9]
                                        ; implicit-def: $vgpr14_vgpr15_vgpr16_vgpr17
.LBB1909_140:
	s_andn2_saveexec_b64 s[6:7], s[6:7]
	s_cbranch_execz .LBB1909_142
; %bb.141:
	v_mov_b32_e32 v0, 0
	s_waitcnt lgkmcnt(0)
	global_store_dwordx2 v0, v[16:17], s[2:3]
.LBB1909_142:
	s_or_b64 exec, exec, s[6:7]
                                        ; implicit-def: $vgpr6_vgpr7_vgpr8_vgpr9
                                        ; implicit-def: $vgpr0_vgpr1
                                        ; implicit-def: $vgpr14_vgpr15_vgpr16_vgpr17
.LBB1909_143:
	s_andn2_saveexec_b64 s[4:5], s[4:5]
	s_cbranch_execz .LBB1909_149
; %bb.144:
	v_cmp_lt_i64_e32 vcc, 5, v[0:1]
	s_and_saveexec_b64 s[6:7], vcc
	s_xor_b64 s[6:7], exec, s[6:7]
	s_cbranch_execz .LBB1909_146
; %bb.145:
	v_mov_b32_e32 v0, 0
	s_waitcnt lgkmcnt(0)
	global_store_dwordx2 v0, v[14:15], s[2:3]
                                        ; implicit-def: $vgpr6_vgpr7_vgpr8_vgpr9
.LBB1909_146:
	s_andn2_saveexec_b64 s[6:7], s[6:7]
	s_cbranch_execz .LBB1909_148
; %bb.147:
	v_mov_b32_e32 v0, 0
	s_waitcnt lgkmcnt(0)
	global_store_dwordx2 v0, v[8:9], s[2:3]
.LBB1909_148:
	s_or_b64 exec, exec, s[6:7]
.LBB1909_149:
	s_or_b64 exec, exec, s[4:5]
                                        ; implicit-def: $vgpr0_vgpr1
                                        ; implicit-def: $vgpr10_vgpr11_vgpr12_vgpr13
                                        ; implicit-def: $vgpr2_vgpr3_vgpr4_vgpr5
                                        ; implicit-def: $vgpr6_vgpr7_vgpr8_vgpr9
.LBB1909_150:
	s_andn2_saveexec_b64 s[0:1], s[0:1]
	s_cbranch_execz .LBB1909_165
; %bb.151:
	v_cmp_lt_i64_e32 vcc, 2, v[0:1]
	s_and_saveexec_b64 s[0:1], vcc
	s_xor_b64 s[0:1], exec, s[0:1]
	s_cbranch_execz .LBB1909_157
; %bb.152:
	v_cmp_lt_i64_e32 vcc, 3, v[0:1]
	s_and_saveexec_b64 s[4:5], vcc
	s_xor_b64 s[4:5], exec, s[4:5]
	s_cbranch_execz .LBB1909_154
; %bb.153:
	v_mov_b32_e32 v0, 0
	s_waitcnt lgkmcnt(0)
	global_store_dwordx2 v0, v[6:7], s[2:3]
                                        ; implicit-def: $vgpr10_vgpr11_vgpr12_vgpr13
.LBB1909_154:
	s_andn2_saveexec_b64 s[4:5], s[4:5]
	s_cbranch_execz .LBB1909_156
; %bb.155:
	v_mov_b32_e32 v0, 0
	s_waitcnt lgkmcnt(0)
	global_store_dwordx2 v0, v[12:13], s[2:3]
.LBB1909_156:
	s_or_b64 exec, exec, s[4:5]
                                        ; implicit-def: $vgpr0_vgpr1
                                        ; implicit-def: $vgpr10_vgpr11_vgpr12_vgpr13
                                        ; implicit-def: $vgpr2_vgpr3_vgpr4_vgpr5
.LBB1909_157:
	s_andn2_saveexec_b64 s[0:1], s[0:1]
	s_cbranch_execz .LBB1909_165
; %bb.158:
	v_cmp_lt_i64_e32 vcc, 1, v[0:1]
	s_and_saveexec_b64 s[0:1], vcc
	s_xor_b64 s[0:1], exec, s[0:1]
	s_cbranch_execz .LBB1909_160
; %bb.159:
	v_mov_b32_e32 v0, 0
	s_waitcnt lgkmcnt(0)
	global_store_dwordx2 v0, v[10:11], s[2:3]
                                        ; implicit-def: $vgpr2_vgpr3_vgpr4_vgpr5
                                        ; implicit-def: $vgpr0_vgpr1
.LBB1909_160:
	s_andn2_saveexec_b64 s[0:1], s[0:1]
	s_cbranch_execz .LBB1909_165
; %bb.161:
	v_cmp_ne_u64_e32 vcc, 1, v[0:1]
	s_and_saveexec_b64 s[0:1], vcc
	s_xor_b64 s[0:1], exec, s[0:1]
	s_cbranch_execz .LBB1909_163
; %bb.162:
	v_mov_b32_e32 v0, 0
	s_waitcnt lgkmcnt(0)
	global_store_dwordx2 v0, v[2:3], s[2:3]
                                        ; implicit-def: $vgpr2_vgpr3_vgpr4_vgpr5
.LBB1909_163:
	s_andn2_saveexec_b64 s[0:1], s[0:1]
	s_cbranch_execz .LBB1909_165
; %bb.164:
	v_mov_b32_e32 v0, 0
	s_waitcnt lgkmcnt(0)
	global_store_dwordx2 v0, v[4:5], s[2:3]
.LBB1909_165:
	s_endpgm
	.section	.rodata,"a",@progbits
	.p2align	6, 0x0
	.amdhsa_kernel _ZN7rocprim17ROCPRIM_400000_NS6detail17trampoline_kernelINS0_14default_configENS1_20scan_config_selectorIdEEZZNS1_9scan_implILNS1_25lookback_scan_determinismE0ELb1ELb1ES3_N6thrust23THRUST_200600_302600_NS6detail15normal_iteratorINS9_10device_ptrIdEEEESE_d11max_functorIdEdEEDaPvRmT3_T4_T5_mT6_P12ihipStream_tbENKUlT_T0_E_clISt17integral_constantIbLb1EEST_IbLb0EEEEDaSP_SQ_EUlSP_E_NS1_11comp_targetILNS1_3genE4ELNS1_11target_archE910ELNS1_3gpuE8ELNS1_3repE0EEENS1_30default_config_static_selectorELNS0_4arch9wavefront6targetE1EEEvT1_
		.amdhsa_group_segment_fixed_size 10240
		.amdhsa_private_segment_fixed_size 0
		.amdhsa_kernarg_size 104
		.amdhsa_user_sgpr_count 6
		.amdhsa_user_sgpr_private_segment_buffer 1
		.amdhsa_user_sgpr_dispatch_ptr 0
		.amdhsa_user_sgpr_queue_ptr 0
		.amdhsa_user_sgpr_kernarg_segment_ptr 1
		.amdhsa_user_sgpr_dispatch_id 0
		.amdhsa_user_sgpr_flat_scratch_init 0
		.amdhsa_user_sgpr_kernarg_preload_length 0
		.amdhsa_user_sgpr_kernarg_preload_offset 0
		.amdhsa_user_sgpr_private_segment_size 0
		.amdhsa_uses_dynamic_stack 0
		.amdhsa_system_sgpr_private_segment_wavefront_offset 0
		.amdhsa_system_sgpr_workgroup_id_x 1
		.amdhsa_system_sgpr_workgroup_id_y 0
		.amdhsa_system_sgpr_workgroup_id_z 0
		.amdhsa_system_sgpr_workgroup_info 0
		.amdhsa_system_vgpr_workitem_id 0
		.amdhsa_next_free_vgpr 58
		.amdhsa_next_free_sgpr 30
		.amdhsa_accum_offset 60
		.amdhsa_reserve_vcc 1
		.amdhsa_reserve_flat_scratch 0
		.amdhsa_float_round_mode_32 0
		.amdhsa_float_round_mode_16_64 0
		.amdhsa_float_denorm_mode_32 3
		.amdhsa_float_denorm_mode_16_64 3
		.amdhsa_dx10_clamp 1
		.amdhsa_ieee_mode 1
		.amdhsa_fp16_overflow 0
		.amdhsa_tg_split 0
		.amdhsa_exception_fp_ieee_invalid_op 0
		.amdhsa_exception_fp_denorm_src 0
		.amdhsa_exception_fp_ieee_div_zero 0
		.amdhsa_exception_fp_ieee_overflow 0
		.amdhsa_exception_fp_ieee_underflow 0
		.amdhsa_exception_fp_ieee_inexact 0
		.amdhsa_exception_int_div_zero 0
	.end_amdhsa_kernel
	.section	.text._ZN7rocprim17ROCPRIM_400000_NS6detail17trampoline_kernelINS0_14default_configENS1_20scan_config_selectorIdEEZZNS1_9scan_implILNS1_25lookback_scan_determinismE0ELb1ELb1ES3_N6thrust23THRUST_200600_302600_NS6detail15normal_iteratorINS9_10device_ptrIdEEEESE_d11max_functorIdEdEEDaPvRmT3_T4_T5_mT6_P12ihipStream_tbENKUlT_T0_E_clISt17integral_constantIbLb1EEST_IbLb0EEEEDaSP_SQ_EUlSP_E_NS1_11comp_targetILNS1_3genE4ELNS1_11target_archE910ELNS1_3gpuE8ELNS1_3repE0EEENS1_30default_config_static_selectorELNS0_4arch9wavefront6targetE1EEEvT1_,"axG",@progbits,_ZN7rocprim17ROCPRIM_400000_NS6detail17trampoline_kernelINS0_14default_configENS1_20scan_config_selectorIdEEZZNS1_9scan_implILNS1_25lookback_scan_determinismE0ELb1ELb1ES3_N6thrust23THRUST_200600_302600_NS6detail15normal_iteratorINS9_10device_ptrIdEEEESE_d11max_functorIdEdEEDaPvRmT3_T4_T5_mT6_P12ihipStream_tbENKUlT_T0_E_clISt17integral_constantIbLb1EEST_IbLb0EEEEDaSP_SQ_EUlSP_E_NS1_11comp_targetILNS1_3genE4ELNS1_11target_archE910ELNS1_3gpuE8ELNS1_3repE0EEENS1_30default_config_static_selectorELNS0_4arch9wavefront6targetE1EEEvT1_,comdat
.Lfunc_end1909:
	.size	_ZN7rocprim17ROCPRIM_400000_NS6detail17trampoline_kernelINS0_14default_configENS1_20scan_config_selectorIdEEZZNS1_9scan_implILNS1_25lookback_scan_determinismE0ELb1ELb1ES3_N6thrust23THRUST_200600_302600_NS6detail15normal_iteratorINS9_10device_ptrIdEEEESE_d11max_functorIdEdEEDaPvRmT3_T4_T5_mT6_P12ihipStream_tbENKUlT_T0_E_clISt17integral_constantIbLb1EEST_IbLb0EEEEDaSP_SQ_EUlSP_E_NS1_11comp_targetILNS1_3genE4ELNS1_11target_archE910ELNS1_3gpuE8ELNS1_3repE0EEENS1_30default_config_static_selectorELNS0_4arch9wavefront6targetE1EEEvT1_, .Lfunc_end1909-_ZN7rocprim17ROCPRIM_400000_NS6detail17trampoline_kernelINS0_14default_configENS1_20scan_config_selectorIdEEZZNS1_9scan_implILNS1_25lookback_scan_determinismE0ELb1ELb1ES3_N6thrust23THRUST_200600_302600_NS6detail15normal_iteratorINS9_10device_ptrIdEEEESE_d11max_functorIdEdEEDaPvRmT3_T4_T5_mT6_P12ihipStream_tbENKUlT_T0_E_clISt17integral_constantIbLb1EEST_IbLb0EEEEDaSP_SQ_EUlSP_E_NS1_11comp_targetILNS1_3genE4ELNS1_11target_archE910ELNS1_3gpuE8ELNS1_3repE0EEENS1_30default_config_static_selectorELNS0_4arch9wavefront6targetE1EEEvT1_
                                        ; -- End function
	.section	.AMDGPU.csdata,"",@progbits
; Kernel info:
; codeLenInByte = 6320
; NumSgprs: 34
; NumVgprs: 58
; NumAgprs: 0
; TotalNumVgprs: 58
; ScratchSize: 0
; MemoryBound: 0
; FloatMode: 240
; IeeeMode: 1
; LDSByteSize: 10240 bytes/workgroup (compile time only)
; SGPRBlocks: 4
; VGPRBlocks: 7
; NumSGPRsForWavesPerEU: 34
; NumVGPRsForWavesPerEU: 58
; AccumOffset: 60
; Occupancy: 3
; WaveLimiterHint : 1
; COMPUTE_PGM_RSRC2:SCRATCH_EN: 0
; COMPUTE_PGM_RSRC2:USER_SGPR: 6
; COMPUTE_PGM_RSRC2:TRAP_HANDLER: 0
; COMPUTE_PGM_RSRC2:TGID_X_EN: 1
; COMPUTE_PGM_RSRC2:TGID_Y_EN: 0
; COMPUTE_PGM_RSRC2:TGID_Z_EN: 0
; COMPUTE_PGM_RSRC2:TIDIG_COMP_CNT: 0
; COMPUTE_PGM_RSRC3_GFX90A:ACCUM_OFFSET: 14
; COMPUTE_PGM_RSRC3_GFX90A:TG_SPLIT: 0
	.section	.text._ZN7rocprim17ROCPRIM_400000_NS6detail17trampoline_kernelINS0_14default_configENS1_20scan_config_selectorIdEEZZNS1_9scan_implILNS1_25lookback_scan_determinismE0ELb1ELb1ES3_N6thrust23THRUST_200600_302600_NS6detail15normal_iteratorINS9_10device_ptrIdEEEESE_d11max_functorIdEdEEDaPvRmT3_T4_T5_mT6_P12ihipStream_tbENKUlT_T0_E_clISt17integral_constantIbLb1EEST_IbLb0EEEEDaSP_SQ_EUlSP_E_NS1_11comp_targetILNS1_3genE3ELNS1_11target_archE908ELNS1_3gpuE7ELNS1_3repE0EEENS1_30default_config_static_selectorELNS0_4arch9wavefront6targetE1EEEvT1_,"axG",@progbits,_ZN7rocprim17ROCPRIM_400000_NS6detail17trampoline_kernelINS0_14default_configENS1_20scan_config_selectorIdEEZZNS1_9scan_implILNS1_25lookback_scan_determinismE0ELb1ELb1ES3_N6thrust23THRUST_200600_302600_NS6detail15normal_iteratorINS9_10device_ptrIdEEEESE_d11max_functorIdEdEEDaPvRmT3_T4_T5_mT6_P12ihipStream_tbENKUlT_T0_E_clISt17integral_constantIbLb1EEST_IbLb0EEEEDaSP_SQ_EUlSP_E_NS1_11comp_targetILNS1_3genE3ELNS1_11target_archE908ELNS1_3gpuE7ELNS1_3repE0EEENS1_30default_config_static_selectorELNS0_4arch9wavefront6targetE1EEEvT1_,comdat
	.protected	_ZN7rocprim17ROCPRIM_400000_NS6detail17trampoline_kernelINS0_14default_configENS1_20scan_config_selectorIdEEZZNS1_9scan_implILNS1_25lookback_scan_determinismE0ELb1ELb1ES3_N6thrust23THRUST_200600_302600_NS6detail15normal_iteratorINS9_10device_ptrIdEEEESE_d11max_functorIdEdEEDaPvRmT3_T4_T5_mT6_P12ihipStream_tbENKUlT_T0_E_clISt17integral_constantIbLb1EEST_IbLb0EEEEDaSP_SQ_EUlSP_E_NS1_11comp_targetILNS1_3genE3ELNS1_11target_archE908ELNS1_3gpuE7ELNS1_3repE0EEENS1_30default_config_static_selectorELNS0_4arch9wavefront6targetE1EEEvT1_ ; -- Begin function _ZN7rocprim17ROCPRIM_400000_NS6detail17trampoline_kernelINS0_14default_configENS1_20scan_config_selectorIdEEZZNS1_9scan_implILNS1_25lookback_scan_determinismE0ELb1ELb1ES3_N6thrust23THRUST_200600_302600_NS6detail15normal_iteratorINS9_10device_ptrIdEEEESE_d11max_functorIdEdEEDaPvRmT3_T4_T5_mT6_P12ihipStream_tbENKUlT_T0_E_clISt17integral_constantIbLb1EEST_IbLb0EEEEDaSP_SQ_EUlSP_E_NS1_11comp_targetILNS1_3genE3ELNS1_11target_archE908ELNS1_3gpuE7ELNS1_3repE0EEENS1_30default_config_static_selectorELNS0_4arch9wavefront6targetE1EEEvT1_
	.globl	_ZN7rocprim17ROCPRIM_400000_NS6detail17trampoline_kernelINS0_14default_configENS1_20scan_config_selectorIdEEZZNS1_9scan_implILNS1_25lookback_scan_determinismE0ELb1ELb1ES3_N6thrust23THRUST_200600_302600_NS6detail15normal_iteratorINS9_10device_ptrIdEEEESE_d11max_functorIdEdEEDaPvRmT3_T4_T5_mT6_P12ihipStream_tbENKUlT_T0_E_clISt17integral_constantIbLb1EEST_IbLb0EEEEDaSP_SQ_EUlSP_E_NS1_11comp_targetILNS1_3genE3ELNS1_11target_archE908ELNS1_3gpuE7ELNS1_3repE0EEENS1_30default_config_static_selectorELNS0_4arch9wavefront6targetE1EEEvT1_
	.p2align	8
	.type	_ZN7rocprim17ROCPRIM_400000_NS6detail17trampoline_kernelINS0_14default_configENS1_20scan_config_selectorIdEEZZNS1_9scan_implILNS1_25lookback_scan_determinismE0ELb1ELb1ES3_N6thrust23THRUST_200600_302600_NS6detail15normal_iteratorINS9_10device_ptrIdEEEESE_d11max_functorIdEdEEDaPvRmT3_T4_T5_mT6_P12ihipStream_tbENKUlT_T0_E_clISt17integral_constantIbLb1EEST_IbLb0EEEEDaSP_SQ_EUlSP_E_NS1_11comp_targetILNS1_3genE3ELNS1_11target_archE908ELNS1_3gpuE7ELNS1_3repE0EEENS1_30default_config_static_selectorELNS0_4arch9wavefront6targetE1EEEvT1_,@function
_ZN7rocprim17ROCPRIM_400000_NS6detail17trampoline_kernelINS0_14default_configENS1_20scan_config_selectorIdEEZZNS1_9scan_implILNS1_25lookback_scan_determinismE0ELb1ELb1ES3_N6thrust23THRUST_200600_302600_NS6detail15normal_iteratorINS9_10device_ptrIdEEEESE_d11max_functorIdEdEEDaPvRmT3_T4_T5_mT6_P12ihipStream_tbENKUlT_T0_E_clISt17integral_constantIbLb1EEST_IbLb0EEEEDaSP_SQ_EUlSP_E_NS1_11comp_targetILNS1_3genE3ELNS1_11target_archE908ELNS1_3gpuE7ELNS1_3repE0EEENS1_30default_config_static_selectorELNS0_4arch9wavefront6targetE1EEEvT1_: ; @_ZN7rocprim17ROCPRIM_400000_NS6detail17trampoline_kernelINS0_14default_configENS1_20scan_config_selectorIdEEZZNS1_9scan_implILNS1_25lookback_scan_determinismE0ELb1ELb1ES3_N6thrust23THRUST_200600_302600_NS6detail15normal_iteratorINS9_10device_ptrIdEEEESE_d11max_functorIdEdEEDaPvRmT3_T4_T5_mT6_P12ihipStream_tbENKUlT_T0_E_clISt17integral_constantIbLb1EEST_IbLb0EEEEDaSP_SQ_EUlSP_E_NS1_11comp_targetILNS1_3genE3ELNS1_11target_archE908ELNS1_3gpuE7ELNS1_3repE0EEENS1_30default_config_static_selectorELNS0_4arch9wavefront6targetE1EEEvT1_
; %bb.0:
	.section	.rodata,"a",@progbits
	.p2align	6, 0x0
	.amdhsa_kernel _ZN7rocprim17ROCPRIM_400000_NS6detail17trampoline_kernelINS0_14default_configENS1_20scan_config_selectorIdEEZZNS1_9scan_implILNS1_25lookback_scan_determinismE0ELb1ELb1ES3_N6thrust23THRUST_200600_302600_NS6detail15normal_iteratorINS9_10device_ptrIdEEEESE_d11max_functorIdEdEEDaPvRmT3_T4_T5_mT6_P12ihipStream_tbENKUlT_T0_E_clISt17integral_constantIbLb1EEST_IbLb0EEEEDaSP_SQ_EUlSP_E_NS1_11comp_targetILNS1_3genE3ELNS1_11target_archE908ELNS1_3gpuE7ELNS1_3repE0EEENS1_30default_config_static_selectorELNS0_4arch9wavefront6targetE1EEEvT1_
		.amdhsa_group_segment_fixed_size 0
		.amdhsa_private_segment_fixed_size 0
		.amdhsa_kernarg_size 104
		.amdhsa_user_sgpr_count 6
		.amdhsa_user_sgpr_private_segment_buffer 1
		.amdhsa_user_sgpr_dispatch_ptr 0
		.amdhsa_user_sgpr_queue_ptr 0
		.amdhsa_user_sgpr_kernarg_segment_ptr 1
		.amdhsa_user_sgpr_dispatch_id 0
		.amdhsa_user_sgpr_flat_scratch_init 0
		.amdhsa_user_sgpr_kernarg_preload_length 0
		.amdhsa_user_sgpr_kernarg_preload_offset 0
		.amdhsa_user_sgpr_private_segment_size 0
		.amdhsa_uses_dynamic_stack 0
		.amdhsa_system_sgpr_private_segment_wavefront_offset 0
		.amdhsa_system_sgpr_workgroup_id_x 1
		.amdhsa_system_sgpr_workgroup_id_y 0
		.amdhsa_system_sgpr_workgroup_id_z 0
		.amdhsa_system_sgpr_workgroup_info 0
		.amdhsa_system_vgpr_workitem_id 0
		.amdhsa_next_free_vgpr 1
		.amdhsa_next_free_sgpr 0
		.amdhsa_accum_offset 4
		.amdhsa_reserve_vcc 0
		.amdhsa_reserve_flat_scratch 0
		.amdhsa_float_round_mode_32 0
		.amdhsa_float_round_mode_16_64 0
		.amdhsa_float_denorm_mode_32 3
		.amdhsa_float_denorm_mode_16_64 3
		.amdhsa_dx10_clamp 1
		.amdhsa_ieee_mode 1
		.amdhsa_fp16_overflow 0
		.amdhsa_tg_split 0
		.amdhsa_exception_fp_ieee_invalid_op 0
		.amdhsa_exception_fp_denorm_src 0
		.amdhsa_exception_fp_ieee_div_zero 0
		.amdhsa_exception_fp_ieee_overflow 0
		.amdhsa_exception_fp_ieee_underflow 0
		.amdhsa_exception_fp_ieee_inexact 0
		.amdhsa_exception_int_div_zero 0
	.end_amdhsa_kernel
	.section	.text._ZN7rocprim17ROCPRIM_400000_NS6detail17trampoline_kernelINS0_14default_configENS1_20scan_config_selectorIdEEZZNS1_9scan_implILNS1_25lookback_scan_determinismE0ELb1ELb1ES3_N6thrust23THRUST_200600_302600_NS6detail15normal_iteratorINS9_10device_ptrIdEEEESE_d11max_functorIdEdEEDaPvRmT3_T4_T5_mT6_P12ihipStream_tbENKUlT_T0_E_clISt17integral_constantIbLb1EEST_IbLb0EEEEDaSP_SQ_EUlSP_E_NS1_11comp_targetILNS1_3genE3ELNS1_11target_archE908ELNS1_3gpuE7ELNS1_3repE0EEENS1_30default_config_static_selectorELNS0_4arch9wavefront6targetE1EEEvT1_,"axG",@progbits,_ZN7rocprim17ROCPRIM_400000_NS6detail17trampoline_kernelINS0_14default_configENS1_20scan_config_selectorIdEEZZNS1_9scan_implILNS1_25lookback_scan_determinismE0ELb1ELb1ES3_N6thrust23THRUST_200600_302600_NS6detail15normal_iteratorINS9_10device_ptrIdEEEESE_d11max_functorIdEdEEDaPvRmT3_T4_T5_mT6_P12ihipStream_tbENKUlT_T0_E_clISt17integral_constantIbLb1EEST_IbLb0EEEEDaSP_SQ_EUlSP_E_NS1_11comp_targetILNS1_3genE3ELNS1_11target_archE908ELNS1_3gpuE7ELNS1_3repE0EEENS1_30default_config_static_selectorELNS0_4arch9wavefront6targetE1EEEvT1_,comdat
.Lfunc_end1910:
	.size	_ZN7rocprim17ROCPRIM_400000_NS6detail17trampoline_kernelINS0_14default_configENS1_20scan_config_selectorIdEEZZNS1_9scan_implILNS1_25lookback_scan_determinismE0ELb1ELb1ES3_N6thrust23THRUST_200600_302600_NS6detail15normal_iteratorINS9_10device_ptrIdEEEESE_d11max_functorIdEdEEDaPvRmT3_T4_T5_mT6_P12ihipStream_tbENKUlT_T0_E_clISt17integral_constantIbLb1EEST_IbLb0EEEEDaSP_SQ_EUlSP_E_NS1_11comp_targetILNS1_3genE3ELNS1_11target_archE908ELNS1_3gpuE7ELNS1_3repE0EEENS1_30default_config_static_selectorELNS0_4arch9wavefront6targetE1EEEvT1_, .Lfunc_end1910-_ZN7rocprim17ROCPRIM_400000_NS6detail17trampoline_kernelINS0_14default_configENS1_20scan_config_selectorIdEEZZNS1_9scan_implILNS1_25lookback_scan_determinismE0ELb1ELb1ES3_N6thrust23THRUST_200600_302600_NS6detail15normal_iteratorINS9_10device_ptrIdEEEESE_d11max_functorIdEdEEDaPvRmT3_T4_T5_mT6_P12ihipStream_tbENKUlT_T0_E_clISt17integral_constantIbLb1EEST_IbLb0EEEEDaSP_SQ_EUlSP_E_NS1_11comp_targetILNS1_3genE3ELNS1_11target_archE908ELNS1_3gpuE7ELNS1_3repE0EEENS1_30default_config_static_selectorELNS0_4arch9wavefront6targetE1EEEvT1_
                                        ; -- End function
	.section	.AMDGPU.csdata,"",@progbits
; Kernel info:
; codeLenInByte = 0
; NumSgprs: 4
; NumVgprs: 0
; NumAgprs: 0
; TotalNumVgprs: 0
; ScratchSize: 0
; MemoryBound: 0
; FloatMode: 240
; IeeeMode: 1
; LDSByteSize: 0 bytes/workgroup (compile time only)
; SGPRBlocks: 0
; VGPRBlocks: 0
; NumSGPRsForWavesPerEU: 4
; NumVGPRsForWavesPerEU: 1
; AccumOffset: 4
; Occupancy: 8
; WaveLimiterHint : 0
; COMPUTE_PGM_RSRC2:SCRATCH_EN: 0
; COMPUTE_PGM_RSRC2:USER_SGPR: 6
; COMPUTE_PGM_RSRC2:TRAP_HANDLER: 0
; COMPUTE_PGM_RSRC2:TGID_X_EN: 1
; COMPUTE_PGM_RSRC2:TGID_Y_EN: 0
; COMPUTE_PGM_RSRC2:TGID_Z_EN: 0
; COMPUTE_PGM_RSRC2:TIDIG_COMP_CNT: 0
; COMPUTE_PGM_RSRC3_GFX90A:ACCUM_OFFSET: 0
; COMPUTE_PGM_RSRC3_GFX90A:TG_SPLIT: 0
	.section	.text._ZN7rocprim17ROCPRIM_400000_NS6detail17trampoline_kernelINS0_14default_configENS1_20scan_config_selectorIdEEZZNS1_9scan_implILNS1_25lookback_scan_determinismE0ELb1ELb1ES3_N6thrust23THRUST_200600_302600_NS6detail15normal_iteratorINS9_10device_ptrIdEEEESE_d11max_functorIdEdEEDaPvRmT3_T4_T5_mT6_P12ihipStream_tbENKUlT_T0_E_clISt17integral_constantIbLb1EEST_IbLb0EEEEDaSP_SQ_EUlSP_E_NS1_11comp_targetILNS1_3genE2ELNS1_11target_archE906ELNS1_3gpuE6ELNS1_3repE0EEENS1_30default_config_static_selectorELNS0_4arch9wavefront6targetE1EEEvT1_,"axG",@progbits,_ZN7rocprim17ROCPRIM_400000_NS6detail17trampoline_kernelINS0_14default_configENS1_20scan_config_selectorIdEEZZNS1_9scan_implILNS1_25lookback_scan_determinismE0ELb1ELb1ES3_N6thrust23THRUST_200600_302600_NS6detail15normal_iteratorINS9_10device_ptrIdEEEESE_d11max_functorIdEdEEDaPvRmT3_T4_T5_mT6_P12ihipStream_tbENKUlT_T0_E_clISt17integral_constantIbLb1EEST_IbLb0EEEEDaSP_SQ_EUlSP_E_NS1_11comp_targetILNS1_3genE2ELNS1_11target_archE906ELNS1_3gpuE6ELNS1_3repE0EEENS1_30default_config_static_selectorELNS0_4arch9wavefront6targetE1EEEvT1_,comdat
	.protected	_ZN7rocprim17ROCPRIM_400000_NS6detail17trampoline_kernelINS0_14default_configENS1_20scan_config_selectorIdEEZZNS1_9scan_implILNS1_25lookback_scan_determinismE0ELb1ELb1ES3_N6thrust23THRUST_200600_302600_NS6detail15normal_iteratorINS9_10device_ptrIdEEEESE_d11max_functorIdEdEEDaPvRmT3_T4_T5_mT6_P12ihipStream_tbENKUlT_T0_E_clISt17integral_constantIbLb1EEST_IbLb0EEEEDaSP_SQ_EUlSP_E_NS1_11comp_targetILNS1_3genE2ELNS1_11target_archE906ELNS1_3gpuE6ELNS1_3repE0EEENS1_30default_config_static_selectorELNS0_4arch9wavefront6targetE1EEEvT1_ ; -- Begin function _ZN7rocprim17ROCPRIM_400000_NS6detail17trampoline_kernelINS0_14default_configENS1_20scan_config_selectorIdEEZZNS1_9scan_implILNS1_25lookback_scan_determinismE0ELb1ELb1ES3_N6thrust23THRUST_200600_302600_NS6detail15normal_iteratorINS9_10device_ptrIdEEEESE_d11max_functorIdEdEEDaPvRmT3_T4_T5_mT6_P12ihipStream_tbENKUlT_T0_E_clISt17integral_constantIbLb1EEST_IbLb0EEEEDaSP_SQ_EUlSP_E_NS1_11comp_targetILNS1_3genE2ELNS1_11target_archE906ELNS1_3gpuE6ELNS1_3repE0EEENS1_30default_config_static_selectorELNS0_4arch9wavefront6targetE1EEEvT1_
	.globl	_ZN7rocprim17ROCPRIM_400000_NS6detail17trampoline_kernelINS0_14default_configENS1_20scan_config_selectorIdEEZZNS1_9scan_implILNS1_25lookback_scan_determinismE0ELb1ELb1ES3_N6thrust23THRUST_200600_302600_NS6detail15normal_iteratorINS9_10device_ptrIdEEEESE_d11max_functorIdEdEEDaPvRmT3_T4_T5_mT6_P12ihipStream_tbENKUlT_T0_E_clISt17integral_constantIbLb1EEST_IbLb0EEEEDaSP_SQ_EUlSP_E_NS1_11comp_targetILNS1_3genE2ELNS1_11target_archE906ELNS1_3gpuE6ELNS1_3repE0EEENS1_30default_config_static_selectorELNS0_4arch9wavefront6targetE1EEEvT1_
	.p2align	8
	.type	_ZN7rocprim17ROCPRIM_400000_NS6detail17trampoline_kernelINS0_14default_configENS1_20scan_config_selectorIdEEZZNS1_9scan_implILNS1_25lookback_scan_determinismE0ELb1ELb1ES3_N6thrust23THRUST_200600_302600_NS6detail15normal_iteratorINS9_10device_ptrIdEEEESE_d11max_functorIdEdEEDaPvRmT3_T4_T5_mT6_P12ihipStream_tbENKUlT_T0_E_clISt17integral_constantIbLb1EEST_IbLb0EEEEDaSP_SQ_EUlSP_E_NS1_11comp_targetILNS1_3genE2ELNS1_11target_archE906ELNS1_3gpuE6ELNS1_3repE0EEENS1_30default_config_static_selectorELNS0_4arch9wavefront6targetE1EEEvT1_,@function
_ZN7rocprim17ROCPRIM_400000_NS6detail17trampoline_kernelINS0_14default_configENS1_20scan_config_selectorIdEEZZNS1_9scan_implILNS1_25lookback_scan_determinismE0ELb1ELb1ES3_N6thrust23THRUST_200600_302600_NS6detail15normal_iteratorINS9_10device_ptrIdEEEESE_d11max_functorIdEdEEDaPvRmT3_T4_T5_mT6_P12ihipStream_tbENKUlT_T0_E_clISt17integral_constantIbLb1EEST_IbLb0EEEEDaSP_SQ_EUlSP_E_NS1_11comp_targetILNS1_3genE2ELNS1_11target_archE906ELNS1_3gpuE6ELNS1_3repE0EEENS1_30default_config_static_selectorELNS0_4arch9wavefront6targetE1EEEvT1_: ; @_ZN7rocprim17ROCPRIM_400000_NS6detail17trampoline_kernelINS0_14default_configENS1_20scan_config_selectorIdEEZZNS1_9scan_implILNS1_25lookback_scan_determinismE0ELb1ELb1ES3_N6thrust23THRUST_200600_302600_NS6detail15normal_iteratorINS9_10device_ptrIdEEEESE_d11max_functorIdEdEEDaPvRmT3_T4_T5_mT6_P12ihipStream_tbENKUlT_T0_E_clISt17integral_constantIbLb1EEST_IbLb0EEEEDaSP_SQ_EUlSP_E_NS1_11comp_targetILNS1_3genE2ELNS1_11target_archE906ELNS1_3gpuE6ELNS1_3repE0EEENS1_30default_config_static_selectorELNS0_4arch9wavefront6targetE1EEEvT1_
; %bb.0:
	.section	.rodata,"a",@progbits
	.p2align	6, 0x0
	.amdhsa_kernel _ZN7rocprim17ROCPRIM_400000_NS6detail17trampoline_kernelINS0_14default_configENS1_20scan_config_selectorIdEEZZNS1_9scan_implILNS1_25lookback_scan_determinismE0ELb1ELb1ES3_N6thrust23THRUST_200600_302600_NS6detail15normal_iteratorINS9_10device_ptrIdEEEESE_d11max_functorIdEdEEDaPvRmT3_T4_T5_mT6_P12ihipStream_tbENKUlT_T0_E_clISt17integral_constantIbLb1EEST_IbLb0EEEEDaSP_SQ_EUlSP_E_NS1_11comp_targetILNS1_3genE2ELNS1_11target_archE906ELNS1_3gpuE6ELNS1_3repE0EEENS1_30default_config_static_selectorELNS0_4arch9wavefront6targetE1EEEvT1_
		.amdhsa_group_segment_fixed_size 0
		.amdhsa_private_segment_fixed_size 0
		.amdhsa_kernarg_size 104
		.amdhsa_user_sgpr_count 6
		.amdhsa_user_sgpr_private_segment_buffer 1
		.amdhsa_user_sgpr_dispatch_ptr 0
		.amdhsa_user_sgpr_queue_ptr 0
		.amdhsa_user_sgpr_kernarg_segment_ptr 1
		.amdhsa_user_sgpr_dispatch_id 0
		.amdhsa_user_sgpr_flat_scratch_init 0
		.amdhsa_user_sgpr_kernarg_preload_length 0
		.amdhsa_user_sgpr_kernarg_preload_offset 0
		.amdhsa_user_sgpr_private_segment_size 0
		.amdhsa_uses_dynamic_stack 0
		.amdhsa_system_sgpr_private_segment_wavefront_offset 0
		.amdhsa_system_sgpr_workgroup_id_x 1
		.amdhsa_system_sgpr_workgroup_id_y 0
		.amdhsa_system_sgpr_workgroup_id_z 0
		.amdhsa_system_sgpr_workgroup_info 0
		.amdhsa_system_vgpr_workitem_id 0
		.amdhsa_next_free_vgpr 1
		.amdhsa_next_free_sgpr 0
		.amdhsa_accum_offset 4
		.amdhsa_reserve_vcc 0
		.amdhsa_reserve_flat_scratch 0
		.amdhsa_float_round_mode_32 0
		.amdhsa_float_round_mode_16_64 0
		.amdhsa_float_denorm_mode_32 3
		.amdhsa_float_denorm_mode_16_64 3
		.amdhsa_dx10_clamp 1
		.amdhsa_ieee_mode 1
		.amdhsa_fp16_overflow 0
		.amdhsa_tg_split 0
		.amdhsa_exception_fp_ieee_invalid_op 0
		.amdhsa_exception_fp_denorm_src 0
		.amdhsa_exception_fp_ieee_div_zero 0
		.amdhsa_exception_fp_ieee_overflow 0
		.amdhsa_exception_fp_ieee_underflow 0
		.amdhsa_exception_fp_ieee_inexact 0
		.amdhsa_exception_int_div_zero 0
	.end_amdhsa_kernel
	.section	.text._ZN7rocprim17ROCPRIM_400000_NS6detail17trampoline_kernelINS0_14default_configENS1_20scan_config_selectorIdEEZZNS1_9scan_implILNS1_25lookback_scan_determinismE0ELb1ELb1ES3_N6thrust23THRUST_200600_302600_NS6detail15normal_iteratorINS9_10device_ptrIdEEEESE_d11max_functorIdEdEEDaPvRmT3_T4_T5_mT6_P12ihipStream_tbENKUlT_T0_E_clISt17integral_constantIbLb1EEST_IbLb0EEEEDaSP_SQ_EUlSP_E_NS1_11comp_targetILNS1_3genE2ELNS1_11target_archE906ELNS1_3gpuE6ELNS1_3repE0EEENS1_30default_config_static_selectorELNS0_4arch9wavefront6targetE1EEEvT1_,"axG",@progbits,_ZN7rocprim17ROCPRIM_400000_NS6detail17trampoline_kernelINS0_14default_configENS1_20scan_config_selectorIdEEZZNS1_9scan_implILNS1_25lookback_scan_determinismE0ELb1ELb1ES3_N6thrust23THRUST_200600_302600_NS6detail15normal_iteratorINS9_10device_ptrIdEEEESE_d11max_functorIdEdEEDaPvRmT3_T4_T5_mT6_P12ihipStream_tbENKUlT_T0_E_clISt17integral_constantIbLb1EEST_IbLb0EEEEDaSP_SQ_EUlSP_E_NS1_11comp_targetILNS1_3genE2ELNS1_11target_archE906ELNS1_3gpuE6ELNS1_3repE0EEENS1_30default_config_static_selectorELNS0_4arch9wavefront6targetE1EEEvT1_,comdat
.Lfunc_end1911:
	.size	_ZN7rocprim17ROCPRIM_400000_NS6detail17trampoline_kernelINS0_14default_configENS1_20scan_config_selectorIdEEZZNS1_9scan_implILNS1_25lookback_scan_determinismE0ELb1ELb1ES3_N6thrust23THRUST_200600_302600_NS6detail15normal_iteratorINS9_10device_ptrIdEEEESE_d11max_functorIdEdEEDaPvRmT3_T4_T5_mT6_P12ihipStream_tbENKUlT_T0_E_clISt17integral_constantIbLb1EEST_IbLb0EEEEDaSP_SQ_EUlSP_E_NS1_11comp_targetILNS1_3genE2ELNS1_11target_archE906ELNS1_3gpuE6ELNS1_3repE0EEENS1_30default_config_static_selectorELNS0_4arch9wavefront6targetE1EEEvT1_, .Lfunc_end1911-_ZN7rocprim17ROCPRIM_400000_NS6detail17trampoline_kernelINS0_14default_configENS1_20scan_config_selectorIdEEZZNS1_9scan_implILNS1_25lookback_scan_determinismE0ELb1ELb1ES3_N6thrust23THRUST_200600_302600_NS6detail15normal_iteratorINS9_10device_ptrIdEEEESE_d11max_functorIdEdEEDaPvRmT3_T4_T5_mT6_P12ihipStream_tbENKUlT_T0_E_clISt17integral_constantIbLb1EEST_IbLb0EEEEDaSP_SQ_EUlSP_E_NS1_11comp_targetILNS1_3genE2ELNS1_11target_archE906ELNS1_3gpuE6ELNS1_3repE0EEENS1_30default_config_static_selectorELNS0_4arch9wavefront6targetE1EEEvT1_
                                        ; -- End function
	.section	.AMDGPU.csdata,"",@progbits
; Kernel info:
; codeLenInByte = 0
; NumSgprs: 4
; NumVgprs: 0
; NumAgprs: 0
; TotalNumVgprs: 0
; ScratchSize: 0
; MemoryBound: 0
; FloatMode: 240
; IeeeMode: 1
; LDSByteSize: 0 bytes/workgroup (compile time only)
; SGPRBlocks: 0
; VGPRBlocks: 0
; NumSGPRsForWavesPerEU: 4
; NumVGPRsForWavesPerEU: 1
; AccumOffset: 4
; Occupancy: 8
; WaveLimiterHint : 0
; COMPUTE_PGM_RSRC2:SCRATCH_EN: 0
; COMPUTE_PGM_RSRC2:USER_SGPR: 6
; COMPUTE_PGM_RSRC2:TRAP_HANDLER: 0
; COMPUTE_PGM_RSRC2:TGID_X_EN: 1
; COMPUTE_PGM_RSRC2:TGID_Y_EN: 0
; COMPUTE_PGM_RSRC2:TGID_Z_EN: 0
; COMPUTE_PGM_RSRC2:TIDIG_COMP_CNT: 0
; COMPUTE_PGM_RSRC3_GFX90A:ACCUM_OFFSET: 0
; COMPUTE_PGM_RSRC3_GFX90A:TG_SPLIT: 0
	.section	.text._ZN7rocprim17ROCPRIM_400000_NS6detail17trampoline_kernelINS0_14default_configENS1_20scan_config_selectorIdEEZZNS1_9scan_implILNS1_25lookback_scan_determinismE0ELb1ELb1ES3_N6thrust23THRUST_200600_302600_NS6detail15normal_iteratorINS9_10device_ptrIdEEEESE_d11max_functorIdEdEEDaPvRmT3_T4_T5_mT6_P12ihipStream_tbENKUlT_T0_E_clISt17integral_constantIbLb1EEST_IbLb0EEEEDaSP_SQ_EUlSP_E_NS1_11comp_targetILNS1_3genE10ELNS1_11target_archE1201ELNS1_3gpuE5ELNS1_3repE0EEENS1_30default_config_static_selectorELNS0_4arch9wavefront6targetE1EEEvT1_,"axG",@progbits,_ZN7rocprim17ROCPRIM_400000_NS6detail17trampoline_kernelINS0_14default_configENS1_20scan_config_selectorIdEEZZNS1_9scan_implILNS1_25lookback_scan_determinismE0ELb1ELb1ES3_N6thrust23THRUST_200600_302600_NS6detail15normal_iteratorINS9_10device_ptrIdEEEESE_d11max_functorIdEdEEDaPvRmT3_T4_T5_mT6_P12ihipStream_tbENKUlT_T0_E_clISt17integral_constantIbLb1EEST_IbLb0EEEEDaSP_SQ_EUlSP_E_NS1_11comp_targetILNS1_3genE10ELNS1_11target_archE1201ELNS1_3gpuE5ELNS1_3repE0EEENS1_30default_config_static_selectorELNS0_4arch9wavefront6targetE1EEEvT1_,comdat
	.protected	_ZN7rocprim17ROCPRIM_400000_NS6detail17trampoline_kernelINS0_14default_configENS1_20scan_config_selectorIdEEZZNS1_9scan_implILNS1_25lookback_scan_determinismE0ELb1ELb1ES3_N6thrust23THRUST_200600_302600_NS6detail15normal_iteratorINS9_10device_ptrIdEEEESE_d11max_functorIdEdEEDaPvRmT3_T4_T5_mT6_P12ihipStream_tbENKUlT_T0_E_clISt17integral_constantIbLb1EEST_IbLb0EEEEDaSP_SQ_EUlSP_E_NS1_11comp_targetILNS1_3genE10ELNS1_11target_archE1201ELNS1_3gpuE5ELNS1_3repE0EEENS1_30default_config_static_selectorELNS0_4arch9wavefront6targetE1EEEvT1_ ; -- Begin function _ZN7rocprim17ROCPRIM_400000_NS6detail17trampoline_kernelINS0_14default_configENS1_20scan_config_selectorIdEEZZNS1_9scan_implILNS1_25lookback_scan_determinismE0ELb1ELb1ES3_N6thrust23THRUST_200600_302600_NS6detail15normal_iteratorINS9_10device_ptrIdEEEESE_d11max_functorIdEdEEDaPvRmT3_T4_T5_mT6_P12ihipStream_tbENKUlT_T0_E_clISt17integral_constantIbLb1EEST_IbLb0EEEEDaSP_SQ_EUlSP_E_NS1_11comp_targetILNS1_3genE10ELNS1_11target_archE1201ELNS1_3gpuE5ELNS1_3repE0EEENS1_30default_config_static_selectorELNS0_4arch9wavefront6targetE1EEEvT1_
	.globl	_ZN7rocprim17ROCPRIM_400000_NS6detail17trampoline_kernelINS0_14default_configENS1_20scan_config_selectorIdEEZZNS1_9scan_implILNS1_25lookback_scan_determinismE0ELb1ELb1ES3_N6thrust23THRUST_200600_302600_NS6detail15normal_iteratorINS9_10device_ptrIdEEEESE_d11max_functorIdEdEEDaPvRmT3_T4_T5_mT6_P12ihipStream_tbENKUlT_T0_E_clISt17integral_constantIbLb1EEST_IbLb0EEEEDaSP_SQ_EUlSP_E_NS1_11comp_targetILNS1_3genE10ELNS1_11target_archE1201ELNS1_3gpuE5ELNS1_3repE0EEENS1_30default_config_static_selectorELNS0_4arch9wavefront6targetE1EEEvT1_
	.p2align	8
	.type	_ZN7rocprim17ROCPRIM_400000_NS6detail17trampoline_kernelINS0_14default_configENS1_20scan_config_selectorIdEEZZNS1_9scan_implILNS1_25lookback_scan_determinismE0ELb1ELb1ES3_N6thrust23THRUST_200600_302600_NS6detail15normal_iteratorINS9_10device_ptrIdEEEESE_d11max_functorIdEdEEDaPvRmT3_T4_T5_mT6_P12ihipStream_tbENKUlT_T0_E_clISt17integral_constantIbLb1EEST_IbLb0EEEEDaSP_SQ_EUlSP_E_NS1_11comp_targetILNS1_3genE10ELNS1_11target_archE1201ELNS1_3gpuE5ELNS1_3repE0EEENS1_30default_config_static_selectorELNS0_4arch9wavefront6targetE1EEEvT1_,@function
_ZN7rocprim17ROCPRIM_400000_NS6detail17trampoline_kernelINS0_14default_configENS1_20scan_config_selectorIdEEZZNS1_9scan_implILNS1_25lookback_scan_determinismE0ELb1ELb1ES3_N6thrust23THRUST_200600_302600_NS6detail15normal_iteratorINS9_10device_ptrIdEEEESE_d11max_functorIdEdEEDaPvRmT3_T4_T5_mT6_P12ihipStream_tbENKUlT_T0_E_clISt17integral_constantIbLb1EEST_IbLb0EEEEDaSP_SQ_EUlSP_E_NS1_11comp_targetILNS1_3genE10ELNS1_11target_archE1201ELNS1_3gpuE5ELNS1_3repE0EEENS1_30default_config_static_selectorELNS0_4arch9wavefront6targetE1EEEvT1_: ; @_ZN7rocprim17ROCPRIM_400000_NS6detail17trampoline_kernelINS0_14default_configENS1_20scan_config_selectorIdEEZZNS1_9scan_implILNS1_25lookback_scan_determinismE0ELb1ELb1ES3_N6thrust23THRUST_200600_302600_NS6detail15normal_iteratorINS9_10device_ptrIdEEEESE_d11max_functorIdEdEEDaPvRmT3_T4_T5_mT6_P12ihipStream_tbENKUlT_T0_E_clISt17integral_constantIbLb1EEST_IbLb0EEEEDaSP_SQ_EUlSP_E_NS1_11comp_targetILNS1_3genE10ELNS1_11target_archE1201ELNS1_3gpuE5ELNS1_3repE0EEENS1_30default_config_static_selectorELNS0_4arch9wavefront6targetE1EEEvT1_
; %bb.0:
	.section	.rodata,"a",@progbits
	.p2align	6, 0x0
	.amdhsa_kernel _ZN7rocprim17ROCPRIM_400000_NS6detail17trampoline_kernelINS0_14default_configENS1_20scan_config_selectorIdEEZZNS1_9scan_implILNS1_25lookback_scan_determinismE0ELb1ELb1ES3_N6thrust23THRUST_200600_302600_NS6detail15normal_iteratorINS9_10device_ptrIdEEEESE_d11max_functorIdEdEEDaPvRmT3_T4_T5_mT6_P12ihipStream_tbENKUlT_T0_E_clISt17integral_constantIbLb1EEST_IbLb0EEEEDaSP_SQ_EUlSP_E_NS1_11comp_targetILNS1_3genE10ELNS1_11target_archE1201ELNS1_3gpuE5ELNS1_3repE0EEENS1_30default_config_static_selectorELNS0_4arch9wavefront6targetE1EEEvT1_
		.amdhsa_group_segment_fixed_size 0
		.amdhsa_private_segment_fixed_size 0
		.amdhsa_kernarg_size 104
		.amdhsa_user_sgpr_count 6
		.amdhsa_user_sgpr_private_segment_buffer 1
		.amdhsa_user_sgpr_dispatch_ptr 0
		.amdhsa_user_sgpr_queue_ptr 0
		.amdhsa_user_sgpr_kernarg_segment_ptr 1
		.amdhsa_user_sgpr_dispatch_id 0
		.amdhsa_user_sgpr_flat_scratch_init 0
		.amdhsa_user_sgpr_kernarg_preload_length 0
		.amdhsa_user_sgpr_kernarg_preload_offset 0
		.amdhsa_user_sgpr_private_segment_size 0
		.amdhsa_uses_dynamic_stack 0
		.amdhsa_system_sgpr_private_segment_wavefront_offset 0
		.amdhsa_system_sgpr_workgroup_id_x 1
		.amdhsa_system_sgpr_workgroup_id_y 0
		.amdhsa_system_sgpr_workgroup_id_z 0
		.amdhsa_system_sgpr_workgroup_info 0
		.amdhsa_system_vgpr_workitem_id 0
		.amdhsa_next_free_vgpr 1
		.amdhsa_next_free_sgpr 0
		.amdhsa_accum_offset 4
		.amdhsa_reserve_vcc 0
		.amdhsa_reserve_flat_scratch 0
		.amdhsa_float_round_mode_32 0
		.amdhsa_float_round_mode_16_64 0
		.amdhsa_float_denorm_mode_32 3
		.amdhsa_float_denorm_mode_16_64 3
		.amdhsa_dx10_clamp 1
		.amdhsa_ieee_mode 1
		.amdhsa_fp16_overflow 0
		.amdhsa_tg_split 0
		.amdhsa_exception_fp_ieee_invalid_op 0
		.amdhsa_exception_fp_denorm_src 0
		.amdhsa_exception_fp_ieee_div_zero 0
		.amdhsa_exception_fp_ieee_overflow 0
		.amdhsa_exception_fp_ieee_underflow 0
		.amdhsa_exception_fp_ieee_inexact 0
		.amdhsa_exception_int_div_zero 0
	.end_amdhsa_kernel
	.section	.text._ZN7rocprim17ROCPRIM_400000_NS6detail17trampoline_kernelINS0_14default_configENS1_20scan_config_selectorIdEEZZNS1_9scan_implILNS1_25lookback_scan_determinismE0ELb1ELb1ES3_N6thrust23THRUST_200600_302600_NS6detail15normal_iteratorINS9_10device_ptrIdEEEESE_d11max_functorIdEdEEDaPvRmT3_T4_T5_mT6_P12ihipStream_tbENKUlT_T0_E_clISt17integral_constantIbLb1EEST_IbLb0EEEEDaSP_SQ_EUlSP_E_NS1_11comp_targetILNS1_3genE10ELNS1_11target_archE1201ELNS1_3gpuE5ELNS1_3repE0EEENS1_30default_config_static_selectorELNS0_4arch9wavefront6targetE1EEEvT1_,"axG",@progbits,_ZN7rocprim17ROCPRIM_400000_NS6detail17trampoline_kernelINS0_14default_configENS1_20scan_config_selectorIdEEZZNS1_9scan_implILNS1_25lookback_scan_determinismE0ELb1ELb1ES3_N6thrust23THRUST_200600_302600_NS6detail15normal_iteratorINS9_10device_ptrIdEEEESE_d11max_functorIdEdEEDaPvRmT3_T4_T5_mT6_P12ihipStream_tbENKUlT_T0_E_clISt17integral_constantIbLb1EEST_IbLb0EEEEDaSP_SQ_EUlSP_E_NS1_11comp_targetILNS1_3genE10ELNS1_11target_archE1201ELNS1_3gpuE5ELNS1_3repE0EEENS1_30default_config_static_selectorELNS0_4arch9wavefront6targetE1EEEvT1_,comdat
.Lfunc_end1912:
	.size	_ZN7rocprim17ROCPRIM_400000_NS6detail17trampoline_kernelINS0_14default_configENS1_20scan_config_selectorIdEEZZNS1_9scan_implILNS1_25lookback_scan_determinismE0ELb1ELb1ES3_N6thrust23THRUST_200600_302600_NS6detail15normal_iteratorINS9_10device_ptrIdEEEESE_d11max_functorIdEdEEDaPvRmT3_T4_T5_mT6_P12ihipStream_tbENKUlT_T0_E_clISt17integral_constantIbLb1EEST_IbLb0EEEEDaSP_SQ_EUlSP_E_NS1_11comp_targetILNS1_3genE10ELNS1_11target_archE1201ELNS1_3gpuE5ELNS1_3repE0EEENS1_30default_config_static_selectorELNS0_4arch9wavefront6targetE1EEEvT1_, .Lfunc_end1912-_ZN7rocprim17ROCPRIM_400000_NS6detail17trampoline_kernelINS0_14default_configENS1_20scan_config_selectorIdEEZZNS1_9scan_implILNS1_25lookback_scan_determinismE0ELb1ELb1ES3_N6thrust23THRUST_200600_302600_NS6detail15normal_iteratorINS9_10device_ptrIdEEEESE_d11max_functorIdEdEEDaPvRmT3_T4_T5_mT6_P12ihipStream_tbENKUlT_T0_E_clISt17integral_constantIbLb1EEST_IbLb0EEEEDaSP_SQ_EUlSP_E_NS1_11comp_targetILNS1_3genE10ELNS1_11target_archE1201ELNS1_3gpuE5ELNS1_3repE0EEENS1_30default_config_static_selectorELNS0_4arch9wavefront6targetE1EEEvT1_
                                        ; -- End function
	.section	.AMDGPU.csdata,"",@progbits
; Kernel info:
; codeLenInByte = 0
; NumSgprs: 4
; NumVgprs: 0
; NumAgprs: 0
; TotalNumVgprs: 0
; ScratchSize: 0
; MemoryBound: 0
; FloatMode: 240
; IeeeMode: 1
; LDSByteSize: 0 bytes/workgroup (compile time only)
; SGPRBlocks: 0
; VGPRBlocks: 0
; NumSGPRsForWavesPerEU: 4
; NumVGPRsForWavesPerEU: 1
; AccumOffset: 4
; Occupancy: 8
; WaveLimiterHint : 0
; COMPUTE_PGM_RSRC2:SCRATCH_EN: 0
; COMPUTE_PGM_RSRC2:USER_SGPR: 6
; COMPUTE_PGM_RSRC2:TRAP_HANDLER: 0
; COMPUTE_PGM_RSRC2:TGID_X_EN: 1
; COMPUTE_PGM_RSRC2:TGID_Y_EN: 0
; COMPUTE_PGM_RSRC2:TGID_Z_EN: 0
; COMPUTE_PGM_RSRC2:TIDIG_COMP_CNT: 0
; COMPUTE_PGM_RSRC3_GFX90A:ACCUM_OFFSET: 0
; COMPUTE_PGM_RSRC3_GFX90A:TG_SPLIT: 0
	.section	.text._ZN7rocprim17ROCPRIM_400000_NS6detail17trampoline_kernelINS0_14default_configENS1_20scan_config_selectorIdEEZZNS1_9scan_implILNS1_25lookback_scan_determinismE0ELb1ELb1ES3_N6thrust23THRUST_200600_302600_NS6detail15normal_iteratorINS9_10device_ptrIdEEEESE_d11max_functorIdEdEEDaPvRmT3_T4_T5_mT6_P12ihipStream_tbENKUlT_T0_E_clISt17integral_constantIbLb1EEST_IbLb0EEEEDaSP_SQ_EUlSP_E_NS1_11comp_targetILNS1_3genE10ELNS1_11target_archE1200ELNS1_3gpuE4ELNS1_3repE0EEENS1_30default_config_static_selectorELNS0_4arch9wavefront6targetE1EEEvT1_,"axG",@progbits,_ZN7rocprim17ROCPRIM_400000_NS6detail17trampoline_kernelINS0_14default_configENS1_20scan_config_selectorIdEEZZNS1_9scan_implILNS1_25lookback_scan_determinismE0ELb1ELb1ES3_N6thrust23THRUST_200600_302600_NS6detail15normal_iteratorINS9_10device_ptrIdEEEESE_d11max_functorIdEdEEDaPvRmT3_T4_T5_mT6_P12ihipStream_tbENKUlT_T0_E_clISt17integral_constantIbLb1EEST_IbLb0EEEEDaSP_SQ_EUlSP_E_NS1_11comp_targetILNS1_3genE10ELNS1_11target_archE1200ELNS1_3gpuE4ELNS1_3repE0EEENS1_30default_config_static_selectorELNS0_4arch9wavefront6targetE1EEEvT1_,comdat
	.protected	_ZN7rocprim17ROCPRIM_400000_NS6detail17trampoline_kernelINS0_14default_configENS1_20scan_config_selectorIdEEZZNS1_9scan_implILNS1_25lookback_scan_determinismE0ELb1ELb1ES3_N6thrust23THRUST_200600_302600_NS6detail15normal_iteratorINS9_10device_ptrIdEEEESE_d11max_functorIdEdEEDaPvRmT3_T4_T5_mT6_P12ihipStream_tbENKUlT_T0_E_clISt17integral_constantIbLb1EEST_IbLb0EEEEDaSP_SQ_EUlSP_E_NS1_11comp_targetILNS1_3genE10ELNS1_11target_archE1200ELNS1_3gpuE4ELNS1_3repE0EEENS1_30default_config_static_selectorELNS0_4arch9wavefront6targetE1EEEvT1_ ; -- Begin function _ZN7rocprim17ROCPRIM_400000_NS6detail17trampoline_kernelINS0_14default_configENS1_20scan_config_selectorIdEEZZNS1_9scan_implILNS1_25lookback_scan_determinismE0ELb1ELb1ES3_N6thrust23THRUST_200600_302600_NS6detail15normal_iteratorINS9_10device_ptrIdEEEESE_d11max_functorIdEdEEDaPvRmT3_T4_T5_mT6_P12ihipStream_tbENKUlT_T0_E_clISt17integral_constantIbLb1EEST_IbLb0EEEEDaSP_SQ_EUlSP_E_NS1_11comp_targetILNS1_3genE10ELNS1_11target_archE1200ELNS1_3gpuE4ELNS1_3repE0EEENS1_30default_config_static_selectorELNS0_4arch9wavefront6targetE1EEEvT1_
	.globl	_ZN7rocprim17ROCPRIM_400000_NS6detail17trampoline_kernelINS0_14default_configENS1_20scan_config_selectorIdEEZZNS1_9scan_implILNS1_25lookback_scan_determinismE0ELb1ELb1ES3_N6thrust23THRUST_200600_302600_NS6detail15normal_iteratorINS9_10device_ptrIdEEEESE_d11max_functorIdEdEEDaPvRmT3_T4_T5_mT6_P12ihipStream_tbENKUlT_T0_E_clISt17integral_constantIbLb1EEST_IbLb0EEEEDaSP_SQ_EUlSP_E_NS1_11comp_targetILNS1_3genE10ELNS1_11target_archE1200ELNS1_3gpuE4ELNS1_3repE0EEENS1_30default_config_static_selectorELNS0_4arch9wavefront6targetE1EEEvT1_
	.p2align	8
	.type	_ZN7rocprim17ROCPRIM_400000_NS6detail17trampoline_kernelINS0_14default_configENS1_20scan_config_selectorIdEEZZNS1_9scan_implILNS1_25lookback_scan_determinismE0ELb1ELb1ES3_N6thrust23THRUST_200600_302600_NS6detail15normal_iteratorINS9_10device_ptrIdEEEESE_d11max_functorIdEdEEDaPvRmT3_T4_T5_mT6_P12ihipStream_tbENKUlT_T0_E_clISt17integral_constantIbLb1EEST_IbLb0EEEEDaSP_SQ_EUlSP_E_NS1_11comp_targetILNS1_3genE10ELNS1_11target_archE1200ELNS1_3gpuE4ELNS1_3repE0EEENS1_30default_config_static_selectorELNS0_4arch9wavefront6targetE1EEEvT1_,@function
_ZN7rocprim17ROCPRIM_400000_NS6detail17trampoline_kernelINS0_14default_configENS1_20scan_config_selectorIdEEZZNS1_9scan_implILNS1_25lookback_scan_determinismE0ELb1ELb1ES3_N6thrust23THRUST_200600_302600_NS6detail15normal_iteratorINS9_10device_ptrIdEEEESE_d11max_functorIdEdEEDaPvRmT3_T4_T5_mT6_P12ihipStream_tbENKUlT_T0_E_clISt17integral_constantIbLb1EEST_IbLb0EEEEDaSP_SQ_EUlSP_E_NS1_11comp_targetILNS1_3genE10ELNS1_11target_archE1200ELNS1_3gpuE4ELNS1_3repE0EEENS1_30default_config_static_selectorELNS0_4arch9wavefront6targetE1EEEvT1_: ; @_ZN7rocprim17ROCPRIM_400000_NS6detail17trampoline_kernelINS0_14default_configENS1_20scan_config_selectorIdEEZZNS1_9scan_implILNS1_25lookback_scan_determinismE0ELb1ELb1ES3_N6thrust23THRUST_200600_302600_NS6detail15normal_iteratorINS9_10device_ptrIdEEEESE_d11max_functorIdEdEEDaPvRmT3_T4_T5_mT6_P12ihipStream_tbENKUlT_T0_E_clISt17integral_constantIbLb1EEST_IbLb0EEEEDaSP_SQ_EUlSP_E_NS1_11comp_targetILNS1_3genE10ELNS1_11target_archE1200ELNS1_3gpuE4ELNS1_3repE0EEENS1_30default_config_static_selectorELNS0_4arch9wavefront6targetE1EEEvT1_
; %bb.0:
	.section	.rodata,"a",@progbits
	.p2align	6, 0x0
	.amdhsa_kernel _ZN7rocprim17ROCPRIM_400000_NS6detail17trampoline_kernelINS0_14default_configENS1_20scan_config_selectorIdEEZZNS1_9scan_implILNS1_25lookback_scan_determinismE0ELb1ELb1ES3_N6thrust23THRUST_200600_302600_NS6detail15normal_iteratorINS9_10device_ptrIdEEEESE_d11max_functorIdEdEEDaPvRmT3_T4_T5_mT6_P12ihipStream_tbENKUlT_T0_E_clISt17integral_constantIbLb1EEST_IbLb0EEEEDaSP_SQ_EUlSP_E_NS1_11comp_targetILNS1_3genE10ELNS1_11target_archE1200ELNS1_3gpuE4ELNS1_3repE0EEENS1_30default_config_static_selectorELNS0_4arch9wavefront6targetE1EEEvT1_
		.amdhsa_group_segment_fixed_size 0
		.amdhsa_private_segment_fixed_size 0
		.amdhsa_kernarg_size 104
		.amdhsa_user_sgpr_count 6
		.amdhsa_user_sgpr_private_segment_buffer 1
		.amdhsa_user_sgpr_dispatch_ptr 0
		.amdhsa_user_sgpr_queue_ptr 0
		.amdhsa_user_sgpr_kernarg_segment_ptr 1
		.amdhsa_user_sgpr_dispatch_id 0
		.amdhsa_user_sgpr_flat_scratch_init 0
		.amdhsa_user_sgpr_kernarg_preload_length 0
		.amdhsa_user_sgpr_kernarg_preload_offset 0
		.amdhsa_user_sgpr_private_segment_size 0
		.amdhsa_uses_dynamic_stack 0
		.amdhsa_system_sgpr_private_segment_wavefront_offset 0
		.amdhsa_system_sgpr_workgroup_id_x 1
		.amdhsa_system_sgpr_workgroup_id_y 0
		.amdhsa_system_sgpr_workgroup_id_z 0
		.amdhsa_system_sgpr_workgroup_info 0
		.amdhsa_system_vgpr_workitem_id 0
		.amdhsa_next_free_vgpr 1
		.amdhsa_next_free_sgpr 0
		.amdhsa_accum_offset 4
		.amdhsa_reserve_vcc 0
		.amdhsa_reserve_flat_scratch 0
		.amdhsa_float_round_mode_32 0
		.amdhsa_float_round_mode_16_64 0
		.amdhsa_float_denorm_mode_32 3
		.amdhsa_float_denorm_mode_16_64 3
		.amdhsa_dx10_clamp 1
		.amdhsa_ieee_mode 1
		.amdhsa_fp16_overflow 0
		.amdhsa_tg_split 0
		.amdhsa_exception_fp_ieee_invalid_op 0
		.amdhsa_exception_fp_denorm_src 0
		.amdhsa_exception_fp_ieee_div_zero 0
		.amdhsa_exception_fp_ieee_overflow 0
		.amdhsa_exception_fp_ieee_underflow 0
		.amdhsa_exception_fp_ieee_inexact 0
		.amdhsa_exception_int_div_zero 0
	.end_amdhsa_kernel
	.section	.text._ZN7rocprim17ROCPRIM_400000_NS6detail17trampoline_kernelINS0_14default_configENS1_20scan_config_selectorIdEEZZNS1_9scan_implILNS1_25lookback_scan_determinismE0ELb1ELb1ES3_N6thrust23THRUST_200600_302600_NS6detail15normal_iteratorINS9_10device_ptrIdEEEESE_d11max_functorIdEdEEDaPvRmT3_T4_T5_mT6_P12ihipStream_tbENKUlT_T0_E_clISt17integral_constantIbLb1EEST_IbLb0EEEEDaSP_SQ_EUlSP_E_NS1_11comp_targetILNS1_3genE10ELNS1_11target_archE1200ELNS1_3gpuE4ELNS1_3repE0EEENS1_30default_config_static_selectorELNS0_4arch9wavefront6targetE1EEEvT1_,"axG",@progbits,_ZN7rocprim17ROCPRIM_400000_NS6detail17trampoline_kernelINS0_14default_configENS1_20scan_config_selectorIdEEZZNS1_9scan_implILNS1_25lookback_scan_determinismE0ELb1ELb1ES3_N6thrust23THRUST_200600_302600_NS6detail15normal_iteratorINS9_10device_ptrIdEEEESE_d11max_functorIdEdEEDaPvRmT3_T4_T5_mT6_P12ihipStream_tbENKUlT_T0_E_clISt17integral_constantIbLb1EEST_IbLb0EEEEDaSP_SQ_EUlSP_E_NS1_11comp_targetILNS1_3genE10ELNS1_11target_archE1200ELNS1_3gpuE4ELNS1_3repE0EEENS1_30default_config_static_selectorELNS0_4arch9wavefront6targetE1EEEvT1_,comdat
.Lfunc_end1913:
	.size	_ZN7rocprim17ROCPRIM_400000_NS6detail17trampoline_kernelINS0_14default_configENS1_20scan_config_selectorIdEEZZNS1_9scan_implILNS1_25lookback_scan_determinismE0ELb1ELb1ES3_N6thrust23THRUST_200600_302600_NS6detail15normal_iteratorINS9_10device_ptrIdEEEESE_d11max_functorIdEdEEDaPvRmT3_T4_T5_mT6_P12ihipStream_tbENKUlT_T0_E_clISt17integral_constantIbLb1EEST_IbLb0EEEEDaSP_SQ_EUlSP_E_NS1_11comp_targetILNS1_3genE10ELNS1_11target_archE1200ELNS1_3gpuE4ELNS1_3repE0EEENS1_30default_config_static_selectorELNS0_4arch9wavefront6targetE1EEEvT1_, .Lfunc_end1913-_ZN7rocprim17ROCPRIM_400000_NS6detail17trampoline_kernelINS0_14default_configENS1_20scan_config_selectorIdEEZZNS1_9scan_implILNS1_25lookback_scan_determinismE0ELb1ELb1ES3_N6thrust23THRUST_200600_302600_NS6detail15normal_iteratorINS9_10device_ptrIdEEEESE_d11max_functorIdEdEEDaPvRmT3_T4_T5_mT6_P12ihipStream_tbENKUlT_T0_E_clISt17integral_constantIbLb1EEST_IbLb0EEEEDaSP_SQ_EUlSP_E_NS1_11comp_targetILNS1_3genE10ELNS1_11target_archE1200ELNS1_3gpuE4ELNS1_3repE0EEENS1_30default_config_static_selectorELNS0_4arch9wavefront6targetE1EEEvT1_
                                        ; -- End function
	.section	.AMDGPU.csdata,"",@progbits
; Kernel info:
; codeLenInByte = 0
; NumSgprs: 4
; NumVgprs: 0
; NumAgprs: 0
; TotalNumVgprs: 0
; ScratchSize: 0
; MemoryBound: 0
; FloatMode: 240
; IeeeMode: 1
; LDSByteSize: 0 bytes/workgroup (compile time only)
; SGPRBlocks: 0
; VGPRBlocks: 0
; NumSGPRsForWavesPerEU: 4
; NumVGPRsForWavesPerEU: 1
; AccumOffset: 4
; Occupancy: 8
; WaveLimiterHint : 0
; COMPUTE_PGM_RSRC2:SCRATCH_EN: 0
; COMPUTE_PGM_RSRC2:USER_SGPR: 6
; COMPUTE_PGM_RSRC2:TRAP_HANDLER: 0
; COMPUTE_PGM_RSRC2:TGID_X_EN: 1
; COMPUTE_PGM_RSRC2:TGID_Y_EN: 0
; COMPUTE_PGM_RSRC2:TGID_Z_EN: 0
; COMPUTE_PGM_RSRC2:TIDIG_COMP_CNT: 0
; COMPUTE_PGM_RSRC3_GFX90A:ACCUM_OFFSET: 0
; COMPUTE_PGM_RSRC3_GFX90A:TG_SPLIT: 0
	.section	.text._ZN7rocprim17ROCPRIM_400000_NS6detail17trampoline_kernelINS0_14default_configENS1_20scan_config_selectorIdEEZZNS1_9scan_implILNS1_25lookback_scan_determinismE0ELb1ELb1ES3_N6thrust23THRUST_200600_302600_NS6detail15normal_iteratorINS9_10device_ptrIdEEEESE_d11max_functorIdEdEEDaPvRmT3_T4_T5_mT6_P12ihipStream_tbENKUlT_T0_E_clISt17integral_constantIbLb1EEST_IbLb0EEEEDaSP_SQ_EUlSP_E_NS1_11comp_targetILNS1_3genE9ELNS1_11target_archE1100ELNS1_3gpuE3ELNS1_3repE0EEENS1_30default_config_static_selectorELNS0_4arch9wavefront6targetE1EEEvT1_,"axG",@progbits,_ZN7rocprim17ROCPRIM_400000_NS6detail17trampoline_kernelINS0_14default_configENS1_20scan_config_selectorIdEEZZNS1_9scan_implILNS1_25lookback_scan_determinismE0ELb1ELb1ES3_N6thrust23THRUST_200600_302600_NS6detail15normal_iteratorINS9_10device_ptrIdEEEESE_d11max_functorIdEdEEDaPvRmT3_T4_T5_mT6_P12ihipStream_tbENKUlT_T0_E_clISt17integral_constantIbLb1EEST_IbLb0EEEEDaSP_SQ_EUlSP_E_NS1_11comp_targetILNS1_3genE9ELNS1_11target_archE1100ELNS1_3gpuE3ELNS1_3repE0EEENS1_30default_config_static_selectorELNS0_4arch9wavefront6targetE1EEEvT1_,comdat
	.protected	_ZN7rocprim17ROCPRIM_400000_NS6detail17trampoline_kernelINS0_14default_configENS1_20scan_config_selectorIdEEZZNS1_9scan_implILNS1_25lookback_scan_determinismE0ELb1ELb1ES3_N6thrust23THRUST_200600_302600_NS6detail15normal_iteratorINS9_10device_ptrIdEEEESE_d11max_functorIdEdEEDaPvRmT3_T4_T5_mT6_P12ihipStream_tbENKUlT_T0_E_clISt17integral_constantIbLb1EEST_IbLb0EEEEDaSP_SQ_EUlSP_E_NS1_11comp_targetILNS1_3genE9ELNS1_11target_archE1100ELNS1_3gpuE3ELNS1_3repE0EEENS1_30default_config_static_selectorELNS0_4arch9wavefront6targetE1EEEvT1_ ; -- Begin function _ZN7rocprim17ROCPRIM_400000_NS6detail17trampoline_kernelINS0_14default_configENS1_20scan_config_selectorIdEEZZNS1_9scan_implILNS1_25lookback_scan_determinismE0ELb1ELb1ES3_N6thrust23THRUST_200600_302600_NS6detail15normal_iteratorINS9_10device_ptrIdEEEESE_d11max_functorIdEdEEDaPvRmT3_T4_T5_mT6_P12ihipStream_tbENKUlT_T0_E_clISt17integral_constantIbLb1EEST_IbLb0EEEEDaSP_SQ_EUlSP_E_NS1_11comp_targetILNS1_3genE9ELNS1_11target_archE1100ELNS1_3gpuE3ELNS1_3repE0EEENS1_30default_config_static_selectorELNS0_4arch9wavefront6targetE1EEEvT1_
	.globl	_ZN7rocprim17ROCPRIM_400000_NS6detail17trampoline_kernelINS0_14default_configENS1_20scan_config_selectorIdEEZZNS1_9scan_implILNS1_25lookback_scan_determinismE0ELb1ELb1ES3_N6thrust23THRUST_200600_302600_NS6detail15normal_iteratorINS9_10device_ptrIdEEEESE_d11max_functorIdEdEEDaPvRmT3_T4_T5_mT6_P12ihipStream_tbENKUlT_T0_E_clISt17integral_constantIbLb1EEST_IbLb0EEEEDaSP_SQ_EUlSP_E_NS1_11comp_targetILNS1_3genE9ELNS1_11target_archE1100ELNS1_3gpuE3ELNS1_3repE0EEENS1_30default_config_static_selectorELNS0_4arch9wavefront6targetE1EEEvT1_
	.p2align	8
	.type	_ZN7rocprim17ROCPRIM_400000_NS6detail17trampoline_kernelINS0_14default_configENS1_20scan_config_selectorIdEEZZNS1_9scan_implILNS1_25lookback_scan_determinismE0ELb1ELb1ES3_N6thrust23THRUST_200600_302600_NS6detail15normal_iteratorINS9_10device_ptrIdEEEESE_d11max_functorIdEdEEDaPvRmT3_T4_T5_mT6_P12ihipStream_tbENKUlT_T0_E_clISt17integral_constantIbLb1EEST_IbLb0EEEEDaSP_SQ_EUlSP_E_NS1_11comp_targetILNS1_3genE9ELNS1_11target_archE1100ELNS1_3gpuE3ELNS1_3repE0EEENS1_30default_config_static_selectorELNS0_4arch9wavefront6targetE1EEEvT1_,@function
_ZN7rocprim17ROCPRIM_400000_NS6detail17trampoline_kernelINS0_14default_configENS1_20scan_config_selectorIdEEZZNS1_9scan_implILNS1_25lookback_scan_determinismE0ELb1ELb1ES3_N6thrust23THRUST_200600_302600_NS6detail15normal_iteratorINS9_10device_ptrIdEEEESE_d11max_functorIdEdEEDaPvRmT3_T4_T5_mT6_P12ihipStream_tbENKUlT_T0_E_clISt17integral_constantIbLb1EEST_IbLb0EEEEDaSP_SQ_EUlSP_E_NS1_11comp_targetILNS1_3genE9ELNS1_11target_archE1100ELNS1_3gpuE3ELNS1_3repE0EEENS1_30default_config_static_selectorELNS0_4arch9wavefront6targetE1EEEvT1_: ; @_ZN7rocprim17ROCPRIM_400000_NS6detail17trampoline_kernelINS0_14default_configENS1_20scan_config_selectorIdEEZZNS1_9scan_implILNS1_25lookback_scan_determinismE0ELb1ELb1ES3_N6thrust23THRUST_200600_302600_NS6detail15normal_iteratorINS9_10device_ptrIdEEEESE_d11max_functorIdEdEEDaPvRmT3_T4_T5_mT6_P12ihipStream_tbENKUlT_T0_E_clISt17integral_constantIbLb1EEST_IbLb0EEEEDaSP_SQ_EUlSP_E_NS1_11comp_targetILNS1_3genE9ELNS1_11target_archE1100ELNS1_3gpuE3ELNS1_3repE0EEENS1_30default_config_static_selectorELNS0_4arch9wavefront6targetE1EEEvT1_
; %bb.0:
	.section	.rodata,"a",@progbits
	.p2align	6, 0x0
	.amdhsa_kernel _ZN7rocprim17ROCPRIM_400000_NS6detail17trampoline_kernelINS0_14default_configENS1_20scan_config_selectorIdEEZZNS1_9scan_implILNS1_25lookback_scan_determinismE0ELb1ELb1ES3_N6thrust23THRUST_200600_302600_NS6detail15normal_iteratorINS9_10device_ptrIdEEEESE_d11max_functorIdEdEEDaPvRmT3_T4_T5_mT6_P12ihipStream_tbENKUlT_T0_E_clISt17integral_constantIbLb1EEST_IbLb0EEEEDaSP_SQ_EUlSP_E_NS1_11comp_targetILNS1_3genE9ELNS1_11target_archE1100ELNS1_3gpuE3ELNS1_3repE0EEENS1_30default_config_static_selectorELNS0_4arch9wavefront6targetE1EEEvT1_
		.amdhsa_group_segment_fixed_size 0
		.amdhsa_private_segment_fixed_size 0
		.amdhsa_kernarg_size 104
		.amdhsa_user_sgpr_count 6
		.amdhsa_user_sgpr_private_segment_buffer 1
		.amdhsa_user_sgpr_dispatch_ptr 0
		.amdhsa_user_sgpr_queue_ptr 0
		.amdhsa_user_sgpr_kernarg_segment_ptr 1
		.amdhsa_user_sgpr_dispatch_id 0
		.amdhsa_user_sgpr_flat_scratch_init 0
		.amdhsa_user_sgpr_kernarg_preload_length 0
		.amdhsa_user_sgpr_kernarg_preload_offset 0
		.amdhsa_user_sgpr_private_segment_size 0
		.amdhsa_uses_dynamic_stack 0
		.amdhsa_system_sgpr_private_segment_wavefront_offset 0
		.amdhsa_system_sgpr_workgroup_id_x 1
		.amdhsa_system_sgpr_workgroup_id_y 0
		.amdhsa_system_sgpr_workgroup_id_z 0
		.amdhsa_system_sgpr_workgroup_info 0
		.amdhsa_system_vgpr_workitem_id 0
		.amdhsa_next_free_vgpr 1
		.amdhsa_next_free_sgpr 0
		.amdhsa_accum_offset 4
		.amdhsa_reserve_vcc 0
		.amdhsa_reserve_flat_scratch 0
		.amdhsa_float_round_mode_32 0
		.amdhsa_float_round_mode_16_64 0
		.amdhsa_float_denorm_mode_32 3
		.amdhsa_float_denorm_mode_16_64 3
		.amdhsa_dx10_clamp 1
		.amdhsa_ieee_mode 1
		.amdhsa_fp16_overflow 0
		.amdhsa_tg_split 0
		.amdhsa_exception_fp_ieee_invalid_op 0
		.amdhsa_exception_fp_denorm_src 0
		.amdhsa_exception_fp_ieee_div_zero 0
		.amdhsa_exception_fp_ieee_overflow 0
		.amdhsa_exception_fp_ieee_underflow 0
		.amdhsa_exception_fp_ieee_inexact 0
		.amdhsa_exception_int_div_zero 0
	.end_amdhsa_kernel
	.section	.text._ZN7rocprim17ROCPRIM_400000_NS6detail17trampoline_kernelINS0_14default_configENS1_20scan_config_selectorIdEEZZNS1_9scan_implILNS1_25lookback_scan_determinismE0ELb1ELb1ES3_N6thrust23THRUST_200600_302600_NS6detail15normal_iteratorINS9_10device_ptrIdEEEESE_d11max_functorIdEdEEDaPvRmT3_T4_T5_mT6_P12ihipStream_tbENKUlT_T0_E_clISt17integral_constantIbLb1EEST_IbLb0EEEEDaSP_SQ_EUlSP_E_NS1_11comp_targetILNS1_3genE9ELNS1_11target_archE1100ELNS1_3gpuE3ELNS1_3repE0EEENS1_30default_config_static_selectorELNS0_4arch9wavefront6targetE1EEEvT1_,"axG",@progbits,_ZN7rocprim17ROCPRIM_400000_NS6detail17trampoline_kernelINS0_14default_configENS1_20scan_config_selectorIdEEZZNS1_9scan_implILNS1_25lookback_scan_determinismE0ELb1ELb1ES3_N6thrust23THRUST_200600_302600_NS6detail15normal_iteratorINS9_10device_ptrIdEEEESE_d11max_functorIdEdEEDaPvRmT3_T4_T5_mT6_P12ihipStream_tbENKUlT_T0_E_clISt17integral_constantIbLb1EEST_IbLb0EEEEDaSP_SQ_EUlSP_E_NS1_11comp_targetILNS1_3genE9ELNS1_11target_archE1100ELNS1_3gpuE3ELNS1_3repE0EEENS1_30default_config_static_selectorELNS0_4arch9wavefront6targetE1EEEvT1_,comdat
.Lfunc_end1914:
	.size	_ZN7rocprim17ROCPRIM_400000_NS6detail17trampoline_kernelINS0_14default_configENS1_20scan_config_selectorIdEEZZNS1_9scan_implILNS1_25lookback_scan_determinismE0ELb1ELb1ES3_N6thrust23THRUST_200600_302600_NS6detail15normal_iteratorINS9_10device_ptrIdEEEESE_d11max_functorIdEdEEDaPvRmT3_T4_T5_mT6_P12ihipStream_tbENKUlT_T0_E_clISt17integral_constantIbLb1EEST_IbLb0EEEEDaSP_SQ_EUlSP_E_NS1_11comp_targetILNS1_3genE9ELNS1_11target_archE1100ELNS1_3gpuE3ELNS1_3repE0EEENS1_30default_config_static_selectorELNS0_4arch9wavefront6targetE1EEEvT1_, .Lfunc_end1914-_ZN7rocprim17ROCPRIM_400000_NS6detail17trampoline_kernelINS0_14default_configENS1_20scan_config_selectorIdEEZZNS1_9scan_implILNS1_25lookback_scan_determinismE0ELb1ELb1ES3_N6thrust23THRUST_200600_302600_NS6detail15normal_iteratorINS9_10device_ptrIdEEEESE_d11max_functorIdEdEEDaPvRmT3_T4_T5_mT6_P12ihipStream_tbENKUlT_T0_E_clISt17integral_constantIbLb1EEST_IbLb0EEEEDaSP_SQ_EUlSP_E_NS1_11comp_targetILNS1_3genE9ELNS1_11target_archE1100ELNS1_3gpuE3ELNS1_3repE0EEENS1_30default_config_static_selectorELNS0_4arch9wavefront6targetE1EEEvT1_
                                        ; -- End function
	.section	.AMDGPU.csdata,"",@progbits
; Kernel info:
; codeLenInByte = 0
; NumSgprs: 4
; NumVgprs: 0
; NumAgprs: 0
; TotalNumVgprs: 0
; ScratchSize: 0
; MemoryBound: 0
; FloatMode: 240
; IeeeMode: 1
; LDSByteSize: 0 bytes/workgroup (compile time only)
; SGPRBlocks: 0
; VGPRBlocks: 0
; NumSGPRsForWavesPerEU: 4
; NumVGPRsForWavesPerEU: 1
; AccumOffset: 4
; Occupancy: 8
; WaveLimiterHint : 0
; COMPUTE_PGM_RSRC2:SCRATCH_EN: 0
; COMPUTE_PGM_RSRC2:USER_SGPR: 6
; COMPUTE_PGM_RSRC2:TRAP_HANDLER: 0
; COMPUTE_PGM_RSRC2:TGID_X_EN: 1
; COMPUTE_PGM_RSRC2:TGID_Y_EN: 0
; COMPUTE_PGM_RSRC2:TGID_Z_EN: 0
; COMPUTE_PGM_RSRC2:TIDIG_COMP_CNT: 0
; COMPUTE_PGM_RSRC3_GFX90A:ACCUM_OFFSET: 0
; COMPUTE_PGM_RSRC3_GFX90A:TG_SPLIT: 0
	.section	.text._ZN7rocprim17ROCPRIM_400000_NS6detail17trampoline_kernelINS0_14default_configENS1_20scan_config_selectorIdEEZZNS1_9scan_implILNS1_25lookback_scan_determinismE0ELb1ELb1ES3_N6thrust23THRUST_200600_302600_NS6detail15normal_iteratorINS9_10device_ptrIdEEEESE_d11max_functorIdEdEEDaPvRmT3_T4_T5_mT6_P12ihipStream_tbENKUlT_T0_E_clISt17integral_constantIbLb1EEST_IbLb0EEEEDaSP_SQ_EUlSP_E_NS1_11comp_targetILNS1_3genE8ELNS1_11target_archE1030ELNS1_3gpuE2ELNS1_3repE0EEENS1_30default_config_static_selectorELNS0_4arch9wavefront6targetE1EEEvT1_,"axG",@progbits,_ZN7rocprim17ROCPRIM_400000_NS6detail17trampoline_kernelINS0_14default_configENS1_20scan_config_selectorIdEEZZNS1_9scan_implILNS1_25lookback_scan_determinismE0ELb1ELb1ES3_N6thrust23THRUST_200600_302600_NS6detail15normal_iteratorINS9_10device_ptrIdEEEESE_d11max_functorIdEdEEDaPvRmT3_T4_T5_mT6_P12ihipStream_tbENKUlT_T0_E_clISt17integral_constantIbLb1EEST_IbLb0EEEEDaSP_SQ_EUlSP_E_NS1_11comp_targetILNS1_3genE8ELNS1_11target_archE1030ELNS1_3gpuE2ELNS1_3repE0EEENS1_30default_config_static_selectorELNS0_4arch9wavefront6targetE1EEEvT1_,comdat
	.protected	_ZN7rocprim17ROCPRIM_400000_NS6detail17trampoline_kernelINS0_14default_configENS1_20scan_config_selectorIdEEZZNS1_9scan_implILNS1_25lookback_scan_determinismE0ELb1ELb1ES3_N6thrust23THRUST_200600_302600_NS6detail15normal_iteratorINS9_10device_ptrIdEEEESE_d11max_functorIdEdEEDaPvRmT3_T4_T5_mT6_P12ihipStream_tbENKUlT_T0_E_clISt17integral_constantIbLb1EEST_IbLb0EEEEDaSP_SQ_EUlSP_E_NS1_11comp_targetILNS1_3genE8ELNS1_11target_archE1030ELNS1_3gpuE2ELNS1_3repE0EEENS1_30default_config_static_selectorELNS0_4arch9wavefront6targetE1EEEvT1_ ; -- Begin function _ZN7rocprim17ROCPRIM_400000_NS6detail17trampoline_kernelINS0_14default_configENS1_20scan_config_selectorIdEEZZNS1_9scan_implILNS1_25lookback_scan_determinismE0ELb1ELb1ES3_N6thrust23THRUST_200600_302600_NS6detail15normal_iteratorINS9_10device_ptrIdEEEESE_d11max_functorIdEdEEDaPvRmT3_T4_T5_mT6_P12ihipStream_tbENKUlT_T0_E_clISt17integral_constantIbLb1EEST_IbLb0EEEEDaSP_SQ_EUlSP_E_NS1_11comp_targetILNS1_3genE8ELNS1_11target_archE1030ELNS1_3gpuE2ELNS1_3repE0EEENS1_30default_config_static_selectorELNS0_4arch9wavefront6targetE1EEEvT1_
	.globl	_ZN7rocprim17ROCPRIM_400000_NS6detail17trampoline_kernelINS0_14default_configENS1_20scan_config_selectorIdEEZZNS1_9scan_implILNS1_25lookback_scan_determinismE0ELb1ELb1ES3_N6thrust23THRUST_200600_302600_NS6detail15normal_iteratorINS9_10device_ptrIdEEEESE_d11max_functorIdEdEEDaPvRmT3_T4_T5_mT6_P12ihipStream_tbENKUlT_T0_E_clISt17integral_constantIbLb1EEST_IbLb0EEEEDaSP_SQ_EUlSP_E_NS1_11comp_targetILNS1_3genE8ELNS1_11target_archE1030ELNS1_3gpuE2ELNS1_3repE0EEENS1_30default_config_static_selectorELNS0_4arch9wavefront6targetE1EEEvT1_
	.p2align	8
	.type	_ZN7rocprim17ROCPRIM_400000_NS6detail17trampoline_kernelINS0_14default_configENS1_20scan_config_selectorIdEEZZNS1_9scan_implILNS1_25lookback_scan_determinismE0ELb1ELb1ES3_N6thrust23THRUST_200600_302600_NS6detail15normal_iteratorINS9_10device_ptrIdEEEESE_d11max_functorIdEdEEDaPvRmT3_T4_T5_mT6_P12ihipStream_tbENKUlT_T0_E_clISt17integral_constantIbLb1EEST_IbLb0EEEEDaSP_SQ_EUlSP_E_NS1_11comp_targetILNS1_3genE8ELNS1_11target_archE1030ELNS1_3gpuE2ELNS1_3repE0EEENS1_30default_config_static_selectorELNS0_4arch9wavefront6targetE1EEEvT1_,@function
_ZN7rocprim17ROCPRIM_400000_NS6detail17trampoline_kernelINS0_14default_configENS1_20scan_config_selectorIdEEZZNS1_9scan_implILNS1_25lookback_scan_determinismE0ELb1ELb1ES3_N6thrust23THRUST_200600_302600_NS6detail15normal_iteratorINS9_10device_ptrIdEEEESE_d11max_functorIdEdEEDaPvRmT3_T4_T5_mT6_P12ihipStream_tbENKUlT_T0_E_clISt17integral_constantIbLb1EEST_IbLb0EEEEDaSP_SQ_EUlSP_E_NS1_11comp_targetILNS1_3genE8ELNS1_11target_archE1030ELNS1_3gpuE2ELNS1_3repE0EEENS1_30default_config_static_selectorELNS0_4arch9wavefront6targetE1EEEvT1_: ; @_ZN7rocprim17ROCPRIM_400000_NS6detail17trampoline_kernelINS0_14default_configENS1_20scan_config_selectorIdEEZZNS1_9scan_implILNS1_25lookback_scan_determinismE0ELb1ELb1ES3_N6thrust23THRUST_200600_302600_NS6detail15normal_iteratorINS9_10device_ptrIdEEEESE_d11max_functorIdEdEEDaPvRmT3_T4_T5_mT6_P12ihipStream_tbENKUlT_T0_E_clISt17integral_constantIbLb1EEST_IbLb0EEEEDaSP_SQ_EUlSP_E_NS1_11comp_targetILNS1_3genE8ELNS1_11target_archE1030ELNS1_3gpuE2ELNS1_3repE0EEENS1_30default_config_static_selectorELNS0_4arch9wavefront6targetE1EEEvT1_
; %bb.0:
	.section	.rodata,"a",@progbits
	.p2align	6, 0x0
	.amdhsa_kernel _ZN7rocprim17ROCPRIM_400000_NS6detail17trampoline_kernelINS0_14default_configENS1_20scan_config_selectorIdEEZZNS1_9scan_implILNS1_25lookback_scan_determinismE0ELb1ELb1ES3_N6thrust23THRUST_200600_302600_NS6detail15normal_iteratorINS9_10device_ptrIdEEEESE_d11max_functorIdEdEEDaPvRmT3_T4_T5_mT6_P12ihipStream_tbENKUlT_T0_E_clISt17integral_constantIbLb1EEST_IbLb0EEEEDaSP_SQ_EUlSP_E_NS1_11comp_targetILNS1_3genE8ELNS1_11target_archE1030ELNS1_3gpuE2ELNS1_3repE0EEENS1_30default_config_static_selectorELNS0_4arch9wavefront6targetE1EEEvT1_
		.amdhsa_group_segment_fixed_size 0
		.amdhsa_private_segment_fixed_size 0
		.amdhsa_kernarg_size 104
		.amdhsa_user_sgpr_count 6
		.amdhsa_user_sgpr_private_segment_buffer 1
		.amdhsa_user_sgpr_dispatch_ptr 0
		.amdhsa_user_sgpr_queue_ptr 0
		.amdhsa_user_sgpr_kernarg_segment_ptr 1
		.amdhsa_user_sgpr_dispatch_id 0
		.amdhsa_user_sgpr_flat_scratch_init 0
		.amdhsa_user_sgpr_kernarg_preload_length 0
		.amdhsa_user_sgpr_kernarg_preload_offset 0
		.amdhsa_user_sgpr_private_segment_size 0
		.amdhsa_uses_dynamic_stack 0
		.amdhsa_system_sgpr_private_segment_wavefront_offset 0
		.amdhsa_system_sgpr_workgroup_id_x 1
		.amdhsa_system_sgpr_workgroup_id_y 0
		.amdhsa_system_sgpr_workgroup_id_z 0
		.amdhsa_system_sgpr_workgroup_info 0
		.amdhsa_system_vgpr_workitem_id 0
		.amdhsa_next_free_vgpr 1
		.amdhsa_next_free_sgpr 0
		.amdhsa_accum_offset 4
		.amdhsa_reserve_vcc 0
		.amdhsa_reserve_flat_scratch 0
		.amdhsa_float_round_mode_32 0
		.amdhsa_float_round_mode_16_64 0
		.amdhsa_float_denorm_mode_32 3
		.amdhsa_float_denorm_mode_16_64 3
		.amdhsa_dx10_clamp 1
		.amdhsa_ieee_mode 1
		.amdhsa_fp16_overflow 0
		.amdhsa_tg_split 0
		.amdhsa_exception_fp_ieee_invalid_op 0
		.amdhsa_exception_fp_denorm_src 0
		.amdhsa_exception_fp_ieee_div_zero 0
		.amdhsa_exception_fp_ieee_overflow 0
		.amdhsa_exception_fp_ieee_underflow 0
		.amdhsa_exception_fp_ieee_inexact 0
		.amdhsa_exception_int_div_zero 0
	.end_amdhsa_kernel
	.section	.text._ZN7rocprim17ROCPRIM_400000_NS6detail17trampoline_kernelINS0_14default_configENS1_20scan_config_selectorIdEEZZNS1_9scan_implILNS1_25lookback_scan_determinismE0ELb1ELb1ES3_N6thrust23THRUST_200600_302600_NS6detail15normal_iteratorINS9_10device_ptrIdEEEESE_d11max_functorIdEdEEDaPvRmT3_T4_T5_mT6_P12ihipStream_tbENKUlT_T0_E_clISt17integral_constantIbLb1EEST_IbLb0EEEEDaSP_SQ_EUlSP_E_NS1_11comp_targetILNS1_3genE8ELNS1_11target_archE1030ELNS1_3gpuE2ELNS1_3repE0EEENS1_30default_config_static_selectorELNS0_4arch9wavefront6targetE1EEEvT1_,"axG",@progbits,_ZN7rocprim17ROCPRIM_400000_NS6detail17trampoline_kernelINS0_14default_configENS1_20scan_config_selectorIdEEZZNS1_9scan_implILNS1_25lookback_scan_determinismE0ELb1ELb1ES3_N6thrust23THRUST_200600_302600_NS6detail15normal_iteratorINS9_10device_ptrIdEEEESE_d11max_functorIdEdEEDaPvRmT3_T4_T5_mT6_P12ihipStream_tbENKUlT_T0_E_clISt17integral_constantIbLb1EEST_IbLb0EEEEDaSP_SQ_EUlSP_E_NS1_11comp_targetILNS1_3genE8ELNS1_11target_archE1030ELNS1_3gpuE2ELNS1_3repE0EEENS1_30default_config_static_selectorELNS0_4arch9wavefront6targetE1EEEvT1_,comdat
.Lfunc_end1915:
	.size	_ZN7rocprim17ROCPRIM_400000_NS6detail17trampoline_kernelINS0_14default_configENS1_20scan_config_selectorIdEEZZNS1_9scan_implILNS1_25lookback_scan_determinismE0ELb1ELb1ES3_N6thrust23THRUST_200600_302600_NS6detail15normal_iteratorINS9_10device_ptrIdEEEESE_d11max_functorIdEdEEDaPvRmT3_T4_T5_mT6_P12ihipStream_tbENKUlT_T0_E_clISt17integral_constantIbLb1EEST_IbLb0EEEEDaSP_SQ_EUlSP_E_NS1_11comp_targetILNS1_3genE8ELNS1_11target_archE1030ELNS1_3gpuE2ELNS1_3repE0EEENS1_30default_config_static_selectorELNS0_4arch9wavefront6targetE1EEEvT1_, .Lfunc_end1915-_ZN7rocprim17ROCPRIM_400000_NS6detail17trampoline_kernelINS0_14default_configENS1_20scan_config_selectorIdEEZZNS1_9scan_implILNS1_25lookback_scan_determinismE0ELb1ELb1ES3_N6thrust23THRUST_200600_302600_NS6detail15normal_iteratorINS9_10device_ptrIdEEEESE_d11max_functorIdEdEEDaPvRmT3_T4_T5_mT6_P12ihipStream_tbENKUlT_T0_E_clISt17integral_constantIbLb1EEST_IbLb0EEEEDaSP_SQ_EUlSP_E_NS1_11comp_targetILNS1_3genE8ELNS1_11target_archE1030ELNS1_3gpuE2ELNS1_3repE0EEENS1_30default_config_static_selectorELNS0_4arch9wavefront6targetE1EEEvT1_
                                        ; -- End function
	.section	.AMDGPU.csdata,"",@progbits
; Kernel info:
; codeLenInByte = 0
; NumSgprs: 4
; NumVgprs: 0
; NumAgprs: 0
; TotalNumVgprs: 0
; ScratchSize: 0
; MemoryBound: 0
; FloatMode: 240
; IeeeMode: 1
; LDSByteSize: 0 bytes/workgroup (compile time only)
; SGPRBlocks: 0
; VGPRBlocks: 0
; NumSGPRsForWavesPerEU: 4
; NumVGPRsForWavesPerEU: 1
; AccumOffset: 4
; Occupancy: 8
; WaveLimiterHint : 0
; COMPUTE_PGM_RSRC2:SCRATCH_EN: 0
; COMPUTE_PGM_RSRC2:USER_SGPR: 6
; COMPUTE_PGM_RSRC2:TRAP_HANDLER: 0
; COMPUTE_PGM_RSRC2:TGID_X_EN: 1
; COMPUTE_PGM_RSRC2:TGID_Y_EN: 0
; COMPUTE_PGM_RSRC2:TGID_Z_EN: 0
; COMPUTE_PGM_RSRC2:TIDIG_COMP_CNT: 0
; COMPUTE_PGM_RSRC3_GFX90A:ACCUM_OFFSET: 0
; COMPUTE_PGM_RSRC3_GFX90A:TG_SPLIT: 0
	.section	.text._ZN7rocprim17ROCPRIM_400000_NS6detail17trampoline_kernelINS0_14default_configENS1_20scan_config_selectorIdEEZZNS1_9scan_implILNS1_25lookback_scan_determinismE0ELb1ELb1ES3_N6thrust23THRUST_200600_302600_NS6detail15normal_iteratorINS9_10device_ptrIdEEEESE_d11max_functorIdEdEEDaPvRmT3_T4_T5_mT6_P12ihipStream_tbENKUlT_T0_E_clISt17integral_constantIbLb1EEST_IbLb0EEEEDaSP_SQ_EUlSP_E0_NS1_11comp_targetILNS1_3genE0ELNS1_11target_archE4294967295ELNS1_3gpuE0ELNS1_3repE0EEENS1_30default_config_static_selectorELNS0_4arch9wavefront6targetE1EEEvT1_,"axG",@progbits,_ZN7rocprim17ROCPRIM_400000_NS6detail17trampoline_kernelINS0_14default_configENS1_20scan_config_selectorIdEEZZNS1_9scan_implILNS1_25lookback_scan_determinismE0ELb1ELb1ES3_N6thrust23THRUST_200600_302600_NS6detail15normal_iteratorINS9_10device_ptrIdEEEESE_d11max_functorIdEdEEDaPvRmT3_T4_T5_mT6_P12ihipStream_tbENKUlT_T0_E_clISt17integral_constantIbLb1EEST_IbLb0EEEEDaSP_SQ_EUlSP_E0_NS1_11comp_targetILNS1_3genE0ELNS1_11target_archE4294967295ELNS1_3gpuE0ELNS1_3repE0EEENS1_30default_config_static_selectorELNS0_4arch9wavefront6targetE1EEEvT1_,comdat
	.protected	_ZN7rocprim17ROCPRIM_400000_NS6detail17trampoline_kernelINS0_14default_configENS1_20scan_config_selectorIdEEZZNS1_9scan_implILNS1_25lookback_scan_determinismE0ELb1ELb1ES3_N6thrust23THRUST_200600_302600_NS6detail15normal_iteratorINS9_10device_ptrIdEEEESE_d11max_functorIdEdEEDaPvRmT3_T4_T5_mT6_P12ihipStream_tbENKUlT_T0_E_clISt17integral_constantIbLb1EEST_IbLb0EEEEDaSP_SQ_EUlSP_E0_NS1_11comp_targetILNS1_3genE0ELNS1_11target_archE4294967295ELNS1_3gpuE0ELNS1_3repE0EEENS1_30default_config_static_selectorELNS0_4arch9wavefront6targetE1EEEvT1_ ; -- Begin function _ZN7rocprim17ROCPRIM_400000_NS6detail17trampoline_kernelINS0_14default_configENS1_20scan_config_selectorIdEEZZNS1_9scan_implILNS1_25lookback_scan_determinismE0ELb1ELb1ES3_N6thrust23THRUST_200600_302600_NS6detail15normal_iteratorINS9_10device_ptrIdEEEESE_d11max_functorIdEdEEDaPvRmT3_T4_T5_mT6_P12ihipStream_tbENKUlT_T0_E_clISt17integral_constantIbLb1EEST_IbLb0EEEEDaSP_SQ_EUlSP_E0_NS1_11comp_targetILNS1_3genE0ELNS1_11target_archE4294967295ELNS1_3gpuE0ELNS1_3repE0EEENS1_30default_config_static_selectorELNS0_4arch9wavefront6targetE1EEEvT1_
	.globl	_ZN7rocprim17ROCPRIM_400000_NS6detail17trampoline_kernelINS0_14default_configENS1_20scan_config_selectorIdEEZZNS1_9scan_implILNS1_25lookback_scan_determinismE0ELb1ELb1ES3_N6thrust23THRUST_200600_302600_NS6detail15normal_iteratorINS9_10device_ptrIdEEEESE_d11max_functorIdEdEEDaPvRmT3_T4_T5_mT6_P12ihipStream_tbENKUlT_T0_E_clISt17integral_constantIbLb1EEST_IbLb0EEEEDaSP_SQ_EUlSP_E0_NS1_11comp_targetILNS1_3genE0ELNS1_11target_archE4294967295ELNS1_3gpuE0ELNS1_3repE0EEENS1_30default_config_static_selectorELNS0_4arch9wavefront6targetE1EEEvT1_
	.p2align	8
	.type	_ZN7rocprim17ROCPRIM_400000_NS6detail17trampoline_kernelINS0_14default_configENS1_20scan_config_selectorIdEEZZNS1_9scan_implILNS1_25lookback_scan_determinismE0ELb1ELb1ES3_N6thrust23THRUST_200600_302600_NS6detail15normal_iteratorINS9_10device_ptrIdEEEESE_d11max_functorIdEdEEDaPvRmT3_T4_T5_mT6_P12ihipStream_tbENKUlT_T0_E_clISt17integral_constantIbLb1EEST_IbLb0EEEEDaSP_SQ_EUlSP_E0_NS1_11comp_targetILNS1_3genE0ELNS1_11target_archE4294967295ELNS1_3gpuE0ELNS1_3repE0EEENS1_30default_config_static_selectorELNS0_4arch9wavefront6targetE1EEEvT1_,@function
_ZN7rocprim17ROCPRIM_400000_NS6detail17trampoline_kernelINS0_14default_configENS1_20scan_config_selectorIdEEZZNS1_9scan_implILNS1_25lookback_scan_determinismE0ELb1ELb1ES3_N6thrust23THRUST_200600_302600_NS6detail15normal_iteratorINS9_10device_ptrIdEEEESE_d11max_functorIdEdEEDaPvRmT3_T4_T5_mT6_P12ihipStream_tbENKUlT_T0_E_clISt17integral_constantIbLb1EEST_IbLb0EEEEDaSP_SQ_EUlSP_E0_NS1_11comp_targetILNS1_3genE0ELNS1_11target_archE4294967295ELNS1_3gpuE0ELNS1_3repE0EEENS1_30default_config_static_selectorELNS0_4arch9wavefront6targetE1EEEvT1_: ; @_ZN7rocprim17ROCPRIM_400000_NS6detail17trampoline_kernelINS0_14default_configENS1_20scan_config_selectorIdEEZZNS1_9scan_implILNS1_25lookback_scan_determinismE0ELb1ELb1ES3_N6thrust23THRUST_200600_302600_NS6detail15normal_iteratorINS9_10device_ptrIdEEEESE_d11max_functorIdEdEEDaPvRmT3_T4_T5_mT6_P12ihipStream_tbENKUlT_T0_E_clISt17integral_constantIbLb1EEST_IbLb0EEEEDaSP_SQ_EUlSP_E0_NS1_11comp_targetILNS1_3genE0ELNS1_11target_archE4294967295ELNS1_3gpuE0ELNS1_3repE0EEENS1_30default_config_static_selectorELNS0_4arch9wavefront6targetE1EEEvT1_
; %bb.0:
	.section	.rodata,"a",@progbits
	.p2align	6, 0x0
	.amdhsa_kernel _ZN7rocprim17ROCPRIM_400000_NS6detail17trampoline_kernelINS0_14default_configENS1_20scan_config_selectorIdEEZZNS1_9scan_implILNS1_25lookback_scan_determinismE0ELb1ELb1ES3_N6thrust23THRUST_200600_302600_NS6detail15normal_iteratorINS9_10device_ptrIdEEEESE_d11max_functorIdEdEEDaPvRmT3_T4_T5_mT6_P12ihipStream_tbENKUlT_T0_E_clISt17integral_constantIbLb1EEST_IbLb0EEEEDaSP_SQ_EUlSP_E0_NS1_11comp_targetILNS1_3genE0ELNS1_11target_archE4294967295ELNS1_3gpuE0ELNS1_3repE0EEENS1_30default_config_static_selectorELNS0_4arch9wavefront6targetE1EEEvT1_
		.amdhsa_group_segment_fixed_size 0
		.amdhsa_private_segment_fixed_size 0
		.amdhsa_kernarg_size 40
		.amdhsa_user_sgpr_count 6
		.amdhsa_user_sgpr_private_segment_buffer 1
		.amdhsa_user_sgpr_dispatch_ptr 0
		.amdhsa_user_sgpr_queue_ptr 0
		.amdhsa_user_sgpr_kernarg_segment_ptr 1
		.amdhsa_user_sgpr_dispatch_id 0
		.amdhsa_user_sgpr_flat_scratch_init 0
		.amdhsa_user_sgpr_kernarg_preload_length 0
		.amdhsa_user_sgpr_kernarg_preload_offset 0
		.amdhsa_user_sgpr_private_segment_size 0
		.amdhsa_uses_dynamic_stack 0
		.amdhsa_system_sgpr_private_segment_wavefront_offset 0
		.amdhsa_system_sgpr_workgroup_id_x 1
		.amdhsa_system_sgpr_workgroup_id_y 0
		.amdhsa_system_sgpr_workgroup_id_z 0
		.amdhsa_system_sgpr_workgroup_info 0
		.amdhsa_system_vgpr_workitem_id 0
		.amdhsa_next_free_vgpr 1
		.amdhsa_next_free_sgpr 0
		.amdhsa_accum_offset 4
		.amdhsa_reserve_vcc 0
		.amdhsa_reserve_flat_scratch 0
		.amdhsa_float_round_mode_32 0
		.amdhsa_float_round_mode_16_64 0
		.amdhsa_float_denorm_mode_32 3
		.amdhsa_float_denorm_mode_16_64 3
		.amdhsa_dx10_clamp 1
		.amdhsa_ieee_mode 1
		.amdhsa_fp16_overflow 0
		.amdhsa_tg_split 0
		.amdhsa_exception_fp_ieee_invalid_op 0
		.amdhsa_exception_fp_denorm_src 0
		.amdhsa_exception_fp_ieee_div_zero 0
		.amdhsa_exception_fp_ieee_overflow 0
		.amdhsa_exception_fp_ieee_underflow 0
		.amdhsa_exception_fp_ieee_inexact 0
		.amdhsa_exception_int_div_zero 0
	.end_amdhsa_kernel
	.section	.text._ZN7rocprim17ROCPRIM_400000_NS6detail17trampoline_kernelINS0_14default_configENS1_20scan_config_selectorIdEEZZNS1_9scan_implILNS1_25lookback_scan_determinismE0ELb1ELb1ES3_N6thrust23THRUST_200600_302600_NS6detail15normal_iteratorINS9_10device_ptrIdEEEESE_d11max_functorIdEdEEDaPvRmT3_T4_T5_mT6_P12ihipStream_tbENKUlT_T0_E_clISt17integral_constantIbLb1EEST_IbLb0EEEEDaSP_SQ_EUlSP_E0_NS1_11comp_targetILNS1_3genE0ELNS1_11target_archE4294967295ELNS1_3gpuE0ELNS1_3repE0EEENS1_30default_config_static_selectorELNS0_4arch9wavefront6targetE1EEEvT1_,"axG",@progbits,_ZN7rocprim17ROCPRIM_400000_NS6detail17trampoline_kernelINS0_14default_configENS1_20scan_config_selectorIdEEZZNS1_9scan_implILNS1_25lookback_scan_determinismE0ELb1ELb1ES3_N6thrust23THRUST_200600_302600_NS6detail15normal_iteratorINS9_10device_ptrIdEEEESE_d11max_functorIdEdEEDaPvRmT3_T4_T5_mT6_P12ihipStream_tbENKUlT_T0_E_clISt17integral_constantIbLb1EEST_IbLb0EEEEDaSP_SQ_EUlSP_E0_NS1_11comp_targetILNS1_3genE0ELNS1_11target_archE4294967295ELNS1_3gpuE0ELNS1_3repE0EEENS1_30default_config_static_selectorELNS0_4arch9wavefront6targetE1EEEvT1_,comdat
.Lfunc_end1916:
	.size	_ZN7rocprim17ROCPRIM_400000_NS6detail17trampoline_kernelINS0_14default_configENS1_20scan_config_selectorIdEEZZNS1_9scan_implILNS1_25lookback_scan_determinismE0ELb1ELb1ES3_N6thrust23THRUST_200600_302600_NS6detail15normal_iteratorINS9_10device_ptrIdEEEESE_d11max_functorIdEdEEDaPvRmT3_T4_T5_mT6_P12ihipStream_tbENKUlT_T0_E_clISt17integral_constantIbLb1EEST_IbLb0EEEEDaSP_SQ_EUlSP_E0_NS1_11comp_targetILNS1_3genE0ELNS1_11target_archE4294967295ELNS1_3gpuE0ELNS1_3repE0EEENS1_30default_config_static_selectorELNS0_4arch9wavefront6targetE1EEEvT1_, .Lfunc_end1916-_ZN7rocprim17ROCPRIM_400000_NS6detail17trampoline_kernelINS0_14default_configENS1_20scan_config_selectorIdEEZZNS1_9scan_implILNS1_25lookback_scan_determinismE0ELb1ELb1ES3_N6thrust23THRUST_200600_302600_NS6detail15normal_iteratorINS9_10device_ptrIdEEEESE_d11max_functorIdEdEEDaPvRmT3_T4_T5_mT6_P12ihipStream_tbENKUlT_T0_E_clISt17integral_constantIbLb1EEST_IbLb0EEEEDaSP_SQ_EUlSP_E0_NS1_11comp_targetILNS1_3genE0ELNS1_11target_archE4294967295ELNS1_3gpuE0ELNS1_3repE0EEENS1_30default_config_static_selectorELNS0_4arch9wavefront6targetE1EEEvT1_
                                        ; -- End function
	.section	.AMDGPU.csdata,"",@progbits
; Kernel info:
; codeLenInByte = 0
; NumSgprs: 4
; NumVgprs: 0
; NumAgprs: 0
; TotalNumVgprs: 0
; ScratchSize: 0
; MemoryBound: 0
; FloatMode: 240
; IeeeMode: 1
; LDSByteSize: 0 bytes/workgroup (compile time only)
; SGPRBlocks: 0
; VGPRBlocks: 0
; NumSGPRsForWavesPerEU: 4
; NumVGPRsForWavesPerEU: 1
; AccumOffset: 4
; Occupancy: 8
; WaveLimiterHint : 0
; COMPUTE_PGM_RSRC2:SCRATCH_EN: 0
; COMPUTE_PGM_RSRC2:USER_SGPR: 6
; COMPUTE_PGM_RSRC2:TRAP_HANDLER: 0
; COMPUTE_PGM_RSRC2:TGID_X_EN: 1
; COMPUTE_PGM_RSRC2:TGID_Y_EN: 0
; COMPUTE_PGM_RSRC2:TGID_Z_EN: 0
; COMPUTE_PGM_RSRC2:TIDIG_COMP_CNT: 0
; COMPUTE_PGM_RSRC3_GFX90A:ACCUM_OFFSET: 0
; COMPUTE_PGM_RSRC3_GFX90A:TG_SPLIT: 0
	.section	.text._ZN7rocprim17ROCPRIM_400000_NS6detail17trampoline_kernelINS0_14default_configENS1_20scan_config_selectorIdEEZZNS1_9scan_implILNS1_25lookback_scan_determinismE0ELb1ELb1ES3_N6thrust23THRUST_200600_302600_NS6detail15normal_iteratorINS9_10device_ptrIdEEEESE_d11max_functorIdEdEEDaPvRmT3_T4_T5_mT6_P12ihipStream_tbENKUlT_T0_E_clISt17integral_constantIbLb1EEST_IbLb0EEEEDaSP_SQ_EUlSP_E0_NS1_11comp_targetILNS1_3genE5ELNS1_11target_archE942ELNS1_3gpuE9ELNS1_3repE0EEENS1_30default_config_static_selectorELNS0_4arch9wavefront6targetE1EEEvT1_,"axG",@progbits,_ZN7rocprim17ROCPRIM_400000_NS6detail17trampoline_kernelINS0_14default_configENS1_20scan_config_selectorIdEEZZNS1_9scan_implILNS1_25lookback_scan_determinismE0ELb1ELb1ES3_N6thrust23THRUST_200600_302600_NS6detail15normal_iteratorINS9_10device_ptrIdEEEESE_d11max_functorIdEdEEDaPvRmT3_T4_T5_mT6_P12ihipStream_tbENKUlT_T0_E_clISt17integral_constantIbLb1EEST_IbLb0EEEEDaSP_SQ_EUlSP_E0_NS1_11comp_targetILNS1_3genE5ELNS1_11target_archE942ELNS1_3gpuE9ELNS1_3repE0EEENS1_30default_config_static_selectorELNS0_4arch9wavefront6targetE1EEEvT1_,comdat
	.protected	_ZN7rocprim17ROCPRIM_400000_NS6detail17trampoline_kernelINS0_14default_configENS1_20scan_config_selectorIdEEZZNS1_9scan_implILNS1_25lookback_scan_determinismE0ELb1ELb1ES3_N6thrust23THRUST_200600_302600_NS6detail15normal_iteratorINS9_10device_ptrIdEEEESE_d11max_functorIdEdEEDaPvRmT3_T4_T5_mT6_P12ihipStream_tbENKUlT_T0_E_clISt17integral_constantIbLb1EEST_IbLb0EEEEDaSP_SQ_EUlSP_E0_NS1_11comp_targetILNS1_3genE5ELNS1_11target_archE942ELNS1_3gpuE9ELNS1_3repE0EEENS1_30default_config_static_selectorELNS0_4arch9wavefront6targetE1EEEvT1_ ; -- Begin function _ZN7rocprim17ROCPRIM_400000_NS6detail17trampoline_kernelINS0_14default_configENS1_20scan_config_selectorIdEEZZNS1_9scan_implILNS1_25lookback_scan_determinismE0ELb1ELb1ES3_N6thrust23THRUST_200600_302600_NS6detail15normal_iteratorINS9_10device_ptrIdEEEESE_d11max_functorIdEdEEDaPvRmT3_T4_T5_mT6_P12ihipStream_tbENKUlT_T0_E_clISt17integral_constantIbLb1EEST_IbLb0EEEEDaSP_SQ_EUlSP_E0_NS1_11comp_targetILNS1_3genE5ELNS1_11target_archE942ELNS1_3gpuE9ELNS1_3repE0EEENS1_30default_config_static_selectorELNS0_4arch9wavefront6targetE1EEEvT1_
	.globl	_ZN7rocprim17ROCPRIM_400000_NS6detail17trampoline_kernelINS0_14default_configENS1_20scan_config_selectorIdEEZZNS1_9scan_implILNS1_25lookback_scan_determinismE0ELb1ELb1ES3_N6thrust23THRUST_200600_302600_NS6detail15normal_iteratorINS9_10device_ptrIdEEEESE_d11max_functorIdEdEEDaPvRmT3_T4_T5_mT6_P12ihipStream_tbENKUlT_T0_E_clISt17integral_constantIbLb1EEST_IbLb0EEEEDaSP_SQ_EUlSP_E0_NS1_11comp_targetILNS1_3genE5ELNS1_11target_archE942ELNS1_3gpuE9ELNS1_3repE0EEENS1_30default_config_static_selectorELNS0_4arch9wavefront6targetE1EEEvT1_
	.p2align	8
	.type	_ZN7rocprim17ROCPRIM_400000_NS6detail17trampoline_kernelINS0_14default_configENS1_20scan_config_selectorIdEEZZNS1_9scan_implILNS1_25lookback_scan_determinismE0ELb1ELb1ES3_N6thrust23THRUST_200600_302600_NS6detail15normal_iteratorINS9_10device_ptrIdEEEESE_d11max_functorIdEdEEDaPvRmT3_T4_T5_mT6_P12ihipStream_tbENKUlT_T0_E_clISt17integral_constantIbLb1EEST_IbLb0EEEEDaSP_SQ_EUlSP_E0_NS1_11comp_targetILNS1_3genE5ELNS1_11target_archE942ELNS1_3gpuE9ELNS1_3repE0EEENS1_30default_config_static_selectorELNS0_4arch9wavefront6targetE1EEEvT1_,@function
_ZN7rocprim17ROCPRIM_400000_NS6detail17trampoline_kernelINS0_14default_configENS1_20scan_config_selectorIdEEZZNS1_9scan_implILNS1_25lookback_scan_determinismE0ELb1ELb1ES3_N6thrust23THRUST_200600_302600_NS6detail15normal_iteratorINS9_10device_ptrIdEEEESE_d11max_functorIdEdEEDaPvRmT3_T4_T5_mT6_P12ihipStream_tbENKUlT_T0_E_clISt17integral_constantIbLb1EEST_IbLb0EEEEDaSP_SQ_EUlSP_E0_NS1_11comp_targetILNS1_3genE5ELNS1_11target_archE942ELNS1_3gpuE9ELNS1_3repE0EEENS1_30default_config_static_selectorELNS0_4arch9wavefront6targetE1EEEvT1_: ; @_ZN7rocprim17ROCPRIM_400000_NS6detail17trampoline_kernelINS0_14default_configENS1_20scan_config_selectorIdEEZZNS1_9scan_implILNS1_25lookback_scan_determinismE0ELb1ELb1ES3_N6thrust23THRUST_200600_302600_NS6detail15normal_iteratorINS9_10device_ptrIdEEEESE_d11max_functorIdEdEEDaPvRmT3_T4_T5_mT6_P12ihipStream_tbENKUlT_T0_E_clISt17integral_constantIbLb1EEST_IbLb0EEEEDaSP_SQ_EUlSP_E0_NS1_11comp_targetILNS1_3genE5ELNS1_11target_archE942ELNS1_3gpuE9ELNS1_3repE0EEENS1_30default_config_static_selectorELNS0_4arch9wavefront6targetE1EEEvT1_
; %bb.0:
	.section	.rodata,"a",@progbits
	.p2align	6, 0x0
	.amdhsa_kernel _ZN7rocprim17ROCPRIM_400000_NS6detail17trampoline_kernelINS0_14default_configENS1_20scan_config_selectorIdEEZZNS1_9scan_implILNS1_25lookback_scan_determinismE0ELb1ELb1ES3_N6thrust23THRUST_200600_302600_NS6detail15normal_iteratorINS9_10device_ptrIdEEEESE_d11max_functorIdEdEEDaPvRmT3_T4_T5_mT6_P12ihipStream_tbENKUlT_T0_E_clISt17integral_constantIbLb1EEST_IbLb0EEEEDaSP_SQ_EUlSP_E0_NS1_11comp_targetILNS1_3genE5ELNS1_11target_archE942ELNS1_3gpuE9ELNS1_3repE0EEENS1_30default_config_static_selectorELNS0_4arch9wavefront6targetE1EEEvT1_
		.amdhsa_group_segment_fixed_size 0
		.amdhsa_private_segment_fixed_size 0
		.amdhsa_kernarg_size 40
		.amdhsa_user_sgpr_count 6
		.amdhsa_user_sgpr_private_segment_buffer 1
		.amdhsa_user_sgpr_dispatch_ptr 0
		.amdhsa_user_sgpr_queue_ptr 0
		.amdhsa_user_sgpr_kernarg_segment_ptr 1
		.amdhsa_user_sgpr_dispatch_id 0
		.amdhsa_user_sgpr_flat_scratch_init 0
		.amdhsa_user_sgpr_kernarg_preload_length 0
		.amdhsa_user_sgpr_kernarg_preload_offset 0
		.amdhsa_user_sgpr_private_segment_size 0
		.amdhsa_uses_dynamic_stack 0
		.amdhsa_system_sgpr_private_segment_wavefront_offset 0
		.amdhsa_system_sgpr_workgroup_id_x 1
		.amdhsa_system_sgpr_workgroup_id_y 0
		.amdhsa_system_sgpr_workgroup_id_z 0
		.amdhsa_system_sgpr_workgroup_info 0
		.amdhsa_system_vgpr_workitem_id 0
		.amdhsa_next_free_vgpr 1
		.amdhsa_next_free_sgpr 0
		.amdhsa_accum_offset 4
		.amdhsa_reserve_vcc 0
		.amdhsa_reserve_flat_scratch 0
		.amdhsa_float_round_mode_32 0
		.amdhsa_float_round_mode_16_64 0
		.amdhsa_float_denorm_mode_32 3
		.amdhsa_float_denorm_mode_16_64 3
		.amdhsa_dx10_clamp 1
		.amdhsa_ieee_mode 1
		.amdhsa_fp16_overflow 0
		.amdhsa_tg_split 0
		.amdhsa_exception_fp_ieee_invalid_op 0
		.amdhsa_exception_fp_denorm_src 0
		.amdhsa_exception_fp_ieee_div_zero 0
		.amdhsa_exception_fp_ieee_overflow 0
		.amdhsa_exception_fp_ieee_underflow 0
		.amdhsa_exception_fp_ieee_inexact 0
		.amdhsa_exception_int_div_zero 0
	.end_amdhsa_kernel
	.section	.text._ZN7rocprim17ROCPRIM_400000_NS6detail17trampoline_kernelINS0_14default_configENS1_20scan_config_selectorIdEEZZNS1_9scan_implILNS1_25lookback_scan_determinismE0ELb1ELb1ES3_N6thrust23THRUST_200600_302600_NS6detail15normal_iteratorINS9_10device_ptrIdEEEESE_d11max_functorIdEdEEDaPvRmT3_T4_T5_mT6_P12ihipStream_tbENKUlT_T0_E_clISt17integral_constantIbLb1EEST_IbLb0EEEEDaSP_SQ_EUlSP_E0_NS1_11comp_targetILNS1_3genE5ELNS1_11target_archE942ELNS1_3gpuE9ELNS1_3repE0EEENS1_30default_config_static_selectorELNS0_4arch9wavefront6targetE1EEEvT1_,"axG",@progbits,_ZN7rocprim17ROCPRIM_400000_NS6detail17trampoline_kernelINS0_14default_configENS1_20scan_config_selectorIdEEZZNS1_9scan_implILNS1_25lookback_scan_determinismE0ELb1ELb1ES3_N6thrust23THRUST_200600_302600_NS6detail15normal_iteratorINS9_10device_ptrIdEEEESE_d11max_functorIdEdEEDaPvRmT3_T4_T5_mT6_P12ihipStream_tbENKUlT_T0_E_clISt17integral_constantIbLb1EEST_IbLb0EEEEDaSP_SQ_EUlSP_E0_NS1_11comp_targetILNS1_3genE5ELNS1_11target_archE942ELNS1_3gpuE9ELNS1_3repE0EEENS1_30default_config_static_selectorELNS0_4arch9wavefront6targetE1EEEvT1_,comdat
.Lfunc_end1917:
	.size	_ZN7rocprim17ROCPRIM_400000_NS6detail17trampoline_kernelINS0_14default_configENS1_20scan_config_selectorIdEEZZNS1_9scan_implILNS1_25lookback_scan_determinismE0ELb1ELb1ES3_N6thrust23THRUST_200600_302600_NS6detail15normal_iteratorINS9_10device_ptrIdEEEESE_d11max_functorIdEdEEDaPvRmT3_T4_T5_mT6_P12ihipStream_tbENKUlT_T0_E_clISt17integral_constantIbLb1EEST_IbLb0EEEEDaSP_SQ_EUlSP_E0_NS1_11comp_targetILNS1_3genE5ELNS1_11target_archE942ELNS1_3gpuE9ELNS1_3repE0EEENS1_30default_config_static_selectorELNS0_4arch9wavefront6targetE1EEEvT1_, .Lfunc_end1917-_ZN7rocprim17ROCPRIM_400000_NS6detail17trampoline_kernelINS0_14default_configENS1_20scan_config_selectorIdEEZZNS1_9scan_implILNS1_25lookback_scan_determinismE0ELb1ELb1ES3_N6thrust23THRUST_200600_302600_NS6detail15normal_iteratorINS9_10device_ptrIdEEEESE_d11max_functorIdEdEEDaPvRmT3_T4_T5_mT6_P12ihipStream_tbENKUlT_T0_E_clISt17integral_constantIbLb1EEST_IbLb0EEEEDaSP_SQ_EUlSP_E0_NS1_11comp_targetILNS1_3genE5ELNS1_11target_archE942ELNS1_3gpuE9ELNS1_3repE0EEENS1_30default_config_static_selectorELNS0_4arch9wavefront6targetE1EEEvT1_
                                        ; -- End function
	.section	.AMDGPU.csdata,"",@progbits
; Kernel info:
; codeLenInByte = 0
; NumSgprs: 4
; NumVgprs: 0
; NumAgprs: 0
; TotalNumVgprs: 0
; ScratchSize: 0
; MemoryBound: 0
; FloatMode: 240
; IeeeMode: 1
; LDSByteSize: 0 bytes/workgroup (compile time only)
; SGPRBlocks: 0
; VGPRBlocks: 0
; NumSGPRsForWavesPerEU: 4
; NumVGPRsForWavesPerEU: 1
; AccumOffset: 4
; Occupancy: 8
; WaveLimiterHint : 0
; COMPUTE_PGM_RSRC2:SCRATCH_EN: 0
; COMPUTE_PGM_RSRC2:USER_SGPR: 6
; COMPUTE_PGM_RSRC2:TRAP_HANDLER: 0
; COMPUTE_PGM_RSRC2:TGID_X_EN: 1
; COMPUTE_PGM_RSRC2:TGID_Y_EN: 0
; COMPUTE_PGM_RSRC2:TGID_Z_EN: 0
; COMPUTE_PGM_RSRC2:TIDIG_COMP_CNT: 0
; COMPUTE_PGM_RSRC3_GFX90A:ACCUM_OFFSET: 0
; COMPUTE_PGM_RSRC3_GFX90A:TG_SPLIT: 0
	.section	.text._ZN7rocprim17ROCPRIM_400000_NS6detail17trampoline_kernelINS0_14default_configENS1_20scan_config_selectorIdEEZZNS1_9scan_implILNS1_25lookback_scan_determinismE0ELb1ELb1ES3_N6thrust23THRUST_200600_302600_NS6detail15normal_iteratorINS9_10device_ptrIdEEEESE_d11max_functorIdEdEEDaPvRmT3_T4_T5_mT6_P12ihipStream_tbENKUlT_T0_E_clISt17integral_constantIbLb1EEST_IbLb0EEEEDaSP_SQ_EUlSP_E0_NS1_11comp_targetILNS1_3genE4ELNS1_11target_archE910ELNS1_3gpuE8ELNS1_3repE0EEENS1_30default_config_static_selectorELNS0_4arch9wavefront6targetE1EEEvT1_,"axG",@progbits,_ZN7rocprim17ROCPRIM_400000_NS6detail17trampoline_kernelINS0_14default_configENS1_20scan_config_selectorIdEEZZNS1_9scan_implILNS1_25lookback_scan_determinismE0ELb1ELb1ES3_N6thrust23THRUST_200600_302600_NS6detail15normal_iteratorINS9_10device_ptrIdEEEESE_d11max_functorIdEdEEDaPvRmT3_T4_T5_mT6_P12ihipStream_tbENKUlT_T0_E_clISt17integral_constantIbLb1EEST_IbLb0EEEEDaSP_SQ_EUlSP_E0_NS1_11comp_targetILNS1_3genE4ELNS1_11target_archE910ELNS1_3gpuE8ELNS1_3repE0EEENS1_30default_config_static_selectorELNS0_4arch9wavefront6targetE1EEEvT1_,comdat
	.protected	_ZN7rocprim17ROCPRIM_400000_NS6detail17trampoline_kernelINS0_14default_configENS1_20scan_config_selectorIdEEZZNS1_9scan_implILNS1_25lookback_scan_determinismE0ELb1ELb1ES3_N6thrust23THRUST_200600_302600_NS6detail15normal_iteratorINS9_10device_ptrIdEEEESE_d11max_functorIdEdEEDaPvRmT3_T4_T5_mT6_P12ihipStream_tbENKUlT_T0_E_clISt17integral_constantIbLb1EEST_IbLb0EEEEDaSP_SQ_EUlSP_E0_NS1_11comp_targetILNS1_3genE4ELNS1_11target_archE910ELNS1_3gpuE8ELNS1_3repE0EEENS1_30default_config_static_selectorELNS0_4arch9wavefront6targetE1EEEvT1_ ; -- Begin function _ZN7rocprim17ROCPRIM_400000_NS6detail17trampoline_kernelINS0_14default_configENS1_20scan_config_selectorIdEEZZNS1_9scan_implILNS1_25lookback_scan_determinismE0ELb1ELb1ES3_N6thrust23THRUST_200600_302600_NS6detail15normal_iteratorINS9_10device_ptrIdEEEESE_d11max_functorIdEdEEDaPvRmT3_T4_T5_mT6_P12ihipStream_tbENKUlT_T0_E_clISt17integral_constantIbLb1EEST_IbLb0EEEEDaSP_SQ_EUlSP_E0_NS1_11comp_targetILNS1_3genE4ELNS1_11target_archE910ELNS1_3gpuE8ELNS1_3repE0EEENS1_30default_config_static_selectorELNS0_4arch9wavefront6targetE1EEEvT1_
	.globl	_ZN7rocprim17ROCPRIM_400000_NS6detail17trampoline_kernelINS0_14default_configENS1_20scan_config_selectorIdEEZZNS1_9scan_implILNS1_25lookback_scan_determinismE0ELb1ELb1ES3_N6thrust23THRUST_200600_302600_NS6detail15normal_iteratorINS9_10device_ptrIdEEEESE_d11max_functorIdEdEEDaPvRmT3_T4_T5_mT6_P12ihipStream_tbENKUlT_T0_E_clISt17integral_constantIbLb1EEST_IbLb0EEEEDaSP_SQ_EUlSP_E0_NS1_11comp_targetILNS1_3genE4ELNS1_11target_archE910ELNS1_3gpuE8ELNS1_3repE0EEENS1_30default_config_static_selectorELNS0_4arch9wavefront6targetE1EEEvT1_
	.p2align	8
	.type	_ZN7rocprim17ROCPRIM_400000_NS6detail17trampoline_kernelINS0_14default_configENS1_20scan_config_selectorIdEEZZNS1_9scan_implILNS1_25lookback_scan_determinismE0ELb1ELb1ES3_N6thrust23THRUST_200600_302600_NS6detail15normal_iteratorINS9_10device_ptrIdEEEESE_d11max_functorIdEdEEDaPvRmT3_T4_T5_mT6_P12ihipStream_tbENKUlT_T0_E_clISt17integral_constantIbLb1EEST_IbLb0EEEEDaSP_SQ_EUlSP_E0_NS1_11comp_targetILNS1_3genE4ELNS1_11target_archE910ELNS1_3gpuE8ELNS1_3repE0EEENS1_30default_config_static_selectorELNS0_4arch9wavefront6targetE1EEEvT1_,@function
_ZN7rocprim17ROCPRIM_400000_NS6detail17trampoline_kernelINS0_14default_configENS1_20scan_config_selectorIdEEZZNS1_9scan_implILNS1_25lookback_scan_determinismE0ELb1ELb1ES3_N6thrust23THRUST_200600_302600_NS6detail15normal_iteratorINS9_10device_ptrIdEEEESE_d11max_functorIdEdEEDaPvRmT3_T4_T5_mT6_P12ihipStream_tbENKUlT_T0_E_clISt17integral_constantIbLb1EEST_IbLb0EEEEDaSP_SQ_EUlSP_E0_NS1_11comp_targetILNS1_3genE4ELNS1_11target_archE910ELNS1_3gpuE8ELNS1_3repE0EEENS1_30default_config_static_selectorELNS0_4arch9wavefront6targetE1EEEvT1_: ; @_ZN7rocprim17ROCPRIM_400000_NS6detail17trampoline_kernelINS0_14default_configENS1_20scan_config_selectorIdEEZZNS1_9scan_implILNS1_25lookback_scan_determinismE0ELb1ELb1ES3_N6thrust23THRUST_200600_302600_NS6detail15normal_iteratorINS9_10device_ptrIdEEEESE_d11max_functorIdEdEEDaPvRmT3_T4_T5_mT6_P12ihipStream_tbENKUlT_T0_E_clISt17integral_constantIbLb1EEST_IbLb0EEEEDaSP_SQ_EUlSP_E0_NS1_11comp_targetILNS1_3genE4ELNS1_11target_archE910ELNS1_3gpuE8ELNS1_3repE0EEENS1_30default_config_static_selectorELNS0_4arch9wavefront6targetE1EEEvT1_
; %bb.0:
	s_load_dwordx4 s[20:23], s[4:5], 0x0
	v_lshlrev_b32_e32 v24, 3, v0
	s_waitcnt lgkmcnt(0)
	s_load_dwordx2 s[24:25], s[20:21], 0x0
	v_cmp_gt_u32_e32 vcc, s22, v0
	s_waitcnt lgkmcnt(0)
	v_pk_mov_b32 v[2:3], s[24:25], s[24:25] op_sel:[0,1]
	s_and_saveexec_b64 s[0:1], vcc
	s_cbranch_execz .LBB1918_2
; %bb.1:
	global_load_dwordx2 v[2:3], v24, s[20:21]
.LBB1918_2:
	s_or_b64 exec, exec, s[0:1]
	v_or_b32_e32 v1, 0x80, v0
	v_cmp_gt_u32_e64 s[0:1], s22, v1
	v_pk_mov_b32 v[4:5], s[24:25], s[24:25] op_sel:[0,1]
	s_and_saveexec_b64 s[2:3], s[0:1]
	s_cbranch_execz .LBB1918_4
; %bb.3:
	global_load_dwordx2 v[4:5], v24, s[20:21] offset:1024
.LBB1918_4:
	s_or_b64 exec, exec, s[2:3]
	v_or_b32_e32 v1, 0x100, v0
	v_cmp_gt_u32_e64 s[2:3], s22, v1
	v_pk_mov_b32 v[6:7], s[24:25], s[24:25] op_sel:[0,1]
	s_and_saveexec_b64 s[6:7], s[2:3]
	s_cbranch_execz .LBB1918_6
; %bb.5:
	global_load_dwordx2 v[6:7], v24, s[20:21] offset:2048
.LBB1918_6:
	;; [unrolled: 9-line block ×3, first 2 shown]
	s_or_b64 exec, exec, s[6:7]
	v_or_b32_e32 v1, 0x200, v0
	v_cmp_gt_u32_e64 s[6:7], s22, v1
	v_pk_mov_b32 v[10:11], s[24:25], s[24:25] op_sel:[0,1]
	s_and_saveexec_b64 s[8:9], s[6:7]
	s_cbranch_execz .LBB1918_10
; %bb.9:
	v_lshlrev_b32_e32 v1, 3, v1
	global_load_dwordx2 v[10:11], v1, s[20:21]
.LBB1918_10:
	s_or_b64 exec, exec, s[8:9]
	v_or_b32_e32 v1, 0x280, v0
	v_cmp_gt_u32_e64 s[8:9], s22, v1
	v_pk_mov_b32 v[12:13], s[24:25], s[24:25] op_sel:[0,1]
	s_and_saveexec_b64 s[10:11], s[8:9]
	s_cbranch_execz .LBB1918_12
; %bb.11:
	v_lshlrev_b32_e32 v1, 3, v1
	global_load_dwordx2 v[12:13], v1, s[20:21]
.LBB1918_12:
	s_or_b64 exec, exec, s[10:11]
	v_or_b32_e32 v1, 0x300, v0
	v_cmp_gt_u32_e64 s[10:11], s22, v1
	v_pk_mov_b32 v[14:15], s[24:25], s[24:25] op_sel:[0,1]
	s_and_saveexec_b64 s[12:13], s[10:11]
	s_cbranch_execz .LBB1918_14
; %bb.13:
	v_lshlrev_b32_e32 v1, 3, v1
	global_load_dwordx2 v[14:15], v1, s[20:21]
.LBB1918_14:
	s_or_b64 exec, exec, s[12:13]
	v_or_b32_e32 v1, 0x380, v0
	v_cmp_gt_u32_e64 s[12:13], s22, v1
	v_pk_mov_b32 v[16:17], s[24:25], s[24:25] op_sel:[0,1]
	s_and_saveexec_b64 s[14:15], s[12:13]
	s_cbranch_execz .LBB1918_16
; %bb.15:
	v_lshlrev_b32_e32 v1, 3, v1
	global_load_dwordx2 v[16:17], v1, s[20:21]
.LBB1918_16:
	s_or_b64 exec, exec, s[14:15]
	v_or_b32_e32 v1, 0x400, v0
	v_cmp_gt_u32_e64 s[14:15], s22, v1
	v_pk_mov_b32 v[18:19], s[24:25], s[24:25] op_sel:[0,1]
	s_and_saveexec_b64 s[16:17], s[14:15]
	s_cbranch_execz .LBB1918_18
; %bb.17:
	v_lshlrev_b32_e32 v1, 3, v1
	global_load_dwordx2 v[18:19], v1, s[20:21]
.LBB1918_18:
	s_or_b64 exec, exec, s[16:17]
	v_or_b32_e32 v1, 0x480, v0
	v_cmp_gt_u32_e64 s[16:17], s22, v1
	v_pk_mov_b32 v[20:21], s[24:25], s[24:25] op_sel:[0,1]
	s_and_saveexec_b64 s[22:23], s[16:17]
	s_cbranch_execz .LBB1918_20
; %bb.19:
	v_lshlrev_b32_e32 v1, 3, v1
	global_load_dwordx2 v[20:21], v1, s[20:21]
.LBB1918_20:
	s_or_b64 exec, exec, s[22:23]
	s_movk_i32 s20, 0x48
	v_mad_u32_u24 v1, v0, s20, v24
	s_waitcnt vmcnt(0)
	ds_write2st64_b64 v24, v[2:3], v[4:5] offset1:2
	ds_write2st64_b64 v24, v[6:7], v[8:9] offset0:4 offset1:6
	ds_write2st64_b64 v24, v[10:11], v[12:13] offset0:8 offset1:10
	;; [unrolled: 1-line block ×4, first 2 shown]
	s_waitcnt lgkmcnt(0)
	s_barrier
	ds_read_b128 v[18:21], v1
	ds_read_b128 v[10:13], v1 offset:16
	ds_read_b128 v[6:9], v1 offset:32
	;; [unrolled: 1-line block ×4, first 2 shown]
	s_waitcnt lgkmcnt(4)
	v_cmp_lt_f64_e64 s[20:21], v[18:19], v[20:21]
	v_cndmask_b32_e64 v23, v19, v21, s[20:21]
	v_cndmask_b32_e64 v22, v18, v20, s[20:21]
	s_waitcnt lgkmcnt(3)
	v_cmp_lt_f64_e64 s[20:21], v[22:23], v[10:11]
	v_cndmask_b32_e64 v23, v23, v11, s[20:21]
	v_cndmask_b32_e64 v22, v22, v10, s[20:21]
	v_cmp_lt_f64_e64 s[20:21], v[22:23], v[12:13]
	v_cndmask_b32_e64 v23, v23, v13, s[20:21]
	v_cndmask_b32_e64 v22, v22, v12, s[20:21]
	s_waitcnt lgkmcnt(2)
	v_cmp_lt_f64_e64 s[20:21], v[22:23], v[6:7]
	v_cndmask_b32_e64 v23, v23, v7, s[20:21]
	v_cndmask_b32_e64 v22, v22, v6, s[20:21]
	;; [unrolled: 7-line block ×4, first 2 shown]
	v_cmp_lt_f64_e64 s[20:21], v[22:23], v[16:17]
	v_cndmask_b32_e64 v16, v22, v16, s[20:21]
	v_mbcnt_lo_u32_b32 v22, -1, 0
	v_mbcnt_hi_u32_b32 v25, -1, v22
	v_cndmask_b32_e64 v17, v23, v17, s[20:21]
	v_and_b32_e32 v26, 15, v25
	v_mov_b32_dpp v22, v16 row_shr:1 row_mask:0xf bank_mask:0xf
	v_mov_b32_dpp v23, v17 row_shr:1 row_mask:0xf bank_mask:0xf
	v_cmp_ne_u32_e64 s[20:21], 0, v26
	s_barrier
	s_and_saveexec_b64 s[22:23], s[20:21]
; %bb.21:
	v_cmp_gt_f64_e64 s[20:21], v[16:17], v[22:23]
	v_cndmask_b32_e64 v17, v23, v17, s[20:21]
	v_cndmask_b32_e64 v16, v22, v16, s[20:21]
; %bb.22:
	s_or_b64 exec, exec, s[22:23]
	s_nop 0
	v_mov_b32_dpp v22, v16 row_shr:2 row_mask:0xf bank_mask:0xf
	v_mov_b32_dpp v23, v17 row_shr:2 row_mask:0xf bank_mask:0xf
	v_cmp_lt_u32_e64 s[20:21], 1, v26
	s_and_saveexec_b64 s[22:23], s[20:21]
; %bb.23:
	v_cmp_gt_f64_e64 s[20:21], v[16:17], v[22:23]
	v_cndmask_b32_e64 v17, v23, v17, s[20:21]
	v_cndmask_b32_e64 v16, v22, v16, s[20:21]
; %bb.24:
	s_or_b64 exec, exec, s[22:23]
	s_nop 0
	v_mov_b32_dpp v22, v16 row_shr:4 row_mask:0xf bank_mask:0xf
	v_mov_b32_dpp v23, v17 row_shr:4 row_mask:0xf bank_mask:0xf
	v_cmp_lt_u32_e64 s[20:21], 3, v26
	;; [unrolled: 11-line block ×3, first 2 shown]
	s_and_saveexec_b64 s[22:23], s[20:21]
; %bb.27:
	v_cmp_gt_f64_e64 s[20:21], v[16:17], v[22:23]
	v_cndmask_b32_e64 v17, v23, v17, s[20:21]
	v_cndmask_b32_e64 v16, v22, v16, s[20:21]
; %bb.28:
	s_or_b64 exec, exec, s[22:23]
	s_load_dwordx2 s[24:25], s[4:5], 0x10
	v_and_b32_e32 v26, 16, v25
	v_mov_b32_dpp v22, v16 row_bcast:15 row_mask:0xf bank_mask:0xf
	v_mov_b32_dpp v23, v17 row_bcast:15 row_mask:0xf bank_mask:0xf
	v_cmp_ne_u32_e64 s[20:21], 0, v26
	s_and_saveexec_b64 s[22:23], s[20:21]
; %bb.29:
	v_cmp_gt_f64_e64 s[20:21], v[16:17], v[22:23]
	v_cndmask_b32_e64 v17, v23, v17, s[20:21]
	v_cndmask_b32_e64 v16, v22, v16, s[20:21]
; %bb.30:
	s_or_b64 exec, exec, s[22:23]
	s_nop 0
	v_mov_b32_dpp v22, v16 row_bcast:31 row_mask:0xf bank_mask:0xf
	v_mov_b32_dpp v23, v17 row_bcast:31 row_mask:0xf bank_mask:0xf
	v_cmp_gt_f64_e64 s[20:21], v[16:17], v[22:23]
	v_cndmask_b32_e64 v22, v22, v16, s[20:21]
	v_cndmask_b32_e64 v23, v23, v17, s[20:21]
	v_cmp_lt_u32_e64 s[20:21], 31, v25
	v_cndmask_b32_e64 v16, v16, v22, s[20:21]
	v_or_b32_e32 v22, 63, v0
	v_cndmask_b32_e64 v17, v17, v23, s[20:21]
	v_lshrrev_b32_e32 v26, 6, v0
	v_cmp_eq_u32_e64 s[20:21], v22, v0
	s_and_saveexec_b64 s[22:23], s[20:21]
	s_cbranch_execz .LBB1918_32
; %bb.31:
	v_lshlrev_b32_e32 v22, 3, v26
	ds_write_b64 v22, v[16:17]
.LBB1918_32:
	s_or_b64 exec, exec, s[22:23]
	s_load_dwordx2 s[22:23], s[4:5], 0x20
	v_cmp_gt_u32_e64 s[4:5], 2, v0
	s_waitcnt lgkmcnt(0)
	s_barrier
	s_and_saveexec_b64 s[26:27], s[4:5]
	s_cbranch_execz .LBB1918_34
; %bb.33:
	ds_read_b64 v[22:23], v24
	v_and_b32_e32 v27, 1, v25
	v_cmp_eq_u32_e64 s[4:5], 0, v27
	s_waitcnt lgkmcnt(0)
	v_mov_b32_dpp v30, v23 row_shr:1 row_mask:0xf bank_mask:0xf
	v_mov_b32_dpp v28, v22 row_shr:1 row_mask:0xf bank_mask:0xf
	v_mov_b32_e32 v29, v30
	v_cmp_gt_f64_e64 s[20:21], v[22:23], v[28:29]
	s_or_b64 s[4:5], s[4:5], s[20:21]
	v_cndmask_b32_e64 v23, v30, v23, s[4:5]
	v_cndmask_b32_e64 v22, v28, v22, s[4:5]
	ds_write_b64 v24, v[22:23]
.LBB1918_34:
	s_or_b64 exec, exec, s[26:27]
	v_cmp_lt_u32_e64 s[4:5], 63, v0
	v_pk_mov_b32 v[22:23], s[24:25], s[24:25] op_sel:[0,1]
	s_waitcnt lgkmcnt(0)
	s_barrier
	s_and_saveexec_b64 s[20:21], s[4:5]
	s_cbranch_execz .LBB1918_36
; %bb.35:
	v_lshl_add_u32 v22, v26, 3, -8
	ds_read_b64 v[22:23], v22
	v_mov_b32_e32 v26, s25
	s_waitcnt lgkmcnt(0)
	v_cmp_lt_f64_e64 s[4:5], s[24:25], v[22:23]
	v_cndmask_b32_e64 v23, v26, v23, s[4:5]
	v_mov_b32_e32 v26, s24
	v_cndmask_b32_e64 v22, v26, v22, s[4:5]
.LBB1918_36:
	s_or_b64 exec, exec, s[20:21]
	v_cmp_lt_f64_e64 s[4:5], v[22:23], v[16:17]
	v_add_u32_e32 v26, -1, v25
	v_and_b32_e32 v27, 64, v25
	v_cndmask_b32_e64 v17, v23, v17, s[4:5]
	v_cndmask_b32_e64 v16, v22, v16, s[4:5]
	v_cmp_lt_i32_e64 s[4:5], v26, v27
	v_cndmask_b32_e64 v26, v26, v25, s[4:5]
	v_lshlrev_b32_e32 v26, 2, v26
	ds_bpermute_b32 v16, v26, v16
	ds_bpermute_b32 v17, v26, v17
	v_cmp_eq_u32_e64 s[4:5], 0, v25
	s_waitcnt lgkmcnt(0)
	s_barrier
	v_cndmask_b32_e64 v16, v16, v22, s[4:5]
	v_cndmask_b32_e64 v17, v17, v23, s[4:5]
	v_mov_b32_e32 v22, s25
	v_cmp_eq_u32_e64 s[4:5], 0, v0
	v_cndmask_b32_e64 v17, v17, v22, s[4:5]
	v_mov_b32_e32 v22, s24
	v_cndmask_b32_e64 v16, v16, v22, s[4:5]
	v_cmp_lt_f64_e64 s[4:5], v[16:17], v[18:19]
	v_cndmask_b32_e64 v19, v17, v19, s[4:5]
	v_cndmask_b32_e64 v18, v16, v18, s[4:5]
	v_cmp_lt_f64_e64 s[4:5], v[18:19], v[20:21]
	v_cndmask_b32_e64 v21, v19, v21, s[4:5]
	;; [unrolled: 3-line block ×9, first 2 shown]
	v_cndmask_b32_e64 v4, v2, v14, s[4:5]
	s_movk_i32 s4, 0xffb8
	v_mad_i32_i24 v0, v0, s4, v1
	ds_write_b128 v1, v[16:19]
	ds_write_b128 v1, v[20:23] offset:16
	ds_write_b128 v1, v[10:13] offset:32
	;; [unrolled: 1-line block ×4, first 2 shown]
	s_waitcnt lgkmcnt(0)
	s_barrier
	ds_read2st64_b64 v[12:15], v0 offset0:2 offset1:4
	ds_read2st64_b64 v[8:11], v0 offset0:6 offset1:8
	;; [unrolled: 1-line block ×4, first 2 shown]
	ds_read_b64 v[18:19], v24 offset:8192
	v_mov_b32_e32 v17, s23
	v_add_co_u32_e64 v16, s[4:5], s22, v24
	v_addc_co_u32_e64 v17, s[4:5], 0, v17, s[4:5]
	s_and_saveexec_b64 s[4:5], vcc
	s_cbranch_execnz .LBB1918_47
; %bb.37:
	s_or_b64 exec, exec, s[4:5]
	s_and_saveexec_b64 s[4:5], s[0:1]
	s_cbranch_execnz .LBB1918_48
.LBB1918_38:
	s_or_b64 exec, exec, s[4:5]
	s_and_saveexec_b64 s[0:1], s[2:3]
	s_cbranch_execnz .LBB1918_49
.LBB1918_39:
	s_or_b64 exec, exec, s[0:1]
	s_and_saveexec_b64 s[0:1], s[18:19]
	s_cbranch_execnz .LBB1918_50
.LBB1918_40:
	s_or_b64 exec, exec, s[0:1]
	s_and_saveexec_b64 s[0:1], s[6:7]
	s_cbranch_execnz .LBB1918_51
.LBB1918_41:
	s_or_b64 exec, exec, s[0:1]
	s_and_saveexec_b64 s[0:1], s[8:9]
	s_cbranch_execnz .LBB1918_52
.LBB1918_42:
	s_or_b64 exec, exec, s[0:1]
	s_and_saveexec_b64 s[0:1], s[10:11]
	s_cbranch_execnz .LBB1918_53
.LBB1918_43:
	s_or_b64 exec, exec, s[0:1]
	s_and_saveexec_b64 s[0:1], s[12:13]
	s_cbranch_execnz .LBB1918_54
.LBB1918_44:
	s_or_b64 exec, exec, s[0:1]
	s_and_saveexec_b64 s[0:1], s[14:15]
	s_cbranch_execnz .LBB1918_55
.LBB1918_45:
	s_or_b64 exec, exec, s[0:1]
	s_and_saveexec_b64 s[0:1], s[16:17]
	s_cbranch_execnz .LBB1918_56
.LBB1918_46:
	s_endpgm
.LBB1918_47:
	ds_read_b64 v[20:21], v24
	s_waitcnt lgkmcnt(0)
	global_store_dwordx2 v[16:17], v[20:21], off
	s_or_b64 exec, exec, s[4:5]
	s_and_saveexec_b64 s[4:5], s[0:1]
	s_cbranch_execz .LBB1918_38
.LBB1918_48:
	s_waitcnt lgkmcnt(4)
	global_store_dwordx2 v[16:17], v[12:13], off offset:1024
	s_or_b64 exec, exec, s[4:5]
	s_and_saveexec_b64 s[0:1], s[2:3]
	s_cbranch_execz .LBB1918_39
.LBB1918_49:
	s_waitcnt lgkmcnt(4)
	global_store_dwordx2 v[16:17], v[14:15], off offset:2048
	s_or_b64 exec, exec, s[0:1]
	s_and_saveexec_b64 s[0:1], s[18:19]
	s_cbranch_execz .LBB1918_40
.LBB1918_50:
	s_waitcnt lgkmcnt(3)
	global_store_dwordx2 v[16:17], v[8:9], off offset:3072
	s_or_b64 exec, exec, s[0:1]
	s_and_saveexec_b64 s[0:1], s[6:7]
	s_cbranch_execz .LBB1918_41
.LBB1918_51:
	s_waitcnt lgkmcnt(3)
	v_add_co_u32_e32 v8, vcc, 0x1000, v16
	v_addc_co_u32_e32 v9, vcc, 0, v17, vcc
	global_store_dwordx2 v[8:9], v[10:11], off
	s_or_b64 exec, exec, s[0:1]
	s_and_saveexec_b64 s[0:1], s[8:9]
	s_cbranch_execz .LBB1918_42
.LBB1918_52:
	s_waitcnt lgkmcnt(3)
	v_add_co_u32_e32 v8, vcc, 0x1000, v16
	v_addc_co_u32_e32 v9, vcc, 0, v17, vcc
	s_waitcnt lgkmcnt(2)
	global_store_dwordx2 v[8:9], v[4:5], off offset:1024
	s_or_b64 exec, exec, s[0:1]
	s_and_saveexec_b64 s[0:1], s[10:11]
	s_cbranch_execz .LBB1918_43
.LBB1918_53:
	s_waitcnt lgkmcnt(2)
	v_add_co_u32_e32 v4, vcc, 0x1000, v16
	v_addc_co_u32_e32 v5, vcc, 0, v17, vcc
	global_store_dwordx2 v[4:5], v[6:7], off offset:2048
	s_or_b64 exec, exec, s[0:1]
	s_and_saveexec_b64 s[0:1], s[12:13]
	s_cbranch_execz .LBB1918_44
.LBB1918_54:
	s_waitcnt lgkmcnt(2)
	v_add_co_u32_e32 v4, vcc, 0x1000, v16
	v_addc_co_u32_e32 v5, vcc, 0, v17, vcc
	s_waitcnt lgkmcnt(1)
	global_store_dwordx2 v[4:5], v[0:1], off offset:3072
	s_or_b64 exec, exec, s[0:1]
	s_and_saveexec_b64 s[0:1], s[14:15]
	s_cbranch_execz .LBB1918_45
.LBB1918_55:
	s_waitcnt lgkmcnt(1)
	v_add_co_u32_e32 v0, vcc, 0x2000, v16
	v_addc_co_u32_e32 v1, vcc, 0, v17, vcc
	s_waitcnt lgkmcnt(0)
	global_store_dwordx2 v[0:1], v[18:19], off
	s_or_b64 exec, exec, s[0:1]
	s_and_saveexec_b64 s[0:1], s[16:17]
	s_cbranch_execz .LBB1918_46
.LBB1918_56:
	s_waitcnt lgkmcnt(1)
	v_add_co_u32_e32 v0, vcc, 0x2000, v16
	v_addc_co_u32_e32 v1, vcc, 0, v17, vcc
	global_store_dwordx2 v[0:1], v[2:3], off offset:1024
	s_endpgm
	.section	.rodata,"a",@progbits
	.p2align	6, 0x0
	.amdhsa_kernel _ZN7rocprim17ROCPRIM_400000_NS6detail17trampoline_kernelINS0_14default_configENS1_20scan_config_selectorIdEEZZNS1_9scan_implILNS1_25lookback_scan_determinismE0ELb1ELb1ES3_N6thrust23THRUST_200600_302600_NS6detail15normal_iteratorINS9_10device_ptrIdEEEESE_d11max_functorIdEdEEDaPvRmT3_T4_T5_mT6_P12ihipStream_tbENKUlT_T0_E_clISt17integral_constantIbLb1EEST_IbLb0EEEEDaSP_SQ_EUlSP_E0_NS1_11comp_targetILNS1_3genE4ELNS1_11target_archE910ELNS1_3gpuE8ELNS1_3repE0EEENS1_30default_config_static_selectorELNS0_4arch9wavefront6targetE1EEEvT1_
		.amdhsa_group_segment_fixed_size 10240
		.amdhsa_private_segment_fixed_size 0
		.amdhsa_kernarg_size 40
		.amdhsa_user_sgpr_count 6
		.amdhsa_user_sgpr_private_segment_buffer 1
		.amdhsa_user_sgpr_dispatch_ptr 0
		.amdhsa_user_sgpr_queue_ptr 0
		.amdhsa_user_sgpr_kernarg_segment_ptr 1
		.amdhsa_user_sgpr_dispatch_id 0
		.amdhsa_user_sgpr_flat_scratch_init 0
		.amdhsa_user_sgpr_kernarg_preload_length 0
		.amdhsa_user_sgpr_kernarg_preload_offset 0
		.amdhsa_user_sgpr_private_segment_size 0
		.amdhsa_uses_dynamic_stack 0
		.amdhsa_system_sgpr_private_segment_wavefront_offset 0
		.amdhsa_system_sgpr_workgroup_id_x 1
		.amdhsa_system_sgpr_workgroup_id_y 0
		.amdhsa_system_sgpr_workgroup_id_z 0
		.amdhsa_system_sgpr_workgroup_info 0
		.amdhsa_system_vgpr_workitem_id 0
		.amdhsa_next_free_vgpr 31
		.amdhsa_next_free_sgpr 28
		.amdhsa_accum_offset 32
		.amdhsa_reserve_vcc 1
		.amdhsa_reserve_flat_scratch 0
		.amdhsa_float_round_mode_32 0
		.amdhsa_float_round_mode_16_64 0
		.amdhsa_float_denorm_mode_32 3
		.amdhsa_float_denorm_mode_16_64 3
		.amdhsa_dx10_clamp 1
		.amdhsa_ieee_mode 1
		.amdhsa_fp16_overflow 0
		.amdhsa_tg_split 0
		.amdhsa_exception_fp_ieee_invalid_op 0
		.amdhsa_exception_fp_denorm_src 0
		.amdhsa_exception_fp_ieee_div_zero 0
		.amdhsa_exception_fp_ieee_overflow 0
		.amdhsa_exception_fp_ieee_underflow 0
		.amdhsa_exception_fp_ieee_inexact 0
		.amdhsa_exception_int_div_zero 0
	.end_amdhsa_kernel
	.section	.text._ZN7rocprim17ROCPRIM_400000_NS6detail17trampoline_kernelINS0_14default_configENS1_20scan_config_selectorIdEEZZNS1_9scan_implILNS1_25lookback_scan_determinismE0ELb1ELb1ES3_N6thrust23THRUST_200600_302600_NS6detail15normal_iteratorINS9_10device_ptrIdEEEESE_d11max_functorIdEdEEDaPvRmT3_T4_T5_mT6_P12ihipStream_tbENKUlT_T0_E_clISt17integral_constantIbLb1EEST_IbLb0EEEEDaSP_SQ_EUlSP_E0_NS1_11comp_targetILNS1_3genE4ELNS1_11target_archE910ELNS1_3gpuE8ELNS1_3repE0EEENS1_30default_config_static_selectorELNS0_4arch9wavefront6targetE1EEEvT1_,"axG",@progbits,_ZN7rocprim17ROCPRIM_400000_NS6detail17trampoline_kernelINS0_14default_configENS1_20scan_config_selectorIdEEZZNS1_9scan_implILNS1_25lookback_scan_determinismE0ELb1ELb1ES3_N6thrust23THRUST_200600_302600_NS6detail15normal_iteratorINS9_10device_ptrIdEEEESE_d11max_functorIdEdEEDaPvRmT3_T4_T5_mT6_P12ihipStream_tbENKUlT_T0_E_clISt17integral_constantIbLb1EEST_IbLb0EEEEDaSP_SQ_EUlSP_E0_NS1_11comp_targetILNS1_3genE4ELNS1_11target_archE910ELNS1_3gpuE8ELNS1_3repE0EEENS1_30default_config_static_selectorELNS0_4arch9wavefront6targetE1EEEvT1_,comdat
.Lfunc_end1918:
	.size	_ZN7rocprim17ROCPRIM_400000_NS6detail17trampoline_kernelINS0_14default_configENS1_20scan_config_selectorIdEEZZNS1_9scan_implILNS1_25lookback_scan_determinismE0ELb1ELb1ES3_N6thrust23THRUST_200600_302600_NS6detail15normal_iteratorINS9_10device_ptrIdEEEESE_d11max_functorIdEdEEDaPvRmT3_T4_T5_mT6_P12ihipStream_tbENKUlT_T0_E_clISt17integral_constantIbLb1EEST_IbLb0EEEEDaSP_SQ_EUlSP_E0_NS1_11comp_targetILNS1_3genE4ELNS1_11target_archE910ELNS1_3gpuE8ELNS1_3repE0EEENS1_30default_config_static_selectorELNS0_4arch9wavefront6targetE1EEEvT1_, .Lfunc_end1918-_ZN7rocprim17ROCPRIM_400000_NS6detail17trampoline_kernelINS0_14default_configENS1_20scan_config_selectorIdEEZZNS1_9scan_implILNS1_25lookback_scan_determinismE0ELb1ELb1ES3_N6thrust23THRUST_200600_302600_NS6detail15normal_iteratorINS9_10device_ptrIdEEEESE_d11max_functorIdEdEEDaPvRmT3_T4_T5_mT6_P12ihipStream_tbENKUlT_T0_E_clISt17integral_constantIbLb1EEST_IbLb0EEEEDaSP_SQ_EUlSP_E0_NS1_11comp_targetILNS1_3genE4ELNS1_11target_archE910ELNS1_3gpuE8ELNS1_3repE0EEENS1_30default_config_static_selectorELNS0_4arch9wavefront6targetE1EEEvT1_
                                        ; -- End function
	.section	.AMDGPU.csdata,"",@progbits
; Kernel info:
; codeLenInByte = 2372
; NumSgprs: 32
; NumVgprs: 31
; NumAgprs: 0
; TotalNumVgprs: 31
; ScratchSize: 0
; MemoryBound: 0
; FloatMode: 240
; IeeeMode: 1
; LDSByteSize: 10240 bytes/workgroup (compile time only)
; SGPRBlocks: 3
; VGPRBlocks: 3
; NumSGPRsForWavesPerEU: 32
; NumVGPRsForWavesPerEU: 31
; AccumOffset: 32
; Occupancy: 3
; WaveLimiterHint : 0
; COMPUTE_PGM_RSRC2:SCRATCH_EN: 0
; COMPUTE_PGM_RSRC2:USER_SGPR: 6
; COMPUTE_PGM_RSRC2:TRAP_HANDLER: 0
; COMPUTE_PGM_RSRC2:TGID_X_EN: 1
; COMPUTE_PGM_RSRC2:TGID_Y_EN: 0
; COMPUTE_PGM_RSRC2:TGID_Z_EN: 0
; COMPUTE_PGM_RSRC2:TIDIG_COMP_CNT: 0
; COMPUTE_PGM_RSRC3_GFX90A:ACCUM_OFFSET: 7
; COMPUTE_PGM_RSRC3_GFX90A:TG_SPLIT: 0
	.section	.text._ZN7rocprim17ROCPRIM_400000_NS6detail17trampoline_kernelINS0_14default_configENS1_20scan_config_selectorIdEEZZNS1_9scan_implILNS1_25lookback_scan_determinismE0ELb1ELb1ES3_N6thrust23THRUST_200600_302600_NS6detail15normal_iteratorINS9_10device_ptrIdEEEESE_d11max_functorIdEdEEDaPvRmT3_T4_T5_mT6_P12ihipStream_tbENKUlT_T0_E_clISt17integral_constantIbLb1EEST_IbLb0EEEEDaSP_SQ_EUlSP_E0_NS1_11comp_targetILNS1_3genE3ELNS1_11target_archE908ELNS1_3gpuE7ELNS1_3repE0EEENS1_30default_config_static_selectorELNS0_4arch9wavefront6targetE1EEEvT1_,"axG",@progbits,_ZN7rocprim17ROCPRIM_400000_NS6detail17trampoline_kernelINS0_14default_configENS1_20scan_config_selectorIdEEZZNS1_9scan_implILNS1_25lookback_scan_determinismE0ELb1ELb1ES3_N6thrust23THRUST_200600_302600_NS6detail15normal_iteratorINS9_10device_ptrIdEEEESE_d11max_functorIdEdEEDaPvRmT3_T4_T5_mT6_P12ihipStream_tbENKUlT_T0_E_clISt17integral_constantIbLb1EEST_IbLb0EEEEDaSP_SQ_EUlSP_E0_NS1_11comp_targetILNS1_3genE3ELNS1_11target_archE908ELNS1_3gpuE7ELNS1_3repE0EEENS1_30default_config_static_selectorELNS0_4arch9wavefront6targetE1EEEvT1_,comdat
	.protected	_ZN7rocprim17ROCPRIM_400000_NS6detail17trampoline_kernelINS0_14default_configENS1_20scan_config_selectorIdEEZZNS1_9scan_implILNS1_25lookback_scan_determinismE0ELb1ELb1ES3_N6thrust23THRUST_200600_302600_NS6detail15normal_iteratorINS9_10device_ptrIdEEEESE_d11max_functorIdEdEEDaPvRmT3_T4_T5_mT6_P12ihipStream_tbENKUlT_T0_E_clISt17integral_constantIbLb1EEST_IbLb0EEEEDaSP_SQ_EUlSP_E0_NS1_11comp_targetILNS1_3genE3ELNS1_11target_archE908ELNS1_3gpuE7ELNS1_3repE0EEENS1_30default_config_static_selectorELNS0_4arch9wavefront6targetE1EEEvT1_ ; -- Begin function _ZN7rocprim17ROCPRIM_400000_NS6detail17trampoline_kernelINS0_14default_configENS1_20scan_config_selectorIdEEZZNS1_9scan_implILNS1_25lookback_scan_determinismE0ELb1ELb1ES3_N6thrust23THRUST_200600_302600_NS6detail15normal_iteratorINS9_10device_ptrIdEEEESE_d11max_functorIdEdEEDaPvRmT3_T4_T5_mT6_P12ihipStream_tbENKUlT_T0_E_clISt17integral_constantIbLb1EEST_IbLb0EEEEDaSP_SQ_EUlSP_E0_NS1_11comp_targetILNS1_3genE3ELNS1_11target_archE908ELNS1_3gpuE7ELNS1_3repE0EEENS1_30default_config_static_selectorELNS0_4arch9wavefront6targetE1EEEvT1_
	.globl	_ZN7rocprim17ROCPRIM_400000_NS6detail17trampoline_kernelINS0_14default_configENS1_20scan_config_selectorIdEEZZNS1_9scan_implILNS1_25lookback_scan_determinismE0ELb1ELb1ES3_N6thrust23THRUST_200600_302600_NS6detail15normal_iteratorINS9_10device_ptrIdEEEESE_d11max_functorIdEdEEDaPvRmT3_T4_T5_mT6_P12ihipStream_tbENKUlT_T0_E_clISt17integral_constantIbLb1EEST_IbLb0EEEEDaSP_SQ_EUlSP_E0_NS1_11comp_targetILNS1_3genE3ELNS1_11target_archE908ELNS1_3gpuE7ELNS1_3repE0EEENS1_30default_config_static_selectorELNS0_4arch9wavefront6targetE1EEEvT1_
	.p2align	8
	.type	_ZN7rocprim17ROCPRIM_400000_NS6detail17trampoline_kernelINS0_14default_configENS1_20scan_config_selectorIdEEZZNS1_9scan_implILNS1_25lookback_scan_determinismE0ELb1ELb1ES3_N6thrust23THRUST_200600_302600_NS6detail15normal_iteratorINS9_10device_ptrIdEEEESE_d11max_functorIdEdEEDaPvRmT3_T4_T5_mT6_P12ihipStream_tbENKUlT_T0_E_clISt17integral_constantIbLb1EEST_IbLb0EEEEDaSP_SQ_EUlSP_E0_NS1_11comp_targetILNS1_3genE3ELNS1_11target_archE908ELNS1_3gpuE7ELNS1_3repE0EEENS1_30default_config_static_selectorELNS0_4arch9wavefront6targetE1EEEvT1_,@function
_ZN7rocprim17ROCPRIM_400000_NS6detail17trampoline_kernelINS0_14default_configENS1_20scan_config_selectorIdEEZZNS1_9scan_implILNS1_25lookback_scan_determinismE0ELb1ELb1ES3_N6thrust23THRUST_200600_302600_NS6detail15normal_iteratorINS9_10device_ptrIdEEEESE_d11max_functorIdEdEEDaPvRmT3_T4_T5_mT6_P12ihipStream_tbENKUlT_T0_E_clISt17integral_constantIbLb1EEST_IbLb0EEEEDaSP_SQ_EUlSP_E0_NS1_11comp_targetILNS1_3genE3ELNS1_11target_archE908ELNS1_3gpuE7ELNS1_3repE0EEENS1_30default_config_static_selectorELNS0_4arch9wavefront6targetE1EEEvT1_: ; @_ZN7rocprim17ROCPRIM_400000_NS6detail17trampoline_kernelINS0_14default_configENS1_20scan_config_selectorIdEEZZNS1_9scan_implILNS1_25lookback_scan_determinismE0ELb1ELb1ES3_N6thrust23THRUST_200600_302600_NS6detail15normal_iteratorINS9_10device_ptrIdEEEESE_d11max_functorIdEdEEDaPvRmT3_T4_T5_mT6_P12ihipStream_tbENKUlT_T0_E_clISt17integral_constantIbLb1EEST_IbLb0EEEEDaSP_SQ_EUlSP_E0_NS1_11comp_targetILNS1_3genE3ELNS1_11target_archE908ELNS1_3gpuE7ELNS1_3repE0EEENS1_30default_config_static_selectorELNS0_4arch9wavefront6targetE1EEEvT1_
; %bb.0:
	.section	.rodata,"a",@progbits
	.p2align	6, 0x0
	.amdhsa_kernel _ZN7rocprim17ROCPRIM_400000_NS6detail17trampoline_kernelINS0_14default_configENS1_20scan_config_selectorIdEEZZNS1_9scan_implILNS1_25lookback_scan_determinismE0ELb1ELb1ES3_N6thrust23THRUST_200600_302600_NS6detail15normal_iteratorINS9_10device_ptrIdEEEESE_d11max_functorIdEdEEDaPvRmT3_T4_T5_mT6_P12ihipStream_tbENKUlT_T0_E_clISt17integral_constantIbLb1EEST_IbLb0EEEEDaSP_SQ_EUlSP_E0_NS1_11comp_targetILNS1_3genE3ELNS1_11target_archE908ELNS1_3gpuE7ELNS1_3repE0EEENS1_30default_config_static_selectorELNS0_4arch9wavefront6targetE1EEEvT1_
		.amdhsa_group_segment_fixed_size 0
		.amdhsa_private_segment_fixed_size 0
		.amdhsa_kernarg_size 40
		.amdhsa_user_sgpr_count 6
		.amdhsa_user_sgpr_private_segment_buffer 1
		.amdhsa_user_sgpr_dispatch_ptr 0
		.amdhsa_user_sgpr_queue_ptr 0
		.amdhsa_user_sgpr_kernarg_segment_ptr 1
		.amdhsa_user_sgpr_dispatch_id 0
		.amdhsa_user_sgpr_flat_scratch_init 0
		.amdhsa_user_sgpr_kernarg_preload_length 0
		.amdhsa_user_sgpr_kernarg_preload_offset 0
		.amdhsa_user_sgpr_private_segment_size 0
		.amdhsa_uses_dynamic_stack 0
		.amdhsa_system_sgpr_private_segment_wavefront_offset 0
		.amdhsa_system_sgpr_workgroup_id_x 1
		.amdhsa_system_sgpr_workgroup_id_y 0
		.amdhsa_system_sgpr_workgroup_id_z 0
		.amdhsa_system_sgpr_workgroup_info 0
		.amdhsa_system_vgpr_workitem_id 0
		.amdhsa_next_free_vgpr 1
		.amdhsa_next_free_sgpr 0
		.amdhsa_accum_offset 4
		.amdhsa_reserve_vcc 0
		.amdhsa_reserve_flat_scratch 0
		.amdhsa_float_round_mode_32 0
		.amdhsa_float_round_mode_16_64 0
		.amdhsa_float_denorm_mode_32 3
		.amdhsa_float_denorm_mode_16_64 3
		.amdhsa_dx10_clamp 1
		.amdhsa_ieee_mode 1
		.amdhsa_fp16_overflow 0
		.amdhsa_tg_split 0
		.amdhsa_exception_fp_ieee_invalid_op 0
		.amdhsa_exception_fp_denorm_src 0
		.amdhsa_exception_fp_ieee_div_zero 0
		.amdhsa_exception_fp_ieee_overflow 0
		.amdhsa_exception_fp_ieee_underflow 0
		.amdhsa_exception_fp_ieee_inexact 0
		.amdhsa_exception_int_div_zero 0
	.end_amdhsa_kernel
	.section	.text._ZN7rocprim17ROCPRIM_400000_NS6detail17trampoline_kernelINS0_14default_configENS1_20scan_config_selectorIdEEZZNS1_9scan_implILNS1_25lookback_scan_determinismE0ELb1ELb1ES3_N6thrust23THRUST_200600_302600_NS6detail15normal_iteratorINS9_10device_ptrIdEEEESE_d11max_functorIdEdEEDaPvRmT3_T4_T5_mT6_P12ihipStream_tbENKUlT_T0_E_clISt17integral_constantIbLb1EEST_IbLb0EEEEDaSP_SQ_EUlSP_E0_NS1_11comp_targetILNS1_3genE3ELNS1_11target_archE908ELNS1_3gpuE7ELNS1_3repE0EEENS1_30default_config_static_selectorELNS0_4arch9wavefront6targetE1EEEvT1_,"axG",@progbits,_ZN7rocprim17ROCPRIM_400000_NS6detail17trampoline_kernelINS0_14default_configENS1_20scan_config_selectorIdEEZZNS1_9scan_implILNS1_25lookback_scan_determinismE0ELb1ELb1ES3_N6thrust23THRUST_200600_302600_NS6detail15normal_iteratorINS9_10device_ptrIdEEEESE_d11max_functorIdEdEEDaPvRmT3_T4_T5_mT6_P12ihipStream_tbENKUlT_T0_E_clISt17integral_constantIbLb1EEST_IbLb0EEEEDaSP_SQ_EUlSP_E0_NS1_11comp_targetILNS1_3genE3ELNS1_11target_archE908ELNS1_3gpuE7ELNS1_3repE0EEENS1_30default_config_static_selectorELNS0_4arch9wavefront6targetE1EEEvT1_,comdat
.Lfunc_end1919:
	.size	_ZN7rocprim17ROCPRIM_400000_NS6detail17trampoline_kernelINS0_14default_configENS1_20scan_config_selectorIdEEZZNS1_9scan_implILNS1_25lookback_scan_determinismE0ELb1ELb1ES3_N6thrust23THRUST_200600_302600_NS6detail15normal_iteratorINS9_10device_ptrIdEEEESE_d11max_functorIdEdEEDaPvRmT3_T4_T5_mT6_P12ihipStream_tbENKUlT_T0_E_clISt17integral_constantIbLb1EEST_IbLb0EEEEDaSP_SQ_EUlSP_E0_NS1_11comp_targetILNS1_3genE3ELNS1_11target_archE908ELNS1_3gpuE7ELNS1_3repE0EEENS1_30default_config_static_selectorELNS0_4arch9wavefront6targetE1EEEvT1_, .Lfunc_end1919-_ZN7rocprim17ROCPRIM_400000_NS6detail17trampoline_kernelINS0_14default_configENS1_20scan_config_selectorIdEEZZNS1_9scan_implILNS1_25lookback_scan_determinismE0ELb1ELb1ES3_N6thrust23THRUST_200600_302600_NS6detail15normal_iteratorINS9_10device_ptrIdEEEESE_d11max_functorIdEdEEDaPvRmT3_T4_T5_mT6_P12ihipStream_tbENKUlT_T0_E_clISt17integral_constantIbLb1EEST_IbLb0EEEEDaSP_SQ_EUlSP_E0_NS1_11comp_targetILNS1_3genE3ELNS1_11target_archE908ELNS1_3gpuE7ELNS1_3repE0EEENS1_30default_config_static_selectorELNS0_4arch9wavefront6targetE1EEEvT1_
                                        ; -- End function
	.section	.AMDGPU.csdata,"",@progbits
; Kernel info:
; codeLenInByte = 0
; NumSgprs: 4
; NumVgprs: 0
; NumAgprs: 0
; TotalNumVgprs: 0
; ScratchSize: 0
; MemoryBound: 0
; FloatMode: 240
; IeeeMode: 1
; LDSByteSize: 0 bytes/workgroup (compile time only)
; SGPRBlocks: 0
; VGPRBlocks: 0
; NumSGPRsForWavesPerEU: 4
; NumVGPRsForWavesPerEU: 1
; AccumOffset: 4
; Occupancy: 8
; WaveLimiterHint : 0
; COMPUTE_PGM_RSRC2:SCRATCH_EN: 0
; COMPUTE_PGM_RSRC2:USER_SGPR: 6
; COMPUTE_PGM_RSRC2:TRAP_HANDLER: 0
; COMPUTE_PGM_RSRC2:TGID_X_EN: 1
; COMPUTE_PGM_RSRC2:TGID_Y_EN: 0
; COMPUTE_PGM_RSRC2:TGID_Z_EN: 0
; COMPUTE_PGM_RSRC2:TIDIG_COMP_CNT: 0
; COMPUTE_PGM_RSRC3_GFX90A:ACCUM_OFFSET: 0
; COMPUTE_PGM_RSRC3_GFX90A:TG_SPLIT: 0
	.section	.text._ZN7rocprim17ROCPRIM_400000_NS6detail17trampoline_kernelINS0_14default_configENS1_20scan_config_selectorIdEEZZNS1_9scan_implILNS1_25lookback_scan_determinismE0ELb1ELb1ES3_N6thrust23THRUST_200600_302600_NS6detail15normal_iteratorINS9_10device_ptrIdEEEESE_d11max_functorIdEdEEDaPvRmT3_T4_T5_mT6_P12ihipStream_tbENKUlT_T0_E_clISt17integral_constantIbLb1EEST_IbLb0EEEEDaSP_SQ_EUlSP_E0_NS1_11comp_targetILNS1_3genE2ELNS1_11target_archE906ELNS1_3gpuE6ELNS1_3repE0EEENS1_30default_config_static_selectorELNS0_4arch9wavefront6targetE1EEEvT1_,"axG",@progbits,_ZN7rocprim17ROCPRIM_400000_NS6detail17trampoline_kernelINS0_14default_configENS1_20scan_config_selectorIdEEZZNS1_9scan_implILNS1_25lookback_scan_determinismE0ELb1ELb1ES3_N6thrust23THRUST_200600_302600_NS6detail15normal_iteratorINS9_10device_ptrIdEEEESE_d11max_functorIdEdEEDaPvRmT3_T4_T5_mT6_P12ihipStream_tbENKUlT_T0_E_clISt17integral_constantIbLb1EEST_IbLb0EEEEDaSP_SQ_EUlSP_E0_NS1_11comp_targetILNS1_3genE2ELNS1_11target_archE906ELNS1_3gpuE6ELNS1_3repE0EEENS1_30default_config_static_selectorELNS0_4arch9wavefront6targetE1EEEvT1_,comdat
	.protected	_ZN7rocprim17ROCPRIM_400000_NS6detail17trampoline_kernelINS0_14default_configENS1_20scan_config_selectorIdEEZZNS1_9scan_implILNS1_25lookback_scan_determinismE0ELb1ELb1ES3_N6thrust23THRUST_200600_302600_NS6detail15normal_iteratorINS9_10device_ptrIdEEEESE_d11max_functorIdEdEEDaPvRmT3_T4_T5_mT6_P12ihipStream_tbENKUlT_T0_E_clISt17integral_constantIbLb1EEST_IbLb0EEEEDaSP_SQ_EUlSP_E0_NS1_11comp_targetILNS1_3genE2ELNS1_11target_archE906ELNS1_3gpuE6ELNS1_3repE0EEENS1_30default_config_static_selectorELNS0_4arch9wavefront6targetE1EEEvT1_ ; -- Begin function _ZN7rocprim17ROCPRIM_400000_NS6detail17trampoline_kernelINS0_14default_configENS1_20scan_config_selectorIdEEZZNS1_9scan_implILNS1_25lookback_scan_determinismE0ELb1ELb1ES3_N6thrust23THRUST_200600_302600_NS6detail15normal_iteratorINS9_10device_ptrIdEEEESE_d11max_functorIdEdEEDaPvRmT3_T4_T5_mT6_P12ihipStream_tbENKUlT_T0_E_clISt17integral_constantIbLb1EEST_IbLb0EEEEDaSP_SQ_EUlSP_E0_NS1_11comp_targetILNS1_3genE2ELNS1_11target_archE906ELNS1_3gpuE6ELNS1_3repE0EEENS1_30default_config_static_selectorELNS0_4arch9wavefront6targetE1EEEvT1_
	.globl	_ZN7rocprim17ROCPRIM_400000_NS6detail17trampoline_kernelINS0_14default_configENS1_20scan_config_selectorIdEEZZNS1_9scan_implILNS1_25lookback_scan_determinismE0ELb1ELb1ES3_N6thrust23THRUST_200600_302600_NS6detail15normal_iteratorINS9_10device_ptrIdEEEESE_d11max_functorIdEdEEDaPvRmT3_T4_T5_mT6_P12ihipStream_tbENKUlT_T0_E_clISt17integral_constantIbLb1EEST_IbLb0EEEEDaSP_SQ_EUlSP_E0_NS1_11comp_targetILNS1_3genE2ELNS1_11target_archE906ELNS1_3gpuE6ELNS1_3repE0EEENS1_30default_config_static_selectorELNS0_4arch9wavefront6targetE1EEEvT1_
	.p2align	8
	.type	_ZN7rocprim17ROCPRIM_400000_NS6detail17trampoline_kernelINS0_14default_configENS1_20scan_config_selectorIdEEZZNS1_9scan_implILNS1_25lookback_scan_determinismE0ELb1ELb1ES3_N6thrust23THRUST_200600_302600_NS6detail15normal_iteratorINS9_10device_ptrIdEEEESE_d11max_functorIdEdEEDaPvRmT3_T4_T5_mT6_P12ihipStream_tbENKUlT_T0_E_clISt17integral_constantIbLb1EEST_IbLb0EEEEDaSP_SQ_EUlSP_E0_NS1_11comp_targetILNS1_3genE2ELNS1_11target_archE906ELNS1_3gpuE6ELNS1_3repE0EEENS1_30default_config_static_selectorELNS0_4arch9wavefront6targetE1EEEvT1_,@function
_ZN7rocprim17ROCPRIM_400000_NS6detail17trampoline_kernelINS0_14default_configENS1_20scan_config_selectorIdEEZZNS1_9scan_implILNS1_25lookback_scan_determinismE0ELb1ELb1ES3_N6thrust23THRUST_200600_302600_NS6detail15normal_iteratorINS9_10device_ptrIdEEEESE_d11max_functorIdEdEEDaPvRmT3_T4_T5_mT6_P12ihipStream_tbENKUlT_T0_E_clISt17integral_constantIbLb1EEST_IbLb0EEEEDaSP_SQ_EUlSP_E0_NS1_11comp_targetILNS1_3genE2ELNS1_11target_archE906ELNS1_3gpuE6ELNS1_3repE0EEENS1_30default_config_static_selectorELNS0_4arch9wavefront6targetE1EEEvT1_: ; @_ZN7rocprim17ROCPRIM_400000_NS6detail17trampoline_kernelINS0_14default_configENS1_20scan_config_selectorIdEEZZNS1_9scan_implILNS1_25lookback_scan_determinismE0ELb1ELb1ES3_N6thrust23THRUST_200600_302600_NS6detail15normal_iteratorINS9_10device_ptrIdEEEESE_d11max_functorIdEdEEDaPvRmT3_T4_T5_mT6_P12ihipStream_tbENKUlT_T0_E_clISt17integral_constantIbLb1EEST_IbLb0EEEEDaSP_SQ_EUlSP_E0_NS1_11comp_targetILNS1_3genE2ELNS1_11target_archE906ELNS1_3gpuE6ELNS1_3repE0EEENS1_30default_config_static_selectorELNS0_4arch9wavefront6targetE1EEEvT1_
; %bb.0:
	.section	.rodata,"a",@progbits
	.p2align	6, 0x0
	.amdhsa_kernel _ZN7rocprim17ROCPRIM_400000_NS6detail17trampoline_kernelINS0_14default_configENS1_20scan_config_selectorIdEEZZNS1_9scan_implILNS1_25lookback_scan_determinismE0ELb1ELb1ES3_N6thrust23THRUST_200600_302600_NS6detail15normal_iteratorINS9_10device_ptrIdEEEESE_d11max_functorIdEdEEDaPvRmT3_T4_T5_mT6_P12ihipStream_tbENKUlT_T0_E_clISt17integral_constantIbLb1EEST_IbLb0EEEEDaSP_SQ_EUlSP_E0_NS1_11comp_targetILNS1_3genE2ELNS1_11target_archE906ELNS1_3gpuE6ELNS1_3repE0EEENS1_30default_config_static_selectorELNS0_4arch9wavefront6targetE1EEEvT1_
		.amdhsa_group_segment_fixed_size 0
		.amdhsa_private_segment_fixed_size 0
		.amdhsa_kernarg_size 40
		.amdhsa_user_sgpr_count 6
		.amdhsa_user_sgpr_private_segment_buffer 1
		.amdhsa_user_sgpr_dispatch_ptr 0
		.amdhsa_user_sgpr_queue_ptr 0
		.amdhsa_user_sgpr_kernarg_segment_ptr 1
		.amdhsa_user_sgpr_dispatch_id 0
		.amdhsa_user_sgpr_flat_scratch_init 0
		.amdhsa_user_sgpr_kernarg_preload_length 0
		.amdhsa_user_sgpr_kernarg_preload_offset 0
		.amdhsa_user_sgpr_private_segment_size 0
		.amdhsa_uses_dynamic_stack 0
		.amdhsa_system_sgpr_private_segment_wavefront_offset 0
		.amdhsa_system_sgpr_workgroup_id_x 1
		.amdhsa_system_sgpr_workgroup_id_y 0
		.amdhsa_system_sgpr_workgroup_id_z 0
		.amdhsa_system_sgpr_workgroup_info 0
		.amdhsa_system_vgpr_workitem_id 0
		.amdhsa_next_free_vgpr 1
		.amdhsa_next_free_sgpr 0
		.amdhsa_accum_offset 4
		.amdhsa_reserve_vcc 0
		.amdhsa_reserve_flat_scratch 0
		.amdhsa_float_round_mode_32 0
		.amdhsa_float_round_mode_16_64 0
		.amdhsa_float_denorm_mode_32 3
		.amdhsa_float_denorm_mode_16_64 3
		.amdhsa_dx10_clamp 1
		.amdhsa_ieee_mode 1
		.amdhsa_fp16_overflow 0
		.amdhsa_tg_split 0
		.amdhsa_exception_fp_ieee_invalid_op 0
		.amdhsa_exception_fp_denorm_src 0
		.amdhsa_exception_fp_ieee_div_zero 0
		.amdhsa_exception_fp_ieee_overflow 0
		.amdhsa_exception_fp_ieee_underflow 0
		.amdhsa_exception_fp_ieee_inexact 0
		.amdhsa_exception_int_div_zero 0
	.end_amdhsa_kernel
	.section	.text._ZN7rocprim17ROCPRIM_400000_NS6detail17trampoline_kernelINS0_14default_configENS1_20scan_config_selectorIdEEZZNS1_9scan_implILNS1_25lookback_scan_determinismE0ELb1ELb1ES3_N6thrust23THRUST_200600_302600_NS6detail15normal_iteratorINS9_10device_ptrIdEEEESE_d11max_functorIdEdEEDaPvRmT3_T4_T5_mT6_P12ihipStream_tbENKUlT_T0_E_clISt17integral_constantIbLb1EEST_IbLb0EEEEDaSP_SQ_EUlSP_E0_NS1_11comp_targetILNS1_3genE2ELNS1_11target_archE906ELNS1_3gpuE6ELNS1_3repE0EEENS1_30default_config_static_selectorELNS0_4arch9wavefront6targetE1EEEvT1_,"axG",@progbits,_ZN7rocprim17ROCPRIM_400000_NS6detail17trampoline_kernelINS0_14default_configENS1_20scan_config_selectorIdEEZZNS1_9scan_implILNS1_25lookback_scan_determinismE0ELb1ELb1ES3_N6thrust23THRUST_200600_302600_NS6detail15normal_iteratorINS9_10device_ptrIdEEEESE_d11max_functorIdEdEEDaPvRmT3_T4_T5_mT6_P12ihipStream_tbENKUlT_T0_E_clISt17integral_constantIbLb1EEST_IbLb0EEEEDaSP_SQ_EUlSP_E0_NS1_11comp_targetILNS1_3genE2ELNS1_11target_archE906ELNS1_3gpuE6ELNS1_3repE0EEENS1_30default_config_static_selectorELNS0_4arch9wavefront6targetE1EEEvT1_,comdat
.Lfunc_end1920:
	.size	_ZN7rocprim17ROCPRIM_400000_NS6detail17trampoline_kernelINS0_14default_configENS1_20scan_config_selectorIdEEZZNS1_9scan_implILNS1_25lookback_scan_determinismE0ELb1ELb1ES3_N6thrust23THRUST_200600_302600_NS6detail15normal_iteratorINS9_10device_ptrIdEEEESE_d11max_functorIdEdEEDaPvRmT3_T4_T5_mT6_P12ihipStream_tbENKUlT_T0_E_clISt17integral_constantIbLb1EEST_IbLb0EEEEDaSP_SQ_EUlSP_E0_NS1_11comp_targetILNS1_3genE2ELNS1_11target_archE906ELNS1_3gpuE6ELNS1_3repE0EEENS1_30default_config_static_selectorELNS0_4arch9wavefront6targetE1EEEvT1_, .Lfunc_end1920-_ZN7rocprim17ROCPRIM_400000_NS6detail17trampoline_kernelINS0_14default_configENS1_20scan_config_selectorIdEEZZNS1_9scan_implILNS1_25lookback_scan_determinismE0ELb1ELb1ES3_N6thrust23THRUST_200600_302600_NS6detail15normal_iteratorINS9_10device_ptrIdEEEESE_d11max_functorIdEdEEDaPvRmT3_T4_T5_mT6_P12ihipStream_tbENKUlT_T0_E_clISt17integral_constantIbLb1EEST_IbLb0EEEEDaSP_SQ_EUlSP_E0_NS1_11comp_targetILNS1_3genE2ELNS1_11target_archE906ELNS1_3gpuE6ELNS1_3repE0EEENS1_30default_config_static_selectorELNS0_4arch9wavefront6targetE1EEEvT1_
                                        ; -- End function
	.section	.AMDGPU.csdata,"",@progbits
; Kernel info:
; codeLenInByte = 0
; NumSgprs: 4
; NumVgprs: 0
; NumAgprs: 0
; TotalNumVgprs: 0
; ScratchSize: 0
; MemoryBound: 0
; FloatMode: 240
; IeeeMode: 1
; LDSByteSize: 0 bytes/workgroup (compile time only)
; SGPRBlocks: 0
; VGPRBlocks: 0
; NumSGPRsForWavesPerEU: 4
; NumVGPRsForWavesPerEU: 1
; AccumOffset: 4
; Occupancy: 8
; WaveLimiterHint : 0
; COMPUTE_PGM_RSRC2:SCRATCH_EN: 0
; COMPUTE_PGM_RSRC2:USER_SGPR: 6
; COMPUTE_PGM_RSRC2:TRAP_HANDLER: 0
; COMPUTE_PGM_RSRC2:TGID_X_EN: 1
; COMPUTE_PGM_RSRC2:TGID_Y_EN: 0
; COMPUTE_PGM_RSRC2:TGID_Z_EN: 0
; COMPUTE_PGM_RSRC2:TIDIG_COMP_CNT: 0
; COMPUTE_PGM_RSRC3_GFX90A:ACCUM_OFFSET: 0
; COMPUTE_PGM_RSRC3_GFX90A:TG_SPLIT: 0
	.section	.text._ZN7rocprim17ROCPRIM_400000_NS6detail17trampoline_kernelINS0_14default_configENS1_20scan_config_selectorIdEEZZNS1_9scan_implILNS1_25lookback_scan_determinismE0ELb1ELb1ES3_N6thrust23THRUST_200600_302600_NS6detail15normal_iteratorINS9_10device_ptrIdEEEESE_d11max_functorIdEdEEDaPvRmT3_T4_T5_mT6_P12ihipStream_tbENKUlT_T0_E_clISt17integral_constantIbLb1EEST_IbLb0EEEEDaSP_SQ_EUlSP_E0_NS1_11comp_targetILNS1_3genE10ELNS1_11target_archE1201ELNS1_3gpuE5ELNS1_3repE0EEENS1_30default_config_static_selectorELNS0_4arch9wavefront6targetE1EEEvT1_,"axG",@progbits,_ZN7rocprim17ROCPRIM_400000_NS6detail17trampoline_kernelINS0_14default_configENS1_20scan_config_selectorIdEEZZNS1_9scan_implILNS1_25lookback_scan_determinismE0ELb1ELb1ES3_N6thrust23THRUST_200600_302600_NS6detail15normal_iteratorINS9_10device_ptrIdEEEESE_d11max_functorIdEdEEDaPvRmT3_T4_T5_mT6_P12ihipStream_tbENKUlT_T0_E_clISt17integral_constantIbLb1EEST_IbLb0EEEEDaSP_SQ_EUlSP_E0_NS1_11comp_targetILNS1_3genE10ELNS1_11target_archE1201ELNS1_3gpuE5ELNS1_3repE0EEENS1_30default_config_static_selectorELNS0_4arch9wavefront6targetE1EEEvT1_,comdat
	.protected	_ZN7rocprim17ROCPRIM_400000_NS6detail17trampoline_kernelINS0_14default_configENS1_20scan_config_selectorIdEEZZNS1_9scan_implILNS1_25lookback_scan_determinismE0ELb1ELb1ES3_N6thrust23THRUST_200600_302600_NS6detail15normal_iteratorINS9_10device_ptrIdEEEESE_d11max_functorIdEdEEDaPvRmT3_T4_T5_mT6_P12ihipStream_tbENKUlT_T0_E_clISt17integral_constantIbLb1EEST_IbLb0EEEEDaSP_SQ_EUlSP_E0_NS1_11comp_targetILNS1_3genE10ELNS1_11target_archE1201ELNS1_3gpuE5ELNS1_3repE0EEENS1_30default_config_static_selectorELNS0_4arch9wavefront6targetE1EEEvT1_ ; -- Begin function _ZN7rocprim17ROCPRIM_400000_NS6detail17trampoline_kernelINS0_14default_configENS1_20scan_config_selectorIdEEZZNS1_9scan_implILNS1_25lookback_scan_determinismE0ELb1ELb1ES3_N6thrust23THRUST_200600_302600_NS6detail15normal_iteratorINS9_10device_ptrIdEEEESE_d11max_functorIdEdEEDaPvRmT3_T4_T5_mT6_P12ihipStream_tbENKUlT_T0_E_clISt17integral_constantIbLb1EEST_IbLb0EEEEDaSP_SQ_EUlSP_E0_NS1_11comp_targetILNS1_3genE10ELNS1_11target_archE1201ELNS1_3gpuE5ELNS1_3repE0EEENS1_30default_config_static_selectorELNS0_4arch9wavefront6targetE1EEEvT1_
	.globl	_ZN7rocprim17ROCPRIM_400000_NS6detail17trampoline_kernelINS0_14default_configENS1_20scan_config_selectorIdEEZZNS1_9scan_implILNS1_25lookback_scan_determinismE0ELb1ELb1ES3_N6thrust23THRUST_200600_302600_NS6detail15normal_iteratorINS9_10device_ptrIdEEEESE_d11max_functorIdEdEEDaPvRmT3_T4_T5_mT6_P12ihipStream_tbENKUlT_T0_E_clISt17integral_constantIbLb1EEST_IbLb0EEEEDaSP_SQ_EUlSP_E0_NS1_11comp_targetILNS1_3genE10ELNS1_11target_archE1201ELNS1_3gpuE5ELNS1_3repE0EEENS1_30default_config_static_selectorELNS0_4arch9wavefront6targetE1EEEvT1_
	.p2align	8
	.type	_ZN7rocprim17ROCPRIM_400000_NS6detail17trampoline_kernelINS0_14default_configENS1_20scan_config_selectorIdEEZZNS1_9scan_implILNS1_25lookback_scan_determinismE0ELb1ELb1ES3_N6thrust23THRUST_200600_302600_NS6detail15normal_iteratorINS9_10device_ptrIdEEEESE_d11max_functorIdEdEEDaPvRmT3_T4_T5_mT6_P12ihipStream_tbENKUlT_T0_E_clISt17integral_constantIbLb1EEST_IbLb0EEEEDaSP_SQ_EUlSP_E0_NS1_11comp_targetILNS1_3genE10ELNS1_11target_archE1201ELNS1_3gpuE5ELNS1_3repE0EEENS1_30default_config_static_selectorELNS0_4arch9wavefront6targetE1EEEvT1_,@function
_ZN7rocprim17ROCPRIM_400000_NS6detail17trampoline_kernelINS0_14default_configENS1_20scan_config_selectorIdEEZZNS1_9scan_implILNS1_25lookback_scan_determinismE0ELb1ELb1ES3_N6thrust23THRUST_200600_302600_NS6detail15normal_iteratorINS9_10device_ptrIdEEEESE_d11max_functorIdEdEEDaPvRmT3_T4_T5_mT6_P12ihipStream_tbENKUlT_T0_E_clISt17integral_constantIbLb1EEST_IbLb0EEEEDaSP_SQ_EUlSP_E0_NS1_11comp_targetILNS1_3genE10ELNS1_11target_archE1201ELNS1_3gpuE5ELNS1_3repE0EEENS1_30default_config_static_selectorELNS0_4arch9wavefront6targetE1EEEvT1_: ; @_ZN7rocprim17ROCPRIM_400000_NS6detail17trampoline_kernelINS0_14default_configENS1_20scan_config_selectorIdEEZZNS1_9scan_implILNS1_25lookback_scan_determinismE0ELb1ELb1ES3_N6thrust23THRUST_200600_302600_NS6detail15normal_iteratorINS9_10device_ptrIdEEEESE_d11max_functorIdEdEEDaPvRmT3_T4_T5_mT6_P12ihipStream_tbENKUlT_T0_E_clISt17integral_constantIbLb1EEST_IbLb0EEEEDaSP_SQ_EUlSP_E0_NS1_11comp_targetILNS1_3genE10ELNS1_11target_archE1201ELNS1_3gpuE5ELNS1_3repE0EEENS1_30default_config_static_selectorELNS0_4arch9wavefront6targetE1EEEvT1_
; %bb.0:
	.section	.rodata,"a",@progbits
	.p2align	6, 0x0
	.amdhsa_kernel _ZN7rocprim17ROCPRIM_400000_NS6detail17trampoline_kernelINS0_14default_configENS1_20scan_config_selectorIdEEZZNS1_9scan_implILNS1_25lookback_scan_determinismE0ELb1ELb1ES3_N6thrust23THRUST_200600_302600_NS6detail15normal_iteratorINS9_10device_ptrIdEEEESE_d11max_functorIdEdEEDaPvRmT3_T4_T5_mT6_P12ihipStream_tbENKUlT_T0_E_clISt17integral_constantIbLb1EEST_IbLb0EEEEDaSP_SQ_EUlSP_E0_NS1_11comp_targetILNS1_3genE10ELNS1_11target_archE1201ELNS1_3gpuE5ELNS1_3repE0EEENS1_30default_config_static_selectorELNS0_4arch9wavefront6targetE1EEEvT1_
		.amdhsa_group_segment_fixed_size 0
		.amdhsa_private_segment_fixed_size 0
		.amdhsa_kernarg_size 40
		.amdhsa_user_sgpr_count 6
		.amdhsa_user_sgpr_private_segment_buffer 1
		.amdhsa_user_sgpr_dispatch_ptr 0
		.amdhsa_user_sgpr_queue_ptr 0
		.amdhsa_user_sgpr_kernarg_segment_ptr 1
		.amdhsa_user_sgpr_dispatch_id 0
		.amdhsa_user_sgpr_flat_scratch_init 0
		.amdhsa_user_sgpr_kernarg_preload_length 0
		.amdhsa_user_sgpr_kernarg_preload_offset 0
		.amdhsa_user_sgpr_private_segment_size 0
		.amdhsa_uses_dynamic_stack 0
		.amdhsa_system_sgpr_private_segment_wavefront_offset 0
		.amdhsa_system_sgpr_workgroup_id_x 1
		.amdhsa_system_sgpr_workgroup_id_y 0
		.amdhsa_system_sgpr_workgroup_id_z 0
		.amdhsa_system_sgpr_workgroup_info 0
		.amdhsa_system_vgpr_workitem_id 0
		.amdhsa_next_free_vgpr 1
		.amdhsa_next_free_sgpr 0
		.amdhsa_accum_offset 4
		.amdhsa_reserve_vcc 0
		.amdhsa_reserve_flat_scratch 0
		.amdhsa_float_round_mode_32 0
		.amdhsa_float_round_mode_16_64 0
		.amdhsa_float_denorm_mode_32 3
		.amdhsa_float_denorm_mode_16_64 3
		.amdhsa_dx10_clamp 1
		.amdhsa_ieee_mode 1
		.amdhsa_fp16_overflow 0
		.amdhsa_tg_split 0
		.amdhsa_exception_fp_ieee_invalid_op 0
		.amdhsa_exception_fp_denorm_src 0
		.amdhsa_exception_fp_ieee_div_zero 0
		.amdhsa_exception_fp_ieee_overflow 0
		.amdhsa_exception_fp_ieee_underflow 0
		.amdhsa_exception_fp_ieee_inexact 0
		.amdhsa_exception_int_div_zero 0
	.end_amdhsa_kernel
	.section	.text._ZN7rocprim17ROCPRIM_400000_NS6detail17trampoline_kernelINS0_14default_configENS1_20scan_config_selectorIdEEZZNS1_9scan_implILNS1_25lookback_scan_determinismE0ELb1ELb1ES3_N6thrust23THRUST_200600_302600_NS6detail15normal_iteratorINS9_10device_ptrIdEEEESE_d11max_functorIdEdEEDaPvRmT3_T4_T5_mT6_P12ihipStream_tbENKUlT_T0_E_clISt17integral_constantIbLb1EEST_IbLb0EEEEDaSP_SQ_EUlSP_E0_NS1_11comp_targetILNS1_3genE10ELNS1_11target_archE1201ELNS1_3gpuE5ELNS1_3repE0EEENS1_30default_config_static_selectorELNS0_4arch9wavefront6targetE1EEEvT1_,"axG",@progbits,_ZN7rocprim17ROCPRIM_400000_NS6detail17trampoline_kernelINS0_14default_configENS1_20scan_config_selectorIdEEZZNS1_9scan_implILNS1_25lookback_scan_determinismE0ELb1ELb1ES3_N6thrust23THRUST_200600_302600_NS6detail15normal_iteratorINS9_10device_ptrIdEEEESE_d11max_functorIdEdEEDaPvRmT3_T4_T5_mT6_P12ihipStream_tbENKUlT_T0_E_clISt17integral_constantIbLb1EEST_IbLb0EEEEDaSP_SQ_EUlSP_E0_NS1_11comp_targetILNS1_3genE10ELNS1_11target_archE1201ELNS1_3gpuE5ELNS1_3repE0EEENS1_30default_config_static_selectorELNS0_4arch9wavefront6targetE1EEEvT1_,comdat
.Lfunc_end1921:
	.size	_ZN7rocprim17ROCPRIM_400000_NS6detail17trampoline_kernelINS0_14default_configENS1_20scan_config_selectorIdEEZZNS1_9scan_implILNS1_25lookback_scan_determinismE0ELb1ELb1ES3_N6thrust23THRUST_200600_302600_NS6detail15normal_iteratorINS9_10device_ptrIdEEEESE_d11max_functorIdEdEEDaPvRmT3_T4_T5_mT6_P12ihipStream_tbENKUlT_T0_E_clISt17integral_constantIbLb1EEST_IbLb0EEEEDaSP_SQ_EUlSP_E0_NS1_11comp_targetILNS1_3genE10ELNS1_11target_archE1201ELNS1_3gpuE5ELNS1_3repE0EEENS1_30default_config_static_selectorELNS0_4arch9wavefront6targetE1EEEvT1_, .Lfunc_end1921-_ZN7rocprim17ROCPRIM_400000_NS6detail17trampoline_kernelINS0_14default_configENS1_20scan_config_selectorIdEEZZNS1_9scan_implILNS1_25lookback_scan_determinismE0ELb1ELb1ES3_N6thrust23THRUST_200600_302600_NS6detail15normal_iteratorINS9_10device_ptrIdEEEESE_d11max_functorIdEdEEDaPvRmT3_T4_T5_mT6_P12ihipStream_tbENKUlT_T0_E_clISt17integral_constantIbLb1EEST_IbLb0EEEEDaSP_SQ_EUlSP_E0_NS1_11comp_targetILNS1_3genE10ELNS1_11target_archE1201ELNS1_3gpuE5ELNS1_3repE0EEENS1_30default_config_static_selectorELNS0_4arch9wavefront6targetE1EEEvT1_
                                        ; -- End function
	.section	.AMDGPU.csdata,"",@progbits
; Kernel info:
; codeLenInByte = 0
; NumSgprs: 4
; NumVgprs: 0
; NumAgprs: 0
; TotalNumVgprs: 0
; ScratchSize: 0
; MemoryBound: 0
; FloatMode: 240
; IeeeMode: 1
; LDSByteSize: 0 bytes/workgroup (compile time only)
; SGPRBlocks: 0
; VGPRBlocks: 0
; NumSGPRsForWavesPerEU: 4
; NumVGPRsForWavesPerEU: 1
; AccumOffset: 4
; Occupancy: 8
; WaveLimiterHint : 0
; COMPUTE_PGM_RSRC2:SCRATCH_EN: 0
; COMPUTE_PGM_RSRC2:USER_SGPR: 6
; COMPUTE_PGM_RSRC2:TRAP_HANDLER: 0
; COMPUTE_PGM_RSRC2:TGID_X_EN: 1
; COMPUTE_PGM_RSRC2:TGID_Y_EN: 0
; COMPUTE_PGM_RSRC2:TGID_Z_EN: 0
; COMPUTE_PGM_RSRC2:TIDIG_COMP_CNT: 0
; COMPUTE_PGM_RSRC3_GFX90A:ACCUM_OFFSET: 0
; COMPUTE_PGM_RSRC3_GFX90A:TG_SPLIT: 0
	.section	.text._ZN7rocprim17ROCPRIM_400000_NS6detail17trampoline_kernelINS0_14default_configENS1_20scan_config_selectorIdEEZZNS1_9scan_implILNS1_25lookback_scan_determinismE0ELb1ELb1ES3_N6thrust23THRUST_200600_302600_NS6detail15normal_iteratorINS9_10device_ptrIdEEEESE_d11max_functorIdEdEEDaPvRmT3_T4_T5_mT6_P12ihipStream_tbENKUlT_T0_E_clISt17integral_constantIbLb1EEST_IbLb0EEEEDaSP_SQ_EUlSP_E0_NS1_11comp_targetILNS1_3genE10ELNS1_11target_archE1200ELNS1_3gpuE4ELNS1_3repE0EEENS1_30default_config_static_selectorELNS0_4arch9wavefront6targetE1EEEvT1_,"axG",@progbits,_ZN7rocprim17ROCPRIM_400000_NS6detail17trampoline_kernelINS0_14default_configENS1_20scan_config_selectorIdEEZZNS1_9scan_implILNS1_25lookback_scan_determinismE0ELb1ELb1ES3_N6thrust23THRUST_200600_302600_NS6detail15normal_iteratorINS9_10device_ptrIdEEEESE_d11max_functorIdEdEEDaPvRmT3_T4_T5_mT6_P12ihipStream_tbENKUlT_T0_E_clISt17integral_constantIbLb1EEST_IbLb0EEEEDaSP_SQ_EUlSP_E0_NS1_11comp_targetILNS1_3genE10ELNS1_11target_archE1200ELNS1_3gpuE4ELNS1_3repE0EEENS1_30default_config_static_selectorELNS0_4arch9wavefront6targetE1EEEvT1_,comdat
	.protected	_ZN7rocprim17ROCPRIM_400000_NS6detail17trampoline_kernelINS0_14default_configENS1_20scan_config_selectorIdEEZZNS1_9scan_implILNS1_25lookback_scan_determinismE0ELb1ELb1ES3_N6thrust23THRUST_200600_302600_NS6detail15normal_iteratorINS9_10device_ptrIdEEEESE_d11max_functorIdEdEEDaPvRmT3_T4_T5_mT6_P12ihipStream_tbENKUlT_T0_E_clISt17integral_constantIbLb1EEST_IbLb0EEEEDaSP_SQ_EUlSP_E0_NS1_11comp_targetILNS1_3genE10ELNS1_11target_archE1200ELNS1_3gpuE4ELNS1_3repE0EEENS1_30default_config_static_selectorELNS0_4arch9wavefront6targetE1EEEvT1_ ; -- Begin function _ZN7rocprim17ROCPRIM_400000_NS6detail17trampoline_kernelINS0_14default_configENS1_20scan_config_selectorIdEEZZNS1_9scan_implILNS1_25lookback_scan_determinismE0ELb1ELb1ES3_N6thrust23THRUST_200600_302600_NS6detail15normal_iteratorINS9_10device_ptrIdEEEESE_d11max_functorIdEdEEDaPvRmT3_T4_T5_mT6_P12ihipStream_tbENKUlT_T0_E_clISt17integral_constantIbLb1EEST_IbLb0EEEEDaSP_SQ_EUlSP_E0_NS1_11comp_targetILNS1_3genE10ELNS1_11target_archE1200ELNS1_3gpuE4ELNS1_3repE0EEENS1_30default_config_static_selectorELNS0_4arch9wavefront6targetE1EEEvT1_
	.globl	_ZN7rocprim17ROCPRIM_400000_NS6detail17trampoline_kernelINS0_14default_configENS1_20scan_config_selectorIdEEZZNS1_9scan_implILNS1_25lookback_scan_determinismE0ELb1ELb1ES3_N6thrust23THRUST_200600_302600_NS6detail15normal_iteratorINS9_10device_ptrIdEEEESE_d11max_functorIdEdEEDaPvRmT3_T4_T5_mT6_P12ihipStream_tbENKUlT_T0_E_clISt17integral_constantIbLb1EEST_IbLb0EEEEDaSP_SQ_EUlSP_E0_NS1_11comp_targetILNS1_3genE10ELNS1_11target_archE1200ELNS1_3gpuE4ELNS1_3repE0EEENS1_30default_config_static_selectorELNS0_4arch9wavefront6targetE1EEEvT1_
	.p2align	8
	.type	_ZN7rocprim17ROCPRIM_400000_NS6detail17trampoline_kernelINS0_14default_configENS1_20scan_config_selectorIdEEZZNS1_9scan_implILNS1_25lookback_scan_determinismE0ELb1ELb1ES3_N6thrust23THRUST_200600_302600_NS6detail15normal_iteratorINS9_10device_ptrIdEEEESE_d11max_functorIdEdEEDaPvRmT3_T4_T5_mT6_P12ihipStream_tbENKUlT_T0_E_clISt17integral_constantIbLb1EEST_IbLb0EEEEDaSP_SQ_EUlSP_E0_NS1_11comp_targetILNS1_3genE10ELNS1_11target_archE1200ELNS1_3gpuE4ELNS1_3repE0EEENS1_30default_config_static_selectorELNS0_4arch9wavefront6targetE1EEEvT1_,@function
_ZN7rocprim17ROCPRIM_400000_NS6detail17trampoline_kernelINS0_14default_configENS1_20scan_config_selectorIdEEZZNS1_9scan_implILNS1_25lookback_scan_determinismE0ELb1ELb1ES3_N6thrust23THRUST_200600_302600_NS6detail15normal_iteratorINS9_10device_ptrIdEEEESE_d11max_functorIdEdEEDaPvRmT3_T4_T5_mT6_P12ihipStream_tbENKUlT_T0_E_clISt17integral_constantIbLb1EEST_IbLb0EEEEDaSP_SQ_EUlSP_E0_NS1_11comp_targetILNS1_3genE10ELNS1_11target_archE1200ELNS1_3gpuE4ELNS1_3repE0EEENS1_30default_config_static_selectorELNS0_4arch9wavefront6targetE1EEEvT1_: ; @_ZN7rocprim17ROCPRIM_400000_NS6detail17trampoline_kernelINS0_14default_configENS1_20scan_config_selectorIdEEZZNS1_9scan_implILNS1_25lookback_scan_determinismE0ELb1ELb1ES3_N6thrust23THRUST_200600_302600_NS6detail15normal_iteratorINS9_10device_ptrIdEEEESE_d11max_functorIdEdEEDaPvRmT3_T4_T5_mT6_P12ihipStream_tbENKUlT_T0_E_clISt17integral_constantIbLb1EEST_IbLb0EEEEDaSP_SQ_EUlSP_E0_NS1_11comp_targetILNS1_3genE10ELNS1_11target_archE1200ELNS1_3gpuE4ELNS1_3repE0EEENS1_30default_config_static_selectorELNS0_4arch9wavefront6targetE1EEEvT1_
; %bb.0:
	.section	.rodata,"a",@progbits
	.p2align	6, 0x0
	.amdhsa_kernel _ZN7rocprim17ROCPRIM_400000_NS6detail17trampoline_kernelINS0_14default_configENS1_20scan_config_selectorIdEEZZNS1_9scan_implILNS1_25lookback_scan_determinismE0ELb1ELb1ES3_N6thrust23THRUST_200600_302600_NS6detail15normal_iteratorINS9_10device_ptrIdEEEESE_d11max_functorIdEdEEDaPvRmT3_T4_T5_mT6_P12ihipStream_tbENKUlT_T0_E_clISt17integral_constantIbLb1EEST_IbLb0EEEEDaSP_SQ_EUlSP_E0_NS1_11comp_targetILNS1_3genE10ELNS1_11target_archE1200ELNS1_3gpuE4ELNS1_3repE0EEENS1_30default_config_static_selectorELNS0_4arch9wavefront6targetE1EEEvT1_
		.amdhsa_group_segment_fixed_size 0
		.amdhsa_private_segment_fixed_size 0
		.amdhsa_kernarg_size 40
		.amdhsa_user_sgpr_count 6
		.amdhsa_user_sgpr_private_segment_buffer 1
		.amdhsa_user_sgpr_dispatch_ptr 0
		.amdhsa_user_sgpr_queue_ptr 0
		.amdhsa_user_sgpr_kernarg_segment_ptr 1
		.amdhsa_user_sgpr_dispatch_id 0
		.amdhsa_user_sgpr_flat_scratch_init 0
		.amdhsa_user_sgpr_kernarg_preload_length 0
		.amdhsa_user_sgpr_kernarg_preload_offset 0
		.amdhsa_user_sgpr_private_segment_size 0
		.amdhsa_uses_dynamic_stack 0
		.amdhsa_system_sgpr_private_segment_wavefront_offset 0
		.amdhsa_system_sgpr_workgroup_id_x 1
		.amdhsa_system_sgpr_workgroup_id_y 0
		.amdhsa_system_sgpr_workgroup_id_z 0
		.amdhsa_system_sgpr_workgroup_info 0
		.amdhsa_system_vgpr_workitem_id 0
		.amdhsa_next_free_vgpr 1
		.amdhsa_next_free_sgpr 0
		.amdhsa_accum_offset 4
		.amdhsa_reserve_vcc 0
		.amdhsa_reserve_flat_scratch 0
		.amdhsa_float_round_mode_32 0
		.amdhsa_float_round_mode_16_64 0
		.amdhsa_float_denorm_mode_32 3
		.amdhsa_float_denorm_mode_16_64 3
		.amdhsa_dx10_clamp 1
		.amdhsa_ieee_mode 1
		.amdhsa_fp16_overflow 0
		.amdhsa_tg_split 0
		.amdhsa_exception_fp_ieee_invalid_op 0
		.amdhsa_exception_fp_denorm_src 0
		.amdhsa_exception_fp_ieee_div_zero 0
		.amdhsa_exception_fp_ieee_overflow 0
		.amdhsa_exception_fp_ieee_underflow 0
		.amdhsa_exception_fp_ieee_inexact 0
		.amdhsa_exception_int_div_zero 0
	.end_amdhsa_kernel
	.section	.text._ZN7rocprim17ROCPRIM_400000_NS6detail17trampoline_kernelINS0_14default_configENS1_20scan_config_selectorIdEEZZNS1_9scan_implILNS1_25lookback_scan_determinismE0ELb1ELb1ES3_N6thrust23THRUST_200600_302600_NS6detail15normal_iteratorINS9_10device_ptrIdEEEESE_d11max_functorIdEdEEDaPvRmT3_T4_T5_mT6_P12ihipStream_tbENKUlT_T0_E_clISt17integral_constantIbLb1EEST_IbLb0EEEEDaSP_SQ_EUlSP_E0_NS1_11comp_targetILNS1_3genE10ELNS1_11target_archE1200ELNS1_3gpuE4ELNS1_3repE0EEENS1_30default_config_static_selectorELNS0_4arch9wavefront6targetE1EEEvT1_,"axG",@progbits,_ZN7rocprim17ROCPRIM_400000_NS6detail17trampoline_kernelINS0_14default_configENS1_20scan_config_selectorIdEEZZNS1_9scan_implILNS1_25lookback_scan_determinismE0ELb1ELb1ES3_N6thrust23THRUST_200600_302600_NS6detail15normal_iteratorINS9_10device_ptrIdEEEESE_d11max_functorIdEdEEDaPvRmT3_T4_T5_mT6_P12ihipStream_tbENKUlT_T0_E_clISt17integral_constantIbLb1EEST_IbLb0EEEEDaSP_SQ_EUlSP_E0_NS1_11comp_targetILNS1_3genE10ELNS1_11target_archE1200ELNS1_3gpuE4ELNS1_3repE0EEENS1_30default_config_static_selectorELNS0_4arch9wavefront6targetE1EEEvT1_,comdat
.Lfunc_end1922:
	.size	_ZN7rocprim17ROCPRIM_400000_NS6detail17trampoline_kernelINS0_14default_configENS1_20scan_config_selectorIdEEZZNS1_9scan_implILNS1_25lookback_scan_determinismE0ELb1ELb1ES3_N6thrust23THRUST_200600_302600_NS6detail15normal_iteratorINS9_10device_ptrIdEEEESE_d11max_functorIdEdEEDaPvRmT3_T4_T5_mT6_P12ihipStream_tbENKUlT_T0_E_clISt17integral_constantIbLb1EEST_IbLb0EEEEDaSP_SQ_EUlSP_E0_NS1_11comp_targetILNS1_3genE10ELNS1_11target_archE1200ELNS1_3gpuE4ELNS1_3repE0EEENS1_30default_config_static_selectorELNS0_4arch9wavefront6targetE1EEEvT1_, .Lfunc_end1922-_ZN7rocprim17ROCPRIM_400000_NS6detail17trampoline_kernelINS0_14default_configENS1_20scan_config_selectorIdEEZZNS1_9scan_implILNS1_25lookback_scan_determinismE0ELb1ELb1ES3_N6thrust23THRUST_200600_302600_NS6detail15normal_iteratorINS9_10device_ptrIdEEEESE_d11max_functorIdEdEEDaPvRmT3_T4_T5_mT6_P12ihipStream_tbENKUlT_T0_E_clISt17integral_constantIbLb1EEST_IbLb0EEEEDaSP_SQ_EUlSP_E0_NS1_11comp_targetILNS1_3genE10ELNS1_11target_archE1200ELNS1_3gpuE4ELNS1_3repE0EEENS1_30default_config_static_selectorELNS0_4arch9wavefront6targetE1EEEvT1_
                                        ; -- End function
	.section	.AMDGPU.csdata,"",@progbits
; Kernel info:
; codeLenInByte = 0
; NumSgprs: 4
; NumVgprs: 0
; NumAgprs: 0
; TotalNumVgprs: 0
; ScratchSize: 0
; MemoryBound: 0
; FloatMode: 240
; IeeeMode: 1
; LDSByteSize: 0 bytes/workgroup (compile time only)
; SGPRBlocks: 0
; VGPRBlocks: 0
; NumSGPRsForWavesPerEU: 4
; NumVGPRsForWavesPerEU: 1
; AccumOffset: 4
; Occupancy: 8
; WaveLimiterHint : 0
; COMPUTE_PGM_RSRC2:SCRATCH_EN: 0
; COMPUTE_PGM_RSRC2:USER_SGPR: 6
; COMPUTE_PGM_RSRC2:TRAP_HANDLER: 0
; COMPUTE_PGM_RSRC2:TGID_X_EN: 1
; COMPUTE_PGM_RSRC2:TGID_Y_EN: 0
; COMPUTE_PGM_RSRC2:TGID_Z_EN: 0
; COMPUTE_PGM_RSRC2:TIDIG_COMP_CNT: 0
; COMPUTE_PGM_RSRC3_GFX90A:ACCUM_OFFSET: 0
; COMPUTE_PGM_RSRC3_GFX90A:TG_SPLIT: 0
	.section	.text._ZN7rocprim17ROCPRIM_400000_NS6detail17trampoline_kernelINS0_14default_configENS1_20scan_config_selectorIdEEZZNS1_9scan_implILNS1_25lookback_scan_determinismE0ELb1ELb1ES3_N6thrust23THRUST_200600_302600_NS6detail15normal_iteratorINS9_10device_ptrIdEEEESE_d11max_functorIdEdEEDaPvRmT3_T4_T5_mT6_P12ihipStream_tbENKUlT_T0_E_clISt17integral_constantIbLb1EEST_IbLb0EEEEDaSP_SQ_EUlSP_E0_NS1_11comp_targetILNS1_3genE9ELNS1_11target_archE1100ELNS1_3gpuE3ELNS1_3repE0EEENS1_30default_config_static_selectorELNS0_4arch9wavefront6targetE1EEEvT1_,"axG",@progbits,_ZN7rocprim17ROCPRIM_400000_NS6detail17trampoline_kernelINS0_14default_configENS1_20scan_config_selectorIdEEZZNS1_9scan_implILNS1_25lookback_scan_determinismE0ELb1ELb1ES3_N6thrust23THRUST_200600_302600_NS6detail15normal_iteratorINS9_10device_ptrIdEEEESE_d11max_functorIdEdEEDaPvRmT3_T4_T5_mT6_P12ihipStream_tbENKUlT_T0_E_clISt17integral_constantIbLb1EEST_IbLb0EEEEDaSP_SQ_EUlSP_E0_NS1_11comp_targetILNS1_3genE9ELNS1_11target_archE1100ELNS1_3gpuE3ELNS1_3repE0EEENS1_30default_config_static_selectorELNS0_4arch9wavefront6targetE1EEEvT1_,comdat
	.protected	_ZN7rocprim17ROCPRIM_400000_NS6detail17trampoline_kernelINS0_14default_configENS1_20scan_config_selectorIdEEZZNS1_9scan_implILNS1_25lookback_scan_determinismE0ELb1ELb1ES3_N6thrust23THRUST_200600_302600_NS6detail15normal_iteratorINS9_10device_ptrIdEEEESE_d11max_functorIdEdEEDaPvRmT3_T4_T5_mT6_P12ihipStream_tbENKUlT_T0_E_clISt17integral_constantIbLb1EEST_IbLb0EEEEDaSP_SQ_EUlSP_E0_NS1_11comp_targetILNS1_3genE9ELNS1_11target_archE1100ELNS1_3gpuE3ELNS1_3repE0EEENS1_30default_config_static_selectorELNS0_4arch9wavefront6targetE1EEEvT1_ ; -- Begin function _ZN7rocprim17ROCPRIM_400000_NS6detail17trampoline_kernelINS0_14default_configENS1_20scan_config_selectorIdEEZZNS1_9scan_implILNS1_25lookback_scan_determinismE0ELb1ELb1ES3_N6thrust23THRUST_200600_302600_NS6detail15normal_iteratorINS9_10device_ptrIdEEEESE_d11max_functorIdEdEEDaPvRmT3_T4_T5_mT6_P12ihipStream_tbENKUlT_T0_E_clISt17integral_constantIbLb1EEST_IbLb0EEEEDaSP_SQ_EUlSP_E0_NS1_11comp_targetILNS1_3genE9ELNS1_11target_archE1100ELNS1_3gpuE3ELNS1_3repE0EEENS1_30default_config_static_selectorELNS0_4arch9wavefront6targetE1EEEvT1_
	.globl	_ZN7rocprim17ROCPRIM_400000_NS6detail17trampoline_kernelINS0_14default_configENS1_20scan_config_selectorIdEEZZNS1_9scan_implILNS1_25lookback_scan_determinismE0ELb1ELb1ES3_N6thrust23THRUST_200600_302600_NS6detail15normal_iteratorINS9_10device_ptrIdEEEESE_d11max_functorIdEdEEDaPvRmT3_T4_T5_mT6_P12ihipStream_tbENKUlT_T0_E_clISt17integral_constantIbLb1EEST_IbLb0EEEEDaSP_SQ_EUlSP_E0_NS1_11comp_targetILNS1_3genE9ELNS1_11target_archE1100ELNS1_3gpuE3ELNS1_3repE0EEENS1_30default_config_static_selectorELNS0_4arch9wavefront6targetE1EEEvT1_
	.p2align	8
	.type	_ZN7rocprim17ROCPRIM_400000_NS6detail17trampoline_kernelINS0_14default_configENS1_20scan_config_selectorIdEEZZNS1_9scan_implILNS1_25lookback_scan_determinismE0ELb1ELb1ES3_N6thrust23THRUST_200600_302600_NS6detail15normal_iteratorINS9_10device_ptrIdEEEESE_d11max_functorIdEdEEDaPvRmT3_T4_T5_mT6_P12ihipStream_tbENKUlT_T0_E_clISt17integral_constantIbLb1EEST_IbLb0EEEEDaSP_SQ_EUlSP_E0_NS1_11comp_targetILNS1_3genE9ELNS1_11target_archE1100ELNS1_3gpuE3ELNS1_3repE0EEENS1_30default_config_static_selectorELNS0_4arch9wavefront6targetE1EEEvT1_,@function
_ZN7rocprim17ROCPRIM_400000_NS6detail17trampoline_kernelINS0_14default_configENS1_20scan_config_selectorIdEEZZNS1_9scan_implILNS1_25lookback_scan_determinismE0ELb1ELb1ES3_N6thrust23THRUST_200600_302600_NS6detail15normal_iteratorINS9_10device_ptrIdEEEESE_d11max_functorIdEdEEDaPvRmT3_T4_T5_mT6_P12ihipStream_tbENKUlT_T0_E_clISt17integral_constantIbLb1EEST_IbLb0EEEEDaSP_SQ_EUlSP_E0_NS1_11comp_targetILNS1_3genE9ELNS1_11target_archE1100ELNS1_3gpuE3ELNS1_3repE0EEENS1_30default_config_static_selectorELNS0_4arch9wavefront6targetE1EEEvT1_: ; @_ZN7rocprim17ROCPRIM_400000_NS6detail17trampoline_kernelINS0_14default_configENS1_20scan_config_selectorIdEEZZNS1_9scan_implILNS1_25lookback_scan_determinismE0ELb1ELb1ES3_N6thrust23THRUST_200600_302600_NS6detail15normal_iteratorINS9_10device_ptrIdEEEESE_d11max_functorIdEdEEDaPvRmT3_T4_T5_mT6_P12ihipStream_tbENKUlT_T0_E_clISt17integral_constantIbLb1EEST_IbLb0EEEEDaSP_SQ_EUlSP_E0_NS1_11comp_targetILNS1_3genE9ELNS1_11target_archE1100ELNS1_3gpuE3ELNS1_3repE0EEENS1_30default_config_static_selectorELNS0_4arch9wavefront6targetE1EEEvT1_
; %bb.0:
	.section	.rodata,"a",@progbits
	.p2align	6, 0x0
	.amdhsa_kernel _ZN7rocprim17ROCPRIM_400000_NS6detail17trampoline_kernelINS0_14default_configENS1_20scan_config_selectorIdEEZZNS1_9scan_implILNS1_25lookback_scan_determinismE0ELb1ELb1ES3_N6thrust23THRUST_200600_302600_NS6detail15normal_iteratorINS9_10device_ptrIdEEEESE_d11max_functorIdEdEEDaPvRmT3_T4_T5_mT6_P12ihipStream_tbENKUlT_T0_E_clISt17integral_constantIbLb1EEST_IbLb0EEEEDaSP_SQ_EUlSP_E0_NS1_11comp_targetILNS1_3genE9ELNS1_11target_archE1100ELNS1_3gpuE3ELNS1_3repE0EEENS1_30default_config_static_selectorELNS0_4arch9wavefront6targetE1EEEvT1_
		.amdhsa_group_segment_fixed_size 0
		.amdhsa_private_segment_fixed_size 0
		.amdhsa_kernarg_size 40
		.amdhsa_user_sgpr_count 6
		.amdhsa_user_sgpr_private_segment_buffer 1
		.amdhsa_user_sgpr_dispatch_ptr 0
		.amdhsa_user_sgpr_queue_ptr 0
		.amdhsa_user_sgpr_kernarg_segment_ptr 1
		.amdhsa_user_sgpr_dispatch_id 0
		.amdhsa_user_sgpr_flat_scratch_init 0
		.amdhsa_user_sgpr_kernarg_preload_length 0
		.amdhsa_user_sgpr_kernarg_preload_offset 0
		.amdhsa_user_sgpr_private_segment_size 0
		.amdhsa_uses_dynamic_stack 0
		.amdhsa_system_sgpr_private_segment_wavefront_offset 0
		.amdhsa_system_sgpr_workgroup_id_x 1
		.amdhsa_system_sgpr_workgroup_id_y 0
		.amdhsa_system_sgpr_workgroup_id_z 0
		.amdhsa_system_sgpr_workgroup_info 0
		.amdhsa_system_vgpr_workitem_id 0
		.amdhsa_next_free_vgpr 1
		.amdhsa_next_free_sgpr 0
		.amdhsa_accum_offset 4
		.amdhsa_reserve_vcc 0
		.amdhsa_reserve_flat_scratch 0
		.amdhsa_float_round_mode_32 0
		.amdhsa_float_round_mode_16_64 0
		.amdhsa_float_denorm_mode_32 3
		.amdhsa_float_denorm_mode_16_64 3
		.amdhsa_dx10_clamp 1
		.amdhsa_ieee_mode 1
		.amdhsa_fp16_overflow 0
		.amdhsa_tg_split 0
		.amdhsa_exception_fp_ieee_invalid_op 0
		.amdhsa_exception_fp_denorm_src 0
		.amdhsa_exception_fp_ieee_div_zero 0
		.amdhsa_exception_fp_ieee_overflow 0
		.amdhsa_exception_fp_ieee_underflow 0
		.amdhsa_exception_fp_ieee_inexact 0
		.amdhsa_exception_int_div_zero 0
	.end_amdhsa_kernel
	.section	.text._ZN7rocprim17ROCPRIM_400000_NS6detail17trampoline_kernelINS0_14default_configENS1_20scan_config_selectorIdEEZZNS1_9scan_implILNS1_25lookback_scan_determinismE0ELb1ELb1ES3_N6thrust23THRUST_200600_302600_NS6detail15normal_iteratorINS9_10device_ptrIdEEEESE_d11max_functorIdEdEEDaPvRmT3_T4_T5_mT6_P12ihipStream_tbENKUlT_T0_E_clISt17integral_constantIbLb1EEST_IbLb0EEEEDaSP_SQ_EUlSP_E0_NS1_11comp_targetILNS1_3genE9ELNS1_11target_archE1100ELNS1_3gpuE3ELNS1_3repE0EEENS1_30default_config_static_selectorELNS0_4arch9wavefront6targetE1EEEvT1_,"axG",@progbits,_ZN7rocprim17ROCPRIM_400000_NS6detail17trampoline_kernelINS0_14default_configENS1_20scan_config_selectorIdEEZZNS1_9scan_implILNS1_25lookback_scan_determinismE0ELb1ELb1ES3_N6thrust23THRUST_200600_302600_NS6detail15normal_iteratorINS9_10device_ptrIdEEEESE_d11max_functorIdEdEEDaPvRmT3_T4_T5_mT6_P12ihipStream_tbENKUlT_T0_E_clISt17integral_constantIbLb1EEST_IbLb0EEEEDaSP_SQ_EUlSP_E0_NS1_11comp_targetILNS1_3genE9ELNS1_11target_archE1100ELNS1_3gpuE3ELNS1_3repE0EEENS1_30default_config_static_selectorELNS0_4arch9wavefront6targetE1EEEvT1_,comdat
.Lfunc_end1923:
	.size	_ZN7rocprim17ROCPRIM_400000_NS6detail17trampoline_kernelINS0_14default_configENS1_20scan_config_selectorIdEEZZNS1_9scan_implILNS1_25lookback_scan_determinismE0ELb1ELb1ES3_N6thrust23THRUST_200600_302600_NS6detail15normal_iteratorINS9_10device_ptrIdEEEESE_d11max_functorIdEdEEDaPvRmT3_T4_T5_mT6_P12ihipStream_tbENKUlT_T0_E_clISt17integral_constantIbLb1EEST_IbLb0EEEEDaSP_SQ_EUlSP_E0_NS1_11comp_targetILNS1_3genE9ELNS1_11target_archE1100ELNS1_3gpuE3ELNS1_3repE0EEENS1_30default_config_static_selectorELNS0_4arch9wavefront6targetE1EEEvT1_, .Lfunc_end1923-_ZN7rocprim17ROCPRIM_400000_NS6detail17trampoline_kernelINS0_14default_configENS1_20scan_config_selectorIdEEZZNS1_9scan_implILNS1_25lookback_scan_determinismE0ELb1ELb1ES3_N6thrust23THRUST_200600_302600_NS6detail15normal_iteratorINS9_10device_ptrIdEEEESE_d11max_functorIdEdEEDaPvRmT3_T4_T5_mT6_P12ihipStream_tbENKUlT_T0_E_clISt17integral_constantIbLb1EEST_IbLb0EEEEDaSP_SQ_EUlSP_E0_NS1_11comp_targetILNS1_3genE9ELNS1_11target_archE1100ELNS1_3gpuE3ELNS1_3repE0EEENS1_30default_config_static_selectorELNS0_4arch9wavefront6targetE1EEEvT1_
                                        ; -- End function
	.section	.AMDGPU.csdata,"",@progbits
; Kernel info:
; codeLenInByte = 0
; NumSgprs: 4
; NumVgprs: 0
; NumAgprs: 0
; TotalNumVgprs: 0
; ScratchSize: 0
; MemoryBound: 0
; FloatMode: 240
; IeeeMode: 1
; LDSByteSize: 0 bytes/workgroup (compile time only)
; SGPRBlocks: 0
; VGPRBlocks: 0
; NumSGPRsForWavesPerEU: 4
; NumVGPRsForWavesPerEU: 1
; AccumOffset: 4
; Occupancy: 8
; WaveLimiterHint : 0
; COMPUTE_PGM_RSRC2:SCRATCH_EN: 0
; COMPUTE_PGM_RSRC2:USER_SGPR: 6
; COMPUTE_PGM_RSRC2:TRAP_HANDLER: 0
; COMPUTE_PGM_RSRC2:TGID_X_EN: 1
; COMPUTE_PGM_RSRC2:TGID_Y_EN: 0
; COMPUTE_PGM_RSRC2:TGID_Z_EN: 0
; COMPUTE_PGM_RSRC2:TIDIG_COMP_CNT: 0
; COMPUTE_PGM_RSRC3_GFX90A:ACCUM_OFFSET: 0
; COMPUTE_PGM_RSRC3_GFX90A:TG_SPLIT: 0
	.section	.text._ZN7rocprim17ROCPRIM_400000_NS6detail17trampoline_kernelINS0_14default_configENS1_20scan_config_selectorIdEEZZNS1_9scan_implILNS1_25lookback_scan_determinismE0ELb1ELb1ES3_N6thrust23THRUST_200600_302600_NS6detail15normal_iteratorINS9_10device_ptrIdEEEESE_d11max_functorIdEdEEDaPvRmT3_T4_T5_mT6_P12ihipStream_tbENKUlT_T0_E_clISt17integral_constantIbLb1EEST_IbLb0EEEEDaSP_SQ_EUlSP_E0_NS1_11comp_targetILNS1_3genE8ELNS1_11target_archE1030ELNS1_3gpuE2ELNS1_3repE0EEENS1_30default_config_static_selectorELNS0_4arch9wavefront6targetE1EEEvT1_,"axG",@progbits,_ZN7rocprim17ROCPRIM_400000_NS6detail17trampoline_kernelINS0_14default_configENS1_20scan_config_selectorIdEEZZNS1_9scan_implILNS1_25lookback_scan_determinismE0ELb1ELb1ES3_N6thrust23THRUST_200600_302600_NS6detail15normal_iteratorINS9_10device_ptrIdEEEESE_d11max_functorIdEdEEDaPvRmT3_T4_T5_mT6_P12ihipStream_tbENKUlT_T0_E_clISt17integral_constantIbLb1EEST_IbLb0EEEEDaSP_SQ_EUlSP_E0_NS1_11comp_targetILNS1_3genE8ELNS1_11target_archE1030ELNS1_3gpuE2ELNS1_3repE0EEENS1_30default_config_static_selectorELNS0_4arch9wavefront6targetE1EEEvT1_,comdat
	.protected	_ZN7rocprim17ROCPRIM_400000_NS6detail17trampoline_kernelINS0_14default_configENS1_20scan_config_selectorIdEEZZNS1_9scan_implILNS1_25lookback_scan_determinismE0ELb1ELb1ES3_N6thrust23THRUST_200600_302600_NS6detail15normal_iteratorINS9_10device_ptrIdEEEESE_d11max_functorIdEdEEDaPvRmT3_T4_T5_mT6_P12ihipStream_tbENKUlT_T0_E_clISt17integral_constantIbLb1EEST_IbLb0EEEEDaSP_SQ_EUlSP_E0_NS1_11comp_targetILNS1_3genE8ELNS1_11target_archE1030ELNS1_3gpuE2ELNS1_3repE0EEENS1_30default_config_static_selectorELNS0_4arch9wavefront6targetE1EEEvT1_ ; -- Begin function _ZN7rocprim17ROCPRIM_400000_NS6detail17trampoline_kernelINS0_14default_configENS1_20scan_config_selectorIdEEZZNS1_9scan_implILNS1_25lookback_scan_determinismE0ELb1ELb1ES3_N6thrust23THRUST_200600_302600_NS6detail15normal_iteratorINS9_10device_ptrIdEEEESE_d11max_functorIdEdEEDaPvRmT3_T4_T5_mT6_P12ihipStream_tbENKUlT_T0_E_clISt17integral_constantIbLb1EEST_IbLb0EEEEDaSP_SQ_EUlSP_E0_NS1_11comp_targetILNS1_3genE8ELNS1_11target_archE1030ELNS1_3gpuE2ELNS1_3repE0EEENS1_30default_config_static_selectorELNS0_4arch9wavefront6targetE1EEEvT1_
	.globl	_ZN7rocprim17ROCPRIM_400000_NS6detail17trampoline_kernelINS0_14default_configENS1_20scan_config_selectorIdEEZZNS1_9scan_implILNS1_25lookback_scan_determinismE0ELb1ELb1ES3_N6thrust23THRUST_200600_302600_NS6detail15normal_iteratorINS9_10device_ptrIdEEEESE_d11max_functorIdEdEEDaPvRmT3_T4_T5_mT6_P12ihipStream_tbENKUlT_T0_E_clISt17integral_constantIbLb1EEST_IbLb0EEEEDaSP_SQ_EUlSP_E0_NS1_11comp_targetILNS1_3genE8ELNS1_11target_archE1030ELNS1_3gpuE2ELNS1_3repE0EEENS1_30default_config_static_selectorELNS0_4arch9wavefront6targetE1EEEvT1_
	.p2align	8
	.type	_ZN7rocprim17ROCPRIM_400000_NS6detail17trampoline_kernelINS0_14default_configENS1_20scan_config_selectorIdEEZZNS1_9scan_implILNS1_25lookback_scan_determinismE0ELb1ELb1ES3_N6thrust23THRUST_200600_302600_NS6detail15normal_iteratorINS9_10device_ptrIdEEEESE_d11max_functorIdEdEEDaPvRmT3_T4_T5_mT6_P12ihipStream_tbENKUlT_T0_E_clISt17integral_constantIbLb1EEST_IbLb0EEEEDaSP_SQ_EUlSP_E0_NS1_11comp_targetILNS1_3genE8ELNS1_11target_archE1030ELNS1_3gpuE2ELNS1_3repE0EEENS1_30default_config_static_selectorELNS0_4arch9wavefront6targetE1EEEvT1_,@function
_ZN7rocprim17ROCPRIM_400000_NS6detail17trampoline_kernelINS0_14default_configENS1_20scan_config_selectorIdEEZZNS1_9scan_implILNS1_25lookback_scan_determinismE0ELb1ELb1ES3_N6thrust23THRUST_200600_302600_NS6detail15normal_iteratorINS9_10device_ptrIdEEEESE_d11max_functorIdEdEEDaPvRmT3_T4_T5_mT6_P12ihipStream_tbENKUlT_T0_E_clISt17integral_constantIbLb1EEST_IbLb0EEEEDaSP_SQ_EUlSP_E0_NS1_11comp_targetILNS1_3genE8ELNS1_11target_archE1030ELNS1_3gpuE2ELNS1_3repE0EEENS1_30default_config_static_selectorELNS0_4arch9wavefront6targetE1EEEvT1_: ; @_ZN7rocprim17ROCPRIM_400000_NS6detail17trampoline_kernelINS0_14default_configENS1_20scan_config_selectorIdEEZZNS1_9scan_implILNS1_25lookback_scan_determinismE0ELb1ELb1ES3_N6thrust23THRUST_200600_302600_NS6detail15normal_iteratorINS9_10device_ptrIdEEEESE_d11max_functorIdEdEEDaPvRmT3_T4_T5_mT6_P12ihipStream_tbENKUlT_T0_E_clISt17integral_constantIbLb1EEST_IbLb0EEEEDaSP_SQ_EUlSP_E0_NS1_11comp_targetILNS1_3genE8ELNS1_11target_archE1030ELNS1_3gpuE2ELNS1_3repE0EEENS1_30default_config_static_selectorELNS0_4arch9wavefront6targetE1EEEvT1_
; %bb.0:
	.section	.rodata,"a",@progbits
	.p2align	6, 0x0
	.amdhsa_kernel _ZN7rocprim17ROCPRIM_400000_NS6detail17trampoline_kernelINS0_14default_configENS1_20scan_config_selectorIdEEZZNS1_9scan_implILNS1_25lookback_scan_determinismE0ELb1ELb1ES3_N6thrust23THRUST_200600_302600_NS6detail15normal_iteratorINS9_10device_ptrIdEEEESE_d11max_functorIdEdEEDaPvRmT3_T4_T5_mT6_P12ihipStream_tbENKUlT_T0_E_clISt17integral_constantIbLb1EEST_IbLb0EEEEDaSP_SQ_EUlSP_E0_NS1_11comp_targetILNS1_3genE8ELNS1_11target_archE1030ELNS1_3gpuE2ELNS1_3repE0EEENS1_30default_config_static_selectorELNS0_4arch9wavefront6targetE1EEEvT1_
		.amdhsa_group_segment_fixed_size 0
		.amdhsa_private_segment_fixed_size 0
		.amdhsa_kernarg_size 40
		.amdhsa_user_sgpr_count 6
		.amdhsa_user_sgpr_private_segment_buffer 1
		.amdhsa_user_sgpr_dispatch_ptr 0
		.amdhsa_user_sgpr_queue_ptr 0
		.amdhsa_user_sgpr_kernarg_segment_ptr 1
		.amdhsa_user_sgpr_dispatch_id 0
		.amdhsa_user_sgpr_flat_scratch_init 0
		.amdhsa_user_sgpr_kernarg_preload_length 0
		.amdhsa_user_sgpr_kernarg_preload_offset 0
		.amdhsa_user_sgpr_private_segment_size 0
		.amdhsa_uses_dynamic_stack 0
		.amdhsa_system_sgpr_private_segment_wavefront_offset 0
		.amdhsa_system_sgpr_workgroup_id_x 1
		.amdhsa_system_sgpr_workgroup_id_y 0
		.amdhsa_system_sgpr_workgroup_id_z 0
		.amdhsa_system_sgpr_workgroup_info 0
		.amdhsa_system_vgpr_workitem_id 0
		.amdhsa_next_free_vgpr 1
		.amdhsa_next_free_sgpr 0
		.amdhsa_accum_offset 4
		.amdhsa_reserve_vcc 0
		.amdhsa_reserve_flat_scratch 0
		.amdhsa_float_round_mode_32 0
		.amdhsa_float_round_mode_16_64 0
		.amdhsa_float_denorm_mode_32 3
		.amdhsa_float_denorm_mode_16_64 3
		.amdhsa_dx10_clamp 1
		.amdhsa_ieee_mode 1
		.amdhsa_fp16_overflow 0
		.amdhsa_tg_split 0
		.amdhsa_exception_fp_ieee_invalid_op 0
		.amdhsa_exception_fp_denorm_src 0
		.amdhsa_exception_fp_ieee_div_zero 0
		.amdhsa_exception_fp_ieee_overflow 0
		.amdhsa_exception_fp_ieee_underflow 0
		.amdhsa_exception_fp_ieee_inexact 0
		.amdhsa_exception_int_div_zero 0
	.end_amdhsa_kernel
	.section	.text._ZN7rocprim17ROCPRIM_400000_NS6detail17trampoline_kernelINS0_14default_configENS1_20scan_config_selectorIdEEZZNS1_9scan_implILNS1_25lookback_scan_determinismE0ELb1ELb1ES3_N6thrust23THRUST_200600_302600_NS6detail15normal_iteratorINS9_10device_ptrIdEEEESE_d11max_functorIdEdEEDaPvRmT3_T4_T5_mT6_P12ihipStream_tbENKUlT_T0_E_clISt17integral_constantIbLb1EEST_IbLb0EEEEDaSP_SQ_EUlSP_E0_NS1_11comp_targetILNS1_3genE8ELNS1_11target_archE1030ELNS1_3gpuE2ELNS1_3repE0EEENS1_30default_config_static_selectorELNS0_4arch9wavefront6targetE1EEEvT1_,"axG",@progbits,_ZN7rocprim17ROCPRIM_400000_NS6detail17trampoline_kernelINS0_14default_configENS1_20scan_config_selectorIdEEZZNS1_9scan_implILNS1_25lookback_scan_determinismE0ELb1ELb1ES3_N6thrust23THRUST_200600_302600_NS6detail15normal_iteratorINS9_10device_ptrIdEEEESE_d11max_functorIdEdEEDaPvRmT3_T4_T5_mT6_P12ihipStream_tbENKUlT_T0_E_clISt17integral_constantIbLb1EEST_IbLb0EEEEDaSP_SQ_EUlSP_E0_NS1_11comp_targetILNS1_3genE8ELNS1_11target_archE1030ELNS1_3gpuE2ELNS1_3repE0EEENS1_30default_config_static_selectorELNS0_4arch9wavefront6targetE1EEEvT1_,comdat
.Lfunc_end1924:
	.size	_ZN7rocprim17ROCPRIM_400000_NS6detail17trampoline_kernelINS0_14default_configENS1_20scan_config_selectorIdEEZZNS1_9scan_implILNS1_25lookback_scan_determinismE0ELb1ELb1ES3_N6thrust23THRUST_200600_302600_NS6detail15normal_iteratorINS9_10device_ptrIdEEEESE_d11max_functorIdEdEEDaPvRmT3_T4_T5_mT6_P12ihipStream_tbENKUlT_T0_E_clISt17integral_constantIbLb1EEST_IbLb0EEEEDaSP_SQ_EUlSP_E0_NS1_11comp_targetILNS1_3genE8ELNS1_11target_archE1030ELNS1_3gpuE2ELNS1_3repE0EEENS1_30default_config_static_selectorELNS0_4arch9wavefront6targetE1EEEvT1_, .Lfunc_end1924-_ZN7rocprim17ROCPRIM_400000_NS6detail17trampoline_kernelINS0_14default_configENS1_20scan_config_selectorIdEEZZNS1_9scan_implILNS1_25lookback_scan_determinismE0ELb1ELb1ES3_N6thrust23THRUST_200600_302600_NS6detail15normal_iteratorINS9_10device_ptrIdEEEESE_d11max_functorIdEdEEDaPvRmT3_T4_T5_mT6_P12ihipStream_tbENKUlT_T0_E_clISt17integral_constantIbLb1EEST_IbLb0EEEEDaSP_SQ_EUlSP_E0_NS1_11comp_targetILNS1_3genE8ELNS1_11target_archE1030ELNS1_3gpuE2ELNS1_3repE0EEENS1_30default_config_static_selectorELNS0_4arch9wavefront6targetE1EEEvT1_
                                        ; -- End function
	.section	.AMDGPU.csdata,"",@progbits
; Kernel info:
; codeLenInByte = 0
; NumSgprs: 4
; NumVgprs: 0
; NumAgprs: 0
; TotalNumVgprs: 0
; ScratchSize: 0
; MemoryBound: 0
; FloatMode: 240
; IeeeMode: 1
; LDSByteSize: 0 bytes/workgroup (compile time only)
; SGPRBlocks: 0
; VGPRBlocks: 0
; NumSGPRsForWavesPerEU: 4
; NumVGPRsForWavesPerEU: 1
; AccumOffset: 4
; Occupancy: 8
; WaveLimiterHint : 0
; COMPUTE_PGM_RSRC2:SCRATCH_EN: 0
; COMPUTE_PGM_RSRC2:USER_SGPR: 6
; COMPUTE_PGM_RSRC2:TRAP_HANDLER: 0
; COMPUTE_PGM_RSRC2:TGID_X_EN: 1
; COMPUTE_PGM_RSRC2:TGID_Y_EN: 0
; COMPUTE_PGM_RSRC2:TGID_Z_EN: 0
; COMPUTE_PGM_RSRC2:TIDIG_COMP_CNT: 0
; COMPUTE_PGM_RSRC3_GFX90A:ACCUM_OFFSET: 0
; COMPUTE_PGM_RSRC3_GFX90A:TG_SPLIT: 0
	.section	.text._ZN7rocprim17ROCPRIM_400000_NS6detail17trampoline_kernelINS0_14default_configENS1_20scan_config_selectorIdEEZZNS1_9scan_implILNS1_25lookback_scan_determinismE0ELb1ELb1ES3_N6thrust23THRUST_200600_302600_NS6detail15normal_iteratorINS9_10device_ptrIdEEEESE_d11max_functorIdEdEEDaPvRmT3_T4_T5_mT6_P12ihipStream_tbENKUlT_T0_E_clISt17integral_constantIbLb0EEST_IbLb1EEEEDaSP_SQ_EUlSP_E_NS1_11comp_targetILNS1_3genE0ELNS1_11target_archE4294967295ELNS1_3gpuE0ELNS1_3repE0EEENS1_30default_config_static_selectorELNS0_4arch9wavefront6targetE1EEEvT1_,"axG",@progbits,_ZN7rocprim17ROCPRIM_400000_NS6detail17trampoline_kernelINS0_14default_configENS1_20scan_config_selectorIdEEZZNS1_9scan_implILNS1_25lookback_scan_determinismE0ELb1ELb1ES3_N6thrust23THRUST_200600_302600_NS6detail15normal_iteratorINS9_10device_ptrIdEEEESE_d11max_functorIdEdEEDaPvRmT3_T4_T5_mT6_P12ihipStream_tbENKUlT_T0_E_clISt17integral_constantIbLb0EEST_IbLb1EEEEDaSP_SQ_EUlSP_E_NS1_11comp_targetILNS1_3genE0ELNS1_11target_archE4294967295ELNS1_3gpuE0ELNS1_3repE0EEENS1_30default_config_static_selectorELNS0_4arch9wavefront6targetE1EEEvT1_,comdat
	.protected	_ZN7rocprim17ROCPRIM_400000_NS6detail17trampoline_kernelINS0_14default_configENS1_20scan_config_selectorIdEEZZNS1_9scan_implILNS1_25lookback_scan_determinismE0ELb1ELb1ES3_N6thrust23THRUST_200600_302600_NS6detail15normal_iteratorINS9_10device_ptrIdEEEESE_d11max_functorIdEdEEDaPvRmT3_T4_T5_mT6_P12ihipStream_tbENKUlT_T0_E_clISt17integral_constantIbLb0EEST_IbLb1EEEEDaSP_SQ_EUlSP_E_NS1_11comp_targetILNS1_3genE0ELNS1_11target_archE4294967295ELNS1_3gpuE0ELNS1_3repE0EEENS1_30default_config_static_selectorELNS0_4arch9wavefront6targetE1EEEvT1_ ; -- Begin function _ZN7rocprim17ROCPRIM_400000_NS6detail17trampoline_kernelINS0_14default_configENS1_20scan_config_selectorIdEEZZNS1_9scan_implILNS1_25lookback_scan_determinismE0ELb1ELb1ES3_N6thrust23THRUST_200600_302600_NS6detail15normal_iteratorINS9_10device_ptrIdEEEESE_d11max_functorIdEdEEDaPvRmT3_T4_T5_mT6_P12ihipStream_tbENKUlT_T0_E_clISt17integral_constantIbLb0EEST_IbLb1EEEEDaSP_SQ_EUlSP_E_NS1_11comp_targetILNS1_3genE0ELNS1_11target_archE4294967295ELNS1_3gpuE0ELNS1_3repE0EEENS1_30default_config_static_selectorELNS0_4arch9wavefront6targetE1EEEvT1_
	.globl	_ZN7rocprim17ROCPRIM_400000_NS6detail17trampoline_kernelINS0_14default_configENS1_20scan_config_selectorIdEEZZNS1_9scan_implILNS1_25lookback_scan_determinismE0ELb1ELb1ES3_N6thrust23THRUST_200600_302600_NS6detail15normal_iteratorINS9_10device_ptrIdEEEESE_d11max_functorIdEdEEDaPvRmT3_T4_T5_mT6_P12ihipStream_tbENKUlT_T0_E_clISt17integral_constantIbLb0EEST_IbLb1EEEEDaSP_SQ_EUlSP_E_NS1_11comp_targetILNS1_3genE0ELNS1_11target_archE4294967295ELNS1_3gpuE0ELNS1_3repE0EEENS1_30default_config_static_selectorELNS0_4arch9wavefront6targetE1EEEvT1_
	.p2align	8
	.type	_ZN7rocprim17ROCPRIM_400000_NS6detail17trampoline_kernelINS0_14default_configENS1_20scan_config_selectorIdEEZZNS1_9scan_implILNS1_25lookback_scan_determinismE0ELb1ELb1ES3_N6thrust23THRUST_200600_302600_NS6detail15normal_iteratorINS9_10device_ptrIdEEEESE_d11max_functorIdEdEEDaPvRmT3_T4_T5_mT6_P12ihipStream_tbENKUlT_T0_E_clISt17integral_constantIbLb0EEST_IbLb1EEEEDaSP_SQ_EUlSP_E_NS1_11comp_targetILNS1_3genE0ELNS1_11target_archE4294967295ELNS1_3gpuE0ELNS1_3repE0EEENS1_30default_config_static_selectorELNS0_4arch9wavefront6targetE1EEEvT1_,@function
_ZN7rocprim17ROCPRIM_400000_NS6detail17trampoline_kernelINS0_14default_configENS1_20scan_config_selectorIdEEZZNS1_9scan_implILNS1_25lookback_scan_determinismE0ELb1ELb1ES3_N6thrust23THRUST_200600_302600_NS6detail15normal_iteratorINS9_10device_ptrIdEEEESE_d11max_functorIdEdEEDaPvRmT3_T4_T5_mT6_P12ihipStream_tbENKUlT_T0_E_clISt17integral_constantIbLb0EEST_IbLb1EEEEDaSP_SQ_EUlSP_E_NS1_11comp_targetILNS1_3genE0ELNS1_11target_archE4294967295ELNS1_3gpuE0ELNS1_3repE0EEENS1_30default_config_static_selectorELNS0_4arch9wavefront6targetE1EEEvT1_: ; @_ZN7rocprim17ROCPRIM_400000_NS6detail17trampoline_kernelINS0_14default_configENS1_20scan_config_selectorIdEEZZNS1_9scan_implILNS1_25lookback_scan_determinismE0ELb1ELb1ES3_N6thrust23THRUST_200600_302600_NS6detail15normal_iteratorINS9_10device_ptrIdEEEESE_d11max_functorIdEdEEDaPvRmT3_T4_T5_mT6_P12ihipStream_tbENKUlT_T0_E_clISt17integral_constantIbLb0EEST_IbLb1EEEEDaSP_SQ_EUlSP_E_NS1_11comp_targetILNS1_3genE0ELNS1_11target_archE4294967295ELNS1_3gpuE0ELNS1_3repE0EEENS1_30default_config_static_selectorELNS0_4arch9wavefront6targetE1EEEvT1_
; %bb.0:
	.section	.rodata,"a",@progbits
	.p2align	6, 0x0
	.amdhsa_kernel _ZN7rocprim17ROCPRIM_400000_NS6detail17trampoline_kernelINS0_14default_configENS1_20scan_config_selectorIdEEZZNS1_9scan_implILNS1_25lookback_scan_determinismE0ELb1ELb1ES3_N6thrust23THRUST_200600_302600_NS6detail15normal_iteratorINS9_10device_ptrIdEEEESE_d11max_functorIdEdEEDaPvRmT3_T4_T5_mT6_P12ihipStream_tbENKUlT_T0_E_clISt17integral_constantIbLb0EEST_IbLb1EEEEDaSP_SQ_EUlSP_E_NS1_11comp_targetILNS1_3genE0ELNS1_11target_archE4294967295ELNS1_3gpuE0ELNS1_3repE0EEENS1_30default_config_static_selectorELNS0_4arch9wavefront6targetE1EEEvT1_
		.amdhsa_group_segment_fixed_size 0
		.amdhsa_private_segment_fixed_size 0
		.amdhsa_kernarg_size 104
		.amdhsa_user_sgpr_count 6
		.amdhsa_user_sgpr_private_segment_buffer 1
		.amdhsa_user_sgpr_dispatch_ptr 0
		.amdhsa_user_sgpr_queue_ptr 0
		.amdhsa_user_sgpr_kernarg_segment_ptr 1
		.amdhsa_user_sgpr_dispatch_id 0
		.amdhsa_user_sgpr_flat_scratch_init 0
		.amdhsa_user_sgpr_kernarg_preload_length 0
		.amdhsa_user_sgpr_kernarg_preload_offset 0
		.amdhsa_user_sgpr_private_segment_size 0
		.amdhsa_uses_dynamic_stack 0
		.amdhsa_system_sgpr_private_segment_wavefront_offset 0
		.amdhsa_system_sgpr_workgroup_id_x 1
		.amdhsa_system_sgpr_workgroup_id_y 0
		.amdhsa_system_sgpr_workgroup_id_z 0
		.amdhsa_system_sgpr_workgroup_info 0
		.amdhsa_system_vgpr_workitem_id 0
		.amdhsa_next_free_vgpr 1
		.amdhsa_next_free_sgpr 0
		.amdhsa_accum_offset 4
		.amdhsa_reserve_vcc 0
		.amdhsa_reserve_flat_scratch 0
		.amdhsa_float_round_mode_32 0
		.amdhsa_float_round_mode_16_64 0
		.amdhsa_float_denorm_mode_32 3
		.amdhsa_float_denorm_mode_16_64 3
		.amdhsa_dx10_clamp 1
		.amdhsa_ieee_mode 1
		.amdhsa_fp16_overflow 0
		.amdhsa_tg_split 0
		.amdhsa_exception_fp_ieee_invalid_op 0
		.amdhsa_exception_fp_denorm_src 0
		.amdhsa_exception_fp_ieee_div_zero 0
		.amdhsa_exception_fp_ieee_overflow 0
		.amdhsa_exception_fp_ieee_underflow 0
		.amdhsa_exception_fp_ieee_inexact 0
		.amdhsa_exception_int_div_zero 0
	.end_amdhsa_kernel
	.section	.text._ZN7rocprim17ROCPRIM_400000_NS6detail17trampoline_kernelINS0_14default_configENS1_20scan_config_selectorIdEEZZNS1_9scan_implILNS1_25lookback_scan_determinismE0ELb1ELb1ES3_N6thrust23THRUST_200600_302600_NS6detail15normal_iteratorINS9_10device_ptrIdEEEESE_d11max_functorIdEdEEDaPvRmT3_T4_T5_mT6_P12ihipStream_tbENKUlT_T0_E_clISt17integral_constantIbLb0EEST_IbLb1EEEEDaSP_SQ_EUlSP_E_NS1_11comp_targetILNS1_3genE0ELNS1_11target_archE4294967295ELNS1_3gpuE0ELNS1_3repE0EEENS1_30default_config_static_selectorELNS0_4arch9wavefront6targetE1EEEvT1_,"axG",@progbits,_ZN7rocprim17ROCPRIM_400000_NS6detail17trampoline_kernelINS0_14default_configENS1_20scan_config_selectorIdEEZZNS1_9scan_implILNS1_25lookback_scan_determinismE0ELb1ELb1ES3_N6thrust23THRUST_200600_302600_NS6detail15normal_iteratorINS9_10device_ptrIdEEEESE_d11max_functorIdEdEEDaPvRmT3_T4_T5_mT6_P12ihipStream_tbENKUlT_T0_E_clISt17integral_constantIbLb0EEST_IbLb1EEEEDaSP_SQ_EUlSP_E_NS1_11comp_targetILNS1_3genE0ELNS1_11target_archE4294967295ELNS1_3gpuE0ELNS1_3repE0EEENS1_30default_config_static_selectorELNS0_4arch9wavefront6targetE1EEEvT1_,comdat
.Lfunc_end1925:
	.size	_ZN7rocprim17ROCPRIM_400000_NS6detail17trampoline_kernelINS0_14default_configENS1_20scan_config_selectorIdEEZZNS1_9scan_implILNS1_25lookback_scan_determinismE0ELb1ELb1ES3_N6thrust23THRUST_200600_302600_NS6detail15normal_iteratorINS9_10device_ptrIdEEEESE_d11max_functorIdEdEEDaPvRmT3_T4_T5_mT6_P12ihipStream_tbENKUlT_T0_E_clISt17integral_constantIbLb0EEST_IbLb1EEEEDaSP_SQ_EUlSP_E_NS1_11comp_targetILNS1_3genE0ELNS1_11target_archE4294967295ELNS1_3gpuE0ELNS1_3repE0EEENS1_30default_config_static_selectorELNS0_4arch9wavefront6targetE1EEEvT1_, .Lfunc_end1925-_ZN7rocprim17ROCPRIM_400000_NS6detail17trampoline_kernelINS0_14default_configENS1_20scan_config_selectorIdEEZZNS1_9scan_implILNS1_25lookback_scan_determinismE0ELb1ELb1ES3_N6thrust23THRUST_200600_302600_NS6detail15normal_iteratorINS9_10device_ptrIdEEEESE_d11max_functorIdEdEEDaPvRmT3_T4_T5_mT6_P12ihipStream_tbENKUlT_T0_E_clISt17integral_constantIbLb0EEST_IbLb1EEEEDaSP_SQ_EUlSP_E_NS1_11comp_targetILNS1_3genE0ELNS1_11target_archE4294967295ELNS1_3gpuE0ELNS1_3repE0EEENS1_30default_config_static_selectorELNS0_4arch9wavefront6targetE1EEEvT1_
                                        ; -- End function
	.section	.AMDGPU.csdata,"",@progbits
; Kernel info:
; codeLenInByte = 0
; NumSgprs: 4
; NumVgprs: 0
; NumAgprs: 0
; TotalNumVgprs: 0
; ScratchSize: 0
; MemoryBound: 0
; FloatMode: 240
; IeeeMode: 1
; LDSByteSize: 0 bytes/workgroup (compile time only)
; SGPRBlocks: 0
; VGPRBlocks: 0
; NumSGPRsForWavesPerEU: 4
; NumVGPRsForWavesPerEU: 1
; AccumOffset: 4
; Occupancy: 8
; WaveLimiterHint : 0
; COMPUTE_PGM_RSRC2:SCRATCH_EN: 0
; COMPUTE_PGM_RSRC2:USER_SGPR: 6
; COMPUTE_PGM_RSRC2:TRAP_HANDLER: 0
; COMPUTE_PGM_RSRC2:TGID_X_EN: 1
; COMPUTE_PGM_RSRC2:TGID_Y_EN: 0
; COMPUTE_PGM_RSRC2:TGID_Z_EN: 0
; COMPUTE_PGM_RSRC2:TIDIG_COMP_CNT: 0
; COMPUTE_PGM_RSRC3_GFX90A:ACCUM_OFFSET: 0
; COMPUTE_PGM_RSRC3_GFX90A:TG_SPLIT: 0
	.section	.text._ZN7rocprim17ROCPRIM_400000_NS6detail17trampoline_kernelINS0_14default_configENS1_20scan_config_selectorIdEEZZNS1_9scan_implILNS1_25lookback_scan_determinismE0ELb1ELb1ES3_N6thrust23THRUST_200600_302600_NS6detail15normal_iteratorINS9_10device_ptrIdEEEESE_d11max_functorIdEdEEDaPvRmT3_T4_T5_mT6_P12ihipStream_tbENKUlT_T0_E_clISt17integral_constantIbLb0EEST_IbLb1EEEEDaSP_SQ_EUlSP_E_NS1_11comp_targetILNS1_3genE5ELNS1_11target_archE942ELNS1_3gpuE9ELNS1_3repE0EEENS1_30default_config_static_selectorELNS0_4arch9wavefront6targetE1EEEvT1_,"axG",@progbits,_ZN7rocprim17ROCPRIM_400000_NS6detail17trampoline_kernelINS0_14default_configENS1_20scan_config_selectorIdEEZZNS1_9scan_implILNS1_25lookback_scan_determinismE0ELb1ELb1ES3_N6thrust23THRUST_200600_302600_NS6detail15normal_iteratorINS9_10device_ptrIdEEEESE_d11max_functorIdEdEEDaPvRmT3_T4_T5_mT6_P12ihipStream_tbENKUlT_T0_E_clISt17integral_constantIbLb0EEST_IbLb1EEEEDaSP_SQ_EUlSP_E_NS1_11comp_targetILNS1_3genE5ELNS1_11target_archE942ELNS1_3gpuE9ELNS1_3repE0EEENS1_30default_config_static_selectorELNS0_4arch9wavefront6targetE1EEEvT1_,comdat
	.protected	_ZN7rocprim17ROCPRIM_400000_NS6detail17trampoline_kernelINS0_14default_configENS1_20scan_config_selectorIdEEZZNS1_9scan_implILNS1_25lookback_scan_determinismE0ELb1ELb1ES3_N6thrust23THRUST_200600_302600_NS6detail15normal_iteratorINS9_10device_ptrIdEEEESE_d11max_functorIdEdEEDaPvRmT3_T4_T5_mT6_P12ihipStream_tbENKUlT_T0_E_clISt17integral_constantIbLb0EEST_IbLb1EEEEDaSP_SQ_EUlSP_E_NS1_11comp_targetILNS1_3genE5ELNS1_11target_archE942ELNS1_3gpuE9ELNS1_3repE0EEENS1_30default_config_static_selectorELNS0_4arch9wavefront6targetE1EEEvT1_ ; -- Begin function _ZN7rocprim17ROCPRIM_400000_NS6detail17trampoline_kernelINS0_14default_configENS1_20scan_config_selectorIdEEZZNS1_9scan_implILNS1_25lookback_scan_determinismE0ELb1ELb1ES3_N6thrust23THRUST_200600_302600_NS6detail15normal_iteratorINS9_10device_ptrIdEEEESE_d11max_functorIdEdEEDaPvRmT3_T4_T5_mT6_P12ihipStream_tbENKUlT_T0_E_clISt17integral_constantIbLb0EEST_IbLb1EEEEDaSP_SQ_EUlSP_E_NS1_11comp_targetILNS1_3genE5ELNS1_11target_archE942ELNS1_3gpuE9ELNS1_3repE0EEENS1_30default_config_static_selectorELNS0_4arch9wavefront6targetE1EEEvT1_
	.globl	_ZN7rocprim17ROCPRIM_400000_NS6detail17trampoline_kernelINS0_14default_configENS1_20scan_config_selectorIdEEZZNS1_9scan_implILNS1_25lookback_scan_determinismE0ELb1ELb1ES3_N6thrust23THRUST_200600_302600_NS6detail15normal_iteratorINS9_10device_ptrIdEEEESE_d11max_functorIdEdEEDaPvRmT3_T4_T5_mT6_P12ihipStream_tbENKUlT_T0_E_clISt17integral_constantIbLb0EEST_IbLb1EEEEDaSP_SQ_EUlSP_E_NS1_11comp_targetILNS1_3genE5ELNS1_11target_archE942ELNS1_3gpuE9ELNS1_3repE0EEENS1_30default_config_static_selectorELNS0_4arch9wavefront6targetE1EEEvT1_
	.p2align	8
	.type	_ZN7rocprim17ROCPRIM_400000_NS6detail17trampoline_kernelINS0_14default_configENS1_20scan_config_selectorIdEEZZNS1_9scan_implILNS1_25lookback_scan_determinismE0ELb1ELb1ES3_N6thrust23THRUST_200600_302600_NS6detail15normal_iteratorINS9_10device_ptrIdEEEESE_d11max_functorIdEdEEDaPvRmT3_T4_T5_mT6_P12ihipStream_tbENKUlT_T0_E_clISt17integral_constantIbLb0EEST_IbLb1EEEEDaSP_SQ_EUlSP_E_NS1_11comp_targetILNS1_3genE5ELNS1_11target_archE942ELNS1_3gpuE9ELNS1_3repE0EEENS1_30default_config_static_selectorELNS0_4arch9wavefront6targetE1EEEvT1_,@function
_ZN7rocprim17ROCPRIM_400000_NS6detail17trampoline_kernelINS0_14default_configENS1_20scan_config_selectorIdEEZZNS1_9scan_implILNS1_25lookback_scan_determinismE0ELb1ELb1ES3_N6thrust23THRUST_200600_302600_NS6detail15normal_iteratorINS9_10device_ptrIdEEEESE_d11max_functorIdEdEEDaPvRmT3_T4_T5_mT6_P12ihipStream_tbENKUlT_T0_E_clISt17integral_constantIbLb0EEST_IbLb1EEEEDaSP_SQ_EUlSP_E_NS1_11comp_targetILNS1_3genE5ELNS1_11target_archE942ELNS1_3gpuE9ELNS1_3repE0EEENS1_30default_config_static_selectorELNS0_4arch9wavefront6targetE1EEEvT1_: ; @_ZN7rocprim17ROCPRIM_400000_NS6detail17trampoline_kernelINS0_14default_configENS1_20scan_config_selectorIdEEZZNS1_9scan_implILNS1_25lookback_scan_determinismE0ELb1ELb1ES3_N6thrust23THRUST_200600_302600_NS6detail15normal_iteratorINS9_10device_ptrIdEEEESE_d11max_functorIdEdEEDaPvRmT3_T4_T5_mT6_P12ihipStream_tbENKUlT_T0_E_clISt17integral_constantIbLb0EEST_IbLb1EEEEDaSP_SQ_EUlSP_E_NS1_11comp_targetILNS1_3genE5ELNS1_11target_archE942ELNS1_3gpuE9ELNS1_3repE0EEENS1_30default_config_static_selectorELNS0_4arch9wavefront6targetE1EEEvT1_
; %bb.0:
	.section	.rodata,"a",@progbits
	.p2align	6, 0x0
	.amdhsa_kernel _ZN7rocprim17ROCPRIM_400000_NS6detail17trampoline_kernelINS0_14default_configENS1_20scan_config_selectorIdEEZZNS1_9scan_implILNS1_25lookback_scan_determinismE0ELb1ELb1ES3_N6thrust23THRUST_200600_302600_NS6detail15normal_iteratorINS9_10device_ptrIdEEEESE_d11max_functorIdEdEEDaPvRmT3_T4_T5_mT6_P12ihipStream_tbENKUlT_T0_E_clISt17integral_constantIbLb0EEST_IbLb1EEEEDaSP_SQ_EUlSP_E_NS1_11comp_targetILNS1_3genE5ELNS1_11target_archE942ELNS1_3gpuE9ELNS1_3repE0EEENS1_30default_config_static_selectorELNS0_4arch9wavefront6targetE1EEEvT1_
		.amdhsa_group_segment_fixed_size 0
		.amdhsa_private_segment_fixed_size 0
		.amdhsa_kernarg_size 104
		.amdhsa_user_sgpr_count 6
		.amdhsa_user_sgpr_private_segment_buffer 1
		.amdhsa_user_sgpr_dispatch_ptr 0
		.amdhsa_user_sgpr_queue_ptr 0
		.amdhsa_user_sgpr_kernarg_segment_ptr 1
		.amdhsa_user_sgpr_dispatch_id 0
		.amdhsa_user_sgpr_flat_scratch_init 0
		.amdhsa_user_sgpr_kernarg_preload_length 0
		.amdhsa_user_sgpr_kernarg_preload_offset 0
		.amdhsa_user_sgpr_private_segment_size 0
		.amdhsa_uses_dynamic_stack 0
		.amdhsa_system_sgpr_private_segment_wavefront_offset 0
		.amdhsa_system_sgpr_workgroup_id_x 1
		.amdhsa_system_sgpr_workgroup_id_y 0
		.amdhsa_system_sgpr_workgroup_id_z 0
		.amdhsa_system_sgpr_workgroup_info 0
		.amdhsa_system_vgpr_workitem_id 0
		.amdhsa_next_free_vgpr 1
		.amdhsa_next_free_sgpr 0
		.amdhsa_accum_offset 4
		.amdhsa_reserve_vcc 0
		.amdhsa_reserve_flat_scratch 0
		.amdhsa_float_round_mode_32 0
		.amdhsa_float_round_mode_16_64 0
		.amdhsa_float_denorm_mode_32 3
		.amdhsa_float_denorm_mode_16_64 3
		.amdhsa_dx10_clamp 1
		.amdhsa_ieee_mode 1
		.amdhsa_fp16_overflow 0
		.amdhsa_tg_split 0
		.amdhsa_exception_fp_ieee_invalid_op 0
		.amdhsa_exception_fp_denorm_src 0
		.amdhsa_exception_fp_ieee_div_zero 0
		.amdhsa_exception_fp_ieee_overflow 0
		.amdhsa_exception_fp_ieee_underflow 0
		.amdhsa_exception_fp_ieee_inexact 0
		.amdhsa_exception_int_div_zero 0
	.end_amdhsa_kernel
	.section	.text._ZN7rocprim17ROCPRIM_400000_NS6detail17trampoline_kernelINS0_14default_configENS1_20scan_config_selectorIdEEZZNS1_9scan_implILNS1_25lookback_scan_determinismE0ELb1ELb1ES3_N6thrust23THRUST_200600_302600_NS6detail15normal_iteratorINS9_10device_ptrIdEEEESE_d11max_functorIdEdEEDaPvRmT3_T4_T5_mT6_P12ihipStream_tbENKUlT_T0_E_clISt17integral_constantIbLb0EEST_IbLb1EEEEDaSP_SQ_EUlSP_E_NS1_11comp_targetILNS1_3genE5ELNS1_11target_archE942ELNS1_3gpuE9ELNS1_3repE0EEENS1_30default_config_static_selectorELNS0_4arch9wavefront6targetE1EEEvT1_,"axG",@progbits,_ZN7rocprim17ROCPRIM_400000_NS6detail17trampoline_kernelINS0_14default_configENS1_20scan_config_selectorIdEEZZNS1_9scan_implILNS1_25lookback_scan_determinismE0ELb1ELb1ES3_N6thrust23THRUST_200600_302600_NS6detail15normal_iteratorINS9_10device_ptrIdEEEESE_d11max_functorIdEdEEDaPvRmT3_T4_T5_mT6_P12ihipStream_tbENKUlT_T0_E_clISt17integral_constantIbLb0EEST_IbLb1EEEEDaSP_SQ_EUlSP_E_NS1_11comp_targetILNS1_3genE5ELNS1_11target_archE942ELNS1_3gpuE9ELNS1_3repE0EEENS1_30default_config_static_selectorELNS0_4arch9wavefront6targetE1EEEvT1_,comdat
.Lfunc_end1926:
	.size	_ZN7rocprim17ROCPRIM_400000_NS6detail17trampoline_kernelINS0_14default_configENS1_20scan_config_selectorIdEEZZNS1_9scan_implILNS1_25lookback_scan_determinismE0ELb1ELb1ES3_N6thrust23THRUST_200600_302600_NS6detail15normal_iteratorINS9_10device_ptrIdEEEESE_d11max_functorIdEdEEDaPvRmT3_T4_T5_mT6_P12ihipStream_tbENKUlT_T0_E_clISt17integral_constantIbLb0EEST_IbLb1EEEEDaSP_SQ_EUlSP_E_NS1_11comp_targetILNS1_3genE5ELNS1_11target_archE942ELNS1_3gpuE9ELNS1_3repE0EEENS1_30default_config_static_selectorELNS0_4arch9wavefront6targetE1EEEvT1_, .Lfunc_end1926-_ZN7rocprim17ROCPRIM_400000_NS6detail17trampoline_kernelINS0_14default_configENS1_20scan_config_selectorIdEEZZNS1_9scan_implILNS1_25lookback_scan_determinismE0ELb1ELb1ES3_N6thrust23THRUST_200600_302600_NS6detail15normal_iteratorINS9_10device_ptrIdEEEESE_d11max_functorIdEdEEDaPvRmT3_T4_T5_mT6_P12ihipStream_tbENKUlT_T0_E_clISt17integral_constantIbLb0EEST_IbLb1EEEEDaSP_SQ_EUlSP_E_NS1_11comp_targetILNS1_3genE5ELNS1_11target_archE942ELNS1_3gpuE9ELNS1_3repE0EEENS1_30default_config_static_selectorELNS0_4arch9wavefront6targetE1EEEvT1_
                                        ; -- End function
	.section	.AMDGPU.csdata,"",@progbits
; Kernel info:
; codeLenInByte = 0
; NumSgprs: 4
; NumVgprs: 0
; NumAgprs: 0
; TotalNumVgprs: 0
; ScratchSize: 0
; MemoryBound: 0
; FloatMode: 240
; IeeeMode: 1
; LDSByteSize: 0 bytes/workgroup (compile time only)
; SGPRBlocks: 0
; VGPRBlocks: 0
; NumSGPRsForWavesPerEU: 4
; NumVGPRsForWavesPerEU: 1
; AccumOffset: 4
; Occupancy: 8
; WaveLimiterHint : 0
; COMPUTE_PGM_RSRC2:SCRATCH_EN: 0
; COMPUTE_PGM_RSRC2:USER_SGPR: 6
; COMPUTE_PGM_RSRC2:TRAP_HANDLER: 0
; COMPUTE_PGM_RSRC2:TGID_X_EN: 1
; COMPUTE_PGM_RSRC2:TGID_Y_EN: 0
; COMPUTE_PGM_RSRC2:TGID_Z_EN: 0
; COMPUTE_PGM_RSRC2:TIDIG_COMP_CNT: 0
; COMPUTE_PGM_RSRC3_GFX90A:ACCUM_OFFSET: 0
; COMPUTE_PGM_RSRC3_GFX90A:TG_SPLIT: 0
	.section	.text._ZN7rocprim17ROCPRIM_400000_NS6detail17trampoline_kernelINS0_14default_configENS1_20scan_config_selectorIdEEZZNS1_9scan_implILNS1_25lookback_scan_determinismE0ELb1ELb1ES3_N6thrust23THRUST_200600_302600_NS6detail15normal_iteratorINS9_10device_ptrIdEEEESE_d11max_functorIdEdEEDaPvRmT3_T4_T5_mT6_P12ihipStream_tbENKUlT_T0_E_clISt17integral_constantIbLb0EEST_IbLb1EEEEDaSP_SQ_EUlSP_E_NS1_11comp_targetILNS1_3genE4ELNS1_11target_archE910ELNS1_3gpuE8ELNS1_3repE0EEENS1_30default_config_static_selectorELNS0_4arch9wavefront6targetE1EEEvT1_,"axG",@progbits,_ZN7rocprim17ROCPRIM_400000_NS6detail17trampoline_kernelINS0_14default_configENS1_20scan_config_selectorIdEEZZNS1_9scan_implILNS1_25lookback_scan_determinismE0ELb1ELb1ES3_N6thrust23THRUST_200600_302600_NS6detail15normal_iteratorINS9_10device_ptrIdEEEESE_d11max_functorIdEdEEDaPvRmT3_T4_T5_mT6_P12ihipStream_tbENKUlT_T0_E_clISt17integral_constantIbLb0EEST_IbLb1EEEEDaSP_SQ_EUlSP_E_NS1_11comp_targetILNS1_3genE4ELNS1_11target_archE910ELNS1_3gpuE8ELNS1_3repE0EEENS1_30default_config_static_selectorELNS0_4arch9wavefront6targetE1EEEvT1_,comdat
	.protected	_ZN7rocprim17ROCPRIM_400000_NS6detail17trampoline_kernelINS0_14default_configENS1_20scan_config_selectorIdEEZZNS1_9scan_implILNS1_25lookback_scan_determinismE0ELb1ELb1ES3_N6thrust23THRUST_200600_302600_NS6detail15normal_iteratorINS9_10device_ptrIdEEEESE_d11max_functorIdEdEEDaPvRmT3_T4_T5_mT6_P12ihipStream_tbENKUlT_T0_E_clISt17integral_constantIbLb0EEST_IbLb1EEEEDaSP_SQ_EUlSP_E_NS1_11comp_targetILNS1_3genE4ELNS1_11target_archE910ELNS1_3gpuE8ELNS1_3repE0EEENS1_30default_config_static_selectorELNS0_4arch9wavefront6targetE1EEEvT1_ ; -- Begin function _ZN7rocprim17ROCPRIM_400000_NS6detail17trampoline_kernelINS0_14default_configENS1_20scan_config_selectorIdEEZZNS1_9scan_implILNS1_25lookback_scan_determinismE0ELb1ELb1ES3_N6thrust23THRUST_200600_302600_NS6detail15normal_iteratorINS9_10device_ptrIdEEEESE_d11max_functorIdEdEEDaPvRmT3_T4_T5_mT6_P12ihipStream_tbENKUlT_T0_E_clISt17integral_constantIbLb0EEST_IbLb1EEEEDaSP_SQ_EUlSP_E_NS1_11comp_targetILNS1_3genE4ELNS1_11target_archE910ELNS1_3gpuE8ELNS1_3repE0EEENS1_30default_config_static_selectorELNS0_4arch9wavefront6targetE1EEEvT1_
	.globl	_ZN7rocprim17ROCPRIM_400000_NS6detail17trampoline_kernelINS0_14default_configENS1_20scan_config_selectorIdEEZZNS1_9scan_implILNS1_25lookback_scan_determinismE0ELb1ELb1ES3_N6thrust23THRUST_200600_302600_NS6detail15normal_iteratorINS9_10device_ptrIdEEEESE_d11max_functorIdEdEEDaPvRmT3_T4_T5_mT6_P12ihipStream_tbENKUlT_T0_E_clISt17integral_constantIbLb0EEST_IbLb1EEEEDaSP_SQ_EUlSP_E_NS1_11comp_targetILNS1_3genE4ELNS1_11target_archE910ELNS1_3gpuE8ELNS1_3repE0EEENS1_30default_config_static_selectorELNS0_4arch9wavefront6targetE1EEEvT1_
	.p2align	8
	.type	_ZN7rocprim17ROCPRIM_400000_NS6detail17trampoline_kernelINS0_14default_configENS1_20scan_config_selectorIdEEZZNS1_9scan_implILNS1_25lookback_scan_determinismE0ELb1ELb1ES3_N6thrust23THRUST_200600_302600_NS6detail15normal_iteratorINS9_10device_ptrIdEEEESE_d11max_functorIdEdEEDaPvRmT3_T4_T5_mT6_P12ihipStream_tbENKUlT_T0_E_clISt17integral_constantIbLb0EEST_IbLb1EEEEDaSP_SQ_EUlSP_E_NS1_11comp_targetILNS1_3genE4ELNS1_11target_archE910ELNS1_3gpuE8ELNS1_3repE0EEENS1_30default_config_static_selectorELNS0_4arch9wavefront6targetE1EEEvT1_,@function
_ZN7rocprim17ROCPRIM_400000_NS6detail17trampoline_kernelINS0_14default_configENS1_20scan_config_selectorIdEEZZNS1_9scan_implILNS1_25lookback_scan_determinismE0ELb1ELb1ES3_N6thrust23THRUST_200600_302600_NS6detail15normal_iteratorINS9_10device_ptrIdEEEESE_d11max_functorIdEdEEDaPvRmT3_T4_T5_mT6_P12ihipStream_tbENKUlT_T0_E_clISt17integral_constantIbLb0EEST_IbLb1EEEEDaSP_SQ_EUlSP_E_NS1_11comp_targetILNS1_3genE4ELNS1_11target_archE910ELNS1_3gpuE8ELNS1_3repE0EEENS1_30default_config_static_selectorELNS0_4arch9wavefront6targetE1EEEvT1_: ; @_ZN7rocprim17ROCPRIM_400000_NS6detail17trampoline_kernelINS0_14default_configENS1_20scan_config_selectorIdEEZZNS1_9scan_implILNS1_25lookback_scan_determinismE0ELb1ELb1ES3_N6thrust23THRUST_200600_302600_NS6detail15normal_iteratorINS9_10device_ptrIdEEEESE_d11max_functorIdEdEEDaPvRmT3_T4_T5_mT6_P12ihipStream_tbENKUlT_T0_E_clISt17integral_constantIbLb0EEST_IbLb1EEEEDaSP_SQ_EUlSP_E_NS1_11comp_targetILNS1_3genE4ELNS1_11target_archE910ELNS1_3gpuE8ELNS1_3repE0EEENS1_30default_config_static_selectorELNS0_4arch9wavefront6targetE1EEEvT1_
; %bb.0:
	s_load_dwordx8 s[16:23], s[4:5], 0x0
	s_load_dwordx2 s[24:25], s[4:5], 0x20
	s_load_dwordx2 s[6:7], s[4:5], 0x30
	v_cmp_eq_u32_e64 s[0:1], 0, v0
	s_and_saveexec_b64 s[2:3], s[0:1]
	s_cbranch_execz .LBB1927_4
; %bb.1:
	s_mov_b64 s[10:11], exec
	v_mbcnt_lo_u32_b32 v1, s10, 0
	v_mbcnt_hi_u32_b32 v1, s11, v1
	v_cmp_eq_u32_e32 vcc, 0, v1
                                        ; implicit-def: $vgpr2
	s_and_saveexec_b64 s[8:9], vcc
	s_cbranch_execz .LBB1927_3
; %bb.2:
	s_load_dwordx2 s[12:13], s[4:5], 0x60
	s_bcnt1_i32_b64 s10, s[10:11]
	v_mov_b32_e32 v2, 0
	v_mov_b32_e32 v3, s10
	s_waitcnt lgkmcnt(0)
	global_atomic_add v2, v2, v3, s[12:13] glc
.LBB1927_3:
	s_or_b64 exec, exec, s[8:9]
	s_waitcnt vmcnt(0)
	v_readfirstlane_b32 s8, v2
	v_add_u32_e32 v1, s8, v1
	v_mov_b32_e32 v2, 0
	ds_write_b32 v2, v1
.LBB1927_4:
	s_or_b64 exec, exec, s[2:3]
	s_load_dword s2, s[4:5], 0x38
	s_load_dwordx8 s[8:15], s[4:5], 0x40
	v_mov_b32_e32 v1, 0
	s_waitcnt lgkmcnt(0)
	s_barrier
	ds_read_b32 v1, v1
	s_lshl_b64 s[18:19], s[18:19], 3
	s_add_u32 s33, s16, s18
	s_addc_u32 s34, s17, s19
	s_add_i32 s2, s2, -1
	s_mul_i32 s3, s2, 0x500
	s_sub_u32 s30, s22, s3
	s_waitcnt lgkmcnt(0)
	v_readfirstlane_b32 s35, v1
	s_subb_u32 s31, s23, 0
	s_mul_i32 s4, s35, 0x500
	s_mov_b32 s5, 0
	s_cmp_lg_u32 s35, s2
	s_cselect_b64 s[16:17], -1, 0
	s_lshl_b64 s[22:23], s[4:5], 3
	s_add_u32 s4, s33, s22
	s_addc_u32 s5, s34, s23
	s_mov_b64 s[2:3], -1
	s_and_b64 vcc, exec, s[16:17]
	v_lshlrev_b32_e32 v44, 3, v0
	s_barrier
	s_cbranch_vccz .LBB1927_6
; %bb.5:
	v_mov_b32_e32 v1, s5
	v_add_co_u32_e32 v2, vcc, s4, v44
	v_addc_co_u32_e32 v3, vcc, 0, v1, vcc
	v_add_co_u32_e32 v12, vcc, 0x1000, v2
	v_addc_co_u32_e32 v13, vcc, 0, v3, vcc
	flat_load_dwordx2 v[4:5], v[2:3]
	flat_load_dwordx2 v[6:7], v[2:3] offset:1024
	flat_load_dwordx2 v[8:9], v[2:3] offset:2048
	;; [unrolled: 1-line block ×3, first 2 shown]
	v_add_co_u32_e32 v2, vcc, 0x2000, v2
	v_addc_co_u32_e32 v3, vcc, 0, v3, vcc
	flat_load_dwordx2 v[14:15], v[12:13]
	flat_load_dwordx2 v[16:17], v[12:13] offset:1024
	flat_load_dwordx2 v[18:19], v[12:13] offset:2048
	;; [unrolled: 1-line block ×3, first 2 shown]
	s_nop 0
	flat_load_dwordx2 v[12:13], v[2:3]
	flat_load_dwordx2 v[22:23], v[2:3] offset:1024
	s_mov_b64 s[2:3], 0
	s_waitcnt vmcnt(0) lgkmcnt(0)
	ds_write2st64_b64 v44, v[4:5], v[6:7] offset1:2
	ds_write2st64_b64 v44, v[8:9], v[10:11] offset0:4 offset1:6
	ds_write2st64_b64 v44, v[14:15], v[16:17] offset0:8 offset1:10
	ds_write2st64_b64 v44, v[18:19], v[20:21] offset0:12 offset1:14
	ds_write2st64_b64 v44, v[12:13], v[22:23] offset0:16 offset1:18
	s_waitcnt lgkmcnt(0)
	s_barrier
.LBB1927_6:
	s_andn2_b64 vcc, exec, s[2:3]
	v_cmp_gt_u32_e64 s[2:3], s30, v0
	s_cbranch_vccnz .LBB1927_28
; %bb.7:
	v_pk_mov_b32 v[2:3], s[4:5], s[4:5] op_sel:[0,1]
	flat_load_dwordx2 v[2:3], v[2:3]
	s_waitcnt vmcnt(0) lgkmcnt(0)
	v_mov_b32_e32 v4, v2
	v_mov_b32_e32 v5, v3
	;; [unrolled: 1-line block ×16, first 2 shown]
	v_pk_mov_b32 v[34:35], v[30:31], v[30:31] op_sel:[0,1]
	v_pk_mov_b32 v[32:33], v[28:29], v[28:29] op_sel:[0,1]
	;; [unrolled: 1-line block ×16, first 2 shown]
	s_and_saveexec_b64 s[26:27], s[2:3]
	s_cbranch_execz .LBB1927_9
; %bb.8:
	v_mov_b32_e32 v1, s5
	v_add_co_u32_e32 v4, vcc, s4, v44
	v_addc_co_u32_e32 v5, vcc, 0, v1, vcc
	flat_load_dwordx2 v[36:37], v[4:5]
	v_mov_b32_e32 v4, v2
	v_mov_b32_e32 v5, v3
	;; [unrolled: 1-line block ×16, first 2 shown]
	v_pk_mov_b32 v[34:35], v[30:31], v[30:31] op_sel:[0,1]
	v_pk_mov_b32 v[32:33], v[28:29], v[28:29] op_sel:[0,1]
	;; [unrolled: 1-line block ×16, first 2 shown]
	s_waitcnt vmcnt(0) lgkmcnt(0)
	v_pk_mov_b32 v[2:3], v[36:37], v[36:37] op_sel:[0,1]
.LBB1927_9:
	s_or_b64 exec, exec, s[26:27]
	v_or_b32_e32 v1, 0x80, v0
	v_cmp_gt_u32_e32 vcc, s30, v1
	s_and_saveexec_b64 s[2:3], vcc
	s_cbranch_execz .LBB1927_11
; %bb.10:
	v_mov_b32_e32 v1, s5
	v_add_co_u32_e32 v4, vcc, s4, v44
	v_addc_co_u32_e32 v5, vcc, 0, v1, vcc
	flat_load_dwordx2 v[6:7], v[4:5] offset:1024
.LBB1927_11:
	s_or_b64 exec, exec, s[2:3]
	v_or_b32_e32 v1, 0x100, v0
	v_cmp_gt_u32_e32 vcc, s30, v1
	s_and_saveexec_b64 s[2:3], vcc
	s_cbranch_execz .LBB1927_13
; %bb.12:
	v_mov_b32_e32 v1, s5
	v_add_co_u32_e32 v4, vcc, s4, v44
	v_addc_co_u32_e32 v5, vcc, 0, v1, vcc
	flat_load_dwordx2 v[8:9], v[4:5] offset:2048
.LBB1927_13:
	;; [unrolled: 11-line block ×3, first 2 shown]
	s_or_b64 exec, exec, s[2:3]
	v_or_b32_e32 v1, 0x200, v0
	v_cmp_gt_u32_e32 vcc, s30, v1
	s_and_saveexec_b64 s[2:3], vcc
	s_cbranch_execz .LBB1927_17
; %bb.16:
	v_lshlrev_b32_e32 v1, 3, v1
	v_mov_b32_e32 v5, s5
	v_add_co_u32_e32 v4, vcc, s4, v1
	v_addc_co_u32_e32 v5, vcc, 0, v5, vcc
	flat_load_dwordx2 v[12:13], v[4:5]
.LBB1927_17:
	s_or_b64 exec, exec, s[2:3]
	v_or_b32_e32 v1, 0x280, v0
	v_cmp_gt_u32_e32 vcc, s30, v1
	s_and_saveexec_b64 s[2:3], vcc
	s_cbranch_execz .LBB1927_19
; %bb.18:
	v_lshlrev_b32_e32 v1, 3, v1
	v_mov_b32_e32 v5, s5
	v_add_co_u32_e32 v4, vcc, s4, v1
	v_addc_co_u32_e32 v5, vcc, 0, v5, vcc
	flat_load_dwordx2 v[14:15], v[4:5]
.LBB1927_19:
	;; [unrolled: 12-line block ×6, first 2 shown]
	s_or_b64 exec, exec, s[2:3]
	s_waitcnt vmcnt(0) lgkmcnt(0)
	ds_write2st64_b64 v44, v[2:3], v[6:7] offset1:2
	ds_write2st64_b64 v44, v[8:9], v[10:11] offset0:4 offset1:6
	ds_write2st64_b64 v44, v[12:13], v[14:15] offset0:8 offset1:10
	;; [unrolled: 1-line block ×4, first 2 shown]
	s_waitcnt lgkmcnt(0)
	s_barrier
.LBB1927_28:
	v_mul_u32_u24_e32 v45, 10, v0
	v_lshlrev_b32_e32 v46, 3, v45
	ds_read_b128 v[14:17], v46
	ds_read_b128 v[10:13], v46 offset:16
	ds_read_b128 v[6:9], v46 offset:32
	ds_read_b128 v[2:5], v46 offset:48
	ds_read_b128 v[18:21], v46 offset:64
	s_cmp_lg_u32 s35, 0
	s_waitcnt lgkmcnt(4)
	v_cmp_lt_f64_e32 vcc, v[14:15], v[16:17]
	v_mbcnt_lo_u32_b32 v1, -1, 0
	s_waitcnt lgkmcnt(0)
	s_barrier
	s_cbranch_scc0 .LBB1927_85
; %bb.29:
	v_cndmask_b32_e32 v23, v15, v17, vcc
	v_cndmask_b32_e32 v22, v14, v16, vcc
	v_cmp_lt_f64_e32 vcc, v[22:23], v[10:11]
	v_cndmask_b32_e32 v23, v23, v11, vcc
	v_cndmask_b32_e32 v22, v22, v10, vcc
	v_cmp_lt_f64_e32 vcc, v[22:23], v[12:13]
	;; [unrolled: 3-line block ×8, first 2 shown]
	v_mbcnt_hi_u32_b32 v33, -1, v1
	v_cndmask_b32_e32 v23, v23, v21, vcc
	v_cndmask_b32_e32 v22, v22, v20, vcc
	v_and_b32_e32 v26, 15, v33
	v_mov_b32_dpp v25, v23 row_shr:1 row_mask:0xf bank_mask:0xf
	v_mov_b32_dpp v24, v22 row_shr:1 row_mask:0xf bank_mask:0xf
	v_cmp_ne_u32_e32 vcc, 0, v26
	s_and_saveexec_b64 s[2:3], vcc
; %bb.30:
	v_cmp_gt_f64_e32 vcc, v[22:23], v[24:25]
	v_cndmask_b32_e32 v23, v25, v23, vcc
	v_cndmask_b32_e32 v22, v24, v22, vcc
; %bb.31:
	s_or_b64 exec, exec, s[2:3]
	s_nop 0
	v_mov_b32_dpp v24, v22 row_shr:2 row_mask:0xf bank_mask:0xf
	v_mov_b32_dpp v25, v23 row_shr:2 row_mask:0xf bank_mask:0xf
	v_cmp_lt_u32_e32 vcc, 1, v26
	s_and_saveexec_b64 s[2:3], vcc
; %bb.32:
	v_cmp_gt_f64_e32 vcc, v[22:23], v[24:25]
	v_cndmask_b32_e32 v23, v25, v23, vcc
	v_cndmask_b32_e32 v22, v24, v22, vcc
; %bb.33:
	s_or_b64 exec, exec, s[2:3]
	s_nop 0
	v_mov_b32_dpp v24, v22 row_shr:4 row_mask:0xf bank_mask:0xf
	v_mov_b32_dpp v25, v23 row_shr:4 row_mask:0xf bank_mask:0xf
	v_cmp_lt_u32_e32 vcc, 3, v26
	;; [unrolled: 11-line block ×3, first 2 shown]
	s_and_saveexec_b64 s[2:3], vcc
; %bb.36:
	v_cmp_gt_f64_e32 vcc, v[22:23], v[24:25]
	v_cndmask_b32_e32 v23, v25, v23, vcc
	v_cndmask_b32_e32 v22, v24, v22, vcc
; %bb.37:
	s_or_b64 exec, exec, s[2:3]
	v_and_b32_e32 v26, 16, v33
	v_mov_b32_dpp v24, v22 row_bcast:15 row_mask:0xf bank_mask:0xf
	v_mov_b32_dpp v25, v23 row_bcast:15 row_mask:0xf bank_mask:0xf
	v_cmp_ne_u32_e32 vcc, 0, v26
	s_and_saveexec_b64 s[2:3], vcc
; %bb.38:
	v_cmp_gt_f64_e32 vcc, v[22:23], v[24:25]
	v_cndmask_b32_e32 v23, v25, v23, vcc
	v_cndmask_b32_e32 v22, v24, v22, vcc
; %bb.39:
	s_or_b64 exec, exec, s[2:3]
	s_nop 0
	v_mov_b32_dpp v24, v22 row_bcast:31 row_mask:0xf bank_mask:0xf
	v_mov_b32_dpp v25, v23 row_bcast:31 row_mask:0xf bank_mask:0xf
	v_cmp_gt_f64_e32 vcc, v[22:23], v[24:25]
	v_cndmask_b32_e32 v24, v24, v22, vcc
	v_cndmask_b32_e32 v25, v25, v23, vcc
	v_cmp_lt_u32_e32 vcc, 31, v33
	v_cndmask_b32_e32 v23, v23, v25, vcc
	v_or_b32_e32 v25, 63, v0
	v_cndmask_b32_e32 v22, v22, v24, vcc
	v_lshrrev_b32_e32 v24, 6, v0
	v_cmp_eq_u32_e32 vcc, v25, v0
	s_and_saveexec_b64 s[2:3], vcc
	s_cbranch_execz .LBB1927_41
; %bb.40:
	v_lshlrev_b32_e32 v25, 3, v24
	ds_write_b64 v25, v[22:23]
.LBB1927_41:
	s_or_b64 exec, exec, s[2:3]
	v_cmp_gt_u32_e32 vcc, 2, v0
	s_waitcnt lgkmcnt(0)
	s_barrier
	s_and_saveexec_b64 s[4:5], vcc
	s_cbranch_execz .LBB1927_43
; %bb.42:
	ds_read_b64 v[26:27], v44
	v_and_b32_e32 v25, 1, v33
	v_cmp_eq_u32_e32 vcc, 0, v25
	s_waitcnt lgkmcnt(0)
	v_mov_b32_dpp v30, v27 row_shr:1 row_mask:0xf bank_mask:0xf
	v_mov_b32_dpp v28, v26 row_shr:1 row_mask:0xf bank_mask:0xf
	v_mov_b32_e32 v29, v30
	v_cmp_gt_f64_e64 s[2:3], v[26:27], v[28:29]
	s_or_b64 vcc, vcc, s[2:3]
	v_cndmask_b32_e32 v27, v30, v27, vcc
	v_cndmask_b32_e32 v26, v28, v26, vcc
	ds_write_b64 v44, v[26:27]
.LBB1927_43:
	s_or_b64 exec, exec, s[4:5]
	v_cmp_gt_u32_e32 vcc, 64, v0
	v_cmp_lt_u32_e64 s[2:3], 63, v0
	s_waitcnt lgkmcnt(0)
	s_barrier
	s_waitcnt lgkmcnt(0)
                                        ; implicit-def: $vgpr30_vgpr31
	s_and_saveexec_b64 s[4:5], s[2:3]
	s_cbranch_execz .LBB1927_45
; %bb.44:
	v_lshl_add_u32 v24, v24, 3, -8
	ds_read_b64 v[30:31], v24
	s_waitcnt lgkmcnt(0)
	v_cmp_lt_f64_e64 s[2:3], v[30:31], v[22:23]
	v_cndmask_b32_e64 v23, v31, v23, s[2:3]
	v_cndmask_b32_e64 v22, v30, v22, s[2:3]
.LBB1927_45:
	s_or_b64 exec, exec, s[4:5]
	v_add_u32_e32 v24, -1, v33
	v_and_b32_e32 v25, 64, v33
	v_cmp_lt_i32_e64 s[2:3], v24, v25
	v_cndmask_b32_e64 v24, v24, v33, s[2:3]
	v_lshlrev_b32_e32 v24, 2, v24
	ds_bpermute_b32 v38, v24, v22
	ds_bpermute_b32 v39, v24, v23
	v_cmp_eq_u32_e64 s[2:3], 0, v33
	s_and_saveexec_b64 s[26:27], vcc
	s_cbranch_execz .LBB1927_84
; %bb.46:
	v_mov_b32_e32 v25, 0
	ds_read_b64 v[22:23], v25 offset:8
	s_and_saveexec_b64 s[4:5], s[2:3]
	s_cbranch_execz .LBB1927_48
; %bb.47:
	s_add_i32 s28, s35, 64
	s_mov_b32 s29, 0
	s_lshl_b64 s[28:29], s[28:29], 4
	s_add_u32 s28, s6, s28
	s_addc_u32 s29, s7, s29
	v_mov_b32_e32 v24, 1
	v_pk_mov_b32 v[26:27], s[28:29], s[28:29] op_sel:[0,1]
	s_waitcnt lgkmcnt(0)
	;;#ASMSTART
	global_store_dwordx4 v[26:27], v[22:25] off	
s_waitcnt vmcnt(0)
	;;#ASMEND
.LBB1927_48:
	s_or_b64 exec, exec, s[4:5]
	v_xad_u32 v32, v33, -1, s35
	v_add_u32_e32 v24, 64, v32
	v_lshlrev_b64 v[26:27], 4, v[24:25]
	v_mov_b32_e32 v24, s7
	v_add_co_u32_e32 v34, vcc, s6, v26
	v_addc_co_u32_e32 v35, vcc, v24, v27, vcc
	;;#ASMSTART
	global_load_dwordx4 v[26:29], v[34:35] off glc	
s_waitcnt vmcnt(0)
	;;#ASMEND
	v_and_b32_e32 v24, 0xff, v27
	v_and_b32_e32 v29, 0xff00, v27
	v_or3_b32 v24, 0, v24, v29
	v_or3_b32 v26, v26, 0, 0
	v_and_b32_e32 v29, 0xff000000, v27
	v_and_b32_e32 v27, 0xff0000, v27
	v_or3_b32 v27, v24, v27, v29
	v_or3_b32 v26, v26, 0, 0
	v_cmp_eq_u16_sdwa s[28:29], v28, v25 src0_sel:BYTE_0 src1_sel:DWORD
	s_and_saveexec_b64 s[4:5], s[28:29]
	s_cbranch_execz .LBB1927_52
; %bb.49:
	s_mov_b64 s[28:29], 0
	v_mov_b32_e32 v24, 0
.LBB1927_50:                            ; =>This Inner Loop Header: Depth=1
	;;#ASMSTART
	global_load_dwordx4 v[26:29], v[34:35] off glc	
s_waitcnt vmcnt(0)
	;;#ASMEND
	v_cmp_ne_u16_sdwa s[36:37], v28, v24 src0_sel:BYTE_0 src1_sel:DWORD
	s_or_b64 s[28:29], s[36:37], s[28:29]
	s_andn2_b64 exec, exec, s[28:29]
	s_cbranch_execnz .LBB1927_50
; %bb.51:
	s_or_b64 exec, exec, s[28:29]
.LBB1927_52:
	s_or_b64 exec, exec, s[4:5]
	v_and_b32_e32 v40, 63, v33
	v_mov_b32_e32 v24, 2
	v_cmp_ne_u32_e32 vcc, 63, v40
	v_cmp_eq_u16_sdwa s[4:5], v28, v24 src0_sel:BYTE_0 src1_sel:DWORD
	v_lshlrev_b64 v[24:25], v33, -1
	v_addc_co_u32_e32 v34, vcc, 0, v33, vcc
	v_and_b32_e32 v29, s5, v25
	v_lshlrev_b32_e32 v41, 2, v34
	v_or_b32_e32 v29, 0x80000000, v29
	ds_bpermute_b32 v34, v41, v26
	ds_bpermute_b32 v35, v41, v27
	v_and_b32_e32 v36, s4, v24
	v_ffbl_b32_e32 v29, v29
	v_add_u32_e32 v29, 32, v29
	v_ffbl_b32_e32 v36, v36
	v_min_u32_e32 v29, v36, v29
	v_cmp_lt_u32_e32 vcc, v40, v29
	s_and_saveexec_b64 s[4:5], vcc
	s_cbranch_execz .LBB1927_54
; %bb.53:
	s_waitcnt lgkmcnt(0)
	v_cmp_lt_f64_e32 vcc, v[34:35], v[26:27]
	v_cndmask_b32_e32 v27, v35, v27, vcc
	v_cndmask_b32_e32 v26, v34, v26, vcc
.LBB1927_54:
	s_or_b64 exec, exec, s[4:5]
	v_cmp_gt_u32_e32 vcc, 62, v40
	s_waitcnt lgkmcnt(1)
	v_cndmask_b32_e64 v34, 0, 1, vcc
	v_lshlrev_b32_e32 v34, 1, v34
	v_add_lshl_u32 v42, v34, v33, 2
	ds_bpermute_b32 v34, v42, v26
	s_waitcnt lgkmcnt(1)
	ds_bpermute_b32 v35, v42, v27
	v_add_u32_e32 v43, 2, v40
	v_cmp_le_u32_e32 vcc, v43, v29
	s_and_saveexec_b64 s[4:5], vcc
	s_cbranch_execz .LBB1927_56
; %bb.55:
	s_waitcnt lgkmcnt(0)
	v_cmp_gt_f64_e32 vcc, v[26:27], v[34:35]
	v_cndmask_b32_e32 v27, v35, v27, vcc
	v_cndmask_b32_e32 v26, v34, v26, vcc
.LBB1927_56:
	s_or_b64 exec, exec, s[4:5]
	v_cmp_gt_u32_e32 vcc, 60, v40
	s_waitcnt lgkmcnt(1)
	v_cndmask_b32_e64 v34, 0, 1, vcc
	v_lshlrev_b32_e32 v34, 2, v34
	v_add_lshl_u32 v47, v34, v33, 2
	ds_bpermute_b32 v34, v47, v26
	s_waitcnt lgkmcnt(1)
	ds_bpermute_b32 v35, v47, v27
	v_add_u32_e32 v48, 4, v40
	v_cmp_le_u32_e32 vcc, v48, v29
	s_and_saveexec_b64 s[4:5], vcc
	s_cbranch_execz .LBB1927_58
; %bb.57:
	s_waitcnt lgkmcnt(0)
	v_cmp_gt_f64_e32 vcc, v[26:27], v[34:35]
	v_cndmask_b32_e32 v27, v35, v27, vcc
	v_cndmask_b32_e32 v26, v34, v26, vcc
.LBB1927_58:
	;; [unrolled: 19-line block ×4, first 2 shown]
	s_or_b64 exec, exec, s[4:5]
	v_cmp_gt_u32_e32 vcc, 32, v40
	s_waitcnt lgkmcnt(1)
	v_cndmask_b32_e64 v34, 0, 1, vcc
	v_lshlrev_b32_e32 v34, 5, v34
	v_add_lshl_u32 v53, v34, v33, 2
	ds_bpermute_b32 v34, v53, v27
	ds_bpermute_b32 v36, v53, v26
	v_add_u32_e32 v54, 32, v40
	v_cmp_gt_u32_e32 vcc, v54, v29
	v_mov_b32_e32 v33, 0
	s_waitcnt lgkmcnt(1)
	v_mov_b32_e32 v37, v34
	s_waitcnt lgkmcnt(0)
	v_cmp_gt_f64_e64 s[4:5], v[26:27], v[36:37]
	s_or_b64 vcc, vcc, s[4:5]
	v_cndmask_b32_e32 v27, v34, v27, vcc
	v_cndmask_b32_e32 v26, v36, v26, vcc
	v_mov_b32_e32 v55, 2
	s_branch .LBB1927_64
.LBB1927_63:                            ;   in Loop: Header=BB1927_64 Depth=1
	s_or_b64 exec, exec, s[4:5]
	s_waitcnt lgkmcnt(1)
	ds_bpermute_b32 v36, v53, v27
	ds_bpermute_b32 v56, v53, v26
	v_cmp_gt_u32_e32 vcc, v54, v29
	v_subrev_u32_e32 v32, 64, v32
	s_waitcnt lgkmcnt(1)
	v_mov_b32_e32 v57, v36
	s_waitcnt lgkmcnt(0)
	v_cmp_gt_f64_e64 s[4:5], v[26:27], v[56:57]
	s_or_b64 vcc, vcc, s[4:5]
	v_cndmask_b32_e32 v27, v36, v27, vcc
	v_cndmask_b32_e32 v26, v56, v26, vcc
	v_cmp_lt_f64_e32 vcc, v[26:27], v[34:35]
	v_cndmask_b32_e32 v27, v27, v35, vcc
	v_cndmask_b32_e32 v26, v26, v34, vcc
.LBB1927_64:                            ; =>This Loop Header: Depth=1
                                        ;     Child Loop BB1927_67 Depth 2
	v_cmp_ne_u16_sdwa s[4:5], v28, v55 src0_sel:BYTE_0 src1_sel:DWORD
	v_cndmask_b32_e64 v28, 0, 1, s[4:5]
	;;#ASMSTART
	;;#ASMEND
	v_cmp_ne_u32_e32 vcc, 0, v28
	s_cmp_lg_u64 vcc, exec
	v_pk_mov_b32 v[34:35], v[26:27], v[26:27] op_sel:[0,1]
	s_cbranch_scc1 .LBB1927_79
; %bb.65:                               ;   in Loop: Header=BB1927_64 Depth=1
	v_lshlrev_b64 v[26:27], 4, v[32:33]
	v_mov_b32_e32 v28, s7
	v_add_co_u32_e32 v36, vcc, s6, v26
	v_addc_co_u32_e32 v37, vcc, v28, v27, vcc
	;;#ASMSTART
	global_load_dwordx4 v[26:29], v[36:37] off glc	
s_waitcnt vmcnt(0)
	;;#ASMEND
	v_and_b32_e32 v29, 0xff, v27
	v_and_b32_e32 v56, 0xff00, v27
	v_or3_b32 v29, 0, v29, v56
	v_or3_b32 v26, v26, 0, 0
	v_and_b32_e32 v56, 0xff000000, v27
	v_and_b32_e32 v27, 0xff0000, v27
	v_or3_b32 v27, v29, v27, v56
	v_or3_b32 v26, v26, 0, 0
	v_cmp_eq_u16_sdwa s[28:29], v28, v33 src0_sel:BYTE_0 src1_sel:DWORD
	s_and_saveexec_b64 s[4:5], s[28:29]
	s_cbranch_execz .LBB1927_69
; %bb.66:                               ;   in Loop: Header=BB1927_64 Depth=1
	s_mov_b64 s[28:29], 0
.LBB1927_67:                            ;   Parent Loop BB1927_64 Depth=1
                                        ; =>  This Inner Loop Header: Depth=2
	;;#ASMSTART
	global_load_dwordx4 v[26:29], v[36:37] off glc	
s_waitcnt vmcnt(0)
	;;#ASMEND
	v_cmp_ne_u16_sdwa s[36:37], v28, v33 src0_sel:BYTE_0 src1_sel:DWORD
	s_or_b64 s[28:29], s[36:37], s[28:29]
	s_andn2_b64 exec, exec, s[28:29]
	s_cbranch_execnz .LBB1927_67
; %bb.68:                               ;   in Loop: Header=BB1927_64 Depth=1
	s_or_b64 exec, exec, s[28:29]
.LBB1927_69:                            ;   in Loop: Header=BB1927_64 Depth=1
	s_or_b64 exec, exec, s[4:5]
	v_cmp_eq_u16_sdwa s[4:5], v28, v55 src0_sel:BYTE_0 src1_sel:DWORD
	v_and_b32_e32 v29, s5, v25
	v_or_b32_e32 v29, 0x80000000, v29
	ds_bpermute_b32 v36, v41, v26
	ds_bpermute_b32 v37, v41, v27
	v_and_b32_e32 v56, s4, v24
	v_ffbl_b32_e32 v29, v29
	v_add_u32_e32 v29, 32, v29
	v_ffbl_b32_e32 v56, v56
	v_min_u32_e32 v29, v56, v29
	v_cmp_lt_u32_e32 vcc, v40, v29
	s_and_saveexec_b64 s[4:5], vcc
	s_cbranch_execz .LBB1927_71
; %bb.70:                               ;   in Loop: Header=BB1927_64 Depth=1
	s_waitcnt lgkmcnt(0)
	v_cmp_lt_f64_e32 vcc, v[36:37], v[26:27]
	v_cndmask_b32_e32 v27, v37, v27, vcc
	v_cndmask_b32_e32 v26, v36, v26, vcc
.LBB1927_71:                            ;   in Loop: Header=BB1927_64 Depth=1
	s_or_b64 exec, exec, s[4:5]
	s_waitcnt lgkmcnt(1)
	ds_bpermute_b32 v36, v42, v26
	s_waitcnt lgkmcnt(1)
	ds_bpermute_b32 v37, v42, v27
	v_cmp_le_u32_e32 vcc, v43, v29
	s_and_saveexec_b64 s[4:5], vcc
	s_cbranch_execz .LBB1927_73
; %bb.72:                               ;   in Loop: Header=BB1927_64 Depth=1
	s_waitcnt lgkmcnt(0)
	v_cmp_gt_f64_e32 vcc, v[26:27], v[36:37]
	v_cndmask_b32_e32 v27, v37, v27, vcc
	v_cndmask_b32_e32 v26, v36, v26, vcc
.LBB1927_73:                            ;   in Loop: Header=BB1927_64 Depth=1
	s_or_b64 exec, exec, s[4:5]
	s_waitcnt lgkmcnt(1)
	ds_bpermute_b32 v36, v47, v26
	s_waitcnt lgkmcnt(1)
	ds_bpermute_b32 v37, v47, v27
	v_cmp_le_u32_e32 vcc, v48, v29
	s_and_saveexec_b64 s[4:5], vcc
	s_cbranch_execz .LBB1927_75
; %bb.74:                               ;   in Loop: Header=BB1927_64 Depth=1
	s_waitcnt lgkmcnt(0)
	v_cmp_gt_f64_e32 vcc, v[26:27], v[36:37]
	v_cndmask_b32_e32 v27, v37, v27, vcc
	v_cndmask_b32_e32 v26, v36, v26, vcc
.LBB1927_75:                            ;   in Loop: Header=BB1927_64 Depth=1
	;; [unrolled: 14-line block ×3, first 2 shown]
	s_or_b64 exec, exec, s[4:5]
	s_waitcnt lgkmcnt(1)
	ds_bpermute_b32 v36, v51, v26
	s_waitcnt lgkmcnt(1)
	ds_bpermute_b32 v37, v51, v27
	v_cmp_le_u32_e32 vcc, v52, v29
	s_and_saveexec_b64 s[4:5], vcc
	s_cbranch_execz .LBB1927_63
; %bb.78:                               ;   in Loop: Header=BB1927_64 Depth=1
	s_waitcnt lgkmcnt(0)
	v_cmp_gt_f64_e32 vcc, v[26:27], v[36:37]
	v_cndmask_b32_e32 v27, v37, v27, vcc
	v_cndmask_b32_e32 v26, v36, v26, vcc
	s_branch .LBB1927_63
.LBB1927_79:                            ;   in Loop: Header=BB1927_64 Depth=1
                                        ; implicit-def: $vgpr26_vgpr27
                                        ; implicit-def: $vgpr28
	s_cbranch_execz .LBB1927_64
; %bb.80:
	s_and_saveexec_b64 s[4:5], s[2:3]
	s_cbranch_execz .LBB1927_82
; %bb.81:
	s_add_i32 s28, s35, 64
	s_mov_b32 s29, 0
	s_lshl_b64 s[28:29], s[28:29], 4
	s_add_u32 s28, s6, s28
	v_cmp_lt_f64_e32 vcc, v[34:35], v[22:23]
	s_addc_u32 s29, s7, s29
	v_cndmask_b32_e32 v23, v35, v23, vcc
	v_cndmask_b32_e32 v22, v34, v22, vcc
	v_mov_b32_e32 v24, 2
	v_mov_b32_e32 v25, 0
	v_pk_mov_b32 v[26:27], s[28:29], s[28:29] op_sel:[0,1]
	;;#ASMSTART
	global_store_dwordx4 v[26:27], v[22:25] off	
s_waitcnt vmcnt(0)
	;;#ASMEND
.LBB1927_82:
	s_or_b64 exec, exec, s[4:5]
	s_and_b64 exec, exec, s[0:1]
	s_cbranch_execz .LBB1927_84
; %bb.83:
	v_mov_b32_e32 v22, 0
	ds_write_b64 v22, v[34:35] offset:8
.LBB1927_84:
	s_or_b64 exec, exec, s[26:27]
	v_mov_b32_e32 v22, 0
	s_waitcnt lgkmcnt(0)
	s_barrier
	ds_read_b64 v[22:23], v22 offset:8
	v_cndmask_b32_e64 v25, v39, v31, s[2:3]
	v_cndmask_b32_e64 v24, v38, v30, s[2:3]
	s_waitcnt lgkmcnt(0)
	v_cmp_lt_f64_e32 vcc, v[22:23], v[24:25]
	v_cndmask_b32_e32 v24, v22, v24, vcc
	v_cndmask_b32_e32 v25, v23, v25, vcc
	v_cndmask_b32_e64 v23, v25, v23, s[0:1]
	v_cndmask_b32_e64 v22, v24, v22, s[0:1]
	v_cmp_lt_f64_e32 vcc, v[22:23], v[14:15]
	v_cndmask_b32_e32 v25, v23, v15, vcc
	v_cndmask_b32_e32 v24, v22, v14, vcc
	v_cmp_lt_f64_e32 vcc, v[24:25], v[16:17]
	v_cndmask_b32_e32 v27, v25, v17, vcc
	v_cndmask_b32_e32 v26, v24, v16, vcc
	;; [unrolled: 3-line block ×9, first 2 shown]
	s_branch .LBB1927_107
.LBB1927_85:
                                        ; implicit-def: $vgpr40_vgpr41
                                        ; implicit-def: $vgpr36_vgpr37
                                        ; implicit-def: $vgpr32_vgpr33
                                        ; implicit-def: $vgpr28_vgpr29
                                        ; implicit-def: $vgpr24_vgpr25
	s_cbranch_execz .LBB1927_107
; %bb.86:
	s_cmp_eq_u64 s[12:13], 0
	v_pk_mov_b32 v[42:43], s[24:25], s[24:25] op_sel:[0,1]
	s_cbranch_scc1 .LBB1927_88
; %bb.87:
	v_mov_b32_e32 v25, s34
	v_add_co_u32_e64 v24, vcc, -8, s33
	v_mov_b32_e32 v22, 0
	v_addc_co_u32_e32 v25, vcc, -1, v25, vcc
	global_load_dwordx2 v[22:23], v22, s[8:9]
	s_nop 0
	flat_load_dwordx2 v[24:25], v[24:25]
	s_waitcnt vmcnt(0) lgkmcnt(0)
	v_cmp_lt_f64_e32 vcc, v[22:23], v[24:25]
	v_cndmask_b32_e32 v43, v23, v25, vcc
	v_cndmask_b32_e32 v42, v22, v24, vcc
.LBB1927_88:
	v_cmp_lt_f64_e32 vcc, v[14:15], v[16:17]
	v_cndmask_b32_e32 v23, v15, v17, vcc
	v_cndmask_b32_e32 v22, v14, v16, vcc
	v_cmp_lt_f64_e32 vcc, v[22:23], v[10:11]
	v_cndmask_b32_e32 v23, v23, v11, vcc
	v_cndmask_b32_e32 v22, v22, v10, vcc
	;; [unrolled: 3-line block ×8, first 2 shown]
	v_cmp_lt_f64_e32 vcc, v[22:23], v[20:21]
	v_mbcnt_hi_u32_b32 v1, -1, v1
	v_cndmask_b32_e32 v21, v23, v21, vcc
	v_cndmask_b32_e32 v20, v22, v20, vcc
	v_and_b32_e32 v24, 15, v1
	v_mov_b32_dpp v23, v21 row_shr:1 row_mask:0xf bank_mask:0xf
	v_mov_b32_dpp v22, v20 row_shr:1 row_mask:0xf bank_mask:0xf
	v_cmp_ne_u32_e32 vcc, 0, v24
	s_and_saveexec_b64 s[2:3], vcc
; %bb.89:
	v_cmp_gt_f64_e32 vcc, v[20:21], v[22:23]
	v_cndmask_b32_e32 v21, v23, v21, vcc
	v_cndmask_b32_e32 v20, v22, v20, vcc
; %bb.90:
	s_or_b64 exec, exec, s[2:3]
	s_nop 0
	v_mov_b32_dpp v22, v20 row_shr:2 row_mask:0xf bank_mask:0xf
	v_mov_b32_dpp v23, v21 row_shr:2 row_mask:0xf bank_mask:0xf
	v_cmp_lt_u32_e32 vcc, 1, v24
	s_and_saveexec_b64 s[2:3], vcc
; %bb.91:
	v_cmp_gt_f64_e32 vcc, v[20:21], v[22:23]
	v_cndmask_b32_e32 v21, v23, v21, vcc
	v_cndmask_b32_e32 v20, v22, v20, vcc
; %bb.92:
	s_or_b64 exec, exec, s[2:3]
	s_nop 0
	v_mov_b32_dpp v22, v20 row_shr:4 row_mask:0xf bank_mask:0xf
	v_mov_b32_dpp v23, v21 row_shr:4 row_mask:0xf bank_mask:0xf
	v_cmp_lt_u32_e32 vcc, 3, v24
	;; [unrolled: 11-line block ×3, first 2 shown]
	s_and_saveexec_b64 s[2:3], vcc
; %bb.95:
	v_cmp_gt_f64_e32 vcc, v[20:21], v[22:23]
	v_cndmask_b32_e32 v21, v23, v21, vcc
	v_cndmask_b32_e32 v20, v22, v20, vcc
; %bb.96:
	s_or_b64 exec, exec, s[2:3]
	v_and_b32_e32 v24, 16, v1
	v_mov_b32_dpp v22, v20 row_bcast:15 row_mask:0xf bank_mask:0xf
	v_mov_b32_dpp v23, v21 row_bcast:15 row_mask:0xf bank_mask:0xf
	v_cmp_ne_u32_e32 vcc, 0, v24
	s_and_saveexec_b64 s[2:3], vcc
; %bb.97:
	v_cmp_gt_f64_e32 vcc, v[20:21], v[22:23]
	v_cndmask_b32_e32 v21, v23, v21, vcc
	v_cndmask_b32_e32 v20, v22, v20, vcc
; %bb.98:
	s_or_b64 exec, exec, s[2:3]
	s_nop 0
	v_mov_b32_dpp v22, v20 row_bcast:31 row_mask:0xf bank_mask:0xf
	v_mov_b32_dpp v23, v21 row_bcast:31 row_mask:0xf bank_mask:0xf
	v_cmp_gt_f64_e32 vcc, v[20:21], v[22:23]
	v_cndmask_b32_e32 v22, v22, v20, vcc
	v_cndmask_b32_e32 v23, v23, v21, vcc
	v_cmp_lt_u32_e32 vcc, 31, v1
	v_cndmask_b32_e32 v20, v20, v22, vcc
	v_or_b32_e32 v22, 63, v0
	v_cndmask_b32_e32 v21, v21, v23, vcc
	v_lshrrev_b32_e32 v24, 6, v0
	v_cmp_eq_u32_e32 vcc, v22, v0
	s_and_saveexec_b64 s[2:3], vcc
	s_cbranch_execz .LBB1927_100
; %bb.99:
	v_lshlrev_b32_e32 v22, 3, v24
	ds_write_b64 v22, v[20:21]
.LBB1927_100:
	s_or_b64 exec, exec, s[2:3]
	v_cmp_gt_u32_e32 vcc, 2, v0
	s_waitcnt lgkmcnt(0)
	s_barrier
	s_and_saveexec_b64 s[4:5], vcc
	s_cbranch_execz .LBB1927_102
; %bb.101:
	s_movk_i32 s2, 0xffb8
	v_mad_i32_i24 v25, v0, s2, v46
	ds_read_b64 v[22:23], v25
	v_and_b32_e32 v26, 1, v1
	v_cmp_eq_u32_e32 vcc, 0, v26
	s_waitcnt lgkmcnt(0)
	v_mov_b32_dpp v28, v23 row_shr:1 row_mask:0xf bank_mask:0xf
	v_mov_b32_dpp v26, v22 row_shr:1 row_mask:0xf bank_mask:0xf
	v_mov_b32_e32 v27, v28
	v_cmp_gt_f64_e64 s[2:3], v[22:23], v[26:27]
	s_or_b64 vcc, vcc, s[2:3]
	v_cndmask_b32_e32 v23, v28, v23, vcc
	v_cndmask_b32_e32 v22, v26, v22, vcc
	ds_write_b64 v25, v[22:23]
.LBB1927_102:
	s_or_b64 exec, exec, s[4:5]
	v_cmp_lt_u32_e32 vcc, 63, v0
	v_pk_mov_b32 v[22:23], v[42:43], v[42:43] op_sel:[0,1]
	s_waitcnt lgkmcnt(0)
	s_barrier
	s_and_saveexec_b64 s[2:3], vcc
	s_cbranch_execz .LBB1927_104
; %bb.103:
	v_lshl_add_u32 v22, v24, 3, -8
	ds_read_b64 v[22:23], v22
	s_waitcnt lgkmcnt(0)
	v_cmp_gt_f64_e32 vcc, v[22:23], v[42:43]
	v_cndmask_b32_e32 v23, v43, v23, vcc
	v_cndmask_b32_e32 v22, v42, v22, vcc
.LBB1927_104:
	s_or_b64 exec, exec, s[2:3]
	v_cmp_lt_f64_e32 vcc, v[22:23], v[20:21]
	v_add_u32_e32 v24, -1, v1
	v_and_b32_e32 v25, 64, v1
	v_cndmask_b32_e32 v21, v23, v21, vcc
	v_cndmask_b32_e32 v20, v22, v20, vcc
	v_cmp_lt_i32_e32 vcc, v24, v25
	v_cndmask_b32_e32 v24, v24, v1, vcc
	v_lshlrev_b32_e32 v24, 2, v24
	ds_bpermute_b32 v20, v24, v20
	ds_bpermute_b32 v21, v24, v21
	v_cmp_eq_u32_e32 vcc, 0, v1
	s_waitcnt lgkmcnt(1)
	v_cndmask_b32_e32 v1, v20, v22, vcc
	s_waitcnt lgkmcnt(0)
	v_cndmask_b32_e32 v20, v21, v23, vcc
	v_cndmask_b32_e64 v23, v20, v43, s[0:1]
	v_cndmask_b32_e64 v22, v1, v42, s[0:1]
	v_cmp_lt_f64_e32 vcc, v[22:23], v[14:15]
	v_cndmask_b32_e32 v25, v23, v15, vcc
	v_cndmask_b32_e32 v24, v22, v14, vcc
	v_cmp_lt_f64_e32 vcc, v[24:25], v[16:17]
	v_cndmask_b32_e32 v27, v25, v17, vcc
	v_cndmask_b32_e32 v26, v24, v16, vcc
	v_cmp_lt_f64_e32 vcc, v[26:27], v[10:11]
	v_cndmask_b32_e32 v29, v27, v11, vcc
	v_cndmask_b32_e32 v28, v26, v10, vcc
	v_cmp_lt_f64_e32 vcc, v[28:29], v[12:13]
	v_cndmask_b32_e32 v31, v29, v13, vcc
	v_cndmask_b32_e32 v30, v28, v12, vcc
	v_cmp_lt_f64_e32 vcc, v[30:31], v[6:7]
	v_cndmask_b32_e32 v33, v31, v7, vcc
	v_cndmask_b32_e32 v32, v30, v6, vcc
	v_cmp_lt_f64_e32 vcc, v[32:33], v[8:9]
	v_cndmask_b32_e32 v35, v33, v9, vcc
	v_cndmask_b32_e32 v34, v32, v8, vcc
	v_cmp_lt_f64_e32 vcc, v[34:35], v[2:3]
	v_cndmask_b32_e32 v37, v35, v3, vcc
	v_cndmask_b32_e32 v36, v34, v2, vcc
	v_cmp_lt_f64_e32 vcc, v[36:37], v[4:5]
	v_cndmask_b32_e32 v39, v37, v5, vcc
	v_cndmask_b32_e32 v38, v36, v4, vcc
	v_cmp_lt_f64_e32 vcc, v[38:39], v[18:19]
	v_cndmask_b32_e32 v41, v39, v19, vcc
	v_cndmask_b32_e32 v40, v38, v18, vcc
	s_and_saveexec_b64 s[2:3], s[0:1]
	s_cbranch_execz .LBB1927_106
; %bb.105:
	v_mov_b32_e32 v5, 0
	ds_read_b64 v[2:3], v5 offset:8
	s_add_u32 s0, s6, 0x400
	s_addc_u32 s1, s7, 0
	v_mov_b32_e32 v4, 2
	v_pk_mov_b32 v[6:7], s[0:1], s[0:1] op_sel:[0,1]
	s_waitcnt lgkmcnt(0)
	v_cmp_gt_f64_e32 vcc, v[2:3], v[42:43]
	v_cndmask_b32_e32 v3, v43, v3, vcc
	v_cndmask_b32_e32 v2, v42, v2, vcc
	;;#ASMSTART
	global_store_dwordx4 v[6:7], v[2:5] off	
s_waitcnt vmcnt(0)
	;;#ASMEND
.LBB1927_106:
	s_or_b64 exec, exec, s[2:3]
.LBB1927_107:
	s_add_u32 s0, s20, s18
	s_addc_u32 s1, s21, s19
	s_add_u32 s2, s0, s22
	s_addc_u32 s3, s1, s23
	s_mov_b64 s[0:1], -1
	s_and_b64 vcc, exec, s[16:17]
	s_barrier
	s_cbranch_vccz .LBB1927_109
; %bb.108:
	ds_write_b128 v46, v[22:25]
	ds_write_b128 v46, v[26:29] offset:16
	ds_write_b128 v46, v[30:33] offset:32
	;; [unrolled: 1-line block ×4, first 2 shown]
	s_waitcnt lgkmcnt(0)
	s_barrier
	ds_read2st64_b64 v[2:5], v44 offset1:2
	ds_read2st64_b64 v[6:9], v44 offset0:4 offset1:6
	ds_read2st64_b64 v[10:13], v44 offset0:8 offset1:10
	;; [unrolled: 1-line block ×4, first 2 shown]
	v_mov_b32_e32 v1, s3
	v_add_co_u32_e32 v42, vcc, s2, v44
	v_addc_co_u32_e32 v43, vcc, 0, v1, vcc
	s_movk_i32 s0, 0x1000
	s_waitcnt lgkmcnt(4)
	flat_store_dwordx2 v[42:43], v[2:3]
	flat_store_dwordx2 v[42:43], v[4:5] offset:1024
	s_waitcnt lgkmcnt(0)
	flat_store_dwordx2 v[42:43], v[6:7] offset:2048
	flat_store_dwordx2 v[42:43], v[8:9] offset:3072
	v_add_co_u32_e32 v2, vcc, s0, v42
	v_addc_co_u32_e32 v3, vcc, 0, v43, vcc
	flat_store_dwordx2 v[2:3], v[10:11]
	flat_store_dwordx2 v[2:3], v[12:13] offset:1024
	flat_store_dwordx2 v[2:3], v[14:15] offset:2048
	;; [unrolled: 1-line block ×3, first 2 shown]
	v_add_co_u32_e32 v2, vcc, 0x2000, v42
	v_addc_co_u32_e32 v3, vcc, 0, v43, vcc
	flat_store_dwordx2 v[2:3], v[18:19]
	flat_store_dwordx2 v[2:3], v[20:21] offset:1024
	s_mov_b64 s[0:1], 0
.LBB1927_109:
	s_andn2_b64 vcc, exec, s[0:1]
	s_cbranch_vccnz .LBB1927_165
; %bb.110:
	s_movk_i32 s0, 0xffb8
	v_mad_i32_i24 v18, v0, s0, v46
	ds_write_b128 v46, v[22:25]
	ds_write_b128 v46, v[26:29] offset:16
	ds_write_b128 v46, v[30:33] offset:32
	ds_write_b128 v46, v[34:37] offset:48
	ds_write_b128 v46, v[38:41] offset:64
	s_waitcnt lgkmcnt(0)
	s_barrier
	ds_read2st64_b64 v[2:5], v18 offset1:2
	ds_read2st64_b64 v[10:13], v18 offset0:4 offset1:6
	ds_read2st64_b64 v[6:9], v18 offset0:8 offset1:10
	;; [unrolled: 1-line block ×4, first 2 shown]
	v_mov_b32_e32 v23, s3
	v_add_co_u32_e32 v22, vcc, s2, v44
	v_addc_co_u32_e32 v23, vcc, 0, v23, vcc
	v_mov_b32_e32 v1, 0
	v_cmp_gt_u32_e32 vcc, s30, v0
	s_and_saveexec_b64 s[0:1], vcc
	s_cbranch_execz .LBB1927_112
; %bb.111:
	s_waitcnt lgkmcnt(0)
	flat_store_dwordx2 v[22:23], v[2:3]
.LBB1927_112:
	s_or_b64 exec, exec, s[0:1]
	v_or_b32_e32 v24, 0x80, v0
	v_cmp_gt_u32_e32 vcc, s30, v24
	s_and_saveexec_b64 s[0:1], vcc
	s_cbranch_execz .LBB1927_114
; %bb.113:
	s_waitcnt lgkmcnt(0)
	flat_store_dwordx2 v[22:23], v[4:5] offset:1024
.LBB1927_114:
	s_or_b64 exec, exec, s[0:1]
	v_or_b32_e32 v24, 0x100, v0
	v_cmp_gt_u32_e32 vcc, s30, v24
	s_and_saveexec_b64 s[0:1], vcc
	s_cbranch_execz .LBB1927_116
; %bb.115:
	s_waitcnt lgkmcnt(0)
	flat_store_dwordx2 v[22:23], v[10:11] offset:2048
.LBB1927_116:
	;; [unrolled: 9-line block ×3, first 2 shown]
	s_or_b64 exec, exec, s[0:1]
	v_or_b32_e32 v24, 0x200, v0
	v_cmp_gt_u32_e32 vcc, s30, v24
	s_and_saveexec_b64 s[0:1], vcc
	s_cbranch_execz .LBB1927_120
; %bb.119:
	v_add_co_u32_e32 v24, vcc, 0x1000, v22
	v_addc_co_u32_e32 v25, vcc, 0, v23, vcc
	s_waitcnt lgkmcnt(0)
	flat_store_dwordx2 v[24:25], v[6:7]
.LBB1927_120:
	s_or_b64 exec, exec, s[0:1]
	v_or_b32_e32 v24, 0x280, v0
	v_cmp_gt_u32_e32 vcc, s30, v24
	s_and_saveexec_b64 s[0:1], vcc
	s_cbranch_execz .LBB1927_122
; %bb.121:
	v_add_co_u32_e32 v24, vcc, 0x1000, v22
	v_addc_co_u32_e32 v25, vcc, 0, v23, vcc
	s_waitcnt lgkmcnt(0)
	flat_store_dwordx2 v[24:25], v[8:9] offset:1024
.LBB1927_122:
	s_or_b64 exec, exec, s[0:1]
	v_or_b32_e32 v24, 0x300, v0
	v_cmp_gt_u32_e32 vcc, s30, v24
	s_and_saveexec_b64 s[0:1], vcc
	s_cbranch_execz .LBB1927_124
; %bb.123:
	v_add_co_u32_e32 v24, vcc, 0x1000, v22
	v_addc_co_u32_e32 v25, vcc, 0, v23, vcc
	s_waitcnt lgkmcnt(0)
	flat_store_dwordx2 v[24:25], v[14:15] offset:2048
.LBB1927_124:
	;; [unrolled: 11-line block ×3, first 2 shown]
	s_or_b64 exec, exec, s[0:1]
	v_or_b32_e32 v24, 0x400, v0
	v_cmp_gt_u32_e32 vcc, s30, v24
	s_and_saveexec_b64 s[0:1], vcc
	s_cbranch_execz .LBB1927_128
; %bb.127:
	v_add_co_u32_e32 v24, vcc, 0x2000, v22
	v_addc_co_u32_e32 v25, vcc, 0, v23, vcc
	s_waitcnt lgkmcnt(0)
	flat_store_dwordx2 v[24:25], v[18:19]
.LBB1927_128:
	s_or_b64 exec, exec, s[0:1]
	v_or_b32_e32 v24, 0x480, v0
	v_cmp_gt_u32_e32 vcc, s30, v24
	s_and_saveexec_b64 s[0:1], vcc
	s_cbranch_execz .LBB1927_130
; %bb.129:
	v_add_co_u32_e32 v22, vcc, 0x2000, v22
	v_addc_co_u32_e32 v23, vcc, 0, v23, vcc
	s_waitcnt lgkmcnt(0)
	flat_store_dwordx2 v[22:23], v[20:21] offset:1024
.LBB1927_130:
	s_or_b64 exec, exec, s[0:1]
	v_cmp_lt_u64_e64 s[0:1], s[14:15], 2
	s_and_b64 vcc, exec, s[0:1]
	s_cbranch_vccnz .LBB1927_165
; %bb.131:
	s_add_u32 s0, s30, -1
	s_addc_u32 s1, s31, -1
	s_add_u32 s2, 0, 0x99986000
	s_addc_u32 s3, 0, 0x59
	s_add_i32 s3, s3, 0x19999940
	s_mul_hi_u32 s7, s2, -10
	s_sub_i32 s7, s7, s2
	s_mul_i32 s8, s3, -10
	s_mul_i32 s4, s2, -10
	s_add_i32 s7, s7, s8
	s_mul_hi_u32 s5, s3, s4
	s_mul_i32 s6, s3, s4
	s_mul_i32 s9, s2, s7
	s_mul_hi_u32 s4, s2, s4
	s_mul_hi_u32 s8, s2, s7
	s_add_u32 s4, s4, s9
	s_addc_u32 s8, 0, s8
	s_add_u32 s4, s4, s6
	s_mul_hi_u32 s9, s3, s7
	s_addc_u32 s4, s8, s5
	s_addc_u32 s5, s9, 0
	s_mul_i32 s6, s3, s7
	s_add_u32 s4, s4, s6
	v_mov_b32_e32 v22, s4
	s_addc_u32 s5, 0, s5
	v_add_co_u32_e32 v22, vcc, s2, v22
	s_cmp_lg_u64 vcc, 0
	s_addc_u32 s2, s3, s5
	v_readfirstlane_b32 s5, v22
	s_mul_i32 s4, s0, s2
	s_mul_hi_u32 s6, s0, s5
	s_mul_hi_u32 s3, s0, s2
	s_add_u32 s4, s6, s4
	s_addc_u32 s3, 0, s3
	s_mul_hi_u32 s7, s1, s5
	s_mul_i32 s5, s1, s5
	s_add_u32 s4, s4, s5
	s_mul_hi_u32 s6, s1, s2
	s_addc_u32 s3, s3, s7
	s_addc_u32 s4, s6, 0
	s_mul_i32 s2, s1, s2
	s_add_u32 s2, s3, s2
	s_addc_u32 s3, 0, s4
	s_add_u32 s4, s2, 1
	s_addc_u32 s5, s3, 0
	s_add_u32 s6, s2, 2
	s_mul_i32 s8, s3, 10
	s_mul_hi_u32 s9, s2, 10
	s_addc_u32 s7, s3, 0
	s_add_i32 s9, s9, s8
	s_mul_i32 s8, s2, 10
	v_mov_b32_e32 v22, s8
	v_sub_co_u32_e32 v22, vcc, s0, v22
	s_cmp_lg_u64 vcc, 0
	s_subb_u32 s8, s1, s9
	v_subrev_co_u32_e32 v23, vcc, 10, v22
	s_cmp_lg_u64 vcc, 0
	s_subb_u32 s9, s8, 0
	v_readfirstlane_b32 s12, v23
	s_cmp_gt_u32 s12, 9
	s_cselect_b32 s12, -1, 0
	s_cmp_eq_u32 s9, 0
	s_cselect_b32 s9, s12, -1
	s_cmp_lg_u32 s9, 0
	s_cselect_b32 s4, s6, s4
	v_readfirstlane_b32 s6, v22
	s_cselect_b32 s5, s7, s5
	s_cmp_gt_u32 s6, 9
	s_cselect_b32 s6, -1, 0
	s_cmp_eq_u32 s8, 0
	s_cselect_b32 s6, s6, -1
	s_cmp_lg_u32 s6, 0
	s_cselect_b32 s3, s5, s3
	s_cselect_b32 s2, s4, s2
	v_cmp_eq_u64_e32 vcc, s[2:3], v[0:1]
	s_and_saveexec_b64 s[2:3], vcc
	s_cbranch_execz .LBB1927_165
; %bb.132:
	v_mul_hi_u32_u24_e32 v1, 10, v0
	v_mov_b32_e32 v22, s1
	v_sub_co_u32_e32 v0, vcc, s0, v45
	v_subb_co_u32_e32 v1, vcc, v22, v1, vcc
	v_cmp_lt_i64_e32 vcc, 4, v[0:1]
	s_and_saveexec_b64 s[0:1], vcc
	s_xor_b64 s[0:1], exec, s[0:1]
	s_cbranch_execz .LBB1927_150
; %bb.133:
	v_cmp_lt_i64_e32 vcc, 6, v[0:1]
	s_and_saveexec_b64 s[2:3], vcc
	s_xor_b64 s[2:3], exec, s[2:3]
	s_cbranch_execz .LBB1927_143
; %bb.134:
	;; [unrolled: 5-line block ×4, first 2 shown]
	v_mov_b32_e32 v0, 0
	s_waitcnt lgkmcnt(0)
	global_store_dwordx2 v0, v[20:21], s[10:11]
                                        ; implicit-def: $vgpr18_vgpr19_vgpr20_vgpr21
.LBB1927_137:
	s_andn2_saveexec_b64 s[6:7], s[6:7]
	s_cbranch_execz .LBB1927_139
; %bb.138:
	v_mov_b32_e32 v0, 0
	s_waitcnt lgkmcnt(0)
	global_store_dwordx2 v0, v[18:19], s[10:11]
.LBB1927_139:
	s_or_b64 exec, exec, s[6:7]
                                        ; implicit-def: $vgpr14_vgpr15_vgpr16_vgpr17
.LBB1927_140:
	s_andn2_saveexec_b64 s[4:5], s[4:5]
	s_cbranch_execz .LBB1927_142
; %bb.141:
	v_mov_b32_e32 v0, 0
	s_waitcnt lgkmcnt(0)
	global_store_dwordx2 v0, v[16:17], s[10:11]
.LBB1927_142:
	s_or_b64 exec, exec, s[4:5]
                                        ; implicit-def: $vgpr6_vgpr7_vgpr8_vgpr9
                                        ; implicit-def: $vgpr0_vgpr1
                                        ; implicit-def: $vgpr14_vgpr15_vgpr16_vgpr17
.LBB1927_143:
	s_andn2_saveexec_b64 s[2:3], s[2:3]
	s_cbranch_execz .LBB1927_149
; %bb.144:
	v_cmp_lt_i64_e32 vcc, 5, v[0:1]
	s_and_saveexec_b64 s[4:5], vcc
	s_xor_b64 s[4:5], exec, s[4:5]
	s_cbranch_execz .LBB1927_146
; %bb.145:
	v_mov_b32_e32 v0, 0
	s_waitcnt lgkmcnt(0)
	global_store_dwordx2 v0, v[14:15], s[10:11]
                                        ; implicit-def: $vgpr6_vgpr7_vgpr8_vgpr9
.LBB1927_146:
	s_andn2_saveexec_b64 s[4:5], s[4:5]
	s_cbranch_execz .LBB1927_148
; %bb.147:
	v_mov_b32_e32 v0, 0
	s_waitcnt lgkmcnt(0)
	global_store_dwordx2 v0, v[8:9], s[10:11]
.LBB1927_148:
	s_or_b64 exec, exec, s[4:5]
.LBB1927_149:
	s_or_b64 exec, exec, s[2:3]
                                        ; implicit-def: $vgpr0_vgpr1
                                        ; implicit-def: $vgpr10_vgpr11_vgpr12_vgpr13
                                        ; implicit-def: $vgpr2_vgpr3_vgpr4_vgpr5
                                        ; implicit-def: $vgpr6_vgpr7_vgpr8_vgpr9
.LBB1927_150:
	s_andn2_saveexec_b64 s[0:1], s[0:1]
	s_cbranch_execz .LBB1927_165
; %bb.151:
	v_cmp_lt_i64_e32 vcc, 2, v[0:1]
	s_and_saveexec_b64 s[0:1], vcc
	s_xor_b64 s[0:1], exec, s[0:1]
	s_cbranch_execz .LBB1927_157
; %bb.152:
	v_cmp_lt_i64_e32 vcc, 3, v[0:1]
	s_and_saveexec_b64 s[2:3], vcc
	s_xor_b64 s[2:3], exec, s[2:3]
	s_cbranch_execz .LBB1927_154
; %bb.153:
	v_mov_b32_e32 v0, 0
	s_waitcnt lgkmcnt(0)
	global_store_dwordx2 v0, v[6:7], s[10:11]
                                        ; implicit-def: $vgpr10_vgpr11_vgpr12_vgpr13
.LBB1927_154:
	s_andn2_saveexec_b64 s[2:3], s[2:3]
	s_cbranch_execz .LBB1927_156
; %bb.155:
	v_mov_b32_e32 v0, 0
	s_waitcnt lgkmcnt(0)
	global_store_dwordx2 v0, v[12:13], s[10:11]
.LBB1927_156:
	s_or_b64 exec, exec, s[2:3]
                                        ; implicit-def: $vgpr0_vgpr1
                                        ; implicit-def: $vgpr10_vgpr11_vgpr12_vgpr13
                                        ; implicit-def: $vgpr2_vgpr3_vgpr4_vgpr5
.LBB1927_157:
	s_andn2_saveexec_b64 s[0:1], s[0:1]
	s_cbranch_execz .LBB1927_165
; %bb.158:
	v_cmp_lt_i64_e32 vcc, 1, v[0:1]
	s_and_saveexec_b64 s[0:1], vcc
	s_xor_b64 s[0:1], exec, s[0:1]
	s_cbranch_execz .LBB1927_160
; %bb.159:
	v_mov_b32_e32 v0, 0
	s_waitcnt lgkmcnt(0)
	global_store_dwordx2 v0, v[10:11], s[10:11]
                                        ; implicit-def: $vgpr2_vgpr3_vgpr4_vgpr5
                                        ; implicit-def: $vgpr0_vgpr1
.LBB1927_160:
	s_andn2_saveexec_b64 s[0:1], s[0:1]
	s_cbranch_execz .LBB1927_165
; %bb.161:
	v_cmp_ne_u64_e32 vcc, 1, v[0:1]
	s_and_saveexec_b64 s[0:1], vcc
	s_xor_b64 s[0:1], exec, s[0:1]
	s_cbranch_execz .LBB1927_163
; %bb.162:
	v_mov_b32_e32 v0, 0
	s_waitcnt lgkmcnt(0)
	global_store_dwordx2 v0, v[2:3], s[10:11]
                                        ; implicit-def: $vgpr2_vgpr3_vgpr4_vgpr5
.LBB1927_163:
	s_andn2_saveexec_b64 s[0:1], s[0:1]
	s_cbranch_execz .LBB1927_165
; %bb.164:
	v_mov_b32_e32 v0, 0
	s_waitcnt lgkmcnt(0)
	global_store_dwordx2 v0, v[4:5], s[10:11]
.LBB1927_165:
	s_endpgm
	.section	.rodata,"a",@progbits
	.p2align	6, 0x0
	.amdhsa_kernel _ZN7rocprim17ROCPRIM_400000_NS6detail17trampoline_kernelINS0_14default_configENS1_20scan_config_selectorIdEEZZNS1_9scan_implILNS1_25lookback_scan_determinismE0ELb1ELb1ES3_N6thrust23THRUST_200600_302600_NS6detail15normal_iteratorINS9_10device_ptrIdEEEESE_d11max_functorIdEdEEDaPvRmT3_T4_T5_mT6_P12ihipStream_tbENKUlT_T0_E_clISt17integral_constantIbLb0EEST_IbLb1EEEEDaSP_SQ_EUlSP_E_NS1_11comp_targetILNS1_3genE4ELNS1_11target_archE910ELNS1_3gpuE8ELNS1_3repE0EEENS1_30default_config_static_selectorELNS0_4arch9wavefront6targetE1EEEvT1_
		.amdhsa_group_segment_fixed_size 10240
		.amdhsa_private_segment_fixed_size 0
		.amdhsa_kernarg_size 104
		.amdhsa_user_sgpr_count 6
		.amdhsa_user_sgpr_private_segment_buffer 1
		.amdhsa_user_sgpr_dispatch_ptr 0
		.amdhsa_user_sgpr_queue_ptr 0
		.amdhsa_user_sgpr_kernarg_segment_ptr 1
		.amdhsa_user_sgpr_dispatch_id 0
		.amdhsa_user_sgpr_flat_scratch_init 0
		.amdhsa_user_sgpr_kernarg_preload_length 0
		.amdhsa_user_sgpr_kernarg_preload_offset 0
		.amdhsa_user_sgpr_private_segment_size 0
		.amdhsa_uses_dynamic_stack 0
		.amdhsa_system_sgpr_private_segment_wavefront_offset 0
		.amdhsa_system_sgpr_workgroup_id_x 1
		.amdhsa_system_sgpr_workgroup_id_y 0
		.amdhsa_system_sgpr_workgroup_id_z 0
		.amdhsa_system_sgpr_workgroup_info 0
		.amdhsa_system_vgpr_workitem_id 0
		.amdhsa_next_free_vgpr 58
		.amdhsa_next_free_sgpr 38
		.amdhsa_accum_offset 60
		.amdhsa_reserve_vcc 1
		.amdhsa_reserve_flat_scratch 0
		.amdhsa_float_round_mode_32 0
		.amdhsa_float_round_mode_16_64 0
		.amdhsa_float_denorm_mode_32 3
		.amdhsa_float_denorm_mode_16_64 3
		.amdhsa_dx10_clamp 1
		.amdhsa_ieee_mode 1
		.amdhsa_fp16_overflow 0
		.amdhsa_tg_split 0
		.amdhsa_exception_fp_ieee_invalid_op 0
		.amdhsa_exception_fp_denorm_src 0
		.amdhsa_exception_fp_ieee_div_zero 0
		.amdhsa_exception_fp_ieee_overflow 0
		.amdhsa_exception_fp_ieee_underflow 0
		.amdhsa_exception_fp_ieee_inexact 0
		.amdhsa_exception_int_div_zero 0
	.end_amdhsa_kernel
	.section	.text._ZN7rocprim17ROCPRIM_400000_NS6detail17trampoline_kernelINS0_14default_configENS1_20scan_config_selectorIdEEZZNS1_9scan_implILNS1_25lookback_scan_determinismE0ELb1ELb1ES3_N6thrust23THRUST_200600_302600_NS6detail15normal_iteratorINS9_10device_ptrIdEEEESE_d11max_functorIdEdEEDaPvRmT3_T4_T5_mT6_P12ihipStream_tbENKUlT_T0_E_clISt17integral_constantIbLb0EEST_IbLb1EEEEDaSP_SQ_EUlSP_E_NS1_11comp_targetILNS1_3genE4ELNS1_11target_archE910ELNS1_3gpuE8ELNS1_3repE0EEENS1_30default_config_static_selectorELNS0_4arch9wavefront6targetE1EEEvT1_,"axG",@progbits,_ZN7rocprim17ROCPRIM_400000_NS6detail17trampoline_kernelINS0_14default_configENS1_20scan_config_selectorIdEEZZNS1_9scan_implILNS1_25lookback_scan_determinismE0ELb1ELb1ES3_N6thrust23THRUST_200600_302600_NS6detail15normal_iteratorINS9_10device_ptrIdEEEESE_d11max_functorIdEdEEDaPvRmT3_T4_T5_mT6_P12ihipStream_tbENKUlT_T0_E_clISt17integral_constantIbLb0EEST_IbLb1EEEEDaSP_SQ_EUlSP_E_NS1_11comp_targetILNS1_3genE4ELNS1_11target_archE910ELNS1_3gpuE8ELNS1_3repE0EEENS1_30default_config_static_selectorELNS0_4arch9wavefront6targetE1EEEvT1_,comdat
.Lfunc_end1927:
	.size	_ZN7rocprim17ROCPRIM_400000_NS6detail17trampoline_kernelINS0_14default_configENS1_20scan_config_selectorIdEEZZNS1_9scan_implILNS1_25lookback_scan_determinismE0ELb1ELb1ES3_N6thrust23THRUST_200600_302600_NS6detail15normal_iteratorINS9_10device_ptrIdEEEESE_d11max_functorIdEdEEDaPvRmT3_T4_T5_mT6_P12ihipStream_tbENKUlT_T0_E_clISt17integral_constantIbLb0EEST_IbLb1EEEEDaSP_SQ_EUlSP_E_NS1_11comp_targetILNS1_3genE4ELNS1_11target_archE910ELNS1_3gpuE8ELNS1_3repE0EEENS1_30default_config_static_selectorELNS0_4arch9wavefront6targetE1EEEvT1_, .Lfunc_end1927-_ZN7rocprim17ROCPRIM_400000_NS6detail17trampoline_kernelINS0_14default_configENS1_20scan_config_selectorIdEEZZNS1_9scan_implILNS1_25lookback_scan_determinismE0ELb1ELb1ES3_N6thrust23THRUST_200600_302600_NS6detail15normal_iteratorINS9_10device_ptrIdEEEESE_d11max_functorIdEdEEDaPvRmT3_T4_T5_mT6_P12ihipStream_tbENKUlT_T0_E_clISt17integral_constantIbLb0EEST_IbLb1EEEEDaSP_SQ_EUlSP_E_NS1_11comp_targetILNS1_3genE4ELNS1_11target_archE910ELNS1_3gpuE8ELNS1_3repE0EEENS1_30default_config_static_selectorELNS0_4arch9wavefront6targetE1EEEvT1_
                                        ; -- End function
	.section	.AMDGPU.csdata,"",@progbits
; Kernel info:
; codeLenInByte = 6256
; NumSgprs: 42
; NumVgprs: 58
; NumAgprs: 0
; TotalNumVgprs: 58
; ScratchSize: 0
; MemoryBound: 0
; FloatMode: 240
; IeeeMode: 1
; LDSByteSize: 10240 bytes/workgroup (compile time only)
; SGPRBlocks: 5
; VGPRBlocks: 7
; NumSGPRsForWavesPerEU: 42
; NumVGPRsForWavesPerEU: 58
; AccumOffset: 60
; Occupancy: 3
; WaveLimiterHint : 1
; COMPUTE_PGM_RSRC2:SCRATCH_EN: 0
; COMPUTE_PGM_RSRC2:USER_SGPR: 6
; COMPUTE_PGM_RSRC2:TRAP_HANDLER: 0
; COMPUTE_PGM_RSRC2:TGID_X_EN: 1
; COMPUTE_PGM_RSRC2:TGID_Y_EN: 0
; COMPUTE_PGM_RSRC2:TGID_Z_EN: 0
; COMPUTE_PGM_RSRC2:TIDIG_COMP_CNT: 0
; COMPUTE_PGM_RSRC3_GFX90A:ACCUM_OFFSET: 14
; COMPUTE_PGM_RSRC3_GFX90A:TG_SPLIT: 0
	.section	.text._ZN7rocprim17ROCPRIM_400000_NS6detail17trampoline_kernelINS0_14default_configENS1_20scan_config_selectorIdEEZZNS1_9scan_implILNS1_25lookback_scan_determinismE0ELb1ELb1ES3_N6thrust23THRUST_200600_302600_NS6detail15normal_iteratorINS9_10device_ptrIdEEEESE_d11max_functorIdEdEEDaPvRmT3_T4_T5_mT6_P12ihipStream_tbENKUlT_T0_E_clISt17integral_constantIbLb0EEST_IbLb1EEEEDaSP_SQ_EUlSP_E_NS1_11comp_targetILNS1_3genE3ELNS1_11target_archE908ELNS1_3gpuE7ELNS1_3repE0EEENS1_30default_config_static_selectorELNS0_4arch9wavefront6targetE1EEEvT1_,"axG",@progbits,_ZN7rocprim17ROCPRIM_400000_NS6detail17trampoline_kernelINS0_14default_configENS1_20scan_config_selectorIdEEZZNS1_9scan_implILNS1_25lookback_scan_determinismE0ELb1ELb1ES3_N6thrust23THRUST_200600_302600_NS6detail15normal_iteratorINS9_10device_ptrIdEEEESE_d11max_functorIdEdEEDaPvRmT3_T4_T5_mT6_P12ihipStream_tbENKUlT_T0_E_clISt17integral_constantIbLb0EEST_IbLb1EEEEDaSP_SQ_EUlSP_E_NS1_11comp_targetILNS1_3genE3ELNS1_11target_archE908ELNS1_3gpuE7ELNS1_3repE0EEENS1_30default_config_static_selectorELNS0_4arch9wavefront6targetE1EEEvT1_,comdat
	.protected	_ZN7rocprim17ROCPRIM_400000_NS6detail17trampoline_kernelINS0_14default_configENS1_20scan_config_selectorIdEEZZNS1_9scan_implILNS1_25lookback_scan_determinismE0ELb1ELb1ES3_N6thrust23THRUST_200600_302600_NS6detail15normal_iteratorINS9_10device_ptrIdEEEESE_d11max_functorIdEdEEDaPvRmT3_T4_T5_mT6_P12ihipStream_tbENKUlT_T0_E_clISt17integral_constantIbLb0EEST_IbLb1EEEEDaSP_SQ_EUlSP_E_NS1_11comp_targetILNS1_3genE3ELNS1_11target_archE908ELNS1_3gpuE7ELNS1_3repE0EEENS1_30default_config_static_selectorELNS0_4arch9wavefront6targetE1EEEvT1_ ; -- Begin function _ZN7rocprim17ROCPRIM_400000_NS6detail17trampoline_kernelINS0_14default_configENS1_20scan_config_selectorIdEEZZNS1_9scan_implILNS1_25lookback_scan_determinismE0ELb1ELb1ES3_N6thrust23THRUST_200600_302600_NS6detail15normal_iteratorINS9_10device_ptrIdEEEESE_d11max_functorIdEdEEDaPvRmT3_T4_T5_mT6_P12ihipStream_tbENKUlT_T0_E_clISt17integral_constantIbLb0EEST_IbLb1EEEEDaSP_SQ_EUlSP_E_NS1_11comp_targetILNS1_3genE3ELNS1_11target_archE908ELNS1_3gpuE7ELNS1_3repE0EEENS1_30default_config_static_selectorELNS0_4arch9wavefront6targetE1EEEvT1_
	.globl	_ZN7rocprim17ROCPRIM_400000_NS6detail17trampoline_kernelINS0_14default_configENS1_20scan_config_selectorIdEEZZNS1_9scan_implILNS1_25lookback_scan_determinismE0ELb1ELb1ES3_N6thrust23THRUST_200600_302600_NS6detail15normal_iteratorINS9_10device_ptrIdEEEESE_d11max_functorIdEdEEDaPvRmT3_T4_T5_mT6_P12ihipStream_tbENKUlT_T0_E_clISt17integral_constantIbLb0EEST_IbLb1EEEEDaSP_SQ_EUlSP_E_NS1_11comp_targetILNS1_3genE3ELNS1_11target_archE908ELNS1_3gpuE7ELNS1_3repE0EEENS1_30default_config_static_selectorELNS0_4arch9wavefront6targetE1EEEvT1_
	.p2align	8
	.type	_ZN7rocprim17ROCPRIM_400000_NS6detail17trampoline_kernelINS0_14default_configENS1_20scan_config_selectorIdEEZZNS1_9scan_implILNS1_25lookback_scan_determinismE0ELb1ELb1ES3_N6thrust23THRUST_200600_302600_NS6detail15normal_iteratorINS9_10device_ptrIdEEEESE_d11max_functorIdEdEEDaPvRmT3_T4_T5_mT6_P12ihipStream_tbENKUlT_T0_E_clISt17integral_constantIbLb0EEST_IbLb1EEEEDaSP_SQ_EUlSP_E_NS1_11comp_targetILNS1_3genE3ELNS1_11target_archE908ELNS1_3gpuE7ELNS1_3repE0EEENS1_30default_config_static_selectorELNS0_4arch9wavefront6targetE1EEEvT1_,@function
_ZN7rocprim17ROCPRIM_400000_NS6detail17trampoline_kernelINS0_14default_configENS1_20scan_config_selectorIdEEZZNS1_9scan_implILNS1_25lookback_scan_determinismE0ELb1ELb1ES3_N6thrust23THRUST_200600_302600_NS6detail15normal_iteratorINS9_10device_ptrIdEEEESE_d11max_functorIdEdEEDaPvRmT3_T4_T5_mT6_P12ihipStream_tbENKUlT_T0_E_clISt17integral_constantIbLb0EEST_IbLb1EEEEDaSP_SQ_EUlSP_E_NS1_11comp_targetILNS1_3genE3ELNS1_11target_archE908ELNS1_3gpuE7ELNS1_3repE0EEENS1_30default_config_static_selectorELNS0_4arch9wavefront6targetE1EEEvT1_: ; @_ZN7rocprim17ROCPRIM_400000_NS6detail17trampoline_kernelINS0_14default_configENS1_20scan_config_selectorIdEEZZNS1_9scan_implILNS1_25lookback_scan_determinismE0ELb1ELb1ES3_N6thrust23THRUST_200600_302600_NS6detail15normal_iteratorINS9_10device_ptrIdEEEESE_d11max_functorIdEdEEDaPvRmT3_T4_T5_mT6_P12ihipStream_tbENKUlT_T0_E_clISt17integral_constantIbLb0EEST_IbLb1EEEEDaSP_SQ_EUlSP_E_NS1_11comp_targetILNS1_3genE3ELNS1_11target_archE908ELNS1_3gpuE7ELNS1_3repE0EEENS1_30default_config_static_selectorELNS0_4arch9wavefront6targetE1EEEvT1_
; %bb.0:
	.section	.rodata,"a",@progbits
	.p2align	6, 0x0
	.amdhsa_kernel _ZN7rocprim17ROCPRIM_400000_NS6detail17trampoline_kernelINS0_14default_configENS1_20scan_config_selectorIdEEZZNS1_9scan_implILNS1_25lookback_scan_determinismE0ELb1ELb1ES3_N6thrust23THRUST_200600_302600_NS6detail15normal_iteratorINS9_10device_ptrIdEEEESE_d11max_functorIdEdEEDaPvRmT3_T4_T5_mT6_P12ihipStream_tbENKUlT_T0_E_clISt17integral_constantIbLb0EEST_IbLb1EEEEDaSP_SQ_EUlSP_E_NS1_11comp_targetILNS1_3genE3ELNS1_11target_archE908ELNS1_3gpuE7ELNS1_3repE0EEENS1_30default_config_static_selectorELNS0_4arch9wavefront6targetE1EEEvT1_
		.amdhsa_group_segment_fixed_size 0
		.amdhsa_private_segment_fixed_size 0
		.amdhsa_kernarg_size 104
		.amdhsa_user_sgpr_count 6
		.amdhsa_user_sgpr_private_segment_buffer 1
		.amdhsa_user_sgpr_dispatch_ptr 0
		.amdhsa_user_sgpr_queue_ptr 0
		.amdhsa_user_sgpr_kernarg_segment_ptr 1
		.amdhsa_user_sgpr_dispatch_id 0
		.amdhsa_user_sgpr_flat_scratch_init 0
		.amdhsa_user_sgpr_kernarg_preload_length 0
		.amdhsa_user_sgpr_kernarg_preload_offset 0
		.amdhsa_user_sgpr_private_segment_size 0
		.amdhsa_uses_dynamic_stack 0
		.amdhsa_system_sgpr_private_segment_wavefront_offset 0
		.amdhsa_system_sgpr_workgroup_id_x 1
		.amdhsa_system_sgpr_workgroup_id_y 0
		.amdhsa_system_sgpr_workgroup_id_z 0
		.amdhsa_system_sgpr_workgroup_info 0
		.amdhsa_system_vgpr_workitem_id 0
		.amdhsa_next_free_vgpr 1
		.amdhsa_next_free_sgpr 0
		.amdhsa_accum_offset 4
		.amdhsa_reserve_vcc 0
		.amdhsa_reserve_flat_scratch 0
		.amdhsa_float_round_mode_32 0
		.amdhsa_float_round_mode_16_64 0
		.amdhsa_float_denorm_mode_32 3
		.amdhsa_float_denorm_mode_16_64 3
		.amdhsa_dx10_clamp 1
		.amdhsa_ieee_mode 1
		.amdhsa_fp16_overflow 0
		.amdhsa_tg_split 0
		.amdhsa_exception_fp_ieee_invalid_op 0
		.amdhsa_exception_fp_denorm_src 0
		.amdhsa_exception_fp_ieee_div_zero 0
		.amdhsa_exception_fp_ieee_overflow 0
		.amdhsa_exception_fp_ieee_underflow 0
		.amdhsa_exception_fp_ieee_inexact 0
		.amdhsa_exception_int_div_zero 0
	.end_amdhsa_kernel
	.section	.text._ZN7rocprim17ROCPRIM_400000_NS6detail17trampoline_kernelINS0_14default_configENS1_20scan_config_selectorIdEEZZNS1_9scan_implILNS1_25lookback_scan_determinismE0ELb1ELb1ES3_N6thrust23THRUST_200600_302600_NS6detail15normal_iteratorINS9_10device_ptrIdEEEESE_d11max_functorIdEdEEDaPvRmT3_T4_T5_mT6_P12ihipStream_tbENKUlT_T0_E_clISt17integral_constantIbLb0EEST_IbLb1EEEEDaSP_SQ_EUlSP_E_NS1_11comp_targetILNS1_3genE3ELNS1_11target_archE908ELNS1_3gpuE7ELNS1_3repE0EEENS1_30default_config_static_selectorELNS0_4arch9wavefront6targetE1EEEvT1_,"axG",@progbits,_ZN7rocprim17ROCPRIM_400000_NS6detail17trampoline_kernelINS0_14default_configENS1_20scan_config_selectorIdEEZZNS1_9scan_implILNS1_25lookback_scan_determinismE0ELb1ELb1ES3_N6thrust23THRUST_200600_302600_NS6detail15normal_iteratorINS9_10device_ptrIdEEEESE_d11max_functorIdEdEEDaPvRmT3_T4_T5_mT6_P12ihipStream_tbENKUlT_T0_E_clISt17integral_constantIbLb0EEST_IbLb1EEEEDaSP_SQ_EUlSP_E_NS1_11comp_targetILNS1_3genE3ELNS1_11target_archE908ELNS1_3gpuE7ELNS1_3repE0EEENS1_30default_config_static_selectorELNS0_4arch9wavefront6targetE1EEEvT1_,comdat
.Lfunc_end1928:
	.size	_ZN7rocprim17ROCPRIM_400000_NS6detail17trampoline_kernelINS0_14default_configENS1_20scan_config_selectorIdEEZZNS1_9scan_implILNS1_25lookback_scan_determinismE0ELb1ELb1ES3_N6thrust23THRUST_200600_302600_NS6detail15normal_iteratorINS9_10device_ptrIdEEEESE_d11max_functorIdEdEEDaPvRmT3_T4_T5_mT6_P12ihipStream_tbENKUlT_T0_E_clISt17integral_constantIbLb0EEST_IbLb1EEEEDaSP_SQ_EUlSP_E_NS1_11comp_targetILNS1_3genE3ELNS1_11target_archE908ELNS1_3gpuE7ELNS1_3repE0EEENS1_30default_config_static_selectorELNS0_4arch9wavefront6targetE1EEEvT1_, .Lfunc_end1928-_ZN7rocprim17ROCPRIM_400000_NS6detail17trampoline_kernelINS0_14default_configENS1_20scan_config_selectorIdEEZZNS1_9scan_implILNS1_25lookback_scan_determinismE0ELb1ELb1ES3_N6thrust23THRUST_200600_302600_NS6detail15normal_iteratorINS9_10device_ptrIdEEEESE_d11max_functorIdEdEEDaPvRmT3_T4_T5_mT6_P12ihipStream_tbENKUlT_T0_E_clISt17integral_constantIbLb0EEST_IbLb1EEEEDaSP_SQ_EUlSP_E_NS1_11comp_targetILNS1_3genE3ELNS1_11target_archE908ELNS1_3gpuE7ELNS1_3repE0EEENS1_30default_config_static_selectorELNS0_4arch9wavefront6targetE1EEEvT1_
                                        ; -- End function
	.section	.AMDGPU.csdata,"",@progbits
; Kernel info:
; codeLenInByte = 0
; NumSgprs: 4
; NumVgprs: 0
; NumAgprs: 0
; TotalNumVgprs: 0
; ScratchSize: 0
; MemoryBound: 0
; FloatMode: 240
; IeeeMode: 1
; LDSByteSize: 0 bytes/workgroup (compile time only)
; SGPRBlocks: 0
; VGPRBlocks: 0
; NumSGPRsForWavesPerEU: 4
; NumVGPRsForWavesPerEU: 1
; AccumOffset: 4
; Occupancy: 8
; WaveLimiterHint : 0
; COMPUTE_PGM_RSRC2:SCRATCH_EN: 0
; COMPUTE_PGM_RSRC2:USER_SGPR: 6
; COMPUTE_PGM_RSRC2:TRAP_HANDLER: 0
; COMPUTE_PGM_RSRC2:TGID_X_EN: 1
; COMPUTE_PGM_RSRC2:TGID_Y_EN: 0
; COMPUTE_PGM_RSRC2:TGID_Z_EN: 0
; COMPUTE_PGM_RSRC2:TIDIG_COMP_CNT: 0
; COMPUTE_PGM_RSRC3_GFX90A:ACCUM_OFFSET: 0
; COMPUTE_PGM_RSRC3_GFX90A:TG_SPLIT: 0
	.section	.text._ZN7rocprim17ROCPRIM_400000_NS6detail17trampoline_kernelINS0_14default_configENS1_20scan_config_selectorIdEEZZNS1_9scan_implILNS1_25lookback_scan_determinismE0ELb1ELb1ES3_N6thrust23THRUST_200600_302600_NS6detail15normal_iteratorINS9_10device_ptrIdEEEESE_d11max_functorIdEdEEDaPvRmT3_T4_T5_mT6_P12ihipStream_tbENKUlT_T0_E_clISt17integral_constantIbLb0EEST_IbLb1EEEEDaSP_SQ_EUlSP_E_NS1_11comp_targetILNS1_3genE2ELNS1_11target_archE906ELNS1_3gpuE6ELNS1_3repE0EEENS1_30default_config_static_selectorELNS0_4arch9wavefront6targetE1EEEvT1_,"axG",@progbits,_ZN7rocprim17ROCPRIM_400000_NS6detail17trampoline_kernelINS0_14default_configENS1_20scan_config_selectorIdEEZZNS1_9scan_implILNS1_25lookback_scan_determinismE0ELb1ELb1ES3_N6thrust23THRUST_200600_302600_NS6detail15normal_iteratorINS9_10device_ptrIdEEEESE_d11max_functorIdEdEEDaPvRmT3_T4_T5_mT6_P12ihipStream_tbENKUlT_T0_E_clISt17integral_constantIbLb0EEST_IbLb1EEEEDaSP_SQ_EUlSP_E_NS1_11comp_targetILNS1_3genE2ELNS1_11target_archE906ELNS1_3gpuE6ELNS1_3repE0EEENS1_30default_config_static_selectorELNS0_4arch9wavefront6targetE1EEEvT1_,comdat
	.protected	_ZN7rocprim17ROCPRIM_400000_NS6detail17trampoline_kernelINS0_14default_configENS1_20scan_config_selectorIdEEZZNS1_9scan_implILNS1_25lookback_scan_determinismE0ELb1ELb1ES3_N6thrust23THRUST_200600_302600_NS6detail15normal_iteratorINS9_10device_ptrIdEEEESE_d11max_functorIdEdEEDaPvRmT3_T4_T5_mT6_P12ihipStream_tbENKUlT_T0_E_clISt17integral_constantIbLb0EEST_IbLb1EEEEDaSP_SQ_EUlSP_E_NS1_11comp_targetILNS1_3genE2ELNS1_11target_archE906ELNS1_3gpuE6ELNS1_3repE0EEENS1_30default_config_static_selectorELNS0_4arch9wavefront6targetE1EEEvT1_ ; -- Begin function _ZN7rocprim17ROCPRIM_400000_NS6detail17trampoline_kernelINS0_14default_configENS1_20scan_config_selectorIdEEZZNS1_9scan_implILNS1_25lookback_scan_determinismE0ELb1ELb1ES3_N6thrust23THRUST_200600_302600_NS6detail15normal_iteratorINS9_10device_ptrIdEEEESE_d11max_functorIdEdEEDaPvRmT3_T4_T5_mT6_P12ihipStream_tbENKUlT_T0_E_clISt17integral_constantIbLb0EEST_IbLb1EEEEDaSP_SQ_EUlSP_E_NS1_11comp_targetILNS1_3genE2ELNS1_11target_archE906ELNS1_3gpuE6ELNS1_3repE0EEENS1_30default_config_static_selectorELNS0_4arch9wavefront6targetE1EEEvT1_
	.globl	_ZN7rocprim17ROCPRIM_400000_NS6detail17trampoline_kernelINS0_14default_configENS1_20scan_config_selectorIdEEZZNS1_9scan_implILNS1_25lookback_scan_determinismE0ELb1ELb1ES3_N6thrust23THRUST_200600_302600_NS6detail15normal_iteratorINS9_10device_ptrIdEEEESE_d11max_functorIdEdEEDaPvRmT3_T4_T5_mT6_P12ihipStream_tbENKUlT_T0_E_clISt17integral_constantIbLb0EEST_IbLb1EEEEDaSP_SQ_EUlSP_E_NS1_11comp_targetILNS1_3genE2ELNS1_11target_archE906ELNS1_3gpuE6ELNS1_3repE0EEENS1_30default_config_static_selectorELNS0_4arch9wavefront6targetE1EEEvT1_
	.p2align	8
	.type	_ZN7rocprim17ROCPRIM_400000_NS6detail17trampoline_kernelINS0_14default_configENS1_20scan_config_selectorIdEEZZNS1_9scan_implILNS1_25lookback_scan_determinismE0ELb1ELb1ES3_N6thrust23THRUST_200600_302600_NS6detail15normal_iteratorINS9_10device_ptrIdEEEESE_d11max_functorIdEdEEDaPvRmT3_T4_T5_mT6_P12ihipStream_tbENKUlT_T0_E_clISt17integral_constantIbLb0EEST_IbLb1EEEEDaSP_SQ_EUlSP_E_NS1_11comp_targetILNS1_3genE2ELNS1_11target_archE906ELNS1_3gpuE6ELNS1_3repE0EEENS1_30default_config_static_selectorELNS0_4arch9wavefront6targetE1EEEvT1_,@function
_ZN7rocprim17ROCPRIM_400000_NS6detail17trampoline_kernelINS0_14default_configENS1_20scan_config_selectorIdEEZZNS1_9scan_implILNS1_25lookback_scan_determinismE0ELb1ELb1ES3_N6thrust23THRUST_200600_302600_NS6detail15normal_iteratorINS9_10device_ptrIdEEEESE_d11max_functorIdEdEEDaPvRmT3_T4_T5_mT6_P12ihipStream_tbENKUlT_T0_E_clISt17integral_constantIbLb0EEST_IbLb1EEEEDaSP_SQ_EUlSP_E_NS1_11comp_targetILNS1_3genE2ELNS1_11target_archE906ELNS1_3gpuE6ELNS1_3repE0EEENS1_30default_config_static_selectorELNS0_4arch9wavefront6targetE1EEEvT1_: ; @_ZN7rocprim17ROCPRIM_400000_NS6detail17trampoline_kernelINS0_14default_configENS1_20scan_config_selectorIdEEZZNS1_9scan_implILNS1_25lookback_scan_determinismE0ELb1ELb1ES3_N6thrust23THRUST_200600_302600_NS6detail15normal_iteratorINS9_10device_ptrIdEEEESE_d11max_functorIdEdEEDaPvRmT3_T4_T5_mT6_P12ihipStream_tbENKUlT_T0_E_clISt17integral_constantIbLb0EEST_IbLb1EEEEDaSP_SQ_EUlSP_E_NS1_11comp_targetILNS1_3genE2ELNS1_11target_archE906ELNS1_3gpuE6ELNS1_3repE0EEENS1_30default_config_static_selectorELNS0_4arch9wavefront6targetE1EEEvT1_
; %bb.0:
	.section	.rodata,"a",@progbits
	.p2align	6, 0x0
	.amdhsa_kernel _ZN7rocprim17ROCPRIM_400000_NS6detail17trampoline_kernelINS0_14default_configENS1_20scan_config_selectorIdEEZZNS1_9scan_implILNS1_25lookback_scan_determinismE0ELb1ELb1ES3_N6thrust23THRUST_200600_302600_NS6detail15normal_iteratorINS9_10device_ptrIdEEEESE_d11max_functorIdEdEEDaPvRmT3_T4_T5_mT6_P12ihipStream_tbENKUlT_T0_E_clISt17integral_constantIbLb0EEST_IbLb1EEEEDaSP_SQ_EUlSP_E_NS1_11comp_targetILNS1_3genE2ELNS1_11target_archE906ELNS1_3gpuE6ELNS1_3repE0EEENS1_30default_config_static_selectorELNS0_4arch9wavefront6targetE1EEEvT1_
		.amdhsa_group_segment_fixed_size 0
		.amdhsa_private_segment_fixed_size 0
		.amdhsa_kernarg_size 104
		.amdhsa_user_sgpr_count 6
		.amdhsa_user_sgpr_private_segment_buffer 1
		.amdhsa_user_sgpr_dispatch_ptr 0
		.amdhsa_user_sgpr_queue_ptr 0
		.amdhsa_user_sgpr_kernarg_segment_ptr 1
		.amdhsa_user_sgpr_dispatch_id 0
		.amdhsa_user_sgpr_flat_scratch_init 0
		.amdhsa_user_sgpr_kernarg_preload_length 0
		.amdhsa_user_sgpr_kernarg_preload_offset 0
		.amdhsa_user_sgpr_private_segment_size 0
		.amdhsa_uses_dynamic_stack 0
		.amdhsa_system_sgpr_private_segment_wavefront_offset 0
		.amdhsa_system_sgpr_workgroup_id_x 1
		.amdhsa_system_sgpr_workgroup_id_y 0
		.amdhsa_system_sgpr_workgroup_id_z 0
		.amdhsa_system_sgpr_workgroup_info 0
		.amdhsa_system_vgpr_workitem_id 0
		.amdhsa_next_free_vgpr 1
		.amdhsa_next_free_sgpr 0
		.amdhsa_accum_offset 4
		.amdhsa_reserve_vcc 0
		.amdhsa_reserve_flat_scratch 0
		.amdhsa_float_round_mode_32 0
		.amdhsa_float_round_mode_16_64 0
		.amdhsa_float_denorm_mode_32 3
		.amdhsa_float_denorm_mode_16_64 3
		.amdhsa_dx10_clamp 1
		.amdhsa_ieee_mode 1
		.amdhsa_fp16_overflow 0
		.amdhsa_tg_split 0
		.amdhsa_exception_fp_ieee_invalid_op 0
		.amdhsa_exception_fp_denorm_src 0
		.amdhsa_exception_fp_ieee_div_zero 0
		.amdhsa_exception_fp_ieee_overflow 0
		.amdhsa_exception_fp_ieee_underflow 0
		.amdhsa_exception_fp_ieee_inexact 0
		.amdhsa_exception_int_div_zero 0
	.end_amdhsa_kernel
	.section	.text._ZN7rocprim17ROCPRIM_400000_NS6detail17trampoline_kernelINS0_14default_configENS1_20scan_config_selectorIdEEZZNS1_9scan_implILNS1_25lookback_scan_determinismE0ELb1ELb1ES3_N6thrust23THRUST_200600_302600_NS6detail15normal_iteratorINS9_10device_ptrIdEEEESE_d11max_functorIdEdEEDaPvRmT3_T4_T5_mT6_P12ihipStream_tbENKUlT_T0_E_clISt17integral_constantIbLb0EEST_IbLb1EEEEDaSP_SQ_EUlSP_E_NS1_11comp_targetILNS1_3genE2ELNS1_11target_archE906ELNS1_3gpuE6ELNS1_3repE0EEENS1_30default_config_static_selectorELNS0_4arch9wavefront6targetE1EEEvT1_,"axG",@progbits,_ZN7rocprim17ROCPRIM_400000_NS6detail17trampoline_kernelINS0_14default_configENS1_20scan_config_selectorIdEEZZNS1_9scan_implILNS1_25lookback_scan_determinismE0ELb1ELb1ES3_N6thrust23THRUST_200600_302600_NS6detail15normal_iteratorINS9_10device_ptrIdEEEESE_d11max_functorIdEdEEDaPvRmT3_T4_T5_mT6_P12ihipStream_tbENKUlT_T0_E_clISt17integral_constantIbLb0EEST_IbLb1EEEEDaSP_SQ_EUlSP_E_NS1_11comp_targetILNS1_3genE2ELNS1_11target_archE906ELNS1_3gpuE6ELNS1_3repE0EEENS1_30default_config_static_selectorELNS0_4arch9wavefront6targetE1EEEvT1_,comdat
.Lfunc_end1929:
	.size	_ZN7rocprim17ROCPRIM_400000_NS6detail17trampoline_kernelINS0_14default_configENS1_20scan_config_selectorIdEEZZNS1_9scan_implILNS1_25lookback_scan_determinismE0ELb1ELb1ES3_N6thrust23THRUST_200600_302600_NS6detail15normal_iteratorINS9_10device_ptrIdEEEESE_d11max_functorIdEdEEDaPvRmT3_T4_T5_mT6_P12ihipStream_tbENKUlT_T0_E_clISt17integral_constantIbLb0EEST_IbLb1EEEEDaSP_SQ_EUlSP_E_NS1_11comp_targetILNS1_3genE2ELNS1_11target_archE906ELNS1_3gpuE6ELNS1_3repE0EEENS1_30default_config_static_selectorELNS0_4arch9wavefront6targetE1EEEvT1_, .Lfunc_end1929-_ZN7rocprim17ROCPRIM_400000_NS6detail17trampoline_kernelINS0_14default_configENS1_20scan_config_selectorIdEEZZNS1_9scan_implILNS1_25lookback_scan_determinismE0ELb1ELb1ES3_N6thrust23THRUST_200600_302600_NS6detail15normal_iteratorINS9_10device_ptrIdEEEESE_d11max_functorIdEdEEDaPvRmT3_T4_T5_mT6_P12ihipStream_tbENKUlT_T0_E_clISt17integral_constantIbLb0EEST_IbLb1EEEEDaSP_SQ_EUlSP_E_NS1_11comp_targetILNS1_3genE2ELNS1_11target_archE906ELNS1_3gpuE6ELNS1_3repE0EEENS1_30default_config_static_selectorELNS0_4arch9wavefront6targetE1EEEvT1_
                                        ; -- End function
	.section	.AMDGPU.csdata,"",@progbits
; Kernel info:
; codeLenInByte = 0
; NumSgprs: 4
; NumVgprs: 0
; NumAgprs: 0
; TotalNumVgprs: 0
; ScratchSize: 0
; MemoryBound: 0
; FloatMode: 240
; IeeeMode: 1
; LDSByteSize: 0 bytes/workgroup (compile time only)
; SGPRBlocks: 0
; VGPRBlocks: 0
; NumSGPRsForWavesPerEU: 4
; NumVGPRsForWavesPerEU: 1
; AccumOffset: 4
; Occupancy: 8
; WaveLimiterHint : 0
; COMPUTE_PGM_RSRC2:SCRATCH_EN: 0
; COMPUTE_PGM_RSRC2:USER_SGPR: 6
; COMPUTE_PGM_RSRC2:TRAP_HANDLER: 0
; COMPUTE_PGM_RSRC2:TGID_X_EN: 1
; COMPUTE_PGM_RSRC2:TGID_Y_EN: 0
; COMPUTE_PGM_RSRC2:TGID_Z_EN: 0
; COMPUTE_PGM_RSRC2:TIDIG_COMP_CNT: 0
; COMPUTE_PGM_RSRC3_GFX90A:ACCUM_OFFSET: 0
; COMPUTE_PGM_RSRC3_GFX90A:TG_SPLIT: 0
	.section	.text._ZN7rocprim17ROCPRIM_400000_NS6detail17trampoline_kernelINS0_14default_configENS1_20scan_config_selectorIdEEZZNS1_9scan_implILNS1_25lookback_scan_determinismE0ELb1ELb1ES3_N6thrust23THRUST_200600_302600_NS6detail15normal_iteratorINS9_10device_ptrIdEEEESE_d11max_functorIdEdEEDaPvRmT3_T4_T5_mT6_P12ihipStream_tbENKUlT_T0_E_clISt17integral_constantIbLb0EEST_IbLb1EEEEDaSP_SQ_EUlSP_E_NS1_11comp_targetILNS1_3genE10ELNS1_11target_archE1201ELNS1_3gpuE5ELNS1_3repE0EEENS1_30default_config_static_selectorELNS0_4arch9wavefront6targetE1EEEvT1_,"axG",@progbits,_ZN7rocprim17ROCPRIM_400000_NS6detail17trampoline_kernelINS0_14default_configENS1_20scan_config_selectorIdEEZZNS1_9scan_implILNS1_25lookback_scan_determinismE0ELb1ELb1ES3_N6thrust23THRUST_200600_302600_NS6detail15normal_iteratorINS9_10device_ptrIdEEEESE_d11max_functorIdEdEEDaPvRmT3_T4_T5_mT6_P12ihipStream_tbENKUlT_T0_E_clISt17integral_constantIbLb0EEST_IbLb1EEEEDaSP_SQ_EUlSP_E_NS1_11comp_targetILNS1_3genE10ELNS1_11target_archE1201ELNS1_3gpuE5ELNS1_3repE0EEENS1_30default_config_static_selectorELNS0_4arch9wavefront6targetE1EEEvT1_,comdat
	.protected	_ZN7rocprim17ROCPRIM_400000_NS6detail17trampoline_kernelINS0_14default_configENS1_20scan_config_selectorIdEEZZNS1_9scan_implILNS1_25lookback_scan_determinismE0ELb1ELb1ES3_N6thrust23THRUST_200600_302600_NS6detail15normal_iteratorINS9_10device_ptrIdEEEESE_d11max_functorIdEdEEDaPvRmT3_T4_T5_mT6_P12ihipStream_tbENKUlT_T0_E_clISt17integral_constantIbLb0EEST_IbLb1EEEEDaSP_SQ_EUlSP_E_NS1_11comp_targetILNS1_3genE10ELNS1_11target_archE1201ELNS1_3gpuE5ELNS1_3repE0EEENS1_30default_config_static_selectorELNS0_4arch9wavefront6targetE1EEEvT1_ ; -- Begin function _ZN7rocprim17ROCPRIM_400000_NS6detail17trampoline_kernelINS0_14default_configENS1_20scan_config_selectorIdEEZZNS1_9scan_implILNS1_25lookback_scan_determinismE0ELb1ELb1ES3_N6thrust23THRUST_200600_302600_NS6detail15normal_iteratorINS9_10device_ptrIdEEEESE_d11max_functorIdEdEEDaPvRmT3_T4_T5_mT6_P12ihipStream_tbENKUlT_T0_E_clISt17integral_constantIbLb0EEST_IbLb1EEEEDaSP_SQ_EUlSP_E_NS1_11comp_targetILNS1_3genE10ELNS1_11target_archE1201ELNS1_3gpuE5ELNS1_3repE0EEENS1_30default_config_static_selectorELNS0_4arch9wavefront6targetE1EEEvT1_
	.globl	_ZN7rocprim17ROCPRIM_400000_NS6detail17trampoline_kernelINS0_14default_configENS1_20scan_config_selectorIdEEZZNS1_9scan_implILNS1_25lookback_scan_determinismE0ELb1ELb1ES3_N6thrust23THRUST_200600_302600_NS6detail15normal_iteratorINS9_10device_ptrIdEEEESE_d11max_functorIdEdEEDaPvRmT3_T4_T5_mT6_P12ihipStream_tbENKUlT_T0_E_clISt17integral_constantIbLb0EEST_IbLb1EEEEDaSP_SQ_EUlSP_E_NS1_11comp_targetILNS1_3genE10ELNS1_11target_archE1201ELNS1_3gpuE5ELNS1_3repE0EEENS1_30default_config_static_selectorELNS0_4arch9wavefront6targetE1EEEvT1_
	.p2align	8
	.type	_ZN7rocprim17ROCPRIM_400000_NS6detail17trampoline_kernelINS0_14default_configENS1_20scan_config_selectorIdEEZZNS1_9scan_implILNS1_25lookback_scan_determinismE0ELb1ELb1ES3_N6thrust23THRUST_200600_302600_NS6detail15normal_iteratorINS9_10device_ptrIdEEEESE_d11max_functorIdEdEEDaPvRmT3_T4_T5_mT6_P12ihipStream_tbENKUlT_T0_E_clISt17integral_constantIbLb0EEST_IbLb1EEEEDaSP_SQ_EUlSP_E_NS1_11comp_targetILNS1_3genE10ELNS1_11target_archE1201ELNS1_3gpuE5ELNS1_3repE0EEENS1_30default_config_static_selectorELNS0_4arch9wavefront6targetE1EEEvT1_,@function
_ZN7rocprim17ROCPRIM_400000_NS6detail17trampoline_kernelINS0_14default_configENS1_20scan_config_selectorIdEEZZNS1_9scan_implILNS1_25lookback_scan_determinismE0ELb1ELb1ES3_N6thrust23THRUST_200600_302600_NS6detail15normal_iteratorINS9_10device_ptrIdEEEESE_d11max_functorIdEdEEDaPvRmT3_T4_T5_mT6_P12ihipStream_tbENKUlT_T0_E_clISt17integral_constantIbLb0EEST_IbLb1EEEEDaSP_SQ_EUlSP_E_NS1_11comp_targetILNS1_3genE10ELNS1_11target_archE1201ELNS1_3gpuE5ELNS1_3repE0EEENS1_30default_config_static_selectorELNS0_4arch9wavefront6targetE1EEEvT1_: ; @_ZN7rocprim17ROCPRIM_400000_NS6detail17trampoline_kernelINS0_14default_configENS1_20scan_config_selectorIdEEZZNS1_9scan_implILNS1_25lookback_scan_determinismE0ELb1ELb1ES3_N6thrust23THRUST_200600_302600_NS6detail15normal_iteratorINS9_10device_ptrIdEEEESE_d11max_functorIdEdEEDaPvRmT3_T4_T5_mT6_P12ihipStream_tbENKUlT_T0_E_clISt17integral_constantIbLb0EEST_IbLb1EEEEDaSP_SQ_EUlSP_E_NS1_11comp_targetILNS1_3genE10ELNS1_11target_archE1201ELNS1_3gpuE5ELNS1_3repE0EEENS1_30default_config_static_selectorELNS0_4arch9wavefront6targetE1EEEvT1_
; %bb.0:
	.section	.rodata,"a",@progbits
	.p2align	6, 0x0
	.amdhsa_kernel _ZN7rocprim17ROCPRIM_400000_NS6detail17trampoline_kernelINS0_14default_configENS1_20scan_config_selectorIdEEZZNS1_9scan_implILNS1_25lookback_scan_determinismE0ELb1ELb1ES3_N6thrust23THRUST_200600_302600_NS6detail15normal_iteratorINS9_10device_ptrIdEEEESE_d11max_functorIdEdEEDaPvRmT3_T4_T5_mT6_P12ihipStream_tbENKUlT_T0_E_clISt17integral_constantIbLb0EEST_IbLb1EEEEDaSP_SQ_EUlSP_E_NS1_11comp_targetILNS1_3genE10ELNS1_11target_archE1201ELNS1_3gpuE5ELNS1_3repE0EEENS1_30default_config_static_selectorELNS0_4arch9wavefront6targetE1EEEvT1_
		.amdhsa_group_segment_fixed_size 0
		.amdhsa_private_segment_fixed_size 0
		.amdhsa_kernarg_size 104
		.amdhsa_user_sgpr_count 6
		.amdhsa_user_sgpr_private_segment_buffer 1
		.amdhsa_user_sgpr_dispatch_ptr 0
		.amdhsa_user_sgpr_queue_ptr 0
		.amdhsa_user_sgpr_kernarg_segment_ptr 1
		.amdhsa_user_sgpr_dispatch_id 0
		.amdhsa_user_sgpr_flat_scratch_init 0
		.amdhsa_user_sgpr_kernarg_preload_length 0
		.amdhsa_user_sgpr_kernarg_preload_offset 0
		.amdhsa_user_sgpr_private_segment_size 0
		.amdhsa_uses_dynamic_stack 0
		.amdhsa_system_sgpr_private_segment_wavefront_offset 0
		.amdhsa_system_sgpr_workgroup_id_x 1
		.amdhsa_system_sgpr_workgroup_id_y 0
		.amdhsa_system_sgpr_workgroup_id_z 0
		.amdhsa_system_sgpr_workgroup_info 0
		.amdhsa_system_vgpr_workitem_id 0
		.amdhsa_next_free_vgpr 1
		.amdhsa_next_free_sgpr 0
		.amdhsa_accum_offset 4
		.amdhsa_reserve_vcc 0
		.amdhsa_reserve_flat_scratch 0
		.amdhsa_float_round_mode_32 0
		.amdhsa_float_round_mode_16_64 0
		.amdhsa_float_denorm_mode_32 3
		.amdhsa_float_denorm_mode_16_64 3
		.amdhsa_dx10_clamp 1
		.amdhsa_ieee_mode 1
		.amdhsa_fp16_overflow 0
		.amdhsa_tg_split 0
		.amdhsa_exception_fp_ieee_invalid_op 0
		.amdhsa_exception_fp_denorm_src 0
		.amdhsa_exception_fp_ieee_div_zero 0
		.amdhsa_exception_fp_ieee_overflow 0
		.amdhsa_exception_fp_ieee_underflow 0
		.amdhsa_exception_fp_ieee_inexact 0
		.amdhsa_exception_int_div_zero 0
	.end_amdhsa_kernel
	.section	.text._ZN7rocprim17ROCPRIM_400000_NS6detail17trampoline_kernelINS0_14default_configENS1_20scan_config_selectorIdEEZZNS1_9scan_implILNS1_25lookback_scan_determinismE0ELb1ELb1ES3_N6thrust23THRUST_200600_302600_NS6detail15normal_iteratorINS9_10device_ptrIdEEEESE_d11max_functorIdEdEEDaPvRmT3_T4_T5_mT6_P12ihipStream_tbENKUlT_T0_E_clISt17integral_constantIbLb0EEST_IbLb1EEEEDaSP_SQ_EUlSP_E_NS1_11comp_targetILNS1_3genE10ELNS1_11target_archE1201ELNS1_3gpuE5ELNS1_3repE0EEENS1_30default_config_static_selectorELNS0_4arch9wavefront6targetE1EEEvT1_,"axG",@progbits,_ZN7rocprim17ROCPRIM_400000_NS6detail17trampoline_kernelINS0_14default_configENS1_20scan_config_selectorIdEEZZNS1_9scan_implILNS1_25lookback_scan_determinismE0ELb1ELb1ES3_N6thrust23THRUST_200600_302600_NS6detail15normal_iteratorINS9_10device_ptrIdEEEESE_d11max_functorIdEdEEDaPvRmT3_T4_T5_mT6_P12ihipStream_tbENKUlT_T0_E_clISt17integral_constantIbLb0EEST_IbLb1EEEEDaSP_SQ_EUlSP_E_NS1_11comp_targetILNS1_3genE10ELNS1_11target_archE1201ELNS1_3gpuE5ELNS1_3repE0EEENS1_30default_config_static_selectorELNS0_4arch9wavefront6targetE1EEEvT1_,comdat
.Lfunc_end1930:
	.size	_ZN7rocprim17ROCPRIM_400000_NS6detail17trampoline_kernelINS0_14default_configENS1_20scan_config_selectorIdEEZZNS1_9scan_implILNS1_25lookback_scan_determinismE0ELb1ELb1ES3_N6thrust23THRUST_200600_302600_NS6detail15normal_iteratorINS9_10device_ptrIdEEEESE_d11max_functorIdEdEEDaPvRmT3_T4_T5_mT6_P12ihipStream_tbENKUlT_T0_E_clISt17integral_constantIbLb0EEST_IbLb1EEEEDaSP_SQ_EUlSP_E_NS1_11comp_targetILNS1_3genE10ELNS1_11target_archE1201ELNS1_3gpuE5ELNS1_3repE0EEENS1_30default_config_static_selectorELNS0_4arch9wavefront6targetE1EEEvT1_, .Lfunc_end1930-_ZN7rocprim17ROCPRIM_400000_NS6detail17trampoline_kernelINS0_14default_configENS1_20scan_config_selectorIdEEZZNS1_9scan_implILNS1_25lookback_scan_determinismE0ELb1ELb1ES3_N6thrust23THRUST_200600_302600_NS6detail15normal_iteratorINS9_10device_ptrIdEEEESE_d11max_functorIdEdEEDaPvRmT3_T4_T5_mT6_P12ihipStream_tbENKUlT_T0_E_clISt17integral_constantIbLb0EEST_IbLb1EEEEDaSP_SQ_EUlSP_E_NS1_11comp_targetILNS1_3genE10ELNS1_11target_archE1201ELNS1_3gpuE5ELNS1_3repE0EEENS1_30default_config_static_selectorELNS0_4arch9wavefront6targetE1EEEvT1_
                                        ; -- End function
	.section	.AMDGPU.csdata,"",@progbits
; Kernel info:
; codeLenInByte = 0
; NumSgprs: 4
; NumVgprs: 0
; NumAgprs: 0
; TotalNumVgprs: 0
; ScratchSize: 0
; MemoryBound: 0
; FloatMode: 240
; IeeeMode: 1
; LDSByteSize: 0 bytes/workgroup (compile time only)
; SGPRBlocks: 0
; VGPRBlocks: 0
; NumSGPRsForWavesPerEU: 4
; NumVGPRsForWavesPerEU: 1
; AccumOffset: 4
; Occupancy: 8
; WaveLimiterHint : 0
; COMPUTE_PGM_RSRC2:SCRATCH_EN: 0
; COMPUTE_PGM_RSRC2:USER_SGPR: 6
; COMPUTE_PGM_RSRC2:TRAP_HANDLER: 0
; COMPUTE_PGM_RSRC2:TGID_X_EN: 1
; COMPUTE_PGM_RSRC2:TGID_Y_EN: 0
; COMPUTE_PGM_RSRC2:TGID_Z_EN: 0
; COMPUTE_PGM_RSRC2:TIDIG_COMP_CNT: 0
; COMPUTE_PGM_RSRC3_GFX90A:ACCUM_OFFSET: 0
; COMPUTE_PGM_RSRC3_GFX90A:TG_SPLIT: 0
	.section	.text._ZN7rocprim17ROCPRIM_400000_NS6detail17trampoline_kernelINS0_14default_configENS1_20scan_config_selectorIdEEZZNS1_9scan_implILNS1_25lookback_scan_determinismE0ELb1ELb1ES3_N6thrust23THRUST_200600_302600_NS6detail15normal_iteratorINS9_10device_ptrIdEEEESE_d11max_functorIdEdEEDaPvRmT3_T4_T5_mT6_P12ihipStream_tbENKUlT_T0_E_clISt17integral_constantIbLb0EEST_IbLb1EEEEDaSP_SQ_EUlSP_E_NS1_11comp_targetILNS1_3genE10ELNS1_11target_archE1200ELNS1_3gpuE4ELNS1_3repE0EEENS1_30default_config_static_selectorELNS0_4arch9wavefront6targetE1EEEvT1_,"axG",@progbits,_ZN7rocprim17ROCPRIM_400000_NS6detail17trampoline_kernelINS0_14default_configENS1_20scan_config_selectorIdEEZZNS1_9scan_implILNS1_25lookback_scan_determinismE0ELb1ELb1ES3_N6thrust23THRUST_200600_302600_NS6detail15normal_iteratorINS9_10device_ptrIdEEEESE_d11max_functorIdEdEEDaPvRmT3_T4_T5_mT6_P12ihipStream_tbENKUlT_T0_E_clISt17integral_constantIbLb0EEST_IbLb1EEEEDaSP_SQ_EUlSP_E_NS1_11comp_targetILNS1_3genE10ELNS1_11target_archE1200ELNS1_3gpuE4ELNS1_3repE0EEENS1_30default_config_static_selectorELNS0_4arch9wavefront6targetE1EEEvT1_,comdat
	.protected	_ZN7rocprim17ROCPRIM_400000_NS6detail17trampoline_kernelINS0_14default_configENS1_20scan_config_selectorIdEEZZNS1_9scan_implILNS1_25lookback_scan_determinismE0ELb1ELb1ES3_N6thrust23THRUST_200600_302600_NS6detail15normal_iteratorINS9_10device_ptrIdEEEESE_d11max_functorIdEdEEDaPvRmT3_T4_T5_mT6_P12ihipStream_tbENKUlT_T0_E_clISt17integral_constantIbLb0EEST_IbLb1EEEEDaSP_SQ_EUlSP_E_NS1_11comp_targetILNS1_3genE10ELNS1_11target_archE1200ELNS1_3gpuE4ELNS1_3repE0EEENS1_30default_config_static_selectorELNS0_4arch9wavefront6targetE1EEEvT1_ ; -- Begin function _ZN7rocprim17ROCPRIM_400000_NS6detail17trampoline_kernelINS0_14default_configENS1_20scan_config_selectorIdEEZZNS1_9scan_implILNS1_25lookback_scan_determinismE0ELb1ELb1ES3_N6thrust23THRUST_200600_302600_NS6detail15normal_iteratorINS9_10device_ptrIdEEEESE_d11max_functorIdEdEEDaPvRmT3_T4_T5_mT6_P12ihipStream_tbENKUlT_T0_E_clISt17integral_constantIbLb0EEST_IbLb1EEEEDaSP_SQ_EUlSP_E_NS1_11comp_targetILNS1_3genE10ELNS1_11target_archE1200ELNS1_3gpuE4ELNS1_3repE0EEENS1_30default_config_static_selectorELNS0_4arch9wavefront6targetE1EEEvT1_
	.globl	_ZN7rocprim17ROCPRIM_400000_NS6detail17trampoline_kernelINS0_14default_configENS1_20scan_config_selectorIdEEZZNS1_9scan_implILNS1_25lookback_scan_determinismE0ELb1ELb1ES3_N6thrust23THRUST_200600_302600_NS6detail15normal_iteratorINS9_10device_ptrIdEEEESE_d11max_functorIdEdEEDaPvRmT3_T4_T5_mT6_P12ihipStream_tbENKUlT_T0_E_clISt17integral_constantIbLb0EEST_IbLb1EEEEDaSP_SQ_EUlSP_E_NS1_11comp_targetILNS1_3genE10ELNS1_11target_archE1200ELNS1_3gpuE4ELNS1_3repE0EEENS1_30default_config_static_selectorELNS0_4arch9wavefront6targetE1EEEvT1_
	.p2align	8
	.type	_ZN7rocprim17ROCPRIM_400000_NS6detail17trampoline_kernelINS0_14default_configENS1_20scan_config_selectorIdEEZZNS1_9scan_implILNS1_25lookback_scan_determinismE0ELb1ELb1ES3_N6thrust23THRUST_200600_302600_NS6detail15normal_iteratorINS9_10device_ptrIdEEEESE_d11max_functorIdEdEEDaPvRmT3_T4_T5_mT6_P12ihipStream_tbENKUlT_T0_E_clISt17integral_constantIbLb0EEST_IbLb1EEEEDaSP_SQ_EUlSP_E_NS1_11comp_targetILNS1_3genE10ELNS1_11target_archE1200ELNS1_3gpuE4ELNS1_3repE0EEENS1_30default_config_static_selectorELNS0_4arch9wavefront6targetE1EEEvT1_,@function
_ZN7rocprim17ROCPRIM_400000_NS6detail17trampoline_kernelINS0_14default_configENS1_20scan_config_selectorIdEEZZNS1_9scan_implILNS1_25lookback_scan_determinismE0ELb1ELb1ES3_N6thrust23THRUST_200600_302600_NS6detail15normal_iteratorINS9_10device_ptrIdEEEESE_d11max_functorIdEdEEDaPvRmT3_T4_T5_mT6_P12ihipStream_tbENKUlT_T0_E_clISt17integral_constantIbLb0EEST_IbLb1EEEEDaSP_SQ_EUlSP_E_NS1_11comp_targetILNS1_3genE10ELNS1_11target_archE1200ELNS1_3gpuE4ELNS1_3repE0EEENS1_30default_config_static_selectorELNS0_4arch9wavefront6targetE1EEEvT1_: ; @_ZN7rocprim17ROCPRIM_400000_NS6detail17trampoline_kernelINS0_14default_configENS1_20scan_config_selectorIdEEZZNS1_9scan_implILNS1_25lookback_scan_determinismE0ELb1ELb1ES3_N6thrust23THRUST_200600_302600_NS6detail15normal_iteratorINS9_10device_ptrIdEEEESE_d11max_functorIdEdEEDaPvRmT3_T4_T5_mT6_P12ihipStream_tbENKUlT_T0_E_clISt17integral_constantIbLb0EEST_IbLb1EEEEDaSP_SQ_EUlSP_E_NS1_11comp_targetILNS1_3genE10ELNS1_11target_archE1200ELNS1_3gpuE4ELNS1_3repE0EEENS1_30default_config_static_selectorELNS0_4arch9wavefront6targetE1EEEvT1_
; %bb.0:
	.section	.rodata,"a",@progbits
	.p2align	6, 0x0
	.amdhsa_kernel _ZN7rocprim17ROCPRIM_400000_NS6detail17trampoline_kernelINS0_14default_configENS1_20scan_config_selectorIdEEZZNS1_9scan_implILNS1_25lookback_scan_determinismE0ELb1ELb1ES3_N6thrust23THRUST_200600_302600_NS6detail15normal_iteratorINS9_10device_ptrIdEEEESE_d11max_functorIdEdEEDaPvRmT3_T4_T5_mT6_P12ihipStream_tbENKUlT_T0_E_clISt17integral_constantIbLb0EEST_IbLb1EEEEDaSP_SQ_EUlSP_E_NS1_11comp_targetILNS1_3genE10ELNS1_11target_archE1200ELNS1_3gpuE4ELNS1_3repE0EEENS1_30default_config_static_selectorELNS0_4arch9wavefront6targetE1EEEvT1_
		.amdhsa_group_segment_fixed_size 0
		.amdhsa_private_segment_fixed_size 0
		.amdhsa_kernarg_size 104
		.amdhsa_user_sgpr_count 6
		.amdhsa_user_sgpr_private_segment_buffer 1
		.amdhsa_user_sgpr_dispatch_ptr 0
		.amdhsa_user_sgpr_queue_ptr 0
		.amdhsa_user_sgpr_kernarg_segment_ptr 1
		.amdhsa_user_sgpr_dispatch_id 0
		.amdhsa_user_sgpr_flat_scratch_init 0
		.amdhsa_user_sgpr_kernarg_preload_length 0
		.amdhsa_user_sgpr_kernarg_preload_offset 0
		.amdhsa_user_sgpr_private_segment_size 0
		.amdhsa_uses_dynamic_stack 0
		.amdhsa_system_sgpr_private_segment_wavefront_offset 0
		.amdhsa_system_sgpr_workgroup_id_x 1
		.amdhsa_system_sgpr_workgroup_id_y 0
		.amdhsa_system_sgpr_workgroup_id_z 0
		.amdhsa_system_sgpr_workgroup_info 0
		.amdhsa_system_vgpr_workitem_id 0
		.amdhsa_next_free_vgpr 1
		.amdhsa_next_free_sgpr 0
		.amdhsa_accum_offset 4
		.amdhsa_reserve_vcc 0
		.amdhsa_reserve_flat_scratch 0
		.amdhsa_float_round_mode_32 0
		.amdhsa_float_round_mode_16_64 0
		.amdhsa_float_denorm_mode_32 3
		.amdhsa_float_denorm_mode_16_64 3
		.amdhsa_dx10_clamp 1
		.amdhsa_ieee_mode 1
		.amdhsa_fp16_overflow 0
		.amdhsa_tg_split 0
		.amdhsa_exception_fp_ieee_invalid_op 0
		.amdhsa_exception_fp_denorm_src 0
		.amdhsa_exception_fp_ieee_div_zero 0
		.amdhsa_exception_fp_ieee_overflow 0
		.amdhsa_exception_fp_ieee_underflow 0
		.amdhsa_exception_fp_ieee_inexact 0
		.amdhsa_exception_int_div_zero 0
	.end_amdhsa_kernel
	.section	.text._ZN7rocprim17ROCPRIM_400000_NS6detail17trampoline_kernelINS0_14default_configENS1_20scan_config_selectorIdEEZZNS1_9scan_implILNS1_25lookback_scan_determinismE0ELb1ELb1ES3_N6thrust23THRUST_200600_302600_NS6detail15normal_iteratorINS9_10device_ptrIdEEEESE_d11max_functorIdEdEEDaPvRmT3_T4_T5_mT6_P12ihipStream_tbENKUlT_T0_E_clISt17integral_constantIbLb0EEST_IbLb1EEEEDaSP_SQ_EUlSP_E_NS1_11comp_targetILNS1_3genE10ELNS1_11target_archE1200ELNS1_3gpuE4ELNS1_3repE0EEENS1_30default_config_static_selectorELNS0_4arch9wavefront6targetE1EEEvT1_,"axG",@progbits,_ZN7rocprim17ROCPRIM_400000_NS6detail17trampoline_kernelINS0_14default_configENS1_20scan_config_selectorIdEEZZNS1_9scan_implILNS1_25lookback_scan_determinismE0ELb1ELb1ES3_N6thrust23THRUST_200600_302600_NS6detail15normal_iteratorINS9_10device_ptrIdEEEESE_d11max_functorIdEdEEDaPvRmT3_T4_T5_mT6_P12ihipStream_tbENKUlT_T0_E_clISt17integral_constantIbLb0EEST_IbLb1EEEEDaSP_SQ_EUlSP_E_NS1_11comp_targetILNS1_3genE10ELNS1_11target_archE1200ELNS1_3gpuE4ELNS1_3repE0EEENS1_30default_config_static_selectorELNS0_4arch9wavefront6targetE1EEEvT1_,comdat
.Lfunc_end1931:
	.size	_ZN7rocprim17ROCPRIM_400000_NS6detail17trampoline_kernelINS0_14default_configENS1_20scan_config_selectorIdEEZZNS1_9scan_implILNS1_25lookback_scan_determinismE0ELb1ELb1ES3_N6thrust23THRUST_200600_302600_NS6detail15normal_iteratorINS9_10device_ptrIdEEEESE_d11max_functorIdEdEEDaPvRmT3_T4_T5_mT6_P12ihipStream_tbENKUlT_T0_E_clISt17integral_constantIbLb0EEST_IbLb1EEEEDaSP_SQ_EUlSP_E_NS1_11comp_targetILNS1_3genE10ELNS1_11target_archE1200ELNS1_3gpuE4ELNS1_3repE0EEENS1_30default_config_static_selectorELNS0_4arch9wavefront6targetE1EEEvT1_, .Lfunc_end1931-_ZN7rocprim17ROCPRIM_400000_NS6detail17trampoline_kernelINS0_14default_configENS1_20scan_config_selectorIdEEZZNS1_9scan_implILNS1_25lookback_scan_determinismE0ELb1ELb1ES3_N6thrust23THRUST_200600_302600_NS6detail15normal_iteratorINS9_10device_ptrIdEEEESE_d11max_functorIdEdEEDaPvRmT3_T4_T5_mT6_P12ihipStream_tbENKUlT_T0_E_clISt17integral_constantIbLb0EEST_IbLb1EEEEDaSP_SQ_EUlSP_E_NS1_11comp_targetILNS1_3genE10ELNS1_11target_archE1200ELNS1_3gpuE4ELNS1_3repE0EEENS1_30default_config_static_selectorELNS0_4arch9wavefront6targetE1EEEvT1_
                                        ; -- End function
	.section	.AMDGPU.csdata,"",@progbits
; Kernel info:
; codeLenInByte = 0
; NumSgprs: 4
; NumVgprs: 0
; NumAgprs: 0
; TotalNumVgprs: 0
; ScratchSize: 0
; MemoryBound: 0
; FloatMode: 240
; IeeeMode: 1
; LDSByteSize: 0 bytes/workgroup (compile time only)
; SGPRBlocks: 0
; VGPRBlocks: 0
; NumSGPRsForWavesPerEU: 4
; NumVGPRsForWavesPerEU: 1
; AccumOffset: 4
; Occupancy: 8
; WaveLimiterHint : 0
; COMPUTE_PGM_RSRC2:SCRATCH_EN: 0
; COMPUTE_PGM_RSRC2:USER_SGPR: 6
; COMPUTE_PGM_RSRC2:TRAP_HANDLER: 0
; COMPUTE_PGM_RSRC2:TGID_X_EN: 1
; COMPUTE_PGM_RSRC2:TGID_Y_EN: 0
; COMPUTE_PGM_RSRC2:TGID_Z_EN: 0
; COMPUTE_PGM_RSRC2:TIDIG_COMP_CNT: 0
; COMPUTE_PGM_RSRC3_GFX90A:ACCUM_OFFSET: 0
; COMPUTE_PGM_RSRC3_GFX90A:TG_SPLIT: 0
	.section	.text._ZN7rocprim17ROCPRIM_400000_NS6detail17trampoline_kernelINS0_14default_configENS1_20scan_config_selectorIdEEZZNS1_9scan_implILNS1_25lookback_scan_determinismE0ELb1ELb1ES3_N6thrust23THRUST_200600_302600_NS6detail15normal_iteratorINS9_10device_ptrIdEEEESE_d11max_functorIdEdEEDaPvRmT3_T4_T5_mT6_P12ihipStream_tbENKUlT_T0_E_clISt17integral_constantIbLb0EEST_IbLb1EEEEDaSP_SQ_EUlSP_E_NS1_11comp_targetILNS1_3genE9ELNS1_11target_archE1100ELNS1_3gpuE3ELNS1_3repE0EEENS1_30default_config_static_selectorELNS0_4arch9wavefront6targetE1EEEvT1_,"axG",@progbits,_ZN7rocprim17ROCPRIM_400000_NS6detail17trampoline_kernelINS0_14default_configENS1_20scan_config_selectorIdEEZZNS1_9scan_implILNS1_25lookback_scan_determinismE0ELb1ELb1ES3_N6thrust23THRUST_200600_302600_NS6detail15normal_iteratorINS9_10device_ptrIdEEEESE_d11max_functorIdEdEEDaPvRmT3_T4_T5_mT6_P12ihipStream_tbENKUlT_T0_E_clISt17integral_constantIbLb0EEST_IbLb1EEEEDaSP_SQ_EUlSP_E_NS1_11comp_targetILNS1_3genE9ELNS1_11target_archE1100ELNS1_3gpuE3ELNS1_3repE0EEENS1_30default_config_static_selectorELNS0_4arch9wavefront6targetE1EEEvT1_,comdat
	.protected	_ZN7rocprim17ROCPRIM_400000_NS6detail17trampoline_kernelINS0_14default_configENS1_20scan_config_selectorIdEEZZNS1_9scan_implILNS1_25lookback_scan_determinismE0ELb1ELb1ES3_N6thrust23THRUST_200600_302600_NS6detail15normal_iteratorINS9_10device_ptrIdEEEESE_d11max_functorIdEdEEDaPvRmT3_T4_T5_mT6_P12ihipStream_tbENKUlT_T0_E_clISt17integral_constantIbLb0EEST_IbLb1EEEEDaSP_SQ_EUlSP_E_NS1_11comp_targetILNS1_3genE9ELNS1_11target_archE1100ELNS1_3gpuE3ELNS1_3repE0EEENS1_30default_config_static_selectorELNS0_4arch9wavefront6targetE1EEEvT1_ ; -- Begin function _ZN7rocprim17ROCPRIM_400000_NS6detail17trampoline_kernelINS0_14default_configENS1_20scan_config_selectorIdEEZZNS1_9scan_implILNS1_25lookback_scan_determinismE0ELb1ELb1ES3_N6thrust23THRUST_200600_302600_NS6detail15normal_iteratorINS9_10device_ptrIdEEEESE_d11max_functorIdEdEEDaPvRmT3_T4_T5_mT6_P12ihipStream_tbENKUlT_T0_E_clISt17integral_constantIbLb0EEST_IbLb1EEEEDaSP_SQ_EUlSP_E_NS1_11comp_targetILNS1_3genE9ELNS1_11target_archE1100ELNS1_3gpuE3ELNS1_3repE0EEENS1_30default_config_static_selectorELNS0_4arch9wavefront6targetE1EEEvT1_
	.globl	_ZN7rocprim17ROCPRIM_400000_NS6detail17trampoline_kernelINS0_14default_configENS1_20scan_config_selectorIdEEZZNS1_9scan_implILNS1_25lookback_scan_determinismE0ELb1ELb1ES3_N6thrust23THRUST_200600_302600_NS6detail15normal_iteratorINS9_10device_ptrIdEEEESE_d11max_functorIdEdEEDaPvRmT3_T4_T5_mT6_P12ihipStream_tbENKUlT_T0_E_clISt17integral_constantIbLb0EEST_IbLb1EEEEDaSP_SQ_EUlSP_E_NS1_11comp_targetILNS1_3genE9ELNS1_11target_archE1100ELNS1_3gpuE3ELNS1_3repE0EEENS1_30default_config_static_selectorELNS0_4arch9wavefront6targetE1EEEvT1_
	.p2align	8
	.type	_ZN7rocprim17ROCPRIM_400000_NS6detail17trampoline_kernelINS0_14default_configENS1_20scan_config_selectorIdEEZZNS1_9scan_implILNS1_25lookback_scan_determinismE0ELb1ELb1ES3_N6thrust23THRUST_200600_302600_NS6detail15normal_iteratorINS9_10device_ptrIdEEEESE_d11max_functorIdEdEEDaPvRmT3_T4_T5_mT6_P12ihipStream_tbENKUlT_T0_E_clISt17integral_constantIbLb0EEST_IbLb1EEEEDaSP_SQ_EUlSP_E_NS1_11comp_targetILNS1_3genE9ELNS1_11target_archE1100ELNS1_3gpuE3ELNS1_3repE0EEENS1_30default_config_static_selectorELNS0_4arch9wavefront6targetE1EEEvT1_,@function
_ZN7rocprim17ROCPRIM_400000_NS6detail17trampoline_kernelINS0_14default_configENS1_20scan_config_selectorIdEEZZNS1_9scan_implILNS1_25lookback_scan_determinismE0ELb1ELb1ES3_N6thrust23THRUST_200600_302600_NS6detail15normal_iteratorINS9_10device_ptrIdEEEESE_d11max_functorIdEdEEDaPvRmT3_T4_T5_mT6_P12ihipStream_tbENKUlT_T0_E_clISt17integral_constantIbLb0EEST_IbLb1EEEEDaSP_SQ_EUlSP_E_NS1_11comp_targetILNS1_3genE9ELNS1_11target_archE1100ELNS1_3gpuE3ELNS1_3repE0EEENS1_30default_config_static_selectorELNS0_4arch9wavefront6targetE1EEEvT1_: ; @_ZN7rocprim17ROCPRIM_400000_NS6detail17trampoline_kernelINS0_14default_configENS1_20scan_config_selectorIdEEZZNS1_9scan_implILNS1_25lookback_scan_determinismE0ELb1ELb1ES3_N6thrust23THRUST_200600_302600_NS6detail15normal_iteratorINS9_10device_ptrIdEEEESE_d11max_functorIdEdEEDaPvRmT3_T4_T5_mT6_P12ihipStream_tbENKUlT_T0_E_clISt17integral_constantIbLb0EEST_IbLb1EEEEDaSP_SQ_EUlSP_E_NS1_11comp_targetILNS1_3genE9ELNS1_11target_archE1100ELNS1_3gpuE3ELNS1_3repE0EEENS1_30default_config_static_selectorELNS0_4arch9wavefront6targetE1EEEvT1_
; %bb.0:
	.section	.rodata,"a",@progbits
	.p2align	6, 0x0
	.amdhsa_kernel _ZN7rocprim17ROCPRIM_400000_NS6detail17trampoline_kernelINS0_14default_configENS1_20scan_config_selectorIdEEZZNS1_9scan_implILNS1_25lookback_scan_determinismE0ELb1ELb1ES3_N6thrust23THRUST_200600_302600_NS6detail15normal_iteratorINS9_10device_ptrIdEEEESE_d11max_functorIdEdEEDaPvRmT3_T4_T5_mT6_P12ihipStream_tbENKUlT_T0_E_clISt17integral_constantIbLb0EEST_IbLb1EEEEDaSP_SQ_EUlSP_E_NS1_11comp_targetILNS1_3genE9ELNS1_11target_archE1100ELNS1_3gpuE3ELNS1_3repE0EEENS1_30default_config_static_selectorELNS0_4arch9wavefront6targetE1EEEvT1_
		.amdhsa_group_segment_fixed_size 0
		.amdhsa_private_segment_fixed_size 0
		.amdhsa_kernarg_size 104
		.amdhsa_user_sgpr_count 6
		.amdhsa_user_sgpr_private_segment_buffer 1
		.amdhsa_user_sgpr_dispatch_ptr 0
		.amdhsa_user_sgpr_queue_ptr 0
		.amdhsa_user_sgpr_kernarg_segment_ptr 1
		.amdhsa_user_sgpr_dispatch_id 0
		.amdhsa_user_sgpr_flat_scratch_init 0
		.amdhsa_user_sgpr_kernarg_preload_length 0
		.amdhsa_user_sgpr_kernarg_preload_offset 0
		.amdhsa_user_sgpr_private_segment_size 0
		.amdhsa_uses_dynamic_stack 0
		.amdhsa_system_sgpr_private_segment_wavefront_offset 0
		.amdhsa_system_sgpr_workgroup_id_x 1
		.amdhsa_system_sgpr_workgroup_id_y 0
		.amdhsa_system_sgpr_workgroup_id_z 0
		.amdhsa_system_sgpr_workgroup_info 0
		.amdhsa_system_vgpr_workitem_id 0
		.amdhsa_next_free_vgpr 1
		.amdhsa_next_free_sgpr 0
		.amdhsa_accum_offset 4
		.amdhsa_reserve_vcc 0
		.amdhsa_reserve_flat_scratch 0
		.amdhsa_float_round_mode_32 0
		.amdhsa_float_round_mode_16_64 0
		.amdhsa_float_denorm_mode_32 3
		.amdhsa_float_denorm_mode_16_64 3
		.amdhsa_dx10_clamp 1
		.amdhsa_ieee_mode 1
		.amdhsa_fp16_overflow 0
		.amdhsa_tg_split 0
		.amdhsa_exception_fp_ieee_invalid_op 0
		.amdhsa_exception_fp_denorm_src 0
		.amdhsa_exception_fp_ieee_div_zero 0
		.amdhsa_exception_fp_ieee_overflow 0
		.amdhsa_exception_fp_ieee_underflow 0
		.amdhsa_exception_fp_ieee_inexact 0
		.amdhsa_exception_int_div_zero 0
	.end_amdhsa_kernel
	.section	.text._ZN7rocprim17ROCPRIM_400000_NS6detail17trampoline_kernelINS0_14default_configENS1_20scan_config_selectorIdEEZZNS1_9scan_implILNS1_25lookback_scan_determinismE0ELb1ELb1ES3_N6thrust23THRUST_200600_302600_NS6detail15normal_iteratorINS9_10device_ptrIdEEEESE_d11max_functorIdEdEEDaPvRmT3_T4_T5_mT6_P12ihipStream_tbENKUlT_T0_E_clISt17integral_constantIbLb0EEST_IbLb1EEEEDaSP_SQ_EUlSP_E_NS1_11comp_targetILNS1_3genE9ELNS1_11target_archE1100ELNS1_3gpuE3ELNS1_3repE0EEENS1_30default_config_static_selectorELNS0_4arch9wavefront6targetE1EEEvT1_,"axG",@progbits,_ZN7rocprim17ROCPRIM_400000_NS6detail17trampoline_kernelINS0_14default_configENS1_20scan_config_selectorIdEEZZNS1_9scan_implILNS1_25lookback_scan_determinismE0ELb1ELb1ES3_N6thrust23THRUST_200600_302600_NS6detail15normal_iteratorINS9_10device_ptrIdEEEESE_d11max_functorIdEdEEDaPvRmT3_T4_T5_mT6_P12ihipStream_tbENKUlT_T0_E_clISt17integral_constantIbLb0EEST_IbLb1EEEEDaSP_SQ_EUlSP_E_NS1_11comp_targetILNS1_3genE9ELNS1_11target_archE1100ELNS1_3gpuE3ELNS1_3repE0EEENS1_30default_config_static_selectorELNS0_4arch9wavefront6targetE1EEEvT1_,comdat
.Lfunc_end1932:
	.size	_ZN7rocprim17ROCPRIM_400000_NS6detail17trampoline_kernelINS0_14default_configENS1_20scan_config_selectorIdEEZZNS1_9scan_implILNS1_25lookback_scan_determinismE0ELb1ELb1ES3_N6thrust23THRUST_200600_302600_NS6detail15normal_iteratorINS9_10device_ptrIdEEEESE_d11max_functorIdEdEEDaPvRmT3_T4_T5_mT6_P12ihipStream_tbENKUlT_T0_E_clISt17integral_constantIbLb0EEST_IbLb1EEEEDaSP_SQ_EUlSP_E_NS1_11comp_targetILNS1_3genE9ELNS1_11target_archE1100ELNS1_3gpuE3ELNS1_3repE0EEENS1_30default_config_static_selectorELNS0_4arch9wavefront6targetE1EEEvT1_, .Lfunc_end1932-_ZN7rocprim17ROCPRIM_400000_NS6detail17trampoline_kernelINS0_14default_configENS1_20scan_config_selectorIdEEZZNS1_9scan_implILNS1_25lookback_scan_determinismE0ELb1ELb1ES3_N6thrust23THRUST_200600_302600_NS6detail15normal_iteratorINS9_10device_ptrIdEEEESE_d11max_functorIdEdEEDaPvRmT3_T4_T5_mT6_P12ihipStream_tbENKUlT_T0_E_clISt17integral_constantIbLb0EEST_IbLb1EEEEDaSP_SQ_EUlSP_E_NS1_11comp_targetILNS1_3genE9ELNS1_11target_archE1100ELNS1_3gpuE3ELNS1_3repE0EEENS1_30default_config_static_selectorELNS0_4arch9wavefront6targetE1EEEvT1_
                                        ; -- End function
	.section	.AMDGPU.csdata,"",@progbits
; Kernel info:
; codeLenInByte = 0
; NumSgprs: 4
; NumVgprs: 0
; NumAgprs: 0
; TotalNumVgprs: 0
; ScratchSize: 0
; MemoryBound: 0
; FloatMode: 240
; IeeeMode: 1
; LDSByteSize: 0 bytes/workgroup (compile time only)
; SGPRBlocks: 0
; VGPRBlocks: 0
; NumSGPRsForWavesPerEU: 4
; NumVGPRsForWavesPerEU: 1
; AccumOffset: 4
; Occupancy: 8
; WaveLimiterHint : 0
; COMPUTE_PGM_RSRC2:SCRATCH_EN: 0
; COMPUTE_PGM_RSRC2:USER_SGPR: 6
; COMPUTE_PGM_RSRC2:TRAP_HANDLER: 0
; COMPUTE_PGM_RSRC2:TGID_X_EN: 1
; COMPUTE_PGM_RSRC2:TGID_Y_EN: 0
; COMPUTE_PGM_RSRC2:TGID_Z_EN: 0
; COMPUTE_PGM_RSRC2:TIDIG_COMP_CNT: 0
; COMPUTE_PGM_RSRC3_GFX90A:ACCUM_OFFSET: 0
; COMPUTE_PGM_RSRC3_GFX90A:TG_SPLIT: 0
	.section	.text._ZN7rocprim17ROCPRIM_400000_NS6detail17trampoline_kernelINS0_14default_configENS1_20scan_config_selectorIdEEZZNS1_9scan_implILNS1_25lookback_scan_determinismE0ELb1ELb1ES3_N6thrust23THRUST_200600_302600_NS6detail15normal_iteratorINS9_10device_ptrIdEEEESE_d11max_functorIdEdEEDaPvRmT3_T4_T5_mT6_P12ihipStream_tbENKUlT_T0_E_clISt17integral_constantIbLb0EEST_IbLb1EEEEDaSP_SQ_EUlSP_E_NS1_11comp_targetILNS1_3genE8ELNS1_11target_archE1030ELNS1_3gpuE2ELNS1_3repE0EEENS1_30default_config_static_selectorELNS0_4arch9wavefront6targetE1EEEvT1_,"axG",@progbits,_ZN7rocprim17ROCPRIM_400000_NS6detail17trampoline_kernelINS0_14default_configENS1_20scan_config_selectorIdEEZZNS1_9scan_implILNS1_25lookback_scan_determinismE0ELb1ELb1ES3_N6thrust23THRUST_200600_302600_NS6detail15normal_iteratorINS9_10device_ptrIdEEEESE_d11max_functorIdEdEEDaPvRmT3_T4_T5_mT6_P12ihipStream_tbENKUlT_T0_E_clISt17integral_constantIbLb0EEST_IbLb1EEEEDaSP_SQ_EUlSP_E_NS1_11comp_targetILNS1_3genE8ELNS1_11target_archE1030ELNS1_3gpuE2ELNS1_3repE0EEENS1_30default_config_static_selectorELNS0_4arch9wavefront6targetE1EEEvT1_,comdat
	.protected	_ZN7rocprim17ROCPRIM_400000_NS6detail17trampoline_kernelINS0_14default_configENS1_20scan_config_selectorIdEEZZNS1_9scan_implILNS1_25lookback_scan_determinismE0ELb1ELb1ES3_N6thrust23THRUST_200600_302600_NS6detail15normal_iteratorINS9_10device_ptrIdEEEESE_d11max_functorIdEdEEDaPvRmT3_T4_T5_mT6_P12ihipStream_tbENKUlT_T0_E_clISt17integral_constantIbLb0EEST_IbLb1EEEEDaSP_SQ_EUlSP_E_NS1_11comp_targetILNS1_3genE8ELNS1_11target_archE1030ELNS1_3gpuE2ELNS1_3repE0EEENS1_30default_config_static_selectorELNS0_4arch9wavefront6targetE1EEEvT1_ ; -- Begin function _ZN7rocprim17ROCPRIM_400000_NS6detail17trampoline_kernelINS0_14default_configENS1_20scan_config_selectorIdEEZZNS1_9scan_implILNS1_25lookback_scan_determinismE0ELb1ELb1ES3_N6thrust23THRUST_200600_302600_NS6detail15normal_iteratorINS9_10device_ptrIdEEEESE_d11max_functorIdEdEEDaPvRmT3_T4_T5_mT6_P12ihipStream_tbENKUlT_T0_E_clISt17integral_constantIbLb0EEST_IbLb1EEEEDaSP_SQ_EUlSP_E_NS1_11comp_targetILNS1_3genE8ELNS1_11target_archE1030ELNS1_3gpuE2ELNS1_3repE0EEENS1_30default_config_static_selectorELNS0_4arch9wavefront6targetE1EEEvT1_
	.globl	_ZN7rocprim17ROCPRIM_400000_NS6detail17trampoline_kernelINS0_14default_configENS1_20scan_config_selectorIdEEZZNS1_9scan_implILNS1_25lookback_scan_determinismE0ELb1ELb1ES3_N6thrust23THRUST_200600_302600_NS6detail15normal_iteratorINS9_10device_ptrIdEEEESE_d11max_functorIdEdEEDaPvRmT3_T4_T5_mT6_P12ihipStream_tbENKUlT_T0_E_clISt17integral_constantIbLb0EEST_IbLb1EEEEDaSP_SQ_EUlSP_E_NS1_11comp_targetILNS1_3genE8ELNS1_11target_archE1030ELNS1_3gpuE2ELNS1_3repE0EEENS1_30default_config_static_selectorELNS0_4arch9wavefront6targetE1EEEvT1_
	.p2align	8
	.type	_ZN7rocprim17ROCPRIM_400000_NS6detail17trampoline_kernelINS0_14default_configENS1_20scan_config_selectorIdEEZZNS1_9scan_implILNS1_25lookback_scan_determinismE0ELb1ELb1ES3_N6thrust23THRUST_200600_302600_NS6detail15normal_iteratorINS9_10device_ptrIdEEEESE_d11max_functorIdEdEEDaPvRmT3_T4_T5_mT6_P12ihipStream_tbENKUlT_T0_E_clISt17integral_constantIbLb0EEST_IbLb1EEEEDaSP_SQ_EUlSP_E_NS1_11comp_targetILNS1_3genE8ELNS1_11target_archE1030ELNS1_3gpuE2ELNS1_3repE0EEENS1_30default_config_static_selectorELNS0_4arch9wavefront6targetE1EEEvT1_,@function
_ZN7rocprim17ROCPRIM_400000_NS6detail17trampoline_kernelINS0_14default_configENS1_20scan_config_selectorIdEEZZNS1_9scan_implILNS1_25lookback_scan_determinismE0ELb1ELb1ES3_N6thrust23THRUST_200600_302600_NS6detail15normal_iteratorINS9_10device_ptrIdEEEESE_d11max_functorIdEdEEDaPvRmT3_T4_T5_mT6_P12ihipStream_tbENKUlT_T0_E_clISt17integral_constantIbLb0EEST_IbLb1EEEEDaSP_SQ_EUlSP_E_NS1_11comp_targetILNS1_3genE8ELNS1_11target_archE1030ELNS1_3gpuE2ELNS1_3repE0EEENS1_30default_config_static_selectorELNS0_4arch9wavefront6targetE1EEEvT1_: ; @_ZN7rocprim17ROCPRIM_400000_NS6detail17trampoline_kernelINS0_14default_configENS1_20scan_config_selectorIdEEZZNS1_9scan_implILNS1_25lookback_scan_determinismE0ELb1ELb1ES3_N6thrust23THRUST_200600_302600_NS6detail15normal_iteratorINS9_10device_ptrIdEEEESE_d11max_functorIdEdEEDaPvRmT3_T4_T5_mT6_P12ihipStream_tbENKUlT_T0_E_clISt17integral_constantIbLb0EEST_IbLb1EEEEDaSP_SQ_EUlSP_E_NS1_11comp_targetILNS1_3genE8ELNS1_11target_archE1030ELNS1_3gpuE2ELNS1_3repE0EEENS1_30default_config_static_selectorELNS0_4arch9wavefront6targetE1EEEvT1_
; %bb.0:
	.section	.rodata,"a",@progbits
	.p2align	6, 0x0
	.amdhsa_kernel _ZN7rocprim17ROCPRIM_400000_NS6detail17trampoline_kernelINS0_14default_configENS1_20scan_config_selectorIdEEZZNS1_9scan_implILNS1_25lookback_scan_determinismE0ELb1ELb1ES3_N6thrust23THRUST_200600_302600_NS6detail15normal_iteratorINS9_10device_ptrIdEEEESE_d11max_functorIdEdEEDaPvRmT3_T4_T5_mT6_P12ihipStream_tbENKUlT_T0_E_clISt17integral_constantIbLb0EEST_IbLb1EEEEDaSP_SQ_EUlSP_E_NS1_11comp_targetILNS1_3genE8ELNS1_11target_archE1030ELNS1_3gpuE2ELNS1_3repE0EEENS1_30default_config_static_selectorELNS0_4arch9wavefront6targetE1EEEvT1_
		.amdhsa_group_segment_fixed_size 0
		.amdhsa_private_segment_fixed_size 0
		.amdhsa_kernarg_size 104
		.amdhsa_user_sgpr_count 6
		.amdhsa_user_sgpr_private_segment_buffer 1
		.amdhsa_user_sgpr_dispatch_ptr 0
		.amdhsa_user_sgpr_queue_ptr 0
		.amdhsa_user_sgpr_kernarg_segment_ptr 1
		.amdhsa_user_sgpr_dispatch_id 0
		.amdhsa_user_sgpr_flat_scratch_init 0
		.amdhsa_user_sgpr_kernarg_preload_length 0
		.amdhsa_user_sgpr_kernarg_preload_offset 0
		.amdhsa_user_sgpr_private_segment_size 0
		.amdhsa_uses_dynamic_stack 0
		.amdhsa_system_sgpr_private_segment_wavefront_offset 0
		.amdhsa_system_sgpr_workgroup_id_x 1
		.amdhsa_system_sgpr_workgroup_id_y 0
		.amdhsa_system_sgpr_workgroup_id_z 0
		.amdhsa_system_sgpr_workgroup_info 0
		.amdhsa_system_vgpr_workitem_id 0
		.amdhsa_next_free_vgpr 1
		.amdhsa_next_free_sgpr 0
		.amdhsa_accum_offset 4
		.amdhsa_reserve_vcc 0
		.amdhsa_reserve_flat_scratch 0
		.amdhsa_float_round_mode_32 0
		.amdhsa_float_round_mode_16_64 0
		.amdhsa_float_denorm_mode_32 3
		.amdhsa_float_denorm_mode_16_64 3
		.amdhsa_dx10_clamp 1
		.amdhsa_ieee_mode 1
		.amdhsa_fp16_overflow 0
		.amdhsa_tg_split 0
		.amdhsa_exception_fp_ieee_invalid_op 0
		.amdhsa_exception_fp_denorm_src 0
		.amdhsa_exception_fp_ieee_div_zero 0
		.amdhsa_exception_fp_ieee_overflow 0
		.amdhsa_exception_fp_ieee_underflow 0
		.amdhsa_exception_fp_ieee_inexact 0
		.amdhsa_exception_int_div_zero 0
	.end_amdhsa_kernel
	.section	.text._ZN7rocprim17ROCPRIM_400000_NS6detail17trampoline_kernelINS0_14default_configENS1_20scan_config_selectorIdEEZZNS1_9scan_implILNS1_25lookback_scan_determinismE0ELb1ELb1ES3_N6thrust23THRUST_200600_302600_NS6detail15normal_iteratorINS9_10device_ptrIdEEEESE_d11max_functorIdEdEEDaPvRmT3_T4_T5_mT6_P12ihipStream_tbENKUlT_T0_E_clISt17integral_constantIbLb0EEST_IbLb1EEEEDaSP_SQ_EUlSP_E_NS1_11comp_targetILNS1_3genE8ELNS1_11target_archE1030ELNS1_3gpuE2ELNS1_3repE0EEENS1_30default_config_static_selectorELNS0_4arch9wavefront6targetE1EEEvT1_,"axG",@progbits,_ZN7rocprim17ROCPRIM_400000_NS6detail17trampoline_kernelINS0_14default_configENS1_20scan_config_selectorIdEEZZNS1_9scan_implILNS1_25lookback_scan_determinismE0ELb1ELb1ES3_N6thrust23THRUST_200600_302600_NS6detail15normal_iteratorINS9_10device_ptrIdEEEESE_d11max_functorIdEdEEDaPvRmT3_T4_T5_mT6_P12ihipStream_tbENKUlT_T0_E_clISt17integral_constantIbLb0EEST_IbLb1EEEEDaSP_SQ_EUlSP_E_NS1_11comp_targetILNS1_3genE8ELNS1_11target_archE1030ELNS1_3gpuE2ELNS1_3repE0EEENS1_30default_config_static_selectorELNS0_4arch9wavefront6targetE1EEEvT1_,comdat
.Lfunc_end1933:
	.size	_ZN7rocprim17ROCPRIM_400000_NS6detail17trampoline_kernelINS0_14default_configENS1_20scan_config_selectorIdEEZZNS1_9scan_implILNS1_25lookback_scan_determinismE0ELb1ELb1ES3_N6thrust23THRUST_200600_302600_NS6detail15normal_iteratorINS9_10device_ptrIdEEEESE_d11max_functorIdEdEEDaPvRmT3_T4_T5_mT6_P12ihipStream_tbENKUlT_T0_E_clISt17integral_constantIbLb0EEST_IbLb1EEEEDaSP_SQ_EUlSP_E_NS1_11comp_targetILNS1_3genE8ELNS1_11target_archE1030ELNS1_3gpuE2ELNS1_3repE0EEENS1_30default_config_static_selectorELNS0_4arch9wavefront6targetE1EEEvT1_, .Lfunc_end1933-_ZN7rocprim17ROCPRIM_400000_NS6detail17trampoline_kernelINS0_14default_configENS1_20scan_config_selectorIdEEZZNS1_9scan_implILNS1_25lookback_scan_determinismE0ELb1ELb1ES3_N6thrust23THRUST_200600_302600_NS6detail15normal_iteratorINS9_10device_ptrIdEEEESE_d11max_functorIdEdEEDaPvRmT3_T4_T5_mT6_P12ihipStream_tbENKUlT_T0_E_clISt17integral_constantIbLb0EEST_IbLb1EEEEDaSP_SQ_EUlSP_E_NS1_11comp_targetILNS1_3genE8ELNS1_11target_archE1030ELNS1_3gpuE2ELNS1_3repE0EEENS1_30default_config_static_selectorELNS0_4arch9wavefront6targetE1EEEvT1_
                                        ; -- End function
	.section	.AMDGPU.csdata,"",@progbits
; Kernel info:
; codeLenInByte = 0
; NumSgprs: 4
; NumVgprs: 0
; NumAgprs: 0
; TotalNumVgprs: 0
; ScratchSize: 0
; MemoryBound: 0
; FloatMode: 240
; IeeeMode: 1
; LDSByteSize: 0 bytes/workgroup (compile time only)
; SGPRBlocks: 0
; VGPRBlocks: 0
; NumSGPRsForWavesPerEU: 4
; NumVGPRsForWavesPerEU: 1
; AccumOffset: 4
; Occupancy: 8
; WaveLimiterHint : 0
; COMPUTE_PGM_RSRC2:SCRATCH_EN: 0
; COMPUTE_PGM_RSRC2:USER_SGPR: 6
; COMPUTE_PGM_RSRC2:TRAP_HANDLER: 0
; COMPUTE_PGM_RSRC2:TGID_X_EN: 1
; COMPUTE_PGM_RSRC2:TGID_Y_EN: 0
; COMPUTE_PGM_RSRC2:TGID_Z_EN: 0
; COMPUTE_PGM_RSRC2:TIDIG_COMP_CNT: 0
; COMPUTE_PGM_RSRC3_GFX90A:ACCUM_OFFSET: 0
; COMPUTE_PGM_RSRC3_GFX90A:TG_SPLIT: 0
	.section	.text._ZN7rocprim17ROCPRIM_400000_NS6detail17trampoline_kernelINS0_14default_configENS1_20scan_config_selectorIdEEZZNS1_9scan_implILNS1_25lookback_scan_determinismE0ELb1ELb1ES3_N6thrust23THRUST_200600_302600_NS6detail15normal_iteratorINS9_10device_ptrIdEEEESE_d11max_functorIdEdEEDaPvRmT3_T4_T5_mT6_P12ihipStream_tbENKUlT_T0_E_clISt17integral_constantIbLb0EEST_IbLb1EEEEDaSP_SQ_EUlSP_E0_NS1_11comp_targetILNS1_3genE0ELNS1_11target_archE4294967295ELNS1_3gpuE0ELNS1_3repE0EEENS1_30default_config_static_selectorELNS0_4arch9wavefront6targetE1EEEvT1_,"axG",@progbits,_ZN7rocprim17ROCPRIM_400000_NS6detail17trampoline_kernelINS0_14default_configENS1_20scan_config_selectorIdEEZZNS1_9scan_implILNS1_25lookback_scan_determinismE0ELb1ELb1ES3_N6thrust23THRUST_200600_302600_NS6detail15normal_iteratorINS9_10device_ptrIdEEEESE_d11max_functorIdEdEEDaPvRmT3_T4_T5_mT6_P12ihipStream_tbENKUlT_T0_E_clISt17integral_constantIbLb0EEST_IbLb1EEEEDaSP_SQ_EUlSP_E0_NS1_11comp_targetILNS1_3genE0ELNS1_11target_archE4294967295ELNS1_3gpuE0ELNS1_3repE0EEENS1_30default_config_static_selectorELNS0_4arch9wavefront6targetE1EEEvT1_,comdat
	.protected	_ZN7rocprim17ROCPRIM_400000_NS6detail17trampoline_kernelINS0_14default_configENS1_20scan_config_selectorIdEEZZNS1_9scan_implILNS1_25lookback_scan_determinismE0ELb1ELb1ES3_N6thrust23THRUST_200600_302600_NS6detail15normal_iteratorINS9_10device_ptrIdEEEESE_d11max_functorIdEdEEDaPvRmT3_T4_T5_mT6_P12ihipStream_tbENKUlT_T0_E_clISt17integral_constantIbLb0EEST_IbLb1EEEEDaSP_SQ_EUlSP_E0_NS1_11comp_targetILNS1_3genE0ELNS1_11target_archE4294967295ELNS1_3gpuE0ELNS1_3repE0EEENS1_30default_config_static_selectorELNS0_4arch9wavefront6targetE1EEEvT1_ ; -- Begin function _ZN7rocprim17ROCPRIM_400000_NS6detail17trampoline_kernelINS0_14default_configENS1_20scan_config_selectorIdEEZZNS1_9scan_implILNS1_25lookback_scan_determinismE0ELb1ELb1ES3_N6thrust23THRUST_200600_302600_NS6detail15normal_iteratorINS9_10device_ptrIdEEEESE_d11max_functorIdEdEEDaPvRmT3_T4_T5_mT6_P12ihipStream_tbENKUlT_T0_E_clISt17integral_constantIbLb0EEST_IbLb1EEEEDaSP_SQ_EUlSP_E0_NS1_11comp_targetILNS1_3genE0ELNS1_11target_archE4294967295ELNS1_3gpuE0ELNS1_3repE0EEENS1_30default_config_static_selectorELNS0_4arch9wavefront6targetE1EEEvT1_
	.globl	_ZN7rocprim17ROCPRIM_400000_NS6detail17trampoline_kernelINS0_14default_configENS1_20scan_config_selectorIdEEZZNS1_9scan_implILNS1_25lookback_scan_determinismE0ELb1ELb1ES3_N6thrust23THRUST_200600_302600_NS6detail15normal_iteratorINS9_10device_ptrIdEEEESE_d11max_functorIdEdEEDaPvRmT3_T4_T5_mT6_P12ihipStream_tbENKUlT_T0_E_clISt17integral_constantIbLb0EEST_IbLb1EEEEDaSP_SQ_EUlSP_E0_NS1_11comp_targetILNS1_3genE0ELNS1_11target_archE4294967295ELNS1_3gpuE0ELNS1_3repE0EEENS1_30default_config_static_selectorELNS0_4arch9wavefront6targetE1EEEvT1_
	.p2align	8
	.type	_ZN7rocprim17ROCPRIM_400000_NS6detail17trampoline_kernelINS0_14default_configENS1_20scan_config_selectorIdEEZZNS1_9scan_implILNS1_25lookback_scan_determinismE0ELb1ELb1ES3_N6thrust23THRUST_200600_302600_NS6detail15normal_iteratorINS9_10device_ptrIdEEEESE_d11max_functorIdEdEEDaPvRmT3_T4_T5_mT6_P12ihipStream_tbENKUlT_T0_E_clISt17integral_constantIbLb0EEST_IbLb1EEEEDaSP_SQ_EUlSP_E0_NS1_11comp_targetILNS1_3genE0ELNS1_11target_archE4294967295ELNS1_3gpuE0ELNS1_3repE0EEENS1_30default_config_static_selectorELNS0_4arch9wavefront6targetE1EEEvT1_,@function
_ZN7rocprim17ROCPRIM_400000_NS6detail17trampoline_kernelINS0_14default_configENS1_20scan_config_selectorIdEEZZNS1_9scan_implILNS1_25lookback_scan_determinismE0ELb1ELb1ES3_N6thrust23THRUST_200600_302600_NS6detail15normal_iteratorINS9_10device_ptrIdEEEESE_d11max_functorIdEdEEDaPvRmT3_T4_T5_mT6_P12ihipStream_tbENKUlT_T0_E_clISt17integral_constantIbLb0EEST_IbLb1EEEEDaSP_SQ_EUlSP_E0_NS1_11comp_targetILNS1_3genE0ELNS1_11target_archE4294967295ELNS1_3gpuE0ELNS1_3repE0EEENS1_30default_config_static_selectorELNS0_4arch9wavefront6targetE1EEEvT1_: ; @_ZN7rocprim17ROCPRIM_400000_NS6detail17trampoline_kernelINS0_14default_configENS1_20scan_config_selectorIdEEZZNS1_9scan_implILNS1_25lookback_scan_determinismE0ELb1ELb1ES3_N6thrust23THRUST_200600_302600_NS6detail15normal_iteratorINS9_10device_ptrIdEEEESE_d11max_functorIdEdEEDaPvRmT3_T4_T5_mT6_P12ihipStream_tbENKUlT_T0_E_clISt17integral_constantIbLb0EEST_IbLb1EEEEDaSP_SQ_EUlSP_E0_NS1_11comp_targetILNS1_3genE0ELNS1_11target_archE4294967295ELNS1_3gpuE0ELNS1_3repE0EEENS1_30default_config_static_selectorELNS0_4arch9wavefront6targetE1EEEvT1_
; %bb.0:
	.section	.rodata,"a",@progbits
	.p2align	6, 0x0
	.amdhsa_kernel _ZN7rocprim17ROCPRIM_400000_NS6detail17trampoline_kernelINS0_14default_configENS1_20scan_config_selectorIdEEZZNS1_9scan_implILNS1_25lookback_scan_determinismE0ELb1ELb1ES3_N6thrust23THRUST_200600_302600_NS6detail15normal_iteratorINS9_10device_ptrIdEEEESE_d11max_functorIdEdEEDaPvRmT3_T4_T5_mT6_P12ihipStream_tbENKUlT_T0_E_clISt17integral_constantIbLb0EEST_IbLb1EEEEDaSP_SQ_EUlSP_E0_NS1_11comp_targetILNS1_3genE0ELNS1_11target_archE4294967295ELNS1_3gpuE0ELNS1_3repE0EEENS1_30default_config_static_selectorELNS0_4arch9wavefront6targetE1EEEvT1_
		.amdhsa_group_segment_fixed_size 0
		.amdhsa_private_segment_fixed_size 0
		.amdhsa_kernarg_size 40
		.amdhsa_user_sgpr_count 6
		.amdhsa_user_sgpr_private_segment_buffer 1
		.amdhsa_user_sgpr_dispatch_ptr 0
		.amdhsa_user_sgpr_queue_ptr 0
		.amdhsa_user_sgpr_kernarg_segment_ptr 1
		.amdhsa_user_sgpr_dispatch_id 0
		.amdhsa_user_sgpr_flat_scratch_init 0
		.amdhsa_user_sgpr_kernarg_preload_length 0
		.amdhsa_user_sgpr_kernarg_preload_offset 0
		.amdhsa_user_sgpr_private_segment_size 0
		.amdhsa_uses_dynamic_stack 0
		.amdhsa_system_sgpr_private_segment_wavefront_offset 0
		.amdhsa_system_sgpr_workgroup_id_x 1
		.amdhsa_system_sgpr_workgroup_id_y 0
		.amdhsa_system_sgpr_workgroup_id_z 0
		.amdhsa_system_sgpr_workgroup_info 0
		.amdhsa_system_vgpr_workitem_id 0
		.amdhsa_next_free_vgpr 1
		.amdhsa_next_free_sgpr 0
		.amdhsa_accum_offset 4
		.amdhsa_reserve_vcc 0
		.amdhsa_reserve_flat_scratch 0
		.amdhsa_float_round_mode_32 0
		.amdhsa_float_round_mode_16_64 0
		.amdhsa_float_denorm_mode_32 3
		.amdhsa_float_denorm_mode_16_64 3
		.amdhsa_dx10_clamp 1
		.amdhsa_ieee_mode 1
		.amdhsa_fp16_overflow 0
		.amdhsa_tg_split 0
		.amdhsa_exception_fp_ieee_invalid_op 0
		.amdhsa_exception_fp_denorm_src 0
		.amdhsa_exception_fp_ieee_div_zero 0
		.amdhsa_exception_fp_ieee_overflow 0
		.amdhsa_exception_fp_ieee_underflow 0
		.amdhsa_exception_fp_ieee_inexact 0
		.amdhsa_exception_int_div_zero 0
	.end_amdhsa_kernel
	.section	.text._ZN7rocprim17ROCPRIM_400000_NS6detail17trampoline_kernelINS0_14default_configENS1_20scan_config_selectorIdEEZZNS1_9scan_implILNS1_25lookback_scan_determinismE0ELb1ELb1ES3_N6thrust23THRUST_200600_302600_NS6detail15normal_iteratorINS9_10device_ptrIdEEEESE_d11max_functorIdEdEEDaPvRmT3_T4_T5_mT6_P12ihipStream_tbENKUlT_T0_E_clISt17integral_constantIbLb0EEST_IbLb1EEEEDaSP_SQ_EUlSP_E0_NS1_11comp_targetILNS1_3genE0ELNS1_11target_archE4294967295ELNS1_3gpuE0ELNS1_3repE0EEENS1_30default_config_static_selectorELNS0_4arch9wavefront6targetE1EEEvT1_,"axG",@progbits,_ZN7rocprim17ROCPRIM_400000_NS6detail17trampoline_kernelINS0_14default_configENS1_20scan_config_selectorIdEEZZNS1_9scan_implILNS1_25lookback_scan_determinismE0ELb1ELb1ES3_N6thrust23THRUST_200600_302600_NS6detail15normal_iteratorINS9_10device_ptrIdEEEESE_d11max_functorIdEdEEDaPvRmT3_T4_T5_mT6_P12ihipStream_tbENKUlT_T0_E_clISt17integral_constantIbLb0EEST_IbLb1EEEEDaSP_SQ_EUlSP_E0_NS1_11comp_targetILNS1_3genE0ELNS1_11target_archE4294967295ELNS1_3gpuE0ELNS1_3repE0EEENS1_30default_config_static_selectorELNS0_4arch9wavefront6targetE1EEEvT1_,comdat
.Lfunc_end1934:
	.size	_ZN7rocprim17ROCPRIM_400000_NS6detail17trampoline_kernelINS0_14default_configENS1_20scan_config_selectorIdEEZZNS1_9scan_implILNS1_25lookback_scan_determinismE0ELb1ELb1ES3_N6thrust23THRUST_200600_302600_NS6detail15normal_iteratorINS9_10device_ptrIdEEEESE_d11max_functorIdEdEEDaPvRmT3_T4_T5_mT6_P12ihipStream_tbENKUlT_T0_E_clISt17integral_constantIbLb0EEST_IbLb1EEEEDaSP_SQ_EUlSP_E0_NS1_11comp_targetILNS1_3genE0ELNS1_11target_archE4294967295ELNS1_3gpuE0ELNS1_3repE0EEENS1_30default_config_static_selectorELNS0_4arch9wavefront6targetE1EEEvT1_, .Lfunc_end1934-_ZN7rocprim17ROCPRIM_400000_NS6detail17trampoline_kernelINS0_14default_configENS1_20scan_config_selectorIdEEZZNS1_9scan_implILNS1_25lookback_scan_determinismE0ELb1ELb1ES3_N6thrust23THRUST_200600_302600_NS6detail15normal_iteratorINS9_10device_ptrIdEEEESE_d11max_functorIdEdEEDaPvRmT3_T4_T5_mT6_P12ihipStream_tbENKUlT_T0_E_clISt17integral_constantIbLb0EEST_IbLb1EEEEDaSP_SQ_EUlSP_E0_NS1_11comp_targetILNS1_3genE0ELNS1_11target_archE4294967295ELNS1_3gpuE0ELNS1_3repE0EEENS1_30default_config_static_selectorELNS0_4arch9wavefront6targetE1EEEvT1_
                                        ; -- End function
	.section	.AMDGPU.csdata,"",@progbits
; Kernel info:
; codeLenInByte = 0
; NumSgprs: 4
; NumVgprs: 0
; NumAgprs: 0
; TotalNumVgprs: 0
; ScratchSize: 0
; MemoryBound: 0
; FloatMode: 240
; IeeeMode: 1
; LDSByteSize: 0 bytes/workgroup (compile time only)
; SGPRBlocks: 0
; VGPRBlocks: 0
; NumSGPRsForWavesPerEU: 4
; NumVGPRsForWavesPerEU: 1
; AccumOffset: 4
; Occupancy: 8
; WaveLimiterHint : 0
; COMPUTE_PGM_RSRC2:SCRATCH_EN: 0
; COMPUTE_PGM_RSRC2:USER_SGPR: 6
; COMPUTE_PGM_RSRC2:TRAP_HANDLER: 0
; COMPUTE_PGM_RSRC2:TGID_X_EN: 1
; COMPUTE_PGM_RSRC2:TGID_Y_EN: 0
; COMPUTE_PGM_RSRC2:TGID_Z_EN: 0
; COMPUTE_PGM_RSRC2:TIDIG_COMP_CNT: 0
; COMPUTE_PGM_RSRC3_GFX90A:ACCUM_OFFSET: 0
; COMPUTE_PGM_RSRC3_GFX90A:TG_SPLIT: 0
	.section	.text._ZN7rocprim17ROCPRIM_400000_NS6detail17trampoline_kernelINS0_14default_configENS1_20scan_config_selectorIdEEZZNS1_9scan_implILNS1_25lookback_scan_determinismE0ELb1ELb1ES3_N6thrust23THRUST_200600_302600_NS6detail15normal_iteratorINS9_10device_ptrIdEEEESE_d11max_functorIdEdEEDaPvRmT3_T4_T5_mT6_P12ihipStream_tbENKUlT_T0_E_clISt17integral_constantIbLb0EEST_IbLb1EEEEDaSP_SQ_EUlSP_E0_NS1_11comp_targetILNS1_3genE5ELNS1_11target_archE942ELNS1_3gpuE9ELNS1_3repE0EEENS1_30default_config_static_selectorELNS0_4arch9wavefront6targetE1EEEvT1_,"axG",@progbits,_ZN7rocprim17ROCPRIM_400000_NS6detail17trampoline_kernelINS0_14default_configENS1_20scan_config_selectorIdEEZZNS1_9scan_implILNS1_25lookback_scan_determinismE0ELb1ELb1ES3_N6thrust23THRUST_200600_302600_NS6detail15normal_iteratorINS9_10device_ptrIdEEEESE_d11max_functorIdEdEEDaPvRmT3_T4_T5_mT6_P12ihipStream_tbENKUlT_T0_E_clISt17integral_constantIbLb0EEST_IbLb1EEEEDaSP_SQ_EUlSP_E0_NS1_11comp_targetILNS1_3genE5ELNS1_11target_archE942ELNS1_3gpuE9ELNS1_3repE0EEENS1_30default_config_static_selectorELNS0_4arch9wavefront6targetE1EEEvT1_,comdat
	.protected	_ZN7rocprim17ROCPRIM_400000_NS6detail17trampoline_kernelINS0_14default_configENS1_20scan_config_selectorIdEEZZNS1_9scan_implILNS1_25lookback_scan_determinismE0ELb1ELb1ES3_N6thrust23THRUST_200600_302600_NS6detail15normal_iteratorINS9_10device_ptrIdEEEESE_d11max_functorIdEdEEDaPvRmT3_T4_T5_mT6_P12ihipStream_tbENKUlT_T0_E_clISt17integral_constantIbLb0EEST_IbLb1EEEEDaSP_SQ_EUlSP_E0_NS1_11comp_targetILNS1_3genE5ELNS1_11target_archE942ELNS1_3gpuE9ELNS1_3repE0EEENS1_30default_config_static_selectorELNS0_4arch9wavefront6targetE1EEEvT1_ ; -- Begin function _ZN7rocprim17ROCPRIM_400000_NS6detail17trampoline_kernelINS0_14default_configENS1_20scan_config_selectorIdEEZZNS1_9scan_implILNS1_25lookback_scan_determinismE0ELb1ELb1ES3_N6thrust23THRUST_200600_302600_NS6detail15normal_iteratorINS9_10device_ptrIdEEEESE_d11max_functorIdEdEEDaPvRmT3_T4_T5_mT6_P12ihipStream_tbENKUlT_T0_E_clISt17integral_constantIbLb0EEST_IbLb1EEEEDaSP_SQ_EUlSP_E0_NS1_11comp_targetILNS1_3genE5ELNS1_11target_archE942ELNS1_3gpuE9ELNS1_3repE0EEENS1_30default_config_static_selectorELNS0_4arch9wavefront6targetE1EEEvT1_
	.globl	_ZN7rocprim17ROCPRIM_400000_NS6detail17trampoline_kernelINS0_14default_configENS1_20scan_config_selectorIdEEZZNS1_9scan_implILNS1_25lookback_scan_determinismE0ELb1ELb1ES3_N6thrust23THRUST_200600_302600_NS6detail15normal_iteratorINS9_10device_ptrIdEEEESE_d11max_functorIdEdEEDaPvRmT3_T4_T5_mT6_P12ihipStream_tbENKUlT_T0_E_clISt17integral_constantIbLb0EEST_IbLb1EEEEDaSP_SQ_EUlSP_E0_NS1_11comp_targetILNS1_3genE5ELNS1_11target_archE942ELNS1_3gpuE9ELNS1_3repE0EEENS1_30default_config_static_selectorELNS0_4arch9wavefront6targetE1EEEvT1_
	.p2align	8
	.type	_ZN7rocprim17ROCPRIM_400000_NS6detail17trampoline_kernelINS0_14default_configENS1_20scan_config_selectorIdEEZZNS1_9scan_implILNS1_25lookback_scan_determinismE0ELb1ELb1ES3_N6thrust23THRUST_200600_302600_NS6detail15normal_iteratorINS9_10device_ptrIdEEEESE_d11max_functorIdEdEEDaPvRmT3_T4_T5_mT6_P12ihipStream_tbENKUlT_T0_E_clISt17integral_constantIbLb0EEST_IbLb1EEEEDaSP_SQ_EUlSP_E0_NS1_11comp_targetILNS1_3genE5ELNS1_11target_archE942ELNS1_3gpuE9ELNS1_3repE0EEENS1_30default_config_static_selectorELNS0_4arch9wavefront6targetE1EEEvT1_,@function
_ZN7rocprim17ROCPRIM_400000_NS6detail17trampoline_kernelINS0_14default_configENS1_20scan_config_selectorIdEEZZNS1_9scan_implILNS1_25lookback_scan_determinismE0ELb1ELb1ES3_N6thrust23THRUST_200600_302600_NS6detail15normal_iteratorINS9_10device_ptrIdEEEESE_d11max_functorIdEdEEDaPvRmT3_T4_T5_mT6_P12ihipStream_tbENKUlT_T0_E_clISt17integral_constantIbLb0EEST_IbLb1EEEEDaSP_SQ_EUlSP_E0_NS1_11comp_targetILNS1_3genE5ELNS1_11target_archE942ELNS1_3gpuE9ELNS1_3repE0EEENS1_30default_config_static_selectorELNS0_4arch9wavefront6targetE1EEEvT1_: ; @_ZN7rocprim17ROCPRIM_400000_NS6detail17trampoline_kernelINS0_14default_configENS1_20scan_config_selectorIdEEZZNS1_9scan_implILNS1_25lookback_scan_determinismE0ELb1ELb1ES3_N6thrust23THRUST_200600_302600_NS6detail15normal_iteratorINS9_10device_ptrIdEEEESE_d11max_functorIdEdEEDaPvRmT3_T4_T5_mT6_P12ihipStream_tbENKUlT_T0_E_clISt17integral_constantIbLb0EEST_IbLb1EEEEDaSP_SQ_EUlSP_E0_NS1_11comp_targetILNS1_3genE5ELNS1_11target_archE942ELNS1_3gpuE9ELNS1_3repE0EEENS1_30default_config_static_selectorELNS0_4arch9wavefront6targetE1EEEvT1_
; %bb.0:
	.section	.rodata,"a",@progbits
	.p2align	6, 0x0
	.amdhsa_kernel _ZN7rocprim17ROCPRIM_400000_NS6detail17trampoline_kernelINS0_14default_configENS1_20scan_config_selectorIdEEZZNS1_9scan_implILNS1_25lookback_scan_determinismE0ELb1ELb1ES3_N6thrust23THRUST_200600_302600_NS6detail15normal_iteratorINS9_10device_ptrIdEEEESE_d11max_functorIdEdEEDaPvRmT3_T4_T5_mT6_P12ihipStream_tbENKUlT_T0_E_clISt17integral_constantIbLb0EEST_IbLb1EEEEDaSP_SQ_EUlSP_E0_NS1_11comp_targetILNS1_3genE5ELNS1_11target_archE942ELNS1_3gpuE9ELNS1_3repE0EEENS1_30default_config_static_selectorELNS0_4arch9wavefront6targetE1EEEvT1_
		.amdhsa_group_segment_fixed_size 0
		.amdhsa_private_segment_fixed_size 0
		.amdhsa_kernarg_size 40
		.amdhsa_user_sgpr_count 6
		.amdhsa_user_sgpr_private_segment_buffer 1
		.amdhsa_user_sgpr_dispatch_ptr 0
		.amdhsa_user_sgpr_queue_ptr 0
		.amdhsa_user_sgpr_kernarg_segment_ptr 1
		.amdhsa_user_sgpr_dispatch_id 0
		.amdhsa_user_sgpr_flat_scratch_init 0
		.amdhsa_user_sgpr_kernarg_preload_length 0
		.amdhsa_user_sgpr_kernarg_preload_offset 0
		.amdhsa_user_sgpr_private_segment_size 0
		.amdhsa_uses_dynamic_stack 0
		.amdhsa_system_sgpr_private_segment_wavefront_offset 0
		.amdhsa_system_sgpr_workgroup_id_x 1
		.amdhsa_system_sgpr_workgroup_id_y 0
		.amdhsa_system_sgpr_workgroup_id_z 0
		.amdhsa_system_sgpr_workgroup_info 0
		.amdhsa_system_vgpr_workitem_id 0
		.amdhsa_next_free_vgpr 1
		.amdhsa_next_free_sgpr 0
		.amdhsa_accum_offset 4
		.amdhsa_reserve_vcc 0
		.amdhsa_reserve_flat_scratch 0
		.amdhsa_float_round_mode_32 0
		.amdhsa_float_round_mode_16_64 0
		.amdhsa_float_denorm_mode_32 3
		.amdhsa_float_denorm_mode_16_64 3
		.amdhsa_dx10_clamp 1
		.amdhsa_ieee_mode 1
		.amdhsa_fp16_overflow 0
		.amdhsa_tg_split 0
		.amdhsa_exception_fp_ieee_invalid_op 0
		.amdhsa_exception_fp_denorm_src 0
		.amdhsa_exception_fp_ieee_div_zero 0
		.amdhsa_exception_fp_ieee_overflow 0
		.amdhsa_exception_fp_ieee_underflow 0
		.amdhsa_exception_fp_ieee_inexact 0
		.amdhsa_exception_int_div_zero 0
	.end_amdhsa_kernel
	.section	.text._ZN7rocprim17ROCPRIM_400000_NS6detail17trampoline_kernelINS0_14default_configENS1_20scan_config_selectorIdEEZZNS1_9scan_implILNS1_25lookback_scan_determinismE0ELb1ELb1ES3_N6thrust23THRUST_200600_302600_NS6detail15normal_iteratorINS9_10device_ptrIdEEEESE_d11max_functorIdEdEEDaPvRmT3_T4_T5_mT6_P12ihipStream_tbENKUlT_T0_E_clISt17integral_constantIbLb0EEST_IbLb1EEEEDaSP_SQ_EUlSP_E0_NS1_11comp_targetILNS1_3genE5ELNS1_11target_archE942ELNS1_3gpuE9ELNS1_3repE0EEENS1_30default_config_static_selectorELNS0_4arch9wavefront6targetE1EEEvT1_,"axG",@progbits,_ZN7rocprim17ROCPRIM_400000_NS6detail17trampoline_kernelINS0_14default_configENS1_20scan_config_selectorIdEEZZNS1_9scan_implILNS1_25lookback_scan_determinismE0ELb1ELb1ES3_N6thrust23THRUST_200600_302600_NS6detail15normal_iteratorINS9_10device_ptrIdEEEESE_d11max_functorIdEdEEDaPvRmT3_T4_T5_mT6_P12ihipStream_tbENKUlT_T0_E_clISt17integral_constantIbLb0EEST_IbLb1EEEEDaSP_SQ_EUlSP_E0_NS1_11comp_targetILNS1_3genE5ELNS1_11target_archE942ELNS1_3gpuE9ELNS1_3repE0EEENS1_30default_config_static_selectorELNS0_4arch9wavefront6targetE1EEEvT1_,comdat
.Lfunc_end1935:
	.size	_ZN7rocprim17ROCPRIM_400000_NS6detail17trampoline_kernelINS0_14default_configENS1_20scan_config_selectorIdEEZZNS1_9scan_implILNS1_25lookback_scan_determinismE0ELb1ELb1ES3_N6thrust23THRUST_200600_302600_NS6detail15normal_iteratorINS9_10device_ptrIdEEEESE_d11max_functorIdEdEEDaPvRmT3_T4_T5_mT6_P12ihipStream_tbENKUlT_T0_E_clISt17integral_constantIbLb0EEST_IbLb1EEEEDaSP_SQ_EUlSP_E0_NS1_11comp_targetILNS1_3genE5ELNS1_11target_archE942ELNS1_3gpuE9ELNS1_3repE0EEENS1_30default_config_static_selectorELNS0_4arch9wavefront6targetE1EEEvT1_, .Lfunc_end1935-_ZN7rocprim17ROCPRIM_400000_NS6detail17trampoline_kernelINS0_14default_configENS1_20scan_config_selectorIdEEZZNS1_9scan_implILNS1_25lookback_scan_determinismE0ELb1ELb1ES3_N6thrust23THRUST_200600_302600_NS6detail15normal_iteratorINS9_10device_ptrIdEEEESE_d11max_functorIdEdEEDaPvRmT3_T4_T5_mT6_P12ihipStream_tbENKUlT_T0_E_clISt17integral_constantIbLb0EEST_IbLb1EEEEDaSP_SQ_EUlSP_E0_NS1_11comp_targetILNS1_3genE5ELNS1_11target_archE942ELNS1_3gpuE9ELNS1_3repE0EEENS1_30default_config_static_selectorELNS0_4arch9wavefront6targetE1EEEvT1_
                                        ; -- End function
	.section	.AMDGPU.csdata,"",@progbits
; Kernel info:
; codeLenInByte = 0
; NumSgprs: 4
; NumVgprs: 0
; NumAgprs: 0
; TotalNumVgprs: 0
; ScratchSize: 0
; MemoryBound: 0
; FloatMode: 240
; IeeeMode: 1
; LDSByteSize: 0 bytes/workgroup (compile time only)
; SGPRBlocks: 0
; VGPRBlocks: 0
; NumSGPRsForWavesPerEU: 4
; NumVGPRsForWavesPerEU: 1
; AccumOffset: 4
; Occupancy: 8
; WaveLimiterHint : 0
; COMPUTE_PGM_RSRC2:SCRATCH_EN: 0
; COMPUTE_PGM_RSRC2:USER_SGPR: 6
; COMPUTE_PGM_RSRC2:TRAP_HANDLER: 0
; COMPUTE_PGM_RSRC2:TGID_X_EN: 1
; COMPUTE_PGM_RSRC2:TGID_Y_EN: 0
; COMPUTE_PGM_RSRC2:TGID_Z_EN: 0
; COMPUTE_PGM_RSRC2:TIDIG_COMP_CNT: 0
; COMPUTE_PGM_RSRC3_GFX90A:ACCUM_OFFSET: 0
; COMPUTE_PGM_RSRC3_GFX90A:TG_SPLIT: 0
	.section	.text._ZN7rocprim17ROCPRIM_400000_NS6detail17trampoline_kernelINS0_14default_configENS1_20scan_config_selectorIdEEZZNS1_9scan_implILNS1_25lookback_scan_determinismE0ELb1ELb1ES3_N6thrust23THRUST_200600_302600_NS6detail15normal_iteratorINS9_10device_ptrIdEEEESE_d11max_functorIdEdEEDaPvRmT3_T4_T5_mT6_P12ihipStream_tbENKUlT_T0_E_clISt17integral_constantIbLb0EEST_IbLb1EEEEDaSP_SQ_EUlSP_E0_NS1_11comp_targetILNS1_3genE4ELNS1_11target_archE910ELNS1_3gpuE8ELNS1_3repE0EEENS1_30default_config_static_selectorELNS0_4arch9wavefront6targetE1EEEvT1_,"axG",@progbits,_ZN7rocprim17ROCPRIM_400000_NS6detail17trampoline_kernelINS0_14default_configENS1_20scan_config_selectorIdEEZZNS1_9scan_implILNS1_25lookback_scan_determinismE0ELb1ELb1ES3_N6thrust23THRUST_200600_302600_NS6detail15normal_iteratorINS9_10device_ptrIdEEEESE_d11max_functorIdEdEEDaPvRmT3_T4_T5_mT6_P12ihipStream_tbENKUlT_T0_E_clISt17integral_constantIbLb0EEST_IbLb1EEEEDaSP_SQ_EUlSP_E0_NS1_11comp_targetILNS1_3genE4ELNS1_11target_archE910ELNS1_3gpuE8ELNS1_3repE0EEENS1_30default_config_static_selectorELNS0_4arch9wavefront6targetE1EEEvT1_,comdat
	.protected	_ZN7rocprim17ROCPRIM_400000_NS6detail17trampoline_kernelINS0_14default_configENS1_20scan_config_selectorIdEEZZNS1_9scan_implILNS1_25lookback_scan_determinismE0ELb1ELb1ES3_N6thrust23THRUST_200600_302600_NS6detail15normal_iteratorINS9_10device_ptrIdEEEESE_d11max_functorIdEdEEDaPvRmT3_T4_T5_mT6_P12ihipStream_tbENKUlT_T0_E_clISt17integral_constantIbLb0EEST_IbLb1EEEEDaSP_SQ_EUlSP_E0_NS1_11comp_targetILNS1_3genE4ELNS1_11target_archE910ELNS1_3gpuE8ELNS1_3repE0EEENS1_30default_config_static_selectorELNS0_4arch9wavefront6targetE1EEEvT1_ ; -- Begin function _ZN7rocprim17ROCPRIM_400000_NS6detail17trampoline_kernelINS0_14default_configENS1_20scan_config_selectorIdEEZZNS1_9scan_implILNS1_25lookback_scan_determinismE0ELb1ELb1ES3_N6thrust23THRUST_200600_302600_NS6detail15normal_iteratorINS9_10device_ptrIdEEEESE_d11max_functorIdEdEEDaPvRmT3_T4_T5_mT6_P12ihipStream_tbENKUlT_T0_E_clISt17integral_constantIbLb0EEST_IbLb1EEEEDaSP_SQ_EUlSP_E0_NS1_11comp_targetILNS1_3genE4ELNS1_11target_archE910ELNS1_3gpuE8ELNS1_3repE0EEENS1_30default_config_static_selectorELNS0_4arch9wavefront6targetE1EEEvT1_
	.globl	_ZN7rocprim17ROCPRIM_400000_NS6detail17trampoline_kernelINS0_14default_configENS1_20scan_config_selectorIdEEZZNS1_9scan_implILNS1_25lookback_scan_determinismE0ELb1ELb1ES3_N6thrust23THRUST_200600_302600_NS6detail15normal_iteratorINS9_10device_ptrIdEEEESE_d11max_functorIdEdEEDaPvRmT3_T4_T5_mT6_P12ihipStream_tbENKUlT_T0_E_clISt17integral_constantIbLb0EEST_IbLb1EEEEDaSP_SQ_EUlSP_E0_NS1_11comp_targetILNS1_3genE4ELNS1_11target_archE910ELNS1_3gpuE8ELNS1_3repE0EEENS1_30default_config_static_selectorELNS0_4arch9wavefront6targetE1EEEvT1_
	.p2align	8
	.type	_ZN7rocprim17ROCPRIM_400000_NS6detail17trampoline_kernelINS0_14default_configENS1_20scan_config_selectorIdEEZZNS1_9scan_implILNS1_25lookback_scan_determinismE0ELb1ELb1ES3_N6thrust23THRUST_200600_302600_NS6detail15normal_iteratorINS9_10device_ptrIdEEEESE_d11max_functorIdEdEEDaPvRmT3_T4_T5_mT6_P12ihipStream_tbENKUlT_T0_E_clISt17integral_constantIbLb0EEST_IbLb1EEEEDaSP_SQ_EUlSP_E0_NS1_11comp_targetILNS1_3genE4ELNS1_11target_archE910ELNS1_3gpuE8ELNS1_3repE0EEENS1_30default_config_static_selectorELNS0_4arch9wavefront6targetE1EEEvT1_,@function
_ZN7rocprim17ROCPRIM_400000_NS6detail17trampoline_kernelINS0_14default_configENS1_20scan_config_selectorIdEEZZNS1_9scan_implILNS1_25lookback_scan_determinismE0ELb1ELb1ES3_N6thrust23THRUST_200600_302600_NS6detail15normal_iteratorINS9_10device_ptrIdEEEESE_d11max_functorIdEdEEDaPvRmT3_T4_T5_mT6_P12ihipStream_tbENKUlT_T0_E_clISt17integral_constantIbLb0EEST_IbLb1EEEEDaSP_SQ_EUlSP_E0_NS1_11comp_targetILNS1_3genE4ELNS1_11target_archE910ELNS1_3gpuE8ELNS1_3repE0EEENS1_30default_config_static_selectorELNS0_4arch9wavefront6targetE1EEEvT1_: ; @_ZN7rocprim17ROCPRIM_400000_NS6detail17trampoline_kernelINS0_14default_configENS1_20scan_config_selectorIdEEZZNS1_9scan_implILNS1_25lookback_scan_determinismE0ELb1ELb1ES3_N6thrust23THRUST_200600_302600_NS6detail15normal_iteratorINS9_10device_ptrIdEEEESE_d11max_functorIdEdEEDaPvRmT3_T4_T5_mT6_P12ihipStream_tbENKUlT_T0_E_clISt17integral_constantIbLb0EEST_IbLb1EEEEDaSP_SQ_EUlSP_E0_NS1_11comp_targetILNS1_3genE4ELNS1_11target_archE910ELNS1_3gpuE8ELNS1_3repE0EEENS1_30default_config_static_selectorELNS0_4arch9wavefront6targetE1EEEvT1_
; %bb.0:
	s_load_dwordx4 s[20:23], s[4:5], 0x0
	v_lshlrev_b32_e32 v24, 3, v0
	s_waitcnt lgkmcnt(0)
	s_load_dwordx2 s[24:25], s[20:21], 0x0
	v_cmp_gt_u32_e32 vcc, s22, v0
	s_waitcnt lgkmcnt(0)
	v_pk_mov_b32 v[2:3], s[24:25], s[24:25] op_sel:[0,1]
	s_and_saveexec_b64 s[0:1], vcc
	s_cbranch_execz .LBB1936_2
; %bb.1:
	global_load_dwordx2 v[2:3], v24, s[20:21]
.LBB1936_2:
	s_or_b64 exec, exec, s[0:1]
	v_or_b32_e32 v1, 0x80, v0
	v_cmp_gt_u32_e64 s[0:1], s22, v1
	v_pk_mov_b32 v[4:5], s[24:25], s[24:25] op_sel:[0,1]
	s_and_saveexec_b64 s[2:3], s[0:1]
	s_cbranch_execz .LBB1936_4
; %bb.3:
	global_load_dwordx2 v[4:5], v24, s[20:21] offset:1024
.LBB1936_4:
	s_or_b64 exec, exec, s[2:3]
	v_or_b32_e32 v1, 0x100, v0
	v_cmp_gt_u32_e64 s[2:3], s22, v1
	v_pk_mov_b32 v[6:7], s[24:25], s[24:25] op_sel:[0,1]
	s_and_saveexec_b64 s[6:7], s[2:3]
	s_cbranch_execz .LBB1936_6
; %bb.5:
	global_load_dwordx2 v[6:7], v24, s[20:21] offset:2048
.LBB1936_6:
	;; [unrolled: 9-line block ×3, first 2 shown]
	s_or_b64 exec, exec, s[6:7]
	v_or_b32_e32 v1, 0x200, v0
	v_cmp_gt_u32_e64 s[6:7], s22, v1
	v_pk_mov_b32 v[10:11], s[24:25], s[24:25] op_sel:[0,1]
	s_and_saveexec_b64 s[8:9], s[6:7]
	s_cbranch_execz .LBB1936_10
; %bb.9:
	v_lshlrev_b32_e32 v1, 3, v1
	global_load_dwordx2 v[10:11], v1, s[20:21]
.LBB1936_10:
	s_or_b64 exec, exec, s[8:9]
	v_or_b32_e32 v1, 0x280, v0
	v_cmp_gt_u32_e64 s[8:9], s22, v1
	v_pk_mov_b32 v[12:13], s[24:25], s[24:25] op_sel:[0,1]
	s_and_saveexec_b64 s[10:11], s[8:9]
	s_cbranch_execz .LBB1936_12
; %bb.11:
	v_lshlrev_b32_e32 v1, 3, v1
	global_load_dwordx2 v[12:13], v1, s[20:21]
.LBB1936_12:
	;; [unrolled: 10-line block ×6, first 2 shown]
	s_or_b64 exec, exec, s[22:23]
	s_movk_i32 s20, 0x48
	v_mad_u32_u24 v1, v0, s20, v24
	s_waitcnt vmcnt(0)
	ds_write2st64_b64 v24, v[2:3], v[4:5] offset1:2
	ds_write2st64_b64 v24, v[6:7], v[8:9] offset0:4 offset1:6
	ds_write2st64_b64 v24, v[10:11], v[12:13] offset0:8 offset1:10
	;; [unrolled: 1-line block ×4, first 2 shown]
	s_waitcnt lgkmcnt(0)
	s_barrier
	ds_read_b128 v[18:21], v1
	ds_read_b128 v[10:13], v1 offset:16
	ds_read_b128 v[6:9], v1 offset:32
	;; [unrolled: 1-line block ×4, first 2 shown]
	s_waitcnt lgkmcnt(4)
	v_cmp_lt_f64_e64 s[20:21], v[18:19], v[20:21]
	v_cndmask_b32_e64 v23, v19, v21, s[20:21]
	v_cndmask_b32_e64 v22, v18, v20, s[20:21]
	s_waitcnt lgkmcnt(3)
	v_cmp_lt_f64_e64 s[20:21], v[22:23], v[10:11]
	v_cndmask_b32_e64 v23, v23, v11, s[20:21]
	v_cndmask_b32_e64 v22, v22, v10, s[20:21]
	v_cmp_lt_f64_e64 s[20:21], v[22:23], v[12:13]
	v_cndmask_b32_e64 v23, v23, v13, s[20:21]
	v_cndmask_b32_e64 v22, v22, v12, s[20:21]
	s_waitcnt lgkmcnt(2)
	v_cmp_lt_f64_e64 s[20:21], v[22:23], v[6:7]
	v_cndmask_b32_e64 v23, v23, v7, s[20:21]
	v_cndmask_b32_e64 v22, v22, v6, s[20:21]
	;; [unrolled: 7-line block ×4, first 2 shown]
	v_cmp_lt_f64_e64 s[20:21], v[22:23], v[16:17]
	v_cndmask_b32_e64 v16, v22, v16, s[20:21]
	v_mbcnt_lo_u32_b32 v22, -1, 0
	v_mbcnt_hi_u32_b32 v25, -1, v22
	v_cndmask_b32_e64 v17, v23, v17, s[20:21]
	v_and_b32_e32 v26, 15, v25
	v_mov_b32_dpp v22, v16 row_shr:1 row_mask:0xf bank_mask:0xf
	v_mov_b32_dpp v23, v17 row_shr:1 row_mask:0xf bank_mask:0xf
	v_cmp_ne_u32_e64 s[20:21], 0, v26
	s_barrier
	s_and_saveexec_b64 s[22:23], s[20:21]
; %bb.21:
	v_cmp_gt_f64_e64 s[20:21], v[16:17], v[22:23]
	v_cndmask_b32_e64 v17, v23, v17, s[20:21]
	v_cndmask_b32_e64 v16, v22, v16, s[20:21]
; %bb.22:
	s_or_b64 exec, exec, s[22:23]
	s_nop 0
	v_mov_b32_dpp v22, v16 row_shr:2 row_mask:0xf bank_mask:0xf
	v_mov_b32_dpp v23, v17 row_shr:2 row_mask:0xf bank_mask:0xf
	v_cmp_lt_u32_e64 s[20:21], 1, v26
	s_and_saveexec_b64 s[22:23], s[20:21]
; %bb.23:
	v_cmp_gt_f64_e64 s[20:21], v[16:17], v[22:23]
	v_cndmask_b32_e64 v17, v23, v17, s[20:21]
	v_cndmask_b32_e64 v16, v22, v16, s[20:21]
; %bb.24:
	s_or_b64 exec, exec, s[22:23]
	s_nop 0
	v_mov_b32_dpp v22, v16 row_shr:4 row_mask:0xf bank_mask:0xf
	v_mov_b32_dpp v23, v17 row_shr:4 row_mask:0xf bank_mask:0xf
	v_cmp_lt_u32_e64 s[20:21], 3, v26
	;; [unrolled: 11-line block ×3, first 2 shown]
	s_and_saveexec_b64 s[22:23], s[20:21]
; %bb.27:
	v_cmp_gt_f64_e64 s[20:21], v[16:17], v[22:23]
	v_cndmask_b32_e64 v17, v23, v17, s[20:21]
	v_cndmask_b32_e64 v16, v22, v16, s[20:21]
; %bb.28:
	s_or_b64 exec, exec, s[22:23]
	s_load_dwordx2 s[24:25], s[4:5], 0x10
	v_and_b32_e32 v26, 16, v25
	v_mov_b32_dpp v22, v16 row_bcast:15 row_mask:0xf bank_mask:0xf
	v_mov_b32_dpp v23, v17 row_bcast:15 row_mask:0xf bank_mask:0xf
	v_cmp_ne_u32_e64 s[20:21], 0, v26
	s_and_saveexec_b64 s[22:23], s[20:21]
; %bb.29:
	v_cmp_gt_f64_e64 s[20:21], v[16:17], v[22:23]
	v_cndmask_b32_e64 v17, v23, v17, s[20:21]
	v_cndmask_b32_e64 v16, v22, v16, s[20:21]
; %bb.30:
	s_or_b64 exec, exec, s[22:23]
	s_nop 0
	v_mov_b32_dpp v22, v16 row_bcast:31 row_mask:0xf bank_mask:0xf
	v_mov_b32_dpp v23, v17 row_bcast:31 row_mask:0xf bank_mask:0xf
	v_cmp_gt_f64_e64 s[20:21], v[16:17], v[22:23]
	v_cndmask_b32_e64 v22, v22, v16, s[20:21]
	v_cndmask_b32_e64 v23, v23, v17, s[20:21]
	v_cmp_lt_u32_e64 s[20:21], 31, v25
	v_cndmask_b32_e64 v16, v16, v22, s[20:21]
	v_or_b32_e32 v22, 63, v0
	v_cndmask_b32_e64 v17, v17, v23, s[20:21]
	v_lshrrev_b32_e32 v26, 6, v0
	v_cmp_eq_u32_e64 s[20:21], v22, v0
	s_and_saveexec_b64 s[22:23], s[20:21]
	s_cbranch_execz .LBB1936_32
; %bb.31:
	v_lshlrev_b32_e32 v22, 3, v26
	ds_write_b64 v22, v[16:17]
.LBB1936_32:
	s_or_b64 exec, exec, s[22:23]
	s_load_dwordx2 s[22:23], s[4:5], 0x20
	v_cmp_gt_u32_e64 s[4:5], 2, v0
	s_waitcnt lgkmcnt(0)
	s_barrier
	s_and_saveexec_b64 s[26:27], s[4:5]
	s_cbranch_execz .LBB1936_34
; %bb.33:
	ds_read_b64 v[22:23], v24
	v_and_b32_e32 v27, 1, v25
	v_cmp_eq_u32_e64 s[4:5], 0, v27
	s_waitcnt lgkmcnt(0)
	v_mov_b32_dpp v30, v23 row_shr:1 row_mask:0xf bank_mask:0xf
	v_mov_b32_dpp v28, v22 row_shr:1 row_mask:0xf bank_mask:0xf
	v_mov_b32_e32 v29, v30
	v_cmp_gt_f64_e64 s[20:21], v[22:23], v[28:29]
	s_or_b64 s[4:5], s[4:5], s[20:21]
	v_cndmask_b32_e64 v23, v30, v23, s[4:5]
	v_cndmask_b32_e64 v22, v28, v22, s[4:5]
	ds_write_b64 v24, v[22:23]
.LBB1936_34:
	s_or_b64 exec, exec, s[26:27]
	v_cmp_lt_u32_e64 s[4:5], 63, v0
	v_pk_mov_b32 v[22:23], s[24:25], s[24:25] op_sel:[0,1]
	s_waitcnt lgkmcnt(0)
	s_barrier
	s_and_saveexec_b64 s[20:21], s[4:5]
	s_cbranch_execz .LBB1936_36
; %bb.35:
	v_lshl_add_u32 v22, v26, 3, -8
	ds_read_b64 v[22:23], v22
	v_mov_b32_e32 v26, s25
	s_waitcnt lgkmcnt(0)
	v_cmp_lt_f64_e64 s[4:5], s[24:25], v[22:23]
	v_cndmask_b32_e64 v23, v26, v23, s[4:5]
	v_mov_b32_e32 v26, s24
	v_cndmask_b32_e64 v22, v26, v22, s[4:5]
.LBB1936_36:
	s_or_b64 exec, exec, s[20:21]
	v_cmp_lt_f64_e64 s[4:5], v[22:23], v[16:17]
	v_add_u32_e32 v26, -1, v25
	v_and_b32_e32 v27, 64, v25
	v_cndmask_b32_e64 v17, v23, v17, s[4:5]
	v_cndmask_b32_e64 v16, v22, v16, s[4:5]
	v_cmp_lt_i32_e64 s[4:5], v26, v27
	v_cndmask_b32_e64 v26, v26, v25, s[4:5]
	v_lshlrev_b32_e32 v26, 2, v26
	ds_bpermute_b32 v16, v26, v16
	ds_bpermute_b32 v17, v26, v17
	v_cmp_eq_u32_e64 s[4:5], 0, v25
	s_waitcnt lgkmcnt(0)
	s_barrier
	v_cndmask_b32_e64 v16, v16, v22, s[4:5]
	v_cndmask_b32_e64 v17, v17, v23, s[4:5]
	v_mov_b32_e32 v22, s25
	v_cmp_eq_u32_e64 s[4:5], 0, v0
	v_cndmask_b32_e64 v17, v17, v22, s[4:5]
	v_mov_b32_e32 v22, s24
	v_cndmask_b32_e64 v16, v16, v22, s[4:5]
	v_cmp_lt_f64_e64 s[4:5], v[16:17], v[18:19]
	v_cndmask_b32_e64 v19, v17, v19, s[4:5]
	v_cndmask_b32_e64 v18, v16, v18, s[4:5]
	v_cmp_lt_f64_e64 s[4:5], v[18:19], v[20:21]
	v_cndmask_b32_e64 v21, v19, v21, s[4:5]
	;; [unrolled: 3-line block ×9, first 2 shown]
	v_cndmask_b32_e64 v4, v2, v14, s[4:5]
	s_movk_i32 s4, 0xffb8
	v_mad_i32_i24 v0, v0, s4, v1
	ds_write_b128 v1, v[16:19]
	ds_write_b128 v1, v[20:23] offset:16
	ds_write_b128 v1, v[10:13] offset:32
	;; [unrolled: 1-line block ×4, first 2 shown]
	s_waitcnt lgkmcnt(0)
	s_barrier
	ds_read2st64_b64 v[12:15], v0 offset0:2 offset1:4
	ds_read2st64_b64 v[8:11], v0 offset0:6 offset1:8
	ds_read2st64_b64 v[4:7], v0 offset0:10 offset1:12
	ds_read2st64_b64 v[0:3], v0 offset0:14 offset1:18
	ds_read_b64 v[18:19], v24 offset:8192
	v_mov_b32_e32 v17, s23
	v_add_co_u32_e64 v16, s[4:5], s22, v24
	v_addc_co_u32_e64 v17, s[4:5], 0, v17, s[4:5]
	s_and_saveexec_b64 s[4:5], vcc
	s_cbranch_execnz .LBB1936_47
; %bb.37:
	s_or_b64 exec, exec, s[4:5]
	s_and_saveexec_b64 s[4:5], s[0:1]
	s_cbranch_execnz .LBB1936_48
.LBB1936_38:
	s_or_b64 exec, exec, s[4:5]
	s_and_saveexec_b64 s[0:1], s[2:3]
	s_cbranch_execnz .LBB1936_49
.LBB1936_39:
	s_or_b64 exec, exec, s[0:1]
	s_and_saveexec_b64 s[0:1], s[18:19]
	s_cbranch_execnz .LBB1936_50
.LBB1936_40:
	s_or_b64 exec, exec, s[0:1]
	s_and_saveexec_b64 s[0:1], s[6:7]
	s_cbranch_execnz .LBB1936_51
.LBB1936_41:
	s_or_b64 exec, exec, s[0:1]
	s_and_saveexec_b64 s[0:1], s[8:9]
	s_cbranch_execnz .LBB1936_52
.LBB1936_42:
	s_or_b64 exec, exec, s[0:1]
	s_and_saveexec_b64 s[0:1], s[10:11]
	s_cbranch_execnz .LBB1936_53
.LBB1936_43:
	s_or_b64 exec, exec, s[0:1]
	s_and_saveexec_b64 s[0:1], s[12:13]
	s_cbranch_execnz .LBB1936_54
.LBB1936_44:
	s_or_b64 exec, exec, s[0:1]
	s_and_saveexec_b64 s[0:1], s[14:15]
	s_cbranch_execnz .LBB1936_55
.LBB1936_45:
	s_or_b64 exec, exec, s[0:1]
	s_and_saveexec_b64 s[0:1], s[16:17]
	s_cbranch_execnz .LBB1936_56
.LBB1936_46:
	s_endpgm
.LBB1936_47:
	ds_read_b64 v[20:21], v24
	s_waitcnt lgkmcnt(0)
	global_store_dwordx2 v[16:17], v[20:21], off
	s_or_b64 exec, exec, s[4:5]
	s_and_saveexec_b64 s[4:5], s[0:1]
	s_cbranch_execz .LBB1936_38
.LBB1936_48:
	s_waitcnt lgkmcnt(4)
	global_store_dwordx2 v[16:17], v[12:13], off offset:1024
	s_or_b64 exec, exec, s[4:5]
	s_and_saveexec_b64 s[0:1], s[2:3]
	s_cbranch_execz .LBB1936_39
.LBB1936_49:
	s_waitcnt lgkmcnt(4)
	global_store_dwordx2 v[16:17], v[14:15], off offset:2048
	s_or_b64 exec, exec, s[0:1]
	s_and_saveexec_b64 s[0:1], s[18:19]
	s_cbranch_execz .LBB1936_40
.LBB1936_50:
	s_waitcnt lgkmcnt(3)
	global_store_dwordx2 v[16:17], v[8:9], off offset:3072
	s_or_b64 exec, exec, s[0:1]
	s_and_saveexec_b64 s[0:1], s[6:7]
	s_cbranch_execz .LBB1936_41
.LBB1936_51:
	s_waitcnt lgkmcnt(3)
	v_add_co_u32_e32 v8, vcc, 0x1000, v16
	v_addc_co_u32_e32 v9, vcc, 0, v17, vcc
	global_store_dwordx2 v[8:9], v[10:11], off
	s_or_b64 exec, exec, s[0:1]
	s_and_saveexec_b64 s[0:1], s[8:9]
	s_cbranch_execz .LBB1936_42
.LBB1936_52:
	s_waitcnt lgkmcnt(3)
	v_add_co_u32_e32 v8, vcc, 0x1000, v16
	v_addc_co_u32_e32 v9, vcc, 0, v17, vcc
	s_waitcnt lgkmcnt(2)
	global_store_dwordx2 v[8:9], v[4:5], off offset:1024
	s_or_b64 exec, exec, s[0:1]
	s_and_saveexec_b64 s[0:1], s[10:11]
	s_cbranch_execz .LBB1936_43
.LBB1936_53:
	s_waitcnt lgkmcnt(2)
	v_add_co_u32_e32 v4, vcc, 0x1000, v16
	v_addc_co_u32_e32 v5, vcc, 0, v17, vcc
	global_store_dwordx2 v[4:5], v[6:7], off offset:2048
	s_or_b64 exec, exec, s[0:1]
	s_and_saveexec_b64 s[0:1], s[12:13]
	s_cbranch_execz .LBB1936_44
.LBB1936_54:
	s_waitcnt lgkmcnt(2)
	v_add_co_u32_e32 v4, vcc, 0x1000, v16
	v_addc_co_u32_e32 v5, vcc, 0, v17, vcc
	s_waitcnt lgkmcnt(1)
	global_store_dwordx2 v[4:5], v[0:1], off offset:3072
	s_or_b64 exec, exec, s[0:1]
	s_and_saveexec_b64 s[0:1], s[14:15]
	s_cbranch_execz .LBB1936_45
.LBB1936_55:
	s_waitcnt lgkmcnt(1)
	v_add_co_u32_e32 v0, vcc, 0x2000, v16
	v_addc_co_u32_e32 v1, vcc, 0, v17, vcc
	s_waitcnt lgkmcnt(0)
	global_store_dwordx2 v[0:1], v[18:19], off
	s_or_b64 exec, exec, s[0:1]
	s_and_saveexec_b64 s[0:1], s[16:17]
	s_cbranch_execz .LBB1936_46
.LBB1936_56:
	s_waitcnt lgkmcnt(1)
	v_add_co_u32_e32 v0, vcc, 0x2000, v16
	v_addc_co_u32_e32 v1, vcc, 0, v17, vcc
	global_store_dwordx2 v[0:1], v[2:3], off offset:1024
	s_endpgm
	.section	.rodata,"a",@progbits
	.p2align	6, 0x0
	.amdhsa_kernel _ZN7rocprim17ROCPRIM_400000_NS6detail17trampoline_kernelINS0_14default_configENS1_20scan_config_selectorIdEEZZNS1_9scan_implILNS1_25lookback_scan_determinismE0ELb1ELb1ES3_N6thrust23THRUST_200600_302600_NS6detail15normal_iteratorINS9_10device_ptrIdEEEESE_d11max_functorIdEdEEDaPvRmT3_T4_T5_mT6_P12ihipStream_tbENKUlT_T0_E_clISt17integral_constantIbLb0EEST_IbLb1EEEEDaSP_SQ_EUlSP_E0_NS1_11comp_targetILNS1_3genE4ELNS1_11target_archE910ELNS1_3gpuE8ELNS1_3repE0EEENS1_30default_config_static_selectorELNS0_4arch9wavefront6targetE1EEEvT1_
		.amdhsa_group_segment_fixed_size 10240
		.amdhsa_private_segment_fixed_size 0
		.amdhsa_kernarg_size 40
		.amdhsa_user_sgpr_count 6
		.amdhsa_user_sgpr_private_segment_buffer 1
		.amdhsa_user_sgpr_dispatch_ptr 0
		.amdhsa_user_sgpr_queue_ptr 0
		.amdhsa_user_sgpr_kernarg_segment_ptr 1
		.amdhsa_user_sgpr_dispatch_id 0
		.amdhsa_user_sgpr_flat_scratch_init 0
		.amdhsa_user_sgpr_kernarg_preload_length 0
		.amdhsa_user_sgpr_kernarg_preload_offset 0
		.amdhsa_user_sgpr_private_segment_size 0
		.amdhsa_uses_dynamic_stack 0
		.amdhsa_system_sgpr_private_segment_wavefront_offset 0
		.amdhsa_system_sgpr_workgroup_id_x 1
		.amdhsa_system_sgpr_workgroup_id_y 0
		.amdhsa_system_sgpr_workgroup_id_z 0
		.amdhsa_system_sgpr_workgroup_info 0
		.amdhsa_system_vgpr_workitem_id 0
		.amdhsa_next_free_vgpr 31
		.amdhsa_next_free_sgpr 28
		.amdhsa_accum_offset 32
		.amdhsa_reserve_vcc 1
		.amdhsa_reserve_flat_scratch 0
		.amdhsa_float_round_mode_32 0
		.amdhsa_float_round_mode_16_64 0
		.amdhsa_float_denorm_mode_32 3
		.amdhsa_float_denorm_mode_16_64 3
		.amdhsa_dx10_clamp 1
		.amdhsa_ieee_mode 1
		.amdhsa_fp16_overflow 0
		.amdhsa_tg_split 0
		.amdhsa_exception_fp_ieee_invalid_op 0
		.amdhsa_exception_fp_denorm_src 0
		.amdhsa_exception_fp_ieee_div_zero 0
		.amdhsa_exception_fp_ieee_overflow 0
		.amdhsa_exception_fp_ieee_underflow 0
		.amdhsa_exception_fp_ieee_inexact 0
		.amdhsa_exception_int_div_zero 0
	.end_amdhsa_kernel
	.section	.text._ZN7rocprim17ROCPRIM_400000_NS6detail17trampoline_kernelINS0_14default_configENS1_20scan_config_selectorIdEEZZNS1_9scan_implILNS1_25lookback_scan_determinismE0ELb1ELb1ES3_N6thrust23THRUST_200600_302600_NS6detail15normal_iteratorINS9_10device_ptrIdEEEESE_d11max_functorIdEdEEDaPvRmT3_T4_T5_mT6_P12ihipStream_tbENKUlT_T0_E_clISt17integral_constantIbLb0EEST_IbLb1EEEEDaSP_SQ_EUlSP_E0_NS1_11comp_targetILNS1_3genE4ELNS1_11target_archE910ELNS1_3gpuE8ELNS1_3repE0EEENS1_30default_config_static_selectorELNS0_4arch9wavefront6targetE1EEEvT1_,"axG",@progbits,_ZN7rocprim17ROCPRIM_400000_NS6detail17trampoline_kernelINS0_14default_configENS1_20scan_config_selectorIdEEZZNS1_9scan_implILNS1_25lookback_scan_determinismE0ELb1ELb1ES3_N6thrust23THRUST_200600_302600_NS6detail15normal_iteratorINS9_10device_ptrIdEEEESE_d11max_functorIdEdEEDaPvRmT3_T4_T5_mT6_P12ihipStream_tbENKUlT_T0_E_clISt17integral_constantIbLb0EEST_IbLb1EEEEDaSP_SQ_EUlSP_E0_NS1_11comp_targetILNS1_3genE4ELNS1_11target_archE910ELNS1_3gpuE8ELNS1_3repE0EEENS1_30default_config_static_selectorELNS0_4arch9wavefront6targetE1EEEvT1_,comdat
.Lfunc_end1936:
	.size	_ZN7rocprim17ROCPRIM_400000_NS6detail17trampoline_kernelINS0_14default_configENS1_20scan_config_selectorIdEEZZNS1_9scan_implILNS1_25lookback_scan_determinismE0ELb1ELb1ES3_N6thrust23THRUST_200600_302600_NS6detail15normal_iteratorINS9_10device_ptrIdEEEESE_d11max_functorIdEdEEDaPvRmT3_T4_T5_mT6_P12ihipStream_tbENKUlT_T0_E_clISt17integral_constantIbLb0EEST_IbLb1EEEEDaSP_SQ_EUlSP_E0_NS1_11comp_targetILNS1_3genE4ELNS1_11target_archE910ELNS1_3gpuE8ELNS1_3repE0EEENS1_30default_config_static_selectorELNS0_4arch9wavefront6targetE1EEEvT1_, .Lfunc_end1936-_ZN7rocprim17ROCPRIM_400000_NS6detail17trampoline_kernelINS0_14default_configENS1_20scan_config_selectorIdEEZZNS1_9scan_implILNS1_25lookback_scan_determinismE0ELb1ELb1ES3_N6thrust23THRUST_200600_302600_NS6detail15normal_iteratorINS9_10device_ptrIdEEEESE_d11max_functorIdEdEEDaPvRmT3_T4_T5_mT6_P12ihipStream_tbENKUlT_T0_E_clISt17integral_constantIbLb0EEST_IbLb1EEEEDaSP_SQ_EUlSP_E0_NS1_11comp_targetILNS1_3genE4ELNS1_11target_archE910ELNS1_3gpuE8ELNS1_3repE0EEENS1_30default_config_static_selectorELNS0_4arch9wavefront6targetE1EEEvT1_
                                        ; -- End function
	.section	.AMDGPU.csdata,"",@progbits
; Kernel info:
; codeLenInByte = 2372
; NumSgprs: 32
; NumVgprs: 31
; NumAgprs: 0
; TotalNumVgprs: 31
; ScratchSize: 0
; MemoryBound: 0
; FloatMode: 240
; IeeeMode: 1
; LDSByteSize: 10240 bytes/workgroup (compile time only)
; SGPRBlocks: 3
; VGPRBlocks: 3
; NumSGPRsForWavesPerEU: 32
; NumVGPRsForWavesPerEU: 31
; AccumOffset: 32
; Occupancy: 3
; WaveLimiterHint : 0
; COMPUTE_PGM_RSRC2:SCRATCH_EN: 0
; COMPUTE_PGM_RSRC2:USER_SGPR: 6
; COMPUTE_PGM_RSRC2:TRAP_HANDLER: 0
; COMPUTE_PGM_RSRC2:TGID_X_EN: 1
; COMPUTE_PGM_RSRC2:TGID_Y_EN: 0
; COMPUTE_PGM_RSRC2:TGID_Z_EN: 0
; COMPUTE_PGM_RSRC2:TIDIG_COMP_CNT: 0
; COMPUTE_PGM_RSRC3_GFX90A:ACCUM_OFFSET: 7
; COMPUTE_PGM_RSRC3_GFX90A:TG_SPLIT: 0
	.section	.text._ZN7rocprim17ROCPRIM_400000_NS6detail17trampoline_kernelINS0_14default_configENS1_20scan_config_selectorIdEEZZNS1_9scan_implILNS1_25lookback_scan_determinismE0ELb1ELb1ES3_N6thrust23THRUST_200600_302600_NS6detail15normal_iteratorINS9_10device_ptrIdEEEESE_d11max_functorIdEdEEDaPvRmT3_T4_T5_mT6_P12ihipStream_tbENKUlT_T0_E_clISt17integral_constantIbLb0EEST_IbLb1EEEEDaSP_SQ_EUlSP_E0_NS1_11comp_targetILNS1_3genE3ELNS1_11target_archE908ELNS1_3gpuE7ELNS1_3repE0EEENS1_30default_config_static_selectorELNS0_4arch9wavefront6targetE1EEEvT1_,"axG",@progbits,_ZN7rocprim17ROCPRIM_400000_NS6detail17trampoline_kernelINS0_14default_configENS1_20scan_config_selectorIdEEZZNS1_9scan_implILNS1_25lookback_scan_determinismE0ELb1ELb1ES3_N6thrust23THRUST_200600_302600_NS6detail15normal_iteratorINS9_10device_ptrIdEEEESE_d11max_functorIdEdEEDaPvRmT3_T4_T5_mT6_P12ihipStream_tbENKUlT_T0_E_clISt17integral_constantIbLb0EEST_IbLb1EEEEDaSP_SQ_EUlSP_E0_NS1_11comp_targetILNS1_3genE3ELNS1_11target_archE908ELNS1_3gpuE7ELNS1_3repE0EEENS1_30default_config_static_selectorELNS0_4arch9wavefront6targetE1EEEvT1_,comdat
	.protected	_ZN7rocprim17ROCPRIM_400000_NS6detail17trampoline_kernelINS0_14default_configENS1_20scan_config_selectorIdEEZZNS1_9scan_implILNS1_25lookback_scan_determinismE0ELb1ELb1ES3_N6thrust23THRUST_200600_302600_NS6detail15normal_iteratorINS9_10device_ptrIdEEEESE_d11max_functorIdEdEEDaPvRmT3_T4_T5_mT6_P12ihipStream_tbENKUlT_T0_E_clISt17integral_constantIbLb0EEST_IbLb1EEEEDaSP_SQ_EUlSP_E0_NS1_11comp_targetILNS1_3genE3ELNS1_11target_archE908ELNS1_3gpuE7ELNS1_3repE0EEENS1_30default_config_static_selectorELNS0_4arch9wavefront6targetE1EEEvT1_ ; -- Begin function _ZN7rocprim17ROCPRIM_400000_NS6detail17trampoline_kernelINS0_14default_configENS1_20scan_config_selectorIdEEZZNS1_9scan_implILNS1_25lookback_scan_determinismE0ELb1ELb1ES3_N6thrust23THRUST_200600_302600_NS6detail15normal_iteratorINS9_10device_ptrIdEEEESE_d11max_functorIdEdEEDaPvRmT3_T4_T5_mT6_P12ihipStream_tbENKUlT_T0_E_clISt17integral_constantIbLb0EEST_IbLb1EEEEDaSP_SQ_EUlSP_E0_NS1_11comp_targetILNS1_3genE3ELNS1_11target_archE908ELNS1_3gpuE7ELNS1_3repE0EEENS1_30default_config_static_selectorELNS0_4arch9wavefront6targetE1EEEvT1_
	.globl	_ZN7rocprim17ROCPRIM_400000_NS6detail17trampoline_kernelINS0_14default_configENS1_20scan_config_selectorIdEEZZNS1_9scan_implILNS1_25lookback_scan_determinismE0ELb1ELb1ES3_N6thrust23THRUST_200600_302600_NS6detail15normal_iteratorINS9_10device_ptrIdEEEESE_d11max_functorIdEdEEDaPvRmT3_T4_T5_mT6_P12ihipStream_tbENKUlT_T0_E_clISt17integral_constantIbLb0EEST_IbLb1EEEEDaSP_SQ_EUlSP_E0_NS1_11comp_targetILNS1_3genE3ELNS1_11target_archE908ELNS1_3gpuE7ELNS1_3repE0EEENS1_30default_config_static_selectorELNS0_4arch9wavefront6targetE1EEEvT1_
	.p2align	8
	.type	_ZN7rocprim17ROCPRIM_400000_NS6detail17trampoline_kernelINS0_14default_configENS1_20scan_config_selectorIdEEZZNS1_9scan_implILNS1_25lookback_scan_determinismE0ELb1ELb1ES3_N6thrust23THRUST_200600_302600_NS6detail15normal_iteratorINS9_10device_ptrIdEEEESE_d11max_functorIdEdEEDaPvRmT3_T4_T5_mT6_P12ihipStream_tbENKUlT_T0_E_clISt17integral_constantIbLb0EEST_IbLb1EEEEDaSP_SQ_EUlSP_E0_NS1_11comp_targetILNS1_3genE3ELNS1_11target_archE908ELNS1_3gpuE7ELNS1_3repE0EEENS1_30default_config_static_selectorELNS0_4arch9wavefront6targetE1EEEvT1_,@function
_ZN7rocprim17ROCPRIM_400000_NS6detail17trampoline_kernelINS0_14default_configENS1_20scan_config_selectorIdEEZZNS1_9scan_implILNS1_25lookback_scan_determinismE0ELb1ELb1ES3_N6thrust23THRUST_200600_302600_NS6detail15normal_iteratorINS9_10device_ptrIdEEEESE_d11max_functorIdEdEEDaPvRmT3_T4_T5_mT6_P12ihipStream_tbENKUlT_T0_E_clISt17integral_constantIbLb0EEST_IbLb1EEEEDaSP_SQ_EUlSP_E0_NS1_11comp_targetILNS1_3genE3ELNS1_11target_archE908ELNS1_3gpuE7ELNS1_3repE0EEENS1_30default_config_static_selectorELNS0_4arch9wavefront6targetE1EEEvT1_: ; @_ZN7rocprim17ROCPRIM_400000_NS6detail17trampoline_kernelINS0_14default_configENS1_20scan_config_selectorIdEEZZNS1_9scan_implILNS1_25lookback_scan_determinismE0ELb1ELb1ES3_N6thrust23THRUST_200600_302600_NS6detail15normal_iteratorINS9_10device_ptrIdEEEESE_d11max_functorIdEdEEDaPvRmT3_T4_T5_mT6_P12ihipStream_tbENKUlT_T0_E_clISt17integral_constantIbLb0EEST_IbLb1EEEEDaSP_SQ_EUlSP_E0_NS1_11comp_targetILNS1_3genE3ELNS1_11target_archE908ELNS1_3gpuE7ELNS1_3repE0EEENS1_30default_config_static_selectorELNS0_4arch9wavefront6targetE1EEEvT1_
; %bb.0:
	.section	.rodata,"a",@progbits
	.p2align	6, 0x0
	.amdhsa_kernel _ZN7rocprim17ROCPRIM_400000_NS6detail17trampoline_kernelINS0_14default_configENS1_20scan_config_selectorIdEEZZNS1_9scan_implILNS1_25lookback_scan_determinismE0ELb1ELb1ES3_N6thrust23THRUST_200600_302600_NS6detail15normal_iteratorINS9_10device_ptrIdEEEESE_d11max_functorIdEdEEDaPvRmT3_T4_T5_mT6_P12ihipStream_tbENKUlT_T0_E_clISt17integral_constantIbLb0EEST_IbLb1EEEEDaSP_SQ_EUlSP_E0_NS1_11comp_targetILNS1_3genE3ELNS1_11target_archE908ELNS1_3gpuE7ELNS1_3repE0EEENS1_30default_config_static_selectorELNS0_4arch9wavefront6targetE1EEEvT1_
		.amdhsa_group_segment_fixed_size 0
		.amdhsa_private_segment_fixed_size 0
		.amdhsa_kernarg_size 40
		.amdhsa_user_sgpr_count 6
		.amdhsa_user_sgpr_private_segment_buffer 1
		.amdhsa_user_sgpr_dispatch_ptr 0
		.amdhsa_user_sgpr_queue_ptr 0
		.amdhsa_user_sgpr_kernarg_segment_ptr 1
		.amdhsa_user_sgpr_dispatch_id 0
		.amdhsa_user_sgpr_flat_scratch_init 0
		.amdhsa_user_sgpr_kernarg_preload_length 0
		.amdhsa_user_sgpr_kernarg_preload_offset 0
		.amdhsa_user_sgpr_private_segment_size 0
		.amdhsa_uses_dynamic_stack 0
		.amdhsa_system_sgpr_private_segment_wavefront_offset 0
		.amdhsa_system_sgpr_workgroup_id_x 1
		.amdhsa_system_sgpr_workgroup_id_y 0
		.amdhsa_system_sgpr_workgroup_id_z 0
		.amdhsa_system_sgpr_workgroup_info 0
		.amdhsa_system_vgpr_workitem_id 0
		.amdhsa_next_free_vgpr 1
		.amdhsa_next_free_sgpr 0
		.amdhsa_accum_offset 4
		.amdhsa_reserve_vcc 0
		.amdhsa_reserve_flat_scratch 0
		.amdhsa_float_round_mode_32 0
		.amdhsa_float_round_mode_16_64 0
		.amdhsa_float_denorm_mode_32 3
		.amdhsa_float_denorm_mode_16_64 3
		.amdhsa_dx10_clamp 1
		.amdhsa_ieee_mode 1
		.amdhsa_fp16_overflow 0
		.amdhsa_tg_split 0
		.amdhsa_exception_fp_ieee_invalid_op 0
		.amdhsa_exception_fp_denorm_src 0
		.amdhsa_exception_fp_ieee_div_zero 0
		.amdhsa_exception_fp_ieee_overflow 0
		.amdhsa_exception_fp_ieee_underflow 0
		.amdhsa_exception_fp_ieee_inexact 0
		.amdhsa_exception_int_div_zero 0
	.end_amdhsa_kernel
	.section	.text._ZN7rocprim17ROCPRIM_400000_NS6detail17trampoline_kernelINS0_14default_configENS1_20scan_config_selectorIdEEZZNS1_9scan_implILNS1_25lookback_scan_determinismE0ELb1ELb1ES3_N6thrust23THRUST_200600_302600_NS6detail15normal_iteratorINS9_10device_ptrIdEEEESE_d11max_functorIdEdEEDaPvRmT3_T4_T5_mT6_P12ihipStream_tbENKUlT_T0_E_clISt17integral_constantIbLb0EEST_IbLb1EEEEDaSP_SQ_EUlSP_E0_NS1_11comp_targetILNS1_3genE3ELNS1_11target_archE908ELNS1_3gpuE7ELNS1_3repE0EEENS1_30default_config_static_selectorELNS0_4arch9wavefront6targetE1EEEvT1_,"axG",@progbits,_ZN7rocprim17ROCPRIM_400000_NS6detail17trampoline_kernelINS0_14default_configENS1_20scan_config_selectorIdEEZZNS1_9scan_implILNS1_25lookback_scan_determinismE0ELb1ELb1ES3_N6thrust23THRUST_200600_302600_NS6detail15normal_iteratorINS9_10device_ptrIdEEEESE_d11max_functorIdEdEEDaPvRmT3_T4_T5_mT6_P12ihipStream_tbENKUlT_T0_E_clISt17integral_constantIbLb0EEST_IbLb1EEEEDaSP_SQ_EUlSP_E0_NS1_11comp_targetILNS1_3genE3ELNS1_11target_archE908ELNS1_3gpuE7ELNS1_3repE0EEENS1_30default_config_static_selectorELNS0_4arch9wavefront6targetE1EEEvT1_,comdat
.Lfunc_end1937:
	.size	_ZN7rocprim17ROCPRIM_400000_NS6detail17trampoline_kernelINS0_14default_configENS1_20scan_config_selectorIdEEZZNS1_9scan_implILNS1_25lookback_scan_determinismE0ELb1ELb1ES3_N6thrust23THRUST_200600_302600_NS6detail15normal_iteratorINS9_10device_ptrIdEEEESE_d11max_functorIdEdEEDaPvRmT3_T4_T5_mT6_P12ihipStream_tbENKUlT_T0_E_clISt17integral_constantIbLb0EEST_IbLb1EEEEDaSP_SQ_EUlSP_E0_NS1_11comp_targetILNS1_3genE3ELNS1_11target_archE908ELNS1_3gpuE7ELNS1_3repE0EEENS1_30default_config_static_selectorELNS0_4arch9wavefront6targetE1EEEvT1_, .Lfunc_end1937-_ZN7rocprim17ROCPRIM_400000_NS6detail17trampoline_kernelINS0_14default_configENS1_20scan_config_selectorIdEEZZNS1_9scan_implILNS1_25lookback_scan_determinismE0ELb1ELb1ES3_N6thrust23THRUST_200600_302600_NS6detail15normal_iteratorINS9_10device_ptrIdEEEESE_d11max_functorIdEdEEDaPvRmT3_T4_T5_mT6_P12ihipStream_tbENKUlT_T0_E_clISt17integral_constantIbLb0EEST_IbLb1EEEEDaSP_SQ_EUlSP_E0_NS1_11comp_targetILNS1_3genE3ELNS1_11target_archE908ELNS1_3gpuE7ELNS1_3repE0EEENS1_30default_config_static_selectorELNS0_4arch9wavefront6targetE1EEEvT1_
                                        ; -- End function
	.section	.AMDGPU.csdata,"",@progbits
; Kernel info:
; codeLenInByte = 0
; NumSgprs: 4
; NumVgprs: 0
; NumAgprs: 0
; TotalNumVgprs: 0
; ScratchSize: 0
; MemoryBound: 0
; FloatMode: 240
; IeeeMode: 1
; LDSByteSize: 0 bytes/workgroup (compile time only)
; SGPRBlocks: 0
; VGPRBlocks: 0
; NumSGPRsForWavesPerEU: 4
; NumVGPRsForWavesPerEU: 1
; AccumOffset: 4
; Occupancy: 8
; WaveLimiterHint : 0
; COMPUTE_PGM_RSRC2:SCRATCH_EN: 0
; COMPUTE_PGM_RSRC2:USER_SGPR: 6
; COMPUTE_PGM_RSRC2:TRAP_HANDLER: 0
; COMPUTE_PGM_RSRC2:TGID_X_EN: 1
; COMPUTE_PGM_RSRC2:TGID_Y_EN: 0
; COMPUTE_PGM_RSRC2:TGID_Z_EN: 0
; COMPUTE_PGM_RSRC2:TIDIG_COMP_CNT: 0
; COMPUTE_PGM_RSRC3_GFX90A:ACCUM_OFFSET: 0
; COMPUTE_PGM_RSRC3_GFX90A:TG_SPLIT: 0
	.section	.text._ZN7rocprim17ROCPRIM_400000_NS6detail17trampoline_kernelINS0_14default_configENS1_20scan_config_selectorIdEEZZNS1_9scan_implILNS1_25lookback_scan_determinismE0ELb1ELb1ES3_N6thrust23THRUST_200600_302600_NS6detail15normal_iteratorINS9_10device_ptrIdEEEESE_d11max_functorIdEdEEDaPvRmT3_T4_T5_mT6_P12ihipStream_tbENKUlT_T0_E_clISt17integral_constantIbLb0EEST_IbLb1EEEEDaSP_SQ_EUlSP_E0_NS1_11comp_targetILNS1_3genE2ELNS1_11target_archE906ELNS1_3gpuE6ELNS1_3repE0EEENS1_30default_config_static_selectorELNS0_4arch9wavefront6targetE1EEEvT1_,"axG",@progbits,_ZN7rocprim17ROCPRIM_400000_NS6detail17trampoline_kernelINS0_14default_configENS1_20scan_config_selectorIdEEZZNS1_9scan_implILNS1_25lookback_scan_determinismE0ELb1ELb1ES3_N6thrust23THRUST_200600_302600_NS6detail15normal_iteratorINS9_10device_ptrIdEEEESE_d11max_functorIdEdEEDaPvRmT3_T4_T5_mT6_P12ihipStream_tbENKUlT_T0_E_clISt17integral_constantIbLb0EEST_IbLb1EEEEDaSP_SQ_EUlSP_E0_NS1_11comp_targetILNS1_3genE2ELNS1_11target_archE906ELNS1_3gpuE6ELNS1_3repE0EEENS1_30default_config_static_selectorELNS0_4arch9wavefront6targetE1EEEvT1_,comdat
	.protected	_ZN7rocprim17ROCPRIM_400000_NS6detail17trampoline_kernelINS0_14default_configENS1_20scan_config_selectorIdEEZZNS1_9scan_implILNS1_25lookback_scan_determinismE0ELb1ELb1ES3_N6thrust23THRUST_200600_302600_NS6detail15normal_iteratorINS9_10device_ptrIdEEEESE_d11max_functorIdEdEEDaPvRmT3_T4_T5_mT6_P12ihipStream_tbENKUlT_T0_E_clISt17integral_constantIbLb0EEST_IbLb1EEEEDaSP_SQ_EUlSP_E0_NS1_11comp_targetILNS1_3genE2ELNS1_11target_archE906ELNS1_3gpuE6ELNS1_3repE0EEENS1_30default_config_static_selectorELNS0_4arch9wavefront6targetE1EEEvT1_ ; -- Begin function _ZN7rocprim17ROCPRIM_400000_NS6detail17trampoline_kernelINS0_14default_configENS1_20scan_config_selectorIdEEZZNS1_9scan_implILNS1_25lookback_scan_determinismE0ELb1ELb1ES3_N6thrust23THRUST_200600_302600_NS6detail15normal_iteratorINS9_10device_ptrIdEEEESE_d11max_functorIdEdEEDaPvRmT3_T4_T5_mT6_P12ihipStream_tbENKUlT_T0_E_clISt17integral_constantIbLb0EEST_IbLb1EEEEDaSP_SQ_EUlSP_E0_NS1_11comp_targetILNS1_3genE2ELNS1_11target_archE906ELNS1_3gpuE6ELNS1_3repE0EEENS1_30default_config_static_selectorELNS0_4arch9wavefront6targetE1EEEvT1_
	.globl	_ZN7rocprim17ROCPRIM_400000_NS6detail17trampoline_kernelINS0_14default_configENS1_20scan_config_selectorIdEEZZNS1_9scan_implILNS1_25lookback_scan_determinismE0ELb1ELb1ES3_N6thrust23THRUST_200600_302600_NS6detail15normal_iteratorINS9_10device_ptrIdEEEESE_d11max_functorIdEdEEDaPvRmT3_T4_T5_mT6_P12ihipStream_tbENKUlT_T0_E_clISt17integral_constantIbLb0EEST_IbLb1EEEEDaSP_SQ_EUlSP_E0_NS1_11comp_targetILNS1_3genE2ELNS1_11target_archE906ELNS1_3gpuE6ELNS1_3repE0EEENS1_30default_config_static_selectorELNS0_4arch9wavefront6targetE1EEEvT1_
	.p2align	8
	.type	_ZN7rocprim17ROCPRIM_400000_NS6detail17trampoline_kernelINS0_14default_configENS1_20scan_config_selectorIdEEZZNS1_9scan_implILNS1_25lookback_scan_determinismE0ELb1ELb1ES3_N6thrust23THRUST_200600_302600_NS6detail15normal_iteratorINS9_10device_ptrIdEEEESE_d11max_functorIdEdEEDaPvRmT3_T4_T5_mT6_P12ihipStream_tbENKUlT_T0_E_clISt17integral_constantIbLb0EEST_IbLb1EEEEDaSP_SQ_EUlSP_E0_NS1_11comp_targetILNS1_3genE2ELNS1_11target_archE906ELNS1_3gpuE6ELNS1_3repE0EEENS1_30default_config_static_selectorELNS0_4arch9wavefront6targetE1EEEvT1_,@function
_ZN7rocprim17ROCPRIM_400000_NS6detail17trampoline_kernelINS0_14default_configENS1_20scan_config_selectorIdEEZZNS1_9scan_implILNS1_25lookback_scan_determinismE0ELb1ELb1ES3_N6thrust23THRUST_200600_302600_NS6detail15normal_iteratorINS9_10device_ptrIdEEEESE_d11max_functorIdEdEEDaPvRmT3_T4_T5_mT6_P12ihipStream_tbENKUlT_T0_E_clISt17integral_constantIbLb0EEST_IbLb1EEEEDaSP_SQ_EUlSP_E0_NS1_11comp_targetILNS1_3genE2ELNS1_11target_archE906ELNS1_3gpuE6ELNS1_3repE0EEENS1_30default_config_static_selectorELNS0_4arch9wavefront6targetE1EEEvT1_: ; @_ZN7rocprim17ROCPRIM_400000_NS6detail17trampoline_kernelINS0_14default_configENS1_20scan_config_selectorIdEEZZNS1_9scan_implILNS1_25lookback_scan_determinismE0ELb1ELb1ES3_N6thrust23THRUST_200600_302600_NS6detail15normal_iteratorINS9_10device_ptrIdEEEESE_d11max_functorIdEdEEDaPvRmT3_T4_T5_mT6_P12ihipStream_tbENKUlT_T0_E_clISt17integral_constantIbLb0EEST_IbLb1EEEEDaSP_SQ_EUlSP_E0_NS1_11comp_targetILNS1_3genE2ELNS1_11target_archE906ELNS1_3gpuE6ELNS1_3repE0EEENS1_30default_config_static_selectorELNS0_4arch9wavefront6targetE1EEEvT1_
; %bb.0:
	.section	.rodata,"a",@progbits
	.p2align	6, 0x0
	.amdhsa_kernel _ZN7rocprim17ROCPRIM_400000_NS6detail17trampoline_kernelINS0_14default_configENS1_20scan_config_selectorIdEEZZNS1_9scan_implILNS1_25lookback_scan_determinismE0ELb1ELb1ES3_N6thrust23THRUST_200600_302600_NS6detail15normal_iteratorINS9_10device_ptrIdEEEESE_d11max_functorIdEdEEDaPvRmT3_T4_T5_mT6_P12ihipStream_tbENKUlT_T0_E_clISt17integral_constantIbLb0EEST_IbLb1EEEEDaSP_SQ_EUlSP_E0_NS1_11comp_targetILNS1_3genE2ELNS1_11target_archE906ELNS1_3gpuE6ELNS1_3repE0EEENS1_30default_config_static_selectorELNS0_4arch9wavefront6targetE1EEEvT1_
		.amdhsa_group_segment_fixed_size 0
		.amdhsa_private_segment_fixed_size 0
		.amdhsa_kernarg_size 40
		.amdhsa_user_sgpr_count 6
		.amdhsa_user_sgpr_private_segment_buffer 1
		.amdhsa_user_sgpr_dispatch_ptr 0
		.amdhsa_user_sgpr_queue_ptr 0
		.amdhsa_user_sgpr_kernarg_segment_ptr 1
		.amdhsa_user_sgpr_dispatch_id 0
		.amdhsa_user_sgpr_flat_scratch_init 0
		.amdhsa_user_sgpr_kernarg_preload_length 0
		.amdhsa_user_sgpr_kernarg_preload_offset 0
		.amdhsa_user_sgpr_private_segment_size 0
		.amdhsa_uses_dynamic_stack 0
		.amdhsa_system_sgpr_private_segment_wavefront_offset 0
		.amdhsa_system_sgpr_workgroup_id_x 1
		.amdhsa_system_sgpr_workgroup_id_y 0
		.amdhsa_system_sgpr_workgroup_id_z 0
		.amdhsa_system_sgpr_workgroup_info 0
		.amdhsa_system_vgpr_workitem_id 0
		.amdhsa_next_free_vgpr 1
		.amdhsa_next_free_sgpr 0
		.amdhsa_accum_offset 4
		.amdhsa_reserve_vcc 0
		.amdhsa_reserve_flat_scratch 0
		.amdhsa_float_round_mode_32 0
		.amdhsa_float_round_mode_16_64 0
		.amdhsa_float_denorm_mode_32 3
		.amdhsa_float_denorm_mode_16_64 3
		.amdhsa_dx10_clamp 1
		.amdhsa_ieee_mode 1
		.amdhsa_fp16_overflow 0
		.amdhsa_tg_split 0
		.amdhsa_exception_fp_ieee_invalid_op 0
		.amdhsa_exception_fp_denorm_src 0
		.amdhsa_exception_fp_ieee_div_zero 0
		.amdhsa_exception_fp_ieee_overflow 0
		.amdhsa_exception_fp_ieee_underflow 0
		.amdhsa_exception_fp_ieee_inexact 0
		.amdhsa_exception_int_div_zero 0
	.end_amdhsa_kernel
	.section	.text._ZN7rocprim17ROCPRIM_400000_NS6detail17trampoline_kernelINS0_14default_configENS1_20scan_config_selectorIdEEZZNS1_9scan_implILNS1_25lookback_scan_determinismE0ELb1ELb1ES3_N6thrust23THRUST_200600_302600_NS6detail15normal_iteratorINS9_10device_ptrIdEEEESE_d11max_functorIdEdEEDaPvRmT3_T4_T5_mT6_P12ihipStream_tbENKUlT_T0_E_clISt17integral_constantIbLb0EEST_IbLb1EEEEDaSP_SQ_EUlSP_E0_NS1_11comp_targetILNS1_3genE2ELNS1_11target_archE906ELNS1_3gpuE6ELNS1_3repE0EEENS1_30default_config_static_selectorELNS0_4arch9wavefront6targetE1EEEvT1_,"axG",@progbits,_ZN7rocprim17ROCPRIM_400000_NS6detail17trampoline_kernelINS0_14default_configENS1_20scan_config_selectorIdEEZZNS1_9scan_implILNS1_25lookback_scan_determinismE0ELb1ELb1ES3_N6thrust23THRUST_200600_302600_NS6detail15normal_iteratorINS9_10device_ptrIdEEEESE_d11max_functorIdEdEEDaPvRmT3_T4_T5_mT6_P12ihipStream_tbENKUlT_T0_E_clISt17integral_constantIbLb0EEST_IbLb1EEEEDaSP_SQ_EUlSP_E0_NS1_11comp_targetILNS1_3genE2ELNS1_11target_archE906ELNS1_3gpuE6ELNS1_3repE0EEENS1_30default_config_static_selectorELNS0_4arch9wavefront6targetE1EEEvT1_,comdat
.Lfunc_end1938:
	.size	_ZN7rocprim17ROCPRIM_400000_NS6detail17trampoline_kernelINS0_14default_configENS1_20scan_config_selectorIdEEZZNS1_9scan_implILNS1_25lookback_scan_determinismE0ELb1ELb1ES3_N6thrust23THRUST_200600_302600_NS6detail15normal_iteratorINS9_10device_ptrIdEEEESE_d11max_functorIdEdEEDaPvRmT3_T4_T5_mT6_P12ihipStream_tbENKUlT_T0_E_clISt17integral_constantIbLb0EEST_IbLb1EEEEDaSP_SQ_EUlSP_E0_NS1_11comp_targetILNS1_3genE2ELNS1_11target_archE906ELNS1_3gpuE6ELNS1_3repE0EEENS1_30default_config_static_selectorELNS0_4arch9wavefront6targetE1EEEvT1_, .Lfunc_end1938-_ZN7rocprim17ROCPRIM_400000_NS6detail17trampoline_kernelINS0_14default_configENS1_20scan_config_selectorIdEEZZNS1_9scan_implILNS1_25lookback_scan_determinismE0ELb1ELb1ES3_N6thrust23THRUST_200600_302600_NS6detail15normal_iteratorINS9_10device_ptrIdEEEESE_d11max_functorIdEdEEDaPvRmT3_T4_T5_mT6_P12ihipStream_tbENKUlT_T0_E_clISt17integral_constantIbLb0EEST_IbLb1EEEEDaSP_SQ_EUlSP_E0_NS1_11comp_targetILNS1_3genE2ELNS1_11target_archE906ELNS1_3gpuE6ELNS1_3repE0EEENS1_30default_config_static_selectorELNS0_4arch9wavefront6targetE1EEEvT1_
                                        ; -- End function
	.section	.AMDGPU.csdata,"",@progbits
; Kernel info:
; codeLenInByte = 0
; NumSgprs: 4
; NumVgprs: 0
; NumAgprs: 0
; TotalNumVgprs: 0
; ScratchSize: 0
; MemoryBound: 0
; FloatMode: 240
; IeeeMode: 1
; LDSByteSize: 0 bytes/workgroup (compile time only)
; SGPRBlocks: 0
; VGPRBlocks: 0
; NumSGPRsForWavesPerEU: 4
; NumVGPRsForWavesPerEU: 1
; AccumOffset: 4
; Occupancy: 8
; WaveLimiterHint : 0
; COMPUTE_PGM_RSRC2:SCRATCH_EN: 0
; COMPUTE_PGM_RSRC2:USER_SGPR: 6
; COMPUTE_PGM_RSRC2:TRAP_HANDLER: 0
; COMPUTE_PGM_RSRC2:TGID_X_EN: 1
; COMPUTE_PGM_RSRC2:TGID_Y_EN: 0
; COMPUTE_PGM_RSRC2:TGID_Z_EN: 0
; COMPUTE_PGM_RSRC2:TIDIG_COMP_CNT: 0
; COMPUTE_PGM_RSRC3_GFX90A:ACCUM_OFFSET: 0
; COMPUTE_PGM_RSRC3_GFX90A:TG_SPLIT: 0
	.section	.text._ZN7rocprim17ROCPRIM_400000_NS6detail17trampoline_kernelINS0_14default_configENS1_20scan_config_selectorIdEEZZNS1_9scan_implILNS1_25lookback_scan_determinismE0ELb1ELb1ES3_N6thrust23THRUST_200600_302600_NS6detail15normal_iteratorINS9_10device_ptrIdEEEESE_d11max_functorIdEdEEDaPvRmT3_T4_T5_mT6_P12ihipStream_tbENKUlT_T0_E_clISt17integral_constantIbLb0EEST_IbLb1EEEEDaSP_SQ_EUlSP_E0_NS1_11comp_targetILNS1_3genE10ELNS1_11target_archE1201ELNS1_3gpuE5ELNS1_3repE0EEENS1_30default_config_static_selectorELNS0_4arch9wavefront6targetE1EEEvT1_,"axG",@progbits,_ZN7rocprim17ROCPRIM_400000_NS6detail17trampoline_kernelINS0_14default_configENS1_20scan_config_selectorIdEEZZNS1_9scan_implILNS1_25lookback_scan_determinismE0ELb1ELb1ES3_N6thrust23THRUST_200600_302600_NS6detail15normal_iteratorINS9_10device_ptrIdEEEESE_d11max_functorIdEdEEDaPvRmT3_T4_T5_mT6_P12ihipStream_tbENKUlT_T0_E_clISt17integral_constantIbLb0EEST_IbLb1EEEEDaSP_SQ_EUlSP_E0_NS1_11comp_targetILNS1_3genE10ELNS1_11target_archE1201ELNS1_3gpuE5ELNS1_3repE0EEENS1_30default_config_static_selectorELNS0_4arch9wavefront6targetE1EEEvT1_,comdat
	.protected	_ZN7rocprim17ROCPRIM_400000_NS6detail17trampoline_kernelINS0_14default_configENS1_20scan_config_selectorIdEEZZNS1_9scan_implILNS1_25lookback_scan_determinismE0ELb1ELb1ES3_N6thrust23THRUST_200600_302600_NS6detail15normal_iteratorINS9_10device_ptrIdEEEESE_d11max_functorIdEdEEDaPvRmT3_T4_T5_mT6_P12ihipStream_tbENKUlT_T0_E_clISt17integral_constantIbLb0EEST_IbLb1EEEEDaSP_SQ_EUlSP_E0_NS1_11comp_targetILNS1_3genE10ELNS1_11target_archE1201ELNS1_3gpuE5ELNS1_3repE0EEENS1_30default_config_static_selectorELNS0_4arch9wavefront6targetE1EEEvT1_ ; -- Begin function _ZN7rocprim17ROCPRIM_400000_NS6detail17trampoline_kernelINS0_14default_configENS1_20scan_config_selectorIdEEZZNS1_9scan_implILNS1_25lookback_scan_determinismE0ELb1ELb1ES3_N6thrust23THRUST_200600_302600_NS6detail15normal_iteratorINS9_10device_ptrIdEEEESE_d11max_functorIdEdEEDaPvRmT3_T4_T5_mT6_P12ihipStream_tbENKUlT_T0_E_clISt17integral_constantIbLb0EEST_IbLb1EEEEDaSP_SQ_EUlSP_E0_NS1_11comp_targetILNS1_3genE10ELNS1_11target_archE1201ELNS1_3gpuE5ELNS1_3repE0EEENS1_30default_config_static_selectorELNS0_4arch9wavefront6targetE1EEEvT1_
	.globl	_ZN7rocprim17ROCPRIM_400000_NS6detail17trampoline_kernelINS0_14default_configENS1_20scan_config_selectorIdEEZZNS1_9scan_implILNS1_25lookback_scan_determinismE0ELb1ELb1ES3_N6thrust23THRUST_200600_302600_NS6detail15normal_iteratorINS9_10device_ptrIdEEEESE_d11max_functorIdEdEEDaPvRmT3_T4_T5_mT6_P12ihipStream_tbENKUlT_T0_E_clISt17integral_constantIbLb0EEST_IbLb1EEEEDaSP_SQ_EUlSP_E0_NS1_11comp_targetILNS1_3genE10ELNS1_11target_archE1201ELNS1_3gpuE5ELNS1_3repE0EEENS1_30default_config_static_selectorELNS0_4arch9wavefront6targetE1EEEvT1_
	.p2align	8
	.type	_ZN7rocprim17ROCPRIM_400000_NS6detail17trampoline_kernelINS0_14default_configENS1_20scan_config_selectorIdEEZZNS1_9scan_implILNS1_25lookback_scan_determinismE0ELb1ELb1ES3_N6thrust23THRUST_200600_302600_NS6detail15normal_iteratorINS9_10device_ptrIdEEEESE_d11max_functorIdEdEEDaPvRmT3_T4_T5_mT6_P12ihipStream_tbENKUlT_T0_E_clISt17integral_constantIbLb0EEST_IbLb1EEEEDaSP_SQ_EUlSP_E0_NS1_11comp_targetILNS1_3genE10ELNS1_11target_archE1201ELNS1_3gpuE5ELNS1_3repE0EEENS1_30default_config_static_selectorELNS0_4arch9wavefront6targetE1EEEvT1_,@function
_ZN7rocprim17ROCPRIM_400000_NS6detail17trampoline_kernelINS0_14default_configENS1_20scan_config_selectorIdEEZZNS1_9scan_implILNS1_25lookback_scan_determinismE0ELb1ELb1ES3_N6thrust23THRUST_200600_302600_NS6detail15normal_iteratorINS9_10device_ptrIdEEEESE_d11max_functorIdEdEEDaPvRmT3_T4_T5_mT6_P12ihipStream_tbENKUlT_T0_E_clISt17integral_constantIbLb0EEST_IbLb1EEEEDaSP_SQ_EUlSP_E0_NS1_11comp_targetILNS1_3genE10ELNS1_11target_archE1201ELNS1_3gpuE5ELNS1_3repE0EEENS1_30default_config_static_selectorELNS0_4arch9wavefront6targetE1EEEvT1_: ; @_ZN7rocprim17ROCPRIM_400000_NS6detail17trampoline_kernelINS0_14default_configENS1_20scan_config_selectorIdEEZZNS1_9scan_implILNS1_25lookback_scan_determinismE0ELb1ELb1ES3_N6thrust23THRUST_200600_302600_NS6detail15normal_iteratorINS9_10device_ptrIdEEEESE_d11max_functorIdEdEEDaPvRmT3_T4_T5_mT6_P12ihipStream_tbENKUlT_T0_E_clISt17integral_constantIbLb0EEST_IbLb1EEEEDaSP_SQ_EUlSP_E0_NS1_11comp_targetILNS1_3genE10ELNS1_11target_archE1201ELNS1_3gpuE5ELNS1_3repE0EEENS1_30default_config_static_selectorELNS0_4arch9wavefront6targetE1EEEvT1_
; %bb.0:
	.section	.rodata,"a",@progbits
	.p2align	6, 0x0
	.amdhsa_kernel _ZN7rocprim17ROCPRIM_400000_NS6detail17trampoline_kernelINS0_14default_configENS1_20scan_config_selectorIdEEZZNS1_9scan_implILNS1_25lookback_scan_determinismE0ELb1ELb1ES3_N6thrust23THRUST_200600_302600_NS6detail15normal_iteratorINS9_10device_ptrIdEEEESE_d11max_functorIdEdEEDaPvRmT3_T4_T5_mT6_P12ihipStream_tbENKUlT_T0_E_clISt17integral_constantIbLb0EEST_IbLb1EEEEDaSP_SQ_EUlSP_E0_NS1_11comp_targetILNS1_3genE10ELNS1_11target_archE1201ELNS1_3gpuE5ELNS1_3repE0EEENS1_30default_config_static_selectorELNS0_4arch9wavefront6targetE1EEEvT1_
		.amdhsa_group_segment_fixed_size 0
		.amdhsa_private_segment_fixed_size 0
		.amdhsa_kernarg_size 40
		.amdhsa_user_sgpr_count 6
		.amdhsa_user_sgpr_private_segment_buffer 1
		.amdhsa_user_sgpr_dispatch_ptr 0
		.amdhsa_user_sgpr_queue_ptr 0
		.amdhsa_user_sgpr_kernarg_segment_ptr 1
		.amdhsa_user_sgpr_dispatch_id 0
		.amdhsa_user_sgpr_flat_scratch_init 0
		.amdhsa_user_sgpr_kernarg_preload_length 0
		.amdhsa_user_sgpr_kernarg_preload_offset 0
		.amdhsa_user_sgpr_private_segment_size 0
		.amdhsa_uses_dynamic_stack 0
		.amdhsa_system_sgpr_private_segment_wavefront_offset 0
		.amdhsa_system_sgpr_workgroup_id_x 1
		.amdhsa_system_sgpr_workgroup_id_y 0
		.amdhsa_system_sgpr_workgroup_id_z 0
		.amdhsa_system_sgpr_workgroup_info 0
		.amdhsa_system_vgpr_workitem_id 0
		.amdhsa_next_free_vgpr 1
		.amdhsa_next_free_sgpr 0
		.amdhsa_accum_offset 4
		.amdhsa_reserve_vcc 0
		.amdhsa_reserve_flat_scratch 0
		.amdhsa_float_round_mode_32 0
		.amdhsa_float_round_mode_16_64 0
		.amdhsa_float_denorm_mode_32 3
		.amdhsa_float_denorm_mode_16_64 3
		.amdhsa_dx10_clamp 1
		.amdhsa_ieee_mode 1
		.amdhsa_fp16_overflow 0
		.amdhsa_tg_split 0
		.amdhsa_exception_fp_ieee_invalid_op 0
		.amdhsa_exception_fp_denorm_src 0
		.amdhsa_exception_fp_ieee_div_zero 0
		.amdhsa_exception_fp_ieee_overflow 0
		.amdhsa_exception_fp_ieee_underflow 0
		.amdhsa_exception_fp_ieee_inexact 0
		.amdhsa_exception_int_div_zero 0
	.end_amdhsa_kernel
	.section	.text._ZN7rocprim17ROCPRIM_400000_NS6detail17trampoline_kernelINS0_14default_configENS1_20scan_config_selectorIdEEZZNS1_9scan_implILNS1_25lookback_scan_determinismE0ELb1ELb1ES3_N6thrust23THRUST_200600_302600_NS6detail15normal_iteratorINS9_10device_ptrIdEEEESE_d11max_functorIdEdEEDaPvRmT3_T4_T5_mT6_P12ihipStream_tbENKUlT_T0_E_clISt17integral_constantIbLb0EEST_IbLb1EEEEDaSP_SQ_EUlSP_E0_NS1_11comp_targetILNS1_3genE10ELNS1_11target_archE1201ELNS1_3gpuE5ELNS1_3repE0EEENS1_30default_config_static_selectorELNS0_4arch9wavefront6targetE1EEEvT1_,"axG",@progbits,_ZN7rocprim17ROCPRIM_400000_NS6detail17trampoline_kernelINS0_14default_configENS1_20scan_config_selectorIdEEZZNS1_9scan_implILNS1_25lookback_scan_determinismE0ELb1ELb1ES3_N6thrust23THRUST_200600_302600_NS6detail15normal_iteratorINS9_10device_ptrIdEEEESE_d11max_functorIdEdEEDaPvRmT3_T4_T5_mT6_P12ihipStream_tbENKUlT_T0_E_clISt17integral_constantIbLb0EEST_IbLb1EEEEDaSP_SQ_EUlSP_E0_NS1_11comp_targetILNS1_3genE10ELNS1_11target_archE1201ELNS1_3gpuE5ELNS1_3repE0EEENS1_30default_config_static_selectorELNS0_4arch9wavefront6targetE1EEEvT1_,comdat
.Lfunc_end1939:
	.size	_ZN7rocprim17ROCPRIM_400000_NS6detail17trampoline_kernelINS0_14default_configENS1_20scan_config_selectorIdEEZZNS1_9scan_implILNS1_25lookback_scan_determinismE0ELb1ELb1ES3_N6thrust23THRUST_200600_302600_NS6detail15normal_iteratorINS9_10device_ptrIdEEEESE_d11max_functorIdEdEEDaPvRmT3_T4_T5_mT6_P12ihipStream_tbENKUlT_T0_E_clISt17integral_constantIbLb0EEST_IbLb1EEEEDaSP_SQ_EUlSP_E0_NS1_11comp_targetILNS1_3genE10ELNS1_11target_archE1201ELNS1_3gpuE5ELNS1_3repE0EEENS1_30default_config_static_selectorELNS0_4arch9wavefront6targetE1EEEvT1_, .Lfunc_end1939-_ZN7rocprim17ROCPRIM_400000_NS6detail17trampoline_kernelINS0_14default_configENS1_20scan_config_selectorIdEEZZNS1_9scan_implILNS1_25lookback_scan_determinismE0ELb1ELb1ES3_N6thrust23THRUST_200600_302600_NS6detail15normal_iteratorINS9_10device_ptrIdEEEESE_d11max_functorIdEdEEDaPvRmT3_T4_T5_mT6_P12ihipStream_tbENKUlT_T0_E_clISt17integral_constantIbLb0EEST_IbLb1EEEEDaSP_SQ_EUlSP_E0_NS1_11comp_targetILNS1_3genE10ELNS1_11target_archE1201ELNS1_3gpuE5ELNS1_3repE0EEENS1_30default_config_static_selectorELNS0_4arch9wavefront6targetE1EEEvT1_
                                        ; -- End function
	.section	.AMDGPU.csdata,"",@progbits
; Kernel info:
; codeLenInByte = 0
; NumSgprs: 4
; NumVgprs: 0
; NumAgprs: 0
; TotalNumVgprs: 0
; ScratchSize: 0
; MemoryBound: 0
; FloatMode: 240
; IeeeMode: 1
; LDSByteSize: 0 bytes/workgroup (compile time only)
; SGPRBlocks: 0
; VGPRBlocks: 0
; NumSGPRsForWavesPerEU: 4
; NumVGPRsForWavesPerEU: 1
; AccumOffset: 4
; Occupancy: 8
; WaveLimiterHint : 0
; COMPUTE_PGM_RSRC2:SCRATCH_EN: 0
; COMPUTE_PGM_RSRC2:USER_SGPR: 6
; COMPUTE_PGM_RSRC2:TRAP_HANDLER: 0
; COMPUTE_PGM_RSRC2:TGID_X_EN: 1
; COMPUTE_PGM_RSRC2:TGID_Y_EN: 0
; COMPUTE_PGM_RSRC2:TGID_Z_EN: 0
; COMPUTE_PGM_RSRC2:TIDIG_COMP_CNT: 0
; COMPUTE_PGM_RSRC3_GFX90A:ACCUM_OFFSET: 0
; COMPUTE_PGM_RSRC3_GFX90A:TG_SPLIT: 0
	.section	.text._ZN7rocprim17ROCPRIM_400000_NS6detail17trampoline_kernelINS0_14default_configENS1_20scan_config_selectorIdEEZZNS1_9scan_implILNS1_25lookback_scan_determinismE0ELb1ELb1ES3_N6thrust23THRUST_200600_302600_NS6detail15normal_iteratorINS9_10device_ptrIdEEEESE_d11max_functorIdEdEEDaPvRmT3_T4_T5_mT6_P12ihipStream_tbENKUlT_T0_E_clISt17integral_constantIbLb0EEST_IbLb1EEEEDaSP_SQ_EUlSP_E0_NS1_11comp_targetILNS1_3genE10ELNS1_11target_archE1200ELNS1_3gpuE4ELNS1_3repE0EEENS1_30default_config_static_selectorELNS0_4arch9wavefront6targetE1EEEvT1_,"axG",@progbits,_ZN7rocprim17ROCPRIM_400000_NS6detail17trampoline_kernelINS0_14default_configENS1_20scan_config_selectorIdEEZZNS1_9scan_implILNS1_25lookback_scan_determinismE0ELb1ELb1ES3_N6thrust23THRUST_200600_302600_NS6detail15normal_iteratorINS9_10device_ptrIdEEEESE_d11max_functorIdEdEEDaPvRmT3_T4_T5_mT6_P12ihipStream_tbENKUlT_T0_E_clISt17integral_constantIbLb0EEST_IbLb1EEEEDaSP_SQ_EUlSP_E0_NS1_11comp_targetILNS1_3genE10ELNS1_11target_archE1200ELNS1_3gpuE4ELNS1_3repE0EEENS1_30default_config_static_selectorELNS0_4arch9wavefront6targetE1EEEvT1_,comdat
	.protected	_ZN7rocprim17ROCPRIM_400000_NS6detail17trampoline_kernelINS0_14default_configENS1_20scan_config_selectorIdEEZZNS1_9scan_implILNS1_25lookback_scan_determinismE0ELb1ELb1ES3_N6thrust23THRUST_200600_302600_NS6detail15normal_iteratorINS9_10device_ptrIdEEEESE_d11max_functorIdEdEEDaPvRmT3_T4_T5_mT6_P12ihipStream_tbENKUlT_T0_E_clISt17integral_constantIbLb0EEST_IbLb1EEEEDaSP_SQ_EUlSP_E0_NS1_11comp_targetILNS1_3genE10ELNS1_11target_archE1200ELNS1_3gpuE4ELNS1_3repE0EEENS1_30default_config_static_selectorELNS0_4arch9wavefront6targetE1EEEvT1_ ; -- Begin function _ZN7rocprim17ROCPRIM_400000_NS6detail17trampoline_kernelINS0_14default_configENS1_20scan_config_selectorIdEEZZNS1_9scan_implILNS1_25lookback_scan_determinismE0ELb1ELb1ES3_N6thrust23THRUST_200600_302600_NS6detail15normal_iteratorINS9_10device_ptrIdEEEESE_d11max_functorIdEdEEDaPvRmT3_T4_T5_mT6_P12ihipStream_tbENKUlT_T0_E_clISt17integral_constantIbLb0EEST_IbLb1EEEEDaSP_SQ_EUlSP_E0_NS1_11comp_targetILNS1_3genE10ELNS1_11target_archE1200ELNS1_3gpuE4ELNS1_3repE0EEENS1_30default_config_static_selectorELNS0_4arch9wavefront6targetE1EEEvT1_
	.globl	_ZN7rocprim17ROCPRIM_400000_NS6detail17trampoline_kernelINS0_14default_configENS1_20scan_config_selectorIdEEZZNS1_9scan_implILNS1_25lookback_scan_determinismE0ELb1ELb1ES3_N6thrust23THRUST_200600_302600_NS6detail15normal_iteratorINS9_10device_ptrIdEEEESE_d11max_functorIdEdEEDaPvRmT3_T4_T5_mT6_P12ihipStream_tbENKUlT_T0_E_clISt17integral_constantIbLb0EEST_IbLb1EEEEDaSP_SQ_EUlSP_E0_NS1_11comp_targetILNS1_3genE10ELNS1_11target_archE1200ELNS1_3gpuE4ELNS1_3repE0EEENS1_30default_config_static_selectorELNS0_4arch9wavefront6targetE1EEEvT1_
	.p2align	8
	.type	_ZN7rocprim17ROCPRIM_400000_NS6detail17trampoline_kernelINS0_14default_configENS1_20scan_config_selectorIdEEZZNS1_9scan_implILNS1_25lookback_scan_determinismE0ELb1ELb1ES3_N6thrust23THRUST_200600_302600_NS6detail15normal_iteratorINS9_10device_ptrIdEEEESE_d11max_functorIdEdEEDaPvRmT3_T4_T5_mT6_P12ihipStream_tbENKUlT_T0_E_clISt17integral_constantIbLb0EEST_IbLb1EEEEDaSP_SQ_EUlSP_E0_NS1_11comp_targetILNS1_3genE10ELNS1_11target_archE1200ELNS1_3gpuE4ELNS1_3repE0EEENS1_30default_config_static_selectorELNS0_4arch9wavefront6targetE1EEEvT1_,@function
_ZN7rocprim17ROCPRIM_400000_NS6detail17trampoline_kernelINS0_14default_configENS1_20scan_config_selectorIdEEZZNS1_9scan_implILNS1_25lookback_scan_determinismE0ELb1ELb1ES3_N6thrust23THRUST_200600_302600_NS6detail15normal_iteratorINS9_10device_ptrIdEEEESE_d11max_functorIdEdEEDaPvRmT3_T4_T5_mT6_P12ihipStream_tbENKUlT_T0_E_clISt17integral_constantIbLb0EEST_IbLb1EEEEDaSP_SQ_EUlSP_E0_NS1_11comp_targetILNS1_3genE10ELNS1_11target_archE1200ELNS1_3gpuE4ELNS1_3repE0EEENS1_30default_config_static_selectorELNS0_4arch9wavefront6targetE1EEEvT1_: ; @_ZN7rocprim17ROCPRIM_400000_NS6detail17trampoline_kernelINS0_14default_configENS1_20scan_config_selectorIdEEZZNS1_9scan_implILNS1_25lookback_scan_determinismE0ELb1ELb1ES3_N6thrust23THRUST_200600_302600_NS6detail15normal_iteratorINS9_10device_ptrIdEEEESE_d11max_functorIdEdEEDaPvRmT3_T4_T5_mT6_P12ihipStream_tbENKUlT_T0_E_clISt17integral_constantIbLb0EEST_IbLb1EEEEDaSP_SQ_EUlSP_E0_NS1_11comp_targetILNS1_3genE10ELNS1_11target_archE1200ELNS1_3gpuE4ELNS1_3repE0EEENS1_30default_config_static_selectorELNS0_4arch9wavefront6targetE1EEEvT1_
; %bb.0:
	.section	.rodata,"a",@progbits
	.p2align	6, 0x0
	.amdhsa_kernel _ZN7rocprim17ROCPRIM_400000_NS6detail17trampoline_kernelINS0_14default_configENS1_20scan_config_selectorIdEEZZNS1_9scan_implILNS1_25lookback_scan_determinismE0ELb1ELb1ES3_N6thrust23THRUST_200600_302600_NS6detail15normal_iteratorINS9_10device_ptrIdEEEESE_d11max_functorIdEdEEDaPvRmT3_T4_T5_mT6_P12ihipStream_tbENKUlT_T0_E_clISt17integral_constantIbLb0EEST_IbLb1EEEEDaSP_SQ_EUlSP_E0_NS1_11comp_targetILNS1_3genE10ELNS1_11target_archE1200ELNS1_3gpuE4ELNS1_3repE0EEENS1_30default_config_static_selectorELNS0_4arch9wavefront6targetE1EEEvT1_
		.amdhsa_group_segment_fixed_size 0
		.amdhsa_private_segment_fixed_size 0
		.amdhsa_kernarg_size 40
		.amdhsa_user_sgpr_count 6
		.amdhsa_user_sgpr_private_segment_buffer 1
		.amdhsa_user_sgpr_dispatch_ptr 0
		.amdhsa_user_sgpr_queue_ptr 0
		.amdhsa_user_sgpr_kernarg_segment_ptr 1
		.amdhsa_user_sgpr_dispatch_id 0
		.amdhsa_user_sgpr_flat_scratch_init 0
		.amdhsa_user_sgpr_kernarg_preload_length 0
		.amdhsa_user_sgpr_kernarg_preload_offset 0
		.amdhsa_user_sgpr_private_segment_size 0
		.amdhsa_uses_dynamic_stack 0
		.amdhsa_system_sgpr_private_segment_wavefront_offset 0
		.amdhsa_system_sgpr_workgroup_id_x 1
		.amdhsa_system_sgpr_workgroup_id_y 0
		.amdhsa_system_sgpr_workgroup_id_z 0
		.amdhsa_system_sgpr_workgroup_info 0
		.amdhsa_system_vgpr_workitem_id 0
		.amdhsa_next_free_vgpr 1
		.amdhsa_next_free_sgpr 0
		.amdhsa_accum_offset 4
		.amdhsa_reserve_vcc 0
		.amdhsa_reserve_flat_scratch 0
		.amdhsa_float_round_mode_32 0
		.amdhsa_float_round_mode_16_64 0
		.amdhsa_float_denorm_mode_32 3
		.amdhsa_float_denorm_mode_16_64 3
		.amdhsa_dx10_clamp 1
		.amdhsa_ieee_mode 1
		.amdhsa_fp16_overflow 0
		.amdhsa_tg_split 0
		.amdhsa_exception_fp_ieee_invalid_op 0
		.amdhsa_exception_fp_denorm_src 0
		.amdhsa_exception_fp_ieee_div_zero 0
		.amdhsa_exception_fp_ieee_overflow 0
		.amdhsa_exception_fp_ieee_underflow 0
		.amdhsa_exception_fp_ieee_inexact 0
		.amdhsa_exception_int_div_zero 0
	.end_amdhsa_kernel
	.section	.text._ZN7rocprim17ROCPRIM_400000_NS6detail17trampoline_kernelINS0_14default_configENS1_20scan_config_selectorIdEEZZNS1_9scan_implILNS1_25lookback_scan_determinismE0ELb1ELb1ES3_N6thrust23THRUST_200600_302600_NS6detail15normal_iteratorINS9_10device_ptrIdEEEESE_d11max_functorIdEdEEDaPvRmT3_T4_T5_mT6_P12ihipStream_tbENKUlT_T0_E_clISt17integral_constantIbLb0EEST_IbLb1EEEEDaSP_SQ_EUlSP_E0_NS1_11comp_targetILNS1_3genE10ELNS1_11target_archE1200ELNS1_3gpuE4ELNS1_3repE0EEENS1_30default_config_static_selectorELNS0_4arch9wavefront6targetE1EEEvT1_,"axG",@progbits,_ZN7rocprim17ROCPRIM_400000_NS6detail17trampoline_kernelINS0_14default_configENS1_20scan_config_selectorIdEEZZNS1_9scan_implILNS1_25lookback_scan_determinismE0ELb1ELb1ES3_N6thrust23THRUST_200600_302600_NS6detail15normal_iteratorINS9_10device_ptrIdEEEESE_d11max_functorIdEdEEDaPvRmT3_T4_T5_mT6_P12ihipStream_tbENKUlT_T0_E_clISt17integral_constantIbLb0EEST_IbLb1EEEEDaSP_SQ_EUlSP_E0_NS1_11comp_targetILNS1_3genE10ELNS1_11target_archE1200ELNS1_3gpuE4ELNS1_3repE0EEENS1_30default_config_static_selectorELNS0_4arch9wavefront6targetE1EEEvT1_,comdat
.Lfunc_end1940:
	.size	_ZN7rocprim17ROCPRIM_400000_NS6detail17trampoline_kernelINS0_14default_configENS1_20scan_config_selectorIdEEZZNS1_9scan_implILNS1_25lookback_scan_determinismE0ELb1ELb1ES3_N6thrust23THRUST_200600_302600_NS6detail15normal_iteratorINS9_10device_ptrIdEEEESE_d11max_functorIdEdEEDaPvRmT3_T4_T5_mT6_P12ihipStream_tbENKUlT_T0_E_clISt17integral_constantIbLb0EEST_IbLb1EEEEDaSP_SQ_EUlSP_E0_NS1_11comp_targetILNS1_3genE10ELNS1_11target_archE1200ELNS1_3gpuE4ELNS1_3repE0EEENS1_30default_config_static_selectorELNS0_4arch9wavefront6targetE1EEEvT1_, .Lfunc_end1940-_ZN7rocprim17ROCPRIM_400000_NS6detail17trampoline_kernelINS0_14default_configENS1_20scan_config_selectorIdEEZZNS1_9scan_implILNS1_25lookback_scan_determinismE0ELb1ELb1ES3_N6thrust23THRUST_200600_302600_NS6detail15normal_iteratorINS9_10device_ptrIdEEEESE_d11max_functorIdEdEEDaPvRmT3_T4_T5_mT6_P12ihipStream_tbENKUlT_T0_E_clISt17integral_constantIbLb0EEST_IbLb1EEEEDaSP_SQ_EUlSP_E0_NS1_11comp_targetILNS1_3genE10ELNS1_11target_archE1200ELNS1_3gpuE4ELNS1_3repE0EEENS1_30default_config_static_selectorELNS0_4arch9wavefront6targetE1EEEvT1_
                                        ; -- End function
	.section	.AMDGPU.csdata,"",@progbits
; Kernel info:
; codeLenInByte = 0
; NumSgprs: 4
; NumVgprs: 0
; NumAgprs: 0
; TotalNumVgprs: 0
; ScratchSize: 0
; MemoryBound: 0
; FloatMode: 240
; IeeeMode: 1
; LDSByteSize: 0 bytes/workgroup (compile time only)
; SGPRBlocks: 0
; VGPRBlocks: 0
; NumSGPRsForWavesPerEU: 4
; NumVGPRsForWavesPerEU: 1
; AccumOffset: 4
; Occupancy: 8
; WaveLimiterHint : 0
; COMPUTE_PGM_RSRC2:SCRATCH_EN: 0
; COMPUTE_PGM_RSRC2:USER_SGPR: 6
; COMPUTE_PGM_RSRC2:TRAP_HANDLER: 0
; COMPUTE_PGM_RSRC2:TGID_X_EN: 1
; COMPUTE_PGM_RSRC2:TGID_Y_EN: 0
; COMPUTE_PGM_RSRC2:TGID_Z_EN: 0
; COMPUTE_PGM_RSRC2:TIDIG_COMP_CNT: 0
; COMPUTE_PGM_RSRC3_GFX90A:ACCUM_OFFSET: 0
; COMPUTE_PGM_RSRC3_GFX90A:TG_SPLIT: 0
	.section	.text._ZN7rocprim17ROCPRIM_400000_NS6detail17trampoline_kernelINS0_14default_configENS1_20scan_config_selectorIdEEZZNS1_9scan_implILNS1_25lookback_scan_determinismE0ELb1ELb1ES3_N6thrust23THRUST_200600_302600_NS6detail15normal_iteratorINS9_10device_ptrIdEEEESE_d11max_functorIdEdEEDaPvRmT3_T4_T5_mT6_P12ihipStream_tbENKUlT_T0_E_clISt17integral_constantIbLb0EEST_IbLb1EEEEDaSP_SQ_EUlSP_E0_NS1_11comp_targetILNS1_3genE9ELNS1_11target_archE1100ELNS1_3gpuE3ELNS1_3repE0EEENS1_30default_config_static_selectorELNS0_4arch9wavefront6targetE1EEEvT1_,"axG",@progbits,_ZN7rocprim17ROCPRIM_400000_NS6detail17trampoline_kernelINS0_14default_configENS1_20scan_config_selectorIdEEZZNS1_9scan_implILNS1_25lookback_scan_determinismE0ELb1ELb1ES3_N6thrust23THRUST_200600_302600_NS6detail15normal_iteratorINS9_10device_ptrIdEEEESE_d11max_functorIdEdEEDaPvRmT3_T4_T5_mT6_P12ihipStream_tbENKUlT_T0_E_clISt17integral_constantIbLb0EEST_IbLb1EEEEDaSP_SQ_EUlSP_E0_NS1_11comp_targetILNS1_3genE9ELNS1_11target_archE1100ELNS1_3gpuE3ELNS1_3repE0EEENS1_30default_config_static_selectorELNS0_4arch9wavefront6targetE1EEEvT1_,comdat
	.protected	_ZN7rocprim17ROCPRIM_400000_NS6detail17trampoline_kernelINS0_14default_configENS1_20scan_config_selectorIdEEZZNS1_9scan_implILNS1_25lookback_scan_determinismE0ELb1ELb1ES3_N6thrust23THRUST_200600_302600_NS6detail15normal_iteratorINS9_10device_ptrIdEEEESE_d11max_functorIdEdEEDaPvRmT3_T4_T5_mT6_P12ihipStream_tbENKUlT_T0_E_clISt17integral_constantIbLb0EEST_IbLb1EEEEDaSP_SQ_EUlSP_E0_NS1_11comp_targetILNS1_3genE9ELNS1_11target_archE1100ELNS1_3gpuE3ELNS1_3repE0EEENS1_30default_config_static_selectorELNS0_4arch9wavefront6targetE1EEEvT1_ ; -- Begin function _ZN7rocprim17ROCPRIM_400000_NS6detail17trampoline_kernelINS0_14default_configENS1_20scan_config_selectorIdEEZZNS1_9scan_implILNS1_25lookback_scan_determinismE0ELb1ELb1ES3_N6thrust23THRUST_200600_302600_NS6detail15normal_iteratorINS9_10device_ptrIdEEEESE_d11max_functorIdEdEEDaPvRmT3_T4_T5_mT6_P12ihipStream_tbENKUlT_T0_E_clISt17integral_constantIbLb0EEST_IbLb1EEEEDaSP_SQ_EUlSP_E0_NS1_11comp_targetILNS1_3genE9ELNS1_11target_archE1100ELNS1_3gpuE3ELNS1_3repE0EEENS1_30default_config_static_selectorELNS0_4arch9wavefront6targetE1EEEvT1_
	.globl	_ZN7rocprim17ROCPRIM_400000_NS6detail17trampoline_kernelINS0_14default_configENS1_20scan_config_selectorIdEEZZNS1_9scan_implILNS1_25lookback_scan_determinismE0ELb1ELb1ES3_N6thrust23THRUST_200600_302600_NS6detail15normal_iteratorINS9_10device_ptrIdEEEESE_d11max_functorIdEdEEDaPvRmT3_T4_T5_mT6_P12ihipStream_tbENKUlT_T0_E_clISt17integral_constantIbLb0EEST_IbLb1EEEEDaSP_SQ_EUlSP_E0_NS1_11comp_targetILNS1_3genE9ELNS1_11target_archE1100ELNS1_3gpuE3ELNS1_3repE0EEENS1_30default_config_static_selectorELNS0_4arch9wavefront6targetE1EEEvT1_
	.p2align	8
	.type	_ZN7rocprim17ROCPRIM_400000_NS6detail17trampoline_kernelINS0_14default_configENS1_20scan_config_selectorIdEEZZNS1_9scan_implILNS1_25lookback_scan_determinismE0ELb1ELb1ES3_N6thrust23THRUST_200600_302600_NS6detail15normal_iteratorINS9_10device_ptrIdEEEESE_d11max_functorIdEdEEDaPvRmT3_T4_T5_mT6_P12ihipStream_tbENKUlT_T0_E_clISt17integral_constantIbLb0EEST_IbLb1EEEEDaSP_SQ_EUlSP_E0_NS1_11comp_targetILNS1_3genE9ELNS1_11target_archE1100ELNS1_3gpuE3ELNS1_3repE0EEENS1_30default_config_static_selectorELNS0_4arch9wavefront6targetE1EEEvT1_,@function
_ZN7rocprim17ROCPRIM_400000_NS6detail17trampoline_kernelINS0_14default_configENS1_20scan_config_selectorIdEEZZNS1_9scan_implILNS1_25lookback_scan_determinismE0ELb1ELb1ES3_N6thrust23THRUST_200600_302600_NS6detail15normal_iteratorINS9_10device_ptrIdEEEESE_d11max_functorIdEdEEDaPvRmT3_T4_T5_mT6_P12ihipStream_tbENKUlT_T0_E_clISt17integral_constantIbLb0EEST_IbLb1EEEEDaSP_SQ_EUlSP_E0_NS1_11comp_targetILNS1_3genE9ELNS1_11target_archE1100ELNS1_3gpuE3ELNS1_3repE0EEENS1_30default_config_static_selectorELNS0_4arch9wavefront6targetE1EEEvT1_: ; @_ZN7rocprim17ROCPRIM_400000_NS6detail17trampoline_kernelINS0_14default_configENS1_20scan_config_selectorIdEEZZNS1_9scan_implILNS1_25lookback_scan_determinismE0ELb1ELb1ES3_N6thrust23THRUST_200600_302600_NS6detail15normal_iteratorINS9_10device_ptrIdEEEESE_d11max_functorIdEdEEDaPvRmT3_T4_T5_mT6_P12ihipStream_tbENKUlT_T0_E_clISt17integral_constantIbLb0EEST_IbLb1EEEEDaSP_SQ_EUlSP_E0_NS1_11comp_targetILNS1_3genE9ELNS1_11target_archE1100ELNS1_3gpuE3ELNS1_3repE0EEENS1_30default_config_static_selectorELNS0_4arch9wavefront6targetE1EEEvT1_
; %bb.0:
	.section	.rodata,"a",@progbits
	.p2align	6, 0x0
	.amdhsa_kernel _ZN7rocprim17ROCPRIM_400000_NS6detail17trampoline_kernelINS0_14default_configENS1_20scan_config_selectorIdEEZZNS1_9scan_implILNS1_25lookback_scan_determinismE0ELb1ELb1ES3_N6thrust23THRUST_200600_302600_NS6detail15normal_iteratorINS9_10device_ptrIdEEEESE_d11max_functorIdEdEEDaPvRmT3_T4_T5_mT6_P12ihipStream_tbENKUlT_T0_E_clISt17integral_constantIbLb0EEST_IbLb1EEEEDaSP_SQ_EUlSP_E0_NS1_11comp_targetILNS1_3genE9ELNS1_11target_archE1100ELNS1_3gpuE3ELNS1_3repE0EEENS1_30default_config_static_selectorELNS0_4arch9wavefront6targetE1EEEvT1_
		.amdhsa_group_segment_fixed_size 0
		.amdhsa_private_segment_fixed_size 0
		.amdhsa_kernarg_size 40
		.amdhsa_user_sgpr_count 6
		.amdhsa_user_sgpr_private_segment_buffer 1
		.amdhsa_user_sgpr_dispatch_ptr 0
		.amdhsa_user_sgpr_queue_ptr 0
		.amdhsa_user_sgpr_kernarg_segment_ptr 1
		.amdhsa_user_sgpr_dispatch_id 0
		.amdhsa_user_sgpr_flat_scratch_init 0
		.amdhsa_user_sgpr_kernarg_preload_length 0
		.amdhsa_user_sgpr_kernarg_preload_offset 0
		.amdhsa_user_sgpr_private_segment_size 0
		.amdhsa_uses_dynamic_stack 0
		.amdhsa_system_sgpr_private_segment_wavefront_offset 0
		.amdhsa_system_sgpr_workgroup_id_x 1
		.amdhsa_system_sgpr_workgroup_id_y 0
		.amdhsa_system_sgpr_workgroup_id_z 0
		.amdhsa_system_sgpr_workgroup_info 0
		.amdhsa_system_vgpr_workitem_id 0
		.amdhsa_next_free_vgpr 1
		.amdhsa_next_free_sgpr 0
		.amdhsa_accum_offset 4
		.amdhsa_reserve_vcc 0
		.amdhsa_reserve_flat_scratch 0
		.amdhsa_float_round_mode_32 0
		.amdhsa_float_round_mode_16_64 0
		.amdhsa_float_denorm_mode_32 3
		.amdhsa_float_denorm_mode_16_64 3
		.amdhsa_dx10_clamp 1
		.amdhsa_ieee_mode 1
		.amdhsa_fp16_overflow 0
		.amdhsa_tg_split 0
		.amdhsa_exception_fp_ieee_invalid_op 0
		.amdhsa_exception_fp_denorm_src 0
		.amdhsa_exception_fp_ieee_div_zero 0
		.amdhsa_exception_fp_ieee_overflow 0
		.amdhsa_exception_fp_ieee_underflow 0
		.amdhsa_exception_fp_ieee_inexact 0
		.amdhsa_exception_int_div_zero 0
	.end_amdhsa_kernel
	.section	.text._ZN7rocprim17ROCPRIM_400000_NS6detail17trampoline_kernelINS0_14default_configENS1_20scan_config_selectorIdEEZZNS1_9scan_implILNS1_25lookback_scan_determinismE0ELb1ELb1ES3_N6thrust23THRUST_200600_302600_NS6detail15normal_iteratorINS9_10device_ptrIdEEEESE_d11max_functorIdEdEEDaPvRmT3_T4_T5_mT6_P12ihipStream_tbENKUlT_T0_E_clISt17integral_constantIbLb0EEST_IbLb1EEEEDaSP_SQ_EUlSP_E0_NS1_11comp_targetILNS1_3genE9ELNS1_11target_archE1100ELNS1_3gpuE3ELNS1_3repE0EEENS1_30default_config_static_selectorELNS0_4arch9wavefront6targetE1EEEvT1_,"axG",@progbits,_ZN7rocprim17ROCPRIM_400000_NS6detail17trampoline_kernelINS0_14default_configENS1_20scan_config_selectorIdEEZZNS1_9scan_implILNS1_25lookback_scan_determinismE0ELb1ELb1ES3_N6thrust23THRUST_200600_302600_NS6detail15normal_iteratorINS9_10device_ptrIdEEEESE_d11max_functorIdEdEEDaPvRmT3_T4_T5_mT6_P12ihipStream_tbENKUlT_T0_E_clISt17integral_constantIbLb0EEST_IbLb1EEEEDaSP_SQ_EUlSP_E0_NS1_11comp_targetILNS1_3genE9ELNS1_11target_archE1100ELNS1_3gpuE3ELNS1_3repE0EEENS1_30default_config_static_selectorELNS0_4arch9wavefront6targetE1EEEvT1_,comdat
.Lfunc_end1941:
	.size	_ZN7rocprim17ROCPRIM_400000_NS6detail17trampoline_kernelINS0_14default_configENS1_20scan_config_selectorIdEEZZNS1_9scan_implILNS1_25lookback_scan_determinismE0ELb1ELb1ES3_N6thrust23THRUST_200600_302600_NS6detail15normal_iteratorINS9_10device_ptrIdEEEESE_d11max_functorIdEdEEDaPvRmT3_T4_T5_mT6_P12ihipStream_tbENKUlT_T0_E_clISt17integral_constantIbLb0EEST_IbLb1EEEEDaSP_SQ_EUlSP_E0_NS1_11comp_targetILNS1_3genE9ELNS1_11target_archE1100ELNS1_3gpuE3ELNS1_3repE0EEENS1_30default_config_static_selectorELNS0_4arch9wavefront6targetE1EEEvT1_, .Lfunc_end1941-_ZN7rocprim17ROCPRIM_400000_NS6detail17trampoline_kernelINS0_14default_configENS1_20scan_config_selectorIdEEZZNS1_9scan_implILNS1_25lookback_scan_determinismE0ELb1ELb1ES3_N6thrust23THRUST_200600_302600_NS6detail15normal_iteratorINS9_10device_ptrIdEEEESE_d11max_functorIdEdEEDaPvRmT3_T4_T5_mT6_P12ihipStream_tbENKUlT_T0_E_clISt17integral_constantIbLb0EEST_IbLb1EEEEDaSP_SQ_EUlSP_E0_NS1_11comp_targetILNS1_3genE9ELNS1_11target_archE1100ELNS1_3gpuE3ELNS1_3repE0EEENS1_30default_config_static_selectorELNS0_4arch9wavefront6targetE1EEEvT1_
                                        ; -- End function
	.section	.AMDGPU.csdata,"",@progbits
; Kernel info:
; codeLenInByte = 0
; NumSgprs: 4
; NumVgprs: 0
; NumAgprs: 0
; TotalNumVgprs: 0
; ScratchSize: 0
; MemoryBound: 0
; FloatMode: 240
; IeeeMode: 1
; LDSByteSize: 0 bytes/workgroup (compile time only)
; SGPRBlocks: 0
; VGPRBlocks: 0
; NumSGPRsForWavesPerEU: 4
; NumVGPRsForWavesPerEU: 1
; AccumOffset: 4
; Occupancy: 8
; WaveLimiterHint : 0
; COMPUTE_PGM_RSRC2:SCRATCH_EN: 0
; COMPUTE_PGM_RSRC2:USER_SGPR: 6
; COMPUTE_PGM_RSRC2:TRAP_HANDLER: 0
; COMPUTE_PGM_RSRC2:TGID_X_EN: 1
; COMPUTE_PGM_RSRC2:TGID_Y_EN: 0
; COMPUTE_PGM_RSRC2:TGID_Z_EN: 0
; COMPUTE_PGM_RSRC2:TIDIG_COMP_CNT: 0
; COMPUTE_PGM_RSRC3_GFX90A:ACCUM_OFFSET: 0
; COMPUTE_PGM_RSRC3_GFX90A:TG_SPLIT: 0
	.section	.text._ZN7rocprim17ROCPRIM_400000_NS6detail17trampoline_kernelINS0_14default_configENS1_20scan_config_selectorIdEEZZNS1_9scan_implILNS1_25lookback_scan_determinismE0ELb1ELb1ES3_N6thrust23THRUST_200600_302600_NS6detail15normal_iteratorINS9_10device_ptrIdEEEESE_d11max_functorIdEdEEDaPvRmT3_T4_T5_mT6_P12ihipStream_tbENKUlT_T0_E_clISt17integral_constantIbLb0EEST_IbLb1EEEEDaSP_SQ_EUlSP_E0_NS1_11comp_targetILNS1_3genE8ELNS1_11target_archE1030ELNS1_3gpuE2ELNS1_3repE0EEENS1_30default_config_static_selectorELNS0_4arch9wavefront6targetE1EEEvT1_,"axG",@progbits,_ZN7rocprim17ROCPRIM_400000_NS6detail17trampoline_kernelINS0_14default_configENS1_20scan_config_selectorIdEEZZNS1_9scan_implILNS1_25lookback_scan_determinismE0ELb1ELb1ES3_N6thrust23THRUST_200600_302600_NS6detail15normal_iteratorINS9_10device_ptrIdEEEESE_d11max_functorIdEdEEDaPvRmT3_T4_T5_mT6_P12ihipStream_tbENKUlT_T0_E_clISt17integral_constantIbLb0EEST_IbLb1EEEEDaSP_SQ_EUlSP_E0_NS1_11comp_targetILNS1_3genE8ELNS1_11target_archE1030ELNS1_3gpuE2ELNS1_3repE0EEENS1_30default_config_static_selectorELNS0_4arch9wavefront6targetE1EEEvT1_,comdat
	.protected	_ZN7rocprim17ROCPRIM_400000_NS6detail17trampoline_kernelINS0_14default_configENS1_20scan_config_selectorIdEEZZNS1_9scan_implILNS1_25lookback_scan_determinismE0ELb1ELb1ES3_N6thrust23THRUST_200600_302600_NS6detail15normal_iteratorINS9_10device_ptrIdEEEESE_d11max_functorIdEdEEDaPvRmT3_T4_T5_mT6_P12ihipStream_tbENKUlT_T0_E_clISt17integral_constantIbLb0EEST_IbLb1EEEEDaSP_SQ_EUlSP_E0_NS1_11comp_targetILNS1_3genE8ELNS1_11target_archE1030ELNS1_3gpuE2ELNS1_3repE0EEENS1_30default_config_static_selectorELNS0_4arch9wavefront6targetE1EEEvT1_ ; -- Begin function _ZN7rocprim17ROCPRIM_400000_NS6detail17trampoline_kernelINS0_14default_configENS1_20scan_config_selectorIdEEZZNS1_9scan_implILNS1_25lookback_scan_determinismE0ELb1ELb1ES3_N6thrust23THRUST_200600_302600_NS6detail15normal_iteratorINS9_10device_ptrIdEEEESE_d11max_functorIdEdEEDaPvRmT3_T4_T5_mT6_P12ihipStream_tbENKUlT_T0_E_clISt17integral_constantIbLb0EEST_IbLb1EEEEDaSP_SQ_EUlSP_E0_NS1_11comp_targetILNS1_3genE8ELNS1_11target_archE1030ELNS1_3gpuE2ELNS1_3repE0EEENS1_30default_config_static_selectorELNS0_4arch9wavefront6targetE1EEEvT1_
	.globl	_ZN7rocprim17ROCPRIM_400000_NS6detail17trampoline_kernelINS0_14default_configENS1_20scan_config_selectorIdEEZZNS1_9scan_implILNS1_25lookback_scan_determinismE0ELb1ELb1ES3_N6thrust23THRUST_200600_302600_NS6detail15normal_iteratorINS9_10device_ptrIdEEEESE_d11max_functorIdEdEEDaPvRmT3_T4_T5_mT6_P12ihipStream_tbENKUlT_T0_E_clISt17integral_constantIbLb0EEST_IbLb1EEEEDaSP_SQ_EUlSP_E0_NS1_11comp_targetILNS1_3genE8ELNS1_11target_archE1030ELNS1_3gpuE2ELNS1_3repE0EEENS1_30default_config_static_selectorELNS0_4arch9wavefront6targetE1EEEvT1_
	.p2align	8
	.type	_ZN7rocprim17ROCPRIM_400000_NS6detail17trampoline_kernelINS0_14default_configENS1_20scan_config_selectorIdEEZZNS1_9scan_implILNS1_25lookback_scan_determinismE0ELb1ELb1ES3_N6thrust23THRUST_200600_302600_NS6detail15normal_iteratorINS9_10device_ptrIdEEEESE_d11max_functorIdEdEEDaPvRmT3_T4_T5_mT6_P12ihipStream_tbENKUlT_T0_E_clISt17integral_constantIbLb0EEST_IbLb1EEEEDaSP_SQ_EUlSP_E0_NS1_11comp_targetILNS1_3genE8ELNS1_11target_archE1030ELNS1_3gpuE2ELNS1_3repE0EEENS1_30default_config_static_selectorELNS0_4arch9wavefront6targetE1EEEvT1_,@function
_ZN7rocprim17ROCPRIM_400000_NS6detail17trampoline_kernelINS0_14default_configENS1_20scan_config_selectorIdEEZZNS1_9scan_implILNS1_25lookback_scan_determinismE0ELb1ELb1ES3_N6thrust23THRUST_200600_302600_NS6detail15normal_iteratorINS9_10device_ptrIdEEEESE_d11max_functorIdEdEEDaPvRmT3_T4_T5_mT6_P12ihipStream_tbENKUlT_T0_E_clISt17integral_constantIbLb0EEST_IbLb1EEEEDaSP_SQ_EUlSP_E0_NS1_11comp_targetILNS1_3genE8ELNS1_11target_archE1030ELNS1_3gpuE2ELNS1_3repE0EEENS1_30default_config_static_selectorELNS0_4arch9wavefront6targetE1EEEvT1_: ; @_ZN7rocprim17ROCPRIM_400000_NS6detail17trampoline_kernelINS0_14default_configENS1_20scan_config_selectorIdEEZZNS1_9scan_implILNS1_25lookback_scan_determinismE0ELb1ELb1ES3_N6thrust23THRUST_200600_302600_NS6detail15normal_iteratorINS9_10device_ptrIdEEEESE_d11max_functorIdEdEEDaPvRmT3_T4_T5_mT6_P12ihipStream_tbENKUlT_T0_E_clISt17integral_constantIbLb0EEST_IbLb1EEEEDaSP_SQ_EUlSP_E0_NS1_11comp_targetILNS1_3genE8ELNS1_11target_archE1030ELNS1_3gpuE2ELNS1_3repE0EEENS1_30default_config_static_selectorELNS0_4arch9wavefront6targetE1EEEvT1_
; %bb.0:
	.section	.rodata,"a",@progbits
	.p2align	6, 0x0
	.amdhsa_kernel _ZN7rocprim17ROCPRIM_400000_NS6detail17trampoline_kernelINS0_14default_configENS1_20scan_config_selectorIdEEZZNS1_9scan_implILNS1_25lookback_scan_determinismE0ELb1ELb1ES3_N6thrust23THRUST_200600_302600_NS6detail15normal_iteratorINS9_10device_ptrIdEEEESE_d11max_functorIdEdEEDaPvRmT3_T4_T5_mT6_P12ihipStream_tbENKUlT_T0_E_clISt17integral_constantIbLb0EEST_IbLb1EEEEDaSP_SQ_EUlSP_E0_NS1_11comp_targetILNS1_3genE8ELNS1_11target_archE1030ELNS1_3gpuE2ELNS1_3repE0EEENS1_30default_config_static_selectorELNS0_4arch9wavefront6targetE1EEEvT1_
		.amdhsa_group_segment_fixed_size 0
		.amdhsa_private_segment_fixed_size 0
		.amdhsa_kernarg_size 40
		.amdhsa_user_sgpr_count 6
		.amdhsa_user_sgpr_private_segment_buffer 1
		.amdhsa_user_sgpr_dispatch_ptr 0
		.amdhsa_user_sgpr_queue_ptr 0
		.amdhsa_user_sgpr_kernarg_segment_ptr 1
		.amdhsa_user_sgpr_dispatch_id 0
		.amdhsa_user_sgpr_flat_scratch_init 0
		.amdhsa_user_sgpr_kernarg_preload_length 0
		.amdhsa_user_sgpr_kernarg_preload_offset 0
		.amdhsa_user_sgpr_private_segment_size 0
		.amdhsa_uses_dynamic_stack 0
		.amdhsa_system_sgpr_private_segment_wavefront_offset 0
		.amdhsa_system_sgpr_workgroup_id_x 1
		.amdhsa_system_sgpr_workgroup_id_y 0
		.amdhsa_system_sgpr_workgroup_id_z 0
		.amdhsa_system_sgpr_workgroup_info 0
		.amdhsa_system_vgpr_workitem_id 0
		.amdhsa_next_free_vgpr 1
		.amdhsa_next_free_sgpr 0
		.amdhsa_accum_offset 4
		.amdhsa_reserve_vcc 0
		.amdhsa_reserve_flat_scratch 0
		.amdhsa_float_round_mode_32 0
		.amdhsa_float_round_mode_16_64 0
		.amdhsa_float_denorm_mode_32 3
		.amdhsa_float_denorm_mode_16_64 3
		.amdhsa_dx10_clamp 1
		.amdhsa_ieee_mode 1
		.amdhsa_fp16_overflow 0
		.amdhsa_tg_split 0
		.amdhsa_exception_fp_ieee_invalid_op 0
		.amdhsa_exception_fp_denorm_src 0
		.amdhsa_exception_fp_ieee_div_zero 0
		.amdhsa_exception_fp_ieee_overflow 0
		.amdhsa_exception_fp_ieee_underflow 0
		.amdhsa_exception_fp_ieee_inexact 0
		.amdhsa_exception_int_div_zero 0
	.end_amdhsa_kernel
	.section	.text._ZN7rocprim17ROCPRIM_400000_NS6detail17trampoline_kernelINS0_14default_configENS1_20scan_config_selectorIdEEZZNS1_9scan_implILNS1_25lookback_scan_determinismE0ELb1ELb1ES3_N6thrust23THRUST_200600_302600_NS6detail15normal_iteratorINS9_10device_ptrIdEEEESE_d11max_functorIdEdEEDaPvRmT3_T4_T5_mT6_P12ihipStream_tbENKUlT_T0_E_clISt17integral_constantIbLb0EEST_IbLb1EEEEDaSP_SQ_EUlSP_E0_NS1_11comp_targetILNS1_3genE8ELNS1_11target_archE1030ELNS1_3gpuE2ELNS1_3repE0EEENS1_30default_config_static_selectorELNS0_4arch9wavefront6targetE1EEEvT1_,"axG",@progbits,_ZN7rocprim17ROCPRIM_400000_NS6detail17trampoline_kernelINS0_14default_configENS1_20scan_config_selectorIdEEZZNS1_9scan_implILNS1_25lookback_scan_determinismE0ELb1ELb1ES3_N6thrust23THRUST_200600_302600_NS6detail15normal_iteratorINS9_10device_ptrIdEEEESE_d11max_functorIdEdEEDaPvRmT3_T4_T5_mT6_P12ihipStream_tbENKUlT_T0_E_clISt17integral_constantIbLb0EEST_IbLb1EEEEDaSP_SQ_EUlSP_E0_NS1_11comp_targetILNS1_3genE8ELNS1_11target_archE1030ELNS1_3gpuE2ELNS1_3repE0EEENS1_30default_config_static_selectorELNS0_4arch9wavefront6targetE1EEEvT1_,comdat
.Lfunc_end1942:
	.size	_ZN7rocprim17ROCPRIM_400000_NS6detail17trampoline_kernelINS0_14default_configENS1_20scan_config_selectorIdEEZZNS1_9scan_implILNS1_25lookback_scan_determinismE0ELb1ELb1ES3_N6thrust23THRUST_200600_302600_NS6detail15normal_iteratorINS9_10device_ptrIdEEEESE_d11max_functorIdEdEEDaPvRmT3_T4_T5_mT6_P12ihipStream_tbENKUlT_T0_E_clISt17integral_constantIbLb0EEST_IbLb1EEEEDaSP_SQ_EUlSP_E0_NS1_11comp_targetILNS1_3genE8ELNS1_11target_archE1030ELNS1_3gpuE2ELNS1_3repE0EEENS1_30default_config_static_selectorELNS0_4arch9wavefront6targetE1EEEvT1_, .Lfunc_end1942-_ZN7rocprim17ROCPRIM_400000_NS6detail17trampoline_kernelINS0_14default_configENS1_20scan_config_selectorIdEEZZNS1_9scan_implILNS1_25lookback_scan_determinismE0ELb1ELb1ES3_N6thrust23THRUST_200600_302600_NS6detail15normal_iteratorINS9_10device_ptrIdEEEESE_d11max_functorIdEdEEDaPvRmT3_T4_T5_mT6_P12ihipStream_tbENKUlT_T0_E_clISt17integral_constantIbLb0EEST_IbLb1EEEEDaSP_SQ_EUlSP_E0_NS1_11comp_targetILNS1_3genE8ELNS1_11target_archE1030ELNS1_3gpuE2ELNS1_3repE0EEENS1_30default_config_static_selectorELNS0_4arch9wavefront6targetE1EEEvT1_
                                        ; -- End function
	.section	.AMDGPU.csdata,"",@progbits
; Kernel info:
; codeLenInByte = 0
; NumSgprs: 4
; NumVgprs: 0
; NumAgprs: 0
; TotalNumVgprs: 0
; ScratchSize: 0
; MemoryBound: 0
; FloatMode: 240
; IeeeMode: 1
; LDSByteSize: 0 bytes/workgroup (compile time only)
; SGPRBlocks: 0
; VGPRBlocks: 0
; NumSGPRsForWavesPerEU: 4
; NumVGPRsForWavesPerEU: 1
; AccumOffset: 4
; Occupancy: 8
; WaveLimiterHint : 0
; COMPUTE_PGM_RSRC2:SCRATCH_EN: 0
; COMPUTE_PGM_RSRC2:USER_SGPR: 6
; COMPUTE_PGM_RSRC2:TRAP_HANDLER: 0
; COMPUTE_PGM_RSRC2:TGID_X_EN: 1
; COMPUTE_PGM_RSRC2:TGID_Y_EN: 0
; COMPUTE_PGM_RSRC2:TGID_Z_EN: 0
; COMPUTE_PGM_RSRC2:TIDIG_COMP_CNT: 0
; COMPUTE_PGM_RSRC3_GFX90A:ACCUM_OFFSET: 0
; COMPUTE_PGM_RSRC3_GFX90A:TG_SPLIT: 0
	.section	.text._ZN7rocprim17ROCPRIM_400000_NS6detail17trampoline_kernelINS0_14default_configENS1_20scan_config_selectorIfEEZZNS1_9scan_implILNS1_25lookback_scan_determinismE0ELb0ELb0ES3_N6thrust23THRUST_200600_302600_NS6detail15normal_iteratorINS9_10device_ptrIfEEEESE_f11max_functorIfEfEEDaPvRmT3_T4_T5_mT6_P12ihipStream_tbENKUlT_T0_E_clISt17integral_constantIbLb0EESU_EEDaSP_SQ_EUlSP_E_NS1_11comp_targetILNS1_3genE0ELNS1_11target_archE4294967295ELNS1_3gpuE0ELNS1_3repE0EEENS1_30default_config_static_selectorELNS0_4arch9wavefront6targetE1EEEvT1_,"axG",@progbits,_ZN7rocprim17ROCPRIM_400000_NS6detail17trampoline_kernelINS0_14default_configENS1_20scan_config_selectorIfEEZZNS1_9scan_implILNS1_25lookback_scan_determinismE0ELb0ELb0ES3_N6thrust23THRUST_200600_302600_NS6detail15normal_iteratorINS9_10device_ptrIfEEEESE_f11max_functorIfEfEEDaPvRmT3_T4_T5_mT6_P12ihipStream_tbENKUlT_T0_E_clISt17integral_constantIbLb0EESU_EEDaSP_SQ_EUlSP_E_NS1_11comp_targetILNS1_3genE0ELNS1_11target_archE4294967295ELNS1_3gpuE0ELNS1_3repE0EEENS1_30default_config_static_selectorELNS0_4arch9wavefront6targetE1EEEvT1_,comdat
	.protected	_ZN7rocprim17ROCPRIM_400000_NS6detail17trampoline_kernelINS0_14default_configENS1_20scan_config_selectorIfEEZZNS1_9scan_implILNS1_25lookback_scan_determinismE0ELb0ELb0ES3_N6thrust23THRUST_200600_302600_NS6detail15normal_iteratorINS9_10device_ptrIfEEEESE_f11max_functorIfEfEEDaPvRmT3_T4_T5_mT6_P12ihipStream_tbENKUlT_T0_E_clISt17integral_constantIbLb0EESU_EEDaSP_SQ_EUlSP_E_NS1_11comp_targetILNS1_3genE0ELNS1_11target_archE4294967295ELNS1_3gpuE0ELNS1_3repE0EEENS1_30default_config_static_selectorELNS0_4arch9wavefront6targetE1EEEvT1_ ; -- Begin function _ZN7rocprim17ROCPRIM_400000_NS6detail17trampoline_kernelINS0_14default_configENS1_20scan_config_selectorIfEEZZNS1_9scan_implILNS1_25lookback_scan_determinismE0ELb0ELb0ES3_N6thrust23THRUST_200600_302600_NS6detail15normal_iteratorINS9_10device_ptrIfEEEESE_f11max_functorIfEfEEDaPvRmT3_T4_T5_mT6_P12ihipStream_tbENKUlT_T0_E_clISt17integral_constantIbLb0EESU_EEDaSP_SQ_EUlSP_E_NS1_11comp_targetILNS1_3genE0ELNS1_11target_archE4294967295ELNS1_3gpuE0ELNS1_3repE0EEENS1_30default_config_static_selectorELNS0_4arch9wavefront6targetE1EEEvT1_
	.globl	_ZN7rocprim17ROCPRIM_400000_NS6detail17trampoline_kernelINS0_14default_configENS1_20scan_config_selectorIfEEZZNS1_9scan_implILNS1_25lookback_scan_determinismE0ELb0ELb0ES3_N6thrust23THRUST_200600_302600_NS6detail15normal_iteratorINS9_10device_ptrIfEEEESE_f11max_functorIfEfEEDaPvRmT3_T4_T5_mT6_P12ihipStream_tbENKUlT_T0_E_clISt17integral_constantIbLb0EESU_EEDaSP_SQ_EUlSP_E_NS1_11comp_targetILNS1_3genE0ELNS1_11target_archE4294967295ELNS1_3gpuE0ELNS1_3repE0EEENS1_30default_config_static_selectorELNS0_4arch9wavefront6targetE1EEEvT1_
	.p2align	8
	.type	_ZN7rocprim17ROCPRIM_400000_NS6detail17trampoline_kernelINS0_14default_configENS1_20scan_config_selectorIfEEZZNS1_9scan_implILNS1_25lookback_scan_determinismE0ELb0ELb0ES3_N6thrust23THRUST_200600_302600_NS6detail15normal_iteratorINS9_10device_ptrIfEEEESE_f11max_functorIfEfEEDaPvRmT3_T4_T5_mT6_P12ihipStream_tbENKUlT_T0_E_clISt17integral_constantIbLb0EESU_EEDaSP_SQ_EUlSP_E_NS1_11comp_targetILNS1_3genE0ELNS1_11target_archE4294967295ELNS1_3gpuE0ELNS1_3repE0EEENS1_30default_config_static_selectorELNS0_4arch9wavefront6targetE1EEEvT1_,@function
_ZN7rocprim17ROCPRIM_400000_NS6detail17trampoline_kernelINS0_14default_configENS1_20scan_config_selectorIfEEZZNS1_9scan_implILNS1_25lookback_scan_determinismE0ELb0ELb0ES3_N6thrust23THRUST_200600_302600_NS6detail15normal_iteratorINS9_10device_ptrIfEEEESE_f11max_functorIfEfEEDaPvRmT3_T4_T5_mT6_P12ihipStream_tbENKUlT_T0_E_clISt17integral_constantIbLb0EESU_EEDaSP_SQ_EUlSP_E_NS1_11comp_targetILNS1_3genE0ELNS1_11target_archE4294967295ELNS1_3gpuE0ELNS1_3repE0EEENS1_30default_config_static_selectorELNS0_4arch9wavefront6targetE1EEEvT1_: ; @_ZN7rocprim17ROCPRIM_400000_NS6detail17trampoline_kernelINS0_14default_configENS1_20scan_config_selectorIfEEZZNS1_9scan_implILNS1_25lookback_scan_determinismE0ELb0ELb0ES3_N6thrust23THRUST_200600_302600_NS6detail15normal_iteratorINS9_10device_ptrIfEEEESE_f11max_functorIfEfEEDaPvRmT3_T4_T5_mT6_P12ihipStream_tbENKUlT_T0_E_clISt17integral_constantIbLb0EESU_EEDaSP_SQ_EUlSP_E_NS1_11comp_targetILNS1_3genE0ELNS1_11target_archE4294967295ELNS1_3gpuE0ELNS1_3repE0EEENS1_30default_config_static_selectorELNS0_4arch9wavefront6targetE1EEEvT1_
; %bb.0:
	.section	.rodata,"a",@progbits
	.p2align	6, 0x0
	.amdhsa_kernel _ZN7rocprim17ROCPRIM_400000_NS6detail17trampoline_kernelINS0_14default_configENS1_20scan_config_selectorIfEEZZNS1_9scan_implILNS1_25lookback_scan_determinismE0ELb0ELb0ES3_N6thrust23THRUST_200600_302600_NS6detail15normal_iteratorINS9_10device_ptrIfEEEESE_f11max_functorIfEfEEDaPvRmT3_T4_T5_mT6_P12ihipStream_tbENKUlT_T0_E_clISt17integral_constantIbLb0EESU_EEDaSP_SQ_EUlSP_E_NS1_11comp_targetILNS1_3genE0ELNS1_11target_archE4294967295ELNS1_3gpuE0ELNS1_3repE0EEENS1_30default_config_static_selectorELNS0_4arch9wavefront6targetE1EEEvT1_
		.amdhsa_group_segment_fixed_size 0
		.amdhsa_private_segment_fixed_size 0
		.amdhsa_kernarg_size 96
		.amdhsa_user_sgpr_count 6
		.amdhsa_user_sgpr_private_segment_buffer 1
		.amdhsa_user_sgpr_dispatch_ptr 0
		.amdhsa_user_sgpr_queue_ptr 0
		.amdhsa_user_sgpr_kernarg_segment_ptr 1
		.amdhsa_user_sgpr_dispatch_id 0
		.amdhsa_user_sgpr_flat_scratch_init 0
		.amdhsa_user_sgpr_kernarg_preload_length 0
		.amdhsa_user_sgpr_kernarg_preload_offset 0
		.amdhsa_user_sgpr_private_segment_size 0
		.amdhsa_uses_dynamic_stack 0
		.amdhsa_system_sgpr_private_segment_wavefront_offset 0
		.amdhsa_system_sgpr_workgroup_id_x 1
		.amdhsa_system_sgpr_workgroup_id_y 0
		.amdhsa_system_sgpr_workgroup_id_z 0
		.amdhsa_system_sgpr_workgroup_info 0
		.amdhsa_system_vgpr_workitem_id 0
		.amdhsa_next_free_vgpr 1
		.amdhsa_next_free_sgpr 0
		.amdhsa_accum_offset 4
		.amdhsa_reserve_vcc 0
		.amdhsa_reserve_flat_scratch 0
		.amdhsa_float_round_mode_32 0
		.amdhsa_float_round_mode_16_64 0
		.amdhsa_float_denorm_mode_32 3
		.amdhsa_float_denorm_mode_16_64 3
		.amdhsa_dx10_clamp 1
		.amdhsa_ieee_mode 1
		.amdhsa_fp16_overflow 0
		.amdhsa_tg_split 0
		.amdhsa_exception_fp_ieee_invalid_op 0
		.amdhsa_exception_fp_denorm_src 0
		.amdhsa_exception_fp_ieee_div_zero 0
		.amdhsa_exception_fp_ieee_overflow 0
		.amdhsa_exception_fp_ieee_underflow 0
		.amdhsa_exception_fp_ieee_inexact 0
		.amdhsa_exception_int_div_zero 0
	.end_amdhsa_kernel
	.section	.text._ZN7rocprim17ROCPRIM_400000_NS6detail17trampoline_kernelINS0_14default_configENS1_20scan_config_selectorIfEEZZNS1_9scan_implILNS1_25lookback_scan_determinismE0ELb0ELb0ES3_N6thrust23THRUST_200600_302600_NS6detail15normal_iteratorINS9_10device_ptrIfEEEESE_f11max_functorIfEfEEDaPvRmT3_T4_T5_mT6_P12ihipStream_tbENKUlT_T0_E_clISt17integral_constantIbLb0EESU_EEDaSP_SQ_EUlSP_E_NS1_11comp_targetILNS1_3genE0ELNS1_11target_archE4294967295ELNS1_3gpuE0ELNS1_3repE0EEENS1_30default_config_static_selectorELNS0_4arch9wavefront6targetE1EEEvT1_,"axG",@progbits,_ZN7rocprim17ROCPRIM_400000_NS6detail17trampoline_kernelINS0_14default_configENS1_20scan_config_selectorIfEEZZNS1_9scan_implILNS1_25lookback_scan_determinismE0ELb0ELb0ES3_N6thrust23THRUST_200600_302600_NS6detail15normal_iteratorINS9_10device_ptrIfEEEESE_f11max_functorIfEfEEDaPvRmT3_T4_T5_mT6_P12ihipStream_tbENKUlT_T0_E_clISt17integral_constantIbLb0EESU_EEDaSP_SQ_EUlSP_E_NS1_11comp_targetILNS1_3genE0ELNS1_11target_archE4294967295ELNS1_3gpuE0ELNS1_3repE0EEENS1_30default_config_static_selectorELNS0_4arch9wavefront6targetE1EEEvT1_,comdat
.Lfunc_end1943:
	.size	_ZN7rocprim17ROCPRIM_400000_NS6detail17trampoline_kernelINS0_14default_configENS1_20scan_config_selectorIfEEZZNS1_9scan_implILNS1_25lookback_scan_determinismE0ELb0ELb0ES3_N6thrust23THRUST_200600_302600_NS6detail15normal_iteratorINS9_10device_ptrIfEEEESE_f11max_functorIfEfEEDaPvRmT3_T4_T5_mT6_P12ihipStream_tbENKUlT_T0_E_clISt17integral_constantIbLb0EESU_EEDaSP_SQ_EUlSP_E_NS1_11comp_targetILNS1_3genE0ELNS1_11target_archE4294967295ELNS1_3gpuE0ELNS1_3repE0EEENS1_30default_config_static_selectorELNS0_4arch9wavefront6targetE1EEEvT1_, .Lfunc_end1943-_ZN7rocprim17ROCPRIM_400000_NS6detail17trampoline_kernelINS0_14default_configENS1_20scan_config_selectorIfEEZZNS1_9scan_implILNS1_25lookback_scan_determinismE0ELb0ELb0ES3_N6thrust23THRUST_200600_302600_NS6detail15normal_iteratorINS9_10device_ptrIfEEEESE_f11max_functorIfEfEEDaPvRmT3_T4_T5_mT6_P12ihipStream_tbENKUlT_T0_E_clISt17integral_constantIbLb0EESU_EEDaSP_SQ_EUlSP_E_NS1_11comp_targetILNS1_3genE0ELNS1_11target_archE4294967295ELNS1_3gpuE0ELNS1_3repE0EEENS1_30default_config_static_selectorELNS0_4arch9wavefront6targetE1EEEvT1_
                                        ; -- End function
	.section	.AMDGPU.csdata,"",@progbits
; Kernel info:
; codeLenInByte = 0
; NumSgprs: 4
; NumVgprs: 0
; NumAgprs: 0
; TotalNumVgprs: 0
; ScratchSize: 0
; MemoryBound: 0
; FloatMode: 240
; IeeeMode: 1
; LDSByteSize: 0 bytes/workgroup (compile time only)
; SGPRBlocks: 0
; VGPRBlocks: 0
; NumSGPRsForWavesPerEU: 4
; NumVGPRsForWavesPerEU: 1
; AccumOffset: 4
; Occupancy: 8
; WaveLimiterHint : 0
; COMPUTE_PGM_RSRC2:SCRATCH_EN: 0
; COMPUTE_PGM_RSRC2:USER_SGPR: 6
; COMPUTE_PGM_RSRC2:TRAP_HANDLER: 0
; COMPUTE_PGM_RSRC2:TGID_X_EN: 1
; COMPUTE_PGM_RSRC2:TGID_Y_EN: 0
; COMPUTE_PGM_RSRC2:TGID_Z_EN: 0
; COMPUTE_PGM_RSRC2:TIDIG_COMP_CNT: 0
; COMPUTE_PGM_RSRC3_GFX90A:ACCUM_OFFSET: 0
; COMPUTE_PGM_RSRC3_GFX90A:TG_SPLIT: 0
	.section	.text._ZN7rocprim17ROCPRIM_400000_NS6detail17trampoline_kernelINS0_14default_configENS1_20scan_config_selectorIfEEZZNS1_9scan_implILNS1_25lookback_scan_determinismE0ELb0ELb0ES3_N6thrust23THRUST_200600_302600_NS6detail15normal_iteratorINS9_10device_ptrIfEEEESE_f11max_functorIfEfEEDaPvRmT3_T4_T5_mT6_P12ihipStream_tbENKUlT_T0_E_clISt17integral_constantIbLb0EESU_EEDaSP_SQ_EUlSP_E_NS1_11comp_targetILNS1_3genE5ELNS1_11target_archE942ELNS1_3gpuE9ELNS1_3repE0EEENS1_30default_config_static_selectorELNS0_4arch9wavefront6targetE1EEEvT1_,"axG",@progbits,_ZN7rocprim17ROCPRIM_400000_NS6detail17trampoline_kernelINS0_14default_configENS1_20scan_config_selectorIfEEZZNS1_9scan_implILNS1_25lookback_scan_determinismE0ELb0ELb0ES3_N6thrust23THRUST_200600_302600_NS6detail15normal_iteratorINS9_10device_ptrIfEEEESE_f11max_functorIfEfEEDaPvRmT3_T4_T5_mT6_P12ihipStream_tbENKUlT_T0_E_clISt17integral_constantIbLb0EESU_EEDaSP_SQ_EUlSP_E_NS1_11comp_targetILNS1_3genE5ELNS1_11target_archE942ELNS1_3gpuE9ELNS1_3repE0EEENS1_30default_config_static_selectorELNS0_4arch9wavefront6targetE1EEEvT1_,comdat
	.protected	_ZN7rocprim17ROCPRIM_400000_NS6detail17trampoline_kernelINS0_14default_configENS1_20scan_config_selectorIfEEZZNS1_9scan_implILNS1_25lookback_scan_determinismE0ELb0ELb0ES3_N6thrust23THRUST_200600_302600_NS6detail15normal_iteratorINS9_10device_ptrIfEEEESE_f11max_functorIfEfEEDaPvRmT3_T4_T5_mT6_P12ihipStream_tbENKUlT_T0_E_clISt17integral_constantIbLb0EESU_EEDaSP_SQ_EUlSP_E_NS1_11comp_targetILNS1_3genE5ELNS1_11target_archE942ELNS1_3gpuE9ELNS1_3repE0EEENS1_30default_config_static_selectorELNS0_4arch9wavefront6targetE1EEEvT1_ ; -- Begin function _ZN7rocprim17ROCPRIM_400000_NS6detail17trampoline_kernelINS0_14default_configENS1_20scan_config_selectorIfEEZZNS1_9scan_implILNS1_25lookback_scan_determinismE0ELb0ELb0ES3_N6thrust23THRUST_200600_302600_NS6detail15normal_iteratorINS9_10device_ptrIfEEEESE_f11max_functorIfEfEEDaPvRmT3_T4_T5_mT6_P12ihipStream_tbENKUlT_T0_E_clISt17integral_constantIbLb0EESU_EEDaSP_SQ_EUlSP_E_NS1_11comp_targetILNS1_3genE5ELNS1_11target_archE942ELNS1_3gpuE9ELNS1_3repE0EEENS1_30default_config_static_selectorELNS0_4arch9wavefront6targetE1EEEvT1_
	.globl	_ZN7rocprim17ROCPRIM_400000_NS6detail17trampoline_kernelINS0_14default_configENS1_20scan_config_selectorIfEEZZNS1_9scan_implILNS1_25lookback_scan_determinismE0ELb0ELb0ES3_N6thrust23THRUST_200600_302600_NS6detail15normal_iteratorINS9_10device_ptrIfEEEESE_f11max_functorIfEfEEDaPvRmT3_T4_T5_mT6_P12ihipStream_tbENKUlT_T0_E_clISt17integral_constantIbLb0EESU_EEDaSP_SQ_EUlSP_E_NS1_11comp_targetILNS1_3genE5ELNS1_11target_archE942ELNS1_3gpuE9ELNS1_3repE0EEENS1_30default_config_static_selectorELNS0_4arch9wavefront6targetE1EEEvT1_
	.p2align	8
	.type	_ZN7rocprim17ROCPRIM_400000_NS6detail17trampoline_kernelINS0_14default_configENS1_20scan_config_selectorIfEEZZNS1_9scan_implILNS1_25lookback_scan_determinismE0ELb0ELb0ES3_N6thrust23THRUST_200600_302600_NS6detail15normal_iteratorINS9_10device_ptrIfEEEESE_f11max_functorIfEfEEDaPvRmT3_T4_T5_mT6_P12ihipStream_tbENKUlT_T0_E_clISt17integral_constantIbLb0EESU_EEDaSP_SQ_EUlSP_E_NS1_11comp_targetILNS1_3genE5ELNS1_11target_archE942ELNS1_3gpuE9ELNS1_3repE0EEENS1_30default_config_static_selectorELNS0_4arch9wavefront6targetE1EEEvT1_,@function
_ZN7rocprim17ROCPRIM_400000_NS6detail17trampoline_kernelINS0_14default_configENS1_20scan_config_selectorIfEEZZNS1_9scan_implILNS1_25lookback_scan_determinismE0ELb0ELb0ES3_N6thrust23THRUST_200600_302600_NS6detail15normal_iteratorINS9_10device_ptrIfEEEESE_f11max_functorIfEfEEDaPvRmT3_T4_T5_mT6_P12ihipStream_tbENKUlT_T0_E_clISt17integral_constantIbLb0EESU_EEDaSP_SQ_EUlSP_E_NS1_11comp_targetILNS1_3genE5ELNS1_11target_archE942ELNS1_3gpuE9ELNS1_3repE0EEENS1_30default_config_static_selectorELNS0_4arch9wavefront6targetE1EEEvT1_: ; @_ZN7rocprim17ROCPRIM_400000_NS6detail17trampoline_kernelINS0_14default_configENS1_20scan_config_selectorIfEEZZNS1_9scan_implILNS1_25lookback_scan_determinismE0ELb0ELb0ES3_N6thrust23THRUST_200600_302600_NS6detail15normal_iteratorINS9_10device_ptrIfEEEESE_f11max_functorIfEfEEDaPvRmT3_T4_T5_mT6_P12ihipStream_tbENKUlT_T0_E_clISt17integral_constantIbLb0EESU_EEDaSP_SQ_EUlSP_E_NS1_11comp_targetILNS1_3genE5ELNS1_11target_archE942ELNS1_3gpuE9ELNS1_3repE0EEENS1_30default_config_static_selectorELNS0_4arch9wavefront6targetE1EEEvT1_
; %bb.0:
	.section	.rodata,"a",@progbits
	.p2align	6, 0x0
	.amdhsa_kernel _ZN7rocprim17ROCPRIM_400000_NS6detail17trampoline_kernelINS0_14default_configENS1_20scan_config_selectorIfEEZZNS1_9scan_implILNS1_25lookback_scan_determinismE0ELb0ELb0ES3_N6thrust23THRUST_200600_302600_NS6detail15normal_iteratorINS9_10device_ptrIfEEEESE_f11max_functorIfEfEEDaPvRmT3_T4_T5_mT6_P12ihipStream_tbENKUlT_T0_E_clISt17integral_constantIbLb0EESU_EEDaSP_SQ_EUlSP_E_NS1_11comp_targetILNS1_3genE5ELNS1_11target_archE942ELNS1_3gpuE9ELNS1_3repE0EEENS1_30default_config_static_selectorELNS0_4arch9wavefront6targetE1EEEvT1_
		.amdhsa_group_segment_fixed_size 0
		.amdhsa_private_segment_fixed_size 0
		.amdhsa_kernarg_size 96
		.amdhsa_user_sgpr_count 6
		.amdhsa_user_sgpr_private_segment_buffer 1
		.amdhsa_user_sgpr_dispatch_ptr 0
		.amdhsa_user_sgpr_queue_ptr 0
		.amdhsa_user_sgpr_kernarg_segment_ptr 1
		.amdhsa_user_sgpr_dispatch_id 0
		.amdhsa_user_sgpr_flat_scratch_init 0
		.amdhsa_user_sgpr_kernarg_preload_length 0
		.amdhsa_user_sgpr_kernarg_preload_offset 0
		.amdhsa_user_sgpr_private_segment_size 0
		.amdhsa_uses_dynamic_stack 0
		.amdhsa_system_sgpr_private_segment_wavefront_offset 0
		.amdhsa_system_sgpr_workgroup_id_x 1
		.amdhsa_system_sgpr_workgroup_id_y 0
		.amdhsa_system_sgpr_workgroup_id_z 0
		.amdhsa_system_sgpr_workgroup_info 0
		.amdhsa_system_vgpr_workitem_id 0
		.amdhsa_next_free_vgpr 1
		.amdhsa_next_free_sgpr 0
		.amdhsa_accum_offset 4
		.amdhsa_reserve_vcc 0
		.amdhsa_reserve_flat_scratch 0
		.amdhsa_float_round_mode_32 0
		.amdhsa_float_round_mode_16_64 0
		.amdhsa_float_denorm_mode_32 3
		.amdhsa_float_denorm_mode_16_64 3
		.amdhsa_dx10_clamp 1
		.amdhsa_ieee_mode 1
		.amdhsa_fp16_overflow 0
		.amdhsa_tg_split 0
		.amdhsa_exception_fp_ieee_invalid_op 0
		.amdhsa_exception_fp_denorm_src 0
		.amdhsa_exception_fp_ieee_div_zero 0
		.amdhsa_exception_fp_ieee_overflow 0
		.amdhsa_exception_fp_ieee_underflow 0
		.amdhsa_exception_fp_ieee_inexact 0
		.amdhsa_exception_int_div_zero 0
	.end_amdhsa_kernel
	.section	.text._ZN7rocprim17ROCPRIM_400000_NS6detail17trampoline_kernelINS0_14default_configENS1_20scan_config_selectorIfEEZZNS1_9scan_implILNS1_25lookback_scan_determinismE0ELb0ELb0ES3_N6thrust23THRUST_200600_302600_NS6detail15normal_iteratorINS9_10device_ptrIfEEEESE_f11max_functorIfEfEEDaPvRmT3_T4_T5_mT6_P12ihipStream_tbENKUlT_T0_E_clISt17integral_constantIbLb0EESU_EEDaSP_SQ_EUlSP_E_NS1_11comp_targetILNS1_3genE5ELNS1_11target_archE942ELNS1_3gpuE9ELNS1_3repE0EEENS1_30default_config_static_selectorELNS0_4arch9wavefront6targetE1EEEvT1_,"axG",@progbits,_ZN7rocprim17ROCPRIM_400000_NS6detail17trampoline_kernelINS0_14default_configENS1_20scan_config_selectorIfEEZZNS1_9scan_implILNS1_25lookback_scan_determinismE0ELb0ELb0ES3_N6thrust23THRUST_200600_302600_NS6detail15normal_iteratorINS9_10device_ptrIfEEEESE_f11max_functorIfEfEEDaPvRmT3_T4_T5_mT6_P12ihipStream_tbENKUlT_T0_E_clISt17integral_constantIbLb0EESU_EEDaSP_SQ_EUlSP_E_NS1_11comp_targetILNS1_3genE5ELNS1_11target_archE942ELNS1_3gpuE9ELNS1_3repE0EEENS1_30default_config_static_selectorELNS0_4arch9wavefront6targetE1EEEvT1_,comdat
.Lfunc_end1944:
	.size	_ZN7rocprim17ROCPRIM_400000_NS6detail17trampoline_kernelINS0_14default_configENS1_20scan_config_selectorIfEEZZNS1_9scan_implILNS1_25lookback_scan_determinismE0ELb0ELb0ES3_N6thrust23THRUST_200600_302600_NS6detail15normal_iteratorINS9_10device_ptrIfEEEESE_f11max_functorIfEfEEDaPvRmT3_T4_T5_mT6_P12ihipStream_tbENKUlT_T0_E_clISt17integral_constantIbLb0EESU_EEDaSP_SQ_EUlSP_E_NS1_11comp_targetILNS1_3genE5ELNS1_11target_archE942ELNS1_3gpuE9ELNS1_3repE0EEENS1_30default_config_static_selectorELNS0_4arch9wavefront6targetE1EEEvT1_, .Lfunc_end1944-_ZN7rocprim17ROCPRIM_400000_NS6detail17trampoline_kernelINS0_14default_configENS1_20scan_config_selectorIfEEZZNS1_9scan_implILNS1_25lookback_scan_determinismE0ELb0ELb0ES3_N6thrust23THRUST_200600_302600_NS6detail15normal_iteratorINS9_10device_ptrIfEEEESE_f11max_functorIfEfEEDaPvRmT3_T4_T5_mT6_P12ihipStream_tbENKUlT_T0_E_clISt17integral_constantIbLb0EESU_EEDaSP_SQ_EUlSP_E_NS1_11comp_targetILNS1_3genE5ELNS1_11target_archE942ELNS1_3gpuE9ELNS1_3repE0EEENS1_30default_config_static_selectorELNS0_4arch9wavefront6targetE1EEEvT1_
                                        ; -- End function
	.section	.AMDGPU.csdata,"",@progbits
; Kernel info:
; codeLenInByte = 0
; NumSgprs: 4
; NumVgprs: 0
; NumAgprs: 0
; TotalNumVgprs: 0
; ScratchSize: 0
; MemoryBound: 0
; FloatMode: 240
; IeeeMode: 1
; LDSByteSize: 0 bytes/workgroup (compile time only)
; SGPRBlocks: 0
; VGPRBlocks: 0
; NumSGPRsForWavesPerEU: 4
; NumVGPRsForWavesPerEU: 1
; AccumOffset: 4
; Occupancy: 8
; WaveLimiterHint : 0
; COMPUTE_PGM_RSRC2:SCRATCH_EN: 0
; COMPUTE_PGM_RSRC2:USER_SGPR: 6
; COMPUTE_PGM_RSRC2:TRAP_HANDLER: 0
; COMPUTE_PGM_RSRC2:TGID_X_EN: 1
; COMPUTE_PGM_RSRC2:TGID_Y_EN: 0
; COMPUTE_PGM_RSRC2:TGID_Z_EN: 0
; COMPUTE_PGM_RSRC2:TIDIG_COMP_CNT: 0
; COMPUTE_PGM_RSRC3_GFX90A:ACCUM_OFFSET: 0
; COMPUTE_PGM_RSRC3_GFX90A:TG_SPLIT: 0
	.section	.text._ZN7rocprim17ROCPRIM_400000_NS6detail17trampoline_kernelINS0_14default_configENS1_20scan_config_selectorIfEEZZNS1_9scan_implILNS1_25lookback_scan_determinismE0ELb0ELb0ES3_N6thrust23THRUST_200600_302600_NS6detail15normal_iteratorINS9_10device_ptrIfEEEESE_f11max_functorIfEfEEDaPvRmT3_T4_T5_mT6_P12ihipStream_tbENKUlT_T0_E_clISt17integral_constantIbLb0EESU_EEDaSP_SQ_EUlSP_E_NS1_11comp_targetILNS1_3genE4ELNS1_11target_archE910ELNS1_3gpuE8ELNS1_3repE0EEENS1_30default_config_static_selectorELNS0_4arch9wavefront6targetE1EEEvT1_,"axG",@progbits,_ZN7rocprim17ROCPRIM_400000_NS6detail17trampoline_kernelINS0_14default_configENS1_20scan_config_selectorIfEEZZNS1_9scan_implILNS1_25lookback_scan_determinismE0ELb0ELb0ES3_N6thrust23THRUST_200600_302600_NS6detail15normal_iteratorINS9_10device_ptrIfEEEESE_f11max_functorIfEfEEDaPvRmT3_T4_T5_mT6_P12ihipStream_tbENKUlT_T0_E_clISt17integral_constantIbLb0EESU_EEDaSP_SQ_EUlSP_E_NS1_11comp_targetILNS1_3genE4ELNS1_11target_archE910ELNS1_3gpuE8ELNS1_3repE0EEENS1_30default_config_static_selectorELNS0_4arch9wavefront6targetE1EEEvT1_,comdat
	.protected	_ZN7rocprim17ROCPRIM_400000_NS6detail17trampoline_kernelINS0_14default_configENS1_20scan_config_selectorIfEEZZNS1_9scan_implILNS1_25lookback_scan_determinismE0ELb0ELb0ES3_N6thrust23THRUST_200600_302600_NS6detail15normal_iteratorINS9_10device_ptrIfEEEESE_f11max_functorIfEfEEDaPvRmT3_T4_T5_mT6_P12ihipStream_tbENKUlT_T0_E_clISt17integral_constantIbLb0EESU_EEDaSP_SQ_EUlSP_E_NS1_11comp_targetILNS1_3genE4ELNS1_11target_archE910ELNS1_3gpuE8ELNS1_3repE0EEENS1_30default_config_static_selectorELNS0_4arch9wavefront6targetE1EEEvT1_ ; -- Begin function _ZN7rocprim17ROCPRIM_400000_NS6detail17trampoline_kernelINS0_14default_configENS1_20scan_config_selectorIfEEZZNS1_9scan_implILNS1_25lookback_scan_determinismE0ELb0ELb0ES3_N6thrust23THRUST_200600_302600_NS6detail15normal_iteratorINS9_10device_ptrIfEEEESE_f11max_functorIfEfEEDaPvRmT3_T4_T5_mT6_P12ihipStream_tbENKUlT_T0_E_clISt17integral_constantIbLb0EESU_EEDaSP_SQ_EUlSP_E_NS1_11comp_targetILNS1_3genE4ELNS1_11target_archE910ELNS1_3gpuE8ELNS1_3repE0EEENS1_30default_config_static_selectorELNS0_4arch9wavefront6targetE1EEEvT1_
	.globl	_ZN7rocprim17ROCPRIM_400000_NS6detail17trampoline_kernelINS0_14default_configENS1_20scan_config_selectorIfEEZZNS1_9scan_implILNS1_25lookback_scan_determinismE0ELb0ELb0ES3_N6thrust23THRUST_200600_302600_NS6detail15normal_iteratorINS9_10device_ptrIfEEEESE_f11max_functorIfEfEEDaPvRmT3_T4_T5_mT6_P12ihipStream_tbENKUlT_T0_E_clISt17integral_constantIbLb0EESU_EEDaSP_SQ_EUlSP_E_NS1_11comp_targetILNS1_3genE4ELNS1_11target_archE910ELNS1_3gpuE8ELNS1_3repE0EEENS1_30default_config_static_selectorELNS0_4arch9wavefront6targetE1EEEvT1_
	.p2align	8
	.type	_ZN7rocprim17ROCPRIM_400000_NS6detail17trampoline_kernelINS0_14default_configENS1_20scan_config_selectorIfEEZZNS1_9scan_implILNS1_25lookback_scan_determinismE0ELb0ELb0ES3_N6thrust23THRUST_200600_302600_NS6detail15normal_iteratorINS9_10device_ptrIfEEEESE_f11max_functorIfEfEEDaPvRmT3_T4_T5_mT6_P12ihipStream_tbENKUlT_T0_E_clISt17integral_constantIbLb0EESU_EEDaSP_SQ_EUlSP_E_NS1_11comp_targetILNS1_3genE4ELNS1_11target_archE910ELNS1_3gpuE8ELNS1_3repE0EEENS1_30default_config_static_selectorELNS0_4arch9wavefront6targetE1EEEvT1_,@function
_ZN7rocprim17ROCPRIM_400000_NS6detail17trampoline_kernelINS0_14default_configENS1_20scan_config_selectorIfEEZZNS1_9scan_implILNS1_25lookback_scan_determinismE0ELb0ELb0ES3_N6thrust23THRUST_200600_302600_NS6detail15normal_iteratorINS9_10device_ptrIfEEEESE_f11max_functorIfEfEEDaPvRmT3_T4_T5_mT6_P12ihipStream_tbENKUlT_T0_E_clISt17integral_constantIbLb0EESU_EEDaSP_SQ_EUlSP_E_NS1_11comp_targetILNS1_3genE4ELNS1_11target_archE910ELNS1_3gpuE8ELNS1_3repE0EEENS1_30default_config_static_selectorELNS0_4arch9wavefront6targetE1EEEvT1_: ; @_ZN7rocprim17ROCPRIM_400000_NS6detail17trampoline_kernelINS0_14default_configENS1_20scan_config_selectorIfEEZZNS1_9scan_implILNS1_25lookback_scan_determinismE0ELb0ELb0ES3_N6thrust23THRUST_200600_302600_NS6detail15normal_iteratorINS9_10device_ptrIfEEEESE_f11max_functorIfEfEEDaPvRmT3_T4_T5_mT6_P12ihipStream_tbENKUlT_T0_E_clISt17integral_constantIbLb0EESU_EEDaSP_SQ_EUlSP_E_NS1_11comp_targetILNS1_3genE4ELNS1_11target_archE910ELNS1_3gpuE8ELNS1_3repE0EEENS1_30default_config_static_selectorELNS0_4arch9wavefront6targetE1EEEvT1_
; %bb.0:
	s_load_dwordx8 s[8:15], s[4:5], 0x0
	s_load_dword s1, s[4:5], 0x30
	s_mul_i32 s0, s6, 0x700
	v_lshlrev_b32_e32 v32, 2, v0
	s_waitcnt lgkmcnt(0)
	s_lshl_b64 s[24:25], s[10:11], 2
	s_add_u32 s2, s8, s24
	s_addc_u32 s3, s9, s25
	s_add_i32 s7, s1, -1
	s_mul_i32 s8, s7, 0x700
	s_sub_u32 s30, s14, s8
	s_subb_u32 s31, s15, 0
	s_mov_b32 s1, 0
	s_cmp_lg_u32 s6, s7
	s_cselect_b64 s[14:15], -1, 0
	s_lshl_b64 s[26:27], s[0:1], 2
	s_add_u32 s2, s2, s26
	s_addc_u32 s3, s3, s27
	s_mov_b64 s[0:1], -1
	s_and_b64 vcc, exec, s[14:15]
	s_cbranch_vccz .LBB1945_2
; %bb.1:
	v_mov_b32_e32 v1, s3
	v_add_co_u32_e32 v2, vcc, s2, v32
	v_addc_co_u32_e32 v3, vcc, 0, v1, vcc
	flat_load_dword v1, v[2:3]
	flat_load_dword v4, v[2:3] offset:512
	flat_load_dword v5, v[2:3] offset:1024
	;; [unrolled: 1-line block ×7, first 2 shown]
	v_add_co_u32_e32 v2, vcc, 0x1000, v2
	v_addc_co_u32_e32 v3, vcc, 0, v3, vcc
	flat_load_dword v11, v[2:3]
	flat_load_dword v12, v[2:3] offset:512
	flat_load_dword v13, v[2:3] offset:1024
	;; [unrolled: 1-line block ×5, first 2 shown]
	s_mov_b64 s[0:1], 0
	s_waitcnt vmcnt(0) lgkmcnt(0)
	ds_write2st64_b32 v32, v1, v4 offset1:2
	ds_write2st64_b32 v32, v5, v6 offset0:4 offset1:6
	ds_write2st64_b32 v32, v7, v8 offset0:8 offset1:10
	;; [unrolled: 1-line block ×6, first 2 shown]
	s_waitcnt lgkmcnt(0)
	s_barrier
.LBB1945_2:
	s_load_dwordx2 s[28:29], s[4:5], 0x28
	s_andn2_b64 vcc, exec, s[0:1]
	v_cmp_gt_u32_e64 s[0:1], s30, v0
	s_cbranch_vccnz .LBB1945_32
; %bb.3:
	v_pk_mov_b32 v[2:3], s[2:3], s[2:3] op_sel:[0,1]
	flat_load_dword v1, v[2:3]
	s_waitcnt vmcnt(0) lgkmcnt(0)
	v_mov_b32_e32 v2, v1
	v_mov_b32_e32 v3, v1
	;; [unrolled: 1-line block ×12, first 2 shown]
	v_pk_mov_b32 v[16:17], v[14:15], v[14:15] op_sel:[0,1]
	v_pk_mov_b32 v[14:15], v[12:13], v[12:13] op_sel:[0,1]
	;; [unrolled: 1-line block ×8, first 2 shown]
	s_and_saveexec_b64 s[8:9], s[0:1]
	s_cbranch_execz .LBB1945_5
; %bb.4:
	v_mov_b32_e32 v3, s3
	v_add_co_u32_e32 v2, vcc, s2, v32
	v_addc_co_u32_e32 v3, vcc, 0, v3, vcc
	flat_load_dword v18, v[2:3]
	v_mov_b32_e32 v2, v1
	v_mov_b32_e32 v3, v1
	;; [unrolled: 1-line block ×12, first 2 shown]
	v_pk_mov_b32 v[16:17], v[14:15], v[14:15] op_sel:[0,1]
	v_pk_mov_b32 v[14:15], v[12:13], v[12:13] op_sel:[0,1]
	;; [unrolled: 1-line block ×8, first 2 shown]
	s_waitcnt vmcnt(0) lgkmcnt(0)
	v_mov_b32_e32 v1, v18
.LBB1945_5:
	s_or_b64 exec, exec, s[8:9]
	v_or_b32_e32 v2, 0x80, v0
	v_cmp_gt_u32_e32 vcc, s30, v2
	s_and_saveexec_b64 s[0:1], vcc
	s_cbranch_execz .LBB1945_7
; %bb.6:
	v_mov_b32_e32 v3, s3
	v_add_co_u32_e32 v2, vcc, s2, v32
	v_addc_co_u32_e32 v3, vcc, 0, v3, vcc
	flat_load_dword v3, v[2:3] offset:512
.LBB1945_7:
	s_or_b64 exec, exec, s[0:1]
	v_or_b32_e32 v2, 0x100, v0
	v_cmp_gt_u32_e32 vcc, s30, v2
	s_and_saveexec_b64 s[0:1], vcc
	s_cbranch_execz .LBB1945_9
; %bb.8:
	v_mov_b32_e32 v2, s3
	v_add_co_u32_e32 v16, vcc, s2, v32
	v_addc_co_u32_e32 v17, vcc, 0, v2, vcc
	flat_load_dword v4, v[16:17] offset:1024
.LBB1945_9:
	;; [unrolled: 11-line block ×7, first 2 shown]
	s_or_b64 exec, exec, s[0:1]
	v_or_b32_e32 v2, 0x400, v0
	v_cmp_gt_u32_e32 vcc, s30, v2
	s_and_saveexec_b64 s[0:1], vcc
	s_cbranch_execz .LBB1945_21
; %bb.20:
	v_lshlrev_b32_e32 v2, 2, v2
	v_mov_b32_e32 v10, s3
	v_add_co_u32_e32 v16, vcc, s2, v2
	v_addc_co_u32_e32 v17, vcc, 0, v10, vcc
	flat_load_dword v10, v[16:17]
.LBB1945_21:
	s_or_b64 exec, exec, s[0:1]
	v_or_b32_e32 v2, 0x480, v0
	v_cmp_gt_u32_e32 vcc, s30, v2
	s_and_saveexec_b64 s[0:1], vcc
	s_cbranch_execz .LBB1945_23
; %bb.22:
	v_lshlrev_b32_e32 v2, 2, v2
	v_mov_b32_e32 v11, s3
	v_add_co_u32_e32 v16, vcc, s2, v2
	v_addc_co_u32_e32 v17, vcc, 0, v11, vcc
	flat_load_dword v11, v[16:17]
.LBB1945_23:
	;; [unrolled: 12-line block ×6, first 2 shown]
	s_or_b64 exec, exec, s[0:1]
	s_waitcnt vmcnt(0) lgkmcnt(0)
	ds_write2st64_b32 v32, v1, v3 offset1:2
	ds_write2st64_b32 v32, v4, v5 offset0:4 offset1:6
	ds_write2st64_b32 v32, v6, v7 offset0:8 offset1:10
	;; [unrolled: 1-line block ×6, first 2 shown]
	s_waitcnt lgkmcnt(0)
	s_barrier
.LBB1945_32:
	v_mul_u32_u24_e32 v33, 14, v0
	v_lshlrev_b32_e32 v34, 2, v33
	s_waitcnt lgkmcnt(0)
	ds_read2_b64 v[2:5], v34 offset1:1
	ds_read2_b64 v[26:29], v34 offset0:2 offset1:3
	ds_read2_b64 v[22:25], v34 offset0:4 offset1:5
	ds_read_b64 v[30:31], v34 offset:48
	s_cmp_lg_u32 s6, 0
	v_lshrrev_b32_e32 v1, 5, v0
	v_cmp_gt_u32_e32 vcc, 64, v0
	s_waitcnt lgkmcnt(0)
	s_barrier
	s_cbranch_scc0 .LBB1945_57
; %bb.33:
	v_cmp_lt_f32_e64 s[0:1], v2, v3
	v_cndmask_b32_e64 v6, v2, v3, s[0:1]
	v_cmp_lt_f32_e64 s[0:1], v6, v4
	v_cndmask_b32_e64 v6, v6, v4, s[0:1]
	;; [unrolled: 2-line block ×13, first 2 shown]
	v_add_lshl_u32 v6, v1, v0, 2
	ds_write_b32 v6, v16
	s_waitcnt lgkmcnt(0)
	s_barrier
	s_and_saveexec_b64 s[16:17], vcc
	s_cbranch_execz .LBB1945_35
; %bb.34:
	v_lshlrev_b32_e32 v6, 1, v0
	v_lshrrev_b32_e32 v7, 4, v0
	v_add_lshl_u32 v8, v7, v6, 2
	ds_read2_b32 v[6:7], v8 offset1:1
	v_mbcnt_lo_u32_b32 v9, -1, 0
	v_mbcnt_hi_u32_b32 v9, -1, v9
	v_and_b32_e32 v10, 15, v9
	v_cmp_lt_u32_e64 s[10:11], 31, v9
	s_waitcnt lgkmcnt(0)
	v_cmp_lt_f32_e64 s[0:1], v6, v7
	v_cndmask_b32_e64 v7, v6, v7, s[0:1]
	v_cmp_gt_u32_e64 s[8:9], 32, v9
	s_nop 0
	v_mov_b32_dpp v11, v7 row_shr:1 row_mask:0xf bank_mask:0xf
	v_cmp_gt_f32_e64 s[0:1], v7, v11
	v_cndmask_b32_e64 v11, v11, v7, s[0:1]
	v_cmp_eq_u32_e64 s[0:1], 0, v10
	v_cndmask_b32_e64 v7, v11, v7, s[0:1]
	; wave barrier
	s_nop 1
	v_mov_b32_dpp v11, v7 row_shr:2 row_mask:0xf bank_mask:0xf
	v_cmp_gt_f32_e64 s[0:1], v7, v11
	v_cndmask_b32_e64 v11, v11, v7, s[0:1]
	v_cmp_lt_u32_e64 s[0:1], 1, v10
	v_cndmask_b32_e64 v11, v7, v11, s[0:1]
	s_nop 1
	v_mov_b32_dpp v12, v11 row_shr:4 row_mask:0xf bank_mask:0xf
	v_cmp_gt_f32_e64 s[2:3], v11, v12
	v_cndmask_b32_e64 v12, v12, v11, s[2:3]
	v_cmp_lt_u32_e64 s[2:3], 3, v10
	v_cndmask_b32_e64 v11, v11, v12, s[2:3]
	;; [unrolled: 6-line block ×3, first 2 shown]
	v_and_b32_e32 v12, 16, v9
	s_nop 0
	v_mov_b32_dpp v11, v10 row_bcast:15 row_mask:0xf bank_mask:0xf
	v_cmp_gt_f32_e64 s[2:3], v10, v11
	v_cndmask_b32_e64 v11, v11, v10, s[2:3]
	v_cmp_ne_u32_e64 s[2:3], 0, v12
	v_cndmask_b32_e64 v10, v10, v11, s[2:3]
	s_or_b64 s[10:11], s[2:3], s[10:11]
	s_or_b64 s[0:1], s[0:1], s[10:11]
	v_mov_b32_dpp v11, v10 row_bcast:31 row_mask:0xf bank_mask:0xf
	v_cmp_gt_f32_e64 s[2:3], v10, v11
	s_or_b64 s[2:3], s[8:9], s[2:3]
	v_cndmask_b32_e64 v10, v11, v10, s[2:3]
	v_cndmask_b32_e64 v7, v7, v10, s[0:1]
	v_add_u32_e32 v10, -1, v9
	v_and_b32_e32 v11, 64, v9
	v_cmp_lt_i32_e64 s[0:1], v10, v11
	v_cndmask_b32_e64 v9, v10, v9, s[0:1]
	v_lshlrev_b32_e32 v9, 2, v9
	ds_bpermute_b32 v7, v9, v7
	s_waitcnt lgkmcnt(0)
	v_cmp_gt_f32_e64 s[0:1], v6, v7
	v_cndmask_b32_e64 v6, v7, v6, s[0:1]
	v_cmp_eq_u32_e64 s[0:1], 0, v0
	v_cndmask_b32_e64 v6, v6, v16, s[0:1]
	ds_write_b32 v8, v6
	; wave barrier
	ds_read_b32 v7, v8 offset:4
	s_waitcnt lgkmcnt(0)
	v_cmp_lt_f32_e64 s[0:1], v6, v7
	v_cndmask_b32_e64 v6, v6, v7, s[0:1]
	ds_write_b32 v8, v6 offset:4
.LBB1945_35:
	s_or_b64 exec, exec, s[16:17]
	v_cmp_eq_u32_e64 s[0:1], 0, v0
	v_cmp_ne_u32_e64 s[2:3], 0, v0
	s_waitcnt lgkmcnt(0)
	s_barrier
	s_and_saveexec_b64 s[8:9], s[2:3]
	s_cbranch_execz .LBB1945_37
; %bb.36:
	v_add_u32_e32 v6, -1, v0
	v_lshrrev_b32_e32 v7, 5, v6
	v_add_lshl_u32 v6, v7, v6, 2
	ds_read_b32 v16, v6
.LBB1945_37:
	s_or_b64 exec, exec, s[8:9]
	s_and_saveexec_b64 s[16:17], vcc
	s_cbranch_execz .LBB1945_56
; %bb.38:
	v_mov_b32_e32 v13, 0
	ds_read_b32 v6, v13 offset:520
	v_mbcnt_lo_u32_b32 v7, -1, 0
	v_mbcnt_hi_u32_b32 v9, -1, v7
	s_mov_b32 s11, 0
	v_cmp_eq_u32_e64 s[2:3], 0, v9
	s_and_saveexec_b64 s[8:9], s[2:3]
	s_cbranch_execz .LBB1945_40
; %bb.39:
	s_add_i32 s10, s6, 64
	s_lshl_b64 s[10:11], s[10:11], 3
	s_add_u32 s10, s28, s10
	v_mov_b32_e32 v7, 1
	s_addc_u32 s11, s29, s11
	s_waitcnt lgkmcnt(0)
	global_store_dwordx2 v13, v[6:7], s[10:11]
.LBB1945_40:
	s_or_b64 exec, exec, s[8:9]
	v_xad_u32 v8, v9, -1, s6
	v_add_u32_e32 v12, 64, v8
	v_lshlrev_b64 v[10:11], 3, v[12:13]
	v_mov_b32_e32 v7, s29
	v_add_co_u32_e32 v14, vcc, s28, v10
	v_addc_co_u32_e32 v15, vcc, v7, v11, vcc
	global_load_dwordx2 v[10:11], v[14:15], off glc
	s_waitcnt vmcnt(0)
	v_cmp_eq_u16_sdwa s[10:11], v11, v13 src0_sel:BYTE_0 src1_sel:DWORD
	s_and_saveexec_b64 s[8:9], s[10:11]
	s_cbranch_execz .LBB1945_44
; %bb.41:
	s_mov_b64 s[10:11], 0
	v_mov_b32_e32 v7, 0
.LBB1945_42:                            ; =>This Inner Loop Header: Depth=1
	global_load_dwordx2 v[10:11], v[14:15], off glc
	s_waitcnt vmcnt(0)
	v_cmp_ne_u16_sdwa s[18:19], v11, v7 src0_sel:BYTE_0 src1_sel:DWORD
	s_or_b64 s[10:11], s[18:19], s[10:11]
	s_andn2_b64 exec, exec, s[10:11]
	s_cbranch_execnz .LBB1945_42
; %bb.43:
	s_or_b64 exec, exec, s[10:11]
.LBB1945_44:
	s_or_b64 exec, exec, s[8:9]
	v_and_b32_e32 v17, 63, v9
	v_cmp_ne_u32_e32 vcc, 63, v17
	v_addc_co_u32_e32 v18, vcc, 0, v9, vcc
	v_lshlrev_b32_e32 v18, 2, v18
	v_mov_b32_e32 v7, 2
	ds_bpermute_b32 v19, v18, v10
	v_cmp_eq_u16_sdwa s[8:9], v11, v7 src0_sel:BYTE_0 src1_sel:DWORD
	v_lshlrev_b64 v[12:13], v9, -1
	v_and_b32_e32 v14, s9, v13
	v_or_b32_e32 v14, 0x80000000, v14
	v_and_b32_e32 v15, s8, v12
	v_ffbl_b32_e32 v14, v14
	v_add_u32_e32 v14, 32, v14
	v_ffbl_b32_e32 v15, v15
	s_waitcnt lgkmcnt(0)
	v_cmp_lt_f32_e32 vcc, v19, v10
	v_cmp_gt_u32_e64 s[8:9], 62, v17
	v_min_u32_e32 v14, v15, v14
	v_cndmask_b32_e32 v15, v19, v10, vcc
	v_cndmask_b32_e64 v19, 0, 1, s[8:9]
	v_cmp_lt_u32_e32 vcc, v17, v14
	v_lshlrev_b32_e32 v19, 1, v19
	v_cndmask_b32_e32 v15, v10, v15, vcc
	v_add_lshl_u32 v19, v19, v9, 2
	ds_bpermute_b32 v21, v19, v15
	v_add_u32_e32 v20, 2, v17
	v_add_u32_e32 v35, 4, v17
	;; [unrolled: 1-line block ×4, first 2 shown]
	s_waitcnt lgkmcnt(0)
	v_cmp_gt_f32_e64 s[8:9], v15, v21
	v_cndmask_b32_e64 v21, v21, v15, s[8:9]
	v_cmp_gt_u32_e64 s[8:9], v20, v14
	v_cndmask_b32_e64 v15, v21, v15, s[8:9]
	v_cmp_gt_u32_e64 s[8:9], 60, v17
	v_cndmask_b32_e64 v21, 0, 1, s[8:9]
	v_lshlrev_b32_e32 v21, 2, v21
	v_add_lshl_u32 v21, v21, v9, 2
	ds_bpermute_b32 v36, v21, v15
	v_add_u32_e32 v42, 32, v17
	s_waitcnt lgkmcnt(0)
	v_cmp_gt_f32_e64 s[8:9], v15, v36
	v_cndmask_b32_e64 v36, v36, v15, s[8:9]
	v_cmp_gt_u32_e64 s[8:9], v35, v14
	v_cndmask_b32_e64 v15, v36, v15, s[8:9]
	v_cmp_gt_u32_e64 s[8:9], 56, v17
	v_cndmask_b32_e64 v36, 0, 1, s[8:9]
	v_lshlrev_b32_e32 v36, 3, v36
	v_add_lshl_u32 v36, v36, v9, 2
	ds_bpermute_b32 v38, v36, v15
	s_waitcnt lgkmcnt(0)
	v_cmp_gt_f32_e64 s[8:9], v15, v38
	v_cndmask_b32_e64 v38, v38, v15, s[8:9]
	v_cmp_gt_u32_e64 s[8:9], v37, v14
	v_cndmask_b32_e64 v15, v38, v15, s[8:9]
	v_cmp_gt_u32_e64 s[8:9], 48, v17
	v_cndmask_b32_e64 v38, 0, 1, s[8:9]
	v_lshlrev_b32_e32 v38, 4, v38
	v_add_lshl_u32 v38, v38, v9, 2
	ds_bpermute_b32 v39, v38, v15
	s_waitcnt lgkmcnt(0)
	v_cmp_gt_f32_e64 s[8:9], v15, v39
	v_cndmask_b32_e64 v39, v39, v15, s[8:9]
	v_cmp_gt_u32_e64 s[8:9], v40, v14
	v_cndmask_b32_e64 v15, v39, v15, s[8:9]
	v_cmp_gt_u32_e64 s[8:9], 32, v17
	v_cndmask_b32_e64 v39, 0, 1, s[8:9]
	v_lshlrev_b32_e32 v39, 5, v39
	v_add_lshl_u32 v41, v39, v9, 2
	ds_bpermute_b32 v9, v41, v15
	v_cmp_gt_u32_e64 s[8:9], v42, v14
	s_waitcnt lgkmcnt(0)
	v_cmp_gt_f32_e64 s[10:11], v15, v9
	s_or_b64 s[8:9], s[8:9], s[10:11]
	v_cndmask_b32_e64 v9, v9, v15, s[8:9]
	v_cndmask_b32_e32 v10, v10, v9, vcc
	v_mov_b32_e32 v9, 0
	s_branch .LBB1945_46
.LBB1945_45:                            ;   in Loop: Header=BB1945_46 Depth=1
	s_or_b64 exec, exec, s[8:9]
	v_cmp_eq_u16_sdwa s[8:9], v11, v7 src0_sel:BYTE_0 src1_sel:DWORD
	ds_bpermute_b32 v43, v18, v10
	v_and_b32_e32 v14, s9, v13
	v_or_b32_e32 v14, 0x80000000, v14
	v_and_b32_e32 v15, s8, v12
	v_ffbl_b32_e32 v14, v14
	v_add_u32_e32 v14, 32, v14
	v_ffbl_b32_e32 v15, v15
	v_min_u32_e32 v14, v15, v14
	s_waitcnt lgkmcnt(0)
	v_cmp_lt_f32_e32 vcc, v43, v10
	v_cndmask_b32_e32 v15, v43, v10, vcc
	v_cmp_lt_u32_e32 vcc, v17, v14
	v_cndmask_b32_e32 v15, v10, v15, vcc
	ds_bpermute_b32 v43, v19, v15
	v_subrev_u32_e32 v8, 64, v8
	s_waitcnt lgkmcnt(0)
	v_cmp_gt_f32_e64 s[8:9], v15, v43
	v_cndmask_b32_e64 v43, v43, v15, s[8:9]
	v_cmp_gt_u32_e64 s[8:9], v20, v14
	v_cndmask_b32_e64 v15, v43, v15, s[8:9]
	ds_bpermute_b32 v43, v21, v15
	s_waitcnt lgkmcnt(0)
	v_cmp_gt_f32_e64 s[8:9], v15, v43
	v_cndmask_b32_e64 v43, v43, v15, s[8:9]
	v_cmp_gt_u32_e64 s[8:9], v35, v14
	v_cndmask_b32_e64 v15, v43, v15, s[8:9]
	ds_bpermute_b32 v43, v36, v15
	;; [unrolled: 6-line block ×4, first 2 shown]
	v_cmp_gt_u32_e64 s[8:9], v42, v14
	s_waitcnt lgkmcnt(0)
	v_cmp_gt_f32_e64 s[10:11], v15, v43
	s_or_b64 s[8:9], s[8:9], s[10:11]
	v_cndmask_b32_e64 v14, v43, v15, s[8:9]
	v_cndmask_b32_e32 v10, v10, v14, vcc
	v_cmp_lt_f32_e32 vcc, v10, v39
	v_cndmask_b32_e32 v10, v10, v39, vcc
.LBB1945_46:                            ; =>This Loop Header: Depth=1
                                        ;     Child Loop BB1945_49 Depth 2
	v_cmp_ne_u16_sdwa s[8:9], v11, v7 src0_sel:BYTE_0 src1_sel:DWORD
	v_cndmask_b32_e64 v11, 0, 1, s[8:9]
	;;#ASMSTART
	;;#ASMEND
	v_cmp_ne_u32_e32 vcc, 0, v11
	s_cmp_lg_u64 vcc, exec
	v_mov_b32_e32 v39, v10
	s_cbranch_scc1 .LBB1945_51
; %bb.47:                               ;   in Loop: Header=BB1945_46 Depth=1
	v_lshlrev_b64 v[10:11], 3, v[8:9]
	v_mov_b32_e32 v15, s29
	v_add_co_u32_e32 v14, vcc, s28, v10
	v_addc_co_u32_e32 v15, vcc, v15, v11, vcc
	global_load_dwordx2 v[10:11], v[14:15], off glc
	s_waitcnt vmcnt(0)
	v_cmp_eq_u16_sdwa s[10:11], v11, v9 src0_sel:BYTE_0 src1_sel:DWORD
	s_and_saveexec_b64 s[8:9], s[10:11]
	s_cbranch_execz .LBB1945_45
; %bb.48:                               ;   in Loop: Header=BB1945_46 Depth=1
	s_mov_b64 s[10:11], 0
.LBB1945_49:                            ;   Parent Loop BB1945_46 Depth=1
                                        ; =>  This Inner Loop Header: Depth=2
	global_load_dwordx2 v[10:11], v[14:15], off glc
	s_waitcnt vmcnt(0)
	v_cmp_ne_u16_sdwa s[18:19], v11, v9 src0_sel:BYTE_0 src1_sel:DWORD
	s_or_b64 s[10:11], s[18:19], s[10:11]
	s_andn2_b64 exec, exec, s[10:11]
	s_cbranch_execnz .LBB1945_49
; %bb.50:                               ;   in Loop: Header=BB1945_46 Depth=1
	s_or_b64 exec, exec, s[10:11]
	s_branch .LBB1945_45
.LBB1945_51:                            ;   in Loop: Header=BB1945_46 Depth=1
                                        ; implicit-def: $vgpr10
                                        ; implicit-def: $vgpr11
	s_cbranch_execz .LBB1945_46
; %bb.52:
	s_and_saveexec_b64 s[8:9], s[2:3]
	s_cbranch_execz .LBB1945_54
; %bb.53:
	s_add_i32 s2, s6, 64
	s_mov_b32 s3, 0
	s_lshl_b64 s[2:3], s[2:3], 3
	v_cmp_lt_f32_e32 vcc, v39, v6
	s_add_u32 s2, s28, s2
	v_cndmask_b32_e32 v6, v39, v6, vcc
	v_mov_b32_e32 v7, 2
	s_addc_u32 s3, s29, s3
	v_mov_b32_e32 v8, 0
	global_store_dwordx2 v8, v[6:7], s[2:3]
.LBB1945_54:
	s_or_b64 exec, exec, s[8:9]
	s_and_b64 exec, exec, s[0:1]
	s_cbranch_execz .LBB1945_56
; %bb.55:
	v_mov_b32_e32 v6, 0
	ds_write_b32 v6, v39
.LBB1945_56:
	s_or_b64 exec, exec, s[16:17]
	v_mov_b32_e32 v6, 0
	s_waitcnt lgkmcnt(0)
	s_barrier
	ds_read_b32 v6, v6
	v_cmp_lt_f32_e32 vcc, v16, v2
	s_or_b64 vcc, s[0:1], vcc
	v_cndmask_b32_e32 v7, v16, v2, vcc
	s_waitcnt lgkmcnt(0)
	v_cmp_lt_f32_e32 vcc, v6, v7
	v_cndmask_b32_e32 v6, v6, v7, vcc
	v_cmp_lt_f32_e32 vcc, v6, v3
	v_cndmask_b32_e32 v7, v6, v3, vcc
	;; [unrolled: 2-line block ×14, first 2 shown]
	s_load_dwordx8 s[16:23], s[4:5], 0x38
	s_branch .LBB1945_69
.LBB1945_57:
                                        ; implicit-def: $vgpr6_vgpr7_vgpr8_vgpr9_vgpr10_vgpr11_vgpr12_vgpr13_vgpr14_vgpr15_vgpr16_vgpr17_vgpr18_vgpr19_vgpr20_vgpr21
	s_load_dwordx8 s[16:23], s[4:5], 0x38
	s_cbranch_execz .LBB1945_69
; %bb.58:
	s_waitcnt lgkmcnt(0)
	s_cmp_lg_u64 s[20:21], 0
	s_cselect_b64 s[2:3], -1, 0
	v_cmp_eq_u32_e64 s[0:1], 0, v0
	v_cmp_ne_u32_e32 vcc, 0, v0
	s_and_b64 s[2:3], s[0:1], s[2:3]
	s_and_saveexec_b64 s[4:5], s[2:3]
	s_cbranch_execz .LBB1945_60
; %bb.59:
	v_mov_b32_e32 v6, 0
	global_load_dword v6, v6, s[16:17]
	s_waitcnt vmcnt(0)
	v_cmp_lt_f32_e64 s[2:3], v6, v2
	v_cndmask_b32_e64 v2, v6, v2, s[2:3]
.LBB1945_60:
	s_or_b64 exec, exec, s[4:5]
	v_cmp_lt_f32_e64 s[2:3], v2, v3
	v_cndmask_b32_e64 v6, v2, v3, s[2:3]
	v_cmp_lt_f32_e64 s[2:3], v6, v4
	v_cndmask_b32_e64 v6, v6, v4, s[2:3]
	v_cmp_lt_f32_e64 s[2:3], v6, v5
	v_cndmask_b32_e64 v6, v6, v5, s[2:3]
	v_cmp_lt_f32_e64 s[2:3], v6, v26
	v_cndmask_b32_e64 v6, v6, v26, s[2:3]
	v_cmp_lt_f32_e64 s[2:3], v6, v27
	v_cndmask_b32_e64 v6, v6, v27, s[2:3]
	v_cmp_lt_f32_e64 s[2:3], v6, v28
	v_cndmask_b32_e64 v6, v6, v28, s[2:3]
	v_cmp_lt_f32_e64 s[2:3], v6, v29
	v_cndmask_b32_e64 v6, v6, v29, s[2:3]
	v_cmp_lt_f32_e64 s[2:3], v6, v22
	v_cndmask_b32_e64 v6, v6, v22, s[2:3]
	v_cmp_lt_f32_e64 s[2:3], v6, v23
	v_cndmask_b32_e64 v6, v6, v23, s[2:3]
	v_cmp_lt_f32_e64 s[2:3], v6, v24
	v_cndmask_b32_e64 v6, v6, v24, s[2:3]
	v_cmp_lt_f32_e64 s[2:3], v6, v25
	v_cndmask_b32_e64 v6, v6, v25, s[2:3]
	v_cmp_lt_f32_e64 s[2:3], v6, v30
	v_cndmask_b32_e64 v6, v6, v30, s[2:3]
	v_cmp_lt_f32_e64 s[2:3], v6, v31
	v_cndmask_b32_e64 v6, v6, v31, s[2:3]
	v_add_lshl_u32 v1, v1, v0, 2
	v_cmp_gt_u32_e64 s[2:3], 64, v0
	ds_write_b32 v1, v6
	s_waitcnt lgkmcnt(0)
	s_barrier
	s_and_saveexec_b64 s[10:11], s[2:3]
	s_cbranch_execz .LBB1945_62
; %bb.61:
	v_lshlrev_b32_e32 v1, 1, v0
	v_lshrrev_b32_e32 v7, 4, v0
	v_add_lshl_u32 v1, v7, v1, 2
	ds_read2_b32 v[8:9], v1 offset1:1
	v_mbcnt_lo_u32_b32 v7, -1, 0
	v_mbcnt_hi_u32_b32 v7, -1, v7
	v_and_b32_e32 v10, 15, v7
	v_cmp_lt_u32_e64 s[8:9], 31, v7
	s_waitcnt lgkmcnt(0)
	v_cmp_lt_f32_e64 s[2:3], v8, v9
	v_cndmask_b32_e64 v9, v8, v9, s[2:3]
	v_cmp_gt_u32_e64 s[6:7], 32, v7
	s_nop 0
	v_mov_b32_dpp v11, v9 row_shr:1 row_mask:0xf bank_mask:0xf
	v_cmp_gt_f32_e64 s[2:3], v9, v11
	v_cndmask_b32_e64 v11, v11, v9, s[2:3]
	v_cmp_eq_u32_e64 s[2:3], 0, v10
	v_cndmask_b32_e64 v9, v11, v9, s[2:3]
	; wave barrier
	s_nop 1
	v_mov_b32_dpp v11, v9 row_shr:2 row_mask:0xf bank_mask:0xf
	v_cmp_gt_f32_e64 s[2:3], v9, v11
	v_cndmask_b32_e64 v11, v11, v9, s[2:3]
	v_cmp_lt_u32_e64 s[2:3], 1, v10
	v_cndmask_b32_e64 v11, v9, v11, s[2:3]
	s_nop 1
	v_mov_b32_dpp v12, v11 row_shr:4 row_mask:0xf bank_mask:0xf
	v_cmp_gt_f32_e64 s[4:5], v11, v12
	v_cndmask_b32_e64 v12, v12, v11, s[4:5]
	v_cmp_lt_u32_e64 s[4:5], 3, v10
	v_cndmask_b32_e64 v11, v11, v12, s[4:5]
	;; [unrolled: 6-line block ×3, first 2 shown]
	v_and_b32_e32 v12, 16, v7
	s_nop 0
	v_mov_b32_dpp v11, v10 row_bcast:15 row_mask:0xf bank_mask:0xf
	v_cmp_gt_f32_e64 s[4:5], v10, v11
	v_cndmask_b32_e64 v11, v11, v10, s[4:5]
	v_cmp_ne_u32_e64 s[4:5], 0, v12
	v_cndmask_b32_e64 v10, v10, v11, s[4:5]
	s_or_b64 s[8:9], s[4:5], s[8:9]
	s_or_b64 s[2:3], s[2:3], s[8:9]
	v_mov_b32_dpp v11, v10 row_bcast:31 row_mask:0xf bank_mask:0xf
	v_cmp_gt_f32_e64 s[4:5], v10, v11
	s_or_b64 s[4:5], s[6:7], s[4:5]
	v_cndmask_b32_e64 v10, v11, v10, s[4:5]
	v_cndmask_b32_e64 v9, v9, v10, s[2:3]
	v_add_u32_e32 v10, -1, v7
	v_and_b32_e32 v11, 64, v7
	v_cmp_lt_i32_e64 s[2:3], v10, v11
	v_cndmask_b32_e64 v7, v10, v7, s[2:3]
	v_lshlrev_b32_e32 v7, 2, v7
	ds_bpermute_b32 v7, v7, v9
	s_waitcnt lgkmcnt(0)
	v_cmp_gt_f32_e64 s[2:3], v8, v7
	v_cndmask_b32_e64 v7, v7, v8, s[2:3]
	v_cndmask_b32_e64 v7, v7, v6, s[0:1]
	ds_write_b32 v1, v7
	; wave barrier
	ds_read_b32 v8, v1 offset:4
	s_waitcnt lgkmcnt(0)
	v_cmp_lt_f32_e64 s[0:1], v7, v8
	v_cndmask_b32_e64 v7, v7, v8, s[0:1]
	ds_write_b32 v1, v7 offset:4
.LBB1945_62:
	s_or_b64 exec, exec, s[10:11]
	s_waitcnt lgkmcnt(0)
	s_barrier
	s_and_saveexec_b64 s[0:1], vcc
	s_cbranch_execz .LBB1945_64
; %bb.63:
	v_add_u32_e32 v1, -1, v0
	v_lshrrev_b32_e32 v6, 5, v1
	v_add_lshl_u32 v1, v6, v1, 2
	ds_read_b32 v6, v1
.LBB1945_64:
	s_or_b64 exec, exec, s[0:1]
	s_and_saveexec_b64 s[0:1], vcc
	s_cbranch_execz .LBB1945_66
; %bb.65:
	s_waitcnt lgkmcnt(0)
	v_cmp_gt_f32_e32 vcc, v2, v6
	v_cndmask_b32_e32 v2, v6, v2, vcc
	;;#ASMSTART
	;;#ASMEND
.LBB1945_66:
	s_or_b64 exec, exec, s[0:1]
	v_cmp_gt_f32_e32 vcc, v3, v2
	v_cndmask_b32_e32 v3, v2, v3, vcc
	v_cmp_lt_f32_e32 vcc, v3, v4
	v_cndmask_b32_e32 v4, v3, v4, vcc
	v_cmp_lt_f32_e32 vcc, v4, v5
	;; [unrolled: 2-line block ×3, first 2 shown]
	s_waitcnt lgkmcnt(0)
	v_cndmask_b32_e32 v6, v5, v26, vcc
	v_cmp_lt_f32_e32 vcc, v6, v27
	v_cndmask_b32_e32 v7, v6, v27, vcc
	v_cmp_lt_f32_e32 vcc, v7, v28
	;; [unrolled: 2-line block ×9, first 2 shown]
	s_movk_i32 s0, 0x7f
	v_cndmask_b32_e32 v15, v14, v31, vcc
	v_cmp_eq_u32_e32 vcc, s0, v0
	s_and_saveexec_b64 s[0:1], vcc
	s_cbranch_execz .LBB1945_68
; %bb.67:
	v_mov_b32_e32 v1, 0
	v_mov_b32_e32 v17, 2
	;; [unrolled: 1-line block ×3, first 2 shown]
	global_store_dwordx2 v1, v[16:17], s[28:29] offset:512
.LBB1945_68:
	s_or_b64 exec, exec, s[0:1]
	v_pk_mov_b32 v[20:21], v[16:17], v[16:17] op_sel:[0,1]
	v_pk_mov_b32 v[18:19], v[14:15], v[14:15] op_sel:[0,1]
	;; [unrolled: 1-line block ×8, first 2 shown]
.LBB1945_69:
	s_add_u32 s0, s12, s24
	s_addc_u32 s1, s13, s25
	s_add_u32 s2, s0, s26
	s_addc_u32 s3, s1, s27
	s_mov_b64 s[0:1], -1
	s_and_b64 vcc, exec, s[14:15]
	s_waitcnt lgkmcnt(0)
	s_barrier
	s_cbranch_vccz .LBB1945_71
; %bb.70:
	ds_write2_b64 v34, v[6:7], v[8:9] offset1:1
	ds_write2_b64 v34, v[10:11], v[12:13] offset0:2 offset1:3
	ds_write2_b64 v34, v[14:15], v[16:17] offset0:4 offset1:5
	ds_write_b64 v34, v[18:19] offset:48
	s_waitcnt lgkmcnt(0)
	s_barrier
	ds_read2st64_b32 v[2:3], v32 offset1:2
	ds_read2st64_b32 v[4:5], v32 offset0:4 offset1:6
	ds_read2st64_b32 v[20:21], v32 offset0:8 offset1:10
	;; [unrolled: 1-line block ×6, first 2 shown]
	v_mov_b32_e32 v1, s3
	v_add_co_u32_e32 v30, vcc, s2, v32
	v_addc_co_u32_e32 v31, vcc, 0, v1, vcc
	s_waitcnt lgkmcnt(6)
	flat_store_dword v[30:31], v2
	flat_store_dword v[30:31], v3 offset:512
	s_waitcnt lgkmcnt(0)
	flat_store_dword v[30:31], v4 offset:1024
	flat_store_dword v[30:31], v5 offset:1536
	;; [unrolled: 1-line block ×6, first 2 shown]
	v_add_co_u32_e32 v2, vcc, 0x1000, v30
	v_addc_co_u32_e32 v3, vcc, 0, v31, vcc
	flat_store_dword v[2:3], v24
	flat_store_dword v[2:3], v25 offset:512
	flat_store_dword v[2:3], v26 offset:1024
	;; [unrolled: 1-line block ×5, first 2 shown]
	s_mov_b64 s[0:1], 0
.LBB1945_71:
	s_andn2_b64 vcc, exec, s[0:1]
	s_cbranch_vccnz .LBB1945_151
; %bb.72:
	s_movk_i32 s0, 0xffcc
	ds_write2_b64 v34, v[6:7], v[8:9] offset1:1
	ds_write2_b64 v34, v[10:11], v[12:13] offset0:2 offset1:3
	ds_write2_b64 v34, v[14:15], v[16:17] offset0:4 offset1:5
	ds_write_b64 v34, v[18:19] offset:48
	v_mad_i32_i24 v14, v0, s0, v34
	s_waitcnt lgkmcnt(0)
	s_barrier
	ds_read2st64_b32 v[4:5], v14 offset1:2
	ds_read2st64_b32 v[6:7], v14 offset0:4 offset1:6
	ds_read2st64_b32 v[8:9], v14 offset0:8 offset1:10
	;; [unrolled: 1-line block ×6, first 2 shown]
	v_mov_b32_e32 v17, s3
	v_add_co_u32_e32 v16, vcc, s2, v32
	v_addc_co_u32_e32 v17, vcc, 0, v17, vcc
	v_mov_b32_e32 v1, 0
	v_cmp_gt_u32_e32 vcc, s30, v0
	s_and_saveexec_b64 s[0:1], vcc
	s_cbranch_execz .LBB1945_74
; %bb.73:
	s_waitcnt lgkmcnt(0)
	flat_store_dword v[16:17], v4
.LBB1945_74:
	s_or_b64 exec, exec, s[0:1]
	v_or_b32_e32 v18, 0x80, v0
	v_cmp_gt_u32_e32 vcc, s30, v18
	s_and_saveexec_b64 s[0:1], vcc
	s_cbranch_execz .LBB1945_76
; %bb.75:
	s_waitcnt lgkmcnt(0)
	flat_store_dword v[16:17], v5 offset:512
.LBB1945_76:
	s_or_b64 exec, exec, s[0:1]
	v_or_b32_e32 v18, 0x100, v0
	v_cmp_gt_u32_e32 vcc, s30, v18
	s_and_saveexec_b64 s[0:1], vcc
	s_cbranch_execz .LBB1945_78
; %bb.77:
	s_waitcnt lgkmcnt(0)
	flat_store_dword v[16:17], v6 offset:1024
.LBB1945_78:
	s_or_b64 exec, exec, s[0:1]
	v_or_b32_e32 v18, 0x180, v0
	v_cmp_gt_u32_e32 vcc, s30, v18
	s_and_saveexec_b64 s[0:1], vcc
	s_cbranch_execz .LBB1945_80
; %bb.79:
	s_waitcnt lgkmcnt(0)
	flat_store_dword v[16:17], v7 offset:1536
.LBB1945_80:
	s_or_b64 exec, exec, s[0:1]
	v_or_b32_e32 v18, 0x200, v0
	v_cmp_gt_u32_e32 vcc, s30, v18
	s_and_saveexec_b64 s[0:1], vcc
	s_cbranch_execz .LBB1945_82
; %bb.81:
	s_waitcnt lgkmcnt(0)
	flat_store_dword v[16:17], v8 offset:2048
.LBB1945_82:
	s_or_b64 exec, exec, s[0:1]
	v_or_b32_e32 v18, 0x280, v0
	v_cmp_gt_u32_e32 vcc, s30, v18
	s_and_saveexec_b64 s[0:1], vcc
	s_cbranch_execz .LBB1945_84
; %bb.83:
	s_waitcnt lgkmcnt(0)
	flat_store_dword v[16:17], v9 offset:2560
.LBB1945_84:
	s_or_b64 exec, exec, s[0:1]
	v_or_b32_e32 v18, 0x300, v0
	v_cmp_gt_u32_e32 vcc, s30, v18
	s_and_saveexec_b64 s[0:1], vcc
	s_cbranch_execz .LBB1945_86
; %bb.85:
	s_waitcnt lgkmcnt(0)
	flat_store_dword v[16:17], v2 offset:3072
.LBB1945_86:
	s_or_b64 exec, exec, s[0:1]
	v_or_b32_e32 v18, 0x380, v0
	v_cmp_gt_u32_e32 vcc, s30, v18
	s_and_saveexec_b64 s[0:1], vcc
	s_cbranch_execz .LBB1945_88
; %bb.87:
	s_waitcnt lgkmcnt(0)
	flat_store_dword v[16:17], v3 offset:3584
.LBB1945_88:
	s_or_b64 exec, exec, s[0:1]
	v_or_b32_e32 v18, 0x400, v0
	v_cmp_gt_u32_e32 vcc, s30, v18
	s_and_saveexec_b64 s[0:1], vcc
	s_cbranch_execz .LBB1945_90
; %bb.89:
	v_add_co_u32_e32 v18, vcc, 0x1000, v16
	v_addc_co_u32_e32 v19, vcc, 0, v17, vcc
	s_waitcnt lgkmcnt(0)
	flat_store_dword v[18:19], v12
.LBB1945_90:
	s_or_b64 exec, exec, s[0:1]
	v_or_b32_e32 v18, 0x480, v0
	v_cmp_gt_u32_e32 vcc, s30, v18
	s_and_saveexec_b64 s[0:1], vcc
	s_cbranch_execz .LBB1945_92
; %bb.91:
	v_add_co_u32_e32 v18, vcc, 0x1000, v16
	v_addc_co_u32_e32 v19, vcc, 0, v17, vcc
	s_waitcnt lgkmcnt(0)
	flat_store_dword v[18:19], v13 offset:512
.LBB1945_92:
	s_or_b64 exec, exec, s[0:1]
	v_or_b32_e32 v18, 0x500, v0
	v_cmp_gt_u32_e32 vcc, s30, v18
	s_and_saveexec_b64 s[0:1], vcc
	s_cbranch_execz .LBB1945_94
; %bb.93:
	v_add_co_u32_e32 v18, vcc, 0x1000, v16
	v_addc_co_u32_e32 v19, vcc, 0, v17, vcc
	s_waitcnt lgkmcnt(0)
	flat_store_dword v[18:19], v10 offset:1024
.LBB1945_94:
	;; [unrolled: 11-line block ×5, first 2 shown]
	s_or_b64 exec, exec, s[0:1]
	v_cmp_lt_u64_e64 s[0:1], s[22:23], 2
	s_and_b64 vcc, exec, s[0:1]
	s_cbranch_vccnz .LBB1945_151
; %bb.101:
	s_add_u32 s0, s30, -1
	s_addc_u32 s1, s31, -1
	s_add_u32 s2, 0, 0x49240800
	s_addc_u32 s3, 0, 50
	s_add_i32 s3, s3, 0x12492460
	s_mul_hi_u32 s7, s2, -14
	s_sub_i32 s7, s7, s2
	s_mul_i32 s8, s3, -14
	s_mul_i32 s4, s2, -14
	s_add_i32 s7, s7, s8
	s_mul_hi_u32 s5, s3, s4
	s_mul_i32 s6, s3, s4
	s_mul_i32 s9, s2, s7
	s_mul_hi_u32 s4, s2, s4
	s_mul_hi_u32 s8, s2, s7
	s_add_u32 s4, s4, s9
	s_addc_u32 s8, 0, s8
	s_add_u32 s4, s4, s6
	s_mul_hi_u32 s9, s3, s7
	s_addc_u32 s4, s8, s5
	s_addc_u32 s5, s9, 0
	s_mul_i32 s6, s3, s7
	s_add_u32 s4, s4, s6
	v_mov_b32_e32 v16, s4
	s_addc_u32 s5, 0, s5
	v_add_co_u32_e32 v16, vcc, s2, v16
	s_cmp_lg_u64 vcc, 0
	s_addc_u32 s2, s3, s5
	v_readfirstlane_b32 s5, v16
	s_mul_i32 s4, s0, s2
	s_mul_hi_u32 s6, s0, s5
	s_mul_hi_u32 s3, s0, s2
	s_add_u32 s4, s6, s4
	s_addc_u32 s3, 0, s3
	s_mul_hi_u32 s7, s1, s5
	s_mul_i32 s5, s1, s5
	s_add_u32 s4, s4, s5
	s_mul_hi_u32 s6, s1, s2
	s_addc_u32 s3, s3, s7
	s_addc_u32 s4, s6, 0
	s_mul_i32 s2, s1, s2
	s_add_u32 s2, s3, s2
	s_addc_u32 s3, 0, s4
	s_add_u32 s4, s2, 1
	s_addc_u32 s5, s3, 0
	s_add_u32 s6, s2, 2
	s_mul_i32 s8, s3, 14
	s_mul_hi_u32 s9, s2, 14
	s_addc_u32 s7, s3, 0
	s_add_i32 s9, s9, s8
	s_mul_i32 s8, s2, 14
	v_mov_b32_e32 v16, s8
	v_sub_co_u32_e32 v16, vcc, s0, v16
	s_cmp_lg_u64 vcc, 0
	s_subb_u32 s8, s1, s9
	v_subrev_co_u32_e32 v17, vcc, 14, v16
	s_cmp_lg_u64 vcc, 0
	s_subb_u32 s9, s8, 0
	v_readfirstlane_b32 s10, v17
	s_cmp_gt_u32 s10, 13
	s_cselect_b32 s10, -1, 0
	s_cmp_eq_u32 s9, 0
	s_cselect_b32 s9, s10, -1
	s_cmp_lg_u32 s9, 0
	s_cselect_b32 s4, s6, s4
	v_readfirstlane_b32 s6, v16
	s_cselect_b32 s5, s7, s5
	s_cmp_gt_u32 s6, 13
	s_cselect_b32 s6, -1, 0
	s_cmp_eq_u32 s8, 0
	s_cselect_b32 s6, s6, -1
	s_cmp_lg_u32 s6, 0
	s_cselect_b32 s3, s5, s3
	s_cselect_b32 s2, s4, s2
	v_cmp_eq_u64_e32 vcc, s[2:3], v[0:1]
	s_and_saveexec_b64 s[2:3], vcc
	s_cbranch_execz .LBB1945_151
; %bb.102:
	v_mul_hi_u32_u24_e32 v1, 14, v0
	v_mov_b32_e32 v16, s1
	v_sub_co_u32_e32 v0, vcc, s0, v33
	v_subb_co_u32_e32 v1, vcc, v16, v1, vcc
	v_cmp_lt_i64_e32 vcc, 6, v[0:1]
	s_and_saveexec_b64 s[0:1], vcc
	s_xor_b64 s[0:1], exec, s[0:1]
	s_cbranch_execz .LBB1945_128
; %bb.103:
	v_cmp_lt_i64_e32 vcc, 9, v[0:1]
	s_and_saveexec_b64 s[2:3], vcc
	s_xor_b64 s[2:3], exec, s[2:3]
	s_cbranch_execz .LBB1945_117
; %bb.104:
	;; [unrolled: 5-line block ×4, first 2 shown]
	v_mov_b32_e32 v0, 0
	s_waitcnt lgkmcnt(0)
	global_store_dword v0, v15, s[18:19]
                                        ; implicit-def: $vgpr14_vgpr15
.LBB1945_107:
	s_andn2_saveexec_b64 s[6:7], s[6:7]
	s_cbranch_execz .LBB1945_109
; %bb.108:
	v_mov_b32_e32 v0, 0
	s_waitcnt lgkmcnt(0)
	global_store_dword v0, v14, s[18:19]
.LBB1945_109:
	s_or_b64 exec, exec, s[6:7]
                                        ; implicit-def: $vgpr10_vgpr11
                                        ; implicit-def: $vgpr0_vgpr1
.LBB1945_110:
	s_andn2_saveexec_b64 s[4:5], s[4:5]
	s_cbranch_execz .LBB1945_116
; %bb.111:
	v_cmp_lt_i64_e32 vcc, 10, v[0:1]
	s_and_saveexec_b64 s[6:7], vcc
	s_xor_b64 s[6:7], exec, s[6:7]
	s_cbranch_execz .LBB1945_113
; %bb.112:
	v_mov_b32_e32 v0, 0
	s_waitcnt lgkmcnt(0)
	global_store_dword v0, v11, s[18:19]
                                        ; implicit-def: $vgpr10_vgpr11
.LBB1945_113:
	s_andn2_saveexec_b64 s[6:7], s[6:7]
	s_cbranch_execz .LBB1945_115
; %bb.114:
	v_mov_b32_e32 v0, 0
	s_waitcnt lgkmcnt(0)
	global_store_dword v0, v10, s[18:19]
.LBB1945_115:
	s_or_b64 exec, exec, s[6:7]
.LBB1945_116:
	s_or_b64 exec, exec, s[4:5]
                                        ; implicit-def: $vgpr2_vgpr3
                                        ; implicit-def: $vgpr0_vgpr1
                                        ; implicit-def: $vgpr12_vgpr13
.LBB1945_117:
	s_andn2_saveexec_b64 s[2:3], s[2:3]
	s_cbranch_execz .LBB1945_127
; %bb.118:
	v_cmp_lt_i64_e32 vcc, 7, v[0:1]
	s_and_saveexec_b64 s[4:5], vcc
	s_xor_b64 s[4:5], exec, s[4:5]
	s_cbranch_execz .LBB1945_124
; %bb.119:
	v_cmp_lt_i64_e32 vcc, 8, v[0:1]
	s_and_saveexec_b64 s[6:7], vcc
	s_xor_b64 s[6:7], exec, s[6:7]
	s_cbranch_execz .LBB1945_121
; %bb.120:
	v_mov_b32_e32 v0, 0
	s_waitcnt lgkmcnt(0)
	global_store_dword v0, v13, s[18:19]
                                        ; implicit-def: $vgpr12_vgpr13
.LBB1945_121:
	s_andn2_saveexec_b64 s[6:7], s[6:7]
	s_cbranch_execz .LBB1945_123
; %bb.122:
	v_mov_b32_e32 v0, 0
	s_waitcnt lgkmcnt(0)
	global_store_dword v0, v12, s[18:19]
.LBB1945_123:
	s_or_b64 exec, exec, s[6:7]
                                        ; implicit-def: $vgpr2_vgpr3
.LBB1945_124:
	s_andn2_saveexec_b64 s[4:5], s[4:5]
	s_cbranch_execz .LBB1945_126
; %bb.125:
	v_mov_b32_e32 v0, 0
	s_waitcnt lgkmcnt(0)
	global_store_dword v0, v3, s[18:19]
.LBB1945_126:
	s_or_b64 exec, exec, s[4:5]
.LBB1945_127:
	s_or_b64 exec, exec, s[2:3]
                                        ; implicit-def: $vgpr0_vgpr1
                                        ; implicit-def: $vgpr8_vgpr9
                                        ; implicit-def: $vgpr4_vgpr5
                                        ; implicit-def: $vgpr6_vgpr7
                                        ; implicit-def: $vgpr2_vgpr3
.LBB1945_128:
	s_andn2_saveexec_b64 s[0:1], s[0:1]
	s_cbranch_execz .LBB1945_151
; %bb.129:
	v_cmp_lt_i64_e32 vcc, 3, v[0:1]
	s_and_saveexec_b64 s[0:1], vcc
	s_xor_b64 s[0:1], exec, s[0:1]
	s_cbranch_execz .LBB1945_139
; %bb.130:
	v_cmp_lt_i64_e32 vcc, 4, v[0:1]
	s_and_saveexec_b64 s[2:3], vcc
	s_xor_b64 s[2:3], exec, s[2:3]
	;; [unrolled: 5-line block ×3, first 2 shown]
	s_cbranch_execz .LBB1945_133
; %bb.132:
	v_mov_b32_e32 v0, 0
	s_waitcnt lgkmcnt(0)
	global_store_dword v0, v2, s[18:19]
                                        ; implicit-def: $vgpr8_vgpr9
.LBB1945_133:
	s_andn2_saveexec_b64 s[4:5], s[4:5]
	s_cbranch_execz .LBB1945_135
; %bb.134:
	v_mov_b32_e32 v0, 0
	s_waitcnt lgkmcnt(0)
	global_store_dword v0, v9, s[18:19]
.LBB1945_135:
	s_or_b64 exec, exec, s[4:5]
                                        ; implicit-def: $vgpr8_vgpr9
.LBB1945_136:
	s_andn2_saveexec_b64 s[2:3], s[2:3]
	s_cbranch_execz .LBB1945_138
; %bb.137:
	v_mov_b32_e32 v0, 0
	s_waitcnt lgkmcnt(0)
	global_store_dword v0, v8, s[18:19]
.LBB1945_138:
	s_or_b64 exec, exec, s[2:3]
                                        ; implicit-def: $vgpr0_vgpr1
                                        ; implicit-def: $vgpr4_vgpr5
                                        ; implicit-def: $vgpr6_vgpr7
.LBB1945_139:
	s_andn2_saveexec_b64 s[0:1], s[0:1]
	s_cbranch_execz .LBB1945_151
; %bb.140:
	v_cmp_lt_i64_e32 vcc, 1, v[0:1]
	s_and_saveexec_b64 s[0:1], vcc
	s_xor_b64 s[0:1], exec, s[0:1]
	s_cbranch_execz .LBB1945_146
; %bb.141:
	v_cmp_lt_i64_e32 vcc, 2, v[0:1]
	s_and_saveexec_b64 s[2:3], vcc
	s_xor_b64 s[2:3], exec, s[2:3]
	s_cbranch_execz .LBB1945_143
; %bb.142:
	v_mov_b32_e32 v0, 0
	s_waitcnt lgkmcnt(0)
	global_store_dword v0, v7, s[18:19]
                                        ; implicit-def: $vgpr6_vgpr7
.LBB1945_143:
	s_andn2_saveexec_b64 s[2:3], s[2:3]
	s_cbranch_execz .LBB1945_145
; %bb.144:
	v_mov_b32_e32 v0, 0
	s_waitcnt lgkmcnt(0)
	global_store_dword v0, v6, s[18:19]
.LBB1945_145:
	s_or_b64 exec, exec, s[2:3]
                                        ; implicit-def: $vgpr4_vgpr5
                                        ; implicit-def: $vgpr0_vgpr1
.LBB1945_146:
	s_andn2_saveexec_b64 s[0:1], s[0:1]
	s_cbranch_execz .LBB1945_151
; %bb.147:
	v_cmp_ne_u64_e32 vcc, 1, v[0:1]
	s_and_saveexec_b64 s[0:1], vcc
	s_xor_b64 s[0:1], exec, s[0:1]
	s_cbranch_execz .LBB1945_149
; %bb.148:
	v_mov_b32_e32 v0, 0
	s_waitcnt lgkmcnt(0)
	global_store_dword v0, v4, s[18:19]
                                        ; implicit-def: $vgpr4_vgpr5
.LBB1945_149:
	s_andn2_saveexec_b64 s[0:1], s[0:1]
	s_cbranch_execz .LBB1945_151
; %bb.150:
	v_mov_b32_e32 v0, 0
	s_waitcnt lgkmcnt(0)
	global_store_dword v0, v5, s[18:19]
.LBB1945_151:
	s_endpgm
	.section	.rodata,"a",@progbits
	.p2align	6, 0x0
	.amdhsa_kernel _ZN7rocprim17ROCPRIM_400000_NS6detail17trampoline_kernelINS0_14default_configENS1_20scan_config_selectorIfEEZZNS1_9scan_implILNS1_25lookback_scan_determinismE0ELb0ELb0ES3_N6thrust23THRUST_200600_302600_NS6detail15normal_iteratorINS9_10device_ptrIfEEEESE_f11max_functorIfEfEEDaPvRmT3_T4_T5_mT6_P12ihipStream_tbENKUlT_T0_E_clISt17integral_constantIbLb0EESU_EEDaSP_SQ_EUlSP_E_NS1_11comp_targetILNS1_3genE4ELNS1_11target_archE910ELNS1_3gpuE8ELNS1_3repE0EEENS1_30default_config_static_selectorELNS0_4arch9wavefront6targetE1EEEvT1_
		.amdhsa_group_segment_fixed_size 7168
		.amdhsa_private_segment_fixed_size 0
		.amdhsa_kernarg_size 96
		.amdhsa_user_sgpr_count 6
		.amdhsa_user_sgpr_private_segment_buffer 1
		.amdhsa_user_sgpr_dispatch_ptr 0
		.amdhsa_user_sgpr_queue_ptr 0
		.amdhsa_user_sgpr_kernarg_segment_ptr 1
		.amdhsa_user_sgpr_dispatch_id 0
		.amdhsa_user_sgpr_flat_scratch_init 0
		.amdhsa_user_sgpr_kernarg_preload_length 0
		.amdhsa_user_sgpr_kernarg_preload_offset 0
		.amdhsa_user_sgpr_private_segment_size 0
		.amdhsa_uses_dynamic_stack 0
		.amdhsa_system_sgpr_private_segment_wavefront_offset 0
		.amdhsa_system_sgpr_workgroup_id_x 1
		.amdhsa_system_sgpr_workgroup_id_y 0
		.amdhsa_system_sgpr_workgroup_id_z 0
		.amdhsa_system_sgpr_workgroup_info 0
		.amdhsa_system_vgpr_workitem_id 0
		.amdhsa_next_free_vgpr 44
		.amdhsa_next_free_sgpr 32
		.amdhsa_accum_offset 44
		.amdhsa_reserve_vcc 1
		.amdhsa_reserve_flat_scratch 0
		.amdhsa_float_round_mode_32 0
		.amdhsa_float_round_mode_16_64 0
		.amdhsa_float_denorm_mode_32 3
		.amdhsa_float_denorm_mode_16_64 3
		.amdhsa_dx10_clamp 1
		.amdhsa_ieee_mode 1
		.amdhsa_fp16_overflow 0
		.amdhsa_tg_split 0
		.amdhsa_exception_fp_ieee_invalid_op 0
		.amdhsa_exception_fp_denorm_src 0
		.amdhsa_exception_fp_ieee_div_zero 0
		.amdhsa_exception_fp_ieee_overflow 0
		.amdhsa_exception_fp_ieee_underflow 0
		.amdhsa_exception_fp_ieee_inexact 0
		.amdhsa_exception_int_div_zero 0
	.end_amdhsa_kernel
	.section	.text._ZN7rocprim17ROCPRIM_400000_NS6detail17trampoline_kernelINS0_14default_configENS1_20scan_config_selectorIfEEZZNS1_9scan_implILNS1_25lookback_scan_determinismE0ELb0ELb0ES3_N6thrust23THRUST_200600_302600_NS6detail15normal_iteratorINS9_10device_ptrIfEEEESE_f11max_functorIfEfEEDaPvRmT3_T4_T5_mT6_P12ihipStream_tbENKUlT_T0_E_clISt17integral_constantIbLb0EESU_EEDaSP_SQ_EUlSP_E_NS1_11comp_targetILNS1_3genE4ELNS1_11target_archE910ELNS1_3gpuE8ELNS1_3repE0EEENS1_30default_config_static_selectorELNS0_4arch9wavefront6targetE1EEEvT1_,"axG",@progbits,_ZN7rocprim17ROCPRIM_400000_NS6detail17trampoline_kernelINS0_14default_configENS1_20scan_config_selectorIfEEZZNS1_9scan_implILNS1_25lookback_scan_determinismE0ELb0ELb0ES3_N6thrust23THRUST_200600_302600_NS6detail15normal_iteratorINS9_10device_ptrIfEEEESE_f11max_functorIfEfEEDaPvRmT3_T4_T5_mT6_P12ihipStream_tbENKUlT_T0_E_clISt17integral_constantIbLb0EESU_EEDaSP_SQ_EUlSP_E_NS1_11comp_targetILNS1_3genE4ELNS1_11target_archE910ELNS1_3gpuE8ELNS1_3repE0EEENS1_30default_config_static_selectorELNS0_4arch9wavefront6targetE1EEEvT1_,comdat
.Lfunc_end1945:
	.size	_ZN7rocprim17ROCPRIM_400000_NS6detail17trampoline_kernelINS0_14default_configENS1_20scan_config_selectorIfEEZZNS1_9scan_implILNS1_25lookback_scan_determinismE0ELb0ELb0ES3_N6thrust23THRUST_200600_302600_NS6detail15normal_iteratorINS9_10device_ptrIfEEEESE_f11max_functorIfEfEEDaPvRmT3_T4_T5_mT6_P12ihipStream_tbENKUlT_T0_E_clISt17integral_constantIbLb0EESU_EEDaSP_SQ_EUlSP_E_NS1_11comp_targetILNS1_3genE4ELNS1_11target_archE910ELNS1_3gpuE8ELNS1_3repE0EEENS1_30default_config_static_selectorELNS0_4arch9wavefront6targetE1EEEvT1_, .Lfunc_end1945-_ZN7rocprim17ROCPRIM_400000_NS6detail17trampoline_kernelINS0_14default_configENS1_20scan_config_selectorIfEEZZNS1_9scan_implILNS1_25lookback_scan_determinismE0ELb0ELb0ES3_N6thrust23THRUST_200600_302600_NS6detail15normal_iteratorINS9_10device_ptrIfEEEESE_f11max_functorIfEfEEDaPvRmT3_T4_T5_mT6_P12ihipStream_tbENKUlT_T0_E_clISt17integral_constantIbLb0EESU_EEDaSP_SQ_EUlSP_E_NS1_11comp_targetILNS1_3genE4ELNS1_11target_archE910ELNS1_3gpuE8ELNS1_3repE0EEENS1_30default_config_static_selectorELNS0_4arch9wavefront6targetE1EEEvT1_
                                        ; -- End function
	.section	.AMDGPU.csdata,"",@progbits
; Kernel info:
; codeLenInByte = 6448
; NumSgprs: 36
; NumVgprs: 44
; NumAgprs: 0
; TotalNumVgprs: 44
; ScratchSize: 0
; MemoryBound: 0
; FloatMode: 240
; IeeeMode: 1
; LDSByteSize: 7168 bytes/workgroup (compile time only)
; SGPRBlocks: 4
; VGPRBlocks: 5
; NumSGPRsForWavesPerEU: 36
; NumVGPRsForWavesPerEU: 44
; AccumOffset: 44
; Occupancy: 5
; WaveLimiterHint : 1
; COMPUTE_PGM_RSRC2:SCRATCH_EN: 0
; COMPUTE_PGM_RSRC2:USER_SGPR: 6
; COMPUTE_PGM_RSRC2:TRAP_HANDLER: 0
; COMPUTE_PGM_RSRC2:TGID_X_EN: 1
; COMPUTE_PGM_RSRC2:TGID_Y_EN: 0
; COMPUTE_PGM_RSRC2:TGID_Z_EN: 0
; COMPUTE_PGM_RSRC2:TIDIG_COMP_CNT: 0
; COMPUTE_PGM_RSRC3_GFX90A:ACCUM_OFFSET: 10
; COMPUTE_PGM_RSRC3_GFX90A:TG_SPLIT: 0
	.section	.text._ZN7rocprim17ROCPRIM_400000_NS6detail17trampoline_kernelINS0_14default_configENS1_20scan_config_selectorIfEEZZNS1_9scan_implILNS1_25lookback_scan_determinismE0ELb0ELb0ES3_N6thrust23THRUST_200600_302600_NS6detail15normal_iteratorINS9_10device_ptrIfEEEESE_f11max_functorIfEfEEDaPvRmT3_T4_T5_mT6_P12ihipStream_tbENKUlT_T0_E_clISt17integral_constantIbLb0EESU_EEDaSP_SQ_EUlSP_E_NS1_11comp_targetILNS1_3genE3ELNS1_11target_archE908ELNS1_3gpuE7ELNS1_3repE0EEENS1_30default_config_static_selectorELNS0_4arch9wavefront6targetE1EEEvT1_,"axG",@progbits,_ZN7rocprim17ROCPRIM_400000_NS6detail17trampoline_kernelINS0_14default_configENS1_20scan_config_selectorIfEEZZNS1_9scan_implILNS1_25lookback_scan_determinismE0ELb0ELb0ES3_N6thrust23THRUST_200600_302600_NS6detail15normal_iteratorINS9_10device_ptrIfEEEESE_f11max_functorIfEfEEDaPvRmT3_T4_T5_mT6_P12ihipStream_tbENKUlT_T0_E_clISt17integral_constantIbLb0EESU_EEDaSP_SQ_EUlSP_E_NS1_11comp_targetILNS1_3genE3ELNS1_11target_archE908ELNS1_3gpuE7ELNS1_3repE0EEENS1_30default_config_static_selectorELNS0_4arch9wavefront6targetE1EEEvT1_,comdat
	.protected	_ZN7rocprim17ROCPRIM_400000_NS6detail17trampoline_kernelINS0_14default_configENS1_20scan_config_selectorIfEEZZNS1_9scan_implILNS1_25lookback_scan_determinismE0ELb0ELb0ES3_N6thrust23THRUST_200600_302600_NS6detail15normal_iteratorINS9_10device_ptrIfEEEESE_f11max_functorIfEfEEDaPvRmT3_T4_T5_mT6_P12ihipStream_tbENKUlT_T0_E_clISt17integral_constantIbLb0EESU_EEDaSP_SQ_EUlSP_E_NS1_11comp_targetILNS1_3genE3ELNS1_11target_archE908ELNS1_3gpuE7ELNS1_3repE0EEENS1_30default_config_static_selectorELNS0_4arch9wavefront6targetE1EEEvT1_ ; -- Begin function _ZN7rocprim17ROCPRIM_400000_NS6detail17trampoline_kernelINS0_14default_configENS1_20scan_config_selectorIfEEZZNS1_9scan_implILNS1_25lookback_scan_determinismE0ELb0ELb0ES3_N6thrust23THRUST_200600_302600_NS6detail15normal_iteratorINS9_10device_ptrIfEEEESE_f11max_functorIfEfEEDaPvRmT3_T4_T5_mT6_P12ihipStream_tbENKUlT_T0_E_clISt17integral_constantIbLb0EESU_EEDaSP_SQ_EUlSP_E_NS1_11comp_targetILNS1_3genE3ELNS1_11target_archE908ELNS1_3gpuE7ELNS1_3repE0EEENS1_30default_config_static_selectorELNS0_4arch9wavefront6targetE1EEEvT1_
	.globl	_ZN7rocprim17ROCPRIM_400000_NS6detail17trampoline_kernelINS0_14default_configENS1_20scan_config_selectorIfEEZZNS1_9scan_implILNS1_25lookback_scan_determinismE0ELb0ELb0ES3_N6thrust23THRUST_200600_302600_NS6detail15normal_iteratorINS9_10device_ptrIfEEEESE_f11max_functorIfEfEEDaPvRmT3_T4_T5_mT6_P12ihipStream_tbENKUlT_T0_E_clISt17integral_constantIbLb0EESU_EEDaSP_SQ_EUlSP_E_NS1_11comp_targetILNS1_3genE3ELNS1_11target_archE908ELNS1_3gpuE7ELNS1_3repE0EEENS1_30default_config_static_selectorELNS0_4arch9wavefront6targetE1EEEvT1_
	.p2align	8
	.type	_ZN7rocprim17ROCPRIM_400000_NS6detail17trampoline_kernelINS0_14default_configENS1_20scan_config_selectorIfEEZZNS1_9scan_implILNS1_25lookback_scan_determinismE0ELb0ELb0ES3_N6thrust23THRUST_200600_302600_NS6detail15normal_iteratorINS9_10device_ptrIfEEEESE_f11max_functorIfEfEEDaPvRmT3_T4_T5_mT6_P12ihipStream_tbENKUlT_T0_E_clISt17integral_constantIbLb0EESU_EEDaSP_SQ_EUlSP_E_NS1_11comp_targetILNS1_3genE3ELNS1_11target_archE908ELNS1_3gpuE7ELNS1_3repE0EEENS1_30default_config_static_selectorELNS0_4arch9wavefront6targetE1EEEvT1_,@function
_ZN7rocprim17ROCPRIM_400000_NS6detail17trampoline_kernelINS0_14default_configENS1_20scan_config_selectorIfEEZZNS1_9scan_implILNS1_25lookback_scan_determinismE0ELb0ELb0ES3_N6thrust23THRUST_200600_302600_NS6detail15normal_iteratorINS9_10device_ptrIfEEEESE_f11max_functorIfEfEEDaPvRmT3_T4_T5_mT6_P12ihipStream_tbENKUlT_T0_E_clISt17integral_constantIbLb0EESU_EEDaSP_SQ_EUlSP_E_NS1_11comp_targetILNS1_3genE3ELNS1_11target_archE908ELNS1_3gpuE7ELNS1_3repE0EEENS1_30default_config_static_selectorELNS0_4arch9wavefront6targetE1EEEvT1_: ; @_ZN7rocprim17ROCPRIM_400000_NS6detail17trampoline_kernelINS0_14default_configENS1_20scan_config_selectorIfEEZZNS1_9scan_implILNS1_25lookback_scan_determinismE0ELb0ELb0ES3_N6thrust23THRUST_200600_302600_NS6detail15normal_iteratorINS9_10device_ptrIfEEEESE_f11max_functorIfEfEEDaPvRmT3_T4_T5_mT6_P12ihipStream_tbENKUlT_T0_E_clISt17integral_constantIbLb0EESU_EEDaSP_SQ_EUlSP_E_NS1_11comp_targetILNS1_3genE3ELNS1_11target_archE908ELNS1_3gpuE7ELNS1_3repE0EEENS1_30default_config_static_selectorELNS0_4arch9wavefront6targetE1EEEvT1_
; %bb.0:
	.section	.rodata,"a",@progbits
	.p2align	6, 0x0
	.amdhsa_kernel _ZN7rocprim17ROCPRIM_400000_NS6detail17trampoline_kernelINS0_14default_configENS1_20scan_config_selectorIfEEZZNS1_9scan_implILNS1_25lookback_scan_determinismE0ELb0ELb0ES3_N6thrust23THRUST_200600_302600_NS6detail15normal_iteratorINS9_10device_ptrIfEEEESE_f11max_functorIfEfEEDaPvRmT3_T4_T5_mT6_P12ihipStream_tbENKUlT_T0_E_clISt17integral_constantIbLb0EESU_EEDaSP_SQ_EUlSP_E_NS1_11comp_targetILNS1_3genE3ELNS1_11target_archE908ELNS1_3gpuE7ELNS1_3repE0EEENS1_30default_config_static_selectorELNS0_4arch9wavefront6targetE1EEEvT1_
		.amdhsa_group_segment_fixed_size 0
		.amdhsa_private_segment_fixed_size 0
		.amdhsa_kernarg_size 96
		.amdhsa_user_sgpr_count 6
		.amdhsa_user_sgpr_private_segment_buffer 1
		.amdhsa_user_sgpr_dispatch_ptr 0
		.amdhsa_user_sgpr_queue_ptr 0
		.amdhsa_user_sgpr_kernarg_segment_ptr 1
		.amdhsa_user_sgpr_dispatch_id 0
		.amdhsa_user_sgpr_flat_scratch_init 0
		.amdhsa_user_sgpr_kernarg_preload_length 0
		.amdhsa_user_sgpr_kernarg_preload_offset 0
		.amdhsa_user_sgpr_private_segment_size 0
		.amdhsa_uses_dynamic_stack 0
		.amdhsa_system_sgpr_private_segment_wavefront_offset 0
		.amdhsa_system_sgpr_workgroup_id_x 1
		.amdhsa_system_sgpr_workgroup_id_y 0
		.amdhsa_system_sgpr_workgroup_id_z 0
		.amdhsa_system_sgpr_workgroup_info 0
		.amdhsa_system_vgpr_workitem_id 0
		.amdhsa_next_free_vgpr 1
		.amdhsa_next_free_sgpr 0
		.amdhsa_accum_offset 4
		.amdhsa_reserve_vcc 0
		.amdhsa_reserve_flat_scratch 0
		.amdhsa_float_round_mode_32 0
		.amdhsa_float_round_mode_16_64 0
		.amdhsa_float_denorm_mode_32 3
		.amdhsa_float_denorm_mode_16_64 3
		.amdhsa_dx10_clamp 1
		.amdhsa_ieee_mode 1
		.amdhsa_fp16_overflow 0
		.amdhsa_tg_split 0
		.amdhsa_exception_fp_ieee_invalid_op 0
		.amdhsa_exception_fp_denorm_src 0
		.amdhsa_exception_fp_ieee_div_zero 0
		.amdhsa_exception_fp_ieee_overflow 0
		.amdhsa_exception_fp_ieee_underflow 0
		.amdhsa_exception_fp_ieee_inexact 0
		.amdhsa_exception_int_div_zero 0
	.end_amdhsa_kernel
	.section	.text._ZN7rocprim17ROCPRIM_400000_NS6detail17trampoline_kernelINS0_14default_configENS1_20scan_config_selectorIfEEZZNS1_9scan_implILNS1_25lookback_scan_determinismE0ELb0ELb0ES3_N6thrust23THRUST_200600_302600_NS6detail15normal_iteratorINS9_10device_ptrIfEEEESE_f11max_functorIfEfEEDaPvRmT3_T4_T5_mT6_P12ihipStream_tbENKUlT_T0_E_clISt17integral_constantIbLb0EESU_EEDaSP_SQ_EUlSP_E_NS1_11comp_targetILNS1_3genE3ELNS1_11target_archE908ELNS1_3gpuE7ELNS1_3repE0EEENS1_30default_config_static_selectorELNS0_4arch9wavefront6targetE1EEEvT1_,"axG",@progbits,_ZN7rocprim17ROCPRIM_400000_NS6detail17trampoline_kernelINS0_14default_configENS1_20scan_config_selectorIfEEZZNS1_9scan_implILNS1_25lookback_scan_determinismE0ELb0ELb0ES3_N6thrust23THRUST_200600_302600_NS6detail15normal_iteratorINS9_10device_ptrIfEEEESE_f11max_functorIfEfEEDaPvRmT3_T4_T5_mT6_P12ihipStream_tbENKUlT_T0_E_clISt17integral_constantIbLb0EESU_EEDaSP_SQ_EUlSP_E_NS1_11comp_targetILNS1_3genE3ELNS1_11target_archE908ELNS1_3gpuE7ELNS1_3repE0EEENS1_30default_config_static_selectorELNS0_4arch9wavefront6targetE1EEEvT1_,comdat
.Lfunc_end1946:
	.size	_ZN7rocprim17ROCPRIM_400000_NS6detail17trampoline_kernelINS0_14default_configENS1_20scan_config_selectorIfEEZZNS1_9scan_implILNS1_25lookback_scan_determinismE0ELb0ELb0ES3_N6thrust23THRUST_200600_302600_NS6detail15normal_iteratorINS9_10device_ptrIfEEEESE_f11max_functorIfEfEEDaPvRmT3_T4_T5_mT6_P12ihipStream_tbENKUlT_T0_E_clISt17integral_constantIbLb0EESU_EEDaSP_SQ_EUlSP_E_NS1_11comp_targetILNS1_3genE3ELNS1_11target_archE908ELNS1_3gpuE7ELNS1_3repE0EEENS1_30default_config_static_selectorELNS0_4arch9wavefront6targetE1EEEvT1_, .Lfunc_end1946-_ZN7rocprim17ROCPRIM_400000_NS6detail17trampoline_kernelINS0_14default_configENS1_20scan_config_selectorIfEEZZNS1_9scan_implILNS1_25lookback_scan_determinismE0ELb0ELb0ES3_N6thrust23THRUST_200600_302600_NS6detail15normal_iteratorINS9_10device_ptrIfEEEESE_f11max_functorIfEfEEDaPvRmT3_T4_T5_mT6_P12ihipStream_tbENKUlT_T0_E_clISt17integral_constantIbLb0EESU_EEDaSP_SQ_EUlSP_E_NS1_11comp_targetILNS1_3genE3ELNS1_11target_archE908ELNS1_3gpuE7ELNS1_3repE0EEENS1_30default_config_static_selectorELNS0_4arch9wavefront6targetE1EEEvT1_
                                        ; -- End function
	.section	.AMDGPU.csdata,"",@progbits
; Kernel info:
; codeLenInByte = 0
; NumSgprs: 4
; NumVgprs: 0
; NumAgprs: 0
; TotalNumVgprs: 0
; ScratchSize: 0
; MemoryBound: 0
; FloatMode: 240
; IeeeMode: 1
; LDSByteSize: 0 bytes/workgroup (compile time only)
; SGPRBlocks: 0
; VGPRBlocks: 0
; NumSGPRsForWavesPerEU: 4
; NumVGPRsForWavesPerEU: 1
; AccumOffset: 4
; Occupancy: 8
; WaveLimiterHint : 0
; COMPUTE_PGM_RSRC2:SCRATCH_EN: 0
; COMPUTE_PGM_RSRC2:USER_SGPR: 6
; COMPUTE_PGM_RSRC2:TRAP_HANDLER: 0
; COMPUTE_PGM_RSRC2:TGID_X_EN: 1
; COMPUTE_PGM_RSRC2:TGID_Y_EN: 0
; COMPUTE_PGM_RSRC2:TGID_Z_EN: 0
; COMPUTE_PGM_RSRC2:TIDIG_COMP_CNT: 0
; COMPUTE_PGM_RSRC3_GFX90A:ACCUM_OFFSET: 0
; COMPUTE_PGM_RSRC3_GFX90A:TG_SPLIT: 0
	.section	.text._ZN7rocprim17ROCPRIM_400000_NS6detail17trampoline_kernelINS0_14default_configENS1_20scan_config_selectorIfEEZZNS1_9scan_implILNS1_25lookback_scan_determinismE0ELb0ELb0ES3_N6thrust23THRUST_200600_302600_NS6detail15normal_iteratorINS9_10device_ptrIfEEEESE_f11max_functorIfEfEEDaPvRmT3_T4_T5_mT6_P12ihipStream_tbENKUlT_T0_E_clISt17integral_constantIbLb0EESU_EEDaSP_SQ_EUlSP_E_NS1_11comp_targetILNS1_3genE2ELNS1_11target_archE906ELNS1_3gpuE6ELNS1_3repE0EEENS1_30default_config_static_selectorELNS0_4arch9wavefront6targetE1EEEvT1_,"axG",@progbits,_ZN7rocprim17ROCPRIM_400000_NS6detail17trampoline_kernelINS0_14default_configENS1_20scan_config_selectorIfEEZZNS1_9scan_implILNS1_25lookback_scan_determinismE0ELb0ELb0ES3_N6thrust23THRUST_200600_302600_NS6detail15normal_iteratorINS9_10device_ptrIfEEEESE_f11max_functorIfEfEEDaPvRmT3_T4_T5_mT6_P12ihipStream_tbENKUlT_T0_E_clISt17integral_constantIbLb0EESU_EEDaSP_SQ_EUlSP_E_NS1_11comp_targetILNS1_3genE2ELNS1_11target_archE906ELNS1_3gpuE6ELNS1_3repE0EEENS1_30default_config_static_selectorELNS0_4arch9wavefront6targetE1EEEvT1_,comdat
	.protected	_ZN7rocprim17ROCPRIM_400000_NS6detail17trampoline_kernelINS0_14default_configENS1_20scan_config_selectorIfEEZZNS1_9scan_implILNS1_25lookback_scan_determinismE0ELb0ELb0ES3_N6thrust23THRUST_200600_302600_NS6detail15normal_iteratorINS9_10device_ptrIfEEEESE_f11max_functorIfEfEEDaPvRmT3_T4_T5_mT6_P12ihipStream_tbENKUlT_T0_E_clISt17integral_constantIbLb0EESU_EEDaSP_SQ_EUlSP_E_NS1_11comp_targetILNS1_3genE2ELNS1_11target_archE906ELNS1_3gpuE6ELNS1_3repE0EEENS1_30default_config_static_selectorELNS0_4arch9wavefront6targetE1EEEvT1_ ; -- Begin function _ZN7rocprim17ROCPRIM_400000_NS6detail17trampoline_kernelINS0_14default_configENS1_20scan_config_selectorIfEEZZNS1_9scan_implILNS1_25lookback_scan_determinismE0ELb0ELb0ES3_N6thrust23THRUST_200600_302600_NS6detail15normal_iteratorINS9_10device_ptrIfEEEESE_f11max_functorIfEfEEDaPvRmT3_T4_T5_mT6_P12ihipStream_tbENKUlT_T0_E_clISt17integral_constantIbLb0EESU_EEDaSP_SQ_EUlSP_E_NS1_11comp_targetILNS1_3genE2ELNS1_11target_archE906ELNS1_3gpuE6ELNS1_3repE0EEENS1_30default_config_static_selectorELNS0_4arch9wavefront6targetE1EEEvT1_
	.globl	_ZN7rocprim17ROCPRIM_400000_NS6detail17trampoline_kernelINS0_14default_configENS1_20scan_config_selectorIfEEZZNS1_9scan_implILNS1_25lookback_scan_determinismE0ELb0ELb0ES3_N6thrust23THRUST_200600_302600_NS6detail15normal_iteratorINS9_10device_ptrIfEEEESE_f11max_functorIfEfEEDaPvRmT3_T4_T5_mT6_P12ihipStream_tbENKUlT_T0_E_clISt17integral_constantIbLb0EESU_EEDaSP_SQ_EUlSP_E_NS1_11comp_targetILNS1_3genE2ELNS1_11target_archE906ELNS1_3gpuE6ELNS1_3repE0EEENS1_30default_config_static_selectorELNS0_4arch9wavefront6targetE1EEEvT1_
	.p2align	8
	.type	_ZN7rocprim17ROCPRIM_400000_NS6detail17trampoline_kernelINS0_14default_configENS1_20scan_config_selectorIfEEZZNS1_9scan_implILNS1_25lookback_scan_determinismE0ELb0ELb0ES3_N6thrust23THRUST_200600_302600_NS6detail15normal_iteratorINS9_10device_ptrIfEEEESE_f11max_functorIfEfEEDaPvRmT3_T4_T5_mT6_P12ihipStream_tbENKUlT_T0_E_clISt17integral_constantIbLb0EESU_EEDaSP_SQ_EUlSP_E_NS1_11comp_targetILNS1_3genE2ELNS1_11target_archE906ELNS1_3gpuE6ELNS1_3repE0EEENS1_30default_config_static_selectorELNS0_4arch9wavefront6targetE1EEEvT1_,@function
_ZN7rocprim17ROCPRIM_400000_NS6detail17trampoline_kernelINS0_14default_configENS1_20scan_config_selectorIfEEZZNS1_9scan_implILNS1_25lookback_scan_determinismE0ELb0ELb0ES3_N6thrust23THRUST_200600_302600_NS6detail15normal_iteratorINS9_10device_ptrIfEEEESE_f11max_functorIfEfEEDaPvRmT3_T4_T5_mT6_P12ihipStream_tbENKUlT_T0_E_clISt17integral_constantIbLb0EESU_EEDaSP_SQ_EUlSP_E_NS1_11comp_targetILNS1_3genE2ELNS1_11target_archE906ELNS1_3gpuE6ELNS1_3repE0EEENS1_30default_config_static_selectorELNS0_4arch9wavefront6targetE1EEEvT1_: ; @_ZN7rocprim17ROCPRIM_400000_NS6detail17trampoline_kernelINS0_14default_configENS1_20scan_config_selectorIfEEZZNS1_9scan_implILNS1_25lookback_scan_determinismE0ELb0ELb0ES3_N6thrust23THRUST_200600_302600_NS6detail15normal_iteratorINS9_10device_ptrIfEEEESE_f11max_functorIfEfEEDaPvRmT3_T4_T5_mT6_P12ihipStream_tbENKUlT_T0_E_clISt17integral_constantIbLb0EESU_EEDaSP_SQ_EUlSP_E_NS1_11comp_targetILNS1_3genE2ELNS1_11target_archE906ELNS1_3gpuE6ELNS1_3repE0EEENS1_30default_config_static_selectorELNS0_4arch9wavefront6targetE1EEEvT1_
; %bb.0:
	.section	.rodata,"a",@progbits
	.p2align	6, 0x0
	.amdhsa_kernel _ZN7rocprim17ROCPRIM_400000_NS6detail17trampoline_kernelINS0_14default_configENS1_20scan_config_selectorIfEEZZNS1_9scan_implILNS1_25lookback_scan_determinismE0ELb0ELb0ES3_N6thrust23THRUST_200600_302600_NS6detail15normal_iteratorINS9_10device_ptrIfEEEESE_f11max_functorIfEfEEDaPvRmT3_T4_T5_mT6_P12ihipStream_tbENKUlT_T0_E_clISt17integral_constantIbLb0EESU_EEDaSP_SQ_EUlSP_E_NS1_11comp_targetILNS1_3genE2ELNS1_11target_archE906ELNS1_3gpuE6ELNS1_3repE0EEENS1_30default_config_static_selectorELNS0_4arch9wavefront6targetE1EEEvT1_
		.amdhsa_group_segment_fixed_size 0
		.amdhsa_private_segment_fixed_size 0
		.amdhsa_kernarg_size 96
		.amdhsa_user_sgpr_count 6
		.amdhsa_user_sgpr_private_segment_buffer 1
		.amdhsa_user_sgpr_dispatch_ptr 0
		.amdhsa_user_sgpr_queue_ptr 0
		.amdhsa_user_sgpr_kernarg_segment_ptr 1
		.amdhsa_user_sgpr_dispatch_id 0
		.amdhsa_user_sgpr_flat_scratch_init 0
		.amdhsa_user_sgpr_kernarg_preload_length 0
		.amdhsa_user_sgpr_kernarg_preload_offset 0
		.amdhsa_user_sgpr_private_segment_size 0
		.amdhsa_uses_dynamic_stack 0
		.amdhsa_system_sgpr_private_segment_wavefront_offset 0
		.amdhsa_system_sgpr_workgroup_id_x 1
		.amdhsa_system_sgpr_workgroup_id_y 0
		.amdhsa_system_sgpr_workgroup_id_z 0
		.amdhsa_system_sgpr_workgroup_info 0
		.amdhsa_system_vgpr_workitem_id 0
		.amdhsa_next_free_vgpr 1
		.amdhsa_next_free_sgpr 0
		.amdhsa_accum_offset 4
		.amdhsa_reserve_vcc 0
		.amdhsa_reserve_flat_scratch 0
		.amdhsa_float_round_mode_32 0
		.amdhsa_float_round_mode_16_64 0
		.amdhsa_float_denorm_mode_32 3
		.amdhsa_float_denorm_mode_16_64 3
		.amdhsa_dx10_clamp 1
		.amdhsa_ieee_mode 1
		.amdhsa_fp16_overflow 0
		.amdhsa_tg_split 0
		.amdhsa_exception_fp_ieee_invalid_op 0
		.amdhsa_exception_fp_denorm_src 0
		.amdhsa_exception_fp_ieee_div_zero 0
		.amdhsa_exception_fp_ieee_overflow 0
		.amdhsa_exception_fp_ieee_underflow 0
		.amdhsa_exception_fp_ieee_inexact 0
		.amdhsa_exception_int_div_zero 0
	.end_amdhsa_kernel
	.section	.text._ZN7rocprim17ROCPRIM_400000_NS6detail17trampoline_kernelINS0_14default_configENS1_20scan_config_selectorIfEEZZNS1_9scan_implILNS1_25lookback_scan_determinismE0ELb0ELb0ES3_N6thrust23THRUST_200600_302600_NS6detail15normal_iteratorINS9_10device_ptrIfEEEESE_f11max_functorIfEfEEDaPvRmT3_T4_T5_mT6_P12ihipStream_tbENKUlT_T0_E_clISt17integral_constantIbLb0EESU_EEDaSP_SQ_EUlSP_E_NS1_11comp_targetILNS1_3genE2ELNS1_11target_archE906ELNS1_3gpuE6ELNS1_3repE0EEENS1_30default_config_static_selectorELNS0_4arch9wavefront6targetE1EEEvT1_,"axG",@progbits,_ZN7rocprim17ROCPRIM_400000_NS6detail17trampoline_kernelINS0_14default_configENS1_20scan_config_selectorIfEEZZNS1_9scan_implILNS1_25lookback_scan_determinismE0ELb0ELb0ES3_N6thrust23THRUST_200600_302600_NS6detail15normal_iteratorINS9_10device_ptrIfEEEESE_f11max_functorIfEfEEDaPvRmT3_T4_T5_mT6_P12ihipStream_tbENKUlT_T0_E_clISt17integral_constantIbLb0EESU_EEDaSP_SQ_EUlSP_E_NS1_11comp_targetILNS1_3genE2ELNS1_11target_archE906ELNS1_3gpuE6ELNS1_3repE0EEENS1_30default_config_static_selectorELNS0_4arch9wavefront6targetE1EEEvT1_,comdat
.Lfunc_end1947:
	.size	_ZN7rocprim17ROCPRIM_400000_NS6detail17trampoline_kernelINS0_14default_configENS1_20scan_config_selectorIfEEZZNS1_9scan_implILNS1_25lookback_scan_determinismE0ELb0ELb0ES3_N6thrust23THRUST_200600_302600_NS6detail15normal_iteratorINS9_10device_ptrIfEEEESE_f11max_functorIfEfEEDaPvRmT3_T4_T5_mT6_P12ihipStream_tbENKUlT_T0_E_clISt17integral_constantIbLb0EESU_EEDaSP_SQ_EUlSP_E_NS1_11comp_targetILNS1_3genE2ELNS1_11target_archE906ELNS1_3gpuE6ELNS1_3repE0EEENS1_30default_config_static_selectorELNS0_4arch9wavefront6targetE1EEEvT1_, .Lfunc_end1947-_ZN7rocprim17ROCPRIM_400000_NS6detail17trampoline_kernelINS0_14default_configENS1_20scan_config_selectorIfEEZZNS1_9scan_implILNS1_25lookback_scan_determinismE0ELb0ELb0ES3_N6thrust23THRUST_200600_302600_NS6detail15normal_iteratorINS9_10device_ptrIfEEEESE_f11max_functorIfEfEEDaPvRmT3_T4_T5_mT6_P12ihipStream_tbENKUlT_T0_E_clISt17integral_constantIbLb0EESU_EEDaSP_SQ_EUlSP_E_NS1_11comp_targetILNS1_3genE2ELNS1_11target_archE906ELNS1_3gpuE6ELNS1_3repE0EEENS1_30default_config_static_selectorELNS0_4arch9wavefront6targetE1EEEvT1_
                                        ; -- End function
	.section	.AMDGPU.csdata,"",@progbits
; Kernel info:
; codeLenInByte = 0
; NumSgprs: 4
; NumVgprs: 0
; NumAgprs: 0
; TotalNumVgprs: 0
; ScratchSize: 0
; MemoryBound: 0
; FloatMode: 240
; IeeeMode: 1
; LDSByteSize: 0 bytes/workgroup (compile time only)
; SGPRBlocks: 0
; VGPRBlocks: 0
; NumSGPRsForWavesPerEU: 4
; NumVGPRsForWavesPerEU: 1
; AccumOffset: 4
; Occupancy: 8
; WaveLimiterHint : 0
; COMPUTE_PGM_RSRC2:SCRATCH_EN: 0
; COMPUTE_PGM_RSRC2:USER_SGPR: 6
; COMPUTE_PGM_RSRC2:TRAP_HANDLER: 0
; COMPUTE_PGM_RSRC2:TGID_X_EN: 1
; COMPUTE_PGM_RSRC2:TGID_Y_EN: 0
; COMPUTE_PGM_RSRC2:TGID_Z_EN: 0
; COMPUTE_PGM_RSRC2:TIDIG_COMP_CNT: 0
; COMPUTE_PGM_RSRC3_GFX90A:ACCUM_OFFSET: 0
; COMPUTE_PGM_RSRC3_GFX90A:TG_SPLIT: 0
	.section	.text._ZN7rocprim17ROCPRIM_400000_NS6detail17trampoline_kernelINS0_14default_configENS1_20scan_config_selectorIfEEZZNS1_9scan_implILNS1_25lookback_scan_determinismE0ELb0ELb0ES3_N6thrust23THRUST_200600_302600_NS6detail15normal_iteratorINS9_10device_ptrIfEEEESE_f11max_functorIfEfEEDaPvRmT3_T4_T5_mT6_P12ihipStream_tbENKUlT_T0_E_clISt17integral_constantIbLb0EESU_EEDaSP_SQ_EUlSP_E_NS1_11comp_targetILNS1_3genE10ELNS1_11target_archE1201ELNS1_3gpuE5ELNS1_3repE0EEENS1_30default_config_static_selectorELNS0_4arch9wavefront6targetE1EEEvT1_,"axG",@progbits,_ZN7rocprim17ROCPRIM_400000_NS6detail17trampoline_kernelINS0_14default_configENS1_20scan_config_selectorIfEEZZNS1_9scan_implILNS1_25lookback_scan_determinismE0ELb0ELb0ES3_N6thrust23THRUST_200600_302600_NS6detail15normal_iteratorINS9_10device_ptrIfEEEESE_f11max_functorIfEfEEDaPvRmT3_T4_T5_mT6_P12ihipStream_tbENKUlT_T0_E_clISt17integral_constantIbLb0EESU_EEDaSP_SQ_EUlSP_E_NS1_11comp_targetILNS1_3genE10ELNS1_11target_archE1201ELNS1_3gpuE5ELNS1_3repE0EEENS1_30default_config_static_selectorELNS0_4arch9wavefront6targetE1EEEvT1_,comdat
	.protected	_ZN7rocprim17ROCPRIM_400000_NS6detail17trampoline_kernelINS0_14default_configENS1_20scan_config_selectorIfEEZZNS1_9scan_implILNS1_25lookback_scan_determinismE0ELb0ELb0ES3_N6thrust23THRUST_200600_302600_NS6detail15normal_iteratorINS9_10device_ptrIfEEEESE_f11max_functorIfEfEEDaPvRmT3_T4_T5_mT6_P12ihipStream_tbENKUlT_T0_E_clISt17integral_constantIbLb0EESU_EEDaSP_SQ_EUlSP_E_NS1_11comp_targetILNS1_3genE10ELNS1_11target_archE1201ELNS1_3gpuE5ELNS1_3repE0EEENS1_30default_config_static_selectorELNS0_4arch9wavefront6targetE1EEEvT1_ ; -- Begin function _ZN7rocprim17ROCPRIM_400000_NS6detail17trampoline_kernelINS0_14default_configENS1_20scan_config_selectorIfEEZZNS1_9scan_implILNS1_25lookback_scan_determinismE0ELb0ELb0ES3_N6thrust23THRUST_200600_302600_NS6detail15normal_iteratorINS9_10device_ptrIfEEEESE_f11max_functorIfEfEEDaPvRmT3_T4_T5_mT6_P12ihipStream_tbENKUlT_T0_E_clISt17integral_constantIbLb0EESU_EEDaSP_SQ_EUlSP_E_NS1_11comp_targetILNS1_3genE10ELNS1_11target_archE1201ELNS1_3gpuE5ELNS1_3repE0EEENS1_30default_config_static_selectorELNS0_4arch9wavefront6targetE1EEEvT1_
	.globl	_ZN7rocprim17ROCPRIM_400000_NS6detail17trampoline_kernelINS0_14default_configENS1_20scan_config_selectorIfEEZZNS1_9scan_implILNS1_25lookback_scan_determinismE0ELb0ELb0ES3_N6thrust23THRUST_200600_302600_NS6detail15normal_iteratorINS9_10device_ptrIfEEEESE_f11max_functorIfEfEEDaPvRmT3_T4_T5_mT6_P12ihipStream_tbENKUlT_T0_E_clISt17integral_constantIbLb0EESU_EEDaSP_SQ_EUlSP_E_NS1_11comp_targetILNS1_3genE10ELNS1_11target_archE1201ELNS1_3gpuE5ELNS1_3repE0EEENS1_30default_config_static_selectorELNS0_4arch9wavefront6targetE1EEEvT1_
	.p2align	8
	.type	_ZN7rocprim17ROCPRIM_400000_NS6detail17trampoline_kernelINS0_14default_configENS1_20scan_config_selectorIfEEZZNS1_9scan_implILNS1_25lookback_scan_determinismE0ELb0ELb0ES3_N6thrust23THRUST_200600_302600_NS6detail15normal_iteratorINS9_10device_ptrIfEEEESE_f11max_functorIfEfEEDaPvRmT3_T4_T5_mT6_P12ihipStream_tbENKUlT_T0_E_clISt17integral_constantIbLb0EESU_EEDaSP_SQ_EUlSP_E_NS1_11comp_targetILNS1_3genE10ELNS1_11target_archE1201ELNS1_3gpuE5ELNS1_3repE0EEENS1_30default_config_static_selectorELNS0_4arch9wavefront6targetE1EEEvT1_,@function
_ZN7rocprim17ROCPRIM_400000_NS6detail17trampoline_kernelINS0_14default_configENS1_20scan_config_selectorIfEEZZNS1_9scan_implILNS1_25lookback_scan_determinismE0ELb0ELb0ES3_N6thrust23THRUST_200600_302600_NS6detail15normal_iteratorINS9_10device_ptrIfEEEESE_f11max_functorIfEfEEDaPvRmT3_T4_T5_mT6_P12ihipStream_tbENKUlT_T0_E_clISt17integral_constantIbLb0EESU_EEDaSP_SQ_EUlSP_E_NS1_11comp_targetILNS1_3genE10ELNS1_11target_archE1201ELNS1_3gpuE5ELNS1_3repE0EEENS1_30default_config_static_selectorELNS0_4arch9wavefront6targetE1EEEvT1_: ; @_ZN7rocprim17ROCPRIM_400000_NS6detail17trampoline_kernelINS0_14default_configENS1_20scan_config_selectorIfEEZZNS1_9scan_implILNS1_25lookback_scan_determinismE0ELb0ELb0ES3_N6thrust23THRUST_200600_302600_NS6detail15normal_iteratorINS9_10device_ptrIfEEEESE_f11max_functorIfEfEEDaPvRmT3_T4_T5_mT6_P12ihipStream_tbENKUlT_T0_E_clISt17integral_constantIbLb0EESU_EEDaSP_SQ_EUlSP_E_NS1_11comp_targetILNS1_3genE10ELNS1_11target_archE1201ELNS1_3gpuE5ELNS1_3repE0EEENS1_30default_config_static_selectorELNS0_4arch9wavefront6targetE1EEEvT1_
; %bb.0:
	.section	.rodata,"a",@progbits
	.p2align	6, 0x0
	.amdhsa_kernel _ZN7rocprim17ROCPRIM_400000_NS6detail17trampoline_kernelINS0_14default_configENS1_20scan_config_selectorIfEEZZNS1_9scan_implILNS1_25lookback_scan_determinismE0ELb0ELb0ES3_N6thrust23THRUST_200600_302600_NS6detail15normal_iteratorINS9_10device_ptrIfEEEESE_f11max_functorIfEfEEDaPvRmT3_T4_T5_mT6_P12ihipStream_tbENKUlT_T0_E_clISt17integral_constantIbLb0EESU_EEDaSP_SQ_EUlSP_E_NS1_11comp_targetILNS1_3genE10ELNS1_11target_archE1201ELNS1_3gpuE5ELNS1_3repE0EEENS1_30default_config_static_selectorELNS0_4arch9wavefront6targetE1EEEvT1_
		.amdhsa_group_segment_fixed_size 0
		.amdhsa_private_segment_fixed_size 0
		.amdhsa_kernarg_size 96
		.amdhsa_user_sgpr_count 6
		.amdhsa_user_sgpr_private_segment_buffer 1
		.amdhsa_user_sgpr_dispatch_ptr 0
		.amdhsa_user_sgpr_queue_ptr 0
		.amdhsa_user_sgpr_kernarg_segment_ptr 1
		.amdhsa_user_sgpr_dispatch_id 0
		.amdhsa_user_sgpr_flat_scratch_init 0
		.amdhsa_user_sgpr_kernarg_preload_length 0
		.amdhsa_user_sgpr_kernarg_preload_offset 0
		.amdhsa_user_sgpr_private_segment_size 0
		.amdhsa_uses_dynamic_stack 0
		.amdhsa_system_sgpr_private_segment_wavefront_offset 0
		.amdhsa_system_sgpr_workgroup_id_x 1
		.amdhsa_system_sgpr_workgroup_id_y 0
		.amdhsa_system_sgpr_workgroup_id_z 0
		.amdhsa_system_sgpr_workgroup_info 0
		.amdhsa_system_vgpr_workitem_id 0
		.amdhsa_next_free_vgpr 1
		.amdhsa_next_free_sgpr 0
		.amdhsa_accum_offset 4
		.amdhsa_reserve_vcc 0
		.amdhsa_reserve_flat_scratch 0
		.amdhsa_float_round_mode_32 0
		.amdhsa_float_round_mode_16_64 0
		.amdhsa_float_denorm_mode_32 3
		.amdhsa_float_denorm_mode_16_64 3
		.amdhsa_dx10_clamp 1
		.amdhsa_ieee_mode 1
		.amdhsa_fp16_overflow 0
		.amdhsa_tg_split 0
		.amdhsa_exception_fp_ieee_invalid_op 0
		.amdhsa_exception_fp_denorm_src 0
		.amdhsa_exception_fp_ieee_div_zero 0
		.amdhsa_exception_fp_ieee_overflow 0
		.amdhsa_exception_fp_ieee_underflow 0
		.amdhsa_exception_fp_ieee_inexact 0
		.amdhsa_exception_int_div_zero 0
	.end_amdhsa_kernel
	.section	.text._ZN7rocprim17ROCPRIM_400000_NS6detail17trampoline_kernelINS0_14default_configENS1_20scan_config_selectorIfEEZZNS1_9scan_implILNS1_25lookback_scan_determinismE0ELb0ELb0ES3_N6thrust23THRUST_200600_302600_NS6detail15normal_iteratorINS9_10device_ptrIfEEEESE_f11max_functorIfEfEEDaPvRmT3_T4_T5_mT6_P12ihipStream_tbENKUlT_T0_E_clISt17integral_constantIbLb0EESU_EEDaSP_SQ_EUlSP_E_NS1_11comp_targetILNS1_3genE10ELNS1_11target_archE1201ELNS1_3gpuE5ELNS1_3repE0EEENS1_30default_config_static_selectorELNS0_4arch9wavefront6targetE1EEEvT1_,"axG",@progbits,_ZN7rocprim17ROCPRIM_400000_NS6detail17trampoline_kernelINS0_14default_configENS1_20scan_config_selectorIfEEZZNS1_9scan_implILNS1_25lookback_scan_determinismE0ELb0ELb0ES3_N6thrust23THRUST_200600_302600_NS6detail15normal_iteratorINS9_10device_ptrIfEEEESE_f11max_functorIfEfEEDaPvRmT3_T4_T5_mT6_P12ihipStream_tbENKUlT_T0_E_clISt17integral_constantIbLb0EESU_EEDaSP_SQ_EUlSP_E_NS1_11comp_targetILNS1_3genE10ELNS1_11target_archE1201ELNS1_3gpuE5ELNS1_3repE0EEENS1_30default_config_static_selectorELNS0_4arch9wavefront6targetE1EEEvT1_,comdat
.Lfunc_end1948:
	.size	_ZN7rocprim17ROCPRIM_400000_NS6detail17trampoline_kernelINS0_14default_configENS1_20scan_config_selectorIfEEZZNS1_9scan_implILNS1_25lookback_scan_determinismE0ELb0ELb0ES3_N6thrust23THRUST_200600_302600_NS6detail15normal_iteratorINS9_10device_ptrIfEEEESE_f11max_functorIfEfEEDaPvRmT3_T4_T5_mT6_P12ihipStream_tbENKUlT_T0_E_clISt17integral_constantIbLb0EESU_EEDaSP_SQ_EUlSP_E_NS1_11comp_targetILNS1_3genE10ELNS1_11target_archE1201ELNS1_3gpuE5ELNS1_3repE0EEENS1_30default_config_static_selectorELNS0_4arch9wavefront6targetE1EEEvT1_, .Lfunc_end1948-_ZN7rocprim17ROCPRIM_400000_NS6detail17trampoline_kernelINS0_14default_configENS1_20scan_config_selectorIfEEZZNS1_9scan_implILNS1_25lookback_scan_determinismE0ELb0ELb0ES3_N6thrust23THRUST_200600_302600_NS6detail15normal_iteratorINS9_10device_ptrIfEEEESE_f11max_functorIfEfEEDaPvRmT3_T4_T5_mT6_P12ihipStream_tbENKUlT_T0_E_clISt17integral_constantIbLb0EESU_EEDaSP_SQ_EUlSP_E_NS1_11comp_targetILNS1_3genE10ELNS1_11target_archE1201ELNS1_3gpuE5ELNS1_3repE0EEENS1_30default_config_static_selectorELNS0_4arch9wavefront6targetE1EEEvT1_
                                        ; -- End function
	.section	.AMDGPU.csdata,"",@progbits
; Kernel info:
; codeLenInByte = 0
; NumSgprs: 4
; NumVgprs: 0
; NumAgprs: 0
; TotalNumVgprs: 0
; ScratchSize: 0
; MemoryBound: 0
; FloatMode: 240
; IeeeMode: 1
; LDSByteSize: 0 bytes/workgroup (compile time only)
; SGPRBlocks: 0
; VGPRBlocks: 0
; NumSGPRsForWavesPerEU: 4
; NumVGPRsForWavesPerEU: 1
; AccumOffset: 4
; Occupancy: 8
; WaveLimiterHint : 0
; COMPUTE_PGM_RSRC2:SCRATCH_EN: 0
; COMPUTE_PGM_RSRC2:USER_SGPR: 6
; COMPUTE_PGM_RSRC2:TRAP_HANDLER: 0
; COMPUTE_PGM_RSRC2:TGID_X_EN: 1
; COMPUTE_PGM_RSRC2:TGID_Y_EN: 0
; COMPUTE_PGM_RSRC2:TGID_Z_EN: 0
; COMPUTE_PGM_RSRC2:TIDIG_COMP_CNT: 0
; COMPUTE_PGM_RSRC3_GFX90A:ACCUM_OFFSET: 0
; COMPUTE_PGM_RSRC3_GFX90A:TG_SPLIT: 0
	.section	.text._ZN7rocprim17ROCPRIM_400000_NS6detail17trampoline_kernelINS0_14default_configENS1_20scan_config_selectorIfEEZZNS1_9scan_implILNS1_25lookback_scan_determinismE0ELb0ELb0ES3_N6thrust23THRUST_200600_302600_NS6detail15normal_iteratorINS9_10device_ptrIfEEEESE_f11max_functorIfEfEEDaPvRmT3_T4_T5_mT6_P12ihipStream_tbENKUlT_T0_E_clISt17integral_constantIbLb0EESU_EEDaSP_SQ_EUlSP_E_NS1_11comp_targetILNS1_3genE10ELNS1_11target_archE1200ELNS1_3gpuE4ELNS1_3repE0EEENS1_30default_config_static_selectorELNS0_4arch9wavefront6targetE1EEEvT1_,"axG",@progbits,_ZN7rocprim17ROCPRIM_400000_NS6detail17trampoline_kernelINS0_14default_configENS1_20scan_config_selectorIfEEZZNS1_9scan_implILNS1_25lookback_scan_determinismE0ELb0ELb0ES3_N6thrust23THRUST_200600_302600_NS6detail15normal_iteratorINS9_10device_ptrIfEEEESE_f11max_functorIfEfEEDaPvRmT3_T4_T5_mT6_P12ihipStream_tbENKUlT_T0_E_clISt17integral_constantIbLb0EESU_EEDaSP_SQ_EUlSP_E_NS1_11comp_targetILNS1_3genE10ELNS1_11target_archE1200ELNS1_3gpuE4ELNS1_3repE0EEENS1_30default_config_static_selectorELNS0_4arch9wavefront6targetE1EEEvT1_,comdat
	.protected	_ZN7rocprim17ROCPRIM_400000_NS6detail17trampoline_kernelINS0_14default_configENS1_20scan_config_selectorIfEEZZNS1_9scan_implILNS1_25lookback_scan_determinismE0ELb0ELb0ES3_N6thrust23THRUST_200600_302600_NS6detail15normal_iteratorINS9_10device_ptrIfEEEESE_f11max_functorIfEfEEDaPvRmT3_T4_T5_mT6_P12ihipStream_tbENKUlT_T0_E_clISt17integral_constantIbLb0EESU_EEDaSP_SQ_EUlSP_E_NS1_11comp_targetILNS1_3genE10ELNS1_11target_archE1200ELNS1_3gpuE4ELNS1_3repE0EEENS1_30default_config_static_selectorELNS0_4arch9wavefront6targetE1EEEvT1_ ; -- Begin function _ZN7rocprim17ROCPRIM_400000_NS6detail17trampoline_kernelINS0_14default_configENS1_20scan_config_selectorIfEEZZNS1_9scan_implILNS1_25lookback_scan_determinismE0ELb0ELb0ES3_N6thrust23THRUST_200600_302600_NS6detail15normal_iteratorINS9_10device_ptrIfEEEESE_f11max_functorIfEfEEDaPvRmT3_T4_T5_mT6_P12ihipStream_tbENKUlT_T0_E_clISt17integral_constantIbLb0EESU_EEDaSP_SQ_EUlSP_E_NS1_11comp_targetILNS1_3genE10ELNS1_11target_archE1200ELNS1_3gpuE4ELNS1_3repE0EEENS1_30default_config_static_selectorELNS0_4arch9wavefront6targetE1EEEvT1_
	.globl	_ZN7rocprim17ROCPRIM_400000_NS6detail17trampoline_kernelINS0_14default_configENS1_20scan_config_selectorIfEEZZNS1_9scan_implILNS1_25lookback_scan_determinismE0ELb0ELb0ES3_N6thrust23THRUST_200600_302600_NS6detail15normal_iteratorINS9_10device_ptrIfEEEESE_f11max_functorIfEfEEDaPvRmT3_T4_T5_mT6_P12ihipStream_tbENKUlT_T0_E_clISt17integral_constantIbLb0EESU_EEDaSP_SQ_EUlSP_E_NS1_11comp_targetILNS1_3genE10ELNS1_11target_archE1200ELNS1_3gpuE4ELNS1_3repE0EEENS1_30default_config_static_selectorELNS0_4arch9wavefront6targetE1EEEvT1_
	.p2align	8
	.type	_ZN7rocprim17ROCPRIM_400000_NS6detail17trampoline_kernelINS0_14default_configENS1_20scan_config_selectorIfEEZZNS1_9scan_implILNS1_25lookback_scan_determinismE0ELb0ELb0ES3_N6thrust23THRUST_200600_302600_NS6detail15normal_iteratorINS9_10device_ptrIfEEEESE_f11max_functorIfEfEEDaPvRmT3_T4_T5_mT6_P12ihipStream_tbENKUlT_T0_E_clISt17integral_constantIbLb0EESU_EEDaSP_SQ_EUlSP_E_NS1_11comp_targetILNS1_3genE10ELNS1_11target_archE1200ELNS1_3gpuE4ELNS1_3repE0EEENS1_30default_config_static_selectorELNS0_4arch9wavefront6targetE1EEEvT1_,@function
_ZN7rocprim17ROCPRIM_400000_NS6detail17trampoline_kernelINS0_14default_configENS1_20scan_config_selectorIfEEZZNS1_9scan_implILNS1_25lookback_scan_determinismE0ELb0ELb0ES3_N6thrust23THRUST_200600_302600_NS6detail15normal_iteratorINS9_10device_ptrIfEEEESE_f11max_functorIfEfEEDaPvRmT3_T4_T5_mT6_P12ihipStream_tbENKUlT_T0_E_clISt17integral_constantIbLb0EESU_EEDaSP_SQ_EUlSP_E_NS1_11comp_targetILNS1_3genE10ELNS1_11target_archE1200ELNS1_3gpuE4ELNS1_3repE0EEENS1_30default_config_static_selectorELNS0_4arch9wavefront6targetE1EEEvT1_: ; @_ZN7rocprim17ROCPRIM_400000_NS6detail17trampoline_kernelINS0_14default_configENS1_20scan_config_selectorIfEEZZNS1_9scan_implILNS1_25lookback_scan_determinismE0ELb0ELb0ES3_N6thrust23THRUST_200600_302600_NS6detail15normal_iteratorINS9_10device_ptrIfEEEESE_f11max_functorIfEfEEDaPvRmT3_T4_T5_mT6_P12ihipStream_tbENKUlT_T0_E_clISt17integral_constantIbLb0EESU_EEDaSP_SQ_EUlSP_E_NS1_11comp_targetILNS1_3genE10ELNS1_11target_archE1200ELNS1_3gpuE4ELNS1_3repE0EEENS1_30default_config_static_selectorELNS0_4arch9wavefront6targetE1EEEvT1_
; %bb.0:
	.section	.rodata,"a",@progbits
	.p2align	6, 0x0
	.amdhsa_kernel _ZN7rocprim17ROCPRIM_400000_NS6detail17trampoline_kernelINS0_14default_configENS1_20scan_config_selectorIfEEZZNS1_9scan_implILNS1_25lookback_scan_determinismE0ELb0ELb0ES3_N6thrust23THRUST_200600_302600_NS6detail15normal_iteratorINS9_10device_ptrIfEEEESE_f11max_functorIfEfEEDaPvRmT3_T4_T5_mT6_P12ihipStream_tbENKUlT_T0_E_clISt17integral_constantIbLb0EESU_EEDaSP_SQ_EUlSP_E_NS1_11comp_targetILNS1_3genE10ELNS1_11target_archE1200ELNS1_3gpuE4ELNS1_3repE0EEENS1_30default_config_static_selectorELNS0_4arch9wavefront6targetE1EEEvT1_
		.amdhsa_group_segment_fixed_size 0
		.amdhsa_private_segment_fixed_size 0
		.amdhsa_kernarg_size 96
		.amdhsa_user_sgpr_count 6
		.amdhsa_user_sgpr_private_segment_buffer 1
		.amdhsa_user_sgpr_dispatch_ptr 0
		.amdhsa_user_sgpr_queue_ptr 0
		.amdhsa_user_sgpr_kernarg_segment_ptr 1
		.amdhsa_user_sgpr_dispatch_id 0
		.amdhsa_user_sgpr_flat_scratch_init 0
		.amdhsa_user_sgpr_kernarg_preload_length 0
		.amdhsa_user_sgpr_kernarg_preload_offset 0
		.amdhsa_user_sgpr_private_segment_size 0
		.amdhsa_uses_dynamic_stack 0
		.amdhsa_system_sgpr_private_segment_wavefront_offset 0
		.amdhsa_system_sgpr_workgroup_id_x 1
		.amdhsa_system_sgpr_workgroup_id_y 0
		.amdhsa_system_sgpr_workgroup_id_z 0
		.amdhsa_system_sgpr_workgroup_info 0
		.amdhsa_system_vgpr_workitem_id 0
		.amdhsa_next_free_vgpr 1
		.amdhsa_next_free_sgpr 0
		.amdhsa_accum_offset 4
		.amdhsa_reserve_vcc 0
		.amdhsa_reserve_flat_scratch 0
		.amdhsa_float_round_mode_32 0
		.amdhsa_float_round_mode_16_64 0
		.amdhsa_float_denorm_mode_32 3
		.amdhsa_float_denorm_mode_16_64 3
		.amdhsa_dx10_clamp 1
		.amdhsa_ieee_mode 1
		.amdhsa_fp16_overflow 0
		.amdhsa_tg_split 0
		.amdhsa_exception_fp_ieee_invalid_op 0
		.amdhsa_exception_fp_denorm_src 0
		.amdhsa_exception_fp_ieee_div_zero 0
		.amdhsa_exception_fp_ieee_overflow 0
		.amdhsa_exception_fp_ieee_underflow 0
		.amdhsa_exception_fp_ieee_inexact 0
		.amdhsa_exception_int_div_zero 0
	.end_amdhsa_kernel
	.section	.text._ZN7rocprim17ROCPRIM_400000_NS6detail17trampoline_kernelINS0_14default_configENS1_20scan_config_selectorIfEEZZNS1_9scan_implILNS1_25lookback_scan_determinismE0ELb0ELb0ES3_N6thrust23THRUST_200600_302600_NS6detail15normal_iteratorINS9_10device_ptrIfEEEESE_f11max_functorIfEfEEDaPvRmT3_T4_T5_mT6_P12ihipStream_tbENKUlT_T0_E_clISt17integral_constantIbLb0EESU_EEDaSP_SQ_EUlSP_E_NS1_11comp_targetILNS1_3genE10ELNS1_11target_archE1200ELNS1_3gpuE4ELNS1_3repE0EEENS1_30default_config_static_selectorELNS0_4arch9wavefront6targetE1EEEvT1_,"axG",@progbits,_ZN7rocprim17ROCPRIM_400000_NS6detail17trampoline_kernelINS0_14default_configENS1_20scan_config_selectorIfEEZZNS1_9scan_implILNS1_25lookback_scan_determinismE0ELb0ELb0ES3_N6thrust23THRUST_200600_302600_NS6detail15normal_iteratorINS9_10device_ptrIfEEEESE_f11max_functorIfEfEEDaPvRmT3_T4_T5_mT6_P12ihipStream_tbENKUlT_T0_E_clISt17integral_constantIbLb0EESU_EEDaSP_SQ_EUlSP_E_NS1_11comp_targetILNS1_3genE10ELNS1_11target_archE1200ELNS1_3gpuE4ELNS1_3repE0EEENS1_30default_config_static_selectorELNS0_4arch9wavefront6targetE1EEEvT1_,comdat
.Lfunc_end1949:
	.size	_ZN7rocprim17ROCPRIM_400000_NS6detail17trampoline_kernelINS0_14default_configENS1_20scan_config_selectorIfEEZZNS1_9scan_implILNS1_25lookback_scan_determinismE0ELb0ELb0ES3_N6thrust23THRUST_200600_302600_NS6detail15normal_iteratorINS9_10device_ptrIfEEEESE_f11max_functorIfEfEEDaPvRmT3_T4_T5_mT6_P12ihipStream_tbENKUlT_T0_E_clISt17integral_constantIbLb0EESU_EEDaSP_SQ_EUlSP_E_NS1_11comp_targetILNS1_3genE10ELNS1_11target_archE1200ELNS1_3gpuE4ELNS1_3repE0EEENS1_30default_config_static_selectorELNS0_4arch9wavefront6targetE1EEEvT1_, .Lfunc_end1949-_ZN7rocprim17ROCPRIM_400000_NS6detail17trampoline_kernelINS0_14default_configENS1_20scan_config_selectorIfEEZZNS1_9scan_implILNS1_25lookback_scan_determinismE0ELb0ELb0ES3_N6thrust23THRUST_200600_302600_NS6detail15normal_iteratorINS9_10device_ptrIfEEEESE_f11max_functorIfEfEEDaPvRmT3_T4_T5_mT6_P12ihipStream_tbENKUlT_T0_E_clISt17integral_constantIbLb0EESU_EEDaSP_SQ_EUlSP_E_NS1_11comp_targetILNS1_3genE10ELNS1_11target_archE1200ELNS1_3gpuE4ELNS1_3repE0EEENS1_30default_config_static_selectorELNS0_4arch9wavefront6targetE1EEEvT1_
                                        ; -- End function
	.section	.AMDGPU.csdata,"",@progbits
; Kernel info:
; codeLenInByte = 0
; NumSgprs: 4
; NumVgprs: 0
; NumAgprs: 0
; TotalNumVgprs: 0
; ScratchSize: 0
; MemoryBound: 0
; FloatMode: 240
; IeeeMode: 1
; LDSByteSize: 0 bytes/workgroup (compile time only)
; SGPRBlocks: 0
; VGPRBlocks: 0
; NumSGPRsForWavesPerEU: 4
; NumVGPRsForWavesPerEU: 1
; AccumOffset: 4
; Occupancy: 8
; WaveLimiterHint : 0
; COMPUTE_PGM_RSRC2:SCRATCH_EN: 0
; COMPUTE_PGM_RSRC2:USER_SGPR: 6
; COMPUTE_PGM_RSRC2:TRAP_HANDLER: 0
; COMPUTE_PGM_RSRC2:TGID_X_EN: 1
; COMPUTE_PGM_RSRC2:TGID_Y_EN: 0
; COMPUTE_PGM_RSRC2:TGID_Z_EN: 0
; COMPUTE_PGM_RSRC2:TIDIG_COMP_CNT: 0
; COMPUTE_PGM_RSRC3_GFX90A:ACCUM_OFFSET: 0
; COMPUTE_PGM_RSRC3_GFX90A:TG_SPLIT: 0
	.section	.text._ZN7rocprim17ROCPRIM_400000_NS6detail17trampoline_kernelINS0_14default_configENS1_20scan_config_selectorIfEEZZNS1_9scan_implILNS1_25lookback_scan_determinismE0ELb0ELb0ES3_N6thrust23THRUST_200600_302600_NS6detail15normal_iteratorINS9_10device_ptrIfEEEESE_f11max_functorIfEfEEDaPvRmT3_T4_T5_mT6_P12ihipStream_tbENKUlT_T0_E_clISt17integral_constantIbLb0EESU_EEDaSP_SQ_EUlSP_E_NS1_11comp_targetILNS1_3genE9ELNS1_11target_archE1100ELNS1_3gpuE3ELNS1_3repE0EEENS1_30default_config_static_selectorELNS0_4arch9wavefront6targetE1EEEvT1_,"axG",@progbits,_ZN7rocprim17ROCPRIM_400000_NS6detail17trampoline_kernelINS0_14default_configENS1_20scan_config_selectorIfEEZZNS1_9scan_implILNS1_25lookback_scan_determinismE0ELb0ELb0ES3_N6thrust23THRUST_200600_302600_NS6detail15normal_iteratorINS9_10device_ptrIfEEEESE_f11max_functorIfEfEEDaPvRmT3_T4_T5_mT6_P12ihipStream_tbENKUlT_T0_E_clISt17integral_constantIbLb0EESU_EEDaSP_SQ_EUlSP_E_NS1_11comp_targetILNS1_3genE9ELNS1_11target_archE1100ELNS1_3gpuE3ELNS1_3repE0EEENS1_30default_config_static_selectorELNS0_4arch9wavefront6targetE1EEEvT1_,comdat
	.protected	_ZN7rocprim17ROCPRIM_400000_NS6detail17trampoline_kernelINS0_14default_configENS1_20scan_config_selectorIfEEZZNS1_9scan_implILNS1_25lookback_scan_determinismE0ELb0ELb0ES3_N6thrust23THRUST_200600_302600_NS6detail15normal_iteratorINS9_10device_ptrIfEEEESE_f11max_functorIfEfEEDaPvRmT3_T4_T5_mT6_P12ihipStream_tbENKUlT_T0_E_clISt17integral_constantIbLb0EESU_EEDaSP_SQ_EUlSP_E_NS1_11comp_targetILNS1_3genE9ELNS1_11target_archE1100ELNS1_3gpuE3ELNS1_3repE0EEENS1_30default_config_static_selectorELNS0_4arch9wavefront6targetE1EEEvT1_ ; -- Begin function _ZN7rocprim17ROCPRIM_400000_NS6detail17trampoline_kernelINS0_14default_configENS1_20scan_config_selectorIfEEZZNS1_9scan_implILNS1_25lookback_scan_determinismE0ELb0ELb0ES3_N6thrust23THRUST_200600_302600_NS6detail15normal_iteratorINS9_10device_ptrIfEEEESE_f11max_functorIfEfEEDaPvRmT3_T4_T5_mT6_P12ihipStream_tbENKUlT_T0_E_clISt17integral_constantIbLb0EESU_EEDaSP_SQ_EUlSP_E_NS1_11comp_targetILNS1_3genE9ELNS1_11target_archE1100ELNS1_3gpuE3ELNS1_3repE0EEENS1_30default_config_static_selectorELNS0_4arch9wavefront6targetE1EEEvT1_
	.globl	_ZN7rocprim17ROCPRIM_400000_NS6detail17trampoline_kernelINS0_14default_configENS1_20scan_config_selectorIfEEZZNS1_9scan_implILNS1_25lookback_scan_determinismE0ELb0ELb0ES3_N6thrust23THRUST_200600_302600_NS6detail15normal_iteratorINS9_10device_ptrIfEEEESE_f11max_functorIfEfEEDaPvRmT3_T4_T5_mT6_P12ihipStream_tbENKUlT_T0_E_clISt17integral_constantIbLb0EESU_EEDaSP_SQ_EUlSP_E_NS1_11comp_targetILNS1_3genE9ELNS1_11target_archE1100ELNS1_3gpuE3ELNS1_3repE0EEENS1_30default_config_static_selectorELNS0_4arch9wavefront6targetE1EEEvT1_
	.p2align	8
	.type	_ZN7rocprim17ROCPRIM_400000_NS6detail17trampoline_kernelINS0_14default_configENS1_20scan_config_selectorIfEEZZNS1_9scan_implILNS1_25lookback_scan_determinismE0ELb0ELb0ES3_N6thrust23THRUST_200600_302600_NS6detail15normal_iteratorINS9_10device_ptrIfEEEESE_f11max_functorIfEfEEDaPvRmT3_T4_T5_mT6_P12ihipStream_tbENKUlT_T0_E_clISt17integral_constantIbLb0EESU_EEDaSP_SQ_EUlSP_E_NS1_11comp_targetILNS1_3genE9ELNS1_11target_archE1100ELNS1_3gpuE3ELNS1_3repE0EEENS1_30default_config_static_selectorELNS0_4arch9wavefront6targetE1EEEvT1_,@function
_ZN7rocprim17ROCPRIM_400000_NS6detail17trampoline_kernelINS0_14default_configENS1_20scan_config_selectorIfEEZZNS1_9scan_implILNS1_25lookback_scan_determinismE0ELb0ELb0ES3_N6thrust23THRUST_200600_302600_NS6detail15normal_iteratorINS9_10device_ptrIfEEEESE_f11max_functorIfEfEEDaPvRmT3_T4_T5_mT6_P12ihipStream_tbENKUlT_T0_E_clISt17integral_constantIbLb0EESU_EEDaSP_SQ_EUlSP_E_NS1_11comp_targetILNS1_3genE9ELNS1_11target_archE1100ELNS1_3gpuE3ELNS1_3repE0EEENS1_30default_config_static_selectorELNS0_4arch9wavefront6targetE1EEEvT1_: ; @_ZN7rocprim17ROCPRIM_400000_NS6detail17trampoline_kernelINS0_14default_configENS1_20scan_config_selectorIfEEZZNS1_9scan_implILNS1_25lookback_scan_determinismE0ELb0ELb0ES3_N6thrust23THRUST_200600_302600_NS6detail15normal_iteratorINS9_10device_ptrIfEEEESE_f11max_functorIfEfEEDaPvRmT3_T4_T5_mT6_P12ihipStream_tbENKUlT_T0_E_clISt17integral_constantIbLb0EESU_EEDaSP_SQ_EUlSP_E_NS1_11comp_targetILNS1_3genE9ELNS1_11target_archE1100ELNS1_3gpuE3ELNS1_3repE0EEENS1_30default_config_static_selectorELNS0_4arch9wavefront6targetE1EEEvT1_
; %bb.0:
	.section	.rodata,"a",@progbits
	.p2align	6, 0x0
	.amdhsa_kernel _ZN7rocprim17ROCPRIM_400000_NS6detail17trampoline_kernelINS0_14default_configENS1_20scan_config_selectorIfEEZZNS1_9scan_implILNS1_25lookback_scan_determinismE0ELb0ELb0ES3_N6thrust23THRUST_200600_302600_NS6detail15normal_iteratorINS9_10device_ptrIfEEEESE_f11max_functorIfEfEEDaPvRmT3_T4_T5_mT6_P12ihipStream_tbENKUlT_T0_E_clISt17integral_constantIbLb0EESU_EEDaSP_SQ_EUlSP_E_NS1_11comp_targetILNS1_3genE9ELNS1_11target_archE1100ELNS1_3gpuE3ELNS1_3repE0EEENS1_30default_config_static_selectorELNS0_4arch9wavefront6targetE1EEEvT1_
		.amdhsa_group_segment_fixed_size 0
		.amdhsa_private_segment_fixed_size 0
		.amdhsa_kernarg_size 96
		.amdhsa_user_sgpr_count 6
		.amdhsa_user_sgpr_private_segment_buffer 1
		.amdhsa_user_sgpr_dispatch_ptr 0
		.amdhsa_user_sgpr_queue_ptr 0
		.amdhsa_user_sgpr_kernarg_segment_ptr 1
		.amdhsa_user_sgpr_dispatch_id 0
		.amdhsa_user_sgpr_flat_scratch_init 0
		.amdhsa_user_sgpr_kernarg_preload_length 0
		.amdhsa_user_sgpr_kernarg_preload_offset 0
		.amdhsa_user_sgpr_private_segment_size 0
		.amdhsa_uses_dynamic_stack 0
		.amdhsa_system_sgpr_private_segment_wavefront_offset 0
		.amdhsa_system_sgpr_workgroup_id_x 1
		.amdhsa_system_sgpr_workgroup_id_y 0
		.amdhsa_system_sgpr_workgroup_id_z 0
		.amdhsa_system_sgpr_workgroup_info 0
		.amdhsa_system_vgpr_workitem_id 0
		.amdhsa_next_free_vgpr 1
		.amdhsa_next_free_sgpr 0
		.amdhsa_accum_offset 4
		.amdhsa_reserve_vcc 0
		.amdhsa_reserve_flat_scratch 0
		.amdhsa_float_round_mode_32 0
		.amdhsa_float_round_mode_16_64 0
		.amdhsa_float_denorm_mode_32 3
		.amdhsa_float_denorm_mode_16_64 3
		.amdhsa_dx10_clamp 1
		.amdhsa_ieee_mode 1
		.amdhsa_fp16_overflow 0
		.amdhsa_tg_split 0
		.amdhsa_exception_fp_ieee_invalid_op 0
		.amdhsa_exception_fp_denorm_src 0
		.amdhsa_exception_fp_ieee_div_zero 0
		.amdhsa_exception_fp_ieee_overflow 0
		.amdhsa_exception_fp_ieee_underflow 0
		.amdhsa_exception_fp_ieee_inexact 0
		.amdhsa_exception_int_div_zero 0
	.end_amdhsa_kernel
	.section	.text._ZN7rocprim17ROCPRIM_400000_NS6detail17trampoline_kernelINS0_14default_configENS1_20scan_config_selectorIfEEZZNS1_9scan_implILNS1_25lookback_scan_determinismE0ELb0ELb0ES3_N6thrust23THRUST_200600_302600_NS6detail15normal_iteratorINS9_10device_ptrIfEEEESE_f11max_functorIfEfEEDaPvRmT3_T4_T5_mT6_P12ihipStream_tbENKUlT_T0_E_clISt17integral_constantIbLb0EESU_EEDaSP_SQ_EUlSP_E_NS1_11comp_targetILNS1_3genE9ELNS1_11target_archE1100ELNS1_3gpuE3ELNS1_3repE0EEENS1_30default_config_static_selectorELNS0_4arch9wavefront6targetE1EEEvT1_,"axG",@progbits,_ZN7rocprim17ROCPRIM_400000_NS6detail17trampoline_kernelINS0_14default_configENS1_20scan_config_selectorIfEEZZNS1_9scan_implILNS1_25lookback_scan_determinismE0ELb0ELb0ES3_N6thrust23THRUST_200600_302600_NS6detail15normal_iteratorINS9_10device_ptrIfEEEESE_f11max_functorIfEfEEDaPvRmT3_T4_T5_mT6_P12ihipStream_tbENKUlT_T0_E_clISt17integral_constantIbLb0EESU_EEDaSP_SQ_EUlSP_E_NS1_11comp_targetILNS1_3genE9ELNS1_11target_archE1100ELNS1_3gpuE3ELNS1_3repE0EEENS1_30default_config_static_selectorELNS0_4arch9wavefront6targetE1EEEvT1_,comdat
.Lfunc_end1950:
	.size	_ZN7rocprim17ROCPRIM_400000_NS6detail17trampoline_kernelINS0_14default_configENS1_20scan_config_selectorIfEEZZNS1_9scan_implILNS1_25lookback_scan_determinismE0ELb0ELb0ES3_N6thrust23THRUST_200600_302600_NS6detail15normal_iteratorINS9_10device_ptrIfEEEESE_f11max_functorIfEfEEDaPvRmT3_T4_T5_mT6_P12ihipStream_tbENKUlT_T0_E_clISt17integral_constantIbLb0EESU_EEDaSP_SQ_EUlSP_E_NS1_11comp_targetILNS1_3genE9ELNS1_11target_archE1100ELNS1_3gpuE3ELNS1_3repE0EEENS1_30default_config_static_selectorELNS0_4arch9wavefront6targetE1EEEvT1_, .Lfunc_end1950-_ZN7rocprim17ROCPRIM_400000_NS6detail17trampoline_kernelINS0_14default_configENS1_20scan_config_selectorIfEEZZNS1_9scan_implILNS1_25lookback_scan_determinismE0ELb0ELb0ES3_N6thrust23THRUST_200600_302600_NS6detail15normal_iteratorINS9_10device_ptrIfEEEESE_f11max_functorIfEfEEDaPvRmT3_T4_T5_mT6_P12ihipStream_tbENKUlT_T0_E_clISt17integral_constantIbLb0EESU_EEDaSP_SQ_EUlSP_E_NS1_11comp_targetILNS1_3genE9ELNS1_11target_archE1100ELNS1_3gpuE3ELNS1_3repE0EEENS1_30default_config_static_selectorELNS0_4arch9wavefront6targetE1EEEvT1_
                                        ; -- End function
	.section	.AMDGPU.csdata,"",@progbits
; Kernel info:
; codeLenInByte = 0
; NumSgprs: 4
; NumVgprs: 0
; NumAgprs: 0
; TotalNumVgprs: 0
; ScratchSize: 0
; MemoryBound: 0
; FloatMode: 240
; IeeeMode: 1
; LDSByteSize: 0 bytes/workgroup (compile time only)
; SGPRBlocks: 0
; VGPRBlocks: 0
; NumSGPRsForWavesPerEU: 4
; NumVGPRsForWavesPerEU: 1
; AccumOffset: 4
; Occupancy: 8
; WaveLimiterHint : 0
; COMPUTE_PGM_RSRC2:SCRATCH_EN: 0
; COMPUTE_PGM_RSRC2:USER_SGPR: 6
; COMPUTE_PGM_RSRC2:TRAP_HANDLER: 0
; COMPUTE_PGM_RSRC2:TGID_X_EN: 1
; COMPUTE_PGM_RSRC2:TGID_Y_EN: 0
; COMPUTE_PGM_RSRC2:TGID_Z_EN: 0
; COMPUTE_PGM_RSRC2:TIDIG_COMP_CNT: 0
; COMPUTE_PGM_RSRC3_GFX90A:ACCUM_OFFSET: 0
; COMPUTE_PGM_RSRC3_GFX90A:TG_SPLIT: 0
	.section	.text._ZN7rocprim17ROCPRIM_400000_NS6detail17trampoline_kernelINS0_14default_configENS1_20scan_config_selectorIfEEZZNS1_9scan_implILNS1_25lookback_scan_determinismE0ELb0ELb0ES3_N6thrust23THRUST_200600_302600_NS6detail15normal_iteratorINS9_10device_ptrIfEEEESE_f11max_functorIfEfEEDaPvRmT3_T4_T5_mT6_P12ihipStream_tbENKUlT_T0_E_clISt17integral_constantIbLb0EESU_EEDaSP_SQ_EUlSP_E_NS1_11comp_targetILNS1_3genE8ELNS1_11target_archE1030ELNS1_3gpuE2ELNS1_3repE0EEENS1_30default_config_static_selectorELNS0_4arch9wavefront6targetE1EEEvT1_,"axG",@progbits,_ZN7rocprim17ROCPRIM_400000_NS6detail17trampoline_kernelINS0_14default_configENS1_20scan_config_selectorIfEEZZNS1_9scan_implILNS1_25lookback_scan_determinismE0ELb0ELb0ES3_N6thrust23THRUST_200600_302600_NS6detail15normal_iteratorINS9_10device_ptrIfEEEESE_f11max_functorIfEfEEDaPvRmT3_T4_T5_mT6_P12ihipStream_tbENKUlT_T0_E_clISt17integral_constantIbLb0EESU_EEDaSP_SQ_EUlSP_E_NS1_11comp_targetILNS1_3genE8ELNS1_11target_archE1030ELNS1_3gpuE2ELNS1_3repE0EEENS1_30default_config_static_selectorELNS0_4arch9wavefront6targetE1EEEvT1_,comdat
	.protected	_ZN7rocprim17ROCPRIM_400000_NS6detail17trampoline_kernelINS0_14default_configENS1_20scan_config_selectorIfEEZZNS1_9scan_implILNS1_25lookback_scan_determinismE0ELb0ELb0ES3_N6thrust23THRUST_200600_302600_NS6detail15normal_iteratorINS9_10device_ptrIfEEEESE_f11max_functorIfEfEEDaPvRmT3_T4_T5_mT6_P12ihipStream_tbENKUlT_T0_E_clISt17integral_constantIbLb0EESU_EEDaSP_SQ_EUlSP_E_NS1_11comp_targetILNS1_3genE8ELNS1_11target_archE1030ELNS1_3gpuE2ELNS1_3repE0EEENS1_30default_config_static_selectorELNS0_4arch9wavefront6targetE1EEEvT1_ ; -- Begin function _ZN7rocprim17ROCPRIM_400000_NS6detail17trampoline_kernelINS0_14default_configENS1_20scan_config_selectorIfEEZZNS1_9scan_implILNS1_25lookback_scan_determinismE0ELb0ELb0ES3_N6thrust23THRUST_200600_302600_NS6detail15normal_iteratorINS9_10device_ptrIfEEEESE_f11max_functorIfEfEEDaPvRmT3_T4_T5_mT6_P12ihipStream_tbENKUlT_T0_E_clISt17integral_constantIbLb0EESU_EEDaSP_SQ_EUlSP_E_NS1_11comp_targetILNS1_3genE8ELNS1_11target_archE1030ELNS1_3gpuE2ELNS1_3repE0EEENS1_30default_config_static_selectorELNS0_4arch9wavefront6targetE1EEEvT1_
	.globl	_ZN7rocprim17ROCPRIM_400000_NS6detail17trampoline_kernelINS0_14default_configENS1_20scan_config_selectorIfEEZZNS1_9scan_implILNS1_25lookback_scan_determinismE0ELb0ELb0ES3_N6thrust23THRUST_200600_302600_NS6detail15normal_iteratorINS9_10device_ptrIfEEEESE_f11max_functorIfEfEEDaPvRmT3_T4_T5_mT6_P12ihipStream_tbENKUlT_T0_E_clISt17integral_constantIbLb0EESU_EEDaSP_SQ_EUlSP_E_NS1_11comp_targetILNS1_3genE8ELNS1_11target_archE1030ELNS1_3gpuE2ELNS1_3repE0EEENS1_30default_config_static_selectorELNS0_4arch9wavefront6targetE1EEEvT1_
	.p2align	8
	.type	_ZN7rocprim17ROCPRIM_400000_NS6detail17trampoline_kernelINS0_14default_configENS1_20scan_config_selectorIfEEZZNS1_9scan_implILNS1_25lookback_scan_determinismE0ELb0ELb0ES3_N6thrust23THRUST_200600_302600_NS6detail15normal_iteratorINS9_10device_ptrIfEEEESE_f11max_functorIfEfEEDaPvRmT3_T4_T5_mT6_P12ihipStream_tbENKUlT_T0_E_clISt17integral_constantIbLb0EESU_EEDaSP_SQ_EUlSP_E_NS1_11comp_targetILNS1_3genE8ELNS1_11target_archE1030ELNS1_3gpuE2ELNS1_3repE0EEENS1_30default_config_static_selectorELNS0_4arch9wavefront6targetE1EEEvT1_,@function
_ZN7rocprim17ROCPRIM_400000_NS6detail17trampoline_kernelINS0_14default_configENS1_20scan_config_selectorIfEEZZNS1_9scan_implILNS1_25lookback_scan_determinismE0ELb0ELb0ES3_N6thrust23THRUST_200600_302600_NS6detail15normal_iteratorINS9_10device_ptrIfEEEESE_f11max_functorIfEfEEDaPvRmT3_T4_T5_mT6_P12ihipStream_tbENKUlT_T0_E_clISt17integral_constantIbLb0EESU_EEDaSP_SQ_EUlSP_E_NS1_11comp_targetILNS1_3genE8ELNS1_11target_archE1030ELNS1_3gpuE2ELNS1_3repE0EEENS1_30default_config_static_selectorELNS0_4arch9wavefront6targetE1EEEvT1_: ; @_ZN7rocprim17ROCPRIM_400000_NS6detail17trampoline_kernelINS0_14default_configENS1_20scan_config_selectorIfEEZZNS1_9scan_implILNS1_25lookback_scan_determinismE0ELb0ELb0ES3_N6thrust23THRUST_200600_302600_NS6detail15normal_iteratorINS9_10device_ptrIfEEEESE_f11max_functorIfEfEEDaPvRmT3_T4_T5_mT6_P12ihipStream_tbENKUlT_T0_E_clISt17integral_constantIbLb0EESU_EEDaSP_SQ_EUlSP_E_NS1_11comp_targetILNS1_3genE8ELNS1_11target_archE1030ELNS1_3gpuE2ELNS1_3repE0EEENS1_30default_config_static_selectorELNS0_4arch9wavefront6targetE1EEEvT1_
; %bb.0:
	.section	.rodata,"a",@progbits
	.p2align	6, 0x0
	.amdhsa_kernel _ZN7rocprim17ROCPRIM_400000_NS6detail17trampoline_kernelINS0_14default_configENS1_20scan_config_selectorIfEEZZNS1_9scan_implILNS1_25lookback_scan_determinismE0ELb0ELb0ES3_N6thrust23THRUST_200600_302600_NS6detail15normal_iteratorINS9_10device_ptrIfEEEESE_f11max_functorIfEfEEDaPvRmT3_T4_T5_mT6_P12ihipStream_tbENKUlT_T0_E_clISt17integral_constantIbLb0EESU_EEDaSP_SQ_EUlSP_E_NS1_11comp_targetILNS1_3genE8ELNS1_11target_archE1030ELNS1_3gpuE2ELNS1_3repE0EEENS1_30default_config_static_selectorELNS0_4arch9wavefront6targetE1EEEvT1_
		.amdhsa_group_segment_fixed_size 0
		.amdhsa_private_segment_fixed_size 0
		.amdhsa_kernarg_size 96
		.amdhsa_user_sgpr_count 6
		.amdhsa_user_sgpr_private_segment_buffer 1
		.amdhsa_user_sgpr_dispatch_ptr 0
		.amdhsa_user_sgpr_queue_ptr 0
		.amdhsa_user_sgpr_kernarg_segment_ptr 1
		.amdhsa_user_sgpr_dispatch_id 0
		.amdhsa_user_sgpr_flat_scratch_init 0
		.amdhsa_user_sgpr_kernarg_preload_length 0
		.amdhsa_user_sgpr_kernarg_preload_offset 0
		.amdhsa_user_sgpr_private_segment_size 0
		.amdhsa_uses_dynamic_stack 0
		.amdhsa_system_sgpr_private_segment_wavefront_offset 0
		.amdhsa_system_sgpr_workgroup_id_x 1
		.amdhsa_system_sgpr_workgroup_id_y 0
		.amdhsa_system_sgpr_workgroup_id_z 0
		.amdhsa_system_sgpr_workgroup_info 0
		.amdhsa_system_vgpr_workitem_id 0
		.amdhsa_next_free_vgpr 1
		.amdhsa_next_free_sgpr 0
		.amdhsa_accum_offset 4
		.amdhsa_reserve_vcc 0
		.amdhsa_reserve_flat_scratch 0
		.amdhsa_float_round_mode_32 0
		.amdhsa_float_round_mode_16_64 0
		.amdhsa_float_denorm_mode_32 3
		.amdhsa_float_denorm_mode_16_64 3
		.amdhsa_dx10_clamp 1
		.amdhsa_ieee_mode 1
		.amdhsa_fp16_overflow 0
		.amdhsa_tg_split 0
		.amdhsa_exception_fp_ieee_invalid_op 0
		.amdhsa_exception_fp_denorm_src 0
		.amdhsa_exception_fp_ieee_div_zero 0
		.amdhsa_exception_fp_ieee_overflow 0
		.amdhsa_exception_fp_ieee_underflow 0
		.amdhsa_exception_fp_ieee_inexact 0
		.amdhsa_exception_int_div_zero 0
	.end_amdhsa_kernel
	.section	.text._ZN7rocprim17ROCPRIM_400000_NS6detail17trampoline_kernelINS0_14default_configENS1_20scan_config_selectorIfEEZZNS1_9scan_implILNS1_25lookback_scan_determinismE0ELb0ELb0ES3_N6thrust23THRUST_200600_302600_NS6detail15normal_iteratorINS9_10device_ptrIfEEEESE_f11max_functorIfEfEEDaPvRmT3_T4_T5_mT6_P12ihipStream_tbENKUlT_T0_E_clISt17integral_constantIbLb0EESU_EEDaSP_SQ_EUlSP_E_NS1_11comp_targetILNS1_3genE8ELNS1_11target_archE1030ELNS1_3gpuE2ELNS1_3repE0EEENS1_30default_config_static_selectorELNS0_4arch9wavefront6targetE1EEEvT1_,"axG",@progbits,_ZN7rocprim17ROCPRIM_400000_NS6detail17trampoline_kernelINS0_14default_configENS1_20scan_config_selectorIfEEZZNS1_9scan_implILNS1_25lookback_scan_determinismE0ELb0ELb0ES3_N6thrust23THRUST_200600_302600_NS6detail15normal_iteratorINS9_10device_ptrIfEEEESE_f11max_functorIfEfEEDaPvRmT3_T4_T5_mT6_P12ihipStream_tbENKUlT_T0_E_clISt17integral_constantIbLb0EESU_EEDaSP_SQ_EUlSP_E_NS1_11comp_targetILNS1_3genE8ELNS1_11target_archE1030ELNS1_3gpuE2ELNS1_3repE0EEENS1_30default_config_static_selectorELNS0_4arch9wavefront6targetE1EEEvT1_,comdat
.Lfunc_end1951:
	.size	_ZN7rocprim17ROCPRIM_400000_NS6detail17trampoline_kernelINS0_14default_configENS1_20scan_config_selectorIfEEZZNS1_9scan_implILNS1_25lookback_scan_determinismE0ELb0ELb0ES3_N6thrust23THRUST_200600_302600_NS6detail15normal_iteratorINS9_10device_ptrIfEEEESE_f11max_functorIfEfEEDaPvRmT3_T4_T5_mT6_P12ihipStream_tbENKUlT_T0_E_clISt17integral_constantIbLb0EESU_EEDaSP_SQ_EUlSP_E_NS1_11comp_targetILNS1_3genE8ELNS1_11target_archE1030ELNS1_3gpuE2ELNS1_3repE0EEENS1_30default_config_static_selectorELNS0_4arch9wavefront6targetE1EEEvT1_, .Lfunc_end1951-_ZN7rocprim17ROCPRIM_400000_NS6detail17trampoline_kernelINS0_14default_configENS1_20scan_config_selectorIfEEZZNS1_9scan_implILNS1_25lookback_scan_determinismE0ELb0ELb0ES3_N6thrust23THRUST_200600_302600_NS6detail15normal_iteratorINS9_10device_ptrIfEEEESE_f11max_functorIfEfEEDaPvRmT3_T4_T5_mT6_P12ihipStream_tbENKUlT_T0_E_clISt17integral_constantIbLb0EESU_EEDaSP_SQ_EUlSP_E_NS1_11comp_targetILNS1_3genE8ELNS1_11target_archE1030ELNS1_3gpuE2ELNS1_3repE0EEENS1_30default_config_static_selectorELNS0_4arch9wavefront6targetE1EEEvT1_
                                        ; -- End function
	.section	.AMDGPU.csdata,"",@progbits
; Kernel info:
; codeLenInByte = 0
; NumSgprs: 4
; NumVgprs: 0
; NumAgprs: 0
; TotalNumVgprs: 0
; ScratchSize: 0
; MemoryBound: 0
; FloatMode: 240
; IeeeMode: 1
; LDSByteSize: 0 bytes/workgroup (compile time only)
; SGPRBlocks: 0
; VGPRBlocks: 0
; NumSGPRsForWavesPerEU: 4
; NumVGPRsForWavesPerEU: 1
; AccumOffset: 4
; Occupancy: 8
; WaveLimiterHint : 0
; COMPUTE_PGM_RSRC2:SCRATCH_EN: 0
; COMPUTE_PGM_RSRC2:USER_SGPR: 6
; COMPUTE_PGM_RSRC2:TRAP_HANDLER: 0
; COMPUTE_PGM_RSRC2:TGID_X_EN: 1
; COMPUTE_PGM_RSRC2:TGID_Y_EN: 0
; COMPUTE_PGM_RSRC2:TGID_Z_EN: 0
; COMPUTE_PGM_RSRC2:TIDIG_COMP_CNT: 0
; COMPUTE_PGM_RSRC3_GFX90A:ACCUM_OFFSET: 0
; COMPUTE_PGM_RSRC3_GFX90A:TG_SPLIT: 0
	.section	.text._ZN7rocprim17ROCPRIM_400000_NS6detail17trampoline_kernelINS0_14default_configENS1_20scan_config_selectorIfEEZZNS1_9scan_implILNS1_25lookback_scan_determinismE0ELb0ELb0ES3_N6thrust23THRUST_200600_302600_NS6detail15normal_iteratorINS9_10device_ptrIfEEEESE_f11max_functorIfEfEEDaPvRmT3_T4_T5_mT6_P12ihipStream_tbENKUlT_T0_E_clISt17integral_constantIbLb0EESU_EEDaSP_SQ_EUlSP_E0_NS1_11comp_targetILNS1_3genE0ELNS1_11target_archE4294967295ELNS1_3gpuE0ELNS1_3repE0EEENS1_30default_config_static_selectorELNS0_4arch9wavefront6targetE1EEEvT1_,"axG",@progbits,_ZN7rocprim17ROCPRIM_400000_NS6detail17trampoline_kernelINS0_14default_configENS1_20scan_config_selectorIfEEZZNS1_9scan_implILNS1_25lookback_scan_determinismE0ELb0ELb0ES3_N6thrust23THRUST_200600_302600_NS6detail15normal_iteratorINS9_10device_ptrIfEEEESE_f11max_functorIfEfEEDaPvRmT3_T4_T5_mT6_P12ihipStream_tbENKUlT_T0_E_clISt17integral_constantIbLb0EESU_EEDaSP_SQ_EUlSP_E0_NS1_11comp_targetILNS1_3genE0ELNS1_11target_archE4294967295ELNS1_3gpuE0ELNS1_3repE0EEENS1_30default_config_static_selectorELNS0_4arch9wavefront6targetE1EEEvT1_,comdat
	.protected	_ZN7rocprim17ROCPRIM_400000_NS6detail17trampoline_kernelINS0_14default_configENS1_20scan_config_selectorIfEEZZNS1_9scan_implILNS1_25lookback_scan_determinismE0ELb0ELb0ES3_N6thrust23THRUST_200600_302600_NS6detail15normal_iteratorINS9_10device_ptrIfEEEESE_f11max_functorIfEfEEDaPvRmT3_T4_T5_mT6_P12ihipStream_tbENKUlT_T0_E_clISt17integral_constantIbLb0EESU_EEDaSP_SQ_EUlSP_E0_NS1_11comp_targetILNS1_3genE0ELNS1_11target_archE4294967295ELNS1_3gpuE0ELNS1_3repE0EEENS1_30default_config_static_selectorELNS0_4arch9wavefront6targetE1EEEvT1_ ; -- Begin function _ZN7rocprim17ROCPRIM_400000_NS6detail17trampoline_kernelINS0_14default_configENS1_20scan_config_selectorIfEEZZNS1_9scan_implILNS1_25lookback_scan_determinismE0ELb0ELb0ES3_N6thrust23THRUST_200600_302600_NS6detail15normal_iteratorINS9_10device_ptrIfEEEESE_f11max_functorIfEfEEDaPvRmT3_T4_T5_mT6_P12ihipStream_tbENKUlT_T0_E_clISt17integral_constantIbLb0EESU_EEDaSP_SQ_EUlSP_E0_NS1_11comp_targetILNS1_3genE0ELNS1_11target_archE4294967295ELNS1_3gpuE0ELNS1_3repE0EEENS1_30default_config_static_selectorELNS0_4arch9wavefront6targetE1EEEvT1_
	.globl	_ZN7rocprim17ROCPRIM_400000_NS6detail17trampoline_kernelINS0_14default_configENS1_20scan_config_selectorIfEEZZNS1_9scan_implILNS1_25lookback_scan_determinismE0ELb0ELb0ES3_N6thrust23THRUST_200600_302600_NS6detail15normal_iteratorINS9_10device_ptrIfEEEESE_f11max_functorIfEfEEDaPvRmT3_T4_T5_mT6_P12ihipStream_tbENKUlT_T0_E_clISt17integral_constantIbLb0EESU_EEDaSP_SQ_EUlSP_E0_NS1_11comp_targetILNS1_3genE0ELNS1_11target_archE4294967295ELNS1_3gpuE0ELNS1_3repE0EEENS1_30default_config_static_selectorELNS0_4arch9wavefront6targetE1EEEvT1_
	.p2align	8
	.type	_ZN7rocprim17ROCPRIM_400000_NS6detail17trampoline_kernelINS0_14default_configENS1_20scan_config_selectorIfEEZZNS1_9scan_implILNS1_25lookback_scan_determinismE0ELb0ELb0ES3_N6thrust23THRUST_200600_302600_NS6detail15normal_iteratorINS9_10device_ptrIfEEEESE_f11max_functorIfEfEEDaPvRmT3_T4_T5_mT6_P12ihipStream_tbENKUlT_T0_E_clISt17integral_constantIbLb0EESU_EEDaSP_SQ_EUlSP_E0_NS1_11comp_targetILNS1_3genE0ELNS1_11target_archE4294967295ELNS1_3gpuE0ELNS1_3repE0EEENS1_30default_config_static_selectorELNS0_4arch9wavefront6targetE1EEEvT1_,@function
_ZN7rocprim17ROCPRIM_400000_NS6detail17trampoline_kernelINS0_14default_configENS1_20scan_config_selectorIfEEZZNS1_9scan_implILNS1_25lookback_scan_determinismE0ELb0ELb0ES3_N6thrust23THRUST_200600_302600_NS6detail15normal_iteratorINS9_10device_ptrIfEEEESE_f11max_functorIfEfEEDaPvRmT3_T4_T5_mT6_P12ihipStream_tbENKUlT_T0_E_clISt17integral_constantIbLb0EESU_EEDaSP_SQ_EUlSP_E0_NS1_11comp_targetILNS1_3genE0ELNS1_11target_archE4294967295ELNS1_3gpuE0ELNS1_3repE0EEENS1_30default_config_static_selectorELNS0_4arch9wavefront6targetE1EEEvT1_: ; @_ZN7rocprim17ROCPRIM_400000_NS6detail17trampoline_kernelINS0_14default_configENS1_20scan_config_selectorIfEEZZNS1_9scan_implILNS1_25lookback_scan_determinismE0ELb0ELb0ES3_N6thrust23THRUST_200600_302600_NS6detail15normal_iteratorINS9_10device_ptrIfEEEESE_f11max_functorIfEfEEDaPvRmT3_T4_T5_mT6_P12ihipStream_tbENKUlT_T0_E_clISt17integral_constantIbLb0EESU_EEDaSP_SQ_EUlSP_E0_NS1_11comp_targetILNS1_3genE0ELNS1_11target_archE4294967295ELNS1_3gpuE0ELNS1_3repE0EEENS1_30default_config_static_selectorELNS0_4arch9wavefront6targetE1EEEvT1_
; %bb.0:
	.section	.rodata,"a",@progbits
	.p2align	6, 0x0
	.amdhsa_kernel _ZN7rocprim17ROCPRIM_400000_NS6detail17trampoline_kernelINS0_14default_configENS1_20scan_config_selectorIfEEZZNS1_9scan_implILNS1_25lookback_scan_determinismE0ELb0ELb0ES3_N6thrust23THRUST_200600_302600_NS6detail15normal_iteratorINS9_10device_ptrIfEEEESE_f11max_functorIfEfEEDaPvRmT3_T4_T5_mT6_P12ihipStream_tbENKUlT_T0_E_clISt17integral_constantIbLb0EESU_EEDaSP_SQ_EUlSP_E0_NS1_11comp_targetILNS1_3genE0ELNS1_11target_archE4294967295ELNS1_3gpuE0ELNS1_3repE0EEENS1_30default_config_static_selectorELNS0_4arch9wavefront6targetE1EEEvT1_
		.amdhsa_group_segment_fixed_size 0
		.amdhsa_private_segment_fixed_size 0
		.amdhsa_kernarg_size 32
		.amdhsa_user_sgpr_count 6
		.amdhsa_user_sgpr_private_segment_buffer 1
		.amdhsa_user_sgpr_dispatch_ptr 0
		.amdhsa_user_sgpr_queue_ptr 0
		.amdhsa_user_sgpr_kernarg_segment_ptr 1
		.amdhsa_user_sgpr_dispatch_id 0
		.amdhsa_user_sgpr_flat_scratch_init 0
		.amdhsa_user_sgpr_kernarg_preload_length 0
		.amdhsa_user_sgpr_kernarg_preload_offset 0
		.amdhsa_user_sgpr_private_segment_size 0
		.amdhsa_uses_dynamic_stack 0
		.amdhsa_system_sgpr_private_segment_wavefront_offset 0
		.amdhsa_system_sgpr_workgroup_id_x 1
		.amdhsa_system_sgpr_workgroup_id_y 0
		.amdhsa_system_sgpr_workgroup_id_z 0
		.amdhsa_system_sgpr_workgroup_info 0
		.amdhsa_system_vgpr_workitem_id 0
		.amdhsa_next_free_vgpr 1
		.amdhsa_next_free_sgpr 0
		.amdhsa_accum_offset 4
		.amdhsa_reserve_vcc 0
		.amdhsa_reserve_flat_scratch 0
		.amdhsa_float_round_mode_32 0
		.amdhsa_float_round_mode_16_64 0
		.amdhsa_float_denorm_mode_32 3
		.amdhsa_float_denorm_mode_16_64 3
		.amdhsa_dx10_clamp 1
		.amdhsa_ieee_mode 1
		.amdhsa_fp16_overflow 0
		.amdhsa_tg_split 0
		.amdhsa_exception_fp_ieee_invalid_op 0
		.amdhsa_exception_fp_denorm_src 0
		.amdhsa_exception_fp_ieee_div_zero 0
		.amdhsa_exception_fp_ieee_overflow 0
		.amdhsa_exception_fp_ieee_underflow 0
		.amdhsa_exception_fp_ieee_inexact 0
		.amdhsa_exception_int_div_zero 0
	.end_amdhsa_kernel
	.section	.text._ZN7rocprim17ROCPRIM_400000_NS6detail17trampoline_kernelINS0_14default_configENS1_20scan_config_selectorIfEEZZNS1_9scan_implILNS1_25lookback_scan_determinismE0ELb0ELb0ES3_N6thrust23THRUST_200600_302600_NS6detail15normal_iteratorINS9_10device_ptrIfEEEESE_f11max_functorIfEfEEDaPvRmT3_T4_T5_mT6_P12ihipStream_tbENKUlT_T0_E_clISt17integral_constantIbLb0EESU_EEDaSP_SQ_EUlSP_E0_NS1_11comp_targetILNS1_3genE0ELNS1_11target_archE4294967295ELNS1_3gpuE0ELNS1_3repE0EEENS1_30default_config_static_selectorELNS0_4arch9wavefront6targetE1EEEvT1_,"axG",@progbits,_ZN7rocprim17ROCPRIM_400000_NS6detail17trampoline_kernelINS0_14default_configENS1_20scan_config_selectorIfEEZZNS1_9scan_implILNS1_25lookback_scan_determinismE0ELb0ELb0ES3_N6thrust23THRUST_200600_302600_NS6detail15normal_iteratorINS9_10device_ptrIfEEEESE_f11max_functorIfEfEEDaPvRmT3_T4_T5_mT6_P12ihipStream_tbENKUlT_T0_E_clISt17integral_constantIbLb0EESU_EEDaSP_SQ_EUlSP_E0_NS1_11comp_targetILNS1_3genE0ELNS1_11target_archE4294967295ELNS1_3gpuE0ELNS1_3repE0EEENS1_30default_config_static_selectorELNS0_4arch9wavefront6targetE1EEEvT1_,comdat
.Lfunc_end1952:
	.size	_ZN7rocprim17ROCPRIM_400000_NS6detail17trampoline_kernelINS0_14default_configENS1_20scan_config_selectorIfEEZZNS1_9scan_implILNS1_25lookback_scan_determinismE0ELb0ELb0ES3_N6thrust23THRUST_200600_302600_NS6detail15normal_iteratorINS9_10device_ptrIfEEEESE_f11max_functorIfEfEEDaPvRmT3_T4_T5_mT6_P12ihipStream_tbENKUlT_T0_E_clISt17integral_constantIbLb0EESU_EEDaSP_SQ_EUlSP_E0_NS1_11comp_targetILNS1_3genE0ELNS1_11target_archE4294967295ELNS1_3gpuE0ELNS1_3repE0EEENS1_30default_config_static_selectorELNS0_4arch9wavefront6targetE1EEEvT1_, .Lfunc_end1952-_ZN7rocprim17ROCPRIM_400000_NS6detail17trampoline_kernelINS0_14default_configENS1_20scan_config_selectorIfEEZZNS1_9scan_implILNS1_25lookback_scan_determinismE0ELb0ELb0ES3_N6thrust23THRUST_200600_302600_NS6detail15normal_iteratorINS9_10device_ptrIfEEEESE_f11max_functorIfEfEEDaPvRmT3_T4_T5_mT6_P12ihipStream_tbENKUlT_T0_E_clISt17integral_constantIbLb0EESU_EEDaSP_SQ_EUlSP_E0_NS1_11comp_targetILNS1_3genE0ELNS1_11target_archE4294967295ELNS1_3gpuE0ELNS1_3repE0EEENS1_30default_config_static_selectorELNS0_4arch9wavefront6targetE1EEEvT1_
                                        ; -- End function
	.section	.AMDGPU.csdata,"",@progbits
; Kernel info:
; codeLenInByte = 0
; NumSgprs: 4
; NumVgprs: 0
; NumAgprs: 0
; TotalNumVgprs: 0
; ScratchSize: 0
; MemoryBound: 0
; FloatMode: 240
; IeeeMode: 1
; LDSByteSize: 0 bytes/workgroup (compile time only)
; SGPRBlocks: 0
; VGPRBlocks: 0
; NumSGPRsForWavesPerEU: 4
; NumVGPRsForWavesPerEU: 1
; AccumOffset: 4
; Occupancy: 8
; WaveLimiterHint : 0
; COMPUTE_PGM_RSRC2:SCRATCH_EN: 0
; COMPUTE_PGM_RSRC2:USER_SGPR: 6
; COMPUTE_PGM_RSRC2:TRAP_HANDLER: 0
; COMPUTE_PGM_RSRC2:TGID_X_EN: 1
; COMPUTE_PGM_RSRC2:TGID_Y_EN: 0
; COMPUTE_PGM_RSRC2:TGID_Z_EN: 0
; COMPUTE_PGM_RSRC2:TIDIG_COMP_CNT: 0
; COMPUTE_PGM_RSRC3_GFX90A:ACCUM_OFFSET: 0
; COMPUTE_PGM_RSRC3_GFX90A:TG_SPLIT: 0
	.section	.text._ZN7rocprim17ROCPRIM_400000_NS6detail17trampoline_kernelINS0_14default_configENS1_20scan_config_selectorIfEEZZNS1_9scan_implILNS1_25lookback_scan_determinismE0ELb0ELb0ES3_N6thrust23THRUST_200600_302600_NS6detail15normal_iteratorINS9_10device_ptrIfEEEESE_f11max_functorIfEfEEDaPvRmT3_T4_T5_mT6_P12ihipStream_tbENKUlT_T0_E_clISt17integral_constantIbLb0EESU_EEDaSP_SQ_EUlSP_E0_NS1_11comp_targetILNS1_3genE5ELNS1_11target_archE942ELNS1_3gpuE9ELNS1_3repE0EEENS1_30default_config_static_selectorELNS0_4arch9wavefront6targetE1EEEvT1_,"axG",@progbits,_ZN7rocprim17ROCPRIM_400000_NS6detail17trampoline_kernelINS0_14default_configENS1_20scan_config_selectorIfEEZZNS1_9scan_implILNS1_25lookback_scan_determinismE0ELb0ELb0ES3_N6thrust23THRUST_200600_302600_NS6detail15normal_iteratorINS9_10device_ptrIfEEEESE_f11max_functorIfEfEEDaPvRmT3_T4_T5_mT6_P12ihipStream_tbENKUlT_T0_E_clISt17integral_constantIbLb0EESU_EEDaSP_SQ_EUlSP_E0_NS1_11comp_targetILNS1_3genE5ELNS1_11target_archE942ELNS1_3gpuE9ELNS1_3repE0EEENS1_30default_config_static_selectorELNS0_4arch9wavefront6targetE1EEEvT1_,comdat
	.protected	_ZN7rocprim17ROCPRIM_400000_NS6detail17trampoline_kernelINS0_14default_configENS1_20scan_config_selectorIfEEZZNS1_9scan_implILNS1_25lookback_scan_determinismE0ELb0ELb0ES3_N6thrust23THRUST_200600_302600_NS6detail15normal_iteratorINS9_10device_ptrIfEEEESE_f11max_functorIfEfEEDaPvRmT3_T4_T5_mT6_P12ihipStream_tbENKUlT_T0_E_clISt17integral_constantIbLb0EESU_EEDaSP_SQ_EUlSP_E0_NS1_11comp_targetILNS1_3genE5ELNS1_11target_archE942ELNS1_3gpuE9ELNS1_3repE0EEENS1_30default_config_static_selectorELNS0_4arch9wavefront6targetE1EEEvT1_ ; -- Begin function _ZN7rocprim17ROCPRIM_400000_NS6detail17trampoline_kernelINS0_14default_configENS1_20scan_config_selectorIfEEZZNS1_9scan_implILNS1_25lookback_scan_determinismE0ELb0ELb0ES3_N6thrust23THRUST_200600_302600_NS6detail15normal_iteratorINS9_10device_ptrIfEEEESE_f11max_functorIfEfEEDaPvRmT3_T4_T5_mT6_P12ihipStream_tbENKUlT_T0_E_clISt17integral_constantIbLb0EESU_EEDaSP_SQ_EUlSP_E0_NS1_11comp_targetILNS1_3genE5ELNS1_11target_archE942ELNS1_3gpuE9ELNS1_3repE0EEENS1_30default_config_static_selectorELNS0_4arch9wavefront6targetE1EEEvT1_
	.globl	_ZN7rocprim17ROCPRIM_400000_NS6detail17trampoline_kernelINS0_14default_configENS1_20scan_config_selectorIfEEZZNS1_9scan_implILNS1_25lookback_scan_determinismE0ELb0ELb0ES3_N6thrust23THRUST_200600_302600_NS6detail15normal_iteratorINS9_10device_ptrIfEEEESE_f11max_functorIfEfEEDaPvRmT3_T4_T5_mT6_P12ihipStream_tbENKUlT_T0_E_clISt17integral_constantIbLb0EESU_EEDaSP_SQ_EUlSP_E0_NS1_11comp_targetILNS1_3genE5ELNS1_11target_archE942ELNS1_3gpuE9ELNS1_3repE0EEENS1_30default_config_static_selectorELNS0_4arch9wavefront6targetE1EEEvT1_
	.p2align	8
	.type	_ZN7rocprim17ROCPRIM_400000_NS6detail17trampoline_kernelINS0_14default_configENS1_20scan_config_selectorIfEEZZNS1_9scan_implILNS1_25lookback_scan_determinismE0ELb0ELb0ES3_N6thrust23THRUST_200600_302600_NS6detail15normal_iteratorINS9_10device_ptrIfEEEESE_f11max_functorIfEfEEDaPvRmT3_T4_T5_mT6_P12ihipStream_tbENKUlT_T0_E_clISt17integral_constantIbLb0EESU_EEDaSP_SQ_EUlSP_E0_NS1_11comp_targetILNS1_3genE5ELNS1_11target_archE942ELNS1_3gpuE9ELNS1_3repE0EEENS1_30default_config_static_selectorELNS0_4arch9wavefront6targetE1EEEvT1_,@function
_ZN7rocprim17ROCPRIM_400000_NS6detail17trampoline_kernelINS0_14default_configENS1_20scan_config_selectorIfEEZZNS1_9scan_implILNS1_25lookback_scan_determinismE0ELb0ELb0ES3_N6thrust23THRUST_200600_302600_NS6detail15normal_iteratorINS9_10device_ptrIfEEEESE_f11max_functorIfEfEEDaPvRmT3_T4_T5_mT6_P12ihipStream_tbENKUlT_T0_E_clISt17integral_constantIbLb0EESU_EEDaSP_SQ_EUlSP_E0_NS1_11comp_targetILNS1_3genE5ELNS1_11target_archE942ELNS1_3gpuE9ELNS1_3repE0EEENS1_30default_config_static_selectorELNS0_4arch9wavefront6targetE1EEEvT1_: ; @_ZN7rocprim17ROCPRIM_400000_NS6detail17trampoline_kernelINS0_14default_configENS1_20scan_config_selectorIfEEZZNS1_9scan_implILNS1_25lookback_scan_determinismE0ELb0ELb0ES3_N6thrust23THRUST_200600_302600_NS6detail15normal_iteratorINS9_10device_ptrIfEEEESE_f11max_functorIfEfEEDaPvRmT3_T4_T5_mT6_P12ihipStream_tbENKUlT_T0_E_clISt17integral_constantIbLb0EESU_EEDaSP_SQ_EUlSP_E0_NS1_11comp_targetILNS1_3genE5ELNS1_11target_archE942ELNS1_3gpuE9ELNS1_3repE0EEENS1_30default_config_static_selectorELNS0_4arch9wavefront6targetE1EEEvT1_
; %bb.0:
	.section	.rodata,"a",@progbits
	.p2align	6, 0x0
	.amdhsa_kernel _ZN7rocprim17ROCPRIM_400000_NS6detail17trampoline_kernelINS0_14default_configENS1_20scan_config_selectorIfEEZZNS1_9scan_implILNS1_25lookback_scan_determinismE0ELb0ELb0ES3_N6thrust23THRUST_200600_302600_NS6detail15normal_iteratorINS9_10device_ptrIfEEEESE_f11max_functorIfEfEEDaPvRmT3_T4_T5_mT6_P12ihipStream_tbENKUlT_T0_E_clISt17integral_constantIbLb0EESU_EEDaSP_SQ_EUlSP_E0_NS1_11comp_targetILNS1_3genE5ELNS1_11target_archE942ELNS1_3gpuE9ELNS1_3repE0EEENS1_30default_config_static_selectorELNS0_4arch9wavefront6targetE1EEEvT1_
		.amdhsa_group_segment_fixed_size 0
		.amdhsa_private_segment_fixed_size 0
		.amdhsa_kernarg_size 32
		.amdhsa_user_sgpr_count 6
		.amdhsa_user_sgpr_private_segment_buffer 1
		.amdhsa_user_sgpr_dispatch_ptr 0
		.amdhsa_user_sgpr_queue_ptr 0
		.amdhsa_user_sgpr_kernarg_segment_ptr 1
		.amdhsa_user_sgpr_dispatch_id 0
		.amdhsa_user_sgpr_flat_scratch_init 0
		.amdhsa_user_sgpr_kernarg_preload_length 0
		.amdhsa_user_sgpr_kernarg_preload_offset 0
		.amdhsa_user_sgpr_private_segment_size 0
		.amdhsa_uses_dynamic_stack 0
		.amdhsa_system_sgpr_private_segment_wavefront_offset 0
		.amdhsa_system_sgpr_workgroup_id_x 1
		.amdhsa_system_sgpr_workgroup_id_y 0
		.amdhsa_system_sgpr_workgroup_id_z 0
		.amdhsa_system_sgpr_workgroup_info 0
		.amdhsa_system_vgpr_workitem_id 0
		.amdhsa_next_free_vgpr 1
		.amdhsa_next_free_sgpr 0
		.amdhsa_accum_offset 4
		.amdhsa_reserve_vcc 0
		.amdhsa_reserve_flat_scratch 0
		.amdhsa_float_round_mode_32 0
		.amdhsa_float_round_mode_16_64 0
		.amdhsa_float_denorm_mode_32 3
		.amdhsa_float_denorm_mode_16_64 3
		.amdhsa_dx10_clamp 1
		.amdhsa_ieee_mode 1
		.amdhsa_fp16_overflow 0
		.amdhsa_tg_split 0
		.amdhsa_exception_fp_ieee_invalid_op 0
		.amdhsa_exception_fp_denorm_src 0
		.amdhsa_exception_fp_ieee_div_zero 0
		.amdhsa_exception_fp_ieee_overflow 0
		.amdhsa_exception_fp_ieee_underflow 0
		.amdhsa_exception_fp_ieee_inexact 0
		.amdhsa_exception_int_div_zero 0
	.end_amdhsa_kernel
	.section	.text._ZN7rocprim17ROCPRIM_400000_NS6detail17trampoline_kernelINS0_14default_configENS1_20scan_config_selectorIfEEZZNS1_9scan_implILNS1_25lookback_scan_determinismE0ELb0ELb0ES3_N6thrust23THRUST_200600_302600_NS6detail15normal_iteratorINS9_10device_ptrIfEEEESE_f11max_functorIfEfEEDaPvRmT3_T4_T5_mT6_P12ihipStream_tbENKUlT_T0_E_clISt17integral_constantIbLb0EESU_EEDaSP_SQ_EUlSP_E0_NS1_11comp_targetILNS1_3genE5ELNS1_11target_archE942ELNS1_3gpuE9ELNS1_3repE0EEENS1_30default_config_static_selectorELNS0_4arch9wavefront6targetE1EEEvT1_,"axG",@progbits,_ZN7rocprim17ROCPRIM_400000_NS6detail17trampoline_kernelINS0_14default_configENS1_20scan_config_selectorIfEEZZNS1_9scan_implILNS1_25lookback_scan_determinismE0ELb0ELb0ES3_N6thrust23THRUST_200600_302600_NS6detail15normal_iteratorINS9_10device_ptrIfEEEESE_f11max_functorIfEfEEDaPvRmT3_T4_T5_mT6_P12ihipStream_tbENKUlT_T0_E_clISt17integral_constantIbLb0EESU_EEDaSP_SQ_EUlSP_E0_NS1_11comp_targetILNS1_3genE5ELNS1_11target_archE942ELNS1_3gpuE9ELNS1_3repE0EEENS1_30default_config_static_selectorELNS0_4arch9wavefront6targetE1EEEvT1_,comdat
.Lfunc_end1953:
	.size	_ZN7rocprim17ROCPRIM_400000_NS6detail17trampoline_kernelINS0_14default_configENS1_20scan_config_selectorIfEEZZNS1_9scan_implILNS1_25lookback_scan_determinismE0ELb0ELb0ES3_N6thrust23THRUST_200600_302600_NS6detail15normal_iteratorINS9_10device_ptrIfEEEESE_f11max_functorIfEfEEDaPvRmT3_T4_T5_mT6_P12ihipStream_tbENKUlT_T0_E_clISt17integral_constantIbLb0EESU_EEDaSP_SQ_EUlSP_E0_NS1_11comp_targetILNS1_3genE5ELNS1_11target_archE942ELNS1_3gpuE9ELNS1_3repE0EEENS1_30default_config_static_selectorELNS0_4arch9wavefront6targetE1EEEvT1_, .Lfunc_end1953-_ZN7rocprim17ROCPRIM_400000_NS6detail17trampoline_kernelINS0_14default_configENS1_20scan_config_selectorIfEEZZNS1_9scan_implILNS1_25lookback_scan_determinismE0ELb0ELb0ES3_N6thrust23THRUST_200600_302600_NS6detail15normal_iteratorINS9_10device_ptrIfEEEESE_f11max_functorIfEfEEDaPvRmT3_T4_T5_mT6_P12ihipStream_tbENKUlT_T0_E_clISt17integral_constantIbLb0EESU_EEDaSP_SQ_EUlSP_E0_NS1_11comp_targetILNS1_3genE5ELNS1_11target_archE942ELNS1_3gpuE9ELNS1_3repE0EEENS1_30default_config_static_selectorELNS0_4arch9wavefront6targetE1EEEvT1_
                                        ; -- End function
	.section	.AMDGPU.csdata,"",@progbits
; Kernel info:
; codeLenInByte = 0
; NumSgprs: 4
; NumVgprs: 0
; NumAgprs: 0
; TotalNumVgprs: 0
; ScratchSize: 0
; MemoryBound: 0
; FloatMode: 240
; IeeeMode: 1
; LDSByteSize: 0 bytes/workgroup (compile time only)
; SGPRBlocks: 0
; VGPRBlocks: 0
; NumSGPRsForWavesPerEU: 4
; NumVGPRsForWavesPerEU: 1
; AccumOffset: 4
; Occupancy: 8
; WaveLimiterHint : 0
; COMPUTE_PGM_RSRC2:SCRATCH_EN: 0
; COMPUTE_PGM_RSRC2:USER_SGPR: 6
; COMPUTE_PGM_RSRC2:TRAP_HANDLER: 0
; COMPUTE_PGM_RSRC2:TGID_X_EN: 1
; COMPUTE_PGM_RSRC2:TGID_Y_EN: 0
; COMPUTE_PGM_RSRC2:TGID_Z_EN: 0
; COMPUTE_PGM_RSRC2:TIDIG_COMP_CNT: 0
; COMPUTE_PGM_RSRC3_GFX90A:ACCUM_OFFSET: 0
; COMPUTE_PGM_RSRC3_GFX90A:TG_SPLIT: 0
	.section	.text._ZN7rocprim17ROCPRIM_400000_NS6detail17trampoline_kernelINS0_14default_configENS1_20scan_config_selectorIfEEZZNS1_9scan_implILNS1_25lookback_scan_determinismE0ELb0ELb0ES3_N6thrust23THRUST_200600_302600_NS6detail15normal_iteratorINS9_10device_ptrIfEEEESE_f11max_functorIfEfEEDaPvRmT3_T4_T5_mT6_P12ihipStream_tbENKUlT_T0_E_clISt17integral_constantIbLb0EESU_EEDaSP_SQ_EUlSP_E0_NS1_11comp_targetILNS1_3genE4ELNS1_11target_archE910ELNS1_3gpuE8ELNS1_3repE0EEENS1_30default_config_static_selectorELNS0_4arch9wavefront6targetE1EEEvT1_,"axG",@progbits,_ZN7rocprim17ROCPRIM_400000_NS6detail17trampoline_kernelINS0_14default_configENS1_20scan_config_selectorIfEEZZNS1_9scan_implILNS1_25lookback_scan_determinismE0ELb0ELb0ES3_N6thrust23THRUST_200600_302600_NS6detail15normal_iteratorINS9_10device_ptrIfEEEESE_f11max_functorIfEfEEDaPvRmT3_T4_T5_mT6_P12ihipStream_tbENKUlT_T0_E_clISt17integral_constantIbLb0EESU_EEDaSP_SQ_EUlSP_E0_NS1_11comp_targetILNS1_3genE4ELNS1_11target_archE910ELNS1_3gpuE8ELNS1_3repE0EEENS1_30default_config_static_selectorELNS0_4arch9wavefront6targetE1EEEvT1_,comdat
	.protected	_ZN7rocprim17ROCPRIM_400000_NS6detail17trampoline_kernelINS0_14default_configENS1_20scan_config_selectorIfEEZZNS1_9scan_implILNS1_25lookback_scan_determinismE0ELb0ELb0ES3_N6thrust23THRUST_200600_302600_NS6detail15normal_iteratorINS9_10device_ptrIfEEEESE_f11max_functorIfEfEEDaPvRmT3_T4_T5_mT6_P12ihipStream_tbENKUlT_T0_E_clISt17integral_constantIbLb0EESU_EEDaSP_SQ_EUlSP_E0_NS1_11comp_targetILNS1_3genE4ELNS1_11target_archE910ELNS1_3gpuE8ELNS1_3repE0EEENS1_30default_config_static_selectorELNS0_4arch9wavefront6targetE1EEEvT1_ ; -- Begin function _ZN7rocprim17ROCPRIM_400000_NS6detail17trampoline_kernelINS0_14default_configENS1_20scan_config_selectorIfEEZZNS1_9scan_implILNS1_25lookback_scan_determinismE0ELb0ELb0ES3_N6thrust23THRUST_200600_302600_NS6detail15normal_iteratorINS9_10device_ptrIfEEEESE_f11max_functorIfEfEEDaPvRmT3_T4_T5_mT6_P12ihipStream_tbENKUlT_T0_E_clISt17integral_constantIbLb0EESU_EEDaSP_SQ_EUlSP_E0_NS1_11comp_targetILNS1_3genE4ELNS1_11target_archE910ELNS1_3gpuE8ELNS1_3repE0EEENS1_30default_config_static_selectorELNS0_4arch9wavefront6targetE1EEEvT1_
	.globl	_ZN7rocprim17ROCPRIM_400000_NS6detail17trampoline_kernelINS0_14default_configENS1_20scan_config_selectorIfEEZZNS1_9scan_implILNS1_25lookback_scan_determinismE0ELb0ELb0ES3_N6thrust23THRUST_200600_302600_NS6detail15normal_iteratorINS9_10device_ptrIfEEEESE_f11max_functorIfEfEEDaPvRmT3_T4_T5_mT6_P12ihipStream_tbENKUlT_T0_E_clISt17integral_constantIbLb0EESU_EEDaSP_SQ_EUlSP_E0_NS1_11comp_targetILNS1_3genE4ELNS1_11target_archE910ELNS1_3gpuE8ELNS1_3repE0EEENS1_30default_config_static_selectorELNS0_4arch9wavefront6targetE1EEEvT1_
	.p2align	8
	.type	_ZN7rocprim17ROCPRIM_400000_NS6detail17trampoline_kernelINS0_14default_configENS1_20scan_config_selectorIfEEZZNS1_9scan_implILNS1_25lookback_scan_determinismE0ELb0ELb0ES3_N6thrust23THRUST_200600_302600_NS6detail15normal_iteratorINS9_10device_ptrIfEEEESE_f11max_functorIfEfEEDaPvRmT3_T4_T5_mT6_P12ihipStream_tbENKUlT_T0_E_clISt17integral_constantIbLb0EESU_EEDaSP_SQ_EUlSP_E0_NS1_11comp_targetILNS1_3genE4ELNS1_11target_archE910ELNS1_3gpuE8ELNS1_3repE0EEENS1_30default_config_static_selectorELNS0_4arch9wavefront6targetE1EEEvT1_,@function
_ZN7rocprim17ROCPRIM_400000_NS6detail17trampoline_kernelINS0_14default_configENS1_20scan_config_selectorIfEEZZNS1_9scan_implILNS1_25lookback_scan_determinismE0ELb0ELb0ES3_N6thrust23THRUST_200600_302600_NS6detail15normal_iteratorINS9_10device_ptrIfEEEESE_f11max_functorIfEfEEDaPvRmT3_T4_T5_mT6_P12ihipStream_tbENKUlT_T0_E_clISt17integral_constantIbLb0EESU_EEDaSP_SQ_EUlSP_E0_NS1_11comp_targetILNS1_3genE4ELNS1_11target_archE910ELNS1_3gpuE8ELNS1_3repE0EEENS1_30default_config_static_selectorELNS0_4arch9wavefront6targetE1EEEvT1_: ; @_ZN7rocprim17ROCPRIM_400000_NS6detail17trampoline_kernelINS0_14default_configENS1_20scan_config_selectorIfEEZZNS1_9scan_implILNS1_25lookback_scan_determinismE0ELb0ELb0ES3_N6thrust23THRUST_200600_302600_NS6detail15normal_iteratorINS9_10device_ptrIfEEEESE_f11max_functorIfEfEEDaPvRmT3_T4_T5_mT6_P12ihipStream_tbENKUlT_T0_E_clISt17integral_constantIbLb0EESU_EEDaSP_SQ_EUlSP_E0_NS1_11comp_targetILNS1_3genE4ELNS1_11target_archE910ELNS1_3gpuE8ELNS1_3repE0EEENS1_30default_config_static_selectorELNS0_4arch9wavefront6targetE1EEEvT1_
; %bb.0:
	s_load_dwordx4 s[28:31], s[4:5], 0x0
	v_lshlrev_b32_e32 v16, 2, v0
	s_waitcnt lgkmcnt(0)
	s_load_dword s31, s[28:29], 0x0
	v_cmp_gt_u32_e32 vcc, s30, v0
	s_waitcnt lgkmcnt(0)
	v_mov_b32_e32 v1, s31
	s_and_saveexec_b64 s[0:1], vcc
	s_cbranch_execz .LBB1954_2
; %bb.1:
	global_load_dword v1, v16, s[28:29]
.LBB1954_2:
	s_or_b64 exec, exec, s[0:1]
	v_or_b32_e32 v2, 0x80, v0
	v_cmp_gt_u32_e64 s[0:1], s30, v2
	v_mov_b32_e32 v2, s31
	s_and_saveexec_b64 s[2:3], s[0:1]
	s_cbranch_execz .LBB1954_4
; %bb.3:
	global_load_dword v2, v16, s[28:29] offset:512
.LBB1954_4:
	s_or_b64 exec, exec, s[2:3]
	v_or_b32_e32 v3, 0x100, v0
	v_cmp_gt_u32_e64 s[2:3], s30, v3
	v_mov_b32_e32 v3, s31
	s_and_saveexec_b64 s[6:7], s[2:3]
	s_cbranch_execz .LBB1954_6
; %bb.5:
	global_load_dword v3, v16, s[28:29] offset:1024
.LBB1954_6:
	;; [unrolled: 9-line block ×7, first 2 shown]
	s_or_b64 exec, exec, s[14:15]
	v_or_b32_e32 v10, 0x400, v0
	v_cmp_gt_u32_e64 s[14:15], s30, v10
	v_mov_b32_e32 v9, s31
	s_and_saveexec_b64 s[16:17], s[14:15]
	s_cbranch_execz .LBB1954_18
; %bb.17:
	v_lshlrev_b32_e32 v9, 2, v10
	global_load_dword v9, v9, s[28:29]
.LBB1954_18:
	s_or_b64 exec, exec, s[16:17]
	v_or_b32_e32 v11, 0x480, v0
	v_cmp_gt_u32_e64 s[16:17], s30, v11
	v_mov_b32_e32 v10, s31
	s_and_saveexec_b64 s[18:19], s[16:17]
	s_cbranch_execz .LBB1954_20
; %bb.19:
	v_lshlrev_b32_e32 v10, 2, v11
	global_load_dword v10, v10, s[28:29]
.LBB1954_20:
	;; [unrolled: 10-line block ×6, first 2 shown]
	s_or_b64 exec, exec, s[30:31]
	s_waitcnt vmcnt(0)
	ds_write2st64_b32 v16, v1, v2 offset1:2
	ds_write2st64_b32 v16, v3, v4 offset0:4 offset1:6
	ds_write2st64_b32 v16, v5, v6 offset0:8 offset1:10
	;; [unrolled: 1-line block ×6, first 2 shown]
	v_mad_u32_u24 v1, v0, 52, v16
	s_waitcnt lgkmcnt(0)
	s_barrier
	ds_read2_b64 v[2:5], v1 offset1:1
	ds_read2_b64 v[10:13], v1 offset0:2 offset1:3
	ds_read2_b64 v[6:9], v1 offset0:4 offset1:5
	ds_read_b64 v[14:15], v1 offset:48
	v_lshrrev_b32_e32 v18, 3, v0
	s_waitcnt lgkmcnt(3)
	v_cmp_lt_f32_e64 s[28:29], v2, v3
	v_cndmask_b32_e64 v17, v2, v3, s[28:29]
	v_cmp_lt_f32_e64 s[28:29], v17, v4
	v_cndmask_b32_e64 v17, v17, v4, s[28:29]
	v_cmp_lt_f32_e64 s[28:29], v17, v5
	v_cndmask_b32_e64 v17, v17, v5, s[28:29]
	s_waitcnt lgkmcnt(2)
	v_cmp_lt_f32_e64 s[28:29], v17, v10
	v_cndmask_b32_e64 v17, v17, v10, s[28:29]
	v_cmp_lt_f32_e64 s[28:29], v17, v11
	v_cndmask_b32_e64 v17, v17, v11, s[28:29]
	v_cmp_lt_f32_e64 s[28:29], v17, v12
	v_cndmask_b32_e64 v17, v17, v12, s[28:29]
	v_cmp_lt_f32_e64 s[28:29], v17, v13
	v_cndmask_b32_e64 v17, v17, v13, s[28:29]
	s_waitcnt lgkmcnt(1)
	v_cmp_lt_f32_e64 s[28:29], v17, v6
	v_cndmask_b32_e64 v17, v17, v6, s[28:29]
	;; [unrolled: 9-line block ×3, first 2 shown]
	v_cmp_lt_f32_e64 s[28:29], v17, v15
	v_and_b32_e32 v18, 12, v18
	v_cndmask_b32_e64 v17, v17, v15, s[28:29]
	v_add_u32_e32 v18, v16, v18
	v_cmp_gt_u32_e64 s[28:29], 64, v0
	s_barrier
	ds_write_b32 v18, v17
	s_waitcnt lgkmcnt(0)
	s_barrier
	s_and_saveexec_b64 s[38:39], s[28:29]
	s_cbranch_execz .LBB1954_30
; %bb.29:
	v_lshlrev_b32_e32 v18, 1, v0
	v_lshrrev_b32_e32 v19, 4, v0
	v_add_lshl_u32 v20, v19, v18, 2
	ds_read2_b32 v[18:19], v20 offset1:1
	v_mbcnt_lo_u32_b32 v21, -1, 0
	v_mbcnt_hi_u32_b32 v21, -1, v21
	v_and_b32_e32 v22, 15, v21
	v_cmp_lt_u32_e64 s[36:37], 31, v21
	s_waitcnt lgkmcnt(0)
	v_cmp_lt_f32_e64 s[28:29], v18, v19
	v_cndmask_b32_e64 v19, v18, v19, s[28:29]
	v_cmp_gt_u32_e64 s[34:35], 32, v21
	s_nop 0
	v_mov_b32_dpp v23, v19 row_shr:1 row_mask:0xf bank_mask:0xf
	v_cmp_gt_f32_e64 s[28:29], v19, v23
	v_cndmask_b32_e64 v23, v23, v19, s[28:29]
	v_cmp_eq_u32_e64 s[28:29], 0, v22
	v_cndmask_b32_e64 v19, v23, v19, s[28:29]
	; wave barrier
	s_nop 1
	v_mov_b32_dpp v23, v19 row_shr:2 row_mask:0xf bank_mask:0xf
	v_cmp_gt_f32_e64 s[28:29], v19, v23
	v_cndmask_b32_e64 v23, v23, v19, s[28:29]
	v_cmp_lt_u32_e64 s[28:29], 1, v22
	v_cndmask_b32_e64 v23, v19, v23, s[28:29]
	s_nop 1
	v_mov_b32_dpp v24, v23 row_shr:4 row_mask:0xf bank_mask:0xf
	v_cmp_gt_f32_e64 s[30:31], v23, v24
	v_cndmask_b32_e64 v24, v24, v23, s[30:31]
	v_cmp_lt_u32_e64 s[30:31], 3, v22
	v_cndmask_b32_e64 v23, v23, v24, s[30:31]
	;; [unrolled: 6-line block ×3, first 2 shown]
	v_and_b32_e32 v24, 16, v21
	s_nop 0
	v_mov_b32_dpp v23, v22 row_bcast:15 row_mask:0xf bank_mask:0xf
	v_cmp_gt_f32_e64 s[30:31], v22, v23
	v_cndmask_b32_e64 v23, v23, v22, s[30:31]
	v_cmp_ne_u32_e64 s[30:31], 0, v24
	v_cndmask_b32_e64 v22, v22, v23, s[30:31]
	s_or_b64 s[36:37], s[30:31], s[36:37]
	s_or_b64 s[28:29], s[28:29], s[36:37]
	v_mov_b32_dpp v23, v22 row_bcast:31 row_mask:0xf bank_mask:0xf
	v_cmp_gt_f32_e64 s[30:31], v22, v23
	s_or_b64 s[30:31], s[34:35], s[30:31]
	v_cndmask_b32_e64 v22, v23, v22, s[30:31]
	v_cndmask_b32_e64 v19, v19, v22, s[28:29]
	v_add_u32_e32 v22, -1, v21
	v_and_b32_e32 v23, 64, v21
	v_cmp_lt_i32_e64 s[28:29], v22, v23
	v_cndmask_b32_e64 v21, v22, v21, s[28:29]
	v_lshlrev_b32_e32 v21, 2, v21
	ds_bpermute_b32 v19, v21, v19
	s_waitcnt lgkmcnt(0)
	v_cmp_gt_f32_e64 s[28:29], v18, v19
	v_cndmask_b32_e64 v18, v19, v18, s[28:29]
	v_cmp_eq_u32_e64 s[28:29], 0, v0
	v_cndmask_b32_e64 v18, v18, v17, s[28:29]
	ds_write_b32 v20, v18
	; wave barrier
	ds_read_b32 v19, v20 offset:4
	s_waitcnt lgkmcnt(0)
	v_cmp_lt_f32_e64 s[28:29], v18, v19
	v_cndmask_b32_e64 v18, v18, v19, s[28:29]
	ds_write_b32 v20, v18 offset:4
.LBB1954_30:
	s_or_b64 exec, exec, s[38:39]
	s_load_dwordx2 s[28:29], s[4:5], 0x18
	v_cmp_ne_u32_e64 s[4:5], 0, v0
	s_waitcnt lgkmcnt(0)
	s_barrier
	s_and_saveexec_b64 s[30:31], s[4:5]
	s_cbranch_execz .LBB1954_32
; %bb.31:
	v_add_u32_e32 v17, -1, v0
	v_lshrrev_b32_e32 v18, 5, v17
	v_add_lshl_u32 v17, v18, v17, 2
	ds_read_b32 v17, v17
.LBB1954_32:
	s_or_b64 exec, exec, s[30:31]
	s_and_saveexec_b64 s[30:31], s[4:5]
	s_cbranch_execz .LBB1954_34
; %bb.33:
	s_waitcnt lgkmcnt(0)
	v_cmp_gt_f32_e64 s[4:5], v2, v17
	v_cndmask_b32_e64 v2, v17, v2, s[4:5]
	;;#ASMSTART
	;;#ASMEND
.LBB1954_34:
	s_or_b64 exec, exec, s[30:31]
	v_cmp_gt_f32_e64 s[4:5], v3, v2
	v_cndmask_b32_e64 v3, v2, v3, s[4:5]
	v_cmp_lt_f32_e64 s[4:5], v3, v4
	v_cndmask_b32_e64 v4, v3, v4, s[4:5]
	v_cmp_lt_f32_e64 s[4:5], v4, v5
	;; [unrolled: 2-line block ×12, first 2 shown]
	v_cndmask_b32_e64 v15, v14, v15, s[4:5]
	s_movk_i32 s4, 0xffcc
	v_mad_i32_i24 v0, v0, s4, v1
	s_waitcnt lgkmcnt(0)
	s_barrier
	ds_write2_b64 v1, v[2:3], v[4:5] offset1:1
	ds_write2_b64 v1, v[10:11], v[12:13] offset0:2 offset1:3
	ds_write2_b64 v1, v[6:7], v[8:9] offset0:4 offset1:5
	ds_write_b64 v1, v[14:15] offset:48
	s_waitcnt lgkmcnt(0)
	s_barrier
	ds_read2st64_b32 v[12:13], v0 offset0:2 offset1:4
	ds_read2st64_b32 v[10:11], v0 offset0:6 offset1:8
	;; [unrolled: 1-line block ×4, first 2 shown]
	ds_read_b32 v14, v16 offset:4096
	ds_read2st64_b32 v[4:5], v0 offset0:20 offset1:22
	ds_read2st64_b32 v[0:1], v0 offset0:24 offset1:26
	v_mov_b32_e32 v3, s29
	v_add_co_u32_e64 v2, s[4:5], s28, v16
	v_addc_co_u32_e64 v3, s[4:5], 0, v3, s[4:5]
	s_and_saveexec_b64 s[4:5], vcc
	s_cbranch_execnz .LBB1954_49
; %bb.35:
	s_or_b64 exec, exec, s[4:5]
	s_and_saveexec_b64 s[4:5], s[0:1]
	s_cbranch_execnz .LBB1954_50
.LBB1954_36:
	s_or_b64 exec, exec, s[4:5]
	s_and_saveexec_b64 s[0:1], s[2:3]
	s_cbranch_execnz .LBB1954_51
.LBB1954_37:
	s_or_b64 exec, exec, s[0:1]
	s_and_saveexec_b64 s[0:1], s[26:27]
	s_cbranch_execnz .LBB1954_52
.LBB1954_38:
	s_or_b64 exec, exec, s[0:1]
	s_and_saveexec_b64 s[0:1], s[6:7]
	s_cbranch_execnz .LBB1954_53
.LBB1954_39:
	s_or_b64 exec, exec, s[0:1]
	s_and_saveexec_b64 s[0:1], s[8:9]
	s_cbranch_execnz .LBB1954_54
.LBB1954_40:
	s_or_b64 exec, exec, s[0:1]
	s_and_saveexec_b64 s[0:1], s[10:11]
	s_cbranch_execnz .LBB1954_55
.LBB1954_41:
	s_or_b64 exec, exec, s[0:1]
	s_and_saveexec_b64 s[0:1], s[12:13]
	s_cbranch_execnz .LBB1954_56
.LBB1954_42:
	s_or_b64 exec, exec, s[0:1]
	s_and_saveexec_b64 s[0:1], s[14:15]
	s_cbranch_execnz .LBB1954_57
.LBB1954_43:
	s_or_b64 exec, exec, s[0:1]
	s_and_saveexec_b64 s[0:1], s[16:17]
	s_cbranch_execnz .LBB1954_58
.LBB1954_44:
	s_or_b64 exec, exec, s[0:1]
	s_and_saveexec_b64 s[0:1], s[18:19]
	s_cbranch_execnz .LBB1954_59
.LBB1954_45:
	s_or_b64 exec, exec, s[0:1]
	s_and_saveexec_b64 s[0:1], s[20:21]
	s_cbranch_execnz .LBB1954_60
.LBB1954_46:
	s_or_b64 exec, exec, s[0:1]
	s_and_saveexec_b64 s[0:1], s[22:23]
	s_cbranch_execnz .LBB1954_61
.LBB1954_47:
	s_or_b64 exec, exec, s[0:1]
	s_and_saveexec_b64 s[0:1], s[24:25]
	s_cbranch_execnz .LBB1954_62
.LBB1954_48:
	s_endpgm
.LBB1954_49:
	ds_read_b32 v15, v16
	s_waitcnt lgkmcnt(0)
	global_store_dword v[2:3], v15, off
	s_or_b64 exec, exec, s[4:5]
	s_and_saveexec_b64 s[4:5], s[0:1]
	s_cbranch_execz .LBB1954_36
.LBB1954_50:
	s_waitcnt lgkmcnt(6)
	global_store_dword v[2:3], v12, off offset:512
	s_or_b64 exec, exec, s[4:5]
	s_and_saveexec_b64 s[0:1], s[2:3]
	s_cbranch_execz .LBB1954_37
.LBB1954_51:
	s_waitcnt lgkmcnt(6)
	global_store_dword v[2:3], v13, off offset:1024
	s_or_b64 exec, exec, s[0:1]
	s_and_saveexec_b64 s[0:1], s[26:27]
	s_cbranch_execz .LBB1954_38
.LBB1954_52:
	s_waitcnt lgkmcnt(5)
	global_store_dword v[2:3], v10, off offset:1536
	s_or_b64 exec, exec, s[0:1]
	s_and_saveexec_b64 s[0:1], s[6:7]
	s_cbranch_execz .LBB1954_39
.LBB1954_53:
	s_waitcnt lgkmcnt(5)
	global_store_dword v[2:3], v11, off offset:2048
	s_or_b64 exec, exec, s[0:1]
	s_and_saveexec_b64 s[0:1], s[8:9]
	s_cbranch_execz .LBB1954_40
.LBB1954_54:
	s_waitcnt lgkmcnt(4)
	global_store_dword v[2:3], v8, off offset:2560
	s_or_b64 exec, exec, s[0:1]
	s_and_saveexec_b64 s[0:1], s[10:11]
	s_cbranch_execz .LBB1954_41
.LBB1954_55:
	s_waitcnt lgkmcnt(4)
	global_store_dword v[2:3], v9, off offset:3072
	s_or_b64 exec, exec, s[0:1]
	s_and_saveexec_b64 s[0:1], s[12:13]
	s_cbranch_execz .LBB1954_42
.LBB1954_56:
	s_waitcnt lgkmcnt(3)
	global_store_dword v[2:3], v6, off offset:3584
	s_or_b64 exec, exec, s[0:1]
	s_and_saveexec_b64 s[0:1], s[14:15]
	s_cbranch_execz .LBB1954_43
.LBB1954_57:
	s_waitcnt lgkmcnt(4)
	v_add_co_u32_e32 v8, vcc, 0x1000, v2
	v_addc_co_u32_e32 v9, vcc, 0, v3, vcc
	s_waitcnt lgkmcnt(2)
	global_store_dword v[8:9], v14, off
	s_or_b64 exec, exec, s[0:1]
	s_and_saveexec_b64 s[0:1], s[16:17]
	s_cbranch_execz .LBB1954_44
.LBB1954_58:
	s_waitcnt lgkmcnt(4)
	v_add_co_u32_e32 v8, vcc, 0x1000, v2
	v_addc_co_u32_e32 v9, vcc, 0, v3, vcc
	s_waitcnt lgkmcnt(3)
	global_store_dword v[8:9], v7, off offset:512
	s_or_b64 exec, exec, s[0:1]
	s_and_saveexec_b64 s[0:1], s[18:19]
	s_cbranch_execz .LBB1954_45
.LBB1954_59:
	s_waitcnt lgkmcnt(3)
	v_add_co_u32_e32 v6, vcc, 0x1000, v2
	v_addc_co_u32_e32 v7, vcc, 0, v3, vcc
	s_waitcnt lgkmcnt(1)
	global_store_dword v[6:7], v4, off offset:1024
	s_or_b64 exec, exec, s[0:1]
	s_and_saveexec_b64 s[0:1], s[20:21]
	s_cbranch_execz .LBB1954_46
.LBB1954_60:
	s_waitcnt lgkmcnt(3)
	v_add_co_u32_e32 v6, vcc, 0x1000, v2
	v_addc_co_u32_e32 v7, vcc, 0, v3, vcc
	s_waitcnt lgkmcnt(1)
	global_store_dword v[6:7], v5, off offset:1536
	s_or_b64 exec, exec, s[0:1]
	s_and_saveexec_b64 s[0:1], s[22:23]
	s_cbranch_execz .LBB1954_47
.LBB1954_61:
	s_waitcnt lgkmcnt(1)
	v_add_co_u32_e32 v4, vcc, 0x1000, v2
	v_addc_co_u32_e32 v5, vcc, 0, v3, vcc
	s_waitcnt lgkmcnt(0)
	global_store_dword v[4:5], v0, off offset:2048
	s_or_b64 exec, exec, s[0:1]
	s_and_saveexec_b64 s[0:1], s[24:25]
	s_cbranch_execz .LBB1954_48
.LBB1954_62:
	v_add_co_u32_e32 v2, vcc, 0x1000, v2
	v_addc_co_u32_e32 v3, vcc, 0, v3, vcc
	s_waitcnt lgkmcnt(0)
	global_store_dword v[2:3], v1, off offset:2560
	s_endpgm
	.section	.rodata,"a",@progbits
	.p2align	6, 0x0
	.amdhsa_kernel _ZN7rocprim17ROCPRIM_400000_NS6detail17trampoline_kernelINS0_14default_configENS1_20scan_config_selectorIfEEZZNS1_9scan_implILNS1_25lookback_scan_determinismE0ELb0ELb0ES3_N6thrust23THRUST_200600_302600_NS6detail15normal_iteratorINS9_10device_ptrIfEEEESE_f11max_functorIfEfEEDaPvRmT3_T4_T5_mT6_P12ihipStream_tbENKUlT_T0_E_clISt17integral_constantIbLb0EESU_EEDaSP_SQ_EUlSP_E0_NS1_11comp_targetILNS1_3genE4ELNS1_11target_archE910ELNS1_3gpuE8ELNS1_3repE0EEENS1_30default_config_static_selectorELNS0_4arch9wavefront6targetE1EEEvT1_
		.amdhsa_group_segment_fixed_size 7168
		.amdhsa_private_segment_fixed_size 0
		.amdhsa_kernarg_size 32
		.amdhsa_user_sgpr_count 6
		.amdhsa_user_sgpr_private_segment_buffer 1
		.amdhsa_user_sgpr_dispatch_ptr 0
		.amdhsa_user_sgpr_queue_ptr 0
		.amdhsa_user_sgpr_kernarg_segment_ptr 1
		.amdhsa_user_sgpr_dispatch_id 0
		.amdhsa_user_sgpr_flat_scratch_init 0
		.amdhsa_user_sgpr_kernarg_preload_length 0
		.amdhsa_user_sgpr_kernarg_preload_offset 0
		.amdhsa_user_sgpr_private_segment_size 0
		.amdhsa_uses_dynamic_stack 0
		.amdhsa_system_sgpr_private_segment_wavefront_offset 0
		.amdhsa_system_sgpr_workgroup_id_x 1
		.amdhsa_system_sgpr_workgroup_id_y 0
		.amdhsa_system_sgpr_workgroup_id_z 0
		.amdhsa_system_sgpr_workgroup_info 0
		.amdhsa_system_vgpr_workitem_id 0
		.amdhsa_next_free_vgpr 25
		.amdhsa_next_free_sgpr 40
		.amdhsa_accum_offset 28
		.amdhsa_reserve_vcc 1
		.amdhsa_reserve_flat_scratch 0
		.amdhsa_float_round_mode_32 0
		.amdhsa_float_round_mode_16_64 0
		.amdhsa_float_denorm_mode_32 3
		.amdhsa_float_denorm_mode_16_64 3
		.amdhsa_dx10_clamp 1
		.amdhsa_ieee_mode 1
		.amdhsa_fp16_overflow 0
		.amdhsa_tg_split 0
		.amdhsa_exception_fp_ieee_invalid_op 0
		.amdhsa_exception_fp_denorm_src 0
		.amdhsa_exception_fp_ieee_div_zero 0
		.amdhsa_exception_fp_ieee_overflow 0
		.amdhsa_exception_fp_ieee_underflow 0
		.amdhsa_exception_fp_ieee_inexact 0
		.amdhsa_exception_int_div_zero 0
	.end_amdhsa_kernel
	.section	.text._ZN7rocprim17ROCPRIM_400000_NS6detail17trampoline_kernelINS0_14default_configENS1_20scan_config_selectorIfEEZZNS1_9scan_implILNS1_25lookback_scan_determinismE0ELb0ELb0ES3_N6thrust23THRUST_200600_302600_NS6detail15normal_iteratorINS9_10device_ptrIfEEEESE_f11max_functorIfEfEEDaPvRmT3_T4_T5_mT6_P12ihipStream_tbENKUlT_T0_E_clISt17integral_constantIbLb0EESU_EEDaSP_SQ_EUlSP_E0_NS1_11comp_targetILNS1_3genE4ELNS1_11target_archE910ELNS1_3gpuE8ELNS1_3repE0EEENS1_30default_config_static_selectorELNS0_4arch9wavefront6targetE1EEEvT1_,"axG",@progbits,_ZN7rocprim17ROCPRIM_400000_NS6detail17trampoline_kernelINS0_14default_configENS1_20scan_config_selectorIfEEZZNS1_9scan_implILNS1_25lookback_scan_determinismE0ELb0ELb0ES3_N6thrust23THRUST_200600_302600_NS6detail15normal_iteratorINS9_10device_ptrIfEEEESE_f11max_functorIfEfEEDaPvRmT3_T4_T5_mT6_P12ihipStream_tbENKUlT_T0_E_clISt17integral_constantIbLb0EESU_EEDaSP_SQ_EUlSP_E0_NS1_11comp_targetILNS1_3genE4ELNS1_11target_archE910ELNS1_3gpuE8ELNS1_3repE0EEENS1_30default_config_static_selectorELNS0_4arch9wavefront6targetE1EEEvT1_,comdat
.Lfunc_end1954:
	.size	_ZN7rocprim17ROCPRIM_400000_NS6detail17trampoline_kernelINS0_14default_configENS1_20scan_config_selectorIfEEZZNS1_9scan_implILNS1_25lookback_scan_determinismE0ELb0ELb0ES3_N6thrust23THRUST_200600_302600_NS6detail15normal_iteratorINS9_10device_ptrIfEEEESE_f11max_functorIfEfEEDaPvRmT3_T4_T5_mT6_P12ihipStream_tbENKUlT_T0_E_clISt17integral_constantIbLb0EESU_EEDaSP_SQ_EUlSP_E0_NS1_11comp_targetILNS1_3genE4ELNS1_11target_archE910ELNS1_3gpuE8ELNS1_3repE0EEENS1_30default_config_static_selectorELNS0_4arch9wavefront6targetE1EEEvT1_, .Lfunc_end1954-_ZN7rocprim17ROCPRIM_400000_NS6detail17trampoline_kernelINS0_14default_configENS1_20scan_config_selectorIfEEZZNS1_9scan_implILNS1_25lookback_scan_determinismE0ELb0ELb0ES3_N6thrust23THRUST_200600_302600_NS6detail15normal_iteratorINS9_10device_ptrIfEEEESE_f11max_functorIfEfEEDaPvRmT3_T4_T5_mT6_P12ihipStream_tbENKUlT_T0_E_clISt17integral_constantIbLb0EESU_EEDaSP_SQ_EUlSP_E0_NS1_11comp_targetILNS1_3genE4ELNS1_11target_archE910ELNS1_3gpuE8ELNS1_3repE0EEENS1_30default_config_static_selectorELNS0_4arch9wavefront6targetE1EEEvT1_
                                        ; -- End function
	.section	.AMDGPU.csdata,"",@progbits
; Kernel info:
; codeLenInByte = 2480
; NumSgprs: 44
; NumVgprs: 25
; NumAgprs: 0
; TotalNumVgprs: 25
; ScratchSize: 0
; MemoryBound: 0
; FloatMode: 240
; IeeeMode: 1
; LDSByteSize: 7168 bytes/workgroup (compile time only)
; SGPRBlocks: 5
; VGPRBlocks: 3
; NumSGPRsForWavesPerEU: 44
; NumVGPRsForWavesPerEU: 25
; AccumOffset: 28
; Occupancy: 5
; WaveLimiterHint : 0
; COMPUTE_PGM_RSRC2:SCRATCH_EN: 0
; COMPUTE_PGM_RSRC2:USER_SGPR: 6
; COMPUTE_PGM_RSRC2:TRAP_HANDLER: 0
; COMPUTE_PGM_RSRC2:TGID_X_EN: 1
; COMPUTE_PGM_RSRC2:TGID_Y_EN: 0
; COMPUTE_PGM_RSRC2:TGID_Z_EN: 0
; COMPUTE_PGM_RSRC2:TIDIG_COMP_CNT: 0
; COMPUTE_PGM_RSRC3_GFX90A:ACCUM_OFFSET: 6
; COMPUTE_PGM_RSRC3_GFX90A:TG_SPLIT: 0
	.section	.text._ZN7rocprim17ROCPRIM_400000_NS6detail17trampoline_kernelINS0_14default_configENS1_20scan_config_selectorIfEEZZNS1_9scan_implILNS1_25lookback_scan_determinismE0ELb0ELb0ES3_N6thrust23THRUST_200600_302600_NS6detail15normal_iteratorINS9_10device_ptrIfEEEESE_f11max_functorIfEfEEDaPvRmT3_T4_T5_mT6_P12ihipStream_tbENKUlT_T0_E_clISt17integral_constantIbLb0EESU_EEDaSP_SQ_EUlSP_E0_NS1_11comp_targetILNS1_3genE3ELNS1_11target_archE908ELNS1_3gpuE7ELNS1_3repE0EEENS1_30default_config_static_selectorELNS0_4arch9wavefront6targetE1EEEvT1_,"axG",@progbits,_ZN7rocprim17ROCPRIM_400000_NS6detail17trampoline_kernelINS0_14default_configENS1_20scan_config_selectorIfEEZZNS1_9scan_implILNS1_25lookback_scan_determinismE0ELb0ELb0ES3_N6thrust23THRUST_200600_302600_NS6detail15normal_iteratorINS9_10device_ptrIfEEEESE_f11max_functorIfEfEEDaPvRmT3_T4_T5_mT6_P12ihipStream_tbENKUlT_T0_E_clISt17integral_constantIbLb0EESU_EEDaSP_SQ_EUlSP_E0_NS1_11comp_targetILNS1_3genE3ELNS1_11target_archE908ELNS1_3gpuE7ELNS1_3repE0EEENS1_30default_config_static_selectorELNS0_4arch9wavefront6targetE1EEEvT1_,comdat
	.protected	_ZN7rocprim17ROCPRIM_400000_NS6detail17trampoline_kernelINS0_14default_configENS1_20scan_config_selectorIfEEZZNS1_9scan_implILNS1_25lookback_scan_determinismE0ELb0ELb0ES3_N6thrust23THRUST_200600_302600_NS6detail15normal_iteratorINS9_10device_ptrIfEEEESE_f11max_functorIfEfEEDaPvRmT3_T4_T5_mT6_P12ihipStream_tbENKUlT_T0_E_clISt17integral_constantIbLb0EESU_EEDaSP_SQ_EUlSP_E0_NS1_11comp_targetILNS1_3genE3ELNS1_11target_archE908ELNS1_3gpuE7ELNS1_3repE0EEENS1_30default_config_static_selectorELNS0_4arch9wavefront6targetE1EEEvT1_ ; -- Begin function _ZN7rocprim17ROCPRIM_400000_NS6detail17trampoline_kernelINS0_14default_configENS1_20scan_config_selectorIfEEZZNS1_9scan_implILNS1_25lookback_scan_determinismE0ELb0ELb0ES3_N6thrust23THRUST_200600_302600_NS6detail15normal_iteratorINS9_10device_ptrIfEEEESE_f11max_functorIfEfEEDaPvRmT3_T4_T5_mT6_P12ihipStream_tbENKUlT_T0_E_clISt17integral_constantIbLb0EESU_EEDaSP_SQ_EUlSP_E0_NS1_11comp_targetILNS1_3genE3ELNS1_11target_archE908ELNS1_3gpuE7ELNS1_3repE0EEENS1_30default_config_static_selectorELNS0_4arch9wavefront6targetE1EEEvT1_
	.globl	_ZN7rocprim17ROCPRIM_400000_NS6detail17trampoline_kernelINS0_14default_configENS1_20scan_config_selectorIfEEZZNS1_9scan_implILNS1_25lookback_scan_determinismE0ELb0ELb0ES3_N6thrust23THRUST_200600_302600_NS6detail15normal_iteratorINS9_10device_ptrIfEEEESE_f11max_functorIfEfEEDaPvRmT3_T4_T5_mT6_P12ihipStream_tbENKUlT_T0_E_clISt17integral_constantIbLb0EESU_EEDaSP_SQ_EUlSP_E0_NS1_11comp_targetILNS1_3genE3ELNS1_11target_archE908ELNS1_3gpuE7ELNS1_3repE0EEENS1_30default_config_static_selectorELNS0_4arch9wavefront6targetE1EEEvT1_
	.p2align	8
	.type	_ZN7rocprim17ROCPRIM_400000_NS6detail17trampoline_kernelINS0_14default_configENS1_20scan_config_selectorIfEEZZNS1_9scan_implILNS1_25lookback_scan_determinismE0ELb0ELb0ES3_N6thrust23THRUST_200600_302600_NS6detail15normal_iteratorINS9_10device_ptrIfEEEESE_f11max_functorIfEfEEDaPvRmT3_T4_T5_mT6_P12ihipStream_tbENKUlT_T0_E_clISt17integral_constantIbLb0EESU_EEDaSP_SQ_EUlSP_E0_NS1_11comp_targetILNS1_3genE3ELNS1_11target_archE908ELNS1_3gpuE7ELNS1_3repE0EEENS1_30default_config_static_selectorELNS0_4arch9wavefront6targetE1EEEvT1_,@function
_ZN7rocprim17ROCPRIM_400000_NS6detail17trampoline_kernelINS0_14default_configENS1_20scan_config_selectorIfEEZZNS1_9scan_implILNS1_25lookback_scan_determinismE0ELb0ELb0ES3_N6thrust23THRUST_200600_302600_NS6detail15normal_iteratorINS9_10device_ptrIfEEEESE_f11max_functorIfEfEEDaPvRmT3_T4_T5_mT6_P12ihipStream_tbENKUlT_T0_E_clISt17integral_constantIbLb0EESU_EEDaSP_SQ_EUlSP_E0_NS1_11comp_targetILNS1_3genE3ELNS1_11target_archE908ELNS1_3gpuE7ELNS1_3repE0EEENS1_30default_config_static_selectorELNS0_4arch9wavefront6targetE1EEEvT1_: ; @_ZN7rocprim17ROCPRIM_400000_NS6detail17trampoline_kernelINS0_14default_configENS1_20scan_config_selectorIfEEZZNS1_9scan_implILNS1_25lookback_scan_determinismE0ELb0ELb0ES3_N6thrust23THRUST_200600_302600_NS6detail15normal_iteratorINS9_10device_ptrIfEEEESE_f11max_functorIfEfEEDaPvRmT3_T4_T5_mT6_P12ihipStream_tbENKUlT_T0_E_clISt17integral_constantIbLb0EESU_EEDaSP_SQ_EUlSP_E0_NS1_11comp_targetILNS1_3genE3ELNS1_11target_archE908ELNS1_3gpuE7ELNS1_3repE0EEENS1_30default_config_static_selectorELNS0_4arch9wavefront6targetE1EEEvT1_
; %bb.0:
	.section	.rodata,"a",@progbits
	.p2align	6, 0x0
	.amdhsa_kernel _ZN7rocprim17ROCPRIM_400000_NS6detail17trampoline_kernelINS0_14default_configENS1_20scan_config_selectorIfEEZZNS1_9scan_implILNS1_25lookback_scan_determinismE0ELb0ELb0ES3_N6thrust23THRUST_200600_302600_NS6detail15normal_iteratorINS9_10device_ptrIfEEEESE_f11max_functorIfEfEEDaPvRmT3_T4_T5_mT6_P12ihipStream_tbENKUlT_T0_E_clISt17integral_constantIbLb0EESU_EEDaSP_SQ_EUlSP_E0_NS1_11comp_targetILNS1_3genE3ELNS1_11target_archE908ELNS1_3gpuE7ELNS1_3repE0EEENS1_30default_config_static_selectorELNS0_4arch9wavefront6targetE1EEEvT1_
		.amdhsa_group_segment_fixed_size 0
		.amdhsa_private_segment_fixed_size 0
		.amdhsa_kernarg_size 32
		.amdhsa_user_sgpr_count 6
		.amdhsa_user_sgpr_private_segment_buffer 1
		.amdhsa_user_sgpr_dispatch_ptr 0
		.amdhsa_user_sgpr_queue_ptr 0
		.amdhsa_user_sgpr_kernarg_segment_ptr 1
		.amdhsa_user_sgpr_dispatch_id 0
		.amdhsa_user_sgpr_flat_scratch_init 0
		.amdhsa_user_sgpr_kernarg_preload_length 0
		.amdhsa_user_sgpr_kernarg_preload_offset 0
		.amdhsa_user_sgpr_private_segment_size 0
		.amdhsa_uses_dynamic_stack 0
		.amdhsa_system_sgpr_private_segment_wavefront_offset 0
		.amdhsa_system_sgpr_workgroup_id_x 1
		.amdhsa_system_sgpr_workgroup_id_y 0
		.amdhsa_system_sgpr_workgroup_id_z 0
		.amdhsa_system_sgpr_workgroup_info 0
		.amdhsa_system_vgpr_workitem_id 0
		.amdhsa_next_free_vgpr 1
		.amdhsa_next_free_sgpr 0
		.amdhsa_accum_offset 4
		.amdhsa_reserve_vcc 0
		.amdhsa_reserve_flat_scratch 0
		.amdhsa_float_round_mode_32 0
		.amdhsa_float_round_mode_16_64 0
		.amdhsa_float_denorm_mode_32 3
		.amdhsa_float_denorm_mode_16_64 3
		.amdhsa_dx10_clamp 1
		.amdhsa_ieee_mode 1
		.amdhsa_fp16_overflow 0
		.amdhsa_tg_split 0
		.amdhsa_exception_fp_ieee_invalid_op 0
		.amdhsa_exception_fp_denorm_src 0
		.amdhsa_exception_fp_ieee_div_zero 0
		.amdhsa_exception_fp_ieee_overflow 0
		.amdhsa_exception_fp_ieee_underflow 0
		.amdhsa_exception_fp_ieee_inexact 0
		.amdhsa_exception_int_div_zero 0
	.end_amdhsa_kernel
	.section	.text._ZN7rocprim17ROCPRIM_400000_NS6detail17trampoline_kernelINS0_14default_configENS1_20scan_config_selectorIfEEZZNS1_9scan_implILNS1_25lookback_scan_determinismE0ELb0ELb0ES3_N6thrust23THRUST_200600_302600_NS6detail15normal_iteratorINS9_10device_ptrIfEEEESE_f11max_functorIfEfEEDaPvRmT3_T4_T5_mT6_P12ihipStream_tbENKUlT_T0_E_clISt17integral_constantIbLb0EESU_EEDaSP_SQ_EUlSP_E0_NS1_11comp_targetILNS1_3genE3ELNS1_11target_archE908ELNS1_3gpuE7ELNS1_3repE0EEENS1_30default_config_static_selectorELNS0_4arch9wavefront6targetE1EEEvT1_,"axG",@progbits,_ZN7rocprim17ROCPRIM_400000_NS6detail17trampoline_kernelINS0_14default_configENS1_20scan_config_selectorIfEEZZNS1_9scan_implILNS1_25lookback_scan_determinismE0ELb0ELb0ES3_N6thrust23THRUST_200600_302600_NS6detail15normal_iteratorINS9_10device_ptrIfEEEESE_f11max_functorIfEfEEDaPvRmT3_T4_T5_mT6_P12ihipStream_tbENKUlT_T0_E_clISt17integral_constantIbLb0EESU_EEDaSP_SQ_EUlSP_E0_NS1_11comp_targetILNS1_3genE3ELNS1_11target_archE908ELNS1_3gpuE7ELNS1_3repE0EEENS1_30default_config_static_selectorELNS0_4arch9wavefront6targetE1EEEvT1_,comdat
.Lfunc_end1955:
	.size	_ZN7rocprim17ROCPRIM_400000_NS6detail17trampoline_kernelINS0_14default_configENS1_20scan_config_selectorIfEEZZNS1_9scan_implILNS1_25lookback_scan_determinismE0ELb0ELb0ES3_N6thrust23THRUST_200600_302600_NS6detail15normal_iteratorINS9_10device_ptrIfEEEESE_f11max_functorIfEfEEDaPvRmT3_T4_T5_mT6_P12ihipStream_tbENKUlT_T0_E_clISt17integral_constantIbLb0EESU_EEDaSP_SQ_EUlSP_E0_NS1_11comp_targetILNS1_3genE3ELNS1_11target_archE908ELNS1_3gpuE7ELNS1_3repE0EEENS1_30default_config_static_selectorELNS0_4arch9wavefront6targetE1EEEvT1_, .Lfunc_end1955-_ZN7rocprim17ROCPRIM_400000_NS6detail17trampoline_kernelINS0_14default_configENS1_20scan_config_selectorIfEEZZNS1_9scan_implILNS1_25lookback_scan_determinismE0ELb0ELb0ES3_N6thrust23THRUST_200600_302600_NS6detail15normal_iteratorINS9_10device_ptrIfEEEESE_f11max_functorIfEfEEDaPvRmT3_T4_T5_mT6_P12ihipStream_tbENKUlT_T0_E_clISt17integral_constantIbLb0EESU_EEDaSP_SQ_EUlSP_E0_NS1_11comp_targetILNS1_3genE3ELNS1_11target_archE908ELNS1_3gpuE7ELNS1_3repE0EEENS1_30default_config_static_selectorELNS0_4arch9wavefront6targetE1EEEvT1_
                                        ; -- End function
	.section	.AMDGPU.csdata,"",@progbits
; Kernel info:
; codeLenInByte = 0
; NumSgprs: 4
; NumVgprs: 0
; NumAgprs: 0
; TotalNumVgprs: 0
; ScratchSize: 0
; MemoryBound: 0
; FloatMode: 240
; IeeeMode: 1
; LDSByteSize: 0 bytes/workgroup (compile time only)
; SGPRBlocks: 0
; VGPRBlocks: 0
; NumSGPRsForWavesPerEU: 4
; NumVGPRsForWavesPerEU: 1
; AccumOffset: 4
; Occupancy: 8
; WaveLimiterHint : 0
; COMPUTE_PGM_RSRC2:SCRATCH_EN: 0
; COMPUTE_PGM_RSRC2:USER_SGPR: 6
; COMPUTE_PGM_RSRC2:TRAP_HANDLER: 0
; COMPUTE_PGM_RSRC2:TGID_X_EN: 1
; COMPUTE_PGM_RSRC2:TGID_Y_EN: 0
; COMPUTE_PGM_RSRC2:TGID_Z_EN: 0
; COMPUTE_PGM_RSRC2:TIDIG_COMP_CNT: 0
; COMPUTE_PGM_RSRC3_GFX90A:ACCUM_OFFSET: 0
; COMPUTE_PGM_RSRC3_GFX90A:TG_SPLIT: 0
	.section	.text._ZN7rocprim17ROCPRIM_400000_NS6detail17trampoline_kernelINS0_14default_configENS1_20scan_config_selectorIfEEZZNS1_9scan_implILNS1_25lookback_scan_determinismE0ELb0ELb0ES3_N6thrust23THRUST_200600_302600_NS6detail15normal_iteratorINS9_10device_ptrIfEEEESE_f11max_functorIfEfEEDaPvRmT3_T4_T5_mT6_P12ihipStream_tbENKUlT_T0_E_clISt17integral_constantIbLb0EESU_EEDaSP_SQ_EUlSP_E0_NS1_11comp_targetILNS1_3genE2ELNS1_11target_archE906ELNS1_3gpuE6ELNS1_3repE0EEENS1_30default_config_static_selectorELNS0_4arch9wavefront6targetE1EEEvT1_,"axG",@progbits,_ZN7rocprim17ROCPRIM_400000_NS6detail17trampoline_kernelINS0_14default_configENS1_20scan_config_selectorIfEEZZNS1_9scan_implILNS1_25lookback_scan_determinismE0ELb0ELb0ES3_N6thrust23THRUST_200600_302600_NS6detail15normal_iteratorINS9_10device_ptrIfEEEESE_f11max_functorIfEfEEDaPvRmT3_T4_T5_mT6_P12ihipStream_tbENKUlT_T0_E_clISt17integral_constantIbLb0EESU_EEDaSP_SQ_EUlSP_E0_NS1_11comp_targetILNS1_3genE2ELNS1_11target_archE906ELNS1_3gpuE6ELNS1_3repE0EEENS1_30default_config_static_selectorELNS0_4arch9wavefront6targetE1EEEvT1_,comdat
	.protected	_ZN7rocprim17ROCPRIM_400000_NS6detail17trampoline_kernelINS0_14default_configENS1_20scan_config_selectorIfEEZZNS1_9scan_implILNS1_25lookback_scan_determinismE0ELb0ELb0ES3_N6thrust23THRUST_200600_302600_NS6detail15normal_iteratorINS9_10device_ptrIfEEEESE_f11max_functorIfEfEEDaPvRmT3_T4_T5_mT6_P12ihipStream_tbENKUlT_T0_E_clISt17integral_constantIbLb0EESU_EEDaSP_SQ_EUlSP_E0_NS1_11comp_targetILNS1_3genE2ELNS1_11target_archE906ELNS1_3gpuE6ELNS1_3repE0EEENS1_30default_config_static_selectorELNS0_4arch9wavefront6targetE1EEEvT1_ ; -- Begin function _ZN7rocprim17ROCPRIM_400000_NS6detail17trampoline_kernelINS0_14default_configENS1_20scan_config_selectorIfEEZZNS1_9scan_implILNS1_25lookback_scan_determinismE0ELb0ELb0ES3_N6thrust23THRUST_200600_302600_NS6detail15normal_iteratorINS9_10device_ptrIfEEEESE_f11max_functorIfEfEEDaPvRmT3_T4_T5_mT6_P12ihipStream_tbENKUlT_T0_E_clISt17integral_constantIbLb0EESU_EEDaSP_SQ_EUlSP_E0_NS1_11comp_targetILNS1_3genE2ELNS1_11target_archE906ELNS1_3gpuE6ELNS1_3repE0EEENS1_30default_config_static_selectorELNS0_4arch9wavefront6targetE1EEEvT1_
	.globl	_ZN7rocprim17ROCPRIM_400000_NS6detail17trampoline_kernelINS0_14default_configENS1_20scan_config_selectorIfEEZZNS1_9scan_implILNS1_25lookback_scan_determinismE0ELb0ELb0ES3_N6thrust23THRUST_200600_302600_NS6detail15normal_iteratorINS9_10device_ptrIfEEEESE_f11max_functorIfEfEEDaPvRmT3_T4_T5_mT6_P12ihipStream_tbENKUlT_T0_E_clISt17integral_constantIbLb0EESU_EEDaSP_SQ_EUlSP_E0_NS1_11comp_targetILNS1_3genE2ELNS1_11target_archE906ELNS1_3gpuE6ELNS1_3repE0EEENS1_30default_config_static_selectorELNS0_4arch9wavefront6targetE1EEEvT1_
	.p2align	8
	.type	_ZN7rocprim17ROCPRIM_400000_NS6detail17trampoline_kernelINS0_14default_configENS1_20scan_config_selectorIfEEZZNS1_9scan_implILNS1_25lookback_scan_determinismE0ELb0ELb0ES3_N6thrust23THRUST_200600_302600_NS6detail15normal_iteratorINS9_10device_ptrIfEEEESE_f11max_functorIfEfEEDaPvRmT3_T4_T5_mT6_P12ihipStream_tbENKUlT_T0_E_clISt17integral_constantIbLb0EESU_EEDaSP_SQ_EUlSP_E0_NS1_11comp_targetILNS1_3genE2ELNS1_11target_archE906ELNS1_3gpuE6ELNS1_3repE0EEENS1_30default_config_static_selectorELNS0_4arch9wavefront6targetE1EEEvT1_,@function
_ZN7rocprim17ROCPRIM_400000_NS6detail17trampoline_kernelINS0_14default_configENS1_20scan_config_selectorIfEEZZNS1_9scan_implILNS1_25lookback_scan_determinismE0ELb0ELb0ES3_N6thrust23THRUST_200600_302600_NS6detail15normal_iteratorINS9_10device_ptrIfEEEESE_f11max_functorIfEfEEDaPvRmT3_T4_T5_mT6_P12ihipStream_tbENKUlT_T0_E_clISt17integral_constantIbLb0EESU_EEDaSP_SQ_EUlSP_E0_NS1_11comp_targetILNS1_3genE2ELNS1_11target_archE906ELNS1_3gpuE6ELNS1_3repE0EEENS1_30default_config_static_selectorELNS0_4arch9wavefront6targetE1EEEvT1_: ; @_ZN7rocprim17ROCPRIM_400000_NS6detail17trampoline_kernelINS0_14default_configENS1_20scan_config_selectorIfEEZZNS1_9scan_implILNS1_25lookback_scan_determinismE0ELb0ELb0ES3_N6thrust23THRUST_200600_302600_NS6detail15normal_iteratorINS9_10device_ptrIfEEEESE_f11max_functorIfEfEEDaPvRmT3_T4_T5_mT6_P12ihipStream_tbENKUlT_T0_E_clISt17integral_constantIbLb0EESU_EEDaSP_SQ_EUlSP_E0_NS1_11comp_targetILNS1_3genE2ELNS1_11target_archE906ELNS1_3gpuE6ELNS1_3repE0EEENS1_30default_config_static_selectorELNS0_4arch9wavefront6targetE1EEEvT1_
; %bb.0:
	.section	.rodata,"a",@progbits
	.p2align	6, 0x0
	.amdhsa_kernel _ZN7rocprim17ROCPRIM_400000_NS6detail17trampoline_kernelINS0_14default_configENS1_20scan_config_selectorIfEEZZNS1_9scan_implILNS1_25lookback_scan_determinismE0ELb0ELb0ES3_N6thrust23THRUST_200600_302600_NS6detail15normal_iteratorINS9_10device_ptrIfEEEESE_f11max_functorIfEfEEDaPvRmT3_T4_T5_mT6_P12ihipStream_tbENKUlT_T0_E_clISt17integral_constantIbLb0EESU_EEDaSP_SQ_EUlSP_E0_NS1_11comp_targetILNS1_3genE2ELNS1_11target_archE906ELNS1_3gpuE6ELNS1_3repE0EEENS1_30default_config_static_selectorELNS0_4arch9wavefront6targetE1EEEvT1_
		.amdhsa_group_segment_fixed_size 0
		.amdhsa_private_segment_fixed_size 0
		.amdhsa_kernarg_size 32
		.amdhsa_user_sgpr_count 6
		.amdhsa_user_sgpr_private_segment_buffer 1
		.amdhsa_user_sgpr_dispatch_ptr 0
		.amdhsa_user_sgpr_queue_ptr 0
		.amdhsa_user_sgpr_kernarg_segment_ptr 1
		.amdhsa_user_sgpr_dispatch_id 0
		.amdhsa_user_sgpr_flat_scratch_init 0
		.amdhsa_user_sgpr_kernarg_preload_length 0
		.amdhsa_user_sgpr_kernarg_preload_offset 0
		.amdhsa_user_sgpr_private_segment_size 0
		.amdhsa_uses_dynamic_stack 0
		.amdhsa_system_sgpr_private_segment_wavefront_offset 0
		.amdhsa_system_sgpr_workgroup_id_x 1
		.amdhsa_system_sgpr_workgroup_id_y 0
		.amdhsa_system_sgpr_workgroup_id_z 0
		.amdhsa_system_sgpr_workgroup_info 0
		.amdhsa_system_vgpr_workitem_id 0
		.amdhsa_next_free_vgpr 1
		.amdhsa_next_free_sgpr 0
		.amdhsa_accum_offset 4
		.amdhsa_reserve_vcc 0
		.amdhsa_reserve_flat_scratch 0
		.amdhsa_float_round_mode_32 0
		.amdhsa_float_round_mode_16_64 0
		.amdhsa_float_denorm_mode_32 3
		.amdhsa_float_denorm_mode_16_64 3
		.amdhsa_dx10_clamp 1
		.amdhsa_ieee_mode 1
		.amdhsa_fp16_overflow 0
		.amdhsa_tg_split 0
		.amdhsa_exception_fp_ieee_invalid_op 0
		.amdhsa_exception_fp_denorm_src 0
		.amdhsa_exception_fp_ieee_div_zero 0
		.amdhsa_exception_fp_ieee_overflow 0
		.amdhsa_exception_fp_ieee_underflow 0
		.amdhsa_exception_fp_ieee_inexact 0
		.amdhsa_exception_int_div_zero 0
	.end_amdhsa_kernel
	.section	.text._ZN7rocprim17ROCPRIM_400000_NS6detail17trampoline_kernelINS0_14default_configENS1_20scan_config_selectorIfEEZZNS1_9scan_implILNS1_25lookback_scan_determinismE0ELb0ELb0ES3_N6thrust23THRUST_200600_302600_NS6detail15normal_iteratorINS9_10device_ptrIfEEEESE_f11max_functorIfEfEEDaPvRmT3_T4_T5_mT6_P12ihipStream_tbENKUlT_T0_E_clISt17integral_constantIbLb0EESU_EEDaSP_SQ_EUlSP_E0_NS1_11comp_targetILNS1_3genE2ELNS1_11target_archE906ELNS1_3gpuE6ELNS1_3repE0EEENS1_30default_config_static_selectorELNS0_4arch9wavefront6targetE1EEEvT1_,"axG",@progbits,_ZN7rocprim17ROCPRIM_400000_NS6detail17trampoline_kernelINS0_14default_configENS1_20scan_config_selectorIfEEZZNS1_9scan_implILNS1_25lookback_scan_determinismE0ELb0ELb0ES3_N6thrust23THRUST_200600_302600_NS6detail15normal_iteratorINS9_10device_ptrIfEEEESE_f11max_functorIfEfEEDaPvRmT3_T4_T5_mT6_P12ihipStream_tbENKUlT_T0_E_clISt17integral_constantIbLb0EESU_EEDaSP_SQ_EUlSP_E0_NS1_11comp_targetILNS1_3genE2ELNS1_11target_archE906ELNS1_3gpuE6ELNS1_3repE0EEENS1_30default_config_static_selectorELNS0_4arch9wavefront6targetE1EEEvT1_,comdat
.Lfunc_end1956:
	.size	_ZN7rocprim17ROCPRIM_400000_NS6detail17trampoline_kernelINS0_14default_configENS1_20scan_config_selectorIfEEZZNS1_9scan_implILNS1_25lookback_scan_determinismE0ELb0ELb0ES3_N6thrust23THRUST_200600_302600_NS6detail15normal_iteratorINS9_10device_ptrIfEEEESE_f11max_functorIfEfEEDaPvRmT3_T4_T5_mT6_P12ihipStream_tbENKUlT_T0_E_clISt17integral_constantIbLb0EESU_EEDaSP_SQ_EUlSP_E0_NS1_11comp_targetILNS1_3genE2ELNS1_11target_archE906ELNS1_3gpuE6ELNS1_3repE0EEENS1_30default_config_static_selectorELNS0_4arch9wavefront6targetE1EEEvT1_, .Lfunc_end1956-_ZN7rocprim17ROCPRIM_400000_NS6detail17trampoline_kernelINS0_14default_configENS1_20scan_config_selectorIfEEZZNS1_9scan_implILNS1_25lookback_scan_determinismE0ELb0ELb0ES3_N6thrust23THRUST_200600_302600_NS6detail15normal_iteratorINS9_10device_ptrIfEEEESE_f11max_functorIfEfEEDaPvRmT3_T4_T5_mT6_P12ihipStream_tbENKUlT_T0_E_clISt17integral_constantIbLb0EESU_EEDaSP_SQ_EUlSP_E0_NS1_11comp_targetILNS1_3genE2ELNS1_11target_archE906ELNS1_3gpuE6ELNS1_3repE0EEENS1_30default_config_static_selectorELNS0_4arch9wavefront6targetE1EEEvT1_
                                        ; -- End function
	.section	.AMDGPU.csdata,"",@progbits
; Kernel info:
; codeLenInByte = 0
; NumSgprs: 4
; NumVgprs: 0
; NumAgprs: 0
; TotalNumVgprs: 0
; ScratchSize: 0
; MemoryBound: 0
; FloatMode: 240
; IeeeMode: 1
; LDSByteSize: 0 bytes/workgroup (compile time only)
; SGPRBlocks: 0
; VGPRBlocks: 0
; NumSGPRsForWavesPerEU: 4
; NumVGPRsForWavesPerEU: 1
; AccumOffset: 4
; Occupancy: 8
; WaveLimiterHint : 0
; COMPUTE_PGM_RSRC2:SCRATCH_EN: 0
; COMPUTE_PGM_RSRC2:USER_SGPR: 6
; COMPUTE_PGM_RSRC2:TRAP_HANDLER: 0
; COMPUTE_PGM_RSRC2:TGID_X_EN: 1
; COMPUTE_PGM_RSRC2:TGID_Y_EN: 0
; COMPUTE_PGM_RSRC2:TGID_Z_EN: 0
; COMPUTE_PGM_RSRC2:TIDIG_COMP_CNT: 0
; COMPUTE_PGM_RSRC3_GFX90A:ACCUM_OFFSET: 0
; COMPUTE_PGM_RSRC3_GFX90A:TG_SPLIT: 0
	.section	.text._ZN7rocprim17ROCPRIM_400000_NS6detail17trampoline_kernelINS0_14default_configENS1_20scan_config_selectorIfEEZZNS1_9scan_implILNS1_25lookback_scan_determinismE0ELb0ELb0ES3_N6thrust23THRUST_200600_302600_NS6detail15normal_iteratorINS9_10device_ptrIfEEEESE_f11max_functorIfEfEEDaPvRmT3_T4_T5_mT6_P12ihipStream_tbENKUlT_T0_E_clISt17integral_constantIbLb0EESU_EEDaSP_SQ_EUlSP_E0_NS1_11comp_targetILNS1_3genE10ELNS1_11target_archE1201ELNS1_3gpuE5ELNS1_3repE0EEENS1_30default_config_static_selectorELNS0_4arch9wavefront6targetE1EEEvT1_,"axG",@progbits,_ZN7rocprim17ROCPRIM_400000_NS6detail17trampoline_kernelINS0_14default_configENS1_20scan_config_selectorIfEEZZNS1_9scan_implILNS1_25lookback_scan_determinismE0ELb0ELb0ES3_N6thrust23THRUST_200600_302600_NS6detail15normal_iteratorINS9_10device_ptrIfEEEESE_f11max_functorIfEfEEDaPvRmT3_T4_T5_mT6_P12ihipStream_tbENKUlT_T0_E_clISt17integral_constantIbLb0EESU_EEDaSP_SQ_EUlSP_E0_NS1_11comp_targetILNS1_3genE10ELNS1_11target_archE1201ELNS1_3gpuE5ELNS1_3repE0EEENS1_30default_config_static_selectorELNS0_4arch9wavefront6targetE1EEEvT1_,comdat
	.protected	_ZN7rocprim17ROCPRIM_400000_NS6detail17trampoline_kernelINS0_14default_configENS1_20scan_config_selectorIfEEZZNS1_9scan_implILNS1_25lookback_scan_determinismE0ELb0ELb0ES3_N6thrust23THRUST_200600_302600_NS6detail15normal_iteratorINS9_10device_ptrIfEEEESE_f11max_functorIfEfEEDaPvRmT3_T4_T5_mT6_P12ihipStream_tbENKUlT_T0_E_clISt17integral_constantIbLb0EESU_EEDaSP_SQ_EUlSP_E0_NS1_11comp_targetILNS1_3genE10ELNS1_11target_archE1201ELNS1_3gpuE5ELNS1_3repE0EEENS1_30default_config_static_selectorELNS0_4arch9wavefront6targetE1EEEvT1_ ; -- Begin function _ZN7rocprim17ROCPRIM_400000_NS6detail17trampoline_kernelINS0_14default_configENS1_20scan_config_selectorIfEEZZNS1_9scan_implILNS1_25lookback_scan_determinismE0ELb0ELb0ES3_N6thrust23THRUST_200600_302600_NS6detail15normal_iteratorINS9_10device_ptrIfEEEESE_f11max_functorIfEfEEDaPvRmT3_T4_T5_mT6_P12ihipStream_tbENKUlT_T0_E_clISt17integral_constantIbLb0EESU_EEDaSP_SQ_EUlSP_E0_NS1_11comp_targetILNS1_3genE10ELNS1_11target_archE1201ELNS1_3gpuE5ELNS1_3repE0EEENS1_30default_config_static_selectorELNS0_4arch9wavefront6targetE1EEEvT1_
	.globl	_ZN7rocprim17ROCPRIM_400000_NS6detail17trampoline_kernelINS0_14default_configENS1_20scan_config_selectorIfEEZZNS1_9scan_implILNS1_25lookback_scan_determinismE0ELb0ELb0ES3_N6thrust23THRUST_200600_302600_NS6detail15normal_iteratorINS9_10device_ptrIfEEEESE_f11max_functorIfEfEEDaPvRmT3_T4_T5_mT6_P12ihipStream_tbENKUlT_T0_E_clISt17integral_constantIbLb0EESU_EEDaSP_SQ_EUlSP_E0_NS1_11comp_targetILNS1_3genE10ELNS1_11target_archE1201ELNS1_3gpuE5ELNS1_3repE0EEENS1_30default_config_static_selectorELNS0_4arch9wavefront6targetE1EEEvT1_
	.p2align	8
	.type	_ZN7rocprim17ROCPRIM_400000_NS6detail17trampoline_kernelINS0_14default_configENS1_20scan_config_selectorIfEEZZNS1_9scan_implILNS1_25lookback_scan_determinismE0ELb0ELb0ES3_N6thrust23THRUST_200600_302600_NS6detail15normal_iteratorINS9_10device_ptrIfEEEESE_f11max_functorIfEfEEDaPvRmT3_T4_T5_mT6_P12ihipStream_tbENKUlT_T0_E_clISt17integral_constantIbLb0EESU_EEDaSP_SQ_EUlSP_E0_NS1_11comp_targetILNS1_3genE10ELNS1_11target_archE1201ELNS1_3gpuE5ELNS1_3repE0EEENS1_30default_config_static_selectorELNS0_4arch9wavefront6targetE1EEEvT1_,@function
_ZN7rocprim17ROCPRIM_400000_NS6detail17trampoline_kernelINS0_14default_configENS1_20scan_config_selectorIfEEZZNS1_9scan_implILNS1_25lookback_scan_determinismE0ELb0ELb0ES3_N6thrust23THRUST_200600_302600_NS6detail15normal_iteratorINS9_10device_ptrIfEEEESE_f11max_functorIfEfEEDaPvRmT3_T4_T5_mT6_P12ihipStream_tbENKUlT_T0_E_clISt17integral_constantIbLb0EESU_EEDaSP_SQ_EUlSP_E0_NS1_11comp_targetILNS1_3genE10ELNS1_11target_archE1201ELNS1_3gpuE5ELNS1_3repE0EEENS1_30default_config_static_selectorELNS0_4arch9wavefront6targetE1EEEvT1_: ; @_ZN7rocprim17ROCPRIM_400000_NS6detail17trampoline_kernelINS0_14default_configENS1_20scan_config_selectorIfEEZZNS1_9scan_implILNS1_25lookback_scan_determinismE0ELb0ELb0ES3_N6thrust23THRUST_200600_302600_NS6detail15normal_iteratorINS9_10device_ptrIfEEEESE_f11max_functorIfEfEEDaPvRmT3_T4_T5_mT6_P12ihipStream_tbENKUlT_T0_E_clISt17integral_constantIbLb0EESU_EEDaSP_SQ_EUlSP_E0_NS1_11comp_targetILNS1_3genE10ELNS1_11target_archE1201ELNS1_3gpuE5ELNS1_3repE0EEENS1_30default_config_static_selectorELNS0_4arch9wavefront6targetE1EEEvT1_
; %bb.0:
	.section	.rodata,"a",@progbits
	.p2align	6, 0x0
	.amdhsa_kernel _ZN7rocprim17ROCPRIM_400000_NS6detail17trampoline_kernelINS0_14default_configENS1_20scan_config_selectorIfEEZZNS1_9scan_implILNS1_25lookback_scan_determinismE0ELb0ELb0ES3_N6thrust23THRUST_200600_302600_NS6detail15normal_iteratorINS9_10device_ptrIfEEEESE_f11max_functorIfEfEEDaPvRmT3_T4_T5_mT6_P12ihipStream_tbENKUlT_T0_E_clISt17integral_constantIbLb0EESU_EEDaSP_SQ_EUlSP_E0_NS1_11comp_targetILNS1_3genE10ELNS1_11target_archE1201ELNS1_3gpuE5ELNS1_3repE0EEENS1_30default_config_static_selectorELNS0_4arch9wavefront6targetE1EEEvT1_
		.amdhsa_group_segment_fixed_size 0
		.amdhsa_private_segment_fixed_size 0
		.amdhsa_kernarg_size 32
		.amdhsa_user_sgpr_count 6
		.amdhsa_user_sgpr_private_segment_buffer 1
		.amdhsa_user_sgpr_dispatch_ptr 0
		.amdhsa_user_sgpr_queue_ptr 0
		.amdhsa_user_sgpr_kernarg_segment_ptr 1
		.amdhsa_user_sgpr_dispatch_id 0
		.amdhsa_user_sgpr_flat_scratch_init 0
		.amdhsa_user_sgpr_kernarg_preload_length 0
		.amdhsa_user_sgpr_kernarg_preload_offset 0
		.amdhsa_user_sgpr_private_segment_size 0
		.amdhsa_uses_dynamic_stack 0
		.amdhsa_system_sgpr_private_segment_wavefront_offset 0
		.amdhsa_system_sgpr_workgroup_id_x 1
		.amdhsa_system_sgpr_workgroup_id_y 0
		.amdhsa_system_sgpr_workgroup_id_z 0
		.amdhsa_system_sgpr_workgroup_info 0
		.amdhsa_system_vgpr_workitem_id 0
		.amdhsa_next_free_vgpr 1
		.amdhsa_next_free_sgpr 0
		.amdhsa_accum_offset 4
		.amdhsa_reserve_vcc 0
		.amdhsa_reserve_flat_scratch 0
		.amdhsa_float_round_mode_32 0
		.amdhsa_float_round_mode_16_64 0
		.amdhsa_float_denorm_mode_32 3
		.amdhsa_float_denorm_mode_16_64 3
		.amdhsa_dx10_clamp 1
		.amdhsa_ieee_mode 1
		.amdhsa_fp16_overflow 0
		.amdhsa_tg_split 0
		.amdhsa_exception_fp_ieee_invalid_op 0
		.amdhsa_exception_fp_denorm_src 0
		.amdhsa_exception_fp_ieee_div_zero 0
		.amdhsa_exception_fp_ieee_overflow 0
		.amdhsa_exception_fp_ieee_underflow 0
		.amdhsa_exception_fp_ieee_inexact 0
		.amdhsa_exception_int_div_zero 0
	.end_amdhsa_kernel
	.section	.text._ZN7rocprim17ROCPRIM_400000_NS6detail17trampoline_kernelINS0_14default_configENS1_20scan_config_selectorIfEEZZNS1_9scan_implILNS1_25lookback_scan_determinismE0ELb0ELb0ES3_N6thrust23THRUST_200600_302600_NS6detail15normal_iteratorINS9_10device_ptrIfEEEESE_f11max_functorIfEfEEDaPvRmT3_T4_T5_mT6_P12ihipStream_tbENKUlT_T0_E_clISt17integral_constantIbLb0EESU_EEDaSP_SQ_EUlSP_E0_NS1_11comp_targetILNS1_3genE10ELNS1_11target_archE1201ELNS1_3gpuE5ELNS1_3repE0EEENS1_30default_config_static_selectorELNS0_4arch9wavefront6targetE1EEEvT1_,"axG",@progbits,_ZN7rocprim17ROCPRIM_400000_NS6detail17trampoline_kernelINS0_14default_configENS1_20scan_config_selectorIfEEZZNS1_9scan_implILNS1_25lookback_scan_determinismE0ELb0ELb0ES3_N6thrust23THRUST_200600_302600_NS6detail15normal_iteratorINS9_10device_ptrIfEEEESE_f11max_functorIfEfEEDaPvRmT3_T4_T5_mT6_P12ihipStream_tbENKUlT_T0_E_clISt17integral_constantIbLb0EESU_EEDaSP_SQ_EUlSP_E0_NS1_11comp_targetILNS1_3genE10ELNS1_11target_archE1201ELNS1_3gpuE5ELNS1_3repE0EEENS1_30default_config_static_selectorELNS0_4arch9wavefront6targetE1EEEvT1_,comdat
.Lfunc_end1957:
	.size	_ZN7rocprim17ROCPRIM_400000_NS6detail17trampoline_kernelINS0_14default_configENS1_20scan_config_selectorIfEEZZNS1_9scan_implILNS1_25lookback_scan_determinismE0ELb0ELb0ES3_N6thrust23THRUST_200600_302600_NS6detail15normal_iteratorINS9_10device_ptrIfEEEESE_f11max_functorIfEfEEDaPvRmT3_T4_T5_mT6_P12ihipStream_tbENKUlT_T0_E_clISt17integral_constantIbLb0EESU_EEDaSP_SQ_EUlSP_E0_NS1_11comp_targetILNS1_3genE10ELNS1_11target_archE1201ELNS1_3gpuE5ELNS1_3repE0EEENS1_30default_config_static_selectorELNS0_4arch9wavefront6targetE1EEEvT1_, .Lfunc_end1957-_ZN7rocprim17ROCPRIM_400000_NS6detail17trampoline_kernelINS0_14default_configENS1_20scan_config_selectorIfEEZZNS1_9scan_implILNS1_25lookback_scan_determinismE0ELb0ELb0ES3_N6thrust23THRUST_200600_302600_NS6detail15normal_iteratorINS9_10device_ptrIfEEEESE_f11max_functorIfEfEEDaPvRmT3_T4_T5_mT6_P12ihipStream_tbENKUlT_T0_E_clISt17integral_constantIbLb0EESU_EEDaSP_SQ_EUlSP_E0_NS1_11comp_targetILNS1_3genE10ELNS1_11target_archE1201ELNS1_3gpuE5ELNS1_3repE0EEENS1_30default_config_static_selectorELNS0_4arch9wavefront6targetE1EEEvT1_
                                        ; -- End function
	.section	.AMDGPU.csdata,"",@progbits
; Kernel info:
; codeLenInByte = 0
; NumSgprs: 4
; NumVgprs: 0
; NumAgprs: 0
; TotalNumVgprs: 0
; ScratchSize: 0
; MemoryBound: 0
; FloatMode: 240
; IeeeMode: 1
; LDSByteSize: 0 bytes/workgroup (compile time only)
; SGPRBlocks: 0
; VGPRBlocks: 0
; NumSGPRsForWavesPerEU: 4
; NumVGPRsForWavesPerEU: 1
; AccumOffset: 4
; Occupancy: 8
; WaveLimiterHint : 0
; COMPUTE_PGM_RSRC2:SCRATCH_EN: 0
; COMPUTE_PGM_RSRC2:USER_SGPR: 6
; COMPUTE_PGM_RSRC2:TRAP_HANDLER: 0
; COMPUTE_PGM_RSRC2:TGID_X_EN: 1
; COMPUTE_PGM_RSRC2:TGID_Y_EN: 0
; COMPUTE_PGM_RSRC2:TGID_Z_EN: 0
; COMPUTE_PGM_RSRC2:TIDIG_COMP_CNT: 0
; COMPUTE_PGM_RSRC3_GFX90A:ACCUM_OFFSET: 0
; COMPUTE_PGM_RSRC3_GFX90A:TG_SPLIT: 0
	.section	.text._ZN7rocprim17ROCPRIM_400000_NS6detail17trampoline_kernelINS0_14default_configENS1_20scan_config_selectorIfEEZZNS1_9scan_implILNS1_25lookback_scan_determinismE0ELb0ELb0ES3_N6thrust23THRUST_200600_302600_NS6detail15normal_iteratorINS9_10device_ptrIfEEEESE_f11max_functorIfEfEEDaPvRmT3_T4_T5_mT6_P12ihipStream_tbENKUlT_T0_E_clISt17integral_constantIbLb0EESU_EEDaSP_SQ_EUlSP_E0_NS1_11comp_targetILNS1_3genE10ELNS1_11target_archE1200ELNS1_3gpuE4ELNS1_3repE0EEENS1_30default_config_static_selectorELNS0_4arch9wavefront6targetE1EEEvT1_,"axG",@progbits,_ZN7rocprim17ROCPRIM_400000_NS6detail17trampoline_kernelINS0_14default_configENS1_20scan_config_selectorIfEEZZNS1_9scan_implILNS1_25lookback_scan_determinismE0ELb0ELb0ES3_N6thrust23THRUST_200600_302600_NS6detail15normal_iteratorINS9_10device_ptrIfEEEESE_f11max_functorIfEfEEDaPvRmT3_T4_T5_mT6_P12ihipStream_tbENKUlT_T0_E_clISt17integral_constantIbLb0EESU_EEDaSP_SQ_EUlSP_E0_NS1_11comp_targetILNS1_3genE10ELNS1_11target_archE1200ELNS1_3gpuE4ELNS1_3repE0EEENS1_30default_config_static_selectorELNS0_4arch9wavefront6targetE1EEEvT1_,comdat
	.protected	_ZN7rocprim17ROCPRIM_400000_NS6detail17trampoline_kernelINS0_14default_configENS1_20scan_config_selectorIfEEZZNS1_9scan_implILNS1_25lookback_scan_determinismE0ELb0ELb0ES3_N6thrust23THRUST_200600_302600_NS6detail15normal_iteratorINS9_10device_ptrIfEEEESE_f11max_functorIfEfEEDaPvRmT3_T4_T5_mT6_P12ihipStream_tbENKUlT_T0_E_clISt17integral_constantIbLb0EESU_EEDaSP_SQ_EUlSP_E0_NS1_11comp_targetILNS1_3genE10ELNS1_11target_archE1200ELNS1_3gpuE4ELNS1_3repE0EEENS1_30default_config_static_selectorELNS0_4arch9wavefront6targetE1EEEvT1_ ; -- Begin function _ZN7rocprim17ROCPRIM_400000_NS6detail17trampoline_kernelINS0_14default_configENS1_20scan_config_selectorIfEEZZNS1_9scan_implILNS1_25lookback_scan_determinismE0ELb0ELb0ES3_N6thrust23THRUST_200600_302600_NS6detail15normal_iteratorINS9_10device_ptrIfEEEESE_f11max_functorIfEfEEDaPvRmT3_T4_T5_mT6_P12ihipStream_tbENKUlT_T0_E_clISt17integral_constantIbLb0EESU_EEDaSP_SQ_EUlSP_E0_NS1_11comp_targetILNS1_3genE10ELNS1_11target_archE1200ELNS1_3gpuE4ELNS1_3repE0EEENS1_30default_config_static_selectorELNS0_4arch9wavefront6targetE1EEEvT1_
	.globl	_ZN7rocprim17ROCPRIM_400000_NS6detail17trampoline_kernelINS0_14default_configENS1_20scan_config_selectorIfEEZZNS1_9scan_implILNS1_25lookback_scan_determinismE0ELb0ELb0ES3_N6thrust23THRUST_200600_302600_NS6detail15normal_iteratorINS9_10device_ptrIfEEEESE_f11max_functorIfEfEEDaPvRmT3_T4_T5_mT6_P12ihipStream_tbENKUlT_T0_E_clISt17integral_constantIbLb0EESU_EEDaSP_SQ_EUlSP_E0_NS1_11comp_targetILNS1_3genE10ELNS1_11target_archE1200ELNS1_3gpuE4ELNS1_3repE0EEENS1_30default_config_static_selectorELNS0_4arch9wavefront6targetE1EEEvT1_
	.p2align	8
	.type	_ZN7rocprim17ROCPRIM_400000_NS6detail17trampoline_kernelINS0_14default_configENS1_20scan_config_selectorIfEEZZNS1_9scan_implILNS1_25lookback_scan_determinismE0ELb0ELb0ES3_N6thrust23THRUST_200600_302600_NS6detail15normal_iteratorINS9_10device_ptrIfEEEESE_f11max_functorIfEfEEDaPvRmT3_T4_T5_mT6_P12ihipStream_tbENKUlT_T0_E_clISt17integral_constantIbLb0EESU_EEDaSP_SQ_EUlSP_E0_NS1_11comp_targetILNS1_3genE10ELNS1_11target_archE1200ELNS1_3gpuE4ELNS1_3repE0EEENS1_30default_config_static_selectorELNS0_4arch9wavefront6targetE1EEEvT1_,@function
_ZN7rocprim17ROCPRIM_400000_NS6detail17trampoline_kernelINS0_14default_configENS1_20scan_config_selectorIfEEZZNS1_9scan_implILNS1_25lookback_scan_determinismE0ELb0ELb0ES3_N6thrust23THRUST_200600_302600_NS6detail15normal_iteratorINS9_10device_ptrIfEEEESE_f11max_functorIfEfEEDaPvRmT3_T4_T5_mT6_P12ihipStream_tbENKUlT_T0_E_clISt17integral_constantIbLb0EESU_EEDaSP_SQ_EUlSP_E0_NS1_11comp_targetILNS1_3genE10ELNS1_11target_archE1200ELNS1_3gpuE4ELNS1_3repE0EEENS1_30default_config_static_selectorELNS0_4arch9wavefront6targetE1EEEvT1_: ; @_ZN7rocprim17ROCPRIM_400000_NS6detail17trampoline_kernelINS0_14default_configENS1_20scan_config_selectorIfEEZZNS1_9scan_implILNS1_25lookback_scan_determinismE0ELb0ELb0ES3_N6thrust23THRUST_200600_302600_NS6detail15normal_iteratorINS9_10device_ptrIfEEEESE_f11max_functorIfEfEEDaPvRmT3_T4_T5_mT6_P12ihipStream_tbENKUlT_T0_E_clISt17integral_constantIbLb0EESU_EEDaSP_SQ_EUlSP_E0_NS1_11comp_targetILNS1_3genE10ELNS1_11target_archE1200ELNS1_3gpuE4ELNS1_3repE0EEENS1_30default_config_static_selectorELNS0_4arch9wavefront6targetE1EEEvT1_
; %bb.0:
	.section	.rodata,"a",@progbits
	.p2align	6, 0x0
	.amdhsa_kernel _ZN7rocprim17ROCPRIM_400000_NS6detail17trampoline_kernelINS0_14default_configENS1_20scan_config_selectorIfEEZZNS1_9scan_implILNS1_25lookback_scan_determinismE0ELb0ELb0ES3_N6thrust23THRUST_200600_302600_NS6detail15normal_iteratorINS9_10device_ptrIfEEEESE_f11max_functorIfEfEEDaPvRmT3_T4_T5_mT6_P12ihipStream_tbENKUlT_T0_E_clISt17integral_constantIbLb0EESU_EEDaSP_SQ_EUlSP_E0_NS1_11comp_targetILNS1_3genE10ELNS1_11target_archE1200ELNS1_3gpuE4ELNS1_3repE0EEENS1_30default_config_static_selectorELNS0_4arch9wavefront6targetE1EEEvT1_
		.amdhsa_group_segment_fixed_size 0
		.amdhsa_private_segment_fixed_size 0
		.amdhsa_kernarg_size 32
		.amdhsa_user_sgpr_count 6
		.amdhsa_user_sgpr_private_segment_buffer 1
		.amdhsa_user_sgpr_dispatch_ptr 0
		.amdhsa_user_sgpr_queue_ptr 0
		.amdhsa_user_sgpr_kernarg_segment_ptr 1
		.amdhsa_user_sgpr_dispatch_id 0
		.amdhsa_user_sgpr_flat_scratch_init 0
		.amdhsa_user_sgpr_kernarg_preload_length 0
		.amdhsa_user_sgpr_kernarg_preload_offset 0
		.amdhsa_user_sgpr_private_segment_size 0
		.amdhsa_uses_dynamic_stack 0
		.amdhsa_system_sgpr_private_segment_wavefront_offset 0
		.amdhsa_system_sgpr_workgroup_id_x 1
		.amdhsa_system_sgpr_workgroup_id_y 0
		.amdhsa_system_sgpr_workgroup_id_z 0
		.amdhsa_system_sgpr_workgroup_info 0
		.amdhsa_system_vgpr_workitem_id 0
		.amdhsa_next_free_vgpr 1
		.amdhsa_next_free_sgpr 0
		.amdhsa_accum_offset 4
		.amdhsa_reserve_vcc 0
		.amdhsa_reserve_flat_scratch 0
		.amdhsa_float_round_mode_32 0
		.amdhsa_float_round_mode_16_64 0
		.amdhsa_float_denorm_mode_32 3
		.amdhsa_float_denorm_mode_16_64 3
		.amdhsa_dx10_clamp 1
		.amdhsa_ieee_mode 1
		.amdhsa_fp16_overflow 0
		.amdhsa_tg_split 0
		.amdhsa_exception_fp_ieee_invalid_op 0
		.amdhsa_exception_fp_denorm_src 0
		.amdhsa_exception_fp_ieee_div_zero 0
		.amdhsa_exception_fp_ieee_overflow 0
		.amdhsa_exception_fp_ieee_underflow 0
		.amdhsa_exception_fp_ieee_inexact 0
		.amdhsa_exception_int_div_zero 0
	.end_amdhsa_kernel
	.section	.text._ZN7rocprim17ROCPRIM_400000_NS6detail17trampoline_kernelINS0_14default_configENS1_20scan_config_selectorIfEEZZNS1_9scan_implILNS1_25lookback_scan_determinismE0ELb0ELb0ES3_N6thrust23THRUST_200600_302600_NS6detail15normal_iteratorINS9_10device_ptrIfEEEESE_f11max_functorIfEfEEDaPvRmT3_T4_T5_mT6_P12ihipStream_tbENKUlT_T0_E_clISt17integral_constantIbLb0EESU_EEDaSP_SQ_EUlSP_E0_NS1_11comp_targetILNS1_3genE10ELNS1_11target_archE1200ELNS1_3gpuE4ELNS1_3repE0EEENS1_30default_config_static_selectorELNS0_4arch9wavefront6targetE1EEEvT1_,"axG",@progbits,_ZN7rocprim17ROCPRIM_400000_NS6detail17trampoline_kernelINS0_14default_configENS1_20scan_config_selectorIfEEZZNS1_9scan_implILNS1_25lookback_scan_determinismE0ELb0ELb0ES3_N6thrust23THRUST_200600_302600_NS6detail15normal_iteratorINS9_10device_ptrIfEEEESE_f11max_functorIfEfEEDaPvRmT3_T4_T5_mT6_P12ihipStream_tbENKUlT_T0_E_clISt17integral_constantIbLb0EESU_EEDaSP_SQ_EUlSP_E0_NS1_11comp_targetILNS1_3genE10ELNS1_11target_archE1200ELNS1_3gpuE4ELNS1_3repE0EEENS1_30default_config_static_selectorELNS0_4arch9wavefront6targetE1EEEvT1_,comdat
.Lfunc_end1958:
	.size	_ZN7rocprim17ROCPRIM_400000_NS6detail17trampoline_kernelINS0_14default_configENS1_20scan_config_selectorIfEEZZNS1_9scan_implILNS1_25lookback_scan_determinismE0ELb0ELb0ES3_N6thrust23THRUST_200600_302600_NS6detail15normal_iteratorINS9_10device_ptrIfEEEESE_f11max_functorIfEfEEDaPvRmT3_T4_T5_mT6_P12ihipStream_tbENKUlT_T0_E_clISt17integral_constantIbLb0EESU_EEDaSP_SQ_EUlSP_E0_NS1_11comp_targetILNS1_3genE10ELNS1_11target_archE1200ELNS1_3gpuE4ELNS1_3repE0EEENS1_30default_config_static_selectorELNS0_4arch9wavefront6targetE1EEEvT1_, .Lfunc_end1958-_ZN7rocprim17ROCPRIM_400000_NS6detail17trampoline_kernelINS0_14default_configENS1_20scan_config_selectorIfEEZZNS1_9scan_implILNS1_25lookback_scan_determinismE0ELb0ELb0ES3_N6thrust23THRUST_200600_302600_NS6detail15normal_iteratorINS9_10device_ptrIfEEEESE_f11max_functorIfEfEEDaPvRmT3_T4_T5_mT6_P12ihipStream_tbENKUlT_T0_E_clISt17integral_constantIbLb0EESU_EEDaSP_SQ_EUlSP_E0_NS1_11comp_targetILNS1_3genE10ELNS1_11target_archE1200ELNS1_3gpuE4ELNS1_3repE0EEENS1_30default_config_static_selectorELNS0_4arch9wavefront6targetE1EEEvT1_
                                        ; -- End function
	.section	.AMDGPU.csdata,"",@progbits
; Kernel info:
; codeLenInByte = 0
; NumSgprs: 4
; NumVgprs: 0
; NumAgprs: 0
; TotalNumVgprs: 0
; ScratchSize: 0
; MemoryBound: 0
; FloatMode: 240
; IeeeMode: 1
; LDSByteSize: 0 bytes/workgroup (compile time only)
; SGPRBlocks: 0
; VGPRBlocks: 0
; NumSGPRsForWavesPerEU: 4
; NumVGPRsForWavesPerEU: 1
; AccumOffset: 4
; Occupancy: 8
; WaveLimiterHint : 0
; COMPUTE_PGM_RSRC2:SCRATCH_EN: 0
; COMPUTE_PGM_RSRC2:USER_SGPR: 6
; COMPUTE_PGM_RSRC2:TRAP_HANDLER: 0
; COMPUTE_PGM_RSRC2:TGID_X_EN: 1
; COMPUTE_PGM_RSRC2:TGID_Y_EN: 0
; COMPUTE_PGM_RSRC2:TGID_Z_EN: 0
; COMPUTE_PGM_RSRC2:TIDIG_COMP_CNT: 0
; COMPUTE_PGM_RSRC3_GFX90A:ACCUM_OFFSET: 0
; COMPUTE_PGM_RSRC3_GFX90A:TG_SPLIT: 0
	.section	.text._ZN7rocprim17ROCPRIM_400000_NS6detail17trampoline_kernelINS0_14default_configENS1_20scan_config_selectorIfEEZZNS1_9scan_implILNS1_25lookback_scan_determinismE0ELb0ELb0ES3_N6thrust23THRUST_200600_302600_NS6detail15normal_iteratorINS9_10device_ptrIfEEEESE_f11max_functorIfEfEEDaPvRmT3_T4_T5_mT6_P12ihipStream_tbENKUlT_T0_E_clISt17integral_constantIbLb0EESU_EEDaSP_SQ_EUlSP_E0_NS1_11comp_targetILNS1_3genE9ELNS1_11target_archE1100ELNS1_3gpuE3ELNS1_3repE0EEENS1_30default_config_static_selectorELNS0_4arch9wavefront6targetE1EEEvT1_,"axG",@progbits,_ZN7rocprim17ROCPRIM_400000_NS6detail17trampoline_kernelINS0_14default_configENS1_20scan_config_selectorIfEEZZNS1_9scan_implILNS1_25lookback_scan_determinismE0ELb0ELb0ES3_N6thrust23THRUST_200600_302600_NS6detail15normal_iteratorINS9_10device_ptrIfEEEESE_f11max_functorIfEfEEDaPvRmT3_T4_T5_mT6_P12ihipStream_tbENKUlT_T0_E_clISt17integral_constantIbLb0EESU_EEDaSP_SQ_EUlSP_E0_NS1_11comp_targetILNS1_3genE9ELNS1_11target_archE1100ELNS1_3gpuE3ELNS1_3repE0EEENS1_30default_config_static_selectorELNS0_4arch9wavefront6targetE1EEEvT1_,comdat
	.protected	_ZN7rocprim17ROCPRIM_400000_NS6detail17trampoline_kernelINS0_14default_configENS1_20scan_config_selectorIfEEZZNS1_9scan_implILNS1_25lookback_scan_determinismE0ELb0ELb0ES3_N6thrust23THRUST_200600_302600_NS6detail15normal_iteratorINS9_10device_ptrIfEEEESE_f11max_functorIfEfEEDaPvRmT3_T4_T5_mT6_P12ihipStream_tbENKUlT_T0_E_clISt17integral_constantIbLb0EESU_EEDaSP_SQ_EUlSP_E0_NS1_11comp_targetILNS1_3genE9ELNS1_11target_archE1100ELNS1_3gpuE3ELNS1_3repE0EEENS1_30default_config_static_selectorELNS0_4arch9wavefront6targetE1EEEvT1_ ; -- Begin function _ZN7rocprim17ROCPRIM_400000_NS6detail17trampoline_kernelINS0_14default_configENS1_20scan_config_selectorIfEEZZNS1_9scan_implILNS1_25lookback_scan_determinismE0ELb0ELb0ES3_N6thrust23THRUST_200600_302600_NS6detail15normal_iteratorINS9_10device_ptrIfEEEESE_f11max_functorIfEfEEDaPvRmT3_T4_T5_mT6_P12ihipStream_tbENKUlT_T0_E_clISt17integral_constantIbLb0EESU_EEDaSP_SQ_EUlSP_E0_NS1_11comp_targetILNS1_3genE9ELNS1_11target_archE1100ELNS1_3gpuE3ELNS1_3repE0EEENS1_30default_config_static_selectorELNS0_4arch9wavefront6targetE1EEEvT1_
	.globl	_ZN7rocprim17ROCPRIM_400000_NS6detail17trampoline_kernelINS0_14default_configENS1_20scan_config_selectorIfEEZZNS1_9scan_implILNS1_25lookback_scan_determinismE0ELb0ELb0ES3_N6thrust23THRUST_200600_302600_NS6detail15normal_iteratorINS9_10device_ptrIfEEEESE_f11max_functorIfEfEEDaPvRmT3_T4_T5_mT6_P12ihipStream_tbENKUlT_T0_E_clISt17integral_constantIbLb0EESU_EEDaSP_SQ_EUlSP_E0_NS1_11comp_targetILNS1_3genE9ELNS1_11target_archE1100ELNS1_3gpuE3ELNS1_3repE0EEENS1_30default_config_static_selectorELNS0_4arch9wavefront6targetE1EEEvT1_
	.p2align	8
	.type	_ZN7rocprim17ROCPRIM_400000_NS6detail17trampoline_kernelINS0_14default_configENS1_20scan_config_selectorIfEEZZNS1_9scan_implILNS1_25lookback_scan_determinismE0ELb0ELb0ES3_N6thrust23THRUST_200600_302600_NS6detail15normal_iteratorINS9_10device_ptrIfEEEESE_f11max_functorIfEfEEDaPvRmT3_T4_T5_mT6_P12ihipStream_tbENKUlT_T0_E_clISt17integral_constantIbLb0EESU_EEDaSP_SQ_EUlSP_E0_NS1_11comp_targetILNS1_3genE9ELNS1_11target_archE1100ELNS1_3gpuE3ELNS1_3repE0EEENS1_30default_config_static_selectorELNS0_4arch9wavefront6targetE1EEEvT1_,@function
_ZN7rocprim17ROCPRIM_400000_NS6detail17trampoline_kernelINS0_14default_configENS1_20scan_config_selectorIfEEZZNS1_9scan_implILNS1_25lookback_scan_determinismE0ELb0ELb0ES3_N6thrust23THRUST_200600_302600_NS6detail15normal_iteratorINS9_10device_ptrIfEEEESE_f11max_functorIfEfEEDaPvRmT3_T4_T5_mT6_P12ihipStream_tbENKUlT_T0_E_clISt17integral_constantIbLb0EESU_EEDaSP_SQ_EUlSP_E0_NS1_11comp_targetILNS1_3genE9ELNS1_11target_archE1100ELNS1_3gpuE3ELNS1_3repE0EEENS1_30default_config_static_selectorELNS0_4arch9wavefront6targetE1EEEvT1_: ; @_ZN7rocprim17ROCPRIM_400000_NS6detail17trampoline_kernelINS0_14default_configENS1_20scan_config_selectorIfEEZZNS1_9scan_implILNS1_25lookback_scan_determinismE0ELb0ELb0ES3_N6thrust23THRUST_200600_302600_NS6detail15normal_iteratorINS9_10device_ptrIfEEEESE_f11max_functorIfEfEEDaPvRmT3_T4_T5_mT6_P12ihipStream_tbENKUlT_T0_E_clISt17integral_constantIbLb0EESU_EEDaSP_SQ_EUlSP_E0_NS1_11comp_targetILNS1_3genE9ELNS1_11target_archE1100ELNS1_3gpuE3ELNS1_3repE0EEENS1_30default_config_static_selectorELNS0_4arch9wavefront6targetE1EEEvT1_
; %bb.0:
	.section	.rodata,"a",@progbits
	.p2align	6, 0x0
	.amdhsa_kernel _ZN7rocprim17ROCPRIM_400000_NS6detail17trampoline_kernelINS0_14default_configENS1_20scan_config_selectorIfEEZZNS1_9scan_implILNS1_25lookback_scan_determinismE0ELb0ELb0ES3_N6thrust23THRUST_200600_302600_NS6detail15normal_iteratorINS9_10device_ptrIfEEEESE_f11max_functorIfEfEEDaPvRmT3_T4_T5_mT6_P12ihipStream_tbENKUlT_T0_E_clISt17integral_constantIbLb0EESU_EEDaSP_SQ_EUlSP_E0_NS1_11comp_targetILNS1_3genE9ELNS1_11target_archE1100ELNS1_3gpuE3ELNS1_3repE0EEENS1_30default_config_static_selectorELNS0_4arch9wavefront6targetE1EEEvT1_
		.amdhsa_group_segment_fixed_size 0
		.amdhsa_private_segment_fixed_size 0
		.amdhsa_kernarg_size 32
		.amdhsa_user_sgpr_count 6
		.amdhsa_user_sgpr_private_segment_buffer 1
		.amdhsa_user_sgpr_dispatch_ptr 0
		.amdhsa_user_sgpr_queue_ptr 0
		.amdhsa_user_sgpr_kernarg_segment_ptr 1
		.amdhsa_user_sgpr_dispatch_id 0
		.amdhsa_user_sgpr_flat_scratch_init 0
		.amdhsa_user_sgpr_kernarg_preload_length 0
		.amdhsa_user_sgpr_kernarg_preload_offset 0
		.amdhsa_user_sgpr_private_segment_size 0
		.amdhsa_uses_dynamic_stack 0
		.amdhsa_system_sgpr_private_segment_wavefront_offset 0
		.amdhsa_system_sgpr_workgroup_id_x 1
		.amdhsa_system_sgpr_workgroup_id_y 0
		.amdhsa_system_sgpr_workgroup_id_z 0
		.amdhsa_system_sgpr_workgroup_info 0
		.amdhsa_system_vgpr_workitem_id 0
		.amdhsa_next_free_vgpr 1
		.amdhsa_next_free_sgpr 0
		.amdhsa_accum_offset 4
		.amdhsa_reserve_vcc 0
		.amdhsa_reserve_flat_scratch 0
		.amdhsa_float_round_mode_32 0
		.amdhsa_float_round_mode_16_64 0
		.amdhsa_float_denorm_mode_32 3
		.amdhsa_float_denorm_mode_16_64 3
		.amdhsa_dx10_clamp 1
		.amdhsa_ieee_mode 1
		.amdhsa_fp16_overflow 0
		.amdhsa_tg_split 0
		.amdhsa_exception_fp_ieee_invalid_op 0
		.amdhsa_exception_fp_denorm_src 0
		.amdhsa_exception_fp_ieee_div_zero 0
		.amdhsa_exception_fp_ieee_overflow 0
		.amdhsa_exception_fp_ieee_underflow 0
		.amdhsa_exception_fp_ieee_inexact 0
		.amdhsa_exception_int_div_zero 0
	.end_amdhsa_kernel
	.section	.text._ZN7rocprim17ROCPRIM_400000_NS6detail17trampoline_kernelINS0_14default_configENS1_20scan_config_selectorIfEEZZNS1_9scan_implILNS1_25lookback_scan_determinismE0ELb0ELb0ES3_N6thrust23THRUST_200600_302600_NS6detail15normal_iteratorINS9_10device_ptrIfEEEESE_f11max_functorIfEfEEDaPvRmT3_T4_T5_mT6_P12ihipStream_tbENKUlT_T0_E_clISt17integral_constantIbLb0EESU_EEDaSP_SQ_EUlSP_E0_NS1_11comp_targetILNS1_3genE9ELNS1_11target_archE1100ELNS1_3gpuE3ELNS1_3repE0EEENS1_30default_config_static_selectorELNS0_4arch9wavefront6targetE1EEEvT1_,"axG",@progbits,_ZN7rocprim17ROCPRIM_400000_NS6detail17trampoline_kernelINS0_14default_configENS1_20scan_config_selectorIfEEZZNS1_9scan_implILNS1_25lookback_scan_determinismE0ELb0ELb0ES3_N6thrust23THRUST_200600_302600_NS6detail15normal_iteratorINS9_10device_ptrIfEEEESE_f11max_functorIfEfEEDaPvRmT3_T4_T5_mT6_P12ihipStream_tbENKUlT_T0_E_clISt17integral_constantIbLb0EESU_EEDaSP_SQ_EUlSP_E0_NS1_11comp_targetILNS1_3genE9ELNS1_11target_archE1100ELNS1_3gpuE3ELNS1_3repE0EEENS1_30default_config_static_selectorELNS0_4arch9wavefront6targetE1EEEvT1_,comdat
.Lfunc_end1959:
	.size	_ZN7rocprim17ROCPRIM_400000_NS6detail17trampoline_kernelINS0_14default_configENS1_20scan_config_selectorIfEEZZNS1_9scan_implILNS1_25lookback_scan_determinismE0ELb0ELb0ES3_N6thrust23THRUST_200600_302600_NS6detail15normal_iteratorINS9_10device_ptrIfEEEESE_f11max_functorIfEfEEDaPvRmT3_T4_T5_mT6_P12ihipStream_tbENKUlT_T0_E_clISt17integral_constantIbLb0EESU_EEDaSP_SQ_EUlSP_E0_NS1_11comp_targetILNS1_3genE9ELNS1_11target_archE1100ELNS1_3gpuE3ELNS1_3repE0EEENS1_30default_config_static_selectorELNS0_4arch9wavefront6targetE1EEEvT1_, .Lfunc_end1959-_ZN7rocprim17ROCPRIM_400000_NS6detail17trampoline_kernelINS0_14default_configENS1_20scan_config_selectorIfEEZZNS1_9scan_implILNS1_25lookback_scan_determinismE0ELb0ELb0ES3_N6thrust23THRUST_200600_302600_NS6detail15normal_iteratorINS9_10device_ptrIfEEEESE_f11max_functorIfEfEEDaPvRmT3_T4_T5_mT6_P12ihipStream_tbENKUlT_T0_E_clISt17integral_constantIbLb0EESU_EEDaSP_SQ_EUlSP_E0_NS1_11comp_targetILNS1_3genE9ELNS1_11target_archE1100ELNS1_3gpuE3ELNS1_3repE0EEENS1_30default_config_static_selectorELNS0_4arch9wavefront6targetE1EEEvT1_
                                        ; -- End function
	.section	.AMDGPU.csdata,"",@progbits
; Kernel info:
; codeLenInByte = 0
; NumSgprs: 4
; NumVgprs: 0
; NumAgprs: 0
; TotalNumVgprs: 0
; ScratchSize: 0
; MemoryBound: 0
; FloatMode: 240
; IeeeMode: 1
; LDSByteSize: 0 bytes/workgroup (compile time only)
; SGPRBlocks: 0
; VGPRBlocks: 0
; NumSGPRsForWavesPerEU: 4
; NumVGPRsForWavesPerEU: 1
; AccumOffset: 4
; Occupancy: 8
; WaveLimiterHint : 0
; COMPUTE_PGM_RSRC2:SCRATCH_EN: 0
; COMPUTE_PGM_RSRC2:USER_SGPR: 6
; COMPUTE_PGM_RSRC2:TRAP_HANDLER: 0
; COMPUTE_PGM_RSRC2:TGID_X_EN: 1
; COMPUTE_PGM_RSRC2:TGID_Y_EN: 0
; COMPUTE_PGM_RSRC2:TGID_Z_EN: 0
; COMPUTE_PGM_RSRC2:TIDIG_COMP_CNT: 0
; COMPUTE_PGM_RSRC3_GFX90A:ACCUM_OFFSET: 0
; COMPUTE_PGM_RSRC3_GFX90A:TG_SPLIT: 0
	.section	.text._ZN7rocprim17ROCPRIM_400000_NS6detail17trampoline_kernelINS0_14default_configENS1_20scan_config_selectorIfEEZZNS1_9scan_implILNS1_25lookback_scan_determinismE0ELb0ELb0ES3_N6thrust23THRUST_200600_302600_NS6detail15normal_iteratorINS9_10device_ptrIfEEEESE_f11max_functorIfEfEEDaPvRmT3_T4_T5_mT6_P12ihipStream_tbENKUlT_T0_E_clISt17integral_constantIbLb0EESU_EEDaSP_SQ_EUlSP_E0_NS1_11comp_targetILNS1_3genE8ELNS1_11target_archE1030ELNS1_3gpuE2ELNS1_3repE0EEENS1_30default_config_static_selectorELNS0_4arch9wavefront6targetE1EEEvT1_,"axG",@progbits,_ZN7rocprim17ROCPRIM_400000_NS6detail17trampoline_kernelINS0_14default_configENS1_20scan_config_selectorIfEEZZNS1_9scan_implILNS1_25lookback_scan_determinismE0ELb0ELb0ES3_N6thrust23THRUST_200600_302600_NS6detail15normal_iteratorINS9_10device_ptrIfEEEESE_f11max_functorIfEfEEDaPvRmT3_T4_T5_mT6_P12ihipStream_tbENKUlT_T0_E_clISt17integral_constantIbLb0EESU_EEDaSP_SQ_EUlSP_E0_NS1_11comp_targetILNS1_3genE8ELNS1_11target_archE1030ELNS1_3gpuE2ELNS1_3repE0EEENS1_30default_config_static_selectorELNS0_4arch9wavefront6targetE1EEEvT1_,comdat
	.protected	_ZN7rocprim17ROCPRIM_400000_NS6detail17trampoline_kernelINS0_14default_configENS1_20scan_config_selectorIfEEZZNS1_9scan_implILNS1_25lookback_scan_determinismE0ELb0ELb0ES3_N6thrust23THRUST_200600_302600_NS6detail15normal_iteratorINS9_10device_ptrIfEEEESE_f11max_functorIfEfEEDaPvRmT3_T4_T5_mT6_P12ihipStream_tbENKUlT_T0_E_clISt17integral_constantIbLb0EESU_EEDaSP_SQ_EUlSP_E0_NS1_11comp_targetILNS1_3genE8ELNS1_11target_archE1030ELNS1_3gpuE2ELNS1_3repE0EEENS1_30default_config_static_selectorELNS0_4arch9wavefront6targetE1EEEvT1_ ; -- Begin function _ZN7rocprim17ROCPRIM_400000_NS6detail17trampoline_kernelINS0_14default_configENS1_20scan_config_selectorIfEEZZNS1_9scan_implILNS1_25lookback_scan_determinismE0ELb0ELb0ES3_N6thrust23THRUST_200600_302600_NS6detail15normal_iteratorINS9_10device_ptrIfEEEESE_f11max_functorIfEfEEDaPvRmT3_T4_T5_mT6_P12ihipStream_tbENKUlT_T0_E_clISt17integral_constantIbLb0EESU_EEDaSP_SQ_EUlSP_E0_NS1_11comp_targetILNS1_3genE8ELNS1_11target_archE1030ELNS1_3gpuE2ELNS1_3repE0EEENS1_30default_config_static_selectorELNS0_4arch9wavefront6targetE1EEEvT1_
	.globl	_ZN7rocprim17ROCPRIM_400000_NS6detail17trampoline_kernelINS0_14default_configENS1_20scan_config_selectorIfEEZZNS1_9scan_implILNS1_25lookback_scan_determinismE0ELb0ELb0ES3_N6thrust23THRUST_200600_302600_NS6detail15normal_iteratorINS9_10device_ptrIfEEEESE_f11max_functorIfEfEEDaPvRmT3_T4_T5_mT6_P12ihipStream_tbENKUlT_T0_E_clISt17integral_constantIbLb0EESU_EEDaSP_SQ_EUlSP_E0_NS1_11comp_targetILNS1_3genE8ELNS1_11target_archE1030ELNS1_3gpuE2ELNS1_3repE0EEENS1_30default_config_static_selectorELNS0_4arch9wavefront6targetE1EEEvT1_
	.p2align	8
	.type	_ZN7rocprim17ROCPRIM_400000_NS6detail17trampoline_kernelINS0_14default_configENS1_20scan_config_selectorIfEEZZNS1_9scan_implILNS1_25lookback_scan_determinismE0ELb0ELb0ES3_N6thrust23THRUST_200600_302600_NS6detail15normal_iteratorINS9_10device_ptrIfEEEESE_f11max_functorIfEfEEDaPvRmT3_T4_T5_mT6_P12ihipStream_tbENKUlT_T0_E_clISt17integral_constantIbLb0EESU_EEDaSP_SQ_EUlSP_E0_NS1_11comp_targetILNS1_3genE8ELNS1_11target_archE1030ELNS1_3gpuE2ELNS1_3repE0EEENS1_30default_config_static_selectorELNS0_4arch9wavefront6targetE1EEEvT1_,@function
_ZN7rocprim17ROCPRIM_400000_NS6detail17trampoline_kernelINS0_14default_configENS1_20scan_config_selectorIfEEZZNS1_9scan_implILNS1_25lookback_scan_determinismE0ELb0ELb0ES3_N6thrust23THRUST_200600_302600_NS6detail15normal_iteratorINS9_10device_ptrIfEEEESE_f11max_functorIfEfEEDaPvRmT3_T4_T5_mT6_P12ihipStream_tbENKUlT_T0_E_clISt17integral_constantIbLb0EESU_EEDaSP_SQ_EUlSP_E0_NS1_11comp_targetILNS1_3genE8ELNS1_11target_archE1030ELNS1_3gpuE2ELNS1_3repE0EEENS1_30default_config_static_selectorELNS0_4arch9wavefront6targetE1EEEvT1_: ; @_ZN7rocprim17ROCPRIM_400000_NS6detail17trampoline_kernelINS0_14default_configENS1_20scan_config_selectorIfEEZZNS1_9scan_implILNS1_25lookback_scan_determinismE0ELb0ELb0ES3_N6thrust23THRUST_200600_302600_NS6detail15normal_iteratorINS9_10device_ptrIfEEEESE_f11max_functorIfEfEEDaPvRmT3_T4_T5_mT6_P12ihipStream_tbENKUlT_T0_E_clISt17integral_constantIbLb0EESU_EEDaSP_SQ_EUlSP_E0_NS1_11comp_targetILNS1_3genE8ELNS1_11target_archE1030ELNS1_3gpuE2ELNS1_3repE0EEENS1_30default_config_static_selectorELNS0_4arch9wavefront6targetE1EEEvT1_
; %bb.0:
	.section	.rodata,"a",@progbits
	.p2align	6, 0x0
	.amdhsa_kernel _ZN7rocprim17ROCPRIM_400000_NS6detail17trampoline_kernelINS0_14default_configENS1_20scan_config_selectorIfEEZZNS1_9scan_implILNS1_25lookback_scan_determinismE0ELb0ELb0ES3_N6thrust23THRUST_200600_302600_NS6detail15normal_iteratorINS9_10device_ptrIfEEEESE_f11max_functorIfEfEEDaPvRmT3_T4_T5_mT6_P12ihipStream_tbENKUlT_T0_E_clISt17integral_constantIbLb0EESU_EEDaSP_SQ_EUlSP_E0_NS1_11comp_targetILNS1_3genE8ELNS1_11target_archE1030ELNS1_3gpuE2ELNS1_3repE0EEENS1_30default_config_static_selectorELNS0_4arch9wavefront6targetE1EEEvT1_
		.amdhsa_group_segment_fixed_size 0
		.amdhsa_private_segment_fixed_size 0
		.amdhsa_kernarg_size 32
		.amdhsa_user_sgpr_count 6
		.amdhsa_user_sgpr_private_segment_buffer 1
		.amdhsa_user_sgpr_dispatch_ptr 0
		.amdhsa_user_sgpr_queue_ptr 0
		.amdhsa_user_sgpr_kernarg_segment_ptr 1
		.amdhsa_user_sgpr_dispatch_id 0
		.amdhsa_user_sgpr_flat_scratch_init 0
		.amdhsa_user_sgpr_kernarg_preload_length 0
		.amdhsa_user_sgpr_kernarg_preload_offset 0
		.amdhsa_user_sgpr_private_segment_size 0
		.amdhsa_uses_dynamic_stack 0
		.amdhsa_system_sgpr_private_segment_wavefront_offset 0
		.amdhsa_system_sgpr_workgroup_id_x 1
		.amdhsa_system_sgpr_workgroup_id_y 0
		.amdhsa_system_sgpr_workgroup_id_z 0
		.amdhsa_system_sgpr_workgroup_info 0
		.amdhsa_system_vgpr_workitem_id 0
		.amdhsa_next_free_vgpr 1
		.amdhsa_next_free_sgpr 0
		.amdhsa_accum_offset 4
		.amdhsa_reserve_vcc 0
		.amdhsa_reserve_flat_scratch 0
		.amdhsa_float_round_mode_32 0
		.amdhsa_float_round_mode_16_64 0
		.amdhsa_float_denorm_mode_32 3
		.amdhsa_float_denorm_mode_16_64 3
		.amdhsa_dx10_clamp 1
		.amdhsa_ieee_mode 1
		.amdhsa_fp16_overflow 0
		.amdhsa_tg_split 0
		.amdhsa_exception_fp_ieee_invalid_op 0
		.amdhsa_exception_fp_denorm_src 0
		.amdhsa_exception_fp_ieee_div_zero 0
		.amdhsa_exception_fp_ieee_overflow 0
		.amdhsa_exception_fp_ieee_underflow 0
		.amdhsa_exception_fp_ieee_inexact 0
		.amdhsa_exception_int_div_zero 0
	.end_amdhsa_kernel
	.section	.text._ZN7rocprim17ROCPRIM_400000_NS6detail17trampoline_kernelINS0_14default_configENS1_20scan_config_selectorIfEEZZNS1_9scan_implILNS1_25lookback_scan_determinismE0ELb0ELb0ES3_N6thrust23THRUST_200600_302600_NS6detail15normal_iteratorINS9_10device_ptrIfEEEESE_f11max_functorIfEfEEDaPvRmT3_T4_T5_mT6_P12ihipStream_tbENKUlT_T0_E_clISt17integral_constantIbLb0EESU_EEDaSP_SQ_EUlSP_E0_NS1_11comp_targetILNS1_3genE8ELNS1_11target_archE1030ELNS1_3gpuE2ELNS1_3repE0EEENS1_30default_config_static_selectorELNS0_4arch9wavefront6targetE1EEEvT1_,"axG",@progbits,_ZN7rocprim17ROCPRIM_400000_NS6detail17trampoline_kernelINS0_14default_configENS1_20scan_config_selectorIfEEZZNS1_9scan_implILNS1_25lookback_scan_determinismE0ELb0ELb0ES3_N6thrust23THRUST_200600_302600_NS6detail15normal_iteratorINS9_10device_ptrIfEEEESE_f11max_functorIfEfEEDaPvRmT3_T4_T5_mT6_P12ihipStream_tbENKUlT_T0_E_clISt17integral_constantIbLb0EESU_EEDaSP_SQ_EUlSP_E0_NS1_11comp_targetILNS1_3genE8ELNS1_11target_archE1030ELNS1_3gpuE2ELNS1_3repE0EEENS1_30default_config_static_selectorELNS0_4arch9wavefront6targetE1EEEvT1_,comdat
.Lfunc_end1960:
	.size	_ZN7rocprim17ROCPRIM_400000_NS6detail17trampoline_kernelINS0_14default_configENS1_20scan_config_selectorIfEEZZNS1_9scan_implILNS1_25lookback_scan_determinismE0ELb0ELb0ES3_N6thrust23THRUST_200600_302600_NS6detail15normal_iteratorINS9_10device_ptrIfEEEESE_f11max_functorIfEfEEDaPvRmT3_T4_T5_mT6_P12ihipStream_tbENKUlT_T0_E_clISt17integral_constantIbLb0EESU_EEDaSP_SQ_EUlSP_E0_NS1_11comp_targetILNS1_3genE8ELNS1_11target_archE1030ELNS1_3gpuE2ELNS1_3repE0EEENS1_30default_config_static_selectorELNS0_4arch9wavefront6targetE1EEEvT1_, .Lfunc_end1960-_ZN7rocprim17ROCPRIM_400000_NS6detail17trampoline_kernelINS0_14default_configENS1_20scan_config_selectorIfEEZZNS1_9scan_implILNS1_25lookback_scan_determinismE0ELb0ELb0ES3_N6thrust23THRUST_200600_302600_NS6detail15normal_iteratorINS9_10device_ptrIfEEEESE_f11max_functorIfEfEEDaPvRmT3_T4_T5_mT6_P12ihipStream_tbENKUlT_T0_E_clISt17integral_constantIbLb0EESU_EEDaSP_SQ_EUlSP_E0_NS1_11comp_targetILNS1_3genE8ELNS1_11target_archE1030ELNS1_3gpuE2ELNS1_3repE0EEENS1_30default_config_static_selectorELNS0_4arch9wavefront6targetE1EEEvT1_
                                        ; -- End function
	.section	.AMDGPU.csdata,"",@progbits
; Kernel info:
; codeLenInByte = 0
; NumSgprs: 4
; NumVgprs: 0
; NumAgprs: 0
; TotalNumVgprs: 0
; ScratchSize: 0
; MemoryBound: 0
; FloatMode: 240
; IeeeMode: 1
; LDSByteSize: 0 bytes/workgroup (compile time only)
; SGPRBlocks: 0
; VGPRBlocks: 0
; NumSGPRsForWavesPerEU: 4
; NumVGPRsForWavesPerEU: 1
; AccumOffset: 4
; Occupancy: 8
; WaveLimiterHint : 0
; COMPUTE_PGM_RSRC2:SCRATCH_EN: 0
; COMPUTE_PGM_RSRC2:USER_SGPR: 6
; COMPUTE_PGM_RSRC2:TRAP_HANDLER: 0
; COMPUTE_PGM_RSRC2:TGID_X_EN: 1
; COMPUTE_PGM_RSRC2:TGID_Y_EN: 0
; COMPUTE_PGM_RSRC2:TGID_Z_EN: 0
; COMPUTE_PGM_RSRC2:TIDIG_COMP_CNT: 0
; COMPUTE_PGM_RSRC3_GFX90A:ACCUM_OFFSET: 0
; COMPUTE_PGM_RSRC3_GFX90A:TG_SPLIT: 0
	.section	.text._ZN7rocprim17ROCPRIM_400000_NS6detail17trampoline_kernelINS0_14default_configENS1_20scan_config_selectorIfEEZZNS1_9scan_implILNS1_25lookback_scan_determinismE0ELb0ELb0ES3_N6thrust23THRUST_200600_302600_NS6detail15normal_iteratorINS9_10device_ptrIfEEEESE_f11max_functorIfEfEEDaPvRmT3_T4_T5_mT6_P12ihipStream_tbENKUlT_T0_E_clISt17integral_constantIbLb1EESU_EEDaSP_SQ_EUlSP_E_NS1_11comp_targetILNS1_3genE0ELNS1_11target_archE4294967295ELNS1_3gpuE0ELNS1_3repE0EEENS1_30default_config_static_selectorELNS0_4arch9wavefront6targetE1EEEvT1_,"axG",@progbits,_ZN7rocprim17ROCPRIM_400000_NS6detail17trampoline_kernelINS0_14default_configENS1_20scan_config_selectorIfEEZZNS1_9scan_implILNS1_25lookback_scan_determinismE0ELb0ELb0ES3_N6thrust23THRUST_200600_302600_NS6detail15normal_iteratorINS9_10device_ptrIfEEEESE_f11max_functorIfEfEEDaPvRmT3_T4_T5_mT6_P12ihipStream_tbENKUlT_T0_E_clISt17integral_constantIbLb1EESU_EEDaSP_SQ_EUlSP_E_NS1_11comp_targetILNS1_3genE0ELNS1_11target_archE4294967295ELNS1_3gpuE0ELNS1_3repE0EEENS1_30default_config_static_selectorELNS0_4arch9wavefront6targetE1EEEvT1_,comdat
	.protected	_ZN7rocprim17ROCPRIM_400000_NS6detail17trampoline_kernelINS0_14default_configENS1_20scan_config_selectorIfEEZZNS1_9scan_implILNS1_25lookback_scan_determinismE0ELb0ELb0ES3_N6thrust23THRUST_200600_302600_NS6detail15normal_iteratorINS9_10device_ptrIfEEEESE_f11max_functorIfEfEEDaPvRmT3_T4_T5_mT6_P12ihipStream_tbENKUlT_T0_E_clISt17integral_constantIbLb1EESU_EEDaSP_SQ_EUlSP_E_NS1_11comp_targetILNS1_3genE0ELNS1_11target_archE4294967295ELNS1_3gpuE0ELNS1_3repE0EEENS1_30default_config_static_selectorELNS0_4arch9wavefront6targetE1EEEvT1_ ; -- Begin function _ZN7rocprim17ROCPRIM_400000_NS6detail17trampoline_kernelINS0_14default_configENS1_20scan_config_selectorIfEEZZNS1_9scan_implILNS1_25lookback_scan_determinismE0ELb0ELb0ES3_N6thrust23THRUST_200600_302600_NS6detail15normal_iteratorINS9_10device_ptrIfEEEESE_f11max_functorIfEfEEDaPvRmT3_T4_T5_mT6_P12ihipStream_tbENKUlT_T0_E_clISt17integral_constantIbLb1EESU_EEDaSP_SQ_EUlSP_E_NS1_11comp_targetILNS1_3genE0ELNS1_11target_archE4294967295ELNS1_3gpuE0ELNS1_3repE0EEENS1_30default_config_static_selectorELNS0_4arch9wavefront6targetE1EEEvT1_
	.globl	_ZN7rocprim17ROCPRIM_400000_NS6detail17trampoline_kernelINS0_14default_configENS1_20scan_config_selectorIfEEZZNS1_9scan_implILNS1_25lookback_scan_determinismE0ELb0ELb0ES3_N6thrust23THRUST_200600_302600_NS6detail15normal_iteratorINS9_10device_ptrIfEEEESE_f11max_functorIfEfEEDaPvRmT3_T4_T5_mT6_P12ihipStream_tbENKUlT_T0_E_clISt17integral_constantIbLb1EESU_EEDaSP_SQ_EUlSP_E_NS1_11comp_targetILNS1_3genE0ELNS1_11target_archE4294967295ELNS1_3gpuE0ELNS1_3repE0EEENS1_30default_config_static_selectorELNS0_4arch9wavefront6targetE1EEEvT1_
	.p2align	8
	.type	_ZN7rocprim17ROCPRIM_400000_NS6detail17trampoline_kernelINS0_14default_configENS1_20scan_config_selectorIfEEZZNS1_9scan_implILNS1_25lookback_scan_determinismE0ELb0ELb0ES3_N6thrust23THRUST_200600_302600_NS6detail15normal_iteratorINS9_10device_ptrIfEEEESE_f11max_functorIfEfEEDaPvRmT3_T4_T5_mT6_P12ihipStream_tbENKUlT_T0_E_clISt17integral_constantIbLb1EESU_EEDaSP_SQ_EUlSP_E_NS1_11comp_targetILNS1_3genE0ELNS1_11target_archE4294967295ELNS1_3gpuE0ELNS1_3repE0EEENS1_30default_config_static_selectorELNS0_4arch9wavefront6targetE1EEEvT1_,@function
_ZN7rocprim17ROCPRIM_400000_NS6detail17trampoline_kernelINS0_14default_configENS1_20scan_config_selectorIfEEZZNS1_9scan_implILNS1_25lookback_scan_determinismE0ELb0ELb0ES3_N6thrust23THRUST_200600_302600_NS6detail15normal_iteratorINS9_10device_ptrIfEEEESE_f11max_functorIfEfEEDaPvRmT3_T4_T5_mT6_P12ihipStream_tbENKUlT_T0_E_clISt17integral_constantIbLb1EESU_EEDaSP_SQ_EUlSP_E_NS1_11comp_targetILNS1_3genE0ELNS1_11target_archE4294967295ELNS1_3gpuE0ELNS1_3repE0EEENS1_30default_config_static_selectorELNS0_4arch9wavefront6targetE1EEEvT1_: ; @_ZN7rocprim17ROCPRIM_400000_NS6detail17trampoline_kernelINS0_14default_configENS1_20scan_config_selectorIfEEZZNS1_9scan_implILNS1_25lookback_scan_determinismE0ELb0ELb0ES3_N6thrust23THRUST_200600_302600_NS6detail15normal_iteratorINS9_10device_ptrIfEEEESE_f11max_functorIfEfEEDaPvRmT3_T4_T5_mT6_P12ihipStream_tbENKUlT_T0_E_clISt17integral_constantIbLb1EESU_EEDaSP_SQ_EUlSP_E_NS1_11comp_targetILNS1_3genE0ELNS1_11target_archE4294967295ELNS1_3gpuE0ELNS1_3repE0EEENS1_30default_config_static_selectorELNS0_4arch9wavefront6targetE1EEEvT1_
; %bb.0:
	.section	.rodata,"a",@progbits
	.p2align	6, 0x0
	.amdhsa_kernel _ZN7rocprim17ROCPRIM_400000_NS6detail17trampoline_kernelINS0_14default_configENS1_20scan_config_selectorIfEEZZNS1_9scan_implILNS1_25lookback_scan_determinismE0ELb0ELb0ES3_N6thrust23THRUST_200600_302600_NS6detail15normal_iteratorINS9_10device_ptrIfEEEESE_f11max_functorIfEfEEDaPvRmT3_T4_T5_mT6_P12ihipStream_tbENKUlT_T0_E_clISt17integral_constantIbLb1EESU_EEDaSP_SQ_EUlSP_E_NS1_11comp_targetILNS1_3genE0ELNS1_11target_archE4294967295ELNS1_3gpuE0ELNS1_3repE0EEENS1_30default_config_static_selectorELNS0_4arch9wavefront6targetE1EEEvT1_
		.amdhsa_group_segment_fixed_size 0
		.amdhsa_private_segment_fixed_size 0
		.amdhsa_kernarg_size 96
		.amdhsa_user_sgpr_count 6
		.amdhsa_user_sgpr_private_segment_buffer 1
		.amdhsa_user_sgpr_dispatch_ptr 0
		.amdhsa_user_sgpr_queue_ptr 0
		.amdhsa_user_sgpr_kernarg_segment_ptr 1
		.amdhsa_user_sgpr_dispatch_id 0
		.amdhsa_user_sgpr_flat_scratch_init 0
		.amdhsa_user_sgpr_kernarg_preload_length 0
		.amdhsa_user_sgpr_kernarg_preload_offset 0
		.amdhsa_user_sgpr_private_segment_size 0
		.amdhsa_uses_dynamic_stack 0
		.amdhsa_system_sgpr_private_segment_wavefront_offset 0
		.amdhsa_system_sgpr_workgroup_id_x 1
		.amdhsa_system_sgpr_workgroup_id_y 0
		.amdhsa_system_sgpr_workgroup_id_z 0
		.amdhsa_system_sgpr_workgroup_info 0
		.amdhsa_system_vgpr_workitem_id 0
		.amdhsa_next_free_vgpr 1
		.amdhsa_next_free_sgpr 0
		.amdhsa_accum_offset 4
		.amdhsa_reserve_vcc 0
		.amdhsa_reserve_flat_scratch 0
		.amdhsa_float_round_mode_32 0
		.amdhsa_float_round_mode_16_64 0
		.amdhsa_float_denorm_mode_32 3
		.amdhsa_float_denorm_mode_16_64 3
		.amdhsa_dx10_clamp 1
		.amdhsa_ieee_mode 1
		.amdhsa_fp16_overflow 0
		.amdhsa_tg_split 0
		.amdhsa_exception_fp_ieee_invalid_op 0
		.amdhsa_exception_fp_denorm_src 0
		.amdhsa_exception_fp_ieee_div_zero 0
		.amdhsa_exception_fp_ieee_overflow 0
		.amdhsa_exception_fp_ieee_underflow 0
		.amdhsa_exception_fp_ieee_inexact 0
		.amdhsa_exception_int_div_zero 0
	.end_amdhsa_kernel
	.section	.text._ZN7rocprim17ROCPRIM_400000_NS6detail17trampoline_kernelINS0_14default_configENS1_20scan_config_selectorIfEEZZNS1_9scan_implILNS1_25lookback_scan_determinismE0ELb0ELb0ES3_N6thrust23THRUST_200600_302600_NS6detail15normal_iteratorINS9_10device_ptrIfEEEESE_f11max_functorIfEfEEDaPvRmT3_T4_T5_mT6_P12ihipStream_tbENKUlT_T0_E_clISt17integral_constantIbLb1EESU_EEDaSP_SQ_EUlSP_E_NS1_11comp_targetILNS1_3genE0ELNS1_11target_archE4294967295ELNS1_3gpuE0ELNS1_3repE0EEENS1_30default_config_static_selectorELNS0_4arch9wavefront6targetE1EEEvT1_,"axG",@progbits,_ZN7rocprim17ROCPRIM_400000_NS6detail17trampoline_kernelINS0_14default_configENS1_20scan_config_selectorIfEEZZNS1_9scan_implILNS1_25lookback_scan_determinismE0ELb0ELb0ES3_N6thrust23THRUST_200600_302600_NS6detail15normal_iteratorINS9_10device_ptrIfEEEESE_f11max_functorIfEfEEDaPvRmT3_T4_T5_mT6_P12ihipStream_tbENKUlT_T0_E_clISt17integral_constantIbLb1EESU_EEDaSP_SQ_EUlSP_E_NS1_11comp_targetILNS1_3genE0ELNS1_11target_archE4294967295ELNS1_3gpuE0ELNS1_3repE0EEENS1_30default_config_static_selectorELNS0_4arch9wavefront6targetE1EEEvT1_,comdat
.Lfunc_end1961:
	.size	_ZN7rocprim17ROCPRIM_400000_NS6detail17trampoline_kernelINS0_14default_configENS1_20scan_config_selectorIfEEZZNS1_9scan_implILNS1_25lookback_scan_determinismE0ELb0ELb0ES3_N6thrust23THRUST_200600_302600_NS6detail15normal_iteratorINS9_10device_ptrIfEEEESE_f11max_functorIfEfEEDaPvRmT3_T4_T5_mT6_P12ihipStream_tbENKUlT_T0_E_clISt17integral_constantIbLb1EESU_EEDaSP_SQ_EUlSP_E_NS1_11comp_targetILNS1_3genE0ELNS1_11target_archE4294967295ELNS1_3gpuE0ELNS1_3repE0EEENS1_30default_config_static_selectorELNS0_4arch9wavefront6targetE1EEEvT1_, .Lfunc_end1961-_ZN7rocprim17ROCPRIM_400000_NS6detail17trampoline_kernelINS0_14default_configENS1_20scan_config_selectorIfEEZZNS1_9scan_implILNS1_25lookback_scan_determinismE0ELb0ELb0ES3_N6thrust23THRUST_200600_302600_NS6detail15normal_iteratorINS9_10device_ptrIfEEEESE_f11max_functorIfEfEEDaPvRmT3_T4_T5_mT6_P12ihipStream_tbENKUlT_T0_E_clISt17integral_constantIbLb1EESU_EEDaSP_SQ_EUlSP_E_NS1_11comp_targetILNS1_3genE0ELNS1_11target_archE4294967295ELNS1_3gpuE0ELNS1_3repE0EEENS1_30default_config_static_selectorELNS0_4arch9wavefront6targetE1EEEvT1_
                                        ; -- End function
	.section	.AMDGPU.csdata,"",@progbits
; Kernel info:
; codeLenInByte = 0
; NumSgprs: 4
; NumVgprs: 0
; NumAgprs: 0
; TotalNumVgprs: 0
; ScratchSize: 0
; MemoryBound: 0
; FloatMode: 240
; IeeeMode: 1
; LDSByteSize: 0 bytes/workgroup (compile time only)
; SGPRBlocks: 0
; VGPRBlocks: 0
; NumSGPRsForWavesPerEU: 4
; NumVGPRsForWavesPerEU: 1
; AccumOffset: 4
; Occupancy: 8
; WaveLimiterHint : 0
; COMPUTE_PGM_RSRC2:SCRATCH_EN: 0
; COMPUTE_PGM_RSRC2:USER_SGPR: 6
; COMPUTE_PGM_RSRC2:TRAP_HANDLER: 0
; COMPUTE_PGM_RSRC2:TGID_X_EN: 1
; COMPUTE_PGM_RSRC2:TGID_Y_EN: 0
; COMPUTE_PGM_RSRC2:TGID_Z_EN: 0
; COMPUTE_PGM_RSRC2:TIDIG_COMP_CNT: 0
; COMPUTE_PGM_RSRC3_GFX90A:ACCUM_OFFSET: 0
; COMPUTE_PGM_RSRC3_GFX90A:TG_SPLIT: 0
	.section	.text._ZN7rocprim17ROCPRIM_400000_NS6detail17trampoline_kernelINS0_14default_configENS1_20scan_config_selectorIfEEZZNS1_9scan_implILNS1_25lookback_scan_determinismE0ELb0ELb0ES3_N6thrust23THRUST_200600_302600_NS6detail15normal_iteratorINS9_10device_ptrIfEEEESE_f11max_functorIfEfEEDaPvRmT3_T4_T5_mT6_P12ihipStream_tbENKUlT_T0_E_clISt17integral_constantIbLb1EESU_EEDaSP_SQ_EUlSP_E_NS1_11comp_targetILNS1_3genE5ELNS1_11target_archE942ELNS1_3gpuE9ELNS1_3repE0EEENS1_30default_config_static_selectorELNS0_4arch9wavefront6targetE1EEEvT1_,"axG",@progbits,_ZN7rocprim17ROCPRIM_400000_NS6detail17trampoline_kernelINS0_14default_configENS1_20scan_config_selectorIfEEZZNS1_9scan_implILNS1_25lookback_scan_determinismE0ELb0ELb0ES3_N6thrust23THRUST_200600_302600_NS6detail15normal_iteratorINS9_10device_ptrIfEEEESE_f11max_functorIfEfEEDaPvRmT3_T4_T5_mT6_P12ihipStream_tbENKUlT_T0_E_clISt17integral_constantIbLb1EESU_EEDaSP_SQ_EUlSP_E_NS1_11comp_targetILNS1_3genE5ELNS1_11target_archE942ELNS1_3gpuE9ELNS1_3repE0EEENS1_30default_config_static_selectorELNS0_4arch9wavefront6targetE1EEEvT1_,comdat
	.protected	_ZN7rocprim17ROCPRIM_400000_NS6detail17trampoline_kernelINS0_14default_configENS1_20scan_config_selectorIfEEZZNS1_9scan_implILNS1_25lookback_scan_determinismE0ELb0ELb0ES3_N6thrust23THRUST_200600_302600_NS6detail15normal_iteratorINS9_10device_ptrIfEEEESE_f11max_functorIfEfEEDaPvRmT3_T4_T5_mT6_P12ihipStream_tbENKUlT_T0_E_clISt17integral_constantIbLb1EESU_EEDaSP_SQ_EUlSP_E_NS1_11comp_targetILNS1_3genE5ELNS1_11target_archE942ELNS1_3gpuE9ELNS1_3repE0EEENS1_30default_config_static_selectorELNS0_4arch9wavefront6targetE1EEEvT1_ ; -- Begin function _ZN7rocprim17ROCPRIM_400000_NS6detail17trampoline_kernelINS0_14default_configENS1_20scan_config_selectorIfEEZZNS1_9scan_implILNS1_25lookback_scan_determinismE0ELb0ELb0ES3_N6thrust23THRUST_200600_302600_NS6detail15normal_iteratorINS9_10device_ptrIfEEEESE_f11max_functorIfEfEEDaPvRmT3_T4_T5_mT6_P12ihipStream_tbENKUlT_T0_E_clISt17integral_constantIbLb1EESU_EEDaSP_SQ_EUlSP_E_NS1_11comp_targetILNS1_3genE5ELNS1_11target_archE942ELNS1_3gpuE9ELNS1_3repE0EEENS1_30default_config_static_selectorELNS0_4arch9wavefront6targetE1EEEvT1_
	.globl	_ZN7rocprim17ROCPRIM_400000_NS6detail17trampoline_kernelINS0_14default_configENS1_20scan_config_selectorIfEEZZNS1_9scan_implILNS1_25lookback_scan_determinismE0ELb0ELb0ES3_N6thrust23THRUST_200600_302600_NS6detail15normal_iteratorINS9_10device_ptrIfEEEESE_f11max_functorIfEfEEDaPvRmT3_T4_T5_mT6_P12ihipStream_tbENKUlT_T0_E_clISt17integral_constantIbLb1EESU_EEDaSP_SQ_EUlSP_E_NS1_11comp_targetILNS1_3genE5ELNS1_11target_archE942ELNS1_3gpuE9ELNS1_3repE0EEENS1_30default_config_static_selectorELNS0_4arch9wavefront6targetE1EEEvT1_
	.p2align	8
	.type	_ZN7rocprim17ROCPRIM_400000_NS6detail17trampoline_kernelINS0_14default_configENS1_20scan_config_selectorIfEEZZNS1_9scan_implILNS1_25lookback_scan_determinismE0ELb0ELb0ES3_N6thrust23THRUST_200600_302600_NS6detail15normal_iteratorINS9_10device_ptrIfEEEESE_f11max_functorIfEfEEDaPvRmT3_T4_T5_mT6_P12ihipStream_tbENKUlT_T0_E_clISt17integral_constantIbLb1EESU_EEDaSP_SQ_EUlSP_E_NS1_11comp_targetILNS1_3genE5ELNS1_11target_archE942ELNS1_3gpuE9ELNS1_3repE0EEENS1_30default_config_static_selectorELNS0_4arch9wavefront6targetE1EEEvT1_,@function
_ZN7rocprim17ROCPRIM_400000_NS6detail17trampoline_kernelINS0_14default_configENS1_20scan_config_selectorIfEEZZNS1_9scan_implILNS1_25lookback_scan_determinismE0ELb0ELb0ES3_N6thrust23THRUST_200600_302600_NS6detail15normal_iteratorINS9_10device_ptrIfEEEESE_f11max_functorIfEfEEDaPvRmT3_T4_T5_mT6_P12ihipStream_tbENKUlT_T0_E_clISt17integral_constantIbLb1EESU_EEDaSP_SQ_EUlSP_E_NS1_11comp_targetILNS1_3genE5ELNS1_11target_archE942ELNS1_3gpuE9ELNS1_3repE0EEENS1_30default_config_static_selectorELNS0_4arch9wavefront6targetE1EEEvT1_: ; @_ZN7rocprim17ROCPRIM_400000_NS6detail17trampoline_kernelINS0_14default_configENS1_20scan_config_selectorIfEEZZNS1_9scan_implILNS1_25lookback_scan_determinismE0ELb0ELb0ES3_N6thrust23THRUST_200600_302600_NS6detail15normal_iteratorINS9_10device_ptrIfEEEESE_f11max_functorIfEfEEDaPvRmT3_T4_T5_mT6_P12ihipStream_tbENKUlT_T0_E_clISt17integral_constantIbLb1EESU_EEDaSP_SQ_EUlSP_E_NS1_11comp_targetILNS1_3genE5ELNS1_11target_archE942ELNS1_3gpuE9ELNS1_3repE0EEENS1_30default_config_static_selectorELNS0_4arch9wavefront6targetE1EEEvT1_
; %bb.0:
	.section	.rodata,"a",@progbits
	.p2align	6, 0x0
	.amdhsa_kernel _ZN7rocprim17ROCPRIM_400000_NS6detail17trampoline_kernelINS0_14default_configENS1_20scan_config_selectorIfEEZZNS1_9scan_implILNS1_25lookback_scan_determinismE0ELb0ELb0ES3_N6thrust23THRUST_200600_302600_NS6detail15normal_iteratorINS9_10device_ptrIfEEEESE_f11max_functorIfEfEEDaPvRmT3_T4_T5_mT6_P12ihipStream_tbENKUlT_T0_E_clISt17integral_constantIbLb1EESU_EEDaSP_SQ_EUlSP_E_NS1_11comp_targetILNS1_3genE5ELNS1_11target_archE942ELNS1_3gpuE9ELNS1_3repE0EEENS1_30default_config_static_selectorELNS0_4arch9wavefront6targetE1EEEvT1_
		.amdhsa_group_segment_fixed_size 0
		.amdhsa_private_segment_fixed_size 0
		.amdhsa_kernarg_size 96
		.amdhsa_user_sgpr_count 6
		.amdhsa_user_sgpr_private_segment_buffer 1
		.amdhsa_user_sgpr_dispatch_ptr 0
		.amdhsa_user_sgpr_queue_ptr 0
		.amdhsa_user_sgpr_kernarg_segment_ptr 1
		.amdhsa_user_sgpr_dispatch_id 0
		.amdhsa_user_sgpr_flat_scratch_init 0
		.amdhsa_user_sgpr_kernarg_preload_length 0
		.amdhsa_user_sgpr_kernarg_preload_offset 0
		.amdhsa_user_sgpr_private_segment_size 0
		.amdhsa_uses_dynamic_stack 0
		.amdhsa_system_sgpr_private_segment_wavefront_offset 0
		.amdhsa_system_sgpr_workgroup_id_x 1
		.amdhsa_system_sgpr_workgroup_id_y 0
		.amdhsa_system_sgpr_workgroup_id_z 0
		.amdhsa_system_sgpr_workgroup_info 0
		.amdhsa_system_vgpr_workitem_id 0
		.amdhsa_next_free_vgpr 1
		.amdhsa_next_free_sgpr 0
		.amdhsa_accum_offset 4
		.amdhsa_reserve_vcc 0
		.amdhsa_reserve_flat_scratch 0
		.amdhsa_float_round_mode_32 0
		.amdhsa_float_round_mode_16_64 0
		.amdhsa_float_denorm_mode_32 3
		.amdhsa_float_denorm_mode_16_64 3
		.amdhsa_dx10_clamp 1
		.amdhsa_ieee_mode 1
		.amdhsa_fp16_overflow 0
		.amdhsa_tg_split 0
		.amdhsa_exception_fp_ieee_invalid_op 0
		.amdhsa_exception_fp_denorm_src 0
		.amdhsa_exception_fp_ieee_div_zero 0
		.amdhsa_exception_fp_ieee_overflow 0
		.amdhsa_exception_fp_ieee_underflow 0
		.amdhsa_exception_fp_ieee_inexact 0
		.amdhsa_exception_int_div_zero 0
	.end_amdhsa_kernel
	.section	.text._ZN7rocprim17ROCPRIM_400000_NS6detail17trampoline_kernelINS0_14default_configENS1_20scan_config_selectorIfEEZZNS1_9scan_implILNS1_25lookback_scan_determinismE0ELb0ELb0ES3_N6thrust23THRUST_200600_302600_NS6detail15normal_iteratorINS9_10device_ptrIfEEEESE_f11max_functorIfEfEEDaPvRmT3_T4_T5_mT6_P12ihipStream_tbENKUlT_T0_E_clISt17integral_constantIbLb1EESU_EEDaSP_SQ_EUlSP_E_NS1_11comp_targetILNS1_3genE5ELNS1_11target_archE942ELNS1_3gpuE9ELNS1_3repE0EEENS1_30default_config_static_selectorELNS0_4arch9wavefront6targetE1EEEvT1_,"axG",@progbits,_ZN7rocprim17ROCPRIM_400000_NS6detail17trampoline_kernelINS0_14default_configENS1_20scan_config_selectorIfEEZZNS1_9scan_implILNS1_25lookback_scan_determinismE0ELb0ELb0ES3_N6thrust23THRUST_200600_302600_NS6detail15normal_iteratorINS9_10device_ptrIfEEEESE_f11max_functorIfEfEEDaPvRmT3_T4_T5_mT6_P12ihipStream_tbENKUlT_T0_E_clISt17integral_constantIbLb1EESU_EEDaSP_SQ_EUlSP_E_NS1_11comp_targetILNS1_3genE5ELNS1_11target_archE942ELNS1_3gpuE9ELNS1_3repE0EEENS1_30default_config_static_selectorELNS0_4arch9wavefront6targetE1EEEvT1_,comdat
.Lfunc_end1962:
	.size	_ZN7rocprim17ROCPRIM_400000_NS6detail17trampoline_kernelINS0_14default_configENS1_20scan_config_selectorIfEEZZNS1_9scan_implILNS1_25lookback_scan_determinismE0ELb0ELb0ES3_N6thrust23THRUST_200600_302600_NS6detail15normal_iteratorINS9_10device_ptrIfEEEESE_f11max_functorIfEfEEDaPvRmT3_T4_T5_mT6_P12ihipStream_tbENKUlT_T0_E_clISt17integral_constantIbLb1EESU_EEDaSP_SQ_EUlSP_E_NS1_11comp_targetILNS1_3genE5ELNS1_11target_archE942ELNS1_3gpuE9ELNS1_3repE0EEENS1_30default_config_static_selectorELNS0_4arch9wavefront6targetE1EEEvT1_, .Lfunc_end1962-_ZN7rocprim17ROCPRIM_400000_NS6detail17trampoline_kernelINS0_14default_configENS1_20scan_config_selectorIfEEZZNS1_9scan_implILNS1_25lookback_scan_determinismE0ELb0ELb0ES3_N6thrust23THRUST_200600_302600_NS6detail15normal_iteratorINS9_10device_ptrIfEEEESE_f11max_functorIfEfEEDaPvRmT3_T4_T5_mT6_P12ihipStream_tbENKUlT_T0_E_clISt17integral_constantIbLb1EESU_EEDaSP_SQ_EUlSP_E_NS1_11comp_targetILNS1_3genE5ELNS1_11target_archE942ELNS1_3gpuE9ELNS1_3repE0EEENS1_30default_config_static_selectorELNS0_4arch9wavefront6targetE1EEEvT1_
                                        ; -- End function
	.section	.AMDGPU.csdata,"",@progbits
; Kernel info:
; codeLenInByte = 0
; NumSgprs: 4
; NumVgprs: 0
; NumAgprs: 0
; TotalNumVgprs: 0
; ScratchSize: 0
; MemoryBound: 0
; FloatMode: 240
; IeeeMode: 1
; LDSByteSize: 0 bytes/workgroup (compile time only)
; SGPRBlocks: 0
; VGPRBlocks: 0
; NumSGPRsForWavesPerEU: 4
; NumVGPRsForWavesPerEU: 1
; AccumOffset: 4
; Occupancy: 8
; WaveLimiterHint : 0
; COMPUTE_PGM_RSRC2:SCRATCH_EN: 0
; COMPUTE_PGM_RSRC2:USER_SGPR: 6
; COMPUTE_PGM_RSRC2:TRAP_HANDLER: 0
; COMPUTE_PGM_RSRC2:TGID_X_EN: 1
; COMPUTE_PGM_RSRC2:TGID_Y_EN: 0
; COMPUTE_PGM_RSRC2:TGID_Z_EN: 0
; COMPUTE_PGM_RSRC2:TIDIG_COMP_CNT: 0
; COMPUTE_PGM_RSRC3_GFX90A:ACCUM_OFFSET: 0
; COMPUTE_PGM_RSRC3_GFX90A:TG_SPLIT: 0
	.section	.text._ZN7rocprim17ROCPRIM_400000_NS6detail17trampoline_kernelINS0_14default_configENS1_20scan_config_selectorIfEEZZNS1_9scan_implILNS1_25lookback_scan_determinismE0ELb0ELb0ES3_N6thrust23THRUST_200600_302600_NS6detail15normal_iteratorINS9_10device_ptrIfEEEESE_f11max_functorIfEfEEDaPvRmT3_T4_T5_mT6_P12ihipStream_tbENKUlT_T0_E_clISt17integral_constantIbLb1EESU_EEDaSP_SQ_EUlSP_E_NS1_11comp_targetILNS1_3genE4ELNS1_11target_archE910ELNS1_3gpuE8ELNS1_3repE0EEENS1_30default_config_static_selectorELNS0_4arch9wavefront6targetE1EEEvT1_,"axG",@progbits,_ZN7rocprim17ROCPRIM_400000_NS6detail17trampoline_kernelINS0_14default_configENS1_20scan_config_selectorIfEEZZNS1_9scan_implILNS1_25lookback_scan_determinismE0ELb0ELb0ES3_N6thrust23THRUST_200600_302600_NS6detail15normal_iteratorINS9_10device_ptrIfEEEESE_f11max_functorIfEfEEDaPvRmT3_T4_T5_mT6_P12ihipStream_tbENKUlT_T0_E_clISt17integral_constantIbLb1EESU_EEDaSP_SQ_EUlSP_E_NS1_11comp_targetILNS1_3genE4ELNS1_11target_archE910ELNS1_3gpuE8ELNS1_3repE0EEENS1_30default_config_static_selectorELNS0_4arch9wavefront6targetE1EEEvT1_,comdat
	.protected	_ZN7rocprim17ROCPRIM_400000_NS6detail17trampoline_kernelINS0_14default_configENS1_20scan_config_selectorIfEEZZNS1_9scan_implILNS1_25lookback_scan_determinismE0ELb0ELb0ES3_N6thrust23THRUST_200600_302600_NS6detail15normal_iteratorINS9_10device_ptrIfEEEESE_f11max_functorIfEfEEDaPvRmT3_T4_T5_mT6_P12ihipStream_tbENKUlT_T0_E_clISt17integral_constantIbLb1EESU_EEDaSP_SQ_EUlSP_E_NS1_11comp_targetILNS1_3genE4ELNS1_11target_archE910ELNS1_3gpuE8ELNS1_3repE0EEENS1_30default_config_static_selectorELNS0_4arch9wavefront6targetE1EEEvT1_ ; -- Begin function _ZN7rocprim17ROCPRIM_400000_NS6detail17trampoline_kernelINS0_14default_configENS1_20scan_config_selectorIfEEZZNS1_9scan_implILNS1_25lookback_scan_determinismE0ELb0ELb0ES3_N6thrust23THRUST_200600_302600_NS6detail15normal_iteratorINS9_10device_ptrIfEEEESE_f11max_functorIfEfEEDaPvRmT3_T4_T5_mT6_P12ihipStream_tbENKUlT_T0_E_clISt17integral_constantIbLb1EESU_EEDaSP_SQ_EUlSP_E_NS1_11comp_targetILNS1_3genE4ELNS1_11target_archE910ELNS1_3gpuE8ELNS1_3repE0EEENS1_30default_config_static_selectorELNS0_4arch9wavefront6targetE1EEEvT1_
	.globl	_ZN7rocprim17ROCPRIM_400000_NS6detail17trampoline_kernelINS0_14default_configENS1_20scan_config_selectorIfEEZZNS1_9scan_implILNS1_25lookback_scan_determinismE0ELb0ELb0ES3_N6thrust23THRUST_200600_302600_NS6detail15normal_iteratorINS9_10device_ptrIfEEEESE_f11max_functorIfEfEEDaPvRmT3_T4_T5_mT6_P12ihipStream_tbENKUlT_T0_E_clISt17integral_constantIbLb1EESU_EEDaSP_SQ_EUlSP_E_NS1_11comp_targetILNS1_3genE4ELNS1_11target_archE910ELNS1_3gpuE8ELNS1_3repE0EEENS1_30default_config_static_selectorELNS0_4arch9wavefront6targetE1EEEvT1_
	.p2align	8
	.type	_ZN7rocprim17ROCPRIM_400000_NS6detail17trampoline_kernelINS0_14default_configENS1_20scan_config_selectorIfEEZZNS1_9scan_implILNS1_25lookback_scan_determinismE0ELb0ELb0ES3_N6thrust23THRUST_200600_302600_NS6detail15normal_iteratorINS9_10device_ptrIfEEEESE_f11max_functorIfEfEEDaPvRmT3_T4_T5_mT6_P12ihipStream_tbENKUlT_T0_E_clISt17integral_constantIbLb1EESU_EEDaSP_SQ_EUlSP_E_NS1_11comp_targetILNS1_3genE4ELNS1_11target_archE910ELNS1_3gpuE8ELNS1_3repE0EEENS1_30default_config_static_selectorELNS0_4arch9wavefront6targetE1EEEvT1_,@function
_ZN7rocprim17ROCPRIM_400000_NS6detail17trampoline_kernelINS0_14default_configENS1_20scan_config_selectorIfEEZZNS1_9scan_implILNS1_25lookback_scan_determinismE0ELb0ELb0ES3_N6thrust23THRUST_200600_302600_NS6detail15normal_iteratorINS9_10device_ptrIfEEEESE_f11max_functorIfEfEEDaPvRmT3_T4_T5_mT6_P12ihipStream_tbENKUlT_T0_E_clISt17integral_constantIbLb1EESU_EEDaSP_SQ_EUlSP_E_NS1_11comp_targetILNS1_3genE4ELNS1_11target_archE910ELNS1_3gpuE8ELNS1_3repE0EEENS1_30default_config_static_selectorELNS0_4arch9wavefront6targetE1EEEvT1_: ; @_ZN7rocprim17ROCPRIM_400000_NS6detail17trampoline_kernelINS0_14default_configENS1_20scan_config_selectorIfEEZZNS1_9scan_implILNS1_25lookback_scan_determinismE0ELb0ELb0ES3_N6thrust23THRUST_200600_302600_NS6detail15normal_iteratorINS9_10device_ptrIfEEEESE_f11max_functorIfEfEEDaPvRmT3_T4_T5_mT6_P12ihipStream_tbENKUlT_T0_E_clISt17integral_constantIbLb1EESU_EEDaSP_SQ_EUlSP_E_NS1_11comp_targetILNS1_3genE4ELNS1_11target_archE910ELNS1_3gpuE8ELNS1_3repE0EEENS1_30default_config_static_selectorELNS0_4arch9wavefront6targetE1EEEvT1_
; %bb.0:
	s_load_dwordx2 s[28:29], s[4:5], 0x28
	v_cmp_ne_u32_e64 s[0:1], 0, v0
	v_cmp_eq_u32_e64 s[2:3], 0, v0
	s_and_saveexec_b64 s[6:7], s[2:3]
	s_cbranch_execz .LBB1963_4
; %bb.1:
	s_mov_b64 s[10:11], exec
	v_mbcnt_lo_u32_b32 v1, s10, 0
	v_mbcnt_hi_u32_b32 v1, s11, v1
	v_cmp_eq_u32_e32 vcc, 0, v1
                                        ; implicit-def: $vgpr2
	s_and_saveexec_b64 s[8:9], vcc
	s_cbranch_execz .LBB1963_3
; %bb.2:
	s_load_dwordx2 s[12:13], s[4:5], 0x58
	s_bcnt1_i32_b64 s10, s[10:11]
	v_mov_b32_e32 v2, 0
	v_mov_b32_e32 v3, s10
	s_waitcnt lgkmcnt(0)
	global_atomic_add v2, v2, v3, s[12:13] glc
.LBB1963_3:
	s_or_b64 exec, exec, s[8:9]
	s_waitcnt vmcnt(0)
	v_readfirstlane_b32 s8, v2
	v_add_u32_e32 v1, s8, v1
	v_mov_b32_e32 v2, 0
	ds_write_b32 v2, v1
.LBB1963_4:
	s_or_b64 exec, exec, s[6:7]
	s_load_dwordx8 s[20:27], s[4:5], 0x0
	s_load_dword s6, s[4:5], 0x30
	s_load_dwordx8 s[12:19], s[4:5], 0x38
	v_mov_b32_e32 v1, 0
	s_waitcnt lgkmcnt(0)
	s_barrier
	ds_read_b32 v1, v1
	s_lshl_b64 s[22:23], s[22:23], 2
	s_add_u32 s7, s20, s22
	s_addc_u32 s8, s21, s23
	s_add_i32 s6, s6, -1
	s_mul_i32 s9, s6, 0x700
	s_sub_u32 s33, s26, s9
	s_waitcnt lgkmcnt(0)
	v_readfirstlane_b32 s35, v1
	s_subb_u32 s34, s27, 0
	s_mul_i32 s4, s35, 0x700
	s_mov_b32 s5, 0
	s_cmp_lg_u32 s35, s6
	s_cselect_b64 s[20:21], -1, 0
	s_lshl_b64 s[26:27], s[4:5], 2
	s_add_u32 s6, s7, s26
	s_addc_u32 s7, s8, s27
	s_mov_b64 s[4:5], -1
	s_and_b64 vcc, exec, s[20:21]
	v_lshlrev_b32_e32 v32, 2, v0
	s_barrier
	s_cbranch_vccz .LBB1963_6
; %bb.5:
	v_mov_b32_e32 v1, s7
	v_add_co_u32_e32 v2, vcc, s6, v32
	v_addc_co_u32_e32 v3, vcc, 0, v1, vcc
	flat_load_dword v1, v[2:3]
	flat_load_dword v4, v[2:3] offset:512
	flat_load_dword v5, v[2:3] offset:1024
	;; [unrolled: 1-line block ×7, first 2 shown]
	v_add_co_u32_e32 v2, vcc, 0x1000, v2
	v_addc_co_u32_e32 v3, vcc, 0, v3, vcc
	flat_load_dword v11, v[2:3]
	flat_load_dword v12, v[2:3] offset:512
	flat_load_dword v13, v[2:3] offset:1024
	;; [unrolled: 1-line block ×5, first 2 shown]
	s_mov_b64 s[4:5], 0
	s_waitcnt vmcnt(0) lgkmcnt(0)
	ds_write2st64_b32 v32, v1, v4 offset1:2
	ds_write2st64_b32 v32, v5, v6 offset0:4 offset1:6
	ds_write2st64_b32 v32, v7, v8 offset0:8 offset1:10
	;; [unrolled: 1-line block ×6, first 2 shown]
	s_waitcnt lgkmcnt(0)
	s_barrier
.LBB1963_6:
	s_andn2_b64 vcc, exec, s[4:5]
	v_cmp_gt_u32_e64 s[4:5], s33, v0
	s_cbranch_vccnz .LBB1963_36
; %bb.7:
	v_pk_mov_b32 v[2:3], s[6:7], s[6:7] op_sel:[0,1]
	flat_load_dword v1, v[2:3]
	s_waitcnt vmcnt(0) lgkmcnt(0)
	v_mov_b32_e32 v2, v1
	v_mov_b32_e32 v3, v1
	;; [unrolled: 1-line block ×12, first 2 shown]
	v_pk_mov_b32 v[16:17], v[14:15], v[14:15] op_sel:[0,1]
	v_pk_mov_b32 v[14:15], v[12:13], v[12:13] op_sel:[0,1]
	;; [unrolled: 1-line block ×8, first 2 shown]
	s_and_saveexec_b64 s[8:9], s[4:5]
	s_cbranch_execz .LBB1963_9
; %bb.8:
	v_mov_b32_e32 v3, s7
	v_add_co_u32_e32 v2, vcc, s6, v32
	v_addc_co_u32_e32 v3, vcc, 0, v3, vcc
	flat_load_dword v18, v[2:3]
	v_mov_b32_e32 v2, v1
	v_mov_b32_e32 v3, v1
	v_mov_b32_e32 v4, v1
	v_mov_b32_e32 v5, v1
	v_mov_b32_e32 v6, v1
	v_mov_b32_e32 v7, v1
	v_mov_b32_e32 v8, v1
	v_mov_b32_e32 v9, v1
	v_mov_b32_e32 v10, v1
	v_mov_b32_e32 v11, v1
	v_mov_b32_e32 v12, v1
	v_mov_b32_e32 v13, v1
	v_pk_mov_b32 v[16:17], v[14:15], v[14:15] op_sel:[0,1]
	v_pk_mov_b32 v[14:15], v[12:13], v[12:13] op_sel:[0,1]
	;; [unrolled: 1-line block ×8, first 2 shown]
	s_waitcnt vmcnt(0) lgkmcnt(0)
	v_mov_b32_e32 v1, v18
.LBB1963_9:
	s_or_b64 exec, exec, s[8:9]
	v_or_b32_e32 v2, 0x80, v0
	v_cmp_gt_u32_e32 vcc, s33, v2
	s_and_saveexec_b64 s[4:5], vcc
	s_cbranch_execz .LBB1963_11
; %bb.10:
	v_mov_b32_e32 v3, s7
	v_add_co_u32_e32 v2, vcc, s6, v32
	v_addc_co_u32_e32 v3, vcc, 0, v3, vcc
	flat_load_dword v3, v[2:3] offset:512
.LBB1963_11:
	s_or_b64 exec, exec, s[4:5]
	v_or_b32_e32 v2, 0x100, v0
	v_cmp_gt_u32_e32 vcc, s33, v2
	s_and_saveexec_b64 s[4:5], vcc
	s_cbranch_execz .LBB1963_13
; %bb.12:
	v_mov_b32_e32 v2, s7
	v_add_co_u32_e32 v16, vcc, s6, v32
	v_addc_co_u32_e32 v17, vcc, 0, v2, vcc
	flat_load_dword v4, v[16:17] offset:1024
.LBB1963_13:
	;; [unrolled: 11-line block ×7, first 2 shown]
	s_or_b64 exec, exec, s[4:5]
	v_or_b32_e32 v2, 0x400, v0
	v_cmp_gt_u32_e32 vcc, s33, v2
	s_and_saveexec_b64 s[4:5], vcc
	s_cbranch_execz .LBB1963_25
; %bb.24:
	v_lshlrev_b32_e32 v2, 2, v2
	v_mov_b32_e32 v10, s7
	v_add_co_u32_e32 v16, vcc, s6, v2
	v_addc_co_u32_e32 v17, vcc, 0, v10, vcc
	flat_load_dword v10, v[16:17]
.LBB1963_25:
	s_or_b64 exec, exec, s[4:5]
	v_or_b32_e32 v2, 0x480, v0
	v_cmp_gt_u32_e32 vcc, s33, v2
	s_and_saveexec_b64 s[4:5], vcc
	s_cbranch_execz .LBB1963_27
; %bb.26:
	v_lshlrev_b32_e32 v2, 2, v2
	v_mov_b32_e32 v11, s7
	v_add_co_u32_e32 v16, vcc, s6, v2
	v_addc_co_u32_e32 v17, vcc, 0, v11, vcc
	flat_load_dword v11, v[16:17]
.LBB1963_27:
	;; [unrolled: 12-line block ×6, first 2 shown]
	s_or_b64 exec, exec, s[4:5]
	s_waitcnt vmcnt(0) lgkmcnt(0)
	ds_write2st64_b32 v32, v1, v3 offset1:2
	ds_write2st64_b32 v32, v4, v5 offset0:4 offset1:6
	ds_write2st64_b32 v32, v6, v7 offset0:8 offset1:10
	;; [unrolled: 1-line block ×6, first 2 shown]
	s_waitcnt lgkmcnt(0)
	s_barrier
.LBB1963_36:
	v_mul_u32_u24_e32 v33, 14, v0
	v_lshlrev_b32_e32 v34, 2, v33
	ds_read2_b64 v[2:5], v34 offset1:1
	ds_read2_b64 v[26:29], v34 offset0:2 offset1:3
	ds_read2_b64 v[22:25], v34 offset0:4 offset1:5
	ds_read_b64 v[30:31], v34 offset:48
	s_cmp_lg_u32 s35, 0
	v_lshrrev_b32_e32 v1, 5, v0
	v_cmp_gt_u32_e32 vcc, 64, v0
	s_waitcnt lgkmcnt(0)
	s_barrier
	s_cbranch_scc0 .LBB1963_65
; %bb.37:
	v_cmp_lt_f32_e64 s[4:5], v2, v3
	v_cndmask_b32_e64 v6, v2, v3, s[4:5]
	v_cmp_lt_f32_e64 s[4:5], v6, v4
	v_cndmask_b32_e64 v6, v6, v4, s[4:5]
	;; [unrolled: 2-line block ×13, first 2 shown]
	v_add_lshl_u32 v6, v1, v0, 2
	ds_write_b32 v6, v16
	s_waitcnt lgkmcnt(0)
	s_barrier
	s_and_saveexec_b64 s[30:31], vcc
	s_cbranch_execz .LBB1963_39
; %bb.38:
	v_lshlrev_b32_e32 v6, 1, v0
	v_lshrrev_b32_e32 v7, 4, v0
	v_add_lshl_u32 v8, v7, v6, 2
	ds_read2_b32 v[6:7], v8 offset1:1
	v_mbcnt_lo_u32_b32 v9, -1, 0
	v_mbcnt_hi_u32_b32 v9, -1, v9
	v_and_b32_e32 v10, 15, v9
	v_cmp_lt_u32_e64 s[10:11], 31, v9
	s_waitcnt lgkmcnt(0)
	v_cmp_lt_f32_e64 s[4:5], v6, v7
	v_cndmask_b32_e64 v7, v6, v7, s[4:5]
	v_cmp_gt_u32_e64 s[8:9], 32, v9
	s_nop 0
	v_mov_b32_dpp v11, v7 row_shr:1 row_mask:0xf bank_mask:0xf
	v_cmp_gt_f32_e64 s[4:5], v7, v11
	v_cndmask_b32_e64 v11, v11, v7, s[4:5]
	v_cmp_eq_u32_e64 s[4:5], 0, v10
	v_cndmask_b32_e64 v7, v11, v7, s[4:5]
	; wave barrier
	s_nop 1
	v_mov_b32_dpp v11, v7 row_shr:2 row_mask:0xf bank_mask:0xf
	v_cmp_gt_f32_e64 s[4:5], v7, v11
	v_cndmask_b32_e64 v11, v11, v7, s[4:5]
	v_cmp_lt_u32_e64 s[4:5], 1, v10
	v_cndmask_b32_e64 v11, v7, v11, s[4:5]
	s_nop 1
	v_mov_b32_dpp v12, v11 row_shr:4 row_mask:0xf bank_mask:0xf
	v_cmp_gt_f32_e64 s[6:7], v11, v12
	v_cndmask_b32_e64 v12, v12, v11, s[6:7]
	v_cmp_lt_u32_e64 s[6:7], 3, v10
	v_cndmask_b32_e64 v11, v11, v12, s[6:7]
	;; [unrolled: 6-line block ×3, first 2 shown]
	v_and_b32_e32 v12, 16, v9
	s_nop 0
	v_mov_b32_dpp v11, v10 row_bcast:15 row_mask:0xf bank_mask:0xf
	v_cmp_gt_f32_e64 s[6:7], v10, v11
	v_cndmask_b32_e64 v11, v11, v10, s[6:7]
	v_cmp_ne_u32_e64 s[6:7], 0, v12
	v_cndmask_b32_e64 v10, v10, v11, s[6:7]
	s_or_b64 s[10:11], s[6:7], s[10:11]
	s_or_b64 s[4:5], s[4:5], s[10:11]
	v_mov_b32_dpp v11, v10 row_bcast:31 row_mask:0xf bank_mask:0xf
	v_cmp_gt_f32_e64 s[6:7], v10, v11
	s_or_b64 s[6:7], s[8:9], s[6:7]
	v_cndmask_b32_e64 v10, v11, v10, s[6:7]
	v_cndmask_b32_e64 v7, v7, v10, s[4:5]
	v_add_u32_e32 v10, -1, v9
	v_and_b32_e32 v11, 64, v9
	v_cmp_lt_i32_e64 s[4:5], v10, v11
	v_cndmask_b32_e64 v9, v10, v9, s[4:5]
	v_lshlrev_b32_e32 v9, 2, v9
	ds_bpermute_b32 v7, v9, v7
	s_waitcnt lgkmcnt(0)
	v_cmp_gt_f32_e64 s[4:5], v6, v7
	v_cndmask_b32_e64 v6, v7, v6, s[4:5]
	v_cndmask_b32_e64 v6, v6, v16, s[2:3]
	ds_write_b32 v8, v6
	; wave barrier
	ds_read_b32 v7, v8 offset:4
	s_waitcnt lgkmcnt(0)
	v_cmp_lt_f32_e64 s[4:5], v6, v7
	v_cndmask_b32_e64 v6, v6, v7, s[4:5]
	ds_write_b32 v8, v6 offset:4
.LBB1963_39:
	s_or_b64 exec, exec, s[30:31]
	s_waitcnt lgkmcnt(0)
	s_barrier
	s_and_saveexec_b64 s[4:5], s[0:1]
	s_cbranch_execz .LBB1963_41
; %bb.40:
	v_add_u32_e32 v6, -1, v0
	v_lshrrev_b32_e32 v7, 5, v6
	v_add_lshl_u32 v6, v7, v6, 2
	ds_read_b32 v16, v6
.LBB1963_41:
	s_or_b64 exec, exec, s[4:5]
	s_and_saveexec_b64 s[10:11], vcc
	s_cbranch_execz .LBB1963_64
; %bb.42:
	v_mov_b32_e32 v15, 0
	ds_read_b32 v6, v15 offset:520
	v_mbcnt_lo_u32_b32 v7, -1, 0
	v_mbcnt_hi_u32_b32 v9, -1, v7
	s_mov_b32 s9, 0
	v_cmp_eq_u32_e64 s[4:5], 0, v9
	s_and_saveexec_b64 s[6:7], s[4:5]
	s_cbranch_execz .LBB1963_44
; %bb.43:
	s_add_i32 s8, s35, 64
	s_lshl_b64 s[8:9], s[8:9], 3
	s_add_u32 s8, s28, s8
	v_mov_b32_e32 v7, 1
	s_addc_u32 s9, s29, s9
	s_waitcnt lgkmcnt(0)
	global_store_dwordx2 v15, v[6:7], s[8:9]
.LBB1963_44:
	s_or_b64 exec, exec, s[6:7]
	v_xad_u32 v8, v9, -1, s35
	v_add_u32_e32 v14, 64, v8
	v_lshlrev_b64 v[10:11], 3, v[14:15]
	v_mov_b32_e32 v7, s29
	v_add_co_u32_e32 v10, vcc, s28, v10
	v_addc_co_u32_e32 v11, vcc, v7, v11, vcc
	global_load_dwordx2 v[12:13], v[10:11], off glc
	s_waitcnt vmcnt(0)
	v_cmp_eq_u16_sdwa s[8:9], v13, v15 src0_sel:BYTE_0 src1_sel:DWORD
	s_and_saveexec_b64 s[6:7], s[8:9]
	s_cbranch_execz .LBB1963_50
; %bb.45:
	s_mov_b32 s30, 1
	s_mov_b64 s[8:9], 0
	v_mov_b32_e32 v7, 0
.LBB1963_46:                            ; =>This Loop Header: Depth=1
                                        ;     Child Loop BB1963_47 Depth 2
	s_max_u32 s31, s30, 1
.LBB1963_47:                            ;   Parent Loop BB1963_46 Depth=1
                                        ; =>  This Inner Loop Header: Depth=2
	s_add_i32 s31, s31, -1
	s_cmp_eq_u32 s31, 0
	s_sleep 1
	s_cbranch_scc0 .LBB1963_47
; %bb.48:                               ;   in Loop: Header=BB1963_46 Depth=1
	global_load_dwordx2 v[12:13], v[10:11], off glc
	s_cmp_lt_u32 s30, 32
	s_cselect_b64 s[36:37], -1, 0
	s_cmp_lg_u64 s[36:37], 0
	s_addc_u32 s30, s30, 0
	s_waitcnt vmcnt(0)
	v_cmp_ne_u16_sdwa s[36:37], v13, v7 src0_sel:BYTE_0 src1_sel:DWORD
	s_or_b64 s[8:9], s[36:37], s[8:9]
	s_andn2_b64 exec, exec, s[8:9]
	s_cbranch_execnz .LBB1963_46
; %bb.49:
	s_or_b64 exec, exec, s[8:9]
.LBB1963_50:
	s_or_b64 exec, exec, s[6:7]
	v_and_b32_e32 v17, 63, v9
	v_cmp_ne_u32_e32 vcc, 63, v17
	v_addc_co_u32_e32 v18, vcc, 0, v9, vcc
	v_lshlrev_b32_e32 v18, 2, v18
	v_mov_b32_e32 v7, 2
	ds_bpermute_b32 v19, v18, v12
	v_cmp_eq_u16_sdwa s[6:7], v13, v7 src0_sel:BYTE_0 src1_sel:DWORD
	v_lshlrev_b64 v[10:11], v9, -1
	v_and_b32_e32 v14, s7, v11
	v_or_b32_e32 v14, 0x80000000, v14
	v_and_b32_e32 v15, s6, v10
	v_ffbl_b32_e32 v14, v14
	v_add_u32_e32 v14, 32, v14
	v_ffbl_b32_e32 v15, v15
	s_waitcnt lgkmcnt(0)
	v_cmp_lt_f32_e32 vcc, v19, v12
	v_cmp_gt_u32_e64 s[6:7], 62, v17
	v_min_u32_e32 v14, v15, v14
	v_cndmask_b32_e32 v15, v19, v12, vcc
	v_cndmask_b32_e64 v19, 0, 1, s[6:7]
	v_cmp_lt_u32_e32 vcc, v17, v14
	v_lshlrev_b32_e32 v19, 1, v19
	v_cndmask_b32_e32 v15, v12, v15, vcc
	v_add_lshl_u32 v19, v19, v9, 2
	ds_bpermute_b32 v21, v19, v15
	v_add_u32_e32 v20, 2, v17
	v_add_u32_e32 v35, 4, v17
	;; [unrolled: 1-line block ×4, first 2 shown]
	s_waitcnt lgkmcnt(0)
	v_cmp_gt_f32_e64 s[6:7], v15, v21
	v_cndmask_b32_e64 v21, v21, v15, s[6:7]
	v_cmp_gt_u32_e64 s[6:7], v20, v14
	v_cndmask_b32_e64 v15, v21, v15, s[6:7]
	v_cmp_gt_u32_e64 s[6:7], 60, v17
	v_cndmask_b32_e64 v21, 0, 1, s[6:7]
	v_lshlrev_b32_e32 v21, 2, v21
	v_add_lshl_u32 v21, v21, v9, 2
	ds_bpermute_b32 v36, v21, v15
	v_add_u32_e32 v42, 32, v17
	s_waitcnt lgkmcnt(0)
	v_cmp_gt_f32_e64 s[6:7], v15, v36
	v_cndmask_b32_e64 v36, v36, v15, s[6:7]
	v_cmp_gt_u32_e64 s[6:7], v35, v14
	v_cndmask_b32_e64 v15, v36, v15, s[6:7]
	v_cmp_gt_u32_e64 s[6:7], 56, v17
	v_cndmask_b32_e64 v36, 0, 1, s[6:7]
	v_lshlrev_b32_e32 v36, 3, v36
	v_add_lshl_u32 v36, v36, v9, 2
	ds_bpermute_b32 v38, v36, v15
	s_waitcnt lgkmcnt(0)
	v_cmp_gt_f32_e64 s[6:7], v15, v38
	v_cndmask_b32_e64 v38, v38, v15, s[6:7]
	v_cmp_gt_u32_e64 s[6:7], v37, v14
	v_cndmask_b32_e64 v15, v38, v15, s[6:7]
	v_cmp_gt_u32_e64 s[6:7], 48, v17
	v_cndmask_b32_e64 v38, 0, 1, s[6:7]
	v_lshlrev_b32_e32 v38, 4, v38
	v_add_lshl_u32 v38, v38, v9, 2
	ds_bpermute_b32 v39, v38, v15
	;; [unrolled: 10-line block ×3, first 2 shown]
	v_cmp_gt_u32_e64 s[6:7], v42, v14
	s_waitcnt lgkmcnt(0)
	v_cmp_gt_f32_e64 s[8:9], v15, v9
	s_or_b64 s[6:7], s[6:7], s[8:9]
	v_cndmask_b32_e64 v9, v9, v15, s[6:7]
	v_cndmask_b32_e32 v12, v12, v9, vcc
	v_mov_b32_e32 v9, 0
	s_branch .LBB1963_52
.LBB1963_51:                            ;   in Loop: Header=BB1963_52 Depth=1
	s_or_b64 exec, exec, s[6:7]
	v_cmp_eq_u16_sdwa s[6:7], v13, v7 src0_sel:BYTE_0 src1_sel:DWORD
	ds_bpermute_b32 v43, v18, v12
	v_and_b32_e32 v14, s7, v11
	v_or_b32_e32 v14, 0x80000000, v14
	v_and_b32_e32 v15, s6, v10
	v_ffbl_b32_e32 v14, v14
	v_add_u32_e32 v14, 32, v14
	v_ffbl_b32_e32 v15, v15
	v_min_u32_e32 v14, v15, v14
	s_waitcnt lgkmcnt(0)
	v_cmp_lt_f32_e32 vcc, v43, v12
	v_cndmask_b32_e32 v15, v43, v12, vcc
	v_cmp_lt_u32_e32 vcc, v17, v14
	v_cndmask_b32_e32 v15, v12, v15, vcc
	ds_bpermute_b32 v43, v19, v15
	v_subrev_u32_e32 v8, 64, v8
	s_waitcnt lgkmcnt(0)
	v_cmp_gt_f32_e64 s[6:7], v15, v43
	v_cndmask_b32_e64 v43, v43, v15, s[6:7]
	v_cmp_gt_u32_e64 s[6:7], v20, v14
	v_cndmask_b32_e64 v15, v43, v15, s[6:7]
	ds_bpermute_b32 v43, v21, v15
	s_waitcnt lgkmcnt(0)
	v_cmp_gt_f32_e64 s[6:7], v15, v43
	v_cndmask_b32_e64 v43, v43, v15, s[6:7]
	v_cmp_gt_u32_e64 s[6:7], v35, v14
	v_cndmask_b32_e64 v15, v43, v15, s[6:7]
	ds_bpermute_b32 v43, v36, v15
	;; [unrolled: 6-line block ×4, first 2 shown]
	v_cmp_gt_u32_e64 s[6:7], v42, v14
	s_waitcnt lgkmcnt(0)
	v_cmp_gt_f32_e64 s[8:9], v15, v43
	s_or_b64 s[6:7], s[6:7], s[8:9]
	v_cndmask_b32_e64 v14, v43, v15, s[6:7]
	v_cndmask_b32_e32 v12, v12, v14, vcc
	v_cmp_lt_f32_e32 vcc, v12, v39
	v_cndmask_b32_e32 v12, v12, v39, vcc
.LBB1963_52:                            ; =>This Loop Header: Depth=1
                                        ;     Child Loop BB1963_55 Depth 2
                                        ;       Child Loop BB1963_56 Depth 3
	v_cmp_ne_u16_sdwa s[6:7], v13, v7 src0_sel:BYTE_0 src1_sel:DWORD
	v_cndmask_b32_e64 v13, 0, 1, s[6:7]
	;;#ASMSTART
	;;#ASMEND
	v_cmp_ne_u32_e32 vcc, 0, v13
	s_cmp_lg_u64 vcc, exec
	v_mov_b32_e32 v39, v12
	s_cbranch_scc1 .LBB1963_59
; %bb.53:                               ;   in Loop: Header=BB1963_52 Depth=1
	v_lshlrev_b64 v[12:13], 3, v[8:9]
	v_mov_b32_e32 v15, s29
	v_add_co_u32_e32 v14, vcc, s28, v12
	v_addc_co_u32_e32 v15, vcc, v15, v13, vcc
	global_load_dwordx2 v[12:13], v[14:15], off glc
	s_waitcnt vmcnt(0)
	v_cmp_eq_u16_sdwa s[8:9], v13, v9 src0_sel:BYTE_0 src1_sel:DWORD
	s_and_saveexec_b64 s[6:7], s[8:9]
	s_cbranch_execz .LBB1963_51
; %bb.54:                               ;   in Loop: Header=BB1963_52 Depth=1
	s_mov_b32 s30, 1
	s_mov_b64 s[8:9], 0
.LBB1963_55:                            ;   Parent Loop BB1963_52 Depth=1
                                        ; =>  This Loop Header: Depth=2
                                        ;       Child Loop BB1963_56 Depth 3
	s_max_u32 s31, s30, 1
.LBB1963_56:                            ;   Parent Loop BB1963_52 Depth=1
                                        ;     Parent Loop BB1963_55 Depth=2
                                        ; =>    This Inner Loop Header: Depth=3
	s_add_i32 s31, s31, -1
	s_cmp_eq_u32 s31, 0
	s_sleep 1
	s_cbranch_scc0 .LBB1963_56
; %bb.57:                               ;   in Loop: Header=BB1963_55 Depth=2
	global_load_dwordx2 v[12:13], v[14:15], off glc
	s_cmp_lt_u32 s30, 32
	s_cselect_b64 s[36:37], -1, 0
	s_cmp_lg_u64 s[36:37], 0
	s_addc_u32 s30, s30, 0
	s_waitcnt vmcnt(0)
	v_cmp_ne_u16_sdwa s[36:37], v13, v9 src0_sel:BYTE_0 src1_sel:DWORD
	s_or_b64 s[8:9], s[36:37], s[8:9]
	s_andn2_b64 exec, exec, s[8:9]
	s_cbranch_execnz .LBB1963_55
; %bb.58:                               ;   in Loop: Header=BB1963_52 Depth=1
	s_or_b64 exec, exec, s[8:9]
	s_branch .LBB1963_51
.LBB1963_59:                            ;   in Loop: Header=BB1963_52 Depth=1
                                        ; implicit-def: $vgpr12
                                        ; implicit-def: $vgpr13
	s_cbranch_execz .LBB1963_52
; %bb.60:
	s_and_saveexec_b64 s[6:7], s[4:5]
	s_cbranch_execz .LBB1963_62
; %bb.61:
	s_add_i32 s4, s35, 64
	s_mov_b32 s5, 0
	s_lshl_b64 s[4:5], s[4:5], 3
	v_cmp_lt_f32_e32 vcc, v39, v6
	s_add_u32 s4, s28, s4
	v_cndmask_b32_e32 v6, v39, v6, vcc
	v_mov_b32_e32 v7, 2
	s_addc_u32 s5, s29, s5
	v_mov_b32_e32 v8, 0
	global_store_dwordx2 v8, v[6:7], s[4:5]
.LBB1963_62:
	s_or_b64 exec, exec, s[6:7]
	s_and_b64 exec, exec, s[2:3]
	s_cbranch_execz .LBB1963_64
; %bb.63:
	v_mov_b32_e32 v6, 0
	ds_write_b32 v6, v39
.LBB1963_64:
	s_or_b64 exec, exec, s[10:11]
	v_mov_b32_e32 v6, 0
	s_waitcnt lgkmcnt(0)
	s_barrier
	ds_read_b32 v6, v6
	v_cmp_lt_f32_e32 vcc, v16, v2
	s_or_b64 vcc, s[2:3], vcc
	v_cndmask_b32_e32 v7, v16, v2, vcc
	s_waitcnt lgkmcnt(0)
	v_cmp_lt_f32_e32 vcc, v6, v7
	v_cndmask_b32_e32 v6, v6, v7, vcc
	v_cmp_lt_f32_e32 vcc, v6, v3
	v_cndmask_b32_e32 v7, v6, v3, vcc
	;; [unrolled: 2-line block ×14, first 2 shown]
	s_branch .LBB1963_77
.LBB1963_65:
                                        ; implicit-def: $vgpr6_vgpr7_vgpr8_vgpr9_vgpr10_vgpr11_vgpr12_vgpr13_vgpr14_vgpr15_vgpr16_vgpr17_vgpr18_vgpr19_vgpr20_vgpr21
	s_cbranch_execz .LBB1963_77
; %bb.66:
	s_cmp_lg_u64 s[16:17], 0
	s_cselect_b64 s[4:5], -1, 0
	s_and_b64 s[6:7], s[2:3], s[4:5]
	s_and_saveexec_b64 s[4:5], s[6:7]
	s_cbranch_execz .LBB1963_68
; %bb.67:
	v_mov_b32_e32 v6, 0
	global_load_dword v6, v6, s[12:13]
	s_waitcnt vmcnt(0)
	v_cmp_lt_f32_e32 vcc, v6, v2
	v_cndmask_b32_e32 v2, v6, v2, vcc
.LBB1963_68:
	s_or_b64 exec, exec, s[4:5]
	v_cmp_lt_f32_e32 vcc, v2, v3
	v_cndmask_b32_e32 v6, v2, v3, vcc
	v_cmp_lt_f32_e32 vcc, v6, v4
	v_cndmask_b32_e32 v6, v6, v4, vcc
	;; [unrolled: 2-line block ×13, first 2 shown]
	v_add_lshl_u32 v1, v1, v0, 2
	v_cmp_gt_u32_e32 vcc, 64, v0
	ds_write_b32 v1, v6
	s_waitcnt lgkmcnt(0)
	s_barrier
	s_and_saveexec_b64 s[10:11], vcc
	s_cbranch_execz .LBB1963_70
; %bb.69:
	v_lshlrev_b32_e32 v1, 1, v0
	v_lshrrev_b32_e32 v7, 4, v0
	v_add_lshl_u32 v1, v7, v1, 2
	ds_read2_b32 v[8:9], v1 offset1:1
	v_mbcnt_lo_u32_b32 v7, -1, 0
	v_mbcnt_hi_u32_b32 v7, -1, v7
	v_and_b32_e32 v10, 15, v7
	v_cmp_lt_u32_e64 s[8:9], 31, v7
	s_waitcnt lgkmcnt(0)
	v_cmp_lt_f32_e32 vcc, v8, v9
	v_cndmask_b32_e32 v9, v8, v9, vcc
	v_cmp_gt_u32_e64 s[6:7], 32, v7
	s_nop 0
	v_mov_b32_dpp v11, v9 row_shr:1 row_mask:0xf bank_mask:0xf
	v_cmp_gt_f32_e32 vcc, v9, v11
	v_cndmask_b32_e32 v11, v11, v9, vcc
	v_cmp_eq_u32_e32 vcc, 0, v10
	v_cndmask_b32_e32 v9, v11, v9, vcc
	; wave barrier
	s_nop 1
	v_mov_b32_dpp v11, v9 row_shr:2 row_mask:0xf bank_mask:0xf
	v_cmp_gt_f32_e32 vcc, v9, v11
	v_cndmask_b32_e32 v11, v11, v9, vcc
	v_cmp_lt_u32_e32 vcc, 1, v10
	v_cndmask_b32_e32 v11, v9, v11, vcc
	s_nop 1
	v_mov_b32_dpp v12, v11 row_shr:4 row_mask:0xf bank_mask:0xf
	v_cmp_gt_f32_e64 s[4:5], v11, v12
	v_cndmask_b32_e64 v12, v12, v11, s[4:5]
	v_cmp_lt_u32_e64 s[4:5], 3, v10
	v_cndmask_b32_e64 v11, v11, v12, s[4:5]
	s_nop 1
	v_mov_b32_dpp v12, v11 row_shr:8 row_mask:0xf bank_mask:0xf
	v_cmp_gt_f32_e64 s[4:5], v11, v12
	v_cndmask_b32_e64 v12, v12, v11, s[4:5]
	v_cmp_lt_u32_e64 s[4:5], 7, v10
	v_cndmask_b32_e64 v10, v11, v12, s[4:5]
	v_and_b32_e32 v12, 16, v7
	s_nop 0
	v_mov_b32_dpp v11, v10 row_bcast:15 row_mask:0xf bank_mask:0xf
	v_cmp_gt_f32_e64 s[4:5], v10, v11
	v_cndmask_b32_e64 v11, v11, v10, s[4:5]
	v_cmp_ne_u32_e64 s[4:5], 0, v12
	v_cndmask_b32_e64 v10, v10, v11, s[4:5]
	s_or_b64 s[8:9], s[4:5], s[8:9]
	s_or_b64 vcc, vcc, s[8:9]
	v_mov_b32_dpp v11, v10 row_bcast:31 row_mask:0xf bank_mask:0xf
	v_cmp_gt_f32_e64 s[4:5], v10, v11
	s_or_b64 s[4:5], s[6:7], s[4:5]
	v_cndmask_b32_e64 v10, v11, v10, s[4:5]
	v_cndmask_b32_e32 v9, v9, v10, vcc
	v_add_u32_e32 v10, -1, v7
	v_and_b32_e32 v11, 64, v7
	v_cmp_lt_i32_e32 vcc, v10, v11
	v_cndmask_b32_e32 v7, v10, v7, vcc
	v_lshlrev_b32_e32 v7, 2, v7
	ds_bpermute_b32 v7, v7, v9
	s_waitcnt lgkmcnt(0)
	v_cmp_gt_f32_e32 vcc, v8, v7
	v_cndmask_b32_e32 v7, v7, v8, vcc
	v_cndmask_b32_e64 v7, v7, v6, s[2:3]
	ds_write_b32 v1, v7
	; wave barrier
	ds_read_b32 v8, v1 offset:4
	s_waitcnt lgkmcnt(0)
	v_cmp_lt_f32_e32 vcc, v7, v8
	v_cndmask_b32_e32 v7, v7, v8, vcc
	ds_write_b32 v1, v7 offset:4
.LBB1963_70:
	s_or_b64 exec, exec, s[10:11]
	s_waitcnt lgkmcnt(0)
	s_barrier
	s_and_saveexec_b64 s[2:3], s[0:1]
	s_cbranch_execz .LBB1963_72
; %bb.71:
	v_add_u32_e32 v1, -1, v0
	v_lshrrev_b32_e32 v6, 5, v1
	v_add_lshl_u32 v1, v6, v1, 2
	ds_read_b32 v6, v1
.LBB1963_72:
	s_or_b64 exec, exec, s[2:3]
	s_and_saveexec_b64 s[2:3], s[0:1]
	s_cbranch_execz .LBB1963_74
; %bb.73:
	s_waitcnt lgkmcnt(0)
	v_cmp_gt_f32_e32 vcc, v2, v6
	v_cndmask_b32_e32 v2, v6, v2, vcc
	;;#ASMSTART
	;;#ASMEND
.LBB1963_74:
	s_or_b64 exec, exec, s[2:3]
	v_cmp_gt_f32_e32 vcc, v3, v2
	v_cndmask_b32_e32 v3, v2, v3, vcc
	v_cmp_lt_f32_e32 vcc, v3, v4
	v_cndmask_b32_e32 v4, v3, v4, vcc
	v_cmp_lt_f32_e32 vcc, v4, v5
	;; [unrolled: 2-line block ×3, first 2 shown]
	s_waitcnt lgkmcnt(0)
	v_cndmask_b32_e32 v6, v5, v26, vcc
	v_cmp_lt_f32_e32 vcc, v6, v27
	v_cndmask_b32_e32 v7, v6, v27, vcc
	v_cmp_lt_f32_e32 vcc, v7, v28
	;; [unrolled: 2-line block ×9, first 2 shown]
	s_movk_i32 s0, 0x7f
	v_cndmask_b32_e32 v15, v14, v31, vcc
	v_cmp_eq_u32_e32 vcc, s0, v0
	s_and_saveexec_b64 s[0:1], vcc
	s_cbranch_execz .LBB1963_76
; %bb.75:
	v_mov_b32_e32 v1, 0
	v_mov_b32_e32 v17, 2
	;; [unrolled: 1-line block ×3, first 2 shown]
	global_store_dwordx2 v1, v[16:17], s[28:29] offset:512
.LBB1963_76:
	s_or_b64 exec, exec, s[0:1]
	v_pk_mov_b32 v[20:21], v[16:17], v[16:17] op_sel:[0,1]
	v_pk_mov_b32 v[18:19], v[14:15], v[14:15] op_sel:[0,1]
	;; [unrolled: 1-line block ×8, first 2 shown]
.LBB1963_77:
	s_add_u32 s0, s24, s22
	s_addc_u32 s1, s25, s23
	s_add_u32 s2, s0, s26
	s_addc_u32 s3, s1, s27
	s_mov_b64 s[0:1], -1
	s_and_b64 vcc, exec, s[20:21]
	s_barrier
	s_cbranch_vccz .LBB1963_79
; %bb.78:
	ds_write2_b64 v34, v[6:7], v[8:9] offset1:1
	ds_write2_b64 v34, v[10:11], v[12:13] offset0:2 offset1:3
	ds_write2_b64 v34, v[14:15], v[16:17] offset0:4 offset1:5
	ds_write_b64 v34, v[18:19] offset:48
	s_waitcnt lgkmcnt(0)
	s_barrier
	ds_read2st64_b32 v[2:3], v32 offset1:2
	ds_read2st64_b32 v[4:5], v32 offset0:4 offset1:6
	ds_read2st64_b32 v[20:21], v32 offset0:8 offset1:10
	;; [unrolled: 1-line block ×6, first 2 shown]
	v_mov_b32_e32 v1, s3
	v_add_co_u32_e32 v30, vcc, s2, v32
	v_addc_co_u32_e32 v31, vcc, 0, v1, vcc
	s_waitcnt lgkmcnt(6)
	flat_store_dword v[30:31], v2
	flat_store_dword v[30:31], v3 offset:512
	s_waitcnt lgkmcnt(0)
	flat_store_dword v[30:31], v4 offset:1024
	flat_store_dword v[30:31], v5 offset:1536
	;; [unrolled: 1-line block ×6, first 2 shown]
	v_add_co_u32_e32 v2, vcc, 0x1000, v30
	v_addc_co_u32_e32 v3, vcc, 0, v31, vcc
	flat_store_dword v[2:3], v24
	flat_store_dword v[2:3], v25 offset:512
	flat_store_dword v[2:3], v26 offset:1024
	;; [unrolled: 1-line block ×5, first 2 shown]
	s_mov_b64 s[0:1], 0
.LBB1963_79:
	s_andn2_b64 vcc, exec, s[0:1]
	s_cbranch_vccnz .LBB1963_159
; %bb.80:
	s_movk_i32 s0, 0xffcc
	ds_write2_b64 v34, v[6:7], v[8:9] offset1:1
	ds_write2_b64 v34, v[10:11], v[12:13] offset0:2 offset1:3
	ds_write2_b64 v34, v[14:15], v[16:17] offset0:4 offset1:5
	ds_write_b64 v34, v[18:19] offset:48
	v_mad_i32_i24 v14, v0, s0, v34
	s_waitcnt lgkmcnt(0)
	s_barrier
	ds_read2st64_b32 v[4:5], v14 offset1:2
	ds_read2st64_b32 v[6:7], v14 offset0:4 offset1:6
	ds_read2st64_b32 v[8:9], v14 offset0:8 offset1:10
	;; [unrolled: 1-line block ×6, first 2 shown]
	v_mov_b32_e32 v17, s3
	v_add_co_u32_e32 v16, vcc, s2, v32
	v_addc_co_u32_e32 v17, vcc, 0, v17, vcc
	v_mov_b32_e32 v1, 0
	v_cmp_gt_u32_e32 vcc, s33, v0
	s_and_saveexec_b64 s[0:1], vcc
	s_cbranch_execz .LBB1963_82
; %bb.81:
	s_waitcnt lgkmcnt(0)
	flat_store_dword v[16:17], v4
.LBB1963_82:
	s_or_b64 exec, exec, s[0:1]
	v_or_b32_e32 v18, 0x80, v0
	v_cmp_gt_u32_e32 vcc, s33, v18
	s_and_saveexec_b64 s[0:1], vcc
	s_cbranch_execz .LBB1963_84
; %bb.83:
	s_waitcnt lgkmcnt(0)
	flat_store_dword v[16:17], v5 offset:512
.LBB1963_84:
	s_or_b64 exec, exec, s[0:1]
	v_or_b32_e32 v18, 0x100, v0
	v_cmp_gt_u32_e32 vcc, s33, v18
	s_and_saveexec_b64 s[0:1], vcc
	s_cbranch_execz .LBB1963_86
; %bb.85:
	s_waitcnt lgkmcnt(0)
	flat_store_dword v[16:17], v6 offset:1024
.LBB1963_86:
	;; [unrolled: 9-line block ×7, first 2 shown]
	s_or_b64 exec, exec, s[0:1]
	v_or_b32_e32 v18, 0x400, v0
	v_cmp_gt_u32_e32 vcc, s33, v18
	s_and_saveexec_b64 s[0:1], vcc
	s_cbranch_execz .LBB1963_98
; %bb.97:
	v_add_co_u32_e32 v18, vcc, 0x1000, v16
	v_addc_co_u32_e32 v19, vcc, 0, v17, vcc
	s_waitcnt lgkmcnt(0)
	flat_store_dword v[18:19], v12
.LBB1963_98:
	s_or_b64 exec, exec, s[0:1]
	v_or_b32_e32 v18, 0x480, v0
	v_cmp_gt_u32_e32 vcc, s33, v18
	s_and_saveexec_b64 s[0:1], vcc
	s_cbranch_execz .LBB1963_100
; %bb.99:
	v_add_co_u32_e32 v18, vcc, 0x1000, v16
	v_addc_co_u32_e32 v19, vcc, 0, v17, vcc
	s_waitcnt lgkmcnt(0)
	flat_store_dword v[18:19], v13 offset:512
.LBB1963_100:
	s_or_b64 exec, exec, s[0:1]
	v_or_b32_e32 v18, 0x500, v0
	v_cmp_gt_u32_e32 vcc, s33, v18
	s_and_saveexec_b64 s[0:1], vcc
	s_cbranch_execz .LBB1963_102
; %bb.101:
	v_add_co_u32_e32 v18, vcc, 0x1000, v16
	v_addc_co_u32_e32 v19, vcc, 0, v17, vcc
	s_waitcnt lgkmcnt(0)
	flat_store_dword v[18:19], v10 offset:1024
.LBB1963_102:
	;; [unrolled: 11-line block ×5, first 2 shown]
	s_or_b64 exec, exec, s[0:1]
	v_cmp_lt_u64_e64 s[0:1], s[18:19], 2
	s_and_b64 vcc, exec, s[0:1]
	s_cbranch_vccnz .LBB1963_159
; %bb.109:
	s_add_u32 s0, s33, -1
	s_addc_u32 s1, s34, -1
	s_add_u32 s2, 0, 0x49240800
	s_addc_u32 s3, 0, 50
	s_add_i32 s3, s3, 0x12492460
	s_mul_hi_u32 s7, s2, -14
	s_sub_i32 s7, s7, s2
	s_mul_i32 s8, s3, -14
	s_mul_i32 s4, s2, -14
	s_add_i32 s7, s7, s8
	s_mul_hi_u32 s5, s3, s4
	s_mul_i32 s6, s3, s4
	s_mul_i32 s9, s2, s7
	s_mul_hi_u32 s4, s2, s4
	s_mul_hi_u32 s8, s2, s7
	s_add_u32 s4, s4, s9
	s_addc_u32 s8, 0, s8
	s_add_u32 s4, s4, s6
	s_mul_hi_u32 s9, s3, s7
	s_addc_u32 s4, s8, s5
	s_addc_u32 s5, s9, 0
	s_mul_i32 s6, s3, s7
	s_add_u32 s4, s4, s6
	v_mov_b32_e32 v16, s4
	s_addc_u32 s5, 0, s5
	v_add_co_u32_e32 v16, vcc, s2, v16
	s_cmp_lg_u64 vcc, 0
	s_addc_u32 s2, s3, s5
	v_readfirstlane_b32 s5, v16
	s_mul_i32 s4, s0, s2
	s_mul_hi_u32 s6, s0, s5
	s_mul_hi_u32 s3, s0, s2
	s_add_u32 s4, s6, s4
	s_addc_u32 s3, 0, s3
	s_mul_hi_u32 s7, s1, s5
	s_mul_i32 s5, s1, s5
	s_add_u32 s4, s4, s5
	s_mul_hi_u32 s6, s1, s2
	s_addc_u32 s3, s3, s7
	s_addc_u32 s4, s6, 0
	s_mul_i32 s2, s1, s2
	s_add_u32 s2, s3, s2
	s_addc_u32 s3, 0, s4
	s_add_u32 s4, s2, 1
	s_addc_u32 s5, s3, 0
	s_add_u32 s6, s2, 2
	s_mul_i32 s8, s3, 14
	s_mul_hi_u32 s9, s2, 14
	s_addc_u32 s7, s3, 0
	s_add_i32 s9, s9, s8
	s_mul_i32 s8, s2, 14
	v_mov_b32_e32 v16, s8
	v_sub_co_u32_e32 v16, vcc, s0, v16
	s_cmp_lg_u64 vcc, 0
	s_subb_u32 s8, s1, s9
	v_subrev_co_u32_e32 v17, vcc, 14, v16
	s_cmp_lg_u64 vcc, 0
	s_subb_u32 s9, s8, 0
	v_readfirstlane_b32 s10, v17
	s_cmp_gt_u32 s10, 13
	s_cselect_b32 s10, -1, 0
	s_cmp_eq_u32 s9, 0
	s_cselect_b32 s9, s10, -1
	s_cmp_lg_u32 s9, 0
	s_cselect_b32 s4, s6, s4
	v_readfirstlane_b32 s6, v16
	s_cselect_b32 s5, s7, s5
	s_cmp_gt_u32 s6, 13
	s_cselect_b32 s6, -1, 0
	s_cmp_eq_u32 s8, 0
	s_cselect_b32 s6, s6, -1
	s_cmp_lg_u32 s6, 0
	s_cselect_b32 s3, s5, s3
	s_cselect_b32 s2, s4, s2
	v_cmp_eq_u64_e32 vcc, s[2:3], v[0:1]
	s_and_saveexec_b64 s[2:3], vcc
	s_cbranch_execz .LBB1963_159
; %bb.110:
	v_mul_hi_u32_u24_e32 v1, 14, v0
	v_mov_b32_e32 v16, s1
	v_sub_co_u32_e32 v0, vcc, s0, v33
	v_subb_co_u32_e32 v1, vcc, v16, v1, vcc
	v_cmp_lt_i64_e32 vcc, 6, v[0:1]
	s_and_saveexec_b64 s[0:1], vcc
	s_xor_b64 s[0:1], exec, s[0:1]
	s_cbranch_execz .LBB1963_136
; %bb.111:
	v_cmp_lt_i64_e32 vcc, 9, v[0:1]
	s_and_saveexec_b64 s[2:3], vcc
	s_xor_b64 s[2:3], exec, s[2:3]
	s_cbranch_execz .LBB1963_125
; %bb.112:
	;; [unrolled: 5-line block ×4, first 2 shown]
	v_mov_b32_e32 v0, 0
	s_waitcnt lgkmcnt(0)
	global_store_dword v0, v15, s[14:15]
                                        ; implicit-def: $vgpr14_vgpr15
.LBB1963_115:
	s_andn2_saveexec_b64 s[6:7], s[6:7]
	s_cbranch_execz .LBB1963_117
; %bb.116:
	v_mov_b32_e32 v0, 0
	s_waitcnt lgkmcnt(0)
	global_store_dword v0, v14, s[14:15]
.LBB1963_117:
	s_or_b64 exec, exec, s[6:7]
                                        ; implicit-def: $vgpr10_vgpr11
                                        ; implicit-def: $vgpr0_vgpr1
.LBB1963_118:
	s_andn2_saveexec_b64 s[4:5], s[4:5]
	s_cbranch_execz .LBB1963_124
; %bb.119:
	v_cmp_lt_i64_e32 vcc, 10, v[0:1]
	s_and_saveexec_b64 s[6:7], vcc
	s_xor_b64 s[6:7], exec, s[6:7]
	s_cbranch_execz .LBB1963_121
; %bb.120:
	v_mov_b32_e32 v0, 0
	s_waitcnt lgkmcnt(0)
	global_store_dword v0, v11, s[14:15]
                                        ; implicit-def: $vgpr10_vgpr11
.LBB1963_121:
	s_andn2_saveexec_b64 s[6:7], s[6:7]
	s_cbranch_execz .LBB1963_123
; %bb.122:
	v_mov_b32_e32 v0, 0
	s_waitcnt lgkmcnt(0)
	global_store_dword v0, v10, s[14:15]
.LBB1963_123:
	s_or_b64 exec, exec, s[6:7]
.LBB1963_124:
	s_or_b64 exec, exec, s[4:5]
                                        ; implicit-def: $vgpr2_vgpr3
                                        ; implicit-def: $vgpr0_vgpr1
                                        ; implicit-def: $vgpr12_vgpr13
.LBB1963_125:
	s_andn2_saveexec_b64 s[2:3], s[2:3]
	s_cbranch_execz .LBB1963_135
; %bb.126:
	v_cmp_lt_i64_e32 vcc, 7, v[0:1]
	s_and_saveexec_b64 s[4:5], vcc
	s_xor_b64 s[4:5], exec, s[4:5]
	s_cbranch_execz .LBB1963_132
; %bb.127:
	v_cmp_lt_i64_e32 vcc, 8, v[0:1]
	s_and_saveexec_b64 s[6:7], vcc
	s_xor_b64 s[6:7], exec, s[6:7]
	s_cbranch_execz .LBB1963_129
; %bb.128:
	v_mov_b32_e32 v0, 0
	s_waitcnt lgkmcnt(0)
	global_store_dword v0, v13, s[14:15]
                                        ; implicit-def: $vgpr12_vgpr13
.LBB1963_129:
	s_andn2_saveexec_b64 s[6:7], s[6:7]
	s_cbranch_execz .LBB1963_131
; %bb.130:
	v_mov_b32_e32 v0, 0
	s_waitcnt lgkmcnt(0)
	global_store_dword v0, v12, s[14:15]
.LBB1963_131:
	s_or_b64 exec, exec, s[6:7]
                                        ; implicit-def: $vgpr2_vgpr3
.LBB1963_132:
	s_andn2_saveexec_b64 s[4:5], s[4:5]
	s_cbranch_execz .LBB1963_134
; %bb.133:
	v_mov_b32_e32 v0, 0
	s_waitcnt lgkmcnt(0)
	global_store_dword v0, v3, s[14:15]
.LBB1963_134:
	s_or_b64 exec, exec, s[4:5]
.LBB1963_135:
	s_or_b64 exec, exec, s[2:3]
                                        ; implicit-def: $vgpr0_vgpr1
                                        ; implicit-def: $vgpr8_vgpr9
                                        ; implicit-def: $vgpr4_vgpr5
                                        ; implicit-def: $vgpr6_vgpr7
                                        ; implicit-def: $vgpr2_vgpr3
.LBB1963_136:
	s_andn2_saveexec_b64 s[0:1], s[0:1]
	s_cbranch_execz .LBB1963_159
; %bb.137:
	v_cmp_lt_i64_e32 vcc, 3, v[0:1]
	s_and_saveexec_b64 s[0:1], vcc
	s_xor_b64 s[0:1], exec, s[0:1]
	s_cbranch_execz .LBB1963_147
; %bb.138:
	v_cmp_lt_i64_e32 vcc, 4, v[0:1]
	s_and_saveexec_b64 s[2:3], vcc
	s_xor_b64 s[2:3], exec, s[2:3]
	;; [unrolled: 5-line block ×3, first 2 shown]
	s_cbranch_execz .LBB1963_141
; %bb.140:
	v_mov_b32_e32 v0, 0
	s_waitcnt lgkmcnt(0)
	global_store_dword v0, v2, s[14:15]
                                        ; implicit-def: $vgpr8_vgpr9
.LBB1963_141:
	s_andn2_saveexec_b64 s[4:5], s[4:5]
	s_cbranch_execz .LBB1963_143
; %bb.142:
	v_mov_b32_e32 v0, 0
	s_waitcnt lgkmcnt(0)
	global_store_dword v0, v9, s[14:15]
.LBB1963_143:
	s_or_b64 exec, exec, s[4:5]
                                        ; implicit-def: $vgpr8_vgpr9
.LBB1963_144:
	s_andn2_saveexec_b64 s[2:3], s[2:3]
	s_cbranch_execz .LBB1963_146
; %bb.145:
	v_mov_b32_e32 v0, 0
	s_waitcnt lgkmcnt(0)
	global_store_dword v0, v8, s[14:15]
.LBB1963_146:
	s_or_b64 exec, exec, s[2:3]
                                        ; implicit-def: $vgpr0_vgpr1
                                        ; implicit-def: $vgpr4_vgpr5
                                        ; implicit-def: $vgpr6_vgpr7
.LBB1963_147:
	s_andn2_saveexec_b64 s[0:1], s[0:1]
	s_cbranch_execz .LBB1963_159
; %bb.148:
	v_cmp_lt_i64_e32 vcc, 1, v[0:1]
	s_and_saveexec_b64 s[0:1], vcc
	s_xor_b64 s[0:1], exec, s[0:1]
	s_cbranch_execz .LBB1963_154
; %bb.149:
	v_cmp_lt_i64_e32 vcc, 2, v[0:1]
	s_and_saveexec_b64 s[2:3], vcc
	s_xor_b64 s[2:3], exec, s[2:3]
	s_cbranch_execz .LBB1963_151
; %bb.150:
	v_mov_b32_e32 v0, 0
	s_waitcnt lgkmcnt(0)
	global_store_dword v0, v7, s[14:15]
                                        ; implicit-def: $vgpr6_vgpr7
.LBB1963_151:
	s_andn2_saveexec_b64 s[2:3], s[2:3]
	s_cbranch_execz .LBB1963_153
; %bb.152:
	v_mov_b32_e32 v0, 0
	s_waitcnt lgkmcnt(0)
	global_store_dword v0, v6, s[14:15]
.LBB1963_153:
	s_or_b64 exec, exec, s[2:3]
                                        ; implicit-def: $vgpr4_vgpr5
                                        ; implicit-def: $vgpr0_vgpr1
.LBB1963_154:
	s_andn2_saveexec_b64 s[0:1], s[0:1]
	s_cbranch_execz .LBB1963_159
; %bb.155:
	v_cmp_ne_u64_e32 vcc, 1, v[0:1]
	s_and_saveexec_b64 s[0:1], vcc
	s_xor_b64 s[0:1], exec, s[0:1]
	s_cbranch_execz .LBB1963_157
; %bb.156:
	v_mov_b32_e32 v0, 0
	s_waitcnt lgkmcnt(0)
	global_store_dword v0, v4, s[14:15]
                                        ; implicit-def: $vgpr4_vgpr5
.LBB1963_157:
	s_andn2_saveexec_b64 s[0:1], s[0:1]
	s_cbranch_execz .LBB1963_159
; %bb.158:
	v_mov_b32_e32 v0, 0
	s_waitcnt lgkmcnt(0)
	global_store_dword v0, v5, s[14:15]
.LBB1963_159:
	s_endpgm
	.section	.rodata,"a",@progbits
	.p2align	6, 0x0
	.amdhsa_kernel _ZN7rocprim17ROCPRIM_400000_NS6detail17trampoline_kernelINS0_14default_configENS1_20scan_config_selectorIfEEZZNS1_9scan_implILNS1_25lookback_scan_determinismE0ELb0ELb0ES3_N6thrust23THRUST_200600_302600_NS6detail15normal_iteratorINS9_10device_ptrIfEEEESE_f11max_functorIfEfEEDaPvRmT3_T4_T5_mT6_P12ihipStream_tbENKUlT_T0_E_clISt17integral_constantIbLb1EESU_EEDaSP_SQ_EUlSP_E_NS1_11comp_targetILNS1_3genE4ELNS1_11target_archE910ELNS1_3gpuE8ELNS1_3repE0EEENS1_30default_config_static_selectorELNS0_4arch9wavefront6targetE1EEEvT1_
		.amdhsa_group_segment_fixed_size 7168
		.amdhsa_private_segment_fixed_size 0
		.amdhsa_kernarg_size 96
		.amdhsa_user_sgpr_count 6
		.amdhsa_user_sgpr_private_segment_buffer 1
		.amdhsa_user_sgpr_dispatch_ptr 0
		.amdhsa_user_sgpr_queue_ptr 0
		.amdhsa_user_sgpr_kernarg_segment_ptr 1
		.amdhsa_user_sgpr_dispatch_id 0
		.amdhsa_user_sgpr_flat_scratch_init 0
		.amdhsa_user_sgpr_kernarg_preload_length 0
		.amdhsa_user_sgpr_kernarg_preload_offset 0
		.amdhsa_user_sgpr_private_segment_size 0
		.amdhsa_uses_dynamic_stack 0
		.amdhsa_system_sgpr_private_segment_wavefront_offset 0
		.amdhsa_system_sgpr_workgroup_id_x 1
		.amdhsa_system_sgpr_workgroup_id_y 0
		.amdhsa_system_sgpr_workgroup_id_z 0
		.amdhsa_system_sgpr_workgroup_info 0
		.amdhsa_system_vgpr_workitem_id 0
		.amdhsa_next_free_vgpr 44
		.amdhsa_next_free_sgpr 38
		.amdhsa_accum_offset 44
		.amdhsa_reserve_vcc 1
		.amdhsa_reserve_flat_scratch 0
		.amdhsa_float_round_mode_32 0
		.amdhsa_float_round_mode_16_64 0
		.amdhsa_float_denorm_mode_32 3
		.amdhsa_float_denorm_mode_16_64 3
		.amdhsa_dx10_clamp 1
		.amdhsa_ieee_mode 1
		.amdhsa_fp16_overflow 0
		.amdhsa_tg_split 0
		.amdhsa_exception_fp_ieee_invalid_op 0
		.amdhsa_exception_fp_denorm_src 0
		.amdhsa_exception_fp_ieee_div_zero 0
		.amdhsa_exception_fp_ieee_overflow 0
		.amdhsa_exception_fp_ieee_underflow 0
		.amdhsa_exception_fp_ieee_inexact 0
		.amdhsa_exception_int_div_zero 0
	.end_amdhsa_kernel
	.section	.text._ZN7rocprim17ROCPRIM_400000_NS6detail17trampoline_kernelINS0_14default_configENS1_20scan_config_selectorIfEEZZNS1_9scan_implILNS1_25lookback_scan_determinismE0ELb0ELb0ES3_N6thrust23THRUST_200600_302600_NS6detail15normal_iteratorINS9_10device_ptrIfEEEESE_f11max_functorIfEfEEDaPvRmT3_T4_T5_mT6_P12ihipStream_tbENKUlT_T0_E_clISt17integral_constantIbLb1EESU_EEDaSP_SQ_EUlSP_E_NS1_11comp_targetILNS1_3genE4ELNS1_11target_archE910ELNS1_3gpuE8ELNS1_3repE0EEENS1_30default_config_static_selectorELNS0_4arch9wavefront6targetE1EEEvT1_,"axG",@progbits,_ZN7rocprim17ROCPRIM_400000_NS6detail17trampoline_kernelINS0_14default_configENS1_20scan_config_selectorIfEEZZNS1_9scan_implILNS1_25lookback_scan_determinismE0ELb0ELb0ES3_N6thrust23THRUST_200600_302600_NS6detail15normal_iteratorINS9_10device_ptrIfEEEESE_f11max_functorIfEfEEDaPvRmT3_T4_T5_mT6_P12ihipStream_tbENKUlT_T0_E_clISt17integral_constantIbLb1EESU_EEDaSP_SQ_EUlSP_E_NS1_11comp_targetILNS1_3genE4ELNS1_11target_archE910ELNS1_3gpuE8ELNS1_3repE0EEENS1_30default_config_static_selectorELNS0_4arch9wavefront6targetE1EEEvT1_,comdat
.Lfunc_end1963:
	.size	_ZN7rocprim17ROCPRIM_400000_NS6detail17trampoline_kernelINS0_14default_configENS1_20scan_config_selectorIfEEZZNS1_9scan_implILNS1_25lookback_scan_determinismE0ELb0ELb0ES3_N6thrust23THRUST_200600_302600_NS6detail15normal_iteratorINS9_10device_ptrIfEEEESE_f11max_functorIfEfEEDaPvRmT3_T4_T5_mT6_P12ihipStream_tbENKUlT_T0_E_clISt17integral_constantIbLb1EESU_EEDaSP_SQ_EUlSP_E_NS1_11comp_targetILNS1_3genE4ELNS1_11target_archE910ELNS1_3gpuE8ELNS1_3repE0EEENS1_30default_config_static_selectorELNS0_4arch9wavefront6targetE1EEEvT1_, .Lfunc_end1963-_ZN7rocprim17ROCPRIM_400000_NS6detail17trampoline_kernelINS0_14default_configENS1_20scan_config_selectorIfEEZZNS1_9scan_implILNS1_25lookback_scan_determinismE0ELb0ELb0ES3_N6thrust23THRUST_200600_302600_NS6detail15normal_iteratorINS9_10device_ptrIfEEEESE_f11max_functorIfEfEEDaPvRmT3_T4_T5_mT6_P12ihipStream_tbENKUlT_T0_E_clISt17integral_constantIbLb1EESU_EEDaSP_SQ_EUlSP_E_NS1_11comp_targetILNS1_3genE4ELNS1_11target_archE910ELNS1_3gpuE8ELNS1_3repE0EEENS1_30default_config_static_selectorELNS0_4arch9wavefront6targetE1EEEvT1_
                                        ; -- End function
	.section	.AMDGPU.csdata,"",@progbits
; Kernel info:
; codeLenInByte = 6436
; NumSgprs: 42
; NumVgprs: 44
; NumAgprs: 0
; TotalNumVgprs: 44
; ScratchSize: 0
; MemoryBound: 0
; FloatMode: 240
; IeeeMode: 1
; LDSByteSize: 7168 bytes/workgroup (compile time only)
; SGPRBlocks: 5
; VGPRBlocks: 5
; NumSGPRsForWavesPerEU: 42
; NumVGPRsForWavesPerEU: 44
; AccumOffset: 44
; Occupancy: 5
; WaveLimiterHint : 1
; COMPUTE_PGM_RSRC2:SCRATCH_EN: 0
; COMPUTE_PGM_RSRC2:USER_SGPR: 6
; COMPUTE_PGM_RSRC2:TRAP_HANDLER: 0
; COMPUTE_PGM_RSRC2:TGID_X_EN: 1
; COMPUTE_PGM_RSRC2:TGID_Y_EN: 0
; COMPUTE_PGM_RSRC2:TGID_Z_EN: 0
; COMPUTE_PGM_RSRC2:TIDIG_COMP_CNT: 0
; COMPUTE_PGM_RSRC3_GFX90A:ACCUM_OFFSET: 10
; COMPUTE_PGM_RSRC3_GFX90A:TG_SPLIT: 0
	.section	.text._ZN7rocprim17ROCPRIM_400000_NS6detail17trampoline_kernelINS0_14default_configENS1_20scan_config_selectorIfEEZZNS1_9scan_implILNS1_25lookback_scan_determinismE0ELb0ELb0ES3_N6thrust23THRUST_200600_302600_NS6detail15normal_iteratorINS9_10device_ptrIfEEEESE_f11max_functorIfEfEEDaPvRmT3_T4_T5_mT6_P12ihipStream_tbENKUlT_T0_E_clISt17integral_constantIbLb1EESU_EEDaSP_SQ_EUlSP_E_NS1_11comp_targetILNS1_3genE3ELNS1_11target_archE908ELNS1_3gpuE7ELNS1_3repE0EEENS1_30default_config_static_selectorELNS0_4arch9wavefront6targetE1EEEvT1_,"axG",@progbits,_ZN7rocprim17ROCPRIM_400000_NS6detail17trampoline_kernelINS0_14default_configENS1_20scan_config_selectorIfEEZZNS1_9scan_implILNS1_25lookback_scan_determinismE0ELb0ELb0ES3_N6thrust23THRUST_200600_302600_NS6detail15normal_iteratorINS9_10device_ptrIfEEEESE_f11max_functorIfEfEEDaPvRmT3_T4_T5_mT6_P12ihipStream_tbENKUlT_T0_E_clISt17integral_constantIbLb1EESU_EEDaSP_SQ_EUlSP_E_NS1_11comp_targetILNS1_3genE3ELNS1_11target_archE908ELNS1_3gpuE7ELNS1_3repE0EEENS1_30default_config_static_selectorELNS0_4arch9wavefront6targetE1EEEvT1_,comdat
	.protected	_ZN7rocprim17ROCPRIM_400000_NS6detail17trampoline_kernelINS0_14default_configENS1_20scan_config_selectorIfEEZZNS1_9scan_implILNS1_25lookback_scan_determinismE0ELb0ELb0ES3_N6thrust23THRUST_200600_302600_NS6detail15normal_iteratorINS9_10device_ptrIfEEEESE_f11max_functorIfEfEEDaPvRmT3_T4_T5_mT6_P12ihipStream_tbENKUlT_T0_E_clISt17integral_constantIbLb1EESU_EEDaSP_SQ_EUlSP_E_NS1_11comp_targetILNS1_3genE3ELNS1_11target_archE908ELNS1_3gpuE7ELNS1_3repE0EEENS1_30default_config_static_selectorELNS0_4arch9wavefront6targetE1EEEvT1_ ; -- Begin function _ZN7rocprim17ROCPRIM_400000_NS6detail17trampoline_kernelINS0_14default_configENS1_20scan_config_selectorIfEEZZNS1_9scan_implILNS1_25lookback_scan_determinismE0ELb0ELb0ES3_N6thrust23THRUST_200600_302600_NS6detail15normal_iteratorINS9_10device_ptrIfEEEESE_f11max_functorIfEfEEDaPvRmT3_T4_T5_mT6_P12ihipStream_tbENKUlT_T0_E_clISt17integral_constantIbLb1EESU_EEDaSP_SQ_EUlSP_E_NS1_11comp_targetILNS1_3genE3ELNS1_11target_archE908ELNS1_3gpuE7ELNS1_3repE0EEENS1_30default_config_static_selectorELNS0_4arch9wavefront6targetE1EEEvT1_
	.globl	_ZN7rocprim17ROCPRIM_400000_NS6detail17trampoline_kernelINS0_14default_configENS1_20scan_config_selectorIfEEZZNS1_9scan_implILNS1_25lookback_scan_determinismE0ELb0ELb0ES3_N6thrust23THRUST_200600_302600_NS6detail15normal_iteratorINS9_10device_ptrIfEEEESE_f11max_functorIfEfEEDaPvRmT3_T4_T5_mT6_P12ihipStream_tbENKUlT_T0_E_clISt17integral_constantIbLb1EESU_EEDaSP_SQ_EUlSP_E_NS1_11comp_targetILNS1_3genE3ELNS1_11target_archE908ELNS1_3gpuE7ELNS1_3repE0EEENS1_30default_config_static_selectorELNS0_4arch9wavefront6targetE1EEEvT1_
	.p2align	8
	.type	_ZN7rocprim17ROCPRIM_400000_NS6detail17trampoline_kernelINS0_14default_configENS1_20scan_config_selectorIfEEZZNS1_9scan_implILNS1_25lookback_scan_determinismE0ELb0ELb0ES3_N6thrust23THRUST_200600_302600_NS6detail15normal_iteratorINS9_10device_ptrIfEEEESE_f11max_functorIfEfEEDaPvRmT3_T4_T5_mT6_P12ihipStream_tbENKUlT_T0_E_clISt17integral_constantIbLb1EESU_EEDaSP_SQ_EUlSP_E_NS1_11comp_targetILNS1_3genE3ELNS1_11target_archE908ELNS1_3gpuE7ELNS1_3repE0EEENS1_30default_config_static_selectorELNS0_4arch9wavefront6targetE1EEEvT1_,@function
_ZN7rocprim17ROCPRIM_400000_NS6detail17trampoline_kernelINS0_14default_configENS1_20scan_config_selectorIfEEZZNS1_9scan_implILNS1_25lookback_scan_determinismE0ELb0ELb0ES3_N6thrust23THRUST_200600_302600_NS6detail15normal_iteratorINS9_10device_ptrIfEEEESE_f11max_functorIfEfEEDaPvRmT3_T4_T5_mT6_P12ihipStream_tbENKUlT_T0_E_clISt17integral_constantIbLb1EESU_EEDaSP_SQ_EUlSP_E_NS1_11comp_targetILNS1_3genE3ELNS1_11target_archE908ELNS1_3gpuE7ELNS1_3repE0EEENS1_30default_config_static_selectorELNS0_4arch9wavefront6targetE1EEEvT1_: ; @_ZN7rocprim17ROCPRIM_400000_NS6detail17trampoline_kernelINS0_14default_configENS1_20scan_config_selectorIfEEZZNS1_9scan_implILNS1_25lookback_scan_determinismE0ELb0ELb0ES3_N6thrust23THRUST_200600_302600_NS6detail15normal_iteratorINS9_10device_ptrIfEEEESE_f11max_functorIfEfEEDaPvRmT3_T4_T5_mT6_P12ihipStream_tbENKUlT_T0_E_clISt17integral_constantIbLb1EESU_EEDaSP_SQ_EUlSP_E_NS1_11comp_targetILNS1_3genE3ELNS1_11target_archE908ELNS1_3gpuE7ELNS1_3repE0EEENS1_30default_config_static_selectorELNS0_4arch9wavefront6targetE1EEEvT1_
; %bb.0:
	.section	.rodata,"a",@progbits
	.p2align	6, 0x0
	.amdhsa_kernel _ZN7rocprim17ROCPRIM_400000_NS6detail17trampoline_kernelINS0_14default_configENS1_20scan_config_selectorIfEEZZNS1_9scan_implILNS1_25lookback_scan_determinismE0ELb0ELb0ES3_N6thrust23THRUST_200600_302600_NS6detail15normal_iteratorINS9_10device_ptrIfEEEESE_f11max_functorIfEfEEDaPvRmT3_T4_T5_mT6_P12ihipStream_tbENKUlT_T0_E_clISt17integral_constantIbLb1EESU_EEDaSP_SQ_EUlSP_E_NS1_11comp_targetILNS1_3genE3ELNS1_11target_archE908ELNS1_3gpuE7ELNS1_3repE0EEENS1_30default_config_static_selectorELNS0_4arch9wavefront6targetE1EEEvT1_
		.amdhsa_group_segment_fixed_size 0
		.amdhsa_private_segment_fixed_size 0
		.amdhsa_kernarg_size 96
		.amdhsa_user_sgpr_count 6
		.amdhsa_user_sgpr_private_segment_buffer 1
		.amdhsa_user_sgpr_dispatch_ptr 0
		.amdhsa_user_sgpr_queue_ptr 0
		.amdhsa_user_sgpr_kernarg_segment_ptr 1
		.amdhsa_user_sgpr_dispatch_id 0
		.amdhsa_user_sgpr_flat_scratch_init 0
		.amdhsa_user_sgpr_kernarg_preload_length 0
		.amdhsa_user_sgpr_kernarg_preload_offset 0
		.amdhsa_user_sgpr_private_segment_size 0
		.amdhsa_uses_dynamic_stack 0
		.amdhsa_system_sgpr_private_segment_wavefront_offset 0
		.amdhsa_system_sgpr_workgroup_id_x 1
		.amdhsa_system_sgpr_workgroup_id_y 0
		.amdhsa_system_sgpr_workgroup_id_z 0
		.amdhsa_system_sgpr_workgroup_info 0
		.amdhsa_system_vgpr_workitem_id 0
		.amdhsa_next_free_vgpr 1
		.amdhsa_next_free_sgpr 0
		.amdhsa_accum_offset 4
		.amdhsa_reserve_vcc 0
		.amdhsa_reserve_flat_scratch 0
		.amdhsa_float_round_mode_32 0
		.amdhsa_float_round_mode_16_64 0
		.amdhsa_float_denorm_mode_32 3
		.amdhsa_float_denorm_mode_16_64 3
		.amdhsa_dx10_clamp 1
		.amdhsa_ieee_mode 1
		.amdhsa_fp16_overflow 0
		.amdhsa_tg_split 0
		.amdhsa_exception_fp_ieee_invalid_op 0
		.amdhsa_exception_fp_denorm_src 0
		.amdhsa_exception_fp_ieee_div_zero 0
		.amdhsa_exception_fp_ieee_overflow 0
		.amdhsa_exception_fp_ieee_underflow 0
		.amdhsa_exception_fp_ieee_inexact 0
		.amdhsa_exception_int_div_zero 0
	.end_amdhsa_kernel
	.section	.text._ZN7rocprim17ROCPRIM_400000_NS6detail17trampoline_kernelINS0_14default_configENS1_20scan_config_selectorIfEEZZNS1_9scan_implILNS1_25lookback_scan_determinismE0ELb0ELb0ES3_N6thrust23THRUST_200600_302600_NS6detail15normal_iteratorINS9_10device_ptrIfEEEESE_f11max_functorIfEfEEDaPvRmT3_T4_T5_mT6_P12ihipStream_tbENKUlT_T0_E_clISt17integral_constantIbLb1EESU_EEDaSP_SQ_EUlSP_E_NS1_11comp_targetILNS1_3genE3ELNS1_11target_archE908ELNS1_3gpuE7ELNS1_3repE0EEENS1_30default_config_static_selectorELNS0_4arch9wavefront6targetE1EEEvT1_,"axG",@progbits,_ZN7rocprim17ROCPRIM_400000_NS6detail17trampoline_kernelINS0_14default_configENS1_20scan_config_selectorIfEEZZNS1_9scan_implILNS1_25lookback_scan_determinismE0ELb0ELb0ES3_N6thrust23THRUST_200600_302600_NS6detail15normal_iteratorINS9_10device_ptrIfEEEESE_f11max_functorIfEfEEDaPvRmT3_T4_T5_mT6_P12ihipStream_tbENKUlT_T0_E_clISt17integral_constantIbLb1EESU_EEDaSP_SQ_EUlSP_E_NS1_11comp_targetILNS1_3genE3ELNS1_11target_archE908ELNS1_3gpuE7ELNS1_3repE0EEENS1_30default_config_static_selectorELNS0_4arch9wavefront6targetE1EEEvT1_,comdat
.Lfunc_end1964:
	.size	_ZN7rocprim17ROCPRIM_400000_NS6detail17trampoline_kernelINS0_14default_configENS1_20scan_config_selectorIfEEZZNS1_9scan_implILNS1_25lookback_scan_determinismE0ELb0ELb0ES3_N6thrust23THRUST_200600_302600_NS6detail15normal_iteratorINS9_10device_ptrIfEEEESE_f11max_functorIfEfEEDaPvRmT3_T4_T5_mT6_P12ihipStream_tbENKUlT_T0_E_clISt17integral_constantIbLb1EESU_EEDaSP_SQ_EUlSP_E_NS1_11comp_targetILNS1_3genE3ELNS1_11target_archE908ELNS1_3gpuE7ELNS1_3repE0EEENS1_30default_config_static_selectorELNS0_4arch9wavefront6targetE1EEEvT1_, .Lfunc_end1964-_ZN7rocprim17ROCPRIM_400000_NS6detail17trampoline_kernelINS0_14default_configENS1_20scan_config_selectorIfEEZZNS1_9scan_implILNS1_25lookback_scan_determinismE0ELb0ELb0ES3_N6thrust23THRUST_200600_302600_NS6detail15normal_iteratorINS9_10device_ptrIfEEEESE_f11max_functorIfEfEEDaPvRmT3_T4_T5_mT6_P12ihipStream_tbENKUlT_T0_E_clISt17integral_constantIbLb1EESU_EEDaSP_SQ_EUlSP_E_NS1_11comp_targetILNS1_3genE3ELNS1_11target_archE908ELNS1_3gpuE7ELNS1_3repE0EEENS1_30default_config_static_selectorELNS0_4arch9wavefront6targetE1EEEvT1_
                                        ; -- End function
	.section	.AMDGPU.csdata,"",@progbits
; Kernel info:
; codeLenInByte = 0
; NumSgprs: 4
; NumVgprs: 0
; NumAgprs: 0
; TotalNumVgprs: 0
; ScratchSize: 0
; MemoryBound: 0
; FloatMode: 240
; IeeeMode: 1
; LDSByteSize: 0 bytes/workgroup (compile time only)
; SGPRBlocks: 0
; VGPRBlocks: 0
; NumSGPRsForWavesPerEU: 4
; NumVGPRsForWavesPerEU: 1
; AccumOffset: 4
; Occupancy: 8
; WaveLimiterHint : 0
; COMPUTE_PGM_RSRC2:SCRATCH_EN: 0
; COMPUTE_PGM_RSRC2:USER_SGPR: 6
; COMPUTE_PGM_RSRC2:TRAP_HANDLER: 0
; COMPUTE_PGM_RSRC2:TGID_X_EN: 1
; COMPUTE_PGM_RSRC2:TGID_Y_EN: 0
; COMPUTE_PGM_RSRC2:TGID_Z_EN: 0
; COMPUTE_PGM_RSRC2:TIDIG_COMP_CNT: 0
; COMPUTE_PGM_RSRC3_GFX90A:ACCUM_OFFSET: 0
; COMPUTE_PGM_RSRC3_GFX90A:TG_SPLIT: 0
	.section	.text._ZN7rocprim17ROCPRIM_400000_NS6detail17trampoline_kernelINS0_14default_configENS1_20scan_config_selectorIfEEZZNS1_9scan_implILNS1_25lookback_scan_determinismE0ELb0ELb0ES3_N6thrust23THRUST_200600_302600_NS6detail15normal_iteratorINS9_10device_ptrIfEEEESE_f11max_functorIfEfEEDaPvRmT3_T4_T5_mT6_P12ihipStream_tbENKUlT_T0_E_clISt17integral_constantIbLb1EESU_EEDaSP_SQ_EUlSP_E_NS1_11comp_targetILNS1_3genE2ELNS1_11target_archE906ELNS1_3gpuE6ELNS1_3repE0EEENS1_30default_config_static_selectorELNS0_4arch9wavefront6targetE1EEEvT1_,"axG",@progbits,_ZN7rocprim17ROCPRIM_400000_NS6detail17trampoline_kernelINS0_14default_configENS1_20scan_config_selectorIfEEZZNS1_9scan_implILNS1_25lookback_scan_determinismE0ELb0ELb0ES3_N6thrust23THRUST_200600_302600_NS6detail15normal_iteratorINS9_10device_ptrIfEEEESE_f11max_functorIfEfEEDaPvRmT3_T4_T5_mT6_P12ihipStream_tbENKUlT_T0_E_clISt17integral_constantIbLb1EESU_EEDaSP_SQ_EUlSP_E_NS1_11comp_targetILNS1_3genE2ELNS1_11target_archE906ELNS1_3gpuE6ELNS1_3repE0EEENS1_30default_config_static_selectorELNS0_4arch9wavefront6targetE1EEEvT1_,comdat
	.protected	_ZN7rocprim17ROCPRIM_400000_NS6detail17trampoline_kernelINS0_14default_configENS1_20scan_config_selectorIfEEZZNS1_9scan_implILNS1_25lookback_scan_determinismE0ELb0ELb0ES3_N6thrust23THRUST_200600_302600_NS6detail15normal_iteratorINS9_10device_ptrIfEEEESE_f11max_functorIfEfEEDaPvRmT3_T4_T5_mT6_P12ihipStream_tbENKUlT_T0_E_clISt17integral_constantIbLb1EESU_EEDaSP_SQ_EUlSP_E_NS1_11comp_targetILNS1_3genE2ELNS1_11target_archE906ELNS1_3gpuE6ELNS1_3repE0EEENS1_30default_config_static_selectorELNS0_4arch9wavefront6targetE1EEEvT1_ ; -- Begin function _ZN7rocprim17ROCPRIM_400000_NS6detail17trampoline_kernelINS0_14default_configENS1_20scan_config_selectorIfEEZZNS1_9scan_implILNS1_25lookback_scan_determinismE0ELb0ELb0ES3_N6thrust23THRUST_200600_302600_NS6detail15normal_iteratorINS9_10device_ptrIfEEEESE_f11max_functorIfEfEEDaPvRmT3_T4_T5_mT6_P12ihipStream_tbENKUlT_T0_E_clISt17integral_constantIbLb1EESU_EEDaSP_SQ_EUlSP_E_NS1_11comp_targetILNS1_3genE2ELNS1_11target_archE906ELNS1_3gpuE6ELNS1_3repE0EEENS1_30default_config_static_selectorELNS0_4arch9wavefront6targetE1EEEvT1_
	.globl	_ZN7rocprim17ROCPRIM_400000_NS6detail17trampoline_kernelINS0_14default_configENS1_20scan_config_selectorIfEEZZNS1_9scan_implILNS1_25lookback_scan_determinismE0ELb0ELb0ES3_N6thrust23THRUST_200600_302600_NS6detail15normal_iteratorINS9_10device_ptrIfEEEESE_f11max_functorIfEfEEDaPvRmT3_T4_T5_mT6_P12ihipStream_tbENKUlT_T0_E_clISt17integral_constantIbLb1EESU_EEDaSP_SQ_EUlSP_E_NS1_11comp_targetILNS1_3genE2ELNS1_11target_archE906ELNS1_3gpuE6ELNS1_3repE0EEENS1_30default_config_static_selectorELNS0_4arch9wavefront6targetE1EEEvT1_
	.p2align	8
	.type	_ZN7rocprim17ROCPRIM_400000_NS6detail17trampoline_kernelINS0_14default_configENS1_20scan_config_selectorIfEEZZNS1_9scan_implILNS1_25lookback_scan_determinismE0ELb0ELb0ES3_N6thrust23THRUST_200600_302600_NS6detail15normal_iteratorINS9_10device_ptrIfEEEESE_f11max_functorIfEfEEDaPvRmT3_T4_T5_mT6_P12ihipStream_tbENKUlT_T0_E_clISt17integral_constantIbLb1EESU_EEDaSP_SQ_EUlSP_E_NS1_11comp_targetILNS1_3genE2ELNS1_11target_archE906ELNS1_3gpuE6ELNS1_3repE0EEENS1_30default_config_static_selectorELNS0_4arch9wavefront6targetE1EEEvT1_,@function
_ZN7rocprim17ROCPRIM_400000_NS6detail17trampoline_kernelINS0_14default_configENS1_20scan_config_selectorIfEEZZNS1_9scan_implILNS1_25lookback_scan_determinismE0ELb0ELb0ES3_N6thrust23THRUST_200600_302600_NS6detail15normal_iteratorINS9_10device_ptrIfEEEESE_f11max_functorIfEfEEDaPvRmT3_T4_T5_mT6_P12ihipStream_tbENKUlT_T0_E_clISt17integral_constantIbLb1EESU_EEDaSP_SQ_EUlSP_E_NS1_11comp_targetILNS1_3genE2ELNS1_11target_archE906ELNS1_3gpuE6ELNS1_3repE0EEENS1_30default_config_static_selectorELNS0_4arch9wavefront6targetE1EEEvT1_: ; @_ZN7rocprim17ROCPRIM_400000_NS6detail17trampoline_kernelINS0_14default_configENS1_20scan_config_selectorIfEEZZNS1_9scan_implILNS1_25lookback_scan_determinismE0ELb0ELb0ES3_N6thrust23THRUST_200600_302600_NS6detail15normal_iteratorINS9_10device_ptrIfEEEESE_f11max_functorIfEfEEDaPvRmT3_T4_T5_mT6_P12ihipStream_tbENKUlT_T0_E_clISt17integral_constantIbLb1EESU_EEDaSP_SQ_EUlSP_E_NS1_11comp_targetILNS1_3genE2ELNS1_11target_archE906ELNS1_3gpuE6ELNS1_3repE0EEENS1_30default_config_static_selectorELNS0_4arch9wavefront6targetE1EEEvT1_
; %bb.0:
	.section	.rodata,"a",@progbits
	.p2align	6, 0x0
	.amdhsa_kernel _ZN7rocprim17ROCPRIM_400000_NS6detail17trampoline_kernelINS0_14default_configENS1_20scan_config_selectorIfEEZZNS1_9scan_implILNS1_25lookback_scan_determinismE0ELb0ELb0ES3_N6thrust23THRUST_200600_302600_NS6detail15normal_iteratorINS9_10device_ptrIfEEEESE_f11max_functorIfEfEEDaPvRmT3_T4_T5_mT6_P12ihipStream_tbENKUlT_T0_E_clISt17integral_constantIbLb1EESU_EEDaSP_SQ_EUlSP_E_NS1_11comp_targetILNS1_3genE2ELNS1_11target_archE906ELNS1_3gpuE6ELNS1_3repE0EEENS1_30default_config_static_selectorELNS0_4arch9wavefront6targetE1EEEvT1_
		.amdhsa_group_segment_fixed_size 0
		.amdhsa_private_segment_fixed_size 0
		.amdhsa_kernarg_size 96
		.amdhsa_user_sgpr_count 6
		.amdhsa_user_sgpr_private_segment_buffer 1
		.amdhsa_user_sgpr_dispatch_ptr 0
		.amdhsa_user_sgpr_queue_ptr 0
		.amdhsa_user_sgpr_kernarg_segment_ptr 1
		.amdhsa_user_sgpr_dispatch_id 0
		.amdhsa_user_sgpr_flat_scratch_init 0
		.amdhsa_user_sgpr_kernarg_preload_length 0
		.amdhsa_user_sgpr_kernarg_preload_offset 0
		.amdhsa_user_sgpr_private_segment_size 0
		.amdhsa_uses_dynamic_stack 0
		.amdhsa_system_sgpr_private_segment_wavefront_offset 0
		.amdhsa_system_sgpr_workgroup_id_x 1
		.amdhsa_system_sgpr_workgroup_id_y 0
		.amdhsa_system_sgpr_workgroup_id_z 0
		.amdhsa_system_sgpr_workgroup_info 0
		.amdhsa_system_vgpr_workitem_id 0
		.amdhsa_next_free_vgpr 1
		.amdhsa_next_free_sgpr 0
		.amdhsa_accum_offset 4
		.amdhsa_reserve_vcc 0
		.amdhsa_reserve_flat_scratch 0
		.amdhsa_float_round_mode_32 0
		.amdhsa_float_round_mode_16_64 0
		.amdhsa_float_denorm_mode_32 3
		.amdhsa_float_denorm_mode_16_64 3
		.amdhsa_dx10_clamp 1
		.amdhsa_ieee_mode 1
		.amdhsa_fp16_overflow 0
		.amdhsa_tg_split 0
		.amdhsa_exception_fp_ieee_invalid_op 0
		.amdhsa_exception_fp_denorm_src 0
		.amdhsa_exception_fp_ieee_div_zero 0
		.amdhsa_exception_fp_ieee_overflow 0
		.amdhsa_exception_fp_ieee_underflow 0
		.amdhsa_exception_fp_ieee_inexact 0
		.amdhsa_exception_int_div_zero 0
	.end_amdhsa_kernel
	.section	.text._ZN7rocprim17ROCPRIM_400000_NS6detail17trampoline_kernelINS0_14default_configENS1_20scan_config_selectorIfEEZZNS1_9scan_implILNS1_25lookback_scan_determinismE0ELb0ELb0ES3_N6thrust23THRUST_200600_302600_NS6detail15normal_iteratorINS9_10device_ptrIfEEEESE_f11max_functorIfEfEEDaPvRmT3_T4_T5_mT6_P12ihipStream_tbENKUlT_T0_E_clISt17integral_constantIbLb1EESU_EEDaSP_SQ_EUlSP_E_NS1_11comp_targetILNS1_3genE2ELNS1_11target_archE906ELNS1_3gpuE6ELNS1_3repE0EEENS1_30default_config_static_selectorELNS0_4arch9wavefront6targetE1EEEvT1_,"axG",@progbits,_ZN7rocprim17ROCPRIM_400000_NS6detail17trampoline_kernelINS0_14default_configENS1_20scan_config_selectorIfEEZZNS1_9scan_implILNS1_25lookback_scan_determinismE0ELb0ELb0ES3_N6thrust23THRUST_200600_302600_NS6detail15normal_iteratorINS9_10device_ptrIfEEEESE_f11max_functorIfEfEEDaPvRmT3_T4_T5_mT6_P12ihipStream_tbENKUlT_T0_E_clISt17integral_constantIbLb1EESU_EEDaSP_SQ_EUlSP_E_NS1_11comp_targetILNS1_3genE2ELNS1_11target_archE906ELNS1_3gpuE6ELNS1_3repE0EEENS1_30default_config_static_selectorELNS0_4arch9wavefront6targetE1EEEvT1_,comdat
.Lfunc_end1965:
	.size	_ZN7rocprim17ROCPRIM_400000_NS6detail17trampoline_kernelINS0_14default_configENS1_20scan_config_selectorIfEEZZNS1_9scan_implILNS1_25lookback_scan_determinismE0ELb0ELb0ES3_N6thrust23THRUST_200600_302600_NS6detail15normal_iteratorINS9_10device_ptrIfEEEESE_f11max_functorIfEfEEDaPvRmT3_T4_T5_mT6_P12ihipStream_tbENKUlT_T0_E_clISt17integral_constantIbLb1EESU_EEDaSP_SQ_EUlSP_E_NS1_11comp_targetILNS1_3genE2ELNS1_11target_archE906ELNS1_3gpuE6ELNS1_3repE0EEENS1_30default_config_static_selectorELNS0_4arch9wavefront6targetE1EEEvT1_, .Lfunc_end1965-_ZN7rocprim17ROCPRIM_400000_NS6detail17trampoline_kernelINS0_14default_configENS1_20scan_config_selectorIfEEZZNS1_9scan_implILNS1_25lookback_scan_determinismE0ELb0ELb0ES3_N6thrust23THRUST_200600_302600_NS6detail15normal_iteratorINS9_10device_ptrIfEEEESE_f11max_functorIfEfEEDaPvRmT3_T4_T5_mT6_P12ihipStream_tbENKUlT_T0_E_clISt17integral_constantIbLb1EESU_EEDaSP_SQ_EUlSP_E_NS1_11comp_targetILNS1_3genE2ELNS1_11target_archE906ELNS1_3gpuE6ELNS1_3repE0EEENS1_30default_config_static_selectorELNS0_4arch9wavefront6targetE1EEEvT1_
                                        ; -- End function
	.section	.AMDGPU.csdata,"",@progbits
; Kernel info:
; codeLenInByte = 0
; NumSgprs: 4
; NumVgprs: 0
; NumAgprs: 0
; TotalNumVgprs: 0
; ScratchSize: 0
; MemoryBound: 0
; FloatMode: 240
; IeeeMode: 1
; LDSByteSize: 0 bytes/workgroup (compile time only)
; SGPRBlocks: 0
; VGPRBlocks: 0
; NumSGPRsForWavesPerEU: 4
; NumVGPRsForWavesPerEU: 1
; AccumOffset: 4
; Occupancy: 8
; WaveLimiterHint : 0
; COMPUTE_PGM_RSRC2:SCRATCH_EN: 0
; COMPUTE_PGM_RSRC2:USER_SGPR: 6
; COMPUTE_PGM_RSRC2:TRAP_HANDLER: 0
; COMPUTE_PGM_RSRC2:TGID_X_EN: 1
; COMPUTE_PGM_RSRC2:TGID_Y_EN: 0
; COMPUTE_PGM_RSRC2:TGID_Z_EN: 0
; COMPUTE_PGM_RSRC2:TIDIG_COMP_CNT: 0
; COMPUTE_PGM_RSRC3_GFX90A:ACCUM_OFFSET: 0
; COMPUTE_PGM_RSRC3_GFX90A:TG_SPLIT: 0
	.section	.text._ZN7rocprim17ROCPRIM_400000_NS6detail17trampoline_kernelINS0_14default_configENS1_20scan_config_selectorIfEEZZNS1_9scan_implILNS1_25lookback_scan_determinismE0ELb0ELb0ES3_N6thrust23THRUST_200600_302600_NS6detail15normal_iteratorINS9_10device_ptrIfEEEESE_f11max_functorIfEfEEDaPvRmT3_T4_T5_mT6_P12ihipStream_tbENKUlT_T0_E_clISt17integral_constantIbLb1EESU_EEDaSP_SQ_EUlSP_E_NS1_11comp_targetILNS1_3genE10ELNS1_11target_archE1201ELNS1_3gpuE5ELNS1_3repE0EEENS1_30default_config_static_selectorELNS0_4arch9wavefront6targetE1EEEvT1_,"axG",@progbits,_ZN7rocprim17ROCPRIM_400000_NS6detail17trampoline_kernelINS0_14default_configENS1_20scan_config_selectorIfEEZZNS1_9scan_implILNS1_25lookback_scan_determinismE0ELb0ELb0ES3_N6thrust23THRUST_200600_302600_NS6detail15normal_iteratorINS9_10device_ptrIfEEEESE_f11max_functorIfEfEEDaPvRmT3_T4_T5_mT6_P12ihipStream_tbENKUlT_T0_E_clISt17integral_constantIbLb1EESU_EEDaSP_SQ_EUlSP_E_NS1_11comp_targetILNS1_3genE10ELNS1_11target_archE1201ELNS1_3gpuE5ELNS1_3repE0EEENS1_30default_config_static_selectorELNS0_4arch9wavefront6targetE1EEEvT1_,comdat
	.protected	_ZN7rocprim17ROCPRIM_400000_NS6detail17trampoline_kernelINS0_14default_configENS1_20scan_config_selectorIfEEZZNS1_9scan_implILNS1_25lookback_scan_determinismE0ELb0ELb0ES3_N6thrust23THRUST_200600_302600_NS6detail15normal_iteratorINS9_10device_ptrIfEEEESE_f11max_functorIfEfEEDaPvRmT3_T4_T5_mT6_P12ihipStream_tbENKUlT_T0_E_clISt17integral_constantIbLb1EESU_EEDaSP_SQ_EUlSP_E_NS1_11comp_targetILNS1_3genE10ELNS1_11target_archE1201ELNS1_3gpuE5ELNS1_3repE0EEENS1_30default_config_static_selectorELNS0_4arch9wavefront6targetE1EEEvT1_ ; -- Begin function _ZN7rocprim17ROCPRIM_400000_NS6detail17trampoline_kernelINS0_14default_configENS1_20scan_config_selectorIfEEZZNS1_9scan_implILNS1_25lookback_scan_determinismE0ELb0ELb0ES3_N6thrust23THRUST_200600_302600_NS6detail15normal_iteratorINS9_10device_ptrIfEEEESE_f11max_functorIfEfEEDaPvRmT3_T4_T5_mT6_P12ihipStream_tbENKUlT_T0_E_clISt17integral_constantIbLb1EESU_EEDaSP_SQ_EUlSP_E_NS1_11comp_targetILNS1_3genE10ELNS1_11target_archE1201ELNS1_3gpuE5ELNS1_3repE0EEENS1_30default_config_static_selectorELNS0_4arch9wavefront6targetE1EEEvT1_
	.globl	_ZN7rocprim17ROCPRIM_400000_NS6detail17trampoline_kernelINS0_14default_configENS1_20scan_config_selectorIfEEZZNS1_9scan_implILNS1_25lookback_scan_determinismE0ELb0ELb0ES3_N6thrust23THRUST_200600_302600_NS6detail15normal_iteratorINS9_10device_ptrIfEEEESE_f11max_functorIfEfEEDaPvRmT3_T4_T5_mT6_P12ihipStream_tbENKUlT_T0_E_clISt17integral_constantIbLb1EESU_EEDaSP_SQ_EUlSP_E_NS1_11comp_targetILNS1_3genE10ELNS1_11target_archE1201ELNS1_3gpuE5ELNS1_3repE0EEENS1_30default_config_static_selectorELNS0_4arch9wavefront6targetE1EEEvT1_
	.p2align	8
	.type	_ZN7rocprim17ROCPRIM_400000_NS6detail17trampoline_kernelINS0_14default_configENS1_20scan_config_selectorIfEEZZNS1_9scan_implILNS1_25lookback_scan_determinismE0ELb0ELb0ES3_N6thrust23THRUST_200600_302600_NS6detail15normal_iteratorINS9_10device_ptrIfEEEESE_f11max_functorIfEfEEDaPvRmT3_T4_T5_mT6_P12ihipStream_tbENKUlT_T0_E_clISt17integral_constantIbLb1EESU_EEDaSP_SQ_EUlSP_E_NS1_11comp_targetILNS1_3genE10ELNS1_11target_archE1201ELNS1_3gpuE5ELNS1_3repE0EEENS1_30default_config_static_selectorELNS0_4arch9wavefront6targetE1EEEvT1_,@function
_ZN7rocprim17ROCPRIM_400000_NS6detail17trampoline_kernelINS0_14default_configENS1_20scan_config_selectorIfEEZZNS1_9scan_implILNS1_25lookback_scan_determinismE0ELb0ELb0ES3_N6thrust23THRUST_200600_302600_NS6detail15normal_iteratorINS9_10device_ptrIfEEEESE_f11max_functorIfEfEEDaPvRmT3_T4_T5_mT6_P12ihipStream_tbENKUlT_T0_E_clISt17integral_constantIbLb1EESU_EEDaSP_SQ_EUlSP_E_NS1_11comp_targetILNS1_3genE10ELNS1_11target_archE1201ELNS1_3gpuE5ELNS1_3repE0EEENS1_30default_config_static_selectorELNS0_4arch9wavefront6targetE1EEEvT1_: ; @_ZN7rocprim17ROCPRIM_400000_NS6detail17trampoline_kernelINS0_14default_configENS1_20scan_config_selectorIfEEZZNS1_9scan_implILNS1_25lookback_scan_determinismE0ELb0ELb0ES3_N6thrust23THRUST_200600_302600_NS6detail15normal_iteratorINS9_10device_ptrIfEEEESE_f11max_functorIfEfEEDaPvRmT3_T4_T5_mT6_P12ihipStream_tbENKUlT_T0_E_clISt17integral_constantIbLb1EESU_EEDaSP_SQ_EUlSP_E_NS1_11comp_targetILNS1_3genE10ELNS1_11target_archE1201ELNS1_3gpuE5ELNS1_3repE0EEENS1_30default_config_static_selectorELNS0_4arch9wavefront6targetE1EEEvT1_
; %bb.0:
	.section	.rodata,"a",@progbits
	.p2align	6, 0x0
	.amdhsa_kernel _ZN7rocprim17ROCPRIM_400000_NS6detail17trampoline_kernelINS0_14default_configENS1_20scan_config_selectorIfEEZZNS1_9scan_implILNS1_25lookback_scan_determinismE0ELb0ELb0ES3_N6thrust23THRUST_200600_302600_NS6detail15normal_iteratorINS9_10device_ptrIfEEEESE_f11max_functorIfEfEEDaPvRmT3_T4_T5_mT6_P12ihipStream_tbENKUlT_T0_E_clISt17integral_constantIbLb1EESU_EEDaSP_SQ_EUlSP_E_NS1_11comp_targetILNS1_3genE10ELNS1_11target_archE1201ELNS1_3gpuE5ELNS1_3repE0EEENS1_30default_config_static_selectorELNS0_4arch9wavefront6targetE1EEEvT1_
		.amdhsa_group_segment_fixed_size 0
		.amdhsa_private_segment_fixed_size 0
		.amdhsa_kernarg_size 96
		.amdhsa_user_sgpr_count 6
		.amdhsa_user_sgpr_private_segment_buffer 1
		.amdhsa_user_sgpr_dispatch_ptr 0
		.amdhsa_user_sgpr_queue_ptr 0
		.amdhsa_user_sgpr_kernarg_segment_ptr 1
		.amdhsa_user_sgpr_dispatch_id 0
		.amdhsa_user_sgpr_flat_scratch_init 0
		.amdhsa_user_sgpr_kernarg_preload_length 0
		.amdhsa_user_sgpr_kernarg_preload_offset 0
		.amdhsa_user_sgpr_private_segment_size 0
		.amdhsa_uses_dynamic_stack 0
		.amdhsa_system_sgpr_private_segment_wavefront_offset 0
		.amdhsa_system_sgpr_workgroup_id_x 1
		.amdhsa_system_sgpr_workgroup_id_y 0
		.amdhsa_system_sgpr_workgroup_id_z 0
		.amdhsa_system_sgpr_workgroup_info 0
		.amdhsa_system_vgpr_workitem_id 0
		.amdhsa_next_free_vgpr 1
		.amdhsa_next_free_sgpr 0
		.amdhsa_accum_offset 4
		.amdhsa_reserve_vcc 0
		.amdhsa_reserve_flat_scratch 0
		.amdhsa_float_round_mode_32 0
		.amdhsa_float_round_mode_16_64 0
		.amdhsa_float_denorm_mode_32 3
		.amdhsa_float_denorm_mode_16_64 3
		.amdhsa_dx10_clamp 1
		.amdhsa_ieee_mode 1
		.amdhsa_fp16_overflow 0
		.amdhsa_tg_split 0
		.amdhsa_exception_fp_ieee_invalid_op 0
		.amdhsa_exception_fp_denorm_src 0
		.amdhsa_exception_fp_ieee_div_zero 0
		.amdhsa_exception_fp_ieee_overflow 0
		.amdhsa_exception_fp_ieee_underflow 0
		.amdhsa_exception_fp_ieee_inexact 0
		.amdhsa_exception_int_div_zero 0
	.end_amdhsa_kernel
	.section	.text._ZN7rocprim17ROCPRIM_400000_NS6detail17trampoline_kernelINS0_14default_configENS1_20scan_config_selectorIfEEZZNS1_9scan_implILNS1_25lookback_scan_determinismE0ELb0ELb0ES3_N6thrust23THRUST_200600_302600_NS6detail15normal_iteratorINS9_10device_ptrIfEEEESE_f11max_functorIfEfEEDaPvRmT3_T4_T5_mT6_P12ihipStream_tbENKUlT_T0_E_clISt17integral_constantIbLb1EESU_EEDaSP_SQ_EUlSP_E_NS1_11comp_targetILNS1_3genE10ELNS1_11target_archE1201ELNS1_3gpuE5ELNS1_3repE0EEENS1_30default_config_static_selectorELNS0_4arch9wavefront6targetE1EEEvT1_,"axG",@progbits,_ZN7rocprim17ROCPRIM_400000_NS6detail17trampoline_kernelINS0_14default_configENS1_20scan_config_selectorIfEEZZNS1_9scan_implILNS1_25lookback_scan_determinismE0ELb0ELb0ES3_N6thrust23THRUST_200600_302600_NS6detail15normal_iteratorINS9_10device_ptrIfEEEESE_f11max_functorIfEfEEDaPvRmT3_T4_T5_mT6_P12ihipStream_tbENKUlT_T0_E_clISt17integral_constantIbLb1EESU_EEDaSP_SQ_EUlSP_E_NS1_11comp_targetILNS1_3genE10ELNS1_11target_archE1201ELNS1_3gpuE5ELNS1_3repE0EEENS1_30default_config_static_selectorELNS0_4arch9wavefront6targetE1EEEvT1_,comdat
.Lfunc_end1966:
	.size	_ZN7rocprim17ROCPRIM_400000_NS6detail17trampoline_kernelINS0_14default_configENS1_20scan_config_selectorIfEEZZNS1_9scan_implILNS1_25lookback_scan_determinismE0ELb0ELb0ES3_N6thrust23THRUST_200600_302600_NS6detail15normal_iteratorINS9_10device_ptrIfEEEESE_f11max_functorIfEfEEDaPvRmT3_T4_T5_mT6_P12ihipStream_tbENKUlT_T0_E_clISt17integral_constantIbLb1EESU_EEDaSP_SQ_EUlSP_E_NS1_11comp_targetILNS1_3genE10ELNS1_11target_archE1201ELNS1_3gpuE5ELNS1_3repE0EEENS1_30default_config_static_selectorELNS0_4arch9wavefront6targetE1EEEvT1_, .Lfunc_end1966-_ZN7rocprim17ROCPRIM_400000_NS6detail17trampoline_kernelINS0_14default_configENS1_20scan_config_selectorIfEEZZNS1_9scan_implILNS1_25lookback_scan_determinismE0ELb0ELb0ES3_N6thrust23THRUST_200600_302600_NS6detail15normal_iteratorINS9_10device_ptrIfEEEESE_f11max_functorIfEfEEDaPvRmT3_T4_T5_mT6_P12ihipStream_tbENKUlT_T0_E_clISt17integral_constantIbLb1EESU_EEDaSP_SQ_EUlSP_E_NS1_11comp_targetILNS1_3genE10ELNS1_11target_archE1201ELNS1_3gpuE5ELNS1_3repE0EEENS1_30default_config_static_selectorELNS0_4arch9wavefront6targetE1EEEvT1_
                                        ; -- End function
	.section	.AMDGPU.csdata,"",@progbits
; Kernel info:
; codeLenInByte = 0
; NumSgprs: 4
; NumVgprs: 0
; NumAgprs: 0
; TotalNumVgprs: 0
; ScratchSize: 0
; MemoryBound: 0
; FloatMode: 240
; IeeeMode: 1
; LDSByteSize: 0 bytes/workgroup (compile time only)
; SGPRBlocks: 0
; VGPRBlocks: 0
; NumSGPRsForWavesPerEU: 4
; NumVGPRsForWavesPerEU: 1
; AccumOffset: 4
; Occupancy: 8
; WaveLimiterHint : 0
; COMPUTE_PGM_RSRC2:SCRATCH_EN: 0
; COMPUTE_PGM_RSRC2:USER_SGPR: 6
; COMPUTE_PGM_RSRC2:TRAP_HANDLER: 0
; COMPUTE_PGM_RSRC2:TGID_X_EN: 1
; COMPUTE_PGM_RSRC2:TGID_Y_EN: 0
; COMPUTE_PGM_RSRC2:TGID_Z_EN: 0
; COMPUTE_PGM_RSRC2:TIDIG_COMP_CNT: 0
; COMPUTE_PGM_RSRC3_GFX90A:ACCUM_OFFSET: 0
; COMPUTE_PGM_RSRC3_GFX90A:TG_SPLIT: 0
	.section	.text._ZN7rocprim17ROCPRIM_400000_NS6detail17trampoline_kernelINS0_14default_configENS1_20scan_config_selectorIfEEZZNS1_9scan_implILNS1_25lookback_scan_determinismE0ELb0ELb0ES3_N6thrust23THRUST_200600_302600_NS6detail15normal_iteratorINS9_10device_ptrIfEEEESE_f11max_functorIfEfEEDaPvRmT3_T4_T5_mT6_P12ihipStream_tbENKUlT_T0_E_clISt17integral_constantIbLb1EESU_EEDaSP_SQ_EUlSP_E_NS1_11comp_targetILNS1_3genE10ELNS1_11target_archE1200ELNS1_3gpuE4ELNS1_3repE0EEENS1_30default_config_static_selectorELNS0_4arch9wavefront6targetE1EEEvT1_,"axG",@progbits,_ZN7rocprim17ROCPRIM_400000_NS6detail17trampoline_kernelINS0_14default_configENS1_20scan_config_selectorIfEEZZNS1_9scan_implILNS1_25lookback_scan_determinismE0ELb0ELb0ES3_N6thrust23THRUST_200600_302600_NS6detail15normal_iteratorINS9_10device_ptrIfEEEESE_f11max_functorIfEfEEDaPvRmT3_T4_T5_mT6_P12ihipStream_tbENKUlT_T0_E_clISt17integral_constantIbLb1EESU_EEDaSP_SQ_EUlSP_E_NS1_11comp_targetILNS1_3genE10ELNS1_11target_archE1200ELNS1_3gpuE4ELNS1_3repE0EEENS1_30default_config_static_selectorELNS0_4arch9wavefront6targetE1EEEvT1_,comdat
	.protected	_ZN7rocprim17ROCPRIM_400000_NS6detail17trampoline_kernelINS0_14default_configENS1_20scan_config_selectorIfEEZZNS1_9scan_implILNS1_25lookback_scan_determinismE0ELb0ELb0ES3_N6thrust23THRUST_200600_302600_NS6detail15normal_iteratorINS9_10device_ptrIfEEEESE_f11max_functorIfEfEEDaPvRmT3_T4_T5_mT6_P12ihipStream_tbENKUlT_T0_E_clISt17integral_constantIbLb1EESU_EEDaSP_SQ_EUlSP_E_NS1_11comp_targetILNS1_3genE10ELNS1_11target_archE1200ELNS1_3gpuE4ELNS1_3repE0EEENS1_30default_config_static_selectorELNS0_4arch9wavefront6targetE1EEEvT1_ ; -- Begin function _ZN7rocprim17ROCPRIM_400000_NS6detail17trampoline_kernelINS0_14default_configENS1_20scan_config_selectorIfEEZZNS1_9scan_implILNS1_25lookback_scan_determinismE0ELb0ELb0ES3_N6thrust23THRUST_200600_302600_NS6detail15normal_iteratorINS9_10device_ptrIfEEEESE_f11max_functorIfEfEEDaPvRmT3_T4_T5_mT6_P12ihipStream_tbENKUlT_T0_E_clISt17integral_constantIbLb1EESU_EEDaSP_SQ_EUlSP_E_NS1_11comp_targetILNS1_3genE10ELNS1_11target_archE1200ELNS1_3gpuE4ELNS1_3repE0EEENS1_30default_config_static_selectorELNS0_4arch9wavefront6targetE1EEEvT1_
	.globl	_ZN7rocprim17ROCPRIM_400000_NS6detail17trampoline_kernelINS0_14default_configENS1_20scan_config_selectorIfEEZZNS1_9scan_implILNS1_25lookback_scan_determinismE0ELb0ELb0ES3_N6thrust23THRUST_200600_302600_NS6detail15normal_iteratorINS9_10device_ptrIfEEEESE_f11max_functorIfEfEEDaPvRmT3_T4_T5_mT6_P12ihipStream_tbENKUlT_T0_E_clISt17integral_constantIbLb1EESU_EEDaSP_SQ_EUlSP_E_NS1_11comp_targetILNS1_3genE10ELNS1_11target_archE1200ELNS1_3gpuE4ELNS1_3repE0EEENS1_30default_config_static_selectorELNS0_4arch9wavefront6targetE1EEEvT1_
	.p2align	8
	.type	_ZN7rocprim17ROCPRIM_400000_NS6detail17trampoline_kernelINS0_14default_configENS1_20scan_config_selectorIfEEZZNS1_9scan_implILNS1_25lookback_scan_determinismE0ELb0ELb0ES3_N6thrust23THRUST_200600_302600_NS6detail15normal_iteratorINS9_10device_ptrIfEEEESE_f11max_functorIfEfEEDaPvRmT3_T4_T5_mT6_P12ihipStream_tbENKUlT_T0_E_clISt17integral_constantIbLb1EESU_EEDaSP_SQ_EUlSP_E_NS1_11comp_targetILNS1_3genE10ELNS1_11target_archE1200ELNS1_3gpuE4ELNS1_3repE0EEENS1_30default_config_static_selectorELNS0_4arch9wavefront6targetE1EEEvT1_,@function
_ZN7rocprim17ROCPRIM_400000_NS6detail17trampoline_kernelINS0_14default_configENS1_20scan_config_selectorIfEEZZNS1_9scan_implILNS1_25lookback_scan_determinismE0ELb0ELb0ES3_N6thrust23THRUST_200600_302600_NS6detail15normal_iteratorINS9_10device_ptrIfEEEESE_f11max_functorIfEfEEDaPvRmT3_T4_T5_mT6_P12ihipStream_tbENKUlT_T0_E_clISt17integral_constantIbLb1EESU_EEDaSP_SQ_EUlSP_E_NS1_11comp_targetILNS1_3genE10ELNS1_11target_archE1200ELNS1_3gpuE4ELNS1_3repE0EEENS1_30default_config_static_selectorELNS0_4arch9wavefront6targetE1EEEvT1_: ; @_ZN7rocprim17ROCPRIM_400000_NS6detail17trampoline_kernelINS0_14default_configENS1_20scan_config_selectorIfEEZZNS1_9scan_implILNS1_25lookback_scan_determinismE0ELb0ELb0ES3_N6thrust23THRUST_200600_302600_NS6detail15normal_iteratorINS9_10device_ptrIfEEEESE_f11max_functorIfEfEEDaPvRmT3_T4_T5_mT6_P12ihipStream_tbENKUlT_T0_E_clISt17integral_constantIbLb1EESU_EEDaSP_SQ_EUlSP_E_NS1_11comp_targetILNS1_3genE10ELNS1_11target_archE1200ELNS1_3gpuE4ELNS1_3repE0EEENS1_30default_config_static_selectorELNS0_4arch9wavefront6targetE1EEEvT1_
; %bb.0:
	.section	.rodata,"a",@progbits
	.p2align	6, 0x0
	.amdhsa_kernel _ZN7rocprim17ROCPRIM_400000_NS6detail17trampoline_kernelINS0_14default_configENS1_20scan_config_selectorIfEEZZNS1_9scan_implILNS1_25lookback_scan_determinismE0ELb0ELb0ES3_N6thrust23THRUST_200600_302600_NS6detail15normal_iteratorINS9_10device_ptrIfEEEESE_f11max_functorIfEfEEDaPvRmT3_T4_T5_mT6_P12ihipStream_tbENKUlT_T0_E_clISt17integral_constantIbLb1EESU_EEDaSP_SQ_EUlSP_E_NS1_11comp_targetILNS1_3genE10ELNS1_11target_archE1200ELNS1_3gpuE4ELNS1_3repE0EEENS1_30default_config_static_selectorELNS0_4arch9wavefront6targetE1EEEvT1_
		.amdhsa_group_segment_fixed_size 0
		.amdhsa_private_segment_fixed_size 0
		.amdhsa_kernarg_size 96
		.amdhsa_user_sgpr_count 6
		.amdhsa_user_sgpr_private_segment_buffer 1
		.amdhsa_user_sgpr_dispatch_ptr 0
		.amdhsa_user_sgpr_queue_ptr 0
		.amdhsa_user_sgpr_kernarg_segment_ptr 1
		.amdhsa_user_sgpr_dispatch_id 0
		.amdhsa_user_sgpr_flat_scratch_init 0
		.amdhsa_user_sgpr_kernarg_preload_length 0
		.amdhsa_user_sgpr_kernarg_preload_offset 0
		.amdhsa_user_sgpr_private_segment_size 0
		.amdhsa_uses_dynamic_stack 0
		.amdhsa_system_sgpr_private_segment_wavefront_offset 0
		.amdhsa_system_sgpr_workgroup_id_x 1
		.amdhsa_system_sgpr_workgroup_id_y 0
		.amdhsa_system_sgpr_workgroup_id_z 0
		.amdhsa_system_sgpr_workgroup_info 0
		.amdhsa_system_vgpr_workitem_id 0
		.amdhsa_next_free_vgpr 1
		.amdhsa_next_free_sgpr 0
		.amdhsa_accum_offset 4
		.amdhsa_reserve_vcc 0
		.amdhsa_reserve_flat_scratch 0
		.amdhsa_float_round_mode_32 0
		.amdhsa_float_round_mode_16_64 0
		.amdhsa_float_denorm_mode_32 3
		.amdhsa_float_denorm_mode_16_64 3
		.amdhsa_dx10_clamp 1
		.amdhsa_ieee_mode 1
		.amdhsa_fp16_overflow 0
		.amdhsa_tg_split 0
		.amdhsa_exception_fp_ieee_invalid_op 0
		.amdhsa_exception_fp_denorm_src 0
		.amdhsa_exception_fp_ieee_div_zero 0
		.amdhsa_exception_fp_ieee_overflow 0
		.amdhsa_exception_fp_ieee_underflow 0
		.amdhsa_exception_fp_ieee_inexact 0
		.amdhsa_exception_int_div_zero 0
	.end_amdhsa_kernel
	.section	.text._ZN7rocprim17ROCPRIM_400000_NS6detail17trampoline_kernelINS0_14default_configENS1_20scan_config_selectorIfEEZZNS1_9scan_implILNS1_25lookback_scan_determinismE0ELb0ELb0ES3_N6thrust23THRUST_200600_302600_NS6detail15normal_iteratorINS9_10device_ptrIfEEEESE_f11max_functorIfEfEEDaPvRmT3_T4_T5_mT6_P12ihipStream_tbENKUlT_T0_E_clISt17integral_constantIbLb1EESU_EEDaSP_SQ_EUlSP_E_NS1_11comp_targetILNS1_3genE10ELNS1_11target_archE1200ELNS1_3gpuE4ELNS1_3repE0EEENS1_30default_config_static_selectorELNS0_4arch9wavefront6targetE1EEEvT1_,"axG",@progbits,_ZN7rocprim17ROCPRIM_400000_NS6detail17trampoline_kernelINS0_14default_configENS1_20scan_config_selectorIfEEZZNS1_9scan_implILNS1_25lookback_scan_determinismE0ELb0ELb0ES3_N6thrust23THRUST_200600_302600_NS6detail15normal_iteratorINS9_10device_ptrIfEEEESE_f11max_functorIfEfEEDaPvRmT3_T4_T5_mT6_P12ihipStream_tbENKUlT_T0_E_clISt17integral_constantIbLb1EESU_EEDaSP_SQ_EUlSP_E_NS1_11comp_targetILNS1_3genE10ELNS1_11target_archE1200ELNS1_3gpuE4ELNS1_3repE0EEENS1_30default_config_static_selectorELNS0_4arch9wavefront6targetE1EEEvT1_,comdat
.Lfunc_end1967:
	.size	_ZN7rocprim17ROCPRIM_400000_NS6detail17trampoline_kernelINS0_14default_configENS1_20scan_config_selectorIfEEZZNS1_9scan_implILNS1_25lookback_scan_determinismE0ELb0ELb0ES3_N6thrust23THRUST_200600_302600_NS6detail15normal_iteratorINS9_10device_ptrIfEEEESE_f11max_functorIfEfEEDaPvRmT3_T4_T5_mT6_P12ihipStream_tbENKUlT_T0_E_clISt17integral_constantIbLb1EESU_EEDaSP_SQ_EUlSP_E_NS1_11comp_targetILNS1_3genE10ELNS1_11target_archE1200ELNS1_3gpuE4ELNS1_3repE0EEENS1_30default_config_static_selectorELNS0_4arch9wavefront6targetE1EEEvT1_, .Lfunc_end1967-_ZN7rocprim17ROCPRIM_400000_NS6detail17trampoline_kernelINS0_14default_configENS1_20scan_config_selectorIfEEZZNS1_9scan_implILNS1_25lookback_scan_determinismE0ELb0ELb0ES3_N6thrust23THRUST_200600_302600_NS6detail15normal_iteratorINS9_10device_ptrIfEEEESE_f11max_functorIfEfEEDaPvRmT3_T4_T5_mT6_P12ihipStream_tbENKUlT_T0_E_clISt17integral_constantIbLb1EESU_EEDaSP_SQ_EUlSP_E_NS1_11comp_targetILNS1_3genE10ELNS1_11target_archE1200ELNS1_3gpuE4ELNS1_3repE0EEENS1_30default_config_static_selectorELNS0_4arch9wavefront6targetE1EEEvT1_
                                        ; -- End function
	.section	.AMDGPU.csdata,"",@progbits
; Kernel info:
; codeLenInByte = 0
; NumSgprs: 4
; NumVgprs: 0
; NumAgprs: 0
; TotalNumVgprs: 0
; ScratchSize: 0
; MemoryBound: 0
; FloatMode: 240
; IeeeMode: 1
; LDSByteSize: 0 bytes/workgroup (compile time only)
; SGPRBlocks: 0
; VGPRBlocks: 0
; NumSGPRsForWavesPerEU: 4
; NumVGPRsForWavesPerEU: 1
; AccumOffset: 4
; Occupancy: 8
; WaveLimiterHint : 0
; COMPUTE_PGM_RSRC2:SCRATCH_EN: 0
; COMPUTE_PGM_RSRC2:USER_SGPR: 6
; COMPUTE_PGM_RSRC2:TRAP_HANDLER: 0
; COMPUTE_PGM_RSRC2:TGID_X_EN: 1
; COMPUTE_PGM_RSRC2:TGID_Y_EN: 0
; COMPUTE_PGM_RSRC2:TGID_Z_EN: 0
; COMPUTE_PGM_RSRC2:TIDIG_COMP_CNT: 0
; COMPUTE_PGM_RSRC3_GFX90A:ACCUM_OFFSET: 0
; COMPUTE_PGM_RSRC3_GFX90A:TG_SPLIT: 0
	.section	.text._ZN7rocprim17ROCPRIM_400000_NS6detail17trampoline_kernelINS0_14default_configENS1_20scan_config_selectorIfEEZZNS1_9scan_implILNS1_25lookback_scan_determinismE0ELb0ELb0ES3_N6thrust23THRUST_200600_302600_NS6detail15normal_iteratorINS9_10device_ptrIfEEEESE_f11max_functorIfEfEEDaPvRmT3_T4_T5_mT6_P12ihipStream_tbENKUlT_T0_E_clISt17integral_constantIbLb1EESU_EEDaSP_SQ_EUlSP_E_NS1_11comp_targetILNS1_3genE9ELNS1_11target_archE1100ELNS1_3gpuE3ELNS1_3repE0EEENS1_30default_config_static_selectorELNS0_4arch9wavefront6targetE1EEEvT1_,"axG",@progbits,_ZN7rocprim17ROCPRIM_400000_NS6detail17trampoline_kernelINS0_14default_configENS1_20scan_config_selectorIfEEZZNS1_9scan_implILNS1_25lookback_scan_determinismE0ELb0ELb0ES3_N6thrust23THRUST_200600_302600_NS6detail15normal_iteratorINS9_10device_ptrIfEEEESE_f11max_functorIfEfEEDaPvRmT3_T4_T5_mT6_P12ihipStream_tbENKUlT_T0_E_clISt17integral_constantIbLb1EESU_EEDaSP_SQ_EUlSP_E_NS1_11comp_targetILNS1_3genE9ELNS1_11target_archE1100ELNS1_3gpuE3ELNS1_3repE0EEENS1_30default_config_static_selectorELNS0_4arch9wavefront6targetE1EEEvT1_,comdat
	.protected	_ZN7rocprim17ROCPRIM_400000_NS6detail17trampoline_kernelINS0_14default_configENS1_20scan_config_selectorIfEEZZNS1_9scan_implILNS1_25lookback_scan_determinismE0ELb0ELb0ES3_N6thrust23THRUST_200600_302600_NS6detail15normal_iteratorINS9_10device_ptrIfEEEESE_f11max_functorIfEfEEDaPvRmT3_T4_T5_mT6_P12ihipStream_tbENKUlT_T0_E_clISt17integral_constantIbLb1EESU_EEDaSP_SQ_EUlSP_E_NS1_11comp_targetILNS1_3genE9ELNS1_11target_archE1100ELNS1_3gpuE3ELNS1_3repE0EEENS1_30default_config_static_selectorELNS0_4arch9wavefront6targetE1EEEvT1_ ; -- Begin function _ZN7rocprim17ROCPRIM_400000_NS6detail17trampoline_kernelINS0_14default_configENS1_20scan_config_selectorIfEEZZNS1_9scan_implILNS1_25lookback_scan_determinismE0ELb0ELb0ES3_N6thrust23THRUST_200600_302600_NS6detail15normal_iteratorINS9_10device_ptrIfEEEESE_f11max_functorIfEfEEDaPvRmT3_T4_T5_mT6_P12ihipStream_tbENKUlT_T0_E_clISt17integral_constantIbLb1EESU_EEDaSP_SQ_EUlSP_E_NS1_11comp_targetILNS1_3genE9ELNS1_11target_archE1100ELNS1_3gpuE3ELNS1_3repE0EEENS1_30default_config_static_selectorELNS0_4arch9wavefront6targetE1EEEvT1_
	.globl	_ZN7rocprim17ROCPRIM_400000_NS6detail17trampoline_kernelINS0_14default_configENS1_20scan_config_selectorIfEEZZNS1_9scan_implILNS1_25lookback_scan_determinismE0ELb0ELb0ES3_N6thrust23THRUST_200600_302600_NS6detail15normal_iteratorINS9_10device_ptrIfEEEESE_f11max_functorIfEfEEDaPvRmT3_T4_T5_mT6_P12ihipStream_tbENKUlT_T0_E_clISt17integral_constantIbLb1EESU_EEDaSP_SQ_EUlSP_E_NS1_11comp_targetILNS1_3genE9ELNS1_11target_archE1100ELNS1_3gpuE3ELNS1_3repE0EEENS1_30default_config_static_selectorELNS0_4arch9wavefront6targetE1EEEvT1_
	.p2align	8
	.type	_ZN7rocprim17ROCPRIM_400000_NS6detail17trampoline_kernelINS0_14default_configENS1_20scan_config_selectorIfEEZZNS1_9scan_implILNS1_25lookback_scan_determinismE0ELb0ELb0ES3_N6thrust23THRUST_200600_302600_NS6detail15normal_iteratorINS9_10device_ptrIfEEEESE_f11max_functorIfEfEEDaPvRmT3_T4_T5_mT6_P12ihipStream_tbENKUlT_T0_E_clISt17integral_constantIbLb1EESU_EEDaSP_SQ_EUlSP_E_NS1_11comp_targetILNS1_3genE9ELNS1_11target_archE1100ELNS1_3gpuE3ELNS1_3repE0EEENS1_30default_config_static_selectorELNS0_4arch9wavefront6targetE1EEEvT1_,@function
_ZN7rocprim17ROCPRIM_400000_NS6detail17trampoline_kernelINS0_14default_configENS1_20scan_config_selectorIfEEZZNS1_9scan_implILNS1_25lookback_scan_determinismE0ELb0ELb0ES3_N6thrust23THRUST_200600_302600_NS6detail15normal_iteratorINS9_10device_ptrIfEEEESE_f11max_functorIfEfEEDaPvRmT3_T4_T5_mT6_P12ihipStream_tbENKUlT_T0_E_clISt17integral_constantIbLb1EESU_EEDaSP_SQ_EUlSP_E_NS1_11comp_targetILNS1_3genE9ELNS1_11target_archE1100ELNS1_3gpuE3ELNS1_3repE0EEENS1_30default_config_static_selectorELNS0_4arch9wavefront6targetE1EEEvT1_: ; @_ZN7rocprim17ROCPRIM_400000_NS6detail17trampoline_kernelINS0_14default_configENS1_20scan_config_selectorIfEEZZNS1_9scan_implILNS1_25lookback_scan_determinismE0ELb0ELb0ES3_N6thrust23THRUST_200600_302600_NS6detail15normal_iteratorINS9_10device_ptrIfEEEESE_f11max_functorIfEfEEDaPvRmT3_T4_T5_mT6_P12ihipStream_tbENKUlT_T0_E_clISt17integral_constantIbLb1EESU_EEDaSP_SQ_EUlSP_E_NS1_11comp_targetILNS1_3genE9ELNS1_11target_archE1100ELNS1_3gpuE3ELNS1_3repE0EEENS1_30default_config_static_selectorELNS0_4arch9wavefront6targetE1EEEvT1_
; %bb.0:
	.section	.rodata,"a",@progbits
	.p2align	6, 0x0
	.amdhsa_kernel _ZN7rocprim17ROCPRIM_400000_NS6detail17trampoline_kernelINS0_14default_configENS1_20scan_config_selectorIfEEZZNS1_9scan_implILNS1_25lookback_scan_determinismE0ELb0ELb0ES3_N6thrust23THRUST_200600_302600_NS6detail15normal_iteratorINS9_10device_ptrIfEEEESE_f11max_functorIfEfEEDaPvRmT3_T4_T5_mT6_P12ihipStream_tbENKUlT_T0_E_clISt17integral_constantIbLb1EESU_EEDaSP_SQ_EUlSP_E_NS1_11comp_targetILNS1_3genE9ELNS1_11target_archE1100ELNS1_3gpuE3ELNS1_3repE0EEENS1_30default_config_static_selectorELNS0_4arch9wavefront6targetE1EEEvT1_
		.amdhsa_group_segment_fixed_size 0
		.amdhsa_private_segment_fixed_size 0
		.amdhsa_kernarg_size 96
		.amdhsa_user_sgpr_count 6
		.amdhsa_user_sgpr_private_segment_buffer 1
		.amdhsa_user_sgpr_dispatch_ptr 0
		.amdhsa_user_sgpr_queue_ptr 0
		.amdhsa_user_sgpr_kernarg_segment_ptr 1
		.amdhsa_user_sgpr_dispatch_id 0
		.amdhsa_user_sgpr_flat_scratch_init 0
		.amdhsa_user_sgpr_kernarg_preload_length 0
		.amdhsa_user_sgpr_kernarg_preload_offset 0
		.amdhsa_user_sgpr_private_segment_size 0
		.amdhsa_uses_dynamic_stack 0
		.amdhsa_system_sgpr_private_segment_wavefront_offset 0
		.amdhsa_system_sgpr_workgroup_id_x 1
		.amdhsa_system_sgpr_workgroup_id_y 0
		.amdhsa_system_sgpr_workgroup_id_z 0
		.amdhsa_system_sgpr_workgroup_info 0
		.amdhsa_system_vgpr_workitem_id 0
		.amdhsa_next_free_vgpr 1
		.amdhsa_next_free_sgpr 0
		.amdhsa_accum_offset 4
		.amdhsa_reserve_vcc 0
		.amdhsa_reserve_flat_scratch 0
		.amdhsa_float_round_mode_32 0
		.amdhsa_float_round_mode_16_64 0
		.amdhsa_float_denorm_mode_32 3
		.amdhsa_float_denorm_mode_16_64 3
		.amdhsa_dx10_clamp 1
		.amdhsa_ieee_mode 1
		.amdhsa_fp16_overflow 0
		.amdhsa_tg_split 0
		.amdhsa_exception_fp_ieee_invalid_op 0
		.amdhsa_exception_fp_denorm_src 0
		.amdhsa_exception_fp_ieee_div_zero 0
		.amdhsa_exception_fp_ieee_overflow 0
		.amdhsa_exception_fp_ieee_underflow 0
		.amdhsa_exception_fp_ieee_inexact 0
		.amdhsa_exception_int_div_zero 0
	.end_amdhsa_kernel
	.section	.text._ZN7rocprim17ROCPRIM_400000_NS6detail17trampoline_kernelINS0_14default_configENS1_20scan_config_selectorIfEEZZNS1_9scan_implILNS1_25lookback_scan_determinismE0ELb0ELb0ES3_N6thrust23THRUST_200600_302600_NS6detail15normal_iteratorINS9_10device_ptrIfEEEESE_f11max_functorIfEfEEDaPvRmT3_T4_T5_mT6_P12ihipStream_tbENKUlT_T0_E_clISt17integral_constantIbLb1EESU_EEDaSP_SQ_EUlSP_E_NS1_11comp_targetILNS1_3genE9ELNS1_11target_archE1100ELNS1_3gpuE3ELNS1_3repE0EEENS1_30default_config_static_selectorELNS0_4arch9wavefront6targetE1EEEvT1_,"axG",@progbits,_ZN7rocprim17ROCPRIM_400000_NS6detail17trampoline_kernelINS0_14default_configENS1_20scan_config_selectorIfEEZZNS1_9scan_implILNS1_25lookback_scan_determinismE0ELb0ELb0ES3_N6thrust23THRUST_200600_302600_NS6detail15normal_iteratorINS9_10device_ptrIfEEEESE_f11max_functorIfEfEEDaPvRmT3_T4_T5_mT6_P12ihipStream_tbENKUlT_T0_E_clISt17integral_constantIbLb1EESU_EEDaSP_SQ_EUlSP_E_NS1_11comp_targetILNS1_3genE9ELNS1_11target_archE1100ELNS1_3gpuE3ELNS1_3repE0EEENS1_30default_config_static_selectorELNS0_4arch9wavefront6targetE1EEEvT1_,comdat
.Lfunc_end1968:
	.size	_ZN7rocprim17ROCPRIM_400000_NS6detail17trampoline_kernelINS0_14default_configENS1_20scan_config_selectorIfEEZZNS1_9scan_implILNS1_25lookback_scan_determinismE0ELb0ELb0ES3_N6thrust23THRUST_200600_302600_NS6detail15normal_iteratorINS9_10device_ptrIfEEEESE_f11max_functorIfEfEEDaPvRmT3_T4_T5_mT6_P12ihipStream_tbENKUlT_T0_E_clISt17integral_constantIbLb1EESU_EEDaSP_SQ_EUlSP_E_NS1_11comp_targetILNS1_3genE9ELNS1_11target_archE1100ELNS1_3gpuE3ELNS1_3repE0EEENS1_30default_config_static_selectorELNS0_4arch9wavefront6targetE1EEEvT1_, .Lfunc_end1968-_ZN7rocprim17ROCPRIM_400000_NS6detail17trampoline_kernelINS0_14default_configENS1_20scan_config_selectorIfEEZZNS1_9scan_implILNS1_25lookback_scan_determinismE0ELb0ELb0ES3_N6thrust23THRUST_200600_302600_NS6detail15normal_iteratorINS9_10device_ptrIfEEEESE_f11max_functorIfEfEEDaPvRmT3_T4_T5_mT6_P12ihipStream_tbENKUlT_T0_E_clISt17integral_constantIbLb1EESU_EEDaSP_SQ_EUlSP_E_NS1_11comp_targetILNS1_3genE9ELNS1_11target_archE1100ELNS1_3gpuE3ELNS1_3repE0EEENS1_30default_config_static_selectorELNS0_4arch9wavefront6targetE1EEEvT1_
                                        ; -- End function
	.section	.AMDGPU.csdata,"",@progbits
; Kernel info:
; codeLenInByte = 0
; NumSgprs: 4
; NumVgprs: 0
; NumAgprs: 0
; TotalNumVgprs: 0
; ScratchSize: 0
; MemoryBound: 0
; FloatMode: 240
; IeeeMode: 1
; LDSByteSize: 0 bytes/workgroup (compile time only)
; SGPRBlocks: 0
; VGPRBlocks: 0
; NumSGPRsForWavesPerEU: 4
; NumVGPRsForWavesPerEU: 1
; AccumOffset: 4
; Occupancy: 8
; WaveLimiterHint : 0
; COMPUTE_PGM_RSRC2:SCRATCH_EN: 0
; COMPUTE_PGM_RSRC2:USER_SGPR: 6
; COMPUTE_PGM_RSRC2:TRAP_HANDLER: 0
; COMPUTE_PGM_RSRC2:TGID_X_EN: 1
; COMPUTE_PGM_RSRC2:TGID_Y_EN: 0
; COMPUTE_PGM_RSRC2:TGID_Z_EN: 0
; COMPUTE_PGM_RSRC2:TIDIG_COMP_CNT: 0
; COMPUTE_PGM_RSRC3_GFX90A:ACCUM_OFFSET: 0
; COMPUTE_PGM_RSRC3_GFX90A:TG_SPLIT: 0
	.section	.text._ZN7rocprim17ROCPRIM_400000_NS6detail17trampoline_kernelINS0_14default_configENS1_20scan_config_selectorIfEEZZNS1_9scan_implILNS1_25lookback_scan_determinismE0ELb0ELb0ES3_N6thrust23THRUST_200600_302600_NS6detail15normal_iteratorINS9_10device_ptrIfEEEESE_f11max_functorIfEfEEDaPvRmT3_T4_T5_mT6_P12ihipStream_tbENKUlT_T0_E_clISt17integral_constantIbLb1EESU_EEDaSP_SQ_EUlSP_E_NS1_11comp_targetILNS1_3genE8ELNS1_11target_archE1030ELNS1_3gpuE2ELNS1_3repE0EEENS1_30default_config_static_selectorELNS0_4arch9wavefront6targetE1EEEvT1_,"axG",@progbits,_ZN7rocprim17ROCPRIM_400000_NS6detail17trampoline_kernelINS0_14default_configENS1_20scan_config_selectorIfEEZZNS1_9scan_implILNS1_25lookback_scan_determinismE0ELb0ELb0ES3_N6thrust23THRUST_200600_302600_NS6detail15normal_iteratorINS9_10device_ptrIfEEEESE_f11max_functorIfEfEEDaPvRmT3_T4_T5_mT6_P12ihipStream_tbENKUlT_T0_E_clISt17integral_constantIbLb1EESU_EEDaSP_SQ_EUlSP_E_NS1_11comp_targetILNS1_3genE8ELNS1_11target_archE1030ELNS1_3gpuE2ELNS1_3repE0EEENS1_30default_config_static_selectorELNS0_4arch9wavefront6targetE1EEEvT1_,comdat
	.protected	_ZN7rocprim17ROCPRIM_400000_NS6detail17trampoline_kernelINS0_14default_configENS1_20scan_config_selectorIfEEZZNS1_9scan_implILNS1_25lookback_scan_determinismE0ELb0ELb0ES3_N6thrust23THRUST_200600_302600_NS6detail15normal_iteratorINS9_10device_ptrIfEEEESE_f11max_functorIfEfEEDaPvRmT3_T4_T5_mT6_P12ihipStream_tbENKUlT_T0_E_clISt17integral_constantIbLb1EESU_EEDaSP_SQ_EUlSP_E_NS1_11comp_targetILNS1_3genE8ELNS1_11target_archE1030ELNS1_3gpuE2ELNS1_3repE0EEENS1_30default_config_static_selectorELNS0_4arch9wavefront6targetE1EEEvT1_ ; -- Begin function _ZN7rocprim17ROCPRIM_400000_NS6detail17trampoline_kernelINS0_14default_configENS1_20scan_config_selectorIfEEZZNS1_9scan_implILNS1_25lookback_scan_determinismE0ELb0ELb0ES3_N6thrust23THRUST_200600_302600_NS6detail15normal_iteratorINS9_10device_ptrIfEEEESE_f11max_functorIfEfEEDaPvRmT3_T4_T5_mT6_P12ihipStream_tbENKUlT_T0_E_clISt17integral_constantIbLb1EESU_EEDaSP_SQ_EUlSP_E_NS1_11comp_targetILNS1_3genE8ELNS1_11target_archE1030ELNS1_3gpuE2ELNS1_3repE0EEENS1_30default_config_static_selectorELNS0_4arch9wavefront6targetE1EEEvT1_
	.globl	_ZN7rocprim17ROCPRIM_400000_NS6detail17trampoline_kernelINS0_14default_configENS1_20scan_config_selectorIfEEZZNS1_9scan_implILNS1_25lookback_scan_determinismE0ELb0ELb0ES3_N6thrust23THRUST_200600_302600_NS6detail15normal_iteratorINS9_10device_ptrIfEEEESE_f11max_functorIfEfEEDaPvRmT3_T4_T5_mT6_P12ihipStream_tbENKUlT_T0_E_clISt17integral_constantIbLb1EESU_EEDaSP_SQ_EUlSP_E_NS1_11comp_targetILNS1_3genE8ELNS1_11target_archE1030ELNS1_3gpuE2ELNS1_3repE0EEENS1_30default_config_static_selectorELNS0_4arch9wavefront6targetE1EEEvT1_
	.p2align	8
	.type	_ZN7rocprim17ROCPRIM_400000_NS6detail17trampoline_kernelINS0_14default_configENS1_20scan_config_selectorIfEEZZNS1_9scan_implILNS1_25lookback_scan_determinismE0ELb0ELb0ES3_N6thrust23THRUST_200600_302600_NS6detail15normal_iteratorINS9_10device_ptrIfEEEESE_f11max_functorIfEfEEDaPvRmT3_T4_T5_mT6_P12ihipStream_tbENKUlT_T0_E_clISt17integral_constantIbLb1EESU_EEDaSP_SQ_EUlSP_E_NS1_11comp_targetILNS1_3genE8ELNS1_11target_archE1030ELNS1_3gpuE2ELNS1_3repE0EEENS1_30default_config_static_selectorELNS0_4arch9wavefront6targetE1EEEvT1_,@function
_ZN7rocprim17ROCPRIM_400000_NS6detail17trampoline_kernelINS0_14default_configENS1_20scan_config_selectorIfEEZZNS1_9scan_implILNS1_25lookback_scan_determinismE0ELb0ELb0ES3_N6thrust23THRUST_200600_302600_NS6detail15normal_iteratorINS9_10device_ptrIfEEEESE_f11max_functorIfEfEEDaPvRmT3_T4_T5_mT6_P12ihipStream_tbENKUlT_T0_E_clISt17integral_constantIbLb1EESU_EEDaSP_SQ_EUlSP_E_NS1_11comp_targetILNS1_3genE8ELNS1_11target_archE1030ELNS1_3gpuE2ELNS1_3repE0EEENS1_30default_config_static_selectorELNS0_4arch9wavefront6targetE1EEEvT1_: ; @_ZN7rocprim17ROCPRIM_400000_NS6detail17trampoline_kernelINS0_14default_configENS1_20scan_config_selectorIfEEZZNS1_9scan_implILNS1_25lookback_scan_determinismE0ELb0ELb0ES3_N6thrust23THRUST_200600_302600_NS6detail15normal_iteratorINS9_10device_ptrIfEEEESE_f11max_functorIfEfEEDaPvRmT3_T4_T5_mT6_P12ihipStream_tbENKUlT_T0_E_clISt17integral_constantIbLb1EESU_EEDaSP_SQ_EUlSP_E_NS1_11comp_targetILNS1_3genE8ELNS1_11target_archE1030ELNS1_3gpuE2ELNS1_3repE0EEENS1_30default_config_static_selectorELNS0_4arch9wavefront6targetE1EEEvT1_
; %bb.0:
	.section	.rodata,"a",@progbits
	.p2align	6, 0x0
	.amdhsa_kernel _ZN7rocprim17ROCPRIM_400000_NS6detail17trampoline_kernelINS0_14default_configENS1_20scan_config_selectorIfEEZZNS1_9scan_implILNS1_25lookback_scan_determinismE0ELb0ELb0ES3_N6thrust23THRUST_200600_302600_NS6detail15normal_iteratorINS9_10device_ptrIfEEEESE_f11max_functorIfEfEEDaPvRmT3_T4_T5_mT6_P12ihipStream_tbENKUlT_T0_E_clISt17integral_constantIbLb1EESU_EEDaSP_SQ_EUlSP_E_NS1_11comp_targetILNS1_3genE8ELNS1_11target_archE1030ELNS1_3gpuE2ELNS1_3repE0EEENS1_30default_config_static_selectorELNS0_4arch9wavefront6targetE1EEEvT1_
		.amdhsa_group_segment_fixed_size 0
		.amdhsa_private_segment_fixed_size 0
		.amdhsa_kernarg_size 96
		.amdhsa_user_sgpr_count 6
		.amdhsa_user_sgpr_private_segment_buffer 1
		.amdhsa_user_sgpr_dispatch_ptr 0
		.amdhsa_user_sgpr_queue_ptr 0
		.amdhsa_user_sgpr_kernarg_segment_ptr 1
		.amdhsa_user_sgpr_dispatch_id 0
		.amdhsa_user_sgpr_flat_scratch_init 0
		.amdhsa_user_sgpr_kernarg_preload_length 0
		.amdhsa_user_sgpr_kernarg_preload_offset 0
		.amdhsa_user_sgpr_private_segment_size 0
		.amdhsa_uses_dynamic_stack 0
		.amdhsa_system_sgpr_private_segment_wavefront_offset 0
		.amdhsa_system_sgpr_workgroup_id_x 1
		.amdhsa_system_sgpr_workgroup_id_y 0
		.amdhsa_system_sgpr_workgroup_id_z 0
		.amdhsa_system_sgpr_workgroup_info 0
		.amdhsa_system_vgpr_workitem_id 0
		.amdhsa_next_free_vgpr 1
		.amdhsa_next_free_sgpr 0
		.amdhsa_accum_offset 4
		.amdhsa_reserve_vcc 0
		.amdhsa_reserve_flat_scratch 0
		.amdhsa_float_round_mode_32 0
		.amdhsa_float_round_mode_16_64 0
		.amdhsa_float_denorm_mode_32 3
		.amdhsa_float_denorm_mode_16_64 3
		.amdhsa_dx10_clamp 1
		.amdhsa_ieee_mode 1
		.amdhsa_fp16_overflow 0
		.amdhsa_tg_split 0
		.amdhsa_exception_fp_ieee_invalid_op 0
		.amdhsa_exception_fp_denorm_src 0
		.amdhsa_exception_fp_ieee_div_zero 0
		.amdhsa_exception_fp_ieee_overflow 0
		.amdhsa_exception_fp_ieee_underflow 0
		.amdhsa_exception_fp_ieee_inexact 0
		.amdhsa_exception_int_div_zero 0
	.end_amdhsa_kernel
	.section	.text._ZN7rocprim17ROCPRIM_400000_NS6detail17trampoline_kernelINS0_14default_configENS1_20scan_config_selectorIfEEZZNS1_9scan_implILNS1_25lookback_scan_determinismE0ELb0ELb0ES3_N6thrust23THRUST_200600_302600_NS6detail15normal_iteratorINS9_10device_ptrIfEEEESE_f11max_functorIfEfEEDaPvRmT3_T4_T5_mT6_P12ihipStream_tbENKUlT_T0_E_clISt17integral_constantIbLb1EESU_EEDaSP_SQ_EUlSP_E_NS1_11comp_targetILNS1_3genE8ELNS1_11target_archE1030ELNS1_3gpuE2ELNS1_3repE0EEENS1_30default_config_static_selectorELNS0_4arch9wavefront6targetE1EEEvT1_,"axG",@progbits,_ZN7rocprim17ROCPRIM_400000_NS6detail17trampoline_kernelINS0_14default_configENS1_20scan_config_selectorIfEEZZNS1_9scan_implILNS1_25lookback_scan_determinismE0ELb0ELb0ES3_N6thrust23THRUST_200600_302600_NS6detail15normal_iteratorINS9_10device_ptrIfEEEESE_f11max_functorIfEfEEDaPvRmT3_T4_T5_mT6_P12ihipStream_tbENKUlT_T0_E_clISt17integral_constantIbLb1EESU_EEDaSP_SQ_EUlSP_E_NS1_11comp_targetILNS1_3genE8ELNS1_11target_archE1030ELNS1_3gpuE2ELNS1_3repE0EEENS1_30default_config_static_selectorELNS0_4arch9wavefront6targetE1EEEvT1_,comdat
.Lfunc_end1969:
	.size	_ZN7rocprim17ROCPRIM_400000_NS6detail17trampoline_kernelINS0_14default_configENS1_20scan_config_selectorIfEEZZNS1_9scan_implILNS1_25lookback_scan_determinismE0ELb0ELb0ES3_N6thrust23THRUST_200600_302600_NS6detail15normal_iteratorINS9_10device_ptrIfEEEESE_f11max_functorIfEfEEDaPvRmT3_T4_T5_mT6_P12ihipStream_tbENKUlT_T0_E_clISt17integral_constantIbLb1EESU_EEDaSP_SQ_EUlSP_E_NS1_11comp_targetILNS1_3genE8ELNS1_11target_archE1030ELNS1_3gpuE2ELNS1_3repE0EEENS1_30default_config_static_selectorELNS0_4arch9wavefront6targetE1EEEvT1_, .Lfunc_end1969-_ZN7rocprim17ROCPRIM_400000_NS6detail17trampoline_kernelINS0_14default_configENS1_20scan_config_selectorIfEEZZNS1_9scan_implILNS1_25lookback_scan_determinismE0ELb0ELb0ES3_N6thrust23THRUST_200600_302600_NS6detail15normal_iteratorINS9_10device_ptrIfEEEESE_f11max_functorIfEfEEDaPvRmT3_T4_T5_mT6_P12ihipStream_tbENKUlT_T0_E_clISt17integral_constantIbLb1EESU_EEDaSP_SQ_EUlSP_E_NS1_11comp_targetILNS1_3genE8ELNS1_11target_archE1030ELNS1_3gpuE2ELNS1_3repE0EEENS1_30default_config_static_selectorELNS0_4arch9wavefront6targetE1EEEvT1_
                                        ; -- End function
	.section	.AMDGPU.csdata,"",@progbits
; Kernel info:
; codeLenInByte = 0
; NumSgprs: 4
; NumVgprs: 0
; NumAgprs: 0
; TotalNumVgprs: 0
; ScratchSize: 0
; MemoryBound: 0
; FloatMode: 240
; IeeeMode: 1
; LDSByteSize: 0 bytes/workgroup (compile time only)
; SGPRBlocks: 0
; VGPRBlocks: 0
; NumSGPRsForWavesPerEU: 4
; NumVGPRsForWavesPerEU: 1
; AccumOffset: 4
; Occupancy: 8
; WaveLimiterHint : 0
; COMPUTE_PGM_RSRC2:SCRATCH_EN: 0
; COMPUTE_PGM_RSRC2:USER_SGPR: 6
; COMPUTE_PGM_RSRC2:TRAP_HANDLER: 0
; COMPUTE_PGM_RSRC2:TGID_X_EN: 1
; COMPUTE_PGM_RSRC2:TGID_Y_EN: 0
; COMPUTE_PGM_RSRC2:TGID_Z_EN: 0
; COMPUTE_PGM_RSRC2:TIDIG_COMP_CNT: 0
; COMPUTE_PGM_RSRC3_GFX90A:ACCUM_OFFSET: 0
; COMPUTE_PGM_RSRC3_GFX90A:TG_SPLIT: 0
	.section	.text._ZN7rocprim17ROCPRIM_400000_NS6detail17trampoline_kernelINS0_14default_configENS1_20scan_config_selectorIfEEZZNS1_9scan_implILNS1_25lookback_scan_determinismE0ELb0ELb0ES3_N6thrust23THRUST_200600_302600_NS6detail15normal_iteratorINS9_10device_ptrIfEEEESE_f11max_functorIfEfEEDaPvRmT3_T4_T5_mT6_P12ihipStream_tbENKUlT_T0_E_clISt17integral_constantIbLb1EESU_EEDaSP_SQ_EUlSP_E0_NS1_11comp_targetILNS1_3genE0ELNS1_11target_archE4294967295ELNS1_3gpuE0ELNS1_3repE0EEENS1_30default_config_static_selectorELNS0_4arch9wavefront6targetE1EEEvT1_,"axG",@progbits,_ZN7rocprim17ROCPRIM_400000_NS6detail17trampoline_kernelINS0_14default_configENS1_20scan_config_selectorIfEEZZNS1_9scan_implILNS1_25lookback_scan_determinismE0ELb0ELb0ES3_N6thrust23THRUST_200600_302600_NS6detail15normal_iteratorINS9_10device_ptrIfEEEESE_f11max_functorIfEfEEDaPvRmT3_T4_T5_mT6_P12ihipStream_tbENKUlT_T0_E_clISt17integral_constantIbLb1EESU_EEDaSP_SQ_EUlSP_E0_NS1_11comp_targetILNS1_3genE0ELNS1_11target_archE4294967295ELNS1_3gpuE0ELNS1_3repE0EEENS1_30default_config_static_selectorELNS0_4arch9wavefront6targetE1EEEvT1_,comdat
	.protected	_ZN7rocprim17ROCPRIM_400000_NS6detail17trampoline_kernelINS0_14default_configENS1_20scan_config_selectorIfEEZZNS1_9scan_implILNS1_25lookback_scan_determinismE0ELb0ELb0ES3_N6thrust23THRUST_200600_302600_NS6detail15normal_iteratorINS9_10device_ptrIfEEEESE_f11max_functorIfEfEEDaPvRmT3_T4_T5_mT6_P12ihipStream_tbENKUlT_T0_E_clISt17integral_constantIbLb1EESU_EEDaSP_SQ_EUlSP_E0_NS1_11comp_targetILNS1_3genE0ELNS1_11target_archE4294967295ELNS1_3gpuE0ELNS1_3repE0EEENS1_30default_config_static_selectorELNS0_4arch9wavefront6targetE1EEEvT1_ ; -- Begin function _ZN7rocprim17ROCPRIM_400000_NS6detail17trampoline_kernelINS0_14default_configENS1_20scan_config_selectorIfEEZZNS1_9scan_implILNS1_25lookback_scan_determinismE0ELb0ELb0ES3_N6thrust23THRUST_200600_302600_NS6detail15normal_iteratorINS9_10device_ptrIfEEEESE_f11max_functorIfEfEEDaPvRmT3_T4_T5_mT6_P12ihipStream_tbENKUlT_T0_E_clISt17integral_constantIbLb1EESU_EEDaSP_SQ_EUlSP_E0_NS1_11comp_targetILNS1_3genE0ELNS1_11target_archE4294967295ELNS1_3gpuE0ELNS1_3repE0EEENS1_30default_config_static_selectorELNS0_4arch9wavefront6targetE1EEEvT1_
	.globl	_ZN7rocprim17ROCPRIM_400000_NS6detail17trampoline_kernelINS0_14default_configENS1_20scan_config_selectorIfEEZZNS1_9scan_implILNS1_25lookback_scan_determinismE0ELb0ELb0ES3_N6thrust23THRUST_200600_302600_NS6detail15normal_iteratorINS9_10device_ptrIfEEEESE_f11max_functorIfEfEEDaPvRmT3_T4_T5_mT6_P12ihipStream_tbENKUlT_T0_E_clISt17integral_constantIbLb1EESU_EEDaSP_SQ_EUlSP_E0_NS1_11comp_targetILNS1_3genE0ELNS1_11target_archE4294967295ELNS1_3gpuE0ELNS1_3repE0EEENS1_30default_config_static_selectorELNS0_4arch9wavefront6targetE1EEEvT1_
	.p2align	8
	.type	_ZN7rocprim17ROCPRIM_400000_NS6detail17trampoline_kernelINS0_14default_configENS1_20scan_config_selectorIfEEZZNS1_9scan_implILNS1_25lookback_scan_determinismE0ELb0ELb0ES3_N6thrust23THRUST_200600_302600_NS6detail15normal_iteratorINS9_10device_ptrIfEEEESE_f11max_functorIfEfEEDaPvRmT3_T4_T5_mT6_P12ihipStream_tbENKUlT_T0_E_clISt17integral_constantIbLb1EESU_EEDaSP_SQ_EUlSP_E0_NS1_11comp_targetILNS1_3genE0ELNS1_11target_archE4294967295ELNS1_3gpuE0ELNS1_3repE0EEENS1_30default_config_static_selectorELNS0_4arch9wavefront6targetE1EEEvT1_,@function
_ZN7rocprim17ROCPRIM_400000_NS6detail17trampoline_kernelINS0_14default_configENS1_20scan_config_selectorIfEEZZNS1_9scan_implILNS1_25lookback_scan_determinismE0ELb0ELb0ES3_N6thrust23THRUST_200600_302600_NS6detail15normal_iteratorINS9_10device_ptrIfEEEESE_f11max_functorIfEfEEDaPvRmT3_T4_T5_mT6_P12ihipStream_tbENKUlT_T0_E_clISt17integral_constantIbLb1EESU_EEDaSP_SQ_EUlSP_E0_NS1_11comp_targetILNS1_3genE0ELNS1_11target_archE4294967295ELNS1_3gpuE0ELNS1_3repE0EEENS1_30default_config_static_selectorELNS0_4arch9wavefront6targetE1EEEvT1_: ; @_ZN7rocprim17ROCPRIM_400000_NS6detail17trampoline_kernelINS0_14default_configENS1_20scan_config_selectorIfEEZZNS1_9scan_implILNS1_25lookback_scan_determinismE0ELb0ELb0ES3_N6thrust23THRUST_200600_302600_NS6detail15normal_iteratorINS9_10device_ptrIfEEEESE_f11max_functorIfEfEEDaPvRmT3_T4_T5_mT6_P12ihipStream_tbENKUlT_T0_E_clISt17integral_constantIbLb1EESU_EEDaSP_SQ_EUlSP_E0_NS1_11comp_targetILNS1_3genE0ELNS1_11target_archE4294967295ELNS1_3gpuE0ELNS1_3repE0EEENS1_30default_config_static_selectorELNS0_4arch9wavefront6targetE1EEEvT1_
; %bb.0:
	.section	.rodata,"a",@progbits
	.p2align	6, 0x0
	.amdhsa_kernel _ZN7rocprim17ROCPRIM_400000_NS6detail17trampoline_kernelINS0_14default_configENS1_20scan_config_selectorIfEEZZNS1_9scan_implILNS1_25lookback_scan_determinismE0ELb0ELb0ES3_N6thrust23THRUST_200600_302600_NS6detail15normal_iteratorINS9_10device_ptrIfEEEESE_f11max_functorIfEfEEDaPvRmT3_T4_T5_mT6_P12ihipStream_tbENKUlT_T0_E_clISt17integral_constantIbLb1EESU_EEDaSP_SQ_EUlSP_E0_NS1_11comp_targetILNS1_3genE0ELNS1_11target_archE4294967295ELNS1_3gpuE0ELNS1_3repE0EEENS1_30default_config_static_selectorELNS0_4arch9wavefront6targetE1EEEvT1_
		.amdhsa_group_segment_fixed_size 0
		.amdhsa_private_segment_fixed_size 0
		.amdhsa_kernarg_size 32
		.amdhsa_user_sgpr_count 6
		.amdhsa_user_sgpr_private_segment_buffer 1
		.amdhsa_user_sgpr_dispatch_ptr 0
		.amdhsa_user_sgpr_queue_ptr 0
		.amdhsa_user_sgpr_kernarg_segment_ptr 1
		.amdhsa_user_sgpr_dispatch_id 0
		.amdhsa_user_sgpr_flat_scratch_init 0
		.amdhsa_user_sgpr_kernarg_preload_length 0
		.amdhsa_user_sgpr_kernarg_preload_offset 0
		.amdhsa_user_sgpr_private_segment_size 0
		.amdhsa_uses_dynamic_stack 0
		.amdhsa_system_sgpr_private_segment_wavefront_offset 0
		.amdhsa_system_sgpr_workgroup_id_x 1
		.amdhsa_system_sgpr_workgroup_id_y 0
		.amdhsa_system_sgpr_workgroup_id_z 0
		.amdhsa_system_sgpr_workgroup_info 0
		.amdhsa_system_vgpr_workitem_id 0
		.amdhsa_next_free_vgpr 1
		.amdhsa_next_free_sgpr 0
		.amdhsa_accum_offset 4
		.amdhsa_reserve_vcc 0
		.amdhsa_reserve_flat_scratch 0
		.amdhsa_float_round_mode_32 0
		.amdhsa_float_round_mode_16_64 0
		.amdhsa_float_denorm_mode_32 3
		.amdhsa_float_denorm_mode_16_64 3
		.amdhsa_dx10_clamp 1
		.amdhsa_ieee_mode 1
		.amdhsa_fp16_overflow 0
		.amdhsa_tg_split 0
		.amdhsa_exception_fp_ieee_invalid_op 0
		.amdhsa_exception_fp_denorm_src 0
		.amdhsa_exception_fp_ieee_div_zero 0
		.amdhsa_exception_fp_ieee_overflow 0
		.amdhsa_exception_fp_ieee_underflow 0
		.amdhsa_exception_fp_ieee_inexact 0
		.amdhsa_exception_int_div_zero 0
	.end_amdhsa_kernel
	.section	.text._ZN7rocprim17ROCPRIM_400000_NS6detail17trampoline_kernelINS0_14default_configENS1_20scan_config_selectorIfEEZZNS1_9scan_implILNS1_25lookback_scan_determinismE0ELb0ELb0ES3_N6thrust23THRUST_200600_302600_NS6detail15normal_iteratorINS9_10device_ptrIfEEEESE_f11max_functorIfEfEEDaPvRmT3_T4_T5_mT6_P12ihipStream_tbENKUlT_T0_E_clISt17integral_constantIbLb1EESU_EEDaSP_SQ_EUlSP_E0_NS1_11comp_targetILNS1_3genE0ELNS1_11target_archE4294967295ELNS1_3gpuE0ELNS1_3repE0EEENS1_30default_config_static_selectorELNS0_4arch9wavefront6targetE1EEEvT1_,"axG",@progbits,_ZN7rocprim17ROCPRIM_400000_NS6detail17trampoline_kernelINS0_14default_configENS1_20scan_config_selectorIfEEZZNS1_9scan_implILNS1_25lookback_scan_determinismE0ELb0ELb0ES3_N6thrust23THRUST_200600_302600_NS6detail15normal_iteratorINS9_10device_ptrIfEEEESE_f11max_functorIfEfEEDaPvRmT3_T4_T5_mT6_P12ihipStream_tbENKUlT_T0_E_clISt17integral_constantIbLb1EESU_EEDaSP_SQ_EUlSP_E0_NS1_11comp_targetILNS1_3genE0ELNS1_11target_archE4294967295ELNS1_3gpuE0ELNS1_3repE0EEENS1_30default_config_static_selectorELNS0_4arch9wavefront6targetE1EEEvT1_,comdat
.Lfunc_end1970:
	.size	_ZN7rocprim17ROCPRIM_400000_NS6detail17trampoline_kernelINS0_14default_configENS1_20scan_config_selectorIfEEZZNS1_9scan_implILNS1_25lookback_scan_determinismE0ELb0ELb0ES3_N6thrust23THRUST_200600_302600_NS6detail15normal_iteratorINS9_10device_ptrIfEEEESE_f11max_functorIfEfEEDaPvRmT3_T4_T5_mT6_P12ihipStream_tbENKUlT_T0_E_clISt17integral_constantIbLb1EESU_EEDaSP_SQ_EUlSP_E0_NS1_11comp_targetILNS1_3genE0ELNS1_11target_archE4294967295ELNS1_3gpuE0ELNS1_3repE0EEENS1_30default_config_static_selectorELNS0_4arch9wavefront6targetE1EEEvT1_, .Lfunc_end1970-_ZN7rocprim17ROCPRIM_400000_NS6detail17trampoline_kernelINS0_14default_configENS1_20scan_config_selectorIfEEZZNS1_9scan_implILNS1_25lookback_scan_determinismE0ELb0ELb0ES3_N6thrust23THRUST_200600_302600_NS6detail15normal_iteratorINS9_10device_ptrIfEEEESE_f11max_functorIfEfEEDaPvRmT3_T4_T5_mT6_P12ihipStream_tbENKUlT_T0_E_clISt17integral_constantIbLb1EESU_EEDaSP_SQ_EUlSP_E0_NS1_11comp_targetILNS1_3genE0ELNS1_11target_archE4294967295ELNS1_3gpuE0ELNS1_3repE0EEENS1_30default_config_static_selectorELNS0_4arch9wavefront6targetE1EEEvT1_
                                        ; -- End function
	.section	.AMDGPU.csdata,"",@progbits
; Kernel info:
; codeLenInByte = 0
; NumSgprs: 4
; NumVgprs: 0
; NumAgprs: 0
; TotalNumVgprs: 0
; ScratchSize: 0
; MemoryBound: 0
; FloatMode: 240
; IeeeMode: 1
; LDSByteSize: 0 bytes/workgroup (compile time only)
; SGPRBlocks: 0
; VGPRBlocks: 0
; NumSGPRsForWavesPerEU: 4
; NumVGPRsForWavesPerEU: 1
; AccumOffset: 4
; Occupancy: 8
; WaveLimiterHint : 0
; COMPUTE_PGM_RSRC2:SCRATCH_EN: 0
; COMPUTE_PGM_RSRC2:USER_SGPR: 6
; COMPUTE_PGM_RSRC2:TRAP_HANDLER: 0
; COMPUTE_PGM_RSRC2:TGID_X_EN: 1
; COMPUTE_PGM_RSRC2:TGID_Y_EN: 0
; COMPUTE_PGM_RSRC2:TGID_Z_EN: 0
; COMPUTE_PGM_RSRC2:TIDIG_COMP_CNT: 0
; COMPUTE_PGM_RSRC3_GFX90A:ACCUM_OFFSET: 0
; COMPUTE_PGM_RSRC3_GFX90A:TG_SPLIT: 0
	.section	.text._ZN7rocprim17ROCPRIM_400000_NS6detail17trampoline_kernelINS0_14default_configENS1_20scan_config_selectorIfEEZZNS1_9scan_implILNS1_25lookback_scan_determinismE0ELb0ELb0ES3_N6thrust23THRUST_200600_302600_NS6detail15normal_iteratorINS9_10device_ptrIfEEEESE_f11max_functorIfEfEEDaPvRmT3_T4_T5_mT6_P12ihipStream_tbENKUlT_T0_E_clISt17integral_constantIbLb1EESU_EEDaSP_SQ_EUlSP_E0_NS1_11comp_targetILNS1_3genE5ELNS1_11target_archE942ELNS1_3gpuE9ELNS1_3repE0EEENS1_30default_config_static_selectorELNS0_4arch9wavefront6targetE1EEEvT1_,"axG",@progbits,_ZN7rocprim17ROCPRIM_400000_NS6detail17trampoline_kernelINS0_14default_configENS1_20scan_config_selectorIfEEZZNS1_9scan_implILNS1_25lookback_scan_determinismE0ELb0ELb0ES3_N6thrust23THRUST_200600_302600_NS6detail15normal_iteratorINS9_10device_ptrIfEEEESE_f11max_functorIfEfEEDaPvRmT3_T4_T5_mT6_P12ihipStream_tbENKUlT_T0_E_clISt17integral_constantIbLb1EESU_EEDaSP_SQ_EUlSP_E0_NS1_11comp_targetILNS1_3genE5ELNS1_11target_archE942ELNS1_3gpuE9ELNS1_3repE0EEENS1_30default_config_static_selectorELNS0_4arch9wavefront6targetE1EEEvT1_,comdat
	.protected	_ZN7rocprim17ROCPRIM_400000_NS6detail17trampoline_kernelINS0_14default_configENS1_20scan_config_selectorIfEEZZNS1_9scan_implILNS1_25lookback_scan_determinismE0ELb0ELb0ES3_N6thrust23THRUST_200600_302600_NS6detail15normal_iteratorINS9_10device_ptrIfEEEESE_f11max_functorIfEfEEDaPvRmT3_T4_T5_mT6_P12ihipStream_tbENKUlT_T0_E_clISt17integral_constantIbLb1EESU_EEDaSP_SQ_EUlSP_E0_NS1_11comp_targetILNS1_3genE5ELNS1_11target_archE942ELNS1_3gpuE9ELNS1_3repE0EEENS1_30default_config_static_selectorELNS0_4arch9wavefront6targetE1EEEvT1_ ; -- Begin function _ZN7rocprim17ROCPRIM_400000_NS6detail17trampoline_kernelINS0_14default_configENS1_20scan_config_selectorIfEEZZNS1_9scan_implILNS1_25lookback_scan_determinismE0ELb0ELb0ES3_N6thrust23THRUST_200600_302600_NS6detail15normal_iteratorINS9_10device_ptrIfEEEESE_f11max_functorIfEfEEDaPvRmT3_T4_T5_mT6_P12ihipStream_tbENKUlT_T0_E_clISt17integral_constantIbLb1EESU_EEDaSP_SQ_EUlSP_E0_NS1_11comp_targetILNS1_3genE5ELNS1_11target_archE942ELNS1_3gpuE9ELNS1_3repE0EEENS1_30default_config_static_selectorELNS0_4arch9wavefront6targetE1EEEvT1_
	.globl	_ZN7rocprim17ROCPRIM_400000_NS6detail17trampoline_kernelINS0_14default_configENS1_20scan_config_selectorIfEEZZNS1_9scan_implILNS1_25lookback_scan_determinismE0ELb0ELb0ES3_N6thrust23THRUST_200600_302600_NS6detail15normal_iteratorINS9_10device_ptrIfEEEESE_f11max_functorIfEfEEDaPvRmT3_T4_T5_mT6_P12ihipStream_tbENKUlT_T0_E_clISt17integral_constantIbLb1EESU_EEDaSP_SQ_EUlSP_E0_NS1_11comp_targetILNS1_3genE5ELNS1_11target_archE942ELNS1_3gpuE9ELNS1_3repE0EEENS1_30default_config_static_selectorELNS0_4arch9wavefront6targetE1EEEvT1_
	.p2align	8
	.type	_ZN7rocprim17ROCPRIM_400000_NS6detail17trampoline_kernelINS0_14default_configENS1_20scan_config_selectorIfEEZZNS1_9scan_implILNS1_25lookback_scan_determinismE0ELb0ELb0ES3_N6thrust23THRUST_200600_302600_NS6detail15normal_iteratorINS9_10device_ptrIfEEEESE_f11max_functorIfEfEEDaPvRmT3_T4_T5_mT6_P12ihipStream_tbENKUlT_T0_E_clISt17integral_constantIbLb1EESU_EEDaSP_SQ_EUlSP_E0_NS1_11comp_targetILNS1_3genE5ELNS1_11target_archE942ELNS1_3gpuE9ELNS1_3repE0EEENS1_30default_config_static_selectorELNS0_4arch9wavefront6targetE1EEEvT1_,@function
_ZN7rocprim17ROCPRIM_400000_NS6detail17trampoline_kernelINS0_14default_configENS1_20scan_config_selectorIfEEZZNS1_9scan_implILNS1_25lookback_scan_determinismE0ELb0ELb0ES3_N6thrust23THRUST_200600_302600_NS6detail15normal_iteratorINS9_10device_ptrIfEEEESE_f11max_functorIfEfEEDaPvRmT3_T4_T5_mT6_P12ihipStream_tbENKUlT_T0_E_clISt17integral_constantIbLb1EESU_EEDaSP_SQ_EUlSP_E0_NS1_11comp_targetILNS1_3genE5ELNS1_11target_archE942ELNS1_3gpuE9ELNS1_3repE0EEENS1_30default_config_static_selectorELNS0_4arch9wavefront6targetE1EEEvT1_: ; @_ZN7rocprim17ROCPRIM_400000_NS6detail17trampoline_kernelINS0_14default_configENS1_20scan_config_selectorIfEEZZNS1_9scan_implILNS1_25lookback_scan_determinismE0ELb0ELb0ES3_N6thrust23THRUST_200600_302600_NS6detail15normal_iteratorINS9_10device_ptrIfEEEESE_f11max_functorIfEfEEDaPvRmT3_T4_T5_mT6_P12ihipStream_tbENKUlT_T0_E_clISt17integral_constantIbLb1EESU_EEDaSP_SQ_EUlSP_E0_NS1_11comp_targetILNS1_3genE5ELNS1_11target_archE942ELNS1_3gpuE9ELNS1_3repE0EEENS1_30default_config_static_selectorELNS0_4arch9wavefront6targetE1EEEvT1_
; %bb.0:
	.section	.rodata,"a",@progbits
	.p2align	6, 0x0
	.amdhsa_kernel _ZN7rocprim17ROCPRIM_400000_NS6detail17trampoline_kernelINS0_14default_configENS1_20scan_config_selectorIfEEZZNS1_9scan_implILNS1_25lookback_scan_determinismE0ELb0ELb0ES3_N6thrust23THRUST_200600_302600_NS6detail15normal_iteratorINS9_10device_ptrIfEEEESE_f11max_functorIfEfEEDaPvRmT3_T4_T5_mT6_P12ihipStream_tbENKUlT_T0_E_clISt17integral_constantIbLb1EESU_EEDaSP_SQ_EUlSP_E0_NS1_11comp_targetILNS1_3genE5ELNS1_11target_archE942ELNS1_3gpuE9ELNS1_3repE0EEENS1_30default_config_static_selectorELNS0_4arch9wavefront6targetE1EEEvT1_
		.amdhsa_group_segment_fixed_size 0
		.amdhsa_private_segment_fixed_size 0
		.amdhsa_kernarg_size 32
		.amdhsa_user_sgpr_count 6
		.amdhsa_user_sgpr_private_segment_buffer 1
		.amdhsa_user_sgpr_dispatch_ptr 0
		.amdhsa_user_sgpr_queue_ptr 0
		.amdhsa_user_sgpr_kernarg_segment_ptr 1
		.amdhsa_user_sgpr_dispatch_id 0
		.amdhsa_user_sgpr_flat_scratch_init 0
		.amdhsa_user_sgpr_kernarg_preload_length 0
		.amdhsa_user_sgpr_kernarg_preload_offset 0
		.amdhsa_user_sgpr_private_segment_size 0
		.amdhsa_uses_dynamic_stack 0
		.amdhsa_system_sgpr_private_segment_wavefront_offset 0
		.amdhsa_system_sgpr_workgroup_id_x 1
		.amdhsa_system_sgpr_workgroup_id_y 0
		.amdhsa_system_sgpr_workgroup_id_z 0
		.amdhsa_system_sgpr_workgroup_info 0
		.amdhsa_system_vgpr_workitem_id 0
		.amdhsa_next_free_vgpr 1
		.amdhsa_next_free_sgpr 0
		.amdhsa_accum_offset 4
		.amdhsa_reserve_vcc 0
		.amdhsa_reserve_flat_scratch 0
		.amdhsa_float_round_mode_32 0
		.amdhsa_float_round_mode_16_64 0
		.amdhsa_float_denorm_mode_32 3
		.amdhsa_float_denorm_mode_16_64 3
		.amdhsa_dx10_clamp 1
		.amdhsa_ieee_mode 1
		.amdhsa_fp16_overflow 0
		.amdhsa_tg_split 0
		.amdhsa_exception_fp_ieee_invalid_op 0
		.amdhsa_exception_fp_denorm_src 0
		.amdhsa_exception_fp_ieee_div_zero 0
		.amdhsa_exception_fp_ieee_overflow 0
		.amdhsa_exception_fp_ieee_underflow 0
		.amdhsa_exception_fp_ieee_inexact 0
		.amdhsa_exception_int_div_zero 0
	.end_amdhsa_kernel
	.section	.text._ZN7rocprim17ROCPRIM_400000_NS6detail17trampoline_kernelINS0_14default_configENS1_20scan_config_selectorIfEEZZNS1_9scan_implILNS1_25lookback_scan_determinismE0ELb0ELb0ES3_N6thrust23THRUST_200600_302600_NS6detail15normal_iteratorINS9_10device_ptrIfEEEESE_f11max_functorIfEfEEDaPvRmT3_T4_T5_mT6_P12ihipStream_tbENKUlT_T0_E_clISt17integral_constantIbLb1EESU_EEDaSP_SQ_EUlSP_E0_NS1_11comp_targetILNS1_3genE5ELNS1_11target_archE942ELNS1_3gpuE9ELNS1_3repE0EEENS1_30default_config_static_selectorELNS0_4arch9wavefront6targetE1EEEvT1_,"axG",@progbits,_ZN7rocprim17ROCPRIM_400000_NS6detail17trampoline_kernelINS0_14default_configENS1_20scan_config_selectorIfEEZZNS1_9scan_implILNS1_25lookback_scan_determinismE0ELb0ELb0ES3_N6thrust23THRUST_200600_302600_NS6detail15normal_iteratorINS9_10device_ptrIfEEEESE_f11max_functorIfEfEEDaPvRmT3_T4_T5_mT6_P12ihipStream_tbENKUlT_T0_E_clISt17integral_constantIbLb1EESU_EEDaSP_SQ_EUlSP_E0_NS1_11comp_targetILNS1_3genE5ELNS1_11target_archE942ELNS1_3gpuE9ELNS1_3repE0EEENS1_30default_config_static_selectorELNS0_4arch9wavefront6targetE1EEEvT1_,comdat
.Lfunc_end1971:
	.size	_ZN7rocprim17ROCPRIM_400000_NS6detail17trampoline_kernelINS0_14default_configENS1_20scan_config_selectorIfEEZZNS1_9scan_implILNS1_25lookback_scan_determinismE0ELb0ELb0ES3_N6thrust23THRUST_200600_302600_NS6detail15normal_iteratorINS9_10device_ptrIfEEEESE_f11max_functorIfEfEEDaPvRmT3_T4_T5_mT6_P12ihipStream_tbENKUlT_T0_E_clISt17integral_constantIbLb1EESU_EEDaSP_SQ_EUlSP_E0_NS1_11comp_targetILNS1_3genE5ELNS1_11target_archE942ELNS1_3gpuE9ELNS1_3repE0EEENS1_30default_config_static_selectorELNS0_4arch9wavefront6targetE1EEEvT1_, .Lfunc_end1971-_ZN7rocprim17ROCPRIM_400000_NS6detail17trampoline_kernelINS0_14default_configENS1_20scan_config_selectorIfEEZZNS1_9scan_implILNS1_25lookback_scan_determinismE0ELb0ELb0ES3_N6thrust23THRUST_200600_302600_NS6detail15normal_iteratorINS9_10device_ptrIfEEEESE_f11max_functorIfEfEEDaPvRmT3_T4_T5_mT6_P12ihipStream_tbENKUlT_T0_E_clISt17integral_constantIbLb1EESU_EEDaSP_SQ_EUlSP_E0_NS1_11comp_targetILNS1_3genE5ELNS1_11target_archE942ELNS1_3gpuE9ELNS1_3repE0EEENS1_30default_config_static_selectorELNS0_4arch9wavefront6targetE1EEEvT1_
                                        ; -- End function
	.section	.AMDGPU.csdata,"",@progbits
; Kernel info:
; codeLenInByte = 0
; NumSgprs: 4
; NumVgprs: 0
; NumAgprs: 0
; TotalNumVgprs: 0
; ScratchSize: 0
; MemoryBound: 0
; FloatMode: 240
; IeeeMode: 1
; LDSByteSize: 0 bytes/workgroup (compile time only)
; SGPRBlocks: 0
; VGPRBlocks: 0
; NumSGPRsForWavesPerEU: 4
; NumVGPRsForWavesPerEU: 1
; AccumOffset: 4
; Occupancy: 8
; WaveLimiterHint : 0
; COMPUTE_PGM_RSRC2:SCRATCH_EN: 0
; COMPUTE_PGM_RSRC2:USER_SGPR: 6
; COMPUTE_PGM_RSRC2:TRAP_HANDLER: 0
; COMPUTE_PGM_RSRC2:TGID_X_EN: 1
; COMPUTE_PGM_RSRC2:TGID_Y_EN: 0
; COMPUTE_PGM_RSRC2:TGID_Z_EN: 0
; COMPUTE_PGM_RSRC2:TIDIG_COMP_CNT: 0
; COMPUTE_PGM_RSRC3_GFX90A:ACCUM_OFFSET: 0
; COMPUTE_PGM_RSRC3_GFX90A:TG_SPLIT: 0
	.section	.text._ZN7rocprim17ROCPRIM_400000_NS6detail17trampoline_kernelINS0_14default_configENS1_20scan_config_selectorIfEEZZNS1_9scan_implILNS1_25lookback_scan_determinismE0ELb0ELb0ES3_N6thrust23THRUST_200600_302600_NS6detail15normal_iteratorINS9_10device_ptrIfEEEESE_f11max_functorIfEfEEDaPvRmT3_T4_T5_mT6_P12ihipStream_tbENKUlT_T0_E_clISt17integral_constantIbLb1EESU_EEDaSP_SQ_EUlSP_E0_NS1_11comp_targetILNS1_3genE4ELNS1_11target_archE910ELNS1_3gpuE8ELNS1_3repE0EEENS1_30default_config_static_selectorELNS0_4arch9wavefront6targetE1EEEvT1_,"axG",@progbits,_ZN7rocprim17ROCPRIM_400000_NS6detail17trampoline_kernelINS0_14default_configENS1_20scan_config_selectorIfEEZZNS1_9scan_implILNS1_25lookback_scan_determinismE0ELb0ELb0ES3_N6thrust23THRUST_200600_302600_NS6detail15normal_iteratorINS9_10device_ptrIfEEEESE_f11max_functorIfEfEEDaPvRmT3_T4_T5_mT6_P12ihipStream_tbENKUlT_T0_E_clISt17integral_constantIbLb1EESU_EEDaSP_SQ_EUlSP_E0_NS1_11comp_targetILNS1_3genE4ELNS1_11target_archE910ELNS1_3gpuE8ELNS1_3repE0EEENS1_30default_config_static_selectorELNS0_4arch9wavefront6targetE1EEEvT1_,comdat
	.protected	_ZN7rocprim17ROCPRIM_400000_NS6detail17trampoline_kernelINS0_14default_configENS1_20scan_config_selectorIfEEZZNS1_9scan_implILNS1_25lookback_scan_determinismE0ELb0ELb0ES3_N6thrust23THRUST_200600_302600_NS6detail15normal_iteratorINS9_10device_ptrIfEEEESE_f11max_functorIfEfEEDaPvRmT3_T4_T5_mT6_P12ihipStream_tbENKUlT_T0_E_clISt17integral_constantIbLb1EESU_EEDaSP_SQ_EUlSP_E0_NS1_11comp_targetILNS1_3genE4ELNS1_11target_archE910ELNS1_3gpuE8ELNS1_3repE0EEENS1_30default_config_static_selectorELNS0_4arch9wavefront6targetE1EEEvT1_ ; -- Begin function _ZN7rocprim17ROCPRIM_400000_NS6detail17trampoline_kernelINS0_14default_configENS1_20scan_config_selectorIfEEZZNS1_9scan_implILNS1_25lookback_scan_determinismE0ELb0ELb0ES3_N6thrust23THRUST_200600_302600_NS6detail15normal_iteratorINS9_10device_ptrIfEEEESE_f11max_functorIfEfEEDaPvRmT3_T4_T5_mT6_P12ihipStream_tbENKUlT_T0_E_clISt17integral_constantIbLb1EESU_EEDaSP_SQ_EUlSP_E0_NS1_11comp_targetILNS1_3genE4ELNS1_11target_archE910ELNS1_3gpuE8ELNS1_3repE0EEENS1_30default_config_static_selectorELNS0_4arch9wavefront6targetE1EEEvT1_
	.globl	_ZN7rocprim17ROCPRIM_400000_NS6detail17trampoline_kernelINS0_14default_configENS1_20scan_config_selectorIfEEZZNS1_9scan_implILNS1_25lookback_scan_determinismE0ELb0ELb0ES3_N6thrust23THRUST_200600_302600_NS6detail15normal_iteratorINS9_10device_ptrIfEEEESE_f11max_functorIfEfEEDaPvRmT3_T4_T5_mT6_P12ihipStream_tbENKUlT_T0_E_clISt17integral_constantIbLb1EESU_EEDaSP_SQ_EUlSP_E0_NS1_11comp_targetILNS1_3genE4ELNS1_11target_archE910ELNS1_3gpuE8ELNS1_3repE0EEENS1_30default_config_static_selectorELNS0_4arch9wavefront6targetE1EEEvT1_
	.p2align	8
	.type	_ZN7rocprim17ROCPRIM_400000_NS6detail17trampoline_kernelINS0_14default_configENS1_20scan_config_selectorIfEEZZNS1_9scan_implILNS1_25lookback_scan_determinismE0ELb0ELb0ES3_N6thrust23THRUST_200600_302600_NS6detail15normal_iteratorINS9_10device_ptrIfEEEESE_f11max_functorIfEfEEDaPvRmT3_T4_T5_mT6_P12ihipStream_tbENKUlT_T0_E_clISt17integral_constantIbLb1EESU_EEDaSP_SQ_EUlSP_E0_NS1_11comp_targetILNS1_3genE4ELNS1_11target_archE910ELNS1_3gpuE8ELNS1_3repE0EEENS1_30default_config_static_selectorELNS0_4arch9wavefront6targetE1EEEvT1_,@function
_ZN7rocprim17ROCPRIM_400000_NS6detail17trampoline_kernelINS0_14default_configENS1_20scan_config_selectorIfEEZZNS1_9scan_implILNS1_25lookback_scan_determinismE0ELb0ELb0ES3_N6thrust23THRUST_200600_302600_NS6detail15normal_iteratorINS9_10device_ptrIfEEEESE_f11max_functorIfEfEEDaPvRmT3_T4_T5_mT6_P12ihipStream_tbENKUlT_T0_E_clISt17integral_constantIbLb1EESU_EEDaSP_SQ_EUlSP_E0_NS1_11comp_targetILNS1_3genE4ELNS1_11target_archE910ELNS1_3gpuE8ELNS1_3repE0EEENS1_30default_config_static_selectorELNS0_4arch9wavefront6targetE1EEEvT1_: ; @_ZN7rocprim17ROCPRIM_400000_NS6detail17trampoline_kernelINS0_14default_configENS1_20scan_config_selectorIfEEZZNS1_9scan_implILNS1_25lookback_scan_determinismE0ELb0ELb0ES3_N6thrust23THRUST_200600_302600_NS6detail15normal_iteratorINS9_10device_ptrIfEEEESE_f11max_functorIfEfEEDaPvRmT3_T4_T5_mT6_P12ihipStream_tbENKUlT_T0_E_clISt17integral_constantIbLb1EESU_EEDaSP_SQ_EUlSP_E0_NS1_11comp_targetILNS1_3genE4ELNS1_11target_archE910ELNS1_3gpuE8ELNS1_3repE0EEENS1_30default_config_static_selectorELNS0_4arch9wavefront6targetE1EEEvT1_
; %bb.0:
	s_load_dwordx4 s[28:31], s[4:5], 0x0
	v_lshlrev_b32_e32 v16, 2, v0
	s_waitcnt lgkmcnt(0)
	s_load_dword s31, s[28:29], 0x0
	v_cmp_gt_u32_e32 vcc, s30, v0
	s_waitcnt lgkmcnt(0)
	v_mov_b32_e32 v1, s31
	s_and_saveexec_b64 s[0:1], vcc
	s_cbranch_execz .LBB1972_2
; %bb.1:
	global_load_dword v1, v16, s[28:29]
.LBB1972_2:
	s_or_b64 exec, exec, s[0:1]
	v_or_b32_e32 v2, 0x80, v0
	v_cmp_gt_u32_e64 s[0:1], s30, v2
	v_mov_b32_e32 v2, s31
	s_and_saveexec_b64 s[2:3], s[0:1]
	s_cbranch_execz .LBB1972_4
; %bb.3:
	global_load_dword v2, v16, s[28:29] offset:512
.LBB1972_4:
	s_or_b64 exec, exec, s[2:3]
	v_or_b32_e32 v3, 0x100, v0
	v_cmp_gt_u32_e64 s[2:3], s30, v3
	v_mov_b32_e32 v3, s31
	s_and_saveexec_b64 s[6:7], s[2:3]
	s_cbranch_execz .LBB1972_6
; %bb.5:
	global_load_dword v3, v16, s[28:29] offset:1024
.LBB1972_6:
	;; [unrolled: 9-line block ×7, first 2 shown]
	s_or_b64 exec, exec, s[14:15]
	v_or_b32_e32 v10, 0x400, v0
	v_cmp_gt_u32_e64 s[14:15], s30, v10
	v_mov_b32_e32 v9, s31
	s_and_saveexec_b64 s[16:17], s[14:15]
	s_cbranch_execz .LBB1972_18
; %bb.17:
	v_lshlrev_b32_e32 v9, 2, v10
	global_load_dword v9, v9, s[28:29]
.LBB1972_18:
	s_or_b64 exec, exec, s[16:17]
	v_or_b32_e32 v11, 0x480, v0
	v_cmp_gt_u32_e64 s[16:17], s30, v11
	v_mov_b32_e32 v10, s31
	s_and_saveexec_b64 s[18:19], s[16:17]
	s_cbranch_execz .LBB1972_20
; %bb.19:
	v_lshlrev_b32_e32 v10, 2, v11
	global_load_dword v10, v10, s[28:29]
.LBB1972_20:
	;; [unrolled: 10-line block ×6, first 2 shown]
	s_or_b64 exec, exec, s[30:31]
	s_waitcnt vmcnt(0)
	ds_write2st64_b32 v16, v1, v2 offset1:2
	ds_write2st64_b32 v16, v3, v4 offset0:4 offset1:6
	ds_write2st64_b32 v16, v5, v6 offset0:8 offset1:10
	ds_write2st64_b32 v16, v7, v8 offset0:12 offset1:14
	ds_write2st64_b32 v16, v9, v10 offset0:16 offset1:18
	ds_write2st64_b32 v16, v11, v12 offset0:20 offset1:22
	ds_write2st64_b32 v16, v13, v14 offset0:24 offset1:26
	v_mad_u32_u24 v1, v0, 52, v16
	s_waitcnt lgkmcnt(0)
	s_barrier
	ds_read2_b64 v[2:5], v1 offset1:1
	ds_read2_b64 v[10:13], v1 offset0:2 offset1:3
	ds_read2_b64 v[6:9], v1 offset0:4 offset1:5
	ds_read_b64 v[14:15], v1 offset:48
	v_lshrrev_b32_e32 v18, 3, v0
	s_waitcnt lgkmcnt(3)
	v_cmp_lt_f32_e64 s[28:29], v2, v3
	v_cndmask_b32_e64 v17, v2, v3, s[28:29]
	v_cmp_lt_f32_e64 s[28:29], v17, v4
	v_cndmask_b32_e64 v17, v17, v4, s[28:29]
	v_cmp_lt_f32_e64 s[28:29], v17, v5
	v_cndmask_b32_e64 v17, v17, v5, s[28:29]
	s_waitcnt lgkmcnt(2)
	v_cmp_lt_f32_e64 s[28:29], v17, v10
	v_cndmask_b32_e64 v17, v17, v10, s[28:29]
	v_cmp_lt_f32_e64 s[28:29], v17, v11
	v_cndmask_b32_e64 v17, v17, v11, s[28:29]
	v_cmp_lt_f32_e64 s[28:29], v17, v12
	v_cndmask_b32_e64 v17, v17, v12, s[28:29]
	v_cmp_lt_f32_e64 s[28:29], v17, v13
	v_cndmask_b32_e64 v17, v17, v13, s[28:29]
	s_waitcnt lgkmcnt(1)
	v_cmp_lt_f32_e64 s[28:29], v17, v6
	v_cndmask_b32_e64 v17, v17, v6, s[28:29]
	;; [unrolled: 9-line block ×3, first 2 shown]
	v_cmp_lt_f32_e64 s[28:29], v17, v15
	v_and_b32_e32 v18, 12, v18
	v_cndmask_b32_e64 v17, v17, v15, s[28:29]
	v_add_u32_e32 v18, v16, v18
	v_cmp_gt_u32_e64 s[28:29], 64, v0
	s_barrier
	ds_write_b32 v18, v17
	s_waitcnt lgkmcnt(0)
	s_barrier
	s_and_saveexec_b64 s[38:39], s[28:29]
	s_cbranch_execz .LBB1972_30
; %bb.29:
	v_lshlrev_b32_e32 v18, 1, v0
	v_lshrrev_b32_e32 v19, 4, v0
	v_add_lshl_u32 v20, v19, v18, 2
	ds_read2_b32 v[18:19], v20 offset1:1
	v_mbcnt_lo_u32_b32 v21, -1, 0
	v_mbcnt_hi_u32_b32 v21, -1, v21
	v_and_b32_e32 v22, 15, v21
	v_cmp_lt_u32_e64 s[36:37], 31, v21
	s_waitcnt lgkmcnt(0)
	v_cmp_lt_f32_e64 s[28:29], v18, v19
	v_cndmask_b32_e64 v19, v18, v19, s[28:29]
	v_cmp_gt_u32_e64 s[34:35], 32, v21
	s_nop 0
	v_mov_b32_dpp v23, v19 row_shr:1 row_mask:0xf bank_mask:0xf
	v_cmp_gt_f32_e64 s[28:29], v19, v23
	v_cndmask_b32_e64 v23, v23, v19, s[28:29]
	v_cmp_eq_u32_e64 s[28:29], 0, v22
	v_cndmask_b32_e64 v19, v23, v19, s[28:29]
	; wave barrier
	s_nop 1
	v_mov_b32_dpp v23, v19 row_shr:2 row_mask:0xf bank_mask:0xf
	v_cmp_gt_f32_e64 s[28:29], v19, v23
	v_cndmask_b32_e64 v23, v23, v19, s[28:29]
	v_cmp_lt_u32_e64 s[28:29], 1, v22
	v_cndmask_b32_e64 v23, v19, v23, s[28:29]
	s_nop 1
	v_mov_b32_dpp v24, v23 row_shr:4 row_mask:0xf bank_mask:0xf
	v_cmp_gt_f32_e64 s[30:31], v23, v24
	v_cndmask_b32_e64 v24, v24, v23, s[30:31]
	v_cmp_lt_u32_e64 s[30:31], 3, v22
	v_cndmask_b32_e64 v23, v23, v24, s[30:31]
	;; [unrolled: 6-line block ×3, first 2 shown]
	v_and_b32_e32 v24, 16, v21
	s_nop 0
	v_mov_b32_dpp v23, v22 row_bcast:15 row_mask:0xf bank_mask:0xf
	v_cmp_gt_f32_e64 s[30:31], v22, v23
	v_cndmask_b32_e64 v23, v23, v22, s[30:31]
	v_cmp_ne_u32_e64 s[30:31], 0, v24
	v_cndmask_b32_e64 v22, v22, v23, s[30:31]
	s_or_b64 s[36:37], s[30:31], s[36:37]
	s_or_b64 s[28:29], s[28:29], s[36:37]
	v_mov_b32_dpp v23, v22 row_bcast:31 row_mask:0xf bank_mask:0xf
	v_cmp_gt_f32_e64 s[30:31], v22, v23
	s_or_b64 s[30:31], s[34:35], s[30:31]
	v_cndmask_b32_e64 v22, v23, v22, s[30:31]
	v_cndmask_b32_e64 v19, v19, v22, s[28:29]
	v_add_u32_e32 v22, -1, v21
	v_and_b32_e32 v23, 64, v21
	v_cmp_lt_i32_e64 s[28:29], v22, v23
	v_cndmask_b32_e64 v21, v22, v21, s[28:29]
	v_lshlrev_b32_e32 v21, 2, v21
	ds_bpermute_b32 v19, v21, v19
	s_waitcnt lgkmcnt(0)
	v_cmp_gt_f32_e64 s[28:29], v18, v19
	v_cndmask_b32_e64 v18, v19, v18, s[28:29]
	v_cmp_eq_u32_e64 s[28:29], 0, v0
	v_cndmask_b32_e64 v18, v18, v17, s[28:29]
	ds_write_b32 v20, v18
	; wave barrier
	ds_read_b32 v19, v20 offset:4
	s_waitcnt lgkmcnt(0)
	v_cmp_lt_f32_e64 s[28:29], v18, v19
	v_cndmask_b32_e64 v18, v18, v19, s[28:29]
	ds_write_b32 v20, v18 offset:4
.LBB1972_30:
	s_or_b64 exec, exec, s[38:39]
	s_load_dwordx2 s[28:29], s[4:5], 0x18
	v_cmp_ne_u32_e64 s[4:5], 0, v0
	s_waitcnt lgkmcnt(0)
	s_barrier
	s_and_saveexec_b64 s[30:31], s[4:5]
	s_cbranch_execz .LBB1972_32
; %bb.31:
	v_add_u32_e32 v17, -1, v0
	v_lshrrev_b32_e32 v18, 5, v17
	v_add_lshl_u32 v17, v18, v17, 2
	ds_read_b32 v17, v17
.LBB1972_32:
	s_or_b64 exec, exec, s[30:31]
	s_and_saveexec_b64 s[30:31], s[4:5]
	s_cbranch_execz .LBB1972_34
; %bb.33:
	s_waitcnt lgkmcnt(0)
	v_cmp_gt_f32_e64 s[4:5], v2, v17
	v_cndmask_b32_e64 v2, v17, v2, s[4:5]
	;;#ASMSTART
	;;#ASMEND
.LBB1972_34:
	s_or_b64 exec, exec, s[30:31]
	v_cmp_gt_f32_e64 s[4:5], v3, v2
	v_cndmask_b32_e64 v3, v2, v3, s[4:5]
	v_cmp_lt_f32_e64 s[4:5], v3, v4
	v_cndmask_b32_e64 v4, v3, v4, s[4:5]
	v_cmp_lt_f32_e64 s[4:5], v4, v5
	;; [unrolled: 2-line block ×12, first 2 shown]
	v_cndmask_b32_e64 v15, v14, v15, s[4:5]
	s_movk_i32 s4, 0xffcc
	v_mad_i32_i24 v0, v0, s4, v1
	s_waitcnt lgkmcnt(0)
	s_barrier
	ds_write2_b64 v1, v[2:3], v[4:5] offset1:1
	ds_write2_b64 v1, v[10:11], v[12:13] offset0:2 offset1:3
	ds_write2_b64 v1, v[6:7], v[8:9] offset0:4 offset1:5
	ds_write_b64 v1, v[14:15] offset:48
	s_waitcnt lgkmcnt(0)
	s_barrier
	ds_read2st64_b32 v[12:13], v0 offset0:2 offset1:4
	ds_read2st64_b32 v[10:11], v0 offset0:6 offset1:8
	;; [unrolled: 1-line block ×4, first 2 shown]
	ds_read_b32 v14, v16 offset:4096
	ds_read2st64_b32 v[4:5], v0 offset0:20 offset1:22
	ds_read2st64_b32 v[0:1], v0 offset0:24 offset1:26
	v_mov_b32_e32 v3, s29
	v_add_co_u32_e64 v2, s[4:5], s28, v16
	v_addc_co_u32_e64 v3, s[4:5], 0, v3, s[4:5]
	s_and_saveexec_b64 s[4:5], vcc
	s_cbranch_execnz .LBB1972_49
; %bb.35:
	s_or_b64 exec, exec, s[4:5]
	s_and_saveexec_b64 s[4:5], s[0:1]
	s_cbranch_execnz .LBB1972_50
.LBB1972_36:
	s_or_b64 exec, exec, s[4:5]
	s_and_saveexec_b64 s[0:1], s[2:3]
	s_cbranch_execnz .LBB1972_51
.LBB1972_37:
	s_or_b64 exec, exec, s[0:1]
	s_and_saveexec_b64 s[0:1], s[26:27]
	s_cbranch_execnz .LBB1972_52
.LBB1972_38:
	s_or_b64 exec, exec, s[0:1]
	s_and_saveexec_b64 s[0:1], s[6:7]
	s_cbranch_execnz .LBB1972_53
.LBB1972_39:
	s_or_b64 exec, exec, s[0:1]
	s_and_saveexec_b64 s[0:1], s[8:9]
	s_cbranch_execnz .LBB1972_54
.LBB1972_40:
	s_or_b64 exec, exec, s[0:1]
	s_and_saveexec_b64 s[0:1], s[10:11]
	s_cbranch_execnz .LBB1972_55
.LBB1972_41:
	s_or_b64 exec, exec, s[0:1]
	s_and_saveexec_b64 s[0:1], s[12:13]
	s_cbranch_execnz .LBB1972_56
.LBB1972_42:
	s_or_b64 exec, exec, s[0:1]
	s_and_saveexec_b64 s[0:1], s[14:15]
	s_cbranch_execnz .LBB1972_57
.LBB1972_43:
	s_or_b64 exec, exec, s[0:1]
	s_and_saveexec_b64 s[0:1], s[16:17]
	s_cbranch_execnz .LBB1972_58
.LBB1972_44:
	s_or_b64 exec, exec, s[0:1]
	s_and_saveexec_b64 s[0:1], s[18:19]
	s_cbranch_execnz .LBB1972_59
.LBB1972_45:
	s_or_b64 exec, exec, s[0:1]
	s_and_saveexec_b64 s[0:1], s[20:21]
	s_cbranch_execnz .LBB1972_60
.LBB1972_46:
	s_or_b64 exec, exec, s[0:1]
	s_and_saveexec_b64 s[0:1], s[22:23]
	s_cbranch_execnz .LBB1972_61
.LBB1972_47:
	s_or_b64 exec, exec, s[0:1]
	s_and_saveexec_b64 s[0:1], s[24:25]
	s_cbranch_execnz .LBB1972_62
.LBB1972_48:
	s_endpgm
.LBB1972_49:
	ds_read_b32 v15, v16
	s_waitcnt lgkmcnt(0)
	global_store_dword v[2:3], v15, off
	s_or_b64 exec, exec, s[4:5]
	s_and_saveexec_b64 s[4:5], s[0:1]
	s_cbranch_execz .LBB1972_36
.LBB1972_50:
	s_waitcnt lgkmcnt(6)
	global_store_dword v[2:3], v12, off offset:512
	s_or_b64 exec, exec, s[4:5]
	s_and_saveexec_b64 s[0:1], s[2:3]
	s_cbranch_execz .LBB1972_37
.LBB1972_51:
	s_waitcnt lgkmcnt(6)
	global_store_dword v[2:3], v13, off offset:1024
	s_or_b64 exec, exec, s[0:1]
	s_and_saveexec_b64 s[0:1], s[26:27]
	s_cbranch_execz .LBB1972_38
.LBB1972_52:
	s_waitcnt lgkmcnt(5)
	global_store_dword v[2:3], v10, off offset:1536
	s_or_b64 exec, exec, s[0:1]
	s_and_saveexec_b64 s[0:1], s[6:7]
	s_cbranch_execz .LBB1972_39
.LBB1972_53:
	s_waitcnt lgkmcnt(5)
	global_store_dword v[2:3], v11, off offset:2048
	s_or_b64 exec, exec, s[0:1]
	s_and_saveexec_b64 s[0:1], s[8:9]
	s_cbranch_execz .LBB1972_40
.LBB1972_54:
	s_waitcnt lgkmcnt(4)
	global_store_dword v[2:3], v8, off offset:2560
	s_or_b64 exec, exec, s[0:1]
	s_and_saveexec_b64 s[0:1], s[10:11]
	s_cbranch_execz .LBB1972_41
.LBB1972_55:
	s_waitcnt lgkmcnt(4)
	global_store_dword v[2:3], v9, off offset:3072
	s_or_b64 exec, exec, s[0:1]
	s_and_saveexec_b64 s[0:1], s[12:13]
	s_cbranch_execz .LBB1972_42
.LBB1972_56:
	s_waitcnt lgkmcnt(3)
	global_store_dword v[2:3], v6, off offset:3584
	s_or_b64 exec, exec, s[0:1]
	s_and_saveexec_b64 s[0:1], s[14:15]
	s_cbranch_execz .LBB1972_43
.LBB1972_57:
	s_waitcnt lgkmcnt(4)
	v_add_co_u32_e32 v8, vcc, 0x1000, v2
	v_addc_co_u32_e32 v9, vcc, 0, v3, vcc
	s_waitcnt lgkmcnt(2)
	global_store_dword v[8:9], v14, off
	s_or_b64 exec, exec, s[0:1]
	s_and_saveexec_b64 s[0:1], s[16:17]
	s_cbranch_execz .LBB1972_44
.LBB1972_58:
	s_waitcnt lgkmcnt(4)
	v_add_co_u32_e32 v8, vcc, 0x1000, v2
	v_addc_co_u32_e32 v9, vcc, 0, v3, vcc
	s_waitcnt lgkmcnt(3)
	global_store_dword v[8:9], v7, off offset:512
	s_or_b64 exec, exec, s[0:1]
	s_and_saveexec_b64 s[0:1], s[18:19]
	s_cbranch_execz .LBB1972_45
.LBB1972_59:
	s_waitcnt lgkmcnt(3)
	v_add_co_u32_e32 v6, vcc, 0x1000, v2
	v_addc_co_u32_e32 v7, vcc, 0, v3, vcc
	s_waitcnt lgkmcnt(1)
	global_store_dword v[6:7], v4, off offset:1024
	s_or_b64 exec, exec, s[0:1]
	s_and_saveexec_b64 s[0:1], s[20:21]
	s_cbranch_execz .LBB1972_46
.LBB1972_60:
	s_waitcnt lgkmcnt(3)
	v_add_co_u32_e32 v6, vcc, 0x1000, v2
	v_addc_co_u32_e32 v7, vcc, 0, v3, vcc
	s_waitcnt lgkmcnt(1)
	global_store_dword v[6:7], v5, off offset:1536
	s_or_b64 exec, exec, s[0:1]
	s_and_saveexec_b64 s[0:1], s[22:23]
	s_cbranch_execz .LBB1972_47
.LBB1972_61:
	s_waitcnt lgkmcnt(1)
	v_add_co_u32_e32 v4, vcc, 0x1000, v2
	v_addc_co_u32_e32 v5, vcc, 0, v3, vcc
	s_waitcnt lgkmcnt(0)
	global_store_dword v[4:5], v0, off offset:2048
	s_or_b64 exec, exec, s[0:1]
	s_and_saveexec_b64 s[0:1], s[24:25]
	s_cbranch_execz .LBB1972_48
.LBB1972_62:
	v_add_co_u32_e32 v2, vcc, 0x1000, v2
	v_addc_co_u32_e32 v3, vcc, 0, v3, vcc
	s_waitcnt lgkmcnt(0)
	global_store_dword v[2:3], v1, off offset:2560
	s_endpgm
	.section	.rodata,"a",@progbits
	.p2align	6, 0x0
	.amdhsa_kernel _ZN7rocprim17ROCPRIM_400000_NS6detail17trampoline_kernelINS0_14default_configENS1_20scan_config_selectorIfEEZZNS1_9scan_implILNS1_25lookback_scan_determinismE0ELb0ELb0ES3_N6thrust23THRUST_200600_302600_NS6detail15normal_iteratorINS9_10device_ptrIfEEEESE_f11max_functorIfEfEEDaPvRmT3_T4_T5_mT6_P12ihipStream_tbENKUlT_T0_E_clISt17integral_constantIbLb1EESU_EEDaSP_SQ_EUlSP_E0_NS1_11comp_targetILNS1_3genE4ELNS1_11target_archE910ELNS1_3gpuE8ELNS1_3repE0EEENS1_30default_config_static_selectorELNS0_4arch9wavefront6targetE1EEEvT1_
		.amdhsa_group_segment_fixed_size 7168
		.amdhsa_private_segment_fixed_size 0
		.amdhsa_kernarg_size 32
		.amdhsa_user_sgpr_count 6
		.amdhsa_user_sgpr_private_segment_buffer 1
		.amdhsa_user_sgpr_dispatch_ptr 0
		.amdhsa_user_sgpr_queue_ptr 0
		.amdhsa_user_sgpr_kernarg_segment_ptr 1
		.amdhsa_user_sgpr_dispatch_id 0
		.amdhsa_user_sgpr_flat_scratch_init 0
		.amdhsa_user_sgpr_kernarg_preload_length 0
		.amdhsa_user_sgpr_kernarg_preload_offset 0
		.amdhsa_user_sgpr_private_segment_size 0
		.amdhsa_uses_dynamic_stack 0
		.amdhsa_system_sgpr_private_segment_wavefront_offset 0
		.amdhsa_system_sgpr_workgroup_id_x 1
		.amdhsa_system_sgpr_workgroup_id_y 0
		.amdhsa_system_sgpr_workgroup_id_z 0
		.amdhsa_system_sgpr_workgroup_info 0
		.amdhsa_system_vgpr_workitem_id 0
		.amdhsa_next_free_vgpr 25
		.amdhsa_next_free_sgpr 40
		.amdhsa_accum_offset 28
		.amdhsa_reserve_vcc 1
		.amdhsa_reserve_flat_scratch 0
		.amdhsa_float_round_mode_32 0
		.amdhsa_float_round_mode_16_64 0
		.amdhsa_float_denorm_mode_32 3
		.amdhsa_float_denorm_mode_16_64 3
		.amdhsa_dx10_clamp 1
		.amdhsa_ieee_mode 1
		.amdhsa_fp16_overflow 0
		.amdhsa_tg_split 0
		.amdhsa_exception_fp_ieee_invalid_op 0
		.amdhsa_exception_fp_denorm_src 0
		.amdhsa_exception_fp_ieee_div_zero 0
		.amdhsa_exception_fp_ieee_overflow 0
		.amdhsa_exception_fp_ieee_underflow 0
		.amdhsa_exception_fp_ieee_inexact 0
		.amdhsa_exception_int_div_zero 0
	.end_amdhsa_kernel
	.section	.text._ZN7rocprim17ROCPRIM_400000_NS6detail17trampoline_kernelINS0_14default_configENS1_20scan_config_selectorIfEEZZNS1_9scan_implILNS1_25lookback_scan_determinismE0ELb0ELb0ES3_N6thrust23THRUST_200600_302600_NS6detail15normal_iteratorINS9_10device_ptrIfEEEESE_f11max_functorIfEfEEDaPvRmT3_T4_T5_mT6_P12ihipStream_tbENKUlT_T0_E_clISt17integral_constantIbLb1EESU_EEDaSP_SQ_EUlSP_E0_NS1_11comp_targetILNS1_3genE4ELNS1_11target_archE910ELNS1_3gpuE8ELNS1_3repE0EEENS1_30default_config_static_selectorELNS0_4arch9wavefront6targetE1EEEvT1_,"axG",@progbits,_ZN7rocprim17ROCPRIM_400000_NS6detail17trampoline_kernelINS0_14default_configENS1_20scan_config_selectorIfEEZZNS1_9scan_implILNS1_25lookback_scan_determinismE0ELb0ELb0ES3_N6thrust23THRUST_200600_302600_NS6detail15normal_iteratorINS9_10device_ptrIfEEEESE_f11max_functorIfEfEEDaPvRmT3_T4_T5_mT6_P12ihipStream_tbENKUlT_T0_E_clISt17integral_constantIbLb1EESU_EEDaSP_SQ_EUlSP_E0_NS1_11comp_targetILNS1_3genE4ELNS1_11target_archE910ELNS1_3gpuE8ELNS1_3repE0EEENS1_30default_config_static_selectorELNS0_4arch9wavefront6targetE1EEEvT1_,comdat
.Lfunc_end1972:
	.size	_ZN7rocprim17ROCPRIM_400000_NS6detail17trampoline_kernelINS0_14default_configENS1_20scan_config_selectorIfEEZZNS1_9scan_implILNS1_25lookback_scan_determinismE0ELb0ELb0ES3_N6thrust23THRUST_200600_302600_NS6detail15normal_iteratorINS9_10device_ptrIfEEEESE_f11max_functorIfEfEEDaPvRmT3_T4_T5_mT6_P12ihipStream_tbENKUlT_T0_E_clISt17integral_constantIbLb1EESU_EEDaSP_SQ_EUlSP_E0_NS1_11comp_targetILNS1_3genE4ELNS1_11target_archE910ELNS1_3gpuE8ELNS1_3repE0EEENS1_30default_config_static_selectorELNS0_4arch9wavefront6targetE1EEEvT1_, .Lfunc_end1972-_ZN7rocprim17ROCPRIM_400000_NS6detail17trampoline_kernelINS0_14default_configENS1_20scan_config_selectorIfEEZZNS1_9scan_implILNS1_25lookback_scan_determinismE0ELb0ELb0ES3_N6thrust23THRUST_200600_302600_NS6detail15normal_iteratorINS9_10device_ptrIfEEEESE_f11max_functorIfEfEEDaPvRmT3_T4_T5_mT6_P12ihipStream_tbENKUlT_T0_E_clISt17integral_constantIbLb1EESU_EEDaSP_SQ_EUlSP_E0_NS1_11comp_targetILNS1_3genE4ELNS1_11target_archE910ELNS1_3gpuE8ELNS1_3repE0EEENS1_30default_config_static_selectorELNS0_4arch9wavefront6targetE1EEEvT1_
                                        ; -- End function
	.section	.AMDGPU.csdata,"",@progbits
; Kernel info:
; codeLenInByte = 2480
; NumSgprs: 44
; NumVgprs: 25
; NumAgprs: 0
; TotalNumVgprs: 25
; ScratchSize: 0
; MemoryBound: 0
; FloatMode: 240
; IeeeMode: 1
; LDSByteSize: 7168 bytes/workgroup (compile time only)
; SGPRBlocks: 5
; VGPRBlocks: 3
; NumSGPRsForWavesPerEU: 44
; NumVGPRsForWavesPerEU: 25
; AccumOffset: 28
; Occupancy: 5
; WaveLimiterHint : 0
; COMPUTE_PGM_RSRC2:SCRATCH_EN: 0
; COMPUTE_PGM_RSRC2:USER_SGPR: 6
; COMPUTE_PGM_RSRC2:TRAP_HANDLER: 0
; COMPUTE_PGM_RSRC2:TGID_X_EN: 1
; COMPUTE_PGM_RSRC2:TGID_Y_EN: 0
; COMPUTE_PGM_RSRC2:TGID_Z_EN: 0
; COMPUTE_PGM_RSRC2:TIDIG_COMP_CNT: 0
; COMPUTE_PGM_RSRC3_GFX90A:ACCUM_OFFSET: 6
; COMPUTE_PGM_RSRC3_GFX90A:TG_SPLIT: 0
	.section	.text._ZN7rocprim17ROCPRIM_400000_NS6detail17trampoline_kernelINS0_14default_configENS1_20scan_config_selectorIfEEZZNS1_9scan_implILNS1_25lookback_scan_determinismE0ELb0ELb0ES3_N6thrust23THRUST_200600_302600_NS6detail15normal_iteratorINS9_10device_ptrIfEEEESE_f11max_functorIfEfEEDaPvRmT3_T4_T5_mT6_P12ihipStream_tbENKUlT_T0_E_clISt17integral_constantIbLb1EESU_EEDaSP_SQ_EUlSP_E0_NS1_11comp_targetILNS1_3genE3ELNS1_11target_archE908ELNS1_3gpuE7ELNS1_3repE0EEENS1_30default_config_static_selectorELNS0_4arch9wavefront6targetE1EEEvT1_,"axG",@progbits,_ZN7rocprim17ROCPRIM_400000_NS6detail17trampoline_kernelINS0_14default_configENS1_20scan_config_selectorIfEEZZNS1_9scan_implILNS1_25lookback_scan_determinismE0ELb0ELb0ES3_N6thrust23THRUST_200600_302600_NS6detail15normal_iteratorINS9_10device_ptrIfEEEESE_f11max_functorIfEfEEDaPvRmT3_T4_T5_mT6_P12ihipStream_tbENKUlT_T0_E_clISt17integral_constantIbLb1EESU_EEDaSP_SQ_EUlSP_E0_NS1_11comp_targetILNS1_3genE3ELNS1_11target_archE908ELNS1_3gpuE7ELNS1_3repE0EEENS1_30default_config_static_selectorELNS0_4arch9wavefront6targetE1EEEvT1_,comdat
	.protected	_ZN7rocprim17ROCPRIM_400000_NS6detail17trampoline_kernelINS0_14default_configENS1_20scan_config_selectorIfEEZZNS1_9scan_implILNS1_25lookback_scan_determinismE0ELb0ELb0ES3_N6thrust23THRUST_200600_302600_NS6detail15normal_iteratorINS9_10device_ptrIfEEEESE_f11max_functorIfEfEEDaPvRmT3_T4_T5_mT6_P12ihipStream_tbENKUlT_T0_E_clISt17integral_constantIbLb1EESU_EEDaSP_SQ_EUlSP_E0_NS1_11comp_targetILNS1_3genE3ELNS1_11target_archE908ELNS1_3gpuE7ELNS1_3repE0EEENS1_30default_config_static_selectorELNS0_4arch9wavefront6targetE1EEEvT1_ ; -- Begin function _ZN7rocprim17ROCPRIM_400000_NS6detail17trampoline_kernelINS0_14default_configENS1_20scan_config_selectorIfEEZZNS1_9scan_implILNS1_25lookback_scan_determinismE0ELb0ELb0ES3_N6thrust23THRUST_200600_302600_NS6detail15normal_iteratorINS9_10device_ptrIfEEEESE_f11max_functorIfEfEEDaPvRmT3_T4_T5_mT6_P12ihipStream_tbENKUlT_T0_E_clISt17integral_constantIbLb1EESU_EEDaSP_SQ_EUlSP_E0_NS1_11comp_targetILNS1_3genE3ELNS1_11target_archE908ELNS1_3gpuE7ELNS1_3repE0EEENS1_30default_config_static_selectorELNS0_4arch9wavefront6targetE1EEEvT1_
	.globl	_ZN7rocprim17ROCPRIM_400000_NS6detail17trampoline_kernelINS0_14default_configENS1_20scan_config_selectorIfEEZZNS1_9scan_implILNS1_25lookback_scan_determinismE0ELb0ELb0ES3_N6thrust23THRUST_200600_302600_NS6detail15normal_iteratorINS9_10device_ptrIfEEEESE_f11max_functorIfEfEEDaPvRmT3_T4_T5_mT6_P12ihipStream_tbENKUlT_T0_E_clISt17integral_constantIbLb1EESU_EEDaSP_SQ_EUlSP_E0_NS1_11comp_targetILNS1_3genE3ELNS1_11target_archE908ELNS1_3gpuE7ELNS1_3repE0EEENS1_30default_config_static_selectorELNS0_4arch9wavefront6targetE1EEEvT1_
	.p2align	8
	.type	_ZN7rocprim17ROCPRIM_400000_NS6detail17trampoline_kernelINS0_14default_configENS1_20scan_config_selectorIfEEZZNS1_9scan_implILNS1_25lookback_scan_determinismE0ELb0ELb0ES3_N6thrust23THRUST_200600_302600_NS6detail15normal_iteratorINS9_10device_ptrIfEEEESE_f11max_functorIfEfEEDaPvRmT3_T4_T5_mT6_P12ihipStream_tbENKUlT_T0_E_clISt17integral_constantIbLb1EESU_EEDaSP_SQ_EUlSP_E0_NS1_11comp_targetILNS1_3genE3ELNS1_11target_archE908ELNS1_3gpuE7ELNS1_3repE0EEENS1_30default_config_static_selectorELNS0_4arch9wavefront6targetE1EEEvT1_,@function
_ZN7rocprim17ROCPRIM_400000_NS6detail17trampoline_kernelINS0_14default_configENS1_20scan_config_selectorIfEEZZNS1_9scan_implILNS1_25lookback_scan_determinismE0ELb0ELb0ES3_N6thrust23THRUST_200600_302600_NS6detail15normal_iteratorINS9_10device_ptrIfEEEESE_f11max_functorIfEfEEDaPvRmT3_T4_T5_mT6_P12ihipStream_tbENKUlT_T0_E_clISt17integral_constantIbLb1EESU_EEDaSP_SQ_EUlSP_E0_NS1_11comp_targetILNS1_3genE3ELNS1_11target_archE908ELNS1_3gpuE7ELNS1_3repE0EEENS1_30default_config_static_selectorELNS0_4arch9wavefront6targetE1EEEvT1_: ; @_ZN7rocprim17ROCPRIM_400000_NS6detail17trampoline_kernelINS0_14default_configENS1_20scan_config_selectorIfEEZZNS1_9scan_implILNS1_25lookback_scan_determinismE0ELb0ELb0ES3_N6thrust23THRUST_200600_302600_NS6detail15normal_iteratorINS9_10device_ptrIfEEEESE_f11max_functorIfEfEEDaPvRmT3_T4_T5_mT6_P12ihipStream_tbENKUlT_T0_E_clISt17integral_constantIbLb1EESU_EEDaSP_SQ_EUlSP_E0_NS1_11comp_targetILNS1_3genE3ELNS1_11target_archE908ELNS1_3gpuE7ELNS1_3repE0EEENS1_30default_config_static_selectorELNS0_4arch9wavefront6targetE1EEEvT1_
; %bb.0:
	.section	.rodata,"a",@progbits
	.p2align	6, 0x0
	.amdhsa_kernel _ZN7rocprim17ROCPRIM_400000_NS6detail17trampoline_kernelINS0_14default_configENS1_20scan_config_selectorIfEEZZNS1_9scan_implILNS1_25lookback_scan_determinismE0ELb0ELb0ES3_N6thrust23THRUST_200600_302600_NS6detail15normal_iteratorINS9_10device_ptrIfEEEESE_f11max_functorIfEfEEDaPvRmT3_T4_T5_mT6_P12ihipStream_tbENKUlT_T0_E_clISt17integral_constantIbLb1EESU_EEDaSP_SQ_EUlSP_E0_NS1_11comp_targetILNS1_3genE3ELNS1_11target_archE908ELNS1_3gpuE7ELNS1_3repE0EEENS1_30default_config_static_selectorELNS0_4arch9wavefront6targetE1EEEvT1_
		.amdhsa_group_segment_fixed_size 0
		.amdhsa_private_segment_fixed_size 0
		.amdhsa_kernarg_size 32
		.amdhsa_user_sgpr_count 6
		.amdhsa_user_sgpr_private_segment_buffer 1
		.amdhsa_user_sgpr_dispatch_ptr 0
		.amdhsa_user_sgpr_queue_ptr 0
		.amdhsa_user_sgpr_kernarg_segment_ptr 1
		.amdhsa_user_sgpr_dispatch_id 0
		.amdhsa_user_sgpr_flat_scratch_init 0
		.amdhsa_user_sgpr_kernarg_preload_length 0
		.amdhsa_user_sgpr_kernarg_preload_offset 0
		.amdhsa_user_sgpr_private_segment_size 0
		.amdhsa_uses_dynamic_stack 0
		.amdhsa_system_sgpr_private_segment_wavefront_offset 0
		.amdhsa_system_sgpr_workgroup_id_x 1
		.amdhsa_system_sgpr_workgroup_id_y 0
		.amdhsa_system_sgpr_workgroup_id_z 0
		.amdhsa_system_sgpr_workgroup_info 0
		.amdhsa_system_vgpr_workitem_id 0
		.amdhsa_next_free_vgpr 1
		.amdhsa_next_free_sgpr 0
		.amdhsa_accum_offset 4
		.amdhsa_reserve_vcc 0
		.amdhsa_reserve_flat_scratch 0
		.amdhsa_float_round_mode_32 0
		.amdhsa_float_round_mode_16_64 0
		.amdhsa_float_denorm_mode_32 3
		.amdhsa_float_denorm_mode_16_64 3
		.amdhsa_dx10_clamp 1
		.amdhsa_ieee_mode 1
		.amdhsa_fp16_overflow 0
		.amdhsa_tg_split 0
		.amdhsa_exception_fp_ieee_invalid_op 0
		.amdhsa_exception_fp_denorm_src 0
		.amdhsa_exception_fp_ieee_div_zero 0
		.amdhsa_exception_fp_ieee_overflow 0
		.amdhsa_exception_fp_ieee_underflow 0
		.amdhsa_exception_fp_ieee_inexact 0
		.amdhsa_exception_int_div_zero 0
	.end_amdhsa_kernel
	.section	.text._ZN7rocprim17ROCPRIM_400000_NS6detail17trampoline_kernelINS0_14default_configENS1_20scan_config_selectorIfEEZZNS1_9scan_implILNS1_25lookback_scan_determinismE0ELb0ELb0ES3_N6thrust23THRUST_200600_302600_NS6detail15normal_iteratorINS9_10device_ptrIfEEEESE_f11max_functorIfEfEEDaPvRmT3_T4_T5_mT6_P12ihipStream_tbENKUlT_T0_E_clISt17integral_constantIbLb1EESU_EEDaSP_SQ_EUlSP_E0_NS1_11comp_targetILNS1_3genE3ELNS1_11target_archE908ELNS1_3gpuE7ELNS1_3repE0EEENS1_30default_config_static_selectorELNS0_4arch9wavefront6targetE1EEEvT1_,"axG",@progbits,_ZN7rocprim17ROCPRIM_400000_NS6detail17trampoline_kernelINS0_14default_configENS1_20scan_config_selectorIfEEZZNS1_9scan_implILNS1_25lookback_scan_determinismE0ELb0ELb0ES3_N6thrust23THRUST_200600_302600_NS6detail15normal_iteratorINS9_10device_ptrIfEEEESE_f11max_functorIfEfEEDaPvRmT3_T4_T5_mT6_P12ihipStream_tbENKUlT_T0_E_clISt17integral_constantIbLb1EESU_EEDaSP_SQ_EUlSP_E0_NS1_11comp_targetILNS1_3genE3ELNS1_11target_archE908ELNS1_3gpuE7ELNS1_3repE0EEENS1_30default_config_static_selectorELNS0_4arch9wavefront6targetE1EEEvT1_,comdat
.Lfunc_end1973:
	.size	_ZN7rocprim17ROCPRIM_400000_NS6detail17trampoline_kernelINS0_14default_configENS1_20scan_config_selectorIfEEZZNS1_9scan_implILNS1_25lookback_scan_determinismE0ELb0ELb0ES3_N6thrust23THRUST_200600_302600_NS6detail15normal_iteratorINS9_10device_ptrIfEEEESE_f11max_functorIfEfEEDaPvRmT3_T4_T5_mT6_P12ihipStream_tbENKUlT_T0_E_clISt17integral_constantIbLb1EESU_EEDaSP_SQ_EUlSP_E0_NS1_11comp_targetILNS1_3genE3ELNS1_11target_archE908ELNS1_3gpuE7ELNS1_3repE0EEENS1_30default_config_static_selectorELNS0_4arch9wavefront6targetE1EEEvT1_, .Lfunc_end1973-_ZN7rocprim17ROCPRIM_400000_NS6detail17trampoline_kernelINS0_14default_configENS1_20scan_config_selectorIfEEZZNS1_9scan_implILNS1_25lookback_scan_determinismE0ELb0ELb0ES3_N6thrust23THRUST_200600_302600_NS6detail15normal_iteratorINS9_10device_ptrIfEEEESE_f11max_functorIfEfEEDaPvRmT3_T4_T5_mT6_P12ihipStream_tbENKUlT_T0_E_clISt17integral_constantIbLb1EESU_EEDaSP_SQ_EUlSP_E0_NS1_11comp_targetILNS1_3genE3ELNS1_11target_archE908ELNS1_3gpuE7ELNS1_3repE0EEENS1_30default_config_static_selectorELNS0_4arch9wavefront6targetE1EEEvT1_
                                        ; -- End function
	.section	.AMDGPU.csdata,"",@progbits
; Kernel info:
; codeLenInByte = 0
; NumSgprs: 4
; NumVgprs: 0
; NumAgprs: 0
; TotalNumVgprs: 0
; ScratchSize: 0
; MemoryBound: 0
; FloatMode: 240
; IeeeMode: 1
; LDSByteSize: 0 bytes/workgroup (compile time only)
; SGPRBlocks: 0
; VGPRBlocks: 0
; NumSGPRsForWavesPerEU: 4
; NumVGPRsForWavesPerEU: 1
; AccumOffset: 4
; Occupancy: 8
; WaveLimiterHint : 0
; COMPUTE_PGM_RSRC2:SCRATCH_EN: 0
; COMPUTE_PGM_RSRC2:USER_SGPR: 6
; COMPUTE_PGM_RSRC2:TRAP_HANDLER: 0
; COMPUTE_PGM_RSRC2:TGID_X_EN: 1
; COMPUTE_PGM_RSRC2:TGID_Y_EN: 0
; COMPUTE_PGM_RSRC2:TGID_Z_EN: 0
; COMPUTE_PGM_RSRC2:TIDIG_COMP_CNT: 0
; COMPUTE_PGM_RSRC3_GFX90A:ACCUM_OFFSET: 0
; COMPUTE_PGM_RSRC3_GFX90A:TG_SPLIT: 0
	.section	.text._ZN7rocprim17ROCPRIM_400000_NS6detail17trampoline_kernelINS0_14default_configENS1_20scan_config_selectorIfEEZZNS1_9scan_implILNS1_25lookback_scan_determinismE0ELb0ELb0ES3_N6thrust23THRUST_200600_302600_NS6detail15normal_iteratorINS9_10device_ptrIfEEEESE_f11max_functorIfEfEEDaPvRmT3_T4_T5_mT6_P12ihipStream_tbENKUlT_T0_E_clISt17integral_constantIbLb1EESU_EEDaSP_SQ_EUlSP_E0_NS1_11comp_targetILNS1_3genE2ELNS1_11target_archE906ELNS1_3gpuE6ELNS1_3repE0EEENS1_30default_config_static_selectorELNS0_4arch9wavefront6targetE1EEEvT1_,"axG",@progbits,_ZN7rocprim17ROCPRIM_400000_NS6detail17trampoline_kernelINS0_14default_configENS1_20scan_config_selectorIfEEZZNS1_9scan_implILNS1_25lookback_scan_determinismE0ELb0ELb0ES3_N6thrust23THRUST_200600_302600_NS6detail15normal_iteratorINS9_10device_ptrIfEEEESE_f11max_functorIfEfEEDaPvRmT3_T4_T5_mT6_P12ihipStream_tbENKUlT_T0_E_clISt17integral_constantIbLb1EESU_EEDaSP_SQ_EUlSP_E0_NS1_11comp_targetILNS1_3genE2ELNS1_11target_archE906ELNS1_3gpuE6ELNS1_3repE0EEENS1_30default_config_static_selectorELNS0_4arch9wavefront6targetE1EEEvT1_,comdat
	.protected	_ZN7rocprim17ROCPRIM_400000_NS6detail17trampoline_kernelINS0_14default_configENS1_20scan_config_selectorIfEEZZNS1_9scan_implILNS1_25lookback_scan_determinismE0ELb0ELb0ES3_N6thrust23THRUST_200600_302600_NS6detail15normal_iteratorINS9_10device_ptrIfEEEESE_f11max_functorIfEfEEDaPvRmT3_T4_T5_mT6_P12ihipStream_tbENKUlT_T0_E_clISt17integral_constantIbLb1EESU_EEDaSP_SQ_EUlSP_E0_NS1_11comp_targetILNS1_3genE2ELNS1_11target_archE906ELNS1_3gpuE6ELNS1_3repE0EEENS1_30default_config_static_selectorELNS0_4arch9wavefront6targetE1EEEvT1_ ; -- Begin function _ZN7rocprim17ROCPRIM_400000_NS6detail17trampoline_kernelINS0_14default_configENS1_20scan_config_selectorIfEEZZNS1_9scan_implILNS1_25lookback_scan_determinismE0ELb0ELb0ES3_N6thrust23THRUST_200600_302600_NS6detail15normal_iteratorINS9_10device_ptrIfEEEESE_f11max_functorIfEfEEDaPvRmT3_T4_T5_mT6_P12ihipStream_tbENKUlT_T0_E_clISt17integral_constantIbLb1EESU_EEDaSP_SQ_EUlSP_E0_NS1_11comp_targetILNS1_3genE2ELNS1_11target_archE906ELNS1_3gpuE6ELNS1_3repE0EEENS1_30default_config_static_selectorELNS0_4arch9wavefront6targetE1EEEvT1_
	.globl	_ZN7rocprim17ROCPRIM_400000_NS6detail17trampoline_kernelINS0_14default_configENS1_20scan_config_selectorIfEEZZNS1_9scan_implILNS1_25lookback_scan_determinismE0ELb0ELb0ES3_N6thrust23THRUST_200600_302600_NS6detail15normal_iteratorINS9_10device_ptrIfEEEESE_f11max_functorIfEfEEDaPvRmT3_T4_T5_mT6_P12ihipStream_tbENKUlT_T0_E_clISt17integral_constantIbLb1EESU_EEDaSP_SQ_EUlSP_E0_NS1_11comp_targetILNS1_3genE2ELNS1_11target_archE906ELNS1_3gpuE6ELNS1_3repE0EEENS1_30default_config_static_selectorELNS0_4arch9wavefront6targetE1EEEvT1_
	.p2align	8
	.type	_ZN7rocprim17ROCPRIM_400000_NS6detail17trampoline_kernelINS0_14default_configENS1_20scan_config_selectorIfEEZZNS1_9scan_implILNS1_25lookback_scan_determinismE0ELb0ELb0ES3_N6thrust23THRUST_200600_302600_NS6detail15normal_iteratorINS9_10device_ptrIfEEEESE_f11max_functorIfEfEEDaPvRmT3_T4_T5_mT6_P12ihipStream_tbENKUlT_T0_E_clISt17integral_constantIbLb1EESU_EEDaSP_SQ_EUlSP_E0_NS1_11comp_targetILNS1_3genE2ELNS1_11target_archE906ELNS1_3gpuE6ELNS1_3repE0EEENS1_30default_config_static_selectorELNS0_4arch9wavefront6targetE1EEEvT1_,@function
_ZN7rocprim17ROCPRIM_400000_NS6detail17trampoline_kernelINS0_14default_configENS1_20scan_config_selectorIfEEZZNS1_9scan_implILNS1_25lookback_scan_determinismE0ELb0ELb0ES3_N6thrust23THRUST_200600_302600_NS6detail15normal_iteratorINS9_10device_ptrIfEEEESE_f11max_functorIfEfEEDaPvRmT3_T4_T5_mT6_P12ihipStream_tbENKUlT_T0_E_clISt17integral_constantIbLb1EESU_EEDaSP_SQ_EUlSP_E0_NS1_11comp_targetILNS1_3genE2ELNS1_11target_archE906ELNS1_3gpuE6ELNS1_3repE0EEENS1_30default_config_static_selectorELNS0_4arch9wavefront6targetE1EEEvT1_: ; @_ZN7rocprim17ROCPRIM_400000_NS6detail17trampoline_kernelINS0_14default_configENS1_20scan_config_selectorIfEEZZNS1_9scan_implILNS1_25lookback_scan_determinismE0ELb0ELb0ES3_N6thrust23THRUST_200600_302600_NS6detail15normal_iteratorINS9_10device_ptrIfEEEESE_f11max_functorIfEfEEDaPvRmT3_T4_T5_mT6_P12ihipStream_tbENKUlT_T0_E_clISt17integral_constantIbLb1EESU_EEDaSP_SQ_EUlSP_E0_NS1_11comp_targetILNS1_3genE2ELNS1_11target_archE906ELNS1_3gpuE6ELNS1_3repE0EEENS1_30default_config_static_selectorELNS0_4arch9wavefront6targetE1EEEvT1_
; %bb.0:
	.section	.rodata,"a",@progbits
	.p2align	6, 0x0
	.amdhsa_kernel _ZN7rocprim17ROCPRIM_400000_NS6detail17trampoline_kernelINS0_14default_configENS1_20scan_config_selectorIfEEZZNS1_9scan_implILNS1_25lookback_scan_determinismE0ELb0ELb0ES3_N6thrust23THRUST_200600_302600_NS6detail15normal_iteratorINS9_10device_ptrIfEEEESE_f11max_functorIfEfEEDaPvRmT3_T4_T5_mT6_P12ihipStream_tbENKUlT_T0_E_clISt17integral_constantIbLb1EESU_EEDaSP_SQ_EUlSP_E0_NS1_11comp_targetILNS1_3genE2ELNS1_11target_archE906ELNS1_3gpuE6ELNS1_3repE0EEENS1_30default_config_static_selectorELNS0_4arch9wavefront6targetE1EEEvT1_
		.amdhsa_group_segment_fixed_size 0
		.amdhsa_private_segment_fixed_size 0
		.amdhsa_kernarg_size 32
		.amdhsa_user_sgpr_count 6
		.amdhsa_user_sgpr_private_segment_buffer 1
		.amdhsa_user_sgpr_dispatch_ptr 0
		.amdhsa_user_sgpr_queue_ptr 0
		.amdhsa_user_sgpr_kernarg_segment_ptr 1
		.amdhsa_user_sgpr_dispatch_id 0
		.amdhsa_user_sgpr_flat_scratch_init 0
		.amdhsa_user_sgpr_kernarg_preload_length 0
		.amdhsa_user_sgpr_kernarg_preload_offset 0
		.amdhsa_user_sgpr_private_segment_size 0
		.amdhsa_uses_dynamic_stack 0
		.amdhsa_system_sgpr_private_segment_wavefront_offset 0
		.amdhsa_system_sgpr_workgroup_id_x 1
		.amdhsa_system_sgpr_workgroup_id_y 0
		.amdhsa_system_sgpr_workgroup_id_z 0
		.amdhsa_system_sgpr_workgroup_info 0
		.amdhsa_system_vgpr_workitem_id 0
		.amdhsa_next_free_vgpr 1
		.amdhsa_next_free_sgpr 0
		.amdhsa_accum_offset 4
		.amdhsa_reserve_vcc 0
		.amdhsa_reserve_flat_scratch 0
		.amdhsa_float_round_mode_32 0
		.amdhsa_float_round_mode_16_64 0
		.amdhsa_float_denorm_mode_32 3
		.amdhsa_float_denorm_mode_16_64 3
		.amdhsa_dx10_clamp 1
		.amdhsa_ieee_mode 1
		.amdhsa_fp16_overflow 0
		.amdhsa_tg_split 0
		.amdhsa_exception_fp_ieee_invalid_op 0
		.amdhsa_exception_fp_denorm_src 0
		.amdhsa_exception_fp_ieee_div_zero 0
		.amdhsa_exception_fp_ieee_overflow 0
		.amdhsa_exception_fp_ieee_underflow 0
		.amdhsa_exception_fp_ieee_inexact 0
		.amdhsa_exception_int_div_zero 0
	.end_amdhsa_kernel
	.section	.text._ZN7rocprim17ROCPRIM_400000_NS6detail17trampoline_kernelINS0_14default_configENS1_20scan_config_selectorIfEEZZNS1_9scan_implILNS1_25lookback_scan_determinismE0ELb0ELb0ES3_N6thrust23THRUST_200600_302600_NS6detail15normal_iteratorINS9_10device_ptrIfEEEESE_f11max_functorIfEfEEDaPvRmT3_T4_T5_mT6_P12ihipStream_tbENKUlT_T0_E_clISt17integral_constantIbLb1EESU_EEDaSP_SQ_EUlSP_E0_NS1_11comp_targetILNS1_3genE2ELNS1_11target_archE906ELNS1_3gpuE6ELNS1_3repE0EEENS1_30default_config_static_selectorELNS0_4arch9wavefront6targetE1EEEvT1_,"axG",@progbits,_ZN7rocprim17ROCPRIM_400000_NS6detail17trampoline_kernelINS0_14default_configENS1_20scan_config_selectorIfEEZZNS1_9scan_implILNS1_25lookback_scan_determinismE0ELb0ELb0ES3_N6thrust23THRUST_200600_302600_NS6detail15normal_iteratorINS9_10device_ptrIfEEEESE_f11max_functorIfEfEEDaPvRmT3_T4_T5_mT6_P12ihipStream_tbENKUlT_T0_E_clISt17integral_constantIbLb1EESU_EEDaSP_SQ_EUlSP_E0_NS1_11comp_targetILNS1_3genE2ELNS1_11target_archE906ELNS1_3gpuE6ELNS1_3repE0EEENS1_30default_config_static_selectorELNS0_4arch9wavefront6targetE1EEEvT1_,comdat
.Lfunc_end1974:
	.size	_ZN7rocprim17ROCPRIM_400000_NS6detail17trampoline_kernelINS0_14default_configENS1_20scan_config_selectorIfEEZZNS1_9scan_implILNS1_25lookback_scan_determinismE0ELb0ELb0ES3_N6thrust23THRUST_200600_302600_NS6detail15normal_iteratorINS9_10device_ptrIfEEEESE_f11max_functorIfEfEEDaPvRmT3_T4_T5_mT6_P12ihipStream_tbENKUlT_T0_E_clISt17integral_constantIbLb1EESU_EEDaSP_SQ_EUlSP_E0_NS1_11comp_targetILNS1_3genE2ELNS1_11target_archE906ELNS1_3gpuE6ELNS1_3repE0EEENS1_30default_config_static_selectorELNS0_4arch9wavefront6targetE1EEEvT1_, .Lfunc_end1974-_ZN7rocprim17ROCPRIM_400000_NS6detail17trampoline_kernelINS0_14default_configENS1_20scan_config_selectorIfEEZZNS1_9scan_implILNS1_25lookback_scan_determinismE0ELb0ELb0ES3_N6thrust23THRUST_200600_302600_NS6detail15normal_iteratorINS9_10device_ptrIfEEEESE_f11max_functorIfEfEEDaPvRmT3_T4_T5_mT6_P12ihipStream_tbENKUlT_T0_E_clISt17integral_constantIbLb1EESU_EEDaSP_SQ_EUlSP_E0_NS1_11comp_targetILNS1_3genE2ELNS1_11target_archE906ELNS1_3gpuE6ELNS1_3repE0EEENS1_30default_config_static_selectorELNS0_4arch9wavefront6targetE1EEEvT1_
                                        ; -- End function
	.section	.AMDGPU.csdata,"",@progbits
; Kernel info:
; codeLenInByte = 0
; NumSgprs: 4
; NumVgprs: 0
; NumAgprs: 0
; TotalNumVgprs: 0
; ScratchSize: 0
; MemoryBound: 0
; FloatMode: 240
; IeeeMode: 1
; LDSByteSize: 0 bytes/workgroup (compile time only)
; SGPRBlocks: 0
; VGPRBlocks: 0
; NumSGPRsForWavesPerEU: 4
; NumVGPRsForWavesPerEU: 1
; AccumOffset: 4
; Occupancy: 8
; WaveLimiterHint : 0
; COMPUTE_PGM_RSRC2:SCRATCH_EN: 0
; COMPUTE_PGM_RSRC2:USER_SGPR: 6
; COMPUTE_PGM_RSRC2:TRAP_HANDLER: 0
; COMPUTE_PGM_RSRC2:TGID_X_EN: 1
; COMPUTE_PGM_RSRC2:TGID_Y_EN: 0
; COMPUTE_PGM_RSRC2:TGID_Z_EN: 0
; COMPUTE_PGM_RSRC2:TIDIG_COMP_CNT: 0
; COMPUTE_PGM_RSRC3_GFX90A:ACCUM_OFFSET: 0
; COMPUTE_PGM_RSRC3_GFX90A:TG_SPLIT: 0
	.section	.text._ZN7rocprim17ROCPRIM_400000_NS6detail17trampoline_kernelINS0_14default_configENS1_20scan_config_selectorIfEEZZNS1_9scan_implILNS1_25lookback_scan_determinismE0ELb0ELb0ES3_N6thrust23THRUST_200600_302600_NS6detail15normal_iteratorINS9_10device_ptrIfEEEESE_f11max_functorIfEfEEDaPvRmT3_T4_T5_mT6_P12ihipStream_tbENKUlT_T0_E_clISt17integral_constantIbLb1EESU_EEDaSP_SQ_EUlSP_E0_NS1_11comp_targetILNS1_3genE10ELNS1_11target_archE1201ELNS1_3gpuE5ELNS1_3repE0EEENS1_30default_config_static_selectorELNS0_4arch9wavefront6targetE1EEEvT1_,"axG",@progbits,_ZN7rocprim17ROCPRIM_400000_NS6detail17trampoline_kernelINS0_14default_configENS1_20scan_config_selectorIfEEZZNS1_9scan_implILNS1_25lookback_scan_determinismE0ELb0ELb0ES3_N6thrust23THRUST_200600_302600_NS6detail15normal_iteratorINS9_10device_ptrIfEEEESE_f11max_functorIfEfEEDaPvRmT3_T4_T5_mT6_P12ihipStream_tbENKUlT_T0_E_clISt17integral_constantIbLb1EESU_EEDaSP_SQ_EUlSP_E0_NS1_11comp_targetILNS1_3genE10ELNS1_11target_archE1201ELNS1_3gpuE5ELNS1_3repE0EEENS1_30default_config_static_selectorELNS0_4arch9wavefront6targetE1EEEvT1_,comdat
	.protected	_ZN7rocprim17ROCPRIM_400000_NS6detail17trampoline_kernelINS0_14default_configENS1_20scan_config_selectorIfEEZZNS1_9scan_implILNS1_25lookback_scan_determinismE0ELb0ELb0ES3_N6thrust23THRUST_200600_302600_NS6detail15normal_iteratorINS9_10device_ptrIfEEEESE_f11max_functorIfEfEEDaPvRmT3_T4_T5_mT6_P12ihipStream_tbENKUlT_T0_E_clISt17integral_constantIbLb1EESU_EEDaSP_SQ_EUlSP_E0_NS1_11comp_targetILNS1_3genE10ELNS1_11target_archE1201ELNS1_3gpuE5ELNS1_3repE0EEENS1_30default_config_static_selectorELNS0_4arch9wavefront6targetE1EEEvT1_ ; -- Begin function _ZN7rocprim17ROCPRIM_400000_NS6detail17trampoline_kernelINS0_14default_configENS1_20scan_config_selectorIfEEZZNS1_9scan_implILNS1_25lookback_scan_determinismE0ELb0ELb0ES3_N6thrust23THRUST_200600_302600_NS6detail15normal_iteratorINS9_10device_ptrIfEEEESE_f11max_functorIfEfEEDaPvRmT3_T4_T5_mT6_P12ihipStream_tbENKUlT_T0_E_clISt17integral_constantIbLb1EESU_EEDaSP_SQ_EUlSP_E0_NS1_11comp_targetILNS1_3genE10ELNS1_11target_archE1201ELNS1_3gpuE5ELNS1_3repE0EEENS1_30default_config_static_selectorELNS0_4arch9wavefront6targetE1EEEvT1_
	.globl	_ZN7rocprim17ROCPRIM_400000_NS6detail17trampoline_kernelINS0_14default_configENS1_20scan_config_selectorIfEEZZNS1_9scan_implILNS1_25lookback_scan_determinismE0ELb0ELb0ES3_N6thrust23THRUST_200600_302600_NS6detail15normal_iteratorINS9_10device_ptrIfEEEESE_f11max_functorIfEfEEDaPvRmT3_T4_T5_mT6_P12ihipStream_tbENKUlT_T0_E_clISt17integral_constantIbLb1EESU_EEDaSP_SQ_EUlSP_E0_NS1_11comp_targetILNS1_3genE10ELNS1_11target_archE1201ELNS1_3gpuE5ELNS1_3repE0EEENS1_30default_config_static_selectorELNS0_4arch9wavefront6targetE1EEEvT1_
	.p2align	8
	.type	_ZN7rocprim17ROCPRIM_400000_NS6detail17trampoline_kernelINS0_14default_configENS1_20scan_config_selectorIfEEZZNS1_9scan_implILNS1_25lookback_scan_determinismE0ELb0ELb0ES3_N6thrust23THRUST_200600_302600_NS6detail15normal_iteratorINS9_10device_ptrIfEEEESE_f11max_functorIfEfEEDaPvRmT3_T4_T5_mT6_P12ihipStream_tbENKUlT_T0_E_clISt17integral_constantIbLb1EESU_EEDaSP_SQ_EUlSP_E0_NS1_11comp_targetILNS1_3genE10ELNS1_11target_archE1201ELNS1_3gpuE5ELNS1_3repE0EEENS1_30default_config_static_selectorELNS0_4arch9wavefront6targetE1EEEvT1_,@function
_ZN7rocprim17ROCPRIM_400000_NS6detail17trampoline_kernelINS0_14default_configENS1_20scan_config_selectorIfEEZZNS1_9scan_implILNS1_25lookback_scan_determinismE0ELb0ELb0ES3_N6thrust23THRUST_200600_302600_NS6detail15normal_iteratorINS9_10device_ptrIfEEEESE_f11max_functorIfEfEEDaPvRmT3_T4_T5_mT6_P12ihipStream_tbENKUlT_T0_E_clISt17integral_constantIbLb1EESU_EEDaSP_SQ_EUlSP_E0_NS1_11comp_targetILNS1_3genE10ELNS1_11target_archE1201ELNS1_3gpuE5ELNS1_3repE0EEENS1_30default_config_static_selectorELNS0_4arch9wavefront6targetE1EEEvT1_: ; @_ZN7rocprim17ROCPRIM_400000_NS6detail17trampoline_kernelINS0_14default_configENS1_20scan_config_selectorIfEEZZNS1_9scan_implILNS1_25lookback_scan_determinismE0ELb0ELb0ES3_N6thrust23THRUST_200600_302600_NS6detail15normal_iteratorINS9_10device_ptrIfEEEESE_f11max_functorIfEfEEDaPvRmT3_T4_T5_mT6_P12ihipStream_tbENKUlT_T0_E_clISt17integral_constantIbLb1EESU_EEDaSP_SQ_EUlSP_E0_NS1_11comp_targetILNS1_3genE10ELNS1_11target_archE1201ELNS1_3gpuE5ELNS1_3repE0EEENS1_30default_config_static_selectorELNS0_4arch9wavefront6targetE1EEEvT1_
; %bb.0:
	.section	.rodata,"a",@progbits
	.p2align	6, 0x0
	.amdhsa_kernel _ZN7rocprim17ROCPRIM_400000_NS6detail17trampoline_kernelINS0_14default_configENS1_20scan_config_selectorIfEEZZNS1_9scan_implILNS1_25lookback_scan_determinismE0ELb0ELb0ES3_N6thrust23THRUST_200600_302600_NS6detail15normal_iteratorINS9_10device_ptrIfEEEESE_f11max_functorIfEfEEDaPvRmT3_T4_T5_mT6_P12ihipStream_tbENKUlT_T0_E_clISt17integral_constantIbLb1EESU_EEDaSP_SQ_EUlSP_E0_NS1_11comp_targetILNS1_3genE10ELNS1_11target_archE1201ELNS1_3gpuE5ELNS1_3repE0EEENS1_30default_config_static_selectorELNS0_4arch9wavefront6targetE1EEEvT1_
		.amdhsa_group_segment_fixed_size 0
		.amdhsa_private_segment_fixed_size 0
		.amdhsa_kernarg_size 32
		.amdhsa_user_sgpr_count 6
		.amdhsa_user_sgpr_private_segment_buffer 1
		.amdhsa_user_sgpr_dispatch_ptr 0
		.amdhsa_user_sgpr_queue_ptr 0
		.amdhsa_user_sgpr_kernarg_segment_ptr 1
		.amdhsa_user_sgpr_dispatch_id 0
		.amdhsa_user_sgpr_flat_scratch_init 0
		.amdhsa_user_sgpr_kernarg_preload_length 0
		.amdhsa_user_sgpr_kernarg_preload_offset 0
		.amdhsa_user_sgpr_private_segment_size 0
		.amdhsa_uses_dynamic_stack 0
		.amdhsa_system_sgpr_private_segment_wavefront_offset 0
		.amdhsa_system_sgpr_workgroup_id_x 1
		.amdhsa_system_sgpr_workgroup_id_y 0
		.amdhsa_system_sgpr_workgroup_id_z 0
		.amdhsa_system_sgpr_workgroup_info 0
		.amdhsa_system_vgpr_workitem_id 0
		.amdhsa_next_free_vgpr 1
		.amdhsa_next_free_sgpr 0
		.amdhsa_accum_offset 4
		.amdhsa_reserve_vcc 0
		.amdhsa_reserve_flat_scratch 0
		.amdhsa_float_round_mode_32 0
		.amdhsa_float_round_mode_16_64 0
		.amdhsa_float_denorm_mode_32 3
		.amdhsa_float_denorm_mode_16_64 3
		.amdhsa_dx10_clamp 1
		.amdhsa_ieee_mode 1
		.amdhsa_fp16_overflow 0
		.amdhsa_tg_split 0
		.amdhsa_exception_fp_ieee_invalid_op 0
		.amdhsa_exception_fp_denorm_src 0
		.amdhsa_exception_fp_ieee_div_zero 0
		.amdhsa_exception_fp_ieee_overflow 0
		.amdhsa_exception_fp_ieee_underflow 0
		.amdhsa_exception_fp_ieee_inexact 0
		.amdhsa_exception_int_div_zero 0
	.end_amdhsa_kernel
	.section	.text._ZN7rocprim17ROCPRIM_400000_NS6detail17trampoline_kernelINS0_14default_configENS1_20scan_config_selectorIfEEZZNS1_9scan_implILNS1_25lookback_scan_determinismE0ELb0ELb0ES3_N6thrust23THRUST_200600_302600_NS6detail15normal_iteratorINS9_10device_ptrIfEEEESE_f11max_functorIfEfEEDaPvRmT3_T4_T5_mT6_P12ihipStream_tbENKUlT_T0_E_clISt17integral_constantIbLb1EESU_EEDaSP_SQ_EUlSP_E0_NS1_11comp_targetILNS1_3genE10ELNS1_11target_archE1201ELNS1_3gpuE5ELNS1_3repE0EEENS1_30default_config_static_selectorELNS0_4arch9wavefront6targetE1EEEvT1_,"axG",@progbits,_ZN7rocprim17ROCPRIM_400000_NS6detail17trampoline_kernelINS0_14default_configENS1_20scan_config_selectorIfEEZZNS1_9scan_implILNS1_25lookback_scan_determinismE0ELb0ELb0ES3_N6thrust23THRUST_200600_302600_NS6detail15normal_iteratorINS9_10device_ptrIfEEEESE_f11max_functorIfEfEEDaPvRmT3_T4_T5_mT6_P12ihipStream_tbENKUlT_T0_E_clISt17integral_constantIbLb1EESU_EEDaSP_SQ_EUlSP_E0_NS1_11comp_targetILNS1_3genE10ELNS1_11target_archE1201ELNS1_3gpuE5ELNS1_3repE0EEENS1_30default_config_static_selectorELNS0_4arch9wavefront6targetE1EEEvT1_,comdat
.Lfunc_end1975:
	.size	_ZN7rocprim17ROCPRIM_400000_NS6detail17trampoline_kernelINS0_14default_configENS1_20scan_config_selectorIfEEZZNS1_9scan_implILNS1_25lookback_scan_determinismE0ELb0ELb0ES3_N6thrust23THRUST_200600_302600_NS6detail15normal_iteratorINS9_10device_ptrIfEEEESE_f11max_functorIfEfEEDaPvRmT3_T4_T5_mT6_P12ihipStream_tbENKUlT_T0_E_clISt17integral_constantIbLb1EESU_EEDaSP_SQ_EUlSP_E0_NS1_11comp_targetILNS1_3genE10ELNS1_11target_archE1201ELNS1_3gpuE5ELNS1_3repE0EEENS1_30default_config_static_selectorELNS0_4arch9wavefront6targetE1EEEvT1_, .Lfunc_end1975-_ZN7rocprim17ROCPRIM_400000_NS6detail17trampoline_kernelINS0_14default_configENS1_20scan_config_selectorIfEEZZNS1_9scan_implILNS1_25lookback_scan_determinismE0ELb0ELb0ES3_N6thrust23THRUST_200600_302600_NS6detail15normal_iteratorINS9_10device_ptrIfEEEESE_f11max_functorIfEfEEDaPvRmT3_T4_T5_mT6_P12ihipStream_tbENKUlT_T0_E_clISt17integral_constantIbLb1EESU_EEDaSP_SQ_EUlSP_E0_NS1_11comp_targetILNS1_3genE10ELNS1_11target_archE1201ELNS1_3gpuE5ELNS1_3repE0EEENS1_30default_config_static_selectorELNS0_4arch9wavefront6targetE1EEEvT1_
                                        ; -- End function
	.section	.AMDGPU.csdata,"",@progbits
; Kernel info:
; codeLenInByte = 0
; NumSgprs: 4
; NumVgprs: 0
; NumAgprs: 0
; TotalNumVgprs: 0
; ScratchSize: 0
; MemoryBound: 0
; FloatMode: 240
; IeeeMode: 1
; LDSByteSize: 0 bytes/workgroup (compile time only)
; SGPRBlocks: 0
; VGPRBlocks: 0
; NumSGPRsForWavesPerEU: 4
; NumVGPRsForWavesPerEU: 1
; AccumOffset: 4
; Occupancy: 8
; WaveLimiterHint : 0
; COMPUTE_PGM_RSRC2:SCRATCH_EN: 0
; COMPUTE_PGM_RSRC2:USER_SGPR: 6
; COMPUTE_PGM_RSRC2:TRAP_HANDLER: 0
; COMPUTE_PGM_RSRC2:TGID_X_EN: 1
; COMPUTE_PGM_RSRC2:TGID_Y_EN: 0
; COMPUTE_PGM_RSRC2:TGID_Z_EN: 0
; COMPUTE_PGM_RSRC2:TIDIG_COMP_CNT: 0
; COMPUTE_PGM_RSRC3_GFX90A:ACCUM_OFFSET: 0
; COMPUTE_PGM_RSRC3_GFX90A:TG_SPLIT: 0
	.section	.text._ZN7rocprim17ROCPRIM_400000_NS6detail17trampoline_kernelINS0_14default_configENS1_20scan_config_selectorIfEEZZNS1_9scan_implILNS1_25lookback_scan_determinismE0ELb0ELb0ES3_N6thrust23THRUST_200600_302600_NS6detail15normal_iteratorINS9_10device_ptrIfEEEESE_f11max_functorIfEfEEDaPvRmT3_T4_T5_mT6_P12ihipStream_tbENKUlT_T0_E_clISt17integral_constantIbLb1EESU_EEDaSP_SQ_EUlSP_E0_NS1_11comp_targetILNS1_3genE10ELNS1_11target_archE1200ELNS1_3gpuE4ELNS1_3repE0EEENS1_30default_config_static_selectorELNS0_4arch9wavefront6targetE1EEEvT1_,"axG",@progbits,_ZN7rocprim17ROCPRIM_400000_NS6detail17trampoline_kernelINS0_14default_configENS1_20scan_config_selectorIfEEZZNS1_9scan_implILNS1_25lookback_scan_determinismE0ELb0ELb0ES3_N6thrust23THRUST_200600_302600_NS6detail15normal_iteratorINS9_10device_ptrIfEEEESE_f11max_functorIfEfEEDaPvRmT3_T4_T5_mT6_P12ihipStream_tbENKUlT_T0_E_clISt17integral_constantIbLb1EESU_EEDaSP_SQ_EUlSP_E0_NS1_11comp_targetILNS1_3genE10ELNS1_11target_archE1200ELNS1_3gpuE4ELNS1_3repE0EEENS1_30default_config_static_selectorELNS0_4arch9wavefront6targetE1EEEvT1_,comdat
	.protected	_ZN7rocprim17ROCPRIM_400000_NS6detail17trampoline_kernelINS0_14default_configENS1_20scan_config_selectorIfEEZZNS1_9scan_implILNS1_25lookback_scan_determinismE0ELb0ELb0ES3_N6thrust23THRUST_200600_302600_NS6detail15normal_iteratorINS9_10device_ptrIfEEEESE_f11max_functorIfEfEEDaPvRmT3_T4_T5_mT6_P12ihipStream_tbENKUlT_T0_E_clISt17integral_constantIbLb1EESU_EEDaSP_SQ_EUlSP_E0_NS1_11comp_targetILNS1_3genE10ELNS1_11target_archE1200ELNS1_3gpuE4ELNS1_3repE0EEENS1_30default_config_static_selectorELNS0_4arch9wavefront6targetE1EEEvT1_ ; -- Begin function _ZN7rocprim17ROCPRIM_400000_NS6detail17trampoline_kernelINS0_14default_configENS1_20scan_config_selectorIfEEZZNS1_9scan_implILNS1_25lookback_scan_determinismE0ELb0ELb0ES3_N6thrust23THRUST_200600_302600_NS6detail15normal_iteratorINS9_10device_ptrIfEEEESE_f11max_functorIfEfEEDaPvRmT3_T4_T5_mT6_P12ihipStream_tbENKUlT_T0_E_clISt17integral_constantIbLb1EESU_EEDaSP_SQ_EUlSP_E0_NS1_11comp_targetILNS1_3genE10ELNS1_11target_archE1200ELNS1_3gpuE4ELNS1_3repE0EEENS1_30default_config_static_selectorELNS0_4arch9wavefront6targetE1EEEvT1_
	.globl	_ZN7rocprim17ROCPRIM_400000_NS6detail17trampoline_kernelINS0_14default_configENS1_20scan_config_selectorIfEEZZNS1_9scan_implILNS1_25lookback_scan_determinismE0ELb0ELb0ES3_N6thrust23THRUST_200600_302600_NS6detail15normal_iteratorINS9_10device_ptrIfEEEESE_f11max_functorIfEfEEDaPvRmT3_T4_T5_mT6_P12ihipStream_tbENKUlT_T0_E_clISt17integral_constantIbLb1EESU_EEDaSP_SQ_EUlSP_E0_NS1_11comp_targetILNS1_3genE10ELNS1_11target_archE1200ELNS1_3gpuE4ELNS1_3repE0EEENS1_30default_config_static_selectorELNS0_4arch9wavefront6targetE1EEEvT1_
	.p2align	8
	.type	_ZN7rocprim17ROCPRIM_400000_NS6detail17trampoline_kernelINS0_14default_configENS1_20scan_config_selectorIfEEZZNS1_9scan_implILNS1_25lookback_scan_determinismE0ELb0ELb0ES3_N6thrust23THRUST_200600_302600_NS6detail15normal_iteratorINS9_10device_ptrIfEEEESE_f11max_functorIfEfEEDaPvRmT3_T4_T5_mT6_P12ihipStream_tbENKUlT_T0_E_clISt17integral_constantIbLb1EESU_EEDaSP_SQ_EUlSP_E0_NS1_11comp_targetILNS1_3genE10ELNS1_11target_archE1200ELNS1_3gpuE4ELNS1_3repE0EEENS1_30default_config_static_selectorELNS0_4arch9wavefront6targetE1EEEvT1_,@function
_ZN7rocprim17ROCPRIM_400000_NS6detail17trampoline_kernelINS0_14default_configENS1_20scan_config_selectorIfEEZZNS1_9scan_implILNS1_25lookback_scan_determinismE0ELb0ELb0ES3_N6thrust23THRUST_200600_302600_NS6detail15normal_iteratorINS9_10device_ptrIfEEEESE_f11max_functorIfEfEEDaPvRmT3_T4_T5_mT6_P12ihipStream_tbENKUlT_T0_E_clISt17integral_constantIbLb1EESU_EEDaSP_SQ_EUlSP_E0_NS1_11comp_targetILNS1_3genE10ELNS1_11target_archE1200ELNS1_3gpuE4ELNS1_3repE0EEENS1_30default_config_static_selectorELNS0_4arch9wavefront6targetE1EEEvT1_: ; @_ZN7rocprim17ROCPRIM_400000_NS6detail17trampoline_kernelINS0_14default_configENS1_20scan_config_selectorIfEEZZNS1_9scan_implILNS1_25lookback_scan_determinismE0ELb0ELb0ES3_N6thrust23THRUST_200600_302600_NS6detail15normal_iteratorINS9_10device_ptrIfEEEESE_f11max_functorIfEfEEDaPvRmT3_T4_T5_mT6_P12ihipStream_tbENKUlT_T0_E_clISt17integral_constantIbLb1EESU_EEDaSP_SQ_EUlSP_E0_NS1_11comp_targetILNS1_3genE10ELNS1_11target_archE1200ELNS1_3gpuE4ELNS1_3repE0EEENS1_30default_config_static_selectorELNS0_4arch9wavefront6targetE1EEEvT1_
; %bb.0:
	.section	.rodata,"a",@progbits
	.p2align	6, 0x0
	.amdhsa_kernel _ZN7rocprim17ROCPRIM_400000_NS6detail17trampoline_kernelINS0_14default_configENS1_20scan_config_selectorIfEEZZNS1_9scan_implILNS1_25lookback_scan_determinismE0ELb0ELb0ES3_N6thrust23THRUST_200600_302600_NS6detail15normal_iteratorINS9_10device_ptrIfEEEESE_f11max_functorIfEfEEDaPvRmT3_T4_T5_mT6_P12ihipStream_tbENKUlT_T0_E_clISt17integral_constantIbLb1EESU_EEDaSP_SQ_EUlSP_E0_NS1_11comp_targetILNS1_3genE10ELNS1_11target_archE1200ELNS1_3gpuE4ELNS1_3repE0EEENS1_30default_config_static_selectorELNS0_4arch9wavefront6targetE1EEEvT1_
		.amdhsa_group_segment_fixed_size 0
		.amdhsa_private_segment_fixed_size 0
		.amdhsa_kernarg_size 32
		.amdhsa_user_sgpr_count 6
		.amdhsa_user_sgpr_private_segment_buffer 1
		.amdhsa_user_sgpr_dispatch_ptr 0
		.amdhsa_user_sgpr_queue_ptr 0
		.amdhsa_user_sgpr_kernarg_segment_ptr 1
		.amdhsa_user_sgpr_dispatch_id 0
		.amdhsa_user_sgpr_flat_scratch_init 0
		.amdhsa_user_sgpr_kernarg_preload_length 0
		.amdhsa_user_sgpr_kernarg_preload_offset 0
		.amdhsa_user_sgpr_private_segment_size 0
		.amdhsa_uses_dynamic_stack 0
		.amdhsa_system_sgpr_private_segment_wavefront_offset 0
		.amdhsa_system_sgpr_workgroup_id_x 1
		.amdhsa_system_sgpr_workgroup_id_y 0
		.amdhsa_system_sgpr_workgroup_id_z 0
		.amdhsa_system_sgpr_workgroup_info 0
		.amdhsa_system_vgpr_workitem_id 0
		.amdhsa_next_free_vgpr 1
		.amdhsa_next_free_sgpr 0
		.amdhsa_accum_offset 4
		.amdhsa_reserve_vcc 0
		.amdhsa_reserve_flat_scratch 0
		.amdhsa_float_round_mode_32 0
		.amdhsa_float_round_mode_16_64 0
		.amdhsa_float_denorm_mode_32 3
		.amdhsa_float_denorm_mode_16_64 3
		.amdhsa_dx10_clamp 1
		.amdhsa_ieee_mode 1
		.amdhsa_fp16_overflow 0
		.amdhsa_tg_split 0
		.amdhsa_exception_fp_ieee_invalid_op 0
		.amdhsa_exception_fp_denorm_src 0
		.amdhsa_exception_fp_ieee_div_zero 0
		.amdhsa_exception_fp_ieee_overflow 0
		.amdhsa_exception_fp_ieee_underflow 0
		.amdhsa_exception_fp_ieee_inexact 0
		.amdhsa_exception_int_div_zero 0
	.end_amdhsa_kernel
	.section	.text._ZN7rocprim17ROCPRIM_400000_NS6detail17trampoline_kernelINS0_14default_configENS1_20scan_config_selectorIfEEZZNS1_9scan_implILNS1_25lookback_scan_determinismE0ELb0ELb0ES3_N6thrust23THRUST_200600_302600_NS6detail15normal_iteratorINS9_10device_ptrIfEEEESE_f11max_functorIfEfEEDaPvRmT3_T4_T5_mT6_P12ihipStream_tbENKUlT_T0_E_clISt17integral_constantIbLb1EESU_EEDaSP_SQ_EUlSP_E0_NS1_11comp_targetILNS1_3genE10ELNS1_11target_archE1200ELNS1_3gpuE4ELNS1_3repE0EEENS1_30default_config_static_selectorELNS0_4arch9wavefront6targetE1EEEvT1_,"axG",@progbits,_ZN7rocprim17ROCPRIM_400000_NS6detail17trampoline_kernelINS0_14default_configENS1_20scan_config_selectorIfEEZZNS1_9scan_implILNS1_25lookback_scan_determinismE0ELb0ELb0ES3_N6thrust23THRUST_200600_302600_NS6detail15normal_iteratorINS9_10device_ptrIfEEEESE_f11max_functorIfEfEEDaPvRmT3_T4_T5_mT6_P12ihipStream_tbENKUlT_T0_E_clISt17integral_constantIbLb1EESU_EEDaSP_SQ_EUlSP_E0_NS1_11comp_targetILNS1_3genE10ELNS1_11target_archE1200ELNS1_3gpuE4ELNS1_3repE0EEENS1_30default_config_static_selectorELNS0_4arch9wavefront6targetE1EEEvT1_,comdat
.Lfunc_end1976:
	.size	_ZN7rocprim17ROCPRIM_400000_NS6detail17trampoline_kernelINS0_14default_configENS1_20scan_config_selectorIfEEZZNS1_9scan_implILNS1_25lookback_scan_determinismE0ELb0ELb0ES3_N6thrust23THRUST_200600_302600_NS6detail15normal_iteratorINS9_10device_ptrIfEEEESE_f11max_functorIfEfEEDaPvRmT3_T4_T5_mT6_P12ihipStream_tbENKUlT_T0_E_clISt17integral_constantIbLb1EESU_EEDaSP_SQ_EUlSP_E0_NS1_11comp_targetILNS1_3genE10ELNS1_11target_archE1200ELNS1_3gpuE4ELNS1_3repE0EEENS1_30default_config_static_selectorELNS0_4arch9wavefront6targetE1EEEvT1_, .Lfunc_end1976-_ZN7rocprim17ROCPRIM_400000_NS6detail17trampoline_kernelINS0_14default_configENS1_20scan_config_selectorIfEEZZNS1_9scan_implILNS1_25lookback_scan_determinismE0ELb0ELb0ES3_N6thrust23THRUST_200600_302600_NS6detail15normal_iteratorINS9_10device_ptrIfEEEESE_f11max_functorIfEfEEDaPvRmT3_T4_T5_mT6_P12ihipStream_tbENKUlT_T0_E_clISt17integral_constantIbLb1EESU_EEDaSP_SQ_EUlSP_E0_NS1_11comp_targetILNS1_3genE10ELNS1_11target_archE1200ELNS1_3gpuE4ELNS1_3repE0EEENS1_30default_config_static_selectorELNS0_4arch9wavefront6targetE1EEEvT1_
                                        ; -- End function
	.section	.AMDGPU.csdata,"",@progbits
; Kernel info:
; codeLenInByte = 0
; NumSgprs: 4
; NumVgprs: 0
; NumAgprs: 0
; TotalNumVgprs: 0
; ScratchSize: 0
; MemoryBound: 0
; FloatMode: 240
; IeeeMode: 1
; LDSByteSize: 0 bytes/workgroup (compile time only)
; SGPRBlocks: 0
; VGPRBlocks: 0
; NumSGPRsForWavesPerEU: 4
; NumVGPRsForWavesPerEU: 1
; AccumOffset: 4
; Occupancy: 8
; WaveLimiterHint : 0
; COMPUTE_PGM_RSRC2:SCRATCH_EN: 0
; COMPUTE_PGM_RSRC2:USER_SGPR: 6
; COMPUTE_PGM_RSRC2:TRAP_HANDLER: 0
; COMPUTE_PGM_RSRC2:TGID_X_EN: 1
; COMPUTE_PGM_RSRC2:TGID_Y_EN: 0
; COMPUTE_PGM_RSRC2:TGID_Z_EN: 0
; COMPUTE_PGM_RSRC2:TIDIG_COMP_CNT: 0
; COMPUTE_PGM_RSRC3_GFX90A:ACCUM_OFFSET: 0
; COMPUTE_PGM_RSRC3_GFX90A:TG_SPLIT: 0
	.section	.text._ZN7rocprim17ROCPRIM_400000_NS6detail17trampoline_kernelINS0_14default_configENS1_20scan_config_selectorIfEEZZNS1_9scan_implILNS1_25lookback_scan_determinismE0ELb0ELb0ES3_N6thrust23THRUST_200600_302600_NS6detail15normal_iteratorINS9_10device_ptrIfEEEESE_f11max_functorIfEfEEDaPvRmT3_T4_T5_mT6_P12ihipStream_tbENKUlT_T0_E_clISt17integral_constantIbLb1EESU_EEDaSP_SQ_EUlSP_E0_NS1_11comp_targetILNS1_3genE9ELNS1_11target_archE1100ELNS1_3gpuE3ELNS1_3repE0EEENS1_30default_config_static_selectorELNS0_4arch9wavefront6targetE1EEEvT1_,"axG",@progbits,_ZN7rocprim17ROCPRIM_400000_NS6detail17trampoline_kernelINS0_14default_configENS1_20scan_config_selectorIfEEZZNS1_9scan_implILNS1_25lookback_scan_determinismE0ELb0ELb0ES3_N6thrust23THRUST_200600_302600_NS6detail15normal_iteratorINS9_10device_ptrIfEEEESE_f11max_functorIfEfEEDaPvRmT3_T4_T5_mT6_P12ihipStream_tbENKUlT_T0_E_clISt17integral_constantIbLb1EESU_EEDaSP_SQ_EUlSP_E0_NS1_11comp_targetILNS1_3genE9ELNS1_11target_archE1100ELNS1_3gpuE3ELNS1_3repE0EEENS1_30default_config_static_selectorELNS0_4arch9wavefront6targetE1EEEvT1_,comdat
	.protected	_ZN7rocprim17ROCPRIM_400000_NS6detail17trampoline_kernelINS0_14default_configENS1_20scan_config_selectorIfEEZZNS1_9scan_implILNS1_25lookback_scan_determinismE0ELb0ELb0ES3_N6thrust23THRUST_200600_302600_NS6detail15normal_iteratorINS9_10device_ptrIfEEEESE_f11max_functorIfEfEEDaPvRmT3_T4_T5_mT6_P12ihipStream_tbENKUlT_T0_E_clISt17integral_constantIbLb1EESU_EEDaSP_SQ_EUlSP_E0_NS1_11comp_targetILNS1_3genE9ELNS1_11target_archE1100ELNS1_3gpuE3ELNS1_3repE0EEENS1_30default_config_static_selectorELNS0_4arch9wavefront6targetE1EEEvT1_ ; -- Begin function _ZN7rocprim17ROCPRIM_400000_NS6detail17trampoline_kernelINS0_14default_configENS1_20scan_config_selectorIfEEZZNS1_9scan_implILNS1_25lookback_scan_determinismE0ELb0ELb0ES3_N6thrust23THRUST_200600_302600_NS6detail15normal_iteratorINS9_10device_ptrIfEEEESE_f11max_functorIfEfEEDaPvRmT3_T4_T5_mT6_P12ihipStream_tbENKUlT_T0_E_clISt17integral_constantIbLb1EESU_EEDaSP_SQ_EUlSP_E0_NS1_11comp_targetILNS1_3genE9ELNS1_11target_archE1100ELNS1_3gpuE3ELNS1_3repE0EEENS1_30default_config_static_selectorELNS0_4arch9wavefront6targetE1EEEvT1_
	.globl	_ZN7rocprim17ROCPRIM_400000_NS6detail17trampoline_kernelINS0_14default_configENS1_20scan_config_selectorIfEEZZNS1_9scan_implILNS1_25lookback_scan_determinismE0ELb0ELb0ES3_N6thrust23THRUST_200600_302600_NS6detail15normal_iteratorINS9_10device_ptrIfEEEESE_f11max_functorIfEfEEDaPvRmT3_T4_T5_mT6_P12ihipStream_tbENKUlT_T0_E_clISt17integral_constantIbLb1EESU_EEDaSP_SQ_EUlSP_E0_NS1_11comp_targetILNS1_3genE9ELNS1_11target_archE1100ELNS1_3gpuE3ELNS1_3repE0EEENS1_30default_config_static_selectorELNS0_4arch9wavefront6targetE1EEEvT1_
	.p2align	8
	.type	_ZN7rocprim17ROCPRIM_400000_NS6detail17trampoline_kernelINS0_14default_configENS1_20scan_config_selectorIfEEZZNS1_9scan_implILNS1_25lookback_scan_determinismE0ELb0ELb0ES3_N6thrust23THRUST_200600_302600_NS6detail15normal_iteratorINS9_10device_ptrIfEEEESE_f11max_functorIfEfEEDaPvRmT3_T4_T5_mT6_P12ihipStream_tbENKUlT_T0_E_clISt17integral_constantIbLb1EESU_EEDaSP_SQ_EUlSP_E0_NS1_11comp_targetILNS1_3genE9ELNS1_11target_archE1100ELNS1_3gpuE3ELNS1_3repE0EEENS1_30default_config_static_selectorELNS0_4arch9wavefront6targetE1EEEvT1_,@function
_ZN7rocprim17ROCPRIM_400000_NS6detail17trampoline_kernelINS0_14default_configENS1_20scan_config_selectorIfEEZZNS1_9scan_implILNS1_25lookback_scan_determinismE0ELb0ELb0ES3_N6thrust23THRUST_200600_302600_NS6detail15normal_iteratorINS9_10device_ptrIfEEEESE_f11max_functorIfEfEEDaPvRmT3_T4_T5_mT6_P12ihipStream_tbENKUlT_T0_E_clISt17integral_constantIbLb1EESU_EEDaSP_SQ_EUlSP_E0_NS1_11comp_targetILNS1_3genE9ELNS1_11target_archE1100ELNS1_3gpuE3ELNS1_3repE0EEENS1_30default_config_static_selectorELNS0_4arch9wavefront6targetE1EEEvT1_: ; @_ZN7rocprim17ROCPRIM_400000_NS6detail17trampoline_kernelINS0_14default_configENS1_20scan_config_selectorIfEEZZNS1_9scan_implILNS1_25lookback_scan_determinismE0ELb0ELb0ES3_N6thrust23THRUST_200600_302600_NS6detail15normal_iteratorINS9_10device_ptrIfEEEESE_f11max_functorIfEfEEDaPvRmT3_T4_T5_mT6_P12ihipStream_tbENKUlT_T0_E_clISt17integral_constantIbLb1EESU_EEDaSP_SQ_EUlSP_E0_NS1_11comp_targetILNS1_3genE9ELNS1_11target_archE1100ELNS1_3gpuE3ELNS1_3repE0EEENS1_30default_config_static_selectorELNS0_4arch9wavefront6targetE1EEEvT1_
; %bb.0:
	.section	.rodata,"a",@progbits
	.p2align	6, 0x0
	.amdhsa_kernel _ZN7rocprim17ROCPRIM_400000_NS6detail17trampoline_kernelINS0_14default_configENS1_20scan_config_selectorIfEEZZNS1_9scan_implILNS1_25lookback_scan_determinismE0ELb0ELb0ES3_N6thrust23THRUST_200600_302600_NS6detail15normal_iteratorINS9_10device_ptrIfEEEESE_f11max_functorIfEfEEDaPvRmT3_T4_T5_mT6_P12ihipStream_tbENKUlT_T0_E_clISt17integral_constantIbLb1EESU_EEDaSP_SQ_EUlSP_E0_NS1_11comp_targetILNS1_3genE9ELNS1_11target_archE1100ELNS1_3gpuE3ELNS1_3repE0EEENS1_30default_config_static_selectorELNS0_4arch9wavefront6targetE1EEEvT1_
		.amdhsa_group_segment_fixed_size 0
		.amdhsa_private_segment_fixed_size 0
		.amdhsa_kernarg_size 32
		.amdhsa_user_sgpr_count 6
		.amdhsa_user_sgpr_private_segment_buffer 1
		.amdhsa_user_sgpr_dispatch_ptr 0
		.amdhsa_user_sgpr_queue_ptr 0
		.amdhsa_user_sgpr_kernarg_segment_ptr 1
		.amdhsa_user_sgpr_dispatch_id 0
		.amdhsa_user_sgpr_flat_scratch_init 0
		.amdhsa_user_sgpr_kernarg_preload_length 0
		.amdhsa_user_sgpr_kernarg_preload_offset 0
		.amdhsa_user_sgpr_private_segment_size 0
		.amdhsa_uses_dynamic_stack 0
		.amdhsa_system_sgpr_private_segment_wavefront_offset 0
		.amdhsa_system_sgpr_workgroup_id_x 1
		.amdhsa_system_sgpr_workgroup_id_y 0
		.amdhsa_system_sgpr_workgroup_id_z 0
		.amdhsa_system_sgpr_workgroup_info 0
		.amdhsa_system_vgpr_workitem_id 0
		.amdhsa_next_free_vgpr 1
		.amdhsa_next_free_sgpr 0
		.amdhsa_accum_offset 4
		.amdhsa_reserve_vcc 0
		.amdhsa_reserve_flat_scratch 0
		.amdhsa_float_round_mode_32 0
		.amdhsa_float_round_mode_16_64 0
		.amdhsa_float_denorm_mode_32 3
		.amdhsa_float_denorm_mode_16_64 3
		.amdhsa_dx10_clamp 1
		.amdhsa_ieee_mode 1
		.amdhsa_fp16_overflow 0
		.amdhsa_tg_split 0
		.amdhsa_exception_fp_ieee_invalid_op 0
		.amdhsa_exception_fp_denorm_src 0
		.amdhsa_exception_fp_ieee_div_zero 0
		.amdhsa_exception_fp_ieee_overflow 0
		.amdhsa_exception_fp_ieee_underflow 0
		.amdhsa_exception_fp_ieee_inexact 0
		.amdhsa_exception_int_div_zero 0
	.end_amdhsa_kernel
	.section	.text._ZN7rocprim17ROCPRIM_400000_NS6detail17trampoline_kernelINS0_14default_configENS1_20scan_config_selectorIfEEZZNS1_9scan_implILNS1_25lookback_scan_determinismE0ELb0ELb0ES3_N6thrust23THRUST_200600_302600_NS6detail15normal_iteratorINS9_10device_ptrIfEEEESE_f11max_functorIfEfEEDaPvRmT3_T4_T5_mT6_P12ihipStream_tbENKUlT_T0_E_clISt17integral_constantIbLb1EESU_EEDaSP_SQ_EUlSP_E0_NS1_11comp_targetILNS1_3genE9ELNS1_11target_archE1100ELNS1_3gpuE3ELNS1_3repE0EEENS1_30default_config_static_selectorELNS0_4arch9wavefront6targetE1EEEvT1_,"axG",@progbits,_ZN7rocprim17ROCPRIM_400000_NS6detail17trampoline_kernelINS0_14default_configENS1_20scan_config_selectorIfEEZZNS1_9scan_implILNS1_25lookback_scan_determinismE0ELb0ELb0ES3_N6thrust23THRUST_200600_302600_NS6detail15normal_iteratorINS9_10device_ptrIfEEEESE_f11max_functorIfEfEEDaPvRmT3_T4_T5_mT6_P12ihipStream_tbENKUlT_T0_E_clISt17integral_constantIbLb1EESU_EEDaSP_SQ_EUlSP_E0_NS1_11comp_targetILNS1_3genE9ELNS1_11target_archE1100ELNS1_3gpuE3ELNS1_3repE0EEENS1_30default_config_static_selectorELNS0_4arch9wavefront6targetE1EEEvT1_,comdat
.Lfunc_end1977:
	.size	_ZN7rocprim17ROCPRIM_400000_NS6detail17trampoline_kernelINS0_14default_configENS1_20scan_config_selectorIfEEZZNS1_9scan_implILNS1_25lookback_scan_determinismE0ELb0ELb0ES3_N6thrust23THRUST_200600_302600_NS6detail15normal_iteratorINS9_10device_ptrIfEEEESE_f11max_functorIfEfEEDaPvRmT3_T4_T5_mT6_P12ihipStream_tbENKUlT_T0_E_clISt17integral_constantIbLb1EESU_EEDaSP_SQ_EUlSP_E0_NS1_11comp_targetILNS1_3genE9ELNS1_11target_archE1100ELNS1_3gpuE3ELNS1_3repE0EEENS1_30default_config_static_selectorELNS0_4arch9wavefront6targetE1EEEvT1_, .Lfunc_end1977-_ZN7rocprim17ROCPRIM_400000_NS6detail17trampoline_kernelINS0_14default_configENS1_20scan_config_selectorIfEEZZNS1_9scan_implILNS1_25lookback_scan_determinismE0ELb0ELb0ES3_N6thrust23THRUST_200600_302600_NS6detail15normal_iteratorINS9_10device_ptrIfEEEESE_f11max_functorIfEfEEDaPvRmT3_T4_T5_mT6_P12ihipStream_tbENKUlT_T0_E_clISt17integral_constantIbLb1EESU_EEDaSP_SQ_EUlSP_E0_NS1_11comp_targetILNS1_3genE9ELNS1_11target_archE1100ELNS1_3gpuE3ELNS1_3repE0EEENS1_30default_config_static_selectorELNS0_4arch9wavefront6targetE1EEEvT1_
                                        ; -- End function
	.section	.AMDGPU.csdata,"",@progbits
; Kernel info:
; codeLenInByte = 0
; NumSgprs: 4
; NumVgprs: 0
; NumAgprs: 0
; TotalNumVgprs: 0
; ScratchSize: 0
; MemoryBound: 0
; FloatMode: 240
; IeeeMode: 1
; LDSByteSize: 0 bytes/workgroup (compile time only)
; SGPRBlocks: 0
; VGPRBlocks: 0
; NumSGPRsForWavesPerEU: 4
; NumVGPRsForWavesPerEU: 1
; AccumOffset: 4
; Occupancy: 8
; WaveLimiterHint : 0
; COMPUTE_PGM_RSRC2:SCRATCH_EN: 0
; COMPUTE_PGM_RSRC2:USER_SGPR: 6
; COMPUTE_PGM_RSRC2:TRAP_HANDLER: 0
; COMPUTE_PGM_RSRC2:TGID_X_EN: 1
; COMPUTE_PGM_RSRC2:TGID_Y_EN: 0
; COMPUTE_PGM_RSRC2:TGID_Z_EN: 0
; COMPUTE_PGM_RSRC2:TIDIG_COMP_CNT: 0
; COMPUTE_PGM_RSRC3_GFX90A:ACCUM_OFFSET: 0
; COMPUTE_PGM_RSRC3_GFX90A:TG_SPLIT: 0
	.section	.text._ZN7rocprim17ROCPRIM_400000_NS6detail17trampoline_kernelINS0_14default_configENS1_20scan_config_selectorIfEEZZNS1_9scan_implILNS1_25lookback_scan_determinismE0ELb0ELb0ES3_N6thrust23THRUST_200600_302600_NS6detail15normal_iteratorINS9_10device_ptrIfEEEESE_f11max_functorIfEfEEDaPvRmT3_T4_T5_mT6_P12ihipStream_tbENKUlT_T0_E_clISt17integral_constantIbLb1EESU_EEDaSP_SQ_EUlSP_E0_NS1_11comp_targetILNS1_3genE8ELNS1_11target_archE1030ELNS1_3gpuE2ELNS1_3repE0EEENS1_30default_config_static_selectorELNS0_4arch9wavefront6targetE1EEEvT1_,"axG",@progbits,_ZN7rocprim17ROCPRIM_400000_NS6detail17trampoline_kernelINS0_14default_configENS1_20scan_config_selectorIfEEZZNS1_9scan_implILNS1_25lookback_scan_determinismE0ELb0ELb0ES3_N6thrust23THRUST_200600_302600_NS6detail15normal_iteratorINS9_10device_ptrIfEEEESE_f11max_functorIfEfEEDaPvRmT3_T4_T5_mT6_P12ihipStream_tbENKUlT_T0_E_clISt17integral_constantIbLb1EESU_EEDaSP_SQ_EUlSP_E0_NS1_11comp_targetILNS1_3genE8ELNS1_11target_archE1030ELNS1_3gpuE2ELNS1_3repE0EEENS1_30default_config_static_selectorELNS0_4arch9wavefront6targetE1EEEvT1_,comdat
	.protected	_ZN7rocprim17ROCPRIM_400000_NS6detail17trampoline_kernelINS0_14default_configENS1_20scan_config_selectorIfEEZZNS1_9scan_implILNS1_25lookback_scan_determinismE0ELb0ELb0ES3_N6thrust23THRUST_200600_302600_NS6detail15normal_iteratorINS9_10device_ptrIfEEEESE_f11max_functorIfEfEEDaPvRmT3_T4_T5_mT6_P12ihipStream_tbENKUlT_T0_E_clISt17integral_constantIbLb1EESU_EEDaSP_SQ_EUlSP_E0_NS1_11comp_targetILNS1_3genE8ELNS1_11target_archE1030ELNS1_3gpuE2ELNS1_3repE0EEENS1_30default_config_static_selectorELNS0_4arch9wavefront6targetE1EEEvT1_ ; -- Begin function _ZN7rocprim17ROCPRIM_400000_NS6detail17trampoline_kernelINS0_14default_configENS1_20scan_config_selectorIfEEZZNS1_9scan_implILNS1_25lookback_scan_determinismE0ELb0ELb0ES3_N6thrust23THRUST_200600_302600_NS6detail15normal_iteratorINS9_10device_ptrIfEEEESE_f11max_functorIfEfEEDaPvRmT3_T4_T5_mT6_P12ihipStream_tbENKUlT_T0_E_clISt17integral_constantIbLb1EESU_EEDaSP_SQ_EUlSP_E0_NS1_11comp_targetILNS1_3genE8ELNS1_11target_archE1030ELNS1_3gpuE2ELNS1_3repE0EEENS1_30default_config_static_selectorELNS0_4arch9wavefront6targetE1EEEvT1_
	.globl	_ZN7rocprim17ROCPRIM_400000_NS6detail17trampoline_kernelINS0_14default_configENS1_20scan_config_selectorIfEEZZNS1_9scan_implILNS1_25lookback_scan_determinismE0ELb0ELb0ES3_N6thrust23THRUST_200600_302600_NS6detail15normal_iteratorINS9_10device_ptrIfEEEESE_f11max_functorIfEfEEDaPvRmT3_T4_T5_mT6_P12ihipStream_tbENKUlT_T0_E_clISt17integral_constantIbLb1EESU_EEDaSP_SQ_EUlSP_E0_NS1_11comp_targetILNS1_3genE8ELNS1_11target_archE1030ELNS1_3gpuE2ELNS1_3repE0EEENS1_30default_config_static_selectorELNS0_4arch9wavefront6targetE1EEEvT1_
	.p2align	8
	.type	_ZN7rocprim17ROCPRIM_400000_NS6detail17trampoline_kernelINS0_14default_configENS1_20scan_config_selectorIfEEZZNS1_9scan_implILNS1_25lookback_scan_determinismE0ELb0ELb0ES3_N6thrust23THRUST_200600_302600_NS6detail15normal_iteratorINS9_10device_ptrIfEEEESE_f11max_functorIfEfEEDaPvRmT3_T4_T5_mT6_P12ihipStream_tbENKUlT_T0_E_clISt17integral_constantIbLb1EESU_EEDaSP_SQ_EUlSP_E0_NS1_11comp_targetILNS1_3genE8ELNS1_11target_archE1030ELNS1_3gpuE2ELNS1_3repE0EEENS1_30default_config_static_selectorELNS0_4arch9wavefront6targetE1EEEvT1_,@function
_ZN7rocprim17ROCPRIM_400000_NS6detail17trampoline_kernelINS0_14default_configENS1_20scan_config_selectorIfEEZZNS1_9scan_implILNS1_25lookback_scan_determinismE0ELb0ELb0ES3_N6thrust23THRUST_200600_302600_NS6detail15normal_iteratorINS9_10device_ptrIfEEEESE_f11max_functorIfEfEEDaPvRmT3_T4_T5_mT6_P12ihipStream_tbENKUlT_T0_E_clISt17integral_constantIbLb1EESU_EEDaSP_SQ_EUlSP_E0_NS1_11comp_targetILNS1_3genE8ELNS1_11target_archE1030ELNS1_3gpuE2ELNS1_3repE0EEENS1_30default_config_static_selectorELNS0_4arch9wavefront6targetE1EEEvT1_: ; @_ZN7rocprim17ROCPRIM_400000_NS6detail17trampoline_kernelINS0_14default_configENS1_20scan_config_selectorIfEEZZNS1_9scan_implILNS1_25lookback_scan_determinismE0ELb0ELb0ES3_N6thrust23THRUST_200600_302600_NS6detail15normal_iteratorINS9_10device_ptrIfEEEESE_f11max_functorIfEfEEDaPvRmT3_T4_T5_mT6_P12ihipStream_tbENKUlT_T0_E_clISt17integral_constantIbLb1EESU_EEDaSP_SQ_EUlSP_E0_NS1_11comp_targetILNS1_3genE8ELNS1_11target_archE1030ELNS1_3gpuE2ELNS1_3repE0EEENS1_30default_config_static_selectorELNS0_4arch9wavefront6targetE1EEEvT1_
; %bb.0:
	.section	.rodata,"a",@progbits
	.p2align	6, 0x0
	.amdhsa_kernel _ZN7rocprim17ROCPRIM_400000_NS6detail17trampoline_kernelINS0_14default_configENS1_20scan_config_selectorIfEEZZNS1_9scan_implILNS1_25lookback_scan_determinismE0ELb0ELb0ES3_N6thrust23THRUST_200600_302600_NS6detail15normal_iteratorINS9_10device_ptrIfEEEESE_f11max_functorIfEfEEDaPvRmT3_T4_T5_mT6_P12ihipStream_tbENKUlT_T0_E_clISt17integral_constantIbLb1EESU_EEDaSP_SQ_EUlSP_E0_NS1_11comp_targetILNS1_3genE8ELNS1_11target_archE1030ELNS1_3gpuE2ELNS1_3repE0EEENS1_30default_config_static_selectorELNS0_4arch9wavefront6targetE1EEEvT1_
		.amdhsa_group_segment_fixed_size 0
		.amdhsa_private_segment_fixed_size 0
		.amdhsa_kernarg_size 32
		.amdhsa_user_sgpr_count 6
		.amdhsa_user_sgpr_private_segment_buffer 1
		.amdhsa_user_sgpr_dispatch_ptr 0
		.amdhsa_user_sgpr_queue_ptr 0
		.amdhsa_user_sgpr_kernarg_segment_ptr 1
		.amdhsa_user_sgpr_dispatch_id 0
		.amdhsa_user_sgpr_flat_scratch_init 0
		.amdhsa_user_sgpr_kernarg_preload_length 0
		.amdhsa_user_sgpr_kernarg_preload_offset 0
		.amdhsa_user_sgpr_private_segment_size 0
		.amdhsa_uses_dynamic_stack 0
		.amdhsa_system_sgpr_private_segment_wavefront_offset 0
		.amdhsa_system_sgpr_workgroup_id_x 1
		.amdhsa_system_sgpr_workgroup_id_y 0
		.amdhsa_system_sgpr_workgroup_id_z 0
		.amdhsa_system_sgpr_workgroup_info 0
		.amdhsa_system_vgpr_workitem_id 0
		.amdhsa_next_free_vgpr 1
		.amdhsa_next_free_sgpr 0
		.amdhsa_accum_offset 4
		.amdhsa_reserve_vcc 0
		.amdhsa_reserve_flat_scratch 0
		.amdhsa_float_round_mode_32 0
		.amdhsa_float_round_mode_16_64 0
		.amdhsa_float_denorm_mode_32 3
		.amdhsa_float_denorm_mode_16_64 3
		.amdhsa_dx10_clamp 1
		.amdhsa_ieee_mode 1
		.amdhsa_fp16_overflow 0
		.amdhsa_tg_split 0
		.amdhsa_exception_fp_ieee_invalid_op 0
		.amdhsa_exception_fp_denorm_src 0
		.amdhsa_exception_fp_ieee_div_zero 0
		.amdhsa_exception_fp_ieee_overflow 0
		.amdhsa_exception_fp_ieee_underflow 0
		.amdhsa_exception_fp_ieee_inexact 0
		.amdhsa_exception_int_div_zero 0
	.end_amdhsa_kernel
	.section	.text._ZN7rocprim17ROCPRIM_400000_NS6detail17trampoline_kernelINS0_14default_configENS1_20scan_config_selectorIfEEZZNS1_9scan_implILNS1_25lookback_scan_determinismE0ELb0ELb0ES3_N6thrust23THRUST_200600_302600_NS6detail15normal_iteratorINS9_10device_ptrIfEEEESE_f11max_functorIfEfEEDaPvRmT3_T4_T5_mT6_P12ihipStream_tbENKUlT_T0_E_clISt17integral_constantIbLb1EESU_EEDaSP_SQ_EUlSP_E0_NS1_11comp_targetILNS1_3genE8ELNS1_11target_archE1030ELNS1_3gpuE2ELNS1_3repE0EEENS1_30default_config_static_selectorELNS0_4arch9wavefront6targetE1EEEvT1_,"axG",@progbits,_ZN7rocprim17ROCPRIM_400000_NS6detail17trampoline_kernelINS0_14default_configENS1_20scan_config_selectorIfEEZZNS1_9scan_implILNS1_25lookback_scan_determinismE0ELb0ELb0ES3_N6thrust23THRUST_200600_302600_NS6detail15normal_iteratorINS9_10device_ptrIfEEEESE_f11max_functorIfEfEEDaPvRmT3_T4_T5_mT6_P12ihipStream_tbENKUlT_T0_E_clISt17integral_constantIbLb1EESU_EEDaSP_SQ_EUlSP_E0_NS1_11comp_targetILNS1_3genE8ELNS1_11target_archE1030ELNS1_3gpuE2ELNS1_3repE0EEENS1_30default_config_static_selectorELNS0_4arch9wavefront6targetE1EEEvT1_,comdat
.Lfunc_end1978:
	.size	_ZN7rocprim17ROCPRIM_400000_NS6detail17trampoline_kernelINS0_14default_configENS1_20scan_config_selectorIfEEZZNS1_9scan_implILNS1_25lookback_scan_determinismE0ELb0ELb0ES3_N6thrust23THRUST_200600_302600_NS6detail15normal_iteratorINS9_10device_ptrIfEEEESE_f11max_functorIfEfEEDaPvRmT3_T4_T5_mT6_P12ihipStream_tbENKUlT_T0_E_clISt17integral_constantIbLb1EESU_EEDaSP_SQ_EUlSP_E0_NS1_11comp_targetILNS1_3genE8ELNS1_11target_archE1030ELNS1_3gpuE2ELNS1_3repE0EEENS1_30default_config_static_selectorELNS0_4arch9wavefront6targetE1EEEvT1_, .Lfunc_end1978-_ZN7rocprim17ROCPRIM_400000_NS6detail17trampoline_kernelINS0_14default_configENS1_20scan_config_selectorIfEEZZNS1_9scan_implILNS1_25lookback_scan_determinismE0ELb0ELb0ES3_N6thrust23THRUST_200600_302600_NS6detail15normal_iteratorINS9_10device_ptrIfEEEESE_f11max_functorIfEfEEDaPvRmT3_T4_T5_mT6_P12ihipStream_tbENKUlT_T0_E_clISt17integral_constantIbLb1EESU_EEDaSP_SQ_EUlSP_E0_NS1_11comp_targetILNS1_3genE8ELNS1_11target_archE1030ELNS1_3gpuE2ELNS1_3repE0EEENS1_30default_config_static_selectorELNS0_4arch9wavefront6targetE1EEEvT1_
                                        ; -- End function
	.section	.AMDGPU.csdata,"",@progbits
; Kernel info:
; codeLenInByte = 0
; NumSgprs: 4
; NumVgprs: 0
; NumAgprs: 0
; TotalNumVgprs: 0
; ScratchSize: 0
; MemoryBound: 0
; FloatMode: 240
; IeeeMode: 1
; LDSByteSize: 0 bytes/workgroup (compile time only)
; SGPRBlocks: 0
; VGPRBlocks: 0
; NumSGPRsForWavesPerEU: 4
; NumVGPRsForWavesPerEU: 1
; AccumOffset: 4
; Occupancy: 8
; WaveLimiterHint : 0
; COMPUTE_PGM_RSRC2:SCRATCH_EN: 0
; COMPUTE_PGM_RSRC2:USER_SGPR: 6
; COMPUTE_PGM_RSRC2:TRAP_HANDLER: 0
; COMPUTE_PGM_RSRC2:TGID_X_EN: 1
; COMPUTE_PGM_RSRC2:TGID_Y_EN: 0
; COMPUTE_PGM_RSRC2:TGID_Z_EN: 0
; COMPUTE_PGM_RSRC2:TIDIG_COMP_CNT: 0
; COMPUTE_PGM_RSRC3_GFX90A:ACCUM_OFFSET: 0
; COMPUTE_PGM_RSRC3_GFX90A:TG_SPLIT: 0
	.section	.text._ZN7rocprim17ROCPRIM_400000_NS6detail17trampoline_kernelINS0_14default_configENS1_20scan_config_selectorIfEEZZNS1_9scan_implILNS1_25lookback_scan_determinismE0ELb0ELb0ES3_N6thrust23THRUST_200600_302600_NS6detail15normal_iteratorINS9_10device_ptrIfEEEESE_f11max_functorIfEfEEDaPvRmT3_T4_T5_mT6_P12ihipStream_tbENKUlT_T0_E_clISt17integral_constantIbLb1EEST_IbLb0EEEEDaSP_SQ_EUlSP_E_NS1_11comp_targetILNS1_3genE0ELNS1_11target_archE4294967295ELNS1_3gpuE0ELNS1_3repE0EEENS1_30default_config_static_selectorELNS0_4arch9wavefront6targetE1EEEvT1_,"axG",@progbits,_ZN7rocprim17ROCPRIM_400000_NS6detail17trampoline_kernelINS0_14default_configENS1_20scan_config_selectorIfEEZZNS1_9scan_implILNS1_25lookback_scan_determinismE0ELb0ELb0ES3_N6thrust23THRUST_200600_302600_NS6detail15normal_iteratorINS9_10device_ptrIfEEEESE_f11max_functorIfEfEEDaPvRmT3_T4_T5_mT6_P12ihipStream_tbENKUlT_T0_E_clISt17integral_constantIbLb1EEST_IbLb0EEEEDaSP_SQ_EUlSP_E_NS1_11comp_targetILNS1_3genE0ELNS1_11target_archE4294967295ELNS1_3gpuE0ELNS1_3repE0EEENS1_30default_config_static_selectorELNS0_4arch9wavefront6targetE1EEEvT1_,comdat
	.protected	_ZN7rocprim17ROCPRIM_400000_NS6detail17trampoline_kernelINS0_14default_configENS1_20scan_config_selectorIfEEZZNS1_9scan_implILNS1_25lookback_scan_determinismE0ELb0ELb0ES3_N6thrust23THRUST_200600_302600_NS6detail15normal_iteratorINS9_10device_ptrIfEEEESE_f11max_functorIfEfEEDaPvRmT3_T4_T5_mT6_P12ihipStream_tbENKUlT_T0_E_clISt17integral_constantIbLb1EEST_IbLb0EEEEDaSP_SQ_EUlSP_E_NS1_11comp_targetILNS1_3genE0ELNS1_11target_archE4294967295ELNS1_3gpuE0ELNS1_3repE0EEENS1_30default_config_static_selectorELNS0_4arch9wavefront6targetE1EEEvT1_ ; -- Begin function _ZN7rocprim17ROCPRIM_400000_NS6detail17trampoline_kernelINS0_14default_configENS1_20scan_config_selectorIfEEZZNS1_9scan_implILNS1_25lookback_scan_determinismE0ELb0ELb0ES3_N6thrust23THRUST_200600_302600_NS6detail15normal_iteratorINS9_10device_ptrIfEEEESE_f11max_functorIfEfEEDaPvRmT3_T4_T5_mT6_P12ihipStream_tbENKUlT_T0_E_clISt17integral_constantIbLb1EEST_IbLb0EEEEDaSP_SQ_EUlSP_E_NS1_11comp_targetILNS1_3genE0ELNS1_11target_archE4294967295ELNS1_3gpuE0ELNS1_3repE0EEENS1_30default_config_static_selectorELNS0_4arch9wavefront6targetE1EEEvT1_
	.globl	_ZN7rocprim17ROCPRIM_400000_NS6detail17trampoline_kernelINS0_14default_configENS1_20scan_config_selectorIfEEZZNS1_9scan_implILNS1_25lookback_scan_determinismE0ELb0ELb0ES3_N6thrust23THRUST_200600_302600_NS6detail15normal_iteratorINS9_10device_ptrIfEEEESE_f11max_functorIfEfEEDaPvRmT3_T4_T5_mT6_P12ihipStream_tbENKUlT_T0_E_clISt17integral_constantIbLb1EEST_IbLb0EEEEDaSP_SQ_EUlSP_E_NS1_11comp_targetILNS1_3genE0ELNS1_11target_archE4294967295ELNS1_3gpuE0ELNS1_3repE0EEENS1_30default_config_static_selectorELNS0_4arch9wavefront6targetE1EEEvT1_
	.p2align	8
	.type	_ZN7rocprim17ROCPRIM_400000_NS6detail17trampoline_kernelINS0_14default_configENS1_20scan_config_selectorIfEEZZNS1_9scan_implILNS1_25lookback_scan_determinismE0ELb0ELb0ES3_N6thrust23THRUST_200600_302600_NS6detail15normal_iteratorINS9_10device_ptrIfEEEESE_f11max_functorIfEfEEDaPvRmT3_T4_T5_mT6_P12ihipStream_tbENKUlT_T0_E_clISt17integral_constantIbLb1EEST_IbLb0EEEEDaSP_SQ_EUlSP_E_NS1_11comp_targetILNS1_3genE0ELNS1_11target_archE4294967295ELNS1_3gpuE0ELNS1_3repE0EEENS1_30default_config_static_selectorELNS0_4arch9wavefront6targetE1EEEvT1_,@function
_ZN7rocprim17ROCPRIM_400000_NS6detail17trampoline_kernelINS0_14default_configENS1_20scan_config_selectorIfEEZZNS1_9scan_implILNS1_25lookback_scan_determinismE0ELb0ELb0ES3_N6thrust23THRUST_200600_302600_NS6detail15normal_iteratorINS9_10device_ptrIfEEEESE_f11max_functorIfEfEEDaPvRmT3_T4_T5_mT6_P12ihipStream_tbENKUlT_T0_E_clISt17integral_constantIbLb1EEST_IbLb0EEEEDaSP_SQ_EUlSP_E_NS1_11comp_targetILNS1_3genE0ELNS1_11target_archE4294967295ELNS1_3gpuE0ELNS1_3repE0EEENS1_30default_config_static_selectorELNS0_4arch9wavefront6targetE1EEEvT1_: ; @_ZN7rocprim17ROCPRIM_400000_NS6detail17trampoline_kernelINS0_14default_configENS1_20scan_config_selectorIfEEZZNS1_9scan_implILNS1_25lookback_scan_determinismE0ELb0ELb0ES3_N6thrust23THRUST_200600_302600_NS6detail15normal_iteratorINS9_10device_ptrIfEEEESE_f11max_functorIfEfEEDaPvRmT3_T4_T5_mT6_P12ihipStream_tbENKUlT_T0_E_clISt17integral_constantIbLb1EEST_IbLb0EEEEDaSP_SQ_EUlSP_E_NS1_11comp_targetILNS1_3genE0ELNS1_11target_archE4294967295ELNS1_3gpuE0ELNS1_3repE0EEENS1_30default_config_static_selectorELNS0_4arch9wavefront6targetE1EEEvT1_
; %bb.0:
	.section	.rodata,"a",@progbits
	.p2align	6, 0x0
	.amdhsa_kernel _ZN7rocprim17ROCPRIM_400000_NS6detail17trampoline_kernelINS0_14default_configENS1_20scan_config_selectorIfEEZZNS1_9scan_implILNS1_25lookback_scan_determinismE0ELb0ELb0ES3_N6thrust23THRUST_200600_302600_NS6detail15normal_iteratorINS9_10device_ptrIfEEEESE_f11max_functorIfEfEEDaPvRmT3_T4_T5_mT6_P12ihipStream_tbENKUlT_T0_E_clISt17integral_constantIbLb1EEST_IbLb0EEEEDaSP_SQ_EUlSP_E_NS1_11comp_targetILNS1_3genE0ELNS1_11target_archE4294967295ELNS1_3gpuE0ELNS1_3repE0EEENS1_30default_config_static_selectorELNS0_4arch9wavefront6targetE1EEEvT1_
		.amdhsa_group_segment_fixed_size 0
		.amdhsa_private_segment_fixed_size 0
		.amdhsa_kernarg_size 96
		.amdhsa_user_sgpr_count 6
		.amdhsa_user_sgpr_private_segment_buffer 1
		.amdhsa_user_sgpr_dispatch_ptr 0
		.amdhsa_user_sgpr_queue_ptr 0
		.amdhsa_user_sgpr_kernarg_segment_ptr 1
		.amdhsa_user_sgpr_dispatch_id 0
		.amdhsa_user_sgpr_flat_scratch_init 0
		.amdhsa_user_sgpr_kernarg_preload_length 0
		.amdhsa_user_sgpr_kernarg_preload_offset 0
		.amdhsa_user_sgpr_private_segment_size 0
		.amdhsa_uses_dynamic_stack 0
		.amdhsa_system_sgpr_private_segment_wavefront_offset 0
		.amdhsa_system_sgpr_workgroup_id_x 1
		.amdhsa_system_sgpr_workgroup_id_y 0
		.amdhsa_system_sgpr_workgroup_id_z 0
		.amdhsa_system_sgpr_workgroup_info 0
		.amdhsa_system_vgpr_workitem_id 0
		.amdhsa_next_free_vgpr 1
		.amdhsa_next_free_sgpr 0
		.amdhsa_accum_offset 4
		.amdhsa_reserve_vcc 0
		.amdhsa_reserve_flat_scratch 0
		.amdhsa_float_round_mode_32 0
		.amdhsa_float_round_mode_16_64 0
		.amdhsa_float_denorm_mode_32 3
		.amdhsa_float_denorm_mode_16_64 3
		.amdhsa_dx10_clamp 1
		.amdhsa_ieee_mode 1
		.amdhsa_fp16_overflow 0
		.amdhsa_tg_split 0
		.amdhsa_exception_fp_ieee_invalid_op 0
		.amdhsa_exception_fp_denorm_src 0
		.amdhsa_exception_fp_ieee_div_zero 0
		.amdhsa_exception_fp_ieee_overflow 0
		.amdhsa_exception_fp_ieee_underflow 0
		.amdhsa_exception_fp_ieee_inexact 0
		.amdhsa_exception_int_div_zero 0
	.end_amdhsa_kernel
	.section	.text._ZN7rocprim17ROCPRIM_400000_NS6detail17trampoline_kernelINS0_14default_configENS1_20scan_config_selectorIfEEZZNS1_9scan_implILNS1_25lookback_scan_determinismE0ELb0ELb0ES3_N6thrust23THRUST_200600_302600_NS6detail15normal_iteratorINS9_10device_ptrIfEEEESE_f11max_functorIfEfEEDaPvRmT3_T4_T5_mT6_P12ihipStream_tbENKUlT_T0_E_clISt17integral_constantIbLb1EEST_IbLb0EEEEDaSP_SQ_EUlSP_E_NS1_11comp_targetILNS1_3genE0ELNS1_11target_archE4294967295ELNS1_3gpuE0ELNS1_3repE0EEENS1_30default_config_static_selectorELNS0_4arch9wavefront6targetE1EEEvT1_,"axG",@progbits,_ZN7rocprim17ROCPRIM_400000_NS6detail17trampoline_kernelINS0_14default_configENS1_20scan_config_selectorIfEEZZNS1_9scan_implILNS1_25lookback_scan_determinismE0ELb0ELb0ES3_N6thrust23THRUST_200600_302600_NS6detail15normal_iteratorINS9_10device_ptrIfEEEESE_f11max_functorIfEfEEDaPvRmT3_T4_T5_mT6_P12ihipStream_tbENKUlT_T0_E_clISt17integral_constantIbLb1EEST_IbLb0EEEEDaSP_SQ_EUlSP_E_NS1_11comp_targetILNS1_3genE0ELNS1_11target_archE4294967295ELNS1_3gpuE0ELNS1_3repE0EEENS1_30default_config_static_selectorELNS0_4arch9wavefront6targetE1EEEvT1_,comdat
.Lfunc_end1979:
	.size	_ZN7rocprim17ROCPRIM_400000_NS6detail17trampoline_kernelINS0_14default_configENS1_20scan_config_selectorIfEEZZNS1_9scan_implILNS1_25lookback_scan_determinismE0ELb0ELb0ES3_N6thrust23THRUST_200600_302600_NS6detail15normal_iteratorINS9_10device_ptrIfEEEESE_f11max_functorIfEfEEDaPvRmT3_T4_T5_mT6_P12ihipStream_tbENKUlT_T0_E_clISt17integral_constantIbLb1EEST_IbLb0EEEEDaSP_SQ_EUlSP_E_NS1_11comp_targetILNS1_3genE0ELNS1_11target_archE4294967295ELNS1_3gpuE0ELNS1_3repE0EEENS1_30default_config_static_selectorELNS0_4arch9wavefront6targetE1EEEvT1_, .Lfunc_end1979-_ZN7rocprim17ROCPRIM_400000_NS6detail17trampoline_kernelINS0_14default_configENS1_20scan_config_selectorIfEEZZNS1_9scan_implILNS1_25lookback_scan_determinismE0ELb0ELb0ES3_N6thrust23THRUST_200600_302600_NS6detail15normal_iteratorINS9_10device_ptrIfEEEESE_f11max_functorIfEfEEDaPvRmT3_T4_T5_mT6_P12ihipStream_tbENKUlT_T0_E_clISt17integral_constantIbLb1EEST_IbLb0EEEEDaSP_SQ_EUlSP_E_NS1_11comp_targetILNS1_3genE0ELNS1_11target_archE4294967295ELNS1_3gpuE0ELNS1_3repE0EEENS1_30default_config_static_selectorELNS0_4arch9wavefront6targetE1EEEvT1_
                                        ; -- End function
	.section	.AMDGPU.csdata,"",@progbits
; Kernel info:
; codeLenInByte = 0
; NumSgprs: 4
; NumVgprs: 0
; NumAgprs: 0
; TotalNumVgprs: 0
; ScratchSize: 0
; MemoryBound: 0
; FloatMode: 240
; IeeeMode: 1
; LDSByteSize: 0 bytes/workgroup (compile time only)
; SGPRBlocks: 0
; VGPRBlocks: 0
; NumSGPRsForWavesPerEU: 4
; NumVGPRsForWavesPerEU: 1
; AccumOffset: 4
; Occupancy: 8
; WaveLimiterHint : 0
; COMPUTE_PGM_RSRC2:SCRATCH_EN: 0
; COMPUTE_PGM_RSRC2:USER_SGPR: 6
; COMPUTE_PGM_RSRC2:TRAP_HANDLER: 0
; COMPUTE_PGM_RSRC2:TGID_X_EN: 1
; COMPUTE_PGM_RSRC2:TGID_Y_EN: 0
; COMPUTE_PGM_RSRC2:TGID_Z_EN: 0
; COMPUTE_PGM_RSRC2:TIDIG_COMP_CNT: 0
; COMPUTE_PGM_RSRC3_GFX90A:ACCUM_OFFSET: 0
; COMPUTE_PGM_RSRC3_GFX90A:TG_SPLIT: 0
	.section	.text._ZN7rocprim17ROCPRIM_400000_NS6detail17trampoline_kernelINS0_14default_configENS1_20scan_config_selectorIfEEZZNS1_9scan_implILNS1_25lookback_scan_determinismE0ELb0ELb0ES3_N6thrust23THRUST_200600_302600_NS6detail15normal_iteratorINS9_10device_ptrIfEEEESE_f11max_functorIfEfEEDaPvRmT3_T4_T5_mT6_P12ihipStream_tbENKUlT_T0_E_clISt17integral_constantIbLb1EEST_IbLb0EEEEDaSP_SQ_EUlSP_E_NS1_11comp_targetILNS1_3genE5ELNS1_11target_archE942ELNS1_3gpuE9ELNS1_3repE0EEENS1_30default_config_static_selectorELNS0_4arch9wavefront6targetE1EEEvT1_,"axG",@progbits,_ZN7rocprim17ROCPRIM_400000_NS6detail17trampoline_kernelINS0_14default_configENS1_20scan_config_selectorIfEEZZNS1_9scan_implILNS1_25lookback_scan_determinismE0ELb0ELb0ES3_N6thrust23THRUST_200600_302600_NS6detail15normal_iteratorINS9_10device_ptrIfEEEESE_f11max_functorIfEfEEDaPvRmT3_T4_T5_mT6_P12ihipStream_tbENKUlT_T0_E_clISt17integral_constantIbLb1EEST_IbLb0EEEEDaSP_SQ_EUlSP_E_NS1_11comp_targetILNS1_3genE5ELNS1_11target_archE942ELNS1_3gpuE9ELNS1_3repE0EEENS1_30default_config_static_selectorELNS0_4arch9wavefront6targetE1EEEvT1_,comdat
	.protected	_ZN7rocprim17ROCPRIM_400000_NS6detail17trampoline_kernelINS0_14default_configENS1_20scan_config_selectorIfEEZZNS1_9scan_implILNS1_25lookback_scan_determinismE0ELb0ELb0ES3_N6thrust23THRUST_200600_302600_NS6detail15normal_iteratorINS9_10device_ptrIfEEEESE_f11max_functorIfEfEEDaPvRmT3_T4_T5_mT6_P12ihipStream_tbENKUlT_T0_E_clISt17integral_constantIbLb1EEST_IbLb0EEEEDaSP_SQ_EUlSP_E_NS1_11comp_targetILNS1_3genE5ELNS1_11target_archE942ELNS1_3gpuE9ELNS1_3repE0EEENS1_30default_config_static_selectorELNS0_4arch9wavefront6targetE1EEEvT1_ ; -- Begin function _ZN7rocprim17ROCPRIM_400000_NS6detail17trampoline_kernelINS0_14default_configENS1_20scan_config_selectorIfEEZZNS1_9scan_implILNS1_25lookback_scan_determinismE0ELb0ELb0ES3_N6thrust23THRUST_200600_302600_NS6detail15normal_iteratorINS9_10device_ptrIfEEEESE_f11max_functorIfEfEEDaPvRmT3_T4_T5_mT6_P12ihipStream_tbENKUlT_T0_E_clISt17integral_constantIbLb1EEST_IbLb0EEEEDaSP_SQ_EUlSP_E_NS1_11comp_targetILNS1_3genE5ELNS1_11target_archE942ELNS1_3gpuE9ELNS1_3repE0EEENS1_30default_config_static_selectorELNS0_4arch9wavefront6targetE1EEEvT1_
	.globl	_ZN7rocprim17ROCPRIM_400000_NS6detail17trampoline_kernelINS0_14default_configENS1_20scan_config_selectorIfEEZZNS1_9scan_implILNS1_25lookback_scan_determinismE0ELb0ELb0ES3_N6thrust23THRUST_200600_302600_NS6detail15normal_iteratorINS9_10device_ptrIfEEEESE_f11max_functorIfEfEEDaPvRmT3_T4_T5_mT6_P12ihipStream_tbENKUlT_T0_E_clISt17integral_constantIbLb1EEST_IbLb0EEEEDaSP_SQ_EUlSP_E_NS1_11comp_targetILNS1_3genE5ELNS1_11target_archE942ELNS1_3gpuE9ELNS1_3repE0EEENS1_30default_config_static_selectorELNS0_4arch9wavefront6targetE1EEEvT1_
	.p2align	8
	.type	_ZN7rocprim17ROCPRIM_400000_NS6detail17trampoline_kernelINS0_14default_configENS1_20scan_config_selectorIfEEZZNS1_9scan_implILNS1_25lookback_scan_determinismE0ELb0ELb0ES3_N6thrust23THRUST_200600_302600_NS6detail15normal_iteratorINS9_10device_ptrIfEEEESE_f11max_functorIfEfEEDaPvRmT3_T4_T5_mT6_P12ihipStream_tbENKUlT_T0_E_clISt17integral_constantIbLb1EEST_IbLb0EEEEDaSP_SQ_EUlSP_E_NS1_11comp_targetILNS1_3genE5ELNS1_11target_archE942ELNS1_3gpuE9ELNS1_3repE0EEENS1_30default_config_static_selectorELNS0_4arch9wavefront6targetE1EEEvT1_,@function
_ZN7rocprim17ROCPRIM_400000_NS6detail17trampoline_kernelINS0_14default_configENS1_20scan_config_selectorIfEEZZNS1_9scan_implILNS1_25lookback_scan_determinismE0ELb0ELb0ES3_N6thrust23THRUST_200600_302600_NS6detail15normal_iteratorINS9_10device_ptrIfEEEESE_f11max_functorIfEfEEDaPvRmT3_T4_T5_mT6_P12ihipStream_tbENKUlT_T0_E_clISt17integral_constantIbLb1EEST_IbLb0EEEEDaSP_SQ_EUlSP_E_NS1_11comp_targetILNS1_3genE5ELNS1_11target_archE942ELNS1_3gpuE9ELNS1_3repE0EEENS1_30default_config_static_selectorELNS0_4arch9wavefront6targetE1EEEvT1_: ; @_ZN7rocprim17ROCPRIM_400000_NS6detail17trampoline_kernelINS0_14default_configENS1_20scan_config_selectorIfEEZZNS1_9scan_implILNS1_25lookback_scan_determinismE0ELb0ELb0ES3_N6thrust23THRUST_200600_302600_NS6detail15normal_iteratorINS9_10device_ptrIfEEEESE_f11max_functorIfEfEEDaPvRmT3_T4_T5_mT6_P12ihipStream_tbENKUlT_T0_E_clISt17integral_constantIbLb1EEST_IbLb0EEEEDaSP_SQ_EUlSP_E_NS1_11comp_targetILNS1_3genE5ELNS1_11target_archE942ELNS1_3gpuE9ELNS1_3repE0EEENS1_30default_config_static_selectorELNS0_4arch9wavefront6targetE1EEEvT1_
; %bb.0:
	.section	.rodata,"a",@progbits
	.p2align	6, 0x0
	.amdhsa_kernel _ZN7rocprim17ROCPRIM_400000_NS6detail17trampoline_kernelINS0_14default_configENS1_20scan_config_selectorIfEEZZNS1_9scan_implILNS1_25lookback_scan_determinismE0ELb0ELb0ES3_N6thrust23THRUST_200600_302600_NS6detail15normal_iteratorINS9_10device_ptrIfEEEESE_f11max_functorIfEfEEDaPvRmT3_T4_T5_mT6_P12ihipStream_tbENKUlT_T0_E_clISt17integral_constantIbLb1EEST_IbLb0EEEEDaSP_SQ_EUlSP_E_NS1_11comp_targetILNS1_3genE5ELNS1_11target_archE942ELNS1_3gpuE9ELNS1_3repE0EEENS1_30default_config_static_selectorELNS0_4arch9wavefront6targetE1EEEvT1_
		.amdhsa_group_segment_fixed_size 0
		.amdhsa_private_segment_fixed_size 0
		.amdhsa_kernarg_size 96
		.amdhsa_user_sgpr_count 6
		.amdhsa_user_sgpr_private_segment_buffer 1
		.amdhsa_user_sgpr_dispatch_ptr 0
		.amdhsa_user_sgpr_queue_ptr 0
		.amdhsa_user_sgpr_kernarg_segment_ptr 1
		.amdhsa_user_sgpr_dispatch_id 0
		.amdhsa_user_sgpr_flat_scratch_init 0
		.amdhsa_user_sgpr_kernarg_preload_length 0
		.amdhsa_user_sgpr_kernarg_preload_offset 0
		.amdhsa_user_sgpr_private_segment_size 0
		.amdhsa_uses_dynamic_stack 0
		.amdhsa_system_sgpr_private_segment_wavefront_offset 0
		.amdhsa_system_sgpr_workgroup_id_x 1
		.amdhsa_system_sgpr_workgroup_id_y 0
		.amdhsa_system_sgpr_workgroup_id_z 0
		.amdhsa_system_sgpr_workgroup_info 0
		.amdhsa_system_vgpr_workitem_id 0
		.amdhsa_next_free_vgpr 1
		.amdhsa_next_free_sgpr 0
		.amdhsa_accum_offset 4
		.amdhsa_reserve_vcc 0
		.amdhsa_reserve_flat_scratch 0
		.amdhsa_float_round_mode_32 0
		.amdhsa_float_round_mode_16_64 0
		.amdhsa_float_denorm_mode_32 3
		.amdhsa_float_denorm_mode_16_64 3
		.amdhsa_dx10_clamp 1
		.amdhsa_ieee_mode 1
		.amdhsa_fp16_overflow 0
		.amdhsa_tg_split 0
		.amdhsa_exception_fp_ieee_invalid_op 0
		.amdhsa_exception_fp_denorm_src 0
		.amdhsa_exception_fp_ieee_div_zero 0
		.amdhsa_exception_fp_ieee_overflow 0
		.amdhsa_exception_fp_ieee_underflow 0
		.amdhsa_exception_fp_ieee_inexact 0
		.amdhsa_exception_int_div_zero 0
	.end_amdhsa_kernel
	.section	.text._ZN7rocprim17ROCPRIM_400000_NS6detail17trampoline_kernelINS0_14default_configENS1_20scan_config_selectorIfEEZZNS1_9scan_implILNS1_25lookback_scan_determinismE0ELb0ELb0ES3_N6thrust23THRUST_200600_302600_NS6detail15normal_iteratorINS9_10device_ptrIfEEEESE_f11max_functorIfEfEEDaPvRmT3_T4_T5_mT6_P12ihipStream_tbENKUlT_T0_E_clISt17integral_constantIbLb1EEST_IbLb0EEEEDaSP_SQ_EUlSP_E_NS1_11comp_targetILNS1_3genE5ELNS1_11target_archE942ELNS1_3gpuE9ELNS1_3repE0EEENS1_30default_config_static_selectorELNS0_4arch9wavefront6targetE1EEEvT1_,"axG",@progbits,_ZN7rocprim17ROCPRIM_400000_NS6detail17trampoline_kernelINS0_14default_configENS1_20scan_config_selectorIfEEZZNS1_9scan_implILNS1_25lookback_scan_determinismE0ELb0ELb0ES3_N6thrust23THRUST_200600_302600_NS6detail15normal_iteratorINS9_10device_ptrIfEEEESE_f11max_functorIfEfEEDaPvRmT3_T4_T5_mT6_P12ihipStream_tbENKUlT_T0_E_clISt17integral_constantIbLb1EEST_IbLb0EEEEDaSP_SQ_EUlSP_E_NS1_11comp_targetILNS1_3genE5ELNS1_11target_archE942ELNS1_3gpuE9ELNS1_3repE0EEENS1_30default_config_static_selectorELNS0_4arch9wavefront6targetE1EEEvT1_,comdat
.Lfunc_end1980:
	.size	_ZN7rocprim17ROCPRIM_400000_NS6detail17trampoline_kernelINS0_14default_configENS1_20scan_config_selectorIfEEZZNS1_9scan_implILNS1_25lookback_scan_determinismE0ELb0ELb0ES3_N6thrust23THRUST_200600_302600_NS6detail15normal_iteratorINS9_10device_ptrIfEEEESE_f11max_functorIfEfEEDaPvRmT3_T4_T5_mT6_P12ihipStream_tbENKUlT_T0_E_clISt17integral_constantIbLb1EEST_IbLb0EEEEDaSP_SQ_EUlSP_E_NS1_11comp_targetILNS1_3genE5ELNS1_11target_archE942ELNS1_3gpuE9ELNS1_3repE0EEENS1_30default_config_static_selectorELNS0_4arch9wavefront6targetE1EEEvT1_, .Lfunc_end1980-_ZN7rocprim17ROCPRIM_400000_NS6detail17trampoline_kernelINS0_14default_configENS1_20scan_config_selectorIfEEZZNS1_9scan_implILNS1_25lookback_scan_determinismE0ELb0ELb0ES3_N6thrust23THRUST_200600_302600_NS6detail15normal_iteratorINS9_10device_ptrIfEEEESE_f11max_functorIfEfEEDaPvRmT3_T4_T5_mT6_P12ihipStream_tbENKUlT_T0_E_clISt17integral_constantIbLb1EEST_IbLb0EEEEDaSP_SQ_EUlSP_E_NS1_11comp_targetILNS1_3genE5ELNS1_11target_archE942ELNS1_3gpuE9ELNS1_3repE0EEENS1_30default_config_static_selectorELNS0_4arch9wavefront6targetE1EEEvT1_
                                        ; -- End function
	.section	.AMDGPU.csdata,"",@progbits
; Kernel info:
; codeLenInByte = 0
; NumSgprs: 4
; NumVgprs: 0
; NumAgprs: 0
; TotalNumVgprs: 0
; ScratchSize: 0
; MemoryBound: 0
; FloatMode: 240
; IeeeMode: 1
; LDSByteSize: 0 bytes/workgroup (compile time only)
; SGPRBlocks: 0
; VGPRBlocks: 0
; NumSGPRsForWavesPerEU: 4
; NumVGPRsForWavesPerEU: 1
; AccumOffset: 4
; Occupancy: 8
; WaveLimiterHint : 0
; COMPUTE_PGM_RSRC2:SCRATCH_EN: 0
; COMPUTE_PGM_RSRC2:USER_SGPR: 6
; COMPUTE_PGM_RSRC2:TRAP_HANDLER: 0
; COMPUTE_PGM_RSRC2:TGID_X_EN: 1
; COMPUTE_PGM_RSRC2:TGID_Y_EN: 0
; COMPUTE_PGM_RSRC2:TGID_Z_EN: 0
; COMPUTE_PGM_RSRC2:TIDIG_COMP_CNT: 0
; COMPUTE_PGM_RSRC3_GFX90A:ACCUM_OFFSET: 0
; COMPUTE_PGM_RSRC3_GFX90A:TG_SPLIT: 0
	.section	.text._ZN7rocprim17ROCPRIM_400000_NS6detail17trampoline_kernelINS0_14default_configENS1_20scan_config_selectorIfEEZZNS1_9scan_implILNS1_25lookback_scan_determinismE0ELb0ELb0ES3_N6thrust23THRUST_200600_302600_NS6detail15normal_iteratorINS9_10device_ptrIfEEEESE_f11max_functorIfEfEEDaPvRmT3_T4_T5_mT6_P12ihipStream_tbENKUlT_T0_E_clISt17integral_constantIbLb1EEST_IbLb0EEEEDaSP_SQ_EUlSP_E_NS1_11comp_targetILNS1_3genE4ELNS1_11target_archE910ELNS1_3gpuE8ELNS1_3repE0EEENS1_30default_config_static_selectorELNS0_4arch9wavefront6targetE1EEEvT1_,"axG",@progbits,_ZN7rocprim17ROCPRIM_400000_NS6detail17trampoline_kernelINS0_14default_configENS1_20scan_config_selectorIfEEZZNS1_9scan_implILNS1_25lookback_scan_determinismE0ELb0ELb0ES3_N6thrust23THRUST_200600_302600_NS6detail15normal_iteratorINS9_10device_ptrIfEEEESE_f11max_functorIfEfEEDaPvRmT3_T4_T5_mT6_P12ihipStream_tbENKUlT_T0_E_clISt17integral_constantIbLb1EEST_IbLb0EEEEDaSP_SQ_EUlSP_E_NS1_11comp_targetILNS1_3genE4ELNS1_11target_archE910ELNS1_3gpuE8ELNS1_3repE0EEENS1_30default_config_static_selectorELNS0_4arch9wavefront6targetE1EEEvT1_,comdat
	.protected	_ZN7rocprim17ROCPRIM_400000_NS6detail17trampoline_kernelINS0_14default_configENS1_20scan_config_selectorIfEEZZNS1_9scan_implILNS1_25lookback_scan_determinismE0ELb0ELb0ES3_N6thrust23THRUST_200600_302600_NS6detail15normal_iteratorINS9_10device_ptrIfEEEESE_f11max_functorIfEfEEDaPvRmT3_T4_T5_mT6_P12ihipStream_tbENKUlT_T0_E_clISt17integral_constantIbLb1EEST_IbLb0EEEEDaSP_SQ_EUlSP_E_NS1_11comp_targetILNS1_3genE4ELNS1_11target_archE910ELNS1_3gpuE8ELNS1_3repE0EEENS1_30default_config_static_selectorELNS0_4arch9wavefront6targetE1EEEvT1_ ; -- Begin function _ZN7rocprim17ROCPRIM_400000_NS6detail17trampoline_kernelINS0_14default_configENS1_20scan_config_selectorIfEEZZNS1_9scan_implILNS1_25lookback_scan_determinismE0ELb0ELb0ES3_N6thrust23THRUST_200600_302600_NS6detail15normal_iteratorINS9_10device_ptrIfEEEESE_f11max_functorIfEfEEDaPvRmT3_T4_T5_mT6_P12ihipStream_tbENKUlT_T0_E_clISt17integral_constantIbLb1EEST_IbLb0EEEEDaSP_SQ_EUlSP_E_NS1_11comp_targetILNS1_3genE4ELNS1_11target_archE910ELNS1_3gpuE8ELNS1_3repE0EEENS1_30default_config_static_selectorELNS0_4arch9wavefront6targetE1EEEvT1_
	.globl	_ZN7rocprim17ROCPRIM_400000_NS6detail17trampoline_kernelINS0_14default_configENS1_20scan_config_selectorIfEEZZNS1_9scan_implILNS1_25lookback_scan_determinismE0ELb0ELb0ES3_N6thrust23THRUST_200600_302600_NS6detail15normal_iteratorINS9_10device_ptrIfEEEESE_f11max_functorIfEfEEDaPvRmT3_T4_T5_mT6_P12ihipStream_tbENKUlT_T0_E_clISt17integral_constantIbLb1EEST_IbLb0EEEEDaSP_SQ_EUlSP_E_NS1_11comp_targetILNS1_3genE4ELNS1_11target_archE910ELNS1_3gpuE8ELNS1_3repE0EEENS1_30default_config_static_selectorELNS0_4arch9wavefront6targetE1EEEvT1_
	.p2align	8
	.type	_ZN7rocprim17ROCPRIM_400000_NS6detail17trampoline_kernelINS0_14default_configENS1_20scan_config_selectorIfEEZZNS1_9scan_implILNS1_25lookback_scan_determinismE0ELb0ELb0ES3_N6thrust23THRUST_200600_302600_NS6detail15normal_iteratorINS9_10device_ptrIfEEEESE_f11max_functorIfEfEEDaPvRmT3_T4_T5_mT6_P12ihipStream_tbENKUlT_T0_E_clISt17integral_constantIbLb1EEST_IbLb0EEEEDaSP_SQ_EUlSP_E_NS1_11comp_targetILNS1_3genE4ELNS1_11target_archE910ELNS1_3gpuE8ELNS1_3repE0EEENS1_30default_config_static_selectorELNS0_4arch9wavefront6targetE1EEEvT1_,@function
_ZN7rocprim17ROCPRIM_400000_NS6detail17trampoline_kernelINS0_14default_configENS1_20scan_config_selectorIfEEZZNS1_9scan_implILNS1_25lookback_scan_determinismE0ELb0ELb0ES3_N6thrust23THRUST_200600_302600_NS6detail15normal_iteratorINS9_10device_ptrIfEEEESE_f11max_functorIfEfEEDaPvRmT3_T4_T5_mT6_P12ihipStream_tbENKUlT_T0_E_clISt17integral_constantIbLb1EEST_IbLb0EEEEDaSP_SQ_EUlSP_E_NS1_11comp_targetILNS1_3genE4ELNS1_11target_archE910ELNS1_3gpuE8ELNS1_3repE0EEENS1_30default_config_static_selectorELNS0_4arch9wavefront6targetE1EEEvT1_: ; @_ZN7rocprim17ROCPRIM_400000_NS6detail17trampoline_kernelINS0_14default_configENS1_20scan_config_selectorIfEEZZNS1_9scan_implILNS1_25lookback_scan_determinismE0ELb0ELb0ES3_N6thrust23THRUST_200600_302600_NS6detail15normal_iteratorINS9_10device_ptrIfEEEESE_f11max_functorIfEfEEDaPvRmT3_T4_T5_mT6_P12ihipStream_tbENKUlT_T0_E_clISt17integral_constantIbLb1EEST_IbLb0EEEEDaSP_SQ_EUlSP_E_NS1_11comp_targetILNS1_3genE4ELNS1_11target_archE910ELNS1_3gpuE8ELNS1_3repE0EEENS1_30default_config_static_selectorELNS0_4arch9wavefront6targetE1EEEvT1_
; %bb.0:
	s_load_dwordx8 s[8:15], s[4:5], 0x0
	s_load_dword s1, s[4:5], 0x30
	s_mul_i32 s0, s6, 0x700
	v_lshlrev_b32_e32 v32, 2, v0
	s_waitcnt lgkmcnt(0)
	s_lshl_b64 s[24:25], s[10:11], 2
	s_add_u32 s2, s8, s24
	s_addc_u32 s3, s9, s25
	s_add_i32 s7, s1, -1
	s_mul_i32 s8, s7, 0x700
	s_sub_u32 s30, s14, s8
	s_subb_u32 s31, s15, 0
	s_mov_b32 s1, 0
	s_cmp_lg_u32 s6, s7
	s_cselect_b64 s[14:15], -1, 0
	s_lshl_b64 s[26:27], s[0:1], 2
	s_add_u32 s2, s2, s26
	s_addc_u32 s3, s3, s27
	s_mov_b64 s[0:1], -1
	s_and_b64 vcc, exec, s[14:15]
	s_cbranch_vccz .LBB1981_2
; %bb.1:
	v_mov_b32_e32 v1, s3
	v_add_co_u32_e32 v2, vcc, s2, v32
	v_addc_co_u32_e32 v3, vcc, 0, v1, vcc
	flat_load_dword v1, v[2:3]
	flat_load_dword v4, v[2:3] offset:512
	flat_load_dword v5, v[2:3] offset:1024
	;; [unrolled: 1-line block ×7, first 2 shown]
	v_add_co_u32_e32 v2, vcc, 0x1000, v2
	v_addc_co_u32_e32 v3, vcc, 0, v3, vcc
	flat_load_dword v11, v[2:3]
	flat_load_dword v12, v[2:3] offset:512
	flat_load_dword v13, v[2:3] offset:1024
	;; [unrolled: 1-line block ×5, first 2 shown]
	s_mov_b64 s[0:1], 0
	s_waitcnt vmcnt(0) lgkmcnt(0)
	ds_write2st64_b32 v32, v1, v4 offset1:2
	ds_write2st64_b32 v32, v5, v6 offset0:4 offset1:6
	ds_write2st64_b32 v32, v7, v8 offset0:8 offset1:10
	;; [unrolled: 1-line block ×6, first 2 shown]
	s_waitcnt lgkmcnt(0)
	s_barrier
.LBB1981_2:
	s_load_dwordx2 s[28:29], s[4:5], 0x28
	s_andn2_b64 vcc, exec, s[0:1]
	v_cmp_gt_u32_e64 s[0:1], s30, v0
	s_cbranch_vccnz .LBB1981_32
; %bb.3:
	v_pk_mov_b32 v[2:3], s[2:3], s[2:3] op_sel:[0,1]
	flat_load_dword v1, v[2:3]
	s_waitcnt vmcnt(0) lgkmcnt(0)
	v_mov_b32_e32 v2, v1
	v_mov_b32_e32 v3, v1
	;; [unrolled: 1-line block ×12, first 2 shown]
	v_pk_mov_b32 v[16:17], v[14:15], v[14:15] op_sel:[0,1]
	v_pk_mov_b32 v[14:15], v[12:13], v[12:13] op_sel:[0,1]
	;; [unrolled: 1-line block ×8, first 2 shown]
	s_and_saveexec_b64 s[8:9], s[0:1]
	s_cbranch_execz .LBB1981_5
; %bb.4:
	v_mov_b32_e32 v3, s3
	v_add_co_u32_e32 v2, vcc, s2, v32
	v_addc_co_u32_e32 v3, vcc, 0, v3, vcc
	flat_load_dword v18, v[2:3]
	v_mov_b32_e32 v2, v1
	v_mov_b32_e32 v3, v1
	;; [unrolled: 1-line block ×12, first 2 shown]
	v_pk_mov_b32 v[16:17], v[14:15], v[14:15] op_sel:[0,1]
	v_pk_mov_b32 v[14:15], v[12:13], v[12:13] op_sel:[0,1]
	;; [unrolled: 1-line block ×8, first 2 shown]
	s_waitcnt vmcnt(0) lgkmcnt(0)
	v_mov_b32_e32 v1, v18
.LBB1981_5:
	s_or_b64 exec, exec, s[8:9]
	v_or_b32_e32 v2, 0x80, v0
	v_cmp_gt_u32_e32 vcc, s30, v2
	s_and_saveexec_b64 s[0:1], vcc
	s_cbranch_execz .LBB1981_7
; %bb.6:
	v_mov_b32_e32 v3, s3
	v_add_co_u32_e32 v2, vcc, s2, v32
	v_addc_co_u32_e32 v3, vcc, 0, v3, vcc
	flat_load_dword v3, v[2:3] offset:512
.LBB1981_7:
	s_or_b64 exec, exec, s[0:1]
	v_or_b32_e32 v2, 0x100, v0
	v_cmp_gt_u32_e32 vcc, s30, v2
	s_and_saveexec_b64 s[0:1], vcc
	s_cbranch_execz .LBB1981_9
; %bb.8:
	v_mov_b32_e32 v2, s3
	v_add_co_u32_e32 v16, vcc, s2, v32
	v_addc_co_u32_e32 v17, vcc, 0, v2, vcc
	flat_load_dword v4, v[16:17] offset:1024
.LBB1981_9:
	;; [unrolled: 11-line block ×7, first 2 shown]
	s_or_b64 exec, exec, s[0:1]
	v_or_b32_e32 v2, 0x400, v0
	v_cmp_gt_u32_e32 vcc, s30, v2
	s_and_saveexec_b64 s[0:1], vcc
	s_cbranch_execz .LBB1981_21
; %bb.20:
	v_lshlrev_b32_e32 v2, 2, v2
	v_mov_b32_e32 v10, s3
	v_add_co_u32_e32 v16, vcc, s2, v2
	v_addc_co_u32_e32 v17, vcc, 0, v10, vcc
	flat_load_dword v10, v[16:17]
.LBB1981_21:
	s_or_b64 exec, exec, s[0:1]
	v_or_b32_e32 v2, 0x480, v0
	v_cmp_gt_u32_e32 vcc, s30, v2
	s_and_saveexec_b64 s[0:1], vcc
	s_cbranch_execz .LBB1981_23
; %bb.22:
	v_lshlrev_b32_e32 v2, 2, v2
	v_mov_b32_e32 v11, s3
	v_add_co_u32_e32 v16, vcc, s2, v2
	v_addc_co_u32_e32 v17, vcc, 0, v11, vcc
	flat_load_dword v11, v[16:17]
.LBB1981_23:
	;; [unrolled: 12-line block ×6, first 2 shown]
	s_or_b64 exec, exec, s[0:1]
	s_waitcnt vmcnt(0) lgkmcnt(0)
	ds_write2st64_b32 v32, v1, v3 offset1:2
	ds_write2st64_b32 v32, v4, v5 offset0:4 offset1:6
	ds_write2st64_b32 v32, v6, v7 offset0:8 offset1:10
	;; [unrolled: 1-line block ×6, first 2 shown]
	s_waitcnt lgkmcnt(0)
	s_barrier
.LBB1981_32:
	v_mul_u32_u24_e32 v33, 14, v0
	v_lshlrev_b32_e32 v34, 2, v33
	s_waitcnt lgkmcnt(0)
	ds_read2_b64 v[2:5], v34 offset1:1
	ds_read2_b64 v[26:29], v34 offset0:2 offset1:3
	ds_read2_b64 v[22:25], v34 offset0:4 offset1:5
	ds_read_b64 v[30:31], v34 offset:48
	s_cmp_lg_u32 s6, 0
	v_lshrrev_b32_e32 v1, 5, v0
	v_cmp_gt_u32_e32 vcc, 64, v0
	s_waitcnt lgkmcnt(0)
	s_barrier
	s_cbranch_scc0 .LBB1981_61
; %bb.33:
	v_cmp_lt_f32_e64 s[0:1], v2, v3
	v_cndmask_b32_e64 v6, v2, v3, s[0:1]
	v_cmp_lt_f32_e64 s[0:1], v6, v4
	v_cndmask_b32_e64 v6, v6, v4, s[0:1]
	;; [unrolled: 2-line block ×13, first 2 shown]
	v_add_lshl_u32 v6, v1, v0, 2
	ds_write_b32 v6, v16
	s_waitcnt lgkmcnt(0)
	s_barrier
	s_and_saveexec_b64 s[16:17], vcc
	s_cbranch_execz .LBB1981_35
; %bb.34:
	v_lshlrev_b32_e32 v6, 1, v0
	v_lshrrev_b32_e32 v7, 4, v0
	v_add_lshl_u32 v8, v7, v6, 2
	ds_read2_b32 v[6:7], v8 offset1:1
	v_mbcnt_lo_u32_b32 v9, -1, 0
	v_mbcnt_hi_u32_b32 v9, -1, v9
	v_and_b32_e32 v10, 15, v9
	v_cmp_lt_u32_e64 s[10:11], 31, v9
	s_waitcnt lgkmcnt(0)
	v_cmp_lt_f32_e64 s[0:1], v6, v7
	v_cndmask_b32_e64 v7, v6, v7, s[0:1]
	v_cmp_gt_u32_e64 s[8:9], 32, v9
	s_nop 0
	v_mov_b32_dpp v11, v7 row_shr:1 row_mask:0xf bank_mask:0xf
	v_cmp_gt_f32_e64 s[0:1], v7, v11
	v_cndmask_b32_e64 v11, v11, v7, s[0:1]
	v_cmp_eq_u32_e64 s[0:1], 0, v10
	v_cndmask_b32_e64 v7, v11, v7, s[0:1]
	; wave barrier
	s_nop 1
	v_mov_b32_dpp v11, v7 row_shr:2 row_mask:0xf bank_mask:0xf
	v_cmp_gt_f32_e64 s[0:1], v7, v11
	v_cndmask_b32_e64 v11, v11, v7, s[0:1]
	v_cmp_lt_u32_e64 s[0:1], 1, v10
	v_cndmask_b32_e64 v11, v7, v11, s[0:1]
	s_nop 1
	v_mov_b32_dpp v12, v11 row_shr:4 row_mask:0xf bank_mask:0xf
	v_cmp_gt_f32_e64 s[2:3], v11, v12
	v_cndmask_b32_e64 v12, v12, v11, s[2:3]
	v_cmp_lt_u32_e64 s[2:3], 3, v10
	v_cndmask_b32_e64 v11, v11, v12, s[2:3]
	;; [unrolled: 6-line block ×3, first 2 shown]
	v_and_b32_e32 v12, 16, v9
	s_nop 0
	v_mov_b32_dpp v11, v10 row_bcast:15 row_mask:0xf bank_mask:0xf
	v_cmp_gt_f32_e64 s[2:3], v10, v11
	v_cndmask_b32_e64 v11, v11, v10, s[2:3]
	v_cmp_ne_u32_e64 s[2:3], 0, v12
	v_cndmask_b32_e64 v10, v10, v11, s[2:3]
	s_or_b64 s[10:11], s[2:3], s[10:11]
	s_or_b64 s[0:1], s[0:1], s[10:11]
	v_mov_b32_dpp v11, v10 row_bcast:31 row_mask:0xf bank_mask:0xf
	v_cmp_gt_f32_e64 s[2:3], v10, v11
	s_or_b64 s[2:3], s[8:9], s[2:3]
	v_cndmask_b32_e64 v10, v11, v10, s[2:3]
	v_cndmask_b32_e64 v7, v7, v10, s[0:1]
	v_add_u32_e32 v10, -1, v9
	v_and_b32_e32 v11, 64, v9
	v_cmp_lt_i32_e64 s[0:1], v10, v11
	v_cndmask_b32_e64 v9, v10, v9, s[0:1]
	v_lshlrev_b32_e32 v9, 2, v9
	ds_bpermute_b32 v7, v9, v7
	s_waitcnt lgkmcnt(0)
	v_cmp_gt_f32_e64 s[0:1], v6, v7
	v_cndmask_b32_e64 v6, v7, v6, s[0:1]
	v_cmp_eq_u32_e64 s[0:1], 0, v0
	v_cndmask_b32_e64 v6, v6, v16, s[0:1]
	ds_write_b32 v8, v6
	; wave barrier
	ds_read_b32 v7, v8 offset:4
	s_waitcnt lgkmcnt(0)
	v_cmp_lt_f32_e64 s[0:1], v6, v7
	v_cndmask_b32_e64 v6, v6, v7, s[0:1]
	ds_write_b32 v8, v6 offset:4
.LBB1981_35:
	s_or_b64 exec, exec, s[16:17]
	v_cmp_eq_u32_e64 s[0:1], 0, v0
	v_cmp_ne_u32_e64 s[2:3], 0, v0
	s_waitcnt lgkmcnt(0)
	s_barrier
	s_and_saveexec_b64 s[8:9], s[2:3]
	s_cbranch_execz .LBB1981_37
; %bb.36:
	v_add_u32_e32 v6, -1, v0
	v_lshrrev_b32_e32 v7, 5, v6
	v_add_lshl_u32 v6, v7, v6, 2
	ds_read_b32 v16, v6
.LBB1981_37:
	s_or_b64 exec, exec, s[8:9]
	s_and_saveexec_b64 s[16:17], vcc
	s_cbranch_execz .LBB1981_60
; %bb.38:
	v_mov_b32_e32 v15, 0
	ds_read_b32 v6, v15 offset:520
	v_mbcnt_lo_u32_b32 v7, -1, 0
	v_mbcnt_hi_u32_b32 v9, -1, v7
	s_mov_b32 s11, 0
	v_cmp_eq_u32_e64 s[2:3], 0, v9
	s_and_saveexec_b64 s[8:9], s[2:3]
	s_cbranch_execz .LBB1981_40
; %bb.39:
	s_add_i32 s10, s6, 64
	s_lshl_b64 s[10:11], s[10:11], 3
	s_add_u32 s10, s28, s10
	v_mov_b32_e32 v7, 1
	s_addc_u32 s11, s29, s11
	s_waitcnt lgkmcnt(0)
	global_store_dwordx2 v15, v[6:7], s[10:11]
.LBB1981_40:
	s_or_b64 exec, exec, s[8:9]
	v_xad_u32 v8, v9, -1, s6
	v_add_u32_e32 v14, 64, v8
	v_lshlrev_b64 v[10:11], 3, v[14:15]
	v_mov_b32_e32 v7, s29
	v_add_co_u32_e32 v10, vcc, s28, v10
	v_addc_co_u32_e32 v11, vcc, v7, v11, vcc
	global_load_dwordx2 v[12:13], v[10:11], off glc
	s_waitcnt vmcnt(0)
	v_cmp_eq_u16_sdwa s[10:11], v13, v15 src0_sel:BYTE_0 src1_sel:DWORD
	s_and_saveexec_b64 s[8:9], s[10:11]
	s_cbranch_execz .LBB1981_46
; %bb.41:
	s_mov_b32 s7, 1
	s_mov_b64 s[10:11], 0
	v_mov_b32_e32 v7, 0
.LBB1981_42:                            ; =>This Loop Header: Depth=1
                                        ;     Child Loop BB1981_43 Depth 2
	s_max_u32 s18, s7, 1
.LBB1981_43:                            ;   Parent Loop BB1981_42 Depth=1
                                        ; =>  This Inner Loop Header: Depth=2
	s_add_i32 s18, s18, -1
	s_cmp_eq_u32 s18, 0
	s_sleep 1
	s_cbranch_scc0 .LBB1981_43
; %bb.44:                               ;   in Loop: Header=BB1981_42 Depth=1
	global_load_dwordx2 v[12:13], v[10:11], off glc
	s_cmp_lt_u32 s7, 32
	s_cselect_b64 s[18:19], -1, 0
	s_cmp_lg_u64 s[18:19], 0
	s_addc_u32 s7, s7, 0
	s_waitcnt vmcnt(0)
	v_cmp_ne_u16_sdwa s[18:19], v13, v7 src0_sel:BYTE_0 src1_sel:DWORD
	s_or_b64 s[10:11], s[18:19], s[10:11]
	s_andn2_b64 exec, exec, s[10:11]
	s_cbranch_execnz .LBB1981_42
; %bb.45:
	s_or_b64 exec, exec, s[10:11]
.LBB1981_46:
	s_or_b64 exec, exec, s[8:9]
	v_and_b32_e32 v17, 63, v9
	v_cmp_ne_u32_e32 vcc, 63, v17
	v_addc_co_u32_e32 v18, vcc, 0, v9, vcc
	v_lshlrev_b32_e32 v18, 2, v18
	v_mov_b32_e32 v7, 2
	ds_bpermute_b32 v19, v18, v12
	v_cmp_eq_u16_sdwa s[8:9], v13, v7 src0_sel:BYTE_0 src1_sel:DWORD
	v_lshlrev_b64 v[10:11], v9, -1
	v_and_b32_e32 v14, s9, v11
	v_or_b32_e32 v14, 0x80000000, v14
	v_and_b32_e32 v15, s8, v10
	v_ffbl_b32_e32 v14, v14
	v_add_u32_e32 v14, 32, v14
	v_ffbl_b32_e32 v15, v15
	s_waitcnt lgkmcnt(0)
	v_cmp_lt_f32_e32 vcc, v19, v12
	v_cmp_gt_u32_e64 s[8:9], 62, v17
	v_min_u32_e32 v14, v15, v14
	v_cndmask_b32_e32 v15, v19, v12, vcc
	v_cndmask_b32_e64 v19, 0, 1, s[8:9]
	v_cmp_lt_u32_e32 vcc, v17, v14
	v_lshlrev_b32_e32 v19, 1, v19
	v_cndmask_b32_e32 v15, v12, v15, vcc
	v_add_lshl_u32 v19, v19, v9, 2
	ds_bpermute_b32 v21, v19, v15
	v_add_u32_e32 v20, 2, v17
	v_add_u32_e32 v35, 4, v17
	;; [unrolled: 1-line block ×4, first 2 shown]
	s_waitcnt lgkmcnt(0)
	v_cmp_gt_f32_e64 s[8:9], v15, v21
	v_cndmask_b32_e64 v21, v21, v15, s[8:9]
	v_cmp_gt_u32_e64 s[8:9], v20, v14
	v_cndmask_b32_e64 v15, v21, v15, s[8:9]
	v_cmp_gt_u32_e64 s[8:9], 60, v17
	v_cndmask_b32_e64 v21, 0, 1, s[8:9]
	v_lshlrev_b32_e32 v21, 2, v21
	v_add_lshl_u32 v21, v21, v9, 2
	ds_bpermute_b32 v36, v21, v15
	v_add_u32_e32 v42, 32, v17
	s_waitcnt lgkmcnt(0)
	v_cmp_gt_f32_e64 s[8:9], v15, v36
	v_cndmask_b32_e64 v36, v36, v15, s[8:9]
	v_cmp_gt_u32_e64 s[8:9], v35, v14
	v_cndmask_b32_e64 v15, v36, v15, s[8:9]
	v_cmp_gt_u32_e64 s[8:9], 56, v17
	v_cndmask_b32_e64 v36, 0, 1, s[8:9]
	v_lshlrev_b32_e32 v36, 3, v36
	v_add_lshl_u32 v36, v36, v9, 2
	ds_bpermute_b32 v38, v36, v15
	s_waitcnt lgkmcnt(0)
	v_cmp_gt_f32_e64 s[8:9], v15, v38
	v_cndmask_b32_e64 v38, v38, v15, s[8:9]
	v_cmp_gt_u32_e64 s[8:9], v37, v14
	v_cndmask_b32_e64 v15, v38, v15, s[8:9]
	v_cmp_gt_u32_e64 s[8:9], 48, v17
	v_cndmask_b32_e64 v38, 0, 1, s[8:9]
	v_lshlrev_b32_e32 v38, 4, v38
	v_add_lshl_u32 v38, v38, v9, 2
	ds_bpermute_b32 v39, v38, v15
	;; [unrolled: 10-line block ×3, first 2 shown]
	v_cmp_gt_u32_e64 s[8:9], v42, v14
	s_waitcnt lgkmcnt(0)
	v_cmp_gt_f32_e64 s[10:11], v15, v9
	s_or_b64 s[8:9], s[8:9], s[10:11]
	v_cndmask_b32_e64 v9, v9, v15, s[8:9]
	v_cndmask_b32_e32 v12, v12, v9, vcc
	v_mov_b32_e32 v9, 0
	s_branch .LBB1981_48
.LBB1981_47:                            ;   in Loop: Header=BB1981_48 Depth=1
	s_or_b64 exec, exec, s[8:9]
	v_cmp_eq_u16_sdwa s[8:9], v13, v7 src0_sel:BYTE_0 src1_sel:DWORD
	ds_bpermute_b32 v43, v18, v12
	v_and_b32_e32 v14, s9, v11
	v_or_b32_e32 v14, 0x80000000, v14
	v_and_b32_e32 v15, s8, v10
	v_ffbl_b32_e32 v14, v14
	v_add_u32_e32 v14, 32, v14
	v_ffbl_b32_e32 v15, v15
	v_min_u32_e32 v14, v15, v14
	s_waitcnt lgkmcnt(0)
	v_cmp_lt_f32_e32 vcc, v43, v12
	v_cndmask_b32_e32 v15, v43, v12, vcc
	v_cmp_lt_u32_e32 vcc, v17, v14
	v_cndmask_b32_e32 v15, v12, v15, vcc
	ds_bpermute_b32 v43, v19, v15
	v_subrev_u32_e32 v8, 64, v8
	s_waitcnt lgkmcnt(0)
	v_cmp_gt_f32_e64 s[8:9], v15, v43
	v_cndmask_b32_e64 v43, v43, v15, s[8:9]
	v_cmp_gt_u32_e64 s[8:9], v20, v14
	v_cndmask_b32_e64 v15, v43, v15, s[8:9]
	ds_bpermute_b32 v43, v21, v15
	s_waitcnt lgkmcnt(0)
	v_cmp_gt_f32_e64 s[8:9], v15, v43
	v_cndmask_b32_e64 v43, v43, v15, s[8:9]
	v_cmp_gt_u32_e64 s[8:9], v35, v14
	v_cndmask_b32_e64 v15, v43, v15, s[8:9]
	ds_bpermute_b32 v43, v36, v15
	;; [unrolled: 6-line block ×4, first 2 shown]
	v_cmp_gt_u32_e64 s[8:9], v42, v14
	s_waitcnt lgkmcnt(0)
	v_cmp_gt_f32_e64 s[10:11], v15, v43
	s_or_b64 s[8:9], s[8:9], s[10:11]
	v_cndmask_b32_e64 v14, v43, v15, s[8:9]
	v_cndmask_b32_e32 v12, v12, v14, vcc
	v_cmp_lt_f32_e32 vcc, v12, v39
	v_cndmask_b32_e32 v12, v12, v39, vcc
.LBB1981_48:                            ; =>This Loop Header: Depth=1
                                        ;     Child Loop BB1981_51 Depth 2
                                        ;       Child Loop BB1981_52 Depth 3
	v_cmp_ne_u16_sdwa s[8:9], v13, v7 src0_sel:BYTE_0 src1_sel:DWORD
	v_cndmask_b32_e64 v13, 0, 1, s[8:9]
	;;#ASMSTART
	;;#ASMEND
	v_cmp_ne_u32_e32 vcc, 0, v13
	s_cmp_lg_u64 vcc, exec
	v_mov_b32_e32 v39, v12
	s_cbranch_scc1 .LBB1981_55
; %bb.49:                               ;   in Loop: Header=BB1981_48 Depth=1
	v_lshlrev_b64 v[12:13], 3, v[8:9]
	v_mov_b32_e32 v15, s29
	v_add_co_u32_e32 v14, vcc, s28, v12
	v_addc_co_u32_e32 v15, vcc, v15, v13, vcc
	global_load_dwordx2 v[12:13], v[14:15], off glc
	s_waitcnt vmcnt(0)
	v_cmp_eq_u16_sdwa s[10:11], v13, v9 src0_sel:BYTE_0 src1_sel:DWORD
	s_and_saveexec_b64 s[8:9], s[10:11]
	s_cbranch_execz .LBB1981_47
; %bb.50:                               ;   in Loop: Header=BB1981_48 Depth=1
	s_mov_b32 s7, 1
	s_mov_b64 s[10:11], 0
.LBB1981_51:                            ;   Parent Loop BB1981_48 Depth=1
                                        ; =>  This Loop Header: Depth=2
                                        ;       Child Loop BB1981_52 Depth 3
	s_max_u32 s18, s7, 1
.LBB1981_52:                            ;   Parent Loop BB1981_48 Depth=1
                                        ;     Parent Loop BB1981_51 Depth=2
                                        ; =>    This Inner Loop Header: Depth=3
	s_add_i32 s18, s18, -1
	s_cmp_eq_u32 s18, 0
	s_sleep 1
	s_cbranch_scc0 .LBB1981_52
; %bb.53:                               ;   in Loop: Header=BB1981_51 Depth=2
	global_load_dwordx2 v[12:13], v[14:15], off glc
	s_cmp_lt_u32 s7, 32
	s_cselect_b64 s[18:19], -1, 0
	s_cmp_lg_u64 s[18:19], 0
	s_addc_u32 s7, s7, 0
	s_waitcnt vmcnt(0)
	v_cmp_ne_u16_sdwa s[18:19], v13, v9 src0_sel:BYTE_0 src1_sel:DWORD
	s_or_b64 s[10:11], s[18:19], s[10:11]
	s_andn2_b64 exec, exec, s[10:11]
	s_cbranch_execnz .LBB1981_51
; %bb.54:                               ;   in Loop: Header=BB1981_48 Depth=1
	s_or_b64 exec, exec, s[10:11]
	s_branch .LBB1981_47
.LBB1981_55:                            ;   in Loop: Header=BB1981_48 Depth=1
                                        ; implicit-def: $vgpr12
                                        ; implicit-def: $vgpr13
	s_cbranch_execz .LBB1981_48
; %bb.56:
	s_and_saveexec_b64 s[8:9], s[2:3]
	s_cbranch_execz .LBB1981_58
; %bb.57:
	s_add_i32 s2, s6, 64
	s_mov_b32 s3, 0
	s_lshl_b64 s[2:3], s[2:3], 3
	v_cmp_lt_f32_e32 vcc, v39, v6
	s_add_u32 s2, s28, s2
	v_cndmask_b32_e32 v6, v39, v6, vcc
	v_mov_b32_e32 v7, 2
	s_addc_u32 s3, s29, s3
	v_mov_b32_e32 v8, 0
	global_store_dwordx2 v8, v[6:7], s[2:3]
.LBB1981_58:
	s_or_b64 exec, exec, s[8:9]
	s_and_b64 exec, exec, s[0:1]
	s_cbranch_execz .LBB1981_60
; %bb.59:
	v_mov_b32_e32 v6, 0
	ds_write_b32 v6, v39
.LBB1981_60:
	s_or_b64 exec, exec, s[16:17]
	v_mov_b32_e32 v6, 0
	s_waitcnt lgkmcnt(0)
	s_barrier
	ds_read_b32 v6, v6
	v_cmp_lt_f32_e32 vcc, v16, v2
	s_or_b64 vcc, s[0:1], vcc
	v_cndmask_b32_e32 v7, v16, v2, vcc
	s_waitcnt lgkmcnt(0)
	v_cmp_lt_f32_e32 vcc, v6, v7
	v_cndmask_b32_e32 v6, v6, v7, vcc
	v_cmp_lt_f32_e32 vcc, v6, v3
	v_cndmask_b32_e32 v7, v6, v3, vcc
	;; [unrolled: 2-line block ×14, first 2 shown]
	s_load_dwordx8 s[16:23], s[4:5], 0x38
	s_branch .LBB1981_73
.LBB1981_61:
                                        ; implicit-def: $vgpr6_vgpr7_vgpr8_vgpr9_vgpr10_vgpr11_vgpr12_vgpr13_vgpr14_vgpr15_vgpr16_vgpr17_vgpr18_vgpr19_vgpr20_vgpr21
	s_load_dwordx8 s[16:23], s[4:5], 0x38
	s_cbranch_execz .LBB1981_73
; %bb.62:
	s_waitcnt lgkmcnt(0)
	s_cmp_lg_u64 s[20:21], 0
	s_cselect_b64 s[2:3], -1, 0
	v_cmp_eq_u32_e64 s[0:1], 0, v0
	v_cmp_ne_u32_e32 vcc, 0, v0
	s_and_b64 s[2:3], s[0:1], s[2:3]
	s_and_saveexec_b64 s[4:5], s[2:3]
	s_cbranch_execz .LBB1981_64
; %bb.63:
	v_mov_b32_e32 v6, 0
	global_load_dword v6, v6, s[16:17]
	s_waitcnt vmcnt(0)
	v_cmp_lt_f32_e64 s[2:3], v6, v2
	v_cndmask_b32_e64 v2, v6, v2, s[2:3]
.LBB1981_64:
	s_or_b64 exec, exec, s[4:5]
	v_cmp_lt_f32_e64 s[2:3], v2, v3
	v_cndmask_b32_e64 v6, v2, v3, s[2:3]
	v_cmp_lt_f32_e64 s[2:3], v6, v4
	v_cndmask_b32_e64 v6, v6, v4, s[2:3]
	;; [unrolled: 2-line block ×13, first 2 shown]
	v_add_lshl_u32 v1, v1, v0, 2
	v_cmp_gt_u32_e64 s[2:3], 64, v0
	ds_write_b32 v1, v6
	s_waitcnt lgkmcnt(0)
	s_barrier
	s_and_saveexec_b64 s[10:11], s[2:3]
	s_cbranch_execz .LBB1981_66
; %bb.65:
	v_lshlrev_b32_e32 v1, 1, v0
	v_lshrrev_b32_e32 v7, 4, v0
	v_add_lshl_u32 v1, v7, v1, 2
	ds_read2_b32 v[8:9], v1 offset1:1
	v_mbcnt_lo_u32_b32 v7, -1, 0
	v_mbcnt_hi_u32_b32 v7, -1, v7
	v_and_b32_e32 v10, 15, v7
	v_cmp_lt_u32_e64 s[8:9], 31, v7
	s_waitcnt lgkmcnt(0)
	v_cmp_lt_f32_e64 s[2:3], v8, v9
	v_cndmask_b32_e64 v9, v8, v9, s[2:3]
	v_cmp_gt_u32_e64 s[6:7], 32, v7
	s_nop 0
	v_mov_b32_dpp v11, v9 row_shr:1 row_mask:0xf bank_mask:0xf
	v_cmp_gt_f32_e64 s[2:3], v9, v11
	v_cndmask_b32_e64 v11, v11, v9, s[2:3]
	v_cmp_eq_u32_e64 s[2:3], 0, v10
	v_cndmask_b32_e64 v9, v11, v9, s[2:3]
	; wave barrier
	s_nop 1
	v_mov_b32_dpp v11, v9 row_shr:2 row_mask:0xf bank_mask:0xf
	v_cmp_gt_f32_e64 s[2:3], v9, v11
	v_cndmask_b32_e64 v11, v11, v9, s[2:3]
	v_cmp_lt_u32_e64 s[2:3], 1, v10
	v_cndmask_b32_e64 v11, v9, v11, s[2:3]
	s_nop 1
	v_mov_b32_dpp v12, v11 row_shr:4 row_mask:0xf bank_mask:0xf
	v_cmp_gt_f32_e64 s[4:5], v11, v12
	v_cndmask_b32_e64 v12, v12, v11, s[4:5]
	v_cmp_lt_u32_e64 s[4:5], 3, v10
	v_cndmask_b32_e64 v11, v11, v12, s[4:5]
	;; [unrolled: 6-line block ×3, first 2 shown]
	v_and_b32_e32 v12, 16, v7
	s_nop 0
	v_mov_b32_dpp v11, v10 row_bcast:15 row_mask:0xf bank_mask:0xf
	v_cmp_gt_f32_e64 s[4:5], v10, v11
	v_cndmask_b32_e64 v11, v11, v10, s[4:5]
	v_cmp_ne_u32_e64 s[4:5], 0, v12
	v_cndmask_b32_e64 v10, v10, v11, s[4:5]
	s_or_b64 s[8:9], s[4:5], s[8:9]
	s_or_b64 s[2:3], s[2:3], s[8:9]
	v_mov_b32_dpp v11, v10 row_bcast:31 row_mask:0xf bank_mask:0xf
	v_cmp_gt_f32_e64 s[4:5], v10, v11
	s_or_b64 s[4:5], s[6:7], s[4:5]
	v_cndmask_b32_e64 v10, v11, v10, s[4:5]
	v_cndmask_b32_e64 v9, v9, v10, s[2:3]
	v_add_u32_e32 v10, -1, v7
	v_and_b32_e32 v11, 64, v7
	v_cmp_lt_i32_e64 s[2:3], v10, v11
	v_cndmask_b32_e64 v7, v10, v7, s[2:3]
	v_lshlrev_b32_e32 v7, 2, v7
	ds_bpermute_b32 v7, v7, v9
	s_waitcnt lgkmcnt(0)
	v_cmp_gt_f32_e64 s[2:3], v8, v7
	v_cndmask_b32_e64 v7, v7, v8, s[2:3]
	v_cndmask_b32_e64 v7, v7, v6, s[0:1]
	ds_write_b32 v1, v7
	; wave barrier
	ds_read_b32 v8, v1 offset:4
	s_waitcnt lgkmcnt(0)
	v_cmp_lt_f32_e64 s[0:1], v7, v8
	v_cndmask_b32_e64 v7, v7, v8, s[0:1]
	ds_write_b32 v1, v7 offset:4
.LBB1981_66:
	s_or_b64 exec, exec, s[10:11]
	s_waitcnt lgkmcnt(0)
	s_barrier
	s_and_saveexec_b64 s[0:1], vcc
	s_cbranch_execz .LBB1981_68
; %bb.67:
	v_add_u32_e32 v1, -1, v0
	v_lshrrev_b32_e32 v6, 5, v1
	v_add_lshl_u32 v1, v6, v1, 2
	ds_read_b32 v6, v1
.LBB1981_68:
	s_or_b64 exec, exec, s[0:1]
	s_and_saveexec_b64 s[0:1], vcc
	s_cbranch_execz .LBB1981_70
; %bb.69:
	s_waitcnt lgkmcnt(0)
	v_cmp_gt_f32_e32 vcc, v2, v6
	v_cndmask_b32_e32 v2, v6, v2, vcc
	;;#ASMSTART
	;;#ASMEND
.LBB1981_70:
	s_or_b64 exec, exec, s[0:1]
	v_cmp_gt_f32_e32 vcc, v3, v2
	v_cndmask_b32_e32 v3, v2, v3, vcc
	v_cmp_lt_f32_e32 vcc, v3, v4
	v_cndmask_b32_e32 v4, v3, v4, vcc
	v_cmp_lt_f32_e32 vcc, v4, v5
	;; [unrolled: 2-line block ×3, first 2 shown]
	s_waitcnt lgkmcnt(0)
	v_cndmask_b32_e32 v6, v5, v26, vcc
	v_cmp_lt_f32_e32 vcc, v6, v27
	v_cndmask_b32_e32 v7, v6, v27, vcc
	v_cmp_lt_f32_e32 vcc, v7, v28
	;; [unrolled: 2-line block ×9, first 2 shown]
	s_movk_i32 s0, 0x7f
	v_cndmask_b32_e32 v15, v14, v31, vcc
	v_cmp_eq_u32_e32 vcc, s0, v0
	s_and_saveexec_b64 s[0:1], vcc
	s_cbranch_execz .LBB1981_72
; %bb.71:
	v_mov_b32_e32 v1, 0
	v_mov_b32_e32 v17, 2
	;; [unrolled: 1-line block ×3, first 2 shown]
	global_store_dwordx2 v1, v[16:17], s[28:29] offset:512
.LBB1981_72:
	s_or_b64 exec, exec, s[0:1]
	v_pk_mov_b32 v[20:21], v[16:17], v[16:17] op_sel:[0,1]
	v_pk_mov_b32 v[18:19], v[14:15], v[14:15] op_sel:[0,1]
	;; [unrolled: 1-line block ×8, first 2 shown]
.LBB1981_73:
	s_add_u32 s0, s12, s24
	s_addc_u32 s1, s13, s25
	s_add_u32 s2, s0, s26
	s_addc_u32 s3, s1, s27
	s_mov_b64 s[0:1], -1
	s_and_b64 vcc, exec, s[14:15]
	s_waitcnt lgkmcnt(0)
	s_barrier
	s_cbranch_vccz .LBB1981_75
; %bb.74:
	ds_write2_b64 v34, v[6:7], v[8:9] offset1:1
	ds_write2_b64 v34, v[10:11], v[12:13] offset0:2 offset1:3
	ds_write2_b64 v34, v[14:15], v[16:17] offset0:4 offset1:5
	ds_write_b64 v34, v[18:19] offset:48
	s_waitcnt lgkmcnt(0)
	s_barrier
	ds_read2st64_b32 v[2:3], v32 offset1:2
	ds_read2st64_b32 v[4:5], v32 offset0:4 offset1:6
	ds_read2st64_b32 v[20:21], v32 offset0:8 offset1:10
	ds_read2st64_b32 v[22:23], v32 offset0:12 offset1:14
	ds_read2st64_b32 v[24:25], v32 offset0:16 offset1:18
	ds_read2st64_b32 v[26:27], v32 offset0:20 offset1:22
	ds_read2st64_b32 v[28:29], v32 offset0:24 offset1:26
	v_mov_b32_e32 v1, s3
	v_add_co_u32_e32 v30, vcc, s2, v32
	v_addc_co_u32_e32 v31, vcc, 0, v1, vcc
	s_waitcnt lgkmcnt(6)
	flat_store_dword v[30:31], v2
	flat_store_dword v[30:31], v3 offset:512
	s_waitcnt lgkmcnt(0)
	flat_store_dword v[30:31], v4 offset:1024
	flat_store_dword v[30:31], v5 offset:1536
	;; [unrolled: 1-line block ×6, first 2 shown]
	v_add_co_u32_e32 v2, vcc, 0x1000, v30
	v_addc_co_u32_e32 v3, vcc, 0, v31, vcc
	flat_store_dword v[2:3], v24
	flat_store_dword v[2:3], v25 offset:512
	flat_store_dword v[2:3], v26 offset:1024
	;; [unrolled: 1-line block ×5, first 2 shown]
	s_mov_b64 s[0:1], 0
.LBB1981_75:
	s_andn2_b64 vcc, exec, s[0:1]
	s_cbranch_vccnz .LBB1981_155
; %bb.76:
	s_movk_i32 s0, 0xffcc
	ds_write2_b64 v34, v[6:7], v[8:9] offset1:1
	ds_write2_b64 v34, v[10:11], v[12:13] offset0:2 offset1:3
	ds_write2_b64 v34, v[14:15], v[16:17] offset0:4 offset1:5
	ds_write_b64 v34, v[18:19] offset:48
	v_mad_i32_i24 v14, v0, s0, v34
	s_waitcnt lgkmcnt(0)
	s_barrier
	ds_read2st64_b32 v[4:5], v14 offset1:2
	ds_read2st64_b32 v[6:7], v14 offset0:4 offset1:6
	ds_read2st64_b32 v[8:9], v14 offset0:8 offset1:10
	;; [unrolled: 1-line block ×6, first 2 shown]
	v_mov_b32_e32 v17, s3
	v_add_co_u32_e32 v16, vcc, s2, v32
	v_addc_co_u32_e32 v17, vcc, 0, v17, vcc
	v_mov_b32_e32 v1, 0
	v_cmp_gt_u32_e32 vcc, s30, v0
	s_and_saveexec_b64 s[0:1], vcc
	s_cbranch_execz .LBB1981_78
; %bb.77:
	s_waitcnt lgkmcnt(0)
	flat_store_dword v[16:17], v4
.LBB1981_78:
	s_or_b64 exec, exec, s[0:1]
	v_or_b32_e32 v18, 0x80, v0
	v_cmp_gt_u32_e32 vcc, s30, v18
	s_and_saveexec_b64 s[0:1], vcc
	s_cbranch_execz .LBB1981_80
; %bb.79:
	s_waitcnt lgkmcnt(0)
	flat_store_dword v[16:17], v5 offset:512
.LBB1981_80:
	s_or_b64 exec, exec, s[0:1]
	v_or_b32_e32 v18, 0x100, v0
	v_cmp_gt_u32_e32 vcc, s30, v18
	s_and_saveexec_b64 s[0:1], vcc
	s_cbranch_execz .LBB1981_82
; %bb.81:
	s_waitcnt lgkmcnt(0)
	flat_store_dword v[16:17], v6 offset:1024
.LBB1981_82:
	;; [unrolled: 9-line block ×7, first 2 shown]
	s_or_b64 exec, exec, s[0:1]
	v_or_b32_e32 v18, 0x400, v0
	v_cmp_gt_u32_e32 vcc, s30, v18
	s_and_saveexec_b64 s[0:1], vcc
	s_cbranch_execz .LBB1981_94
; %bb.93:
	v_add_co_u32_e32 v18, vcc, 0x1000, v16
	v_addc_co_u32_e32 v19, vcc, 0, v17, vcc
	s_waitcnt lgkmcnt(0)
	flat_store_dword v[18:19], v12
.LBB1981_94:
	s_or_b64 exec, exec, s[0:1]
	v_or_b32_e32 v18, 0x480, v0
	v_cmp_gt_u32_e32 vcc, s30, v18
	s_and_saveexec_b64 s[0:1], vcc
	s_cbranch_execz .LBB1981_96
; %bb.95:
	v_add_co_u32_e32 v18, vcc, 0x1000, v16
	v_addc_co_u32_e32 v19, vcc, 0, v17, vcc
	s_waitcnt lgkmcnt(0)
	flat_store_dword v[18:19], v13 offset:512
.LBB1981_96:
	s_or_b64 exec, exec, s[0:1]
	v_or_b32_e32 v18, 0x500, v0
	v_cmp_gt_u32_e32 vcc, s30, v18
	s_and_saveexec_b64 s[0:1], vcc
	s_cbranch_execz .LBB1981_98
; %bb.97:
	v_add_co_u32_e32 v18, vcc, 0x1000, v16
	v_addc_co_u32_e32 v19, vcc, 0, v17, vcc
	s_waitcnt lgkmcnt(0)
	flat_store_dword v[18:19], v10 offset:1024
.LBB1981_98:
	;; [unrolled: 11-line block ×5, first 2 shown]
	s_or_b64 exec, exec, s[0:1]
	v_cmp_lt_u64_e64 s[0:1], s[22:23], 2
	s_and_b64 vcc, exec, s[0:1]
	s_cbranch_vccnz .LBB1981_155
; %bb.105:
	s_add_u32 s0, s30, -1
	s_addc_u32 s1, s31, -1
	s_add_u32 s2, 0, 0x49240800
	s_addc_u32 s3, 0, 50
	s_add_i32 s3, s3, 0x12492460
	s_mul_hi_u32 s7, s2, -14
	s_sub_i32 s7, s7, s2
	s_mul_i32 s8, s3, -14
	s_mul_i32 s4, s2, -14
	s_add_i32 s7, s7, s8
	s_mul_hi_u32 s5, s3, s4
	s_mul_i32 s6, s3, s4
	s_mul_i32 s9, s2, s7
	s_mul_hi_u32 s4, s2, s4
	s_mul_hi_u32 s8, s2, s7
	s_add_u32 s4, s4, s9
	s_addc_u32 s8, 0, s8
	s_add_u32 s4, s4, s6
	s_mul_hi_u32 s9, s3, s7
	s_addc_u32 s4, s8, s5
	s_addc_u32 s5, s9, 0
	s_mul_i32 s6, s3, s7
	s_add_u32 s4, s4, s6
	v_mov_b32_e32 v16, s4
	s_addc_u32 s5, 0, s5
	v_add_co_u32_e32 v16, vcc, s2, v16
	s_cmp_lg_u64 vcc, 0
	s_addc_u32 s2, s3, s5
	v_readfirstlane_b32 s5, v16
	s_mul_i32 s4, s0, s2
	s_mul_hi_u32 s6, s0, s5
	s_mul_hi_u32 s3, s0, s2
	s_add_u32 s4, s6, s4
	s_addc_u32 s3, 0, s3
	s_mul_hi_u32 s7, s1, s5
	s_mul_i32 s5, s1, s5
	s_add_u32 s4, s4, s5
	s_mul_hi_u32 s6, s1, s2
	s_addc_u32 s3, s3, s7
	s_addc_u32 s4, s6, 0
	s_mul_i32 s2, s1, s2
	s_add_u32 s2, s3, s2
	s_addc_u32 s3, 0, s4
	s_add_u32 s4, s2, 1
	s_addc_u32 s5, s3, 0
	s_add_u32 s6, s2, 2
	s_mul_i32 s8, s3, 14
	s_mul_hi_u32 s9, s2, 14
	s_addc_u32 s7, s3, 0
	s_add_i32 s9, s9, s8
	s_mul_i32 s8, s2, 14
	v_mov_b32_e32 v16, s8
	v_sub_co_u32_e32 v16, vcc, s0, v16
	s_cmp_lg_u64 vcc, 0
	s_subb_u32 s8, s1, s9
	v_subrev_co_u32_e32 v17, vcc, 14, v16
	s_cmp_lg_u64 vcc, 0
	s_subb_u32 s9, s8, 0
	v_readfirstlane_b32 s10, v17
	s_cmp_gt_u32 s10, 13
	s_cselect_b32 s10, -1, 0
	s_cmp_eq_u32 s9, 0
	s_cselect_b32 s9, s10, -1
	s_cmp_lg_u32 s9, 0
	s_cselect_b32 s4, s6, s4
	v_readfirstlane_b32 s6, v16
	s_cselect_b32 s5, s7, s5
	s_cmp_gt_u32 s6, 13
	s_cselect_b32 s6, -1, 0
	s_cmp_eq_u32 s8, 0
	s_cselect_b32 s6, s6, -1
	s_cmp_lg_u32 s6, 0
	s_cselect_b32 s3, s5, s3
	s_cselect_b32 s2, s4, s2
	v_cmp_eq_u64_e32 vcc, s[2:3], v[0:1]
	s_and_saveexec_b64 s[2:3], vcc
	s_cbranch_execz .LBB1981_155
; %bb.106:
	v_mul_hi_u32_u24_e32 v1, 14, v0
	v_mov_b32_e32 v16, s1
	v_sub_co_u32_e32 v0, vcc, s0, v33
	v_subb_co_u32_e32 v1, vcc, v16, v1, vcc
	v_cmp_lt_i64_e32 vcc, 6, v[0:1]
	s_and_saveexec_b64 s[0:1], vcc
	s_xor_b64 s[0:1], exec, s[0:1]
	s_cbranch_execz .LBB1981_132
; %bb.107:
	v_cmp_lt_i64_e32 vcc, 9, v[0:1]
	s_and_saveexec_b64 s[2:3], vcc
	s_xor_b64 s[2:3], exec, s[2:3]
	s_cbranch_execz .LBB1981_121
; %bb.108:
	;; [unrolled: 5-line block ×4, first 2 shown]
	v_mov_b32_e32 v0, 0
	s_waitcnt lgkmcnt(0)
	global_store_dword v0, v15, s[18:19]
                                        ; implicit-def: $vgpr14_vgpr15
.LBB1981_111:
	s_andn2_saveexec_b64 s[6:7], s[6:7]
	s_cbranch_execz .LBB1981_113
; %bb.112:
	v_mov_b32_e32 v0, 0
	s_waitcnt lgkmcnt(0)
	global_store_dword v0, v14, s[18:19]
.LBB1981_113:
	s_or_b64 exec, exec, s[6:7]
                                        ; implicit-def: $vgpr10_vgpr11
                                        ; implicit-def: $vgpr0_vgpr1
.LBB1981_114:
	s_andn2_saveexec_b64 s[4:5], s[4:5]
	s_cbranch_execz .LBB1981_120
; %bb.115:
	v_cmp_lt_i64_e32 vcc, 10, v[0:1]
	s_and_saveexec_b64 s[6:7], vcc
	s_xor_b64 s[6:7], exec, s[6:7]
	s_cbranch_execz .LBB1981_117
; %bb.116:
	v_mov_b32_e32 v0, 0
	s_waitcnt lgkmcnt(0)
	global_store_dword v0, v11, s[18:19]
                                        ; implicit-def: $vgpr10_vgpr11
.LBB1981_117:
	s_andn2_saveexec_b64 s[6:7], s[6:7]
	s_cbranch_execz .LBB1981_119
; %bb.118:
	v_mov_b32_e32 v0, 0
	s_waitcnt lgkmcnt(0)
	global_store_dword v0, v10, s[18:19]
.LBB1981_119:
	s_or_b64 exec, exec, s[6:7]
.LBB1981_120:
	s_or_b64 exec, exec, s[4:5]
                                        ; implicit-def: $vgpr2_vgpr3
                                        ; implicit-def: $vgpr0_vgpr1
                                        ; implicit-def: $vgpr12_vgpr13
.LBB1981_121:
	s_andn2_saveexec_b64 s[2:3], s[2:3]
	s_cbranch_execz .LBB1981_131
; %bb.122:
	v_cmp_lt_i64_e32 vcc, 7, v[0:1]
	s_and_saveexec_b64 s[4:5], vcc
	s_xor_b64 s[4:5], exec, s[4:5]
	s_cbranch_execz .LBB1981_128
; %bb.123:
	v_cmp_lt_i64_e32 vcc, 8, v[0:1]
	s_and_saveexec_b64 s[6:7], vcc
	s_xor_b64 s[6:7], exec, s[6:7]
	s_cbranch_execz .LBB1981_125
; %bb.124:
	v_mov_b32_e32 v0, 0
	s_waitcnt lgkmcnt(0)
	global_store_dword v0, v13, s[18:19]
                                        ; implicit-def: $vgpr12_vgpr13
.LBB1981_125:
	s_andn2_saveexec_b64 s[6:7], s[6:7]
	s_cbranch_execz .LBB1981_127
; %bb.126:
	v_mov_b32_e32 v0, 0
	s_waitcnt lgkmcnt(0)
	global_store_dword v0, v12, s[18:19]
.LBB1981_127:
	s_or_b64 exec, exec, s[6:7]
                                        ; implicit-def: $vgpr2_vgpr3
.LBB1981_128:
	s_andn2_saveexec_b64 s[4:5], s[4:5]
	s_cbranch_execz .LBB1981_130
; %bb.129:
	v_mov_b32_e32 v0, 0
	s_waitcnt lgkmcnt(0)
	global_store_dword v0, v3, s[18:19]
.LBB1981_130:
	s_or_b64 exec, exec, s[4:5]
.LBB1981_131:
	s_or_b64 exec, exec, s[2:3]
                                        ; implicit-def: $vgpr0_vgpr1
                                        ; implicit-def: $vgpr8_vgpr9
                                        ; implicit-def: $vgpr4_vgpr5
                                        ; implicit-def: $vgpr6_vgpr7
                                        ; implicit-def: $vgpr2_vgpr3
.LBB1981_132:
	s_andn2_saveexec_b64 s[0:1], s[0:1]
	s_cbranch_execz .LBB1981_155
; %bb.133:
	v_cmp_lt_i64_e32 vcc, 3, v[0:1]
	s_and_saveexec_b64 s[0:1], vcc
	s_xor_b64 s[0:1], exec, s[0:1]
	s_cbranch_execz .LBB1981_143
; %bb.134:
	v_cmp_lt_i64_e32 vcc, 4, v[0:1]
	s_and_saveexec_b64 s[2:3], vcc
	s_xor_b64 s[2:3], exec, s[2:3]
	;; [unrolled: 5-line block ×3, first 2 shown]
	s_cbranch_execz .LBB1981_137
; %bb.136:
	v_mov_b32_e32 v0, 0
	s_waitcnt lgkmcnt(0)
	global_store_dword v0, v2, s[18:19]
                                        ; implicit-def: $vgpr8_vgpr9
.LBB1981_137:
	s_andn2_saveexec_b64 s[4:5], s[4:5]
	s_cbranch_execz .LBB1981_139
; %bb.138:
	v_mov_b32_e32 v0, 0
	s_waitcnt lgkmcnt(0)
	global_store_dword v0, v9, s[18:19]
.LBB1981_139:
	s_or_b64 exec, exec, s[4:5]
                                        ; implicit-def: $vgpr8_vgpr9
.LBB1981_140:
	s_andn2_saveexec_b64 s[2:3], s[2:3]
	s_cbranch_execz .LBB1981_142
; %bb.141:
	v_mov_b32_e32 v0, 0
	s_waitcnt lgkmcnt(0)
	global_store_dword v0, v8, s[18:19]
.LBB1981_142:
	s_or_b64 exec, exec, s[2:3]
                                        ; implicit-def: $vgpr0_vgpr1
                                        ; implicit-def: $vgpr4_vgpr5
                                        ; implicit-def: $vgpr6_vgpr7
.LBB1981_143:
	s_andn2_saveexec_b64 s[0:1], s[0:1]
	s_cbranch_execz .LBB1981_155
; %bb.144:
	v_cmp_lt_i64_e32 vcc, 1, v[0:1]
	s_and_saveexec_b64 s[0:1], vcc
	s_xor_b64 s[0:1], exec, s[0:1]
	s_cbranch_execz .LBB1981_150
; %bb.145:
	v_cmp_lt_i64_e32 vcc, 2, v[0:1]
	s_and_saveexec_b64 s[2:3], vcc
	s_xor_b64 s[2:3], exec, s[2:3]
	s_cbranch_execz .LBB1981_147
; %bb.146:
	v_mov_b32_e32 v0, 0
	s_waitcnt lgkmcnt(0)
	global_store_dword v0, v7, s[18:19]
                                        ; implicit-def: $vgpr6_vgpr7
.LBB1981_147:
	s_andn2_saveexec_b64 s[2:3], s[2:3]
	s_cbranch_execz .LBB1981_149
; %bb.148:
	v_mov_b32_e32 v0, 0
	s_waitcnt lgkmcnt(0)
	global_store_dword v0, v6, s[18:19]
.LBB1981_149:
	s_or_b64 exec, exec, s[2:3]
                                        ; implicit-def: $vgpr4_vgpr5
                                        ; implicit-def: $vgpr0_vgpr1
.LBB1981_150:
	s_andn2_saveexec_b64 s[0:1], s[0:1]
	s_cbranch_execz .LBB1981_155
; %bb.151:
	v_cmp_ne_u64_e32 vcc, 1, v[0:1]
	s_and_saveexec_b64 s[0:1], vcc
	s_xor_b64 s[0:1], exec, s[0:1]
	s_cbranch_execz .LBB1981_153
; %bb.152:
	v_mov_b32_e32 v0, 0
	s_waitcnt lgkmcnt(0)
	global_store_dword v0, v4, s[18:19]
                                        ; implicit-def: $vgpr4_vgpr5
.LBB1981_153:
	s_andn2_saveexec_b64 s[0:1], s[0:1]
	s_cbranch_execz .LBB1981_155
; %bb.154:
	v_mov_b32_e32 v0, 0
	s_waitcnt lgkmcnt(0)
	global_store_dword v0, v5, s[18:19]
.LBB1981_155:
	s_endpgm
	.section	.rodata,"a",@progbits
	.p2align	6, 0x0
	.amdhsa_kernel _ZN7rocprim17ROCPRIM_400000_NS6detail17trampoline_kernelINS0_14default_configENS1_20scan_config_selectorIfEEZZNS1_9scan_implILNS1_25lookback_scan_determinismE0ELb0ELb0ES3_N6thrust23THRUST_200600_302600_NS6detail15normal_iteratorINS9_10device_ptrIfEEEESE_f11max_functorIfEfEEDaPvRmT3_T4_T5_mT6_P12ihipStream_tbENKUlT_T0_E_clISt17integral_constantIbLb1EEST_IbLb0EEEEDaSP_SQ_EUlSP_E_NS1_11comp_targetILNS1_3genE4ELNS1_11target_archE910ELNS1_3gpuE8ELNS1_3repE0EEENS1_30default_config_static_selectorELNS0_4arch9wavefront6targetE1EEEvT1_
		.amdhsa_group_segment_fixed_size 7168
		.amdhsa_private_segment_fixed_size 0
		.amdhsa_kernarg_size 96
		.amdhsa_user_sgpr_count 6
		.amdhsa_user_sgpr_private_segment_buffer 1
		.amdhsa_user_sgpr_dispatch_ptr 0
		.amdhsa_user_sgpr_queue_ptr 0
		.amdhsa_user_sgpr_kernarg_segment_ptr 1
		.amdhsa_user_sgpr_dispatch_id 0
		.amdhsa_user_sgpr_flat_scratch_init 0
		.amdhsa_user_sgpr_kernarg_preload_length 0
		.amdhsa_user_sgpr_kernarg_preload_offset 0
		.amdhsa_user_sgpr_private_segment_size 0
		.amdhsa_uses_dynamic_stack 0
		.amdhsa_system_sgpr_private_segment_wavefront_offset 0
		.amdhsa_system_sgpr_workgroup_id_x 1
		.amdhsa_system_sgpr_workgroup_id_y 0
		.amdhsa_system_sgpr_workgroup_id_z 0
		.amdhsa_system_sgpr_workgroup_info 0
		.amdhsa_system_vgpr_workitem_id 0
		.amdhsa_next_free_vgpr 44
		.amdhsa_next_free_sgpr 32
		.amdhsa_accum_offset 44
		.amdhsa_reserve_vcc 1
		.amdhsa_reserve_flat_scratch 0
		.amdhsa_float_round_mode_32 0
		.amdhsa_float_round_mode_16_64 0
		.amdhsa_float_denorm_mode_32 3
		.amdhsa_float_denorm_mode_16_64 3
		.amdhsa_dx10_clamp 1
		.amdhsa_ieee_mode 1
		.amdhsa_fp16_overflow 0
		.amdhsa_tg_split 0
		.amdhsa_exception_fp_ieee_invalid_op 0
		.amdhsa_exception_fp_denorm_src 0
		.amdhsa_exception_fp_ieee_div_zero 0
		.amdhsa_exception_fp_ieee_overflow 0
		.amdhsa_exception_fp_ieee_underflow 0
		.amdhsa_exception_fp_ieee_inexact 0
		.amdhsa_exception_int_div_zero 0
	.end_amdhsa_kernel
	.section	.text._ZN7rocprim17ROCPRIM_400000_NS6detail17trampoline_kernelINS0_14default_configENS1_20scan_config_selectorIfEEZZNS1_9scan_implILNS1_25lookback_scan_determinismE0ELb0ELb0ES3_N6thrust23THRUST_200600_302600_NS6detail15normal_iteratorINS9_10device_ptrIfEEEESE_f11max_functorIfEfEEDaPvRmT3_T4_T5_mT6_P12ihipStream_tbENKUlT_T0_E_clISt17integral_constantIbLb1EEST_IbLb0EEEEDaSP_SQ_EUlSP_E_NS1_11comp_targetILNS1_3genE4ELNS1_11target_archE910ELNS1_3gpuE8ELNS1_3repE0EEENS1_30default_config_static_selectorELNS0_4arch9wavefront6targetE1EEEvT1_,"axG",@progbits,_ZN7rocprim17ROCPRIM_400000_NS6detail17trampoline_kernelINS0_14default_configENS1_20scan_config_selectorIfEEZZNS1_9scan_implILNS1_25lookback_scan_determinismE0ELb0ELb0ES3_N6thrust23THRUST_200600_302600_NS6detail15normal_iteratorINS9_10device_ptrIfEEEESE_f11max_functorIfEfEEDaPvRmT3_T4_T5_mT6_P12ihipStream_tbENKUlT_T0_E_clISt17integral_constantIbLb1EEST_IbLb0EEEEDaSP_SQ_EUlSP_E_NS1_11comp_targetILNS1_3genE4ELNS1_11target_archE910ELNS1_3gpuE8ELNS1_3repE0EEENS1_30default_config_static_selectorELNS0_4arch9wavefront6targetE1EEEvT1_,comdat
.Lfunc_end1981:
	.size	_ZN7rocprim17ROCPRIM_400000_NS6detail17trampoline_kernelINS0_14default_configENS1_20scan_config_selectorIfEEZZNS1_9scan_implILNS1_25lookback_scan_determinismE0ELb0ELb0ES3_N6thrust23THRUST_200600_302600_NS6detail15normal_iteratorINS9_10device_ptrIfEEEESE_f11max_functorIfEfEEDaPvRmT3_T4_T5_mT6_P12ihipStream_tbENKUlT_T0_E_clISt17integral_constantIbLb1EEST_IbLb0EEEEDaSP_SQ_EUlSP_E_NS1_11comp_targetILNS1_3genE4ELNS1_11target_archE910ELNS1_3gpuE8ELNS1_3repE0EEENS1_30default_config_static_selectorELNS0_4arch9wavefront6targetE1EEEvT1_, .Lfunc_end1981-_ZN7rocprim17ROCPRIM_400000_NS6detail17trampoline_kernelINS0_14default_configENS1_20scan_config_selectorIfEEZZNS1_9scan_implILNS1_25lookback_scan_determinismE0ELb0ELb0ES3_N6thrust23THRUST_200600_302600_NS6detail15normal_iteratorINS9_10device_ptrIfEEEESE_f11max_functorIfEfEEDaPvRmT3_T4_T5_mT6_P12ihipStream_tbENKUlT_T0_E_clISt17integral_constantIbLb1EEST_IbLb0EEEEDaSP_SQ_EUlSP_E_NS1_11comp_targetILNS1_3genE4ELNS1_11target_archE910ELNS1_3gpuE8ELNS1_3repE0EEENS1_30default_config_static_selectorELNS0_4arch9wavefront6targetE1EEEvT1_
                                        ; -- End function
	.section	.AMDGPU.csdata,"",@progbits
; Kernel info:
; codeLenInByte = 6528
; NumSgprs: 36
; NumVgprs: 44
; NumAgprs: 0
; TotalNumVgprs: 44
; ScratchSize: 0
; MemoryBound: 0
; FloatMode: 240
; IeeeMode: 1
; LDSByteSize: 7168 bytes/workgroup (compile time only)
; SGPRBlocks: 4
; VGPRBlocks: 5
; NumSGPRsForWavesPerEU: 36
; NumVGPRsForWavesPerEU: 44
; AccumOffset: 44
; Occupancy: 5
; WaveLimiterHint : 1
; COMPUTE_PGM_RSRC2:SCRATCH_EN: 0
; COMPUTE_PGM_RSRC2:USER_SGPR: 6
; COMPUTE_PGM_RSRC2:TRAP_HANDLER: 0
; COMPUTE_PGM_RSRC2:TGID_X_EN: 1
; COMPUTE_PGM_RSRC2:TGID_Y_EN: 0
; COMPUTE_PGM_RSRC2:TGID_Z_EN: 0
; COMPUTE_PGM_RSRC2:TIDIG_COMP_CNT: 0
; COMPUTE_PGM_RSRC3_GFX90A:ACCUM_OFFSET: 10
; COMPUTE_PGM_RSRC3_GFX90A:TG_SPLIT: 0
	.section	.text._ZN7rocprim17ROCPRIM_400000_NS6detail17trampoline_kernelINS0_14default_configENS1_20scan_config_selectorIfEEZZNS1_9scan_implILNS1_25lookback_scan_determinismE0ELb0ELb0ES3_N6thrust23THRUST_200600_302600_NS6detail15normal_iteratorINS9_10device_ptrIfEEEESE_f11max_functorIfEfEEDaPvRmT3_T4_T5_mT6_P12ihipStream_tbENKUlT_T0_E_clISt17integral_constantIbLb1EEST_IbLb0EEEEDaSP_SQ_EUlSP_E_NS1_11comp_targetILNS1_3genE3ELNS1_11target_archE908ELNS1_3gpuE7ELNS1_3repE0EEENS1_30default_config_static_selectorELNS0_4arch9wavefront6targetE1EEEvT1_,"axG",@progbits,_ZN7rocprim17ROCPRIM_400000_NS6detail17trampoline_kernelINS0_14default_configENS1_20scan_config_selectorIfEEZZNS1_9scan_implILNS1_25lookback_scan_determinismE0ELb0ELb0ES3_N6thrust23THRUST_200600_302600_NS6detail15normal_iteratorINS9_10device_ptrIfEEEESE_f11max_functorIfEfEEDaPvRmT3_T4_T5_mT6_P12ihipStream_tbENKUlT_T0_E_clISt17integral_constantIbLb1EEST_IbLb0EEEEDaSP_SQ_EUlSP_E_NS1_11comp_targetILNS1_3genE3ELNS1_11target_archE908ELNS1_3gpuE7ELNS1_3repE0EEENS1_30default_config_static_selectorELNS0_4arch9wavefront6targetE1EEEvT1_,comdat
	.protected	_ZN7rocprim17ROCPRIM_400000_NS6detail17trampoline_kernelINS0_14default_configENS1_20scan_config_selectorIfEEZZNS1_9scan_implILNS1_25lookback_scan_determinismE0ELb0ELb0ES3_N6thrust23THRUST_200600_302600_NS6detail15normal_iteratorINS9_10device_ptrIfEEEESE_f11max_functorIfEfEEDaPvRmT3_T4_T5_mT6_P12ihipStream_tbENKUlT_T0_E_clISt17integral_constantIbLb1EEST_IbLb0EEEEDaSP_SQ_EUlSP_E_NS1_11comp_targetILNS1_3genE3ELNS1_11target_archE908ELNS1_3gpuE7ELNS1_3repE0EEENS1_30default_config_static_selectorELNS0_4arch9wavefront6targetE1EEEvT1_ ; -- Begin function _ZN7rocprim17ROCPRIM_400000_NS6detail17trampoline_kernelINS0_14default_configENS1_20scan_config_selectorIfEEZZNS1_9scan_implILNS1_25lookback_scan_determinismE0ELb0ELb0ES3_N6thrust23THRUST_200600_302600_NS6detail15normal_iteratorINS9_10device_ptrIfEEEESE_f11max_functorIfEfEEDaPvRmT3_T4_T5_mT6_P12ihipStream_tbENKUlT_T0_E_clISt17integral_constantIbLb1EEST_IbLb0EEEEDaSP_SQ_EUlSP_E_NS1_11comp_targetILNS1_3genE3ELNS1_11target_archE908ELNS1_3gpuE7ELNS1_3repE0EEENS1_30default_config_static_selectorELNS0_4arch9wavefront6targetE1EEEvT1_
	.globl	_ZN7rocprim17ROCPRIM_400000_NS6detail17trampoline_kernelINS0_14default_configENS1_20scan_config_selectorIfEEZZNS1_9scan_implILNS1_25lookback_scan_determinismE0ELb0ELb0ES3_N6thrust23THRUST_200600_302600_NS6detail15normal_iteratorINS9_10device_ptrIfEEEESE_f11max_functorIfEfEEDaPvRmT3_T4_T5_mT6_P12ihipStream_tbENKUlT_T0_E_clISt17integral_constantIbLb1EEST_IbLb0EEEEDaSP_SQ_EUlSP_E_NS1_11comp_targetILNS1_3genE3ELNS1_11target_archE908ELNS1_3gpuE7ELNS1_3repE0EEENS1_30default_config_static_selectorELNS0_4arch9wavefront6targetE1EEEvT1_
	.p2align	8
	.type	_ZN7rocprim17ROCPRIM_400000_NS6detail17trampoline_kernelINS0_14default_configENS1_20scan_config_selectorIfEEZZNS1_9scan_implILNS1_25lookback_scan_determinismE0ELb0ELb0ES3_N6thrust23THRUST_200600_302600_NS6detail15normal_iteratorINS9_10device_ptrIfEEEESE_f11max_functorIfEfEEDaPvRmT3_T4_T5_mT6_P12ihipStream_tbENKUlT_T0_E_clISt17integral_constantIbLb1EEST_IbLb0EEEEDaSP_SQ_EUlSP_E_NS1_11comp_targetILNS1_3genE3ELNS1_11target_archE908ELNS1_3gpuE7ELNS1_3repE0EEENS1_30default_config_static_selectorELNS0_4arch9wavefront6targetE1EEEvT1_,@function
_ZN7rocprim17ROCPRIM_400000_NS6detail17trampoline_kernelINS0_14default_configENS1_20scan_config_selectorIfEEZZNS1_9scan_implILNS1_25lookback_scan_determinismE0ELb0ELb0ES3_N6thrust23THRUST_200600_302600_NS6detail15normal_iteratorINS9_10device_ptrIfEEEESE_f11max_functorIfEfEEDaPvRmT3_T4_T5_mT6_P12ihipStream_tbENKUlT_T0_E_clISt17integral_constantIbLb1EEST_IbLb0EEEEDaSP_SQ_EUlSP_E_NS1_11comp_targetILNS1_3genE3ELNS1_11target_archE908ELNS1_3gpuE7ELNS1_3repE0EEENS1_30default_config_static_selectorELNS0_4arch9wavefront6targetE1EEEvT1_: ; @_ZN7rocprim17ROCPRIM_400000_NS6detail17trampoline_kernelINS0_14default_configENS1_20scan_config_selectorIfEEZZNS1_9scan_implILNS1_25lookback_scan_determinismE0ELb0ELb0ES3_N6thrust23THRUST_200600_302600_NS6detail15normal_iteratorINS9_10device_ptrIfEEEESE_f11max_functorIfEfEEDaPvRmT3_T4_T5_mT6_P12ihipStream_tbENKUlT_T0_E_clISt17integral_constantIbLb1EEST_IbLb0EEEEDaSP_SQ_EUlSP_E_NS1_11comp_targetILNS1_3genE3ELNS1_11target_archE908ELNS1_3gpuE7ELNS1_3repE0EEENS1_30default_config_static_selectorELNS0_4arch9wavefront6targetE1EEEvT1_
; %bb.0:
	.section	.rodata,"a",@progbits
	.p2align	6, 0x0
	.amdhsa_kernel _ZN7rocprim17ROCPRIM_400000_NS6detail17trampoline_kernelINS0_14default_configENS1_20scan_config_selectorIfEEZZNS1_9scan_implILNS1_25lookback_scan_determinismE0ELb0ELb0ES3_N6thrust23THRUST_200600_302600_NS6detail15normal_iteratorINS9_10device_ptrIfEEEESE_f11max_functorIfEfEEDaPvRmT3_T4_T5_mT6_P12ihipStream_tbENKUlT_T0_E_clISt17integral_constantIbLb1EEST_IbLb0EEEEDaSP_SQ_EUlSP_E_NS1_11comp_targetILNS1_3genE3ELNS1_11target_archE908ELNS1_3gpuE7ELNS1_3repE0EEENS1_30default_config_static_selectorELNS0_4arch9wavefront6targetE1EEEvT1_
		.amdhsa_group_segment_fixed_size 0
		.amdhsa_private_segment_fixed_size 0
		.amdhsa_kernarg_size 96
		.amdhsa_user_sgpr_count 6
		.amdhsa_user_sgpr_private_segment_buffer 1
		.amdhsa_user_sgpr_dispatch_ptr 0
		.amdhsa_user_sgpr_queue_ptr 0
		.amdhsa_user_sgpr_kernarg_segment_ptr 1
		.amdhsa_user_sgpr_dispatch_id 0
		.amdhsa_user_sgpr_flat_scratch_init 0
		.amdhsa_user_sgpr_kernarg_preload_length 0
		.amdhsa_user_sgpr_kernarg_preload_offset 0
		.amdhsa_user_sgpr_private_segment_size 0
		.amdhsa_uses_dynamic_stack 0
		.amdhsa_system_sgpr_private_segment_wavefront_offset 0
		.amdhsa_system_sgpr_workgroup_id_x 1
		.amdhsa_system_sgpr_workgroup_id_y 0
		.amdhsa_system_sgpr_workgroup_id_z 0
		.amdhsa_system_sgpr_workgroup_info 0
		.amdhsa_system_vgpr_workitem_id 0
		.amdhsa_next_free_vgpr 1
		.amdhsa_next_free_sgpr 0
		.amdhsa_accum_offset 4
		.amdhsa_reserve_vcc 0
		.amdhsa_reserve_flat_scratch 0
		.amdhsa_float_round_mode_32 0
		.amdhsa_float_round_mode_16_64 0
		.amdhsa_float_denorm_mode_32 3
		.amdhsa_float_denorm_mode_16_64 3
		.amdhsa_dx10_clamp 1
		.amdhsa_ieee_mode 1
		.amdhsa_fp16_overflow 0
		.amdhsa_tg_split 0
		.amdhsa_exception_fp_ieee_invalid_op 0
		.amdhsa_exception_fp_denorm_src 0
		.amdhsa_exception_fp_ieee_div_zero 0
		.amdhsa_exception_fp_ieee_overflow 0
		.amdhsa_exception_fp_ieee_underflow 0
		.amdhsa_exception_fp_ieee_inexact 0
		.amdhsa_exception_int_div_zero 0
	.end_amdhsa_kernel
	.section	.text._ZN7rocprim17ROCPRIM_400000_NS6detail17trampoline_kernelINS0_14default_configENS1_20scan_config_selectorIfEEZZNS1_9scan_implILNS1_25lookback_scan_determinismE0ELb0ELb0ES3_N6thrust23THRUST_200600_302600_NS6detail15normal_iteratorINS9_10device_ptrIfEEEESE_f11max_functorIfEfEEDaPvRmT3_T4_T5_mT6_P12ihipStream_tbENKUlT_T0_E_clISt17integral_constantIbLb1EEST_IbLb0EEEEDaSP_SQ_EUlSP_E_NS1_11comp_targetILNS1_3genE3ELNS1_11target_archE908ELNS1_3gpuE7ELNS1_3repE0EEENS1_30default_config_static_selectorELNS0_4arch9wavefront6targetE1EEEvT1_,"axG",@progbits,_ZN7rocprim17ROCPRIM_400000_NS6detail17trampoline_kernelINS0_14default_configENS1_20scan_config_selectorIfEEZZNS1_9scan_implILNS1_25lookback_scan_determinismE0ELb0ELb0ES3_N6thrust23THRUST_200600_302600_NS6detail15normal_iteratorINS9_10device_ptrIfEEEESE_f11max_functorIfEfEEDaPvRmT3_T4_T5_mT6_P12ihipStream_tbENKUlT_T0_E_clISt17integral_constantIbLb1EEST_IbLb0EEEEDaSP_SQ_EUlSP_E_NS1_11comp_targetILNS1_3genE3ELNS1_11target_archE908ELNS1_3gpuE7ELNS1_3repE0EEENS1_30default_config_static_selectorELNS0_4arch9wavefront6targetE1EEEvT1_,comdat
.Lfunc_end1982:
	.size	_ZN7rocprim17ROCPRIM_400000_NS6detail17trampoline_kernelINS0_14default_configENS1_20scan_config_selectorIfEEZZNS1_9scan_implILNS1_25lookback_scan_determinismE0ELb0ELb0ES3_N6thrust23THRUST_200600_302600_NS6detail15normal_iteratorINS9_10device_ptrIfEEEESE_f11max_functorIfEfEEDaPvRmT3_T4_T5_mT6_P12ihipStream_tbENKUlT_T0_E_clISt17integral_constantIbLb1EEST_IbLb0EEEEDaSP_SQ_EUlSP_E_NS1_11comp_targetILNS1_3genE3ELNS1_11target_archE908ELNS1_3gpuE7ELNS1_3repE0EEENS1_30default_config_static_selectorELNS0_4arch9wavefront6targetE1EEEvT1_, .Lfunc_end1982-_ZN7rocprim17ROCPRIM_400000_NS6detail17trampoline_kernelINS0_14default_configENS1_20scan_config_selectorIfEEZZNS1_9scan_implILNS1_25lookback_scan_determinismE0ELb0ELb0ES3_N6thrust23THRUST_200600_302600_NS6detail15normal_iteratorINS9_10device_ptrIfEEEESE_f11max_functorIfEfEEDaPvRmT3_T4_T5_mT6_P12ihipStream_tbENKUlT_T0_E_clISt17integral_constantIbLb1EEST_IbLb0EEEEDaSP_SQ_EUlSP_E_NS1_11comp_targetILNS1_3genE3ELNS1_11target_archE908ELNS1_3gpuE7ELNS1_3repE0EEENS1_30default_config_static_selectorELNS0_4arch9wavefront6targetE1EEEvT1_
                                        ; -- End function
	.section	.AMDGPU.csdata,"",@progbits
; Kernel info:
; codeLenInByte = 0
; NumSgprs: 4
; NumVgprs: 0
; NumAgprs: 0
; TotalNumVgprs: 0
; ScratchSize: 0
; MemoryBound: 0
; FloatMode: 240
; IeeeMode: 1
; LDSByteSize: 0 bytes/workgroup (compile time only)
; SGPRBlocks: 0
; VGPRBlocks: 0
; NumSGPRsForWavesPerEU: 4
; NumVGPRsForWavesPerEU: 1
; AccumOffset: 4
; Occupancy: 8
; WaveLimiterHint : 0
; COMPUTE_PGM_RSRC2:SCRATCH_EN: 0
; COMPUTE_PGM_RSRC2:USER_SGPR: 6
; COMPUTE_PGM_RSRC2:TRAP_HANDLER: 0
; COMPUTE_PGM_RSRC2:TGID_X_EN: 1
; COMPUTE_PGM_RSRC2:TGID_Y_EN: 0
; COMPUTE_PGM_RSRC2:TGID_Z_EN: 0
; COMPUTE_PGM_RSRC2:TIDIG_COMP_CNT: 0
; COMPUTE_PGM_RSRC3_GFX90A:ACCUM_OFFSET: 0
; COMPUTE_PGM_RSRC3_GFX90A:TG_SPLIT: 0
	.section	.text._ZN7rocprim17ROCPRIM_400000_NS6detail17trampoline_kernelINS0_14default_configENS1_20scan_config_selectorIfEEZZNS1_9scan_implILNS1_25lookback_scan_determinismE0ELb0ELb0ES3_N6thrust23THRUST_200600_302600_NS6detail15normal_iteratorINS9_10device_ptrIfEEEESE_f11max_functorIfEfEEDaPvRmT3_T4_T5_mT6_P12ihipStream_tbENKUlT_T0_E_clISt17integral_constantIbLb1EEST_IbLb0EEEEDaSP_SQ_EUlSP_E_NS1_11comp_targetILNS1_3genE2ELNS1_11target_archE906ELNS1_3gpuE6ELNS1_3repE0EEENS1_30default_config_static_selectorELNS0_4arch9wavefront6targetE1EEEvT1_,"axG",@progbits,_ZN7rocprim17ROCPRIM_400000_NS6detail17trampoline_kernelINS0_14default_configENS1_20scan_config_selectorIfEEZZNS1_9scan_implILNS1_25lookback_scan_determinismE0ELb0ELb0ES3_N6thrust23THRUST_200600_302600_NS6detail15normal_iteratorINS9_10device_ptrIfEEEESE_f11max_functorIfEfEEDaPvRmT3_T4_T5_mT6_P12ihipStream_tbENKUlT_T0_E_clISt17integral_constantIbLb1EEST_IbLb0EEEEDaSP_SQ_EUlSP_E_NS1_11comp_targetILNS1_3genE2ELNS1_11target_archE906ELNS1_3gpuE6ELNS1_3repE0EEENS1_30default_config_static_selectorELNS0_4arch9wavefront6targetE1EEEvT1_,comdat
	.protected	_ZN7rocprim17ROCPRIM_400000_NS6detail17trampoline_kernelINS0_14default_configENS1_20scan_config_selectorIfEEZZNS1_9scan_implILNS1_25lookback_scan_determinismE0ELb0ELb0ES3_N6thrust23THRUST_200600_302600_NS6detail15normal_iteratorINS9_10device_ptrIfEEEESE_f11max_functorIfEfEEDaPvRmT3_T4_T5_mT6_P12ihipStream_tbENKUlT_T0_E_clISt17integral_constantIbLb1EEST_IbLb0EEEEDaSP_SQ_EUlSP_E_NS1_11comp_targetILNS1_3genE2ELNS1_11target_archE906ELNS1_3gpuE6ELNS1_3repE0EEENS1_30default_config_static_selectorELNS0_4arch9wavefront6targetE1EEEvT1_ ; -- Begin function _ZN7rocprim17ROCPRIM_400000_NS6detail17trampoline_kernelINS0_14default_configENS1_20scan_config_selectorIfEEZZNS1_9scan_implILNS1_25lookback_scan_determinismE0ELb0ELb0ES3_N6thrust23THRUST_200600_302600_NS6detail15normal_iteratorINS9_10device_ptrIfEEEESE_f11max_functorIfEfEEDaPvRmT3_T4_T5_mT6_P12ihipStream_tbENKUlT_T0_E_clISt17integral_constantIbLb1EEST_IbLb0EEEEDaSP_SQ_EUlSP_E_NS1_11comp_targetILNS1_3genE2ELNS1_11target_archE906ELNS1_3gpuE6ELNS1_3repE0EEENS1_30default_config_static_selectorELNS0_4arch9wavefront6targetE1EEEvT1_
	.globl	_ZN7rocprim17ROCPRIM_400000_NS6detail17trampoline_kernelINS0_14default_configENS1_20scan_config_selectorIfEEZZNS1_9scan_implILNS1_25lookback_scan_determinismE0ELb0ELb0ES3_N6thrust23THRUST_200600_302600_NS6detail15normal_iteratorINS9_10device_ptrIfEEEESE_f11max_functorIfEfEEDaPvRmT3_T4_T5_mT6_P12ihipStream_tbENKUlT_T0_E_clISt17integral_constantIbLb1EEST_IbLb0EEEEDaSP_SQ_EUlSP_E_NS1_11comp_targetILNS1_3genE2ELNS1_11target_archE906ELNS1_3gpuE6ELNS1_3repE0EEENS1_30default_config_static_selectorELNS0_4arch9wavefront6targetE1EEEvT1_
	.p2align	8
	.type	_ZN7rocprim17ROCPRIM_400000_NS6detail17trampoline_kernelINS0_14default_configENS1_20scan_config_selectorIfEEZZNS1_9scan_implILNS1_25lookback_scan_determinismE0ELb0ELb0ES3_N6thrust23THRUST_200600_302600_NS6detail15normal_iteratorINS9_10device_ptrIfEEEESE_f11max_functorIfEfEEDaPvRmT3_T4_T5_mT6_P12ihipStream_tbENKUlT_T0_E_clISt17integral_constantIbLb1EEST_IbLb0EEEEDaSP_SQ_EUlSP_E_NS1_11comp_targetILNS1_3genE2ELNS1_11target_archE906ELNS1_3gpuE6ELNS1_3repE0EEENS1_30default_config_static_selectorELNS0_4arch9wavefront6targetE1EEEvT1_,@function
_ZN7rocprim17ROCPRIM_400000_NS6detail17trampoline_kernelINS0_14default_configENS1_20scan_config_selectorIfEEZZNS1_9scan_implILNS1_25lookback_scan_determinismE0ELb0ELb0ES3_N6thrust23THRUST_200600_302600_NS6detail15normal_iteratorINS9_10device_ptrIfEEEESE_f11max_functorIfEfEEDaPvRmT3_T4_T5_mT6_P12ihipStream_tbENKUlT_T0_E_clISt17integral_constantIbLb1EEST_IbLb0EEEEDaSP_SQ_EUlSP_E_NS1_11comp_targetILNS1_3genE2ELNS1_11target_archE906ELNS1_3gpuE6ELNS1_3repE0EEENS1_30default_config_static_selectorELNS0_4arch9wavefront6targetE1EEEvT1_: ; @_ZN7rocprim17ROCPRIM_400000_NS6detail17trampoline_kernelINS0_14default_configENS1_20scan_config_selectorIfEEZZNS1_9scan_implILNS1_25lookback_scan_determinismE0ELb0ELb0ES3_N6thrust23THRUST_200600_302600_NS6detail15normal_iteratorINS9_10device_ptrIfEEEESE_f11max_functorIfEfEEDaPvRmT3_T4_T5_mT6_P12ihipStream_tbENKUlT_T0_E_clISt17integral_constantIbLb1EEST_IbLb0EEEEDaSP_SQ_EUlSP_E_NS1_11comp_targetILNS1_3genE2ELNS1_11target_archE906ELNS1_3gpuE6ELNS1_3repE0EEENS1_30default_config_static_selectorELNS0_4arch9wavefront6targetE1EEEvT1_
; %bb.0:
	.section	.rodata,"a",@progbits
	.p2align	6, 0x0
	.amdhsa_kernel _ZN7rocprim17ROCPRIM_400000_NS6detail17trampoline_kernelINS0_14default_configENS1_20scan_config_selectorIfEEZZNS1_9scan_implILNS1_25lookback_scan_determinismE0ELb0ELb0ES3_N6thrust23THRUST_200600_302600_NS6detail15normal_iteratorINS9_10device_ptrIfEEEESE_f11max_functorIfEfEEDaPvRmT3_T4_T5_mT6_P12ihipStream_tbENKUlT_T0_E_clISt17integral_constantIbLb1EEST_IbLb0EEEEDaSP_SQ_EUlSP_E_NS1_11comp_targetILNS1_3genE2ELNS1_11target_archE906ELNS1_3gpuE6ELNS1_3repE0EEENS1_30default_config_static_selectorELNS0_4arch9wavefront6targetE1EEEvT1_
		.amdhsa_group_segment_fixed_size 0
		.amdhsa_private_segment_fixed_size 0
		.amdhsa_kernarg_size 96
		.amdhsa_user_sgpr_count 6
		.amdhsa_user_sgpr_private_segment_buffer 1
		.amdhsa_user_sgpr_dispatch_ptr 0
		.amdhsa_user_sgpr_queue_ptr 0
		.amdhsa_user_sgpr_kernarg_segment_ptr 1
		.amdhsa_user_sgpr_dispatch_id 0
		.amdhsa_user_sgpr_flat_scratch_init 0
		.amdhsa_user_sgpr_kernarg_preload_length 0
		.amdhsa_user_sgpr_kernarg_preload_offset 0
		.amdhsa_user_sgpr_private_segment_size 0
		.amdhsa_uses_dynamic_stack 0
		.amdhsa_system_sgpr_private_segment_wavefront_offset 0
		.amdhsa_system_sgpr_workgroup_id_x 1
		.amdhsa_system_sgpr_workgroup_id_y 0
		.amdhsa_system_sgpr_workgroup_id_z 0
		.amdhsa_system_sgpr_workgroup_info 0
		.amdhsa_system_vgpr_workitem_id 0
		.amdhsa_next_free_vgpr 1
		.amdhsa_next_free_sgpr 0
		.amdhsa_accum_offset 4
		.amdhsa_reserve_vcc 0
		.amdhsa_reserve_flat_scratch 0
		.amdhsa_float_round_mode_32 0
		.amdhsa_float_round_mode_16_64 0
		.amdhsa_float_denorm_mode_32 3
		.amdhsa_float_denorm_mode_16_64 3
		.amdhsa_dx10_clamp 1
		.amdhsa_ieee_mode 1
		.amdhsa_fp16_overflow 0
		.amdhsa_tg_split 0
		.amdhsa_exception_fp_ieee_invalid_op 0
		.amdhsa_exception_fp_denorm_src 0
		.amdhsa_exception_fp_ieee_div_zero 0
		.amdhsa_exception_fp_ieee_overflow 0
		.amdhsa_exception_fp_ieee_underflow 0
		.amdhsa_exception_fp_ieee_inexact 0
		.amdhsa_exception_int_div_zero 0
	.end_amdhsa_kernel
	.section	.text._ZN7rocprim17ROCPRIM_400000_NS6detail17trampoline_kernelINS0_14default_configENS1_20scan_config_selectorIfEEZZNS1_9scan_implILNS1_25lookback_scan_determinismE0ELb0ELb0ES3_N6thrust23THRUST_200600_302600_NS6detail15normal_iteratorINS9_10device_ptrIfEEEESE_f11max_functorIfEfEEDaPvRmT3_T4_T5_mT6_P12ihipStream_tbENKUlT_T0_E_clISt17integral_constantIbLb1EEST_IbLb0EEEEDaSP_SQ_EUlSP_E_NS1_11comp_targetILNS1_3genE2ELNS1_11target_archE906ELNS1_3gpuE6ELNS1_3repE0EEENS1_30default_config_static_selectorELNS0_4arch9wavefront6targetE1EEEvT1_,"axG",@progbits,_ZN7rocprim17ROCPRIM_400000_NS6detail17trampoline_kernelINS0_14default_configENS1_20scan_config_selectorIfEEZZNS1_9scan_implILNS1_25lookback_scan_determinismE0ELb0ELb0ES3_N6thrust23THRUST_200600_302600_NS6detail15normal_iteratorINS9_10device_ptrIfEEEESE_f11max_functorIfEfEEDaPvRmT3_T4_T5_mT6_P12ihipStream_tbENKUlT_T0_E_clISt17integral_constantIbLb1EEST_IbLb0EEEEDaSP_SQ_EUlSP_E_NS1_11comp_targetILNS1_3genE2ELNS1_11target_archE906ELNS1_3gpuE6ELNS1_3repE0EEENS1_30default_config_static_selectorELNS0_4arch9wavefront6targetE1EEEvT1_,comdat
.Lfunc_end1983:
	.size	_ZN7rocprim17ROCPRIM_400000_NS6detail17trampoline_kernelINS0_14default_configENS1_20scan_config_selectorIfEEZZNS1_9scan_implILNS1_25lookback_scan_determinismE0ELb0ELb0ES3_N6thrust23THRUST_200600_302600_NS6detail15normal_iteratorINS9_10device_ptrIfEEEESE_f11max_functorIfEfEEDaPvRmT3_T4_T5_mT6_P12ihipStream_tbENKUlT_T0_E_clISt17integral_constantIbLb1EEST_IbLb0EEEEDaSP_SQ_EUlSP_E_NS1_11comp_targetILNS1_3genE2ELNS1_11target_archE906ELNS1_3gpuE6ELNS1_3repE0EEENS1_30default_config_static_selectorELNS0_4arch9wavefront6targetE1EEEvT1_, .Lfunc_end1983-_ZN7rocprim17ROCPRIM_400000_NS6detail17trampoline_kernelINS0_14default_configENS1_20scan_config_selectorIfEEZZNS1_9scan_implILNS1_25lookback_scan_determinismE0ELb0ELb0ES3_N6thrust23THRUST_200600_302600_NS6detail15normal_iteratorINS9_10device_ptrIfEEEESE_f11max_functorIfEfEEDaPvRmT3_T4_T5_mT6_P12ihipStream_tbENKUlT_T0_E_clISt17integral_constantIbLb1EEST_IbLb0EEEEDaSP_SQ_EUlSP_E_NS1_11comp_targetILNS1_3genE2ELNS1_11target_archE906ELNS1_3gpuE6ELNS1_3repE0EEENS1_30default_config_static_selectorELNS0_4arch9wavefront6targetE1EEEvT1_
                                        ; -- End function
	.section	.AMDGPU.csdata,"",@progbits
; Kernel info:
; codeLenInByte = 0
; NumSgprs: 4
; NumVgprs: 0
; NumAgprs: 0
; TotalNumVgprs: 0
; ScratchSize: 0
; MemoryBound: 0
; FloatMode: 240
; IeeeMode: 1
; LDSByteSize: 0 bytes/workgroup (compile time only)
; SGPRBlocks: 0
; VGPRBlocks: 0
; NumSGPRsForWavesPerEU: 4
; NumVGPRsForWavesPerEU: 1
; AccumOffset: 4
; Occupancy: 8
; WaveLimiterHint : 0
; COMPUTE_PGM_RSRC2:SCRATCH_EN: 0
; COMPUTE_PGM_RSRC2:USER_SGPR: 6
; COMPUTE_PGM_RSRC2:TRAP_HANDLER: 0
; COMPUTE_PGM_RSRC2:TGID_X_EN: 1
; COMPUTE_PGM_RSRC2:TGID_Y_EN: 0
; COMPUTE_PGM_RSRC2:TGID_Z_EN: 0
; COMPUTE_PGM_RSRC2:TIDIG_COMP_CNT: 0
; COMPUTE_PGM_RSRC3_GFX90A:ACCUM_OFFSET: 0
; COMPUTE_PGM_RSRC3_GFX90A:TG_SPLIT: 0
	.section	.text._ZN7rocprim17ROCPRIM_400000_NS6detail17trampoline_kernelINS0_14default_configENS1_20scan_config_selectorIfEEZZNS1_9scan_implILNS1_25lookback_scan_determinismE0ELb0ELb0ES3_N6thrust23THRUST_200600_302600_NS6detail15normal_iteratorINS9_10device_ptrIfEEEESE_f11max_functorIfEfEEDaPvRmT3_T4_T5_mT6_P12ihipStream_tbENKUlT_T0_E_clISt17integral_constantIbLb1EEST_IbLb0EEEEDaSP_SQ_EUlSP_E_NS1_11comp_targetILNS1_3genE10ELNS1_11target_archE1201ELNS1_3gpuE5ELNS1_3repE0EEENS1_30default_config_static_selectorELNS0_4arch9wavefront6targetE1EEEvT1_,"axG",@progbits,_ZN7rocprim17ROCPRIM_400000_NS6detail17trampoline_kernelINS0_14default_configENS1_20scan_config_selectorIfEEZZNS1_9scan_implILNS1_25lookback_scan_determinismE0ELb0ELb0ES3_N6thrust23THRUST_200600_302600_NS6detail15normal_iteratorINS9_10device_ptrIfEEEESE_f11max_functorIfEfEEDaPvRmT3_T4_T5_mT6_P12ihipStream_tbENKUlT_T0_E_clISt17integral_constantIbLb1EEST_IbLb0EEEEDaSP_SQ_EUlSP_E_NS1_11comp_targetILNS1_3genE10ELNS1_11target_archE1201ELNS1_3gpuE5ELNS1_3repE0EEENS1_30default_config_static_selectorELNS0_4arch9wavefront6targetE1EEEvT1_,comdat
	.protected	_ZN7rocprim17ROCPRIM_400000_NS6detail17trampoline_kernelINS0_14default_configENS1_20scan_config_selectorIfEEZZNS1_9scan_implILNS1_25lookback_scan_determinismE0ELb0ELb0ES3_N6thrust23THRUST_200600_302600_NS6detail15normal_iteratorINS9_10device_ptrIfEEEESE_f11max_functorIfEfEEDaPvRmT3_T4_T5_mT6_P12ihipStream_tbENKUlT_T0_E_clISt17integral_constantIbLb1EEST_IbLb0EEEEDaSP_SQ_EUlSP_E_NS1_11comp_targetILNS1_3genE10ELNS1_11target_archE1201ELNS1_3gpuE5ELNS1_3repE0EEENS1_30default_config_static_selectorELNS0_4arch9wavefront6targetE1EEEvT1_ ; -- Begin function _ZN7rocprim17ROCPRIM_400000_NS6detail17trampoline_kernelINS0_14default_configENS1_20scan_config_selectorIfEEZZNS1_9scan_implILNS1_25lookback_scan_determinismE0ELb0ELb0ES3_N6thrust23THRUST_200600_302600_NS6detail15normal_iteratorINS9_10device_ptrIfEEEESE_f11max_functorIfEfEEDaPvRmT3_T4_T5_mT6_P12ihipStream_tbENKUlT_T0_E_clISt17integral_constantIbLb1EEST_IbLb0EEEEDaSP_SQ_EUlSP_E_NS1_11comp_targetILNS1_3genE10ELNS1_11target_archE1201ELNS1_3gpuE5ELNS1_3repE0EEENS1_30default_config_static_selectorELNS0_4arch9wavefront6targetE1EEEvT1_
	.globl	_ZN7rocprim17ROCPRIM_400000_NS6detail17trampoline_kernelINS0_14default_configENS1_20scan_config_selectorIfEEZZNS1_9scan_implILNS1_25lookback_scan_determinismE0ELb0ELb0ES3_N6thrust23THRUST_200600_302600_NS6detail15normal_iteratorINS9_10device_ptrIfEEEESE_f11max_functorIfEfEEDaPvRmT3_T4_T5_mT6_P12ihipStream_tbENKUlT_T0_E_clISt17integral_constantIbLb1EEST_IbLb0EEEEDaSP_SQ_EUlSP_E_NS1_11comp_targetILNS1_3genE10ELNS1_11target_archE1201ELNS1_3gpuE5ELNS1_3repE0EEENS1_30default_config_static_selectorELNS0_4arch9wavefront6targetE1EEEvT1_
	.p2align	8
	.type	_ZN7rocprim17ROCPRIM_400000_NS6detail17trampoline_kernelINS0_14default_configENS1_20scan_config_selectorIfEEZZNS1_9scan_implILNS1_25lookback_scan_determinismE0ELb0ELb0ES3_N6thrust23THRUST_200600_302600_NS6detail15normal_iteratorINS9_10device_ptrIfEEEESE_f11max_functorIfEfEEDaPvRmT3_T4_T5_mT6_P12ihipStream_tbENKUlT_T0_E_clISt17integral_constantIbLb1EEST_IbLb0EEEEDaSP_SQ_EUlSP_E_NS1_11comp_targetILNS1_3genE10ELNS1_11target_archE1201ELNS1_3gpuE5ELNS1_3repE0EEENS1_30default_config_static_selectorELNS0_4arch9wavefront6targetE1EEEvT1_,@function
_ZN7rocprim17ROCPRIM_400000_NS6detail17trampoline_kernelINS0_14default_configENS1_20scan_config_selectorIfEEZZNS1_9scan_implILNS1_25lookback_scan_determinismE0ELb0ELb0ES3_N6thrust23THRUST_200600_302600_NS6detail15normal_iteratorINS9_10device_ptrIfEEEESE_f11max_functorIfEfEEDaPvRmT3_T4_T5_mT6_P12ihipStream_tbENKUlT_T0_E_clISt17integral_constantIbLb1EEST_IbLb0EEEEDaSP_SQ_EUlSP_E_NS1_11comp_targetILNS1_3genE10ELNS1_11target_archE1201ELNS1_3gpuE5ELNS1_3repE0EEENS1_30default_config_static_selectorELNS0_4arch9wavefront6targetE1EEEvT1_: ; @_ZN7rocprim17ROCPRIM_400000_NS6detail17trampoline_kernelINS0_14default_configENS1_20scan_config_selectorIfEEZZNS1_9scan_implILNS1_25lookback_scan_determinismE0ELb0ELb0ES3_N6thrust23THRUST_200600_302600_NS6detail15normal_iteratorINS9_10device_ptrIfEEEESE_f11max_functorIfEfEEDaPvRmT3_T4_T5_mT6_P12ihipStream_tbENKUlT_T0_E_clISt17integral_constantIbLb1EEST_IbLb0EEEEDaSP_SQ_EUlSP_E_NS1_11comp_targetILNS1_3genE10ELNS1_11target_archE1201ELNS1_3gpuE5ELNS1_3repE0EEENS1_30default_config_static_selectorELNS0_4arch9wavefront6targetE1EEEvT1_
; %bb.0:
	.section	.rodata,"a",@progbits
	.p2align	6, 0x0
	.amdhsa_kernel _ZN7rocprim17ROCPRIM_400000_NS6detail17trampoline_kernelINS0_14default_configENS1_20scan_config_selectorIfEEZZNS1_9scan_implILNS1_25lookback_scan_determinismE0ELb0ELb0ES3_N6thrust23THRUST_200600_302600_NS6detail15normal_iteratorINS9_10device_ptrIfEEEESE_f11max_functorIfEfEEDaPvRmT3_T4_T5_mT6_P12ihipStream_tbENKUlT_T0_E_clISt17integral_constantIbLb1EEST_IbLb0EEEEDaSP_SQ_EUlSP_E_NS1_11comp_targetILNS1_3genE10ELNS1_11target_archE1201ELNS1_3gpuE5ELNS1_3repE0EEENS1_30default_config_static_selectorELNS0_4arch9wavefront6targetE1EEEvT1_
		.amdhsa_group_segment_fixed_size 0
		.amdhsa_private_segment_fixed_size 0
		.amdhsa_kernarg_size 96
		.amdhsa_user_sgpr_count 6
		.amdhsa_user_sgpr_private_segment_buffer 1
		.amdhsa_user_sgpr_dispatch_ptr 0
		.amdhsa_user_sgpr_queue_ptr 0
		.amdhsa_user_sgpr_kernarg_segment_ptr 1
		.amdhsa_user_sgpr_dispatch_id 0
		.amdhsa_user_sgpr_flat_scratch_init 0
		.amdhsa_user_sgpr_kernarg_preload_length 0
		.amdhsa_user_sgpr_kernarg_preload_offset 0
		.amdhsa_user_sgpr_private_segment_size 0
		.amdhsa_uses_dynamic_stack 0
		.amdhsa_system_sgpr_private_segment_wavefront_offset 0
		.amdhsa_system_sgpr_workgroup_id_x 1
		.amdhsa_system_sgpr_workgroup_id_y 0
		.amdhsa_system_sgpr_workgroup_id_z 0
		.amdhsa_system_sgpr_workgroup_info 0
		.amdhsa_system_vgpr_workitem_id 0
		.amdhsa_next_free_vgpr 1
		.amdhsa_next_free_sgpr 0
		.amdhsa_accum_offset 4
		.amdhsa_reserve_vcc 0
		.amdhsa_reserve_flat_scratch 0
		.amdhsa_float_round_mode_32 0
		.amdhsa_float_round_mode_16_64 0
		.amdhsa_float_denorm_mode_32 3
		.amdhsa_float_denorm_mode_16_64 3
		.amdhsa_dx10_clamp 1
		.amdhsa_ieee_mode 1
		.amdhsa_fp16_overflow 0
		.amdhsa_tg_split 0
		.amdhsa_exception_fp_ieee_invalid_op 0
		.amdhsa_exception_fp_denorm_src 0
		.amdhsa_exception_fp_ieee_div_zero 0
		.amdhsa_exception_fp_ieee_overflow 0
		.amdhsa_exception_fp_ieee_underflow 0
		.amdhsa_exception_fp_ieee_inexact 0
		.amdhsa_exception_int_div_zero 0
	.end_amdhsa_kernel
	.section	.text._ZN7rocprim17ROCPRIM_400000_NS6detail17trampoline_kernelINS0_14default_configENS1_20scan_config_selectorIfEEZZNS1_9scan_implILNS1_25lookback_scan_determinismE0ELb0ELb0ES3_N6thrust23THRUST_200600_302600_NS6detail15normal_iteratorINS9_10device_ptrIfEEEESE_f11max_functorIfEfEEDaPvRmT3_T4_T5_mT6_P12ihipStream_tbENKUlT_T0_E_clISt17integral_constantIbLb1EEST_IbLb0EEEEDaSP_SQ_EUlSP_E_NS1_11comp_targetILNS1_3genE10ELNS1_11target_archE1201ELNS1_3gpuE5ELNS1_3repE0EEENS1_30default_config_static_selectorELNS0_4arch9wavefront6targetE1EEEvT1_,"axG",@progbits,_ZN7rocprim17ROCPRIM_400000_NS6detail17trampoline_kernelINS0_14default_configENS1_20scan_config_selectorIfEEZZNS1_9scan_implILNS1_25lookback_scan_determinismE0ELb0ELb0ES3_N6thrust23THRUST_200600_302600_NS6detail15normal_iteratorINS9_10device_ptrIfEEEESE_f11max_functorIfEfEEDaPvRmT3_T4_T5_mT6_P12ihipStream_tbENKUlT_T0_E_clISt17integral_constantIbLb1EEST_IbLb0EEEEDaSP_SQ_EUlSP_E_NS1_11comp_targetILNS1_3genE10ELNS1_11target_archE1201ELNS1_3gpuE5ELNS1_3repE0EEENS1_30default_config_static_selectorELNS0_4arch9wavefront6targetE1EEEvT1_,comdat
.Lfunc_end1984:
	.size	_ZN7rocprim17ROCPRIM_400000_NS6detail17trampoline_kernelINS0_14default_configENS1_20scan_config_selectorIfEEZZNS1_9scan_implILNS1_25lookback_scan_determinismE0ELb0ELb0ES3_N6thrust23THRUST_200600_302600_NS6detail15normal_iteratorINS9_10device_ptrIfEEEESE_f11max_functorIfEfEEDaPvRmT3_T4_T5_mT6_P12ihipStream_tbENKUlT_T0_E_clISt17integral_constantIbLb1EEST_IbLb0EEEEDaSP_SQ_EUlSP_E_NS1_11comp_targetILNS1_3genE10ELNS1_11target_archE1201ELNS1_3gpuE5ELNS1_3repE0EEENS1_30default_config_static_selectorELNS0_4arch9wavefront6targetE1EEEvT1_, .Lfunc_end1984-_ZN7rocprim17ROCPRIM_400000_NS6detail17trampoline_kernelINS0_14default_configENS1_20scan_config_selectorIfEEZZNS1_9scan_implILNS1_25lookback_scan_determinismE0ELb0ELb0ES3_N6thrust23THRUST_200600_302600_NS6detail15normal_iteratorINS9_10device_ptrIfEEEESE_f11max_functorIfEfEEDaPvRmT3_T4_T5_mT6_P12ihipStream_tbENKUlT_T0_E_clISt17integral_constantIbLb1EEST_IbLb0EEEEDaSP_SQ_EUlSP_E_NS1_11comp_targetILNS1_3genE10ELNS1_11target_archE1201ELNS1_3gpuE5ELNS1_3repE0EEENS1_30default_config_static_selectorELNS0_4arch9wavefront6targetE1EEEvT1_
                                        ; -- End function
	.section	.AMDGPU.csdata,"",@progbits
; Kernel info:
; codeLenInByte = 0
; NumSgprs: 4
; NumVgprs: 0
; NumAgprs: 0
; TotalNumVgprs: 0
; ScratchSize: 0
; MemoryBound: 0
; FloatMode: 240
; IeeeMode: 1
; LDSByteSize: 0 bytes/workgroup (compile time only)
; SGPRBlocks: 0
; VGPRBlocks: 0
; NumSGPRsForWavesPerEU: 4
; NumVGPRsForWavesPerEU: 1
; AccumOffset: 4
; Occupancy: 8
; WaveLimiterHint : 0
; COMPUTE_PGM_RSRC2:SCRATCH_EN: 0
; COMPUTE_PGM_RSRC2:USER_SGPR: 6
; COMPUTE_PGM_RSRC2:TRAP_HANDLER: 0
; COMPUTE_PGM_RSRC2:TGID_X_EN: 1
; COMPUTE_PGM_RSRC2:TGID_Y_EN: 0
; COMPUTE_PGM_RSRC2:TGID_Z_EN: 0
; COMPUTE_PGM_RSRC2:TIDIG_COMP_CNT: 0
; COMPUTE_PGM_RSRC3_GFX90A:ACCUM_OFFSET: 0
; COMPUTE_PGM_RSRC3_GFX90A:TG_SPLIT: 0
	.section	.text._ZN7rocprim17ROCPRIM_400000_NS6detail17trampoline_kernelINS0_14default_configENS1_20scan_config_selectorIfEEZZNS1_9scan_implILNS1_25lookback_scan_determinismE0ELb0ELb0ES3_N6thrust23THRUST_200600_302600_NS6detail15normal_iteratorINS9_10device_ptrIfEEEESE_f11max_functorIfEfEEDaPvRmT3_T4_T5_mT6_P12ihipStream_tbENKUlT_T0_E_clISt17integral_constantIbLb1EEST_IbLb0EEEEDaSP_SQ_EUlSP_E_NS1_11comp_targetILNS1_3genE10ELNS1_11target_archE1200ELNS1_3gpuE4ELNS1_3repE0EEENS1_30default_config_static_selectorELNS0_4arch9wavefront6targetE1EEEvT1_,"axG",@progbits,_ZN7rocprim17ROCPRIM_400000_NS6detail17trampoline_kernelINS0_14default_configENS1_20scan_config_selectorIfEEZZNS1_9scan_implILNS1_25lookback_scan_determinismE0ELb0ELb0ES3_N6thrust23THRUST_200600_302600_NS6detail15normal_iteratorINS9_10device_ptrIfEEEESE_f11max_functorIfEfEEDaPvRmT3_T4_T5_mT6_P12ihipStream_tbENKUlT_T0_E_clISt17integral_constantIbLb1EEST_IbLb0EEEEDaSP_SQ_EUlSP_E_NS1_11comp_targetILNS1_3genE10ELNS1_11target_archE1200ELNS1_3gpuE4ELNS1_3repE0EEENS1_30default_config_static_selectorELNS0_4arch9wavefront6targetE1EEEvT1_,comdat
	.protected	_ZN7rocprim17ROCPRIM_400000_NS6detail17trampoline_kernelINS0_14default_configENS1_20scan_config_selectorIfEEZZNS1_9scan_implILNS1_25lookback_scan_determinismE0ELb0ELb0ES3_N6thrust23THRUST_200600_302600_NS6detail15normal_iteratorINS9_10device_ptrIfEEEESE_f11max_functorIfEfEEDaPvRmT3_T4_T5_mT6_P12ihipStream_tbENKUlT_T0_E_clISt17integral_constantIbLb1EEST_IbLb0EEEEDaSP_SQ_EUlSP_E_NS1_11comp_targetILNS1_3genE10ELNS1_11target_archE1200ELNS1_3gpuE4ELNS1_3repE0EEENS1_30default_config_static_selectorELNS0_4arch9wavefront6targetE1EEEvT1_ ; -- Begin function _ZN7rocprim17ROCPRIM_400000_NS6detail17trampoline_kernelINS0_14default_configENS1_20scan_config_selectorIfEEZZNS1_9scan_implILNS1_25lookback_scan_determinismE0ELb0ELb0ES3_N6thrust23THRUST_200600_302600_NS6detail15normal_iteratorINS9_10device_ptrIfEEEESE_f11max_functorIfEfEEDaPvRmT3_T4_T5_mT6_P12ihipStream_tbENKUlT_T0_E_clISt17integral_constantIbLb1EEST_IbLb0EEEEDaSP_SQ_EUlSP_E_NS1_11comp_targetILNS1_3genE10ELNS1_11target_archE1200ELNS1_3gpuE4ELNS1_3repE0EEENS1_30default_config_static_selectorELNS0_4arch9wavefront6targetE1EEEvT1_
	.globl	_ZN7rocprim17ROCPRIM_400000_NS6detail17trampoline_kernelINS0_14default_configENS1_20scan_config_selectorIfEEZZNS1_9scan_implILNS1_25lookback_scan_determinismE0ELb0ELb0ES3_N6thrust23THRUST_200600_302600_NS6detail15normal_iteratorINS9_10device_ptrIfEEEESE_f11max_functorIfEfEEDaPvRmT3_T4_T5_mT6_P12ihipStream_tbENKUlT_T0_E_clISt17integral_constantIbLb1EEST_IbLb0EEEEDaSP_SQ_EUlSP_E_NS1_11comp_targetILNS1_3genE10ELNS1_11target_archE1200ELNS1_3gpuE4ELNS1_3repE0EEENS1_30default_config_static_selectorELNS0_4arch9wavefront6targetE1EEEvT1_
	.p2align	8
	.type	_ZN7rocprim17ROCPRIM_400000_NS6detail17trampoline_kernelINS0_14default_configENS1_20scan_config_selectorIfEEZZNS1_9scan_implILNS1_25lookback_scan_determinismE0ELb0ELb0ES3_N6thrust23THRUST_200600_302600_NS6detail15normal_iteratorINS9_10device_ptrIfEEEESE_f11max_functorIfEfEEDaPvRmT3_T4_T5_mT6_P12ihipStream_tbENKUlT_T0_E_clISt17integral_constantIbLb1EEST_IbLb0EEEEDaSP_SQ_EUlSP_E_NS1_11comp_targetILNS1_3genE10ELNS1_11target_archE1200ELNS1_3gpuE4ELNS1_3repE0EEENS1_30default_config_static_selectorELNS0_4arch9wavefront6targetE1EEEvT1_,@function
_ZN7rocprim17ROCPRIM_400000_NS6detail17trampoline_kernelINS0_14default_configENS1_20scan_config_selectorIfEEZZNS1_9scan_implILNS1_25lookback_scan_determinismE0ELb0ELb0ES3_N6thrust23THRUST_200600_302600_NS6detail15normal_iteratorINS9_10device_ptrIfEEEESE_f11max_functorIfEfEEDaPvRmT3_T4_T5_mT6_P12ihipStream_tbENKUlT_T0_E_clISt17integral_constantIbLb1EEST_IbLb0EEEEDaSP_SQ_EUlSP_E_NS1_11comp_targetILNS1_3genE10ELNS1_11target_archE1200ELNS1_3gpuE4ELNS1_3repE0EEENS1_30default_config_static_selectorELNS0_4arch9wavefront6targetE1EEEvT1_: ; @_ZN7rocprim17ROCPRIM_400000_NS6detail17trampoline_kernelINS0_14default_configENS1_20scan_config_selectorIfEEZZNS1_9scan_implILNS1_25lookback_scan_determinismE0ELb0ELb0ES3_N6thrust23THRUST_200600_302600_NS6detail15normal_iteratorINS9_10device_ptrIfEEEESE_f11max_functorIfEfEEDaPvRmT3_T4_T5_mT6_P12ihipStream_tbENKUlT_T0_E_clISt17integral_constantIbLb1EEST_IbLb0EEEEDaSP_SQ_EUlSP_E_NS1_11comp_targetILNS1_3genE10ELNS1_11target_archE1200ELNS1_3gpuE4ELNS1_3repE0EEENS1_30default_config_static_selectorELNS0_4arch9wavefront6targetE1EEEvT1_
; %bb.0:
	.section	.rodata,"a",@progbits
	.p2align	6, 0x0
	.amdhsa_kernel _ZN7rocprim17ROCPRIM_400000_NS6detail17trampoline_kernelINS0_14default_configENS1_20scan_config_selectorIfEEZZNS1_9scan_implILNS1_25lookback_scan_determinismE0ELb0ELb0ES3_N6thrust23THRUST_200600_302600_NS6detail15normal_iteratorINS9_10device_ptrIfEEEESE_f11max_functorIfEfEEDaPvRmT3_T4_T5_mT6_P12ihipStream_tbENKUlT_T0_E_clISt17integral_constantIbLb1EEST_IbLb0EEEEDaSP_SQ_EUlSP_E_NS1_11comp_targetILNS1_3genE10ELNS1_11target_archE1200ELNS1_3gpuE4ELNS1_3repE0EEENS1_30default_config_static_selectorELNS0_4arch9wavefront6targetE1EEEvT1_
		.amdhsa_group_segment_fixed_size 0
		.amdhsa_private_segment_fixed_size 0
		.amdhsa_kernarg_size 96
		.amdhsa_user_sgpr_count 6
		.amdhsa_user_sgpr_private_segment_buffer 1
		.amdhsa_user_sgpr_dispatch_ptr 0
		.amdhsa_user_sgpr_queue_ptr 0
		.amdhsa_user_sgpr_kernarg_segment_ptr 1
		.amdhsa_user_sgpr_dispatch_id 0
		.amdhsa_user_sgpr_flat_scratch_init 0
		.amdhsa_user_sgpr_kernarg_preload_length 0
		.amdhsa_user_sgpr_kernarg_preload_offset 0
		.amdhsa_user_sgpr_private_segment_size 0
		.amdhsa_uses_dynamic_stack 0
		.amdhsa_system_sgpr_private_segment_wavefront_offset 0
		.amdhsa_system_sgpr_workgroup_id_x 1
		.amdhsa_system_sgpr_workgroup_id_y 0
		.amdhsa_system_sgpr_workgroup_id_z 0
		.amdhsa_system_sgpr_workgroup_info 0
		.amdhsa_system_vgpr_workitem_id 0
		.amdhsa_next_free_vgpr 1
		.amdhsa_next_free_sgpr 0
		.amdhsa_accum_offset 4
		.amdhsa_reserve_vcc 0
		.amdhsa_reserve_flat_scratch 0
		.amdhsa_float_round_mode_32 0
		.amdhsa_float_round_mode_16_64 0
		.amdhsa_float_denorm_mode_32 3
		.amdhsa_float_denorm_mode_16_64 3
		.amdhsa_dx10_clamp 1
		.amdhsa_ieee_mode 1
		.amdhsa_fp16_overflow 0
		.amdhsa_tg_split 0
		.amdhsa_exception_fp_ieee_invalid_op 0
		.amdhsa_exception_fp_denorm_src 0
		.amdhsa_exception_fp_ieee_div_zero 0
		.amdhsa_exception_fp_ieee_overflow 0
		.amdhsa_exception_fp_ieee_underflow 0
		.amdhsa_exception_fp_ieee_inexact 0
		.amdhsa_exception_int_div_zero 0
	.end_amdhsa_kernel
	.section	.text._ZN7rocprim17ROCPRIM_400000_NS6detail17trampoline_kernelINS0_14default_configENS1_20scan_config_selectorIfEEZZNS1_9scan_implILNS1_25lookback_scan_determinismE0ELb0ELb0ES3_N6thrust23THRUST_200600_302600_NS6detail15normal_iteratorINS9_10device_ptrIfEEEESE_f11max_functorIfEfEEDaPvRmT3_T4_T5_mT6_P12ihipStream_tbENKUlT_T0_E_clISt17integral_constantIbLb1EEST_IbLb0EEEEDaSP_SQ_EUlSP_E_NS1_11comp_targetILNS1_3genE10ELNS1_11target_archE1200ELNS1_3gpuE4ELNS1_3repE0EEENS1_30default_config_static_selectorELNS0_4arch9wavefront6targetE1EEEvT1_,"axG",@progbits,_ZN7rocprim17ROCPRIM_400000_NS6detail17trampoline_kernelINS0_14default_configENS1_20scan_config_selectorIfEEZZNS1_9scan_implILNS1_25lookback_scan_determinismE0ELb0ELb0ES3_N6thrust23THRUST_200600_302600_NS6detail15normal_iteratorINS9_10device_ptrIfEEEESE_f11max_functorIfEfEEDaPvRmT3_T4_T5_mT6_P12ihipStream_tbENKUlT_T0_E_clISt17integral_constantIbLb1EEST_IbLb0EEEEDaSP_SQ_EUlSP_E_NS1_11comp_targetILNS1_3genE10ELNS1_11target_archE1200ELNS1_3gpuE4ELNS1_3repE0EEENS1_30default_config_static_selectorELNS0_4arch9wavefront6targetE1EEEvT1_,comdat
.Lfunc_end1985:
	.size	_ZN7rocprim17ROCPRIM_400000_NS6detail17trampoline_kernelINS0_14default_configENS1_20scan_config_selectorIfEEZZNS1_9scan_implILNS1_25lookback_scan_determinismE0ELb0ELb0ES3_N6thrust23THRUST_200600_302600_NS6detail15normal_iteratorINS9_10device_ptrIfEEEESE_f11max_functorIfEfEEDaPvRmT3_T4_T5_mT6_P12ihipStream_tbENKUlT_T0_E_clISt17integral_constantIbLb1EEST_IbLb0EEEEDaSP_SQ_EUlSP_E_NS1_11comp_targetILNS1_3genE10ELNS1_11target_archE1200ELNS1_3gpuE4ELNS1_3repE0EEENS1_30default_config_static_selectorELNS0_4arch9wavefront6targetE1EEEvT1_, .Lfunc_end1985-_ZN7rocprim17ROCPRIM_400000_NS6detail17trampoline_kernelINS0_14default_configENS1_20scan_config_selectorIfEEZZNS1_9scan_implILNS1_25lookback_scan_determinismE0ELb0ELb0ES3_N6thrust23THRUST_200600_302600_NS6detail15normal_iteratorINS9_10device_ptrIfEEEESE_f11max_functorIfEfEEDaPvRmT3_T4_T5_mT6_P12ihipStream_tbENKUlT_T0_E_clISt17integral_constantIbLb1EEST_IbLb0EEEEDaSP_SQ_EUlSP_E_NS1_11comp_targetILNS1_3genE10ELNS1_11target_archE1200ELNS1_3gpuE4ELNS1_3repE0EEENS1_30default_config_static_selectorELNS0_4arch9wavefront6targetE1EEEvT1_
                                        ; -- End function
	.section	.AMDGPU.csdata,"",@progbits
; Kernel info:
; codeLenInByte = 0
; NumSgprs: 4
; NumVgprs: 0
; NumAgprs: 0
; TotalNumVgprs: 0
; ScratchSize: 0
; MemoryBound: 0
; FloatMode: 240
; IeeeMode: 1
; LDSByteSize: 0 bytes/workgroup (compile time only)
; SGPRBlocks: 0
; VGPRBlocks: 0
; NumSGPRsForWavesPerEU: 4
; NumVGPRsForWavesPerEU: 1
; AccumOffset: 4
; Occupancy: 8
; WaveLimiterHint : 0
; COMPUTE_PGM_RSRC2:SCRATCH_EN: 0
; COMPUTE_PGM_RSRC2:USER_SGPR: 6
; COMPUTE_PGM_RSRC2:TRAP_HANDLER: 0
; COMPUTE_PGM_RSRC2:TGID_X_EN: 1
; COMPUTE_PGM_RSRC2:TGID_Y_EN: 0
; COMPUTE_PGM_RSRC2:TGID_Z_EN: 0
; COMPUTE_PGM_RSRC2:TIDIG_COMP_CNT: 0
; COMPUTE_PGM_RSRC3_GFX90A:ACCUM_OFFSET: 0
; COMPUTE_PGM_RSRC3_GFX90A:TG_SPLIT: 0
	.section	.text._ZN7rocprim17ROCPRIM_400000_NS6detail17trampoline_kernelINS0_14default_configENS1_20scan_config_selectorIfEEZZNS1_9scan_implILNS1_25lookback_scan_determinismE0ELb0ELb0ES3_N6thrust23THRUST_200600_302600_NS6detail15normal_iteratorINS9_10device_ptrIfEEEESE_f11max_functorIfEfEEDaPvRmT3_T4_T5_mT6_P12ihipStream_tbENKUlT_T0_E_clISt17integral_constantIbLb1EEST_IbLb0EEEEDaSP_SQ_EUlSP_E_NS1_11comp_targetILNS1_3genE9ELNS1_11target_archE1100ELNS1_3gpuE3ELNS1_3repE0EEENS1_30default_config_static_selectorELNS0_4arch9wavefront6targetE1EEEvT1_,"axG",@progbits,_ZN7rocprim17ROCPRIM_400000_NS6detail17trampoline_kernelINS0_14default_configENS1_20scan_config_selectorIfEEZZNS1_9scan_implILNS1_25lookback_scan_determinismE0ELb0ELb0ES3_N6thrust23THRUST_200600_302600_NS6detail15normal_iteratorINS9_10device_ptrIfEEEESE_f11max_functorIfEfEEDaPvRmT3_T4_T5_mT6_P12ihipStream_tbENKUlT_T0_E_clISt17integral_constantIbLb1EEST_IbLb0EEEEDaSP_SQ_EUlSP_E_NS1_11comp_targetILNS1_3genE9ELNS1_11target_archE1100ELNS1_3gpuE3ELNS1_3repE0EEENS1_30default_config_static_selectorELNS0_4arch9wavefront6targetE1EEEvT1_,comdat
	.protected	_ZN7rocprim17ROCPRIM_400000_NS6detail17trampoline_kernelINS0_14default_configENS1_20scan_config_selectorIfEEZZNS1_9scan_implILNS1_25lookback_scan_determinismE0ELb0ELb0ES3_N6thrust23THRUST_200600_302600_NS6detail15normal_iteratorINS9_10device_ptrIfEEEESE_f11max_functorIfEfEEDaPvRmT3_T4_T5_mT6_P12ihipStream_tbENKUlT_T0_E_clISt17integral_constantIbLb1EEST_IbLb0EEEEDaSP_SQ_EUlSP_E_NS1_11comp_targetILNS1_3genE9ELNS1_11target_archE1100ELNS1_3gpuE3ELNS1_3repE0EEENS1_30default_config_static_selectorELNS0_4arch9wavefront6targetE1EEEvT1_ ; -- Begin function _ZN7rocprim17ROCPRIM_400000_NS6detail17trampoline_kernelINS0_14default_configENS1_20scan_config_selectorIfEEZZNS1_9scan_implILNS1_25lookback_scan_determinismE0ELb0ELb0ES3_N6thrust23THRUST_200600_302600_NS6detail15normal_iteratorINS9_10device_ptrIfEEEESE_f11max_functorIfEfEEDaPvRmT3_T4_T5_mT6_P12ihipStream_tbENKUlT_T0_E_clISt17integral_constantIbLb1EEST_IbLb0EEEEDaSP_SQ_EUlSP_E_NS1_11comp_targetILNS1_3genE9ELNS1_11target_archE1100ELNS1_3gpuE3ELNS1_3repE0EEENS1_30default_config_static_selectorELNS0_4arch9wavefront6targetE1EEEvT1_
	.globl	_ZN7rocprim17ROCPRIM_400000_NS6detail17trampoline_kernelINS0_14default_configENS1_20scan_config_selectorIfEEZZNS1_9scan_implILNS1_25lookback_scan_determinismE0ELb0ELb0ES3_N6thrust23THRUST_200600_302600_NS6detail15normal_iteratorINS9_10device_ptrIfEEEESE_f11max_functorIfEfEEDaPvRmT3_T4_T5_mT6_P12ihipStream_tbENKUlT_T0_E_clISt17integral_constantIbLb1EEST_IbLb0EEEEDaSP_SQ_EUlSP_E_NS1_11comp_targetILNS1_3genE9ELNS1_11target_archE1100ELNS1_3gpuE3ELNS1_3repE0EEENS1_30default_config_static_selectorELNS0_4arch9wavefront6targetE1EEEvT1_
	.p2align	8
	.type	_ZN7rocprim17ROCPRIM_400000_NS6detail17trampoline_kernelINS0_14default_configENS1_20scan_config_selectorIfEEZZNS1_9scan_implILNS1_25lookback_scan_determinismE0ELb0ELb0ES3_N6thrust23THRUST_200600_302600_NS6detail15normal_iteratorINS9_10device_ptrIfEEEESE_f11max_functorIfEfEEDaPvRmT3_T4_T5_mT6_P12ihipStream_tbENKUlT_T0_E_clISt17integral_constantIbLb1EEST_IbLb0EEEEDaSP_SQ_EUlSP_E_NS1_11comp_targetILNS1_3genE9ELNS1_11target_archE1100ELNS1_3gpuE3ELNS1_3repE0EEENS1_30default_config_static_selectorELNS0_4arch9wavefront6targetE1EEEvT1_,@function
_ZN7rocprim17ROCPRIM_400000_NS6detail17trampoline_kernelINS0_14default_configENS1_20scan_config_selectorIfEEZZNS1_9scan_implILNS1_25lookback_scan_determinismE0ELb0ELb0ES3_N6thrust23THRUST_200600_302600_NS6detail15normal_iteratorINS9_10device_ptrIfEEEESE_f11max_functorIfEfEEDaPvRmT3_T4_T5_mT6_P12ihipStream_tbENKUlT_T0_E_clISt17integral_constantIbLb1EEST_IbLb0EEEEDaSP_SQ_EUlSP_E_NS1_11comp_targetILNS1_3genE9ELNS1_11target_archE1100ELNS1_3gpuE3ELNS1_3repE0EEENS1_30default_config_static_selectorELNS0_4arch9wavefront6targetE1EEEvT1_: ; @_ZN7rocprim17ROCPRIM_400000_NS6detail17trampoline_kernelINS0_14default_configENS1_20scan_config_selectorIfEEZZNS1_9scan_implILNS1_25lookback_scan_determinismE0ELb0ELb0ES3_N6thrust23THRUST_200600_302600_NS6detail15normal_iteratorINS9_10device_ptrIfEEEESE_f11max_functorIfEfEEDaPvRmT3_T4_T5_mT6_P12ihipStream_tbENKUlT_T0_E_clISt17integral_constantIbLb1EEST_IbLb0EEEEDaSP_SQ_EUlSP_E_NS1_11comp_targetILNS1_3genE9ELNS1_11target_archE1100ELNS1_3gpuE3ELNS1_3repE0EEENS1_30default_config_static_selectorELNS0_4arch9wavefront6targetE1EEEvT1_
; %bb.0:
	.section	.rodata,"a",@progbits
	.p2align	6, 0x0
	.amdhsa_kernel _ZN7rocprim17ROCPRIM_400000_NS6detail17trampoline_kernelINS0_14default_configENS1_20scan_config_selectorIfEEZZNS1_9scan_implILNS1_25lookback_scan_determinismE0ELb0ELb0ES3_N6thrust23THRUST_200600_302600_NS6detail15normal_iteratorINS9_10device_ptrIfEEEESE_f11max_functorIfEfEEDaPvRmT3_T4_T5_mT6_P12ihipStream_tbENKUlT_T0_E_clISt17integral_constantIbLb1EEST_IbLb0EEEEDaSP_SQ_EUlSP_E_NS1_11comp_targetILNS1_3genE9ELNS1_11target_archE1100ELNS1_3gpuE3ELNS1_3repE0EEENS1_30default_config_static_selectorELNS0_4arch9wavefront6targetE1EEEvT1_
		.amdhsa_group_segment_fixed_size 0
		.amdhsa_private_segment_fixed_size 0
		.amdhsa_kernarg_size 96
		.amdhsa_user_sgpr_count 6
		.amdhsa_user_sgpr_private_segment_buffer 1
		.amdhsa_user_sgpr_dispatch_ptr 0
		.amdhsa_user_sgpr_queue_ptr 0
		.amdhsa_user_sgpr_kernarg_segment_ptr 1
		.amdhsa_user_sgpr_dispatch_id 0
		.amdhsa_user_sgpr_flat_scratch_init 0
		.amdhsa_user_sgpr_kernarg_preload_length 0
		.amdhsa_user_sgpr_kernarg_preload_offset 0
		.amdhsa_user_sgpr_private_segment_size 0
		.amdhsa_uses_dynamic_stack 0
		.amdhsa_system_sgpr_private_segment_wavefront_offset 0
		.amdhsa_system_sgpr_workgroup_id_x 1
		.amdhsa_system_sgpr_workgroup_id_y 0
		.amdhsa_system_sgpr_workgroup_id_z 0
		.amdhsa_system_sgpr_workgroup_info 0
		.amdhsa_system_vgpr_workitem_id 0
		.amdhsa_next_free_vgpr 1
		.amdhsa_next_free_sgpr 0
		.amdhsa_accum_offset 4
		.amdhsa_reserve_vcc 0
		.amdhsa_reserve_flat_scratch 0
		.amdhsa_float_round_mode_32 0
		.amdhsa_float_round_mode_16_64 0
		.amdhsa_float_denorm_mode_32 3
		.amdhsa_float_denorm_mode_16_64 3
		.amdhsa_dx10_clamp 1
		.amdhsa_ieee_mode 1
		.amdhsa_fp16_overflow 0
		.amdhsa_tg_split 0
		.amdhsa_exception_fp_ieee_invalid_op 0
		.amdhsa_exception_fp_denorm_src 0
		.amdhsa_exception_fp_ieee_div_zero 0
		.amdhsa_exception_fp_ieee_overflow 0
		.amdhsa_exception_fp_ieee_underflow 0
		.amdhsa_exception_fp_ieee_inexact 0
		.amdhsa_exception_int_div_zero 0
	.end_amdhsa_kernel
	.section	.text._ZN7rocprim17ROCPRIM_400000_NS6detail17trampoline_kernelINS0_14default_configENS1_20scan_config_selectorIfEEZZNS1_9scan_implILNS1_25lookback_scan_determinismE0ELb0ELb0ES3_N6thrust23THRUST_200600_302600_NS6detail15normal_iteratorINS9_10device_ptrIfEEEESE_f11max_functorIfEfEEDaPvRmT3_T4_T5_mT6_P12ihipStream_tbENKUlT_T0_E_clISt17integral_constantIbLb1EEST_IbLb0EEEEDaSP_SQ_EUlSP_E_NS1_11comp_targetILNS1_3genE9ELNS1_11target_archE1100ELNS1_3gpuE3ELNS1_3repE0EEENS1_30default_config_static_selectorELNS0_4arch9wavefront6targetE1EEEvT1_,"axG",@progbits,_ZN7rocprim17ROCPRIM_400000_NS6detail17trampoline_kernelINS0_14default_configENS1_20scan_config_selectorIfEEZZNS1_9scan_implILNS1_25lookback_scan_determinismE0ELb0ELb0ES3_N6thrust23THRUST_200600_302600_NS6detail15normal_iteratorINS9_10device_ptrIfEEEESE_f11max_functorIfEfEEDaPvRmT3_T4_T5_mT6_P12ihipStream_tbENKUlT_T0_E_clISt17integral_constantIbLb1EEST_IbLb0EEEEDaSP_SQ_EUlSP_E_NS1_11comp_targetILNS1_3genE9ELNS1_11target_archE1100ELNS1_3gpuE3ELNS1_3repE0EEENS1_30default_config_static_selectorELNS0_4arch9wavefront6targetE1EEEvT1_,comdat
.Lfunc_end1986:
	.size	_ZN7rocprim17ROCPRIM_400000_NS6detail17trampoline_kernelINS0_14default_configENS1_20scan_config_selectorIfEEZZNS1_9scan_implILNS1_25lookback_scan_determinismE0ELb0ELb0ES3_N6thrust23THRUST_200600_302600_NS6detail15normal_iteratorINS9_10device_ptrIfEEEESE_f11max_functorIfEfEEDaPvRmT3_T4_T5_mT6_P12ihipStream_tbENKUlT_T0_E_clISt17integral_constantIbLb1EEST_IbLb0EEEEDaSP_SQ_EUlSP_E_NS1_11comp_targetILNS1_3genE9ELNS1_11target_archE1100ELNS1_3gpuE3ELNS1_3repE0EEENS1_30default_config_static_selectorELNS0_4arch9wavefront6targetE1EEEvT1_, .Lfunc_end1986-_ZN7rocprim17ROCPRIM_400000_NS6detail17trampoline_kernelINS0_14default_configENS1_20scan_config_selectorIfEEZZNS1_9scan_implILNS1_25lookback_scan_determinismE0ELb0ELb0ES3_N6thrust23THRUST_200600_302600_NS6detail15normal_iteratorINS9_10device_ptrIfEEEESE_f11max_functorIfEfEEDaPvRmT3_T4_T5_mT6_P12ihipStream_tbENKUlT_T0_E_clISt17integral_constantIbLb1EEST_IbLb0EEEEDaSP_SQ_EUlSP_E_NS1_11comp_targetILNS1_3genE9ELNS1_11target_archE1100ELNS1_3gpuE3ELNS1_3repE0EEENS1_30default_config_static_selectorELNS0_4arch9wavefront6targetE1EEEvT1_
                                        ; -- End function
	.section	.AMDGPU.csdata,"",@progbits
; Kernel info:
; codeLenInByte = 0
; NumSgprs: 4
; NumVgprs: 0
; NumAgprs: 0
; TotalNumVgprs: 0
; ScratchSize: 0
; MemoryBound: 0
; FloatMode: 240
; IeeeMode: 1
; LDSByteSize: 0 bytes/workgroup (compile time only)
; SGPRBlocks: 0
; VGPRBlocks: 0
; NumSGPRsForWavesPerEU: 4
; NumVGPRsForWavesPerEU: 1
; AccumOffset: 4
; Occupancy: 8
; WaveLimiterHint : 0
; COMPUTE_PGM_RSRC2:SCRATCH_EN: 0
; COMPUTE_PGM_RSRC2:USER_SGPR: 6
; COMPUTE_PGM_RSRC2:TRAP_HANDLER: 0
; COMPUTE_PGM_RSRC2:TGID_X_EN: 1
; COMPUTE_PGM_RSRC2:TGID_Y_EN: 0
; COMPUTE_PGM_RSRC2:TGID_Z_EN: 0
; COMPUTE_PGM_RSRC2:TIDIG_COMP_CNT: 0
; COMPUTE_PGM_RSRC3_GFX90A:ACCUM_OFFSET: 0
; COMPUTE_PGM_RSRC3_GFX90A:TG_SPLIT: 0
	.section	.text._ZN7rocprim17ROCPRIM_400000_NS6detail17trampoline_kernelINS0_14default_configENS1_20scan_config_selectorIfEEZZNS1_9scan_implILNS1_25lookback_scan_determinismE0ELb0ELb0ES3_N6thrust23THRUST_200600_302600_NS6detail15normal_iteratorINS9_10device_ptrIfEEEESE_f11max_functorIfEfEEDaPvRmT3_T4_T5_mT6_P12ihipStream_tbENKUlT_T0_E_clISt17integral_constantIbLb1EEST_IbLb0EEEEDaSP_SQ_EUlSP_E_NS1_11comp_targetILNS1_3genE8ELNS1_11target_archE1030ELNS1_3gpuE2ELNS1_3repE0EEENS1_30default_config_static_selectorELNS0_4arch9wavefront6targetE1EEEvT1_,"axG",@progbits,_ZN7rocprim17ROCPRIM_400000_NS6detail17trampoline_kernelINS0_14default_configENS1_20scan_config_selectorIfEEZZNS1_9scan_implILNS1_25lookback_scan_determinismE0ELb0ELb0ES3_N6thrust23THRUST_200600_302600_NS6detail15normal_iteratorINS9_10device_ptrIfEEEESE_f11max_functorIfEfEEDaPvRmT3_T4_T5_mT6_P12ihipStream_tbENKUlT_T0_E_clISt17integral_constantIbLb1EEST_IbLb0EEEEDaSP_SQ_EUlSP_E_NS1_11comp_targetILNS1_3genE8ELNS1_11target_archE1030ELNS1_3gpuE2ELNS1_3repE0EEENS1_30default_config_static_selectorELNS0_4arch9wavefront6targetE1EEEvT1_,comdat
	.protected	_ZN7rocprim17ROCPRIM_400000_NS6detail17trampoline_kernelINS0_14default_configENS1_20scan_config_selectorIfEEZZNS1_9scan_implILNS1_25lookback_scan_determinismE0ELb0ELb0ES3_N6thrust23THRUST_200600_302600_NS6detail15normal_iteratorINS9_10device_ptrIfEEEESE_f11max_functorIfEfEEDaPvRmT3_T4_T5_mT6_P12ihipStream_tbENKUlT_T0_E_clISt17integral_constantIbLb1EEST_IbLb0EEEEDaSP_SQ_EUlSP_E_NS1_11comp_targetILNS1_3genE8ELNS1_11target_archE1030ELNS1_3gpuE2ELNS1_3repE0EEENS1_30default_config_static_selectorELNS0_4arch9wavefront6targetE1EEEvT1_ ; -- Begin function _ZN7rocprim17ROCPRIM_400000_NS6detail17trampoline_kernelINS0_14default_configENS1_20scan_config_selectorIfEEZZNS1_9scan_implILNS1_25lookback_scan_determinismE0ELb0ELb0ES3_N6thrust23THRUST_200600_302600_NS6detail15normal_iteratorINS9_10device_ptrIfEEEESE_f11max_functorIfEfEEDaPvRmT3_T4_T5_mT6_P12ihipStream_tbENKUlT_T0_E_clISt17integral_constantIbLb1EEST_IbLb0EEEEDaSP_SQ_EUlSP_E_NS1_11comp_targetILNS1_3genE8ELNS1_11target_archE1030ELNS1_3gpuE2ELNS1_3repE0EEENS1_30default_config_static_selectorELNS0_4arch9wavefront6targetE1EEEvT1_
	.globl	_ZN7rocprim17ROCPRIM_400000_NS6detail17trampoline_kernelINS0_14default_configENS1_20scan_config_selectorIfEEZZNS1_9scan_implILNS1_25lookback_scan_determinismE0ELb0ELb0ES3_N6thrust23THRUST_200600_302600_NS6detail15normal_iteratorINS9_10device_ptrIfEEEESE_f11max_functorIfEfEEDaPvRmT3_T4_T5_mT6_P12ihipStream_tbENKUlT_T0_E_clISt17integral_constantIbLb1EEST_IbLb0EEEEDaSP_SQ_EUlSP_E_NS1_11comp_targetILNS1_3genE8ELNS1_11target_archE1030ELNS1_3gpuE2ELNS1_3repE0EEENS1_30default_config_static_selectorELNS0_4arch9wavefront6targetE1EEEvT1_
	.p2align	8
	.type	_ZN7rocprim17ROCPRIM_400000_NS6detail17trampoline_kernelINS0_14default_configENS1_20scan_config_selectorIfEEZZNS1_9scan_implILNS1_25lookback_scan_determinismE0ELb0ELb0ES3_N6thrust23THRUST_200600_302600_NS6detail15normal_iteratorINS9_10device_ptrIfEEEESE_f11max_functorIfEfEEDaPvRmT3_T4_T5_mT6_P12ihipStream_tbENKUlT_T0_E_clISt17integral_constantIbLb1EEST_IbLb0EEEEDaSP_SQ_EUlSP_E_NS1_11comp_targetILNS1_3genE8ELNS1_11target_archE1030ELNS1_3gpuE2ELNS1_3repE0EEENS1_30default_config_static_selectorELNS0_4arch9wavefront6targetE1EEEvT1_,@function
_ZN7rocprim17ROCPRIM_400000_NS6detail17trampoline_kernelINS0_14default_configENS1_20scan_config_selectorIfEEZZNS1_9scan_implILNS1_25lookback_scan_determinismE0ELb0ELb0ES3_N6thrust23THRUST_200600_302600_NS6detail15normal_iteratorINS9_10device_ptrIfEEEESE_f11max_functorIfEfEEDaPvRmT3_T4_T5_mT6_P12ihipStream_tbENKUlT_T0_E_clISt17integral_constantIbLb1EEST_IbLb0EEEEDaSP_SQ_EUlSP_E_NS1_11comp_targetILNS1_3genE8ELNS1_11target_archE1030ELNS1_3gpuE2ELNS1_3repE0EEENS1_30default_config_static_selectorELNS0_4arch9wavefront6targetE1EEEvT1_: ; @_ZN7rocprim17ROCPRIM_400000_NS6detail17trampoline_kernelINS0_14default_configENS1_20scan_config_selectorIfEEZZNS1_9scan_implILNS1_25lookback_scan_determinismE0ELb0ELb0ES3_N6thrust23THRUST_200600_302600_NS6detail15normal_iteratorINS9_10device_ptrIfEEEESE_f11max_functorIfEfEEDaPvRmT3_T4_T5_mT6_P12ihipStream_tbENKUlT_T0_E_clISt17integral_constantIbLb1EEST_IbLb0EEEEDaSP_SQ_EUlSP_E_NS1_11comp_targetILNS1_3genE8ELNS1_11target_archE1030ELNS1_3gpuE2ELNS1_3repE0EEENS1_30default_config_static_selectorELNS0_4arch9wavefront6targetE1EEEvT1_
; %bb.0:
	.section	.rodata,"a",@progbits
	.p2align	6, 0x0
	.amdhsa_kernel _ZN7rocprim17ROCPRIM_400000_NS6detail17trampoline_kernelINS0_14default_configENS1_20scan_config_selectorIfEEZZNS1_9scan_implILNS1_25lookback_scan_determinismE0ELb0ELb0ES3_N6thrust23THRUST_200600_302600_NS6detail15normal_iteratorINS9_10device_ptrIfEEEESE_f11max_functorIfEfEEDaPvRmT3_T4_T5_mT6_P12ihipStream_tbENKUlT_T0_E_clISt17integral_constantIbLb1EEST_IbLb0EEEEDaSP_SQ_EUlSP_E_NS1_11comp_targetILNS1_3genE8ELNS1_11target_archE1030ELNS1_3gpuE2ELNS1_3repE0EEENS1_30default_config_static_selectorELNS0_4arch9wavefront6targetE1EEEvT1_
		.amdhsa_group_segment_fixed_size 0
		.amdhsa_private_segment_fixed_size 0
		.amdhsa_kernarg_size 96
		.amdhsa_user_sgpr_count 6
		.amdhsa_user_sgpr_private_segment_buffer 1
		.amdhsa_user_sgpr_dispatch_ptr 0
		.amdhsa_user_sgpr_queue_ptr 0
		.amdhsa_user_sgpr_kernarg_segment_ptr 1
		.amdhsa_user_sgpr_dispatch_id 0
		.amdhsa_user_sgpr_flat_scratch_init 0
		.amdhsa_user_sgpr_kernarg_preload_length 0
		.amdhsa_user_sgpr_kernarg_preload_offset 0
		.amdhsa_user_sgpr_private_segment_size 0
		.amdhsa_uses_dynamic_stack 0
		.amdhsa_system_sgpr_private_segment_wavefront_offset 0
		.amdhsa_system_sgpr_workgroup_id_x 1
		.amdhsa_system_sgpr_workgroup_id_y 0
		.amdhsa_system_sgpr_workgroup_id_z 0
		.amdhsa_system_sgpr_workgroup_info 0
		.amdhsa_system_vgpr_workitem_id 0
		.amdhsa_next_free_vgpr 1
		.amdhsa_next_free_sgpr 0
		.amdhsa_accum_offset 4
		.amdhsa_reserve_vcc 0
		.amdhsa_reserve_flat_scratch 0
		.amdhsa_float_round_mode_32 0
		.amdhsa_float_round_mode_16_64 0
		.amdhsa_float_denorm_mode_32 3
		.amdhsa_float_denorm_mode_16_64 3
		.amdhsa_dx10_clamp 1
		.amdhsa_ieee_mode 1
		.amdhsa_fp16_overflow 0
		.amdhsa_tg_split 0
		.amdhsa_exception_fp_ieee_invalid_op 0
		.amdhsa_exception_fp_denorm_src 0
		.amdhsa_exception_fp_ieee_div_zero 0
		.amdhsa_exception_fp_ieee_overflow 0
		.amdhsa_exception_fp_ieee_underflow 0
		.amdhsa_exception_fp_ieee_inexact 0
		.amdhsa_exception_int_div_zero 0
	.end_amdhsa_kernel
	.section	.text._ZN7rocprim17ROCPRIM_400000_NS6detail17trampoline_kernelINS0_14default_configENS1_20scan_config_selectorIfEEZZNS1_9scan_implILNS1_25lookback_scan_determinismE0ELb0ELb0ES3_N6thrust23THRUST_200600_302600_NS6detail15normal_iteratorINS9_10device_ptrIfEEEESE_f11max_functorIfEfEEDaPvRmT3_T4_T5_mT6_P12ihipStream_tbENKUlT_T0_E_clISt17integral_constantIbLb1EEST_IbLb0EEEEDaSP_SQ_EUlSP_E_NS1_11comp_targetILNS1_3genE8ELNS1_11target_archE1030ELNS1_3gpuE2ELNS1_3repE0EEENS1_30default_config_static_selectorELNS0_4arch9wavefront6targetE1EEEvT1_,"axG",@progbits,_ZN7rocprim17ROCPRIM_400000_NS6detail17trampoline_kernelINS0_14default_configENS1_20scan_config_selectorIfEEZZNS1_9scan_implILNS1_25lookback_scan_determinismE0ELb0ELb0ES3_N6thrust23THRUST_200600_302600_NS6detail15normal_iteratorINS9_10device_ptrIfEEEESE_f11max_functorIfEfEEDaPvRmT3_T4_T5_mT6_P12ihipStream_tbENKUlT_T0_E_clISt17integral_constantIbLb1EEST_IbLb0EEEEDaSP_SQ_EUlSP_E_NS1_11comp_targetILNS1_3genE8ELNS1_11target_archE1030ELNS1_3gpuE2ELNS1_3repE0EEENS1_30default_config_static_selectorELNS0_4arch9wavefront6targetE1EEEvT1_,comdat
.Lfunc_end1987:
	.size	_ZN7rocprim17ROCPRIM_400000_NS6detail17trampoline_kernelINS0_14default_configENS1_20scan_config_selectorIfEEZZNS1_9scan_implILNS1_25lookback_scan_determinismE0ELb0ELb0ES3_N6thrust23THRUST_200600_302600_NS6detail15normal_iteratorINS9_10device_ptrIfEEEESE_f11max_functorIfEfEEDaPvRmT3_T4_T5_mT6_P12ihipStream_tbENKUlT_T0_E_clISt17integral_constantIbLb1EEST_IbLb0EEEEDaSP_SQ_EUlSP_E_NS1_11comp_targetILNS1_3genE8ELNS1_11target_archE1030ELNS1_3gpuE2ELNS1_3repE0EEENS1_30default_config_static_selectorELNS0_4arch9wavefront6targetE1EEEvT1_, .Lfunc_end1987-_ZN7rocprim17ROCPRIM_400000_NS6detail17trampoline_kernelINS0_14default_configENS1_20scan_config_selectorIfEEZZNS1_9scan_implILNS1_25lookback_scan_determinismE0ELb0ELb0ES3_N6thrust23THRUST_200600_302600_NS6detail15normal_iteratorINS9_10device_ptrIfEEEESE_f11max_functorIfEfEEDaPvRmT3_T4_T5_mT6_P12ihipStream_tbENKUlT_T0_E_clISt17integral_constantIbLb1EEST_IbLb0EEEEDaSP_SQ_EUlSP_E_NS1_11comp_targetILNS1_3genE8ELNS1_11target_archE1030ELNS1_3gpuE2ELNS1_3repE0EEENS1_30default_config_static_selectorELNS0_4arch9wavefront6targetE1EEEvT1_
                                        ; -- End function
	.section	.AMDGPU.csdata,"",@progbits
; Kernel info:
; codeLenInByte = 0
; NumSgprs: 4
; NumVgprs: 0
; NumAgprs: 0
; TotalNumVgprs: 0
; ScratchSize: 0
; MemoryBound: 0
; FloatMode: 240
; IeeeMode: 1
; LDSByteSize: 0 bytes/workgroup (compile time only)
; SGPRBlocks: 0
; VGPRBlocks: 0
; NumSGPRsForWavesPerEU: 4
; NumVGPRsForWavesPerEU: 1
; AccumOffset: 4
; Occupancy: 8
; WaveLimiterHint : 0
; COMPUTE_PGM_RSRC2:SCRATCH_EN: 0
; COMPUTE_PGM_RSRC2:USER_SGPR: 6
; COMPUTE_PGM_RSRC2:TRAP_HANDLER: 0
; COMPUTE_PGM_RSRC2:TGID_X_EN: 1
; COMPUTE_PGM_RSRC2:TGID_Y_EN: 0
; COMPUTE_PGM_RSRC2:TGID_Z_EN: 0
; COMPUTE_PGM_RSRC2:TIDIG_COMP_CNT: 0
; COMPUTE_PGM_RSRC3_GFX90A:ACCUM_OFFSET: 0
; COMPUTE_PGM_RSRC3_GFX90A:TG_SPLIT: 0
	.section	.text._ZN7rocprim17ROCPRIM_400000_NS6detail17trampoline_kernelINS0_14default_configENS1_20scan_config_selectorIfEEZZNS1_9scan_implILNS1_25lookback_scan_determinismE0ELb0ELb0ES3_N6thrust23THRUST_200600_302600_NS6detail15normal_iteratorINS9_10device_ptrIfEEEESE_f11max_functorIfEfEEDaPvRmT3_T4_T5_mT6_P12ihipStream_tbENKUlT_T0_E_clISt17integral_constantIbLb1EEST_IbLb0EEEEDaSP_SQ_EUlSP_E0_NS1_11comp_targetILNS1_3genE0ELNS1_11target_archE4294967295ELNS1_3gpuE0ELNS1_3repE0EEENS1_30default_config_static_selectorELNS0_4arch9wavefront6targetE1EEEvT1_,"axG",@progbits,_ZN7rocprim17ROCPRIM_400000_NS6detail17trampoline_kernelINS0_14default_configENS1_20scan_config_selectorIfEEZZNS1_9scan_implILNS1_25lookback_scan_determinismE0ELb0ELb0ES3_N6thrust23THRUST_200600_302600_NS6detail15normal_iteratorINS9_10device_ptrIfEEEESE_f11max_functorIfEfEEDaPvRmT3_T4_T5_mT6_P12ihipStream_tbENKUlT_T0_E_clISt17integral_constantIbLb1EEST_IbLb0EEEEDaSP_SQ_EUlSP_E0_NS1_11comp_targetILNS1_3genE0ELNS1_11target_archE4294967295ELNS1_3gpuE0ELNS1_3repE0EEENS1_30default_config_static_selectorELNS0_4arch9wavefront6targetE1EEEvT1_,comdat
	.protected	_ZN7rocprim17ROCPRIM_400000_NS6detail17trampoline_kernelINS0_14default_configENS1_20scan_config_selectorIfEEZZNS1_9scan_implILNS1_25lookback_scan_determinismE0ELb0ELb0ES3_N6thrust23THRUST_200600_302600_NS6detail15normal_iteratorINS9_10device_ptrIfEEEESE_f11max_functorIfEfEEDaPvRmT3_T4_T5_mT6_P12ihipStream_tbENKUlT_T0_E_clISt17integral_constantIbLb1EEST_IbLb0EEEEDaSP_SQ_EUlSP_E0_NS1_11comp_targetILNS1_3genE0ELNS1_11target_archE4294967295ELNS1_3gpuE0ELNS1_3repE0EEENS1_30default_config_static_selectorELNS0_4arch9wavefront6targetE1EEEvT1_ ; -- Begin function _ZN7rocprim17ROCPRIM_400000_NS6detail17trampoline_kernelINS0_14default_configENS1_20scan_config_selectorIfEEZZNS1_9scan_implILNS1_25lookback_scan_determinismE0ELb0ELb0ES3_N6thrust23THRUST_200600_302600_NS6detail15normal_iteratorINS9_10device_ptrIfEEEESE_f11max_functorIfEfEEDaPvRmT3_T4_T5_mT6_P12ihipStream_tbENKUlT_T0_E_clISt17integral_constantIbLb1EEST_IbLb0EEEEDaSP_SQ_EUlSP_E0_NS1_11comp_targetILNS1_3genE0ELNS1_11target_archE4294967295ELNS1_3gpuE0ELNS1_3repE0EEENS1_30default_config_static_selectorELNS0_4arch9wavefront6targetE1EEEvT1_
	.globl	_ZN7rocprim17ROCPRIM_400000_NS6detail17trampoline_kernelINS0_14default_configENS1_20scan_config_selectorIfEEZZNS1_9scan_implILNS1_25lookback_scan_determinismE0ELb0ELb0ES3_N6thrust23THRUST_200600_302600_NS6detail15normal_iteratorINS9_10device_ptrIfEEEESE_f11max_functorIfEfEEDaPvRmT3_T4_T5_mT6_P12ihipStream_tbENKUlT_T0_E_clISt17integral_constantIbLb1EEST_IbLb0EEEEDaSP_SQ_EUlSP_E0_NS1_11comp_targetILNS1_3genE0ELNS1_11target_archE4294967295ELNS1_3gpuE0ELNS1_3repE0EEENS1_30default_config_static_selectorELNS0_4arch9wavefront6targetE1EEEvT1_
	.p2align	8
	.type	_ZN7rocprim17ROCPRIM_400000_NS6detail17trampoline_kernelINS0_14default_configENS1_20scan_config_selectorIfEEZZNS1_9scan_implILNS1_25lookback_scan_determinismE0ELb0ELb0ES3_N6thrust23THRUST_200600_302600_NS6detail15normal_iteratorINS9_10device_ptrIfEEEESE_f11max_functorIfEfEEDaPvRmT3_T4_T5_mT6_P12ihipStream_tbENKUlT_T0_E_clISt17integral_constantIbLb1EEST_IbLb0EEEEDaSP_SQ_EUlSP_E0_NS1_11comp_targetILNS1_3genE0ELNS1_11target_archE4294967295ELNS1_3gpuE0ELNS1_3repE0EEENS1_30default_config_static_selectorELNS0_4arch9wavefront6targetE1EEEvT1_,@function
_ZN7rocprim17ROCPRIM_400000_NS6detail17trampoline_kernelINS0_14default_configENS1_20scan_config_selectorIfEEZZNS1_9scan_implILNS1_25lookback_scan_determinismE0ELb0ELb0ES3_N6thrust23THRUST_200600_302600_NS6detail15normal_iteratorINS9_10device_ptrIfEEEESE_f11max_functorIfEfEEDaPvRmT3_T4_T5_mT6_P12ihipStream_tbENKUlT_T0_E_clISt17integral_constantIbLb1EEST_IbLb0EEEEDaSP_SQ_EUlSP_E0_NS1_11comp_targetILNS1_3genE0ELNS1_11target_archE4294967295ELNS1_3gpuE0ELNS1_3repE0EEENS1_30default_config_static_selectorELNS0_4arch9wavefront6targetE1EEEvT1_: ; @_ZN7rocprim17ROCPRIM_400000_NS6detail17trampoline_kernelINS0_14default_configENS1_20scan_config_selectorIfEEZZNS1_9scan_implILNS1_25lookback_scan_determinismE0ELb0ELb0ES3_N6thrust23THRUST_200600_302600_NS6detail15normal_iteratorINS9_10device_ptrIfEEEESE_f11max_functorIfEfEEDaPvRmT3_T4_T5_mT6_P12ihipStream_tbENKUlT_T0_E_clISt17integral_constantIbLb1EEST_IbLb0EEEEDaSP_SQ_EUlSP_E0_NS1_11comp_targetILNS1_3genE0ELNS1_11target_archE4294967295ELNS1_3gpuE0ELNS1_3repE0EEENS1_30default_config_static_selectorELNS0_4arch9wavefront6targetE1EEEvT1_
; %bb.0:
	.section	.rodata,"a",@progbits
	.p2align	6, 0x0
	.amdhsa_kernel _ZN7rocprim17ROCPRIM_400000_NS6detail17trampoline_kernelINS0_14default_configENS1_20scan_config_selectorIfEEZZNS1_9scan_implILNS1_25lookback_scan_determinismE0ELb0ELb0ES3_N6thrust23THRUST_200600_302600_NS6detail15normal_iteratorINS9_10device_ptrIfEEEESE_f11max_functorIfEfEEDaPvRmT3_T4_T5_mT6_P12ihipStream_tbENKUlT_T0_E_clISt17integral_constantIbLb1EEST_IbLb0EEEEDaSP_SQ_EUlSP_E0_NS1_11comp_targetILNS1_3genE0ELNS1_11target_archE4294967295ELNS1_3gpuE0ELNS1_3repE0EEENS1_30default_config_static_selectorELNS0_4arch9wavefront6targetE1EEEvT1_
		.amdhsa_group_segment_fixed_size 0
		.amdhsa_private_segment_fixed_size 0
		.amdhsa_kernarg_size 32
		.amdhsa_user_sgpr_count 6
		.amdhsa_user_sgpr_private_segment_buffer 1
		.amdhsa_user_sgpr_dispatch_ptr 0
		.amdhsa_user_sgpr_queue_ptr 0
		.amdhsa_user_sgpr_kernarg_segment_ptr 1
		.amdhsa_user_sgpr_dispatch_id 0
		.amdhsa_user_sgpr_flat_scratch_init 0
		.amdhsa_user_sgpr_kernarg_preload_length 0
		.amdhsa_user_sgpr_kernarg_preload_offset 0
		.amdhsa_user_sgpr_private_segment_size 0
		.amdhsa_uses_dynamic_stack 0
		.amdhsa_system_sgpr_private_segment_wavefront_offset 0
		.amdhsa_system_sgpr_workgroup_id_x 1
		.amdhsa_system_sgpr_workgroup_id_y 0
		.amdhsa_system_sgpr_workgroup_id_z 0
		.amdhsa_system_sgpr_workgroup_info 0
		.amdhsa_system_vgpr_workitem_id 0
		.amdhsa_next_free_vgpr 1
		.amdhsa_next_free_sgpr 0
		.amdhsa_accum_offset 4
		.amdhsa_reserve_vcc 0
		.amdhsa_reserve_flat_scratch 0
		.amdhsa_float_round_mode_32 0
		.amdhsa_float_round_mode_16_64 0
		.amdhsa_float_denorm_mode_32 3
		.amdhsa_float_denorm_mode_16_64 3
		.amdhsa_dx10_clamp 1
		.amdhsa_ieee_mode 1
		.amdhsa_fp16_overflow 0
		.amdhsa_tg_split 0
		.amdhsa_exception_fp_ieee_invalid_op 0
		.amdhsa_exception_fp_denorm_src 0
		.amdhsa_exception_fp_ieee_div_zero 0
		.amdhsa_exception_fp_ieee_overflow 0
		.amdhsa_exception_fp_ieee_underflow 0
		.amdhsa_exception_fp_ieee_inexact 0
		.amdhsa_exception_int_div_zero 0
	.end_amdhsa_kernel
	.section	.text._ZN7rocprim17ROCPRIM_400000_NS6detail17trampoline_kernelINS0_14default_configENS1_20scan_config_selectorIfEEZZNS1_9scan_implILNS1_25lookback_scan_determinismE0ELb0ELb0ES3_N6thrust23THRUST_200600_302600_NS6detail15normal_iteratorINS9_10device_ptrIfEEEESE_f11max_functorIfEfEEDaPvRmT3_T4_T5_mT6_P12ihipStream_tbENKUlT_T0_E_clISt17integral_constantIbLb1EEST_IbLb0EEEEDaSP_SQ_EUlSP_E0_NS1_11comp_targetILNS1_3genE0ELNS1_11target_archE4294967295ELNS1_3gpuE0ELNS1_3repE0EEENS1_30default_config_static_selectorELNS0_4arch9wavefront6targetE1EEEvT1_,"axG",@progbits,_ZN7rocprim17ROCPRIM_400000_NS6detail17trampoline_kernelINS0_14default_configENS1_20scan_config_selectorIfEEZZNS1_9scan_implILNS1_25lookback_scan_determinismE0ELb0ELb0ES3_N6thrust23THRUST_200600_302600_NS6detail15normal_iteratorINS9_10device_ptrIfEEEESE_f11max_functorIfEfEEDaPvRmT3_T4_T5_mT6_P12ihipStream_tbENKUlT_T0_E_clISt17integral_constantIbLb1EEST_IbLb0EEEEDaSP_SQ_EUlSP_E0_NS1_11comp_targetILNS1_3genE0ELNS1_11target_archE4294967295ELNS1_3gpuE0ELNS1_3repE0EEENS1_30default_config_static_selectorELNS0_4arch9wavefront6targetE1EEEvT1_,comdat
.Lfunc_end1988:
	.size	_ZN7rocprim17ROCPRIM_400000_NS6detail17trampoline_kernelINS0_14default_configENS1_20scan_config_selectorIfEEZZNS1_9scan_implILNS1_25lookback_scan_determinismE0ELb0ELb0ES3_N6thrust23THRUST_200600_302600_NS6detail15normal_iteratorINS9_10device_ptrIfEEEESE_f11max_functorIfEfEEDaPvRmT3_T4_T5_mT6_P12ihipStream_tbENKUlT_T0_E_clISt17integral_constantIbLb1EEST_IbLb0EEEEDaSP_SQ_EUlSP_E0_NS1_11comp_targetILNS1_3genE0ELNS1_11target_archE4294967295ELNS1_3gpuE0ELNS1_3repE0EEENS1_30default_config_static_selectorELNS0_4arch9wavefront6targetE1EEEvT1_, .Lfunc_end1988-_ZN7rocprim17ROCPRIM_400000_NS6detail17trampoline_kernelINS0_14default_configENS1_20scan_config_selectorIfEEZZNS1_9scan_implILNS1_25lookback_scan_determinismE0ELb0ELb0ES3_N6thrust23THRUST_200600_302600_NS6detail15normal_iteratorINS9_10device_ptrIfEEEESE_f11max_functorIfEfEEDaPvRmT3_T4_T5_mT6_P12ihipStream_tbENKUlT_T0_E_clISt17integral_constantIbLb1EEST_IbLb0EEEEDaSP_SQ_EUlSP_E0_NS1_11comp_targetILNS1_3genE0ELNS1_11target_archE4294967295ELNS1_3gpuE0ELNS1_3repE0EEENS1_30default_config_static_selectorELNS0_4arch9wavefront6targetE1EEEvT1_
                                        ; -- End function
	.section	.AMDGPU.csdata,"",@progbits
; Kernel info:
; codeLenInByte = 0
; NumSgprs: 4
; NumVgprs: 0
; NumAgprs: 0
; TotalNumVgprs: 0
; ScratchSize: 0
; MemoryBound: 0
; FloatMode: 240
; IeeeMode: 1
; LDSByteSize: 0 bytes/workgroup (compile time only)
; SGPRBlocks: 0
; VGPRBlocks: 0
; NumSGPRsForWavesPerEU: 4
; NumVGPRsForWavesPerEU: 1
; AccumOffset: 4
; Occupancy: 8
; WaveLimiterHint : 0
; COMPUTE_PGM_RSRC2:SCRATCH_EN: 0
; COMPUTE_PGM_RSRC2:USER_SGPR: 6
; COMPUTE_PGM_RSRC2:TRAP_HANDLER: 0
; COMPUTE_PGM_RSRC2:TGID_X_EN: 1
; COMPUTE_PGM_RSRC2:TGID_Y_EN: 0
; COMPUTE_PGM_RSRC2:TGID_Z_EN: 0
; COMPUTE_PGM_RSRC2:TIDIG_COMP_CNT: 0
; COMPUTE_PGM_RSRC3_GFX90A:ACCUM_OFFSET: 0
; COMPUTE_PGM_RSRC3_GFX90A:TG_SPLIT: 0
	.section	.text._ZN7rocprim17ROCPRIM_400000_NS6detail17trampoline_kernelINS0_14default_configENS1_20scan_config_selectorIfEEZZNS1_9scan_implILNS1_25lookback_scan_determinismE0ELb0ELb0ES3_N6thrust23THRUST_200600_302600_NS6detail15normal_iteratorINS9_10device_ptrIfEEEESE_f11max_functorIfEfEEDaPvRmT3_T4_T5_mT6_P12ihipStream_tbENKUlT_T0_E_clISt17integral_constantIbLb1EEST_IbLb0EEEEDaSP_SQ_EUlSP_E0_NS1_11comp_targetILNS1_3genE5ELNS1_11target_archE942ELNS1_3gpuE9ELNS1_3repE0EEENS1_30default_config_static_selectorELNS0_4arch9wavefront6targetE1EEEvT1_,"axG",@progbits,_ZN7rocprim17ROCPRIM_400000_NS6detail17trampoline_kernelINS0_14default_configENS1_20scan_config_selectorIfEEZZNS1_9scan_implILNS1_25lookback_scan_determinismE0ELb0ELb0ES3_N6thrust23THRUST_200600_302600_NS6detail15normal_iteratorINS9_10device_ptrIfEEEESE_f11max_functorIfEfEEDaPvRmT3_T4_T5_mT6_P12ihipStream_tbENKUlT_T0_E_clISt17integral_constantIbLb1EEST_IbLb0EEEEDaSP_SQ_EUlSP_E0_NS1_11comp_targetILNS1_3genE5ELNS1_11target_archE942ELNS1_3gpuE9ELNS1_3repE0EEENS1_30default_config_static_selectorELNS0_4arch9wavefront6targetE1EEEvT1_,comdat
	.protected	_ZN7rocprim17ROCPRIM_400000_NS6detail17trampoline_kernelINS0_14default_configENS1_20scan_config_selectorIfEEZZNS1_9scan_implILNS1_25lookback_scan_determinismE0ELb0ELb0ES3_N6thrust23THRUST_200600_302600_NS6detail15normal_iteratorINS9_10device_ptrIfEEEESE_f11max_functorIfEfEEDaPvRmT3_T4_T5_mT6_P12ihipStream_tbENKUlT_T0_E_clISt17integral_constantIbLb1EEST_IbLb0EEEEDaSP_SQ_EUlSP_E0_NS1_11comp_targetILNS1_3genE5ELNS1_11target_archE942ELNS1_3gpuE9ELNS1_3repE0EEENS1_30default_config_static_selectorELNS0_4arch9wavefront6targetE1EEEvT1_ ; -- Begin function _ZN7rocprim17ROCPRIM_400000_NS6detail17trampoline_kernelINS0_14default_configENS1_20scan_config_selectorIfEEZZNS1_9scan_implILNS1_25lookback_scan_determinismE0ELb0ELb0ES3_N6thrust23THRUST_200600_302600_NS6detail15normal_iteratorINS9_10device_ptrIfEEEESE_f11max_functorIfEfEEDaPvRmT3_T4_T5_mT6_P12ihipStream_tbENKUlT_T0_E_clISt17integral_constantIbLb1EEST_IbLb0EEEEDaSP_SQ_EUlSP_E0_NS1_11comp_targetILNS1_3genE5ELNS1_11target_archE942ELNS1_3gpuE9ELNS1_3repE0EEENS1_30default_config_static_selectorELNS0_4arch9wavefront6targetE1EEEvT1_
	.globl	_ZN7rocprim17ROCPRIM_400000_NS6detail17trampoline_kernelINS0_14default_configENS1_20scan_config_selectorIfEEZZNS1_9scan_implILNS1_25lookback_scan_determinismE0ELb0ELb0ES3_N6thrust23THRUST_200600_302600_NS6detail15normal_iteratorINS9_10device_ptrIfEEEESE_f11max_functorIfEfEEDaPvRmT3_T4_T5_mT6_P12ihipStream_tbENKUlT_T0_E_clISt17integral_constantIbLb1EEST_IbLb0EEEEDaSP_SQ_EUlSP_E0_NS1_11comp_targetILNS1_3genE5ELNS1_11target_archE942ELNS1_3gpuE9ELNS1_3repE0EEENS1_30default_config_static_selectorELNS0_4arch9wavefront6targetE1EEEvT1_
	.p2align	8
	.type	_ZN7rocprim17ROCPRIM_400000_NS6detail17trampoline_kernelINS0_14default_configENS1_20scan_config_selectorIfEEZZNS1_9scan_implILNS1_25lookback_scan_determinismE0ELb0ELb0ES3_N6thrust23THRUST_200600_302600_NS6detail15normal_iteratorINS9_10device_ptrIfEEEESE_f11max_functorIfEfEEDaPvRmT3_T4_T5_mT6_P12ihipStream_tbENKUlT_T0_E_clISt17integral_constantIbLb1EEST_IbLb0EEEEDaSP_SQ_EUlSP_E0_NS1_11comp_targetILNS1_3genE5ELNS1_11target_archE942ELNS1_3gpuE9ELNS1_3repE0EEENS1_30default_config_static_selectorELNS0_4arch9wavefront6targetE1EEEvT1_,@function
_ZN7rocprim17ROCPRIM_400000_NS6detail17trampoline_kernelINS0_14default_configENS1_20scan_config_selectorIfEEZZNS1_9scan_implILNS1_25lookback_scan_determinismE0ELb0ELb0ES3_N6thrust23THRUST_200600_302600_NS6detail15normal_iteratorINS9_10device_ptrIfEEEESE_f11max_functorIfEfEEDaPvRmT3_T4_T5_mT6_P12ihipStream_tbENKUlT_T0_E_clISt17integral_constantIbLb1EEST_IbLb0EEEEDaSP_SQ_EUlSP_E0_NS1_11comp_targetILNS1_3genE5ELNS1_11target_archE942ELNS1_3gpuE9ELNS1_3repE0EEENS1_30default_config_static_selectorELNS0_4arch9wavefront6targetE1EEEvT1_: ; @_ZN7rocprim17ROCPRIM_400000_NS6detail17trampoline_kernelINS0_14default_configENS1_20scan_config_selectorIfEEZZNS1_9scan_implILNS1_25lookback_scan_determinismE0ELb0ELb0ES3_N6thrust23THRUST_200600_302600_NS6detail15normal_iteratorINS9_10device_ptrIfEEEESE_f11max_functorIfEfEEDaPvRmT3_T4_T5_mT6_P12ihipStream_tbENKUlT_T0_E_clISt17integral_constantIbLb1EEST_IbLb0EEEEDaSP_SQ_EUlSP_E0_NS1_11comp_targetILNS1_3genE5ELNS1_11target_archE942ELNS1_3gpuE9ELNS1_3repE0EEENS1_30default_config_static_selectorELNS0_4arch9wavefront6targetE1EEEvT1_
; %bb.0:
	.section	.rodata,"a",@progbits
	.p2align	6, 0x0
	.amdhsa_kernel _ZN7rocprim17ROCPRIM_400000_NS6detail17trampoline_kernelINS0_14default_configENS1_20scan_config_selectorIfEEZZNS1_9scan_implILNS1_25lookback_scan_determinismE0ELb0ELb0ES3_N6thrust23THRUST_200600_302600_NS6detail15normal_iteratorINS9_10device_ptrIfEEEESE_f11max_functorIfEfEEDaPvRmT3_T4_T5_mT6_P12ihipStream_tbENKUlT_T0_E_clISt17integral_constantIbLb1EEST_IbLb0EEEEDaSP_SQ_EUlSP_E0_NS1_11comp_targetILNS1_3genE5ELNS1_11target_archE942ELNS1_3gpuE9ELNS1_3repE0EEENS1_30default_config_static_selectorELNS0_4arch9wavefront6targetE1EEEvT1_
		.amdhsa_group_segment_fixed_size 0
		.amdhsa_private_segment_fixed_size 0
		.amdhsa_kernarg_size 32
		.amdhsa_user_sgpr_count 6
		.amdhsa_user_sgpr_private_segment_buffer 1
		.amdhsa_user_sgpr_dispatch_ptr 0
		.amdhsa_user_sgpr_queue_ptr 0
		.amdhsa_user_sgpr_kernarg_segment_ptr 1
		.amdhsa_user_sgpr_dispatch_id 0
		.amdhsa_user_sgpr_flat_scratch_init 0
		.amdhsa_user_sgpr_kernarg_preload_length 0
		.amdhsa_user_sgpr_kernarg_preload_offset 0
		.amdhsa_user_sgpr_private_segment_size 0
		.amdhsa_uses_dynamic_stack 0
		.amdhsa_system_sgpr_private_segment_wavefront_offset 0
		.amdhsa_system_sgpr_workgroup_id_x 1
		.amdhsa_system_sgpr_workgroup_id_y 0
		.amdhsa_system_sgpr_workgroup_id_z 0
		.amdhsa_system_sgpr_workgroup_info 0
		.amdhsa_system_vgpr_workitem_id 0
		.amdhsa_next_free_vgpr 1
		.amdhsa_next_free_sgpr 0
		.amdhsa_accum_offset 4
		.amdhsa_reserve_vcc 0
		.amdhsa_reserve_flat_scratch 0
		.amdhsa_float_round_mode_32 0
		.amdhsa_float_round_mode_16_64 0
		.amdhsa_float_denorm_mode_32 3
		.amdhsa_float_denorm_mode_16_64 3
		.amdhsa_dx10_clamp 1
		.amdhsa_ieee_mode 1
		.amdhsa_fp16_overflow 0
		.amdhsa_tg_split 0
		.amdhsa_exception_fp_ieee_invalid_op 0
		.amdhsa_exception_fp_denorm_src 0
		.amdhsa_exception_fp_ieee_div_zero 0
		.amdhsa_exception_fp_ieee_overflow 0
		.amdhsa_exception_fp_ieee_underflow 0
		.amdhsa_exception_fp_ieee_inexact 0
		.amdhsa_exception_int_div_zero 0
	.end_amdhsa_kernel
	.section	.text._ZN7rocprim17ROCPRIM_400000_NS6detail17trampoline_kernelINS0_14default_configENS1_20scan_config_selectorIfEEZZNS1_9scan_implILNS1_25lookback_scan_determinismE0ELb0ELb0ES3_N6thrust23THRUST_200600_302600_NS6detail15normal_iteratorINS9_10device_ptrIfEEEESE_f11max_functorIfEfEEDaPvRmT3_T4_T5_mT6_P12ihipStream_tbENKUlT_T0_E_clISt17integral_constantIbLb1EEST_IbLb0EEEEDaSP_SQ_EUlSP_E0_NS1_11comp_targetILNS1_3genE5ELNS1_11target_archE942ELNS1_3gpuE9ELNS1_3repE0EEENS1_30default_config_static_selectorELNS0_4arch9wavefront6targetE1EEEvT1_,"axG",@progbits,_ZN7rocprim17ROCPRIM_400000_NS6detail17trampoline_kernelINS0_14default_configENS1_20scan_config_selectorIfEEZZNS1_9scan_implILNS1_25lookback_scan_determinismE0ELb0ELb0ES3_N6thrust23THRUST_200600_302600_NS6detail15normal_iteratorINS9_10device_ptrIfEEEESE_f11max_functorIfEfEEDaPvRmT3_T4_T5_mT6_P12ihipStream_tbENKUlT_T0_E_clISt17integral_constantIbLb1EEST_IbLb0EEEEDaSP_SQ_EUlSP_E0_NS1_11comp_targetILNS1_3genE5ELNS1_11target_archE942ELNS1_3gpuE9ELNS1_3repE0EEENS1_30default_config_static_selectorELNS0_4arch9wavefront6targetE1EEEvT1_,comdat
.Lfunc_end1989:
	.size	_ZN7rocprim17ROCPRIM_400000_NS6detail17trampoline_kernelINS0_14default_configENS1_20scan_config_selectorIfEEZZNS1_9scan_implILNS1_25lookback_scan_determinismE0ELb0ELb0ES3_N6thrust23THRUST_200600_302600_NS6detail15normal_iteratorINS9_10device_ptrIfEEEESE_f11max_functorIfEfEEDaPvRmT3_T4_T5_mT6_P12ihipStream_tbENKUlT_T0_E_clISt17integral_constantIbLb1EEST_IbLb0EEEEDaSP_SQ_EUlSP_E0_NS1_11comp_targetILNS1_3genE5ELNS1_11target_archE942ELNS1_3gpuE9ELNS1_3repE0EEENS1_30default_config_static_selectorELNS0_4arch9wavefront6targetE1EEEvT1_, .Lfunc_end1989-_ZN7rocprim17ROCPRIM_400000_NS6detail17trampoline_kernelINS0_14default_configENS1_20scan_config_selectorIfEEZZNS1_9scan_implILNS1_25lookback_scan_determinismE0ELb0ELb0ES3_N6thrust23THRUST_200600_302600_NS6detail15normal_iteratorINS9_10device_ptrIfEEEESE_f11max_functorIfEfEEDaPvRmT3_T4_T5_mT6_P12ihipStream_tbENKUlT_T0_E_clISt17integral_constantIbLb1EEST_IbLb0EEEEDaSP_SQ_EUlSP_E0_NS1_11comp_targetILNS1_3genE5ELNS1_11target_archE942ELNS1_3gpuE9ELNS1_3repE0EEENS1_30default_config_static_selectorELNS0_4arch9wavefront6targetE1EEEvT1_
                                        ; -- End function
	.section	.AMDGPU.csdata,"",@progbits
; Kernel info:
; codeLenInByte = 0
; NumSgprs: 4
; NumVgprs: 0
; NumAgprs: 0
; TotalNumVgprs: 0
; ScratchSize: 0
; MemoryBound: 0
; FloatMode: 240
; IeeeMode: 1
; LDSByteSize: 0 bytes/workgroup (compile time only)
; SGPRBlocks: 0
; VGPRBlocks: 0
; NumSGPRsForWavesPerEU: 4
; NumVGPRsForWavesPerEU: 1
; AccumOffset: 4
; Occupancy: 8
; WaveLimiterHint : 0
; COMPUTE_PGM_RSRC2:SCRATCH_EN: 0
; COMPUTE_PGM_RSRC2:USER_SGPR: 6
; COMPUTE_PGM_RSRC2:TRAP_HANDLER: 0
; COMPUTE_PGM_RSRC2:TGID_X_EN: 1
; COMPUTE_PGM_RSRC2:TGID_Y_EN: 0
; COMPUTE_PGM_RSRC2:TGID_Z_EN: 0
; COMPUTE_PGM_RSRC2:TIDIG_COMP_CNT: 0
; COMPUTE_PGM_RSRC3_GFX90A:ACCUM_OFFSET: 0
; COMPUTE_PGM_RSRC3_GFX90A:TG_SPLIT: 0
	.section	.text._ZN7rocprim17ROCPRIM_400000_NS6detail17trampoline_kernelINS0_14default_configENS1_20scan_config_selectorIfEEZZNS1_9scan_implILNS1_25lookback_scan_determinismE0ELb0ELb0ES3_N6thrust23THRUST_200600_302600_NS6detail15normal_iteratorINS9_10device_ptrIfEEEESE_f11max_functorIfEfEEDaPvRmT3_T4_T5_mT6_P12ihipStream_tbENKUlT_T0_E_clISt17integral_constantIbLb1EEST_IbLb0EEEEDaSP_SQ_EUlSP_E0_NS1_11comp_targetILNS1_3genE4ELNS1_11target_archE910ELNS1_3gpuE8ELNS1_3repE0EEENS1_30default_config_static_selectorELNS0_4arch9wavefront6targetE1EEEvT1_,"axG",@progbits,_ZN7rocprim17ROCPRIM_400000_NS6detail17trampoline_kernelINS0_14default_configENS1_20scan_config_selectorIfEEZZNS1_9scan_implILNS1_25lookback_scan_determinismE0ELb0ELb0ES3_N6thrust23THRUST_200600_302600_NS6detail15normal_iteratorINS9_10device_ptrIfEEEESE_f11max_functorIfEfEEDaPvRmT3_T4_T5_mT6_P12ihipStream_tbENKUlT_T0_E_clISt17integral_constantIbLb1EEST_IbLb0EEEEDaSP_SQ_EUlSP_E0_NS1_11comp_targetILNS1_3genE4ELNS1_11target_archE910ELNS1_3gpuE8ELNS1_3repE0EEENS1_30default_config_static_selectorELNS0_4arch9wavefront6targetE1EEEvT1_,comdat
	.protected	_ZN7rocprim17ROCPRIM_400000_NS6detail17trampoline_kernelINS0_14default_configENS1_20scan_config_selectorIfEEZZNS1_9scan_implILNS1_25lookback_scan_determinismE0ELb0ELb0ES3_N6thrust23THRUST_200600_302600_NS6detail15normal_iteratorINS9_10device_ptrIfEEEESE_f11max_functorIfEfEEDaPvRmT3_T4_T5_mT6_P12ihipStream_tbENKUlT_T0_E_clISt17integral_constantIbLb1EEST_IbLb0EEEEDaSP_SQ_EUlSP_E0_NS1_11comp_targetILNS1_3genE4ELNS1_11target_archE910ELNS1_3gpuE8ELNS1_3repE0EEENS1_30default_config_static_selectorELNS0_4arch9wavefront6targetE1EEEvT1_ ; -- Begin function _ZN7rocprim17ROCPRIM_400000_NS6detail17trampoline_kernelINS0_14default_configENS1_20scan_config_selectorIfEEZZNS1_9scan_implILNS1_25lookback_scan_determinismE0ELb0ELb0ES3_N6thrust23THRUST_200600_302600_NS6detail15normal_iteratorINS9_10device_ptrIfEEEESE_f11max_functorIfEfEEDaPvRmT3_T4_T5_mT6_P12ihipStream_tbENKUlT_T0_E_clISt17integral_constantIbLb1EEST_IbLb0EEEEDaSP_SQ_EUlSP_E0_NS1_11comp_targetILNS1_3genE4ELNS1_11target_archE910ELNS1_3gpuE8ELNS1_3repE0EEENS1_30default_config_static_selectorELNS0_4arch9wavefront6targetE1EEEvT1_
	.globl	_ZN7rocprim17ROCPRIM_400000_NS6detail17trampoline_kernelINS0_14default_configENS1_20scan_config_selectorIfEEZZNS1_9scan_implILNS1_25lookback_scan_determinismE0ELb0ELb0ES3_N6thrust23THRUST_200600_302600_NS6detail15normal_iteratorINS9_10device_ptrIfEEEESE_f11max_functorIfEfEEDaPvRmT3_T4_T5_mT6_P12ihipStream_tbENKUlT_T0_E_clISt17integral_constantIbLb1EEST_IbLb0EEEEDaSP_SQ_EUlSP_E0_NS1_11comp_targetILNS1_3genE4ELNS1_11target_archE910ELNS1_3gpuE8ELNS1_3repE0EEENS1_30default_config_static_selectorELNS0_4arch9wavefront6targetE1EEEvT1_
	.p2align	8
	.type	_ZN7rocprim17ROCPRIM_400000_NS6detail17trampoline_kernelINS0_14default_configENS1_20scan_config_selectorIfEEZZNS1_9scan_implILNS1_25lookback_scan_determinismE0ELb0ELb0ES3_N6thrust23THRUST_200600_302600_NS6detail15normal_iteratorINS9_10device_ptrIfEEEESE_f11max_functorIfEfEEDaPvRmT3_T4_T5_mT6_P12ihipStream_tbENKUlT_T0_E_clISt17integral_constantIbLb1EEST_IbLb0EEEEDaSP_SQ_EUlSP_E0_NS1_11comp_targetILNS1_3genE4ELNS1_11target_archE910ELNS1_3gpuE8ELNS1_3repE0EEENS1_30default_config_static_selectorELNS0_4arch9wavefront6targetE1EEEvT1_,@function
_ZN7rocprim17ROCPRIM_400000_NS6detail17trampoline_kernelINS0_14default_configENS1_20scan_config_selectorIfEEZZNS1_9scan_implILNS1_25lookback_scan_determinismE0ELb0ELb0ES3_N6thrust23THRUST_200600_302600_NS6detail15normal_iteratorINS9_10device_ptrIfEEEESE_f11max_functorIfEfEEDaPvRmT3_T4_T5_mT6_P12ihipStream_tbENKUlT_T0_E_clISt17integral_constantIbLb1EEST_IbLb0EEEEDaSP_SQ_EUlSP_E0_NS1_11comp_targetILNS1_3genE4ELNS1_11target_archE910ELNS1_3gpuE8ELNS1_3repE0EEENS1_30default_config_static_selectorELNS0_4arch9wavefront6targetE1EEEvT1_: ; @_ZN7rocprim17ROCPRIM_400000_NS6detail17trampoline_kernelINS0_14default_configENS1_20scan_config_selectorIfEEZZNS1_9scan_implILNS1_25lookback_scan_determinismE0ELb0ELb0ES3_N6thrust23THRUST_200600_302600_NS6detail15normal_iteratorINS9_10device_ptrIfEEEESE_f11max_functorIfEfEEDaPvRmT3_T4_T5_mT6_P12ihipStream_tbENKUlT_T0_E_clISt17integral_constantIbLb1EEST_IbLb0EEEEDaSP_SQ_EUlSP_E0_NS1_11comp_targetILNS1_3genE4ELNS1_11target_archE910ELNS1_3gpuE8ELNS1_3repE0EEENS1_30default_config_static_selectorELNS0_4arch9wavefront6targetE1EEEvT1_
; %bb.0:
	s_load_dwordx4 s[28:31], s[4:5], 0x0
	v_lshlrev_b32_e32 v16, 2, v0
	s_waitcnt lgkmcnt(0)
	s_load_dword s31, s[28:29], 0x0
	v_cmp_gt_u32_e32 vcc, s30, v0
	s_waitcnt lgkmcnt(0)
	v_mov_b32_e32 v1, s31
	s_and_saveexec_b64 s[0:1], vcc
	s_cbranch_execz .LBB1990_2
; %bb.1:
	global_load_dword v1, v16, s[28:29]
.LBB1990_2:
	s_or_b64 exec, exec, s[0:1]
	v_or_b32_e32 v2, 0x80, v0
	v_cmp_gt_u32_e64 s[0:1], s30, v2
	v_mov_b32_e32 v2, s31
	s_and_saveexec_b64 s[2:3], s[0:1]
	s_cbranch_execz .LBB1990_4
; %bb.3:
	global_load_dword v2, v16, s[28:29] offset:512
.LBB1990_4:
	s_or_b64 exec, exec, s[2:3]
	v_or_b32_e32 v3, 0x100, v0
	v_cmp_gt_u32_e64 s[2:3], s30, v3
	v_mov_b32_e32 v3, s31
	s_and_saveexec_b64 s[6:7], s[2:3]
	s_cbranch_execz .LBB1990_6
; %bb.5:
	global_load_dword v3, v16, s[28:29] offset:1024
.LBB1990_6:
	;; [unrolled: 9-line block ×7, first 2 shown]
	s_or_b64 exec, exec, s[14:15]
	v_or_b32_e32 v10, 0x400, v0
	v_cmp_gt_u32_e64 s[14:15], s30, v10
	v_mov_b32_e32 v9, s31
	s_and_saveexec_b64 s[16:17], s[14:15]
	s_cbranch_execz .LBB1990_18
; %bb.17:
	v_lshlrev_b32_e32 v9, 2, v10
	global_load_dword v9, v9, s[28:29]
.LBB1990_18:
	s_or_b64 exec, exec, s[16:17]
	v_or_b32_e32 v11, 0x480, v0
	v_cmp_gt_u32_e64 s[16:17], s30, v11
	v_mov_b32_e32 v10, s31
	s_and_saveexec_b64 s[18:19], s[16:17]
	s_cbranch_execz .LBB1990_20
; %bb.19:
	v_lshlrev_b32_e32 v10, 2, v11
	global_load_dword v10, v10, s[28:29]
.LBB1990_20:
	;; [unrolled: 10-line block ×6, first 2 shown]
	s_or_b64 exec, exec, s[30:31]
	s_waitcnt vmcnt(0)
	ds_write2st64_b32 v16, v1, v2 offset1:2
	ds_write2st64_b32 v16, v3, v4 offset0:4 offset1:6
	ds_write2st64_b32 v16, v5, v6 offset0:8 offset1:10
	;; [unrolled: 1-line block ×6, first 2 shown]
	v_mad_u32_u24 v1, v0, 52, v16
	s_waitcnt lgkmcnt(0)
	s_barrier
	ds_read2_b64 v[2:5], v1 offset1:1
	ds_read2_b64 v[10:13], v1 offset0:2 offset1:3
	ds_read2_b64 v[6:9], v1 offset0:4 offset1:5
	ds_read_b64 v[14:15], v1 offset:48
	v_lshrrev_b32_e32 v18, 3, v0
	s_waitcnt lgkmcnt(3)
	v_cmp_lt_f32_e64 s[28:29], v2, v3
	v_cndmask_b32_e64 v17, v2, v3, s[28:29]
	v_cmp_lt_f32_e64 s[28:29], v17, v4
	v_cndmask_b32_e64 v17, v17, v4, s[28:29]
	v_cmp_lt_f32_e64 s[28:29], v17, v5
	v_cndmask_b32_e64 v17, v17, v5, s[28:29]
	s_waitcnt lgkmcnt(2)
	v_cmp_lt_f32_e64 s[28:29], v17, v10
	v_cndmask_b32_e64 v17, v17, v10, s[28:29]
	v_cmp_lt_f32_e64 s[28:29], v17, v11
	v_cndmask_b32_e64 v17, v17, v11, s[28:29]
	v_cmp_lt_f32_e64 s[28:29], v17, v12
	v_cndmask_b32_e64 v17, v17, v12, s[28:29]
	v_cmp_lt_f32_e64 s[28:29], v17, v13
	v_cndmask_b32_e64 v17, v17, v13, s[28:29]
	s_waitcnt lgkmcnt(1)
	v_cmp_lt_f32_e64 s[28:29], v17, v6
	v_cndmask_b32_e64 v17, v17, v6, s[28:29]
	;; [unrolled: 9-line block ×3, first 2 shown]
	v_cmp_lt_f32_e64 s[28:29], v17, v15
	v_and_b32_e32 v18, 12, v18
	v_cndmask_b32_e64 v17, v17, v15, s[28:29]
	v_add_u32_e32 v18, v16, v18
	v_cmp_gt_u32_e64 s[28:29], 64, v0
	s_barrier
	ds_write_b32 v18, v17
	s_waitcnt lgkmcnt(0)
	s_barrier
	s_and_saveexec_b64 s[38:39], s[28:29]
	s_cbranch_execz .LBB1990_30
; %bb.29:
	v_lshlrev_b32_e32 v18, 1, v0
	v_lshrrev_b32_e32 v19, 4, v0
	v_add_lshl_u32 v20, v19, v18, 2
	ds_read2_b32 v[18:19], v20 offset1:1
	v_mbcnt_lo_u32_b32 v21, -1, 0
	v_mbcnt_hi_u32_b32 v21, -1, v21
	v_and_b32_e32 v22, 15, v21
	v_cmp_lt_u32_e64 s[36:37], 31, v21
	s_waitcnt lgkmcnt(0)
	v_cmp_lt_f32_e64 s[28:29], v18, v19
	v_cndmask_b32_e64 v19, v18, v19, s[28:29]
	v_cmp_gt_u32_e64 s[34:35], 32, v21
	s_nop 0
	v_mov_b32_dpp v23, v19 row_shr:1 row_mask:0xf bank_mask:0xf
	v_cmp_gt_f32_e64 s[28:29], v19, v23
	v_cndmask_b32_e64 v23, v23, v19, s[28:29]
	v_cmp_eq_u32_e64 s[28:29], 0, v22
	v_cndmask_b32_e64 v19, v23, v19, s[28:29]
	; wave barrier
	s_nop 1
	v_mov_b32_dpp v23, v19 row_shr:2 row_mask:0xf bank_mask:0xf
	v_cmp_gt_f32_e64 s[28:29], v19, v23
	v_cndmask_b32_e64 v23, v23, v19, s[28:29]
	v_cmp_lt_u32_e64 s[28:29], 1, v22
	v_cndmask_b32_e64 v23, v19, v23, s[28:29]
	s_nop 1
	v_mov_b32_dpp v24, v23 row_shr:4 row_mask:0xf bank_mask:0xf
	v_cmp_gt_f32_e64 s[30:31], v23, v24
	v_cndmask_b32_e64 v24, v24, v23, s[30:31]
	v_cmp_lt_u32_e64 s[30:31], 3, v22
	v_cndmask_b32_e64 v23, v23, v24, s[30:31]
	;; [unrolled: 6-line block ×3, first 2 shown]
	v_and_b32_e32 v24, 16, v21
	s_nop 0
	v_mov_b32_dpp v23, v22 row_bcast:15 row_mask:0xf bank_mask:0xf
	v_cmp_gt_f32_e64 s[30:31], v22, v23
	v_cndmask_b32_e64 v23, v23, v22, s[30:31]
	v_cmp_ne_u32_e64 s[30:31], 0, v24
	v_cndmask_b32_e64 v22, v22, v23, s[30:31]
	s_or_b64 s[36:37], s[30:31], s[36:37]
	s_or_b64 s[28:29], s[28:29], s[36:37]
	v_mov_b32_dpp v23, v22 row_bcast:31 row_mask:0xf bank_mask:0xf
	v_cmp_gt_f32_e64 s[30:31], v22, v23
	s_or_b64 s[30:31], s[34:35], s[30:31]
	v_cndmask_b32_e64 v22, v23, v22, s[30:31]
	v_cndmask_b32_e64 v19, v19, v22, s[28:29]
	v_add_u32_e32 v22, -1, v21
	v_and_b32_e32 v23, 64, v21
	v_cmp_lt_i32_e64 s[28:29], v22, v23
	v_cndmask_b32_e64 v21, v22, v21, s[28:29]
	v_lshlrev_b32_e32 v21, 2, v21
	ds_bpermute_b32 v19, v21, v19
	s_waitcnt lgkmcnt(0)
	v_cmp_gt_f32_e64 s[28:29], v18, v19
	v_cndmask_b32_e64 v18, v19, v18, s[28:29]
	v_cmp_eq_u32_e64 s[28:29], 0, v0
	v_cndmask_b32_e64 v18, v18, v17, s[28:29]
	ds_write_b32 v20, v18
	; wave barrier
	ds_read_b32 v19, v20 offset:4
	s_waitcnt lgkmcnt(0)
	v_cmp_lt_f32_e64 s[28:29], v18, v19
	v_cndmask_b32_e64 v18, v18, v19, s[28:29]
	ds_write_b32 v20, v18 offset:4
.LBB1990_30:
	s_or_b64 exec, exec, s[38:39]
	s_load_dwordx2 s[28:29], s[4:5], 0x18
	v_cmp_ne_u32_e64 s[4:5], 0, v0
	s_waitcnt lgkmcnt(0)
	s_barrier
	s_and_saveexec_b64 s[30:31], s[4:5]
	s_cbranch_execz .LBB1990_32
; %bb.31:
	v_add_u32_e32 v17, -1, v0
	v_lshrrev_b32_e32 v18, 5, v17
	v_add_lshl_u32 v17, v18, v17, 2
	ds_read_b32 v17, v17
.LBB1990_32:
	s_or_b64 exec, exec, s[30:31]
	s_and_saveexec_b64 s[30:31], s[4:5]
	s_cbranch_execz .LBB1990_34
; %bb.33:
	s_waitcnt lgkmcnt(0)
	v_cmp_gt_f32_e64 s[4:5], v2, v17
	v_cndmask_b32_e64 v2, v17, v2, s[4:5]
	;;#ASMSTART
	;;#ASMEND
.LBB1990_34:
	s_or_b64 exec, exec, s[30:31]
	v_cmp_gt_f32_e64 s[4:5], v3, v2
	v_cndmask_b32_e64 v3, v2, v3, s[4:5]
	v_cmp_lt_f32_e64 s[4:5], v3, v4
	v_cndmask_b32_e64 v4, v3, v4, s[4:5]
	v_cmp_lt_f32_e64 s[4:5], v4, v5
	v_cndmask_b32_e64 v5, v4, v5, s[4:5]
	v_cmp_lt_f32_e64 s[4:5], v5, v10
	v_cndmask_b32_e64 v10, v5, v10, s[4:5]
	v_cmp_lt_f32_e64 s[4:5], v10, v11
	v_cndmask_b32_e64 v11, v10, v11, s[4:5]
	v_cmp_lt_f32_e64 s[4:5], v11, v12
	v_cndmask_b32_e64 v12, v11, v12, s[4:5]
	v_cmp_lt_f32_e64 s[4:5], v12, v13
	v_cndmask_b32_e64 v13, v12, v13, s[4:5]
	v_cmp_lt_f32_e64 s[4:5], v13, v6
	v_cndmask_b32_e64 v6, v13, v6, s[4:5]
	v_cmp_lt_f32_e64 s[4:5], v6, v7
	v_cndmask_b32_e64 v7, v6, v7, s[4:5]
	v_cmp_lt_f32_e64 s[4:5], v7, v8
	v_cndmask_b32_e64 v8, v7, v8, s[4:5]
	v_cmp_lt_f32_e64 s[4:5], v8, v9
	v_cndmask_b32_e64 v9, v8, v9, s[4:5]
	v_cmp_lt_f32_e64 s[4:5], v9, v14
	v_cndmask_b32_e64 v14, v9, v14, s[4:5]
	v_cmp_lt_f32_e64 s[4:5], v14, v15
	v_cndmask_b32_e64 v15, v14, v15, s[4:5]
	s_movk_i32 s4, 0xffcc
	v_mad_i32_i24 v0, v0, s4, v1
	s_waitcnt lgkmcnt(0)
	s_barrier
	ds_write2_b64 v1, v[2:3], v[4:5] offset1:1
	ds_write2_b64 v1, v[10:11], v[12:13] offset0:2 offset1:3
	ds_write2_b64 v1, v[6:7], v[8:9] offset0:4 offset1:5
	ds_write_b64 v1, v[14:15] offset:48
	s_waitcnt lgkmcnt(0)
	s_barrier
	ds_read2st64_b32 v[12:13], v0 offset0:2 offset1:4
	ds_read2st64_b32 v[10:11], v0 offset0:6 offset1:8
	ds_read2st64_b32 v[8:9], v0 offset0:10 offset1:12
	ds_read2st64_b32 v[6:7], v0 offset0:14 offset1:18
	ds_read_b32 v14, v16 offset:4096
	ds_read2st64_b32 v[4:5], v0 offset0:20 offset1:22
	ds_read2st64_b32 v[0:1], v0 offset0:24 offset1:26
	v_mov_b32_e32 v3, s29
	v_add_co_u32_e64 v2, s[4:5], s28, v16
	v_addc_co_u32_e64 v3, s[4:5], 0, v3, s[4:5]
	s_and_saveexec_b64 s[4:5], vcc
	s_cbranch_execnz .LBB1990_49
; %bb.35:
	s_or_b64 exec, exec, s[4:5]
	s_and_saveexec_b64 s[4:5], s[0:1]
	s_cbranch_execnz .LBB1990_50
.LBB1990_36:
	s_or_b64 exec, exec, s[4:5]
	s_and_saveexec_b64 s[0:1], s[2:3]
	s_cbranch_execnz .LBB1990_51
.LBB1990_37:
	s_or_b64 exec, exec, s[0:1]
	s_and_saveexec_b64 s[0:1], s[26:27]
	s_cbranch_execnz .LBB1990_52
.LBB1990_38:
	s_or_b64 exec, exec, s[0:1]
	s_and_saveexec_b64 s[0:1], s[6:7]
	s_cbranch_execnz .LBB1990_53
.LBB1990_39:
	s_or_b64 exec, exec, s[0:1]
	s_and_saveexec_b64 s[0:1], s[8:9]
	s_cbranch_execnz .LBB1990_54
.LBB1990_40:
	s_or_b64 exec, exec, s[0:1]
	s_and_saveexec_b64 s[0:1], s[10:11]
	s_cbranch_execnz .LBB1990_55
.LBB1990_41:
	s_or_b64 exec, exec, s[0:1]
	s_and_saveexec_b64 s[0:1], s[12:13]
	s_cbranch_execnz .LBB1990_56
.LBB1990_42:
	s_or_b64 exec, exec, s[0:1]
	s_and_saveexec_b64 s[0:1], s[14:15]
	s_cbranch_execnz .LBB1990_57
.LBB1990_43:
	s_or_b64 exec, exec, s[0:1]
	s_and_saveexec_b64 s[0:1], s[16:17]
	s_cbranch_execnz .LBB1990_58
.LBB1990_44:
	s_or_b64 exec, exec, s[0:1]
	s_and_saveexec_b64 s[0:1], s[18:19]
	s_cbranch_execnz .LBB1990_59
.LBB1990_45:
	s_or_b64 exec, exec, s[0:1]
	s_and_saveexec_b64 s[0:1], s[20:21]
	s_cbranch_execnz .LBB1990_60
.LBB1990_46:
	s_or_b64 exec, exec, s[0:1]
	s_and_saveexec_b64 s[0:1], s[22:23]
	s_cbranch_execnz .LBB1990_61
.LBB1990_47:
	s_or_b64 exec, exec, s[0:1]
	s_and_saveexec_b64 s[0:1], s[24:25]
	s_cbranch_execnz .LBB1990_62
.LBB1990_48:
	s_endpgm
.LBB1990_49:
	ds_read_b32 v15, v16
	s_waitcnt lgkmcnt(0)
	global_store_dword v[2:3], v15, off
	s_or_b64 exec, exec, s[4:5]
	s_and_saveexec_b64 s[4:5], s[0:1]
	s_cbranch_execz .LBB1990_36
.LBB1990_50:
	s_waitcnt lgkmcnt(6)
	global_store_dword v[2:3], v12, off offset:512
	s_or_b64 exec, exec, s[4:5]
	s_and_saveexec_b64 s[0:1], s[2:3]
	s_cbranch_execz .LBB1990_37
.LBB1990_51:
	s_waitcnt lgkmcnt(6)
	global_store_dword v[2:3], v13, off offset:1024
	s_or_b64 exec, exec, s[0:1]
	s_and_saveexec_b64 s[0:1], s[26:27]
	s_cbranch_execz .LBB1990_38
.LBB1990_52:
	s_waitcnt lgkmcnt(5)
	global_store_dword v[2:3], v10, off offset:1536
	s_or_b64 exec, exec, s[0:1]
	s_and_saveexec_b64 s[0:1], s[6:7]
	s_cbranch_execz .LBB1990_39
.LBB1990_53:
	s_waitcnt lgkmcnt(5)
	global_store_dword v[2:3], v11, off offset:2048
	s_or_b64 exec, exec, s[0:1]
	s_and_saveexec_b64 s[0:1], s[8:9]
	s_cbranch_execz .LBB1990_40
.LBB1990_54:
	s_waitcnt lgkmcnt(4)
	global_store_dword v[2:3], v8, off offset:2560
	s_or_b64 exec, exec, s[0:1]
	s_and_saveexec_b64 s[0:1], s[10:11]
	s_cbranch_execz .LBB1990_41
.LBB1990_55:
	s_waitcnt lgkmcnt(4)
	global_store_dword v[2:3], v9, off offset:3072
	s_or_b64 exec, exec, s[0:1]
	s_and_saveexec_b64 s[0:1], s[12:13]
	s_cbranch_execz .LBB1990_42
.LBB1990_56:
	s_waitcnt lgkmcnt(3)
	global_store_dword v[2:3], v6, off offset:3584
	s_or_b64 exec, exec, s[0:1]
	s_and_saveexec_b64 s[0:1], s[14:15]
	s_cbranch_execz .LBB1990_43
.LBB1990_57:
	s_waitcnt lgkmcnt(4)
	v_add_co_u32_e32 v8, vcc, 0x1000, v2
	v_addc_co_u32_e32 v9, vcc, 0, v3, vcc
	s_waitcnt lgkmcnt(2)
	global_store_dword v[8:9], v14, off
	s_or_b64 exec, exec, s[0:1]
	s_and_saveexec_b64 s[0:1], s[16:17]
	s_cbranch_execz .LBB1990_44
.LBB1990_58:
	s_waitcnt lgkmcnt(4)
	v_add_co_u32_e32 v8, vcc, 0x1000, v2
	v_addc_co_u32_e32 v9, vcc, 0, v3, vcc
	s_waitcnt lgkmcnt(3)
	global_store_dword v[8:9], v7, off offset:512
	s_or_b64 exec, exec, s[0:1]
	s_and_saveexec_b64 s[0:1], s[18:19]
	s_cbranch_execz .LBB1990_45
.LBB1990_59:
	s_waitcnt lgkmcnt(3)
	v_add_co_u32_e32 v6, vcc, 0x1000, v2
	v_addc_co_u32_e32 v7, vcc, 0, v3, vcc
	s_waitcnt lgkmcnt(1)
	global_store_dword v[6:7], v4, off offset:1024
	s_or_b64 exec, exec, s[0:1]
	s_and_saveexec_b64 s[0:1], s[20:21]
	s_cbranch_execz .LBB1990_46
.LBB1990_60:
	s_waitcnt lgkmcnt(3)
	v_add_co_u32_e32 v6, vcc, 0x1000, v2
	v_addc_co_u32_e32 v7, vcc, 0, v3, vcc
	s_waitcnt lgkmcnt(1)
	global_store_dword v[6:7], v5, off offset:1536
	s_or_b64 exec, exec, s[0:1]
	s_and_saveexec_b64 s[0:1], s[22:23]
	s_cbranch_execz .LBB1990_47
.LBB1990_61:
	s_waitcnt lgkmcnt(1)
	v_add_co_u32_e32 v4, vcc, 0x1000, v2
	v_addc_co_u32_e32 v5, vcc, 0, v3, vcc
	s_waitcnt lgkmcnt(0)
	global_store_dword v[4:5], v0, off offset:2048
	s_or_b64 exec, exec, s[0:1]
	s_and_saveexec_b64 s[0:1], s[24:25]
	s_cbranch_execz .LBB1990_48
.LBB1990_62:
	v_add_co_u32_e32 v2, vcc, 0x1000, v2
	v_addc_co_u32_e32 v3, vcc, 0, v3, vcc
	s_waitcnt lgkmcnt(0)
	global_store_dword v[2:3], v1, off offset:2560
	s_endpgm
	.section	.rodata,"a",@progbits
	.p2align	6, 0x0
	.amdhsa_kernel _ZN7rocprim17ROCPRIM_400000_NS6detail17trampoline_kernelINS0_14default_configENS1_20scan_config_selectorIfEEZZNS1_9scan_implILNS1_25lookback_scan_determinismE0ELb0ELb0ES3_N6thrust23THRUST_200600_302600_NS6detail15normal_iteratorINS9_10device_ptrIfEEEESE_f11max_functorIfEfEEDaPvRmT3_T4_T5_mT6_P12ihipStream_tbENKUlT_T0_E_clISt17integral_constantIbLb1EEST_IbLb0EEEEDaSP_SQ_EUlSP_E0_NS1_11comp_targetILNS1_3genE4ELNS1_11target_archE910ELNS1_3gpuE8ELNS1_3repE0EEENS1_30default_config_static_selectorELNS0_4arch9wavefront6targetE1EEEvT1_
		.amdhsa_group_segment_fixed_size 7168
		.amdhsa_private_segment_fixed_size 0
		.amdhsa_kernarg_size 32
		.amdhsa_user_sgpr_count 6
		.amdhsa_user_sgpr_private_segment_buffer 1
		.amdhsa_user_sgpr_dispatch_ptr 0
		.amdhsa_user_sgpr_queue_ptr 0
		.amdhsa_user_sgpr_kernarg_segment_ptr 1
		.amdhsa_user_sgpr_dispatch_id 0
		.amdhsa_user_sgpr_flat_scratch_init 0
		.amdhsa_user_sgpr_kernarg_preload_length 0
		.amdhsa_user_sgpr_kernarg_preload_offset 0
		.amdhsa_user_sgpr_private_segment_size 0
		.amdhsa_uses_dynamic_stack 0
		.amdhsa_system_sgpr_private_segment_wavefront_offset 0
		.amdhsa_system_sgpr_workgroup_id_x 1
		.amdhsa_system_sgpr_workgroup_id_y 0
		.amdhsa_system_sgpr_workgroup_id_z 0
		.amdhsa_system_sgpr_workgroup_info 0
		.amdhsa_system_vgpr_workitem_id 0
		.amdhsa_next_free_vgpr 25
		.amdhsa_next_free_sgpr 40
		.amdhsa_accum_offset 28
		.amdhsa_reserve_vcc 1
		.amdhsa_reserve_flat_scratch 0
		.amdhsa_float_round_mode_32 0
		.amdhsa_float_round_mode_16_64 0
		.amdhsa_float_denorm_mode_32 3
		.amdhsa_float_denorm_mode_16_64 3
		.amdhsa_dx10_clamp 1
		.amdhsa_ieee_mode 1
		.amdhsa_fp16_overflow 0
		.amdhsa_tg_split 0
		.amdhsa_exception_fp_ieee_invalid_op 0
		.amdhsa_exception_fp_denorm_src 0
		.amdhsa_exception_fp_ieee_div_zero 0
		.amdhsa_exception_fp_ieee_overflow 0
		.amdhsa_exception_fp_ieee_underflow 0
		.amdhsa_exception_fp_ieee_inexact 0
		.amdhsa_exception_int_div_zero 0
	.end_amdhsa_kernel
	.section	.text._ZN7rocprim17ROCPRIM_400000_NS6detail17trampoline_kernelINS0_14default_configENS1_20scan_config_selectorIfEEZZNS1_9scan_implILNS1_25lookback_scan_determinismE0ELb0ELb0ES3_N6thrust23THRUST_200600_302600_NS6detail15normal_iteratorINS9_10device_ptrIfEEEESE_f11max_functorIfEfEEDaPvRmT3_T4_T5_mT6_P12ihipStream_tbENKUlT_T0_E_clISt17integral_constantIbLb1EEST_IbLb0EEEEDaSP_SQ_EUlSP_E0_NS1_11comp_targetILNS1_3genE4ELNS1_11target_archE910ELNS1_3gpuE8ELNS1_3repE0EEENS1_30default_config_static_selectorELNS0_4arch9wavefront6targetE1EEEvT1_,"axG",@progbits,_ZN7rocprim17ROCPRIM_400000_NS6detail17trampoline_kernelINS0_14default_configENS1_20scan_config_selectorIfEEZZNS1_9scan_implILNS1_25lookback_scan_determinismE0ELb0ELb0ES3_N6thrust23THRUST_200600_302600_NS6detail15normal_iteratorINS9_10device_ptrIfEEEESE_f11max_functorIfEfEEDaPvRmT3_T4_T5_mT6_P12ihipStream_tbENKUlT_T0_E_clISt17integral_constantIbLb1EEST_IbLb0EEEEDaSP_SQ_EUlSP_E0_NS1_11comp_targetILNS1_3genE4ELNS1_11target_archE910ELNS1_3gpuE8ELNS1_3repE0EEENS1_30default_config_static_selectorELNS0_4arch9wavefront6targetE1EEEvT1_,comdat
.Lfunc_end1990:
	.size	_ZN7rocprim17ROCPRIM_400000_NS6detail17trampoline_kernelINS0_14default_configENS1_20scan_config_selectorIfEEZZNS1_9scan_implILNS1_25lookback_scan_determinismE0ELb0ELb0ES3_N6thrust23THRUST_200600_302600_NS6detail15normal_iteratorINS9_10device_ptrIfEEEESE_f11max_functorIfEfEEDaPvRmT3_T4_T5_mT6_P12ihipStream_tbENKUlT_T0_E_clISt17integral_constantIbLb1EEST_IbLb0EEEEDaSP_SQ_EUlSP_E0_NS1_11comp_targetILNS1_3genE4ELNS1_11target_archE910ELNS1_3gpuE8ELNS1_3repE0EEENS1_30default_config_static_selectorELNS0_4arch9wavefront6targetE1EEEvT1_, .Lfunc_end1990-_ZN7rocprim17ROCPRIM_400000_NS6detail17trampoline_kernelINS0_14default_configENS1_20scan_config_selectorIfEEZZNS1_9scan_implILNS1_25lookback_scan_determinismE0ELb0ELb0ES3_N6thrust23THRUST_200600_302600_NS6detail15normal_iteratorINS9_10device_ptrIfEEEESE_f11max_functorIfEfEEDaPvRmT3_T4_T5_mT6_P12ihipStream_tbENKUlT_T0_E_clISt17integral_constantIbLb1EEST_IbLb0EEEEDaSP_SQ_EUlSP_E0_NS1_11comp_targetILNS1_3genE4ELNS1_11target_archE910ELNS1_3gpuE8ELNS1_3repE0EEENS1_30default_config_static_selectorELNS0_4arch9wavefront6targetE1EEEvT1_
                                        ; -- End function
	.section	.AMDGPU.csdata,"",@progbits
; Kernel info:
; codeLenInByte = 2480
; NumSgprs: 44
; NumVgprs: 25
; NumAgprs: 0
; TotalNumVgprs: 25
; ScratchSize: 0
; MemoryBound: 0
; FloatMode: 240
; IeeeMode: 1
; LDSByteSize: 7168 bytes/workgroup (compile time only)
; SGPRBlocks: 5
; VGPRBlocks: 3
; NumSGPRsForWavesPerEU: 44
; NumVGPRsForWavesPerEU: 25
; AccumOffset: 28
; Occupancy: 5
; WaveLimiterHint : 0
; COMPUTE_PGM_RSRC2:SCRATCH_EN: 0
; COMPUTE_PGM_RSRC2:USER_SGPR: 6
; COMPUTE_PGM_RSRC2:TRAP_HANDLER: 0
; COMPUTE_PGM_RSRC2:TGID_X_EN: 1
; COMPUTE_PGM_RSRC2:TGID_Y_EN: 0
; COMPUTE_PGM_RSRC2:TGID_Z_EN: 0
; COMPUTE_PGM_RSRC2:TIDIG_COMP_CNT: 0
; COMPUTE_PGM_RSRC3_GFX90A:ACCUM_OFFSET: 6
; COMPUTE_PGM_RSRC3_GFX90A:TG_SPLIT: 0
	.section	.text._ZN7rocprim17ROCPRIM_400000_NS6detail17trampoline_kernelINS0_14default_configENS1_20scan_config_selectorIfEEZZNS1_9scan_implILNS1_25lookback_scan_determinismE0ELb0ELb0ES3_N6thrust23THRUST_200600_302600_NS6detail15normal_iteratorINS9_10device_ptrIfEEEESE_f11max_functorIfEfEEDaPvRmT3_T4_T5_mT6_P12ihipStream_tbENKUlT_T0_E_clISt17integral_constantIbLb1EEST_IbLb0EEEEDaSP_SQ_EUlSP_E0_NS1_11comp_targetILNS1_3genE3ELNS1_11target_archE908ELNS1_3gpuE7ELNS1_3repE0EEENS1_30default_config_static_selectorELNS0_4arch9wavefront6targetE1EEEvT1_,"axG",@progbits,_ZN7rocprim17ROCPRIM_400000_NS6detail17trampoline_kernelINS0_14default_configENS1_20scan_config_selectorIfEEZZNS1_9scan_implILNS1_25lookback_scan_determinismE0ELb0ELb0ES3_N6thrust23THRUST_200600_302600_NS6detail15normal_iteratorINS9_10device_ptrIfEEEESE_f11max_functorIfEfEEDaPvRmT3_T4_T5_mT6_P12ihipStream_tbENKUlT_T0_E_clISt17integral_constantIbLb1EEST_IbLb0EEEEDaSP_SQ_EUlSP_E0_NS1_11comp_targetILNS1_3genE3ELNS1_11target_archE908ELNS1_3gpuE7ELNS1_3repE0EEENS1_30default_config_static_selectorELNS0_4arch9wavefront6targetE1EEEvT1_,comdat
	.protected	_ZN7rocprim17ROCPRIM_400000_NS6detail17trampoline_kernelINS0_14default_configENS1_20scan_config_selectorIfEEZZNS1_9scan_implILNS1_25lookback_scan_determinismE0ELb0ELb0ES3_N6thrust23THRUST_200600_302600_NS6detail15normal_iteratorINS9_10device_ptrIfEEEESE_f11max_functorIfEfEEDaPvRmT3_T4_T5_mT6_P12ihipStream_tbENKUlT_T0_E_clISt17integral_constantIbLb1EEST_IbLb0EEEEDaSP_SQ_EUlSP_E0_NS1_11comp_targetILNS1_3genE3ELNS1_11target_archE908ELNS1_3gpuE7ELNS1_3repE0EEENS1_30default_config_static_selectorELNS0_4arch9wavefront6targetE1EEEvT1_ ; -- Begin function _ZN7rocprim17ROCPRIM_400000_NS6detail17trampoline_kernelINS0_14default_configENS1_20scan_config_selectorIfEEZZNS1_9scan_implILNS1_25lookback_scan_determinismE0ELb0ELb0ES3_N6thrust23THRUST_200600_302600_NS6detail15normal_iteratorINS9_10device_ptrIfEEEESE_f11max_functorIfEfEEDaPvRmT3_T4_T5_mT6_P12ihipStream_tbENKUlT_T0_E_clISt17integral_constantIbLb1EEST_IbLb0EEEEDaSP_SQ_EUlSP_E0_NS1_11comp_targetILNS1_3genE3ELNS1_11target_archE908ELNS1_3gpuE7ELNS1_3repE0EEENS1_30default_config_static_selectorELNS0_4arch9wavefront6targetE1EEEvT1_
	.globl	_ZN7rocprim17ROCPRIM_400000_NS6detail17trampoline_kernelINS0_14default_configENS1_20scan_config_selectorIfEEZZNS1_9scan_implILNS1_25lookback_scan_determinismE0ELb0ELb0ES3_N6thrust23THRUST_200600_302600_NS6detail15normal_iteratorINS9_10device_ptrIfEEEESE_f11max_functorIfEfEEDaPvRmT3_T4_T5_mT6_P12ihipStream_tbENKUlT_T0_E_clISt17integral_constantIbLb1EEST_IbLb0EEEEDaSP_SQ_EUlSP_E0_NS1_11comp_targetILNS1_3genE3ELNS1_11target_archE908ELNS1_3gpuE7ELNS1_3repE0EEENS1_30default_config_static_selectorELNS0_4arch9wavefront6targetE1EEEvT1_
	.p2align	8
	.type	_ZN7rocprim17ROCPRIM_400000_NS6detail17trampoline_kernelINS0_14default_configENS1_20scan_config_selectorIfEEZZNS1_9scan_implILNS1_25lookback_scan_determinismE0ELb0ELb0ES3_N6thrust23THRUST_200600_302600_NS6detail15normal_iteratorINS9_10device_ptrIfEEEESE_f11max_functorIfEfEEDaPvRmT3_T4_T5_mT6_P12ihipStream_tbENKUlT_T0_E_clISt17integral_constantIbLb1EEST_IbLb0EEEEDaSP_SQ_EUlSP_E0_NS1_11comp_targetILNS1_3genE3ELNS1_11target_archE908ELNS1_3gpuE7ELNS1_3repE0EEENS1_30default_config_static_selectorELNS0_4arch9wavefront6targetE1EEEvT1_,@function
_ZN7rocprim17ROCPRIM_400000_NS6detail17trampoline_kernelINS0_14default_configENS1_20scan_config_selectorIfEEZZNS1_9scan_implILNS1_25lookback_scan_determinismE0ELb0ELb0ES3_N6thrust23THRUST_200600_302600_NS6detail15normal_iteratorINS9_10device_ptrIfEEEESE_f11max_functorIfEfEEDaPvRmT3_T4_T5_mT6_P12ihipStream_tbENKUlT_T0_E_clISt17integral_constantIbLb1EEST_IbLb0EEEEDaSP_SQ_EUlSP_E0_NS1_11comp_targetILNS1_3genE3ELNS1_11target_archE908ELNS1_3gpuE7ELNS1_3repE0EEENS1_30default_config_static_selectorELNS0_4arch9wavefront6targetE1EEEvT1_: ; @_ZN7rocprim17ROCPRIM_400000_NS6detail17trampoline_kernelINS0_14default_configENS1_20scan_config_selectorIfEEZZNS1_9scan_implILNS1_25lookback_scan_determinismE0ELb0ELb0ES3_N6thrust23THRUST_200600_302600_NS6detail15normal_iteratorINS9_10device_ptrIfEEEESE_f11max_functorIfEfEEDaPvRmT3_T4_T5_mT6_P12ihipStream_tbENKUlT_T0_E_clISt17integral_constantIbLb1EEST_IbLb0EEEEDaSP_SQ_EUlSP_E0_NS1_11comp_targetILNS1_3genE3ELNS1_11target_archE908ELNS1_3gpuE7ELNS1_3repE0EEENS1_30default_config_static_selectorELNS0_4arch9wavefront6targetE1EEEvT1_
; %bb.0:
	.section	.rodata,"a",@progbits
	.p2align	6, 0x0
	.amdhsa_kernel _ZN7rocprim17ROCPRIM_400000_NS6detail17trampoline_kernelINS0_14default_configENS1_20scan_config_selectorIfEEZZNS1_9scan_implILNS1_25lookback_scan_determinismE0ELb0ELb0ES3_N6thrust23THRUST_200600_302600_NS6detail15normal_iteratorINS9_10device_ptrIfEEEESE_f11max_functorIfEfEEDaPvRmT3_T4_T5_mT6_P12ihipStream_tbENKUlT_T0_E_clISt17integral_constantIbLb1EEST_IbLb0EEEEDaSP_SQ_EUlSP_E0_NS1_11comp_targetILNS1_3genE3ELNS1_11target_archE908ELNS1_3gpuE7ELNS1_3repE0EEENS1_30default_config_static_selectorELNS0_4arch9wavefront6targetE1EEEvT1_
		.amdhsa_group_segment_fixed_size 0
		.amdhsa_private_segment_fixed_size 0
		.amdhsa_kernarg_size 32
		.amdhsa_user_sgpr_count 6
		.amdhsa_user_sgpr_private_segment_buffer 1
		.amdhsa_user_sgpr_dispatch_ptr 0
		.amdhsa_user_sgpr_queue_ptr 0
		.amdhsa_user_sgpr_kernarg_segment_ptr 1
		.amdhsa_user_sgpr_dispatch_id 0
		.amdhsa_user_sgpr_flat_scratch_init 0
		.amdhsa_user_sgpr_kernarg_preload_length 0
		.amdhsa_user_sgpr_kernarg_preload_offset 0
		.amdhsa_user_sgpr_private_segment_size 0
		.amdhsa_uses_dynamic_stack 0
		.amdhsa_system_sgpr_private_segment_wavefront_offset 0
		.amdhsa_system_sgpr_workgroup_id_x 1
		.amdhsa_system_sgpr_workgroup_id_y 0
		.amdhsa_system_sgpr_workgroup_id_z 0
		.amdhsa_system_sgpr_workgroup_info 0
		.amdhsa_system_vgpr_workitem_id 0
		.amdhsa_next_free_vgpr 1
		.amdhsa_next_free_sgpr 0
		.amdhsa_accum_offset 4
		.amdhsa_reserve_vcc 0
		.amdhsa_reserve_flat_scratch 0
		.amdhsa_float_round_mode_32 0
		.amdhsa_float_round_mode_16_64 0
		.amdhsa_float_denorm_mode_32 3
		.amdhsa_float_denorm_mode_16_64 3
		.amdhsa_dx10_clamp 1
		.amdhsa_ieee_mode 1
		.amdhsa_fp16_overflow 0
		.amdhsa_tg_split 0
		.amdhsa_exception_fp_ieee_invalid_op 0
		.amdhsa_exception_fp_denorm_src 0
		.amdhsa_exception_fp_ieee_div_zero 0
		.amdhsa_exception_fp_ieee_overflow 0
		.amdhsa_exception_fp_ieee_underflow 0
		.amdhsa_exception_fp_ieee_inexact 0
		.amdhsa_exception_int_div_zero 0
	.end_amdhsa_kernel
	.section	.text._ZN7rocprim17ROCPRIM_400000_NS6detail17trampoline_kernelINS0_14default_configENS1_20scan_config_selectorIfEEZZNS1_9scan_implILNS1_25lookback_scan_determinismE0ELb0ELb0ES3_N6thrust23THRUST_200600_302600_NS6detail15normal_iteratorINS9_10device_ptrIfEEEESE_f11max_functorIfEfEEDaPvRmT3_T4_T5_mT6_P12ihipStream_tbENKUlT_T0_E_clISt17integral_constantIbLb1EEST_IbLb0EEEEDaSP_SQ_EUlSP_E0_NS1_11comp_targetILNS1_3genE3ELNS1_11target_archE908ELNS1_3gpuE7ELNS1_3repE0EEENS1_30default_config_static_selectorELNS0_4arch9wavefront6targetE1EEEvT1_,"axG",@progbits,_ZN7rocprim17ROCPRIM_400000_NS6detail17trampoline_kernelINS0_14default_configENS1_20scan_config_selectorIfEEZZNS1_9scan_implILNS1_25lookback_scan_determinismE0ELb0ELb0ES3_N6thrust23THRUST_200600_302600_NS6detail15normal_iteratorINS9_10device_ptrIfEEEESE_f11max_functorIfEfEEDaPvRmT3_T4_T5_mT6_P12ihipStream_tbENKUlT_T0_E_clISt17integral_constantIbLb1EEST_IbLb0EEEEDaSP_SQ_EUlSP_E0_NS1_11comp_targetILNS1_3genE3ELNS1_11target_archE908ELNS1_3gpuE7ELNS1_3repE0EEENS1_30default_config_static_selectorELNS0_4arch9wavefront6targetE1EEEvT1_,comdat
.Lfunc_end1991:
	.size	_ZN7rocprim17ROCPRIM_400000_NS6detail17trampoline_kernelINS0_14default_configENS1_20scan_config_selectorIfEEZZNS1_9scan_implILNS1_25lookback_scan_determinismE0ELb0ELb0ES3_N6thrust23THRUST_200600_302600_NS6detail15normal_iteratorINS9_10device_ptrIfEEEESE_f11max_functorIfEfEEDaPvRmT3_T4_T5_mT6_P12ihipStream_tbENKUlT_T0_E_clISt17integral_constantIbLb1EEST_IbLb0EEEEDaSP_SQ_EUlSP_E0_NS1_11comp_targetILNS1_3genE3ELNS1_11target_archE908ELNS1_3gpuE7ELNS1_3repE0EEENS1_30default_config_static_selectorELNS0_4arch9wavefront6targetE1EEEvT1_, .Lfunc_end1991-_ZN7rocprim17ROCPRIM_400000_NS6detail17trampoline_kernelINS0_14default_configENS1_20scan_config_selectorIfEEZZNS1_9scan_implILNS1_25lookback_scan_determinismE0ELb0ELb0ES3_N6thrust23THRUST_200600_302600_NS6detail15normal_iteratorINS9_10device_ptrIfEEEESE_f11max_functorIfEfEEDaPvRmT3_T4_T5_mT6_P12ihipStream_tbENKUlT_T0_E_clISt17integral_constantIbLb1EEST_IbLb0EEEEDaSP_SQ_EUlSP_E0_NS1_11comp_targetILNS1_3genE3ELNS1_11target_archE908ELNS1_3gpuE7ELNS1_3repE0EEENS1_30default_config_static_selectorELNS0_4arch9wavefront6targetE1EEEvT1_
                                        ; -- End function
	.section	.AMDGPU.csdata,"",@progbits
; Kernel info:
; codeLenInByte = 0
; NumSgprs: 4
; NumVgprs: 0
; NumAgprs: 0
; TotalNumVgprs: 0
; ScratchSize: 0
; MemoryBound: 0
; FloatMode: 240
; IeeeMode: 1
; LDSByteSize: 0 bytes/workgroup (compile time only)
; SGPRBlocks: 0
; VGPRBlocks: 0
; NumSGPRsForWavesPerEU: 4
; NumVGPRsForWavesPerEU: 1
; AccumOffset: 4
; Occupancy: 8
; WaveLimiterHint : 0
; COMPUTE_PGM_RSRC2:SCRATCH_EN: 0
; COMPUTE_PGM_RSRC2:USER_SGPR: 6
; COMPUTE_PGM_RSRC2:TRAP_HANDLER: 0
; COMPUTE_PGM_RSRC2:TGID_X_EN: 1
; COMPUTE_PGM_RSRC2:TGID_Y_EN: 0
; COMPUTE_PGM_RSRC2:TGID_Z_EN: 0
; COMPUTE_PGM_RSRC2:TIDIG_COMP_CNT: 0
; COMPUTE_PGM_RSRC3_GFX90A:ACCUM_OFFSET: 0
; COMPUTE_PGM_RSRC3_GFX90A:TG_SPLIT: 0
	.section	.text._ZN7rocprim17ROCPRIM_400000_NS6detail17trampoline_kernelINS0_14default_configENS1_20scan_config_selectorIfEEZZNS1_9scan_implILNS1_25lookback_scan_determinismE0ELb0ELb0ES3_N6thrust23THRUST_200600_302600_NS6detail15normal_iteratorINS9_10device_ptrIfEEEESE_f11max_functorIfEfEEDaPvRmT3_T4_T5_mT6_P12ihipStream_tbENKUlT_T0_E_clISt17integral_constantIbLb1EEST_IbLb0EEEEDaSP_SQ_EUlSP_E0_NS1_11comp_targetILNS1_3genE2ELNS1_11target_archE906ELNS1_3gpuE6ELNS1_3repE0EEENS1_30default_config_static_selectorELNS0_4arch9wavefront6targetE1EEEvT1_,"axG",@progbits,_ZN7rocprim17ROCPRIM_400000_NS6detail17trampoline_kernelINS0_14default_configENS1_20scan_config_selectorIfEEZZNS1_9scan_implILNS1_25lookback_scan_determinismE0ELb0ELb0ES3_N6thrust23THRUST_200600_302600_NS6detail15normal_iteratorINS9_10device_ptrIfEEEESE_f11max_functorIfEfEEDaPvRmT3_T4_T5_mT6_P12ihipStream_tbENKUlT_T0_E_clISt17integral_constantIbLb1EEST_IbLb0EEEEDaSP_SQ_EUlSP_E0_NS1_11comp_targetILNS1_3genE2ELNS1_11target_archE906ELNS1_3gpuE6ELNS1_3repE0EEENS1_30default_config_static_selectorELNS0_4arch9wavefront6targetE1EEEvT1_,comdat
	.protected	_ZN7rocprim17ROCPRIM_400000_NS6detail17trampoline_kernelINS0_14default_configENS1_20scan_config_selectorIfEEZZNS1_9scan_implILNS1_25lookback_scan_determinismE0ELb0ELb0ES3_N6thrust23THRUST_200600_302600_NS6detail15normal_iteratorINS9_10device_ptrIfEEEESE_f11max_functorIfEfEEDaPvRmT3_T4_T5_mT6_P12ihipStream_tbENKUlT_T0_E_clISt17integral_constantIbLb1EEST_IbLb0EEEEDaSP_SQ_EUlSP_E0_NS1_11comp_targetILNS1_3genE2ELNS1_11target_archE906ELNS1_3gpuE6ELNS1_3repE0EEENS1_30default_config_static_selectorELNS0_4arch9wavefront6targetE1EEEvT1_ ; -- Begin function _ZN7rocprim17ROCPRIM_400000_NS6detail17trampoline_kernelINS0_14default_configENS1_20scan_config_selectorIfEEZZNS1_9scan_implILNS1_25lookback_scan_determinismE0ELb0ELb0ES3_N6thrust23THRUST_200600_302600_NS6detail15normal_iteratorINS9_10device_ptrIfEEEESE_f11max_functorIfEfEEDaPvRmT3_T4_T5_mT6_P12ihipStream_tbENKUlT_T0_E_clISt17integral_constantIbLb1EEST_IbLb0EEEEDaSP_SQ_EUlSP_E0_NS1_11comp_targetILNS1_3genE2ELNS1_11target_archE906ELNS1_3gpuE6ELNS1_3repE0EEENS1_30default_config_static_selectorELNS0_4arch9wavefront6targetE1EEEvT1_
	.globl	_ZN7rocprim17ROCPRIM_400000_NS6detail17trampoline_kernelINS0_14default_configENS1_20scan_config_selectorIfEEZZNS1_9scan_implILNS1_25lookback_scan_determinismE0ELb0ELb0ES3_N6thrust23THRUST_200600_302600_NS6detail15normal_iteratorINS9_10device_ptrIfEEEESE_f11max_functorIfEfEEDaPvRmT3_T4_T5_mT6_P12ihipStream_tbENKUlT_T0_E_clISt17integral_constantIbLb1EEST_IbLb0EEEEDaSP_SQ_EUlSP_E0_NS1_11comp_targetILNS1_3genE2ELNS1_11target_archE906ELNS1_3gpuE6ELNS1_3repE0EEENS1_30default_config_static_selectorELNS0_4arch9wavefront6targetE1EEEvT1_
	.p2align	8
	.type	_ZN7rocprim17ROCPRIM_400000_NS6detail17trampoline_kernelINS0_14default_configENS1_20scan_config_selectorIfEEZZNS1_9scan_implILNS1_25lookback_scan_determinismE0ELb0ELb0ES3_N6thrust23THRUST_200600_302600_NS6detail15normal_iteratorINS9_10device_ptrIfEEEESE_f11max_functorIfEfEEDaPvRmT3_T4_T5_mT6_P12ihipStream_tbENKUlT_T0_E_clISt17integral_constantIbLb1EEST_IbLb0EEEEDaSP_SQ_EUlSP_E0_NS1_11comp_targetILNS1_3genE2ELNS1_11target_archE906ELNS1_3gpuE6ELNS1_3repE0EEENS1_30default_config_static_selectorELNS0_4arch9wavefront6targetE1EEEvT1_,@function
_ZN7rocprim17ROCPRIM_400000_NS6detail17trampoline_kernelINS0_14default_configENS1_20scan_config_selectorIfEEZZNS1_9scan_implILNS1_25lookback_scan_determinismE0ELb0ELb0ES3_N6thrust23THRUST_200600_302600_NS6detail15normal_iteratorINS9_10device_ptrIfEEEESE_f11max_functorIfEfEEDaPvRmT3_T4_T5_mT6_P12ihipStream_tbENKUlT_T0_E_clISt17integral_constantIbLb1EEST_IbLb0EEEEDaSP_SQ_EUlSP_E0_NS1_11comp_targetILNS1_3genE2ELNS1_11target_archE906ELNS1_3gpuE6ELNS1_3repE0EEENS1_30default_config_static_selectorELNS0_4arch9wavefront6targetE1EEEvT1_: ; @_ZN7rocprim17ROCPRIM_400000_NS6detail17trampoline_kernelINS0_14default_configENS1_20scan_config_selectorIfEEZZNS1_9scan_implILNS1_25lookback_scan_determinismE0ELb0ELb0ES3_N6thrust23THRUST_200600_302600_NS6detail15normal_iteratorINS9_10device_ptrIfEEEESE_f11max_functorIfEfEEDaPvRmT3_T4_T5_mT6_P12ihipStream_tbENKUlT_T0_E_clISt17integral_constantIbLb1EEST_IbLb0EEEEDaSP_SQ_EUlSP_E0_NS1_11comp_targetILNS1_3genE2ELNS1_11target_archE906ELNS1_3gpuE6ELNS1_3repE0EEENS1_30default_config_static_selectorELNS0_4arch9wavefront6targetE1EEEvT1_
; %bb.0:
	.section	.rodata,"a",@progbits
	.p2align	6, 0x0
	.amdhsa_kernel _ZN7rocprim17ROCPRIM_400000_NS6detail17trampoline_kernelINS0_14default_configENS1_20scan_config_selectorIfEEZZNS1_9scan_implILNS1_25lookback_scan_determinismE0ELb0ELb0ES3_N6thrust23THRUST_200600_302600_NS6detail15normal_iteratorINS9_10device_ptrIfEEEESE_f11max_functorIfEfEEDaPvRmT3_T4_T5_mT6_P12ihipStream_tbENKUlT_T0_E_clISt17integral_constantIbLb1EEST_IbLb0EEEEDaSP_SQ_EUlSP_E0_NS1_11comp_targetILNS1_3genE2ELNS1_11target_archE906ELNS1_3gpuE6ELNS1_3repE0EEENS1_30default_config_static_selectorELNS0_4arch9wavefront6targetE1EEEvT1_
		.amdhsa_group_segment_fixed_size 0
		.amdhsa_private_segment_fixed_size 0
		.amdhsa_kernarg_size 32
		.amdhsa_user_sgpr_count 6
		.amdhsa_user_sgpr_private_segment_buffer 1
		.amdhsa_user_sgpr_dispatch_ptr 0
		.amdhsa_user_sgpr_queue_ptr 0
		.amdhsa_user_sgpr_kernarg_segment_ptr 1
		.amdhsa_user_sgpr_dispatch_id 0
		.amdhsa_user_sgpr_flat_scratch_init 0
		.amdhsa_user_sgpr_kernarg_preload_length 0
		.amdhsa_user_sgpr_kernarg_preload_offset 0
		.amdhsa_user_sgpr_private_segment_size 0
		.amdhsa_uses_dynamic_stack 0
		.amdhsa_system_sgpr_private_segment_wavefront_offset 0
		.amdhsa_system_sgpr_workgroup_id_x 1
		.amdhsa_system_sgpr_workgroup_id_y 0
		.amdhsa_system_sgpr_workgroup_id_z 0
		.amdhsa_system_sgpr_workgroup_info 0
		.amdhsa_system_vgpr_workitem_id 0
		.amdhsa_next_free_vgpr 1
		.amdhsa_next_free_sgpr 0
		.amdhsa_accum_offset 4
		.amdhsa_reserve_vcc 0
		.amdhsa_reserve_flat_scratch 0
		.amdhsa_float_round_mode_32 0
		.amdhsa_float_round_mode_16_64 0
		.amdhsa_float_denorm_mode_32 3
		.amdhsa_float_denorm_mode_16_64 3
		.amdhsa_dx10_clamp 1
		.amdhsa_ieee_mode 1
		.amdhsa_fp16_overflow 0
		.amdhsa_tg_split 0
		.amdhsa_exception_fp_ieee_invalid_op 0
		.amdhsa_exception_fp_denorm_src 0
		.amdhsa_exception_fp_ieee_div_zero 0
		.amdhsa_exception_fp_ieee_overflow 0
		.amdhsa_exception_fp_ieee_underflow 0
		.amdhsa_exception_fp_ieee_inexact 0
		.amdhsa_exception_int_div_zero 0
	.end_amdhsa_kernel
	.section	.text._ZN7rocprim17ROCPRIM_400000_NS6detail17trampoline_kernelINS0_14default_configENS1_20scan_config_selectorIfEEZZNS1_9scan_implILNS1_25lookback_scan_determinismE0ELb0ELb0ES3_N6thrust23THRUST_200600_302600_NS6detail15normal_iteratorINS9_10device_ptrIfEEEESE_f11max_functorIfEfEEDaPvRmT3_T4_T5_mT6_P12ihipStream_tbENKUlT_T0_E_clISt17integral_constantIbLb1EEST_IbLb0EEEEDaSP_SQ_EUlSP_E0_NS1_11comp_targetILNS1_3genE2ELNS1_11target_archE906ELNS1_3gpuE6ELNS1_3repE0EEENS1_30default_config_static_selectorELNS0_4arch9wavefront6targetE1EEEvT1_,"axG",@progbits,_ZN7rocprim17ROCPRIM_400000_NS6detail17trampoline_kernelINS0_14default_configENS1_20scan_config_selectorIfEEZZNS1_9scan_implILNS1_25lookback_scan_determinismE0ELb0ELb0ES3_N6thrust23THRUST_200600_302600_NS6detail15normal_iteratorINS9_10device_ptrIfEEEESE_f11max_functorIfEfEEDaPvRmT3_T4_T5_mT6_P12ihipStream_tbENKUlT_T0_E_clISt17integral_constantIbLb1EEST_IbLb0EEEEDaSP_SQ_EUlSP_E0_NS1_11comp_targetILNS1_3genE2ELNS1_11target_archE906ELNS1_3gpuE6ELNS1_3repE0EEENS1_30default_config_static_selectorELNS0_4arch9wavefront6targetE1EEEvT1_,comdat
.Lfunc_end1992:
	.size	_ZN7rocprim17ROCPRIM_400000_NS6detail17trampoline_kernelINS0_14default_configENS1_20scan_config_selectorIfEEZZNS1_9scan_implILNS1_25lookback_scan_determinismE0ELb0ELb0ES3_N6thrust23THRUST_200600_302600_NS6detail15normal_iteratorINS9_10device_ptrIfEEEESE_f11max_functorIfEfEEDaPvRmT3_T4_T5_mT6_P12ihipStream_tbENKUlT_T0_E_clISt17integral_constantIbLb1EEST_IbLb0EEEEDaSP_SQ_EUlSP_E0_NS1_11comp_targetILNS1_3genE2ELNS1_11target_archE906ELNS1_3gpuE6ELNS1_3repE0EEENS1_30default_config_static_selectorELNS0_4arch9wavefront6targetE1EEEvT1_, .Lfunc_end1992-_ZN7rocprim17ROCPRIM_400000_NS6detail17trampoline_kernelINS0_14default_configENS1_20scan_config_selectorIfEEZZNS1_9scan_implILNS1_25lookback_scan_determinismE0ELb0ELb0ES3_N6thrust23THRUST_200600_302600_NS6detail15normal_iteratorINS9_10device_ptrIfEEEESE_f11max_functorIfEfEEDaPvRmT3_T4_T5_mT6_P12ihipStream_tbENKUlT_T0_E_clISt17integral_constantIbLb1EEST_IbLb0EEEEDaSP_SQ_EUlSP_E0_NS1_11comp_targetILNS1_3genE2ELNS1_11target_archE906ELNS1_3gpuE6ELNS1_3repE0EEENS1_30default_config_static_selectorELNS0_4arch9wavefront6targetE1EEEvT1_
                                        ; -- End function
	.section	.AMDGPU.csdata,"",@progbits
; Kernel info:
; codeLenInByte = 0
; NumSgprs: 4
; NumVgprs: 0
; NumAgprs: 0
; TotalNumVgprs: 0
; ScratchSize: 0
; MemoryBound: 0
; FloatMode: 240
; IeeeMode: 1
; LDSByteSize: 0 bytes/workgroup (compile time only)
; SGPRBlocks: 0
; VGPRBlocks: 0
; NumSGPRsForWavesPerEU: 4
; NumVGPRsForWavesPerEU: 1
; AccumOffset: 4
; Occupancy: 8
; WaveLimiterHint : 0
; COMPUTE_PGM_RSRC2:SCRATCH_EN: 0
; COMPUTE_PGM_RSRC2:USER_SGPR: 6
; COMPUTE_PGM_RSRC2:TRAP_HANDLER: 0
; COMPUTE_PGM_RSRC2:TGID_X_EN: 1
; COMPUTE_PGM_RSRC2:TGID_Y_EN: 0
; COMPUTE_PGM_RSRC2:TGID_Z_EN: 0
; COMPUTE_PGM_RSRC2:TIDIG_COMP_CNT: 0
; COMPUTE_PGM_RSRC3_GFX90A:ACCUM_OFFSET: 0
; COMPUTE_PGM_RSRC3_GFX90A:TG_SPLIT: 0
	.section	.text._ZN7rocprim17ROCPRIM_400000_NS6detail17trampoline_kernelINS0_14default_configENS1_20scan_config_selectorIfEEZZNS1_9scan_implILNS1_25lookback_scan_determinismE0ELb0ELb0ES3_N6thrust23THRUST_200600_302600_NS6detail15normal_iteratorINS9_10device_ptrIfEEEESE_f11max_functorIfEfEEDaPvRmT3_T4_T5_mT6_P12ihipStream_tbENKUlT_T0_E_clISt17integral_constantIbLb1EEST_IbLb0EEEEDaSP_SQ_EUlSP_E0_NS1_11comp_targetILNS1_3genE10ELNS1_11target_archE1201ELNS1_3gpuE5ELNS1_3repE0EEENS1_30default_config_static_selectorELNS0_4arch9wavefront6targetE1EEEvT1_,"axG",@progbits,_ZN7rocprim17ROCPRIM_400000_NS6detail17trampoline_kernelINS0_14default_configENS1_20scan_config_selectorIfEEZZNS1_9scan_implILNS1_25lookback_scan_determinismE0ELb0ELb0ES3_N6thrust23THRUST_200600_302600_NS6detail15normal_iteratorINS9_10device_ptrIfEEEESE_f11max_functorIfEfEEDaPvRmT3_T4_T5_mT6_P12ihipStream_tbENKUlT_T0_E_clISt17integral_constantIbLb1EEST_IbLb0EEEEDaSP_SQ_EUlSP_E0_NS1_11comp_targetILNS1_3genE10ELNS1_11target_archE1201ELNS1_3gpuE5ELNS1_3repE0EEENS1_30default_config_static_selectorELNS0_4arch9wavefront6targetE1EEEvT1_,comdat
	.protected	_ZN7rocprim17ROCPRIM_400000_NS6detail17trampoline_kernelINS0_14default_configENS1_20scan_config_selectorIfEEZZNS1_9scan_implILNS1_25lookback_scan_determinismE0ELb0ELb0ES3_N6thrust23THRUST_200600_302600_NS6detail15normal_iteratorINS9_10device_ptrIfEEEESE_f11max_functorIfEfEEDaPvRmT3_T4_T5_mT6_P12ihipStream_tbENKUlT_T0_E_clISt17integral_constantIbLb1EEST_IbLb0EEEEDaSP_SQ_EUlSP_E0_NS1_11comp_targetILNS1_3genE10ELNS1_11target_archE1201ELNS1_3gpuE5ELNS1_3repE0EEENS1_30default_config_static_selectorELNS0_4arch9wavefront6targetE1EEEvT1_ ; -- Begin function _ZN7rocprim17ROCPRIM_400000_NS6detail17trampoline_kernelINS0_14default_configENS1_20scan_config_selectorIfEEZZNS1_9scan_implILNS1_25lookback_scan_determinismE0ELb0ELb0ES3_N6thrust23THRUST_200600_302600_NS6detail15normal_iteratorINS9_10device_ptrIfEEEESE_f11max_functorIfEfEEDaPvRmT3_T4_T5_mT6_P12ihipStream_tbENKUlT_T0_E_clISt17integral_constantIbLb1EEST_IbLb0EEEEDaSP_SQ_EUlSP_E0_NS1_11comp_targetILNS1_3genE10ELNS1_11target_archE1201ELNS1_3gpuE5ELNS1_3repE0EEENS1_30default_config_static_selectorELNS0_4arch9wavefront6targetE1EEEvT1_
	.globl	_ZN7rocprim17ROCPRIM_400000_NS6detail17trampoline_kernelINS0_14default_configENS1_20scan_config_selectorIfEEZZNS1_9scan_implILNS1_25lookback_scan_determinismE0ELb0ELb0ES3_N6thrust23THRUST_200600_302600_NS6detail15normal_iteratorINS9_10device_ptrIfEEEESE_f11max_functorIfEfEEDaPvRmT3_T4_T5_mT6_P12ihipStream_tbENKUlT_T0_E_clISt17integral_constantIbLb1EEST_IbLb0EEEEDaSP_SQ_EUlSP_E0_NS1_11comp_targetILNS1_3genE10ELNS1_11target_archE1201ELNS1_3gpuE5ELNS1_3repE0EEENS1_30default_config_static_selectorELNS0_4arch9wavefront6targetE1EEEvT1_
	.p2align	8
	.type	_ZN7rocprim17ROCPRIM_400000_NS6detail17trampoline_kernelINS0_14default_configENS1_20scan_config_selectorIfEEZZNS1_9scan_implILNS1_25lookback_scan_determinismE0ELb0ELb0ES3_N6thrust23THRUST_200600_302600_NS6detail15normal_iteratorINS9_10device_ptrIfEEEESE_f11max_functorIfEfEEDaPvRmT3_T4_T5_mT6_P12ihipStream_tbENKUlT_T0_E_clISt17integral_constantIbLb1EEST_IbLb0EEEEDaSP_SQ_EUlSP_E0_NS1_11comp_targetILNS1_3genE10ELNS1_11target_archE1201ELNS1_3gpuE5ELNS1_3repE0EEENS1_30default_config_static_selectorELNS0_4arch9wavefront6targetE1EEEvT1_,@function
_ZN7rocprim17ROCPRIM_400000_NS6detail17trampoline_kernelINS0_14default_configENS1_20scan_config_selectorIfEEZZNS1_9scan_implILNS1_25lookback_scan_determinismE0ELb0ELb0ES3_N6thrust23THRUST_200600_302600_NS6detail15normal_iteratorINS9_10device_ptrIfEEEESE_f11max_functorIfEfEEDaPvRmT3_T4_T5_mT6_P12ihipStream_tbENKUlT_T0_E_clISt17integral_constantIbLb1EEST_IbLb0EEEEDaSP_SQ_EUlSP_E0_NS1_11comp_targetILNS1_3genE10ELNS1_11target_archE1201ELNS1_3gpuE5ELNS1_3repE0EEENS1_30default_config_static_selectorELNS0_4arch9wavefront6targetE1EEEvT1_: ; @_ZN7rocprim17ROCPRIM_400000_NS6detail17trampoline_kernelINS0_14default_configENS1_20scan_config_selectorIfEEZZNS1_9scan_implILNS1_25lookback_scan_determinismE0ELb0ELb0ES3_N6thrust23THRUST_200600_302600_NS6detail15normal_iteratorINS9_10device_ptrIfEEEESE_f11max_functorIfEfEEDaPvRmT3_T4_T5_mT6_P12ihipStream_tbENKUlT_T0_E_clISt17integral_constantIbLb1EEST_IbLb0EEEEDaSP_SQ_EUlSP_E0_NS1_11comp_targetILNS1_3genE10ELNS1_11target_archE1201ELNS1_3gpuE5ELNS1_3repE0EEENS1_30default_config_static_selectorELNS0_4arch9wavefront6targetE1EEEvT1_
; %bb.0:
	.section	.rodata,"a",@progbits
	.p2align	6, 0x0
	.amdhsa_kernel _ZN7rocprim17ROCPRIM_400000_NS6detail17trampoline_kernelINS0_14default_configENS1_20scan_config_selectorIfEEZZNS1_9scan_implILNS1_25lookback_scan_determinismE0ELb0ELb0ES3_N6thrust23THRUST_200600_302600_NS6detail15normal_iteratorINS9_10device_ptrIfEEEESE_f11max_functorIfEfEEDaPvRmT3_T4_T5_mT6_P12ihipStream_tbENKUlT_T0_E_clISt17integral_constantIbLb1EEST_IbLb0EEEEDaSP_SQ_EUlSP_E0_NS1_11comp_targetILNS1_3genE10ELNS1_11target_archE1201ELNS1_3gpuE5ELNS1_3repE0EEENS1_30default_config_static_selectorELNS0_4arch9wavefront6targetE1EEEvT1_
		.amdhsa_group_segment_fixed_size 0
		.amdhsa_private_segment_fixed_size 0
		.amdhsa_kernarg_size 32
		.amdhsa_user_sgpr_count 6
		.amdhsa_user_sgpr_private_segment_buffer 1
		.amdhsa_user_sgpr_dispatch_ptr 0
		.amdhsa_user_sgpr_queue_ptr 0
		.amdhsa_user_sgpr_kernarg_segment_ptr 1
		.amdhsa_user_sgpr_dispatch_id 0
		.amdhsa_user_sgpr_flat_scratch_init 0
		.amdhsa_user_sgpr_kernarg_preload_length 0
		.amdhsa_user_sgpr_kernarg_preload_offset 0
		.amdhsa_user_sgpr_private_segment_size 0
		.amdhsa_uses_dynamic_stack 0
		.amdhsa_system_sgpr_private_segment_wavefront_offset 0
		.amdhsa_system_sgpr_workgroup_id_x 1
		.amdhsa_system_sgpr_workgroup_id_y 0
		.amdhsa_system_sgpr_workgroup_id_z 0
		.amdhsa_system_sgpr_workgroup_info 0
		.amdhsa_system_vgpr_workitem_id 0
		.amdhsa_next_free_vgpr 1
		.amdhsa_next_free_sgpr 0
		.amdhsa_accum_offset 4
		.amdhsa_reserve_vcc 0
		.amdhsa_reserve_flat_scratch 0
		.amdhsa_float_round_mode_32 0
		.amdhsa_float_round_mode_16_64 0
		.amdhsa_float_denorm_mode_32 3
		.amdhsa_float_denorm_mode_16_64 3
		.amdhsa_dx10_clamp 1
		.amdhsa_ieee_mode 1
		.amdhsa_fp16_overflow 0
		.amdhsa_tg_split 0
		.amdhsa_exception_fp_ieee_invalid_op 0
		.amdhsa_exception_fp_denorm_src 0
		.amdhsa_exception_fp_ieee_div_zero 0
		.amdhsa_exception_fp_ieee_overflow 0
		.amdhsa_exception_fp_ieee_underflow 0
		.amdhsa_exception_fp_ieee_inexact 0
		.amdhsa_exception_int_div_zero 0
	.end_amdhsa_kernel
	.section	.text._ZN7rocprim17ROCPRIM_400000_NS6detail17trampoline_kernelINS0_14default_configENS1_20scan_config_selectorIfEEZZNS1_9scan_implILNS1_25lookback_scan_determinismE0ELb0ELb0ES3_N6thrust23THRUST_200600_302600_NS6detail15normal_iteratorINS9_10device_ptrIfEEEESE_f11max_functorIfEfEEDaPvRmT3_T4_T5_mT6_P12ihipStream_tbENKUlT_T0_E_clISt17integral_constantIbLb1EEST_IbLb0EEEEDaSP_SQ_EUlSP_E0_NS1_11comp_targetILNS1_3genE10ELNS1_11target_archE1201ELNS1_3gpuE5ELNS1_3repE0EEENS1_30default_config_static_selectorELNS0_4arch9wavefront6targetE1EEEvT1_,"axG",@progbits,_ZN7rocprim17ROCPRIM_400000_NS6detail17trampoline_kernelINS0_14default_configENS1_20scan_config_selectorIfEEZZNS1_9scan_implILNS1_25lookback_scan_determinismE0ELb0ELb0ES3_N6thrust23THRUST_200600_302600_NS6detail15normal_iteratorINS9_10device_ptrIfEEEESE_f11max_functorIfEfEEDaPvRmT3_T4_T5_mT6_P12ihipStream_tbENKUlT_T0_E_clISt17integral_constantIbLb1EEST_IbLb0EEEEDaSP_SQ_EUlSP_E0_NS1_11comp_targetILNS1_3genE10ELNS1_11target_archE1201ELNS1_3gpuE5ELNS1_3repE0EEENS1_30default_config_static_selectorELNS0_4arch9wavefront6targetE1EEEvT1_,comdat
.Lfunc_end1993:
	.size	_ZN7rocprim17ROCPRIM_400000_NS6detail17trampoline_kernelINS0_14default_configENS1_20scan_config_selectorIfEEZZNS1_9scan_implILNS1_25lookback_scan_determinismE0ELb0ELb0ES3_N6thrust23THRUST_200600_302600_NS6detail15normal_iteratorINS9_10device_ptrIfEEEESE_f11max_functorIfEfEEDaPvRmT3_T4_T5_mT6_P12ihipStream_tbENKUlT_T0_E_clISt17integral_constantIbLb1EEST_IbLb0EEEEDaSP_SQ_EUlSP_E0_NS1_11comp_targetILNS1_3genE10ELNS1_11target_archE1201ELNS1_3gpuE5ELNS1_3repE0EEENS1_30default_config_static_selectorELNS0_4arch9wavefront6targetE1EEEvT1_, .Lfunc_end1993-_ZN7rocprim17ROCPRIM_400000_NS6detail17trampoline_kernelINS0_14default_configENS1_20scan_config_selectorIfEEZZNS1_9scan_implILNS1_25lookback_scan_determinismE0ELb0ELb0ES3_N6thrust23THRUST_200600_302600_NS6detail15normal_iteratorINS9_10device_ptrIfEEEESE_f11max_functorIfEfEEDaPvRmT3_T4_T5_mT6_P12ihipStream_tbENKUlT_T0_E_clISt17integral_constantIbLb1EEST_IbLb0EEEEDaSP_SQ_EUlSP_E0_NS1_11comp_targetILNS1_3genE10ELNS1_11target_archE1201ELNS1_3gpuE5ELNS1_3repE0EEENS1_30default_config_static_selectorELNS0_4arch9wavefront6targetE1EEEvT1_
                                        ; -- End function
	.section	.AMDGPU.csdata,"",@progbits
; Kernel info:
; codeLenInByte = 0
; NumSgprs: 4
; NumVgprs: 0
; NumAgprs: 0
; TotalNumVgprs: 0
; ScratchSize: 0
; MemoryBound: 0
; FloatMode: 240
; IeeeMode: 1
; LDSByteSize: 0 bytes/workgroup (compile time only)
; SGPRBlocks: 0
; VGPRBlocks: 0
; NumSGPRsForWavesPerEU: 4
; NumVGPRsForWavesPerEU: 1
; AccumOffset: 4
; Occupancy: 8
; WaveLimiterHint : 0
; COMPUTE_PGM_RSRC2:SCRATCH_EN: 0
; COMPUTE_PGM_RSRC2:USER_SGPR: 6
; COMPUTE_PGM_RSRC2:TRAP_HANDLER: 0
; COMPUTE_PGM_RSRC2:TGID_X_EN: 1
; COMPUTE_PGM_RSRC2:TGID_Y_EN: 0
; COMPUTE_PGM_RSRC2:TGID_Z_EN: 0
; COMPUTE_PGM_RSRC2:TIDIG_COMP_CNT: 0
; COMPUTE_PGM_RSRC3_GFX90A:ACCUM_OFFSET: 0
; COMPUTE_PGM_RSRC3_GFX90A:TG_SPLIT: 0
	.section	.text._ZN7rocprim17ROCPRIM_400000_NS6detail17trampoline_kernelINS0_14default_configENS1_20scan_config_selectorIfEEZZNS1_9scan_implILNS1_25lookback_scan_determinismE0ELb0ELb0ES3_N6thrust23THRUST_200600_302600_NS6detail15normal_iteratorINS9_10device_ptrIfEEEESE_f11max_functorIfEfEEDaPvRmT3_T4_T5_mT6_P12ihipStream_tbENKUlT_T0_E_clISt17integral_constantIbLb1EEST_IbLb0EEEEDaSP_SQ_EUlSP_E0_NS1_11comp_targetILNS1_3genE10ELNS1_11target_archE1200ELNS1_3gpuE4ELNS1_3repE0EEENS1_30default_config_static_selectorELNS0_4arch9wavefront6targetE1EEEvT1_,"axG",@progbits,_ZN7rocprim17ROCPRIM_400000_NS6detail17trampoline_kernelINS0_14default_configENS1_20scan_config_selectorIfEEZZNS1_9scan_implILNS1_25lookback_scan_determinismE0ELb0ELb0ES3_N6thrust23THRUST_200600_302600_NS6detail15normal_iteratorINS9_10device_ptrIfEEEESE_f11max_functorIfEfEEDaPvRmT3_T4_T5_mT6_P12ihipStream_tbENKUlT_T0_E_clISt17integral_constantIbLb1EEST_IbLb0EEEEDaSP_SQ_EUlSP_E0_NS1_11comp_targetILNS1_3genE10ELNS1_11target_archE1200ELNS1_3gpuE4ELNS1_3repE0EEENS1_30default_config_static_selectorELNS0_4arch9wavefront6targetE1EEEvT1_,comdat
	.protected	_ZN7rocprim17ROCPRIM_400000_NS6detail17trampoline_kernelINS0_14default_configENS1_20scan_config_selectorIfEEZZNS1_9scan_implILNS1_25lookback_scan_determinismE0ELb0ELb0ES3_N6thrust23THRUST_200600_302600_NS6detail15normal_iteratorINS9_10device_ptrIfEEEESE_f11max_functorIfEfEEDaPvRmT3_T4_T5_mT6_P12ihipStream_tbENKUlT_T0_E_clISt17integral_constantIbLb1EEST_IbLb0EEEEDaSP_SQ_EUlSP_E0_NS1_11comp_targetILNS1_3genE10ELNS1_11target_archE1200ELNS1_3gpuE4ELNS1_3repE0EEENS1_30default_config_static_selectorELNS0_4arch9wavefront6targetE1EEEvT1_ ; -- Begin function _ZN7rocprim17ROCPRIM_400000_NS6detail17trampoline_kernelINS0_14default_configENS1_20scan_config_selectorIfEEZZNS1_9scan_implILNS1_25lookback_scan_determinismE0ELb0ELb0ES3_N6thrust23THRUST_200600_302600_NS6detail15normal_iteratorINS9_10device_ptrIfEEEESE_f11max_functorIfEfEEDaPvRmT3_T4_T5_mT6_P12ihipStream_tbENKUlT_T0_E_clISt17integral_constantIbLb1EEST_IbLb0EEEEDaSP_SQ_EUlSP_E0_NS1_11comp_targetILNS1_3genE10ELNS1_11target_archE1200ELNS1_3gpuE4ELNS1_3repE0EEENS1_30default_config_static_selectorELNS0_4arch9wavefront6targetE1EEEvT1_
	.globl	_ZN7rocprim17ROCPRIM_400000_NS6detail17trampoline_kernelINS0_14default_configENS1_20scan_config_selectorIfEEZZNS1_9scan_implILNS1_25lookback_scan_determinismE0ELb0ELb0ES3_N6thrust23THRUST_200600_302600_NS6detail15normal_iteratorINS9_10device_ptrIfEEEESE_f11max_functorIfEfEEDaPvRmT3_T4_T5_mT6_P12ihipStream_tbENKUlT_T0_E_clISt17integral_constantIbLb1EEST_IbLb0EEEEDaSP_SQ_EUlSP_E0_NS1_11comp_targetILNS1_3genE10ELNS1_11target_archE1200ELNS1_3gpuE4ELNS1_3repE0EEENS1_30default_config_static_selectorELNS0_4arch9wavefront6targetE1EEEvT1_
	.p2align	8
	.type	_ZN7rocprim17ROCPRIM_400000_NS6detail17trampoline_kernelINS0_14default_configENS1_20scan_config_selectorIfEEZZNS1_9scan_implILNS1_25lookback_scan_determinismE0ELb0ELb0ES3_N6thrust23THRUST_200600_302600_NS6detail15normal_iteratorINS9_10device_ptrIfEEEESE_f11max_functorIfEfEEDaPvRmT3_T4_T5_mT6_P12ihipStream_tbENKUlT_T0_E_clISt17integral_constantIbLb1EEST_IbLb0EEEEDaSP_SQ_EUlSP_E0_NS1_11comp_targetILNS1_3genE10ELNS1_11target_archE1200ELNS1_3gpuE4ELNS1_3repE0EEENS1_30default_config_static_selectorELNS0_4arch9wavefront6targetE1EEEvT1_,@function
_ZN7rocprim17ROCPRIM_400000_NS6detail17trampoline_kernelINS0_14default_configENS1_20scan_config_selectorIfEEZZNS1_9scan_implILNS1_25lookback_scan_determinismE0ELb0ELb0ES3_N6thrust23THRUST_200600_302600_NS6detail15normal_iteratorINS9_10device_ptrIfEEEESE_f11max_functorIfEfEEDaPvRmT3_T4_T5_mT6_P12ihipStream_tbENKUlT_T0_E_clISt17integral_constantIbLb1EEST_IbLb0EEEEDaSP_SQ_EUlSP_E0_NS1_11comp_targetILNS1_3genE10ELNS1_11target_archE1200ELNS1_3gpuE4ELNS1_3repE0EEENS1_30default_config_static_selectorELNS0_4arch9wavefront6targetE1EEEvT1_: ; @_ZN7rocprim17ROCPRIM_400000_NS6detail17trampoline_kernelINS0_14default_configENS1_20scan_config_selectorIfEEZZNS1_9scan_implILNS1_25lookback_scan_determinismE0ELb0ELb0ES3_N6thrust23THRUST_200600_302600_NS6detail15normal_iteratorINS9_10device_ptrIfEEEESE_f11max_functorIfEfEEDaPvRmT3_T4_T5_mT6_P12ihipStream_tbENKUlT_T0_E_clISt17integral_constantIbLb1EEST_IbLb0EEEEDaSP_SQ_EUlSP_E0_NS1_11comp_targetILNS1_3genE10ELNS1_11target_archE1200ELNS1_3gpuE4ELNS1_3repE0EEENS1_30default_config_static_selectorELNS0_4arch9wavefront6targetE1EEEvT1_
; %bb.0:
	.section	.rodata,"a",@progbits
	.p2align	6, 0x0
	.amdhsa_kernel _ZN7rocprim17ROCPRIM_400000_NS6detail17trampoline_kernelINS0_14default_configENS1_20scan_config_selectorIfEEZZNS1_9scan_implILNS1_25lookback_scan_determinismE0ELb0ELb0ES3_N6thrust23THRUST_200600_302600_NS6detail15normal_iteratorINS9_10device_ptrIfEEEESE_f11max_functorIfEfEEDaPvRmT3_T4_T5_mT6_P12ihipStream_tbENKUlT_T0_E_clISt17integral_constantIbLb1EEST_IbLb0EEEEDaSP_SQ_EUlSP_E0_NS1_11comp_targetILNS1_3genE10ELNS1_11target_archE1200ELNS1_3gpuE4ELNS1_3repE0EEENS1_30default_config_static_selectorELNS0_4arch9wavefront6targetE1EEEvT1_
		.amdhsa_group_segment_fixed_size 0
		.amdhsa_private_segment_fixed_size 0
		.amdhsa_kernarg_size 32
		.amdhsa_user_sgpr_count 6
		.amdhsa_user_sgpr_private_segment_buffer 1
		.amdhsa_user_sgpr_dispatch_ptr 0
		.amdhsa_user_sgpr_queue_ptr 0
		.amdhsa_user_sgpr_kernarg_segment_ptr 1
		.amdhsa_user_sgpr_dispatch_id 0
		.amdhsa_user_sgpr_flat_scratch_init 0
		.amdhsa_user_sgpr_kernarg_preload_length 0
		.amdhsa_user_sgpr_kernarg_preload_offset 0
		.amdhsa_user_sgpr_private_segment_size 0
		.amdhsa_uses_dynamic_stack 0
		.amdhsa_system_sgpr_private_segment_wavefront_offset 0
		.amdhsa_system_sgpr_workgroup_id_x 1
		.amdhsa_system_sgpr_workgroup_id_y 0
		.amdhsa_system_sgpr_workgroup_id_z 0
		.amdhsa_system_sgpr_workgroup_info 0
		.amdhsa_system_vgpr_workitem_id 0
		.amdhsa_next_free_vgpr 1
		.amdhsa_next_free_sgpr 0
		.amdhsa_accum_offset 4
		.amdhsa_reserve_vcc 0
		.amdhsa_reserve_flat_scratch 0
		.amdhsa_float_round_mode_32 0
		.amdhsa_float_round_mode_16_64 0
		.amdhsa_float_denorm_mode_32 3
		.amdhsa_float_denorm_mode_16_64 3
		.amdhsa_dx10_clamp 1
		.amdhsa_ieee_mode 1
		.amdhsa_fp16_overflow 0
		.amdhsa_tg_split 0
		.amdhsa_exception_fp_ieee_invalid_op 0
		.amdhsa_exception_fp_denorm_src 0
		.amdhsa_exception_fp_ieee_div_zero 0
		.amdhsa_exception_fp_ieee_overflow 0
		.amdhsa_exception_fp_ieee_underflow 0
		.amdhsa_exception_fp_ieee_inexact 0
		.amdhsa_exception_int_div_zero 0
	.end_amdhsa_kernel
	.section	.text._ZN7rocprim17ROCPRIM_400000_NS6detail17trampoline_kernelINS0_14default_configENS1_20scan_config_selectorIfEEZZNS1_9scan_implILNS1_25lookback_scan_determinismE0ELb0ELb0ES3_N6thrust23THRUST_200600_302600_NS6detail15normal_iteratorINS9_10device_ptrIfEEEESE_f11max_functorIfEfEEDaPvRmT3_T4_T5_mT6_P12ihipStream_tbENKUlT_T0_E_clISt17integral_constantIbLb1EEST_IbLb0EEEEDaSP_SQ_EUlSP_E0_NS1_11comp_targetILNS1_3genE10ELNS1_11target_archE1200ELNS1_3gpuE4ELNS1_3repE0EEENS1_30default_config_static_selectorELNS0_4arch9wavefront6targetE1EEEvT1_,"axG",@progbits,_ZN7rocprim17ROCPRIM_400000_NS6detail17trampoline_kernelINS0_14default_configENS1_20scan_config_selectorIfEEZZNS1_9scan_implILNS1_25lookback_scan_determinismE0ELb0ELb0ES3_N6thrust23THRUST_200600_302600_NS6detail15normal_iteratorINS9_10device_ptrIfEEEESE_f11max_functorIfEfEEDaPvRmT3_T4_T5_mT6_P12ihipStream_tbENKUlT_T0_E_clISt17integral_constantIbLb1EEST_IbLb0EEEEDaSP_SQ_EUlSP_E0_NS1_11comp_targetILNS1_3genE10ELNS1_11target_archE1200ELNS1_3gpuE4ELNS1_3repE0EEENS1_30default_config_static_selectorELNS0_4arch9wavefront6targetE1EEEvT1_,comdat
.Lfunc_end1994:
	.size	_ZN7rocprim17ROCPRIM_400000_NS6detail17trampoline_kernelINS0_14default_configENS1_20scan_config_selectorIfEEZZNS1_9scan_implILNS1_25lookback_scan_determinismE0ELb0ELb0ES3_N6thrust23THRUST_200600_302600_NS6detail15normal_iteratorINS9_10device_ptrIfEEEESE_f11max_functorIfEfEEDaPvRmT3_T4_T5_mT6_P12ihipStream_tbENKUlT_T0_E_clISt17integral_constantIbLb1EEST_IbLb0EEEEDaSP_SQ_EUlSP_E0_NS1_11comp_targetILNS1_3genE10ELNS1_11target_archE1200ELNS1_3gpuE4ELNS1_3repE0EEENS1_30default_config_static_selectorELNS0_4arch9wavefront6targetE1EEEvT1_, .Lfunc_end1994-_ZN7rocprim17ROCPRIM_400000_NS6detail17trampoline_kernelINS0_14default_configENS1_20scan_config_selectorIfEEZZNS1_9scan_implILNS1_25lookback_scan_determinismE0ELb0ELb0ES3_N6thrust23THRUST_200600_302600_NS6detail15normal_iteratorINS9_10device_ptrIfEEEESE_f11max_functorIfEfEEDaPvRmT3_T4_T5_mT6_P12ihipStream_tbENKUlT_T0_E_clISt17integral_constantIbLb1EEST_IbLb0EEEEDaSP_SQ_EUlSP_E0_NS1_11comp_targetILNS1_3genE10ELNS1_11target_archE1200ELNS1_3gpuE4ELNS1_3repE0EEENS1_30default_config_static_selectorELNS0_4arch9wavefront6targetE1EEEvT1_
                                        ; -- End function
	.section	.AMDGPU.csdata,"",@progbits
; Kernel info:
; codeLenInByte = 0
; NumSgprs: 4
; NumVgprs: 0
; NumAgprs: 0
; TotalNumVgprs: 0
; ScratchSize: 0
; MemoryBound: 0
; FloatMode: 240
; IeeeMode: 1
; LDSByteSize: 0 bytes/workgroup (compile time only)
; SGPRBlocks: 0
; VGPRBlocks: 0
; NumSGPRsForWavesPerEU: 4
; NumVGPRsForWavesPerEU: 1
; AccumOffset: 4
; Occupancy: 8
; WaveLimiterHint : 0
; COMPUTE_PGM_RSRC2:SCRATCH_EN: 0
; COMPUTE_PGM_RSRC2:USER_SGPR: 6
; COMPUTE_PGM_RSRC2:TRAP_HANDLER: 0
; COMPUTE_PGM_RSRC2:TGID_X_EN: 1
; COMPUTE_PGM_RSRC2:TGID_Y_EN: 0
; COMPUTE_PGM_RSRC2:TGID_Z_EN: 0
; COMPUTE_PGM_RSRC2:TIDIG_COMP_CNT: 0
; COMPUTE_PGM_RSRC3_GFX90A:ACCUM_OFFSET: 0
; COMPUTE_PGM_RSRC3_GFX90A:TG_SPLIT: 0
	.section	.text._ZN7rocprim17ROCPRIM_400000_NS6detail17trampoline_kernelINS0_14default_configENS1_20scan_config_selectorIfEEZZNS1_9scan_implILNS1_25lookback_scan_determinismE0ELb0ELb0ES3_N6thrust23THRUST_200600_302600_NS6detail15normal_iteratorINS9_10device_ptrIfEEEESE_f11max_functorIfEfEEDaPvRmT3_T4_T5_mT6_P12ihipStream_tbENKUlT_T0_E_clISt17integral_constantIbLb1EEST_IbLb0EEEEDaSP_SQ_EUlSP_E0_NS1_11comp_targetILNS1_3genE9ELNS1_11target_archE1100ELNS1_3gpuE3ELNS1_3repE0EEENS1_30default_config_static_selectorELNS0_4arch9wavefront6targetE1EEEvT1_,"axG",@progbits,_ZN7rocprim17ROCPRIM_400000_NS6detail17trampoline_kernelINS0_14default_configENS1_20scan_config_selectorIfEEZZNS1_9scan_implILNS1_25lookback_scan_determinismE0ELb0ELb0ES3_N6thrust23THRUST_200600_302600_NS6detail15normal_iteratorINS9_10device_ptrIfEEEESE_f11max_functorIfEfEEDaPvRmT3_T4_T5_mT6_P12ihipStream_tbENKUlT_T0_E_clISt17integral_constantIbLb1EEST_IbLb0EEEEDaSP_SQ_EUlSP_E0_NS1_11comp_targetILNS1_3genE9ELNS1_11target_archE1100ELNS1_3gpuE3ELNS1_3repE0EEENS1_30default_config_static_selectorELNS0_4arch9wavefront6targetE1EEEvT1_,comdat
	.protected	_ZN7rocprim17ROCPRIM_400000_NS6detail17trampoline_kernelINS0_14default_configENS1_20scan_config_selectorIfEEZZNS1_9scan_implILNS1_25lookback_scan_determinismE0ELb0ELb0ES3_N6thrust23THRUST_200600_302600_NS6detail15normal_iteratorINS9_10device_ptrIfEEEESE_f11max_functorIfEfEEDaPvRmT3_T4_T5_mT6_P12ihipStream_tbENKUlT_T0_E_clISt17integral_constantIbLb1EEST_IbLb0EEEEDaSP_SQ_EUlSP_E0_NS1_11comp_targetILNS1_3genE9ELNS1_11target_archE1100ELNS1_3gpuE3ELNS1_3repE0EEENS1_30default_config_static_selectorELNS0_4arch9wavefront6targetE1EEEvT1_ ; -- Begin function _ZN7rocprim17ROCPRIM_400000_NS6detail17trampoline_kernelINS0_14default_configENS1_20scan_config_selectorIfEEZZNS1_9scan_implILNS1_25lookback_scan_determinismE0ELb0ELb0ES3_N6thrust23THRUST_200600_302600_NS6detail15normal_iteratorINS9_10device_ptrIfEEEESE_f11max_functorIfEfEEDaPvRmT3_T4_T5_mT6_P12ihipStream_tbENKUlT_T0_E_clISt17integral_constantIbLb1EEST_IbLb0EEEEDaSP_SQ_EUlSP_E0_NS1_11comp_targetILNS1_3genE9ELNS1_11target_archE1100ELNS1_3gpuE3ELNS1_3repE0EEENS1_30default_config_static_selectorELNS0_4arch9wavefront6targetE1EEEvT1_
	.globl	_ZN7rocprim17ROCPRIM_400000_NS6detail17trampoline_kernelINS0_14default_configENS1_20scan_config_selectorIfEEZZNS1_9scan_implILNS1_25lookback_scan_determinismE0ELb0ELb0ES3_N6thrust23THRUST_200600_302600_NS6detail15normal_iteratorINS9_10device_ptrIfEEEESE_f11max_functorIfEfEEDaPvRmT3_T4_T5_mT6_P12ihipStream_tbENKUlT_T0_E_clISt17integral_constantIbLb1EEST_IbLb0EEEEDaSP_SQ_EUlSP_E0_NS1_11comp_targetILNS1_3genE9ELNS1_11target_archE1100ELNS1_3gpuE3ELNS1_3repE0EEENS1_30default_config_static_selectorELNS0_4arch9wavefront6targetE1EEEvT1_
	.p2align	8
	.type	_ZN7rocprim17ROCPRIM_400000_NS6detail17trampoline_kernelINS0_14default_configENS1_20scan_config_selectorIfEEZZNS1_9scan_implILNS1_25lookback_scan_determinismE0ELb0ELb0ES3_N6thrust23THRUST_200600_302600_NS6detail15normal_iteratorINS9_10device_ptrIfEEEESE_f11max_functorIfEfEEDaPvRmT3_T4_T5_mT6_P12ihipStream_tbENKUlT_T0_E_clISt17integral_constantIbLb1EEST_IbLb0EEEEDaSP_SQ_EUlSP_E0_NS1_11comp_targetILNS1_3genE9ELNS1_11target_archE1100ELNS1_3gpuE3ELNS1_3repE0EEENS1_30default_config_static_selectorELNS0_4arch9wavefront6targetE1EEEvT1_,@function
_ZN7rocprim17ROCPRIM_400000_NS6detail17trampoline_kernelINS0_14default_configENS1_20scan_config_selectorIfEEZZNS1_9scan_implILNS1_25lookback_scan_determinismE0ELb0ELb0ES3_N6thrust23THRUST_200600_302600_NS6detail15normal_iteratorINS9_10device_ptrIfEEEESE_f11max_functorIfEfEEDaPvRmT3_T4_T5_mT6_P12ihipStream_tbENKUlT_T0_E_clISt17integral_constantIbLb1EEST_IbLb0EEEEDaSP_SQ_EUlSP_E0_NS1_11comp_targetILNS1_3genE9ELNS1_11target_archE1100ELNS1_3gpuE3ELNS1_3repE0EEENS1_30default_config_static_selectorELNS0_4arch9wavefront6targetE1EEEvT1_: ; @_ZN7rocprim17ROCPRIM_400000_NS6detail17trampoline_kernelINS0_14default_configENS1_20scan_config_selectorIfEEZZNS1_9scan_implILNS1_25lookback_scan_determinismE0ELb0ELb0ES3_N6thrust23THRUST_200600_302600_NS6detail15normal_iteratorINS9_10device_ptrIfEEEESE_f11max_functorIfEfEEDaPvRmT3_T4_T5_mT6_P12ihipStream_tbENKUlT_T0_E_clISt17integral_constantIbLb1EEST_IbLb0EEEEDaSP_SQ_EUlSP_E0_NS1_11comp_targetILNS1_3genE9ELNS1_11target_archE1100ELNS1_3gpuE3ELNS1_3repE0EEENS1_30default_config_static_selectorELNS0_4arch9wavefront6targetE1EEEvT1_
; %bb.0:
	.section	.rodata,"a",@progbits
	.p2align	6, 0x0
	.amdhsa_kernel _ZN7rocprim17ROCPRIM_400000_NS6detail17trampoline_kernelINS0_14default_configENS1_20scan_config_selectorIfEEZZNS1_9scan_implILNS1_25lookback_scan_determinismE0ELb0ELb0ES3_N6thrust23THRUST_200600_302600_NS6detail15normal_iteratorINS9_10device_ptrIfEEEESE_f11max_functorIfEfEEDaPvRmT3_T4_T5_mT6_P12ihipStream_tbENKUlT_T0_E_clISt17integral_constantIbLb1EEST_IbLb0EEEEDaSP_SQ_EUlSP_E0_NS1_11comp_targetILNS1_3genE9ELNS1_11target_archE1100ELNS1_3gpuE3ELNS1_3repE0EEENS1_30default_config_static_selectorELNS0_4arch9wavefront6targetE1EEEvT1_
		.amdhsa_group_segment_fixed_size 0
		.amdhsa_private_segment_fixed_size 0
		.amdhsa_kernarg_size 32
		.amdhsa_user_sgpr_count 6
		.amdhsa_user_sgpr_private_segment_buffer 1
		.amdhsa_user_sgpr_dispatch_ptr 0
		.amdhsa_user_sgpr_queue_ptr 0
		.amdhsa_user_sgpr_kernarg_segment_ptr 1
		.amdhsa_user_sgpr_dispatch_id 0
		.amdhsa_user_sgpr_flat_scratch_init 0
		.amdhsa_user_sgpr_kernarg_preload_length 0
		.amdhsa_user_sgpr_kernarg_preload_offset 0
		.amdhsa_user_sgpr_private_segment_size 0
		.amdhsa_uses_dynamic_stack 0
		.amdhsa_system_sgpr_private_segment_wavefront_offset 0
		.amdhsa_system_sgpr_workgroup_id_x 1
		.amdhsa_system_sgpr_workgroup_id_y 0
		.amdhsa_system_sgpr_workgroup_id_z 0
		.amdhsa_system_sgpr_workgroup_info 0
		.amdhsa_system_vgpr_workitem_id 0
		.amdhsa_next_free_vgpr 1
		.amdhsa_next_free_sgpr 0
		.amdhsa_accum_offset 4
		.amdhsa_reserve_vcc 0
		.amdhsa_reserve_flat_scratch 0
		.amdhsa_float_round_mode_32 0
		.amdhsa_float_round_mode_16_64 0
		.amdhsa_float_denorm_mode_32 3
		.amdhsa_float_denorm_mode_16_64 3
		.amdhsa_dx10_clamp 1
		.amdhsa_ieee_mode 1
		.amdhsa_fp16_overflow 0
		.amdhsa_tg_split 0
		.amdhsa_exception_fp_ieee_invalid_op 0
		.amdhsa_exception_fp_denorm_src 0
		.amdhsa_exception_fp_ieee_div_zero 0
		.amdhsa_exception_fp_ieee_overflow 0
		.amdhsa_exception_fp_ieee_underflow 0
		.amdhsa_exception_fp_ieee_inexact 0
		.amdhsa_exception_int_div_zero 0
	.end_amdhsa_kernel
	.section	.text._ZN7rocprim17ROCPRIM_400000_NS6detail17trampoline_kernelINS0_14default_configENS1_20scan_config_selectorIfEEZZNS1_9scan_implILNS1_25lookback_scan_determinismE0ELb0ELb0ES3_N6thrust23THRUST_200600_302600_NS6detail15normal_iteratorINS9_10device_ptrIfEEEESE_f11max_functorIfEfEEDaPvRmT3_T4_T5_mT6_P12ihipStream_tbENKUlT_T0_E_clISt17integral_constantIbLb1EEST_IbLb0EEEEDaSP_SQ_EUlSP_E0_NS1_11comp_targetILNS1_3genE9ELNS1_11target_archE1100ELNS1_3gpuE3ELNS1_3repE0EEENS1_30default_config_static_selectorELNS0_4arch9wavefront6targetE1EEEvT1_,"axG",@progbits,_ZN7rocprim17ROCPRIM_400000_NS6detail17trampoline_kernelINS0_14default_configENS1_20scan_config_selectorIfEEZZNS1_9scan_implILNS1_25lookback_scan_determinismE0ELb0ELb0ES3_N6thrust23THRUST_200600_302600_NS6detail15normal_iteratorINS9_10device_ptrIfEEEESE_f11max_functorIfEfEEDaPvRmT3_T4_T5_mT6_P12ihipStream_tbENKUlT_T0_E_clISt17integral_constantIbLb1EEST_IbLb0EEEEDaSP_SQ_EUlSP_E0_NS1_11comp_targetILNS1_3genE9ELNS1_11target_archE1100ELNS1_3gpuE3ELNS1_3repE0EEENS1_30default_config_static_selectorELNS0_4arch9wavefront6targetE1EEEvT1_,comdat
.Lfunc_end1995:
	.size	_ZN7rocprim17ROCPRIM_400000_NS6detail17trampoline_kernelINS0_14default_configENS1_20scan_config_selectorIfEEZZNS1_9scan_implILNS1_25lookback_scan_determinismE0ELb0ELb0ES3_N6thrust23THRUST_200600_302600_NS6detail15normal_iteratorINS9_10device_ptrIfEEEESE_f11max_functorIfEfEEDaPvRmT3_T4_T5_mT6_P12ihipStream_tbENKUlT_T0_E_clISt17integral_constantIbLb1EEST_IbLb0EEEEDaSP_SQ_EUlSP_E0_NS1_11comp_targetILNS1_3genE9ELNS1_11target_archE1100ELNS1_3gpuE3ELNS1_3repE0EEENS1_30default_config_static_selectorELNS0_4arch9wavefront6targetE1EEEvT1_, .Lfunc_end1995-_ZN7rocprim17ROCPRIM_400000_NS6detail17trampoline_kernelINS0_14default_configENS1_20scan_config_selectorIfEEZZNS1_9scan_implILNS1_25lookback_scan_determinismE0ELb0ELb0ES3_N6thrust23THRUST_200600_302600_NS6detail15normal_iteratorINS9_10device_ptrIfEEEESE_f11max_functorIfEfEEDaPvRmT3_T4_T5_mT6_P12ihipStream_tbENKUlT_T0_E_clISt17integral_constantIbLb1EEST_IbLb0EEEEDaSP_SQ_EUlSP_E0_NS1_11comp_targetILNS1_3genE9ELNS1_11target_archE1100ELNS1_3gpuE3ELNS1_3repE0EEENS1_30default_config_static_selectorELNS0_4arch9wavefront6targetE1EEEvT1_
                                        ; -- End function
	.section	.AMDGPU.csdata,"",@progbits
; Kernel info:
; codeLenInByte = 0
; NumSgprs: 4
; NumVgprs: 0
; NumAgprs: 0
; TotalNumVgprs: 0
; ScratchSize: 0
; MemoryBound: 0
; FloatMode: 240
; IeeeMode: 1
; LDSByteSize: 0 bytes/workgroup (compile time only)
; SGPRBlocks: 0
; VGPRBlocks: 0
; NumSGPRsForWavesPerEU: 4
; NumVGPRsForWavesPerEU: 1
; AccumOffset: 4
; Occupancy: 8
; WaveLimiterHint : 0
; COMPUTE_PGM_RSRC2:SCRATCH_EN: 0
; COMPUTE_PGM_RSRC2:USER_SGPR: 6
; COMPUTE_PGM_RSRC2:TRAP_HANDLER: 0
; COMPUTE_PGM_RSRC2:TGID_X_EN: 1
; COMPUTE_PGM_RSRC2:TGID_Y_EN: 0
; COMPUTE_PGM_RSRC2:TGID_Z_EN: 0
; COMPUTE_PGM_RSRC2:TIDIG_COMP_CNT: 0
; COMPUTE_PGM_RSRC3_GFX90A:ACCUM_OFFSET: 0
; COMPUTE_PGM_RSRC3_GFX90A:TG_SPLIT: 0
	.section	.text._ZN7rocprim17ROCPRIM_400000_NS6detail17trampoline_kernelINS0_14default_configENS1_20scan_config_selectorIfEEZZNS1_9scan_implILNS1_25lookback_scan_determinismE0ELb0ELb0ES3_N6thrust23THRUST_200600_302600_NS6detail15normal_iteratorINS9_10device_ptrIfEEEESE_f11max_functorIfEfEEDaPvRmT3_T4_T5_mT6_P12ihipStream_tbENKUlT_T0_E_clISt17integral_constantIbLb1EEST_IbLb0EEEEDaSP_SQ_EUlSP_E0_NS1_11comp_targetILNS1_3genE8ELNS1_11target_archE1030ELNS1_3gpuE2ELNS1_3repE0EEENS1_30default_config_static_selectorELNS0_4arch9wavefront6targetE1EEEvT1_,"axG",@progbits,_ZN7rocprim17ROCPRIM_400000_NS6detail17trampoline_kernelINS0_14default_configENS1_20scan_config_selectorIfEEZZNS1_9scan_implILNS1_25lookback_scan_determinismE0ELb0ELb0ES3_N6thrust23THRUST_200600_302600_NS6detail15normal_iteratorINS9_10device_ptrIfEEEESE_f11max_functorIfEfEEDaPvRmT3_T4_T5_mT6_P12ihipStream_tbENKUlT_T0_E_clISt17integral_constantIbLb1EEST_IbLb0EEEEDaSP_SQ_EUlSP_E0_NS1_11comp_targetILNS1_3genE8ELNS1_11target_archE1030ELNS1_3gpuE2ELNS1_3repE0EEENS1_30default_config_static_selectorELNS0_4arch9wavefront6targetE1EEEvT1_,comdat
	.protected	_ZN7rocprim17ROCPRIM_400000_NS6detail17trampoline_kernelINS0_14default_configENS1_20scan_config_selectorIfEEZZNS1_9scan_implILNS1_25lookback_scan_determinismE0ELb0ELb0ES3_N6thrust23THRUST_200600_302600_NS6detail15normal_iteratorINS9_10device_ptrIfEEEESE_f11max_functorIfEfEEDaPvRmT3_T4_T5_mT6_P12ihipStream_tbENKUlT_T0_E_clISt17integral_constantIbLb1EEST_IbLb0EEEEDaSP_SQ_EUlSP_E0_NS1_11comp_targetILNS1_3genE8ELNS1_11target_archE1030ELNS1_3gpuE2ELNS1_3repE0EEENS1_30default_config_static_selectorELNS0_4arch9wavefront6targetE1EEEvT1_ ; -- Begin function _ZN7rocprim17ROCPRIM_400000_NS6detail17trampoline_kernelINS0_14default_configENS1_20scan_config_selectorIfEEZZNS1_9scan_implILNS1_25lookback_scan_determinismE0ELb0ELb0ES3_N6thrust23THRUST_200600_302600_NS6detail15normal_iteratorINS9_10device_ptrIfEEEESE_f11max_functorIfEfEEDaPvRmT3_T4_T5_mT6_P12ihipStream_tbENKUlT_T0_E_clISt17integral_constantIbLb1EEST_IbLb0EEEEDaSP_SQ_EUlSP_E0_NS1_11comp_targetILNS1_3genE8ELNS1_11target_archE1030ELNS1_3gpuE2ELNS1_3repE0EEENS1_30default_config_static_selectorELNS0_4arch9wavefront6targetE1EEEvT1_
	.globl	_ZN7rocprim17ROCPRIM_400000_NS6detail17trampoline_kernelINS0_14default_configENS1_20scan_config_selectorIfEEZZNS1_9scan_implILNS1_25lookback_scan_determinismE0ELb0ELb0ES3_N6thrust23THRUST_200600_302600_NS6detail15normal_iteratorINS9_10device_ptrIfEEEESE_f11max_functorIfEfEEDaPvRmT3_T4_T5_mT6_P12ihipStream_tbENKUlT_T0_E_clISt17integral_constantIbLb1EEST_IbLb0EEEEDaSP_SQ_EUlSP_E0_NS1_11comp_targetILNS1_3genE8ELNS1_11target_archE1030ELNS1_3gpuE2ELNS1_3repE0EEENS1_30default_config_static_selectorELNS0_4arch9wavefront6targetE1EEEvT1_
	.p2align	8
	.type	_ZN7rocprim17ROCPRIM_400000_NS6detail17trampoline_kernelINS0_14default_configENS1_20scan_config_selectorIfEEZZNS1_9scan_implILNS1_25lookback_scan_determinismE0ELb0ELb0ES3_N6thrust23THRUST_200600_302600_NS6detail15normal_iteratorINS9_10device_ptrIfEEEESE_f11max_functorIfEfEEDaPvRmT3_T4_T5_mT6_P12ihipStream_tbENKUlT_T0_E_clISt17integral_constantIbLb1EEST_IbLb0EEEEDaSP_SQ_EUlSP_E0_NS1_11comp_targetILNS1_3genE8ELNS1_11target_archE1030ELNS1_3gpuE2ELNS1_3repE0EEENS1_30default_config_static_selectorELNS0_4arch9wavefront6targetE1EEEvT1_,@function
_ZN7rocprim17ROCPRIM_400000_NS6detail17trampoline_kernelINS0_14default_configENS1_20scan_config_selectorIfEEZZNS1_9scan_implILNS1_25lookback_scan_determinismE0ELb0ELb0ES3_N6thrust23THRUST_200600_302600_NS6detail15normal_iteratorINS9_10device_ptrIfEEEESE_f11max_functorIfEfEEDaPvRmT3_T4_T5_mT6_P12ihipStream_tbENKUlT_T0_E_clISt17integral_constantIbLb1EEST_IbLb0EEEEDaSP_SQ_EUlSP_E0_NS1_11comp_targetILNS1_3genE8ELNS1_11target_archE1030ELNS1_3gpuE2ELNS1_3repE0EEENS1_30default_config_static_selectorELNS0_4arch9wavefront6targetE1EEEvT1_: ; @_ZN7rocprim17ROCPRIM_400000_NS6detail17trampoline_kernelINS0_14default_configENS1_20scan_config_selectorIfEEZZNS1_9scan_implILNS1_25lookback_scan_determinismE0ELb0ELb0ES3_N6thrust23THRUST_200600_302600_NS6detail15normal_iteratorINS9_10device_ptrIfEEEESE_f11max_functorIfEfEEDaPvRmT3_T4_T5_mT6_P12ihipStream_tbENKUlT_T0_E_clISt17integral_constantIbLb1EEST_IbLb0EEEEDaSP_SQ_EUlSP_E0_NS1_11comp_targetILNS1_3genE8ELNS1_11target_archE1030ELNS1_3gpuE2ELNS1_3repE0EEENS1_30default_config_static_selectorELNS0_4arch9wavefront6targetE1EEEvT1_
; %bb.0:
	.section	.rodata,"a",@progbits
	.p2align	6, 0x0
	.amdhsa_kernel _ZN7rocprim17ROCPRIM_400000_NS6detail17trampoline_kernelINS0_14default_configENS1_20scan_config_selectorIfEEZZNS1_9scan_implILNS1_25lookback_scan_determinismE0ELb0ELb0ES3_N6thrust23THRUST_200600_302600_NS6detail15normal_iteratorINS9_10device_ptrIfEEEESE_f11max_functorIfEfEEDaPvRmT3_T4_T5_mT6_P12ihipStream_tbENKUlT_T0_E_clISt17integral_constantIbLb1EEST_IbLb0EEEEDaSP_SQ_EUlSP_E0_NS1_11comp_targetILNS1_3genE8ELNS1_11target_archE1030ELNS1_3gpuE2ELNS1_3repE0EEENS1_30default_config_static_selectorELNS0_4arch9wavefront6targetE1EEEvT1_
		.amdhsa_group_segment_fixed_size 0
		.amdhsa_private_segment_fixed_size 0
		.amdhsa_kernarg_size 32
		.amdhsa_user_sgpr_count 6
		.amdhsa_user_sgpr_private_segment_buffer 1
		.amdhsa_user_sgpr_dispatch_ptr 0
		.amdhsa_user_sgpr_queue_ptr 0
		.amdhsa_user_sgpr_kernarg_segment_ptr 1
		.amdhsa_user_sgpr_dispatch_id 0
		.amdhsa_user_sgpr_flat_scratch_init 0
		.amdhsa_user_sgpr_kernarg_preload_length 0
		.amdhsa_user_sgpr_kernarg_preload_offset 0
		.amdhsa_user_sgpr_private_segment_size 0
		.amdhsa_uses_dynamic_stack 0
		.amdhsa_system_sgpr_private_segment_wavefront_offset 0
		.amdhsa_system_sgpr_workgroup_id_x 1
		.amdhsa_system_sgpr_workgroup_id_y 0
		.amdhsa_system_sgpr_workgroup_id_z 0
		.amdhsa_system_sgpr_workgroup_info 0
		.amdhsa_system_vgpr_workitem_id 0
		.amdhsa_next_free_vgpr 1
		.amdhsa_next_free_sgpr 0
		.amdhsa_accum_offset 4
		.amdhsa_reserve_vcc 0
		.amdhsa_reserve_flat_scratch 0
		.amdhsa_float_round_mode_32 0
		.amdhsa_float_round_mode_16_64 0
		.amdhsa_float_denorm_mode_32 3
		.amdhsa_float_denorm_mode_16_64 3
		.amdhsa_dx10_clamp 1
		.amdhsa_ieee_mode 1
		.amdhsa_fp16_overflow 0
		.amdhsa_tg_split 0
		.amdhsa_exception_fp_ieee_invalid_op 0
		.amdhsa_exception_fp_denorm_src 0
		.amdhsa_exception_fp_ieee_div_zero 0
		.amdhsa_exception_fp_ieee_overflow 0
		.amdhsa_exception_fp_ieee_underflow 0
		.amdhsa_exception_fp_ieee_inexact 0
		.amdhsa_exception_int_div_zero 0
	.end_amdhsa_kernel
	.section	.text._ZN7rocprim17ROCPRIM_400000_NS6detail17trampoline_kernelINS0_14default_configENS1_20scan_config_selectorIfEEZZNS1_9scan_implILNS1_25lookback_scan_determinismE0ELb0ELb0ES3_N6thrust23THRUST_200600_302600_NS6detail15normal_iteratorINS9_10device_ptrIfEEEESE_f11max_functorIfEfEEDaPvRmT3_T4_T5_mT6_P12ihipStream_tbENKUlT_T0_E_clISt17integral_constantIbLb1EEST_IbLb0EEEEDaSP_SQ_EUlSP_E0_NS1_11comp_targetILNS1_3genE8ELNS1_11target_archE1030ELNS1_3gpuE2ELNS1_3repE0EEENS1_30default_config_static_selectorELNS0_4arch9wavefront6targetE1EEEvT1_,"axG",@progbits,_ZN7rocprim17ROCPRIM_400000_NS6detail17trampoline_kernelINS0_14default_configENS1_20scan_config_selectorIfEEZZNS1_9scan_implILNS1_25lookback_scan_determinismE0ELb0ELb0ES3_N6thrust23THRUST_200600_302600_NS6detail15normal_iteratorINS9_10device_ptrIfEEEESE_f11max_functorIfEfEEDaPvRmT3_T4_T5_mT6_P12ihipStream_tbENKUlT_T0_E_clISt17integral_constantIbLb1EEST_IbLb0EEEEDaSP_SQ_EUlSP_E0_NS1_11comp_targetILNS1_3genE8ELNS1_11target_archE1030ELNS1_3gpuE2ELNS1_3repE0EEENS1_30default_config_static_selectorELNS0_4arch9wavefront6targetE1EEEvT1_,comdat
.Lfunc_end1996:
	.size	_ZN7rocprim17ROCPRIM_400000_NS6detail17trampoline_kernelINS0_14default_configENS1_20scan_config_selectorIfEEZZNS1_9scan_implILNS1_25lookback_scan_determinismE0ELb0ELb0ES3_N6thrust23THRUST_200600_302600_NS6detail15normal_iteratorINS9_10device_ptrIfEEEESE_f11max_functorIfEfEEDaPvRmT3_T4_T5_mT6_P12ihipStream_tbENKUlT_T0_E_clISt17integral_constantIbLb1EEST_IbLb0EEEEDaSP_SQ_EUlSP_E0_NS1_11comp_targetILNS1_3genE8ELNS1_11target_archE1030ELNS1_3gpuE2ELNS1_3repE0EEENS1_30default_config_static_selectorELNS0_4arch9wavefront6targetE1EEEvT1_, .Lfunc_end1996-_ZN7rocprim17ROCPRIM_400000_NS6detail17trampoline_kernelINS0_14default_configENS1_20scan_config_selectorIfEEZZNS1_9scan_implILNS1_25lookback_scan_determinismE0ELb0ELb0ES3_N6thrust23THRUST_200600_302600_NS6detail15normal_iteratorINS9_10device_ptrIfEEEESE_f11max_functorIfEfEEDaPvRmT3_T4_T5_mT6_P12ihipStream_tbENKUlT_T0_E_clISt17integral_constantIbLb1EEST_IbLb0EEEEDaSP_SQ_EUlSP_E0_NS1_11comp_targetILNS1_3genE8ELNS1_11target_archE1030ELNS1_3gpuE2ELNS1_3repE0EEENS1_30default_config_static_selectorELNS0_4arch9wavefront6targetE1EEEvT1_
                                        ; -- End function
	.section	.AMDGPU.csdata,"",@progbits
; Kernel info:
; codeLenInByte = 0
; NumSgprs: 4
; NumVgprs: 0
; NumAgprs: 0
; TotalNumVgprs: 0
; ScratchSize: 0
; MemoryBound: 0
; FloatMode: 240
; IeeeMode: 1
; LDSByteSize: 0 bytes/workgroup (compile time only)
; SGPRBlocks: 0
; VGPRBlocks: 0
; NumSGPRsForWavesPerEU: 4
; NumVGPRsForWavesPerEU: 1
; AccumOffset: 4
; Occupancy: 8
; WaveLimiterHint : 0
; COMPUTE_PGM_RSRC2:SCRATCH_EN: 0
; COMPUTE_PGM_RSRC2:USER_SGPR: 6
; COMPUTE_PGM_RSRC2:TRAP_HANDLER: 0
; COMPUTE_PGM_RSRC2:TGID_X_EN: 1
; COMPUTE_PGM_RSRC2:TGID_Y_EN: 0
; COMPUTE_PGM_RSRC2:TGID_Z_EN: 0
; COMPUTE_PGM_RSRC2:TIDIG_COMP_CNT: 0
; COMPUTE_PGM_RSRC3_GFX90A:ACCUM_OFFSET: 0
; COMPUTE_PGM_RSRC3_GFX90A:TG_SPLIT: 0
	.section	.text._ZN7rocprim17ROCPRIM_400000_NS6detail17trampoline_kernelINS0_14default_configENS1_20scan_config_selectorIfEEZZNS1_9scan_implILNS1_25lookback_scan_determinismE0ELb0ELb0ES3_N6thrust23THRUST_200600_302600_NS6detail15normal_iteratorINS9_10device_ptrIfEEEESE_f11max_functorIfEfEEDaPvRmT3_T4_T5_mT6_P12ihipStream_tbENKUlT_T0_E_clISt17integral_constantIbLb0EEST_IbLb1EEEEDaSP_SQ_EUlSP_E_NS1_11comp_targetILNS1_3genE0ELNS1_11target_archE4294967295ELNS1_3gpuE0ELNS1_3repE0EEENS1_30default_config_static_selectorELNS0_4arch9wavefront6targetE1EEEvT1_,"axG",@progbits,_ZN7rocprim17ROCPRIM_400000_NS6detail17trampoline_kernelINS0_14default_configENS1_20scan_config_selectorIfEEZZNS1_9scan_implILNS1_25lookback_scan_determinismE0ELb0ELb0ES3_N6thrust23THRUST_200600_302600_NS6detail15normal_iteratorINS9_10device_ptrIfEEEESE_f11max_functorIfEfEEDaPvRmT3_T4_T5_mT6_P12ihipStream_tbENKUlT_T0_E_clISt17integral_constantIbLb0EEST_IbLb1EEEEDaSP_SQ_EUlSP_E_NS1_11comp_targetILNS1_3genE0ELNS1_11target_archE4294967295ELNS1_3gpuE0ELNS1_3repE0EEENS1_30default_config_static_selectorELNS0_4arch9wavefront6targetE1EEEvT1_,comdat
	.protected	_ZN7rocprim17ROCPRIM_400000_NS6detail17trampoline_kernelINS0_14default_configENS1_20scan_config_selectorIfEEZZNS1_9scan_implILNS1_25lookback_scan_determinismE0ELb0ELb0ES3_N6thrust23THRUST_200600_302600_NS6detail15normal_iteratorINS9_10device_ptrIfEEEESE_f11max_functorIfEfEEDaPvRmT3_T4_T5_mT6_P12ihipStream_tbENKUlT_T0_E_clISt17integral_constantIbLb0EEST_IbLb1EEEEDaSP_SQ_EUlSP_E_NS1_11comp_targetILNS1_3genE0ELNS1_11target_archE4294967295ELNS1_3gpuE0ELNS1_3repE0EEENS1_30default_config_static_selectorELNS0_4arch9wavefront6targetE1EEEvT1_ ; -- Begin function _ZN7rocprim17ROCPRIM_400000_NS6detail17trampoline_kernelINS0_14default_configENS1_20scan_config_selectorIfEEZZNS1_9scan_implILNS1_25lookback_scan_determinismE0ELb0ELb0ES3_N6thrust23THRUST_200600_302600_NS6detail15normal_iteratorINS9_10device_ptrIfEEEESE_f11max_functorIfEfEEDaPvRmT3_T4_T5_mT6_P12ihipStream_tbENKUlT_T0_E_clISt17integral_constantIbLb0EEST_IbLb1EEEEDaSP_SQ_EUlSP_E_NS1_11comp_targetILNS1_3genE0ELNS1_11target_archE4294967295ELNS1_3gpuE0ELNS1_3repE0EEENS1_30default_config_static_selectorELNS0_4arch9wavefront6targetE1EEEvT1_
	.globl	_ZN7rocprim17ROCPRIM_400000_NS6detail17trampoline_kernelINS0_14default_configENS1_20scan_config_selectorIfEEZZNS1_9scan_implILNS1_25lookback_scan_determinismE0ELb0ELb0ES3_N6thrust23THRUST_200600_302600_NS6detail15normal_iteratorINS9_10device_ptrIfEEEESE_f11max_functorIfEfEEDaPvRmT3_T4_T5_mT6_P12ihipStream_tbENKUlT_T0_E_clISt17integral_constantIbLb0EEST_IbLb1EEEEDaSP_SQ_EUlSP_E_NS1_11comp_targetILNS1_3genE0ELNS1_11target_archE4294967295ELNS1_3gpuE0ELNS1_3repE0EEENS1_30default_config_static_selectorELNS0_4arch9wavefront6targetE1EEEvT1_
	.p2align	8
	.type	_ZN7rocprim17ROCPRIM_400000_NS6detail17trampoline_kernelINS0_14default_configENS1_20scan_config_selectorIfEEZZNS1_9scan_implILNS1_25lookback_scan_determinismE0ELb0ELb0ES3_N6thrust23THRUST_200600_302600_NS6detail15normal_iteratorINS9_10device_ptrIfEEEESE_f11max_functorIfEfEEDaPvRmT3_T4_T5_mT6_P12ihipStream_tbENKUlT_T0_E_clISt17integral_constantIbLb0EEST_IbLb1EEEEDaSP_SQ_EUlSP_E_NS1_11comp_targetILNS1_3genE0ELNS1_11target_archE4294967295ELNS1_3gpuE0ELNS1_3repE0EEENS1_30default_config_static_selectorELNS0_4arch9wavefront6targetE1EEEvT1_,@function
_ZN7rocprim17ROCPRIM_400000_NS6detail17trampoline_kernelINS0_14default_configENS1_20scan_config_selectorIfEEZZNS1_9scan_implILNS1_25lookback_scan_determinismE0ELb0ELb0ES3_N6thrust23THRUST_200600_302600_NS6detail15normal_iteratorINS9_10device_ptrIfEEEESE_f11max_functorIfEfEEDaPvRmT3_T4_T5_mT6_P12ihipStream_tbENKUlT_T0_E_clISt17integral_constantIbLb0EEST_IbLb1EEEEDaSP_SQ_EUlSP_E_NS1_11comp_targetILNS1_3genE0ELNS1_11target_archE4294967295ELNS1_3gpuE0ELNS1_3repE0EEENS1_30default_config_static_selectorELNS0_4arch9wavefront6targetE1EEEvT1_: ; @_ZN7rocprim17ROCPRIM_400000_NS6detail17trampoline_kernelINS0_14default_configENS1_20scan_config_selectorIfEEZZNS1_9scan_implILNS1_25lookback_scan_determinismE0ELb0ELb0ES3_N6thrust23THRUST_200600_302600_NS6detail15normal_iteratorINS9_10device_ptrIfEEEESE_f11max_functorIfEfEEDaPvRmT3_T4_T5_mT6_P12ihipStream_tbENKUlT_T0_E_clISt17integral_constantIbLb0EEST_IbLb1EEEEDaSP_SQ_EUlSP_E_NS1_11comp_targetILNS1_3genE0ELNS1_11target_archE4294967295ELNS1_3gpuE0ELNS1_3repE0EEENS1_30default_config_static_selectorELNS0_4arch9wavefront6targetE1EEEvT1_
; %bb.0:
	.section	.rodata,"a",@progbits
	.p2align	6, 0x0
	.amdhsa_kernel _ZN7rocprim17ROCPRIM_400000_NS6detail17trampoline_kernelINS0_14default_configENS1_20scan_config_selectorIfEEZZNS1_9scan_implILNS1_25lookback_scan_determinismE0ELb0ELb0ES3_N6thrust23THRUST_200600_302600_NS6detail15normal_iteratorINS9_10device_ptrIfEEEESE_f11max_functorIfEfEEDaPvRmT3_T4_T5_mT6_P12ihipStream_tbENKUlT_T0_E_clISt17integral_constantIbLb0EEST_IbLb1EEEEDaSP_SQ_EUlSP_E_NS1_11comp_targetILNS1_3genE0ELNS1_11target_archE4294967295ELNS1_3gpuE0ELNS1_3repE0EEENS1_30default_config_static_selectorELNS0_4arch9wavefront6targetE1EEEvT1_
		.amdhsa_group_segment_fixed_size 0
		.amdhsa_private_segment_fixed_size 0
		.amdhsa_kernarg_size 96
		.amdhsa_user_sgpr_count 6
		.amdhsa_user_sgpr_private_segment_buffer 1
		.amdhsa_user_sgpr_dispatch_ptr 0
		.amdhsa_user_sgpr_queue_ptr 0
		.amdhsa_user_sgpr_kernarg_segment_ptr 1
		.amdhsa_user_sgpr_dispatch_id 0
		.amdhsa_user_sgpr_flat_scratch_init 0
		.amdhsa_user_sgpr_kernarg_preload_length 0
		.amdhsa_user_sgpr_kernarg_preload_offset 0
		.amdhsa_user_sgpr_private_segment_size 0
		.amdhsa_uses_dynamic_stack 0
		.amdhsa_system_sgpr_private_segment_wavefront_offset 0
		.amdhsa_system_sgpr_workgroup_id_x 1
		.amdhsa_system_sgpr_workgroup_id_y 0
		.amdhsa_system_sgpr_workgroup_id_z 0
		.amdhsa_system_sgpr_workgroup_info 0
		.amdhsa_system_vgpr_workitem_id 0
		.amdhsa_next_free_vgpr 1
		.amdhsa_next_free_sgpr 0
		.amdhsa_accum_offset 4
		.amdhsa_reserve_vcc 0
		.amdhsa_reserve_flat_scratch 0
		.amdhsa_float_round_mode_32 0
		.amdhsa_float_round_mode_16_64 0
		.amdhsa_float_denorm_mode_32 3
		.amdhsa_float_denorm_mode_16_64 3
		.amdhsa_dx10_clamp 1
		.amdhsa_ieee_mode 1
		.amdhsa_fp16_overflow 0
		.amdhsa_tg_split 0
		.amdhsa_exception_fp_ieee_invalid_op 0
		.amdhsa_exception_fp_denorm_src 0
		.amdhsa_exception_fp_ieee_div_zero 0
		.amdhsa_exception_fp_ieee_overflow 0
		.amdhsa_exception_fp_ieee_underflow 0
		.amdhsa_exception_fp_ieee_inexact 0
		.amdhsa_exception_int_div_zero 0
	.end_amdhsa_kernel
	.section	.text._ZN7rocprim17ROCPRIM_400000_NS6detail17trampoline_kernelINS0_14default_configENS1_20scan_config_selectorIfEEZZNS1_9scan_implILNS1_25lookback_scan_determinismE0ELb0ELb0ES3_N6thrust23THRUST_200600_302600_NS6detail15normal_iteratorINS9_10device_ptrIfEEEESE_f11max_functorIfEfEEDaPvRmT3_T4_T5_mT6_P12ihipStream_tbENKUlT_T0_E_clISt17integral_constantIbLb0EEST_IbLb1EEEEDaSP_SQ_EUlSP_E_NS1_11comp_targetILNS1_3genE0ELNS1_11target_archE4294967295ELNS1_3gpuE0ELNS1_3repE0EEENS1_30default_config_static_selectorELNS0_4arch9wavefront6targetE1EEEvT1_,"axG",@progbits,_ZN7rocprim17ROCPRIM_400000_NS6detail17trampoline_kernelINS0_14default_configENS1_20scan_config_selectorIfEEZZNS1_9scan_implILNS1_25lookback_scan_determinismE0ELb0ELb0ES3_N6thrust23THRUST_200600_302600_NS6detail15normal_iteratorINS9_10device_ptrIfEEEESE_f11max_functorIfEfEEDaPvRmT3_T4_T5_mT6_P12ihipStream_tbENKUlT_T0_E_clISt17integral_constantIbLb0EEST_IbLb1EEEEDaSP_SQ_EUlSP_E_NS1_11comp_targetILNS1_3genE0ELNS1_11target_archE4294967295ELNS1_3gpuE0ELNS1_3repE0EEENS1_30default_config_static_selectorELNS0_4arch9wavefront6targetE1EEEvT1_,comdat
.Lfunc_end1997:
	.size	_ZN7rocprim17ROCPRIM_400000_NS6detail17trampoline_kernelINS0_14default_configENS1_20scan_config_selectorIfEEZZNS1_9scan_implILNS1_25lookback_scan_determinismE0ELb0ELb0ES3_N6thrust23THRUST_200600_302600_NS6detail15normal_iteratorINS9_10device_ptrIfEEEESE_f11max_functorIfEfEEDaPvRmT3_T4_T5_mT6_P12ihipStream_tbENKUlT_T0_E_clISt17integral_constantIbLb0EEST_IbLb1EEEEDaSP_SQ_EUlSP_E_NS1_11comp_targetILNS1_3genE0ELNS1_11target_archE4294967295ELNS1_3gpuE0ELNS1_3repE0EEENS1_30default_config_static_selectorELNS0_4arch9wavefront6targetE1EEEvT1_, .Lfunc_end1997-_ZN7rocprim17ROCPRIM_400000_NS6detail17trampoline_kernelINS0_14default_configENS1_20scan_config_selectorIfEEZZNS1_9scan_implILNS1_25lookback_scan_determinismE0ELb0ELb0ES3_N6thrust23THRUST_200600_302600_NS6detail15normal_iteratorINS9_10device_ptrIfEEEESE_f11max_functorIfEfEEDaPvRmT3_T4_T5_mT6_P12ihipStream_tbENKUlT_T0_E_clISt17integral_constantIbLb0EEST_IbLb1EEEEDaSP_SQ_EUlSP_E_NS1_11comp_targetILNS1_3genE0ELNS1_11target_archE4294967295ELNS1_3gpuE0ELNS1_3repE0EEENS1_30default_config_static_selectorELNS0_4arch9wavefront6targetE1EEEvT1_
                                        ; -- End function
	.section	.AMDGPU.csdata,"",@progbits
; Kernel info:
; codeLenInByte = 0
; NumSgprs: 4
; NumVgprs: 0
; NumAgprs: 0
; TotalNumVgprs: 0
; ScratchSize: 0
; MemoryBound: 0
; FloatMode: 240
; IeeeMode: 1
; LDSByteSize: 0 bytes/workgroup (compile time only)
; SGPRBlocks: 0
; VGPRBlocks: 0
; NumSGPRsForWavesPerEU: 4
; NumVGPRsForWavesPerEU: 1
; AccumOffset: 4
; Occupancy: 8
; WaveLimiterHint : 0
; COMPUTE_PGM_RSRC2:SCRATCH_EN: 0
; COMPUTE_PGM_RSRC2:USER_SGPR: 6
; COMPUTE_PGM_RSRC2:TRAP_HANDLER: 0
; COMPUTE_PGM_RSRC2:TGID_X_EN: 1
; COMPUTE_PGM_RSRC2:TGID_Y_EN: 0
; COMPUTE_PGM_RSRC2:TGID_Z_EN: 0
; COMPUTE_PGM_RSRC2:TIDIG_COMP_CNT: 0
; COMPUTE_PGM_RSRC3_GFX90A:ACCUM_OFFSET: 0
; COMPUTE_PGM_RSRC3_GFX90A:TG_SPLIT: 0
	.section	.text._ZN7rocprim17ROCPRIM_400000_NS6detail17trampoline_kernelINS0_14default_configENS1_20scan_config_selectorIfEEZZNS1_9scan_implILNS1_25lookback_scan_determinismE0ELb0ELb0ES3_N6thrust23THRUST_200600_302600_NS6detail15normal_iteratorINS9_10device_ptrIfEEEESE_f11max_functorIfEfEEDaPvRmT3_T4_T5_mT6_P12ihipStream_tbENKUlT_T0_E_clISt17integral_constantIbLb0EEST_IbLb1EEEEDaSP_SQ_EUlSP_E_NS1_11comp_targetILNS1_3genE5ELNS1_11target_archE942ELNS1_3gpuE9ELNS1_3repE0EEENS1_30default_config_static_selectorELNS0_4arch9wavefront6targetE1EEEvT1_,"axG",@progbits,_ZN7rocprim17ROCPRIM_400000_NS6detail17trampoline_kernelINS0_14default_configENS1_20scan_config_selectorIfEEZZNS1_9scan_implILNS1_25lookback_scan_determinismE0ELb0ELb0ES3_N6thrust23THRUST_200600_302600_NS6detail15normal_iteratorINS9_10device_ptrIfEEEESE_f11max_functorIfEfEEDaPvRmT3_T4_T5_mT6_P12ihipStream_tbENKUlT_T0_E_clISt17integral_constantIbLb0EEST_IbLb1EEEEDaSP_SQ_EUlSP_E_NS1_11comp_targetILNS1_3genE5ELNS1_11target_archE942ELNS1_3gpuE9ELNS1_3repE0EEENS1_30default_config_static_selectorELNS0_4arch9wavefront6targetE1EEEvT1_,comdat
	.protected	_ZN7rocprim17ROCPRIM_400000_NS6detail17trampoline_kernelINS0_14default_configENS1_20scan_config_selectorIfEEZZNS1_9scan_implILNS1_25lookback_scan_determinismE0ELb0ELb0ES3_N6thrust23THRUST_200600_302600_NS6detail15normal_iteratorINS9_10device_ptrIfEEEESE_f11max_functorIfEfEEDaPvRmT3_T4_T5_mT6_P12ihipStream_tbENKUlT_T0_E_clISt17integral_constantIbLb0EEST_IbLb1EEEEDaSP_SQ_EUlSP_E_NS1_11comp_targetILNS1_3genE5ELNS1_11target_archE942ELNS1_3gpuE9ELNS1_3repE0EEENS1_30default_config_static_selectorELNS0_4arch9wavefront6targetE1EEEvT1_ ; -- Begin function _ZN7rocprim17ROCPRIM_400000_NS6detail17trampoline_kernelINS0_14default_configENS1_20scan_config_selectorIfEEZZNS1_9scan_implILNS1_25lookback_scan_determinismE0ELb0ELb0ES3_N6thrust23THRUST_200600_302600_NS6detail15normal_iteratorINS9_10device_ptrIfEEEESE_f11max_functorIfEfEEDaPvRmT3_T4_T5_mT6_P12ihipStream_tbENKUlT_T0_E_clISt17integral_constantIbLb0EEST_IbLb1EEEEDaSP_SQ_EUlSP_E_NS1_11comp_targetILNS1_3genE5ELNS1_11target_archE942ELNS1_3gpuE9ELNS1_3repE0EEENS1_30default_config_static_selectorELNS0_4arch9wavefront6targetE1EEEvT1_
	.globl	_ZN7rocprim17ROCPRIM_400000_NS6detail17trampoline_kernelINS0_14default_configENS1_20scan_config_selectorIfEEZZNS1_9scan_implILNS1_25lookback_scan_determinismE0ELb0ELb0ES3_N6thrust23THRUST_200600_302600_NS6detail15normal_iteratorINS9_10device_ptrIfEEEESE_f11max_functorIfEfEEDaPvRmT3_T4_T5_mT6_P12ihipStream_tbENKUlT_T0_E_clISt17integral_constantIbLb0EEST_IbLb1EEEEDaSP_SQ_EUlSP_E_NS1_11comp_targetILNS1_3genE5ELNS1_11target_archE942ELNS1_3gpuE9ELNS1_3repE0EEENS1_30default_config_static_selectorELNS0_4arch9wavefront6targetE1EEEvT1_
	.p2align	8
	.type	_ZN7rocprim17ROCPRIM_400000_NS6detail17trampoline_kernelINS0_14default_configENS1_20scan_config_selectorIfEEZZNS1_9scan_implILNS1_25lookback_scan_determinismE0ELb0ELb0ES3_N6thrust23THRUST_200600_302600_NS6detail15normal_iteratorINS9_10device_ptrIfEEEESE_f11max_functorIfEfEEDaPvRmT3_T4_T5_mT6_P12ihipStream_tbENKUlT_T0_E_clISt17integral_constantIbLb0EEST_IbLb1EEEEDaSP_SQ_EUlSP_E_NS1_11comp_targetILNS1_3genE5ELNS1_11target_archE942ELNS1_3gpuE9ELNS1_3repE0EEENS1_30default_config_static_selectorELNS0_4arch9wavefront6targetE1EEEvT1_,@function
_ZN7rocprim17ROCPRIM_400000_NS6detail17trampoline_kernelINS0_14default_configENS1_20scan_config_selectorIfEEZZNS1_9scan_implILNS1_25lookback_scan_determinismE0ELb0ELb0ES3_N6thrust23THRUST_200600_302600_NS6detail15normal_iteratorINS9_10device_ptrIfEEEESE_f11max_functorIfEfEEDaPvRmT3_T4_T5_mT6_P12ihipStream_tbENKUlT_T0_E_clISt17integral_constantIbLb0EEST_IbLb1EEEEDaSP_SQ_EUlSP_E_NS1_11comp_targetILNS1_3genE5ELNS1_11target_archE942ELNS1_3gpuE9ELNS1_3repE0EEENS1_30default_config_static_selectorELNS0_4arch9wavefront6targetE1EEEvT1_: ; @_ZN7rocprim17ROCPRIM_400000_NS6detail17trampoline_kernelINS0_14default_configENS1_20scan_config_selectorIfEEZZNS1_9scan_implILNS1_25lookback_scan_determinismE0ELb0ELb0ES3_N6thrust23THRUST_200600_302600_NS6detail15normal_iteratorINS9_10device_ptrIfEEEESE_f11max_functorIfEfEEDaPvRmT3_T4_T5_mT6_P12ihipStream_tbENKUlT_T0_E_clISt17integral_constantIbLb0EEST_IbLb1EEEEDaSP_SQ_EUlSP_E_NS1_11comp_targetILNS1_3genE5ELNS1_11target_archE942ELNS1_3gpuE9ELNS1_3repE0EEENS1_30default_config_static_selectorELNS0_4arch9wavefront6targetE1EEEvT1_
; %bb.0:
	.section	.rodata,"a",@progbits
	.p2align	6, 0x0
	.amdhsa_kernel _ZN7rocprim17ROCPRIM_400000_NS6detail17trampoline_kernelINS0_14default_configENS1_20scan_config_selectorIfEEZZNS1_9scan_implILNS1_25lookback_scan_determinismE0ELb0ELb0ES3_N6thrust23THRUST_200600_302600_NS6detail15normal_iteratorINS9_10device_ptrIfEEEESE_f11max_functorIfEfEEDaPvRmT3_T4_T5_mT6_P12ihipStream_tbENKUlT_T0_E_clISt17integral_constantIbLb0EEST_IbLb1EEEEDaSP_SQ_EUlSP_E_NS1_11comp_targetILNS1_3genE5ELNS1_11target_archE942ELNS1_3gpuE9ELNS1_3repE0EEENS1_30default_config_static_selectorELNS0_4arch9wavefront6targetE1EEEvT1_
		.amdhsa_group_segment_fixed_size 0
		.amdhsa_private_segment_fixed_size 0
		.amdhsa_kernarg_size 96
		.amdhsa_user_sgpr_count 6
		.amdhsa_user_sgpr_private_segment_buffer 1
		.amdhsa_user_sgpr_dispatch_ptr 0
		.amdhsa_user_sgpr_queue_ptr 0
		.amdhsa_user_sgpr_kernarg_segment_ptr 1
		.amdhsa_user_sgpr_dispatch_id 0
		.amdhsa_user_sgpr_flat_scratch_init 0
		.amdhsa_user_sgpr_kernarg_preload_length 0
		.amdhsa_user_sgpr_kernarg_preload_offset 0
		.amdhsa_user_sgpr_private_segment_size 0
		.amdhsa_uses_dynamic_stack 0
		.amdhsa_system_sgpr_private_segment_wavefront_offset 0
		.amdhsa_system_sgpr_workgroup_id_x 1
		.amdhsa_system_sgpr_workgroup_id_y 0
		.amdhsa_system_sgpr_workgroup_id_z 0
		.amdhsa_system_sgpr_workgroup_info 0
		.amdhsa_system_vgpr_workitem_id 0
		.amdhsa_next_free_vgpr 1
		.amdhsa_next_free_sgpr 0
		.amdhsa_accum_offset 4
		.amdhsa_reserve_vcc 0
		.amdhsa_reserve_flat_scratch 0
		.amdhsa_float_round_mode_32 0
		.amdhsa_float_round_mode_16_64 0
		.amdhsa_float_denorm_mode_32 3
		.amdhsa_float_denorm_mode_16_64 3
		.amdhsa_dx10_clamp 1
		.amdhsa_ieee_mode 1
		.amdhsa_fp16_overflow 0
		.amdhsa_tg_split 0
		.amdhsa_exception_fp_ieee_invalid_op 0
		.amdhsa_exception_fp_denorm_src 0
		.amdhsa_exception_fp_ieee_div_zero 0
		.amdhsa_exception_fp_ieee_overflow 0
		.amdhsa_exception_fp_ieee_underflow 0
		.amdhsa_exception_fp_ieee_inexact 0
		.amdhsa_exception_int_div_zero 0
	.end_amdhsa_kernel
	.section	.text._ZN7rocprim17ROCPRIM_400000_NS6detail17trampoline_kernelINS0_14default_configENS1_20scan_config_selectorIfEEZZNS1_9scan_implILNS1_25lookback_scan_determinismE0ELb0ELb0ES3_N6thrust23THRUST_200600_302600_NS6detail15normal_iteratorINS9_10device_ptrIfEEEESE_f11max_functorIfEfEEDaPvRmT3_T4_T5_mT6_P12ihipStream_tbENKUlT_T0_E_clISt17integral_constantIbLb0EEST_IbLb1EEEEDaSP_SQ_EUlSP_E_NS1_11comp_targetILNS1_3genE5ELNS1_11target_archE942ELNS1_3gpuE9ELNS1_3repE0EEENS1_30default_config_static_selectorELNS0_4arch9wavefront6targetE1EEEvT1_,"axG",@progbits,_ZN7rocprim17ROCPRIM_400000_NS6detail17trampoline_kernelINS0_14default_configENS1_20scan_config_selectorIfEEZZNS1_9scan_implILNS1_25lookback_scan_determinismE0ELb0ELb0ES3_N6thrust23THRUST_200600_302600_NS6detail15normal_iteratorINS9_10device_ptrIfEEEESE_f11max_functorIfEfEEDaPvRmT3_T4_T5_mT6_P12ihipStream_tbENKUlT_T0_E_clISt17integral_constantIbLb0EEST_IbLb1EEEEDaSP_SQ_EUlSP_E_NS1_11comp_targetILNS1_3genE5ELNS1_11target_archE942ELNS1_3gpuE9ELNS1_3repE0EEENS1_30default_config_static_selectorELNS0_4arch9wavefront6targetE1EEEvT1_,comdat
.Lfunc_end1998:
	.size	_ZN7rocprim17ROCPRIM_400000_NS6detail17trampoline_kernelINS0_14default_configENS1_20scan_config_selectorIfEEZZNS1_9scan_implILNS1_25lookback_scan_determinismE0ELb0ELb0ES3_N6thrust23THRUST_200600_302600_NS6detail15normal_iteratorINS9_10device_ptrIfEEEESE_f11max_functorIfEfEEDaPvRmT3_T4_T5_mT6_P12ihipStream_tbENKUlT_T0_E_clISt17integral_constantIbLb0EEST_IbLb1EEEEDaSP_SQ_EUlSP_E_NS1_11comp_targetILNS1_3genE5ELNS1_11target_archE942ELNS1_3gpuE9ELNS1_3repE0EEENS1_30default_config_static_selectorELNS0_4arch9wavefront6targetE1EEEvT1_, .Lfunc_end1998-_ZN7rocprim17ROCPRIM_400000_NS6detail17trampoline_kernelINS0_14default_configENS1_20scan_config_selectorIfEEZZNS1_9scan_implILNS1_25lookback_scan_determinismE0ELb0ELb0ES3_N6thrust23THRUST_200600_302600_NS6detail15normal_iteratorINS9_10device_ptrIfEEEESE_f11max_functorIfEfEEDaPvRmT3_T4_T5_mT6_P12ihipStream_tbENKUlT_T0_E_clISt17integral_constantIbLb0EEST_IbLb1EEEEDaSP_SQ_EUlSP_E_NS1_11comp_targetILNS1_3genE5ELNS1_11target_archE942ELNS1_3gpuE9ELNS1_3repE0EEENS1_30default_config_static_selectorELNS0_4arch9wavefront6targetE1EEEvT1_
                                        ; -- End function
	.section	.AMDGPU.csdata,"",@progbits
; Kernel info:
; codeLenInByte = 0
; NumSgprs: 4
; NumVgprs: 0
; NumAgprs: 0
; TotalNumVgprs: 0
; ScratchSize: 0
; MemoryBound: 0
; FloatMode: 240
; IeeeMode: 1
; LDSByteSize: 0 bytes/workgroup (compile time only)
; SGPRBlocks: 0
; VGPRBlocks: 0
; NumSGPRsForWavesPerEU: 4
; NumVGPRsForWavesPerEU: 1
; AccumOffset: 4
; Occupancy: 8
; WaveLimiterHint : 0
; COMPUTE_PGM_RSRC2:SCRATCH_EN: 0
; COMPUTE_PGM_RSRC2:USER_SGPR: 6
; COMPUTE_PGM_RSRC2:TRAP_HANDLER: 0
; COMPUTE_PGM_RSRC2:TGID_X_EN: 1
; COMPUTE_PGM_RSRC2:TGID_Y_EN: 0
; COMPUTE_PGM_RSRC2:TGID_Z_EN: 0
; COMPUTE_PGM_RSRC2:TIDIG_COMP_CNT: 0
; COMPUTE_PGM_RSRC3_GFX90A:ACCUM_OFFSET: 0
; COMPUTE_PGM_RSRC3_GFX90A:TG_SPLIT: 0
	.section	.text._ZN7rocprim17ROCPRIM_400000_NS6detail17trampoline_kernelINS0_14default_configENS1_20scan_config_selectorIfEEZZNS1_9scan_implILNS1_25lookback_scan_determinismE0ELb0ELb0ES3_N6thrust23THRUST_200600_302600_NS6detail15normal_iteratorINS9_10device_ptrIfEEEESE_f11max_functorIfEfEEDaPvRmT3_T4_T5_mT6_P12ihipStream_tbENKUlT_T0_E_clISt17integral_constantIbLb0EEST_IbLb1EEEEDaSP_SQ_EUlSP_E_NS1_11comp_targetILNS1_3genE4ELNS1_11target_archE910ELNS1_3gpuE8ELNS1_3repE0EEENS1_30default_config_static_selectorELNS0_4arch9wavefront6targetE1EEEvT1_,"axG",@progbits,_ZN7rocprim17ROCPRIM_400000_NS6detail17trampoline_kernelINS0_14default_configENS1_20scan_config_selectorIfEEZZNS1_9scan_implILNS1_25lookback_scan_determinismE0ELb0ELb0ES3_N6thrust23THRUST_200600_302600_NS6detail15normal_iteratorINS9_10device_ptrIfEEEESE_f11max_functorIfEfEEDaPvRmT3_T4_T5_mT6_P12ihipStream_tbENKUlT_T0_E_clISt17integral_constantIbLb0EEST_IbLb1EEEEDaSP_SQ_EUlSP_E_NS1_11comp_targetILNS1_3genE4ELNS1_11target_archE910ELNS1_3gpuE8ELNS1_3repE0EEENS1_30default_config_static_selectorELNS0_4arch9wavefront6targetE1EEEvT1_,comdat
	.protected	_ZN7rocprim17ROCPRIM_400000_NS6detail17trampoline_kernelINS0_14default_configENS1_20scan_config_selectorIfEEZZNS1_9scan_implILNS1_25lookback_scan_determinismE0ELb0ELb0ES3_N6thrust23THRUST_200600_302600_NS6detail15normal_iteratorINS9_10device_ptrIfEEEESE_f11max_functorIfEfEEDaPvRmT3_T4_T5_mT6_P12ihipStream_tbENKUlT_T0_E_clISt17integral_constantIbLb0EEST_IbLb1EEEEDaSP_SQ_EUlSP_E_NS1_11comp_targetILNS1_3genE4ELNS1_11target_archE910ELNS1_3gpuE8ELNS1_3repE0EEENS1_30default_config_static_selectorELNS0_4arch9wavefront6targetE1EEEvT1_ ; -- Begin function _ZN7rocprim17ROCPRIM_400000_NS6detail17trampoline_kernelINS0_14default_configENS1_20scan_config_selectorIfEEZZNS1_9scan_implILNS1_25lookback_scan_determinismE0ELb0ELb0ES3_N6thrust23THRUST_200600_302600_NS6detail15normal_iteratorINS9_10device_ptrIfEEEESE_f11max_functorIfEfEEDaPvRmT3_T4_T5_mT6_P12ihipStream_tbENKUlT_T0_E_clISt17integral_constantIbLb0EEST_IbLb1EEEEDaSP_SQ_EUlSP_E_NS1_11comp_targetILNS1_3genE4ELNS1_11target_archE910ELNS1_3gpuE8ELNS1_3repE0EEENS1_30default_config_static_selectorELNS0_4arch9wavefront6targetE1EEEvT1_
	.globl	_ZN7rocprim17ROCPRIM_400000_NS6detail17trampoline_kernelINS0_14default_configENS1_20scan_config_selectorIfEEZZNS1_9scan_implILNS1_25lookback_scan_determinismE0ELb0ELb0ES3_N6thrust23THRUST_200600_302600_NS6detail15normal_iteratorINS9_10device_ptrIfEEEESE_f11max_functorIfEfEEDaPvRmT3_T4_T5_mT6_P12ihipStream_tbENKUlT_T0_E_clISt17integral_constantIbLb0EEST_IbLb1EEEEDaSP_SQ_EUlSP_E_NS1_11comp_targetILNS1_3genE4ELNS1_11target_archE910ELNS1_3gpuE8ELNS1_3repE0EEENS1_30default_config_static_selectorELNS0_4arch9wavefront6targetE1EEEvT1_
	.p2align	8
	.type	_ZN7rocprim17ROCPRIM_400000_NS6detail17trampoline_kernelINS0_14default_configENS1_20scan_config_selectorIfEEZZNS1_9scan_implILNS1_25lookback_scan_determinismE0ELb0ELb0ES3_N6thrust23THRUST_200600_302600_NS6detail15normal_iteratorINS9_10device_ptrIfEEEESE_f11max_functorIfEfEEDaPvRmT3_T4_T5_mT6_P12ihipStream_tbENKUlT_T0_E_clISt17integral_constantIbLb0EEST_IbLb1EEEEDaSP_SQ_EUlSP_E_NS1_11comp_targetILNS1_3genE4ELNS1_11target_archE910ELNS1_3gpuE8ELNS1_3repE0EEENS1_30default_config_static_selectorELNS0_4arch9wavefront6targetE1EEEvT1_,@function
_ZN7rocprim17ROCPRIM_400000_NS6detail17trampoline_kernelINS0_14default_configENS1_20scan_config_selectorIfEEZZNS1_9scan_implILNS1_25lookback_scan_determinismE0ELb0ELb0ES3_N6thrust23THRUST_200600_302600_NS6detail15normal_iteratorINS9_10device_ptrIfEEEESE_f11max_functorIfEfEEDaPvRmT3_T4_T5_mT6_P12ihipStream_tbENKUlT_T0_E_clISt17integral_constantIbLb0EEST_IbLb1EEEEDaSP_SQ_EUlSP_E_NS1_11comp_targetILNS1_3genE4ELNS1_11target_archE910ELNS1_3gpuE8ELNS1_3repE0EEENS1_30default_config_static_selectorELNS0_4arch9wavefront6targetE1EEEvT1_: ; @_ZN7rocprim17ROCPRIM_400000_NS6detail17trampoline_kernelINS0_14default_configENS1_20scan_config_selectorIfEEZZNS1_9scan_implILNS1_25lookback_scan_determinismE0ELb0ELb0ES3_N6thrust23THRUST_200600_302600_NS6detail15normal_iteratorINS9_10device_ptrIfEEEESE_f11max_functorIfEfEEDaPvRmT3_T4_T5_mT6_P12ihipStream_tbENKUlT_T0_E_clISt17integral_constantIbLb0EEST_IbLb1EEEEDaSP_SQ_EUlSP_E_NS1_11comp_targetILNS1_3genE4ELNS1_11target_archE910ELNS1_3gpuE8ELNS1_3repE0EEENS1_30default_config_static_selectorELNS0_4arch9wavefront6targetE1EEEvT1_
; %bb.0:
	s_load_dwordx2 s[28:29], s[4:5], 0x28
	v_cmp_ne_u32_e64 s[0:1], 0, v0
	v_cmp_eq_u32_e64 s[2:3], 0, v0
	s_and_saveexec_b64 s[6:7], s[2:3]
	s_cbranch_execz .LBB1999_4
; %bb.1:
	s_mov_b64 s[10:11], exec
	v_mbcnt_lo_u32_b32 v1, s10, 0
	v_mbcnt_hi_u32_b32 v1, s11, v1
	v_cmp_eq_u32_e32 vcc, 0, v1
                                        ; implicit-def: $vgpr2
	s_and_saveexec_b64 s[8:9], vcc
	s_cbranch_execz .LBB1999_3
; %bb.2:
	s_load_dwordx2 s[12:13], s[4:5], 0x58
	s_bcnt1_i32_b64 s10, s[10:11]
	v_mov_b32_e32 v2, 0
	v_mov_b32_e32 v3, s10
	s_waitcnt lgkmcnt(0)
	global_atomic_add v2, v2, v3, s[12:13] glc
.LBB1999_3:
	s_or_b64 exec, exec, s[8:9]
	s_waitcnt vmcnt(0)
	v_readfirstlane_b32 s8, v2
	v_add_u32_e32 v1, s8, v1
	v_mov_b32_e32 v2, 0
	ds_write_b32 v2, v1
.LBB1999_4:
	s_or_b64 exec, exec, s[6:7]
	s_load_dwordx8 s[20:27], s[4:5], 0x0
	s_load_dword s6, s[4:5], 0x30
	s_load_dwordx8 s[12:19], s[4:5], 0x38
	v_mov_b32_e32 v1, 0
	s_waitcnt lgkmcnt(0)
	s_barrier
	ds_read_b32 v1, v1
	s_lshl_b64 s[22:23], s[22:23], 2
	s_add_u32 s7, s20, s22
	s_addc_u32 s8, s21, s23
	s_add_i32 s6, s6, -1
	s_mul_i32 s9, s6, 0x700
	s_sub_u32 s33, s26, s9
	s_waitcnt lgkmcnt(0)
	v_readfirstlane_b32 s35, v1
	s_subb_u32 s34, s27, 0
	s_mul_i32 s4, s35, 0x700
	s_mov_b32 s5, 0
	s_cmp_lg_u32 s35, s6
	s_cselect_b64 s[20:21], -1, 0
	s_lshl_b64 s[26:27], s[4:5], 2
	s_add_u32 s6, s7, s26
	s_addc_u32 s7, s8, s27
	s_mov_b64 s[4:5], -1
	s_and_b64 vcc, exec, s[20:21]
	v_lshlrev_b32_e32 v32, 2, v0
	s_barrier
	s_cbranch_vccz .LBB1999_6
; %bb.5:
	v_mov_b32_e32 v1, s7
	v_add_co_u32_e32 v2, vcc, s6, v32
	v_addc_co_u32_e32 v3, vcc, 0, v1, vcc
	flat_load_dword v1, v[2:3]
	flat_load_dword v4, v[2:3] offset:512
	flat_load_dword v5, v[2:3] offset:1024
	;; [unrolled: 1-line block ×7, first 2 shown]
	v_add_co_u32_e32 v2, vcc, 0x1000, v2
	v_addc_co_u32_e32 v3, vcc, 0, v3, vcc
	flat_load_dword v11, v[2:3]
	flat_load_dword v12, v[2:3] offset:512
	flat_load_dword v13, v[2:3] offset:1024
	;; [unrolled: 1-line block ×5, first 2 shown]
	s_mov_b64 s[4:5], 0
	s_waitcnt vmcnt(0) lgkmcnt(0)
	ds_write2st64_b32 v32, v1, v4 offset1:2
	ds_write2st64_b32 v32, v5, v6 offset0:4 offset1:6
	ds_write2st64_b32 v32, v7, v8 offset0:8 offset1:10
	;; [unrolled: 1-line block ×6, first 2 shown]
	s_waitcnt lgkmcnt(0)
	s_barrier
.LBB1999_6:
	s_andn2_b64 vcc, exec, s[4:5]
	v_cmp_gt_u32_e64 s[4:5], s33, v0
	s_cbranch_vccnz .LBB1999_36
; %bb.7:
	v_pk_mov_b32 v[2:3], s[6:7], s[6:7] op_sel:[0,1]
	flat_load_dword v1, v[2:3]
	s_waitcnt vmcnt(0) lgkmcnt(0)
	v_mov_b32_e32 v2, v1
	v_mov_b32_e32 v3, v1
	;; [unrolled: 1-line block ×12, first 2 shown]
	v_pk_mov_b32 v[16:17], v[14:15], v[14:15] op_sel:[0,1]
	v_pk_mov_b32 v[14:15], v[12:13], v[12:13] op_sel:[0,1]
	v_pk_mov_b32 v[12:13], v[10:11], v[10:11] op_sel:[0,1]
	v_pk_mov_b32 v[10:11], v[8:9], v[8:9] op_sel:[0,1]
	v_pk_mov_b32 v[8:9], v[6:7], v[6:7] op_sel:[0,1]
	v_pk_mov_b32 v[6:7], v[4:5], v[4:5] op_sel:[0,1]
	v_pk_mov_b32 v[4:5], v[2:3], v[2:3] op_sel:[0,1]
	v_pk_mov_b32 v[2:3], v[0:1], v[0:1] op_sel:[0,1]
	s_and_saveexec_b64 s[8:9], s[4:5]
	s_cbranch_execz .LBB1999_9
; %bb.8:
	v_mov_b32_e32 v3, s7
	v_add_co_u32_e32 v2, vcc, s6, v32
	v_addc_co_u32_e32 v3, vcc, 0, v3, vcc
	flat_load_dword v18, v[2:3]
	v_mov_b32_e32 v2, v1
	v_mov_b32_e32 v3, v1
	;; [unrolled: 1-line block ×12, first 2 shown]
	v_pk_mov_b32 v[16:17], v[14:15], v[14:15] op_sel:[0,1]
	v_pk_mov_b32 v[14:15], v[12:13], v[12:13] op_sel:[0,1]
	;; [unrolled: 1-line block ×8, first 2 shown]
	s_waitcnt vmcnt(0) lgkmcnt(0)
	v_mov_b32_e32 v1, v18
.LBB1999_9:
	s_or_b64 exec, exec, s[8:9]
	v_or_b32_e32 v2, 0x80, v0
	v_cmp_gt_u32_e32 vcc, s33, v2
	s_and_saveexec_b64 s[4:5], vcc
	s_cbranch_execz .LBB1999_11
; %bb.10:
	v_mov_b32_e32 v3, s7
	v_add_co_u32_e32 v2, vcc, s6, v32
	v_addc_co_u32_e32 v3, vcc, 0, v3, vcc
	flat_load_dword v3, v[2:3] offset:512
.LBB1999_11:
	s_or_b64 exec, exec, s[4:5]
	v_or_b32_e32 v2, 0x100, v0
	v_cmp_gt_u32_e32 vcc, s33, v2
	s_and_saveexec_b64 s[4:5], vcc
	s_cbranch_execz .LBB1999_13
; %bb.12:
	v_mov_b32_e32 v2, s7
	v_add_co_u32_e32 v16, vcc, s6, v32
	v_addc_co_u32_e32 v17, vcc, 0, v2, vcc
	flat_load_dword v4, v[16:17] offset:1024
.LBB1999_13:
	;; [unrolled: 11-line block ×7, first 2 shown]
	s_or_b64 exec, exec, s[4:5]
	v_or_b32_e32 v2, 0x400, v0
	v_cmp_gt_u32_e32 vcc, s33, v2
	s_and_saveexec_b64 s[4:5], vcc
	s_cbranch_execz .LBB1999_25
; %bb.24:
	v_lshlrev_b32_e32 v2, 2, v2
	v_mov_b32_e32 v10, s7
	v_add_co_u32_e32 v16, vcc, s6, v2
	v_addc_co_u32_e32 v17, vcc, 0, v10, vcc
	flat_load_dword v10, v[16:17]
.LBB1999_25:
	s_or_b64 exec, exec, s[4:5]
	v_or_b32_e32 v2, 0x480, v0
	v_cmp_gt_u32_e32 vcc, s33, v2
	s_and_saveexec_b64 s[4:5], vcc
	s_cbranch_execz .LBB1999_27
; %bb.26:
	v_lshlrev_b32_e32 v2, 2, v2
	v_mov_b32_e32 v11, s7
	v_add_co_u32_e32 v16, vcc, s6, v2
	v_addc_co_u32_e32 v17, vcc, 0, v11, vcc
	flat_load_dword v11, v[16:17]
.LBB1999_27:
	;; [unrolled: 12-line block ×6, first 2 shown]
	s_or_b64 exec, exec, s[4:5]
	s_waitcnt vmcnt(0) lgkmcnt(0)
	ds_write2st64_b32 v32, v1, v3 offset1:2
	ds_write2st64_b32 v32, v4, v5 offset0:4 offset1:6
	ds_write2st64_b32 v32, v6, v7 offset0:8 offset1:10
	;; [unrolled: 1-line block ×6, first 2 shown]
	s_waitcnt lgkmcnt(0)
	s_barrier
.LBB1999_36:
	v_mul_u32_u24_e32 v33, 14, v0
	v_lshlrev_b32_e32 v34, 2, v33
	ds_read2_b64 v[2:5], v34 offset1:1
	ds_read2_b64 v[26:29], v34 offset0:2 offset1:3
	ds_read2_b64 v[22:25], v34 offset0:4 offset1:5
	ds_read_b64 v[30:31], v34 offset:48
	s_cmp_lg_u32 s35, 0
	v_lshrrev_b32_e32 v1, 5, v0
	v_cmp_gt_u32_e32 vcc, 64, v0
	s_waitcnt lgkmcnt(0)
	s_barrier
	s_cbranch_scc0 .LBB1999_61
; %bb.37:
	v_cmp_lt_f32_e64 s[4:5], v2, v3
	v_cndmask_b32_e64 v6, v2, v3, s[4:5]
	v_cmp_lt_f32_e64 s[4:5], v6, v4
	v_cndmask_b32_e64 v6, v6, v4, s[4:5]
	;; [unrolled: 2-line block ×13, first 2 shown]
	v_add_lshl_u32 v6, v1, v0, 2
	ds_write_b32 v6, v16
	s_waitcnt lgkmcnt(0)
	s_barrier
	s_and_saveexec_b64 s[30:31], vcc
	s_cbranch_execz .LBB1999_39
; %bb.38:
	v_lshlrev_b32_e32 v6, 1, v0
	v_lshrrev_b32_e32 v7, 4, v0
	v_add_lshl_u32 v8, v7, v6, 2
	ds_read2_b32 v[6:7], v8 offset1:1
	v_mbcnt_lo_u32_b32 v9, -1, 0
	v_mbcnt_hi_u32_b32 v9, -1, v9
	v_and_b32_e32 v10, 15, v9
	v_cmp_lt_u32_e64 s[10:11], 31, v9
	s_waitcnt lgkmcnt(0)
	v_cmp_lt_f32_e64 s[4:5], v6, v7
	v_cndmask_b32_e64 v7, v6, v7, s[4:5]
	v_cmp_gt_u32_e64 s[8:9], 32, v9
	s_nop 0
	v_mov_b32_dpp v11, v7 row_shr:1 row_mask:0xf bank_mask:0xf
	v_cmp_gt_f32_e64 s[4:5], v7, v11
	v_cndmask_b32_e64 v11, v11, v7, s[4:5]
	v_cmp_eq_u32_e64 s[4:5], 0, v10
	v_cndmask_b32_e64 v7, v11, v7, s[4:5]
	; wave barrier
	s_nop 1
	v_mov_b32_dpp v11, v7 row_shr:2 row_mask:0xf bank_mask:0xf
	v_cmp_gt_f32_e64 s[4:5], v7, v11
	v_cndmask_b32_e64 v11, v11, v7, s[4:5]
	v_cmp_lt_u32_e64 s[4:5], 1, v10
	v_cndmask_b32_e64 v11, v7, v11, s[4:5]
	s_nop 1
	v_mov_b32_dpp v12, v11 row_shr:4 row_mask:0xf bank_mask:0xf
	v_cmp_gt_f32_e64 s[6:7], v11, v12
	v_cndmask_b32_e64 v12, v12, v11, s[6:7]
	v_cmp_lt_u32_e64 s[6:7], 3, v10
	v_cndmask_b32_e64 v11, v11, v12, s[6:7]
	;; [unrolled: 6-line block ×3, first 2 shown]
	v_and_b32_e32 v12, 16, v9
	s_nop 0
	v_mov_b32_dpp v11, v10 row_bcast:15 row_mask:0xf bank_mask:0xf
	v_cmp_gt_f32_e64 s[6:7], v10, v11
	v_cndmask_b32_e64 v11, v11, v10, s[6:7]
	v_cmp_ne_u32_e64 s[6:7], 0, v12
	v_cndmask_b32_e64 v10, v10, v11, s[6:7]
	s_or_b64 s[10:11], s[6:7], s[10:11]
	s_or_b64 s[4:5], s[4:5], s[10:11]
	v_mov_b32_dpp v11, v10 row_bcast:31 row_mask:0xf bank_mask:0xf
	v_cmp_gt_f32_e64 s[6:7], v10, v11
	s_or_b64 s[6:7], s[8:9], s[6:7]
	v_cndmask_b32_e64 v10, v11, v10, s[6:7]
	v_cndmask_b32_e64 v7, v7, v10, s[4:5]
	v_add_u32_e32 v10, -1, v9
	v_and_b32_e32 v11, 64, v9
	v_cmp_lt_i32_e64 s[4:5], v10, v11
	v_cndmask_b32_e64 v9, v10, v9, s[4:5]
	v_lshlrev_b32_e32 v9, 2, v9
	ds_bpermute_b32 v7, v9, v7
	s_waitcnt lgkmcnt(0)
	v_cmp_gt_f32_e64 s[4:5], v6, v7
	v_cndmask_b32_e64 v6, v7, v6, s[4:5]
	v_cndmask_b32_e64 v6, v6, v16, s[2:3]
	ds_write_b32 v8, v6
	; wave barrier
	ds_read_b32 v7, v8 offset:4
	s_waitcnt lgkmcnt(0)
	v_cmp_lt_f32_e64 s[4:5], v6, v7
	v_cndmask_b32_e64 v6, v6, v7, s[4:5]
	ds_write_b32 v8, v6 offset:4
.LBB1999_39:
	s_or_b64 exec, exec, s[30:31]
	s_waitcnt lgkmcnt(0)
	s_barrier
	s_and_saveexec_b64 s[4:5], s[0:1]
	s_cbranch_execz .LBB1999_41
; %bb.40:
	v_add_u32_e32 v6, -1, v0
	v_lshrrev_b32_e32 v7, 5, v6
	v_add_lshl_u32 v6, v7, v6, 2
	ds_read_b32 v16, v6
.LBB1999_41:
	s_or_b64 exec, exec, s[4:5]
	s_and_saveexec_b64 s[10:11], vcc
	s_cbranch_execz .LBB1999_60
; %bb.42:
	v_mov_b32_e32 v13, 0
	ds_read_b32 v6, v13 offset:520
	v_mbcnt_lo_u32_b32 v7, -1, 0
	v_mbcnt_hi_u32_b32 v9, -1, v7
	s_mov_b32 s9, 0
	v_cmp_eq_u32_e64 s[4:5], 0, v9
	s_and_saveexec_b64 s[6:7], s[4:5]
	s_cbranch_execz .LBB1999_44
; %bb.43:
	s_add_i32 s8, s35, 64
	s_lshl_b64 s[8:9], s[8:9], 3
	s_add_u32 s8, s28, s8
	v_mov_b32_e32 v7, 1
	s_addc_u32 s9, s29, s9
	s_waitcnt lgkmcnt(0)
	global_store_dwordx2 v13, v[6:7], s[8:9]
.LBB1999_44:
	s_or_b64 exec, exec, s[6:7]
	v_xad_u32 v8, v9, -1, s35
	v_add_u32_e32 v12, 64, v8
	v_lshlrev_b64 v[10:11], 3, v[12:13]
	v_mov_b32_e32 v7, s29
	v_add_co_u32_e32 v14, vcc, s28, v10
	v_addc_co_u32_e32 v15, vcc, v7, v11, vcc
	global_load_dwordx2 v[10:11], v[14:15], off glc
	s_waitcnt vmcnt(0)
	v_cmp_eq_u16_sdwa s[8:9], v11, v13 src0_sel:BYTE_0 src1_sel:DWORD
	s_and_saveexec_b64 s[6:7], s[8:9]
	s_cbranch_execz .LBB1999_48
; %bb.45:
	s_mov_b64 s[8:9], 0
	v_mov_b32_e32 v7, 0
.LBB1999_46:                            ; =>This Inner Loop Header: Depth=1
	global_load_dwordx2 v[10:11], v[14:15], off glc
	s_waitcnt vmcnt(0)
	v_cmp_ne_u16_sdwa s[30:31], v11, v7 src0_sel:BYTE_0 src1_sel:DWORD
	s_or_b64 s[8:9], s[30:31], s[8:9]
	s_andn2_b64 exec, exec, s[8:9]
	s_cbranch_execnz .LBB1999_46
; %bb.47:
	s_or_b64 exec, exec, s[8:9]
.LBB1999_48:
	s_or_b64 exec, exec, s[6:7]
	v_and_b32_e32 v17, 63, v9
	v_cmp_ne_u32_e32 vcc, 63, v17
	v_addc_co_u32_e32 v18, vcc, 0, v9, vcc
	v_lshlrev_b32_e32 v18, 2, v18
	v_mov_b32_e32 v7, 2
	ds_bpermute_b32 v19, v18, v10
	v_cmp_eq_u16_sdwa s[6:7], v11, v7 src0_sel:BYTE_0 src1_sel:DWORD
	v_lshlrev_b64 v[12:13], v9, -1
	v_and_b32_e32 v14, s7, v13
	v_or_b32_e32 v14, 0x80000000, v14
	v_and_b32_e32 v15, s6, v12
	v_ffbl_b32_e32 v14, v14
	v_add_u32_e32 v14, 32, v14
	v_ffbl_b32_e32 v15, v15
	s_waitcnt lgkmcnt(0)
	v_cmp_lt_f32_e32 vcc, v19, v10
	v_cmp_gt_u32_e64 s[6:7], 62, v17
	v_min_u32_e32 v14, v15, v14
	v_cndmask_b32_e32 v15, v19, v10, vcc
	v_cndmask_b32_e64 v19, 0, 1, s[6:7]
	v_cmp_lt_u32_e32 vcc, v17, v14
	v_lshlrev_b32_e32 v19, 1, v19
	v_cndmask_b32_e32 v15, v10, v15, vcc
	v_add_lshl_u32 v19, v19, v9, 2
	ds_bpermute_b32 v21, v19, v15
	v_add_u32_e32 v20, 2, v17
	v_add_u32_e32 v35, 4, v17
	;; [unrolled: 1-line block ×4, first 2 shown]
	s_waitcnt lgkmcnt(0)
	v_cmp_gt_f32_e64 s[6:7], v15, v21
	v_cndmask_b32_e64 v21, v21, v15, s[6:7]
	v_cmp_gt_u32_e64 s[6:7], v20, v14
	v_cndmask_b32_e64 v15, v21, v15, s[6:7]
	v_cmp_gt_u32_e64 s[6:7], 60, v17
	v_cndmask_b32_e64 v21, 0, 1, s[6:7]
	v_lshlrev_b32_e32 v21, 2, v21
	v_add_lshl_u32 v21, v21, v9, 2
	ds_bpermute_b32 v36, v21, v15
	v_add_u32_e32 v42, 32, v17
	s_waitcnt lgkmcnt(0)
	v_cmp_gt_f32_e64 s[6:7], v15, v36
	v_cndmask_b32_e64 v36, v36, v15, s[6:7]
	v_cmp_gt_u32_e64 s[6:7], v35, v14
	v_cndmask_b32_e64 v15, v36, v15, s[6:7]
	v_cmp_gt_u32_e64 s[6:7], 56, v17
	v_cndmask_b32_e64 v36, 0, 1, s[6:7]
	v_lshlrev_b32_e32 v36, 3, v36
	v_add_lshl_u32 v36, v36, v9, 2
	ds_bpermute_b32 v38, v36, v15
	s_waitcnt lgkmcnt(0)
	v_cmp_gt_f32_e64 s[6:7], v15, v38
	v_cndmask_b32_e64 v38, v38, v15, s[6:7]
	v_cmp_gt_u32_e64 s[6:7], v37, v14
	v_cndmask_b32_e64 v15, v38, v15, s[6:7]
	v_cmp_gt_u32_e64 s[6:7], 48, v17
	v_cndmask_b32_e64 v38, 0, 1, s[6:7]
	v_lshlrev_b32_e32 v38, 4, v38
	v_add_lshl_u32 v38, v38, v9, 2
	ds_bpermute_b32 v39, v38, v15
	;; [unrolled: 10-line block ×3, first 2 shown]
	v_cmp_gt_u32_e64 s[6:7], v42, v14
	s_waitcnt lgkmcnt(0)
	v_cmp_gt_f32_e64 s[8:9], v15, v9
	s_or_b64 s[6:7], s[6:7], s[8:9]
	v_cndmask_b32_e64 v9, v9, v15, s[6:7]
	v_cndmask_b32_e32 v10, v10, v9, vcc
	v_mov_b32_e32 v9, 0
	s_branch .LBB1999_50
.LBB1999_49:                            ;   in Loop: Header=BB1999_50 Depth=1
	s_or_b64 exec, exec, s[6:7]
	v_cmp_eq_u16_sdwa s[6:7], v11, v7 src0_sel:BYTE_0 src1_sel:DWORD
	ds_bpermute_b32 v43, v18, v10
	v_and_b32_e32 v14, s7, v13
	v_or_b32_e32 v14, 0x80000000, v14
	v_and_b32_e32 v15, s6, v12
	v_ffbl_b32_e32 v14, v14
	v_add_u32_e32 v14, 32, v14
	v_ffbl_b32_e32 v15, v15
	v_min_u32_e32 v14, v15, v14
	s_waitcnt lgkmcnt(0)
	v_cmp_lt_f32_e32 vcc, v43, v10
	v_cndmask_b32_e32 v15, v43, v10, vcc
	v_cmp_lt_u32_e32 vcc, v17, v14
	v_cndmask_b32_e32 v15, v10, v15, vcc
	ds_bpermute_b32 v43, v19, v15
	v_subrev_u32_e32 v8, 64, v8
	s_waitcnt lgkmcnt(0)
	v_cmp_gt_f32_e64 s[6:7], v15, v43
	v_cndmask_b32_e64 v43, v43, v15, s[6:7]
	v_cmp_gt_u32_e64 s[6:7], v20, v14
	v_cndmask_b32_e64 v15, v43, v15, s[6:7]
	ds_bpermute_b32 v43, v21, v15
	s_waitcnt lgkmcnt(0)
	v_cmp_gt_f32_e64 s[6:7], v15, v43
	v_cndmask_b32_e64 v43, v43, v15, s[6:7]
	v_cmp_gt_u32_e64 s[6:7], v35, v14
	v_cndmask_b32_e64 v15, v43, v15, s[6:7]
	ds_bpermute_b32 v43, v36, v15
	;; [unrolled: 6-line block ×4, first 2 shown]
	v_cmp_gt_u32_e64 s[6:7], v42, v14
	s_waitcnt lgkmcnt(0)
	v_cmp_gt_f32_e64 s[8:9], v15, v43
	s_or_b64 s[6:7], s[6:7], s[8:9]
	v_cndmask_b32_e64 v14, v43, v15, s[6:7]
	v_cndmask_b32_e32 v10, v10, v14, vcc
	v_cmp_lt_f32_e32 vcc, v10, v39
	v_cndmask_b32_e32 v10, v10, v39, vcc
.LBB1999_50:                            ; =>This Loop Header: Depth=1
                                        ;     Child Loop BB1999_53 Depth 2
	v_cmp_ne_u16_sdwa s[6:7], v11, v7 src0_sel:BYTE_0 src1_sel:DWORD
	v_cndmask_b32_e64 v11, 0, 1, s[6:7]
	;;#ASMSTART
	;;#ASMEND
	v_cmp_ne_u32_e32 vcc, 0, v11
	s_cmp_lg_u64 vcc, exec
	v_mov_b32_e32 v39, v10
	s_cbranch_scc1 .LBB1999_55
; %bb.51:                               ;   in Loop: Header=BB1999_50 Depth=1
	v_lshlrev_b64 v[10:11], 3, v[8:9]
	v_mov_b32_e32 v15, s29
	v_add_co_u32_e32 v14, vcc, s28, v10
	v_addc_co_u32_e32 v15, vcc, v15, v11, vcc
	global_load_dwordx2 v[10:11], v[14:15], off glc
	s_waitcnt vmcnt(0)
	v_cmp_eq_u16_sdwa s[8:9], v11, v9 src0_sel:BYTE_0 src1_sel:DWORD
	s_and_saveexec_b64 s[6:7], s[8:9]
	s_cbranch_execz .LBB1999_49
; %bb.52:                               ;   in Loop: Header=BB1999_50 Depth=1
	s_mov_b64 s[8:9], 0
.LBB1999_53:                            ;   Parent Loop BB1999_50 Depth=1
                                        ; =>  This Inner Loop Header: Depth=2
	global_load_dwordx2 v[10:11], v[14:15], off glc
	s_waitcnt vmcnt(0)
	v_cmp_ne_u16_sdwa s[30:31], v11, v9 src0_sel:BYTE_0 src1_sel:DWORD
	s_or_b64 s[8:9], s[30:31], s[8:9]
	s_andn2_b64 exec, exec, s[8:9]
	s_cbranch_execnz .LBB1999_53
; %bb.54:                               ;   in Loop: Header=BB1999_50 Depth=1
	s_or_b64 exec, exec, s[8:9]
	s_branch .LBB1999_49
.LBB1999_55:                            ;   in Loop: Header=BB1999_50 Depth=1
                                        ; implicit-def: $vgpr10
                                        ; implicit-def: $vgpr11
	s_cbranch_execz .LBB1999_50
; %bb.56:
	s_and_saveexec_b64 s[6:7], s[4:5]
	s_cbranch_execz .LBB1999_58
; %bb.57:
	s_add_i32 s4, s35, 64
	s_mov_b32 s5, 0
	s_lshl_b64 s[4:5], s[4:5], 3
	v_cmp_lt_f32_e32 vcc, v39, v6
	s_add_u32 s4, s28, s4
	v_cndmask_b32_e32 v6, v39, v6, vcc
	v_mov_b32_e32 v7, 2
	s_addc_u32 s5, s29, s5
	v_mov_b32_e32 v8, 0
	global_store_dwordx2 v8, v[6:7], s[4:5]
.LBB1999_58:
	s_or_b64 exec, exec, s[6:7]
	s_and_b64 exec, exec, s[2:3]
	s_cbranch_execz .LBB1999_60
; %bb.59:
	v_mov_b32_e32 v6, 0
	ds_write_b32 v6, v39
.LBB1999_60:
	s_or_b64 exec, exec, s[10:11]
	v_mov_b32_e32 v6, 0
	s_waitcnt lgkmcnt(0)
	s_barrier
	ds_read_b32 v6, v6
	v_cmp_lt_f32_e32 vcc, v16, v2
	s_or_b64 vcc, s[2:3], vcc
	v_cndmask_b32_e32 v7, v16, v2, vcc
	s_waitcnt lgkmcnt(0)
	v_cmp_lt_f32_e32 vcc, v6, v7
	v_cndmask_b32_e32 v6, v6, v7, vcc
	v_cmp_lt_f32_e32 vcc, v6, v3
	v_cndmask_b32_e32 v7, v6, v3, vcc
	;; [unrolled: 2-line block ×14, first 2 shown]
	s_branch .LBB1999_73
.LBB1999_61:
                                        ; implicit-def: $vgpr6_vgpr7_vgpr8_vgpr9_vgpr10_vgpr11_vgpr12_vgpr13_vgpr14_vgpr15_vgpr16_vgpr17_vgpr18_vgpr19_vgpr20_vgpr21
	s_cbranch_execz .LBB1999_73
; %bb.62:
	s_cmp_lg_u64 s[16:17], 0
	s_cselect_b64 s[4:5], -1, 0
	s_and_b64 s[6:7], s[2:3], s[4:5]
	s_and_saveexec_b64 s[4:5], s[6:7]
	s_cbranch_execz .LBB1999_64
; %bb.63:
	v_mov_b32_e32 v6, 0
	global_load_dword v6, v6, s[12:13]
	s_waitcnt vmcnt(0)
	v_cmp_lt_f32_e32 vcc, v6, v2
	v_cndmask_b32_e32 v2, v6, v2, vcc
.LBB1999_64:
	s_or_b64 exec, exec, s[4:5]
	v_cmp_lt_f32_e32 vcc, v2, v3
	v_cndmask_b32_e32 v6, v2, v3, vcc
	v_cmp_lt_f32_e32 vcc, v6, v4
	v_cndmask_b32_e32 v6, v6, v4, vcc
	;; [unrolled: 2-line block ×13, first 2 shown]
	v_add_lshl_u32 v1, v1, v0, 2
	v_cmp_gt_u32_e32 vcc, 64, v0
	ds_write_b32 v1, v6
	s_waitcnt lgkmcnt(0)
	s_barrier
	s_and_saveexec_b64 s[10:11], vcc
	s_cbranch_execz .LBB1999_66
; %bb.65:
	v_lshlrev_b32_e32 v1, 1, v0
	v_lshrrev_b32_e32 v7, 4, v0
	v_add_lshl_u32 v1, v7, v1, 2
	ds_read2_b32 v[8:9], v1 offset1:1
	v_mbcnt_lo_u32_b32 v7, -1, 0
	v_mbcnt_hi_u32_b32 v7, -1, v7
	v_and_b32_e32 v10, 15, v7
	v_cmp_lt_u32_e64 s[8:9], 31, v7
	s_waitcnt lgkmcnt(0)
	v_cmp_lt_f32_e32 vcc, v8, v9
	v_cndmask_b32_e32 v9, v8, v9, vcc
	v_cmp_gt_u32_e64 s[6:7], 32, v7
	s_nop 0
	v_mov_b32_dpp v11, v9 row_shr:1 row_mask:0xf bank_mask:0xf
	v_cmp_gt_f32_e32 vcc, v9, v11
	v_cndmask_b32_e32 v11, v11, v9, vcc
	v_cmp_eq_u32_e32 vcc, 0, v10
	v_cndmask_b32_e32 v9, v11, v9, vcc
	; wave barrier
	s_nop 1
	v_mov_b32_dpp v11, v9 row_shr:2 row_mask:0xf bank_mask:0xf
	v_cmp_gt_f32_e32 vcc, v9, v11
	v_cndmask_b32_e32 v11, v11, v9, vcc
	v_cmp_lt_u32_e32 vcc, 1, v10
	v_cndmask_b32_e32 v11, v9, v11, vcc
	s_nop 1
	v_mov_b32_dpp v12, v11 row_shr:4 row_mask:0xf bank_mask:0xf
	v_cmp_gt_f32_e64 s[4:5], v11, v12
	v_cndmask_b32_e64 v12, v12, v11, s[4:5]
	v_cmp_lt_u32_e64 s[4:5], 3, v10
	v_cndmask_b32_e64 v11, v11, v12, s[4:5]
	s_nop 1
	v_mov_b32_dpp v12, v11 row_shr:8 row_mask:0xf bank_mask:0xf
	v_cmp_gt_f32_e64 s[4:5], v11, v12
	v_cndmask_b32_e64 v12, v12, v11, s[4:5]
	v_cmp_lt_u32_e64 s[4:5], 7, v10
	v_cndmask_b32_e64 v10, v11, v12, s[4:5]
	v_and_b32_e32 v12, 16, v7
	s_nop 0
	v_mov_b32_dpp v11, v10 row_bcast:15 row_mask:0xf bank_mask:0xf
	v_cmp_gt_f32_e64 s[4:5], v10, v11
	v_cndmask_b32_e64 v11, v11, v10, s[4:5]
	v_cmp_ne_u32_e64 s[4:5], 0, v12
	v_cndmask_b32_e64 v10, v10, v11, s[4:5]
	s_or_b64 s[8:9], s[4:5], s[8:9]
	s_or_b64 vcc, vcc, s[8:9]
	v_mov_b32_dpp v11, v10 row_bcast:31 row_mask:0xf bank_mask:0xf
	v_cmp_gt_f32_e64 s[4:5], v10, v11
	s_or_b64 s[4:5], s[6:7], s[4:5]
	v_cndmask_b32_e64 v10, v11, v10, s[4:5]
	v_cndmask_b32_e32 v9, v9, v10, vcc
	v_add_u32_e32 v10, -1, v7
	v_and_b32_e32 v11, 64, v7
	v_cmp_lt_i32_e32 vcc, v10, v11
	v_cndmask_b32_e32 v7, v10, v7, vcc
	v_lshlrev_b32_e32 v7, 2, v7
	ds_bpermute_b32 v7, v7, v9
	s_waitcnt lgkmcnt(0)
	v_cmp_gt_f32_e32 vcc, v8, v7
	v_cndmask_b32_e32 v7, v7, v8, vcc
	v_cndmask_b32_e64 v7, v7, v6, s[2:3]
	ds_write_b32 v1, v7
	; wave barrier
	ds_read_b32 v8, v1 offset:4
	s_waitcnt lgkmcnt(0)
	v_cmp_lt_f32_e32 vcc, v7, v8
	v_cndmask_b32_e32 v7, v7, v8, vcc
	ds_write_b32 v1, v7 offset:4
.LBB1999_66:
	s_or_b64 exec, exec, s[10:11]
	s_waitcnt lgkmcnt(0)
	s_barrier
	s_and_saveexec_b64 s[2:3], s[0:1]
	s_cbranch_execz .LBB1999_68
; %bb.67:
	v_add_u32_e32 v1, -1, v0
	v_lshrrev_b32_e32 v6, 5, v1
	v_add_lshl_u32 v1, v6, v1, 2
	ds_read_b32 v6, v1
.LBB1999_68:
	s_or_b64 exec, exec, s[2:3]
	s_and_saveexec_b64 s[2:3], s[0:1]
	s_cbranch_execz .LBB1999_70
; %bb.69:
	s_waitcnt lgkmcnt(0)
	v_cmp_gt_f32_e32 vcc, v2, v6
	v_cndmask_b32_e32 v2, v6, v2, vcc
	;;#ASMSTART
	;;#ASMEND
.LBB1999_70:
	s_or_b64 exec, exec, s[2:3]
	v_cmp_gt_f32_e32 vcc, v3, v2
	v_cndmask_b32_e32 v3, v2, v3, vcc
	v_cmp_lt_f32_e32 vcc, v3, v4
	v_cndmask_b32_e32 v4, v3, v4, vcc
	v_cmp_lt_f32_e32 vcc, v4, v5
	;; [unrolled: 2-line block ×3, first 2 shown]
	s_waitcnt lgkmcnt(0)
	v_cndmask_b32_e32 v6, v5, v26, vcc
	v_cmp_lt_f32_e32 vcc, v6, v27
	v_cndmask_b32_e32 v7, v6, v27, vcc
	v_cmp_lt_f32_e32 vcc, v7, v28
	v_cndmask_b32_e32 v8, v7, v28, vcc
	v_cmp_lt_f32_e32 vcc, v8, v29
	v_cndmask_b32_e32 v9, v8, v29, vcc
	v_cmp_lt_f32_e32 vcc, v9, v22
	v_cndmask_b32_e32 v10, v9, v22, vcc
	v_cmp_lt_f32_e32 vcc, v10, v23
	v_cndmask_b32_e32 v11, v10, v23, vcc
	v_cmp_lt_f32_e32 vcc, v11, v24
	v_cndmask_b32_e32 v12, v11, v24, vcc
	v_cmp_lt_f32_e32 vcc, v12, v25
	v_cndmask_b32_e32 v13, v12, v25, vcc
	v_cmp_lt_f32_e32 vcc, v13, v30
	v_cndmask_b32_e32 v14, v13, v30, vcc
	v_cmp_lt_f32_e32 vcc, v14, v31
	s_movk_i32 s0, 0x7f
	v_cndmask_b32_e32 v15, v14, v31, vcc
	v_cmp_eq_u32_e32 vcc, s0, v0
	s_and_saveexec_b64 s[0:1], vcc
	s_cbranch_execz .LBB1999_72
; %bb.71:
	v_mov_b32_e32 v1, 0
	v_mov_b32_e32 v17, 2
	;; [unrolled: 1-line block ×3, first 2 shown]
	global_store_dwordx2 v1, v[16:17], s[28:29] offset:512
.LBB1999_72:
	s_or_b64 exec, exec, s[0:1]
	v_pk_mov_b32 v[20:21], v[16:17], v[16:17] op_sel:[0,1]
	v_pk_mov_b32 v[18:19], v[14:15], v[14:15] op_sel:[0,1]
	;; [unrolled: 1-line block ×8, first 2 shown]
.LBB1999_73:
	s_add_u32 s0, s24, s22
	s_addc_u32 s1, s25, s23
	s_add_u32 s2, s0, s26
	s_addc_u32 s3, s1, s27
	s_mov_b64 s[0:1], -1
	s_and_b64 vcc, exec, s[20:21]
	s_barrier
	s_cbranch_vccz .LBB1999_75
; %bb.74:
	ds_write2_b64 v34, v[6:7], v[8:9] offset1:1
	ds_write2_b64 v34, v[10:11], v[12:13] offset0:2 offset1:3
	ds_write2_b64 v34, v[14:15], v[16:17] offset0:4 offset1:5
	ds_write_b64 v34, v[18:19] offset:48
	s_waitcnt lgkmcnt(0)
	s_barrier
	ds_read2st64_b32 v[2:3], v32 offset1:2
	ds_read2st64_b32 v[4:5], v32 offset0:4 offset1:6
	ds_read2st64_b32 v[20:21], v32 offset0:8 offset1:10
	;; [unrolled: 1-line block ×6, first 2 shown]
	v_mov_b32_e32 v1, s3
	v_add_co_u32_e32 v30, vcc, s2, v32
	v_addc_co_u32_e32 v31, vcc, 0, v1, vcc
	s_waitcnt lgkmcnt(6)
	flat_store_dword v[30:31], v2
	flat_store_dword v[30:31], v3 offset:512
	s_waitcnt lgkmcnt(0)
	flat_store_dword v[30:31], v4 offset:1024
	flat_store_dword v[30:31], v5 offset:1536
	;; [unrolled: 1-line block ×6, first 2 shown]
	v_add_co_u32_e32 v2, vcc, 0x1000, v30
	v_addc_co_u32_e32 v3, vcc, 0, v31, vcc
	flat_store_dword v[2:3], v24
	flat_store_dword v[2:3], v25 offset:512
	flat_store_dword v[2:3], v26 offset:1024
	;; [unrolled: 1-line block ×5, first 2 shown]
	s_mov_b64 s[0:1], 0
.LBB1999_75:
	s_andn2_b64 vcc, exec, s[0:1]
	s_cbranch_vccnz .LBB1999_155
; %bb.76:
	s_movk_i32 s0, 0xffcc
	ds_write2_b64 v34, v[6:7], v[8:9] offset1:1
	ds_write2_b64 v34, v[10:11], v[12:13] offset0:2 offset1:3
	ds_write2_b64 v34, v[14:15], v[16:17] offset0:4 offset1:5
	ds_write_b64 v34, v[18:19] offset:48
	v_mad_i32_i24 v14, v0, s0, v34
	s_waitcnt lgkmcnt(0)
	s_barrier
	ds_read2st64_b32 v[4:5], v14 offset1:2
	ds_read2st64_b32 v[6:7], v14 offset0:4 offset1:6
	ds_read2st64_b32 v[8:9], v14 offset0:8 offset1:10
	;; [unrolled: 1-line block ×6, first 2 shown]
	v_mov_b32_e32 v17, s3
	v_add_co_u32_e32 v16, vcc, s2, v32
	v_addc_co_u32_e32 v17, vcc, 0, v17, vcc
	v_mov_b32_e32 v1, 0
	v_cmp_gt_u32_e32 vcc, s33, v0
	s_and_saveexec_b64 s[0:1], vcc
	s_cbranch_execz .LBB1999_78
; %bb.77:
	s_waitcnt lgkmcnt(0)
	flat_store_dword v[16:17], v4
.LBB1999_78:
	s_or_b64 exec, exec, s[0:1]
	v_or_b32_e32 v18, 0x80, v0
	v_cmp_gt_u32_e32 vcc, s33, v18
	s_and_saveexec_b64 s[0:1], vcc
	s_cbranch_execz .LBB1999_80
; %bb.79:
	s_waitcnt lgkmcnt(0)
	flat_store_dword v[16:17], v5 offset:512
.LBB1999_80:
	s_or_b64 exec, exec, s[0:1]
	v_or_b32_e32 v18, 0x100, v0
	v_cmp_gt_u32_e32 vcc, s33, v18
	s_and_saveexec_b64 s[0:1], vcc
	s_cbranch_execz .LBB1999_82
; %bb.81:
	s_waitcnt lgkmcnt(0)
	flat_store_dword v[16:17], v6 offset:1024
.LBB1999_82:
	s_or_b64 exec, exec, s[0:1]
	v_or_b32_e32 v18, 0x180, v0
	v_cmp_gt_u32_e32 vcc, s33, v18
	s_and_saveexec_b64 s[0:1], vcc
	s_cbranch_execz .LBB1999_84
; %bb.83:
	s_waitcnt lgkmcnt(0)
	flat_store_dword v[16:17], v7 offset:1536
.LBB1999_84:
	s_or_b64 exec, exec, s[0:1]
	v_or_b32_e32 v18, 0x200, v0
	v_cmp_gt_u32_e32 vcc, s33, v18
	s_and_saveexec_b64 s[0:1], vcc
	s_cbranch_execz .LBB1999_86
; %bb.85:
	s_waitcnt lgkmcnt(0)
	flat_store_dword v[16:17], v8 offset:2048
.LBB1999_86:
	s_or_b64 exec, exec, s[0:1]
	v_or_b32_e32 v18, 0x280, v0
	v_cmp_gt_u32_e32 vcc, s33, v18
	s_and_saveexec_b64 s[0:1], vcc
	s_cbranch_execz .LBB1999_88
; %bb.87:
	s_waitcnt lgkmcnt(0)
	flat_store_dword v[16:17], v9 offset:2560
.LBB1999_88:
	s_or_b64 exec, exec, s[0:1]
	v_or_b32_e32 v18, 0x300, v0
	v_cmp_gt_u32_e32 vcc, s33, v18
	s_and_saveexec_b64 s[0:1], vcc
	s_cbranch_execz .LBB1999_90
; %bb.89:
	s_waitcnt lgkmcnt(0)
	flat_store_dword v[16:17], v2 offset:3072
.LBB1999_90:
	s_or_b64 exec, exec, s[0:1]
	v_or_b32_e32 v18, 0x380, v0
	v_cmp_gt_u32_e32 vcc, s33, v18
	s_and_saveexec_b64 s[0:1], vcc
	s_cbranch_execz .LBB1999_92
; %bb.91:
	s_waitcnt lgkmcnt(0)
	flat_store_dword v[16:17], v3 offset:3584
.LBB1999_92:
	s_or_b64 exec, exec, s[0:1]
	v_or_b32_e32 v18, 0x400, v0
	v_cmp_gt_u32_e32 vcc, s33, v18
	s_and_saveexec_b64 s[0:1], vcc
	s_cbranch_execz .LBB1999_94
; %bb.93:
	v_add_co_u32_e32 v18, vcc, 0x1000, v16
	v_addc_co_u32_e32 v19, vcc, 0, v17, vcc
	s_waitcnt lgkmcnt(0)
	flat_store_dword v[18:19], v12
.LBB1999_94:
	s_or_b64 exec, exec, s[0:1]
	v_or_b32_e32 v18, 0x480, v0
	v_cmp_gt_u32_e32 vcc, s33, v18
	s_and_saveexec_b64 s[0:1], vcc
	s_cbranch_execz .LBB1999_96
; %bb.95:
	v_add_co_u32_e32 v18, vcc, 0x1000, v16
	v_addc_co_u32_e32 v19, vcc, 0, v17, vcc
	s_waitcnt lgkmcnt(0)
	flat_store_dword v[18:19], v13 offset:512
.LBB1999_96:
	s_or_b64 exec, exec, s[0:1]
	v_or_b32_e32 v18, 0x500, v0
	v_cmp_gt_u32_e32 vcc, s33, v18
	s_and_saveexec_b64 s[0:1], vcc
	s_cbranch_execz .LBB1999_98
; %bb.97:
	v_add_co_u32_e32 v18, vcc, 0x1000, v16
	v_addc_co_u32_e32 v19, vcc, 0, v17, vcc
	s_waitcnt lgkmcnt(0)
	flat_store_dword v[18:19], v10 offset:1024
.LBB1999_98:
	;; [unrolled: 11-line block ×5, first 2 shown]
	s_or_b64 exec, exec, s[0:1]
	v_cmp_lt_u64_e64 s[0:1], s[18:19], 2
	s_and_b64 vcc, exec, s[0:1]
	s_cbranch_vccnz .LBB1999_155
; %bb.105:
	s_add_u32 s0, s33, -1
	s_addc_u32 s1, s34, -1
	s_add_u32 s2, 0, 0x49240800
	s_addc_u32 s3, 0, 50
	s_add_i32 s3, s3, 0x12492460
	s_mul_hi_u32 s7, s2, -14
	s_sub_i32 s7, s7, s2
	s_mul_i32 s8, s3, -14
	s_mul_i32 s4, s2, -14
	s_add_i32 s7, s7, s8
	s_mul_hi_u32 s5, s3, s4
	s_mul_i32 s6, s3, s4
	s_mul_i32 s9, s2, s7
	s_mul_hi_u32 s4, s2, s4
	s_mul_hi_u32 s8, s2, s7
	s_add_u32 s4, s4, s9
	s_addc_u32 s8, 0, s8
	s_add_u32 s4, s4, s6
	s_mul_hi_u32 s9, s3, s7
	s_addc_u32 s4, s8, s5
	s_addc_u32 s5, s9, 0
	s_mul_i32 s6, s3, s7
	s_add_u32 s4, s4, s6
	v_mov_b32_e32 v16, s4
	s_addc_u32 s5, 0, s5
	v_add_co_u32_e32 v16, vcc, s2, v16
	s_cmp_lg_u64 vcc, 0
	s_addc_u32 s2, s3, s5
	v_readfirstlane_b32 s5, v16
	s_mul_i32 s4, s0, s2
	s_mul_hi_u32 s6, s0, s5
	s_mul_hi_u32 s3, s0, s2
	s_add_u32 s4, s6, s4
	s_addc_u32 s3, 0, s3
	s_mul_hi_u32 s7, s1, s5
	s_mul_i32 s5, s1, s5
	s_add_u32 s4, s4, s5
	s_mul_hi_u32 s6, s1, s2
	s_addc_u32 s3, s3, s7
	s_addc_u32 s4, s6, 0
	s_mul_i32 s2, s1, s2
	s_add_u32 s2, s3, s2
	s_addc_u32 s3, 0, s4
	s_add_u32 s4, s2, 1
	s_addc_u32 s5, s3, 0
	s_add_u32 s6, s2, 2
	s_mul_i32 s8, s3, 14
	s_mul_hi_u32 s9, s2, 14
	s_addc_u32 s7, s3, 0
	s_add_i32 s9, s9, s8
	s_mul_i32 s8, s2, 14
	v_mov_b32_e32 v16, s8
	v_sub_co_u32_e32 v16, vcc, s0, v16
	s_cmp_lg_u64 vcc, 0
	s_subb_u32 s8, s1, s9
	v_subrev_co_u32_e32 v17, vcc, 14, v16
	s_cmp_lg_u64 vcc, 0
	s_subb_u32 s9, s8, 0
	v_readfirstlane_b32 s10, v17
	s_cmp_gt_u32 s10, 13
	s_cselect_b32 s10, -1, 0
	s_cmp_eq_u32 s9, 0
	s_cselect_b32 s9, s10, -1
	s_cmp_lg_u32 s9, 0
	s_cselect_b32 s4, s6, s4
	v_readfirstlane_b32 s6, v16
	s_cselect_b32 s5, s7, s5
	s_cmp_gt_u32 s6, 13
	s_cselect_b32 s6, -1, 0
	s_cmp_eq_u32 s8, 0
	s_cselect_b32 s6, s6, -1
	s_cmp_lg_u32 s6, 0
	s_cselect_b32 s3, s5, s3
	s_cselect_b32 s2, s4, s2
	v_cmp_eq_u64_e32 vcc, s[2:3], v[0:1]
	s_and_saveexec_b64 s[2:3], vcc
	s_cbranch_execz .LBB1999_155
; %bb.106:
	v_mul_hi_u32_u24_e32 v1, 14, v0
	v_mov_b32_e32 v16, s1
	v_sub_co_u32_e32 v0, vcc, s0, v33
	v_subb_co_u32_e32 v1, vcc, v16, v1, vcc
	v_cmp_lt_i64_e32 vcc, 6, v[0:1]
	s_and_saveexec_b64 s[0:1], vcc
	s_xor_b64 s[0:1], exec, s[0:1]
	s_cbranch_execz .LBB1999_132
; %bb.107:
	v_cmp_lt_i64_e32 vcc, 9, v[0:1]
	s_and_saveexec_b64 s[2:3], vcc
	s_xor_b64 s[2:3], exec, s[2:3]
	s_cbranch_execz .LBB1999_121
; %bb.108:
	;; [unrolled: 5-line block ×4, first 2 shown]
	v_mov_b32_e32 v0, 0
	s_waitcnt lgkmcnt(0)
	global_store_dword v0, v15, s[14:15]
                                        ; implicit-def: $vgpr14_vgpr15
.LBB1999_111:
	s_andn2_saveexec_b64 s[6:7], s[6:7]
	s_cbranch_execz .LBB1999_113
; %bb.112:
	v_mov_b32_e32 v0, 0
	s_waitcnt lgkmcnt(0)
	global_store_dword v0, v14, s[14:15]
.LBB1999_113:
	s_or_b64 exec, exec, s[6:7]
                                        ; implicit-def: $vgpr10_vgpr11
                                        ; implicit-def: $vgpr0_vgpr1
.LBB1999_114:
	s_andn2_saveexec_b64 s[4:5], s[4:5]
	s_cbranch_execz .LBB1999_120
; %bb.115:
	v_cmp_lt_i64_e32 vcc, 10, v[0:1]
	s_and_saveexec_b64 s[6:7], vcc
	s_xor_b64 s[6:7], exec, s[6:7]
	s_cbranch_execz .LBB1999_117
; %bb.116:
	v_mov_b32_e32 v0, 0
	s_waitcnt lgkmcnt(0)
	global_store_dword v0, v11, s[14:15]
                                        ; implicit-def: $vgpr10_vgpr11
.LBB1999_117:
	s_andn2_saveexec_b64 s[6:7], s[6:7]
	s_cbranch_execz .LBB1999_119
; %bb.118:
	v_mov_b32_e32 v0, 0
	s_waitcnt lgkmcnt(0)
	global_store_dword v0, v10, s[14:15]
.LBB1999_119:
	s_or_b64 exec, exec, s[6:7]
.LBB1999_120:
	s_or_b64 exec, exec, s[4:5]
                                        ; implicit-def: $vgpr2_vgpr3
                                        ; implicit-def: $vgpr0_vgpr1
                                        ; implicit-def: $vgpr12_vgpr13
.LBB1999_121:
	s_andn2_saveexec_b64 s[2:3], s[2:3]
	s_cbranch_execz .LBB1999_131
; %bb.122:
	v_cmp_lt_i64_e32 vcc, 7, v[0:1]
	s_and_saveexec_b64 s[4:5], vcc
	s_xor_b64 s[4:5], exec, s[4:5]
	s_cbranch_execz .LBB1999_128
; %bb.123:
	v_cmp_lt_i64_e32 vcc, 8, v[0:1]
	s_and_saveexec_b64 s[6:7], vcc
	s_xor_b64 s[6:7], exec, s[6:7]
	s_cbranch_execz .LBB1999_125
; %bb.124:
	v_mov_b32_e32 v0, 0
	s_waitcnt lgkmcnt(0)
	global_store_dword v0, v13, s[14:15]
                                        ; implicit-def: $vgpr12_vgpr13
.LBB1999_125:
	s_andn2_saveexec_b64 s[6:7], s[6:7]
	s_cbranch_execz .LBB1999_127
; %bb.126:
	v_mov_b32_e32 v0, 0
	s_waitcnt lgkmcnt(0)
	global_store_dword v0, v12, s[14:15]
.LBB1999_127:
	s_or_b64 exec, exec, s[6:7]
                                        ; implicit-def: $vgpr2_vgpr3
.LBB1999_128:
	s_andn2_saveexec_b64 s[4:5], s[4:5]
	s_cbranch_execz .LBB1999_130
; %bb.129:
	v_mov_b32_e32 v0, 0
	s_waitcnt lgkmcnt(0)
	global_store_dword v0, v3, s[14:15]
.LBB1999_130:
	s_or_b64 exec, exec, s[4:5]
.LBB1999_131:
	s_or_b64 exec, exec, s[2:3]
                                        ; implicit-def: $vgpr0_vgpr1
                                        ; implicit-def: $vgpr8_vgpr9
                                        ; implicit-def: $vgpr4_vgpr5
                                        ; implicit-def: $vgpr6_vgpr7
                                        ; implicit-def: $vgpr2_vgpr3
.LBB1999_132:
	s_andn2_saveexec_b64 s[0:1], s[0:1]
	s_cbranch_execz .LBB1999_155
; %bb.133:
	v_cmp_lt_i64_e32 vcc, 3, v[0:1]
	s_and_saveexec_b64 s[0:1], vcc
	s_xor_b64 s[0:1], exec, s[0:1]
	s_cbranch_execz .LBB1999_143
; %bb.134:
	v_cmp_lt_i64_e32 vcc, 4, v[0:1]
	s_and_saveexec_b64 s[2:3], vcc
	s_xor_b64 s[2:3], exec, s[2:3]
	;; [unrolled: 5-line block ×3, first 2 shown]
	s_cbranch_execz .LBB1999_137
; %bb.136:
	v_mov_b32_e32 v0, 0
	s_waitcnt lgkmcnt(0)
	global_store_dword v0, v2, s[14:15]
                                        ; implicit-def: $vgpr8_vgpr9
.LBB1999_137:
	s_andn2_saveexec_b64 s[4:5], s[4:5]
	s_cbranch_execz .LBB1999_139
; %bb.138:
	v_mov_b32_e32 v0, 0
	s_waitcnt lgkmcnt(0)
	global_store_dword v0, v9, s[14:15]
.LBB1999_139:
	s_or_b64 exec, exec, s[4:5]
                                        ; implicit-def: $vgpr8_vgpr9
.LBB1999_140:
	s_andn2_saveexec_b64 s[2:3], s[2:3]
	s_cbranch_execz .LBB1999_142
; %bb.141:
	v_mov_b32_e32 v0, 0
	s_waitcnt lgkmcnt(0)
	global_store_dword v0, v8, s[14:15]
.LBB1999_142:
	s_or_b64 exec, exec, s[2:3]
                                        ; implicit-def: $vgpr0_vgpr1
                                        ; implicit-def: $vgpr4_vgpr5
                                        ; implicit-def: $vgpr6_vgpr7
.LBB1999_143:
	s_andn2_saveexec_b64 s[0:1], s[0:1]
	s_cbranch_execz .LBB1999_155
; %bb.144:
	v_cmp_lt_i64_e32 vcc, 1, v[0:1]
	s_and_saveexec_b64 s[0:1], vcc
	s_xor_b64 s[0:1], exec, s[0:1]
	s_cbranch_execz .LBB1999_150
; %bb.145:
	v_cmp_lt_i64_e32 vcc, 2, v[0:1]
	s_and_saveexec_b64 s[2:3], vcc
	s_xor_b64 s[2:3], exec, s[2:3]
	s_cbranch_execz .LBB1999_147
; %bb.146:
	v_mov_b32_e32 v0, 0
	s_waitcnt lgkmcnt(0)
	global_store_dword v0, v7, s[14:15]
                                        ; implicit-def: $vgpr6_vgpr7
.LBB1999_147:
	s_andn2_saveexec_b64 s[2:3], s[2:3]
	s_cbranch_execz .LBB1999_149
; %bb.148:
	v_mov_b32_e32 v0, 0
	s_waitcnt lgkmcnt(0)
	global_store_dword v0, v6, s[14:15]
.LBB1999_149:
	s_or_b64 exec, exec, s[2:3]
                                        ; implicit-def: $vgpr4_vgpr5
                                        ; implicit-def: $vgpr0_vgpr1
.LBB1999_150:
	s_andn2_saveexec_b64 s[0:1], s[0:1]
	s_cbranch_execz .LBB1999_155
; %bb.151:
	v_cmp_ne_u64_e32 vcc, 1, v[0:1]
	s_and_saveexec_b64 s[0:1], vcc
	s_xor_b64 s[0:1], exec, s[0:1]
	s_cbranch_execz .LBB1999_153
; %bb.152:
	v_mov_b32_e32 v0, 0
	s_waitcnt lgkmcnt(0)
	global_store_dword v0, v4, s[14:15]
                                        ; implicit-def: $vgpr4_vgpr5
.LBB1999_153:
	s_andn2_saveexec_b64 s[0:1], s[0:1]
	s_cbranch_execz .LBB1999_155
; %bb.154:
	v_mov_b32_e32 v0, 0
	s_waitcnt lgkmcnt(0)
	global_store_dword v0, v5, s[14:15]
.LBB1999_155:
	s_endpgm
	.section	.rodata,"a",@progbits
	.p2align	6, 0x0
	.amdhsa_kernel _ZN7rocprim17ROCPRIM_400000_NS6detail17trampoline_kernelINS0_14default_configENS1_20scan_config_selectorIfEEZZNS1_9scan_implILNS1_25lookback_scan_determinismE0ELb0ELb0ES3_N6thrust23THRUST_200600_302600_NS6detail15normal_iteratorINS9_10device_ptrIfEEEESE_f11max_functorIfEfEEDaPvRmT3_T4_T5_mT6_P12ihipStream_tbENKUlT_T0_E_clISt17integral_constantIbLb0EEST_IbLb1EEEEDaSP_SQ_EUlSP_E_NS1_11comp_targetILNS1_3genE4ELNS1_11target_archE910ELNS1_3gpuE8ELNS1_3repE0EEENS1_30default_config_static_selectorELNS0_4arch9wavefront6targetE1EEEvT1_
		.amdhsa_group_segment_fixed_size 7168
		.amdhsa_private_segment_fixed_size 0
		.amdhsa_kernarg_size 96
		.amdhsa_user_sgpr_count 6
		.amdhsa_user_sgpr_private_segment_buffer 1
		.amdhsa_user_sgpr_dispatch_ptr 0
		.amdhsa_user_sgpr_queue_ptr 0
		.amdhsa_user_sgpr_kernarg_segment_ptr 1
		.amdhsa_user_sgpr_dispatch_id 0
		.amdhsa_user_sgpr_flat_scratch_init 0
		.amdhsa_user_sgpr_kernarg_preload_length 0
		.amdhsa_user_sgpr_kernarg_preload_offset 0
		.amdhsa_user_sgpr_private_segment_size 0
		.amdhsa_uses_dynamic_stack 0
		.amdhsa_system_sgpr_private_segment_wavefront_offset 0
		.amdhsa_system_sgpr_workgroup_id_x 1
		.amdhsa_system_sgpr_workgroup_id_y 0
		.amdhsa_system_sgpr_workgroup_id_z 0
		.amdhsa_system_sgpr_workgroup_info 0
		.amdhsa_system_vgpr_workitem_id 0
		.amdhsa_next_free_vgpr 44
		.amdhsa_next_free_sgpr 36
		.amdhsa_accum_offset 44
		.amdhsa_reserve_vcc 1
		.amdhsa_reserve_flat_scratch 0
		.amdhsa_float_round_mode_32 0
		.amdhsa_float_round_mode_16_64 0
		.amdhsa_float_denorm_mode_32 3
		.amdhsa_float_denorm_mode_16_64 3
		.amdhsa_dx10_clamp 1
		.amdhsa_ieee_mode 1
		.amdhsa_fp16_overflow 0
		.amdhsa_tg_split 0
		.amdhsa_exception_fp_ieee_invalid_op 0
		.amdhsa_exception_fp_denorm_src 0
		.amdhsa_exception_fp_ieee_div_zero 0
		.amdhsa_exception_fp_ieee_overflow 0
		.amdhsa_exception_fp_ieee_underflow 0
		.amdhsa_exception_fp_ieee_inexact 0
		.amdhsa_exception_int_div_zero 0
	.end_amdhsa_kernel
	.section	.text._ZN7rocprim17ROCPRIM_400000_NS6detail17trampoline_kernelINS0_14default_configENS1_20scan_config_selectorIfEEZZNS1_9scan_implILNS1_25lookback_scan_determinismE0ELb0ELb0ES3_N6thrust23THRUST_200600_302600_NS6detail15normal_iteratorINS9_10device_ptrIfEEEESE_f11max_functorIfEfEEDaPvRmT3_T4_T5_mT6_P12ihipStream_tbENKUlT_T0_E_clISt17integral_constantIbLb0EEST_IbLb1EEEEDaSP_SQ_EUlSP_E_NS1_11comp_targetILNS1_3genE4ELNS1_11target_archE910ELNS1_3gpuE8ELNS1_3repE0EEENS1_30default_config_static_selectorELNS0_4arch9wavefront6targetE1EEEvT1_,"axG",@progbits,_ZN7rocprim17ROCPRIM_400000_NS6detail17trampoline_kernelINS0_14default_configENS1_20scan_config_selectorIfEEZZNS1_9scan_implILNS1_25lookback_scan_determinismE0ELb0ELb0ES3_N6thrust23THRUST_200600_302600_NS6detail15normal_iteratorINS9_10device_ptrIfEEEESE_f11max_functorIfEfEEDaPvRmT3_T4_T5_mT6_P12ihipStream_tbENKUlT_T0_E_clISt17integral_constantIbLb0EEST_IbLb1EEEEDaSP_SQ_EUlSP_E_NS1_11comp_targetILNS1_3genE4ELNS1_11target_archE910ELNS1_3gpuE8ELNS1_3repE0EEENS1_30default_config_static_selectorELNS0_4arch9wavefront6targetE1EEEvT1_,comdat
.Lfunc_end1999:
	.size	_ZN7rocprim17ROCPRIM_400000_NS6detail17trampoline_kernelINS0_14default_configENS1_20scan_config_selectorIfEEZZNS1_9scan_implILNS1_25lookback_scan_determinismE0ELb0ELb0ES3_N6thrust23THRUST_200600_302600_NS6detail15normal_iteratorINS9_10device_ptrIfEEEESE_f11max_functorIfEfEEDaPvRmT3_T4_T5_mT6_P12ihipStream_tbENKUlT_T0_E_clISt17integral_constantIbLb0EEST_IbLb1EEEEDaSP_SQ_EUlSP_E_NS1_11comp_targetILNS1_3genE4ELNS1_11target_archE910ELNS1_3gpuE8ELNS1_3repE0EEENS1_30default_config_static_selectorELNS0_4arch9wavefront6targetE1EEEvT1_, .Lfunc_end1999-_ZN7rocprim17ROCPRIM_400000_NS6detail17trampoline_kernelINS0_14default_configENS1_20scan_config_selectorIfEEZZNS1_9scan_implILNS1_25lookback_scan_determinismE0ELb0ELb0ES3_N6thrust23THRUST_200600_302600_NS6detail15normal_iteratorINS9_10device_ptrIfEEEESE_f11max_functorIfEfEEDaPvRmT3_T4_T5_mT6_P12ihipStream_tbENKUlT_T0_E_clISt17integral_constantIbLb0EEST_IbLb1EEEEDaSP_SQ_EUlSP_E_NS1_11comp_targetILNS1_3genE4ELNS1_11target_archE910ELNS1_3gpuE8ELNS1_3repE0EEENS1_30default_config_static_selectorELNS0_4arch9wavefront6targetE1EEEvT1_
                                        ; -- End function
	.section	.AMDGPU.csdata,"",@progbits
; Kernel info:
; codeLenInByte = 6356
; NumSgprs: 40
; NumVgprs: 44
; NumAgprs: 0
; TotalNumVgprs: 44
; ScratchSize: 0
; MemoryBound: 0
; FloatMode: 240
; IeeeMode: 1
; LDSByteSize: 7168 bytes/workgroup (compile time only)
; SGPRBlocks: 4
; VGPRBlocks: 5
; NumSGPRsForWavesPerEU: 40
; NumVGPRsForWavesPerEU: 44
; AccumOffset: 44
; Occupancy: 5
; WaveLimiterHint : 1
; COMPUTE_PGM_RSRC2:SCRATCH_EN: 0
; COMPUTE_PGM_RSRC2:USER_SGPR: 6
; COMPUTE_PGM_RSRC2:TRAP_HANDLER: 0
; COMPUTE_PGM_RSRC2:TGID_X_EN: 1
; COMPUTE_PGM_RSRC2:TGID_Y_EN: 0
; COMPUTE_PGM_RSRC2:TGID_Z_EN: 0
; COMPUTE_PGM_RSRC2:TIDIG_COMP_CNT: 0
; COMPUTE_PGM_RSRC3_GFX90A:ACCUM_OFFSET: 10
; COMPUTE_PGM_RSRC3_GFX90A:TG_SPLIT: 0
	.section	.text._ZN7rocprim17ROCPRIM_400000_NS6detail17trampoline_kernelINS0_14default_configENS1_20scan_config_selectorIfEEZZNS1_9scan_implILNS1_25lookback_scan_determinismE0ELb0ELb0ES3_N6thrust23THRUST_200600_302600_NS6detail15normal_iteratorINS9_10device_ptrIfEEEESE_f11max_functorIfEfEEDaPvRmT3_T4_T5_mT6_P12ihipStream_tbENKUlT_T0_E_clISt17integral_constantIbLb0EEST_IbLb1EEEEDaSP_SQ_EUlSP_E_NS1_11comp_targetILNS1_3genE3ELNS1_11target_archE908ELNS1_3gpuE7ELNS1_3repE0EEENS1_30default_config_static_selectorELNS0_4arch9wavefront6targetE1EEEvT1_,"axG",@progbits,_ZN7rocprim17ROCPRIM_400000_NS6detail17trampoline_kernelINS0_14default_configENS1_20scan_config_selectorIfEEZZNS1_9scan_implILNS1_25lookback_scan_determinismE0ELb0ELb0ES3_N6thrust23THRUST_200600_302600_NS6detail15normal_iteratorINS9_10device_ptrIfEEEESE_f11max_functorIfEfEEDaPvRmT3_T4_T5_mT6_P12ihipStream_tbENKUlT_T0_E_clISt17integral_constantIbLb0EEST_IbLb1EEEEDaSP_SQ_EUlSP_E_NS1_11comp_targetILNS1_3genE3ELNS1_11target_archE908ELNS1_3gpuE7ELNS1_3repE0EEENS1_30default_config_static_selectorELNS0_4arch9wavefront6targetE1EEEvT1_,comdat
	.protected	_ZN7rocprim17ROCPRIM_400000_NS6detail17trampoline_kernelINS0_14default_configENS1_20scan_config_selectorIfEEZZNS1_9scan_implILNS1_25lookback_scan_determinismE0ELb0ELb0ES3_N6thrust23THRUST_200600_302600_NS6detail15normal_iteratorINS9_10device_ptrIfEEEESE_f11max_functorIfEfEEDaPvRmT3_T4_T5_mT6_P12ihipStream_tbENKUlT_T0_E_clISt17integral_constantIbLb0EEST_IbLb1EEEEDaSP_SQ_EUlSP_E_NS1_11comp_targetILNS1_3genE3ELNS1_11target_archE908ELNS1_3gpuE7ELNS1_3repE0EEENS1_30default_config_static_selectorELNS0_4arch9wavefront6targetE1EEEvT1_ ; -- Begin function _ZN7rocprim17ROCPRIM_400000_NS6detail17trampoline_kernelINS0_14default_configENS1_20scan_config_selectorIfEEZZNS1_9scan_implILNS1_25lookback_scan_determinismE0ELb0ELb0ES3_N6thrust23THRUST_200600_302600_NS6detail15normal_iteratorINS9_10device_ptrIfEEEESE_f11max_functorIfEfEEDaPvRmT3_T4_T5_mT6_P12ihipStream_tbENKUlT_T0_E_clISt17integral_constantIbLb0EEST_IbLb1EEEEDaSP_SQ_EUlSP_E_NS1_11comp_targetILNS1_3genE3ELNS1_11target_archE908ELNS1_3gpuE7ELNS1_3repE0EEENS1_30default_config_static_selectorELNS0_4arch9wavefront6targetE1EEEvT1_
	.globl	_ZN7rocprim17ROCPRIM_400000_NS6detail17trampoline_kernelINS0_14default_configENS1_20scan_config_selectorIfEEZZNS1_9scan_implILNS1_25lookback_scan_determinismE0ELb0ELb0ES3_N6thrust23THRUST_200600_302600_NS6detail15normal_iteratorINS9_10device_ptrIfEEEESE_f11max_functorIfEfEEDaPvRmT3_T4_T5_mT6_P12ihipStream_tbENKUlT_T0_E_clISt17integral_constantIbLb0EEST_IbLb1EEEEDaSP_SQ_EUlSP_E_NS1_11comp_targetILNS1_3genE3ELNS1_11target_archE908ELNS1_3gpuE7ELNS1_3repE0EEENS1_30default_config_static_selectorELNS0_4arch9wavefront6targetE1EEEvT1_
	.p2align	8
	.type	_ZN7rocprim17ROCPRIM_400000_NS6detail17trampoline_kernelINS0_14default_configENS1_20scan_config_selectorIfEEZZNS1_9scan_implILNS1_25lookback_scan_determinismE0ELb0ELb0ES3_N6thrust23THRUST_200600_302600_NS6detail15normal_iteratorINS9_10device_ptrIfEEEESE_f11max_functorIfEfEEDaPvRmT3_T4_T5_mT6_P12ihipStream_tbENKUlT_T0_E_clISt17integral_constantIbLb0EEST_IbLb1EEEEDaSP_SQ_EUlSP_E_NS1_11comp_targetILNS1_3genE3ELNS1_11target_archE908ELNS1_3gpuE7ELNS1_3repE0EEENS1_30default_config_static_selectorELNS0_4arch9wavefront6targetE1EEEvT1_,@function
_ZN7rocprim17ROCPRIM_400000_NS6detail17trampoline_kernelINS0_14default_configENS1_20scan_config_selectorIfEEZZNS1_9scan_implILNS1_25lookback_scan_determinismE0ELb0ELb0ES3_N6thrust23THRUST_200600_302600_NS6detail15normal_iteratorINS9_10device_ptrIfEEEESE_f11max_functorIfEfEEDaPvRmT3_T4_T5_mT6_P12ihipStream_tbENKUlT_T0_E_clISt17integral_constantIbLb0EEST_IbLb1EEEEDaSP_SQ_EUlSP_E_NS1_11comp_targetILNS1_3genE3ELNS1_11target_archE908ELNS1_3gpuE7ELNS1_3repE0EEENS1_30default_config_static_selectorELNS0_4arch9wavefront6targetE1EEEvT1_: ; @_ZN7rocprim17ROCPRIM_400000_NS6detail17trampoline_kernelINS0_14default_configENS1_20scan_config_selectorIfEEZZNS1_9scan_implILNS1_25lookback_scan_determinismE0ELb0ELb0ES3_N6thrust23THRUST_200600_302600_NS6detail15normal_iteratorINS9_10device_ptrIfEEEESE_f11max_functorIfEfEEDaPvRmT3_T4_T5_mT6_P12ihipStream_tbENKUlT_T0_E_clISt17integral_constantIbLb0EEST_IbLb1EEEEDaSP_SQ_EUlSP_E_NS1_11comp_targetILNS1_3genE3ELNS1_11target_archE908ELNS1_3gpuE7ELNS1_3repE0EEENS1_30default_config_static_selectorELNS0_4arch9wavefront6targetE1EEEvT1_
; %bb.0:
	.section	.rodata,"a",@progbits
	.p2align	6, 0x0
	.amdhsa_kernel _ZN7rocprim17ROCPRIM_400000_NS6detail17trampoline_kernelINS0_14default_configENS1_20scan_config_selectorIfEEZZNS1_9scan_implILNS1_25lookback_scan_determinismE0ELb0ELb0ES3_N6thrust23THRUST_200600_302600_NS6detail15normal_iteratorINS9_10device_ptrIfEEEESE_f11max_functorIfEfEEDaPvRmT3_T4_T5_mT6_P12ihipStream_tbENKUlT_T0_E_clISt17integral_constantIbLb0EEST_IbLb1EEEEDaSP_SQ_EUlSP_E_NS1_11comp_targetILNS1_3genE3ELNS1_11target_archE908ELNS1_3gpuE7ELNS1_3repE0EEENS1_30default_config_static_selectorELNS0_4arch9wavefront6targetE1EEEvT1_
		.amdhsa_group_segment_fixed_size 0
		.amdhsa_private_segment_fixed_size 0
		.amdhsa_kernarg_size 96
		.amdhsa_user_sgpr_count 6
		.amdhsa_user_sgpr_private_segment_buffer 1
		.amdhsa_user_sgpr_dispatch_ptr 0
		.amdhsa_user_sgpr_queue_ptr 0
		.amdhsa_user_sgpr_kernarg_segment_ptr 1
		.amdhsa_user_sgpr_dispatch_id 0
		.amdhsa_user_sgpr_flat_scratch_init 0
		.amdhsa_user_sgpr_kernarg_preload_length 0
		.amdhsa_user_sgpr_kernarg_preload_offset 0
		.amdhsa_user_sgpr_private_segment_size 0
		.amdhsa_uses_dynamic_stack 0
		.amdhsa_system_sgpr_private_segment_wavefront_offset 0
		.amdhsa_system_sgpr_workgroup_id_x 1
		.amdhsa_system_sgpr_workgroup_id_y 0
		.amdhsa_system_sgpr_workgroup_id_z 0
		.amdhsa_system_sgpr_workgroup_info 0
		.amdhsa_system_vgpr_workitem_id 0
		.amdhsa_next_free_vgpr 1
		.amdhsa_next_free_sgpr 0
		.amdhsa_accum_offset 4
		.amdhsa_reserve_vcc 0
		.amdhsa_reserve_flat_scratch 0
		.amdhsa_float_round_mode_32 0
		.amdhsa_float_round_mode_16_64 0
		.amdhsa_float_denorm_mode_32 3
		.amdhsa_float_denorm_mode_16_64 3
		.amdhsa_dx10_clamp 1
		.amdhsa_ieee_mode 1
		.amdhsa_fp16_overflow 0
		.amdhsa_tg_split 0
		.amdhsa_exception_fp_ieee_invalid_op 0
		.amdhsa_exception_fp_denorm_src 0
		.amdhsa_exception_fp_ieee_div_zero 0
		.amdhsa_exception_fp_ieee_overflow 0
		.amdhsa_exception_fp_ieee_underflow 0
		.amdhsa_exception_fp_ieee_inexact 0
		.amdhsa_exception_int_div_zero 0
	.end_amdhsa_kernel
	.section	.text._ZN7rocprim17ROCPRIM_400000_NS6detail17trampoline_kernelINS0_14default_configENS1_20scan_config_selectorIfEEZZNS1_9scan_implILNS1_25lookback_scan_determinismE0ELb0ELb0ES3_N6thrust23THRUST_200600_302600_NS6detail15normal_iteratorINS9_10device_ptrIfEEEESE_f11max_functorIfEfEEDaPvRmT3_T4_T5_mT6_P12ihipStream_tbENKUlT_T0_E_clISt17integral_constantIbLb0EEST_IbLb1EEEEDaSP_SQ_EUlSP_E_NS1_11comp_targetILNS1_3genE3ELNS1_11target_archE908ELNS1_3gpuE7ELNS1_3repE0EEENS1_30default_config_static_selectorELNS0_4arch9wavefront6targetE1EEEvT1_,"axG",@progbits,_ZN7rocprim17ROCPRIM_400000_NS6detail17trampoline_kernelINS0_14default_configENS1_20scan_config_selectorIfEEZZNS1_9scan_implILNS1_25lookback_scan_determinismE0ELb0ELb0ES3_N6thrust23THRUST_200600_302600_NS6detail15normal_iteratorINS9_10device_ptrIfEEEESE_f11max_functorIfEfEEDaPvRmT3_T4_T5_mT6_P12ihipStream_tbENKUlT_T0_E_clISt17integral_constantIbLb0EEST_IbLb1EEEEDaSP_SQ_EUlSP_E_NS1_11comp_targetILNS1_3genE3ELNS1_11target_archE908ELNS1_3gpuE7ELNS1_3repE0EEENS1_30default_config_static_selectorELNS0_4arch9wavefront6targetE1EEEvT1_,comdat
.Lfunc_end2000:
	.size	_ZN7rocprim17ROCPRIM_400000_NS6detail17trampoline_kernelINS0_14default_configENS1_20scan_config_selectorIfEEZZNS1_9scan_implILNS1_25lookback_scan_determinismE0ELb0ELb0ES3_N6thrust23THRUST_200600_302600_NS6detail15normal_iteratorINS9_10device_ptrIfEEEESE_f11max_functorIfEfEEDaPvRmT3_T4_T5_mT6_P12ihipStream_tbENKUlT_T0_E_clISt17integral_constantIbLb0EEST_IbLb1EEEEDaSP_SQ_EUlSP_E_NS1_11comp_targetILNS1_3genE3ELNS1_11target_archE908ELNS1_3gpuE7ELNS1_3repE0EEENS1_30default_config_static_selectorELNS0_4arch9wavefront6targetE1EEEvT1_, .Lfunc_end2000-_ZN7rocprim17ROCPRIM_400000_NS6detail17trampoline_kernelINS0_14default_configENS1_20scan_config_selectorIfEEZZNS1_9scan_implILNS1_25lookback_scan_determinismE0ELb0ELb0ES3_N6thrust23THRUST_200600_302600_NS6detail15normal_iteratorINS9_10device_ptrIfEEEESE_f11max_functorIfEfEEDaPvRmT3_T4_T5_mT6_P12ihipStream_tbENKUlT_T0_E_clISt17integral_constantIbLb0EEST_IbLb1EEEEDaSP_SQ_EUlSP_E_NS1_11comp_targetILNS1_3genE3ELNS1_11target_archE908ELNS1_3gpuE7ELNS1_3repE0EEENS1_30default_config_static_selectorELNS0_4arch9wavefront6targetE1EEEvT1_
                                        ; -- End function
	.section	.AMDGPU.csdata,"",@progbits
; Kernel info:
; codeLenInByte = 0
; NumSgprs: 4
; NumVgprs: 0
; NumAgprs: 0
; TotalNumVgprs: 0
; ScratchSize: 0
; MemoryBound: 0
; FloatMode: 240
; IeeeMode: 1
; LDSByteSize: 0 bytes/workgroup (compile time only)
; SGPRBlocks: 0
; VGPRBlocks: 0
; NumSGPRsForWavesPerEU: 4
; NumVGPRsForWavesPerEU: 1
; AccumOffset: 4
; Occupancy: 8
; WaveLimiterHint : 0
; COMPUTE_PGM_RSRC2:SCRATCH_EN: 0
; COMPUTE_PGM_RSRC2:USER_SGPR: 6
; COMPUTE_PGM_RSRC2:TRAP_HANDLER: 0
; COMPUTE_PGM_RSRC2:TGID_X_EN: 1
; COMPUTE_PGM_RSRC2:TGID_Y_EN: 0
; COMPUTE_PGM_RSRC2:TGID_Z_EN: 0
; COMPUTE_PGM_RSRC2:TIDIG_COMP_CNT: 0
; COMPUTE_PGM_RSRC3_GFX90A:ACCUM_OFFSET: 0
; COMPUTE_PGM_RSRC3_GFX90A:TG_SPLIT: 0
	.section	.text._ZN7rocprim17ROCPRIM_400000_NS6detail17trampoline_kernelINS0_14default_configENS1_20scan_config_selectorIfEEZZNS1_9scan_implILNS1_25lookback_scan_determinismE0ELb0ELb0ES3_N6thrust23THRUST_200600_302600_NS6detail15normal_iteratorINS9_10device_ptrIfEEEESE_f11max_functorIfEfEEDaPvRmT3_T4_T5_mT6_P12ihipStream_tbENKUlT_T0_E_clISt17integral_constantIbLb0EEST_IbLb1EEEEDaSP_SQ_EUlSP_E_NS1_11comp_targetILNS1_3genE2ELNS1_11target_archE906ELNS1_3gpuE6ELNS1_3repE0EEENS1_30default_config_static_selectorELNS0_4arch9wavefront6targetE1EEEvT1_,"axG",@progbits,_ZN7rocprim17ROCPRIM_400000_NS6detail17trampoline_kernelINS0_14default_configENS1_20scan_config_selectorIfEEZZNS1_9scan_implILNS1_25lookback_scan_determinismE0ELb0ELb0ES3_N6thrust23THRUST_200600_302600_NS6detail15normal_iteratorINS9_10device_ptrIfEEEESE_f11max_functorIfEfEEDaPvRmT3_T4_T5_mT6_P12ihipStream_tbENKUlT_T0_E_clISt17integral_constantIbLb0EEST_IbLb1EEEEDaSP_SQ_EUlSP_E_NS1_11comp_targetILNS1_3genE2ELNS1_11target_archE906ELNS1_3gpuE6ELNS1_3repE0EEENS1_30default_config_static_selectorELNS0_4arch9wavefront6targetE1EEEvT1_,comdat
	.protected	_ZN7rocprim17ROCPRIM_400000_NS6detail17trampoline_kernelINS0_14default_configENS1_20scan_config_selectorIfEEZZNS1_9scan_implILNS1_25lookback_scan_determinismE0ELb0ELb0ES3_N6thrust23THRUST_200600_302600_NS6detail15normal_iteratorINS9_10device_ptrIfEEEESE_f11max_functorIfEfEEDaPvRmT3_T4_T5_mT6_P12ihipStream_tbENKUlT_T0_E_clISt17integral_constantIbLb0EEST_IbLb1EEEEDaSP_SQ_EUlSP_E_NS1_11comp_targetILNS1_3genE2ELNS1_11target_archE906ELNS1_3gpuE6ELNS1_3repE0EEENS1_30default_config_static_selectorELNS0_4arch9wavefront6targetE1EEEvT1_ ; -- Begin function _ZN7rocprim17ROCPRIM_400000_NS6detail17trampoline_kernelINS0_14default_configENS1_20scan_config_selectorIfEEZZNS1_9scan_implILNS1_25lookback_scan_determinismE0ELb0ELb0ES3_N6thrust23THRUST_200600_302600_NS6detail15normal_iteratorINS9_10device_ptrIfEEEESE_f11max_functorIfEfEEDaPvRmT3_T4_T5_mT6_P12ihipStream_tbENKUlT_T0_E_clISt17integral_constantIbLb0EEST_IbLb1EEEEDaSP_SQ_EUlSP_E_NS1_11comp_targetILNS1_3genE2ELNS1_11target_archE906ELNS1_3gpuE6ELNS1_3repE0EEENS1_30default_config_static_selectorELNS0_4arch9wavefront6targetE1EEEvT1_
	.globl	_ZN7rocprim17ROCPRIM_400000_NS6detail17trampoline_kernelINS0_14default_configENS1_20scan_config_selectorIfEEZZNS1_9scan_implILNS1_25lookback_scan_determinismE0ELb0ELb0ES3_N6thrust23THRUST_200600_302600_NS6detail15normal_iteratorINS9_10device_ptrIfEEEESE_f11max_functorIfEfEEDaPvRmT3_T4_T5_mT6_P12ihipStream_tbENKUlT_T0_E_clISt17integral_constantIbLb0EEST_IbLb1EEEEDaSP_SQ_EUlSP_E_NS1_11comp_targetILNS1_3genE2ELNS1_11target_archE906ELNS1_3gpuE6ELNS1_3repE0EEENS1_30default_config_static_selectorELNS0_4arch9wavefront6targetE1EEEvT1_
	.p2align	8
	.type	_ZN7rocprim17ROCPRIM_400000_NS6detail17trampoline_kernelINS0_14default_configENS1_20scan_config_selectorIfEEZZNS1_9scan_implILNS1_25lookback_scan_determinismE0ELb0ELb0ES3_N6thrust23THRUST_200600_302600_NS6detail15normal_iteratorINS9_10device_ptrIfEEEESE_f11max_functorIfEfEEDaPvRmT3_T4_T5_mT6_P12ihipStream_tbENKUlT_T0_E_clISt17integral_constantIbLb0EEST_IbLb1EEEEDaSP_SQ_EUlSP_E_NS1_11comp_targetILNS1_3genE2ELNS1_11target_archE906ELNS1_3gpuE6ELNS1_3repE0EEENS1_30default_config_static_selectorELNS0_4arch9wavefront6targetE1EEEvT1_,@function
_ZN7rocprim17ROCPRIM_400000_NS6detail17trampoline_kernelINS0_14default_configENS1_20scan_config_selectorIfEEZZNS1_9scan_implILNS1_25lookback_scan_determinismE0ELb0ELb0ES3_N6thrust23THRUST_200600_302600_NS6detail15normal_iteratorINS9_10device_ptrIfEEEESE_f11max_functorIfEfEEDaPvRmT3_T4_T5_mT6_P12ihipStream_tbENKUlT_T0_E_clISt17integral_constantIbLb0EEST_IbLb1EEEEDaSP_SQ_EUlSP_E_NS1_11comp_targetILNS1_3genE2ELNS1_11target_archE906ELNS1_3gpuE6ELNS1_3repE0EEENS1_30default_config_static_selectorELNS0_4arch9wavefront6targetE1EEEvT1_: ; @_ZN7rocprim17ROCPRIM_400000_NS6detail17trampoline_kernelINS0_14default_configENS1_20scan_config_selectorIfEEZZNS1_9scan_implILNS1_25lookback_scan_determinismE0ELb0ELb0ES3_N6thrust23THRUST_200600_302600_NS6detail15normal_iteratorINS9_10device_ptrIfEEEESE_f11max_functorIfEfEEDaPvRmT3_T4_T5_mT6_P12ihipStream_tbENKUlT_T0_E_clISt17integral_constantIbLb0EEST_IbLb1EEEEDaSP_SQ_EUlSP_E_NS1_11comp_targetILNS1_3genE2ELNS1_11target_archE906ELNS1_3gpuE6ELNS1_3repE0EEENS1_30default_config_static_selectorELNS0_4arch9wavefront6targetE1EEEvT1_
; %bb.0:
	.section	.rodata,"a",@progbits
	.p2align	6, 0x0
	.amdhsa_kernel _ZN7rocprim17ROCPRIM_400000_NS6detail17trampoline_kernelINS0_14default_configENS1_20scan_config_selectorIfEEZZNS1_9scan_implILNS1_25lookback_scan_determinismE0ELb0ELb0ES3_N6thrust23THRUST_200600_302600_NS6detail15normal_iteratorINS9_10device_ptrIfEEEESE_f11max_functorIfEfEEDaPvRmT3_T4_T5_mT6_P12ihipStream_tbENKUlT_T0_E_clISt17integral_constantIbLb0EEST_IbLb1EEEEDaSP_SQ_EUlSP_E_NS1_11comp_targetILNS1_3genE2ELNS1_11target_archE906ELNS1_3gpuE6ELNS1_3repE0EEENS1_30default_config_static_selectorELNS0_4arch9wavefront6targetE1EEEvT1_
		.amdhsa_group_segment_fixed_size 0
		.amdhsa_private_segment_fixed_size 0
		.amdhsa_kernarg_size 96
		.amdhsa_user_sgpr_count 6
		.amdhsa_user_sgpr_private_segment_buffer 1
		.amdhsa_user_sgpr_dispatch_ptr 0
		.amdhsa_user_sgpr_queue_ptr 0
		.amdhsa_user_sgpr_kernarg_segment_ptr 1
		.amdhsa_user_sgpr_dispatch_id 0
		.amdhsa_user_sgpr_flat_scratch_init 0
		.amdhsa_user_sgpr_kernarg_preload_length 0
		.amdhsa_user_sgpr_kernarg_preload_offset 0
		.amdhsa_user_sgpr_private_segment_size 0
		.amdhsa_uses_dynamic_stack 0
		.amdhsa_system_sgpr_private_segment_wavefront_offset 0
		.amdhsa_system_sgpr_workgroup_id_x 1
		.amdhsa_system_sgpr_workgroup_id_y 0
		.amdhsa_system_sgpr_workgroup_id_z 0
		.amdhsa_system_sgpr_workgroup_info 0
		.amdhsa_system_vgpr_workitem_id 0
		.amdhsa_next_free_vgpr 1
		.amdhsa_next_free_sgpr 0
		.amdhsa_accum_offset 4
		.amdhsa_reserve_vcc 0
		.amdhsa_reserve_flat_scratch 0
		.amdhsa_float_round_mode_32 0
		.amdhsa_float_round_mode_16_64 0
		.amdhsa_float_denorm_mode_32 3
		.amdhsa_float_denorm_mode_16_64 3
		.amdhsa_dx10_clamp 1
		.amdhsa_ieee_mode 1
		.amdhsa_fp16_overflow 0
		.amdhsa_tg_split 0
		.amdhsa_exception_fp_ieee_invalid_op 0
		.amdhsa_exception_fp_denorm_src 0
		.amdhsa_exception_fp_ieee_div_zero 0
		.amdhsa_exception_fp_ieee_overflow 0
		.amdhsa_exception_fp_ieee_underflow 0
		.amdhsa_exception_fp_ieee_inexact 0
		.amdhsa_exception_int_div_zero 0
	.end_amdhsa_kernel
	.section	.text._ZN7rocprim17ROCPRIM_400000_NS6detail17trampoline_kernelINS0_14default_configENS1_20scan_config_selectorIfEEZZNS1_9scan_implILNS1_25lookback_scan_determinismE0ELb0ELb0ES3_N6thrust23THRUST_200600_302600_NS6detail15normal_iteratorINS9_10device_ptrIfEEEESE_f11max_functorIfEfEEDaPvRmT3_T4_T5_mT6_P12ihipStream_tbENKUlT_T0_E_clISt17integral_constantIbLb0EEST_IbLb1EEEEDaSP_SQ_EUlSP_E_NS1_11comp_targetILNS1_3genE2ELNS1_11target_archE906ELNS1_3gpuE6ELNS1_3repE0EEENS1_30default_config_static_selectorELNS0_4arch9wavefront6targetE1EEEvT1_,"axG",@progbits,_ZN7rocprim17ROCPRIM_400000_NS6detail17trampoline_kernelINS0_14default_configENS1_20scan_config_selectorIfEEZZNS1_9scan_implILNS1_25lookback_scan_determinismE0ELb0ELb0ES3_N6thrust23THRUST_200600_302600_NS6detail15normal_iteratorINS9_10device_ptrIfEEEESE_f11max_functorIfEfEEDaPvRmT3_T4_T5_mT6_P12ihipStream_tbENKUlT_T0_E_clISt17integral_constantIbLb0EEST_IbLb1EEEEDaSP_SQ_EUlSP_E_NS1_11comp_targetILNS1_3genE2ELNS1_11target_archE906ELNS1_3gpuE6ELNS1_3repE0EEENS1_30default_config_static_selectorELNS0_4arch9wavefront6targetE1EEEvT1_,comdat
.Lfunc_end2001:
	.size	_ZN7rocprim17ROCPRIM_400000_NS6detail17trampoline_kernelINS0_14default_configENS1_20scan_config_selectorIfEEZZNS1_9scan_implILNS1_25lookback_scan_determinismE0ELb0ELb0ES3_N6thrust23THRUST_200600_302600_NS6detail15normal_iteratorINS9_10device_ptrIfEEEESE_f11max_functorIfEfEEDaPvRmT3_T4_T5_mT6_P12ihipStream_tbENKUlT_T0_E_clISt17integral_constantIbLb0EEST_IbLb1EEEEDaSP_SQ_EUlSP_E_NS1_11comp_targetILNS1_3genE2ELNS1_11target_archE906ELNS1_3gpuE6ELNS1_3repE0EEENS1_30default_config_static_selectorELNS0_4arch9wavefront6targetE1EEEvT1_, .Lfunc_end2001-_ZN7rocprim17ROCPRIM_400000_NS6detail17trampoline_kernelINS0_14default_configENS1_20scan_config_selectorIfEEZZNS1_9scan_implILNS1_25lookback_scan_determinismE0ELb0ELb0ES3_N6thrust23THRUST_200600_302600_NS6detail15normal_iteratorINS9_10device_ptrIfEEEESE_f11max_functorIfEfEEDaPvRmT3_T4_T5_mT6_P12ihipStream_tbENKUlT_T0_E_clISt17integral_constantIbLb0EEST_IbLb1EEEEDaSP_SQ_EUlSP_E_NS1_11comp_targetILNS1_3genE2ELNS1_11target_archE906ELNS1_3gpuE6ELNS1_3repE0EEENS1_30default_config_static_selectorELNS0_4arch9wavefront6targetE1EEEvT1_
                                        ; -- End function
	.section	.AMDGPU.csdata,"",@progbits
; Kernel info:
; codeLenInByte = 0
; NumSgprs: 4
; NumVgprs: 0
; NumAgprs: 0
; TotalNumVgprs: 0
; ScratchSize: 0
; MemoryBound: 0
; FloatMode: 240
; IeeeMode: 1
; LDSByteSize: 0 bytes/workgroup (compile time only)
; SGPRBlocks: 0
; VGPRBlocks: 0
; NumSGPRsForWavesPerEU: 4
; NumVGPRsForWavesPerEU: 1
; AccumOffset: 4
; Occupancy: 8
; WaveLimiterHint : 0
; COMPUTE_PGM_RSRC2:SCRATCH_EN: 0
; COMPUTE_PGM_RSRC2:USER_SGPR: 6
; COMPUTE_PGM_RSRC2:TRAP_HANDLER: 0
; COMPUTE_PGM_RSRC2:TGID_X_EN: 1
; COMPUTE_PGM_RSRC2:TGID_Y_EN: 0
; COMPUTE_PGM_RSRC2:TGID_Z_EN: 0
; COMPUTE_PGM_RSRC2:TIDIG_COMP_CNT: 0
; COMPUTE_PGM_RSRC3_GFX90A:ACCUM_OFFSET: 0
; COMPUTE_PGM_RSRC3_GFX90A:TG_SPLIT: 0
	.section	.text._ZN7rocprim17ROCPRIM_400000_NS6detail17trampoline_kernelINS0_14default_configENS1_20scan_config_selectorIfEEZZNS1_9scan_implILNS1_25lookback_scan_determinismE0ELb0ELb0ES3_N6thrust23THRUST_200600_302600_NS6detail15normal_iteratorINS9_10device_ptrIfEEEESE_f11max_functorIfEfEEDaPvRmT3_T4_T5_mT6_P12ihipStream_tbENKUlT_T0_E_clISt17integral_constantIbLb0EEST_IbLb1EEEEDaSP_SQ_EUlSP_E_NS1_11comp_targetILNS1_3genE10ELNS1_11target_archE1201ELNS1_3gpuE5ELNS1_3repE0EEENS1_30default_config_static_selectorELNS0_4arch9wavefront6targetE1EEEvT1_,"axG",@progbits,_ZN7rocprim17ROCPRIM_400000_NS6detail17trampoline_kernelINS0_14default_configENS1_20scan_config_selectorIfEEZZNS1_9scan_implILNS1_25lookback_scan_determinismE0ELb0ELb0ES3_N6thrust23THRUST_200600_302600_NS6detail15normal_iteratorINS9_10device_ptrIfEEEESE_f11max_functorIfEfEEDaPvRmT3_T4_T5_mT6_P12ihipStream_tbENKUlT_T0_E_clISt17integral_constantIbLb0EEST_IbLb1EEEEDaSP_SQ_EUlSP_E_NS1_11comp_targetILNS1_3genE10ELNS1_11target_archE1201ELNS1_3gpuE5ELNS1_3repE0EEENS1_30default_config_static_selectorELNS0_4arch9wavefront6targetE1EEEvT1_,comdat
	.protected	_ZN7rocprim17ROCPRIM_400000_NS6detail17trampoline_kernelINS0_14default_configENS1_20scan_config_selectorIfEEZZNS1_9scan_implILNS1_25lookback_scan_determinismE0ELb0ELb0ES3_N6thrust23THRUST_200600_302600_NS6detail15normal_iteratorINS9_10device_ptrIfEEEESE_f11max_functorIfEfEEDaPvRmT3_T4_T5_mT6_P12ihipStream_tbENKUlT_T0_E_clISt17integral_constantIbLb0EEST_IbLb1EEEEDaSP_SQ_EUlSP_E_NS1_11comp_targetILNS1_3genE10ELNS1_11target_archE1201ELNS1_3gpuE5ELNS1_3repE0EEENS1_30default_config_static_selectorELNS0_4arch9wavefront6targetE1EEEvT1_ ; -- Begin function _ZN7rocprim17ROCPRIM_400000_NS6detail17trampoline_kernelINS0_14default_configENS1_20scan_config_selectorIfEEZZNS1_9scan_implILNS1_25lookback_scan_determinismE0ELb0ELb0ES3_N6thrust23THRUST_200600_302600_NS6detail15normal_iteratorINS9_10device_ptrIfEEEESE_f11max_functorIfEfEEDaPvRmT3_T4_T5_mT6_P12ihipStream_tbENKUlT_T0_E_clISt17integral_constantIbLb0EEST_IbLb1EEEEDaSP_SQ_EUlSP_E_NS1_11comp_targetILNS1_3genE10ELNS1_11target_archE1201ELNS1_3gpuE5ELNS1_3repE0EEENS1_30default_config_static_selectorELNS0_4arch9wavefront6targetE1EEEvT1_
	.globl	_ZN7rocprim17ROCPRIM_400000_NS6detail17trampoline_kernelINS0_14default_configENS1_20scan_config_selectorIfEEZZNS1_9scan_implILNS1_25lookback_scan_determinismE0ELb0ELb0ES3_N6thrust23THRUST_200600_302600_NS6detail15normal_iteratorINS9_10device_ptrIfEEEESE_f11max_functorIfEfEEDaPvRmT3_T4_T5_mT6_P12ihipStream_tbENKUlT_T0_E_clISt17integral_constantIbLb0EEST_IbLb1EEEEDaSP_SQ_EUlSP_E_NS1_11comp_targetILNS1_3genE10ELNS1_11target_archE1201ELNS1_3gpuE5ELNS1_3repE0EEENS1_30default_config_static_selectorELNS0_4arch9wavefront6targetE1EEEvT1_
	.p2align	8
	.type	_ZN7rocprim17ROCPRIM_400000_NS6detail17trampoline_kernelINS0_14default_configENS1_20scan_config_selectorIfEEZZNS1_9scan_implILNS1_25lookback_scan_determinismE0ELb0ELb0ES3_N6thrust23THRUST_200600_302600_NS6detail15normal_iteratorINS9_10device_ptrIfEEEESE_f11max_functorIfEfEEDaPvRmT3_T4_T5_mT6_P12ihipStream_tbENKUlT_T0_E_clISt17integral_constantIbLb0EEST_IbLb1EEEEDaSP_SQ_EUlSP_E_NS1_11comp_targetILNS1_3genE10ELNS1_11target_archE1201ELNS1_3gpuE5ELNS1_3repE0EEENS1_30default_config_static_selectorELNS0_4arch9wavefront6targetE1EEEvT1_,@function
_ZN7rocprim17ROCPRIM_400000_NS6detail17trampoline_kernelINS0_14default_configENS1_20scan_config_selectorIfEEZZNS1_9scan_implILNS1_25lookback_scan_determinismE0ELb0ELb0ES3_N6thrust23THRUST_200600_302600_NS6detail15normal_iteratorINS9_10device_ptrIfEEEESE_f11max_functorIfEfEEDaPvRmT3_T4_T5_mT6_P12ihipStream_tbENKUlT_T0_E_clISt17integral_constantIbLb0EEST_IbLb1EEEEDaSP_SQ_EUlSP_E_NS1_11comp_targetILNS1_3genE10ELNS1_11target_archE1201ELNS1_3gpuE5ELNS1_3repE0EEENS1_30default_config_static_selectorELNS0_4arch9wavefront6targetE1EEEvT1_: ; @_ZN7rocprim17ROCPRIM_400000_NS6detail17trampoline_kernelINS0_14default_configENS1_20scan_config_selectorIfEEZZNS1_9scan_implILNS1_25lookback_scan_determinismE0ELb0ELb0ES3_N6thrust23THRUST_200600_302600_NS6detail15normal_iteratorINS9_10device_ptrIfEEEESE_f11max_functorIfEfEEDaPvRmT3_T4_T5_mT6_P12ihipStream_tbENKUlT_T0_E_clISt17integral_constantIbLb0EEST_IbLb1EEEEDaSP_SQ_EUlSP_E_NS1_11comp_targetILNS1_3genE10ELNS1_11target_archE1201ELNS1_3gpuE5ELNS1_3repE0EEENS1_30default_config_static_selectorELNS0_4arch9wavefront6targetE1EEEvT1_
; %bb.0:
	.section	.rodata,"a",@progbits
	.p2align	6, 0x0
	.amdhsa_kernel _ZN7rocprim17ROCPRIM_400000_NS6detail17trampoline_kernelINS0_14default_configENS1_20scan_config_selectorIfEEZZNS1_9scan_implILNS1_25lookback_scan_determinismE0ELb0ELb0ES3_N6thrust23THRUST_200600_302600_NS6detail15normal_iteratorINS9_10device_ptrIfEEEESE_f11max_functorIfEfEEDaPvRmT3_T4_T5_mT6_P12ihipStream_tbENKUlT_T0_E_clISt17integral_constantIbLb0EEST_IbLb1EEEEDaSP_SQ_EUlSP_E_NS1_11comp_targetILNS1_3genE10ELNS1_11target_archE1201ELNS1_3gpuE5ELNS1_3repE0EEENS1_30default_config_static_selectorELNS0_4arch9wavefront6targetE1EEEvT1_
		.amdhsa_group_segment_fixed_size 0
		.amdhsa_private_segment_fixed_size 0
		.amdhsa_kernarg_size 96
		.amdhsa_user_sgpr_count 6
		.amdhsa_user_sgpr_private_segment_buffer 1
		.amdhsa_user_sgpr_dispatch_ptr 0
		.amdhsa_user_sgpr_queue_ptr 0
		.amdhsa_user_sgpr_kernarg_segment_ptr 1
		.amdhsa_user_sgpr_dispatch_id 0
		.amdhsa_user_sgpr_flat_scratch_init 0
		.amdhsa_user_sgpr_kernarg_preload_length 0
		.amdhsa_user_sgpr_kernarg_preload_offset 0
		.amdhsa_user_sgpr_private_segment_size 0
		.amdhsa_uses_dynamic_stack 0
		.amdhsa_system_sgpr_private_segment_wavefront_offset 0
		.amdhsa_system_sgpr_workgroup_id_x 1
		.amdhsa_system_sgpr_workgroup_id_y 0
		.amdhsa_system_sgpr_workgroup_id_z 0
		.amdhsa_system_sgpr_workgroup_info 0
		.amdhsa_system_vgpr_workitem_id 0
		.amdhsa_next_free_vgpr 1
		.amdhsa_next_free_sgpr 0
		.amdhsa_accum_offset 4
		.amdhsa_reserve_vcc 0
		.amdhsa_reserve_flat_scratch 0
		.amdhsa_float_round_mode_32 0
		.amdhsa_float_round_mode_16_64 0
		.amdhsa_float_denorm_mode_32 3
		.amdhsa_float_denorm_mode_16_64 3
		.amdhsa_dx10_clamp 1
		.amdhsa_ieee_mode 1
		.amdhsa_fp16_overflow 0
		.amdhsa_tg_split 0
		.amdhsa_exception_fp_ieee_invalid_op 0
		.amdhsa_exception_fp_denorm_src 0
		.amdhsa_exception_fp_ieee_div_zero 0
		.amdhsa_exception_fp_ieee_overflow 0
		.amdhsa_exception_fp_ieee_underflow 0
		.amdhsa_exception_fp_ieee_inexact 0
		.amdhsa_exception_int_div_zero 0
	.end_amdhsa_kernel
	.section	.text._ZN7rocprim17ROCPRIM_400000_NS6detail17trampoline_kernelINS0_14default_configENS1_20scan_config_selectorIfEEZZNS1_9scan_implILNS1_25lookback_scan_determinismE0ELb0ELb0ES3_N6thrust23THRUST_200600_302600_NS6detail15normal_iteratorINS9_10device_ptrIfEEEESE_f11max_functorIfEfEEDaPvRmT3_T4_T5_mT6_P12ihipStream_tbENKUlT_T0_E_clISt17integral_constantIbLb0EEST_IbLb1EEEEDaSP_SQ_EUlSP_E_NS1_11comp_targetILNS1_3genE10ELNS1_11target_archE1201ELNS1_3gpuE5ELNS1_3repE0EEENS1_30default_config_static_selectorELNS0_4arch9wavefront6targetE1EEEvT1_,"axG",@progbits,_ZN7rocprim17ROCPRIM_400000_NS6detail17trampoline_kernelINS0_14default_configENS1_20scan_config_selectorIfEEZZNS1_9scan_implILNS1_25lookback_scan_determinismE0ELb0ELb0ES3_N6thrust23THRUST_200600_302600_NS6detail15normal_iteratorINS9_10device_ptrIfEEEESE_f11max_functorIfEfEEDaPvRmT3_T4_T5_mT6_P12ihipStream_tbENKUlT_T0_E_clISt17integral_constantIbLb0EEST_IbLb1EEEEDaSP_SQ_EUlSP_E_NS1_11comp_targetILNS1_3genE10ELNS1_11target_archE1201ELNS1_3gpuE5ELNS1_3repE0EEENS1_30default_config_static_selectorELNS0_4arch9wavefront6targetE1EEEvT1_,comdat
.Lfunc_end2002:
	.size	_ZN7rocprim17ROCPRIM_400000_NS6detail17trampoline_kernelINS0_14default_configENS1_20scan_config_selectorIfEEZZNS1_9scan_implILNS1_25lookback_scan_determinismE0ELb0ELb0ES3_N6thrust23THRUST_200600_302600_NS6detail15normal_iteratorINS9_10device_ptrIfEEEESE_f11max_functorIfEfEEDaPvRmT3_T4_T5_mT6_P12ihipStream_tbENKUlT_T0_E_clISt17integral_constantIbLb0EEST_IbLb1EEEEDaSP_SQ_EUlSP_E_NS1_11comp_targetILNS1_3genE10ELNS1_11target_archE1201ELNS1_3gpuE5ELNS1_3repE0EEENS1_30default_config_static_selectorELNS0_4arch9wavefront6targetE1EEEvT1_, .Lfunc_end2002-_ZN7rocprim17ROCPRIM_400000_NS6detail17trampoline_kernelINS0_14default_configENS1_20scan_config_selectorIfEEZZNS1_9scan_implILNS1_25lookback_scan_determinismE0ELb0ELb0ES3_N6thrust23THRUST_200600_302600_NS6detail15normal_iteratorINS9_10device_ptrIfEEEESE_f11max_functorIfEfEEDaPvRmT3_T4_T5_mT6_P12ihipStream_tbENKUlT_T0_E_clISt17integral_constantIbLb0EEST_IbLb1EEEEDaSP_SQ_EUlSP_E_NS1_11comp_targetILNS1_3genE10ELNS1_11target_archE1201ELNS1_3gpuE5ELNS1_3repE0EEENS1_30default_config_static_selectorELNS0_4arch9wavefront6targetE1EEEvT1_
                                        ; -- End function
	.section	.AMDGPU.csdata,"",@progbits
; Kernel info:
; codeLenInByte = 0
; NumSgprs: 4
; NumVgprs: 0
; NumAgprs: 0
; TotalNumVgprs: 0
; ScratchSize: 0
; MemoryBound: 0
; FloatMode: 240
; IeeeMode: 1
; LDSByteSize: 0 bytes/workgroup (compile time only)
; SGPRBlocks: 0
; VGPRBlocks: 0
; NumSGPRsForWavesPerEU: 4
; NumVGPRsForWavesPerEU: 1
; AccumOffset: 4
; Occupancy: 8
; WaveLimiterHint : 0
; COMPUTE_PGM_RSRC2:SCRATCH_EN: 0
; COMPUTE_PGM_RSRC2:USER_SGPR: 6
; COMPUTE_PGM_RSRC2:TRAP_HANDLER: 0
; COMPUTE_PGM_RSRC2:TGID_X_EN: 1
; COMPUTE_PGM_RSRC2:TGID_Y_EN: 0
; COMPUTE_PGM_RSRC2:TGID_Z_EN: 0
; COMPUTE_PGM_RSRC2:TIDIG_COMP_CNT: 0
; COMPUTE_PGM_RSRC3_GFX90A:ACCUM_OFFSET: 0
; COMPUTE_PGM_RSRC3_GFX90A:TG_SPLIT: 0
	.section	.text._ZN7rocprim17ROCPRIM_400000_NS6detail17trampoline_kernelINS0_14default_configENS1_20scan_config_selectorIfEEZZNS1_9scan_implILNS1_25lookback_scan_determinismE0ELb0ELb0ES3_N6thrust23THRUST_200600_302600_NS6detail15normal_iteratorINS9_10device_ptrIfEEEESE_f11max_functorIfEfEEDaPvRmT3_T4_T5_mT6_P12ihipStream_tbENKUlT_T0_E_clISt17integral_constantIbLb0EEST_IbLb1EEEEDaSP_SQ_EUlSP_E_NS1_11comp_targetILNS1_3genE10ELNS1_11target_archE1200ELNS1_3gpuE4ELNS1_3repE0EEENS1_30default_config_static_selectorELNS0_4arch9wavefront6targetE1EEEvT1_,"axG",@progbits,_ZN7rocprim17ROCPRIM_400000_NS6detail17trampoline_kernelINS0_14default_configENS1_20scan_config_selectorIfEEZZNS1_9scan_implILNS1_25lookback_scan_determinismE0ELb0ELb0ES3_N6thrust23THRUST_200600_302600_NS6detail15normal_iteratorINS9_10device_ptrIfEEEESE_f11max_functorIfEfEEDaPvRmT3_T4_T5_mT6_P12ihipStream_tbENKUlT_T0_E_clISt17integral_constantIbLb0EEST_IbLb1EEEEDaSP_SQ_EUlSP_E_NS1_11comp_targetILNS1_3genE10ELNS1_11target_archE1200ELNS1_3gpuE4ELNS1_3repE0EEENS1_30default_config_static_selectorELNS0_4arch9wavefront6targetE1EEEvT1_,comdat
	.protected	_ZN7rocprim17ROCPRIM_400000_NS6detail17trampoline_kernelINS0_14default_configENS1_20scan_config_selectorIfEEZZNS1_9scan_implILNS1_25lookback_scan_determinismE0ELb0ELb0ES3_N6thrust23THRUST_200600_302600_NS6detail15normal_iteratorINS9_10device_ptrIfEEEESE_f11max_functorIfEfEEDaPvRmT3_T4_T5_mT6_P12ihipStream_tbENKUlT_T0_E_clISt17integral_constantIbLb0EEST_IbLb1EEEEDaSP_SQ_EUlSP_E_NS1_11comp_targetILNS1_3genE10ELNS1_11target_archE1200ELNS1_3gpuE4ELNS1_3repE0EEENS1_30default_config_static_selectorELNS0_4arch9wavefront6targetE1EEEvT1_ ; -- Begin function _ZN7rocprim17ROCPRIM_400000_NS6detail17trampoline_kernelINS0_14default_configENS1_20scan_config_selectorIfEEZZNS1_9scan_implILNS1_25lookback_scan_determinismE0ELb0ELb0ES3_N6thrust23THRUST_200600_302600_NS6detail15normal_iteratorINS9_10device_ptrIfEEEESE_f11max_functorIfEfEEDaPvRmT3_T4_T5_mT6_P12ihipStream_tbENKUlT_T0_E_clISt17integral_constantIbLb0EEST_IbLb1EEEEDaSP_SQ_EUlSP_E_NS1_11comp_targetILNS1_3genE10ELNS1_11target_archE1200ELNS1_3gpuE4ELNS1_3repE0EEENS1_30default_config_static_selectorELNS0_4arch9wavefront6targetE1EEEvT1_
	.globl	_ZN7rocprim17ROCPRIM_400000_NS6detail17trampoline_kernelINS0_14default_configENS1_20scan_config_selectorIfEEZZNS1_9scan_implILNS1_25lookback_scan_determinismE0ELb0ELb0ES3_N6thrust23THRUST_200600_302600_NS6detail15normal_iteratorINS9_10device_ptrIfEEEESE_f11max_functorIfEfEEDaPvRmT3_T4_T5_mT6_P12ihipStream_tbENKUlT_T0_E_clISt17integral_constantIbLb0EEST_IbLb1EEEEDaSP_SQ_EUlSP_E_NS1_11comp_targetILNS1_3genE10ELNS1_11target_archE1200ELNS1_3gpuE4ELNS1_3repE0EEENS1_30default_config_static_selectorELNS0_4arch9wavefront6targetE1EEEvT1_
	.p2align	8
	.type	_ZN7rocprim17ROCPRIM_400000_NS6detail17trampoline_kernelINS0_14default_configENS1_20scan_config_selectorIfEEZZNS1_9scan_implILNS1_25lookback_scan_determinismE0ELb0ELb0ES3_N6thrust23THRUST_200600_302600_NS6detail15normal_iteratorINS9_10device_ptrIfEEEESE_f11max_functorIfEfEEDaPvRmT3_T4_T5_mT6_P12ihipStream_tbENKUlT_T0_E_clISt17integral_constantIbLb0EEST_IbLb1EEEEDaSP_SQ_EUlSP_E_NS1_11comp_targetILNS1_3genE10ELNS1_11target_archE1200ELNS1_3gpuE4ELNS1_3repE0EEENS1_30default_config_static_selectorELNS0_4arch9wavefront6targetE1EEEvT1_,@function
_ZN7rocprim17ROCPRIM_400000_NS6detail17trampoline_kernelINS0_14default_configENS1_20scan_config_selectorIfEEZZNS1_9scan_implILNS1_25lookback_scan_determinismE0ELb0ELb0ES3_N6thrust23THRUST_200600_302600_NS6detail15normal_iteratorINS9_10device_ptrIfEEEESE_f11max_functorIfEfEEDaPvRmT3_T4_T5_mT6_P12ihipStream_tbENKUlT_T0_E_clISt17integral_constantIbLb0EEST_IbLb1EEEEDaSP_SQ_EUlSP_E_NS1_11comp_targetILNS1_3genE10ELNS1_11target_archE1200ELNS1_3gpuE4ELNS1_3repE0EEENS1_30default_config_static_selectorELNS0_4arch9wavefront6targetE1EEEvT1_: ; @_ZN7rocprim17ROCPRIM_400000_NS6detail17trampoline_kernelINS0_14default_configENS1_20scan_config_selectorIfEEZZNS1_9scan_implILNS1_25lookback_scan_determinismE0ELb0ELb0ES3_N6thrust23THRUST_200600_302600_NS6detail15normal_iteratorINS9_10device_ptrIfEEEESE_f11max_functorIfEfEEDaPvRmT3_T4_T5_mT6_P12ihipStream_tbENKUlT_T0_E_clISt17integral_constantIbLb0EEST_IbLb1EEEEDaSP_SQ_EUlSP_E_NS1_11comp_targetILNS1_3genE10ELNS1_11target_archE1200ELNS1_3gpuE4ELNS1_3repE0EEENS1_30default_config_static_selectorELNS0_4arch9wavefront6targetE1EEEvT1_
; %bb.0:
	.section	.rodata,"a",@progbits
	.p2align	6, 0x0
	.amdhsa_kernel _ZN7rocprim17ROCPRIM_400000_NS6detail17trampoline_kernelINS0_14default_configENS1_20scan_config_selectorIfEEZZNS1_9scan_implILNS1_25lookback_scan_determinismE0ELb0ELb0ES3_N6thrust23THRUST_200600_302600_NS6detail15normal_iteratorINS9_10device_ptrIfEEEESE_f11max_functorIfEfEEDaPvRmT3_T4_T5_mT6_P12ihipStream_tbENKUlT_T0_E_clISt17integral_constantIbLb0EEST_IbLb1EEEEDaSP_SQ_EUlSP_E_NS1_11comp_targetILNS1_3genE10ELNS1_11target_archE1200ELNS1_3gpuE4ELNS1_3repE0EEENS1_30default_config_static_selectorELNS0_4arch9wavefront6targetE1EEEvT1_
		.amdhsa_group_segment_fixed_size 0
		.amdhsa_private_segment_fixed_size 0
		.amdhsa_kernarg_size 96
		.amdhsa_user_sgpr_count 6
		.amdhsa_user_sgpr_private_segment_buffer 1
		.amdhsa_user_sgpr_dispatch_ptr 0
		.amdhsa_user_sgpr_queue_ptr 0
		.amdhsa_user_sgpr_kernarg_segment_ptr 1
		.amdhsa_user_sgpr_dispatch_id 0
		.amdhsa_user_sgpr_flat_scratch_init 0
		.amdhsa_user_sgpr_kernarg_preload_length 0
		.amdhsa_user_sgpr_kernarg_preload_offset 0
		.amdhsa_user_sgpr_private_segment_size 0
		.amdhsa_uses_dynamic_stack 0
		.amdhsa_system_sgpr_private_segment_wavefront_offset 0
		.amdhsa_system_sgpr_workgroup_id_x 1
		.amdhsa_system_sgpr_workgroup_id_y 0
		.amdhsa_system_sgpr_workgroup_id_z 0
		.amdhsa_system_sgpr_workgroup_info 0
		.amdhsa_system_vgpr_workitem_id 0
		.amdhsa_next_free_vgpr 1
		.amdhsa_next_free_sgpr 0
		.amdhsa_accum_offset 4
		.amdhsa_reserve_vcc 0
		.amdhsa_reserve_flat_scratch 0
		.amdhsa_float_round_mode_32 0
		.amdhsa_float_round_mode_16_64 0
		.amdhsa_float_denorm_mode_32 3
		.amdhsa_float_denorm_mode_16_64 3
		.amdhsa_dx10_clamp 1
		.amdhsa_ieee_mode 1
		.amdhsa_fp16_overflow 0
		.amdhsa_tg_split 0
		.amdhsa_exception_fp_ieee_invalid_op 0
		.amdhsa_exception_fp_denorm_src 0
		.amdhsa_exception_fp_ieee_div_zero 0
		.amdhsa_exception_fp_ieee_overflow 0
		.amdhsa_exception_fp_ieee_underflow 0
		.amdhsa_exception_fp_ieee_inexact 0
		.amdhsa_exception_int_div_zero 0
	.end_amdhsa_kernel
	.section	.text._ZN7rocprim17ROCPRIM_400000_NS6detail17trampoline_kernelINS0_14default_configENS1_20scan_config_selectorIfEEZZNS1_9scan_implILNS1_25lookback_scan_determinismE0ELb0ELb0ES3_N6thrust23THRUST_200600_302600_NS6detail15normal_iteratorINS9_10device_ptrIfEEEESE_f11max_functorIfEfEEDaPvRmT3_T4_T5_mT6_P12ihipStream_tbENKUlT_T0_E_clISt17integral_constantIbLb0EEST_IbLb1EEEEDaSP_SQ_EUlSP_E_NS1_11comp_targetILNS1_3genE10ELNS1_11target_archE1200ELNS1_3gpuE4ELNS1_3repE0EEENS1_30default_config_static_selectorELNS0_4arch9wavefront6targetE1EEEvT1_,"axG",@progbits,_ZN7rocprim17ROCPRIM_400000_NS6detail17trampoline_kernelINS0_14default_configENS1_20scan_config_selectorIfEEZZNS1_9scan_implILNS1_25lookback_scan_determinismE0ELb0ELb0ES3_N6thrust23THRUST_200600_302600_NS6detail15normal_iteratorINS9_10device_ptrIfEEEESE_f11max_functorIfEfEEDaPvRmT3_T4_T5_mT6_P12ihipStream_tbENKUlT_T0_E_clISt17integral_constantIbLb0EEST_IbLb1EEEEDaSP_SQ_EUlSP_E_NS1_11comp_targetILNS1_3genE10ELNS1_11target_archE1200ELNS1_3gpuE4ELNS1_3repE0EEENS1_30default_config_static_selectorELNS0_4arch9wavefront6targetE1EEEvT1_,comdat
.Lfunc_end2003:
	.size	_ZN7rocprim17ROCPRIM_400000_NS6detail17trampoline_kernelINS0_14default_configENS1_20scan_config_selectorIfEEZZNS1_9scan_implILNS1_25lookback_scan_determinismE0ELb0ELb0ES3_N6thrust23THRUST_200600_302600_NS6detail15normal_iteratorINS9_10device_ptrIfEEEESE_f11max_functorIfEfEEDaPvRmT3_T4_T5_mT6_P12ihipStream_tbENKUlT_T0_E_clISt17integral_constantIbLb0EEST_IbLb1EEEEDaSP_SQ_EUlSP_E_NS1_11comp_targetILNS1_3genE10ELNS1_11target_archE1200ELNS1_3gpuE4ELNS1_3repE0EEENS1_30default_config_static_selectorELNS0_4arch9wavefront6targetE1EEEvT1_, .Lfunc_end2003-_ZN7rocprim17ROCPRIM_400000_NS6detail17trampoline_kernelINS0_14default_configENS1_20scan_config_selectorIfEEZZNS1_9scan_implILNS1_25lookback_scan_determinismE0ELb0ELb0ES3_N6thrust23THRUST_200600_302600_NS6detail15normal_iteratorINS9_10device_ptrIfEEEESE_f11max_functorIfEfEEDaPvRmT3_T4_T5_mT6_P12ihipStream_tbENKUlT_T0_E_clISt17integral_constantIbLb0EEST_IbLb1EEEEDaSP_SQ_EUlSP_E_NS1_11comp_targetILNS1_3genE10ELNS1_11target_archE1200ELNS1_3gpuE4ELNS1_3repE0EEENS1_30default_config_static_selectorELNS0_4arch9wavefront6targetE1EEEvT1_
                                        ; -- End function
	.section	.AMDGPU.csdata,"",@progbits
; Kernel info:
; codeLenInByte = 0
; NumSgprs: 4
; NumVgprs: 0
; NumAgprs: 0
; TotalNumVgprs: 0
; ScratchSize: 0
; MemoryBound: 0
; FloatMode: 240
; IeeeMode: 1
; LDSByteSize: 0 bytes/workgroup (compile time only)
; SGPRBlocks: 0
; VGPRBlocks: 0
; NumSGPRsForWavesPerEU: 4
; NumVGPRsForWavesPerEU: 1
; AccumOffset: 4
; Occupancy: 8
; WaveLimiterHint : 0
; COMPUTE_PGM_RSRC2:SCRATCH_EN: 0
; COMPUTE_PGM_RSRC2:USER_SGPR: 6
; COMPUTE_PGM_RSRC2:TRAP_HANDLER: 0
; COMPUTE_PGM_RSRC2:TGID_X_EN: 1
; COMPUTE_PGM_RSRC2:TGID_Y_EN: 0
; COMPUTE_PGM_RSRC2:TGID_Z_EN: 0
; COMPUTE_PGM_RSRC2:TIDIG_COMP_CNT: 0
; COMPUTE_PGM_RSRC3_GFX90A:ACCUM_OFFSET: 0
; COMPUTE_PGM_RSRC3_GFX90A:TG_SPLIT: 0
	.section	.text._ZN7rocprim17ROCPRIM_400000_NS6detail17trampoline_kernelINS0_14default_configENS1_20scan_config_selectorIfEEZZNS1_9scan_implILNS1_25lookback_scan_determinismE0ELb0ELb0ES3_N6thrust23THRUST_200600_302600_NS6detail15normal_iteratorINS9_10device_ptrIfEEEESE_f11max_functorIfEfEEDaPvRmT3_T4_T5_mT6_P12ihipStream_tbENKUlT_T0_E_clISt17integral_constantIbLb0EEST_IbLb1EEEEDaSP_SQ_EUlSP_E_NS1_11comp_targetILNS1_3genE9ELNS1_11target_archE1100ELNS1_3gpuE3ELNS1_3repE0EEENS1_30default_config_static_selectorELNS0_4arch9wavefront6targetE1EEEvT1_,"axG",@progbits,_ZN7rocprim17ROCPRIM_400000_NS6detail17trampoline_kernelINS0_14default_configENS1_20scan_config_selectorIfEEZZNS1_9scan_implILNS1_25lookback_scan_determinismE0ELb0ELb0ES3_N6thrust23THRUST_200600_302600_NS6detail15normal_iteratorINS9_10device_ptrIfEEEESE_f11max_functorIfEfEEDaPvRmT3_T4_T5_mT6_P12ihipStream_tbENKUlT_T0_E_clISt17integral_constantIbLb0EEST_IbLb1EEEEDaSP_SQ_EUlSP_E_NS1_11comp_targetILNS1_3genE9ELNS1_11target_archE1100ELNS1_3gpuE3ELNS1_3repE0EEENS1_30default_config_static_selectorELNS0_4arch9wavefront6targetE1EEEvT1_,comdat
	.protected	_ZN7rocprim17ROCPRIM_400000_NS6detail17trampoline_kernelINS0_14default_configENS1_20scan_config_selectorIfEEZZNS1_9scan_implILNS1_25lookback_scan_determinismE0ELb0ELb0ES3_N6thrust23THRUST_200600_302600_NS6detail15normal_iteratorINS9_10device_ptrIfEEEESE_f11max_functorIfEfEEDaPvRmT3_T4_T5_mT6_P12ihipStream_tbENKUlT_T0_E_clISt17integral_constantIbLb0EEST_IbLb1EEEEDaSP_SQ_EUlSP_E_NS1_11comp_targetILNS1_3genE9ELNS1_11target_archE1100ELNS1_3gpuE3ELNS1_3repE0EEENS1_30default_config_static_selectorELNS0_4arch9wavefront6targetE1EEEvT1_ ; -- Begin function _ZN7rocprim17ROCPRIM_400000_NS6detail17trampoline_kernelINS0_14default_configENS1_20scan_config_selectorIfEEZZNS1_9scan_implILNS1_25lookback_scan_determinismE0ELb0ELb0ES3_N6thrust23THRUST_200600_302600_NS6detail15normal_iteratorINS9_10device_ptrIfEEEESE_f11max_functorIfEfEEDaPvRmT3_T4_T5_mT6_P12ihipStream_tbENKUlT_T0_E_clISt17integral_constantIbLb0EEST_IbLb1EEEEDaSP_SQ_EUlSP_E_NS1_11comp_targetILNS1_3genE9ELNS1_11target_archE1100ELNS1_3gpuE3ELNS1_3repE0EEENS1_30default_config_static_selectorELNS0_4arch9wavefront6targetE1EEEvT1_
	.globl	_ZN7rocprim17ROCPRIM_400000_NS6detail17trampoline_kernelINS0_14default_configENS1_20scan_config_selectorIfEEZZNS1_9scan_implILNS1_25lookback_scan_determinismE0ELb0ELb0ES3_N6thrust23THRUST_200600_302600_NS6detail15normal_iteratorINS9_10device_ptrIfEEEESE_f11max_functorIfEfEEDaPvRmT3_T4_T5_mT6_P12ihipStream_tbENKUlT_T0_E_clISt17integral_constantIbLb0EEST_IbLb1EEEEDaSP_SQ_EUlSP_E_NS1_11comp_targetILNS1_3genE9ELNS1_11target_archE1100ELNS1_3gpuE3ELNS1_3repE0EEENS1_30default_config_static_selectorELNS0_4arch9wavefront6targetE1EEEvT1_
	.p2align	8
	.type	_ZN7rocprim17ROCPRIM_400000_NS6detail17trampoline_kernelINS0_14default_configENS1_20scan_config_selectorIfEEZZNS1_9scan_implILNS1_25lookback_scan_determinismE0ELb0ELb0ES3_N6thrust23THRUST_200600_302600_NS6detail15normal_iteratorINS9_10device_ptrIfEEEESE_f11max_functorIfEfEEDaPvRmT3_T4_T5_mT6_P12ihipStream_tbENKUlT_T0_E_clISt17integral_constantIbLb0EEST_IbLb1EEEEDaSP_SQ_EUlSP_E_NS1_11comp_targetILNS1_3genE9ELNS1_11target_archE1100ELNS1_3gpuE3ELNS1_3repE0EEENS1_30default_config_static_selectorELNS0_4arch9wavefront6targetE1EEEvT1_,@function
_ZN7rocprim17ROCPRIM_400000_NS6detail17trampoline_kernelINS0_14default_configENS1_20scan_config_selectorIfEEZZNS1_9scan_implILNS1_25lookback_scan_determinismE0ELb0ELb0ES3_N6thrust23THRUST_200600_302600_NS6detail15normal_iteratorINS9_10device_ptrIfEEEESE_f11max_functorIfEfEEDaPvRmT3_T4_T5_mT6_P12ihipStream_tbENKUlT_T0_E_clISt17integral_constantIbLb0EEST_IbLb1EEEEDaSP_SQ_EUlSP_E_NS1_11comp_targetILNS1_3genE9ELNS1_11target_archE1100ELNS1_3gpuE3ELNS1_3repE0EEENS1_30default_config_static_selectorELNS0_4arch9wavefront6targetE1EEEvT1_: ; @_ZN7rocprim17ROCPRIM_400000_NS6detail17trampoline_kernelINS0_14default_configENS1_20scan_config_selectorIfEEZZNS1_9scan_implILNS1_25lookback_scan_determinismE0ELb0ELb0ES3_N6thrust23THRUST_200600_302600_NS6detail15normal_iteratorINS9_10device_ptrIfEEEESE_f11max_functorIfEfEEDaPvRmT3_T4_T5_mT6_P12ihipStream_tbENKUlT_T0_E_clISt17integral_constantIbLb0EEST_IbLb1EEEEDaSP_SQ_EUlSP_E_NS1_11comp_targetILNS1_3genE9ELNS1_11target_archE1100ELNS1_3gpuE3ELNS1_3repE0EEENS1_30default_config_static_selectorELNS0_4arch9wavefront6targetE1EEEvT1_
; %bb.0:
	.section	.rodata,"a",@progbits
	.p2align	6, 0x0
	.amdhsa_kernel _ZN7rocprim17ROCPRIM_400000_NS6detail17trampoline_kernelINS0_14default_configENS1_20scan_config_selectorIfEEZZNS1_9scan_implILNS1_25lookback_scan_determinismE0ELb0ELb0ES3_N6thrust23THRUST_200600_302600_NS6detail15normal_iteratorINS9_10device_ptrIfEEEESE_f11max_functorIfEfEEDaPvRmT3_T4_T5_mT6_P12ihipStream_tbENKUlT_T0_E_clISt17integral_constantIbLb0EEST_IbLb1EEEEDaSP_SQ_EUlSP_E_NS1_11comp_targetILNS1_3genE9ELNS1_11target_archE1100ELNS1_3gpuE3ELNS1_3repE0EEENS1_30default_config_static_selectorELNS0_4arch9wavefront6targetE1EEEvT1_
		.amdhsa_group_segment_fixed_size 0
		.amdhsa_private_segment_fixed_size 0
		.amdhsa_kernarg_size 96
		.amdhsa_user_sgpr_count 6
		.amdhsa_user_sgpr_private_segment_buffer 1
		.amdhsa_user_sgpr_dispatch_ptr 0
		.amdhsa_user_sgpr_queue_ptr 0
		.amdhsa_user_sgpr_kernarg_segment_ptr 1
		.amdhsa_user_sgpr_dispatch_id 0
		.amdhsa_user_sgpr_flat_scratch_init 0
		.amdhsa_user_sgpr_kernarg_preload_length 0
		.amdhsa_user_sgpr_kernarg_preload_offset 0
		.amdhsa_user_sgpr_private_segment_size 0
		.amdhsa_uses_dynamic_stack 0
		.amdhsa_system_sgpr_private_segment_wavefront_offset 0
		.amdhsa_system_sgpr_workgroup_id_x 1
		.amdhsa_system_sgpr_workgroup_id_y 0
		.amdhsa_system_sgpr_workgroup_id_z 0
		.amdhsa_system_sgpr_workgroup_info 0
		.amdhsa_system_vgpr_workitem_id 0
		.amdhsa_next_free_vgpr 1
		.amdhsa_next_free_sgpr 0
		.amdhsa_accum_offset 4
		.amdhsa_reserve_vcc 0
		.amdhsa_reserve_flat_scratch 0
		.amdhsa_float_round_mode_32 0
		.amdhsa_float_round_mode_16_64 0
		.amdhsa_float_denorm_mode_32 3
		.amdhsa_float_denorm_mode_16_64 3
		.amdhsa_dx10_clamp 1
		.amdhsa_ieee_mode 1
		.amdhsa_fp16_overflow 0
		.amdhsa_tg_split 0
		.amdhsa_exception_fp_ieee_invalid_op 0
		.amdhsa_exception_fp_denorm_src 0
		.amdhsa_exception_fp_ieee_div_zero 0
		.amdhsa_exception_fp_ieee_overflow 0
		.amdhsa_exception_fp_ieee_underflow 0
		.amdhsa_exception_fp_ieee_inexact 0
		.amdhsa_exception_int_div_zero 0
	.end_amdhsa_kernel
	.section	.text._ZN7rocprim17ROCPRIM_400000_NS6detail17trampoline_kernelINS0_14default_configENS1_20scan_config_selectorIfEEZZNS1_9scan_implILNS1_25lookback_scan_determinismE0ELb0ELb0ES3_N6thrust23THRUST_200600_302600_NS6detail15normal_iteratorINS9_10device_ptrIfEEEESE_f11max_functorIfEfEEDaPvRmT3_T4_T5_mT6_P12ihipStream_tbENKUlT_T0_E_clISt17integral_constantIbLb0EEST_IbLb1EEEEDaSP_SQ_EUlSP_E_NS1_11comp_targetILNS1_3genE9ELNS1_11target_archE1100ELNS1_3gpuE3ELNS1_3repE0EEENS1_30default_config_static_selectorELNS0_4arch9wavefront6targetE1EEEvT1_,"axG",@progbits,_ZN7rocprim17ROCPRIM_400000_NS6detail17trampoline_kernelINS0_14default_configENS1_20scan_config_selectorIfEEZZNS1_9scan_implILNS1_25lookback_scan_determinismE0ELb0ELb0ES3_N6thrust23THRUST_200600_302600_NS6detail15normal_iteratorINS9_10device_ptrIfEEEESE_f11max_functorIfEfEEDaPvRmT3_T4_T5_mT6_P12ihipStream_tbENKUlT_T0_E_clISt17integral_constantIbLb0EEST_IbLb1EEEEDaSP_SQ_EUlSP_E_NS1_11comp_targetILNS1_3genE9ELNS1_11target_archE1100ELNS1_3gpuE3ELNS1_3repE0EEENS1_30default_config_static_selectorELNS0_4arch9wavefront6targetE1EEEvT1_,comdat
.Lfunc_end2004:
	.size	_ZN7rocprim17ROCPRIM_400000_NS6detail17trampoline_kernelINS0_14default_configENS1_20scan_config_selectorIfEEZZNS1_9scan_implILNS1_25lookback_scan_determinismE0ELb0ELb0ES3_N6thrust23THRUST_200600_302600_NS6detail15normal_iteratorINS9_10device_ptrIfEEEESE_f11max_functorIfEfEEDaPvRmT3_T4_T5_mT6_P12ihipStream_tbENKUlT_T0_E_clISt17integral_constantIbLb0EEST_IbLb1EEEEDaSP_SQ_EUlSP_E_NS1_11comp_targetILNS1_3genE9ELNS1_11target_archE1100ELNS1_3gpuE3ELNS1_3repE0EEENS1_30default_config_static_selectorELNS0_4arch9wavefront6targetE1EEEvT1_, .Lfunc_end2004-_ZN7rocprim17ROCPRIM_400000_NS6detail17trampoline_kernelINS0_14default_configENS1_20scan_config_selectorIfEEZZNS1_9scan_implILNS1_25lookback_scan_determinismE0ELb0ELb0ES3_N6thrust23THRUST_200600_302600_NS6detail15normal_iteratorINS9_10device_ptrIfEEEESE_f11max_functorIfEfEEDaPvRmT3_T4_T5_mT6_P12ihipStream_tbENKUlT_T0_E_clISt17integral_constantIbLb0EEST_IbLb1EEEEDaSP_SQ_EUlSP_E_NS1_11comp_targetILNS1_3genE9ELNS1_11target_archE1100ELNS1_3gpuE3ELNS1_3repE0EEENS1_30default_config_static_selectorELNS0_4arch9wavefront6targetE1EEEvT1_
                                        ; -- End function
	.section	.AMDGPU.csdata,"",@progbits
; Kernel info:
; codeLenInByte = 0
; NumSgprs: 4
; NumVgprs: 0
; NumAgprs: 0
; TotalNumVgprs: 0
; ScratchSize: 0
; MemoryBound: 0
; FloatMode: 240
; IeeeMode: 1
; LDSByteSize: 0 bytes/workgroup (compile time only)
; SGPRBlocks: 0
; VGPRBlocks: 0
; NumSGPRsForWavesPerEU: 4
; NumVGPRsForWavesPerEU: 1
; AccumOffset: 4
; Occupancy: 8
; WaveLimiterHint : 0
; COMPUTE_PGM_RSRC2:SCRATCH_EN: 0
; COMPUTE_PGM_RSRC2:USER_SGPR: 6
; COMPUTE_PGM_RSRC2:TRAP_HANDLER: 0
; COMPUTE_PGM_RSRC2:TGID_X_EN: 1
; COMPUTE_PGM_RSRC2:TGID_Y_EN: 0
; COMPUTE_PGM_RSRC2:TGID_Z_EN: 0
; COMPUTE_PGM_RSRC2:TIDIG_COMP_CNT: 0
; COMPUTE_PGM_RSRC3_GFX90A:ACCUM_OFFSET: 0
; COMPUTE_PGM_RSRC3_GFX90A:TG_SPLIT: 0
	.section	.text._ZN7rocprim17ROCPRIM_400000_NS6detail17trampoline_kernelINS0_14default_configENS1_20scan_config_selectorIfEEZZNS1_9scan_implILNS1_25lookback_scan_determinismE0ELb0ELb0ES3_N6thrust23THRUST_200600_302600_NS6detail15normal_iteratorINS9_10device_ptrIfEEEESE_f11max_functorIfEfEEDaPvRmT3_T4_T5_mT6_P12ihipStream_tbENKUlT_T0_E_clISt17integral_constantIbLb0EEST_IbLb1EEEEDaSP_SQ_EUlSP_E_NS1_11comp_targetILNS1_3genE8ELNS1_11target_archE1030ELNS1_3gpuE2ELNS1_3repE0EEENS1_30default_config_static_selectorELNS0_4arch9wavefront6targetE1EEEvT1_,"axG",@progbits,_ZN7rocprim17ROCPRIM_400000_NS6detail17trampoline_kernelINS0_14default_configENS1_20scan_config_selectorIfEEZZNS1_9scan_implILNS1_25lookback_scan_determinismE0ELb0ELb0ES3_N6thrust23THRUST_200600_302600_NS6detail15normal_iteratorINS9_10device_ptrIfEEEESE_f11max_functorIfEfEEDaPvRmT3_T4_T5_mT6_P12ihipStream_tbENKUlT_T0_E_clISt17integral_constantIbLb0EEST_IbLb1EEEEDaSP_SQ_EUlSP_E_NS1_11comp_targetILNS1_3genE8ELNS1_11target_archE1030ELNS1_3gpuE2ELNS1_3repE0EEENS1_30default_config_static_selectorELNS0_4arch9wavefront6targetE1EEEvT1_,comdat
	.protected	_ZN7rocprim17ROCPRIM_400000_NS6detail17trampoline_kernelINS0_14default_configENS1_20scan_config_selectorIfEEZZNS1_9scan_implILNS1_25lookback_scan_determinismE0ELb0ELb0ES3_N6thrust23THRUST_200600_302600_NS6detail15normal_iteratorINS9_10device_ptrIfEEEESE_f11max_functorIfEfEEDaPvRmT3_T4_T5_mT6_P12ihipStream_tbENKUlT_T0_E_clISt17integral_constantIbLb0EEST_IbLb1EEEEDaSP_SQ_EUlSP_E_NS1_11comp_targetILNS1_3genE8ELNS1_11target_archE1030ELNS1_3gpuE2ELNS1_3repE0EEENS1_30default_config_static_selectorELNS0_4arch9wavefront6targetE1EEEvT1_ ; -- Begin function _ZN7rocprim17ROCPRIM_400000_NS6detail17trampoline_kernelINS0_14default_configENS1_20scan_config_selectorIfEEZZNS1_9scan_implILNS1_25lookback_scan_determinismE0ELb0ELb0ES3_N6thrust23THRUST_200600_302600_NS6detail15normal_iteratorINS9_10device_ptrIfEEEESE_f11max_functorIfEfEEDaPvRmT3_T4_T5_mT6_P12ihipStream_tbENKUlT_T0_E_clISt17integral_constantIbLb0EEST_IbLb1EEEEDaSP_SQ_EUlSP_E_NS1_11comp_targetILNS1_3genE8ELNS1_11target_archE1030ELNS1_3gpuE2ELNS1_3repE0EEENS1_30default_config_static_selectorELNS0_4arch9wavefront6targetE1EEEvT1_
	.globl	_ZN7rocprim17ROCPRIM_400000_NS6detail17trampoline_kernelINS0_14default_configENS1_20scan_config_selectorIfEEZZNS1_9scan_implILNS1_25lookback_scan_determinismE0ELb0ELb0ES3_N6thrust23THRUST_200600_302600_NS6detail15normal_iteratorINS9_10device_ptrIfEEEESE_f11max_functorIfEfEEDaPvRmT3_T4_T5_mT6_P12ihipStream_tbENKUlT_T0_E_clISt17integral_constantIbLb0EEST_IbLb1EEEEDaSP_SQ_EUlSP_E_NS1_11comp_targetILNS1_3genE8ELNS1_11target_archE1030ELNS1_3gpuE2ELNS1_3repE0EEENS1_30default_config_static_selectorELNS0_4arch9wavefront6targetE1EEEvT1_
	.p2align	8
	.type	_ZN7rocprim17ROCPRIM_400000_NS6detail17trampoline_kernelINS0_14default_configENS1_20scan_config_selectorIfEEZZNS1_9scan_implILNS1_25lookback_scan_determinismE0ELb0ELb0ES3_N6thrust23THRUST_200600_302600_NS6detail15normal_iteratorINS9_10device_ptrIfEEEESE_f11max_functorIfEfEEDaPvRmT3_T4_T5_mT6_P12ihipStream_tbENKUlT_T0_E_clISt17integral_constantIbLb0EEST_IbLb1EEEEDaSP_SQ_EUlSP_E_NS1_11comp_targetILNS1_3genE8ELNS1_11target_archE1030ELNS1_3gpuE2ELNS1_3repE0EEENS1_30default_config_static_selectorELNS0_4arch9wavefront6targetE1EEEvT1_,@function
_ZN7rocprim17ROCPRIM_400000_NS6detail17trampoline_kernelINS0_14default_configENS1_20scan_config_selectorIfEEZZNS1_9scan_implILNS1_25lookback_scan_determinismE0ELb0ELb0ES3_N6thrust23THRUST_200600_302600_NS6detail15normal_iteratorINS9_10device_ptrIfEEEESE_f11max_functorIfEfEEDaPvRmT3_T4_T5_mT6_P12ihipStream_tbENKUlT_T0_E_clISt17integral_constantIbLb0EEST_IbLb1EEEEDaSP_SQ_EUlSP_E_NS1_11comp_targetILNS1_3genE8ELNS1_11target_archE1030ELNS1_3gpuE2ELNS1_3repE0EEENS1_30default_config_static_selectorELNS0_4arch9wavefront6targetE1EEEvT1_: ; @_ZN7rocprim17ROCPRIM_400000_NS6detail17trampoline_kernelINS0_14default_configENS1_20scan_config_selectorIfEEZZNS1_9scan_implILNS1_25lookback_scan_determinismE0ELb0ELb0ES3_N6thrust23THRUST_200600_302600_NS6detail15normal_iteratorINS9_10device_ptrIfEEEESE_f11max_functorIfEfEEDaPvRmT3_T4_T5_mT6_P12ihipStream_tbENKUlT_T0_E_clISt17integral_constantIbLb0EEST_IbLb1EEEEDaSP_SQ_EUlSP_E_NS1_11comp_targetILNS1_3genE8ELNS1_11target_archE1030ELNS1_3gpuE2ELNS1_3repE0EEENS1_30default_config_static_selectorELNS0_4arch9wavefront6targetE1EEEvT1_
; %bb.0:
	.section	.rodata,"a",@progbits
	.p2align	6, 0x0
	.amdhsa_kernel _ZN7rocprim17ROCPRIM_400000_NS6detail17trampoline_kernelINS0_14default_configENS1_20scan_config_selectorIfEEZZNS1_9scan_implILNS1_25lookback_scan_determinismE0ELb0ELb0ES3_N6thrust23THRUST_200600_302600_NS6detail15normal_iteratorINS9_10device_ptrIfEEEESE_f11max_functorIfEfEEDaPvRmT3_T4_T5_mT6_P12ihipStream_tbENKUlT_T0_E_clISt17integral_constantIbLb0EEST_IbLb1EEEEDaSP_SQ_EUlSP_E_NS1_11comp_targetILNS1_3genE8ELNS1_11target_archE1030ELNS1_3gpuE2ELNS1_3repE0EEENS1_30default_config_static_selectorELNS0_4arch9wavefront6targetE1EEEvT1_
		.amdhsa_group_segment_fixed_size 0
		.amdhsa_private_segment_fixed_size 0
		.amdhsa_kernarg_size 96
		.amdhsa_user_sgpr_count 6
		.amdhsa_user_sgpr_private_segment_buffer 1
		.amdhsa_user_sgpr_dispatch_ptr 0
		.amdhsa_user_sgpr_queue_ptr 0
		.amdhsa_user_sgpr_kernarg_segment_ptr 1
		.amdhsa_user_sgpr_dispatch_id 0
		.amdhsa_user_sgpr_flat_scratch_init 0
		.amdhsa_user_sgpr_kernarg_preload_length 0
		.amdhsa_user_sgpr_kernarg_preload_offset 0
		.amdhsa_user_sgpr_private_segment_size 0
		.amdhsa_uses_dynamic_stack 0
		.amdhsa_system_sgpr_private_segment_wavefront_offset 0
		.amdhsa_system_sgpr_workgroup_id_x 1
		.amdhsa_system_sgpr_workgroup_id_y 0
		.amdhsa_system_sgpr_workgroup_id_z 0
		.amdhsa_system_sgpr_workgroup_info 0
		.amdhsa_system_vgpr_workitem_id 0
		.amdhsa_next_free_vgpr 1
		.amdhsa_next_free_sgpr 0
		.amdhsa_accum_offset 4
		.amdhsa_reserve_vcc 0
		.amdhsa_reserve_flat_scratch 0
		.amdhsa_float_round_mode_32 0
		.amdhsa_float_round_mode_16_64 0
		.amdhsa_float_denorm_mode_32 3
		.amdhsa_float_denorm_mode_16_64 3
		.amdhsa_dx10_clamp 1
		.amdhsa_ieee_mode 1
		.amdhsa_fp16_overflow 0
		.amdhsa_tg_split 0
		.amdhsa_exception_fp_ieee_invalid_op 0
		.amdhsa_exception_fp_denorm_src 0
		.amdhsa_exception_fp_ieee_div_zero 0
		.amdhsa_exception_fp_ieee_overflow 0
		.amdhsa_exception_fp_ieee_underflow 0
		.amdhsa_exception_fp_ieee_inexact 0
		.amdhsa_exception_int_div_zero 0
	.end_amdhsa_kernel
	.section	.text._ZN7rocprim17ROCPRIM_400000_NS6detail17trampoline_kernelINS0_14default_configENS1_20scan_config_selectorIfEEZZNS1_9scan_implILNS1_25lookback_scan_determinismE0ELb0ELb0ES3_N6thrust23THRUST_200600_302600_NS6detail15normal_iteratorINS9_10device_ptrIfEEEESE_f11max_functorIfEfEEDaPvRmT3_T4_T5_mT6_P12ihipStream_tbENKUlT_T0_E_clISt17integral_constantIbLb0EEST_IbLb1EEEEDaSP_SQ_EUlSP_E_NS1_11comp_targetILNS1_3genE8ELNS1_11target_archE1030ELNS1_3gpuE2ELNS1_3repE0EEENS1_30default_config_static_selectorELNS0_4arch9wavefront6targetE1EEEvT1_,"axG",@progbits,_ZN7rocprim17ROCPRIM_400000_NS6detail17trampoline_kernelINS0_14default_configENS1_20scan_config_selectorIfEEZZNS1_9scan_implILNS1_25lookback_scan_determinismE0ELb0ELb0ES3_N6thrust23THRUST_200600_302600_NS6detail15normal_iteratorINS9_10device_ptrIfEEEESE_f11max_functorIfEfEEDaPvRmT3_T4_T5_mT6_P12ihipStream_tbENKUlT_T0_E_clISt17integral_constantIbLb0EEST_IbLb1EEEEDaSP_SQ_EUlSP_E_NS1_11comp_targetILNS1_3genE8ELNS1_11target_archE1030ELNS1_3gpuE2ELNS1_3repE0EEENS1_30default_config_static_selectorELNS0_4arch9wavefront6targetE1EEEvT1_,comdat
.Lfunc_end2005:
	.size	_ZN7rocprim17ROCPRIM_400000_NS6detail17trampoline_kernelINS0_14default_configENS1_20scan_config_selectorIfEEZZNS1_9scan_implILNS1_25lookback_scan_determinismE0ELb0ELb0ES3_N6thrust23THRUST_200600_302600_NS6detail15normal_iteratorINS9_10device_ptrIfEEEESE_f11max_functorIfEfEEDaPvRmT3_T4_T5_mT6_P12ihipStream_tbENKUlT_T0_E_clISt17integral_constantIbLb0EEST_IbLb1EEEEDaSP_SQ_EUlSP_E_NS1_11comp_targetILNS1_3genE8ELNS1_11target_archE1030ELNS1_3gpuE2ELNS1_3repE0EEENS1_30default_config_static_selectorELNS0_4arch9wavefront6targetE1EEEvT1_, .Lfunc_end2005-_ZN7rocprim17ROCPRIM_400000_NS6detail17trampoline_kernelINS0_14default_configENS1_20scan_config_selectorIfEEZZNS1_9scan_implILNS1_25lookback_scan_determinismE0ELb0ELb0ES3_N6thrust23THRUST_200600_302600_NS6detail15normal_iteratorINS9_10device_ptrIfEEEESE_f11max_functorIfEfEEDaPvRmT3_T4_T5_mT6_P12ihipStream_tbENKUlT_T0_E_clISt17integral_constantIbLb0EEST_IbLb1EEEEDaSP_SQ_EUlSP_E_NS1_11comp_targetILNS1_3genE8ELNS1_11target_archE1030ELNS1_3gpuE2ELNS1_3repE0EEENS1_30default_config_static_selectorELNS0_4arch9wavefront6targetE1EEEvT1_
                                        ; -- End function
	.section	.AMDGPU.csdata,"",@progbits
; Kernel info:
; codeLenInByte = 0
; NumSgprs: 4
; NumVgprs: 0
; NumAgprs: 0
; TotalNumVgprs: 0
; ScratchSize: 0
; MemoryBound: 0
; FloatMode: 240
; IeeeMode: 1
; LDSByteSize: 0 bytes/workgroup (compile time only)
; SGPRBlocks: 0
; VGPRBlocks: 0
; NumSGPRsForWavesPerEU: 4
; NumVGPRsForWavesPerEU: 1
; AccumOffset: 4
; Occupancy: 8
; WaveLimiterHint : 0
; COMPUTE_PGM_RSRC2:SCRATCH_EN: 0
; COMPUTE_PGM_RSRC2:USER_SGPR: 6
; COMPUTE_PGM_RSRC2:TRAP_HANDLER: 0
; COMPUTE_PGM_RSRC2:TGID_X_EN: 1
; COMPUTE_PGM_RSRC2:TGID_Y_EN: 0
; COMPUTE_PGM_RSRC2:TGID_Z_EN: 0
; COMPUTE_PGM_RSRC2:TIDIG_COMP_CNT: 0
; COMPUTE_PGM_RSRC3_GFX90A:ACCUM_OFFSET: 0
; COMPUTE_PGM_RSRC3_GFX90A:TG_SPLIT: 0
	.section	.text._ZN7rocprim17ROCPRIM_400000_NS6detail17trampoline_kernelINS0_14default_configENS1_20scan_config_selectorIfEEZZNS1_9scan_implILNS1_25lookback_scan_determinismE0ELb0ELb0ES3_N6thrust23THRUST_200600_302600_NS6detail15normal_iteratorINS9_10device_ptrIfEEEESE_f11max_functorIfEfEEDaPvRmT3_T4_T5_mT6_P12ihipStream_tbENKUlT_T0_E_clISt17integral_constantIbLb0EEST_IbLb1EEEEDaSP_SQ_EUlSP_E0_NS1_11comp_targetILNS1_3genE0ELNS1_11target_archE4294967295ELNS1_3gpuE0ELNS1_3repE0EEENS1_30default_config_static_selectorELNS0_4arch9wavefront6targetE1EEEvT1_,"axG",@progbits,_ZN7rocprim17ROCPRIM_400000_NS6detail17trampoline_kernelINS0_14default_configENS1_20scan_config_selectorIfEEZZNS1_9scan_implILNS1_25lookback_scan_determinismE0ELb0ELb0ES3_N6thrust23THRUST_200600_302600_NS6detail15normal_iteratorINS9_10device_ptrIfEEEESE_f11max_functorIfEfEEDaPvRmT3_T4_T5_mT6_P12ihipStream_tbENKUlT_T0_E_clISt17integral_constantIbLb0EEST_IbLb1EEEEDaSP_SQ_EUlSP_E0_NS1_11comp_targetILNS1_3genE0ELNS1_11target_archE4294967295ELNS1_3gpuE0ELNS1_3repE0EEENS1_30default_config_static_selectorELNS0_4arch9wavefront6targetE1EEEvT1_,comdat
	.protected	_ZN7rocprim17ROCPRIM_400000_NS6detail17trampoline_kernelINS0_14default_configENS1_20scan_config_selectorIfEEZZNS1_9scan_implILNS1_25lookback_scan_determinismE0ELb0ELb0ES3_N6thrust23THRUST_200600_302600_NS6detail15normal_iteratorINS9_10device_ptrIfEEEESE_f11max_functorIfEfEEDaPvRmT3_T4_T5_mT6_P12ihipStream_tbENKUlT_T0_E_clISt17integral_constantIbLb0EEST_IbLb1EEEEDaSP_SQ_EUlSP_E0_NS1_11comp_targetILNS1_3genE0ELNS1_11target_archE4294967295ELNS1_3gpuE0ELNS1_3repE0EEENS1_30default_config_static_selectorELNS0_4arch9wavefront6targetE1EEEvT1_ ; -- Begin function _ZN7rocprim17ROCPRIM_400000_NS6detail17trampoline_kernelINS0_14default_configENS1_20scan_config_selectorIfEEZZNS1_9scan_implILNS1_25lookback_scan_determinismE0ELb0ELb0ES3_N6thrust23THRUST_200600_302600_NS6detail15normal_iteratorINS9_10device_ptrIfEEEESE_f11max_functorIfEfEEDaPvRmT3_T4_T5_mT6_P12ihipStream_tbENKUlT_T0_E_clISt17integral_constantIbLb0EEST_IbLb1EEEEDaSP_SQ_EUlSP_E0_NS1_11comp_targetILNS1_3genE0ELNS1_11target_archE4294967295ELNS1_3gpuE0ELNS1_3repE0EEENS1_30default_config_static_selectorELNS0_4arch9wavefront6targetE1EEEvT1_
	.globl	_ZN7rocprim17ROCPRIM_400000_NS6detail17trampoline_kernelINS0_14default_configENS1_20scan_config_selectorIfEEZZNS1_9scan_implILNS1_25lookback_scan_determinismE0ELb0ELb0ES3_N6thrust23THRUST_200600_302600_NS6detail15normal_iteratorINS9_10device_ptrIfEEEESE_f11max_functorIfEfEEDaPvRmT3_T4_T5_mT6_P12ihipStream_tbENKUlT_T0_E_clISt17integral_constantIbLb0EEST_IbLb1EEEEDaSP_SQ_EUlSP_E0_NS1_11comp_targetILNS1_3genE0ELNS1_11target_archE4294967295ELNS1_3gpuE0ELNS1_3repE0EEENS1_30default_config_static_selectorELNS0_4arch9wavefront6targetE1EEEvT1_
	.p2align	8
	.type	_ZN7rocprim17ROCPRIM_400000_NS6detail17trampoline_kernelINS0_14default_configENS1_20scan_config_selectorIfEEZZNS1_9scan_implILNS1_25lookback_scan_determinismE0ELb0ELb0ES3_N6thrust23THRUST_200600_302600_NS6detail15normal_iteratorINS9_10device_ptrIfEEEESE_f11max_functorIfEfEEDaPvRmT3_T4_T5_mT6_P12ihipStream_tbENKUlT_T0_E_clISt17integral_constantIbLb0EEST_IbLb1EEEEDaSP_SQ_EUlSP_E0_NS1_11comp_targetILNS1_3genE0ELNS1_11target_archE4294967295ELNS1_3gpuE0ELNS1_3repE0EEENS1_30default_config_static_selectorELNS0_4arch9wavefront6targetE1EEEvT1_,@function
_ZN7rocprim17ROCPRIM_400000_NS6detail17trampoline_kernelINS0_14default_configENS1_20scan_config_selectorIfEEZZNS1_9scan_implILNS1_25lookback_scan_determinismE0ELb0ELb0ES3_N6thrust23THRUST_200600_302600_NS6detail15normal_iteratorINS9_10device_ptrIfEEEESE_f11max_functorIfEfEEDaPvRmT3_T4_T5_mT6_P12ihipStream_tbENKUlT_T0_E_clISt17integral_constantIbLb0EEST_IbLb1EEEEDaSP_SQ_EUlSP_E0_NS1_11comp_targetILNS1_3genE0ELNS1_11target_archE4294967295ELNS1_3gpuE0ELNS1_3repE0EEENS1_30default_config_static_selectorELNS0_4arch9wavefront6targetE1EEEvT1_: ; @_ZN7rocprim17ROCPRIM_400000_NS6detail17trampoline_kernelINS0_14default_configENS1_20scan_config_selectorIfEEZZNS1_9scan_implILNS1_25lookback_scan_determinismE0ELb0ELb0ES3_N6thrust23THRUST_200600_302600_NS6detail15normal_iteratorINS9_10device_ptrIfEEEESE_f11max_functorIfEfEEDaPvRmT3_T4_T5_mT6_P12ihipStream_tbENKUlT_T0_E_clISt17integral_constantIbLb0EEST_IbLb1EEEEDaSP_SQ_EUlSP_E0_NS1_11comp_targetILNS1_3genE0ELNS1_11target_archE4294967295ELNS1_3gpuE0ELNS1_3repE0EEENS1_30default_config_static_selectorELNS0_4arch9wavefront6targetE1EEEvT1_
; %bb.0:
	.section	.rodata,"a",@progbits
	.p2align	6, 0x0
	.amdhsa_kernel _ZN7rocprim17ROCPRIM_400000_NS6detail17trampoline_kernelINS0_14default_configENS1_20scan_config_selectorIfEEZZNS1_9scan_implILNS1_25lookback_scan_determinismE0ELb0ELb0ES3_N6thrust23THRUST_200600_302600_NS6detail15normal_iteratorINS9_10device_ptrIfEEEESE_f11max_functorIfEfEEDaPvRmT3_T4_T5_mT6_P12ihipStream_tbENKUlT_T0_E_clISt17integral_constantIbLb0EEST_IbLb1EEEEDaSP_SQ_EUlSP_E0_NS1_11comp_targetILNS1_3genE0ELNS1_11target_archE4294967295ELNS1_3gpuE0ELNS1_3repE0EEENS1_30default_config_static_selectorELNS0_4arch9wavefront6targetE1EEEvT1_
		.amdhsa_group_segment_fixed_size 0
		.amdhsa_private_segment_fixed_size 0
		.amdhsa_kernarg_size 32
		.amdhsa_user_sgpr_count 6
		.amdhsa_user_sgpr_private_segment_buffer 1
		.amdhsa_user_sgpr_dispatch_ptr 0
		.amdhsa_user_sgpr_queue_ptr 0
		.amdhsa_user_sgpr_kernarg_segment_ptr 1
		.amdhsa_user_sgpr_dispatch_id 0
		.amdhsa_user_sgpr_flat_scratch_init 0
		.amdhsa_user_sgpr_kernarg_preload_length 0
		.amdhsa_user_sgpr_kernarg_preload_offset 0
		.amdhsa_user_sgpr_private_segment_size 0
		.amdhsa_uses_dynamic_stack 0
		.amdhsa_system_sgpr_private_segment_wavefront_offset 0
		.amdhsa_system_sgpr_workgroup_id_x 1
		.amdhsa_system_sgpr_workgroup_id_y 0
		.amdhsa_system_sgpr_workgroup_id_z 0
		.amdhsa_system_sgpr_workgroup_info 0
		.amdhsa_system_vgpr_workitem_id 0
		.amdhsa_next_free_vgpr 1
		.amdhsa_next_free_sgpr 0
		.amdhsa_accum_offset 4
		.amdhsa_reserve_vcc 0
		.amdhsa_reserve_flat_scratch 0
		.amdhsa_float_round_mode_32 0
		.amdhsa_float_round_mode_16_64 0
		.amdhsa_float_denorm_mode_32 3
		.amdhsa_float_denorm_mode_16_64 3
		.amdhsa_dx10_clamp 1
		.amdhsa_ieee_mode 1
		.amdhsa_fp16_overflow 0
		.amdhsa_tg_split 0
		.amdhsa_exception_fp_ieee_invalid_op 0
		.amdhsa_exception_fp_denorm_src 0
		.amdhsa_exception_fp_ieee_div_zero 0
		.amdhsa_exception_fp_ieee_overflow 0
		.amdhsa_exception_fp_ieee_underflow 0
		.amdhsa_exception_fp_ieee_inexact 0
		.amdhsa_exception_int_div_zero 0
	.end_amdhsa_kernel
	.section	.text._ZN7rocprim17ROCPRIM_400000_NS6detail17trampoline_kernelINS0_14default_configENS1_20scan_config_selectorIfEEZZNS1_9scan_implILNS1_25lookback_scan_determinismE0ELb0ELb0ES3_N6thrust23THRUST_200600_302600_NS6detail15normal_iteratorINS9_10device_ptrIfEEEESE_f11max_functorIfEfEEDaPvRmT3_T4_T5_mT6_P12ihipStream_tbENKUlT_T0_E_clISt17integral_constantIbLb0EEST_IbLb1EEEEDaSP_SQ_EUlSP_E0_NS1_11comp_targetILNS1_3genE0ELNS1_11target_archE4294967295ELNS1_3gpuE0ELNS1_3repE0EEENS1_30default_config_static_selectorELNS0_4arch9wavefront6targetE1EEEvT1_,"axG",@progbits,_ZN7rocprim17ROCPRIM_400000_NS6detail17trampoline_kernelINS0_14default_configENS1_20scan_config_selectorIfEEZZNS1_9scan_implILNS1_25lookback_scan_determinismE0ELb0ELb0ES3_N6thrust23THRUST_200600_302600_NS6detail15normal_iteratorINS9_10device_ptrIfEEEESE_f11max_functorIfEfEEDaPvRmT3_T4_T5_mT6_P12ihipStream_tbENKUlT_T0_E_clISt17integral_constantIbLb0EEST_IbLb1EEEEDaSP_SQ_EUlSP_E0_NS1_11comp_targetILNS1_3genE0ELNS1_11target_archE4294967295ELNS1_3gpuE0ELNS1_3repE0EEENS1_30default_config_static_selectorELNS0_4arch9wavefront6targetE1EEEvT1_,comdat
.Lfunc_end2006:
	.size	_ZN7rocprim17ROCPRIM_400000_NS6detail17trampoline_kernelINS0_14default_configENS1_20scan_config_selectorIfEEZZNS1_9scan_implILNS1_25lookback_scan_determinismE0ELb0ELb0ES3_N6thrust23THRUST_200600_302600_NS6detail15normal_iteratorINS9_10device_ptrIfEEEESE_f11max_functorIfEfEEDaPvRmT3_T4_T5_mT6_P12ihipStream_tbENKUlT_T0_E_clISt17integral_constantIbLb0EEST_IbLb1EEEEDaSP_SQ_EUlSP_E0_NS1_11comp_targetILNS1_3genE0ELNS1_11target_archE4294967295ELNS1_3gpuE0ELNS1_3repE0EEENS1_30default_config_static_selectorELNS0_4arch9wavefront6targetE1EEEvT1_, .Lfunc_end2006-_ZN7rocprim17ROCPRIM_400000_NS6detail17trampoline_kernelINS0_14default_configENS1_20scan_config_selectorIfEEZZNS1_9scan_implILNS1_25lookback_scan_determinismE0ELb0ELb0ES3_N6thrust23THRUST_200600_302600_NS6detail15normal_iteratorINS9_10device_ptrIfEEEESE_f11max_functorIfEfEEDaPvRmT3_T4_T5_mT6_P12ihipStream_tbENKUlT_T0_E_clISt17integral_constantIbLb0EEST_IbLb1EEEEDaSP_SQ_EUlSP_E0_NS1_11comp_targetILNS1_3genE0ELNS1_11target_archE4294967295ELNS1_3gpuE0ELNS1_3repE0EEENS1_30default_config_static_selectorELNS0_4arch9wavefront6targetE1EEEvT1_
                                        ; -- End function
	.section	.AMDGPU.csdata,"",@progbits
; Kernel info:
; codeLenInByte = 0
; NumSgprs: 4
; NumVgprs: 0
; NumAgprs: 0
; TotalNumVgprs: 0
; ScratchSize: 0
; MemoryBound: 0
; FloatMode: 240
; IeeeMode: 1
; LDSByteSize: 0 bytes/workgroup (compile time only)
; SGPRBlocks: 0
; VGPRBlocks: 0
; NumSGPRsForWavesPerEU: 4
; NumVGPRsForWavesPerEU: 1
; AccumOffset: 4
; Occupancy: 8
; WaveLimiterHint : 0
; COMPUTE_PGM_RSRC2:SCRATCH_EN: 0
; COMPUTE_PGM_RSRC2:USER_SGPR: 6
; COMPUTE_PGM_RSRC2:TRAP_HANDLER: 0
; COMPUTE_PGM_RSRC2:TGID_X_EN: 1
; COMPUTE_PGM_RSRC2:TGID_Y_EN: 0
; COMPUTE_PGM_RSRC2:TGID_Z_EN: 0
; COMPUTE_PGM_RSRC2:TIDIG_COMP_CNT: 0
; COMPUTE_PGM_RSRC3_GFX90A:ACCUM_OFFSET: 0
; COMPUTE_PGM_RSRC3_GFX90A:TG_SPLIT: 0
	.section	.text._ZN7rocprim17ROCPRIM_400000_NS6detail17trampoline_kernelINS0_14default_configENS1_20scan_config_selectorIfEEZZNS1_9scan_implILNS1_25lookback_scan_determinismE0ELb0ELb0ES3_N6thrust23THRUST_200600_302600_NS6detail15normal_iteratorINS9_10device_ptrIfEEEESE_f11max_functorIfEfEEDaPvRmT3_T4_T5_mT6_P12ihipStream_tbENKUlT_T0_E_clISt17integral_constantIbLb0EEST_IbLb1EEEEDaSP_SQ_EUlSP_E0_NS1_11comp_targetILNS1_3genE5ELNS1_11target_archE942ELNS1_3gpuE9ELNS1_3repE0EEENS1_30default_config_static_selectorELNS0_4arch9wavefront6targetE1EEEvT1_,"axG",@progbits,_ZN7rocprim17ROCPRIM_400000_NS6detail17trampoline_kernelINS0_14default_configENS1_20scan_config_selectorIfEEZZNS1_9scan_implILNS1_25lookback_scan_determinismE0ELb0ELb0ES3_N6thrust23THRUST_200600_302600_NS6detail15normal_iteratorINS9_10device_ptrIfEEEESE_f11max_functorIfEfEEDaPvRmT3_T4_T5_mT6_P12ihipStream_tbENKUlT_T0_E_clISt17integral_constantIbLb0EEST_IbLb1EEEEDaSP_SQ_EUlSP_E0_NS1_11comp_targetILNS1_3genE5ELNS1_11target_archE942ELNS1_3gpuE9ELNS1_3repE0EEENS1_30default_config_static_selectorELNS0_4arch9wavefront6targetE1EEEvT1_,comdat
	.protected	_ZN7rocprim17ROCPRIM_400000_NS6detail17trampoline_kernelINS0_14default_configENS1_20scan_config_selectorIfEEZZNS1_9scan_implILNS1_25lookback_scan_determinismE0ELb0ELb0ES3_N6thrust23THRUST_200600_302600_NS6detail15normal_iteratorINS9_10device_ptrIfEEEESE_f11max_functorIfEfEEDaPvRmT3_T4_T5_mT6_P12ihipStream_tbENKUlT_T0_E_clISt17integral_constantIbLb0EEST_IbLb1EEEEDaSP_SQ_EUlSP_E0_NS1_11comp_targetILNS1_3genE5ELNS1_11target_archE942ELNS1_3gpuE9ELNS1_3repE0EEENS1_30default_config_static_selectorELNS0_4arch9wavefront6targetE1EEEvT1_ ; -- Begin function _ZN7rocprim17ROCPRIM_400000_NS6detail17trampoline_kernelINS0_14default_configENS1_20scan_config_selectorIfEEZZNS1_9scan_implILNS1_25lookback_scan_determinismE0ELb0ELb0ES3_N6thrust23THRUST_200600_302600_NS6detail15normal_iteratorINS9_10device_ptrIfEEEESE_f11max_functorIfEfEEDaPvRmT3_T4_T5_mT6_P12ihipStream_tbENKUlT_T0_E_clISt17integral_constantIbLb0EEST_IbLb1EEEEDaSP_SQ_EUlSP_E0_NS1_11comp_targetILNS1_3genE5ELNS1_11target_archE942ELNS1_3gpuE9ELNS1_3repE0EEENS1_30default_config_static_selectorELNS0_4arch9wavefront6targetE1EEEvT1_
	.globl	_ZN7rocprim17ROCPRIM_400000_NS6detail17trampoline_kernelINS0_14default_configENS1_20scan_config_selectorIfEEZZNS1_9scan_implILNS1_25lookback_scan_determinismE0ELb0ELb0ES3_N6thrust23THRUST_200600_302600_NS6detail15normal_iteratorINS9_10device_ptrIfEEEESE_f11max_functorIfEfEEDaPvRmT3_T4_T5_mT6_P12ihipStream_tbENKUlT_T0_E_clISt17integral_constantIbLb0EEST_IbLb1EEEEDaSP_SQ_EUlSP_E0_NS1_11comp_targetILNS1_3genE5ELNS1_11target_archE942ELNS1_3gpuE9ELNS1_3repE0EEENS1_30default_config_static_selectorELNS0_4arch9wavefront6targetE1EEEvT1_
	.p2align	8
	.type	_ZN7rocprim17ROCPRIM_400000_NS6detail17trampoline_kernelINS0_14default_configENS1_20scan_config_selectorIfEEZZNS1_9scan_implILNS1_25lookback_scan_determinismE0ELb0ELb0ES3_N6thrust23THRUST_200600_302600_NS6detail15normal_iteratorINS9_10device_ptrIfEEEESE_f11max_functorIfEfEEDaPvRmT3_T4_T5_mT6_P12ihipStream_tbENKUlT_T0_E_clISt17integral_constantIbLb0EEST_IbLb1EEEEDaSP_SQ_EUlSP_E0_NS1_11comp_targetILNS1_3genE5ELNS1_11target_archE942ELNS1_3gpuE9ELNS1_3repE0EEENS1_30default_config_static_selectorELNS0_4arch9wavefront6targetE1EEEvT1_,@function
_ZN7rocprim17ROCPRIM_400000_NS6detail17trampoline_kernelINS0_14default_configENS1_20scan_config_selectorIfEEZZNS1_9scan_implILNS1_25lookback_scan_determinismE0ELb0ELb0ES3_N6thrust23THRUST_200600_302600_NS6detail15normal_iteratorINS9_10device_ptrIfEEEESE_f11max_functorIfEfEEDaPvRmT3_T4_T5_mT6_P12ihipStream_tbENKUlT_T0_E_clISt17integral_constantIbLb0EEST_IbLb1EEEEDaSP_SQ_EUlSP_E0_NS1_11comp_targetILNS1_3genE5ELNS1_11target_archE942ELNS1_3gpuE9ELNS1_3repE0EEENS1_30default_config_static_selectorELNS0_4arch9wavefront6targetE1EEEvT1_: ; @_ZN7rocprim17ROCPRIM_400000_NS6detail17trampoline_kernelINS0_14default_configENS1_20scan_config_selectorIfEEZZNS1_9scan_implILNS1_25lookback_scan_determinismE0ELb0ELb0ES3_N6thrust23THRUST_200600_302600_NS6detail15normal_iteratorINS9_10device_ptrIfEEEESE_f11max_functorIfEfEEDaPvRmT3_T4_T5_mT6_P12ihipStream_tbENKUlT_T0_E_clISt17integral_constantIbLb0EEST_IbLb1EEEEDaSP_SQ_EUlSP_E0_NS1_11comp_targetILNS1_3genE5ELNS1_11target_archE942ELNS1_3gpuE9ELNS1_3repE0EEENS1_30default_config_static_selectorELNS0_4arch9wavefront6targetE1EEEvT1_
; %bb.0:
	.section	.rodata,"a",@progbits
	.p2align	6, 0x0
	.amdhsa_kernel _ZN7rocprim17ROCPRIM_400000_NS6detail17trampoline_kernelINS0_14default_configENS1_20scan_config_selectorIfEEZZNS1_9scan_implILNS1_25lookback_scan_determinismE0ELb0ELb0ES3_N6thrust23THRUST_200600_302600_NS6detail15normal_iteratorINS9_10device_ptrIfEEEESE_f11max_functorIfEfEEDaPvRmT3_T4_T5_mT6_P12ihipStream_tbENKUlT_T0_E_clISt17integral_constantIbLb0EEST_IbLb1EEEEDaSP_SQ_EUlSP_E0_NS1_11comp_targetILNS1_3genE5ELNS1_11target_archE942ELNS1_3gpuE9ELNS1_3repE0EEENS1_30default_config_static_selectorELNS0_4arch9wavefront6targetE1EEEvT1_
		.amdhsa_group_segment_fixed_size 0
		.amdhsa_private_segment_fixed_size 0
		.amdhsa_kernarg_size 32
		.amdhsa_user_sgpr_count 6
		.amdhsa_user_sgpr_private_segment_buffer 1
		.amdhsa_user_sgpr_dispatch_ptr 0
		.amdhsa_user_sgpr_queue_ptr 0
		.amdhsa_user_sgpr_kernarg_segment_ptr 1
		.amdhsa_user_sgpr_dispatch_id 0
		.amdhsa_user_sgpr_flat_scratch_init 0
		.amdhsa_user_sgpr_kernarg_preload_length 0
		.amdhsa_user_sgpr_kernarg_preload_offset 0
		.amdhsa_user_sgpr_private_segment_size 0
		.amdhsa_uses_dynamic_stack 0
		.amdhsa_system_sgpr_private_segment_wavefront_offset 0
		.amdhsa_system_sgpr_workgroup_id_x 1
		.amdhsa_system_sgpr_workgroup_id_y 0
		.amdhsa_system_sgpr_workgroup_id_z 0
		.amdhsa_system_sgpr_workgroup_info 0
		.amdhsa_system_vgpr_workitem_id 0
		.amdhsa_next_free_vgpr 1
		.amdhsa_next_free_sgpr 0
		.amdhsa_accum_offset 4
		.amdhsa_reserve_vcc 0
		.amdhsa_reserve_flat_scratch 0
		.amdhsa_float_round_mode_32 0
		.amdhsa_float_round_mode_16_64 0
		.amdhsa_float_denorm_mode_32 3
		.amdhsa_float_denorm_mode_16_64 3
		.amdhsa_dx10_clamp 1
		.amdhsa_ieee_mode 1
		.amdhsa_fp16_overflow 0
		.amdhsa_tg_split 0
		.amdhsa_exception_fp_ieee_invalid_op 0
		.amdhsa_exception_fp_denorm_src 0
		.amdhsa_exception_fp_ieee_div_zero 0
		.amdhsa_exception_fp_ieee_overflow 0
		.amdhsa_exception_fp_ieee_underflow 0
		.amdhsa_exception_fp_ieee_inexact 0
		.amdhsa_exception_int_div_zero 0
	.end_amdhsa_kernel
	.section	.text._ZN7rocprim17ROCPRIM_400000_NS6detail17trampoline_kernelINS0_14default_configENS1_20scan_config_selectorIfEEZZNS1_9scan_implILNS1_25lookback_scan_determinismE0ELb0ELb0ES3_N6thrust23THRUST_200600_302600_NS6detail15normal_iteratorINS9_10device_ptrIfEEEESE_f11max_functorIfEfEEDaPvRmT3_T4_T5_mT6_P12ihipStream_tbENKUlT_T0_E_clISt17integral_constantIbLb0EEST_IbLb1EEEEDaSP_SQ_EUlSP_E0_NS1_11comp_targetILNS1_3genE5ELNS1_11target_archE942ELNS1_3gpuE9ELNS1_3repE0EEENS1_30default_config_static_selectorELNS0_4arch9wavefront6targetE1EEEvT1_,"axG",@progbits,_ZN7rocprim17ROCPRIM_400000_NS6detail17trampoline_kernelINS0_14default_configENS1_20scan_config_selectorIfEEZZNS1_9scan_implILNS1_25lookback_scan_determinismE0ELb0ELb0ES3_N6thrust23THRUST_200600_302600_NS6detail15normal_iteratorINS9_10device_ptrIfEEEESE_f11max_functorIfEfEEDaPvRmT3_T4_T5_mT6_P12ihipStream_tbENKUlT_T0_E_clISt17integral_constantIbLb0EEST_IbLb1EEEEDaSP_SQ_EUlSP_E0_NS1_11comp_targetILNS1_3genE5ELNS1_11target_archE942ELNS1_3gpuE9ELNS1_3repE0EEENS1_30default_config_static_selectorELNS0_4arch9wavefront6targetE1EEEvT1_,comdat
.Lfunc_end2007:
	.size	_ZN7rocprim17ROCPRIM_400000_NS6detail17trampoline_kernelINS0_14default_configENS1_20scan_config_selectorIfEEZZNS1_9scan_implILNS1_25lookback_scan_determinismE0ELb0ELb0ES3_N6thrust23THRUST_200600_302600_NS6detail15normal_iteratorINS9_10device_ptrIfEEEESE_f11max_functorIfEfEEDaPvRmT3_T4_T5_mT6_P12ihipStream_tbENKUlT_T0_E_clISt17integral_constantIbLb0EEST_IbLb1EEEEDaSP_SQ_EUlSP_E0_NS1_11comp_targetILNS1_3genE5ELNS1_11target_archE942ELNS1_3gpuE9ELNS1_3repE0EEENS1_30default_config_static_selectorELNS0_4arch9wavefront6targetE1EEEvT1_, .Lfunc_end2007-_ZN7rocprim17ROCPRIM_400000_NS6detail17trampoline_kernelINS0_14default_configENS1_20scan_config_selectorIfEEZZNS1_9scan_implILNS1_25lookback_scan_determinismE0ELb0ELb0ES3_N6thrust23THRUST_200600_302600_NS6detail15normal_iteratorINS9_10device_ptrIfEEEESE_f11max_functorIfEfEEDaPvRmT3_T4_T5_mT6_P12ihipStream_tbENKUlT_T0_E_clISt17integral_constantIbLb0EEST_IbLb1EEEEDaSP_SQ_EUlSP_E0_NS1_11comp_targetILNS1_3genE5ELNS1_11target_archE942ELNS1_3gpuE9ELNS1_3repE0EEENS1_30default_config_static_selectorELNS0_4arch9wavefront6targetE1EEEvT1_
                                        ; -- End function
	.section	.AMDGPU.csdata,"",@progbits
; Kernel info:
; codeLenInByte = 0
; NumSgprs: 4
; NumVgprs: 0
; NumAgprs: 0
; TotalNumVgprs: 0
; ScratchSize: 0
; MemoryBound: 0
; FloatMode: 240
; IeeeMode: 1
; LDSByteSize: 0 bytes/workgroup (compile time only)
; SGPRBlocks: 0
; VGPRBlocks: 0
; NumSGPRsForWavesPerEU: 4
; NumVGPRsForWavesPerEU: 1
; AccumOffset: 4
; Occupancy: 8
; WaveLimiterHint : 0
; COMPUTE_PGM_RSRC2:SCRATCH_EN: 0
; COMPUTE_PGM_RSRC2:USER_SGPR: 6
; COMPUTE_PGM_RSRC2:TRAP_HANDLER: 0
; COMPUTE_PGM_RSRC2:TGID_X_EN: 1
; COMPUTE_PGM_RSRC2:TGID_Y_EN: 0
; COMPUTE_PGM_RSRC2:TGID_Z_EN: 0
; COMPUTE_PGM_RSRC2:TIDIG_COMP_CNT: 0
; COMPUTE_PGM_RSRC3_GFX90A:ACCUM_OFFSET: 0
; COMPUTE_PGM_RSRC3_GFX90A:TG_SPLIT: 0
	.section	.text._ZN7rocprim17ROCPRIM_400000_NS6detail17trampoline_kernelINS0_14default_configENS1_20scan_config_selectorIfEEZZNS1_9scan_implILNS1_25lookback_scan_determinismE0ELb0ELb0ES3_N6thrust23THRUST_200600_302600_NS6detail15normal_iteratorINS9_10device_ptrIfEEEESE_f11max_functorIfEfEEDaPvRmT3_T4_T5_mT6_P12ihipStream_tbENKUlT_T0_E_clISt17integral_constantIbLb0EEST_IbLb1EEEEDaSP_SQ_EUlSP_E0_NS1_11comp_targetILNS1_3genE4ELNS1_11target_archE910ELNS1_3gpuE8ELNS1_3repE0EEENS1_30default_config_static_selectorELNS0_4arch9wavefront6targetE1EEEvT1_,"axG",@progbits,_ZN7rocprim17ROCPRIM_400000_NS6detail17trampoline_kernelINS0_14default_configENS1_20scan_config_selectorIfEEZZNS1_9scan_implILNS1_25lookback_scan_determinismE0ELb0ELb0ES3_N6thrust23THRUST_200600_302600_NS6detail15normal_iteratorINS9_10device_ptrIfEEEESE_f11max_functorIfEfEEDaPvRmT3_T4_T5_mT6_P12ihipStream_tbENKUlT_T0_E_clISt17integral_constantIbLb0EEST_IbLb1EEEEDaSP_SQ_EUlSP_E0_NS1_11comp_targetILNS1_3genE4ELNS1_11target_archE910ELNS1_3gpuE8ELNS1_3repE0EEENS1_30default_config_static_selectorELNS0_4arch9wavefront6targetE1EEEvT1_,comdat
	.protected	_ZN7rocprim17ROCPRIM_400000_NS6detail17trampoline_kernelINS0_14default_configENS1_20scan_config_selectorIfEEZZNS1_9scan_implILNS1_25lookback_scan_determinismE0ELb0ELb0ES3_N6thrust23THRUST_200600_302600_NS6detail15normal_iteratorINS9_10device_ptrIfEEEESE_f11max_functorIfEfEEDaPvRmT3_T4_T5_mT6_P12ihipStream_tbENKUlT_T0_E_clISt17integral_constantIbLb0EEST_IbLb1EEEEDaSP_SQ_EUlSP_E0_NS1_11comp_targetILNS1_3genE4ELNS1_11target_archE910ELNS1_3gpuE8ELNS1_3repE0EEENS1_30default_config_static_selectorELNS0_4arch9wavefront6targetE1EEEvT1_ ; -- Begin function _ZN7rocprim17ROCPRIM_400000_NS6detail17trampoline_kernelINS0_14default_configENS1_20scan_config_selectorIfEEZZNS1_9scan_implILNS1_25lookback_scan_determinismE0ELb0ELb0ES3_N6thrust23THRUST_200600_302600_NS6detail15normal_iteratorINS9_10device_ptrIfEEEESE_f11max_functorIfEfEEDaPvRmT3_T4_T5_mT6_P12ihipStream_tbENKUlT_T0_E_clISt17integral_constantIbLb0EEST_IbLb1EEEEDaSP_SQ_EUlSP_E0_NS1_11comp_targetILNS1_3genE4ELNS1_11target_archE910ELNS1_3gpuE8ELNS1_3repE0EEENS1_30default_config_static_selectorELNS0_4arch9wavefront6targetE1EEEvT1_
	.globl	_ZN7rocprim17ROCPRIM_400000_NS6detail17trampoline_kernelINS0_14default_configENS1_20scan_config_selectorIfEEZZNS1_9scan_implILNS1_25lookback_scan_determinismE0ELb0ELb0ES3_N6thrust23THRUST_200600_302600_NS6detail15normal_iteratorINS9_10device_ptrIfEEEESE_f11max_functorIfEfEEDaPvRmT3_T4_T5_mT6_P12ihipStream_tbENKUlT_T0_E_clISt17integral_constantIbLb0EEST_IbLb1EEEEDaSP_SQ_EUlSP_E0_NS1_11comp_targetILNS1_3genE4ELNS1_11target_archE910ELNS1_3gpuE8ELNS1_3repE0EEENS1_30default_config_static_selectorELNS0_4arch9wavefront6targetE1EEEvT1_
	.p2align	8
	.type	_ZN7rocprim17ROCPRIM_400000_NS6detail17trampoline_kernelINS0_14default_configENS1_20scan_config_selectorIfEEZZNS1_9scan_implILNS1_25lookback_scan_determinismE0ELb0ELb0ES3_N6thrust23THRUST_200600_302600_NS6detail15normal_iteratorINS9_10device_ptrIfEEEESE_f11max_functorIfEfEEDaPvRmT3_T4_T5_mT6_P12ihipStream_tbENKUlT_T0_E_clISt17integral_constantIbLb0EEST_IbLb1EEEEDaSP_SQ_EUlSP_E0_NS1_11comp_targetILNS1_3genE4ELNS1_11target_archE910ELNS1_3gpuE8ELNS1_3repE0EEENS1_30default_config_static_selectorELNS0_4arch9wavefront6targetE1EEEvT1_,@function
_ZN7rocprim17ROCPRIM_400000_NS6detail17trampoline_kernelINS0_14default_configENS1_20scan_config_selectorIfEEZZNS1_9scan_implILNS1_25lookback_scan_determinismE0ELb0ELb0ES3_N6thrust23THRUST_200600_302600_NS6detail15normal_iteratorINS9_10device_ptrIfEEEESE_f11max_functorIfEfEEDaPvRmT3_T4_T5_mT6_P12ihipStream_tbENKUlT_T0_E_clISt17integral_constantIbLb0EEST_IbLb1EEEEDaSP_SQ_EUlSP_E0_NS1_11comp_targetILNS1_3genE4ELNS1_11target_archE910ELNS1_3gpuE8ELNS1_3repE0EEENS1_30default_config_static_selectorELNS0_4arch9wavefront6targetE1EEEvT1_: ; @_ZN7rocprim17ROCPRIM_400000_NS6detail17trampoline_kernelINS0_14default_configENS1_20scan_config_selectorIfEEZZNS1_9scan_implILNS1_25lookback_scan_determinismE0ELb0ELb0ES3_N6thrust23THRUST_200600_302600_NS6detail15normal_iteratorINS9_10device_ptrIfEEEESE_f11max_functorIfEfEEDaPvRmT3_T4_T5_mT6_P12ihipStream_tbENKUlT_T0_E_clISt17integral_constantIbLb0EEST_IbLb1EEEEDaSP_SQ_EUlSP_E0_NS1_11comp_targetILNS1_3genE4ELNS1_11target_archE910ELNS1_3gpuE8ELNS1_3repE0EEENS1_30default_config_static_selectorELNS0_4arch9wavefront6targetE1EEEvT1_
; %bb.0:
	s_load_dwordx4 s[28:31], s[4:5], 0x0
	v_lshlrev_b32_e32 v16, 2, v0
	s_waitcnt lgkmcnt(0)
	s_load_dword s31, s[28:29], 0x0
	v_cmp_gt_u32_e32 vcc, s30, v0
	s_waitcnt lgkmcnt(0)
	v_mov_b32_e32 v1, s31
	s_and_saveexec_b64 s[0:1], vcc
	s_cbranch_execz .LBB2008_2
; %bb.1:
	global_load_dword v1, v16, s[28:29]
.LBB2008_2:
	s_or_b64 exec, exec, s[0:1]
	v_or_b32_e32 v2, 0x80, v0
	v_cmp_gt_u32_e64 s[0:1], s30, v2
	v_mov_b32_e32 v2, s31
	s_and_saveexec_b64 s[2:3], s[0:1]
	s_cbranch_execz .LBB2008_4
; %bb.3:
	global_load_dword v2, v16, s[28:29] offset:512
.LBB2008_4:
	s_or_b64 exec, exec, s[2:3]
	v_or_b32_e32 v3, 0x100, v0
	v_cmp_gt_u32_e64 s[2:3], s30, v3
	v_mov_b32_e32 v3, s31
	s_and_saveexec_b64 s[6:7], s[2:3]
	s_cbranch_execz .LBB2008_6
; %bb.5:
	global_load_dword v3, v16, s[28:29] offset:1024
.LBB2008_6:
	;; [unrolled: 9-line block ×7, first 2 shown]
	s_or_b64 exec, exec, s[14:15]
	v_or_b32_e32 v10, 0x400, v0
	v_cmp_gt_u32_e64 s[14:15], s30, v10
	v_mov_b32_e32 v9, s31
	s_and_saveexec_b64 s[16:17], s[14:15]
	s_cbranch_execz .LBB2008_18
; %bb.17:
	v_lshlrev_b32_e32 v9, 2, v10
	global_load_dword v9, v9, s[28:29]
.LBB2008_18:
	s_or_b64 exec, exec, s[16:17]
	v_or_b32_e32 v11, 0x480, v0
	v_cmp_gt_u32_e64 s[16:17], s30, v11
	v_mov_b32_e32 v10, s31
	s_and_saveexec_b64 s[18:19], s[16:17]
	s_cbranch_execz .LBB2008_20
; %bb.19:
	v_lshlrev_b32_e32 v10, 2, v11
	global_load_dword v10, v10, s[28:29]
.LBB2008_20:
	;; [unrolled: 10-line block ×6, first 2 shown]
	s_or_b64 exec, exec, s[30:31]
	s_waitcnt vmcnt(0)
	ds_write2st64_b32 v16, v1, v2 offset1:2
	ds_write2st64_b32 v16, v3, v4 offset0:4 offset1:6
	ds_write2st64_b32 v16, v5, v6 offset0:8 offset1:10
	ds_write2st64_b32 v16, v7, v8 offset0:12 offset1:14
	ds_write2st64_b32 v16, v9, v10 offset0:16 offset1:18
	ds_write2st64_b32 v16, v11, v12 offset0:20 offset1:22
	ds_write2st64_b32 v16, v13, v14 offset0:24 offset1:26
	v_mad_u32_u24 v1, v0, 52, v16
	s_waitcnt lgkmcnt(0)
	s_barrier
	ds_read2_b64 v[2:5], v1 offset1:1
	ds_read2_b64 v[10:13], v1 offset0:2 offset1:3
	ds_read2_b64 v[6:9], v1 offset0:4 offset1:5
	ds_read_b64 v[14:15], v1 offset:48
	v_lshrrev_b32_e32 v18, 3, v0
	s_waitcnt lgkmcnt(3)
	v_cmp_lt_f32_e64 s[28:29], v2, v3
	v_cndmask_b32_e64 v17, v2, v3, s[28:29]
	v_cmp_lt_f32_e64 s[28:29], v17, v4
	v_cndmask_b32_e64 v17, v17, v4, s[28:29]
	v_cmp_lt_f32_e64 s[28:29], v17, v5
	v_cndmask_b32_e64 v17, v17, v5, s[28:29]
	s_waitcnt lgkmcnt(2)
	v_cmp_lt_f32_e64 s[28:29], v17, v10
	v_cndmask_b32_e64 v17, v17, v10, s[28:29]
	v_cmp_lt_f32_e64 s[28:29], v17, v11
	v_cndmask_b32_e64 v17, v17, v11, s[28:29]
	v_cmp_lt_f32_e64 s[28:29], v17, v12
	v_cndmask_b32_e64 v17, v17, v12, s[28:29]
	v_cmp_lt_f32_e64 s[28:29], v17, v13
	v_cndmask_b32_e64 v17, v17, v13, s[28:29]
	s_waitcnt lgkmcnt(1)
	v_cmp_lt_f32_e64 s[28:29], v17, v6
	v_cndmask_b32_e64 v17, v17, v6, s[28:29]
	;; [unrolled: 9-line block ×3, first 2 shown]
	v_cmp_lt_f32_e64 s[28:29], v17, v15
	v_and_b32_e32 v18, 12, v18
	v_cndmask_b32_e64 v17, v17, v15, s[28:29]
	v_add_u32_e32 v18, v16, v18
	v_cmp_gt_u32_e64 s[28:29], 64, v0
	s_barrier
	ds_write_b32 v18, v17
	s_waitcnt lgkmcnt(0)
	s_barrier
	s_and_saveexec_b64 s[38:39], s[28:29]
	s_cbranch_execz .LBB2008_30
; %bb.29:
	v_lshlrev_b32_e32 v18, 1, v0
	v_lshrrev_b32_e32 v19, 4, v0
	v_add_lshl_u32 v20, v19, v18, 2
	ds_read2_b32 v[18:19], v20 offset1:1
	v_mbcnt_lo_u32_b32 v21, -1, 0
	v_mbcnt_hi_u32_b32 v21, -1, v21
	v_and_b32_e32 v22, 15, v21
	v_cmp_lt_u32_e64 s[36:37], 31, v21
	s_waitcnt lgkmcnt(0)
	v_cmp_lt_f32_e64 s[28:29], v18, v19
	v_cndmask_b32_e64 v19, v18, v19, s[28:29]
	v_cmp_gt_u32_e64 s[34:35], 32, v21
	s_nop 0
	v_mov_b32_dpp v23, v19 row_shr:1 row_mask:0xf bank_mask:0xf
	v_cmp_gt_f32_e64 s[28:29], v19, v23
	v_cndmask_b32_e64 v23, v23, v19, s[28:29]
	v_cmp_eq_u32_e64 s[28:29], 0, v22
	v_cndmask_b32_e64 v19, v23, v19, s[28:29]
	; wave barrier
	s_nop 1
	v_mov_b32_dpp v23, v19 row_shr:2 row_mask:0xf bank_mask:0xf
	v_cmp_gt_f32_e64 s[28:29], v19, v23
	v_cndmask_b32_e64 v23, v23, v19, s[28:29]
	v_cmp_lt_u32_e64 s[28:29], 1, v22
	v_cndmask_b32_e64 v23, v19, v23, s[28:29]
	s_nop 1
	v_mov_b32_dpp v24, v23 row_shr:4 row_mask:0xf bank_mask:0xf
	v_cmp_gt_f32_e64 s[30:31], v23, v24
	v_cndmask_b32_e64 v24, v24, v23, s[30:31]
	v_cmp_lt_u32_e64 s[30:31], 3, v22
	v_cndmask_b32_e64 v23, v23, v24, s[30:31]
	;; [unrolled: 6-line block ×3, first 2 shown]
	v_and_b32_e32 v24, 16, v21
	s_nop 0
	v_mov_b32_dpp v23, v22 row_bcast:15 row_mask:0xf bank_mask:0xf
	v_cmp_gt_f32_e64 s[30:31], v22, v23
	v_cndmask_b32_e64 v23, v23, v22, s[30:31]
	v_cmp_ne_u32_e64 s[30:31], 0, v24
	v_cndmask_b32_e64 v22, v22, v23, s[30:31]
	s_or_b64 s[36:37], s[30:31], s[36:37]
	s_or_b64 s[28:29], s[28:29], s[36:37]
	v_mov_b32_dpp v23, v22 row_bcast:31 row_mask:0xf bank_mask:0xf
	v_cmp_gt_f32_e64 s[30:31], v22, v23
	s_or_b64 s[30:31], s[34:35], s[30:31]
	v_cndmask_b32_e64 v22, v23, v22, s[30:31]
	v_cndmask_b32_e64 v19, v19, v22, s[28:29]
	v_add_u32_e32 v22, -1, v21
	v_and_b32_e32 v23, 64, v21
	v_cmp_lt_i32_e64 s[28:29], v22, v23
	v_cndmask_b32_e64 v21, v22, v21, s[28:29]
	v_lshlrev_b32_e32 v21, 2, v21
	ds_bpermute_b32 v19, v21, v19
	s_waitcnt lgkmcnt(0)
	v_cmp_gt_f32_e64 s[28:29], v18, v19
	v_cndmask_b32_e64 v18, v19, v18, s[28:29]
	v_cmp_eq_u32_e64 s[28:29], 0, v0
	v_cndmask_b32_e64 v18, v18, v17, s[28:29]
	ds_write_b32 v20, v18
	; wave barrier
	ds_read_b32 v19, v20 offset:4
	s_waitcnt lgkmcnt(0)
	v_cmp_lt_f32_e64 s[28:29], v18, v19
	v_cndmask_b32_e64 v18, v18, v19, s[28:29]
	ds_write_b32 v20, v18 offset:4
.LBB2008_30:
	s_or_b64 exec, exec, s[38:39]
	s_load_dwordx2 s[28:29], s[4:5], 0x18
	v_cmp_ne_u32_e64 s[4:5], 0, v0
	s_waitcnt lgkmcnt(0)
	s_barrier
	s_and_saveexec_b64 s[30:31], s[4:5]
	s_cbranch_execz .LBB2008_32
; %bb.31:
	v_add_u32_e32 v17, -1, v0
	v_lshrrev_b32_e32 v18, 5, v17
	v_add_lshl_u32 v17, v18, v17, 2
	ds_read_b32 v17, v17
.LBB2008_32:
	s_or_b64 exec, exec, s[30:31]
	s_and_saveexec_b64 s[30:31], s[4:5]
	s_cbranch_execz .LBB2008_34
; %bb.33:
	s_waitcnt lgkmcnt(0)
	v_cmp_gt_f32_e64 s[4:5], v2, v17
	v_cndmask_b32_e64 v2, v17, v2, s[4:5]
	;;#ASMSTART
	;;#ASMEND
.LBB2008_34:
	s_or_b64 exec, exec, s[30:31]
	v_cmp_gt_f32_e64 s[4:5], v3, v2
	v_cndmask_b32_e64 v3, v2, v3, s[4:5]
	v_cmp_lt_f32_e64 s[4:5], v3, v4
	v_cndmask_b32_e64 v4, v3, v4, s[4:5]
	v_cmp_lt_f32_e64 s[4:5], v4, v5
	;; [unrolled: 2-line block ×12, first 2 shown]
	v_cndmask_b32_e64 v15, v14, v15, s[4:5]
	s_movk_i32 s4, 0xffcc
	v_mad_i32_i24 v0, v0, s4, v1
	s_waitcnt lgkmcnt(0)
	s_barrier
	ds_write2_b64 v1, v[2:3], v[4:5] offset1:1
	ds_write2_b64 v1, v[10:11], v[12:13] offset0:2 offset1:3
	ds_write2_b64 v1, v[6:7], v[8:9] offset0:4 offset1:5
	ds_write_b64 v1, v[14:15] offset:48
	s_waitcnt lgkmcnt(0)
	s_barrier
	ds_read2st64_b32 v[12:13], v0 offset0:2 offset1:4
	ds_read2st64_b32 v[10:11], v0 offset0:6 offset1:8
	;; [unrolled: 1-line block ×4, first 2 shown]
	ds_read_b32 v14, v16 offset:4096
	ds_read2st64_b32 v[4:5], v0 offset0:20 offset1:22
	ds_read2st64_b32 v[0:1], v0 offset0:24 offset1:26
	v_mov_b32_e32 v3, s29
	v_add_co_u32_e64 v2, s[4:5], s28, v16
	v_addc_co_u32_e64 v3, s[4:5], 0, v3, s[4:5]
	s_and_saveexec_b64 s[4:5], vcc
	s_cbranch_execnz .LBB2008_49
; %bb.35:
	s_or_b64 exec, exec, s[4:5]
	s_and_saveexec_b64 s[4:5], s[0:1]
	s_cbranch_execnz .LBB2008_50
.LBB2008_36:
	s_or_b64 exec, exec, s[4:5]
	s_and_saveexec_b64 s[0:1], s[2:3]
	s_cbranch_execnz .LBB2008_51
.LBB2008_37:
	s_or_b64 exec, exec, s[0:1]
	s_and_saveexec_b64 s[0:1], s[26:27]
	s_cbranch_execnz .LBB2008_52
.LBB2008_38:
	s_or_b64 exec, exec, s[0:1]
	s_and_saveexec_b64 s[0:1], s[6:7]
	s_cbranch_execnz .LBB2008_53
.LBB2008_39:
	s_or_b64 exec, exec, s[0:1]
	s_and_saveexec_b64 s[0:1], s[8:9]
	s_cbranch_execnz .LBB2008_54
.LBB2008_40:
	s_or_b64 exec, exec, s[0:1]
	s_and_saveexec_b64 s[0:1], s[10:11]
	s_cbranch_execnz .LBB2008_55
.LBB2008_41:
	s_or_b64 exec, exec, s[0:1]
	s_and_saveexec_b64 s[0:1], s[12:13]
	s_cbranch_execnz .LBB2008_56
.LBB2008_42:
	s_or_b64 exec, exec, s[0:1]
	s_and_saveexec_b64 s[0:1], s[14:15]
	s_cbranch_execnz .LBB2008_57
.LBB2008_43:
	s_or_b64 exec, exec, s[0:1]
	s_and_saveexec_b64 s[0:1], s[16:17]
	s_cbranch_execnz .LBB2008_58
.LBB2008_44:
	s_or_b64 exec, exec, s[0:1]
	s_and_saveexec_b64 s[0:1], s[18:19]
	s_cbranch_execnz .LBB2008_59
.LBB2008_45:
	s_or_b64 exec, exec, s[0:1]
	s_and_saveexec_b64 s[0:1], s[20:21]
	s_cbranch_execnz .LBB2008_60
.LBB2008_46:
	s_or_b64 exec, exec, s[0:1]
	s_and_saveexec_b64 s[0:1], s[22:23]
	s_cbranch_execnz .LBB2008_61
.LBB2008_47:
	s_or_b64 exec, exec, s[0:1]
	s_and_saveexec_b64 s[0:1], s[24:25]
	s_cbranch_execnz .LBB2008_62
.LBB2008_48:
	s_endpgm
.LBB2008_49:
	ds_read_b32 v15, v16
	s_waitcnt lgkmcnt(0)
	global_store_dword v[2:3], v15, off
	s_or_b64 exec, exec, s[4:5]
	s_and_saveexec_b64 s[4:5], s[0:1]
	s_cbranch_execz .LBB2008_36
.LBB2008_50:
	s_waitcnt lgkmcnt(6)
	global_store_dword v[2:3], v12, off offset:512
	s_or_b64 exec, exec, s[4:5]
	s_and_saveexec_b64 s[0:1], s[2:3]
	s_cbranch_execz .LBB2008_37
.LBB2008_51:
	s_waitcnt lgkmcnt(6)
	global_store_dword v[2:3], v13, off offset:1024
	s_or_b64 exec, exec, s[0:1]
	s_and_saveexec_b64 s[0:1], s[26:27]
	s_cbranch_execz .LBB2008_38
.LBB2008_52:
	s_waitcnt lgkmcnt(5)
	global_store_dword v[2:3], v10, off offset:1536
	s_or_b64 exec, exec, s[0:1]
	s_and_saveexec_b64 s[0:1], s[6:7]
	s_cbranch_execz .LBB2008_39
.LBB2008_53:
	s_waitcnt lgkmcnt(5)
	global_store_dword v[2:3], v11, off offset:2048
	s_or_b64 exec, exec, s[0:1]
	s_and_saveexec_b64 s[0:1], s[8:9]
	s_cbranch_execz .LBB2008_40
.LBB2008_54:
	s_waitcnt lgkmcnt(4)
	global_store_dword v[2:3], v8, off offset:2560
	s_or_b64 exec, exec, s[0:1]
	s_and_saveexec_b64 s[0:1], s[10:11]
	s_cbranch_execz .LBB2008_41
.LBB2008_55:
	s_waitcnt lgkmcnt(4)
	global_store_dword v[2:3], v9, off offset:3072
	s_or_b64 exec, exec, s[0:1]
	s_and_saveexec_b64 s[0:1], s[12:13]
	s_cbranch_execz .LBB2008_42
.LBB2008_56:
	s_waitcnt lgkmcnt(3)
	global_store_dword v[2:3], v6, off offset:3584
	s_or_b64 exec, exec, s[0:1]
	s_and_saveexec_b64 s[0:1], s[14:15]
	s_cbranch_execz .LBB2008_43
.LBB2008_57:
	s_waitcnt lgkmcnt(4)
	v_add_co_u32_e32 v8, vcc, 0x1000, v2
	v_addc_co_u32_e32 v9, vcc, 0, v3, vcc
	s_waitcnt lgkmcnt(2)
	global_store_dword v[8:9], v14, off
	s_or_b64 exec, exec, s[0:1]
	s_and_saveexec_b64 s[0:1], s[16:17]
	s_cbranch_execz .LBB2008_44
.LBB2008_58:
	s_waitcnt lgkmcnt(4)
	v_add_co_u32_e32 v8, vcc, 0x1000, v2
	v_addc_co_u32_e32 v9, vcc, 0, v3, vcc
	s_waitcnt lgkmcnt(3)
	global_store_dword v[8:9], v7, off offset:512
	s_or_b64 exec, exec, s[0:1]
	s_and_saveexec_b64 s[0:1], s[18:19]
	s_cbranch_execz .LBB2008_45
.LBB2008_59:
	s_waitcnt lgkmcnt(3)
	v_add_co_u32_e32 v6, vcc, 0x1000, v2
	v_addc_co_u32_e32 v7, vcc, 0, v3, vcc
	s_waitcnt lgkmcnt(1)
	global_store_dword v[6:7], v4, off offset:1024
	s_or_b64 exec, exec, s[0:1]
	s_and_saveexec_b64 s[0:1], s[20:21]
	s_cbranch_execz .LBB2008_46
.LBB2008_60:
	s_waitcnt lgkmcnt(3)
	v_add_co_u32_e32 v6, vcc, 0x1000, v2
	v_addc_co_u32_e32 v7, vcc, 0, v3, vcc
	s_waitcnt lgkmcnt(1)
	global_store_dword v[6:7], v5, off offset:1536
	s_or_b64 exec, exec, s[0:1]
	s_and_saveexec_b64 s[0:1], s[22:23]
	s_cbranch_execz .LBB2008_47
.LBB2008_61:
	s_waitcnt lgkmcnt(1)
	v_add_co_u32_e32 v4, vcc, 0x1000, v2
	v_addc_co_u32_e32 v5, vcc, 0, v3, vcc
	s_waitcnt lgkmcnt(0)
	global_store_dword v[4:5], v0, off offset:2048
	s_or_b64 exec, exec, s[0:1]
	s_and_saveexec_b64 s[0:1], s[24:25]
	s_cbranch_execz .LBB2008_48
.LBB2008_62:
	v_add_co_u32_e32 v2, vcc, 0x1000, v2
	v_addc_co_u32_e32 v3, vcc, 0, v3, vcc
	s_waitcnt lgkmcnt(0)
	global_store_dword v[2:3], v1, off offset:2560
	s_endpgm
	.section	.rodata,"a",@progbits
	.p2align	6, 0x0
	.amdhsa_kernel _ZN7rocprim17ROCPRIM_400000_NS6detail17trampoline_kernelINS0_14default_configENS1_20scan_config_selectorIfEEZZNS1_9scan_implILNS1_25lookback_scan_determinismE0ELb0ELb0ES3_N6thrust23THRUST_200600_302600_NS6detail15normal_iteratorINS9_10device_ptrIfEEEESE_f11max_functorIfEfEEDaPvRmT3_T4_T5_mT6_P12ihipStream_tbENKUlT_T0_E_clISt17integral_constantIbLb0EEST_IbLb1EEEEDaSP_SQ_EUlSP_E0_NS1_11comp_targetILNS1_3genE4ELNS1_11target_archE910ELNS1_3gpuE8ELNS1_3repE0EEENS1_30default_config_static_selectorELNS0_4arch9wavefront6targetE1EEEvT1_
		.amdhsa_group_segment_fixed_size 7168
		.amdhsa_private_segment_fixed_size 0
		.amdhsa_kernarg_size 32
		.amdhsa_user_sgpr_count 6
		.amdhsa_user_sgpr_private_segment_buffer 1
		.amdhsa_user_sgpr_dispatch_ptr 0
		.amdhsa_user_sgpr_queue_ptr 0
		.amdhsa_user_sgpr_kernarg_segment_ptr 1
		.amdhsa_user_sgpr_dispatch_id 0
		.amdhsa_user_sgpr_flat_scratch_init 0
		.amdhsa_user_sgpr_kernarg_preload_length 0
		.amdhsa_user_sgpr_kernarg_preload_offset 0
		.amdhsa_user_sgpr_private_segment_size 0
		.amdhsa_uses_dynamic_stack 0
		.amdhsa_system_sgpr_private_segment_wavefront_offset 0
		.amdhsa_system_sgpr_workgroup_id_x 1
		.amdhsa_system_sgpr_workgroup_id_y 0
		.amdhsa_system_sgpr_workgroup_id_z 0
		.amdhsa_system_sgpr_workgroup_info 0
		.amdhsa_system_vgpr_workitem_id 0
		.amdhsa_next_free_vgpr 25
		.amdhsa_next_free_sgpr 40
		.amdhsa_accum_offset 28
		.amdhsa_reserve_vcc 1
		.amdhsa_reserve_flat_scratch 0
		.amdhsa_float_round_mode_32 0
		.amdhsa_float_round_mode_16_64 0
		.amdhsa_float_denorm_mode_32 3
		.amdhsa_float_denorm_mode_16_64 3
		.amdhsa_dx10_clamp 1
		.amdhsa_ieee_mode 1
		.amdhsa_fp16_overflow 0
		.amdhsa_tg_split 0
		.amdhsa_exception_fp_ieee_invalid_op 0
		.amdhsa_exception_fp_denorm_src 0
		.amdhsa_exception_fp_ieee_div_zero 0
		.amdhsa_exception_fp_ieee_overflow 0
		.amdhsa_exception_fp_ieee_underflow 0
		.amdhsa_exception_fp_ieee_inexact 0
		.amdhsa_exception_int_div_zero 0
	.end_amdhsa_kernel
	.section	.text._ZN7rocprim17ROCPRIM_400000_NS6detail17trampoline_kernelINS0_14default_configENS1_20scan_config_selectorIfEEZZNS1_9scan_implILNS1_25lookback_scan_determinismE0ELb0ELb0ES3_N6thrust23THRUST_200600_302600_NS6detail15normal_iteratorINS9_10device_ptrIfEEEESE_f11max_functorIfEfEEDaPvRmT3_T4_T5_mT6_P12ihipStream_tbENKUlT_T0_E_clISt17integral_constantIbLb0EEST_IbLb1EEEEDaSP_SQ_EUlSP_E0_NS1_11comp_targetILNS1_3genE4ELNS1_11target_archE910ELNS1_3gpuE8ELNS1_3repE0EEENS1_30default_config_static_selectorELNS0_4arch9wavefront6targetE1EEEvT1_,"axG",@progbits,_ZN7rocprim17ROCPRIM_400000_NS6detail17trampoline_kernelINS0_14default_configENS1_20scan_config_selectorIfEEZZNS1_9scan_implILNS1_25lookback_scan_determinismE0ELb0ELb0ES3_N6thrust23THRUST_200600_302600_NS6detail15normal_iteratorINS9_10device_ptrIfEEEESE_f11max_functorIfEfEEDaPvRmT3_T4_T5_mT6_P12ihipStream_tbENKUlT_T0_E_clISt17integral_constantIbLb0EEST_IbLb1EEEEDaSP_SQ_EUlSP_E0_NS1_11comp_targetILNS1_3genE4ELNS1_11target_archE910ELNS1_3gpuE8ELNS1_3repE0EEENS1_30default_config_static_selectorELNS0_4arch9wavefront6targetE1EEEvT1_,comdat
.Lfunc_end2008:
	.size	_ZN7rocprim17ROCPRIM_400000_NS6detail17trampoline_kernelINS0_14default_configENS1_20scan_config_selectorIfEEZZNS1_9scan_implILNS1_25lookback_scan_determinismE0ELb0ELb0ES3_N6thrust23THRUST_200600_302600_NS6detail15normal_iteratorINS9_10device_ptrIfEEEESE_f11max_functorIfEfEEDaPvRmT3_T4_T5_mT6_P12ihipStream_tbENKUlT_T0_E_clISt17integral_constantIbLb0EEST_IbLb1EEEEDaSP_SQ_EUlSP_E0_NS1_11comp_targetILNS1_3genE4ELNS1_11target_archE910ELNS1_3gpuE8ELNS1_3repE0EEENS1_30default_config_static_selectorELNS0_4arch9wavefront6targetE1EEEvT1_, .Lfunc_end2008-_ZN7rocprim17ROCPRIM_400000_NS6detail17trampoline_kernelINS0_14default_configENS1_20scan_config_selectorIfEEZZNS1_9scan_implILNS1_25lookback_scan_determinismE0ELb0ELb0ES3_N6thrust23THRUST_200600_302600_NS6detail15normal_iteratorINS9_10device_ptrIfEEEESE_f11max_functorIfEfEEDaPvRmT3_T4_T5_mT6_P12ihipStream_tbENKUlT_T0_E_clISt17integral_constantIbLb0EEST_IbLb1EEEEDaSP_SQ_EUlSP_E0_NS1_11comp_targetILNS1_3genE4ELNS1_11target_archE910ELNS1_3gpuE8ELNS1_3repE0EEENS1_30default_config_static_selectorELNS0_4arch9wavefront6targetE1EEEvT1_
                                        ; -- End function
	.section	.AMDGPU.csdata,"",@progbits
; Kernel info:
; codeLenInByte = 2480
; NumSgprs: 44
; NumVgprs: 25
; NumAgprs: 0
; TotalNumVgprs: 25
; ScratchSize: 0
; MemoryBound: 0
; FloatMode: 240
; IeeeMode: 1
; LDSByteSize: 7168 bytes/workgroup (compile time only)
; SGPRBlocks: 5
; VGPRBlocks: 3
; NumSGPRsForWavesPerEU: 44
; NumVGPRsForWavesPerEU: 25
; AccumOffset: 28
; Occupancy: 5
; WaveLimiterHint : 0
; COMPUTE_PGM_RSRC2:SCRATCH_EN: 0
; COMPUTE_PGM_RSRC2:USER_SGPR: 6
; COMPUTE_PGM_RSRC2:TRAP_HANDLER: 0
; COMPUTE_PGM_RSRC2:TGID_X_EN: 1
; COMPUTE_PGM_RSRC2:TGID_Y_EN: 0
; COMPUTE_PGM_RSRC2:TGID_Z_EN: 0
; COMPUTE_PGM_RSRC2:TIDIG_COMP_CNT: 0
; COMPUTE_PGM_RSRC3_GFX90A:ACCUM_OFFSET: 6
; COMPUTE_PGM_RSRC3_GFX90A:TG_SPLIT: 0
	.section	.text._ZN7rocprim17ROCPRIM_400000_NS6detail17trampoline_kernelINS0_14default_configENS1_20scan_config_selectorIfEEZZNS1_9scan_implILNS1_25lookback_scan_determinismE0ELb0ELb0ES3_N6thrust23THRUST_200600_302600_NS6detail15normal_iteratorINS9_10device_ptrIfEEEESE_f11max_functorIfEfEEDaPvRmT3_T4_T5_mT6_P12ihipStream_tbENKUlT_T0_E_clISt17integral_constantIbLb0EEST_IbLb1EEEEDaSP_SQ_EUlSP_E0_NS1_11comp_targetILNS1_3genE3ELNS1_11target_archE908ELNS1_3gpuE7ELNS1_3repE0EEENS1_30default_config_static_selectorELNS0_4arch9wavefront6targetE1EEEvT1_,"axG",@progbits,_ZN7rocprim17ROCPRIM_400000_NS6detail17trampoline_kernelINS0_14default_configENS1_20scan_config_selectorIfEEZZNS1_9scan_implILNS1_25lookback_scan_determinismE0ELb0ELb0ES3_N6thrust23THRUST_200600_302600_NS6detail15normal_iteratorINS9_10device_ptrIfEEEESE_f11max_functorIfEfEEDaPvRmT3_T4_T5_mT6_P12ihipStream_tbENKUlT_T0_E_clISt17integral_constantIbLb0EEST_IbLb1EEEEDaSP_SQ_EUlSP_E0_NS1_11comp_targetILNS1_3genE3ELNS1_11target_archE908ELNS1_3gpuE7ELNS1_3repE0EEENS1_30default_config_static_selectorELNS0_4arch9wavefront6targetE1EEEvT1_,comdat
	.protected	_ZN7rocprim17ROCPRIM_400000_NS6detail17trampoline_kernelINS0_14default_configENS1_20scan_config_selectorIfEEZZNS1_9scan_implILNS1_25lookback_scan_determinismE0ELb0ELb0ES3_N6thrust23THRUST_200600_302600_NS6detail15normal_iteratorINS9_10device_ptrIfEEEESE_f11max_functorIfEfEEDaPvRmT3_T4_T5_mT6_P12ihipStream_tbENKUlT_T0_E_clISt17integral_constantIbLb0EEST_IbLb1EEEEDaSP_SQ_EUlSP_E0_NS1_11comp_targetILNS1_3genE3ELNS1_11target_archE908ELNS1_3gpuE7ELNS1_3repE0EEENS1_30default_config_static_selectorELNS0_4arch9wavefront6targetE1EEEvT1_ ; -- Begin function _ZN7rocprim17ROCPRIM_400000_NS6detail17trampoline_kernelINS0_14default_configENS1_20scan_config_selectorIfEEZZNS1_9scan_implILNS1_25lookback_scan_determinismE0ELb0ELb0ES3_N6thrust23THRUST_200600_302600_NS6detail15normal_iteratorINS9_10device_ptrIfEEEESE_f11max_functorIfEfEEDaPvRmT3_T4_T5_mT6_P12ihipStream_tbENKUlT_T0_E_clISt17integral_constantIbLb0EEST_IbLb1EEEEDaSP_SQ_EUlSP_E0_NS1_11comp_targetILNS1_3genE3ELNS1_11target_archE908ELNS1_3gpuE7ELNS1_3repE0EEENS1_30default_config_static_selectorELNS0_4arch9wavefront6targetE1EEEvT1_
	.globl	_ZN7rocprim17ROCPRIM_400000_NS6detail17trampoline_kernelINS0_14default_configENS1_20scan_config_selectorIfEEZZNS1_9scan_implILNS1_25lookback_scan_determinismE0ELb0ELb0ES3_N6thrust23THRUST_200600_302600_NS6detail15normal_iteratorINS9_10device_ptrIfEEEESE_f11max_functorIfEfEEDaPvRmT3_T4_T5_mT6_P12ihipStream_tbENKUlT_T0_E_clISt17integral_constantIbLb0EEST_IbLb1EEEEDaSP_SQ_EUlSP_E0_NS1_11comp_targetILNS1_3genE3ELNS1_11target_archE908ELNS1_3gpuE7ELNS1_3repE0EEENS1_30default_config_static_selectorELNS0_4arch9wavefront6targetE1EEEvT1_
	.p2align	8
	.type	_ZN7rocprim17ROCPRIM_400000_NS6detail17trampoline_kernelINS0_14default_configENS1_20scan_config_selectorIfEEZZNS1_9scan_implILNS1_25lookback_scan_determinismE0ELb0ELb0ES3_N6thrust23THRUST_200600_302600_NS6detail15normal_iteratorINS9_10device_ptrIfEEEESE_f11max_functorIfEfEEDaPvRmT3_T4_T5_mT6_P12ihipStream_tbENKUlT_T0_E_clISt17integral_constantIbLb0EEST_IbLb1EEEEDaSP_SQ_EUlSP_E0_NS1_11comp_targetILNS1_3genE3ELNS1_11target_archE908ELNS1_3gpuE7ELNS1_3repE0EEENS1_30default_config_static_selectorELNS0_4arch9wavefront6targetE1EEEvT1_,@function
_ZN7rocprim17ROCPRIM_400000_NS6detail17trampoline_kernelINS0_14default_configENS1_20scan_config_selectorIfEEZZNS1_9scan_implILNS1_25lookback_scan_determinismE0ELb0ELb0ES3_N6thrust23THRUST_200600_302600_NS6detail15normal_iteratorINS9_10device_ptrIfEEEESE_f11max_functorIfEfEEDaPvRmT3_T4_T5_mT6_P12ihipStream_tbENKUlT_T0_E_clISt17integral_constantIbLb0EEST_IbLb1EEEEDaSP_SQ_EUlSP_E0_NS1_11comp_targetILNS1_3genE3ELNS1_11target_archE908ELNS1_3gpuE7ELNS1_3repE0EEENS1_30default_config_static_selectorELNS0_4arch9wavefront6targetE1EEEvT1_: ; @_ZN7rocprim17ROCPRIM_400000_NS6detail17trampoline_kernelINS0_14default_configENS1_20scan_config_selectorIfEEZZNS1_9scan_implILNS1_25lookback_scan_determinismE0ELb0ELb0ES3_N6thrust23THRUST_200600_302600_NS6detail15normal_iteratorINS9_10device_ptrIfEEEESE_f11max_functorIfEfEEDaPvRmT3_T4_T5_mT6_P12ihipStream_tbENKUlT_T0_E_clISt17integral_constantIbLb0EEST_IbLb1EEEEDaSP_SQ_EUlSP_E0_NS1_11comp_targetILNS1_3genE3ELNS1_11target_archE908ELNS1_3gpuE7ELNS1_3repE0EEENS1_30default_config_static_selectorELNS0_4arch9wavefront6targetE1EEEvT1_
; %bb.0:
	.section	.rodata,"a",@progbits
	.p2align	6, 0x0
	.amdhsa_kernel _ZN7rocprim17ROCPRIM_400000_NS6detail17trampoline_kernelINS0_14default_configENS1_20scan_config_selectorIfEEZZNS1_9scan_implILNS1_25lookback_scan_determinismE0ELb0ELb0ES3_N6thrust23THRUST_200600_302600_NS6detail15normal_iteratorINS9_10device_ptrIfEEEESE_f11max_functorIfEfEEDaPvRmT3_T4_T5_mT6_P12ihipStream_tbENKUlT_T0_E_clISt17integral_constantIbLb0EEST_IbLb1EEEEDaSP_SQ_EUlSP_E0_NS1_11comp_targetILNS1_3genE3ELNS1_11target_archE908ELNS1_3gpuE7ELNS1_3repE0EEENS1_30default_config_static_selectorELNS0_4arch9wavefront6targetE1EEEvT1_
		.amdhsa_group_segment_fixed_size 0
		.amdhsa_private_segment_fixed_size 0
		.amdhsa_kernarg_size 32
		.amdhsa_user_sgpr_count 6
		.amdhsa_user_sgpr_private_segment_buffer 1
		.amdhsa_user_sgpr_dispatch_ptr 0
		.amdhsa_user_sgpr_queue_ptr 0
		.amdhsa_user_sgpr_kernarg_segment_ptr 1
		.amdhsa_user_sgpr_dispatch_id 0
		.amdhsa_user_sgpr_flat_scratch_init 0
		.amdhsa_user_sgpr_kernarg_preload_length 0
		.amdhsa_user_sgpr_kernarg_preload_offset 0
		.amdhsa_user_sgpr_private_segment_size 0
		.amdhsa_uses_dynamic_stack 0
		.amdhsa_system_sgpr_private_segment_wavefront_offset 0
		.amdhsa_system_sgpr_workgroup_id_x 1
		.amdhsa_system_sgpr_workgroup_id_y 0
		.amdhsa_system_sgpr_workgroup_id_z 0
		.amdhsa_system_sgpr_workgroup_info 0
		.amdhsa_system_vgpr_workitem_id 0
		.amdhsa_next_free_vgpr 1
		.amdhsa_next_free_sgpr 0
		.amdhsa_accum_offset 4
		.amdhsa_reserve_vcc 0
		.amdhsa_reserve_flat_scratch 0
		.amdhsa_float_round_mode_32 0
		.amdhsa_float_round_mode_16_64 0
		.amdhsa_float_denorm_mode_32 3
		.amdhsa_float_denorm_mode_16_64 3
		.amdhsa_dx10_clamp 1
		.amdhsa_ieee_mode 1
		.amdhsa_fp16_overflow 0
		.amdhsa_tg_split 0
		.amdhsa_exception_fp_ieee_invalid_op 0
		.amdhsa_exception_fp_denorm_src 0
		.amdhsa_exception_fp_ieee_div_zero 0
		.amdhsa_exception_fp_ieee_overflow 0
		.amdhsa_exception_fp_ieee_underflow 0
		.amdhsa_exception_fp_ieee_inexact 0
		.amdhsa_exception_int_div_zero 0
	.end_amdhsa_kernel
	.section	.text._ZN7rocprim17ROCPRIM_400000_NS6detail17trampoline_kernelINS0_14default_configENS1_20scan_config_selectorIfEEZZNS1_9scan_implILNS1_25lookback_scan_determinismE0ELb0ELb0ES3_N6thrust23THRUST_200600_302600_NS6detail15normal_iteratorINS9_10device_ptrIfEEEESE_f11max_functorIfEfEEDaPvRmT3_T4_T5_mT6_P12ihipStream_tbENKUlT_T0_E_clISt17integral_constantIbLb0EEST_IbLb1EEEEDaSP_SQ_EUlSP_E0_NS1_11comp_targetILNS1_3genE3ELNS1_11target_archE908ELNS1_3gpuE7ELNS1_3repE0EEENS1_30default_config_static_selectorELNS0_4arch9wavefront6targetE1EEEvT1_,"axG",@progbits,_ZN7rocprim17ROCPRIM_400000_NS6detail17trampoline_kernelINS0_14default_configENS1_20scan_config_selectorIfEEZZNS1_9scan_implILNS1_25lookback_scan_determinismE0ELb0ELb0ES3_N6thrust23THRUST_200600_302600_NS6detail15normal_iteratorINS9_10device_ptrIfEEEESE_f11max_functorIfEfEEDaPvRmT3_T4_T5_mT6_P12ihipStream_tbENKUlT_T0_E_clISt17integral_constantIbLb0EEST_IbLb1EEEEDaSP_SQ_EUlSP_E0_NS1_11comp_targetILNS1_3genE3ELNS1_11target_archE908ELNS1_3gpuE7ELNS1_3repE0EEENS1_30default_config_static_selectorELNS0_4arch9wavefront6targetE1EEEvT1_,comdat
.Lfunc_end2009:
	.size	_ZN7rocprim17ROCPRIM_400000_NS6detail17trampoline_kernelINS0_14default_configENS1_20scan_config_selectorIfEEZZNS1_9scan_implILNS1_25lookback_scan_determinismE0ELb0ELb0ES3_N6thrust23THRUST_200600_302600_NS6detail15normal_iteratorINS9_10device_ptrIfEEEESE_f11max_functorIfEfEEDaPvRmT3_T4_T5_mT6_P12ihipStream_tbENKUlT_T0_E_clISt17integral_constantIbLb0EEST_IbLb1EEEEDaSP_SQ_EUlSP_E0_NS1_11comp_targetILNS1_3genE3ELNS1_11target_archE908ELNS1_3gpuE7ELNS1_3repE0EEENS1_30default_config_static_selectorELNS0_4arch9wavefront6targetE1EEEvT1_, .Lfunc_end2009-_ZN7rocprim17ROCPRIM_400000_NS6detail17trampoline_kernelINS0_14default_configENS1_20scan_config_selectorIfEEZZNS1_9scan_implILNS1_25lookback_scan_determinismE0ELb0ELb0ES3_N6thrust23THRUST_200600_302600_NS6detail15normal_iteratorINS9_10device_ptrIfEEEESE_f11max_functorIfEfEEDaPvRmT3_T4_T5_mT6_P12ihipStream_tbENKUlT_T0_E_clISt17integral_constantIbLb0EEST_IbLb1EEEEDaSP_SQ_EUlSP_E0_NS1_11comp_targetILNS1_3genE3ELNS1_11target_archE908ELNS1_3gpuE7ELNS1_3repE0EEENS1_30default_config_static_selectorELNS0_4arch9wavefront6targetE1EEEvT1_
                                        ; -- End function
	.section	.AMDGPU.csdata,"",@progbits
; Kernel info:
; codeLenInByte = 0
; NumSgprs: 4
; NumVgprs: 0
; NumAgprs: 0
; TotalNumVgprs: 0
; ScratchSize: 0
; MemoryBound: 0
; FloatMode: 240
; IeeeMode: 1
; LDSByteSize: 0 bytes/workgroup (compile time only)
; SGPRBlocks: 0
; VGPRBlocks: 0
; NumSGPRsForWavesPerEU: 4
; NumVGPRsForWavesPerEU: 1
; AccumOffset: 4
; Occupancy: 8
; WaveLimiterHint : 0
; COMPUTE_PGM_RSRC2:SCRATCH_EN: 0
; COMPUTE_PGM_RSRC2:USER_SGPR: 6
; COMPUTE_PGM_RSRC2:TRAP_HANDLER: 0
; COMPUTE_PGM_RSRC2:TGID_X_EN: 1
; COMPUTE_PGM_RSRC2:TGID_Y_EN: 0
; COMPUTE_PGM_RSRC2:TGID_Z_EN: 0
; COMPUTE_PGM_RSRC2:TIDIG_COMP_CNT: 0
; COMPUTE_PGM_RSRC3_GFX90A:ACCUM_OFFSET: 0
; COMPUTE_PGM_RSRC3_GFX90A:TG_SPLIT: 0
	.section	.text._ZN7rocprim17ROCPRIM_400000_NS6detail17trampoline_kernelINS0_14default_configENS1_20scan_config_selectorIfEEZZNS1_9scan_implILNS1_25lookback_scan_determinismE0ELb0ELb0ES3_N6thrust23THRUST_200600_302600_NS6detail15normal_iteratorINS9_10device_ptrIfEEEESE_f11max_functorIfEfEEDaPvRmT3_T4_T5_mT6_P12ihipStream_tbENKUlT_T0_E_clISt17integral_constantIbLb0EEST_IbLb1EEEEDaSP_SQ_EUlSP_E0_NS1_11comp_targetILNS1_3genE2ELNS1_11target_archE906ELNS1_3gpuE6ELNS1_3repE0EEENS1_30default_config_static_selectorELNS0_4arch9wavefront6targetE1EEEvT1_,"axG",@progbits,_ZN7rocprim17ROCPRIM_400000_NS6detail17trampoline_kernelINS0_14default_configENS1_20scan_config_selectorIfEEZZNS1_9scan_implILNS1_25lookback_scan_determinismE0ELb0ELb0ES3_N6thrust23THRUST_200600_302600_NS6detail15normal_iteratorINS9_10device_ptrIfEEEESE_f11max_functorIfEfEEDaPvRmT3_T4_T5_mT6_P12ihipStream_tbENKUlT_T0_E_clISt17integral_constantIbLb0EEST_IbLb1EEEEDaSP_SQ_EUlSP_E0_NS1_11comp_targetILNS1_3genE2ELNS1_11target_archE906ELNS1_3gpuE6ELNS1_3repE0EEENS1_30default_config_static_selectorELNS0_4arch9wavefront6targetE1EEEvT1_,comdat
	.protected	_ZN7rocprim17ROCPRIM_400000_NS6detail17trampoline_kernelINS0_14default_configENS1_20scan_config_selectorIfEEZZNS1_9scan_implILNS1_25lookback_scan_determinismE0ELb0ELb0ES3_N6thrust23THRUST_200600_302600_NS6detail15normal_iteratorINS9_10device_ptrIfEEEESE_f11max_functorIfEfEEDaPvRmT3_T4_T5_mT6_P12ihipStream_tbENKUlT_T0_E_clISt17integral_constantIbLb0EEST_IbLb1EEEEDaSP_SQ_EUlSP_E0_NS1_11comp_targetILNS1_3genE2ELNS1_11target_archE906ELNS1_3gpuE6ELNS1_3repE0EEENS1_30default_config_static_selectorELNS0_4arch9wavefront6targetE1EEEvT1_ ; -- Begin function _ZN7rocprim17ROCPRIM_400000_NS6detail17trampoline_kernelINS0_14default_configENS1_20scan_config_selectorIfEEZZNS1_9scan_implILNS1_25lookback_scan_determinismE0ELb0ELb0ES3_N6thrust23THRUST_200600_302600_NS6detail15normal_iteratorINS9_10device_ptrIfEEEESE_f11max_functorIfEfEEDaPvRmT3_T4_T5_mT6_P12ihipStream_tbENKUlT_T0_E_clISt17integral_constantIbLb0EEST_IbLb1EEEEDaSP_SQ_EUlSP_E0_NS1_11comp_targetILNS1_3genE2ELNS1_11target_archE906ELNS1_3gpuE6ELNS1_3repE0EEENS1_30default_config_static_selectorELNS0_4arch9wavefront6targetE1EEEvT1_
	.globl	_ZN7rocprim17ROCPRIM_400000_NS6detail17trampoline_kernelINS0_14default_configENS1_20scan_config_selectorIfEEZZNS1_9scan_implILNS1_25lookback_scan_determinismE0ELb0ELb0ES3_N6thrust23THRUST_200600_302600_NS6detail15normal_iteratorINS9_10device_ptrIfEEEESE_f11max_functorIfEfEEDaPvRmT3_T4_T5_mT6_P12ihipStream_tbENKUlT_T0_E_clISt17integral_constantIbLb0EEST_IbLb1EEEEDaSP_SQ_EUlSP_E0_NS1_11comp_targetILNS1_3genE2ELNS1_11target_archE906ELNS1_3gpuE6ELNS1_3repE0EEENS1_30default_config_static_selectorELNS0_4arch9wavefront6targetE1EEEvT1_
	.p2align	8
	.type	_ZN7rocprim17ROCPRIM_400000_NS6detail17trampoline_kernelINS0_14default_configENS1_20scan_config_selectorIfEEZZNS1_9scan_implILNS1_25lookback_scan_determinismE0ELb0ELb0ES3_N6thrust23THRUST_200600_302600_NS6detail15normal_iteratorINS9_10device_ptrIfEEEESE_f11max_functorIfEfEEDaPvRmT3_T4_T5_mT6_P12ihipStream_tbENKUlT_T0_E_clISt17integral_constantIbLb0EEST_IbLb1EEEEDaSP_SQ_EUlSP_E0_NS1_11comp_targetILNS1_3genE2ELNS1_11target_archE906ELNS1_3gpuE6ELNS1_3repE0EEENS1_30default_config_static_selectorELNS0_4arch9wavefront6targetE1EEEvT1_,@function
_ZN7rocprim17ROCPRIM_400000_NS6detail17trampoline_kernelINS0_14default_configENS1_20scan_config_selectorIfEEZZNS1_9scan_implILNS1_25lookback_scan_determinismE0ELb0ELb0ES3_N6thrust23THRUST_200600_302600_NS6detail15normal_iteratorINS9_10device_ptrIfEEEESE_f11max_functorIfEfEEDaPvRmT3_T4_T5_mT6_P12ihipStream_tbENKUlT_T0_E_clISt17integral_constantIbLb0EEST_IbLb1EEEEDaSP_SQ_EUlSP_E0_NS1_11comp_targetILNS1_3genE2ELNS1_11target_archE906ELNS1_3gpuE6ELNS1_3repE0EEENS1_30default_config_static_selectorELNS0_4arch9wavefront6targetE1EEEvT1_: ; @_ZN7rocprim17ROCPRIM_400000_NS6detail17trampoline_kernelINS0_14default_configENS1_20scan_config_selectorIfEEZZNS1_9scan_implILNS1_25lookback_scan_determinismE0ELb0ELb0ES3_N6thrust23THRUST_200600_302600_NS6detail15normal_iteratorINS9_10device_ptrIfEEEESE_f11max_functorIfEfEEDaPvRmT3_T4_T5_mT6_P12ihipStream_tbENKUlT_T0_E_clISt17integral_constantIbLb0EEST_IbLb1EEEEDaSP_SQ_EUlSP_E0_NS1_11comp_targetILNS1_3genE2ELNS1_11target_archE906ELNS1_3gpuE6ELNS1_3repE0EEENS1_30default_config_static_selectorELNS0_4arch9wavefront6targetE1EEEvT1_
; %bb.0:
	.section	.rodata,"a",@progbits
	.p2align	6, 0x0
	.amdhsa_kernel _ZN7rocprim17ROCPRIM_400000_NS6detail17trampoline_kernelINS0_14default_configENS1_20scan_config_selectorIfEEZZNS1_9scan_implILNS1_25lookback_scan_determinismE0ELb0ELb0ES3_N6thrust23THRUST_200600_302600_NS6detail15normal_iteratorINS9_10device_ptrIfEEEESE_f11max_functorIfEfEEDaPvRmT3_T4_T5_mT6_P12ihipStream_tbENKUlT_T0_E_clISt17integral_constantIbLb0EEST_IbLb1EEEEDaSP_SQ_EUlSP_E0_NS1_11comp_targetILNS1_3genE2ELNS1_11target_archE906ELNS1_3gpuE6ELNS1_3repE0EEENS1_30default_config_static_selectorELNS0_4arch9wavefront6targetE1EEEvT1_
		.amdhsa_group_segment_fixed_size 0
		.amdhsa_private_segment_fixed_size 0
		.amdhsa_kernarg_size 32
		.amdhsa_user_sgpr_count 6
		.amdhsa_user_sgpr_private_segment_buffer 1
		.amdhsa_user_sgpr_dispatch_ptr 0
		.amdhsa_user_sgpr_queue_ptr 0
		.amdhsa_user_sgpr_kernarg_segment_ptr 1
		.amdhsa_user_sgpr_dispatch_id 0
		.amdhsa_user_sgpr_flat_scratch_init 0
		.amdhsa_user_sgpr_kernarg_preload_length 0
		.amdhsa_user_sgpr_kernarg_preload_offset 0
		.amdhsa_user_sgpr_private_segment_size 0
		.amdhsa_uses_dynamic_stack 0
		.amdhsa_system_sgpr_private_segment_wavefront_offset 0
		.amdhsa_system_sgpr_workgroup_id_x 1
		.amdhsa_system_sgpr_workgroup_id_y 0
		.amdhsa_system_sgpr_workgroup_id_z 0
		.amdhsa_system_sgpr_workgroup_info 0
		.amdhsa_system_vgpr_workitem_id 0
		.amdhsa_next_free_vgpr 1
		.amdhsa_next_free_sgpr 0
		.amdhsa_accum_offset 4
		.amdhsa_reserve_vcc 0
		.amdhsa_reserve_flat_scratch 0
		.amdhsa_float_round_mode_32 0
		.amdhsa_float_round_mode_16_64 0
		.amdhsa_float_denorm_mode_32 3
		.amdhsa_float_denorm_mode_16_64 3
		.amdhsa_dx10_clamp 1
		.amdhsa_ieee_mode 1
		.amdhsa_fp16_overflow 0
		.amdhsa_tg_split 0
		.amdhsa_exception_fp_ieee_invalid_op 0
		.amdhsa_exception_fp_denorm_src 0
		.amdhsa_exception_fp_ieee_div_zero 0
		.amdhsa_exception_fp_ieee_overflow 0
		.amdhsa_exception_fp_ieee_underflow 0
		.amdhsa_exception_fp_ieee_inexact 0
		.amdhsa_exception_int_div_zero 0
	.end_amdhsa_kernel
	.section	.text._ZN7rocprim17ROCPRIM_400000_NS6detail17trampoline_kernelINS0_14default_configENS1_20scan_config_selectorIfEEZZNS1_9scan_implILNS1_25lookback_scan_determinismE0ELb0ELb0ES3_N6thrust23THRUST_200600_302600_NS6detail15normal_iteratorINS9_10device_ptrIfEEEESE_f11max_functorIfEfEEDaPvRmT3_T4_T5_mT6_P12ihipStream_tbENKUlT_T0_E_clISt17integral_constantIbLb0EEST_IbLb1EEEEDaSP_SQ_EUlSP_E0_NS1_11comp_targetILNS1_3genE2ELNS1_11target_archE906ELNS1_3gpuE6ELNS1_3repE0EEENS1_30default_config_static_selectorELNS0_4arch9wavefront6targetE1EEEvT1_,"axG",@progbits,_ZN7rocprim17ROCPRIM_400000_NS6detail17trampoline_kernelINS0_14default_configENS1_20scan_config_selectorIfEEZZNS1_9scan_implILNS1_25lookback_scan_determinismE0ELb0ELb0ES3_N6thrust23THRUST_200600_302600_NS6detail15normal_iteratorINS9_10device_ptrIfEEEESE_f11max_functorIfEfEEDaPvRmT3_T4_T5_mT6_P12ihipStream_tbENKUlT_T0_E_clISt17integral_constantIbLb0EEST_IbLb1EEEEDaSP_SQ_EUlSP_E0_NS1_11comp_targetILNS1_3genE2ELNS1_11target_archE906ELNS1_3gpuE6ELNS1_3repE0EEENS1_30default_config_static_selectorELNS0_4arch9wavefront6targetE1EEEvT1_,comdat
.Lfunc_end2010:
	.size	_ZN7rocprim17ROCPRIM_400000_NS6detail17trampoline_kernelINS0_14default_configENS1_20scan_config_selectorIfEEZZNS1_9scan_implILNS1_25lookback_scan_determinismE0ELb0ELb0ES3_N6thrust23THRUST_200600_302600_NS6detail15normal_iteratorINS9_10device_ptrIfEEEESE_f11max_functorIfEfEEDaPvRmT3_T4_T5_mT6_P12ihipStream_tbENKUlT_T0_E_clISt17integral_constantIbLb0EEST_IbLb1EEEEDaSP_SQ_EUlSP_E0_NS1_11comp_targetILNS1_3genE2ELNS1_11target_archE906ELNS1_3gpuE6ELNS1_3repE0EEENS1_30default_config_static_selectorELNS0_4arch9wavefront6targetE1EEEvT1_, .Lfunc_end2010-_ZN7rocprim17ROCPRIM_400000_NS6detail17trampoline_kernelINS0_14default_configENS1_20scan_config_selectorIfEEZZNS1_9scan_implILNS1_25lookback_scan_determinismE0ELb0ELb0ES3_N6thrust23THRUST_200600_302600_NS6detail15normal_iteratorINS9_10device_ptrIfEEEESE_f11max_functorIfEfEEDaPvRmT3_T4_T5_mT6_P12ihipStream_tbENKUlT_T0_E_clISt17integral_constantIbLb0EEST_IbLb1EEEEDaSP_SQ_EUlSP_E0_NS1_11comp_targetILNS1_3genE2ELNS1_11target_archE906ELNS1_3gpuE6ELNS1_3repE0EEENS1_30default_config_static_selectorELNS0_4arch9wavefront6targetE1EEEvT1_
                                        ; -- End function
	.section	.AMDGPU.csdata,"",@progbits
; Kernel info:
; codeLenInByte = 0
; NumSgprs: 4
; NumVgprs: 0
; NumAgprs: 0
; TotalNumVgprs: 0
; ScratchSize: 0
; MemoryBound: 0
; FloatMode: 240
; IeeeMode: 1
; LDSByteSize: 0 bytes/workgroup (compile time only)
; SGPRBlocks: 0
; VGPRBlocks: 0
; NumSGPRsForWavesPerEU: 4
; NumVGPRsForWavesPerEU: 1
; AccumOffset: 4
; Occupancy: 8
; WaveLimiterHint : 0
; COMPUTE_PGM_RSRC2:SCRATCH_EN: 0
; COMPUTE_PGM_RSRC2:USER_SGPR: 6
; COMPUTE_PGM_RSRC2:TRAP_HANDLER: 0
; COMPUTE_PGM_RSRC2:TGID_X_EN: 1
; COMPUTE_PGM_RSRC2:TGID_Y_EN: 0
; COMPUTE_PGM_RSRC2:TGID_Z_EN: 0
; COMPUTE_PGM_RSRC2:TIDIG_COMP_CNT: 0
; COMPUTE_PGM_RSRC3_GFX90A:ACCUM_OFFSET: 0
; COMPUTE_PGM_RSRC3_GFX90A:TG_SPLIT: 0
	.section	.text._ZN7rocprim17ROCPRIM_400000_NS6detail17trampoline_kernelINS0_14default_configENS1_20scan_config_selectorIfEEZZNS1_9scan_implILNS1_25lookback_scan_determinismE0ELb0ELb0ES3_N6thrust23THRUST_200600_302600_NS6detail15normal_iteratorINS9_10device_ptrIfEEEESE_f11max_functorIfEfEEDaPvRmT3_T4_T5_mT6_P12ihipStream_tbENKUlT_T0_E_clISt17integral_constantIbLb0EEST_IbLb1EEEEDaSP_SQ_EUlSP_E0_NS1_11comp_targetILNS1_3genE10ELNS1_11target_archE1201ELNS1_3gpuE5ELNS1_3repE0EEENS1_30default_config_static_selectorELNS0_4arch9wavefront6targetE1EEEvT1_,"axG",@progbits,_ZN7rocprim17ROCPRIM_400000_NS6detail17trampoline_kernelINS0_14default_configENS1_20scan_config_selectorIfEEZZNS1_9scan_implILNS1_25lookback_scan_determinismE0ELb0ELb0ES3_N6thrust23THRUST_200600_302600_NS6detail15normal_iteratorINS9_10device_ptrIfEEEESE_f11max_functorIfEfEEDaPvRmT3_T4_T5_mT6_P12ihipStream_tbENKUlT_T0_E_clISt17integral_constantIbLb0EEST_IbLb1EEEEDaSP_SQ_EUlSP_E0_NS1_11comp_targetILNS1_3genE10ELNS1_11target_archE1201ELNS1_3gpuE5ELNS1_3repE0EEENS1_30default_config_static_selectorELNS0_4arch9wavefront6targetE1EEEvT1_,comdat
	.protected	_ZN7rocprim17ROCPRIM_400000_NS6detail17trampoline_kernelINS0_14default_configENS1_20scan_config_selectorIfEEZZNS1_9scan_implILNS1_25lookback_scan_determinismE0ELb0ELb0ES3_N6thrust23THRUST_200600_302600_NS6detail15normal_iteratorINS9_10device_ptrIfEEEESE_f11max_functorIfEfEEDaPvRmT3_T4_T5_mT6_P12ihipStream_tbENKUlT_T0_E_clISt17integral_constantIbLb0EEST_IbLb1EEEEDaSP_SQ_EUlSP_E0_NS1_11comp_targetILNS1_3genE10ELNS1_11target_archE1201ELNS1_3gpuE5ELNS1_3repE0EEENS1_30default_config_static_selectorELNS0_4arch9wavefront6targetE1EEEvT1_ ; -- Begin function _ZN7rocprim17ROCPRIM_400000_NS6detail17trampoline_kernelINS0_14default_configENS1_20scan_config_selectorIfEEZZNS1_9scan_implILNS1_25lookback_scan_determinismE0ELb0ELb0ES3_N6thrust23THRUST_200600_302600_NS6detail15normal_iteratorINS9_10device_ptrIfEEEESE_f11max_functorIfEfEEDaPvRmT3_T4_T5_mT6_P12ihipStream_tbENKUlT_T0_E_clISt17integral_constantIbLb0EEST_IbLb1EEEEDaSP_SQ_EUlSP_E0_NS1_11comp_targetILNS1_3genE10ELNS1_11target_archE1201ELNS1_3gpuE5ELNS1_3repE0EEENS1_30default_config_static_selectorELNS0_4arch9wavefront6targetE1EEEvT1_
	.globl	_ZN7rocprim17ROCPRIM_400000_NS6detail17trampoline_kernelINS0_14default_configENS1_20scan_config_selectorIfEEZZNS1_9scan_implILNS1_25lookback_scan_determinismE0ELb0ELb0ES3_N6thrust23THRUST_200600_302600_NS6detail15normal_iteratorINS9_10device_ptrIfEEEESE_f11max_functorIfEfEEDaPvRmT3_T4_T5_mT6_P12ihipStream_tbENKUlT_T0_E_clISt17integral_constantIbLb0EEST_IbLb1EEEEDaSP_SQ_EUlSP_E0_NS1_11comp_targetILNS1_3genE10ELNS1_11target_archE1201ELNS1_3gpuE5ELNS1_3repE0EEENS1_30default_config_static_selectorELNS0_4arch9wavefront6targetE1EEEvT1_
	.p2align	8
	.type	_ZN7rocprim17ROCPRIM_400000_NS6detail17trampoline_kernelINS0_14default_configENS1_20scan_config_selectorIfEEZZNS1_9scan_implILNS1_25lookback_scan_determinismE0ELb0ELb0ES3_N6thrust23THRUST_200600_302600_NS6detail15normal_iteratorINS9_10device_ptrIfEEEESE_f11max_functorIfEfEEDaPvRmT3_T4_T5_mT6_P12ihipStream_tbENKUlT_T0_E_clISt17integral_constantIbLb0EEST_IbLb1EEEEDaSP_SQ_EUlSP_E0_NS1_11comp_targetILNS1_3genE10ELNS1_11target_archE1201ELNS1_3gpuE5ELNS1_3repE0EEENS1_30default_config_static_selectorELNS0_4arch9wavefront6targetE1EEEvT1_,@function
_ZN7rocprim17ROCPRIM_400000_NS6detail17trampoline_kernelINS0_14default_configENS1_20scan_config_selectorIfEEZZNS1_9scan_implILNS1_25lookback_scan_determinismE0ELb0ELb0ES3_N6thrust23THRUST_200600_302600_NS6detail15normal_iteratorINS9_10device_ptrIfEEEESE_f11max_functorIfEfEEDaPvRmT3_T4_T5_mT6_P12ihipStream_tbENKUlT_T0_E_clISt17integral_constantIbLb0EEST_IbLb1EEEEDaSP_SQ_EUlSP_E0_NS1_11comp_targetILNS1_3genE10ELNS1_11target_archE1201ELNS1_3gpuE5ELNS1_3repE0EEENS1_30default_config_static_selectorELNS0_4arch9wavefront6targetE1EEEvT1_: ; @_ZN7rocprim17ROCPRIM_400000_NS6detail17trampoline_kernelINS0_14default_configENS1_20scan_config_selectorIfEEZZNS1_9scan_implILNS1_25lookback_scan_determinismE0ELb0ELb0ES3_N6thrust23THRUST_200600_302600_NS6detail15normal_iteratorINS9_10device_ptrIfEEEESE_f11max_functorIfEfEEDaPvRmT3_T4_T5_mT6_P12ihipStream_tbENKUlT_T0_E_clISt17integral_constantIbLb0EEST_IbLb1EEEEDaSP_SQ_EUlSP_E0_NS1_11comp_targetILNS1_3genE10ELNS1_11target_archE1201ELNS1_3gpuE5ELNS1_3repE0EEENS1_30default_config_static_selectorELNS0_4arch9wavefront6targetE1EEEvT1_
; %bb.0:
	.section	.rodata,"a",@progbits
	.p2align	6, 0x0
	.amdhsa_kernel _ZN7rocprim17ROCPRIM_400000_NS6detail17trampoline_kernelINS0_14default_configENS1_20scan_config_selectorIfEEZZNS1_9scan_implILNS1_25lookback_scan_determinismE0ELb0ELb0ES3_N6thrust23THRUST_200600_302600_NS6detail15normal_iteratorINS9_10device_ptrIfEEEESE_f11max_functorIfEfEEDaPvRmT3_T4_T5_mT6_P12ihipStream_tbENKUlT_T0_E_clISt17integral_constantIbLb0EEST_IbLb1EEEEDaSP_SQ_EUlSP_E0_NS1_11comp_targetILNS1_3genE10ELNS1_11target_archE1201ELNS1_3gpuE5ELNS1_3repE0EEENS1_30default_config_static_selectorELNS0_4arch9wavefront6targetE1EEEvT1_
		.amdhsa_group_segment_fixed_size 0
		.amdhsa_private_segment_fixed_size 0
		.amdhsa_kernarg_size 32
		.amdhsa_user_sgpr_count 6
		.amdhsa_user_sgpr_private_segment_buffer 1
		.amdhsa_user_sgpr_dispatch_ptr 0
		.amdhsa_user_sgpr_queue_ptr 0
		.amdhsa_user_sgpr_kernarg_segment_ptr 1
		.amdhsa_user_sgpr_dispatch_id 0
		.amdhsa_user_sgpr_flat_scratch_init 0
		.amdhsa_user_sgpr_kernarg_preload_length 0
		.amdhsa_user_sgpr_kernarg_preload_offset 0
		.amdhsa_user_sgpr_private_segment_size 0
		.amdhsa_uses_dynamic_stack 0
		.amdhsa_system_sgpr_private_segment_wavefront_offset 0
		.amdhsa_system_sgpr_workgroup_id_x 1
		.amdhsa_system_sgpr_workgroup_id_y 0
		.amdhsa_system_sgpr_workgroup_id_z 0
		.amdhsa_system_sgpr_workgroup_info 0
		.amdhsa_system_vgpr_workitem_id 0
		.amdhsa_next_free_vgpr 1
		.amdhsa_next_free_sgpr 0
		.amdhsa_accum_offset 4
		.amdhsa_reserve_vcc 0
		.amdhsa_reserve_flat_scratch 0
		.amdhsa_float_round_mode_32 0
		.amdhsa_float_round_mode_16_64 0
		.amdhsa_float_denorm_mode_32 3
		.amdhsa_float_denorm_mode_16_64 3
		.amdhsa_dx10_clamp 1
		.amdhsa_ieee_mode 1
		.amdhsa_fp16_overflow 0
		.amdhsa_tg_split 0
		.amdhsa_exception_fp_ieee_invalid_op 0
		.amdhsa_exception_fp_denorm_src 0
		.amdhsa_exception_fp_ieee_div_zero 0
		.amdhsa_exception_fp_ieee_overflow 0
		.amdhsa_exception_fp_ieee_underflow 0
		.amdhsa_exception_fp_ieee_inexact 0
		.amdhsa_exception_int_div_zero 0
	.end_amdhsa_kernel
	.section	.text._ZN7rocprim17ROCPRIM_400000_NS6detail17trampoline_kernelINS0_14default_configENS1_20scan_config_selectorIfEEZZNS1_9scan_implILNS1_25lookback_scan_determinismE0ELb0ELb0ES3_N6thrust23THRUST_200600_302600_NS6detail15normal_iteratorINS9_10device_ptrIfEEEESE_f11max_functorIfEfEEDaPvRmT3_T4_T5_mT6_P12ihipStream_tbENKUlT_T0_E_clISt17integral_constantIbLb0EEST_IbLb1EEEEDaSP_SQ_EUlSP_E0_NS1_11comp_targetILNS1_3genE10ELNS1_11target_archE1201ELNS1_3gpuE5ELNS1_3repE0EEENS1_30default_config_static_selectorELNS0_4arch9wavefront6targetE1EEEvT1_,"axG",@progbits,_ZN7rocprim17ROCPRIM_400000_NS6detail17trampoline_kernelINS0_14default_configENS1_20scan_config_selectorIfEEZZNS1_9scan_implILNS1_25lookback_scan_determinismE0ELb0ELb0ES3_N6thrust23THRUST_200600_302600_NS6detail15normal_iteratorINS9_10device_ptrIfEEEESE_f11max_functorIfEfEEDaPvRmT3_T4_T5_mT6_P12ihipStream_tbENKUlT_T0_E_clISt17integral_constantIbLb0EEST_IbLb1EEEEDaSP_SQ_EUlSP_E0_NS1_11comp_targetILNS1_3genE10ELNS1_11target_archE1201ELNS1_3gpuE5ELNS1_3repE0EEENS1_30default_config_static_selectorELNS0_4arch9wavefront6targetE1EEEvT1_,comdat
.Lfunc_end2011:
	.size	_ZN7rocprim17ROCPRIM_400000_NS6detail17trampoline_kernelINS0_14default_configENS1_20scan_config_selectorIfEEZZNS1_9scan_implILNS1_25lookback_scan_determinismE0ELb0ELb0ES3_N6thrust23THRUST_200600_302600_NS6detail15normal_iteratorINS9_10device_ptrIfEEEESE_f11max_functorIfEfEEDaPvRmT3_T4_T5_mT6_P12ihipStream_tbENKUlT_T0_E_clISt17integral_constantIbLb0EEST_IbLb1EEEEDaSP_SQ_EUlSP_E0_NS1_11comp_targetILNS1_3genE10ELNS1_11target_archE1201ELNS1_3gpuE5ELNS1_3repE0EEENS1_30default_config_static_selectorELNS0_4arch9wavefront6targetE1EEEvT1_, .Lfunc_end2011-_ZN7rocprim17ROCPRIM_400000_NS6detail17trampoline_kernelINS0_14default_configENS1_20scan_config_selectorIfEEZZNS1_9scan_implILNS1_25lookback_scan_determinismE0ELb0ELb0ES3_N6thrust23THRUST_200600_302600_NS6detail15normal_iteratorINS9_10device_ptrIfEEEESE_f11max_functorIfEfEEDaPvRmT3_T4_T5_mT6_P12ihipStream_tbENKUlT_T0_E_clISt17integral_constantIbLb0EEST_IbLb1EEEEDaSP_SQ_EUlSP_E0_NS1_11comp_targetILNS1_3genE10ELNS1_11target_archE1201ELNS1_3gpuE5ELNS1_3repE0EEENS1_30default_config_static_selectorELNS0_4arch9wavefront6targetE1EEEvT1_
                                        ; -- End function
	.section	.AMDGPU.csdata,"",@progbits
; Kernel info:
; codeLenInByte = 0
; NumSgprs: 4
; NumVgprs: 0
; NumAgprs: 0
; TotalNumVgprs: 0
; ScratchSize: 0
; MemoryBound: 0
; FloatMode: 240
; IeeeMode: 1
; LDSByteSize: 0 bytes/workgroup (compile time only)
; SGPRBlocks: 0
; VGPRBlocks: 0
; NumSGPRsForWavesPerEU: 4
; NumVGPRsForWavesPerEU: 1
; AccumOffset: 4
; Occupancy: 8
; WaveLimiterHint : 0
; COMPUTE_PGM_RSRC2:SCRATCH_EN: 0
; COMPUTE_PGM_RSRC2:USER_SGPR: 6
; COMPUTE_PGM_RSRC2:TRAP_HANDLER: 0
; COMPUTE_PGM_RSRC2:TGID_X_EN: 1
; COMPUTE_PGM_RSRC2:TGID_Y_EN: 0
; COMPUTE_PGM_RSRC2:TGID_Z_EN: 0
; COMPUTE_PGM_RSRC2:TIDIG_COMP_CNT: 0
; COMPUTE_PGM_RSRC3_GFX90A:ACCUM_OFFSET: 0
; COMPUTE_PGM_RSRC3_GFX90A:TG_SPLIT: 0
	.section	.text._ZN7rocprim17ROCPRIM_400000_NS6detail17trampoline_kernelINS0_14default_configENS1_20scan_config_selectorIfEEZZNS1_9scan_implILNS1_25lookback_scan_determinismE0ELb0ELb0ES3_N6thrust23THRUST_200600_302600_NS6detail15normal_iteratorINS9_10device_ptrIfEEEESE_f11max_functorIfEfEEDaPvRmT3_T4_T5_mT6_P12ihipStream_tbENKUlT_T0_E_clISt17integral_constantIbLb0EEST_IbLb1EEEEDaSP_SQ_EUlSP_E0_NS1_11comp_targetILNS1_3genE10ELNS1_11target_archE1200ELNS1_3gpuE4ELNS1_3repE0EEENS1_30default_config_static_selectorELNS0_4arch9wavefront6targetE1EEEvT1_,"axG",@progbits,_ZN7rocprim17ROCPRIM_400000_NS6detail17trampoline_kernelINS0_14default_configENS1_20scan_config_selectorIfEEZZNS1_9scan_implILNS1_25lookback_scan_determinismE0ELb0ELb0ES3_N6thrust23THRUST_200600_302600_NS6detail15normal_iteratorINS9_10device_ptrIfEEEESE_f11max_functorIfEfEEDaPvRmT3_T4_T5_mT6_P12ihipStream_tbENKUlT_T0_E_clISt17integral_constantIbLb0EEST_IbLb1EEEEDaSP_SQ_EUlSP_E0_NS1_11comp_targetILNS1_3genE10ELNS1_11target_archE1200ELNS1_3gpuE4ELNS1_3repE0EEENS1_30default_config_static_selectorELNS0_4arch9wavefront6targetE1EEEvT1_,comdat
	.protected	_ZN7rocprim17ROCPRIM_400000_NS6detail17trampoline_kernelINS0_14default_configENS1_20scan_config_selectorIfEEZZNS1_9scan_implILNS1_25lookback_scan_determinismE0ELb0ELb0ES3_N6thrust23THRUST_200600_302600_NS6detail15normal_iteratorINS9_10device_ptrIfEEEESE_f11max_functorIfEfEEDaPvRmT3_T4_T5_mT6_P12ihipStream_tbENKUlT_T0_E_clISt17integral_constantIbLb0EEST_IbLb1EEEEDaSP_SQ_EUlSP_E0_NS1_11comp_targetILNS1_3genE10ELNS1_11target_archE1200ELNS1_3gpuE4ELNS1_3repE0EEENS1_30default_config_static_selectorELNS0_4arch9wavefront6targetE1EEEvT1_ ; -- Begin function _ZN7rocprim17ROCPRIM_400000_NS6detail17trampoline_kernelINS0_14default_configENS1_20scan_config_selectorIfEEZZNS1_9scan_implILNS1_25lookback_scan_determinismE0ELb0ELb0ES3_N6thrust23THRUST_200600_302600_NS6detail15normal_iteratorINS9_10device_ptrIfEEEESE_f11max_functorIfEfEEDaPvRmT3_T4_T5_mT6_P12ihipStream_tbENKUlT_T0_E_clISt17integral_constantIbLb0EEST_IbLb1EEEEDaSP_SQ_EUlSP_E0_NS1_11comp_targetILNS1_3genE10ELNS1_11target_archE1200ELNS1_3gpuE4ELNS1_3repE0EEENS1_30default_config_static_selectorELNS0_4arch9wavefront6targetE1EEEvT1_
	.globl	_ZN7rocprim17ROCPRIM_400000_NS6detail17trampoline_kernelINS0_14default_configENS1_20scan_config_selectorIfEEZZNS1_9scan_implILNS1_25lookback_scan_determinismE0ELb0ELb0ES3_N6thrust23THRUST_200600_302600_NS6detail15normal_iteratorINS9_10device_ptrIfEEEESE_f11max_functorIfEfEEDaPvRmT3_T4_T5_mT6_P12ihipStream_tbENKUlT_T0_E_clISt17integral_constantIbLb0EEST_IbLb1EEEEDaSP_SQ_EUlSP_E0_NS1_11comp_targetILNS1_3genE10ELNS1_11target_archE1200ELNS1_3gpuE4ELNS1_3repE0EEENS1_30default_config_static_selectorELNS0_4arch9wavefront6targetE1EEEvT1_
	.p2align	8
	.type	_ZN7rocprim17ROCPRIM_400000_NS6detail17trampoline_kernelINS0_14default_configENS1_20scan_config_selectorIfEEZZNS1_9scan_implILNS1_25lookback_scan_determinismE0ELb0ELb0ES3_N6thrust23THRUST_200600_302600_NS6detail15normal_iteratorINS9_10device_ptrIfEEEESE_f11max_functorIfEfEEDaPvRmT3_T4_T5_mT6_P12ihipStream_tbENKUlT_T0_E_clISt17integral_constantIbLb0EEST_IbLb1EEEEDaSP_SQ_EUlSP_E0_NS1_11comp_targetILNS1_3genE10ELNS1_11target_archE1200ELNS1_3gpuE4ELNS1_3repE0EEENS1_30default_config_static_selectorELNS0_4arch9wavefront6targetE1EEEvT1_,@function
_ZN7rocprim17ROCPRIM_400000_NS6detail17trampoline_kernelINS0_14default_configENS1_20scan_config_selectorIfEEZZNS1_9scan_implILNS1_25lookback_scan_determinismE0ELb0ELb0ES3_N6thrust23THRUST_200600_302600_NS6detail15normal_iteratorINS9_10device_ptrIfEEEESE_f11max_functorIfEfEEDaPvRmT3_T4_T5_mT6_P12ihipStream_tbENKUlT_T0_E_clISt17integral_constantIbLb0EEST_IbLb1EEEEDaSP_SQ_EUlSP_E0_NS1_11comp_targetILNS1_3genE10ELNS1_11target_archE1200ELNS1_3gpuE4ELNS1_3repE0EEENS1_30default_config_static_selectorELNS0_4arch9wavefront6targetE1EEEvT1_: ; @_ZN7rocprim17ROCPRIM_400000_NS6detail17trampoline_kernelINS0_14default_configENS1_20scan_config_selectorIfEEZZNS1_9scan_implILNS1_25lookback_scan_determinismE0ELb0ELb0ES3_N6thrust23THRUST_200600_302600_NS6detail15normal_iteratorINS9_10device_ptrIfEEEESE_f11max_functorIfEfEEDaPvRmT3_T4_T5_mT6_P12ihipStream_tbENKUlT_T0_E_clISt17integral_constantIbLb0EEST_IbLb1EEEEDaSP_SQ_EUlSP_E0_NS1_11comp_targetILNS1_3genE10ELNS1_11target_archE1200ELNS1_3gpuE4ELNS1_3repE0EEENS1_30default_config_static_selectorELNS0_4arch9wavefront6targetE1EEEvT1_
; %bb.0:
	.section	.rodata,"a",@progbits
	.p2align	6, 0x0
	.amdhsa_kernel _ZN7rocprim17ROCPRIM_400000_NS6detail17trampoline_kernelINS0_14default_configENS1_20scan_config_selectorIfEEZZNS1_9scan_implILNS1_25lookback_scan_determinismE0ELb0ELb0ES3_N6thrust23THRUST_200600_302600_NS6detail15normal_iteratorINS9_10device_ptrIfEEEESE_f11max_functorIfEfEEDaPvRmT3_T4_T5_mT6_P12ihipStream_tbENKUlT_T0_E_clISt17integral_constantIbLb0EEST_IbLb1EEEEDaSP_SQ_EUlSP_E0_NS1_11comp_targetILNS1_3genE10ELNS1_11target_archE1200ELNS1_3gpuE4ELNS1_3repE0EEENS1_30default_config_static_selectorELNS0_4arch9wavefront6targetE1EEEvT1_
		.amdhsa_group_segment_fixed_size 0
		.amdhsa_private_segment_fixed_size 0
		.amdhsa_kernarg_size 32
		.amdhsa_user_sgpr_count 6
		.amdhsa_user_sgpr_private_segment_buffer 1
		.amdhsa_user_sgpr_dispatch_ptr 0
		.amdhsa_user_sgpr_queue_ptr 0
		.amdhsa_user_sgpr_kernarg_segment_ptr 1
		.amdhsa_user_sgpr_dispatch_id 0
		.amdhsa_user_sgpr_flat_scratch_init 0
		.amdhsa_user_sgpr_kernarg_preload_length 0
		.amdhsa_user_sgpr_kernarg_preload_offset 0
		.amdhsa_user_sgpr_private_segment_size 0
		.amdhsa_uses_dynamic_stack 0
		.amdhsa_system_sgpr_private_segment_wavefront_offset 0
		.amdhsa_system_sgpr_workgroup_id_x 1
		.amdhsa_system_sgpr_workgroup_id_y 0
		.amdhsa_system_sgpr_workgroup_id_z 0
		.amdhsa_system_sgpr_workgroup_info 0
		.amdhsa_system_vgpr_workitem_id 0
		.amdhsa_next_free_vgpr 1
		.amdhsa_next_free_sgpr 0
		.amdhsa_accum_offset 4
		.amdhsa_reserve_vcc 0
		.amdhsa_reserve_flat_scratch 0
		.amdhsa_float_round_mode_32 0
		.amdhsa_float_round_mode_16_64 0
		.amdhsa_float_denorm_mode_32 3
		.amdhsa_float_denorm_mode_16_64 3
		.amdhsa_dx10_clamp 1
		.amdhsa_ieee_mode 1
		.amdhsa_fp16_overflow 0
		.amdhsa_tg_split 0
		.amdhsa_exception_fp_ieee_invalid_op 0
		.amdhsa_exception_fp_denorm_src 0
		.amdhsa_exception_fp_ieee_div_zero 0
		.amdhsa_exception_fp_ieee_overflow 0
		.amdhsa_exception_fp_ieee_underflow 0
		.amdhsa_exception_fp_ieee_inexact 0
		.amdhsa_exception_int_div_zero 0
	.end_amdhsa_kernel
	.section	.text._ZN7rocprim17ROCPRIM_400000_NS6detail17trampoline_kernelINS0_14default_configENS1_20scan_config_selectorIfEEZZNS1_9scan_implILNS1_25lookback_scan_determinismE0ELb0ELb0ES3_N6thrust23THRUST_200600_302600_NS6detail15normal_iteratorINS9_10device_ptrIfEEEESE_f11max_functorIfEfEEDaPvRmT3_T4_T5_mT6_P12ihipStream_tbENKUlT_T0_E_clISt17integral_constantIbLb0EEST_IbLb1EEEEDaSP_SQ_EUlSP_E0_NS1_11comp_targetILNS1_3genE10ELNS1_11target_archE1200ELNS1_3gpuE4ELNS1_3repE0EEENS1_30default_config_static_selectorELNS0_4arch9wavefront6targetE1EEEvT1_,"axG",@progbits,_ZN7rocprim17ROCPRIM_400000_NS6detail17trampoline_kernelINS0_14default_configENS1_20scan_config_selectorIfEEZZNS1_9scan_implILNS1_25lookback_scan_determinismE0ELb0ELb0ES3_N6thrust23THRUST_200600_302600_NS6detail15normal_iteratorINS9_10device_ptrIfEEEESE_f11max_functorIfEfEEDaPvRmT3_T4_T5_mT6_P12ihipStream_tbENKUlT_T0_E_clISt17integral_constantIbLb0EEST_IbLb1EEEEDaSP_SQ_EUlSP_E0_NS1_11comp_targetILNS1_3genE10ELNS1_11target_archE1200ELNS1_3gpuE4ELNS1_3repE0EEENS1_30default_config_static_selectorELNS0_4arch9wavefront6targetE1EEEvT1_,comdat
.Lfunc_end2012:
	.size	_ZN7rocprim17ROCPRIM_400000_NS6detail17trampoline_kernelINS0_14default_configENS1_20scan_config_selectorIfEEZZNS1_9scan_implILNS1_25lookback_scan_determinismE0ELb0ELb0ES3_N6thrust23THRUST_200600_302600_NS6detail15normal_iteratorINS9_10device_ptrIfEEEESE_f11max_functorIfEfEEDaPvRmT3_T4_T5_mT6_P12ihipStream_tbENKUlT_T0_E_clISt17integral_constantIbLb0EEST_IbLb1EEEEDaSP_SQ_EUlSP_E0_NS1_11comp_targetILNS1_3genE10ELNS1_11target_archE1200ELNS1_3gpuE4ELNS1_3repE0EEENS1_30default_config_static_selectorELNS0_4arch9wavefront6targetE1EEEvT1_, .Lfunc_end2012-_ZN7rocprim17ROCPRIM_400000_NS6detail17trampoline_kernelINS0_14default_configENS1_20scan_config_selectorIfEEZZNS1_9scan_implILNS1_25lookback_scan_determinismE0ELb0ELb0ES3_N6thrust23THRUST_200600_302600_NS6detail15normal_iteratorINS9_10device_ptrIfEEEESE_f11max_functorIfEfEEDaPvRmT3_T4_T5_mT6_P12ihipStream_tbENKUlT_T0_E_clISt17integral_constantIbLb0EEST_IbLb1EEEEDaSP_SQ_EUlSP_E0_NS1_11comp_targetILNS1_3genE10ELNS1_11target_archE1200ELNS1_3gpuE4ELNS1_3repE0EEENS1_30default_config_static_selectorELNS0_4arch9wavefront6targetE1EEEvT1_
                                        ; -- End function
	.section	.AMDGPU.csdata,"",@progbits
; Kernel info:
; codeLenInByte = 0
; NumSgprs: 4
; NumVgprs: 0
; NumAgprs: 0
; TotalNumVgprs: 0
; ScratchSize: 0
; MemoryBound: 0
; FloatMode: 240
; IeeeMode: 1
; LDSByteSize: 0 bytes/workgroup (compile time only)
; SGPRBlocks: 0
; VGPRBlocks: 0
; NumSGPRsForWavesPerEU: 4
; NumVGPRsForWavesPerEU: 1
; AccumOffset: 4
; Occupancy: 8
; WaveLimiterHint : 0
; COMPUTE_PGM_RSRC2:SCRATCH_EN: 0
; COMPUTE_PGM_RSRC2:USER_SGPR: 6
; COMPUTE_PGM_RSRC2:TRAP_HANDLER: 0
; COMPUTE_PGM_RSRC2:TGID_X_EN: 1
; COMPUTE_PGM_RSRC2:TGID_Y_EN: 0
; COMPUTE_PGM_RSRC2:TGID_Z_EN: 0
; COMPUTE_PGM_RSRC2:TIDIG_COMP_CNT: 0
; COMPUTE_PGM_RSRC3_GFX90A:ACCUM_OFFSET: 0
; COMPUTE_PGM_RSRC3_GFX90A:TG_SPLIT: 0
	.section	.text._ZN7rocprim17ROCPRIM_400000_NS6detail17trampoline_kernelINS0_14default_configENS1_20scan_config_selectorIfEEZZNS1_9scan_implILNS1_25lookback_scan_determinismE0ELb0ELb0ES3_N6thrust23THRUST_200600_302600_NS6detail15normal_iteratorINS9_10device_ptrIfEEEESE_f11max_functorIfEfEEDaPvRmT3_T4_T5_mT6_P12ihipStream_tbENKUlT_T0_E_clISt17integral_constantIbLb0EEST_IbLb1EEEEDaSP_SQ_EUlSP_E0_NS1_11comp_targetILNS1_3genE9ELNS1_11target_archE1100ELNS1_3gpuE3ELNS1_3repE0EEENS1_30default_config_static_selectorELNS0_4arch9wavefront6targetE1EEEvT1_,"axG",@progbits,_ZN7rocprim17ROCPRIM_400000_NS6detail17trampoline_kernelINS0_14default_configENS1_20scan_config_selectorIfEEZZNS1_9scan_implILNS1_25lookback_scan_determinismE0ELb0ELb0ES3_N6thrust23THRUST_200600_302600_NS6detail15normal_iteratorINS9_10device_ptrIfEEEESE_f11max_functorIfEfEEDaPvRmT3_T4_T5_mT6_P12ihipStream_tbENKUlT_T0_E_clISt17integral_constantIbLb0EEST_IbLb1EEEEDaSP_SQ_EUlSP_E0_NS1_11comp_targetILNS1_3genE9ELNS1_11target_archE1100ELNS1_3gpuE3ELNS1_3repE0EEENS1_30default_config_static_selectorELNS0_4arch9wavefront6targetE1EEEvT1_,comdat
	.protected	_ZN7rocprim17ROCPRIM_400000_NS6detail17trampoline_kernelINS0_14default_configENS1_20scan_config_selectorIfEEZZNS1_9scan_implILNS1_25lookback_scan_determinismE0ELb0ELb0ES3_N6thrust23THRUST_200600_302600_NS6detail15normal_iteratorINS9_10device_ptrIfEEEESE_f11max_functorIfEfEEDaPvRmT3_T4_T5_mT6_P12ihipStream_tbENKUlT_T0_E_clISt17integral_constantIbLb0EEST_IbLb1EEEEDaSP_SQ_EUlSP_E0_NS1_11comp_targetILNS1_3genE9ELNS1_11target_archE1100ELNS1_3gpuE3ELNS1_3repE0EEENS1_30default_config_static_selectorELNS0_4arch9wavefront6targetE1EEEvT1_ ; -- Begin function _ZN7rocprim17ROCPRIM_400000_NS6detail17trampoline_kernelINS0_14default_configENS1_20scan_config_selectorIfEEZZNS1_9scan_implILNS1_25lookback_scan_determinismE0ELb0ELb0ES3_N6thrust23THRUST_200600_302600_NS6detail15normal_iteratorINS9_10device_ptrIfEEEESE_f11max_functorIfEfEEDaPvRmT3_T4_T5_mT6_P12ihipStream_tbENKUlT_T0_E_clISt17integral_constantIbLb0EEST_IbLb1EEEEDaSP_SQ_EUlSP_E0_NS1_11comp_targetILNS1_3genE9ELNS1_11target_archE1100ELNS1_3gpuE3ELNS1_3repE0EEENS1_30default_config_static_selectorELNS0_4arch9wavefront6targetE1EEEvT1_
	.globl	_ZN7rocprim17ROCPRIM_400000_NS6detail17trampoline_kernelINS0_14default_configENS1_20scan_config_selectorIfEEZZNS1_9scan_implILNS1_25lookback_scan_determinismE0ELb0ELb0ES3_N6thrust23THRUST_200600_302600_NS6detail15normal_iteratorINS9_10device_ptrIfEEEESE_f11max_functorIfEfEEDaPvRmT3_T4_T5_mT6_P12ihipStream_tbENKUlT_T0_E_clISt17integral_constantIbLb0EEST_IbLb1EEEEDaSP_SQ_EUlSP_E0_NS1_11comp_targetILNS1_3genE9ELNS1_11target_archE1100ELNS1_3gpuE3ELNS1_3repE0EEENS1_30default_config_static_selectorELNS0_4arch9wavefront6targetE1EEEvT1_
	.p2align	8
	.type	_ZN7rocprim17ROCPRIM_400000_NS6detail17trampoline_kernelINS0_14default_configENS1_20scan_config_selectorIfEEZZNS1_9scan_implILNS1_25lookback_scan_determinismE0ELb0ELb0ES3_N6thrust23THRUST_200600_302600_NS6detail15normal_iteratorINS9_10device_ptrIfEEEESE_f11max_functorIfEfEEDaPvRmT3_T4_T5_mT6_P12ihipStream_tbENKUlT_T0_E_clISt17integral_constantIbLb0EEST_IbLb1EEEEDaSP_SQ_EUlSP_E0_NS1_11comp_targetILNS1_3genE9ELNS1_11target_archE1100ELNS1_3gpuE3ELNS1_3repE0EEENS1_30default_config_static_selectorELNS0_4arch9wavefront6targetE1EEEvT1_,@function
_ZN7rocprim17ROCPRIM_400000_NS6detail17trampoline_kernelINS0_14default_configENS1_20scan_config_selectorIfEEZZNS1_9scan_implILNS1_25lookback_scan_determinismE0ELb0ELb0ES3_N6thrust23THRUST_200600_302600_NS6detail15normal_iteratorINS9_10device_ptrIfEEEESE_f11max_functorIfEfEEDaPvRmT3_T4_T5_mT6_P12ihipStream_tbENKUlT_T0_E_clISt17integral_constantIbLb0EEST_IbLb1EEEEDaSP_SQ_EUlSP_E0_NS1_11comp_targetILNS1_3genE9ELNS1_11target_archE1100ELNS1_3gpuE3ELNS1_3repE0EEENS1_30default_config_static_selectorELNS0_4arch9wavefront6targetE1EEEvT1_: ; @_ZN7rocprim17ROCPRIM_400000_NS6detail17trampoline_kernelINS0_14default_configENS1_20scan_config_selectorIfEEZZNS1_9scan_implILNS1_25lookback_scan_determinismE0ELb0ELb0ES3_N6thrust23THRUST_200600_302600_NS6detail15normal_iteratorINS9_10device_ptrIfEEEESE_f11max_functorIfEfEEDaPvRmT3_T4_T5_mT6_P12ihipStream_tbENKUlT_T0_E_clISt17integral_constantIbLb0EEST_IbLb1EEEEDaSP_SQ_EUlSP_E0_NS1_11comp_targetILNS1_3genE9ELNS1_11target_archE1100ELNS1_3gpuE3ELNS1_3repE0EEENS1_30default_config_static_selectorELNS0_4arch9wavefront6targetE1EEEvT1_
; %bb.0:
	.section	.rodata,"a",@progbits
	.p2align	6, 0x0
	.amdhsa_kernel _ZN7rocprim17ROCPRIM_400000_NS6detail17trampoline_kernelINS0_14default_configENS1_20scan_config_selectorIfEEZZNS1_9scan_implILNS1_25lookback_scan_determinismE0ELb0ELb0ES3_N6thrust23THRUST_200600_302600_NS6detail15normal_iteratorINS9_10device_ptrIfEEEESE_f11max_functorIfEfEEDaPvRmT3_T4_T5_mT6_P12ihipStream_tbENKUlT_T0_E_clISt17integral_constantIbLb0EEST_IbLb1EEEEDaSP_SQ_EUlSP_E0_NS1_11comp_targetILNS1_3genE9ELNS1_11target_archE1100ELNS1_3gpuE3ELNS1_3repE0EEENS1_30default_config_static_selectorELNS0_4arch9wavefront6targetE1EEEvT1_
		.amdhsa_group_segment_fixed_size 0
		.amdhsa_private_segment_fixed_size 0
		.amdhsa_kernarg_size 32
		.amdhsa_user_sgpr_count 6
		.amdhsa_user_sgpr_private_segment_buffer 1
		.amdhsa_user_sgpr_dispatch_ptr 0
		.amdhsa_user_sgpr_queue_ptr 0
		.amdhsa_user_sgpr_kernarg_segment_ptr 1
		.amdhsa_user_sgpr_dispatch_id 0
		.amdhsa_user_sgpr_flat_scratch_init 0
		.amdhsa_user_sgpr_kernarg_preload_length 0
		.amdhsa_user_sgpr_kernarg_preload_offset 0
		.amdhsa_user_sgpr_private_segment_size 0
		.amdhsa_uses_dynamic_stack 0
		.amdhsa_system_sgpr_private_segment_wavefront_offset 0
		.amdhsa_system_sgpr_workgroup_id_x 1
		.amdhsa_system_sgpr_workgroup_id_y 0
		.amdhsa_system_sgpr_workgroup_id_z 0
		.amdhsa_system_sgpr_workgroup_info 0
		.amdhsa_system_vgpr_workitem_id 0
		.amdhsa_next_free_vgpr 1
		.amdhsa_next_free_sgpr 0
		.amdhsa_accum_offset 4
		.amdhsa_reserve_vcc 0
		.amdhsa_reserve_flat_scratch 0
		.amdhsa_float_round_mode_32 0
		.amdhsa_float_round_mode_16_64 0
		.amdhsa_float_denorm_mode_32 3
		.amdhsa_float_denorm_mode_16_64 3
		.amdhsa_dx10_clamp 1
		.amdhsa_ieee_mode 1
		.amdhsa_fp16_overflow 0
		.amdhsa_tg_split 0
		.amdhsa_exception_fp_ieee_invalid_op 0
		.amdhsa_exception_fp_denorm_src 0
		.amdhsa_exception_fp_ieee_div_zero 0
		.amdhsa_exception_fp_ieee_overflow 0
		.amdhsa_exception_fp_ieee_underflow 0
		.amdhsa_exception_fp_ieee_inexact 0
		.amdhsa_exception_int_div_zero 0
	.end_amdhsa_kernel
	.section	.text._ZN7rocprim17ROCPRIM_400000_NS6detail17trampoline_kernelINS0_14default_configENS1_20scan_config_selectorIfEEZZNS1_9scan_implILNS1_25lookback_scan_determinismE0ELb0ELb0ES3_N6thrust23THRUST_200600_302600_NS6detail15normal_iteratorINS9_10device_ptrIfEEEESE_f11max_functorIfEfEEDaPvRmT3_T4_T5_mT6_P12ihipStream_tbENKUlT_T0_E_clISt17integral_constantIbLb0EEST_IbLb1EEEEDaSP_SQ_EUlSP_E0_NS1_11comp_targetILNS1_3genE9ELNS1_11target_archE1100ELNS1_3gpuE3ELNS1_3repE0EEENS1_30default_config_static_selectorELNS0_4arch9wavefront6targetE1EEEvT1_,"axG",@progbits,_ZN7rocprim17ROCPRIM_400000_NS6detail17trampoline_kernelINS0_14default_configENS1_20scan_config_selectorIfEEZZNS1_9scan_implILNS1_25lookback_scan_determinismE0ELb0ELb0ES3_N6thrust23THRUST_200600_302600_NS6detail15normal_iteratorINS9_10device_ptrIfEEEESE_f11max_functorIfEfEEDaPvRmT3_T4_T5_mT6_P12ihipStream_tbENKUlT_T0_E_clISt17integral_constantIbLb0EEST_IbLb1EEEEDaSP_SQ_EUlSP_E0_NS1_11comp_targetILNS1_3genE9ELNS1_11target_archE1100ELNS1_3gpuE3ELNS1_3repE0EEENS1_30default_config_static_selectorELNS0_4arch9wavefront6targetE1EEEvT1_,comdat
.Lfunc_end2013:
	.size	_ZN7rocprim17ROCPRIM_400000_NS6detail17trampoline_kernelINS0_14default_configENS1_20scan_config_selectorIfEEZZNS1_9scan_implILNS1_25lookback_scan_determinismE0ELb0ELb0ES3_N6thrust23THRUST_200600_302600_NS6detail15normal_iteratorINS9_10device_ptrIfEEEESE_f11max_functorIfEfEEDaPvRmT3_T4_T5_mT6_P12ihipStream_tbENKUlT_T0_E_clISt17integral_constantIbLb0EEST_IbLb1EEEEDaSP_SQ_EUlSP_E0_NS1_11comp_targetILNS1_3genE9ELNS1_11target_archE1100ELNS1_3gpuE3ELNS1_3repE0EEENS1_30default_config_static_selectorELNS0_4arch9wavefront6targetE1EEEvT1_, .Lfunc_end2013-_ZN7rocprim17ROCPRIM_400000_NS6detail17trampoline_kernelINS0_14default_configENS1_20scan_config_selectorIfEEZZNS1_9scan_implILNS1_25lookback_scan_determinismE0ELb0ELb0ES3_N6thrust23THRUST_200600_302600_NS6detail15normal_iteratorINS9_10device_ptrIfEEEESE_f11max_functorIfEfEEDaPvRmT3_T4_T5_mT6_P12ihipStream_tbENKUlT_T0_E_clISt17integral_constantIbLb0EEST_IbLb1EEEEDaSP_SQ_EUlSP_E0_NS1_11comp_targetILNS1_3genE9ELNS1_11target_archE1100ELNS1_3gpuE3ELNS1_3repE0EEENS1_30default_config_static_selectorELNS0_4arch9wavefront6targetE1EEEvT1_
                                        ; -- End function
	.section	.AMDGPU.csdata,"",@progbits
; Kernel info:
; codeLenInByte = 0
; NumSgprs: 4
; NumVgprs: 0
; NumAgprs: 0
; TotalNumVgprs: 0
; ScratchSize: 0
; MemoryBound: 0
; FloatMode: 240
; IeeeMode: 1
; LDSByteSize: 0 bytes/workgroup (compile time only)
; SGPRBlocks: 0
; VGPRBlocks: 0
; NumSGPRsForWavesPerEU: 4
; NumVGPRsForWavesPerEU: 1
; AccumOffset: 4
; Occupancy: 8
; WaveLimiterHint : 0
; COMPUTE_PGM_RSRC2:SCRATCH_EN: 0
; COMPUTE_PGM_RSRC2:USER_SGPR: 6
; COMPUTE_PGM_RSRC2:TRAP_HANDLER: 0
; COMPUTE_PGM_RSRC2:TGID_X_EN: 1
; COMPUTE_PGM_RSRC2:TGID_Y_EN: 0
; COMPUTE_PGM_RSRC2:TGID_Z_EN: 0
; COMPUTE_PGM_RSRC2:TIDIG_COMP_CNT: 0
; COMPUTE_PGM_RSRC3_GFX90A:ACCUM_OFFSET: 0
; COMPUTE_PGM_RSRC3_GFX90A:TG_SPLIT: 0
	.section	.text._ZN7rocprim17ROCPRIM_400000_NS6detail17trampoline_kernelINS0_14default_configENS1_20scan_config_selectorIfEEZZNS1_9scan_implILNS1_25lookback_scan_determinismE0ELb0ELb0ES3_N6thrust23THRUST_200600_302600_NS6detail15normal_iteratorINS9_10device_ptrIfEEEESE_f11max_functorIfEfEEDaPvRmT3_T4_T5_mT6_P12ihipStream_tbENKUlT_T0_E_clISt17integral_constantIbLb0EEST_IbLb1EEEEDaSP_SQ_EUlSP_E0_NS1_11comp_targetILNS1_3genE8ELNS1_11target_archE1030ELNS1_3gpuE2ELNS1_3repE0EEENS1_30default_config_static_selectorELNS0_4arch9wavefront6targetE1EEEvT1_,"axG",@progbits,_ZN7rocprim17ROCPRIM_400000_NS6detail17trampoline_kernelINS0_14default_configENS1_20scan_config_selectorIfEEZZNS1_9scan_implILNS1_25lookback_scan_determinismE0ELb0ELb0ES3_N6thrust23THRUST_200600_302600_NS6detail15normal_iteratorINS9_10device_ptrIfEEEESE_f11max_functorIfEfEEDaPvRmT3_T4_T5_mT6_P12ihipStream_tbENKUlT_T0_E_clISt17integral_constantIbLb0EEST_IbLb1EEEEDaSP_SQ_EUlSP_E0_NS1_11comp_targetILNS1_3genE8ELNS1_11target_archE1030ELNS1_3gpuE2ELNS1_3repE0EEENS1_30default_config_static_selectorELNS0_4arch9wavefront6targetE1EEEvT1_,comdat
	.protected	_ZN7rocprim17ROCPRIM_400000_NS6detail17trampoline_kernelINS0_14default_configENS1_20scan_config_selectorIfEEZZNS1_9scan_implILNS1_25lookback_scan_determinismE0ELb0ELb0ES3_N6thrust23THRUST_200600_302600_NS6detail15normal_iteratorINS9_10device_ptrIfEEEESE_f11max_functorIfEfEEDaPvRmT3_T4_T5_mT6_P12ihipStream_tbENKUlT_T0_E_clISt17integral_constantIbLb0EEST_IbLb1EEEEDaSP_SQ_EUlSP_E0_NS1_11comp_targetILNS1_3genE8ELNS1_11target_archE1030ELNS1_3gpuE2ELNS1_3repE0EEENS1_30default_config_static_selectorELNS0_4arch9wavefront6targetE1EEEvT1_ ; -- Begin function _ZN7rocprim17ROCPRIM_400000_NS6detail17trampoline_kernelINS0_14default_configENS1_20scan_config_selectorIfEEZZNS1_9scan_implILNS1_25lookback_scan_determinismE0ELb0ELb0ES3_N6thrust23THRUST_200600_302600_NS6detail15normal_iteratorINS9_10device_ptrIfEEEESE_f11max_functorIfEfEEDaPvRmT3_T4_T5_mT6_P12ihipStream_tbENKUlT_T0_E_clISt17integral_constantIbLb0EEST_IbLb1EEEEDaSP_SQ_EUlSP_E0_NS1_11comp_targetILNS1_3genE8ELNS1_11target_archE1030ELNS1_3gpuE2ELNS1_3repE0EEENS1_30default_config_static_selectorELNS0_4arch9wavefront6targetE1EEEvT1_
	.globl	_ZN7rocprim17ROCPRIM_400000_NS6detail17trampoline_kernelINS0_14default_configENS1_20scan_config_selectorIfEEZZNS1_9scan_implILNS1_25lookback_scan_determinismE0ELb0ELb0ES3_N6thrust23THRUST_200600_302600_NS6detail15normal_iteratorINS9_10device_ptrIfEEEESE_f11max_functorIfEfEEDaPvRmT3_T4_T5_mT6_P12ihipStream_tbENKUlT_T0_E_clISt17integral_constantIbLb0EEST_IbLb1EEEEDaSP_SQ_EUlSP_E0_NS1_11comp_targetILNS1_3genE8ELNS1_11target_archE1030ELNS1_3gpuE2ELNS1_3repE0EEENS1_30default_config_static_selectorELNS0_4arch9wavefront6targetE1EEEvT1_
	.p2align	8
	.type	_ZN7rocprim17ROCPRIM_400000_NS6detail17trampoline_kernelINS0_14default_configENS1_20scan_config_selectorIfEEZZNS1_9scan_implILNS1_25lookback_scan_determinismE0ELb0ELb0ES3_N6thrust23THRUST_200600_302600_NS6detail15normal_iteratorINS9_10device_ptrIfEEEESE_f11max_functorIfEfEEDaPvRmT3_T4_T5_mT6_P12ihipStream_tbENKUlT_T0_E_clISt17integral_constantIbLb0EEST_IbLb1EEEEDaSP_SQ_EUlSP_E0_NS1_11comp_targetILNS1_3genE8ELNS1_11target_archE1030ELNS1_3gpuE2ELNS1_3repE0EEENS1_30default_config_static_selectorELNS0_4arch9wavefront6targetE1EEEvT1_,@function
_ZN7rocprim17ROCPRIM_400000_NS6detail17trampoline_kernelINS0_14default_configENS1_20scan_config_selectorIfEEZZNS1_9scan_implILNS1_25lookback_scan_determinismE0ELb0ELb0ES3_N6thrust23THRUST_200600_302600_NS6detail15normal_iteratorINS9_10device_ptrIfEEEESE_f11max_functorIfEfEEDaPvRmT3_T4_T5_mT6_P12ihipStream_tbENKUlT_T0_E_clISt17integral_constantIbLb0EEST_IbLb1EEEEDaSP_SQ_EUlSP_E0_NS1_11comp_targetILNS1_3genE8ELNS1_11target_archE1030ELNS1_3gpuE2ELNS1_3repE0EEENS1_30default_config_static_selectorELNS0_4arch9wavefront6targetE1EEEvT1_: ; @_ZN7rocprim17ROCPRIM_400000_NS6detail17trampoline_kernelINS0_14default_configENS1_20scan_config_selectorIfEEZZNS1_9scan_implILNS1_25lookback_scan_determinismE0ELb0ELb0ES3_N6thrust23THRUST_200600_302600_NS6detail15normal_iteratorINS9_10device_ptrIfEEEESE_f11max_functorIfEfEEDaPvRmT3_T4_T5_mT6_P12ihipStream_tbENKUlT_T0_E_clISt17integral_constantIbLb0EEST_IbLb1EEEEDaSP_SQ_EUlSP_E0_NS1_11comp_targetILNS1_3genE8ELNS1_11target_archE1030ELNS1_3gpuE2ELNS1_3repE0EEENS1_30default_config_static_selectorELNS0_4arch9wavefront6targetE1EEEvT1_
; %bb.0:
	.section	.rodata,"a",@progbits
	.p2align	6, 0x0
	.amdhsa_kernel _ZN7rocprim17ROCPRIM_400000_NS6detail17trampoline_kernelINS0_14default_configENS1_20scan_config_selectorIfEEZZNS1_9scan_implILNS1_25lookback_scan_determinismE0ELb0ELb0ES3_N6thrust23THRUST_200600_302600_NS6detail15normal_iteratorINS9_10device_ptrIfEEEESE_f11max_functorIfEfEEDaPvRmT3_T4_T5_mT6_P12ihipStream_tbENKUlT_T0_E_clISt17integral_constantIbLb0EEST_IbLb1EEEEDaSP_SQ_EUlSP_E0_NS1_11comp_targetILNS1_3genE8ELNS1_11target_archE1030ELNS1_3gpuE2ELNS1_3repE0EEENS1_30default_config_static_selectorELNS0_4arch9wavefront6targetE1EEEvT1_
		.amdhsa_group_segment_fixed_size 0
		.amdhsa_private_segment_fixed_size 0
		.amdhsa_kernarg_size 32
		.amdhsa_user_sgpr_count 6
		.amdhsa_user_sgpr_private_segment_buffer 1
		.amdhsa_user_sgpr_dispatch_ptr 0
		.amdhsa_user_sgpr_queue_ptr 0
		.amdhsa_user_sgpr_kernarg_segment_ptr 1
		.amdhsa_user_sgpr_dispatch_id 0
		.amdhsa_user_sgpr_flat_scratch_init 0
		.amdhsa_user_sgpr_kernarg_preload_length 0
		.amdhsa_user_sgpr_kernarg_preload_offset 0
		.amdhsa_user_sgpr_private_segment_size 0
		.amdhsa_uses_dynamic_stack 0
		.amdhsa_system_sgpr_private_segment_wavefront_offset 0
		.amdhsa_system_sgpr_workgroup_id_x 1
		.amdhsa_system_sgpr_workgroup_id_y 0
		.amdhsa_system_sgpr_workgroup_id_z 0
		.amdhsa_system_sgpr_workgroup_info 0
		.amdhsa_system_vgpr_workitem_id 0
		.amdhsa_next_free_vgpr 1
		.amdhsa_next_free_sgpr 0
		.amdhsa_accum_offset 4
		.amdhsa_reserve_vcc 0
		.amdhsa_reserve_flat_scratch 0
		.amdhsa_float_round_mode_32 0
		.amdhsa_float_round_mode_16_64 0
		.amdhsa_float_denorm_mode_32 3
		.amdhsa_float_denorm_mode_16_64 3
		.amdhsa_dx10_clamp 1
		.amdhsa_ieee_mode 1
		.amdhsa_fp16_overflow 0
		.amdhsa_tg_split 0
		.amdhsa_exception_fp_ieee_invalid_op 0
		.amdhsa_exception_fp_denorm_src 0
		.amdhsa_exception_fp_ieee_div_zero 0
		.amdhsa_exception_fp_ieee_overflow 0
		.amdhsa_exception_fp_ieee_underflow 0
		.amdhsa_exception_fp_ieee_inexact 0
		.amdhsa_exception_int_div_zero 0
	.end_amdhsa_kernel
	.section	.text._ZN7rocprim17ROCPRIM_400000_NS6detail17trampoline_kernelINS0_14default_configENS1_20scan_config_selectorIfEEZZNS1_9scan_implILNS1_25lookback_scan_determinismE0ELb0ELb0ES3_N6thrust23THRUST_200600_302600_NS6detail15normal_iteratorINS9_10device_ptrIfEEEESE_f11max_functorIfEfEEDaPvRmT3_T4_T5_mT6_P12ihipStream_tbENKUlT_T0_E_clISt17integral_constantIbLb0EEST_IbLb1EEEEDaSP_SQ_EUlSP_E0_NS1_11comp_targetILNS1_3genE8ELNS1_11target_archE1030ELNS1_3gpuE2ELNS1_3repE0EEENS1_30default_config_static_selectorELNS0_4arch9wavefront6targetE1EEEvT1_,"axG",@progbits,_ZN7rocprim17ROCPRIM_400000_NS6detail17trampoline_kernelINS0_14default_configENS1_20scan_config_selectorIfEEZZNS1_9scan_implILNS1_25lookback_scan_determinismE0ELb0ELb0ES3_N6thrust23THRUST_200600_302600_NS6detail15normal_iteratorINS9_10device_ptrIfEEEESE_f11max_functorIfEfEEDaPvRmT3_T4_T5_mT6_P12ihipStream_tbENKUlT_T0_E_clISt17integral_constantIbLb0EEST_IbLb1EEEEDaSP_SQ_EUlSP_E0_NS1_11comp_targetILNS1_3genE8ELNS1_11target_archE1030ELNS1_3gpuE2ELNS1_3repE0EEENS1_30default_config_static_selectorELNS0_4arch9wavefront6targetE1EEEvT1_,comdat
.Lfunc_end2014:
	.size	_ZN7rocprim17ROCPRIM_400000_NS6detail17trampoline_kernelINS0_14default_configENS1_20scan_config_selectorIfEEZZNS1_9scan_implILNS1_25lookback_scan_determinismE0ELb0ELb0ES3_N6thrust23THRUST_200600_302600_NS6detail15normal_iteratorINS9_10device_ptrIfEEEESE_f11max_functorIfEfEEDaPvRmT3_T4_T5_mT6_P12ihipStream_tbENKUlT_T0_E_clISt17integral_constantIbLb0EEST_IbLb1EEEEDaSP_SQ_EUlSP_E0_NS1_11comp_targetILNS1_3genE8ELNS1_11target_archE1030ELNS1_3gpuE2ELNS1_3repE0EEENS1_30default_config_static_selectorELNS0_4arch9wavefront6targetE1EEEvT1_, .Lfunc_end2014-_ZN7rocprim17ROCPRIM_400000_NS6detail17trampoline_kernelINS0_14default_configENS1_20scan_config_selectorIfEEZZNS1_9scan_implILNS1_25lookback_scan_determinismE0ELb0ELb0ES3_N6thrust23THRUST_200600_302600_NS6detail15normal_iteratorINS9_10device_ptrIfEEEESE_f11max_functorIfEfEEDaPvRmT3_T4_T5_mT6_P12ihipStream_tbENKUlT_T0_E_clISt17integral_constantIbLb0EEST_IbLb1EEEEDaSP_SQ_EUlSP_E0_NS1_11comp_targetILNS1_3genE8ELNS1_11target_archE1030ELNS1_3gpuE2ELNS1_3repE0EEENS1_30default_config_static_selectorELNS0_4arch9wavefront6targetE1EEEvT1_
                                        ; -- End function
	.section	.AMDGPU.csdata,"",@progbits
; Kernel info:
; codeLenInByte = 0
; NumSgprs: 4
; NumVgprs: 0
; NumAgprs: 0
; TotalNumVgprs: 0
; ScratchSize: 0
; MemoryBound: 0
; FloatMode: 240
; IeeeMode: 1
; LDSByteSize: 0 bytes/workgroup (compile time only)
; SGPRBlocks: 0
; VGPRBlocks: 0
; NumSGPRsForWavesPerEU: 4
; NumVGPRsForWavesPerEU: 1
; AccumOffset: 4
; Occupancy: 8
; WaveLimiterHint : 0
; COMPUTE_PGM_RSRC2:SCRATCH_EN: 0
; COMPUTE_PGM_RSRC2:USER_SGPR: 6
; COMPUTE_PGM_RSRC2:TRAP_HANDLER: 0
; COMPUTE_PGM_RSRC2:TGID_X_EN: 1
; COMPUTE_PGM_RSRC2:TGID_Y_EN: 0
; COMPUTE_PGM_RSRC2:TGID_Z_EN: 0
; COMPUTE_PGM_RSRC2:TIDIG_COMP_CNT: 0
; COMPUTE_PGM_RSRC3_GFX90A:ACCUM_OFFSET: 0
; COMPUTE_PGM_RSRC3_GFX90A:TG_SPLIT: 0
	.section	.text._ZN7rocprim17ROCPRIM_400000_NS6detail17trampoline_kernelINS0_14default_configENS1_20scan_config_selectorIfEEZZNS1_9scan_implILNS1_25lookback_scan_determinismE0ELb1ELb1ES3_N6thrust23THRUST_200600_302600_NS6detail15normal_iteratorINS9_10device_ptrIfEEEESE_f11max_functorIfEfEEDaPvRmT3_T4_T5_mT6_P12ihipStream_tbENKUlT_T0_E_clISt17integral_constantIbLb0EESU_EEDaSP_SQ_EUlSP_E_NS1_11comp_targetILNS1_3genE0ELNS1_11target_archE4294967295ELNS1_3gpuE0ELNS1_3repE0EEENS1_30default_config_static_selectorELNS0_4arch9wavefront6targetE1EEEvT1_,"axG",@progbits,_ZN7rocprim17ROCPRIM_400000_NS6detail17trampoline_kernelINS0_14default_configENS1_20scan_config_selectorIfEEZZNS1_9scan_implILNS1_25lookback_scan_determinismE0ELb1ELb1ES3_N6thrust23THRUST_200600_302600_NS6detail15normal_iteratorINS9_10device_ptrIfEEEESE_f11max_functorIfEfEEDaPvRmT3_T4_T5_mT6_P12ihipStream_tbENKUlT_T0_E_clISt17integral_constantIbLb0EESU_EEDaSP_SQ_EUlSP_E_NS1_11comp_targetILNS1_3genE0ELNS1_11target_archE4294967295ELNS1_3gpuE0ELNS1_3repE0EEENS1_30default_config_static_selectorELNS0_4arch9wavefront6targetE1EEEvT1_,comdat
	.protected	_ZN7rocprim17ROCPRIM_400000_NS6detail17trampoline_kernelINS0_14default_configENS1_20scan_config_selectorIfEEZZNS1_9scan_implILNS1_25lookback_scan_determinismE0ELb1ELb1ES3_N6thrust23THRUST_200600_302600_NS6detail15normal_iteratorINS9_10device_ptrIfEEEESE_f11max_functorIfEfEEDaPvRmT3_T4_T5_mT6_P12ihipStream_tbENKUlT_T0_E_clISt17integral_constantIbLb0EESU_EEDaSP_SQ_EUlSP_E_NS1_11comp_targetILNS1_3genE0ELNS1_11target_archE4294967295ELNS1_3gpuE0ELNS1_3repE0EEENS1_30default_config_static_selectorELNS0_4arch9wavefront6targetE1EEEvT1_ ; -- Begin function _ZN7rocprim17ROCPRIM_400000_NS6detail17trampoline_kernelINS0_14default_configENS1_20scan_config_selectorIfEEZZNS1_9scan_implILNS1_25lookback_scan_determinismE0ELb1ELb1ES3_N6thrust23THRUST_200600_302600_NS6detail15normal_iteratorINS9_10device_ptrIfEEEESE_f11max_functorIfEfEEDaPvRmT3_T4_T5_mT6_P12ihipStream_tbENKUlT_T0_E_clISt17integral_constantIbLb0EESU_EEDaSP_SQ_EUlSP_E_NS1_11comp_targetILNS1_3genE0ELNS1_11target_archE4294967295ELNS1_3gpuE0ELNS1_3repE0EEENS1_30default_config_static_selectorELNS0_4arch9wavefront6targetE1EEEvT1_
	.globl	_ZN7rocprim17ROCPRIM_400000_NS6detail17trampoline_kernelINS0_14default_configENS1_20scan_config_selectorIfEEZZNS1_9scan_implILNS1_25lookback_scan_determinismE0ELb1ELb1ES3_N6thrust23THRUST_200600_302600_NS6detail15normal_iteratorINS9_10device_ptrIfEEEESE_f11max_functorIfEfEEDaPvRmT3_T4_T5_mT6_P12ihipStream_tbENKUlT_T0_E_clISt17integral_constantIbLb0EESU_EEDaSP_SQ_EUlSP_E_NS1_11comp_targetILNS1_3genE0ELNS1_11target_archE4294967295ELNS1_3gpuE0ELNS1_3repE0EEENS1_30default_config_static_selectorELNS0_4arch9wavefront6targetE1EEEvT1_
	.p2align	8
	.type	_ZN7rocprim17ROCPRIM_400000_NS6detail17trampoline_kernelINS0_14default_configENS1_20scan_config_selectorIfEEZZNS1_9scan_implILNS1_25lookback_scan_determinismE0ELb1ELb1ES3_N6thrust23THRUST_200600_302600_NS6detail15normal_iteratorINS9_10device_ptrIfEEEESE_f11max_functorIfEfEEDaPvRmT3_T4_T5_mT6_P12ihipStream_tbENKUlT_T0_E_clISt17integral_constantIbLb0EESU_EEDaSP_SQ_EUlSP_E_NS1_11comp_targetILNS1_3genE0ELNS1_11target_archE4294967295ELNS1_3gpuE0ELNS1_3repE0EEENS1_30default_config_static_selectorELNS0_4arch9wavefront6targetE1EEEvT1_,@function
_ZN7rocprim17ROCPRIM_400000_NS6detail17trampoline_kernelINS0_14default_configENS1_20scan_config_selectorIfEEZZNS1_9scan_implILNS1_25lookback_scan_determinismE0ELb1ELb1ES3_N6thrust23THRUST_200600_302600_NS6detail15normal_iteratorINS9_10device_ptrIfEEEESE_f11max_functorIfEfEEDaPvRmT3_T4_T5_mT6_P12ihipStream_tbENKUlT_T0_E_clISt17integral_constantIbLb0EESU_EEDaSP_SQ_EUlSP_E_NS1_11comp_targetILNS1_3genE0ELNS1_11target_archE4294967295ELNS1_3gpuE0ELNS1_3repE0EEENS1_30default_config_static_selectorELNS0_4arch9wavefront6targetE1EEEvT1_: ; @_ZN7rocprim17ROCPRIM_400000_NS6detail17trampoline_kernelINS0_14default_configENS1_20scan_config_selectorIfEEZZNS1_9scan_implILNS1_25lookback_scan_determinismE0ELb1ELb1ES3_N6thrust23THRUST_200600_302600_NS6detail15normal_iteratorINS9_10device_ptrIfEEEESE_f11max_functorIfEfEEDaPvRmT3_T4_T5_mT6_P12ihipStream_tbENKUlT_T0_E_clISt17integral_constantIbLb0EESU_EEDaSP_SQ_EUlSP_E_NS1_11comp_targetILNS1_3genE0ELNS1_11target_archE4294967295ELNS1_3gpuE0ELNS1_3repE0EEENS1_30default_config_static_selectorELNS0_4arch9wavefront6targetE1EEEvT1_
; %bb.0:
	.section	.rodata,"a",@progbits
	.p2align	6, 0x0
	.amdhsa_kernel _ZN7rocprim17ROCPRIM_400000_NS6detail17trampoline_kernelINS0_14default_configENS1_20scan_config_selectorIfEEZZNS1_9scan_implILNS1_25lookback_scan_determinismE0ELb1ELb1ES3_N6thrust23THRUST_200600_302600_NS6detail15normal_iteratorINS9_10device_ptrIfEEEESE_f11max_functorIfEfEEDaPvRmT3_T4_T5_mT6_P12ihipStream_tbENKUlT_T0_E_clISt17integral_constantIbLb0EESU_EEDaSP_SQ_EUlSP_E_NS1_11comp_targetILNS1_3genE0ELNS1_11target_archE4294967295ELNS1_3gpuE0ELNS1_3repE0EEENS1_30default_config_static_selectorELNS0_4arch9wavefront6targetE1EEEvT1_
		.amdhsa_group_segment_fixed_size 0
		.amdhsa_private_segment_fixed_size 0
		.amdhsa_kernarg_size 96
		.amdhsa_user_sgpr_count 6
		.amdhsa_user_sgpr_private_segment_buffer 1
		.amdhsa_user_sgpr_dispatch_ptr 0
		.amdhsa_user_sgpr_queue_ptr 0
		.amdhsa_user_sgpr_kernarg_segment_ptr 1
		.amdhsa_user_sgpr_dispatch_id 0
		.amdhsa_user_sgpr_flat_scratch_init 0
		.amdhsa_user_sgpr_kernarg_preload_length 0
		.amdhsa_user_sgpr_kernarg_preload_offset 0
		.amdhsa_user_sgpr_private_segment_size 0
		.amdhsa_uses_dynamic_stack 0
		.amdhsa_system_sgpr_private_segment_wavefront_offset 0
		.amdhsa_system_sgpr_workgroup_id_x 1
		.amdhsa_system_sgpr_workgroup_id_y 0
		.amdhsa_system_sgpr_workgroup_id_z 0
		.amdhsa_system_sgpr_workgroup_info 0
		.amdhsa_system_vgpr_workitem_id 0
		.amdhsa_next_free_vgpr 1
		.amdhsa_next_free_sgpr 0
		.amdhsa_accum_offset 4
		.amdhsa_reserve_vcc 0
		.amdhsa_reserve_flat_scratch 0
		.amdhsa_float_round_mode_32 0
		.amdhsa_float_round_mode_16_64 0
		.amdhsa_float_denorm_mode_32 3
		.amdhsa_float_denorm_mode_16_64 3
		.amdhsa_dx10_clamp 1
		.amdhsa_ieee_mode 1
		.amdhsa_fp16_overflow 0
		.amdhsa_tg_split 0
		.amdhsa_exception_fp_ieee_invalid_op 0
		.amdhsa_exception_fp_denorm_src 0
		.amdhsa_exception_fp_ieee_div_zero 0
		.amdhsa_exception_fp_ieee_overflow 0
		.amdhsa_exception_fp_ieee_underflow 0
		.amdhsa_exception_fp_ieee_inexact 0
		.amdhsa_exception_int_div_zero 0
	.end_amdhsa_kernel
	.section	.text._ZN7rocprim17ROCPRIM_400000_NS6detail17trampoline_kernelINS0_14default_configENS1_20scan_config_selectorIfEEZZNS1_9scan_implILNS1_25lookback_scan_determinismE0ELb1ELb1ES3_N6thrust23THRUST_200600_302600_NS6detail15normal_iteratorINS9_10device_ptrIfEEEESE_f11max_functorIfEfEEDaPvRmT3_T4_T5_mT6_P12ihipStream_tbENKUlT_T0_E_clISt17integral_constantIbLb0EESU_EEDaSP_SQ_EUlSP_E_NS1_11comp_targetILNS1_3genE0ELNS1_11target_archE4294967295ELNS1_3gpuE0ELNS1_3repE0EEENS1_30default_config_static_selectorELNS0_4arch9wavefront6targetE1EEEvT1_,"axG",@progbits,_ZN7rocprim17ROCPRIM_400000_NS6detail17trampoline_kernelINS0_14default_configENS1_20scan_config_selectorIfEEZZNS1_9scan_implILNS1_25lookback_scan_determinismE0ELb1ELb1ES3_N6thrust23THRUST_200600_302600_NS6detail15normal_iteratorINS9_10device_ptrIfEEEESE_f11max_functorIfEfEEDaPvRmT3_T4_T5_mT6_P12ihipStream_tbENKUlT_T0_E_clISt17integral_constantIbLb0EESU_EEDaSP_SQ_EUlSP_E_NS1_11comp_targetILNS1_3genE0ELNS1_11target_archE4294967295ELNS1_3gpuE0ELNS1_3repE0EEENS1_30default_config_static_selectorELNS0_4arch9wavefront6targetE1EEEvT1_,comdat
.Lfunc_end2015:
	.size	_ZN7rocprim17ROCPRIM_400000_NS6detail17trampoline_kernelINS0_14default_configENS1_20scan_config_selectorIfEEZZNS1_9scan_implILNS1_25lookback_scan_determinismE0ELb1ELb1ES3_N6thrust23THRUST_200600_302600_NS6detail15normal_iteratorINS9_10device_ptrIfEEEESE_f11max_functorIfEfEEDaPvRmT3_T4_T5_mT6_P12ihipStream_tbENKUlT_T0_E_clISt17integral_constantIbLb0EESU_EEDaSP_SQ_EUlSP_E_NS1_11comp_targetILNS1_3genE0ELNS1_11target_archE4294967295ELNS1_3gpuE0ELNS1_3repE0EEENS1_30default_config_static_selectorELNS0_4arch9wavefront6targetE1EEEvT1_, .Lfunc_end2015-_ZN7rocprim17ROCPRIM_400000_NS6detail17trampoline_kernelINS0_14default_configENS1_20scan_config_selectorIfEEZZNS1_9scan_implILNS1_25lookback_scan_determinismE0ELb1ELb1ES3_N6thrust23THRUST_200600_302600_NS6detail15normal_iteratorINS9_10device_ptrIfEEEESE_f11max_functorIfEfEEDaPvRmT3_T4_T5_mT6_P12ihipStream_tbENKUlT_T0_E_clISt17integral_constantIbLb0EESU_EEDaSP_SQ_EUlSP_E_NS1_11comp_targetILNS1_3genE0ELNS1_11target_archE4294967295ELNS1_3gpuE0ELNS1_3repE0EEENS1_30default_config_static_selectorELNS0_4arch9wavefront6targetE1EEEvT1_
                                        ; -- End function
	.section	.AMDGPU.csdata,"",@progbits
; Kernel info:
; codeLenInByte = 0
; NumSgprs: 4
; NumVgprs: 0
; NumAgprs: 0
; TotalNumVgprs: 0
; ScratchSize: 0
; MemoryBound: 0
; FloatMode: 240
; IeeeMode: 1
; LDSByteSize: 0 bytes/workgroup (compile time only)
; SGPRBlocks: 0
; VGPRBlocks: 0
; NumSGPRsForWavesPerEU: 4
; NumVGPRsForWavesPerEU: 1
; AccumOffset: 4
; Occupancy: 8
; WaveLimiterHint : 0
; COMPUTE_PGM_RSRC2:SCRATCH_EN: 0
; COMPUTE_PGM_RSRC2:USER_SGPR: 6
; COMPUTE_PGM_RSRC2:TRAP_HANDLER: 0
; COMPUTE_PGM_RSRC2:TGID_X_EN: 1
; COMPUTE_PGM_RSRC2:TGID_Y_EN: 0
; COMPUTE_PGM_RSRC2:TGID_Z_EN: 0
; COMPUTE_PGM_RSRC2:TIDIG_COMP_CNT: 0
; COMPUTE_PGM_RSRC3_GFX90A:ACCUM_OFFSET: 0
; COMPUTE_PGM_RSRC3_GFX90A:TG_SPLIT: 0
	.section	.text._ZN7rocprim17ROCPRIM_400000_NS6detail17trampoline_kernelINS0_14default_configENS1_20scan_config_selectorIfEEZZNS1_9scan_implILNS1_25lookback_scan_determinismE0ELb1ELb1ES3_N6thrust23THRUST_200600_302600_NS6detail15normal_iteratorINS9_10device_ptrIfEEEESE_f11max_functorIfEfEEDaPvRmT3_T4_T5_mT6_P12ihipStream_tbENKUlT_T0_E_clISt17integral_constantIbLb0EESU_EEDaSP_SQ_EUlSP_E_NS1_11comp_targetILNS1_3genE5ELNS1_11target_archE942ELNS1_3gpuE9ELNS1_3repE0EEENS1_30default_config_static_selectorELNS0_4arch9wavefront6targetE1EEEvT1_,"axG",@progbits,_ZN7rocprim17ROCPRIM_400000_NS6detail17trampoline_kernelINS0_14default_configENS1_20scan_config_selectorIfEEZZNS1_9scan_implILNS1_25lookback_scan_determinismE0ELb1ELb1ES3_N6thrust23THRUST_200600_302600_NS6detail15normal_iteratorINS9_10device_ptrIfEEEESE_f11max_functorIfEfEEDaPvRmT3_T4_T5_mT6_P12ihipStream_tbENKUlT_T0_E_clISt17integral_constantIbLb0EESU_EEDaSP_SQ_EUlSP_E_NS1_11comp_targetILNS1_3genE5ELNS1_11target_archE942ELNS1_3gpuE9ELNS1_3repE0EEENS1_30default_config_static_selectorELNS0_4arch9wavefront6targetE1EEEvT1_,comdat
	.protected	_ZN7rocprim17ROCPRIM_400000_NS6detail17trampoline_kernelINS0_14default_configENS1_20scan_config_selectorIfEEZZNS1_9scan_implILNS1_25lookback_scan_determinismE0ELb1ELb1ES3_N6thrust23THRUST_200600_302600_NS6detail15normal_iteratorINS9_10device_ptrIfEEEESE_f11max_functorIfEfEEDaPvRmT3_T4_T5_mT6_P12ihipStream_tbENKUlT_T0_E_clISt17integral_constantIbLb0EESU_EEDaSP_SQ_EUlSP_E_NS1_11comp_targetILNS1_3genE5ELNS1_11target_archE942ELNS1_3gpuE9ELNS1_3repE0EEENS1_30default_config_static_selectorELNS0_4arch9wavefront6targetE1EEEvT1_ ; -- Begin function _ZN7rocprim17ROCPRIM_400000_NS6detail17trampoline_kernelINS0_14default_configENS1_20scan_config_selectorIfEEZZNS1_9scan_implILNS1_25lookback_scan_determinismE0ELb1ELb1ES3_N6thrust23THRUST_200600_302600_NS6detail15normal_iteratorINS9_10device_ptrIfEEEESE_f11max_functorIfEfEEDaPvRmT3_T4_T5_mT6_P12ihipStream_tbENKUlT_T0_E_clISt17integral_constantIbLb0EESU_EEDaSP_SQ_EUlSP_E_NS1_11comp_targetILNS1_3genE5ELNS1_11target_archE942ELNS1_3gpuE9ELNS1_3repE0EEENS1_30default_config_static_selectorELNS0_4arch9wavefront6targetE1EEEvT1_
	.globl	_ZN7rocprim17ROCPRIM_400000_NS6detail17trampoline_kernelINS0_14default_configENS1_20scan_config_selectorIfEEZZNS1_9scan_implILNS1_25lookback_scan_determinismE0ELb1ELb1ES3_N6thrust23THRUST_200600_302600_NS6detail15normal_iteratorINS9_10device_ptrIfEEEESE_f11max_functorIfEfEEDaPvRmT3_T4_T5_mT6_P12ihipStream_tbENKUlT_T0_E_clISt17integral_constantIbLb0EESU_EEDaSP_SQ_EUlSP_E_NS1_11comp_targetILNS1_3genE5ELNS1_11target_archE942ELNS1_3gpuE9ELNS1_3repE0EEENS1_30default_config_static_selectorELNS0_4arch9wavefront6targetE1EEEvT1_
	.p2align	8
	.type	_ZN7rocprim17ROCPRIM_400000_NS6detail17trampoline_kernelINS0_14default_configENS1_20scan_config_selectorIfEEZZNS1_9scan_implILNS1_25lookback_scan_determinismE0ELb1ELb1ES3_N6thrust23THRUST_200600_302600_NS6detail15normal_iteratorINS9_10device_ptrIfEEEESE_f11max_functorIfEfEEDaPvRmT3_T4_T5_mT6_P12ihipStream_tbENKUlT_T0_E_clISt17integral_constantIbLb0EESU_EEDaSP_SQ_EUlSP_E_NS1_11comp_targetILNS1_3genE5ELNS1_11target_archE942ELNS1_3gpuE9ELNS1_3repE0EEENS1_30default_config_static_selectorELNS0_4arch9wavefront6targetE1EEEvT1_,@function
_ZN7rocprim17ROCPRIM_400000_NS6detail17trampoline_kernelINS0_14default_configENS1_20scan_config_selectorIfEEZZNS1_9scan_implILNS1_25lookback_scan_determinismE0ELb1ELb1ES3_N6thrust23THRUST_200600_302600_NS6detail15normal_iteratorINS9_10device_ptrIfEEEESE_f11max_functorIfEfEEDaPvRmT3_T4_T5_mT6_P12ihipStream_tbENKUlT_T0_E_clISt17integral_constantIbLb0EESU_EEDaSP_SQ_EUlSP_E_NS1_11comp_targetILNS1_3genE5ELNS1_11target_archE942ELNS1_3gpuE9ELNS1_3repE0EEENS1_30default_config_static_selectorELNS0_4arch9wavefront6targetE1EEEvT1_: ; @_ZN7rocprim17ROCPRIM_400000_NS6detail17trampoline_kernelINS0_14default_configENS1_20scan_config_selectorIfEEZZNS1_9scan_implILNS1_25lookback_scan_determinismE0ELb1ELb1ES3_N6thrust23THRUST_200600_302600_NS6detail15normal_iteratorINS9_10device_ptrIfEEEESE_f11max_functorIfEfEEDaPvRmT3_T4_T5_mT6_P12ihipStream_tbENKUlT_T0_E_clISt17integral_constantIbLb0EESU_EEDaSP_SQ_EUlSP_E_NS1_11comp_targetILNS1_3genE5ELNS1_11target_archE942ELNS1_3gpuE9ELNS1_3repE0EEENS1_30default_config_static_selectorELNS0_4arch9wavefront6targetE1EEEvT1_
; %bb.0:
	.section	.rodata,"a",@progbits
	.p2align	6, 0x0
	.amdhsa_kernel _ZN7rocprim17ROCPRIM_400000_NS6detail17trampoline_kernelINS0_14default_configENS1_20scan_config_selectorIfEEZZNS1_9scan_implILNS1_25lookback_scan_determinismE0ELb1ELb1ES3_N6thrust23THRUST_200600_302600_NS6detail15normal_iteratorINS9_10device_ptrIfEEEESE_f11max_functorIfEfEEDaPvRmT3_T4_T5_mT6_P12ihipStream_tbENKUlT_T0_E_clISt17integral_constantIbLb0EESU_EEDaSP_SQ_EUlSP_E_NS1_11comp_targetILNS1_3genE5ELNS1_11target_archE942ELNS1_3gpuE9ELNS1_3repE0EEENS1_30default_config_static_selectorELNS0_4arch9wavefront6targetE1EEEvT1_
		.amdhsa_group_segment_fixed_size 0
		.amdhsa_private_segment_fixed_size 0
		.amdhsa_kernarg_size 96
		.amdhsa_user_sgpr_count 6
		.amdhsa_user_sgpr_private_segment_buffer 1
		.amdhsa_user_sgpr_dispatch_ptr 0
		.amdhsa_user_sgpr_queue_ptr 0
		.amdhsa_user_sgpr_kernarg_segment_ptr 1
		.amdhsa_user_sgpr_dispatch_id 0
		.amdhsa_user_sgpr_flat_scratch_init 0
		.amdhsa_user_sgpr_kernarg_preload_length 0
		.amdhsa_user_sgpr_kernarg_preload_offset 0
		.amdhsa_user_sgpr_private_segment_size 0
		.amdhsa_uses_dynamic_stack 0
		.amdhsa_system_sgpr_private_segment_wavefront_offset 0
		.amdhsa_system_sgpr_workgroup_id_x 1
		.amdhsa_system_sgpr_workgroup_id_y 0
		.amdhsa_system_sgpr_workgroup_id_z 0
		.amdhsa_system_sgpr_workgroup_info 0
		.amdhsa_system_vgpr_workitem_id 0
		.amdhsa_next_free_vgpr 1
		.amdhsa_next_free_sgpr 0
		.amdhsa_accum_offset 4
		.amdhsa_reserve_vcc 0
		.amdhsa_reserve_flat_scratch 0
		.amdhsa_float_round_mode_32 0
		.amdhsa_float_round_mode_16_64 0
		.amdhsa_float_denorm_mode_32 3
		.amdhsa_float_denorm_mode_16_64 3
		.amdhsa_dx10_clamp 1
		.amdhsa_ieee_mode 1
		.amdhsa_fp16_overflow 0
		.amdhsa_tg_split 0
		.amdhsa_exception_fp_ieee_invalid_op 0
		.amdhsa_exception_fp_denorm_src 0
		.amdhsa_exception_fp_ieee_div_zero 0
		.amdhsa_exception_fp_ieee_overflow 0
		.amdhsa_exception_fp_ieee_underflow 0
		.amdhsa_exception_fp_ieee_inexact 0
		.amdhsa_exception_int_div_zero 0
	.end_amdhsa_kernel
	.section	.text._ZN7rocprim17ROCPRIM_400000_NS6detail17trampoline_kernelINS0_14default_configENS1_20scan_config_selectorIfEEZZNS1_9scan_implILNS1_25lookback_scan_determinismE0ELb1ELb1ES3_N6thrust23THRUST_200600_302600_NS6detail15normal_iteratorINS9_10device_ptrIfEEEESE_f11max_functorIfEfEEDaPvRmT3_T4_T5_mT6_P12ihipStream_tbENKUlT_T0_E_clISt17integral_constantIbLb0EESU_EEDaSP_SQ_EUlSP_E_NS1_11comp_targetILNS1_3genE5ELNS1_11target_archE942ELNS1_3gpuE9ELNS1_3repE0EEENS1_30default_config_static_selectorELNS0_4arch9wavefront6targetE1EEEvT1_,"axG",@progbits,_ZN7rocprim17ROCPRIM_400000_NS6detail17trampoline_kernelINS0_14default_configENS1_20scan_config_selectorIfEEZZNS1_9scan_implILNS1_25lookback_scan_determinismE0ELb1ELb1ES3_N6thrust23THRUST_200600_302600_NS6detail15normal_iteratorINS9_10device_ptrIfEEEESE_f11max_functorIfEfEEDaPvRmT3_T4_T5_mT6_P12ihipStream_tbENKUlT_T0_E_clISt17integral_constantIbLb0EESU_EEDaSP_SQ_EUlSP_E_NS1_11comp_targetILNS1_3genE5ELNS1_11target_archE942ELNS1_3gpuE9ELNS1_3repE0EEENS1_30default_config_static_selectorELNS0_4arch9wavefront6targetE1EEEvT1_,comdat
.Lfunc_end2016:
	.size	_ZN7rocprim17ROCPRIM_400000_NS6detail17trampoline_kernelINS0_14default_configENS1_20scan_config_selectorIfEEZZNS1_9scan_implILNS1_25lookback_scan_determinismE0ELb1ELb1ES3_N6thrust23THRUST_200600_302600_NS6detail15normal_iteratorINS9_10device_ptrIfEEEESE_f11max_functorIfEfEEDaPvRmT3_T4_T5_mT6_P12ihipStream_tbENKUlT_T0_E_clISt17integral_constantIbLb0EESU_EEDaSP_SQ_EUlSP_E_NS1_11comp_targetILNS1_3genE5ELNS1_11target_archE942ELNS1_3gpuE9ELNS1_3repE0EEENS1_30default_config_static_selectorELNS0_4arch9wavefront6targetE1EEEvT1_, .Lfunc_end2016-_ZN7rocprim17ROCPRIM_400000_NS6detail17trampoline_kernelINS0_14default_configENS1_20scan_config_selectorIfEEZZNS1_9scan_implILNS1_25lookback_scan_determinismE0ELb1ELb1ES3_N6thrust23THRUST_200600_302600_NS6detail15normal_iteratorINS9_10device_ptrIfEEEESE_f11max_functorIfEfEEDaPvRmT3_T4_T5_mT6_P12ihipStream_tbENKUlT_T0_E_clISt17integral_constantIbLb0EESU_EEDaSP_SQ_EUlSP_E_NS1_11comp_targetILNS1_3genE5ELNS1_11target_archE942ELNS1_3gpuE9ELNS1_3repE0EEENS1_30default_config_static_selectorELNS0_4arch9wavefront6targetE1EEEvT1_
                                        ; -- End function
	.section	.AMDGPU.csdata,"",@progbits
; Kernel info:
; codeLenInByte = 0
; NumSgprs: 4
; NumVgprs: 0
; NumAgprs: 0
; TotalNumVgprs: 0
; ScratchSize: 0
; MemoryBound: 0
; FloatMode: 240
; IeeeMode: 1
; LDSByteSize: 0 bytes/workgroup (compile time only)
; SGPRBlocks: 0
; VGPRBlocks: 0
; NumSGPRsForWavesPerEU: 4
; NumVGPRsForWavesPerEU: 1
; AccumOffset: 4
; Occupancy: 8
; WaveLimiterHint : 0
; COMPUTE_PGM_RSRC2:SCRATCH_EN: 0
; COMPUTE_PGM_RSRC2:USER_SGPR: 6
; COMPUTE_PGM_RSRC2:TRAP_HANDLER: 0
; COMPUTE_PGM_RSRC2:TGID_X_EN: 1
; COMPUTE_PGM_RSRC2:TGID_Y_EN: 0
; COMPUTE_PGM_RSRC2:TGID_Z_EN: 0
; COMPUTE_PGM_RSRC2:TIDIG_COMP_CNT: 0
; COMPUTE_PGM_RSRC3_GFX90A:ACCUM_OFFSET: 0
; COMPUTE_PGM_RSRC3_GFX90A:TG_SPLIT: 0
	.section	.text._ZN7rocprim17ROCPRIM_400000_NS6detail17trampoline_kernelINS0_14default_configENS1_20scan_config_selectorIfEEZZNS1_9scan_implILNS1_25lookback_scan_determinismE0ELb1ELb1ES3_N6thrust23THRUST_200600_302600_NS6detail15normal_iteratorINS9_10device_ptrIfEEEESE_f11max_functorIfEfEEDaPvRmT3_T4_T5_mT6_P12ihipStream_tbENKUlT_T0_E_clISt17integral_constantIbLb0EESU_EEDaSP_SQ_EUlSP_E_NS1_11comp_targetILNS1_3genE4ELNS1_11target_archE910ELNS1_3gpuE8ELNS1_3repE0EEENS1_30default_config_static_selectorELNS0_4arch9wavefront6targetE1EEEvT1_,"axG",@progbits,_ZN7rocprim17ROCPRIM_400000_NS6detail17trampoline_kernelINS0_14default_configENS1_20scan_config_selectorIfEEZZNS1_9scan_implILNS1_25lookback_scan_determinismE0ELb1ELb1ES3_N6thrust23THRUST_200600_302600_NS6detail15normal_iteratorINS9_10device_ptrIfEEEESE_f11max_functorIfEfEEDaPvRmT3_T4_T5_mT6_P12ihipStream_tbENKUlT_T0_E_clISt17integral_constantIbLb0EESU_EEDaSP_SQ_EUlSP_E_NS1_11comp_targetILNS1_3genE4ELNS1_11target_archE910ELNS1_3gpuE8ELNS1_3repE0EEENS1_30default_config_static_selectorELNS0_4arch9wavefront6targetE1EEEvT1_,comdat
	.protected	_ZN7rocprim17ROCPRIM_400000_NS6detail17trampoline_kernelINS0_14default_configENS1_20scan_config_selectorIfEEZZNS1_9scan_implILNS1_25lookback_scan_determinismE0ELb1ELb1ES3_N6thrust23THRUST_200600_302600_NS6detail15normal_iteratorINS9_10device_ptrIfEEEESE_f11max_functorIfEfEEDaPvRmT3_T4_T5_mT6_P12ihipStream_tbENKUlT_T0_E_clISt17integral_constantIbLb0EESU_EEDaSP_SQ_EUlSP_E_NS1_11comp_targetILNS1_3genE4ELNS1_11target_archE910ELNS1_3gpuE8ELNS1_3repE0EEENS1_30default_config_static_selectorELNS0_4arch9wavefront6targetE1EEEvT1_ ; -- Begin function _ZN7rocprim17ROCPRIM_400000_NS6detail17trampoline_kernelINS0_14default_configENS1_20scan_config_selectorIfEEZZNS1_9scan_implILNS1_25lookback_scan_determinismE0ELb1ELb1ES3_N6thrust23THRUST_200600_302600_NS6detail15normal_iteratorINS9_10device_ptrIfEEEESE_f11max_functorIfEfEEDaPvRmT3_T4_T5_mT6_P12ihipStream_tbENKUlT_T0_E_clISt17integral_constantIbLb0EESU_EEDaSP_SQ_EUlSP_E_NS1_11comp_targetILNS1_3genE4ELNS1_11target_archE910ELNS1_3gpuE8ELNS1_3repE0EEENS1_30default_config_static_selectorELNS0_4arch9wavefront6targetE1EEEvT1_
	.globl	_ZN7rocprim17ROCPRIM_400000_NS6detail17trampoline_kernelINS0_14default_configENS1_20scan_config_selectorIfEEZZNS1_9scan_implILNS1_25lookback_scan_determinismE0ELb1ELb1ES3_N6thrust23THRUST_200600_302600_NS6detail15normal_iteratorINS9_10device_ptrIfEEEESE_f11max_functorIfEfEEDaPvRmT3_T4_T5_mT6_P12ihipStream_tbENKUlT_T0_E_clISt17integral_constantIbLb0EESU_EEDaSP_SQ_EUlSP_E_NS1_11comp_targetILNS1_3genE4ELNS1_11target_archE910ELNS1_3gpuE8ELNS1_3repE0EEENS1_30default_config_static_selectorELNS0_4arch9wavefront6targetE1EEEvT1_
	.p2align	8
	.type	_ZN7rocprim17ROCPRIM_400000_NS6detail17trampoline_kernelINS0_14default_configENS1_20scan_config_selectorIfEEZZNS1_9scan_implILNS1_25lookback_scan_determinismE0ELb1ELb1ES3_N6thrust23THRUST_200600_302600_NS6detail15normal_iteratorINS9_10device_ptrIfEEEESE_f11max_functorIfEfEEDaPvRmT3_T4_T5_mT6_P12ihipStream_tbENKUlT_T0_E_clISt17integral_constantIbLb0EESU_EEDaSP_SQ_EUlSP_E_NS1_11comp_targetILNS1_3genE4ELNS1_11target_archE910ELNS1_3gpuE8ELNS1_3repE0EEENS1_30default_config_static_selectorELNS0_4arch9wavefront6targetE1EEEvT1_,@function
_ZN7rocprim17ROCPRIM_400000_NS6detail17trampoline_kernelINS0_14default_configENS1_20scan_config_selectorIfEEZZNS1_9scan_implILNS1_25lookback_scan_determinismE0ELb1ELb1ES3_N6thrust23THRUST_200600_302600_NS6detail15normal_iteratorINS9_10device_ptrIfEEEESE_f11max_functorIfEfEEDaPvRmT3_T4_T5_mT6_P12ihipStream_tbENKUlT_T0_E_clISt17integral_constantIbLb0EESU_EEDaSP_SQ_EUlSP_E_NS1_11comp_targetILNS1_3genE4ELNS1_11target_archE910ELNS1_3gpuE8ELNS1_3repE0EEENS1_30default_config_static_selectorELNS0_4arch9wavefront6targetE1EEEvT1_: ; @_ZN7rocprim17ROCPRIM_400000_NS6detail17trampoline_kernelINS0_14default_configENS1_20scan_config_selectorIfEEZZNS1_9scan_implILNS1_25lookback_scan_determinismE0ELb1ELb1ES3_N6thrust23THRUST_200600_302600_NS6detail15normal_iteratorINS9_10device_ptrIfEEEESE_f11max_functorIfEfEEDaPvRmT3_T4_T5_mT6_P12ihipStream_tbENKUlT_T0_E_clISt17integral_constantIbLb0EESU_EEDaSP_SQ_EUlSP_E_NS1_11comp_targetILNS1_3genE4ELNS1_11target_archE910ELNS1_3gpuE8ELNS1_3repE0EEENS1_30default_config_static_selectorELNS0_4arch9wavefront6targetE1EEEvT1_
; %bb.0:
	s_load_dwordx8 s[8:15], s[4:5], 0x0
	s_load_dword s1, s[4:5], 0x30
	s_mul_i32 s0, s6, 0x700
	v_lshlrev_b32_e32 v32, 2, v0
	s_waitcnt lgkmcnt(0)
	s_lshl_b64 s[24:25], s[10:11], 2
	s_add_u32 s7, s8, s24
	s_addc_u32 s33, s9, s25
	s_add_i32 s2, s1, -1
	s_mul_i32 s3, s2, 0x700
	s_sub_u32 s30, s14, s3
	s_subb_u32 s31, s15, 0
	s_mov_b32 s1, 0
	s_cmp_lg_u32 s6, s2
	s_cselect_b64 s[14:15], -1, 0
	s_lshl_b64 s[26:27], s[0:1], 2
	s_add_u32 s2, s7, s26
	s_addc_u32 s3, s33, s27
	s_mov_b64 s[0:1], -1
	s_and_b64 vcc, exec, s[14:15]
	s_cbranch_vccz .LBB2017_2
; %bb.1:
	v_mov_b32_e32 v1, s3
	v_add_co_u32_e32 v2, vcc, s2, v32
	v_addc_co_u32_e32 v3, vcc, 0, v1, vcc
	flat_load_dword v1, v[2:3]
	flat_load_dword v4, v[2:3] offset:512
	flat_load_dword v5, v[2:3] offset:1024
	;; [unrolled: 1-line block ×7, first 2 shown]
	v_add_co_u32_e32 v2, vcc, 0x1000, v2
	v_addc_co_u32_e32 v3, vcc, 0, v3, vcc
	flat_load_dword v11, v[2:3]
	flat_load_dword v12, v[2:3] offset:512
	flat_load_dword v13, v[2:3] offset:1024
	;; [unrolled: 1-line block ×5, first 2 shown]
	s_mov_b64 s[0:1], 0
	s_waitcnt vmcnt(0) lgkmcnt(0)
	ds_write2st64_b32 v32, v1, v4 offset1:2
	ds_write2st64_b32 v32, v5, v6 offset0:4 offset1:6
	ds_write2st64_b32 v32, v7, v8 offset0:8 offset1:10
	;; [unrolled: 1-line block ×6, first 2 shown]
	s_waitcnt lgkmcnt(0)
	s_barrier
.LBB2017_2:
	s_load_dwordx2 s[28:29], s[4:5], 0x28
	s_andn2_b64 vcc, exec, s[0:1]
	v_cmp_gt_u32_e64 s[0:1], s30, v0
	s_cbranch_vccnz .LBB2017_32
; %bb.3:
	v_pk_mov_b32 v[2:3], s[2:3], s[2:3] op_sel:[0,1]
	flat_load_dword v1, v[2:3]
	s_waitcnt vmcnt(0) lgkmcnt(0)
	v_mov_b32_e32 v2, v1
	v_mov_b32_e32 v3, v1
	;; [unrolled: 1-line block ×12, first 2 shown]
	v_pk_mov_b32 v[16:17], v[14:15], v[14:15] op_sel:[0,1]
	v_pk_mov_b32 v[14:15], v[12:13], v[12:13] op_sel:[0,1]
	;; [unrolled: 1-line block ×8, first 2 shown]
	s_and_saveexec_b64 s[8:9], s[0:1]
	s_cbranch_execz .LBB2017_5
; %bb.4:
	v_mov_b32_e32 v3, s3
	v_add_co_u32_e32 v2, vcc, s2, v32
	v_addc_co_u32_e32 v3, vcc, 0, v3, vcc
	flat_load_dword v18, v[2:3]
	v_mov_b32_e32 v2, v1
	v_mov_b32_e32 v3, v1
	;; [unrolled: 1-line block ×12, first 2 shown]
	v_pk_mov_b32 v[16:17], v[14:15], v[14:15] op_sel:[0,1]
	v_pk_mov_b32 v[14:15], v[12:13], v[12:13] op_sel:[0,1]
	;; [unrolled: 1-line block ×8, first 2 shown]
	s_waitcnt vmcnt(0) lgkmcnt(0)
	v_mov_b32_e32 v1, v18
.LBB2017_5:
	s_or_b64 exec, exec, s[8:9]
	v_or_b32_e32 v2, 0x80, v0
	v_cmp_gt_u32_e32 vcc, s30, v2
	s_and_saveexec_b64 s[0:1], vcc
	s_cbranch_execz .LBB2017_7
; %bb.6:
	v_mov_b32_e32 v3, s3
	v_add_co_u32_e32 v2, vcc, s2, v32
	v_addc_co_u32_e32 v3, vcc, 0, v3, vcc
	flat_load_dword v3, v[2:3] offset:512
.LBB2017_7:
	s_or_b64 exec, exec, s[0:1]
	v_or_b32_e32 v2, 0x100, v0
	v_cmp_gt_u32_e32 vcc, s30, v2
	s_and_saveexec_b64 s[0:1], vcc
	s_cbranch_execz .LBB2017_9
; %bb.8:
	v_mov_b32_e32 v2, s3
	v_add_co_u32_e32 v16, vcc, s2, v32
	v_addc_co_u32_e32 v17, vcc, 0, v2, vcc
	flat_load_dword v4, v[16:17] offset:1024
.LBB2017_9:
	;; [unrolled: 11-line block ×7, first 2 shown]
	s_or_b64 exec, exec, s[0:1]
	v_or_b32_e32 v2, 0x400, v0
	v_cmp_gt_u32_e32 vcc, s30, v2
	s_and_saveexec_b64 s[0:1], vcc
	s_cbranch_execz .LBB2017_21
; %bb.20:
	v_lshlrev_b32_e32 v2, 2, v2
	v_mov_b32_e32 v10, s3
	v_add_co_u32_e32 v16, vcc, s2, v2
	v_addc_co_u32_e32 v17, vcc, 0, v10, vcc
	flat_load_dword v10, v[16:17]
.LBB2017_21:
	s_or_b64 exec, exec, s[0:1]
	v_or_b32_e32 v2, 0x480, v0
	v_cmp_gt_u32_e32 vcc, s30, v2
	s_and_saveexec_b64 s[0:1], vcc
	s_cbranch_execz .LBB2017_23
; %bb.22:
	v_lshlrev_b32_e32 v2, 2, v2
	v_mov_b32_e32 v11, s3
	v_add_co_u32_e32 v16, vcc, s2, v2
	v_addc_co_u32_e32 v17, vcc, 0, v11, vcc
	flat_load_dword v11, v[16:17]
.LBB2017_23:
	;; [unrolled: 12-line block ×6, first 2 shown]
	s_or_b64 exec, exec, s[0:1]
	s_waitcnt vmcnt(0) lgkmcnt(0)
	ds_write2st64_b32 v32, v1, v3 offset1:2
	ds_write2st64_b32 v32, v4, v5 offset0:4 offset1:6
	ds_write2st64_b32 v32, v6, v7 offset0:8 offset1:10
	;; [unrolled: 1-line block ×6, first 2 shown]
	s_waitcnt lgkmcnt(0)
	s_barrier
.LBB2017_32:
	v_mul_u32_u24_e32 v33, 14, v0
	v_lshlrev_b32_e32 v34, 2, v33
	s_waitcnt lgkmcnt(0)
	ds_read2_b64 v[26:29], v34 offset1:1
	ds_read2_b64 v[22:25], v34 offset0:2 offset1:3
	ds_read2_b64 v[18:21], v34 offset0:4 offset1:5
	ds_read_b64 v[30:31], v34 offset:48
	s_cmp_lg_u32 s6, 0
	s_waitcnt lgkmcnt(3)
	v_cmp_lt_f32_e64 s[0:1], v26, v27
	v_lshrrev_b32_e32 v1, 5, v0
	v_cmp_gt_u32_e32 vcc, 64, v0
	s_waitcnt lgkmcnt(0)
	s_barrier
	s_cbranch_scc0 .LBB2017_57
; %bb.33:
	v_cndmask_b32_e64 v2, v26, v27, s[0:1]
	v_cmp_lt_f32_e64 s[0:1], v2, v28
	v_cndmask_b32_e64 v2, v2, v28, s[0:1]
	v_cmp_lt_f32_e64 s[0:1], v2, v29
	;; [unrolled: 2-line block ×12, first 2 shown]
	v_cndmask_b32_e64 v12, v2, v31, s[0:1]
	v_add_lshl_u32 v2, v1, v0, 2
	ds_write_b32 v2, v12
	s_waitcnt lgkmcnt(0)
	s_barrier
	s_and_saveexec_b64 s[16:17], vcc
	s_cbranch_execz .LBB2017_35
; %bb.34:
	v_lshlrev_b32_e32 v2, 1, v0
	v_lshrrev_b32_e32 v3, 4, v0
	v_add_lshl_u32 v4, v3, v2, 2
	ds_read2_b32 v[2:3], v4 offset1:1
	v_mbcnt_lo_u32_b32 v5, -1, 0
	v_mbcnt_hi_u32_b32 v5, -1, v5
	v_and_b32_e32 v6, 15, v5
	v_cmp_lt_u32_e64 s[10:11], 31, v5
	s_waitcnt lgkmcnt(0)
	v_cmp_lt_f32_e64 s[0:1], v2, v3
	v_cndmask_b32_e64 v3, v2, v3, s[0:1]
	v_cmp_gt_u32_e64 s[8:9], 32, v5
	s_nop 0
	v_mov_b32_dpp v7, v3 row_shr:1 row_mask:0xf bank_mask:0xf
	v_cmp_gt_f32_e64 s[0:1], v3, v7
	v_cndmask_b32_e64 v7, v7, v3, s[0:1]
	v_cmp_eq_u32_e64 s[0:1], 0, v6
	v_cndmask_b32_e64 v3, v7, v3, s[0:1]
	; wave barrier
	s_nop 1
	v_mov_b32_dpp v7, v3 row_shr:2 row_mask:0xf bank_mask:0xf
	v_cmp_gt_f32_e64 s[0:1], v3, v7
	v_cndmask_b32_e64 v7, v7, v3, s[0:1]
	v_cmp_lt_u32_e64 s[0:1], 1, v6
	v_cndmask_b32_e64 v7, v3, v7, s[0:1]
	s_nop 1
	v_mov_b32_dpp v8, v7 row_shr:4 row_mask:0xf bank_mask:0xf
	v_cmp_gt_f32_e64 s[2:3], v7, v8
	v_cndmask_b32_e64 v8, v8, v7, s[2:3]
	v_cmp_lt_u32_e64 s[2:3], 3, v6
	v_cndmask_b32_e64 v7, v7, v8, s[2:3]
	;; [unrolled: 6-line block ×3, first 2 shown]
	v_and_b32_e32 v8, 16, v5
	s_nop 0
	v_mov_b32_dpp v7, v6 row_bcast:15 row_mask:0xf bank_mask:0xf
	v_cmp_gt_f32_e64 s[2:3], v6, v7
	v_cndmask_b32_e64 v7, v7, v6, s[2:3]
	v_cmp_ne_u32_e64 s[2:3], 0, v8
	v_cndmask_b32_e64 v6, v6, v7, s[2:3]
	s_or_b64 s[10:11], s[2:3], s[10:11]
	s_or_b64 s[0:1], s[0:1], s[10:11]
	v_mov_b32_dpp v7, v6 row_bcast:31 row_mask:0xf bank_mask:0xf
	v_cmp_gt_f32_e64 s[2:3], v6, v7
	s_or_b64 s[2:3], s[8:9], s[2:3]
	v_cndmask_b32_e64 v6, v7, v6, s[2:3]
	v_cndmask_b32_e64 v3, v3, v6, s[0:1]
	v_add_u32_e32 v6, -1, v5
	v_and_b32_e32 v7, 64, v5
	v_cmp_lt_i32_e64 s[0:1], v6, v7
	v_cndmask_b32_e64 v5, v6, v5, s[0:1]
	v_lshlrev_b32_e32 v5, 2, v5
	ds_bpermute_b32 v3, v5, v3
	s_waitcnt lgkmcnt(0)
	v_cmp_gt_f32_e64 s[0:1], v2, v3
	v_cndmask_b32_e64 v2, v3, v2, s[0:1]
	v_cmp_eq_u32_e64 s[0:1], 0, v0
	v_cndmask_b32_e64 v2, v2, v12, s[0:1]
	ds_write_b32 v4, v2
	; wave barrier
	ds_read_b32 v3, v4 offset:4
	s_waitcnt lgkmcnt(0)
	v_cmp_lt_f32_e64 s[0:1], v2, v3
	v_cndmask_b32_e64 v2, v2, v3, s[0:1]
	ds_write_b32 v4, v2 offset:4
.LBB2017_35:
	s_or_b64 exec, exec, s[16:17]
	v_cmp_eq_u32_e64 s[0:1], 0, v0
	v_cmp_ne_u32_e64 s[2:3], 0, v0
	s_waitcnt lgkmcnt(0)
	s_barrier
	s_and_saveexec_b64 s[8:9], s[2:3]
	s_cbranch_execz .LBB2017_37
; %bb.36:
	v_add_u32_e32 v2, -1, v0
	v_lshrrev_b32_e32 v3, 5, v2
	v_add_lshl_u32 v2, v3, v2, 2
	ds_read_b32 v12, v2
.LBB2017_37:
	s_or_b64 exec, exec, s[8:9]
	s_and_saveexec_b64 s[16:17], vcc
	s_cbranch_execz .LBB2017_56
; %bb.38:
	v_mov_b32_e32 v9, 0
	ds_read_b32 v2, v9 offset:520
	v_mbcnt_lo_u32_b32 v3, -1, 0
	v_mbcnt_hi_u32_b32 v5, -1, v3
	s_mov_b32 s11, 0
	v_cmp_eq_u32_e64 s[2:3], 0, v5
	s_and_saveexec_b64 s[8:9], s[2:3]
	s_cbranch_execz .LBB2017_40
; %bb.39:
	s_add_i32 s10, s6, 64
	s_lshl_b64 s[10:11], s[10:11], 3
	s_add_u32 s10, s28, s10
	v_mov_b32_e32 v3, 1
	s_addc_u32 s11, s29, s11
	s_waitcnt lgkmcnt(0)
	global_store_dwordx2 v9, v[2:3], s[10:11]
.LBB2017_40:
	s_or_b64 exec, exec, s[8:9]
	v_xad_u32 v4, v5, -1, s6
	v_add_u32_e32 v8, 64, v4
	v_lshlrev_b64 v[6:7], 3, v[8:9]
	v_mov_b32_e32 v3, s29
	v_add_co_u32_e32 v10, vcc, s28, v6
	v_addc_co_u32_e32 v11, vcc, v3, v7, vcc
	global_load_dwordx2 v[6:7], v[10:11], off glc
	s_waitcnt vmcnt(0)
	v_cmp_eq_u16_sdwa s[10:11], v7, v9 src0_sel:BYTE_0 src1_sel:DWORD
	s_and_saveexec_b64 s[8:9], s[10:11]
	s_cbranch_execz .LBB2017_44
; %bb.41:
	s_mov_b64 s[10:11], 0
	v_mov_b32_e32 v3, 0
.LBB2017_42:                            ; =>This Inner Loop Header: Depth=1
	global_load_dwordx2 v[6:7], v[10:11], off glc
	s_waitcnt vmcnt(0)
	v_cmp_ne_u16_sdwa s[18:19], v7, v3 src0_sel:BYTE_0 src1_sel:DWORD
	s_or_b64 s[10:11], s[18:19], s[10:11]
	s_andn2_b64 exec, exec, s[10:11]
	s_cbranch_execnz .LBB2017_42
; %bb.43:
	s_or_b64 exec, exec, s[10:11]
.LBB2017_44:
	s_or_b64 exec, exec, s[8:9]
	v_and_b32_e32 v13, 63, v5
	v_cmp_ne_u32_e32 vcc, 63, v13
	v_addc_co_u32_e32 v14, vcc, 0, v5, vcc
	v_lshlrev_b32_e32 v14, 2, v14
	v_mov_b32_e32 v3, 2
	ds_bpermute_b32 v15, v14, v6
	v_cmp_eq_u16_sdwa s[8:9], v7, v3 src0_sel:BYTE_0 src1_sel:DWORD
	v_lshlrev_b64 v[8:9], v5, -1
	v_and_b32_e32 v10, s9, v9
	v_or_b32_e32 v10, 0x80000000, v10
	v_and_b32_e32 v11, s8, v8
	v_ffbl_b32_e32 v10, v10
	v_add_u32_e32 v10, 32, v10
	v_ffbl_b32_e32 v11, v11
	s_waitcnt lgkmcnt(0)
	v_cmp_lt_f32_e32 vcc, v15, v6
	v_cmp_gt_u32_e64 s[8:9], 62, v13
	v_min_u32_e32 v10, v11, v10
	v_cndmask_b32_e32 v11, v15, v6, vcc
	v_cndmask_b32_e64 v15, 0, 1, s[8:9]
	v_cmp_lt_u32_e32 vcc, v13, v10
	v_lshlrev_b32_e32 v15, 1, v15
	v_cndmask_b32_e32 v11, v6, v11, vcc
	v_add_lshl_u32 v15, v15, v5, 2
	ds_bpermute_b32 v17, v15, v11
	v_add_u32_e32 v16, 2, v13
	v_add_u32_e32 v35, 4, v13
	;; [unrolled: 1-line block ×4, first 2 shown]
	s_waitcnt lgkmcnt(0)
	v_cmp_gt_f32_e64 s[8:9], v11, v17
	v_cndmask_b32_e64 v17, v17, v11, s[8:9]
	v_cmp_gt_u32_e64 s[8:9], v16, v10
	v_cndmask_b32_e64 v11, v17, v11, s[8:9]
	v_cmp_gt_u32_e64 s[8:9], 60, v13
	v_cndmask_b32_e64 v17, 0, 1, s[8:9]
	v_lshlrev_b32_e32 v17, 2, v17
	v_add_lshl_u32 v17, v17, v5, 2
	ds_bpermute_b32 v36, v17, v11
	v_add_u32_e32 v42, 32, v13
	s_waitcnt lgkmcnt(0)
	v_cmp_gt_f32_e64 s[8:9], v11, v36
	v_cndmask_b32_e64 v36, v36, v11, s[8:9]
	v_cmp_gt_u32_e64 s[8:9], v35, v10
	v_cndmask_b32_e64 v11, v36, v11, s[8:9]
	v_cmp_gt_u32_e64 s[8:9], 56, v13
	v_cndmask_b32_e64 v36, 0, 1, s[8:9]
	v_lshlrev_b32_e32 v36, 3, v36
	v_add_lshl_u32 v36, v36, v5, 2
	ds_bpermute_b32 v38, v36, v11
	s_waitcnt lgkmcnt(0)
	v_cmp_gt_f32_e64 s[8:9], v11, v38
	v_cndmask_b32_e64 v38, v38, v11, s[8:9]
	v_cmp_gt_u32_e64 s[8:9], v37, v10
	v_cndmask_b32_e64 v11, v38, v11, s[8:9]
	v_cmp_gt_u32_e64 s[8:9], 48, v13
	v_cndmask_b32_e64 v38, 0, 1, s[8:9]
	v_lshlrev_b32_e32 v38, 4, v38
	v_add_lshl_u32 v38, v38, v5, 2
	ds_bpermute_b32 v39, v38, v11
	;; [unrolled: 10-line block ×3, first 2 shown]
	v_cmp_gt_u32_e64 s[8:9], v42, v10
	s_waitcnt lgkmcnt(0)
	v_cmp_gt_f32_e64 s[10:11], v11, v5
	s_or_b64 s[8:9], s[8:9], s[10:11]
	v_cndmask_b32_e64 v5, v5, v11, s[8:9]
	v_cndmask_b32_e32 v6, v6, v5, vcc
	v_mov_b32_e32 v5, 0
	s_branch .LBB2017_46
.LBB2017_45:                            ;   in Loop: Header=BB2017_46 Depth=1
	s_or_b64 exec, exec, s[8:9]
	v_cmp_eq_u16_sdwa s[8:9], v7, v3 src0_sel:BYTE_0 src1_sel:DWORD
	ds_bpermute_b32 v43, v14, v6
	v_and_b32_e32 v10, s9, v9
	v_or_b32_e32 v10, 0x80000000, v10
	v_and_b32_e32 v11, s8, v8
	v_ffbl_b32_e32 v10, v10
	v_add_u32_e32 v10, 32, v10
	v_ffbl_b32_e32 v11, v11
	v_min_u32_e32 v10, v11, v10
	s_waitcnt lgkmcnt(0)
	v_cmp_lt_f32_e32 vcc, v43, v6
	v_cndmask_b32_e32 v11, v43, v6, vcc
	v_cmp_lt_u32_e32 vcc, v13, v10
	v_cndmask_b32_e32 v11, v6, v11, vcc
	ds_bpermute_b32 v43, v15, v11
	v_subrev_u32_e32 v4, 64, v4
	s_waitcnt lgkmcnt(0)
	v_cmp_gt_f32_e64 s[8:9], v11, v43
	v_cndmask_b32_e64 v43, v43, v11, s[8:9]
	v_cmp_gt_u32_e64 s[8:9], v16, v10
	v_cndmask_b32_e64 v11, v43, v11, s[8:9]
	ds_bpermute_b32 v43, v17, v11
	s_waitcnt lgkmcnt(0)
	v_cmp_gt_f32_e64 s[8:9], v11, v43
	v_cndmask_b32_e64 v43, v43, v11, s[8:9]
	v_cmp_gt_u32_e64 s[8:9], v35, v10
	v_cndmask_b32_e64 v11, v43, v11, s[8:9]
	ds_bpermute_b32 v43, v36, v11
	;; [unrolled: 6-line block ×4, first 2 shown]
	v_cmp_gt_u32_e64 s[8:9], v42, v10
	s_waitcnt lgkmcnt(0)
	v_cmp_gt_f32_e64 s[10:11], v11, v43
	s_or_b64 s[8:9], s[8:9], s[10:11]
	v_cndmask_b32_e64 v10, v43, v11, s[8:9]
	v_cndmask_b32_e32 v6, v6, v10, vcc
	v_cmp_lt_f32_e32 vcc, v6, v39
	v_cndmask_b32_e32 v6, v6, v39, vcc
.LBB2017_46:                            ; =>This Loop Header: Depth=1
                                        ;     Child Loop BB2017_49 Depth 2
	v_cmp_ne_u16_sdwa s[8:9], v7, v3 src0_sel:BYTE_0 src1_sel:DWORD
	v_cndmask_b32_e64 v7, 0, 1, s[8:9]
	;;#ASMSTART
	;;#ASMEND
	v_cmp_ne_u32_e32 vcc, 0, v7
	s_cmp_lg_u64 vcc, exec
	v_mov_b32_e32 v39, v6
	s_cbranch_scc1 .LBB2017_51
; %bb.47:                               ;   in Loop: Header=BB2017_46 Depth=1
	v_lshlrev_b64 v[6:7], 3, v[4:5]
	v_mov_b32_e32 v11, s29
	v_add_co_u32_e32 v10, vcc, s28, v6
	v_addc_co_u32_e32 v11, vcc, v11, v7, vcc
	global_load_dwordx2 v[6:7], v[10:11], off glc
	s_waitcnt vmcnt(0)
	v_cmp_eq_u16_sdwa s[10:11], v7, v5 src0_sel:BYTE_0 src1_sel:DWORD
	s_and_saveexec_b64 s[8:9], s[10:11]
	s_cbranch_execz .LBB2017_45
; %bb.48:                               ;   in Loop: Header=BB2017_46 Depth=1
	s_mov_b64 s[10:11], 0
.LBB2017_49:                            ;   Parent Loop BB2017_46 Depth=1
                                        ; =>  This Inner Loop Header: Depth=2
	global_load_dwordx2 v[6:7], v[10:11], off glc
	s_waitcnt vmcnt(0)
	v_cmp_ne_u16_sdwa s[18:19], v7, v5 src0_sel:BYTE_0 src1_sel:DWORD
	s_or_b64 s[10:11], s[18:19], s[10:11]
	s_andn2_b64 exec, exec, s[10:11]
	s_cbranch_execnz .LBB2017_49
; %bb.50:                               ;   in Loop: Header=BB2017_46 Depth=1
	s_or_b64 exec, exec, s[10:11]
	s_branch .LBB2017_45
.LBB2017_51:                            ;   in Loop: Header=BB2017_46 Depth=1
                                        ; implicit-def: $vgpr6
                                        ; implicit-def: $vgpr7
	s_cbranch_execz .LBB2017_46
; %bb.52:
	s_and_saveexec_b64 s[8:9], s[2:3]
	s_cbranch_execz .LBB2017_54
; %bb.53:
	s_add_i32 s2, s6, 64
	s_mov_b32 s3, 0
	s_lshl_b64 s[2:3], s[2:3], 3
	v_cmp_lt_f32_e32 vcc, v39, v2
	s_add_u32 s2, s28, s2
	v_cndmask_b32_e32 v2, v39, v2, vcc
	v_mov_b32_e32 v3, 2
	s_addc_u32 s3, s29, s3
	v_mov_b32_e32 v4, 0
	global_store_dwordx2 v4, v[2:3], s[2:3]
.LBB2017_54:
	s_or_b64 exec, exec, s[8:9]
	s_and_b64 exec, exec, s[0:1]
	s_cbranch_execz .LBB2017_56
; %bb.55:
	v_mov_b32_e32 v2, 0
	ds_write_b32 v2, v39
.LBB2017_56:
	s_or_b64 exec, exec, s[16:17]
	v_mov_b32_e32 v2, 0
	s_waitcnt lgkmcnt(0)
	s_barrier
	ds_read_b32 v2, v2
	s_waitcnt lgkmcnt(0)
	v_cmp_lt_f32_e32 vcc, v2, v12
	v_cndmask_b32_e32 v3, v2, v12, vcc
	v_cndmask_b32_e64 v2, v3, v2, s[0:1]
	v_cmp_lt_f32_e32 vcc, v2, v26
	v_cndmask_b32_e32 v3, v2, v26, vcc
	v_cmp_lt_f32_e32 vcc, v3, v27
	v_cndmask_b32_e32 v4, v3, v27, vcc
	v_cmp_lt_f32_e32 vcc, v4, v28
	v_cndmask_b32_e32 v5, v4, v28, vcc
	v_cmp_lt_f32_e32 vcc, v5, v29
	v_cndmask_b32_e32 v6, v5, v29, vcc
	v_cmp_lt_f32_e32 vcc, v6, v22
	v_cndmask_b32_e32 v7, v6, v22, vcc
	v_cmp_lt_f32_e32 vcc, v7, v23
	v_cndmask_b32_e32 v8, v7, v23, vcc
	v_cmp_lt_f32_e32 vcc, v8, v24
	v_cndmask_b32_e32 v9, v8, v24, vcc
	v_cmp_lt_f32_e32 vcc, v9, v25
	v_cndmask_b32_e32 v10, v9, v25, vcc
	v_cmp_lt_f32_e32 vcc, v10, v18
	v_cndmask_b32_e32 v11, v10, v18, vcc
	v_cmp_lt_f32_e32 vcc, v11, v19
	v_cndmask_b32_e32 v12, v11, v19, vcc
	v_cmp_lt_f32_e32 vcc, v12, v20
	v_cndmask_b32_e32 v13, v12, v20, vcc
	v_cmp_lt_f32_e32 vcc, v13, v21
	v_cndmask_b32_e32 v14, v13, v21, vcc
	v_cmp_lt_f32_e32 vcc, v14, v30
	v_cndmask_b32_e32 v15, v14, v30, vcc
	s_load_dwordx8 s[16:23], s[4:5], 0x38
	s_branch .LBB2017_67
.LBB2017_57:
                                        ; implicit-def: $vgpr2_vgpr3_vgpr4_vgpr5_vgpr6_vgpr7_vgpr8_vgpr9_vgpr10_vgpr11_vgpr12_vgpr13_vgpr14_vgpr15_vgpr16_vgpr17
	s_load_dwordx8 s[16:23], s[4:5], 0x38
	s_cbranch_execz .LBB2017_67
; %bb.58:
	s_load_dword s0, s[4:5], 0x20
	s_waitcnt lgkmcnt(0)
	s_cmp_eq_u64 s[20:21], 0
	v_mov_b32_e32 v16, s0
	s_cbranch_scc1 .LBB2017_60
; %bb.59:
	v_mov_b32_e32 v2, 0
	global_load_dword v4, v2, s[16:17]
	v_mov_b32_e32 v3, s33
	v_add_co_u32_e64 v2, vcc, -4, s7
	v_addc_co_u32_e32 v3, vcc, -1, v3, vcc
	flat_load_dword v2, v[2:3]
	s_waitcnt vmcnt(0) lgkmcnt(0)
	v_cmp_lt_f32_e32 vcc, v4, v2
	v_cndmask_b32_e32 v16, v4, v2, vcc
.LBB2017_60:
	v_cmp_lt_f32_e32 vcc, v26, v27
	v_cndmask_b32_e32 v2, v26, v27, vcc
	v_cmp_lt_f32_e32 vcc, v2, v28
	v_cndmask_b32_e32 v2, v2, v28, vcc
	;; [unrolled: 2-line block ×13, first 2 shown]
	v_add_lshl_u32 v1, v1, v0, 2
	v_cmp_gt_u32_e32 vcc, 64, v0
	ds_write_b32 v1, v2
	s_waitcnt lgkmcnt(0)
	s_barrier
	s_and_saveexec_b64 s[6:7], vcc
	s_cbranch_execz .LBB2017_62
; %bb.61:
	v_lshlrev_b32_e32 v1, 1, v0
	v_lshrrev_b32_e32 v3, 4, v0
	v_add_lshl_u32 v1, v3, v1, 2
	ds_read2_b32 v[4:5], v1 offset1:1
	v_mbcnt_lo_u32_b32 v3, -1, 0
	v_mbcnt_hi_u32_b32 v3, -1, v3
	v_and_b32_e32 v6, 15, v3
	v_cmp_lt_u32_e64 s[4:5], 31, v3
	s_waitcnt lgkmcnt(0)
	v_cmp_lt_f32_e32 vcc, v4, v5
	v_cndmask_b32_e32 v5, v4, v5, vcc
	v_cmp_gt_u32_e64 s[2:3], 32, v3
	s_nop 0
	v_mov_b32_dpp v7, v5 row_shr:1 row_mask:0xf bank_mask:0xf
	v_cmp_gt_f32_e32 vcc, v5, v7
	v_cndmask_b32_e32 v7, v7, v5, vcc
	v_cmp_eq_u32_e32 vcc, 0, v6
	v_cndmask_b32_e32 v5, v7, v5, vcc
	; wave barrier
	s_nop 1
	v_mov_b32_dpp v7, v5 row_shr:2 row_mask:0xf bank_mask:0xf
	v_cmp_gt_f32_e32 vcc, v5, v7
	v_cndmask_b32_e32 v7, v7, v5, vcc
	v_cmp_lt_u32_e32 vcc, 1, v6
	v_cndmask_b32_e32 v7, v5, v7, vcc
	s_nop 1
	v_mov_b32_dpp v8, v7 row_shr:4 row_mask:0xf bank_mask:0xf
	v_cmp_gt_f32_e64 s[0:1], v7, v8
	v_cndmask_b32_e64 v8, v8, v7, s[0:1]
	v_cmp_lt_u32_e64 s[0:1], 3, v6
	v_cndmask_b32_e64 v7, v7, v8, s[0:1]
	s_nop 1
	v_mov_b32_dpp v8, v7 row_shr:8 row_mask:0xf bank_mask:0xf
	v_cmp_gt_f32_e64 s[0:1], v7, v8
	v_cndmask_b32_e64 v8, v8, v7, s[0:1]
	v_cmp_lt_u32_e64 s[0:1], 7, v6
	v_cndmask_b32_e64 v6, v7, v8, s[0:1]
	v_and_b32_e32 v8, 16, v3
	s_nop 0
	v_mov_b32_dpp v7, v6 row_bcast:15 row_mask:0xf bank_mask:0xf
	v_cmp_gt_f32_e64 s[0:1], v6, v7
	v_cndmask_b32_e64 v7, v7, v6, s[0:1]
	v_cmp_ne_u32_e64 s[0:1], 0, v8
	v_cndmask_b32_e64 v6, v6, v7, s[0:1]
	s_or_b64 s[4:5], s[0:1], s[4:5]
	s_or_b64 vcc, vcc, s[4:5]
	v_mov_b32_dpp v7, v6 row_bcast:31 row_mask:0xf bank_mask:0xf
	v_cmp_gt_f32_e64 s[0:1], v6, v7
	s_or_b64 s[0:1], s[2:3], s[0:1]
	v_cndmask_b32_e64 v6, v7, v6, s[0:1]
	v_cndmask_b32_e32 v5, v5, v6, vcc
	v_add_u32_e32 v6, -1, v3
	v_and_b32_e32 v7, 64, v3
	v_cmp_lt_i32_e32 vcc, v6, v7
	v_cndmask_b32_e32 v3, v6, v3, vcc
	v_lshlrev_b32_e32 v3, 2, v3
	ds_bpermute_b32 v3, v3, v5
	s_waitcnt lgkmcnt(0)
	v_cmp_gt_f32_e32 vcc, v4, v3
	v_cndmask_b32_e32 v3, v3, v4, vcc
	v_cmp_eq_u32_e32 vcc, 0, v0
	v_cndmask_b32_e32 v2, v3, v2, vcc
	ds_write_b32 v1, v2
	; wave barrier
	ds_read_b32 v3, v1 offset:4
	s_waitcnt lgkmcnt(0)
	v_cmp_lt_f32_e32 vcc, v2, v3
	v_cndmask_b32_e32 v2, v2, v3, vcc
	ds_write_b32 v1, v2 offset:4
.LBB2017_62:
	s_or_b64 exec, exec, s[6:7]
	v_cmp_eq_u32_e32 vcc, 0, v0
	v_cmp_ne_u32_e64 s[0:1], 0, v0
	v_mov_b32_e32 v2, v16
	s_waitcnt lgkmcnt(0)
	s_barrier
	s_and_saveexec_b64 s[2:3], s[0:1]
	s_cbranch_execz .LBB2017_64
; %bb.63:
	v_add_u32_e32 v1, -1, v0
	v_lshrrev_b32_e32 v2, 5, v1
	v_add_lshl_u32 v1, v2, v1, 2
	ds_read_b32 v1, v1
	s_waitcnt lgkmcnt(0)
	v_cmp_gt_f32_e64 s[0:1], v1, v16
	v_cndmask_b32_e64 v2, v16, v1, s[0:1]
.LBB2017_64:
	s_or_b64 exec, exec, s[2:3]
	v_cmp_lt_f32_e64 s[0:1], v2, v26
	v_cndmask_b32_e64 v3, v2, v26, s[0:1]
	v_cmp_lt_f32_e64 s[0:1], v3, v27
	v_cndmask_b32_e64 v4, v3, v27, s[0:1]
	;; [unrolled: 2-line block ×13, first 2 shown]
	s_and_saveexec_b64 s[0:1], vcc
	s_cbranch_execz .LBB2017_66
; %bb.65:
	v_mov_b32_e32 v1, 0
	ds_read_b32 v17, v1 offset:520
	s_waitcnt lgkmcnt(0)
	v_cmp_gt_f32_e32 vcc, v17, v16
	v_cndmask_b32_e32 v16, v16, v17, vcc
	v_mov_b32_e32 v17, 2
	global_store_dwordx2 v1, v[16:17], s[28:29] offset:512
.LBB2017_66:
	s_or_b64 exec, exec, s[0:1]
.LBB2017_67:
	s_add_u32 s0, s12, s24
	s_addc_u32 s1, s13, s25
	s_add_u32 s2, s0, s26
	s_addc_u32 s3, s1, s27
	s_mov_b64 s[0:1], -1
	s_and_b64 vcc, exec, s[14:15]
	s_waitcnt lgkmcnt(0)
	s_barrier
	s_cbranch_vccz .LBB2017_69
; %bb.68:
	ds_write2_b64 v34, v[2:3], v[4:5] offset1:1
	ds_write2_b64 v34, v[6:7], v[8:9] offset0:2 offset1:3
	ds_write2_b64 v34, v[10:11], v[12:13] offset0:4 offset1:5
	ds_write_b64 v34, v[14:15] offset:48
	s_waitcnt lgkmcnt(0)
	s_barrier
	ds_read2st64_b32 v[16:17], v32 offset1:2
	ds_read2st64_b32 v[18:19], v32 offset0:4 offset1:6
	ds_read2st64_b32 v[20:21], v32 offset0:8 offset1:10
	;; [unrolled: 1-line block ×6, first 2 shown]
	v_mov_b32_e32 v1, s3
	v_add_co_u32_e32 v30, vcc, s2, v32
	v_addc_co_u32_e32 v31, vcc, 0, v1, vcc
	s_waitcnt lgkmcnt(6)
	flat_store_dword v[30:31], v16
	flat_store_dword v[30:31], v17 offset:512
	s_waitcnt lgkmcnt(0)
	flat_store_dword v[30:31], v18 offset:1024
	flat_store_dword v[30:31], v19 offset:1536
	;; [unrolled: 1-line block ×6, first 2 shown]
	v_add_co_u32_e32 v16, vcc, 0x1000, v30
	v_addc_co_u32_e32 v17, vcc, 0, v31, vcc
	flat_store_dword v[16:17], v24
	flat_store_dword v[16:17], v25 offset:512
	flat_store_dword v[16:17], v26 offset:1024
	;; [unrolled: 1-line block ×5, first 2 shown]
	s_mov_b64 s[0:1], 0
.LBB2017_69:
	s_andn2_b64 vcc, exec, s[0:1]
	s_cbranch_vccnz .LBB2017_149
; %bb.70:
	s_movk_i32 s0, 0xffcc
	ds_write2_b64 v34, v[2:3], v[4:5] offset1:1
	ds_write2_b64 v34, v[6:7], v[8:9] offset0:2 offset1:3
	ds_write2_b64 v34, v[10:11], v[12:13] offset0:4 offset1:5
	ds_write_b64 v34, v[14:15] offset:48
	v_mad_i32_i24 v14, v0, s0, v34
	s_waitcnt lgkmcnt(0)
	s_barrier
	ds_read2st64_b32 v[4:5], v14 offset1:2
	ds_read2st64_b32 v[6:7], v14 offset0:4 offset1:6
	ds_read2st64_b32 v[8:9], v14 offset0:8 offset1:10
	;; [unrolled: 1-line block ×6, first 2 shown]
	v_mov_b32_e32 v17, s3
	v_add_co_u32_e32 v16, vcc, s2, v32
	v_addc_co_u32_e32 v17, vcc, 0, v17, vcc
	v_mov_b32_e32 v1, 0
	v_cmp_gt_u32_e32 vcc, s30, v0
	s_and_saveexec_b64 s[0:1], vcc
	s_cbranch_execz .LBB2017_72
; %bb.71:
	s_waitcnt lgkmcnt(0)
	flat_store_dword v[16:17], v4
.LBB2017_72:
	s_or_b64 exec, exec, s[0:1]
	v_or_b32_e32 v18, 0x80, v0
	v_cmp_gt_u32_e32 vcc, s30, v18
	s_and_saveexec_b64 s[0:1], vcc
	s_cbranch_execz .LBB2017_74
; %bb.73:
	s_waitcnt lgkmcnt(0)
	flat_store_dword v[16:17], v5 offset:512
.LBB2017_74:
	s_or_b64 exec, exec, s[0:1]
	v_or_b32_e32 v18, 0x100, v0
	v_cmp_gt_u32_e32 vcc, s30, v18
	s_and_saveexec_b64 s[0:1], vcc
	s_cbranch_execz .LBB2017_76
; %bb.75:
	s_waitcnt lgkmcnt(0)
	flat_store_dword v[16:17], v6 offset:1024
.LBB2017_76:
	;; [unrolled: 9-line block ×7, first 2 shown]
	s_or_b64 exec, exec, s[0:1]
	v_or_b32_e32 v18, 0x400, v0
	v_cmp_gt_u32_e32 vcc, s30, v18
	s_and_saveexec_b64 s[0:1], vcc
	s_cbranch_execz .LBB2017_88
; %bb.87:
	v_add_co_u32_e32 v18, vcc, 0x1000, v16
	v_addc_co_u32_e32 v19, vcc, 0, v17, vcc
	s_waitcnt lgkmcnt(0)
	flat_store_dword v[18:19], v12
.LBB2017_88:
	s_or_b64 exec, exec, s[0:1]
	v_or_b32_e32 v18, 0x480, v0
	v_cmp_gt_u32_e32 vcc, s30, v18
	s_and_saveexec_b64 s[0:1], vcc
	s_cbranch_execz .LBB2017_90
; %bb.89:
	v_add_co_u32_e32 v18, vcc, 0x1000, v16
	v_addc_co_u32_e32 v19, vcc, 0, v17, vcc
	s_waitcnt lgkmcnt(0)
	flat_store_dword v[18:19], v13 offset:512
.LBB2017_90:
	s_or_b64 exec, exec, s[0:1]
	v_or_b32_e32 v18, 0x500, v0
	v_cmp_gt_u32_e32 vcc, s30, v18
	s_and_saveexec_b64 s[0:1], vcc
	s_cbranch_execz .LBB2017_92
; %bb.91:
	v_add_co_u32_e32 v18, vcc, 0x1000, v16
	v_addc_co_u32_e32 v19, vcc, 0, v17, vcc
	s_waitcnt lgkmcnt(0)
	flat_store_dword v[18:19], v10 offset:1024
.LBB2017_92:
	;; [unrolled: 11-line block ×5, first 2 shown]
	s_or_b64 exec, exec, s[0:1]
	v_cmp_lt_u64_e64 s[0:1], s[22:23], 2
	s_and_b64 vcc, exec, s[0:1]
	s_cbranch_vccnz .LBB2017_149
; %bb.99:
	s_add_u32 s0, s30, -1
	s_addc_u32 s1, s31, -1
	s_add_u32 s2, 0, 0x49240800
	s_addc_u32 s3, 0, 50
	s_add_i32 s3, s3, 0x12492460
	s_mul_hi_u32 s7, s2, -14
	s_sub_i32 s7, s7, s2
	s_mul_i32 s8, s3, -14
	s_mul_i32 s4, s2, -14
	s_add_i32 s7, s7, s8
	s_mul_hi_u32 s5, s3, s4
	s_mul_i32 s6, s3, s4
	s_mul_i32 s9, s2, s7
	s_mul_hi_u32 s4, s2, s4
	s_mul_hi_u32 s8, s2, s7
	s_add_u32 s4, s4, s9
	s_addc_u32 s8, 0, s8
	s_add_u32 s4, s4, s6
	s_mul_hi_u32 s9, s3, s7
	s_addc_u32 s4, s8, s5
	s_addc_u32 s5, s9, 0
	s_mul_i32 s6, s3, s7
	s_add_u32 s4, s4, s6
	v_mov_b32_e32 v16, s4
	s_addc_u32 s5, 0, s5
	v_add_co_u32_e32 v16, vcc, s2, v16
	s_cmp_lg_u64 vcc, 0
	s_addc_u32 s2, s3, s5
	v_readfirstlane_b32 s5, v16
	s_mul_i32 s4, s0, s2
	s_mul_hi_u32 s6, s0, s5
	s_mul_hi_u32 s3, s0, s2
	s_add_u32 s4, s6, s4
	s_addc_u32 s3, 0, s3
	s_mul_hi_u32 s7, s1, s5
	s_mul_i32 s5, s1, s5
	s_add_u32 s4, s4, s5
	s_mul_hi_u32 s6, s1, s2
	s_addc_u32 s3, s3, s7
	s_addc_u32 s4, s6, 0
	s_mul_i32 s2, s1, s2
	s_add_u32 s2, s3, s2
	s_addc_u32 s3, 0, s4
	s_add_u32 s4, s2, 1
	s_addc_u32 s5, s3, 0
	s_add_u32 s6, s2, 2
	s_mul_i32 s8, s3, 14
	s_mul_hi_u32 s9, s2, 14
	s_addc_u32 s7, s3, 0
	s_add_i32 s9, s9, s8
	s_mul_i32 s8, s2, 14
	v_mov_b32_e32 v16, s8
	v_sub_co_u32_e32 v16, vcc, s0, v16
	s_cmp_lg_u64 vcc, 0
	s_subb_u32 s8, s1, s9
	v_subrev_co_u32_e32 v17, vcc, 14, v16
	s_cmp_lg_u64 vcc, 0
	s_subb_u32 s9, s8, 0
	v_readfirstlane_b32 s10, v17
	s_cmp_gt_u32 s10, 13
	s_cselect_b32 s10, -1, 0
	s_cmp_eq_u32 s9, 0
	s_cselect_b32 s9, s10, -1
	s_cmp_lg_u32 s9, 0
	s_cselect_b32 s4, s6, s4
	v_readfirstlane_b32 s6, v16
	s_cselect_b32 s5, s7, s5
	s_cmp_gt_u32 s6, 13
	s_cselect_b32 s6, -1, 0
	s_cmp_eq_u32 s8, 0
	s_cselect_b32 s6, s6, -1
	s_cmp_lg_u32 s6, 0
	s_cselect_b32 s3, s5, s3
	s_cselect_b32 s2, s4, s2
	v_cmp_eq_u64_e32 vcc, s[2:3], v[0:1]
	s_and_saveexec_b64 s[2:3], vcc
	s_cbranch_execz .LBB2017_149
; %bb.100:
	v_mul_hi_u32_u24_e32 v1, 14, v0
	v_mov_b32_e32 v16, s1
	v_sub_co_u32_e32 v0, vcc, s0, v33
	v_subb_co_u32_e32 v1, vcc, v16, v1, vcc
	v_cmp_lt_i64_e32 vcc, 6, v[0:1]
	s_and_saveexec_b64 s[0:1], vcc
	s_xor_b64 s[0:1], exec, s[0:1]
	s_cbranch_execz .LBB2017_126
; %bb.101:
	v_cmp_lt_i64_e32 vcc, 9, v[0:1]
	s_and_saveexec_b64 s[2:3], vcc
	s_xor_b64 s[2:3], exec, s[2:3]
	s_cbranch_execz .LBB2017_115
; %bb.102:
	v_cmp_lt_i64_e32 vcc, 11, v[0:1]
	s_and_saveexec_b64 s[4:5], vcc
	s_xor_b64 s[4:5], exec, s[4:5]
	s_cbranch_execz .LBB2017_108
; %bb.103:
	v_cmp_lt_i64_e32 vcc, 12, v[0:1]
	s_and_saveexec_b64 s[6:7], vcc
	s_xor_b64 s[6:7], exec, s[6:7]
	s_cbranch_execz .LBB2017_105
; %bb.104:
	v_mov_b32_e32 v0, 0
	s_waitcnt lgkmcnt(0)
	global_store_dword v0, v15, s[18:19]
                                        ; implicit-def: $vgpr14_vgpr15
.LBB2017_105:
	s_andn2_saveexec_b64 s[6:7], s[6:7]
	s_cbranch_execz .LBB2017_107
; %bb.106:
	v_mov_b32_e32 v0, 0
	s_waitcnt lgkmcnt(0)
	global_store_dword v0, v14, s[18:19]
.LBB2017_107:
	s_or_b64 exec, exec, s[6:7]
                                        ; implicit-def: $vgpr10_vgpr11
                                        ; implicit-def: $vgpr0_vgpr1
.LBB2017_108:
	s_andn2_saveexec_b64 s[4:5], s[4:5]
	s_cbranch_execz .LBB2017_114
; %bb.109:
	v_cmp_lt_i64_e32 vcc, 10, v[0:1]
	s_and_saveexec_b64 s[6:7], vcc
	s_xor_b64 s[6:7], exec, s[6:7]
	s_cbranch_execz .LBB2017_111
; %bb.110:
	v_mov_b32_e32 v0, 0
	s_waitcnt lgkmcnt(0)
	global_store_dword v0, v11, s[18:19]
                                        ; implicit-def: $vgpr10_vgpr11
.LBB2017_111:
	s_andn2_saveexec_b64 s[6:7], s[6:7]
	s_cbranch_execz .LBB2017_113
; %bb.112:
	v_mov_b32_e32 v0, 0
	s_waitcnt lgkmcnt(0)
	global_store_dword v0, v10, s[18:19]
.LBB2017_113:
	s_or_b64 exec, exec, s[6:7]
.LBB2017_114:
	s_or_b64 exec, exec, s[4:5]
                                        ; implicit-def: $vgpr2_vgpr3
                                        ; implicit-def: $vgpr0_vgpr1
                                        ; implicit-def: $vgpr12_vgpr13
.LBB2017_115:
	s_andn2_saveexec_b64 s[2:3], s[2:3]
	s_cbranch_execz .LBB2017_125
; %bb.116:
	v_cmp_lt_i64_e32 vcc, 7, v[0:1]
	s_and_saveexec_b64 s[4:5], vcc
	s_xor_b64 s[4:5], exec, s[4:5]
	s_cbranch_execz .LBB2017_122
; %bb.117:
	v_cmp_lt_i64_e32 vcc, 8, v[0:1]
	s_and_saveexec_b64 s[6:7], vcc
	s_xor_b64 s[6:7], exec, s[6:7]
	s_cbranch_execz .LBB2017_119
; %bb.118:
	v_mov_b32_e32 v0, 0
	s_waitcnt lgkmcnt(0)
	global_store_dword v0, v13, s[18:19]
                                        ; implicit-def: $vgpr12_vgpr13
.LBB2017_119:
	s_andn2_saveexec_b64 s[6:7], s[6:7]
	s_cbranch_execz .LBB2017_121
; %bb.120:
	v_mov_b32_e32 v0, 0
	s_waitcnt lgkmcnt(0)
	global_store_dword v0, v12, s[18:19]
.LBB2017_121:
	s_or_b64 exec, exec, s[6:7]
                                        ; implicit-def: $vgpr2_vgpr3
.LBB2017_122:
	s_andn2_saveexec_b64 s[4:5], s[4:5]
	s_cbranch_execz .LBB2017_124
; %bb.123:
	v_mov_b32_e32 v0, 0
	s_waitcnt lgkmcnt(0)
	global_store_dword v0, v3, s[18:19]
.LBB2017_124:
	s_or_b64 exec, exec, s[4:5]
.LBB2017_125:
	s_or_b64 exec, exec, s[2:3]
                                        ; implicit-def: $vgpr0_vgpr1
                                        ; implicit-def: $vgpr8_vgpr9
                                        ; implicit-def: $vgpr4_vgpr5
                                        ; implicit-def: $vgpr6_vgpr7
                                        ; implicit-def: $vgpr2_vgpr3
.LBB2017_126:
	s_andn2_saveexec_b64 s[0:1], s[0:1]
	s_cbranch_execz .LBB2017_149
; %bb.127:
	v_cmp_lt_i64_e32 vcc, 3, v[0:1]
	s_and_saveexec_b64 s[0:1], vcc
	s_xor_b64 s[0:1], exec, s[0:1]
	s_cbranch_execz .LBB2017_137
; %bb.128:
	v_cmp_lt_i64_e32 vcc, 4, v[0:1]
	s_and_saveexec_b64 s[2:3], vcc
	s_xor_b64 s[2:3], exec, s[2:3]
	;; [unrolled: 5-line block ×3, first 2 shown]
	s_cbranch_execz .LBB2017_131
; %bb.130:
	v_mov_b32_e32 v0, 0
	s_waitcnt lgkmcnt(0)
	global_store_dword v0, v2, s[18:19]
                                        ; implicit-def: $vgpr8_vgpr9
.LBB2017_131:
	s_andn2_saveexec_b64 s[4:5], s[4:5]
	s_cbranch_execz .LBB2017_133
; %bb.132:
	v_mov_b32_e32 v0, 0
	s_waitcnt lgkmcnt(0)
	global_store_dword v0, v9, s[18:19]
.LBB2017_133:
	s_or_b64 exec, exec, s[4:5]
                                        ; implicit-def: $vgpr8_vgpr9
.LBB2017_134:
	s_andn2_saveexec_b64 s[2:3], s[2:3]
	s_cbranch_execz .LBB2017_136
; %bb.135:
	v_mov_b32_e32 v0, 0
	s_waitcnt lgkmcnt(0)
	global_store_dword v0, v8, s[18:19]
.LBB2017_136:
	s_or_b64 exec, exec, s[2:3]
                                        ; implicit-def: $vgpr0_vgpr1
                                        ; implicit-def: $vgpr4_vgpr5
                                        ; implicit-def: $vgpr6_vgpr7
.LBB2017_137:
	s_andn2_saveexec_b64 s[0:1], s[0:1]
	s_cbranch_execz .LBB2017_149
; %bb.138:
	v_cmp_lt_i64_e32 vcc, 1, v[0:1]
	s_and_saveexec_b64 s[0:1], vcc
	s_xor_b64 s[0:1], exec, s[0:1]
	s_cbranch_execz .LBB2017_144
; %bb.139:
	v_cmp_lt_i64_e32 vcc, 2, v[0:1]
	s_and_saveexec_b64 s[2:3], vcc
	s_xor_b64 s[2:3], exec, s[2:3]
	s_cbranch_execz .LBB2017_141
; %bb.140:
	v_mov_b32_e32 v0, 0
	s_waitcnt lgkmcnt(0)
	global_store_dword v0, v7, s[18:19]
                                        ; implicit-def: $vgpr6_vgpr7
.LBB2017_141:
	s_andn2_saveexec_b64 s[2:3], s[2:3]
	s_cbranch_execz .LBB2017_143
; %bb.142:
	v_mov_b32_e32 v0, 0
	s_waitcnt lgkmcnt(0)
	global_store_dword v0, v6, s[18:19]
.LBB2017_143:
	s_or_b64 exec, exec, s[2:3]
                                        ; implicit-def: $vgpr4_vgpr5
                                        ; implicit-def: $vgpr0_vgpr1
.LBB2017_144:
	s_andn2_saveexec_b64 s[0:1], s[0:1]
	s_cbranch_execz .LBB2017_149
; %bb.145:
	v_cmp_ne_u64_e32 vcc, 1, v[0:1]
	s_and_saveexec_b64 s[0:1], vcc
	s_xor_b64 s[0:1], exec, s[0:1]
	s_cbranch_execz .LBB2017_147
; %bb.146:
	v_mov_b32_e32 v0, 0
	s_waitcnt lgkmcnt(0)
	global_store_dword v0, v4, s[18:19]
                                        ; implicit-def: $vgpr4_vgpr5
.LBB2017_147:
	s_andn2_saveexec_b64 s[0:1], s[0:1]
	s_cbranch_execz .LBB2017_149
; %bb.148:
	v_mov_b32_e32 v0, 0
	s_waitcnt lgkmcnt(0)
	global_store_dword v0, v5, s[18:19]
.LBB2017_149:
	s_endpgm
	.section	.rodata,"a",@progbits
	.p2align	6, 0x0
	.amdhsa_kernel _ZN7rocprim17ROCPRIM_400000_NS6detail17trampoline_kernelINS0_14default_configENS1_20scan_config_selectorIfEEZZNS1_9scan_implILNS1_25lookback_scan_determinismE0ELb1ELb1ES3_N6thrust23THRUST_200600_302600_NS6detail15normal_iteratorINS9_10device_ptrIfEEEESE_f11max_functorIfEfEEDaPvRmT3_T4_T5_mT6_P12ihipStream_tbENKUlT_T0_E_clISt17integral_constantIbLb0EESU_EEDaSP_SQ_EUlSP_E_NS1_11comp_targetILNS1_3genE4ELNS1_11target_archE910ELNS1_3gpuE8ELNS1_3repE0EEENS1_30default_config_static_selectorELNS0_4arch9wavefront6targetE1EEEvT1_
		.amdhsa_group_segment_fixed_size 7168
		.amdhsa_private_segment_fixed_size 0
		.amdhsa_kernarg_size 96
		.amdhsa_user_sgpr_count 6
		.amdhsa_user_sgpr_private_segment_buffer 1
		.amdhsa_user_sgpr_dispatch_ptr 0
		.amdhsa_user_sgpr_queue_ptr 0
		.amdhsa_user_sgpr_kernarg_segment_ptr 1
		.amdhsa_user_sgpr_dispatch_id 0
		.amdhsa_user_sgpr_flat_scratch_init 0
		.amdhsa_user_sgpr_kernarg_preload_length 0
		.amdhsa_user_sgpr_kernarg_preload_offset 0
		.amdhsa_user_sgpr_private_segment_size 0
		.amdhsa_uses_dynamic_stack 0
		.amdhsa_system_sgpr_private_segment_wavefront_offset 0
		.amdhsa_system_sgpr_workgroup_id_x 1
		.amdhsa_system_sgpr_workgroup_id_y 0
		.amdhsa_system_sgpr_workgroup_id_z 0
		.amdhsa_system_sgpr_workgroup_info 0
		.amdhsa_system_vgpr_workitem_id 0
		.amdhsa_next_free_vgpr 44
		.amdhsa_next_free_sgpr 34
		.amdhsa_accum_offset 44
		.amdhsa_reserve_vcc 1
		.amdhsa_reserve_flat_scratch 0
		.amdhsa_float_round_mode_32 0
		.amdhsa_float_round_mode_16_64 0
		.amdhsa_float_denorm_mode_32 3
		.amdhsa_float_denorm_mode_16_64 3
		.amdhsa_dx10_clamp 1
		.amdhsa_ieee_mode 1
		.amdhsa_fp16_overflow 0
		.amdhsa_tg_split 0
		.amdhsa_exception_fp_ieee_invalid_op 0
		.amdhsa_exception_fp_denorm_src 0
		.amdhsa_exception_fp_ieee_div_zero 0
		.amdhsa_exception_fp_ieee_overflow 0
		.amdhsa_exception_fp_ieee_underflow 0
		.amdhsa_exception_fp_ieee_inexact 0
		.amdhsa_exception_int_div_zero 0
	.end_amdhsa_kernel
	.section	.text._ZN7rocprim17ROCPRIM_400000_NS6detail17trampoline_kernelINS0_14default_configENS1_20scan_config_selectorIfEEZZNS1_9scan_implILNS1_25lookback_scan_determinismE0ELb1ELb1ES3_N6thrust23THRUST_200600_302600_NS6detail15normal_iteratorINS9_10device_ptrIfEEEESE_f11max_functorIfEfEEDaPvRmT3_T4_T5_mT6_P12ihipStream_tbENKUlT_T0_E_clISt17integral_constantIbLb0EESU_EEDaSP_SQ_EUlSP_E_NS1_11comp_targetILNS1_3genE4ELNS1_11target_archE910ELNS1_3gpuE8ELNS1_3repE0EEENS1_30default_config_static_selectorELNS0_4arch9wavefront6targetE1EEEvT1_,"axG",@progbits,_ZN7rocprim17ROCPRIM_400000_NS6detail17trampoline_kernelINS0_14default_configENS1_20scan_config_selectorIfEEZZNS1_9scan_implILNS1_25lookback_scan_determinismE0ELb1ELb1ES3_N6thrust23THRUST_200600_302600_NS6detail15normal_iteratorINS9_10device_ptrIfEEEESE_f11max_functorIfEfEEDaPvRmT3_T4_T5_mT6_P12ihipStream_tbENKUlT_T0_E_clISt17integral_constantIbLb0EESU_EEDaSP_SQ_EUlSP_E_NS1_11comp_targetILNS1_3genE4ELNS1_11target_archE910ELNS1_3gpuE8ELNS1_3repE0EEENS1_30default_config_static_selectorELNS0_4arch9wavefront6targetE1EEEvT1_,comdat
.Lfunc_end2017:
	.size	_ZN7rocprim17ROCPRIM_400000_NS6detail17trampoline_kernelINS0_14default_configENS1_20scan_config_selectorIfEEZZNS1_9scan_implILNS1_25lookback_scan_determinismE0ELb1ELb1ES3_N6thrust23THRUST_200600_302600_NS6detail15normal_iteratorINS9_10device_ptrIfEEEESE_f11max_functorIfEfEEDaPvRmT3_T4_T5_mT6_P12ihipStream_tbENKUlT_T0_E_clISt17integral_constantIbLb0EESU_EEDaSP_SQ_EUlSP_E_NS1_11comp_targetILNS1_3genE4ELNS1_11target_archE910ELNS1_3gpuE8ELNS1_3repE0EEENS1_30default_config_static_selectorELNS0_4arch9wavefront6targetE1EEEvT1_, .Lfunc_end2017-_ZN7rocprim17ROCPRIM_400000_NS6detail17trampoline_kernelINS0_14default_configENS1_20scan_config_selectorIfEEZZNS1_9scan_implILNS1_25lookback_scan_determinismE0ELb1ELb1ES3_N6thrust23THRUST_200600_302600_NS6detail15normal_iteratorINS9_10device_ptrIfEEEESE_f11max_functorIfEfEEDaPvRmT3_T4_T5_mT6_P12ihipStream_tbENKUlT_T0_E_clISt17integral_constantIbLb0EESU_EEDaSP_SQ_EUlSP_E_NS1_11comp_targetILNS1_3genE4ELNS1_11target_archE910ELNS1_3gpuE8ELNS1_3repE0EEENS1_30default_config_static_selectorELNS0_4arch9wavefront6targetE1EEEvT1_
                                        ; -- End function
	.section	.AMDGPU.csdata,"",@progbits
; Kernel info:
; codeLenInByte = 6328
; NumSgprs: 38
; NumVgprs: 44
; NumAgprs: 0
; TotalNumVgprs: 44
; ScratchSize: 0
; MemoryBound: 0
; FloatMode: 240
; IeeeMode: 1
; LDSByteSize: 7168 bytes/workgroup (compile time only)
; SGPRBlocks: 4
; VGPRBlocks: 5
; NumSGPRsForWavesPerEU: 38
; NumVGPRsForWavesPerEU: 44
; AccumOffset: 44
; Occupancy: 5
; WaveLimiterHint : 1
; COMPUTE_PGM_RSRC2:SCRATCH_EN: 0
; COMPUTE_PGM_RSRC2:USER_SGPR: 6
; COMPUTE_PGM_RSRC2:TRAP_HANDLER: 0
; COMPUTE_PGM_RSRC2:TGID_X_EN: 1
; COMPUTE_PGM_RSRC2:TGID_Y_EN: 0
; COMPUTE_PGM_RSRC2:TGID_Z_EN: 0
; COMPUTE_PGM_RSRC2:TIDIG_COMP_CNT: 0
; COMPUTE_PGM_RSRC3_GFX90A:ACCUM_OFFSET: 10
; COMPUTE_PGM_RSRC3_GFX90A:TG_SPLIT: 0
	.section	.text._ZN7rocprim17ROCPRIM_400000_NS6detail17trampoline_kernelINS0_14default_configENS1_20scan_config_selectorIfEEZZNS1_9scan_implILNS1_25lookback_scan_determinismE0ELb1ELb1ES3_N6thrust23THRUST_200600_302600_NS6detail15normal_iteratorINS9_10device_ptrIfEEEESE_f11max_functorIfEfEEDaPvRmT3_T4_T5_mT6_P12ihipStream_tbENKUlT_T0_E_clISt17integral_constantIbLb0EESU_EEDaSP_SQ_EUlSP_E_NS1_11comp_targetILNS1_3genE3ELNS1_11target_archE908ELNS1_3gpuE7ELNS1_3repE0EEENS1_30default_config_static_selectorELNS0_4arch9wavefront6targetE1EEEvT1_,"axG",@progbits,_ZN7rocprim17ROCPRIM_400000_NS6detail17trampoline_kernelINS0_14default_configENS1_20scan_config_selectorIfEEZZNS1_9scan_implILNS1_25lookback_scan_determinismE0ELb1ELb1ES3_N6thrust23THRUST_200600_302600_NS6detail15normal_iteratorINS9_10device_ptrIfEEEESE_f11max_functorIfEfEEDaPvRmT3_T4_T5_mT6_P12ihipStream_tbENKUlT_T0_E_clISt17integral_constantIbLb0EESU_EEDaSP_SQ_EUlSP_E_NS1_11comp_targetILNS1_3genE3ELNS1_11target_archE908ELNS1_3gpuE7ELNS1_3repE0EEENS1_30default_config_static_selectorELNS0_4arch9wavefront6targetE1EEEvT1_,comdat
	.protected	_ZN7rocprim17ROCPRIM_400000_NS6detail17trampoline_kernelINS0_14default_configENS1_20scan_config_selectorIfEEZZNS1_9scan_implILNS1_25lookback_scan_determinismE0ELb1ELb1ES3_N6thrust23THRUST_200600_302600_NS6detail15normal_iteratorINS9_10device_ptrIfEEEESE_f11max_functorIfEfEEDaPvRmT3_T4_T5_mT6_P12ihipStream_tbENKUlT_T0_E_clISt17integral_constantIbLb0EESU_EEDaSP_SQ_EUlSP_E_NS1_11comp_targetILNS1_3genE3ELNS1_11target_archE908ELNS1_3gpuE7ELNS1_3repE0EEENS1_30default_config_static_selectorELNS0_4arch9wavefront6targetE1EEEvT1_ ; -- Begin function _ZN7rocprim17ROCPRIM_400000_NS6detail17trampoline_kernelINS0_14default_configENS1_20scan_config_selectorIfEEZZNS1_9scan_implILNS1_25lookback_scan_determinismE0ELb1ELb1ES3_N6thrust23THRUST_200600_302600_NS6detail15normal_iteratorINS9_10device_ptrIfEEEESE_f11max_functorIfEfEEDaPvRmT3_T4_T5_mT6_P12ihipStream_tbENKUlT_T0_E_clISt17integral_constantIbLb0EESU_EEDaSP_SQ_EUlSP_E_NS1_11comp_targetILNS1_3genE3ELNS1_11target_archE908ELNS1_3gpuE7ELNS1_3repE0EEENS1_30default_config_static_selectorELNS0_4arch9wavefront6targetE1EEEvT1_
	.globl	_ZN7rocprim17ROCPRIM_400000_NS6detail17trampoline_kernelINS0_14default_configENS1_20scan_config_selectorIfEEZZNS1_9scan_implILNS1_25lookback_scan_determinismE0ELb1ELb1ES3_N6thrust23THRUST_200600_302600_NS6detail15normal_iteratorINS9_10device_ptrIfEEEESE_f11max_functorIfEfEEDaPvRmT3_T4_T5_mT6_P12ihipStream_tbENKUlT_T0_E_clISt17integral_constantIbLb0EESU_EEDaSP_SQ_EUlSP_E_NS1_11comp_targetILNS1_3genE3ELNS1_11target_archE908ELNS1_3gpuE7ELNS1_3repE0EEENS1_30default_config_static_selectorELNS0_4arch9wavefront6targetE1EEEvT1_
	.p2align	8
	.type	_ZN7rocprim17ROCPRIM_400000_NS6detail17trampoline_kernelINS0_14default_configENS1_20scan_config_selectorIfEEZZNS1_9scan_implILNS1_25lookback_scan_determinismE0ELb1ELb1ES3_N6thrust23THRUST_200600_302600_NS6detail15normal_iteratorINS9_10device_ptrIfEEEESE_f11max_functorIfEfEEDaPvRmT3_T4_T5_mT6_P12ihipStream_tbENKUlT_T0_E_clISt17integral_constantIbLb0EESU_EEDaSP_SQ_EUlSP_E_NS1_11comp_targetILNS1_3genE3ELNS1_11target_archE908ELNS1_3gpuE7ELNS1_3repE0EEENS1_30default_config_static_selectorELNS0_4arch9wavefront6targetE1EEEvT1_,@function
_ZN7rocprim17ROCPRIM_400000_NS6detail17trampoline_kernelINS0_14default_configENS1_20scan_config_selectorIfEEZZNS1_9scan_implILNS1_25lookback_scan_determinismE0ELb1ELb1ES3_N6thrust23THRUST_200600_302600_NS6detail15normal_iteratorINS9_10device_ptrIfEEEESE_f11max_functorIfEfEEDaPvRmT3_T4_T5_mT6_P12ihipStream_tbENKUlT_T0_E_clISt17integral_constantIbLb0EESU_EEDaSP_SQ_EUlSP_E_NS1_11comp_targetILNS1_3genE3ELNS1_11target_archE908ELNS1_3gpuE7ELNS1_3repE0EEENS1_30default_config_static_selectorELNS0_4arch9wavefront6targetE1EEEvT1_: ; @_ZN7rocprim17ROCPRIM_400000_NS6detail17trampoline_kernelINS0_14default_configENS1_20scan_config_selectorIfEEZZNS1_9scan_implILNS1_25lookback_scan_determinismE0ELb1ELb1ES3_N6thrust23THRUST_200600_302600_NS6detail15normal_iteratorINS9_10device_ptrIfEEEESE_f11max_functorIfEfEEDaPvRmT3_T4_T5_mT6_P12ihipStream_tbENKUlT_T0_E_clISt17integral_constantIbLb0EESU_EEDaSP_SQ_EUlSP_E_NS1_11comp_targetILNS1_3genE3ELNS1_11target_archE908ELNS1_3gpuE7ELNS1_3repE0EEENS1_30default_config_static_selectorELNS0_4arch9wavefront6targetE1EEEvT1_
; %bb.0:
	.section	.rodata,"a",@progbits
	.p2align	6, 0x0
	.amdhsa_kernel _ZN7rocprim17ROCPRIM_400000_NS6detail17trampoline_kernelINS0_14default_configENS1_20scan_config_selectorIfEEZZNS1_9scan_implILNS1_25lookback_scan_determinismE0ELb1ELb1ES3_N6thrust23THRUST_200600_302600_NS6detail15normal_iteratorINS9_10device_ptrIfEEEESE_f11max_functorIfEfEEDaPvRmT3_T4_T5_mT6_P12ihipStream_tbENKUlT_T0_E_clISt17integral_constantIbLb0EESU_EEDaSP_SQ_EUlSP_E_NS1_11comp_targetILNS1_3genE3ELNS1_11target_archE908ELNS1_3gpuE7ELNS1_3repE0EEENS1_30default_config_static_selectorELNS0_4arch9wavefront6targetE1EEEvT1_
		.amdhsa_group_segment_fixed_size 0
		.amdhsa_private_segment_fixed_size 0
		.amdhsa_kernarg_size 96
		.amdhsa_user_sgpr_count 6
		.amdhsa_user_sgpr_private_segment_buffer 1
		.amdhsa_user_sgpr_dispatch_ptr 0
		.amdhsa_user_sgpr_queue_ptr 0
		.amdhsa_user_sgpr_kernarg_segment_ptr 1
		.amdhsa_user_sgpr_dispatch_id 0
		.amdhsa_user_sgpr_flat_scratch_init 0
		.amdhsa_user_sgpr_kernarg_preload_length 0
		.amdhsa_user_sgpr_kernarg_preload_offset 0
		.amdhsa_user_sgpr_private_segment_size 0
		.amdhsa_uses_dynamic_stack 0
		.amdhsa_system_sgpr_private_segment_wavefront_offset 0
		.amdhsa_system_sgpr_workgroup_id_x 1
		.amdhsa_system_sgpr_workgroup_id_y 0
		.amdhsa_system_sgpr_workgroup_id_z 0
		.amdhsa_system_sgpr_workgroup_info 0
		.amdhsa_system_vgpr_workitem_id 0
		.amdhsa_next_free_vgpr 1
		.amdhsa_next_free_sgpr 0
		.amdhsa_accum_offset 4
		.amdhsa_reserve_vcc 0
		.amdhsa_reserve_flat_scratch 0
		.amdhsa_float_round_mode_32 0
		.amdhsa_float_round_mode_16_64 0
		.amdhsa_float_denorm_mode_32 3
		.amdhsa_float_denorm_mode_16_64 3
		.amdhsa_dx10_clamp 1
		.amdhsa_ieee_mode 1
		.amdhsa_fp16_overflow 0
		.amdhsa_tg_split 0
		.amdhsa_exception_fp_ieee_invalid_op 0
		.amdhsa_exception_fp_denorm_src 0
		.amdhsa_exception_fp_ieee_div_zero 0
		.amdhsa_exception_fp_ieee_overflow 0
		.amdhsa_exception_fp_ieee_underflow 0
		.amdhsa_exception_fp_ieee_inexact 0
		.amdhsa_exception_int_div_zero 0
	.end_amdhsa_kernel
	.section	.text._ZN7rocprim17ROCPRIM_400000_NS6detail17trampoline_kernelINS0_14default_configENS1_20scan_config_selectorIfEEZZNS1_9scan_implILNS1_25lookback_scan_determinismE0ELb1ELb1ES3_N6thrust23THRUST_200600_302600_NS6detail15normal_iteratorINS9_10device_ptrIfEEEESE_f11max_functorIfEfEEDaPvRmT3_T4_T5_mT6_P12ihipStream_tbENKUlT_T0_E_clISt17integral_constantIbLb0EESU_EEDaSP_SQ_EUlSP_E_NS1_11comp_targetILNS1_3genE3ELNS1_11target_archE908ELNS1_3gpuE7ELNS1_3repE0EEENS1_30default_config_static_selectorELNS0_4arch9wavefront6targetE1EEEvT1_,"axG",@progbits,_ZN7rocprim17ROCPRIM_400000_NS6detail17trampoline_kernelINS0_14default_configENS1_20scan_config_selectorIfEEZZNS1_9scan_implILNS1_25lookback_scan_determinismE0ELb1ELb1ES3_N6thrust23THRUST_200600_302600_NS6detail15normal_iteratorINS9_10device_ptrIfEEEESE_f11max_functorIfEfEEDaPvRmT3_T4_T5_mT6_P12ihipStream_tbENKUlT_T0_E_clISt17integral_constantIbLb0EESU_EEDaSP_SQ_EUlSP_E_NS1_11comp_targetILNS1_3genE3ELNS1_11target_archE908ELNS1_3gpuE7ELNS1_3repE0EEENS1_30default_config_static_selectorELNS0_4arch9wavefront6targetE1EEEvT1_,comdat
.Lfunc_end2018:
	.size	_ZN7rocprim17ROCPRIM_400000_NS6detail17trampoline_kernelINS0_14default_configENS1_20scan_config_selectorIfEEZZNS1_9scan_implILNS1_25lookback_scan_determinismE0ELb1ELb1ES3_N6thrust23THRUST_200600_302600_NS6detail15normal_iteratorINS9_10device_ptrIfEEEESE_f11max_functorIfEfEEDaPvRmT3_T4_T5_mT6_P12ihipStream_tbENKUlT_T0_E_clISt17integral_constantIbLb0EESU_EEDaSP_SQ_EUlSP_E_NS1_11comp_targetILNS1_3genE3ELNS1_11target_archE908ELNS1_3gpuE7ELNS1_3repE0EEENS1_30default_config_static_selectorELNS0_4arch9wavefront6targetE1EEEvT1_, .Lfunc_end2018-_ZN7rocprim17ROCPRIM_400000_NS6detail17trampoline_kernelINS0_14default_configENS1_20scan_config_selectorIfEEZZNS1_9scan_implILNS1_25lookback_scan_determinismE0ELb1ELb1ES3_N6thrust23THRUST_200600_302600_NS6detail15normal_iteratorINS9_10device_ptrIfEEEESE_f11max_functorIfEfEEDaPvRmT3_T4_T5_mT6_P12ihipStream_tbENKUlT_T0_E_clISt17integral_constantIbLb0EESU_EEDaSP_SQ_EUlSP_E_NS1_11comp_targetILNS1_3genE3ELNS1_11target_archE908ELNS1_3gpuE7ELNS1_3repE0EEENS1_30default_config_static_selectorELNS0_4arch9wavefront6targetE1EEEvT1_
                                        ; -- End function
	.section	.AMDGPU.csdata,"",@progbits
; Kernel info:
; codeLenInByte = 0
; NumSgprs: 4
; NumVgprs: 0
; NumAgprs: 0
; TotalNumVgprs: 0
; ScratchSize: 0
; MemoryBound: 0
; FloatMode: 240
; IeeeMode: 1
; LDSByteSize: 0 bytes/workgroup (compile time only)
; SGPRBlocks: 0
; VGPRBlocks: 0
; NumSGPRsForWavesPerEU: 4
; NumVGPRsForWavesPerEU: 1
; AccumOffset: 4
; Occupancy: 8
; WaveLimiterHint : 0
; COMPUTE_PGM_RSRC2:SCRATCH_EN: 0
; COMPUTE_PGM_RSRC2:USER_SGPR: 6
; COMPUTE_PGM_RSRC2:TRAP_HANDLER: 0
; COMPUTE_PGM_RSRC2:TGID_X_EN: 1
; COMPUTE_PGM_RSRC2:TGID_Y_EN: 0
; COMPUTE_PGM_RSRC2:TGID_Z_EN: 0
; COMPUTE_PGM_RSRC2:TIDIG_COMP_CNT: 0
; COMPUTE_PGM_RSRC3_GFX90A:ACCUM_OFFSET: 0
; COMPUTE_PGM_RSRC3_GFX90A:TG_SPLIT: 0
	.section	.text._ZN7rocprim17ROCPRIM_400000_NS6detail17trampoline_kernelINS0_14default_configENS1_20scan_config_selectorIfEEZZNS1_9scan_implILNS1_25lookback_scan_determinismE0ELb1ELb1ES3_N6thrust23THRUST_200600_302600_NS6detail15normal_iteratorINS9_10device_ptrIfEEEESE_f11max_functorIfEfEEDaPvRmT3_T4_T5_mT6_P12ihipStream_tbENKUlT_T0_E_clISt17integral_constantIbLb0EESU_EEDaSP_SQ_EUlSP_E_NS1_11comp_targetILNS1_3genE2ELNS1_11target_archE906ELNS1_3gpuE6ELNS1_3repE0EEENS1_30default_config_static_selectorELNS0_4arch9wavefront6targetE1EEEvT1_,"axG",@progbits,_ZN7rocprim17ROCPRIM_400000_NS6detail17trampoline_kernelINS0_14default_configENS1_20scan_config_selectorIfEEZZNS1_9scan_implILNS1_25lookback_scan_determinismE0ELb1ELb1ES3_N6thrust23THRUST_200600_302600_NS6detail15normal_iteratorINS9_10device_ptrIfEEEESE_f11max_functorIfEfEEDaPvRmT3_T4_T5_mT6_P12ihipStream_tbENKUlT_T0_E_clISt17integral_constantIbLb0EESU_EEDaSP_SQ_EUlSP_E_NS1_11comp_targetILNS1_3genE2ELNS1_11target_archE906ELNS1_3gpuE6ELNS1_3repE0EEENS1_30default_config_static_selectorELNS0_4arch9wavefront6targetE1EEEvT1_,comdat
	.protected	_ZN7rocprim17ROCPRIM_400000_NS6detail17trampoline_kernelINS0_14default_configENS1_20scan_config_selectorIfEEZZNS1_9scan_implILNS1_25lookback_scan_determinismE0ELb1ELb1ES3_N6thrust23THRUST_200600_302600_NS6detail15normal_iteratorINS9_10device_ptrIfEEEESE_f11max_functorIfEfEEDaPvRmT3_T4_T5_mT6_P12ihipStream_tbENKUlT_T0_E_clISt17integral_constantIbLb0EESU_EEDaSP_SQ_EUlSP_E_NS1_11comp_targetILNS1_3genE2ELNS1_11target_archE906ELNS1_3gpuE6ELNS1_3repE0EEENS1_30default_config_static_selectorELNS0_4arch9wavefront6targetE1EEEvT1_ ; -- Begin function _ZN7rocprim17ROCPRIM_400000_NS6detail17trampoline_kernelINS0_14default_configENS1_20scan_config_selectorIfEEZZNS1_9scan_implILNS1_25lookback_scan_determinismE0ELb1ELb1ES3_N6thrust23THRUST_200600_302600_NS6detail15normal_iteratorINS9_10device_ptrIfEEEESE_f11max_functorIfEfEEDaPvRmT3_T4_T5_mT6_P12ihipStream_tbENKUlT_T0_E_clISt17integral_constantIbLb0EESU_EEDaSP_SQ_EUlSP_E_NS1_11comp_targetILNS1_3genE2ELNS1_11target_archE906ELNS1_3gpuE6ELNS1_3repE0EEENS1_30default_config_static_selectorELNS0_4arch9wavefront6targetE1EEEvT1_
	.globl	_ZN7rocprim17ROCPRIM_400000_NS6detail17trampoline_kernelINS0_14default_configENS1_20scan_config_selectorIfEEZZNS1_9scan_implILNS1_25lookback_scan_determinismE0ELb1ELb1ES3_N6thrust23THRUST_200600_302600_NS6detail15normal_iteratorINS9_10device_ptrIfEEEESE_f11max_functorIfEfEEDaPvRmT3_T4_T5_mT6_P12ihipStream_tbENKUlT_T0_E_clISt17integral_constantIbLb0EESU_EEDaSP_SQ_EUlSP_E_NS1_11comp_targetILNS1_3genE2ELNS1_11target_archE906ELNS1_3gpuE6ELNS1_3repE0EEENS1_30default_config_static_selectorELNS0_4arch9wavefront6targetE1EEEvT1_
	.p2align	8
	.type	_ZN7rocprim17ROCPRIM_400000_NS6detail17trampoline_kernelINS0_14default_configENS1_20scan_config_selectorIfEEZZNS1_9scan_implILNS1_25lookback_scan_determinismE0ELb1ELb1ES3_N6thrust23THRUST_200600_302600_NS6detail15normal_iteratorINS9_10device_ptrIfEEEESE_f11max_functorIfEfEEDaPvRmT3_T4_T5_mT6_P12ihipStream_tbENKUlT_T0_E_clISt17integral_constantIbLb0EESU_EEDaSP_SQ_EUlSP_E_NS1_11comp_targetILNS1_3genE2ELNS1_11target_archE906ELNS1_3gpuE6ELNS1_3repE0EEENS1_30default_config_static_selectorELNS0_4arch9wavefront6targetE1EEEvT1_,@function
_ZN7rocprim17ROCPRIM_400000_NS6detail17trampoline_kernelINS0_14default_configENS1_20scan_config_selectorIfEEZZNS1_9scan_implILNS1_25lookback_scan_determinismE0ELb1ELb1ES3_N6thrust23THRUST_200600_302600_NS6detail15normal_iteratorINS9_10device_ptrIfEEEESE_f11max_functorIfEfEEDaPvRmT3_T4_T5_mT6_P12ihipStream_tbENKUlT_T0_E_clISt17integral_constantIbLb0EESU_EEDaSP_SQ_EUlSP_E_NS1_11comp_targetILNS1_3genE2ELNS1_11target_archE906ELNS1_3gpuE6ELNS1_3repE0EEENS1_30default_config_static_selectorELNS0_4arch9wavefront6targetE1EEEvT1_: ; @_ZN7rocprim17ROCPRIM_400000_NS6detail17trampoline_kernelINS0_14default_configENS1_20scan_config_selectorIfEEZZNS1_9scan_implILNS1_25lookback_scan_determinismE0ELb1ELb1ES3_N6thrust23THRUST_200600_302600_NS6detail15normal_iteratorINS9_10device_ptrIfEEEESE_f11max_functorIfEfEEDaPvRmT3_T4_T5_mT6_P12ihipStream_tbENKUlT_T0_E_clISt17integral_constantIbLb0EESU_EEDaSP_SQ_EUlSP_E_NS1_11comp_targetILNS1_3genE2ELNS1_11target_archE906ELNS1_3gpuE6ELNS1_3repE0EEENS1_30default_config_static_selectorELNS0_4arch9wavefront6targetE1EEEvT1_
; %bb.0:
	.section	.rodata,"a",@progbits
	.p2align	6, 0x0
	.amdhsa_kernel _ZN7rocprim17ROCPRIM_400000_NS6detail17trampoline_kernelINS0_14default_configENS1_20scan_config_selectorIfEEZZNS1_9scan_implILNS1_25lookback_scan_determinismE0ELb1ELb1ES3_N6thrust23THRUST_200600_302600_NS6detail15normal_iteratorINS9_10device_ptrIfEEEESE_f11max_functorIfEfEEDaPvRmT3_T4_T5_mT6_P12ihipStream_tbENKUlT_T0_E_clISt17integral_constantIbLb0EESU_EEDaSP_SQ_EUlSP_E_NS1_11comp_targetILNS1_3genE2ELNS1_11target_archE906ELNS1_3gpuE6ELNS1_3repE0EEENS1_30default_config_static_selectorELNS0_4arch9wavefront6targetE1EEEvT1_
		.amdhsa_group_segment_fixed_size 0
		.amdhsa_private_segment_fixed_size 0
		.amdhsa_kernarg_size 96
		.amdhsa_user_sgpr_count 6
		.amdhsa_user_sgpr_private_segment_buffer 1
		.amdhsa_user_sgpr_dispatch_ptr 0
		.amdhsa_user_sgpr_queue_ptr 0
		.amdhsa_user_sgpr_kernarg_segment_ptr 1
		.amdhsa_user_sgpr_dispatch_id 0
		.amdhsa_user_sgpr_flat_scratch_init 0
		.amdhsa_user_sgpr_kernarg_preload_length 0
		.amdhsa_user_sgpr_kernarg_preload_offset 0
		.amdhsa_user_sgpr_private_segment_size 0
		.amdhsa_uses_dynamic_stack 0
		.amdhsa_system_sgpr_private_segment_wavefront_offset 0
		.amdhsa_system_sgpr_workgroup_id_x 1
		.amdhsa_system_sgpr_workgroup_id_y 0
		.amdhsa_system_sgpr_workgroup_id_z 0
		.amdhsa_system_sgpr_workgroup_info 0
		.amdhsa_system_vgpr_workitem_id 0
		.amdhsa_next_free_vgpr 1
		.amdhsa_next_free_sgpr 0
		.amdhsa_accum_offset 4
		.amdhsa_reserve_vcc 0
		.amdhsa_reserve_flat_scratch 0
		.amdhsa_float_round_mode_32 0
		.amdhsa_float_round_mode_16_64 0
		.amdhsa_float_denorm_mode_32 3
		.amdhsa_float_denorm_mode_16_64 3
		.amdhsa_dx10_clamp 1
		.amdhsa_ieee_mode 1
		.amdhsa_fp16_overflow 0
		.amdhsa_tg_split 0
		.amdhsa_exception_fp_ieee_invalid_op 0
		.amdhsa_exception_fp_denorm_src 0
		.amdhsa_exception_fp_ieee_div_zero 0
		.amdhsa_exception_fp_ieee_overflow 0
		.amdhsa_exception_fp_ieee_underflow 0
		.amdhsa_exception_fp_ieee_inexact 0
		.amdhsa_exception_int_div_zero 0
	.end_amdhsa_kernel
	.section	.text._ZN7rocprim17ROCPRIM_400000_NS6detail17trampoline_kernelINS0_14default_configENS1_20scan_config_selectorIfEEZZNS1_9scan_implILNS1_25lookback_scan_determinismE0ELb1ELb1ES3_N6thrust23THRUST_200600_302600_NS6detail15normal_iteratorINS9_10device_ptrIfEEEESE_f11max_functorIfEfEEDaPvRmT3_T4_T5_mT6_P12ihipStream_tbENKUlT_T0_E_clISt17integral_constantIbLb0EESU_EEDaSP_SQ_EUlSP_E_NS1_11comp_targetILNS1_3genE2ELNS1_11target_archE906ELNS1_3gpuE6ELNS1_3repE0EEENS1_30default_config_static_selectorELNS0_4arch9wavefront6targetE1EEEvT1_,"axG",@progbits,_ZN7rocprim17ROCPRIM_400000_NS6detail17trampoline_kernelINS0_14default_configENS1_20scan_config_selectorIfEEZZNS1_9scan_implILNS1_25lookback_scan_determinismE0ELb1ELb1ES3_N6thrust23THRUST_200600_302600_NS6detail15normal_iteratorINS9_10device_ptrIfEEEESE_f11max_functorIfEfEEDaPvRmT3_T4_T5_mT6_P12ihipStream_tbENKUlT_T0_E_clISt17integral_constantIbLb0EESU_EEDaSP_SQ_EUlSP_E_NS1_11comp_targetILNS1_3genE2ELNS1_11target_archE906ELNS1_3gpuE6ELNS1_3repE0EEENS1_30default_config_static_selectorELNS0_4arch9wavefront6targetE1EEEvT1_,comdat
.Lfunc_end2019:
	.size	_ZN7rocprim17ROCPRIM_400000_NS6detail17trampoline_kernelINS0_14default_configENS1_20scan_config_selectorIfEEZZNS1_9scan_implILNS1_25lookback_scan_determinismE0ELb1ELb1ES3_N6thrust23THRUST_200600_302600_NS6detail15normal_iteratorINS9_10device_ptrIfEEEESE_f11max_functorIfEfEEDaPvRmT3_T4_T5_mT6_P12ihipStream_tbENKUlT_T0_E_clISt17integral_constantIbLb0EESU_EEDaSP_SQ_EUlSP_E_NS1_11comp_targetILNS1_3genE2ELNS1_11target_archE906ELNS1_3gpuE6ELNS1_3repE0EEENS1_30default_config_static_selectorELNS0_4arch9wavefront6targetE1EEEvT1_, .Lfunc_end2019-_ZN7rocprim17ROCPRIM_400000_NS6detail17trampoline_kernelINS0_14default_configENS1_20scan_config_selectorIfEEZZNS1_9scan_implILNS1_25lookback_scan_determinismE0ELb1ELb1ES3_N6thrust23THRUST_200600_302600_NS6detail15normal_iteratorINS9_10device_ptrIfEEEESE_f11max_functorIfEfEEDaPvRmT3_T4_T5_mT6_P12ihipStream_tbENKUlT_T0_E_clISt17integral_constantIbLb0EESU_EEDaSP_SQ_EUlSP_E_NS1_11comp_targetILNS1_3genE2ELNS1_11target_archE906ELNS1_3gpuE6ELNS1_3repE0EEENS1_30default_config_static_selectorELNS0_4arch9wavefront6targetE1EEEvT1_
                                        ; -- End function
	.section	.AMDGPU.csdata,"",@progbits
; Kernel info:
; codeLenInByte = 0
; NumSgprs: 4
; NumVgprs: 0
; NumAgprs: 0
; TotalNumVgprs: 0
; ScratchSize: 0
; MemoryBound: 0
; FloatMode: 240
; IeeeMode: 1
; LDSByteSize: 0 bytes/workgroup (compile time only)
; SGPRBlocks: 0
; VGPRBlocks: 0
; NumSGPRsForWavesPerEU: 4
; NumVGPRsForWavesPerEU: 1
; AccumOffset: 4
; Occupancy: 8
; WaveLimiterHint : 0
; COMPUTE_PGM_RSRC2:SCRATCH_EN: 0
; COMPUTE_PGM_RSRC2:USER_SGPR: 6
; COMPUTE_PGM_RSRC2:TRAP_HANDLER: 0
; COMPUTE_PGM_RSRC2:TGID_X_EN: 1
; COMPUTE_PGM_RSRC2:TGID_Y_EN: 0
; COMPUTE_PGM_RSRC2:TGID_Z_EN: 0
; COMPUTE_PGM_RSRC2:TIDIG_COMP_CNT: 0
; COMPUTE_PGM_RSRC3_GFX90A:ACCUM_OFFSET: 0
; COMPUTE_PGM_RSRC3_GFX90A:TG_SPLIT: 0
	.section	.text._ZN7rocprim17ROCPRIM_400000_NS6detail17trampoline_kernelINS0_14default_configENS1_20scan_config_selectorIfEEZZNS1_9scan_implILNS1_25lookback_scan_determinismE0ELb1ELb1ES3_N6thrust23THRUST_200600_302600_NS6detail15normal_iteratorINS9_10device_ptrIfEEEESE_f11max_functorIfEfEEDaPvRmT3_T4_T5_mT6_P12ihipStream_tbENKUlT_T0_E_clISt17integral_constantIbLb0EESU_EEDaSP_SQ_EUlSP_E_NS1_11comp_targetILNS1_3genE10ELNS1_11target_archE1201ELNS1_3gpuE5ELNS1_3repE0EEENS1_30default_config_static_selectorELNS0_4arch9wavefront6targetE1EEEvT1_,"axG",@progbits,_ZN7rocprim17ROCPRIM_400000_NS6detail17trampoline_kernelINS0_14default_configENS1_20scan_config_selectorIfEEZZNS1_9scan_implILNS1_25lookback_scan_determinismE0ELb1ELb1ES3_N6thrust23THRUST_200600_302600_NS6detail15normal_iteratorINS9_10device_ptrIfEEEESE_f11max_functorIfEfEEDaPvRmT3_T4_T5_mT6_P12ihipStream_tbENKUlT_T0_E_clISt17integral_constantIbLb0EESU_EEDaSP_SQ_EUlSP_E_NS1_11comp_targetILNS1_3genE10ELNS1_11target_archE1201ELNS1_3gpuE5ELNS1_3repE0EEENS1_30default_config_static_selectorELNS0_4arch9wavefront6targetE1EEEvT1_,comdat
	.protected	_ZN7rocprim17ROCPRIM_400000_NS6detail17trampoline_kernelINS0_14default_configENS1_20scan_config_selectorIfEEZZNS1_9scan_implILNS1_25lookback_scan_determinismE0ELb1ELb1ES3_N6thrust23THRUST_200600_302600_NS6detail15normal_iteratorINS9_10device_ptrIfEEEESE_f11max_functorIfEfEEDaPvRmT3_T4_T5_mT6_P12ihipStream_tbENKUlT_T0_E_clISt17integral_constantIbLb0EESU_EEDaSP_SQ_EUlSP_E_NS1_11comp_targetILNS1_3genE10ELNS1_11target_archE1201ELNS1_3gpuE5ELNS1_3repE0EEENS1_30default_config_static_selectorELNS0_4arch9wavefront6targetE1EEEvT1_ ; -- Begin function _ZN7rocprim17ROCPRIM_400000_NS6detail17trampoline_kernelINS0_14default_configENS1_20scan_config_selectorIfEEZZNS1_9scan_implILNS1_25lookback_scan_determinismE0ELb1ELb1ES3_N6thrust23THRUST_200600_302600_NS6detail15normal_iteratorINS9_10device_ptrIfEEEESE_f11max_functorIfEfEEDaPvRmT3_T4_T5_mT6_P12ihipStream_tbENKUlT_T0_E_clISt17integral_constantIbLb0EESU_EEDaSP_SQ_EUlSP_E_NS1_11comp_targetILNS1_3genE10ELNS1_11target_archE1201ELNS1_3gpuE5ELNS1_3repE0EEENS1_30default_config_static_selectorELNS0_4arch9wavefront6targetE1EEEvT1_
	.globl	_ZN7rocprim17ROCPRIM_400000_NS6detail17trampoline_kernelINS0_14default_configENS1_20scan_config_selectorIfEEZZNS1_9scan_implILNS1_25lookback_scan_determinismE0ELb1ELb1ES3_N6thrust23THRUST_200600_302600_NS6detail15normal_iteratorINS9_10device_ptrIfEEEESE_f11max_functorIfEfEEDaPvRmT3_T4_T5_mT6_P12ihipStream_tbENKUlT_T0_E_clISt17integral_constantIbLb0EESU_EEDaSP_SQ_EUlSP_E_NS1_11comp_targetILNS1_3genE10ELNS1_11target_archE1201ELNS1_3gpuE5ELNS1_3repE0EEENS1_30default_config_static_selectorELNS0_4arch9wavefront6targetE1EEEvT1_
	.p2align	8
	.type	_ZN7rocprim17ROCPRIM_400000_NS6detail17trampoline_kernelINS0_14default_configENS1_20scan_config_selectorIfEEZZNS1_9scan_implILNS1_25lookback_scan_determinismE0ELb1ELb1ES3_N6thrust23THRUST_200600_302600_NS6detail15normal_iteratorINS9_10device_ptrIfEEEESE_f11max_functorIfEfEEDaPvRmT3_T4_T5_mT6_P12ihipStream_tbENKUlT_T0_E_clISt17integral_constantIbLb0EESU_EEDaSP_SQ_EUlSP_E_NS1_11comp_targetILNS1_3genE10ELNS1_11target_archE1201ELNS1_3gpuE5ELNS1_3repE0EEENS1_30default_config_static_selectorELNS0_4arch9wavefront6targetE1EEEvT1_,@function
_ZN7rocprim17ROCPRIM_400000_NS6detail17trampoline_kernelINS0_14default_configENS1_20scan_config_selectorIfEEZZNS1_9scan_implILNS1_25lookback_scan_determinismE0ELb1ELb1ES3_N6thrust23THRUST_200600_302600_NS6detail15normal_iteratorINS9_10device_ptrIfEEEESE_f11max_functorIfEfEEDaPvRmT3_T4_T5_mT6_P12ihipStream_tbENKUlT_T0_E_clISt17integral_constantIbLb0EESU_EEDaSP_SQ_EUlSP_E_NS1_11comp_targetILNS1_3genE10ELNS1_11target_archE1201ELNS1_3gpuE5ELNS1_3repE0EEENS1_30default_config_static_selectorELNS0_4arch9wavefront6targetE1EEEvT1_: ; @_ZN7rocprim17ROCPRIM_400000_NS6detail17trampoline_kernelINS0_14default_configENS1_20scan_config_selectorIfEEZZNS1_9scan_implILNS1_25lookback_scan_determinismE0ELb1ELb1ES3_N6thrust23THRUST_200600_302600_NS6detail15normal_iteratorINS9_10device_ptrIfEEEESE_f11max_functorIfEfEEDaPvRmT3_T4_T5_mT6_P12ihipStream_tbENKUlT_T0_E_clISt17integral_constantIbLb0EESU_EEDaSP_SQ_EUlSP_E_NS1_11comp_targetILNS1_3genE10ELNS1_11target_archE1201ELNS1_3gpuE5ELNS1_3repE0EEENS1_30default_config_static_selectorELNS0_4arch9wavefront6targetE1EEEvT1_
; %bb.0:
	.section	.rodata,"a",@progbits
	.p2align	6, 0x0
	.amdhsa_kernel _ZN7rocprim17ROCPRIM_400000_NS6detail17trampoline_kernelINS0_14default_configENS1_20scan_config_selectorIfEEZZNS1_9scan_implILNS1_25lookback_scan_determinismE0ELb1ELb1ES3_N6thrust23THRUST_200600_302600_NS6detail15normal_iteratorINS9_10device_ptrIfEEEESE_f11max_functorIfEfEEDaPvRmT3_T4_T5_mT6_P12ihipStream_tbENKUlT_T0_E_clISt17integral_constantIbLb0EESU_EEDaSP_SQ_EUlSP_E_NS1_11comp_targetILNS1_3genE10ELNS1_11target_archE1201ELNS1_3gpuE5ELNS1_3repE0EEENS1_30default_config_static_selectorELNS0_4arch9wavefront6targetE1EEEvT1_
		.amdhsa_group_segment_fixed_size 0
		.amdhsa_private_segment_fixed_size 0
		.amdhsa_kernarg_size 96
		.amdhsa_user_sgpr_count 6
		.amdhsa_user_sgpr_private_segment_buffer 1
		.amdhsa_user_sgpr_dispatch_ptr 0
		.amdhsa_user_sgpr_queue_ptr 0
		.amdhsa_user_sgpr_kernarg_segment_ptr 1
		.amdhsa_user_sgpr_dispatch_id 0
		.amdhsa_user_sgpr_flat_scratch_init 0
		.amdhsa_user_sgpr_kernarg_preload_length 0
		.amdhsa_user_sgpr_kernarg_preload_offset 0
		.amdhsa_user_sgpr_private_segment_size 0
		.amdhsa_uses_dynamic_stack 0
		.amdhsa_system_sgpr_private_segment_wavefront_offset 0
		.amdhsa_system_sgpr_workgroup_id_x 1
		.amdhsa_system_sgpr_workgroup_id_y 0
		.amdhsa_system_sgpr_workgroup_id_z 0
		.amdhsa_system_sgpr_workgroup_info 0
		.amdhsa_system_vgpr_workitem_id 0
		.amdhsa_next_free_vgpr 1
		.amdhsa_next_free_sgpr 0
		.amdhsa_accum_offset 4
		.amdhsa_reserve_vcc 0
		.amdhsa_reserve_flat_scratch 0
		.amdhsa_float_round_mode_32 0
		.amdhsa_float_round_mode_16_64 0
		.amdhsa_float_denorm_mode_32 3
		.amdhsa_float_denorm_mode_16_64 3
		.amdhsa_dx10_clamp 1
		.amdhsa_ieee_mode 1
		.amdhsa_fp16_overflow 0
		.amdhsa_tg_split 0
		.amdhsa_exception_fp_ieee_invalid_op 0
		.amdhsa_exception_fp_denorm_src 0
		.amdhsa_exception_fp_ieee_div_zero 0
		.amdhsa_exception_fp_ieee_overflow 0
		.amdhsa_exception_fp_ieee_underflow 0
		.amdhsa_exception_fp_ieee_inexact 0
		.amdhsa_exception_int_div_zero 0
	.end_amdhsa_kernel
	.section	.text._ZN7rocprim17ROCPRIM_400000_NS6detail17trampoline_kernelINS0_14default_configENS1_20scan_config_selectorIfEEZZNS1_9scan_implILNS1_25lookback_scan_determinismE0ELb1ELb1ES3_N6thrust23THRUST_200600_302600_NS6detail15normal_iteratorINS9_10device_ptrIfEEEESE_f11max_functorIfEfEEDaPvRmT3_T4_T5_mT6_P12ihipStream_tbENKUlT_T0_E_clISt17integral_constantIbLb0EESU_EEDaSP_SQ_EUlSP_E_NS1_11comp_targetILNS1_3genE10ELNS1_11target_archE1201ELNS1_3gpuE5ELNS1_3repE0EEENS1_30default_config_static_selectorELNS0_4arch9wavefront6targetE1EEEvT1_,"axG",@progbits,_ZN7rocprim17ROCPRIM_400000_NS6detail17trampoline_kernelINS0_14default_configENS1_20scan_config_selectorIfEEZZNS1_9scan_implILNS1_25lookback_scan_determinismE0ELb1ELb1ES3_N6thrust23THRUST_200600_302600_NS6detail15normal_iteratorINS9_10device_ptrIfEEEESE_f11max_functorIfEfEEDaPvRmT3_T4_T5_mT6_P12ihipStream_tbENKUlT_T0_E_clISt17integral_constantIbLb0EESU_EEDaSP_SQ_EUlSP_E_NS1_11comp_targetILNS1_3genE10ELNS1_11target_archE1201ELNS1_3gpuE5ELNS1_3repE0EEENS1_30default_config_static_selectorELNS0_4arch9wavefront6targetE1EEEvT1_,comdat
.Lfunc_end2020:
	.size	_ZN7rocprim17ROCPRIM_400000_NS6detail17trampoline_kernelINS0_14default_configENS1_20scan_config_selectorIfEEZZNS1_9scan_implILNS1_25lookback_scan_determinismE0ELb1ELb1ES3_N6thrust23THRUST_200600_302600_NS6detail15normal_iteratorINS9_10device_ptrIfEEEESE_f11max_functorIfEfEEDaPvRmT3_T4_T5_mT6_P12ihipStream_tbENKUlT_T0_E_clISt17integral_constantIbLb0EESU_EEDaSP_SQ_EUlSP_E_NS1_11comp_targetILNS1_3genE10ELNS1_11target_archE1201ELNS1_3gpuE5ELNS1_3repE0EEENS1_30default_config_static_selectorELNS0_4arch9wavefront6targetE1EEEvT1_, .Lfunc_end2020-_ZN7rocprim17ROCPRIM_400000_NS6detail17trampoline_kernelINS0_14default_configENS1_20scan_config_selectorIfEEZZNS1_9scan_implILNS1_25lookback_scan_determinismE0ELb1ELb1ES3_N6thrust23THRUST_200600_302600_NS6detail15normal_iteratorINS9_10device_ptrIfEEEESE_f11max_functorIfEfEEDaPvRmT3_T4_T5_mT6_P12ihipStream_tbENKUlT_T0_E_clISt17integral_constantIbLb0EESU_EEDaSP_SQ_EUlSP_E_NS1_11comp_targetILNS1_3genE10ELNS1_11target_archE1201ELNS1_3gpuE5ELNS1_3repE0EEENS1_30default_config_static_selectorELNS0_4arch9wavefront6targetE1EEEvT1_
                                        ; -- End function
	.section	.AMDGPU.csdata,"",@progbits
; Kernel info:
; codeLenInByte = 0
; NumSgprs: 4
; NumVgprs: 0
; NumAgprs: 0
; TotalNumVgprs: 0
; ScratchSize: 0
; MemoryBound: 0
; FloatMode: 240
; IeeeMode: 1
; LDSByteSize: 0 bytes/workgroup (compile time only)
; SGPRBlocks: 0
; VGPRBlocks: 0
; NumSGPRsForWavesPerEU: 4
; NumVGPRsForWavesPerEU: 1
; AccumOffset: 4
; Occupancy: 8
; WaveLimiterHint : 0
; COMPUTE_PGM_RSRC2:SCRATCH_EN: 0
; COMPUTE_PGM_RSRC2:USER_SGPR: 6
; COMPUTE_PGM_RSRC2:TRAP_HANDLER: 0
; COMPUTE_PGM_RSRC2:TGID_X_EN: 1
; COMPUTE_PGM_RSRC2:TGID_Y_EN: 0
; COMPUTE_PGM_RSRC2:TGID_Z_EN: 0
; COMPUTE_PGM_RSRC2:TIDIG_COMP_CNT: 0
; COMPUTE_PGM_RSRC3_GFX90A:ACCUM_OFFSET: 0
; COMPUTE_PGM_RSRC3_GFX90A:TG_SPLIT: 0
	.section	.text._ZN7rocprim17ROCPRIM_400000_NS6detail17trampoline_kernelINS0_14default_configENS1_20scan_config_selectorIfEEZZNS1_9scan_implILNS1_25lookback_scan_determinismE0ELb1ELb1ES3_N6thrust23THRUST_200600_302600_NS6detail15normal_iteratorINS9_10device_ptrIfEEEESE_f11max_functorIfEfEEDaPvRmT3_T4_T5_mT6_P12ihipStream_tbENKUlT_T0_E_clISt17integral_constantIbLb0EESU_EEDaSP_SQ_EUlSP_E_NS1_11comp_targetILNS1_3genE10ELNS1_11target_archE1200ELNS1_3gpuE4ELNS1_3repE0EEENS1_30default_config_static_selectorELNS0_4arch9wavefront6targetE1EEEvT1_,"axG",@progbits,_ZN7rocprim17ROCPRIM_400000_NS6detail17trampoline_kernelINS0_14default_configENS1_20scan_config_selectorIfEEZZNS1_9scan_implILNS1_25lookback_scan_determinismE0ELb1ELb1ES3_N6thrust23THRUST_200600_302600_NS6detail15normal_iteratorINS9_10device_ptrIfEEEESE_f11max_functorIfEfEEDaPvRmT3_T4_T5_mT6_P12ihipStream_tbENKUlT_T0_E_clISt17integral_constantIbLb0EESU_EEDaSP_SQ_EUlSP_E_NS1_11comp_targetILNS1_3genE10ELNS1_11target_archE1200ELNS1_3gpuE4ELNS1_3repE0EEENS1_30default_config_static_selectorELNS0_4arch9wavefront6targetE1EEEvT1_,comdat
	.protected	_ZN7rocprim17ROCPRIM_400000_NS6detail17trampoline_kernelINS0_14default_configENS1_20scan_config_selectorIfEEZZNS1_9scan_implILNS1_25lookback_scan_determinismE0ELb1ELb1ES3_N6thrust23THRUST_200600_302600_NS6detail15normal_iteratorINS9_10device_ptrIfEEEESE_f11max_functorIfEfEEDaPvRmT3_T4_T5_mT6_P12ihipStream_tbENKUlT_T0_E_clISt17integral_constantIbLb0EESU_EEDaSP_SQ_EUlSP_E_NS1_11comp_targetILNS1_3genE10ELNS1_11target_archE1200ELNS1_3gpuE4ELNS1_3repE0EEENS1_30default_config_static_selectorELNS0_4arch9wavefront6targetE1EEEvT1_ ; -- Begin function _ZN7rocprim17ROCPRIM_400000_NS6detail17trampoline_kernelINS0_14default_configENS1_20scan_config_selectorIfEEZZNS1_9scan_implILNS1_25lookback_scan_determinismE0ELb1ELb1ES3_N6thrust23THRUST_200600_302600_NS6detail15normal_iteratorINS9_10device_ptrIfEEEESE_f11max_functorIfEfEEDaPvRmT3_T4_T5_mT6_P12ihipStream_tbENKUlT_T0_E_clISt17integral_constantIbLb0EESU_EEDaSP_SQ_EUlSP_E_NS1_11comp_targetILNS1_3genE10ELNS1_11target_archE1200ELNS1_3gpuE4ELNS1_3repE0EEENS1_30default_config_static_selectorELNS0_4arch9wavefront6targetE1EEEvT1_
	.globl	_ZN7rocprim17ROCPRIM_400000_NS6detail17trampoline_kernelINS0_14default_configENS1_20scan_config_selectorIfEEZZNS1_9scan_implILNS1_25lookback_scan_determinismE0ELb1ELb1ES3_N6thrust23THRUST_200600_302600_NS6detail15normal_iteratorINS9_10device_ptrIfEEEESE_f11max_functorIfEfEEDaPvRmT3_T4_T5_mT6_P12ihipStream_tbENKUlT_T0_E_clISt17integral_constantIbLb0EESU_EEDaSP_SQ_EUlSP_E_NS1_11comp_targetILNS1_3genE10ELNS1_11target_archE1200ELNS1_3gpuE4ELNS1_3repE0EEENS1_30default_config_static_selectorELNS0_4arch9wavefront6targetE1EEEvT1_
	.p2align	8
	.type	_ZN7rocprim17ROCPRIM_400000_NS6detail17trampoline_kernelINS0_14default_configENS1_20scan_config_selectorIfEEZZNS1_9scan_implILNS1_25lookback_scan_determinismE0ELb1ELb1ES3_N6thrust23THRUST_200600_302600_NS6detail15normal_iteratorINS9_10device_ptrIfEEEESE_f11max_functorIfEfEEDaPvRmT3_T4_T5_mT6_P12ihipStream_tbENKUlT_T0_E_clISt17integral_constantIbLb0EESU_EEDaSP_SQ_EUlSP_E_NS1_11comp_targetILNS1_3genE10ELNS1_11target_archE1200ELNS1_3gpuE4ELNS1_3repE0EEENS1_30default_config_static_selectorELNS0_4arch9wavefront6targetE1EEEvT1_,@function
_ZN7rocprim17ROCPRIM_400000_NS6detail17trampoline_kernelINS0_14default_configENS1_20scan_config_selectorIfEEZZNS1_9scan_implILNS1_25lookback_scan_determinismE0ELb1ELb1ES3_N6thrust23THRUST_200600_302600_NS6detail15normal_iteratorINS9_10device_ptrIfEEEESE_f11max_functorIfEfEEDaPvRmT3_T4_T5_mT6_P12ihipStream_tbENKUlT_T0_E_clISt17integral_constantIbLb0EESU_EEDaSP_SQ_EUlSP_E_NS1_11comp_targetILNS1_3genE10ELNS1_11target_archE1200ELNS1_3gpuE4ELNS1_3repE0EEENS1_30default_config_static_selectorELNS0_4arch9wavefront6targetE1EEEvT1_: ; @_ZN7rocprim17ROCPRIM_400000_NS6detail17trampoline_kernelINS0_14default_configENS1_20scan_config_selectorIfEEZZNS1_9scan_implILNS1_25lookback_scan_determinismE0ELb1ELb1ES3_N6thrust23THRUST_200600_302600_NS6detail15normal_iteratorINS9_10device_ptrIfEEEESE_f11max_functorIfEfEEDaPvRmT3_T4_T5_mT6_P12ihipStream_tbENKUlT_T0_E_clISt17integral_constantIbLb0EESU_EEDaSP_SQ_EUlSP_E_NS1_11comp_targetILNS1_3genE10ELNS1_11target_archE1200ELNS1_3gpuE4ELNS1_3repE0EEENS1_30default_config_static_selectorELNS0_4arch9wavefront6targetE1EEEvT1_
; %bb.0:
	.section	.rodata,"a",@progbits
	.p2align	6, 0x0
	.amdhsa_kernel _ZN7rocprim17ROCPRIM_400000_NS6detail17trampoline_kernelINS0_14default_configENS1_20scan_config_selectorIfEEZZNS1_9scan_implILNS1_25lookback_scan_determinismE0ELb1ELb1ES3_N6thrust23THRUST_200600_302600_NS6detail15normal_iteratorINS9_10device_ptrIfEEEESE_f11max_functorIfEfEEDaPvRmT3_T4_T5_mT6_P12ihipStream_tbENKUlT_T0_E_clISt17integral_constantIbLb0EESU_EEDaSP_SQ_EUlSP_E_NS1_11comp_targetILNS1_3genE10ELNS1_11target_archE1200ELNS1_3gpuE4ELNS1_3repE0EEENS1_30default_config_static_selectorELNS0_4arch9wavefront6targetE1EEEvT1_
		.amdhsa_group_segment_fixed_size 0
		.amdhsa_private_segment_fixed_size 0
		.amdhsa_kernarg_size 96
		.amdhsa_user_sgpr_count 6
		.amdhsa_user_sgpr_private_segment_buffer 1
		.amdhsa_user_sgpr_dispatch_ptr 0
		.amdhsa_user_sgpr_queue_ptr 0
		.amdhsa_user_sgpr_kernarg_segment_ptr 1
		.amdhsa_user_sgpr_dispatch_id 0
		.amdhsa_user_sgpr_flat_scratch_init 0
		.amdhsa_user_sgpr_kernarg_preload_length 0
		.amdhsa_user_sgpr_kernarg_preload_offset 0
		.amdhsa_user_sgpr_private_segment_size 0
		.amdhsa_uses_dynamic_stack 0
		.amdhsa_system_sgpr_private_segment_wavefront_offset 0
		.amdhsa_system_sgpr_workgroup_id_x 1
		.amdhsa_system_sgpr_workgroup_id_y 0
		.amdhsa_system_sgpr_workgroup_id_z 0
		.amdhsa_system_sgpr_workgroup_info 0
		.amdhsa_system_vgpr_workitem_id 0
		.amdhsa_next_free_vgpr 1
		.amdhsa_next_free_sgpr 0
		.amdhsa_accum_offset 4
		.amdhsa_reserve_vcc 0
		.amdhsa_reserve_flat_scratch 0
		.amdhsa_float_round_mode_32 0
		.amdhsa_float_round_mode_16_64 0
		.amdhsa_float_denorm_mode_32 3
		.amdhsa_float_denorm_mode_16_64 3
		.amdhsa_dx10_clamp 1
		.amdhsa_ieee_mode 1
		.amdhsa_fp16_overflow 0
		.amdhsa_tg_split 0
		.amdhsa_exception_fp_ieee_invalid_op 0
		.amdhsa_exception_fp_denorm_src 0
		.amdhsa_exception_fp_ieee_div_zero 0
		.amdhsa_exception_fp_ieee_overflow 0
		.amdhsa_exception_fp_ieee_underflow 0
		.amdhsa_exception_fp_ieee_inexact 0
		.amdhsa_exception_int_div_zero 0
	.end_amdhsa_kernel
	.section	.text._ZN7rocprim17ROCPRIM_400000_NS6detail17trampoline_kernelINS0_14default_configENS1_20scan_config_selectorIfEEZZNS1_9scan_implILNS1_25lookback_scan_determinismE0ELb1ELb1ES3_N6thrust23THRUST_200600_302600_NS6detail15normal_iteratorINS9_10device_ptrIfEEEESE_f11max_functorIfEfEEDaPvRmT3_T4_T5_mT6_P12ihipStream_tbENKUlT_T0_E_clISt17integral_constantIbLb0EESU_EEDaSP_SQ_EUlSP_E_NS1_11comp_targetILNS1_3genE10ELNS1_11target_archE1200ELNS1_3gpuE4ELNS1_3repE0EEENS1_30default_config_static_selectorELNS0_4arch9wavefront6targetE1EEEvT1_,"axG",@progbits,_ZN7rocprim17ROCPRIM_400000_NS6detail17trampoline_kernelINS0_14default_configENS1_20scan_config_selectorIfEEZZNS1_9scan_implILNS1_25lookback_scan_determinismE0ELb1ELb1ES3_N6thrust23THRUST_200600_302600_NS6detail15normal_iteratorINS9_10device_ptrIfEEEESE_f11max_functorIfEfEEDaPvRmT3_T4_T5_mT6_P12ihipStream_tbENKUlT_T0_E_clISt17integral_constantIbLb0EESU_EEDaSP_SQ_EUlSP_E_NS1_11comp_targetILNS1_3genE10ELNS1_11target_archE1200ELNS1_3gpuE4ELNS1_3repE0EEENS1_30default_config_static_selectorELNS0_4arch9wavefront6targetE1EEEvT1_,comdat
.Lfunc_end2021:
	.size	_ZN7rocprim17ROCPRIM_400000_NS6detail17trampoline_kernelINS0_14default_configENS1_20scan_config_selectorIfEEZZNS1_9scan_implILNS1_25lookback_scan_determinismE0ELb1ELb1ES3_N6thrust23THRUST_200600_302600_NS6detail15normal_iteratorINS9_10device_ptrIfEEEESE_f11max_functorIfEfEEDaPvRmT3_T4_T5_mT6_P12ihipStream_tbENKUlT_T0_E_clISt17integral_constantIbLb0EESU_EEDaSP_SQ_EUlSP_E_NS1_11comp_targetILNS1_3genE10ELNS1_11target_archE1200ELNS1_3gpuE4ELNS1_3repE0EEENS1_30default_config_static_selectorELNS0_4arch9wavefront6targetE1EEEvT1_, .Lfunc_end2021-_ZN7rocprim17ROCPRIM_400000_NS6detail17trampoline_kernelINS0_14default_configENS1_20scan_config_selectorIfEEZZNS1_9scan_implILNS1_25lookback_scan_determinismE0ELb1ELb1ES3_N6thrust23THRUST_200600_302600_NS6detail15normal_iteratorINS9_10device_ptrIfEEEESE_f11max_functorIfEfEEDaPvRmT3_T4_T5_mT6_P12ihipStream_tbENKUlT_T0_E_clISt17integral_constantIbLb0EESU_EEDaSP_SQ_EUlSP_E_NS1_11comp_targetILNS1_3genE10ELNS1_11target_archE1200ELNS1_3gpuE4ELNS1_3repE0EEENS1_30default_config_static_selectorELNS0_4arch9wavefront6targetE1EEEvT1_
                                        ; -- End function
	.section	.AMDGPU.csdata,"",@progbits
; Kernel info:
; codeLenInByte = 0
; NumSgprs: 4
; NumVgprs: 0
; NumAgprs: 0
; TotalNumVgprs: 0
; ScratchSize: 0
; MemoryBound: 0
; FloatMode: 240
; IeeeMode: 1
; LDSByteSize: 0 bytes/workgroup (compile time only)
; SGPRBlocks: 0
; VGPRBlocks: 0
; NumSGPRsForWavesPerEU: 4
; NumVGPRsForWavesPerEU: 1
; AccumOffset: 4
; Occupancy: 8
; WaveLimiterHint : 0
; COMPUTE_PGM_RSRC2:SCRATCH_EN: 0
; COMPUTE_PGM_RSRC2:USER_SGPR: 6
; COMPUTE_PGM_RSRC2:TRAP_HANDLER: 0
; COMPUTE_PGM_RSRC2:TGID_X_EN: 1
; COMPUTE_PGM_RSRC2:TGID_Y_EN: 0
; COMPUTE_PGM_RSRC2:TGID_Z_EN: 0
; COMPUTE_PGM_RSRC2:TIDIG_COMP_CNT: 0
; COMPUTE_PGM_RSRC3_GFX90A:ACCUM_OFFSET: 0
; COMPUTE_PGM_RSRC3_GFX90A:TG_SPLIT: 0
	.section	.text._ZN7rocprim17ROCPRIM_400000_NS6detail17trampoline_kernelINS0_14default_configENS1_20scan_config_selectorIfEEZZNS1_9scan_implILNS1_25lookback_scan_determinismE0ELb1ELb1ES3_N6thrust23THRUST_200600_302600_NS6detail15normal_iteratorINS9_10device_ptrIfEEEESE_f11max_functorIfEfEEDaPvRmT3_T4_T5_mT6_P12ihipStream_tbENKUlT_T0_E_clISt17integral_constantIbLb0EESU_EEDaSP_SQ_EUlSP_E_NS1_11comp_targetILNS1_3genE9ELNS1_11target_archE1100ELNS1_3gpuE3ELNS1_3repE0EEENS1_30default_config_static_selectorELNS0_4arch9wavefront6targetE1EEEvT1_,"axG",@progbits,_ZN7rocprim17ROCPRIM_400000_NS6detail17trampoline_kernelINS0_14default_configENS1_20scan_config_selectorIfEEZZNS1_9scan_implILNS1_25lookback_scan_determinismE0ELb1ELb1ES3_N6thrust23THRUST_200600_302600_NS6detail15normal_iteratorINS9_10device_ptrIfEEEESE_f11max_functorIfEfEEDaPvRmT3_T4_T5_mT6_P12ihipStream_tbENKUlT_T0_E_clISt17integral_constantIbLb0EESU_EEDaSP_SQ_EUlSP_E_NS1_11comp_targetILNS1_3genE9ELNS1_11target_archE1100ELNS1_3gpuE3ELNS1_3repE0EEENS1_30default_config_static_selectorELNS0_4arch9wavefront6targetE1EEEvT1_,comdat
	.protected	_ZN7rocprim17ROCPRIM_400000_NS6detail17trampoline_kernelINS0_14default_configENS1_20scan_config_selectorIfEEZZNS1_9scan_implILNS1_25lookback_scan_determinismE0ELb1ELb1ES3_N6thrust23THRUST_200600_302600_NS6detail15normal_iteratorINS9_10device_ptrIfEEEESE_f11max_functorIfEfEEDaPvRmT3_T4_T5_mT6_P12ihipStream_tbENKUlT_T0_E_clISt17integral_constantIbLb0EESU_EEDaSP_SQ_EUlSP_E_NS1_11comp_targetILNS1_3genE9ELNS1_11target_archE1100ELNS1_3gpuE3ELNS1_3repE0EEENS1_30default_config_static_selectorELNS0_4arch9wavefront6targetE1EEEvT1_ ; -- Begin function _ZN7rocprim17ROCPRIM_400000_NS6detail17trampoline_kernelINS0_14default_configENS1_20scan_config_selectorIfEEZZNS1_9scan_implILNS1_25lookback_scan_determinismE0ELb1ELb1ES3_N6thrust23THRUST_200600_302600_NS6detail15normal_iteratorINS9_10device_ptrIfEEEESE_f11max_functorIfEfEEDaPvRmT3_T4_T5_mT6_P12ihipStream_tbENKUlT_T0_E_clISt17integral_constantIbLb0EESU_EEDaSP_SQ_EUlSP_E_NS1_11comp_targetILNS1_3genE9ELNS1_11target_archE1100ELNS1_3gpuE3ELNS1_3repE0EEENS1_30default_config_static_selectorELNS0_4arch9wavefront6targetE1EEEvT1_
	.globl	_ZN7rocprim17ROCPRIM_400000_NS6detail17trampoline_kernelINS0_14default_configENS1_20scan_config_selectorIfEEZZNS1_9scan_implILNS1_25lookback_scan_determinismE0ELb1ELb1ES3_N6thrust23THRUST_200600_302600_NS6detail15normal_iteratorINS9_10device_ptrIfEEEESE_f11max_functorIfEfEEDaPvRmT3_T4_T5_mT6_P12ihipStream_tbENKUlT_T0_E_clISt17integral_constantIbLb0EESU_EEDaSP_SQ_EUlSP_E_NS1_11comp_targetILNS1_3genE9ELNS1_11target_archE1100ELNS1_3gpuE3ELNS1_3repE0EEENS1_30default_config_static_selectorELNS0_4arch9wavefront6targetE1EEEvT1_
	.p2align	8
	.type	_ZN7rocprim17ROCPRIM_400000_NS6detail17trampoline_kernelINS0_14default_configENS1_20scan_config_selectorIfEEZZNS1_9scan_implILNS1_25lookback_scan_determinismE0ELb1ELb1ES3_N6thrust23THRUST_200600_302600_NS6detail15normal_iteratorINS9_10device_ptrIfEEEESE_f11max_functorIfEfEEDaPvRmT3_T4_T5_mT6_P12ihipStream_tbENKUlT_T0_E_clISt17integral_constantIbLb0EESU_EEDaSP_SQ_EUlSP_E_NS1_11comp_targetILNS1_3genE9ELNS1_11target_archE1100ELNS1_3gpuE3ELNS1_3repE0EEENS1_30default_config_static_selectorELNS0_4arch9wavefront6targetE1EEEvT1_,@function
_ZN7rocprim17ROCPRIM_400000_NS6detail17trampoline_kernelINS0_14default_configENS1_20scan_config_selectorIfEEZZNS1_9scan_implILNS1_25lookback_scan_determinismE0ELb1ELb1ES3_N6thrust23THRUST_200600_302600_NS6detail15normal_iteratorINS9_10device_ptrIfEEEESE_f11max_functorIfEfEEDaPvRmT3_T4_T5_mT6_P12ihipStream_tbENKUlT_T0_E_clISt17integral_constantIbLb0EESU_EEDaSP_SQ_EUlSP_E_NS1_11comp_targetILNS1_3genE9ELNS1_11target_archE1100ELNS1_3gpuE3ELNS1_3repE0EEENS1_30default_config_static_selectorELNS0_4arch9wavefront6targetE1EEEvT1_: ; @_ZN7rocprim17ROCPRIM_400000_NS6detail17trampoline_kernelINS0_14default_configENS1_20scan_config_selectorIfEEZZNS1_9scan_implILNS1_25lookback_scan_determinismE0ELb1ELb1ES3_N6thrust23THRUST_200600_302600_NS6detail15normal_iteratorINS9_10device_ptrIfEEEESE_f11max_functorIfEfEEDaPvRmT3_T4_T5_mT6_P12ihipStream_tbENKUlT_T0_E_clISt17integral_constantIbLb0EESU_EEDaSP_SQ_EUlSP_E_NS1_11comp_targetILNS1_3genE9ELNS1_11target_archE1100ELNS1_3gpuE3ELNS1_3repE0EEENS1_30default_config_static_selectorELNS0_4arch9wavefront6targetE1EEEvT1_
; %bb.0:
	.section	.rodata,"a",@progbits
	.p2align	6, 0x0
	.amdhsa_kernel _ZN7rocprim17ROCPRIM_400000_NS6detail17trampoline_kernelINS0_14default_configENS1_20scan_config_selectorIfEEZZNS1_9scan_implILNS1_25lookback_scan_determinismE0ELb1ELb1ES3_N6thrust23THRUST_200600_302600_NS6detail15normal_iteratorINS9_10device_ptrIfEEEESE_f11max_functorIfEfEEDaPvRmT3_T4_T5_mT6_P12ihipStream_tbENKUlT_T0_E_clISt17integral_constantIbLb0EESU_EEDaSP_SQ_EUlSP_E_NS1_11comp_targetILNS1_3genE9ELNS1_11target_archE1100ELNS1_3gpuE3ELNS1_3repE0EEENS1_30default_config_static_selectorELNS0_4arch9wavefront6targetE1EEEvT1_
		.amdhsa_group_segment_fixed_size 0
		.amdhsa_private_segment_fixed_size 0
		.amdhsa_kernarg_size 96
		.amdhsa_user_sgpr_count 6
		.amdhsa_user_sgpr_private_segment_buffer 1
		.amdhsa_user_sgpr_dispatch_ptr 0
		.amdhsa_user_sgpr_queue_ptr 0
		.amdhsa_user_sgpr_kernarg_segment_ptr 1
		.amdhsa_user_sgpr_dispatch_id 0
		.amdhsa_user_sgpr_flat_scratch_init 0
		.amdhsa_user_sgpr_kernarg_preload_length 0
		.amdhsa_user_sgpr_kernarg_preload_offset 0
		.amdhsa_user_sgpr_private_segment_size 0
		.amdhsa_uses_dynamic_stack 0
		.amdhsa_system_sgpr_private_segment_wavefront_offset 0
		.amdhsa_system_sgpr_workgroup_id_x 1
		.amdhsa_system_sgpr_workgroup_id_y 0
		.amdhsa_system_sgpr_workgroup_id_z 0
		.amdhsa_system_sgpr_workgroup_info 0
		.amdhsa_system_vgpr_workitem_id 0
		.amdhsa_next_free_vgpr 1
		.amdhsa_next_free_sgpr 0
		.amdhsa_accum_offset 4
		.amdhsa_reserve_vcc 0
		.amdhsa_reserve_flat_scratch 0
		.amdhsa_float_round_mode_32 0
		.amdhsa_float_round_mode_16_64 0
		.amdhsa_float_denorm_mode_32 3
		.amdhsa_float_denorm_mode_16_64 3
		.amdhsa_dx10_clamp 1
		.amdhsa_ieee_mode 1
		.amdhsa_fp16_overflow 0
		.amdhsa_tg_split 0
		.amdhsa_exception_fp_ieee_invalid_op 0
		.amdhsa_exception_fp_denorm_src 0
		.amdhsa_exception_fp_ieee_div_zero 0
		.amdhsa_exception_fp_ieee_overflow 0
		.amdhsa_exception_fp_ieee_underflow 0
		.amdhsa_exception_fp_ieee_inexact 0
		.amdhsa_exception_int_div_zero 0
	.end_amdhsa_kernel
	.section	.text._ZN7rocprim17ROCPRIM_400000_NS6detail17trampoline_kernelINS0_14default_configENS1_20scan_config_selectorIfEEZZNS1_9scan_implILNS1_25lookback_scan_determinismE0ELb1ELb1ES3_N6thrust23THRUST_200600_302600_NS6detail15normal_iteratorINS9_10device_ptrIfEEEESE_f11max_functorIfEfEEDaPvRmT3_T4_T5_mT6_P12ihipStream_tbENKUlT_T0_E_clISt17integral_constantIbLb0EESU_EEDaSP_SQ_EUlSP_E_NS1_11comp_targetILNS1_3genE9ELNS1_11target_archE1100ELNS1_3gpuE3ELNS1_3repE0EEENS1_30default_config_static_selectorELNS0_4arch9wavefront6targetE1EEEvT1_,"axG",@progbits,_ZN7rocprim17ROCPRIM_400000_NS6detail17trampoline_kernelINS0_14default_configENS1_20scan_config_selectorIfEEZZNS1_9scan_implILNS1_25lookback_scan_determinismE0ELb1ELb1ES3_N6thrust23THRUST_200600_302600_NS6detail15normal_iteratorINS9_10device_ptrIfEEEESE_f11max_functorIfEfEEDaPvRmT3_T4_T5_mT6_P12ihipStream_tbENKUlT_T0_E_clISt17integral_constantIbLb0EESU_EEDaSP_SQ_EUlSP_E_NS1_11comp_targetILNS1_3genE9ELNS1_11target_archE1100ELNS1_3gpuE3ELNS1_3repE0EEENS1_30default_config_static_selectorELNS0_4arch9wavefront6targetE1EEEvT1_,comdat
.Lfunc_end2022:
	.size	_ZN7rocprim17ROCPRIM_400000_NS6detail17trampoline_kernelINS0_14default_configENS1_20scan_config_selectorIfEEZZNS1_9scan_implILNS1_25lookback_scan_determinismE0ELb1ELb1ES3_N6thrust23THRUST_200600_302600_NS6detail15normal_iteratorINS9_10device_ptrIfEEEESE_f11max_functorIfEfEEDaPvRmT3_T4_T5_mT6_P12ihipStream_tbENKUlT_T0_E_clISt17integral_constantIbLb0EESU_EEDaSP_SQ_EUlSP_E_NS1_11comp_targetILNS1_3genE9ELNS1_11target_archE1100ELNS1_3gpuE3ELNS1_3repE0EEENS1_30default_config_static_selectorELNS0_4arch9wavefront6targetE1EEEvT1_, .Lfunc_end2022-_ZN7rocprim17ROCPRIM_400000_NS6detail17trampoline_kernelINS0_14default_configENS1_20scan_config_selectorIfEEZZNS1_9scan_implILNS1_25lookback_scan_determinismE0ELb1ELb1ES3_N6thrust23THRUST_200600_302600_NS6detail15normal_iteratorINS9_10device_ptrIfEEEESE_f11max_functorIfEfEEDaPvRmT3_T4_T5_mT6_P12ihipStream_tbENKUlT_T0_E_clISt17integral_constantIbLb0EESU_EEDaSP_SQ_EUlSP_E_NS1_11comp_targetILNS1_3genE9ELNS1_11target_archE1100ELNS1_3gpuE3ELNS1_3repE0EEENS1_30default_config_static_selectorELNS0_4arch9wavefront6targetE1EEEvT1_
                                        ; -- End function
	.section	.AMDGPU.csdata,"",@progbits
; Kernel info:
; codeLenInByte = 0
; NumSgprs: 4
; NumVgprs: 0
; NumAgprs: 0
; TotalNumVgprs: 0
; ScratchSize: 0
; MemoryBound: 0
; FloatMode: 240
; IeeeMode: 1
; LDSByteSize: 0 bytes/workgroup (compile time only)
; SGPRBlocks: 0
; VGPRBlocks: 0
; NumSGPRsForWavesPerEU: 4
; NumVGPRsForWavesPerEU: 1
; AccumOffset: 4
; Occupancy: 8
; WaveLimiterHint : 0
; COMPUTE_PGM_RSRC2:SCRATCH_EN: 0
; COMPUTE_PGM_RSRC2:USER_SGPR: 6
; COMPUTE_PGM_RSRC2:TRAP_HANDLER: 0
; COMPUTE_PGM_RSRC2:TGID_X_EN: 1
; COMPUTE_PGM_RSRC2:TGID_Y_EN: 0
; COMPUTE_PGM_RSRC2:TGID_Z_EN: 0
; COMPUTE_PGM_RSRC2:TIDIG_COMP_CNT: 0
; COMPUTE_PGM_RSRC3_GFX90A:ACCUM_OFFSET: 0
; COMPUTE_PGM_RSRC3_GFX90A:TG_SPLIT: 0
	.section	.text._ZN7rocprim17ROCPRIM_400000_NS6detail17trampoline_kernelINS0_14default_configENS1_20scan_config_selectorIfEEZZNS1_9scan_implILNS1_25lookback_scan_determinismE0ELb1ELb1ES3_N6thrust23THRUST_200600_302600_NS6detail15normal_iteratorINS9_10device_ptrIfEEEESE_f11max_functorIfEfEEDaPvRmT3_T4_T5_mT6_P12ihipStream_tbENKUlT_T0_E_clISt17integral_constantIbLb0EESU_EEDaSP_SQ_EUlSP_E_NS1_11comp_targetILNS1_3genE8ELNS1_11target_archE1030ELNS1_3gpuE2ELNS1_3repE0EEENS1_30default_config_static_selectorELNS0_4arch9wavefront6targetE1EEEvT1_,"axG",@progbits,_ZN7rocprim17ROCPRIM_400000_NS6detail17trampoline_kernelINS0_14default_configENS1_20scan_config_selectorIfEEZZNS1_9scan_implILNS1_25lookback_scan_determinismE0ELb1ELb1ES3_N6thrust23THRUST_200600_302600_NS6detail15normal_iteratorINS9_10device_ptrIfEEEESE_f11max_functorIfEfEEDaPvRmT3_T4_T5_mT6_P12ihipStream_tbENKUlT_T0_E_clISt17integral_constantIbLb0EESU_EEDaSP_SQ_EUlSP_E_NS1_11comp_targetILNS1_3genE8ELNS1_11target_archE1030ELNS1_3gpuE2ELNS1_3repE0EEENS1_30default_config_static_selectorELNS0_4arch9wavefront6targetE1EEEvT1_,comdat
	.protected	_ZN7rocprim17ROCPRIM_400000_NS6detail17trampoline_kernelINS0_14default_configENS1_20scan_config_selectorIfEEZZNS1_9scan_implILNS1_25lookback_scan_determinismE0ELb1ELb1ES3_N6thrust23THRUST_200600_302600_NS6detail15normal_iteratorINS9_10device_ptrIfEEEESE_f11max_functorIfEfEEDaPvRmT3_T4_T5_mT6_P12ihipStream_tbENKUlT_T0_E_clISt17integral_constantIbLb0EESU_EEDaSP_SQ_EUlSP_E_NS1_11comp_targetILNS1_3genE8ELNS1_11target_archE1030ELNS1_3gpuE2ELNS1_3repE0EEENS1_30default_config_static_selectorELNS0_4arch9wavefront6targetE1EEEvT1_ ; -- Begin function _ZN7rocprim17ROCPRIM_400000_NS6detail17trampoline_kernelINS0_14default_configENS1_20scan_config_selectorIfEEZZNS1_9scan_implILNS1_25lookback_scan_determinismE0ELb1ELb1ES3_N6thrust23THRUST_200600_302600_NS6detail15normal_iteratorINS9_10device_ptrIfEEEESE_f11max_functorIfEfEEDaPvRmT3_T4_T5_mT6_P12ihipStream_tbENKUlT_T0_E_clISt17integral_constantIbLb0EESU_EEDaSP_SQ_EUlSP_E_NS1_11comp_targetILNS1_3genE8ELNS1_11target_archE1030ELNS1_3gpuE2ELNS1_3repE0EEENS1_30default_config_static_selectorELNS0_4arch9wavefront6targetE1EEEvT1_
	.globl	_ZN7rocprim17ROCPRIM_400000_NS6detail17trampoline_kernelINS0_14default_configENS1_20scan_config_selectorIfEEZZNS1_9scan_implILNS1_25lookback_scan_determinismE0ELb1ELb1ES3_N6thrust23THRUST_200600_302600_NS6detail15normal_iteratorINS9_10device_ptrIfEEEESE_f11max_functorIfEfEEDaPvRmT3_T4_T5_mT6_P12ihipStream_tbENKUlT_T0_E_clISt17integral_constantIbLb0EESU_EEDaSP_SQ_EUlSP_E_NS1_11comp_targetILNS1_3genE8ELNS1_11target_archE1030ELNS1_3gpuE2ELNS1_3repE0EEENS1_30default_config_static_selectorELNS0_4arch9wavefront6targetE1EEEvT1_
	.p2align	8
	.type	_ZN7rocprim17ROCPRIM_400000_NS6detail17trampoline_kernelINS0_14default_configENS1_20scan_config_selectorIfEEZZNS1_9scan_implILNS1_25lookback_scan_determinismE0ELb1ELb1ES3_N6thrust23THRUST_200600_302600_NS6detail15normal_iteratorINS9_10device_ptrIfEEEESE_f11max_functorIfEfEEDaPvRmT3_T4_T5_mT6_P12ihipStream_tbENKUlT_T0_E_clISt17integral_constantIbLb0EESU_EEDaSP_SQ_EUlSP_E_NS1_11comp_targetILNS1_3genE8ELNS1_11target_archE1030ELNS1_3gpuE2ELNS1_3repE0EEENS1_30default_config_static_selectorELNS0_4arch9wavefront6targetE1EEEvT1_,@function
_ZN7rocprim17ROCPRIM_400000_NS6detail17trampoline_kernelINS0_14default_configENS1_20scan_config_selectorIfEEZZNS1_9scan_implILNS1_25lookback_scan_determinismE0ELb1ELb1ES3_N6thrust23THRUST_200600_302600_NS6detail15normal_iteratorINS9_10device_ptrIfEEEESE_f11max_functorIfEfEEDaPvRmT3_T4_T5_mT6_P12ihipStream_tbENKUlT_T0_E_clISt17integral_constantIbLb0EESU_EEDaSP_SQ_EUlSP_E_NS1_11comp_targetILNS1_3genE8ELNS1_11target_archE1030ELNS1_3gpuE2ELNS1_3repE0EEENS1_30default_config_static_selectorELNS0_4arch9wavefront6targetE1EEEvT1_: ; @_ZN7rocprim17ROCPRIM_400000_NS6detail17trampoline_kernelINS0_14default_configENS1_20scan_config_selectorIfEEZZNS1_9scan_implILNS1_25lookback_scan_determinismE0ELb1ELb1ES3_N6thrust23THRUST_200600_302600_NS6detail15normal_iteratorINS9_10device_ptrIfEEEESE_f11max_functorIfEfEEDaPvRmT3_T4_T5_mT6_P12ihipStream_tbENKUlT_T0_E_clISt17integral_constantIbLb0EESU_EEDaSP_SQ_EUlSP_E_NS1_11comp_targetILNS1_3genE8ELNS1_11target_archE1030ELNS1_3gpuE2ELNS1_3repE0EEENS1_30default_config_static_selectorELNS0_4arch9wavefront6targetE1EEEvT1_
; %bb.0:
	.section	.rodata,"a",@progbits
	.p2align	6, 0x0
	.amdhsa_kernel _ZN7rocprim17ROCPRIM_400000_NS6detail17trampoline_kernelINS0_14default_configENS1_20scan_config_selectorIfEEZZNS1_9scan_implILNS1_25lookback_scan_determinismE0ELb1ELb1ES3_N6thrust23THRUST_200600_302600_NS6detail15normal_iteratorINS9_10device_ptrIfEEEESE_f11max_functorIfEfEEDaPvRmT3_T4_T5_mT6_P12ihipStream_tbENKUlT_T0_E_clISt17integral_constantIbLb0EESU_EEDaSP_SQ_EUlSP_E_NS1_11comp_targetILNS1_3genE8ELNS1_11target_archE1030ELNS1_3gpuE2ELNS1_3repE0EEENS1_30default_config_static_selectorELNS0_4arch9wavefront6targetE1EEEvT1_
		.amdhsa_group_segment_fixed_size 0
		.amdhsa_private_segment_fixed_size 0
		.amdhsa_kernarg_size 96
		.amdhsa_user_sgpr_count 6
		.amdhsa_user_sgpr_private_segment_buffer 1
		.amdhsa_user_sgpr_dispatch_ptr 0
		.amdhsa_user_sgpr_queue_ptr 0
		.amdhsa_user_sgpr_kernarg_segment_ptr 1
		.amdhsa_user_sgpr_dispatch_id 0
		.amdhsa_user_sgpr_flat_scratch_init 0
		.amdhsa_user_sgpr_kernarg_preload_length 0
		.amdhsa_user_sgpr_kernarg_preload_offset 0
		.amdhsa_user_sgpr_private_segment_size 0
		.amdhsa_uses_dynamic_stack 0
		.amdhsa_system_sgpr_private_segment_wavefront_offset 0
		.amdhsa_system_sgpr_workgroup_id_x 1
		.amdhsa_system_sgpr_workgroup_id_y 0
		.amdhsa_system_sgpr_workgroup_id_z 0
		.amdhsa_system_sgpr_workgroup_info 0
		.amdhsa_system_vgpr_workitem_id 0
		.amdhsa_next_free_vgpr 1
		.amdhsa_next_free_sgpr 0
		.amdhsa_accum_offset 4
		.amdhsa_reserve_vcc 0
		.amdhsa_reserve_flat_scratch 0
		.amdhsa_float_round_mode_32 0
		.amdhsa_float_round_mode_16_64 0
		.amdhsa_float_denorm_mode_32 3
		.amdhsa_float_denorm_mode_16_64 3
		.amdhsa_dx10_clamp 1
		.amdhsa_ieee_mode 1
		.amdhsa_fp16_overflow 0
		.amdhsa_tg_split 0
		.amdhsa_exception_fp_ieee_invalid_op 0
		.amdhsa_exception_fp_denorm_src 0
		.amdhsa_exception_fp_ieee_div_zero 0
		.amdhsa_exception_fp_ieee_overflow 0
		.amdhsa_exception_fp_ieee_underflow 0
		.amdhsa_exception_fp_ieee_inexact 0
		.amdhsa_exception_int_div_zero 0
	.end_amdhsa_kernel
	.section	.text._ZN7rocprim17ROCPRIM_400000_NS6detail17trampoline_kernelINS0_14default_configENS1_20scan_config_selectorIfEEZZNS1_9scan_implILNS1_25lookback_scan_determinismE0ELb1ELb1ES3_N6thrust23THRUST_200600_302600_NS6detail15normal_iteratorINS9_10device_ptrIfEEEESE_f11max_functorIfEfEEDaPvRmT3_T4_T5_mT6_P12ihipStream_tbENKUlT_T0_E_clISt17integral_constantIbLb0EESU_EEDaSP_SQ_EUlSP_E_NS1_11comp_targetILNS1_3genE8ELNS1_11target_archE1030ELNS1_3gpuE2ELNS1_3repE0EEENS1_30default_config_static_selectorELNS0_4arch9wavefront6targetE1EEEvT1_,"axG",@progbits,_ZN7rocprim17ROCPRIM_400000_NS6detail17trampoline_kernelINS0_14default_configENS1_20scan_config_selectorIfEEZZNS1_9scan_implILNS1_25lookback_scan_determinismE0ELb1ELb1ES3_N6thrust23THRUST_200600_302600_NS6detail15normal_iteratorINS9_10device_ptrIfEEEESE_f11max_functorIfEfEEDaPvRmT3_T4_T5_mT6_P12ihipStream_tbENKUlT_T0_E_clISt17integral_constantIbLb0EESU_EEDaSP_SQ_EUlSP_E_NS1_11comp_targetILNS1_3genE8ELNS1_11target_archE1030ELNS1_3gpuE2ELNS1_3repE0EEENS1_30default_config_static_selectorELNS0_4arch9wavefront6targetE1EEEvT1_,comdat
.Lfunc_end2023:
	.size	_ZN7rocprim17ROCPRIM_400000_NS6detail17trampoline_kernelINS0_14default_configENS1_20scan_config_selectorIfEEZZNS1_9scan_implILNS1_25lookback_scan_determinismE0ELb1ELb1ES3_N6thrust23THRUST_200600_302600_NS6detail15normal_iteratorINS9_10device_ptrIfEEEESE_f11max_functorIfEfEEDaPvRmT3_T4_T5_mT6_P12ihipStream_tbENKUlT_T0_E_clISt17integral_constantIbLb0EESU_EEDaSP_SQ_EUlSP_E_NS1_11comp_targetILNS1_3genE8ELNS1_11target_archE1030ELNS1_3gpuE2ELNS1_3repE0EEENS1_30default_config_static_selectorELNS0_4arch9wavefront6targetE1EEEvT1_, .Lfunc_end2023-_ZN7rocprim17ROCPRIM_400000_NS6detail17trampoline_kernelINS0_14default_configENS1_20scan_config_selectorIfEEZZNS1_9scan_implILNS1_25lookback_scan_determinismE0ELb1ELb1ES3_N6thrust23THRUST_200600_302600_NS6detail15normal_iteratorINS9_10device_ptrIfEEEESE_f11max_functorIfEfEEDaPvRmT3_T4_T5_mT6_P12ihipStream_tbENKUlT_T0_E_clISt17integral_constantIbLb0EESU_EEDaSP_SQ_EUlSP_E_NS1_11comp_targetILNS1_3genE8ELNS1_11target_archE1030ELNS1_3gpuE2ELNS1_3repE0EEENS1_30default_config_static_selectorELNS0_4arch9wavefront6targetE1EEEvT1_
                                        ; -- End function
	.section	.AMDGPU.csdata,"",@progbits
; Kernel info:
; codeLenInByte = 0
; NumSgprs: 4
; NumVgprs: 0
; NumAgprs: 0
; TotalNumVgprs: 0
; ScratchSize: 0
; MemoryBound: 0
; FloatMode: 240
; IeeeMode: 1
; LDSByteSize: 0 bytes/workgroup (compile time only)
; SGPRBlocks: 0
; VGPRBlocks: 0
; NumSGPRsForWavesPerEU: 4
; NumVGPRsForWavesPerEU: 1
; AccumOffset: 4
; Occupancy: 8
; WaveLimiterHint : 0
; COMPUTE_PGM_RSRC2:SCRATCH_EN: 0
; COMPUTE_PGM_RSRC2:USER_SGPR: 6
; COMPUTE_PGM_RSRC2:TRAP_HANDLER: 0
; COMPUTE_PGM_RSRC2:TGID_X_EN: 1
; COMPUTE_PGM_RSRC2:TGID_Y_EN: 0
; COMPUTE_PGM_RSRC2:TGID_Z_EN: 0
; COMPUTE_PGM_RSRC2:TIDIG_COMP_CNT: 0
; COMPUTE_PGM_RSRC3_GFX90A:ACCUM_OFFSET: 0
; COMPUTE_PGM_RSRC3_GFX90A:TG_SPLIT: 0
	.section	.text._ZN7rocprim17ROCPRIM_400000_NS6detail17trampoline_kernelINS0_14default_configENS1_20scan_config_selectorIfEEZZNS1_9scan_implILNS1_25lookback_scan_determinismE0ELb1ELb1ES3_N6thrust23THRUST_200600_302600_NS6detail15normal_iteratorINS9_10device_ptrIfEEEESE_f11max_functorIfEfEEDaPvRmT3_T4_T5_mT6_P12ihipStream_tbENKUlT_T0_E_clISt17integral_constantIbLb0EESU_EEDaSP_SQ_EUlSP_E0_NS1_11comp_targetILNS1_3genE0ELNS1_11target_archE4294967295ELNS1_3gpuE0ELNS1_3repE0EEENS1_30default_config_static_selectorELNS0_4arch9wavefront6targetE1EEEvT1_,"axG",@progbits,_ZN7rocprim17ROCPRIM_400000_NS6detail17trampoline_kernelINS0_14default_configENS1_20scan_config_selectorIfEEZZNS1_9scan_implILNS1_25lookback_scan_determinismE0ELb1ELb1ES3_N6thrust23THRUST_200600_302600_NS6detail15normal_iteratorINS9_10device_ptrIfEEEESE_f11max_functorIfEfEEDaPvRmT3_T4_T5_mT6_P12ihipStream_tbENKUlT_T0_E_clISt17integral_constantIbLb0EESU_EEDaSP_SQ_EUlSP_E0_NS1_11comp_targetILNS1_3genE0ELNS1_11target_archE4294967295ELNS1_3gpuE0ELNS1_3repE0EEENS1_30default_config_static_selectorELNS0_4arch9wavefront6targetE1EEEvT1_,comdat
	.protected	_ZN7rocprim17ROCPRIM_400000_NS6detail17trampoline_kernelINS0_14default_configENS1_20scan_config_selectorIfEEZZNS1_9scan_implILNS1_25lookback_scan_determinismE0ELb1ELb1ES3_N6thrust23THRUST_200600_302600_NS6detail15normal_iteratorINS9_10device_ptrIfEEEESE_f11max_functorIfEfEEDaPvRmT3_T4_T5_mT6_P12ihipStream_tbENKUlT_T0_E_clISt17integral_constantIbLb0EESU_EEDaSP_SQ_EUlSP_E0_NS1_11comp_targetILNS1_3genE0ELNS1_11target_archE4294967295ELNS1_3gpuE0ELNS1_3repE0EEENS1_30default_config_static_selectorELNS0_4arch9wavefront6targetE1EEEvT1_ ; -- Begin function _ZN7rocprim17ROCPRIM_400000_NS6detail17trampoline_kernelINS0_14default_configENS1_20scan_config_selectorIfEEZZNS1_9scan_implILNS1_25lookback_scan_determinismE0ELb1ELb1ES3_N6thrust23THRUST_200600_302600_NS6detail15normal_iteratorINS9_10device_ptrIfEEEESE_f11max_functorIfEfEEDaPvRmT3_T4_T5_mT6_P12ihipStream_tbENKUlT_T0_E_clISt17integral_constantIbLb0EESU_EEDaSP_SQ_EUlSP_E0_NS1_11comp_targetILNS1_3genE0ELNS1_11target_archE4294967295ELNS1_3gpuE0ELNS1_3repE0EEENS1_30default_config_static_selectorELNS0_4arch9wavefront6targetE1EEEvT1_
	.globl	_ZN7rocprim17ROCPRIM_400000_NS6detail17trampoline_kernelINS0_14default_configENS1_20scan_config_selectorIfEEZZNS1_9scan_implILNS1_25lookback_scan_determinismE0ELb1ELb1ES3_N6thrust23THRUST_200600_302600_NS6detail15normal_iteratorINS9_10device_ptrIfEEEESE_f11max_functorIfEfEEDaPvRmT3_T4_T5_mT6_P12ihipStream_tbENKUlT_T0_E_clISt17integral_constantIbLb0EESU_EEDaSP_SQ_EUlSP_E0_NS1_11comp_targetILNS1_3genE0ELNS1_11target_archE4294967295ELNS1_3gpuE0ELNS1_3repE0EEENS1_30default_config_static_selectorELNS0_4arch9wavefront6targetE1EEEvT1_
	.p2align	8
	.type	_ZN7rocprim17ROCPRIM_400000_NS6detail17trampoline_kernelINS0_14default_configENS1_20scan_config_selectorIfEEZZNS1_9scan_implILNS1_25lookback_scan_determinismE0ELb1ELb1ES3_N6thrust23THRUST_200600_302600_NS6detail15normal_iteratorINS9_10device_ptrIfEEEESE_f11max_functorIfEfEEDaPvRmT3_T4_T5_mT6_P12ihipStream_tbENKUlT_T0_E_clISt17integral_constantIbLb0EESU_EEDaSP_SQ_EUlSP_E0_NS1_11comp_targetILNS1_3genE0ELNS1_11target_archE4294967295ELNS1_3gpuE0ELNS1_3repE0EEENS1_30default_config_static_selectorELNS0_4arch9wavefront6targetE1EEEvT1_,@function
_ZN7rocprim17ROCPRIM_400000_NS6detail17trampoline_kernelINS0_14default_configENS1_20scan_config_selectorIfEEZZNS1_9scan_implILNS1_25lookback_scan_determinismE0ELb1ELb1ES3_N6thrust23THRUST_200600_302600_NS6detail15normal_iteratorINS9_10device_ptrIfEEEESE_f11max_functorIfEfEEDaPvRmT3_T4_T5_mT6_P12ihipStream_tbENKUlT_T0_E_clISt17integral_constantIbLb0EESU_EEDaSP_SQ_EUlSP_E0_NS1_11comp_targetILNS1_3genE0ELNS1_11target_archE4294967295ELNS1_3gpuE0ELNS1_3repE0EEENS1_30default_config_static_selectorELNS0_4arch9wavefront6targetE1EEEvT1_: ; @_ZN7rocprim17ROCPRIM_400000_NS6detail17trampoline_kernelINS0_14default_configENS1_20scan_config_selectorIfEEZZNS1_9scan_implILNS1_25lookback_scan_determinismE0ELb1ELb1ES3_N6thrust23THRUST_200600_302600_NS6detail15normal_iteratorINS9_10device_ptrIfEEEESE_f11max_functorIfEfEEDaPvRmT3_T4_T5_mT6_P12ihipStream_tbENKUlT_T0_E_clISt17integral_constantIbLb0EESU_EEDaSP_SQ_EUlSP_E0_NS1_11comp_targetILNS1_3genE0ELNS1_11target_archE4294967295ELNS1_3gpuE0ELNS1_3repE0EEENS1_30default_config_static_selectorELNS0_4arch9wavefront6targetE1EEEvT1_
; %bb.0:
	.section	.rodata,"a",@progbits
	.p2align	6, 0x0
	.amdhsa_kernel _ZN7rocprim17ROCPRIM_400000_NS6detail17trampoline_kernelINS0_14default_configENS1_20scan_config_selectorIfEEZZNS1_9scan_implILNS1_25lookback_scan_determinismE0ELb1ELb1ES3_N6thrust23THRUST_200600_302600_NS6detail15normal_iteratorINS9_10device_ptrIfEEEESE_f11max_functorIfEfEEDaPvRmT3_T4_T5_mT6_P12ihipStream_tbENKUlT_T0_E_clISt17integral_constantIbLb0EESU_EEDaSP_SQ_EUlSP_E0_NS1_11comp_targetILNS1_3genE0ELNS1_11target_archE4294967295ELNS1_3gpuE0ELNS1_3repE0EEENS1_30default_config_static_selectorELNS0_4arch9wavefront6targetE1EEEvT1_
		.amdhsa_group_segment_fixed_size 0
		.amdhsa_private_segment_fixed_size 0
		.amdhsa_kernarg_size 32
		.amdhsa_user_sgpr_count 6
		.amdhsa_user_sgpr_private_segment_buffer 1
		.amdhsa_user_sgpr_dispatch_ptr 0
		.amdhsa_user_sgpr_queue_ptr 0
		.amdhsa_user_sgpr_kernarg_segment_ptr 1
		.amdhsa_user_sgpr_dispatch_id 0
		.amdhsa_user_sgpr_flat_scratch_init 0
		.amdhsa_user_sgpr_kernarg_preload_length 0
		.amdhsa_user_sgpr_kernarg_preload_offset 0
		.amdhsa_user_sgpr_private_segment_size 0
		.amdhsa_uses_dynamic_stack 0
		.amdhsa_system_sgpr_private_segment_wavefront_offset 0
		.amdhsa_system_sgpr_workgroup_id_x 1
		.amdhsa_system_sgpr_workgroup_id_y 0
		.amdhsa_system_sgpr_workgroup_id_z 0
		.amdhsa_system_sgpr_workgroup_info 0
		.amdhsa_system_vgpr_workitem_id 0
		.amdhsa_next_free_vgpr 1
		.amdhsa_next_free_sgpr 0
		.amdhsa_accum_offset 4
		.amdhsa_reserve_vcc 0
		.amdhsa_reserve_flat_scratch 0
		.amdhsa_float_round_mode_32 0
		.amdhsa_float_round_mode_16_64 0
		.amdhsa_float_denorm_mode_32 3
		.amdhsa_float_denorm_mode_16_64 3
		.amdhsa_dx10_clamp 1
		.amdhsa_ieee_mode 1
		.amdhsa_fp16_overflow 0
		.amdhsa_tg_split 0
		.amdhsa_exception_fp_ieee_invalid_op 0
		.amdhsa_exception_fp_denorm_src 0
		.amdhsa_exception_fp_ieee_div_zero 0
		.amdhsa_exception_fp_ieee_overflow 0
		.amdhsa_exception_fp_ieee_underflow 0
		.amdhsa_exception_fp_ieee_inexact 0
		.amdhsa_exception_int_div_zero 0
	.end_amdhsa_kernel
	.section	.text._ZN7rocprim17ROCPRIM_400000_NS6detail17trampoline_kernelINS0_14default_configENS1_20scan_config_selectorIfEEZZNS1_9scan_implILNS1_25lookback_scan_determinismE0ELb1ELb1ES3_N6thrust23THRUST_200600_302600_NS6detail15normal_iteratorINS9_10device_ptrIfEEEESE_f11max_functorIfEfEEDaPvRmT3_T4_T5_mT6_P12ihipStream_tbENKUlT_T0_E_clISt17integral_constantIbLb0EESU_EEDaSP_SQ_EUlSP_E0_NS1_11comp_targetILNS1_3genE0ELNS1_11target_archE4294967295ELNS1_3gpuE0ELNS1_3repE0EEENS1_30default_config_static_selectorELNS0_4arch9wavefront6targetE1EEEvT1_,"axG",@progbits,_ZN7rocprim17ROCPRIM_400000_NS6detail17trampoline_kernelINS0_14default_configENS1_20scan_config_selectorIfEEZZNS1_9scan_implILNS1_25lookback_scan_determinismE0ELb1ELb1ES3_N6thrust23THRUST_200600_302600_NS6detail15normal_iteratorINS9_10device_ptrIfEEEESE_f11max_functorIfEfEEDaPvRmT3_T4_T5_mT6_P12ihipStream_tbENKUlT_T0_E_clISt17integral_constantIbLb0EESU_EEDaSP_SQ_EUlSP_E0_NS1_11comp_targetILNS1_3genE0ELNS1_11target_archE4294967295ELNS1_3gpuE0ELNS1_3repE0EEENS1_30default_config_static_selectorELNS0_4arch9wavefront6targetE1EEEvT1_,comdat
.Lfunc_end2024:
	.size	_ZN7rocprim17ROCPRIM_400000_NS6detail17trampoline_kernelINS0_14default_configENS1_20scan_config_selectorIfEEZZNS1_9scan_implILNS1_25lookback_scan_determinismE0ELb1ELb1ES3_N6thrust23THRUST_200600_302600_NS6detail15normal_iteratorINS9_10device_ptrIfEEEESE_f11max_functorIfEfEEDaPvRmT3_T4_T5_mT6_P12ihipStream_tbENKUlT_T0_E_clISt17integral_constantIbLb0EESU_EEDaSP_SQ_EUlSP_E0_NS1_11comp_targetILNS1_3genE0ELNS1_11target_archE4294967295ELNS1_3gpuE0ELNS1_3repE0EEENS1_30default_config_static_selectorELNS0_4arch9wavefront6targetE1EEEvT1_, .Lfunc_end2024-_ZN7rocprim17ROCPRIM_400000_NS6detail17trampoline_kernelINS0_14default_configENS1_20scan_config_selectorIfEEZZNS1_9scan_implILNS1_25lookback_scan_determinismE0ELb1ELb1ES3_N6thrust23THRUST_200600_302600_NS6detail15normal_iteratorINS9_10device_ptrIfEEEESE_f11max_functorIfEfEEDaPvRmT3_T4_T5_mT6_P12ihipStream_tbENKUlT_T0_E_clISt17integral_constantIbLb0EESU_EEDaSP_SQ_EUlSP_E0_NS1_11comp_targetILNS1_3genE0ELNS1_11target_archE4294967295ELNS1_3gpuE0ELNS1_3repE0EEENS1_30default_config_static_selectorELNS0_4arch9wavefront6targetE1EEEvT1_
                                        ; -- End function
	.section	.AMDGPU.csdata,"",@progbits
; Kernel info:
; codeLenInByte = 0
; NumSgprs: 4
; NumVgprs: 0
; NumAgprs: 0
; TotalNumVgprs: 0
; ScratchSize: 0
; MemoryBound: 0
; FloatMode: 240
; IeeeMode: 1
; LDSByteSize: 0 bytes/workgroup (compile time only)
; SGPRBlocks: 0
; VGPRBlocks: 0
; NumSGPRsForWavesPerEU: 4
; NumVGPRsForWavesPerEU: 1
; AccumOffset: 4
; Occupancy: 8
; WaveLimiterHint : 0
; COMPUTE_PGM_RSRC2:SCRATCH_EN: 0
; COMPUTE_PGM_RSRC2:USER_SGPR: 6
; COMPUTE_PGM_RSRC2:TRAP_HANDLER: 0
; COMPUTE_PGM_RSRC2:TGID_X_EN: 1
; COMPUTE_PGM_RSRC2:TGID_Y_EN: 0
; COMPUTE_PGM_RSRC2:TGID_Z_EN: 0
; COMPUTE_PGM_RSRC2:TIDIG_COMP_CNT: 0
; COMPUTE_PGM_RSRC3_GFX90A:ACCUM_OFFSET: 0
; COMPUTE_PGM_RSRC3_GFX90A:TG_SPLIT: 0
	.section	.text._ZN7rocprim17ROCPRIM_400000_NS6detail17trampoline_kernelINS0_14default_configENS1_20scan_config_selectorIfEEZZNS1_9scan_implILNS1_25lookback_scan_determinismE0ELb1ELb1ES3_N6thrust23THRUST_200600_302600_NS6detail15normal_iteratorINS9_10device_ptrIfEEEESE_f11max_functorIfEfEEDaPvRmT3_T4_T5_mT6_P12ihipStream_tbENKUlT_T0_E_clISt17integral_constantIbLb0EESU_EEDaSP_SQ_EUlSP_E0_NS1_11comp_targetILNS1_3genE5ELNS1_11target_archE942ELNS1_3gpuE9ELNS1_3repE0EEENS1_30default_config_static_selectorELNS0_4arch9wavefront6targetE1EEEvT1_,"axG",@progbits,_ZN7rocprim17ROCPRIM_400000_NS6detail17trampoline_kernelINS0_14default_configENS1_20scan_config_selectorIfEEZZNS1_9scan_implILNS1_25lookback_scan_determinismE0ELb1ELb1ES3_N6thrust23THRUST_200600_302600_NS6detail15normal_iteratorINS9_10device_ptrIfEEEESE_f11max_functorIfEfEEDaPvRmT3_T4_T5_mT6_P12ihipStream_tbENKUlT_T0_E_clISt17integral_constantIbLb0EESU_EEDaSP_SQ_EUlSP_E0_NS1_11comp_targetILNS1_3genE5ELNS1_11target_archE942ELNS1_3gpuE9ELNS1_3repE0EEENS1_30default_config_static_selectorELNS0_4arch9wavefront6targetE1EEEvT1_,comdat
	.protected	_ZN7rocprim17ROCPRIM_400000_NS6detail17trampoline_kernelINS0_14default_configENS1_20scan_config_selectorIfEEZZNS1_9scan_implILNS1_25lookback_scan_determinismE0ELb1ELb1ES3_N6thrust23THRUST_200600_302600_NS6detail15normal_iteratorINS9_10device_ptrIfEEEESE_f11max_functorIfEfEEDaPvRmT3_T4_T5_mT6_P12ihipStream_tbENKUlT_T0_E_clISt17integral_constantIbLb0EESU_EEDaSP_SQ_EUlSP_E0_NS1_11comp_targetILNS1_3genE5ELNS1_11target_archE942ELNS1_3gpuE9ELNS1_3repE0EEENS1_30default_config_static_selectorELNS0_4arch9wavefront6targetE1EEEvT1_ ; -- Begin function _ZN7rocprim17ROCPRIM_400000_NS6detail17trampoline_kernelINS0_14default_configENS1_20scan_config_selectorIfEEZZNS1_9scan_implILNS1_25lookback_scan_determinismE0ELb1ELb1ES3_N6thrust23THRUST_200600_302600_NS6detail15normal_iteratorINS9_10device_ptrIfEEEESE_f11max_functorIfEfEEDaPvRmT3_T4_T5_mT6_P12ihipStream_tbENKUlT_T0_E_clISt17integral_constantIbLb0EESU_EEDaSP_SQ_EUlSP_E0_NS1_11comp_targetILNS1_3genE5ELNS1_11target_archE942ELNS1_3gpuE9ELNS1_3repE0EEENS1_30default_config_static_selectorELNS0_4arch9wavefront6targetE1EEEvT1_
	.globl	_ZN7rocprim17ROCPRIM_400000_NS6detail17trampoline_kernelINS0_14default_configENS1_20scan_config_selectorIfEEZZNS1_9scan_implILNS1_25lookback_scan_determinismE0ELb1ELb1ES3_N6thrust23THRUST_200600_302600_NS6detail15normal_iteratorINS9_10device_ptrIfEEEESE_f11max_functorIfEfEEDaPvRmT3_T4_T5_mT6_P12ihipStream_tbENKUlT_T0_E_clISt17integral_constantIbLb0EESU_EEDaSP_SQ_EUlSP_E0_NS1_11comp_targetILNS1_3genE5ELNS1_11target_archE942ELNS1_3gpuE9ELNS1_3repE0EEENS1_30default_config_static_selectorELNS0_4arch9wavefront6targetE1EEEvT1_
	.p2align	8
	.type	_ZN7rocprim17ROCPRIM_400000_NS6detail17trampoline_kernelINS0_14default_configENS1_20scan_config_selectorIfEEZZNS1_9scan_implILNS1_25lookback_scan_determinismE0ELb1ELb1ES3_N6thrust23THRUST_200600_302600_NS6detail15normal_iteratorINS9_10device_ptrIfEEEESE_f11max_functorIfEfEEDaPvRmT3_T4_T5_mT6_P12ihipStream_tbENKUlT_T0_E_clISt17integral_constantIbLb0EESU_EEDaSP_SQ_EUlSP_E0_NS1_11comp_targetILNS1_3genE5ELNS1_11target_archE942ELNS1_3gpuE9ELNS1_3repE0EEENS1_30default_config_static_selectorELNS0_4arch9wavefront6targetE1EEEvT1_,@function
_ZN7rocprim17ROCPRIM_400000_NS6detail17trampoline_kernelINS0_14default_configENS1_20scan_config_selectorIfEEZZNS1_9scan_implILNS1_25lookback_scan_determinismE0ELb1ELb1ES3_N6thrust23THRUST_200600_302600_NS6detail15normal_iteratorINS9_10device_ptrIfEEEESE_f11max_functorIfEfEEDaPvRmT3_T4_T5_mT6_P12ihipStream_tbENKUlT_T0_E_clISt17integral_constantIbLb0EESU_EEDaSP_SQ_EUlSP_E0_NS1_11comp_targetILNS1_3genE5ELNS1_11target_archE942ELNS1_3gpuE9ELNS1_3repE0EEENS1_30default_config_static_selectorELNS0_4arch9wavefront6targetE1EEEvT1_: ; @_ZN7rocprim17ROCPRIM_400000_NS6detail17trampoline_kernelINS0_14default_configENS1_20scan_config_selectorIfEEZZNS1_9scan_implILNS1_25lookback_scan_determinismE0ELb1ELb1ES3_N6thrust23THRUST_200600_302600_NS6detail15normal_iteratorINS9_10device_ptrIfEEEESE_f11max_functorIfEfEEDaPvRmT3_T4_T5_mT6_P12ihipStream_tbENKUlT_T0_E_clISt17integral_constantIbLb0EESU_EEDaSP_SQ_EUlSP_E0_NS1_11comp_targetILNS1_3genE5ELNS1_11target_archE942ELNS1_3gpuE9ELNS1_3repE0EEENS1_30default_config_static_selectorELNS0_4arch9wavefront6targetE1EEEvT1_
; %bb.0:
	.section	.rodata,"a",@progbits
	.p2align	6, 0x0
	.amdhsa_kernel _ZN7rocprim17ROCPRIM_400000_NS6detail17trampoline_kernelINS0_14default_configENS1_20scan_config_selectorIfEEZZNS1_9scan_implILNS1_25lookback_scan_determinismE0ELb1ELb1ES3_N6thrust23THRUST_200600_302600_NS6detail15normal_iteratorINS9_10device_ptrIfEEEESE_f11max_functorIfEfEEDaPvRmT3_T4_T5_mT6_P12ihipStream_tbENKUlT_T0_E_clISt17integral_constantIbLb0EESU_EEDaSP_SQ_EUlSP_E0_NS1_11comp_targetILNS1_3genE5ELNS1_11target_archE942ELNS1_3gpuE9ELNS1_3repE0EEENS1_30default_config_static_selectorELNS0_4arch9wavefront6targetE1EEEvT1_
		.amdhsa_group_segment_fixed_size 0
		.amdhsa_private_segment_fixed_size 0
		.amdhsa_kernarg_size 32
		.amdhsa_user_sgpr_count 6
		.amdhsa_user_sgpr_private_segment_buffer 1
		.amdhsa_user_sgpr_dispatch_ptr 0
		.amdhsa_user_sgpr_queue_ptr 0
		.amdhsa_user_sgpr_kernarg_segment_ptr 1
		.amdhsa_user_sgpr_dispatch_id 0
		.amdhsa_user_sgpr_flat_scratch_init 0
		.amdhsa_user_sgpr_kernarg_preload_length 0
		.amdhsa_user_sgpr_kernarg_preload_offset 0
		.amdhsa_user_sgpr_private_segment_size 0
		.amdhsa_uses_dynamic_stack 0
		.amdhsa_system_sgpr_private_segment_wavefront_offset 0
		.amdhsa_system_sgpr_workgroup_id_x 1
		.amdhsa_system_sgpr_workgroup_id_y 0
		.amdhsa_system_sgpr_workgroup_id_z 0
		.amdhsa_system_sgpr_workgroup_info 0
		.amdhsa_system_vgpr_workitem_id 0
		.amdhsa_next_free_vgpr 1
		.amdhsa_next_free_sgpr 0
		.amdhsa_accum_offset 4
		.amdhsa_reserve_vcc 0
		.amdhsa_reserve_flat_scratch 0
		.amdhsa_float_round_mode_32 0
		.amdhsa_float_round_mode_16_64 0
		.amdhsa_float_denorm_mode_32 3
		.amdhsa_float_denorm_mode_16_64 3
		.amdhsa_dx10_clamp 1
		.amdhsa_ieee_mode 1
		.amdhsa_fp16_overflow 0
		.amdhsa_tg_split 0
		.amdhsa_exception_fp_ieee_invalid_op 0
		.amdhsa_exception_fp_denorm_src 0
		.amdhsa_exception_fp_ieee_div_zero 0
		.amdhsa_exception_fp_ieee_overflow 0
		.amdhsa_exception_fp_ieee_underflow 0
		.amdhsa_exception_fp_ieee_inexact 0
		.amdhsa_exception_int_div_zero 0
	.end_amdhsa_kernel
	.section	.text._ZN7rocprim17ROCPRIM_400000_NS6detail17trampoline_kernelINS0_14default_configENS1_20scan_config_selectorIfEEZZNS1_9scan_implILNS1_25lookback_scan_determinismE0ELb1ELb1ES3_N6thrust23THRUST_200600_302600_NS6detail15normal_iteratorINS9_10device_ptrIfEEEESE_f11max_functorIfEfEEDaPvRmT3_T4_T5_mT6_P12ihipStream_tbENKUlT_T0_E_clISt17integral_constantIbLb0EESU_EEDaSP_SQ_EUlSP_E0_NS1_11comp_targetILNS1_3genE5ELNS1_11target_archE942ELNS1_3gpuE9ELNS1_3repE0EEENS1_30default_config_static_selectorELNS0_4arch9wavefront6targetE1EEEvT1_,"axG",@progbits,_ZN7rocprim17ROCPRIM_400000_NS6detail17trampoline_kernelINS0_14default_configENS1_20scan_config_selectorIfEEZZNS1_9scan_implILNS1_25lookback_scan_determinismE0ELb1ELb1ES3_N6thrust23THRUST_200600_302600_NS6detail15normal_iteratorINS9_10device_ptrIfEEEESE_f11max_functorIfEfEEDaPvRmT3_T4_T5_mT6_P12ihipStream_tbENKUlT_T0_E_clISt17integral_constantIbLb0EESU_EEDaSP_SQ_EUlSP_E0_NS1_11comp_targetILNS1_3genE5ELNS1_11target_archE942ELNS1_3gpuE9ELNS1_3repE0EEENS1_30default_config_static_selectorELNS0_4arch9wavefront6targetE1EEEvT1_,comdat
.Lfunc_end2025:
	.size	_ZN7rocprim17ROCPRIM_400000_NS6detail17trampoline_kernelINS0_14default_configENS1_20scan_config_selectorIfEEZZNS1_9scan_implILNS1_25lookback_scan_determinismE0ELb1ELb1ES3_N6thrust23THRUST_200600_302600_NS6detail15normal_iteratorINS9_10device_ptrIfEEEESE_f11max_functorIfEfEEDaPvRmT3_T4_T5_mT6_P12ihipStream_tbENKUlT_T0_E_clISt17integral_constantIbLb0EESU_EEDaSP_SQ_EUlSP_E0_NS1_11comp_targetILNS1_3genE5ELNS1_11target_archE942ELNS1_3gpuE9ELNS1_3repE0EEENS1_30default_config_static_selectorELNS0_4arch9wavefront6targetE1EEEvT1_, .Lfunc_end2025-_ZN7rocprim17ROCPRIM_400000_NS6detail17trampoline_kernelINS0_14default_configENS1_20scan_config_selectorIfEEZZNS1_9scan_implILNS1_25lookback_scan_determinismE0ELb1ELb1ES3_N6thrust23THRUST_200600_302600_NS6detail15normal_iteratorINS9_10device_ptrIfEEEESE_f11max_functorIfEfEEDaPvRmT3_T4_T5_mT6_P12ihipStream_tbENKUlT_T0_E_clISt17integral_constantIbLb0EESU_EEDaSP_SQ_EUlSP_E0_NS1_11comp_targetILNS1_3genE5ELNS1_11target_archE942ELNS1_3gpuE9ELNS1_3repE0EEENS1_30default_config_static_selectorELNS0_4arch9wavefront6targetE1EEEvT1_
                                        ; -- End function
	.section	.AMDGPU.csdata,"",@progbits
; Kernel info:
; codeLenInByte = 0
; NumSgprs: 4
; NumVgprs: 0
; NumAgprs: 0
; TotalNumVgprs: 0
; ScratchSize: 0
; MemoryBound: 0
; FloatMode: 240
; IeeeMode: 1
; LDSByteSize: 0 bytes/workgroup (compile time only)
; SGPRBlocks: 0
; VGPRBlocks: 0
; NumSGPRsForWavesPerEU: 4
; NumVGPRsForWavesPerEU: 1
; AccumOffset: 4
; Occupancy: 8
; WaveLimiterHint : 0
; COMPUTE_PGM_RSRC2:SCRATCH_EN: 0
; COMPUTE_PGM_RSRC2:USER_SGPR: 6
; COMPUTE_PGM_RSRC2:TRAP_HANDLER: 0
; COMPUTE_PGM_RSRC2:TGID_X_EN: 1
; COMPUTE_PGM_RSRC2:TGID_Y_EN: 0
; COMPUTE_PGM_RSRC2:TGID_Z_EN: 0
; COMPUTE_PGM_RSRC2:TIDIG_COMP_CNT: 0
; COMPUTE_PGM_RSRC3_GFX90A:ACCUM_OFFSET: 0
; COMPUTE_PGM_RSRC3_GFX90A:TG_SPLIT: 0
	.section	.text._ZN7rocprim17ROCPRIM_400000_NS6detail17trampoline_kernelINS0_14default_configENS1_20scan_config_selectorIfEEZZNS1_9scan_implILNS1_25lookback_scan_determinismE0ELb1ELb1ES3_N6thrust23THRUST_200600_302600_NS6detail15normal_iteratorINS9_10device_ptrIfEEEESE_f11max_functorIfEfEEDaPvRmT3_T4_T5_mT6_P12ihipStream_tbENKUlT_T0_E_clISt17integral_constantIbLb0EESU_EEDaSP_SQ_EUlSP_E0_NS1_11comp_targetILNS1_3genE4ELNS1_11target_archE910ELNS1_3gpuE8ELNS1_3repE0EEENS1_30default_config_static_selectorELNS0_4arch9wavefront6targetE1EEEvT1_,"axG",@progbits,_ZN7rocprim17ROCPRIM_400000_NS6detail17trampoline_kernelINS0_14default_configENS1_20scan_config_selectorIfEEZZNS1_9scan_implILNS1_25lookback_scan_determinismE0ELb1ELb1ES3_N6thrust23THRUST_200600_302600_NS6detail15normal_iteratorINS9_10device_ptrIfEEEESE_f11max_functorIfEfEEDaPvRmT3_T4_T5_mT6_P12ihipStream_tbENKUlT_T0_E_clISt17integral_constantIbLb0EESU_EEDaSP_SQ_EUlSP_E0_NS1_11comp_targetILNS1_3genE4ELNS1_11target_archE910ELNS1_3gpuE8ELNS1_3repE0EEENS1_30default_config_static_selectorELNS0_4arch9wavefront6targetE1EEEvT1_,comdat
	.protected	_ZN7rocprim17ROCPRIM_400000_NS6detail17trampoline_kernelINS0_14default_configENS1_20scan_config_selectorIfEEZZNS1_9scan_implILNS1_25lookback_scan_determinismE0ELb1ELb1ES3_N6thrust23THRUST_200600_302600_NS6detail15normal_iteratorINS9_10device_ptrIfEEEESE_f11max_functorIfEfEEDaPvRmT3_T4_T5_mT6_P12ihipStream_tbENKUlT_T0_E_clISt17integral_constantIbLb0EESU_EEDaSP_SQ_EUlSP_E0_NS1_11comp_targetILNS1_3genE4ELNS1_11target_archE910ELNS1_3gpuE8ELNS1_3repE0EEENS1_30default_config_static_selectorELNS0_4arch9wavefront6targetE1EEEvT1_ ; -- Begin function _ZN7rocprim17ROCPRIM_400000_NS6detail17trampoline_kernelINS0_14default_configENS1_20scan_config_selectorIfEEZZNS1_9scan_implILNS1_25lookback_scan_determinismE0ELb1ELb1ES3_N6thrust23THRUST_200600_302600_NS6detail15normal_iteratorINS9_10device_ptrIfEEEESE_f11max_functorIfEfEEDaPvRmT3_T4_T5_mT6_P12ihipStream_tbENKUlT_T0_E_clISt17integral_constantIbLb0EESU_EEDaSP_SQ_EUlSP_E0_NS1_11comp_targetILNS1_3genE4ELNS1_11target_archE910ELNS1_3gpuE8ELNS1_3repE0EEENS1_30default_config_static_selectorELNS0_4arch9wavefront6targetE1EEEvT1_
	.globl	_ZN7rocprim17ROCPRIM_400000_NS6detail17trampoline_kernelINS0_14default_configENS1_20scan_config_selectorIfEEZZNS1_9scan_implILNS1_25lookback_scan_determinismE0ELb1ELb1ES3_N6thrust23THRUST_200600_302600_NS6detail15normal_iteratorINS9_10device_ptrIfEEEESE_f11max_functorIfEfEEDaPvRmT3_T4_T5_mT6_P12ihipStream_tbENKUlT_T0_E_clISt17integral_constantIbLb0EESU_EEDaSP_SQ_EUlSP_E0_NS1_11comp_targetILNS1_3genE4ELNS1_11target_archE910ELNS1_3gpuE8ELNS1_3repE0EEENS1_30default_config_static_selectorELNS0_4arch9wavefront6targetE1EEEvT1_
	.p2align	8
	.type	_ZN7rocprim17ROCPRIM_400000_NS6detail17trampoline_kernelINS0_14default_configENS1_20scan_config_selectorIfEEZZNS1_9scan_implILNS1_25lookback_scan_determinismE0ELb1ELb1ES3_N6thrust23THRUST_200600_302600_NS6detail15normal_iteratorINS9_10device_ptrIfEEEESE_f11max_functorIfEfEEDaPvRmT3_T4_T5_mT6_P12ihipStream_tbENKUlT_T0_E_clISt17integral_constantIbLb0EESU_EEDaSP_SQ_EUlSP_E0_NS1_11comp_targetILNS1_3genE4ELNS1_11target_archE910ELNS1_3gpuE8ELNS1_3repE0EEENS1_30default_config_static_selectorELNS0_4arch9wavefront6targetE1EEEvT1_,@function
_ZN7rocprim17ROCPRIM_400000_NS6detail17trampoline_kernelINS0_14default_configENS1_20scan_config_selectorIfEEZZNS1_9scan_implILNS1_25lookback_scan_determinismE0ELb1ELb1ES3_N6thrust23THRUST_200600_302600_NS6detail15normal_iteratorINS9_10device_ptrIfEEEESE_f11max_functorIfEfEEDaPvRmT3_T4_T5_mT6_P12ihipStream_tbENKUlT_T0_E_clISt17integral_constantIbLb0EESU_EEDaSP_SQ_EUlSP_E0_NS1_11comp_targetILNS1_3genE4ELNS1_11target_archE910ELNS1_3gpuE8ELNS1_3repE0EEENS1_30default_config_static_selectorELNS0_4arch9wavefront6targetE1EEEvT1_: ; @_ZN7rocprim17ROCPRIM_400000_NS6detail17trampoline_kernelINS0_14default_configENS1_20scan_config_selectorIfEEZZNS1_9scan_implILNS1_25lookback_scan_determinismE0ELb1ELb1ES3_N6thrust23THRUST_200600_302600_NS6detail15normal_iteratorINS9_10device_ptrIfEEEESE_f11max_functorIfEfEEDaPvRmT3_T4_T5_mT6_P12ihipStream_tbENKUlT_T0_E_clISt17integral_constantIbLb0EESU_EEDaSP_SQ_EUlSP_E0_NS1_11comp_targetILNS1_3genE4ELNS1_11target_archE910ELNS1_3gpuE8ELNS1_3repE0EEENS1_30default_config_static_selectorELNS0_4arch9wavefront6targetE1EEEvT1_
; %bb.0:
	s_load_dwordx4 s[28:31], s[4:5], 0x0
	v_lshlrev_b32_e32 v18, 2, v0
	s_waitcnt lgkmcnt(0)
	s_load_dword s31, s[28:29], 0x0
	v_cmp_gt_u32_e32 vcc, s30, v0
	s_waitcnt lgkmcnt(0)
	v_mov_b32_e32 v1, s31
	s_and_saveexec_b64 s[0:1], vcc
	s_cbranch_execz .LBB2026_2
; %bb.1:
	global_load_dword v1, v18, s[28:29]
.LBB2026_2:
	s_or_b64 exec, exec, s[0:1]
	v_or_b32_e32 v2, 0x80, v0
	v_cmp_gt_u32_e64 s[0:1], s30, v2
	v_mov_b32_e32 v2, s31
	s_and_saveexec_b64 s[2:3], s[0:1]
	s_cbranch_execz .LBB2026_4
; %bb.3:
	global_load_dword v2, v18, s[28:29] offset:512
.LBB2026_4:
	s_or_b64 exec, exec, s[2:3]
	v_or_b32_e32 v3, 0x100, v0
	v_cmp_gt_u32_e64 s[2:3], s30, v3
	v_mov_b32_e32 v3, s31
	s_and_saveexec_b64 s[6:7], s[2:3]
	s_cbranch_execz .LBB2026_6
; %bb.5:
	global_load_dword v3, v18, s[28:29] offset:1024
.LBB2026_6:
	;; [unrolled: 9-line block ×7, first 2 shown]
	s_or_b64 exec, exec, s[14:15]
	v_or_b32_e32 v10, 0x400, v0
	v_cmp_gt_u32_e64 s[14:15], s30, v10
	v_mov_b32_e32 v9, s31
	s_and_saveexec_b64 s[16:17], s[14:15]
	s_cbranch_execz .LBB2026_18
; %bb.17:
	v_lshlrev_b32_e32 v9, 2, v10
	global_load_dword v9, v9, s[28:29]
.LBB2026_18:
	s_or_b64 exec, exec, s[16:17]
	v_or_b32_e32 v11, 0x480, v0
	v_cmp_gt_u32_e64 s[16:17], s30, v11
	v_mov_b32_e32 v10, s31
	s_and_saveexec_b64 s[18:19], s[16:17]
	s_cbranch_execz .LBB2026_20
; %bb.19:
	v_lshlrev_b32_e32 v10, 2, v11
	global_load_dword v10, v10, s[28:29]
.LBB2026_20:
	;; [unrolled: 10-line block ×5, first 2 shown]
	s_or_b64 exec, exec, s[24:25]
	s_load_dword s33, s[4:5], 0x10
	v_or_b32_e32 v15, 0x680, v0
	v_cmp_gt_u32_e64 s[24:25], s30, v15
	v_mov_b32_e32 v14, s31
	s_and_saveexec_b64 s[30:31], s[24:25]
	s_cbranch_execz .LBB2026_28
; %bb.27:
	v_lshlrev_b32_e32 v14, 2, v15
	global_load_dword v14, v14, s[28:29]
.LBB2026_28:
	s_or_b64 exec, exec, s[30:31]
	s_waitcnt vmcnt(0)
	ds_write2st64_b32 v18, v1, v2 offset1:2
	ds_write2st64_b32 v18, v3, v4 offset0:4 offset1:6
	ds_write2st64_b32 v18, v5, v6 offset0:8 offset1:10
	;; [unrolled: 1-line block ×6, first 2 shown]
	v_mad_u32_u24 v1, v0, 52, v18
	s_waitcnt lgkmcnt(0)
	s_barrier
	ds_read2_b64 v[10:13], v1 offset1:1
	ds_read2_b64 v[6:9], v1 offset0:2 offset1:3
	ds_read2_b64 v[2:5], v1 offset0:4 offset1:5
	ds_read_b64 v[14:15], v1 offset:48
	s_load_dwordx2 s[36:37], s[4:5], 0x18
	s_waitcnt lgkmcnt(0)
	v_cmp_lt_f32_e64 s[4:5], v10, v11
	v_cndmask_b32_e64 v16, v10, v11, s[4:5]
	v_cmp_lt_f32_e64 s[4:5], v16, v12
	v_cndmask_b32_e64 v16, v16, v12, s[4:5]
	;; [unrolled: 2-line block ×13, first 2 shown]
	v_lshrrev_b32_e32 v16, 3, v0
	v_and_b32_e32 v16, 12, v16
	v_add_u32_e32 v16, v18, v16
	v_cmp_gt_u32_e64 s[4:5], 64, v0
	s_barrier
	ds_write_b32 v16, v15
	s_waitcnt lgkmcnt(0)
	s_barrier
	s_and_saveexec_b64 s[38:39], s[4:5]
	s_cbranch_execz .LBB2026_30
; %bb.29:
	v_lshlrev_b32_e32 v16, 1, v0
	v_lshrrev_b32_e32 v17, 4, v0
	v_add_lshl_u32 v19, v17, v16, 2
	ds_read2_b32 v[16:17], v19 offset1:1
	v_mbcnt_lo_u32_b32 v20, -1, 0
	v_mbcnt_hi_u32_b32 v20, -1, v20
	v_and_b32_e32 v21, 15, v20
	v_cmp_lt_u32_e64 s[34:35], 31, v20
	s_waitcnt lgkmcnt(0)
	v_cmp_lt_f32_e64 s[4:5], v16, v17
	v_cndmask_b32_e64 v17, v16, v17, s[4:5]
	v_cmp_gt_u32_e64 s[30:31], 32, v20
	s_nop 0
	v_mov_b32_dpp v22, v17 row_shr:1 row_mask:0xf bank_mask:0xf
	v_cmp_gt_f32_e64 s[4:5], v17, v22
	v_cndmask_b32_e64 v22, v22, v17, s[4:5]
	v_cmp_eq_u32_e64 s[4:5], 0, v21
	v_cndmask_b32_e64 v17, v22, v17, s[4:5]
	; wave barrier
	s_nop 1
	v_mov_b32_dpp v22, v17 row_shr:2 row_mask:0xf bank_mask:0xf
	v_cmp_gt_f32_e64 s[4:5], v17, v22
	v_cndmask_b32_e64 v22, v22, v17, s[4:5]
	v_cmp_lt_u32_e64 s[4:5], 1, v21
	v_cndmask_b32_e64 v22, v17, v22, s[4:5]
	s_nop 1
	v_mov_b32_dpp v23, v22 row_shr:4 row_mask:0xf bank_mask:0xf
	v_cmp_gt_f32_e64 s[28:29], v22, v23
	v_cndmask_b32_e64 v23, v23, v22, s[28:29]
	v_cmp_lt_u32_e64 s[28:29], 3, v21
	v_cndmask_b32_e64 v22, v22, v23, s[28:29]
	s_nop 1
	v_mov_b32_dpp v23, v22 row_shr:8 row_mask:0xf bank_mask:0xf
	v_cmp_gt_f32_e64 s[28:29], v22, v23
	v_cndmask_b32_e64 v23, v23, v22, s[28:29]
	v_cmp_lt_u32_e64 s[28:29], 7, v21
	v_cndmask_b32_e64 v21, v22, v23, s[28:29]
	v_and_b32_e32 v23, 16, v20
	s_nop 0
	v_mov_b32_dpp v22, v21 row_bcast:15 row_mask:0xf bank_mask:0xf
	v_cmp_gt_f32_e64 s[28:29], v21, v22
	v_cndmask_b32_e64 v22, v22, v21, s[28:29]
	v_cmp_ne_u32_e64 s[28:29], 0, v23
	v_cndmask_b32_e64 v21, v21, v22, s[28:29]
	s_or_b64 s[34:35], s[28:29], s[34:35]
	s_or_b64 s[4:5], s[4:5], s[34:35]
	v_mov_b32_dpp v22, v21 row_bcast:31 row_mask:0xf bank_mask:0xf
	v_cmp_gt_f32_e64 s[28:29], v21, v22
	s_or_b64 s[28:29], s[30:31], s[28:29]
	v_cndmask_b32_e64 v21, v22, v21, s[28:29]
	v_cndmask_b32_e64 v17, v17, v21, s[4:5]
	v_add_u32_e32 v21, -1, v20
	v_and_b32_e32 v22, 64, v20
	v_cmp_lt_i32_e64 s[4:5], v21, v22
	v_cndmask_b32_e64 v20, v21, v20, s[4:5]
	v_lshlrev_b32_e32 v20, 2, v20
	ds_bpermute_b32 v17, v20, v17
	s_waitcnt lgkmcnt(0)
	v_cmp_gt_f32_e64 s[4:5], v16, v17
	v_cndmask_b32_e64 v16, v17, v16, s[4:5]
	v_cmp_eq_u32_e64 s[4:5], 0, v0
	v_cndmask_b32_e64 v15, v16, v15, s[4:5]
	ds_write_b32 v19, v15
	; wave barrier
	ds_read_b32 v16, v19 offset:4
	s_waitcnt lgkmcnt(0)
	v_cmp_lt_f32_e64 s[4:5], v15, v16
	v_cndmask_b32_e64 v15, v15, v16, s[4:5]
	ds_write_b32 v19, v15 offset:4
.LBB2026_30:
	s_or_b64 exec, exec, s[38:39]
	v_cmp_ne_u32_e64 s[4:5], 0, v0
	v_mov_b32_e32 v16, s33
	s_waitcnt lgkmcnt(0)
	s_barrier
	s_and_saveexec_b64 s[28:29], s[4:5]
	s_cbranch_execz .LBB2026_32
; %bb.31:
	v_add_u32_e32 v15, -1, v0
	v_lshrrev_b32_e32 v16, 5, v15
	v_add_lshl_u32 v15, v16, v15, 2
	ds_read_b32 v15, v15
	v_mov_b32_e32 v16, s33
	s_waitcnt lgkmcnt(0)
	v_cmp_lt_f32_e64 s[4:5], s33, v15
	v_cndmask_b32_e64 v16, v16, v15, s[4:5]
.LBB2026_32:
	s_or_b64 exec, exec, s[28:29]
	v_cmp_lt_f32_e64 s[4:5], v16, v10
	v_cndmask_b32_e64 v17, v16, v10, s[4:5]
	v_cmp_lt_f32_e64 s[4:5], v17, v11
	v_cndmask_b32_e64 v10, v17, v11, s[4:5]
	;; [unrolled: 2-line block ×13, first 2 shown]
	s_movk_i32 s4, 0xffcc
	v_mad_i32_i24 v0, v0, s4, v1
	s_barrier
	ds_write2_b64 v1, v[16:17], v[10:11] offset1:1
	ds_write2_b64 v1, v[12:13], v[6:7] offset0:2 offset1:3
	ds_write2_b64 v1, v[8:9], v[2:3] offset0:4 offset1:5
	ds_write_b64 v1, v[4:5] offset:48
	s_waitcnt lgkmcnt(0)
	s_barrier
	ds_read2st64_b32 v[12:13], v0 offset0:2 offset1:4
	ds_read2st64_b32 v[10:11], v0 offset0:6 offset1:8
	;; [unrolled: 1-line block ×4, first 2 shown]
	ds_read_b32 v14, v18 offset:4096
	ds_read2st64_b32 v[4:5], v0 offset0:20 offset1:22
	ds_read2st64_b32 v[0:1], v0 offset0:24 offset1:26
	v_mov_b32_e32 v3, s37
	v_add_co_u32_e64 v2, s[4:5], s36, v18
	v_addc_co_u32_e64 v3, s[4:5], 0, v3, s[4:5]
	s_and_saveexec_b64 s[4:5], vcc
	s_cbranch_execnz .LBB2026_47
; %bb.33:
	s_or_b64 exec, exec, s[4:5]
	s_and_saveexec_b64 s[4:5], s[0:1]
	s_cbranch_execnz .LBB2026_48
.LBB2026_34:
	s_or_b64 exec, exec, s[4:5]
	s_and_saveexec_b64 s[0:1], s[2:3]
	s_cbranch_execnz .LBB2026_49
.LBB2026_35:
	s_or_b64 exec, exec, s[0:1]
	s_and_saveexec_b64 s[0:1], s[26:27]
	s_cbranch_execnz .LBB2026_50
.LBB2026_36:
	s_or_b64 exec, exec, s[0:1]
	s_and_saveexec_b64 s[0:1], s[6:7]
	s_cbranch_execnz .LBB2026_51
.LBB2026_37:
	s_or_b64 exec, exec, s[0:1]
	s_and_saveexec_b64 s[0:1], s[8:9]
	s_cbranch_execnz .LBB2026_52
.LBB2026_38:
	s_or_b64 exec, exec, s[0:1]
	s_and_saveexec_b64 s[0:1], s[10:11]
	s_cbranch_execnz .LBB2026_53
.LBB2026_39:
	s_or_b64 exec, exec, s[0:1]
	s_and_saveexec_b64 s[0:1], s[12:13]
	s_cbranch_execnz .LBB2026_54
.LBB2026_40:
	s_or_b64 exec, exec, s[0:1]
	s_and_saveexec_b64 s[0:1], s[14:15]
	s_cbranch_execnz .LBB2026_55
.LBB2026_41:
	s_or_b64 exec, exec, s[0:1]
	s_and_saveexec_b64 s[0:1], s[16:17]
	s_cbranch_execnz .LBB2026_56
.LBB2026_42:
	s_or_b64 exec, exec, s[0:1]
	s_and_saveexec_b64 s[0:1], s[18:19]
	s_cbranch_execnz .LBB2026_57
.LBB2026_43:
	s_or_b64 exec, exec, s[0:1]
	s_and_saveexec_b64 s[0:1], s[20:21]
	s_cbranch_execnz .LBB2026_58
.LBB2026_44:
	s_or_b64 exec, exec, s[0:1]
	s_and_saveexec_b64 s[0:1], s[22:23]
	s_cbranch_execnz .LBB2026_59
.LBB2026_45:
	s_or_b64 exec, exec, s[0:1]
	s_and_saveexec_b64 s[0:1], s[24:25]
	s_cbranch_execnz .LBB2026_60
.LBB2026_46:
	s_endpgm
.LBB2026_47:
	ds_read_b32 v15, v18
	s_waitcnt lgkmcnt(0)
	global_store_dword v[2:3], v15, off
	s_or_b64 exec, exec, s[4:5]
	s_and_saveexec_b64 s[4:5], s[0:1]
	s_cbranch_execz .LBB2026_34
.LBB2026_48:
	s_waitcnt lgkmcnt(6)
	global_store_dword v[2:3], v12, off offset:512
	s_or_b64 exec, exec, s[4:5]
	s_and_saveexec_b64 s[0:1], s[2:3]
	s_cbranch_execz .LBB2026_35
.LBB2026_49:
	s_waitcnt lgkmcnt(6)
	global_store_dword v[2:3], v13, off offset:1024
	s_or_b64 exec, exec, s[0:1]
	s_and_saveexec_b64 s[0:1], s[26:27]
	s_cbranch_execz .LBB2026_36
.LBB2026_50:
	s_waitcnt lgkmcnt(5)
	global_store_dword v[2:3], v10, off offset:1536
	s_or_b64 exec, exec, s[0:1]
	s_and_saveexec_b64 s[0:1], s[6:7]
	s_cbranch_execz .LBB2026_37
.LBB2026_51:
	s_waitcnt lgkmcnt(5)
	global_store_dword v[2:3], v11, off offset:2048
	s_or_b64 exec, exec, s[0:1]
	s_and_saveexec_b64 s[0:1], s[8:9]
	s_cbranch_execz .LBB2026_38
.LBB2026_52:
	s_waitcnt lgkmcnt(4)
	global_store_dword v[2:3], v8, off offset:2560
	s_or_b64 exec, exec, s[0:1]
	s_and_saveexec_b64 s[0:1], s[10:11]
	s_cbranch_execz .LBB2026_39
.LBB2026_53:
	s_waitcnt lgkmcnt(4)
	global_store_dword v[2:3], v9, off offset:3072
	s_or_b64 exec, exec, s[0:1]
	s_and_saveexec_b64 s[0:1], s[12:13]
	s_cbranch_execz .LBB2026_40
.LBB2026_54:
	s_waitcnt lgkmcnt(3)
	global_store_dword v[2:3], v6, off offset:3584
	s_or_b64 exec, exec, s[0:1]
	s_and_saveexec_b64 s[0:1], s[14:15]
	s_cbranch_execz .LBB2026_41
.LBB2026_55:
	s_waitcnt lgkmcnt(4)
	v_add_co_u32_e32 v8, vcc, 0x1000, v2
	v_addc_co_u32_e32 v9, vcc, 0, v3, vcc
	s_waitcnt lgkmcnt(2)
	global_store_dword v[8:9], v14, off
	s_or_b64 exec, exec, s[0:1]
	s_and_saveexec_b64 s[0:1], s[16:17]
	s_cbranch_execz .LBB2026_42
.LBB2026_56:
	s_waitcnt lgkmcnt(4)
	v_add_co_u32_e32 v8, vcc, 0x1000, v2
	v_addc_co_u32_e32 v9, vcc, 0, v3, vcc
	s_waitcnt lgkmcnt(3)
	global_store_dword v[8:9], v7, off offset:512
	s_or_b64 exec, exec, s[0:1]
	s_and_saveexec_b64 s[0:1], s[18:19]
	s_cbranch_execz .LBB2026_43
.LBB2026_57:
	s_waitcnt lgkmcnt(3)
	v_add_co_u32_e32 v6, vcc, 0x1000, v2
	v_addc_co_u32_e32 v7, vcc, 0, v3, vcc
	s_waitcnt lgkmcnt(1)
	global_store_dword v[6:7], v4, off offset:1024
	s_or_b64 exec, exec, s[0:1]
	s_and_saveexec_b64 s[0:1], s[20:21]
	s_cbranch_execz .LBB2026_44
.LBB2026_58:
	s_waitcnt lgkmcnt(3)
	v_add_co_u32_e32 v6, vcc, 0x1000, v2
	v_addc_co_u32_e32 v7, vcc, 0, v3, vcc
	s_waitcnt lgkmcnt(1)
	global_store_dword v[6:7], v5, off offset:1536
	s_or_b64 exec, exec, s[0:1]
	s_and_saveexec_b64 s[0:1], s[22:23]
	s_cbranch_execz .LBB2026_45
.LBB2026_59:
	s_waitcnt lgkmcnt(1)
	v_add_co_u32_e32 v4, vcc, 0x1000, v2
	v_addc_co_u32_e32 v5, vcc, 0, v3, vcc
	s_waitcnt lgkmcnt(0)
	global_store_dword v[4:5], v0, off offset:2048
	s_or_b64 exec, exec, s[0:1]
	s_and_saveexec_b64 s[0:1], s[24:25]
	s_cbranch_execz .LBB2026_46
.LBB2026_60:
	v_add_co_u32_e32 v2, vcc, 0x1000, v2
	v_addc_co_u32_e32 v3, vcc, 0, v3, vcc
	s_waitcnt lgkmcnt(0)
	global_store_dword v[2:3], v1, off offset:2560
	s_endpgm
	.section	.rodata,"a",@progbits
	.p2align	6, 0x0
	.amdhsa_kernel _ZN7rocprim17ROCPRIM_400000_NS6detail17trampoline_kernelINS0_14default_configENS1_20scan_config_selectorIfEEZZNS1_9scan_implILNS1_25lookback_scan_determinismE0ELb1ELb1ES3_N6thrust23THRUST_200600_302600_NS6detail15normal_iteratorINS9_10device_ptrIfEEEESE_f11max_functorIfEfEEDaPvRmT3_T4_T5_mT6_P12ihipStream_tbENKUlT_T0_E_clISt17integral_constantIbLb0EESU_EEDaSP_SQ_EUlSP_E0_NS1_11comp_targetILNS1_3genE4ELNS1_11target_archE910ELNS1_3gpuE8ELNS1_3repE0EEENS1_30default_config_static_selectorELNS0_4arch9wavefront6targetE1EEEvT1_
		.amdhsa_group_segment_fixed_size 7168
		.amdhsa_private_segment_fixed_size 0
		.amdhsa_kernarg_size 32
		.amdhsa_user_sgpr_count 6
		.amdhsa_user_sgpr_private_segment_buffer 1
		.amdhsa_user_sgpr_dispatch_ptr 0
		.amdhsa_user_sgpr_queue_ptr 0
		.amdhsa_user_sgpr_kernarg_segment_ptr 1
		.amdhsa_user_sgpr_dispatch_id 0
		.amdhsa_user_sgpr_flat_scratch_init 0
		.amdhsa_user_sgpr_kernarg_preload_length 0
		.amdhsa_user_sgpr_kernarg_preload_offset 0
		.amdhsa_user_sgpr_private_segment_size 0
		.amdhsa_uses_dynamic_stack 0
		.amdhsa_system_sgpr_private_segment_wavefront_offset 0
		.amdhsa_system_sgpr_workgroup_id_x 1
		.amdhsa_system_sgpr_workgroup_id_y 0
		.amdhsa_system_sgpr_workgroup_id_z 0
		.amdhsa_system_sgpr_workgroup_info 0
		.amdhsa_system_vgpr_workitem_id 0
		.amdhsa_next_free_vgpr 24
		.amdhsa_next_free_sgpr 40
		.amdhsa_accum_offset 24
		.amdhsa_reserve_vcc 1
		.amdhsa_reserve_flat_scratch 0
		.amdhsa_float_round_mode_32 0
		.amdhsa_float_round_mode_16_64 0
		.amdhsa_float_denorm_mode_32 3
		.amdhsa_float_denorm_mode_16_64 3
		.amdhsa_dx10_clamp 1
		.amdhsa_ieee_mode 1
		.amdhsa_fp16_overflow 0
		.amdhsa_tg_split 0
		.amdhsa_exception_fp_ieee_invalid_op 0
		.amdhsa_exception_fp_denorm_src 0
		.amdhsa_exception_fp_ieee_div_zero 0
		.amdhsa_exception_fp_ieee_overflow 0
		.amdhsa_exception_fp_ieee_underflow 0
		.amdhsa_exception_fp_ieee_inexact 0
		.amdhsa_exception_int_div_zero 0
	.end_amdhsa_kernel
	.section	.text._ZN7rocprim17ROCPRIM_400000_NS6detail17trampoline_kernelINS0_14default_configENS1_20scan_config_selectorIfEEZZNS1_9scan_implILNS1_25lookback_scan_determinismE0ELb1ELb1ES3_N6thrust23THRUST_200600_302600_NS6detail15normal_iteratorINS9_10device_ptrIfEEEESE_f11max_functorIfEfEEDaPvRmT3_T4_T5_mT6_P12ihipStream_tbENKUlT_T0_E_clISt17integral_constantIbLb0EESU_EEDaSP_SQ_EUlSP_E0_NS1_11comp_targetILNS1_3genE4ELNS1_11target_archE910ELNS1_3gpuE8ELNS1_3repE0EEENS1_30default_config_static_selectorELNS0_4arch9wavefront6targetE1EEEvT1_,"axG",@progbits,_ZN7rocprim17ROCPRIM_400000_NS6detail17trampoline_kernelINS0_14default_configENS1_20scan_config_selectorIfEEZZNS1_9scan_implILNS1_25lookback_scan_determinismE0ELb1ELb1ES3_N6thrust23THRUST_200600_302600_NS6detail15normal_iteratorINS9_10device_ptrIfEEEESE_f11max_functorIfEfEEDaPvRmT3_T4_T5_mT6_P12ihipStream_tbENKUlT_T0_E_clISt17integral_constantIbLb0EESU_EEDaSP_SQ_EUlSP_E0_NS1_11comp_targetILNS1_3genE4ELNS1_11target_archE910ELNS1_3gpuE8ELNS1_3repE0EEENS1_30default_config_static_selectorELNS0_4arch9wavefront6targetE1EEEvT1_,comdat
.Lfunc_end2026:
	.size	_ZN7rocprim17ROCPRIM_400000_NS6detail17trampoline_kernelINS0_14default_configENS1_20scan_config_selectorIfEEZZNS1_9scan_implILNS1_25lookback_scan_determinismE0ELb1ELb1ES3_N6thrust23THRUST_200600_302600_NS6detail15normal_iteratorINS9_10device_ptrIfEEEESE_f11max_functorIfEfEEDaPvRmT3_T4_T5_mT6_P12ihipStream_tbENKUlT_T0_E_clISt17integral_constantIbLb0EESU_EEDaSP_SQ_EUlSP_E0_NS1_11comp_targetILNS1_3genE4ELNS1_11target_archE910ELNS1_3gpuE8ELNS1_3repE0EEENS1_30default_config_static_selectorELNS0_4arch9wavefront6targetE1EEEvT1_, .Lfunc_end2026-_ZN7rocprim17ROCPRIM_400000_NS6detail17trampoline_kernelINS0_14default_configENS1_20scan_config_selectorIfEEZZNS1_9scan_implILNS1_25lookback_scan_determinismE0ELb1ELb1ES3_N6thrust23THRUST_200600_302600_NS6detail15normal_iteratorINS9_10device_ptrIfEEEESE_f11max_functorIfEfEEDaPvRmT3_T4_T5_mT6_P12ihipStream_tbENKUlT_T0_E_clISt17integral_constantIbLb0EESU_EEDaSP_SQ_EUlSP_E0_NS1_11comp_targetILNS1_3genE4ELNS1_11target_archE910ELNS1_3gpuE8ELNS1_3repE0EEENS1_30default_config_static_selectorELNS0_4arch9wavefront6targetE1EEEvT1_
                                        ; -- End function
	.section	.AMDGPU.csdata,"",@progbits
; Kernel info:
; codeLenInByte = 2468
; NumSgprs: 44
; NumVgprs: 24
; NumAgprs: 0
; TotalNumVgprs: 24
; ScratchSize: 0
; MemoryBound: 0
; FloatMode: 240
; IeeeMode: 1
; LDSByteSize: 7168 bytes/workgroup (compile time only)
; SGPRBlocks: 5
; VGPRBlocks: 2
; NumSGPRsForWavesPerEU: 44
; NumVGPRsForWavesPerEU: 24
; AccumOffset: 24
; Occupancy: 5
; WaveLimiterHint : 0
; COMPUTE_PGM_RSRC2:SCRATCH_EN: 0
; COMPUTE_PGM_RSRC2:USER_SGPR: 6
; COMPUTE_PGM_RSRC2:TRAP_HANDLER: 0
; COMPUTE_PGM_RSRC2:TGID_X_EN: 1
; COMPUTE_PGM_RSRC2:TGID_Y_EN: 0
; COMPUTE_PGM_RSRC2:TGID_Z_EN: 0
; COMPUTE_PGM_RSRC2:TIDIG_COMP_CNT: 0
; COMPUTE_PGM_RSRC3_GFX90A:ACCUM_OFFSET: 5
; COMPUTE_PGM_RSRC3_GFX90A:TG_SPLIT: 0
	.section	.text._ZN7rocprim17ROCPRIM_400000_NS6detail17trampoline_kernelINS0_14default_configENS1_20scan_config_selectorIfEEZZNS1_9scan_implILNS1_25lookback_scan_determinismE0ELb1ELb1ES3_N6thrust23THRUST_200600_302600_NS6detail15normal_iteratorINS9_10device_ptrIfEEEESE_f11max_functorIfEfEEDaPvRmT3_T4_T5_mT6_P12ihipStream_tbENKUlT_T0_E_clISt17integral_constantIbLb0EESU_EEDaSP_SQ_EUlSP_E0_NS1_11comp_targetILNS1_3genE3ELNS1_11target_archE908ELNS1_3gpuE7ELNS1_3repE0EEENS1_30default_config_static_selectorELNS0_4arch9wavefront6targetE1EEEvT1_,"axG",@progbits,_ZN7rocprim17ROCPRIM_400000_NS6detail17trampoline_kernelINS0_14default_configENS1_20scan_config_selectorIfEEZZNS1_9scan_implILNS1_25lookback_scan_determinismE0ELb1ELb1ES3_N6thrust23THRUST_200600_302600_NS6detail15normal_iteratorINS9_10device_ptrIfEEEESE_f11max_functorIfEfEEDaPvRmT3_T4_T5_mT6_P12ihipStream_tbENKUlT_T0_E_clISt17integral_constantIbLb0EESU_EEDaSP_SQ_EUlSP_E0_NS1_11comp_targetILNS1_3genE3ELNS1_11target_archE908ELNS1_3gpuE7ELNS1_3repE0EEENS1_30default_config_static_selectorELNS0_4arch9wavefront6targetE1EEEvT1_,comdat
	.protected	_ZN7rocprim17ROCPRIM_400000_NS6detail17trampoline_kernelINS0_14default_configENS1_20scan_config_selectorIfEEZZNS1_9scan_implILNS1_25lookback_scan_determinismE0ELb1ELb1ES3_N6thrust23THRUST_200600_302600_NS6detail15normal_iteratorINS9_10device_ptrIfEEEESE_f11max_functorIfEfEEDaPvRmT3_T4_T5_mT6_P12ihipStream_tbENKUlT_T0_E_clISt17integral_constantIbLb0EESU_EEDaSP_SQ_EUlSP_E0_NS1_11comp_targetILNS1_3genE3ELNS1_11target_archE908ELNS1_3gpuE7ELNS1_3repE0EEENS1_30default_config_static_selectorELNS0_4arch9wavefront6targetE1EEEvT1_ ; -- Begin function _ZN7rocprim17ROCPRIM_400000_NS6detail17trampoline_kernelINS0_14default_configENS1_20scan_config_selectorIfEEZZNS1_9scan_implILNS1_25lookback_scan_determinismE0ELb1ELb1ES3_N6thrust23THRUST_200600_302600_NS6detail15normal_iteratorINS9_10device_ptrIfEEEESE_f11max_functorIfEfEEDaPvRmT3_T4_T5_mT6_P12ihipStream_tbENKUlT_T0_E_clISt17integral_constantIbLb0EESU_EEDaSP_SQ_EUlSP_E0_NS1_11comp_targetILNS1_3genE3ELNS1_11target_archE908ELNS1_3gpuE7ELNS1_3repE0EEENS1_30default_config_static_selectorELNS0_4arch9wavefront6targetE1EEEvT1_
	.globl	_ZN7rocprim17ROCPRIM_400000_NS6detail17trampoline_kernelINS0_14default_configENS1_20scan_config_selectorIfEEZZNS1_9scan_implILNS1_25lookback_scan_determinismE0ELb1ELb1ES3_N6thrust23THRUST_200600_302600_NS6detail15normal_iteratorINS9_10device_ptrIfEEEESE_f11max_functorIfEfEEDaPvRmT3_T4_T5_mT6_P12ihipStream_tbENKUlT_T0_E_clISt17integral_constantIbLb0EESU_EEDaSP_SQ_EUlSP_E0_NS1_11comp_targetILNS1_3genE3ELNS1_11target_archE908ELNS1_3gpuE7ELNS1_3repE0EEENS1_30default_config_static_selectorELNS0_4arch9wavefront6targetE1EEEvT1_
	.p2align	8
	.type	_ZN7rocprim17ROCPRIM_400000_NS6detail17trampoline_kernelINS0_14default_configENS1_20scan_config_selectorIfEEZZNS1_9scan_implILNS1_25lookback_scan_determinismE0ELb1ELb1ES3_N6thrust23THRUST_200600_302600_NS6detail15normal_iteratorINS9_10device_ptrIfEEEESE_f11max_functorIfEfEEDaPvRmT3_T4_T5_mT6_P12ihipStream_tbENKUlT_T0_E_clISt17integral_constantIbLb0EESU_EEDaSP_SQ_EUlSP_E0_NS1_11comp_targetILNS1_3genE3ELNS1_11target_archE908ELNS1_3gpuE7ELNS1_3repE0EEENS1_30default_config_static_selectorELNS0_4arch9wavefront6targetE1EEEvT1_,@function
_ZN7rocprim17ROCPRIM_400000_NS6detail17trampoline_kernelINS0_14default_configENS1_20scan_config_selectorIfEEZZNS1_9scan_implILNS1_25lookback_scan_determinismE0ELb1ELb1ES3_N6thrust23THRUST_200600_302600_NS6detail15normal_iteratorINS9_10device_ptrIfEEEESE_f11max_functorIfEfEEDaPvRmT3_T4_T5_mT6_P12ihipStream_tbENKUlT_T0_E_clISt17integral_constantIbLb0EESU_EEDaSP_SQ_EUlSP_E0_NS1_11comp_targetILNS1_3genE3ELNS1_11target_archE908ELNS1_3gpuE7ELNS1_3repE0EEENS1_30default_config_static_selectorELNS0_4arch9wavefront6targetE1EEEvT1_: ; @_ZN7rocprim17ROCPRIM_400000_NS6detail17trampoline_kernelINS0_14default_configENS1_20scan_config_selectorIfEEZZNS1_9scan_implILNS1_25lookback_scan_determinismE0ELb1ELb1ES3_N6thrust23THRUST_200600_302600_NS6detail15normal_iteratorINS9_10device_ptrIfEEEESE_f11max_functorIfEfEEDaPvRmT3_T4_T5_mT6_P12ihipStream_tbENKUlT_T0_E_clISt17integral_constantIbLb0EESU_EEDaSP_SQ_EUlSP_E0_NS1_11comp_targetILNS1_3genE3ELNS1_11target_archE908ELNS1_3gpuE7ELNS1_3repE0EEENS1_30default_config_static_selectorELNS0_4arch9wavefront6targetE1EEEvT1_
; %bb.0:
	.section	.rodata,"a",@progbits
	.p2align	6, 0x0
	.amdhsa_kernel _ZN7rocprim17ROCPRIM_400000_NS6detail17trampoline_kernelINS0_14default_configENS1_20scan_config_selectorIfEEZZNS1_9scan_implILNS1_25lookback_scan_determinismE0ELb1ELb1ES3_N6thrust23THRUST_200600_302600_NS6detail15normal_iteratorINS9_10device_ptrIfEEEESE_f11max_functorIfEfEEDaPvRmT3_T4_T5_mT6_P12ihipStream_tbENKUlT_T0_E_clISt17integral_constantIbLb0EESU_EEDaSP_SQ_EUlSP_E0_NS1_11comp_targetILNS1_3genE3ELNS1_11target_archE908ELNS1_3gpuE7ELNS1_3repE0EEENS1_30default_config_static_selectorELNS0_4arch9wavefront6targetE1EEEvT1_
		.amdhsa_group_segment_fixed_size 0
		.amdhsa_private_segment_fixed_size 0
		.amdhsa_kernarg_size 32
		.amdhsa_user_sgpr_count 6
		.amdhsa_user_sgpr_private_segment_buffer 1
		.amdhsa_user_sgpr_dispatch_ptr 0
		.amdhsa_user_sgpr_queue_ptr 0
		.amdhsa_user_sgpr_kernarg_segment_ptr 1
		.amdhsa_user_sgpr_dispatch_id 0
		.amdhsa_user_sgpr_flat_scratch_init 0
		.amdhsa_user_sgpr_kernarg_preload_length 0
		.amdhsa_user_sgpr_kernarg_preload_offset 0
		.amdhsa_user_sgpr_private_segment_size 0
		.amdhsa_uses_dynamic_stack 0
		.amdhsa_system_sgpr_private_segment_wavefront_offset 0
		.amdhsa_system_sgpr_workgroup_id_x 1
		.amdhsa_system_sgpr_workgroup_id_y 0
		.amdhsa_system_sgpr_workgroup_id_z 0
		.amdhsa_system_sgpr_workgroup_info 0
		.amdhsa_system_vgpr_workitem_id 0
		.amdhsa_next_free_vgpr 1
		.amdhsa_next_free_sgpr 0
		.amdhsa_accum_offset 4
		.amdhsa_reserve_vcc 0
		.amdhsa_reserve_flat_scratch 0
		.amdhsa_float_round_mode_32 0
		.amdhsa_float_round_mode_16_64 0
		.amdhsa_float_denorm_mode_32 3
		.amdhsa_float_denorm_mode_16_64 3
		.amdhsa_dx10_clamp 1
		.amdhsa_ieee_mode 1
		.amdhsa_fp16_overflow 0
		.amdhsa_tg_split 0
		.amdhsa_exception_fp_ieee_invalid_op 0
		.amdhsa_exception_fp_denorm_src 0
		.amdhsa_exception_fp_ieee_div_zero 0
		.amdhsa_exception_fp_ieee_overflow 0
		.amdhsa_exception_fp_ieee_underflow 0
		.amdhsa_exception_fp_ieee_inexact 0
		.amdhsa_exception_int_div_zero 0
	.end_amdhsa_kernel
	.section	.text._ZN7rocprim17ROCPRIM_400000_NS6detail17trampoline_kernelINS0_14default_configENS1_20scan_config_selectorIfEEZZNS1_9scan_implILNS1_25lookback_scan_determinismE0ELb1ELb1ES3_N6thrust23THRUST_200600_302600_NS6detail15normal_iteratorINS9_10device_ptrIfEEEESE_f11max_functorIfEfEEDaPvRmT3_T4_T5_mT6_P12ihipStream_tbENKUlT_T0_E_clISt17integral_constantIbLb0EESU_EEDaSP_SQ_EUlSP_E0_NS1_11comp_targetILNS1_3genE3ELNS1_11target_archE908ELNS1_3gpuE7ELNS1_3repE0EEENS1_30default_config_static_selectorELNS0_4arch9wavefront6targetE1EEEvT1_,"axG",@progbits,_ZN7rocprim17ROCPRIM_400000_NS6detail17trampoline_kernelINS0_14default_configENS1_20scan_config_selectorIfEEZZNS1_9scan_implILNS1_25lookback_scan_determinismE0ELb1ELb1ES3_N6thrust23THRUST_200600_302600_NS6detail15normal_iteratorINS9_10device_ptrIfEEEESE_f11max_functorIfEfEEDaPvRmT3_T4_T5_mT6_P12ihipStream_tbENKUlT_T0_E_clISt17integral_constantIbLb0EESU_EEDaSP_SQ_EUlSP_E0_NS1_11comp_targetILNS1_3genE3ELNS1_11target_archE908ELNS1_3gpuE7ELNS1_3repE0EEENS1_30default_config_static_selectorELNS0_4arch9wavefront6targetE1EEEvT1_,comdat
.Lfunc_end2027:
	.size	_ZN7rocprim17ROCPRIM_400000_NS6detail17trampoline_kernelINS0_14default_configENS1_20scan_config_selectorIfEEZZNS1_9scan_implILNS1_25lookback_scan_determinismE0ELb1ELb1ES3_N6thrust23THRUST_200600_302600_NS6detail15normal_iteratorINS9_10device_ptrIfEEEESE_f11max_functorIfEfEEDaPvRmT3_T4_T5_mT6_P12ihipStream_tbENKUlT_T0_E_clISt17integral_constantIbLb0EESU_EEDaSP_SQ_EUlSP_E0_NS1_11comp_targetILNS1_3genE3ELNS1_11target_archE908ELNS1_3gpuE7ELNS1_3repE0EEENS1_30default_config_static_selectorELNS0_4arch9wavefront6targetE1EEEvT1_, .Lfunc_end2027-_ZN7rocprim17ROCPRIM_400000_NS6detail17trampoline_kernelINS0_14default_configENS1_20scan_config_selectorIfEEZZNS1_9scan_implILNS1_25lookback_scan_determinismE0ELb1ELb1ES3_N6thrust23THRUST_200600_302600_NS6detail15normal_iteratorINS9_10device_ptrIfEEEESE_f11max_functorIfEfEEDaPvRmT3_T4_T5_mT6_P12ihipStream_tbENKUlT_T0_E_clISt17integral_constantIbLb0EESU_EEDaSP_SQ_EUlSP_E0_NS1_11comp_targetILNS1_3genE3ELNS1_11target_archE908ELNS1_3gpuE7ELNS1_3repE0EEENS1_30default_config_static_selectorELNS0_4arch9wavefront6targetE1EEEvT1_
                                        ; -- End function
	.section	.AMDGPU.csdata,"",@progbits
; Kernel info:
; codeLenInByte = 0
; NumSgprs: 4
; NumVgprs: 0
; NumAgprs: 0
; TotalNumVgprs: 0
; ScratchSize: 0
; MemoryBound: 0
; FloatMode: 240
; IeeeMode: 1
; LDSByteSize: 0 bytes/workgroup (compile time only)
; SGPRBlocks: 0
; VGPRBlocks: 0
; NumSGPRsForWavesPerEU: 4
; NumVGPRsForWavesPerEU: 1
; AccumOffset: 4
; Occupancy: 8
; WaveLimiterHint : 0
; COMPUTE_PGM_RSRC2:SCRATCH_EN: 0
; COMPUTE_PGM_RSRC2:USER_SGPR: 6
; COMPUTE_PGM_RSRC2:TRAP_HANDLER: 0
; COMPUTE_PGM_RSRC2:TGID_X_EN: 1
; COMPUTE_PGM_RSRC2:TGID_Y_EN: 0
; COMPUTE_PGM_RSRC2:TGID_Z_EN: 0
; COMPUTE_PGM_RSRC2:TIDIG_COMP_CNT: 0
; COMPUTE_PGM_RSRC3_GFX90A:ACCUM_OFFSET: 0
; COMPUTE_PGM_RSRC3_GFX90A:TG_SPLIT: 0
	.section	.text._ZN7rocprim17ROCPRIM_400000_NS6detail17trampoline_kernelINS0_14default_configENS1_20scan_config_selectorIfEEZZNS1_9scan_implILNS1_25lookback_scan_determinismE0ELb1ELb1ES3_N6thrust23THRUST_200600_302600_NS6detail15normal_iteratorINS9_10device_ptrIfEEEESE_f11max_functorIfEfEEDaPvRmT3_T4_T5_mT6_P12ihipStream_tbENKUlT_T0_E_clISt17integral_constantIbLb0EESU_EEDaSP_SQ_EUlSP_E0_NS1_11comp_targetILNS1_3genE2ELNS1_11target_archE906ELNS1_3gpuE6ELNS1_3repE0EEENS1_30default_config_static_selectorELNS0_4arch9wavefront6targetE1EEEvT1_,"axG",@progbits,_ZN7rocprim17ROCPRIM_400000_NS6detail17trampoline_kernelINS0_14default_configENS1_20scan_config_selectorIfEEZZNS1_9scan_implILNS1_25lookback_scan_determinismE0ELb1ELb1ES3_N6thrust23THRUST_200600_302600_NS6detail15normal_iteratorINS9_10device_ptrIfEEEESE_f11max_functorIfEfEEDaPvRmT3_T4_T5_mT6_P12ihipStream_tbENKUlT_T0_E_clISt17integral_constantIbLb0EESU_EEDaSP_SQ_EUlSP_E0_NS1_11comp_targetILNS1_3genE2ELNS1_11target_archE906ELNS1_3gpuE6ELNS1_3repE0EEENS1_30default_config_static_selectorELNS0_4arch9wavefront6targetE1EEEvT1_,comdat
	.protected	_ZN7rocprim17ROCPRIM_400000_NS6detail17trampoline_kernelINS0_14default_configENS1_20scan_config_selectorIfEEZZNS1_9scan_implILNS1_25lookback_scan_determinismE0ELb1ELb1ES3_N6thrust23THRUST_200600_302600_NS6detail15normal_iteratorINS9_10device_ptrIfEEEESE_f11max_functorIfEfEEDaPvRmT3_T4_T5_mT6_P12ihipStream_tbENKUlT_T0_E_clISt17integral_constantIbLb0EESU_EEDaSP_SQ_EUlSP_E0_NS1_11comp_targetILNS1_3genE2ELNS1_11target_archE906ELNS1_3gpuE6ELNS1_3repE0EEENS1_30default_config_static_selectorELNS0_4arch9wavefront6targetE1EEEvT1_ ; -- Begin function _ZN7rocprim17ROCPRIM_400000_NS6detail17trampoline_kernelINS0_14default_configENS1_20scan_config_selectorIfEEZZNS1_9scan_implILNS1_25lookback_scan_determinismE0ELb1ELb1ES3_N6thrust23THRUST_200600_302600_NS6detail15normal_iteratorINS9_10device_ptrIfEEEESE_f11max_functorIfEfEEDaPvRmT3_T4_T5_mT6_P12ihipStream_tbENKUlT_T0_E_clISt17integral_constantIbLb0EESU_EEDaSP_SQ_EUlSP_E0_NS1_11comp_targetILNS1_3genE2ELNS1_11target_archE906ELNS1_3gpuE6ELNS1_3repE0EEENS1_30default_config_static_selectorELNS0_4arch9wavefront6targetE1EEEvT1_
	.globl	_ZN7rocprim17ROCPRIM_400000_NS6detail17trampoline_kernelINS0_14default_configENS1_20scan_config_selectorIfEEZZNS1_9scan_implILNS1_25lookback_scan_determinismE0ELb1ELb1ES3_N6thrust23THRUST_200600_302600_NS6detail15normal_iteratorINS9_10device_ptrIfEEEESE_f11max_functorIfEfEEDaPvRmT3_T4_T5_mT6_P12ihipStream_tbENKUlT_T0_E_clISt17integral_constantIbLb0EESU_EEDaSP_SQ_EUlSP_E0_NS1_11comp_targetILNS1_3genE2ELNS1_11target_archE906ELNS1_3gpuE6ELNS1_3repE0EEENS1_30default_config_static_selectorELNS0_4arch9wavefront6targetE1EEEvT1_
	.p2align	8
	.type	_ZN7rocprim17ROCPRIM_400000_NS6detail17trampoline_kernelINS0_14default_configENS1_20scan_config_selectorIfEEZZNS1_9scan_implILNS1_25lookback_scan_determinismE0ELb1ELb1ES3_N6thrust23THRUST_200600_302600_NS6detail15normal_iteratorINS9_10device_ptrIfEEEESE_f11max_functorIfEfEEDaPvRmT3_T4_T5_mT6_P12ihipStream_tbENKUlT_T0_E_clISt17integral_constantIbLb0EESU_EEDaSP_SQ_EUlSP_E0_NS1_11comp_targetILNS1_3genE2ELNS1_11target_archE906ELNS1_3gpuE6ELNS1_3repE0EEENS1_30default_config_static_selectorELNS0_4arch9wavefront6targetE1EEEvT1_,@function
_ZN7rocprim17ROCPRIM_400000_NS6detail17trampoline_kernelINS0_14default_configENS1_20scan_config_selectorIfEEZZNS1_9scan_implILNS1_25lookback_scan_determinismE0ELb1ELb1ES3_N6thrust23THRUST_200600_302600_NS6detail15normal_iteratorINS9_10device_ptrIfEEEESE_f11max_functorIfEfEEDaPvRmT3_T4_T5_mT6_P12ihipStream_tbENKUlT_T0_E_clISt17integral_constantIbLb0EESU_EEDaSP_SQ_EUlSP_E0_NS1_11comp_targetILNS1_3genE2ELNS1_11target_archE906ELNS1_3gpuE6ELNS1_3repE0EEENS1_30default_config_static_selectorELNS0_4arch9wavefront6targetE1EEEvT1_: ; @_ZN7rocprim17ROCPRIM_400000_NS6detail17trampoline_kernelINS0_14default_configENS1_20scan_config_selectorIfEEZZNS1_9scan_implILNS1_25lookback_scan_determinismE0ELb1ELb1ES3_N6thrust23THRUST_200600_302600_NS6detail15normal_iteratorINS9_10device_ptrIfEEEESE_f11max_functorIfEfEEDaPvRmT3_T4_T5_mT6_P12ihipStream_tbENKUlT_T0_E_clISt17integral_constantIbLb0EESU_EEDaSP_SQ_EUlSP_E0_NS1_11comp_targetILNS1_3genE2ELNS1_11target_archE906ELNS1_3gpuE6ELNS1_3repE0EEENS1_30default_config_static_selectorELNS0_4arch9wavefront6targetE1EEEvT1_
; %bb.0:
	.section	.rodata,"a",@progbits
	.p2align	6, 0x0
	.amdhsa_kernel _ZN7rocprim17ROCPRIM_400000_NS6detail17trampoline_kernelINS0_14default_configENS1_20scan_config_selectorIfEEZZNS1_9scan_implILNS1_25lookback_scan_determinismE0ELb1ELb1ES3_N6thrust23THRUST_200600_302600_NS6detail15normal_iteratorINS9_10device_ptrIfEEEESE_f11max_functorIfEfEEDaPvRmT3_T4_T5_mT6_P12ihipStream_tbENKUlT_T0_E_clISt17integral_constantIbLb0EESU_EEDaSP_SQ_EUlSP_E0_NS1_11comp_targetILNS1_3genE2ELNS1_11target_archE906ELNS1_3gpuE6ELNS1_3repE0EEENS1_30default_config_static_selectorELNS0_4arch9wavefront6targetE1EEEvT1_
		.amdhsa_group_segment_fixed_size 0
		.amdhsa_private_segment_fixed_size 0
		.amdhsa_kernarg_size 32
		.amdhsa_user_sgpr_count 6
		.amdhsa_user_sgpr_private_segment_buffer 1
		.amdhsa_user_sgpr_dispatch_ptr 0
		.amdhsa_user_sgpr_queue_ptr 0
		.amdhsa_user_sgpr_kernarg_segment_ptr 1
		.amdhsa_user_sgpr_dispatch_id 0
		.amdhsa_user_sgpr_flat_scratch_init 0
		.amdhsa_user_sgpr_kernarg_preload_length 0
		.amdhsa_user_sgpr_kernarg_preload_offset 0
		.amdhsa_user_sgpr_private_segment_size 0
		.amdhsa_uses_dynamic_stack 0
		.amdhsa_system_sgpr_private_segment_wavefront_offset 0
		.amdhsa_system_sgpr_workgroup_id_x 1
		.amdhsa_system_sgpr_workgroup_id_y 0
		.amdhsa_system_sgpr_workgroup_id_z 0
		.amdhsa_system_sgpr_workgroup_info 0
		.amdhsa_system_vgpr_workitem_id 0
		.amdhsa_next_free_vgpr 1
		.amdhsa_next_free_sgpr 0
		.amdhsa_accum_offset 4
		.amdhsa_reserve_vcc 0
		.amdhsa_reserve_flat_scratch 0
		.amdhsa_float_round_mode_32 0
		.amdhsa_float_round_mode_16_64 0
		.amdhsa_float_denorm_mode_32 3
		.amdhsa_float_denorm_mode_16_64 3
		.amdhsa_dx10_clamp 1
		.amdhsa_ieee_mode 1
		.amdhsa_fp16_overflow 0
		.amdhsa_tg_split 0
		.amdhsa_exception_fp_ieee_invalid_op 0
		.amdhsa_exception_fp_denorm_src 0
		.amdhsa_exception_fp_ieee_div_zero 0
		.amdhsa_exception_fp_ieee_overflow 0
		.amdhsa_exception_fp_ieee_underflow 0
		.amdhsa_exception_fp_ieee_inexact 0
		.amdhsa_exception_int_div_zero 0
	.end_amdhsa_kernel
	.section	.text._ZN7rocprim17ROCPRIM_400000_NS6detail17trampoline_kernelINS0_14default_configENS1_20scan_config_selectorIfEEZZNS1_9scan_implILNS1_25lookback_scan_determinismE0ELb1ELb1ES3_N6thrust23THRUST_200600_302600_NS6detail15normal_iteratorINS9_10device_ptrIfEEEESE_f11max_functorIfEfEEDaPvRmT3_T4_T5_mT6_P12ihipStream_tbENKUlT_T0_E_clISt17integral_constantIbLb0EESU_EEDaSP_SQ_EUlSP_E0_NS1_11comp_targetILNS1_3genE2ELNS1_11target_archE906ELNS1_3gpuE6ELNS1_3repE0EEENS1_30default_config_static_selectorELNS0_4arch9wavefront6targetE1EEEvT1_,"axG",@progbits,_ZN7rocprim17ROCPRIM_400000_NS6detail17trampoline_kernelINS0_14default_configENS1_20scan_config_selectorIfEEZZNS1_9scan_implILNS1_25lookback_scan_determinismE0ELb1ELb1ES3_N6thrust23THRUST_200600_302600_NS6detail15normal_iteratorINS9_10device_ptrIfEEEESE_f11max_functorIfEfEEDaPvRmT3_T4_T5_mT6_P12ihipStream_tbENKUlT_T0_E_clISt17integral_constantIbLb0EESU_EEDaSP_SQ_EUlSP_E0_NS1_11comp_targetILNS1_3genE2ELNS1_11target_archE906ELNS1_3gpuE6ELNS1_3repE0EEENS1_30default_config_static_selectorELNS0_4arch9wavefront6targetE1EEEvT1_,comdat
.Lfunc_end2028:
	.size	_ZN7rocprim17ROCPRIM_400000_NS6detail17trampoline_kernelINS0_14default_configENS1_20scan_config_selectorIfEEZZNS1_9scan_implILNS1_25lookback_scan_determinismE0ELb1ELb1ES3_N6thrust23THRUST_200600_302600_NS6detail15normal_iteratorINS9_10device_ptrIfEEEESE_f11max_functorIfEfEEDaPvRmT3_T4_T5_mT6_P12ihipStream_tbENKUlT_T0_E_clISt17integral_constantIbLb0EESU_EEDaSP_SQ_EUlSP_E0_NS1_11comp_targetILNS1_3genE2ELNS1_11target_archE906ELNS1_3gpuE6ELNS1_3repE0EEENS1_30default_config_static_selectorELNS0_4arch9wavefront6targetE1EEEvT1_, .Lfunc_end2028-_ZN7rocprim17ROCPRIM_400000_NS6detail17trampoline_kernelINS0_14default_configENS1_20scan_config_selectorIfEEZZNS1_9scan_implILNS1_25lookback_scan_determinismE0ELb1ELb1ES3_N6thrust23THRUST_200600_302600_NS6detail15normal_iteratorINS9_10device_ptrIfEEEESE_f11max_functorIfEfEEDaPvRmT3_T4_T5_mT6_P12ihipStream_tbENKUlT_T0_E_clISt17integral_constantIbLb0EESU_EEDaSP_SQ_EUlSP_E0_NS1_11comp_targetILNS1_3genE2ELNS1_11target_archE906ELNS1_3gpuE6ELNS1_3repE0EEENS1_30default_config_static_selectorELNS0_4arch9wavefront6targetE1EEEvT1_
                                        ; -- End function
	.section	.AMDGPU.csdata,"",@progbits
; Kernel info:
; codeLenInByte = 0
; NumSgprs: 4
; NumVgprs: 0
; NumAgprs: 0
; TotalNumVgprs: 0
; ScratchSize: 0
; MemoryBound: 0
; FloatMode: 240
; IeeeMode: 1
; LDSByteSize: 0 bytes/workgroup (compile time only)
; SGPRBlocks: 0
; VGPRBlocks: 0
; NumSGPRsForWavesPerEU: 4
; NumVGPRsForWavesPerEU: 1
; AccumOffset: 4
; Occupancy: 8
; WaveLimiterHint : 0
; COMPUTE_PGM_RSRC2:SCRATCH_EN: 0
; COMPUTE_PGM_RSRC2:USER_SGPR: 6
; COMPUTE_PGM_RSRC2:TRAP_HANDLER: 0
; COMPUTE_PGM_RSRC2:TGID_X_EN: 1
; COMPUTE_PGM_RSRC2:TGID_Y_EN: 0
; COMPUTE_PGM_RSRC2:TGID_Z_EN: 0
; COMPUTE_PGM_RSRC2:TIDIG_COMP_CNT: 0
; COMPUTE_PGM_RSRC3_GFX90A:ACCUM_OFFSET: 0
; COMPUTE_PGM_RSRC3_GFX90A:TG_SPLIT: 0
	.section	.text._ZN7rocprim17ROCPRIM_400000_NS6detail17trampoline_kernelINS0_14default_configENS1_20scan_config_selectorIfEEZZNS1_9scan_implILNS1_25lookback_scan_determinismE0ELb1ELb1ES3_N6thrust23THRUST_200600_302600_NS6detail15normal_iteratorINS9_10device_ptrIfEEEESE_f11max_functorIfEfEEDaPvRmT3_T4_T5_mT6_P12ihipStream_tbENKUlT_T0_E_clISt17integral_constantIbLb0EESU_EEDaSP_SQ_EUlSP_E0_NS1_11comp_targetILNS1_3genE10ELNS1_11target_archE1201ELNS1_3gpuE5ELNS1_3repE0EEENS1_30default_config_static_selectorELNS0_4arch9wavefront6targetE1EEEvT1_,"axG",@progbits,_ZN7rocprim17ROCPRIM_400000_NS6detail17trampoline_kernelINS0_14default_configENS1_20scan_config_selectorIfEEZZNS1_9scan_implILNS1_25lookback_scan_determinismE0ELb1ELb1ES3_N6thrust23THRUST_200600_302600_NS6detail15normal_iteratorINS9_10device_ptrIfEEEESE_f11max_functorIfEfEEDaPvRmT3_T4_T5_mT6_P12ihipStream_tbENKUlT_T0_E_clISt17integral_constantIbLb0EESU_EEDaSP_SQ_EUlSP_E0_NS1_11comp_targetILNS1_3genE10ELNS1_11target_archE1201ELNS1_3gpuE5ELNS1_3repE0EEENS1_30default_config_static_selectorELNS0_4arch9wavefront6targetE1EEEvT1_,comdat
	.protected	_ZN7rocprim17ROCPRIM_400000_NS6detail17trampoline_kernelINS0_14default_configENS1_20scan_config_selectorIfEEZZNS1_9scan_implILNS1_25lookback_scan_determinismE0ELb1ELb1ES3_N6thrust23THRUST_200600_302600_NS6detail15normal_iteratorINS9_10device_ptrIfEEEESE_f11max_functorIfEfEEDaPvRmT3_T4_T5_mT6_P12ihipStream_tbENKUlT_T0_E_clISt17integral_constantIbLb0EESU_EEDaSP_SQ_EUlSP_E0_NS1_11comp_targetILNS1_3genE10ELNS1_11target_archE1201ELNS1_3gpuE5ELNS1_3repE0EEENS1_30default_config_static_selectorELNS0_4arch9wavefront6targetE1EEEvT1_ ; -- Begin function _ZN7rocprim17ROCPRIM_400000_NS6detail17trampoline_kernelINS0_14default_configENS1_20scan_config_selectorIfEEZZNS1_9scan_implILNS1_25lookback_scan_determinismE0ELb1ELb1ES3_N6thrust23THRUST_200600_302600_NS6detail15normal_iteratorINS9_10device_ptrIfEEEESE_f11max_functorIfEfEEDaPvRmT3_T4_T5_mT6_P12ihipStream_tbENKUlT_T0_E_clISt17integral_constantIbLb0EESU_EEDaSP_SQ_EUlSP_E0_NS1_11comp_targetILNS1_3genE10ELNS1_11target_archE1201ELNS1_3gpuE5ELNS1_3repE0EEENS1_30default_config_static_selectorELNS0_4arch9wavefront6targetE1EEEvT1_
	.globl	_ZN7rocprim17ROCPRIM_400000_NS6detail17trampoline_kernelINS0_14default_configENS1_20scan_config_selectorIfEEZZNS1_9scan_implILNS1_25lookback_scan_determinismE0ELb1ELb1ES3_N6thrust23THRUST_200600_302600_NS6detail15normal_iteratorINS9_10device_ptrIfEEEESE_f11max_functorIfEfEEDaPvRmT3_T4_T5_mT6_P12ihipStream_tbENKUlT_T0_E_clISt17integral_constantIbLb0EESU_EEDaSP_SQ_EUlSP_E0_NS1_11comp_targetILNS1_3genE10ELNS1_11target_archE1201ELNS1_3gpuE5ELNS1_3repE0EEENS1_30default_config_static_selectorELNS0_4arch9wavefront6targetE1EEEvT1_
	.p2align	8
	.type	_ZN7rocprim17ROCPRIM_400000_NS6detail17trampoline_kernelINS0_14default_configENS1_20scan_config_selectorIfEEZZNS1_9scan_implILNS1_25lookback_scan_determinismE0ELb1ELb1ES3_N6thrust23THRUST_200600_302600_NS6detail15normal_iteratorINS9_10device_ptrIfEEEESE_f11max_functorIfEfEEDaPvRmT3_T4_T5_mT6_P12ihipStream_tbENKUlT_T0_E_clISt17integral_constantIbLb0EESU_EEDaSP_SQ_EUlSP_E0_NS1_11comp_targetILNS1_3genE10ELNS1_11target_archE1201ELNS1_3gpuE5ELNS1_3repE0EEENS1_30default_config_static_selectorELNS0_4arch9wavefront6targetE1EEEvT1_,@function
_ZN7rocprim17ROCPRIM_400000_NS6detail17trampoline_kernelINS0_14default_configENS1_20scan_config_selectorIfEEZZNS1_9scan_implILNS1_25lookback_scan_determinismE0ELb1ELb1ES3_N6thrust23THRUST_200600_302600_NS6detail15normal_iteratorINS9_10device_ptrIfEEEESE_f11max_functorIfEfEEDaPvRmT3_T4_T5_mT6_P12ihipStream_tbENKUlT_T0_E_clISt17integral_constantIbLb0EESU_EEDaSP_SQ_EUlSP_E0_NS1_11comp_targetILNS1_3genE10ELNS1_11target_archE1201ELNS1_3gpuE5ELNS1_3repE0EEENS1_30default_config_static_selectorELNS0_4arch9wavefront6targetE1EEEvT1_: ; @_ZN7rocprim17ROCPRIM_400000_NS6detail17trampoline_kernelINS0_14default_configENS1_20scan_config_selectorIfEEZZNS1_9scan_implILNS1_25lookback_scan_determinismE0ELb1ELb1ES3_N6thrust23THRUST_200600_302600_NS6detail15normal_iteratorINS9_10device_ptrIfEEEESE_f11max_functorIfEfEEDaPvRmT3_T4_T5_mT6_P12ihipStream_tbENKUlT_T0_E_clISt17integral_constantIbLb0EESU_EEDaSP_SQ_EUlSP_E0_NS1_11comp_targetILNS1_3genE10ELNS1_11target_archE1201ELNS1_3gpuE5ELNS1_3repE0EEENS1_30default_config_static_selectorELNS0_4arch9wavefront6targetE1EEEvT1_
; %bb.0:
	.section	.rodata,"a",@progbits
	.p2align	6, 0x0
	.amdhsa_kernel _ZN7rocprim17ROCPRIM_400000_NS6detail17trampoline_kernelINS0_14default_configENS1_20scan_config_selectorIfEEZZNS1_9scan_implILNS1_25lookback_scan_determinismE0ELb1ELb1ES3_N6thrust23THRUST_200600_302600_NS6detail15normal_iteratorINS9_10device_ptrIfEEEESE_f11max_functorIfEfEEDaPvRmT3_T4_T5_mT6_P12ihipStream_tbENKUlT_T0_E_clISt17integral_constantIbLb0EESU_EEDaSP_SQ_EUlSP_E0_NS1_11comp_targetILNS1_3genE10ELNS1_11target_archE1201ELNS1_3gpuE5ELNS1_3repE0EEENS1_30default_config_static_selectorELNS0_4arch9wavefront6targetE1EEEvT1_
		.amdhsa_group_segment_fixed_size 0
		.amdhsa_private_segment_fixed_size 0
		.amdhsa_kernarg_size 32
		.amdhsa_user_sgpr_count 6
		.amdhsa_user_sgpr_private_segment_buffer 1
		.amdhsa_user_sgpr_dispatch_ptr 0
		.amdhsa_user_sgpr_queue_ptr 0
		.amdhsa_user_sgpr_kernarg_segment_ptr 1
		.amdhsa_user_sgpr_dispatch_id 0
		.amdhsa_user_sgpr_flat_scratch_init 0
		.amdhsa_user_sgpr_kernarg_preload_length 0
		.amdhsa_user_sgpr_kernarg_preload_offset 0
		.amdhsa_user_sgpr_private_segment_size 0
		.amdhsa_uses_dynamic_stack 0
		.amdhsa_system_sgpr_private_segment_wavefront_offset 0
		.amdhsa_system_sgpr_workgroup_id_x 1
		.amdhsa_system_sgpr_workgroup_id_y 0
		.amdhsa_system_sgpr_workgroup_id_z 0
		.amdhsa_system_sgpr_workgroup_info 0
		.amdhsa_system_vgpr_workitem_id 0
		.amdhsa_next_free_vgpr 1
		.amdhsa_next_free_sgpr 0
		.amdhsa_accum_offset 4
		.amdhsa_reserve_vcc 0
		.amdhsa_reserve_flat_scratch 0
		.amdhsa_float_round_mode_32 0
		.amdhsa_float_round_mode_16_64 0
		.amdhsa_float_denorm_mode_32 3
		.amdhsa_float_denorm_mode_16_64 3
		.amdhsa_dx10_clamp 1
		.amdhsa_ieee_mode 1
		.amdhsa_fp16_overflow 0
		.amdhsa_tg_split 0
		.amdhsa_exception_fp_ieee_invalid_op 0
		.amdhsa_exception_fp_denorm_src 0
		.amdhsa_exception_fp_ieee_div_zero 0
		.amdhsa_exception_fp_ieee_overflow 0
		.amdhsa_exception_fp_ieee_underflow 0
		.amdhsa_exception_fp_ieee_inexact 0
		.amdhsa_exception_int_div_zero 0
	.end_amdhsa_kernel
	.section	.text._ZN7rocprim17ROCPRIM_400000_NS6detail17trampoline_kernelINS0_14default_configENS1_20scan_config_selectorIfEEZZNS1_9scan_implILNS1_25lookback_scan_determinismE0ELb1ELb1ES3_N6thrust23THRUST_200600_302600_NS6detail15normal_iteratorINS9_10device_ptrIfEEEESE_f11max_functorIfEfEEDaPvRmT3_T4_T5_mT6_P12ihipStream_tbENKUlT_T0_E_clISt17integral_constantIbLb0EESU_EEDaSP_SQ_EUlSP_E0_NS1_11comp_targetILNS1_3genE10ELNS1_11target_archE1201ELNS1_3gpuE5ELNS1_3repE0EEENS1_30default_config_static_selectorELNS0_4arch9wavefront6targetE1EEEvT1_,"axG",@progbits,_ZN7rocprim17ROCPRIM_400000_NS6detail17trampoline_kernelINS0_14default_configENS1_20scan_config_selectorIfEEZZNS1_9scan_implILNS1_25lookback_scan_determinismE0ELb1ELb1ES3_N6thrust23THRUST_200600_302600_NS6detail15normal_iteratorINS9_10device_ptrIfEEEESE_f11max_functorIfEfEEDaPvRmT3_T4_T5_mT6_P12ihipStream_tbENKUlT_T0_E_clISt17integral_constantIbLb0EESU_EEDaSP_SQ_EUlSP_E0_NS1_11comp_targetILNS1_3genE10ELNS1_11target_archE1201ELNS1_3gpuE5ELNS1_3repE0EEENS1_30default_config_static_selectorELNS0_4arch9wavefront6targetE1EEEvT1_,comdat
.Lfunc_end2029:
	.size	_ZN7rocprim17ROCPRIM_400000_NS6detail17trampoline_kernelINS0_14default_configENS1_20scan_config_selectorIfEEZZNS1_9scan_implILNS1_25lookback_scan_determinismE0ELb1ELb1ES3_N6thrust23THRUST_200600_302600_NS6detail15normal_iteratorINS9_10device_ptrIfEEEESE_f11max_functorIfEfEEDaPvRmT3_T4_T5_mT6_P12ihipStream_tbENKUlT_T0_E_clISt17integral_constantIbLb0EESU_EEDaSP_SQ_EUlSP_E0_NS1_11comp_targetILNS1_3genE10ELNS1_11target_archE1201ELNS1_3gpuE5ELNS1_3repE0EEENS1_30default_config_static_selectorELNS0_4arch9wavefront6targetE1EEEvT1_, .Lfunc_end2029-_ZN7rocprim17ROCPRIM_400000_NS6detail17trampoline_kernelINS0_14default_configENS1_20scan_config_selectorIfEEZZNS1_9scan_implILNS1_25lookback_scan_determinismE0ELb1ELb1ES3_N6thrust23THRUST_200600_302600_NS6detail15normal_iteratorINS9_10device_ptrIfEEEESE_f11max_functorIfEfEEDaPvRmT3_T4_T5_mT6_P12ihipStream_tbENKUlT_T0_E_clISt17integral_constantIbLb0EESU_EEDaSP_SQ_EUlSP_E0_NS1_11comp_targetILNS1_3genE10ELNS1_11target_archE1201ELNS1_3gpuE5ELNS1_3repE0EEENS1_30default_config_static_selectorELNS0_4arch9wavefront6targetE1EEEvT1_
                                        ; -- End function
	.section	.AMDGPU.csdata,"",@progbits
; Kernel info:
; codeLenInByte = 0
; NumSgprs: 4
; NumVgprs: 0
; NumAgprs: 0
; TotalNumVgprs: 0
; ScratchSize: 0
; MemoryBound: 0
; FloatMode: 240
; IeeeMode: 1
; LDSByteSize: 0 bytes/workgroup (compile time only)
; SGPRBlocks: 0
; VGPRBlocks: 0
; NumSGPRsForWavesPerEU: 4
; NumVGPRsForWavesPerEU: 1
; AccumOffset: 4
; Occupancy: 8
; WaveLimiterHint : 0
; COMPUTE_PGM_RSRC2:SCRATCH_EN: 0
; COMPUTE_PGM_RSRC2:USER_SGPR: 6
; COMPUTE_PGM_RSRC2:TRAP_HANDLER: 0
; COMPUTE_PGM_RSRC2:TGID_X_EN: 1
; COMPUTE_PGM_RSRC2:TGID_Y_EN: 0
; COMPUTE_PGM_RSRC2:TGID_Z_EN: 0
; COMPUTE_PGM_RSRC2:TIDIG_COMP_CNT: 0
; COMPUTE_PGM_RSRC3_GFX90A:ACCUM_OFFSET: 0
; COMPUTE_PGM_RSRC3_GFX90A:TG_SPLIT: 0
	.section	.text._ZN7rocprim17ROCPRIM_400000_NS6detail17trampoline_kernelINS0_14default_configENS1_20scan_config_selectorIfEEZZNS1_9scan_implILNS1_25lookback_scan_determinismE0ELb1ELb1ES3_N6thrust23THRUST_200600_302600_NS6detail15normal_iteratorINS9_10device_ptrIfEEEESE_f11max_functorIfEfEEDaPvRmT3_T4_T5_mT6_P12ihipStream_tbENKUlT_T0_E_clISt17integral_constantIbLb0EESU_EEDaSP_SQ_EUlSP_E0_NS1_11comp_targetILNS1_3genE10ELNS1_11target_archE1200ELNS1_3gpuE4ELNS1_3repE0EEENS1_30default_config_static_selectorELNS0_4arch9wavefront6targetE1EEEvT1_,"axG",@progbits,_ZN7rocprim17ROCPRIM_400000_NS6detail17trampoline_kernelINS0_14default_configENS1_20scan_config_selectorIfEEZZNS1_9scan_implILNS1_25lookback_scan_determinismE0ELb1ELb1ES3_N6thrust23THRUST_200600_302600_NS6detail15normal_iteratorINS9_10device_ptrIfEEEESE_f11max_functorIfEfEEDaPvRmT3_T4_T5_mT6_P12ihipStream_tbENKUlT_T0_E_clISt17integral_constantIbLb0EESU_EEDaSP_SQ_EUlSP_E0_NS1_11comp_targetILNS1_3genE10ELNS1_11target_archE1200ELNS1_3gpuE4ELNS1_3repE0EEENS1_30default_config_static_selectorELNS0_4arch9wavefront6targetE1EEEvT1_,comdat
	.protected	_ZN7rocprim17ROCPRIM_400000_NS6detail17trampoline_kernelINS0_14default_configENS1_20scan_config_selectorIfEEZZNS1_9scan_implILNS1_25lookback_scan_determinismE0ELb1ELb1ES3_N6thrust23THRUST_200600_302600_NS6detail15normal_iteratorINS9_10device_ptrIfEEEESE_f11max_functorIfEfEEDaPvRmT3_T4_T5_mT6_P12ihipStream_tbENKUlT_T0_E_clISt17integral_constantIbLb0EESU_EEDaSP_SQ_EUlSP_E0_NS1_11comp_targetILNS1_3genE10ELNS1_11target_archE1200ELNS1_3gpuE4ELNS1_3repE0EEENS1_30default_config_static_selectorELNS0_4arch9wavefront6targetE1EEEvT1_ ; -- Begin function _ZN7rocprim17ROCPRIM_400000_NS6detail17trampoline_kernelINS0_14default_configENS1_20scan_config_selectorIfEEZZNS1_9scan_implILNS1_25lookback_scan_determinismE0ELb1ELb1ES3_N6thrust23THRUST_200600_302600_NS6detail15normal_iteratorINS9_10device_ptrIfEEEESE_f11max_functorIfEfEEDaPvRmT3_T4_T5_mT6_P12ihipStream_tbENKUlT_T0_E_clISt17integral_constantIbLb0EESU_EEDaSP_SQ_EUlSP_E0_NS1_11comp_targetILNS1_3genE10ELNS1_11target_archE1200ELNS1_3gpuE4ELNS1_3repE0EEENS1_30default_config_static_selectorELNS0_4arch9wavefront6targetE1EEEvT1_
	.globl	_ZN7rocprim17ROCPRIM_400000_NS6detail17trampoline_kernelINS0_14default_configENS1_20scan_config_selectorIfEEZZNS1_9scan_implILNS1_25lookback_scan_determinismE0ELb1ELb1ES3_N6thrust23THRUST_200600_302600_NS6detail15normal_iteratorINS9_10device_ptrIfEEEESE_f11max_functorIfEfEEDaPvRmT3_T4_T5_mT6_P12ihipStream_tbENKUlT_T0_E_clISt17integral_constantIbLb0EESU_EEDaSP_SQ_EUlSP_E0_NS1_11comp_targetILNS1_3genE10ELNS1_11target_archE1200ELNS1_3gpuE4ELNS1_3repE0EEENS1_30default_config_static_selectorELNS0_4arch9wavefront6targetE1EEEvT1_
	.p2align	8
	.type	_ZN7rocprim17ROCPRIM_400000_NS6detail17trampoline_kernelINS0_14default_configENS1_20scan_config_selectorIfEEZZNS1_9scan_implILNS1_25lookback_scan_determinismE0ELb1ELb1ES3_N6thrust23THRUST_200600_302600_NS6detail15normal_iteratorINS9_10device_ptrIfEEEESE_f11max_functorIfEfEEDaPvRmT3_T4_T5_mT6_P12ihipStream_tbENKUlT_T0_E_clISt17integral_constantIbLb0EESU_EEDaSP_SQ_EUlSP_E0_NS1_11comp_targetILNS1_3genE10ELNS1_11target_archE1200ELNS1_3gpuE4ELNS1_3repE0EEENS1_30default_config_static_selectorELNS0_4arch9wavefront6targetE1EEEvT1_,@function
_ZN7rocprim17ROCPRIM_400000_NS6detail17trampoline_kernelINS0_14default_configENS1_20scan_config_selectorIfEEZZNS1_9scan_implILNS1_25lookback_scan_determinismE0ELb1ELb1ES3_N6thrust23THRUST_200600_302600_NS6detail15normal_iteratorINS9_10device_ptrIfEEEESE_f11max_functorIfEfEEDaPvRmT3_T4_T5_mT6_P12ihipStream_tbENKUlT_T0_E_clISt17integral_constantIbLb0EESU_EEDaSP_SQ_EUlSP_E0_NS1_11comp_targetILNS1_3genE10ELNS1_11target_archE1200ELNS1_3gpuE4ELNS1_3repE0EEENS1_30default_config_static_selectorELNS0_4arch9wavefront6targetE1EEEvT1_: ; @_ZN7rocprim17ROCPRIM_400000_NS6detail17trampoline_kernelINS0_14default_configENS1_20scan_config_selectorIfEEZZNS1_9scan_implILNS1_25lookback_scan_determinismE0ELb1ELb1ES3_N6thrust23THRUST_200600_302600_NS6detail15normal_iteratorINS9_10device_ptrIfEEEESE_f11max_functorIfEfEEDaPvRmT3_T4_T5_mT6_P12ihipStream_tbENKUlT_T0_E_clISt17integral_constantIbLb0EESU_EEDaSP_SQ_EUlSP_E0_NS1_11comp_targetILNS1_3genE10ELNS1_11target_archE1200ELNS1_3gpuE4ELNS1_3repE0EEENS1_30default_config_static_selectorELNS0_4arch9wavefront6targetE1EEEvT1_
; %bb.0:
	.section	.rodata,"a",@progbits
	.p2align	6, 0x0
	.amdhsa_kernel _ZN7rocprim17ROCPRIM_400000_NS6detail17trampoline_kernelINS0_14default_configENS1_20scan_config_selectorIfEEZZNS1_9scan_implILNS1_25lookback_scan_determinismE0ELb1ELb1ES3_N6thrust23THRUST_200600_302600_NS6detail15normal_iteratorINS9_10device_ptrIfEEEESE_f11max_functorIfEfEEDaPvRmT3_T4_T5_mT6_P12ihipStream_tbENKUlT_T0_E_clISt17integral_constantIbLb0EESU_EEDaSP_SQ_EUlSP_E0_NS1_11comp_targetILNS1_3genE10ELNS1_11target_archE1200ELNS1_3gpuE4ELNS1_3repE0EEENS1_30default_config_static_selectorELNS0_4arch9wavefront6targetE1EEEvT1_
		.amdhsa_group_segment_fixed_size 0
		.amdhsa_private_segment_fixed_size 0
		.amdhsa_kernarg_size 32
		.amdhsa_user_sgpr_count 6
		.amdhsa_user_sgpr_private_segment_buffer 1
		.amdhsa_user_sgpr_dispatch_ptr 0
		.amdhsa_user_sgpr_queue_ptr 0
		.amdhsa_user_sgpr_kernarg_segment_ptr 1
		.amdhsa_user_sgpr_dispatch_id 0
		.amdhsa_user_sgpr_flat_scratch_init 0
		.amdhsa_user_sgpr_kernarg_preload_length 0
		.amdhsa_user_sgpr_kernarg_preload_offset 0
		.amdhsa_user_sgpr_private_segment_size 0
		.amdhsa_uses_dynamic_stack 0
		.amdhsa_system_sgpr_private_segment_wavefront_offset 0
		.amdhsa_system_sgpr_workgroup_id_x 1
		.amdhsa_system_sgpr_workgroup_id_y 0
		.amdhsa_system_sgpr_workgroup_id_z 0
		.amdhsa_system_sgpr_workgroup_info 0
		.amdhsa_system_vgpr_workitem_id 0
		.amdhsa_next_free_vgpr 1
		.amdhsa_next_free_sgpr 0
		.amdhsa_accum_offset 4
		.amdhsa_reserve_vcc 0
		.amdhsa_reserve_flat_scratch 0
		.amdhsa_float_round_mode_32 0
		.amdhsa_float_round_mode_16_64 0
		.amdhsa_float_denorm_mode_32 3
		.amdhsa_float_denorm_mode_16_64 3
		.amdhsa_dx10_clamp 1
		.amdhsa_ieee_mode 1
		.amdhsa_fp16_overflow 0
		.amdhsa_tg_split 0
		.amdhsa_exception_fp_ieee_invalid_op 0
		.amdhsa_exception_fp_denorm_src 0
		.amdhsa_exception_fp_ieee_div_zero 0
		.amdhsa_exception_fp_ieee_overflow 0
		.amdhsa_exception_fp_ieee_underflow 0
		.amdhsa_exception_fp_ieee_inexact 0
		.amdhsa_exception_int_div_zero 0
	.end_amdhsa_kernel
	.section	.text._ZN7rocprim17ROCPRIM_400000_NS6detail17trampoline_kernelINS0_14default_configENS1_20scan_config_selectorIfEEZZNS1_9scan_implILNS1_25lookback_scan_determinismE0ELb1ELb1ES3_N6thrust23THRUST_200600_302600_NS6detail15normal_iteratorINS9_10device_ptrIfEEEESE_f11max_functorIfEfEEDaPvRmT3_T4_T5_mT6_P12ihipStream_tbENKUlT_T0_E_clISt17integral_constantIbLb0EESU_EEDaSP_SQ_EUlSP_E0_NS1_11comp_targetILNS1_3genE10ELNS1_11target_archE1200ELNS1_3gpuE4ELNS1_3repE0EEENS1_30default_config_static_selectorELNS0_4arch9wavefront6targetE1EEEvT1_,"axG",@progbits,_ZN7rocprim17ROCPRIM_400000_NS6detail17trampoline_kernelINS0_14default_configENS1_20scan_config_selectorIfEEZZNS1_9scan_implILNS1_25lookback_scan_determinismE0ELb1ELb1ES3_N6thrust23THRUST_200600_302600_NS6detail15normal_iteratorINS9_10device_ptrIfEEEESE_f11max_functorIfEfEEDaPvRmT3_T4_T5_mT6_P12ihipStream_tbENKUlT_T0_E_clISt17integral_constantIbLb0EESU_EEDaSP_SQ_EUlSP_E0_NS1_11comp_targetILNS1_3genE10ELNS1_11target_archE1200ELNS1_3gpuE4ELNS1_3repE0EEENS1_30default_config_static_selectorELNS0_4arch9wavefront6targetE1EEEvT1_,comdat
.Lfunc_end2030:
	.size	_ZN7rocprim17ROCPRIM_400000_NS6detail17trampoline_kernelINS0_14default_configENS1_20scan_config_selectorIfEEZZNS1_9scan_implILNS1_25lookback_scan_determinismE0ELb1ELb1ES3_N6thrust23THRUST_200600_302600_NS6detail15normal_iteratorINS9_10device_ptrIfEEEESE_f11max_functorIfEfEEDaPvRmT3_T4_T5_mT6_P12ihipStream_tbENKUlT_T0_E_clISt17integral_constantIbLb0EESU_EEDaSP_SQ_EUlSP_E0_NS1_11comp_targetILNS1_3genE10ELNS1_11target_archE1200ELNS1_3gpuE4ELNS1_3repE0EEENS1_30default_config_static_selectorELNS0_4arch9wavefront6targetE1EEEvT1_, .Lfunc_end2030-_ZN7rocprim17ROCPRIM_400000_NS6detail17trampoline_kernelINS0_14default_configENS1_20scan_config_selectorIfEEZZNS1_9scan_implILNS1_25lookback_scan_determinismE0ELb1ELb1ES3_N6thrust23THRUST_200600_302600_NS6detail15normal_iteratorINS9_10device_ptrIfEEEESE_f11max_functorIfEfEEDaPvRmT3_T4_T5_mT6_P12ihipStream_tbENKUlT_T0_E_clISt17integral_constantIbLb0EESU_EEDaSP_SQ_EUlSP_E0_NS1_11comp_targetILNS1_3genE10ELNS1_11target_archE1200ELNS1_3gpuE4ELNS1_3repE0EEENS1_30default_config_static_selectorELNS0_4arch9wavefront6targetE1EEEvT1_
                                        ; -- End function
	.section	.AMDGPU.csdata,"",@progbits
; Kernel info:
; codeLenInByte = 0
; NumSgprs: 4
; NumVgprs: 0
; NumAgprs: 0
; TotalNumVgprs: 0
; ScratchSize: 0
; MemoryBound: 0
; FloatMode: 240
; IeeeMode: 1
; LDSByteSize: 0 bytes/workgroup (compile time only)
; SGPRBlocks: 0
; VGPRBlocks: 0
; NumSGPRsForWavesPerEU: 4
; NumVGPRsForWavesPerEU: 1
; AccumOffset: 4
; Occupancy: 8
; WaveLimiterHint : 0
; COMPUTE_PGM_RSRC2:SCRATCH_EN: 0
; COMPUTE_PGM_RSRC2:USER_SGPR: 6
; COMPUTE_PGM_RSRC2:TRAP_HANDLER: 0
; COMPUTE_PGM_RSRC2:TGID_X_EN: 1
; COMPUTE_PGM_RSRC2:TGID_Y_EN: 0
; COMPUTE_PGM_RSRC2:TGID_Z_EN: 0
; COMPUTE_PGM_RSRC2:TIDIG_COMP_CNT: 0
; COMPUTE_PGM_RSRC3_GFX90A:ACCUM_OFFSET: 0
; COMPUTE_PGM_RSRC3_GFX90A:TG_SPLIT: 0
	.section	.text._ZN7rocprim17ROCPRIM_400000_NS6detail17trampoline_kernelINS0_14default_configENS1_20scan_config_selectorIfEEZZNS1_9scan_implILNS1_25lookback_scan_determinismE0ELb1ELb1ES3_N6thrust23THRUST_200600_302600_NS6detail15normal_iteratorINS9_10device_ptrIfEEEESE_f11max_functorIfEfEEDaPvRmT3_T4_T5_mT6_P12ihipStream_tbENKUlT_T0_E_clISt17integral_constantIbLb0EESU_EEDaSP_SQ_EUlSP_E0_NS1_11comp_targetILNS1_3genE9ELNS1_11target_archE1100ELNS1_3gpuE3ELNS1_3repE0EEENS1_30default_config_static_selectorELNS0_4arch9wavefront6targetE1EEEvT1_,"axG",@progbits,_ZN7rocprim17ROCPRIM_400000_NS6detail17trampoline_kernelINS0_14default_configENS1_20scan_config_selectorIfEEZZNS1_9scan_implILNS1_25lookback_scan_determinismE0ELb1ELb1ES3_N6thrust23THRUST_200600_302600_NS6detail15normal_iteratorINS9_10device_ptrIfEEEESE_f11max_functorIfEfEEDaPvRmT3_T4_T5_mT6_P12ihipStream_tbENKUlT_T0_E_clISt17integral_constantIbLb0EESU_EEDaSP_SQ_EUlSP_E0_NS1_11comp_targetILNS1_3genE9ELNS1_11target_archE1100ELNS1_3gpuE3ELNS1_3repE0EEENS1_30default_config_static_selectorELNS0_4arch9wavefront6targetE1EEEvT1_,comdat
	.protected	_ZN7rocprim17ROCPRIM_400000_NS6detail17trampoline_kernelINS0_14default_configENS1_20scan_config_selectorIfEEZZNS1_9scan_implILNS1_25lookback_scan_determinismE0ELb1ELb1ES3_N6thrust23THRUST_200600_302600_NS6detail15normal_iteratorINS9_10device_ptrIfEEEESE_f11max_functorIfEfEEDaPvRmT3_T4_T5_mT6_P12ihipStream_tbENKUlT_T0_E_clISt17integral_constantIbLb0EESU_EEDaSP_SQ_EUlSP_E0_NS1_11comp_targetILNS1_3genE9ELNS1_11target_archE1100ELNS1_3gpuE3ELNS1_3repE0EEENS1_30default_config_static_selectorELNS0_4arch9wavefront6targetE1EEEvT1_ ; -- Begin function _ZN7rocprim17ROCPRIM_400000_NS6detail17trampoline_kernelINS0_14default_configENS1_20scan_config_selectorIfEEZZNS1_9scan_implILNS1_25lookback_scan_determinismE0ELb1ELb1ES3_N6thrust23THRUST_200600_302600_NS6detail15normal_iteratorINS9_10device_ptrIfEEEESE_f11max_functorIfEfEEDaPvRmT3_T4_T5_mT6_P12ihipStream_tbENKUlT_T0_E_clISt17integral_constantIbLb0EESU_EEDaSP_SQ_EUlSP_E0_NS1_11comp_targetILNS1_3genE9ELNS1_11target_archE1100ELNS1_3gpuE3ELNS1_3repE0EEENS1_30default_config_static_selectorELNS0_4arch9wavefront6targetE1EEEvT1_
	.globl	_ZN7rocprim17ROCPRIM_400000_NS6detail17trampoline_kernelINS0_14default_configENS1_20scan_config_selectorIfEEZZNS1_9scan_implILNS1_25lookback_scan_determinismE0ELb1ELb1ES3_N6thrust23THRUST_200600_302600_NS6detail15normal_iteratorINS9_10device_ptrIfEEEESE_f11max_functorIfEfEEDaPvRmT3_T4_T5_mT6_P12ihipStream_tbENKUlT_T0_E_clISt17integral_constantIbLb0EESU_EEDaSP_SQ_EUlSP_E0_NS1_11comp_targetILNS1_3genE9ELNS1_11target_archE1100ELNS1_3gpuE3ELNS1_3repE0EEENS1_30default_config_static_selectorELNS0_4arch9wavefront6targetE1EEEvT1_
	.p2align	8
	.type	_ZN7rocprim17ROCPRIM_400000_NS6detail17trampoline_kernelINS0_14default_configENS1_20scan_config_selectorIfEEZZNS1_9scan_implILNS1_25lookback_scan_determinismE0ELb1ELb1ES3_N6thrust23THRUST_200600_302600_NS6detail15normal_iteratorINS9_10device_ptrIfEEEESE_f11max_functorIfEfEEDaPvRmT3_T4_T5_mT6_P12ihipStream_tbENKUlT_T0_E_clISt17integral_constantIbLb0EESU_EEDaSP_SQ_EUlSP_E0_NS1_11comp_targetILNS1_3genE9ELNS1_11target_archE1100ELNS1_3gpuE3ELNS1_3repE0EEENS1_30default_config_static_selectorELNS0_4arch9wavefront6targetE1EEEvT1_,@function
_ZN7rocprim17ROCPRIM_400000_NS6detail17trampoline_kernelINS0_14default_configENS1_20scan_config_selectorIfEEZZNS1_9scan_implILNS1_25lookback_scan_determinismE0ELb1ELb1ES3_N6thrust23THRUST_200600_302600_NS6detail15normal_iteratorINS9_10device_ptrIfEEEESE_f11max_functorIfEfEEDaPvRmT3_T4_T5_mT6_P12ihipStream_tbENKUlT_T0_E_clISt17integral_constantIbLb0EESU_EEDaSP_SQ_EUlSP_E0_NS1_11comp_targetILNS1_3genE9ELNS1_11target_archE1100ELNS1_3gpuE3ELNS1_3repE0EEENS1_30default_config_static_selectorELNS0_4arch9wavefront6targetE1EEEvT1_: ; @_ZN7rocprim17ROCPRIM_400000_NS6detail17trampoline_kernelINS0_14default_configENS1_20scan_config_selectorIfEEZZNS1_9scan_implILNS1_25lookback_scan_determinismE0ELb1ELb1ES3_N6thrust23THRUST_200600_302600_NS6detail15normal_iteratorINS9_10device_ptrIfEEEESE_f11max_functorIfEfEEDaPvRmT3_T4_T5_mT6_P12ihipStream_tbENKUlT_T0_E_clISt17integral_constantIbLb0EESU_EEDaSP_SQ_EUlSP_E0_NS1_11comp_targetILNS1_3genE9ELNS1_11target_archE1100ELNS1_3gpuE3ELNS1_3repE0EEENS1_30default_config_static_selectorELNS0_4arch9wavefront6targetE1EEEvT1_
; %bb.0:
	.section	.rodata,"a",@progbits
	.p2align	6, 0x0
	.amdhsa_kernel _ZN7rocprim17ROCPRIM_400000_NS6detail17trampoline_kernelINS0_14default_configENS1_20scan_config_selectorIfEEZZNS1_9scan_implILNS1_25lookback_scan_determinismE0ELb1ELb1ES3_N6thrust23THRUST_200600_302600_NS6detail15normal_iteratorINS9_10device_ptrIfEEEESE_f11max_functorIfEfEEDaPvRmT3_T4_T5_mT6_P12ihipStream_tbENKUlT_T0_E_clISt17integral_constantIbLb0EESU_EEDaSP_SQ_EUlSP_E0_NS1_11comp_targetILNS1_3genE9ELNS1_11target_archE1100ELNS1_3gpuE3ELNS1_3repE0EEENS1_30default_config_static_selectorELNS0_4arch9wavefront6targetE1EEEvT1_
		.amdhsa_group_segment_fixed_size 0
		.amdhsa_private_segment_fixed_size 0
		.amdhsa_kernarg_size 32
		.amdhsa_user_sgpr_count 6
		.amdhsa_user_sgpr_private_segment_buffer 1
		.amdhsa_user_sgpr_dispatch_ptr 0
		.amdhsa_user_sgpr_queue_ptr 0
		.amdhsa_user_sgpr_kernarg_segment_ptr 1
		.amdhsa_user_sgpr_dispatch_id 0
		.amdhsa_user_sgpr_flat_scratch_init 0
		.amdhsa_user_sgpr_kernarg_preload_length 0
		.amdhsa_user_sgpr_kernarg_preload_offset 0
		.amdhsa_user_sgpr_private_segment_size 0
		.amdhsa_uses_dynamic_stack 0
		.amdhsa_system_sgpr_private_segment_wavefront_offset 0
		.amdhsa_system_sgpr_workgroup_id_x 1
		.amdhsa_system_sgpr_workgroup_id_y 0
		.amdhsa_system_sgpr_workgroup_id_z 0
		.amdhsa_system_sgpr_workgroup_info 0
		.amdhsa_system_vgpr_workitem_id 0
		.amdhsa_next_free_vgpr 1
		.amdhsa_next_free_sgpr 0
		.amdhsa_accum_offset 4
		.amdhsa_reserve_vcc 0
		.amdhsa_reserve_flat_scratch 0
		.amdhsa_float_round_mode_32 0
		.amdhsa_float_round_mode_16_64 0
		.amdhsa_float_denorm_mode_32 3
		.amdhsa_float_denorm_mode_16_64 3
		.amdhsa_dx10_clamp 1
		.amdhsa_ieee_mode 1
		.amdhsa_fp16_overflow 0
		.amdhsa_tg_split 0
		.amdhsa_exception_fp_ieee_invalid_op 0
		.amdhsa_exception_fp_denorm_src 0
		.amdhsa_exception_fp_ieee_div_zero 0
		.amdhsa_exception_fp_ieee_overflow 0
		.amdhsa_exception_fp_ieee_underflow 0
		.amdhsa_exception_fp_ieee_inexact 0
		.amdhsa_exception_int_div_zero 0
	.end_amdhsa_kernel
	.section	.text._ZN7rocprim17ROCPRIM_400000_NS6detail17trampoline_kernelINS0_14default_configENS1_20scan_config_selectorIfEEZZNS1_9scan_implILNS1_25lookback_scan_determinismE0ELb1ELb1ES3_N6thrust23THRUST_200600_302600_NS6detail15normal_iteratorINS9_10device_ptrIfEEEESE_f11max_functorIfEfEEDaPvRmT3_T4_T5_mT6_P12ihipStream_tbENKUlT_T0_E_clISt17integral_constantIbLb0EESU_EEDaSP_SQ_EUlSP_E0_NS1_11comp_targetILNS1_3genE9ELNS1_11target_archE1100ELNS1_3gpuE3ELNS1_3repE0EEENS1_30default_config_static_selectorELNS0_4arch9wavefront6targetE1EEEvT1_,"axG",@progbits,_ZN7rocprim17ROCPRIM_400000_NS6detail17trampoline_kernelINS0_14default_configENS1_20scan_config_selectorIfEEZZNS1_9scan_implILNS1_25lookback_scan_determinismE0ELb1ELb1ES3_N6thrust23THRUST_200600_302600_NS6detail15normal_iteratorINS9_10device_ptrIfEEEESE_f11max_functorIfEfEEDaPvRmT3_T4_T5_mT6_P12ihipStream_tbENKUlT_T0_E_clISt17integral_constantIbLb0EESU_EEDaSP_SQ_EUlSP_E0_NS1_11comp_targetILNS1_3genE9ELNS1_11target_archE1100ELNS1_3gpuE3ELNS1_3repE0EEENS1_30default_config_static_selectorELNS0_4arch9wavefront6targetE1EEEvT1_,comdat
.Lfunc_end2031:
	.size	_ZN7rocprim17ROCPRIM_400000_NS6detail17trampoline_kernelINS0_14default_configENS1_20scan_config_selectorIfEEZZNS1_9scan_implILNS1_25lookback_scan_determinismE0ELb1ELb1ES3_N6thrust23THRUST_200600_302600_NS6detail15normal_iteratorINS9_10device_ptrIfEEEESE_f11max_functorIfEfEEDaPvRmT3_T4_T5_mT6_P12ihipStream_tbENKUlT_T0_E_clISt17integral_constantIbLb0EESU_EEDaSP_SQ_EUlSP_E0_NS1_11comp_targetILNS1_3genE9ELNS1_11target_archE1100ELNS1_3gpuE3ELNS1_3repE0EEENS1_30default_config_static_selectorELNS0_4arch9wavefront6targetE1EEEvT1_, .Lfunc_end2031-_ZN7rocprim17ROCPRIM_400000_NS6detail17trampoline_kernelINS0_14default_configENS1_20scan_config_selectorIfEEZZNS1_9scan_implILNS1_25lookback_scan_determinismE0ELb1ELb1ES3_N6thrust23THRUST_200600_302600_NS6detail15normal_iteratorINS9_10device_ptrIfEEEESE_f11max_functorIfEfEEDaPvRmT3_T4_T5_mT6_P12ihipStream_tbENKUlT_T0_E_clISt17integral_constantIbLb0EESU_EEDaSP_SQ_EUlSP_E0_NS1_11comp_targetILNS1_3genE9ELNS1_11target_archE1100ELNS1_3gpuE3ELNS1_3repE0EEENS1_30default_config_static_selectorELNS0_4arch9wavefront6targetE1EEEvT1_
                                        ; -- End function
	.section	.AMDGPU.csdata,"",@progbits
; Kernel info:
; codeLenInByte = 0
; NumSgprs: 4
; NumVgprs: 0
; NumAgprs: 0
; TotalNumVgprs: 0
; ScratchSize: 0
; MemoryBound: 0
; FloatMode: 240
; IeeeMode: 1
; LDSByteSize: 0 bytes/workgroup (compile time only)
; SGPRBlocks: 0
; VGPRBlocks: 0
; NumSGPRsForWavesPerEU: 4
; NumVGPRsForWavesPerEU: 1
; AccumOffset: 4
; Occupancy: 8
; WaveLimiterHint : 0
; COMPUTE_PGM_RSRC2:SCRATCH_EN: 0
; COMPUTE_PGM_RSRC2:USER_SGPR: 6
; COMPUTE_PGM_RSRC2:TRAP_HANDLER: 0
; COMPUTE_PGM_RSRC2:TGID_X_EN: 1
; COMPUTE_PGM_RSRC2:TGID_Y_EN: 0
; COMPUTE_PGM_RSRC2:TGID_Z_EN: 0
; COMPUTE_PGM_RSRC2:TIDIG_COMP_CNT: 0
; COMPUTE_PGM_RSRC3_GFX90A:ACCUM_OFFSET: 0
; COMPUTE_PGM_RSRC3_GFX90A:TG_SPLIT: 0
	.section	.text._ZN7rocprim17ROCPRIM_400000_NS6detail17trampoline_kernelINS0_14default_configENS1_20scan_config_selectorIfEEZZNS1_9scan_implILNS1_25lookback_scan_determinismE0ELb1ELb1ES3_N6thrust23THRUST_200600_302600_NS6detail15normal_iteratorINS9_10device_ptrIfEEEESE_f11max_functorIfEfEEDaPvRmT3_T4_T5_mT6_P12ihipStream_tbENKUlT_T0_E_clISt17integral_constantIbLb0EESU_EEDaSP_SQ_EUlSP_E0_NS1_11comp_targetILNS1_3genE8ELNS1_11target_archE1030ELNS1_3gpuE2ELNS1_3repE0EEENS1_30default_config_static_selectorELNS0_4arch9wavefront6targetE1EEEvT1_,"axG",@progbits,_ZN7rocprim17ROCPRIM_400000_NS6detail17trampoline_kernelINS0_14default_configENS1_20scan_config_selectorIfEEZZNS1_9scan_implILNS1_25lookback_scan_determinismE0ELb1ELb1ES3_N6thrust23THRUST_200600_302600_NS6detail15normal_iteratorINS9_10device_ptrIfEEEESE_f11max_functorIfEfEEDaPvRmT3_T4_T5_mT6_P12ihipStream_tbENKUlT_T0_E_clISt17integral_constantIbLb0EESU_EEDaSP_SQ_EUlSP_E0_NS1_11comp_targetILNS1_3genE8ELNS1_11target_archE1030ELNS1_3gpuE2ELNS1_3repE0EEENS1_30default_config_static_selectorELNS0_4arch9wavefront6targetE1EEEvT1_,comdat
	.protected	_ZN7rocprim17ROCPRIM_400000_NS6detail17trampoline_kernelINS0_14default_configENS1_20scan_config_selectorIfEEZZNS1_9scan_implILNS1_25lookback_scan_determinismE0ELb1ELb1ES3_N6thrust23THRUST_200600_302600_NS6detail15normal_iteratorINS9_10device_ptrIfEEEESE_f11max_functorIfEfEEDaPvRmT3_T4_T5_mT6_P12ihipStream_tbENKUlT_T0_E_clISt17integral_constantIbLb0EESU_EEDaSP_SQ_EUlSP_E0_NS1_11comp_targetILNS1_3genE8ELNS1_11target_archE1030ELNS1_3gpuE2ELNS1_3repE0EEENS1_30default_config_static_selectorELNS0_4arch9wavefront6targetE1EEEvT1_ ; -- Begin function _ZN7rocprim17ROCPRIM_400000_NS6detail17trampoline_kernelINS0_14default_configENS1_20scan_config_selectorIfEEZZNS1_9scan_implILNS1_25lookback_scan_determinismE0ELb1ELb1ES3_N6thrust23THRUST_200600_302600_NS6detail15normal_iteratorINS9_10device_ptrIfEEEESE_f11max_functorIfEfEEDaPvRmT3_T4_T5_mT6_P12ihipStream_tbENKUlT_T0_E_clISt17integral_constantIbLb0EESU_EEDaSP_SQ_EUlSP_E0_NS1_11comp_targetILNS1_3genE8ELNS1_11target_archE1030ELNS1_3gpuE2ELNS1_3repE0EEENS1_30default_config_static_selectorELNS0_4arch9wavefront6targetE1EEEvT1_
	.globl	_ZN7rocprim17ROCPRIM_400000_NS6detail17trampoline_kernelINS0_14default_configENS1_20scan_config_selectorIfEEZZNS1_9scan_implILNS1_25lookback_scan_determinismE0ELb1ELb1ES3_N6thrust23THRUST_200600_302600_NS6detail15normal_iteratorINS9_10device_ptrIfEEEESE_f11max_functorIfEfEEDaPvRmT3_T4_T5_mT6_P12ihipStream_tbENKUlT_T0_E_clISt17integral_constantIbLb0EESU_EEDaSP_SQ_EUlSP_E0_NS1_11comp_targetILNS1_3genE8ELNS1_11target_archE1030ELNS1_3gpuE2ELNS1_3repE0EEENS1_30default_config_static_selectorELNS0_4arch9wavefront6targetE1EEEvT1_
	.p2align	8
	.type	_ZN7rocprim17ROCPRIM_400000_NS6detail17trampoline_kernelINS0_14default_configENS1_20scan_config_selectorIfEEZZNS1_9scan_implILNS1_25lookback_scan_determinismE0ELb1ELb1ES3_N6thrust23THRUST_200600_302600_NS6detail15normal_iteratorINS9_10device_ptrIfEEEESE_f11max_functorIfEfEEDaPvRmT3_T4_T5_mT6_P12ihipStream_tbENKUlT_T0_E_clISt17integral_constantIbLb0EESU_EEDaSP_SQ_EUlSP_E0_NS1_11comp_targetILNS1_3genE8ELNS1_11target_archE1030ELNS1_3gpuE2ELNS1_3repE0EEENS1_30default_config_static_selectorELNS0_4arch9wavefront6targetE1EEEvT1_,@function
_ZN7rocprim17ROCPRIM_400000_NS6detail17trampoline_kernelINS0_14default_configENS1_20scan_config_selectorIfEEZZNS1_9scan_implILNS1_25lookback_scan_determinismE0ELb1ELb1ES3_N6thrust23THRUST_200600_302600_NS6detail15normal_iteratorINS9_10device_ptrIfEEEESE_f11max_functorIfEfEEDaPvRmT3_T4_T5_mT6_P12ihipStream_tbENKUlT_T0_E_clISt17integral_constantIbLb0EESU_EEDaSP_SQ_EUlSP_E0_NS1_11comp_targetILNS1_3genE8ELNS1_11target_archE1030ELNS1_3gpuE2ELNS1_3repE0EEENS1_30default_config_static_selectorELNS0_4arch9wavefront6targetE1EEEvT1_: ; @_ZN7rocprim17ROCPRIM_400000_NS6detail17trampoline_kernelINS0_14default_configENS1_20scan_config_selectorIfEEZZNS1_9scan_implILNS1_25lookback_scan_determinismE0ELb1ELb1ES3_N6thrust23THRUST_200600_302600_NS6detail15normal_iteratorINS9_10device_ptrIfEEEESE_f11max_functorIfEfEEDaPvRmT3_T4_T5_mT6_P12ihipStream_tbENKUlT_T0_E_clISt17integral_constantIbLb0EESU_EEDaSP_SQ_EUlSP_E0_NS1_11comp_targetILNS1_3genE8ELNS1_11target_archE1030ELNS1_3gpuE2ELNS1_3repE0EEENS1_30default_config_static_selectorELNS0_4arch9wavefront6targetE1EEEvT1_
; %bb.0:
	.section	.rodata,"a",@progbits
	.p2align	6, 0x0
	.amdhsa_kernel _ZN7rocprim17ROCPRIM_400000_NS6detail17trampoline_kernelINS0_14default_configENS1_20scan_config_selectorIfEEZZNS1_9scan_implILNS1_25lookback_scan_determinismE0ELb1ELb1ES3_N6thrust23THRUST_200600_302600_NS6detail15normal_iteratorINS9_10device_ptrIfEEEESE_f11max_functorIfEfEEDaPvRmT3_T4_T5_mT6_P12ihipStream_tbENKUlT_T0_E_clISt17integral_constantIbLb0EESU_EEDaSP_SQ_EUlSP_E0_NS1_11comp_targetILNS1_3genE8ELNS1_11target_archE1030ELNS1_3gpuE2ELNS1_3repE0EEENS1_30default_config_static_selectorELNS0_4arch9wavefront6targetE1EEEvT1_
		.amdhsa_group_segment_fixed_size 0
		.amdhsa_private_segment_fixed_size 0
		.amdhsa_kernarg_size 32
		.amdhsa_user_sgpr_count 6
		.amdhsa_user_sgpr_private_segment_buffer 1
		.amdhsa_user_sgpr_dispatch_ptr 0
		.amdhsa_user_sgpr_queue_ptr 0
		.amdhsa_user_sgpr_kernarg_segment_ptr 1
		.amdhsa_user_sgpr_dispatch_id 0
		.amdhsa_user_sgpr_flat_scratch_init 0
		.amdhsa_user_sgpr_kernarg_preload_length 0
		.amdhsa_user_sgpr_kernarg_preload_offset 0
		.amdhsa_user_sgpr_private_segment_size 0
		.amdhsa_uses_dynamic_stack 0
		.amdhsa_system_sgpr_private_segment_wavefront_offset 0
		.amdhsa_system_sgpr_workgroup_id_x 1
		.amdhsa_system_sgpr_workgroup_id_y 0
		.amdhsa_system_sgpr_workgroup_id_z 0
		.amdhsa_system_sgpr_workgroup_info 0
		.amdhsa_system_vgpr_workitem_id 0
		.amdhsa_next_free_vgpr 1
		.amdhsa_next_free_sgpr 0
		.amdhsa_accum_offset 4
		.amdhsa_reserve_vcc 0
		.amdhsa_reserve_flat_scratch 0
		.amdhsa_float_round_mode_32 0
		.amdhsa_float_round_mode_16_64 0
		.amdhsa_float_denorm_mode_32 3
		.amdhsa_float_denorm_mode_16_64 3
		.amdhsa_dx10_clamp 1
		.amdhsa_ieee_mode 1
		.amdhsa_fp16_overflow 0
		.amdhsa_tg_split 0
		.amdhsa_exception_fp_ieee_invalid_op 0
		.amdhsa_exception_fp_denorm_src 0
		.amdhsa_exception_fp_ieee_div_zero 0
		.amdhsa_exception_fp_ieee_overflow 0
		.amdhsa_exception_fp_ieee_underflow 0
		.amdhsa_exception_fp_ieee_inexact 0
		.amdhsa_exception_int_div_zero 0
	.end_amdhsa_kernel
	.section	.text._ZN7rocprim17ROCPRIM_400000_NS6detail17trampoline_kernelINS0_14default_configENS1_20scan_config_selectorIfEEZZNS1_9scan_implILNS1_25lookback_scan_determinismE0ELb1ELb1ES3_N6thrust23THRUST_200600_302600_NS6detail15normal_iteratorINS9_10device_ptrIfEEEESE_f11max_functorIfEfEEDaPvRmT3_T4_T5_mT6_P12ihipStream_tbENKUlT_T0_E_clISt17integral_constantIbLb0EESU_EEDaSP_SQ_EUlSP_E0_NS1_11comp_targetILNS1_3genE8ELNS1_11target_archE1030ELNS1_3gpuE2ELNS1_3repE0EEENS1_30default_config_static_selectorELNS0_4arch9wavefront6targetE1EEEvT1_,"axG",@progbits,_ZN7rocprim17ROCPRIM_400000_NS6detail17trampoline_kernelINS0_14default_configENS1_20scan_config_selectorIfEEZZNS1_9scan_implILNS1_25lookback_scan_determinismE0ELb1ELb1ES3_N6thrust23THRUST_200600_302600_NS6detail15normal_iteratorINS9_10device_ptrIfEEEESE_f11max_functorIfEfEEDaPvRmT3_T4_T5_mT6_P12ihipStream_tbENKUlT_T0_E_clISt17integral_constantIbLb0EESU_EEDaSP_SQ_EUlSP_E0_NS1_11comp_targetILNS1_3genE8ELNS1_11target_archE1030ELNS1_3gpuE2ELNS1_3repE0EEENS1_30default_config_static_selectorELNS0_4arch9wavefront6targetE1EEEvT1_,comdat
.Lfunc_end2032:
	.size	_ZN7rocprim17ROCPRIM_400000_NS6detail17trampoline_kernelINS0_14default_configENS1_20scan_config_selectorIfEEZZNS1_9scan_implILNS1_25lookback_scan_determinismE0ELb1ELb1ES3_N6thrust23THRUST_200600_302600_NS6detail15normal_iteratorINS9_10device_ptrIfEEEESE_f11max_functorIfEfEEDaPvRmT3_T4_T5_mT6_P12ihipStream_tbENKUlT_T0_E_clISt17integral_constantIbLb0EESU_EEDaSP_SQ_EUlSP_E0_NS1_11comp_targetILNS1_3genE8ELNS1_11target_archE1030ELNS1_3gpuE2ELNS1_3repE0EEENS1_30default_config_static_selectorELNS0_4arch9wavefront6targetE1EEEvT1_, .Lfunc_end2032-_ZN7rocprim17ROCPRIM_400000_NS6detail17trampoline_kernelINS0_14default_configENS1_20scan_config_selectorIfEEZZNS1_9scan_implILNS1_25lookback_scan_determinismE0ELb1ELb1ES3_N6thrust23THRUST_200600_302600_NS6detail15normal_iteratorINS9_10device_ptrIfEEEESE_f11max_functorIfEfEEDaPvRmT3_T4_T5_mT6_P12ihipStream_tbENKUlT_T0_E_clISt17integral_constantIbLb0EESU_EEDaSP_SQ_EUlSP_E0_NS1_11comp_targetILNS1_3genE8ELNS1_11target_archE1030ELNS1_3gpuE2ELNS1_3repE0EEENS1_30default_config_static_selectorELNS0_4arch9wavefront6targetE1EEEvT1_
                                        ; -- End function
	.section	.AMDGPU.csdata,"",@progbits
; Kernel info:
; codeLenInByte = 0
; NumSgprs: 4
; NumVgprs: 0
; NumAgprs: 0
; TotalNumVgprs: 0
; ScratchSize: 0
; MemoryBound: 0
; FloatMode: 240
; IeeeMode: 1
; LDSByteSize: 0 bytes/workgroup (compile time only)
; SGPRBlocks: 0
; VGPRBlocks: 0
; NumSGPRsForWavesPerEU: 4
; NumVGPRsForWavesPerEU: 1
; AccumOffset: 4
; Occupancy: 8
; WaveLimiterHint : 0
; COMPUTE_PGM_RSRC2:SCRATCH_EN: 0
; COMPUTE_PGM_RSRC2:USER_SGPR: 6
; COMPUTE_PGM_RSRC2:TRAP_HANDLER: 0
; COMPUTE_PGM_RSRC2:TGID_X_EN: 1
; COMPUTE_PGM_RSRC2:TGID_Y_EN: 0
; COMPUTE_PGM_RSRC2:TGID_Z_EN: 0
; COMPUTE_PGM_RSRC2:TIDIG_COMP_CNT: 0
; COMPUTE_PGM_RSRC3_GFX90A:ACCUM_OFFSET: 0
; COMPUTE_PGM_RSRC3_GFX90A:TG_SPLIT: 0
	.section	.text._ZN7rocprim17ROCPRIM_400000_NS6detail17trampoline_kernelINS0_14default_configENS1_20scan_config_selectorIfEEZZNS1_9scan_implILNS1_25lookback_scan_determinismE0ELb1ELb1ES3_N6thrust23THRUST_200600_302600_NS6detail15normal_iteratorINS9_10device_ptrIfEEEESE_f11max_functorIfEfEEDaPvRmT3_T4_T5_mT6_P12ihipStream_tbENKUlT_T0_E_clISt17integral_constantIbLb1EESU_EEDaSP_SQ_EUlSP_E_NS1_11comp_targetILNS1_3genE0ELNS1_11target_archE4294967295ELNS1_3gpuE0ELNS1_3repE0EEENS1_30default_config_static_selectorELNS0_4arch9wavefront6targetE1EEEvT1_,"axG",@progbits,_ZN7rocprim17ROCPRIM_400000_NS6detail17trampoline_kernelINS0_14default_configENS1_20scan_config_selectorIfEEZZNS1_9scan_implILNS1_25lookback_scan_determinismE0ELb1ELb1ES3_N6thrust23THRUST_200600_302600_NS6detail15normal_iteratorINS9_10device_ptrIfEEEESE_f11max_functorIfEfEEDaPvRmT3_T4_T5_mT6_P12ihipStream_tbENKUlT_T0_E_clISt17integral_constantIbLb1EESU_EEDaSP_SQ_EUlSP_E_NS1_11comp_targetILNS1_3genE0ELNS1_11target_archE4294967295ELNS1_3gpuE0ELNS1_3repE0EEENS1_30default_config_static_selectorELNS0_4arch9wavefront6targetE1EEEvT1_,comdat
	.protected	_ZN7rocprim17ROCPRIM_400000_NS6detail17trampoline_kernelINS0_14default_configENS1_20scan_config_selectorIfEEZZNS1_9scan_implILNS1_25lookback_scan_determinismE0ELb1ELb1ES3_N6thrust23THRUST_200600_302600_NS6detail15normal_iteratorINS9_10device_ptrIfEEEESE_f11max_functorIfEfEEDaPvRmT3_T4_T5_mT6_P12ihipStream_tbENKUlT_T0_E_clISt17integral_constantIbLb1EESU_EEDaSP_SQ_EUlSP_E_NS1_11comp_targetILNS1_3genE0ELNS1_11target_archE4294967295ELNS1_3gpuE0ELNS1_3repE0EEENS1_30default_config_static_selectorELNS0_4arch9wavefront6targetE1EEEvT1_ ; -- Begin function _ZN7rocprim17ROCPRIM_400000_NS6detail17trampoline_kernelINS0_14default_configENS1_20scan_config_selectorIfEEZZNS1_9scan_implILNS1_25lookback_scan_determinismE0ELb1ELb1ES3_N6thrust23THRUST_200600_302600_NS6detail15normal_iteratorINS9_10device_ptrIfEEEESE_f11max_functorIfEfEEDaPvRmT3_T4_T5_mT6_P12ihipStream_tbENKUlT_T0_E_clISt17integral_constantIbLb1EESU_EEDaSP_SQ_EUlSP_E_NS1_11comp_targetILNS1_3genE0ELNS1_11target_archE4294967295ELNS1_3gpuE0ELNS1_3repE0EEENS1_30default_config_static_selectorELNS0_4arch9wavefront6targetE1EEEvT1_
	.globl	_ZN7rocprim17ROCPRIM_400000_NS6detail17trampoline_kernelINS0_14default_configENS1_20scan_config_selectorIfEEZZNS1_9scan_implILNS1_25lookback_scan_determinismE0ELb1ELb1ES3_N6thrust23THRUST_200600_302600_NS6detail15normal_iteratorINS9_10device_ptrIfEEEESE_f11max_functorIfEfEEDaPvRmT3_T4_T5_mT6_P12ihipStream_tbENKUlT_T0_E_clISt17integral_constantIbLb1EESU_EEDaSP_SQ_EUlSP_E_NS1_11comp_targetILNS1_3genE0ELNS1_11target_archE4294967295ELNS1_3gpuE0ELNS1_3repE0EEENS1_30default_config_static_selectorELNS0_4arch9wavefront6targetE1EEEvT1_
	.p2align	8
	.type	_ZN7rocprim17ROCPRIM_400000_NS6detail17trampoline_kernelINS0_14default_configENS1_20scan_config_selectorIfEEZZNS1_9scan_implILNS1_25lookback_scan_determinismE0ELb1ELb1ES3_N6thrust23THRUST_200600_302600_NS6detail15normal_iteratorINS9_10device_ptrIfEEEESE_f11max_functorIfEfEEDaPvRmT3_T4_T5_mT6_P12ihipStream_tbENKUlT_T0_E_clISt17integral_constantIbLb1EESU_EEDaSP_SQ_EUlSP_E_NS1_11comp_targetILNS1_3genE0ELNS1_11target_archE4294967295ELNS1_3gpuE0ELNS1_3repE0EEENS1_30default_config_static_selectorELNS0_4arch9wavefront6targetE1EEEvT1_,@function
_ZN7rocprim17ROCPRIM_400000_NS6detail17trampoline_kernelINS0_14default_configENS1_20scan_config_selectorIfEEZZNS1_9scan_implILNS1_25lookback_scan_determinismE0ELb1ELb1ES3_N6thrust23THRUST_200600_302600_NS6detail15normal_iteratorINS9_10device_ptrIfEEEESE_f11max_functorIfEfEEDaPvRmT3_T4_T5_mT6_P12ihipStream_tbENKUlT_T0_E_clISt17integral_constantIbLb1EESU_EEDaSP_SQ_EUlSP_E_NS1_11comp_targetILNS1_3genE0ELNS1_11target_archE4294967295ELNS1_3gpuE0ELNS1_3repE0EEENS1_30default_config_static_selectorELNS0_4arch9wavefront6targetE1EEEvT1_: ; @_ZN7rocprim17ROCPRIM_400000_NS6detail17trampoline_kernelINS0_14default_configENS1_20scan_config_selectorIfEEZZNS1_9scan_implILNS1_25lookback_scan_determinismE0ELb1ELb1ES3_N6thrust23THRUST_200600_302600_NS6detail15normal_iteratorINS9_10device_ptrIfEEEESE_f11max_functorIfEfEEDaPvRmT3_T4_T5_mT6_P12ihipStream_tbENKUlT_T0_E_clISt17integral_constantIbLb1EESU_EEDaSP_SQ_EUlSP_E_NS1_11comp_targetILNS1_3genE0ELNS1_11target_archE4294967295ELNS1_3gpuE0ELNS1_3repE0EEENS1_30default_config_static_selectorELNS0_4arch9wavefront6targetE1EEEvT1_
; %bb.0:
	.section	.rodata,"a",@progbits
	.p2align	6, 0x0
	.amdhsa_kernel _ZN7rocprim17ROCPRIM_400000_NS6detail17trampoline_kernelINS0_14default_configENS1_20scan_config_selectorIfEEZZNS1_9scan_implILNS1_25lookback_scan_determinismE0ELb1ELb1ES3_N6thrust23THRUST_200600_302600_NS6detail15normal_iteratorINS9_10device_ptrIfEEEESE_f11max_functorIfEfEEDaPvRmT3_T4_T5_mT6_P12ihipStream_tbENKUlT_T0_E_clISt17integral_constantIbLb1EESU_EEDaSP_SQ_EUlSP_E_NS1_11comp_targetILNS1_3genE0ELNS1_11target_archE4294967295ELNS1_3gpuE0ELNS1_3repE0EEENS1_30default_config_static_selectorELNS0_4arch9wavefront6targetE1EEEvT1_
		.amdhsa_group_segment_fixed_size 0
		.amdhsa_private_segment_fixed_size 0
		.amdhsa_kernarg_size 96
		.amdhsa_user_sgpr_count 6
		.amdhsa_user_sgpr_private_segment_buffer 1
		.amdhsa_user_sgpr_dispatch_ptr 0
		.amdhsa_user_sgpr_queue_ptr 0
		.amdhsa_user_sgpr_kernarg_segment_ptr 1
		.amdhsa_user_sgpr_dispatch_id 0
		.amdhsa_user_sgpr_flat_scratch_init 0
		.amdhsa_user_sgpr_kernarg_preload_length 0
		.amdhsa_user_sgpr_kernarg_preload_offset 0
		.amdhsa_user_sgpr_private_segment_size 0
		.amdhsa_uses_dynamic_stack 0
		.amdhsa_system_sgpr_private_segment_wavefront_offset 0
		.amdhsa_system_sgpr_workgroup_id_x 1
		.amdhsa_system_sgpr_workgroup_id_y 0
		.amdhsa_system_sgpr_workgroup_id_z 0
		.amdhsa_system_sgpr_workgroup_info 0
		.amdhsa_system_vgpr_workitem_id 0
		.amdhsa_next_free_vgpr 1
		.amdhsa_next_free_sgpr 0
		.amdhsa_accum_offset 4
		.amdhsa_reserve_vcc 0
		.amdhsa_reserve_flat_scratch 0
		.amdhsa_float_round_mode_32 0
		.amdhsa_float_round_mode_16_64 0
		.amdhsa_float_denorm_mode_32 3
		.amdhsa_float_denorm_mode_16_64 3
		.amdhsa_dx10_clamp 1
		.amdhsa_ieee_mode 1
		.amdhsa_fp16_overflow 0
		.amdhsa_tg_split 0
		.amdhsa_exception_fp_ieee_invalid_op 0
		.amdhsa_exception_fp_denorm_src 0
		.amdhsa_exception_fp_ieee_div_zero 0
		.amdhsa_exception_fp_ieee_overflow 0
		.amdhsa_exception_fp_ieee_underflow 0
		.amdhsa_exception_fp_ieee_inexact 0
		.amdhsa_exception_int_div_zero 0
	.end_amdhsa_kernel
	.section	.text._ZN7rocprim17ROCPRIM_400000_NS6detail17trampoline_kernelINS0_14default_configENS1_20scan_config_selectorIfEEZZNS1_9scan_implILNS1_25lookback_scan_determinismE0ELb1ELb1ES3_N6thrust23THRUST_200600_302600_NS6detail15normal_iteratorINS9_10device_ptrIfEEEESE_f11max_functorIfEfEEDaPvRmT3_T4_T5_mT6_P12ihipStream_tbENKUlT_T0_E_clISt17integral_constantIbLb1EESU_EEDaSP_SQ_EUlSP_E_NS1_11comp_targetILNS1_3genE0ELNS1_11target_archE4294967295ELNS1_3gpuE0ELNS1_3repE0EEENS1_30default_config_static_selectorELNS0_4arch9wavefront6targetE1EEEvT1_,"axG",@progbits,_ZN7rocprim17ROCPRIM_400000_NS6detail17trampoline_kernelINS0_14default_configENS1_20scan_config_selectorIfEEZZNS1_9scan_implILNS1_25lookback_scan_determinismE0ELb1ELb1ES3_N6thrust23THRUST_200600_302600_NS6detail15normal_iteratorINS9_10device_ptrIfEEEESE_f11max_functorIfEfEEDaPvRmT3_T4_T5_mT6_P12ihipStream_tbENKUlT_T0_E_clISt17integral_constantIbLb1EESU_EEDaSP_SQ_EUlSP_E_NS1_11comp_targetILNS1_3genE0ELNS1_11target_archE4294967295ELNS1_3gpuE0ELNS1_3repE0EEENS1_30default_config_static_selectorELNS0_4arch9wavefront6targetE1EEEvT1_,comdat
.Lfunc_end2033:
	.size	_ZN7rocprim17ROCPRIM_400000_NS6detail17trampoline_kernelINS0_14default_configENS1_20scan_config_selectorIfEEZZNS1_9scan_implILNS1_25lookback_scan_determinismE0ELb1ELb1ES3_N6thrust23THRUST_200600_302600_NS6detail15normal_iteratorINS9_10device_ptrIfEEEESE_f11max_functorIfEfEEDaPvRmT3_T4_T5_mT6_P12ihipStream_tbENKUlT_T0_E_clISt17integral_constantIbLb1EESU_EEDaSP_SQ_EUlSP_E_NS1_11comp_targetILNS1_3genE0ELNS1_11target_archE4294967295ELNS1_3gpuE0ELNS1_3repE0EEENS1_30default_config_static_selectorELNS0_4arch9wavefront6targetE1EEEvT1_, .Lfunc_end2033-_ZN7rocprim17ROCPRIM_400000_NS6detail17trampoline_kernelINS0_14default_configENS1_20scan_config_selectorIfEEZZNS1_9scan_implILNS1_25lookback_scan_determinismE0ELb1ELb1ES3_N6thrust23THRUST_200600_302600_NS6detail15normal_iteratorINS9_10device_ptrIfEEEESE_f11max_functorIfEfEEDaPvRmT3_T4_T5_mT6_P12ihipStream_tbENKUlT_T0_E_clISt17integral_constantIbLb1EESU_EEDaSP_SQ_EUlSP_E_NS1_11comp_targetILNS1_3genE0ELNS1_11target_archE4294967295ELNS1_3gpuE0ELNS1_3repE0EEENS1_30default_config_static_selectorELNS0_4arch9wavefront6targetE1EEEvT1_
                                        ; -- End function
	.section	.AMDGPU.csdata,"",@progbits
; Kernel info:
; codeLenInByte = 0
; NumSgprs: 4
; NumVgprs: 0
; NumAgprs: 0
; TotalNumVgprs: 0
; ScratchSize: 0
; MemoryBound: 0
; FloatMode: 240
; IeeeMode: 1
; LDSByteSize: 0 bytes/workgroup (compile time only)
; SGPRBlocks: 0
; VGPRBlocks: 0
; NumSGPRsForWavesPerEU: 4
; NumVGPRsForWavesPerEU: 1
; AccumOffset: 4
; Occupancy: 8
; WaveLimiterHint : 0
; COMPUTE_PGM_RSRC2:SCRATCH_EN: 0
; COMPUTE_PGM_RSRC2:USER_SGPR: 6
; COMPUTE_PGM_RSRC2:TRAP_HANDLER: 0
; COMPUTE_PGM_RSRC2:TGID_X_EN: 1
; COMPUTE_PGM_RSRC2:TGID_Y_EN: 0
; COMPUTE_PGM_RSRC2:TGID_Z_EN: 0
; COMPUTE_PGM_RSRC2:TIDIG_COMP_CNT: 0
; COMPUTE_PGM_RSRC3_GFX90A:ACCUM_OFFSET: 0
; COMPUTE_PGM_RSRC3_GFX90A:TG_SPLIT: 0
	.section	.text._ZN7rocprim17ROCPRIM_400000_NS6detail17trampoline_kernelINS0_14default_configENS1_20scan_config_selectorIfEEZZNS1_9scan_implILNS1_25lookback_scan_determinismE0ELb1ELb1ES3_N6thrust23THRUST_200600_302600_NS6detail15normal_iteratorINS9_10device_ptrIfEEEESE_f11max_functorIfEfEEDaPvRmT3_T4_T5_mT6_P12ihipStream_tbENKUlT_T0_E_clISt17integral_constantIbLb1EESU_EEDaSP_SQ_EUlSP_E_NS1_11comp_targetILNS1_3genE5ELNS1_11target_archE942ELNS1_3gpuE9ELNS1_3repE0EEENS1_30default_config_static_selectorELNS0_4arch9wavefront6targetE1EEEvT1_,"axG",@progbits,_ZN7rocprim17ROCPRIM_400000_NS6detail17trampoline_kernelINS0_14default_configENS1_20scan_config_selectorIfEEZZNS1_9scan_implILNS1_25lookback_scan_determinismE0ELb1ELb1ES3_N6thrust23THRUST_200600_302600_NS6detail15normal_iteratorINS9_10device_ptrIfEEEESE_f11max_functorIfEfEEDaPvRmT3_T4_T5_mT6_P12ihipStream_tbENKUlT_T0_E_clISt17integral_constantIbLb1EESU_EEDaSP_SQ_EUlSP_E_NS1_11comp_targetILNS1_3genE5ELNS1_11target_archE942ELNS1_3gpuE9ELNS1_3repE0EEENS1_30default_config_static_selectorELNS0_4arch9wavefront6targetE1EEEvT1_,comdat
	.protected	_ZN7rocprim17ROCPRIM_400000_NS6detail17trampoline_kernelINS0_14default_configENS1_20scan_config_selectorIfEEZZNS1_9scan_implILNS1_25lookback_scan_determinismE0ELb1ELb1ES3_N6thrust23THRUST_200600_302600_NS6detail15normal_iteratorINS9_10device_ptrIfEEEESE_f11max_functorIfEfEEDaPvRmT3_T4_T5_mT6_P12ihipStream_tbENKUlT_T0_E_clISt17integral_constantIbLb1EESU_EEDaSP_SQ_EUlSP_E_NS1_11comp_targetILNS1_3genE5ELNS1_11target_archE942ELNS1_3gpuE9ELNS1_3repE0EEENS1_30default_config_static_selectorELNS0_4arch9wavefront6targetE1EEEvT1_ ; -- Begin function _ZN7rocprim17ROCPRIM_400000_NS6detail17trampoline_kernelINS0_14default_configENS1_20scan_config_selectorIfEEZZNS1_9scan_implILNS1_25lookback_scan_determinismE0ELb1ELb1ES3_N6thrust23THRUST_200600_302600_NS6detail15normal_iteratorINS9_10device_ptrIfEEEESE_f11max_functorIfEfEEDaPvRmT3_T4_T5_mT6_P12ihipStream_tbENKUlT_T0_E_clISt17integral_constantIbLb1EESU_EEDaSP_SQ_EUlSP_E_NS1_11comp_targetILNS1_3genE5ELNS1_11target_archE942ELNS1_3gpuE9ELNS1_3repE0EEENS1_30default_config_static_selectorELNS0_4arch9wavefront6targetE1EEEvT1_
	.globl	_ZN7rocprim17ROCPRIM_400000_NS6detail17trampoline_kernelINS0_14default_configENS1_20scan_config_selectorIfEEZZNS1_9scan_implILNS1_25lookback_scan_determinismE0ELb1ELb1ES3_N6thrust23THRUST_200600_302600_NS6detail15normal_iteratorINS9_10device_ptrIfEEEESE_f11max_functorIfEfEEDaPvRmT3_T4_T5_mT6_P12ihipStream_tbENKUlT_T0_E_clISt17integral_constantIbLb1EESU_EEDaSP_SQ_EUlSP_E_NS1_11comp_targetILNS1_3genE5ELNS1_11target_archE942ELNS1_3gpuE9ELNS1_3repE0EEENS1_30default_config_static_selectorELNS0_4arch9wavefront6targetE1EEEvT1_
	.p2align	8
	.type	_ZN7rocprim17ROCPRIM_400000_NS6detail17trampoline_kernelINS0_14default_configENS1_20scan_config_selectorIfEEZZNS1_9scan_implILNS1_25lookback_scan_determinismE0ELb1ELb1ES3_N6thrust23THRUST_200600_302600_NS6detail15normal_iteratorINS9_10device_ptrIfEEEESE_f11max_functorIfEfEEDaPvRmT3_T4_T5_mT6_P12ihipStream_tbENKUlT_T0_E_clISt17integral_constantIbLb1EESU_EEDaSP_SQ_EUlSP_E_NS1_11comp_targetILNS1_3genE5ELNS1_11target_archE942ELNS1_3gpuE9ELNS1_3repE0EEENS1_30default_config_static_selectorELNS0_4arch9wavefront6targetE1EEEvT1_,@function
_ZN7rocprim17ROCPRIM_400000_NS6detail17trampoline_kernelINS0_14default_configENS1_20scan_config_selectorIfEEZZNS1_9scan_implILNS1_25lookback_scan_determinismE0ELb1ELb1ES3_N6thrust23THRUST_200600_302600_NS6detail15normal_iteratorINS9_10device_ptrIfEEEESE_f11max_functorIfEfEEDaPvRmT3_T4_T5_mT6_P12ihipStream_tbENKUlT_T0_E_clISt17integral_constantIbLb1EESU_EEDaSP_SQ_EUlSP_E_NS1_11comp_targetILNS1_3genE5ELNS1_11target_archE942ELNS1_3gpuE9ELNS1_3repE0EEENS1_30default_config_static_selectorELNS0_4arch9wavefront6targetE1EEEvT1_: ; @_ZN7rocprim17ROCPRIM_400000_NS6detail17trampoline_kernelINS0_14default_configENS1_20scan_config_selectorIfEEZZNS1_9scan_implILNS1_25lookback_scan_determinismE0ELb1ELb1ES3_N6thrust23THRUST_200600_302600_NS6detail15normal_iteratorINS9_10device_ptrIfEEEESE_f11max_functorIfEfEEDaPvRmT3_T4_T5_mT6_P12ihipStream_tbENKUlT_T0_E_clISt17integral_constantIbLb1EESU_EEDaSP_SQ_EUlSP_E_NS1_11comp_targetILNS1_3genE5ELNS1_11target_archE942ELNS1_3gpuE9ELNS1_3repE0EEENS1_30default_config_static_selectorELNS0_4arch9wavefront6targetE1EEEvT1_
; %bb.0:
	.section	.rodata,"a",@progbits
	.p2align	6, 0x0
	.amdhsa_kernel _ZN7rocprim17ROCPRIM_400000_NS6detail17trampoline_kernelINS0_14default_configENS1_20scan_config_selectorIfEEZZNS1_9scan_implILNS1_25lookback_scan_determinismE0ELb1ELb1ES3_N6thrust23THRUST_200600_302600_NS6detail15normal_iteratorINS9_10device_ptrIfEEEESE_f11max_functorIfEfEEDaPvRmT3_T4_T5_mT6_P12ihipStream_tbENKUlT_T0_E_clISt17integral_constantIbLb1EESU_EEDaSP_SQ_EUlSP_E_NS1_11comp_targetILNS1_3genE5ELNS1_11target_archE942ELNS1_3gpuE9ELNS1_3repE0EEENS1_30default_config_static_selectorELNS0_4arch9wavefront6targetE1EEEvT1_
		.amdhsa_group_segment_fixed_size 0
		.amdhsa_private_segment_fixed_size 0
		.amdhsa_kernarg_size 96
		.amdhsa_user_sgpr_count 6
		.amdhsa_user_sgpr_private_segment_buffer 1
		.amdhsa_user_sgpr_dispatch_ptr 0
		.amdhsa_user_sgpr_queue_ptr 0
		.amdhsa_user_sgpr_kernarg_segment_ptr 1
		.amdhsa_user_sgpr_dispatch_id 0
		.amdhsa_user_sgpr_flat_scratch_init 0
		.amdhsa_user_sgpr_kernarg_preload_length 0
		.amdhsa_user_sgpr_kernarg_preload_offset 0
		.amdhsa_user_sgpr_private_segment_size 0
		.amdhsa_uses_dynamic_stack 0
		.amdhsa_system_sgpr_private_segment_wavefront_offset 0
		.amdhsa_system_sgpr_workgroup_id_x 1
		.amdhsa_system_sgpr_workgroup_id_y 0
		.amdhsa_system_sgpr_workgroup_id_z 0
		.amdhsa_system_sgpr_workgroup_info 0
		.amdhsa_system_vgpr_workitem_id 0
		.amdhsa_next_free_vgpr 1
		.amdhsa_next_free_sgpr 0
		.amdhsa_accum_offset 4
		.amdhsa_reserve_vcc 0
		.amdhsa_reserve_flat_scratch 0
		.amdhsa_float_round_mode_32 0
		.amdhsa_float_round_mode_16_64 0
		.amdhsa_float_denorm_mode_32 3
		.amdhsa_float_denorm_mode_16_64 3
		.amdhsa_dx10_clamp 1
		.amdhsa_ieee_mode 1
		.amdhsa_fp16_overflow 0
		.amdhsa_tg_split 0
		.amdhsa_exception_fp_ieee_invalid_op 0
		.amdhsa_exception_fp_denorm_src 0
		.amdhsa_exception_fp_ieee_div_zero 0
		.amdhsa_exception_fp_ieee_overflow 0
		.amdhsa_exception_fp_ieee_underflow 0
		.amdhsa_exception_fp_ieee_inexact 0
		.amdhsa_exception_int_div_zero 0
	.end_amdhsa_kernel
	.section	.text._ZN7rocprim17ROCPRIM_400000_NS6detail17trampoline_kernelINS0_14default_configENS1_20scan_config_selectorIfEEZZNS1_9scan_implILNS1_25lookback_scan_determinismE0ELb1ELb1ES3_N6thrust23THRUST_200600_302600_NS6detail15normal_iteratorINS9_10device_ptrIfEEEESE_f11max_functorIfEfEEDaPvRmT3_T4_T5_mT6_P12ihipStream_tbENKUlT_T0_E_clISt17integral_constantIbLb1EESU_EEDaSP_SQ_EUlSP_E_NS1_11comp_targetILNS1_3genE5ELNS1_11target_archE942ELNS1_3gpuE9ELNS1_3repE0EEENS1_30default_config_static_selectorELNS0_4arch9wavefront6targetE1EEEvT1_,"axG",@progbits,_ZN7rocprim17ROCPRIM_400000_NS6detail17trampoline_kernelINS0_14default_configENS1_20scan_config_selectorIfEEZZNS1_9scan_implILNS1_25lookback_scan_determinismE0ELb1ELb1ES3_N6thrust23THRUST_200600_302600_NS6detail15normal_iteratorINS9_10device_ptrIfEEEESE_f11max_functorIfEfEEDaPvRmT3_T4_T5_mT6_P12ihipStream_tbENKUlT_T0_E_clISt17integral_constantIbLb1EESU_EEDaSP_SQ_EUlSP_E_NS1_11comp_targetILNS1_3genE5ELNS1_11target_archE942ELNS1_3gpuE9ELNS1_3repE0EEENS1_30default_config_static_selectorELNS0_4arch9wavefront6targetE1EEEvT1_,comdat
.Lfunc_end2034:
	.size	_ZN7rocprim17ROCPRIM_400000_NS6detail17trampoline_kernelINS0_14default_configENS1_20scan_config_selectorIfEEZZNS1_9scan_implILNS1_25lookback_scan_determinismE0ELb1ELb1ES3_N6thrust23THRUST_200600_302600_NS6detail15normal_iteratorINS9_10device_ptrIfEEEESE_f11max_functorIfEfEEDaPvRmT3_T4_T5_mT6_P12ihipStream_tbENKUlT_T0_E_clISt17integral_constantIbLb1EESU_EEDaSP_SQ_EUlSP_E_NS1_11comp_targetILNS1_3genE5ELNS1_11target_archE942ELNS1_3gpuE9ELNS1_3repE0EEENS1_30default_config_static_selectorELNS0_4arch9wavefront6targetE1EEEvT1_, .Lfunc_end2034-_ZN7rocprim17ROCPRIM_400000_NS6detail17trampoline_kernelINS0_14default_configENS1_20scan_config_selectorIfEEZZNS1_9scan_implILNS1_25lookback_scan_determinismE0ELb1ELb1ES3_N6thrust23THRUST_200600_302600_NS6detail15normal_iteratorINS9_10device_ptrIfEEEESE_f11max_functorIfEfEEDaPvRmT3_T4_T5_mT6_P12ihipStream_tbENKUlT_T0_E_clISt17integral_constantIbLb1EESU_EEDaSP_SQ_EUlSP_E_NS1_11comp_targetILNS1_3genE5ELNS1_11target_archE942ELNS1_3gpuE9ELNS1_3repE0EEENS1_30default_config_static_selectorELNS0_4arch9wavefront6targetE1EEEvT1_
                                        ; -- End function
	.section	.AMDGPU.csdata,"",@progbits
; Kernel info:
; codeLenInByte = 0
; NumSgprs: 4
; NumVgprs: 0
; NumAgprs: 0
; TotalNumVgprs: 0
; ScratchSize: 0
; MemoryBound: 0
; FloatMode: 240
; IeeeMode: 1
; LDSByteSize: 0 bytes/workgroup (compile time only)
; SGPRBlocks: 0
; VGPRBlocks: 0
; NumSGPRsForWavesPerEU: 4
; NumVGPRsForWavesPerEU: 1
; AccumOffset: 4
; Occupancy: 8
; WaveLimiterHint : 0
; COMPUTE_PGM_RSRC2:SCRATCH_EN: 0
; COMPUTE_PGM_RSRC2:USER_SGPR: 6
; COMPUTE_PGM_RSRC2:TRAP_HANDLER: 0
; COMPUTE_PGM_RSRC2:TGID_X_EN: 1
; COMPUTE_PGM_RSRC2:TGID_Y_EN: 0
; COMPUTE_PGM_RSRC2:TGID_Z_EN: 0
; COMPUTE_PGM_RSRC2:TIDIG_COMP_CNT: 0
; COMPUTE_PGM_RSRC3_GFX90A:ACCUM_OFFSET: 0
; COMPUTE_PGM_RSRC3_GFX90A:TG_SPLIT: 0
	.section	.text._ZN7rocprim17ROCPRIM_400000_NS6detail17trampoline_kernelINS0_14default_configENS1_20scan_config_selectorIfEEZZNS1_9scan_implILNS1_25lookback_scan_determinismE0ELb1ELb1ES3_N6thrust23THRUST_200600_302600_NS6detail15normal_iteratorINS9_10device_ptrIfEEEESE_f11max_functorIfEfEEDaPvRmT3_T4_T5_mT6_P12ihipStream_tbENKUlT_T0_E_clISt17integral_constantIbLb1EESU_EEDaSP_SQ_EUlSP_E_NS1_11comp_targetILNS1_3genE4ELNS1_11target_archE910ELNS1_3gpuE8ELNS1_3repE0EEENS1_30default_config_static_selectorELNS0_4arch9wavefront6targetE1EEEvT1_,"axG",@progbits,_ZN7rocprim17ROCPRIM_400000_NS6detail17trampoline_kernelINS0_14default_configENS1_20scan_config_selectorIfEEZZNS1_9scan_implILNS1_25lookback_scan_determinismE0ELb1ELb1ES3_N6thrust23THRUST_200600_302600_NS6detail15normal_iteratorINS9_10device_ptrIfEEEESE_f11max_functorIfEfEEDaPvRmT3_T4_T5_mT6_P12ihipStream_tbENKUlT_T0_E_clISt17integral_constantIbLb1EESU_EEDaSP_SQ_EUlSP_E_NS1_11comp_targetILNS1_3genE4ELNS1_11target_archE910ELNS1_3gpuE8ELNS1_3repE0EEENS1_30default_config_static_selectorELNS0_4arch9wavefront6targetE1EEEvT1_,comdat
	.protected	_ZN7rocprim17ROCPRIM_400000_NS6detail17trampoline_kernelINS0_14default_configENS1_20scan_config_selectorIfEEZZNS1_9scan_implILNS1_25lookback_scan_determinismE0ELb1ELb1ES3_N6thrust23THRUST_200600_302600_NS6detail15normal_iteratorINS9_10device_ptrIfEEEESE_f11max_functorIfEfEEDaPvRmT3_T4_T5_mT6_P12ihipStream_tbENKUlT_T0_E_clISt17integral_constantIbLb1EESU_EEDaSP_SQ_EUlSP_E_NS1_11comp_targetILNS1_3genE4ELNS1_11target_archE910ELNS1_3gpuE8ELNS1_3repE0EEENS1_30default_config_static_selectorELNS0_4arch9wavefront6targetE1EEEvT1_ ; -- Begin function _ZN7rocprim17ROCPRIM_400000_NS6detail17trampoline_kernelINS0_14default_configENS1_20scan_config_selectorIfEEZZNS1_9scan_implILNS1_25lookback_scan_determinismE0ELb1ELb1ES3_N6thrust23THRUST_200600_302600_NS6detail15normal_iteratorINS9_10device_ptrIfEEEESE_f11max_functorIfEfEEDaPvRmT3_T4_T5_mT6_P12ihipStream_tbENKUlT_T0_E_clISt17integral_constantIbLb1EESU_EEDaSP_SQ_EUlSP_E_NS1_11comp_targetILNS1_3genE4ELNS1_11target_archE910ELNS1_3gpuE8ELNS1_3repE0EEENS1_30default_config_static_selectorELNS0_4arch9wavefront6targetE1EEEvT1_
	.globl	_ZN7rocprim17ROCPRIM_400000_NS6detail17trampoline_kernelINS0_14default_configENS1_20scan_config_selectorIfEEZZNS1_9scan_implILNS1_25lookback_scan_determinismE0ELb1ELb1ES3_N6thrust23THRUST_200600_302600_NS6detail15normal_iteratorINS9_10device_ptrIfEEEESE_f11max_functorIfEfEEDaPvRmT3_T4_T5_mT6_P12ihipStream_tbENKUlT_T0_E_clISt17integral_constantIbLb1EESU_EEDaSP_SQ_EUlSP_E_NS1_11comp_targetILNS1_3genE4ELNS1_11target_archE910ELNS1_3gpuE8ELNS1_3repE0EEENS1_30default_config_static_selectorELNS0_4arch9wavefront6targetE1EEEvT1_
	.p2align	8
	.type	_ZN7rocprim17ROCPRIM_400000_NS6detail17trampoline_kernelINS0_14default_configENS1_20scan_config_selectorIfEEZZNS1_9scan_implILNS1_25lookback_scan_determinismE0ELb1ELb1ES3_N6thrust23THRUST_200600_302600_NS6detail15normal_iteratorINS9_10device_ptrIfEEEESE_f11max_functorIfEfEEDaPvRmT3_T4_T5_mT6_P12ihipStream_tbENKUlT_T0_E_clISt17integral_constantIbLb1EESU_EEDaSP_SQ_EUlSP_E_NS1_11comp_targetILNS1_3genE4ELNS1_11target_archE910ELNS1_3gpuE8ELNS1_3repE0EEENS1_30default_config_static_selectorELNS0_4arch9wavefront6targetE1EEEvT1_,@function
_ZN7rocprim17ROCPRIM_400000_NS6detail17trampoline_kernelINS0_14default_configENS1_20scan_config_selectorIfEEZZNS1_9scan_implILNS1_25lookback_scan_determinismE0ELb1ELb1ES3_N6thrust23THRUST_200600_302600_NS6detail15normal_iteratorINS9_10device_ptrIfEEEESE_f11max_functorIfEfEEDaPvRmT3_T4_T5_mT6_P12ihipStream_tbENKUlT_T0_E_clISt17integral_constantIbLb1EESU_EEDaSP_SQ_EUlSP_E_NS1_11comp_targetILNS1_3genE4ELNS1_11target_archE910ELNS1_3gpuE8ELNS1_3repE0EEENS1_30default_config_static_selectorELNS0_4arch9wavefront6targetE1EEEvT1_: ; @_ZN7rocprim17ROCPRIM_400000_NS6detail17trampoline_kernelINS0_14default_configENS1_20scan_config_selectorIfEEZZNS1_9scan_implILNS1_25lookback_scan_determinismE0ELb1ELb1ES3_N6thrust23THRUST_200600_302600_NS6detail15normal_iteratorINS9_10device_ptrIfEEEESE_f11max_functorIfEfEEDaPvRmT3_T4_T5_mT6_P12ihipStream_tbENKUlT_T0_E_clISt17integral_constantIbLb1EESU_EEDaSP_SQ_EUlSP_E_NS1_11comp_targetILNS1_3genE4ELNS1_11target_archE910ELNS1_3gpuE8ELNS1_3repE0EEENS1_30default_config_static_selectorELNS0_4arch9wavefront6targetE1EEEvT1_
; %bb.0:
	s_load_dword s35, s[4:5], 0x20
	s_load_dwordx2 s[28:29], s[4:5], 0x28
	v_cmp_ne_u32_e64 s[2:3], 0, v0
	v_cmp_eq_u32_e64 s[0:1], 0, v0
	s_and_saveexec_b64 s[6:7], s[0:1]
	s_cbranch_execz .LBB2035_4
; %bb.1:
	s_mov_b64 s[10:11], exec
	v_mbcnt_lo_u32_b32 v1, s10, 0
	v_mbcnt_hi_u32_b32 v1, s11, v1
	v_cmp_eq_u32_e32 vcc, 0, v1
                                        ; implicit-def: $vgpr2
	s_and_saveexec_b64 s[8:9], vcc
	s_cbranch_execz .LBB2035_3
; %bb.2:
	s_load_dwordx2 s[12:13], s[4:5], 0x58
	s_bcnt1_i32_b64 s10, s[10:11]
	v_mov_b32_e32 v2, 0
	v_mov_b32_e32 v3, s10
	s_waitcnt lgkmcnt(0)
	global_atomic_add v2, v2, v3, s[12:13] glc
.LBB2035_3:
	s_or_b64 exec, exec, s[8:9]
	s_waitcnt vmcnt(0)
	v_readfirstlane_b32 s8, v2
	v_add_u32_e32 v1, s8, v1
	v_mov_b32_e32 v2, 0
	ds_write_b32 v2, v1
.LBB2035_4:
	s_or_b64 exec, exec, s[6:7]
	s_load_dwordx8 s[20:27], s[4:5], 0x0
	s_load_dword s6, s[4:5], 0x30
	s_load_dwordx8 s[12:19], s[4:5], 0x38
	v_mov_b32_e32 v1, 0
	s_waitcnt lgkmcnt(0)
	s_barrier
	ds_read_b32 v1, v1
	s_lshl_b64 s[22:23], s[22:23], 2
	s_add_u32 s36, s20, s22
	s_addc_u32 s37, s21, s23
	s_add_i32 s6, s6, -1
	s_mul_i32 s7, s6, 0x700
	s_sub_u32 s33, s26, s7
	s_waitcnt lgkmcnt(0)
	v_readfirstlane_b32 s38, v1
	s_subb_u32 s34, s27, 0
	s_mul_i32 s4, s38, 0x700
	s_mov_b32 s5, 0
	s_cmp_lg_u32 s38, s6
	s_cselect_b64 s[20:21], -1, 0
	s_lshl_b64 s[26:27], s[4:5], 2
	s_add_u32 s6, s36, s26
	s_addc_u32 s7, s37, s27
	s_mov_b64 s[4:5], -1
	s_and_b64 vcc, exec, s[20:21]
	v_lshlrev_b32_e32 v32, 2, v0
	s_barrier
	s_cbranch_vccz .LBB2035_6
; %bb.5:
	v_mov_b32_e32 v1, s7
	v_add_co_u32_e32 v2, vcc, s6, v32
	v_addc_co_u32_e32 v3, vcc, 0, v1, vcc
	flat_load_dword v1, v[2:3]
	flat_load_dword v4, v[2:3] offset:512
	flat_load_dword v5, v[2:3] offset:1024
	;; [unrolled: 1-line block ×7, first 2 shown]
	v_add_co_u32_e32 v2, vcc, 0x1000, v2
	v_addc_co_u32_e32 v3, vcc, 0, v3, vcc
	flat_load_dword v11, v[2:3]
	flat_load_dword v12, v[2:3] offset:512
	flat_load_dword v13, v[2:3] offset:1024
	;; [unrolled: 1-line block ×5, first 2 shown]
	s_mov_b64 s[4:5], 0
	s_waitcnt vmcnt(0) lgkmcnt(0)
	ds_write2st64_b32 v32, v1, v4 offset1:2
	ds_write2st64_b32 v32, v5, v6 offset0:4 offset1:6
	ds_write2st64_b32 v32, v7, v8 offset0:8 offset1:10
	;; [unrolled: 1-line block ×6, first 2 shown]
	s_waitcnt lgkmcnt(0)
	s_barrier
.LBB2035_6:
	s_andn2_b64 vcc, exec, s[4:5]
	v_cmp_gt_u32_e64 s[4:5], s33, v0
	s_cbranch_vccnz .LBB2035_36
; %bb.7:
	v_pk_mov_b32 v[2:3], s[6:7], s[6:7] op_sel:[0,1]
	flat_load_dword v1, v[2:3]
	s_waitcnt vmcnt(0) lgkmcnt(0)
	v_mov_b32_e32 v2, v1
	v_mov_b32_e32 v3, v1
	v_mov_b32_e32 v4, v1
	v_mov_b32_e32 v5, v1
	v_mov_b32_e32 v6, v1
	v_mov_b32_e32 v7, v1
	v_mov_b32_e32 v8, v1
	v_mov_b32_e32 v9, v1
	v_mov_b32_e32 v10, v1
	v_mov_b32_e32 v11, v1
	v_mov_b32_e32 v12, v1
	v_mov_b32_e32 v13, v1
	v_pk_mov_b32 v[16:17], v[14:15], v[14:15] op_sel:[0,1]
	v_pk_mov_b32 v[14:15], v[12:13], v[12:13] op_sel:[0,1]
	v_pk_mov_b32 v[12:13], v[10:11], v[10:11] op_sel:[0,1]
	v_pk_mov_b32 v[10:11], v[8:9], v[8:9] op_sel:[0,1]
	v_pk_mov_b32 v[8:9], v[6:7], v[6:7] op_sel:[0,1]
	v_pk_mov_b32 v[6:7], v[4:5], v[4:5] op_sel:[0,1]
	v_pk_mov_b32 v[4:5], v[2:3], v[2:3] op_sel:[0,1]
	v_pk_mov_b32 v[2:3], v[0:1], v[0:1] op_sel:[0,1]
	s_and_saveexec_b64 s[8:9], s[4:5]
	s_cbranch_execz .LBB2035_9
; %bb.8:
	v_mov_b32_e32 v3, s7
	v_add_co_u32_e32 v2, vcc, s6, v32
	v_addc_co_u32_e32 v3, vcc, 0, v3, vcc
	flat_load_dword v18, v[2:3]
	v_mov_b32_e32 v2, v1
	v_mov_b32_e32 v3, v1
	;; [unrolled: 1-line block ×12, first 2 shown]
	v_pk_mov_b32 v[16:17], v[14:15], v[14:15] op_sel:[0,1]
	v_pk_mov_b32 v[14:15], v[12:13], v[12:13] op_sel:[0,1]
	;; [unrolled: 1-line block ×8, first 2 shown]
	s_waitcnt vmcnt(0) lgkmcnt(0)
	v_mov_b32_e32 v1, v18
.LBB2035_9:
	s_or_b64 exec, exec, s[8:9]
	v_or_b32_e32 v2, 0x80, v0
	v_cmp_gt_u32_e32 vcc, s33, v2
	s_and_saveexec_b64 s[4:5], vcc
	s_cbranch_execz .LBB2035_11
; %bb.10:
	v_mov_b32_e32 v3, s7
	v_add_co_u32_e32 v2, vcc, s6, v32
	v_addc_co_u32_e32 v3, vcc, 0, v3, vcc
	flat_load_dword v3, v[2:3] offset:512
.LBB2035_11:
	s_or_b64 exec, exec, s[4:5]
	v_or_b32_e32 v2, 0x100, v0
	v_cmp_gt_u32_e32 vcc, s33, v2
	s_and_saveexec_b64 s[4:5], vcc
	s_cbranch_execz .LBB2035_13
; %bb.12:
	v_mov_b32_e32 v2, s7
	v_add_co_u32_e32 v16, vcc, s6, v32
	v_addc_co_u32_e32 v17, vcc, 0, v2, vcc
	flat_load_dword v4, v[16:17] offset:1024
.LBB2035_13:
	;; [unrolled: 11-line block ×7, first 2 shown]
	s_or_b64 exec, exec, s[4:5]
	v_or_b32_e32 v2, 0x400, v0
	v_cmp_gt_u32_e32 vcc, s33, v2
	s_and_saveexec_b64 s[4:5], vcc
	s_cbranch_execz .LBB2035_25
; %bb.24:
	v_lshlrev_b32_e32 v2, 2, v2
	v_mov_b32_e32 v10, s7
	v_add_co_u32_e32 v16, vcc, s6, v2
	v_addc_co_u32_e32 v17, vcc, 0, v10, vcc
	flat_load_dword v10, v[16:17]
.LBB2035_25:
	s_or_b64 exec, exec, s[4:5]
	v_or_b32_e32 v2, 0x480, v0
	v_cmp_gt_u32_e32 vcc, s33, v2
	s_and_saveexec_b64 s[4:5], vcc
	s_cbranch_execz .LBB2035_27
; %bb.26:
	v_lshlrev_b32_e32 v2, 2, v2
	v_mov_b32_e32 v11, s7
	v_add_co_u32_e32 v16, vcc, s6, v2
	v_addc_co_u32_e32 v17, vcc, 0, v11, vcc
	flat_load_dword v11, v[16:17]
.LBB2035_27:
	s_or_b64 exec, exec, s[4:5]
	v_or_b32_e32 v2, 0x500, v0
	v_cmp_gt_u32_e32 vcc, s33, v2
	s_and_saveexec_b64 s[4:5], vcc
	s_cbranch_execz .LBB2035_29
; %bb.28:
	v_lshlrev_b32_e32 v2, 2, v2
	v_mov_b32_e32 v12, s7
	v_add_co_u32_e32 v16, vcc, s6, v2
	v_addc_co_u32_e32 v17, vcc, 0, v12, vcc
	flat_load_dword v12, v[16:17]
.LBB2035_29:
	s_or_b64 exec, exec, s[4:5]
	v_or_b32_e32 v2, 0x580, v0
	v_cmp_gt_u32_e32 vcc, s33, v2
	s_and_saveexec_b64 s[4:5], vcc
	s_cbranch_execz .LBB2035_31
; %bb.30:
	v_lshlrev_b32_e32 v2, 2, v2
	v_mov_b32_e32 v13, s7
	v_add_co_u32_e32 v16, vcc, s6, v2
	v_addc_co_u32_e32 v17, vcc, 0, v13, vcc
	flat_load_dword v13, v[16:17]
.LBB2035_31:
	s_or_b64 exec, exec, s[4:5]
	v_or_b32_e32 v2, 0x600, v0
	v_cmp_gt_u32_e32 vcc, s33, v2
	s_and_saveexec_b64 s[4:5], vcc
	s_cbranch_execz .LBB2035_33
; %bb.32:
	v_lshlrev_b32_e32 v2, 2, v2
	v_mov_b32_e32 v14, s7
	v_add_co_u32_e32 v16, vcc, s6, v2
	v_addc_co_u32_e32 v17, vcc, 0, v14, vcc
	flat_load_dword v14, v[16:17]
.LBB2035_33:
	s_or_b64 exec, exec, s[4:5]
	v_or_b32_e32 v2, 0x680, v0
	v_cmp_gt_u32_e32 vcc, s33, v2
	s_and_saveexec_b64 s[4:5], vcc
	s_cbranch_execz .LBB2035_35
; %bb.34:
	v_lshlrev_b32_e32 v2, 2, v2
	v_mov_b32_e32 v15, s7
	v_add_co_u32_e32 v16, vcc, s6, v2
	v_addc_co_u32_e32 v17, vcc, 0, v15, vcc
	flat_load_dword v15, v[16:17]
.LBB2035_35:
	s_or_b64 exec, exec, s[4:5]
	s_waitcnt vmcnt(0) lgkmcnt(0)
	ds_write2st64_b32 v32, v1, v3 offset1:2
	ds_write2st64_b32 v32, v4, v5 offset0:4 offset1:6
	ds_write2st64_b32 v32, v6, v7 offset0:8 offset1:10
	;; [unrolled: 1-line block ×6, first 2 shown]
	s_waitcnt lgkmcnt(0)
	s_barrier
.LBB2035_36:
	v_mul_u32_u24_e32 v33, 14, v0
	v_lshlrev_b32_e32 v34, 2, v33
	ds_read2_b64 v[26:29], v34 offset1:1
	ds_read2_b64 v[22:25], v34 offset0:2 offset1:3
	ds_read2_b64 v[18:21], v34 offset0:4 offset1:5
	ds_read_b64 v[30:31], v34 offset:48
	s_cmp_lg_u32 s38, 0
	s_waitcnt lgkmcnt(3)
	v_cmp_lt_f32_e64 s[4:5], v26, v27
	v_lshrrev_b32_e32 v1, 5, v0
	v_cmp_gt_u32_e32 vcc, 64, v0
	s_waitcnt lgkmcnt(0)
	s_barrier
	s_cbranch_scc0 .LBB2035_65
; %bb.37:
	v_cndmask_b32_e64 v2, v26, v27, s[4:5]
	v_cmp_lt_f32_e64 s[4:5], v2, v28
	v_cndmask_b32_e64 v2, v2, v28, s[4:5]
	v_cmp_lt_f32_e64 s[4:5], v2, v29
	;; [unrolled: 2-line block ×12, first 2 shown]
	v_cndmask_b32_e64 v12, v2, v31, s[4:5]
	v_add_lshl_u32 v2, v1, v0, 2
	ds_write_b32 v2, v12
	s_waitcnt lgkmcnt(0)
	s_barrier
	s_and_saveexec_b64 s[30:31], vcc
	s_cbranch_execz .LBB2035_39
; %bb.38:
	v_lshlrev_b32_e32 v2, 1, v0
	v_lshrrev_b32_e32 v3, 4, v0
	v_add_lshl_u32 v4, v3, v2, 2
	ds_read2_b32 v[2:3], v4 offset1:1
	v_mbcnt_lo_u32_b32 v5, -1, 0
	v_mbcnt_hi_u32_b32 v5, -1, v5
	v_and_b32_e32 v6, 15, v5
	v_cmp_lt_u32_e64 s[10:11], 31, v5
	s_waitcnt lgkmcnt(0)
	v_cmp_lt_f32_e64 s[4:5], v2, v3
	v_cndmask_b32_e64 v3, v2, v3, s[4:5]
	v_cmp_gt_u32_e64 s[8:9], 32, v5
	s_nop 0
	v_mov_b32_dpp v7, v3 row_shr:1 row_mask:0xf bank_mask:0xf
	v_cmp_gt_f32_e64 s[4:5], v3, v7
	v_cndmask_b32_e64 v7, v7, v3, s[4:5]
	v_cmp_eq_u32_e64 s[4:5], 0, v6
	v_cndmask_b32_e64 v3, v7, v3, s[4:5]
	; wave barrier
	s_nop 1
	v_mov_b32_dpp v7, v3 row_shr:2 row_mask:0xf bank_mask:0xf
	v_cmp_gt_f32_e64 s[4:5], v3, v7
	v_cndmask_b32_e64 v7, v7, v3, s[4:5]
	v_cmp_lt_u32_e64 s[4:5], 1, v6
	v_cndmask_b32_e64 v7, v3, v7, s[4:5]
	s_nop 1
	v_mov_b32_dpp v8, v7 row_shr:4 row_mask:0xf bank_mask:0xf
	v_cmp_gt_f32_e64 s[6:7], v7, v8
	v_cndmask_b32_e64 v8, v8, v7, s[6:7]
	v_cmp_lt_u32_e64 s[6:7], 3, v6
	v_cndmask_b32_e64 v7, v7, v8, s[6:7]
	;; [unrolled: 6-line block ×3, first 2 shown]
	v_and_b32_e32 v8, 16, v5
	s_nop 0
	v_mov_b32_dpp v7, v6 row_bcast:15 row_mask:0xf bank_mask:0xf
	v_cmp_gt_f32_e64 s[6:7], v6, v7
	v_cndmask_b32_e64 v7, v7, v6, s[6:7]
	v_cmp_ne_u32_e64 s[6:7], 0, v8
	v_cndmask_b32_e64 v6, v6, v7, s[6:7]
	s_or_b64 s[10:11], s[6:7], s[10:11]
	s_or_b64 s[4:5], s[4:5], s[10:11]
	v_mov_b32_dpp v7, v6 row_bcast:31 row_mask:0xf bank_mask:0xf
	v_cmp_gt_f32_e64 s[6:7], v6, v7
	s_or_b64 s[6:7], s[8:9], s[6:7]
	v_cndmask_b32_e64 v6, v7, v6, s[6:7]
	v_cndmask_b32_e64 v3, v3, v6, s[4:5]
	v_add_u32_e32 v6, -1, v5
	v_and_b32_e32 v7, 64, v5
	v_cmp_lt_i32_e64 s[4:5], v6, v7
	v_cndmask_b32_e64 v5, v6, v5, s[4:5]
	v_lshlrev_b32_e32 v5, 2, v5
	ds_bpermute_b32 v3, v5, v3
	s_waitcnt lgkmcnt(0)
	v_cmp_gt_f32_e64 s[4:5], v2, v3
	v_cndmask_b32_e64 v2, v3, v2, s[4:5]
	v_cndmask_b32_e64 v2, v2, v12, s[0:1]
	ds_write_b32 v4, v2
	; wave barrier
	ds_read_b32 v3, v4 offset:4
	s_waitcnt lgkmcnt(0)
	v_cmp_lt_f32_e64 s[4:5], v2, v3
	v_cndmask_b32_e64 v2, v2, v3, s[4:5]
	ds_write_b32 v4, v2 offset:4
.LBB2035_39:
	s_or_b64 exec, exec, s[30:31]
	s_waitcnt lgkmcnt(0)
	s_barrier
	s_and_saveexec_b64 s[4:5], s[2:3]
	s_cbranch_execz .LBB2035_41
; %bb.40:
	v_add_u32_e32 v2, -1, v0
	v_lshrrev_b32_e32 v3, 5, v2
	v_add_lshl_u32 v2, v3, v2, 2
	ds_read_b32 v12, v2
.LBB2035_41:
	s_or_b64 exec, exec, s[4:5]
	s_and_saveexec_b64 s[10:11], vcc
	s_cbranch_execz .LBB2035_64
; %bb.42:
	v_mov_b32_e32 v11, 0
	ds_read_b32 v2, v11 offset:520
	v_mbcnt_lo_u32_b32 v3, -1, 0
	v_mbcnt_hi_u32_b32 v5, -1, v3
	s_mov_b32 s9, 0
	v_cmp_eq_u32_e64 s[4:5], 0, v5
	s_and_saveexec_b64 s[6:7], s[4:5]
	s_cbranch_execz .LBB2035_44
; %bb.43:
	s_add_i32 s8, s38, 64
	s_lshl_b64 s[8:9], s[8:9], 3
	s_add_u32 s8, s28, s8
	v_mov_b32_e32 v3, 1
	s_addc_u32 s9, s29, s9
	s_waitcnt lgkmcnt(0)
	global_store_dwordx2 v11, v[2:3], s[8:9]
.LBB2035_44:
	s_or_b64 exec, exec, s[6:7]
	v_xad_u32 v4, v5, -1, s38
	v_add_u32_e32 v10, 64, v4
	v_lshlrev_b64 v[6:7], 3, v[10:11]
	v_mov_b32_e32 v3, s29
	v_add_co_u32_e32 v6, vcc, s28, v6
	v_addc_co_u32_e32 v7, vcc, v3, v7, vcc
	global_load_dwordx2 v[8:9], v[6:7], off glc
	s_waitcnt vmcnt(0)
	v_cmp_eq_u16_sdwa s[8:9], v9, v11 src0_sel:BYTE_0 src1_sel:DWORD
	s_and_saveexec_b64 s[6:7], s[8:9]
	s_cbranch_execz .LBB2035_50
; %bb.45:
	s_mov_b32 s30, 1
	s_mov_b64 s[8:9], 0
	v_mov_b32_e32 v3, 0
.LBB2035_46:                            ; =>This Loop Header: Depth=1
                                        ;     Child Loop BB2035_47 Depth 2
	s_max_u32 s31, s30, 1
.LBB2035_47:                            ;   Parent Loop BB2035_46 Depth=1
                                        ; =>  This Inner Loop Header: Depth=2
	s_add_i32 s31, s31, -1
	s_cmp_eq_u32 s31, 0
	s_sleep 1
	s_cbranch_scc0 .LBB2035_47
; %bb.48:                               ;   in Loop: Header=BB2035_46 Depth=1
	global_load_dwordx2 v[8:9], v[6:7], off glc
	s_cmp_lt_u32 s30, 32
	s_cselect_b64 s[40:41], -1, 0
	s_cmp_lg_u64 s[40:41], 0
	s_addc_u32 s30, s30, 0
	s_waitcnt vmcnt(0)
	v_cmp_ne_u16_sdwa s[40:41], v9, v3 src0_sel:BYTE_0 src1_sel:DWORD
	s_or_b64 s[8:9], s[40:41], s[8:9]
	s_andn2_b64 exec, exec, s[8:9]
	s_cbranch_execnz .LBB2035_46
; %bb.49:
	s_or_b64 exec, exec, s[8:9]
.LBB2035_50:
	s_or_b64 exec, exec, s[6:7]
	v_and_b32_e32 v13, 63, v5
	v_cmp_ne_u32_e32 vcc, 63, v13
	v_addc_co_u32_e32 v14, vcc, 0, v5, vcc
	v_lshlrev_b32_e32 v14, 2, v14
	v_mov_b32_e32 v3, 2
	ds_bpermute_b32 v15, v14, v8
	v_cmp_eq_u16_sdwa s[6:7], v9, v3 src0_sel:BYTE_0 src1_sel:DWORD
	v_lshlrev_b64 v[6:7], v5, -1
	v_and_b32_e32 v10, s7, v7
	v_or_b32_e32 v10, 0x80000000, v10
	v_and_b32_e32 v11, s6, v6
	v_ffbl_b32_e32 v10, v10
	v_add_u32_e32 v10, 32, v10
	v_ffbl_b32_e32 v11, v11
	s_waitcnt lgkmcnt(0)
	v_cmp_lt_f32_e32 vcc, v15, v8
	v_cmp_gt_u32_e64 s[6:7], 62, v13
	v_min_u32_e32 v10, v11, v10
	v_cndmask_b32_e32 v11, v15, v8, vcc
	v_cndmask_b32_e64 v15, 0, 1, s[6:7]
	v_cmp_lt_u32_e32 vcc, v13, v10
	v_lshlrev_b32_e32 v15, 1, v15
	v_cndmask_b32_e32 v11, v8, v11, vcc
	v_add_lshl_u32 v15, v15, v5, 2
	ds_bpermute_b32 v17, v15, v11
	v_add_u32_e32 v16, 2, v13
	v_add_u32_e32 v35, 4, v13
	;; [unrolled: 1-line block ×4, first 2 shown]
	s_waitcnt lgkmcnt(0)
	v_cmp_gt_f32_e64 s[6:7], v11, v17
	v_cndmask_b32_e64 v17, v17, v11, s[6:7]
	v_cmp_gt_u32_e64 s[6:7], v16, v10
	v_cndmask_b32_e64 v11, v17, v11, s[6:7]
	v_cmp_gt_u32_e64 s[6:7], 60, v13
	v_cndmask_b32_e64 v17, 0, 1, s[6:7]
	v_lshlrev_b32_e32 v17, 2, v17
	v_add_lshl_u32 v17, v17, v5, 2
	ds_bpermute_b32 v36, v17, v11
	v_add_u32_e32 v42, 32, v13
	s_waitcnt lgkmcnt(0)
	v_cmp_gt_f32_e64 s[6:7], v11, v36
	v_cndmask_b32_e64 v36, v36, v11, s[6:7]
	v_cmp_gt_u32_e64 s[6:7], v35, v10
	v_cndmask_b32_e64 v11, v36, v11, s[6:7]
	v_cmp_gt_u32_e64 s[6:7], 56, v13
	v_cndmask_b32_e64 v36, 0, 1, s[6:7]
	v_lshlrev_b32_e32 v36, 3, v36
	v_add_lshl_u32 v36, v36, v5, 2
	ds_bpermute_b32 v38, v36, v11
	s_waitcnt lgkmcnt(0)
	v_cmp_gt_f32_e64 s[6:7], v11, v38
	v_cndmask_b32_e64 v38, v38, v11, s[6:7]
	v_cmp_gt_u32_e64 s[6:7], v37, v10
	v_cndmask_b32_e64 v11, v38, v11, s[6:7]
	v_cmp_gt_u32_e64 s[6:7], 48, v13
	v_cndmask_b32_e64 v38, 0, 1, s[6:7]
	v_lshlrev_b32_e32 v38, 4, v38
	v_add_lshl_u32 v38, v38, v5, 2
	ds_bpermute_b32 v39, v38, v11
	;; [unrolled: 10-line block ×3, first 2 shown]
	v_cmp_gt_u32_e64 s[6:7], v42, v10
	s_waitcnt lgkmcnt(0)
	v_cmp_gt_f32_e64 s[8:9], v11, v5
	s_or_b64 s[6:7], s[6:7], s[8:9]
	v_cndmask_b32_e64 v5, v5, v11, s[6:7]
	v_cndmask_b32_e32 v8, v8, v5, vcc
	v_mov_b32_e32 v5, 0
	s_branch .LBB2035_52
.LBB2035_51:                            ;   in Loop: Header=BB2035_52 Depth=1
	s_or_b64 exec, exec, s[6:7]
	v_cmp_eq_u16_sdwa s[6:7], v9, v3 src0_sel:BYTE_0 src1_sel:DWORD
	ds_bpermute_b32 v43, v14, v8
	v_and_b32_e32 v10, s7, v7
	v_or_b32_e32 v10, 0x80000000, v10
	v_and_b32_e32 v11, s6, v6
	v_ffbl_b32_e32 v10, v10
	v_add_u32_e32 v10, 32, v10
	v_ffbl_b32_e32 v11, v11
	v_min_u32_e32 v10, v11, v10
	s_waitcnt lgkmcnt(0)
	v_cmp_lt_f32_e32 vcc, v43, v8
	v_cndmask_b32_e32 v11, v43, v8, vcc
	v_cmp_lt_u32_e32 vcc, v13, v10
	v_cndmask_b32_e32 v11, v8, v11, vcc
	ds_bpermute_b32 v43, v15, v11
	v_subrev_u32_e32 v4, 64, v4
	s_waitcnt lgkmcnt(0)
	v_cmp_gt_f32_e64 s[6:7], v11, v43
	v_cndmask_b32_e64 v43, v43, v11, s[6:7]
	v_cmp_gt_u32_e64 s[6:7], v16, v10
	v_cndmask_b32_e64 v11, v43, v11, s[6:7]
	ds_bpermute_b32 v43, v17, v11
	s_waitcnt lgkmcnt(0)
	v_cmp_gt_f32_e64 s[6:7], v11, v43
	v_cndmask_b32_e64 v43, v43, v11, s[6:7]
	v_cmp_gt_u32_e64 s[6:7], v35, v10
	v_cndmask_b32_e64 v11, v43, v11, s[6:7]
	ds_bpermute_b32 v43, v36, v11
	;; [unrolled: 6-line block ×4, first 2 shown]
	v_cmp_gt_u32_e64 s[6:7], v42, v10
	s_waitcnt lgkmcnt(0)
	v_cmp_gt_f32_e64 s[8:9], v11, v43
	s_or_b64 s[6:7], s[6:7], s[8:9]
	v_cndmask_b32_e64 v10, v43, v11, s[6:7]
	v_cndmask_b32_e32 v8, v8, v10, vcc
	v_cmp_lt_f32_e32 vcc, v8, v39
	v_cndmask_b32_e32 v8, v8, v39, vcc
.LBB2035_52:                            ; =>This Loop Header: Depth=1
                                        ;     Child Loop BB2035_55 Depth 2
                                        ;       Child Loop BB2035_56 Depth 3
	v_cmp_ne_u16_sdwa s[6:7], v9, v3 src0_sel:BYTE_0 src1_sel:DWORD
	v_cndmask_b32_e64 v9, 0, 1, s[6:7]
	;;#ASMSTART
	;;#ASMEND
	v_cmp_ne_u32_e32 vcc, 0, v9
	s_cmp_lg_u64 vcc, exec
	v_mov_b32_e32 v39, v8
	s_cbranch_scc1 .LBB2035_59
; %bb.53:                               ;   in Loop: Header=BB2035_52 Depth=1
	v_lshlrev_b64 v[8:9], 3, v[4:5]
	v_mov_b32_e32 v11, s29
	v_add_co_u32_e32 v10, vcc, s28, v8
	v_addc_co_u32_e32 v11, vcc, v11, v9, vcc
	global_load_dwordx2 v[8:9], v[10:11], off glc
	s_waitcnt vmcnt(0)
	v_cmp_eq_u16_sdwa s[8:9], v9, v5 src0_sel:BYTE_0 src1_sel:DWORD
	s_and_saveexec_b64 s[6:7], s[8:9]
	s_cbranch_execz .LBB2035_51
; %bb.54:                               ;   in Loop: Header=BB2035_52 Depth=1
	s_mov_b32 s30, 1
	s_mov_b64 s[8:9], 0
.LBB2035_55:                            ;   Parent Loop BB2035_52 Depth=1
                                        ; =>  This Loop Header: Depth=2
                                        ;       Child Loop BB2035_56 Depth 3
	s_max_u32 s31, s30, 1
.LBB2035_56:                            ;   Parent Loop BB2035_52 Depth=1
                                        ;     Parent Loop BB2035_55 Depth=2
                                        ; =>    This Inner Loop Header: Depth=3
	s_add_i32 s31, s31, -1
	s_cmp_eq_u32 s31, 0
	s_sleep 1
	s_cbranch_scc0 .LBB2035_56
; %bb.57:                               ;   in Loop: Header=BB2035_55 Depth=2
	global_load_dwordx2 v[8:9], v[10:11], off glc
	s_cmp_lt_u32 s30, 32
	s_cselect_b64 s[40:41], -1, 0
	s_cmp_lg_u64 s[40:41], 0
	s_addc_u32 s30, s30, 0
	s_waitcnt vmcnt(0)
	v_cmp_ne_u16_sdwa s[40:41], v9, v5 src0_sel:BYTE_0 src1_sel:DWORD
	s_or_b64 s[8:9], s[40:41], s[8:9]
	s_andn2_b64 exec, exec, s[8:9]
	s_cbranch_execnz .LBB2035_55
; %bb.58:                               ;   in Loop: Header=BB2035_52 Depth=1
	s_or_b64 exec, exec, s[8:9]
	s_branch .LBB2035_51
.LBB2035_59:                            ;   in Loop: Header=BB2035_52 Depth=1
                                        ; implicit-def: $vgpr8
                                        ; implicit-def: $vgpr9
	s_cbranch_execz .LBB2035_52
; %bb.60:
	s_and_saveexec_b64 s[6:7], s[4:5]
	s_cbranch_execz .LBB2035_62
; %bb.61:
	s_add_i32 s4, s38, 64
	s_mov_b32 s5, 0
	s_lshl_b64 s[4:5], s[4:5], 3
	v_cmp_lt_f32_e32 vcc, v39, v2
	s_add_u32 s4, s28, s4
	v_cndmask_b32_e32 v2, v39, v2, vcc
	v_mov_b32_e32 v3, 2
	s_addc_u32 s5, s29, s5
	v_mov_b32_e32 v4, 0
	global_store_dwordx2 v4, v[2:3], s[4:5]
.LBB2035_62:
	s_or_b64 exec, exec, s[6:7]
	s_and_b64 exec, exec, s[0:1]
	s_cbranch_execz .LBB2035_64
; %bb.63:
	v_mov_b32_e32 v2, 0
	ds_write_b32 v2, v39
.LBB2035_64:
	s_or_b64 exec, exec, s[10:11]
	v_mov_b32_e32 v2, 0
	s_waitcnt lgkmcnt(0)
	s_barrier
	ds_read_b32 v2, v2
	s_waitcnt lgkmcnt(0)
	v_cmp_lt_f32_e32 vcc, v2, v12
	v_cndmask_b32_e32 v3, v2, v12, vcc
	v_cndmask_b32_e64 v2, v3, v2, s[0:1]
	v_cmp_lt_f32_e32 vcc, v2, v26
	v_cndmask_b32_e32 v3, v2, v26, vcc
	v_cmp_lt_f32_e32 vcc, v3, v27
	v_cndmask_b32_e32 v4, v3, v27, vcc
	v_cmp_lt_f32_e32 vcc, v4, v28
	v_cndmask_b32_e32 v5, v4, v28, vcc
	v_cmp_lt_f32_e32 vcc, v5, v29
	v_cndmask_b32_e32 v6, v5, v29, vcc
	v_cmp_lt_f32_e32 vcc, v6, v22
	v_cndmask_b32_e32 v7, v6, v22, vcc
	v_cmp_lt_f32_e32 vcc, v7, v23
	v_cndmask_b32_e32 v8, v7, v23, vcc
	v_cmp_lt_f32_e32 vcc, v8, v24
	v_cndmask_b32_e32 v9, v8, v24, vcc
	v_cmp_lt_f32_e32 vcc, v9, v25
	v_cndmask_b32_e32 v10, v9, v25, vcc
	v_cmp_lt_f32_e32 vcc, v10, v18
	v_cndmask_b32_e32 v11, v10, v18, vcc
	v_cmp_lt_f32_e32 vcc, v11, v19
	v_cndmask_b32_e32 v12, v11, v19, vcc
	v_cmp_lt_f32_e32 vcc, v12, v20
	v_cndmask_b32_e32 v13, v12, v20, vcc
	v_cmp_lt_f32_e32 vcc, v13, v21
	v_cndmask_b32_e32 v14, v13, v21, vcc
	v_cmp_lt_f32_e32 vcc, v14, v30
	v_cndmask_b32_e32 v15, v14, v30, vcc
	s_branch .LBB2035_75
.LBB2035_65:
                                        ; implicit-def: $vgpr2_vgpr3_vgpr4_vgpr5_vgpr6_vgpr7_vgpr8_vgpr9_vgpr10_vgpr11_vgpr12_vgpr13_vgpr14_vgpr15_vgpr16_vgpr17
	s_cbranch_execz .LBB2035_75
; %bb.66:
	s_cmp_eq_u64 s[16:17], 0
	v_mov_b32_e32 v16, s35
	s_cbranch_scc1 .LBB2035_68
; %bb.67:
	v_mov_b32_e32 v2, 0
	global_load_dword v4, v2, s[12:13]
	v_mov_b32_e32 v3, s37
	v_add_co_u32_e64 v2, vcc, -4, s36
	v_addc_co_u32_e32 v3, vcc, -1, v3, vcc
	flat_load_dword v2, v[2:3]
	s_waitcnt vmcnt(0) lgkmcnt(0)
	v_cmp_lt_f32_e32 vcc, v4, v2
	v_cndmask_b32_e32 v16, v4, v2, vcc
.LBB2035_68:
	v_cmp_lt_f32_e32 vcc, v26, v27
	v_cndmask_b32_e32 v2, v26, v27, vcc
	v_cmp_lt_f32_e32 vcc, v2, v28
	v_cndmask_b32_e32 v2, v2, v28, vcc
	;; [unrolled: 2-line block ×13, first 2 shown]
	v_add_lshl_u32 v1, v1, v0, 2
	v_cmp_gt_u32_e32 vcc, 64, v0
	ds_write_b32 v1, v2
	s_waitcnt lgkmcnt(0)
	s_barrier
	s_and_saveexec_b64 s[10:11], vcc
	s_cbranch_execz .LBB2035_70
; %bb.69:
	v_lshlrev_b32_e32 v1, 1, v0
	v_lshrrev_b32_e32 v3, 4, v0
	v_add_lshl_u32 v1, v3, v1, 2
	ds_read2_b32 v[4:5], v1 offset1:1
	v_mbcnt_lo_u32_b32 v3, -1, 0
	v_mbcnt_hi_u32_b32 v3, -1, v3
	v_and_b32_e32 v6, 15, v3
	v_cmp_lt_u32_e64 s[8:9], 31, v3
	s_waitcnt lgkmcnt(0)
	v_cmp_lt_f32_e32 vcc, v4, v5
	v_cndmask_b32_e32 v5, v4, v5, vcc
	v_cmp_gt_u32_e64 s[6:7], 32, v3
	s_nop 0
	v_mov_b32_dpp v7, v5 row_shr:1 row_mask:0xf bank_mask:0xf
	v_cmp_gt_f32_e32 vcc, v5, v7
	v_cndmask_b32_e32 v7, v7, v5, vcc
	v_cmp_eq_u32_e32 vcc, 0, v6
	v_cndmask_b32_e32 v5, v7, v5, vcc
	; wave barrier
	s_nop 1
	v_mov_b32_dpp v7, v5 row_shr:2 row_mask:0xf bank_mask:0xf
	v_cmp_gt_f32_e32 vcc, v5, v7
	v_cndmask_b32_e32 v7, v7, v5, vcc
	v_cmp_lt_u32_e32 vcc, 1, v6
	v_cndmask_b32_e32 v7, v5, v7, vcc
	s_nop 1
	v_mov_b32_dpp v8, v7 row_shr:4 row_mask:0xf bank_mask:0xf
	v_cmp_gt_f32_e64 s[4:5], v7, v8
	v_cndmask_b32_e64 v8, v8, v7, s[4:5]
	v_cmp_lt_u32_e64 s[4:5], 3, v6
	v_cndmask_b32_e64 v7, v7, v8, s[4:5]
	s_nop 1
	v_mov_b32_dpp v8, v7 row_shr:8 row_mask:0xf bank_mask:0xf
	v_cmp_gt_f32_e64 s[4:5], v7, v8
	v_cndmask_b32_e64 v8, v8, v7, s[4:5]
	v_cmp_lt_u32_e64 s[4:5], 7, v6
	v_cndmask_b32_e64 v6, v7, v8, s[4:5]
	v_and_b32_e32 v8, 16, v3
	s_nop 0
	v_mov_b32_dpp v7, v6 row_bcast:15 row_mask:0xf bank_mask:0xf
	v_cmp_gt_f32_e64 s[4:5], v6, v7
	v_cndmask_b32_e64 v7, v7, v6, s[4:5]
	v_cmp_ne_u32_e64 s[4:5], 0, v8
	v_cndmask_b32_e64 v6, v6, v7, s[4:5]
	s_or_b64 s[8:9], s[4:5], s[8:9]
	s_or_b64 vcc, vcc, s[8:9]
	v_mov_b32_dpp v7, v6 row_bcast:31 row_mask:0xf bank_mask:0xf
	v_cmp_gt_f32_e64 s[4:5], v6, v7
	s_or_b64 s[4:5], s[6:7], s[4:5]
	v_cndmask_b32_e64 v6, v7, v6, s[4:5]
	v_cndmask_b32_e32 v5, v5, v6, vcc
	v_add_u32_e32 v6, -1, v3
	v_and_b32_e32 v7, 64, v3
	v_cmp_lt_i32_e32 vcc, v6, v7
	v_cndmask_b32_e32 v3, v6, v3, vcc
	v_lshlrev_b32_e32 v3, 2, v3
	ds_bpermute_b32 v3, v3, v5
	s_waitcnt lgkmcnt(0)
	v_cmp_gt_f32_e32 vcc, v4, v3
	v_cndmask_b32_e32 v3, v3, v4, vcc
	v_cndmask_b32_e64 v2, v3, v2, s[0:1]
	ds_write_b32 v1, v2
	; wave barrier
	ds_read_b32 v3, v1 offset:4
	s_waitcnt lgkmcnt(0)
	v_cmp_lt_f32_e32 vcc, v2, v3
	v_cndmask_b32_e32 v2, v2, v3, vcc
	ds_write_b32 v1, v2 offset:4
.LBB2035_70:
	s_or_b64 exec, exec, s[10:11]
	v_mov_b32_e32 v2, v16
	s_waitcnt lgkmcnt(0)
	s_barrier
	s_and_saveexec_b64 s[4:5], s[2:3]
	s_cbranch_execz .LBB2035_72
; %bb.71:
	v_add_u32_e32 v1, -1, v0
	v_lshrrev_b32_e32 v2, 5, v1
	v_add_lshl_u32 v1, v2, v1, 2
	ds_read_b32 v1, v1
	s_waitcnt lgkmcnt(0)
	v_cmp_gt_f32_e32 vcc, v1, v16
	v_cndmask_b32_e32 v2, v16, v1, vcc
.LBB2035_72:
	s_or_b64 exec, exec, s[4:5]
	v_cmp_lt_f32_e32 vcc, v2, v26
	v_cndmask_b32_e32 v3, v2, v26, vcc
	v_cmp_lt_f32_e32 vcc, v3, v27
	v_cndmask_b32_e32 v4, v3, v27, vcc
	;; [unrolled: 2-line block ×13, first 2 shown]
	s_and_saveexec_b64 s[2:3], s[0:1]
	s_cbranch_execz .LBB2035_74
; %bb.73:
	v_mov_b32_e32 v1, 0
	ds_read_b32 v17, v1 offset:520
	s_waitcnt lgkmcnt(0)
	v_cmp_gt_f32_e32 vcc, v17, v16
	v_cndmask_b32_e32 v16, v16, v17, vcc
	v_mov_b32_e32 v17, 2
	global_store_dwordx2 v1, v[16:17], s[28:29] offset:512
.LBB2035_74:
	s_or_b64 exec, exec, s[2:3]
.LBB2035_75:
	s_add_u32 s0, s24, s22
	s_addc_u32 s1, s25, s23
	s_add_u32 s2, s0, s26
	s_addc_u32 s3, s1, s27
	s_mov_b64 s[0:1], -1
	s_and_b64 vcc, exec, s[20:21]
	s_barrier
	s_cbranch_vccz .LBB2035_77
; %bb.76:
	ds_write2_b64 v34, v[2:3], v[4:5] offset1:1
	ds_write2_b64 v34, v[6:7], v[8:9] offset0:2 offset1:3
	ds_write2_b64 v34, v[10:11], v[12:13] offset0:4 offset1:5
	ds_write_b64 v34, v[14:15] offset:48
	s_waitcnt lgkmcnt(0)
	s_barrier
	ds_read2st64_b32 v[16:17], v32 offset1:2
	ds_read2st64_b32 v[18:19], v32 offset0:4 offset1:6
	ds_read2st64_b32 v[20:21], v32 offset0:8 offset1:10
	;; [unrolled: 1-line block ×6, first 2 shown]
	v_mov_b32_e32 v1, s3
	v_add_co_u32_e32 v30, vcc, s2, v32
	v_addc_co_u32_e32 v31, vcc, 0, v1, vcc
	s_waitcnt lgkmcnt(6)
	flat_store_dword v[30:31], v16
	flat_store_dword v[30:31], v17 offset:512
	s_waitcnt lgkmcnt(0)
	flat_store_dword v[30:31], v18 offset:1024
	flat_store_dword v[30:31], v19 offset:1536
	;; [unrolled: 1-line block ×6, first 2 shown]
	v_add_co_u32_e32 v16, vcc, 0x1000, v30
	v_addc_co_u32_e32 v17, vcc, 0, v31, vcc
	flat_store_dword v[16:17], v24
	flat_store_dword v[16:17], v25 offset:512
	flat_store_dword v[16:17], v26 offset:1024
	;; [unrolled: 1-line block ×5, first 2 shown]
	s_mov_b64 s[0:1], 0
.LBB2035_77:
	s_andn2_b64 vcc, exec, s[0:1]
	s_cbranch_vccnz .LBB2035_157
; %bb.78:
	s_movk_i32 s0, 0xffcc
	ds_write2_b64 v34, v[2:3], v[4:5] offset1:1
	ds_write2_b64 v34, v[6:7], v[8:9] offset0:2 offset1:3
	ds_write2_b64 v34, v[10:11], v[12:13] offset0:4 offset1:5
	ds_write_b64 v34, v[14:15] offset:48
	v_mad_i32_i24 v14, v0, s0, v34
	s_waitcnt lgkmcnt(0)
	s_barrier
	ds_read2st64_b32 v[4:5], v14 offset1:2
	ds_read2st64_b32 v[6:7], v14 offset0:4 offset1:6
	ds_read2st64_b32 v[8:9], v14 offset0:8 offset1:10
	ds_read2st64_b32 v[2:3], v14 offset0:12 offset1:14
	ds_read2st64_b32 v[12:13], v14 offset0:16 offset1:18
	ds_read2st64_b32 v[10:11], v14 offset0:20 offset1:22
	ds_read2st64_b32 v[14:15], v14 offset0:24 offset1:26
	v_mov_b32_e32 v17, s3
	v_add_co_u32_e32 v16, vcc, s2, v32
	v_addc_co_u32_e32 v17, vcc, 0, v17, vcc
	v_mov_b32_e32 v1, 0
	v_cmp_gt_u32_e32 vcc, s33, v0
	s_and_saveexec_b64 s[0:1], vcc
	s_cbranch_execz .LBB2035_80
; %bb.79:
	s_waitcnt lgkmcnt(0)
	flat_store_dword v[16:17], v4
.LBB2035_80:
	s_or_b64 exec, exec, s[0:1]
	v_or_b32_e32 v18, 0x80, v0
	v_cmp_gt_u32_e32 vcc, s33, v18
	s_and_saveexec_b64 s[0:1], vcc
	s_cbranch_execz .LBB2035_82
; %bb.81:
	s_waitcnt lgkmcnt(0)
	flat_store_dword v[16:17], v5 offset:512
.LBB2035_82:
	s_or_b64 exec, exec, s[0:1]
	v_or_b32_e32 v18, 0x100, v0
	v_cmp_gt_u32_e32 vcc, s33, v18
	s_and_saveexec_b64 s[0:1], vcc
	s_cbranch_execz .LBB2035_84
; %bb.83:
	s_waitcnt lgkmcnt(0)
	flat_store_dword v[16:17], v6 offset:1024
.LBB2035_84:
	;; [unrolled: 9-line block ×7, first 2 shown]
	s_or_b64 exec, exec, s[0:1]
	v_or_b32_e32 v18, 0x400, v0
	v_cmp_gt_u32_e32 vcc, s33, v18
	s_and_saveexec_b64 s[0:1], vcc
	s_cbranch_execz .LBB2035_96
; %bb.95:
	v_add_co_u32_e32 v18, vcc, 0x1000, v16
	v_addc_co_u32_e32 v19, vcc, 0, v17, vcc
	s_waitcnt lgkmcnt(0)
	flat_store_dword v[18:19], v12
.LBB2035_96:
	s_or_b64 exec, exec, s[0:1]
	v_or_b32_e32 v18, 0x480, v0
	v_cmp_gt_u32_e32 vcc, s33, v18
	s_and_saveexec_b64 s[0:1], vcc
	s_cbranch_execz .LBB2035_98
; %bb.97:
	v_add_co_u32_e32 v18, vcc, 0x1000, v16
	v_addc_co_u32_e32 v19, vcc, 0, v17, vcc
	s_waitcnt lgkmcnt(0)
	flat_store_dword v[18:19], v13 offset:512
.LBB2035_98:
	s_or_b64 exec, exec, s[0:1]
	v_or_b32_e32 v18, 0x500, v0
	v_cmp_gt_u32_e32 vcc, s33, v18
	s_and_saveexec_b64 s[0:1], vcc
	s_cbranch_execz .LBB2035_100
; %bb.99:
	v_add_co_u32_e32 v18, vcc, 0x1000, v16
	v_addc_co_u32_e32 v19, vcc, 0, v17, vcc
	s_waitcnt lgkmcnt(0)
	flat_store_dword v[18:19], v10 offset:1024
.LBB2035_100:
	;; [unrolled: 11-line block ×5, first 2 shown]
	s_or_b64 exec, exec, s[0:1]
	v_cmp_lt_u64_e64 s[0:1], s[18:19], 2
	s_and_b64 vcc, exec, s[0:1]
	s_cbranch_vccnz .LBB2035_157
; %bb.107:
	s_add_u32 s0, s33, -1
	s_addc_u32 s1, s34, -1
	s_add_u32 s2, 0, 0x49240800
	s_addc_u32 s3, 0, 50
	s_add_i32 s3, s3, 0x12492460
	s_mul_hi_u32 s7, s2, -14
	s_sub_i32 s7, s7, s2
	s_mul_i32 s8, s3, -14
	s_mul_i32 s4, s2, -14
	s_add_i32 s7, s7, s8
	s_mul_hi_u32 s5, s3, s4
	s_mul_i32 s6, s3, s4
	s_mul_i32 s9, s2, s7
	s_mul_hi_u32 s4, s2, s4
	s_mul_hi_u32 s8, s2, s7
	s_add_u32 s4, s4, s9
	s_addc_u32 s8, 0, s8
	s_add_u32 s4, s4, s6
	s_mul_hi_u32 s9, s3, s7
	s_addc_u32 s4, s8, s5
	s_addc_u32 s5, s9, 0
	s_mul_i32 s6, s3, s7
	s_add_u32 s4, s4, s6
	v_mov_b32_e32 v16, s4
	s_addc_u32 s5, 0, s5
	v_add_co_u32_e32 v16, vcc, s2, v16
	s_cmp_lg_u64 vcc, 0
	s_addc_u32 s2, s3, s5
	v_readfirstlane_b32 s5, v16
	s_mul_i32 s4, s0, s2
	s_mul_hi_u32 s6, s0, s5
	s_mul_hi_u32 s3, s0, s2
	s_add_u32 s4, s6, s4
	s_addc_u32 s3, 0, s3
	s_mul_hi_u32 s7, s1, s5
	s_mul_i32 s5, s1, s5
	s_add_u32 s4, s4, s5
	s_mul_hi_u32 s6, s1, s2
	s_addc_u32 s3, s3, s7
	s_addc_u32 s4, s6, 0
	s_mul_i32 s2, s1, s2
	s_add_u32 s2, s3, s2
	s_addc_u32 s3, 0, s4
	s_add_u32 s4, s2, 1
	s_addc_u32 s5, s3, 0
	s_add_u32 s6, s2, 2
	s_mul_i32 s8, s3, 14
	s_mul_hi_u32 s9, s2, 14
	s_addc_u32 s7, s3, 0
	s_add_i32 s9, s9, s8
	s_mul_i32 s8, s2, 14
	v_mov_b32_e32 v16, s8
	v_sub_co_u32_e32 v16, vcc, s0, v16
	s_cmp_lg_u64 vcc, 0
	s_subb_u32 s8, s1, s9
	v_subrev_co_u32_e32 v17, vcc, 14, v16
	s_cmp_lg_u64 vcc, 0
	s_subb_u32 s9, s8, 0
	v_readfirstlane_b32 s10, v17
	s_cmp_gt_u32 s10, 13
	s_cselect_b32 s10, -1, 0
	s_cmp_eq_u32 s9, 0
	s_cselect_b32 s9, s10, -1
	s_cmp_lg_u32 s9, 0
	s_cselect_b32 s4, s6, s4
	v_readfirstlane_b32 s6, v16
	s_cselect_b32 s5, s7, s5
	s_cmp_gt_u32 s6, 13
	s_cselect_b32 s6, -1, 0
	s_cmp_eq_u32 s8, 0
	s_cselect_b32 s6, s6, -1
	s_cmp_lg_u32 s6, 0
	s_cselect_b32 s3, s5, s3
	s_cselect_b32 s2, s4, s2
	v_cmp_eq_u64_e32 vcc, s[2:3], v[0:1]
	s_and_saveexec_b64 s[2:3], vcc
	s_cbranch_execz .LBB2035_157
; %bb.108:
	v_mul_hi_u32_u24_e32 v1, 14, v0
	v_mov_b32_e32 v16, s1
	v_sub_co_u32_e32 v0, vcc, s0, v33
	v_subb_co_u32_e32 v1, vcc, v16, v1, vcc
	v_cmp_lt_i64_e32 vcc, 6, v[0:1]
	s_and_saveexec_b64 s[0:1], vcc
	s_xor_b64 s[0:1], exec, s[0:1]
	s_cbranch_execz .LBB2035_134
; %bb.109:
	v_cmp_lt_i64_e32 vcc, 9, v[0:1]
	s_and_saveexec_b64 s[2:3], vcc
	s_xor_b64 s[2:3], exec, s[2:3]
	s_cbranch_execz .LBB2035_123
; %bb.110:
	;; [unrolled: 5-line block ×4, first 2 shown]
	v_mov_b32_e32 v0, 0
	s_waitcnt lgkmcnt(0)
	global_store_dword v0, v15, s[14:15]
                                        ; implicit-def: $vgpr14_vgpr15
.LBB2035_113:
	s_andn2_saveexec_b64 s[6:7], s[6:7]
	s_cbranch_execz .LBB2035_115
; %bb.114:
	v_mov_b32_e32 v0, 0
	s_waitcnt lgkmcnt(0)
	global_store_dword v0, v14, s[14:15]
.LBB2035_115:
	s_or_b64 exec, exec, s[6:7]
                                        ; implicit-def: $vgpr10_vgpr11
                                        ; implicit-def: $vgpr0_vgpr1
.LBB2035_116:
	s_andn2_saveexec_b64 s[4:5], s[4:5]
	s_cbranch_execz .LBB2035_122
; %bb.117:
	v_cmp_lt_i64_e32 vcc, 10, v[0:1]
	s_and_saveexec_b64 s[6:7], vcc
	s_xor_b64 s[6:7], exec, s[6:7]
	s_cbranch_execz .LBB2035_119
; %bb.118:
	v_mov_b32_e32 v0, 0
	s_waitcnt lgkmcnt(0)
	global_store_dword v0, v11, s[14:15]
                                        ; implicit-def: $vgpr10_vgpr11
.LBB2035_119:
	s_andn2_saveexec_b64 s[6:7], s[6:7]
	s_cbranch_execz .LBB2035_121
; %bb.120:
	v_mov_b32_e32 v0, 0
	s_waitcnt lgkmcnt(0)
	global_store_dword v0, v10, s[14:15]
.LBB2035_121:
	s_or_b64 exec, exec, s[6:7]
.LBB2035_122:
	s_or_b64 exec, exec, s[4:5]
                                        ; implicit-def: $vgpr2_vgpr3
                                        ; implicit-def: $vgpr0_vgpr1
                                        ; implicit-def: $vgpr12_vgpr13
.LBB2035_123:
	s_andn2_saveexec_b64 s[2:3], s[2:3]
	s_cbranch_execz .LBB2035_133
; %bb.124:
	v_cmp_lt_i64_e32 vcc, 7, v[0:1]
	s_and_saveexec_b64 s[4:5], vcc
	s_xor_b64 s[4:5], exec, s[4:5]
	s_cbranch_execz .LBB2035_130
; %bb.125:
	v_cmp_lt_i64_e32 vcc, 8, v[0:1]
	s_and_saveexec_b64 s[6:7], vcc
	s_xor_b64 s[6:7], exec, s[6:7]
	s_cbranch_execz .LBB2035_127
; %bb.126:
	v_mov_b32_e32 v0, 0
	s_waitcnt lgkmcnt(0)
	global_store_dword v0, v13, s[14:15]
                                        ; implicit-def: $vgpr12_vgpr13
.LBB2035_127:
	s_andn2_saveexec_b64 s[6:7], s[6:7]
	s_cbranch_execz .LBB2035_129
; %bb.128:
	v_mov_b32_e32 v0, 0
	s_waitcnt lgkmcnt(0)
	global_store_dword v0, v12, s[14:15]
.LBB2035_129:
	s_or_b64 exec, exec, s[6:7]
                                        ; implicit-def: $vgpr2_vgpr3
.LBB2035_130:
	s_andn2_saveexec_b64 s[4:5], s[4:5]
	s_cbranch_execz .LBB2035_132
; %bb.131:
	v_mov_b32_e32 v0, 0
	s_waitcnt lgkmcnt(0)
	global_store_dword v0, v3, s[14:15]
.LBB2035_132:
	s_or_b64 exec, exec, s[4:5]
.LBB2035_133:
	s_or_b64 exec, exec, s[2:3]
                                        ; implicit-def: $vgpr0_vgpr1
                                        ; implicit-def: $vgpr8_vgpr9
                                        ; implicit-def: $vgpr4_vgpr5
                                        ; implicit-def: $vgpr6_vgpr7
                                        ; implicit-def: $vgpr2_vgpr3
.LBB2035_134:
	s_andn2_saveexec_b64 s[0:1], s[0:1]
	s_cbranch_execz .LBB2035_157
; %bb.135:
	v_cmp_lt_i64_e32 vcc, 3, v[0:1]
	s_and_saveexec_b64 s[0:1], vcc
	s_xor_b64 s[0:1], exec, s[0:1]
	s_cbranch_execz .LBB2035_145
; %bb.136:
	v_cmp_lt_i64_e32 vcc, 4, v[0:1]
	s_and_saveexec_b64 s[2:3], vcc
	s_xor_b64 s[2:3], exec, s[2:3]
	;; [unrolled: 5-line block ×3, first 2 shown]
	s_cbranch_execz .LBB2035_139
; %bb.138:
	v_mov_b32_e32 v0, 0
	s_waitcnt lgkmcnt(0)
	global_store_dword v0, v2, s[14:15]
                                        ; implicit-def: $vgpr8_vgpr9
.LBB2035_139:
	s_andn2_saveexec_b64 s[4:5], s[4:5]
	s_cbranch_execz .LBB2035_141
; %bb.140:
	v_mov_b32_e32 v0, 0
	s_waitcnt lgkmcnt(0)
	global_store_dword v0, v9, s[14:15]
.LBB2035_141:
	s_or_b64 exec, exec, s[4:5]
                                        ; implicit-def: $vgpr8_vgpr9
.LBB2035_142:
	s_andn2_saveexec_b64 s[2:3], s[2:3]
	s_cbranch_execz .LBB2035_144
; %bb.143:
	v_mov_b32_e32 v0, 0
	s_waitcnt lgkmcnt(0)
	global_store_dword v0, v8, s[14:15]
.LBB2035_144:
	s_or_b64 exec, exec, s[2:3]
                                        ; implicit-def: $vgpr0_vgpr1
                                        ; implicit-def: $vgpr4_vgpr5
                                        ; implicit-def: $vgpr6_vgpr7
.LBB2035_145:
	s_andn2_saveexec_b64 s[0:1], s[0:1]
	s_cbranch_execz .LBB2035_157
; %bb.146:
	v_cmp_lt_i64_e32 vcc, 1, v[0:1]
	s_and_saveexec_b64 s[0:1], vcc
	s_xor_b64 s[0:1], exec, s[0:1]
	s_cbranch_execz .LBB2035_152
; %bb.147:
	v_cmp_lt_i64_e32 vcc, 2, v[0:1]
	s_and_saveexec_b64 s[2:3], vcc
	s_xor_b64 s[2:3], exec, s[2:3]
	s_cbranch_execz .LBB2035_149
; %bb.148:
	v_mov_b32_e32 v0, 0
	s_waitcnt lgkmcnt(0)
	global_store_dword v0, v7, s[14:15]
                                        ; implicit-def: $vgpr6_vgpr7
.LBB2035_149:
	s_andn2_saveexec_b64 s[2:3], s[2:3]
	s_cbranch_execz .LBB2035_151
; %bb.150:
	v_mov_b32_e32 v0, 0
	s_waitcnt lgkmcnt(0)
	global_store_dword v0, v6, s[14:15]
.LBB2035_151:
	s_or_b64 exec, exec, s[2:3]
                                        ; implicit-def: $vgpr4_vgpr5
                                        ; implicit-def: $vgpr0_vgpr1
.LBB2035_152:
	s_andn2_saveexec_b64 s[0:1], s[0:1]
	s_cbranch_execz .LBB2035_157
; %bb.153:
	v_cmp_ne_u64_e32 vcc, 1, v[0:1]
	s_and_saveexec_b64 s[0:1], vcc
	s_xor_b64 s[0:1], exec, s[0:1]
	s_cbranch_execz .LBB2035_155
; %bb.154:
	v_mov_b32_e32 v0, 0
	s_waitcnt lgkmcnt(0)
	global_store_dword v0, v4, s[14:15]
                                        ; implicit-def: $vgpr4_vgpr5
.LBB2035_155:
	s_andn2_saveexec_b64 s[0:1], s[0:1]
	s_cbranch_execz .LBB2035_157
; %bb.156:
	v_mov_b32_e32 v0, 0
	s_waitcnt lgkmcnt(0)
	global_store_dword v0, v5, s[14:15]
.LBB2035_157:
	s_endpgm
	.section	.rodata,"a",@progbits
	.p2align	6, 0x0
	.amdhsa_kernel _ZN7rocprim17ROCPRIM_400000_NS6detail17trampoline_kernelINS0_14default_configENS1_20scan_config_selectorIfEEZZNS1_9scan_implILNS1_25lookback_scan_determinismE0ELb1ELb1ES3_N6thrust23THRUST_200600_302600_NS6detail15normal_iteratorINS9_10device_ptrIfEEEESE_f11max_functorIfEfEEDaPvRmT3_T4_T5_mT6_P12ihipStream_tbENKUlT_T0_E_clISt17integral_constantIbLb1EESU_EEDaSP_SQ_EUlSP_E_NS1_11comp_targetILNS1_3genE4ELNS1_11target_archE910ELNS1_3gpuE8ELNS1_3repE0EEENS1_30default_config_static_selectorELNS0_4arch9wavefront6targetE1EEEvT1_
		.amdhsa_group_segment_fixed_size 7168
		.amdhsa_private_segment_fixed_size 0
		.amdhsa_kernarg_size 96
		.amdhsa_user_sgpr_count 6
		.amdhsa_user_sgpr_private_segment_buffer 1
		.amdhsa_user_sgpr_dispatch_ptr 0
		.amdhsa_user_sgpr_queue_ptr 0
		.amdhsa_user_sgpr_kernarg_segment_ptr 1
		.amdhsa_user_sgpr_dispatch_id 0
		.amdhsa_user_sgpr_flat_scratch_init 0
		.amdhsa_user_sgpr_kernarg_preload_length 0
		.amdhsa_user_sgpr_kernarg_preload_offset 0
		.amdhsa_user_sgpr_private_segment_size 0
		.amdhsa_uses_dynamic_stack 0
		.amdhsa_system_sgpr_private_segment_wavefront_offset 0
		.amdhsa_system_sgpr_workgroup_id_x 1
		.amdhsa_system_sgpr_workgroup_id_y 0
		.amdhsa_system_sgpr_workgroup_id_z 0
		.amdhsa_system_sgpr_workgroup_info 0
		.amdhsa_system_vgpr_workitem_id 0
		.amdhsa_next_free_vgpr 44
		.amdhsa_next_free_sgpr 42
		.amdhsa_accum_offset 44
		.amdhsa_reserve_vcc 1
		.amdhsa_reserve_flat_scratch 0
		.amdhsa_float_round_mode_32 0
		.amdhsa_float_round_mode_16_64 0
		.amdhsa_float_denorm_mode_32 3
		.amdhsa_float_denorm_mode_16_64 3
		.amdhsa_dx10_clamp 1
		.amdhsa_ieee_mode 1
		.amdhsa_fp16_overflow 0
		.amdhsa_tg_split 0
		.amdhsa_exception_fp_ieee_invalid_op 0
		.amdhsa_exception_fp_denorm_src 0
		.amdhsa_exception_fp_ieee_div_zero 0
		.amdhsa_exception_fp_ieee_overflow 0
		.amdhsa_exception_fp_ieee_underflow 0
		.amdhsa_exception_fp_ieee_inexact 0
		.amdhsa_exception_int_div_zero 0
	.end_amdhsa_kernel
	.section	.text._ZN7rocprim17ROCPRIM_400000_NS6detail17trampoline_kernelINS0_14default_configENS1_20scan_config_selectorIfEEZZNS1_9scan_implILNS1_25lookback_scan_determinismE0ELb1ELb1ES3_N6thrust23THRUST_200600_302600_NS6detail15normal_iteratorINS9_10device_ptrIfEEEESE_f11max_functorIfEfEEDaPvRmT3_T4_T5_mT6_P12ihipStream_tbENKUlT_T0_E_clISt17integral_constantIbLb1EESU_EEDaSP_SQ_EUlSP_E_NS1_11comp_targetILNS1_3genE4ELNS1_11target_archE910ELNS1_3gpuE8ELNS1_3repE0EEENS1_30default_config_static_selectorELNS0_4arch9wavefront6targetE1EEEvT1_,"axG",@progbits,_ZN7rocprim17ROCPRIM_400000_NS6detail17trampoline_kernelINS0_14default_configENS1_20scan_config_selectorIfEEZZNS1_9scan_implILNS1_25lookback_scan_determinismE0ELb1ELb1ES3_N6thrust23THRUST_200600_302600_NS6detail15normal_iteratorINS9_10device_ptrIfEEEESE_f11max_functorIfEfEEDaPvRmT3_T4_T5_mT6_P12ihipStream_tbENKUlT_T0_E_clISt17integral_constantIbLb1EESU_EEDaSP_SQ_EUlSP_E_NS1_11comp_targetILNS1_3genE4ELNS1_11target_archE910ELNS1_3gpuE8ELNS1_3repE0EEENS1_30default_config_static_selectorELNS0_4arch9wavefront6targetE1EEEvT1_,comdat
.Lfunc_end2035:
	.size	_ZN7rocprim17ROCPRIM_400000_NS6detail17trampoline_kernelINS0_14default_configENS1_20scan_config_selectorIfEEZZNS1_9scan_implILNS1_25lookback_scan_determinismE0ELb1ELb1ES3_N6thrust23THRUST_200600_302600_NS6detail15normal_iteratorINS9_10device_ptrIfEEEESE_f11max_functorIfEfEEDaPvRmT3_T4_T5_mT6_P12ihipStream_tbENKUlT_T0_E_clISt17integral_constantIbLb1EESU_EEDaSP_SQ_EUlSP_E_NS1_11comp_targetILNS1_3genE4ELNS1_11target_archE910ELNS1_3gpuE8ELNS1_3repE0EEENS1_30default_config_static_selectorELNS0_4arch9wavefront6targetE1EEEvT1_, .Lfunc_end2035-_ZN7rocprim17ROCPRIM_400000_NS6detail17trampoline_kernelINS0_14default_configENS1_20scan_config_selectorIfEEZZNS1_9scan_implILNS1_25lookback_scan_determinismE0ELb1ELb1ES3_N6thrust23THRUST_200600_302600_NS6detail15normal_iteratorINS9_10device_ptrIfEEEESE_f11max_functorIfEfEEDaPvRmT3_T4_T5_mT6_P12ihipStream_tbENKUlT_T0_E_clISt17integral_constantIbLb1EESU_EEDaSP_SQ_EUlSP_E_NS1_11comp_targetILNS1_3genE4ELNS1_11target_archE910ELNS1_3gpuE8ELNS1_3repE0EEENS1_30default_config_static_selectorELNS0_4arch9wavefront6targetE1EEEvT1_
                                        ; -- End function
	.section	.AMDGPU.csdata,"",@progbits
; Kernel info:
; codeLenInByte = 6388
; NumSgprs: 46
; NumVgprs: 44
; NumAgprs: 0
; TotalNumVgprs: 44
; ScratchSize: 0
; MemoryBound: 0
; FloatMode: 240
; IeeeMode: 1
; LDSByteSize: 7168 bytes/workgroup (compile time only)
; SGPRBlocks: 5
; VGPRBlocks: 5
; NumSGPRsForWavesPerEU: 46
; NumVGPRsForWavesPerEU: 44
; AccumOffset: 44
; Occupancy: 5
; WaveLimiterHint : 1
; COMPUTE_PGM_RSRC2:SCRATCH_EN: 0
; COMPUTE_PGM_RSRC2:USER_SGPR: 6
; COMPUTE_PGM_RSRC2:TRAP_HANDLER: 0
; COMPUTE_PGM_RSRC2:TGID_X_EN: 1
; COMPUTE_PGM_RSRC2:TGID_Y_EN: 0
; COMPUTE_PGM_RSRC2:TGID_Z_EN: 0
; COMPUTE_PGM_RSRC2:TIDIG_COMP_CNT: 0
; COMPUTE_PGM_RSRC3_GFX90A:ACCUM_OFFSET: 10
; COMPUTE_PGM_RSRC3_GFX90A:TG_SPLIT: 0
	.section	.text._ZN7rocprim17ROCPRIM_400000_NS6detail17trampoline_kernelINS0_14default_configENS1_20scan_config_selectorIfEEZZNS1_9scan_implILNS1_25lookback_scan_determinismE0ELb1ELb1ES3_N6thrust23THRUST_200600_302600_NS6detail15normal_iteratorINS9_10device_ptrIfEEEESE_f11max_functorIfEfEEDaPvRmT3_T4_T5_mT6_P12ihipStream_tbENKUlT_T0_E_clISt17integral_constantIbLb1EESU_EEDaSP_SQ_EUlSP_E_NS1_11comp_targetILNS1_3genE3ELNS1_11target_archE908ELNS1_3gpuE7ELNS1_3repE0EEENS1_30default_config_static_selectorELNS0_4arch9wavefront6targetE1EEEvT1_,"axG",@progbits,_ZN7rocprim17ROCPRIM_400000_NS6detail17trampoline_kernelINS0_14default_configENS1_20scan_config_selectorIfEEZZNS1_9scan_implILNS1_25lookback_scan_determinismE0ELb1ELb1ES3_N6thrust23THRUST_200600_302600_NS6detail15normal_iteratorINS9_10device_ptrIfEEEESE_f11max_functorIfEfEEDaPvRmT3_T4_T5_mT6_P12ihipStream_tbENKUlT_T0_E_clISt17integral_constantIbLb1EESU_EEDaSP_SQ_EUlSP_E_NS1_11comp_targetILNS1_3genE3ELNS1_11target_archE908ELNS1_3gpuE7ELNS1_3repE0EEENS1_30default_config_static_selectorELNS0_4arch9wavefront6targetE1EEEvT1_,comdat
	.protected	_ZN7rocprim17ROCPRIM_400000_NS6detail17trampoline_kernelINS0_14default_configENS1_20scan_config_selectorIfEEZZNS1_9scan_implILNS1_25lookback_scan_determinismE0ELb1ELb1ES3_N6thrust23THRUST_200600_302600_NS6detail15normal_iteratorINS9_10device_ptrIfEEEESE_f11max_functorIfEfEEDaPvRmT3_T4_T5_mT6_P12ihipStream_tbENKUlT_T0_E_clISt17integral_constantIbLb1EESU_EEDaSP_SQ_EUlSP_E_NS1_11comp_targetILNS1_3genE3ELNS1_11target_archE908ELNS1_3gpuE7ELNS1_3repE0EEENS1_30default_config_static_selectorELNS0_4arch9wavefront6targetE1EEEvT1_ ; -- Begin function _ZN7rocprim17ROCPRIM_400000_NS6detail17trampoline_kernelINS0_14default_configENS1_20scan_config_selectorIfEEZZNS1_9scan_implILNS1_25lookback_scan_determinismE0ELb1ELb1ES3_N6thrust23THRUST_200600_302600_NS6detail15normal_iteratorINS9_10device_ptrIfEEEESE_f11max_functorIfEfEEDaPvRmT3_T4_T5_mT6_P12ihipStream_tbENKUlT_T0_E_clISt17integral_constantIbLb1EESU_EEDaSP_SQ_EUlSP_E_NS1_11comp_targetILNS1_3genE3ELNS1_11target_archE908ELNS1_3gpuE7ELNS1_3repE0EEENS1_30default_config_static_selectorELNS0_4arch9wavefront6targetE1EEEvT1_
	.globl	_ZN7rocprim17ROCPRIM_400000_NS6detail17trampoline_kernelINS0_14default_configENS1_20scan_config_selectorIfEEZZNS1_9scan_implILNS1_25lookback_scan_determinismE0ELb1ELb1ES3_N6thrust23THRUST_200600_302600_NS6detail15normal_iteratorINS9_10device_ptrIfEEEESE_f11max_functorIfEfEEDaPvRmT3_T4_T5_mT6_P12ihipStream_tbENKUlT_T0_E_clISt17integral_constantIbLb1EESU_EEDaSP_SQ_EUlSP_E_NS1_11comp_targetILNS1_3genE3ELNS1_11target_archE908ELNS1_3gpuE7ELNS1_3repE0EEENS1_30default_config_static_selectorELNS0_4arch9wavefront6targetE1EEEvT1_
	.p2align	8
	.type	_ZN7rocprim17ROCPRIM_400000_NS6detail17trampoline_kernelINS0_14default_configENS1_20scan_config_selectorIfEEZZNS1_9scan_implILNS1_25lookback_scan_determinismE0ELb1ELb1ES3_N6thrust23THRUST_200600_302600_NS6detail15normal_iteratorINS9_10device_ptrIfEEEESE_f11max_functorIfEfEEDaPvRmT3_T4_T5_mT6_P12ihipStream_tbENKUlT_T0_E_clISt17integral_constantIbLb1EESU_EEDaSP_SQ_EUlSP_E_NS1_11comp_targetILNS1_3genE3ELNS1_11target_archE908ELNS1_3gpuE7ELNS1_3repE0EEENS1_30default_config_static_selectorELNS0_4arch9wavefront6targetE1EEEvT1_,@function
_ZN7rocprim17ROCPRIM_400000_NS6detail17trampoline_kernelINS0_14default_configENS1_20scan_config_selectorIfEEZZNS1_9scan_implILNS1_25lookback_scan_determinismE0ELb1ELb1ES3_N6thrust23THRUST_200600_302600_NS6detail15normal_iteratorINS9_10device_ptrIfEEEESE_f11max_functorIfEfEEDaPvRmT3_T4_T5_mT6_P12ihipStream_tbENKUlT_T0_E_clISt17integral_constantIbLb1EESU_EEDaSP_SQ_EUlSP_E_NS1_11comp_targetILNS1_3genE3ELNS1_11target_archE908ELNS1_3gpuE7ELNS1_3repE0EEENS1_30default_config_static_selectorELNS0_4arch9wavefront6targetE1EEEvT1_: ; @_ZN7rocprim17ROCPRIM_400000_NS6detail17trampoline_kernelINS0_14default_configENS1_20scan_config_selectorIfEEZZNS1_9scan_implILNS1_25lookback_scan_determinismE0ELb1ELb1ES3_N6thrust23THRUST_200600_302600_NS6detail15normal_iteratorINS9_10device_ptrIfEEEESE_f11max_functorIfEfEEDaPvRmT3_T4_T5_mT6_P12ihipStream_tbENKUlT_T0_E_clISt17integral_constantIbLb1EESU_EEDaSP_SQ_EUlSP_E_NS1_11comp_targetILNS1_3genE3ELNS1_11target_archE908ELNS1_3gpuE7ELNS1_3repE0EEENS1_30default_config_static_selectorELNS0_4arch9wavefront6targetE1EEEvT1_
; %bb.0:
	.section	.rodata,"a",@progbits
	.p2align	6, 0x0
	.amdhsa_kernel _ZN7rocprim17ROCPRIM_400000_NS6detail17trampoline_kernelINS0_14default_configENS1_20scan_config_selectorIfEEZZNS1_9scan_implILNS1_25lookback_scan_determinismE0ELb1ELb1ES3_N6thrust23THRUST_200600_302600_NS6detail15normal_iteratorINS9_10device_ptrIfEEEESE_f11max_functorIfEfEEDaPvRmT3_T4_T5_mT6_P12ihipStream_tbENKUlT_T0_E_clISt17integral_constantIbLb1EESU_EEDaSP_SQ_EUlSP_E_NS1_11comp_targetILNS1_3genE3ELNS1_11target_archE908ELNS1_3gpuE7ELNS1_3repE0EEENS1_30default_config_static_selectorELNS0_4arch9wavefront6targetE1EEEvT1_
		.amdhsa_group_segment_fixed_size 0
		.amdhsa_private_segment_fixed_size 0
		.amdhsa_kernarg_size 96
		.amdhsa_user_sgpr_count 6
		.amdhsa_user_sgpr_private_segment_buffer 1
		.amdhsa_user_sgpr_dispatch_ptr 0
		.amdhsa_user_sgpr_queue_ptr 0
		.amdhsa_user_sgpr_kernarg_segment_ptr 1
		.amdhsa_user_sgpr_dispatch_id 0
		.amdhsa_user_sgpr_flat_scratch_init 0
		.amdhsa_user_sgpr_kernarg_preload_length 0
		.amdhsa_user_sgpr_kernarg_preload_offset 0
		.amdhsa_user_sgpr_private_segment_size 0
		.amdhsa_uses_dynamic_stack 0
		.amdhsa_system_sgpr_private_segment_wavefront_offset 0
		.amdhsa_system_sgpr_workgroup_id_x 1
		.amdhsa_system_sgpr_workgroup_id_y 0
		.amdhsa_system_sgpr_workgroup_id_z 0
		.amdhsa_system_sgpr_workgroup_info 0
		.amdhsa_system_vgpr_workitem_id 0
		.amdhsa_next_free_vgpr 1
		.amdhsa_next_free_sgpr 0
		.amdhsa_accum_offset 4
		.amdhsa_reserve_vcc 0
		.amdhsa_reserve_flat_scratch 0
		.amdhsa_float_round_mode_32 0
		.amdhsa_float_round_mode_16_64 0
		.amdhsa_float_denorm_mode_32 3
		.amdhsa_float_denorm_mode_16_64 3
		.amdhsa_dx10_clamp 1
		.amdhsa_ieee_mode 1
		.amdhsa_fp16_overflow 0
		.amdhsa_tg_split 0
		.amdhsa_exception_fp_ieee_invalid_op 0
		.amdhsa_exception_fp_denorm_src 0
		.amdhsa_exception_fp_ieee_div_zero 0
		.amdhsa_exception_fp_ieee_overflow 0
		.amdhsa_exception_fp_ieee_underflow 0
		.amdhsa_exception_fp_ieee_inexact 0
		.amdhsa_exception_int_div_zero 0
	.end_amdhsa_kernel
	.section	.text._ZN7rocprim17ROCPRIM_400000_NS6detail17trampoline_kernelINS0_14default_configENS1_20scan_config_selectorIfEEZZNS1_9scan_implILNS1_25lookback_scan_determinismE0ELb1ELb1ES3_N6thrust23THRUST_200600_302600_NS6detail15normal_iteratorINS9_10device_ptrIfEEEESE_f11max_functorIfEfEEDaPvRmT3_T4_T5_mT6_P12ihipStream_tbENKUlT_T0_E_clISt17integral_constantIbLb1EESU_EEDaSP_SQ_EUlSP_E_NS1_11comp_targetILNS1_3genE3ELNS1_11target_archE908ELNS1_3gpuE7ELNS1_3repE0EEENS1_30default_config_static_selectorELNS0_4arch9wavefront6targetE1EEEvT1_,"axG",@progbits,_ZN7rocprim17ROCPRIM_400000_NS6detail17trampoline_kernelINS0_14default_configENS1_20scan_config_selectorIfEEZZNS1_9scan_implILNS1_25lookback_scan_determinismE0ELb1ELb1ES3_N6thrust23THRUST_200600_302600_NS6detail15normal_iteratorINS9_10device_ptrIfEEEESE_f11max_functorIfEfEEDaPvRmT3_T4_T5_mT6_P12ihipStream_tbENKUlT_T0_E_clISt17integral_constantIbLb1EESU_EEDaSP_SQ_EUlSP_E_NS1_11comp_targetILNS1_3genE3ELNS1_11target_archE908ELNS1_3gpuE7ELNS1_3repE0EEENS1_30default_config_static_selectorELNS0_4arch9wavefront6targetE1EEEvT1_,comdat
.Lfunc_end2036:
	.size	_ZN7rocprim17ROCPRIM_400000_NS6detail17trampoline_kernelINS0_14default_configENS1_20scan_config_selectorIfEEZZNS1_9scan_implILNS1_25lookback_scan_determinismE0ELb1ELb1ES3_N6thrust23THRUST_200600_302600_NS6detail15normal_iteratorINS9_10device_ptrIfEEEESE_f11max_functorIfEfEEDaPvRmT3_T4_T5_mT6_P12ihipStream_tbENKUlT_T0_E_clISt17integral_constantIbLb1EESU_EEDaSP_SQ_EUlSP_E_NS1_11comp_targetILNS1_3genE3ELNS1_11target_archE908ELNS1_3gpuE7ELNS1_3repE0EEENS1_30default_config_static_selectorELNS0_4arch9wavefront6targetE1EEEvT1_, .Lfunc_end2036-_ZN7rocprim17ROCPRIM_400000_NS6detail17trampoline_kernelINS0_14default_configENS1_20scan_config_selectorIfEEZZNS1_9scan_implILNS1_25lookback_scan_determinismE0ELb1ELb1ES3_N6thrust23THRUST_200600_302600_NS6detail15normal_iteratorINS9_10device_ptrIfEEEESE_f11max_functorIfEfEEDaPvRmT3_T4_T5_mT6_P12ihipStream_tbENKUlT_T0_E_clISt17integral_constantIbLb1EESU_EEDaSP_SQ_EUlSP_E_NS1_11comp_targetILNS1_3genE3ELNS1_11target_archE908ELNS1_3gpuE7ELNS1_3repE0EEENS1_30default_config_static_selectorELNS0_4arch9wavefront6targetE1EEEvT1_
                                        ; -- End function
	.section	.AMDGPU.csdata,"",@progbits
; Kernel info:
; codeLenInByte = 0
; NumSgprs: 4
; NumVgprs: 0
; NumAgprs: 0
; TotalNumVgprs: 0
; ScratchSize: 0
; MemoryBound: 0
; FloatMode: 240
; IeeeMode: 1
; LDSByteSize: 0 bytes/workgroup (compile time only)
; SGPRBlocks: 0
; VGPRBlocks: 0
; NumSGPRsForWavesPerEU: 4
; NumVGPRsForWavesPerEU: 1
; AccumOffset: 4
; Occupancy: 8
; WaveLimiterHint : 0
; COMPUTE_PGM_RSRC2:SCRATCH_EN: 0
; COMPUTE_PGM_RSRC2:USER_SGPR: 6
; COMPUTE_PGM_RSRC2:TRAP_HANDLER: 0
; COMPUTE_PGM_RSRC2:TGID_X_EN: 1
; COMPUTE_PGM_RSRC2:TGID_Y_EN: 0
; COMPUTE_PGM_RSRC2:TGID_Z_EN: 0
; COMPUTE_PGM_RSRC2:TIDIG_COMP_CNT: 0
; COMPUTE_PGM_RSRC3_GFX90A:ACCUM_OFFSET: 0
; COMPUTE_PGM_RSRC3_GFX90A:TG_SPLIT: 0
	.section	.text._ZN7rocprim17ROCPRIM_400000_NS6detail17trampoline_kernelINS0_14default_configENS1_20scan_config_selectorIfEEZZNS1_9scan_implILNS1_25lookback_scan_determinismE0ELb1ELb1ES3_N6thrust23THRUST_200600_302600_NS6detail15normal_iteratorINS9_10device_ptrIfEEEESE_f11max_functorIfEfEEDaPvRmT3_T4_T5_mT6_P12ihipStream_tbENKUlT_T0_E_clISt17integral_constantIbLb1EESU_EEDaSP_SQ_EUlSP_E_NS1_11comp_targetILNS1_3genE2ELNS1_11target_archE906ELNS1_3gpuE6ELNS1_3repE0EEENS1_30default_config_static_selectorELNS0_4arch9wavefront6targetE1EEEvT1_,"axG",@progbits,_ZN7rocprim17ROCPRIM_400000_NS6detail17trampoline_kernelINS0_14default_configENS1_20scan_config_selectorIfEEZZNS1_9scan_implILNS1_25lookback_scan_determinismE0ELb1ELb1ES3_N6thrust23THRUST_200600_302600_NS6detail15normal_iteratorINS9_10device_ptrIfEEEESE_f11max_functorIfEfEEDaPvRmT3_T4_T5_mT6_P12ihipStream_tbENKUlT_T0_E_clISt17integral_constantIbLb1EESU_EEDaSP_SQ_EUlSP_E_NS1_11comp_targetILNS1_3genE2ELNS1_11target_archE906ELNS1_3gpuE6ELNS1_3repE0EEENS1_30default_config_static_selectorELNS0_4arch9wavefront6targetE1EEEvT1_,comdat
	.protected	_ZN7rocprim17ROCPRIM_400000_NS6detail17trampoline_kernelINS0_14default_configENS1_20scan_config_selectorIfEEZZNS1_9scan_implILNS1_25lookback_scan_determinismE0ELb1ELb1ES3_N6thrust23THRUST_200600_302600_NS6detail15normal_iteratorINS9_10device_ptrIfEEEESE_f11max_functorIfEfEEDaPvRmT3_T4_T5_mT6_P12ihipStream_tbENKUlT_T0_E_clISt17integral_constantIbLb1EESU_EEDaSP_SQ_EUlSP_E_NS1_11comp_targetILNS1_3genE2ELNS1_11target_archE906ELNS1_3gpuE6ELNS1_3repE0EEENS1_30default_config_static_selectorELNS0_4arch9wavefront6targetE1EEEvT1_ ; -- Begin function _ZN7rocprim17ROCPRIM_400000_NS6detail17trampoline_kernelINS0_14default_configENS1_20scan_config_selectorIfEEZZNS1_9scan_implILNS1_25lookback_scan_determinismE0ELb1ELb1ES3_N6thrust23THRUST_200600_302600_NS6detail15normal_iteratorINS9_10device_ptrIfEEEESE_f11max_functorIfEfEEDaPvRmT3_T4_T5_mT6_P12ihipStream_tbENKUlT_T0_E_clISt17integral_constantIbLb1EESU_EEDaSP_SQ_EUlSP_E_NS1_11comp_targetILNS1_3genE2ELNS1_11target_archE906ELNS1_3gpuE6ELNS1_3repE0EEENS1_30default_config_static_selectorELNS0_4arch9wavefront6targetE1EEEvT1_
	.globl	_ZN7rocprim17ROCPRIM_400000_NS6detail17trampoline_kernelINS0_14default_configENS1_20scan_config_selectorIfEEZZNS1_9scan_implILNS1_25lookback_scan_determinismE0ELb1ELb1ES3_N6thrust23THRUST_200600_302600_NS6detail15normal_iteratorINS9_10device_ptrIfEEEESE_f11max_functorIfEfEEDaPvRmT3_T4_T5_mT6_P12ihipStream_tbENKUlT_T0_E_clISt17integral_constantIbLb1EESU_EEDaSP_SQ_EUlSP_E_NS1_11comp_targetILNS1_3genE2ELNS1_11target_archE906ELNS1_3gpuE6ELNS1_3repE0EEENS1_30default_config_static_selectorELNS0_4arch9wavefront6targetE1EEEvT1_
	.p2align	8
	.type	_ZN7rocprim17ROCPRIM_400000_NS6detail17trampoline_kernelINS0_14default_configENS1_20scan_config_selectorIfEEZZNS1_9scan_implILNS1_25lookback_scan_determinismE0ELb1ELb1ES3_N6thrust23THRUST_200600_302600_NS6detail15normal_iteratorINS9_10device_ptrIfEEEESE_f11max_functorIfEfEEDaPvRmT3_T4_T5_mT6_P12ihipStream_tbENKUlT_T0_E_clISt17integral_constantIbLb1EESU_EEDaSP_SQ_EUlSP_E_NS1_11comp_targetILNS1_3genE2ELNS1_11target_archE906ELNS1_3gpuE6ELNS1_3repE0EEENS1_30default_config_static_selectorELNS0_4arch9wavefront6targetE1EEEvT1_,@function
_ZN7rocprim17ROCPRIM_400000_NS6detail17trampoline_kernelINS0_14default_configENS1_20scan_config_selectorIfEEZZNS1_9scan_implILNS1_25lookback_scan_determinismE0ELb1ELb1ES3_N6thrust23THRUST_200600_302600_NS6detail15normal_iteratorINS9_10device_ptrIfEEEESE_f11max_functorIfEfEEDaPvRmT3_T4_T5_mT6_P12ihipStream_tbENKUlT_T0_E_clISt17integral_constantIbLb1EESU_EEDaSP_SQ_EUlSP_E_NS1_11comp_targetILNS1_3genE2ELNS1_11target_archE906ELNS1_3gpuE6ELNS1_3repE0EEENS1_30default_config_static_selectorELNS0_4arch9wavefront6targetE1EEEvT1_: ; @_ZN7rocprim17ROCPRIM_400000_NS6detail17trampoline_kernelINS0_14default_configENS1_20scan_config_selectorIfEEZZNS1_9scan_implILNS1_25lookback_scan_determinismE0ELb1ELb1ES3_N6thrust23THRUST_200600_302600_NS6detail15normal_iteratorINS9_10device_ptrIfEEEESE_f11max_functorIfEfEEDaPvRmT3_T4_T5_mT6_P12ihipStream_tbENKUlT_T0_E_clISt17integral_constantIbLb1EESU_EEDaSP_SQ_EUlSP_E_NS1_11comp_targetILNS1_3genE2ELNS1_11target_archE906ELNS1_3gpuE6ELNS1_3repE0EEENS1_30default_config_static_selectorELNS0_4arch9wavefront6targetE1EEEvT1_
; %bb.0:
	.section	.rodata,"a",@progbits
	.p2align	6, 0x0
	.amdhsa_kernel _ZN7rocprim17ROCPRIM_400000_NS6detail17trampoline_kernelINS0_14default_configENS1_20scan_config_selectorIfEEZZNS1_9scan_implILNS1_25lookback_scan_determinismE0ELb1ELb1ES3_N6thrust23THRUST_200600_302600_NS6detail15normal_iteratorINS9_10device_ptrIfEEEESE_f11max_functorIfEfEEDaPvRmT3_T4_T5_mT6_P12ihipStream_tbENKUlT_T0_E_clISt17integral_constantIbLb1EESU_EEDaSP_SQ_EUlSP_E_NS1_11comp_targetILNS1_3genE2ELNS1_11target_archE906ELNS1_3gpuE6ELNS1_3repE0EEENS1_30default_config_static_selectorELNS0_4arch9wavefront6targetE1EEEvT1_
		.amdhsa_group_segment_fixed_size 0
		.amdhsa_private_segment_fixed_size 0
		.amdhsa_kernarg_size 96
		.amdhsa_user_sgpr_count 6
		.amdhsa_user_sgpr_private_segment_buffer 1
		.amdhsa_user_sgpr_dispatch_ptr 0
		.amdhsa_user_sgpr_queue_ptr 0
		.amdhsa_user_sgpr_kernarg_segment_ptr 1
		.amdhsa_user_sgpr_dispatch_id 0
		.amdhsa_user_sgpr_flat_scratch_init 0
		.amdhsa_user_sgpr_kernarg_preload_length 0
		.amdhsa_user_sgpr_kernarg_preload_offset 0
		.amdhsa_user_sgpr_private_segment_size 0
		.amdhsa_uses_dynamic_stack 0
		.amdhsa_system_sgpr_private_segment_wavefront_offset 0
		.amdhsa_system_sgpr_workgroup_id_x 1
		.amdhsa_system_sgpr_workgroup_id_y 0
		.amdhsa_system_sgpr_workgroup_id_z 0
		.amdhsa_system_sgpr_workgroup_info 0
		.amdhsa_system_vgpr_workitem_id 0
		.amdhsa_next_free_vgpr 1
		.amdhsa_next_free_sgpr 0
		.amdhsa_accum_offset 4
		.amdhsa_reserve_vcc 0
		.amdhsa_reserve_flat_scratch 0
		.amdhsa_float_round_mode_32 0
		.amdhsa_float_round_mode_16_64 0
		.amdhsa_float_denorm_mode_32 3
		.amdhsa_float_denorm_mode_16_64 3
		.amdhsa_dx10_clamp 1
		.amdhsa_ieee_mode 1
		.amdhsa_fp16_overflow 0
		.amdhsa_tg_split 0
		.amdhsa_exception_fp_ieee_invalid_op 0
		.amdhsa_exception_fp_denorm_src 0
		.amdhsa_exception_fp_ieee_div_zero 0
		.amdhsa_exception_fp_ieee_overflow 0
		.amdhsa_exception_fp_ieee_underflow 0
		.amdhsa_exception_fp_ieee_inexact 0
		.amdhsa_exception_int_div_zero 0
	.end_amdhsa_kernel
	.section	.text._ZN7rocprim17ROCPRIM_400000_NS6detail17trampoline_kernelINS0_14default_configENS1_20scan_config_selectorIfEEZZNS1_9scan_implILNS1_25lookback_scan_determinismE0ELb1ELb1ES3_N6thrust23THRUST_200600_302600_NS6detail15normal_iteratorINS9_10device_ptrIfEEEESE_f11max_functorIfEfEEDaPvRmT3_T4_T5_mT6_P12ihipStream_tbENKUlT_T0_E_clISt17integral_constantIbLb1EESU_EEDaSP_SQ_EUlSP_E_NS1_11comp_targetILNS1_3genE2ELNS1_11target_archE906ELNS1_3gpuE6ELNS1_3repE0EEENS1_30default_config_static_selectorELNS0_4arch9wavefront6targetE1EEEvT1_,"axG",@progbits,_ZN7rocprim17ROCPRIM_400000_NS6detail17trampoline_kernelINS0_14default_configENS1_20scan_config_selectorIfEEZZNS1_9scan_implILNS1_25lookback_scan_determinismE0ELb1ELb1ES3_N6thrust23THRUST_200600_302600_NS6detail15normal_iteratorINS9_10device_ptrIfEEEESE_f11max_functorIfEfEEDaPvRmT3_T4_T5_mT6_P12ihipStream_tbENKUlT_T0_E_clISt17integral_constantIbLb1EESU_EEDaSP_SQ_EUlSP_E_NS1_11comp_targetILNS1_3genE2ELNS1_11target_archE906ELNS1_3gpuE6ELNS1_3repE0EEENS1_30default_config_static_selectorELNS0_4arch9wavefront6targetE1EEEvT1_,comdat
.Lfunc_end2037:
	.size	_ZN7rocprim17ROCPRIM_400000_NS6detail17trampoline_kernelINS0_14default_configENS1_20scan_config_selectorIfEEZZNS1_9scan_implILNS1_25lookback_scan_determinismE0ELb1ELb1ES3_N6thrust23THRUST_200600_302600_NS6detail15normal_iteratorINS9_10device_ptrIfEEEESE_f11max_functorIfEfEEDaPvRmT3_T4_T5_mT6_P12ihipStream_tbENKUlT_T0_E_clISt17integral_constantIbLb1EESU_EEDaSP_SQ_EUlSP_E_NS1_11comp_targetILNS1_3genE2ELNS1_11target_archE906ELNS1_3gpuE6ELNS1_3repE0EEENS1_30default_config_static_selectorELNS0_4arch9wavefront6targetE1EEEvT1_, .Lfunc_end2037-_ZN7rocprim17ROCPRIM_400000_NS6detail17trampoline_kernelINS0_14default_configENS1_20scan_config_selectorIfEEZZNS1_9scan_implILNS1_25lookback_scan_determinismE0ELb1ELb1ES3_N6thrust23THRUST_200600_302600_NS6detail15normal_iteratorINS9_10device_ptrIfEEEESE_f11max_functorIfEfEEDaPvRmT3_T4_T5_mT6_P12ihipStream_tbENKUlT_T0_E_clISt17integral_constantIbLb1EESU_EEDaSP_SQ_EUlSP_E_NS1_11comp_targetILNS1_3genE2ELNS1_11target_archE906ELNS1_3gpuE6ELNS1_3repE0EEENS1_30default_config_static_selectorELNS0_4arch9wavefront6targetE1EEEvT1_
                                        ; -- End function
	.section	.AMDGPU.csdata,"",@progbits
; Kernel info:
; codeLenInByte = 0
; NumSgprs: 4
; NumVgprs: 0
; NumAgprs: 0
; TotalNumVgprs: 0
; ScratchSize: 0
; MemoryBound: 0
; FloatMode: 240
; IeeeMode: 1
; LDSByteSize: 0 bytes/workgroup (compile time only)
; SGPRBlocks: 0
; VGPRBlocks: 0
; NumSGPRsForWavesPerEU: 4
; NumVGPRsForWavesPerEU: 1
; AccumOffset: 4
; Occupancy: 8
; WaveLimiterHint : 0
; COMPUTE_PGM_RSRC2:SCRATCH_EN: 0
; COMPUTE_PGM_RSRC2:USER_SGPR: 6
; COMPUTE_PGM_RSRC2:TRAP_HANDLER: 0
; COMPUTE_PGM_RSRC2:TGID_X_EN: 1
; COMPUTE_PGM_RSRC2:TGID_Y_EN: 0
; COMPUTE_PGM_RSRC2:TGID_Z_EN: 0
; COMPUTE_PGM_RSRC2:TIDIG_COMP_CNT: 0
; COMPUTE_PGM_RSRC3_GFX90A:ACCUM_OFFSET: 0
; COMPUTE_PGM_RSRC3_GFX90A:TG_SPLIT: 0
	.section	.text._ZN7rocprim17ROCPRIM_400000_NS6detail17trampoline_kernelINS0_14default_configENS1_20scan_config_selectorIfEEZZNS1_9scan_implILNS1_25lookback_scan_determinismE0ELb1ELb1ES3_N6thrust23THRUST_200600_302600_NS6detail15normal_iteratorINS9_10device_ptrIfEEEESE_f11max_functorIfEfEEDaPvRmT3_T4_T5_mT6_P12ihipStream_tbENKUlT_T0_E_clISt17integral_constantIbLb1EESU_EEDaSP_SQ_EUlSP_E_NS1_11comp_targetILNS1_3genE10ELNS1_11target_archE1201ELNS1_3gpuE5ELNS1_3repE0EEENS1_30default_config_static_selectorELNS0_4arch9wavefront6targetE1EEEvT1_,"axG",@progbits,_ZN7rocprim17ROCPRIM_400000_NS6detail17trampoline_kernelINS0_14default_configENS1_20scan_config_selectorIfEEZZNS1_9scan_implILNS1_25lookback_scan_determinismE0ELb1ELb1ES3_N6thrust23THRUST_200600_302600_NS6detail15normal_iteratorINS9_10device_ptrIfEEEESE_f11max_functorIfEfEEDaPvRmT3_T4_T5_mT6_P12ihipStream_tbENKUlT_T0_E_clISt17integral_constantIbLb1EESU_EEDaSP_SQ_EUlSP_E_NS1_11comp_targetILNS1_3genE10ELNS1_11target_archE1201ELNS1_3gpuE5ELNS1_3repE0EEENS1_30default_config_static_selectorELNS0_4arch9wavefront6targetE1EEEvT1_,comdat
	.protected	_ZN7rocprim17ROCPRIM_400000_NS6detail17trampoline_kernelINS0_14default_configENS1_20scan_config_selectorIfEEZZNS1_9scan_implILNS1_25lookback_scan_determinismE0ELb1ELb1ES3_N6thrust23THRUST_200600_302600_NS6detail15normal_iteratorINS9_10device_ptrIfEEEESE_f11max_functorIfEfEEDaPvRmT3_T4_T5_mT6_P12ihipStream_tbENKUlT_T0_E_clISt17integral_constantIbLb1EESU_EEDaSP_SQ_EUlSP_E_NS1_11comp_targetILNS1_3genE10ELNS1_11target_archE1201ELNS1_3gpuE5ELNS1_3repE0EEENS1_30default_config_static_selectorELNS0_4arch9wavefront6targetE1EEEvT1_ ; -- Begin function _ZN7rocprim17ROCPRIM_400000_NS6detail17trampoline_kernelINS0_14default_configENS1_20scan_config_selectorIfEEZZNS1_9scan_implILNS1_25lookback_scan_determinismE0ELb1ELb1ES3_N6thrust23THRUST_200600_302600_NS6detail15normal_iteratorINS9_10device_ptrIfEEEESE_f11max_functorIfEfEEDaPvRmT3_T4_T5_mT6_P12ihipStream_tbENKUlT_T0_E_clISt17integral_constantIbLb1EESU_EEDaSP_SQ_EUlSP_E_NS1_11comp_targetILNS1_3genE10ELNS1_11target_archE1201ELNS1_3gpuE5ELNS1_3repE0EEENS1_30default_config_static_selectorELNS0_4arch9wavefront6targetE1EEEvT1_
	.globl	_ZN7rocprim17ROCPRIM_400000_NS6detail17trampoline_kernelINS0_14default_configENS1_20scan_config_selectorIfEEZZNS1_9scan_implILNS1_25lookback_scan_determinismE0ELb1ELb1ES3_N6thrust23THRUST_200600_302600_NS6detail15normal_iteratorINS9_10device_ptrIfEEEESE_f11max_functorIfEfEEDaPvRmT3_T4_T5_mT6_P12ihipStream_tbENKUlT_T0_E_clISt17integral_constantIbLb1EESU_EEDaSP_SQ_EUlSP_E_NS1_11comp_targetILNS1_3genE10ELNS1_11target_archE1201ELNS1_3gpuE5ELNS1_3repE0EEENS1_30default_config_static_selectorELNS0_4arch9wavefront6targetE1EEEvT1_
	.p2align	8
	.type	_ZN7rocprim17ROCPRIM_400000_NS6detail17trampoline_kernelINS0_14default_configENS1_20scan_config_selectorIfEEZZNS1_9scan_implILNS1_25lookback_scan_determinismE0ELb1ELb1ES3_N6thrust23THRUST_200600_302600_NS6detail15normal_iteratorINS9_10device_ptrIfEEEESE_f11max_functorIfEfEEDaPvRmT3_T4_T5_mT6_P12ihipStream_tbENKUlT_T0_E_clISt17integral_constantIbLb1EESU_EEDaSP_SQ_EUlSP_E_NS1_11comp_targetILNS1_3genE10ELNS1_11target_archE1201ELNS1_3gpuE5ELNS1_3repE0EEENS1_30default_config_static_selectorELNS0_4arch9wavefront6targetE1EEEvT1_,@function
_ZN7rocprim17ROCPRIM_400000_NS6detail17trampoline_kernelINS0_14default_configENS1_20scan_config_selectorIfEEZZNS1_9scan_implILNS1_25lookback_scan_determinismE0ELb1ELb1ES3_N6thrust23THRUST_200600_302600_NS6detail15normal_iteratorINS9_10device_ptrIfEEEESE_f11max_functorIfEfEEDaPvRmT3_T4_T5_mT6_P12ihipStream_tbENKUlT_T0_E_clISt17integral_constantIbLb1EESU_EEDaSP_SQ_EUlSP_E_NS1_11comp_targetILNS1_3genE10ELNS1_11target_archE1201ELNS1_3gpuE5ELNS1_3repE0EEENS1_30default_config_static_selectorELNS0_4arch9wavefront6targetE1EEEvT1_: ; @_ZN7rocprim17ROCPRIM_400000_NS6detail17trampoline_kernelINS0_14default_configENS1_20scan_config_selectorIfEEZZNS1_9scan_implILNS1_25lookback_scan_determinismE0ELb1ELb1ES3_N6thrust23THRUST_200600_302600_NS6detail15normal_iteratorINS9_10device_ptrIfEEEESE_f11max_functorIfEfEEDaPvRmT3_T4_T5_mT6_P12ihipStream_tbENKUlT_T0_E_clISt17integral_constantIbLb1EESU_EEDaSP_SQ_EUlSP_E_NS1_11comp_targetILNS1_3genE10ELNS1_11target_archE1201ELNS1_3gpuE5ELNS1_3repE0EEENS1_30default_config_static_selectorELNS0_4arch9wavefront6targetE1EEEvT1_
; %bb.0:
	.section	.rodata,"a",@progbits
	.p2align	6, 0x0
	.amdhsa_kernel _ZN7rocprim17ROCPRIM_400000_NS6detail17trampoline_kernelINS0_14default_configENS1_20scan_config_selectorIfEEZZNS1_9scan_implILNS1_25lookback_scan_determinismE0ELb1ELb1ES3_N6thrust23THRUST_200600_302600_NS6detail15normal_iteratorINS9_10device_ptrIfEEEESE_f11max_functorIfEfEEDaPvRmT3_T4_T5_mT6_P12ihipStream_tbENKUlT_T0_E_clISt17integral_constantIbLb1EESU_EEDaSP_SQ_EUlSP_E_NS1_11comp_targetILNS1_3genE10ELNS1_11target_archE1201ELNS1_3gpuE5ELNS1_3repE0EEENS1_30default_config_static_selectorELNS0_4arch9wavefront6targetE1EEEvT1_
		.amdhsa_group_segment_fixed_size 0
		.amdhsa_private_segment_fixed_size 0
		.amdhsa_kernarg_size 96
		.amdhsa_user_sgpr_count 6
		.amdhsa_user_sgpr_private_segment_buffer 1
		.amdhsa_user_sgpr_dispatch_ptr 0
		.amdhsa_user_sgpr_queue_ptr 0
		.amdhsa_user_sgpr_kernarg_segment_ptr 1
		.amdhsa_user_sgpr_dispatch_id 0
		.amdhsa_user_sgpr_flat_scratch_init 0
		.amdhsa_user_sgpr_kernarg_preload_length 0
		.amdhsa_user_sgpr_kernarg_preload_offset 0
		.amdhsa_user_sgpr_private_segment_size 0
		.amdhsa_uses_dynamic_stack 0
		.amdhsa_system_sgpr_private_segment_wavefront_offset 0
		.amdhsa_system_sgpr_workgroup_id_x 1
		.amdhsa_system_sgpr_workgroup_id_y 0
		.amdhsa_system_sgpr_workgroup_id_z 0
		.amdhsa_system_sgpr_workgroup_info 0
		.amdhsa_system_vgpr_workitem_id 0
		.amdhsa_next_free_vgpr 1
		.amdhsa_next_free_sgpr 0
		.amdhsa_accum_offset 4
		.amdhsa_reserve_vcc 0
		.amdhsa_reserve_flat_scratch 0
		.amdhsa_float_round_mode_32 0
		.amdhsa_float_round_mode_16_64 0
		.amdhsa_float_denorm_mode_32 3
		.amdhsa_float_denorm_mode_16_64 3
		.amdhsa_dx10_clamp 1
		.amdhsa_ieee_mode 1
		.amdhsa_fp16_overflow 0
		.amdhsa_tg_split 0
		.amdhsa_exception_fp_ieee_invalid_op 0
		.amdhsa_exception_fp_denorm_src 0
		.amdhsa_exception_fp_ieee_div_zero 0
		.amdhsa_exception_fp_ieee_overflow 0
		.amdhsa_exception_fp_ieee_underflow 0
		.amdhsa_exception_fp_ieee_inexact 0
		.amdhsa_exception_int_div_zero 0
	.end_amdhsa_kernel
	.section	.text._ZN7rocprim17ROCPRIM_400000_NS6detail17trampoline_kernelINS0_14default_configENS1_20scan_config_selectorIfEEZZNS1_9scan_implILNS1_25lookback_scan_determinismE0ELb1ELb1ES3_N6thrust23THRUST_200600_302600_NS6detail15normal_iteratorINS9_10device_ptrIfEEEESE_f11max_functorIfEfEEDaPvRmT3_T4_T5_mT6_P12ihipStream_tbENKUlT_T0_E_clISt17integral_constantIbLb1EESU_EEDaSP_SQ_EUlSP_E_NS1_11comp_targetILNS1_3genE10ELNS1_11target_archE1201ELNS1_3gpuE5ELNS1_3repE0EEENS1_30default_config_static_selectorELNS0_4arch9wavefront6targetE1EEEvT1_,"axG",@progbits,_ZN7rocprim17ROCPRIM_400000_NS6detail17trampoline_kernelINS0_14default_configENS1_20scan_config_selectorIfEEZZNS1_9scan_implILNS1_25lookback_scan_determinismE0ELb1ELb1ES3_N6thrust23THRUST_200600_302600_NS6detail15normal_iteratorINS9_10device_ptrIfEEEESE_f11max_functorIfEfEEDaPvRmT3_T4_T5_mT6_P12ihipStream_tbENKUlT_T0_E_clISt17integral_constantIbLb1EESU_EEDaSP_SQ_EUlSP_E_NS1_11comp_targetILNS1_3genE10ELNS1_11target_archE1201ELNS1_3gpuE5ELNS1_3repE0EEENS1_30default_config_static_selectorELNS0_4arch9wavefront6targetE1EEEvT1_,comdat
.Lfunc_end2038:
	.size	_ZN7rocprim17ROCPRIM_400000_NS6detail17trampoline_kernelINS0_14default_configENS1_20scan_config_selectorIfEEZZNS1_9scan_implILNS1_25lookback_scan_determinismE0ELb1ELb1ES3_N6thrust23THRUST_200600_302600_NS6detail15normal_iteratorINS9_10device_ptrIfEEEESE_f11max_functorIfEfEEDaPvRmT3_T4_T5_mT6_P12ihipStream_tbENKUlT_T0_E_clISt17integral_constantIbLb1EESU_EEDaSP_SQ_EUlSP_E_NS1_11comp_targetILNS1_3genE10ELNS1_11target_archE1201ELNS1_3gpuE5ELNS1_3repE0EEENS1_30default_config_static_selectorELNS0_4arch9wavefront6targetE1EEEvT1_, .Lfunc_end2038-_ZN7rocprim17ROCPRIM_400000_NS6detail17trampoline_kernelINS0_14default_configENS1_20scan_config_selectorIfEEZZNS1_9scan_implILNS1_25lookback_scan_determinismE0ELb1ELb1ES3_N6thrust23THRUST_200600_302600_NS6detail15normal_iteratorINS9_10device_ptrIfEEEESE_f11max_functorIfEfEEDaPvRmT3_T4_T5_mT6_P12ihipStream_tbENKUlT_T0_E_clISt17integral_constantIbLb1EESU_EEDaSP_SQ_EUlSP_E_NS1_11comp_targetILNS1_3genE10ELNS1_11target_archE1201ELNS1_3gpuE5ELNS1_3repE0EEENS1_30default_config_static_selectorELNS0_4arch9wavefront6targetE1EEEvT1_
                                        ; -- End function
	.section	.AMDGPU.csdata,"",@progbits
; Kernel info:
; codeLenInByte = 0
; NumSgprs: 4
; NumVgprs: 0
; NumAgprs: 0
; TotalNumVgprs: 0
; ScratchSize: 0
; MemoryBound: 0
; FloatMode: 240
; IeeeMode: 1
; LDSByteSize: 0 bytes/workgroup (compile time only)
; SGPRBlocks: 0
; VGPRBlocks: 0
; NumSGPRsForWavesPerEU: 4
; NumVGPRsForWavesPerEU: 1
; AccumOffset: 4
; Occupancy: 8
; WaveLimiterHint : 0
; COMPUTE_PGM_RSRC2:SCRATCH_EN: 0
; COMPUTE_PGM_RSRC2:USER_SGPR: 6
; COMPUTE_PGM_RSRC2:TRAP_HANDLER: 0
; COMPUTE_PGM_RSRC2:TGID_X_EN: 1
; COMPUTE_PGM_RSRC2:TGID_Y_EN: 0
; COMPUTE_PGM_RSRC2:TGID_Z_EN: 0
; COMPUTE_PGM_RSRC2:TIDIG_COMP_CNT: 0
; COMPUTE_PGM_RSRC3_GFX90A:ACCUM_OFFSET: 0
; COMPUTE_PGM_RSRC3_GFX90A:TG_SPLIT: 0
	.section	.text._ZN7rocprim17ROCPRIM_400000_NS6detail17trampoline_kernelINS0_14default_configENS1_20scan_config_selectorIfEEZZNS1_9scan_implILNS1_25lookback_scan_determinismE0ELb1ELb1ES3_N6thrust23THRUST_200600_302600_NS6detail15normal_iteratorINS9_10device_ptrIfEEEESE_f11max_functorIfEfEEDaPvRmT3_T4_T5_mT6_P12ihipStream_tbENKUlT_T0_E_clISt17integral_constantIbLb1EESU_EEDaSP_SQ_EUlSP_E_NS1_11comp_targetILNS1_3genE10ELNS1_11target_archE1200ELNS1_3gpuE4ELNS1_3repE0EEENS1_30default_config_static_selectorELNS0_4arch9wavefront6targetE1EEEvT1_,"axG",@progbits,_ZN7rocprim17ROCPRIM_400000_NS6detail17trampoline_kernelINS0_14default_configENS1_20scan_config_selectorIfEEZZNS1_9scan_implILNS1_25lookback_scan_determinismE0ELb1ELb1ES3_N6thrust23THRUST_200600_302600_NS6detail15normal_iteratorINS9_10device_ptrIfEEEESE_f11max_functorIfEfEEDaPvRmT3_T4_T5_mT6_P12ihipStream_tbENKUlT_T0_E_clISt17integral_constantIbLb1EESU_EEDaSP_SQ_EUlSP_E_NS1_11comp_targetILNS1_3genE10ELNS1_11target_archE1200ELNS1_3gpuE4ELNS1_3repE0EEENS1_30default_config_static_selectorELNS0_4arch9wavefront6targetE1EEEvT1_,comdat
	.protected	_ZN7rocprim17ROCPRIM_400000_NS6detail17trampoline_kernelINS0_14default_configENS1_20scan_config_selectorIfEEZZNS1_9scan_implILNS1_25lookback_scan_determinismE0ELb1ELb1ES3_N6thrust23THRUST_200600_302600_NS6detail15normal_iteratorINS9_10device_ptrIfEEEESE_f11max_functorIfEfEEDaPvRmT3_T4_T5_mT6_P12ihipStream_tbENKUlT_T0_E_clISt17integral_constantIbLb1EESU_EEDaSP_SQ_EUlSP_E_NS1_11comp_targetILNS1_3genE10ELNS1_11target_archE1200ELNS1_3gpuE4ELNS1_3repE0EEENS1_30default_config_static_selectorELNS0_4arch9wavefront6targetE1EEEvT1_ ; -- Begin function _ZN7rocprim17ROCPRIM_400000_NS6detail17trampoline_kernelINS0_14default_configENS1_20scan_config_selectorIfEEZZNS1_9scan_implILNS1_25lookback_scan_determinismE0ELb1ELb1ES3_N6thrust23THRUST_200600_302600_NS6detail15normal_iteratorINS9_10device_ptrIfEEEESE_f11max_functorIfEfEEDaPvRmT3_T4_T5_mT6_P12ihipStream_tbENKUlT_T0_E_clISt17integral_constantIbLb1EESU_EEDaSP_SQ_EUlSP_E_NS1_11comp_targetILNS1_3genE10ELNS1_11target_archE1200ELNS1_3gpuE4ELNS1_3repE0EEENS1_30default_config_static_selectorELNS0_4arch9wavefront6targetE1EEEvT1_
	.globl	_ZN7rocprim17ROCPRIM_400000_NS6detail17trampoline_kernelINS0_14default_configENS1_20scan_config_selectorIfEEZZNS1_9scan_implILNS1_25lookback_scan_determinismE0ELb1ELb1ES3_N6thrust23THRUST_200600_302600_NS6detail15normal_iteratorINS9_10device_ptrIfEEEESE_f11max_functorIfEfEEDaPvRmT3_T4_T5_mT6_P12ihipStream_tbENKUlT_T0_E_clISt17integral_constantIbLb1EESU_EEDaSP_SQ_EUlSP_E_NS1_11comp_targetILNS1_3genE10ELNS1_11target_archE1200ELNS1_3gpuE4ELNS1_3repE0EEENS1_30default_config_static_selectorELNS0_4arch9wavefront6targetE1EEEvT1_
	.p2align	8
	.type	_ZN7rocprim17ROCPRIM_400000_NS6detail17trampoline_kernelINS0_14default_configENS1_20scan_config_selectorIfEEZZNS1_9scan_implILNS1_25lookback_scan_determinismE0ELb1ELb1ES3_N6thrust23THRUST_200600_302600_NS6detail15normal_iteratorINS9_10device_ptrIfEEEESE_f11max_functorIfEfEEDaPvRmT3_T4_T5_mT6_P12ihipStream_tbENKUlT_T0_E_clISt17integral_constantIbLb1EESU_EEDaSP_SQ_EUlSP_E_NS1_11comp_targetILNS1_3genE10ELNS1_11target_archE1200ELNS1_3gpuE4ELNS1_3repE0EEENS1_30default_config_static_selectorELNS0_4arch9wavefront6targetE1EEEvT1_,@function
_ZN7rocprim17ROCPRIM_400000_NS6detail17trampoline_kernelINS0_14default_configENS1_20scan_config_selectorIfEEZZNS1_9scan_implILNS1_25lookback_scan_determinismE0ELb1ELb1ES3_N6thrust23THRUST_200600_302600_NS6detail15normal_iteratorINS9_10device_ptrIfEEEESE_f11max_functorIfEfEEDaPvRmT3_T4_T5_mT6_P12ihipStream_tbENKUlT_T0_E_clISt17integral_constantIbLb1EESU_EEDaSP_SQ_EUlSP_E_NS1_11comp_targetILNS1_3genE10ELNS1_11target_archE1200ELNS1_3gpuE4ELNS1_3repE0EEENS1_30default_config_static_selectorELNS0_4arch9wavefront6targetE1EEEvT1_: ; @_ZN7rocprim17ROCPRIM_400000_NS6detail17trampoline_kernelINS0_14default_configENS1_20scan_config_selectorIfEEZZNS1_9scan_implILNS1_25lookback_scan_determinismE0ELb1ELb1ES3_N6thrust23THRUST_200600_302600_NS6detail15normal_iteratorINS9_10device_ptrIfEEEESE_f11max_functorIfEfEEDaPvRmT3_T4_T5_mT6_P12ihipStream_tbENKUlT_T0_E_clISt17integral_constantIbLb1EESU_EEDaSP_SQ_EUlSP_E_NS1_11comp_targetILNS1_3genE10ELNS1_11target_archE1200ELNS1_3gpuE4ELNS1_3repE0EEENS1_30default_config_static_selectorELNS0_4arch9wavefront6targetE1EEEvT1_
; %bb.0:
	.section	.rodata,"a",@progbits
	.p2align	6, 0x0
	.amdhsa_kernel _ZN7rocprim17ROCPRIM_400000_NS6detail17trampoline_kernelINS0_14default_configENS1_20scan_config_selectorIfEEZZNS1_9scan_implILNS1_25lookback_scan_determinismE0ELb1ELb1ES3_N6thrust23THRUST_200600_302600_NS6detail15normal_iteratorINS9_10device_ptrIfEEEESE_f11max_functorIfEfEEDaPvRmT3_T4_T5_mT6_P12ihipStream_tbENKUlT_T0_E_clISt17integral_constantIbLb1EESU_EEDaSP_SQ_EUlSP_E_NS1_11comp_targetILNS1_3genE10ELNS1_11target_archE1200ELNS1_3gpuE4ELNS1_3repE0EEENS1_30default_config_static_selectorELNS0_4arch9wavefront6targetE1EEEvT1_
		.amdhsa_group_segment_fixed_size 0
		.amdhsa_private_segment_fixed_size 0
		.amdhsa_kernarg_size 96
		.amdhsa_user_sgpr_count 6
		.amdhsa_user_sgpr_private_segment_buffer 1
		.amdhsa_user_sgpr_dispatch_ptr 0
		.amdhsa_user_sgpr_queue_ptr 0
		.amdhsa_user_sgpr_kernarg_segment_ptr 1
		.amdhsa_user_sgpr_dispatch_id 0
		.amdhsa_user_sgpr_flat_scratch_init 0
		.amdhsa_user_sgpr_kernarg_preload_length 0
		.amdhsa_user_sgpr_kernarg_preload_offset 0
		.amdhsa_user_sgpr_private_segment_size 0
		.amdhsa_uses_dynamic_stack 0
		.amdhsa_system_sgpr_private_segment_wavefront_offset 0
		.amdhsa_system_sgpr_workgroup_id_x 1
		.amdhsa_system_sgpr_workgroup_id_y 0
		.amdhsa_system_sgpr_workgroup_id_z 0
		.amdhsa_system_sgpr_workgroup_info 0
		.amdhsa_system_vgpr_workitem_id 0
		.amdhsa_next_free_vgpr 1
		.amdhsa_next_free_sgpr 0
		.amdhsa_accum_offset 4
		.amdhsa_reserve_vcc 0
		.amdhsa_reserve_flat_scratch 0
		.amdhsa_float_round_mode_32 0
		.amdhsa_float_round_mode_16_64 0
		.amdhsa_float_denorm_mode_32 3
		.amdhsa_float_denorm_mode_16_64 3
		.amdhsa_dx10_clamp 1
		.amdhsa_ieee_mode 1
		.amdhsa_fp16_overflow 0
		.amdhsa_tg_split 0
		.amdhsa_exception_fp_ieee_invalid_op 0
		.amdhsa_exception_fp_denorm_src 0
		.amdhsa_exception_fp_ieee_div_zero 0
		.amdhsa_exception_fp_ieee_overflow 0
		.amdhsa_exception_fp_ieee_underflow 0
		.amdhsa_exception_fp_ieee_inexact 0
		.amdhsa_exception_int_div_zero 0
	.end_amdhsa_kernel
	.section	.text._ZN7rocprim17ROCPRIM_400000_NS6detail17trampoline_kernelINS0_14default_configENS1_20scan_config_selectorIfEEZZNS1_9scan_implILNS1_25lookback_scan_determinismE0ELb1ELb1ES3_N6thrust23THRUST_200600_302600_NS6detail15normal_iteratorINS9_10device_ptrIfEEEESE_f11max_functorIfEfEEDaPvRmT3_T4_T5_mT6_P12ihipStream_tbENKUlT_T0_E_clISt17integral_constantIbLb1EESU_EEDaSP_SQ_EUlSP_E_NS1_11comp_targetILNS1_3genE10ELNS1_11target_archE1200ELNS1_3gpuE4ELNS1_3repE0EEENS1_30default_config_static_selectorELNS0_4arch9wavefront6targetE1EEEvT1_,"axG",@progbits,_ZN7rocprim17ROCPRIM_400000_NS6detail17trampoline_kernelINS0_14default_configENS1_20scan_config_selectorIfEEZZNS1_9scan_implILNS1_25lookback_scan_determinismE0ELb1ELb1ES3_N6thrust23THRUST_200600_302600_NS6detail15normal_iteratorINS9_10device_ptrIfEEEESE_f11max_functorIfEfEEDaPvRmT3_T4_T5_mT6_P12ihipStream_tbENKUlT_T0_E_clISt17integral_constantIbLb1EESU_EEDaSP_SQ_EUlSP_E_NS1_11comp_targetILNS1_3genE10ELNS1_11target_archE1200ELNS1_3gpuE4ELNS1_3repE0EEENS1_30default_config_static_selectorELNS0_4arch9wavefront6targetE1EEEvT1_,comdat
.Lfunc_end2039:
	.size	_ZN7rocprim17ROCPRIM_400000_NS6detail17trampoline_kernelINS0_14default_configENS1_20scan_config_selectorIfEEZZNS1_9scan_implILNS1_25lookback_scan_determinismE0ELb1ELb1ES3_N6thrust23THRUST_200600_302600_NS6detail15normal_iteratorINS9_10device_ptrIfEEEESE_f11max_functorIfEfEEDaPvRmT3_T4_T5_mT6_P12ihipStream_tbENKUlT_T0_E_clISt17integral_constantIbLb1EESU_EEDaSP_SQ_EUlSP_E_NS1_11comp_targetILNS1_3genE10ELNS1_11target_archE1200ELNS1_3gpuE4ELNS1_3repE0EEENS1_30default_config_static_selectorELNS0_4arch9wavefront6targetE1EEEvT1_, .Lfunc_end2039-_ZN7rocprim17ROCPRIM_400000_NS6detail17trampoline_kernelINS0_14default_configENS1_20scan_config_selectorIfEEZZNS1_9scan_implILNS1_25lookback_scan_determinismE0ELb1ELb1ES3_N6thrust23THRUST_200600_302600_NS6detail15normal_iteratorINS9_10device_ptrIfEEEESE_f11max_functorIfEfEEDaPvRmT3_T4_T5_mT6_P12ihipStream_tbENKUlT_T0_E_clISt17integral_constantIbLb1EESU_EEDaSP_SQ_EUlSP_E_NS1_11comp_targetILNS1_3genE10ELNS1_11target_archE1200ELNS1_3gpuE4ELNS1_3repE0EEENS1_30default_config_static_selectorELNS0_4arch9wavefront6targetE1EEEvT1_
                                        ; -- End function
	.section	.AMDGPU.csdata,"",@progbits
; Kernel info:
; codeLenInByte = 0
; NumSgprs: 4
; NumVgprs: 0
; NumAgprs: 0
; TotalNumVgprs: 0
; ScratchSize: 0
; MemoryBound: 0
; FloatMode: 240
; IeeeMode: 1
; LDSByteSize: 0 bytes/workgroup (compile time only)
; SGPRBlocks: 0
; VGPRBlocks: 0
; NumSGPRsForWavesPerEU: 4
; NumVGPRsForWavesPerEU: 1
; AccumOffset: 4
; Occupancy: 8
; WaveLimiterHint : 0
; COMPUTE_PGM_RSRC2:SCRATCH_EN: 0
; COMPUTE_PGM_RSRC2:USER_SGPR: 6
; COMPUTE_PGM_RSRC2:TRAP_HANDLER: 0
; COMPUTE_PGM_RSRC2:TGID_X_EN: 1
; COMPUTE_PGM_RSRC2:TGID_Y_EN: 0
; COMPUTE_PGM_RSRC2:TGID_Z_EN: 0
; COMPUTE_PGM_RSRC2:TIDIG_COMP_CNT: 0
; COMPUTE_PGM_RSRC3_GFX90A:ACCUM_OFFSET: 0
; COMPUTE_PGM_RSRC3_GFX90A:TG_SPLIT: 0
	.section	.text._ZN7rocprim17ROCPRIM_400000_NS6detail17trampoline_kernelINS0_14default_configENS1_20scan_config_selectorIfEEZZNS1_9scan_implILNS1_25lookback_scan_determinismE0ELb1ELb1ES3_N6thrust23THRUST_200600_302600_NS6detail15normal_iteratorINS9_10device_ptrIfEEEESE_f11max_functorIfEfEEDaPvRmT3_T4_T5_mT6_P12ihipStream_tbENKUlT_T0_E_clISt17integral_constantIbLb1EESU_EEDaSP_SQ_EUlSP_E_NS1_11comp_targetILNS1_3genE9ELNS1_11target_archE1100ELNS1_3gpuE3ELNS1_3repE0EEENS1_30default_config_static_selectorELNS0_4arch9wavefront6targetE1EEEvT1_,"axG",@progbits,_ZN7rocprim17ROCPRIM_400000_NS6detail17trampoline_kernelINS0_14default_configENS1_20scan_config_selectorIfEEZZNS1_9scan_implILNS1_25lookback_scan_determinismE0ELb1ELb1ES3_N6thrust23THRUST_200600_302600_NS6detail15normal_iteratorINS9_10device_ptrIfEEEESE_f11max_functorIfEfEEDaPvRmT3_T4_T5_mT6_P12ihipStream_tbENKUlT_T0_E_clISt17integral_constantIbLb1EESU_EEDaSP_SQ_EUlSP_E_NS1_11comp_targetILNS1_3genE9ELNS1_11target_archE1100ELNS1_3gpuE3ELNS1_3repE0EEENS1_30default_config_static_selectorELNS0_4arch9wavefront6targetE1EEEvT1_,comdat
	.protected	_ZN7rocprim17ROCPRIM_400000_NS6detail17trampoline_kernelINS0_14default_configENS1_20scan_config_selectorIfEEZZNS1_9scan_implILNS1_25lookback_scan_determinismE0ELb1ELb1ES3_N6thrust23THRUST_200600_302600_NS6detail15normal_iteratorINS9_10device_ptrIfEEEESE_f11max_functorIfEfEEDaPvRmT3_T4_T5_mT6_P12ihipStream_tbENKUlT_T0_E_clISt17integral_constantIbLb1EESU_EEDaSP_SQ_EUlSP_E_NS1_11comp_targetILNS1_3genE9ELNS1_11target_archE1100ELNS1_3gpuE3ELNS1_3repE0EEENS1_30default_config_static_selectorELNS0_4arch9wavefront6targetE1EEEvT1_ ; -- Begin function _ZN7rocprim17ROCPRIM_400000_NS6detail17trampoline_kernelINS0_14default_configENS1_20scan_config_selectorIfEEZZNS1_9scan_implILNS1_25lookback_scan_determinismE0ELb1ELb1ES3_N6thrust23THRUST_200600_302600_NS6detail15normal_iteratorINS9_10device_ptrIfEEEESE_f11max_functorIfEfEEDaPvRmT3_T4_T5_mT6_P12ihipStream_tbENKUlT_T0_E_clISt17integral_constantIbLb1EESU_EEDaSP_SQ_EUlSP_E_NS1_11comp_targetILNS1_3genE9ELNS1_11target_archE1100ELNS1_3gpuE3ELNS1_3repE0EEENS1_30default_config_static_selectorELNS0_4arch9wavefront6targetE1EEEvT1_
	.globl	_ZN7rocprim17ROCPRIM_400000_NS6detail17trampoline_kernelINS0_14default_configENS1_20scan_config_selectorIfEEZZNS1_9scan_implILNS1_25lookback_scan_determinismE0ELb1ELb1ES3_N6thrust23THRUST_200600_302600_NS6detail15normal_iteratorINS9_10device_ptrIfEEEESE_f11max_functorIfEfEEDaPvRmT3_T4_T5_mT6_P12ihipStream_tbENKUlT_T0_E_clISt17integral_constantIbLb1EESU_EEDaSP_SQ_EUlSP_E_NS1_11comp_targetILNS1_3genE9ELNS1_11target_archE1100ELNS1_3gpuE3ELNS1_3repE0EEENS1_30default_config_static_selectorELNS0_4arch9wavefront6targetE1EEEvT1_
	.p2align	8
	.type	_ZN7rocprim17ROCPRIM_400000_NS6detail17trampoline_kernelINS0_14default_configENS1_20scan_config_selectorIfEEZZNS1_9scan_implILNS1_25lookback_scan_determinismE0ELb1ELb1ES3_N6thrust23THRUST_200600_302600_NS6detail15normal_iteratorINS9_10device_ptrIfEEEESE_f11max_functorIfEfEEDaPvRmT3_T4_T5_mT6_P12ihipStream_tbENKUlT_T0_E_clISt17integral_constantIbLb1EESU_EEDaSP_SQ_EUlSP_E_NS1_11comp_targetILNS1_3genE9ELNS1_11target_archE1100ELNS1_3gpuE3ELNS1_3repE0EEENS1_30default_config_static_selectorELNS0_4arch9wavefront6targetE1EEEvT1_,@function
_ZN7rocprim17ROCPRIM_400000_NS6detail17trampoline_kernelINS0_14default_configENS1_20scan_config_selectorIfEEZZNS1_9scan_implILNS1_25lookback_scan_determinismE0ELb1ELb1ES3_N6thrust23THRUST_200600_302600_NS6detail15normal_iteratorINS9_10device_ptrIfEEEESE_f11max_functorIfEfEEDaPvRmT3_T4_T5_mT6_P12ihipStream_tbENKUlT_T0_E_clISt17integral_constantIbLb1EESU_EEDaSP_SQ_EUlSP_E_NS1_11comp_targetILNS1_3genE9ELNS1_11target_archE1100ELNS1_3gpuE3ELNS1_3repE0EEENS1_30default_config_static_selectorELNS0_4arch9wavefront6targetE1EEEvT1_: ; @_ZN7rocprim17ROCPRIM_400000_NS6detail17trampoline_kernelINS0_14default_configENS1_20scan_config_selectorIfEEZZNS1_9scan_implILNS1_25lookback_scan_determinismE0ELb1ELb1ES3_N6thrust23THRUST_200600_302600_NS6detail15normal_iteratorINS9_10device_ptrIfEEEESE_f11max_functorIfEfEEDaPvRmT3_T4_T5_mT6_P12ihipStream_tbENKUlT_T0_E_clISt17integral_constantIbLb1EESU_EEDaSP_SQ_EUlSP_E_NS1_11comp_targetILNS1_3genE9ELNS1_11target_archE1100ELNS1_3gpuE3ELNS1_3repE0EEENS1_30default_config_static_selectorELNS0_4arch9wavefront6targetE1EEEvT1_
; %bb.0:
	.section	.rodata,"a",@progbits
	.p2align	6, 0x0
	.amdhsa_kernel _ZN7rocprim17ROCPRIM_400000_NS6detail17trampoline_kernelINS0_14default_configENS1_20scan_config_selectorIfEEZZNS1_9scan_implILNS1_25lookback_scan_determinismE0ELb1ELb1ES3_N6thrust23THRUST_200600_302600_NS6detail15normal_iteratorINS9_10device_ptrIfEEEESE_f11max_functorIfEfEEDaPvRmT3_T4_T5_mT6_P12ihipStream_tbENKUlT_T0_E_clISt17integral_constantIbLb1EESU_EEDaSP_SQ_EUlSP_E_NS1_11comp_targetILNS1_3genE9ELNS1_11target_archE1100ELNS1_3gpuE3ELNS1_3repE0EEENS1_30default_config_static_selectorELNS0_4arch9wavefront6targetE1EEEvT1_
		.amdhsa_group_segment_fixed_size 0
		.amdhsa_private_segment_fixed_size 0
		.amdhsa_kernarg_size 96
		.amdhsa_user_sgpr_count 6
		.amdhsa_user_sgpr_private_segment_buffer 1
		.amdhsa_user_sgpr_dispatch_ptr 0
		.amdhsa_user_sgpr_queue_ptr 0
		.amdhsa_user_sgpr_kernarg_segment_ptr 1
		.amdhsa_user_sgpr_dispatch_id 0
		.amdhsa_user_sgpr_flat_scratch_init 0
		.amdhsa_user_sgpr_kernarg_preload_length 0
		.amdhsa_user_sgpr_kernarg_preload_offset 0
		.amdhsa_user_sgpr_private_segment_size 0
		.amdhsa_uses_dynamic_stack 0
		.amdhsa_system_sgpr_private_segment_wavefront_offset 0
		.amdhsa_system_sgpr_workgroup_id_x 1
		.amdhsa_system_sgpr_workgroup_id_y 0
		.amdhsa_system_sgpr_workgroup_id_z 0
		.amdhsa_system_sgpr_workgroup_info 0
		.amdhsa_system_vgpr_workitem_id 0
		.amdhsa_next_free_vgpr 1
		.amdhsa_next_free_sgpr 0
		.amdhsa_accum_offset 4
		.amdhsa_reserve_vcc 0
		.amdhsa_reserve_flat_scratch 0
		.amdhsa_float_round_mode_32 0
		.amdhsa_float_round_mode_16_64 0
		.amdhsa_float_denorm_mode_32 3
		.amdhsa_float_denorm_mode_16_64 3
		.amdhsa_dx10_clamp 1
		.amdhsa_ieee_mode 1
		.amdhsa_fp16_overflow 0
		.amdhsa_tg_split 0
		.amdhsa_exception_fp_ieee_invalid_op 0
		.amdhsa_exception_fp_denorm_src 0
		.amdhsa_exception_fp_ieee_div_zero 0
		.amdhsa_exception_fp_ieee_overflow 0
		.amdhsa_exception_fp_ieee_underflow 0
		.amdhsa_exception_fp_ieee_inexact 0
		.amdhsa_exception_int_div_zero 0
	.end_amdhsa_kernel
	.section	.text._ZN7rocprim17ROCPRIM_400000_NS6detail17trampoline_kernelINS0_14default_configENS1_20scan_config_selectorIfEEZZNS1_9scan_implILNS1_25lookback_scan_determinismE0ELb1ELb1ES3_N6thrust23THRUST_200600_302600_NS6detail15normal_iteratorINS9_10device_ptrIfEEEESE_f11max_functorIfEfEEDaPvRmT3_T4_T5_mT6_P12ihipStream_tbENKUlT_T0_E_clISt17integral_constantIbLb1EESU_EEDaSP_SQ_EUlSP_E_NS1_11comp_targetILNS1_3genE9ELNS1_11target_archE1100ELNS1_3gpuE3ELNS1_3repE0EEENS1_30default_config_static_selectorELNS0_4arch9wavefront6targetE1EEEvT1_,"axG",@progbits,_ZN7rocprim17ROCPRIM_400000_NS6detail17trampoline_kernelINS0_14default_configENS1_20scan_config_selectorIfEEZZNS1_9scan_implILNS1_25lookback_scan_determinismE0ELb1ELb1ES3_N6thrust23THRUST_200600_302600_NS6detail15normal_iteratorINS9_10device_ptrIfEEEESE_f11max_functorIfEfEEDaPvRmT3_T4_T5_mT6_P12ihipStream_tbENKUlT_T0_E_clISt17integral_constantIbLb1EESU_EEDaSP_SQ_EUlSP_E_NS1_11comp_targetILNS1_3genE9ELNS1_11target_archE1100ELNS1_3gpuE3ELNS1_3repE0EEENS1_30default_config_static_selectorELNS0_4arch9wavefront6targetE1EEEvT1_,comdat
.Lfunc_end2040:
	.size	_ZN7rocprim17ROCPRIM_400000_NS6detail17trampoline_kernelINS0_14default_configENS1_20scan_config_selectorIfEEZZNS1_9scan_implILNS1_25lookback_scan_determinismE0ELb1ELb1ES3_N6thrust23THRUST_200600_302600_NS6detail15normal_iteratorINS9_10device_ptrIfEEEESE_f11max_functorIfEfEEDaPvRmT3_T4_T5_mT6_P12ihipStream_tbENKUlT_T0_E_clISt17integral_constantIbLb1EESU_EEDaSP_SQ_EUlSP_E_NS1_11comp_targetILNS1_3genE9ELNS1_11target_archE1100ELNS1_3gpuE3ELNS1_3repE0EEENS1_30default_config_static_selectorELNS0_4arch9wavefront6targetE1EEEvT1_, .Lfunc_end2040-_ZN7rocprim17ROCPRIM_400000_NS6detail17trampoline_kernelINS0_14default_configENS1_20scan_config_selectorIfEEZZNS1_9scan_implILNS1_25lookback_scan_determinismE0ELb1ELb1ES3_N6thrust23THRUST_200600_302600_NS6detail15normal_iteratorINS9_10device_ptrIfEEEESE_f11max_functorIfEfEEDaPvRmT3_T4_T5_mT6_P12ihipStream_tbENKUlT_T0_E_clISt17integral_constantIbLb1EESU_EEDaSP_SQ_EUlSP_E_NS1_11comp_targetILNS1_3genE9ELNS1_11target_archE1100ELNS1_3gpuE3ELNS1_3repE0EEENS1_30default_config_static_selectorELNS0_4arch9wavefront6targetE1EEEvT1_
                                        ; -- End function
	.section	.AMDGPU.csdata,"",@progbits
; Kernel info:
; codeLenInByte = 0
; NumSgprs: 4
; NumVgprs: 0
; NumAgprs: 0
; TotalNumVgprs: 0
; ScratchSize: 0
; MemoryBound: 0
; FloatMode: 240
; IeeeMode: 1
; LDSByteSize: 0 bytes/workgroup (compile time only)
; SGPRBlocks: 0
; VGPRBlocks: 0
; NumSGPRsForWavesPerEU: 4
; NumVGPRsForWavesPerEU: 1
; AccumOffset: 4
; Occupancy: 8
; WaveLimiterHint : 0
; COMPUTE_PGM_RSRC2:SCRATCH_EN: 0
; COMPUTE_PGM_RSRC2:USER_SGPR: 6
; COMPUTE_PGM_RSRC2:TRAP_HANDLER: 0
; COMPUTE_PGM_RSRC2:TGID_X_EN: 1
; COMPUTE_PGM_RSRC2:TGID_Y_EN: 0
; COMPUTE_PGM_RSRC2:TGID_Z_EN: 0
; COMPUTE_PGM_RSRC2:TIDIG_COMP_CNT: 0
; COMPUTE_PGM_RSRC3_GFX90A:ACCUM_OFFSET: 0
; COMPUTE_PGM_RSRC3_GFX90A:TG_SPLIT: 0
	.section	.text._ZN7rocprim17ROCPRIM_400000_NS6detail17trampoline_kernelINS0_14default_configENS1_20scan_config_selectorIfEEZZNS1_9scan_implILNS1_25lookback_scan_determinismE0ELb1ELb1ES3_N6thrust23THRUST_200600_302600_NS6detail15normal_iteratorINS9_10device_ptrIfEEEESE_f11max_functorIfEfEEDaPvRmT3_T4_T5_mT6_P12ihipStream_tbENKUlT_T0_E_clISt17integral_constantIbLb1EESU_EEDaSP_SQ_EUlSP_E_NS1_11comp_targetILNS1_3genE8ELNS1_11target_archE1030ELNS1_3gpuE2ELNS1_3repE0EEENS1_30default_config_static_selectorELNS0_4arch9wavefront6targetE1EEEvT1_,"axG",@progbits,_ZN7rocprim17ROCPRIM_400000_NS6detail17trampoline_kernelINS0_14default_configENS1_20scan_config_selectorIfEEZZNS1_9scan_implILNS1_25lookback_scan_determinismE0ELb1ELb1ES3_N6thrust23THRUST_200600_302600_NS6detail15normal_iteratorINS9_10device_ptrIfEEEESE_f11max_functorIfEfEEDaPvRmT3_T4_T5_mT6_P12ihipStream_tbENKUlT_T0_E_clISt17integral_constantIbLb1EESU_EEDaSP_SQ_EUlSP_E_NS1_11comp_targetILNS1_3genE8ELNS1_11target_archE1030ELNS1_3gpuE2ELNS1_3repE0EEENS1_30default_config_static_selectorELNS0_4arch9wavefront6targetE1EEEvT1_,comdat
	.protected	_ZN7rocprim17ROCPRIM_400000_NS6detail17trampoline_kernelINS0_14default_configENS1_20scan_config_selectorIfEEZZNS1_9scan_implILNS1_25lookback_scan_determinismE0ELb1ELb1ES3_N6thrust23THRUST_200600_302600_NS6detail15normal_iteratorINS9_10device_ptrIfEEEESE_f11max_functorIfEfEEDaPvRmT3_T4_T5_mT6_P12ihipStream_tbENKUlT_T0_E_clISt17integral_constantIbLb1EESU_EEDaSP_SQ_EUlSP_E_NS1_11comp_targetILNS1_3genE8ELNS1_11target_archE1030ELNS1_3gpuE2ELNS1_3repE0EEENS1_30default_config_static_selectorELNS0_4arch9wavefront6targetE1EEEvT1_ ; -- Begin function _ZN7rocprim17ROCPRIM_400000_NS6detail17trampoline_kernelINS0_14default_configENS1_20scan_config_selectorIfEEZZNS1_9scan_implILNS1_25lookback_scan_determinismE0ELb1ELb1ES3_N6thrust23THRUST_200600_302600_NS6detail15normal_iteratorINS9_10device_ptrIfEEEESE_f11max_functorIfEfEEDaPvRmT3_T4_T5_mT6_P12ihipStream_tbENKUlT_T0_E_clISt17integral_constantIbLb1EESU_EEDaSP_SQ_EUlSP_E_NS1_11comp_targetILNS1_3genE8ELNS1_11target_archE1030ELNS1_3gpuE2ELNS1_3repE0EEENS1_30default_config_static_selectorELNS0_4arch9wavefront6targetE1EEEvT1_
	.globl	_ZN7rocprim17ROCPRIM_400000_NS6detail17trampoline_kernelINS0_14default_configENS1_20scan_config_selectorIfEEZZNS1_9scan_implILNS1_25lookback_scan_determinismE0ELb1ELb1ES3_N6thrust23THRUST_200600_302600_NS6detail15normal_iteratorINS9_10device_ptrIfEEEESE_f11max_functorIfEfEEDaPvRmT3_T4_T5_mT6_P12ihipStream_tbENKUlT_T0_E_clISt17integral_constantIbLb1EESU_EEDaSP_SQ_EUlSP_E_NS1_11comp_targetILNS1_3genE8ELNS1_11target_archE1030ELNS1_3gpuE2ELNS1_3repE0EEENS1_30default_config_static_selectorELNS0_4arch9wavefront6targetE1EEEvT1_
	.p2align	8
	.type	_ZN7rocprim17ROCPRIM_400000_NS6detail17trampoline_kernelINS0_14default_configENS1_20scan_config_selectorIfEEZZNS1_9scan_implILNS1_25lookback_scan_determinismE0ELb1ELb1ES3_N6thrust23THRUST_200600_302600_NS6detail15normal_iteratorINS9_10device_ptrIfEEEESE_f11max_functorIfEfEEDaPvRmT3_T4_T5_mT6_P12ihipStream_tbENKUlT_T0_E_clISt17integral_constantIbLb1EESU_EEDaSP_SQ_EUlSP_E_NS1_11comp_targetILNS1_3genE8ELNS1_11target_archE1030ELNS1_3gpuE2ELNS1_3repE0EEENS1_30default_config_static_selectorELNS0_4arch9wavefront6targetE1EEEvT1_,@function
_ZN7rocprim17ROCPRIM_400000_NS6detail17trampoline_kernelINS0_14default_configENS1_20scan_config_selectorIfEEZZNS1_9scan_implILNS1_25lookback_scan_determinismE0ELb1ELb1ES3_N6thrust23THRUST_200600_302600_NS6detail15normal_iteratorINS9_10device_ptrIfEEEESE_f11max_functorIfEfEEDaPvRmT3_T4_T5_mT6_P12ihipStream_tbENKUlT_T0_E_clISt17integral_constantIbLb1EESU_EEDaSP_SQ_EUlSP_E_NS1_11comp_targetILNS1_3genE8ELNS1_11target_archE1030ELNS1_3gpuE2ELNS1_3repE0EEENS1_30default_config_static_selectorELNS0_4arch9wavefront6targetE1EEEvT1_: ; @_ZN7rocprim17ROCPRIM_400000_NS6detail17trampoline_kernelINS0_14default_configENS1_20scan_config_selectorIfEEZZNS1_9scan_implILNS1_25lookback_scan_determinismE0ELb1ELb1ES3_N6thrust23THRUST_200600_302600_NS6detail15normal_iteratorINS9_10device_ptrIfEEEESE_f11max_functorIfEfEEDaPvRmT3_T4_T5_mT6_P12ihipStream_tbENKUlT_T0_E_clISt17integral_constantIbLb1EESU_EEDaSP_SQ_EUlSP_E_NS1_11comp_targetILNS1_3genE8ELNS1_11target_archE1030ELNS1_3gpuE2ELNS1_3repE0EEENS1_30default_config_static_selectorELNS0_4arch9wavefront6targetE1EEEvT1_
; %bb.0:
	.section	.rodata,"a",@progbits
	.p2align	6, 0x0
	.amdhsa_kernel _ZN7rocprim17ROCPRIM_400000_NS6detail17trampoline_kernelINS0_14default_configENS1_20scan_config_selectorIfEEZZNS1_9scan_implILNS1_25lookback_scan_determinismE0ELb1ELb1ES3_N6thrust23THRUST_200600_302600_NS6detail15normal_iteratorINS9_10device_ptrIfEEEESE_f11max_functorIfEfEEDaPvRmT3_T4_T5_mT6_P12ihipStream_tbENKUlT_T0_E_clISt17integral_constantIbLb1EESU_EEDaSP_SQ_EUlSP_E_NS1_11comp_targetILNS1_3genE8ELNS1_11target_archE1030ELNS1_3gpuE2ELNS1_3repE0EEENS1_30default_config_static_selectorELNS0_4arch9wavefront6targetE1EEEvT1_
		.amdhsa_group_segment_fixed_size 0
		.amdhsa_private_segment_fixed_size 0
		.amdhsa_kernarg_size 96
		.amdhsa_user_sgpr_count 6
		.amdhsa_user_sgpr_private_segment_buffer 1
		.amdhsa_user_sgpr_dispatch_ptr 0
		.amdhsa_user_sgpr_queue_ptr 0
		.amdhsa_user_sgpr_kernarg_segment_ptr 1
		.amdhsa_user_sgpr_dispatch_id 0
		.amdhsa_user_sgpr_flat_scratch_init 0
		.amdhsa_user_sgpr_kernarg_preload_length 0
		.amdhsa_user_sgpr_kernarg_preload_offset 0
		.amdhsa_user_sgpr_private_segment_size 0
		.amdhsa_uses_dynamic_stack 0
		.amdhsa_system_sgpr_private_segment_wavefront_offset 0
		.amdhsa_system_sgpr_workgroup_id_x 1
		.amdhsa_system_sgpr_workgroup_id_y 0
		.amdhsa_system_sgpr_workgroup_id_z 0
		.amdhsa_system_sgpr_workgroup_info 0
		.amdhsa_system_vgpr_workitem_id 0
		.amdhsa_next_free_vgpr 1
		.amdhsa_next_free_sgpr 0
		.amdhsa_accum_offset 4
		.amdhsa_reserve_vcc 0
		.amdhsa_reserve_flat_scratch 0
		.amdhsa_float_round_mode_32 0
		.amdhsa_float_round_mode_16_64 0
		.amdhsa_float_denorm_mode_32 3
		.amdhsa_float_denorm_mode_16_64 3
		.amdhsa_dx10_clamp 1
		.amdhsa_ieee_mode 1
		.amdhsa_fp16_overflow 0
		.amdhsa_tg_split 0
		.amdhsa_exception_fp_ieee_invalid_op 0
		.amdhsa_exception_fp_denorm_src 0
		.amdhsa_exception_fp_ieee_div_zero 0
		.amdhsa_exception_fp_ieee_overflow 0
		.amdhsa_exception_fp_ieee_underflow 0
		.amdhsa_exception_fp_ieee_inexact 0
		.amdhsa_exception_int_div_zero 0
	.end_amdhsa_kernel
	.section	.text._ZN7rocprim17ROCPRIM_400000_NS6detail17trampoline_kernelINS0_14default_configENS1_20scan_config_selectorIfEEZZNS1_9scan_implILNS1_25lookback_scan_determinismE0ELb1ELb1ES3_N6thrust23THRUST_200600_302600_NS6detail15normal_iteratorINS9_10device_ptrIfEEEESE_f11max_functorIfEfEEDaPvRmT3_T4_T5_mT6_P12ihipStream_tbENKUlT_T0_E_clISt17integral_constantIbLb1EESU_EEDaSP_SQ_EUlSP_E_NS1_11comp_targetILNS1_3genE8ELNS1_11target_archE1030ELNS1_3gpuE2ELNS1_3repE0EEENS1_30default_config_static_selectorELNS0_4arch9wavefront6targetE1EEEvT1_,"axG",@progbits,_ZN7rocprim17ROCPRIM_400000_NS6detail17trampoline_kernelINS0_14default_configENS1_20scan_config_selectorIfEEZZNS1_9scan_implILNS1_25lookback_scan_determinismE0ELb1ELb1ES3_N6thrust23THRUST_200600_302600_NS6detail15normal_iteratorINS9_10device_ptrIfEEEESE_f11max_functorIfEfEEDaPvRmT3_T4_T5_mT6_P12ihipStream_tbENKUlT_T0_E_clISt17integral_constantIbLb1EESU_EEDaSP_SQ_EUlSP_E_NS1_11comp_targetILNS1_3genE8ELNS1_11target_archE1030ELNS1_3gpuE2ELNS1_3repE0EEENS1_30default_config_static_selectorELNS0_4arch9wavefront6targetE1EEEvT1_,comdat
.Lfunc_end2041:
	.size	_ZN7rocprim17ROCPRIM_400000_NS6detail17trampoline_kernelINS0_14default_configENS1_20scan_config_selectorIfEEZZNS1_9scan_implILNS1_25lookback_scan_determinismE0ELb1ELb1ES3_N6thrust23THRUST_200600_302600_NS6detail15normal_iteratorINS9_10device_ptrIfEEEESE_f11max_functorIfEfEEDaPvRmT3_T4_T5_mT6_P12ihipStream_tbENKUlT_T0_E_clISt17integral_constantIbLb1EESU_EEDaSP_SQ_EUlSP_E_NS1_11comp_targetILNS1_3genE8ELNS1_11target_archE1030ELNS1_3gpuE2ELNS1_3repE0EEENS1_30default_config_static_selectorELNS0_4arch9wavefront6targetE1EEEvT1_, .Lfunc_end2041-_ZN7rocprim17ROCPRIM_400000_NS6detail17trampoline_kernelINS0_14default_configENS1_20scan_config_selectorIfEEZZNS1_9scan_implILNS1_25lookback_scan_determinismE0ELb1ELb1ES3_N6thrust23THRUST_200600_302600_NS6detail15normal_iteratorINS9_10device_ptrIfEEEESE_f11max_functorIfEfEEDaPvRmT3_T4_T5_mT6_P12ihipStream_tbENKUlT_T0_E_clISt17integral_constantIbLb1EESU_EEDaSP_SQ_EUlSP_E_NS1_11comp_targetILNS1_3genE8ELNS1_11target_archE1030ELNS1_3gpuE2ELNS1_3repE0EEENS1_30default_config_static_selectorELNS0_4arch9wavefront6targetE1EEEvT1_
                                        ; -- End function
	.section	.AMDGPU.csdata,"",@progbits
; Kernel info:
; codeLenInByte = 0
; NumSgprs: 4
; NumVgprs: 0
; NumAgprs: 0
; TotalNumVgprs: 0
; ScratchSize: 0
; MemoryBound: 0
; FloatMode: 240
; IeeeMode: 1
; LDSByteSize: 0 bytes/workgroup (compile time only)
; SGPRBlocks: 0
; VGPRBlocks: 0
; NumSGPRsForWavesPerEU: 4
; NumVGPRsForWavesPerEU: 1
; AccumOffset: 4
; Occupancy: 8
; WaveLimiterHint : 0
; COMPUTE_PGM_RSRC2:SCRATCH_EN: 0
; COMPUTE_PGM_RSRC2:USER_SGPR: 6
; COMPUTE_PGM_RSRC2:TRAP_HANDLER: 0
; COMPUTE_PGM_RSRC2:TGID_X_EN: 1
; COMPUTE_PGM_RSRC2:TGID_Y_EN: 0
; COMPUTE_PGM_RSRC2:TGID_Z_EN: 0
; COMPUTE_PGM_RSRC2:TIDIG_COMP_CNT: 0
; COMPUTE_PGM_RSRC3_GFX90A:ACCUM_OFFSET: 0
; COMPUTE_PGM_RSRC3_GFX90A:TG_SPLIT: 0
	.section	.text._ZN7rocprim17ROCPRIM_400000_NS6detail17trampoline_kernelINS0_14default_configENS1_20scan_config_selectorIfEEZZNS1_9scan_implILNS1_25lookback_scan_determinismE0ELb1ELb1ES3_N6thrust23THRUST_200600_302600_NS6detail15normal_iteratorINS9_10device_ptrIfEEEESE_f11max_functorIfEfEEDaPvRmT3_T4_T5_mT6_P12ihipStream_tbENKUlT_T0_E_clISt17integral_constantIbLb1EESU_EEDaSP_SQ_EUlSP_E0_NS1_11comp_targetILNS1_3genE0ELNS1_11target_archE4294967295ELNS1_3gpuE0ELNS1_3repE0EEENS1_30default_config_static_selectorELNS0_4arch9wavefront6targetE1EEEvT1_,"axG",@progbits,_ZN7rocprim17ROCPRIM_400000_NS6detail17trampoline_kernelINS0_14default_configENS1_20scan_config_selectorIfEEZZNS1_9scan_implILNS1_25lookback_scan_determinismE0ELb1ELb1ES3_N6thrust23THRUST_200600_302600_NS6detail15normal_iteratorINS9_10device_ptrIfEEEESE_f11max_functorIfEfEEDaPvRmT3_T4_T5_mT6_P12ihipStream_tbENKUlT_T0_E_clISt17integral_constantIbLb1EESU_EEDaSP_SQ_EUlSP_E0_NS1_11comp_targetILNS1_3genE0ELNS1_11target_archE4294967295ELNS1_3gpuE0ELNS1_3repE0EEENS1_30default_config_static_selectorELNS0_4arch9wavefront6targetE1EEEvT1_,comdat
	.protected	_ZN7rocprim17ROCPRIM_400000_NS6detail17trampoline_kernelINS0_14default_configENS1_20scan_config_selectorIfEEZZNS1_9scan_implILNS1_25lookback_scan_determinismE0ELb1ELb1ES3_N6thrust23THRUST_200600_302600_NS6detail15normal_iteratorINS9_10device_ptrIfEEEESE_f11max_functorIfEfEEDaPvRmT3_T4_T5_mT6_P12ihipStream_tbENKUlT_T0_E_clISt17integral_constantIbLb1EESU_EEDaSP_SQ_EUlSP_E0_NS1_11comp_targetILNS1_3genE0ELNS1_11target_archE4294967295ELNS1_3gpuE0ELNS1_3repE0EEENS1_30default_config_static_selectorELNS0_4arch9wavefront6targetE1EEEvT1_ ; -- Begin function _ZN7rocprim17ROCPRIM_400000_NS6detail17trampoline_kernelINS0_14default_configENS1_20scan_config_selectorIfEEZZNS1_9scan_implILNS1_25lookback_scan_determinismE0ELb1ELb1ES3_N6thrust23THRUST_200600_302600_NS6detail15normal_iteratorINS9_10device_ptrIfEEEESE_f11max_functorIfEfEEDaPvRmT3_T4_T5_mT6_P12ihipStream_tbENKUlT_T0_E_clISt17integral_constantIbLb1EESU_EEDaSP_SQ_EUlSP_E0_NS1_11comp_targetILNS1_3genE0ELNS1_11target_archE4294967295ELNS1_3gpuE0ELNS1_3repE0EEENS1_30default_config_static_selectorELNS0_4arch9wavefront6targetE1EEEvT1_
	.globl	_ZN7rocprim17ROCPRIM_400000_NS6detail17trampoline_kernelINS0_14default_configENS1_20scan_config_selectorIfEEZZNS1_9scan_implILNS1_25lookback_scan_determinismE0ELb1ELb1ES3_N6thrust23THRUST_200600_302600_NS6detail15normal_iteratorINS9_10device_ptrIfEEEESE_f11max_functorIfEfEEDaPvRmT3_T4_T5_mT6_P12ihipStream_tbENKUlT_T0_E_clISt17integral_constantIbLb1EESU_EEDaSP_SQ_EUlSP_E0_NS1_11comp_targetILNS1_3genE0ELNS1_11target_archE4294967295ELNS1_3gpuE0ELNS1_3repE0EEENS1_30default_config_static_selectorELNS0_4arch9wavefront6targetE1EEEvT1_
	.p2align	8
	.type	_ZN7rocprim17ROCPRIM_400000_NS6detail17trampoline_kernelINS0_14default_configENS1_20scan_config_selectorIfEEZZNS1_9scan_implILNS1_25lookback_scan_determinismE0ELb1ELb1ES3_N6thrust23THRUST_200600_302600_NS6detail15normal_iteratorINS9_10device_ptrIfEEEESE_f11max_functorIfEfEEDaPvRmT3_T4_T5_mT6_P12ihipStream_tbENKUlT_T0_E_clISt17integral_constantIbLb1EESU_EEDaSP_SQ_EUlSP_E0_NS1_11comp_targetILNS1_3genE0ELNS1_11target_archE4294967295ELNS1_3gpuE0ELNS1_3repE0EEENS1_30default_config_static_selectorELNS0_4arch9wavefront6targetE1EEEvT1_,@function
_ZN7rocprim17ROCPRIM_400000_NS6detail17trampoline_kernelINS0_14default_configENS1_20scan_config_selectorIfEEZZNS1_9scan_implILNS1_25lookback_scan_determinismE0ELb1ELb1ES3_N6thrust23THRUST_200600_302600_NS6detail15normal_iteratorINS9_10device_ptrIfEEEESE_f11max_functorIfEfEEDaPvRmT3_T4_T5_mT6_P12ihipStream_tbENKUlT_T0_E_clISt17integral_constantIbLb1EESU_EEDaSP_SQ_EUlSP_E0_NS1_11comp_targetILNS1_3genE0ELNS1_11target_archE4294967295ELNS1_3gpuE0ELNS1_3repE0EEENS1_30default_config_static_selectorELNS0_4arch9wavefront6targetE1EEEvT1_: ; @_ZN7rocprim17ROCPRIM_400000_NS6detail17trampoline_kernelINS0_14default_configENS1_20scan_config_selectorIfEEZZNS1_9scan_implILNS1_25lookback_scan_determinismE0ELb1ELb1ES3_N6thrust23THRUST_200600_302600_NS6detail15normal_iteratorINS9_10device_ptrIfEEEESE_f11max_functorIfEfEEDaPvRmT3_T4_T5_mT6_P12ihipStream_tbENKUlT_T0_E_clISt17integral_constantIbLb1EESU_EEDaSP_SQ_EUlSP_E0_NS1_11comp_targetILNS1_3genE0ELNS1_11target_archE4294967295ELNS1_3gpuE0ELNS1_3repE0EEENS1_30default_config_static_selectorELNS0_4arch9wavefront6targetE1EEEvT1_
; %bb.0:
	.section	.rodata,"a",@progbits
	.p2align	6, 0x0
	.amdhsa_kernel _ZN7rocprim17ROCPRIM_400000_NS6detail17trampoline_kernelINS0_14default_configENS1_20scan_config_selectorIfEEZZNS1_9scan_implILNS1_25lookback_scan_determinismE0ELb1ELb1ES3_N6thrust23THRUST_200600_302600_NS6detail15normal_iteratorINS9_10device_ptrIfEEEESE_f11max_functorIfEfEEDaPvRmT3_T4_T5_mT6_P12ihipStream_tbENKUlT_T0_E_clISt17integral_constantIbLb1EESU_EEDaSP_SQ_EUlSP_E0_NS1_11comp_targetILNS1_3genE0ELNS1_11target_archE4294967295ELNS1_3gpuE0ELNS1_3repE0EEENS1_30default_config_static_selectorELNS0_4arch9wavefront6targetE1EEEvT1_
		.amdhsa_group_segment_fixed_size 0
		.amdhsa_private_segment_fixed_size 0
		.amdhsa_kernarg_size 32
		.amdhsa_user_sgpr_count 6
		.amdhsa_user_sgpr_private_segment_buffer 1
		.amdhsa_user_sgpr_dispatch_ptr 0
		.amdhsa_user_sgpr_queue_ptr 0
		.amdhsa_user_sgpr_kernarg_segment_ptr 1
		.amdhsa_user_sgpr_dispatch_id 0
		.amdhsa_user_sgpr_flat_scratch_init 0
		.amdhsa_user_sgpr_kernarg_preload_length 0
		.amdhsa_user_sgpr_kernarg_preload_offset 0
		.amdhsa_user_sgpr_private_segment_size 0
		.amdhsa_uses_dynamic_stack 0
		.amdhsa_system_sgpr_private_segment_wavefront_offset 0
		.amdhsa_system_sgpr_workgroup_id_x 1
		.amdhsa_system_sgpr_workgroup_id_y 0
		.amdhsa_system_sgpr_workgroup_id_z 0
		.amdhsa_system_sgpr_workgroup_info 0
		.amdhsa_system_vgpr_workitem_id 0
		.amdhsa_next_free_vgpr 1
		.amdhsa_next_free_sgpr 0
		.amdhsa_accum_offset 4
		.amdhsa_reserve_vcc 0
		.amdhsa_reserve_flat_scratch 0
		.amdhsa_float_round_mode_32 0
		.amdhsa_float_round_mode_16_64 0
		.amdhsa_float_denorm_mode_32 3
		.amdhsa_float_denorm_mode_16_64 3
		.amdhsa_dx10_clamp 1
		.amdhsa_ieee_mode 1
		.amdhsa_fp16_overflow 0
		.amdhsa_tg_split 0
		.amdhsa_exception_fp_ieee_invalid_op 0
		.amdhsa_exception_fp_denorm_src 0
		.amdhsa_exception_fp_ieee_div_zero 0
		.amdhsa_exception_fp_ieee_overflow 0
		.amdhsa_exception_fp_ieee_underflow 0
		.amdhsa_exception_fp_ieee_inexact 0
		.amdhsa_exception_int_div_zero 0
	.end_amdhsa_kernel
	.section	.text._ZN7rocprim17ROCPRIM_400000_NS6detail17trampoline_kernelINS0_14default_configENS1_20scan_config_selectorIfEEZZNS1_9scan_implILNS1_25lookback_scan_determinismE0ELb1ELb1ES3_N6thrust23THRUST_200600_302600_NS6detail15normal_iteratorINS9_10device_ptrIfEEEESE_f11max_functorIfEfEEDaPvRmT3_T4_T5_mT6_P12ihipStream_tbENKUlT_T0_E_clISt17integral_constantIbLb1EESU_EEDaSP_SQ_EUlSP_E0_NS1_11comp_targetILNS1_3genE0ELNS1_11target_archE4294967295ELNS1_3gpuE0ELNS1_3repE0EEENS1_30default_config_static_selectorELNS0_4arch9wavefront6targetE1EEEvT1_,"axG",@progbits,_ZN7rocprim17ROCPRIM_400000_NS6detail17trampoline_kernelINS0_14default_configENS1_20scan_config_selectorIfEEZZNS1_9scan_implILNS1_25lookback_scan_determinismE0ELb1ELb1ES3_N6thrust23THRUST_200600_302600_NS6detail15normal_iteratorINS9_10device_ptrIfEEEESE_f11max_functorIfEfEEDaPvRmT3_T4_T5_mT6_P12ihipStream_tbENKUlT_T0_E_clISt17integral_constantIbLb1EESU_EEDaSP_SQ_EUlSP_E0_NS1_11comp_targetILNS1_3genE0ELNS1_11target_archE4294967295ELNS1_3gpuE0ELNS1_3repE0EEENS1_30default_config_static_selectorELNS0_4arch9wavefront6targetE1EEEvT1_,comdat
.Lfunc_end2042:
	.size	_ZN7rocprim17ROCPRIM_400000_NS6detail17trampoline_kernelINS0_14default_configENS1_20scan_config_selectorIfEEZZNS1_9scan_implILNS1_25lookback_scan_determinismE0ELb1ELb1ES3_N6thrust23THRUST_200600_302600_NS6detail15normal_iteratorINS9_10device_ptrIfEEEESE_f11max_functorIfEfEEDaPvRmT3_T4_T5_mT6_P12ihipStream_tbENKUlT_T0_E_clISt17integral_constantIbLb1EESU_EEDaSP_SQ_EUlSP_E0_NS1_11comp_targetILNS1_3genE0ELNS1_11target_archE4294967295ELNS1_3gpuE0ELNS1_3repE0EEENS1_30default_config_static_selectorELNS0_4arch9wavefront6targetE1EEEvT1_, .Lfunc_end2042-_ZN7rocprim17ROCPRIM_400000_NS6detail17trampoline_kernelINS0_14default_configENS1_20scan_config_selectorIfEEZZNS1_9scan_implILNS1_25lookback_scan_determinismE0ELb1ELb1ES3_N6thrust23THRUST_200600_302600_NS6detail15normal_iteratorINS9_10device_ptrIfEEEESE_f11max_functorIfEfEEDaPvRmT3_T4_T5_mT6_P12ihipStream_tbENKUlT_T0_E_clISt17integral_constantIbLb1EESU_EEDaSP_SQ_EUlSP_E0_NS1_11comp_targetILNS1_3genE0ELNS1_11target_archE4294967295ELNS1_3gpuE0ELNS1_3repE0EEENS1_30default_config_static_selectorELNS0_4arch9wavefront6targetE1EEEvT1_
                                        ; -- End function
	.section	.AMDGPU.csdata,"",@progbits
; Kernel info:
; codeLenInByte = 0
; NumSgprs: 4
; NumVgprs: 0
; NumAgprs: 0
; TotalNumVgprs: 0
; ScratchSize: 0
; MemoryBound: 0
; FloatMode: 240
; IeeeMode: 1
; LDSByteSize: 0 bytes/workgroup (compile time only)
; SGPRBlocks: 0
; VGPRBlocks: 0
; NumSGPRsForWavesPerEU: 4
; NumVGPRsForWavesPerEU: 1
; AccumOffset: 4
; Occupancy: 8
; WaveLimiterHint : 0
; COMPUTE_PGM_RSRC2:SCRATCH_EN: 0
; COMPUTE_PGM_RSRC2:USER_SGPR: 6
; COMPUTE_PGM_RSRC2:TRAP_HANDLER: 0
; COMPUTE_PGM_RSRC2:TGID_X_EN: 1
; COMPUTE_PGM_RSRC2:TGID_Y_EN: 0
; COMPUTE_PGM_RSRC2:TGID_Z_EN: 0
; COMPUTE_PGM_RSRC2:TIDIG_COMP_CNT: 0
; COMPUTE_PGM_RSRC3_GFX90A:ACCUM_OFFSET: 0
; COMPUTE_PGM_RSRC3_GFX90A:TG_SPLIT: 0
	.section	.text._ZN7rocprim17ROCPRIM_400000_NS6detail17trampoline_kernelINS0_14default_configENS1_20scan_config_selectorIfEEZZNS1_9scan_implILNS1_25lookback_scan_determinismE0ELb1ELb1ES3_N6thrust23THRUST_200600_302600_NS6detail15normal_iteratorINS9_10device_ptrIfEEEESE_f11max_functorIfEfEEDaPvRmT3_T4_T5_mT6_P12ihipStream_tbENKUlT_T0_E_clISt17integral_constantIbLb1EESU_EEDaSP_SQ_EUlSP_E0_NS1_11comp_targetILNS1_3genE5ELNS1_11target_archE942ELNS1_3gpuE9ELNS1_3repE0EEENS1_30default_config_static_selectorELNS0_4arch9wavefront6targetE1EEEvT1_,"axG",@progbits,_ZN7rocprim17ROCPRIM_400000_NS6detail17trampoline_kernelINS0_14default_configENS1_20scan_config_selectorIfEEZZNS1_9scan_implILNS1_25lookback_scan_determinismE0ELb1ELb1ES3_N6thrust23THRUST_200600_302600_NS6detail15normal_iteratorINS9_10device_ptrIfEEEESE_f11max_functorIfEfEEDaPvRmT3_T4_T5_mT6_P12ihipStream_tbENKUlT_T0_E_clISt17integral_constantIbLb1EESU_EEDaSP_SQ_EUlSP_E0_NS1_11comp_targetILNS1_3genE5ELNS1_11target_archE942ELNS1_3gpuE9ELNS1_3repE0EEENS1_30default_config_static_selectorELNS0_4arch9wavefront6targetE1EEEvT1_,comdat
	.protected	_ZN7rocprim17ROCPRIM_400000_NS6detail17trampoline_kernelINS0_14default_configENS1_20scan_config_selectorIfEEZZNS1_9scan_implILNS1_25lookback_scan_determinismE0ELb1ELb1ES3_N6thrust23THRUST_200600_302600_NS6detail15normal_iteratorINS9_10device_ptrIfEEEESE_f11max_functorIfEfEEDaPvRmT3_T4_T5_mT6_P12ihipStream_tbENKUlT_T0_E_clISt17integral_constantIbLb1EESU_EEDaSP_SQ_EUlSP_E0_NS1_11comp_targetILNS1_3genE5ELNS1_11target_archE942ELNS1_3gpuE9ELNS1_3repE0EEENS1_30default_config_static_selectorELNS0_4arch9wavefront6targetE1EEEvT1_ ; -- Begin function _ZN7rocprim17ROCPRIM_400000_NS6detail17trampoline_kernelINS0_14default_configENS1_20scan_config_selectorIfEEZZNS1_9scan_implILNS1_25lookback_scan_determinismE0ELb1ELb1ES3_N6thrust23THRUST_200600_302600_NS6detail15normal_iteratorINS9_10device_ptrIfEEEESE_f11max_functorIfEfEEDaPvRmT3_T4_T5_mT6_P12ihipStream_tbENKUlT_T0_E_clISt17integral_constantIbLb1EESU_EEDaSP_SQ_EUlSP_E0_NS1_11comp_targetILNS1_3genE5ELNS1_11target_archE942ELNS1_3gpuE9ELNS1_3repE0EEENS1_30default_config_static_selectorELNS0_4arch9wavefront6targetE1EEEvT1_
	.globl	_ZN7rocprim17ROCPRIM_400000_NS6detail17trampoline_kernelINS0_14default_configENS1_20scan_config_selectorIfEEZZNS1_9scan_implILNS1_25lookback_scan_determinismE0ELb1ELb1ES3_N6thrust23THRUST_200600_302600_NS6detail15normal_iteratorINS9_10device_ptrIfEEEESE_f11max_functorIfEfEEDaPvRmT3_T4_T5_mT6_P12ihipStream_tbENKUlT_T0_E_clISt17integral_constantIbLb1EESU_EEDaSP_SQ_EUlSP_E0_NS1_11comp_targetILNS1_3genE5ELNS1_11target_archE942ELNS1_3gpuE9ELNS1_3repE0EEENS1_30default_config_static_selectorELNS0_4arch9wavefront6targetE1EEEvT1_
	.p2align	8
	.type	_ZN7rocprim17ROCPRIM_400000_NS6detail17trampoline_kernelINS0_14default_configENS1_20scan_config_selectorIfEEZZNS1_9scan_implILNS1_25lookback_scan_determinismE0ELb1ELb1ES3_N6thrust23THRUST_200600_302600_NS6detail15normal_iteratorINS9_10device_ptrIfEEEESE_f11max_functorIfEfEEDaPvRmT3_T4_T5_mT6_P12ihipStream_tbENKUlT_T0_E_clISt17integral_constantIbLb1EESU_EEDaSP_SQ_EUlSP_E0_NS1_11comp_targetILNS1_3genE5ELNS1_11target_archE942ELNS1_3gpuE9ELNS1_3repE0EEENS1_30default_config_static_selectorELNS0_4arch9wavefront6targetE1EEEvT1_,@function
_ZN7rocprim17ROCPRIM_400000_NS6detail17trampoline_kernelINS0_14default_configENS1_20scan_config_selectorIfEEZZNS1_9scan_implILNS1_25lookback_scan_determinismE0ELb1ELb1ES3_N6thrust23THRUST_200600_302600_NS6detail15normal_iteratorINS9_10device_ptrIfEEEESE_f11max_functorIfEfEEDaPvRmT3_T4_T5_mT6_P12ihipStream_tbENKUlT_T0_E_clISt17integral_constantIbLb1EESU_EEDaSP_SQ_EUlSP_E0_NS1_11comp_targetILNS1_3genE5ELNS1_11target_archE942ELNS1_3gpuE9ELNS1_3repE0EEENS1_30default_config_static_selectorELNS0_4arch9wavefront6targetE1EEEvT1_: ; @_ZN7rocprim17ROCPRIM_400000_NS6detail17trampoline_kernelINS0_14default_configENS1_20scan_config_selectorIfEEZZNS1_9scan_implILNS1_25lookback_scan_determinismE0ELb1ELb1ES3_N6thrust23THRUST_200600_302600_NS6detail15normal_iteratorINS9_10device_ptrIfEEEESE_f11max_functorIfEfEEDaPvRmT3_T4_T5_mT6_P12ihipStream_tbENKUlT_T0_E_clISt17integral_constantIbLb1EESU_EEDaSP_SQ_EUlSP_E0_NS1_11comp_targetILNS1_3genE5ELNS1_11target_archE942ELNS1_3gpuE9ELNS1_3repE0EEENS1_30default_config_static_selectorELNS0_4arch9wavefront6targetE1EEEvT1_
; %bb.0:
	.section	.rodata,"a",@progbits
	.p2align	6, 0x0
	.amdhsa_kernel _ZN7rocprim17ROCPRIM_400000_NS6detail17trampoline_kernelINS0_14default_configENS1_20scan_config_selectorIfEEZZNS1_9scan_implILNS1_25lookback_scan_determinismE0ELb1ELb1ES3_N6thrust23THRUST_200600_302600_NS6detail15normal_iteratorINS9_10device_ptrIfEEEESE_f11max_functorIfEfEEDaPvRmT3_T4_T5_mT6_P12ihipStream_tbENKUlT_T0_E_clISt17integral_constantIbLb1EESU_EEDaSP_SQ_EUlSP_E0_NS1_11comp_targetILNS1_3genE5ELNS1_11target_archE942ELNS1_3gpuE9ELNS1_3repE0EEENS1_30default_config_static_selectorELNS0_4arch9wavefront6targetE1EEEvT1_
		.amdhsa_group_segment_fixed_size 0
		.amdhsa_private_segment_fixed_size 0
		.amdhsa_kernarg_size 32
		.amdhsa_user_sgpr_count 6
		.amdhsa_user_sgpr_private_segment_buffer 1
		.amdhsa_user_sgpr_dispatch_ptr 0
		.amdhsa_user_sgpr_queue_ptr 0
		.amdhsa_user_sgpr_kernarg_segment_ptr 1
		.amdhsa_user_sgpr_dispatch_id 0
		.amdhsa_user_sgpr_flat_scratch_init 0
		.amdhsa_user_sgpr_kernarg_preload_length 0
		.amdhsa_user_sgpr_kernarg_preload_offset 0
		.amdhsa_user_sgpr_private_segment_size 0
		.amdhsa_uses_dynamic_stack 0
		.amdhsa_system_sgpr_private_segment_wavefront_offset 0
		.amdhsa_system_sgpr_workgroup_id_x 1
		.amdhsa_system_sgpr_workgroup_id_y 0
		.amdhsa_system_sgpr_workgroup_id_z 0
		.amdhsa_system_sgpr_workgroup_info 0
		.amdhsa_system_vgpr_workitem_id 0
		.amdhsa_next_free_vgpr 1
		.amdhsa_next_free_sgpr 0
		.amdhsa_accum_offset 4
		.amdhsa_reserve_vcc 0
		.amdhsa_reserve_flat_scratch 0
		.amdhsa_float_round_mode_32 0
		.amdhsa_float_round_mode_16_64 0
		.amdhsa_float_denorm_mode_32 3
		.amdhsa_float_denorm_mode_16_64 3
		.amdhsa_dx10_clamp 1
		.amdhsa_ieee_mode 1
		.amdhsa_fp16_overflow 0
		.amdhsa_tg_split 0
		.amdhsa_exception_fp_ieee_invalid_op 0
		.amdhsa_exception_fp_denorm_src 0
		.amdhsa_exception_fp_ieee_div_zero 0
		.amdhsa_exception_fp_ieee_overflow 0
		.amdhsa_exception_fp_ieee_underflow 0
		.amdhsa_exception_fp_ieee_inexact 0
		.amdhsa_exception_int_div_zero 0
	.end_amdhsa_kernel
	.section	.text._ZN7rocprim17ROCPRIM_400000_NS6detail17trampoline_kernelINS0_14default_configENS1_20scan_config_selectorIfEEZZNS1_9scan_implILNS1_25lookback_scan_determinismE0ELb1ELb1ES3_N6thrust23THRUST_200600_302600_NS6detail15normal_iteratorINS9_10device_ptrIfEEEESE_f11max_functorIfEfEEDaPvRmT3_T4_T5_mT6_P12ihipStream_tbENKUlT_T0_E_clISt17integral_constantIbLb1EESU_EEDaSP_SQ_EUlSP_E0_NS1_11comp_targetILNS1_3genE5ELNS1_11target_archE942ELNS1_3gpuE9ELNS1_3repE0EEENS1_30default_config_static_selectorELNS0_4arch9wavefront6targetE1EEEvT1_,"axG",@progbits,_ZN7rocprim17ROCPRIM_400000_NS6detail17trampoline_kernelINS0_14default_configENS1_20scan_config_selectorIfEEZZNS1_9scan_implILNS1_25lookback_scan_determinismE0ELb1ELb1ES3_N6thrust23THRUST_200600_302600_NS6detail15normal_iteratorINS9_10device_ptrIfEEEESE_f11max_functorIfEfEEDaPvRmT3_T4_T5_mT6_P12ihipStream_tbENKUlT_T0_E_clISt17integral_constantIbLb1EESU_EEDaSP_SQ_EUlSP_E0_NS1_11comp_targetILNS1_3genE5ELNS1_11target_archE942ELNS1_3gpuE9ELNS1_3repE0EEENS1_30default_config_static_selectorELNS0_4arch9wavefront6targetE1EEEvT1_,comdat
.Lfunc_end2043:
	.size	_ZN7rocprim17ROCPRIM_400000_NS6detail17trampoline_kernelINS0_14default_configENS1_20scan_config_selectorIfEEZZNS1_9scan_implILNS1_25lookback_scan_determinismE0ELb1ELb1ES3_N6thrust23THRUST_200600_302600_NS6detail15normal_iteratorINS9_10device_ptrIfEEEESE_f11max_functorIfEfEEDaPvRmT3_T4_T5_mT6_P12ihipStream_tbENKUlT_T0_E_clISt17integral_constantIbLb1EESU_EEDaSP_SQ_EUlSP_E0_NS1_11comp_targetILNS1_3genE5ELNS1_11target_archE942ELNS1_3gpuE9ELNS1_3repE0EEENS1_30default_config_static_selectorELNS0_4arch9wavefront6targetE1EEEvT1_, .Lfunc_end2043-_ZN7rocprim17ROCPRIM_400000_NS6detail17trampoline_kernelINS0_14default_configENS1_20scan_config_selectorIfEEZZNS1_9scan_implILNS1_25lookback_scan_determinismE0ELb1ELb1ES3_N6thrust23THRUST_200600_302600_NS6detail15normal_iteratorINS9_10device_ptrIfEEEESE_f11max_functorIfEfEEDaPvRmT3_T4_T5_mT6_P12ihipStream_tbENKUlT_T0_E_clISt17integral_constantIbLb1EESU_EEDaSP_SQ_EUlSP_E0_NS1_11comp_targetILNS1_3genE5ELNS1_11target_archE942ELNS1_3gpuE9ELNS1_3repE0EEENS1_30default_config_static_selectorELNS0_4arch9wavefront6targetE1EEEvT1_
                                        ; -- End function
	.section	.AMDGPU.csdata,"",@progbits
; Kernel info:
; codeLenInByte = 0
; NumSgprs: 4
; NumVgprs: 0
; NumAgprs: 0
; TotalNumVgprs: 0
; ScratchSize: 0
; MemoryBound: 0
; FloatMode: 240
; IeeeMode: 1
; LDSByteSize: 0 bytes/workgroup (compile time only)
; SGPRBlocks: 0
; VGPRBlocks: 0
; NumSGPRsForWavesPerEU: 4
; NumVGPRsForWavesPerEU: 1
; AccumOffset: 4
; Occupancy: 8
; WaveLimiterHint : 0
; COMPUTE_PGM_RSRC2:SCRATCH_EN: 0
; COMPUTE_PGM_RSRC2:USER_SGPR: 6
; COMPUTE_PGM_RSRC2:TRAP_HANDLER: 0
; COMPUTE_PGM_RSRC2:TGID_X_EN: 1
; COMPUTE_PGM_RSRC2:TGID_Y_EN: 0
; COMPUTE_PGM_RSRC2:TGID_Z_EN: 0
; COMPUTE_PGM_RSRC2:TIDIG_COMP_CNT: 0
; COMPUTE_PGM_RSRC3_GFX90A:ACCUM_OFFSET: 0
; COMPUTE_PGM_RSRC3_GFX90A:TG_SPLIT: 0
	.section	.text._ZN7rocprim17ROCPRIM_400000_NS6detail17trampoline_kernelINS0_14default_configENS1_20scan_config_selectorIfEEZZNS1_9scan_implILNS1_25lookback_scan_determinismE0ELb1ELb1ES3_N6thrust23THRUST_200600_302600_NS6detail15normal_iteratorINS9_10device_ptrIfEEEESE_f11max_functorIfEfEEDaPvRmT3_T4_T5_mT6_P12ihipStream_tbENKUlT_T0_E_clISt17integral_constantIbLb1EESU_EEDaSP_SQ_EUlSP_E0_NS1_11comp_targetILNS1_3genE4ELNS1_11target_archE910ELNS1_3gpuE8ELNS1_3repE0EEENS1_30default_config_static_selectorELNS0_4arch9wavefront6targetE1EEEvT1_,"axG",@progbits,_ZN7rocprim17ROCPRIM_400000_NS6detail17trampoline_kernelINS0_14default_configENS1_20scan_config_selectorIfEEZZNS1_9scan_implILNS1_25lookback_scan_determinismE0ELb1ELb1ES3_N6thrust23THRUST_200600_302600_NS6detail15normal_iteratorINS9_10device_ptrIfEEEESE_f11max_functorIfEfEEDaPvRmT3_T4_T5_mT6_P12ihipStream_tbENKUlT_T0_E_clISt17integral_constantIbLb1EESU_EEDaSP_SQ_EUlSP_E0_NS1_11comp_targetILNS1_3genE4ELNS1_11target_archE910ELNS1_3gpuE8ELNS1_3repE0EEENS1_30default_config_static_selectorELNS0_4arch9wavefront6targetE1EEEvT1_,comdat
	.protected	_ZN7rocprim17ROCPRIM_400000_NS6detail17trampoline_kernelINS0_14default_configENS1_20scan_config_selectorIfEEZZNS1_9scan_implILNS1_25lookback_scan_determinismE0ELb1ELb1ES3_N6thrust23THRUST_200600_302600_NS6detail15normal_iteratorINS9_10device_ptrIfEEEESE_f11max_functorIfEfEEDaPvRmT3_T4_T5_mT6_P12ihipStream_tbENKUlT_T0_E_clISt17integral_constantIbLb1EESU_EEDaSP_SQ_EUlSP_E0_NS1_11comp_targetILNS1_3genE4ELNS1_11target_archE910ELNS1_3gpuE8ELNS1_3repE0EEENS1_30default_config_static_selectorELNS0_4arch9wavefront6targetE1EEEvT1_ ; -- Begin function _ZN7rocprim17ROCPRIM_400000_NS6detail17trampoline_kernelINS0_14default_configENS1_20scan_config_selectorIfEEZZNS1_9scan_implILNS1_25lookback_scan_determinismE0ELb1ELb1ES3_N6thrust23THRUST_200600_302600_NS6detail15normal_iteratorINS9_10device_ptrIfEEEESE_f11max_functorIfEfEEDaPvRmT3_T4_T5_mT6_P12ihipStream_tbENKUlT_T0_E_clISt17integral_constantIbLb1EESU_EEDaSP_SQ_EUlSP_E0_NS1_11comp_targetILNS1_3genE4ELNS1_11target_archE910ELNS1_3gpuE8ELNS1_3repE0EEENS1_30default_config_static_selectorELNS0_4arch9wavefront6targetE1EEEvT1_
	.globl	_ZN7rocprim17ROCPRIM_400000_NS6detail17trampoline_kernelINS0_14default_configENS1_20scan_config_selectorIfEEZZNS1_9scan_implILNS1_25lookback_scan_determinismE0ELb1ELb1ES3_N6thrust23THRUST_200600_302600_NS6detail15normal_iteratorINS9_10device_ptrIfEEEESE_f11max_functorIfEfEEDaPvRmT3_T4_T5_mT6_P12ihipStream_tbENKUlT_T0_E_clISt17integral_constantIbLb1EESU_EEDaSP_SQ_EUlSP_E0_NS1_11comp_targetILNS1_3genE4ELNS1_11target_archE910ELNS1_3gpuE8ELNS1_3repE0EEENS1_30default_config_static_selectorELNS0_4arch9wavefront6targetE1EEEvT1_
	.p2align	8
	.type	_ZN7rocprim17ROCPRIM_400000_NS6detail17trampoline_kernelINS0_14default_configENS1_20scan_config_selectorIfEEZZNS1_9scan_implILNS1_25lookback_scan_determinismE0ELb1ELb1ES3_N6thrust23THRUST_200600_302600_NS6detail15normal_iteratorINS9_10device_ptrIfEEEESE_f11max_functorIfEfEEDaPvRmT3_T4_T5_mT6_P12ihipStream_tbENKUlT_T0_E_clISt17integral_constantIbLb1EESU_EEDaSP_SQ_EUlSP_E0_NS1_11comp_targetILNS1_3genE4ELNS1_11target_archE910ELNS1_3gpuE8ELNS1_3repE0EEENS1_30default_config_static_selectorELNS0_4arch9wavefront6targetE1EEEvT1_,@function
_ZN7rocprim17ROCPRIM_400000_NS6detail17trampoline_kernelINS0_14default_configENS1_20scan_config_selectorIfEEZZNS1_9scan_implILNS1_25lookback_scan_determinismE0ELb1ELb1ES3_N6thrust23THRUST_200600_302600_NS6detail15normal_iteratorINS9_10device_ptrIfEEEESE_f11max_functorIfEfEEDaPvRmT3_T4_T5_mT6_P12ihipStream_tbENKUlT_T0_E_clISt17integral_constantIbLb1EESU_EEDaSP_SQ_EUlSP_E0_NS1_11comp_targetILNS1_3genE4ELNS1_11target_archE910ELNS1_3gpuE8ELNS1_3repE0EEENS1_30default_config_static_selectorELNS0_4arch9wavefront6targetE1EEEvT1_: ; @_ZN7rocprim17ROCPRIM_400000_NS6detail17trampoline_kernelINS0_14default_configENS1_20scan_config_selectorIfEEZZNS1_9scan_implILNS1_25lookback_scan_determinismE0ELb1ELb1ES3_N6thrust23THRUST_200600_302600_NS6detail15normal_iteratorINS9_10device_ptrIfEEEESE_f11max_functorIfEfEEDaPvRmT3_T4_T5_mT6_P12ihipStream_tbENKUlT_T0_E_clISt17integral_constantIbLb1EESU_EEDaSP_SQ_EUlSP_E0_NS1_11comp_targetILNS1_3genE4ELNS1_11target_archE910ELNS1_3gpuE8ELNS1_3repE0EEENS1_30default_config_static_selectorELNS0_4arch9wavefront6targetE1EEEvT1_
; %bb.0:
	s_load_dwordx4 s[28:31], s[4:5], 0x0
	v_lshlrev_b32_e32 v18, 2, v0
	s_waitcnt lgkmcnt(0)
	s_load_dword s31, s[28:29], 0x0
	v_cmp_gt_u32_e32 vcc, s30, v0
	s_waitcnt lgkmcnt(0)
	v_mov_b32_e32 v1, s31
	s_and_saveexec_b64 s[0:1], vcc
	s_cbranch_execz .LBB2044_2
; %bb.1:
	global_load_dword v1, v18, s[28:29]
.LBB2044_2:
	s_or_b64 exec, exec, s[0:1]
	v_or_b32_e32 v2, 0x80, v0
	v_cmp_gt_u32_e64 s[0:1], s30, v2
	v_mov_b32_e32 v2, s31
	s_and_saveexec_b64 s[2:3], s[0:1]
	s_cbranch_execz .LBB2044_4
; %bb.3:
	global_load_dword v2, v18, s[28:29] offset:512
.LBB2044_4:
	s_or_b64 exec, exec, s[2:3]
	v_or_b32_e32 v3, 0x100, v0
	v_cmp_gt_u32_e64 s[2:3], s30, v3
	v_mov_b32_e32 v3, s31
	s_and_saveexec_b64 s[6:7], s[2:3]
	s_cbranch_execz .LBB2044_6
; %bb.5:
	global_load_dword v3, v18, s[28:29] offset:1024
.LBB2044_6:
	;; [unrolled: 9-line block ×7, first 2 shown]
	s_or_b64 exec, exec, s[14:15]
	v_or_b32_e32 v10, 0x400, v0
	v_cmp_gt_u32_e64 s[14:15], s30, v10
	v_mov_b32_e32 v9, s31
	s_and_saveexec_b64 s[16:17], s[14:15]
	s_cbranch_execz .LBB2044_18
; %bb.17:
	v_lshlrev_b32_e32 v9, 2, v10
	global_load_dword v9, v9, s[28:29]
.LBB2044_18:
	s_or_b64 exec, exec, s[16:17]
	v_or_b32_e32 v11, 0x480, v0
	v_cmp_gt_u32_e64 s[16:17], s30, v11
	v_mov_b32_e32 v10, s31
	s_and_saveexec_b64 s[18:19], s[16:17]
	s_cbranch_execz .LBB2044_20
; %bb.19:
	v_lshlrev_b32_e32 v10, 2, v11
	global_load_dword v10, v10, s[28:29]
.LBB2044_20:
	;; [unrolled: 10-line block ×5, first 2 shown]
	s_or_b64 exec, exec, s[24:25]
	s_load_dword s33, s[4:5], 0x10
	v_or_b32_e32 v15, 0x680, v0
	v_cmp_gt_u32_e64 s[24:25], s30, v15
	v_mov_b32_e32 v14, s31
	s_and_saveexec_b64 s[30:31], s[24:25]
	s_cbranch_execz .LBB2044_28
; %bb.27:
	v_lshlrev_b32_e32 v14, 2, v15
	global_load_dword v14, v14, s[28:29]
.LBB2044_28:
	s_or_b64 exec, exec, s[30:31]
	s_waitcnt vmcnt(0)
	ds_write2st64_b32 v18, v1, v2 offset1:2
	ds_write2st64_b32 v18, v3, v4 offset0:4 offset1:6
	ds_write2st64_b32 v18, v5, v6 offset0:8 offset1:10
	;; [unrolled: 1-line block ×6, first 2 shown]
	v_mad_u32_u24 v1, v0, 52, v18
	s_waitcnt lgkmcnt(0)
	s_barrier
	ds_read2_b64 v[10:13], v1 offset1:1
	ds_read2_b64 v[6:9], v1 offset0:2 offset1:3
	ds_read2_b64 v[2:5], v1 offset0:4 offset1:5
	ds_read_b64 v[14:15], v1 offset:48
	s_load_dwordx2 s[36:37], s[4:5], 0x18
	s_waitcnt lgkmcnt(0)
	v_cmp_lt_f32_e64 s[4:5], v10, v11
	v_cndmask_b32_e64 v16, v10, v11, s[4:5]
	v_cmp_lt_f32_e64 s[4:5], v16, v12
	v_cndmask_b32_e64 v16, v16, v12, s[4:5]
	v_cmp_lt_f32_e64 s[4:5], v16, v13
	v_cndmask_b32_e64 v16, v16, v13, s[4:5]
	v_cmp_lt_f32_e64 s[4:5], v16, v6
	v_cndmask_b32_e64 v16, v16, v6, s[4:5]
	v_cmp_lt_f32_e64 s[4:5], v16, v7
	v_cndmask_b32_e64 v16, v16, v7, s[4:5]
	v_cmp_lt_f32_e64 s[4:5], v16, v8
	v_cndmask_b32_e64 v16, v16, v8, s[4:5]
	v_cmp_lt_f32_e64 s[4:5], v16, v9
	v_cndmask_b32_e64 v16, v16, v9, s[4:5]
	v_cmp_lt_f32_e64 s[4:5], v16, v2
	v_cndmask_b32_e64 v16, v16, v2, s[4:5]
	v_cmp_lt_f32_e64 s[4:5], v16, v3
	v_cndmask_b32_e64 v16, v16, v3, s[4:5]
	v_cmp_lt_f32_e64 s[4:5], v16, v4
	v_cndmask_b32_e64 v16, v16, v4, s[4:5]
	v_cmp_lt_f32_e64 s[4:5], v16, v5
	v_cndmask_b32_e64 v16, v16, v5, s[4:5]
	v_cmp_lt_f32_e64 s[4:5], v16, v14
	v_cndmask_b32_e64 v16, v16, v14, s[4:5]
	v_cmp_lt_f32_e64 s[4:5], v16, v15
	v_cndmask_b32_e64 v15, v16, v15, s[4:5]
	v_lshrrev_b32_e32 v16, 3, v0
	v_and_b32_e32 v16, 12, v16
	v_add_u32_e32 v16, v18, v16
	v_cmp_gt_u32_e64 s[4:5], 64, v0
	s_barrier
	ds_write_b32 v16, v15
	s_waitcnt lgkmcnt(0)
	s_barrier
	s_and_saveexec_b64 s[38:39], s[4:5]
	s_cbranch_execz .LBB2044_30
; %bb.29:
	v_lshlrev_b32_e32 v16, 1, v0
	v_lshrrev_b32_e32 v17, 4, v0
	v_add_lshl_u32 v19, v17, v16, 2
	ds_read2_b32 v[16:17], v19 offset1:1
	v_mbcnt_lo_u32_b32 v20, -1, 0
	v_mbcnt_hi_u32_b32 v20, -1, v20
	v_and_b32_e32 v21, 15, v20
	v_cmp_lt_u32_e64 s[34:35], 31, v20
	s_waitcnt lgkmcnt(0)
	v_cmp_lt_f32_e64 s[4:5], v16, v17
	v_cndmask_b32_e64 v17, v16, v17, s[4:5]
	v_cmp_gt_u32_e64 s[30:31], 32, v20
	s_nop 0
	v_mov_b32_dpp v22, v17 row_shr:1 row_mask:0xf bank_mask:0xf
	v_cmp_gt_f32_e64 s[4:5], v17, v22
	v_cndmask_b32_e64 v22, v22, v17, s[4:5]
	v_cmp_eq_u32_e64 s[4:5], 0, v21
	v_cndmask_b32_e64 v17, v22, v17, s[4:5]
	; wave barrier
	s_nop 1
	v_mov_b32_dpp v22, v17 row_shr:2 row_mask:0xf bank_mask:0xf
	v_cmp_gt_f32_e64 s[4:5], v17, v22
	v_cndmask_b32_e64 v22, v22, v17, s[4:5]
	v_cmp_lt_u32_e64 s[4:5], 1, v21
	v_cndmask_b32_e64 v22, v17, v22, s[4:5]
	s_nop 1
	v_mov_b32_dpp v23, v22 row_shr:4 row_mask:0xf bank_mask:0xf
	v_cmp_gt_f32_e64 s[28:29], v22, v23
	v_cndmask_b32_e64 v23, v23, v22, s[28:29]
	v_cmp_lt_u32_e64 s[28:29], 3, v21
	v_cndmask_b32_e64 v22, v22, v23, s[28:29]
	;; [unrolled: 6-line block ×3, first 2 shown]
	v_and_b32_e32 v23, 16, v20
	s_nop 0
	v_mov_b32_dpp v22, v21 row_bcast:15 row_mask:0xf bank_mask:0xf
	v_cmp_gt_f32_e64 s[28:29], v21, v22
	v_cndmask_b32_e64 v22, v22, v21, s[28:29]
	v_cmp_ne_u32_e64 s[28:29], 0, v23
	v_cndmask_b32_e64 v21, v21, v22, s[28:29]
	s_or_b64 s[34:35], s[28:29], s[34:35]
	s_or_b64 s[4:5], s[4:5], s[34:35]
	v_mov_b32_dpp v22, v21 row_bcast:31 row_mask:0xf bank_mask:0xf
	v_cmp_gt_f32_e64 s[28:29], v21, v22
	s_or_b64 s[28:29], s[30:31], s[28:29]
	v_cndmask_b32_e64 v21, v22, v21, s[28:29]
	v_cndmask_b32_e64 v17, v17, v21, s[4:5]
	v_add_u32_e32 v21, -1, v20
	v_and_b32_e32 v22, 64, v20
	v_cmp_lt_i32_e64 s[4:5], v21, v22
	v_cndmask_b32_e64 v20, v21, v20, s[4:5]
	v_lshlrev_b32_e32 v20, 2, v20
	ds_bpermute_b32 v17, v20, v17
	s_waitcnt lgkmcnt(0)
	v_cmp_gt_f32_e64 s[4:5], v16, v17
	v_cndmask_b32_e64 v16, v17, v16, s[4:5]
	v_cmp_eq_u32_e64 s[4:5], 0, v0
	v_cndmask_b32_e64 v15, v16, v15, s[4:5]
	ds_write_b32 v19, v15
	; wave barrier
	ds_read_b32 v16, v19 offset:4
	s_waitcnt lgkmcnt(0)
	v_cmp_lt_f32_e64 s[4:5], v15, v16
	v_cndmask_b32_e64 v15, v15, v16, s[4:5]
	ds_write_b32 v19, v15 offset:4
.LBB2044_30:
	s_or_b64 exec, exec, s[38:39]
	v_cmp_ne_u32_e64 s[4:5], 0, v0
	v_mov_b32_e32 v16, s33
	s_waitcnt lgkmcnt(0)
	s_barrier
	s_and_saveexec_b64 s[28:29], s[4:5]
	s_cbranch_execz .LBB2044_32
; %bb.31:
	v_add_u32_e32 v15, -1, v0
	v_lshrrev_b32_e32 v16, 5, v15
	v_add_lshl_u32 v15, v16, v15, 2
	ds_read_b32 v15, v15
	v_mov_b32_e32 v16, s33
	s_waitcnt lgkmcnt(0)
	v_cmp_lt_f32_e64 s[4:5], s33, v15
	v_cndmask_b32_e64 v16, v16, v15, s[4:5]
.LBB2044_32:
	s_or_b64 exec, exec, s[28:29]
	v_cmp_lt_f32_e64 s[4:5], v16, v10
	v_cndmask_b32_e64 v17, v16, v10, s[4:5]
	v_cmp_lt_f32_e64 s[4:5], v17, v11
	v_cndmask_b32_e64 v10, v17, v11, s[4:5]
	;; [unrolled: 2-line block ×13, first 2 shown]
	s_movk_i32 s4, 0xffcc
	v_mad_i32_i24 v0, v0, s4, v1
	s_barrier
	ds_write2_b64 v1, v[16:17], v[10:11] offset1:1
	ds_write2_b64 v1, v[12:13], v[6:7] offset0:2 offset1:3
	ds_write2_b64 v1, v[8:9], v[2:3] offset0:4 offset1:5
	ds_write_b64 v1, v[4:5] offset:48
	s_waitcnt lgkmcnt(0)
	s_barrier
	ds_read2st64_b32 v[12:13], v0 offset0:2 offset1:4
	ds_read2st64_b32 v[10:11], v0 offset0:6 offset1:8
	;; [unrolled: 1-line block ×4, first 2 shown]
	ds_read_b32 v14, v18 offset:4096
	ds_read2st64_b32 v[4:5], v0 offset0:20 offset1:22
	ds_read2st64_b32 v[0:1], v0 offset0:24 offset1:26
	v_mov_b32_e32 v3, s37
	v_add_co_u32_e64 v2, s[4:5], s36, v18
	v_addc_co_u32_e64 v3, s[4:5], 0, v3, s[4:5]
	s_and_saveexec_b64 s[4:5], vcc
	s_cbranch_execnz .LBB2044_47
; %bb.33:
	s_or_b64 exec, exec, s[4:5]
	s_and_saveexec_b64 s[4:5], s[0:1]
	s_cbranch_execnz .LBB2044_48
.LBB2044_34:
	s_or_b64 exec, exec, s[4:5]
	s_and_saveexec_b64 s[0:1], s[2:3]
	s_cbranch_execnz .LBB2044_49
.LBB2044_35:
	s_or_b64 exec, exec, s[0:1]
	s_and_saveexec_b64 s[0:1], s[26:27]
	s_cbranch_execnz .LBB2044_50
.LBB2044_36:
	s_or_b64 exec, exec, s[0:1]
	s_and_saveexec_b64 s[0:1], s[6:7]
	s_cbranch_execnz .LBB2044_51
.LBB2044_37:
	s_or_b64 exec, exec, s[0:1]
	s_and_saveexec_b64 s[0:1], s[8:9]
	s_cbranch_execnz .LBB2044_52
.LBB2044_38:
	s_or_b64 exec, exec, s[0:1]
	s_and_saveexec_b64 s[0:1], s[10:11]
	s_cbranch_execnz .LBB2044_53
.LBB2044_39:
	s_or_b64 exec, exec, s[0:1]
	s_and_saveexec_b64 s[0:1], s[12:13]
	s_cbranch_execnz .LBB2044_54
.LBB2044_40:
	s_or_b64 exec, exec, s[0:1]
	s_and_saveexec_b64 s[0:1], s[14:15]
	s_cbranch_execnz .LBB2044_55
.LBB2044_41:
	s_or_b64 exec, exec, s[0:1]
	s_and_saveexec_b64 s[0:1], s[16:17]
	s_cbranch_execnz .LBB2044_56
.LBB2044_42:
	s_or_b64 exec, exec, s[0:1]
	s_and_saveexec_b64 s[0:1], s[18:19]
	s_cbranch_execnz .LBB2044_57
.LBB2044_43:
	s_or_b64 exec, exec, s[0:1]
	s_and_saveexec_b64 s[0:1], s[20:21]
	s_cbranch_execnz .LBB2044_58
.LBB2044_44:
	s_or_b64 exec, exec, s[0:1]
	s_and_saveexec_b64 s[0:1], s[22:23]
	s_cbranch_execnz .LBB2044_59
.LBB2044_45:
	s_or_b64 exec, exec, s[0:1]
	s_and_saveexec_b64 s[0:1], s[24:25]
	s_cbranch_execnz .LBB2044_60
.LBB2044_46:
	s_endpgm
.LBB2044_47:
	ds_read_b32 v15, v18
	s_waitcnt lgkmcnt(0)
	global_store_dword v[2:3], v15, off
	s_or_b64 exec, exec, s[4:5]
	s_and_saveexec_b64 s[4:5], s[0:1]
	s_cbranch_execz .LBB2044_34
.LBB2044_48:
	s_waitcnt lgkmcnt(6)
	global_store_dword v[2:3], v12, off offset:512
	s_or_b64 exec, exec, s[4:5]
	s_and_saveexec_b64 s[0:1], s[2:3]
	s_cbranch_execz .LBB2044_35
.LBB2044_49:
	s_waitcnt lgkmcnt(6)
	global_store_dword v[2:3], v13, off offset:1024
	s_or_b64 exec, exec, s[0:1]
	s_and_saveexec_b64 s[0:1], s[26:27]
	s_cbranch_execz .LBB2044_36
.LBB2044_50:
	s_waitcnt lgkmcnt(5)
	global_store_dword v[2:3], v10, off offset:1536
	s_or_b64 exec, exec, s[0:1]
	s_and_saveexec_b64 s[0:1], s[6:7]
	s_cbranch_execz .LBB2044_37
.LBB2044_51:
	s_waitcnt lgkmcnt(5)
	global_store_dword v[2:3], v11, off offset:2048
	s_or_b64 exec, exec, s[0:1]
	s_and_saveexec_b64 s[0:1], s[8:9]
	s_cbranch_execz .LBB2044_38
.LBB2044_52:
	s_waitcnt lgkmcnt(4)
	global_store_dword v[2:3], v8, off offset:2560
	s_or_b64 exec, exec, s[0:1]
	s_and_saveexec_b64 s[0:1], s[10:11]
	s_cbranch_execz .LBB2044_39
.LBB2044_53:
	s_waitcnt lgkmcnt(4)
	global_store_dword v[2:3], v9, off offset:3072
	s_or_b64 exec, exec, s[0:1]
	s_and_saveexec_b64 s[0:1], s[12:13]
	s_cbranch_execz .LBB2044_40
.LBB2044_54:
	s_waitcnt lgkmcnt(3)
	global_store_dword v[2:3], v6, off offset:3584
	s_or_b64 exec, exec, s[0:1]
	s_and_saveexec_b64 s[0:1], s[14:15]
	s_cbranch_execz .LBB2044_41
.LBB2044_55:
	s_waitcnt lgkmcnt(4)
	v_add_co_u32_e32 v8, vcc, 0x1000, v2
	v_addc_co_u32_e32 v9, vcc, 0, v3, vcc
	s_waitcnt lgkmcnt(2)
	global_store_dword v[8:9], v14, off
	s_or_b64 exec, exec, s[0:1]
	s_and_saveexec_b64 s[0:1], s[16:17]
	s_cbranch_execz .LBB2044_42
.LBB2044_56:
	s_waitcnt lgkmcnt(4)
	v_add_co_u32_e32 v8, vcc, 0x1000, v2
	v_addc_co_u32_e32 v9, vcc, 0, v3, vcc
	s_waitcnt lgkmcnt(3)
	global_store_dword v[8:9], v7, off offset:512
	s_or_b64 exec, exec, s[0:1]
	s_and_saveexec_b64 s[0:1], s[18:19]
	s_cbranch_execz .LBB2044_43
.LBB2044_57:
	s_waitcnt lgkmcnt(3)
	v_add_co_u32_e32 v6, vcc, 0x1000, v2
	v_addc_co_u32_e32 v7, vcc, 0, v3, vcc
	s_waitcnt lgkmcnt(1)
	global_store_dword v[6:7], v4, off offset:1024
	s_or_b64 exec, exec, s[0:1]
	s_and_saveexec_b64 s[0:1], s[20:21]
	s_cbranch_execz .LBB2044_44
.LBB2044_58:
	s_waitcnt lgkmcnt(3)
	v_add_co_u32_e32 v6, vcc, 0x1000, v2
	v_addc_co_u32_e32 v7, vcc, 0, v3, vcc
	s_waitcnt lgkmcnt(1)
	global_store_dword v[6:7], v5, off offset:1536
	s_or_b64 exec, exec, s[0:1]
	s_and_saveexec_b64 s[0:1], s[22:23]
	s_cbranch_execz .LBB2044_45
.LBB2044_59:
	s_waitcnt lgkmcnt(1)
	v_add_co_u32_e32 v4, vcc, 0x1000, v2
	v_addc_co_u32_e32 v5, vcc, 0, v3, vcc
	s_waitcnt lgkmcnt(0)
	global_store_dword v[4:5], v0, off offset:2048
	s_or_b64 exec, exec, s[0:1]
	s_and_saveexec_b64 s[0:1], s[24:25]
	s_cbranch_execz .LBB2044_46
.LBB2044_60:
	v_add_co_u32_e32 v2, vcc, 0x1000, v2
	v_addc_co_u32_e32 v3, vcc, 0, v3, vcc
	s_waitcnt lgkmcnt(0)
	global_store_dword v[2:3], v1, off offset:2560
	s_endpgm
	.section	.rodata,"a",@progbits
	.p2align	6, 0x0
	.amdhsa_kernel _ZN7rocprim17ROCPRIM_400000_NS6detail17trampoline_kernelINS0_14default_configENS1_20scan_config_selectorIfEEZZNS1_9scan_implILNS1_25lookback_scan_determinismE0ELb1ELb1ES3_N6thrust23THRUST_200600_302600_NS6detail15normal_iteratorINS9_10device_ptrIfEEEESE_f11max_functorIfEfEEDaPvRmT3_T4_T5_mT6_P12ihipStream_tbENKUlT_T0_E_clISt17integral_constantIbLb1EESU_EEDaSP_SQ_EUlSP_E0_NS1_11comp_targetILNS1_3genE4ELNS1_11target_archE910ELNS1_3gpuE8ELNS1_3repE0EEENS1_30default_config_static_selectorELNS0_4arch9wavefront6targetE1EEEvT1_
		.amdhsa_group_segment_fixed_size 7168
		.amdhsa_private_segment_fixed_size 0
		.amdhsa_kernarg_size 32
		.amdhsa_user_sgpr_count 6
		.amdhsa_user_sgpr_private_segment_buffer 1
		.amdhsa_user_sgpr_dispatch_ptr 0
		.amdhsa_user_sgpr_queue_ptr 0
		.amdhsa_user_sgpr_kernarg_segment_ptr 1
		.amdhsa_user_sgpr_dispatch_id 0
		.amdhsa_user_sgpr_flat_scratch_init 0
		.amdhsa_user_sgpr_kernarg_preload_length 0
		.amdhsa_user_sgpr_kernarg_preload_offset 0
		.amdhsa_user_sgpr_private_segment_size 0
		.amdhsa_uses_dynamic_stack 0
		.amdhsa_system_sgpr_private_segment_wavefront_offset 0
		.amdhsa_system_sgpr_workgroup_id_x 1
		.amdhsa_system_sgpr_workgroup_id_y 0
		.amdhsa_system_sgpr_workgroup_id_z 0
		.amdhsa_system_sgpr_workgroup_info 0
		.amdhsa_system_vgpr_workitem_id 0
		.amdhsa_next_free_vgpr 24
		.amdhsa_next_free_sgpr 40
		.amdhsa_accum_offset 24
		.amdhsa_reserve_vcc 1
		.amdhsa_reserve_flat_scratch 0
		.amdhsa_float_round_mode_32 0
		.amdhsa_float_round_mode_16_64 0
		.amdhsa_float_denorm_mode_32 3
		.amdhsa_float_denorm_mode_16_64 3
		.amdhsa_dx10_clamp 1
		.amdhsa_ieee_mode 1
		.amdhsa_fp16_overflow 0
		.amdhsa_tg_split 0
		.amdhsa_exception_fp_ieee_invalid_op 0
		.amdhsa_exception_fp_denorm_src 0
		.amdhsa_exception_fp_ieee_div_zero 0
		.amdhsa_exception_fp_ieee_overflow 0
		.amdhsa_exception_fp_ieee_underflow 0
		.amdhsa_exception_fp_ieee_inexact 0
		.amdhsa_exception_int_div_zero 0
	.end_amdhsa_kernel
	.section	.text._ZN7rocprim17ROCPRIM_400000_NS6detail17trampoline_kernelINS0_14default_configENS1_20scan_config_selectorIfEEZZNS1_9scan_implILNS1_25lookback_scan_determinismE0ELb1ELb1ES3_N6thrust23THRUST_200600_302600_NS6detail15normal_iteratorINS9_10device_ptrIfEEEESE_f11max_functorIfEfEEDaPvRmT3_T4_T5_mT6_P12ihipStream_tbENKUlT_T0_E_clISt17integral_constantIbLb1EESU_EEDaSP_SQ_EUlSP_E0_NS1_11comp_targetILNS1_3genE4ELNS1_11target_archE910ELNS1_3gpuE8ELNS1_3repE0EEENS1_30default_config_static_selectorELNS0_4arch9wavefront6targetE1EEEvT1_,"axG",@progbits,_ZN7rocprim17ROCPRIM_400000_NS6detail17trampoline_kernelINS0_14default_configENS1_20scan_config_selectorIfEEZZNS1_9scan_implILNS1_25lookback_scan_determinismE0ELb1ELb1ES3_N6thrust23THRUST_200600_302600_NS6detail15normal_iteratorINS9_10device_ptrIfEEEESE_f11max_functorIfEfEEDaPvRmT3_T4_T5_mT6_P12ihipStream_tbENKUlT_T0_E_clISt17integral_constantIbLb1EESU_EEDaSP_SQ_EUlSP_E0_NS1_11comp_targetILNS1_3genE4ELNS1_11target_archE910ELNS1_3gpuE8ELNS1_3repE0EEENS1_30default_config_static_selectorELNS0_4arch9wavefront6targetE1EEEvT1_,comdat
.Lfunc_end2044:
	.size	_ZN7rocprim17ROCPRIM_400000_NS6detail17trampoline_kernelINS0_14default_configENS1_20scan_config_selectorIfEEZZNS1_9scan_implILNS1_25lookback_scan_determinismE0ELb1ELb1ES3_N6thrust23THRUST_200600_302600_NS6detail15normal_iteratorINS9_10device_ptrIfEEEESE_f11max_functorIfEfEEDaPvRmT3_T4_T5_mT6_P12ihipStream_tbENKUlT_T0_E_clISt17integral_constantIbLb1EESU_EEDaSP_SQ_EUlSP_E0_NS1_11comp_targetILNS1_3genE4ELNS1_11target_archE910ELNS1_3gpuE8ELNS1_3repE0EEENS1_30default_config_static_selectorELNS0_4arch9wavefront6targetE1EEEvT1_, .Lfunc_end2044-_ZN7rocprim17ROCPRIM_400000_NS6detail17trampoline_kernelINS0_14default_configENS1_20scan_config_selectorIfEEZZNS1_9scan_implILNS1_25lookback_scan_determinismE0ELb1ELb1ES3_N6thrust23THRUST_200600_302600_NS6detail15normal_iteratorINS9_10device_ptrIfEEEESE_f11max_functorIfEfEEDaPvRmT3_T4_T5_mT6_P12ihipStream_tbENKUlT_T0_E_clISt17integral_constantIbLb1EESU_EEDaSP_SQ_EUlSP_E0_NS1_11comp_targetILNS1_3genE4ELNS1_11target_archE910ELNS1_3gpuE8ELNS1_3repE0EEENS1_30default_config_static_selectorELNS0_4arch9wavefront6targetE1EEEvT1_
                                        ; -- End function
	.section	.AMDGPU.csdata,"",@progbits
; Kernel info:
; codeLenInByte = 2468
; NumSgprs: 44
; NumVgprs: 24
; NumAgprs: 0
; TotalNumVgprs: 24
; ScratchSize: 0
; MemoryBound: 0
; FloatMode: 240
; IeeeMode: 1
; LDSByteSize: 7168 bytes/workgroup (compile time only)
; SGPRBlocks: 5
; VGPRBlocks: 2
; NumSGPRsForWavesPerEU: 44
; NumVGPRsForWavesPerEU: 24
; AccumOffset: 24
; Occupancy: 5
; WaveLimiterHint : 0
; COMPUTE_PGM_RSRC2:SCRATCH_EN: 0
; COMPUTE_PGM_RSRC2:USER_SGPR: 6
; COMPUTE_PGM_RSRC2:TRAP_HANDLER: 0
; COMPUTE_PGM_RSRC2:TGID_X_EN: 1
; COMPUTE_PGM_RSRC2:TGID_Y_EN: 0
; COMPUTE_PGM_RSRC2:TGID_Z_EN: 0
; COMPUTE_PGM_RSRC2:TIDIG_COMP_CNT: 0
; COMPUTE_PGM_RSRC3_GFX90A:ACCUM_OFFSET: 5
; COMPUTE_PGM_RSRC3_GFX90A:TG_SPLIT: 0
	.section	.text._ZN7rocprim17ROCPRIM_400000_NS6detail17trampoline_kernelINS0_14default_configENS1_20scan_config_selectorIfEEZZNS1_9scan_implILNS1_25lookback_scan_determinismE0ELb1ELb1ES3_N6thrust23THRUST_200600_302600_NS6detail15normal_iteratorINS9_10device_ptrIfEEEESE_f11max_functorIfEfEEDaPvRmT3_T4_T5_mT6_P12ihipStream_tbENKUlT_T0_E_clISt17integral_constantIbLb1EESU_EEDaSP_SQ_EUlSP_E0_NS1_11comp_targetILNS1_3genE3ELNS1_11target_archE908ELNS1_3gpuE7ELNS1_3repE0EEENS1_30default_config_static_selectorELNS0_4arch9wavefront6targetE1EEEvT1_,"axG",@progbits,_ZN7rocprim17ROCPRIM_400000_NS6detail17trampoline_kernelINS0_14default_configENS1_20scan_config_selectorIfEEZZNS1_9scan_implILNS1_25lookback_scan_determinismE0ELb1ELb1ES3_N6thrust23THRUST_200600_302600_NS6detail15normal_iteratorINS9_10device_ptrIfEEEESE_f11max_functorIfEfEEDaPvRmT3_T4_T5_mT6_P12ihipStream_tbENKUlT_T0_E_clISt17integral_constantIbLb1EESU_EEDaSP_SQ_EUlSP_E0_NS1_11comp_targetILNS1_3genE3ELNS1_11target_archE908ELNS1_3gpuE7ELNS1_3repE0EEENS1_30default_config_static_selectorELNS0_4arch9wavefront6targetE1EEEvT1_,comdat
	.protected	_ZN7rocprim17ROCPRIM_400000_NS6detail17trampoline_kernelINS0_14default_configENS1_20scan_config_selectorIfEEZZNS1_9scan_implILNS1_25lookback_scan_determinismE0ELb1ELb1ES3_N6thrust23THRUST_200600_302600_NS6detail15normal_iteratorINS9_10device_ptrIfEEEESE_f11max_functorIfEfEEDaPvRmT3_T4_T5_mT6_P12ihipStream_tbENKUlT_T0_E_clISt17integral_constantIbLb1EESU_EEDaSP_SQ_EUlSP_E0_NS1_11comp_targetILNS1_3genE3ELNS1_11target_archE908ELNS1_3gpuE7ELNS1_3repE0EEENS1_30default_config_static_selectorELNS0_4arch9wavefront6targetE1EEEvT1_ ; -- Begin function _ZN7rocprim17ROCPRIM_400000_NS6detail17trampoline_kernelINS0_14default_configENS1_20scan_config_selectorIfEEZZNS1_9scan_implILNS1_25lookback_scan_determinismE0ELb1ELb1ES3_N6thrust23THRUST_200600_302600_NS6detail15normal_iteratorINS9_10device_ptrIfEEEESE_f11max_functorIfEfEEDaPvRmT3_T4_T5_mT6_P12ihipStream_tbENKUlT_T0_E_clISt17integral_constantIbLb1EESU_EEDaSP_SQ_EUlSP_E0_NS1_11comp_targetILNS1_3genE3ELNS1_11target_archE908ELNS1_3gpuE7ELNS1_3repE0EEENS1_30default_config_static_selectorELNS0_4arch9wavefront6targetE1EEEvT1_
	.globl	_ZN7rocprim17ROCPRIM_400000_NS6detail17trampoline_kernelINS0_14default_configENS1_20scan_config_selectorIfEEZZNS1_9scan_implILNS1_25lookback_scan_determinismE0ELb1ELb1ES3_N6thrust23THRUST_200600_302600_NS6detail15normal_iteratorINS9_10device_ptrIfEEEESE_f11max_functorIfEfEEDaPvRmT3_T4_T5_mT6_P12ihipStream_tbENKUlT_T0_E_clISt17integral_constantIbLb1EESU_EEDaSP_SQ_EUlSP_E0_NS1_11comp_targetILNS1_3genE3ELNS1_11target_archE908ELNS1_3gpuE7ELNS1_3repE0EEENS1_30default_config_static_selectorELNS0_4arch9wavefront6targetE1EEEvT1_
	.p2align	8
	.type	_ZN7rocprim17ROCPRIM_400000_NS6detail17trampoline_kernelINS0_14default_configENS1_20scan_config_selectorIfEEZZNS1_9scan_implILNS1_25lookback_scan_determinismE0ELb1ELb1ES3_N6thrust23THRUST_200600_302600_NS6detail15normal_iteratorINS9_10device_ptrIfEEEESE_f11max_functorIfEfEEDaPvRmT3_T4_T5_mT6_P12ihipStream_tbENKUlT_T0_E_clISt17integral_constantIbLb1EESU_EEDaSP_SQ_EUlSP_E0_NS1_11comp_targetILNS1_3genE3ELNS1_11target_archE908ELNS1_3gpuE7ELNS1_3repE0EEENS1_30default_config_static_selectorELNS0_4arch9wavefront6targetE1EEEvT1_,@function
_ZN7rocprim17ROCPRIM_400000_NS6detail17trampoline_kernelINS0_14default_configENS1_20scan_config_selectorIfEEZZNS1_9scan_implILNS1_25lookback_scan_determinismE0ELb1ELb1ES3_N6thrust23THRUST_200600_302600_NS6detail15normal_iteratorINS9_10device_ptrIfEEEESE_f11max_functorIfEfEEDaPvRmT3_T4_T5_mT6_P12ihipStream_tbENKUlT_T0_E_clISt17integral_constantIbLb1EESU_EEDaSP_SQ_EUlSP_E0_NS1_11comp_targetILNS1_3genE3ELNS1_11target_archE908ELNS1_3gpuE7ELNS1_3repE0EEENS1_30default_config_static_selectorELNS0_4arch9wavefront6targetE1EEEvT1_: ; @_ZN7rocprim17ROCPRIM_400000_NS6detail17trampoline_kernelINS0_14default_configENS1_20scan_config_selectorIfEEZZNS1_9scan_implILNS1_25lookback_scan_determinismE0ELb1ELb1ES3_N6thrust23THRUST_200600_302600_NS6detail15normal_iteratorINS9_10device_ptrIfEEEESE_f11max_functorIfEfEEDaPvRmT3_T4_T5_mT6_P12ihipStream_tbENKUlT_T0_E_clISt17integral_constantIbLb1EESU_EEDaSP_SQ_EUlSP_E0_NS1_11comp_targetILNS1_3genE3ELNS1_11target_archE908ELNS1_3gpuE7ELNS1_3repE0EEENS1_30default_config_static_selectorELNS0_4arch9wavefront6targetE1EEEvT1_
; %bb.0:
	.section	.rodata,"a",@progbits
	.p2align	6, 0x0
	.amdhsa_kernel _ZN7rocprim17ROCPRIM_400000_NS6detail17trampoline_kernelINS0_14default_configENS1_20scan_config_selectorIfEEZZNS1_9scan_implILNS1_25lookback_scan_determinismE0ELb1ELb1ES3_N6thrust23THRUST_200600_302600_NS6detail15normal_iteratorINS9_10device_ptrIfEEEESE_f11max_functorIfEfEEDaPvRmT3_T4_T5_mT6_P12ihipStream_tbENKUlT_T0_E_clISt17integral_constantIbLb1EESU_EEDaSP_SQ_EUlSP_E0_NS1_11comp_targetILNS1_3genE3ELNS1_11target_archE908ELNS1_3gpuE7ELNS1_3repE0EEENS1_30default_config_static_selectorELNS0_4arch9wavefront6targetE1EEEvT1_
		.amdhsa_group_segment_fixed_size 0
		.amdhsa_private_segment_fixed_size 0
		.amdhsa_kernarg_size 32
		.amdhsa_user_sgpr_count 6
		.amdhsa_user_sgpr_private_segment_buffer 1
		.amdhsa_user_sgpr_dispatch_ptr 0
		.amdhsa_user_sgpr_queue_ptr 0
		.amdhsa_user_sgpr_kernarg_segment_ptr 1
		.amdhsa_user_sgpr_dispatch_id 0
		.amdhsa_user_sgpr_flat_scratch_init 0
		.amdhsa_user_sgpr_kernarg_preload_length 0
		.amdhsa_user_sgpr_kernarg_preload_offset 0
		.amdhsa_user_sgpr_private_segment_size 0
		.amdhsa_uses_dynamic_stack 0
		.amdhsa_system_sgpr_private_segment_wavefront_offset 0
		.amdhsa_system_sgpr_workgroup_id_x 1
		.amdhsa_system_sgpr_workgroup_id_y 0
		.amdhsa_system_sgpr_workgroup_id_z 0
		.amdhsa_system_sgpr_workgroup_info 0
		.amdhsa_system_vgpr_workitem_id 0
		.amdhsa_next_free_vgpr 1
		.amdhsa_next_free_sgpr 0
		.amdhsa_accum_offset 4
		.amdhsa_reserve_vcc 0
		.amdhsa_reserve_flat_scratch 0
		.amdhsa_float_round_mode_32 0
		.amdhsa_float_round_mode_16_64 0
		.amdhsa_float_denorm_mode_32 3
		.amdhsa_float_denorm_mode_16_64 3
		.amdhsa_dx10_clamp 1
		.amdhsa_ieee_mode 1
		.amdhsa_fp16_overflow 0
		.amdhsa_tg_split 0
		.amdhsa_exception_fp_ieee_invalid_op 0
		.amdhsa_exception_fp_denorm_src 0
		.amdhsa_exception_fp_ieee_div_zero 0
		.amdhsa_exception_fp_ieee_overflow 0
		.amdhsa_exception_fp_ieee_underflow 0
		.amdhsa_exception_fp_ieee_inexact 0
		.amdhsa_exception_int_div_zero 0
	.end_amdhsa_kernel
	.section	.text._ZN7rocprim17ROCPRIM_400000_NS6detail17trampoline_kernelINS0_14default_configENS1_20scan_config_selectorIfEEZZNS1_9scan_implILNS1_25lookback_scan_determinismE0ELb1ELb1ES3_N6thrust23THRUST_200600_302600_NS6detail15normal_iteratorINS9_10device_ptrIfEEEESE_f11max_functorIfEfEEDaPvRmT3_T4_T5_mT6_P12ihipStream_tbENKUlT_T0_E_clISt17integral_constantIbLb1EESU_EEDaSP_SQ_EUlSP_E0_NS1_11comp_targetILNS1_3genE3ELNS1_11target_archE908ELNS1_3gpuE7ELNS1_3repE0EEENS1_30default_config_static_selectorELNS0_4arch9wavefront6targetE1EEEvT1_,"axG",@progbits,_ZN7rocprim17ROCPRIM_400000_NS6detail17trampoline_kernelINS0_14default_configENS1_20scan_config_selectorIfEEZZNS1_9scan_implILNS1_25lookback_scan_determinismE0ELb1ELb1ES3_N6thrust23THRUST_200600_302600_NS6detail15normal_iteratorINS9_10device_ptrIfEEEESE_f11max_functorIfEfEEDaPvRmT3_T4_T5_mT6_P12ihipStream_tbENKUlT_T0_E_clISt17integral_constantIbLb1EESU_EEDaSP_SQ_EUlSP_E0_NS1_11comp_targetILNS1_3genE3ELNS1_11target_archE908ELNS1_3gpuE7ELNS1_3repE0EEENS1_30default_config_static_selectorELNS0_4arch9wavefront6targetE1EEEvT1_,comdat
.Lfunc_end2045:
	.size	_ZN7rocprim17ROCPRIM_400000_NS6detail17trampoline_kernelINS0_14default_configENS1_20scan_config_selectorIfEEZZNS1_9scan_implILNS1_25lookback_scan_determinismE0ELb1ELb1ES3_N6thrust23THRUST_200600_302600_NS6detail15normal_iteratorINS9_10device_ptrIfEEEESE_f11max_functorIfEfEEDaPvRmT3_T4_T5_mT6_P12ihipStream_tbENKUlT_T0_E_clISt17integral_constantIbLb1EESU_EEDaSP_SQ_EUlSP_E0_NS1_11comp_targetILNS1_3genE3ELNS1_11target_archE908ELNS1_3gpuE7ELNS1_3repE0EEENS1_30default_config_static_selectorELNS0_4arch9wavefront6targetE1EEEvT1_, .Lfunc_end2045-_ZN7rocprim17ROCPRIM_400000_NS6detail17trampoline_kernelINS0_14default_configENS1_20scan_config_selectorIfEEZZNS1_9scan_implILNS1_25lookback_scan_determinismE0ELb1ELb1ES3_N6thrust23THRUST_200600_302600_NS6detail15normal_iteratorINS9_10device_ptrIfEEEESE_f11max_functorIfEfEEDaPvRmT3_T4_T5_mT6_P12ihipStream_tbENKUlT_T0_E_clISt17integral_constantIbLb1EESU_EEDaSP_SQ_EUlSP_E0_NS1_11comp_targetILNS1_3genE3ELNS1_11target_archE908ELNS1_3gpuE7ELNS1_3repE0EEENS1_30default_config_static_selectorELNS0_4arch9wavefront6targetE1EEEvT1_
                                        ; -- End function
	.section	.AMDGPU.csdata,"",@progbits
; Kernel info:
; codeLenInByte = 0
; NumSgprs: 4
; NumVgprs: 0
; NumAgprs: 0
; TotalNumVgprs: 0
; ScratchSize: 0
; MemoryBound: 0
; FloatMode: 240
; IeeeMode: 1
; LDSByteSize: 0 bytes/workgroup (compile time only)
; SGPRBlocks: 0
; VGPRBlocks: 0
; NumSGPRsForWavesPerEU: 4
; NumVGPRsForWavesPerEU: 1
; AccumOffset: 4
; Occupancy: 8
; WaveLimiterHint : 0
; COMPUTE_PGM_RSRC2:SCRATCH_EN: 0
; COMPUTE_PGM_RSRC2:USER_SGPR: 6
; COMPUTE_PGM_RSRC2:TRAP_HANDLER: 0
; COMPUTE_PGM_RSRC2:TGID_X_EN: 1
; COMPUTE_PGM_RSRC2:TGID_Y_EN: 0
; COMPUTE_PGM_RSRC2:TGID_Z_EN: 0
; COMPUTE_PGM_RSRC2:TIDIG_COMP_CNT: 0
; COMPUTE_PGM_RSRC3_GFX90A:ACCUM_OFFSET: 0
; COMPUTE_PGM_RSRC3_GFX90A:TG_SPLIT: 0
	.section	.text._ZN7rocprim17ROCPRIM_400000_NS6detail17trampoline_kernelINS0_14default_configENS1_20scan_config_selectorIfEEZZNS1_9scan_implILNS1_25lookback_scan_determinismE0ELb1ELb1ES3_N6thrust23THRUST_200600_302600_NS6detail15normal_iteratorINS9_10device_ptrIfEEEESE_f11max_functorIfEfEEDaPvRmT3_T4_T5_mT6_P12ihipStream_tbENKUlT_T0_E_clISt17integral_constantIbLb1EESU_EEDaSP_SQ_EUlSP_E0_NS1_11comp_targetILNS1_3genE2ELNS1_11target_archE906ELNS1_3gpuE6ELNS1_3repE0EEENS1_30default_config_static_selectorELNS0_4arch9wavefront6targetE1EEEvT1_,"axG",@progbits,_ZN7rocprim17ROCPRIM_400000_NS6detail17trampoline_kernelINS0_14default_configENS1_20scan_config_selectorIfEEZZNS1_9scan_implILNS1_25lookback_scan_determinismE0ELb1ELb1ES3_N6thrust23THRUST_200600_302600_NS6detail15normal_iteratorINS9_10device_ptrIfEEEESE_f11max_functorIfEfEEDaPvRmT3_T4_T5_mT6_P12ihipStream_tbENKUlT_T0_E_clISt17integral_constantIbLb1EESU_EEDaSP_SQ_EUlSP_E0_NS1_11comp_targetILNS1_3genE2ELNS1_11target_archE906ELNS1_3gpuE6ELNS1_3repE0EEENS1_30default_config_static_selectorELNS0_4arch9wavefront6targetE1EEEvT1_,comdat
	.protected	_ZN7rocprim17ROCPRIM_400000_NS6detail17trampoline_kernelINS0_14default_configENS1_20scan_config_selectorIfEEZZNS1_9scan_implILNS1_25lookback_scan_determinismE0ELb1ELb1ES3_N6thrust23THRUST_200600_302600_NS6detail15normal_iteratorINS9_10device_ptrIfEEEESE_f11max_functorIfEfEEDaPvRmT3_T4_T5_mT6_P12ihipStream_tbENKUlT_T0_E_clISt17integral_constantIbLb1EESU_EEDaSP_SQ_EUlSP_E0_NS1_11comp_targetILNS1_3genE2ELNS1_11target_archE906ELNS1_3gpuE6ELNS1_3repE0EEENS1_30default_config_static_selectorELNS0_4arch9wavefront6targetE1EEEvT1_ ; -- Begin function _ZN7rocprim17ROCPRIM_400000_NS6detail17trampoline_kernelINS0_14default_configENS1_20scan_config_selectorIfEEZZNS1_9scan_implILNS1_25lookback_scan_determinismE0ELb1ELb1ES3_N6thrust23THRUST_200600_302600_NS6detail15normal_iteratorINS9_10device_ptrIfEEEESE_f11max_functorIfEfEEDaPvRmT3_T4_T5_mT6_P12ihipStream_tbENKUlT_T0_E_clISt17integral_constantIbLb1EESU_EEDaSP_SQ_EUlSP_E0_NS1_11comp_targetILNS1_3genE2ELNS1_11target_archE906ELNS1_3gpuE6ELNS1_3repE0EEENS1_30default_config_static_selectorELNS0_4arch9wavefront6targetE1EEEvT1_
	.globl	_ZN7rocprim17ROCPRIM_400000_NS6detail17trampoline_kernelINS0_14default_configENS1_20scan_config_selectorIfEEZZNS1_9scan_implILNS1_25lookback_scan_determinismE0ELb1ELb1ES3_N6thrust23THRUST_200600_302600_NS6detail15normal_iteratorINS9_10device_ptrIfEEEESE_f11max_functorIfEfEEDaPvRmT3_T4_T5_mT6_P12ihipStream_tbENKUlT_T0_E_clISt17integral_constantIbLb1EESU_EEDaSP_SQ_EUlSP_E0_NS1_11comp_targetILNS1_3genE2ELNS1_11target_archE906ELNS1_3gpuE6ELNS1_3repE0EEENS1_30default_config_static_selectorELNS0_4arch9wavefront6targetE1EEEvT1_
	.p2align	8
	.type	_ZN7rocprim17ROCPRIM_400000_NS6detail17trampoline_kernelINS0_14default_configENS1_20scan_config_selectorIfEEZZNS1_9scan_implILNS1_25lookback_scan_determinismE0ELb1ELb1ES3_N6thrust23THRUST_200600_302600_NS6detail15normal_iteratorINS9_10device_ptrIfEEEESE_f11max_functorIfEfEEDaPvRmT3_T4_T5_mT6_P12ihipStream_tbENKUlT_T0_E_clISt17integral_constantIbLb1EESU_EEDaSP_SQ_EUlSP_E0_NS1_11comp_targetILNS1_3genE2ELNS1_11target_archE906ELNS1_3gpuE6ELNS1_3repE0EEENS1_30default_config_static_selectorELNS0_4arch9wavefront6targetE1EEEvT1_,@function
_ZN7rocprim17ROCPRIM_400000_NS6detail17trampoline_kernelINS0_14default_configENS1_20scan_config_selectorIfEEZZNS1_9scan_implILNS1_25lookback_scan_determinismE0ELb1ELb1ES3_N6thrust23THRUST_200600_302600_NS6detail15normal_iteratorINS9_10device_ptrIfEEEESE_f11max_functorIfEfEEDaPvRmT3_T4_T5_mT6_P12ihipStream_tbENKUlT_T0_E_clISt17integral_constantIbLb1EESU_EEDaSP_SQ_EUlSP_E0_NS1_11comp_targetILNS1_3genE2ELNS1_11target_archE906ELNS1_3gpuE6ELNS1_3repE0EEENS1_30default_config_static_selectorELNS0_4arch9wavefront6targetE1EEEvT1_: ; @_ZN7rocprim17ROCPRIM_400000_NS6detail17trampoline_kernelINS0_14default_configENS1_20scan_config_selectorIfEEZZNS1_9scan_implILNS1_25lookback_scan_determinismE0ELb1ELb1ES3_N6thrust23THRUST_200600_302600_NS6detail15normal_iteratorINS9_10device_ptrIfEEEESE_f11max_functorIfEfEEDaPvRmT3_T4_T5_mT6_P12ihipStream_tbENKUlT_T0_E_clISt17integral_constantIbLb1EESU_EEDaSP_SQ_EUlSP_E0_NS1_11comp_targetILNS1_3genE2ELNS1_11target_archE906ELNS1_3gpuE6ELNS1_3repE0EEENS1_30default_config_static_selectorELNS0_4arch9wavefront6targetE1EEEvT1_
; %bb.0:
	.section	.rodata,"a",@progbits
	.p2align	6, 0x0
	.amdhsa_kernel _ZN7rocprim17ROCPRIM_400000_NS6detail17trampoline_kernelINS0_14default_configENS1_20scan_config_selectorIfEEZZNS1_9scan_implILNS1_25lookback_scan_determinismE0ELb1ELb1ES3_N6thrust23THRUST_200600_302600_NS6detail15normal_iteratorINS9_10device_ptrIfEEEESE_f11max_functorIfEfEEDaPvRmT3_T4_T5_mT6_P12ihipStream_tbENKUlT_T0_E_clISt17integral_constantIbLb1EESU_EEDaSP_SQ_EUlSP_E0_NS1_11comp_targetILNS1_3genE2ELNS1_11target_archE906ELNS1_3gpuE6ELNS1_3repE0EEENS1_30default_config_static_selectorELNS0_4arch9wavefront6targetE1EEEvT1_
		.amdhsa_group_segment_fixed_size 0
		.amdhsa_private_segment_fixed_size 0
		.amdhsa_kernarg_size 32
		.amdhsa_user_sgpr_count 6
		.amdhsa_user_sgpr_private_segment_buffer 1
		.amdhsa_user_sgpr_dispatch_ptr 0
		.amdhsa_user_sgpr_queue_ptr 0
		.amdhsa_user_sgpr_kernarg_segment_ptr 1
		.amdhsa_user_sgpr_dispatch_id 0
		.amdhsa_user_sgpr_flat_scratch_init 0
		.amdhsa_user_sgpr_kernarg_preload_length 0
		.amdhsa_user_sgpr_kernarg_preload_offset 0
		.amdhsa_user_sgpr_private_segment_size 0
		.amdhsa_uses_dynamic_stack 0
		.amdhsa_system_sgpr_private_segment_wavefront_offset 0
		.amdhsa_system_sgpr_workgroup_id_x 1
		.amdhsa_system_sgpr_workgroup_id_y 0
		.amdhsa_system_sgpr_workgroup_id_z 0
		.amdhsa_system_sgpr_workgroup_info 0
		.amdhsa_system_vgpr_workitem_id 0
		.amdhsa_next_free_vgpr 1
		.amdhsa_next_free_sgpr 0
		.amdhsa_accum_offset 4
		.amdhsa_reserve_vcc 0
		.amdhsa_reserve_flat_scratch 0
		.amdhsa_float_round_mode_32 0
		.amdhsa_float_round_mode_16_64 0
		.amdhsa_float_denorm_mode_32 3
		.amdhsa_float_denorm_mode_16_64 3
		.amdhsa_dx10_clamp 1
		.amdhsa_ieee_mode 1
		.amdhsa_fp16_overflow 0
		.amdhsa_tg_split 0
		.amdhsa_exception_fp_ieee_invalid_op 0
		.amdhsa_exception_fp_denorm_src 0
		.amdhsa_exception_fp_ieee_div_zero 0
		.amdhsa_exception_fp_ieee_overflow 0
		.amdhsa_exception_fp_ieee_underflow 0
		.amdhsa_exception_fp_ieee_inexact 0
		.amdhsa_exception_int_div_zero 0
	.end_amdhsa_kernel
	.section	.text._ZN7rocprim17ROCPRIM_400000_NS6detail17trampoline_kernelINS0_14default_configENS1_20scan_config_selectorIfEEZZNS1_9scan_implILNS1_25lookback_scan_determinismE0ELb1ELb1ES3_N6thrust23THRUST_200600_302600_NS6detail15normal_iteratorINS9_10device_ptrIfEEEESE_f11max_functorIfEfEEDaPvRmT3_T4_T5_mT6_P12ihipStream_tbENKUlT_T0_E_clISt17integral_constantIbLb1EESU_EEDaSP_SQ_EUlSP_E0_NS1_11comp_targetILNS1_3genE2ELNS1_11target_archE906ELNS1_3gpuE6ELNS1_3repE0EEENS1_30default_config_static_selectorELNS0_4arch9wavefront6targetE1EEEvT1_,"axG",@progbits,_ZN7rocprim17ROCPRIM_400000_NS6detail17trampoline_kernelINS0_14default_configENS1_20scan_config_selectorIfEEZZNS1_9scan_implILNS1_25lookback_scan_determinismE0ELb1ELb1ES3_N6thrust23THRUST_200600_302600_NS6detail15normal_iteratorINS9_10device_ptrIfEEEESE_f11max_functorIfEfEEDaPvRmT3_T4_T5_mT6_P12ihipStream_tbENKUlT_T0_E_clISt17integral_constantIbLb1EESU_EEDaSP_SQ_EUlSP_E0_NS1_11comp_targetILNS1_3genE2ELNS1_11target_archE906ELNS1_3gpuE6ELNS1_3repE0EEENS1_30default_config_static_selectorELNS0_4arch9wavefront6targetE1EEEvT1_,comdat
.Lfunc_end2046:
	.size	_ZN7rocprim17ROCPRIM_400000_NS6detail17trampoline_kernelINS0_14default_configENS1_20scan_config_selectorIfEEZZNS1_9scan_implILNS1_25lookback_scan_determinismE0ELb1ELb1ES3_N6thrust23THRUST_200600_302600_NS6detail15normal_iteratorINS9_10device_ptrIfEEEESE_f11max_functorIfEfEEDaPvRmT3_T4_T5_mT6_P12ihipStream_tbENKUlT_T0_E_clISt17integral_constantIbLb1EESU_EEDaSP_SQ_EUlSP_E0_NS1_11comp_targetILNS1_3genE2ELNS1_11target_archE906ELNS1_3gpuE6ELNS1_3repE0EEENS1_30default_config_static_selectorELNS0_4arch9wavefront6targetE1EEEvT1_, .Lfunc_end2046-_ZN7rocprim17ROCPRIM_400000_NS6detail17trampoline_kernelINS0_14default_configENS1_20scan_config_selectorIfEEZZNS1_9scan_implILNS1_25lookback_scan_determinismE0ELb1ELb1ES3_N6thrust23THRUST_200600_302600_NS6detail15normal_iteratorINS9_10device_ptrIfEEEESE_f11max_functorIfEfEEDaPvRmT3_T4_T5_mT6_P12ihipStream_tbENKUlT_T0_E_clISt17integral_constantIbLb1EESU_EEDaSP_SQ_EUlSP_E0_NS1_11comp_targetILNS1_3genE2ELNS1_11target_archE906ELNS1_3gpuE6ELNS1_3repE0EEENS1_30default_config_static_selectorELNS0_4arch9wavefront6targetE1EEEvT1_
                                        ; -- End function
	.section	.AMDGPU.csdata,"",@progbits
; Kernel info:
; codeLenInByte = 0
; NumSgprs: 4
; NumVgprs: 0
; NumAgprs: 0
; TotalNumVgprs: 0
; ScratchSize: 0
; MemoryBound: 0
; FloatMode: 240
; IeeeMode: 1
; LDSByteSize: 0 bytes/workgroup (compile time only)
; SGPRBlocks: 0
; VGPRBlocks: 0
; NumSGPRsForWavesPerEU: 4
; NumVGPRsForWavesPerEU: 1
; AccumOffset: 4
; Occupancy: 8
; WaveLimiterHint : 0
; COMPUTE_PGM_RSRC2:SCRATCH_EN: 0
; COMPUTE_PGM_RSRC2:USER_SGPR: 6
; COMPUTE_PGM_RSRC2:TRAP_HANDLER: 0
; COMPUTE_PGM_RSRC2:TGID_X_EN: 1
; COMPUTE_PGM_RSRC2:TGID_Y_EN: 0
; COMPUTE_PGM_RSRC2:TGID_Z_EN: 0
; COMPUTE_PGM_RSRC2:TIDIG_COMP_CNT: 0
; COMPUTE_PGM_RSRC3_GFX90A:ACCUM_OFFSET: 0
; COMPUTE_PGM_RSRC3_GFX90A:TG_SPLIT: 0
	.section	.text._ZN7rocprim17ROCPRIM_400000_NS6detail17trampoline_kernelINS0_14default_configENS1_20scan_config_selectorIfEEZZNS1_9scan_implILNS1_25lookback_scan_determinismE0ELb1ELb1ES3_N6thrust23THRUST_200600_302600_NS6detail15normal_iteratorINS9_10device_ptrIfEEEESE_f11max_functorIfEfEEDaPvRmT3_T4_T5_mT6_P12ihipStream_tbENKUlT_T0_E_clISt17integral_constantIbLb1EESU_EEDaSP_SQ_EUlSP_E0_NS1_11comp_targetILNS1_3genE10ELNS1_11target_archE1201ELNS1_3gpuE5ELNS1_3repE0EEENS1_30default_config_static_selectorELNS0_4arch9wavefront6targetE1EEEvT1_,"axG",@progbits,_ZN7rocprim17ROCPRIM_400000_NS6detail17trampoline_kernelINS0_14default_configENS1_20scan_config_selectorIfEEZZNS1_9scan_implILNS1_25lookback_scan_determinismE0ELb1ELb1ES3_N6thrust23THRUST_200600_302600_NS6detail15normal_iteratorINS9_10device_ptrIfEEEESE_f11max_functorIfEfEEDaPvRmT3_T4_T5_mT6_P12ihipStream_tbENKUlT_T0_E_clISt17integral_constantIbLb1EESU_EEDaSP_SQ_EUlSP_E0_NS1_11comp_targetILNS1_3genE10ELNS1_11target_archE1201ELNS1_3gpuE5ELNS1_3repE0EEENS1_30default_config_static_selectorELNS0_4arch9wavefront6targetE1EEEvT1_,comdat
	.protected	_ZN7rocprim17ROCPRIM_400000_NS6detail17trampoline_kernelINS0_14default_configENS1_20scan_config_selectorIfEEZZNS1_9scan_implILNS1_25lookback_scan_determinismE0ELb1ELb1ES3_N6thrust23THRUST_200600_302600_NS6detail15normal_iteratorINS9_10device_ptrIfEEEESE_f11max_functorIfEfEEDaPvRmT3_T4_T5_mT6_P12ihipStream_tbENKUlT_T0_E_clISt17integral_constantIbLb1EESU_EEDaSP_SQ_EUlSP_E0_NS1_11comp_targetILNS1_3genE10ELNS1_11target_archE1201ELNS1_3gpuE5ELNS1_3repE0EEENS1_30default_config_static_selectorELNS0_4arch9wavefront6targetE1EEEvT1_ ; -- Begin function _ZN7rocprim17ROCPRIM_400000_NS6detail17trampoline_kernelINS0_14default_configENS1_20scan_config_selectorIfEEZZNS1_9scan_implILNS1_25lookback_scan_determinismE0ELb1ELb1ES3_N6thrust23THRUST_200600_302600_NS6detail15normal_iteratorINS9_10device_ptrIfEEEESE_f11max_functorIfEfEEDaPvRmT3_T4_T5_mT6_P12ihipStream_tbENKUlT_T0_E_clISt17integral_constantIbLb1EESU_EEDaSP_SQ_EUlSP_E0_NS1_11comp_targetILNS1_3genE10ELNS1_11target_archE1201ELNS1_3gpuE5ELNS1_3repE0EEENS1_30default_config_static_selectorELNS0_4arch9wavefront6targetE1EEEvT1_
	.globl	_ZN7rocprim17ROCPRIM_400000_NS6detail17trampoline_kernelINS0_14default_configENS1_20scan_config_selectorIfEEZZNS1_9scan_implILNS1_25lookback_scan_determinismE0ELb1ELb1ES3_N6thrust23THRUST_200600_302600_NS6detail15normal_iteratorINS9_10device_ptrIfEEEESE_f11max_functorIfEfEEDaPvRmT3_T4_T5_mT6_P12ihipStream_tbENKUlT_T0_E_clISt17integral_constantIbLb1EESU_EEDaSP_SQ_EUlSP_E0_NS1_11comp_targetILNS1_3genE10ELNS1_11target_archE1201ELNS1_3gpuE5ELNS1_3repE0EEENS1_30default_config_static_selectorELNS0_4arch9wavefront6targetE1EEEvT1_
	.p2align	8
	.type	_ZN7rocprim17ROCPRIM_400000_NS6detail17trampoline_kernelINS0_14default_configENS1_20scan_config_selectorIfEEZZNS1_9scan_implILNS1_25lookback_scan_determinismE0ELb1ELb1ES3_N6thrust23THRUST_200600_302600_NS6detail15normal_iteratorINS9_10device_ptrIfEEEESE_f11max_functorIfEfEEDaPvRmT3_T4_T5_mT6_P12ihipStream_tbENKUlT_T0_E_clISt17integral_constantIbLb1EESU_EEDaSP_SQ_EUlSP_E0_NS1_11comp_targetILNS1_3genE10ELNS1_11target_archE1201ELNS1_3gpuE5ELNS1_3repE0EEENS1_30default_config_static_selectorELNS0_4arch9wavefront6targetE1EEEvT1_,@function
_ZN7rocprim17ROCPRIM_400000_NS6detail17trampoline_kernelINS0_14default_configENS1_20scan_config_selectorIfEEZZNS1_9scan_implILNS1_25lookback_scan_determinismE0ELb1ELb1ES3_N6thrust23THRUST_200600_302600_NS6detail15normal_iteratorINS9_10device_ptrIfEEEESE_f11max_functorIfEfEEDaPvRmT3_T4_T5_mT6_P12ihipStream_tbENKUlT_T0_E_clISt17integral_constantIbLb1EESU_EEDaSP_SQ_EUlSP_E0_NS1_11comp_targetILNS1_3genE10ELNS1_11target_archE1201ELNS1_3gpuE5ELNS1_3repE0EEENS1_30default_config_static_selectorELNS0_4arch9wavefront6targetE1EEEvT1_: ; @_ZN7rocprim17ROCPRIM_400000_NS6detail17trampoline_kernelINS0_14default_configENS1_20scan_config_selectorIfEEZZNS1_9scan_implILNS1_25lookback_scan_determinismE0ELb1ELb1ES3_N6thrust23THRUST_200600_302600_NS6detail15normal_iteratorINS9_10device_ptrIfEEEESE_f11max_functorIfEfEEDaPvRmT3_T4_T5_mT6_P12ihipStream_tbENKUlT_T0_E_clISt17integral_constantIbLb1EESU_EEDaSP_SQ_EUlSP_E0_NS1_11comp_targetILNS1_3genE10ELNS1_11target_archE1201ELNS1_3gpuE5ELNS1_3repE0EEENS1_30default_config_static_selectorELNS0_4arch9wavefront6targetE1EEEvT1_
; %bb.0:
	.section	.rodata,"a",@progbits
	.p2align	6, 0x0
	.amdhsa_kernel _ZN7rocprim17ROCPRIM_400000_NS6detail17trampoline_kernelINS0_14default_configENS1_20scan_config_selectorIfEEZZNS1_9scan_implILNS1_25lookback_scan_determinismE0ELb1ELb1ES3_N6thrust23THRUST_200600_302600_NS6detail15normal_iteratorINS9_10device_ptrIfEEEESE_f11max_functorIfEfEEDaPvRmT3_T4_T5_mT6_P12ihipStream_tbENKUlT_T0_E_clISt17integral_constantIbLb1EESU_EEDaSP_SQ_EUlSP_E0_NS1_11comp_targetILNS1_3genE10ELNS1_11target_archE1201ELNS1_3gpuE5ELNS1_3repE0EEENS1_30default_config_static_selectorELNS0_4arch9wavefront6targetE1EEEvT1_
		.amdhsa_group_segment_fixed_size 0
		.amdhsa_private_segment_fixed_size 0
		.amdhsa_kernarg_size 32
		.amdhsa_user_sgpr_count 6
		.amdhsa_user_sgpr_private_segment_buffer 1
		.amdhsa_user_sgpr_dispatch_ptr 0
		.amdhsa_user_sgpr_queue_ptr 0
		.amdhsa_user_sgpr_kernarg_segment_ptr 1
		.amdhsa_user_sgpr_dispatch_id 0
		.amdhsa_user_sgpr_flat_scratch_init 0
		.amdhsa_user_sgpr_kernarg_preload_length 0
		.amdhsa_user_sgpr_kernarg_preload_offset 0
		.amdhsa_user_sgpr_private_segment_size 0
		.amdhsa_uses_dynamic_stack 0
		.amdhsa_system_sgpr_private_segment_wavefront_offset 0
		.amdhsa_system_sgpr_workgroup_id_x 1
		.amdhsa_system_sgpr_workgroup_id_y 0
		.amdhsa_system_sgpr_workgroup_id_z 0
		.amdhsa_system_sgpr_workgroup_info 0
		.amdhsa_system_vgpr_workitem_id 0
		.amdhsa_next_free_vgpr 1
		.amdhsa_next_free_sgpr 0
		.amdhsa_accum_offset 4
		.amdhsa_reserve_vcc 0
		.amdhsa_reserve_flat_scratch 0
		.amdhsa_float_round_mode_32 0
		.amdhsa_float_round_mode_16_64 0
		.amdhsa_float_denorm_mode_32 3
		.amdhsa_float_denorm_mode_16_64 3
		.amdhsa_dx10_clamp 1
		.amdhsa_ieee_mode 1
		.amdhsa_fp16_overflow 0
		.amdhsa_tg_split 0
		.amdhsa_exception_fp_ieee_invalid_op 0
		.amdhsa_exception_fp_denorm_src 0
		.amdhsa_exception_fp_ieee_div_zero 0
		.amdhsa_exception_fp_ieee_overflow 0
		.amdhsa_exception_fp_ieee_underflow 0
		.amdhsa_exception_fp_ieee_inexact 0
		.amdhsa_exception_int_div_zero 0
	.end_amdhsa_kernel
	.section	.text._ZN7rocprim17ROCPRIM_400000_NS6detail17trampoline_kernelINS0_14default_configENS1_20scan_config_selectorIfEEZZNS1_9scan_implILNS1_25lookback_scan_determinismE0ELb1ELb1ES3_N6thrust23THRUST_200600_302600_NS6detail15normal_iteratorINS9_10device_ptrIfEEEESE_f11max_functorIfEfEEDaPvRmT3_T4_T5_mT6_P12ihipStream_tbENKUlT_T0_E_clISt17integral_constantIbLb1EESU_EEDaSP_SQ_EUlSP_E0_NS1_11comp_targetILNS1_3genE10ELNS1_11target_archE1201ELNS1_3gpuE5ELNS1_3repE0EEENS1_30default_config_static_selectorELNS0_4arch9wavefront6targetE1EEEvT1_,"axG",@progbits,_ZN7rocprim17ROCPRIM_400000_NS6detail17trampoline_kernelINS0_14default_configENS1_20scan_config_selectorIfEEZZNS1_9scan_implILNS1_25lookback_scan_determinismE0ELb1ELb1ES3_N6thrust23THRUST_200600_302600_NS6detail15normal_iteratorINS9_10device_ptrIfEEEESE_f11max_functorIfEfEEDaPvRmT3_T4_T5_mT6_P12ihipStream_tbENKUlT_T0_E_clISt17integral_constantIbLb1EESU_EEDaSP_SQ_EUlSP_E0_NS1_11comp_targetILNS1_3genE10ELNS1_11target_archE1201ELNS1_3gpuE5ELNS1_3repE0EEENS1_30default_config_static_selectorELNS0_4arch9wavefront6targetE1EEEvT1_,comdat
.Lfunc_end2047:
	.size	_ZN7rocprim17ROCPRIM_400000_NS6detail17trampoline_kernelINS0_14default_configENS1_20scan_config_selectorIfEEZZNS1_9scan_implILNS1_25lookback_scan_determinismE0ELb1ELb1ES3_N6thrust23THRUST_200600_302600_NS6detail15normal_iteratorINS9_10device_ptrIfEEEESE_f11max_functorIfEfEEDaPvRmT3_T4_T5_mT6_P12ihipStream_tbENKUlT_T0_E_clISt17integral_constantIbLb1EESU_EEDaSP_SQ_EUlSP_E0_NS1_11comp_targetILNS1_3genE10ELNS1_11target_archE1201ELNS1_3gpuE5ELNS1_3repE0EEENS1_30default_config_static_selectorELNS0_4arch9wavefront6targetE1EEEvT1_, .Lfunc_end2047-_ZN7rocprim17ROCPRIM_400000_NS6detail17trampoline_kernelINS0_14default_configENS1_20scan_config_selectorIfEEZZNS1_9scan_implILNS1_25lookback_scan_determinismE0ELb1ELb1ES3_N6thrust23THRUST_200600_302600_NS6detail15normal_iteratorINS9_10device_ptrIfEEEESE_f11max_functorIfEfEEDaPvRmT3_T4_T5_mT6_P12ihipStream_tbENKUlT_T0_E_clISt17integral_constantIbLb1EESU_EEDaSP_SQ_EUlSP_E0_NS1_11comp_targetILNS1_3genE10ELNS1_11target_archE1201ELNS1_3gpuE5ELNS1_3repE0EEENS1_30default_config_static_selectorELNS0_4arch9wavefront6targetE1EEEvT1_
                                        ; -- End function
	.section	.AMDGPU.csdata,"",@progbits
; Kernel info:
; codeLenInByte = 0
; NumSgprs: 4
; NumVgprs: 0
; NumAgprs: 0
; TotalNumVgprs: 0
; ScratchSize: 0
; MemoryBound: 0
; FloatMode: 240
; IeeeMode: 1
; LDSByteSize: 0 bytes/workgroup (compile time only)
; SGPRBlocks: 0
; VGPRBlocks: 0
; NumSGPRsForWavesPerEU: 4
; NumVGPRsForWavesPerEU: 1
; AccumOffset: 4
; Occupancy: 8
; WaveLimiterHint : 0
; COMPUTE_PGM_RSRC2:SCRATCH_EN: 0
; COMPUTE_PGM_RSRC2:USER_SGPR: 6
; COMPUTE_PGM_RSRC2:TRAP_HANDLER: 0
; COMPUTE_PGM_RSRC2:TGID_X_EN: 1
; COMPUTE_PGM_RSRC2:TGID_Y_EN: 0
; COMPUTE_PGM_RSRC2:TGID_Z_EN: 0
; COMPUTE_PGM_RSRC2:TIDIG_COMP_CNT: 0
; COMPUTE_PGM_RSRC3_GFX90A:ACCUM_OFFSET: 0
; COMPUTE_PGM_RSRC3_GFX90A:TG_SPLIT: 0
	.section	.text._ZN7rocprim17ROCPRIM_400000_NS6detail17trampoline_kernelINS0_14default_configENS1_20scan_config_selectorIfEEZZNS1_9scan_implILNS1_25lookback_scan_determinismE0ELb1ELb1ES3_N6thrust23THRUST_200600_302600_NS6detail15normal_iteratorINS9_10device_ptrIfEEEESE_f11max_functorIfEfEEDaPvRmT3_T4_T5_mT6_P12ihipStream_tbENKUlT_T0_E_clISt17integral_constantIbLb1EESU_EEDaSP_SQ_EUlSP_E0_NS1_11comp_targetILNS1_3genE10ELNS1_11target_archE1200ELNS1_3gpuE4ELNS1_3repE0EEENS1_30default_config_static_selectorELNS0_4arch9wavefront6targetE1EEEvT1_,"axG",@progbits,_ZN7rocprim17ROCPRIM_400000_NS6detail17trampoline_kernelINS0_14default_configENS1_20scan_config_selectorIfEEZZNS1_9scan_implILNS1_25lookback_scan_determinismE0ELb1ELb1ES3_N6thrust23THRUST_200600_302600_NS6detail15normal_iteratorINS9_10device_ptrIfEEEESE_f11max_functorIfEfEEDaPvRmT3_T4_T5_mT6_P12ihipStream_tbENKUlT_T0_E_clISt17integral_constantIbLb1EESU_EEDaSP_SQ_EUlSP_E0_NS1_11comp_targetILNS1_3genE10ELNS1_11target_archE1200ELNS1_3gpuE4ELNS1_3repE0EEENS1_30default_config_static_selectorELNS0_4arch9wavefront6targetE1EEEvT1_,comdat
	.protected	_ZN7rocprim17ROCPRIM_400000_NS6detail17trampoline_kernelINS0_14default_configENS1_20scan_config_selectorIfEEZZNS1_9scan_implILNS1_25lookback_scan_determinismE0ELb1ELb1ES3_N6thrust23THRUST_200600_302600_NS6detail15normal_iteratorINS9_10device_ptrIfEEEESE_f11max_functorIfEfEEDaPvRmT3_T4_T5_mT6_P12ihipStream_tbENKUlT_T0_E_clISt17integral_constantIbLb1EESU_EEDaSP_SQ_EUlSP_E0_NS1_11comp_targetILNS1_3genE10ELNS1_11target_archE1200ELNS1_3gpuE4ELNS1_3repE0EEENS1_30default_config_static_selectorELNS0_4arch9wavefront6targetE1EEEvT1_ ; -- Begin function _ZN7rocprim17ROCPRIM_400000_NS6detail17trampoline_kernelINS0_14default_configENS1_20scan_config_selectorIfEEZZNS1_9scan_implILNS1_25lookback_scan_determinismE0ELb1ELb1ES3_N6thrust23THRUST_200600_302600_NS6detail15normal_iteratorINS9_10device_ptrIfEEEESE_f11max_functorIfEfEEDaPvRmT3_T4_T5_mT6_P12ihipStream_tbENKUlT_T0_E_clISt17integral_constantIbLb1EESU_EEDaSP_SQ_EUlSP_E0_NS1_11comp_targetILNS1_3genE10ELNS1_11target_archE1200ELNS1_3gpuE4ELNS1_3repE0EEENS1_30default_config_static_selectorELNS0_4arch9wavefront6targetE1EEEvT1_
	.globl	_ZN7rocprim17ROCPRIM_400000_NS6detail17trampoline_kernelINS0_14default_configENS1_20scan_config_selectorIfEEZZNS1_9scan_implILNS1_25lookback_scan_determinismE0ELb1ELb1ES3_N6thrust23THRUST_200600_302600_NS6detail15normal_iteratorINS9_10device_ptrIfEEEESE_f11max_functorIfEfEEDaPvRmT3_T4_T5_mT6_P12ihipStream_tbENKUlT_T0_E_clISt17integral_constantIbLb1EESU_EEDaSP_SQ_EUlSP_E0_NS1_11comp_targetILNS1_3genE10ELNS1_11target_archE1200ELNS1_3gpuE4ELNS1_3repE0EEENS1_30default_config_static_selectorELNS0_4arch9wavefront6targetE1EEEvT1_
	.p2align	8
	.type	_ZN7rocprim17ROCPRIM_400000_NS6detail17trampoline_kernelINS0_14default_configENS1_20scan_config_selectorIfEEZZNS1_9scan_implILNS1_25lookback_scan_determinismE0ELb1ELb1ES3_N6thrust23THRUST_200600_302600_NS6detail15normal_iteratorINS9_10device_ptrIfEEEESE_f11max_functorIfEfEEDaPvRmT3_T4_T5_mT6_P12ihipStream_tbENKUlT_T0_E_clISt17integral_constantIbLb1EESU_EEDaSP_SQ_EUlSP_E0_NS1_11comp_targetILNS1_3genE10ELNS1_11target_archE1200ELNS1_3gpuE4ELNS1_3repE0EEENS1_30default_config_static_selectorELNS0_4arch9wavefront6targetE1EEEvT1_,@function
_ZN7rocprim17ROCPRIM_400000_NS6detail17trampoline_kernelINS0_14default_configENS1_20scan_config_selectorIfEEZZNS1_9scan_implILNS1_25lookback_scan_determinismE0ELb1ELb1ES3_N6thrust23THRUST_200600_302600_NS6detail15normal_iteratorINS9_10device_ptrIfEEEESE_f11max_functorIfEfEEDaPvRmT3_T4_T5_mT6_P12ihipStream_tbENKUlT_T0_E_clISt17integral_constantIbLb1EESU_EEDaSP_SQ_EUlSP_E0_NS1_11comp_targetILNS1_3genE10ELNS1_11target_archE1200ELNS1_3gpuE4ELNS1_3repE0EEENS1_30default_config_static_selectorELNS0_4arch9wavefront6targetE1EEEvT1_: ; @_ZN7rocprim17ROCPRIM_400000_NS6detail17trampoline_kernelINS0_14default_configENS1_20scan_config_selectorIfEEZZNS1_9scan_implILNS1_25lookback_scan_determinismE0ELb1ELb1ES3_N6thrust23THRUST_200600_302600_NS6detail15normal_iteratorINS9_10device_ptrIfEEEESE_f11max_functorIfEfEEDaPvRmT3_T4_T5_mT6_P12ihipStream_tbENKUlT_T0_E_clISt17integral_constantIbLb1EESU_EEDaSP_SQ_EUlSP_E0_NS1_11comp_targetILNS1_3genE10ELNS1_11target_archE1200ELNS1_3gpuE4ELNS1_3repE0EEENS1_30default_config_static_selectorELNS0_4arch9wavefront6targetE1EEEvT1_
; %bb.0:
	.section	.rodata,"a",@progbits
	.p2align	6, 0x0
	.amdhsa_kernel _ZN7rocprim17ROCPRIM_400000_NS6detail17trampoline_kernelINS0_14default_configENS1_20scan_config_selectorIfEEZZNS1_9scan_implILNS1_25lookback_scan_determinismE0ELb1ELb1ES3_N6thrust23THRUST_200600_302600_NS6detail15normal_iteratorINS9_10device_ptrIfEEEESE_f11max_functorIfEfEEDaPvRmT3_T4_T5_mT6_P12ihipStream_tbENKUlT_T0_E_clISt17integral_constantIbLb1EESU_EEDaSP_SQ_EUlSP_E0_NS1_11comp_targetILNS1_3genE10ELNS1_11target_archE1200ELNS1_3gpuE4ELNS1_3repE0EEENS1_30default_config_static_selectorELNS0_4arch9wavefront6targetE1EEEvT1_
		.amdhsa_group_segment_fixed_size 0
		.amdhsa_private_segment_fixed_size 0
		.amdhsa_kernarg_size 32
		.amdhsa_user_sgpr_count 6
		.amdhsa_user_sgpr_private_segment_buffer 1
		.amdhsa_user_sgpr_dispatch_ptr 0
		.amdhsa_user_sgpr_queue_ptr 0
		.amdhsa_user_sgpr_kernarg_segment_ptr 1
		.amdhsa_user_sgpr_dispatch_id 0
		.amdhsa_user_sgpr_flat_scratch_init 0
		.amdhsa_user_sgpr_kernarg_preload_length 0
		.amdhsa_user_sgpr_kernarg_preload_offset 0
		.amdhsa_user_sgpr_private_segment_size 0
		.amdhsa_uses_dynamic_stack 0
		.amdhsa_system_sgpr_private_segment_wavefront_offset 0
		.amdhsa_system_sgpr_workgroup_id_x 1
		.amdhsa_system_sgpr_workgroup_id_y 0
		.amdhsa_system_sgpr_workgroup_id_z 0
		.amdhsa_system_sgpr_workgroup_info 0
		.amdhsa_system_vgpr_workitem_id 0
		.amdhsa_next_free_vgpr 1
		.amdhsa_next_free_sgpr 0
		.amdhsa_accum_offset 4
		.amdhsa_reserve_vcc 0
		.amdhsa_reserve_flat_scratch 0
		.amdhsa_float_round_mode_32 0
		.amdhsa_float_round_mode_16_64 0
		.amdhsa_float_denorm_mode_32 3
		.amdhsa_float_denorm_mode_16_64 3
		.amdhsa_dx10_clamp 1
		.amdhsa_ieee_mode 1
		.amdhsa_fp16_overflow 0
		.amdhsa_tg_split 0
		.amdhsa_exception_fp_ieee_invalid_op 0
		.amdhsa_exception_fp_denorm_src 0
		.amdhsa_exception_fp_ieee_div_zero 0
		.amdhsa_exception_fp_ieee_overflow 0
		.amdhsa_exception_fp_ieee_underflow 0
		.amdhsa_exception_fp_ieee_inexact 0
		.amdhsa_exception_int_div_zero 0
	.end_amdhsa_kernel
	.section	.text._ZN7rocprim17ROCPRIM_400000_NS6detail17trampoline_kernelINS0_14default_configENS1_20scan_config_selectorIfEEZZNS1_9scan_implILNS1_25lookback_scan_determinismE0ELb1ELb1ES3_N6thrust23THRUST_200600_302600_NS6detail15normal_iteratorINS9_10device_ptrIfEEEESE_f11max_functorIfEfEEDaPvRmT3_T4_T5_mT6_P12ihipStream_tbENKUlT_T0_E_clISt17integral_constantIbLb1EESU_EEDaSP_SQ_EUlSP_E0_NS1_11comp_targetILNS1_3genE10ELNS1_11target_archE1200ELNS1_3gpuE4ELNS1_3repE0EEENS1_30default_config_static_selectorELNS0_4arch9wavefront6targetE1EEEvT1_,"axG",@progbits,_ZN7rocprim17ROCPRIM_400000_NS6detail17trampoline_kernelINS0_14default_configENS1_20scan_config_selectorIfEEZZNS1_9scan_implILNS1_25lookback_scan_determinismE0ELb1ELb1ES3_N6thrust23THRUST_200600_302600_NS6detail15normal_iteratorINS9_10device_ptrIfEEEESE_f11max_functorIfEfEEDaPvRmT3_T4_T5_mT6_P12ihipStream_tbENKUlT_T0_E_clISt17integral_constantIbLb1EESU_EEDaSP_SQ_EUlSP_E0_NS1_11comp_targetILNS1_3genE10ELNS1_11target_archE1200ELNS1_3gpuE4ELNS1_3repE0EEENS1_30default_config_static_selectorELNS0_4arch9wavefront6targetE1EEEvT1_,comdat
.Lfunc_end2048:
	.size	_ZN7rocprim17ROCPRIM_400000_NS6detail17trampoline_kernelINS0_14default_configENS1_20scan_config_selectorIfEEZZNS1_9scan_implILNS1_25lookback_scan_determinismE0ELb1ELb1ES3_N6thrust23THRUST_200600_302600_NS6detail15normal_iteratorINS9_10device_ptrIfEEEESE_f11max_functorIfEfEEDaPvRmT3_T4_T5_mT6_P12ihipStream_tbENKUlT_T0_E_clISt17integral_constantIbLb1EESU_EEDaSP_SQ_EUlSP_E0_NS1_11comp_targetILNS1_3genE10ELNS1_11target_archE1200ELNS1_3gpuE4ELNS1_3repE0EEENS1_30default_config_static_selectorELNS0_4arch9wavefront6targetE1EEEvT1_, .Lfunc_end2048-_ZN7rocprim17ROCPRIM_400000_NS6detail17trampoline_kernelINS0_14default_configENS1_20scan_config_selectorIfEEZZNS1_9scan_implILNS1_25lookback_scan_determinismE0ELb1ELb1ES3_N6thrust23THRUST_200600_302600_NS6detail15normal_iteratorINS9_10device_ptrIfEEEESE_f11max_functorIfEfEEDaPvRmT3_T4_T5_mT6_P12ihipStream_tbENKUlT_T0_E_clISt17integral_constantIbLb1EESU_EEDaSP_SQ_EUlSP_E0_NS1_11comp_targetILNS1_3genE10ELNS1_11target_archE1200ELNS1_3gpuE4ELNS1_3repE0EEENS1_30default_config_static_selectorELNS0_4arch9wavefront6targetE1EEEvT1_
                                        ; -- End function
	.section	.AMDGPU.csdata,"",@progbits
; Kernel info:
; codeLenInByte = 0
; NumSgprs: 4
; NumVgprs: 0
; NumAgprs: 0
; TotalNumVgprs: 0
; ScratchSize: 0
; MemoryBound: 0
; FloatMode: 240
; IeeeMode: 1
; LDSByteSize: 0 bytes/workgroup (compile time only)
; SGPRBlocks: 0
; VGPRBlocks: 0
; NumSGPRsForWavesPerEU: 4
; NumVGPRsForWavesPerEU: 1
; AccumOffset: 4
; Occupancy: 8
; WaveLimiterHint : 0
; COMPUTE_PGM_RSRC2:SCRATCH_EN: 0
; COMPUTE_PGM_RSRC2:USER_SGPR: 6
; COMPUTE_PGM_RSRC2:TRAP_HANDLER: 0
; COMPUTE_PGM_RSRC2:TGID_X_EN: 1
; COMPUTE_PGM_RSRC2:TGID_Y_EN: 0
; COMPUTE_PGM_RSRC2:TGID_Z_EN: 0
; COMPUTE_PGM_RSRC2:TIDIG_COMP_CNT: 0
; COMPUTE_PGM_RSRC3_GFX90A:ACCUM_OFFSET: 0
; COMPUTE_PGM_RSRC3_GFX90A:TG_SPLIT: 0
	.section	.text._ZN7rocprim17ROCPRIM_400000_NS6detail17trampoline_kernelINS0_14default_configENS1_20scan_config_selectorIfEEZZNS1_9scan_implILNS1_25lookback_scan_determinismE0ELb1ELb1ES3_N6thrust23THRUST_200600_302600_NS6detail15normal_iteratorINS9_10device_ptrIfEEEESE_f11max_functorIfEfEEDaPvRmT3_T4_T5_mT6_P12ihipStream_tbENKUlT_T0_E_clISt17integral_constantIbLb1EESU_EEDaSP_SQ_EUlSP_E0_NS1_11comp_targetILNS1_3genE9ELNS1_11target_archE1100ELNS1_3gpuE3ELNS1_3repE0EEENS1_30default_config_static_selectorELNS0_4arch9wavefront6targetE1EEEvT1_,"axG",@progbits,_ZN7rocprim17ROCPRIM_400000_NS6detail17trampoline_kernelINS0_14default_configENS1_20scan_config_selectorIfEEZZNS1_9scan_implILNS1_25lookback_scan_determinismE0ELb1ELb1ES3_N6thrust23THRUST_200600_302600_NS6detail15normal_iteratorINS9_10device_ptrIfEEEESE_f11max_functorIfEfEEDaPvRmT3_T4_T5_mT6_P12ihipStream_tbENKUlT_T0_E_clISt17integral_constantIbLb1EESU_EEDaSP_SQ_EUlSP_E0_NS1_11comp_targetILNS1_3genE9ELNS1_11target_archE1100ELNS1_3gpuE3ELNS1_3repE0EEENS1_30default_config_static_selectorELNS0_4arch9wavefront6targetE1EEEvT1_,comdat
	.protected	_ZN7rocprim17ROCPRIM_400000_NS6detail17trampoline_kernelINS0_14default_configENS1_20scan_config_selectorIfEEZZNS1_9scan_implILNS1_25lookback_scan_determinismE0ELb1ELb1ES3_N6thrust23THRUST_200600_302600_NS6detail15normal_iteratorINS9_10device_ptrIfEEEESE_f11max_functorIfEfEEDaPvRmT3_T4_T5_mT6_P12ihipStream_tbENKUlT_T0_E_clISt17integral_constantIbLb1EESU_EEDaSP_SQ_EUlSP_E0_NS1_11comp_targetILNS1_3genE9ELNS1_11target_archE1100ELNS1_3gpuE3ELNS1_3repE0EEENS1_30default_config_static_selectorELNS0_4arch9wavefront6targetE1EEEvT1_ ; -- Begin function _ZN7rocprim17ROCPRIM_400000_NS6detail17trampoline_kernelINS0_14default_configENS1_20scan_config_selectorIfEEZZNS1_9scan_implILNS1_25lookback_scan_determinismE0ELb1ELb1ES3_N6thrust23THRUST_200600_302600_NS6detail15normal_iteratorINS9_10device_ptrIfEEEESE_f11max_functorIfEfEEDaPvRmT3_T4_T5_mT6_P12ihipStream_tbENKUlT_T0_E_clISt17integral_constantIbLb1EESU_EEDaSP_SQ_EUlSP_E0_NS1_11comp_targetILNS1_3genE9ELNS1_11target_archE1100ELNS1_3gpuE3ELNS1_3repE0EEENS1_30default_config_static_selectorELNS0_4arch9wavefront6targetE1EEEvT1_
	.globl	_ZN7rocprim17ROCPRIM_400000_NS6detail17trampoline_kernelINS0_14default_configENS1_20scan_config_selectorIfEEZZNS1_9scan_implILNS1_25lookback_scan_determinismE0ELb1ELb1ES3_N6thrust23THRUST_200600_302600_NS6detail15normal_iteratorINS9_10device_ptrIfEEEESE_f11max_functorIfEfEEDaPvRmT3_T4_T5_mT6_P12ihipStream_tbENKUlT_T0_E_clISt17integral_constantIbLb1EESU_EEDaSP_SQ_EUlSP_E0_NS1_11comp_targetILNS1_3genE9ELNS1_11target_archE1100ELNS1_3gpuE3ELNS1_3repE0EEENS1_30default_config_static_selectorELNS0_4arch9wavefront6targetE1EEEvT1_
	.p2align	8
	.type	_ZN7rocprim17ROCPRIM_400000_NS6detail17trampoline_kernelINS0_14default_configENS1_20scan_config_selectorIfEEZZNS1_9scan_implILNS1_25lookback_scan_determinismE0ELb1ELb1ES3_N6thrust23THRUST_200600_302600_NS6detail15normal_iteratorINS9_10device_ptrIfEEEESE_f11max_functorIfEfEEDaPvRmT3_T4_T5_mT6_P12ihipStream_tbENKUlT_T0_E_clISt17integral_constantIbLb1EESU_EEDaSP_SQ_EUlSP_E0_NS1_11comp_targetILNS1_3genE9ELNS1_11target_archE1100ELNS1_3gpuE3ELNS1_3repE0EEENS1_30default_config_static_selectorELNS0_4arch9wavefront6targetE1EEEvT1_,@function
_ZN7rocprim17ROCPRIM_400000_NS6detail17trampoline_kernelINS0_14default_configENS1_20scan_config_selectorIfEEZZNS1_9scan_implILNS1_25lookback_scan_determinismE0ELb1ELb1ES3_N6thrust23THRUST_200600_302600_NS6detail15normal_iteratorINS9_10device_ptrIfEEEESE_f11max_functorIfEfEEDaPvRmT3_T4_T5_mT6_P12ihipStream_tbENKUlT_T0_E_clISt17integral_constantIbLb1EESU_EEDaSP_SQ_EUlSP_E0_NS1_11comp_targetILNS1_3genE9ELNS1_11target_archE1100ELNS1_3gpuE3ELNS1_3repE0EEENS1_30default_config_static_selectorELNS0_4arch9wavefront6targetE1EEEvT1_: ; @_ZN7rocprim17ROCPRIM_400000_NS6detail17trampoline_kernelINS0_14default_configENS1_20scan_config_selectorIfEEZZNS1_9scan_implILNS1_25lookback_scan_determinismE0ELb1ELb1ES3_N6thrust23THRUST_200600_302600_NS6detail15normal_iteratorINS9_10device_ptrIfEEEESE_f11max_functorIfEfEEDaPvRmT3_T4_T5_mT6_P12ihipStream_tbENKUlT_T0_E_clISt17integral_constantIbLb1EESU_EEDaSP_SQ_EUlSP_E0_NS1_11comp_targetILNS1_3genE9ELNS1_11target_archE1100ELNS1_3gpuE3ELNS1_3repE0EEENS1_30default_config_static_selectorELNS0_4arch9wavefront6targetE1EEEvT1_
; %bb.0:
	.section	.rodata,"a",@progbits
	.p2align	6, 0x0
	.amdhsa_kernel _ZN7rocprim17ROCPRIM_400000_NS6detail17trampoline_kernelINS0_14default_configENS1_20scan_config_selectorIfEEZZNS1_9scan_implILNS1_25lookback_scan_determinismE0ELb1ELb1ES3_N6thrust23THRUST_200600_302600_NS6detail15normal_iteratorINS9_10device_ptrIfEEEESE_f11max_functorIfEfEEDaPvRmT3_T4_T5_mT6_P12ihipStream_tbENKUlT_T0_E_clISt17integral_constantIbLb1EESU_EEDaSP_SQ_EUlSP_E0_NS1_11comp_targetILNS1_3genE9ELNS1_11target_archE1100ELNS1_3gpuE3ELNS1_3repE0EEENS1_30default_config_static_selectorELNS0_4arch9wavefront6targetE1EEEvT1_
		.amdhsa_group_segment_fixed_size 0
		.amdhsa_private_segment_fixed_size 0
		.amdhsa_kernarg_size 32
		.amdhsa_user_sgpr_count 6
		.amdhsa_user_sgpr_private_segment_buffer 1
		.amdhsa_user_sgpr_dispatch_ptr 0
		.amdhsa_user_sgpr_queue_ptr 0
		.amdhsa_user_sgpr_kernarg_segment_ptr 1
		.amdhsa_user_sgpr_dispatch_id 0
		.amdhsa_user_sgpr_flat_scratch_init 0
		.amdhsa_user_sgpr_kernarg_preload_length 0
		.amdhsa_user_sgpr_kernarg_preload_offset 0
		.amdhsa_user_sgpr_private_segment_size 0
		.amdhsa_uses_dynamic_stack 0
		.amdhsa_system_sgpr_private_segment_wavefront_offset 0
		.amdhsa_system_sgpr_workgroup_id_x 1
		.amdhsa_system_sgpr_workgroup_id_y 0
		.amdhsa_system_sgpr_workgroup_id_z 0
		.amdhsa_system_sgpr_workgroup_info 0
		.amdhsa_system_vgpr_workitem_id 0
		.amdhsa_next_free_vgpr 1
		.amdhsa_next_free_sgpr 0
		.amdhsa_accum_offset 4
		.amdhsa_reserve_vcc 0
		.amdhsa_reserve_flat_scratch 0
		.amdhsa_float_round_mode_32 0
		.amdhsa_float_round_mode_16_64 0
		.amdhsa_float_denorm_mode_32 3
		.amdhsa_float_denorm_mode_16_64 3
		.amdhsa_dx10_clamp 1
		.amdhsa_ieee_mode 1
		.amdhsa_fp16_overflow 0
		.amdhsa_tg_split 0
		.amdhsa_exception_fp_ieee_invalid_op 0
		.amdhsa_exception_fp_denorm_src 0
		.amdhsa_exception_fp_ieee_div_zero 0
		.amdhsa_exception_fp_ieee_overflow 0
		.amdhsa_exception_fp_ieee_underflow 0
		.amdhsa_exception_fp_ieee_inexact 0
		.amdhsa_exception_int_div_zero 0
	.end_amdhsa_kernel
	.section	.text._ZN7rocprim17ROCPRIM_400000_NS6detail17trampoline_kernelINS0_14default_configENS1_20scan_config_selectorIfEEZZNS1_9scan_implILNS1_25lookback_scan_determinismE0ELb1ELb1ES3_N6thrust23THRUST_200600_302600_NS6detail15normal_iteratorINS9_10device_ptrIfEEEESE_f11max_functorIfEfEEDaPvRmT3_T4_T5_mT6_P12ihipStream_tbENKUlT_T0_E_clISt17integral_constantIbLb1EESU_EEDaSP_SQ_EUlSP_E0_NS1_11comp_targetILNS1_3genE9ELNS1_11target_archE1100ELNS1_3gpuE3ELNS1_3repE0EEENS1_30default_config_static_selectorELNS0_4arch9wavefront6targetE1EEEvT1_,"axG",@progbits,_ZN7rocprim17ROCPRIM_400000_NS6detail17trampoline_kernelINS0_14default_configENS1_20scan_config_selectorIfEEZZNS1_9scan_implILNS1_25lookback_scan_determinismE0ELb1ELb1ES3_N6thrust23THRUST_200600_302600_NS6detail15normal_iteratorINS9_10device_ptrIfEEEESE_f11max_functorIfEfEEDaPvRmT3_T4_T5_mT6_P12ihipStream_tbENKUlT_T0_E_clISt17integral_constantIbLb1EESU_EEDaSP_SQ_EUlSP_E0_NS1_11comp_targetILNS1_3genE9ELNS1_11target_archE1100ELNS1_3gpuE3ELNS1_3repE0EEENS1_30default_config_static_selectorELNS0_4arch9wavefront6targetE1EEEvT1_,comdat
.Lfunc_end2049:
	.size	_ZN7rocprim17ROCPRIM_400000_NS6detail17trampoline_kernelINS0_14default_configENS1_20scan_config_selectorIfEEZZNS1_9scan_implILNS1_25lookback_scan_determinismE0ELb1ELb1ES3_N6thrust23THRUST_200600_302600_NS6detail15normal_iteratorINS9_10device_ptrIfEEEESE_f11max_functorIfEfEEDaPvRmT3_T4_T5_mT6_P12ihipStream_tbENKUlT_T0_E_clISt17integral_constantIbLb1EESU_EEDaSP_SQ_EUlSP_E0_NS1_11comp_targetILNS1_3genE9ELNS1_11target_archE1100ELNS1_3gpuE3ELNS1_3repE0EEENS1_30default_config_static_selectorELNS0_4arch9wavefront6targetE1EEEvT1_, .Lfunc_end2049-_ZN7rocprim17ROCPRIM_400000_NS6detail17trampoline_kernelINS0_14default_configENS1_20scan_config_selectorIfEEZZNS1_9scan_implILNS1_25lookback_scan_determinismE0ELb1ELb1ES3_N6thrust23THRUST_200600_302600_NS6detail15normal_iteratorINS9_10device_ptrIfEEEESE_f11max_functorIfEfEEDaPvRmT3_T4_T5_mT6_P12ihipStream_tbENKUlT_T0_E_clISt17integral_constantIbLb1EESU_EEDaSP_SQ_EUlSP_E0_NS1_11comp_targetILNS1_3genE9ELNS1_11target_archE1100ELNS1_3gpuE3ELNS1_3repE0EEENS1_30default_config_static_selectorELNS0_4arch9wavefront6targetE1EEEvT1_
                                        ; -- End function
	.section	.AMDGPU.csdata,"",@progbits
; Kernel info:
; codeLenInByte = 0
; NumSgprs: 4
; NumVgprs: 0
; NumAgprs: 0
; TotalNumVgprs: 0
; ScratchSize: 0
; MemoryBound: 0
; FloatMode: 240
; IeeeMode: 1
; LDSByteSize: 0 bytes/workgroup (compile time only)
; SGPRBlocks: 0
; VGPRBlocks: 0
; NumSGPRsForWavesPerEU: 4
; NumVGPRsForWavesPerEU: 1
; AccumOffset: 4
; Occupancy: 8
; WaveLimiterHint : 0
; COMPUTE_PGM_RSRC2:SCRATCH_EN: 0
; COMPUTE_PGM_RSRC2:USER_SGPR: 6
; COMPUTE_PGM_RSRC2:TRAP_HANDLER: 0
; COMPUTE_PGM_RSRC2:TGID_X_EN: 1
; COMPUTE_PGM_RSRC2:TGID_Y_EN: 0
; COMPUTE_PGM_RSRC2:TGID_Z_EN: 0
; COMPUTE_PGM_RSRC2:TIDIG_COMP_CNT: 0
; COMPUTE_PGM_RSRC3_GFX90A:ACCUM_OFFSET: 0
; COMPUTE_PGM_RSRC3_GFX90A:TG_SPLIT: 0
	.section	.text._ZN7rocprim17ROCPRIM_400000_NS6detail17trampoline_kernelINS0_14default_configENS1_20scan_config_selectorIfEEZZNS1_9scan_implILNS1_25lookback_scan_determinismE0ELb1ELb1ES3_N6thrust23THRUST_200600_302600_NS6detail15normal_iteratorINS9_10device_ptrIfEEEESE_f11max_functorIfEfEEDaPvRmT3_T4_T5_mT6_P12ihipStream_tbENKUlT_T0_E_clISt17integral_constantIbLb1EESU_EEDaSP_SQ_EUlSP_E0_NS1_11comp_targetILNS1_3genE8ELNS1_11target_archE1030ELNS1_3gpuE2ELNS1_3repE0EEENS1_30default_config_static_selectorELNS0_4arch9wavefront6targetE1EEEvT1_,"axG",@progbits,_ZN7rocprim17ROCPRIM_400000_NS6detail17trampoline_kernelINS0_14default_configENS1_20scan_config_selectorIfEEZZNS1_9scan_implILNS1_25lookback_scan_determinismE0ELb1ELb1ES3_N6thrust23THRUST_200600_302600_NS6detail15normal_iteratorINS9_10device_ptrIfEEEESE_f11max_functorIfEfEEDaPvRmT3_T4_T5_mT6_P12ihipStream_tbENKUlT_T0_E_clISt17integral_constantIbLb1EESU_EEDaSP_SQ_EUlSP_E0_NS1_11comp_targetILNS1_3genE8ELNS1_11target_archE1030ELNS1_3gpuE2ELNS1_3repE0EEENS1_30default_config_static_selectorELNS0_4arch9wavefront6targetE1EEEvT1_,comdat
	.protected	_ZN7rocprim17ROCPRIM_400000_NS6detail17trampoline_kernelINS0_14default_configENS1_20scan_config_selectorIfEEZZNS1_9scan_implILNS1_25lookback_scan_determinismE0ELb1ELb1ES3_N6thrust23THRUST_200600_302600_NS6detail15normal_iteratorINS9_10device_ptrIfEEEESE_f11max_functorIfEfEEDaPvRmT3_T4_T5_mT6_P12ihipStream_tbENKUlT_T0_E_clISt17integral_constantIbLb1EESU_EEDaSP_SQ_EUlSP_E0_NS1_11comp_targetILNS1_3genE8ELNS1_11target_archE1030ELNS1_3gpuE2ELNS1_3repE0EEENS1_30default_config_static_selectorELNS0_4arch9wavefront6targetE1EEEvT1_ ; -- Begin function _ZN7rocprim17ROCPRIM_400000_NS6detail17trampoline_kernelINS0_14default_configENS1_20scan_config_selectorIfEEZZNS1_9scan_implILNS1_25lookback_scan_determinismE0ELb1ELb1ES3_N6thrust23THRUST_200600_302600_NS6detail15normal_iteratorINS9_10device_ptrIfEEEESE_f11max_functorIfEfEEDaPvRmT3_T4_T5_mT6_P12ihipStream_tbENKUlT_T0_E_clISt17integral_constantIbLb1EESU_EEDaSP_SQ_EUlSP_E0_NS1_11comp_targetILNS1_3genE8ELNS1_11target_archE1030ELNS1_3gpuE2ELNS1_3repE0EEENS1_30default_config_static_selectorELNS0_4arch9wavefront6targetE1EEEvT1_
	.globl	_ZN7rocprim17ROCPRIM_400000_NS6detail17trampoline_kernelINS0_14default_configENS1_20scan_config_selectorIfEEZZNS1_9scan_implILNS1_25lookback_scan_determinismE0ELb1ELb1ES3_N6thrust23THRUST_200600_302600_NS6detail15normal_iteratorINS9_10device_ptrIfEEEESE_f11max_functorIfEfEEDaPvRmT3_T4_T5_mT6_P12ihipStream_tbENKUlT_T0_E_clISt17integral_constantIbLb1EESU_EEDaSP_SQ_EUlSP_E0_NS1_11comp_targetILNS1_3genE8ELNS1_11target_archE1030ELNS1_3gpuE2ELNS1_3repE0EEENS1_30default_config_static_selectorELNS0_4arch9wavefront6targetE1EEEvT1_
	.p2align	8
	.type	_ZN7rocprim17ROCPRIM_400000_NS6detail17trampoline_kernelINS0_14default_configENS1_20scan_config_selectorIfEEZZNS1_9scan_implILNS1_25lookback_scan_determinismE0ELb1ELb1ES3_N6thrust23THRUST_200600_302600_NS6detail15normal_iteratorINS9_10device_ptrIfEEEESE_f11max_functorIfEfEEDaPvRmT3_T4_T5_mT6_P12ihipStream_tbENKUlT_T0_E_clISt17integral_constantIbLb1EESU_EEDaSP_SQ_EUlSP_E0_NS1_11comp_targetILNS1_3genE8ELNS1_11target_archE1030ELNS1_3gpuE2ELNS1_3repE0EEENS1_30default_config_static_selectorELNS0_4arch9wavefront6targetE1EEEvT1_,@function
_ZN7rocprim17ROCPRIM_400000_NS6detail17trampoline_kernelINS0_14default_configENS1_20scan_config_selectorIfEEZZNS1_9scan_implILNS1_25lookback_scan_determinismE0ELb1ELb1ES3_N6thrust23THRUST_200600_302600_NS6detail15normal_iteratorINS9_10device_ptrIfEEEESE_f11max_functorIfEfEEDaPvRmT3_T4_T5_mT6_P12ihipStream_tbENKUlT_T0_E_clISt17integral_constantIbLb1EESU_EEDaSP_SQ_EUlSP_E0_NS1_11comp_targetILNS1_3genE8ELNS1_11target_archE1030ELNS1_3gpuE2ELNS1_3repE0EEENS1_30default_config_static_selectorELNS0_4arch9wavefront6targetE1EEEvT1_: ; @_ZN7rocprim17ROCPRIM_400000_NS6detail17trampoline_kernelINS0_14default_configENS1_20scan_config_selectorIfEEZZNS1_9scan_implILNS1_25lookback_scan_determinismE0ELb1ELb1ES3_N6thrust23THRUST_200600_302600_NS6detail15normal_iteratorINS9_10device_ptrIfEEEESE_f11max_functorIfEfEEDaPvRmT3_T4_T5_mT6_P12ihipStream_tbENKUlT_T0_E_clISt17integral_constantIbLb1EESU_EEDaSP_SQ_EUlSP_E0_NS1_11comp_targetILNS1_3genE8ELNS1_11target_archE1030ELNS1_3gpuE2ELNS1_3repE0EEENS1_30default_config_static_selectorELNS0_4arch9wavefront6targetE1EEEvT1_
; %bb.0:
	.section	.rodata,"a",@progbits
	.p2align	6, 0x0
	.amdhsa_kernel _ZN7rocprim17ROCPRIM_400000_NS6detail17trampoline_kernelINS0_14default_configENS1_20scan_config_selectorIfEEZZNS1_9scan_implILNS1_25lookback_scan_determinismE0ELb1ELb1ES3_N6thrust23THRUST_200600_302600_NS6detail15normal_iteratorINS9_10device_ptrIfEEEESE_f11max_functorIfEfEEDaPvRmT3_T4_T5_mT6_P12ihipStream_tbENKUlT_T0_E_clISt17integral_constantIbLb1EESU_EEDaSP_SQ_EUlSP_E0_NS1_11comp_targetILNS1_3genE8ELNS1_11target_archE1030ELNS1_3gpuE2ELNS1_3repE0EEENS1_30default_config_static_selectorELNS0_4arch9wavefront6targetE1EEEvT1_
		.amdhsa_group_segment_fixed_size 0
		.amdhsa_private_segment_fixed_size 0
		.amdhsa_kernarg_size 32
		.amdhsa_user_sgpr_count 6
		.amdhsa_user_sgpr_private_segment_buffer 1
		.amdhsa_user_sgpr_dispatch_ptr 0
		.amdhsa_user_sgpr_queue_ptr 0
		.amdhsa_user_sgpr_kernarg_segment_ptr 1
		.amdhsa_user_sgpr_dispatch_id 0
		.amdhsa_user_sgpr_flat_scratch_init 0
		.amdhsa_user_sgpr_kernarg_preload_length 0
		.amdhsa_user_sgpr_kernarg_preload_offset 0
		.amdhsa_user_sgpr_private_segment_size 0
		.amdhsa_uses_dynamic_stack 0
		.amdhsa_system_sgpr_private_segment_wavefront_offset 0
		.amdhsa_system_sgpr_workgroup_id_x 1
		.amdhsa_system_sgpr_workgroup_id_y 0
		.amdhsa_system_sgpr_workgroup_id_z 0
		.amdhsa_system_sgpr_workgroup_info 0
		.amdhsa_system_vgpr_workitem_id 0
		.amdhsa_next_free_vgpr 1
		.amdhsa_next_free_sgpr 0
		.amdhsa_accum_offset 4
		.amdhsa_reserve_vcc 0
		.amdhsa_reserve_flat_scratch 0
		.amdhsa_float_round_mode_32 0
		.amdhsa_float_round_mode_16_64 0
		.amdhsa_float_denorm_mode_32 3
		.amdhsa_float_denorm_mode_16_64 3
		.amdhsa_dx10_clamp 1
		.amdhsa_ieee_mode 1
		.amdhsa_fp16_overflow 0
		.amdhsa_tg_split 0
		.amdhsa_exception_fp_ieee_invalid_op 0
		.amdhsa_exception_fp_denorm_src 0
		.amdhsa_exception_fp_ieee_div_zero 0
		.amdhsa_exception_fp_ieee_overflow 0
		.amdhsa_exception_fp_ieee_underflow 0
		.amdhsa_exception_fp_ieee_inexact 0
		.amdhsa_exception_int_div_zero 0
	.end_amdhsa_kernel
	.section	.text._ZN7rocprim17ROCPRIM_400000_NS6detail17trampoline_kernelINS0_14default_configENS1_20scan_config_selectorIfEEZZNS1_9scan_implILNS1_25lookback_scan_determinismE0ELb1ELb1ES3_N6thrust23THRUST_200600_302600_NS6detail15normal_iteratorINS9_10device_ptrIfEEEESE_f11max_functorIfEfEEDaPvRmT3_T4_T5_mT6_P12ihipStream_tbENKUlT_T0_E_clISt17integral_constantIbLb1EESU_EEDaSP_SQ_EUlSP_E0_NS1_11comp_targetILNS1_3genE8ELNS1_11target_archE1030ELNS1_3gpuE2ELNS1_3repE0EEENS1_30default_config_static_selectorELNS0_4arch9wavefront6targetE1EEEvT1_,"axG",@progbits,_ZN7rocprim17ROCPRIM_400000_NS6detail17trampoline_kernelINS0_14default_configENS1_20scan_config_selectorIfEEZZNS1_9scan_implILNS1_25lookback_scan_determinismE0ELb1ELb1ES3_N6thrust23THRUST_200600_302600_NS6detail15normal_iteratorINS9_10device_ptrIfEEEESE_f11max_functorIfEfEEDaPvRmT3_T4_T5_mT6_P12ihipStream_tbENKUlT_T0_E_clISt17integral_constantIbLb1EESU_EEDaSP_SQ_EUlSP_E0_NS1_11comp_targetILNS1_3genE8ELNS1_11target_archE1030ELNS1_3gpuE2ELNS1_3repE0EEENS1_30default_config_static_selectorELNS0_4arch9wavefront6targetE1EEEvT1_,comdat
.Lfunc_end2050:
	.size	_ZN7rocprim17ROCPRIM_400000_NS6detail17trampoline_kernelINS0_14default_configENS1_20scan_config_selectorIfEEZZNS1_9scan_implILNS1_25lookback_scan_determinismE0ELb1ELb1ES3_N6thrust23THRUST_200600_302600_NS6detail15normal_iteratorINS9_10device_ptrIfEEEESE_f11max_functorIfEfEEDaPvRmT3_T4_T5_mT6_P12ihipStream_tbENKUlT_T0_E_clISt17integral_constantIbLb1EESU_EEDaSP_SQ_EUlSP_E0_NS1_11comp_targetILNS1_3genE8ELNS1_11target_archE1030ELNS1_3gpuE2ELNS1_3repE0EEENS1_30default_config_static_selectorELNS0_4arch9wavefront6targetE1EEEvT1_, .Lfunc_end2050-_ZN7rocprim17ROCPRIM_400000_NS6detail17trampoline_kernelINS0_14default_configENS1_20scan_config_selectorIfEEZZNS1_9scan_implILNS1_25lookback_scan_determinismE0ELb1ELb1ES3_N6thrust23THRUST_200600_302600_NS6detail15normal_iteratorINS9_10device_ptrIfEEEESE_f11max_functorIfEfEEDaPvRmT3_T4_T5_mT6_P12ihipStream_tbENKUlT_T0_E_clISt17integral_constantIbLb1EESU_EEDaSP_SQ_EUlSP_E0_NS1_11comp_targetILNS1_3genE8ELNS1_11target_archE1030ELNS1_3gpuE2ELNS1_3repE0EEENS1_30default_config_static_selectorELNS0_4arch9wavefront6targetE1EEEvT1_
                                        ; -- End function
	.section	.AMDGPU.csdata,"",@progbits
; Kernel info:
; codeLenInByte = 0
; NumSgprs: 4
; NumVgprs: 0
; NumAgprs: 0
; TotalNumVgprs: 0
; ScratchSize: 0
; MemoryBound: 0
; FloatMode: 240
; IeeeMode: 1
; LDSByteSize: 0 bytes/workgroup (compile time only)
; SGPRBlocks: 0
; VGPRBlocks: 0
; NumSGPRsForWavesPerEU: 4
; NumVGPRsForWavesPerEU: 1
; AccumOffset: 4
; Occupancy: 8
; WaveLimiterHint : 0
; COMPUTE_PGM_RSRC2:SCRATCH_EN: 0
; COMPUTE_PGM_RSRC2:USER_SGPR: 6
; COMPUTE_PGM_RSRC2:TRAP_HANDLER: 0
; COMPUTE_PGM_RSRC2:TGID_X_EN: 1
; COMPUTE_PGM_RSRC2:TGID_Y_EN: 0
; COMPUTE_PGM_RSRC2:TGID_Z_EN: 0
; COMPUTE_PGM_RSRC2:TIDIG_COMP_CNT: 0
; COMPUTE_PGM_RSRC3_GFX90A:ACCUM_OFFSET: 0
; COMPUTE_PGM_RSRC3_GFX90A:TG_SPLIT: 0
	.section	.text._ZN7rocprim17ROCPRIM_400000_NS6detail17trampoline_kernelINS0_14default_configENS1_20scan_config_selectorIfEEZZNS1_9scan_implILNS1_25lookback_scan_determinismE0ELb1ELb1ES3_N6thrust23THRUST_200600_302600_NS6detail15normal_iteratorINS9_10device_ptrIfEEEESE_f11max_functorIfEfEEDaPvRmT3_T4_T5_mT6_P12ihipStream_tbENKUlT_T0_E_clISt17integral_constantIbLb1EEST_IbLb0EEEEDaSP_SQ_EUlSP_E_NS1_11comp_targetILNS1_3genE0ELNS1_11target_archE4294967295ELNS1_3gpuE0ELNS1_3repE0EEENS1_30default_config_static_selectorELNS0_4arch9wavefront6targetE1EEEvT1_,"axG",@progbits,_ZN7rocprim17ROCPRIM_400000_NS6detail17trampoline_kernelINS0_14default_configENS1_20scan_config_selectorIfEEZZNS1_9scan_implILNS1_25lookback_scan_determinismE0ELb1ELb1ES3_N6thrust23THRUST_200600_302600_NS6detail15normal_iteratorINS9_10device_ptrIfEEEESE_f11max_functorIfEfEEDaPvRmT3_T4_T5_mT6_P12ihipStream_tbENKUlT_T0_E_clISt17integral_constantIbLb1EEST_IbLb0EEEEDaSP_SQ_EUlSP_E_NS1_11comp_targetILNS1_3genE0ELNS1_11target_archE4294967295ELNS1_3gpuE0ELNS1_3repE0EEENS1_30default_config_static_selectorELNS0_4arch9wavefront6targetE1EEEvT1_,comdat
	.protected	_ZN7rocprim17ROCPRIM_400000_NS6detail17trampoline_kernelINS0_14default_configENS1_20scan_config_selectorIfEEZZNS1_9scan_implILNS1_25lookback_scan_determinismE0ELb1ELb1ES3_N6thrust23THRUST_200600_302600_NS6detail15normal_iteratorINS9_10device_ptrIfEEEESE_f11max_functorIfEfEEDaPvRmT3_T4_T5_mT6_P12ihipStream_tbENKUlT_T0_E_clISt17integral_constantIbLb1EEST_IbLb0EEEEDaSP_SQ_EUlSP_E_NS1_11comp_targetILNS1_3genE0ELNS1_11target_archE4294967295ELNS1_3gpuE0ELNS1_3repE0EEENS1_30default_config_static_selectorELNS0_4arch9wavefront6targetE1EEEvT1_ ; -- Begin function _ZN7rocprim17ROCPRIM_400000_NS6detail17trampoline_kernelINS0_14default_configENS1_20scan_config_selectorIfEEZZNS1_9scan_implILNS1_25lookback_scan_determinismE0ELb1ELb1ES3_N6thrust23THRUST_200600_302600_NS6detail15normal_iteratorINS9_10device_ptrIfEEEESE_f11max_functorIfEfEEDaPvRmT3_T4_T5_mT6_P12ihipStream_tbENKUlT_T0_E_clISt17integral_constantIbLb1EEST_IbLb0EEEEDaSP_SQ_EUlSP_E_NS1_11comp_targetILNS1_3genE0ELNS1_11target_archE4294967295ELNS1_3gpuE0ELNS1_3repE0EEENS1_30default_config_static_selectorELNS0_4arch9wavefront6targetE1EEEvT1_
	.globl	_ZN7rocprim17ROCPRIM_400000_NS6detail17trampoline_kernelINS0_14default_configENS1_20scan_config_selectorIfEEZZNS1_9scan_implILNS1_25lookback_scan_determinismE0ELb1ELb1ES3_N6thrust23THRUST_200600_302600_NS6detail15normal_iteratorINS9_10device_ptrIfEEEESE_f11max_functorIfEfEEDaPvRmT3_T4_T5_mT6_P12ihipStream_tbENKUlT_T0_E_clISt17integral_constantIbLb1EEST_IbLb0EEEEDaSP_SQ_EUlSP_E_NS1_11comp_targetILNS1_3genE0ELNS1_11target_archE4294967295ELNS1_3gpuE0ELNS1_3repE0EEENS1_30default_config_static_selectorELNS0_4arch9wavefront6targetE1EEEvT1_
	.p2align	8
	.type	_ZN7rocprim17ROCPRIM_400000_NS6detail17trampoline_kernelINS0_14default_configENS1_20scan_config_selectorIfEEZZNS1_9scan_implILNS1_25lookback_scan_determinismE0ELb1ELb1ES3_N6thrust23THRUST_200600_302600_NS6detail15normal_iteratorINS9_10device_ptrIfEEEESE_f11max_functorIfEfEEDaPvRmT3_T4_T5_mT6_P12ihipStream_tbENKUlT_T0_E_clISt17integral_constantIbLb1EEST_IbLb0EEEEDaSP_SQ_EUlSP_E_NS1_11comp_targetILNS1_3genE0ELNS1_11target_archE4294967295ELNS1_3gpuE0ELNS1_3repE0EEENS1_30default_config_static_selectorELNS0_4arch9wavefront6targetE1EEEvT1_,@function
_ZN7rocprim17ROCPRIM_400000_NS6detail17trampoline_kernelINS0_14default_configENS1_20scan_config_selectorIfEEZZNS1_9scan_implILNS1_25lookback_scan_determinismE0ELb1ELb1ES3_N6thrust23THRUST_200600_302600_NS6detail15normal_iteratorINS9_10device_ptrIfEEEESE_f11max_functorIfEfEEDaPvRmT3_T4_T5_mT6_P12ihipStream_tbENKUlT_T0_E_clISt17integral_constantIbLb1EEST_IbLb0EEEEDaSP_SQ_EUlSP_E_NS1_11comp_targetILNS1_3genE0ELNS1_11target_archE4294967295ELNS1_3gpuE0ELNS1_3repE0EEENS1_30default_config_static_selectorELNS0_4arch9wavefront6targetE1EEEvT1_: ; @_ZN7rocprim17ROCPRIM_400000_NS6detail17trampoline_kernelINS0_14default_configENS1_20scan_config_selectorIfEEZZNS1_9scan_implILNS1_25lookback_scan_determinismE0ELb1ELb1ES3_N6thrust23THRUST_200600_302600_NS6detail15normal_iteratorINS9_10device_ptrIfEEEESE_f11max_functorIfEfEEDaPvRmT3_T4_T5_mT6_P12ihipStream_tbENKUlT_T0_E_clISt17integral_constantIbLb1EEST_IbLb0EEEEDaSP_SQ_EUlSP_E_NS1_11comp_targetILNS1_3genE0ELNS1_11target_archE4294967295ELNS1_3gpuE0ELNS1_3repE0EEENS1_30default_config_static_selectorELNS0_4arch9wavefront6targetE1EEEvT1_
; %bb.0:
	.section	.rodata,"a",@progbits
	.p2align	6, 0x0
	.amdhsa_kernel _ZN7rocprim17ROCPRIM_400000_NS6detail17trampoline_kernelINS0_14default_configENS1_20scan_config_selectorIfEEZZNS1_9scan_implILNS1_25lookback_scan_determinismE0ELb1ELb1ES3_N6thrust23THRUST_200600_302600_NS6detail15normal_iteratorINS9_10device_ptrIfEEEESE_f11max_functorIfEfEEDaPvRmT3_T4_T5_mT6_P12ihipStream_tbENKUlT_T0_E_clISt17integral_constantIbLb1EEST_IbLb0EEEEDaSP_SQ_EUlSP_E_NS1_11comp_targetILNS1_3genE0ELNS1_11target_archE4294967295ELNS1_3gpuE0ELNS1_3repE0EEENS1_30default_config_static_selectorELNS0_4arch9wavefront6targetE1EEEvT1_
		.amdhsa_group_segment_fixed_size 0
		.amdhsa_private_segment_fixed_size 0
		.amdhsa_kernarg_size 96
		.amdhsa_user_sgpr_count 6
		.amdhsa_user_sgpr_private_segment_buffer 1
		.amdhsa_user_sgpr_dispatch_ptr 0
		.amdhsa_user_sgpr_queue_ptr 0
		.amdhsa_user_sgpr_kernarg_segment_ptr 1
		.amdhsa_user_sgpr_dispatch_id 0
		.amdhsa_user_sgpr_flat_scratch_init 0
		.amdhsa_user_sgpr_kernarg_preload_length 0
		.amdhsa_user_sgpr_kernarg_preload_offset 0
		.amdhsa_user_sgpr_private_segment_size 0
		.amdhsa_uses_dynamic_stack 0
		.amdhsa_system_sgpr_private_segment_wavefront_offset 0
		.amdhsa_system_sgpr_workgroup_id_x 1
		.amdhsa_system_sgpr_workgroup_id_y 0
		.amdhsa_system_sgpr_workgroup_id_z 0
		.amdhsa_system_sgpr_workgroup_info 0
		.amdhsa_system_vgpr_workitem_id 0
		.amdhsa_next_free_vgpr 1
		.amdhsa_next_free_sgpr 0
		.amdhsa_accum_offset 4
		.amdhsa_reserve_vcc 0
		.amdhsa_reserve_flat_scratch 0
		.amdhsa_float_round_mode_32 0
		.amdhsa_float_round_mode_16_64 0
		.amdhsa_float_denorm_mode_32 3
		.amdhsa_float_denorm_mode_16_64 3
		.amdhsa_dx10_clamp 1
		.amdhsa_ieee_mode 1
		.amdhsa_fp16_overflow 0
		.amdhsa_tg_split 0
		.amdhsa_exception_fp_ieee_invalid_op 0
		.amdhsa_exception_fp_denorm_src 0
		.amdhsa_exception_fp_ieee_div_zero 0
		.amdhsa_exception_fp_ieee_overflow 0
		.amdhsa_exception_fp_ieee_underflow 0
		.amdhsa_exception_fp_ieee_inexact 0
		.amdhsa_exception_int_div_zero 0
	.end_amdhsa_kernel
	.section	.text._ZN7rocprim17ROCPRIM_400000_NS6detail17trampoline_kernelINS0_14default_configENS1_20scan_config_selectorIfEEZZNS1_9scan_implILNS1_25lookback_scan_determinismE0ELb1ELb1ES3_N6thrust23THRUST_200600_302600_NS6detail15normal_iteratorINS9_10device_ptrIfEEEESE_f11max_functorIfEfEEDaPvRmT3_T4_T5_mT6_P12ihipStream_tbENKUlT_T0_E_clISt17integral_constantIbLb1EEST_IbLb0EEEEDaSP_SQ_EUlSP_E_NS1_11comp_targetILNS1_3genE0ELNS1_11target_archE4294967295ELNS1_3gpuE0ELNS1_3repE0EEENS1_30default_config_static_selectorELNS0_4arch9wavefront6targetE1EEEvT1_,"axG",@progbits,_ZN7rocprim17ROCPRIM_400000_NS6detail17trampoline_kernelINS0_14default_configENS1_20scan_config_selectorIfEEZZNS1_9scan_implILNS1_25lookback_scan_determinismE0ELb1ELb1ES3_N6thrust23THRUST_200600_302600_NS6detail15normal_iteratorINS9_10device_ptrIfEEEESE_f11max_functorIfEfEEDaPvRmT3_T4_T5_mT6_P12ihipStream_tbENKUlT_T0_E_clISt17integral_constantIbLb1EEST_IbLb0EEEEDaSP_SQ_EUlSP_E_NS1_11comp_targetILNS1_3genE0ELNS1_11target_archE4294967295ELNS1_3gpuE0ELNS1_3repE0EEENS1_30default_config_static_selectorELNS0_4arch9wavefront6targetE1EEEvT1_,comdat
.Lfunc_end2051:
	.size	_ZN7rocprim17ROCPRIM_400000_NS6detail17trampoline_kernelINS0_14default_configENS1_20scan_config_selectorIfEEZZNS1_9scan_implILNS1_25lookback_scan_determinismE0ELb1ELb1ES3_N6thrust23THRUST_200600_302600_NS6detail15normal_iteratorINS9_10device_ptrIfEEEESE_f11max_functorIfEfEEDaPvRmT3_T4_T5_mT6_P12ihipStream_tbENKUlT_T0_E_clISt17integral_constantIbLb1EEST_IbLb0EEEEDaSP_SQ_EUlSP_E_NS1_11comp_targetILNS1_3genE0ELNS1_11target_archE4294967295ELNS1_3gpuE0ELNS1_3repE0EEENS1_30default_config_static_selectorELNS0_4arch9wavefront6targetE1EEEvT1_, .Lfunc_end2051-_ZN7rocprim17ROCPRIM_400000_NS6detail17trampoline_kernelINS0_14default_configENS1_20scan_config_selectorIfEEZZNS1_9scan_implILNS1_25lookback_scan_determinismE0ELb1ELb1ES3_N6thrust23THRUST_200600_302600_NS6detail15normal_iteratorINS9_10device_ptrIfEEEESE_f11max_functorIfEfEEDaPvRmT3_T4_T5_mT6_P12ihipStream_tbENKUlT_T0_E_clISt17integral_constantIbLb1EEST_IbLb0EEEEDaSP_SQ_EUlSP_E_NS1_11comp_targetILNS1_3genE0ELNS1_11target_archE4294967295ELNS1_3gpuE0ELNS1_3repE0EEENS1_30default_config_static_selectorELNS0_4arch9wavefront6targetE1EEEvT1_
                                        ; -- End function
	.section	.AMDGPU.csdata,"",@progbits
; Kernel info:
; codeLenInByte = 0
; NumSgprs: 4
; NumVgprs: 0
; NumAgprs: 0
; TotalNumVgprs: 0
; ScratchSize: 0
; MemoryBound: 0
; FloatMode: 240
; IeeeMode: 1
; LDSByteSize: 0 bytes/workgroup (compile time only)
; SGPRBlocks: 0
; VGPRBlocks: 0
; NumSGPRsForWavesPerEU: 4
; NumVGPRsForWavesPerEU: 1
; AccumOffset: 4
; Occupancy: 8
; WaveLimiterHint : 0
; COMPUTE_PGM_RSRC2:SCRATCH_EN: 0
; COMPUTE_PGM_RSRC2:USER_SGPR: 6
; COMPUTE_PGM_RSRC2:TRAP_HANDLER: 0
; COMPUTE_PGM_RSRC2:TGID_X_EN: 1
; COMPUTE_PGM_RSRC2:TGID_Y_EN: 0
; COMPUTE_PGM_RSRC2:TGID_Z_EN: 0
; COMPUTE_PGM_RSRC2:TIDIG_COMP_CNT: 0
; COMPUTE_PGM_RSRC3_GFX90A:ACCUM_OFFSET: 0
; COMPUTE_PGM_RSRC3_GFX90A:TG_SPLIT: 0
	.section	.text._ZN7rocprim17ROCPRIM_400000_NS6detail17trampoline_kernelINS0_14default_configENS1_20scan_config_selectorIfEEZZNS1_9scan_implILNS1_25lookback_scan_determinismE0ELb1ELb1ES3_N6thrust23THRUST_200600_302600_NS6detail15normal_iteratorINS9_10device_ptrIfEEEESE_f11max_functorIfEfEEDaPvRmT3_T4_T5_mT6_P12ihipStream_tbENKUlT_T0_E_clISt17integral_constantIbLb1EEST_IbLb0EEEEDaSP_SQ_EUlSP_E_NS1_11comp_targetILNS1_3genE5ELNS1_11target_archE942ELNS1_3gpuE9ELNS1_3repE0EEENS1_30default_config_static_selectorELNS0_4arch9wavefront6targetE1EEEvT1_,"axG",@progbits,_ZN7rocprim17ROCPRIM_400000_NS6detail17trampoline_kernelINS0_14default_configENS1_20scan_config_selectorIfEEZZNS1_9scan_implILNS1_25lookback_scan_determinismE0ELb1ELb1ES3_N6thrust23THRUST_200600_302600_NS6detail15normal_iteratorINS9_10device_ptrIfEEEESE_f11max_functorIfEfEEDaPvRmT3_T4_T5_mT6_P12ihipStream_tbENKUlT_T0_E_clISt17integral_constantIbLb1EEST_IbLb0EEEEDaSP_SQ_EUlSP_E_NS1_11comp_targetILNS1_3genE5ELNS1_11target_archE942ELNS1_3gpuE9ELNS1_3repE0EEENS1_30default_config_static_selectorELNS0_4arch9wavefront6targetE1EEEvT1_,comdat
	.protected	_ZN7rocprim17ROCPRIM_400000_NS6detail17trampoline_kernelINS0_14default_configENS1_20scan_config_selectorIfEEZZNS1_9scan_implILNS1_25lookback_scan_determinismE0ELb1ELb1ES3_N6thrust23THRUST_200600_302600_NS6detail15normal_iteratorINS9_10device_ptrIfEEEESE_f11max_functorIfEfEEDaPvRmT3_T4_T5_mT6_P12ihipStream_tbENKUlT_T0_E_clISt17integral_constantIbLb1EEST_IbLb0EEEEDaSP_SQ_EUlSP_E_NS1_11comp_targetILNS1_3genE5ELNS1_11target_archE942ELNS1_3gpuE9ELNS1_3repE0EEENS1_30default_config_static_selectorELNS0_4arch9wavefront6targetE1EEEvT1_ ; -- Begin function _ZN7rocprim17ROCPRIM_400000_NS6detail17trampoline_kernelINS0_14default_configENS1_20scan_config_selectorIfEEZZNS1_9scan_implILNS1_25lookback_scan_determinismE0ELb1ELb1ES3_N6thrust23THRUST_200600_302600_NS6detail15normal_iteratorINS9_10device_ptrIfEEEESE_f11max_functorIfEfEEDaPvRmT3_T4_T5_mT6_P12ihipStream_tbENKUlT_T0_E_clISt17integral_constantIbLb1EEST_IbLb0EEEEDaSP_SQ_EUlSP_E_NS1_11comp_targetILNS1_3genE5ELNS1_11target_archE942ELNS1_3gpuE9ELNS1_3repE0EEENS1_30default_config_static_selectorELNS0_4arch9wavefront6targetE1EEEvT1_
	.globl	_ZN7rocprim17ROCPRIM_400000_NS6detail17trampoline_kernelINS0_14default_configENS1_20scan_config_selectorIfEEZZNS1_9scan_implILNS1_25lookback_scan_determinismE0ELb1ELb1ES3_N6thrust23THRUST_200600_302600_NS6detail15normal_iteratorINS9_10device_ptrIfEEEESE_f11max_functorIfEfEEDaPvRmT3_T4_T5_mT6_P12ihipStream_tbENKUlT_T0_E_clISt17integral_constantIbLb1EEST_IbLb0EEEEDaSP_SQ_EUlSP_E_NS1_11comp_targetILNS1_3genE5ELNS1_11target_archE942ELNS1_3gpuE9ELNS1_3repE0EEENS1_30default_config_static_selectorELNS0_4arch9wavefront6targetE1EEEvT1_
	.p2align	8
	.type	_ZN7rocprim17ROCPRIM_400000_NS6detail17trampoline_kernelINS0_14default_configENS1_20scan_config_selectorIfEEZZNS1_9scan_implILNS1_25lookback_scan_determinismE0ELb1ELb1ES3_N6thrust23THRUST_200600_302600_NS6detail15normal_iteratorINS9_10device_ptrIfEEEESE_f11max_functorIfEfEEDaPvRmT3_T4_T5_mT6_P12ihipStream_tbENKUlT_T0_E_clISt17integral_constantIbLb1EEST_IbLb0EEEEDaSP_SQ_EUlSP_E_NS1_11comp_targetILNS1_3genE5ELNS1_11target_archE942ELNS1_3gpuE9ELNS1_3repE0EEENS1_30default_config_static_selectorELNS0_4arch9wavefront6targetE1EEEvT1_,@function
_ZN7rocprim17ROCPRIM_400000_NS6detail17trampoline_kernelINS0_14default_configENS1_20scan_config_selectorIfEEZZNS1_9scan_implILNS1_25lookback_scan_determinismE0ELb1ELb1ES3_N6thrust23THRUST_200600_302600_NS6detail15normal_iteratorINS9_10device_ptrIfEEEESE_f11max_functorIfEfEEDaPvRmT3_T4_T5_mT6_P12ihipStream_tbENKUlT_T0_E_clISt17integral_constantIbLb1EEST_IbLb0EEEEDaSP_SQ_EUlSP_E_NS1_11comp_targetILNS1_3genE5ELNS1_11target_archE942ELNS1_3gpuE9ELNS1_3repE0EEENS1_30default_config_static_selectorELNS0_4arch9wavefront6targetE1EEEvT1_: ; @_ZN7rocprim17ROCPRIM_400000_NS6detail17trampoline_kernelINS0_14default_configENS1_20scan_config_selectorIfEEZZNS1_9scan_implILNS1_25lookback_scan_determinismE0ELb1ELb1ES3_N6thrust23THRUST_200600_302600_NS6detail15normal_iteratorINS9_10device_ptrIfEEEESE_f11max_functorIfEfEEDaPvRmT3_T4_T5_mT6_P12ihipStream_tbENKUlT_T0_E_clISt17integral_constantIbLb1EEST_IbLb0EEEEDaSP_SQ_EUlSP_E_NS1_11comp_targetILNS1_3genE5ELNS1_11target_archE942ELNS1_3gpuE9ELNS1_3repE0EEENS1_30default_config_static_selectorELNS0_4arch9wavefront6targetE1EEEvT1_
; %bb.0:
	.section	.rodata,"a",@progbits
	.p2align	6, 0x0
	.amdhsa_kernel _ZN7rocprim17ROCPRIM_400000_NS6detail17trampoline_kernelINS0_14default_configENS1_20scan_config_selectorIfEEZZNS1_9scan_implILNS1_25lookback_scan_determinismE0ELb1ELb1ES3_N6thrust23THRUST_200600_302600_NS6detail15normal_iteratorINS9_10device_ptrIfEEEESE_f11max_functorIfEfEEDaPvRmT3_T4_T5_mT6_P12ihipStream_tbENKUlT_T0_E_clISt17integral_constantIbLb1EEST_IbLb0EEEEDaSP_SQ_EUlSP_E_NS1_11comp_targetILNS1_3genE5ELNS1_11target_archE942ELNS1_3gpuE9ELNS1_3repE0EEENS1_30default_config_static_selectorELNS0_4arch9wavefront6targetE1EEEvT1_
		.amdhsa_group_segment_fixed_size 0
		.amdhsa_private_segment_fixed_size 0
		.amdhsa_kernarg_size 96
		.amdhsa_user_sgpr_count 6
		.amdhsa_user_sgpr_private_segment_buffer 1
		.amdhsa_user_sgpr_dispatch_ptr 0
		.amdhsa_user_sgpr_queue_ptr 0
		.amdhsa_user_sgpr_kernarg_segment_ptr 1
		.amdhsa_user_sgpr_dispatch_id 0
		.amdhsa_user_sgpr_flat_scratch_init 0
		.amdhsa_user_sgpr_kernarg_preload_length 0
		.amdhsa_user_sgpr_kernarg_preload_offset 0
		.amdhsa_user_sgpr_private_segment_size 0
		.amdhsa_uses_dynamic_stack 0
		.amdhsa_system_sgpr_private_segment_wavefront_offset 0
		.amdhsa_system_sgpr_workgroup_id_x 1
		.amdhsa_system_sgpr_workgroup_id_y 0
		.amdhsa_system_sgpr_workgroup_id_z 0
		.amdhsa_system_sgpr_workgroup_info 0
		.amdhsa_system_vgpr_workitem_id 0
		.amdhsa_next_free_vgpr 1
		.amdhsa_next_free_sgpr 0
		.amdhsa_accum_offset 4
		.amdhsa_reserve_vcc 0
		.amdhsa_reserve_flat_scratch 0
		.amdhsa_float_round_mode_32 0
		.amdhsa_float_round_mode_16_64 0
		.amdhsa_float_denorm_mode_32 3
		.amdhsa_float_denorm_mode_16_64 3
		.amdhsa_dx10_clamp 1
		.amdhsa_ieee_mode 1
		.amdhsa_fp16_overflow 0
		.amdhsa_tg_split 0
		.amdhsa_exception_fp_ieee_invalid_op 0
		.amdhsa_exception_fp_denorm_src 0
		.amdhsa_exception_fp_ieee_div_zero 0
		.amdhsa_exception_fp_ieee_overflow 0
		.amdhsa_exception_fp_ieee_underflow 0
		.amdhsa_exception_fp_ieee_inexact 0
		.amdhsa_exception_int_div_zero 0
	.end_amdhsa_kernel
	.section	.text._ZN7rocprim17ROCPRIM_400000_NS6detail17trampoline_kernelINS0_14default_configENS1_20scan_config_selectorIfEEZZNS1_9scan_implILNS1_25lookback_scan_determinismE0ELb1ELb1ES3_N6thrust23THRUST_200600_302600_NS6detail15normal_iteratorINS9_10device_ptrIfEEEESE_f11max_functorIfEfEEDaPvRmT3_T4_T5_mT6_P12ihipStream_tbENKUlT_T0_E_clISt17integral_constantIbLb1EEST_IbLb0EEEEDaSP_SQ_EUlSP_E_NS1_11comp_targetILNS1_3genE5ELNS1_11target_archE942ELNS1_3gpuE9ELNS1_3repE0EEENS1_30default_config_static_selectorELNS0_4arch9wavefront6targetE1EEEvT1_,"axG",@progbits,_ZN7rocprim17ROCPRIM_400000_NS6detail17trampoline_kernelINS0_14default_configENS1_20scan_config_selectorIfEEZZNS1_9scan_implILNS1_25lookback_scan_determinismE0ELb1ELb1ES3_N6thrust23THRUST_200600_302600_NS6detail15normal_iteratorINS9_10device_ptrIfEEEESE_f11max_functorIfEfEEDaPvRmT3_T4_T5_mT6_P12ihipStream_tbENKUlT_T0_E_clISt17integral_constantIbLb1EEST_IbLb0EEEEDaSP_SQ_EUlSP_E_NS1_11comp_targetILNS1_3genE5ELNS1_11target_archE942ELNS1_3gpuE9ELNS1_3repE0EEENS1_30default_config_static_selectorELNS0_4arch9wavefront6targetE1EEEvT1_,comdat
.Lfunc_end2052:
	.size	_ZN7rocprim17ROCPRIM_400000_NS6detail17trampoline_kernelINS0_14default_configENS1_20scan_config_selectorIfEEZZNS1_9scan_implILNS1_25lookback_scan_determinismE0ELb1ELb1ES3_N6thrust23THRUST_200600_302600_NS6detail15normal_iteratorINS9_10device_ptrIfEEEESE_f11max_functorIfEfEEDaPvRmT3_T4_T5_mT6_P12ihipStream_tbENKUlT_T0_E_clISt17integral_constantIbLb1EEST_IbLb0EEEEDaSP_SQ_EUlSP_E_NS1_11comp_targetILNS1_3genE5ELNS1_11target_archE942ELNS1_3gpuE9ELNS1_3repE0EEENS1_30default_config_static_selectorELNS0_4arch9wavefront6targetE1EEEvT1_, .Lfunc_end2052-_ZN7rocprim17ROCPRIM_400000_NS6detail17trampoline_kernelINS0_14default_configENS1_20scan_config_selectorIfEEZZNS1_9scan_implILNS1_25lookback_scan_determinismE0ELb1ELb1ES3_N6thrust23THRUST_200600_302600_NS6detail15normal_iteratorINS9_10device_ptrIfEEEESE_f11max_functorIfEfEEDaPvRmT3_T4_T5_mT6_P12ihipStream_tbENKUlT_T0_E_clISt17integral_constantIbLb1EEST_IbLb0EEEEDaSP_SQ_EUlSP_E_NS1_11comp_targetILNS1_3genE5ELNS1_11target_archE942ELNS1_3gpuE9ELNS1_3repE0EEENS1_30default_config_static_selectorELNS0_4arch9wavefront6targetE1EEEvT1_
                                        ; -- End function
	.section	.AMDGPU.csdata,"",@progbits
; Kernel info:
; codeLenInByte = 0
; NumSgprs: 4
; NumVgprs: 0
; NumAgprs: 0
; TotalNumVgprs: 0
; ScratchSize: 0
; MemoryBound: 0
; FloatMode: 240
; IeeeMode: 1
; LDSByteSize: 0 bytes/workgroup (compile time only)
; SGPRBlocks: 0
; VGPRBlocks: 0
; NumSGPRsForWavesPerEU: 4
; NumVGPRsForWavesPerEU: 1
; AccumOffset: 4
; Occupancy: 8
; WaveLimiterHint : 0
; COMPUTE_PGM_RSRC2:SCRATCH_EN: 0
; COMPUTE_PGM_RSRC2:USER_SGPR: 6
; COMPUTE_PGM_RSRC2:TRAP_HANDLER: 0
; COMPUTE_PGM_RSRC2:TGID_X_EN: 1
; COMPUTE_PGM_RSRC2:TGID_Y_EN: 0
; COMPUTE_PGM_RSRC2:TGID_Z_EN: 0
; COMPUTE_PGM_RSRC2:TIDIG_COMP_CNT: 0
; COMPUTE_PGM_RSRC3_GFX90A:ACCUM_OFFSET: 0
; COMPUTE_PGM_RSRC3_GFX90A:TG_SPLIT: 0
	.section	.text._ZN7rocprim17ROCPRIM_400000_NS6detail17trampoline_kernelINS0_14default_configENS1_20scan_config_selectorIfEEZZNS1_9scan_implILNS1_25lookback_scan_determinismE0ELb1ELb1ES3_N6thrust23THRUST_200600_302600_NS6detail15normal_iteratorINS9_10device_ptrIfEEEESE_f11max_functorIfEfEEDaPvRmT3_T4_T5_mT6_P12ihipStream_tbENKUlT_T0_E_clISt17integral_constantIbLb1EEST_IbLb0EEEEDaSP_SQ_EUlSP_E_NS1_11comp_targetILNS1_3genE4ELNS1_11target_archE910ELNS1_3gpuE8ELNS1_3repE0EEENS1_30default_config_static_selectorELNS0_4arch9wavefront6targetE1EEEvT1_,"axG",@progbits,_ZN7rocprim17ROCPRIM_400000_NS6detail17trampoline_kernelINS0_14default_configENS1_20scan_config_selectorIfEEZZNS1_9scan_implILNS1_25lookback_scan_determinismE0ELb1ELb1ES3_N6thrust23THRUST_200600_302600_NS6detail15normal_iteratorINS9_10device_ptrIfEEEESE_f11max_functorIfEfEEDaPvRmT3_T4_T5_mT6_P12ihipStream_tbENKUlT_T0_E_clISt17integral_constantIbLb1EEST_IbLb0EEEEDaSP_SQ_EUlSP_E_NS1_11comp_targetILNS1_3genE4ELNS1_11target_archE910ELNS1_3gpuE8ELNS1_3repE0EEENS1_30default_config_static_selectorELNS0_4arch9wavefront6targetE1EEEvT1_,comdat
	.protected	_ZN7rocprim17ROCPRIM_400000_NS6detail17trampoline_kernelINS0_14default_configENS1_20scan_config_selectorIfEEZZNS1_9scan_implILNS1_25lookback_scan_determinismE0ELb1ELb1ES3_N6thrust23THRUST_200600_302600_NS6detail15normal_iteratorINS9_10device_ptrIfEEEESE_f11max_functorIfEfEEDaPvRmT3_T4_T5_mT6_P12ihipStream_tbENKUlT_T0_E_clISt17integral_constantIbLb1EEST_IbLb0EEEEDaSP_SQ_EUlSP_E_NS1_11comp_targetILNS1_3genE4ELNS1_11target_archE910ELNS1_3gpuE8ELNS1_3repE0EEENS1_30default_config_static_selectorELNS0_4arch9wavefront6targetE1EEEvT1_ ; -- Begin function _ZN7rocprim17ROCPRIM_400000_NS6detail17trampoline_kernelINS0_14default_configENS1_20scan_config_selectorIfEEZZNS1_9scan_implILNS1_25lookback_scan_determinismE0ELb1ELb1ES3_N6thrust23THRUST_200600_302600_NS6detail15normal_iteratorINS9_10device_ptrIfEEEESE_f11max_functorIfEfEEDaPvRmT3_T4_T5_mT6_P12ihipStream_tbENKUlT_T0_E_clISt17integral_constantIbLb1EEST_IbLb0EEEEDaSP_SQ_EUlSP_E_NS1_11comp_targetILNS1_3genE4ELNS1_11target_archE910ELNS1_3gpuE8ELNS1_3repE0EEENS1_30default_config_static_selectorELNS0_4arch9wavefront6targetE1EEEvT1_
	.globl	_ZN7rocprim17ROCPRIM_400000_NS6detail17trampoline_kernelINS0_14default_configENS1_20scan_config_selectorIfEEZZNS1_9scan_implILNS1_25lookback_scan_determinismE0ELb1ELb1ES3_N6thrust23THRUST_200600_302600_NS6detail15normal_iteratorINS9_10device_ptrIfEEEESE_f11max_functorIfEfEEDaPvRmT3_T4_T5_mT6_P12ihipStream_tbENKUlT_T0_E_clISt17integral_constantIbLb1EEST_IbLb0EEEEDaSP_SQ_EUlSP_E_NS1_11comp_targetILNS1_3genE4ELNS1_11target_archE910ELNS1_3gpuE8ELNS1_3repE0EEENS1_30default_config_static_selectorELNS0_4arch9wavefront6targetE1EEEvT1_
	.p2align	8
	.type	_ZN7rocprim17ROCPRIM_400000_NS6detail17trampoline_kernelINS0_14default_configENS1_20scan_config_selectorIfEEZZNS1_9scan_implILNS1_25lookback_scan_determinismE0ELb1ELb1ES3_N6thrust23THRUST_200600_302600_NS6detail15normal_iteratorINS9_10device_ptrIfEEEESE_f11max_functorIfEfEEDaPvRmT3_T4_T5_mT6_P12ihipStream_tbENKUlT_T0_E_clISt17integral_constantIbLb1EEST_IbLb0EEEEDaSP_SQ_EUlSP_E_NS1_11comp_targetILNS1_3genE4ELNS1_11target_archE910ELNS1_3gpuE8ELNS1_3repE0EEENS1_30default_config_static_selectorELNS0_4arch9wavefront6targetE1EEEvT1_,@function
_ZN7rocprim17ROCPRIM_400000_NS6detail17trampoline_kernelINS0_14default_configENS1_20scan_config_selectorIfEEZZNS1_9scan_implILNS1_25lookback_scan_determinismE0ELb1ELb1ES3_N6thrust23THRUST_200600_302600_NS6detail15normal_iteratorINS9_10device_ptrIfEEEESE_f11max_functorIfEfEEDaPvRmT3_T4_T5_mT6_P12ihipStream_tbENKUlT_T0_E_clISt17integral_constantIbLb1EEST_IbLb0EEEEDaSP_SQ_EUlSP_E_NS1_11comp_targetILNS1_3genE4ELNS1_11target_archE910ELNS1_3gpuE8ELNS1_3repE0EEENS1_30default_config_static_selectorELNS0_4arch9wavefront6targetE1EEEvT1_: ; @_ZN7rocprim17ROCPRIM_400000_NS6detail17trampoline_kernelINS0_14default_configENS1_20scan_config_selectorIfEEZZNS1_9scan_implILNS1_25lookback_scan_determinismE0ELb1ELb1ES3_N6thrust23THRUST_200600_302600_NS6detail15normal_iteratorINS9_10device_ptrIfEEEESE_f11max_functorIfEfEEDaPvRmT3_T4_T5_mT6_P12ihipStream_tbENKUlT_T0_E_clISt17integral_constantIbLb1EEST_IbLb0EEEEDaSP_SQ_EUlSP_E_NS1_11comp_targetILNS1_3genE4ELNS1_11target_archE910ELNS1_3gpuE8ELNS1_3repE0EEENS1_30default_config_static_selectorELNS0_4arch9wavefront6targetE1EEEvT1_
; %bb.0:
	s_load_dwordx8 s[8:15], s[4:5], 0x0
	s_load_dword s1, s[4:5], 0x30
	s_mul_i32 s0, s6, 0x700
	v_lshlrev_b32_e32 v32, 2, v0
	s_waitcnt lgkmcnt(0)
	s_lshl_b64 s[24:25], s[10:11], 2
	s_add_u32 s7, s8, s24
	s_addc_u32 s33, s9, s25
	s_add_i32 s2, s1, -1
	s_mul_i32 s3, s2, 0x700
	s_sub_u32 s30, s14, s3
	s_subb_u32 s31, s15, 0
	s_mov_b32 s1, 0
	s_cmp_lg_u32 s6, s2
	s_cselect_b64 s[14:15], -1, 0
	s_lshl_b64 s[26:27], s[0:1], 2
	s_add_u32 s2, s7, s26
	s_addc_u32 s3, s33, s27
	s_mov_b64 s[0:1], -1
	s_and_b64 vcc, exec, s[14:15]
	s_cbranch_vccz .LBB2053_2
; %bb.1:
	v_mov_b32_e32 v1, s3
	v_add_co_u32_e32 v2, vcc, s2, v32
	v_addc_co_u32_e32 v3, vcc, 0, v1, vcc
	flat_load_dword v1, v[2:3]
	flat_load_dword v4, v[2:3] offset:512
	flat_load_dword v5, v[2:3] offset:1024
	;; [unrolled: 1-line block ×7, first 2 shown]
	v_add_co_u32_e32 v2, vcc, 0x1000, v2
	v_addc_co_u32_e32 v3, vcc, 0, v3, vcc
	flat_load_dword v11, v[2:3]
	flat_load_dword v12, v[2:3] offset:512
	flat_load_dword v13, v[2:3] offset:1024
	;; [unrolled: 1-line block ×5, first 2 shown]
	s_mov_b64 s[0:1], 0
	s_waitcnt vmcnt(0) lgkmcnt(0)
	ds_write2st64_b32 v32, v1, v4 offset1:2
	ds_write2st64_b32 v32, v5, v6 offset0:4 offset1:6
	ds_write2st64_b32 v32, v7, v8 offset0:8 offset1:10
	;; [unrolled: 1-line block ×6, first 2 shown]
	s_waitcnt lgkmcnt(0)
	s_barrier
.LBB2053_2:
	s_load_dwordx2 s[28:29], s[4:5], 0x28
	s_andn2_b64 vcc, exec, s[0:1]
	v_cmp_gt_u32_e64 s[0:1], s30, v0
	s_cbranch_vccnz .LBB2053_32
; %bb.3:
	v_pk_mov_b32 v[2:3], s[2:3], s[2:3] op_sel:[0,1]
	flat_load_dword v1, v[2:3]
	s_waitcnt vmcnt(0) lgkmcnt(0)
	v_mov_b32_e32 v2, v1
	v_mov_b32_e32 v3, v1
	;; [unrolled: 1-line block ×12, first 2 shown]
	v_pk_mov_b32 v[16:17], v[14:15], v[14:15] op_sel:[0,1]
	v_pk_mov_b32 v[14:15], v[12:13], v[12:13] op_sel:[0,1]
	;; [unrolled: 1-line block ×8, first 2 shown]
	s_and_saveexec_b64 s[8:9], s[0:1]
	s_cbranch_execz .LBB2053_5
; %bb.4:
	v_mov_b32_e32 v3, s3
	v_add_co_u32_e32 v2, vcc, s2, v32
	v_addc_co_u32_e32 v3, vcc, 0, v3, vcc
	flat_load_dword v18, v[2:3]
	v_mov_b32_e32 v2, v1
	v_mov_b32_e32 v3, v1
	v_mov_b32_e32 v4, v1
	v_mov_b32_e32 v5, v1
	v_mov_b32_e32 v6, v1
	v_mov_b32_e32 v7, v1
	v_mov_b32_e32 v8, v1
	v_mov_b32_e32 v9, v1
	v_mov_b32_e32 v10, v1
	v_mov_b32_e32 v11, v1
	v_mov_b32_e32 v12, v1
	v_mov_b32_e32 v13, v1
	v_pk_mov_b32 v[16:17], v[14:15], v[14:15] op_sel:[0,1]
	v_pk_mov_b32 v[14:15], v[12:13], v[12:13] op_sel:[0,1]
	;; [unrolled: 1-line block ×8, first 2 shown]
	s_waitcnt vmcnt(0) lgkmcnt(0)
	v_mov_b32_e32 v1, v18
.LBB2053_5:
	s_or_b64 exec, exec, s[8:9]
	v_or_b32_e32 v2, 0x80, v0
	v_cmp_gt_u32_e32 vcc, s30, v2
	s_and_saveexec_b64 s[0:1], vcc
	s_cbranch_execz .LBB2053_7
; %bb.6:
	v_mov_b32_e32 v3, s3
	v_add_co_u32_e32 v2, vcc, s2, v32
	v_addc_co_u32_e32 v3, vcc, 0, v3, vcc
	flat_load_dword v3, v[2:3] offset:512
.LBB2053_7:
	s_or_b64 exec, exec, s[0:1]
	v_or_b32_e32 v2, 0x100, v0
	v_cmp_gt_u32_e32 vcc, s30, v2
	s_and_saveexec_b64 s[0:1], vcc
	s_cbranch_execz .LBB2053_9
; %bb.8:
	v_mov_b32_e32 v2, s3
	v_add_co_u32_e32 v16, vcc, s2, v32
	v_addc_co_u32_e32 v17, vcc, 0, v2, vcc
	flat_load_dword v4, v[16:17] offset:1024
.LBB2053_9:
	;; [unrolled: 11-line block ×7, first 2 shown]
	s_or_b64 exec, exec, s[0:1]
	v_or_b32_e32 v2, 0x400, v0
	v_cmp_gt_u32_e32 vcc, s30, v2
	s_and_saveexec_b64 s[0:1], vcc
	s_cbranch_execz .LBB2053_21
; %bb.20:
	v_lshlrev_b32_e32 v2, 2, v2
	v_mov_b32_e32 v10, s3
	v_add_co_u32_e32 v16, vcc, s2, v2
	v_addc_co_u32_e32 v17, vcc, 0, v10, vcc
	flat_load_dword v10, v[16:17]
.LBB2053_21:
	s_or_b64 exec, exec, s[0:1]
	v_or_b32_e32 v2, 0x480, v0
	v_cmp_gt_u32_e32 vcc, s30, v2
	s_and_saveexec_b64 s[0:1], vcc
	s_cbranch_execz .LBB2053_23
; %bb.22:
	v_lshlrev_b32_e32 v2, 2, v2
	v_mov_b32_e32 v11, s3
	v_add_co_u32_e32 v16, vcc, s2, v2
	v_addc_co_u32_e32 v17, vcc, 0, v11, vcc
	flat_load_dword v11, v[16:17]
.LBB2053_23:
	;; [unrolled: 12-line block ×6, first 2 shown]
	s_or_b64 exec, exec, s[0:1]
	s_waitcnt vmcnt(0) lgkmcnt(0)
	ds_write2st64_b32 v32, v1, v3 offset1:2
	ds_write2st64_b32 v32, v4, v5 offset0:4 offset1:6
	ds_write2st64_b32 v32, v6, v7 offset0:8 offset1:10
	ds_write2st64_b32 v32, v8, v9 offset0:12 offset1:14
	ds_write2st64_b32 v32, v10, v11 offset0:16 offset1:18
	ds_write2st64_b32 v32, v12, v13 offset0:20 offset1:22
	ds_write2st64_b32 v32, v14, v15 offset0:24 offset1:26
	s_waitcnt lgkmcnt(0)
	s_barrier
.LBB2053_32:
	v_mul_u32_u24_e32 v33, 14, v0
	v_lshlrev_b32_e32 v34, 2, v33
	s_waitcnt lgkmcnt(0)
	ds_read2_b64 v[26:29], v34 offset1:1
	ds_read2_b64 v[22:25], v34 offset0:2 offset1:3
	ds_read2_b64 v[18:21], v34 offset0:4 offset1:5
	ds_read_b64 v[30:31], v34 offset:48
	s_cmp_lg_u32 s6, 0
	s_waitcnt lgkmcnt(3)
	v_cmp_lt_f32_e64 s[0:1], v26, v27
	v_lshrrev_b32_e32 v1, 5, v0
	v_cmp_gt_u32_e32 vcc, 64, v0
	s_waitcnt lgkmcnt(0)
	s_barrier
	s_cbranch_scc0 .LBB2053_61
; %bb.33:
	v_cndmask_b32_e64 v2, v26, v27, s[0:1]
	v_cmp_lt_f32_e64 s[0:1], v2, v28
	v_cndmask_b32_e64 v2, v2, v28, s[0:1]
	v_cmp_lt_f32_e64 s[0:1], v2, v29
	;; [unrolled: 2-line block ×12, first 2 shown]
	v_cndmask_b32_e64 v12, v2, v31, s[0:1]
	v_add_lshl_u32 v2, v1, v0, 2
	ds_write_b32 v2, v12
	s_waitcnt lgkmcnt(0)
	s_barrier
	s_and_saveexec_b64 s[16:17], vcc
	s_cbranch_execz .LBB2053_35
; %bb.34:
	v_lshlrev_b32_e32 v2, 1, v0
	v_lshrrev_b32_e32 v3, 4, v0
	v_add_lshl_u32 v4, v3, v2, 2
	ds_read2_b32 v[2:3], v4 offset1:1
	v_mbcnt_lo_u32_b32 v5, -1, 0
	v_mbcnt_hi_u32_b32 v5, -1, v5
	v_and_b32_e32 v6, 15, v5
	v_cmp_lt_u32_e64 s[10:11], 31, v5
	s_waitcnt lgkmcnt(0)
	v_cmp_lt_f32_e64 s[0:1], v2, v3
	v_cndmask_b32_e64 v3, v2, v3, s[0:1]
	v_cmp_gt_u32_e64 s[8:9], 32, v5
	s_nop 0
	v_mov_b32_dpp v7, v3 row_shr:1 row_mask:0xf bank_mask:0xf
	v_cmp_gt_f32_e64 s[0:1], v3, v7
	v_cndmask_b32_e64 v7, v7, v3, s[0:1]
	v_cmp_eq_u32_e64 s[0:1], 0, v6
	v_cndmask_b32_e64 v3, v7, v3, s[0:1]
	; wave barrier
	s_nop 1
	v_mov_b32_dpp v7, v3 row_shr:2 row_mask:0xf bank_mask:0xf
	v_cmp_gt_f32_e64 s[0:1], v3, v7
	v_cndmask_b32_e64 v7, v7, v3, s[0:1]
	v_cmp_lt_u32_e64 s[0:1], 1, v6
	v_cndmask_b32_e64 v7, v3, v7, s[0:1]
	s_nop 1
	v_mov_b32_dpp v8, v7 row_shr:4 row_mask:0xf bank_mask:0xf
	v_cmp_gt_f32_e64 s[2:3], v7, v8
	v_cndmask_b32_e64 v8, v8, v7, s[2:3]
	v_cmp_lt_u32_e64 s[2:3], 3, v6
	v_cndmask_b32_e64 v7, v7, v8, s[2:3]
	;; [unrolled: 6-line block ×3, first 2 shown]
	v_and_b32_e32 v8, 16, v5
	s_nop 0
	v_mov_b32_dpp v7, v6 row_bcast:15 row_mask:0xf bank_mask:0xf
	v_cmp_gt_f32_e64 s[2:3], v6, v7
	v_cndmask_b32_e64 v7, v7, v6, s[2:3]
	v_cmp_ne_u32_e64 s[2:3], 0, v8
	v_cndmask_b32_e64 v6, v6, v7, s[2:3]
	s_or_b64 s[10:11], s[2:3], s[10:11]
	s_or_b64 s[0:1], s[0:1], s[10:11]
	v_mov_b32_dpp v7, v6 row_bcast:31 row_mask:0xf bank_mask:0xf
	v_cmp_gt_f32_e64 s[2:3], v6, v7
	s_or_b64 s[2:3], s[8:9], s[2:3]
	v_cndmask_b32_e64 v6, v7, v6, s[2:3]
	v_cndmask_b32_e64 v3, v3, v6, s[0:1]
	v_add_u32_e32 v6, -1, v5
	v_and_b32_e32 v7, 64, v5
	v_cmp_lt_i32_e64 s[0:1], v6, v7
	v_cndmask_b32_e64 v5, v6, v5, s[0:1]
	v_lshlrev_b32_e32 v5, 2, v5
	ds_bpermute_b32 v3, v5, v3
	s_waitcnt lgkmcnt(0)
	v_cmp_gt_f32_e64 s[0:1], v2, v3
	v_cndmask_b32_e64 v2, v3, v2, s[0:1]
	v_cmp_eq_u32_e64 s[0:1], 0, v0
	v_cndmask_b32_e64 v2, v2, v12, s[0:1]
	ds_write_b32 v4, v2
	; wave barrier
	ds_read_b32 v3, v4 offset:4
	s_waitcnt lgkmcnt(0)
	v_cmp_lt_f32_e64 s[0:1], v2, v3
	v_cndmask_b32_e64 v2, v2, v3, s[0:1]
	ds_write_b32 v4, v2 offset:4
.LBB2053_35:
	s_or_b64 exec, exec, s[16:17]
	v_cmp_eq_u32_e64 s[0:1], 0, v0
	v_cmp_ne_u32_e64 s[2:3], 0, v0
	s_waitcnt lgkmcnt(0)
	s_barrier
	s_and_saveexec_b64 s[8:9], s[2:3]
	s_cbranch_execz .LBB2053_37
; %bb.36:
	v_add_u32_e32 v2, -1, v0
	v_lshrrev_b32_e32 v3, 5, v2
	v_add_lshl_u32 v2, v3, v2, 2
	ds_read_b32 v12, v2
.LBB2053_37:
	s_or_b64 exec, exec, s[8:9]
	s_and_saveexec_b64 s[16:17], vcc
	s_cbranch_execz .LBB2053_60
; %bb.38:
	v_mov_b32_e32 v11, 0
	ds_read_b32 v2, v11 offset:520
	v_mbcnt_lo_u32_b32 v3, -1, 0
	v_mbcnt_hi_u32_b32 v5, -1, v3
	s_mov_b32 s11, 0
	v_cmp_eq_u32_e64 s[2:3], 0, v5
	s_and_saveexec_b64 s[8:9], s[2:3]
	s_cbranch_execz .LBB2053_40
; %bb.39:
	s_add_i32 s10, s6, 64
	s_lshl_b64 s[10:11], s[10:11], 3
	s_add_u32 s10, s28, s10
	v_mov_b32_e32 v3, 1
	s_addc_u32 s11, s29, s11
	s_waitcnt lgkmcnt(0)
	global_store_dwordx2 v11, v[2:3], s[10:11]
.LBB2053_40:
	s_or_b64 exec, exec, s[8:9]
	v_xad_u32 v4, v5, -1, s6
	v_add_u32_e32 v10, 64, v4
	v_lshlrev_b64 v[6:7], 3, v[10:11]
	v_mov_b32_e32 v3, s29
	v_add_co_u32_e32 v6, vcc, s28, v6
	v_addc_co_u32_e32 v7, vcc, v3, v7, vcc
	global_load_dwordx2 v[8:9], v[6:7], off glc
	s_waitcnt vmcnt(0)
	v_cmp_eq_u16_sdwa s[10:11], v9, v11 src0_sel:BYTE_0 src1_sel:DWORD
	s_and_saveexec_b64 s[8:9], s[10:11]
	s_cbranch_execz .LBB2053_46
; %bb.41:
	s_mov_b32 s18, 1
	s_mov_b64 s[10:11], 0
	v_mov_b32_e32 v3, 0
.LBB2053_42:                            ; =>This Loop Header: Depth=1
                                        ;     Child Loop BB2053_43 Depth 2
	s_max_u32 s19, s18, 1
.LBB2053_43:                            ;   Parent Loop BB2053_42 Depth=1
                                        ; =>  This Inner Loop Header: Depth=2
	s_add_i32 s19, s19, -1
	s_cmp_eq_u32 s19, 0
	s_sleep 1
	s_cbranch_scc0 .LBB2053_43
; %bb.44:                               ;   in Loop: Header=BB2053_42 Depth=1
	global_load_dwordx2 v[8:9], v[6:7], off glc
	s_cmp_lt_u32 s18, 32
	s_cselect_b64 s[20:21], -1, 0
	s_cmp_lg_u64 s[20:21], 0
	s_addc_u32 s18, s18, 0
	s_waitcnt vmcnt(0)
	v_cmp_ne_u16_sdwa s[20:21], v9, v3 src0_sel:BYTE_0 src1_sel:DWORD
	s_or_b64 s[10:11], s[20:21], s[10:11]
	s_andn2_b64 exec, exec, s[10:11]
	s_cbranch_execnz .LBB2053_42
; %bb.45:
	s_or_b64 exec, exec, s[10:11]
.LBB2053_46:
	s_or_b64 exec, exec, s[8:9]
	v_and_b32_e32 v13, 63, v5
	v_cmp_ne_u32_e32 vcc, 63, v13
	v_addc_co_u32_e32 v14, vcc, 0, v5, vcc
	v_lshlrev_b32_e32 v14, 2, v14
	v_mov_b32_e32 v3, 2
	ds_bpermute_b32 v15, v14, v8
	v_cmp_eq_u16_sdwa s[8:9], v9, v3 src0_sel:BYTE_0 src1_sel:DWORD
	v_lshlrev_b64 v[6:7], v5, -1
	v_and_b32_e32 v10, s9, v7
	v_or_b32_e32 v10, 0x80000000, v10
	v_and_b32_e32 v11, s8, v6
	v_ffbl_b32_e32 v10, v10
	v_add_u32_e32 v10, 32, v10
	v_ffbl_b32_e32 v11, v11
	s_waitcnt lgkmcnt(0)
	v_cmp_lt_f32_e32 vcc, v15, v8
	v_cmp_gt_u32_e64 s[8:9], 62, v13
	v_min_u32_e32 v10, v11, v10
	v_cndmask_b32_e32 v11, v15, v8, vcc
	v_cndmask_b32_e64 v15, 0, 1, s[8:9]
	v_cmp_lt_u32_e32 vcc, v13, v10
	v_lshlrev_b32_e32 v15, 1, v15
	v_cndmask_b32_e32 v11, v8, v11, vcc
	v_add_lshl_u32 v15, v15, v5, 2
	ds_bpermute_b32 v17, v15, v11
	v_add_u32_e32 v16, 2, v13
	v_add_u32_e32 v35, 4, v13
	;; [unrolled: 1-line block ×4, first 2 shown]
	s_waitcnt lgkmcnt(0)
	v_cmp_gt_f32_e64 s[8:9], v11, v17
	v_cndmask_b32_e64 v17, v17, v11, s[8:9]
	v_cmp_gt_u32_e64 s[8:9], v16, v10
	v_cndmask_b32_e64 v11, v17, v11, s[8:9]
	v_cmp_gt_u32_e64 s[8:9], 60, v13
	v_cndmask_b32_e64 v17, 0, 1, s[8:9]
	v_lshlrev_b32_e32 v17, 2, v17
	v_add_lshl_u32 v17, v17, v5, 2
	ds_bpermute_b32 v36, v17, v11
	v_add_u32_e32 v42, 32, v13
	s_waitcnt lgkmcnt(0)
	v_cmp_gt_f32_e64 s[8:9], v11, v36
	v_cndmask_b32_e64 v36, v36, v11, s[8:9]
	v_cmp_gt_u32_e64 s[8:9], v35, v10
	v_cndmask_b32_e64 v11, v36, v11, s[8:9]
	v_cmp_gt_u32_e64 s[8:9], 56, v13
	v_cndmask_b32_e64 v36, 0, 1, s[8:9]
	v_lshlrev_b32_e32 v36, 3, v36
	v_add_lshl_u32 v36, v36, v5, 2
	ds_bpermute_b32 v38, v36, v11
	s_waitcnt lgkmcnt(0)
	v_cmp_gt_f32_e64 s[8:9], v11, v38
	v_cndmask_b32_e64 v38, v38, v11, s[8:9]
	v_cmp_gt_u32_e64 s[8:9], v37, v10
	v_cndmask_b32_e64 v11, v38, v11, s[8:9]
	v_cmp_gt_u32_e64 s[8:9], 48, v13
	v_cndmask_b32_e64 v38, 0, 1, s[8:9]
	v_lshlrev_b32_e32 v38, 4, v38
	v_add_lshl_u32 v38, v38, v5, 2
	ds_bpermute_b32 v39, v38, v11
	;; [unrolled: 10-line block ×3, first 2 shown]
	v_cmp_gt_u32_e64 s[8:9], v42, v10
	s_waitcnt lgkmcnt(0)
	v_cmp_gt_f32_e64 s[10:11], v11, v5
	s_or_b64 s[8:9], s[8:9], s[10:11]
	v_cndmask_b32_e64 v5, v5, v11, s[8:9]
	v_cndmask_b32_e32 v8, v8, v5, vcc
	v_mov_b32_e32 v5, 0
	s_branch .LBB2053_48
.LBB2053_47:                            ;   in Loop: Header=BB2053_48 Depth=1
	s_or_b64 exec, exec, s[8:9]
	v_cmp_eq_u16_sdwa s[8:9], v9, v3 src0_sel:BYTE_0 src1_sel:DWORD
	ds_bpermute_b32 v43, v14, v8
	v_and_b32_e32 v10, s9, v7
	v_or_b32_e32 v10, 0x80000000, v10
	v_and_b32_e32 v11, s8, v6
	v_ffbl_b32_e32 v10, v10
	v_add_u32_e32 v10, 32, v10
	v_ffbl_b32_e32 v11, v11
	v_min_u32_e32 v10, v11, v10
	s_waitcnt lgkmcnt(0)
	v_cmp_lt_f32_e32 vcc, v43, v8
	v_cndmask_b32_e32 v11, v43, v8, vcc
	v_cmp_lt_u32_e32 vcc, v13, v10
	v_cndmask_b32_e32 v11, v8, v11, vcc
	ds_bpermute_b32 v43, v15, v11
	v_subrev_u32_e32 v4, 64, v4
	s_waitcnt lgkmcnt(0)
	v_cmp_gt_f32_e64 s[8:9], v11, v43
	v_cndmask_b32_e64 v43, v43, v11, s[8:9]
	v_cmp_gt_u32_e64 s[8:9], v16, v10
	v_cndmask_b32_e64 v11, v43, v11, s[8:9]
	ds_bpermute_b32 v43, v17, v11
	s_waitcnt lgkmcnt(0)
	v_cmp_gt_f32_e64 s[8:9], v11, v43
	v_cndmask_b32_e64 v43, v43, v11, s[8:9]
	v_cmp_gt_u32_e64 s[8:9], v35, v10
	v_cndmask_b32_e64 v11, v43, v11, s[8:9]
	ds_bpermute_b32 v43, v36, v11
	;; [unrolled: 6-line block ×4, first 2 shown]
	v_cmp_gt_u32_e64 s[8:9], v42, v10
	s_waitcnt lgkmcnt(0)
	v_cmp_gt_f32_e64 s[10:11], v11, v43
	s_or_b64 s[8:9], s[8:9], s[10:11]
	v_cndmask_b32_e64 v10, v43, v11, s[8:9]
	v_cndmask_b32_e32 v8, v8, v10, vcc
	v_cmp_lt_f32_e32 vcc, v8, v39
	v_cndmask_b32_e32 v8, v8, v39, vcc
.LBB2053_48:                            ; =>This Loop Header: Depth=1
                                        ;     Child Loop BB2053_51 Depth 2
                                        ;       Child Loop BB2053_52 Depth 3
	v_cmp_ne_u16_sdwa s[8:9], v9, v3 src0_sel:BYTE_0 src1_sel:DWORD
	v_cndmask_b32_e64 v9, 0, 1, s[8:9]
	;;#ASMSTART
	;;#ASMEND
	v_cmp_ne_u32_e32 vcc, 0, v9
	s_cmp_lg_u64 vcc, exec
	v_mov_b32_e32 v39, v8
	s_cbranch_scc1 .LBB2053_55
; %bb.49:                               ;   in Loop: Header=BB2053_48 Depth=1
	v_lshlrev_b64 v[8:9], 3, v[4:5]
	v_mov_b32_e32 v11, s29
	v_add_co_u32_e32 v10, vcc, s28, v8
	v_addc_co_u32_e32 v11, vcc, v11, v9, vcc
	global_load_dwordx2 v[8:9], v[10:11], off glc
	s_waitcnt vmcnt(0)
	v_cmp_eq_u16_sdwa s[10:11], v9, v5 src0_sel:BYTE_0 src1_sel:DWORD
	s_and_saveexec_b64 s[8:9], s[10:11]
	s_cbranch_execz .LBB2053_47
; %bb.50:                               ;   in Loop: Header=BB2053_48 Depth=1
	s_mov_b32 s18, 1
	s_mov_b64 s[10:11], 0
.LBB2053_51:                            ;   Parent Loop BB2053_48 Depth=1
                                        ; =>  This Loop Header: Depth=2
                                        ;       Child Loop BB2053_52 Depth 3
	s_max_u32 s19, s18, 1
.LBB2053_52:                            ;   Parent Loop BB2053_48 Depth=1
                                        ;     Parent Loop BB2053_51 Depth=2
                                        ; =>    This Inner Loop Header: Depth=3
	s_add_i32 s19, s19, -1
	s_cmp_eq_u32 s19, 0
	s_sleep 1
	s_cbranch_scc0 .LBB2053_52
; %bb.53:                               ;   in Loop: Header=BB2053_51 Depth=2
	global_load_dwordx2 v[8:9], v[10:11], off glc
	s_cmp_lt_u32 s18, 32
	s_cselect_b64 s[20:21], -1, 0
	s_cmp_lg_u64 s[20:21], 0
	s_addc_u32 s18, s18, 0
	s_waitcnt vmcnt(0)
	v_cmp_ne_u16_sdwa s[20:21], v9, v5 src0_sel:BYTE_0 src1_sel:DWORD
	s_or_b64 s[10:11], s[20:21], s[10:11]
	s_andn2_b64 exec, exec, s[10:11]
	s_cbranch_execnz .LBB2053_51
; %bb.54:                               ;   in Loop: Header=BB2053_48 Depth=1
	s_or_b64 exec, exec, s[10:11]
	s_branch .LBB2053_47
.LBB2053_55:                            ;   in Loop: Header=BB2053_48 Depth=1
                                        ; implicit-def: $vgpr8
                                        ; implicit-def: $vgpr9
	s_cbranch_execz .LBB2053_48
; %bb.56:
	s_and_saveexec_b64 s[8:9], s[2:3]
	s_cbranch_execz .LBB2053_58
; %bb.57:
	s_add_i32 s2, s6, 64
	s_mov_b32 s3, 0
	s_lshl_b64 s[2:3], s[2:3], 3
	v_cmp_lt_f32_e32 vcc, v39, v2
	s_add_u32 s2, s28, s2
	v_cndmask_b32_e32 v2, v39, v2, vcc
	v_mov_b32_e32 v3, 2
	s_addc_u32 s3, s29, s3
	v_mov_b32_e32 v4, 0
	global_store_dwordx2 v4, v[2:3], s[2:3]
.LBB2053_58:
	s_or_b64 exec, exec, s[8:9]
	s_and_b64 exec, exec, s[0:1]
	s_cbranch_execz .LBB2053_60
; %bb.59:
	v_mov_b32_e32 v2, 0
	ds_write_b32 v2, v39
.LBB2053_60:
	s_or_b64 exec, exec, s[16:17]
	v_mov_b32_e32 v2, 0
	s_waitcnt lgkmcnt(0)
	s_barrier
	ds_read_b32 v2, v2
	s_waitcnt lgkmcnt(0)
	v_cmp_lt_f32_e32 vcc, v2, v12
	v_cndmask_b32_e32 v3, v2, v12, vcc
	v_cndmask_b32_e64 v2, v3, v2, s[0:1]
	v_cmp_lt_f32_e32 vcc, v2, v26
	v_cndmask_b32_e32 v3, v2, v26, vcc
	v_cmp_lt_f32_e32 vcc, v3, v27
	v_cndmask_b32_e32 v4, v3, v27, vcc
	;; [unrolled: 2-line block ×13, first 2 shown]
	s_load_dwordx8 s[16:23], s[4:5], 0x38
	s_branch .LBB2053_71
.LBB2053_61:
                                        ; implicit-def: $vgpr2_vgpr3_vgpr4_vgpr5_vgpr6_vgpr7_vgpr8_vgpr9_vgpr10_vgpr11_vgpr12_vgpr13_vgpr14_vgpr15_vgpr16_vgpr17
	s_load_dwordx8 s[16:23], s[4:5], 0x38
	s_cbranch_execz .LBB2053_71
; %bb.62:
	s_load_dword s0, s[4:5], 0x20
	s_waitcnt lgkmcnt(0)
	s_cmp_eq_u64 s[20:21], 0
	v_mov_b32_e32 v16, s0
	s_cbranch_scc1 .LBB2053_64
; %bb.63:
	v_mov_b32_e32 v2, 0
	global_load_dword v4, v2, s[16:17]
	v_mov_b32_e32 v3, s33
	v_add_co_u32_e64 v2, vcc, -4, s7
	v_addc_co_u32_e32 v3, vcc, -1, v3, vcc
	flat_load_dword v2, v[2:3]
	s_waitcnt vmcnt(0) lgkmcnt(0)
	v_cmp_lt_f32_e32 vcc, v4, v2
	v_cndmask_b32_e32 v16, v4, v2, vcc
.LBB2053_64:
	v_cmp_lt_f32_e32 vcc, v26, v27
	v_cndmask_b32_e32 v2, v26, v27, vcc
	v_cmp_lt_f32_e32 vcc, v2, v28
	v_cndmask_b32_e32 v2, v2, v28, vcc
	;; [unrolled: 2-line block ×13, first 2 shown]
	v_add_lshl_u32 v1, v1, v0, 2
	v_cmp_gt_u32_e32 vcc, 64, v0
	ds_write_b32 v1, v2
	s_waitcnt lgkmcnt(0)
	s_barrier
	s_and_saveexec_b64 s[6:7], vcc
	s_cbranch_execz .LBB2053_66
; %bb.65:
	v_lshlrev_b32_e32 v1, 1, v0
	v_lshrrev_b32_e32 v3, 4, v0
	v_add_lshl_u32 v1, v3, v1, 2
	ds_read2_b32 v[4:5], v1 offset1:1
	v_mbcnt_lo_u32_b32 v3, -1, 0
	v_mbcnt_hi_u32_b32 v3, -1, v3
	v_and_b32_e32 v6, 15, v3
	v_cmp_lt_u32_e64 s[4:5], 31, v3
	s_waitcnt lgkmcnt(0)
	v_cmp_lt_f32_e32 vcc, v4, v5
	v_cndmask_b32_e32 v5, v4, v5, vcc
	v_cmp_gt_u32_e64 s[2:3], 32, v3
	s_nop 0
	v_mov_b32_dpp v7, v5 row_shr:1 row_mask:0xf bank_mask:0xf
	v_cmp_gt_f32_e32 vcc, v5, v7
	v_cndmask_b32_e32 v7, v7, v5, vcc
	v_cmp_eq_u32_e32 vcc, 0, v6
	v_cndmask_b32_e32 v5, v7, v5, vcc
	; wave barrier
	s_nop 1
	v_mov_b32_dpp v7, v5 row_shr:2 row_mask:0xf bank_mask:0xf
	v_cmp_gt_f32_e32 vcc, v5, v7
	v_cndmask_b32_e32 v7, v7, v5, vcc
	v_cmp_lt_u32_e32 vcc, 1, v6
	v_cndmask_b32_e32 v7, v5, v7, vcc
	s_nop 1
	v_mov_b32_dpp v8, v7 row_shr:4 row_mask:0xf bank_mask:0xf
	v_cmp_gt_f32_e64 s[0:1], v7, v8
	v_cndmask_b32_e64 v8, v8, v7, s[0:1]
	v_cmp_lt_u32_e64 s[0:1], 3, v6
	v_cndmask_b32_e64 v7, v7, v8, s[0:1]
	s_nop 1
	v_mov_b32_dpp v8, v7 row_shr:8 row_mask:0xf bank_mask:0xf
	v_cmp_gt_f32_e64 s[0:1], v7, v8
	v_cndmask_b32_e64 v8, v8, v7, s[0:1]
	v_cmp_lt_u32_e64 s[0:1], 7, v6
	v_cndmask_b32_e64 v6, v7, v8, s[0:1]
	v_and_b32_e32 v8, 16, v3
	s_nop 0
	v_mov_b32_dpp v7, v6 row_bcast:15 row_mask:0xf bank_mask:0xf
	v_cmp_gt_f32_e64 s[0:1], v6, v7
	v_cndmask_b32_e64 v7, v7, v6, s[0:1]
	v_cmp_ne_u32_e64 s[0:1], 0, v8
	v_cndmask_b32_e64 v6, v6, v7, s[0:1]
	s_or_b64 s[4:5], s[0:1], s[4:5]
	s_or_b64 vcc, vcc, s[4:5]
	v_mov_b32_dpp v7, v6 row_bcast:31 row_mask:0xf bank_mask:0xf
	v_cmp_gt_f32_e64 s[0:1], v6, v7
	s_or_b64 s[0:1], s[2:3], s[0:1]
	v_cndmask_b32_e64 v6, v7, v6, s[0:1]
	v_cndmask_b32_e32 v5, v5, v6, vcc
	v_add_u32_e32 v6, -1, v3
	v_and_b32_e32 v7, 64, v3
	v_cmp_lt_i32_e32 vcc, v6, v7
	v_cndmask_b32_e32 v3, v6, v3, vcc
	v_lshlrev_b32_e32 v3, 2, v3
	ds_bpermute_b32 v3, v3, v5
	s_waitcnt lgkmcnt(0)
	v_cmp_gt_f32_e32 vcc, v4, v3
	v_cndmask_b32_e32 v3, v3, v4, vcc
	v_cmp_eq_u32_e32 vcc, 0, v0
	v_cndmask_b32_e32 v2, v3, v2, vcc
	ds_write_b32 v1, v2
	; wave barrier
	ds_read_b32 v3, v1 offset:4
	s_waitcnt lgkmcnt(0)
	v_cmp_lt_f32_e32 vcc, v2, v3
	v_cndmask_b32_e32 v2, v2, v3, vcc
	ds_write_b32 v1, v2 offset:4
.LBB2053_66:
	s_or_b64 exec, exec, s[6:7]
	v_cmp_eq_u32_e32 vcc, 0, v0
	v_cmp_ne_u32_e64 s[0:1], 0, v0
	v_mov_b32_e32 v2, v16
	s_waitcnt lgkmcnt(0)
	s_barrier
	s_and_saveexec_b64 s[2:3], s[0:1]
	s_cbranch_execz .LBB2053_68
; %bb.67:
	v_add_u32_e32 v1, -1, v0
	v_lshrrev_b32_e32 v2, 5, v1
	v_add_lshl_u32 v1, v2, v1, 2
	ds_read_b32 v1, v1
	s_waitcnt lgkmcnt(0)
	v_cmp_gt_f32_e64 s[0:1], v1, v16
	v_cndmask_b32_e64 v2, v16, v1, s[0:1]
.LBB2053_68:
	s_or_b64 exec, exec, s[2:3]
	v_cmp_lt_f32_e64 s[0:1], v2, v26
	v_cndmask_b32_e64 v3, v2, v26, s[0:1]
	v_cmp_lt_f32_e64 s[0:1], v3, v27
	v_cndmask_b32_e64 v4, v3, v27, s[0:1]
	v_cmp_lt_f32_e64 s[0:1], v4, v28
	v_cndmask_b32_e64 v5, v4, v28, s[0:1]
	v_cmp_lt_f32_e64 s[0:1], v5, v29
	v_cndmask_b32_e64 v6, v5, v29, s[0:1]
	v_cmp_lt_f32_e64 s[0:1], v6, v22
	v_cndmask_b32_e64 v7, v6, v22, s[0:1]
	v_cmp_lt_f32_e64 s[0:1], v7, v23
	v_cndmask_b32_e64 v8, v7, v23, s[0:1]
	v_cmp_lt_f32_e64 s[0:1], v8, v24
	v_cndmask_b32_e64 v9, v8, v24, s[0:1]
	v_cmp_lt_f32_e64 s[0:1], v9, v25
	v_cndmask_b32_e64 v10, v9, v25, s[0:1]
	v_cmp_lt_f32_e64 s[0:1], v10, v18
	v_cndmask_b32_e64 v11, v10, v18, s[0:1]
	v_cmp_lt_f32_e64 s[0:1], v11, v19
	v_cndmask_b32_e64 v12, v11, v19, s[0:1]
	v_cmp_lt_f32_e64 s[0:1], v12, v20
	v_cndmask_b32_e64 v13, v12, v20, s[0:1]
	v_cmp_lt_f32_e64 s[0:1], v13, v21
	v_cndmask_b32_e64 v14, v13, v21, s[0:1]
	v_cmp_lt_f32_e64 s[0:1], v14, v30
	v_cndmask_b32_e64 v15, v14, v30, s[0:1]
	s_and_saveexec_b64 s[0:1], vcc
	s_cbranch_execz .LBB2053_70
; %bb.69:
	v_mov_b32_e32 v1, 0
	ds_read_b32 v17, v1 offset:520
	s_waitcnt lgkmcnt(0)
	v_cmp_gt_f32_e32 vcc, v17, v16
	v_cndmask_b32_e32 v16, v16, v17, vcc
	v_mov_b32_e32 v17, 2
	global_store_dwordx2 v1, v[16:17], s[28:29] offset:512
.LBB2053_70:
	s_or_b64 exec, exec, s[0:1]
.LBB2053_71:
	s_add_u32 s0, s12, s24
	s_addc_u32 s1, s13, s25
	s_add_u32 s2, s0, s26
	s_addc_u32 s3, s1, s27
	s_mov_b64 s[0:1], -1
	s_and_b64 vcc, exec, s[14:15]
	s_waitcnt lgkmcnt(0)
	s_barrier
	s_cbranch_vccz .LBB2053_73
; %bb.72:
	ds_write2_b64 v34, v[2:3], v[4:5] offset1:1
	ds_write2_b64 v34, v[6:7], v[8:9] offset0:2 offset1:3
	ds_write2_b64 v34, v[10:11], v[12:13] offset0:4 offset1:5
	ds_write_b64 v34, v[14:15] offset:48
	s_waitcnt lgkmcnt(0)
	s_barrier
	ds_read2st64_b32 v[16:17], v32 offset1:2
	ds_read2st64_b32 v[18:19], v32 offset0:4 offset1:6
	ds_read2st64_b32 v[20:21], v32 offset0:8 offset1:10
	;; [unrolled: 1-line block ×6, first 2 shown]
	v_mov_b32_e32 v1, s3
	v_add_co_u32_e32 v30, vcc, s2, v32
	v_addc_co_u32_e32 v31, vcc, 0, v1, vcc
	s_waitcnt lgkmcnt(6)
	flat_store_dword v[30:31], v16
	flat_store_dword v[30:31], v17 offset:512
	s_waitcnt lgkmcnt(0)
	flat_store_dword v[30:31], v18 offset:1024
	flat_store_dword v[30:31], v19 offset:1536
	;; [unrolled: 1-line block ×6, first 2 shown]
	v_add_co_u32_e32 v16, vcc, 0x1000, v30
	v_addc_co_u32_e32 v17, vcc, 0, v31, vcc
	flat_store_dword v[16:17], v24
	flat_store_dword v[16:17], v25 offset:512
	flat_store_dword v[16:17], v26 offset:1024
	;; [unrolled: 1-line block ×5, first 2 shown]
	s_mov_b64 s[0:1], 0
.LBB2053_73:
	s_andn2_b64 vcc, exec, s[0:1]
	s_cbranch_vccnz .LBB2053_153
; %bb.74:
	s_movk_i32 s0, 0xffcc
	ds_write2_b64 v34, v[2:3], v[4:5] offset1:1
	ds_write2_b64 v34, v[6:7], v[8:9] offset0:2 offset1:3
	ds_write2_b64 v34, v[10:11], v[12:13] offset0:4 offset1:5
	ds_write_b64 v34, v[14:15] offset:48
	v_mad_i32_i24 v14, v0, s0, v34
	s_waitcnt lgkmcnt(0)
	s_barrier
	ds_read2st64_b32 v[4:5], v14 offset1:2
	ds_read2st64_b32 v[6:7], v14 offset0:4 offset1:6
	ds_read2st64_b32 v[8:9], v14 offset0:8 offset1:10
	;; [unrolled: 1-line block ×6, first 2 shown]
	v_mov_b32_e32 v17, s3
	v_add_co_u32_e32 v16, vcc, s2, v32
	v_addc_co_u32_e32 v17, vcc, 0, v17, vcc
	v_mov_b32_e32 v1, 0
	v_cmp_gt_u32_e32 vcc, s30, v0
	s_and_saveexec_b64 s[0:1], vcc
	s_cbranch_execz .LBB2053_76
; %bb.75:
	s_waitcnt lgkmcnt(0)
	flat_store_dword v[16:17], v4
.LBB2053_76:
	s_or_b64 exec, exec, s[0:1]
	v_or_b32_e32 v18, 0x80, v0
	v_cmp_gt_u32_e32 vcc, s30, v18
	s_and_saveexec_b64 s[0:1], vcc
	s_cbranch_execz .LBB2053_78
; %bb.77:
	s_waitcnt lgkmcnt(0)
	flat_store_dword v[16:17], v5 offset:512
.LBB2053_78:
	s_or_b64 exec, exec, s[0:1]
	v_or_b32_e32 v18, 0x100, v0
	v_cmp_gt_u32_e32 vcc, s30, v18
	s_and_saveexec_b64 s[0:1], vcc
	s_cbranch_execz .LBB2053_80
; %bb.79:
	s_waitcnt lgkmcnt(0)
	flat_store_dword v[16:17], v6 offset:1024
.LBB2053_80:
	s_or_b64 exec, exec, s[0:1]
	v_or_b32_e32 v18, 0x180, v0
	v_cmp_gt_u32_e32 vcc, s30, v18
	s_and_saveexec_b64 s[0:1], vcc
	s_cbranch_execz .LBB2053_82
; %bb.81:
	s_waitcnt lgkmcnt(0)
	flat_store_dword v[16:17], v7 offset:1536
.LBB2053_82:
	s_or_b64 exec, exec, s[0:1]
	v_or_b32_e32 v18, 0x200, v0
	v_cmp_gt_u32_e32 vcc, s30, v18
	s_and_saveexec_b64 s[0:1], vcc
	s_cbranch_execz .LBB2053_84
; %bb.83:
	s_waitcnt lgkmcnt(0)
	flat_store_dword v[16:17], v8 offset:2048
.LBB2053_84:
	s_or_b64 exec, exec, s[0:1]
	v_or_b32_e32 v18, 0x280, v0
	v_cmp_gt_u32_e32 vcc, s30, v18
	s_and_saveexec_b64 s[0:1], vcc
	s_cbranch_execz .LBB2053_86
; %bb.85:
	s_waitcnt lgkmcnt(0)
	flat_store_dword v[16:17], v9 offset:2560
.LBB2053_86:
	s_or_b64 exec, exec, s[0:1]
	v_or_b32_e32 v18, 0x300, v0
	v_cmp_gt_u32_e32 vcc, s30, v18
	s_and_saveexec_b64 s[0:1], vcc
	s_cbranch_execz .LBB2053_88
; %bb.87:
	s_waitcnt lgkmcnt(0)
	flat_store_dword v[16:17], v2 offset:3072
.LBB2053_88:
	s_or_b64 exec, exec, s[0:1]
	v_or_b32_e32 v18, 0x380, v0
	v_cmp_gt_u32_e32 vcc, s30, v18
	s_and_saveexec_b64 s[0:1], vcc
	s_cbranch_execz .LBB2053_90
; %bb.89:
	s_waitcnt lgkmcnt(0)
	flat_store_dword v[16:17], v3 offset:3584
.LBB2053_90:
	s_or_b64 exec, exec, s[0:1]
	v_or_b32_e32 v18, 0x400, v0
	v_cmp_gt_u32_e32 vcc, s30, v18
	s_and_saveexec_b64 s[0:1], vcc
	s_cbranch_execz .LBB2053_92
; %bb.91:
	v_add_co_u32_e32 v18, vcc, 0x1000, v16
	v_addc_co_u32_e32 v19, vcc, 0, v17, vcc
	s_waitcnt lgkmcnt(0)
	flat_store_dword v[18:19], v12
.LBB2053_92:
	s_or_b64 exec, exec, s[0:1]
	v_or_b32_e32 v18, 0x480, v0
	v_cmp_gt_u32_e32 vcc, s30, v18
	s_and_saveexec_b64 s[0:1], vcc
	s_cbranch_execz .LBB2053_94
; %bb.93:
	v_add_co_u32_e32 v18, vcc, 0x1000, v16
	v_addc_co_u32_e32 v19, vcc, 0, v17, vcc
	s_waitcnt lgkmcnt(0)
	flat_store_dword v[18:19], v13 offset:512
.LBB2053_94:
	s_or_b64 exec, exec, s[0:1]
	v_or_b32_e32 v18, 0x500, v0
	v_cmp_gt_u32_e32 vcc, s30, v18
	s_and_saveexec_b64 s[0:1], vcc
	s_cbranch_execz .LBB2053_96
; %bb.95:
	v_add_co_u32_e32 v18, vcc, 0x1000, v16
	v_addc_co_u32_e32 v19, vcc, 0, v17, vcc
	s_waitcnt lgkmcnt(0)
	flat_store_dword v[18:19], v10 offset:1024
.LBB2053_96:
	;; [unrolled: 11-line block ×5, first 2 shown]
	s_or_b64 exec, exec, s[0:1]
	v_cmp_lt_u64_e64 s[0:1], s[22:23], 2
	s_and_b64 vcc, exec, s[0:1]
	s_cbranch_vccnz .LBB2053_153
; %bb.103:
	s_add_u32 s0, s30, -1
	s_addc_u32 s1, s31, -1
	s_add_u32 s2, 0, 0x49240800
	s_addc_u32 s3, 0, 50
	s_add_i32 s3, s3, 0x12492460
	s_mul_hi_u32 s7, s2, -14
	s_sub_i32 s7, s7, s2
	s_mul_i32 s8, s3, -14
	s_mul_i32 s4, s2, -14
	s_add_i32 s7, s7, s8
	s_mul_hi_u32 s5, s3, s4
	s_mul_i32 s6, s3, s4
	s_mul_i32 s9, s2, s7
	s_mul_hi_u32 s4, s2, s4
	s_mul_hi_u32 s8, s2, s7
	s_add_u32 s4, s4, s9
	s_addc_u32 s8, 0, s8
	s_add_u32 s4, s4, s6
	s_mul_hi_u32 s9, s3, s7
	s_addc_u32 s4, s8, s5
	s_addc_u32 s5, s9, 0
	s_mul_i32 s6, s3, s7
	s_add_u32 s4, s4, s6
	v_mov_b32_e32 v16, s4
	s_addc_u32 s5, 0, s5
	v_add_co_u32_e32 v16, vcc, s2, v16
	s_cmp_lg_u64 vcc, 0
	s_addc_u32 s2, s3, s5
	v_readfirstlane_b32 s5, v16
	s_mul_i32 s4, s0, s2
	s_mul_hi_u32 s6, s0, s5
	s_mul_hi_u32 s3, s0, s2
	s_add_u32 s4, s6, s4
	s_addc_u32 s3, 0, s3
	s_mul_hi_u32 s7, s1, s5
	s_mul_i32 s5, s1, s5
	s_add_u32 s4, s4, s5
	s_mul_hi_u32 s6, s1, s2
	s_addc_u32 s3, s3, s7
	s_addc_u32 s4, s6, 0
	s_mul_i32 s2, s1, s2
	s_add_u32 s2, s3, s2
	s_addc_u32 s3, 0, s4
	s_add_u32 s4, s2, 1
	s_addc_u32 s5, s3, 0
	s_add_u32 s6, s2, 2
	s_mul_i32 s8, s3, 14
	s_mul_hi_u32 s9, s2, 14
	s_addc_u32 s7, s3, 0
	s_add_i32 s9, s9, s8
	s_mul_i32 s8, s2, 14
	v_mov_b32_e32 v16, s8
	v_sub_co_u32_e32 v16, vcc, s0, v16
	s_cmp_lg_u64 vcc, 0
	s_subb_u32 s8, s1, s9
	v_subrev_co_u32_e32 v17, vcc, 14, v16
	s_cmp_lg_u64 vcc, 0
	s_subb_u32 s9, s8, 0
	v_readfirstlane_b32 s10, v17
	s_cmp_gt_u32 s10, 13
	s_cselect_b32 s10, -1, 0
	s_cmp_eq_u32 s9, 0
	s_cselect_b32 s9, s10, -1
	s_cmp_lg_u32 s9, 0
	s_cselect_b32 s4, s6, s4
	v_readfirstlane_b32 s6, v16
	s_cselect_b32 s5, s7, s5
	s_cmp_gt_u32 s6, 13
	s_cselect_b32 s6, -1, 0
	s_cmp_eq_u32 s8, 0
	s_cselect_b32 s6, s6, -1
	s_cmp_lg_u32 s6, 0
	s_cselect_b32 s3, s5, s3
	s_cselect_b32 s2, s4, s2
	v_cmp_eq_u64_e32 vcc, s[2:3], v[0:1]
	s_and_saveexec_b64 s[2:3], vcc
	s_cbranch_execz .LBB2053_153
; %bb.104:
	v_mul_hi_u32_u24_e32 v1, 14, v0
	v_mov_b32_e32 v16, s1
	v_sub_co_u32_e32 v0, vcc, s0, v33
	v_subb_co_u32_e32 v1, vcc, v16, v1, vcc
	v_cmp_lt_i64_e32 vcc, 6, v[0:1]
	s_and_saveexec_b64 s[0:1], vcc
	s_xor_b64 s[0:1], exec, s[0:1]
	s_cbranch_execz .LBB2053_130
; %bb.105:
	v_cmp_lt_i64_e32 vcc, 9, v[0:1]
	s_and_saveexec_b64 s[2:3], vcc
	s_xor_b64 s[2:3], exec, s[2:3]
	s_cbranch_execz .LBB2053_119
; %bb.106:
	;; [unrolled: 5-line block ×4, first 2 shown]
	v_mov_b32_e32 v0, 0
	s_waitcnt lgkmcnt(0)
	global_store_dword v0, v15, s[18:19]
                                        ; implicit-def: $vgpr14_vgpr15
.LBB2053_109:
	s_andn2_saveexec_b64 s[6:7], s[6:7]
	s_cbranch_execz .LBB2053_111
; %bb.110:
	v_mov_b32_e32 v0, 0
	s_waitcnt lgkmcnt(0)
	global_store_dword v0, v14, s[18:19]
.LBB2053_111:
	s_or_b64 exec, exec, s[6:7]
                                        ; implicit-def: $vgpr10_vgpr11
                                        ; implicit-def: $vgpr0_vgpr1
.LBB2053_112:
	s_andn2_saveexec_b64 s[4:5], s[4:5]
	s_cbranch_execz .LBB2053_118
; %bb.113:
	v_cmp_lt_i64_e32 vcc, 10, v[0:1]
	s_and_saveexec_b64 s[6:7], vcc
	s_xor_b64 s[6:7], exec, s[6:7]
	s_cbranch_execz .LBB2053_115
; %bb.114:
	v_mov_b32_e32 v0, 0
	s_waitcnt lgkmcnt(0)
	global_store_dword v0, v11, s[18:19]
                                        ; implicit-def: $vgpr10_vgpr11
.LBB2053_115:
	s_andn2_saveexec_b64 s[6:7], s[6:7]
	s_cbranch_execz .LBB2053_117
; %bb.116:
	v_mov_b32_e32 v0, 0
	s_waitcnt lgkmcnt(0)
	global_store_dword v0, v10, s[18:19]
.LBB2053_117:
	s_or_b64 exec, exec, s[6:7]
.LBB2053_118:
	s_or_b64 exec, exec, s[4:5]
                                        ; implicit-def: $vgpr2_vgpr3
                                        ; implicit-def: $vgpr0_vgpr1
                                        ; implicit-def: $vgpr12_vgpr13
.LBB2053_119:
	s_andn2_saveexec_b64 s[2:3], s[2:3]
	s_cbranch_execz .LBB2053_129
; %bb.120:
	v_cmp_lt_i64_e32 vcc, 7, v[0:1]
	s_and_saveexec_b64 s[4:5], vcc
	s_xor_b64 s[4:5], exec, s[4:5]
	s_cbranch_execz .LBB2053_126
; %bb.121:
	v_cmp_lt_i64_e32 vcc, 8, v[0:1]
	s_and_saveexec_b64 s[6:7], vcc
	s_xor_b64 s[6:7], exec, s[6:7]
	s_cbranch_execz .LBB2053_123
; %bb.122:
	v_mov_b32_e32 v0, 0
	s_waitcnt lgkmcnt(0)
	global_store_dword v0, v13, s[18:19]
                                        ; implicit-def: $vgpr12_vgpr13
.LBB2053_123:
	s_andn2_saveexec_b64 s[6:7], s[6:7]
	s_cbranch_execz .LBB2053_125
; %bb.124:
	v_mov_b32_e32 v0, 0
	s_waitcnt lgkmcnt(0)
	global_store_dword v0, v12, s[18:19]
.LBB2053_125:
	s_or_b64 exec, exec, s[6:7]
                                        ; implicit-def: $vgpr2_vgpr3
.LBB2053_126:
	s_andn2_saveexec_b64 s[4:5], s[4:5]
	s_cbranch_execz .LBB2053_128
; %bb.127:
	v_mov_b32_e32 v0, 0
	s_waitcnt lgkmcnt(0)
	global_store_dword v0, v3, s[18:19]
.LBB2053_128:
	s_or_b64 exec, exec, s[4:5]
.LBB2053_129:
	s_or_b64 exec, exec, s[2:3]
                                        ; implicit-def: $vgpr0_vgpr1
                                        ; implicit-def: $vgpr8_vgpr9
                                        ; implicit-def: $vgpr4_vgpr5
                                        ; implicit-def: $vgpr6_vgpr7
                                        ; implicit-def: $vgpr2_vgpr3
.LBB2053_130:
	s_andn2_saveexec_b64 s[0:1], s[0:1]
	s_cbranch_execz .LBB2053_153
; %bb.131:
	v_cmp_lt_i64_e32 vcc, 3, v[0:1]
	s_and_saveexec_b64 s[0:1], vcc
	s_xor_b64 s[0:1], exec, s[0:1]
	s_cbranch_execz .LBB2053_141
; %bb.132:
	v_cmp_lt_i64_e32 vcc, 4, v[0:1]
	s_and_saveexec_b64 s[2:3], vcc
	s_xor_b64 s[2:3], exec, s[2:3]
	;; [unrolled: 5-line block ×3, first 2 shown]
	s_cbranch_execz .LBB2053_135
; %bb.134:
	v_mov_b32_e32 v0, 0
	s_waitcnt lgkmcnt(0)
	global_store_dword v0, v2, s[18:19]
                                        ; implicit-def: $vgpr8_vgpr9
.LBB2053_135:
	s_andn2_saveexec_b64 s[4:5], s[4:5]
	s_cbranch_execz .LBB2053_137
; %bb.136:
	v_mov_b32_e32 v0, 0
	s_waitcnt lgkmcnt(0)
	global_store_dword v0, v9, s[18:19]
.LBB2053_137:
	s_or_b64 exec, exec, s[4:5]
                                        ; implicit-def: $vgpr8_vgpr9
.LBB2053_138:
	s_andn2_saveexec_b64 s[2:3], s[2:3]
	s_cbranch_execz .LBB2053_140
; %bb.139:
	v_mov_b32_e32 v0, 0
	s_waitcnt lgkmcnt(0)
	global_store_dword v0, v8, s[18:19]
.LBB2053_140:
	s_or_b64 exec, exec, s[2:3]
                                        ; implicit-def: $vgpr0_vgpr1
                                        ; implicit-def: $vgpr4_vgpr5
                                        ; implicit-def: $vgpr6_vgpr7
.LBB2053_141:
	s_andn2_saveexec_b64 s[0:1], s[0:1]
	s_cbranch_execz .LBB2053_153
; %bb.142:
	v_cmp_lt_i64_e32 vcc, 1, v[0:1]
	s_and_saveexec_b64 s[0:1], vcc
	s_xor_b64 s[0:1], exec, s[0:1]
	s_cbranch_execz .LBB2053_148
; %bb.143:
	v_cmp_lt_i64_e32 vcc, 2, v[0:1]
	s_and_saveexec_b64 s[2:3], vcc
	s_xor_b64 s[2:3], exec, s[2:3]
	s_cbranch_execz .LBB2053_145
; %bb.144:
	v_mov_b32_e32 v0, 0
	s_waitcnt lgkmcnt(0)
	global_store_dword v0, v7, s[18:19]
                                        ; implicit-def: $vgpr6_vgpr7
.LBB2053_145:
	s_andn2_saveexec_b64 s[2:3], s[2:3]
	s_cbranch_execz .LBB2053_147
; %bb.146:
	v_mov_b32_e32 v0, 0
	s_waitcnt lgkmcnt(0)
	global_store_dword v0, v6, s[18:19]
.LBB2053_147:
	s_or_b64 exec, exec, s[2:3]
                                        ; implicit-def: $vgpr4_vgpr5
                                        ; implicit-def: $vgpr0_vgpr1
.LBB2053_148:
	s_andn2_saveexec_b64 s[0:1], s[0:1]
	s_cbranch_execz .LBB2053_153
; %bb.149:
	v_cmp_ne_u64_e32 vcc, 1, v[0:1]
	s_and_saveexec_b64 s[0:1], vcc
	s_xor_b64 s[0:1], exec, s[0:1]
	s_cbranch_execz .LBB2053_151
; %bb.150:
	v_mov_b32_e32 v0, 0
	s_waitcnt lgkmcnt(0)
	global_store_dword v0, v4, s[18:19]
                                        ; implicit-def: $vgpr4_vgpr5
.LBB2053_151:
	s_andn2_saveexec_b64 s[0:1], s[0:1]
	s_cbranch_execz .LBB2053_153
; %bb.152:
	v_mov_b32_e32 v0, 0
	s_waitcnt lgkmcnt(0)
	global_store_dword v0, v5, s[18:19]
.LBB2053_153:
	s_endpgm
	.section	.rodata,"a",@progbits
	.p2align	6, 0x0
	.amdhsa_kernel _ZN7rocprim17ROCPRIM_400000_NS6detail17trampoline_kernelINS0_14default_configENS1_20scan_config_selectorIfEEZZNS1_9scan_implILNS1_25lookback_scan_determinismE0ELb1ELb1ES3_N6thrust23THRUST_200600_302600_NS6detail15normal_iteratorINS9_10device_ptrIfEEEESE_f11max_functorIfEfEEDaPvRmT3_T4_T5_mT6_P12ihipStream_tbENKUlT_T0_E_clISt17integral_constantIbLb1EEST_IbLb0EEEEDaSP_SQ_EUlSP_E_NS1_11comp_targetILNS1_3genE4ELNS1_11target_archE910ELNS1_3gpuE8ELNS1_3repE0EEENS1_30default_config_static_selectorELNS0_4arch9wavefront6targetE1EEEvT1_
		.amdhsa_group_segment_fixed_size 7168
		.amdhsa_private_segment_fixed_size 0
		.amdhsa_kernarg_size 96
		.amdhsa_user_sgpr_count 6
		.amdhsa_user_sgpr_private_segment_buffer 1
		.amdhsa_user_sgpr_dispatch_ptr 0
		.amdhsa_user_sgpr_queue_ptr 0
		.amdhsa_user_sgpr_kernarg_segment_ptr 1
		.amdhsa_user_sgpr_dispatch_id 0
		.amdhsa_user_sgpr_flat_scratch_init 0
		.amdhsa_user_sgpr_kernarg_preload_length 0
		.amdhsa_user_sgpr_kernarg_preload_offset 0
		.amdhsa_user_sgpr_private_segment_size 0
		.amdhsa_uses_dynamic_stack 0
		.amdhsa_system_sgpr_private_segment_wavefront_offset 0
		.amdhsa_system_sgpr_workgroup_id_x 1
		.amdhsa_system_sgpr_workgroup_id_y 0
		.amdhsa_system_sgpr_workgroup_id_z 0
		.amdhsa_system_sgpr_workgroup_info 0
		.amdhsa_system_vgpr_workitem_id 0
		.amdhsa_next_free_vgpr 44
		.amdhsa_next_free_sgpr 34
		.amdhsa_accum_offset 44
		.amdhsa_reserve_vcc 1
		.amdhsa_reserve_flat_scratch 0
		.amdhsa_float_round_mode_32 0
		.amdhsa_float_round_mode_16_64 0
		.amdhsa_float_denorm_mode_32 3
		.amdhsa_float_denorm_mode_16_64 3
		.amdhsa_dx10_clamp 1
		.amdhsa_ieee_mode 1
		.amdhsa_fp16_overflow 0
		.amdhsa_tg_split 0
		.amdhsa_exception_fp_ieee_invalid_op 0
		.amdhsa_exception_fp_denorm_src 0
		.amdhsa_exception_fp_ieee_div_zero 0
		.amdhsa_exception_fp_ieee_overflow 0
		.amdhsa_exception_fp_ieee_underflow 0
		.amdhsa_exception_fp_ieee_inexact 0
		.amdhsa_exception_int_div_zero 0
	.end_amdhsa_kernel
	.section	.text._ZN7rocprim17ROCPRIM_400000_NS6detail17trampoline_kernelINS0_14default_configENS1_20scan_config_selectorIfEEZZNS1_9scan_implILNS1_25lookback_scan_determinismE0ELb1ELb1ES3_N6thrust23THRUST_200600_302600_NS6detail15normal_iteratorINS9_10device_ptrIfEEEESE_f11max_functorIfEfEEDaPvRmT3_T4_T5_mT6_P12ihipStream_tbENKUlT_T0_E_clISt17integral_constantIbLb1EEST_IbLb0EEEEDaSP_SQ_EUlSP_E_NS1_11comp_targetILNS1_3genE4ELNS1_11target_archE910ELNS1_3gpuE8ELNS1_3repE0EEENS1_30default_config_static_selectorELNS0_4arch9wavefront6targetE1EEEvT1_,"axG",@progbits,_ZN7rocprim17ROCPRIM_400000_NS6detail17trampoline_kernelINS0_14default_configENS1_20scan_config_selectorIfEEZZNS1_9scan_implILNS1_25lookback_scan_determinismE0ELb1ELb1ES3_N6thrust23THRUST_200600_302600_NS6detail15normal_iteratorINS9_10device_ptrIfEEEESE_f11max_functorIfEfEEDaPvRmT3_T4_T5_mT6_P12ihipStream_tbENKUlT_T0_E_clISt17integral_constantIbLb1EEST_IbLb0EEEEDaSP_SQ_EUlSP_E_NS1_11comp_targetILNS1_3genE4ELNS1_11target_archE910ELNS1_3gpuE8ELNS1_3repE0EEENS1_30default_config_static_selectorELNS0_4arch9wavefront6targetE1EEEvT1_,comdat
.Lfunc_end2053:
	.size	_ZN7rocprim17ROCPRIM_400000_NS6detail17trampoline_kernelINS0_14default_configENS1_20scan_config_selectorIfEEZZNS1_9scan_implILNS1_25lookback_scan_determinismE0ELb1ELb1ES3_N6thrust23THRUST_200600_302600_NS6detail15normal_iteratorINS9_10device_ptrIfEEEESE_f11max_functorIfEfEEDaPvRmT3_T4_T5_mT6_P12ihipStream_tbENKUlT_T0_E_clISt17integral_constantIbLb1EEST_IbLb0EEEEDaSP_SQ_EUlSP_E_NS1_11comp_targetILNS1_3genE4ELNS1_11target_archE910ELNS1_3gpuE8ELNS1_3repE0EEENS1_30default_config_static_selectorELNS0_4arch9wavefront6targetE1EEEvT1_, .Lfunc_end2053-_ZN7rocprim17ROCPRIM_400000_NS6detail17trampoline_kernelINS0_14default_configENS1_20scan_config_selectorIfEEZZNS1_9scan_implILNS1_25lookback_scan_determinismE0ELb1ELb1ES3_N6thrust23THRUST_200600_302600_NS6detail15normal_iteratorINS9_10device_ptrIfEEEESE_f11max_functorIfEfEEDaPvRmT3_T4_T5_mT6_P12ihipStream_tbENKUlT_T0_E_clISt17integral_constantIbLb1EEST_IbLb0EEEEDaSP_SQ_EUlSP_E_NS1_11comp_targetILNS1_3genE4ELNS1_11target_archE910ELNS1_3gpuE8ELNS1_3repE0EEENS1_30default_config_static_selectorELNS0_4arch9wavefront6targetE1EEEvT1_
                                        ; -- End function
	.section	.AMDGPU.csdata,"",@progbits
; Kernel info:
; codeLenInByte = 6408
; NumSgprs: 38
; NumVgprs: 44
; NumAgprs: 0
; TotalNumVgprs: 44
; ScratchSize: 0
; MemoryBound: 0
; FloatMode: 240
; IeeeMode: 1
; LDSByteSize: 7168 bytes/workgroup (compile time only)
; SGPRBlocks: 4
; VGPRBlocks: 5
; NumSGPRsForWavesPerEU: 38
; NumVGPRsForWavesPerEU: 44
; AccumOffset: 44
; Occupancy: 5
; WaveLimiterHint : 1
; COMPUTE_PGM_RSRC2:SCRATCH_EN: 0
; COMPUTE_PGM_RSRC2:USER_SGPR: 6
; COMPUTE_PGM_RSRC2:TRAP_HANDLER: 0
; COMPUTE_PGM_RSRC2:TGID_X_EN: 1
; COMPUTE_PGM_RSRC2:TGID_Y_EN: 0
; COMPUTE_PGM_RSRC2:TGID_Z_EN: 0
; COMPUTE_PGM_RSRC2:TIDIG_COMP_CNT: 0
; COMPUTE_PGM_RSRC3_GFX90A:ACCUM_OFFSET: 10
; COMPUTE_PGM_RSRC3_GFX90A:TG_SPLIT: 0
	.section	.text._ZN7rocprim17ROCPRIM_400000_NS6detail17trampoline_kernelINS0_14default_configENS1_20scan_config_selectorIfEEZZNS1_9scan_implILNS1_25lookback_scan_determinismE0ELb1ELb1ES3_N6thrust23THRUST_200600_302600_NS6detail15normal_iteratorINS9_10device_ptrIfEEEESE_f11max_functorIfEfEEDaPvRmT3_T4_T5_mT6_P12ihipStream_tbENKUlT_T0_E_clISt17integral_constantIbLb1EEST_IbLb0EEEEDaSP_SQ_EUlSP_E_NS1_11comp_targetILNS1_3genE3ELNS1_11target_archE908ELNS1_3gpuE7ELNS1_3repE0EEENS1_30default_config_static_selectorELNS0_4arch9wavefront6targetE1EEEvT1_,"axG",@progbits,_ZN7rocprim17ROCPRIM_400000_NS6detail17trampoline_kernelINS0_14default_configENS1_20scan_config_selectorIfEEZZNS1_9scan_implILNS1_25lookback_scan_determinismE0ELb1ELb1ES3_N6thrust23THRUST_200600_302600_NS6detail15normal_iteratorINS9_10device_ptrIfEEEESE_f11max_functorIfEfEEDaPvRmT3_T4_T5_mT6_P12ihipStream_tbENKUlT_T0_E_clISt17integral_constantIbLb1EEST_IbLb0EEEEDaSP_SQ_EUlSP_E_NS1_11comp_targetILNS1_3genE3ELNS1_11target_archE908ELNS1_3gpuE7ELNS1_3repE0EEENS1_30default_config_static_selectorELNS0_4arch9wavefront6targetE1EEEvT1_,comdat
	.protected	_ZN7rocprim17ROCPRIM_400000_NS6detail17trampoline_kernelINS0_14default_configENS1_20scan_config_selectorIfEEZZNS1_9scan_implILNS1_25lookback_scan_determinismE0ELb1ELb1ES3_N6thrust23THRUST_200600_302600_NS6detail15normal_iteratorINS9_10device_ptrIfEEEESE_f11max_functorIfEfEEDaPvRmT3_T4_T5_mT6_P12ihipStream_tbENKUlT_T0_E_clISt17integral_constantIbLb1EEST_IbLb0EEEEDaSP_SQ_EUlSP_E_NS1_11comp_targetILNS1_3genE3ELNS1_11target_archE908ELNS1_3gpuE7ELNS1_3repE0EEENS1_30default_config_static_selectorELNS0_4arch9wavefront6targetE1EEEvT1_ ; -- Begin function _ZN7rocprim17ROCPRIM_400000_NS6detail17trampoline_kernelINS0_14default_configENS1_20scan_config_selectorIfEEZZNS1_9scan_implILNS1_25lookback_scan_determinismE0ELb1ELb1ES3_N6thrust23THRUST_200600_302600_NS6detail15normal_iteratorINS9_10device_ptrIfEEEESE_f11max_functorIfEfEEDaPvRmT3_T4_T5_mT6_P12ihipStream_tbENKUlT_T0_E_clISt17integral_constantIbLb1EEST_IbLb0EEEEDaSP_SQ_EUlSP_E_NS1_11comp_targetILNS1_3genE3ELNS1_11target_archE908ELNS1_3gpuE7ELNS1_3repE0EEENS1_30default_config_static_selectorELNS0_4arch9wavefront6targetE1EEEvT1_
	.globl	_ZN7rocprim17ROCPRIM_400000_NS6detail17trampoline_kernelINS0_14default_configENS1_20scan_config_selectorIfEEZZNS1_9scan_implILNS1_25lookback_scan_determinismE0ELb1ELb1ES3_N6thrust23THRUST_200600_302600_NS6detail15normal_iteratorINS9_10device_ptrIfEEEESE_f11max_functorIfEfEEDaPvRmT3_T4_T5_mT6_P12ihipStream_tbENKUlT_T0_E_clISt17integral_constantIbLb1EEST_IbLb0EEEEDaSP_SQ_EUlSP_E_NS1_11comp_targetILNS1_3genE3ELNS1_11target_archE908ELNS1_3gpuE7ELNS1_3repE0EEENS1_30default_config_static_selectorELNS0_4arch9wavefront6targetE1EEEvT1_
	.p2align	8
	.type	_ZN7rocprim17ROCPRIM_400000_NS6detail17trampoline_kernelINS0_14default_configENS1_20scan_config_selectorIfEEZZNS1_9scan_implILNS1_25lookback_scan_determinismE0ELb1ELb1ES3_N6thrust23THRUST_200600_302600_NS6detail15normal_iteratorINS9_10device_ptrIfEEEESE_f11max_functorIfEfEEDaPvRmT3_T4_T5_mT6_P12ihipStream_tbENKUlT_T0_E_clISt17integral_constantIbLb1EEST_IbLb0EEEEDaSP_SQ_EUlSP_E_NS1_11comp_targetILNS1_3genE3ELNS1_11target_archE908ELNS1_3gpuE7ELNS1_3repE0EEENS1_30default_config_static_selectorELNS0_4arch9wavefront6targetE1EEEvT1_,@function
_ZN7rocprim17ROCPRIM_400000_NS6detail17trampoline_kernelINS0_14default_configENS1_20scan_config_selectorIfEEZZNS1_9scan_implILNS1_25lookback_scan_determinismE0ELb1ELb1ES3_N6thrust23THRUST_200600_302600_NS6detail15normal_iteratorINS9_10device_ptrIfEEEESE_f11max_functorIfEfEEDaPvRmT3_T4_T5_mT6_P12ihipStream_tbENKUlT_T0_E_clISt17integral_constantIbLb1EEST_IbLb0EEEEDaSP_SQ_EUlSP_E_NS1_11comp_targetILNS1_3genE3ELNS1_11target_archE908ELNS1_3gpuE7ELNS1_3repE0EEENS1_30default_config_static_selectorELNS0_4arch9wavefront6targetE1EEEvT1_: ; @_ZN7rocprim17ROCPRIM_400000_NS6detail17trampoline_kernelINS0_14default_configENS1_20scan_config_selectorIfEEZZNS1_9scan_implILNS1_25lookback_scan_determinismE0ELb1ELb1ES3_N6thrust23THRUST_200600_302600_NS6detail15normal_iteratorINS9_10device_ptrIfEEEESE_f11max_functorIfEfEEDaPvRmT3_T4_T5_mT6_P12ihipStream_tbENKUlT_T0_E_clISt17integral_constantIbLb1EEST_IbLb0EEEEDaSP_SQ_EUlSP_E_NS1_11comp_targetILNS1_3genE3ELNS1_11target_archE908ELNS1_3gpuE7ELNS1_3repE0EEENS1_30default_config_static_selectorELNS0_4arch9wavefront6targetE1EEEvT1_
; %bb.0:
	.section	.rodata,"a",@progbits
	.p2align	6, 0x0
	.amdhsa_kernel _ZN7rocprim17ROCPRIM_400000_NS6detail17trampoline_kernelINS0_14default_configENS1_20scan_config_selectorIfEEZZNS1_9scan_implILNS1_25lookback_scan_determinismE0ELb1ELb1ES3_N6thrust23THRUST_200600_302600_NS6detail15normal_iteratorINS9_10device_ptrIfEEEESE_f11max_functorIfEfEEDaPvRmT3_T4_T5_mT6_P12ihipStream_tbENKUlT_T0_E_clISt17integral_constantIbLb1EEST_IbLb0EEEEDaSP_SQ_EUlSP_E_NS1_11comp_targetILNS1_3genE3ELNS1_11target_archE908ELNS1_3gpuE7ELNS1_3repE0EEENS1_30default_config_static_selectorELNS0_4arch9wavefront6targetE1EEEvT1_
		.amdhsa_group_segment_fixed_size 0
		.amdhsa_private_segment_fixed_size 0
		.amdhsa_kernarg_size 96
		.amdhsa_user_sgpr_count 6
		.amdhsa_user_sgpr_private_segment_buffer 1
		.amdhsa_user_sgpr_dispatch_ptr 0
		.amdhsa_user_sgpr_queue_ptr 0
		.amdhsa_user_sgpr_kernarg_segment_ptr 1
		.amdhsa_user_sgpr_dispatch_id 0
		.amdhsa_user_sgpr_flat_scratch_init 0
		.amdhsa_user_sgpr_kernarg_preload_length 0
		.amdhsa_user_sgpr_kernarg_preload_offset 0
		.amdhsa_user_sgpr_private_segment_size 0
		.amdhsa_uses_dynamic_stack 0
		.amdhsa_system_sgpr_private_segment_wavefront_offset 0
		.amdhsa_system_sgpr_workgroup_id_x 1
		.amdhsa_system_sgpr_workgroup_id_y 0
		.amdhsa_system_sgpr_workgroup_id_z 0
		.amdhsa_system_sgpr_workgroup_info 0
		.amdhsa_system_vgpr_workitem_id 0
		.amdhsa_next_free_vgpr 1
		.amdhsa_next_free_sgpr 0
		.amdhsa_accum_offset 4
		.amdhsa_reserve_vcc 0
		.amdhsa_reserve_flat_scratch 0
		.amdhsa_float_round_mode_32 0
		.amdhsa_float_round_mode_16_64 0
		.amdhsa_float_denorm_mode_32 3
		.amdhsa_float_denorm_mode_16_64 3
		.amdhsa_dx10_clamp 1
		.amdhsa_ieee_mode 1
		.amdhsa_fp16_overflow 0
		.amdhsa_tg_split 0
		.amdhsa_exception_fp_ieee_invalid_op 0
		.amdhsa_exception_fp_denorm_src 0
		.amdhsa_exception_fp_ieee_div_zero 0
		.amdhsa_exception_fp_ieee_overflow 0
		.amdhsa_exception_fp_ieee_underflow 0
		.amdhsa_exception_fp_ieee_inexact 0
		.amdhsa_exception_int_div_zero 0
	.end_amdhsa_kernel
	.section	.text._ZN7rocprim17ROCPRIM_400000_NS6detail17trampoline_kernelINS0_14default_configENS1_20scan_config_selectorIfEEZZNS1_9scan_implILNS1_25lookback_scan_determinismE0ELb1ELb1ES3_N6thrust23THRUST_200600_302600_NS6detail15normal_iteratorINS9_10device_ptrIfEEEESE_f11max_functorIfEfEEDaPvRmT3_T4_T5_mT6_P12ihipStream_tbENKUlT_T0_E_clISt17integral_constantIbLb1EEST_IbLb0EEEEDaSP_SQ_EUlSP_E_NS1_11comp_targetILNS1_3genE3ELNS1_11target_archE908ELNS1_3gpuE7ELNS1_3repE0EEENS1_30default_config_static_selectorELNS0_4arch9wavefront6targetE1EEEvT1_,"axG",@progbits,_ZN7rocprim17ROCPRIM_400000_NS6detail17trampoline_kernelINS0_14default_configENS1_20scan_config_selectorIfEEZZNS1_9scan_implILNS1_25lookback_scan_determinismE0ELb1ELb1ES3_N6thrust23THRUST_200600_302600_NS6detail15normal_iteratorINS9_10device_ptrIfEEEESE_f11max_functorIfEfEEDaPvRmT3_T4_T5_mT6_P12ihipStream_tbENKUlT_T0_E_clISt17integral_constantIbLb1EEST_IbLb0EEEEDaSP_SQ_EUlSP_E_NS1_11comp_targetILNS1_3genE3ELNS1_11target_archE908ELNS1_3gpuE7ELNS1_3repE0EEENS1_30default_config_static_selectorELNS0_4arch9wavefront6targetE1EEEvT1_,comdat
.Lfunc_end2054:
	.size	_ZN7rocprim17ROCPRIM_400000_NS6detail17trampoline_kernelINS0_14default_configENS1_20scan_config_selectorIfEEZZNS1_9scan_implILNS1_25lookback_scan_determinismE0ELb1ELb1ES3_N6thrust23THRUST_200600_302600_NS6detail15normal_iteratorINS9_10device_ptrIfEEEESE_f11max_functorIfEfEEDaPvRmT3_T4_T5_mT6_P12ihipStream_tbENKUlT_T0_E_clISt17integral_constantIbLb1EEST_IbLb0EEEEDaSP_SQ_EUlSP_E_NS1_11comp_targetILNS1_3genE3ELNS1_11target_archE908ELNS1_3gpuE7ELNS1_3repE0EEENS1_30default_config_static_selectorELNS0_4arch9wavefront6targetE1EEEvT1_, .Lfunc_end2054-_ZN7rocprim17ROCPRIM_400000_NS6detail17trampoline_kernelINS0_14default_configENS1_20scan_config_selectorIfEEZZNS1_9scan_implILNS1_25lookback_scan_determinismE0ELb1ELb1ES3_N6thrust23THRUST_200600_302600_NS6detail15normal_iteratorINS9_10device_ptrIfEEEESE_f11max_functorIfEfEEDaPvRmT3_T4_T5_mT6_P12ihipStream_tbENKUlT_T0_E_clISt17integral_constantIbLb1EEST_IbLb0EEEEDaSP_SQ_EUlSP_E_NS1_11comp_targetILNS1_3genE3ELNS1_11target_archE908ELNS1_3gpuE7ELNS1_3repE0EEENS1_30default_config_static_selectorELNS0_4arch9wavefront6targetE1EEEvT1_
                                        ; -- End function
	.section	.AMDGPU.csdata,"",@progbits
; Kernel info:
; codeLenInByte = 0
; NumSgprs: 4
; NumVgprs: 0
; NumAgprs: 0
; TotalNumVgprs: 0
; ScratchSize: 0
; MemoryBound: 0
; FloatMode: 240
; IeeeMode: 1
; LDSByteSize: 0 bytes/workgroup (compile time only)
; SGPRBlocks: 0
; VGPRBlocks: 0
; NumSGPRsForWavesPerEU: 4
; NumVGPRsForWavesPerEU: 1
; AccumOffset: 4
; Occupancy: 8
; WaveLimiterHint : 0
; COMPUTE_PGM_RSRC2:SCRATCH_EN: 0
; COMPUTE_PGM_RSRC2:USER_SGPR: 6
; COMPUTE_PGM_RSRC2:TRAP_HANDLER: 0
; COMPUTE_PGM_RSRC2:TGID_X_EN: 1
; COMPUTE_PGM_RSRC2:TGID_Y_EN: 0
; COMPUTE_PGM_RSRC2:TGID_Z_EN: 0
; COMPUTE_PGM_RSRC2:TIDIG_COMP_CNT: 0
; COMPUTE_PGM_RSRC3_GFX90A:ACCUM_OFFSET: 0
; COMPUTE_PGM_RSRC3_GFX90A:TG_SPLIT: 0
	.section	.text._ZN7rocprim17ROCPRIM_400000_NS6detail17trampoline_kernelINS0_14default_configENS1_20scan_config_selectorIfEEZZNS1_9scan_implILNS1_25lookback_scan_determinismE0ELb1ELb1ES3_N6thrust23THRUST_200600_302600_NS6detail15normal_iteratorINS9_10device_ptrIfEEEESE_f11max_functorIfEfEEDaPvRmT3_T4_T5_mT6_P12ihipStream_tbENKUlT_T0_E_clISt17integral_constantIbLb1EEST_IbLb0EEEEDaSP_SQ_EUlSP_E_NS1_11comp_targetILNS1_3genE2ELNS1_11target_archE906ELNS1_3gpuE6ELNS1_3repE0EEENS1_30default_config_static_selectorELNS0_4arch9wavefront6targetE1EEEvT1_,"axG",@progbits,_ZN7rocprim17ROCPRIM_400000_NS6detail17trampoline_kernelINS0_14default_configENS1_20scan_config_selectorIfEEZZNS1_9scan_implILNS1_25lookback_scan_determinismE0ELb1ELb1ES3_N6thrust23THRUST_200600_302600_NS6detail15normal_iteratorINS9_10device_ptrIfEEEESE_f11max_functorIfEfEEDaPvRmT3_T4_T5_mT6_P12ihipStream_tbENKUlT_T0_E_clISt17integral_constantIbLb1EEST_IbLb0EEEEDaSP_SQ_EUlSP_E_NS1_11comp_targetILNS1_3genE2ELNS1_11target_archE906ELNS1_3gpuE6ELNS1_3repE0EEENS1_30default_config_static_selectorELNS0_4arch9wavefront6targetE1EEEvT1_,comdat
	.protected	_ZN7rocprim17ROCPRIM_400000_NS6detail17trampoline_kernelINS0_14default_configENS1_20scan_config_selectorIfEEZZNS1_9scan_implILNS1_25lookback_scan_determinismE0ELb1ELb1ES3_N6thrust23THRUST_200600_302600_NS6detail15normal_iteratorINS9_10device_ptrIfEEEESE_f11max_functorIfEfEEDaPvRmT3_T4_T5_mT6_P12ihipStream_tbENKUlT_T0_E_clISt17integral_constantIbLb1EEST_IbLb0EEEEDaSP_SQ_EUlSP_E_NS1_11comp_targetILNS1_3genE2ELNS1_11target_archE906ELNS1_3gpuE6ELNS1_3repE0EEENS1_30default_config_static_selectorELNS0_4arch9wavefront6targetE1EEEvT1_ ; -- Begin function _ZN7rocprim17ROCPRIM_400000_NS6detail17trampoline_kernelINS0_14default_configENS1_20scan_config_selectorIfEEZZNS1_9scan_implILNS1_25lookback_scan_determinismE0ELb1ELb1ES3_N6thrust23THRUST_200600_302600_NS6detail15normal_iteratorINS9_10device_ptrIfEEEESE_f11max_functorIfEfEEDaPvRmT3_T4_T5_mT6_P12ihipStream_tbENKUlT_T0_E_clISt17integral_constantIbLb1EEST_IbLb0EEEEDaSP_SQ_EUlSP_E_NS1_11comp_targetILNS1_3genE2ELNS1_11target_archE906ELNS1_3gpuE6ELNS1_3repE0EEENS1_30default_config_static_selectorELNS0_4arch9wavefront6targetE1EEEvT1_
	.globl	_ZN7rocprim17ROCPRIM_400000_NS6detail17trampoline_kernelINS0_14default_configENS1_20scan_config_selectorIfEEZZNS1_9scan_implILNS1_25lookback_scan_determinismE0ELb1ELb1ES3_N6thrust23THRUST_200600_302600_NS6detail15normal_iteratorINS9_10device_ptrIfEEEESE_f11max_functorIfEfEEDaPvRmT3_T4_T5_mT6_P12ihipStream_tbENKUlT_T0_E_clISt17integral_constantIbLb1EEST_IbLb0EEEEDaSP_SQ_EUlSP_E_NS1_11comp_targetILNS1_3genE2ELNS1_11target_archE906ELNS1_3gpuE6ELNS1_3repE0EEENS1_30default_config_static_selectorELNS0_4arch9wavefront6targetE1EEEvT1_
	.p2align	8
	.type	_ZN7rocprim17ROCPRIM_400000_NS6detail17trampoline_kernelINS0_14default_configENS1_20scan_config_selectorIfEEZZNS1_9scan_implILNS1_25lookback_scan_determinismE0ELb1ELb1ES3_N6thrust23THRUST_200600_302600_NS6detail15normal_iteratorINS9_10device_ptrIfEEEESE_f11max_functorIfEfEEDaPvRmT3_T4_T5_mT6_P12ihipStream_tbENKUlT_T0_E_clISt17integral_constantIbLb1EEST_IbLb0EEEEDaSP_SQ_EUlSP_E_NS1_11comp_targetILNS1_3genE2ELNS1_11target_archE906ELNS1_3gpuE6ELNS1_3repE0EEENS1_30default_config_static_selectorELNS0_4arch9wavefront6targetE1EEEvT1_,@function
_ZN7rocprim17ROCPRIM_400000_NS6detail17trampoline_kernelINS0_14default_configENS1_20scan_config_selectorIfEEZZNS1_9scan_implILNS1_25lookback_scan_determinismE0ELb1ELb1ES3_N6thrust23THRUST_200600_302600_NS6detail15normal_iteratorINS9_10device_ptrIfEEEESE_f11max_functorIfEfEEDaPvRmT3_T4_T5_mT6_P12ihipStream_tbENKUlT_T0_E_clISt17integral_constantIbLb1EEST_IbLb0EEEEDaSP_SQ_EUlSP_E_NS1_11comp_targetILNS1_3genE2ELNS1_11target_archE906ELNS1_3gpuE6ELNS1_3repE0EEENS1_30default_config_static_selectorELNS0_4arch9wavefront6targetE1EEEvT1_: ; @_ZN7rocprim17ROCPRIM_400000_NS6detail17trampoline_kernelINS0_14default_configENS1_20scan_config_selectorIfEEZZNS1_9scan_implILNS1_25lookback_scan_determinismE0ELb1ELb1ES3_N6thrust23THRUST_200600_302600_NS6detail15normal_iteratorINS9_10device_ptrIfEEEESE_f11max_functorIfEfEEDaPvRmT3_T4_T5_mT6_P12ihipStream_tbENKUlT_T0_E_clISt17integral_constantIbLb1EEST_IbLb0EEEEDaSP_SQ_EUlSP_E_NS1_11comp_targetILNS1_3genE2ELNS1_11target_archE906ELNS1_3gpuE6ELNS1_3repE0EEENS1_30default_config_static_selectorELNS0_4arch9wavefront6targetE1EEEvT1_
; %bb.0:
	.section	.rodata,"a",@progbits
	.p2align	6, 0x0
	.amdhsa_kernel _ZN7rocprim17ROCPRIM_400000_NS6detail17trampoline_kernelINS0_14default_configENS1_20scan_config_selectorIfEEZZNS1_9scan_implILNS1_25lookback_scan_determinismE0ELb1ELb1ES3_N6thrust23THRUST_200600_302600_NS6detail15normal_iteratorINS9_10device_ptrIfEEEESE_f11max_functorIfEfEEDaPvRmT3_T4_T5_mT6_P12ihipStream_tbENKUlT_T0_E_clISt17integral_constantIbLb1EEST_IbLb0EEEEDaSP_SQ_EUlSP_E_NS1_11comp_targetILNS1_3genE2ELNS1_11target_archE906ELNS1_3gpuE6ELNS1_3repE0EEENS1_30default_config_static_selectorELNS0_4arch9wavefront6targetE1EEEvT1_
		.amdhsa_group_segment_fixed_size 0
		.amdhsa_private_segment_fixed_size 0
		.amdhsa_kernarg_size 96
		.amdhsa_user_sgpr_count 6
		.amdhsa_user_sgpr_private_segment_buffer 1
		.amdhsa_user_sgpr_dispatch_ptr 0
		.amdhsa_user_sgpr_queue_ptr 0
		.amdhsa_user_sgpr_kernarg_segment_ptr 1
		.amdhsa_user_sgpr_dispatch_id 0
		.amdhsa_user_sgpr_flat_scratch_init 0
		.amdhsa_user_sgpr_kernarg_preload_length 0
		.amdhsa_user_sgpr_kernarg_preload_offset 0
		.amdhsa_user_sgpr_private_segment_size 0
		.amdhsa_uses_dynamic_stack 0
		.amdhsa_system_sgpr_private_segment_wavefront_offset 0
		.amdhsa_system_sgpr_workgroup_id_x 1
		.amdhsa_system_sgpr_workgroup_id_y 0
		.amdhsa_system_sgpr_workgroup_id_z 0
		.amdhsa_system_sgpr_workgroup_info 0
		.amdhsa_system_vgpr_workitem_id 0
		.amdhsa_next_free_vgpr 1
		.amdhsa_next_free_sgpr 0
		.amdhsa_accum_offset 4
		.amdhsa_reserve_vcc 0
		.amdhsa_reserve_flat_scratch 0
		.amdhsa_float_round_mode_32 0
		.amdhsa_float_round_mode_16_64 0
		.amdhsa_float_denorm_mode_32 3
		.amdhsa_float_denorm_mode_16_64 3
		.amdhsa_dx10_clamp 1
		.amdhsa_ieee_mode 1
		.amdhsa_fp16_overflow 0
		.amdhsa_tg_split 0
		.amdhsa_exception_fp_ieee_invalid_op 0
		.amdhsa_exception_fp_denorm_src 0
		.amdhsa_exception_fp_ieee_div_zero 0
		.amdhsa_exception_fp_ieee_overflow 0
		.amdhsa_exception_fp_ieee_underflow 0
		.amdhsa_exception_fp_ieee_inexact 0
		.amdhsa_exception_int_div_zero 0
	.end_amdhsa_kernel
	.section	.text._ZN7rocprim17ROCPRIM_400000_NS6detail17trampoline_kernelINS0_14default_configENS1_20scan_config_selectorIfEEZZNS1_9scan_implILNS1_25lookback_scan_determinismE0ELb1ELb1ES3_N6thrust23THRUST_200600_302600_NS6detail15normal_iteratorINS9_10device_ptrIfEEEESE_f11max_functorIfEfEEDaPvRmT3_T4_T5_mT6_P12ihipStream_tbENKUlT_T0_E_clISt17integral_constantIbLb1EEST_IbLb0EEEEDaSP_SQ_EUlSP_E_NS1_11comp_targetILNS1_3genE2ELNS1_11target_archE906ELNS1_3gpuE6ELNS1_3repE0EEENS1_30default_config_static_selectorELNS0_4arch9wavefront6targetE1EEEvT1_,"axG",@progbits,_ZN7rocprim17ROCPRIM_400000_NS6detail17trampoline_kernelINS0_14default_configENS1_20scan_config_selectorIfEEZZNS1_9scan_implILNS1_25lookback_scan_determinismE0ELb1ELb1ES3_N6thrust23THRUST_200600_302600_NS6detail15normal_iteratorINS9_10device_ptrIfEEEESE_f11max_functorIfEfEEDaPvRmT3_T4_T5_mT6_P12ihipStream_tbENKUlT_T0_E_clISt17integral_constantIbLb1EEST_IbLb0EEEEDaSP_SQ_EUlSP_E_NS1_11comp_targetILNS1_3genE2ELNS1_11target_archE906ELNS1_3gpuE6ELNS1_3repE0EEENS1_30default_config_static_selectorELNS0_4arch9wavefront6targetE1EEEvT1_,comdat
.Lfunc_end2055:
	.size	_ZN7rocprim17ROCPRIM_400000_NS6detail17trampoline_kernelINS0_14default_configENS1_20scan_config_selectorIfEEZZNS1_9scan_implILNS1_25lookback_scan_determinismE0ELb1ELb1ES3_N6thrust23THRUST_200600_302600_NS6detail15normal_iteratorINS9_10device_ptrIfEEEESE_f11max_functorIfEfEEDaPvRmT3_T4_T5_mT6_P12ihipStream_tbENKUlT_T0_E_clISt17integral_constantIbLb1EEST_IbLb0EEEEDaSP_SQ_EUlSP_E_NS1_11comp_targetILNS1_3genE2ELNS1_11target_archE906ELNS1_3gpuE6ELNS1_3repE0EEENS1_30default_config_static_selectorELNS0_4arch9wavefront6targetE1EEEvT1_, .Lfunc_end2055-_ZN7rocprim17ROCPRIM_400000_NS6detail17trampoline_kernelINS0_14default_configENS1_20scan_config_selectorIfEEZZNS1_9scan_implILNS1_25lookback_scan_determinismE0ELb1ELb1ES3_N6thrust23THRUST_200600_302600_NS6detail15normal_iteratorINS9_10device_ptrIfEEEESE_f11max_functorIfEfEEDaPvRmT3_T4_T5_mT6_P12ihipStream_tbENKUlT_T0_E_clISt17integral_constantIbLb1EEST_IbLb0EEEEDaSP_SQ_EUlSP_E_NS1_11comp_targetILNS1_3genE2ELNS1_11target_archE906ELNS1_3gpuE6ELNS1_3repE0EEENS1_30default_config_static_selectorELNS0_4arch9wavefront6targetE1EEEvT1_
                                        ; -- End function
	.section	.AMDGPU.csdata,"",@progbits
; Kernel info:
; codeLenInByte = 0
; NumSgprs: 4
; NumVgprs: 0
; NumAgprs: 0
; TotalNumVgprs: 0
; ScratchSize: 0
; MemoryBound: 0
; FloatMode: 240
; IeeeMode: 1
; LDSByteSize: 0 bytes/workgroup (compile time only)
; SGPRBlocks: 0
; VGPRBlocks: 0
; NumSGPRsForWavesPerEU: 4
; NumVGPRsForWavesPerEU: 1
; AccumOffset: 4
; Occupancy: 8
; WaveLimiterHint : 0
; COMPUTE_PGM_RSRC2:SCRATCH_EN: 0
; COMPUTE_PGM_RSRC2:USER_SGPR: 6
; COMPUTE_PGM_RSRC2:TRAP_HANDLER: 0
; COMPUTE_PGM_RSRC2:TGID_X_EN: 1
; COMPUTE_PGM_RSRC2:TGID_Y_EN: 0
; COMPUTE_PGM_RSRC2:TGID_Z_EN: 0
; COMPUTE_PGM_RSRC2:TIDIG_COMP_CNT: 0
; COMPUTE_PGM_RSRC3_GFX90A:ACCUM_OFFSET: 0
; COMPUTE_PGM_RSRC3_GFX90A:TG_SPLIT: 0
	.section	.text._ZN7rocprim17ROCPRIM_400000_NS6detail17trampoline_kernelINS0_14default_configENS1_20scan_config_selectorIfEEZZNS1_9scan_implILNS1_25lookback_scan_determinismE0ELb1ELb1ES3_N6thrust23THRUST_200600_302600_NS6detail15normal_iteratorINS9_10device_ptrIfEEEESE_f11max_functorIfEfEEDaPvRmT3_T4_T5_mT6_P12ihipStream_tbENKUlT_T0_E_clISt17integral_constantIbLb1EEST_IbLb0EEEEDaSP_SQ_EUlSP_E_NS1_11comp_targetILNS1_3genE10ELNS1_11target_archE1201ELNS1_3gpuE5ELNS1_3repE0EEENS1_30default_config_static_selectorELNS0_4arch9wavefront6targetE1EEEvT1_,"axG",@progbits,_ZN7rocprim17ROCPRIM_400000_NS6detail17trampoline_kernelINS0_14default_configENS1_20scan_config_selectorIfEEZZNS1_9scan_implILNS1_25lookback_scan_determinismE0ELb1ELb1ES3_N6thrust23THRUST_200600_302600_NS6detail15normal_iteratorINS9_10device_ptrIfEEEESE_f11max_functorIfEfEEDaPvRmT3_T4_T5_mT6_P12ihipStream_tbENKUlT_T0_E_clISt17integral_constantIbLb1EEST_IbLb0EEEEDaSP_SQ_EUlSP_E_NS1_11comp_targetILNS1_3genE10ELNS1_11target_archE1201ELNS1_3gpuE5ELNS1_3repE0EEENS1_30default_config_static_selectorELNS0_4arch9wavefront6targetE1EEEvT1_,comdat
	.protected	_ZN7rocprim17ROCPRIM_400000_NS6detail17trampoline_kernelINS0_14default_configENS1_20scan_config_selectorIfEEZZNS1_9scan_implILNS1_25lookback_scan_determinismE0ELb1ELb1ES3_N6thrust23THRUST_200600_302600_NS6detail15normal_iteratorINS9_10device_ptrIfEEEESE_f11max_functorIfEfEEDaPvRmT3_T4_T5_mT6_P12ihipStream_tbENKUlT_T0_E_clISt17integral_constantIbLb1EEST_IbLb0EEEEDaSP_SQ_EUlSP_E_NS1_11comp_targetILNS1_3genE10ELNS1_11target_archE1201ELNS1_3gpuE5ELNS1_3repE0EEENS1_30default_config_static_selectorELNS0_4arch9wavefront6targetE1EEEvT1_ ; -- Begin function _ZN7rocprim17ROCPRIM_400000_NS6detail17trampoline_kernelINS0_14default_configENS1_20scan_config_selectorIfEEZZNS1_9scan_implILNS1_25lookback_scan_determinismE0ELb1ELb1ES3_N6thrust23THRUST_200600_302600_NS6detail15normal_iteratorINS9_10device_ptrIfEEEESE_f11max_functorIfEfEEDaPvRmT3_T4_T5_mT6_P12ihipStream_tbENKUlT_T0_E_clISt17integral_constantIbLb1EEST_IbLb0EEEEDaSP_SQ_EUlSP_E_NS1_11comp_targetILNS1_3genE10ELNS1_11target_archE1201ELNS1_3gpuE5ELNS1_3repE0EEENS1_30default_config_static_selectorELNS0_4arch9wavefront6targetE1EEEvT1_
	.globl	_ZN7rocprim17ROCPRIM_400000_NS6detail17trampoline_kernelINS0_14default_configENS1_20scan_config_selectorIfEEZZNS1_9scan_implILNS1_25lookback_scan_determinismE0ELb1ELb1ES3_N6thrust23THRUST_200600_302600_NS6detail15normal_iteratorINS9_10device_ptrIfEEEESE_f11max_functorIfEfEEDaPvRmT3_T4_T5_mT6_P12ihipStream_tbENKUlT_T0_E_clISt17integral_constantIbLb1EEST_IbLb0EEEEDaSP_SQ_EUlSP_E_NS1_11comp_targetILNS1_3genE10ELNS1_11target_archE1201ELNS1_3gpuE5ELNS1_3repE0EEENS1_30default_config_static_selectorELNS0_4arch9wavefront6targetE1EEEvT1_
	.p2align	8
	.type	_ZN7rocprim17ROCPRIM_400000_NS6detail17trampoline_kernelINS0_14default_configENS1_20scan_config_selectorIfEEZZNS1_9scan_implILNS1_25lookback_scan_determinismE0ELb1ELb1ES3_N6thrust23THRUST_200600_302600_NS6detail15normal_iteratorINS9_10device_ptrIfEEEESE_f11max_functorIfEfEEDaPvRmT3_T4_T5_mT6_P12ihipStream_tbENKUlT_T0_E_clISt17integral_constantIbLb1EEST_IbLb0EEEEDaSP_SQ_EUlSP_E_NS1_11comp_targetILNS1_3genE10ELNS1_11target_archE1201ELNS1_3gpuE5ELNS1_3repE0EEENS1_30default_config_static_selectorELNS0_4arch9wavefront6targetE1EEEvT1_,@function
_ZN7rocprim17ROCPRIM_400000_NS6detail17trampoline_kernelINS0_14default_configENS1_20scan_config_selectorIfEEZZNS1_9scan_implILNS1_25lookback_scan_determinismE0ELb1ELb1ES3_N6thrust23THRUST_200600_302600_NS6detail15normal_iteratorINS9_10device_ptrIfEEEESE_f11max_functorIfEfEEDaPvRmT3_T4_T5_mT6_P12ihipStream_tbENKUlT_T0_E_clISt17integral_constantIbLb1EEST_IbLb0EEEEDaSP_SQ_EUlSP_E_NS1_11comp_targetILNS1_3genE10ELNS1_11target_archE1201ELNS1_3gpuE5ELNS1_3repE0EEENS1_30default_config_static_selectorELNS0_4arch9wavefront6targetE1EEEvT1_: ; @_ZN7rocprim17ROCPRIM_400000_NS6detail17trampoline_kernelINS0_14default_configENS1_20scan_config_selectorIfEEZZNS1_9scan_implILNS1_25lookback_scan_determinismE0ELb1ELb1ES3_N6thrust23THRUST_200600_302600_NS6detail15normal_iteratorINS9_10device_ptrIfEEEESE_f11max_functorIfEfEEDaPvRmT3_T4_T5_mT6_P12ihipStream_tbENKUlT_T0_E_clISt17integral_constantIbLb1EEST_IbLb0EEEEDaSP_SQ_EUlSP_E_NS1_11comp_targetILNS1_3genE10ELNS1_11target_archE1201ELNS1_3gpuE5ELNS1_3repE0EEENS1_30default_config_static_selectorELNS0_4arch9wavefront6targetE1EEEvT1_
; %bb.0:
	.section	.rodata,"a",@progbits
	.p2align	6, 0x0
	.amdhsa_kernel _ZN7rocprim17ROCPRIM_400000_NS6detail17trampoline_kernelINS0_14default_configENS1_20scan_config_selectorIfEEZZNS1_9scan_implILNS1_25lookback_scan_determinismE0ELb1ELb1ES3_N6thrust23THRUST_200600_302600_NS6detail15normal_iteratorINS9_10device_ptrIfEEEESE_f11max_functorIfEfEEDaPvRmT3_T4_T5_mT6_P12ihipStream_tbENKUlT_T0_E_clISt17integral_constantIbLb1EEST_IbLb0EEEEDaSP_SQ_EUlSP_E_NS1_11comp_targetILNS1_3genE10ELNS1_11target_archE1201ELNS1_3gpuE5ELNS1_3repE0EEENS1_30default_config_static_selectorELNS0_4arch9wavefront6targetE1EEEvT1_
		.amdhsa_group_segment_fixed_size 0
		.amdhsa_private_segment_fixed_size 0
		.amdhsa_kernarg_size 96
		.amdhsa_user_sgpr_count 6
		.amdhsa_user_sgpr_private_segment_buffer 1
		.amdhsa_user_sgpr_dispatch_ptr 0
		.amdhsa_user_sgpr_queue_ptr 0
		.amdhsa_user_sgpr_kernarg_segment_ptr 1
		.amdhsa_user_sgpr_dispatch_id 0
		.amdhsa_user_sgpr_flat_scratch_init 0
		.amdhsa_user_sgpr_kernarg_preload_length 0
		.amdhsa_user_sgpr_kernarg_preload_offset 0
		.amdhsa_user_sgpr_private_segment_size 0
		.amdhsa_uses_dynamic_stack 0
		.amdhsa_system_sgpr_private_segment_wavefront_offset 0
		.amdhsa_system_sgpr_workgroup_id_x 1
		.amdhsa_system_sgpr_workgroup_id_y 0
		.amdhsa_system_sgpr_workgroup_id_z 0
		.amdhsa_system_sgpr_workgroup_info 0
		.amdhsa_system_vgpr_workitem_id 0
		.amdhsa_next_free_vgpr 1
		.amdhsa_next_free_sgpr 0
		.amdhsa_accum_offset 4
		.amdhsa_reserve_vcc 0
		.amdhsa_reserve_flat_scratch 0
		.amdhsa_float_round_mode_32 0
		.amdhsa_float_round_mode_16_64 0
		.amdhsa_float_denorm_mode_32 3
		.amdhsa_float_denorm_mode_16_64 3
		.amdhsa_dx10_clamp 1
		.amdhsa_ieee_mode 1
		.amdhsa_fp16_overflow 0
		.amdhsa_tg_split 0
		.amdhsa_exception_fp_ieee_invalid_op 0
		.amdhsa_exception_fp_denorm_src 0
		.amdhsa_exception_fp_ieee_div_zero 0
		.amdhsa_exception_fp_ieee_overflow 0
		.amdhsa_exception_fp_ieee_underflow 0
		.amdhsa_exception_fp_ieee_inexact 0
		.amdhsa_exception_int_div_zero 0
	.end_amdhsa_kernel
	.section	.text._ZN7rocprim17ROCPRIM_400000_NS6detail17trampoline_kernelINS0_14default_configENS1_20scan_config_selectorIfEEZZNS1_9scan_implILNS1_25lookback_scan_determinismE0ELb1ELb1ES3_N6thrust23THRUST_200600_302600_NS6detail15normal_iteratorINS9_10device_ptrIfEEEESE_f11max_functorIfEfEEDaPvRmT3_T4_T5_mT6_P12ihipStream_tbENKUlT_T0_E_clISt17integral_constantIbLb1EEST_IbLb0EEEEDaSP_SQ_EUlSP_E_NS1_11comp_targetILNS1_3genE10ELNS1_11target_archE1201ELNS1_3gpuE5ELNS1_3repE0EEENS1_30default_config_static_selectorELNS0_4arch9wavefront6targetE1EEEvT1_,"axG",@progbits,_ZN7rocprim17ROCPRIM_400000_NS6detail17trampoline_kernelINS0_14default_configENS1_20scan_config_selectorIfEEZZNS1_9scan_implILNS1_25lookback_scan_determinismE0ELb1ELb1ES3_N6thrust23THRUST_200600_302600_NS6detail15normal_iteratorINS9_10device_ptrIfEEEESE_f11max_functorIfEfEEDaPvRmT3_T4_T5_mT6_P12ihipStream_tbENKUlT_T0_E_clISt17integral_constantIbLb1EEST_IbLb0EEEEDaSP_SQ_EUlSP_E_NS1_11comp_targetILNS1_3genE10ELNS1_11target_archE1201ELNS1_3gpuE5ELNS1_3repE0EEENS1_30default_config_static_selectorELNS0_4arch9wavefront6targetE1EEEvT1_,comdat
.Lfunc_end2056:
	.size	_ZN7rocprim17ROCPRIM_400000_NS6detail17trampoline_kernelINS0_14default_configENS1_20scan_config_selectorIfEEZZNS1_9scan_implILNS1_25lookback_scan_determinismE0ELb1ELb1ES3_N6thrust23THRUST_200600_302600_NS6detail15normal_iteratorINS9_10device_ptrIfEEEESE_f11max_functorIfEfEEDaPvRmT3_T4_T5_mT6_P12ihipStream_tbENKUlT_T0_E_clISt17integral_constantIbLb1EEST_IbLb0EEEEDaSP_SQ_EUlSP_E_NS1_11comp_targetILNS1_3genE10ELNS1_11target_archE1201ELNS1_3gpuE5ELNS1_3repE0EEENS1_30default_config_static_selectorELNS0_4arch9wavefront6targetE1EEEvT1_, .Lfunc_end2056-_ZN7rocprim17ROCPRIM_400000_NS6detail17trampoline_kernelINS0_14default_configENS1_20scan_config_selectorIfEEZZNS1_9scan_implILNS1_25lookback_scan_determinismE0ELb1ELb1ES3_N6thrust23THRUST_200600_302600_NS6detail15normal_iteratorINS9_10device_ptrIfEEEESE_f11max_functorIfEfEEDaPvRmT3_T4_T5_mT6_P12ihipStream_tbENKUlT_T0_E_clISt17integral_constantIbLb1EEST_IbLb0EEEEDaSP_SQ_EUlSP_E_NS1_11comp_targetILNS1_3genE10ELNS1_11target_archE1201ELNS1_3gpuE5ELNS1_3repE0EEENS1_30default_config_static_selectorELNS0_4arch9wavefront6targetE1EEEvT1_
                                        ; -- End function
	.section	.AMDGPU.csdata,"",@progbits
; Kernel info:
; codeLenInByte = 0
; NumSgprs: 4
; NumVgprs: 0
; NumAgprs: 0
; TotalNumVgprs: 0
; ScratchSize: 0
; MemoryBound: 0
; FloatMode: 240
; IeeeMode: 1
; LDSByteSize: 0 bytes/workgroup (compile time only)
; SGPRBlocks: 0
; VGPRBlocks: 0
; NumSGPRsForWavesPerEU: 4
; NumVGPRsForWavesPerEU: 1
; AccumOffset: 4
; Occupancy: 8
; WaveLimiterHint : 0
; COMPUTE_PGM_RSRC2:SCRATCH_EN: 0
; COMPUTE_PGM_RSRC2:USER_SGPR: 6
; COMPUTE_PGM_RSRC2:TRAP_HANDLER: 0
; COMPUTE_PGM_RSRC2:TGID_X_EN: 1
; COMPUTE_PGM_RSRC2:TGID_Y_EN: 0
; COMPUTE_PGM_RSRC2:TGID_Z_EN: 0
; COMPUTE_PGM_RSRC2:TIDIG_COMP_CNT: 0
; COMPUTE_PGM_RSRC3_GFX90A:ACCUM_OFFSET: 0
; COMPUTE_PGM_RSRC3_GFX90A:TG_SPLIT: 0
	.section	.text._ZN7rocprim17ROCPRIM_400000_NS6detail17trampoline_kernelINS0_14default_configENS1_20scan_config_selectorIfEEZZNS1_9scan_implILNS1_25lookback_scan_determinismE0ELb1ELb1ES3_N6thrust23THRUST_200600_302600_NS6detail15normal_iteratorINS9_10device_ptrIfEEEESE_f11max_functorIfEfEEDaPvRmT3_T4_T5_mT6_P12ihipStream_tbENKUlT_T0_E_clISt17integral_constantIbLb1EEST_IbLb0EEEEDaSP_SQ_EUlSP_E_NS1_11comp_targetILNS1_3genE10ELNS1_11target_archE1200ELNS1_3gpuE4ELNS1_3repE0EEENS1_30default_config_static_selectorELNS0_4arch9wavefront6targetE1EEEvT1_,"axG",@progbits,_ZN7rocprim17ROCPRIM_400000_NS6detail17trampoline_kernelINS0_14default_configENS1_20scan_config_selectorIfEEZZNS1_9scan_implILNS1_25lookback_scan_determinismE0ELb1ELb1ES3_N6thrust23THRUST_200600_302600_NS6detail15normal_iteratorINS9_10device_ptrIfEEEESE_f11max_functorIfEfEEDaPvRmT3_T4_T5_mT6_P12ihipStream_tbENKUlT_T0_E_clISt17integral_constantIbLb1EEST_IbLb0EEEEDaSP_SQ_EUlSP_E_NS1_11comp_targetILNS1_3genE10ELNS1_11target_archE1200ELNS1_3gpuE4ELNS1_3repE0EEENS1_30default_config_static_selectorELNS0_4arch9wavefront6targetE1EEEvT1_,comdat
	.protected	_ZN7rocprim17ROCPRIM_400000_NS6detail17trampoline_kernelINS0_14default_configENS1_20scan_config_selectorIfEEZZNS1_9scan_implILNS1_25lookback_scan_determinismE0ELb1ELb1ES3_N6thrust23THRUST_200600_302600_NS6detail15normal_iteratorINS9_10device_ptrIfEEEESE_f11max_functorIfEfEEDaPvRmT3_T4_T5_mT6_P12ihipStream_tbENKUlT_T0_E_clISt17integral_constantIbLb1EEST_IbLb0EEEEDaSP_SQ_EUlSP_E_NS1_11comp_targetILNS1_3genE10ELNS1_11target_archE1200ELNS1_3gpuE4ELNS1_3repE0EEENS1_30default_config_static_selectorELNS0_4arch9wavefront6targetE1EEEvT1_ ; -- Begin function _ZN7rocprim17ROCPRIM_400000_NS6detail17trampoline_kernelINS0_14default_configENS1_20scan_config_selectorIfEEZZNS1_9scan_implILNS1_25lookback_scan_determinismE0ELb1ELb1ES3_N6thrust23THRUST_200600_302600_NS6detail15normal_iteratorINS9_10device_ptrIfEEEESE_f11max_functorIfEfEEDaPvRmT3_T4_T5_mT6_P12ihipStream_tbENKUlT_T0_E_clISt17integral_constantIbLb1EEST_IbLb0EEEEDaSP_SQ_EUlSP_E_NS1_11comp_targetILNS1_3genE10ELNS1_11target_archE1200ELNS1_3gpuE4ELNS1_3repE0EEENS1_30default_config_static_selectorELNS0_4arch9wavefront6targetE1EEEvT1_
	.globl	_ZN7rocprim17ROCPRIM_400000_NS6detail17trampoline_kernelINS0_14default_configENS1_20scan_config_selectorIfEEZZNS1_9scan_implILNS1_25lookback_scan_determinismE0ELb1ELb1ES3_N6thrust23THRUST_200600_302600_NS6detail15normal_iteratorINS9_10device_ptrIfEEEESE_f11max_functorIfEfEEDaPvRmT3_T4_T5_mT6_P12ihipStream_tbENKUlT_T0_E_clISt17integral_constantIbLb1EEST_IbLb0EEEEDaSP_SQ_EUlSP_E_NS1_11comp_targetILNS1_3genE10ELNS1_11target_archE1200ELNS1_3gpuE4ELNS1_3repE0EEENS1_30default_config_static_selectorELNS0_4arch9wavefront6targetE1EEEvT1_
	.p2align	8
	.type	_ZN7rocprim17ROCPRIM_400000_NS6detail17trampoline_kernelINS0_14default_configENS1_20scan_config_selectorIfEEZZNS1_9scan_implILNS1_25lookback_scan_determinismE0ELb1ELb1ES3_N6thrust23THRUST_200600_302600_NS6detail15normal_iteratorINS9_10device_ptrIfEEEESE_f11max_functorIfEfEEDaPvRmT3_T4_T5_mT6_P12ihipStream_tbENKUlT_T0_E_clISt17integral_constantIbLb1EEST_IbLb0EEEEDaSP_SQ_EUlSP_E_NS1_11comp_targetILNS1_3genE10ELNS1_11target_archE1200ELNS1_3gpuE4ELNS1_3repE0EEENS1_30default_config_static_selectorELNS0_4arch9wavefront6targetE1EEEvT1_,@function
_ZN7rocprim17ROCPRIM_400000_NS6detail17trampoline_kernelINS0_14default_configENS1_20scan_config_selectorIfEEZZNS1_9scan_implILNS1_25lookback_scan_determinismE0ELb1ELb1ES3_N6thrust23THRUST_200600_302600_NS6detail15normal_iteratorINS9_10device_ptrIfEEEESE_f11max_functorIfEfEEDaPvRmT3_T4_T5_mT6_P12ihipStream_tbENKUlT_T0_E_clISt17integral_constantIbLb1EEST_IbLb0EEEEDaSP_SQ_EUlSP_E_NS1_11comp_targetILNS1_3genE10ELNS1_11target_archE1200ELNS1_3gpuE4ELNS1_3repE0EEENS1_30default_config_static_selectorELNS0_4arch9wavefront6targetE1EEEvT1_: ; @_ZN7rocprim17ROCPRIM_400000_NS6detail17trampoline_kernelINS0_14default_configENS1_20scan_config_selectorIfEEZZNS1_9scan_implILNS1_25lookback_scan_determinismE0ELb1ELb1ES3_N6thrust23THRUST_200600_302600_NS6detail15normal_iteratorINS9_10device_ptrIfEEEESE_f11max_functorIfEfEEDaPvRmT3_T4_T5_mT6_P12ihipStream_tbENKUlT_T0_E_clISt17integral_constantIbLb1EEST_IbLb0EEEEDaSP_SQ_EUlSP_E_NS1_11comp_targetILNS1_3genE10ELNS1_11target_archE1200ELNS1_3gpuE4ELNS1_3repE0EEENS1_30default_config_static_selectorELNS0_4arch9wavefront6targetE1EEEvT1_
; %bb.0:
	.section	.rodata,"a",@progbits
	.p2align	6, 0x0
	.amdhsa_kernel _ZN7rocprim17ROCPRIM_400000_NS6detail17trampoline_kernelINS0_14default_configENS1_20scan_config_selectorIfEEZZNS1_9scan_implILNS1_25lookback_scan_determinismE0ELb1ELb1ES3_N6thrust23THRUST_200600_302600_NS6detail15normal_iteratorINS9_10device_ptrIfEEEESE_f11max_functorIfEfEEDaPvRmT3_T4_T5_mT6_P12ihipStream_tbENKUlT_T0_E_clISt17integral_constantIbLb1EEST_IbLb0EEEEDaSP_SQ_EUlSP_E_NS1_11comp_targetILNS1_3genE10ELNS1_11target_archE1200ELNS1_3gpuE4ELNS1_3repE0EEENS1_30default_config_static_selectorELNS0_4arch9wavefront6targetE1EEEvT1_
		.amdhsa_group_segment_fixed_size 0
		.amdhsa_private_segment_fixed_size 0
		.amdhsa_kernarg_size 96
		.amdhsa_user_sgpr_count 6
		.amdhsa_user_sgpr_private_segment_buffer 1
		.amdhsa_user_sgpr_dispatch_ptr 0
		.amdhsa_user_sgpr_queue_ptr 0
		.amdhsa_user_sgpr_kernarg_segment_ptr 1
		.amdhsa_user_sgpr_dispatch_id 0
		.amdhsa_user_sgpr_flat_scratch_init 0
		.amdhsa_user_sgpr_kernarg_preload_length 0
		.amdhsa_user_sgpr_kernarg_preload_offset 0
		.amdhsa_user_sgpr_private_segment_size 0
		.amdhsa_uses_dynamic_stack 0
		.amdhsa_system_sgpr_private_segment_wavefront_offset 0
		.amdhsa_system_sgpr_workgroup_id_x 1
		.amdhsa_system_sgpr_workgroup_id_y 0
		.amdhsa_system_sgpr_workgroup_id_z 0
		.amdhsa_system_sgpr_workgroup_info 0
		.amdhsa_system_vgpr_workitem_id 0
		.amdhsa_next_free_vgpr 1
		.amdhsa_next_free_sgpr 0
		.amdhsa_accum_offset 4
		.amdhsa_reserve_vcc 0
		.amdhsa_reserve_flat_scratch 0
		.amdhsa_float_round_mode_32 0
		.amdhsa_float_round_mode_16_64 0
		.amdhsa_float_denorm_mode_32 3
		.amdhsa_float_denorm_mode_16_64 3
		.amdhsa_dx10_clamp 1
		.amdhsa_ieee_mode 1
		.amdhsa_fp16_overflow 0
		.amdhsa_tg_split 0
		.amdhsa_exception_fp_ieee_invalid_op 0
		.amdhsa_exception_fp_denorm_src 0
		.amdhsa_exception_fp_ieee_div_zero 0
		.amdhsa_exception_fp_ieee_overflow 0
		.amdhsa_exception_fp_ieee_underflow 0
		.amdhsa_exception_fp_ieee_inexact 0
		.amdhsa_exception_int_div_zero 0
	.end_amdhsa_kernel
	.section	.text._ZN7rocprim17ROCPRIM_400000_NS6detail17trampoline_kernelINS0_14default_configENS1_20scan_config_selectorIfEEZZNS1_9scan_implILNS1_25lookback_scan_determinismE0ELb1ELb1ES3_N6thrust23THRUST_200600_302600_NS6detail15normal_iteratorINS9_10device_ptrIfEEEESE_f11max_functorIfEfEEDaPvRmT3_T4_T5_mT6_P12ihipStream_tbENKUlT_T0_E_clISt17integral_constantIbLb1EEST_IbLb0EEEEDaSP_SQ_EUlSP_E_NS1_11comp_targetILNS1_3genE10ELNS1_11target_archE1200ELNS1_3gpuE4ELNS1_3repE0EEENS1_30default_config_static_selectorELNS0_4arch9wavefront6targetE1EEEvT1_,"axG",@progbits,_ZN7rocprim17ROCPRIM_400000_NS6detail17trampoline_kernelINS0_14default_configENS1_20scan_config_selectorIfEEZZNS1_9scan_implILNS1_25lookback_scan_determinismE0ELb1ELb1ES3_N6thrust23THRUST_200600_302600_NS6detail15normal_iteratorINS9_10device_ptrIfEEEESE_f11max_functorIfEfEEDaPvRmT3_T4_T5_mT6_P12ihipStream_tbENKUlT_T0_E_clISt17integral_constantIbLb1EEST_IbLb0EEEEDaSP_SQ_EUlSP_E_NS1_11comp_targetILNS1_3genE10ELNS1_11target_archE1200ELNS1_3gpuE4ELNS1_3repE0EEENS1_30default_config_static_selectorELNS0_4arch9wavefront6targetE1EEEvT1_,comdat
.Lfunc_end2057:
	.size	_ZN7rocprim17ROCPRIM_400000_NS6detail17trampoline_kernelINS0_14default_configENS1_20scan_config_selectorIfEEZZNS1_9scan_implILNS1_25lookback_scan_determinismE0ELb1ELb1ES3_N6thrust23THRUST_200600_302600_NS6detail15normal_iteratorINS9_10device_ptrIfEEEESE_f11max_functorIfEfEEDaPvRmT3_T4_T5_mT6_P12ihipStream_tbENKUlT_T0_E_clISt17integral_constantIbLb1EEST_IbLb0EEEEDaSP_SQ_EUlSP_E_NS1_11comp_targetILNS1_3genE10ELNS1_11target_archE1200ELNS1_3gpuE4ELNS1_3repE0EEENS1_30default_config_static_selectorELNS0_4arch9wavefront6targetE1EEEvT1_, .Lfunc_end2057-_ZN7rocprim17ROCPRIM_400000_NS6detail17trampoline_kernelINS0_14default_configENS1_20scan_config_selectorIfEEZZNS1_9scan_implILNS1_25lookback_scan_determinismE0ELb1ELb1ES3_N6thrust23THRUST_200600_302600_NS6detail15normal_iteratorINS9_10device_ptrIfEEEESE_f11max_functorIfEfEEDaPvRmT3_T4_T5_mT6_P12ihipStream_tbENKUlT_T0_E_clISt17integral_constantIbLb1EEST_IbLb0EEEEDaSP_SQ_EUlSP_E_NS1_11comp_targetILNS1_3genE10ELNS1_11target_archE1200ELNS1_3gpuE4ELNS1_3repE0EEENS1_30default_config_static_selectorELNS0_4arch9wavefront6targetE1EEEvT1_
                                        ; -- End function
	.section	.AMDGPU.csdata,"",@progbits
; Kernel info:
; codeLenInByte = 0
; NumSgprs: 4
; NumVgprs: 0
; NumAgprs: 0
; TotalNumVgprs: 0
; ScratchSize: 0
; MemoryBound: 0
; FloatMode: 240
; IeeeMode: 1
; LDSByteSize: 0 bytes/workgroup (compile time only)
; SGPRBlocks: 0
; VGPRBlocks: 0
; NumSGPRsForWavesPerEU: 4
; NumVGPRsForWavesPerEU: 1
; AccumOffset: 4
; Occupancy: 8
; WaveLimiterHint : 0
; COMPUTE_PGM_RSRC2:SCRATCH_EN: 0
; COMPUTE_PGM_RSRC2:USER_SGPR: 6
; COMPUTE_PGM_RSRC2:TRAP_HANDLER: 0
; COMPUTE_PGM_RSRC2:TGID_X_EN: 1
; COMPUTE_PGM_RSRC2:TGID_Y_EN: 0
; COMPUTE_PGM_RSRC2:TGID_Z_EN: 0
; COMPUTE_PGM_RSRC2:TIDIG_COMP_CNT: 0
; COMPUTE_PGM_RSRC3_GFX90A:ACCUM_OFFSET: 0
; COMPUTE_PGM_RSRC3_GFX90A:TG_SPLIT: 0
	.section	.text._ZN7rocprim17ROCPRIM_400000_NS6detail17trampoline_kernelINS0_14default_configENS1_20scan_config_selectorIfEEZZNS1_9scan_implILNS1_25lookback_scan_determinismE0ELb1ELb1ES3_N6thrust23THRUST_200600_302600_NS6detail15normal_iteratorINS9_10device_ptrIfEEEESE_f11max_functorIfEfEEDaPvRmT3_T4_T5_mT6_P12ihipStream_tbENKUlT_T0_E_clISt17integral_constantIbLb1EEST_IbLb0EEEEDaSP_SQ_EUlSP_E_NS1_11comp_targetILNS1_3genE9ELNS1_11target_archE1100ELNS1_3gpuE3ELNS1_3repE0EEENS1_30default_config_static_selectorELNS0_4arch9wavefront6targetE1EEEvT1_,"axG",@progbits,_ZN7rocprim17ROCPRIM_400000_NS6detail17trampoline_kernelINS0_14default_configENS1_20scan_config_selectorIfEEZZNS1_9scan_implILNS1_25lookback_scan_determinismE0ELb1ELb1ES3_N6thrust23THRUST_200600_302600_NS6detail15normal_iteratorINS9_10device_ptrIfEEEESE_f11max_functorIfEfEEDaPvRmT3_T4_T5_mT6_P12ihipStream_tbENKUlT_T0_E_clISt17integral_constantIbLb1EEST_IbLb0EEEEDaSP_SQ_EUlSP_E_NS1_11comp_targetILNS1_3genE9ELNS1_11target_archE1100ELNS1_3gpuE3ELNS1_3repE0EEENS1_30default_config_static_selectorELNS0_4arch9wavefront6targetE1EEEvT1_,comdat
	.protected	_ZN7rocprim17ROCPRIM_400000_NS6detail17trampoline_kernelINS0_14default_configENS1_20scan_config_selectorIfEEZZNS1_9scan_implILNS1_25lookback_scan_determinismE0ELb1ELb1ES3_N6thrust23THRUST_200600_302600_NS6detail15normal_iteratorINS9_10device_ptrIfEEEESE_f11max_functorIfEfEEDaPvRmT3_T4_T5_mT6_P12ihipStream_tbENKUlT_T0_E_clISt17integral_constantIbLb1EEST_IbLb0EEEEDaSP_SQ_EUlSP_E_NS1_11comp_targetILNS1_3genE9ELNS1_11target_archE1100ELNS1_3gpuE3ELNS1_3repE0EEENS1_30default_config_static_selectorELNS0_4arch9wavefront6targetE1EEEvT1_ ; -- Begin function _ZN7rocprim17ROCPRIM_400000_NS6detail17trampoline_kernelINS0_14default_configENS1_20scan_config_selectorIfEEZZNS1_9scan_implILNS1_25lookback_scan_determinismE0ELb1ELb1ES3_N6thrust23THRUST_200600_302600_NS6detail15normal_iteratorINS9_10device_ptrIfEEEESE_f11max_functorIfEfEEDaPvRmT3_T4_T5_mT6_P12ihipStream_tbENKUlT_T0_E_clISt17integral_constantIbLb1EEST_IbLb0EEEEDaSP_SQ_EUlSP_E_NS1_11comp_targetILNS1_3genE9ELNS1_11target_archE1100ELNS1_3gpuE3ELNS1_3repE0EEENS1_30default_config_static_selectorELNS0_4arch9wavefront6targetE1EEEvT1_
	.globl	_ZN7rocprim17ROCPRIM_400000_NS6detail17trampoline_kernelINS0_14default_configENS1_20scan_config_selectorIfEEZZNS1_9scan_implILNS1_25lookback_scan_determinismE0ELb1ELb1ES3_N6thrust23THRUST_200600_302600_NS6detail15normal_iteratorINS9_10device_ptrIfEEEESE_f11max_functorIfEfEEDaPvRmT3_T4_T5_mT6_P12ihipStream_tbENKUlT_T0_E_clISt17integral_constantIbLb1EEST_IbLb0EEEEDaSP_SQ_EUlSP_E_NS1_11comp_targetILNS1_3genE9ELNS1_11target_archE1100ELNS1_3gpuE3ELNS1_3repE0EEENS1_30default_config_static_selectorELNS0_4arch9wavefront6targetE1EEEvT1_
	.p2align	8
	.type	_ZN7rocprim17ROCPRIM_400000_NS6detail17trampoline_kernelINS0_14default_configENS1_20scan_config_selectorIfEEZZNS1_9scan_implILNS1_25lookback_scan_determinismE0ELb1ELb1ES3_N6thrust23THRUST_200600_302600_NS6detail15normal_iteratorINS9_10device_ptrIfEEEESE_f11max_functorIfEfEEDaPvRmT3_T4_T5_mT6_P12ihipStream_tbENKUlT_T0_E_clISt17integral_constantIbLb1EEST_IbLb0EEEEDaSP_SQ_EUlSP_E_NS1_11comp_targetILNS1_3genE9ELNS1_11target_archE1100ELNS1_3gpuE3ELNS1_3repE0EEENS1_30default_config_static_selectorELNS0_4arch9wavefront6targetE1EEEvT1_,@function
_ZN7rocprim17ROCPRIM_400000_NS6detail17trampoline_kernelINS0_14default_configENS1_20scan_config_selectorIfEEZZNS1_9scan_implILNS1_25lookback_scan_determinismE0ELb1ELb1ES3_N6thrust23THRUST_200600_302600_NS6detail15normal_iteratorINS9_10device_ptrIfEEEESE_f11max_functorIfEfEEDaPvRmT3_T4_T5_mT6_P12ihipStream_tbENKUlT_T0_E_clISt17integral_constantIbLb1EEST_IbLb0EEEEDaSP_SQ_EUlSP_E_NS1_11comp_targetILNS1_3genE9ELNS1_11target_archE1100ELNS1_3gpuE3ELNS1_3repE0EEENS1_30default_config_static_selectorELNS0_4arch9wavefront6targetE1EEEvT1_: ; @_ZN7rocprim17ROCPRIM_400000_NS6detail17trampoline_kernelINS0_14default_configENS1_20scan_config_selectorIfEEZZNS1_9scan_implILNS1_25lookback_scan_determinismE0ELb1ELb1ES3_N6thrust23THRUST_200600_302600_NS6detail15normal_iteratorINS9_10device_ptrIfEEEESE_f11max_functorIfEfEEDaPvRmT3_T4_T5_mT6_P12ihipStream_tbENKUlT_T0_E_clISt17integral_constantIbLb1EEST_IbLb0EEEEDaSP_SQ_EUlSP_E_NS1_11comp_targetILNS1_3genE9ELNS1_11target_archE1100ELNS1_3gpuE3ELNS1_3repE0EEENS1_30default_config_static_selectorELNS0_4arch9wavefront6targetE1EEEvT1_
; %bb.0:
	.section	.rodata,"a",@progbits
	.p2align	6, 0x0
	.amdhsa_kernel _ZN7rocprim17ROCPRIM_400000_NS6detail17trampoline_kernelINS0_14default_configENS1_20scan_config_selectorIfEEZZNS1_9scan_implILNS1_25lookback_scan_determinismE0ELb1ELb1ES3_N6thrust23THRUST_200600_302600_NS6detail15normal_iteratorINS9_10device_ptrIfEEEESE_f11max_functorIfEfEEDaPvRmT3_T4_T5_mT6_P12ihipStream_tbENKUlT_T0_E_clISt17integral_constantIbLb1EEST_IbLb0EEEEDaSP_SQ_EUlSP_E_NS1_11comp_targetILNS1_3genE9ELNS1_11target_archE1100ELNS1_3gpuE3ELNS1_3repE0EEENS1_30default_config_static_selectorELNS0_4arch9wavefront6targetE1EEEvT1_
		.amdhsa_group_segment_fixed_size 0
		.amdhsa_private_segment_fixed_size 0
		.amdhsa_kernarg_size 96
		.amdhsa_user_sgpr_count 6
		.amdhsa_user_sgpr_private_segment_buffer 1
		.amdhsa_user_sgpr_dispatch_ptr 0
		.amdhsa_user_sgpr_queue_ptr 0
		.amdhsa_user_sgpr_kernarg_segment_ptr 1
		.amdhsa_user_sgpr_dispatch_id 0
		.amdhsa_user_sgpr_flat_scratch_init 0
		.amdhsa_user_sgpr_kernarg_preload_length 0
		.amdhsa_user_sgpr_kernarg_preload_offset 0
		.amdhsa_user_sgpr_private_segment_size 0
		.amdhsa_uses_dynamic_stack 0
		.amdhsa_system_sgpr_private_segment_wavefront_offset 0
		.amdhsa_system_sgpr_workgroup_id_x 1
		.amdhsa_system_sgpr_workgroup_id_y 0
		.amdhsa_system_sgpr_workgroup_id_z 0
		.amdhsa_system_sgpr_workgroup_info 0
		.amdhsa_system_vgpr_workitem_id 0
		.amdhsa_next_free_vgpr 1
		.amdhsa_next_free_sgpr 0
		.amdhsa_accum_offset 4
		.amdhsa_reserve_vcc 0
		.amdhsa_reserve_flat_scratch 0
		.amdhsa_float_round_mode_32 0
		.amdhsa_float_round_mode_16_64 0
		.amdhsa_float_denorm_mode_32 3
		.amdhsa_float_denorm_mode_16_64 3
		.amdhsa_dx10_clamp 1
		.amdhsa_ieee_mode 1
		.amdhsa_fp16_overflow 0
		.amdhsa_tg_split 0
		.amdhsa_exception_fp_ieee_invalid_op 0
		.amdhsa_exception_fp_denorm_src 0
		.amdhsa_exception_fp_ieee_div_zero 0
		.amdhsa_exception_fp_ieee_overflow 0
		.amdhsa_exception_fp_ieee_underflow 0
		.amdhsa_exception_fp_ieee_inexact 0
		.amdhsa_exception_int_div_zero 0
	.end_amdhsa_kernel
	.section	.text._ZN7rocprim17ROCPRIM_400000_NS6detail17trampoline_kernelINS0_14default_configENS1_20scan_config_selectorIfEEZZNS1_9scan_implILNS1_25lookback_scan_determinismE0ELb1ELb1ES3_N6thrust23THRUST_200600_302600_NS6detail15normal_iteratorINS9_10device_ptrIfEEEESE_f11max_functorIfEfEEDaPvRmT3_T4_T5_mT6_P12ihipStream_tbENKUlT_T0_E_clISt17integral_constantIbLb1EEST_IbLb0EEEEDaSP_SQ_EUlSP_E_NS1_11comp_targetILNS1_3genE9ELNS1_11target_archE1100ELNS1_3gpuE3ELNS1_3repE0EEENS1_30default_config_static_selectorELNS0_4arch9wavefront6targetE1EEEvT1_,"axG",@progbits,_ZN7rocprim17ROCPRIM_400000_NS6detail17trampoline_kernelINS0_14default_configENS1_20scan_config_selectorIfEEZZNS1_9scan_implILNS1_25lookback_scan_determinismE0ELb1ELb1ES3_N6thrust23THRUST_200600_302600_NS6detail15normal_iteratorINS9_10device_ptrIfEEEESE_f11max_functorIfEfEEDaPvRmT3_T4_T5_mT6_P12ihipStream_tbENKUlT_T0_E_clISt17integral_constantIbLb1EEST_IbLb0EEEEDaSP_SQ_EUlSP_E_NS1_11comp_targetILNS1_3genE9ELNS1_11target_archE1100ELNS1_3gpuE3ELNS1_3repE0EEENS1_30default_config_static_selectorELNS0_4arch9wavefront6targetE1EEEvT1_,comdat
.Lfunc_end2058:
	.size	_ZN7rocprim17ROCPRIM_400000_NS6detail17trampoline_kernelINS0_14default_configENS1_20scan_config_selectorIfEEZZNS1_9scan_implILNS1_25lookback_scan_determinismE0ELb1ELb1ES3_N6thrust23THRUST_200600_302600_NS6detail15normal_iteratorINS9_10device_ptrIfEEEESE_f11max_functorIfEfEEDaPvRmT3_T4_T5_mT6_P12ihipStream_tbENKUlT_T0_E_clISt17integral_constantIbLb1EEST_IbLb0EEEEDaSP_SQ_EUlSP_E_NS1_11comp_targetILNS1_3genE9ELNS1_11target_archE1100ELNS1_3gpuE3ELNS1_3repE0EEENS1_30default_config_static_selectorELNS0_4arch9wavefront6targetE1EEEvT1_, .Lfunc_end2058-_ZN7rocprim17ROCPRIM_400000_NS6detail17trampoline_kernelINS0_14default_configENS1_20scan_config_selectorIfEEZZNS1_9scan_implILNS1_25lookback_scan_determinismE0ELb1ELb1ES3_N6thrust23THRUST_200600_302600_NS6detail15normal_iteratorINS9_10device_ptrIfEEEESE_f11max_functorIfEfEEDaPvRmT3_T4_T5_mT6_P12ihipStream_tbENKUlT_T0_E_clISt17integral_constantIbLb1EEST_IbLb0EEEEDaSP_SQ_EUlSP_E_NS1_11comp_targetILNS1_3genE9ELNS1_11target_archE1100ELNS1_3gpuE3ELNS1_3repE0EEENS1_30default_config_static_selectorELNS0_4arch9wavefront6targetE1EEEvT1_
                                        ; -- End function
	.section	.AMDGPU.csdata,"",@progbits
; Kernel info:
; codeLenInByte = 0
; NumSgprs: 4
; NumVgprs: 0
; NumAgprs: 0
; TotalNumVgprs: 0
; ScratchSize: 0
; MemoryBound: 0
; FloatMode: 240
; IeeeMode: 1
; LDSByteSize: 0 bytes/workgroup (compile time only)
; SGPRBlocks: 0
; VGPRBlocks: 0
; NumSGPRsForWavesPerEU: 4
; NumVGPRsForWavesPerEU: 1
; AccumOffset: 4
; Occupancy: 8
; WaveLimiterHint : 0
; COMPUTE_PGM_RSRC2:SCRATCH_EN: 0
; COMPUTE_PGM_RSRC2:USER_SGPR: 6
; COMPUTE_PGM_RSRC2:TRAP_HANDLER: 0
; COMPUTE_PGM_RSRC2:TGID_X_EN: 1
; COMPUTE_PGM_RSRC2:TGID_Y_EN: 0
; COMPUTE_PGM_RSRC2:TGID_Z_EN: 0
; COMPUTE_PGM_RSRC2:TIDIG_COMP_CNT: 0
; COMPUTE_PGM_RSRC3_GFX90A:ACCUM_OFFSET: 0
; COMPUTE_PGM_RSRC3_GFX90A:TG_SPLIT: 0
	.section	.text._ZN7rocprim17ROCPRIM_400000_NS6detail17trampoline_kernelINS0_14default_configENS1_20scan_config_selectorIfEEZZNS1_9scan_implILNS1_25lookback_scan_determinismE0ELb1ELb1ES3_N6thrust23THRUST_200600_302600_NS6detail15normal_iteratorINS9_10device_ptrIfEEEESE_f11max_functorIfEfEEDaPvRmT3_T4_T5_mT6_P12ihipStream_tbENKUlT_T0_E_clISt17integral_constantIbLb1EEST_IbLb0EEEEDaSP_SQ_EUlSP_E_NS1_11comp_targetILNS1_3genE8ELNS1_11target_archE1030ELNS1_3gpuE2ELNS1_3repE0EEENS1_30default_config_static_selectorELNS0_4arch9wavefront6targetE1EEEvT1_,"axG",@progbits,_ZN7rocprim17ROCPRIM_400000_NS6detail17trampoline_kernelINS0_14default_configENS1_20scan_config_selectorIfEEZZNS1_9scan_implILNS1_25lookback_scan_determinismE0ELb1ELb1ES3_N6thrust23THRUST_200600_302600_NS6detail15normal_iteratorINS9_10device_ptrIfEEEESE_f11max_functorIfEfEEDaPvRmT3_T4_T5_mT6_P12ihipStream_tbENKUlT_T0_E_clISt17integral_constantIbLb1EEST_IbLb0EEEEDaSP_SQ_EUlSP_E_NS1_11comp_targetILNS1_3genE8ELNS1_11target_archE1030ELNS1_3gpuE2ELNS1_3repE0EEENS1_30default_config_static_selectorELNS0_4arch9wavefront6targetE1EEEvT1_,comdat
	.protected	_ZN7rocprim17ROCPRIM_400000_NS6detail17trampoline_kernelINS0_14default_configENS1_20scan_config_selectorIfEEZZNS1_9scan_implILNS1_25lookback_scan_determinismE0ELb1ELb1ES3_N6thrust23THRUST_200600_302600_NS6detail15normal_iteratorINS9_10device_ptrIfEEEESE_f11max_functorIfEfEEDaPvRmT3_T4_T5_mT6_P12ihipStream_tbENKUlT_T0_E_clISt17integral_constantIbLb1EEST_IbLb0EEEEDaSP_SQ_EUlSP_E_NS1_11comp_targetILNS1_3genE8ELNS1_11target_archE1030ELNS1_3gpuE2ELNS1_3repE0EEENS1_30default_config_static_selectorELNS0_4arch9wavefront6targetE1EEEvT1_ ; -- Begin function _ZN7rocprim17ROCPRIM_400000_NS6detail17trampoline_kernelINS0_14default_configENS1_20scan_config_selectorIfEEZZNS1_9scan_implILNS1_25lookback_scan_determinismE0ELb1ELb1ES3_N6thrust23THRUST_200600_302600_NS6detail15normal_iteratorINS9_10device_ptrIfEEEESE_f11max_functorIfEfEEDaPvRmT3_T4_T5_mT6_P12ihipStream_tbENKUlT_T0_E_clISt17integral_constantIbLb1EEST_IbLb0EEEEDaSP_SQ_EUlSP_E_NS1_11comp_targetILNS1_3genE8ELNS1_11target_archE1030ELNS1_3gpuE2ELNS1_3repE0EEENS1_30default_config_static_selectorELNS0_4arch9wavefront6targetE1EEEvT1_
	.globl	_ZN7rocprim17ROCPRIM_400000_NS6detail17trampoline_kernelINS0_14default_configENS1_20scan_config_selectorIfEEZZNS1_9scan_implILNS1_25lookback_scan_determinismE0ELb1ELb1ES3_N6thrust23THRUST_200600_302600_NS6detail15normal_iteratorINS9_10device_ptrIfEEEESE_f11max_functorIfEfEEDaPvRmT3_T4_T5_mT6_P12ihipStream_tbENKUlT_T0_E_clISt17integral_constantIbLb1EEST_IbLb0EEEEDaSP_SQ_EUlSP_E_NS1_11comp_targetILNS1_3genE8ELNS1_11target_archE1030ELNS1_3gpuE2ELNS1_3repE0EEENS1_30default_config_static_selectorELNS0_4arch9wavefront6targetE1EEEvT1_
	.p2align	8
	.type	_ZN7rocprim17ROCPRIM_400000_NS6detail17trampoline_kernelINS0_14default_configENS1_20scan_config_selectorIfEEZZNS1_9scan_implILNS1_25lookback_scan_determinismE0ELb1ELb1ES3_N6thrust23THRUST_200600_302600_NS6detail15normal_iteratorINS9_10device_ptrIfEEEESE_f11max_functorIfEfEEDaPvRmT3_T4_T5_mT6_P12ihipStream_tbENKUlT_T0_E_clISt17integral_constantIbLb1EEST_IbLb0EEEEDaSP_SQ_EUlSP_E_NS1_11comp_targetILNS1_3genE8ELNS1_11target_archE1030ELNS1_3gpuE2ELNS1_3repE0EEENS1_30default_config_static_selectorELNS0_4arch9wavefront6targetE1EEEvT1_,@function
_ZN7rocprim17ROCPRIM_400000_NS6detail17trampoline_kernelINS0_14default_configENS1_20scan_config_selectorIfEEZZNS1_9scan_implILNS1_25lookback_scan_determinismE0ELb1ELb1ES3_N6thrust23THRUST_200600_302600_NS6detail15normal_iteratorINS9_10device_ptrIfEEEESE_f11max_functorIfEfEEDaPvRmT3_T4_T5_mT6_P12ihipStream_tbENKUlT_T0_E_clISt17integral_constantIbLb1EEST_IbLb0EEEEDaSP_SQ_EUlSP_E_NS1_11comp_targetILNS1_3genE8ELNS1_11target_archE1030ELNS1_3gpuE2ELNS1_3repE0EEENS1_30default_config_static_selectorELNS0_4arch9wavefront6targetE1EEEvT1_: ; @_ZN7rocprim17ROCPRIM_400000_NS6detail17trampoline_kernelINS0_14default_configENS1_20scan_config_selectorIfEEZZNS1_9scan_implILNS1_25lookback_scan_determinismE0ELb1ELb1ES3_N6thrust23THRUST_200600_302600_NS6detail15normal_iteratorINS9_10device_ptrIfEEEESE_f11max_functorIfEfEEDaPvRmT3_T4_T5_mT6_P12ihipStream_tbENKUlT_T0_E_clISt17integral_constantIbLb1EEST_IbLb0EEEEDaSP_SQ_EUlSP_E_NS1_11comp_targetILNS1_3genE8ELNS1_11target_archE1030ELNS1_3gpuE2ELNS1_3repE0EEENS1_30default_config_static_selectorELNS0_4arch9wavefront6targetE1EEEvT1_
; %bb.0:
	.section	.rodata,"a",@progbits
	.p2align	6, 0x0
	.amdhsa_kernel _ZN7rocprim17ROCPRIM_400000_NS6detail17trampoline_kernelINS0_14default_configENS1_20scan_config_selectorIfEEZZNS1_9scan_implILNS1_25lookback_scan_determinismE0ELb1ELb1ES3_N6thrust23THRUST_200600_302600_NS6detail15normal_iteratorINS9_10device_ptrIfEEEESE_f11max_functorIfEfEEDaPvRmT3_T4_T5_mT6_P12ihipStream_tbENKUlT_T0_E_clISt17integral_constantIbLb1EEST_IbLb0EEEEDaSP_SQ_EUlSP_E_NS1_11comp_targetILNS1_3genE8ELNS1_11target_archE1030ELNS1_3gpuE2ELNS1_3repE0EEENS1_30default_config_static_selectorELNS0_4arch9wavefront6targetE1EEEvT1_
		.amdhsa_group_segment_fixed_size 0
		.amdhsa_private_segment_fixed_size 0
		.amdhsa_kernarg_size 96
		.amdhsa_user_sgpr_count 6
		.amdhsa_user_sgpr_private_segment_buffer 1
		.amdhsa_user_sgpr_dispatch_ptr 0
		.amdhsa_user_sgpr_queue_ptr 0
		.amdhsa_user_sgpr_kernarg_segment_ptr 1
		.amdhsa_user_sgpr_dispatch_id 0
		.amdhsa_user_sgpr_flat_scratch_init 0
		.amdhsa_user_sgpr_kernarg_preload_length 0
		.amdhsa_user_sgpr_kernarg_preload_offset 0
		.amdhsa_user_sgpr_private_segment_size 0
		.amdhsa_uses_dynamic_stack 0
		.amdhsa_system_sgpr_private_segment_wavefront_offset 0
		.amdhsa_system_sgpr_workgroup_id_x 1
		.amdhsa_system_sgpr_workgroup_id_y 0
		.amdhsa_system_sgpr_workgroup_id_z 0
		.amdhsa_system_sgpr_workgroup_info 0
		.amdhsa_system_vgpr_workitem_id 0
		.amdhsa_next_free_vgpr 1
		.amdhsa_next_free_sgpr 0
		.amdhsa_accum_offset 4
		.amdhsa_reserve_vcc 0
		.amdhsa_reserve_flat_scratch 0
		.amdhsa_float_round_mode_32 0
		.amdhsa_float_round_mode_16_64 0
		.amdhsa_float_denorm_mode_32 3
		.amdhsa_float_denorm_mode_16_64 3
		.amdhsa_dx10_clamp 1
		.amdhsa_ieee_mode 1
		.amdhsa_fp16_overflow 0
		.amdhsa_tg_split 0
		.amdhsa_exception_fp_ieee_invalid_op 0
		.amdhsa_exception_fp_denorm_src 0
		.amdhsa_exception_fp_ieee_div_zero 0
		.amdhsa_exception_fp_ieee_overflow 0
		.amdhsa_exception_fp_ieee_underflow 0
		.amdhsa_exception_fp_ieee_inexact 0
		.amdhsa_exception_int_div_zero 0
	.end_amdhsa_kernel
	.section	.text._ZN7rocprim17ROCPRIM_400000_NS6detail17trampoline_kernelINS0_14default_configENS1_20scan_config_selectorIfEEZZNS1_9scan_implILNS1_25lookback_scan_determinismE0ELb1ELb1ES3_N6thrust23THRUST_200600_302600_NS6detail15normal_iteratorINS9_10device_ptrIfEEEESE_f11max_functorIfEfEEDaPvRmT3_T4_T5_mT6_P12ihipStream_tbENKUlT_T0_E_clISt17integral_constantIbLb1EEST_IbLb0EEEEDaSP_SQ_EUlSP_E_NS1_11comp_targetILNS1_3genE8ELNS1_11target_archE1030ELNS1_3gpuE2ELNS1_3repE0EEENS1_30default_config_static_selectorELNS0_4arch9wavefront6targetE1EEEvT1_,"axG",@progbits,_ZN7rocprim17ROCPRIM_400000_NS6detail17trampoline_kernelINS0_14default_configENS1_20scan_config_selectorIfEEZZNS1_9scan_implILNS1_25lookback_scan_determinismE0ELb1ELb1ES3_N6thrust23THRUST_200600_302600_NS6detail15normal_iteratorINS9_10device_ptrIfEEEESE_f11max_functorIfEfEEDaPvRmT3_T4_T5_mT6_P12ihipStream_tbENKUlT_T0_E_clISt17integral_constantIbLb1EEST_IbLb0EEEEDaSP_SQ_EUlSP_E_NS1_11comp_targetILNS1_3genE8ELNS1_11target_archE1030ELNS1_3gpuE2ELNS1_3repE0EEENS1_30default_config_static_selectorELNS0_4arch9wavefront6targetE1EEEvT1_,comdat
.Lfunc_end2059:
	.size	_ZN7rocprim17ROCPRIM_400000_NS6detail17trampoline_kernelINS0_14default_configENS1_20scan_config_selectorIfEEZZNS1_9scan_implILNS1_25lookback_scan_determinismE0ELb1ELb1ES3_N6thrust23THRUST_200600_302600_NS6detail15normal_iteratorINS9_10device_ptrIfEEEESE_f11max_functorIfEfEEDaPvRmT3_T4_T5_mT6_P12ihipStream_tbENKUlT_T0_E_clISt17integral_constantIbLb1EEST_IbLb0EEEEDaSP_SQ_EUlSP_E_NS1_11comp_targetILNS1_3genE8ELNS1_11target_archE1030ELNS1_3gpuE2ELNS1_3repE0EEENS1_30default_config_static_selectorELNS0_4arch9wavefront6targetE1EEEvT1_, .Lfunc_end2059-_ZN7rocprim17ROCPRIM_400000_NS6detail17trampoline_kernelINS0_14default_configENS1_20scan_config_selectorIfEEZZNS1_9scan_implILNS1_25lookback_scan_determinismE0ELb1ELb1ES3_N6thrust23THRUST_200600_302600_NS6detail15normal_iteratorINS9_10device_ptrIfEEEESE_f11max_functorIfEfEEDaPvRmT3_T4_T5_mT6_P12ihipStream_tbENKUlT_T0_E_clISt17integral_constantIbLb1EEST_IbLb0EEEEDaSP_SQ_EUlSP_E_NS1_11comp_targetILNS1_3genE8ELNS1_11target_archE1030ELNS1_3gpuE2ELNS1_3repE0EEENS1_30default_config_static_selectorELNS0_4arch9wavefront6targetE1EEEvT1_
                                        ; -- End function
	.section	.AMDGPU.csdata,"",@progbits
; Kernel info:
; codeLenInByte = 0
; NumSgprs: 4
; NumVgprs: 0
; NumAgprs: 0
; TotalNumVgprs: 0
; ScratchSize: 0
; MemoryBound: 0
; FloatMode: 240
; IeeeMode: 1
; LDSByteSize: 0 bytes/workgroup (compile time only)
; SGPRBlocks: 0
; VGPRBlocks: 0
; NumSGPRsForWavesPerEU: 4
; NumVGPRsForWavesPerEU: 1
; AccumOffset: 4
; Occupancy: 8
; WaveLimiterHint : 0
; COMPUTE_PGM_RSRC2:SCRATCH_EN: 0
; COMPUTE_PGM_RSRC2:USER_SGPR: 6
; COMPUTE_PGM_RSRC2:TRAP_HANDLER: 0
; COMPUTE_PGM_RSRC2:TGID_X_EN: 1
; COMPUTE_PGM_RSRC2:TGID_Y_EN: 0
; COMPUTE_PGM_RSRC2:TGID_Z_EN: 0
; COMPUTE_PGM_RSRC2:TIDIG_COMP_CNT: 0
; COMPUTE_PGM_RSRC3_GFX90A:ACCUM_OFFSET: 0
; COMPUTE_PGM_RSRC3_GFX90A:TG_SPLIT: 0
	.section	.text._ZN7rocprim17ROCPRIM_400000_NS6detail17trampoline_kernelINS0_14default_configENS1_20scan_config_selectorIfEEZZNS1_9scan_implILNS1_25lookback_scan_determinismE0ELb1ELb1ES3_N6thrust23THRUST_200600_302600_NS6detail15normal_iteratorINS9_10device_ptrIfEEEESE_f11max_functorIfEfEEDaPvRmT3_T4_T5_mT6_P12ihipStream_tbENKUlT_T0_E_clISt17integral_constantIbLb1EEST_IbLb0EEEEDaSP_SQ_EUlSP_E0_NS1_11comp_targetILNS1_3genE0ELNS1_11target_archE4294967295ELNS1_3gpuE0ELNS1_3repE0EEENS1_30default_config_static_selectorELNS0_4arch9wavefront6targetE1EEEvT1_,"axG",@progbits,_ZN7rocprim17ROCPRIM_400000_NS6detail17trampoline_kernelINS0_14default_configENS1_20scan_config_selectorIfEEZZNS1_9scan_implILNS1_25lookback_scan_determinismE0ELb1ELb1ES3_N6thrust23THRUST_200600_302600_NS6detail15normal_iteratorINS9_10device_ptrIfEEEESE_f11max_functorIfEfEEDaPvRmT3_T4_T5_mT6_P12ihipStream_tbENKUlT_T0_E_clISt17integral_constantIbLb1EEST_IbLb0EEEEDaSP_SQ_EUlSP_E0_NS1_11comp_targetILNS1_3genE0ELNS1_11target_archE4294967295ELNS1_3gpuE0ELNS1_3repE0EEENS1_30default_config_static_selectorELNS0_4arch9wavefront6targetE1EEEvT1_,comdat
	.protected	_ZN7rocprim17ROCPRIM_400000_NS6detail17trampoline_kernelINS0_14default_configENS1_20scan_config_selectorIfEEZZNS1_9scan_implILNS1_25lookback_scan_determinismE0ELb1ELb1ES3_N6thrust23THRUST_200600_302600_NS6detail15normal_iteratorINS9_10device_ptrIfEEEESE_f11max_functorIfEfEEDaPvRmT3_T4_T5_mT6_P12ihipStream_tbENKUlT_T0_E_clISt17integral_constantIbLb1EEST_IbLb0EEEEDaSP_SQ_EUlSP_E0_NS1_11comp_targetILNS1_3genE0ELNS1_11target_archE4294967295ELNS1_3gpuE0ELNS1_3repE0EEENS1_30default_config_static_selectorELNS0_4arch9wavefront6targetE1EEEvT1_ ; -- Begin function _ZN7rocprim17ROCPRIM_400000_NS6detail17trampoline_kernelINS0_14default_configENS1_20scan_config_selectorIfEEZZNS1_9scan_implILNS1_25lookback_scan_determinismE0ELb1ELb1ES3_N6thrust23THRUST_200600_302600_NS6detail15normal_iteratorINS9_10device_ptrIfEEEESE_f11max_functorIfEfEEDaPvRmT3_T4_T5_mT6_P12ihipStream_tbENKUlT_T0_E_clISt17integral_constantIbLb1EEST_IbLb0EEEEDaSP_SQ_EUlSP_E0_NS1_11comp_targetILNS1_3genE0ELNS1_11target_archE4294967295ELNS1_3gpuE0ELNS1_3repE0EEENS1_30default_config_static_selectorELNS0_4arch9wavefront6targetE1EEEvT1_
	.globl	_ZN7rocprim17ROCPRIM_400000_NS6detail17trampoline_kernelINS0_14default_configENS1_20scan_config_selectorIfEEZZNS1_9scan_implILNS1_25lookback_scan_determinismE0ELb1ELb1ES3_N6thrust23THRUST_200600_302600_NS6detail15normal_iteratorINS9_10device_ptrIfEEEESE_f11max_functorIfEfEEDaPvRmT3_T4_T5_mT6_P12ihipStream_tbENKUlT_T0_E_clISt17integral_constantIbLb1EEST_IbLb0EEEEDaSP_SQ_EUlSP_E0_NS1_11comp_targetILNS1_3genE0ELNS1_11target_archE4294967295ELNS1_3gpuE0ELNS1_3repE0EEENS1_30default_config_static_selectorELNS0_4arch9wavefront6targetE1EEEvT1_
	.p2align	8
	.type	_ZN7rocprim17ROCPRIM_400000_NS6detail17trampoline_kernelINS0_14default_configENS1_20scan_config_selectorIfEEZZNS1_9scan_implILNS1_25lookback_scan_determinismE0ELb1ELb1ES3_N6thrust23THRUST_200600_302600_NS6detail15normal_iteratorINS9_10device_ptrIfEEEESE_f11max_functorIfEfEEDaPvRmT3_T4_T5_mT6_P12ihipStream_tbENKUlT_T0_E_clISt17integral_constantIbLb1EEST_IbLb0EEEEDaSP_SQ_EUlSP_E0_NS1_11comp_targetILNS1_3genE0ELNS1_11target_archE4294967295ELNS1_3gpuE0ELNS1_3repE0EEENS1_30default_config_static_selectorELNS0_4arch9wavefront6targetE1EEEvT1_,@function
_ZN7rocprim17ROCPRIM_400000_NS6detail17trampoline_kernelINS0_14default_configENS1_20scan_config_selectorIfEEZZNS1_9scan_implILNS1_25lookback_scan_determinismE0ELb1ELb1ES3_N6thrust23THRUST_200600_302600_NS6detail15normal_iteratorINS9_10device_ptrIfEEEESE_f11max_functorIfEfEEDaPvRmT3_T4_T5_mT6_P12ihipStream_tbENKUlT_T0_E_clISt17integral_constantIbLb1EEST_IbLb0EEEEDaSP_SQ_EUlSP_E0_NS1_11comp_targetILNS1_3genE0ELNS1_11target_archE4294967295ELNS1_3gpuE0ELNS1_3repE0EEENS1_30default_config_static_selectorELNS0_4arch9wavefront6targetE1EEEvT1_: ; @_ZN7rocprim17ROCPRIM_400000_NS6detail17trampoline_kernelINS0_14default_configENS1_20scan_config_selectorIfEEZZNS1_9scan_implILNS1_25lookback_scan_determinismE0ELb1ELb1ES3_N6thrust23THRUST_200600_302600_NS6detail15normal_iteratorINS9_10device_ptrIfEEEESE_f11max_functorIfEfEEDaPvRmT3_T4_T5_mT6_P12ihipStream_tbENKUlT_T0_E_clISt17integral_constantIbLb1EEST_IbLb0EEEEDaSP_SQ_EUlSP_E0_NS1_11comp_targetILNS1_3genE0ELNS1_11target_archE4294967295ELNS1_3gpuE0ELNS1_3repE0EEENS1_30default_config_static_selectorELNS0_4arch9wavefront6targetE1EEEvT1_
; %bb.0:
	.section	.rodata,"a",@progbits
	.p2align	6, 0x0
	.amdhsa_kernel _ZN7rocprim17ROCPRIM_400000_NS6detail17trampoline_kernelINS0_14default_configENS1_20scan_config_selectorIfEEZZNS1_9scan_implILNS1_25lookback_scan_determinismE0ELb1ELb1ES3_N6thrust23THRUST_200600_302600_NS6detail15normal_iteratorINS9_10device_ptrIfEEEESE_f11max_functorIfEfEEDaPvRmT3_T4_T5_mT6_P12ihipStream_tbENKUlT_T0_E_clISt17integral_constantIbLb1EEST_IbLb0EEEEDaSP_SQ_EUlSP_E0_NS1_11comp_targetILNS1_3genE0ELNS1_11target_archE4294967295ELNS1_3gpuE0ELNS1_3repE0EEENS1_30default_config_static_selectorELNS0_4arch9wavefront6targetE1EEEvT1_
		.amdhsa_group_segment_fixed_size 0
		.amdhsa_private_segment_fixed_size 0
		.amdhsa_kernarg_size 32
		.amdhsa_user_sgpr_count 6
		.amdhsa_user_sgpr_private_segment_buffer 1
		.amdhsa_user_sgpr_dispatch_ptr 0
		.amdhsa_user_sgpr_queue_ptr 0
		.amdhsa_user_sgpr_kernarg_segment_ptr 1
		.amdhsa_user_sgpr_dispatch_id 0
		.amdhsa_user_sgpr_flat_scratch_init 0
		.amdhsa_user_sgpr_kernarg_preload_length 0
		.amdhsa_user_sgpr_kernarg_preload_offset 0
		.amdhsa_user_sgpr_private_segment_size 0
		.amdhsa_uses_dynamic_stack 0
		.amdhsa_system_sgpr_private_segment_wavefront_offset 0
		.amdhsa_system_sgpr_workgroup_id_x 1
		.amdhsa_system_sgpr_workgroup_id_y 0
		.amdhsa_system_sgpr_workgroup_id_z 0
		.amdhsa_system_sgpr_workgroup_info 0
		.amdhsa_system_vgpr_workitem_id 0
		.amdhsa_next_free_vgpr 1
		.amdhsa_next_free_sgpr 0
		.amdhsa_accum_offset 4
		.amdhsa_reserve_vcc 0
		.amdhsa_reserve_flat_scratch 0
		.amdhsa_float_round_mode_32 0
		.amdhsa_float_round_mode_16_64 0
		.amdhsa_float_denorm_mode_32 3
		.amdhsa_float_denorm_mode_16_64 3
		.amdhsa_dx10_clamp 1
		.amdhsa_ieee_mode 1
		.amdhsa_fp16_overflow 0
		.amdhsa_tg_split 0
		.amdhsa_exception_fp_ieee_invalid_op 0
		.amdhsa_exception_fp_denorm_src 0
		.amdhsa_exception_fp_ieee_div_zero 0
		.amdhsa_exception_fp_ieee_overflow 0
		.amdhsa_exception_fp_ieee_underflow 0
		.amdhsa_exception_fp_ieee_inexact 0
		.amdhsa_exception_int_div_zero 0
	.end_amdhsa_kernel
	.section	.text._ZN7rocprim17ROCPRIM_400000_NS6detail17trampoline_kernelINS0_14default_configENS1_20scan_config_selectorIfEEZZNS1_9scan_implILNS1_25lookback_scan_determinismE0ELb1ELb1ES3_N6thrust23THRUST_200600_302600_NS6detail15normal_iteratorINS9_10device_ptrIfEEEESE_f11max_functorIfEfEEDaPvRmT3_T4_T5_mT6_P12ihipStream_tbENKUlT_T0_E_clISt17integral_constantIbLb1EEST_IbLb0EEEEDaSP_SQ_EUlSP_E0_NS1_11comp_targetILNS1_3genE0ELNS1_11target_archE4294967295ELNS1_3gpuE0ELNS1_3repE0EEENS1_30default_config_static_selectorELNS0_4arch9wavefront6targetE1EEEvT1_,"axG",@progbits,_ZN7rocprim17ROCPRIM_400000_NS6detail17trampoline_kernelINS0_14default_configENS1_20scan_config_selectorIfEEZZNS1_9scan_implILNS1_25lookback_scan_determinismE0ELb1ELb1ES3_N6thrust23THRUST_200600_302600_NS6detail15normal_iteratorINS9_10device_ptrIfEEEESE_f11max_functorIfEfEEDaPvRmT3_T4_T5_mT6_P12ihipStream_tbENKUlT_T0_E_clISt17integral_constantIbLb1EEST_IbLb0EEEEDaSP_SQ_EUlSP_E0_NS1_11comp_targetILNS1_3genE0ELNS1_11target_archE4294967295ELNS1_3gpuE0ELNS1_3repE0EEENS1_30default_config_static_selectorELNS0_4arch9wavefront6targetE1EEEvT1_,comdat
.Lfunc_end2060:
	.size	_ZN7rocprim17ROCPRIM_400000_NS6detail17trampoline_kernelINS0_14default_configENS1_20scan_config_selectorIfEEZZNS1_9scan_implILNS1_25lookback_scan_determinismE0ELb1ELb1ES3_N6thrust23THRUST_200600_302600_NS6detail15normal_iteratorINS9_10device_ptrIfEEEESE_f11max_functorIfEfEEDaPvRmT3_T4_T5_mT6_P12ihipStream_tbENKUlT_T0_E_clISt17integral_constantIbLb1EEST_IbLb0EEEEDaSP_SQ_EUlSP_E0_NS1_11comp_targetILNS1_3genE0ELNS1_11target_archE4294967295ELNS1_3gpuE0ELNS1_3repE0EEENS1_30default_config_static_selectorELNS0_4arch9wavefront6targetE1EEEvT1_, .Lfunc_end2060-_ZN7rocprim17ROCPRIM_400000_NS6detail17trampoline_kernelINS0_14default_configENS1_20scan_config_selectorIfEEZZNS1_9scan_implILNS1_25lookback_scan_determinismE0ELb1ELb1ES3_N6thrust23THRUST_200600_302600_NS6detail15normal_iteratorINS9_10device_ptrIfEEEESE_f11max_functorIfEfEEDaPvRmT3_T4_T5_mT6_P12ihipStream_tbENKUlT_T0_E_clISt17integral_constantIbLb1EEST_IbLb0EEEEDaSP_SQ_EUlSP_E0_NS1_11comp_targetILNS1_3genE0ELNS1_11target_archE4294967295ELNS1_3gpuE0ELNS1_3repE0EEENS1_30default_config_static_selectorELNS0_4arch9wavefront6targetE1EEEvT1_
                                        ; -- End function
	.section	.AMDGPU.csdata,"",@progbits
; Kernel info:
; codeLenInByte = 0
; NumSgprs: 4
; NumVgprs: 0
; NumAgprs: 0
; TotalNumVgprs: 0
; ScratchSize: 0
; MemoryBound: 0
; FloatMode: 240
; IeeeMode: 1
; LDSByteSize: 0 bytes/workgroup (compile time only)
; SGPRBlocks: 0
; VGPRBlocks: 0
; NumSGPRsForWavesPerEU: 4
; NumVGPRsForWavesPerEU: 1
; AccumOffset: 4
; Occupancy: 8
; WaveLimiterHint : 0
; COMPUTE_PGM_RSRC2:SCRATCH_EN: 0
; COMPUTE_PGM_RSRC2:USER_SGPR: 6
; COMPUTE_PGM_RSRC2:TRAP_HANDLER: 0
; COMPUTE_PGM_RSRC2:TGID_X_EN: 1
; COMPUTE_PGM_RSRC2:TGID_Y_EN: 0
; COMPUTE_PGM_RSRC2:TGID_Z_EN: 0
; COMPUTE_PGM_RSRC2:TIDIG_COMP_CNT: 0
; COMPUTE_PGM_RSRC3_GFX90A:ACCUM_OFFSET: 0
; COMPUTE_PGM_RSRC3_GFX90A:TG_SPLIT: 0
	.section	.text._ZN7rocprim17ROCPRIM_400000_NS6detail17trampoline_kernelINS0_14default_configENS1_20scan_config_selectorIfEEZZNS1_9scan_implILNS1_25lookback_scan_determinismE0ELb1ELb1ES3_N6thrust23THRUST_200600_302600_NS6detail15normal_iteratorINS9_10device_ptrIfEEEESE_f11max_functorIfEfEEDaPvRmT3_T4_T5_mT6_P12ihipStream_tbENKUlT_T0_E_clISt17integral_constantIbLb1EEST_IbLb0EEEEDaSP_SQ_EUlSP_E0_NS1_11comp_targetILNS1_3genE5ELNS1_11target_archE942ELNS1_3gpuE9ELNS1_3repE0EEENS1_30default_config_static_selectorELNS0_4arch9wavefront6targetE1EEEvT1_,"axG",@progbits,_ZN7rocprim17ROCPRIM_400000_NS6detail17trampoline_kernelINS0_14default_configENS1_20scan_config_selectorIfEEZZNS1_9scan_implILNS1_25lookback_scan_determinismE0ELb1ELb1ES3_N6thrust23THRUST_200600_302600_NS6detail15normal_iteratorINS9_10device_ptrIfEEEESE_f11max_functorIfEfEEDaPvRmT3_T4_T5_mT6_P12ihipStream_tbENKUlT_T0_E_clISt17integral_constantIbLb1EEST_IbLb0EEEEDaSP_SQ_EUlSP_E0_NS1_11comp_targetILNS1_3genE5ELNS1_11target_archE942ELNS1_3gpuE9ELNS1_3repE0EEENS1_30default_config_static_selectorELNS0_4arch9wavefront6targetE1EEEvT1_,comdat
	.protected	_ZN7rocprim17ROCPRIM_400000_NS6detail17trampoline_kernelINS0_14default_configENS1_20scan_config_selectorIfEEZZNS1_9scan_implILNS1_25lookback_scan_determinismE0ELb1ELb1ES3_N6thrust23THRUST_200600_302600_NS6detail15normal_iteratorINS9_10device_ptrIfEEEESE_f11max_functorIfEfEEDaPvRmT3_T4_T5_mT6_P12ihipStream_tbENKUlT_T0_E_clISt17integral_constantIbLb1EEST_IbLb0EEEEDaSP_SQ_EUlSP_E0_NS1_11comp_targetILNS1_3genE5ELNS1_11target_archE942ELNS1_3gpuE9ELNS1_3repE0EEENS1_30default_config_static_selectorELNS0_4arch9wavefront6targetE1EEEvT1_ ; -- Begin function _ZN7rocprim17ROCPRIM_400000_NS6detail17trampoline_kernelINS0_14default_configENS1_20scan_config_selectorIfEEZZNS1_9scan_implILNS1_25lookback_scan_determinismE0ELb1ELb1ES3_N6thrust23THRUST_200600_302600_NS6detail15normal_iteratorINS9_10device_ptrIfEEEESE_f11max_functorIfEfEEDaPvRmT3_T4_T5_mT6_P12ihipStream_tbENKUlT_T0_E_clISt17integral_constantIbLb1EEST_IbLb0EEEEDaSP_SQ_EUlSP_E0_NS1_11comp_targetILNS1_3genE5ELNS1_11target_archE942ELNS1_3gpuE9ELNS1_3repE0EEENS1_30default_config_static_selectorELNS0_4arch9wavefront6targetE1EEEvT1_
	.globl	_ZN7rocprim17ROCPRIM_400000_NS6detail17trampoline_kernelINS0_14default_configENS1_20scan_config_selectorIfEEZZNS1_9scan_implILNS1_25lookback_scan_determinismE0ELb1ELb1ES3_N6thrust23THRUST_200600_302600_NS6detail15normal_iteratorINS9_10device_ptrIfEEEESE_f11max_functorIfEfEEDaPvRmT3_T4_T5_mT6_P12ihipStream_tbENKUlT_T0_E_clISt17integral_constantIbLb1EEST_IbLb0EEEEDaSP_SQ_EUlSP_E0_NS1_11comp_targetILNS1_3genE5ELNS1_11target_archE942ELNS1_3gpuE9ELNS1_3repE0EEENS1_30default_config_static_selectorELNS0_4arch9wavefront6targetE1EEEvT1_
	.p2align	8
	.type	_ZN7rocprim17ROCPRIM_400000_NS6detail17trampoline_kernelINS0_14default_configENS1_20scan_config_selectorIfEEZZNS1_9scan_implILNS1_25lookback_scan_determinismE0ELb1ELb1ES3_N6thrust23THRUST_200600_302600_NS6detail15normal_iteratorINS9_10device_ptrIfEEEESE_f11max_functorIfEfEEDaPvRmT3_T4_T5_mT6_P12ihipStream_tbENKUlT_T0_E_clISt17integral_constantIbLb1EEST_IbLb0EEEEDaSP_SQ_EUlSP_E0_NS1_11comp_targetILNS1_3genE5ELNS1_11target_archE942ELNS1_3gpuE9ELNS1_3repE0EEENS1_30default_config_static_selectorELNS0_4arch9wavefront6targetE1EEEvT1_,@function
_ZN7rocprim17ROCPRIM_400000_NS6detail17trampoline_kernelINS0_14default_configENS1_20scan_config_selectorIfEEZZNS1_9scan_implILNS1_25lookback_scan_determinismE0ELb1ELb1ES3_N6thrust23THRUST_200600_302600_NS6detail15normal_iteratorINS9_10device_ptrIfEEEESE_f11max_functorIfEfEEDaPvRmT3_T4_T5_mT6_P12ihipStream_tbENKUlT_T0_E_clISt17integral_constantIbLb1EEST_IbLb0EEEEDaSP_SQ_EUlSP_E0_NS1_11comp_targetILNS1_3genE5ELNS1_11target_archE942ELNS1_3gpuE9ELNS1_3repE0EEENS1_30default_config_static_selectorELNS0_4arch9wavefront6targetE1EEEvT1_: ; @_ZN7rocprim17ROCPRIM_400000_NS6detail17trampoline_kernelINS0_14default_configENS1_20scan_config_selectorIfEEZZNS1_9scan_implILNS1_25lookback_scan_determinismE0ELb1ELb1ES3_N6thrust23THRUST_200600_302600_NS6detail15normal_iteratorINS9_10device_ptrIfEEEESE_f11max_functorIfEfEEDaPvRmT3_T4_T5_mT6_P12ihipStream_tbENKUlT_T0_E_clISt17integral_constantIbLb1EEST_IbLb0EEEEDaSP_SQ_EUlSP_E0_NS1_11comp_targetILNS1_3genE5ELNS1_11target_archE942ELNS1_3gpuE9ELNS1_3repE0EEENS1_30default_config_static_selectorELNS0_4arch9wavefront6targetE1EEEvT1_
; %bb.0:
	.section	.rodata,"a",@progbits
	.p2align	6, 0x0
	.amdhsa_kernel _ZN7rocprim17ROCPRIM_400000_NS6detail17trampoline_kernelINS0_14default_configENS1_20scan_config_selectorIfEEZZNS1_9scan_implILNS1_25lookback_scan_determinismE0ELb1ELb1ES3_N6thrust23THRUST_200600_302600_NS6detail15normal_iteratorINS9_10device_ptrIfEEEESE_f11max_functorIfEfEEDaPvRmT3_T4_T5_mT6_P12ihipStream_tbENKUlT_T0_E_clISt17integral_constantIbLb1EEST_IbLb0EEEEDaSP_SQ_EUlSP_E0_NS1_11comp_targetILNS1_3genE5ELNS1_11target_archE942ELNS1_3gpuE9ELNS1_3repE0EEENS1_30default_config_static_selectorELNS0_4arch9wavefront6targetE1EEEvT1_
		.amdhsa_group_segment_fixed_size 0
		.amdhsa_private_segment_fixed_size 0
		.amdhsa_kernarg_size 32
		.amdhsa_user_sgpr_count 6
		.amdhsa_user_sgpr_private_segment_buffer 1
		.amdhsa_user_sgpr_dispatch_ptr 0
		.amdhsa_user_sgpr_queue_ptr 0
		.amdhsa_user_sgpr_kernarg_segment_ptr 1
		.amdhsa_user_sgpr_dispatch_id 0
		.amdhsa_user_sgpr_flat_scratch_init 0
		.amdhsa_user_sgpr_kernarg_preload_length 0
		.amdhsa_user_sgpr_kernarg_preload_offset 0
		.amdhsa_user_sgpr_private_segment_size 0
		.amdhsa_uses_dynamic_stack 0
		.amdhsa_system_sgpr_private_segment_wavefront_offset 0
		.amdhsa_system_sgpr_workgroup_id_x 1
		.amdhsa_system_sgpr_workgroup_id_y 0
		.amdhsa_system_sgpr_workgroup_id_z 0
		.amdhsa_system_sgpr_workgroup_info 0
		.amdhsa_system_vgpr_workitem_id 0
		.amdhsa_next_free_vgpr 1
		.amdhsa_next_free_sgpr 0
		.amdhsa_accum_offset 4
		.amdhsa_reserve_vcc 0
		.amdhsa_reserve_flat_scratch 0
		.amdhsa_float_round_mode_32 0
		.amdhsa_float_round_mode_16_64 0
		.amdhsa_float_denorm_mode_32 3
		.amdhsa_float_denorm_mode_16_64 3
		.amdhsa_dx10_clamp 1
		.amdhsa_ieee_mode 1
		.amdhsa_fp16_overflow 0
		.amdhsa_tg_split 0
		.amdhsa_exception_fp_ieee_invalid_op 0
		.amdhsa_exception_fp_denorm_src 0
		.amdhsa_exception_fp_ieee_div_zero 0
		.amdhsa_exception_fp_ieee_overflow 0
		.amdhsa_exception_fp_ieee_underflow 0
		.amdhsa_exception_fp_ieee_inexact 0
		.amdhsa_exception_int_div_zero 0
	.end_amdhsa_kernel
	.section	.text._ZN7rocprim17ROCPRIM_400000_NS6detail17trampoline_kernelINS0_14default_configENS1_20scan_config_selectorIfEEZZNS1_9scan_implILNS1_25lookback_scan_determinismE0ELb1ELb1ES3_N6thrust23THRUST_200600_302600_NS6detail15normal_iteratorINS9_10device_ptrIfEEEESE_f11max_functorIfEfEEDaPvRmT3_T4_T5_mT6_P12ihipStream_tbENKUlT_T0_E_clISt17integral_constantIbLb1EEST_IbLb0EEEEDaSP_SQ_EUlSP_E0_NS1_11comp_targetILNS1_3genE5ELNS1_11target_archE942ELNS1_3gpuE9ELNS1_3repE0EEENS1_30default_config_static_selectorELNS0_4arch9wavefront6targetE1EEEvT1_,"axG",@progbits,_ZN7rocprim17ROCPRIM_400000_NS6detail17trampoline_kernelINS0_14default_configENS1_20scan_config_selectorIfEEZZNS1_9scan_implILNS1_25lookback_scan_determinismE0ELb1ELb1ES3_N6thrust23THRUST_200600_302600_NS6detail15normal_iteratorINS9_10device_ptrIfEEEESE_f11max_functorIfEfEEDaPvRmT3_T4_T5_mT6_P12ihipStream_tbENKUlT_T0_E_clISt17integral_constantIbLb1EEST_IbLb0EEEEDaSP_SQ_EUlSP_E0_NS1_11comp_targetILNS1_3genE5ELNS1_11target_archE942ELNS1_3gpuE9ELNS1_3repE0EEENS1_30default_config_static_selectorELNS0_4arch9wavefront6targetE1EEEvT1_,comdat
.Lfunc_end2061:
	.size	_ZN7rocprim17ROCPRIM_400000_NS6detail17trampoline_kernelINS0_14default_configENS1_20scan_config_selectorIfEEZZNS1_9scan_implILNS1_25lookback_scan_determinismE0ELb1ELb1ES3_N6thrust23THRUST_200600_302600_NS6detail15normal_iteratorINS9_10device_ptrIfEEEESE_f11max_functorIfEfEEDaPvRmT3_T4_T5_mT6_P12ihipStream_tbENKUlT_T0_E_clISt17integral_constantIbLb1EEST_IbLb0EEEEDaSP_SQ_EUlSP_E0_NS1_11comp_targetILNS1_3genE5ELNS1_11target_archE942ELNS1_3gpuE9ELNS1_3repE0EEENS1_30default_config_static_selectorELNS0_4arch9wavefront6targetE1EEEvT1_, .Lfunc_end2061-_ZN7rocprim17ROCPRIM_400000_NS6detail17trampoline_kernelINS0_14default_configENS1_20scan_config_selectorIfEEZZNS1_9scan_implILNS1_25lookback_scan_determinismE0ELb1ELb1ES3_N6thrust23THRUST_200600_302600_NS6detail15normal_iteratorINS9_10device_ptrIfEEEESE_f11max_functorIfEfEEDaPvRmT3_T4_T5_mT6_P12ihipStream_tbENKUlT_T0_E_clISt17integral_constantIbLb1EEST_IbLb0EEEEDaSP_SQ_EUlSP_E0_NS1_11comp_targetILNS1_3genE5ELNS1_11target_archE942ELNS1_3gpuE9ELNS1_3repE0EEENS1_30default_config_static_selectorELNS0_4arch9wavefront6targetE1EEEvT1_
                                        ; -- End function
	.section	.AMDGPU.csdata,"",@progbits
; Kernel info:
; codeLenInByte = 0
; NumSgprs: 4
; NumVgprs: 0
; NumAgprs: 0
; TotalNumVgprs: 0
; ScratchSize: 0
; MemoryBound: 0
; FloatMode: 240
; IeeeMode: 1
; LDSByteSize: 0 bytes/workgroup (compile time only)
; SGPRBlocks: 0
; VGPRBlocks: 0
; NumSGPRsForWavesPerEU: 4
; NumVGPRsForWavesPerEU: 1
; AccumOffset: 4
; Occupancy: 8
; WaveLimiterHint : 0
; COMPUTE_PGM_RSRC2:SCRATCH_EN: 0
; COMPUTE_PGM_RSRC2:USER_SGPR: 6
; COMPUTE_PGM_RSRC2:TRAP_HANDLER: 0
; COMPUTE_PGM_RSRC2:TGID_X_EN: 1
; COMPUTE_PGM_RSRC2:TGID_Y_EN: 0
; COMPUTE_PGM_RSRC2:TGID_Z_EN: 0
; COMPUTE_PGM_RSRC2:TIDIG_COMP_CNT: 0
; COMPUTE_PGM_RSRC3_GFX90A:ACCUM_OFFSET: 0
; COMPUTE_PGM_RSRC3_GFX90A:TG_SPLIT: 0
	.section	.text._ZN7rocprim17ROCPRIM_400000_NS6detail17trampoline_kernelINS0_14default_configENS1_20scan_config_selectorIfEEZZNS1_9scan_implILNS1_25lookback_scan_determinismE0ELb1ELb1ES3_N6thrust23THRUST_200600_302600_NS6detail15normal_iteratorINS9_10device_ptrIfEEEESE_f11max_functorIfEfEEDaPvRmT3_T4_T5_mT6_P12ihipStream_tbENKUlT_T0_E_clISt17integral_constantIbLb1EEST_IbLb0EEEEDaSP_SQ_EUlSP_E0_NS1_11comp_targetILNS1_3genE4ELNS1_11target_archE910ELNS1_3gpuE8ELNS1_3repE0EEENS1_30default_config_static_selectorELNS0_4arch9wavefront6targetE1EEEvT1_,"axG",@progbits,_ZN7rocprim17ROCPRIM_400000_NS6detail17trampoline_kernelINS0_14default_configENS1_20scan_config_selectorIfEEZZNS1_9scan_implILNS1_25lookback_scan_determinismE0ELb1ELb1ES3_N6thrust23THRUST_200600_302600_NS6detail15normal_iteratorINS9_10device_ptrIfEEEESE_f11max_functorIfEfEEDaPvRmT3_T4_T5_mT6_P12ihipStream_tbENKUlT_T0_E_clISt17integral_constantIbLb1EEST_IbLb0EEEEDaSP_SQ_EUlSP_E0_NS1_11comp_targetILNS1_3genE4ELNS1_11target_archE910ELNS1_3gpuE8ELNS1_3repE0EEENS1_30default_config_static_selectorELNS0_4arch9wavefront6targetE1EEEvT1_,comdat
	.protected	_ZN7rocprim17ROCPRIM_400000_NS6detail17trampoline_kernelINS0_14default_configENS1_20scan_config_selectorIfEEZZNS1_9scan_implILNS1_25lookback_scan_determinismE0ELb1ELb1ES3_N6thrust23THRUST_200600_302600_NS6detail15normal_iteratorINS9_10device_ptrIfEEEESE_f11max_functorIfEfEEDaPvRmT3_T4_T5_mT6_P12ihipStream_tbENKUlT_T0_E_clISt17integral_constantIbLb1EEST_IbLb0EEEEDaSP_SQ_EUlSP_E0_NS1_11comp_targetILNS1_3genE4ELNS1_11target_archE910ELNS1_3gpuE8ELNS1_3repE0EEENS1_30default_config_static_selectorELNS0_4arch9wavefront6targetE1EEEvT1_ ; -- Begin function _ZN7rocprim17ROCPRIM_400000_NS6detail17trampoline_kernelINS0_14default_configENS1_20scan_config_selectorIfEEZZNS1_9scan_implILNS1_25lookback_scan_determinismE0ELb1ELb1ES3_N6thrust23THRUST_200600_302600_NS6detail15normal_iteratorINS9_10device_ptrIfEEEESE_f11max_functorIfEfEEDaPvRmT3_T4_T5_mT6_P12ihipStream_tbENKUlT_T0_E_clISt17integral_constantIbLb1EEST_IbLb0EEEEDaSP_SQ_EUlSP_E0_NS1_11comp_targetILNS1_3genE4ELNS1_11target_archE910ELNS1_3gpuE8ELNS1_3repE0EEENS1_30default_config_static_selectorELNS0_4arch9wavefront6targetE1EEEvT1_
	.globl	_ZN7rocprim17ROCPRIM_400000_NS6detail17trampoline_kernelINS0_14default_configENS1_20scan_config_selectorIfEEZZNS1_9scan_implILNS1_25lookback_scan_determinismE0ELb1ELb1ES3_N6thrust23THRUST_200600_302600_NS6detail15normal_iteratorINS9_10device_ptrIfEEEESE_f11max_functorIfEfEEDaPvRmT3_T4_T5_mT6_P12ihipStream_tbENKUlT_T0_E_clISt17integral_constantIbLb1EEST_IbLb0EEEEDaSP_SQ_EUlSP_E0_NS1_11comp_targetILNS1_3genE4ELNS1_11target_archE910ELNS1_3gpuE8ELNS1_3repE0EEENS1_30default_config_static_selectorELNS0_4arch9wavefront6targetE1EEEvT1_
	.p2align	8
	.type	_ZN7rocprim17ROCPRIM_400000_NS6detail17trampoline_kernelINS0_14default_configENS1_20scan_config_selectorIfEEZZNS1_9scan_implILNS1_25lookback_scan_determinismE0ELb1ELb1ES3_N6thrust23THRUST_200600_302600_NS6detail15normal_iteratorINS9_10device_ptrIfEEEESE_f11max_functorIfEfEEDaPvRmT3_T4_T5_mT6_P12ihipStream_tbENKUlT_T0_E_clISt17integral_constantIbLb1EEST_IbLb0EEEEDaSP_SQ_EUlSP_E0_NS1_11comp_targetILNS1_3genE4ELNS1_11target_archE910ELNS1_3gpuE8ELNS1_3repE0EEENS1_30default_config_static_selectorELNS0_4arch9wavefront6targetE1EEEvT1_,@function
_ZN7rocprim17ROCPRIM_400000_NS6detail17trampoline_kernelINS0_14default_configENS1_20scan_config_selectorIfEEZZNS1_9scan_implILNS1_25lookback_scan_determinismE0ELb1ELb1ES3_N6thrust23THRUST_200600_302600_NS6detail15normal_iteratorINS9_10device_ptrIfEEEESE_f11max_functorIfEfEEDaPvRmT3_T4_T5_mT6_P12ihipStream_tbENKUlT_T0_E_clISt17integral_constantIbLb1EEST_IbLb0EEEEDaSP_SQ_EUlSP_E0_NS1_11comp_targetILNS1_3genE4ELNS1_11target_archE910ELNS1_3gpuE8ELNS1_3repE0EEENS1_30default_config_static_selectorELNS0_4arch9wavefront6targetE1EEEvT1_: ; @_ZN7rocprim17ROCPRIM_400000_NS6detail17trampoline_kernelINS0_14default_configENS1_20scan_config_selectorIfEEZZNS1_9scan_implILNS1_25lookback_scan_determinismE0ELb1ELb1ES3_N6thrust23THRUST_200600_302600_NS6detail15normal_iteratorINS9_10device_ptrIfEEEESE_f11max_functorIfEfEEDaPvRmT3_T4_T5_mT6_P12ihipStream_tbENKUlT_T0_E_clISt17integral_constantIbLb1EEST_IbLb0EEEEDaSP_SQ_EUlSP_E0_NS1_11comp_targetILNS1_3genE4ELNS1_11target_archE910ELNS1_3gpuE8ELNS1_3repE0EEENS1_30default_config_static_selectorELNS0_4arch9wavefront6targetE1EEEvT1_
; %bb.0:
	s_load_dwordx4 s[28:31], s[4:5], 0x0
	v_lshlrev_b32_e32 v18, 2, v0
	s_waitcnt lgkmcnt(0)
	s_load_dword s31, s[28:29], 0x0
	v_cmp_gt_u32_e32 vcc, s30, v0
	s_waitcnt lgkmcnt(0)
	v_mov_b32_e32 v1, s31
	s_and_saveexec_b64 s[0:1], vcc
	s_cbranch_execz .LBB2062_2
; %bb.1:
	global_load_dword v1, v18, s[28:29]
.LBB2062_2:
	s_or_b64 exec, exec, s[0:1]
	v_or_b32_e32 v2, 0x80, v0
	v_cmp_gt_u32_e64 s[0:1], s30, v2
	v_mov_b32_e32 v2, s31
	s_and_saveexec_b64 s[2:3], s[0:1]
	s_cbranch_execz .LBB2062_4
; %bb.3:
	global_load_dword v2, v18, s[28:29] offset:512
.LBB2062_4:
	s_or_b64 exec, exec, s[2:3]
	v_or_b32_e32 v3, 0x100, v0
	v_cmp_gt_u32_e64 s[2:3], s30, v3
	v_mov_b32_e32 v3, s31
	s_and_saveexec_b64 s[6:7], s[2:3]
	s_cbranch_execz .LBB2062_6
; %bb.5:
	global_load_dword v3, v18, s[28:29] offset:1024
.LBB2062_6:
	;; [unrolled: 9-line block ×7, first 2 shown]
	s_or_b64 exec, exec, s[14:15]
	v_or_b32_e32 v10, 0x400, v0
	v_cmp_gt_u32_e64 s[14:15], s30, v10
	v_mov_b32_e32 v9, s31
	s_and_saveexec_b64 s[16:17], s[14:15]
	s_cbranch_execz .LBB2062_18
; %bb.17:
	v_lshlrev_b32_e32 v9, 2, v10
	global_load_dword v9, v9, s[28:29]
.LBB2062_18:
	s_or_b64 exec, exec, s[16:17]
	v_or_b32_e32 v11, 0x480, v0
	v_cmp_gt_u32_e64 s[16:17], s30, v11
	v_mov_b32_e32 v10, s31
	s_and_saveexec_b64 s[18:19], s[16:17]
	s_cbranch_execz .LBB2062_20
; %bb.19:
	v_lshlrev_b32_e32 v10, 2, v11
	global_load_dword v10, v10, s[28:29]
.LBB2062_20:
	;; [unrolled: 10-line block ×5, first 2 shown]
	s_or_b64 exec, exec, s[24:25]
	s_load_dword s33, s[4:5], 0x10
	v_or_b32_e32 v15, 0x680, v0
	v_cmp_gt_u32_e64 s[24:25], s30, v15
	v_mov_b32_e32 v14, s31
	s_and_saveexec_b64 s[30:31], s[24:25]
	s_cbranch_execz .LBB2062_28
; %bb.27:
	v_lshlrev_b32_e32 v14, 2, v15
	global_load_dword v14, v14, s[28:29]
.LBB2062_28:
	s_or_b64 exec, exec, s[30:31]
	s_waitcnt vmcnt(0)
	ds_write2st64_b32 v18, v1, v2 offset1:2
	ds_write2st64_b32 v18, v3, v4 offset0:4 offset1:6
	ds_write2st64_b32 v18, v5, v6 offset0:8 offset1:10
	;; [unrolled: 1-line block ×6, first 2 shown]
	v_mad_u32_u24 v1, v0, 52, v18
	s_waitcnt lgkmcnt(0)
	s_barrier
	ds_read2_b64 v[10:13], v1 offset1:1
	ds_read2_b64 v[6:9], v1 offset0:2 offset1:3
	ds_read2_b64 v[2:5], v1 offset0:4 offset1:5
	ds_read_b64 v[14:15], v1 offset:48
	s_load_dwordx2 s[36:37], s[4:5], 0x18
	s_waitcnt lgkmcnt(0)
	v_cmp_lt_f32_e64 s[4:5], v10, v11
	v_cndmask_b32_e64 v16, v10, v11, s[4:5]
	v_cmp_lt_f32_e64 s[4:5], v16, v12
	v_cndmask_b32_e64 v16, v16, v12, s[4:5]
	;; [unrolled: 2-line block ×13, first 2 shown]
	v_lshrrev_b32_e32 v16, 3, v0
	v_and_b32_e32 v16, 12, v16
	v_add_u32_e32 v16, v18, v16
	v_cmp_gt_u32_e64 s[4:5], 64, v0
	s_barrier
	ds_write_b32 v16, v15
	s_waitcnt lgkmcnt(0)
	s_barrier
	s_and_saveexec_b64 s[38:39], s[4:5]
	s_cbranch_execz .LBB2062_30
; %bb.29:
	v_lshlrev_b32_e32 v16, 1, v0
	v_lshrrev_b32_e32 v17, 4, v0
	v_add_lshl_u32 v19, v17, v16, 2
	ds_read2_b32 v[16:17], v19 offset1:1
	v_mbcnt_lo_u32_b32 v20, -1, 0
	v_mbcnt_hi_u32_b32 v20, -1, v20
	v_and_b32_e32 v21, 15, v20
	v_cmp_lt_u32_e64 s[34:35], 31, v20
	s_waitcnt lgkmcnt(0)
	v_cmp_lt_f32_e64 s[4:5], v16, v17
	v_cndmask_b32_e64 v17, v16, v17, s[4:5]
	v_cmp_gt_u32_e64 s[30:31], 32, v20
	s_nop 0
	v_mov_b32_dpp v22, v17 row_shr:1 row_mask:0xf bank_mask:0xf
	v_cmp_gt_f32_e64 s[4:5], v17, v22
	v_cndmask_b32_e64 v22, v22, v17, s[4:5]
	v_cmp_eq_u32_e64 s[4:5], 0, v21
	v_cndmask_b32_e64 v17, v22, v17, s[4:5]
	; wave barrier
	s_nop 1
	v_mov_b32_dpp v22, v17 row_shr:2 row_mask:0xf bank_mask:0xf
	v_cmp_gt_f32_e64 s[4:5], v17, v22
	v_cndmask_b32_e64 v22, v22, v17, s[4:5]
	v_cmp_lt_u32_e64 s[4:5], 1, v21
	v_cndmask_b32_e64 v22, v17, v22, s[4:5]
	s_nop 1
	v_mov_b32_dpp v23, v22 row_shr:4 row_mask:0xf bank_mask:0xf
	v_cmp_gt_f32_e64 s[28:29], v22, v23
	v_cndmask_b32_e64 v23, v23, v22, s[28:29]
	v_cmp_lt_u32_e64 s[28:29], 3, v21
	v_cndmask_b32_e64 v22, v22, v23, s[28:29]
	;; [unrolled: 6-line block ×3, first 2 shown]
	v_and_b32_e32 v23, 16, v20
	s_nop 0
	v_mov_b32_dpp v22, v21 row_bcast:15 row_mask:0xf bank_mask:0xf
	v_cmp_gt_f32_e64 s[28:29], v21, v22
	v_cndmask_b32_e64 v22, v22, v21, s[28:29]
	v_cmp_ne_u32_e64 s[28:29], 0, v23
	v_cndmask_b32_e64 v21, v21, v22, s[28:29]
	s_or_b64 s[34:35], s[28:29], s[34:35]
	s_or_b64 s[4:5], s[4:5], s[34:35]
	v_mov_b32_dpp v22, v21 row_bcast:31 row_mask:0xf bank_mask:0xf
	v_cmp_gt_f32_e64 s[28:29], v21, v22
	s_or_b64 s[28:29], s[30:31], s[28:29]
	v_cndmask_b32_e64 v21, v22, v21, s[28:29]
	v_cndmask_b32_e64 v17, v17, v21, s[4:5]
	v_add_u32_e32 v21, -1, v20
	v_and_b32_e32 v22, 64, v20
	v_cmp_lt_i32_e64 s[4:5], v21, v22
	v_cndmask_b32_e64 v20, v21, v20, s[4:5]
	v_lshlrev_b32_e32 v20, 2, v20
	ds_bpermute_b32 v17, v20, v17
	s_waitcnt lgkmcnt(0)
	v_cmp_gt_f32_e64 s[4:5], v16, v17
	v_cndmask_b32_e64 v16, v17, v16, s[4:5]
	v_cmp_eq_u32_e64 s[4:5], 0, v0
	v_cndmask_b32_e64 v15, v16, v15, s[4:5]
	ds_write_b32 v19, v15
	; wave barrier
	ds_read_b32 v16, v19 offset:4
	s_waitcnt lgkmcnt(0)
	v_cmp_lt_f32_e64 s[4:5], v15, v16
	v_cndmask_b32_e64 v15, v15, v16, s[4:5]
	ds_write_b32 v19, v15 offset:4
.LBB2062_30:
	s_or_b64 exec, exec, s[38:39]
	v_cmp_ne_u32_e64 s[4:5], 0, v0
	v_mov_b32_e32 v16, s33
	s_waitcnt lgkmcnt(0)
	s_barrier
	s_and_saveexec_b64 s[28:29], s[4:5]
	s_cbranch_execz .LBB2062_32
; %bb.31:
	v_add_u32_e32 v15, -1, v0
	v_lshrrev_b32_e32 v16, 5, v15
	v_add_lshl_u32 v15, v16, v15, 2
	ds_read_b32 v15, v15
	v_mov_b32_e32 v16, s33
	s_waitcnt lgkmcnt(0)
	v_cmp_lt_f32_e64 s[4:5], s33, v15
	v_cndmask_b32_e64 v16, v16, v15, s[4:5]
.LBB2062_32:
	s_or_b64 exec, exec, s[28:29]
	v_cmp_lt_f32_e64 s[4:5], v16, v10
	v_cndmask_b32_e64 v17, v16, v10, s[4:5]
	v_cmp_lt_f32_e64 s[4:5], v17, v11
	v_cndmask_b32_e64 v10, v17, v11, s[4:5]
	;; [unrolled: 2-line block ×13, first 2 shown]
	s_movk_i32 s4, 0xffcc
	v_mad_i32_i24 v0, v0, s4, v1
	s_barrier
	ds_write2_b64 v1, v[16:17], v[10:11] offset1:1
	ds_write2_b64 v1, v[12:13], v[6:7] offset0:2 offset1:3
	ds_write2_b64 v1, v[8:9], v[2:3] offset0:4 offset1:5
	ds_write_b64 v1, v[4:5] offset:48
	s_waitcnt lgkmcnt(0)
	s_barrier
	ds_read2st64_b32 v[12:13], v0 offset0:2 offset1:4
	ds_read2st64_b32 v[10:11], v0 offset0:6 offset1:8
	;; [unrolled: 1-line block ×4, first 2 shown]
	ds_read_b32 v14, v18 offset:4096
	ds_read2st64_b32 v[4:5], v0 offset0:20 offset1:22
	ds_read2st64_b32 v[0:1], v0 offset0:24 offset1:26
	v_mov_b32_e32 v3, s37
	v_add_co_u32_e64 v2, s[4:5], s36, v18
	v_addc_co_u32_e64 v3, s[4:5], 0, v3, s[4:5]
	s_and_saveexec_b64 s[4:5], vcc
	s_cbranch_execnz .LBB2062_47
; %bb.33:
	s_or_b64 exec, exec, s[4:5]
	s_and_saveexec_b64 s[4:5], s[0:1]
	s_cbranch_execnz .LBB2062_48
.LBB2062_34:
	s_or_b64 exec, exec, s[4:5]
	s_and_saveexec_b64 s[0:1], s[2:3]
	s_cbranch_execnz .LBB2062_49
.LBB2062_35:
	s_or_b64 exec, exec, s[0:1]
	s_and_saveexec_b64 s[0:1], s[26:27]
	s_cbranch_execnz .LBB2062_50
.LBB2062_36:
	s_or_b64 exec, exec, s[0:1]
	s_and_saveexec_b64 s[0:1], s[6:7]
	s_cbranch_execnz .LBB2062_51
.LBB2062_37:
	s_or_b64 exec, exec, s[0:1]
	s_and_saveexec_b64 s[0:1], s[8:9]
	s_cbranch_execnz .LBB2062_52
.LBB2062_38:
	s_or_b64 exec, exec, s[0:1]
	s_and_saveexec_b64 s[0:1], s[10:11]
	s_cbranch_execnz .LBB2062_53
.LBB2062_39:
	s_or_b64 exec, exec, s[0:1]
	s_and_saveexec_b64 s[0:1], s[12:13]
	s_cbranch_execnz .LBB2062_54
.LBB2062_40:
	s_or_b64 exec, exec, s[0:1]
	s_and_saveexec_b64 s[0:1], s[14:15]
	s_cbranch_execnz .LBB2062_55
.LBB2062_41:
	s_or_b64 exec, exec, s[0:1]
	s_and_saveexec_b64 s[0:1], s[16:17]
	s_cbranch_execnz .LBB2062_56
.LBB2062_42:
	s_or_b64 exec, exec, s[0:1]
	s_and_saveexec_b64 s[0:1], s[18:19]
	s_cbranch_execnz .LBB2062_57
.LBB2062_43:
	s_or_b64 exec, exec, s[0:1]
	s_and_saveexec_b64 s[0:1], s[20:21]
	s_cbranch_execnz .LBB2062_58
.LBB2062_44:
	s_or_b64 exec, exec, s[0:1]
	s_and_saveexec_b64 s[0:1], s[22:23]
	s_cbranch_execnz .LBB2062_59
.LBB2062_45:
	s_or_b64 exec, exec, s[0:1]
	s_and_saveexec_b64 s[0:1], s[24:25]
	s_cbranch_execnz .LBB2062_60
.LBB2062_46:
	s_endpgm
.LBB2062_47:
	ds_read_b32 v15, v18
	s_waitcnt lgkmcnt(0)
	global_store_dword v[2:3], v15, off
	s_or_b64 exec, exec, s[4:5]
	s_and_saveexec_b64 s[4:5], s[0:1]
	s_cbranch_execz .LBB2062_34
.LBB2062_48:
	s_waitcnt lgkmcnt(6)
	global_store_dword v[2:3], v12, off offset:512
	s_or_b64 exec, exec, s[4:5]
	s_and_saveexec_b64 s[0:1], s[2:3]
	s_cbranch_execz .LBB2062_35
.LBB2062_49:
	s_waitcnt lgkmcnt(6)
	global_store_dword v[2:3], v13, off offset:1024
	s_or_b64 exec, exec, s[0:1]
	s_and_saveexec_b64 s[0:1], s[26:27]
	s_cbranch_execz .LBB2062_36
.LBB2062_50:
	s_waitcnt lgkmcnt(5)
	global_store_dword v[2:3], v10, off offset:1536
	s_or_b64 exec, exec, s[0:1]
	s_and_saveexec_b64 s[0:1], s[6:7]
	s_cbranch_execz .LBB2062_37
.LBB2062_51:
	s_waitcnt lgkmcnt(5)
	global_store_dword v[2:3], v11, off offset:2048
	s_or_b64 exec, exec, s[0:1]
	s_and_saveexec_b64 s[0:1], s[8:9]
	s_cbranch_execz .LBB2062_38
.LBB2062_52:
	s_waitcnt lgkmcnt(4)
	global_store_dword v[2:3], v8, off offset:2560
	s_or_b64 exec, exec, s[0:1]
	s_and_saveexec_b64 s[0:1], s[10:11]
	s_cbranch_execz .LBB2062_39
.LBB2062_53:
	s_waitcnt lgkmcnt(4)
	global_store_dword v[2:3], v9, off offset:3072
	s_or_b64 exec, exec, s[0:1]
	s_and_saveexec_b64 s[0:1], s[12:13]
	s_cbranch_execz .LBB2062_40
.LBB2062_54:
	s_waitcnt lgkmcnt(3)
	global_store_dword v[2:3], v6, off offset:3584
	s_or_b64 exec, exec, s[0:1]
	s_and_saveexec_b64 s[0:1], s[14:15]
	s_cbranch_execz .LBB2062_41
.LBB2062_55:
	s_waitcnt lgkmcnt(4)
	v_add_co_u32_e32 v8, vcc, 0x1000, v2
	v_addc_co_u32_e32 v9, vcc, 0, v3, vcc
	s_waitcnt lgkmcnt(2)
	global_store_dword v[8:9], v14, off
	s_or_b64 exec, exec, s[0:1]
	s_and_saveexec_b64 s[0:1], s[16:17]
	s_cbranch_execz .LBB2062_42
.LBB2062_56:
	s_waitcnt lgkmcnt(4)
	v_add_co_u32_e32 v8, vcc, 0x1000, v2
	v_addc_co_u32_e32 v9, vcc, 0, v3, vcc
	s_waitcnt lgkmcnt(3)
	global_store_dword v[8:9], v7, off offset:512
	s_or_b64 exec, exec, s[0:1]
	s_and_saveexec_b64 s[0:1], s[18:19]
	s_cbranch_execz .LBB2062_43
.LBB2062_57:
	s_waitcnt lgkmcnt(3)
	v_add_co_u32_e32 v6, vcc, 0x1000, v2
	v_addc_co_u32_e32 v7, vcc, 0, v3, vcc
	s_waitcnt lgkmcnt(1)
	global_store_dword v[6:7], v4, off offset:1024
	s_or_b64 exec, exec, s[0:1]
	s_and_saveexec_b64 s[0:1], s[20:21]
	s_cbranch_execz .LBB2062_44
.LBB2062_58:
	s_waitcnt lgkmcnt(3)
	v_add_co_u32_e32 v6, vcc, 0x1000, v2
	v_addc_co_u32_e32 v7, vcc, 0, v3, vcc
	s_waitcnt lgkmcnt(1)
	global_store_dword v[6:7], v5, off offset:1536
	s_or_b64 exec, exec, s[0:1]
	s_and_saveexec_b64 s[0:1], s[22:23]
	s_cbranch_execz .LBB2062_45
.LBB2062_59:
	s_waitcnt lgkmcnt(1)
	v_add_co_u32_e32 v4, vcc, 0x1000, v2
	v_addc_co_u32_e32 v5, vcc, 0, v3, vcc
	s_waitcnt lgkmcnt(0)
	global_store_dword v[4:5], v0, off offset:2048
	s_or_b64 exec, exec, s[0:1]
	s_and_saveexec_b64 s[0:1], s[24:25]
	s_cbranch_execz .LBB2062_46
.LBB2062_60:
	v_add_co_u32_e32 v2, vcc, 0x1000, v2
	v_addc_co_u32_e32 v3, vcc, 0, v3, vcc
	s_waitcnt lgkmcnt(0)
	global_store_dword v[2:3], v1, off offset:2560
	s_endpgm
	.section	.rodata,"a",@progbits
	.p2align	6, 0x0
	.amdhsa_kernel _ZN7rocprim17ROCPRIM_400000_NS6detail17trampoline_kernelINS0_14default_configENS1_20scan_config_selectorIfEEZZNS1_9scan_implILNS1_25lookback_scan_determinismE0ELb1ELb1ES3_N6thrust23THRUST_200600_302600_NS6detail15normal_iteratorINS9_10device_ptrIfEEEESE_f11max_functorIfEfEEDaPvRmT3_T4_T5_mT6_P12ihipStream_tbENKUlT_T0_E_clISt17integral_constantIbLb1EEST_IbLb0EEEEDaSP_SQ_EUlSP_E0_NS1_11comp_targetILNS1_3genE4ELNS1_11target_archE910ELNS1_3gpuE8ELNS1_3repE0EEENS1_30default_config_static_selectorELNS0_4arch9wavefront6targetE1EEEvT1_
		.amdhsa_group_segment_fixed_size 7168
		.amdhsa_private_segment_fixed_size 0
		.amdhsa_kernarg_size 32
		.amdhsa_user_sgpr_count 6
		.amdhsa_user_sgpr_private_segment_buffer 1
		.amdhsa_user_sgpr_dispatch_ptr 0
		.amdhsa_user_sgpr_queue_ptr 0
		.amdhsa_user_sgpr_kernarg_segment_ptr 1
		.amdhsa_user_sgpr_dispatch_id 0
		.amdhsa_user_sgpr_flat_scratch_init 0
		.amdhsa_user_sgpr_kernarg_preload_length 0
		.amdhsa_user_sgpr_kernarg_preload_offset 0
		.amdhsa_user_sgpr_private_segment_size 0
		.amdhsa_uses_dynamic_stack 0
		.amdhsa_system_sgpr_private_segment_wavefront_offset 0
		.amdhsa_system_sgpr_workgroup_id_x 1
		.amdhsa_system_sgpr_workgroup_id_y 0
		.amdhsa_system_sgpr_workgroup_id_z 0
		.amdhsa_system_sgpr_workgroup_info 0
		.amdhsa_system_vgpr_workitem_id 0
		.amdhsa_next_free_vgpr 24
		.amdhsa_next_free_sgpr 40
		.amdhsa_accum_offset 24
		.amdhsa_reserve_vcc 1
		.amdhsa_reserve_flat_scratch 0
		.amdhsa_float_round_mode_32 0
		.amdhsa_float_round_mode_16_64 0
		.amdhsa_float_denorm_mode_32 3
		.amdhsa_float_denorm_mode_16_64 3
		.amdhsa_dx10_clamp 1
		.amdhsa_ieee_mode 1
		.amdhsa_fp16_overflow 0
		.amdhsa_tg_split 0
		.amdhsa_exception_fp_ieee_invalid_op 0
		.amdhsa_exception_fp_denorm_src 0
		.amdhsa_exception_fp_ieee_div_zero 0
		.amdhsa_exception_fp_ieee_overflow 0
		.amdhsa_exception_fp_ieee_underflow 0
		.amdhsa_exception_fp_ieee_inexact 0
		.amdhsa_exception_int_div_zero 0
	.end_amdhsa_kernel
	.section	.text._ZN7rocprim17ROCPRIM_400000_NS6detail17trampoline_kernelINS0_14default_configENS1_20scan_config_selectorIfEEZZNS1_9scan_implILNS1_25lookback_scan_determinismE0ELb1ELb1ES3_N6thrust23THRUST_200600_302600_NS6detail15normal_iteratorINS9_10device_ptrIfEEEESE_f11max_functorIfEfEEDaPvRmT3_T4_T5_mT6_P12ihipStream_tbENKUlT_T0_E_clISt17integral_constantIbLb1EEST_IbLb0EEEEDaSP_SQ_EUlSP_E0_NS1_11comp_targetILNS1_3genE4ELNS1_11target_archE910ELNS1_3gpuE8ELNS1_3repE0EEENS1_30default_config_static_selectorELNS0_4arch9wavefront6targetE1EEEvT1_,"axG",@progbits,_ZN7rocprim17ROCPRIM_400000_NS6detail17trampoline_kernelINS0_14default_configENS1_20scan_config_selectorIfEEZZNS1_9scan_implILNS1_25lookback_scan_determinismE0ELb1ELb1ES3_N6thrust23THRUST_200600_302600_NS6detail15normal_iteratorINS9_10device_ptrIfEEEESE_f11max_functorIfEfEEDaPvRmT3_T4_T5_mT6_P12ihipStream_tbENKUlT_T0_E_clISt17integral_constantIbLb1EEST_IbLb0EEEEDaSP_SQ_EUlSP_E0_NS1_11comp_targetILNS1_3genE4ELNS1_11target_archE910ELNS1_3gpuE8ELNS1_3repE0EEENS1_30default_config_static_selectorELNS0_4arch9wavefront6targetE1EEEvT1_,comdat
.Lfunc_end2062:
	.size	_ZN7rocprim17ROCPRIM_400000_NS6detail17trampoline_kernelINS0_14default_configENS1_20scan_config_selectorIfEEZZNS1_9scan_implILNS1_25lookback_scan_determinismE0ELb1ELb1ES3_N6thrust23THRUST_200600_302600_NS6detail15normal_iteratorINS9_10device_ptrIfEEEESE_f11max_functorIfEfEEDaPvRmT3_T4_T5_mT6_P12ihipStream_tbENKUlT_T0_E_clISt17integral_constantIbLb1EEST_IbLb0EEEEDaSP_SQ_EUlSP_E0_NS1_11comp_targetILNS1_3genE4ELNS1_11target_archE910ELNS1_3gpuE8ELNS1_3repE0EEENS1_30default_config_static_selectorELNS0_4arch9wavefront6targetE1EEEvT1_, .Lfunc_end2062-_ZN7rocprim17ROCPRIM_400000_NS6detail17trampoline_kernelINS0_14default_configENS1_20scan_config_selectorIfEEZZNS1_9scan_implILNS1_25lookback_scan_determinismE0ELb1ELb1ES3_N6thrust23THRUST_200600_302600_NS6detail15normal_iteratorINS9_10device_ptrIfEEEESE_f11max_functorIfEfEEDaPvRmT3_T4_T5_mT6_P12ihipStream_tbENKUlT_T0_E_clISt17integral_constantIbLb1EEST_IbLb0EEEEDaSP_SQ_EUlSP_E0_NS1_11comp_targetILNS1_3genE4ELNS1_11target_archE910ELNS1_3gpuE8ELNS1_3repE0EEENS1_30default_config_static_selectorELNS0_4arch9wavefront6targetE1EEEvT1_
                                        ; -- End function
	.section	.AMDGPU.csdata,"",@progbits
; Kernel info:
; codeLenInByte = 2468
; NumSgprs: 44
; NumVgprs: 24
; NumAgprs: 0
; TotalNumVgprs: 24
; ScratchSize: 0
; MemoryBound: 0
; FloatMode: 240
; IeeeMode: 1
; LDSByteSize: 7168 bytes/workgroup (compile time only)
; SGPRBlocks: 5
; VGPRBlocks: 2
; NumSGPRsForWavesPerEU: 44
; NumVGPRsForWavesPerEU: 24
; AccumOffset: 24
; Occupancy: 5
; WaveLimiterHint : 0
; COMPUTE_PGM_RSRC2:SCRATCH_EN: 0
; COMPUTE_PGM_RSRC2:USER_SGPR: 6
; COMPUTE_PGM_RSRC2:TRAP_HANDLER: 0
; COMPUTE_PGM_RSRC2:TGID_X_EN: 1
; COMPUTE_PGM_RSRC2:TGID_Y_EN: 0
; COMPUTE_PGM_RSRC2:TGID_Z_EN: 0
; COMPUTE_PGM_RSRC2:TIDIG_COMP_CNT: 0
; COMPUTE_PGM_RSRC3_GFX90A:ACCUM_OFFSET: 5
; COMPUTE_PGM_RSRC3_GFX90A:TG_SPLIT: 0
	.section	.text._ZN7rocprim17ROCPRIM_400000_NS6detail17trampoline_kernelINS0_14default_configENS1_20scan_config_selectorIfEEZZNS1_9scan_implILNS1_25lookback_scan_determinismE0ELb1ELb1ES3_N6thrust23THRUST_200600_302600_NS6detail15normal_iteratorINS9_10device_ptrIfEEEESE_f11max_functorIfEfEEDaPvRmT3_T4_T5_mT6_P12ihipStream_tbENKUlT_T0_E_clISt17integral_constantIbLb1EEST_IbLb0EEEEDaSP_SQ_EUlSP_E0_NS1_11comp_targetILNS1_3genE3ELNS1_11target_archE908ELNS1_3gpuE7ELNS1_3repE0EEENS1_30default_config_static_selectorELNS0_4arch9wavefront6targetE1EEEvT1_,"axG",@progbits,_ZN7rocprim17ROCPRIM_400000_NS6detail17trampoline_kernelINS0_14default_configENS1_20scan_config_selectorIfEEZZNS1_9scan_implILNS1_25lookback_scan_determinismE0ELb1ELb1ES3_N6thrust23THRUST_200600_302600_NS6detail15normal_iteratorINS9_10device_ptrIfEEEESE_f11max_functorIfEfEEDaPvRmT3_T4_T5_mT6_P12ihipStream_tbENKUlT_T0_E_clISt17integral_constantIbLb1EEST_IbLb0EEEEDaSP_SQ_EUlSP_E0_NS1_11comp_targetILNS1_3genE3ELNS1_11target_archE908ELNS1_3gpuE7ELNS1_3repE0EEENS1_30default_config_static_selectorELNS0_4arch9wavefront6targetE1EEEvT1_,comdat
	.protected	_ZN7rocprim17ROCPRIM_400000_NS6detail17trampoline_kernelINS0_14default_configENS1_20scan_config_selectorIfEEZZNS1_9scan_implILNS1_25lookback_scan_determinismE0ELb1ELb1ES3_N6thrust23THRUST_200600_302600_NS6detail15normal_iteratorINS9_10device_ptrIfEEEESE_f11max_functorIfEfEEDaPvRmT3_T4_T5_mT6_P12ihipStream_tbENKUlT_T0_E_clISt17integral_constantIbLb1EEST_IbLb0EEEEDaSP_SQ_EUlSP_E0_NS1_11comp_targetILNS1_3genE3ELNS1_11target_archE908ELNS1_3gpuE7ELNS1_3repE0EEENS1_30default_config_static_selectorELNS0_4arch9wavefront6targetE1EEEvT1_ ; -- Begin function _ZN7rocprim17ROCPRIM_400000_NS6detail17trampoline_kernelINS0_14default_configENS1_20scan_config_selectorIfEEZZNS1_9scan_implILNS1_25lookback_scan_determinismE0ELb1ELb1ES3_N6thrust23THRUST_200600_302600_NS6detail15normal_iteratorINS9_10device_ptrIfEEEESE_f11max_functorIfEfEEDaPvRmT3_T4_T5_mT6_P12ihipStream_tbENKUlT_T0_E_clISt17integral_constantIbLb1EEST_IbLb0EEEEDaSP_SQ_EUlSP_E0_NS1_11comp_targetILNS1_3genE3ELNS1_11target_archE908ELNS1_3gpuE7ELNS1_3repE0EEENS1_30default_config_static_selectorELNS0_4arch9wavefront6targetE1EEEvT1_
	.globl	_ZN7rocprim17ROCPRIM_400000_NS6detail17trampoline_kernelINS0_14default_configENS1_20scan_config_selectorIfEEZZNS1_9scan_implILNS1_25lookback_scan_determinismE0ELb1ELb1ES3_N6thrust23THRUST_200600_302600_NS6detail15normal_iteratorINS9_10device_ptrIfEEEESE_f11max_functorIfEfEEDaPvRmT3_T4_T5_mT6_P12ihipStream_tbENKUlT_T0_E_clISt17integral_constantIbLb1EEST_IbLb0EEEEDaSP_SQ_EUlSP_E0_NS1_11comp_targetILNS1_3genE3ELNS1_11target_archE908ELNS1_3gpuE7ELNS1_3repE0EEENS1_30default_config_static_selectorELNS0_4arch9wavefront6targetE1EEEvT1_
	.p2align	8
	.type	_ZN7rocprim17ROCPRIM_400000_NS6detail17trampoline_kernelINS0_14default_configENS1_20scan_config_selectorIfEEZZNS1_9scan_implILNS1_25lookback_scan_determinismE0ELb1ELb1ES3_N6thrust23THRUST_200600_302600_NS6detail15normal_iteratorINS9_10device_ptrIfEEEESE_f11max_functorIfEfEEDaPvRmT3_T4_T5_mT6_P12ihipStream_tbENKUlT_T0_E_clISt17integral_constantIbLb1EEST_IbLb0EEEEDaSP_SQ_EUlSP_E0_NS1_11comp_targetILNS1_3genE3ELNS1_11target_archE908ELNS1_3gpuE7ELNS1_3repE0EEENS1_30default_config_static_selectorELNS0_4arch9wavefront6targetE1EEEvT1_,@function
_ZN7rocprim17ROCPRIM_400000_NS6detail17trampoline_kernelINS0_14default_configENS1_20scan_config_selectorIfEEZZNS1_9scan_implILNS1_25lookback_scan_determinismE0ELb1ELb1ES3_N6thrust23THRUST_200600_302600_NS6detail15normal_iteratorINS9_10device_ptrIfEEEESE_f11max_functorIfEfEEDaPvRmT3_T4_T5_mT6_P12ihipStream_tbENKUlT_T0_E_clISt17integral_constantIbLb1EEST_IbLb0EEEEDaSP_SQ_EUlSP_E0_NS1_11comp_targetILNS1_3genE3ELNS1_11target_archE908ELNS1_3gpuE7ELNS1_3repE0EEENS1_30default_config_static_selectorELNS0_4arch9wavefront6targetE1EEEvT1_: ; @_ZN7rocprim17ROCPRIM_400000_NS6detail17trampoline_kernelINS0_14default_configENS1_20scan_config_selectorIfEEZZNS1_9scan_implILNS1_25lookback_scan_determinismE0ELb1ELb1ES3_N6thrust23THRUST_200600_302600_NS6detail15normal_iteratorINS9_10device_ptrIfEEEESE_f11max_functorIfEfEEDaPvRmT3_T4_T5_mT6_P12ihipStream_tbENKUlT_T0_E_clISt17integral_constantIbLb1EEST_IbLb0EEEEDaSP_SQ_EUlSP_E0_NS1_11comp_targetILNS1_3genE3ELNS1_11target_archE908ELNS1_3gpuE7ELNS1_3repE0EEENS1_30default_config_static_selectorELNS0_4arch9wavefront6targetE1EEEvT1_
; %bb.0:
	.section	.rodata,"a",@progbits
	.p2align	6, 0x0
	.amdhsa_kernel _ZN7rocprim17ROCPRIM_400000_NS6detail17trampoline_kernelINS0_14default_configENS1_20scan_config_selectorIfEEZZNS1_9scan_implILNS1_25lookback_scan_determinismE0ELb1ELb1ES3_N6thrust23THRUST_200600_302600_NS6detail15normal_iteratorINS9_10device_ptrIfEEEESE_f11max_functorIfEfEEDaPvRmT3_T4_T5_mT6_P12ihipStream_tbENKUlT_T0_E_clISt17integral_constantIbLb1EEST_IbLb0EEEEDaSP_SQ_EUlSP_E0_NS1_11comp_targetILNS1_3genE3ELNS1_11target_archE908ELNS1_3gpuE7ELNS1_3repE0EEENS1_30default_config_static_selectorELNS0_4arch9wavefront6targetE1EEEvT1_
		.amdhsa_group_segment_fixed_size 0
		.amdhsa_private_segment_fixed_size 0
		.amdhsa_kernarg_size 32
		.amdhsa_user_sgpr_count 6
		.amdhsa_user_sgpr_private_segment_buffer 1
		.amdhsa_user_sgpr_dispatch_ptr 0
		.amdhsa_user_sgpr_queue_ptr 0
		.amdhsa_user_sgpr_kernarg_segment_ptr 1
		.amdhsa_user_sgpr_dispatch_id 0
		.amdhsa_user_sgpr_flat_scratch_init 0
		.amdhsa_user_sgpr_kernarg_preload_length 0
		.amdhsa_user_sgpr_kernarg_preload_offset 0
		.amdhsa_user_sgpr_private_segment_size 0
		.amdhsa_uses_dynamic_stack 0
		.amdhsa_system_sgpr_private_segment_wavefront_offset 0
		.amdhsa_system_sgpr_workgroup_id_x 1
		.amdhsa_system_sgpr_workgroup_id_y 0
		.amdhsa_system_sgpr_workgroup_id_z 0
		.amdhsa_system_sgpr_workgroup_info 0
		.amdhsa_system_vgpr_workitem_id 0
		.amdhsa_next_free_vgpr 1
		.amdhsa_next_free_sgpr 0
		.amdhsa_accum_offset 4
		.amdhsa_reserve_vcc 0
		.amdhsa_reserve_flat_scratch 0
		.amdhsa_float_round_mode_32 0
		.amdhsa_float_round_mode_16_64 0
		.amdhsa_float_denorm_mode_32 3
		.amdhsa_float_denorm_mode_16_64 3
		.amdhsa_dx10_clamp 1
		.amdhsa_ieee_mode 1
		.amdhsa_fp16_overflow 0
		.amdhsa_tg_split 0
		.amdhsa_exception_fp_ieee_invalid_op 0
		.amdhsa_exception_fp_denorm_src 0
		.amdhsa_exception_fp_ieee_div_zero 0
		.amdhsa_exception_fp_ieee_overflow 0
		.amdhsa_exception_fp_ieee_underflow 0
		.amdhsa_exception_fp_ieee_inexact 0
		.amdhsa_exception_int_div_zero 0
	.end_amdhsa_kernel
	.section	.text._ZN7rocprim17ROCPRIM_400000_NS6detail17trampoline_kernelINS0_14default_configENS1_20scan_config_selectorIfEEZZNS1_9scan_implILNS1_25lookback_scan_determinismE0ELb1ELb1ES3_N6thrust23THRUST_200600_302600_NS6detail15normal_iteratorINS9_10device_ptrIfEEEESE_f11max_functorIfEfEEDaPvRmT3_T4_T5_mT6_P12ihipStream_tbENKUlT_T0_E_clISt17integral_constantIbLb1EEST_IbLb0EEEEDaSP_SQ_EUlSP_E0_NS1_11comp_targetILNS1_3genE3ELNS1_11target_archE908ELNS1_3gpuE7ELNS1_3repE0EEENS1_30default_config_static_selectorELNS0_4arch9wavefront6targetE1EEEvT1_,"axG",@progbits,_ZN7rocprim17ROCPRIM_400000_NS6detail17trampoline_kernelINS0_14default_configENS1_20scan_config_selectorIfEEZZNS1_9scan_implILNS1_25lookback_scan_determinismE0ELb1ELb1ES3_N6thrust23THRUST_200600_302600_NS6detail15normal_iteratorINS9_10device_ptrIfEEEESE_f11max_functorIfEfEEDaPvRmT3_T4_T5_mT6_P12ihipStream_tbENKUlT_T0_E_clISt17integral_constantIbLb1EEST_IbLb0EEEEDaSP_SQ_EUlSP_E0_NS1_11comp_targetILNS1_3genE3ELNS1_11target_archE908ELNS1_3gpuE7ELNS1_3repE0EEENS1_30default_config_static_selectorELNS0_4arch9wavefront6targetE1EEEvT1_,comdat
.Lfunc_end2063:
	.size	_ZN7rocprim17ROCPRIM_400000_NS6detail17trampoline_kernelINS0_14default_configENS1_20scan_config_selectorIfEEZZNS1_9scan_implILNS1_25lookback_scan_determinismE0ELb1ELb1ES3_N6thrust23THRUST_200600_302600_NS6detail15normal_iteratorINS9_10device_ptrIfEEEESE_f11max_functorIfEfEEDaPvRmT3_T4_T5_mT6_P12ihipStream_tbENKUlT_T0_E_clISt17integral_constantIbLb1EEST_IbLb0EEEEDaSP_SQ_EUlSP_E0_NS1_11comp_targetILNS1_3genE3ELNS1_11target_archE908ELNS1_3gpuE7ELNS1_3repE0EEENS1_30default_config_static_selectorELNS0_4arch9wavefront6targetE1EEEvT1_, .Lfunc_end2063-_ZN7rocprim17ROCPRIM_400000_NS6detail17trampoline_kernelINS0_14default_configENS1_20scan_config_selectorIfEEZZNS1_9scan_implILNS1_25lookback_scan_determinismE0ELb1ELb1ES3_N6thrust23THRUST_200600_302600_NS6detail15normal_iteratorINS9_10device_ptrIfEEEESE_f11max_functorIfEfEEDaPvRmT3_T4_T5_mT6_P12ihipStream_tbENKUlT_T0_E_clISt17integral_constantIbLb1EEST_IbLb0EEEEDaSP_SQ_EUlSP_E0_NS1_11comp_targetILNS1_3genE3ELNS1_11target_archE908ELNS1_3gpuE7ELNS1_3repE0EEENS1_30default_config_static_selectorELNS0_4arch9wavefront6targetE1EEEvT1_
                                        ; -- End function
	.section	.AMDGPU.csdata,"",@progbits
; Kernel info:
; codeLenInByte = 0
; NumSgprs: 4
; NumVgprs: 0
; NumAgprs: 0
; TotalNumVgprs: 0
; ScratchSize: 0
; MemoryBound: 0
; FloatMode: 240
; IeeeMode: 1
; LDSByteSize: 0 bytes/workgroup (compile time only)
; SGPRBlocks: 0
; VGPRBlocks: 0
; NumSGPRsForWavesPerEU: 4
; NumVGPRsForWavesPerEU: 1
; AccumOffset: 4
; Occupancy: 8
; WaveLimiterHint : 0
; COMPUTE_PGM_RSRC2:SCRATCH_EN: 0
; COMPUTE_PGM_RSRC2:USER_SGPR: 6
; COMPUTE_PGM_RSRC2:TRAP_HANDLER: 0
; COMPUTE_PGM_RSRC2:TGID_X_EN: 1
; COMPUTE_PGM_RSRC2:TGID_Y_EN: 0
; COMPUTE_PGM_RSRC2:TGID_Z_EN: 0
; COMPUTE_PGM_RSRC2:TIDIG_COMP_CNT: 0
; COMPUTE_PGM_RSRC3_GFX90A:ACCUM_OFFSET: 0
; COMPUTE_PGM_RSRC3_GFX90A:TG_SPLIT: 0
	.section	.text._ZN7rocprim17ROCPRIM_400000_NS6detail17trampoline_kernelINS0_14default_configENS1_20scan_config_selectorIfEEZZNS1_9scan_implILNS1_25lookback_scan_determinismE0ELb1ELb1ES3_N6thrust23THRUST_200600_302600_NS6detail15normal_iteratorINS9_10device_ptrIfEEEESE_f11max_functorIfEfEEDaPvRmT3_T4_T5_mT6_P12ihipStream_tbENKUlT_T0_E_clISt17integral_constantIbLb1EEST_IbLb0EEEEDaSP_SQ_EUlSP_E0_NS1_11comp_targetILNS1_3genE2ELNS1_11target_archE906ELNS1_3gpuE6ELNS1_3repE0EEENS1_30default_config_static_selectorELNS0_4arch9wavefront6targetE1EEEvT1_,"axG",@progbits,_ZN7rocprim17ROCPRIM_400000_NS6detail17trampoline_kernelINS0_14default_configENS1_20scan_config_selectorIfEEZZNS1_9scan_implILNS1_25lookback_scan_determinismE0ELb1ELb1ES3_N6thrust23THRUST_200600_302600_NS6detail15normal_iteratorINS9_10device_ptrIfEEEESE_f11max_functorIfEfEEDaPvRmT3_T4_T5_mT6_P12ihipStream_tbENKUlT_T0_E_clISt17integral_constantIbLb1EEST_IbLb0EEEEDaSP_SQ_EUlSP_E0_NS1_11comp_targetILNS1_3genE2ELNS1_11target_archE906ELNS1_3gpuE6ELNS1_3repE0EEENS1_30default_config_static_selectorELNS0_4arch9wavefront6targetE1EEEvT1_,comdat
	.protected	_ZN7rocprim17ROCPRIM_400000_NS6detail17trampoline_kernelINS0_14default_configENS1_20scan_config_selectorIfEEZZNS1_9scan_implILNS1_25lookback_scan_determinismE0ELb1ELb1ES3_N6thrust23THRUST_200600_302600_NS6detail15normal_iteratorINS9_10device_ptrIfEEEESE_f11max_functorIfEfEEDaPvRmT3_T4_T5_mT6_P12ihipStream_tbENKUlT_T0_E_clISt17integral_constantIbLb1EEST_IbLb0EEEEDaSP_SQ_EUlSP_E0_NS1_11comp_targetILNS1_3genE2ELNS1_11target_archE906ELNS1_3gpuE6ELNS1_3repE0EEENS1_30default_config_static_selectorELNS0_4arch9wavefront6targetE1EEEvT1_ ; -- Begin function _ZN7rocprim17ROCPRIM_400000_NS6detail17trampoline_kernelINS0_14default_configENS1_20scan_config_selectorIfEEZZNS1_9scan_implILNS1_25lookback_scan_determinismE0ELb1ELb1ES3_N6thrust23THRUST_200600_302600_NS6detail15normal_iteratorINS9_10device_ptrIfEEEESE_f11max_functorIfEfEEDaPvRmT3_T4_T5_mT6_P12ihipStream_tbENKUlT_T0_E_clISt17integral_constantIbLb1EEST_IbLb0EEEEDaSP_SQ_EUlSP_E0_NS1_11comp_targetILNS1_3genE2ELNS1_11target_archE906ELNS1_3gpuE6ELNS1_3repE0EEENS1_30default_config_static_selectorELNS0_4arch9wavefront6targetE1EEEvT1_
	.globl	_ZN7rocprim17ROCPRIM_400000_NS6detail17trampoline_kernelINS0_14default_configENS1_20scan_config_selectorIfEEZZNS1_9scan_implILNS1_25lookback_scan_determinismE0ELb1ELb1ES3_N6thrust23THRUST_200600_302600_NS6detail15normal_iteratorINS9_10device_ptrIfEEEESE_f11max_functorIfEfEEDaPvRmT3_T4_T5_mT6_P12ihipStream_tbENKUlT_T0_E_clISt17integral_constantIbLb1EEST_IbLb0EEEEDaSP_SQ_EUlSP_E0_NS1_11comp_targetILNS1_3genE2ELNS1_11target_archE906ELNS1_3gpuE6ELNS1_3repE0EEENS1_30default_config_static_selectorELNS0_4arch9wavefront6targetE1EEEvT1_
	.p2align	8
	.type	_ZN7rocprim17ROCPRIM_400000_NS6detail17trampoline_kernelINS0_14default_configENS1_20scan_config_selectorIfEEZZNS1_9scan_implILNS1_25lookback_scan_determinismE0ELb1ELb1ES3_N6thrust23THRUST_200600_302600_NS6detail15normal_iteratorINS9_10device_ptrIfEEEESE_f11max_functorIfEfEEDaPvRmT3_T4_T5_mT6_P12ihipStream_tbENKUlT_T0_E_clISt17integral_constantIbLb1EEST_IbLb0EEEEDaSP_SQ_EUlSP_E0_NS1_11comp_targetILNS1_3genE2ELNS1_11target_archE906ELNS1_3gpuE6ELNS1_3repE0EEENS1_30default_config_static_selectorELNS0_4arch9wavefront6targetE1EEEvT1_,@function
_ZN7rocprim17ROCPRIM_400000_NS6detail17trampoline_kernelINS0_14default_configENS1_20scan_config_selectorIfEEZZNS1_9scan_implILNS1_25lookback_scan_determinismE0ELb1ELb1ES3_N6thrust23THRUST_200600_302600_NS6detail15normal_iteratorINS9_10device_ptrIfEEEESE_f11max_functorIfEfEEDaPvRmT3_T4_T5_mT6_P12ihipStream_tbENKUlT_T0_E_clISt17integral_constantIbLb1EEST_IbLb0EEEEDaSP_SQ_EUlSP_E0_NS1_11comp_targetILNS1_3genE2ELNS1_11target_archE906ELNS1_3gpuE6ELNS1_3repE0EEENS1_30default_config_static_selectorELNS0_4arch9wavefront6targetE1EEEvT1_: ; @_ZN7rocprim17ROCPRIM_400000_NS6detail17trampoline_kernelINS0_14default_configENS1_20scan_config_selectorIfEEZZNS1_9scan_implILNS1_25lookback_scan_determinismE0ELb1ELb1ES3_N6thrust23THRUST_200600_302600_NS6detail15normal_iteratorINS9_10device_ptrIfEEEESE_f11max_functorIfEfEEDaPvRmT3_T4_T5_mT6_P12ihipStream_tbENKUlT_T0_E_clISt17integral_constantIbLb1EEST_IbLb0EEEEDaSP_SQ_EUlSP_E0_NS1_11comp_targetILNS1_3genE2ELNS1_11target_archE906ELNS1_3gpuE6ELNS1_3repE0EEENS1_30default_config_static_selectorELNS0_4arch9wavefront6targetE1EEEvT1_
; %bb.0:
	.section	.rodata,"a",@progbits
	.p2align	6, 0x0
	.amdhsa_kernel _ZN7rocprim17ROCPRIM_400000_NS6detail17trampoline_kernelINS0_14default_configENS1_20scan_config_selectorIfEEZZNS1_9scan_implILNS1_25lookback_scan_determinismE0ELb1ELb1ES3_N6thrust23THRUST_200600_302600_NS6detail15normal_iteratorINS9_10device_ptrIfEEEESE_f11max_functorIfEfEEDaPvRmT3_T4_T5_mT6_P12ihipStream_tbENKUlT_T0_E_clISt17integral_constantIbLb1EEST_IbLb0EEEEDaSP_SQ_EUlSP_E0_NS1_11comp_targetILNS1_3genE2ELNS1_11target_archE906ELNS1_3gpuE6ELNS1_3repE0EEENS1_30default_config_static_selectorELNS0_4arch9wavefront6targetE1EEEvT1_
		.amdhsa_group_segment_fixed_size 0
		.amdhsa_private_segment_fixed_size 0
		.amdhsa_kernarg_size 32
		.amdhsa_user_sgpr_count 6
		.amdhsa_user_sgpr_private_segment_buffer 1
		.amdhsa_user_sgpr_dispatch_ptr 0
		.amdhsa_user_sgpr_queue_ptr 0
		.amdhsa_user_sgpr_kernarg_segment_ptr 1
		.amdhsa_user_sgpr_dispatch_id 0
		.amdhsa_user_sgpr_flat_scratch_init 0
		.amdhsa_user_sgpr_kernarg_preload_length 0
		.amdhsa_user_sgpr_kernarg_preload_offset 0
		.amdhsa_user_sgpr_private_segment_size 0
		.amdhsa_uses_dynamic_stack 0
		.amdhsa_system_sgpr_private_segment_wavefront_offset 0
		.amdhsa_system_sgpr_workgroup_id_x 1
		.amdhsa_system_sgpr_workgroup_id_y 0
		.amdhsa_system_sgpr_workgroup_id_z 0
		.amdhsa_system_sgpr_workgroup_info 0
		.amdhsa_system_vgpr_workitem_id 0
		.amdhsa_next_free_vgpr 1
		.amdhsa_next_free_sgpr 0
		.amdhsa_accum_offset 4
		.amdhsa_reserve_vcc 0
		.amdhsa_reserve_flat_scratch 0
		.amdhsa_float_round_mode_32 0
		.amdhsa_float_round_mode_16_64 0
		.amdhsa_float_denorm_mode_32 3
		.amdhsa_float_denorm_mode_16_64 3
		.amdhsa_dx10_clamp 1
		.amdhsa_ieee_mode 1
		.amdhsa_fp16_overflow 0
		.amdhsa_tg_split 0
		.amdhsa_exception_fp_ieee_invalid_op 0
		.amdhsa_exception_fp_denorm_src 0
		.amdhsa_exception_fp_ieee_div_zero 0
		.amdhsa_exception_fp_ieee_overflow 0
		.amdhsa_exception_fp_ieee_underflow 0
		.amdhsa_exception_fp_ieee_inexact 0
		.amdhsa_exception_int_div_zero 0
	.end_amdhsa_kernel
	.section	.text._ZN7rocprim17ROCPRIM_400000_NS6detail17trampoline_kernelINS0_14default_configENS1_20scan_config_selectorIfEEZZNS1_9scan_implILNS1_25lookback_scan_determinismE0ELb1ELb1ES3_N6thrust23THRUST_200600_302600_NS6detail15normal_iteratorINS9_10device_ptrIfEEEESE_f11max_functorIfEfEEDaPvRmT3_T4_T5_mT6_P12ihipStream_tbENKUlT_T0_E_clISt17integral_constantIbLb1EEST_IbLb0EEEEDaSP_SQ_EUlSP_E0_NS1_11comp_targetILNS1_3genE2ELNS1_11target_archE906ELNS1_3gpuE6ELNS1_3repE0EEENS1_30default_config_static_selectorELNS0_4arch9wavefront6targetE1EEEvT1_,"axG",@progbits,_ZN7rocprim17ROCPRIM_400000_NS6detail17trampoline_kernelINS0_14default_configENS1_20scan_config_selectorIfEEZZNS1_9scan_implILNS1_25lookback_scan_determinismE0ELb1ELb1ES3_N6thrust23THRUST_200600_302600_NS6detail15normal_iteratorINS9_10device_ptrIfEEEESE_f11max_functorIfEfEEDaPvRmT3_T4_T5_mT6_P12ihipStream_tbENKUlT_T0_E_clISt17integral_constantIbLb1EEST_IbLb0EEEEDaSP_SQ_EUlSP_E0_NS1_11comp_targetILNS1_3genE2ELNS1_11target_archE906ELNS1_3gpuE6ELNS1_3repE0EEENS1_30default_config_static_selectorELNS0_4arch9wavefront6targetE1EEEvT1_,comdat
.Lfunc_end2064:
	.size	_ZN7rocprim17ROCPRIM_400000_NS6detail17trampoline_kernelINS0_14default_configENS1_20scan_config_selectorIfEEZZNS1_9scan_implILNS1_25lookback_scan_determinismE0ELb1ELb1ES3_N6thrust23THRUST_200600_302600_NS6detail15normal_iteratorINS9_10device_ptrIfEEEESE_f11max_functorIfEfEEDaPvRmT3_T4_T5_mT6_P12ihipStream_tbENKUlT_T0_E_clISt17integral_constantIbLb1EEST_IbLb0EEEEDaSP_SQ_EUlSP_E0_NS1_11comp_targetILNS1_3genE2ELNS1_11target_archE906ELNS1_3gpuE6ELNS1_3repE0EEENS1_30default_config_static_selectorELNS0_4arch9wavefront6targetE1EEEvT1_, .Lfunc_end2064-_ZN7rocprim17ROCPRIM_400000_NS6detail17trampoline_kernelINS0_14default_configENS1_20scan_config_selectorIfEEZZNS1_9scan_implILNS1_25lookback_scan_determinismE0ELb1ELb1ES3_N6thrust23THRUST_200600_302600_NS6detail15normal_iteratorINS9_10device_ptrIfEEEESE_f11max_functorIfEfEEDaPvRmT3_T4_T5_mT6_P12ihipStream_tbENKUlT_T0_E_clISt17integral_constantIbLb1EEST_IbLb0EEEEDaSP_SQ_EUlSP_E0_NS1_11comp_targetILNS1_3genE2ELNS1_11target_archE906ELNS1_3gpuE6ELNS1_3repE0EEENS1_30default_config_static_selectorELNS0_4arch9wavefront6targetE1EEEvT1_
                                        ; -- End function
	.section	.AMDGPU.csdata,"",@progbits
; Kernel info:
; codeLenInByte = 0
; NumSgprs: 4
; NumVgprs: 0
; NumAgprs: 0
; TotalNumVgprs: 0
; ScratchSize: 0
; MemoryBound: 0
; FloatMode: 240
; IeeeMode: 1
; LDSByteSize: 0 bytes/workgroup (compile time only)
; SGPRBlocks: 0
; VGPRBlocks: 0
; NumSGPRsForWavesPerEU: 4
; NumVGPRsForWavesPerEU: 1
; AccumOffset: 4
; Occupancy: 8
; WaveLimiterHint : 0
; COMPUTE_PGM_RSRC2:SCRATCH_EN: 0
; COMPUTE_PGM_RSRC2:USER_SGPR: 6
; COMPUTE_PGM_RSRC2:TRAP_HANDLER: 0
; COMPUTE_PGM_RSRC2:TGID_X_EN: 1
; COMPUTE_PGM_RSRC2:TGID_Y_EN: 0
; COMPUTE_PGM_RSRC2:TGID_Z_EN: 0
; COMPUTE_PGM_RSRC2:TIDIG_COMP_CNT: 0
; COMPUTE_PGM_RSRC3_GFX90A:ACCUM_OFFSET: 0
; COMPUTE_PGM_RSRC3_GFX90A:TG_SPLIT: 0
	.section	.text._ZN7rocprim17ROCPRIM_400000_NS6detail17trampoline_kernelINS0_14default_configENS1_20scan_config_selectorIfEEZZNS1_9scan_implILNS1_25lookback_scan_determinismE0ELb1ELb1ES3_N6thrust23THRUST_200600_302600_NS6detail15normal_iteratorINS9_10device_ptrIfEEEESE_f11max_functorIfEfEEDaPvRmT3_T4_T5_mT6_P12ihipStream_tbENKUlT_T0_E_clISt17integral_constantIbLb1EEST_IbLb0EEEEDaSP_SQ_EUlSP_E0_NS1_11comp_targetILNS1_3genE10ELNS1_11target_archE1201ELNS1_3gpuE5ELNS1_3repE0EEENS1_30default_config_static_selectorELNS0_4arch9wavefront6targetE1EEEvT1_,"axG",@progbits,_ZN7rocprim17ROCPRIM_400000_NS6detail17trampoline_kernelINS0_14default_configENS1_20scan_config_selectorIfEEZZNS1_9scan_implILNS1_25lookback_scan_determinismE0ELb1ELb1ES3_N6thrust23THRUST_200600_302600_NS6detail15normal_iteratorINS9_10device_ptrIfEEEESE_f11max_functorIfEfEEDaPvRmT3_T4_T5_mT6_P12ihipStream_tbENKUlT_T0_E_clISt17integral_constantIbLb1EEST_IbLb0EEEEDaSP_SQ_EUlSP_E0_NS1_11comp_targetILNS1_3genE10ELNS1_11target_archE1201ELNS1_3gpuE5ELNS1_3repE0EEENS1_30default_config_static_selectorELNS0_4arch9wavefront6targetE1EEEvT1_,comdat
	.protected	_ZN7rocprim17ROCPRIM_400000_NS6detail17trampoline_kernelINS0_14default_configENS1_20scan_config_selectorIfEEZZNS1_9scan_implILNS1_25lookback_scan_determinismE0ELb1ELb1ES3_N6thrust23THRUST_200600_302600_NS6detail15normal_iteratorINS9_10device_ptrIfEEEESE_f11max_functorIfEfEEDaPvRmT3_T4_T5_mT6_P12ihipStream_tbENKUlT_T0_E_clISt17integral_constantIbLb1EEST_IbLb0EEEEDaSP_SQ_EUlSP_E0_NS1_11comp_targetILNS1_3genE10ELNS1_11target_archE1201ELNS1_3gpuE5ELNS1_3repE0EEENS1_30default_config_static_selectorELNS0_4arch9wavefront6targetE1EEEvT1_ ; -- Begin function _ZN7rocprim17ROCPRIM_400000_NS6detail17trampoline_kernelINS0_14default_configENS1_20scan_config_selectorIfEEZZNS1_9scan_implILNS1_25lookback_scan_determinismE0ELb1ELb1ES3_N6thrust23THRUST_200600_302600_NS6detail15normal_iteratorINS9_10device_ptrIfEEEESE_f11max_functorIfEfEEDaPvRmT3_T4_T5_mT6_P12ihipStream_tbENKUlT_T0_E_clISt17integral_constantIbLb1EEST_IbLb0EEEEDaSP_SQ_EUlSP_E0_NS1_11comp_targetILNS1_3genE10ELNS1_11target_archE1201ELNS1_3gpuE5ELNS1_3repE0EEENS1_30default_config_static_selectorELNS0_4arch9wavefront6targetE1EEEvT1_
	.globl	_ZN7rocprim17ROCPRIM_400000_NS6detail17trampoline_kernelINS0_14default_configENS1_20scan_config_selectorIfEEZZNS1_9scan_implILNS1_25lookback_scan_determinismE0ELb1ELb1ES3_N6thrust23THRUST_200600_302600_NS6detail15normal_iteratorINS9_10device_ptrIfEEEESE_f11max_functorIfEfEEDaPvRmT3_T4_T5_mT6_P12ihipStream_tbENKUlT_T0_E_clISt17integral_constantIbLb1EEST_IbLb0EEEEDaSP_SQ_EUlSP_E0_NS1_11comp_targetILNS1_3genE10ELNS1_11target_archE1201ELNS1_3gpuE5ELNS1_3repE0EEENS1_30default_config_static_selectorELNS0_4arch9wavefront6targetE1EEEvT1_
	.p2align	8
	.type	_ZN7rocprim17ROCPRIM_400000_NS6detail17trampoline_kernelINS0_14default_configENS1_20scan_config_selectorIfEEZZNS1_9scan_implILNS1_25lookback_scan_determinismE0ELb1ELb1ES3_N6thrust23THRUST_200600_302600_NS6detail15normal_iteratorINS9_10device_ptrIfEEEESE_f11max_functorIfEfEEDaPvRmT3_T4_T5_mT6_P12ihipStream_tbENKUlT_T0_E_clISt17integral_constantIbLb1EEST_IbLb0EEEEDaSP_SQ_EUlSP_E0_NS1_11comp_targetILNS1_3genE10ELNS1_11target_archE1201ELNS1_3gpuE5ELNS1_3repE0EEENS1_30default_config_static_selectorELNS0_4arch9wavefront6targetE1EEEvT1_,@function
_ZN7rocprim17ROCPRIM_400000_NS6detail17trampoline_kernelINS0_14default_configENS1_20scan_config_selectorIfEEZZNS1_9scan_implILNS1_25lookback_scan_determinismE0ELb1ELb1ES3_N6thrust23THRUST_200600_302600_NS6detail15normal_iteratorINS9_10device_ptrIfEEEESE_f11max_functorIfEfEEDaPvRmT3_T4_T5_mT6_P12ihipStream_tbENKUlT_T0_E_clISt17integral_constantIbLb1EEST_IbLb0EEEEDaSP_SQ_EUlSP_E0_NS1_11comp_targetILNS1_3genE10ELNS1_11target_archE1201ELNS1_3gpuE5ELNS1_3repE0EEENS1_30default_config_static_selectorELNS0_4arch9wavefront6targetE1EEEvT1_: ; @_ZN7rocprim17ROCPRIM_400000_NS6detail17trampoline_kernelINS0_14default_configENS1_20scan_config_selectorIfEEZZNS1_9scan_implILNS1_25lookback_scan_determinismE0ELb1ELb1ES3_N6thrust23THRUST_200600_302600_NS6detail15normal_iteratorINS9_10device_ptrIfEEEESE_f11max_functorIfEfEEDaPvRmT3_T4_T5_mT6_P12ihipStream_tbENKUlT_T0_E_clISt17integral_constantIbLb1EEST_IbLb0EEEEDaSP_SQ_EUlSP_E0_NS1_11comp_targetILNS1_3genE10ELNS1_11target_archE1201ELNS1_3gpuE5ELNS1_3repE0EEENS1_30default_config_static_selectorELNS0_4arch9wavefront6targetE1EEEvT1_
; %bb.0:
	.section	.rodata,"a",@progbits
	.p2align	6, 0x0
	.amdhsa_kernel _ZN7rocprim17ROCPRIM_400000_NS6detail17trampoline_kernelINS0_14default_configENS1_20scan_config_selectorIfEEZZNS1_9scan_implILNS1_25lookback_scan_determinismE0ELb1ELb1ES3_N6thrust23THRUST_200600_302600_NS6detail15normal_iteratorINS9_10device_ptrIfEEEESE_f11max_functorIfEfEEDaPvRmT3_T4_T5_mT6_P12ihipStream_tbENKUlT_T0_E_clISt17integral_constantIbLb1EEST_IbLb0EEEEDaSP_SQ_EUlSP_E0_NS1_11comp_targetILNS1_3genE10ELNS1_11target_archE1201ELNS1_3gpuE5ELNS1_3repE0EEENS1_30default_config_static_selectorELNS0_4arch9wavefront6targetE1EEEvT1_
		.amdhsa_group_segment_fixed_size 0
		.amdhsa_private_segment_fixed_size 0
		.amdhsa_kernarg_size 32
		.amdhsa_user_sgpr_count 6
		.amdhsa_user_sgpr_private_segment_buffer 1
		.amdhsa_user_sgpr_dispatch_ptr 0
		.amdhsa_user_sgpr_queue_ptr 0
		.amdhsa_user_sgpr_kernarg_segment_ptr 1
		.amdhsa_user_sgpr_dispatch_id 0
		.amdhsa_user_sgpr_flat_scratch_init 0
		.amdhsa_user_sgpr_kernarg_preload_length 0
		.amdhsa_user_sgpr_kernarg_preload_offset 0
		.amdhsa_user_sgpr_private_segment_size 0
		.amdhsa_uses_dynamic_stack 0
		.amdhsa_system_sgpr_private_segment_wavefront_offset 0
		.amdhsa_system_sgpr_workgroup_id_x 1
		.amdhsa_system_sgpr_workgroup_id_y 0
		.amdhsa_system_sgpr_workgroup_id_z 0
		.amdhsa_system_sgpr_workgroup_info 0
		.amdhsa_system_vgpr_workitem_id 0
		.amdhsa_next_free_vgpr 1
		.amdhsa_next_free_sgpr 0
		.amdhsa_accum_offset 4
		.amdhsa_reserve_vcc 0
		.amdhsa_reserve_flat_scratch 0
		.amdhsa_float_round_mode_32 0
		.amdhsa_float_round_mode_16_64 0
		.amdhsa_float_denorm_mode_32 3
		.amdhsa_float_denorm_mode_16_64 3
		.amdhsa_dx10_clamp 1
		.amdhsa_ieee_mode 1
		.amdhsa_fp16_overflow 0
		.amdhsa_tg_split 0
		.amdhsa_exception_fp_ieee_invalid_op 0
		.amdhsa_exception_fp_denorm_src 0
		.amdhsa_exception_fp_ieee_div_zero 0
		.amdhsa_exception_fp_ieee_overflow 0
		.amdhsa_exception_fp_ieee_underflow 0
		.amdhsa_exception_fp_ieee_inexact 0
		.amdhsa_exception_int_div_zero 0
	.end_amdhsa_kernel
	.section	.text._ZN7rocprim17ROCPRIM_400000_NS6detail17trampoline_kernelINS0_14default_configENS1_20scan_config_selectorIfEEZZNS1_9scan_implILNS1_25lookback_scan_determinismE0ELb1ELb1ES3_N6thrust23THRUST_200600_302600_NS6detail15normal_iteratorINS9_10device_ptrIfEEEESE_f11max_functorIfEfEEDaPvRmT3_T4_T5_mT6_P12ihipStream_tbENKUlT_T0_E_clISt17integral_constantIbLb1EEST_IbLb0EEEEDaSP_SQ_EUlSP_E0_NS1_11comp_targetILNS1_3genE10ELNS1_11target_archE1201ELNS1_3gpuE5ELNS1_3repE0EEENS1_30default_config_static_selectorELNS0_4arch9wavefront6targetE1EEEvT1_,"axG",@progbits,_ZN7rocprim17ROCPRIM_400000_NS6detail17trampoline_kernelINS0_14default_configENS1_20scan_config_selectorIfEEZZNS1_9scan_implILNS1_25lookback_scan_determinismE0ELb1ELb1ES3_N6thrust23THRUST_200600_302600_NS6detail15normal_iteratorINS9_10device_ptrIfEEEESE_f11max_functorIfEfEEDaPvRmT3_T4_T5_mT6_P12ihipStream_tbENKUlT_T0_E_clISt17integral_constantIbLb1EEST_IbLb0EEEEDaSP_SQ_EUlSP_E0_NS1_11comp_targetILNS1_3genE10ELNS1_11target_archE1201ELNS1_3gpuE5ELNS1_3repE0EEENS1_30default_config_static_selectorELNS0_4arch9wavefront6targetE1EEEvT1_,comdat
.Lfunc_end2065:
	.size	_ZN7rocprim17ROCPRIM_400000_NS6detail17trampoline_kernelINS0_14default_configENS1_20scan_config_selectorIfEEZZNS1_9scan_implILNS1_25lookback_scan_determinismE0ELb1ELb1ES3_N6thrust23THRUST_200600_302600_NS6detail15normal_iteratorINS9_10device_ptrIfEEEESE_f11max_functorIfEfEEDaPvRmT3_T4_T5_mT6_P12ihipStream_tbENKUlT_T0_E_clISt17integral_constantIbLb1EEST_IbLb0EEEEDaSP_SQ_EUlSP_E0_NS1_11comp_targetILNS1_3genE10ELNS1_11target_archE1201ELNS1_3gpuE5ELNS1_3repE0EEENS1_30default_config_static_selectorELNS0_4arch9wavefront6targetE1EEEvT1_, .Lfunc_end2065-_ZN7rocprim17ROCPRIM_400000_NS6detail17trampoline_kernelINS0_14default_configENS1_20scan_config_selectorIfEEZZNS1_9scan_implILNS1_25lookback_scan_determinismE0ELb1ELb1ES3_N6thrust23THRUST_200600_302600_NS6detail15normal_iteratorINS9_10device_ptrIfEEEESE_f11max_functorIfEfEEDaPvRmT3_T4_T5_mT6_P12ihipStream_tbENKUlT_T0_E_clISt17integral_constantIbLb1EEST_IbLb0EEEEDaSP_SQ_EUlSP_E0_NS1_11comp_targetILNS1_3genE10ELNS1_11target_archE1201ELNS1_3gpuE5ELNS1_3repE0EEENS1_30default_config_static_selectorELNS0_4arch9wavefront6targetE1EEEvT1_
                                        ; -- End function
	.section	.AMDGPU.csdata,"",@progbits
; Kernel info:
; codeLenInByte = 0
; NumSgprs: 4
; NumVgprs: 0
; NumAgprs: 0
; TotalNumVgprs: 0
; ScratchSize: 0
; MemoryBound: 0
; FloatMode: 240
; IeeeMode: 1
; LDSByteSize: 0 bytes/workgroup (compile time only)
; SGPRBlocks: 0
; VGPRBlocks: 0
; NumSGPRsForWavesPerEU: 4
; NumVGPRsForWavesPerEU: 1
; AccumOffset: 4
; Occupancy: 8
; WaveLimiterHint : 0
; COMPUTE_PGM_RSRC2:SCRATCH_EN: 0
; COMPUTE_PGM_RSRC2:USER_SGPR: 6
; COMPUTE_PGM_RSRC2:TRAP_HANDLER: 0
; COMPUTE_PGM_RSRC2:TGID_X_EN: 1
; COMPUTE_PGM_RSRC2:TGID_Y_EN: 0
; COMPUTE_PGM_RSRC2:TGID_Z_EN: 0
; COMPUTE_PGM_RSRC2:TIDIG_COMP_CNT: 0
; COMPUTE_PGM_RSRC3_GFX90A:ACCUM_OFFSET: 0
; COMPUTE_PGM_RSRC3_GFX90A:TG_SPLIT: 0
	.section	.text._ZN7rocprim17ROCPRIM_400000_NS6detail17trampoline_kernelINS0_14default_configENS1_20scan_config_selectorIfEEZZNS1_9scan_implILNS1_25lookback_scan_determinismE0ELb1ELb1ES3_N6thrust23THRUST_200600_302600_NS6detail15normal_iteratorINS9_10device_ptrIfEEEESE_f11max_functorIfEfEEDaPvRmT3_T4_T5_mT6_P12ihipStream_tbENKUlT_T0_E_clISt17integral_constantIbLb1EEST_IbLb0EEEEDaSP_SQ_EUlSP_E0_NS1_11comp_targetILNS1_3genE10ELNS1_11target_archE1200ELNS1_3gpuE4ELNS1_3repE0EEENS1_30default_config_static_selectorELNS0_4arch9wavefront6targetE1EEEvT1_,"axG",@progbits,_ZN7rocprim17ROCPRIM_400000_NS6detail17trampoline_kernelINS0_14default_configENS1_20scan_config_selectorIfEEZZNS1_9scan_implILNS1_25lookback_scan_determinismE0ELb1ELb1ES3_N6thrust23THRUST_200600_302600_NS6detail15normal_iteratorINS9_10device_ptrIfEEEESE_f11max_functorIfEfEEDaPvRmT3_T4_T5_mT6_P12ihipStream_tbENKUlT_T0_E_clISt17integral_constantIbLb1EEST_IbLb0EEEEDaSP_SQ_EUlSP_E0_NS1_11comp_targetILNS1_3genE10ELNS1_11target_archE1200ELNS1_3gpuE4ELNS1_3repE0EEENS1_30default_config_static_selectorELNS0_4arch9wavefront6targetE1EEEvT1_,comdat
	.protected	_ZN7rocprim17ROCPRIM_400000_NS6detail17trampoline_kernelINS0_14default_configENS1_20scan_config_selectorIfEEZZNS1_9scan_implILNS1_25lookback_scan_determinismE0ELb1ELb1ES3_N6thrust23THRUST_200600_302600_NS6detail15normal_iteratorINS9_10device_ptrIfEEEESE_f11max_functorIfEfEEDaPvRmT3_T4_T5_mT6_P12ihipStream_tbENKUlT_T0_E_clISt17integral_constantIbLb1EEST_IbLb0EEEEDaSP_SQ_EUlSP_E0_NS1_11comp_targetILNS1_3genE10ELNS1_11target_archE1200ELNS1_3gpuE4ELNS1_3repE0EEENS1_30default_config_static_selectorELNS0_4arch9wavefront6targetE1EEEvT1_ ; -- Begin function _ZN7rocprim17ROCPRIM_400000_NS6detail17trampoline_kernelINS0_14default_configENS1_20scan_config_selectorIfEEZZNS1_9scan_implILNS1_25lookback_scan_determinismE0ELb1ELb1ES3_N6thrust23THRUST_200600_302600_NS6detail15normal_iteratorINS9_10device_ptrIfEEEESE_f11max_functorIfEfEEDaPvRmT3_T4_T5_mT6_P12ihipStream_tbENKUlT_T0_E_clISt17integral_constantIbLb1EEST_IbLb0EEEEDaSP_SQ_EUlSP_E0_NS1_11comp_targetILNS1_3genE10ELNS1_11target_archE1200ELNS1_3gpuE4ELNS1_3repE0EEENS1_30default_config_static_selectorELNS0_4arch9wavefront6targetE1EEEvT1_
	.globl	_ZN7rocprim17ROCPRIM_400000_NS6detail17trampoline_kernelINS0_14default_configENS1_20scan_config_selectorIfEEZZNS1_9scan_implILNS1_25lookback_scan_determinismE0ELb1ELb1ES3_N6thrust23THRUST_200600_302600_NS6detail15normal_iteratorINS9_10device_ptrIfEEEESE_f11max_functorIfEfEEDaPvRmT3_T4_T5_mT6_P12ihipStream_tbENKUlT_T0_E_clISt17integral_constantIbLb1EEST_IbLb0EEEEDaSP_SQ_EUlSP_E0_NS1_11comp_targetILNS1_3genE10ELNS1_11target_archE1200ELNS1_3gpuE4ELNS1_3repE0EEENS1_30default_config_static_selectorELNS0_4arch9wavefront6targetE1EEEvT1_
	.p2align	8
	.type	_ZN7rocprim17ROCPRIM_400000_NS6detail17trampoline_kernelINS0_14default_configENS1_20scan_config_selectorIfEEZZNS1_9scan_implILNS1_25lookback_scan_determinismE0ELb1ELb1ES3_N6thrust23THRUST_200600_302600_NS6detail15normal_iteratorINS9_10device_ptrIfEEEESE_f11max_functorIfEfEEDaPvRmT3_T4_T5_mT6_P12ihipStream_tbENKUlT_T0_E_clISt17integral_constantIbLb1EEST_IbLb0EEEEDaSP_SQ_EUlSP_E0_NS1_11comp_targetILNS1_3genE10ELNS1_11target_archE1200ELNS1_3gpuE4ELNS1_3repE0EEENS1_30default_config_static_selectorELNS0_4arch9wavefront6targetE1EEEvT1_,@function
_ZN7rocprim17ROCPRIM_400000_NS6detail17trampoline_kernelINS0_14default_configENS1_20scan_config_selectorIfEEZZNS1_9scan_implILNS1_25lookback_scan_determinismE0ELb1ELb1ES3_N6thrust23THRUST_200600_302600_NS6detail15normal_iteratorINS9_10device_ptrIfEEEESE_f11max_functorIfEfEEDaPvRmT3_T4_T5_mT6_P12ihipStream_tbENKUlT_T0_E_clISt17integral_constantIbLb1EEST_IbLb0EEEEDaSP_SQ_EUlSP_E0_NS1_11comp_targetILNS1_3genE10ELNS1_11target_archE1200ELNS1_3gpuE4ELNS1_3repE0EEENS1_30default_config_static_selectorELNS0_4arch9wavefront6targetE1EEEvT1_: ; @_ZN7rocprim17ROCPRIM_400000_NS6detail17trampoline_kernelINS0_14default_configENS1_20scan_config_selectorIfEEZZNS1_9scan_implILNS1_25lookback_scan_determinismE0ELb1ELb1ES3_N6thrust23THRUST_200600_302600_NS6detail15normal_iteratorINS9_10device_ptrIfEEEESE_f11max_functorIfEfEEDaPvRmT3_T4_T5_mT6_P12ihipStream_tbENKUlT_T0_E_clISt17integral_constantIbLb1EEST_IbLb0EEEEDaSP_SQ_EUlSP_E0_NS1_11comp_targetILNS1_3genE10ELNS1_11target_archE1200ELNS1_3gpuE4ELNS1_3repE0EEENS1_30default_config_static_selectorELNS0_4arch9wavefront6targetE1EEEvT1_
; %bb.0:
	.section	.rodata,"a",@progbits
	.p2align	6, 0x0
	.amdhsa_kernel _ZN7rocprim17ROCPRIM_400000_NS6detail17trampoline_kernelINS0_14default_configENS1_20scan_config_selectorIfEEZZNS1_9scan_implILNS1_25lookback_scan_determinismE0ELb1ELb1ES3_N6thrust23THRUST_200600_302600_NS6detail15normal_iteratorINS9_10device_ptrIfEEEESE_f11max_functorIfEfEEDaPvRmT3_T4_T5_mT6_P12ihipStream_tbENKUlT_T0_E_clISt17integral_constantIbLb1EEST_IbLb0EEEEDaSP_SQ_EUlSP_E0_NS1_11comp_targetILNS1_3genE10ELNS1_11target_archE1200ELNS1_3gpuE4ELNS1_3repE0EEENS1_30default_config_static_selectorELNS0_4arch9wavefront6targetE1EEEvT1_
		.amdhsa_group_segment_fixed_size 0
		.amdhsa_private_segment_fixed_size 0
		.amdhsa_kernarg_size 32
		.amdhsa_user_sgpr_count 6
		.amdhsa_user_sgpr_private_segment_buffer 1
		.amdhsa_user_sgpr_dispatch_ptr 0
		.amdhsa_user_sgpr_queue_ptr 0
		.amdhsa_user_sgpr_kernarg_segment_ptr 1
		.amdhsa_user_sgpr_dispatch_id 0
		.amdhsa_user_sgpr_flat_scratch_init 0
		.amdhsa_user_sgpr_kernarg_preload_length 0
		.amdhsa_user_sgpr_kernarg_preload_offset 0
		.amdhsa_user_sgpr_private_segment_size 0
		.amdhsa_uses_dynamic_stack 0
		.amdhsa_system_sgpr_private_segment_wavefront_offset 0
		.amdhsa_system_sgpr_workgroup_id_x 1
		.amdhsa_system_sgpr_workgroup_id_y 0
		.amdhsa_system_sgpr_workgroup_id_z 0
		.amdhsa_system_sgpr_workgroup_info 0
		.amdhsa_system_vgpr_workitem_id 0
		.amdhsa_next_free_vgpr 1
		.amdhsa_next_free_sgpr 0
		.amdhsa_accum_offset 4
		.amdhsa_reserve_vcc 0
		.amdhsa_reserve_flat_scratch 0
		.amdhsa_float_round_mode_32 0
		.amdhsa_float_round_mode_16_64 0
		.amdhsa_float_denorm_mode_32 3
		.amdhsa_float_denorm_mode_16_64 3
		.amdhsa_dx10_clamp 1
		.amdhsa_ieee_mode 1
		.amdhsa_fp16_overflow 0
		.amdhsa_tg_split 0
		.amdhsa_exception_fp_ieee_invalid_op 0
		.amdhsa_exception_fp_denorm_src 0
		.amdhsa_exception_fp_ieee_div_zero 0
		.amdhsa_exception_fp_ieee_overflow 0
		.amdhsa_exception_fp_ieee_underflow 0
		.amdhsa_exception_fp_ieee_inexact 0
		.amdhsa_exception_int_div_zero 0
	.end_amdhsa_kernel
	.section	.text._ZN7rocprim17ROCPRIM_400000_NS6detail17trampoline_kernelINS0_14default_configENS1_20scan_config_selectorIfEEZZNS1_9scan_implILNS1_25lookback_scan_determinismE0ELb1ELb1ES3_N6thrust23THRUST_200600_302600_NS6detail15normal_iteratorINS9_10device_ptrIfEEEESE_f11max_functorIfEfEEDaPvRmT3_T4_T5_mT6_P12ihipStream_tbENKUlT_T0_E_clISt17integral_constantIbLb1EEST_IbLb0EEEEDaSP_SQ_EUlSP_E0_NS1_11comp_targetILNS1_3genE10ELNS1_11target_archE1200ELNS1_3gpuE4ELNS1_3repE0EEENS1_30default_config_static_selectorELNS0_4arch9wavefront6targetE1EEEvT1_,"axG",@progbits,_ZN7rocprim17ROCPRIM_400000_NS6detail17trampoline_kernelINS0_14default_configENS1_20scan_config_selectorIfEEZZNS1_9scan_implILNS1_25lookback_scan_determinismE0ELb1ELb1ES3_N6thrust23THRUST_200600_302600_NS6detail15normal_iteratorINS9_10device_ptrIfEEEESE_f11max_functorIfEfEEDaPvRmT3_T4_T5_mT6_P12ihipStream_tbENKUlT_T0_E_clISt17integral_constantIbLb1EEST_IbLb0EEEEDaSP_SQ_EUlSP_E0_NS1_11comp_targetILNS1_3genE10ELNS1_11target_archE1200ELNS1_3gpuE4ELNS1_3repE0EEENS1_30default_config_static_selectorELNS0_4arch9wavefront6targetE1EEEvT1_,comdat
.Lfunc_end2066:
	.size	_ZN7rocprim17ROCPRIM_400000_NS6detail17trampoline_kernelINS0_14default_configENS1_20scan_config_selectorIfEEZZNS1_9scan_implILNS1_25lookback_scan_determinismE0ELb1ELb1ES3_N6thrust23THRUST_200600_302600_NS6detail15normal_iteratorINS9_10device_ptrIfEEEESE_f11max_functorIfEfEEDaPvRmT3_T4_T5_mT6_P12ihipStream_tbENKUlT_T0_E_clISt17integral_constantIbLb1EEST_IbLb0EEEEDaSP_SQ_EUlSP_E0_NS1_11comp_targetILNS1_3genE10ELNS1_11target_archE1200ELNS1_3gpuE4ELNS1_3repE0EEENS1_30default_config_static_selectorELNS0_4arch9wavefront6targetE1EEEvT1_, .Lfunc_end2066-_ZN7rocprim17ROCPRIM_400000_NS6detail17trampoline_kernelINS0_14default_configENS1_20scan_config_selectorIfEEZZNS1_9scan_implILNS1_25lookback_scan_determinismE0ELb1ELb1ES3_N6thrust23THRUST_200600_302600_NS6detail15normal_iteratorINS9_10device_ptrIfEEEESE_f11max_functorIfEfEEDaPvRmT3_T4_T5_mT6_P12ihipStream_tbENKUlT_T0_E_clISt17integral_constantIbLb1EEST_IbLb0EEEEDaSP_SQ_EUlSP_E0_NS1_11comp_targetILNS1_3genE10ELNS1_11target_archE1200ELNS1_3gpuE4ELNS1_3repE0EEENS1_30default_config_static_selectorELNS0_4arch9wavefront6targetE1EEEvT1_
                                        ; -- End function
	.section	.AMDGPU.csdata,"",@progbits
; Kernel info:
; codeLenInByte = 0
; NumSgprs: 4
; NumVgprs: 0
; NumAgprs: 0
; TotalNumVgprs: 0
; ScratchSize: 0
; MemoryBound: 0
; FloatMode: 240
; IeeeMode: 1
; LDSByteSize: 0 bytes/workgroup (compile time only)
; SGPRBlocks: 0
; VGPRBlocks: 0
; NumSGPRsForWavesPerEU: 4
; NumVGPRsForWavesPerEU: 1
; AccumOffset: 4
; Occupancy: 8
; WaveLimiterHint : 0
; COMPUTE_PGM_RSRC2:SCRATCH_EN: 0
; COMPUTE_PGM_RSRC2:USER_SGPR: 6
; COMPUTE_PGM_RSRC2:TRAP_HANDLER: 0
; COMPUTE_PGM_RSRC2:TGID_X_EN: 1
; COMPUTE_PGM_RSRC2:TGID_Y_EN: 0
; COMPUTE_PGM_RSRC2:TGID_Z_EN: 0
; COMPUTE_PGM_RSRC2:TIDIG_COMP_CNT: 0
; COMPUTE_PGM_RSRC3_GFX90A:ACCUM_OFFSET: 0
; COMPUTE_PGM_RSRC3_GFX90A:TG_SPLIT: 0
	.section	.text._ZN7rocprim17ROCPRIM_400000_NS6detail17trampoline_kernelINS0_14default_configENS1_20scan_config_selectorIfEEZZNS1_9scan_implILNS1_25lookback_scan_determinismE0ELb1ELb1ES3_N6thrust23THRUST_200600_302600_NS6detail15normal_iteratorINS9_10device_ptrIfEEEESE_f11max_functorIfEfEEDaPvRmT3_T4_T5_mT6_P12ihipStream_tbENKUlT_T0_E_clISt17integral_constantIbLb1EEST_IbLb0EEEEDaSP_SQ_EUlSP_E0_NS1_11comp_targetILNS1_3genE9ELNS1_11target_archE1100ELNS1_3gpuE3ELNS1_3repE0EEENS1_30default_config_static_selectorELNS0_4arch9wavefront6targetE1EEEvT1_,"axG",@progbits,_ZN7rocprim17ROCPRIM_400000_NS6detail17trampoline_kernelINS0_14default_configENS1_20scan_config_selectorIfEEZZNS1_9scan_implILNS1_25lookback_scan_determinismE0ELb1ELb1ES3_N6thrust23THRUST_200600_302600_NS6detail15normal_iteratorINS9_10device_ptrIfEEEESE_f11max_functorIfEfEEDaPvRmT3_T4_T5_mT6_P12ihipStream_tbENKUlT_T0_E_clISt17integral_constantIbLb1EEST_IbLb0EEEEDaSP_SQ_EUlSP_E0_NS1_11comp_targetILNS1_3genE9ELNS1_11target_archE1100ELNS1_3gpuE3ELNS1_3repE0EEENS1_30default_config_static_selectorELNS0_4arch9wavefront6targetE1EEEvT1_,comdat
	.protected	_ZN7rocprim17ROCPRIM_400000_NS6detail17trampoline_kernelINS0_14default_configENS1_20scan_config_selectorIfEEZZNS1_9scan_implILNS1_25lookback_scan_determinismE0ELb1ELb1ES3_N6thrust23THRUST_200600_302600_NS6detail15normal_iteratorINS9_10device_ptrIfEEEESE_f11max_functorIfEfEEDaPvRmT3_T4_T5_mT6_P12ihipStream_tbENKUlT_T0_E_clISt17integral_constantIbLb1EEST_IbLb0EEEEDaSP_SQ_EUlSP_E0_NS1_11comp_targetILNS1_3genE9ELNS1_11target_archE1100ELNS1_3gpuE3ELNS1_3repE0EEENS1_30default_config_static_selectorELNS0_4arch9wavefront6targetE1EEEvT1_ ; -- Begin function _ZN7rocprim17ROCPRIM_400000_NS6detail17trampoline_kernelINS0_14default_configENS1_20scan_config_selectorIfEEZZNS1_9scan_implILNS1_25lookback_scan_determinismE0ELb1ELb1ES3_N6thrust23THRUST_200600_302600_NS6detail15normal_iteratorINS9_10device_ptrIfEEEESE_f11max_functorIfEfEEDaPvRmT3_T4_T5_mT6_P12ihipStream_tbENKUlT_T0_E_clISt17integral_constantIbLb1EEST_IbLb0EEEEDaSP_SQ_EUlSP_E0_NS1_11comp_targetILNS1_3genE9ELNS1_11target_archE1100ELNS1_3gpuE3ELNS1_3repE0EEENS1_30default_config_static_selectorELNS0_4arch9wavefront6targetE1EEEvT1_
	.globl	_ZN7rocprim17ROCPRIM_400000_NS6detail17trampoline_kernelINS0_14default_configENS1_20scan_config_selectorIfEEZZNS1_9scan_implILNS1_25lookback_scan_determinismE0ELb1ELb1ES3_N6thrust23THRUST_200600_302600_NS6detail15normal_iteratorINS9_10device_ptrIfEEEESE_f11max_functorIfEfEEDaPvRmT3_T4_T5_mT6_P12ihipStream_tbENKUlT_T0_E_clISt17integral_constantIbLb1EEST_IbLb0EEEEDaSP_SQ_EUlSP_E0_NS1_11comp_targetILNS1_3genE9ELNS1_11target_archE1100ELNS1_3gpuE3ELNS1_3repE0EEENS1_30default_config_static_selectorELNS0_4arch9wavefront6targetE1EEEvT1_
	.p2align	8
	.type	_ZN7rocprim17ROCPRIM_400000_NS6detail17trampoline_kernelINS0_14default_configENS1_20scan_config_selectorIfEEZZNS1_9scan_implILNS1_25lookback_scan_determinismE0ELb1ELb1ES3_N6thrust23THRUST_200600_302600_NS6detail15normal_iteratorINS9_10device_ptrIfEEEESE_f11max_functorIfEfEEDaPvRmT3_T4_T5_mT6_P12ihipStream_tbENKUlT_T0_E_clISt17integral_constantIbLb1EEST_IbLb0EEEEDaSP_SQ_EUlSP_E0_NS1_11comp_targetILNS1_3genE9ELNS1_11target_archE1100ELNS1_3gpuE3ELNS1_3repE0EEENS1_30default_config_static_selectorELNS0_4arch9wavefront6targetE1EEEvT1_,@function
_ZN7rocprim17ROCPRIM_400000_NS6detail17trampoline_kernelINS0_14default_configENS1_20scan_config_selectorIfEEZZNS1_9scan_implILNS1_25lookback_scan_determinismE0ELb1ELb1ES3_N6thrust23THRUST_200600_302600_NS6detail15normal_iteratorINS9_10device_ptrIfEEEESE_f11max_functorIfEfEEDaPvRmT3_T4_T5_mT6_P12ihipStream_tbENKUlT_T0_E_clISt17integral_constantIbLb1EEST_IbLb0EEEEDaSP_SQ_EUlSP_E0_NS1_11comp_targetILNS1_3genE9ELNS1_11target_archE1100ELNS1_3gpuE3ELNS1_3repE0EEENS1_30default_config_static_selectorELNS0_4arch9wavefront6targetE1EEEvT1_: ; @_ZN7rocprim17ROCPRIM_400000_NS6detail17trampoline_kernelINS0_14default_configENS1_20scan_config_selectorIfEEZZNS1_9scan_implILNS1_25lookback_scan_determinismE0ELb1ELb1ES3_N6thrust23THRUST_200600_302600_NS6detail15normal_iteratorINS9_10device_ptrIfEEEESE_f11max_functorIfEfEEDaPvRmT3_T4_T5_mT6_P12ihipStream_tbENKUlT_T0_E_clISt17integral_constantIbLb1EEST_IbLb0EEEEDaSP_SQ_EUlSP_E0_NS1_11comp_targetILNS1_3genE9ELNS1_11target_archE1100ELNS1_3gpuE3ELNS1_3repE0EEENS1_30default_config_static_selectorELNS0_4arch9wavefront6targetE1EEEvT1_
; %bb.0:
	.section	.rodata,"a",@progbits
	.p2align	6, 0x0
	.amdhsa_kernel _ZN7rocprim17ROCPRIM_400000_NS6detail17trampoline_kernelINS0_14default_configENS1_20scan_config_selectorIfEEZZNS1_9scan_implILNS1_25lookback_scan_determinismE0ELb1ELb1ES3_N6thrust23THRUST_200600_302600_NS6detail15normal_iteratorINS9_10device_ptrIfEEEESE_f11max_functorIfEfEEDaPvRmT3_T4_T5_mT6_P12ihipStream_tbENKUlT_T0_E_clISt17integral_constantIbLb1EEST_IbLb0EEEEDaSP_SQ_EUlSP_E0_NS1_11comp_targetILNS1_3genE9ELNS1_11target_archE1100ELNS1_3gpuE3ELNS1_3repE0EEENS1_30default_config_static_selectorELNS0_4arch9wavefront6targetE1EEEvT1_
		.amdhsa_group_segment_fixed_size 0
		.amdhsa_private_segment_fixed_size 0
		.amdhsa_kernarg_size 32
		.amdhsa_user_sgpr_count 6
		.amdhsa_user_sgpr_private_segment_buffer 1
		.amdhsa_user_sgpr_dispatch_ptr 0
		.amdhsa_user_sgpr_queue_ptr 0
		.amdhsa_user_sgpr_kernarg_segment_ptr 1
		.amdhsa_user_sgpr_dispatch_id 0
		.amdhsa_user_sgpr_flat_scratch_init 0
		.amdhsa_user_sgpr_kernarg_preload_length 0
		.amdhsa_user_sgpr_kernarg_preload_offset 0
		.amdhsa_user_sgpr_private_segment_size 0
		.amdhsa_uses_dynamic_stack 0
		.amdhsa_system_sgpr_private_segment_wavefront_offset 0
		.amdhsa_system_sgpr_workgroup_id_x 1
		.amdhsa_system_sgpr_workgroup_id_y 0
		.amdhsa_system_sgpr_workgroup_id_z 0
		.amdhsa_system_sgpr_workgroup_info 0
		.amdhsa_system_vgpr_workitem_id 0
		.amdhsa_next_free_vgpr 1
		.amdhsa_next_free_sgpr 0
		.amdhsa_accum_offset 4
		.amdhsa_reserve_vcc 0
		.amdhsa_reserve_flat_scratch 0
		.amdhsa_float_round_mode_32 0
		.amdhsa_float_round_mode_16_64 0
		.amdhsa_float_denorm_mode_32 3
		.amdhsa_float_denorm_mode_16_64 3
		.amdhsa_dx10_clamp 1
		.amdhsa_ieee_mode 1
		.amdhsa_fp16_overflow 0
		.amdhsa_tg_split 0
		.amdhsa_exception_fp_ieee_invalid_op 0
		.amdhsa_exception_fp_denorm_src 0
		.amdhsa_exception_fp_ieee_div_zero 0
		.amdhsa_exception_fp_ieee_overflow 0
		.amdhsa_exception_fp_ieee_underflow 0
		.amdhsa_exception_fp_ieee_inexact 0
		.amdhsa_exception_int_div_zero 0
	.end_amdhsa_kernel
	.section	.text._ZN7rocprim17ROCPRIM_400000_NS6detail17trampoline_kernelINS0_14default_configENS1_20scan_config_selectorIfEEZZNS1_9scan_implILNS1_25lookback_scan_determinismE0ELb1ELb1ES3_N6thrust23THRUST_200600_302600_NS6detail15normal_iteratorINS9_10device_ptrIfEEEESE_f11max_functorIfEfEEDaPvRmT3_T4_T5_mT6_P12ihipStream_tbENKUlT_T0_E_clISt17integral_constantIbLb1EEST_IbLb0EEEEDaSP_SQ_EUlSP_E0_NS1_11comp_targetILNS1_3genE9ELNS1_11target_archE1100ELNS1_3gpuE3ELNS1_3repE0EEENS1_30default_config_static_selectorELNS0_4arch9wavefront6targetE1EEEvT1_,"axG",@progbits,_ZN7rocprim17ROCPRIM_400000_NS6detail17trampoline_kernelINS0_14default_configENS1_20scan_config_selectorIfEEZZNS1_9scan_implILNS1_25lookback_scan_determinismE0ELb1ELb1ES3_N6thrust23THRUST_200600_302600_NS6detail15normal_iteratorINS9_10device_ptrIfEEEESE_f11max_functorIfEfEEDaPvRmT3_T4_T5_mT6_P12ihipStream_tbENKUlT_T0_E_clISt17integral_constantIbLb1EEST_IbLb0EEEEDaSP_SQ_EUlSP_E0_NS1_11comp_targetILNS1_3genE9ELNS1_11target_archE1100ELNS1_3gpuE3ELNS1_3repE0EEENS1_30default_config_static_selectorELNS0_4arch9wavefront6targetE1EEEvT1_,comdat
.Lfunc_end2067:
	.size	_ZN7rocprim17ROCPRIM_400000_NS6detail17trampoline_kernelINS0_14default_configENS1_20scan_config_selectorIfEEZZNS1_9scan_implILNS1_25lookback_scan_determinismE0ELb1ELb1ES3_N6thrust23THRUST_200600_302600_NS6detail15normal_iteratorINS9_10device_ptrIfEEEESE_f11max_functorIfEfEEDaPvRmT3_T4_T5_mT6_P12ihipStream_tbENKUlT_T0_E_clISt17integral_constantIbLb1EEST_IbLb0EEEEDaSP_SQ_EUlSP_E0_NS1_11comp_targetILNS1_3genE9ELNS1_11target_archE1100ELNS1_3gpuE3ELNS1_3repE0EEENS1_30default_config_static_selectorELNS0_4arch9wavefront6targetE1EEEvT1_, .Lfunc_end2067-_ZN7rocprim17ROCPRIM_400000_NS6detail17trampoline_kernelINS0_14default_configENS1_20scan_config_selectorIfEEZZNS1_9scan_implILNS1_25lookback_scan_determinismE0ELb1ELb1ES3_N6thrust23THRUST_200600_302600_NS6detail15normal_iteratorINS9_10device_ptrIfEEEESE_f11max_functorIfEfEEDaPvRmT3_T4_T5_mT6_P12ihipStream_tbENKUlT_T0_E_clISt17integral_constantIbLb1EEST_IbLb0EEEEDaSP_SQ_EUlSP_E0_NS1_11comp_targetILNS1_3genE9ELNS1_11target_archE1100ELNS1_3gpuE3ELNS1_3repE0EEENS1_30default_config_static_selectorELNS0_4arch9wavefront6targetE1EEEvT1_
                                        ; -- End function
	.section	.AMDGPU.csdata,"",@progbits
; Kernel info:
; codeLenInByte = 0
; NumSgprs: 4
; NumVgprs: 0
; NumAgprs: 0
; TotalNumVgprs: 0
; ScratchSize: 0
; MemoryBound: 0
; FloatMode: 240
; IeeeMode: 1
; LDSByteSize: 0 bytes/workgroup (compile time only)
; SGPRBlocks: 0
; VGPRBlocks: 0
; NumSGPRsForWavesPerEU: 4
; NumVGPRsForWavesPerEU: 1
; AccumOffset: 4
; Occupancy: 8
; WaveLimiterHint : 0
; COMPUTE_PGM_RSRC2:SCRATCH_EN: 0
; COMPUTE_PGM_RSRC2:USER_SGPR: 6
; COMPUTE_PGM_RSRC2:TRAP_HANDLER: 0
; COMPUTE_PGM_RSRC2:TGID_X_EN: 1
; COMPUTE_PGM_RSRC2:TGID_Y_EN: 0
; COMPUTE_PGM_RSRC2:TGID_Z_EN: 0
; COMPUTE_PGM_RSRC2:TIDIG_COMP_CNT: 0
; COMPUTE_PGM_RSRC3_GFX90A:ACCUM_OFFSET: 0
; COMPUTE_PGM_RSRC3_GFX90A:TG_SPLIT: 0
	.section	.text._ZN7rocprim17ROCPRIM_400000_NS6detail17trampoline_kernelINS0_14default_configENS1_20scan_config_selectorIfEEZZNS1_9scan_implILNS1_25lookback_scan_determinismE0ELb1ELb1ES3_N6thrust23THRUST_200600_302600_NS6detail15normal_iteratorINS9_10device_ptrIfEEEESE_f11max_functorIfEfEEDaPvRmT3_T4_T5_mT6_P12ihipStream_tbENKUlT_T0_E_clISt17integral_constantIbLb1EEST_IbLb0EEEEDaSP_SQ_EUlSP_E0_NS1_11comp_targetILNS1_3genE8ELNS1_11target_archE1030ELNS1_3gpuE2ELNS1_3repE0EEENS1_30default_config_static_selectorELNS0_4arch9wavefront6targetE1EEEvT1_,"axG",@progbits,_ZN7rocprim17ROCPRIM_400000_NS6detail17trampoline_kernelINS0_14default_configENS1_20scan_config_selectorIfEEZZNS1_9scan_implILNS1_25lookback_scan_determinismE0ELb1ELb1ES3_N6thrust23THRUST_200600_302600_NS6detail15normal_iteratorINS9_10device_ptrIfEEEESE_f11max_functorIfEfEEDaPvRmT3_T4_T5_mT6_P12ihipStream_tbENKUlT_T0_E_clISt17integral_constantIbLb1EEST_IbLb0EEEEDaSP_SQ_EUlSP_E0_NS1_11comp_targetILNS1_3genE8ELNS1_11target_archE1030ELNS1_3gpuE2ELNS1_3repE0EEENS1_30default_config_static_selectorELNS0_4arch9wavefront6targetE1EEEvT1_,comdat
	.protected	_ZN7rocprim17ROCPRIM_400000_NS6detail17trampoline_kernelINS0_14default_configENS1_20scan_config_selectorIfEEZZNS1_9scan_implILNS1_25lookback_scan_determinismE0ELb1ELb1ES3_N6thrust23THRUST_200600_302600_NS6detail15normal_iteratorINS9_10device_ptrIfEEEESE_f11max_functorIfEfEEDaPvRmT3_T4_T5_mT6_P12ihipStream_tbENKUlT_T0_E_clISt17integral_constantIbLb1EEST_IbLb0EEEEDaSP_SQ_EUlSP_E0_NS1_11comp_targetILNS1_3genE8ELNS1_11target_archE1030ELNS1_3gpuE2ELNS1_3repE0EEENS1_30default_config_static_selectorELNS0_4arch9wavefront6targetE1EEEvT1_ ; -- Begin function _ZN7rocprim17ROCPRIM_400000_NS6detail17trampoline_kernelINS0_14default_configENS1_20scan_config_selectorIfEEZZNS1_9scan_implILNS1_25lookback_scan_determinismE0ELb1ELb1ES3_N6thrust23THRUST_200600_302600_NS6detail15normal_iteratorINS9_10device_ptrIfEEEESE_f11max_functorIfEfEEDaPvRmT3_T4_T5_mT6_P12ihipStream_tbENKUlT_T0_E_clISt17integral_constantIbLb1EEST_IbLb0EEEEDaSP_SQ_EUlSP_E0_NS1_11comp_targetILNS1_3genE8ELNS1_11target_archE1030ELNS1_3gpuE2ELNS1_3repE0EEENS1_30default_config_static_selectorELNS0_4arch9wavefront6targetE1EEEvT1_
	.globl	_ZN7rocprim17ROCPRIM_400000_NS6detail17trampoline_kernelINS0_14default_configENS1_20scan_config_selectorIfEEZZNS1_9scan_implILNS1_25lookback_scan_determinismE0ELb1ELb1ES3_N6thrust23THRUST_200600_302600_NS6detail15normal_iteratorINS9_10device_ptrIfEEEESE_f11max_functorIfEfEEDaPvRmT3_T4_T5_mT6_P12ihipStream_tbENKUlT_T0_E_clISt17integral_constantIbLb1EEST_IbLb0EEEEDaSP_SQ_EUlSP_E0_NS1_11comp_targetILNS1_3genE8ELNS1_11target_archE1030ELNS1_3gpuE2ELNS1_3repE0EEENS1_30default_config_static_selectorELNS0_4arch9wavefront6targetE1EEEvT1_
	.p2align	8
	.type	_ZN7rocprim17ROCPRIM_400000_NS6detail17trampoline_kernelINS0_14default_configENS1_20scan_config_selectorIfEEZZNS1_9scan_implILNS1_25lookback_scan_determinismE0ELb1ELb1ES3_N6thrust23THRUST_200600_302600_NS6detail15normal_iteratorINS9_10device_ptrIfEEEESE_f11max_functorIfEfEEDaPvRmT3_T4_T5_mT6_P12ihipStream_tbENKUlT_T0_E_clISt17integral_constantIbLb1EEST_IbLb0EEEEDaSP_SQ_EUlSP_E0_NS1_11comp_targetILNS1_3genE8ELNS1_11target_archE1030ELNS1_3gpuE2ELNS1_3repE0EEENS1_30default_config_static_selectorELNS0_4arch9wavefront6targetE1EEEvT1_,@function
_ZN7rocprim17ROCPRIM_400000_NS6detail17trampoline_kernelINS0_14default_configENS1_20scan_config_selectorIfEEZZNS1_9scan_implILNS1_25lookback_scan_determinismE0ELb1ELb1ES3_N6thrust23THRUST_200600_302600_NS6detail15normal_iteratorINS9_10device_ptrIfEEEESE_f11max_functorIfEfEEDaPvRmT3_T4_T5_mT6_P12ihipStream_tbENKUlT_T0_E_clISt17integral_constantIbLb1EEST_IbLb0EEEEDaSP_SQ_EUlSP_E0_NS1_11comp_targetILNS1_3genE8ELNS1_11target_archE1030ELNS1_3gpuE2ELNS1_3repE0EEENS1_30default_config_static_selectorELNS0_4arch9wavefront6targetE1EEEvT1_: ; @_ZN7rocprim17ROCPRIM_400000_NS6detail17trampoline_kernelINS0_14default_configENS1_20scan_config_selectorIfEEZZNS1_9scan_implILNS1_25lookback_scan_determinismE0ELb1ELb1ES3_N6thrust23THRUST_200600_302600_NS6detail15normal_iteratorINS9_10device_ptrIfEEEESE_f11max_functorIfEfEEDaPvRmT3_T4_T5_mT6_P12ihipStream_tbENKUlT_T0_E_clISt17integral_constantIbLb1EEST_IbLb0EEEEDaSP_SQ_EUlSP_E0_NS1_11comp_targetILNS1_3genE8ELNS1_11target_archE1030ELNS1_3gpuE2ELNS1_3repE0EEENS1_30default_config_static_selectorELNS0_4arch9wavefront6targetE1EEEvT1_
; %bb.0:
	.section	.rodata,"a",@progbits
	.p2align	6, 0x0
	.amdhsa_kernel _ZN7rocprim17ROCPRIM_400000_NS6detail17trampoline_kernelINS0_14default_configENS1_20scan_config_selectorIfEEZZNS1_9scan_implILNS1_25lookback_scan_determinismE0ELb1ELb1ES3_N6thrust23THRUST_200600_302600_NS6detail15normal_iteratorINS9_10device_ptrIfEEEESE_f11max_functorIfEfEEDaPvRmT3_T4_T5_mT6_P12ihipStream_tbENKUlT_T0_E_clISt17integral_constantIbLb1EEST_IbLb0EEEEDaSP_SQ_EUlSP_E0_NS1_11comp_targetILNS1_3genE8ELNS1_11target_archE1030ELNS1_3gpuE2ELNS1_3repE0EEENS1_30default_config_static_selectorELNS0_4arch9wavefront6targetE1EEEvT1_
		.amdhsa_group_segment_fixed_size 0
		.amdhsa_private_segment_fixed_size 0
		.amdhsa_kernarg_size 32
		.amdhsa_user_sgpr_count 6
		.amdhsa_user_sgpr_private_segment_buffer 1
		.amdhsa_user_sgpr_dispatch_ptr 0
		.amdhsa_user_sgpr_queue_ptr 0
		.amdhsa_user_sgpr_kernarg_segment_ptr 1
		.amdhsa_user_sgpr_dispatch_id 0
		.amdhsa_user_sgpr_flat_scratch_init 0
		.amdhsa_user_sgpr_kernarg_preload_length 0
		.amdhsa_user_sgpr_kernarg_preload_offset 0
		.amdhsa_user_sgpr_private_segment_size 0
		.amdhsa_uses_dynamic_stack 0
		.amdhsa_system_sgpr_private_segment_wavefront_offset 0
		.amdhsa_system_sgpr_workgroup_id_x 1
		.amdhsa_system_sgpr_workgroup_id_y 0
		.amdhsa_system_sgpr_workgroup_id_z 0
		.amdhsa_system_sgpr_workgroup_info 0
		.amdhsa_system_vgpr_workitem_id 0
		.amdhsa_next_free_vgpr 1
		.amdhsa_next_free_sgpr 0
		.amdhsa_accum_offset 4
		.amdhsa_reserve_vcc 0
		.amdhsa_reserve_flat_scratch 0
		.amdhsa_float_round_mode_32 0
		.amdhsa_float_round_mode_16_64 0
		.amdhsa_float_denorm_mode_32 3
		.amdhsa_float_denorm_mode_16_64 3
		.amdhsa_dx10_clamp 1
		.amdhsa_ieee_mode 1
		.amdhsa_fp16_overflow 0
		.amdhsa_tg_split 0
		.amdhsa_exception_fp_ieee_invalid_op 0
		.amdhsa_exception_fp_denorm_src 0
		.amdhsa_exception_fp_ieee_div_zero 0
		.amdhsa_exception_fp_ieee_overflow 0
		.amdhsa_exception_fp_ieee_underflow 0
		.amdhsa_exception_fp_ieee_inexact 0
		.amdhsa_exception_int_div_zero 0
	.end_amdhsa_kernel
	.section	.text._ZN7rocprim17ROCPRIM_400000_NS6detail17trampoline_kernelINS0_14default_configENS1_20scan_config_selectorIfEEZZNS1_9scan_implILNS1_25lookback_scan_determinismE0ELb1ELb1ES3_N6thrust23THRUST_200600_302600_NS6detail15normal_iteratorINS9_10device_ptrIfEEEESE_f11max_functorIfEfEEDaPvRmT3_T4_T5_mT6_P12ihipStream_tbENKUlT_T0_E_clISt17integral_constantIbLb1EEST_IbLb0EEEEDaSP_SQ_EUlSP_E0_NS1_11comp_targetILNS1_3genE8ELNS1_11target_archE1030ELNS1_3gpuE2ELNS1_3repE0EEENS1_30default_config_static_selectorELNS0_4arch9wavefront6targetE1EEEvT1_,"axG",@progbits,_ZN7rocprim17ROCPRIM_400000_NS6detail17trampoline_kernelINS0_14default_configENS1_20scan_config_selectorIfEEZZNS1_9scan_implILNS1_25lookback_scan_determinismE0ELb1ELb1ES3_N6thrust23THRUST_200600_302600_NS6detail15normal_iteratorINS9_10device_ptrIfEEEESE_f11max_functorIfEfEEDaPvRmT3_T4_T5_mT6_P12ihipStream_tbENKUlT_T0_E_clISt17integral_constantIbLb1EEST_IbLb0EEEEDaSP_SQ_EUlSP_E0_NS1_11comp_targetILNS1_3genE8ELNS1_11target_archE1030ELNS1_3gpuE2ELNS1_3repE0EEENS1_30default_config_static_selectorELNS0_4arch9wavefront6targetE1EEEvT1_,comdat
.Lfunc_end2068:
	.size	_ZN7rocprim17ROCPRIM_400000_NS6detail17trampoline_kernelINS0_14default_configENS1_20scan_config_selectorIfEEZZNS1_9scan_implILNS1_25lookback_scan_determinismE0ELb1ELb1ES3_N6thrust23THRUST_200600_302600_NS6detail15normal_iteratorINS9_10device_ptrIfEEEESE_f11max_functorIfEfEEDaPvRmT3_T4_T5_mT6_P12ihipStream_tbENKUlT_T0_E_clISt17integral_constantIbLb1EEST_IbLb0EEEEDaSP_SQ_EUlSP_E0_NS1_11comp_targetILNS1_3genE8ELNS1_11target_archE1030ELNS1_3gpuE2ELNS1_3repE0EEENS1_30default_config_static_selectorELNS0_4arch9wavefront6targetE1EEEvT1_, .Lfunc_end2068-_ZN7rocprim17ROCPRIM_400000_NS6detail17trampoline_kernelINS0_14default_configENS1_20scan_config_selectorIfEEZZNS1_9scan_implILNS1_25lookback_scan_determinismE0ELb1ELb1ES3_N6thrust23THRUST_200600_302600_NS6detail15normal_iteratorINS9_10device_ptrIfEEEESE_f11max_functorIfEfEEDaPvRmT3_T4_T5_mT6_P12ihipStream_tbENKUlT_T0_E_clISt17integral_constantIbLb1EEST_IbLb0EEEEDaSP_SQ_EUlSP_E0_NS1_11comp_targetILNS1_3genE8ELNS1_11target_archE1030ELNS1_3gpuE2ELNS1_3repE0EEENS1_30default_config_static_selectorELNS0_4arch9wavefront6targetE1EEEvT1_
                                        ; -- End function
	.section	.AMDGPU.csdata,"",@progbits
; Kernel info:
; codeLenInByte = 0
; NumSgprs: 4
; NumVgprs: 0
; NumAgprs: 0
; TotalNumVgprs: 0
; ScratchSize: 0
; MemoryBound: 0
; FloatMode: 240
; IeeeMode: 1
; LDSByteSize: 0 bytes/workgroup (compile time only)
; SGPRBlocks: 0
; VGPRBlocks: 0
; NumSGPRsForWavesPerEU: 4
; NumVGPRsForWavesPerEU: 1
; AccumOffset: 4
; Occupancy: 8
; WaveLimiterHint : 0
; COMPUTE_PGM_RSRC2:SCRATCH_EN: 0
; COMPUTE_PGM_RSRC2:USER_SGPR: 6
; COMPUTE_PGM_RSRC2:TRAP_HANDLER: 0
; COMPUTE_PGM_RSRC2:TGID_X_EN: 1
; COMPUTE_PGM_RSRC2:TGID_Y_EN: 0
; COMPUTE_PGM_RSRC2:TGID_Z_EN: 0
; COMPUTE_PGM_RSRC2:TIDIG_COMP_CNT: 0
; COMPUTE_PGM_RSRC3_GFX90A:ACCUM_OFFSET: 0
; COMPUTE_PGM_RSRC3_GFX90A:TG_SPLIT: 0
	.section	.text._ZN7rocprim17ROCPRIM_400000_NS6detail17trampoline_kernelINS0_14default_configENS1_20scan_config_selectorIfEEZZNS1_9scan_implILNS1_25lookback_scan_determinismE0ELb1ELb1ES3_N6thrust23THRUST_200600_302600_NS6detail15normal_iteratorINS9_10device_ptrIfEEEESE_f11max_functorIfEfEEDaPvRmT3_T4_T5_mT6_P12ihipStream_tbENKUlT_T0_E_clISt17integral_constantIbLb0EEST_IbLb1EEEEDaSP_SQ_EUlSP_E_NS1_11comp_targetILNS1_3genE0ELNS1_11target_archE4294967295ELNS1_3gpuE0ELNS1_3repE0EEENS1_30default_config_static_selectorELNS0_4arch9wavefront6targetE1EEEvT1_,"axG",@progbits,_ZN7rocprim17ROCPRIM_400000_NS6detail17trampoline_kernelINS0_14default_configENS1_20scan_config_selectorIfEEZZNS1_9scan_implILNS1_25lookback_scan_determinismE0ELb1ELb1ES3_N6thrust23THRUST_200600_302600_NS6detail15normal_iteratorINS9_10device_ptrIfEEEESE_f11max_functorIfEfEEDaPvRmT3_T4_T5_mT6_P12ihipStream_tbENKUlT_T0_E_clISt17integral_constantIbLb0EEST_IbLb1EEEEDaSP_SQ_EUlSP_E_NS1_11comp_targetILNS1_3genE0ELNS1_11target_archE4294967295ELNS1_3gpuE0ELNS1_3repE0EEENS1_30default_config_static_selectorELNS0_4arch9wavefront6targetE1EEEvT1_,comdat
	.protected	_ZN7rocprim17ROCPRIM_400000_NS6detail17trampoline_kernelINS0_14default_configENS1_20scan_config_selectorIfEEZZNS1_9scan_implILNS1_25lookback_scan_determinismE0ELb1ELb1ES3_N6thrust23THRUST_200600_302600_NS6detail15normal_iteratorINS9_10device_ptrIfEEEESE_f11max_functorIfEfEEDaPvRmT3_T4_T5_mT6_P12ihipStream_tbENKUlT_T0_E_clISt17integral_constantIbLb0EEST_IbLb1EEEEDaSP_SQ_EUlSP_E_NS1_11comp_targetILNS1_3genE0ELNS1_11target_archE4294967295ELNS1_3gpuE0ELNS1_3repE0EEENS1_30default_config_static_selectorELNS0_4arch9wavefront6targetE1EEEvT1_ ; -- Begin function _ZN7rocprim17ROCPRIM_400000_NS6detail17trampoline_kernelINS0_14default_configENS1_20scan_config_selectorIfEEZZNS1_9scan_implILNS1_25lookback_scan_determinismE0ELb1ELb1ES3_N6thrust23THRUST_200600_302600_NS6detail15normal_iteratorINS9_10device_ptrIfEEEESE_f11max_functorIfEfEEDaPvRmT3_T4_T5_mT6_P12ihipStream_tbENKUlT_T0_E_clISt17integral_constantIbLb0EEST_IbLb1EEEEDaSP_SQ_EUlSP_E_NS1_11comp_targetILNS1_3genE0ELNS1_11target_archE4294967295ELNS1_3gpuE0ELNS1_3repE0EEENS1_30default_config_static_selectorELNS0_4arch9wavefront6targetE1EEEvT1_
	.globl	_ZN7rocprim17ROCPRIM_400000_NS6detail17trampoline_kernelINS0_14default_configENS1_20scan_config_selectorIfEEZZNS1_9scan_implILNS1_25lookback_scan_determinismE0ELb1ELb1ES3_N6thrust23THRUST_200600_302600_NS6detail15normal_iteratorINS9_10device_ptrIfEEEESE_f11max_functorIfEfEEDaPvRmT3_T4_T5_mT6_P12ihipStream_tbENKUlT_T0_E_clISt17integral_constantIbLb0EEST_IbLb1EEEEDaSP_SQ_EUlSP_E_NS1_11comp_targetILNS1_3genE0ELNS1_11target_archE4294967295ELNS1_3gpuE0ELNS1_3repE0EEENS1_30default_config_static_selectorELNS0_4arch9wavefront6targetE1EEEvT1_
	.p2align	8
	.type	_ZN7rocprim17ROCPRIM_400000_NS6detail17trampoline_kernelINS0_14default_configENS1_20scan_config_selectorIfEEZZNS1_9scan_implILNS1_25lookback_scan_determinismE0ELb1ELb1ES3_N6thrust23THRUST_200600_302600_NS6detail15normal_iteratorINS9_10device_ptrIfEEEESE_f11max_functorIfEfEEDaPvRmT3_T4_T5_mT6_P12ihipStream_tbENKUlT_T0_E_clISt17integral_constantIbLb0EEST_IbLb1EEEEDaSP_SQ_EUlSP_E_NS1_11comp_targetILNS1_3genE0ELNS1_11target_archE4294967295ELNS1_3gpuE0ELNS1_3repE0EEENS1_30default_config_static_selectorELNS0_4arch9wavefront6targetE1EEEvT1_,@function
_ZN7rocprim17ROCPRIM_400000_NS6detail17trampoline_kernelINS0_14default_configENS1_20scan_config_selectorIfEEZZNS1_9scan_implILNS1_25lookback_scan_determinismE0ELb1ELb1ES3_N6thrust23THRUST_200600_302600_NS6detail15normal_iteratorINS9_10device_ptrIfEEEESE_f11max_functorIfEfEEDaPvRmT3_T4_T5_mT6_P12ihipStream_tbENKUlT_T0_E_clISt17integral_constantIbLb0EEST_IbLb1EEEEDaSP_SQ_EUlSP_E_NS1_11comp_targetILNS1_3genE0ELNS1_11target_archE4294967295ELNS1_3gpuE0ELNS1_3repE0EEENS1_30default_config_static_selectorELNS0_4arch9wavefront6targetE1EEEvT1_: ; @_ZN7rocprim17ROCPRIM_400000_NS6detail17trampoline_kernelINS0_14default_configENS1_20scan_config_selectorIfEEZZNS1_9scan_implILNS1_25lookback_scan_determinismE0ELb1ELb1ES3_N6thrust23THRUST_200600_302600_NS6detail15normal_iteratorINS9_10device_ptrIfEEEESE_f11max_functorIfEfEEDaPvRmT3_T4_T5_mT6_P12ihipStream_tbENKUlT_T0_E_clISt17integral_constantIbLb0EEST_IbLb1EEEEDaSP_SQ_EUlSP_E_NS1_11comp_targetILNS1_3genE0ELNS1_11target_archE4294967295ELNS1_3gpuE0ELNS1_3repE0EEENS1_30default_config_static_selectorELNS0_4arch9wavefront6targetE1EEEvT1_
; %bb.0:
	.section	.rodata,"a",@progbits
	.p2align	6, 0x0
	.amdhsa_kernel _ZN7rocprim17ROCPRIM_400000_NS6detail17trampoline_kernelINS0_14default_configENS1_20scan_config_selectorIfEEZZNS1_9scan_implILNS1_25lookback_scan_determinismE0ELb1ELb1ES3_N6thrust23THRUST_200600_302600_NS6detail15normal_iteratorINS9_10device_ptrIfEEEESE_f11max_functorIfEfEEDaPvRmT3_T4_T5_mT6_P12ihipStream_tbENKUlT_T0_E_clISt17integral_constantIbLb0EEST_IbLb1EEEEDaSP_SQ_EUlSP_E_NS1_11comp_targetILNS1_3genE0ELNS1_11target_archE4294967295ELNS1_3gpuE0ELNS1_3repE0EEENS1_30default_config_static_selectorELNS0_4arch9wavefront6targetE1EEEvT1_
		.amdhsa_group_segment_fixed_size 0
		.amdhsa_private_segment_fixed_size 0
		.amdhsa_kernarg_size 96
		.amdhsa_user_sgpr_count 6
		.amdhsa_user_sgpr_private_segment_buffer 1
		.amdhsa_user_sgpr_dispatch_ptr 0
		.amdhsa_user_sgpr_queue_ptr 0
		.amdhsa_user_sgpr_kernarg_segment_ptr 1
		.amdhsa_user_sgpr_dispatch_id 0
		.amdhsa_user_sgpr_flat_scratch_init 0
		.amdhsa_user_sgpr_kernarg_preload_length 0
		.amdhsa_user_sgpr_kernarg_preload_offset 0
		.amdhsa_user_sgpr_private_segment_size 0
		.amdhsa_uses_dynamic_stack 0
		.amdhsa_system_sgpr_private_segment_wavefront_offset 0
		.amdhsa_system_sgpr_workgroup_id_x 1
		.amdhsa_system_sgpr_workgroup_id_y 0
		.amdhsa_system_sgpr_workgroup_id_z 0
		.amdhsa_system_sgpr_workgroup_info 0
		.amdhsa_system_vgpr_workitem_id 0
		.amdhsa_next_free_vgpr 1
		.amdhsa_next_free_sgpr 0
		.amdhsa_accum_offset 4
		.amdhsa_reserve_vcc 0
		.amdhsa_reserve_flat_scratch 0
		.amdhsa_float_round_mode_32 0
		.amdhsa_float_round_mode_16_64 0
		.amdhsa_float_denorm_mode_32 3
		.amdhsa_float_denorm_mode_16_64 3
		.amdhsa_dx10_clamp 1
		.amdhsa_ieee_mode 1
		.amdhsa_fp16_overflow 0
		.amdhsa_tg_split 0
		.amdhsa_exception_fp_ieee_invalid_op 0
		.amdhsa_exception_fp_denorm_src 0
		.amdhsa_exception_fp_ieee_div_zero 0
		.amdhsa_exception_fp_ieee_overflow 0
		.amdhsa_exception_fp_ieee_underflow 0
		.amdhsa_exception_fp_ieee_inexact 0
		.amdhsa_exception_int_div_zero 0
	.end_amdhsa_kernel
	.section	.text._ZN7rocprim17ROCPRIM_400000_NS6detail17trampoline_kernelINS0_14default_configENS1_20scan_config_selectorIfEEZZNS1_9scan_implILNS1_25lookback_scan_determinismE0ELb1ELb1ES3_N6thrust23THRUST_200600_302600_NS6detail15normal_iteratorINS9_10device_ptrIfEEEESE_f11max_functorIfEfEEDaPvRmT3_T4_T5_mT6_P12ihipStream_tbENKUlT_T0_E_clISt17integral_constantIbLb0EEST_IbLb1EEEEDaSP_SQ_EUlSP_E_NS1_11comp_targetILNS1_3genE0ELNS1_11target_archE4294967295ELNS1_3gpuE0ELNS1_3repE0EEENS1_30default_config_static_selectorELNS0_4arch9wavefront6targetE1EEEvT1_,"axG",@progbits,_ZN7rocprim17ROCPRIM_400000_NS6detail17trampoline_kernelINS0_14default_configENS1_20scan_config_selectorIfEEZZNS1_9scan_implILNS1_25lookback_scan_determinismE0ELb1ELb1ES3_N6thrust23THRUST_200600_302600_NS6detail15normal_iteratorINS9_10device_ptrIfEEEESE_f11max_functorIfEfEEDaPvRmT3_T4_T5_mT6_P12ihipStream_tbENKUlT_T0_E_clISt17integral_constantIbLb0EEST_IbLb1EEEEDaSP_SQ_EUlSP_E_NS1_11comp_targetILNS1_3genE0ELNS1_11target_archE4294967295ELNS1_3gpuE0ELNS1_3repE0EEENS1_30default_config_static_selectorELNS0_4arch9wavefront6targetE1EEEvT1_,comdat
.Lfunc_end2069:
	.size	_ZN7rocprim17ROCPRIM_400000_NS6detail17trampoline_kernelINS0_14default_configENS1_20scan_config_selectorIfEEZZNS1_9scan_implILNS1_25lookback_scan_determinismE0ELb1ELb1ES3_N6thrust23THRUST_200600_302600_NS6detail15normal_iteratorINS9_10device_ptrIfEEEESE_f11max_functorIfEfEEDaPvRmT3_T4_T5_mT6_P12ihipStream_tbENKUlT_T0_E_clISt17integral_constantIbLb0EEST_IbLb1EEEEDaSP_SQ_EUlSP_E_NS1_11comp_targetILNS1_3genE0ELNS1_11target_archE4294967295ELNS1_3gpuE0ELNS1_3repE0EEENS1_30default_config_static_selectorELNS0_4arch9wavefront6targetE1EEEvT1_, .Lfunc_end2069-_ZN7rocprim17ROCPRIM_400000_NS6detail17trampoline_kernelINS0_14default_configENS1_20scan_config_selectorIfEEZZNS1_9scan_implILNS1_25lookback_scan_determinismE0ELb1ELb1ES3_N6thrust23THRUST_200600_302600_NS6detail15normal_iteratorINS9_10device_ptrIfEEEESE_f11max_functorIfEfEEDaPvRmT3_T4_T5_mT6_P12ihipStream_tbENKUlT_T0_E_clISt17integral_constantIbLb0EEST_IbLb1EEEEDaSP_SQ_EUlSP_E_NS1_11comp_targetILNS1_3genE0ELNS1_11target_archE4294967295ELNS1_3gpuE0ELNS1_3repE0EEENS1_30default_config_static_selectorELNS0_4arch9wavefront6targetE1EEEvT1_
                                        ; -- End function
	.section	.AMDGPU.csdata,"",@progbits
; Kernel info:
; codeLenInByte = 0
; NumSgprs: 4
; NumVgprs: 0
; NumAgprs: 0
; TotalNumVgprs: 0
; ScratchSize: 0
; MemoryBound: 0
; FloatMode: 240
; IeeeMode: 1
; LDSByteSize: 0 bytes/workgroup (compile time only)
; SGPRBlocks: 0
; VGPRBlocks: 0
; NumSGPRsForWavesPerEU: 4
; NumVGPRsForWavesPerEU: 1
; AccumOffset: 4
; Occupancy: 8
; WaveLimiterHint : 0
; COMPUTE_PGM_RSRC2:SCRATCH_EN: 0
; COMPUTE_PGM_RSRC2:USER_SGPR: 6
; COMPUTE_PGM_RSRC2:TRAP_HANDLER: 0
; COMPUTE_PGM_RSRC2:TGID_X_EN: 1
; COMPUTE_PGM_RSRC2:TGID_Y_EN: 0
; COMPUTE_PGM_RSRC2:TGID_Z_EN: 0
; COMPUTE_PGM_RSRC2:TIDIG_COMP_CNT: 0
; COMPUTE_PGM_RSRC3_GFX90A:ACCUM_OFFSET: 0
; COMPUTE_PGM_RSRC3_GFX90A:TG_SPLIT: 0
	.section	.text._ZN7rocprim17ROCPRIM_400000_NS6detail17trampoline_kernelINS0_14default_configENS1_20scan_config_selectorIfEEZZNS1_9scan_implILNS1_25lookback_scan_determinismE0ELb1ELb1ES3_N6thrust23THRUST_200600_302600_NS6detail15normal_iteratorINS9_10device_ptrIfEEEESE_f11max_functorIfEfEEDaPvRmT3_T4_T5_mT6_P12ihipStream_tbENKUlT_T0_E_clISt17integral_constantIbLb0EEST_IbLb1EEEEDaSP_SQ_EUlSP_E_NS1_11comp_targetILNS1_3genE5ELNS1_11target_archE942ELNS1_3gpuE9ELNS1_3repE0EEENS1_30default_config_static_selectorELNS0_4arch9wavefront6targetE1EEEvT1_,"axG",@progbits,_ZN7rocprim17ROCPRIM_400000_NS6detail17trampoline_kernelINS0_14default_configENS1_20scan_config_selectorIfEEZZNS1_9scan_implILNS1_25lookback_scan_determinismE0ELb1ELb1ES3_N6thrust23THRUST_200600_302600_NS6detail15normal_iteratorINS9_10device_ptrIfEEEESE_f11max_functorIfEfEEDaPvRmT3_T4_T5_mT6_P12ihipStream_tbENKUlT_T0_E_clISt17integral_constantIbLb0EEST_IbLb1EEEEDaSP_SQ_EUlSP_E_NS1_11comp_targetILNS1_3genE5ELNS1_11target_archE942ELNS1_3gpuE9ELNS1_3repE0EEENS1_30default_config_static_selectorELNS0_4arch9wavefront6targetE1EEEvT1_,comdat
	.protected	_ZN7rocprim17ROCPRIM_400000_NS6detail17trampoline_kernelINS0_14default_configENS1_20scan_config_selectorIfEEZZNS1_9scan_implILNS1_25lookback_scan_determinismE0ELb1ELb1ES3_N6thrust23THRUST_200600_302600_NS6detail15normal_iteratorINS9_10device_ptrIfEEEESE_f11max_functorIfEfEEDaPvRmT3_T4_T5_mT6_P12ihipStream_tbENKUlT_T0_E_clISt17integral_constantIbLb0EEST_IbLb1EEEEDaSP_SQ_EUlSP_E_NS1_11comp_targetILNS1_3genE5ELNS1_11target_archE942ELNS1_3gpuE9ELNS1_3repE0EEENS1_30default_config_static_selectorELNS0_4arch9wavefront6targetE1EEEvT1_ ; -- Begin function _ZN7rocprim17ROCPRIM_400000_NS6detail17trampoline_kernelINS0_14default_configENS1_20scan_config_selectorIfEEZZNS1_9scan_implILNS1_25lookback_scan_determinismE0ELb1ELb1ES3_N6thrust23THRUST_200600_302600_NS6detail15normal_iteratorINS9_10device_ptrIfEEEESE_f11max_functorIfEfEEDaPvRmT3_T4_T5_mT6_P12ihipStream_tbENKUlT_T0_E_clISt17integral_constantIbLb0EEST_IbLb1EEEEDaSP_SQ_EUlSP_E_NS1_11comp_targetILNS1_3genE5ELNS1_11target_archE942ELNS1_3gpuE9ELNS1_3repE0EEENS1_30default_config_static_selectorELNS0_4arch9wavefront6targetE1EEEvT1_
	.globl	_ZN7rocprim17ROCPRIM_400000_NS6detail17trampoline_kernelINS0_14default_configENS1_20scan_config_selectorIfEEZZNS1_9scan_implILNS1_25lookback_scan_determinismE0ELb1ELb1ES3_N6thrust23THRUST_200600_302600_NS6detail15normal_iteratorINS9_10device_ptrIfEEEESE_f11max_functorIfEfEEDaPvRmT3_T4_T5_mT6_P12ihipStream_tbENKUlT_T0_E_clISt17integral_constantIbLb0EEST_IbLb1EEEEDaSP_SQ_EUlSP_E_NS1_11comp_targetILNS1_3genE5ELNS1_11target_archE942ELNS1_3gpuE9ELNS1_3repE0EEENS1_30default_config_static_selectorELNS0_4arch9wavefront6targetE1EEEvT1_
	.p2align	8
	.type	_ZN7rocprim17ROCPRIM_400000_NS6detail17trampoline_kernelINS0_14default_configENS1_20scan_config_selectorIfEEZZNS1_9scan_implILNS1_25lookback_scan_determinismE0ELb1ELb1ES3_N6thrust23THRUST_200600_302600_NS6detail15normal_iteratorINS9_10device_ptrIfEEEESE_f11max_functorIfEfEEDaPvRmT3_T4_T5_mT6_P12ihipStream_tbENKUlT_T0_E_clISt17integral_constantIbLb0EEST_IbLb1EEEEDaSP_SQ_EUlSP_E_NS1_11comp_targetILNS1_3genE5ELNS1_11target_archE942ELNS1_3gpuE9ELNS1_3repE0EEENS1_30default_config_static_selectorELNS0_4arch9wavefront6targetE1EEEvT1_,@function
_ZN7rocprim17ROCPRIM_400000_NS6detail17trampoline_kernelINS0_14default_configENS1_20scan_config_selectorIfEEZZNS1_9scan_implILNS1_25lookback_scan_determinismE0ELb1ELb1ES3_N6thrust23THRUST_200600_302600_NS6detail15normal_iteratorINS9_10device_ptrIfEEEESE_f11max_functorIfEfEEDaPvRmT3_T4_T5_mT6_P12ihipStream_tbENKUlT_T0_E_clISt17integral_constantIbLb0EEST_IbLb1EEEEDaSP_SQ_EUlSP_E_NS1_11comp_targetILNS1_3genE5ELNS1_11target_archE942ELNS1_3gpuE9ELNS1_3repE0EEENS1_30default_config_static_selectorELNS0_4arch9wavefront6targetE1EEEvT1_: ; @_ZN7rocprim17ROCPRIM_400000_NS6detail17trampoline_kernelINS0_14default_configENS1_20scan_config_selectorIfEEZZNS1_9scan_implILNS1_25lookback_scan_determinismE0ELb1ELb1ES3_N6thrust23THRUST_200600_302600_NS6detail15normal_iteratorINS9_10device_ptrIfEEEESE_f11max_functorIfEfEEDaPvRmT3_T4_T5_mT6_P12ihipStream_tbENKUlT_T0_E_clISt17integral_constantIbLb0EEST_IbLb1EEEEDaSP_SQ_EUlSP_E_NS1_11comp_targetILNS1_3genE5ELNS1_11target_archE942ELNS1_3gpuE9ELNS1_3repE0EEENS1_30default_config_static_selectorELNS0_4arch9wavefront6targetE1EEEvT1_
; %bb.0:
	.section	.rodata,"a",@progbits
	.p2align	6, 0x0
	.amdhsa_kernel _ZN7rocprim17ROCPRIM_400000_NS6detail17trampoline_kernelINS0_14default_configENS1_20scan_config_selectorIfEEZZNS1_9scan_implILNS1_25lookback_scan_determinismE0ELb1ELb1ES3_N6thrust23THRUST_200600_302600_NS6detail15normal_iteratorINS9_10device_ptrIfEEEESE_f11max_functorIfEfEEDaPvRmT3_T4_T5_mT6_P12ihipStream_tbENKUlT_T0_E_clISt17integral_constantIbLb0EEST_IbLb1EEEEDaSP_SQ_EUlSP_E_NS1_11comp_targetILNS1_3genE5ELNS1_11target_archE942ELNS1_3gpuE9ELNS1_3repE0EEENS1_30default_config_static_selectorELNS0_4arch9wavefront6targetE1EEEvT1_
		.amdhsa_group_segment_fixed_size 0
		.amdhsa_private_segment_fixed_size 0
		.amdhsa_kernarg_size 96
		.amdhsa_user_sgpr_count 6
		.amdhsa_user_sgpr_private_segment_buffer 1
		.amdhsa_user_sgpr_dispatch_ptr 0
		.amdhsa_user_sgpr_queue_ptr 0
		.amdhsa_user_sgpr_kernarg_segment_ptr 1
		.amdhsa_user_sgpr_dispatch_id 0
		.amdhsa_user_sgpr_flat_scratch_init 0
		.amdhsa_user_sgpr_kernarg_preload_length 0
		.amdhsa_user_sgpr_kernarg_preload_offset 0
		.amdhsa_user_sgpr_private_segment_size 0
		.amdhsa_uses_dynamic_stack 0
		.amdhsa_system_sgpr_private_segment_wavefront_offset 0
		.amdhsa_system_sgpr_workgroup_id_x 1
		.amdhsa_system_sgpr_workgroup_id_y 0
		.amdhsa_system_sgpr_workgroup_id_z 0
		.amdhsa_system_sgpr_workgroup_info 0
		.amdhsa_system_vgpr_workitem_id 0
		.amdhsa_next_free_vgpr 1
		.amdhsa_next_free_sgpr 0
		.amdhsa_accum_offset 4
		.amdhsa_reserve_vcc 0
		.amdhsa_reserve_flat_scratch 0
		.amdhsa_float_round_mode_32 0
		.amdhsa_float_round_mode_16_64 0
		.amdhsa_float_denorm_mode_32 3
		.amdhsa_float_denorm_mode_16_64 3
		.amdhsa_dx10_clamp 1
		.amdhsa_ieee_mode 1
		.amdhsa_fp16_overflow 0
		.amdhsa_tg_split 0
		.amdhsa_exception_fp_ieee_invalid_op 0
		.amdhsa_exception_fp_denorm_src 0
		.amdhsa_exception_fp_ieee_div_zero 0
		.amdhsa_exception_fp_ieee_overflow 0
		.amdhsa_exception_fp_ieee_underflow 0
		.amdhsa_exception_fp_ieee_inexact 0
		.amdhsa_exception_int_div_zero 0
	.end_amdhsa_kernel
	.section	.text._ZN7rocprim17ROCPRIM_400000_NS6detail17trampoline_kernelINS0_14default_configENS1_20scan_config_selectorIfEEZZNS1_9scan_implILNS1_25lookback_scan_determinismE0ELb1ELb1ES3_N6thrust23THRUST_200600_302600_NS6detail15normal_iteratorINS9_10device_ptrIfEEEESE_f11max_functorIfEfEEDaPvRmT3_T4_T5_mT6_P12ihipStream_tbENKUlT_T0_E_clISt17integral_constantIbLb0EEST_IbLb1EEEEDaSP_SQ_EUlSP_E_NS1_11comp_targetILNS1_3genE5ELNS1_11target_archE942ELNS1_3gpuE9ELNS1_3repE0EEENS1_30default_config_static_selectorELNS0_4arch9wavefront6targetE1EEEvT1_,"axG",@progbits,_ZN7rocprim17ROCPRIM_400000_NS6detail17trampoline_kernelINS0_14default_configENS1_20scan_config_selectorIfEEZZNS1_9scan_implILNS1_25lookback_scan_determinismE0ELb1ELb1ES3_N6thrust23THRUST_200600_302600_NS6detail15normal_iteratorINS9_10device_ptrIfEEEESE_f11max_functorIfEfEEDaPvRmT3_T4_T5_mT6_P12ihipStream_tbENKUlT_T0_E_clISt17integral_constantIbLb0EEST_IbLb1EEEEDaSP_SQ_EUlSP_E_NS1_11comp_targetILNS1_3genE5ELNS1_11target_archE942ELNS1_3gpuE9ELNS1_3repE0EEENS1_30default_config_static_selectorELNS0_4arch9wavefront6targetE1EEEvT1_,comdat
.Lfunc_end2070:
	.size	_ZN7rocprim17ROCPRIM_400000_NS6detail17trampoline_kernelINS0_14default_configENS1_20scan_config_selectorIfEEZZNS1_9scan_implILNS1_25lookback_scan_determinismE0ELb1ELb1ES3_N6thrust23THRUST_200600_302600_NS6detail15normal_iteratorINS9_10device_ptrIfEEEESE_f11max_functorIfEfEEDaPvRmT3_T4_T5_mT6_P12ihipStream_tbENKUlT_T0_E_clISt17integral_constantIbLb0EEST_IbLb1EEEEDaSP_SQ_EUlSP_E_NS1_11comp_targetILNS1_3genE5ELNS1_11target_archE942ELNS1_3gpuE9ELNS1_3repE0EEENS1_30default_config_static_selectorELNS0_4arch9wavefront6targetE1EEEvT1_, .Lfunc_end2070-_ZN7rocprim17ROCPRIM_400000_NS6detail17trampoline_kernelINS0_14default_configENS1_20scan_config_selectorIfEEZZNS1_9scan_implILNS1_25lookback_scan_determinismE0ELb1ELb1ES3_N6thrust23THRUST_200600_302600_NS6detail15normal_iteratorINS9_10device_ptrIfEEEESE_f11max_functorIfEfEEDaPvRmT3_T4_T5_mT6_P12ihipStream_tbENKUlT_T0_E_clISt17integral_constantIbLb0EEST_IbLb1EEEEDaSP_SQ_EUlSP_E_NS1_11comp_targetILNS1_3genE5ELNS1_11target_archE942ELNS1_3gpuE9ELNS1_3repE0EEENS1_30default_config_static_selectorELNS0_4arch9wavefront6targetE1EEEvT1_
                                        ; -- End function
	.section	.AMDGPU.csdata,"",@progbits
; Kernel info:
; codeLenInByte = 0
; NumSgprs: 4
; NumVgprs: 0
; NumAgprs: 0
; TotalNumVgprs: 0
; ScratchSize: 0
; MemoryBound: 0
; FloatMode: 240
; IeeeMode: 1
; LDSByteSize: 0 bytes/workgroup (compile time only)
; SGPRBlocks: 0
; VGPRBlocks: 0
; NumSGPRsForWavesPerEU: 4
; NumVGPRsForWavesPerEU: 1
; AccumOffset: 4
; Occupancy: 8
; WaveLimiterHint : 0
; COMPUTE_PGM_RSRC2:SCRATCH_EN: 0
; COMPUTE_PGM_RSRC2:USER_SGPR: 6
; COMPUTE_PGM_RSRC2:TRAP_HANDLER: 0
; COMPUTE_PGM_RSRC2:TGID_X_EN: 1
; COMPUTE_PGM_RSRC2:TGID_Y_EN: 0
; COMPUTE_PGM_RSRC2:TGID_Z_EN: 0
; COMPUTE_PGM_RSRC2:TIDIG_COMP_CNT: 0
; COMPUTE_PGM_RSRC3_GFX90A:ACCUM_OFFSET: 0
; COMPUTE_PGM_RSRC3_GFX90A:TG_SPLIT: 0
	.section	.text._ZN7rocprim17ROCPRIM_400000_NS6detail17trampoline_kernelINS0_14default_configENS1_20scan_config_selectorIfEEZZNS1_9scan_implILNS1_25lookback_scan_determinismE0ELb1ELb1ES3_N6thrust23THRUST_200600_302600_NS6detail15normal_iteratorINS9_10device_ptrIfEEEESE_f11max_functorIfEfEEDaPvRmT3_T4_T5_mT6_P12ihipStream_tbENKUlT_T0_E_clISt17integral_constantIbLb0EEST_IbLb1EEEEDaSP_SQ_EUlSP_E_NS1_11comp_targetILNS1_3genE4ELNS1_11target_archE910ELNS1_3gpuE8ELNS1_3repE0EEENS1_30default_config_static_selectorELNS0_4arch9wavefront6targetE1EEEvT1_,"axG",@progbits,_ZN7rocprim17ROCPRIM_400000_NS6detail17trampoline_kernelINS0_14default_configENS1_20scan_config_selectorIfEEZZNS1_9scan_implILNS1_25lookback_scan_determinismE0ELb1ELb1ES3_N6thrust23THRUST_200600_302600_NS6detail15normal_iteratorINS9_10device_ptrIfEEEESE_f11max_functorIfEfEEDaPvRmT3_T4_T5_mT6_P12ihipStream_tbENKUlT_T0_E_clISt17integral_constantIbLb0EEST_IbLb1EEEEDaSP_SQ_EUlSP_E_NS1_11comp_targetILNS1_3genE4ELNS1_11target_archE910ELNS1_3gpuE8ELNS1_3repE0EEENS1_30default_config_static_selectorELNS0_4arch9wavefront6targetE1EEEvT1_,comdat
	.protected	_ZN7rocprim17ROCPRIM_400000_NS6detail17trampoline_kernelINS0_14default_configENS1_20scan_config_selectorIfEEZZNS1_9scan_implILNS1_25lookback_scan_determinismE0ELb1ELb1ES3_N6thrust23THRUST_200600_302600_NS6detail15normal_iteratorINS9_10device_ptrIfEEEESE_f11max_functorIfEfEEDaPvRmT3_T4_T5_mT6_P12ihipStream_tbENKUlT_T0_E_clISt17integral_constantIbLb0EEST_IbLb1EEEEDaSP_SQ_EUlSP_E_NS1_11comp_targetILNS1_3genE4ELNS1_11target_archE910ELNS1_3gpuE8ELNS1_3repE0EEENS1_30default_config_static_selectorELNS0_4arch9wavefront6targetE1EEEvT1_ ; -- Begin function _ZN7rocprim17ROCPRIM_400000_NS6detail17trampoline_kernelINS0_14default_configENS1_20scan_config_selectorIfEEZZNS1_9scan_implILNS1_25lookback_scan_determinismE0ELb1ELb1ES3_N6thrust23THRUST_200600_302600_NS6detail15normal_iteratorINS9_10device_ptrIfEEEESE_f11max_functorIfEfEEDaPvRmT3_T4_T5_mT6_P12ihipStream_tbENKUlT_T0_E_clISt17integral_constantIbLb0EEST_IbLb1EEEEDaSP_SQ_EUlSP_E_NS1_11comp_targetILNS1_3genE4ELNS1_11target_archE910ELNS1_3gpuE8ELNS1_3repE0EEENS1_30default_config_static_selectorELNS0_4arch9wavefront6targetE1EEEvT1_
	.globl	_ZN7rocprim17ROCPRIM_400000_NS6detail17trampoline_kernelINS0_14default_configENS1_20scan_config_selectorIfEEZZNS1_9scan_implILNS1_25lookback_scan_determinismE0ELb1ELb1ES3_N6thrust23THRUST_200600_302600_NS6detail15normal_iteratorINS9_10device_ptrIfEEEESE_f11max_functorIfEfEEDaPvRmT3_T4_T5_mT6_P12ihipStream_tbENKUlT_T0_E_clISt17integral_constantIbLb0EEST_IbLb1EEEEDaSP_SQ_EUlSP_E_NS1_11comp_targetILNS1_3genE4ELNS1_11target_archE910ELNS1_3gpuE8ELNS1_3repE0EEENS1_30default_config_static_selectorELNS0_4arch9wavefront6targetE1EEEvT1_
	.p2align	8
	.type	_ZN7rocprim17ROCPRIM_400000_NS6detail17trampoline_kernelINS0_14default_configENS1_20scan_config_selectorIfEEZZNS1_9scan_implILNS1_25lookback_scan_determinismE0ELb1ELb1ES3_N6thrust23THRUST_200600_302600_NS6detail15normal_iteratorINS9_10device_ptrIfEEEESE_f11max_functorIfEfEEDaPvRmT3_T4_T5_mT6_P12ihipStream_tbENKUlT_T0_E_clISt17integral_constantIbLb0EEST_IbLb1EEEEDaSP_SQ_EUlSP_E_NS1_11comp_targetILNS1_3genE4ELNS1_11target_archE910ELNS1_3gpuE8ELNS1_3repE0EEENS1_30default_config_static_selectorELNS0_4arch9wavefront6targetE1EEEvT1_,@function
_ZN7rocprim17ROCPRIM_400000_NS6detail17trampoline_kernelINS0_14default_configENS1_20scan_config_selectorIfEEZZNS1_9scan_implILNS1_25lookback_scan_determinismE0ELb1ELb1ES3_N6thrust23THRUST_200600_302600_NS6detail15normal_iteratorINS9_10device_ptrIfEEEESE_f11max_functorIfEfEEDaPvRmT3_T4_T5_mT6_P12ihipStream_tbENKUlT_T0_E_clISt17integral_constantIbLb0EEST_IbLb1EEEEDaSP_SQ_EUlSP_E_NS1_11comp_targetILNS1_3genE4ELNS1_11target_archE910ELNS1_3gpuE8ELNS1_3repE0EEENS1_30default_config_static_selectorELNS0_4arch9wavefront6targetE1EEEvT1_: ; @_ZN7rocprim17ROCPRIM_400000_NS6detail17trampoline_kernelINS0_14default_configENS1_20scan_config_selectorIfEEZZNS1_9scan_implILNS1_25lookback_scan_determinismE0ELb1ELb1ES3_N6thrust23THRUST_200600_302600_NS6detail15normal_iteratorINS9_10device_ptrIfEEEESE_f11max_functorIfEfEEDaPvRmT3_T4_T5_mT6_P12ihipStream_tbENKUlT_T0_E_clISt17integral_constantIbLb0EEST_IbLb1EEEEDaSP_SQ_EUlSP_E_NS1_11comp_targetILNS1_3genE4ELNS1_11target_archE910ELNS1_3gpuE8ELNS1_3repE0EEENS1_30default_config_static_selectorELNS0_4arch9wavefront6targetE1EEEvT1_
; %bb.0:
	s_load_dword s35, s[4:5], 0x20
	s_load_dwordx2 s[28:29], s[4:5], 0x28
	v_cmp_ne_u32_e64 s[2:3], 0, v0
	v_cmp_eq_u32_e64 s[0:1], 0, v0
	s_and_saveexec_b64 s[6:7], s[0:1]
	s_cbranch_execz .LBB2071_4
; %bb.1:
	s_mov_b64 s[10:11], exec
	v_mbcnt_lo_u32_b32 v1, s10, 0
	v_mbcnt_hi_u32_b32 v1, s11, v1
	v_cmp_eq_u32_e32 vcc, 0, v1
                                        ; implicit-def: $vgpr2
	s_and_saveexec_b64 s[8:9], vcc
	s_cbranch_execz .LBB2071_3
; %bb.2:
	s_load_dwordx2 s[12:13], s[4:5], 0x58
	s_bcnt1_i32_b64 s10, s[10:11]
	v_mov_b32_e32 v2, 0
	v_mov_b32_e32 v3, s10
	s_waitcnt lgkmcnt(0)
	global_atomic_add v2, v2, v3, s[12:13] glc
.LBB2071_3:
	s_or_b64 exec, exec, s[8:9]
	s_waitcnt vmcnt(0)
	v_readfirstlane_b32 s8, v2
	v_add_u32_e32 v1, s8, v1
	v_mov_b32_e32 v2, 0
	ds_write_b32 v2, v1
.LBB2071_4:
	s_or_b64 exec, exec, s[6:7]
	s_load_dwordx8 s[20:27], s[4:5], 0x0
	s_load_dword s6, s[4:5], 0x30
	s_load_dwordx8 s[12:19], s[4:5], 0x38
	v_mov_b32_e32 v1, 0
	s_waitcnt lgkmcnt(0)
	s_barrier
	ds_read_b32 v1, v1
	s_lshl_b64 s[22:23], s[22:23], 2
	s_add_u32 s36, s20, s22
	s_addc_u32 s37, s21, s23
	s_add_i32 s6, s6, -1
	s_mul_i32 s7, s6, 0x700
	s_sub_u32 s33, s26, s7
	s_waitcnt lgkmcnt(0)
	v_readfirstlane_b32 s38, v1
	s_subb_u32 s34, s27, 0
	s_mul_i32 s4, s38, 0x700
	s_mov_b32 s5, 0
	s_cmp_lg_u32 s38, s6
	s_cselect_b64 s[20:21], -1, 0
	s_lshl_b64 s[26:27], s[4:5], 2
	s_add_u32 s6, s36, s26
	s_addc_u32 s7, s37, s27
	s_mov_b64 s[4:5], -1
	s_and_b64 vcc, exec, s[20:21]
	v_lshlrev_b32_e32 v32, 2, v0
	s_barrier
	s_cbranch_vccz .LBB2071_6
; %bb.5:
	v_mov_b32_e32 v1, s7
	v_add_co_u32_e32 v2, vcc, s6, v32
	v_addc_co_u32_e32 v3, vcc, 0, v1, vcc
	flat_load_dword v1, v[2:3]
	flat_load_dword v4, v[2:3] offset:512
	flat_load_dword v5, v[2:3] offset:1024
	;; [unrolled: 1-line block ×7, first 2 shown]
	v_add_co_u32_e32 v2, vcc, 0x1000, v2
	v_addc_co_u32_e32 v3, vcc, 0, v3, vcc
	flat_load_dword v11, v[2:3]
	flat_load_dword v12, v[2:3] offset:512
	flat_load_dword v13, v[2:3] offset:1024
	;; [unrolled: 1-line block ×5, first 2 shown]
	s_mov_b64 s[4:5], 0
	s_waitcnt vmcnt(0) lgkmcnt(0)
	ds_write2st64_b32 v32, v1, v4 offset1:2
	ds_write2st64_b32 v32, v5, v6 offset0:4 offset1:6
	ds_write2st64_b32 v32, v7, v8 offset0:8 offset1:10
	ds_write2st64_b32 v32, v9, v10 offset0:12 offset1:14
	ds_write2st64_b32 v32, v11, v12 offset0:16 offset1:18
	ds_write2st64_b32 v32, v13, v14 offset0:20 offset1:22
	ds_write2st64_b32 v32, v15, v16 offset0:24 offset1:26
	s_waitcnt lgkmcnt(0)
	s_barrier
.LBB2071_6:
	s_andn2_b64 vcc, exec, s[4:5]
	v_cmp_gt_u32_e64 s[4:5], s33, v0
	s_cbranch_vccnz .LBB2071_36
; %bb.7:
	v_pk_mov_b32 v[2:3], s[6:7], s[6:7] op_sel:[0,1]
	flat_load_dword v1, v[2:3]
	s_waitcnt vmcnt(0) lgkmcnt(0)
	v_mov_b32_e32 v2, v1
	v_mov_b32_e32 v3, v1
	;; [unrolled: 1-line block ×12, first 2 shown]
	v_pk_mov_b32 v[16:17], v[14:15], v[14:15] op_sel:[0,1]
	v_pk_mov_b32 v[14:15], v[12:13], v[12:13] op_sel:[0,1]
	;; [unrolled: 1-line block ×8, first 2 shown]
	s_and_saveexec_b64 s[8:9], s[4:5]
	s_cbranch_execz .LBB2071_9
; %bb.8:
	v_mov_b32_e32 v3, s7
	v_add_co_u32_e32 v2, vcc, s6, v32
	v_addc_co_u32_e32 v3, vcc, 0, v3, vcc
	flat_load_dword v18, v[2:3]
	v_mov_b32_e32 v2, v1
	v_mov_b32_e32 v3, v1
	;; [unrolled: 1-line block ×12, first 2 shown]
	v_pk_mov_b32 v[16:17], v[14:15], v[14:15] op_sel:[0,1]
	v_pk_mov_b32 v[14:15], v[12:13], v[12:13] op_sel:[0,1]
	v_pk_mov_b32 v[12:13], v[10:11], v[10:11] op_sel:[0,1]
	v_pk_mov_b32 v[10:11], v[8:9], v[8:9] op_sel:[0,1]
	v_pk_mov_b32 v[8:9], v[6:7], v[6:7] op_sel:[0,1]
	v_pk_mov_b32 v[6:7], v[4:5], v[4:5] op_sel:[0,1]
	v_pk_mov_b32 v[4:5], v[2:3], v[2:3] op_sel:[0,1]
	v_pk_mov_b32 v[2:3], v[0:1], v[0:1] op_sel:[0,1]
	s_waitcnt vmcnt(0) lgkmcnt(0)
	v_mov_b32_e32 v1, v18
.LBB2071_9:
	s_or_b64 exec, exec, s[8:9]
	v_or_b32_e32 v2, 0x80, v0
	v_cmp_gt_u32_e32 vcc, s33, v2
	s_and_saveexec_b64 s[4:5], vcc
	s_cbranch_execz .LBB2071_11
; %bb.10:
	v_mov_b32_e32 v3, s7
	v_add_co_u32_e32 v2, vcc, s6, v32
	v_addc_co_u32_e32 v3, vcc, 0, v3, vcc
	flat_load_dword v3, v[2:3] offset:512
.LBB2071_11:
	s_or_b64 exec, exec, s[4:5]
	v_or_b32_e32 v2, 0x100, v0
	v_cmp_gt_u32_e32 vcc, s33, v2
	s_and_saveexec_b64 s[4:5], vcc
	s_cbranch_execz .LBB2071_13
; %bb.12:
	v_mov_b32_e32 v2, s7
	v_add_co_u32_e32 v16, vcc, s6, v32
	v_addc_co_u32_e32 v17, vcc, 0, v2, vcc
	flat_load_dword v4, v[16:17] offset:1024
.LBB2071_13:
	;; [unrolled: 11-line block ×7, first 2 shown]
	s_or_b64 exec, exec, s[4:5]
	v_or_b32_e32 v2, 0x400, v0
	v_cmp_gt_u32_e32 vcc, s33, v2
	s_and_saveexec_b64 s[4:5], vcc
	s_cbranch_execz .LBB2071_25
; %bb.24:
	v_lshlrev_b32_e32 v2, 2, v2
	v_mov_b32_e32 v10, s7
	v_add_co_u32_e32 v16, vcc, s6, v2
	v_addc_co_u32_e32 v17, vcc, 0, v10, vcc
	flat_load_dword v10, v[16:17]
.LBB2071_25:
	s_or_b64 exec, exec, s[4:5]
	v_or_b32_e32 v2, 0x480, v0
	v_cmp_gt_u32_e32 vcc, s33, v2
	s_and_saveexec_b64 s[4:5], vcc
	s_cbranch_execz .LBB2071_27
; %bb.26:
	v_lshlrev_b32_e32 v2, 2, v2
	v_mov_b32_e32 v11, s7
	v_add_co_u32_e32 v16, vcc, s6, v2
	v_addc_co_u32_e32 v17, vcc, 0, v11, vcc
	flat_load_dword v11, v[16:17]
.LBB2071_27:
	;; [unrolled: 12-line block ×6, first 2 shown]
	s_or_b64 exec, exec, s[4:5]
	s_waitcnt vmcnt(0) lgkmcnt(0)
	ds_write2st64_b32 v32, v1, v3 offset1:2
	ds_write2st64_b32 v32, v4, v5 offset0:4 offset1:6
	ds_write2st64_b32 v32, v6, v7 offset0:8 offset1:10
	;; [unrolled: 1-line block ×6, first 2 shown]
	s_waitcnt lgkmcnt(0)
	s_barrier
.LBB2071_36:
	v_mul_u32_u24_e32 v33, 14, v0
	v_lshlrev_b32_e32 v34, 2, v33
	ds_read2_b64 v[26:29], v34 offset1:1
	ds_read2_b64 v[22:25], v34 offset0:2 offset1:3
	ds_read2_b64 v[18:21], v34 offset0:4 offset1:5
	ds_read_b64 v[30:31], v34 offset:48
	s_cmp_lg_u32 s38, 0
	s_waitcnt lgkmcnt(3)
	v_cmp_lt_f32_e64 s[4:5], v26, v27
	v_lshrrev_b32_e32 v1, 5, v0
	v_cmp_gt_u32_e32 vcc, 64, v0
	s_waitcnt lgkmcnt(0)
	s_barrier
	s_cbranch_scc0 .LBB2071_61
; %bb.37:
	v_cndmask_b32_e64 v2, v26, v27, s[4:5]
	v_cmp_lt_f32_e64 s[4:5], v2, v28
	v_cndmask_b32_e64 v2, v2, v28, s[4:5]
	v_cmp_lt_f32_e64 s[4:5], v2, v29
	;; [unrolled: 2-line block ×12, first 2 shown]
	v_cndmask_b32_e64 v12, v2, v31, s[4:5]
	v_add_lshl_u32 v2, v1, v0, 2
	ds_write_b32 v2, v12
	s_waitcnt lgkmcnt(0)
	s_barrier
	s_and_saveexec_b64 s[30:31], vcc
	s_cbranch_execz .LBB2071_39
; %bb.38:
	v_lshlrev_b32_e32 v2, 1, v0
	v_lshrrev_b32_e32 v3, 4, v0
	v_add_lshl_u32 v4, v3, v2, 2
	ds_read2_b32 v[2:3], v4 offset1:1
	v_mbcnt_lo_u32_b32 v5, -1, 0
	v_mbcnt_hi_u32_b32 v5, -1, v5
	v_and_b32_e32 v6, 15, v5
	v_cmp_lt_u32_e64 s[10:11], 31, v5
	s_waitcnt lgkmcnt(0)
	v_cmp_lt_f32_e64 s[4:5], v2, v3
	v_cndmask_b32_e64 v3, v2, v3, s[4:5]
	v_cmp_gt_u32_e64 s[8:9], 32, v5
	s_nop 0
	v_mov_b32_dpp v7, v3 row_shr:1 row_mask:0xf bank_mask:0xf
	v_cmp_gt_f32_e64 s[4:5], v3, v7
	v_cndmask_b32_e64 v7, v7, v3, s[4:5]
	v_cmp_eq_u32_e64 s[4:5], 0, v6
	v_cndmask_b32_e64 v3, v7, v3, s[4:5]
	; wave barrier
	s_nop 1
	v_mov_b32_dpp v7, v3 row_shr:2 row_mask:0xf bank_mask:0xf
	v_cmp_gt_f32_e64 s[4:5], v3, v7
	v_cndmask_b32_e64 v7, v7, v3, s[4:5]
	v_cmp_lt_u32_e64 s[4:5], 1, v6
	v_cndmask_b32_e64 v7, v3, v7, s[4:5]
	s_nop 1
	v_mov_b32_dpp v8, v7 row_shr:4 row_mask:0xf bank_mask:0xf
	v_cmp_gt_f32_e64 s[6:7], v7, v8
	v_cndmask_b32_e64 v8, v8, v7, s[6:7]
	v_cmp_lt_u32_e64 s[6:7], 3, v6
	v_cndmask_b32_e64 v7, v7, v8, s[6:7]
	;; [unrolled: 6-line block ×3, first 2 shown]
	v_and_b32_e32 v8, 16, v5
	s_nop 0
	v_mov_b32_dpp v7, v6 row_bcast:15 row_mask:0xf bank_mask:0xf
	v_cmp_gt_f32_e64 s[6:7], v6, v7
	v_cndmask_b32_e64 v7, v7, v6, s[6:7]
	v_cmp_ne_u32_e64 s[6:7], 0, v8
	v_cndmask_b32_e64 v6, v6, v7, s[6:7]
	s_or_b64 s[10:11], s[6:7], s[10:11]
	s_or_b64 s[4:5], s[4:5], s[10:11]
	v_mov_b32_dpp v7, v6 row_bcast:31 row_mask:0xf bank_mask:0xf
	v_cmp_gt_f32_e64 s[6:7], v6, v7
	s_or_b64 s[6:7], s[8:9], s[6:7]
	v_cndmask_b32_e64 v6, v7, v6, s[6:7]
	v_cndmask_b32_e64 v3, v3, v6, s[4:5]
	v_add_u32_e32 v6, -1, v5
	v_and_b32_e32 v7, 64, v5
	v_cmp_lt_i32_e64 s[4:5], v6, v7
	v_cndmask_b32_e64 v5, v6, v5, s[4:5]
	v_lshlrev_b32_e32 v5, 2, v5
	ds_bpermute_b32 v3, v5, v3
	s_waitcnt lgkmcnt(0)
	v_cmp_gt_f32_e64 s[4:5], v2, v3
	v_cndmask_b32_e64 v2, v3, v2, s[4:5]
	v_cndmask_b32_e64 v2, v2, v12, s[0:1]
	ds_write_b32 v4, v2
	; wave barrier
	ds_read_b32 v3, v4 offset:4
	s_waitcnt lgkmcnt(0)
	v_cmp_lt_f32_e64 s[4:5], v2, v3
	v_cndmask_b32_e64 v2, v2, v3, s[4:5]
	ds_write_b32 v4, v2 offset:4
.LBB2071_39:
	s_or_b64 exec, exec, s[30:31]
	s_waitcnt lgkmcnt(0)
	s_barrier
	s_and_saveexec_b64 s[4:5], s[2:3]
	s_cbranch_execz .LBB2071_41
; %bb.40:
	v_add_u32_e32 v2, -1, v0
	v_lshrrev_b32_e32 v3, 5, v2
	v_add_lshl_u32 v2, v3, v2, 2
	ds_read_b32 v12, v2
.LBB2071_41:
	s_or_b64 exec, exec, s[4:5]
	s_and_saveexec_b64 s[10:11], vcc
	s_cbranch_execz .LBB2071_60
; %bb.42:
	v_mov_b32_e32 v9, 0
	ds_read_b32 v2, v9 offset:520
	v_mbcnt_lo_u32_b32 v3, -1, 0
	v_mbcnt_hi_u32_b32 v5, -1, v3
	s_mov_b32 s9, 0
	v_cmp_eq_u32_e64 s[4:5], 0, v5
	s_and_saveexec_b64 s[6:7], s[4:5]
	s_cbranch_execz .LBB2071_44
; %bb.43:
	s_add_i32 s8, s38, 64
	s_lshl_b64 s[8:9], s[8:9], 3
	s_add_u32 s8, s28, s8
	v_mov_b32_e32 v3, 1
	s_addc_u32 s9, s29, s9
	s_waitcnt lgkmcnt(0)
	global_store_dwordx2 v9, v[2:3], s[8:9]
.LBB2071_44:
	s_or_b64 exec, exec, s[6:7]
	v_xad_u32 v4, v5, -1, s38
	v_add_u32_e32 v8, 64, v4
	v_lshlrev_b64 v[6:7], 3, v[8:9]
	v_mov_b32_e32 v3, s29
	v_add_co_u32_e32 v10, vcc, s28, v6
	v_addc_co_u32_e32 v11, vcc, v3, v7, vcc
	global_load_dwordx2 v[6:7], v[10:11], off glc
	s_waitcnt vmcnt(0)
	v_cmp_eq_u16_sdwa s[8:9], v7, v9 src0_sel:BYTE_0 src1_sel:DWORD
	s_and_saveexec_b64 s[6:7], s[8:9]
	s_cbranch_execz .LBB2071_48
; %bb.45:
	s_mov_b64 s[8:9], 0
	v_mov_b32_e32 v3, 0
.LBB2071_46:                            ; =>This Inner Loop Header: Depth=1
	global_load_dwordx2 v[6:7], v[10:11], off glc
	s_waitcnt vmcnt(0)
	v_cmp_ne_u16_sdwa s[30:31], v7, v3 src0_sel:BYTE_0 src1_sel:DWORD
	s_or_b64 s[8:9], s[30:31], s[8:9]
	s_andn2_b64 exec, exec, s[8:9]
	s_cbranch_execnz .LBB2071_46
; %bb.47:
	s_or_b64 exec, exec, s[8:9]
.LBB2071_48:
	s_or_b64 exec, exec, s[6:7]
	v_and_b32_e32 v13, 63, v5
	v_cmp_ne_u32_e32 vcc, 63, v13
	v_addc_co_u32_e32 v14, vcc, 0, v5, vcc
	v_lshlrev_b32_e32 v14, 2, v14
	v_mov_b32_e32 v3, 2
	ds_bpermute_b32 v15, v14, v6
	v_cmp_eq_u16_sdwa s[6:7], v7, v3 src0_sel:BYTE_0 src1_sel:DWORD
	v_lshlrev_b64 v[8:9], v5, -1
	v_and_b32_e32 v10, s7, v9
	v_or_b32_e32 v10, 0x80000000, v10
	v_and_b32_e32 v11, s6, v8
	v_ffbl_b32_e32 v10, v10
	v_add_u32_e32 v10, 32, v10
	v_ffbl_b32_e32 v11, v11
	s_waitcnt lgkmcnt(0)
	v_cmp_lt_f32_e32 vcc, v15, v6
	v_cmp_gt_u32_e64 s[6:7], 62, v13
	v_min_u32_e32 v10, v11, v10
	v_cndmask_b32_e32 v11, v15, v6, vcc
	v_cndmask_b32_e64 v15, 0, 1, s[6:7]
	v_cmp_lt_u32_e32 vcc, v13, v10
	v_lshlrev_b32_e32 v15, 1, v15
	v_cndmask_b32_e32 v11, v6, v11, vcc
	v_add_lshl_u32 v15, v15, v5, 2
	ds_bpermute_b32 v17, v15, v11
	v_add_u32_e32 v16, 2, v13
	v_add_u32_e32 v35, 4, v13
	;; [unrolled: 1-line block ×4, first 2 shown]
	s_waitcnt lgkmcnt(0)
	v_cmp_gt_f32_e64 s[6:7], v11, v17
	v_cndmask_b32_e64 v17, v17, v11, s[6:7]
	v_cmp_gt_u32_e64 s[6:7], v16, v10
	v_cndmask_b32_e64 v11, v17, v11, s[6:7]
	v_cmp_gt_u32_e64 s[6:7], 60, v13
	v_cndmask_b32_e64 v17, 0, 1, s[6:7]
	v_lshlrev_b32_e32 v17, 2, v17
	v_add_lshl_u32 v17, v17, v5, 2
	ds_bpermute_b32 v36, v17, v11
	v_add_u32_e32 v42, 32, v13
	s_waitcnt lgkmcnt(0)
	v_cmp_gt_f32_e64 s[6:7], v11, v36
	v_cndmask_b32_e64 v36, v36, v11, s[6:7]
	v_cmp_gt_u32_e64 s[6:7], v35, v10
	v_cndmask_b32_e64 v11, v36, v11, s[6:7]
	v_cmp_gt_u32_e64 s[6:7], 56, v13
	v_cndmask_b32_e64 v36, 0, 1, s[6:7]
	v_lshlrev_b32_e32 v36, 3, v36
	v_add_lshl_u32 v36, v36, v5, 2
	ds_bpermute_b32 v38, v36, v11
	s_waitcnt lgkmcnt(0)
	v_cmp_gt_f32_e64 s[6:7], v11, v38
	v_cndmask_b32_e64 v38, v38, v11, s[6:7]
	v_cmp_gt_u32_e64 s[6:7], v37, v10
	v_cndmask_b32_e64 v11, v38, v11, s[6:7]
	v_cmp_gt_u32_e64 s[6:7], 48, v13
	v_cndmask_b32_e64 v38, 0, 1, s[6:7]
	v_lshlrev_b32_e32 v38, 4, v38
	v_add_lshl_u32 v38, v38, v5, 2
	ds_bpermute_b32 v39, v38, v11
	;; [unrolled: 10-line block ×3, first 2 shown]
	v_cmp_gt_u32_e64 s[6:7], v42, v10
	s_waitcnt lgkmcnt(0)
	v_cmp_gt_f32_e64 s[8:9], v11, v5
	s_or_b64 s[6:7], s[6:7], s[8:9]
	v_cndmask_b32_e64 v5, v5, v11, s[6:7]
	v_cndmask_b32_e32 v6, v6, v5, vcc
	v_mov_b32_e32 v5, 0
	s_branch .LBB2071_50
.LBB2071_49:                            ;   in Loop: Header=BB2071_50 Depth=1
	s_or_b64 exec, exec, s[6:7]
	v_cmp_eq_u16_sdwa s[6:7], v7, v3 src0_sel:BYTE_0 src1_sel:DWORD
	ds_bpermute_b32 v43, v14, v6
	v_and_b32_e32 v10, s7, v9
	v_or_b32_e32 v10, 0x80000000, v10
	v_and_b32_e32 v11, s6, v8
	v_ffbl_b32_e32 v10, v10
	v_add_u32_e32 v10, 32, v10
	v_ffbl_b32_e32 v11, v11
	v_min_u32_e32 v10, v11, v10
	s_waitcnt lgkmcnt(0)
	v_cmp_lt_f32_e32 vcc, v43, v6
	v_cndmask_b32_e32 v11, v43, v6, vcc
	v_cmp_lt_u32_e32 vcc, v13, v10
	v_cndmask_b32_e32 v11, v6, v11, vcc
	ds_bpermute_b32 v43, v15, v11
	v_subrev_u32_e32 v4, 64, v4
	s_waitcnt lgkmcnt(0)
	v_cmp_gt_f32_e64 s[6:7], v11, v43
	v_cndmask_b32_e64 v43, v43, v11, s[6:7]
	v_cmp_gt_u32_e64 s[6:7], v16, v10
	v_cndmask_b32_e64 v11, v43, v11, s[6:7]
	ds_bpermute_b32 v43, v17, v11
	s_waitcnt lgkmcnt(0)
	v_cmp_gt_f32_e64 s[6:7], v11, v43
	v_cndmask_b32_e64 v43, v43, v11, s[6:7]
	v_cmp_gt_u32_e64 s[6:7], v35, v10
	v_cndmask_b32_e64 v11, v43, v11, s[6:7]
	ds_bpermute_b32 v43, v36, v11
	;; [unrolled: 6-line block ×4, first 2 shown]
	v_cmp_gt_u32_e64 s[6:7], v42, v10
	s_waitcnt lgkmcnt(0)
	v_cmp_gt_f32_e64 s[8:9], v11, v43
	s_or_b64 s[6:7], s[6:7], s[8:9]
	v_cndmask_b32_e64 v10, v43, v11, s[6:7]
	v_cndmask_b32_e32 v6, v6, v10, vcc
	v_cmp_lt_f32_e32 vcc, v6, v39
	v_cndmask_b32_e32 v6, v6, v39, vcc
.LBB2071_50:                            ; =>This Loop Header: Depth=1
                                        ;     Child Loop BB2071_53 Depth 2
	v_cmp_ne_u16_sdwa s[6:7], v7, v3 src0_sel:BYTE_0 src1_sel:DWORD
	v_cndmask_b32_e64 v7, 0, 1, s[6:7]
	;;#ASMSTART
	;;#ASMEND
	v_cmp_ne_u32_e32 vcc, 0, v7
	s_cmp_lg_u64 vcc, exec
	v_mov_b32_e32 v39, v6
	s_cbranch_scc1 .LBB2071_55
; %bb.51:                               ;   in Loop: Header=BB2071_50 Depth=1
	v_lshlrev_b64 v[6:7], 3, v[4:5]
	v_mov_b32_e32 v11, s29
	v_add_co_u32_e32 v10, vcc, s28, v6
	v_addc_co_u32_e32 v11, vcc, v11, v7, vcc
	global_load_dwordx2 v[6:7], v[10:11], off glc
	s_waitcnt vmcnt(0)
	v_cmp_eq_u16_sdwa s[8:9], v7, v5 src0_sel:BYTE_0 src1_sel:DWORD
	s_and_saveexec_b64 s[6:7], s[8:9]
	s_cbranch_execz .LBB2071_49
; %bb.52:                               ;   in Loop: Header=BB2071_50 Depth=1
	s_mov_b64 s[8:9], 0
.LBB2071_53:                            ;   Parent Loop BB2071_50 Depth=1
                                        ; =>  This Inner Loop Header: Depth=2
	global_load_dwordx2 v[6:7], v[10:11], off glc
	s_waitcnt vmcnt(0)
	v_cmp_ne_u16_sdwa s[30:31], v7, v5 src0_sel:BYTE_0 src1_sel:DWORD
	s_or_b64 s[8:9], s[30:31], s[8:9]
	s_andn2_b64 exec, exec, s[8:9]
	s_cbranch_execnz .LBB2071_53
; %bb.54:                               ;   in Loop: Header=BB2071_50 Depth=1
	s_or_b64 exec, exec, s[8:9]
	s_branch .LBB2071_49
.LBB2071_55:                            ;   in Loop: Header=BB2071_50 Depth=1
                                        ; implicit-def: $vgpr6
                                        ; implicit-def: $vgpr7
	s_cbranch_execz .LBB2071_50
; %bb.56:
	s_and_saveexec_b64 s[6:7], s[4:5]
	s_cbranch_execz .LBB2071_58
; %bb.57:
	s_add_i32 s4, s38, 64
	s_mov_b32 s5, 0
	s_lshl_b64 s[4:5], s[4:5], 3
	v_cmp_lt_f32_e32 vcc, v39, v2
	s_add_u32 s4, s28, s4
	v_cndmask_b32_e32 v2, v39, v2, vcc
	v_mov_b32_e32 v3, 2
	s_addc_u32 s5, s29, s5
	v_mov_b32_e32 v4, 0
	global_store_dwordx2 v4, v[2:3], s[4:5]
.LBB2071_58:
	s_or_b64 exec, exec, s[6:7]
	s_and_b64 exec, exec, s[0:1]
	s_cbranch_execz .LBB2071_60
; %bb.59:
	v_mov_b32_e32 v2, 0
	ds_write_b32 v2, v39
.LBB2071_60:
	s_or_b64 exec, exec, s[10:11]
	v_mov_b32_e32 v2, 0
	s_waitcnt lgkmcnt(0)
	s_barrier
	ds_read_b32 v2, v2
	s_waitcnt lgkmcnt(0)
	v_cmp_lt_f32_e32 vcc, v2, v12
	v_cndmask_b32_e32 v3, v2, v12, vcc
	v_cndmask_b32_e64 v2, v3, v2, s[0:1]
	v_cmp_lt_f32_e32 vcc, v2, v26
	v_cndmask_b32_e32 v3, v2, v26, vcc
	v_cmp_lt_f32_e32 vcc, v3, v27
	v_cndmask_b32_e32 v4, v3, v27, vcc
	;; [unrolled: 2-line block ×13, first 2 shown]
	s_branch .LBB2071_71
.LBB2071_61:
                                        ; implicit-def: $vgpr2_vgpr3_vgpr4_vgpr5_vgpr6_vgpr7_vgpr8_vgpr9_vgpr10_vgpr11_vgpr12_vgpr13_vgpr14_vgpr15_vgpr16_vgpr17
	s_cbranch_execz .LBB2071_71
; %bb.62:
	s_cmp_eq_u64 s[16:17], 0
	v_mov_b32_e32 v16, s35
	s_cbranch_scc1 .LBB2071_64
; %bb.63:
	v_mov_b32_e32 v2, 0
	global_load_dword v4, v2, s[12:13]
	v_mov_b32_e32 v3, s37
	v_add_co_u32_e64 v2, vcc, -4, s36
	v_addc_co_u32_e32 v3, vcc, -1, v3, vcc
	flat_load_dword v2, v[2:3]
	s_waitcnt vmcnt(0) lgkmcnt(0)
	v_cmp_lt_f32_e32 vcc, v4, v2
	v_cndmask_b32_e32 v16, v4, v2, vcc
.LBB2071_64:
	v_cmp_lt_f32_e32 vcc, v26, v27
	v_cndmask_b32_e32 v2, v26, v27, vcc
	v_cmp_lt_f32_e32 vcc, v2, v28
	v_cndmask_b32_e32 v2, v2, v28, vcc
	;; [unrolled: 2-line block ×13, first 2 shown]
	v_add_lshl_u32 v1, v1, v0, 2
	v_cmp_gt_u32_e32 vcc, 64, v0
	ds_write_b32 v1, v2
	s_waitcnt lgkmcnt(0)
	s_barrier
	s_and_saveexec_b64 s[10:11], vcc
	s_cbranch_execz .LBB2071_66
; %bb.65:
	v_lshlrev_b32_e32 v1, 1, v0
	v_lshrrev_b32_e32 v3, 4, v0
	v_add_lshl_u32 v1, v3, v1, 2
	ds_read2_b32 v[4:5], v1 offset1:1
	v_mbcnt_lo_u32_b32 v3, -1, 0
	v_mbcnt_hi_u32_b32 v3, -1, v3
	v_and_b32_e32 v6, 15, v3
	v_cmp_lt_u32_e64 s[8:9], 31, v3
	s_waitcnt lgkmcnt(0)
	v_cmp_lt_f32_e32 vcc, v4, v5
	v_cndmask_b32_e32 v5, v4, v5, vcc
	v_cmp_gt_u32_e64 s[6:7], 32, v3
	s_nop 0
	v_mov_b32_dpp v7, v5 row_shr:1 row_mask:0xf bank_mask:0xf
	v_cmp_gt_f32_e32 vcc, v5, v7
	v_cndmask_b32_e32 v7, v7, v5, vcc
	v_cmp_eq_u32_e32 vcc, 0, v6
	v_cndmask_b32_e32 v5, v7, v5, vcc
	; wave barrier
	s_nop 1
	v_mov_b32_dpp v7, v5 row_shr:2 row_mask:0xf bank_mask:0xf
	v_cmp_gt_f32_e32 vcc, v5, v7
	v_cndmask_b32_e32 v7, v7, v5, vcc
	v_cmp_lt_u32_e32 vcc, 1, v6
	v_cndmask_b32_e32 v7, v5, v7, vcc
	s_nop 1
	v_mov_b32_dpp v8, v7 row_shr:4 row_mask:0xf bank_mask:0xf
	v_cmp_gt_f32_e64 s[4:5], v7, v8
	v_cndmask_b32_e64 v8, v8, v7, s[4:5]
	v_cmp_lt_u32_e64 s[4:5], 3, v6
	v_cndmask_b32_e64 v7, v7, v8, s[4:5]
	s_nop 1
	v_mov_b32_dpp v8, v7 row_shr:8 row_mask:0xf bank_mask:0xf
	v_cmp_gt_f32_e64 s[4:5], v7, v8
	v_cndmask_b32_e64 v8, v8, v7, s[4:5]
	v_cmp_lt_u32_e64 s[4:5], 7, v6
	v_cndmask_b32_e64 v6, v7, v8, s[4:5]
	v_and_b32_e32 v8, 16, v3
	s_nop 0
	v_mov_b32_dpp v7, v6 row_bcast:15 row_mask:0xf bank_mask:0xf
	v_cmp_gt_f32_e64 s[4:5], v6, v7
	v_cndmask_b32_e64 v7, v7, v6, s[4:5]
	v_cmp_ne_u32_e64 s[4:5], 0, v8
	v_cndmask_b32_e64 v6, v6, v7, s[4:5]
	s_or_b64 s[8:9], s[4:5], s[8:9]
	s_or_b64 vcc, vcc, s[8:9]
	v_mov_b32_dpp v7, v6 row_bcast:31 row_mask:0xf bank_mask:0xf
	v_cmp_gt_f32_e64 s[4:5], v6, v7
	s_or_b64 s[4:5], s[6:7], s[4:5]
	v_cndmask_b32_e64 v6, v7, v6, s[4:5]
	v_cndmask_b32_e32 v5, v5, v6, vcc
	v_add_u32_e32 v6, -1, v3
	v_and_b32_e32 v7, 64, v3
	v_cmp_lt_i32_e32 vcc, v6, v7
	v_cndmask_b32_e32 v3, v6, v3, vcc
	v_lshlrev_b32_e32 v3, 2, v3
	ds_bpermute_b32 v3, v3, v5
	s_waitcnt lgkmcnt(0)
	v_cmp_gt_f32_e32 vcc, v4, v3
	v_cndmask_b32_e32 v3, v3, v4, vcc
	v_cndmask_b32_e64 v2, v3, v2, s[0:1]
	ds_write_b32 v1, v2
	; wave barrier
	ds_read_b32 v3, v1 offset:4
	s_waitcnt lgkmcnt(0)
	v_cmp_lt_f32_e32 vcc, v2, v3
	v_cndmask_b32_e32 v2, v2, v3, vcc
	ds_write_b32 v1, v2 offset:4
.LBB2071_66:
	s_or_b64 exec, exec, s[10:11]
	v_mov_b32_e32 v2, v16
	s_waitcnt lgkmcnt(0)
	s_barrier
	s_and_saveexec_b64 s[4:5], s[2:3]
	s_cbranch_execz .LBB2071_68
; %bb.67:
	v_add_u32_e32 v1, -1, v0
	v_lshrrev_b32_e32 v2, 5, v1
	v_add_lshl_u32 v1, v2, v1, 2
	ds_read_b32 v1, v1
	s_waitcnt lgkmcnt(0)
	v_cmp_gt_f32_e32 vcc, v1, v16
	v_cndmask_b32_e32 v2, v16, v1, vcc
.LBB2071_68:
	s_or_b64 exec, exec, s[4:5]
	v_cmp_lt_f32_e32 vcc, v2, v26
	v_cndmask_b32_e32 v3, v2, v26, vcc
	v_cmp_lt_f32_e32 vcc, v3, v27
	v_cndmask_b32_e32 v4, v3, v27, vcc
	;; [unrolled: 2-line block ×13, first 2 shown]
	s_and_saveexec_b64 s[2:3], s[0:1]
	s_cbranch_execz .LBB2071_70
; %bb.69:
	v_mov_b32_e32 v1, 0
	ds_read_b32 v17, v1 offset:520
	s_waitcnt lgkmcnt(0)
	v_cmp_gt_f32_e32 vcc, v17, v16
	v_cndmask_b32_e32 v16, v16, v17, vcc
	v_mov_b32_e32 v17, 2
	global_store_dwordx2 v1, v[16:17], s[28:29] offset:512
.LBB2071_70:
	s_or_b64 exec, exec, s[2:3]
.LBB2071_71:
	s_add_u32 s0, s24, s22
	s_addc_u32 s1, s25, s23
	s_add_u32 s2, s0, s26
	s_addc_u32 s3, s1, s27
	s_mov_b64 s[0:1], -1
	s_and_b64 vcc, exec, s[20:21]
	s_barrier
	s_cbranch_vccz .LBB2071_73
; %bb.72:
	ds_write2_b64 v34, v[2:3], v[4:5] offset1:1
	ds_write2_b64 v34, v[6:7], v[8:9] offset0:2 offset1:3
	ds_write2_b64 v34, v[10:11], v[12:13] offset0:4 offset1:5
	ds_write_b64 v34, v[14:15] offset:48
	s_waitcnt lgkmcnt(0)
	s_barrier
	ds_read2st64_b32 v[16:17], v32 offset1:2
	ds_read2st64_b32 v[18:19], v32 offset0:4 offset1:6
	ds_read2st64_b32 v[20:21], v32 offset0:8 offset1:10
	;; [unrolled: 1-line block ×6, first 2 shown]
	v_mov_b32_e32 v1, s3
	v_add_co_u32_e32 v30, vcc, s2, v32
	v_addc_co_u32_e32 v31, vcc, 0, v1, vcc
	s_waitcnt lgkmcnt(6)
	flat_store_dword v[30:31], v16
	flat_store_dword v[30:31], v17 offset:512
	s_waitcnt lgkmcnt(0)
	flat_store_dword v[30:31], v18 offset:1024
	flat_store_dword v[30:31], v19 offset:1536
	;; [unrolled: 1-line block ×6, first 2 shown]
	v_add_co_u32_e32 v16, vcc, 0x1000, v30
	v_addc_co_u32_e32 v17, vcc, 0, v31, vcc
	flat_store_dword v[16:17], v24
	flat_store_dword v[16:17], v25 offset:512
	flat_store_dword v[16:17], v26 offset:1024
	flat_store_dword v[16:17], v27 offset:1536
	flat_store_dword v[16:17], v28 offset:2048
	flat_store_dword v[16:17], v29 offset:2560
	s_mov_b64 s[0:1], 0
.LBB2071_73:
	s_andn2_b64 vcc, exec, s[0:1]
	s_cbranch_vccnz .LBB2071_153
; %bb.74:
	s_movk_i32 s0, 0xffcc
	ds_write2_b64 v34, v[2:3], v[4:5] offset1:1
	ds_write2_b64 v34, v[6:7], v[8:9] offset0:2 offset1:3
	ds_write2_b64 v34, v[10:11], v[12:13] offset0:4 offset1:5
	ds_write_b64 v34, v[14:15] offset:48
	v_mad_i32_i24 v14, v0, s0, v34
	s_waitcnt lgkmcnt(0)
	s_barrier
	ds_read2st64_b32 v[4:5], v14 offset1:2
	ds_read2st64_b32 v[6:7], v14 offset0:4 offset1:6
	ds_read2st64_b32 v[8:9], v14 offset0:8 offset1:10
	;; [unrolled: 1-line block ×6, first 2 shown]
	v_mov_b32_e32 v17, s3
	v_add_co_u32_e32 v16, vcc, s2, v32
	v_addc_co_u32_e32 v17, vcc, 0, v17, vcc
	v_mov_b32_e32 v1, 0
	v_cmp_gt_u32_e32 vcc, s33, v0
	s_and_saveexec_b64 s[0:1], vcc
	s_cbranch_execz .LBB2071_76
; %bb.75:
	s_waitcnt lgkmcnt(0)
	flat_store_dword v[16:17], v4
.LBB2071_76:
	s_or_b64 exec, exec, s[0:1]
	v_or_b32_e32 v18, 0x80, v0
	v_cmp_gt_u32_e32 vcc, s33, v18
	s_and_saveexec_b64 s[0:1], vcc
	s_cbranch_execz .LBB2071_78
; %bb.77:
	s_waitcnt lgkmcnt(0)
	flat_store_dword v[16:17], v5 offset:512
.LBB2071_78:
	s_or_b64 exec, exec, s[0:1]
	v_or_b32_e32 v18, 0x100, v0
	v_cmp_gt_u32_e32 vcc, s33, v18
	s_and_saveexec_b64 s[0:1], vcc
	s_cbranch_execz .LBB2071_80
; %bb.79:
	s_waitcnt lgkmcnt(0)
	flat_store_dword v[16:17], v6 offset:1024
.LBB2071_80:
	;; [unrolled: 9-line block ×7, first 2 shown]
	s_or_b64 exec, exec, s[0:1]
	v_or_b32_e32 v18, 0x400, v0
	v_cmp_gt_u32_e32 vcc, s33, v18
	s_and_saveexec_b64 s[0:1], vcc
	s_cbranch_execz .LBB2071_92
; %bb.91:
	v_add_co_u32_e32 v18, vcc, 0x1000, v16
	v_addc_co_u32_e32 v19, vcc, 0, v17, vcc
	s_waitcnt lgkmcnt(0)
	flat_store_dword v[18:19], v12
.LBB2071_92:
	s_or_b64 exec, exec, s[0:1]
	v_or_b32_e32 v18, 0x480, v0
	v_cmp_gt_u32_e32 vcc, s33, v18
	s_and_saveexec_b64 s[0:1], vcc
	s_cbranch_execz .LBB2071_94
; %bb.93:
	v_add_co_u32_e32 v18, vcc, 0x1000, v16
	v_addc_co_u32_e32 v19, vcc, 0, v17, vcc
	s_waitcnt lgkmcnt(0)
	flat_store_dword v[18:19], v13 offset:512
.LBB2071_94:
	s_or_b64 exec, exec, s[0:1]
	v_or_b32_e32 v18, 0x500, v0
	v_cmp_gt_u32_e32 vcc, s33, v18
	s_and_saveexec_b64 s[0:1], vcc
	s_cbranch_execz .LBB2071_96
; %bb.95:
	v_add_co_u32_e32 v18, vcc, 0x1000, v16
	v_addc_co_u32_e32 v19, vcc, 0, v17, vcc
	s_waitcnt lgkmcnt(0)
	flat_store_dword v[18:19], v10 offset:1024
.LBB2071_96:
	;; [unrolled: 11-line block ×5, first 2 shown]
	s_or_b64 exec, exec, s[0:1]
	v_cmp_lt_u64_e64 s[0:1], s[18:19], 2
	s_and_b64 vcc, exec, s[0:1]
	s_cbranch_vccnz .LBB2071_153
; %bb.103:
	s_add_u32 s0, s33, -1
	s_addc_u32 s1, s34, -1
	s_add_u32 s2, 0, 0x49240800
	s_addc_u32 s3, 0, 50
	s_add_i32 s3, s3, 0x12492460
	s_mul_hi_u32 s7, s2, -14
	s_sub_i32 s7, s7, s2
	s_mul_i32 s8, s3, -14
	s_mul_i32 s4, s2, -14
	s_add_i32 s7, s7, s8
	s_mul_hi_u32 s5, s3, s4
	s_mul_i32 s6, s3, s4
	s_mul_i32 s9, s2, s7
	s_mul_hi_u32 s4, s2, s4
	s_mul_hi_u32 s8, s2, s7
	s_add_u32 s4, s4, s9
	s_addc_u32 s8, 0, s8
	s_add_u32 s4, s4, s6
	s_mul_hi_u32 s9, s3, s7
	s_addc_u32 s4, s8, s5
	s_addc_u32 s5, s9, 0
	s_mul_i32 s6, s3, s7
	s_add_u32 s4, s4, s6
	v_mov_b32_e32 v16, s4
	s_addc_u32 s5, 0, s5
	v_add_co_u32_e32 v16, vcc, s2, v16
	s_cmp_lg_u64 vcc, 0
	s_addc_u32 s2, s3, s5
	v_readfirstlane_b32 s5, v16
	s_mul_i32 s4, s0, s2
	s_mul_hi_u32 s6, s0, s5
	s_mul_hi_u32 s3, s0, s2
	s_add_u32 s4, s6, s4
	s_addc_u32 s3, 0, s3
	s_mul_hi_u32 s7, s1, s5
	s_mul_i32 s5, s1, s5
	s_add_u32 s4, s4, s5
	s_mul_hi_u32 s6, s1, s2
	s_addc_u32 s3, s3, s7
	s_addc_u32 s4, s6, 0
	s_mul_i32 s2, s1, s2
	s_add_u32 s2, s3, s2
	s_addc_u32 s3, 0, s4
	s_add_u32 s4, s2, 1
	s_addc_u32 s5, s3, 0
	s_add_u32 s6, s2, 2
	s_mul_i32 s8, s3, 14
	s_mul_hi_u32 s9, s2, 14
	s_addc_u32 s7, s3, 0
	s_add_i32 s9, s9, s8
	s_mul_i32 s8, s2, 14
	v_mov_b32_e32 v16, s8
	v_sub_co_u32_e32 v16, vcc, s0, v16
	s_cmp_lg_u64 vcc, 0
	s_subb_u32 s8, s1, s9
	v_subrev_co_u32_e32 v17, vcc, 14, v16
	s_cmp_lg_u64 vcc, 0
	s_subb_u32 s9, s8, 0
	v_readfirstlane_b32 s10, v17
	s_cmp_gt_u32 s10, 13
	s_cselect_b32 s10, -1, 0
	s_cmp_eq_u32 s9, 0
	s_cselect_b32 s9, s10, -1
	s_cmp_lg_u32 s9, 0
	s_cselect_b32 s4, s6, s4
	v_readfirstlane_b32 s6, v16
	s_cselect_b32 s5, s7, s5
	s_cmp_gt_u32 s6, 13
	s_cselect_b32 s6, -1, 0
	s_cmp_eq_u32 s8, 0
	s_cselect_b32 s6, s6, -1
	s_cmp_lg_u32 s6, 0
	s_cselect_b32 s3, s5, s3
	s_cselect_b32 s2, s4, s2
	v_cmp_eq_u64_e32 vcc, s[2:3], v[0:1]
	s_and_saveexec_b64 s[2:3], vcc
	s_cbranch_execz .LBB2071_153
; %bb.104:
	v_mul_hi_u32_u24_e32 v1, 14, v0
	v_mov_b32_e32 v16, s1
	v_sub_co_u32_e32 v0, vcc, s0, v33
	v_subb_co_u32_e32 v1, vcc, v16, v1, vcc
	v_cmp_lt_i64_e32 vcc, 6, v[0:1]
	s_and_saveexec_b64 s[0:1], vcc
	s_xor_b64 s[0:1], exec, s[0:1]
	s_cbranch_execz .LBB2071_130
; %bb.105:
	v_cmp_lt_i64_e32 vcc, 9, v[0:1]
	s_and_saveexec_b64 s[2:3], vcc
	s_xor_b64 s[2:3], exec, s[2:3]
	s_cbranch_execz .LBB2071_119
; %bb.106:
	;; [unrolled: 5-line block ×4, first 2 shown]
	v_mov_b32_e32 v0, 0
	s_waitcnt lgkmcnt(0)
	global_store_dword v0, v15, s[14:15]
                                        ; implicit-def: $vgpr14_vgpr15
.LBB2071_109:
	s_andn2_saveexec_b64 s[6:7], s[6:7]
	s_cbranch_execz .LBB2071_111
; %bb.110:
	v_mov_b32_e32 v0, 0
	s_waitcnt lgkmcnt(0)
	global_store_dword v0, v14, s[14:15]
.LBB2071_111:
	s_or_b64 exec, exec, s[6:7]
                                        ; implicit-def: $vgpr10_vgpr11
                                        ; implicit-def: $vgpr0_vgpr1
.LBB2071_112:
	s_andn2_saveexec_b64 s[4:5], s[4:5]
	s_cbranch_execz .LBB2071_118
; %bb.113:
	v_cmp_lt_i64_e32 vcc, 10, v[0:1]
	s_and_saveexec_b64 s[6:7], vcc
	s_xor_b64 s[6:7], exec, s[6:7]
	s_cbranch_execz .LBB2071_115
; %bb.114:
	v_mov_b32_e32 v0, 0
	s_waitcnt lgkmcnt(0)
	global_store_dword v0, v11, s[14:15]
                                        ; implicit-def: $vgpr10_vgpr11
.LBB2071_115:
	s_andn2_saveexec_b64 s[6:7], s[6:7]
	s_cbranch_execz .LBB2071_117
; %bb.116:
	v_mov_b32_e32 v0, 0
	s_waitcnt lgkmcnt(0)
	global_store_dword v0, v10, s[14:15]
.LBB2071_117:
	s_or_b64 exec, exec, s[6:7]
.LBB2071_118:
	s_or_b64 exec, exec, s[4:5]
                                        ; implicit-def: $vgpr2_vgpr3
                                        ; implicit-def: $vgpr0_vgpr1
                                        ; implicit-def: $vgpr12_vgpr13
.LBB2071_119:
	s_andn2_saveexec_b64 s[2:3], s[2:3]
	s_cbranch_execz .LBB2071_129
; %bb.120:
	v_cmp_lt_i64_e32 vcc, 7, v[0:1]
	s_and_saveexec_b64 s[4:5], vcc
	s_xor_b64 s[4:5], exec, s[4:5]
	s_cbranch_execz .LBB2071_126
; %bb.121:
	v_cmp_lt_i64_e32 vcc, 8, v[0:1]
	s_and_saveexec_b64 s[6:7], vcc
	s_xor_b64 s[6:7], exec, s[6:7]
	s_cbranch_execz .LBB2071_123
; %bb.122:
	v_mov_b32_e32 v0, 0
	s_waitcnt lgkmcnt(0)
	global_store_dword v0, v13, s[14:15]
                                        ; implicit-def: $vgpr12_vgpr13
.LBB2071_123:
	s_andn2_saveexec_b64 s[6:7], s[6:7]
	s_cbranch_execz .LBB2071_125
; %bb.124:
	v_mov_b32_e32 v0, 0
	s_waitcnt lgkmcnt(0)
	global_store_dword v0, v12, s[14:15]
.LBB2071_125:
	s_or_b64 exec, exec, s[6:7]
                                        ; implicit-def: $vgpr2_vgpr3
.LBB2071_126:
	s_andn2_saveexec_b64 s[4:5], s[4:5]
	s_cbranch_execz .LBB2071_128
; %bb.127:
	v_mov_b32_e32 v0, 0
	s_waitcnt lgkmcnt(0)
	global_store_dword v0, v3, s[14:15]
.LBB2071_128:
	s_or_b64 exec, exec, s[4:5]
.LBB2071_129:
	s_or_b64 exec, exec, s[2:3]
                                        ; implicit-def: $vgpr0_vgpr1
                                        ; implicit-def: $vgpr8_vgpr9
                                        ; implicit-def: $vgpr4_vgpr5
                                        ; implicit-def: $vgpr6_vgpr7
                                        ; implicit-def: $vgpr2_vgpr3
.LBB2071_130:
	s_andn2_saveexec_b64 s[0:1], s[0:1]
	s_cbranch_execz .LBB2071_153
; %bb.131:
	v_cmp_lt_i64_e32 vcc, 3, v[0:1]
	s_and_saveexec_b64 s[0:1], vcc
	s_xor_b64 s[0:1], exec, s[0:1]
	s_cbranch_execz .LBB2071_141
; %bb.132:
	v_cmp_lt_i64_e32 vcc, 4, v[0:1]
	s_and_saveexec_b64 s[2:3], vcc
	s_xor_b64 s[2:3], exec, s[2:3]
	;; [unrolled: 5-line block ×3, first 2 shown]
	s_cbranch_execz .LBB2071_135
; %bb.134:
	v_mov_b32_e32 v0, 0
	s_waitcnt lgkmcnt(0)
	global_store_dword v0, v2, s[14:15]
                                        ; implicit-def: $vgpr8_vgpr9
.LBB2071_135:
	s_andn2_saveexec_b64 s[4:5], s[4:5]
	s_cbranch_execz .LBB2071_137
; %bb.136:
	v_mov_b32_e32 v0, 0
	s_waitcnt lgkmcnt(0)
	global_store_dword v0, v9, s[14:15]
.LBB2071_137:
	s_or_b64 exec, exec, s[4:5]
                                        ; implicit-def: $vgpr8_vgpr9
.LBB2071_138:
	s_andn2_saveexec_b64 s[2:3], s[2:3]
	s_cbranch_execz .LBB2071_140
; %bb.139:
	v_mov_b32_e32 v0, 0
	s_waitcnt lgkmcnt(0)
	global_store_dword v0, v8, s[14:15]
.LBB2071_140:
	s_or_b64 exec, exec, s[2:3]
                                        ; implicit-def: $vgpr0_vgpr1
                                        ; implicit-def: $vgpr4_vgpr5
                                        ; implicit-def: $vgpr6_vgpr7
.LBB2071_141:
	s_andn2_saveexec_b64 s[0:1], s[0:1]
	s_cbranch_execz .LBB2071_153
; %bb.142:
	v_cmp_lt_i64_e32 vcc, 1, v[0:1]
	s_and_saveexec_b64 s[0:1], vcc
	s_xor_b64 s[0:1], exec, s[0:1]
	s_cbranch_execz .LBB2071_148
; %bb.143:
	v_cmp_lt_i64_e32 vcc, 2, v[0:1]
	s_and_saveexec_b64 s[2:3], vcc
	s_xor_b64 s[2:3], exec, s[2:3]
	s_cbranch_execz .LBB2071_145
; %bb.144:
	v_mov_b32_e32 v0, 0
	s_waitcnt lgkmcnt(0)
	global_store_dword v0, v7, s[14:15]
                                        ; implicit-def: $vgpr6_vgpr7
.LBB2071_145:
	s_andn2_saveexec_b64 s[2:3], s[2:3]
	s_cbranch_execz .LBB2071_147
; %bb.146:
	v_mov_b32_e32 v0, 0
	s_waitcnt lgkmcnt(0)
	global_store_dword v0, v6, s[14:15]
.LBB2071_147:
	s_or_b64 exec, exec, s[2:3]
                                        ; implicit-def: $vgpr4_vgpr5
                                        ; implicit-def: $vgpr0_vgpr1
.LBB2071_148:
	s_andn2_saveexec_b64 s[0:1], s[0:1]
	s_cbranch_execz .LBB2071_153
; %bb.149:
	v_cmp_ne_u64_e32 vcc, 1, v[0:1]
	s_and_saveexec_b64 s[0:1], vcc
	s_xor_b64 s[0:1], exec, s[0:1]
	s_cbranch_execz .LBB2071_151
; %bb.150:
	v_mov_b32_e32 v0, 0
	s_waitcnt lgkmcnt(0)
	global_store_dword v0, v4, s[14:15]
                                        ; implicit-def: $vgpr4_vgpr5
.LBB2071_151:
	s_andn2_saveexec_b64 s[0:1], s[0:1]
	s_cbranch_execz .LBB2071_153
; %bb.152:
	v_mov_b32_e32 v0, 0
	s_waitcnt lgkmcnt(0)
	global_store_dword v0, v5, s[14:15]
.LBB2071_153:
	s_endpgm
	.section	.rodata,"a",@progbits
	.p2align	6, 0x0
	.amdhsa_kernel _ZN7rocprim17ROCPRIM_400000_NS6detail17trampoline_kernelINS0_14default_configENS1_20scan_config_selectorIfEEZZNS1_9scan_implILNS1_25lookback_scan_determinismE0ELb1ELb1ES3_N6thrust23THRUST_200600_302600_NS6detail15normal_iteratorINS9_10device_ptrIfEEEESE_f11max_functorIfEfEEDaPvRmT3_T4_T5_mT6_P12ihipStream_tbENKUlT_T0_E_clISt17integral_constantIbLb0EEST_IbLb1EEEEDaSP_SQ_EUlSP_E_NS1_11comp_targetILNS1_3genE4ELNS1_11target_archE910ELNS1_3gpuE8ELNS1_3repE0EEENS1_30default_config_static_selectorELNS0_4arch9wavefront6targetE1EEEvT1_
		.amdhsa_group_segment_fixed_size 7168
		.amdhsa_private_segment_fixed_size 0
		.amdhsa_kernarg_size 96
		.amdhsa_user_sgpr_count 6
		.amdhsa_user_sgpr_private_segment_buffer 1
		.amdhsa_user_sgpr_dispatch_ptr 0
		.amdhsa_user_sgpr_queue_ptr 0
		.amdhsa_user_sgpr_kernarg_segment_ptr 1
		.amdhsa_user_sgpr_dispatch_id 0
		.amdhsa_user_sgpr_flat_scratch_init 0
		.amdhsa_user_sgpr_kernarg_preload_length 0
		.amdhsa_user_sgpr_kernarg_preload_offset 0
		.amdhsa_user_sgpr_private_segment_size 0
		.amdhsa_uses_dynamic_stack 0
		.amdhsa_system_sgpr_private_segment_wavefront_offset 0
		.amdhsa_system_sgpr_workgroup_id_x 1
		.amdhsa_system_sgpr_workgroup_id_y 0
		.amdhsa_system_sgpr_workgroup_id_z 0
		.amdhsa_system_sgpr_workgroup_info 0
		.amdhsa_system_vgpr_workitem_id 0
		.amdhsa_next_free_vgpr 44
		.amdhsa_next_free_sgpr 39
		.amdhsa_accum_offset 44
		.amdhsa_reserve_vcc 1
		.amdhsa_reserve_flat_scratch 0
		.amdhsa_float_round_mode_32 0
		.amdhsa_float_round_mode_16_64 0
		.amdhsa_float_denorm_mode_32 3
		.amdhsa_float_denorm_mode_16_64 3
		.amdhsa_dx10_clamp 1
		.amdhsa_ieee_mode 1
		.amdhsa_fp16_overflow 0
		.amdhsa_tg_split 0
		.amdhsa_exception_fp_ieee_invalid_op 0
		.amdhsa_exception_fp_denorm_src 0
		.amdhsa_exception_fp_ieee_div_zero 0
		.amdhsa_exception_fp_ieee_overflow 0
		.amdhsa_exception_fp_ieee_underflow 0
		.amdhsa_exception_fp_ieee_inexact 0
		.amdhsa_exception_int_div_zero 0
	.end_amdhsa_kernel
	.section	.text._ZN7rocprim17ROCPRIM_400000_NS6detail17trampoline_kernelINS0_14default_configENS1_20scan_config_selectorIfEEZZNS1_9scan_implILNS1_25lookback_scan_determinismE0ELb1ELb1ES3_N6thrust23THRUST_200600_302600_NS6detail15normal_iteratorINS9_10device_ptrIfEEEESE_f11max_functorIfEfEEDaPvRmT3_T4_T5_mT6_P12ihipStream_tbENKUlT_T0_E_clISt17integral_constantIbLb0EEST_IbLb1EEEEDaSP_SQ_EUlSP_E_NS1_11comp_targetILNS1_3genE4ELNS1_11target_archE910ELNS1_3gpuE8ELNS1_3repE0EEENS1_30default_config_static_selectorELNS0_4arch9wavefront6targetE1EEEvT1_,"axG",@progbits,_ZN7rocprim17ROCPRIM_400000_NS6detail17trampoline_kernelINS0_14default_configENS1_20scan_config_selectorIfEEZZNS1_9scan_implILNS1_25lookback_scan_determinismE0ELb1ELb1ES3_N6thrust23THRUST_200600_302600_NS6detail15normal_iteratorINS9_10device_ptrIfEEEESE_f11max_functorIfEfEEDaPvRmT3_T4_T5_mT6_P12ihipStream_tbENKUlT_T0_E_clISt17integral_constantIbLb0EEST_IbLb1EEEEDaSP_SQ_EUlSP_E_NS1_11comp_targetILNS1_3genE4ELNS1_11target_archE910ELNS1_3gpuE8ELNS1_3repE0EEENS1_30default_config_static_selectorELNS0_4arch9wavefront6targetE1EEEvT1_,comdat
.Lfunc_end2071:
	.size	_ZN7rocprim17ROCPRIM_400000_NS6detail17trampoline_kernelINS0_14default_configENS1_20scan_config_selectorIfEEZZNS1_9scan_implILNS1_25lookback_scan_determinismE0ELb1ELb1ES3_N6thrust23THRUST_200600_302600_NS6detail15normal_iteratorINS9_10device_ptrIfEEEESE_f11max_functorIfEfEEDaPvRmT3_T4_T5_mT6_P12ihipStream_tbENKUlT_T0_E_clISt17integral_constantIbLb0EEST_IbLb1EEEEDaSP_SQ_EUlSP_E_NS1_11comp_targetILNS1_3genE4ELNS1_11target_archE910ELNS1_3gpuE8ELNS1_3repE0EEENS1_30default_config_static_selectorELNS0_4arch9wavefront6targetE1EEEvT1_, .Lfunc_end2071-_ZN7rocprim17ROCPRIM_400000_NS6detail17trampoline_kernelINS0_14default_configENS1_20scan_config_selectorIfEEZZNS1_9scan_implILNS1_25lookback_scan_determinismE0ELb1ELb1ES3_N6thrust23THRUST_200600_302600_NS6detail15normal_iteratorINS9_10device_ptrIfEEEESE_f11max_functorIfEfEEDaPvRmT3_T4_T5_mT6_P12ihipStream_tbENKUlT_T0_E_clISt17integral_constantIbLb0EEST_IbLb1EEEEDaSP_SQ_EUlSP_E_NS1_11comp_targetILNS1_3genE4ELNS1_11target_archE910ELNS1_3gpuE8ELNS1_3repE0EEENS1_30default_config_static_selectorELNS0_4arch9wavefront6targetE1EEEvT1_
                                        ; -- End function
	.section	.AMDGPU.csdata,"",@progbits
; Kernel info:
; codeLenInByte = 6308
; NumSgprs: 43
; NumVgprs: 44
; NumAgprs: 0
; TotalNumVgprs: 44
; ScratchSize: 0
; MemoryBound: 0
; FloatMode: 240
; IeeeMode: 1
; LDSByteSize: 7168 bytes/workgroup (compile time only)
; SGPRBlocks: 5
; VGPRBlocks: 5
; NumSGPRsForWavesPerEU: 43
; NumVGPRsForWavesPerEU: 44
; AccumOffset: 44
; Occupancy: 5
; WaveLimiterHint : 1
; COMPUTE_PGM_RSRC2:SCRATCH_EN: 0
; COMPUTE_PGM_RSRC2:USER_SGPR: 6
; COMPUTE_PGM_RSRC2:TRAP_HANDLER: 0
; COMPUTE_PGM_RSRC2:TGID_X_EN: 1
; COMPUTE_PGM_RSRC2:TGID_Y_EN: 0
; COMPUTE_PGM_RSRC2:TGID_Z_EN: 0
; COMPUTE_PGM_RSRC2:TIDIG_COMP_CNT: 0
; COMPUTE_PGM_RSRC3_GFX90A:ACCUM_OFFSET: 10
; COMPUTE_PGM_RSRC3_GFX90A:TG_SPLIT: 0
	.section	.text._ZN7rocprim17ROCPRIM_400000_NS6detail17trampoline_kernelINS0_14default_configENS1_20scan_config_selectorIfEEZZNS1_9scan_implILNS1_25lookback_scan_determinismE0ELb1ELb1ES3_N6thrust23THRUST_200600_302600_NS6detail15normal_iteratorINS9_10device_ptrIfEEEESE_f11max_functorIfEfEEDaPvRmT3_T4_T5_mT6_P12ihipStream_tbENKUlT_T0_E_clISt17integral_constantIbLb0EEST_IbLb1EEEEDaSP_SQ_EUlSP_E_NS1_11comp_targetILNS1_3genE3ELNS1_11target_archE908ELNS1_3gpuE7ELNS1_3repE0EEENS1_30default_config_static_selectorELNS0_4arch9wavefront6targetE1EEEvT1_,"axG",@progbits,_ZN7rocprim17ROCPRIM_400000_NS6detail17trampoline_kernelINS0_14default_configENS1_20scan_config_selectorIfEEZZNS1_9scan_implILNS1_25lookback_scan_determinismE0ELb1ELb1ES3_N6thrust23THRUST_200600_302600_NS6detail15normal_iteratorINS9_10device_ptrIfEEEESE_f11max_functorIfEfEEDaPvRmT3_T4_T5_mT6_P12ihipStream_tbENKUlT_T0_E_clISt17integral_constantIbLb0EEST_IbLb1EEEEDaSP_SQ_EUlSP_E_NS1_11comp_targetILNS1_3genE3ELNS1_11target_archE908ELNS1_3gpuE7ELNS1_3repE0EEENS1_30default_config_static_selectorELNS0_4arch9wavefront6targetE1EEEvT1_,comdat
	.protected	_ZN7rocprim17ROCPRIM_400000_NS6detail17trampoline_kernelINS0_14default_configENS1_20scan_config_selectorIfEEZZNS1_9scan_implILNS1_25lookback_scan_determinismE0ELb1ELb1ES3_N6thrust23THRUST_200600_302600_NS6detail15normal_iteratorINS9_10device_ptrIfEEEESE_f11max_functorIfEfEEDaPvRmT3_T4_T5_mT6_P12ihipStream_tbENKUlT_T0_E_clISt17integral_constantIbLb0EEST_IbLb1EEEEDaSP_SQ_EUlSP_E_NS1_11comp_targetILNS1_3genE3ELNS1_11target_archE908ELNS1_3gpuE7ELNS1_3repE0EEENS1_30default_config_static_selectorELNS0_4arch9wavefront6targetE1EEEvT1_ ; -- Begin function _ZN7rocprim17ROCPRIM_400000_NS6detail17trampoline_kernelINS0_14default_configENS1_20scan_config_selectorIfEEZZNS1_9scan_implILNS1_25lookback_scan_determinismE0ELb1ELb1ES3_N6thrust23THRUST_200600_302600_NS6detail15normal_iteratorINS9_10device_ptrIfEEEESE_f11max_functorIfEfEEDaPvRmT3_T4_T5_mT6_P12ihipStream_tbENKUlT_T0_E_clISt17integral_constantIbLb0EEST_IbLb1EEEEDaSP_SQ_EUlSP_E_NS1_11comp_targetILNS1_3genE3ELNS1_11target_archE908ELNS1_3gpuE7ELNS1_3repE0EEENS1_30default_config_static_selectorELNS0_4arch9wavefront6targetE1EEEvT1_
	.globl	_ZN7rocprim17ROCPRIM_400000_NS6detail17trampoline_kernelINS0_14default_configENS1_20scan_config_selectorIfEEZZNS1_9scan_implILNS1_25lookback_scan_determinismE0ELb1ELb1ES3_N6thrust23THRUST_200600_302600_NS6detail15normal_iteratorINS9_10device_ptrIfEEEESE_f11max_functorIfEfEEDaPvRmT3_T4_T5_mT6_P12ihipStream_tbENKUlT_T0_E_clISt17integral_constantIbLb0EEST_IbLb1EEEEDaSP_SQ_EUlSP_E_NS1_11comp_targetILNS1_3genE3ELNS1_11target_archE908ELNS1_3gpuE7ELNS1_3repE0EEENS1_30default_config_static_selectorELNS0_4arch9wavefront6targetE1EEEvT1_
	.p2align	8
	.type	_ZN7rocprim17ROCPRIM_400000_NS6detail17trampoline_kernelINS0_14default_configENS1_20scan_config_selectorIfEEZZNS1_9scan_implILNS1_25lookback_scan_determinismE0ELb1ELb1ES3_N6thrust23THRUST_200600_302600_NS6detail15normal_iteratorINS9_10device_ptrIfEEEESE_f11max_functorIfEfEEDaPvRmT3_T4_T5_mT6_P12ihipStream_tbENKUlT_T0_E_clISt17integral_constantIbLb0EEST_IbLb1EEEEDaSP_SQ_EUlSP_E_NS1_11comp_targetILNS1_3genE3ELNS1_11target_archE908ELNS1_3gpuE7ELNS1_3repE0EEENS1_30default_config_static_selectorELNS0_4arch9wavefront6targetE1EEEvT1_,@function
_ZN7rocprim17ROCPRIM_400000_NS6detail17trampoline_kernelINS0_14default_configENS1_20scan_config_selectorIfEEZZNS1_9scan_implILNS1_25lookback_scan_determinismE0ELb1ELb1ES3_N6thrust23THRUST_200600_302600_NS6detail15normal_iteratorINS9_10device_ptrIfEEEESE_f11max_functorIfEfEEDaPvRmT3_T4_T5_mT6_P12ihipStream_tbENKUlT_T0_E_clISt17integral_constantIbLb0EEST_IbLb1EEEEDaSP_SQ_EUlSP_E_NS1_11comp_targetILNS1_3genE3ELNS1_11target_archE908ELNS1_3gpuE7ELNS1_3repE0EEENS1_30default_config_static_selectorELNS0_4arch9wavefront6targetE1EEEvT1_: ; @_ZN7rocprim17ROCPRIM_400000_NS6detail17trampoline_kernelINS0_14default_configENS1_20scan_config_selectorIfEEZZNS1_9scan_implILNS1_25lookback_scan_determinismE0ELb1ELb1ES3_N6thrust23THRUST_200600_302600_NS6detail15normal_iteratorINS9_10device_ptrIfEEEESE_f11max_functorIfEfEEDaPvRmT3_T4_T5_mT6_P12ihipStream_tbENKUlT_T0_E_clISt17integral_constantIbLb0EEST_IbLb1EEEEDaSP_SQ_EUlSP_E_NS1_11comp_targetILNS1_3genE3ELNS1_11target_archE908ELNS1_3gpuE7ELNS1_3repE0EEENS1_30default_config_static_selectorELNS0_4arch9wavefront6targetE1EEEvT1_
; %bb.0:
	.section	.rodata,"a",@progbits
	.p2align	6, 0x0
	.amdhsa_kernel _ZN7rocprim17ROCPRIM_400000_NS6detail17trampoline_kernelINS0_14default_configENS1_20scan_config_selectorIfEEZZNS1_9scan_implILNS1_25lookback_scan_determinismE0ELb1ELb1ES3_N6thrust23THRUST_200600_302600_NS6detail15normal_iteratorINS9_10device_ptrIfEEEESE_f11max_functorIfEfEEDaPvRmT3_T4_T5_mT6_P12ihipStream_tbENKUlT_T0_E_clISt17integral_constantIbLb0EEST_IbLb1EEEEDaSP_SQ_EUlSP_E_NS1_11comp_targetILNS1_3genE3ELNS1_11target_archE908ELNS1_3gpuE7ELNS1_3repE0EEENS1_30default_config_static_selectorELNS0_4arch9wavefront6targetE1EEEvT1_
		.amdhsa_group_segment_fixed_size 0
		.amdhsa_private_segment_fixed_size 0
		.amdhsa_kernarg_size 96
		.amdhsa_user_sgpr_count 6
		.amdhsa_user_sgpr_private_segment_buffer 1
		.amdhsa_user_sgpr_dispatch_ptr 0
		.amdhsa_user_sgpr_queue_ptr 0
		.amdhsa_user_sgpr_kernarg_segment_ptr 1
		.amdhsa_user_sgpr_dispatch_id 0
		.amdhsa_user_sgpr_flat_scratch_init 0
		.amdhsa_user_sgpr_kernarg_preload_length 0
		.amdhsa_user_sgpr_kernarg_preload_offset 0
		.amdhsa_user_sgpr_private_segment_size 0
		.amdhsa_uses_dynamic_stack 0
		.amdhsa_system_sgpr_private_segment_wavefront_offset 0
		.amdhsa_system_sgpr_workgroup_id_x 1
		.amdhsa_system_sgpr_workgroup_id_y 0
		.amdhsa_system_sgpr_workgroup_id_z 0
		.amdhsa_system_sgpr_workgroup_info 0
		.amdhsa_system_vgpr_workitem_id 0
		.amdhsa_next_free_vgpr 1
		.amdhsa_next_free_sgpr 0
		.amdhsa_accum_offset 4
		.amdhsa_reserve_vcc 0
		.amdhsa_reserve_flat_scratch 0
		.amdhsa_float_round_mode_32 0
		.amdhsa_float_round_mode_16_64 0
		.amdhsa_float_denorm_mode_32 3
		.amdhsa_float_denorm_mode_16_64 3
		.amdhsa_dx10_clamp 1
		.amdhsa_ieee_mode 1
		.amdhsa_fp16_overflow 0
		.amdhsa_tg_split 0
		.amdhsa_exception_fp_ieee_invalid_op 0
		.amdhsa_exception_fp_denorm_src 0
		.amdhsa_exception_fp_ieee_div_zero 0
		.amdhsa_exception_fp_ieee_overflow 0
		.amdhsa_exception_fp_ieee_underflow 0
		.amdhsa_exception_fp_ieee_inexact 0
		.amdhsa_exception_int_div_zero 0
	.end_amdhsa_kernel
	.section	.text._ZN7rocprim17ROCPRIM_400000_NS6detail17trampoline_kernelINS0_14default_configENS1_20scan_config_selectorIfEEZZNS1_9scan_implILNS1_25lookback_scan_determinismE0ELb1ELb1ES3_N6thrust23THRUST_200600_302600_NS6detail15normal_iteratorINS9_10device_ptrIfEEEESE_f11max_functorIfEfEEDaPvRmT3_T4_T5_mT6_P12ihipStream_tbENKUlT_T0_E_clISt17integral_constantIbLb0EEST_IbLb1EEEEDaSP_SQ_EUlSP_E_NS1_11comp_targetILNS1_3genE3ELNS1_11target_archE908ELNS1_3gpuE7ELNS1_3repE0EEENS1_30default_config_static_selectorELNS0_4arch9wavefront6targetE1EEEvT1_,"axG",@progbits,_ZN7rocprim17ROCPRIM_400000_NS6detail17trampoline_kernelINS0_14default_configENS1_20scan_config_selectorIfEEZZNS1_9scan_implILNS1_25lookback_scan_determinismE0ELb1ELb1ES3_N6thrust23THRUST_200600_302600_NS6detail15normal_iteratorINS9_10device_ptrIfEEEESE_f11max_functorIfEfEEDaPvRmT3_T4_T5_mT6_P12ihipStream_tbENKUlT_T0_E_clISt17integral_constantIbLb0EEST_IbLb1EEEEDaSP_SQ_EUlSP_E_NS1_11comp_targetILNS1_3genE3ELNS1_11target_archE908ELNS1_3gpuE7ELNS1_3repE0EEENS1_30default_config_static_selectorELNS0_4arch9wavefront6targetE1EEEvT1_,comdat
.Lfunc_end2072:
	.size	_ZN7rocprim17ROCPRIM_400000_NS6detail17trampoline_kernelINS0_14default_configENS1_20scan_config_selectorIfEEZZNS1_9scan_implILNS1_25lookback_scan_determinismE0ELb1ELb1ES3_N6thrust23THRUST_200600_302600_NS6detail15normal_iteratorINS9_10device_ptrIfEEEESE_f11max_functorIfEfEEDaPvRmT3_T4_T5_mT6_P12ihipStream_tbENKUlT_T0_E_clISt17integral_constantIbLb0EEST_IbLb1EEEEDaSP_SQ_EUlSP_E_NS1_11comp_targetILNS1_3genE3ELNS1_11target_archE908ELNS1_3gpuE7ELNS1_3repE0EEENS1_30default_config_static_selectorELNS0_4arch9wavefront6targetE1EEEvT1_, .Lfunc_end2072-_ZN7rocprim17ROCPRIM_400000_NS6detail17trampoline_kernelINS0_14default_configENS1_20scan_config_selectorIfEEZZNS1_9scan_implILNS1_25lookback_scan_determinismE0ELb1ELb1ES3_N6thrust23THRUST_200600_302600_NS6detail15normal_iteratorINS9_10device_ptrIfEEEESE_f11max_functorIfEfEEDaPvRmT3_T4_T5_mT6_P12ihipStream_tbENKUlT_T0_E_clISt17integral_constantIbLb0EEST_IbLb1EEEEDaSP_SQ_EUlSP_E_NS1_11comp_targetILNS1_3genE3ELNS1_11target_archE908ELNS1_3gpuE7ELNS1_3repE0EEENS1_30default_config_static_selectorELNS0_4arch9wavefront6targetE1EEEvT1_
                                        ; -- End function
	.section	.AMDGPU.csdata,"",@progbits
; Kernel info:
; codeLenInByte = 0
; NumSgprs: 4
; NumVgprs: 0
; NumAgprs: 0
; TotalNumVgprs: 0
; ScratchSize: 0
; MemoryBound: 0
; FloatMode: 240
; IeeeMode: 1
; LDSByteSize: 0 bytes/workgroup (compile time only)
; SGPRBlocks: 0
; VGPRBlocks: 0
; NumSGPRsForWavesPerEU: 4
; NumVGPRsForWavesPerEU: 1
; AccumOffset: 4
; Occupancy: 8
; WaveLimiterHint : 0
; COMPUTE_PGM_RSRC2:SCRATCH_EN: 0
; COMPUTE_PGM_RSRC2:USER_SGPR: 6
; COMPUTE_PGM_RSRC2:TRAP_HANDLER: 0
; COMPUTE_PGM_RSRC2:TGID_X_EN: 1
; COMPUTE_PGM_RSRC2:TGID_Y_EN: 0
; COMPUTE_PGM_RSRC2:TGID_Z_EN: 0
; COMPUTE_PGM_RSRC2:TIDIG_COMP_CNT: 0
; COMPUTE_PGM_RSRC3_GFX90A:ACCUM_OFFSET: 0
; COMPUTE_PGM_RSRC3_GFX90A:TG_SPLIT: 0
	.section	.text._ZN7rocprim17ROCPRIM_400000_NS6detail17trampoline_kernelINS0_14default_configENS1_20scan_config_selectorIfEEZZNS1_9scan_implILNS1_25lookback_scan_determinismE0ELb1ELb1ES3_N6thrust23THRUST_200600_302600_NS6detail15normal_iteratorINS9_10device_ptrIfEEEESE_f11max_functorIfEfEEDaPvRmT3_T4_T5_mT6_P12ihipStream_tbENKUlT_T0_E_clISt17integral_constantIbLb0EEST_IbLb1EEEEDaSP_SQ_EUlSP_E_NS1_11comp_targetILNS1_3genE2ELNS1_11target_archE906ELNS1_3gpuE6ELNS1_3repE0EEENS1_30default_config_static_selectorELNS0_4arch9wavefront6targetE1EEEvT1_,"axG",@progbits,_ZN7rocprim17ROCPRIM_400000_NS6detail17trampoline_kernelINS0_14default_configENS1_20scan_config_selectorIfEEZZNS1_9scan_implILNS1_25lookback_scan_determinismE0ELb1ELb1ES3_N6thrust23THRUST_200600_302600_NS6detail15normal_iteratorINS9_10device_ptrIfEEEESE_f11max_functorIfEfEEDaPvRmT3_T4_T5_mT6_P12ihipStream_tbENKUlT_T0_E_clISt17integral_constantIbLb0EEST_IbLb1EEEEDaSP_SQ_EUlSP_E_NS1_11comp_targetILNS1_3genE2ELNS1_11target_archE906ELNS1_3gpuE6ELNS1_3repE0EEENS1_30default_config_static_selectorELNS0_4arch9wavefront6targetE1EEEvT1_,comdat
	.protected	_ZN7rocprim17ROCPRIM_400000_NS6detail17trampoline_kernelINS0_14default_configENS1_20scan_config_selectorIfEEZZNS1_9scan_implILNS1_25lookback_scan_determinismE0ELb1ELb1ES3_N6thrust23THRUST_200600_302600_NS6detail15normal_iteratorINS9_10device_ptrIfEEEESE_f11max_functorIfEfEEDaPvRmT3_T4_T5_mT6_P12ihipStream_tbENKUlT_T0_E_clISt17integral_constantIbLb0EEST_IbLb1EEEEDaSP_SQ_EUlSP_E_NS1_11comp_targetILNS1_3genE2ELNS1_11target_archE906ELNS1_3gpuE6ELNS1_3repE0EEENS1_30default_config_static_selectorELNS0_4arch9wavefront6targetE1EEEvT1_ ; -- Begin function _ZN7rocprim17ROCPRIM_400000_NS6detail17trampoline_kernelINS0_14default_configENS1_20scan_config_selectorIfEEZZNS1_9scan_implILNS1_25lookback_scan_determinismE0ELb1ELb1ES3_N6thrust23THRUST_200600_302600_NS6detail15normal_iteratorINS9_10device_ptrIfEEEESE_f11max_functorIfEfEEDaPvRmT3_T4_T5_mT6_P12ihipStream_tbENKUlT_T0_E_clISt17integral_constantIbLb0EEST_IbLb1EEEEDaSP_SQ_EUlSP_E_NS1_11comp_targetILNS1_3genE2ELNS1_11target_archE906ELNS1_3gpuE6ELNS1_3repE0EEENS1_30default_config_static_selectorELNS0_4arch9wavefront6targetE1EEEvT1_
	.globl	_ZN7rocprim17ROCPRIM_400000_NS6detail17trampoline_kernelINS0_14default_configENS1_20scan_config_selectorIfEEZZNS1_9scan_implILNS1_25lookback_scan_determinismE0ELb1ELb1ES3_N6thrust23THRUST_200600_302600_NS6detail15normal_iteratorINS9_10device_ptrIfEEEESE_f11max_functorIfEfEEDaPvRmT3_T4_T5_mT6_P12ihipStream_tbENKUlT_T0_E_clISt17integral_constantIbLb0EEST_IbLb1EEEEDaSP_SQ_EUlSP_E_NS1_11comp_targetILNS1_3genE2ELNS1_11target_archE906ELNS1_3gpuE6ELNS1_3repE0EEENS1_30default_config_static_selectorELNS0_4arch9wavefront6targetE1EEEvT1_
	.p2align	8
	.type	_ZN7rocprim17ROCPRIM_400000_NS6detail17trampoline_kernelINS0_14default_configENS1_20scan_config_selectorIfEEZZNS1_9scan_implILNS1_25lookback_scan_determinismE0ELb1ELb1ES3_N6thrust23THRUST_200600_302600_NS6detail15normal_iteratorINS9_10device_ptrIfEEEESE_f11max_functorIfEfEEDaPvRmT3_T4_T5_mT6_P12ihipStream_tbENKUlT_T0_E_clISt17integral_constantIbLb0EEST_IbLb1EEEEDaSP_SQ_EUlSP_E_NS1_11comp_targetILNS1_3genE2ELNS1_11target_archE906ELNS1_3gpuE6ELNS1_3repE0EEENS1_30default_config_static_selectorELNS0_4arch9wavefront6targetE1EEEvT1_,@function
_ZN7rocprim17ROCPRIM_400000_NS6detail17trampoline_kernelINS0_14default_configENS1_20scan_config_selectorIfEEZZNS1_9scan_implILNS1_25lookback_scan_determinismE0ELb1ELb1ES3_N6thrust23THRUST_200600_302600_NS6detail15normal_iteratorINS9_10device_ptrIfEEEESE_f11max_functorIfEfEEDaPvRmT3_T4_T5_mT6_P12ihipStream_tbENKUlT_T0_E_clISt17integral_constantIbLb0EEST_IbLb1EEEEDaSP_SQ_EUlSP_E_NS1_11comp_targetILNS1_3genE2ELNS1_11target_archE906ELNS1_3gpuE6ELNS1_3repE0EEENS1_30default_config_static_selectorELNS0_4arch9wavefront6targetE1EEEvT1_: ; @_ZN7rocprim17ROCPRIM_400000_NS6detail17trampoline_kernelINS0_14default_configENS1_20scan_config_selectorIfEEZZNS1_9scan_implILNS1_25lookback_scan_determinismE0ELb1ELb1ES3_N6thrust23THRUST_200600_302600_NS6detail15normal_iteratorINS9_10device_ptrIfEEEESE_f11max_functorIfEfEEDaPvRmT3_T4_T5_mT6_P12ihipStream_tbENKUlT_T0_E_clISt17integral_constantIbLb0EEST_IbLb1EEEEDaSP_SQ_EUlSP_E_NS1_11comp_targetILNS1_3genE2ELNS1_11target_archE906ELNS1_3gpuE6ELNS1_3repE0EEENS1_30default_config_static_selectorELNS0_4arch9wavefront6targetE1EEEvT1_
; %bb.0:
	.section	.rodata,"a",@progbits
	.p2align	6, 0x0
	.amdhsa_kernel _ZN7rocprim17ROCPRIM_400000_NS6detail17trampoline_kernelINS0_14default_configENS1_20scan_config_selectorIfEEZZNS1_9scan_implILNS1_25lookback_scan_determinismE0ELb1ELb1ES3_N6thrust23THRUST_200600_302600_NS6detail15normal_iteratorINS9_10device_ptrIfEEEESE_f11max_functorIfEfEEDaPvRmT3_T4_T5_mT6_P12ihipStream_tbENKUlT_T0_E_clISt17integral_constantIbLb0EEST_IbLb1EEEEDaSP_SQ_EUlSP_E_NS1_11comp_targetILNS1_3genE2ELNS1_11target_archE906ELNS1_3gpuE6ELNS1_3repE0EEENS1_30default_config_static_selectorELNS0_4arch9wavefront6targetE1EEEvT1_
		.amdhsa_group_segment_fixed_size 0
		.amdhsa_private_segment_fixed_size 0
		.amdhsa_kernarg_size 96
		.amdhsa_user_sgpr_count 6
		.amdhsa_user_sgpr_private_segment_buffer 1
		.amdhsa_user_sgpr_dispatch_ptr 0
		.amdhsa_user_sgpr_queue_ptr 0
		.amdhsa_user_sgpr_kernarg_segment_ptr 1
		.amdhsa_user_sgpr_dispatch_id 0
		.amdhsa_user_sgpr_flat_scratch_init 0
		.amdhsa_user_sgpr_kernarg_preload_length 0
		.amdhsa_user_sgpr_kernarg_preload_offset 0
		.amdhsa_user_sgpr_private_segment_size 0
		.amdhsa_uses_dynamic_stack 0
		.amdhsa_system_sgpr_private_segment_wavefront_offset 0
		.amdhsa_system_sgpr_workgroup_id_x 1
		.amdhsa_system_sgpr_workgroup_id_y 0
		.amdhsa_system_sgpr_workgroup_id_z 0
		.amdhsa_system_sgpr_workgroup_info 0
		.amdhsa_system_vgpr_workitem_id 0
		.amdhsa_next_free_vgpr 1
		.amdhsa_next_free_sgpr 0
		.amdhsa_accum_offset 4
		.amdhsa_reserve_vcc 0
		.amdhsa_reserve_flat_scratch 0
		.amdhsa_float_round_mode_32 0
		.amdhsa_float_round_mode_16_64 0
		.amdhsa_float_denorm_mode_32 3
		.amdhsa_float_denorm_mode_16_64 3
		.amdhsa_dx10_clamp 1
		.amdhsa_ieee_mode 1
		.amdhsa_fp16_overflow 0
		.amdhsa_tg_split 0
		.amdhsa_exception_fp_ieee_invalid_op 0
		.amdhsa_exception_fp_denorm_src 0
		.amdhsa_exception_fp_ieee_div_zero 0
		.amdhsa_exception_fp_ieee_overflow 0
		.amdhsa_exception_fp_ieee_underflow 0
		.amdhsa_exception_fp_ieee_inexact 0
		.amdhsa_exception_int_div_zero 0
	.end_amdhsa_kernel
	.section	.text._ZN7rocprim17ROCPRIM_400000_NS6detail17trampoline_kernelINS0_14default_configENS1_20scan_config_selectorIfEEZZNS1_9scan_implILNS1_25lookback_scan_determinismE0ELb1ELb1ES3_N6thrust23THRUST_200600_302600_NS6detail15normal_iteratorINS9_10device_ptrIfEEEESE_f11max_functorIfEfEEDaPvRmT3_T4_T5_mT6_P12ihipStream_tbENKUlT_T0_E_clISt17integral_constantIbLb0EEST_IbLb1EEEEDaSP_SQ_EUlSP_E_NS1_11comp_targetILNS1_3genE2ELNS1_11target_archE906ELNS1_3gpuE6ELNS1_3repE0EEENS1_30default_config_static_selectorELNS0_4arch9wavefront6targetE1EEEvT1_,"axG",@progbits,_ZN7rocprim17ROCPRIM_400000_NS6detail17trampoline_kernelINS0_14default_configENS1_20scan_config_selectorIfEEZZNS1_9scan_implILNS1_25lookback_scan_determinismE0ELb1ELb1ES3_N6thrust23THRUST_200600_302600_NS6detail15normal_iteratorINS9_10device_ptrIfEEEESE_f11max_functorIfEfEEDaPvRmT3_T4_T5_mT6_P12ihipStream_tbENKUlT_T0_E_clISt17integral_constantIbLb0EEST_IbLb1EEEEDaSP_SQ_EUlSP_E_NS1_11comp_targetILNS1_3genE2ELNS1_11target_archE906ELNS1_3gpuE6ELNS1_3repE0EEENS1_30default_config_static_selectorELNS0_4arch9wavefront6targetE1EEEvT1_,comdat
.Lfunc_end2073:
	.size	_ZN7rocprim17ROCPRIM_400000_NS6detail17trampoline_kernelINS0_14default_configENS1_20scan_config_selectorIfEEZZNS1_9scan_implILNS1_25lookback_scan_determinismE0ELb1ELb1ES3_N6thrust23THRUST_200600_302600_NS6detail15normal_iteratorINS9_10device_ptrIfEEEESE_f11max_functorIfEfEEDaPvRmT3_T4_T5_mT6_P12ihipStream_tbENKUlT_T0_E_clISt17integral_constantIbLb0EEST_IbLb1EEEEDaSP_SQ_EUlSP_E_NS1_11comp_targetILNS1_3genE2ELNS1_11target_archE906ELNS1_3gpuE6ELNS1_3repE0EEENS1_30default_config_static_selectorELNS0_4arch9wavefront6targetE1EEEvT1_, .Lfunc_end2073-_ZN7rocprim17ROCPRIM_400000_NS6detail17trampoline_kernelINS0_14default_configENS1_20scan_config_selectorIfEEZZNS1_9scan_implILNS1_25lookback_scan_determinismE0ELb1ELb1ES3_N6thrust23THRUST_200600_302600_NS6detail15normal_iteratorINS9_10device_ptrIfEEEESE_f11max_functorIfEfEEDaPvRmT3_T4_T5_mT6_P12ihipStream_tbENKUlT_T0_E_clISt17integral_constantIbLb0EEST_IbLb1EEEEDaSP_SQ_EUlSP_E_NS1_11comp_targetILNS1_3genE2ELNS1_11target_archE906ELNS1_3gpuE6ELNS1_3repE0EEENS1_30default_config_static_selectorELNS0_4arch9wavefront6targetE1EEEvT1_
                                        ; -- End function
	.section	.AMDGPU.csdata,"",@progbits
; Kernel info:
; codeLenInByte = 0
; NumSgprs: 4
; NumVgprs: 0
; NumAgprs: 0
; TotalNumVgprs: 0
; ScratchSize: 0
; MemoryBound: 0
; FloatMode: 240
; IeeeMode: 1
; LDSByteSize: 0 bytes/workgroup (compile time only)
; SGPRBlocks: 0
; VGPRBlocks: 0
; NumSGPRsForWavesPerEU: 4
; NumVGPRsForWavesPerEU: 1
; AccumOffset: 4
; Occupancy: 8
; WaveLimiterHint : 0
; COMPUTE_PGM_RSRC2:SCRATCH_EN: 0
; COMPUTE_PGM_RSRC2:USER_SGPR: 6
; COMPUTE_PGM_RSRC2:TRAP_HANDLER: 0
; COMPUTE_PGM_RSRC2:TGID_X_EN: 1
; COMPUTE_PGM_RSRC2:TGID_Y_EN: 0
; COMPUTE_PGM_RSRC2:TGID_Z_EN: 0
; COMPUTE_PGM_RSRC2:TIDIG_COMP_CNT: 0
; COMPUTE_PGM_RSRC3_GFX90A:ACCUM_OFFSET: 0
; COMPUTE_PGM_RSRC3_GFX90A:TG_SPLIT: 0
	.section	.text._ZN7rocprim17ROCPRIM_400000_NS6detail17trampoline_kernelINS0_14default_configENS1_20scan_config_selectorIfEEZZNS1_9scan_implILNS1_25lookback_scan_determinismE0ELb1ELb1ES3_N6thrust23THRUST_200600_302600_NS6detail15normal_iteratorINS9_10device_ptrIfEEEESE_f11max_functorIfEfEEDaPvRmT3_T4_T5_mT6_P12ihipStream_tbENKUlT_T0_E_clISt17integral_constantIbLb0EEST_IbLb1EEEEDaSP_SQ_EUlSP_E_NS1_11comp_targetILNS1_3genE10ELNS1_11target_archE1201ELNS1_3gpuE5ELNS1_3repE0EEENS1_30default_config_static_selectorELNS0_4arch9wavefront6targetE1EEEvT1_,"axG",@progbits,_ZN7rocprim17ROCPRIM_400000_NS6detail17trampoline_kernelINS0_14default_configENS1_20scan_config_selectorIfEEZZNS1_9scan_implILNS1_25lookback_scan_determinismE0ELb1ELb1ES3_N6thrust23THRUST_200600_302600_NS6detail15normal_iteratorINS9_10device_ptrIfEEEESE_f11max_functorIfEfEEDaPvRmT3_T4_T5_mT6_P12ihipStream_tbENKUlT_T0_E_clISt17integral_constantIbLb0EEST_IbLb1EEEEDaSP_SQ_EUlSP_E_NS1_11comp_targetILNS1_3genE10ELNS1_11target_archE1201ELNS1_3gpuE5ELNS1_3repE0EEENS1_30default_config_static_selectorELNS0_4arch9wavefront6targetE1EEEvT1_,comdat
	.protected	_ZN7rocprim17ROCPRIM_400000_NS6detail17trampoline_kernelINS0_14default_configENS1_20scan_config_selectorIfEEZZNS1_9scan_implILNS1_25lookback_scan_determinismE0ELb1ELb1ES3_N6thrust23THRUST_200600_302600_NS6detail15normal_iteratorINS9_10device_ptrIfEEEESE_f11max_functorIfEfEEDaPvRmT3_T4_T5_mT6_P12ihipStream_tbENKUlT_T0_E_clISt17integral_constantIbLb0EEST_IbLb1EEEEDaSP_SQ_EUlSP_E_NS1_11comp_targetILNS1_3genE10ELNS1_11target_archE1201ELNS1_3gpuE5ELNS1_3repE0EEENS1_30default_config_static_selectorELNS0_4arch9wavefront6targetE1EEEvT1_ ; -- Begin function _ZN7rocprim17ROCPRIM_400000_NS6detail17trampoline_kernelINS0_14default_configENS1_20scan_config_selectorIfEEZZNS1_9scan_implILNS1_25lookback_scan_determinismE0ELb1ELb1ES3_N6thrust23THRUST_200600_302600_NS6detail15normal_iteratorINS9_10device_ptrIfEEEESE_f11max_functorIfEfEEDaPvRmT3_T4_T5_mT6_P12ihipStream_tbENKUlT_T0_E_clISt17integral_constantIbLb0EEST_IbLb1EEEEDaSP_SQ_EUlSP_E_NS1_11comp_targetILNS1_3genE10ELNS1_11target_archE1201ELNS1_3gpuE5ELNS1_3repE0EEENS1_30default_config_static_selectorELNS0_4arch9wavefront6targetE1EEEvT1_
	.globl	_ZN7rocprim17ROCPRIM_400000_NS6detail17trampoline_kernelINS0_14default_configENS1_20scan_config_selectorIfEEZZNS1_9scan_implILNS1_25lookback_scan_determinismE0ELb1ELb1ES3_N6thrust23THRUST_200600_302600_NS6detail15normal_iteratorINS9_10device_ptrIfEEEESE_f11max_functorIfEfEEDaPvRmT3_T4_T5_mT6_P12ihipStream_tbENKUlT_T0_E_clISt17integral_constantIbLb0EEST_IbLb1EEEEDaSP_SQ_EUlSP_E_NS1_11comp_targetILNS1_3genE10ELNS1_11target_archE1201ELNS1_3gpuE5ELNS1_3repE0EEENS1_30default_config_static_selectorELNS0_4arch9wavefront6targetE1EEEvT1_
	.p2align	8
	.type	_ZN7rocprim17ROCPRIM_400000_NS6detail17trampoline_kernelINS0_14default_configENS1_20scan_config_selectorIfEEZZNS1_9scan_implILNS1_25lookback_scan_determinismE0ELb1ELb1ES3_N6thrust23THRUST_200600_302600_NS6detail15normal_iteratorINS9_10device_ptrIfEEEESE_f11max_functorIfEfEEDaPvRmT3_T4_T5_mT6_P12ihipStream_tbENKUlT_T0_E_clISt17integral_constantIbLb0EEST_IbLb1EEEEDaSP_SQ_EUlSP_E_NS1_11comp_targetILNS1_3genE10ELNS1_11target_archE1201ELNS1_3gpuE5ELNS1_3repE0EEENS1_30default_config_static_selectorELNS0_4arch9wavefront6targetE1EEEvT1_,@function
_ZN7rocprim17ROCPRIM_400000_NS6detail17trampoline_kernelINS0_14default_configENS1_20scan_config_selectorIfEEZZNS1_9scan_implILNS1_25lookback_scan_determinismE0ELb1ELb1ES3_N6thrust23THRUST_200600_302600_NS6detail15normal_iteratorINS9_10device_ptrIfEEEESE_f11max_functorIfEfEEDaPvRmT3_T4_T5_mT6_P12ihipStream_tbENKUlT_T0_E_clISt17integral_constantIbLb0EEST_IbLb1EEEEDaSP_SQ_EUlSP_E_NS1_11comp_targetILNS1_3genE10ELNS1_11target_archE1201ELNS1_3gpuE5ELNS1_3repE0EEENS1_30default_config_static_selectorELNS0_4arch9wavefront6targetE1EEEvT1_: ; @_ZN7rocprim17ROCPRIM_400000_NS6detail17trampoline_kernelINS0_14default_configENS1_20scan_config_selectorIfEEZZNS1_9scan_implILNS1_25lookback_scan_determinismE0ELb1ELb1ES3_N6thrust23THRUST_200600_302600_NS6detail15normal_iteratorINS9_10device_ptrIfEEEESE_f11max_functorIfEfEEDaPvRmT3_T4_T5_mT6_P12ihipStream_tbENKUlT_T0_E_clISt17integral_constantIbLb0EEST_IbLb1EEEEDaSP_SQ_EUlSP_E_NS1_11comp_targetILNS1_3genE10ELNS1_11target_archE1201ELNS1_3gpuE5ELNS1_3repE0EEENS1_30default_config_static_selectorELNS0_4arch9wavefront6targetE1EEEvT1_
; %bb.0:
	.section	.rodata,"a",@progbits
	.p2align	6, 0x0
	.amdhsa_kernel _ZN7rocprim17ROCPRIM_400000_NS6detail17trampoline_kernelINS0_14default_configENS1_20scan_config_selectorIfEEZZNS1_9scan_implILNS1_25lookback_scan_determinismE0ELb1ELb1ES3_N6thrust23THRUST_200600_302600_NS6detail15normal_iteratorINS9_10device_ptrIfEEEESE_f11max_functorIfEfEEDaPvRmT3_T4_T5_mT6_P12ihipStream_tbENKUlT_T0_E_clISt17integral_constantIbLb0EEST_IbLb1EEEEDaSP_SQ_EUlSP_E_NS1_11comp_targetILNS1_3genE10ELNS1_11target_archE1201ELNS1_3gpuE5ELNS1_3repE0EEENS1_30default_config_static_selectorELNS0_4arch9wavefront6targetE1EEEvT1_
		.amdhsa_group_segment_fixed_size 0
		.amdhsa_private_segment_fixed_size 0
		.amdhsa_kernarg_size 96
		.amdhsa_user_sgpr_count 6
		.amdhsa_user_sgpr_private_segment_buffer 1
		.amdhsa_user_sgpr_dispatch_ptr 0
		.amdhsa_user_sgpr_queue_ptr 0
		.amdhsa_user_sgpr_kernarg_segment_ptr 1
		.amdhsa_user_sgpr_dispatch_id 0
		.amdhsa_user_sgpr_flat_scratch_init 0
		.amdhsa_user_sgpr_kernarg_preload_length 0
		.amdhsa_user_sgpr_kernarg_preload_offset 0
		.amdhsa_user_sgpr_private_segment_size 0
		.amdhsa_uses_dynamic_stack 0
		.amdhsa_system_sgpr_private_segment_wavefront_offset 0
		.amdhsa_system_sgpr_workgroup_id_x 1
		.amdhsa_system_sgpr_workgroup_id_y 0
		.amdhsa_system_sgpr_workgroup_id_z 0
		.amdhsa_system_sgpr_workgroup_info 0
		.amdhsa_system_vgpr_workitem_id 0
		.amdhsa_next_free_vgpr 1
		.amdhsa_next_free_sgpr 0
		.amdhsa_accum_offset 4
		.amdhsa_reserve_vcc 0
		.amdhsa_reserve_flat_scratch 0
		.amdhsa_float_round_mode_32 0
		.amdhsa_float_round_mode_16_64 0
		.amdhsa_float_denorm_mode_32 3
		.amdhsa_float_denorm_mode_16_64 3
		.amdhsa_dx10_clamp 1
		.amdhsa_ieee_mode 1
		.amdhsa_fp16_overflow 0
		.amdhsa_tg_split 0
		.amdhsa_exception_fp_ieee_invalid_op 0
		.amdhsa_exception_fp_denorm_src 0
		.amdhsa_exception_fp_ieee_div_zero 0
		.amdhsa_exception_fp_ieee_overflow 0
		.amdhsa_exception_fp_ieee_underflow 0
		.amdhsa_exception_fp_ieee_inexact 0
		.amdhsa_exception_int_div_zero 0
	.end_amdhsa_kernel
	.section	.text._ZN7rocprim17ROCPRIM_400000_NS6detail17trampoline_kernelINS0_14default_configENS1_20scan_config_selectorIfEEZZNS1_9scan_implILNS1_25lookback_scan_determinismE0ELb1ELb1ES3_N6thrust23THRUST_200600_302600_NS6detail15normal_iteratorINS9_10device_ptrIfEEEESE_f11max_functorIfEfEEDaPvRmT3_T4_T5_mT6_P12ihipStream_tbENKUlT_T0_E_clISt17integral_constantIbLb0EEST_IbLb1EEEEDaSP_SQ_EUlSP_E_NS1_11comp_targetILNS1_3genE10ELNS1_11target_archE1201ELNS1_3gpuE5ELNS1_3repE0EEENS1_30default_config_static_selectorELNS0_4arch9wavefront6targetE1EEEvT1_,"axG",@progbits,_ZN7rocprim17ROCPRIM_400000_NS6detail17trampoline_kernelINS0_14default_configENS1_20scan_config_selectorIfEEZZNS1_9scan_implILNS1_25lookback_scan_determinismE0ELb1ELb1ES3_N6thrust23THRUST_200600_302600_NS6detail15normal_iteratorINS9_10device_ptrIfEEEESE_f11max_functorIfEfEEDaPvRmT3_T4_T5_mT6_P12ihipStream_tbENKUlT_T0_E_clISt17integral_constantIbLb0EEST_IbLb1EEEEDaSP_SQ_EUlSP_E_NS1_11comp_targetILNS1_3genE10ELNS1_11target_archE1201ELNS1_3gpuE5ELNS1_3repE0EEENS1_30default_config_static_selectorELNS0_4arch9wavefront6targetE1EEEvT1_,comdat
.Lfunc_end2074:
	.size	_ZN7rocprim17ROCPRIM_400000_NS6detail17trampoline_kernelINS0_14default_configENS1_20scan_config_selectorIfEEZZNS1_9scan_implILNS1_25lookback_scan_determinismE0ELb1ELb1ES3_N6thrust23THRUST_200600_302600_NS6detail15normal_iteratorINS9_10device_ptrIfEEEESE_f11max_functorIfEfEEDaPvRmT3_T4_T5_mT6_P12ihipStream_tbENKUlT_T0_E_clISt17integral_constantIbLb0EEST_IbLb1EEEEDaSP_SQ_EUlSP_E_NS1_11comp_targetILNS1_3genE10ELNS1_11target_archE1201ELNS1_3gpuE5ELNS1_3repE0EEENS1_30default_config_static_selectorELNS0_4arch9wavefront6targetE1EEEvT1_, .Lfunc_end2074-_ZN7rocprim17ROCPRIM_400000_NS6detail17trampoline_kernelINS0_14default_configENS1_20scan_config_selectorIfEEZZNS1_9scan_implILNS1_25lookback_scan_determinismE0ELb1ELb1ES3_N6thrust23THRUST_200600_302600_NS6detail15normal_iteratorINS9_10device_ptrIfEEEESE_f11max_functorIfEfEEDaPvRmT3_T4_T5_mT6_P12ihipStream_tbENKUlT_T0_E_clISt17integral_constantIbLb0EEST_IbLb1EEEEDaSP_SQ_EUlSP_E_NS1_11comp_targetILNS1_3genE10ELNS1_11target_archE1201ELNS1_3gpuE5ELNS1_3repE0EEENS1_30default_config_static_selectorELNS0_4arch9wavefront6targetE1EEEvT1_
                                        ; -- End function
	.section	.AMDGPU.csdata,"",@progbits
; Kernel info:
; codeLenInByte = 0
; NumSgprs: 4
; NumVgprs: 0
; NumAgprs: 0
; TotalNumVgprs: 0
; ScratchSize: 0
; MemoryBound: 0
; FloatMode: 240
; IeeeMode: 1
; LDSByteSize: 0 bytes/workgroup (compile time only)
; SGPRBlocks: 0
; VGPRBlocks: 0
; NumSGPRsForWavesPerEU: 4
; NumVGPRsForWavesPerEU: 1
; AccumOffset: 4
; Occupancy: 8
; WaveLimiterHint : 0
; COMPUTE_PGM_RSRC2:SCRATCH_EN: 0
; COMPUTE_PGM_RSRC2:USER_SGPR: 6
; COMPUTE_PGM_RSRC2:TRAP_HANDLER: 0
; COMPUTE_PGM_RSRC2:TGID_X_EN: 1
; COMPUTE_PGM_RSRC2:TGID_Y_EN: 0
; COMPUTE_PGM_RSRC2:TGID_Z_EN: 0
; COMPUTE_PGM_RSRC2:TIDIG_COMP_CNT: 0
; COMPUTE_PGM_RSRC3_GFX90A:ACCUM_OFFSET: 0
; COMPUTE_PGM_RSRC3_GFX90A:TG_SPLIT: 0
	.section	.text._ZN7rocprim17ROCPRIM_400000_NS6detail17trampoline_kernelINS0_14default_configENS1_20scan_config_selectorIfEEZZNS1_9scan_implILNS1_25lookback_scan_determinismE0ELb1ELb1ES3_N6thrust23THRUST_200600_302600_NS6detail15normal_iteratorINS9_10device_ptrIfEEEESE_f11max_functorIfEfEEDaPvRmT3_T4_T5_mT6_P12ihipStream_tbENKUlT_T0_E_clISt17integral_constantIbLb0EEST_IbLb1EEEEDaSP_SQ_EUlSP_E_NS1_11comp_targetILNS1_3genE10ELNS1_11target_archE1200ELNS1_3gpuE4ELNS1_3repE0EEENS1_30default_config_static_selectorELNS0_4arch9wavefront6targetE1EEEvT1_,"axG",@progbits,_ZN7rocprim17ROCPRIM_400000_NS6detail17trampoline_kernelINS0_14default_configENS1_20scan_config_selectorIfEEZZNS1_9scan_implILNS1_25lookback_scan_determinismE0ELb1ELb1ES3_N6thrust23THRUST_200600_302600_NS6detail15normal_iteratorINS9_10device_ptrIfEEEESE_f11max_functorIfEfEEDaPvRmT3_T4_T5_mT6_P12ihipStream_tbENKUlT_T0_E_clISt17integral_constantIbLb0EEST_IbLb1EEEEDaSP_SQ_EUlSP_E_NS1_11comp_targetILNS1_3genE10ELNS1_11target_archE1200ELNS1_3gpuE4ELNS1_3repE0EEENS1_30default_config_static_selectorELNS0_4arch9wavefront6targetE1EEEvT1_,comdat
	.protected	_ZN7rocprim17ROCPRIM_400000_NS6detail17trampoline_kernelINS0_14default_configENS1_20scan_config_selectorIfEEZZNS1_9scan_implILNS1_25lookback_scan_determinismE0ELb1ELb1ES3_N6thrust23THRUST_200600_302600_NS6detail15normal_iteratorINS9_10device_ptrIfEEEESE_f11max_functorIfEfEEDaPvRmT3_T4_T5_mT6_P12ihipStream_tbENKUlT_T0_E_clISt17integral_constantIbLb0EEST_IbLb1EEEEDaSP_SQ_EUlSP_E_NS1_11comp_targetILNS1_3genE10ELNS1_11target_archE1200ELNS1_3gpuE4ELNS1_3repE0EEENS1_30default_config_static_selectorELNS0_4arch9wavefront6targetE1EEEvT1_ ; -- Begin function _ZN7rocprim17ROCPRIM_400000_NS6detail17trampoline_kernelINS0_14default_configENS1_20scan_config_selectorIfEEZZNS1_9scan_implILNS1_25lookback_scan_determinismE0ELb1ELb1ES3_N6thrust23THRUST_200600_302600_NS6detail15normal_iteratorINS9_10device_ptrIfEEEESE_f11max_functorIfEfEEDaPvRmT3_T4_T5_mT6_P12ihipStream_tbENKUlT_T0_E_clISt17integral_constantIbLb0EEST_IbLb1EEEEDaSP_SQ_EUlSP_E_NS1_11comp_targetILNS1_3genE10ELNS1_11target_archE1200ELNS1_3gpuE4ELNS1_3repE0EEENS1_30default_config_static_selectorELNS0_4arch9wavefront6targetE1EEEvT1_
	.globl	_ZN7rocprim17ROCPRIM_400000_NS6detail17trampoline_kernelINS0_14default_configENS1_20scan_config_selectorIfEEZZNS1_9scan_implILNS1_25lookback_scan_determinismE0ELb1ELb1ES3_N6thrust23THRUST_200600_302600_NS6detail15normal_iteratorINS9_10device_ptrIfEEEESE_f11max_functorIfEfEEDaPvRmT3_T4_T5_mT6_P12ihipStream_tbENKUlT_T0_E_clISt17integral_constantIbLb0EEST_IbLb1EEEEDaSP_SQ_EUlSP_E_NS1_11comp_targetILNS1_3genE10ELNS1_11target_archE1200ELNS1_3gpuE4ELNS1_3repE0EEENS1_30default_config_static_selectorELNS0_4arch9wavefront6targetE1EEEvT1_
	.p2align	8
	.type	_ZN7rocprim17ROCPRIM_400000_NS6detail17trampoline_kernelINS0_14default_configENS1_20scan_config_selectorIfEEZZNS1_9scan_implILNS1_25lookback_scan_determinismE0ELb1ELb1ES3_N6thrust23THRUST_200600_302600_NS6detail15normal_iteratorINS9_10device_ptrIfEEEESE_f11max_functorIfEfEEDaPvRmT3_T4_T5_mT6_P12ihipStream_tbENKUlT_T0_E_clISt17integral_constantIbLb0EEST_IbLb1EEEEDaSP_SQ_EUlSP_E_NS1_11comp_targetILNS1_3genE10ELNS1_11target_archE1200ELNS1_3gpuE4ELNS1_3repE0EEENS1_30default_config_static_selectorELNS0_4arch9wavefront6targetE1EEEvT1_,@function
_ZN7rocprim17ROCPRIM_400000_NS6detail17trampoline_kernelINS0_14default_configENS1_20scan_config_selectorIfEEZZNS1_9scan_implILNS1_25lookback_scan_determinismE0ELb1ELb1ES3_N6thrust23THRUST_200600_302600_NS6detail15normal_iteratorINS9_10device_ptrIfEEEESE_f11max_functorIfEfEEDaPvRmT3_T4_T5_mT6_P12ihipStream_tbENKUlT_T0_E_clISt17integral_constantIbLb0EEST_IbLb1EEEEDaSP_SQ_EUlSP_E_NS1_11comp_targetILNS1_3genE10ELNS1_11target_archE1200ELNS1_3gpuE4ELNS1_3repE0EEENS1_30default_config_static_selectorELNS0_4arch9wavefront6targetE1EEEvT1_: ; @_ZN7rocprim17ROCPRIM_400000_NS6detail17trampoline_kernelINS0_14default_configENS1_20scan_config_selectorIfEEZZNS1_9scan_implILNS1_25lookback_scan_determinismE0ELb1ELb1ES3_N6thrust23THRUST_200600_302600_NS6detail15normal_iteratorINS9_10device_ptrIfEEEESE_f11max_functorIfEfEEDaPvRmT3_T4_T5_mT6_P12ihipStream_tbENKUlT_T0_E_clISt17integral_constantIbLb0EEST_IbLb1EEEEDaSP_SQ_EUlSP_E_NS1_11comp_targetILNS1_3genE10ELNS1_11target_archE1200ELNS1_3gpuE4ELNS1_3repE0EEENS1_30default_config_static_selectorELNS0_4arch9wavefront6targetE1EEEvT1_
; %bb.0:
	.section	.rodata,"a",@progbits
	.p2align	6, 0x0
	.amdhsa_kernel _ZN7rocprim17ROCPRIM_400000_NS6detail17trampoline_kernelINS0_14default_configENS1_20scan_config_selectorIfEEZZNS1_9scan_implILNS1_25lookback_scan_determinismE0ELb1ELb1ES3_N6thrust23THRUST_200600_302600_NS6detail15normal_iteratorINS9_10device_ptrIfEEEESE_f11max_functorIfEfEEDaPvRmT3_T4_T5_mT6_P12ihipStream_tbENKUlT_T0_E_clISt17integral_constantIbLb0EEST_IbLb1EEEEDaSP_SQ_EUlSP_E_NS1_11comp_targetILNS1_3genE10ELNS1_11target_archE1200ELNS1_3gpuE4ELNS1_3repE0EEENS1_30default_config_static_selectorELNS0_4arch9wavefront6targetE1EEEvT1_
		.amdhsa_group_segment_fixed_size 0
		.amdhsa_private_segment_fixed_size 0
		.amdhsa_kernarg_size 96
		.amdhsa_user_sgpr_count 6
		.amdhsa_user_sgpr_private_segment_buffer 1
		.amdhsa_user_sgpr_dispatch_ptr 0
		.amdhsa_user_sgpr_queue_ptr 0
		.amdhsa_user_sgpr_kernarg_segment_ptr 1
		.amdhsa_user_sgpr_dispatch_id 0
		.amdhsa_user_sgpr_flat_scratch_init 0
		.amdhsa_user_sgpr_kernarg_preload_length 0
		.amdhsa_user_sgpr_kernarg_preload_offset 0
		.amdhsa_user_sgpr_private_segment_size 0
		.amdhsa_uses_dynamic_stack 0
		.amdhsa_system_sgpr_private_segment_wavefront_offset 0
		.amdhsa_system_sgpr_workgroup_id_x 1
		.amdhsa_system_sgpr_workgroup_id_y 0
		.amdhsa_system_sgpr_workgroup_id_z 0
		.amdhsa_system_sgpr_workgroup_info 0
		.amdhsa_system_vgpr_workitem_id 0
		.amdhsa_next_free_vgpr 1
		.amdhsa_next_free_sgpr 0
		.amdhsa_accum_offset 4
		.amdhsa_reserve_vcc 0
		.amdhsa_reserve_flat_scratch 0
		.amdhsa_float_round_mode_32 0
		.amdhsa_float_round_mode_16_64 0
		.amdhsa_float_denorm_mode_32 3
		.amdhsa_float_denorm_mode_16_64 3
		.amdhsa_dx10_clamp 1
		.amdhsa_ieee_mode 1
		.amdhsa_fp16_overflow 0
		.amdhsa_tg_split 0
		.amdhsa_exception_fp_ieee_invalid_op 0
		.amdhsa_exception_fp_denorm_src 0
		.amdhsa_exception_fp_ieee_div_zero 0
		.amdhsa_exception_fp_ieee_overflow 0
		.amdhsa_exception_fp_ieee_underflow 0
		.amdhsa_exception_fp_ieee_inexact 0
		.amdhsa_exception_int_div_zero 0
	.end_amdhsa_kernel
	.section	.text._ZN7rocprim17ROCPRIM_400000_NS6detail17trampoline_kernelINS0_14default_configENS1_20scan_config_selectorIfEEZZNS1_9scan_implILNS1_25lookback_scan_determinismE0ELb1ELb1ES3_N6thrust23THRUST_200600_302600_NS6detail15normal_iteratorINS9_10device_ptrIfEEEESE_f11max_functorIfEfEEDaPvRmT3_T4_T5_mT6_P12ihipStream_tbENKUlT_T0_E_clISt17integral_constantIbLb0EEST_IbLb1EEEEDaSP_SQ_EUlSP_E_NS1_11comp_targetILNS1_3genE10ELNS1_11target_archE1200ELNS1_3gpuE4ELNS1_3repE0EEENS1_30default_config_static_selectorELNS0_4arch9wavefront6targetE1EEEvT1_,"axG",@progbits,_ZN7rocprim17ROCPRIM_400000_NS6detail17trampoline_kernelINS0_14default_configENS1_20scan_config_selectorIfEEZZNS1_9scan_implILNS1_25lookback_scan_determinismE0ELb1ELb1ES3_N6thrust23THRUST_200600_302600_NS6detail15normal_iteratorINS9_10device_ptrIfEEEESE_f11max_functorIfEfEEDaPvRmT3_T4_T5_mT6_P12ihipStream_tbENKUlT_T0_E_clISt17integral_constantIbLb0EEST_IbLb1EEEEDaSP_SQ_EUlSP_E_NS1_11comp_targetILNS1_3genE10ELNS1_11target_archE1200ELNS1_3gpuE4ELNS1_3repE0EEENS1_30default_config_static_selectorELNS0_4arch9wavefront6targetE1EEEvT1_,comdat
.Lfunc_end2075:
	.size	_ZN7rocprim17ROCPRIM_400000_NS6detail17trampoline_kernelINS0_14default_configENS1_20scan_config_selectorIfEEZZNS1_9scan_implILNS1_25lookback_scan_determinismE0ELb1ELb1ES3_N6thrust23THRUST_200600_302600_NS6detail15normal_iteratorINS9_10device_ptrIfEEEESE_f11max_functorIfEfEEDaPvRmT3_T4_T5_mT6_P12ihipStream_tbENKUlT_T0_E_clISt17integral_constantIbLb0EEST_IbLb1EEEEDaSP_SQ_EUlSP_E_NS1_11comp_targetILNS1_3genE10ELNS1_11target_archE1200ELNS1_3gpuE4ELNS1_3repE0EEENS1_30default_config_static_selectorELNS0_4arch9wavefront6targetE1EEEvT1_, .Lfunc_end2075-_ZN7rocprim17ROCPRIM_400000_NS6detail17trampoline_kernelINS0_14default_configENS1_20scan_config_selectorIfEEZZNS1_9scan_implILNS1_25lookback_scan_determinismE0ELb1ELb1ES3_N6thrust23THRUST_200600_302600_NS6detail15normal_iteratorINS9_10device_ptrIfEEEESE_f11max_functorIfEfEEDaPvRmT3_T4_T5_mT6_P12ihipStream_tbENKUlT_T0_E_clISt17integral_constantIbLb0EEST_IbLb1EEEEDaSP_SQ_EUlSP_E_NS1_11comp_targetILNS1_3genE10ELNS1_11target_archE1200ELNS1_3gpuE4ELNS1_3repE0EEENS1_30default_config_static_selectorELNS0_4arch9wavefront6targetE1EEEvT1_
                                        ; -- End function
	.section	.AMDGPU.csdata,"",@progbits
; Kernel info:
; codeLenInByte = 0
; NumSgprs: 4
; NumVgprs: 0
; NumAgprs: 0
; TotalNumVgprs: 0
; ScratchSize: 0
; MemoryBound: 0
; FloatMode: 240
; IeeeMode: 1
; LDSByteSize: 0 bytes/workgroup (compile time only)
; SGPRBlocks: 0
; VGPRBlocks: 0
; NumSGPRsForWavesPerEU: 4
; NumVGPRsForWavesPerEU: 1
; AccumOffset: 4
; Occupancy: 8
; WaveLimiterHint : 0
; COMPUTE_PGM_RSRC2:SCRATCH_EN: 0
; COMPUTE_PGM_RSRC2:USER_SGPR: 6
; COMPUTE_PGM_RSRC2:TRAP_HANDLER: 0
; COMPUTE_PGM_RSRC2:TGID_X_EN: 1
; COMPUTE_PGM_RSRC2:TGID_Y_EN: 0
; COMPUTE_PGM_RSRC2:TGID_Z_EN: 0
; COMPUTE_PGM_RSRC2:TIDIG_COMP_CNT: 0
; COMPUTE_PGM_RSRC3_GFX90A:ACCUM_OFFSET: 0
; COMPUTE_PGM_RSRC3_GFX90A:TG_SPLIT: 0
	.section	.text._ZN7rocprim17ROCPRIM_400000_NS6detail17trampoline_kernelINS0_14default_configENS1_20scan_config_selectorIfEEZZNS1_9scan_implILNS1_25lookback_scan_determinismE0ELb1ELb1ES3_N6thrust23THRUST_200600_302600_NS6detail15normal_iteratorINS9_10device_ptrIfEEEESE_f11max_functorIfEfEEDaPvRmT3_T4_T5_mT6_P12ihipStream_tbENKUlT_T0_E_clISt17integral_constantIbLb0EEST_IbLb1EEEEDaSP_SQ_EUlSP_E_NS1_11comp_targetILNS1_3genE9ELNS1_11target_archE1100ELNS1_3gpuE3ELNS1_3repE0EEENS1_30default_config_static_selectorELNS0_4arch9wavefront6targetE1EEEvT1_,"axG",@progbits,_ZN7rocprim17ROCPRIM_400000_NS6detail17trampoline_kernelINS0_14default_configENS1_20scan_config_selectorIfEEZZNS1_9scan_implILNS1_25lookback_scan_determinismE0ELb1ELb1ES3_N6thrust23THRUST_200600_302600_NS6detail15normal_iteratorINS9_10device_ptrIfEEEESE_f11max_functorIfEfEEDaPvRmT3_T4_T5_mT6_P12ihipStream_tbENKUlT_T0_E_clISt17integral_constantIbLb0EEST_IbLb1EEEEDaSP_SQ_EUlSP_E_NS1_11comp_targetILNS1_3genE9ELNS1_11target_archE1100ELNS1_3gpuE3ELNS1_3repE0EEENS1_30default_config_static_selectorELNS0_4arch9wavefront6targetE1EEEvT1_,comdat
	.protected	_ZN7rocprim17ROCPRIM_400000_NS6detail17trampoline_kernelINS0_14default_configENS1_20scan_config_selectorIfEEZZNS1_9scan_implILNS1_25lookback_scan_determinismE0ELb1ELb1ES3_N6thrust23THRUST_200600_302600_NS6detail15normal_iteratorINS9_10device_ptrIfEEEESE_f11max_functorIfEfEEDaPvRmT3_T4_T5_mT6_P12ihipStream_tbENKUlT_T0_E_clISt17integral_constantIbLb0EEST_IbLb1EEEEDaSP_SQ_EUlSP_E_NS1_11comp_targetILNS1_3genE9ELNS1_11target_archE1100ELNS1_3gpuE3ELNS1_3repE0EEENS1_30default_config_static_selectorELNS0_4arch9wavefront6targetE1EEEvT1_ ; -- Begin function _ZN7rocprim17ROCPRIM_400000_NS6detail17trampoline_kernelINS0_14default_configENS1_20scan_config_selectorIfEEZZNS1_9scan_implILNS1_25lookback_scan_determinismE0ELb1ELb1ES3_N6thrust23THRUST_200600_302600_NS6detail15normal_iteratorINS9_10device_ptrIfEEEESE_f11max_functorIfEfEEDaPvRmT3_T4_T5_mT6_P12ihipStream_tbENKUlT_T0_E_clISt17integral_constantIbLb0EEST_IbLb1EEEEDaSP_SQ_EUlSP_E_NS1_11comp_targetILNS1_3genE9ELNS1_11target_archE1100ELNS1_3gpuE3ELNS1_3repE0EEENS1_30default_config_static_selectorELNS0_4arch9wavefront6targetE1EEEvT1_
	.globl	_ZN7rocprim17ROCPRIM_400000_NS6detail17trampoline_kernelINS0_14default_configENS1_20scan_config_selectorIfEEZZNS1_9scan_implILNS1_25lookback_scan_determinismE0ELb1ELb1ES3_N6thrust23THRUST_200600_302600_NS6detail15normal_iteratorINS9_10device_ptrIfEEEESE_f11max_functorIfEfEEDaPvRmT3_T4_T5_mT6_P12ihipStream_tbENKUlT_T0_E_clISt17integral_constantIbLb0EEST_IbLb1EEEEDaSP_SQ_EUlSP_E_NS1_11comp_targetILNS1_3genE9ELNS1_11target_archE1100ELNS1_3gpuE3ELNS1_3repE0EEENS1_30default_config_static_selectorELNS0_4arch9wavefront6targetE1EEEvT1_
	.p2align	8
	.type	_ZN7rocprim17ROCPRIM_400000_NS6detail17trampoline_kernelINS0_14default_configENS1_20scan_config_selectorIfEEZZNS1_9scan_implILNS1_25lookback_scan_determinismE0ELb1ELb1ES3_N6thrust23THRUST_200600_302600_NS6detail15normal_iteratorINS9_10device_ptrIfEEEESE_f11max_functorIfEfEEDaPvRmT3_T4_T5_mT6_P12ihipStream_tbENKUlT_T0_E_clISt17integral_constantIbLb0EEST_IbLb1EEEEDaSP_SQ_EUlSP_E_NS1_11comp_targetILNS1_3genE9ELNS1_11target_archE1100ELNS1_3gpuE3ELNS1_3repE0EEENS1_30default_config_static_selectorELNS0_4arch9wavefront6targetE1EEEvT1_,@function
_ZN7rocprim17ROCPRIM_400000_NS6detail17trampoline_kernelINS0_14default_configENS1_20scan_config_selectorIfEEZZNS1_9scan_implILNS1_25lookback_scan_determinismE0ELb1ELb1ES3_N6thrust23THRUST_200600_302600_NS6detail15normal_iteratorINS9_10device_ptrIfEEEESE_f11max_functorIfEfEEDaPvRmT3_T4_T5_mT6_P12ihipStream_tbENKUlT_T0_E_clISt17integral_constantIbLb0EEST_IbLb1EEEEDaSP_SQ_EUlSP_E_NS1_11comp_targetILNS1_3genE9ELNS1_11target_archE1100ELNS1_3gpuE3ELNS1_3repE0EEENS1_30default_config_static_selectorELNS0_4arch9wavefront6targetE1EEEvT1_: ; @_ZN7rocprim17ROCPRIM_400000_NS6detail17trampoline_kernelINS0_14default_configENS1_20scan_config_selectorIfEEZZNS1_9scan_implILNS1_25lookback_scan_determinismE0ELb1ELb1ES3_N6thrust23THRUST_200600_302600_NS6detail15normal_iteratorINS9_10device_ptrIfEEEESE_f11max_functorIfEfEEDaPvRmT3_T4_T5_mT6_P12ihipStream_tbENKUlT_T0_E_clISt17integral_constantIbLb0EEST_IbLb1EEEEDaSP_SQ_EUlSP_E_NS1_11comp_targetILNS1_3genE9ELNS1_11target_archE1100ELNS1_3gpuE3ELNS1_3repE0EEENS1_30default_config_static_selectorELNS0_4arch9wavefront6targetE1EEEvT1_
; %bb.0:
	.section	.rodata,"a",@progbits
	.p2align	6, 0x0
	.amdhsa_kernel _ZN7rocprim17ROCPRIM_400000_NS6detail17trampoline_kernelINS0_14default_configENS1_20scan_config_selectorIfEEZZNS1_9scan_implILNS1_25lookback_scan_determinismE0ELb1ELb1ES3_N6thrust23THRUST_200600_302600_NS6detail15normal_iteratorINS9_10device_ptrIfEEEESE_f11max_functorIfEfEEDaPvRmT3_T4_T5_mT6_P12ihipStream_tbENKUlT_T0_E_clISt17integral_constantIbLb0EEST_IbLb1EEEEDaSP_SQ_EUlSP_E_NS1_11comp_targetILNS1_3genE9ELNS1_11target_archE1100ELNS1_3gpuE3ELNS1_3repE0EEENS1_30default_config_static_selectorELNS0_4arch9wavefront6targetE1EEEvT1_
		.amdhsa_group_segment_fixed_size 0
		.amdhsa_private_segment_fixed_size 0
		.amdhsa_kernarg_size 96
		.amdhsa_user_sgpr_count 6
		.amdhsa_user_sgpr_private_segment_buffer 1
		.amdhsa_user_sgpr_dispatch_ptr 0
		.amdhsa_user_sgpr_queue_ptr 0
		.amdhsa_user_sgpr_kernarg_segment_ptr 1
		.amdhsa_user_sgpr_dispatch_id 0
		.amdhsa_user_sgpr_flat_scratch_init 0
		.amdhsa_user_sgpr_kernarg_preload_length 0
		.amdhsa_user_sgpr_kernarg_preload_offset 0
		.amdhsa_user_sgpr_private_segment_size 0
		.amdhsa_uses_dynamic_stack 0
		.amdhsa_system_sgpr_private_segment_wavefront_offset 0
		.amdhsa_system_sgpr_workgroup_id_x 1
		.amdhsa_system_sgpr_workgroup_id_y 0
		.amdhsa_system_sgpr_workgroup_id_z 0
		.amdhsa_system_sgpr_workgroup_info 0
		.amdhsa_system_vgpr_workitem_id 0
		.amdhsa_next_free_vgpr 1
		.amdhsa_next_free_sgpr 0
		.amdhsa_accum_offset 4
		.amdhsa_reserve_vcc 0
		.amdhsa_reserve_flat_scratch 0
		.amdhsa_float_round_mode_32 0
		.amdhsa_float_round_mode_16_64 0
		.amdhsa_float_denorm_mode_32 3
		.amdhsa_float_denorm_mode_16_64 3
		.amdhsa_dx10_clamp 1
		.amdhsa_ieee_mode 1
		.amdhsa_fp16_overflow 0
		.amdhsa_tg_split 0
		.amdhsa_exception_fp_ieee_invalid_op 0
		.amdhsa_exception_fp_denorm_src 0
		.amdhsa_exception_fp_ieee_div_zero 0
		.amdhsa_exception_fp_ieee_overflow 0
		.amdhsa_exception_fp_ieee_underflow 0
		.amdhsa_exception_fp_ieee_inexact 0
		.amdhsa_exception_int_div_zero 0
	.end_amdhsa_kernel
	.section	.text._ZN7rocprim17ROCPRIM_400000_NS6detail17trampoline_kernelINS0_14default_configENS1_20scan_config_selectorIfEEZZNS1_9scan_implILNS1_25lookback_scan_determinismE0ELb1ELb1ES3_N6thrust23THRUST_200600_302600_NS6detail15normal_iteratorINS9_10device_ptrIfEEEESE_f11max_functorIfEfEEDaPvRmT3_T4_T5_mT6_P12ihipStream_tbENKUlT_T0_E_clISt17integral_constantIbLb0EEST_IbLb1EEEEDaSP_SQ_EUlSP_E_NS1_11comp_targetILNS1_3genE9ELNS1_11target_archE1100ELNS1_3gpuE3ELNS1_3repE0EEENS1_30default_config_static_selectorELNS0_4arch9wavefront6targetE1EEEvT1_,"axG",@progbits,_ZN7rocprim17ROCPRIM_400000_NS6detail17trampoline_kernelINS0_14default_configENS1_20scan_config_selectorIfEEZZNS1_9scan_implILNS1_25lookback_scan_determinismE0ELb1ELb1ES3_N6thrust23THRUST_200600_302600_NS6detail15normal_iteratorINS9_10device_ptrIfEEEESE_f11max_functorIfEfEEDaPvRmT3_T4_T5_mT6_P12ihipStream_tbENKUlT_T0_E_clISt17integral_constantIbLb0EEST_IbLb1EEEEDaSP_SQ_EUlSP_E_NS1_11comp_targetILNS1_3genE9ELNS1_11target_archE1100ELNS1_3gpuE3ELNS1_3repE0EEENS1_30default_config_static_selectorELNS0_4arch9wavefront6targetE1EEEvT1_,comdat
.Lfunc_end2076:
	.size	_ZN7rocprim17ROCPRIM_400000_NS6detail17trampoline_kernelINS0_14default_configENS1_20scan_config_selectorIfEEZZNS1_9scan_implILNS1_25lookback_scan_determinismE0ELb1ELb1ES3_N6thrust23THRUST_200600_302600_NS6detail15normal_iteratorINS9_10device_ptrIfEEEESE_f11max_functorIfEfEEDaPvRmT3_T4_T5_mT6_P12ihipStream_tbENKUlT_T0_E_clISt17integral_constantIbLb0EEST_IbLb1EEEEDaSP_SQ_EUlSP_E_NS1_11comp_targetILNS1_3genE9ELNS1_11target_archE1100ELNS1_3gpuE3ELNS1_3repE0EEENS1_30default_config_static_selectorELNS0_4arch9wavefront6targetE1EEEvT1_, .Lfunc_end2076-_ZN7rocprim17ROCPRIM_400000_NS6detail17trampoline_kernelINS0_14default_configENS1_20scan_config_selectorIfEEZZNS1_9scan_implILNS1_25lookback_scan_determinismE0ELb1ELb1ES3_N6thrust23THRUST_200600_302600_NS6detail15normal_iteratorINS9_10device_ptrIfEEEESE_f11max_functorIfEfEEDaPvRmT3_T4_T5_mT6_P12ihipStream_tbENKUlT_T0_E_clISt17integral_constantIbLb0EEST_IbLb1EEEEDaSP_SQ_EUlSP_E_NS1_11comp_targetILNS1_3genE9ELNS1_11target_archE1100ELNS1_3gpuE3ELNS1_3repE0EEENS1_30default_config_static_selectorELNS0_4arch9wavefront6targetE1EEEvT1_
                                        ; -- End function
	.section	.AMDGPU.csdata,"",@progbits
; Kernel info:
; codeLenInByte = 0
; NumSgprs: 4
; NumVgprs: 0
; NumAgprs: 0
; TotalNumVgprs: 0
; ScratchSize: 0
; MemoryBound: 0
; FloatMode: 240
; IeeeMode: 1
; LDSByteSize: 0 bytes/workgroup (compile time only)
; SGPRBlocks: 0
; VGPRBlocks: 0
; NumSGPRsForWavesPerEU: 4
; NumVGPRsForWavesPerEU: 1
; AccumOffset: 4
; Occupancy: 8
; WaveLimiterHint : 0
; COMPUTE_PGM_RSRC2:SCRATCH_EN: 0
; COMPUTE_PGM_RSRC2:USER_SGPR: 6
; COMPUTE_PGM_RSRC2:TRAP_HANDLER: 0
; COMPUTE_PGM_RSRC2:TGID_X_EN: 1
; COMPUTE_PGM_RSRC2:TGID_Y_EN: 0
; COMPUTE_PGM_RSRC2:TGID_Z_EN: 0
; COMPUTE_PGM_RSRC2:TIDIG_COMP_CNT: 0
; COMPUTE_PGM_RSRC3_GFX90A:ACCUM_OFFSET: 0
; COMPUTE_PGM_RSRC3_GFX90A:TG_SPLIT: 0
	.section	.text._ZN7rocprim17ROCPRIM_400000_NS6detail17trampoline_kernelINS0_14default_configENS1_20scan_config_selectorIfEEZZNS1_9scan_implILNS1_25lookback_scan_determinismE0ELb1ELb1ES3_N6thrust23THRUST_200600_302600_NS6detail15normal_iteratorINS9_10device_ptrIfEEEESE_f11max_functorIfEfEEDaPvRmT3_T4_T5_mT6_P12ihipStream_tbENKUlT_T0_E_clISt17integral_constantIbLb0EEST_IbLb1EEEEDaSP_SQ_EUlSP_E_NS1_11comp_targetILNS1_3genE8ELNS1_11target_archE1030ELNS1_3gpuE2ELNS1_3repE0EEENS1_30default_config_static_selectorELNS0_4arch9wavefront6targetE1EEEvT1_,"axG",@progbits,_ZN7rocprim17ROCPRIM_400000_NS6detail17trampoline_kernelINS0_14default_configENS1_20scan_config_selectorIfEEZZNS1_9scan_implILNS1_25lookback_scan_determinismE0ELb1ELb1ES3_N6thrust23THRUST_200600_302600_NS6detail15normal_iteratorINS9_10device_ptrIfEEEESE_f11max_functorIfEfEEDaPvRmT3_T4_T5_mT6_P12ihipStream_tbENKUlT_T0_E_clISt17integral_constantIbLb0EEST_IbLb1EEEEDaSP_SQ_EUlSP_E_NS1_11comp_targetILNS1_3genE8ELNS1_11target_archE1030ELNS1_3gpuE2ELNS1_3repE0EEENS1_30default_config_static_selectorELNS0_4arch9wavefront6targetE1EEEvT1_,comdat
	.protected	_ZN7rocprim17ROCPRIM_400000_NS6detail17trampoline_kernelINS0_14default_configENS1_20scan_config_selectorIfEEZZNS1_9scan_implILNS1_25lookback_scan_determinismE0ELb1ELb1ES3_N6thrust23THRUST_200600_302600_NS6detail15normal_iteratorINS9_10device_ptrIfEEEESE_f11max_functorIfEfEEDaPvRmT3_T4_T5_mT6_P12ihipStream_tbENKUlT_T0_E_clISt17integral_constantIbLb0EEST_IbLb1EEEEDaSP_SQ_EUlSP_E_NS1_11comp_targetILNS1_3genE8ELNS1_11target_archE1030ELNS1_3gpuE2ELNS1_3repE0EEENS1_30default_config_static_selectorELNS0_4arch9wavefront6targetE1EEEvT1_ ; -- Begin function _ZN7rocprim17ROCPRIM_400000_NS6detail17trampoline_kernelINS0_14default_configENS1_20scan_config_selectorIfEEZZNS1_9scan_implILNS1_25lookback_scan_determinismE0ELb1ELb1ES3_N6thrust23THRUST_200600_302600_NS6detail15normal_iteratorINS9_10device_ptrIfEEEESE_f11max_functorIfEfEEDaPvRmT3_T4_T5_mT6_P12ihipStream_tbENKUlT_T0_E_clISt17integral_constantIbLb0EEST_IbLb1EEEEDaSP_SQ_EUlSP_E_NS1_11comp_targetILNS1_3genE8ELNS1_11target_archE1030ELNS1_3gpuE2ELNS1_3repE0EEENS1_30default_config_static_selectorELNS0_4arch9wavefront6targetE1EEEvT1_
	.globl	_ZN7rocprim17ROCPRIM_400000_NS6detail17trampoline_kernelINS0_14default_configENS1_20scan_config_selectorIfEEZZNS1_9scan_implILNS1_25lookback_scan_determinismE0ELb1ELb1ES3_N6thrust23THRUST_200600_302600_NS6detail15normal_iteratorINS9_10device_ptrIfEEEESE_f11max_functorIfEfEEDaPvRmT3_T4_T5_mT6_P12ihipStream_tbENKUlT_T0_E_clISt17integral_constantIbLb0EEST_IbLb1EEEEDaSP_SQ_EUlSP_E_NS1_11comp_targetILNS1_3genE8ELNS1_11target_archE1030ELNS1_3gpuE2ELNS1_3repE0EEENS1_30default_config_static_selectorELNS0_4arch9wavefront6targetE1EEEvT1_
	.p2align	8
	.type	_ZN7rocprim17ROCPRIM_400000_NS6detail17trampoline_kernelINS0_14default_configENS1_20scan_config_selectorIfEEZZNS1_9scan_implILNS1_25lookback_scan_determinismE0ELb1ELb1ES3_N6thrust23THRUST_200600_302600_NS6detail15normal_iteratorINS9_10device_ptrIfEEEESE_f11max_functorIfEfEEDaPvRmT3_T4_T5_mT6_P12ihipStream_tbENKUlT_T0_E_clISt17integral_constantIbLb0EEST_IbLb1EEEEDaSP_SQ_EUlSP_E_NS1_11comp_targetILNS1_3genE8ELNS1_11target_archE1030ELNS1_3gpuE2ELNS1_3repE0EEENS1_30default_config_static_selectorELNS0_4arch9wavefront6targetE1EEEvT1_,@function
_ZN7rocprim17ROCPRIM_400000_NS6detail17trampoline_kernelINS0_14default_configENS1_20scan_config_selectorIfEEZZNS1_9scan_implILNS1_25lookback_scan_determinismE0ELb1ELb1ES3_N6thrust23THRUST_200600_302600_NS6detail15normal_iteratorINS9_10device_ptrIfEEEESE_f11max_functorIfEfEEDaPvRmT3_T4_T5_mT6_P12ihipStream_tbENKUlT_T0_E_clISt17integral_constantIbLb0EEST_IbLb1EEEEDaSP_SQ_EUlSP_E_NS1_11comp_targetILNS1_3genE8ELNS1_11target_archE1030ELNS1_3gpuE2ELNS1_3repE0EEENS1_30default_config_static_selectorELNS0_4arch9wavefront6targetE1EEEvT1_: ; @_ZN7rocprim17ROCPRIM_400000_NS6detail17trampoline_kernelINS0_14default_configENS1_20scan_config_selectorIfEEZZNS1_9scan_implILNS1_25lookback_scan_determinismE0ELb1ELb1ES3_N6thrust23THRUST_200600_302600_NS6detail15normal_iteratorINS9_10device_ptrIfEEEESE_f11max_functorIfEfEEDaPvRmT3_T4_T5_mT6_P12ihipStream_tbENKUlT_T0_E_clISt17integral_constantIbLb0EEST_IbLb1EEEEDaSP_SQ_EUlSP_E_NS1_11comp_targetILNS1_3genE8ELNS1_11target_archE1030ELNS1_3gpuE2ELNS1_3repE0EEENS1_30default_config_static_selectorELNS0_4arch9wavefront6targetE1EEEvT1_
; %bb.0:
	.section	.rodata,"a",@progbits
	.p2align	6, 0x0
	.amdhsa_kernel _ZN7rocprim17ROCPRIM_400000_NS6detail17trampoline_kernelINS0_14default_configENS1_20scan_config_selectorIfEEZZNS1_9scan_implILNS1_25lookback_scan_determinismE0ELb1ELb1ES3_N6thrust23THRUST_200600_302600_NS6detail15normal_iteratorINS9_10device_ptrIfEEEESE_f11max_functorIfEfEEDaPvRmT3_T4_T5_mT6_P12ihipStream_tbENKUlT_T0_E_clISt17integral_constantIbLb0EEST_IbLb1EEEEDaSP_SQ_EUlSP_E_NS1_11comp_targetILNS1_3genE8ELNS1_11target_archE1030ELNS1_3gpuE2ELNS1_3repE0EEENS1_30default_config_static_selectorELNS0_4arch9wavefront6targetE1EEEvT1_
		.amdhsa_group_segment_fixed_size 0
		.amdhsa_private_segment_fixed_size 0
		.amdhsa_kernarg_size 96
		.amdhsa_user_sgpr_count 6
		.amdhsa_user_sgpr_private_segment_buffer 1
		.amdhsa_user_sgpr_dispatch_ptr 0
		.amdhsa_user_sgpr_queue_ptr 0
		.amdhsa_user_sgpr_kernarg_segment_ptr 1
		.amdhsa_user_sgpr_dispatch_id 0
		.amdhsa_user_sgpr_flat_scratch_init 0
		.amdhsa_user_sgpr_kernarg_preload_length 0
		.amdhsa_user_sgpr_kernarg_preload_offset 0
		.amdhsa_user_sgpr_private_segment_size 0
		.amdhsa_uses_dynamic_stack 0
		.amdhsa_system_sgpr_private_segment_wavefront_offset 0
		.amdhsa_system_sgpr_workgroup_id_x 1
		.amdhsa_system_sgpr_workgroup_id_y 0
		.amdhsa_system_sgpr_workgroup_id_z 0
		.amdhsa_system_sgpr_workgroup_info 0
		.amdhsa_system_vgpr_workitem_id 0
		.amdhsa_next_free_vgpr 1
		.amdhsa_next_free_sgpr 0
		.amdhsa_accum_offset 4
		.amdhsa_reserve_vcc 0
		.amdhsa_reserve_flat_scratch 0
		.amdhsa_float_round_mode_32 0
		.amdhsa_float_round_mode_16_64 0
		.amdhsa_float_denorm_mode_32 3
		.amdhsa_float_denorm_mode_16_64 3
		.amdhsa_dx10_clamp 1
		.amdhsa_ieee_mode 1
		.amdhsa_fp16_overflow 0
		.amdhsa_tg_split 0
		.amdhsa_exception_fp_ieee_invalid_op 0
		.amdhsa_exception_fp_denorm_src 0
		.amdhsa_exception_fp_ieee_div_zero 0
		.amdhsa_exception_fp_ieee_overflow 0
		.amdhsa_exception_fp_ieee_underflow 0
		.amdhsa_exception_fp_ieee_inexact 0
		.amdhsa_exception_int_div_zero 0
	.end_amdhsa_kernel
	.section	.text._ZN7rocprim17ROCPRIM_400000_NS6detail17trampoline_kernelINS0_14default_configENS1_20scan_config_selectorIfEEZZNS1_9scan_implILNS1_25lookback_scan_determinismE0ELb1ELb1ES3_N6thrust23THRUST_200600_302600_NS6detail15normal_iteratorINS9_10device_ptrIfEEEESE_f11max_functorIfEfEEDaPvRmT3_T4_T5_mT6_P12ihipStream_tbENKUlT_T0_E_clISt17integral_constantIbLb0EEST_IbLb1EEEEDaSP_SQ_EUlSP_E_NS1_11comp_targetILNS1_3genE8ELNS1_11target_archE1030ELNS1_3gpuE2ELNS1_3repE0EEENS1_30default_config_static_selectorELNS0_4arch9wavefront6targetE1EEEvT1_,"axG",@progbits,_ZN7rocprim17ROCPRIM_400000_NS6detail17trampoline_kernelINS0_14default_configENS1_20scan_config_selectorIfEEZZNS1_9scan_implILNS1_25lookback_scan_determinismE0ELb1ELb1ES3_N6thrust23THRUST_200600_302600_NS6detail15normal_iteratorINS9_10device_ptrIfEEEESE_f11max_functorIfEfEEDaPvRmT3_T4_T5_mT6_P12ihipStream_tbENKUlT_T0_E_clISt17integral_constantIbLb0EEST_IbLb1EEEEDaSP_SQ_EUlSP_E_NS1_11comp_targetILNS1_3genE8ELNS1_11target_archE1030ELNS1_3gpuE2ELNS1_3repE0EEENS1_30default_config_static_selectorELNS0_4arch9wavefront6targetE1EEEvT1_,comdat
.Lfunc_end2077:
	.size	_ZN7rocprim17ROCPRIM_400000_NS6detail17trampoline_kernelINS0_14default_configENS1_20scan_config_selectorIfEEZZNS1_9scan_implILNS1_25lookback_scan_determinismE0ELb1ELb1ES3_N6thrust23THRUST_200600_302600_NS6detail15normal_iteratorINS9_10device_ptrIfEEEESE_f11max_functorIfEfEEDaPvRmT3_T4_T5_mT6_P12ihipStream_tbENKUlT_T0_E_clISt17integral_constantIbLb0EEST_IbLb1EEEEDaSP_SQ_EUlSP_E_NS1_11comp_targetILNS1_3genE8ELNS1_11target_archE1030ELNS1_3gpuE2ELNS1_3repE0EEENS1_30default_config_static_selectorELNS0_4arch9wavefront6targetE1EEEvT1_, .Lfunc_end2077-_ZN7rocprim17ROCPRIM_400000_NS6detail17trampoline_kernelINS0_14default_configENS1_20scan_config_selectorIfEEZZNS1_9scan_implILNS1_25lookback_scan_determinismE0ELb1ELb1ES3_N6thrust23THRUST_200600_302600_NS6detail15normal_iteratorINS9_10device_ptrIfEEEESE_f11max_functorIfEfEEDaPvRmT3_T4_T5_mT6_P12ihipStream_tbENKUlT_T0_E_clISt17integral_constantIbLb0EEST_IbLb1EEEEDaSP_SQ_EUlSP_E_NS1_11comp_targetILNS1_3genE8ELNS1_11target_archE1030ELNS1_3gpuE2ELNS1_3repE0EEENS1_30default_config_static_selectorELNS0_4arch9wavefront6targetE1EEEvT1_
                                        ; -- End function
	.section	.AMDGPU.csdata,"",@progbits
; Kernel info:
; codeLenInByte = 0
; NumSgprs: 4
; NumVgprs: 0
; NumAgprs: 0
; TotalNumVgprs: 0
; ScratchSize: 0
; MemoryBound: 0
; FloatMode: 240
; IeeeMode: 1
; LDSByteSize: 0 bytes/workgroup (compile time only)
; SGPRBlocks: 0
; VGPRBlocks: 0
; NumSGPRsForWavesPerEU: 4
; NumVGPRsForWavesPerEU: 1
; AccumOffset: 4
; Occupancy: 8
; WaveLimiterHint : 0
; COMPUTE_PGM_RSRC2:SCRATCH_EN: 0
; COMPUTE_PGM_RSRC2:USER_SGPR: 6
; COMPUTE_PGM_RSRC2:TRAP_HANDLER: 0
; COMPUTE_PGM_RSRC2:TGID_X_EN: 1
; COMPUTE_PGM_RSRC2:TGID_Y_EN: 0
; COMPUTE_PGM_RSRC2:TGID_Z_EN: 0
; COMPUTE_PGM_RSRC2:TIDIG_COMP_CNT: 0
; COMPUTE_PGM_RSRC3_GFX90A:ACCUM_OFFSET: 0
; COMPUTE_PGM_RSRC3_GFX90A:TG_SPLIT: 0
	.section	.text._ZN7rocprim17ROCPRIM_400000_NS6detail17trampoline_kernelINS0_14default_configENS1_20scan_config_selectorIfEEZZNS1_9scan_implILNS1_25lookback_scan_determinismE0ELb1ELb1ES3_N6thrust23THRUST_200600_302600_NS6detail15normal_iteratorINS9_10device_ptrIfEEEESE_f11max_functorIfEfEEDaPvRmT3_T4_T5_mT6_P12ihipStream_tbENKUlT_T0_E_clISt17integral_constantIbLb0EEST_IbLb1EEEEDaSP_SQ_EUlSP_E0_NS1_11comp_targetILNS1_3genE0ELNS1_11target_archE4294967295ELNS1_3gpuE0ELNS1_3repE0EEENS1_30default_config_static_selectorELNS0_4arch9wavefront6targetE1EEEvT1_,"axG",@progbits,_ZN7rocprim17ROCPRIM_400000_NS6detail17trampoline_kernelINS0_14default_configENS1_20scan_config_selectorIfEEZZNS1_9scan_implILNS1_25lookback_scan_determinismE0ELb1ELb1ES3_N6thrust23THRUST_200600_302600_NS6detail15normal_iteratorINS9_10device_ptrIfEEEESE_f11max_functorIfEfEEDaPvRmT3_T4_T5_mT6_P12ihipStream_tbENKUlT_T0_E_clISt17integral_constantIbLb0EEST_IbLb1EEEEDaSP_SQ_EUlSP_E0_NS1_11comp_targetILNS1_3genE0ELNS1_11target_archE4294967295ELNS1_3gpuE0ELNS1_3repE0EEENS1_30default_config_static_selectorELNS0_4arch9wavefront6targetE1EEEvT1_,comdat
	.protected	_ZN7rocprim17ROCPRIM_400000_NS6detail17trampoline_kernelINS0_14default_configENS1_20scan_config_selectorIfEEZZNS1_9scan_implILNS1_25lookback_scan_determinismE0ELb1ELb1ES3_N6thrust23THRUST_200600_302600_NS6detail15normal_iteratorINS9_10device_ptrIfEEEESE_f11max_functorIfEfEEDaPvRmT3_T4_T5_mT6_P12ihipStream_tbENKUlT_T0_E_clISt17integral_constantIbLb0EEST_IbLb1EEEEDaSP_SQ_EUlSP_E0_NS1_11comp_targetILNS1_3genE0ELNS1_11target_archE4294967295ELNS1_3gpuE0ELNS1_3repE0EEENS1_30default_config_static_selectorELNS0_4arch9wavefront6targetE1EEEvT1_ ; -- Begin function _ZN7rocprim17ROCPRIM_400000_NS6detail17trampoline_kernelINS0_14default_configENS1_20scan_config_selectorIfEEZZNS1_9scan_implILNS1_25lookback_scan_determinismE0ELb1ELb1ES3_N6thrust23THRUST_200600_302600_NS6detail15normal_iteratorINS9_10device_ptrIfEEEESE_f11max_functorIfEfEEDaPvRmT3_T4_T5_mT6_P12ihipStream_tbENKUlT_T0_E_clISt17integral_constantIbLb0EEST_IbLb1EEEEDaSP_SQ_EUlSP_E0_NS1_11comp_targetILNS1_3genE0ELNS1_11target_archE4294967295ELNS1_3gpuE0ELNS1_3repE0EEENS1_30default_config_static_selectorELNS0_4arch9wavefront6targetE1EEEvT1_
	.globl	_ZN7rocprim17ROCPRIM_400000_NS6detail17trampoline_kernelINS0_14default_configENS1_20scan_config_selectorIfEEZZNS1_9scan_implILNS1_25lookback_scan_determinismE0ELb1ELb1ES3_N6thrust23THRUST_200600_302600_NS6detail15normal_iteratorINS9_10device_ptrIfEEEESE_f11max_functorIfEfEEDaPvRmT3_T4_T5_mT6_P12ihipStream_tbENKUlT_T0_E_clISt17integral_constantIbLb0EEST_IbLb1EEEEDaSP_SQ_EUlSP_E0_NS1_11comp_targetILNS1_3genE0ELNS1_11target_archE4294967295ELNS1_3gpuE0ELNS1_3repE0EEENS1_30default_config_static_selectorELNS0_4arch9wavefront6targetE1EEEvT1_
	.p2align	8
	.type	_ZN7rocprim17ROCPRIM_400000_NS6detail17trampoline_kernelINS0_14default_configENS1_20scan_config_selectorIfEEZZNS1_9scan_implILNS1_25lookback_scan_determinismE0ELb1ELb1ES3_N6thrust23THRUST_200600_302600_NS6detail15normal_iteratorINS9_10device_ptrIfEEEESE_f11max_functorIfEfEEDaPvRmT3_T4_T5_mT6_P12ihipStream_tbENKUlT_T0_E_clISt17integral_constantIbLb0EEST_IbLb1EEEEDaSP_SQ_EUlSP_E0_NS1_11comp_targetILNS1_3genE0ELNS1_11target_archE4294967295ELNS1_3gpuE0ELNS1_3repE0EEENS1_30default_config_static_selectorELNS0_4arch9wavefront6targetE1EEEvT1_,@function
_ZN7rocprim17ROCPRIM_400000_NS6detail17trampoline_kernelINS0_14default_configENS1_20scan_config_selectorIfEEZZNS1_9scan_implILNS1_25lookback_scan_determinismE0ELb1ELb1ES3_N6thrust23THRUST_200600_302600_NS6detail15normal_iteratorINS9_10device_ptrIfEEEESE_f11max_functorIfEfEEDaPvRmT3_T4_T5_mT6_P12ihipStream_tbENKUlT_T0_E_clISt17integral_constantIbLb0EEST_IbLb1EEEEDaSP_SQ_EUlSP_E0_NS1_11comp_targetILNS1_3genE0ELNS1_11target_archE4294967295ELNS1_3gpuE0ELNS1_3repE0EEENS1_30default_config_static_selectorELNS0_4arch9wavefront6targetE1EEEvT1_: ; @_ZN7rocprim17ROCPRIM_400000_NS6detail17trampoline_kernelINS0_14default_configENS1_20scan_config_selectorIfEEZZNS1_9scan_implILNS1_25lookback_scan_determinismE0ELb1ELb1ES3_N6thrust23THRUST_200600_302600_NS6detail15normal_iteratorINS9_10device_ptrIfEEEESE_f11max_functorIfEfEEDaPvRmT3_T4_T5_mT6_P12ihipStream_tbENKUlT_T0_E_clISt17integral_constantIbLb0EEST_IbLb1EEEEDaSP_SQ_EUlSP_E0_NS1_11comp_targetILNS1_3genE0ELNS1_11target_archE4294967295ELNS1_3gpuE0ELNS1_3repE0EEENS1_30default_config_static_selectorELNS0_4arch9wavefront6targetE1EEEvT1_
; %bb.0:
	.section	.rodata,"a",@progbits
	.p2align	6, 0x0
	.amdhsa_kernel _ZN7rocprim17ROCPRIM_400000_NS6detail17trampoline_kernelINS0_14default_configENS1_20scan_config_selectorIfEEZZNS1_9scan_implILNS1_25lookback_scan_determinismE0ELb1ELb1ES3_N6thrust23THRUST_200600_302600_NS6detail15normal_iteratorINS9_10device_ptrIfEEEESE_f11max_functorIfEfEEDaPvRmT3_T4_T5_mT6_P12ihipStream_tbENKUlT_T0_E_clISt17integral_constantIbLb0EEST_IbLb1EEEEDaSP_SQ_EUlSP_E0_NS1_11comp_targetILNS1_3genE0ELNS1_11target_archE4294967295ELNS1_3gpuE0ELNS1_3repE0EEENS1_30default_config_static_selectorELNS0_4arch9wavefront6targetE1EEEvT1_
		.amdhsa_group_segment_fixed_size 0
		.amdhsa_private_segment_fixed_size 0
		.amdhsa_kernarg_size 32
		.amdhsa_user_sgpr_count 6
		.amdhsa_user_sgpr_private_segment_buffer 1
		.amdhsa_user_sgpr_dispatch_ptr 0
		.amdhsa_user_sgpr_queue_ptr 0
		.amdhsa_user_sgpr_kernarg_segment_ptr 1
		.amdhsa_user_sgpr_dispatch_id 0
		.amdhsa_user_sgpr_flat_scratch_init 0
		.amdhsa_user_sgpr_kernarg_preload_length 0
		.amdhsa_user_sgpr_kernarg_preload_offset 0
		.amdhsa_user_sgpr_private_segment_size 0
		.amdhsa_uses_dynamic_stack 0
		.amdhsa_system_sgpr_private_segment_wavefront_offset 0
		.amdhsa_system_sgpr_workgroup_id_x 1
		.amdhsa_system_sgpr_workgroup_id_y 0
		.amdhsa_system_sgpr_workgroup_id_z 0
		.amdhsa_system_sgpr_workgroup_info 0
		.amdhsa_system_vgpr_workitem_id 0
		.amdhsa_next_free_vgpr 1
		.amdhsa_next_free_sgpr 0
		.amdhsa_accum_offset 4
		.amdhsa_reserve_vcc 0
		.amdhsa_reserve_flat_scratch 0
		.amdhsa_float_round_mode_32 0
		.amdhsa_float_round_mode_16_64 0
		.amdhsa_float_denorm_mode_32 3
		.amdhsa_float_denorm_mode_16_64 3
		.amdhsa_dx10_clamp 1
		.amdhsa_ieee_mode 1
		.amdhsa_fp16_overflow 0
		.amdhsa_tg_split 0
		.amdhsa_exception_fp_ieee_invalid_op 0
		.amdhsa_exception_fp_denorm_src 0
		.amdhsa_exception_fp_ieee_div_zero 0
		.amdhsa_exception_fp_ieee_overflow 0
		.amdhsa_exception_fp_ieee_underflow 0
		.amdhsa_exception_fp_ieee_inexact 0
		.amdhsa_exception_int_div_zero 0
	.end_amdhsa_kernel
	.section	.text._ZN7rocprim17ROCPRIM_400000_NS6detail17trampoline_kernelINS0_14default_configENS1_20scan_config_selectorIfEEZZNS1_9scan_implILNS1_25lookback_scan_determinismE0ELb1ELb1ES3_N6thrust23THRUST_200600_302600_NS6detail15normal_iteratorINS9_10device_ptrIfEEEESE_f11max_functorIfEfEEDaPvRmT3_T4_T5_mT6_P12ihipStream_tbENKUlT_T0_E_clISt17integral_constantIbLb0EEST_IbLb1EEEEDaSP_SQ_EUlSP_E0_NS1_11comp_targetILNS1_3genE0ELNS1_11target_archE4294967295ELNS1_3gpuE0ELNS1_3repE0EEENS1_30default_config_static_selectorELNS0_4arch9wavefront6targetE1EEEvT1_,"axG",@progbits,_ZN7rocprim17ROCPRIM_400000_NS6detail17trampoline_kernelINS0_14default_configENS1_20scan_config_selectorIfEEZZNS1_9scan_implILNS1_25lookback_scan_determinismE0ELb1ELb1ES3_N6thrust23THRUST_200600_302600_NS6detail15normal_iteratorINS9_10device_ptrIfEEEESE_f11max_functorIfEfEEDaPvRmT3_T4_T5_mT6_P12ihipStream_tbENKUlT_T0_E_clISt17integral_constantIbLb0EEST_IbLb1EEEEDaSP_SQ_EUlSP_E0_NS1_11comp_targetILNS1_3genE0ELNS1_11target_archE4294967295ELNS1_3gpuE0ELNS1_3repE0EEENS1_30default_config_static_selectorELNS0_4arch9wavefront6targetE1EEEvT1_,comdat
.Lfunc_end2078:
	.size	_ZN7rocprim17ROCPRIM_400000_NS6detail17trampoline_kernelINS0_14default_configENS1_20scan_config_selectorIfEEZZNS1_9scan_implILNS1_25lookback_scan_determinismE0ELb1ELb1ES3_N6thrust23THRUST_200600_302600_NS6detail15normal_iteratorINS9_10device_ptrIfEEEESE_f11max_functorIfEfEEDaPvRmT3_T4_T5_mT6_P12ihipStream_tbENKUlT_T0_E_clISt17integral_constantIbLb0EEST_IbLb1EEEEDaSP_SQ_EUlSP_E0_NS1_11comp_targetILNS1_3genE0ELNS1_11target_archE4294967295ELNS1_3gpuE0ELNS1_3repE0EEENS1_30default_config_static_selectorELNS0_4arch9wavefront6targetE1EEEvT1_, .Lfunc_end2078-_ZN7rocprim17ROCPRIM_400000_NS6detail17trampoline_kernelINS0_14default_configENS1_20scan_config_selectorIfEEZZNS1_9scan_implILNS1_25lookback_scan_determinismE0ELb1ELb1ES3_N6thrust23THRUST_200600_302600_NS6detail15normal_iteratorINS9_10device_ptrIfEEEESE_f11max_functorIfEfEEDaPvRmT3_T4_T5_mT6_P12ihipStream_tbENKUlT_T0_E_clISt17integral_constantIbLb0EEST_IbLb1EEEEDaSP_SQ_EUlSP_E0_NS1_11comp_targetILNS1_3genE0ELNS1_11target_archE4294967295ELNS1_3gpuE0ELNS1_3repE0EEENS1_30default_config_static_selectorELNS0_4arch9wavefront6targetE1EEEvT1_
                                        ; -- End function
	.section	.AMDGPU.csdata,"",@progbits
; Kernel info:
; codeLenInByte = 0
; NumSgprs: 4
; NumVgprs: 0
; NumAgprs: 0
; TotalNumVgprs: 0
; ScratchSize: 0
; MemoryBound: 0
; FloatMode: 240
; IeeeMode: 1
; LDSByteSize: 0 bytes/workgroup (compile time only)
; SGPRBlocks: 0
; VGPRBlocks: 0
; NumSGPRsForWavesPerEU: 4
; NumVGPRsForWavesPerEU: 1
; AccumOffset: 4
; Occupancy: 8
; WaveLimiterHint : 0
; COMPUTE_PGM_RSRC2:SCRATCH_EN: 0
; COMPUTE_PGM_RSRC2:USER_SGPR: 6
; COMPUTE_PGM_RSRC2:TRAP_HANDLER: 0
; COMPUTE_PGM_RSRC2:TGID_X_EN: 1
; COMPUTE_PGM_RSRC2:TGID_Y_EN: 0
; COMPUTE_PGM_RSRC2:TGID_Z_EN: 0
; COMPUTE_PGM_RSRC2:TIDIG_COMP_CNT: 0
; COMPUTE_PGM_RSRC3_GFX90A:ACCUM_OFFSET: 0
; COMPUTE_PGM_RSRC3_GFX90A:TG_SPLIT: 0
	.section	.text._ZN7rocprim17ROCPRIM_400000_NS6detail17trampoline_kernelINS0_14default_configENS1_20scan_config_selectorIfEEZZNS1_9scan_implILNS1_25lookback_scan_determinismE0ELb1ELb1ES3_N6thrust23THRUST_200600_302600_NS6detail15normal_iteratorINS9_10device_ptrIfEEEESE_f11max_functorIfEfEEDaPvRmT3_T4_T5_mT6_P12ihipStream_tbENKUlT_T0_E_clISt17integral_constantIbLb0EEST_IbLb1EEEEDaSP_SQ_EUlSP_E0_NS1_11comp_targetILNS1_3genE5ELNS1_11target_archE942ELNS1_3gpuE9ELNS1_3repE0EEENS1_30default_config_static_selectorELNS0_4arch9wavefront6targetE1EEEvT1_,"axG",@progbits,_ZN7rocprim17ROCPRIM_400000_NS6detail17trampoline_kernelINS0_14default_configENS1_20scan_config_selectorIfEEZZNS1_9scan_implILNS1_25lookback_scan_determinismE0ELb1ELb1ES3_N6thrust23THRUST_200600_302600_NS6detail15normal_iteratorINS9_10device_ptrIfEEEESE_f11max_functorIfEfEEDaPvRmT3_T4_T5_mT6_P12ihipStream_tbENKUlT_T0_E_clISt17integral_constantIbLb0EEST_IbLb1EEEEDaSP_SQ_EUlSP_E0_NS1_11comp_targetILNS1_3genE5ELNS1_11target_archE942ELNS1_3gpuE9ELNS1_3repE0EEENS1_30default_config_static_selectorELNS0_4arch9wavefront6targetE1EEEvT1_,comdat
	.protected	_ZN7rocprim17ROCPRIM_400000_NS6detail17trampoline_kernelINS0_14default_configENS1_20scan_config_selectorIfEEZZNS1_9scan_implILNS1_25lookback_scan_determinismE0ELb1ELb1ES3_N6thrust23THRUST_200600_302600_NS6detail15normal_iteratorINS9_10device_ptrIfEEEESE_f11max_functorIfEfEEDaPvRmT3_T4_T5_mT6_P12ihipStream_tbENKUlT_T0_E_clISt17integral_constantIbLb0EEST_IbLb1EEEEDaSP_SQ_EUlSP_E0_NS1_11comp_targetILNS1_3genE5ELNS1_11target_archE942ELNS1_3gpuE9ELNS1_3repE0EEENS1_30default_config_static_selectorELNS0_4arch9wavefront6targetE1EEEvT1_ ; -- Begin function _ZN7rocprim17ROCPRIM_400000_NS6detail17trampoline_kernelINS0_14default_configENS1_20scan_config_selectorIfEEZZNS1_9scan_implILNS1_25lookback_scan_determinismE0ELb1ELb1ES3_N6thrust23THRUST_200600_302600_NS6detail15normal_iteratorINS9_10device_ptrIfEEEESE_f11max_functorIfEfEEDaPvRmT3_T4_T5_mT6_P12ihipStream_tbENKUlT_T0_E_clISt17integral_constantIbLb0EEST_IbLb1EEEEDaSP_SQ_EUlSP_E0_NS1_11comp_targetILNS1_3genE5ELNS1_11target_archE942ELNS1_3gpuE9ELNS1_3repE0EEENS1_30default_config_static_selectorELNS0_4arch9wavefront6targetE1EEEvT1_
	.globl	_ZN7rocprim17ROCPRIM_400000_NS6detail17trampoline_kernelINS0_14default_configENS1_20scan_config_selectorIfEEZZNS1_9scan_implILNS1_25lookback_scan_determinismE0ELb1ELb1ES3_N6thrust23THRUST_200600_302600_NS6detail15normal_iteratorINS9_10device_ptrIfEEEESE_f11max_functorIfEfEEDaPvRmT3_T4_T5_mT6_P12ihipStream_tbENKUlT_T0_E_clISt17integral_constantIbLb0EEST_IbLb1EEEEDaSP_SQ_EUlSP_E0_NS1_11comp_targetILNS1_3genE5ELNS1_11target_archE942ELNS1_3gpuE9ELNS1_3repE0EEENS1_30default_config_static_selectorELNS0_4arch9wavefront6targetE1EEEvT1_
	.p2align	8
	.type	_ZN7rocprim17ROCPRIM_400000_NS6detail17trampoline_kernelINS0_14default_configENS1_20scan_config_selectorIfEEZZNS1_9scan_implILNS1_25lookback_scan_determinismE0ELb1ELb1ES3_N6thrust23THRUST_200600_302600_NS6detail15normal_iteratorINS9_10device_ptrIfEEEESE_f11max_functorIfEfEEDaPvRmT3_T4_T5_mT6_P12ihipStream_tbENKUlT_T0_E_clISt17integral_constantIbLb0EEST_IbLb1EEEEDaSP_SQ_EUlSP_E0_NS1_11comp_targetILNS1_3genE5ELNS1_11target_archE942ELNS1_3gpuE9ELNS1_3repE0EEENS1_30default_config_static_selectorELNS0_4arch9wavefront6targetE1EEEvT1_,@function
_ZN7rocprim17ROCPRIM_400000_NS6detail17trampoline_kernelINS0_14default_configENS1_20scan_config_selectorIfEEZZNS1_9scan_implILNS1_25lookback_scan_determinismE0ELb1ELb1ES3_N6thrust23THRUST_200600_302600_NS6detail15normal_iteratorINS9_10device_ptrIfEEEESE_f11max_functorIfEfEEDaPvRmT3_T4_T5_mT6_P12ihipStream_tbENKUlT_T0_E_clISt17integral_constantIbLb0EEST_IbLb1EEEEDaSP_SQ_EUlSP_E0_NS1_11comp_targetILNS1_3genE5ELNS1_11target_archE942ELNS1_3gpuE9ELNS1_3repE0EEENS1_30default_config_static_selectorELNS0_4arch9wavefront6targetE1EEEvT1_: ; @_ZN7rocprim17ROCPRIM_400000_NS6detail17trampoline_kernelINS0_14default_configENS1_20scan_config_selectorIfEEZZNS1_9scan_implILNS1_25lookback_scan_determinismE0ELb1ELb1ES3_N6thrust23THRUST_200600_302600_NS6detail15normal_iteratorINS9_10device_ptrIfEEEESE_f11max_functorIfEfEEDaPvRmT3_T4_T5_mT6_P12ihipStream_tbENKUlT_T0_E_clISt17integral_constantIbLb0EEST_IbLb1EEEEDaSP_SQ_EUlSP_E0_NS1_11comp_targetILNS1_3genE5ELNS1_11target_archE942ELNS1_3gpuE9ELNS1_3repE0EEENS1_30default_config_static_selectorELNS0_4arch9wavefront6targetE1EEEvT1_
; %bb.0:
	.section	.rodata,"a",@progbits
	.p2align	6, 0x0
	.amdhsa_kernel _ZN7rocprim17ROCPRIM_400000_NS6detail17trampoline_kernelINS0_14default_configENS1_20scan_config_selectorIfEEZZNS1_9scan_implILNS1_25lookback_scan_determinismE0ELb1ELb1ES3_N6thrust23THRUST_200600_302600_NS6detail15normal_iteratorINS9_10device_ptrIfEEEESE_f11max_functorIfEfEEDaPvRmT3_T4_T5_mT6_P12ihipStream_tbENKUlT_T0_E_clISt17integral_constantIbLb0EEST_IbLb1EEEEDaSP_SQ_EUlSP_E0_NS1_11comp_targetILNS1_3genE5ELNS1_11target_archE942ELNS1_3gpuE9ELNS1_3repE0EEENS1_30default_config_static_selectorELNS0_4arch9wavefront6targetE1EEEvT1_
		.amdhsa_group_segment_fixed_size 0
		.amdhsa_private_segment_fixed_size 0
		.amdhsa_kernarg_size 32
		.amdhsa_user_sgpr_count 6
		.amdhsa_user_sgpr_private_segment_buffer 1
		.amdhsa_user_sgpr_dispatch_ptr 0
		.amdhsa_user_sgpr_queue_ptr 0
		.amdhsa_user_sgpr_kernarg_segment_ptr 1
		.amdhsa_user_sgpr_dispatch_id 0
		.amdhsa_user_sgpr_flat_scratch_init 0
		.amdhsa_user_sgpr_kernarg_preload_length 0
		.amdhsa_user_sgpr_kernarg_preload_offset 0
		.amdhsa_user_sgpr_private_segment_size 0
		.amdhsa_uses_dynamic_stack 0
		.amdhsa_system_sgpr_private_segment_wavefront_offset 0
		.amdhsa_system_sgpr_workgroup_id_x 1
		.amdhsa_system_sgpr_workgroup_id_y 0
		.amdhsa_system_sgpr_workgroup_id_z 0
		.amdhsa_system_sgpr_workgroup_info 0
		.amdhsa_system_vgpr_workitem_id 0
		.amdhsa_next_free_vgpr 1
		.amdhsa_next_free_sgpr 0
		.amdhsa_accum_offset 4
		.amdhsa_reserve_vcc 0
		.amdhsa_reserve_flat_scratch 0
		.amdhsa_float_round_mode_32 0
		.amdhsa_float_round_mode_16_64 0
		.amdhsa_float_denorm_mode_32 3
		.amdhsa_float_denorm_mode_16_64 3
		.amdhsa_dx10_clamp 1
		.amdhsa_ieee_mode 1
		.amdhsa_fp16_overflow 0
		.amdhsa_tg_split 0
		.amdhsa_exception_fp_ieee_invalid_op 0
		.amdhsa_exception_fp_denorm_src 0
		.amdhsa_exception_fp_ieee_div_zero 0
		.amdhsa_exception_fp_ieee_overflow 0
		.amdhsa_exception_fp_ieee_underflow 0
		.amdhsa_exception_fp_ieee_inexact 0
		.amdhsa_exception_int_div_zero 0
	.end_amdhsa_kernel
	.section	.text._ZN7rocprim17ROCPRIM_400000_NS6detail17trampoline_kernelINS0_14default_configENS1_20scan_config_selectorIfEEZZNS1_9scan_implILNS1_25lookback_scan_determinismE0ELb1ELb1ES3_N6thrust23THRUST_200600_302600_NS6detail15normal_iteratorINS9_10device_ptrIfEEEESE_f11max_functorIfEfEEDaPvRmT3_T4_T5_mT6_P12ihipStream_tbENKUlT_T0_E_clISt17integral_constantIbLb0EEST_IbLb1EEEEDaSP_SQ_EUlSP_E0_NS1_11comp_targetILNS1_3genE5ELNS1_11target_archE942ELNS1_3gpuE9ELNS1_3repE0EEENS1_30default_config_static_selectorELNS0_4arch9wavefront6targetE1EEEvT1_,"axG",@progbits,_ZN7rocprim17ROCPRIM_400000_NS6detail17trampoline_kernelINS0_14default_configENS1_20scan_config_selectorIfEEZZNS1_9scan_implILNS1_25lookback_scan_determinismE0ELb1ELb1ES3_N6thrust23THRUST_200600_302600_NS6detail15normal_iteratorINS9_10device_ptrIfEEEESE_f11max_functorIfEfEEDaPvRmT3_T4_T5_mT6_P12ihipStream_tbENKUlT_T0_E_clISt17integral_constantIbLb0EEST_IbLb1EEEEDaSP_SQ_EUlSP_E0_NS1_11comp_targetILNS1_3genE5ELNS1_11target_archE942ELNS1_3gpuE9ELNS1_3repE0EEENS1_30default_config_static_selectorELNS0_4arch9wavefront6targetE1EEEvT1_,comdat
.Lfunc_end2079:
	.size	_ZN7rocprim17ROCPRIM_400000_NS6detail17trampoline_kernelINS0_14default_configENS1_20scan_config_selectorIfEEZZNS1_9scan_implILNS1_25lookback_scan_determinismE0ELb1ELb1ES3_N6thrust23THRUST_200600_302600_NS6detail15normal_iteratorINS9_10device_ptrIfEEEESE_f11max_functorIfEfEEDaPvRmT3_T4_T5_mT6_P12ihipStream_tbENKUlT_T0_E_clISt17integral_constantIbLb0EEST_IbLb1EEEEDaSP_SQ_EUlSP_E0_NS1_11comp_targetILNS1_3genE5ELNS1_11target_archE942ELNS1_3gpuE9ELNS1_3repE0EEENS1_30default_config_static_selectorELNS0_4arch9wavefront6targetE1EEEvT1_, .Lfunc_end2079-_ZN7rocprim17ROCPRIM_400000_NS6detail17trampoline_kernelINS0_14default_configENS1_20scan_config_selectorIfEEZZNS1_9scan_implILNS1_25lookback_scan_determinismE0ELb1ELb1ES3_N6thrust23THRUST_200600_302600_NS6detail15normal_iteratorINS9_10device_ptrIfEEEESE_f11max_functorIfEfEEDaPvRmT3_T4_T5_mT6_P12ihipStream_tbENKUlT_T0_E_clISt17integral_constantIbLb0EEST_IbLb1EEEEDaSP_SQ_EUlSP_E0_NS1_11comp_targetILNS1_3genE5ELNS1_11target_archE942ELNS1_3gpuE9ELNS1_3repE0EEENS1_30default_config_static_selectorELNS0_4arch9wavefront6targetE1EEEvT1_
                                        ; -- End function
	.section	.AMDGPU.csdata,"",@progbits
; Kernel info:
; codeLenInByte = 0
; NumSgprs: 4
; NumVgprs: 0
; NumAgprs: 0
; TotalNumVgprs: 0
; ScratchSize: 0
; MemoryBound: 0
; FloatMode: 240
; IeeeMode: 1
; LDSByteSize: 0 bytes/workgroup (compile time only)
; SGPRBlocks: 0
; VGPRBlocks: 0
; NumSGPRsForWavesPerEU: 4
; NumVGPRsForWavesPerEU: 1
; AccumOffset: 4
; Occupancy: 8
; WaveLimiterHint : 0
; COMPUTE_PGM_RSRC2:SCRATCH_EN: 0
; COMPUTE_PGM_RSRC2:USER_SGPR: 6
; COMPUTE_PGM_RSRC2:TRAP_HANDLER: 0
; COMPUTE_PGM_RSRC2:TGID_X_EN: 1
; COMPUTE_PGM_RSRC2:TGID_Y_EN: 0
; COMPUTE_PGM_RSRC2:TGID_Z_EN: 0
; COMPUTE_PGM_RSRC2:TIDIG_COMP_CNT: 0
; COMPUTE_PGM_RSRC3_GFX90A:ACCUM_OFFSET: 0
; COMPUTE_PGM_RSRC3_GFX90A:TG_SPLIT: 0
	.section	.text._ZN7rocprim17ROCPRIM_400000_NS6detail17trampoline_kernelINS0_14default_configENS1_20scan_config_selectorIfEEZZNS1_9scan_implILNS1_25lookback_scan_determinismE0ELb1ELb1ES3_N6thrust23THRUST_200600_302600_NS6detail15normal_iteratorINS9_10device_ptrIfEEEESE_f11max_functorIfEfEEDaPvRmT3_T4_T5_mT6_P12ihipStream_tbENKUlT_T0_E_clISt17integral_constantIbLb0EEST_IbLb1EEEEDaSP_SQ_EUlSP_E0_NS1_11comp_targetILNS1_3genE4ELNS1_11target_archE910ELNS1_3gpuE8ELNS1_3repE0EEENS1_30default_config_static_selectorELNS0_4arch9wavefront6targetE1EEEvT1_,"axG",@progbits,_ZN7rocprim17ROCPRIM_400000_NS6detail17trampoline_kernelINS0_14default_configENS1_20scan_config_selectorIfEEZZNS1_9scan_implILNS1_25lookback_scan_determinismE0ELb1ELb1ES3_N6thrust23THRUST_200600_302600_NS6detail15normal_iteratorINS9_10device_ptrIfEEEESE_f11max_functorIfEfEEDaPvRmT3_T4_T5_mT6_P12ihipStream_tbENKUlT_T0_E_clISt17integral_constantIbLb0EEST_IbLb1EEEEDaSP_SQ_EUlSP_E0_NS1_11comp_targetILNS1_3genE4ELNS1_11target_archE910ELNS1_3gpuE8ELNS1_3repE0EEENS1_30default_config_static_selectorELNS0_4arch9wavefront6targetE1EEEvT1_,comdat
	.protected	_ZN7rocprim17ROCPRIM_400000_NS6detail17trampoline_kernelINS0_14default_configENS1_20scan_config_selectorIfEEZZNS1_9scan_implILNS1_25lookback_scan_determinismE0ELb1ELb1ES3_N6thrust23THRUST_200600_302600_NS6detail15normal_iteratorINS9_10device_ptrIfEEEESE_f11max_functorIfEfEEDaPvRmT3_T4_T5_mT6_P12ihipStream_tbENKUlT_T0_E_clISt17integral_constantIbLb0EEST_IbLb1EEEEDaSP_SQ_EUlSP_E0_NS1_11comp_targetILNS1_3genE4ELNS1_11target_archE910ELNS1_3gpuE8ELNS1_3repE0EEENS1_30default_config_static_selectorELNS0_4arch9wavefront6targetE1EEEvT1_ ; -- Begin function _ZN7rocprim17ROCPRIM_400000_NS6detail17trampoline_kernelINS0_14default_configENS1_20scan_config_selectorIfEEZZNS1_9scan_implILNS1_25lookback_scan_determinismE0ELb1ELb1ES3_N6thrust23THRUST_200600_302600_NS6detail15normal_iteratorINS9_10device_ptrIfEEEESE_f11max_functorIfEfEEDaPvRmT3_T4_T5_mT6_P12ihipStream_tbENKUlT_T0_E_clISt17integral_constantIbLb0EEST_IbLb1EEEEDaSP_SQ_EUlSP_E0_NS1_11comp_targetILNS1_3genE4ELNS1_11target_archE910ELNS1_3gpuE8ELNS1_3repE0EEENS1_30default_config_static_selectorELNS0_4arch9wavefront6targetE1EEEvT1_
	.globl	_ZN7rocprim17ROCPRIM_400000_NS6detail17trampoline_kernelINS0_14default_configENS1_20scan_config_selectorIfEEZZNS1_9scan_implILNS1_25lookback_scan_determinismE0ELb1ELb1ES3_N6thrust23THRUST_200600_302600_NS6detail15normal_iteratorINS9_10device_ptrIfEEEESE_f11max_functorIfEfEEDaPvRmT3_T4_T5_mT6_P12ihipStream_tbENKUlT_T0_E_clISt17integral_constantIbLb0EEST_IbLb1EEEEDaSP_SQ_EUlSP_E0_NS1_11comp_targetILNS1_3genE4ELNS1_11target_archE910ELNS1_3gpuE8ELNS1_3repE0EEENS1_30default_config_static_selectorELNS0_4arch9wavefront6targetE1EEEvT1_
	.p2align	8
	.type	_ZN7rocprim17ROCPRIM_400000_NS6detail17trampoline_kernelINS0_14default_configENS1_20scan_config_selectorIfEEZZNS1_9scan_implILNS1_25lookback_scan_determinismE0ELb1ELb1ES3_N6thrust23THRUST_200600_302600_NS6detail15normal_iteratorINS9_10device_ptrIfEEEESE_f11max_functorIfEfEEDaPvRmT3_T4_T5_mT6_P12ihipStream_tbENKUlT_T0_E_clISt17integral_constantIbLb0EEST_IbLb1EEEEDaSP_SQ_EUlSP_E0_NS1_11comp_targetILNS1_3genE4ELNS1_11target_archE910ELNS1_3gpuE8ELNS1_3repE0EEENS1_30default_config_static_selectorELNS0_4arch9wavefront6targetE1EEEvT1_,@function
_ZN7rocprim17ROCPRIM_400000_NS6detail17trampoline_kernelINS0_14default_configENS1_20scan_config_selectorIfEEZZNS1_9scan_implILNS1_25lookback_scan_determinismE0ELb1ELb1ES3_N6thrust23THRUST_200600_302600_NS6detail15normal_iteratorINS9_10device_ptrIfEEEESE_f11max_functorIfEfEEDaPvRmT3_T4_T5_mT6_P12ihipStream_tbENKUlT_T0_E_clISt17integral_constantIbLb0EEST_IbLb1EEEEDaSP_SQ_EUlSP_E0_NS1_11comp_targetILNS1_3genE4ELNS1_11target_archE910ELNS1_3gpuE8ELNS1_3repE0EEENS1_30default_config_static_selectorELNS0_4arch9wavefront6targetE1EEEvT1_: ; @_ZN7rocprim17ROCPRIM_400000_NS6detail17trampoline_kernelINS0_14default_configENS1_20scan_config_selectorIfEEZZNS1_9scan_implILNS1_25lookback_scan_determinismE0ELb1ELb1ES3_N6thrust23THRUST_200600_302600_NS6detail15normal_iteratorINS9_10device_ptrIfEEEESE_f11max_functorIfEfEEDaPvRmT3_T4_T5_mT6_P12ihipStream_tbENKUlT_T0_E_clISt17integral_constantIbLb0EEST_IbLb1EEEEDaSP_SQ_EUlSP_E0_NS1_11comp_targetILNS1_3genE4ELNS1_11target_archE910ELNS1_3gpuE8ELNS1_3repE0EEENS1_30default_config_static_selectorELNS0_4arch9wavefront6targetE1EEEvT1_
; %bb.0:
	s_load_dwordx4 s[28:31], s[4:5], 0x0
	v_lshlrev_b32_e32 v18, 2, v0
	s_waitcnt lgkmcnt(0)
	s_load_dword s31, s[28:29], 0x0
	v_cmp_gt_u32_e32 vcc, s30, v0
	s_waitcnt lgkmcnt(0)
	v_mov_b32_e32 v1, s31
	s_and_saveexec_b64 s[0:1], vcc
	s_cbranch_execz .LBB2080_2
; %bb.1:
	global_load_dword v1, v18, s[28:29]
.LBB2080_2:
	s_or_b64 exec, exec, s[0:1]
	v_or_b32_e32 v2, 0x80, v0
	v_cmp_gt_u32_e64 s[0:1], s30, v2
	v_mov_b32_e32 v2, s31
	s_and_saveexec_b64 s[2:3], s[0:1]
	s_cbranch_execz .LBB2080_4
; %bb.3:
	global_load_dword v2, v18, s[28:29] offset:512
.LBB2080_4:
	s_or_b64 exec, exec, s[2:3]
	v_or_b32_e32 v3, 0x100, v0
	v_cmp_gt_u32_e64 s[2:3], s30, v3
	v_mov_b32_e32 v3, s31
	s_and_saveexec_b64 s[6:7], s[2:3]
	s_cbranch_execz .LBB2080_6
; %bb.5:
	global_load_dword v3, v18, s[28:29] offset:1024
.LBB2080_6:
	;; [unrolled: 9-line block ×7, first 2 shown]
	s_or_b64 exec, exec, s[14:15]
	v_or_b32_e32 v10, 0x400, v0
	v_cmp_gt_u32_e64 s[14:15], s30, v10
	v_mov_b32_e32 v9, s31
	s_and_saveexec_b64 s[16:17], s[14:15]
	s_cbranch_execz .LBB2080_18
; %bb.17:
	v_lshlrev_b32_e32 v9, 2, v10
	global_load_dword v9, v9, s[28:29]
.LBB2080_18:
	s_or_b64 exec, exec, s[16:17]
	v_or_b32_e32 v11, 0x480, v0
	v_cmp_gt_u32_e64 s[16:17], s30, v11
	v_mov_b32_e32 v10, s31
	s_and_saveexec_b64 s[18:19], s[16:17]
	s_cbranch_execz .LBB2080_20
; %bb.19:
	v_lshlrev_b32_e32 v10, 2, v11
	global_load_dword v10, v10, s[28:29]
.LBB2080_20:
	;; [unrolled: 10-line block ×5, first 2 shown]
	s_or_b64 exec, exec, s[24:25]
	s_load_dword s33, s[4:5], 0x10
	v_or_b32_e32 v15, 0x680, v0
	v_cmp_gt_u32_e64 s[24:25], s30, v15
	v_mov_b32_e32 v14, s31
	s_and_saveexec_b64 s[30:31], s[24:25]
	s_cbranch_execz .LBB2080_28
; %bb.27:
	v_lshlrev_b32_e32 v14, 2, v15
	global_load_dword v14, v14, s[28:29]
.LBB2080_28:
	s_or_b64 exec, exec, s[30:31]
	s_waitcnt vmcnt(0)
	ds_write2st64_b32 v18, v1, v2 offset1:2
	ds_write2st64_b32 v18, v3, v4 offset0:4 offset1:6
	ds_write2st64_b32 v18, v5, v6 offset0:8 offset1:10
	;; [unrolled: 1-line block ×6, first 2 shown]
	v_mad_u32_u24 v1, v0, 52, v18
	s_waitcnt lgkmcnt(0)
	s_barrier
	ds_read2_b64 v[10:13], v1 offset1:1
	ds_read2_b64 v[6:9], v1 offset0:2 offset1:3
	ds_read2_b64 v[2:5], v1 offset0:4 offset1:5
	ds_read_b64 v[14:15], v1 offset:48
	s_load_dwordx2 s[36:37], s[4:5], 0x18
	s_waitcnt lgkmcnt(0)
	v_cmp_lt_f32_e64 s[4:5], v10, v11
	v_cndmask_b32_e64 v16, v10, v11, s[4:5]
	v_cmp_lt_f32_e64 s[4:5], v16, v12
	v_cndmask_b32_e64 v16, v16, v12, s[4:5]
	;; [unrolled: 2-line block ×13, first 2 shown]
	v_lshrrev_b32_e32 v16, 3, v0
	v_and_b32_e32 v16, 12, v16
	v_add_u32_e32 v16, v18, v16
	v_cmp_gt_u32_e64 s[4:5], 64, v0
	s_barrier
	ds_write_b32 v16, v15
	s_waitcnt lgkmcnt(0)
	s_barrier
	s_and_saveexec_b64 s[38:39], s[4:5]
	s_cbranch_execz .LBB2080_30
; %bb.29:
	v_lshlrev_b32_e32 v16, 1, v0
	v_lshrrev_b32_e32 v17, 4, v0
	v_add_lshl_u32 v19, v17, v16, 2
	ds_read2_b32 v[16:17], v19 offset1:1
	v_mbcnt_lo_u32_b32 v20, -1, 0
	v_mbcnt_hi_u32_b32 v20, -1, v20
	v_and_b32_e32 v21, 15, v20
	v_cmp_lt_u32_e64 s[34:35], 31, v20
	s_waitcnt lgkmcnt(0)
	v_cmp_lt_f32_e64 s[4:5], v16, v17
	v_cndmask_b32_e64 v17, v16, v17, s[4:5]
	v_cmp_gt_u32_e64 s[30:31], 32, v20
	s_nop 0
	v_mov_b32_dpp v22, v17 row_shr:1 row_mask:0xf bank_mask:0xf
	v_cmp_gt_f32_e64 s[4:5], v17, v22
	v_cndmask_b32_e64 v22, v22, v17, s[4:5]
	v_cmp_eq_u32_e64 s[4:5], 0, v21
	v_cndmask_b32_e64 v17, v22, v17, s[4:5]
	; wave barrier
	s_nop 1
	v_mov_b32_dpp v22, v17 row_shr:2 row_mask:0xf bank_mask:0xf
	v_cmp_gt_f32_e64 s[4:5], v17, v22
	v_cndmask_b32_e64 v22, v22, v17, s[4:5]
	v_cmp_lt_u32_e64 s[4:5], 1, v21
	v_cndmask_b32_e64 v22, v17, v22, s[4:5]
	s_nop 1
	v_mov_b32_dpp v23, v22 row_shr:4 row_mask:0xf bank_mask:0xf
	v_cmp_gt_f32_e64 s[28:29], v22, v23
	v_cndmask_b32_e64 v23, v23, v22, s[28:29]
	v_cmp_lt_u32_e64 s[28:29], 3, v21
	v_cndmask_b32_e64 v22, v22, v23, s[28:29]
	;; [unrolled: 6-line block ×3, first 2 shown]
	v_and_b32_e32 v23, 16, v20
	s_nop 0
	v_mov_b32_dpp v22, v21 row_bcast:15 row_mask:0xf bank_mask:0xf
	v_cmp_gt_f32_e64 s[28:29], v21, v22
	v_cndmask_b32_e64 v22, v22, v21, s[28:29]
	v_cmp_ne_u32_e64 s[28:29], 0, v23
	v_cndmask_b32_e64 v21, v21, v22, s[28:29]
	s_or_b64 s[34:35], s[28:29], s[34:35]
	s_or_b64 s[4:5], s[4:5], s[34:35]
	v_mov_b32_dpp v22, v21 row_bcast:31 row_mask:0xf bank_mask:0xf
	v_cmp_gt_f32_e64 s[28:29], v21, v22
	s_or_b64 s[28:29], s[30:31], s[28:29]
	v_cndmask_b32_e64 v21, v22, v21, s[28:29]
	v_cndmask_b32_e64 v17, v17, v21, s[4:5]
	v_add_u32_e32 v21, -1, v20
	v_and_b32_e32 v22, 64, v20
	v_cmp_lt_i32_e64 s[4:5], v21, v22
	v_cndmask_b32_e64 v20, v21, v20, s[4:5]
	v_lshlrev_b32_e32 v20, 2, v20
	ds_bpermute_b32 v17, v20, v17
	s_waitcnt lgkmcnt(0)
	v_cmp_gt_f32_e64 s[4:5], v16, v17
	v_cndmask_b32_e64 v16, v17, v16, s[4:5]
	v_cmp_eq_u32_e64 s[4:5], 0, v0
	v_cndmask_b32_e64 v15, v16, v15, s[4:5]
	ds_write_b32 v19, v15
	; wave barrier
	ds_read_b32 v16, v19 offset:4
	s_waitcnt lgkmcnt(0)
	v_cmp_lt_f32_e64 s[4:5], v15, v16
	v_cndmask_b32_e64 v15, v15, v16, s[4:5]
	ds_write_b32 v19, v15 offset:4
.LBB2080_30:
	s_or_b64 exec, exec, s[38:39]
	v_cmp_ne_u32_e64 s[4:5], 0, v0
	v_mov_b32_e32 v16, s33
	s_waitcnt lgkmcnt(0)
	s_barrier
	s_and_saveexec_b64 s[28:29], s[4:5]
	s_cbranch_execz .LBB2080_32
; %bb.31:
	v_add_u32_e32 v15, -1, v0
	v_lshrrev_b32_e32 v16, 5, v15
	v_add_lshl_u32 v15, v16, v15, 2
	ds_read_b32 v15, v15
	v_mov_b32_e32 v16, s33
	s_waitcnt lgkmcnt(0)
	v_cmp_lt_f32_e64 s[4:5], s33, v15
	v_cndmask_b32_e64 v16, v16, v15, s[4:5]
.LBB2080_32:
	s_or_b64 exec, exec, s[28:29]
	v_cmp_lt_f32_e64 s[4:5], v16, v10
	v_cndmask_b32_e64 v17, v16, v10, s[4:5]
	v_cmp_lt_f32_e64 s[4:5], v17, v11
	v_cndmask_b32_e64 v10, v17, v11, s[4:5]
	;; [unrolled: 2-line block ×13, first 2 shown]
	s_movk_i32 s4, 0xffcc
	v_mad_i32_i24 v0, v0, s4, v1
	s_barrier
	ds_write2_b64 v1, v[16:17], v[10:11] offset1:1
	ds_write2_b64 v1, v[12:13], v[6:7] offset0:2 offset1:3
	ds_write2_b64 v1, v[8:9], v[2:3] offset0:4 offset1:5
	ds_write_b64 v1, v[4:5] offset:48
	s_waitcnt lgkmcnt(0)
	s_barrier
	ds_read2st64_b32 v[12:13], v0 offset0:2 offset1:4
	ds_read2st64_b32 v[10:11], v0 offset0:6 offset1:8
	;; [unrolled: 1-line block ×4, first 2 shown]
	ds_read_b32 v14, v18 offset:4096
	ds_read2st64_b32 v[4:5], v0 offset0:20 offset1:22
	ds_read2st64_b32 v[0:1], v0 offset0:24 offset1:26
	v_mov_b32_e32 v3, s37
	v_add_co_u32_e64 v2, s[4:5], s36, v18
	v_addc_co_u32_e64 v3, s[4:5], 0, v3, s[4:5]
	s_and_saveexec_b64 s[4:5], vcc
	s_cbranch_execnz .LBB2080_47
; %bb.33:
	s_or_b64 exec, exec, s[4:5]
	s_and_saveexec_b64 s[4:5], s[0:1]
	s_cbranch_execnz .LBB2080_48
.LBB2080_34:
	s_or_b64 exec, exec, s[4:5]
	s_and_saveexec_b64 s[0:1], s[2:3]
	s_cbranch_execnz .LBB2080_49
.LBB2080_35:
	s_or_b64 exec, exec, s[0:1]
	s_and_saveexec_b64 s[0:1], s[26:27]
	s_cbranch_execnz .LBB2080_50
.LBB2080_36:
	s_or_b64 exec, exec, s[0:1]
	s_and_saveexec_b64 s[0:1], s[6:7]
	s_cbranch_execnz .LBB2080_51
.LBB2080_37:
	s_or_b64 exec, exec, s[0:1]
	s_and_saveexec_b64 s[0:1], s[8:9]
	s_cbranch_execnz .LBB2080_52
.LBB2080_38:
	s_or_b64 exec, exec, s[0:1]
	s_and_saveexec_b64 s[0:1], s[10:11]
	s_cbranch_execnz .LBB2080_53
.LBB2080_39:
	s_or_b64 exec, exec, s[0:1]
	s_and_saveexec_b64 s[0:1], s[12:13]
	s_cbranch_execnz .LBB2080_54
.LBB2080_40:
	s_or_b64 exec, exec, s[0:1]
	s_and_saveexec_b64 s[0:1], s[14:15]
	s_cbranch_execnz .LBB2080_55
.LBB2080_41:
	s_or_b64 exec, exec, s[0:1]
	s_and_saveexec_b64 s[0:1], s[16:17]
	s_cbranch_execnz .LBB2080_56
.LBB2080_42:
	s_or_b64 exec, exec, s[0:1]
	s_and_saveexec_b64 s[0:1], s[18:19]
	s_cbranch_execnz .LBB2080_57
.LBB2080_43:
	s_or_b64 exec, exec, s[0:1]
	s_and_saveexec_b64 s[0:1], s[20:21]
	s_cbranch_execnz .LBB2080_58
.LBB2080_44:
	s_or_b64 exec, exec, s[0:1]
	s_and_saveexec_b64 s[0:1], s[22:23]
	s_cbranch_execnz .LBB2080_59
.LBB2080_45:
	s_or_b64 exec, exec, s[0:1]
	s_and_saveexec_b64 s[0:1], s[24:25]
	s_cbranch_execnz .LBB2080_60
.LBB2080_46:
	s_endpgm
.LBB2080_47:
	ds_read_b32 v15, v18
	s_waitcnt lgkmcnt(0)
	global_store_dword v[2:3], v15, off
	s_or_b64 exec, exec, s[4:5]
	s_and_saveexec_b64 s[4:5], s[0:1]
	s_cbranch_execz .LBB2080_34
.LBB2080_48:
	s_waitcnt lgkmcnt(6)
	global_store_dword v[2:3], v12, off offset:512
	s_or_b64 exec, exec, s[4:5]
	s_and_saveexec_b64 s[0:1], s[2:3]
	s_cbranch_execz .LBB2080_35
.LBB2080_49:
	s_waitcnt lgkmcnt(6)
	global_store_dword v[2:3], v13, off offset:1024
	s_or_b64 exec, exec, s[0:1]
	s_and_saveexec_b64 s[0:1], s[26:27]
	s_cbranch_execz .LBB2080_36
.LBB2080_50:
	s_waitcnt lgkmcnt(5)
	global_store_dword v[2:3], v10, off offset:1536
	s_or_b64 exec, exec, s[0:1]
	s_and_saveexec_b64 s[0:1], s[6:7]
	s_cbranch_execz .LBB2080_37
.LBB2080_51:
	s_waitcnt lgkmcnt(5)
	global_store_dword v[2:3], v11, off offset:2048
	s_or_b64 exec, exec, s[0:1]
	s_and_saveexec_b64 s[0:1], s[8:9]
	s_cbranch_execz .LBB2080_38
.LBB2080_52:
	s_waitcnt lgkmcnt(4)
	global_store_dword v[2:3], v8, off offset:2560
	s_or_b64 exec, exec, s[0:1]
	s_and_saveexec_b64 s[0:1], s[10:11]
	s_cbranch_execz .LBB2080_39
.LBB2080_53:
	s_waitcnt lgkmcnt(4)
	global_store_dword v[2:3], v9, off offset:3072
	s_or_b64 exec, exec, s[0:1]
	s_and_saveexec_b64 s[0:1], s[12:13]
	s_cbranch_execz .LBB2080_40
.LBB2080_54:
	s_waitcnt lgkmcnt(3)
	global_store_dword v[2:3], v6, off offset:3584
	s_or_b64 exec, exec, s[0:1]
	s_and_saveexec_b64 s[0:1], s[14:15]
	s_cbranch_execz .LBB2080_41
.LBB2080_55:
	s_waitcnt lgkmcnt(4)
	v_add_co_u32_e32 v8, vcc, 0x1000, v2
	v_addc_co_u32_e32 v9, vcc, 0, v3, vcc
	s_waitcnt lgkmcnt(2)
	global_store_dword v[8:9], v14, off
	s_or_b64 exec, exec, s[0:1]
	s_and_saveexec_b64 s[0:1], s[16:17]
	s_cbranch_execz .LBB2080_42
.LBB2080_56:
	s_waitcnt lgkmcnt(4)
	v_add_co_u32_e32 v8, vcc, 0x1000, v2
	v_addc_co_u32_e32 v9, vcc, 0, v3, vcc
	s_waitcnt lgkmcnt(3)
	global_store_dword v[8:9], v7, off offset:512
	s_or_b64 exec, exec, s[0:1]
	s_and_saveexec_b64 s[0:1], s[18:19]
	s_cbranch_execz .LBB2080_43
.LBB2080_57:
	s_waitcnt lgkmcnt(3)
	v_add_co_u32_e32 v6, vcc, 0x1000, v2
	v_addc_co_u32_e32 v7, vcc, 0, v3, vcc
	s_waitcnt lgkmcnt(1)
	global_store_dword v[6:7], v4, off offset:1024
	s_or_b64 exec, exec, s[0:1]
	s_and_saveexec_b64 s[0:1], s[20:21]
	s_cbranch_execz .LBB2080_44
.LBB2080_58:
	s_waitcnt lgkmcnt(3)
	v_add_co_u32_e32 v6, vcc, 0x1000, v2
	v_addc_co_u32_e32 v7, vcc, 0, v3, vcc
	s_waitcnt lgkmcnt(1)
	global_store_dword v[6:7], v5, off offset:1536
	s_or_b64 exec, exec, s[0:1]
	s_and_saveexec_b64 s[0:1], s[22:23]
	s_cbranch_execz .LBB2080_45
.LBB2080_59:
	s_waitcnt lgkmcnt(1)
	v_add_co_u32_e32 v4, vcc, 0x1000, v2
	v_addc_co_u32_e32 v5, vcc, 0, v3, vcc
	s_waitcnt lgkmcnt(0)
	global_store_dword v[4:5], v0, off offset:2048
	s_or_b64 exec, exec, s[0:1]
	s_and_saveexec_b64 s[0:1], s[24:25]
	s_cbranch_execz .LBB2080_46
.LBB2080_60:
	v_add_co_u32_e32 v2, vcc, 0x1000, v2
	v_addc_co_u32_e32 v3, vcc, 0, v3, vcc
	s_waitcnt lgkmcnt(0)
	global_store_dword v[2:3], v1, off offset:2560
	s_endpgm
	.section	.rodata,"a",@progbits
	.p2align	6, 0x0
	.amdhsa_kernel _ZN7rocprim17ROCPRIM_400000_NS6detail17trampoline_kernelINS0_14default_configENS1_20scan_config_selectorIfEEZZNS1_9scan_implILNS1_25lookback_scan_determinismE0ELb1ELb1ES3_N6thrust23THRUST_200600_302600_NS6detail15normal_iteratorINS9_10device_ptrIfEEEESE_f11max_functorIfEfEEDaPvRmT3_T4_T5_mT6_P12ihipStream_tbENKUlT_T0_E_clISt17integral_constantIbLb0EEST_IbLb1EEEEDaSP_SQ_EUlSP_E0_NS1_11comp_targetILNS1_3genE4ELNS1_11target_archE910ELNS1_3gpuE8ELNS1_3repE0EEENS1_30default_config_static_selectorELNS0_4arch9wavefront6targetE1EEEvT1_
		.amdhsa_group_segment_fixed_size 7168
		.amdhsa_private_segment_fixed_size 0
		.amdhsa_kernarg_size 32
		.amdhsa_user_sgpr_count 6
		.amdhsa_user_sgpr_private_segment_buffer 1
		.amdhsa_user_sgpr_dispatch_ptr 0
		.amdhsa_user_sgpr_queue_ptr 0
		.amdhsa_user_sgpr_kernarg_segment_ptr 1
		.amdhsa_user_sgpr_dispatch_id 0
		.amdhsa_user_sgpr_flat_scratch_init 0
		.amdhsa_user_sgpr_kernarg_preload_length 0
		.amdhsa_user_sgpr_kernarg_preload_offset 0
		.amdhsa_user_sgpr_private_segment_size 0
		.amdhsa_uses_dynamic_stack 0
		.amdhsa_system_sgpr_private_segment_wavefront_offset 0
		.amdhsa_system_sgpr_workgroup_id_x 1
		.amdhsa_system_sgpr_workgroup_id_y 0
		.amdhsa_system_sgpr_workgroup_id_z 0
		.amdhsa_system_sgpr_workgroup_info 0
		.amdhsa_system_vgpr_workitem_id 0
		.amdhsa_next_free_vgpr 24
		.amdhsa_next_free_sgpr 40
		.amdhsa_accum_offset 24
		.amdhsa_reserve_vcc 1
		.amdhsa_reserve_flat_scratch 0
		.amdhsa_float_round_mode_32 0
		.amdhsa_float_round_mode_16_64 0
		.amdhsa_float_denorm_mode_32 3
		.amdhsa_float_denorm_mode_16_64 3
		.amdhsa_dx10_clamp 1
		.amdhsa_ieee_mode 1
		.amdhsa_fp16_overflow 0
		.amdhsa_tg_split 0
		.amdhsa_exception_fp_ieee_invalid_op 0
		.amdhsa_exception_fp_denorm_src 0
		.amdhsa_exception_fp_ieee_div_zero 0
		.amdhsa_exception_fp_ieee_overflow 0
		.amdhsa_exception_fp_ieee_underflow 0
		.amdhsa_exception_fp_ieee_inexact 0
		.amdhsa_exception_int_div_zero 0
	.end_amdhsa_kernel
	.section	.text._ZN7rocprim17ROCPRIM_400000_NS6detail17trampoline_kernelINS0_14default_configENS1_20scan_config_selectorIfEEZZNS1_9scan_implILNS1_25lookback_scan_determinismE0ELb1ELb1ES3_N6thrust23THRUST_200600_302600_NS6detail15normal_iteratorINS9_10device_ptrIfEEEESE_f11max_functorIfEfEEDaPvRmT3_T4_T5_mT6_P12ihipStream_tbENKUlT_T0_E_clISt17integral_constantIbLb0EEST_IbLb1EEEEDaSP_SQ_EUlSP_E0_NS1_11comp_targetILNS1_3genE4ELNS1_11target_archE910ELNS1_3gpuE8ELNS1_3repE0EEENS1_30default_config_static_selectorELNS0_4arch9wavefront6targetE1EEEvT1_,"axG",@progbits,_ZN7rocprim17ROCPRIM_400000_NS6detail17trampoline_kernelINS0_14default_configENS1_20scan_config_selectorIfEEZZNS1_9scan_implILNS1_25lookback_scan_determinismE0ELb1ELb1ES3_N6thrust23THRUST_200600_302600_NS6detail15normal_iteratorINS9_10device_ptrIfEEEESE_f11max_functorIfEfEEDaPvRmT3_T4_T5_mT6_P12ihipStream_tbENKUlT_T0_E_clISt17integral_constantIbLb0EEST_IbLb1EEEEDaSP_SQ_EUlSP_E0_NS1_11comp_targetILNS1_3genE4ELNS1_11target_archE910ELNS1_3gpuE8ELNS1_3repE0EEENS1_30default_config_static_selectorELNS0_4arch9wavefront6targetE1EEEvT1_,comdat
.Lfunc_end2080:
	.size	_ZN7rocprim17ROCPRIM_400000_NS6detail17trampoline_kernelINS0_14default_configENS1_20scan_config_selectorIfEEZZNS1_9scan_implILNS1_25lookback_scan_determinismE0ELb1ELb1ES3_N6thrust23THRUST_200600_302600_NS6detail15normal_iteratorINS9_10device_ptrIfEEEESE_f11max_functorIfEfEEDaPvRmT3_T4_T5_mT6_P12ihipStream_tbENKUlT_T0_E_clISt17integral_constantIbLb0EEST_IbLb1EEEEDaSP_SQ_EUlSP_E0_NS1_11comp_targetILNS1_3genE4ELNS1_11target_archE910ELNS1_3gpuE8ELNS1_3repE0EEENS1_30default_config_static_selectorELNS0_4arch9wavefront6targetE1EEEvT1_, .Lfunc_end2080-_ZN7rocprim17ROCPRIM_400000_NS6detail17trampoline_kernelINS0_14default_configENS1_20scan_config_selectorIfEEZZNS1_9scan_implILNS1_25lookback_scan_determinismE0ELb1ELb1ES3_N6thrust23THRUST_200600_302600_NS6detail15normal_iteratorINS9_10device_ptrIfEEEESE_f11max_functorIfEfEEDaPvRmT3_T4_T5_mT6_P12ihipStream_tbENKUlT_T0_E_clISt17integral_constantIbLb0EEST_IbLb1EEEEDaSP_SQ_EUlSP_E0_NS1_11comp_targetILNS1_3genE4ELNS1_11target_archE910ELNS1_3gpuE8ELNS1_3repE0EEENS1_30default_config_static_selectorELNS0_4arch9wavefront6targetE1EEEvT1_
                                        ; -- End function
	.section	.AMDGPU.csdata,"",@progbits
; Kernel info:
; codeLenInByte = 2468
; NumSgprs: 44
; NumVgprs: 24
; NumAgprs: 0
; TotalNumVgprs: 24
; ScratchSize: 0
; MemoryBound: 0
; FloatMode: 240
; IeeeMode: 1
; LDSByteSize: 7168 bytes/workgroup (compile time only)
; SGPRBlocks: 5
; VGPRBlocks: 2
; NumSGPRsForWavesPerEU: 44
; NumVGPRsForWavesPerEU: 24
; AccumOffset: 24
; Occupancy: 5
; WaveLimiterHint : 0
; COMPUTE_PGM_RSRC2:SCRATCH_EN: 0
; COMPUTE_PGM_RSRC2:USER_SGPR: 6
; COMPUTE_PGM_RSRC2:TRAP_HANDLER: 0
; COMPUTE_PGM_RSRC2:TGID_X_EN: 1
; COMPUTE_PGM_RSRC2:TGID_Y_EN: 0
; COMPUTE_PGM_RSRC2:TGID_Z_EN: 0
; COMPUTE_PGM_RSRC2:TIDIG_COMP_CNT: 0
; COMPUTE_PGM_RSRC3_GFX90A:ACCUM_OFFSET: 5
; COMPUTE_PGM_RSRC3_GFX90A:TG_SPLIT: 0
	.section	.text._ZN7rocprim17ROCPRIM_400000_NS6detail17trampoline_kernelINS0_14default_configENS1_20scan_config_selectorIfEEZZNS1_9scan_implILNS1_25lookback_scan_determinismE0ELb1ELb1ES3_N6thrust23THRUST_200600_302600_NS6detail15normal_iteratorINS9_10device_ptrIfEEEESE_f11max_functorIfEfEEDaPvRmT3_T4_T5_mT6_P12ihipStream_tbENKUlT_T0_E_clISt17integral_constantIbLb0EEST_IbLb1EEEEDaSP_SQ_EUlSP_E0_NS1_11comp_targetILNS1_3genE3ELNS1_11target_archE908ELNS1_3gpuE7ELNS1_3repE0EEENS1_30default_config_static_selectorELNS0_4arch9wavefront6targetE1EEEvT1_,"axG",@progbits,_ZN7rocprim17ROCPRIM_400000_NS6detail17trampoline_kernelINS0_14default_configENS1_20scan_config_selectorIfEEZZNS1_9scan_implILNS1_25lookback_scan_determinismE0ELb1ELb1ES3_N6thrust23THRUST_200600_302600_NS6detail15normal_iteratorINS9_10device_ptrIfEEEESE_f11max_functorIfEfEEDaPvRmT3_T4_T5_mT6_P12ihipStream_tbENKUlT_T0_E_clISt17integral_constantIbLb0EEST_IbLb1EEEEDaSP_SQ_EUlSP_E0_NS1_11comp_targetILNS1_3genE3ELNS1_11target_archE908ELNS1_3gpuE7ELNS1_3repE0EEENS1_30default_config_static_selectorELNS0_4arch9wavefront6targetE1EEEvT1_,comdat
	.protected	_ZN7rocprim17ROCPRIM_400000_NS6detail17trampoline_kernelINS0_14default_configENS1_20scan_config_selectorIfEEZZNS1_9scan_implILNS1_25lookback_scan_determinismE0ELb1ELb1ES3_N6thrust23THRUST_200600_302600_NS6detail15normal_iteratorINS9_10device_ptrIfEEEESE_f11max_functorIfEfEEDaPvRmT3_T4_T5_mT6_P12ihipStream_tbENKUlT_T0_E_clISt17integral_constantIbLb0EEST_IbLb1EEEEDaSP_SQ_EUlSP_E0_NS1_11comp_targetILNS1_3genE3ELNS1_11target_archE908ELNS1_3gpuE7ELNS1_3repE0EEENS1_30default_config_static_selectorELNS0_4arch9wavefront6targetE1EEEvT1_ ; -- Begin function _ZN7rocprim17ROCPRIM_400000_NS6detail17trampoline_kernelINS0_14default_configENS1_20scan_config_selectorIfEEZZNS1_9scan_implILNS1_25lookback_scan_determinismE0ELb1ELb1ES3_N6thrust23THRUST_200600_302600_NS6detail15normal_iteratorINS9_10device_ptrIfEEEESE_f11max_functorIfEfEEDaPvRmT3_T4_T5_mT6_P12ihipStream_tbENKUlT_T0_E_clISt17integral_constantIbLb0EEST_IbLb1EEEEDaSP_SQ_EUlSP_E0_NS1_11comp_targetILNS1_3genE3ELNS1_11target_archE908ELNS1_3gpuE7ELNS1_3repE0EEENS1_30default_config_static_selectorELNS0_4arch9wavefront6targetE1EEEvT1_
	.globl	_ZN7rocprim17ROCPRIM_400000_NS6detail17trampoline_kernelINS0_14default_configENS1_20scan_config_selectorIfEEZZNS1_9scan_implILNS1_25lookback_scan_determinismE0ELb1ELb1ES3_N6thrust23THRUST_200600_302600_NS6detail15normal_iteratorINS9_10device_ptrIfEEEESE_f11max_functorIfEfEEDaPvRmT3_T4_T5_mT6_P12ihipStream_tbENKUlT_T0_E_clISt17integral_constantIbLb0EEST_IbLb1EEEEDaSP_SQ_EUlSP_E0_NS1_11comp_targetILNS1_3genE3ELNS1_11target_archE908ELNS1_3gpuE7ELNS1_3repE0EEENS1_30default_config_static_selectorELNS0_4arch9wavefront6targetE1EEEvT1_
	.p2align	8
	.type	_ZN7rocprim17ROCPRIM_400000_NS6detail17trampoline_kernelINS0_14default_configENS1_20scan_config_selectorIfEEZZNS1_9scan_implILNS1_25lookback_scan_determinismE0ELb1ELb1ES3_N6thrust23THRUST_200600_302600_NS6detail15normal_iteratorINS9_10device_ptrIfEEEESE_f11max_functorIfEfEEDaPvRmT3_T4_T5_mT6_P12ihipStream_tbENKUlT_T0_E_clISt17integral_constantIbLb0EEST_IbLb1EEEEDaSP_SQ_EUlSP_E0_NS1_11comp_targetILNS1_3genE3ELNS1_11target_archE908ELNS1_3gpuE7ELNS1_3repE0EEENS1_30default_config_static_selectorELNS0_4arch9wavefront6targetE1EEEvT1_,@function
_ZN7rocprim17ROCPRIM_400000_NS6detail17trampoline_kernelINS0_14default_configENS1_20scan_config_selectorIfEEZZNS1_9scan_implILNS1_25lookback_scan_determinismE0ELb1ELb1ES3_N6thrust23THRUST_200600_302600_NS6detail15normal_iteratorINS9_10device_ptrIfEEEESE_f11max_functorIfEfEEDaPvRmT3_T4_T5_mT6_P12ihipStream_tbENKUlT_T0_E_clISt17integral_constantIbLb0EEST_IbLb1EEEEDaSP_SQ_EUlSP_E0_NS1_11comp_targetILNS1_3genE3ELNS1_11target_archE908ELNS1_3gpuE7ELNS1_3repE0EEENS1_30default_config_static_selectorELNS0_4arch9wavefront6targetE1EEEvT1_: ; @_ZN7rocprim17ROCPRIM_400000_NS6detail17trampoline_kernelINS0_14default_configENS1_20scan_config_selectorIfEEZZNS1_9scan_implILNS1_25lookback_scan_determinismE0ELb1ELb1ES3_N6thrust23THRUST_200600_302600_NS6detail15normal_iteratorINS9_10device_ptrIfEEEESE_f11max_functorIfEfEEDaPvRmT3_T4_T5_mT6_P12ihipStream_tbENKUlT_T0_E_clISt17integral_constantIbLb0EEST_IbLb1EEEEDaSP_SQ_EUlSP_E0_NS1_11comp_targetILNS1_3genE3ELNS1_11target_archE908ELNS1_3gpuE7ELNS1_3repE0EEENS1_30default_config_static_selectorELNS0_4arch9wavefront6targetE1EEEvT1_
; %bb.0:
	.section	.rodata,"a",@progbits
	.p2align	6, 0x0
	.amdhsa_kernel _ZN7rocprim17ROCPRIM_400000_NS6detail17trampoline_kernelINS0_14default_configENS1_20scan_config_selectorIfEEZZNS1_9scan_implILNS1_25lookback_scan_determinismE0ELb1ELb1ES3_N6thrust23THRUST_200600_302600_NS6detail15normal_iteratorINS9_10device_ptrIfEEEESE_f11max_functorIfEfEEDaPvRmT3_T4_T5_mT6_P12ihipStream_tbENKUlT_T0_E_clISt17integral_constantIbLb0EEST_IbLb1EEEEDaSP_SQ_EUlSP_E0_NS1_11comp_targetILNS1_3genE3ELNS1_11target_archE908ELNS1_3gpuE7ELNS1_3repE0EEENS1_30default_config_static_selectorELNS0_4arch9wavefront6targetE1EEEvT1_
		.amdhsa_group_segment_fixed_size 0
		.amdhsa_private_segment_fixed_size 0
		.amdhsa_kernarg_size 32
		.amdhsa_user_sgpr_count 6
		.amdhsa_user_sgpr_private_segment_buffer 1
		.amdhsa_user_sgpr_dispatch_ptr 0
		.amdhsa_user_sgpr_queue_ptr 0
		.amdhsa_user_sgpr_kernarg_segment_ptr 1
		.amdhsa_user_sgpr_dispatch_id 0
		.amdhsa_user_sgpr_flat_scratch_init 0
		.amdhsa_user_sgpr_kernarg_preload_length 0
		.amdhsa_user_sgpr_kernarg_preload_offset 0
		.amdhsa_user_sgpr_private_segment_size 0
		.amdhsa_uses_dynamic_stack 0
		.amdhsa_system_sgpr_private_segment_wavefront_offset 0
		.amdhsa_system_sgpr_workgroup_id_x 1
		.amdhsa_system_sgpr_workgroup_id_y 0
		.amdhsa_system_sgpr_workgroup_id_z 0
		.amdhsa_system_sgpr_workgroup_info 0
		.amdhsa_system_vgpr_workitem_id 0
		.amdhsa_next_free_vgpr 1
		.amdhsa_next_free_sgpr 0
		.amdhsa_accum_offset 4
		.amdhsa_reserve_vcc 0
		.amdhsa_reserve_flat_scratch 0
		.amdhsa_float_round_mode_32 0
		.amdhsa_float_round_mode_16_64 0
		.amdhsa_float_denorm_mode_32 3
		.amdhsa_float_denorm_mode_16_64 3
		.amdhsa_dx10_clamp 1
		.amdhsa_ieee_mode 1
		.amdhsa_fp16_overflow 0
		.amdhsa_tg_split 0
		.amdhsa_exception_fp_ieee_invalid_op 0
		.amdhsa_exception_fp_denorm_src 0
		.amdhsa_exception_fp_ieee_div_zero 0
		.amdhsa_exception_fp_ieee_overflow 0
		.amdhsa_exception_fp_ieee_underflow 0
		.amdhsa_exception_fp_ieee_inexact 0
		.amdhsa_exception_int_div_zero 0
	.end_amdhsa_kernel
	.section	.text._ZN7rocprim17ROCPRIM_400000_NS6detail17trampoline_kernelINS0_14default_configENS1_20scan_config_selectorIfEEZZNS1_9scan_implILNS1_25lookback_scan_determinismE0ELb1ELb1ES3_N6thrust23THRUST_200600_302600_NS6detail15normal_iteratorINS9_10device_ptrIfEEEESE_f11max_functorIfEfEEDaPvRmT3_T4_T5_mT6_P12ihipStream_tbENKUlT_T0_E_clISt17integral_constantIbLb0EEST_IbLb1EEEEDaSP_SQ_EUlSP_E0_NS1_11comp_targetILNS1_3genE3ELNS1_11target_archE908ELNS1_3gpuE7ELNS1_3repE0EEENS1_30default_config_static_selectorELNS0_4arch9wavefront6targetE1EEEvT1_,"axG",@progbits,_ZN7rocprim17ROCPRIM_400000_NS6detail17trampoline_kernelINS0_14default_configENS1_20scan_config_selectorIfEEZZNS1_9scan_implILNS1_25lookback_scan_determinismE0ELb1ELb1ES3_N6thrust23THRUST_200600_302600_NS6detail15normal_iteratorINS9_10device_ptrIfEEEESE_f11max_functorIfEfEEDaPvRmT3_T4_T5_mT6_P12ihipStream_tbENKUlT_T0_E_clISt17integral_constantIbLb0EEST_IbLb1EEEEDaSP_SQ_EUlSP_E0_NS1_11comp_targetILNS1_3genE3ELNS1_11target_archE908ELNS1_3gpuE7ELNS1_3repE0EEENS1_30default_config_static_selectorELNS0_4arch9wavefront6targetE1EEEvT1_,comdat
.Lfunc_end2081:
	.size	_ZN7rocprim17ROCPRIM_400000_NS6detail17trampoline_kernelINS0_14default_configENS1_20scan_config_selectorIfEEZZNS1_9scan_implILNS1_25lookback_scan_determinismE0ELb1ELb1ES3_N6thrust23THRUST_200600_302600_NS6detail15normal_iteratorINS9_10device_ptrIfEEEESE_f11max_functorIfEfEEDaPvRmT3_T4_T5_mT6_P12ihipStream_tbENKUlT_T0_E_clISt17integral_constantIbLb0EEST_IbLb1EEEEDaSP_SQ_EUlSP_E0_NS1_11comp_targetILNS1_3genE3ELNS1_11target_archE908ELNS1_3gpuE7ELNS1_3repE0EEENS1_30default_config_static_selectorELNS0_4arch9wavefront6targetE1EEEvT1_, .Lfunc_end2081-_ZN7rocprim17ROCPRIM_400000_NS6detail17trampoline_kernelINS0_14default_configENS1_20scan_config_selectorIfEEZZNS1_9scan_implILNS1_25lookback_scan_determinismE0ELb1ELb1ES3_N6thrust23THRUST_200600_302600_NS6detail15normal_iteratorINS9_10device_ptrIfEEEESE_f11max_functorIfEfEEDaPvRmT3_T4_T5_mT6_P12ihipStream_tbENKUlT_T0_E_clISt17integral_constantIbLb0EEST_IbLb1EEEEDaSP_SQ_EUlSP_E0_NS1_11comp_targetILNS1_3genE3ELNS1_11target_archE908ELNS1_3gpuE7ELNS1_3repE0EEENS1_30default_config_static_selectorELNS0_4arch9wavefront6targetE1EEEvT1_
                                        ; -- End function
	.section	.AMDGPU.csdata,"",@progbits
; Kernel info:
; codeLenInByte = 0
; NumSgprs: 4
; NumVgprs: 0
; NumAgprs: 0
; TotalNumVgprs: 0
; ScratchSize: 0
; MemoryBound: 0
; FloatMode: 240
; IeeeMode: 1
; LDSByteSize: 0 bytes/workgroup (compile time only)
; SGPRBlocks: 0
; VGPRBlocks: 0
; NumSGPRsForWavesPerEU: 4
; NumVGPRsForWavesPerEU: 1
; AccumOffset: 4
; Occupancy: 8
; WaveLimiterHint : 0
; COMPUTE_PGM_RSRC2:SCRATCH_EN: 0
; COMPUTE_PGM_RSRC2:USER_SGPR: 6
; COMPUTE_PGM_RSRC2:TRAP_HANDLER: 0
; COMPUTE_PGM_RSRC2:TGID_X_EN: 1
; COMPUTE_PGM_RSRC2:TGID_Y_EN: 0
; COMPUTE_PGM_RSRC2:TGID_Z_EN: 0
; COMPUTE_PGM_RSRC2:TIDIG_COMP_CNT: 0
; COMPUTE_PGM_RSRC3_GFX90A:ACCUM_OFFSET: 0
; COMPUTE_PGM_RSRC3_GFX90A:TG_SPLIT: 0
	.section	.text._ZN7rocprim17ROCPRIM_400000_NS6detail17trampoline_kernelINS0_14default_configENS1_20scan_config_selectorIfEEZZNS1_9scan_implILNS1_25lookback_scan_determinismE0ELb1ELb1ES3_N6thrust23THRUST_200600_302600_NS6detail15normal_iteratorINS9_10device_ptrIfEEEESE_f11max_functorIfEfEEDaPvRmT3_T4_T5_mT6_P12ihipStream_tbENKUlT_T0_E_clISt17integral_constantIbLb0EEST_IbLb1EEEEDaSP_SQ_EUlSP_E0_NS1_11comp_targetILNS1_3genE2ELNS1_11target_archE906ELNS1_3gpuE6ELNS1_3repE0EEENS1_30default_config_static_selectorELNS0_4arch9wavefront6targetE1EEEvT1_,"axG",@progbits,_ZN7rocprim17ROCPRIM_400000_NS6detail17trampoline_kernelINS0_14default_configENS1_20scan_config_selectorIfEEZZNS1_9scan_implILNS1_25lookback_scan_determinismE0ELb1ELb1ES3_N6thrust23THRUST_200600_302600_NS6detail15normal_iteratorINS9_10device_ptrIfEEEESE_f11max_functorIfEfEEDaPvRmT3_T4_T5_mT6_P12ihipStream_tbENKUlT_T0_E_clISt17integral_constantIbLb0EEST_IbLb1EEEEDaSP_SQ_EUlSP_E0_NS1_11comp_targetILNS1_3genE2ELNS1_11target_archE906ELNS1_3gpuE6ELNS1_3repE0EEENS1_30default_config_static_selectorELNS0_4arch9wavefront6targetE1EEEvT1_,comdat
	.protected	_ZN7rocprim17ROCPRIM_400000_NS6detail17trampoline_kernelINS0_14default_configENS1_20scan_config_selectorIfEEZZNS1_9scan_implILNS1_25lookback_scan_determinismE0ELb1ELb1ES3_N6thrust23THRUST_200600_302600_NS6detail15normal_iteratorINS9_10device_ptrIfEEEESE_f11max_functorIfEfEEDaPvRmT3_T4_T5_mT6_P12ihipStream_tbENKUlT_T0_E_clISt17integral_constantIbLb0EEST_IbLb1EEEEDaSP_SQ_EUlSP_E0_NS1_11comp_targetILNS1_3genE2ELNS1_11target_archE906ELNS1_3gpuE6ELNS1_3repE0EEENS1_30default_config_static_selectorELNS0_4arch9wavefront6targetE1EEEvT1_ ; -- Begin function _ZN7rocprim17ROCPRIM_400000_NS6detail17trampoline_kernelINS0_14default_configENS1_20scan_config_selectorIfEEZZNS1_9scan_implILNS1_25lookback_scan_determinismE0ELb1ELb1ES3_N6thrust23THRUST_200600_302600_NS6detail15normal_iteratorINS9_10device_ptrIfEEEESE_f11max_functorIfEfEEDaPvRmT3_T4_T5_mT6_P12ihipStream_tbENKUlT_T0_E_clISt17integral_constantIbLb0EEST_IbLb1EEEEDaSP_SQ_EUlSP_E0_NS1_11comp_targetILNS1_3genE2ELNS1_11target_archE906ELNS1_3gpuE6ELNS1_3repE0EEENS1_30default_config_static_selectorELNS0_4arch9wavefront6targetE1EEEvT1_
	.globl	_ZN7rocprim17ROCPRIM_400000_NS6detail17trampoline_kernelINS0_14default_configENS1_20scan_config_selectorIfEEZZNS1_9scan_implILNS1_25lookback_scan_determinismE0ELb1ELb1ES3_N6thrust23THRUST_200600_302600_NS6detail15normal_iteratorINS9_10device_ptrIfEEEESE_f11max_functorIfEfEEDaPvRmT3_T4_T5_mT6_P12ihipStream_tbENKUlT_T0_E_clISt17integral_constantIbLb0EEST_IbLb1EEEEDaSP_SQ_EUlSP_E0_NS1_11comp_targetILNS1_3genE2ELNS1_11target_archE906ELNS1_3gpuE6ELNS1_3repE0EEENS1_30default_config_static_selectorELNS0_4arch9wavefront6targetE1EEEvT1_
	.p2align	8
	.type	_ZN7rocprim17ROCPRIM_400000_NS6detail17trampoline_kernelINS0_14default_configENS1_20scan_config_selectorIfEEZZNS1_9scan_implILNS1_25lookback_scan_determinismE0ELb1ELb1ES3_N6thrust23THRUST_200600_302600_NS6detail15normal_iteratorINS9_10device_ptrIfEEEESE_f11max_functorIfEfEEDaPvRmT3_T4_T5_mT6_P12ihipStream_tbENKUlT_T0_E_clISt17integral_constantIbLb0EEST_IbLb1EEEEDaSP_SQ_EUlSP_E0_NS1_11comp_targetILNS1_3genE2ELNS1_11target_archE906ELNS1_3gpuE6ELNS1_3repE0EEENS1_30default_config_static_selectorELNS0_4arch9wavefront6targetE1EEEvT1_,@function
_ZN7rocprim17ROCPRIM_400000_NS6detail17trampoline_kernelINS0_14default_configENS1_20scan_config_selectorIfEEZZNS1_9scan_implILNS1_25lookback_scan_determinismE0ELb1ELb1ES3_N6thrust23THRUST_200600_302600_NS6detail15normal_iteratorINS9_10device_ptrIfEEEESE_f11max_functorIfEfEEDaPvRmT3_T4_T5_mT6_P12ihipStream_tbENKUlT_T0_E_clISt17integral_constantIbLb0EEST_IbLb1EEEEDaSP_SQ_EUlSP_E0_NS1_11comp_targetILNS1_3genE2ELNS1_11target_archE906ELNS1_3gpuE6ELNS1_3repE0EEENS1_30default_config_static_selectorELNS0_4arch9wavefront6targetE1EEEvT1_: ; @_ZN7rocprim17ROCPRIM_400000_NS6detail17trampoline_kernelINS0_14default_configENS1_20scan_config_selectorIfEEZZNS1_9scan_implILNS1_25lookback_scan_determinismE0ELb1ELb1ES3_N6thrust23THRUST_200600_302600_NS6detail15normal_iteratorINS9_10device_ptrIfEEEESE_f11max_functorIfEfEEDaPvRmT3_T4_T5_mT6_P12ihipStream_tbENKUlT_T0_E_clISt17integral_constantIbLb0EEST_IbLb1EEEEDaSP_SQ_EUlSP_E0_NS1_11comp_targetILNS1_3genE2ELNS1_11target_archE906ELNS1_3gpuE6ELNS1_3repE0EEENS1_30default_config_static_selectorELNS0_4arch9wavefront6targetE1EEEvT1_
; %bb.0:
	.section	.rodata,"a",@progbits
	.p2align	6, 0x0
	.amdhsa_kernel _ZN7rocprim17ROCPRIM_400000_NS6detail17trampoline_kernelINS0_14default_configENS1_20scan_config_selectorIfEEZZNS1_9scan_implILNS1_25lookback_scan_determinismE0ELb1ELb1ES3_N6thrust23THRUST_200600_302600_NS6detail15normal_iteratorINS9_10device_ptrIfEEEESE_f11max_functorIfEfEEDaPvRmT3_T4_T5_mT6_P12ihipStream_tbENKUlT_T0_E_clISt17integral_constantIbLb0EEST_IbLb1EEEEDaSP_SQ_EUlSP_E0_NS1_11comp_targetILNS1_3genE2ELNS1_11target_archE906ELNS1_3gpuE6ELNS1_3repE0EEENS1_30default_config_static_selectorELNS0_4arch9wavefront6targetE1EEEvT1_
		.amdhsa_group_segment_fixed_size 0
		.amdhsa_private_segment_fixed_size 0
		.amdhsa_kernarg_size 32
		.amdhsa_user_sgpr_count 6
		.amdhsa_user_sgpr_private_segment_buffer 1
		.amdhsa_user_sgpr_dispatch_ptr 0
		.amdhsa_user_sgpr_queue_ptr 0
		.amdhsa_user_sgpr_kernarg_segment_ptr 1
		.amdhsa_user_sgpr_dispatch_id 0
		.amdhsa_user_sgpr_flat_scratch_init 0
		.amdhsa_user_sgpr_kernarg_preload_length 0
		.amdhsa_user_sgpr_kernarg_preload_offset 0
		.amdhsa_user_sgpr_private_segment_size 0
		.amdhsa_uses_dynamic_stack 0
		.amdhsa_system_sgpr_private_segment_wavefront_offset 0
		.amdhsa_system_sgpr_workgroup_id_x 1
		.amdhsa_system_sgpr_workgroup_id_y 0
		.amdhsa_system_sgpr_workgroup_id_z 0
		.amdhsa_system_sgpr_workgroup_info 0
		.amdhsa_system_vgpr_workitem_id 0
		.amdhsa_next_free_vgpr 1
		.amdhsa_next_free_sgpr 0
		.amdhsa_accum_offset 4
		.amdhsa_reserve_vcc 0
		.amdhsa_reserve_flat_scratch 0
		.amdhsa_float_round_mode_32 0
		.amdhsa_float_round_mode_16_64 0
		.amdhsa_float_denorm_mode_32 3
		.amdhsa_float_denorm_mode_16_64 3
		.amdhsa_dx10_clamp 1
		.amdhsa_ieee_mode 1
		.amdhsa_fp16_overflow 0
		.amdhsa_tg_split 0
		.amdhsa_exception_fp_ieee_invalid_op 0
		.amdhsa_exception_fp_denorm_src 0
		.amdhsa_exception_fp_ieee_div_zero 0
		.amdhsa_exception_fp_ieee_overflow 0
		.amdhsa_exception_fp_ieee_underflow 0
		.amdhsa_exception_fp_ieee_inexact 0
		.amdhsa_exception_int_div_zero 0
	.end_amdhsa_kernel
	.section	.text._ZN7rocprim17ROCPRIM_400000_NS6detail17trampoline_kernelINS0_14default_configENS1_20scan_config_selectorIfEEZZNS1_9scan_implILNS1_25lookback_scan_determinismE0ELb1ELb1ES3_N6thrust23THRUST_200600_302600_NS6detail15normal_iteratorINS9_10device_ptrIfEEEESE_f11max_functorIfEfEEDaPvRmT3_T4_T5_mT6_P12ihipStream_tbENKUlT_T0_E_clISt17integral_constantIbLb0EEST_IbLb1EEEEDaSP_SQ_EUlSP_E0_NS1_11comp_targetILNS1_3genE2ELNS1_11target_archE906ELNS1_3gpuE6ELNS1_3repE0EEENS1_30default_config_static_selectorELNS0_4arch9wavefront6targetE1EEEvT1_,"axG",@progbits,_ZN7rocprim17ROCPRIM_400000_NS6detail17trampoline_kernelINS0_14default_configENS1_20scan_config_selectorIfEEZZNS1_9scan_implILNS1_25lookback_scan_determinismE0ELb1ELb1ES3_N6thrust23THRUST_200600_302600_NS6detail15normal_iteratorINS9_10device_ptrIfEEEESE_f11max_functorIfEfEEDaPvRmT3_T4_T5_mT6_P12ihipStream_tbENKUlT_T0_E_clISt17integral_constantIbLb0EEST_IbLb1EEEEDaSP_SQ_EUlSP_E0_NS1_11comp_targetILNS1_3genE2ELNS1_11target_archE906ELNS1_3gpuE6ELNS1_3repE0EEENS1_30default_config_static_selectorELNS0_4arch9wavefront6targetE1EEEvT1_,comdat
.Lfunc_end2082:
	.size	_ZN7rocprim17ROCPRIM_400000_NS6detail17trampoline_kernelINS0_14default_configENS1_20scan_config_selectorIfEEZZNS1_9scan_implILNS1_25lookback_scan_determinismE0ELb1ELb1ES3_N6thrust23THRUST_200600_302600_NS6detail15normal_iteratorINS9_10device_ptrIfEEEESE_f11max_functorIfEfEEDaPvRmT3_T4_T5_mT6_P12ihipStream_tbENKUlT_T0_E_clISt17integral_constantIbLb0EEST_IbLb1EEEEDaSP_SQ_EUlSP_E0_NS1_11comp_targetILNS1_3genE2ELNS1_11target_archE906ELNS1_3gpuE6ELNS1_3repE0EEENS1_30default_config_static_selectorELNS0_4arch9wavefront6targetE1EEEvT1_, .Lfunc_end2082-_ZN7rocprim17ROCPRIM_400000_NS6detail17trampoline_kernelINS0_14default_configENS1_20scan_config_selectorIfEEZZNS1_9scan_implILNS1_25lookback_scan_determinismE0ELb1ELb1ES3_N6thrust23THRUST_200600_302600_NS6detail15normal_iteratorINS9_10device_ptrIfEEEESE_f11max_functorIfEfEEDaPvRmT3_T4_T5_mT6_P12ihipStream_tbENKUlT_T0_E_clISt17integral_constantIbLb0EEST_IbLb1EEEEDaSP_SQ_EUlSP_E0_NS1_11comp_targetILNS1_3genE2ELNS1_11target_archE906ELNS1_3gpuE6ELNS1_3repE0EEENS1_30default_config_static_selectorELNS0_4arch9wavefront6targetE1EEEvT1_
                                        ; -- End function
	.section	.AMDGPU.csdata,"",@progbits
; Kernel info:
; codeLenInByte = 0
; NumSgprs: 4
; NumVgprs: 0
; NumAgprs: 0
; TotalNumVgprs: 0
; ScratchSize: 0
; MemoryBound: 0
; FloatMode: 240
; IeeeMode: 1
; LDSByteSize: 0 bytes/workgroup (compile time only)
; SGPRBlocks: 0
; VGPRBlocks: 0
; NumSGPRsForWavesPerEU: 4
; NumVGPRsForWavesPerEU: 1
; AccumOffset: 4
; Occupancy: 8
; WaveLimiterHint : 0
; COMPUTE_PGM_RSRC2:SCRATCH_EN: 0
; COMPUTE_PGM_RSRC2:USER_SGPR: 6
; COMPUTE_PGM_RSRC2:TRAP_HANDLER: 0
; COMPUTE_PGM_RSRC2:TGID_X_EN: 1
; COMPUTE_PGM_RSRC2:TGID_Y_EN: 0
; COMPUTE_PGM_RSRC2:TGID_Z_EN: 0
; COMPUTE_PGM_RSRC2:TIDIG_COMP_CNT: 0
; COMPUTE_PGM_RSRC3_GFX90A:ACCUM_OFFSET: 0
; COMPUTE_PGM_RSRC3_GFX90A:TG_SPLIT: 0
	.section	.text._ZN7rocprim17ROCPRIM_400000_NS6detail17trampoline_kernelINS0_14default_configENS1_20scan_config_selectorIfEEZZNS1_9scan_implILNS1_25lookback_scan_determinismE0ELb1ELb1ES3_N6thrust23THRUST_200600_302600_NS6detail15normal_iteratorINS9_10device_ptrIfEEEESE_f11max_functorIfEfEEDaPvRmT3_T4_T5_mT6_P12ihipStream_tbENKUlT_T0_E_clISt17integral_constantIbLb0EEST_IbLb1EEEEDaSP_SQ_EUlSP_E0_NS1_11comp_targetILNS1_3genE10ELNS1_11target_archE1201ELNS1_3gpuE5ELNS1_3repE0EEENS1_30default_config_static_selectorELNS0_4arch9wavefront6targetE1EEEvT1_,"axG",@progbits,_ZN7rocprim17ROCPRIM_400000_NS6detail17trampoline_kernelINS0_14default_configENS1_20scan_config_selectorIfEEZZNS1_9scan_implILNS1_25lookback_scan_determinismE0ELb1ELb1ES3_N6thrust23THRUST_200600_302600_NS6detail15normal_iteratorINS9_10device_ptrIfEEEESE_f11max_functorIfEfEEDaPvRmT3_T4_T5_mT6_P12ihipStream_tbENKUlT_T0_E_clISt17integral_constantIbLb0EEST_IbLb1EEEEDaSP_SQ_EUlSP_E0_NS1_11comp_targetILNS1_3genE10ELNS1_11target_archE1201ELNS1_3gpuE5ELNS1_3repE0EEENS1_30default_config_static_selectorELNS0_4arch9wavefront6targetE1EEEvT1_,comdat
	.protected	_ZN7rocprim17ROCPRIM_400000_NS6detail17trampoline_kernelINS0_14default_configENS1_20scan_config_selectorIfEEZZNS1_9scan_implILNS1_25lookback_scan_determinismE0ELb1ELb1ES3_N6thrust23THRUST_200600_302600_NS6detail15normal_iteratorINS9_10device_ptrIfEEEESE_f11max_functorIfEfEEDaPvRmT3_T4_T5_mT6_P12ihipStream_tbENKUlT_T0_E_clISt17integral_constantIbLb0EEST_IbLb1EEEEDaSP_SQ_EUlSP_E0_NS1_11comp_targetILNS1_3genE10ELNS1_11target_archE1201ELNS1_3gpuE5ELNS1_3repE0EEENS1_30default_config_static_selectorELNS0_4arch9wavefront6targetE1EEEvT1_ ; -- Begin function _ZN7rocprim17ROCPRIM_400000_NS6detail17trampoline_kernelINS0_14default_configENS1_20scan_config_selectorIfEEZZNS1_9scan_implILNS1_25lookback_scan_determinismE0ELb1ELb1ES3_N6thrust23THRUST_200600_302600_NS6detail15normal_iteratorINS9_10device_ptrIfEEEESE_f11max_functorIfEfEEDaPvRmT3_T4_T5_mT6_P12ihipStream_tbENKUlT_T0_E_clISt17integral_constantIbLb0EEST_IbLb1EEEEDaSP_SQ_EUlSP_E0_NS1_11comp_targetILNS1_3genE10ELNS1_11target_archE1201ELNS1_3gpuE5ELNS1_3repE0EEENS1_30default_config_static_selectorELNS0_4arch9wavefront6targetE1EEEvT1_
	.globl	_ZN7rocprim17ROCPRIM_400000_NS6detail17trampoline_kernelINS0_14default_configENS1_20scan_config_selectorIfEEZZNS1_9scan_implILNS1_25lookback_scan_determinismE0ELb1ELb1ES3_N6thrust23THRUST_200600_302600_NS6detail15normal_iteratorINS9_10device_ptrIfEEEESE_f11max_functorIfEfEEDaPvRmT3_T4_T5_mT6_P12ihipStream_tbENKUlT_T0_E_clISt17integral_constantIbLb0EEST_IbLb1EEEEDaSP_SQ_EUlSP_E0_NS1_11comp_targetILNS1_3genE10ELNS1_11target_archE1201ELNS1_3gpuE5ELNS1_3repE0EEENS1_30default_config_static_selectorELNS0_4arch9wavefront6targetE1EEEvT1_
	.p2align	8
	.type	_ZN7rocprim17ROCPRIM_400000_NS6detail17trampoline_kernelINS0_14default_configENS1_20scan_config_selectorIfEEZZNS1_9scan_implILNS1_25lookback_scan_determinismE0ELb1ELb1ES3_N6thrust23THRUST_200600_302600_NS6detail15normal_iteratorINS9_10device_ptrIfEEEESE_f11max_functorIfEfEEDaPvRmT3_T4_T5_mT6_P12ihipStream_tbENKUlT_T0_E_clISt17integral_constantIbLb0EEST_IbLb1EEEEDaSP_SQ_EUlSP_E0_NS1_11comp_targetILNS1_3genE10ELNS1_11target_archE1201ELNS1_3gpuE5ELNS1_3repE0EEENS1_30default_config_static_selectorELNS0_4arch9wavefront6targetE1EEEvT1_,@function
_ZN7rocprim17ROCPRIM_400000_NS6detail17trampoline_kernelINS0_14default_configENS1_20scan_config_selectorIfEEZZNS1_9scan_implILNS1_25lookback_scan_determinismE0ELb1ELb1ES3_N6thrust23THRUST_200600_302600_NS6detail15normal_iteratorINS9_10device_ptrIfEEEESE_f11max_functorIfEfEEDaPvRmT3_T4_T5_mT6_P12ihipStream_tbENKUlT_T0_E_clISt17integral_constantIbLb0EEST_IbLb1EEEEDaSP_SQ_EUlSP_E0_NS1_11comp_targetILNS1_3genE10ELNS1_11target_archE1201ELNS1_3gpuE5ELNS1_3repE0EEENS1_30default_config_static_selectorELNS0_4arch9wavefront6targetE1EEEvT1_: ; @_ZN7rocprim17ROCPRIM_400000_NS6detail17trampoline_kernelINS0_14default_configENS1_20scan_config_selectorIfEEZZNS1_9scan_implILNS1_25lookback_scan_determinismE0ELb1ELb1ES3_N6thrust23THRUST_200600_302600_NS6detail15normal_iteratorINS9_10device_ptrIfEEEESE_f11max_functorIfEfEEDaPvRmT3_T4_T5_mT6_P12ihipStream_tbENKUlT_T0_E_clISt17integral_constantIbLb0EEST_IbLb1EEEEDaSP_SQ_EUlSP_E0_NS1_11comp_targetILNS1_3genE10ELNS1_11target_archE1201ELNS1_3gpuE5ELNS1_3repE0EEENS1_30default_config_static_selectorELNS0_4arch9wavefront6targetE1EEEvT1_
; %bb.0:
	.section	.rodata,"a",@progbits
	.p2align	6, 0x0
	.amdhsa_kernel _ZN7rocprim17ROCPRIM_400000_NS6detail17trampoline_kernelINS0_14default_configENS1_20scan_config_selectorIfEEZZNS1_9scan_implILNS1_25lookback_scan_determinismE0ELb1ELb1ES3_N6thrust23THRUST_200600_302600_NS6detail15normal_iteratorINS9_10device_ptrIfEEEESE_f11max_functorIfEfEEDaPvRmT3_T4_T5_mT6_P12ihipStream_tbENKUlT_T0_E_clISt17integral_constantIbLb0EEST_IbLb1EEEEDaSP_SQ_EUlSP_E0_NS1_11comp_targetILNS1_3genE10ELNS1_11target_archE1201ELNS1_3gpuE5ELNS1_3repE0EEENS1_30default_config_static_selectorELNS0_4arch9wavefront6targetE1EEEvT1_
		.amdhsa_group_segment_fixed_size 0
		.amdhsa_private_segment_fixed_size 0
		.amdhsa_kernarg_size 32
		.amdhsa_user_sgpr_count 6
		.amdhsa_user_sgpr_private_segment_buffer 1
		.amdhsa_user_sgpr_dispatch_ptr 0
		.amdhsa_user_sgpr_queue_ptr 0
		.amdhsa_user_sgpr_kernarg_segment_ptr 1
		.amdhsa_user_sgpr_dispatch_id 0
		.amdhsa_user_sgpr_flat_scratch_init 0
		.amdhsa_user_sgpr_kernarg_preload_length 0
		.amdhsa_user_sgpr_kernarg_preload_offset 0
		.amdhsa_user_sgpr_private_segment_size 0
		.amdhsa_uses_dynamic_stack 0
		.amdhsa_system_sgpr_private_segment_wavefront_offset 0
		.amdhsa_system_sgpr_workgroup_id_x 1
		.amdhsa_system_sgpr_workgroup_id_y 0
		.amdhsa_system_sgpr_workgroup_id_z 0
		.amdhsa_system_sgpr_workgroup_info 0
		.amdhsa_system_vgpr_workitem_id 0
		.amdhsa_next_free_vgpr 1
		.amdhsa_next_free_sgpr 0
		.amdhsa_accum_offset 4
		.amdhsa_reserve_vcc 0
		.amdhsa_reserve_flat_scratch 0
		.amdhsa_float_round_mode_32 0
		.amdhsa_float_round_mode_16_64 0
		.amdhsa_float_denorm_mode_32 3
		.amdhsa_float_denorm_mode_16_64 3
		.amdhsa_dx10_clamp 1
		.amdhsa_ieee_mode 1
		.amdhsa_fp16_overflow 0
		.amdhsa_tg_split 0
		.amdhsa_exception_fp_ieee_invalid_op 0
		.amdhsa_exception_fp_denorm_src 0
		.amdhsa_exception_fp_ieee_div_zero 0
		.amdhsa_exception_fp_ieee_overflow 0
		.amdhsa_exception_fp_ieee_underflow 0
		.amdhsa_exception_fp_ieee_inexact 0
		.amdhsa_exception_int_div_zero 0
	.end_amdhsa_kernel
	.section	.text._ZN7rocprim17ROCPRIM_400000_NS6detail17trampoline_kernelINS0_14default_configENS1_20scan_config_selectorIfEEZZNS1_9scan_implILNS1_25lookback_scan_determinismE0ELb1ELb1ES3_N6thrust23THRUST_200600_302600_NS6detail15normal_iteratorINS9_10device_ptrIfEEEESE_f11max_functorIfEfEEDaPvRmT3_T4_T5_mT6_P12ihipStream_tbENKUlT_T0_E_clISt17integral_constantIbLb0EEST_IbLb1EEEEDaSP_SQ_EUlSP_E0_NS1_11comp_targetILNS1_3genE10ELNS1_11target_archE1201ELNS1_3gpuE5ELNS1_3repE0EEENS1_30default_config_static_selectorELNS0_4arch9wavefront6targetE1EEEvT1_,"axG",@progbits,_ZN7rocprim17ROCPRIM_400000_NS6detail17trampoline_kernelINS0_14default_configENS1_20scan_config_selectorIfEEZZNS1_9scan_implILNS1_25lookback_scan_determinismE0ELb1ELb1ES3_N6thrust23THRUST_200600_302600_NS6detail15normal_iteratorINS9_10device_ptrIfEEEESE_f11max_functorIfEfEEDaPvRmT3_T4_T5_mT6_P12ihipStream_tbENKUlT_T0_E_clISt17integral_constantIbLb0EEST_IbLb1EEEEDaSP_SQ_EUlSP_E0_NS1_11comp_targetILNS1_3genE10ELNS1_11target_archE1201ELNS1_3gpuE5ELNS1_3repE0EEENS1_30default_config_static_selectorELNS0_4arch9wavefront6targetE1EEEvT1_,comdat
.Lfunc_end2083:
	.size	_ZN7rocprim17ROCPRIM_400000_NS6detail17trampoline_kernelINS0_14default_configENS1_20scan_config_selectorIfEEZZNS1_9scan_implILNS1_25lookback_scan_determinismE0ELb1ELb1ES3_N6thrust23THRUST_200600_302600_NS6detail15normal_iteratorINS9_10device_ptrIfEEEESE_f11max_functorIfEfEEDaPvRmT3_T4_T5_mT6_P12ihipStream_tbENKUlT_T0_E_clISt17integral_constantIbLb0EEST_IbLb1EEEEDaSP_SQ_EUlSP_E0_NS1_11comp_targetILNS1_3genE10ELNS1_11target_archE1201ELNS1_3gpuE5ELNS1_3repE0EEENS1_30default_config_static_selectorELNS0_4arch9wavefront6targetE1EEEvT1_, .Lfunc_end2083-_ZN7rocprim17ROCPRIM_400000_NS6detail17trampoline_kernelINS0_14default_configENS1_20scan_config_selectorIfEEZZNS1_9scan_implILNS1_25lookback_scan_determinismE0ELb1ELb1ES3_N6thrust23THRUST_200600_302600_NS6detail15normal_iteratorINS9_10device_ptrIfEEEESE_f11max_functorIfEfEEDaPvRmT3_T4_T5_mT6_P12ihipStream_tbENKUlT_T0_E_clISt17integral_constantIbLb0EEST_IbLb1EEEEDaSP_SQ_EUlSP_E0_NS1_11comp_targetILNS1_3genE10ELNS1_11target_archE1201ELNS1_3gpuE5ELNS1_3repE0EEENS1_30default_config_static_selectorELNS0_4arch9wavefront6targetE1EEEvT1_
                                        ; -- End function
	.section	.AMDGPU.csdata,"",@progbits
; Kernel info:
; codeLenInByte = 0
; NumSgprs: 4
; NumVgprs: 0
; NumAgprs: 0
; TotalNumVgprs: 0
; ScratchSize: 0
; MemoryBound: 0
; FloatMode: 240
; IeeeMode: 1
; LDSByteSize: 0 bytes/workgroup (compile time only)
; SGPRBlocks: 0
; VGPRBlocks: 0
; NumSGPRsForWavesPerEU: 4
; NumVGPRsForWavesPerEU: 1
; AccumOffset: 4
; Occupancy: 8
; WaveLimiterHint : 0
; COMPUTE_PGM_RSRC2:SCRATCH_EN: 0
; COMPUTE_PGM_RSRC2:USER_SGPR: 6
; COMPUTE_PGM_RSRC2:TRAP_HANDLER: 0
; COMPUTE_PGM_RSRC2:TGID_X_EN: 1
; COMPUTE_PGM_RSRC2:TGID_Y_EN: 0
; COMPUTE_PGM_RSRC2:TGID_Z_EN: 0
; COMPUTE_PGM_RSRC2:TIDIG_COMP_CNT: 0
; COMPUTE_PGM_RSRC3_GFX90A:ACCUM_OFFSET: 0
; COMPUTE_PGM_RSRC3_GFX90A:TG_SPLIT: 0
	.section	.text._ZN7rocprim17ROCPRIM_400000_NS6detail17trampoline_kernelINS0_14default_configENS1_20scan_config_selectorIfEEZZNS1_9scan_implILNS1_25lookback_scan_determinismE0ELb1ELb1ES3_N6thrust23THRUST_200600_302600_NS6detail15normal_iteratorINS9_10device_ptrIfEEEESE_f11max_functorIfEfEEDaPvRmT3_T4_T5_mT6_P12ihipStream_tbENKUlT_T0_E_clISt17integral_constantIbLb0EEST_IbLb1EEEEDaSP_SQ_EUlSP_E0_NS1_11comp_targetILNS1_3genE10ELNS1_11target_archE1200ELNS1_3gpuE4ELNS1_3repE0EEENS1_30default_config_static_selectorELNS0_4arch9wavefront6targetE1EEEvT1_,"axG",@progbits,_ZN7rocprim17ROCPRIM_400000_NS6detail17trampoline_kernelINS0_14default_configENS1_20scan_config_selectorIfEEZZNS1_9scan_implILNS1_25lookback_scan_determinismE0ELb1ELb1ES3_N6thrust23THRUST_200600_302600_NS6detail15normal_iteratorINS9_10device_ptrIfEEEESE_f11max_functorIfEfEEDaPvRmT3_T4_T5_mT6_P12ihipStream_tbENKUlT_T0_E_clISt17integral_constantIbLb0EEST_IbLb1EEEEDaSP_SQ_EUlSP_E0_NS1_11comp_targetILNS1_3genE10ELNS1_11target_archE1200ELNS1_3gpuE4ELNS1_3repE0EEENS1_30default_config_static_selectorELNS0_4arch9wavefront6targetE1EEEvT1_,comdat
	.protected	_ZN7rocprim17ROCPRIM_400000_NS6detail17trampoline_kernelINS0_14default_configENS1_20scan_config_selectorIfEEZZNS1_9scan_implILNS1_25lookback_scan_determinismE0ELb1ELb1ES3_N6thrust23THRUST_200600_302600_NS6detail15normal_iteratorINS9_10device_ptrIfEEEESE_f11max_functorIfEfEEDaPvRmT3_T4_T5_mT6_P12ihipStream_tbENKUlT_T0_E_clISt17integral_constantIbLb0EEST_IbLb1EEEEDaSP_SQ_EUlSP_E0_NS1_11comp_targetILNS1_3genE10ELNS1_11target_archE1200ELNS1_3gpuE4ELNS1_3repE0EEENS1_30default_config_static_selectorELNS0_4arch9wavefront6targetE1EEEvT1_ ; -- Begin function _ZN7rocprim17ROCPRIM_400000_NS6detail17trampoline_kernelINS0_14default_configENS1_20scan_config_selectorIfEEZZNS1_9scan_implILNS1_25lookback_scan_determinismE0ELb1ELb1ES3_N6thrust23THRUST_200600_302600_NS6detail15normal_iteratorINS9_10device_ptrIfEEEESE_f11max_functorIfEfEEDaPvRmT3_T4_T5_mT6_P12ihipStream_tbENKUlT_T0_E_clISt17integral_constantIbLb0EEST_IbLb1EEEEDaSP_SQ_EUlSP_E0_NS1_11comp_targetILNS1_3genE10ELNS1_11target_archE1200ELNS1_3gpuE4ELNS1_3repE0EEENS1_30default_config_static_selectorELNS0_4arch9wavefront6targetE1EEEvT1_
	.globl	_ZN7rocprim17ROCPRIM_400000_NS6detail17trampoline_kernelINS0_14default_configENS1_20scan_config_selectorIfEEZZNS1_9scan_implILNS1_25lookback_scan_determinismE0ELb1ELb1ES3_N6thrust23THRUST_200600_302600_NS6detail15normal_iteratorINS9_10device_ptrIfEEEESE_f11max_functorIfEfEEDaPvRmT3_T4_T5_mT6_P12ihipStream_tbENKUlT_T0_E_clISt17integral_constantIbLb0EEST_IbLb1EEEEDaSP_SQ_EUlSP_E0_NS1_11comp_targetILNS1_3genE10ELNS1_11target_archE1200ELNS1_3gpuE4ELNS1_3repE0EEENS1_30default_config_static_selectorELNS0_4arch9wavefront6targetE1EEEvT1_
	.p2align	8
	.type	_ZN7rocprim17ROCPRIM_400000_NS6detail17trampoline_kernelINS0_14default_configENS1_20scan_config_selectorIfEEZZNS1_9scan_implILNS1_25lookback_scan_determinismE0ELb1ELb1ES3_N6thrust23THRUST_200600_302600_NS6detail15normal_iteratorINS9_10device_ptrIfEEEESE_f11max_functorIfEfEEDaPvRmT3_T4_T5_mT6_P12ihipStream_tbENKUlT_T0_E_clISt17integral_constantIbLb0EEST_IbLb1EEEEDaSP_SQ_EUlSP_E0_NS1_11comp_targetILNS1_3genE10ELNS1_11target_archE1200ELNS1_3gpuE4ELNS1_3repE0EEENS1_30default_config_static_selectorELNS0_4arch9wavefront6targetE1EEEvT1_,@function
_ZN7rocprim17ROCPRIM_400000_NS6detail17trampoline_kernelINS0_14default_configENS1_20scan_config_selectorIfEEZZNS1_9scan_implILNS1_25lookback_scan_determinismE0ELb1ELb1ES3_N6thrust23THRUST_200600_302600_NS6detail15normal_iteratorINS9_10device_ptrIfEEEESE_f11max_functorIfEfEEDaPvRmT3_T4_T5_mT6_P12ihipStream_tbENKUlT_T0_E_clISt17integral_constantIbLb0EEST_IbLb1EEEEDaSP_SQ_EUlSP_E0_NS1_11comp_targetILNS1_3genE10ELNS1_11target_archE1200ELNS1_3gpuE4ELNS1_3repE0EEENS1_30default_config_static_selectorELNS0_4arch9wavefront6targetE1EEEvT1_: ; @_ZN7rocprim17ROCPRIM_400000_NS6detail17trampoline_kernelINS0_14default_configENS1_20scan_config_selectorIfEEZZNS1_9scan_implILNS1_25lookback_scan_determinismE0ELb1ELb1ES3_N6thrust23THRUST_200600_302600_NS6detail15normal_iteratorINS9_10device_ptrIfEEEESE_f11max_functorIfEfEEDaPvRmT3_T4_T5_mT6_P12ihipStream_tbENKUlT_T0_E_clISt17integral_constantIbLb0EEST_IbLb1EEEEDaSP_SQ_EUlSP_E0_NS1_11comp_targetILNS1_3genE10ELNS1_11target_archE1200ELNS1_3gpuE4ELNS1_3repE0EEENS1_30default_config_static_selectorELNS0_4arch9wavefront6targetE1EEEvT1_
; %bb.0:
	.section	.rodata,"a",@progbits
	.p2align	6, 0x0
	.amdhsa_kernel _ZN7rocprim17ROCPRIM_400000_NS6detail17trampoline_kernelINS0_14default_configENS1_20scan_config_selectorIfEEZZNS1_9scan_implILNS1_25lookback_scan_determinismE0ELb1ELb1ES3_N6thrust23THRUST_200600_302600_NS6detail15normal_iteratorINS9_10device_ptrIfEEEESE_f11max_functorIfEfEEDaPvRmT3_T4_T5_mT6_P12ihipStream_tbENKUlT_T0_E_clISt17integral_constantIbLb0EEST_IbLb1EEEEDaSP_SQ_EUlSP_E0_NS1_11comp_targetILNS1_3genE10ELNS1_11target_archE1200ELNS1_3gpuE4ELNS1_3repE0EEENS1_30default_config_static_selectorELNS0_4arch9wavefront6targetE1EEEvT1_
		.amdhsa_group_segment_fixed_size 0
		.amdhsa_private_segment_fixed_size 0
		.amdhsa_kernarg_size 32
		.amdhsa_user_sgpr_count 6
		.amdhsa_user_sgpr_private_segment_buffer 1
		.amdhsa_user_sgpr_dispatch_ptr 0
		.amdhsa_user_sgpr_queue_ptr 0
		.amdhsa_user_sgpr_kernarg_segment_ptr 1
		.amdhsa_user_sgpr_dispatch_id 0
		.amdhsa_user_sgpr_flat_scratch_init 0
		.amdhsa_user_sgpr_kernarg_preload_length 0
		.amdhsa_user_sgpr_kernarg_preload_offset 0
		.amdhsa_user_sgpr_private_segment_size 0
		.amdhsa_uses_dynamic_stack 0
		.amdhsa_system_sgpr_private_segment_wavefront_offset 0
		.amdhsa_system_sgpr_workgroup_id_x 1
		.amdhsa_system_sgpr_workgroup_id_y 0
		.amdhsa_system_sgpr_workgroup_id_z 0
		.amdhsa_system_sgpr_workgroup_info 0
		.amdhsa_system_vgpr_workitem_id 0
		.amdhsa_next_free_vgpr 1
		.amdhsa_next_free_sgpr 0
		.amdhsa_accum_offset 4
		.amdhsa_reserve_vcc 0
		.amdhsa_reserve_flat_scratch 0
		.amdhsa_float_round_mode_32 0
		.amdhsa_float_round_mode_16_64 0
		.amdhsa_float_denorm_mode_32 3
		.amdhsa_float_denorm_mode_16_64 3
		.amdhsa_dx10_clamp 1
		.amdhsa_ieee_mode 1
		.amdhsa_fp16_overflow 0
		.amdhsa_tg_split 0
		.amdhsa_exception_fp_ieee_invalid_op 0
		.amdhsa_exception_fp_denorm_src 0
		.amdhsa_exception_fp_ieee_div_zero 0
		.amdhsa_exception_fp_ieee_overflow 0
		.amdhsa_exception_fp_ieee_underflow 0
		.amdhsa_exception_fp_ieee_inexact 0
		.amdhsa_exception_int_div_zero 0
	.end_amdhsa_kernel
	.section	.text._ZN7rocprim17ROCPRIM_400000_NS6detail17trampoline_kernelINS0_14default_configENS1_20scan_config_selectorIfEEZZNS1_9scan_implILNS1_25lookback_scan_determinismE0ELb1ELb1ES3_N6thrust23THRUST_200600_302600_NS6detail15normal_iteratorINS9_10device_ptrIfEEEESE_f11max_functorIfEfEEDaPvRmT3_T4_T5_mT6_P12ihipStream_tbENKUlT_T0_E_clISt17integral_constantIbLb0EEST_IbLb1EEEEDaSP_SQ_EUlSP_E0_NS1_11comp_targetILNS1_3genE10ELNS1_11target_archE1200ELNS1_3gpuE4ELNS1_3repE0EEENS1_30default_config_static_selectorELNS0_4arch9wavefront6targetE1EEEvT1_,"axG",@progbits,_ZN7rocprim17ROCPRIM_400000_NS6detail17trampoline_kernelINS0_14default_configENS1_20scan_config_selectorIfEEZZNS1_9scan_implILNS1_25lookback_scan_determinismE0ELb1ELb1ES3_N6thrust23THRUST_200600_302600_NS6detail15normal_iteratorINS9_10device_ptrIfEEEESE_f11max_functorIfEfEEDaPvRmT3_T4_T5_mT6_P12ihipStream_tbENKUlT_T0_E_clISt17integral_constantIbLb0EEST_IbLb1EEEEDaSP_SQ_EUlSP_E0_NS1_11comp_targetILNS1_3genE10ELNS1_11target_archE1200ELNS1_3gpuE4ELNS1_3repE0EEENS1_30default_config_static_selectorELNS0_4arch9wavefront6targetE1EEEvT1_,comdat
.Lfunc_end2084:
	.size	_ZN7rocprim17ROCPRIM_400000_NS6detail17trampoline_kernelINS0_14default_configENS1_20scan_config_selectorIfEEZZNS1_9scan_implILNS1_25lookback_scan_determinismE0ELb1ELb1ES3_N6thrust23THRUST_200600_302600_NS6detail15normal_iteratorINS9_10device_ptrIfEEEESE_f11max_functorIfEfEEDaPvRmT3_T4_T5_mT6_P12ihipStream_tbENKUlT_T0_E_clISt17integral_constantIbLb0EEST_IbLb1EEEEDaSP_SQ_EUlSP_E0_NS1_11comp_targetILNS1_3genE10ELNS1_11target_archE1200ELNS1_3gpuE4ELNS1_3repE0EEENS1_30default_config_static_selectorELNS0_4arch9wavefront6targetE1EEEvT1_, .Lfunc_end2084-_ZN7rocprim17ROCPRIM_400000_NS6detail17trampoline_kernelINS0_14default_configENS1_20scan_config_selectorIfEEZZNS1_9scan_implILNS1_25lookback_scan_determinismE0ELb1ELb1ES3_N6thrust23THRUST_200600_302600_NS6detail15normal_iteratorINS9_10device_ptrIfEEEESE_f11max_functorIfEfEEDaPvRmT3_T4_T5_mT6_P12ihipStream_tbENKUlT_T0_E_clISt17integral_constantIbLb0EEST_IbLb1EEEEDaSP_SQ_EUlSP_E0_NS1_11comp_targetILNS1_3genE10ELNS1_11target_archE1200ELNS1_3gpuE4ELNS1_3repE0EEENS1_30default_config_static_selectorELNS0_4arch9wavefront6targetE1EEEvT1_
                                        ; -- End function
	.section	.AMDGPU.csdata,"",@progbits
; Kernel info:
; codeLenInByte = 0
; NumSgprs: 4
; NumVgprs: 0
; NumAgprs: 0
; TotalNumVgprs: 0
; ScratchSize: 0
; MemoryBound: 0
; FloatMode: 240
; IeeeMode: 1
; LDSByteSize: 0 bytes/workgroup (compile time only)
; SGPRBlocks: 0
; VGPRBlocks: 0
; NumSGPRsForWavesPerEU: 4
; NumVGPRsForWavesPerEU: 1
; AccumOffset: 4
; Occupancy: 8
; WaveLimiterHint : 0
; COMPUTE_PGM_RSRC2:SCRATCH_EN: 0
; COMPUTE_PGM_RSRC2:USER_SGPR: 6
; COMPUTE_PGM_RSRC2:TRAP_HANDLER: 0
; COMPUTE_PGM_RSRC2:TGID_X_EN: 1
; COMPUTE_PGM_RSRC2:TGID_Y_EN: 0
; COMPUTE_PGM_RSRC2:TGID_Z_EN: 0
; COMPUTE_PGM_RSRC2:TIDIG_COMP_CNT: 0
; COMPUTE_PGM_RSRC3_GFX90A:ACCUM_OFFSET: 0
; COMPUTE_PGM_RSRC3_GFX90A:TG_SPLIT: 0
	.section	.text._ZN7rocprim17ROCPRIM_400000_NS6detail17trampoline_kernelINS0_14default_configENS1_20scan_config_selectorIfEEZZNS1_9scan_implILNS1_25lookback_scan_determinismE0ELb1ELb1ES3_N6thrust23THRUST_200600_302600_NS6detail15normal_iteratorINS9_10device_ptrIfEEEESE_f11max_functorIfEfEEDaPvRmT3_T4_T5_mT6_P12ihipStream_tbENKUlT_T0_E_clISt17integral_constantIbLb0EEST_IbLb1EEEEDaSP_SQ_EUlSP_E0_NS1_11comp_targetILNS1_3genE9ELNS1_11target_archE1100ELNS1_3gpuE3ELNS1_3repE0EEENS1_30default_config_static_selectorELNS0_4arch9wavefront6targetE1EEEvT1_,"axG",@progbits,_ZN7rocprim17ROCPRIM_400000_NS6detail17trampoline_kernelINS0_14default_configENS1_20scan_config_selectorIfEEZZNS1_9scan_implILNS1_25lookback_scan_determinismE0ELb1ELb1ES3_N6thrust23THRUST_200600_302600_NS6detail15normal_iteratorINS9_10device_ptrIfEEEESE_f11max_functorIfEfEEDaPvRmT3_T4_T5_mT6_P12ihipStream_tbENKUlT_T0_E_clISt17integral_constantIbLb0EEST_IbLb1EEEEDaSP_SQ_EUlSP_E0_NS1_11comp_targetILNS1_3genE9ELNS1_11target_archE1100ELNS1_3gpuE3ELNS1_3repE0EEENS1_30default_config_static_selectorELNS0_4arch9wavefront6targetE1EEEvT1_,comdat
	.protected	_ZN7rocprim17ROCPRIM_400000_NS6detail17trampoline_kernelINS0_14default_configENS1_20scan_config_selectorIfEEZZNS1_9scan_implILNS1_25lookback_scan_determinismE0ELb1ELb1ES3_N6thrust23THRUST_200600_302600_NS6detail15normal_iteratorINS9_10device_ptrIfEEEESE_f11max_functorIfEfEEDaPvRmT3_T4_T5_mT6_P12ihipStream_tbENKUlT_T0_E_clISt17integral_constantIbLb0EEST_IbLb1EEEEDaSP_SQ_EUlSP_E0_NS1_11comp_targetILNS1_3genE9ELNS1_11target_archE1100ELNS1_3gpuE3ELNS1_3repE0EEENS1_30default_config_static_selectorELNS0_4arch9wavefront6targetE1EEEvT1_ ; -- Begin function _ZN7rocprim17ROCPRIM_400000_NS6detail17trampoline_kernelINS0_14default_configENS1_20scan_config_selectorIfEEZZNS1_9scan_implILNS1_25lookback_scan_determinismE0ELb1ELb1ES3_N6thrust23THRUST_200600_302600_NS6detail15normal_iteratorINS9_10device_ptrIfEEEESE_f11max_functorIfEfEEDaPvRmT3_T4_T5_mT6_P12ihipStream_tbENKUlT_T0_E_clISt17integral_constantIbLb0EEST_IbLb1EEEEDaSP_SQ_EUlSP_E0_NS1_11comp_targetILNS1_3genE9ELNS1_11target_archE1100ELNS1_3gpuE3ELNS1_3repE0EEENS1_30default_config_static_selectorELNS0_4arch9wavefront6targetE1EEEvT1_
	.globl	_ZN7rocprim17ROCPRIM_400000_NS6detail17trampoline_kernelINS0_14default_configENS1_20scan_config_selectorIfEEZZNS1_9scan_implILNS1_25lookback_scan_determinismE0ELb1ELb1ES3_N6thrust23THRUST_200600_302600_NS6detail15normal_iteratorINS9_10device_ptrIfEEEESE_f11max_functorIfEfEEDaPvRmT3_T4_T5_mT6_P12ihipStream_tbENKUlT_T0_E_clISt17integral_constantIbLb0EEST_IbLb1EEEEDaSP_SQ_EUlSP_E0_NS1_11comp_targetILNS1_3genE9ELNS1_11target_archE1100ELNS1_3gpuE3ELNS1_3repE0EEENS1_30default_config_static_selectorELNS0_4arch9wavefront6targetE1EEEvT1_
	.p2align	8
	.type	_ZN7rocprim17ROCPRIM_400000_NS6detail17trampoline_kernelINS0_14default_configENS1_20scan_config_selectorIfEEZZNS1_9scan_implILNS1_25lookback_scan_determinismE0ELb1ELb1ES3_N6thrust23THRUST_200600_302600_NS6detail15normal_iteratorINS9_10device_ptrIfEEEESE_f11max_functorIfEfEEDaPvRmT3_T4_T5_mT6_P12ihipStream_tbENKUlT_T0_E_clISt17integral_constantIbLb0EEST_IbLb1EEEEDaSP_SQ_EUlSP_E0_NS1_11comp_targetILNS1_3genE9ELNS1_11target_archE1100ELNS1_3gpuE3ELNS1_3repE0EEENS1_30default_config_static_selectorELNS0_4arch9wavefront6targetE1EEEvT1_,@function
_ZN7rocprim17ROCPRIM_400000_NS6detail17trampoline_kernelINS0_14default_configENS1_20scan_config_selectorIfEEZZNS1_9scan_implILNS1_25lookback_scan_determinismE0ELb1ELb1ES3_N6thrust23THRUST_200600_302600_NS6detail15normal_iteratorINS9_10device_ptrIfEEEESE_f11max_functorIfEfEEDaPvRmT3_T4_T5_mT6_P12ihipStream_tbENKUlT_T0_E_clISt17integral_constantIbLb0EEST_IbLb1EEEEDaSP_SQ_EUlSP_E0_NS1_11comp_targetILNS1_3genE9ELNS1_11target_archE1100ELNS1_3gpuE3ELNS1_3repE0EEENS1_30default_config_static_selectorELNS0_4arch9wavefront6targetE1EEEvT1_: ; @_ZN7rocprim17ROCPRIM_400000_NS6detail17trampoline_kernelINS0_14default_configENS1_20scan_config_selectorIfEEZZNS1_9scan_implILNS1_25lookback_scan_determinismE0ELb1ELb1ES3_N6thrust23THRUST_200600_302600_NS6detail15normal_iteratorINS9_10device_ptrIfEEEESE_f11max_functorIfEfEEDaPvRmT3_T4_T5_mT6_P12ihipStream_tbENKUlT_T0_E_clISt17integral_constantIbLb0EEST_IbLb1EEEEDaSP_SQ_EUlSP_E0_NS1_11comp_targetILNS1_3genE9ELNS1_11target_archE1100ELNS1_3gpuE3ELNS1_3repE0EEENS1_30default_config_static_selectorELNS0_4arch9wavefront6targetE1EEEvT1_
; %bb.0:
	.section	.rodata,"a",@progbits
	.p2align	6, 0x0
	.amdhsa_kernel _ZN7rocprim17ROCPRIM_400000_NS6detail17trampoline_kernelINS0_14default_configENS1_20scan_config_selectorIfEEZZNS1_9scan_implILNS1_25lookback_scan_determinismE0ELb1ELb1ES3_N6thrust23THRUST_200600_302600_NS6detail15normal_iteratorINS9_10device_ptrIfEEEESE_f11max_functorIfEfEEDaPvRmT3_T4_T5_mT6_P12ihipStream_tbENKUlT_T0_E_clISt17integral_constantIbLb0EEST_IbLb1EEEEDaSP_SQ_EUlSP_E0_NS1_11comp_targetILNS1_3genE9ELNS1_11target_archE1100ELNS1_3gpuE3ELNS1_3repE0EEENS1_30default_config_static_selectorELNS0_4arch9wavefront6targetE1EEEvT1_
		.amdhsa_group_segment_fixed_size 0
		.amdhsa_private_segment_fixed_size 0
		.amdhsa_kernarg_size 32
		.amdhsa_user_sgpr_count 6
		.amdhsa_user_sgpr_private_segment_buffer 1
		.amdhsa_user_sgpr_dispatch_ptr 0
		.amdhsa_user_sgpr_queue_ptr 0
		.amdhsa_user_sgpr_kernarg_segment_ptr 1
		.amdhsa_user_sgpr_dispatch_id 0
		.amdhsa_user_sgpr_flat_scratch_init 0
		.amdhsa_user_sgpr_kernarg_preload_length 0
		.amdhsa_user_sgpr_kernarg_preload_offset 0
		.amdhsa_user_sgpr_private_segment_size 0
		.amdhsa_uses_dynamic_stack 0
		.amdhsa_system_sgpr_private_segment_wavefront_offset 0
		.amdhsa_system_sgpr_workgroup_id_x 1
		.amdhsa_system_sgpr_workgroup_id_y 0
		.amdhsa_system_sgpr_workgroup_id_z 0
		.amdhsa_system_sgpr_workgroup_info 0
		.amdhsa_system_vgpr_workitem_id 0
		.amdhsa_next_free_vgpr 1
		.amdhsa_next_free_sgpr 0
		.amdhsa_accum_offset 4
		.amdhsa_reserve_vcc 0
		.amdhsa_reserve_flat_scratch 0
		.amdhsa_float_round_mode_32 0
		.amdhsa_float_round_mode_16_64 0
		.amdhsa_float_denorm_mode_32 3
		.amdhsa_float_denorm_mode_16_64 3
		.amdhsa_dx10_clamp 1
		.amdhsa_ieee_mode 1
		.amdhsa_fp16_overflow 0
		.amdhsa_tg_split 0
		.amdhsa_exception_fp_ieee_invalid_op 0
		.amdhsa_exception_fp_denorm_src 0
		.amdhsa_exception_fp_ieee_div_zero 0
		.amdhsa_exception_fp_ieee_overflow 0
		.amdhsa_exception_fp_ieee_underflow 0
		.amdhsa_exception_fp_ieee_inexact 0
		.amdhsa_exception_int_div_zero 0
	.end_amdhsa_kernel
	.section	.text._ZN7rocprim17ROCPRIM_400000_NS6detail17trampoline_kernelINS0_14default_configENS1_20scan_config_selectorIfEEZZNS1_9scan_implILNS1_25lookback_scan_determinismE0ELb1ELb1ES3_N6thrust23THRUST_200600_302600_NS6detail15normal_iteratorINS9_10device_ptrIfEEEESE_f11max_functorIfEfEEDaPvRmT3_T4_T5_mT6_P12ihipStream_tbENKUlT_T0_E_clISt17integral_constantIbLb0EEST_IbLb1EEEEDaSP_SQ_EUlSP_E0_NS1_11comp_targetILNS1_3genE9ELNS1_11target_archE1100ELNS1_3gpuE3ELNS1_3repE0EEENS1_30default_config_static_selectorELNS0_4arch9wavefront6targetE1EEEvT1_,"axG",@progbits,_ZN7rocprim17ROCPRIM_400000_NS6detail17trampoline_kernelINS0_14default_configENS1_20scan_config_selectorIfEEZZNS1_9scan_implILNS1_25lookback_scan_determinismE0ELb1ELb1ES3_N6thrust23THRUST_200600_302600_NS6detail15normal_iteratorINS9_10device_ptrIfEEEESE_f11max_functorIfEfEEDaPvRmT3_T4_T5_mT6_P12ihipStream_tbENKUlT_T0_E_clISt17integral_constantIbLb0EEST_IbLb1EEEEDaSP_SQ_EUlSP_E0_NS1_11comp_targetILNS1_3genE9ELNS1_11target_archE1100ELNS1_3gpuE3ELNS1_3repE0EEENS1_30default_config_static_selectorELNS0_4arch9wavefront6targetE1EEEvT1_,comdat
.Lfunc_end2085:
	.size	_ZN7rocprim17ROCPRIM_400000_NS6detail17trampoline_kernelINS0_14default_configENS1_20scan_config_selectorIfEEZZNS1_9scan_implILNS1_25lookback_scan_determinismE0ELb1ELb1ES3_N6thrust23THRUST_200600_302600_NS6detail15normal_iteratorINS9_10device_ptrIfEEEESE_f11max_functorIfEfEEDaPvRmT3_T4_T5_mT6_P12ihipStream_tbENKUlT_T0_E_clISt17integral_constantIbLb0EEST_IbLb1EEEEDaSP_SQ_EUlSP_E0_NS1_11comp_targetILNS1_3genE9ELNS1_11target_archE1100ELNS1_3gpuE3ELNS1_3repE0EEENS1_30default_config_static_selectorELNS0_4arch9wavefront6targetE1EEEvT1_, .Lfunc_end2085-_ZN7rocprim17ROCPRIM_400000_NS6detail17trampoline_kernelINS0_14default_configENS1_20scan_config_selectorIfEEZZNS1_9scan_implILNS1_25lookback_scan_determinismE0ELb1ELb1ES3_N6thrust23THRUST_200600_302600_NS6detail15normal_iteratorINS9_10device_ptrIfEEEESE_f11max_functorIfEfEEDaPvRmT3_T4_T5_mT6_P12ihipStream_tbENKUlT_T0_E_clISt17integral_constantIbLb0EEST_IbLb1EEEEDaSP_SQ_EUlSP_E0_NS1_11comp_targetILNS1_3genE9ELNS1_11target_archE1100ELNS1_3gpuE3ELNS1_3repE0EEENS1_30default_config_static_selectorELNS0_4arch9wavefront6targetE1EEEvT1_
                                        ; -- End function
	.section	.AMDGPU.csdata,"",@progbits
; Kernel info:
; codeLenInByte = 0
; NumSgprs: 4
; NumVgprs: 0
; NumAgprs: 0
; TotalNumVgprs: 0
; ScratchSize: 0
; MemoryBound: 0
; FloatMode: 240
; IeeeMode: 1
; LDSByteSize: 0 bytes/workgroup (compile time only)
; SGPRBlocks: 0
; VGPRBlocks: 0
; NumSGPRsForWavesPerEU: 4
; NumVGPRsForWavesPerEU: 1
; AccumOffset: 4
; Occupancy: 8
; WaveLimiterHint : 0
; COMPUTE_PGM_RSRC2:SCRATCH_EN: 0
; COMPUTE_PGM_RSRC2:USER_SGPR: 6
; COMPUTE_PGM_RSRC2:TRAP_HANDLER: 0
; COMPUTE_PGM_RSRC2:TGID_X_EN: 1
; COMPUTE_PGM_RSRC2:TGID_Y_EN: 0
; COMPUTE_PGM_RSRC2:TGID_Z_EN: 0
; COMPUTE_PGM_RSRC2:TIDIG_COMP_CNT: 0
; COMPUTE_PGM_RSRC3_GFX90A:ACCUM_OFFSET: 0
; COMPUTE_PGM_RSRC3_GFX90A:TG_SPLIT: 0
	.section	.text._ZN7rocprim17ROCPRIM_400000_NS6detail17trampoline_kernelINS0_14default_configENS1_20scan_config_selectorIfEEZZNS1_9scan_implILNS1_25lookback_scan_determinismE0ELb1ELb1ES3_N6thrust23THRUST_200600_302600_NS6detail15normal_iteratorINS9_10device_ptrIfEEEESE_f11max_functorIfEfEEDaPvRmT3_T4_T5_mT6_P12ihipStream_tbENKUlT_T0_E_clISt17integral_constantIbLb0EEST_IbLb1EEEEDaSP_SQ_EUlSP_E0_NS1_11comp_targetILNS1_3genE8ELNS1_11target_archE1030ELNS1_3gpuE2ELNS1_3repE0EEENS1_30default_config_static_selectorELNS0_4arch9wavefront6targetE1EEEvT1_,"axG",@progbits,_ZN7rocprim17ROCPRIM_400000_NS6detail17trampoline_kernelINS0_14default_configENS1_20scan_config_selectorIfEEZZNS1_9scan_implILNS1_25lookback_scan_determinismE0ELb1ELb1ES3_N6thrust23THRUST_200600_302600_NS6detail15normal_iteratorINS9_10device_ptrIfEEEESE_f11max_functorIfEfEEDaPvRmT3_T4_T5_mT6_P12ihipStream_tbENKUlT_T0_E_clISt17integral_constantIbLb0EEST_IbLb1EEEEDaSP_SQ_EUlSP_E0_NS1_11comp_targetILNS1_3genE8ELNS1_11target_archE1030ELNS1_3gpuE2ELNS1_3repE0EEENS1_30default_config_static_selectorELNS0_4arch9wavefront6targetE1EEEvT1_,comdat
	.protected	_ZN7rocprim17ROCPRIM_400000_NS6detail17trampoline_kernelINS0_14default_configENS1_20scan_config_selectorIfEEZZNS1_9scan_implILNS1_25lookback_scan_determinismE0ELb1ELb1ES3_N6thrust23THRUST_200600_302600_NS6detail15normal_iteratorINS9_10device_ptrIfEEEESE_f11max_functorIfEfEEDaPvRmT3_T4_T5_mT6_P12ihipStream_tbENKUlT_T0_E_clISt17integral_constantIbLb0EEST_IbLb1EEEEDaSP_SQ_EUlSP_E0_NS1_11comp_targetILNS1_3genE8ELNS1_11target_archE1030ELNS1_3gpuE2ELNS1_3repE0EEENS1_30default_config_static_selectorELNS0_4arch9wavefront6targetE1EEEvT1_ ; -- Begin function _ZN7rocprim17ROCPRIM_400000_NS6detail17trampoline_kernelINS0_14default_configENS1_20scan_config_selectorIfEEZZNS1_9scan_implILNS1_25lookback_scan_determinismE0ELb1ELb1ES3_N6thrust23THRUST_200600_302600_NS6detail15normal_iteratorINS9_10device_ptrIfEEEESE_f11max_functorIfEfEEDaPvRmT3_T4_T5_mT6_P12ihipStream_tbENKUlT_T0_E_clISt17integral_constantIbLb0EEST_IbLb1EEEEDaSP_SQ_EUlSP_E0_NS1_11comp_targetILNS1_3genE8ELNS1_11target_archE1030ELNS1_3gpuE2ELNS1_3repE0EEENS1_30default_config_static_selectorELNS0_4arch9wavefront6targetE1EEEvT1_
	.globl	_ZN7rocprim17ROCPRIM_400000_NS6detail17trampoline_kernelINS0_14default_configENS1_20scan_config_selectorIfEEZZNS1_9scan_implILNS1_25lookback_scan_determinismE0ELb1ELb1ES3_N6thrust23THRUST_200600_302600_NS6detail15normal_iteratorINS9_10device_ptrIfEEEESE_f11max_functorIfEfEEDaPvRmT3_T4_T5_mT6_P12ihipStream_tbENKUlT_T0_E_clISt17integral_constantIbLb0EEST_IbLb1EEEEDaSP_SQ_EUlSP_E0_NS1_11comp_targetILNS1_3genE8ELNS1_11target_archE1030ELNS1_3gpuE2ELNS1_3repE0EEENS1_30default_config_static_selectorELNS0_4arch9wavefront6targetE1EEEvT1_
	.p2align	8
	.type	_ZN7rocprim17ROCPRIM_400000_NS6detail17trampoline_kernelINS0_14default_configENS1_20scan_config_selectorIfEEZZNS1_9scan_implILNS1_25lookback_scan_determinismE0ELb1ELb1ES3_N6thrust23THRUST_200600_302600_NS6detail15normal_iteratorINS9_10device_ptrIfEEEESE_f11max_functorIfEfEEDaPvRmT3_T4_T5_mT6_P12ihipStream_tbENKUlT_T0_E_clISt17integral_constantIbLb0EEST_IbLb1EEEEDaSP_SQ_EUlSP_E0_NS1_11comp_targetILNS1_3genE8ELNS1_11target_archE1030ELNS1_3gpuE2ELNS1_3repE0EEENS1_30default_config_static_selectorELNS0_4arch9wavefront6targetE1EEEvT1_,@function
_ZN7rocprim17ROCPRIM_400000_NS6detail17trampoline_kernelINS0_14default_configENS1_20scan_config_selectorIfEEZZNS1_9scan_implILNS1_25lookback_scan_determinismE0ELb1ELb1ES3_N6thrust23THRUST_200600_302600_NS6detail15normal_iteratorINS9_10device_ptrIfEEEESE_f11max_functorIfEfEEDaPvRmT3_T4_T5_mT6_P12ihipStream_tbENKUlT_T0_E_clISt17integral_constantIbLb0EEST_IbLb1EEEEDaSP_SQ_EUlSP_E0_NS1_11comp_targetILNS1_3genE8ELNS1_11target_archE1030ELNS1_3gpuE2ELNS1_3repE0EEENS1_30default_config_static_selectorELNS0_4arch9wavefront6targetE1EEEvT1_: ; @_ZN7rocprim17ROCPRIM_400000_NS6detail17trampoline_kernelINS0_14default_configENS1_20scan_config_selectorIfEEZZNS1_9scan_implILNS1_25lookback_scan_determinismE0ELb1ELb1ES3_N6thrust23THRUST_200600_302600_NS6detail15normal_iteratorINS9_10device_ptrIfEEEESE_f11max_functorIfEfEEDaPvRmT3_T4_T5_mT6_P12ihipStream_tbENKUlT_T0_E_clISt17integral_constantIbLb0EEST_IbLb1EEEEDaSP_SQ_EUlSP_E0_NS1_11comp_targetILNS1_3genE8ELNS1_11target_archE1030ELNS1_3gpuE2ELNS1_3repE0EEENS1_30default_config_static_selectorELNS0_4arch9wavefront6targetE1EEEvT1_
; %bb.0:
	.section	.rodata,"a",@progbits
	.p2align	6, 0x0
	.amdhsa_kernel _ZN7rocprim17ROCPRIM_400000_NS6detail17trampoline_kernelINS0_14default_configENS1_20scan_config_selectorIfEEZZNS1_9scan_implILNS1_25lookback_scan_determinismE0ELb1ELb1ES3_N6thrust23THRUST_200600_302600_NS6detail15normal_iteratorINS9_10device_ptrIfEEEESE_f11max_functorIfEfEEDaPvRmT3_T4_T5_mT6_P12ihipStream_tbENKUlT_T0_E_clISt17integral_constantIbLb0EEST_IbLb1EEEEDaSP_SQ_EUlSP_E0_NS1_11comp_targetILNS1_3genE8ELNS1_11target_archE1030ELNS1_3gpuE2ELNS1_3repE0EEENS1_30default_config_static_selectorELNS0_4arch9wavefront6targetE1EEEvT1_
		.amdhsa_group_segment_fixed_size 0
		.amdhsa_private_segment_fixed_size 0
		.amdhsa_kernarg_size 32
		.amdhsa_user_sgpr_count 6
		.amdhsa_user_sgpr_private_segment_buffer 1
		.amdhsa_user_sgpr_dispatch_ptr 0
		.amdhsa_user_sgpr_queue_ptr 0
		.amdhsa_user_sgpr_kernarg_segment_ptr 1
		.amdhsa_user_sgpr_dispatch_id 0
		.amdhsa_user_sgpr_flat_scratch_init 0
		.amdhsa_user_sgpr_kernarg_preload_length 0
		.amdhsa_user_sgpr_kernarg_preload_offset 0
		.amdhsa_user_sgpr_private_segment_size 0
		.amdhsa_uses_dynamic_stack 0
		.amdhsa_system_sgpr_private_segment_wavefront_offset 0
		.amdhsa_system_sgpr_workgroup_id_x 1
		.amdhsa_system_sgpr_workgroup_id_y 0
		.amdhsa_system_sgpr_workgroup_id_z 0
		.amdhsa_system_sgpr_workgroup_info 0
		.amdhsa_system_vgpr_workitem_id 0
		.amdhsa_next_free_vgpr 1
		.amdhsa_next_free_sgpr 0
		.amdhsa_accum_offset 4
		.amdhsa_reserve_vcc 0
		.amdhsa_reserve_flat_scratch 0
		.amdhsa_float_round_mode_32 0
		.amdhsa_float_round_mode_16_64 0
		.amdhsa_float_denorm_mode_32 3
		.amdhsa_float_denorm_mode_16_64 3
		.amdhsa_dx10_clamp 1
		.amdhsa_ieee_mode 1
		.amdhsa_fp16_overflow 0
		.amdhsa_tg_split 0
		.amdhsa_exception_fp_ieee_invalid_op 0
		.amdhsa_exception_fp_denorm_src 0
		.amdhsa_exception_fp_ieee_div_zero 0
		.amdhsa_exception_fp_ieee_overflow 0
		.amdhsa_exception_fp_ieee_underflow 0
		.amdhsa_exception_fp_ieee_inexact 0
		.amdhsa_exception_int_div_zero 0
	.end_amdhsa_kernel
	.section	.text._ZN7rocprim17ROCPRIM_400000_NS6detail17trampoline_kernelINS0_14default_configENS1_20scan_config_selectorIfEEZZNS1_9scan_implILNS1_25lookback_scan_determinismE0ELb1ELb1ES3_N6thrust23THRUST_200600_302600_NS6detail15normal_iteratorINS9_10device_ptrIfEEEESE_f11max_functorIfEfEEDaPvRmT3_T4_T5_mT6_P12ihipStream_tbENKUlT_T0_E_clISt17integral_constantIbLb0EEST_IbLb1EEEEDaSP_SQ_EUlSP_E0_NS1_11comp_targetILNS1_3genE8ELNS1_11target_archE1030ELNS1_3gpuE2ELNS1_3repE0EEENS1_30default_config_static_selectorELNS0_4arch9wavefront6targetE1EEEvT1_,"axG",@progbits,_ZN7rocprim17ROCPRIM_400000_NS6detail17trampoline_kernelINS0_14default_configENS1_20scan_config_selectorIfEEZZNS1_9scan_implILNS1_25lookback_scan_determinismE0ELb1ELb1ES3_N6thrust23THRUST_200600_302600_NS6detail15normal_iteratorINS9_10device_ptrIfEEEESE_f11max_functorIfEfEEDaPvRmT3_T4_T5_mT6_P12ihipStream_tbENKUlT_T0_E_clISt17integral_constantIbLb0EEST_IbLb1EEEEDaSP_SQ_EUlSP_E0_NS1_11comp_targetILNS1_3genE8ELNS1_11target_archE1030ELNS1_3gpuE2ELNS1_3repE0EEENS1_30default_config_static_selectorELNS0_4arch9wavefront6targetE1EEEvT1_,comdat
.Lfunc_end2086:
	.size	_ZN7rocprim17ROCPRIM_400000_NS6detail17trampoline_kernelINS0_14default_configENS1_20scan_config_selectorIfEEZZNS1_9scan_implILNS1_25lookback_scan_determinismE0ELb1ELb1ES3_N6thrust23THRUST_200600_302600_NS6detail15normal_iteratorINS9_10device_ptrIfEEEESE_f11max_functorIfEfEEDaPvRmT3_T4_T5_mT6_P12ihipStream_tbENKUlT_T0_E_clISt17integral_constantIbLb0EEST_IbLb1EEEEDaSP_SQ_EUlSP_E0_NS1_11comp_targetILNS1_3genE8ELNS1_11target_archE1030ELNS1_3gpuE2ELNS1_3repE0EEENS1_30default_config_static_selectorELNS0_4arch9wavefront6targetE1EEEvT1_, .Lfunc_end2086-_ZN7rocprim17ROCPRIM_400000_NS6detail17trampoline_kernelINS0_14default_configENS1_20scan_config_selectorIfEEZZNS1_9scan_implILNS1_25lookback_scan_determinismE0ELb1ELb1ES3_N6thrust23THRUST_200600_302600_NS6detail15normal_iteratorINS9_10device_ptrIfEEEESE_f11max_functorIfEfEEDaPvRmT3_T4_T5_mT6_P12ihipStream_tbENKUlT_T0_E_clISt17integral_constantIbLb0EEST_IbLb1EEEEDaSP_SQ_EUlSP_E0_NS1_11comp_targetILNS1_3genE8ELNS1_11target_archE1030ELNS1_3gpuE2ELNS1_3repE0EEENS1_30default_config_static_selectorELNS0_4arch9wavefront6targetE1EEEvT1_
                                        ; -- End function
	.section	.AMDGPU.csdata,"",@progbits
; Kernel info:
; codeLenInByte = 0
; NumSgprs: 4
; NumVgprs: 0
; NumAgprs: 0
; TotalNumVgprs: 0
; ScratchSize: 0
; MemoryBound: 0
; FloatMode: 240
; IeeeMode: 1
; LDSByteSize: 0 bytes/workgroup (compile time only)
; SGPRBlocks: 0
; VGPRBlocks: 0
; NumSGPRsForWavesPerEU: 4
; NumVGPRsForWavesPerEU: 1
; AccumOffset: 4
; Occupancy: 8
; WaveLimiterHint : 0
; COMPUTE_PGM_RSRC2:SCRATCH_EN: 0
; COMPUTE_PGM_RSRC2:USER_SGPR: 6
; COMPUTE_PGM_RSRC2:TRAP_HANDLER: 0
; COMPUTE_PGM_RSRC2:TGID_X_EN: 1
; COMPUTE_PGM_RSRC2:TGID_Y_EN: 0
; COMPUTE_PGM_RSRC2:TGID_Z_EN: 0
; COMPUTE_PGM_RSRC2:TIDIG_COMP_CNT: 0
; COMPUTE_PGM_RSRC3_GFX90A:ACCUM_OFFSET: 0
; COMPUTE_PGM_RSRC3_GFX90A:TG_SPLIT: 0
	.section	.text._ZN6thrust23THRUST_200600_302600_NS11hip_rocprim14__parallel_for6kernelILj256ENS1_20__uninitialized_fill7functorINS0_10device_ptrIyEEyEEmLj1EEEvT0_T1_SA_,"axG",@progbits,_ZN6thrust23THRUST_200600_302600_NS11hip_rocprim14__parallel_for6kernelILj256ENS1_20__uninitialized_fill7functorINS0_10device_ptrIyEEyEEmLj1EEEvT0_T1_SA_,comdat
	.protected	_ZN6thrust23THRUST_200600_302600_NS11hip_rocprim14__parallel_for6kernelILj256ENS1_20__uninitialized_fill7functorINS0_10device_ptrIyEEyEEmLj1EEEvT0_T1_SA_ ; -- Begin function _ZN6thrust23THRUST_200600_302600_NS11hip_rocprim14__parallel_for6kernelILj256ENS1_20__uninitialized_fill7functorINS0_10device_ptrIyEEyEEmLj1EEEvT0_T1_SA_
	.globl	_ZN6thrust23THRUST_200600_302600_NS11hip_rocprim14__parallel_for6kernelILj256ENS1_20__uninitialized_fill7functorINS0_10device_ptrIyEEyEEmLj1EEEvT0_T1_SA_
	.p2align	8
	.type	_ZN6thrust23THRUST_200600_302600_NS11hip_rocprim14__parallel_for6kernelILj256ENS1_20__uninitialized_fill7functorINS0_10device_ptrIyEEyEEmLj1EEEvT0_T1_SA_,@function
_ZN6thrust23THRUST_200600_302600_NS11hip_rocprim14__parallel_for6kernelILj256ENS1_20__uninitialized_fill7functorINS0_10device_ptrIyEEyEEmLj1EEEvT0_T1_SA_: ; @_ZN6thrust23THRUST_200600_302600_NS11hip_rocprim14__parallel_for6kernelILj256ENS1_20__uninitialized_fill7functorINS0_10device_ptrIyEEyEEmLj1EEEvT0_T1_SA_
; %bb.0:
	s_load_dwordx8 s[8:15], s[4:5], 0x0
	s_lshl_b32 s0, s6, 8
	v_mov_b32_e32 v2, 0x100
	v_mov_b32_e32 v3, 0
	s_waitcnt lgkmcnt(0)
	s_add_u32 s0, s0, s14
	s_addc_u32 s1, 0, s15
	s_sub_u32 s2, s12, s0
	s_subb_u32 s3, s13, s1
	v_cmp_lt_u64_e32 vcc, s[2:3], v[2:3]
	s_cbranch_vccz .LBB2087_2
; %bb.1:
	v_cmp_gt_u32_e32 vcc, s2, v0
	s_and_b64 s[2:3], vcc, exec
	s_cbranch_execz .LBB2087_3
	s_branch .LBB2087_4
.LBB2087_2:
	s_mov_b64 s[2:3], 0
.LBB2087_3:
	s_or_b64 s[2:3], s[2:3], exec
.LBB2087_4:
	s_and_saveexec_b64 s[4:5], s[2:3]
	s_cbranch_execnz .LBB2087_6
; %bb.5:
	s_endpgm
.LBB2087_6:
	s_lshl_b64 s[0:1], s[0:1], 3
	v_mov_b32_e32 v1, 0
	s_add_u32 s0, s8, s0
	s_addc_u32 s1, s9, s1
	v_lshlrev_b64 v[0:1], 3, v[0:1]
	v_mov_b32_e32 v4, s1
	v_add_co_u32_e32 v0, vcc, s0, v0
	v_mov_b32_e32 v2, s10
	v_mov_b32_e32 v3, s11
	v_addc_co_u32_e32 v1, vcc, v4, v1, vcc
	flat_store_dwordx2 v[0:1], v[2:3]
	s_endpgm
	.section	.rodata,"a",@progbits
	.p2align	6, 0x0
	.amdhsa_kernel _ZN6thrust23THRUST_200600_302600_NS11hip_rocprim14__parallel_for6kernelILj256ENS1_20__uninitialized_fill7functorINS0_10device_ptrIyEEyEEmLj1EEEvT0_T1_SA_
		.amdhsa_group_segment_fixed_size 0
		.amdhsa_private_segment_fixed_size 0
		.amdhsa_kernarg_size 32
		.amdhsa_user_sgpr_count 6
		.amdhsa_user_sgpr_private_segment_buffer 1
		.amdhsa_user_sgpr_dispatch_ptr 0
		.amdhsa_user_sgpr_queue_ptr 0
		.amdhsa_user_sgpr_kernarg_segment_ptr 1
		.amdhsa_user_sgpr_dispatch_id 0
		.amdhsa_user_sgpr_flat_scratch_init 0
		.amdhsa_user_sgpr_kernarg_preload_length 0
		.amdhsa_user_sgpr_kernarg_preload_offset 0
		.amdhsa_user_sgpr_private_segment_size 0
		.amdhsa_uses_dynamic_stack 0
		.amdhsa_system_sgpr_private_segment_wavefront_offset 0
		.amdhsa_system_sgpr_workgroup_id_x 1
		.amdhsa_system_sgpr_workgroup_id_y 0
		.amdhsa_system_sgpr_workgroup_id_z 0
		.amdhsa_system_sgpr_workgroup_info 0
		.amdhsa_system_vgpr_workitem_id 0
		.amdhsa_next_free_vgpr 5
		.amdhsa_next_free_sgpr 16
		.amdhsa_accum_offset 8
		.amdhsa_reserve_vcc 1
		.amdhsa_reserve_flat_scratch 0
		.amdhsa_float_round_mode_32 0
		.amdhsa_float_round_mode_16_64 0
		.amdhsa_float_denorm_mode_32 3
		.amdhsa_float_denorm_mode_16_64 3
		.amdhsa_dx10_clamp 1
		.amdhsa_ieee_mode 1
		.amdhsa_fp16_overflow 0
		.amdhsa_tg_split 0
		.amdhsa_exception_fp_ieee_invalid_op 0
		.amdhsa_exception_fp_denorm_src 0
		.amdhsa_exception_fp_ieee_div_zero 0
		.amdhsa_exception_fp_ieee_overflow 0
		.amdhsa_exception_fp_ieee_underflow 0
		.amdhsa_exception_fp_ieee_inexact 0
		.amdhsa_exception_int_div_zero 0
	.end_amdhsa_kernel
	.section	.text._ZN6thrust23THRUST_200600_302600_NS11hip_rocprim14__parallel_for6kernelILj256ENS1_20__uninitialized_fill7functorINS0_10device_ptrIyEEyEEmLj1EEEvT0_T1_SA_,"axG",@progbits,_ZN6thrust23THRUST_200600_302600_NS11hip_rocprim14__parallel_for6kernelILj256ENS1_20__uninitialized_fill7functorINS0_10device_ptrIyEEyEEmLj1EEEvT0_T1_SA_,comdat
.Lfunc_end2087:
	.size	_ZN6thrust23THRUST_200600_302600_NS11hip_rocprim14__parallel_for6kernelILj256ENS1_20__uninitialized_fill7functorINS0_10device_ptrIyEEyEEmLj1EEEvT0_T1_SA_, .Lfunc_end2087-_ZN6thrust23THRUST_200600_302600_NS11hip_rocprim14__parallel_for6kernelILj256ENS1_20__uninitialized_fill7functorINS0_10device_ptrIyEEyEEmLj1EEEvT0_T1_SA_
                                        ; -- End function
	.section	.AMDGPU.csdata,"",@progbits
; Kernel info:
; codeLenInByte = 144
; NumSgprs: 20
; NumVgprs: 5
; NumAgprs: 0
; TotalNumVgprs: 5
; ScratchSize: 0
; MemoryBound: 0
; FloatMode: 240
; IeeeMode: 1
; LDSByteSize: 0 bytes/workgroup (compile time only)
; SGPRBlocks: 2
; VGPRBlocks: 0
; NumSGPRsForWavesPerEU: 20
; NumVGPRsForWavesPerEU: 5
; AccumOffset: 8
; Occupancy: 8
; WaveLimiterHint : 0
; COMPUTE_PGM_RSRC2:SCRATCH_EN: 0
; COMPUTE_PGM_RSRC2:USER_SGPR: 6
; COMPUTE_PGM_RSRC2:TRAP_HANDLER: 0
; COMPUTE_PGM_RSRC2:TGID_X_EN: 1
; COMPUTE_PGM_RSRC2:TGID_Y_EN: 0
; COMPUTE_PGM_RSRC2:TGID_Z_EN: 0
; COMPUTE_PGM_RSRC2:TIDIG_COMP_CNT: 0
; COMPUTE_PGM_RSRC3_GFX90A:ACCUM_OFFSET: 1
; COMPUTE_PGM_RSRC3_GFX90A:TG_SPLIT: 0
	.section	.text._ZN7rocprim17ROCPRIM_400000_NS6detail31init_lookback_scan_state_kernelINS1_19lookback_scan_stateIyLb0ELb1EEENS1_16block_id_wrapperIjLb0EEEEEvT_jT0_jPNS7_10value_typeE,"axG",@progbits,_ZN7rocprim17ROCPRIM_400000_NS6detail31init_lookback_scan_state_kernelINS1_19lookback_scan_stateIyLb0ELb1EEENS1_16block_id_wrapperIjLb0EEEEEvT_jT0_jPNS7_10value_typeE,comdat
	.protected	_ZN7rocprim17ROCPRIM_400000_NS6detail31init_lookback_scan_state_kernelINS1_19lookback_scan_stateIyLb0ELb1EEENS1_16block_id_wrapperIjLb0EEEEEvT_jT0_jPNS7_10value_typeE ; -- Begin function _ZN7rocprim17ROCPRIM_400000_NS6detail31init_lookback_scan_state_kernelINS1_19lookback_scan_stateIyLb0ELb1EEENS1_16block_id_wrapperIjLb0EEEEEvT_jT0_jPNS7_10value_typeE
	.globl	_ZN7rocprim17ROCPRIM_400000_NS6detail31init_lookback_scan_state_kernelINS1_19lookback_scan_stateIyLb0ELb1EEENS1_16block_id_wrapperIjLb0EEEEEvT_jT0_jPNS7_10value_typeE
	.p2align	8
	.type	_ZN7rocprim17ROCPRIM_400000_NS6detail31init_lookback_scan_state_kernelINS1_19lookback_scan_stateIyLb0ELb1EEENS1_16block_id_wrapperIjLb0EEEEEvT_jT0_jPNS7_10value_typeE,@function
_ZN7rocprim17ROCPRIM_400000_NS6detail31init_lookback_scan_state_kernelINS1_19lookback_scan_stateIyLb0ELb1EEENS1_16block_id_wrapperIjLb0EEEEEvT_jT0_jPNS7_10value_typeE: ; @_ZN7rocprim17ROCPRIM_400000_NS6detail31init_lookback_scan_state_kernelINS1_19lookback_scan_stateIyLb0ELb1EEENS1_16block_id_wrapperIjLb0EEEEEvT_jT0_jPNS7_10value_typeE
; %bb.0:
	s_load_dword s7, s[4:5], 0x2c
	s_load_dwordx2 s[2:3], s[4:5], 0x18
	s_load_dwordx2 s[0:1], s[4:5], 0x0
	s_load_dword s12, s[4:5], 0x8
	s_waitcnt lgkmcnt(0)
	s_and_b32 s7, s7, 0xffff
	s_mul_i32 s6, s6, s7
	s_cmp_eq_u64 s[2:3], 0
	v_add_u32_e32 v0, s6, v0
	s_cbranch_scc1 .LBB2088_8
; %bb.1:
	s_load_dword s6, s[4:5], 0x10
	s_mov_b32 s7, 0
	s_waitcnt lgkmcnt(0)
	s_cmp_lt_u32 s6, s12
	s_cselect_b32 s4, s6, 0
	v_cmp_eq_u32_e32 vcc, s4, v0
	s_and_saveexec_b64 s[4:5], vcc
	s_cbranch_execz .LBB2088_7
; %bb.2:
	s_add_i32 s6, s6, 64
	s_lshl_b64 s[6:7], s[6:7], 4
	s_add_u32 s10, s0, s6
	s_addc_u32 s11, s1, s7
	v_pk_mov_b32 v[2:3], s[10:11], s[10:11] op_sel:[0,1]
	;;#ASMSTART
	global_load_dwordx4 v[2:5], v[2:3] off glc	
s_waitcnt vmcnt(0)
	;;#ASMEND
	v_mov_b32_e32 v7, 0
	v_and_b32_e32 v6, 0xff, v4
	s_mov_b64 s[8:9], 0
	v_cmp_eq_u64_e32 vcc, 0, v[6:7]
	s_and_saveexec_b64 s[6:7], vcc
	s_cbranch_execz .LBB2088_6
; %bb.3:
	v_pk_mov_b32 v[8:9], s[10:11], s[10:11] op_sel:[0,1]
.LBB2088_4:                             ; =>This Inner Loop Header: Depth=1
	;;#ASMSTART
	global_load_dwordx4 v[2:5], v[8:9] off glc	
s_waitcnt vmcnt(0)
	;;#ASMEND
	v_and_b32_e32 v6, 0xff, v4
	v_cmp_ne_u64_e32 vcc, 0, v[6:7]
	s_or_b64 s[8:9], vcc, s[8:9]
	s_andn2_b64 exec, exec, s[8:9]
	s_cbranch_execnz .LBB2088_4
; %bb.5:
	s_or_b64 exec, exec, s[8:9]
.LBB2088_6:
	s_or_b64 exec, exec, s[6:7]
	v_mov_b32_e32 v1, 0
	global_store_dwordx2 v1, v[2:3], s[2:3]
.LBB2088_7:
	s_or_b64 exec, exec, s[4:5]
.LBB2088_8:
	v_cmp_gt_u32_e32 vcc, s12, v0
	s_and_saveexec_b64 s[2:3], vcc
	s_cbranch_execnz .LBB2088_11
; %bb.9:
	s_or_b64 exec, exec, s[2:3]
	v_cmp_gt_u32_e32 vcc, 64, v0
	s_and_saveexec_b64 s[2:3], vcc
	s_cbranch_execnz .LBB2088_12
.LBB2088_10:
	s_endpgm
.LBB2088_11:
	v_add_u32_e32 v2, 64, v0
	v_mov_b32_e32 v3, 0
	v_lshlrev_b64 v[4:5], 4, v[2:3]
	v_mov_b32_e32 v1, s1
	v_add_co_u32_e32 v6, vcc, s0, v4
	v_addc_co_u32_e32 v7, vcc, v1, v5, vcc
	v_mov_b32_e32 v2, v3
	v_mov_b32_e32 v4, v3
	v_mov_b32_e32 v5, v3
	global_store_dwordx4 v[6:7], v[2:5], off
	s_or_b64 exec, exec, s[2:3]
	v_cmp_gt_u32_e32 vcc, 64, v0
	s_and_saveexec_b64 s[2:3], vcc
	s_cbranch_execz .LBB2088_10
.LBB2088_12:
	v_mov_b32_e32 v1, 0
	v_lshlrev_b64 v[2:3], 4, v[0:1]
	v_mov_b32_e32 v0, s1
	v_add_co_u32_e32 v4, vcc, s0, v2
	v_addc_co_u32_e32 v5, vcc, v0, v3, vcc
	v_mov_b32_e32 v2, 0xff
	v_mov_b32_e32 v0, v1
	;; [unrolled: 1-line block ×3, first 2 shown]
	global_store_dwordx4 v[4:5], v[0:3], off
	s_endpgm
	.section	.rodata,"a",@progbits
	.p2align	6, 0x0
	.amdhsa_kernel _ZN7rocprim17ROCPRIM_400000_NS6detail31init_lookback_scan_state_kernelINS1_19lookback_scan_stateIyLb0ELb1EEENS1_16block_id_wrapperIjLb0EEEEEvT_jT0_jPNS7_10value_typeE
		.amdhsa_group_segment_fixed_size 0
		.amdhsa_private_segment_fixed_size 0
		.amdhsa_kernarg_size 288
		.amdhsa_user_sgpr_count 6
		.amdhsa_user_sgpr_private_segment_buffer 1
		.amdhsa_user_sgpr_dispatch_ptr 0
		.amdhsa_user_sgpr_queue_ptr 0
		.amdhsa_user_sgpr_kernarg_segment_ptr 1
		.amdhsa_user_sgpr_dispatch_id 0
		.amdhsa_user_sgpr_flat_scratch_init 0
		.amdhsa_user_sgpr_kernarg_preload_length 0
		.amdhsa_user_sgpr_kernarg_preload_offset 0
		.amdhsa_user_sgpr_private_segment_size 0
		.amdhsa_uses_dynamic_stack 0
		.amdhsa_system_sgpr_private_segment_wavefront_offset 0
		.amdhsa_system_sgpr_workgroup_id_x 1
		.amdhsa_system_sgpr_workgroup_id_y 0
		.amdhsa_system_sgpr_workgroup_id_z 0
		.amdhsa_system_sgpr_workgroup_info 0
		.amdhsa_system_vgpr_workitem_id 0
		.amdhsa_next_free_vgpr 10
		.amdhsa_next_free_sgpr 13
		.amdhsa_accum_offset 12
		.amdhsa_reserve_vcc 1
		.amdhsa_reserve_flat_scratch 0
		.amdhsa_float_round_mode_32 0
		.amdhsa_float_round_mode_16_64 0
		.amdhsa_float_denorm_mode_32 3
		.amdhsa_float_denorm_mode_16_64 3
		.amdhsa_dx10_clamp 1
		.amdhsa_ieee_mode 1
		.amdhsa_fp16_overflow 0
		.amdhsa_tg_split 0
		.amdhsa_exception_fp_ieee_invalid_op 0
		.amdhsa_exception_fp_denorm_src 0
		.amdhsa_exception_fp_ieee_div_zero 0
		.amdhsa_exception_fp_ieee_overflow 0
		.amdhsa_exception_fp_ieee_underflow 0
		.amdhsa_exception_fp_ieee_inexact 0
		.amdhsa_exception_int_div_zero 0
	.end_amdhsa_kernel
	.section	.text._ZN7rocprim17ROCPRIM_400000_NS6detail31init_lookback_scan_state_kernelINS1_19lookback_scan_stateIyLb0ELb1EEENS1_16block_id_wrapperIjLb0EEEEEvT_jT0_jPNS7_10value_typeE,"axG",@progbits,_ZN7rocprim17ROCPRIM_400000_NS6detail31init_lookback_scan_state_kernelINS1_19lookback_scan_stateIyLb0ELb1EEENS1_16block_id_wrapperIjLb0EEEEEvT_jT0_jPNS7_10value_typeE,comdat
.Lfunc_end2088:
	.size	_ZN7rocprim17ROCPRIM_400000_NS6detail31init_lookback_scan_state_kernelINS1_19lookback_scan_stateIyLb0ELb1EEENS1_16block_id_wrapperIjLb0EEEEEvT_jT0_jPNS7_10value_typeE, .Lfunc_end2088-_ZN7rocprim17ROCPRIM_400000_NS6detail31init_lookback_scan_state_kernelINS1_19lookback_scan_stateIyLb0ELb1EEENS1_16block_id_wrapperIjLb0EEEEEvT_jT0_jPNS7_10value_typeE
                                        ; -- End function
	.section	.AMDGPU.csdata,"",@progbits
; Kernel info:
; codeLenInByte = 384
; NumSgprs: 17
; NumVgprs: 10
; NumAgprs: 0
; TotalNumVgprs: 10
; ScratchSize: 0
; MemoryBound: 0
; FloatMode: 240
; IeeeMode: 1
; LDSByteSize: 0 bytes/workgroup (compile time only)
; SGPRBlocks: 2
; VGPRBlocks: 1
; NumSGPRsForWavesPerEU: 17
; NumVGPRsForWavesPerEU: 10
; AccumOffset: 12
; Occupancy: 8
; WaveLimiterHint : 0
; COMPUTE_PGM_RSRC2:SCRATCH_EN: 0
; COMPUTE_PGM_RSRC2:USER_SGPR: 6
; COMPUTE_PGM_RSRC2:TRAP_HANDLER: 0
; COMPUTE_PGM_RSRC2:TGID_X_EN: 1
; COMPUTE_PGM_RSRC2:TGID_Y_EN: 0
; COMPUTE_PGM_RSRC2:TGID_Z_EN: 0
; COMPUTE_PGM_RSRC2:TIDIG_COMP_CNT: 0
; COMPUTE_PGM_RSRC3_GFX90A:ACCUM_OFFSET: 2
; COMPUTE_PGM_RSRC3_GFX90A:TG_SPLIT: 0
	.section	.text._ZN7rocprim17ROCPRIM_400000_NS6detail17trampoline_kernelINS0_14default_configENS1_20scan_config_selectorIyEEZZNS1_9scan_implILNS1_25lookback_scan_determinismE0ELb0ELb0ES3_N6thrust23THRUST_200600_302600_NS6detail15normal_iteratorINS9_10device_ptrIyEEEESE_y11max_functorIyEyEEDaPvRmT3_T4_T5_mT6_P12ihipStream_tbENKUlT_T0_E_clISt17integral_constantIbLb0EESU_EEDaSP_SQ_EUlSP_E_NS1_11comp_targetILNS1_3genE0ELNS1_11target_archE4294967295ELNS1_3gpuE0ELNS1_3repE0EEENS1_30default_config_static_selectorELNS0_4arch9wavefront6targetE1EEEvT1_,"axG",@progbits,_ZN7rocprim17ROCPRIM_400000_NS6detail17trampoline_kernelINS0_14default_configENS1_20scan_config_selectorIyEEZZNS1_9scan_implILNS1_25lookback_scan_determinismE0ELb0ELb0ES3_N6thrust23THRUST_200600_302600_NS6detail15normal_iteratorINS9_10device_ptrIyEEEESE_y11max_functorIyEyEEDaPvRmT3_T4_T5_mT6_P12ihipStream_tbENKUlT_T0_E_clISt17integral_constantIbLb0EESU_EEDaSP_SQ_EUlSP_E_NS1_11comp_targetILNS1_3genE0ELNS1_11target_archE4294967295ELNS1_3gpuE0ELNS1_3repE0EEENS1_30default_config_static_selectorELNS0_4arch9wavefront6targetE1EEEvT1_,comdat
	.protected	_ZN7rocprim17ROCPRIM_400000_NS6detail17trampoline_kernelINS0_14default_configENS1_20scan_config_selectorIyEEZZNS1_9scan_implILNS1_25lookback_scan_determinismE0ELb0ELb0ES3_N6thrust23THRUST_200600_302600_NS6detail15normal_iteratorINS9_10device_ptrIyEEEESE_y11max_functorIyEyEEDaPvRmT3_T4_T5_mT6_P12ihipStream_tbENKUlT_T0_E_clISt17integral_constantIbLb0EESU_EEDaSP_SQ_EUlSP_E_NS1_11comp_targetILNS1_3genE0ELNS1_11target_archE4294967295ELNS1_3gpuE0ELNS1_3repE0EEENS1_30default_config_static_selectorELNS0_4arch9wavefront6targetE1EEEvT1_ ; -- Begin function _ZN7rocprim17ROCPRIM_400000_NS6detail17trampoline_kernelINS0_14default_configENS1_20scan_config_selectorIyEEZZNS1_9scan_implILNS1_25lookback_scan_determinismE0ELb0ELb0ES3_N6thrust23THRUST_200600_302600_NS6detail15normal_iteratorINS9_10device_ptrIyEEEESE_y11max_functorIyEyEEDaPvRmT3_T4_T5_mT6_P12ihipStream_tbENKUlT_T0_E_clISt17integral_constantIbLb0EESU_EEDaSP_SQ_EUlSP_E_NS1_11comp_targetILNS1_3genE0ELNS1_11target_archE4294967295ELNS1_3gpuE0ELNS1_3repE0EEENS1_30default_config_static_selectorELNS0_4arch9wavefront6targetE1EEEvT1_
	.globl	_ZN7rocprim17ROCPRIM_400000_NS6detail17trampoline_kernelINS0_14default_configENS1_20scan_config_selectorIyEEZZNS1_9scan_implILNS1_25lookback_scan_determinismE0ELb0ELb0ES3_N6thrust23THRUST_200600_302600_NS6detail15normal_iteratorINS9_10device_ptrIyEEEESE_y11max_functorIyEyEEDaPvRmT3_T4_T5_mT6_P12ihipStream_tbENKUlT_T0_E_clISt17integral_constantIbLb0EESU_EEDaSP_SQ_EUlSP_E_NS1_11comp_targetILNS1_3genE0ELNS1_11target_archE4294967295ELNS1_3gpuE0ELNS1_3repE0EEENS1_30default_config_static_selectorELNS0_4arch9wavefront6targetE1EEEvT1_
	.p2align	8
	.type	_ZN7rocprim17ROCPRIM_400000_NS6detail17trampoline_kernelINS0_14default_configENS1_20scan_config_selectorIyEEZZNS1_9scan_implILNS1_25lookback_scan_determinismE0ELb0ELb0ES3_N6thrust23THRUST_200600_302600_NS6detail15normal_iteratorINS9_10device_ptrIyEEEESE_y11max_functorIyEyEEDaPvRmT3_T4_T5_mT6_P12ihipStream_tbENKUlT_T0_E_clISt17integral_constantIbLb0EESU_EEDaSP_SQ_EUlSP_E_NS1_11comp_targetILNS1_3genE0ELNS1_11target_archE4294967295ELNS1_3gpuE0ELNS1_3repE0EEENS1_30default_config_static_selectorELNS0_4arch9wavefront6targetE1EEEvT1_,@function
_ZN7rocprim17ROCPRIM_400000_NS6detail17trampoline_kernelINS0_14default_configENS1_20scan_config_selectorIyEEZZNS1_9scan_implILNS1_25lookback_scan_determinismE0ELb0ELb0ES3_N6thrust23THRUST_200600_302600_NS6detail15normal_iteratorINS9_10device_ptrIyEEEESE_y11max_functorIyEyEEDaPvRmT3_T4_T5_mT6_P12ihipStream_tbENKUlT_T0_E_clISt17integral_constantIbLb0EESU_EEDaSP_SQ_EUlSP_E_NS1_11comp_targetILNS1_3genE0ELNS1_11target_archE4294967295ELNS1_3gpuE0ELNS1_3repE0EEENS1_30default_config_static_selectorELNS0_4arch9wavefront6targetE1EEEvT1_: ; @_ZN7rocprim17ROCPRIM_400000_NS6detail17trampoline_kernelINS0_14default_configENS1_20scan_config_selectorIyEEZZNS1_9scan_implILNS1_25lookback_scan_determinismE0ELb0ELb0ES3_N6thrust23THRUST_200600_302600_NS6detail15normal_iteratorINS9_10device_ptrIyEEEESE_y11max_functorIyEyEEDaPvRmT3_T4_T5_mT6_P12ihipStream_tbENKUlT_T0_E_clISt17integral_constantIbLb0EESU_EEDaSP_SQ_EUlSP_E_NS1_11comp_targetILNS1_3genE0ELNS1_11target_archE4294967295ELNS1_3gpuE0ELNS1_3repE0EEENS1_30default_config_static_selectorELNS0_4arch9wavefront6targetE1EEEvT1_
; %bb.0:
	.section	.rodata,"a",@progbits
	.p2align	6, 0x0
	.amdhsa_kernel _ZN7rocprim17ROCPRIM_400000_NS6detail17trampoline_kernelINS0_14default_configENS1_20scan_config_selectorIyEEZZNS1_9scan_implILNS1_25lookback_scan_determinismE0ELb0ELb0ES3_N6thrust23THRUST_200600_302600_NS6detail15normal_iteratorINS9_10device_ptrIyEEEESE_y11max_functorIyEyEEDaPvRmT3_T4_T5_mT6_P12ihipStream_tbENKUlT_T0_E_clISt17integral_constantIbLb0EESU_EEDaSP_SQ_EUlSP_E_NS1_11comp_targetILNS1_3genE0ELNS1_11target_archE4294967295ELNS1_3gpuE0ELNS1_3repE0EEENS1_30default_config_static_selectorELNS0_4arch9wavefront6targetE1EEEvT1_
		.amdhsa_group_segment_fixed_size 0
		.amdhsa_private_segment_fixed_size 0
		.amdhsa_kernarg_size 104
		.amdhsa_user_sgpr_count 6
		.amdhsa_user_sgpr_private_segment_buffer 1
		.amdhsa_user_sgpr_dispatch_ptr 0
		.amdhsa_user_sgpr_queue_ptr 0
		.amdhsa_user_sgpr_kernarg_segment_ptr 1
		.amdhsa_user_sgpr_dispatch_id 0
		.amdhsa_user_sgpr_flat_scratch_init 0
		.amdhsa_user_sgpr_kernarg_preload_length 0
		.amdhsa_user_sgpr_kernarg_preload_offset 0
		.amdhsa_user_sgpr_private_segment_size 0
		.amdhsa_uses_dynamic_stack 0
		.amdhsa_system_sgpr_private_segment_wavefront_offset 0
		.amdhsa_system_sgpr_workgroup_id_x 1
		.amdhsa_system_sgpr_workgroup_id_y 0
		.amdhsa_system_sgpr_workgroup_id_z 0
		.amdhsa_system_sgpr_workgroup_info 0
		.amdhsa_system_vgpr_workitem_id 0
		.amdhsa_next_free_vgpr 1
		.amdhsa_next_free_sgpr 0
		.amdhsa_accum_offset 4
		.amdhsa_reserve_vcc 0
		.amdhsa_reserve_flat_scratch 0
		.amdhsa_float_round_mode_32 0
		.amdhsa_float_round_mode_16_64 0
		.amdhsa_float_denorm_mode_32 3
		.amdhsa_float_denorm_mode_16_64 3
		.amdhsa_dx10_clamp 1
		.amdhsa_ieee_mode 1
		.amdhsa_fp16_overflow 0
		.amdhsa_tg_split 0
		.amdhsa_exception_fp_ieee_invalid_op 0
		.amdhsa_exception_fp_denorm_src 0
		.amdhsa_exception_fp_ieee_div_zero 0
		.amdhsa_exception_fp_ieee_overflow 0
		.amdhsa_exception_fp_ieee_underflow 0
		.amdhsa_exception_fp_ieee_inexact 0
		.amdhsa_exception_int_div_zero 0
	.end_amdhsa_kernel
	.section	.text._ZN7rocprim17ROCPRIM_400000_NS6detail17trampoline_kernelINS0_14default_configENS1_20scan_config_selectorIyEEZZNS1_9scan_implILNS1_25lookback_scan_determinismE0ELb0ELb0ES3_N6thrust23THRUST_200600_302600_NS6detail15normal_iteratorINS9_10device_ptrIyEEEESE_y11max_functorIyEyEEDaPvRmT3_T4_T5_mT6_P12ihipStream_tbENKUlT_T0_E_clISt17integral_constantIbLb0EESU_EEDaSP_SQ_EUlSP_E_NS1_11comp_targetILNS1_3genE0ELNS1_11target_archE4294967295ELNS1_3gpuE0ELNS1_3repE0EEENS1_30default_config_static_selectorELNS0_4arch9wavefront6targetE1EEEvT1_,"axG",@progbits,_ZN7rocprim17ROCPRIM_400000_NS6detail17trampoline_kernelINS0_14default_configENS1_20scan_config_selectorIyEEZZNS1_9scan_implILNS1_25lookback_scan_determinismE0ELb0ELb0ES3_N6thrust23THRUST_200600_302600_NS6detail15normal_iteratorINS9_10device_ptrIyEEEESE_y11max_functorIyEyEEDaPvRmT3_T4_T5_mT6_P12ihipStream_tbENKUlT_T0_E_clISt17integral_constantIbLb0EESU_EEDaSP_SQ_EUlSP_E_NS1_11comp_targetILNS1_3genE0ELNS1_11target_archE4294967295ELNS1_3gpuE0ELNS1_3repE0EEENS1_30default_config_static_selectorELNS0_4arch9wavefront6targetE1EEEvT1_,comdat
.Lfunc_end2089:
	.size	_ZN7rocprim17ROCPRIM_400000_NS6detail17trampoline_kernelINS0_14default_configENS1_20scan_config_selectorIyEEZZNS1_9scan_implILNS1_25lookback_scan_determinismE0ELb0ELb0ES3_N6thrust23THRUST_200600_302600_NS6detail15normal_iteratorINS9_10device_ptrIyEEEESE_y11max_functorIyEyEEDaPvRmT3_T4_T5_mT6_P12ihipStream_tbENKUlT_T0_E_clISt17integral_constantIbLb0EESU_EEDaSP_SQ_EUlSP_E_NS1_11comp_targetILNS1_3genE0ELNS1_11target_archE4294967295ELNS1_3gpuE0ELNS1_3repE0EEENS1_30default_config_static_selectorELNS0_4arch9wavefront6targetE1EEEvT1_, .Lfunc_end2089-_ZN7rocprim17ROCPRIM_400000_NS6detail17trampoline_kernelINS0_14default_configENS1_20scan_config_selectorIyEEZZNS1_9scan_implILNS1_25lookback_scan_determinismE0ELb0ELb0ES3_N6thrust23THRUST_200600_302600_NS6detail15normal_iteratorINS9_10device_ptrIyEEEESE_y11max_functorIyEyEEDaPvRmT3_T4_T5_mT6_P12ihipStream_tbENKUlT_T0_E_clISt17integral_constantIbLb0EESU_EEDaSP_SQ_EUlSP_E_NS1_11comp_targetILNS1_3genE0ELNS1_11target_archE4294967295ELNS1_3gpuE0ELNS1_3repE0EEENS1_30default_config_static_selectorELNS0_4arch9wavefront6targetE1EEEvT1_
                                        ; -- End function
	.section	.AMDGPU.csdata,"",@progbits
; Kernel info:
; codeLenInByte = 0
; NumSgprs: 4
; NumVgprs: 0
; NumAgprs: 0
; TotalNumVgprs: 0
; ScratchSize: 0
; MemoryBound: 0
; FloatMode: 240
; IeeeMode: 1
; LDSByteSize: 0 bytes/workgroup (compile time only)
; SGPRBlocks: 0
; VGPRBlocks: 0
; NumSGPRsForWavesPerEU: 4
; NumVGPRsForWavesPerEU: 1
; AccumOffset: 4
; Occupancy: 8
; WaveLimiterHint : 0
; COMPUTE_PGM_RSRC2:SCRATCH_EN: 0
; COMPUTE_PGM_RSRC2:USER_SGPR: 6
; COMPUTE_PGM_RSRC2:TRAP_HANDLER: 0
; COMPUTE_PGM_RSRC2:TGID_X_EN: 1
; COMPUTE_PGM_RSRC2:TGID_Y_EN: 0
; COMPUTE_PGM_RSRC2:TGID_Z_EN: 0
; COMPUTE_PGM_RSRC2:TIDIG_COMP_CNT: 0
; COMPUTE_PGM_RSRC3_GFX90A:ACCUM_OFFSET: 0
; COMPUTE_PGM_RSRC3_GFX90A:TG_SPLIT: 0
	.section	.text._ZN7rocprim17ROCPRIM_400000_NS6detail17trampoline_kernelINS0_14default_configENS1_20scan_config_selectorIyEEZZNS1_9scan_implILNS1_25lookback_scan_determinismE0ELb0ELb0ES3_N6thrust23THRUST_200600_302600_NS6detail15normal_iteratorINS9_10device_ptrIyEEEESE_y11max_functorIyEyEEDaPvRmT3_T4_T5_mT6_P12ihipStream_tbENKUlT_T0_E_clISt17integral_constantIbLb0EESU_EEDaSP_SQ_EUlSP_E_NS1_11comp_targetILNS1_3genE5ELNS1_11target_archE942ELNS1_3gpuE9ELNS1_3repE0EEENS1_30default_config_static_selectorELNS0_4arch9wavefront6targetE1EEEvT1_,"axG",@progbits,_ZN7rocprim17ROCPRIM_400000_NS6detail17trampoline_kernelINS0_14default_configENS1_20scan_config_selectorIyEEZZNS1_9scan_implILNS1_25lookback_scan_determinismE0ELb0ELb0ES3_N6thrust23THRUST_200600_302600_NS6detail15normal_iteratorINS9_10device_ptrIyEEEESE_y11max_functorIyEyEEDaPvRmT3_T4_T5_mT6_P12ihipStream_tbENKUlT_T0_E_clISt17integral_constantIbLb0EESU_EEDaSP_SQ_EUlSP_E_NS1_11comp_targetILNS1_3genE5ELNS1_11target_archE942ELNS1_3gpuE9ELNS1_3repE0EEENS1_30default_config_static_selectorELNS0_4arch9wavefront6targetE1EEEvT1_,comdat
	.protected	_ZN7rocprim17ROCPRIM_400000_NS6detail17trampoline_kernelINS0_14default_configENS1_20scan_config_selectorIyEEZZNS1_9scan_implILNS1_25lookback_scan_determinismE0ELb0ELb0ES3_N6thrust23THRUST_200600_302600_NS6detail15normal_iteratorINS9_10device_ptrIyEEEESE_y11max_functorIyEyEEDaPvRmT3_T4_T5_mT6_P12ihipStream_tbENKUlT_T0_E_clISt17integral_constantIbLb0EESU_EEDaSP_SQ_EUlSP_E_NS1_11comp_targetILNS1_3genE5ELNS1_11target_archE942ELNS1_3gpuE9ELNS1_3repE0EEENS1_30default_config_static_selectorELNS0_4arch9wavefront6targetE1EEEvT1_ ; -- Begin function _ZN7rocprim17ROCPRIM_400000_NS6detail17trampoline_kernelINS0_14default_configENS1_20scan_config_selectorIyEEZZNS1_9scan_implILNS1_25lookback_scan_determinismE0ELb0ELb0ES3_N6thrust23THRUST_200600_302600_NS6detail15normal_iteratorINS9_10device_ptrIyEEEESE_y11max_functorIyEyEEDaPvRmT3_T4_T5_mT6_P12ihipStream_tbENKUlT_T0_E_clISt17integral_constantIbLb0EESU_EEDaSP_SQ_EUlSP_E_NS1_11comp_targetILNS1_3genE5ELNS1_11target_archE942ELNS1_3gpuE9ELNS1_3repE0EEENS1_30default_config_static_selectorELNS0_4arch9wavefront6targetE1EEEvT1_
	.globl	_ZN7rocprim17ROCPRIM_400000_NS6detail17trampoline_kernelINS0_14default_configENS1_20scan_config_selectorIyEEZZNS1_9scan_implILNS1_25lookback_scan_determinismE0ELb0ELb0ES3_N6thrust23THRUST_200600_302600_NS6detail15normal_iteratorINS9_10device_ptrIyEEEESE_y11max_functorIyEyEEDaPvRmT3_T4_T5_mT6_P12ihipStream_tbENKUlT_T0_E_clISt17integral_constantIbLb0EESU_EEDaSP_SQ_EUlSP_E_NS1_11comp_targetILNS1_3genE5ELNS1_11target_archE942ELNS1_3gpuE9ELNS1_3repE0EEENS1_30default_config_static_selectorELNS0_4arch9wavefront6targetE1EEEvT1_
	.p2align	8
	.type	_ZN7rocprim17ROCPRIM_400000_NS6detail17trampoline_kernelINS0_14default_configENS1_20scan_config_selectorIyEEZZNS1_9scan_implILNS1_25lookback_scan_determinismE0ELb0ELb0ES3_N6thrust23THRUST_200600_302600_NS6detail15normal_iteratorINS9_10device_ptrIyEEEESE_y11max_functorIyEyEEDaPvRmT3_T4_T5_mT6_P12ihipStream_tbENKUlT_T0_E_clISt17integral_constantIbLb0EESU_EEDaSP_SQ_EUlSP_E_NS1_11comp_targetILNS1_3genE5ELNS1_11target_archE942ELNS1_3gpuE9ELNS1_3repE0EEENS1_30default_config_static_selectorELNS0_4arch9wavefront6targetE1EEEvT1_,@function
_ZN7rocprim17ROCPRIM_400000_NS6detail17trampoline_kernelINS0_14default_configENS1_20scan_config_selectorIyEEZZNS1_9scan_implILNS1_25lookback_scan_determinismE0ELb0ELb0ES3_N6thrust23THRUST_200600_302600_NS6detail15normal_iteratorINS9_10device_ptrIyEEEESE_y11max_functorIyEyEEDaPvRmT3_T4_T5_mT6_P12ihipStream_tbENKUlT_T0_E_clISt17integral_constantIbLb0EESU_EEDaSP_SQ_EUlSP_E_NS1_11comp_targetILNS1_3genE5ELNS1_11target_archE942ELNS1_3gpuE9ELNS1_3repE0EEENS1_30default_config_static_selectorELNS0_4arch9wavefront6targetE1EEEvT1_: ; @_ZN7rocprim17ROCPRIM_400000_NS6detail17trampoline_kernelINS0_14default_configENS1_20scan_config_selectorIyEEZZNS1_9scan_implILNS1_25lookback_scan_determinismE0ELb0ELb0ES3_N6thrust23THRUST_200600_302600_NS6detail15normal_iteratorINS9_10device_ptrIyEEEESE_y11max_functorIyEyEEDaPvRmT3_T4_T5_mT6_P12ihipStream_tbENKUlT_T0_E_clISt17integral_constantIbLb0EESU_EEDaSP_SQ_EUlSP_E_NS1_11comp_targetILNS1_3genE5ELNS1_11target_archE942ELNS1_3gpuE9ELNS1_3repE0EEENS1_30default_config_static_selectorELNS0_4arch9wavefront6targetE1EEEvT1_
; %bb.0:
	.section	.rodata,"a",@progbits
	.p2align	6, 0x0
	.amdhsa_kernel _ZN7rocprim17ROCPRIM_400000_NS6detail17trampoline_kernelINS0_14default_configENS1_20scan_config_selectorIyEEZZNS1_9scan_implILNS1_25lookback_scan_determinismE0ELb0ELb0ES3_N6thrust23THRUST_200600_302600_NS6detail15normal_iteratorINS9_10device_ptrIyEEEESE_y11max_functorIyEyEEDaPvRmT3_T4_T5_mT6_P12ihipStream_tbENKUlT_T0_E_clISt17integral_constantIbLb0EESU_EEDaSP_SQ_EUlSP_E_NS1_11comp_targetILNS1_3genE5ELNS1_11target_archE942ELNS1_3gpuE9ELNS1_3repE0EEENS1_30default_config_static_selectorELNS0_4arch9wavefront6targetE1EEEvT1_
		.amdhsa_group_segment_fixed_size 0
		.amdhsa_private_segment_fixed_size 0
		.amdhsa_kernarg_size 104
		.amdhsa_user_sgpr_count 6
		.amdhsa_user_sgpr_private_segment_buffer 1
		.amdhsa_user_sgpr_dispatch_ptr 0
		.amdhsa_user_sgpr_queue_ptr 0
		.amdhsa_user_sgpr_kernarg_segment_ptr 1
		.amdhsa_user_sgpr_dispatch_id 0
		.amdhsa_user_sgpr_flat_scratch_init 0
		.amdhsa_user_sgpr_kernarg_preload_length 0
		.amdhsa_user_sgpr_kernarg_preload_offset 0
		.amdhsa_user_sgpr_private_segment_size 0
		.amdhsa_uses_dynamic_stack 0
		.amdhsa_system_sgpr_private_segment_wavefront_offset 0
		.amdhsa_system_sgpr_workgroup_id_x 1
		.amdhsa_system_sgpr_workgroup_id_y 0
		.amdhsa_system_sgpr_workgroup_id_z 0
		.amdhsa_system_sgpr_workgroup_info 0
		.amdhsa_system_vgpr_workitem_id 0
		.amdhsa_next_free_vgpr 1
		.amdhsa_next_free_sgpr 0
		.amdhsa_accum_offset 4
		.amdhsa_reserve_vcc 0
		.amdhsa_reserve_flat_scratch 0
		.amdhsa_float_round_mode_32 0
		.amdhsa_float_round_mode_16_64 0
		.amdhsa_float_denorm_mode_32 3
		.amdhsa_float_denorm_mode_16_64 3
		.amdhsa_dx10_clamp 1
		.amdhsa_ieee_mode 1
		.amdhsa_fp16_overflow 0
		.amdhsa_tg_split 0
		.amdhsa_exception_fp_ieee_invalid_op 0
		.amdhsa_exception_fp_denorm_src 0
		.amdhsa_exception_fp_ieee_div_zero 0
		.amdhsa_exception_fp_ieee_overflow 0
		.amdhsa_exception_fp_ieee_underflow 0
		.amdhsa_exception_fp_ieee_inexact 0
		.amdhsa_exception_int_div_zero 0
	.end_amdhsa_kernel
	.section	.text._ZN7rocprim17ROCPRIM_400000_NS6detail17trampoline_kernelINS0_14default_configENS1_20scan_config_selectorIyEEZZNS1_9scan_implILNS1_25lookback_scan_determinismE0ELb0ELb0ES3_N6thrust23THRUST_200600_302600_NS6detail15normal_iteratorINS9_10device_ptrIyEEEESE_y11max_functorIyEyEEDaPvRmT3_T4_T5_mT6_P12ihipStream_tbENKUlT_T0_E_clISt17integral_constantIbLb0EESU_EEDaSP_SQ_EUlSP_E_NS1_11comp_targetILNS1_3genE5ELNS1_11target_archE942ELNS1_3gpuE9ELNS1_3repE0EEENS1_30default_config_static_selectorELNS0_4arch9wavefront6targetE1EEEvT1_,"axG",@progbits,_ZN7rocprim17ROCPRIM_400000_NS6detail17trampoline_kernelINS0_14default_configENS1_20scan_config_selectorIyEEZZNS1_9scan_implILNS1_25lookback_scan_determinismE0ELb0ELb0ES3_N6thrust23THRUST_200600_302600_NS6detail15normal_iteratorINS9_10device_ptrIyEEEESE_y11max_functorIyEyEEDaPvRmT3_T4_T5_mT6_P12ihipStream_tbENKUlT_T0_E_clISt17integral_constantIbLb0EESU_EEDaSP_SQ_EUlSP_E_NS1_11comp_targetILNS1_3genE5ELNS1_11target_archE942ELNS1_3gpuE9ELNS1_3repE0EEENS1_30default_config_static_selectorELNS0_4arch9wavefront6targetE1EEEvT1_,comdat
.Lfunc_end2090:
	.size	_ZN7rocprim17ROCPRIM_400000_NS6detail17trampoline_kernelINS0_14default_configENS1_20scan_config_selectorIyEEZZNS1_9scan_implILNS1_25lookback_scan_determinismE0ELb0ELb0ES3_N6thrust23THRUST_200600_302600_NS6detail15normal_iteratorINS9_10device_ptrIyEEEESE_y11max_functorIyEyEEDaPvRmT3_T4_T5_mT6_P12ihipStream_tbENKUlT_T0_E_clISt17integral_constantIbLb0EESU_EEDaSP_SQ_EUlSP_E_NS1_11comp_targetILNS1_3genE5ELNS1_11target_archE942ELNS1_3gpuE9ELNS1_3repE0EEENS1_30default_config_static_selectorELNS0_4arch9wavefront6targetE1EEEvT1_, .Lfunc_end2090-_ZN7rocprim17ROCPRIM_400000_NS6detail17trampoline_kernelINS0_14default_configENS1_20scan_config_selectorIyEEZZNS1_9scan_implILNS1_25lookback_scan_determinismE0ELb0ELb0ES3_N6thrust23THRUST_200600_302600_NS6detail15normal_iteratorINS9_10device_ptrIyEEEESE_y11max_functorIyEyEEDaPvRmT3_T4_T5_mT6_P12ihipStream_tbENKUlT_T0_E_clISt17integral_constantIbLb0EESU_EEDaSP_SQ_EUlSP_E_NS1_11comp_targetILNS1_3genE5ELNS1_11target_archE942ELNS1_3gpuE9ELNS1_3repE0EEENS1_30default_config_static_selectorELNS0_4arch9wavefront6targetE1EEEvT1_
                                        ; -- End function
	.section	.AMDGPU.csdata,"",@progbits
; Kernel info:
; codeLenInByte = 0
; NumSgprs: 4
; NumVgprs: 0
; NumAgprs: 0
; TotalNumVgprs: 0
; ScratchSize: 0
; MemoryBound: 0
; FloatMode: 240
; IeeeMode: 1
; LDSByteSize: 0 bytes/workgroup (compile time only)
; SGPRBlocks: 0
; VGPRBlocks: 0
; NumSGPRsForWavesPerEU: 4
; NumVGPRsForWavesPerEU: 1
; AccumOffset: 4
; Occupancy: 8
; WaveLimiterHint : 0
; COMPUTE_PGM_RSRC2:SCRATCH_EN: 0
; COMPUTE_PGM_RSRC2:USER_SGPR: 6
; COMPUTE_PGM_RSRC2:TRAP_HANDLER: 0
; COMPUTE_PGM_RSRC2:TGID_X_EN: 1
; COMPUTE_PGM_RSRC2:TGID_Y_EN: 0
; COMPUTE_PGM_RSRC2:TGID_Z_EN: 0
; COMPUTE_PGM_RSRC2:TIDIG_COMP_CNT: 0
; COMPUTE_PGM_RSRC3_GFX90A:ACCUM_OFFSET: 0
; COMPUTE_PGM_RSRC3_GFX90A:TG_SPLIT: 0
	.section	.text._ZN7rocprim17ROCPRIM_400000_NS6detail17trampoline_kernelINS0_14default_configENS1_20scan_config_selectorIyEEZZNS1_9scan_implILNS1_25lookback_scan_determinismE0ELb0ELb0ES3_N6thrust23THRUST_200600_302600_NS6detail15normal_iteratorINS9_10device_ptrIyEEEESE_y11max_functorIyEyEEDaPvRmT3_T4_T5_mT6_P12ihipStream_tbENKUlT_T0_E_clISt17integral_constantIbLb0EESU_EEDaSP_SQ_EUlSP_E_NS1_11comp_targetILNS1_3genE4ELNS1_11target_archE910ELNS1_3gpuE8ELNS1_3repE0EEENS1_30default_config_static_selectorELNS0_4arch9wavefront6targetE1EEEvT1_,"axG",@progbits,_ZN7rocprim17ROCPRIM_400000_NS6detail17trampoline_kernelINS0_14default_configENS1_20scan_config_selectorIyEEZZNS1_9scan_implILNS1_25lookback_scan_determinismE0ELb0ELb0ES3_N6thrust23THRUST_200600_302600_NS6detail15normal_iteratorINS9_10device_ptrIyEEEESE_y11max_functorIyEyEEDaPvRmT3_T4_T5_mT6_P12ihipStream_tbENKUlT_T0_E_clISt17integral_constantIbLb0EESU_EEDaSP_SQ_EUlSP_E_NS1_11comp_targetILNS1_3genE4ELNS1_11target_archE910ELNS1_3gpuE8ELNS1_3repE0EEENS1_30default_config_static_selectorELNS0_4arch9wavefront6targetE1EEEvT1_,comdat
	.protected	_ZN7rocprim17ROCPRIM_400000_NS6detail17trampoline_kernelINS0_14default_configENS1_20scan_config_selectorIyEEZZNS1_9scan_implILNS1_25lookback_scan_determinismE0ELb0ELb0ES3_N6thrust23THRUST_200600_302600_NS6detail15normal_iteratorINS9_10device_ptrIyEEEESE_y11max_functorIyEyEEDaPvRmT3_T4_T5_mT6_P12ihipStream_tbENKUlT_T0_E_clISt17integral_constantIbLb0EESU_EEDaSP_SQ_EUlSP_E_NS1_11comp_targetILNS1_3genE4ELNS1_11target_archE910ELNS1_3gpuE8ELNS1_3repE0EEENS1_30default_config_static_selectorELNS0_4arch9wavefront6targetE1EEEvT1_ ; -- Begin function _ZN7rocprim17ROCPRIM_400000_NS6detail17trampoline_kernelINS0_14default_configENS1_20scan_config_selectorIyEEZZNS1_9scan_implILNS1_25lookback_scan_determinismE0ELb0ELb0ES3_N6thrust23THRUST_200600_302600_NS6detail15normal_iteratorINS9_10device_ptrIyEEEESE_y11max_functorIyEyEEDaPvRmT3_T4_T5_mT6_P12ihipStream_tbENKUlT_T0_E_clISt17integral_constantIbLb0EESU_EEDaSP_SQ_EUlSP_E_NS1_11comp_targetILNS1_3genE4ELNS1_11target_archE910ELNS1_3gpuE8ELNS1_3repE0EEENS1_30default_config_static_selectorELNS0_4arch9wavefront6targetE1EEEvT1_
	.globl	_ZN7rocprim17ROCPRIM_400000_NS6detail17trampoline_kernelINS0_14default_configENS1_20scan_config_selectorIyEEZZNS1_9scan_implILNS1_25lookback_scan_determinismE0ELb0ELb0ES3_N6thrust23THRUST_200600_302600_NS6detail15normal_iteratorINS9_10device_ptrIyEEEESE_y11max_functorIyEyEEDaPvRmT3_T4_T5_mT6_P12ihipStream_tbENKUlT_T0_E_clISt17integral_constantIbLb0EESU_EEDaSP_SQ_EUlSP_E_NS1_11comp_targetILNS1_3genE4ELNS1_11target_archE910ELNS1_3gpuE8ELNS1_3repE0EEENS1_30default_config_static_selectorELNS0_4arch9wavefront6targetE1EEEvT1_
	.p2align	8
	.type	_ZN7rocprim17ROCPRIM_400000_NS6detail17trampoline_kernelINS0_14default_configENS1_20scan_config_selectorIyEEZZNS1_9scan_implILNS1_25lookback_scan_determinismE0ELb0ELb0ES3_N6thrust23THRUST_200600_302600_NS6detail15normal_iteratorINS9_10device_ptrIyEEEESE_y11max_functorIyEyEEDaPvRmT3_T4_T5_mT6_P12ihipStream_tbENKUlT_T0_E_clISt17integral_constantIbLb0EESU_EEDaSP_SQ_EUlSP_E_NS1_11comp_targetILNS1_3genE4ELNS1_11target_archE910ELNS1_3gpuE8ELNS1_3repE0EEENS1_30default_config_static_selectorELNS0_4arch9wavefront6targetE1EEEvT1_,@function
_ZN7rocprim17ROCPRIM_400000_NS6detail17trampoline_kernelINS0_14default_configENS1_20scan_config_selectorIyEEZZNS1_9scan_implILNS1_25lookback_scan_determinismE0ELb0ELb0ES3_N6thrust23THRUST_200600_302600_NS6detail15normal_iteratorINS9_10device_ptrIyEEEESE_y11max_functorIyEyEEDaPvRmT3_T4_T5_mT6_P12ihipStream_tbENKUlT_T0_E_clISt17integral_constantIbLb0EESU_EEDaSP_SQ_EUlSP_E_NS1_11comp_targetILNS1_3genE4ELNS1_11target_archE910ELNS1_3gpuE8ELNS1_3repE0EEENS1_30default_config_static_selectorELNS0_4arch9wavefront6targetE1EEEvT1_: ; @_ZN7rocprim17ROCPRIM_400000_NS6detail17trampoline_kernelINS0_14default_configENS1_20scan_config_selectorIyEEZZNS1_9scan_implILNS1_25lookback_scan_determinismE0ELb0ELb0ES3_N6thrust23THRUST_200600_302600_NS6detail15normal_iteratorINS9_10device_ptrIyEEEESE_y11max_functorIyEyEEDaPvRmT3_T4_T5_mT6_P12ihipStream_tbENKUlT_T0_E_clISt17integral_constantIbLb0EESU_EEDaSP_SQ_EUlSP_E_NS1_11comp_targetILNS1_3genE4ELNS1_11target_archE910ELNS1_3gpuE8ELNS1_3repE0EEENS1_30default_config_static_selectorELNS0_4arch9wavefront6targetE1EEEvT1_
; %bb.0:
	s_load_dwordx8 s[12:19], s[4:5], 0x0
	s_load_dword s1, s[4:5], 0x38
	s_mul_i32 s0, s6, 0x380
	v_lshlrev_b32_e32 v36, 3, v0
	s_waitcnt lgkmcnt(0)
	s_lshl_b64 s[20:21], s[14:15], 3
	s_add_u32 s2, s12, s20
	s_addc_u32 s3, s13, s21
	s_add_i32 s7, s1, -1
	s_mul_i32 s8, s7, 0x380
	s_sub_u32 s28, s18, s8
	s_subb_u32 s29, s19, 0
	s_mov_b32 s1, 0
	s_cmp_lg_u32 s6, s7
	s_cselect_b64 s[18:19], -1, 0
	s_lshl_b64 s[22:23], s[0:1], 3
	s_add_u32 s2, s2, s22
	s_addc_u32 s3, s3, s23
	s_mov_b64 s[0:1], -1
	s_and_b64 vcc, exec, s[18:19]
	s_cbranch_vccz .LBB2091_2
; %bb.1:
	v_mov_b32_e32 v1, s3
	v_add_co_u32_e32 v2, vcc, s2, v36
	v_addc_co_u32_e32 v3, vcc, 0, v1, vcc
	flat_load_dwordx2 v[4:5], v[2:3]
	flat_load_dwordx2 v[6:7], v[2:3] offset:1024
	flat_load_dwordx2 v[8:9], v[2:3] offset:2048
	;; [unrolled: 1-line block ×3, first 2 shown]
	v_add_co_u32_e32 v2, vcc, 0x1000, v2
	v_addc_co_u32_e32 v3, vcc, 0, v3, vcc
	flat_load_dwordx2 v[12:13], v[2:3]
	flat_load_dwordx2 v[14:15], v[2:3] offset:1024
	flat_load_dwordx2 v[16:17], v[2:3] offset:2048
	s_mov_b64 s[0:1], 0
	s_waitcnt vmcnt(0) lgkmcnt(0)
	ds_write2st64_b64 v36, v[4:5], v[6:7] offset1:2
	ds_write2st64_b64 v36, v[8:9], v[10:11] offset0:4 offset1:6
	ds_write2st64_b64 v36, v[12:13], v[14:15] offset0:8 offset1:10
	ds_write_b64 v36, v[16:17] offset:6144
	s_waitcnt lgkmcnt(0)
	s_barrier
.LBB2091_2:
	s_load_dwordx2 s[24:25], s[4:5], 0x30
	s_andn2_b64 vcc, exec, s[0:1]
	v_cmp_gt_u32_e64 s[0:1], s28, v0
	s_cbranch_vccnz .LBB2091_18
; %bb.3:
	v_pk_mov_b32 v[2:3], s[2:3], s[2:3] op_sel:[0,1]
	flat_load_dwordx2 v[2:3], v[2:3]
	s_waitcnt vmcnt(0) lgkmcnt(0)
	v_mov_b32_e32 v4, v2
	v_mov_b32_e32 v5, v3
	;; [unrolled: 1-line block ×10, first 2 shown]
	v_pk_mov_b32 v[18:19], v[14:15], v[14:15] op_sel:[0,1]
	v_pk_mov_b32 v[16:17], v[12:13], v[12:13] op_sel:[0,1]
	;; [unrolled: 1-line block ×8, first 2 shown]
	s_and_saveexec_b64 s[8:9], s[0:1]
	s_cbranch_execz .LBB2091_5
; %bb.4:
	v_mov_b32_e32 v1, s3
	v_add_co_u32_e32 v4, vcc, s2, v36
	v_addc_co_u32_e32 v5, vcc, 0, v1, vcc
	flat_load_dwordx2 v[20:21], v[4:5]
	v_mov_b32_e32 v4, v2
	v_mov_b32_e32 v5, v3
	v_mov_b32_e32 v6, v2
	v_mov_b32_e32 v7, v3
	v_mov_b32_e32 v8, v2
	v_mov_b32_e32 v9, v3
	v_mov_b32_e32 v10, v2
	v_mov_b32_e32 v11, v3
	v_mov_b32_e32 v12, v2
	v_mov_b32_e32 v13, v3
	v_pk_mov_b32 v[18:19], v[14:15], v[14:15] op_sel:[0,1]
	v_pk_mov_b32 v[16:17], v[12:13], v[12:13] op_sel:[0,1]
	v_pk_mov_b32 v[14:15], v[10:11], v[10:11] op_sel:[0,1]
	v_pk_mov_b32 v[12:13], v[8:9], v[8:9] op_sel:[0,1]
	v_pk_mov_b32 v[10:11], v[6:7], v[6:7] op_sel:[0,1]
	v_pk_mov_b32 v[8:9], v[4:5], v[4:5] op_sel:[0,1]
	v_pk_mov_b32 v[6:7], v[2:3], v[2:3] op_sel:[0,1]
	v_pk_mov_b32 v[4:5], v[0:1], v[0:1] op_sel:[0,1]
	s_waitcnt vmcnt(0) lgkmcnt(0)
	v_pk_mov_b32 v[2:3], v[20:21], v[20:21] op_sel:[0,1]
.LBB2091_5:
	s_or_b64 exec, exec, s[8:9]
	v_or_b32_e32 v1, 0x80, v0
	v_cmp_gt_u32_e32 vcc, s28, v1
	s_and_saveexec_b64 s[0:1], vcc
	s_cbranch_execz .LBB2091_7
; %bb.6:
	v_mov_b32_e32 v1, s3
	v_add_co_u32_e32 v4, vcc, s2, v36
	v_addc_co_u32_e32 v5, vcc, 0, v1, vcc
	flat_load_dwordx2 v[6:7], v[4:5] offset:1024
.LBB2091_7:
	s_or_b64 exec, exec, s[0:1]
	v_or_b32_e32 v1, 0x100, v0
	v_cmp_gt_u32_e32 vcc, s28, v1
	s_and_saveexec_b64 s[0:1], vcc
	s_cbranch_execz .LBB2091_9
; %bb.8:
	v_mov_b32_e32 v1, s3
	v_add_co_u32_e32 v4, vcc, s2, v36
	v_addc_co_u32_e32 v5, vcc, 0, v1, vcc
	flat_load_dwordx2 v[8:9], v[4:5] offset:2048
.LBB2091_9:
	;; [unrolled: 11-line block ×3, first 2 shown]
	s_or_b64 exec, exec, s[0:1]
	v_or_b32_e32 v1, 0x200, v0
	v_cmp_gt_u32_e32 vcc, s28, v1
	s_and_saveexec_b64 s[0:1], vcc
	s_cbranch_execz .LBB2091_13
; %bb.12:
	v_lshlrev_b32_e32 v1, 3, v1
	v_mov_b32_e32 v5, s3
	v_add_co_u32_e32 v4, vcc, s2, v1
	v_addc_co_u32_e32 v5, vcc, 0, v5, vcc
	flat_load_dwordx2 v[12:13], v[4:5]
.LBB2091_13:
	s_or_b64 exec, exec, s[0:1]
	v_or_b32_e32 v1, 0x280, v0
	v_cmp_gt_u32_e32 vcc, s28, v1
	s_and_saveexec_b64 s[0:1], vcc
	s_cbranch_execz .LBB2091_15
; %bb.14:
	v_lshlrev_b32_e32 v1, 3, v1
	v_mov_b32_e32 v5, s3
	v_add_co_u32_e32 v4, vcc, s2, v1
	v_addc_co_u32_e32 v5, vcc, 0, v5, vcc
	flat_load_dwordx2 v[14:15], v[4:5]
.LBB2091_15:
	;; [unrolled: 12-line block ×3, first 2 shown]
	s_or_b64 exec, exec, s[0:1]
	s_waitcnt vmcnt(0) lgkmcnt(0)
	ds_write2st64_b64 v36, v[2:3], v[6:7] offset1:2
	ds_write2st64_b64 v36, v[8:9], v[10:11] offset0:4 offset1:6
	ds_write2st64_b64 v36, v[12:13], v[14:15] offset0:8 offset1:10
	ds_write_b64 v36, v[16:17] offset:6144
	s_waitcnt lgkmcnt(0)
	s_barrier
.LBB2091_18:
	v_mul_u32_u24_e32 v37, 7, v0
	v_lshlrev_b32_e32 v38, 3, v37
	s_waitcnt lgkmcnt(0)
	ds_read2_b64 v[2:5], v38 offset1:1
	ds_read2_b64 v[10:13], v38 offset0:2 offset1:3
	ds_read2_b64 v[6:9], v38 offset0:4 offset1:5
	ds_read_b64 v[28:29], v38 offset:48
	s_cmp_lg_u32 s6, 0
	v_lshrrev_b32_e32 v1, 5, v0
	v_cmp_gt_u32_e32 vcc, 64, v0
	s_waitcnt lgkmcnt(0)
	s_barrier
	s_cbranch_scc0 .LBB2091_45
; %bb.19:
	v_cmp_gt_u64_e64 s[0:1], v[2:3], v[4:5]
	v_cndmask_b32_e64 v15, v5, v3, s[0:1]
	v_cndmask_b32_e64 v14, v4, v2, s[0:1]
	v_cmp_gt_u64_e64 s[0:1], v[14:15], v[10:11]
	v_cndmask_b32_e64 v15, v11, v15, s[0:1]
	v_cndmask_b32_e64 v14, v10, v14, s[0:1]
	;; [unrolled: 3-line block ×6, first 2 shown]
	v_add_lshl_u32 v14, v1, v0, 3
	ds_write_b64 v14, v[22:23]
	s_waitcnt lgkmcnt(0)
	s_barrier
	s_and_saveexec_b64 s[8:9], vcc
	s_cbranch_execz .LBB2091_23
; %bb.20:
	v_lshlrev_b32_e32 v14, 1, v0
	v_lshrrev_b32_e32 v15, 4, v0
	v_add_lshl_u32 v24, v15, v14, 3
	ds_read2_b64 v[14:17], v24 offset1:1
	v_mbcnt_lo_u32_b32 v18, -1, 0
	v_mbcnt_hi_u32_b32 v25, -1, v18
	v_and_b32_e32 v26, 15, v25
	v_and_b32_e32 v30, 16, v25
	s_waitcnt lgkmcnt(0)
	v_cmp_gt_u64_e64 s[0:1], v[14:15], v[16:17]
	v_cndmask_b32_e64 v17, v17, v15, s[0:1]
	v_cndmask_b32_e64 v16, v16, v14, s[0:1]
	v_cmp_ne_u32_e64 s[2:3], 0, v25
	v_mov_b32_dpp v19, v17 row_shr:1 row_mask:0xf bank_mask:0xf
	v_mov_b32_dpp v18, v16 row_shr:1 row_mask:0xf bank_mask:0xf
	v_cmp_gt_u64_e64 s[0:1], v[18:19], v[16:17]
	v_cndmask_b32_e64 v18, v16, v18, s[0:1]
	v_cndmask_b32_e64 v19, v17, v19, s[0:1]
	v_cmp_eq_u32_e64 s[0:1], 0, v26
	v_cndmask_b32_e64 v19, v19, v17, s[0:1]
	v_cndmask_b32_e64 v18, v18, v16, s[0:1]
	s_nop 0
	v_mov_b32_dpp v21, v19 row_shr:2 row_mask:0xf bank_mask:0xf
	v_mov_b32_dpp v20, v18 row_shr:2 row_mask:0xf bank_mask:0xf
	v_cmp_gt_u64_e64 s[0:1], v[20:21], v[18:19]
	v_cndmask_b32_e64 v20, v18, v20, s[0:1]
	v_cndmask_b32_e64 v21, v19, v21, s[0:1]
	v_cmp_lt_u32_e64 s[0:1], 1, v26
	v_cndmask_b32_e64 v19, v19, v21, s[0:1]
	v_cndmask_b32_e64 v18, v18, v20, s[0:1]
	s_nop 0
	v_mov_b32_dpp v21, v19 row_shr:4 row_mask:0xf bank_mask:0xf
	v_mov_b32_dpp v20, v18 row_shr:4 row_mask:0xf bank_mask:0xf
	v_cmp_gt_u64_e64 s[0:1], v[20:21], v[18:19]
	v_cndmask_b32_e64 v20, v18, v20, s[0:1]
	v_cndmask_b32_e64 v21, v19, v21, s[0:1]
	v_cmp_lt_u32_e64 s[0:1], 3, v26
	;; [unrolled: 9-line block ×3, first 2 shown]
	v_cndmask_b32_e64 v19, v19, v21, s[0:1]
	v_cndmask_b32_e64 v18, v18, v20, s[0:1]
	s_nop 0
	v_mov_b32_dpp v21, v19 row_bcast:15 row_mask:0xf bank_mask:0xf
	v_mov_b32_dpp v20, v18 row_bcast:15 row_mask:0xf bank_mask:0xf
	v_cmp_gt_u64_e64 s[0:1], v[20:21], v[18:19]
	v_cndmask_b32_e64 v26, v19, v21, s[0:1]
	v_cndmask_b32_e64 v27, v18, v20, s[0:1]
	v_cmp_eq_u32_e64 s[0:1], 0, v30
	v_cndmask_b32_e64 v21, v26, v19, s[0:1]
	v_cndmask_b32_e64 v20, v27, v18, s[0:1]
	s_nop 0
	v_mov_b32_dpp v21, v21 row_bcast:31 row_mask:0xf bank_mask:0xf
	v_mov_b32_dpp v20, v20 row_bcast:31 row_mask:0xf bank_mask:0xf
	s_and_saveexec_b64 s[10:11], s[2:3]
; %bb.21:
	v_cndmask_b32_e64 v17, v26, v19, s[0:1]
	v_cndmask_b32_e64 v16, v27, v18, s[0:1]
	v_cmp_lt_u32_e64 s[2:3], 31, v25
	v_cmp_gt_u64_e64 s[0:1], v[20:21], v[16:17]
	s_and_b64 s[0:1], s[2:3], s[0:1]
	v_cndmask_b32_e64 v16, v16, v20, s[0:1]
	v_cndmask_b32_e64 v17, v17, v21, s[0:1]
; %bb.22:
	s_or_b64 exec, exec, s[10:11]
	v_add_u32_e32 v18, -1, v25
	v_and_b32_e32 v19, 64, v25
	v_cmp_lt_i32_e64 s[0:1], v18, v19
	v_cndmask_b32_e64 v18, v18, v25, s[0:1]
	v_lshlrev_b32_e32 v18, 2, v18
	ds_bpermute_b32 v16, v18, v16
	ds_bpermute_b32 v17, v18, v17
	; wave barrier
	s_waitcnt lgkmcnt(0)
	v_cmp_gt_u64_e64 s[0:1], v[16:17], v[14:15]
	v_cndmask_b32_e64 v14, v14, v16, s[0:1]
	v_cndmask_b32_e64 v15, v15, v17, s[0:1]
	v_cmp_eq_u32_e64 s[0:1], 0, v0
	v_cndmask_b32_e64 v15, v15, v23, s[0:1]
	v_cndmask_b32_e64 v14, v14, v22, s[0:1]
	ds_write_b64 v24, v[14:15]
	; wave barrier
	ds_read_b64 v[16:17], v24 offset:8
	s_waitcnt lgkmcnt(0)
	v_cmp_gt_u64_e64 s[0:1], v[14:15], v[16:17]
	v_cndmask_b32_e64 v15, v17, v15, s[0:1]
	v_cndmask_b32_e64 v14, v16, v14, s[0:1]
	ds_write_b64 v24, v[14:15] offset:8
.LBB2091_23:
	s_or_b64 exec, exec, s[8:9]
	v_cmp_eq_u32_e64 s[0:1], 0, v0
	v_cmp_ne_u32_e64 s[2:3], 0, v0
	s_waitcnt lgkmcnt(0)
	s_barrier
	s_and_saveexec_b64 s[8:9], s[2:3]
	s_cbranch_execz .LBB2091_25
; %bb.24:
	v_add_u32_e32 v14, -1, v0
	v_lshrrev_b32_e32 v15, 5, v14
	v_add_lshl_u32 v14, v15, v14, 3
	ds_read_b64 v[22:23], v14
.LBB2091_25:
	s_or_b64 exec, exec, s[8:9]
	s_and_saveexec_b64 s[26:27], vcc
	s_cbranch_execz .LBB2091_44
; %bb.26:
	v_mov_b32_e32 v17, 0
	ds_read_b64 v[14:15], v17 offset:1040
	v_mbcnt_lo_u32_b32 v16, -1, 0
	v_mbcnt_hi_u32_b32 v25, -1, v16
	s_mov_b32 s11, 0
	v_cmp_eq_u32_e64 s[2:3], 0, v25
	s_and_saveexec_b64 s[8:9], s[2:3]
	s_cbranch_execz .LBB2091_28
; %bb.27:
	s_add_i32 s10, s6, 64
	s_lshl_b64 s[10:11], s[10:11], 4
	s_add_u32 s10, s24, s10
	s_addc_u32 s11, s25, s11
	v_mov_b32_e32 v16, 1
	v_pk_mov_b32 v[18:19], s[10:11], s[10:11] op_sel:[0,1]
	s_waitcnt lgkmcnt(0)
	;;#ASMSTART
	global_store_dwordx4 v[18:19], v[14:17] off	
s_waitcnt vmcnt(0)
	;;#ASMEND
.LBB2091_28:
	s_or_b64 exec, exec, s[8:9]
	v_xad_u32 v24, v25, -1, s6
	v_add_u32_e32 v16, 64, v24
	v_lshlrev_b64 v[18:19], 4, v[16:17]
	v_mov_b32_e32 v16, s25
	v_add_co_u32_e32 v26, vcc, s24, v18
	v_addc_co_u32_e32 v27, vcc, v16, v19, vcc
	;;#ASMSTART
	global_load_dwordx4 v[18:21], v[26:27] off glc	
s_waitcnt vmcnt(0)
	;;#ASMEND
	v_and_b32_e32 v16, 0xff, v19
	v_and_b32_e32 v21, 0xff00, v19
	v_or3_b32 v16, 0, v16, v21
	v_or3_b32 v18, v18, 0, 0
	v_and_b32_e32 v21, 0xff000000, v19
	v_and_b32_e32 v19, 0xff0000, v19
	v_or3_b32 v19, v16, v19, v21
	v_or3_b32 v18, v18, 0, 0
	v_cmp_eq_u16_sdwa s[10:11], v20, v17 src0_sel:BYTE_0 src1_sel:DWORD
	s_and_saveexec_b64 s[8:9], s[10:11]
	s_cbranch_execz .LBB2091_32
; %bb.29:
	s_mov_b64 s[10:11], 0
	v_mov_b32_e32 v16, 0
.LBB2091_30:                            ; =>This Inner Loop Header: Depth=1
	;;#ASMSTART
	global_load_dwordx4 v[18:21], v[26:27] off glc	
s_waitcnt vmcnt(0)
	;;#ASMEND
	v_cmp_ne_u16_sdwa s[12:13], v20, v16 src0_sel:BYTE_0 src1_sel:DWORD
	s_or_b64 s[10:11], s[12:13], s[10:11]
	s_andn2_b64 exec, exec, s[10:11]
	s_cbranch_execnz .LBB2091_30
; %bb.31:
	s_or_b64 exec, exec, s[10:11]
.LBB2091_32:
	s_or_b64 exec, exec, s[8:9]
	v_and_b32_e32 v33, 63, v25
	v_cmp_ne_u32_e32 vcc, 63, v33
	v_mov_b32_e32 v32, 2
	v_addc_co_u32_e32 v26, vcc, 0, v25, vcc
	v_cmp_eq_u16_sdwa s[8:9], v20, v32 src0_sel:BYTE_0 src1_sel:DWORD
	v_lshlrev_b64 v[16:17], v25, -1
	v_lshlrev_b32_e32 v34, 2, v26
	v_and_b32_e32 v21, s9, v17
	ds_bpermute_b32 v26, v34, v18
	ds_bpermute_b32 v27, v34, v19
	v_or_b32_e32 v21, 0x80000000, v21
	v_and_b32_e32 v30, s8, v16
	v_ffbl_b32_e32 v21, v21
	v_add_u32_e32 v21, 32, v21
	v_ffbl_b32_e32 v30, v30
	v_min_u32_e32 v21, v30, v21
	s_waitcnt lgkmcnt(0)
	v_cmp_gt_u64_e64 s[8:9], v[26:27], v[18:19]
	v_cmp_lt_u32_e32 vcc, v33, v21
	v_cndmask_b32_e64 v26, v18, v26, s[8:9]
	s_and_b64 s[8:9], vcc, s[8:9]
	v_cndmask_b32_e64 v27, v19, v27, s[8:9]
	v_cmp_gt_u32_e64 s[8:9], 62, v33
	v_cndmask_b32_e64 v30, 0, 1, s[8:9]
	v_lshlrev_b32_e32 v30, 1, v30
	v_cndmask_b32_e32 v26, v18, v26, vcc
	v_add_lshl_u32 v35, v30, v25, 2
	ds_bpermute_b32 v30, v35, v26
	ds_bpermute_b32 v31, v35, v27
	v_add_u32_e32 v39, 2, v33
	v_cmp_gt_u32_e64 s[10:11], 56, v33
	v_add_u32_e32 v41, 4, v33
	v_cndmask_b32_e64 v42, 0, 1, s[10:11]
	s_waitcnt lgkmcnt(0)
	v_cmp_gt_u64_e64 s[8:9], v[30:31], v[26:27]
	v_cndmask_b32_e64 v31, v27, v31, s[8:9]
	v_cndmask_b32_e64 v30, v26, v30, s[8:9]
	v_cmp_gt_u32_e64 s[8:9], v39, v21
	v_cndmask_b32_e64 v26, v30, v26, s[8:9]
	v_cndmask_b32_e64 v27, v31, v27, s[8:9]
	v_cmp_gt_u32_e64 s[8:9], 60, v33
	v_cndmask_b32_e64 v30, 0, 1, s[8:9]
	v_lshlrev_b32_e32 v30, 2, v30
	v_add_lshl_u32 v40, v30, v25, 2
	ds_bpermute_b32 v30, v40, v26
	ds_bpermute_b32 v31, v40, v27
	v_lshlrev_b32_e32 v42, 3, v42
	v_add_lshl_u32 v42, v42, v25, 2
	v_cmp_gt_u32_e64 s[12:13], 48, v33
	v_add_u32_e32 v43, 8, v33
	s_waitcnt lgkmcnt(0)
	v_cmp_gt_u64_e64 s[8:9], v[30:31], v[26:27]
	v_cndmask_b32_e64 v50, v27, v31, s[8:9]
	v_cndmask_b32_e64 v51, v26, v30, s[8:9]
	v_cmp_gt_u32_e64 s[8:9], v41, v21
	v_cndmask_b32_e64 v30, v51, v26, s[8:9]
	v_cndmask_b32_e64 v31, v50, v27, s[8:9]
	ds_bpermute_b32 v44, v42, v30
	ds_bpermute_b32 v45, v42, v31
	v_cmp_gt_u32_e64 s[14:15], 32, v33
	v_cndmask_b32_e32 v19, v19, v27, vcc
	v_cndmask_b32_e32 v18, v18, v26, vcc
	v_cndmask_b32_e64 v18, v51, v18, s[8:9]
	s_waitcnt lgkmcnt(0)
	v_cmp_gt_u64_e64 s[10:11], v[44:45], v[30:31]
	v_cndmask_b32_e64 v53, v30, v44, s[10:11]
	v_cndmask_b32_e64 v44, 0, 1, s[12:13]
	;; [unrolled: 1-line block ×3, first 2 shown]
	v_cmp_gt_u32_e64 s[10:11], v43, v21
	v_lshlrev_b32_e32 v44, 4, v44
	v_cndmask_b32_e64 v30, v53, v30, s[10:11]
	v_cndmask_b32_e64 v31, v52, v31, s[10:11]
	v_add_lshl_u32 v44, v44, v25, 2
	ds_bpermute_b32 v46, v44, v30
	ds_bpermute_b32 v47, v44, v31
	v_add_u32_e32 v45, 16, v33
	v_cndmask_b32_e64 v19, v50, v19, s[8:9]
	v_cndmask_b32_e64 v19, v52, v19, s[10:11]
	;; [unrolled: 1-line block ×3, first 2 shown]
	s_waitcnt lgkmcnt(0)
	v_cmp_gt_u64_e64 s[12:13], v[46:47], v[30:31]
	v_cndmask_b32_e64 v55, v30, v46, s[12:13]
	v_cndmask_b32_e64 v46, 0, 1, s[14:15]
	;; [unrolled: 1-line block ×3, first 2 shown]
	v_cmp_gt_u32_e64 s[12:13], v45, v21
	v_lshlrev_b32_e32 v46, 5, v46
	v_cndmask_b32_e64 v30, v55, v30, s[12:13]
	v_add_lshl_u32 v46, v46, v25, 2
	v_cndmask_b32_e64 v31, v54, v31, s[12:13]
	ds_bpermute_b32 v48, v46, v30
	ds_bpermute_b32 v49, v46, v31
	v_add_u32_e32 v47, 32, v33
	v_cndmask_b32_e64 v18, v55, v18, s[12:13]
	v_cndmask_b32_e64 v19, v54, v19, s[12:13]
	v_cmp_gt_u32_e32 vcc, v47, v21
	s_waitcnt lgkmcnt(0)
	v_cmp_gt_u64_e64 s[14:15], v[48:49], v[30:31]
	v_cndmask_b32_e64 v25, v30, v48, s[14:15]
	v_cndmask_b32_e64 v30, v31, v49, s[14:15]
	v_cndmask_b32_e32 v19, v30, v19, vcc
	v_cndmask_b32_e32 v18, v25, v18, vcc
	v_mov_b32_e32 v25, 0
	s_branch .LBB2091_34
.LBB2091_33:                            ;   in Loop: Header=BB2091_34 Depth=1
	s_or_b64 exec, exec, s[8:9]
	v_cmp_eq_u16_sdwa s[8:9], v20, v32 src0_sel:BYTE_0 src1_sel:DWORD
	v_and_b32_e32 v21, s9, v17
	ds_bpermute_b32 v30, v34, v18
	ds_bpermute_b32 v31, v34, v19
	v_or_b32_e32 v21, 0x80000000, v21
	v_and_b32_e32 v48, s8, v16
	v_ffbl_b32_e32 v21, v21
	v_add_u32_e32 v21, 32, v21
	v_ffbl_b32_e32 v48, v48
	v_min_u32_e32 v21, v48, v21
	s_waitcnt lgkmcnt(0)
	v_cmp_gt_u64_e32 vcc, v[30:31], v[18:19]
	v_cmp_lt_u32_e64 s[8:9], v33, v21
	v_cndmask_b32_e32 v30, v18, v30, vcc
	s_and_b64 vcc, s[8:9], vcc
	v_cndmask_b32_e64 v30, v18, v30, s[8:9]
	v_cndmask_b32_e32 v31, v19, v31, vcc
	ds_bpermute_b32 v48, v35, v30
	ds_bpermute_b32 v49, v35, v31
	v_subrev_u32_e32 v24, 64, v24
	s_waitcnt lgkmcnt(0)
	v_cmp_gt_u64_e32 vcc, v[48:49], v[30:31]
	v_cndmask_b32_e32 v49, v31, v49, vcc
	v_cndmask_b32_e32 v48, v30, v48, vcc
	v_cmp_gt_u32_e32 vcc, v39, v21
	v_cndmask_b32_e32 v30, v48, v30, vcc
	v_cndmask_b32_e32 v31, v49, v31, vcc
	ds_bpermute_b32 v48, v40, v30
	ds_bpermute_b32 v49, v40, v31
	v_cndmask_b32_e64 v19, v19, v31, s[8:9]
	v_cndmask_b32_e64 v18, v18, v30, s[8:9]
	s_waitcnt lgkmcnt(0)
	v_cmp_gt_u64_e32 vcc, v[48:49], v[30:31]
	v_cndmask_b32_e32 v52, v31, v49, vcc
	v_cndmask_b32_e32 v53, v30, v48, vcc
	v_cmp_gt_u32_e32 vcc, v41, v21
	v_cndmask_b32_e32 v48, v53, v30, vcc
	v_cndmask_b32_e32 v49, v52, v31, vcc
	ds_bpermute_b32 v50, v42, v48
	ds_bpermute_b32 v51, v42, v49
	v_cndmask_b32_e32 v18, v53, v18, vcc
	v_cndmask_b32_e32 v19, v52, v19, vcc
	v_cmp_gt_u32_e32 vcc, v47, v21
	s_waitcnt lgkmcnt(0)
	v_cmp_gt_u64_e64 s[10:11], v[50:51], v[48:49]
	v_cndmask_b32_e64 v54, v49, v51, s[10:11]
	v_cndmask_b32_e64 v55, v48, v50, s[10:11]
	v_cmp_gt_u32_e64 s[10:11], v43, v21
	v_cndmask_b32_e64 v48, v55, v48, s[10:11]
	v_cndmask_b32_e64 v49, v54, v49, s[10:11]
	ds_bpermute_b32 v50, v44, v48
	ds_bpermute_b32 v51, v44, v49
	v_cndmask_b32_e64 v19, v54, v19, s[10:11]
	v_cndmask_b32_e64 v18, v55, v18, s[10:11]
	s_waitcnt lgkmcnt(0)
	v_cmp_gt_u64_e64 s[12:13], v[50:51], v[48:49]
	v_cndmask_b32_e64 v56, v49, v51, s[12:13]
	v_cndmask_b32_e64 v57, v48, v50, s[12:13]
	v_cmp_gt_u32_e64 s[12:13], v45, v21
	v_cndmask_b32_e64 v48, v57, v48, s[12:13]
	v_cndmask_b32_e64 v49, v56, v49, s[12:13]
	ds_bpermute_b32 v50, v46, v48
	ds_bpermute_b32 v51, v46, v49
	v_cndmask_b32_e64 v18, v57, v18, s[12:13]
	v_cndmask_b32_e64 v19, v56, v19, s[12:13]
	s_waitcnt lgkmcnt(0)
	v_cmp_gt_u64_e64 s[14:15], v[50:51], v[48:49]
	v_cndmask_b32_e64 v48, v48, v50, s[14:15]
	v_cndmask_b32_e64 v49, v49, v51, s[14:15]
	v_cndmask_b32_e32 v19, v49, v19, vcc
	v_cndmask_b32_e32 v18, v48, v18, vcc
	v_cmp_gt_u64_e32 vcc, v[18:19], v[26:27]
	v_cndmask_b32_e32 v19, v27, v19, vcc
	v_cndmask_b32_e32 v18, v26, v18, vcc
.LBB2091_34:                            ; =>This Loop Header: Depth=1
                                        ;     Child Loop BB2091_37 Depth 2
	v_cmp_ne_u16_sdwa s[8:9], v20, v32 src0_sel:BYTE_0 src1_sel:DWORD
	v_cndmask_b32_e64 v20, 0, 1, s[8:9]
	;;#ASMSTART
	;;#ASMEND
	v_cmp_ne_u32_e32 vcc, 0, v20
	s_cmp_lg_u64 vcc, exec
	v_pk_mov_b32 v[26:27], v[18:19], v[18:19] op_sel:[0,1]
	s_cbranch_scc1 .LBB2091_39
; %bb.35:                               ;   in Loop: Header=BB2091_34 Depth=1
	v_lshlrev_b64 v[18:19], 4, v[24:25]
	v_mov_b32_e32 v20, s25
	v_add_co_u32_e32 v30, vcc, s24, v18
	v_addc_co_u32_e32 v31, vcc, v20, v19, vcc
	;;#ASMSTART
	global_load_dwordx4 v[18:21], v[30:31] off glc	
s_waitcnt vmcnt(0)
	;;#ASMEND
	v_and_b32_e32 v21, 0xff, v19
	v_and_b32_e32 v48, 0xff00, v19
	v_or3_b32 v21, 0, v21, v48
	v_or3_b32 v18, v18, 0, 0
	v_and_b32_e32 v48, 0xff000000, v19
	v_and_b32_e32 v19, 0xff0000, v19
	v_or3_b32 v19, v21, v19, v48
	v_or3_b32 v18, v18, 0, 0
	v_cmp_eq_u16_sdwa s[10:11], v20, v25 src0_sel:BYTE_0 src1_sel:DWORD
	s_and_saveexec_b64 s[8:9], s[10:11]
	s_cbranch_execz .LBB2091_33
; %bb.36:                               ;   in Loop: Header=BB2091_34 Depth=1
	s_mov_b64 s[10:11], 0
.LBB2091_37:                            ;   Parent Loop BB2091_34 Depth=1
                                        ; =>  This Inner Loop Header: Depth=2
	;;#ASMSTART
	global_load_dwordx4 v[18:21], v[30:31] off glc	
s_waitcnt vmcnt(0)
	;;#ASMEND
	v_cmp_ne_u16_sdwa s[12:13], v20, v25 src0_sel:BYTE_0 src1_sel:DWORD
	s_or_b64 s[10:11], s[12:13], s[10:11]
	s_andn2_b64 exec, exec, s[10:11]
	s_cbranch_execnz .LBB2091_37
; %bb.38:                               ;   in Loop: Header=BB2091_34 Depth=1
	s_or_b64 exec, exec, s[10:11]
	s_branch .LBB2091_33
.LBB2091_39:                            ;   in Loop: Header=BB2091_34 Depth=1
                                        ; implicit-def: $vgpr18_vgpr19
                                        ; implicit-def: $vgpr20
	s_cbranch_execz .LBB2091_34
; %bb.40:
	s_and_saveexec_b64 s[8:9], s[2:3]
	s_cbranch_execz .LBB2091_42
; %bb.41:
	s_add_i32 s2, s6, 64
	s_mov_b32 s3, 0
	s_lshl_b64 s[2:3], s[2:3], 4
	s_add_u32 s2, s24, s2
	v_cmp_gt_u64_e32 vcc, v[26:27], v[14:15]
	s_addc_u32 s3, s25, s3
	v_cndmask_b32_e32 v15, v15, v27, vcc
	v_cndmask_b32_e32 v14, v14, v26, vcc
	v_mov_b32_e32 v16, 2
	v_mov_b32_e32 v17, 0
	v_pk_mov_b32 v[18:19], s[2:3], s[2:3] op_sel:[0,1]
	;;#ASMSTART
	global_store_dwordx4 v[18:19], v[14:17] off	
s_waitcnt vmcnt(0)
	;;#ASMEND
.LBB2091_42:
	s_or_b64 exec, exec, s[8:9]
	s_and_b64 exec, exec, s[0:1]
	s_cbranch_execz .LBB2091_44
; %bb.43:
	v_mov_b32_e32 v14, 0
	ds_write_b64 v14, v[26:27]
.LBB2091_44:
	s_or_b64 exec, exec, s[26:27]
	v_mov_b32_e32 v14, 0
	s_waitcnt lgkmcnt(0)
	s_barrier
	ds_read_b64 v[14:15], v14
	v_cmp_gt_u64_e32 vcc, v[22:23], v[2:3]
	v_cndmask_b32_e32 v16, v2, v22, vcc
	v_cndmask_b32_e32 v17, v3, v23, vcc
	v_cndmask_b32_e64 v17, v17, v3, s[0:1]
	v_cndmask_b32_e64 v16, v16, v2, s[0:1]
	s_waitcnt lgkmcnt(0)
	v_cmp_gt_u64_e32 vcc, v[14:15], v[16:17]
	v_cndmask_b32_e32 v25, v17, v15, vcc
	v_cndmask_b32_e32 v24, v16, v14, vcc
	v_cmp_gt_u64_e32 vcc, v[24:25], v[4:5]
	v_cndmask_b32_e32 v31, v5, v25, vcc
	v_cndmask_b32_e32 v30, v4, v24, vcc
	;; [unrolled: 3-line block ×7, first 2 shown]
	s_load_dwordx8 s[4:11], s[4:5], 0x40
	s_branch .LBB2091_59
.LBB2091_45:
                                        ; implicit-def: $vgpr22_vgpr23
                                        ; implicit-def: $vgpr34_vgpr35
                                        ; implicit-def: $vgpr32_vgpr33
                                        ; implicit-def: $vgpr30_vgpr31
                                        ; implicit-def: $vgpr18_vgpr19_vgpr20_vgpr21
                                        ; implicit-def: $vgpr14_vgpr15_vgpr16_vgpr17
                                        ; implicit-def: $vgpr24_vgpr25_vgpr26_vgpr27
	s_load_dwordx8 s[4:11], s[4:5], 0x40
	s_cbranch_execz .LBB2091_59
; %bb.46:
	s_waitcnt lgkmcnt(0)
	s_cmp_lg_u64 s[8:9], 0
	s_cselect_b64 s[2:3], -1, 0
	v_cmp_eq_u32_e64 s[0:1], 0, v0
	v_cmp_ne_u32_e32 vcc, 0, v0
	s_and_b64 s[2:3], s[0:1], s[2:3]
	s_and_saveexec_b64 s[8:9], s[2:3]
	s_cbranch_execz .LBB2091_48
; %bb.47:
	v_mov_b32_e32 v14, 0
	global_load_dwordx2 v[14:15], v14, s[4:5]
	s_waitcnt vmcnt(0)
	v_cmp_gt_u64_e64 s[2:3], v[14:15], v[2:3]
	v_cndmask_b32_e64 v3, v3, v15, s[2:3]
	v_cndmask_b32_e64 v2, v2, v14, s[2:3]
.LBB2091_48:
	s_or_b64 exec, exec, s[8:9]
	v_cmp_gt_u64_e64 s[2:3], v[2:3], v[4:5]
	v_cndmask_b32_e64 v31, v5, v3, s[2:3]
	v_cndmask_b32_e64 v30, v4, v2, s[2:3]
	v_cmp_gt_u64_e64 s[2:3], v[30:31], v[10:11]
	v_cndmask_b32_e64 v15, v11, v31, s[2:3]
	v_cndmask_b32_e64 v14, v10, v30, s[2:3]
	;; [unrolled: 3-line block ×6, first 2 shown]
	v_add_lshl_u32 v1, v1, v0, 3
	v_cmp_gt_u32_e64 s[2:3], 64, v0
	ds_write_b64 v1, v[22:23]
	s_waitcnt lgkmcnt(0)
	s_barrier
	s_and_saveexec_b64 s[8:9], s[2:3]
	s_cbranch_execz .LBB2091_52
; %bb.49:
	v_lshlrev_b32_e32 v1, 1, v0
	v_lshrrev_b32_e32 v16, 4, v0
	v_add_lshl_u32 v1, v16, v1, 3
	ds_read2_b64 v[24:27], v1 offset1:1
	v_mbcnt_lo_u32_b32 v16, -1, 0
	v_mbcnt_hi_u32_b32 v39, -1, v16
	v_and_b32_e32 v40, 15, v39
	v_and_b32_e32 v42, 16, v39
	s_waitcnt lgkmcnt(0)
	v_cmp_gt_u64_e64 s[2:3], v[24:25], v[26:27]
	v_cndmask_b32_e64 v17, v27, v25, s[2:3]
	v_cndmask_b32_e64 v16, v26, v24, s[2:3]
	v_cmp_ne_u32_e64 s[4:5], 0, v39
	v_mov_b32_dpp v21, v17 row_shr:1 row_mask:0xf bank_mask:0xf
	v_mov_b32_dpp v20, v16 row_shr:1 row_mask:0xf bank_mask:0xf
	v_cmp_gt_u64_e64 s[2:3], v[20:21], v[16:17]
	v_cndmask_b32_e64 v20, v16, v20, s[2:3]
	v_cndmask_b32_e64 v21, v17, v21, s[2:3]
	v_cmp_eq_u32_e64 s[2:3], 0, v40
	v_cndmask_b32_e64 v21, v21, v17, s[2:3]
	v_cndmask_b32_e64 v20, v20, v16, s[2:3]
	s_nop 0
	v_mov_b32_dpp v27, v21 row_shr:2 row_mask:0xf bank_mask:0xf
	v_mov_b32_dpp v26, v20 row_shr:2 row_mask:0xf bank_mask:0xf
	v_cmp_gt_u64_e64 s[2:3], v[26:27], v[20:21]
	v_cndmask_b32_e64 v26, v20, v26, s[2:3]
	v_cndmask_b32_e64 v27, v21, v27, s[2:3]
	v_cmp_lt_u32_e64 s[2:3], 1, v40
	v_cndmask_b32_e64 v21, v21, v27, s[2:3]
	v_cndmask_b32_e64 v20, v20, v26, s[2:3]
	s_nop 0
	v_mov_b32_dpp v27, v21 row_shr:4 row_mask:0xf bank_mask:0xf
	v_mov_b32_dpp v26, v20 row_shr:4 row_mask:0xf bank_mask:0xf
	v_cmp_gt_u64_e64 s[2:3], v[26:27], v[20:21]
	v_cndmask_b32_e64 v26, v20, v26, s[2:3]
	v_cndmask_b32_e64 v27, v21, v27, s[2:3]
	v_cmp_lt_u32_e64 s[2:3], 3, v40
	;; [unrolled: 9-line block ×3, first 2 shown]
	v_cndmask_b32_e64 v21, v21, v27, s[2:3]
	v_cndmask_b32_e64 v20, v20, v26, s[2:3]
	s_nop 0
	v_mov_b32_dpp v27, v21 row_bcast:15 row_mask:0xf bank_mask:0xf
	v_mov_b32_dpp v26, v20 row_bcast:15 row_mask:0xf bank_mask:0xf
	v_cmp_gt_u64_e64 s[2:3], v[26:27], v[20:21]
	v_cndmask_b32_e64 v40, v21, v27, s[2:3]
	v_cndmask_b32_e64 v41, v20, v26, s[2:3]
	v_cmp_eq_u32_e64 s[2:3], 0, v42
	v_cndmask_b32_e64 v27, v40, v21, s[2:3]
	v_cndmask_b32_e64 v26, v41, v20, s[2:3]
	s_nop 0
	v_mov_b32_dpp v27, v27 row_bcast:31 row_mask:0xf bank_mask:0xf
	v_mov_b32_dpp v26, v26 row_bcast:31 row_mask:0xf bank_mask:0xf
	s_and_saveexec_b64 s[12:13], s[4:5]
; %bb.50:
	v_cndmask_b32_e64 v17, v40, v21, s[2:3]
	v_cndmask_b32_e64 v16, v41, v20, s[2:3]
	v_cmp_lt_u32_e64 s[4:5], 31, v39
	v_cmp_gt_u64_e64 s[2:3], v[26:27], v[16:17]
	s_and_b64 s[2:3], s[4:5], s[2:3]
	v_cndmask_b32_e64 v16, v16, v26, s[2:3]
	v_cndmask_b32_e64 v17, v17, v27, s[2:3]
; %bb.51:
	s_or_b64 exec, exec, s[12:13]
	v_add_u32_e32 v20, -1, v39
	v_and_b32_e32 v21, 64, v39
	v_cmp_lt_i32_e64 s[2:3], v20, v21
	v_cndmask_b32_e64 v20, v20, v39, s[2:3]
	v_lshlrev_b32_e32 v20, 2, v20
	ds_bpermute_b32 v16, v20, v16
	ds_bpermute_b32 v17, v20, v17
	; wave barrier
	s_waitcnt lgkmcnt(0)
	v_cmp_gt_u64_e64 s[2:3], v[16:17], v[24:25]
	v_cndmask_b32_e64 v16, v24, v16, s[2:3]
	v_cndmask_b32_e64 v17, v25, v17, s[2:3]
	;; [unrolled: 1-line block ×4, first 2 shown]
	ds_write_b64 v1, v[16:17]
	; wave barrier
	ds_read_b64 v[20:21], v1 offset:8
	s_waitcnt lgkmcnt(0)
	v_cmp_gt_u64_e64 s[0:1], v[16:17], v[20:21]
	v_cndmask_b32_e64 v17, v21, v17, s[0:1]
	v_cndmask_b32_e64 v16, v20, v16, s[0:1]
	ds_write_b64 v1, v[16:17] offset:8
.LBB2091_52:
	s_or_b64 exec, exec, s[8:9]
	v_pk_mov_b32 v[16:17], v[22:23], v[22:23] op_sel:[0,1]
	s_waitcnt lgkmcnt(0)
	s_barrier
	s_and_saveexec_b64 s[0:1], vcc
	s_cbranch_execz .LBB2091_54
; %bb.53:
	v_add_u32_e32 v1, -1, v0
	v_lshrrev_b32_e32 v16, 5, v1
	v_add_lshl_u32 v1, v16, v1, 3
	ds_read_b64 v[16:17], v1
.LBB2091_54:
	s_or_b64 exec, exec, s[0:1]
	s_and_saveexec_b64 s[0:1], vcc
	s_cbranch_execz .LBB2091_56
; %bb.55:
	s_waitcnt lgkmcnt(0)
	v_cmp_gt_u64_e32 vcc, v[16:17], v[2:3]
	v_cndmask_b32_e32 v3, v3, v17, vcc
	v_cndmask_b32_e32 v2, v2, v16, vcc
	v_cmp_gt_u64_e32 vcc, v[2:3], v[4:5]
	v_cndmask_b32_e32 v31, v5, v3, vcc
	v_cndmask_b32_e32 v30, v4, v2, vcc
	;; [unrolled: 3-line block ×7, first 2 shown]
	;;#ASMSTART
	;;#ASMEND
.LBB2091_56:
	s_or_b64 exec, exec, s[0:1]
	s_movk_i32 s0, 0x7f
	v_cmp_eq_u32_e32 vcc, s0, v0
	s_and_saveexec_b64 s[0:1], vcc
	s_cbranch_execz .LBB2091_58
; %bb.57:
	s_add_u32 s2, s24, 0x400
	s_addc_u32 s3, s25, 0
	v_mov_b32_e32 v24, 2
	v_mov_b32_e32 v25, 0
	v_pk_mov_b32 v[4:5], s[2:3], s[2:3] op_sel:[0,1]
	;;#ASMSTART
	global_store_dwordx4 v[4:5], v[22:25] off	
s_waitcnt vmcnt(0)
	;;#ASMEND
.LBB2091_58:
	s_or_b64 exec, exec, s[0:1]
	v_pk_mov_b32 v[24:25], v[2:3], v[2:3] op_sel:[0,1]
.LBB2091_59:
	s_add_u32 s0, s16, s20
	s_addc_u32 s1, s17, s21
	s_add_u32 s2, s0, s22
	s_addc_u32 s3, s1, s23
	s_mov_b64 s[0:1], -1
	s_and_b64 vcc, exec, s[18:19]
	s_waitcnt lgkmcnt(0)
	s_barrier
	s_cbranch_vccz .LBB2091_61
; %bb.60:
	v_mul_u32_u24_e32 v1, 56, v0
	ds_write2_b64 v1, v[24:25], v[30:31] offset1:1
	ds_write2_b64 v1, v[14:15], v[32:33] offset0:2 offset1:3
	ds_write2_b64 v1, v[18:19], v[34:35] offset0:4 offset1:5
	ds_write_b64 v1, v[22:23] offset:48
	v_mul_i32_i24_e32 v1, 0xffffffd0, v0
	v_mad_u32_u24 v1, v0, 56, v1
	s_waitcnt lgkmcnt(0)
	s_barrier
	ds_read2st64_b64 v[2:5], v1 offset1:2
	ds_read2st64_b64 v[6:9], v1 offset0:4 offset1:6
	ds_read2st64_b64 v[10:13], v1 offset0:8 offset1:10
	ds_read_b64 v[16:17], v1 offset:6144
	v_mov_b32_e32 v1, s3
	v_add_co_u32_e32 v20, vcc, s2, v36
	v_addc_co_u32_e32 v21, vcc, 0, v1, vcc
	s_waitcnt lgkmcnt(3)
	flat_store_dwordx2 v[20:21], v[2:3]
	flat_store_dwordx2 v[20:21], v[4:5] offset:1024
	s_waitcnt lgkmcnt(0)
	flat_store_dwordx2 v[20:21], v[6:7] offset:2048
	flat_store_dwordx2 v[20:21], v[8:9] offset:3072
	v_add_co_u32_e32 v2, vcc, 0x1000, v20
	v_addc_co_u32_e32 v3, vcc, 0, v21, vcc
	flat_store_dwordx2 v[2:3], v[10:11]
	flat_store_dwordx2 v[2:3], v[12:13] offset:1024
	flat_store_dwordx2 v[2:3], v[16:17] offset:2048
	s_mov_b64 s[0:1], 0
.LBB2091_61:
	s_andn2_b64 vcc, exec, s[0:1]
	s_cbranch_vccnz .LBB2091_100
; %bb.62:
	s_movk_i32 s0, 0xffd0
	ds_write2_b64 v38, v[24:25], v[30:31] offset1:1
	ds_write2_b64 v38, v[14:15], v[32:33] offset0:2 offset1:3
	ds_write2_b64 v38, v[18:19], v[34:35] offset0:4 offset1:5
	ds_write_b64 v38, v[22:23] offset:48
	v_mad_i32_i24 v14, v0, s0, v38
	s_waitcnt lgkmcnt(0)
	s_barrier
	ds_read2st64_b64 v[2:5], v14 offset1:2
	ds_read2st64_b64 v[6:9], v14 offset0:4 offset1:6
	ds_read2st64_b64 v[10:13], v14 offset0:8 offset1:10
	ds_read_b64 v[14:15], v14 offset:6144
	v_mov_b32_e32 v17, s3
	v_add_co_u32_e32 v16, vcc, s2, v36
	v_addc_co_u32_e32 v17, vcc, 0, v17, vcc
	v_mov_b32_e32 v1, 0
	v_cmp_gt_u32_e32 vcc, s28, v0
	s_and_saveexec_b64 s[0:1], vcc
	s_cbranch_execz .LBB2091_64
; %bb.63:
	s_waitcnt lgkmcnt(0)
	flat_store_dwordx2 v[16:17], v[2:3]
.LBB2091_64:
	s_or_b64 exec, exec, s[0:1]
	v_or_b32_e32 v18, 0x80, v0
	v_cmp_gt_u32_e32 vcc, s28, v18
	s_and_saveexec_b64 s[0:1], vcc
	s_cbranch_execz .LBB2091_66
; %bb.65:
	s_waitcnt lgkmcnt(0)
	flat_store_dwordx2 v[16:17], v[4:5] offset:1024
.LBB2091_66:
	s_or_b64 exec, exec, s[0:1]
	v_or_b32_e32 v18, 0x100, v0
	v_cmp_gt_u32_e32 vcc, s28, v18
	s_and_saveexec_b64 s[0:1], vcc
	s_cbranch_execz .LBB2091_68
; %bb.67:
	s_waitcnt lgkmcnt(0)
	flat_store_dwordx2 v[16:17], v[6:7] offset:2048
.LBB2091_68:
	;; [unrolled: 9-line block ×3, first 2 shown]
	s_or_b64 exec, exec, s[0:1]
	v_or_b32_e32 v18, 0x200, v0
	v_cmp_gt_u32_e32 vcc, s28, v18
	s_and_saveexec_b64 s[0:1], vcc
	s_cbranch_execz .LBB2091_72
; %bb.71:
	v_add_co_u32_e32 v18, vcc, 0x1000, v16
	v_addc_co_u32_e32 v19, vcc, 0, v17, vcc
	s_waitcnt lgkmcnt(0)
	flat_store_dwordx2 v[18:19], v[10:11]
.LBB2091_72:
	s_or_b64 exec, exec, s[0:1]
	v_or_b32_e32 v18, 0x280, v0
	v_cmp_gt_u32_e32 vcc, s28, v18
	s_and_saveexec_b64 s[0:1], vcc
	s_cbranch_execz .LBB2091_74
; %bb.73:
	v_add_co_u32_e32 v18, vcc, 0x1000, v16
	v_addc_co_u32_e32 v19, vcc, 0, v17, vcc
	s_waitcnt lgkmcnt(0)
	flat_store_dwordx2 v[18:19], v[12:13] offset:1024
.LBB2091_74:
	s_or_b64 exec, exec, s[0:1]
	v_or_b32_e32 v18, 0x300, v0
	v_cmp_gt_u32_e32 vcc, s28, v18
	s_and_saveexec_b64 s[0:1], vcc
	s_cbranch_execz .LBB2091_76
; %bb.75:
	v_add_co_u32_e32 v16, vcc, 0x1000, v16
	v_addc_co_u32_e32 v17, vcc, 0, v17, vcc
	s_waitcnt lgkmcnt(0)
	flat_store_dwordx2 v[16:17], v[14:15] offset:2048
.LBB2091_76:
	s_or_b64 exec, exec, s[0:1]
	v_cmp_lt_u64_e64 s[0:1], s[10:11], 2
	s_and_b64 vcc, exec, s[0:1]
	s_cbranch_vccnz .LBB2091_100
; %bb.77:
	s_add_u32 s0, s28, -1
	s_addc_u32 s1, s29, -1
	s_add_u32 s2, 0, 0x92481000
	s_addc_u32 s3, 0, 0x64
	s_add_i32 s3, s3, 0x249248c0
	s_mul_hi_u32 s9, s2, -7
	s_sub_i32 s9, s9, s2
	s_mul_i32 s10, s3, -7
	s_mul_i32 s4, s2, -7
	s_add_i32 s9, s9, s10
	s_mul_hi_u32 s5, s3, s4
	s_mul_i32 s8, s3, s4
	s_mul_i32 s11, s2, s9
	s_mul_hi_u32 s4, s2, s4
	s_mul_hi_u32 s10, s2, s9
	s_add_u32 s4, s4, s11
	s_addc_u32 s10, 0, s10
	s_add_u32 s4, s4, s8
	s_mul_hi_u32 s11, s3, s9
	s_addc_u32 s4, s10, s5
	s_addc_u32 s5, s11, 0
	s_mul_i32 s8, s3, s9
	s_add_u32 s4, s4, s8
	v_mov_b32_e32 v16, s4
	s_addc_u32 s5, 0, s5
	v_add_co_u32_e32 v16, vcc, s2, v16
	s_cmp_lg_u64 vcc, 0
	s_addc_u32 s2, s3, s5
	v_readfirstlane_b32 s5, v16
	s_mul_i32 s4, s0, s2
	s_mul_hi_u32 s8, s0, s5
	s_mul_hi_u32 s3, s0, s2
	s_add_u32 s4, s8, s4
	s_addc_u32 s3, 0, s3
	s_mul_hi_u32 s9, s1, s5
	s_mul_i32 s5, s1, s5
	s_add_u32 s4, s4, s5
	s_mul_hi_u32 s8, s1, s2
	s_addc_u32 s3, s3, s9
	s_addc_u32 s4, s8, 0
	s_mul_i32 s2, s1, s2
	s_add_u32 s2, s3, s2
	s_addc_u32 s3, 0, s4
	s_add_u32 s4, s2, 1
	s_addc_u32 s5, s3, 0
	s_add_u32 s8, s2, 2
	s_mul_i32 s10, s3, 7
	s_mul_hi_u32 s11, s2, 7
	s_addc_u32 s9, s3, 0
	s_add_i32 s11, s11, s10
	s_mul_i32 s10, s2, 7
	v_mov_b32_e32 v16, s10
	v_sub_co_u32_e32 v16, vcc, s0, v16
	s_cmp_lg_u64 vcc, 0
	s_subb_u32 s10, s1, s11
	v_subrev_co_u32_e32 v17, vcc, 7, v16
	s_cmp_lg_u64 vcc, 0
	s_subb_u32 s11, s10, 0
	v_readfirstlane_b32 s12, v17
	s_cmp_gt_u32 s12, 6
	s_cselect_b32 s12, -1, 0
	s_cmp_eq_u32 s11, 0
	s_cselect_b32 s11, s12, -1
	s_cmp_lg_u32 s11, 0
	s_cselect_b32 s4, s8, s4
	v_readfirstlane_b32 s8, v16
	s_cselect_b32 s5, s9, s5
	s_cmp_gt_u32 s8, 6
	s_cselect_b32 s8, -1, 0
	s_cmp_eq_u32 s10, 0
	s_cselect_b32 s8, s8, -1
	s_cmp_lg_u32 s8, 0
	s_cselect_b32 s3, s5, s3
	s_cselect_b32 s2, s4, s2
	v_cmp_eq_u64_e32 vcc, s[2:3], v[0:1]
	s_and_saveexec_b64 s[2:3], vcc
	s_cbranch_execz .LBB2091_100
; %bb.78:
	v_mul_hi_u32_u24_e32 v1, 7, v0
	v_mov_b32_e32 v16, s1
	v_sub_co_u32_e32 v0, vcc, s0, v37
	v_subb_co_u32_e32 v1, vcc, v16, v1, vcc
	v_cmp_lt_i64_e32 vcc, 3, v[0:1]
	s_and_saveexec_b64 s[0:1], vcc
	s_xor_b64 s[0:1], exec, s[0:1]
	s_cbranch_execz .LBB2091_88
; %bb.79:
	v_cmp_lt_i64_e32 vcc, 4, v[0:1]
	s_and_saveexec_b64 s[2:3], vcc
	s_xor_b64 s[2:3], exec, s[2:3]
	s_cbranch_execz .LBB2091_85
; %bb.80:
	;; [unrolled: 5-line block ×3, first 2 shown]
	v_mov_b32_e32 v0, 0
	s_waitcnt lgkmcnt(0)
	global_store_dwordx2 v0, v[14:15], s[6:7]
                                        ; implicit-def: $vgpr10_vgpr11_vgpr12_vgpr13
.LBB2091_82:
	s_andn2_saveexec_b64 s[4:5], s[4:5]
	s_cbranch_execz .LBB2091_84
; %bb.83:
	v_mov_b32_e32 v0, 0
	s_waitcnt lgkmcnt(0)
	global_store_dwordx2 v0, v[12:13], s[6:7]
.LBB2091_84:
	s_or_b64 exec, exec, s[4:5]
                                        ; implicit-def: $vgpr10_vgpr11_vgpr12_vgpr13
.LBB2091_85:
	s_andn2_saveexec_b64 s[2:3], s[2:3]
	s_cbranch_execz .LBB2091_87
; %bb.86:
	v_mov_b32_e32 v0, 0
	s_waitcnt lgkmcnt(0)
	global_store_dwordx2 v0, v[10:11], s[6:7]
.LBB2091_87:
	s_or_b64 exec, exec, s[2:3]
                                        ; implicit-def: $vgpr0_vgpr1
                                        ; implicit-def: $vgpr2_vgpr3_vgpr4_vgpr5
                                        ; implicit-def: $vgpr6_vgpr7_vgpr8_vgpr9
.LBB2091_88:
	s_andn2_saveexec_b64 s[0:1], s[0:1]
	s_cbranch_execz .LBB2091_100
; %bb.89:
	v_cmp_lt_i64_e32 vcc, 1, v[0:1]
	s_and_saveexec_b64 s[0:1], vcc
	s_xor_b64 s[0:1], exec, s[0:1]
	s_cbranch_execz .LBB2091_95
; %bb.90:
	v_cmp_lt_i64_e32 vcc, 2, v[0:1]
	s_and_saveexec_b64 s[2:3], vcc
	s_xor_b64 s[2:3], exec, s[2:3]
	s_cbranch_execz .LBB2091_92
; %bb.91:
	v_mov_b32_e32 v0, 0
	s_waitcnt lgkmcnt(0)
	global_store_dwordx2 v0, v[8:9], s[6:7]
                                        ; implicit-def: $vgpr6_vgpr7_vgpr8_vgpr9
.LBB2091_92:
	s_andn2_saveexec_b64 s[2:3], s[2:3]
	s_cbranch_execz .LBB2091_94
; %bb.93:
	v_mov_b32_e32 v0, 0
	s_waitcnt lgkmcnt(0)
	global_store_dwordx2 v0, v[6:7], s[6:7]
.LBB2091_94:
	s_or_b64 exec, exec, s[2:3]
                                        ; implicit-def: $vgpr2_vgpr3_vgpr4_vgpr5
                                        ; implicit-def: $vgpr0_vgpr1
.LBB2091_95:
	s_andn2_saveexec_b64 s[0:1], s[0:1]
	s_cbranch_execz .LBB2091_100
; %bb.96:
	v_cmp_ne_u64_e32 vcc, 1, v[0:1]
	s_and_saveexec_b64 s[0:1], vcc
	s_xor_b64 s[0:1], exec, s[0:1]
	s_cbranch_execz .LBB2091_98
; %bb.97:
	v_mov_b32_e32 v0, 0
	s_waitcnt lgkmcnt(0)
	global_store_dwordx2 v0, v[2:3], s[6:7]
                                        ; implicit-def: $vgpr2_vgpr3_vgpr4_vgpr5
.LBB2091_98:
	s_andn2_saveexec_b64 s[0:1], s[0:1]
	s_cbranch_execz .LBB2091_100
; %bb.99:
	v_mov_b32_e32 v0, 0
	s_waitcnt lgkmcnt(0)
	global_store_dwordx2 v0, v[4:5], s[6:7]
.LBB2091_100:
	s_endpgm
	.section	.rodata,"a",@progbits
	.p2align	6, 0x0
	.amdhsa_kernel _ZN7rocprim17ROCPRIM_400000_NS6detail17trampoline_kernelINS0_14default_configENS1_20scan_config_selectorIyEEZZNS1_9scan_implILNS1_25lookback_scan_determinismE0ELb0ELb0ES3_N6thrust23THRUST_200600_302600_NS6detail15normal_iteratorINS9_10device_ptrIyEEEESE_y11max_functorIyEyEEDaPvRmT3_T4_T5_mT6_P12ihipStream_tbENKUlT_T0_E_clISt17integral_constantIbLb0EESU_EEDaSP_SQ_EUlSP_E_NS1_11comp_targetILNS1_3genE4ELNS1_11target_archE910ELNS1_3gpuE8ELNS1_3repE0EEENS1_30default_config_static_selectorELNS0_4arch9wavefront6targetE1EEEvT1_
		.amdhsa_group_segment_fixed_size 7168
		.amdhsa_private_segment_fixed_size 0
		.amdhsa_kernarg_size 104
		.amdhsa_user_sgpr_count 6
		.amdhsa_user_sgpr_private_segment_buffer 1
		.amdhsa_user_sgpr_dispatch_ptr 0
		.amdhsa_user_sgpr_queue_ptr 0
		.amdhsa_user_sgpr_kernarg_segment_ptr 1
		.amdhsa_user_sgpr_dispatch_id 0
		.amdhsa_user_sgpr_flat_scratch_init 0
		.amdhsa_user_sgpr_kernarg_preload_length 0
		.amdhsa_user_sgpr_kernarg_preload_offset 0
		.amdhsa_user_sgpr_private_segment_size 0
		.amdhsa_uses_dynamic_stack 0
		.amdhsa_system_sgpr_private_segment_wavefront_offset 0
		.amdhsa_system_sgpr_workgroup_id_x 1
		.amdhsa_system_sgpr_workgroup_id_y 0
		.amdhsa_system_sgpr_workgroup_id_z 0
		.amdhsa_system_sgpr_workgroup_info 0
		.amdhsa_system_vgpr_workitem_id 0
		.amdhsa_next_free_vgpr 58
		.amdhsa_next_free_sgpr 30
		.amdhsa_accum_offset 60
		.amdhsa_reserve_vcc 1
		.amdhsa_reserve_flat_scratch 0
		.amdhsa_float_round_mode_32 0
		.amdhsa_float_round_mode_16_64 0
		.amdhsa_float_denorm_mode_32 3
		.amdhsa_float_denorm_mode_16_64 3
		.amdhsa_dx10_clamp 1
		.amdhsa_ieee_mode 1
		.amdhsa_fp16_overflow 0
		.amdhsa_tg_split 0
		.amdhsa_exception_fp_ieee_invalid_op 0
		.amdhsa_exception_fp_denorm_src 0
		.amdhsa_exception_fp_ieee_div_zero 0
		.amdhsa_exception_fp_ieee_overflow 0
		.amdhsa_exception_fp_ieee_underflow 0
		.amdhsa_exception_fp_ieee_inexact 0
		.amdhsa_exception_int_div_zero 0
	.end_amdhsa_kernel
	.section	.text._ZN7rocprim17ROCPRIM_400000_NS6detail17trampoline_kernelINS0_14default_configENS1_20scan_config_selectorIyEEZZNS1_9scan_implILNS1_25lookback_scan_determinismE0ELb0ELb0ES3_N6thrust23THRUST_200600_302600_NS6detail15normal_iteratorINS9_10device_ptrIyEEEESE_y11max_functorIyEyEEDaPvRmT3_T4_T5_mT6_P12ihipStream_tbENKUlT_T0_E_clISt17integral_constantIbLb0EESU_EEDaSP_SQ_EUlSP_E_NS1_11comp_targetILNS1_3genE4ELNS1_11target_archE910ELNS1_3gpuE8ELNS1_3repE0EEENS1_30default_config_static_selectorELNS0_4arch9wavefront6targetE1EEEvT1_,"axG",@progbits,_ZN7rocprim17ROCPRIM_400000_NS6detail17trampoline_kernelINS0_14default_configENS1_20scan_config_selectorIyEEZZNS1_9scan_implILNS1_25lookback_scan_determinismE0ELb0ELb0ES3_N6thrust23THRUST_200600_302600_NS6detail15normal_iteratorINS9_10device_ptrIyEEEESE_y11max_functorIyEyEEDaPvRmT3_T4_T5_mT6_P12ihipStream_tbENKUlT_T0_E_clISt17integral_constantIbLb0EESU_EEDaSP_SQ_EUlSP_E_NS1_11comp_targetILNS1_3genE4ELNS1_11target_archE910ELNS1_3gpuE8ELNS1_3repE0EEENS1_30default_config_static_selectorELNS0_4arch9wavefront6targetE1EEEvT1_,comdat
.Lfunc_end2091:
	.size	_ZN7rocprim17ROCPRIM_400000_NS6detail17trampoline_kernelINS0_14default_configENS1_20scan_config_selectorIyEEZZNS1_9scan_implILNS1_25lookback_scan_determinismE0ELb0ELb0ES3_N6thrust23THRUST_200600_302600_NS6detail15normal_iteratorINS9_10device_ptrIyEEEESE_y11max_functorIyEyEEDaPvRmT3_T4_T5_mT6_P12ihipStream_tbENKUlT_T0_E_clISt17integral_constantIbLb0EESU_EEDaSP_SQ_EUlSP_E_NS1_11comp_targetILNS1_3genE4ELNS1_11target_archE910ELNS1_3gpuE8ELNS1_3repE0EEENS1_30default_config_static_selectorELNS0_4arch9wavefront6targetE1EEEvT1_, .Lfunc_end2091-_ZN7rocprim17ROCPRIM_400000_NS6detail17trampoline_kernelINS0_14default_configENS1_20scan_config_selectorIyEEZZNS1_9scan_implILNS1_25lookback_scan_determinismE0ELb0ELb0ES3_N6thrust23THRUST_200600_302600_NS6detail15normal_iteratorINS9_10device_ptrIyEEEESE_y11max_functorIyEyEEDaPvRmT3_T4_T5_mT6_P12ihipStream_tbENKUlT_T0_E_clISt17integral_constantIbLb0EESU_EEDaSP_SQ_EUlSP_E_NS1_11comp_targetILNS1_3genE4ELNS1_11target_archE910ELNS1_3gpuE8ELNS1_3repE0EEENS1_30default_config_static_selectorELNS0_4arch9wavefront6targetE1EEEvT1_
                                        ; -- End function
	.section	.AMDGPU.csdata,"",@progbits
; Kernel info:
; codeLenInByte = 6040
; NumSgprs: 34
; NumVgprs: 58
; NumAgprs: 0
; TotalNumVgprs: 58
; ScratchSize: 0
; MemoryBound: 0
; FloatMode: 240
; IeeeMode: 1
; LDSByteSize: 7168 bytes/workgroup (compile time only)
; SGPRBlocks: 4
; VGPRBlocks: 7
; NumSGPRsForWavesPerEU: 34
; NumVGPRsForWavesPerEU: 58
; AccumOffset: 60
; Occupancy: 5
; WaveLimiterHint : 1
; COMPUTE_PGM_RSRC2:SCRATCH_EN: 0
; COMPUTE_PGM_RSRC2:USER_SGPR: 6
; COMPUTE_PGM_RSRC2:TRAP_HANDLER: 0
; COMPUTE_PGM_RSRC2:TGID_X_EN: 1
; COMPUTE_PGM_RSRC2:TGID_Y_EN: 0
; COMPUTE_PGM_RSRC2:TGID_Z_EN: 0
; COMPUTE_PGM_RSRC2:TIDIG_COMP_CNT: 0
; COMPUTE_PGM_RSRC3_GFX90A:ACCUM_OFFSET: 14
; COMPUTE_PGM_RSRC3_GFX90A:TG_SPLIT: 0
	.section	.text._ZN7rocprim17ROCPRIM_400000_NS6detail17trampoline_kernelINS0_14default_configENS1_20scan_config_selectorIyEEZZNS1_9scan_implILNS1_25lookback_scan_determinismE0ELb0ELb0ES3_N6thrust23THRUST_200600_302600_NS6detail15normal_iteratorINS9_10device_ptrIyEEEESE_y11max_functorIyEyEEDaPvRmT3_T4_T5_mT6_P12ihipStream_tbENKUlT_T0_E_clISt17integral_constantIbLb0EESU_EEDaSP_SQ_EUlSP_E_NS1_11comp_targetILNS1_3genE3ELNS1_11target_archE908ELNS1_3gpuE7ELNS1_3repE0EEENS1_30default_config_static_selectorELNS0_4arch9wavefront6targetE1EEEvT1_,"axG",@progbits,_ZN7rocprim17ROCPRIM_400000_NS6detail17trampoline_kernelINS0_14default_configENS1_20scan_config_selectorIyEEZZNS1_9scan_implILNS1_25lookback_scan_determinismE0ELb0ELb0ES3_N6thrust23THRUST_200600_302600_NS6detail15normal_iteratorINS9_10device_ptrIyEEEESE_y11max_functorIyEyEEDaPvRmT3_T4_T5_mT6_P12ihipStream_tbENKUlT_T0_E_clISt17integral_constantIbLb0EESU_EEDaSP_SQ_EUlSP_E_NS1_11comp_targetILNS1_3genE3ELNS1_11target_archE908ELNS1_3gpuE7ELNS1_3repE0EEENS1_30default_config_static_selectorELNS0_4arch9wavefront6targetE1EEEvT1_,comdat
	.protected	_ZN7rocprim17ROCPRIM_400000_NS6detail17trampoline_kernelINS0_14default_configENS1_20scan_config_selectorIyEEZZNS1_9scan_implILNS1_25lookback_scan_determinismE0ELb0ELb0ES3_N6thrust23THRUST_200600_302600_NS6detail15normal_iteratorINS9_10device_ptrIyEEEESE_y11max_functorIyEyEEDaPvRmT3_T4_T5_mT6_P12ihipStream_tbENKUlT_T0_E_clISt17integral_constantIbLb0EESU_EEDaSP_SQ_EUlSP_E_NS1_11comp_targetILNS1_3genE3ELNS1_11target_archE908ELNS1_3gpuE7ELNS1_3repE0EEENS1_30default_config_static_selectorELNS0_4arch9wavefront6targetE1EEEvT1_ ; -- Begin function _ZN7rocprim17ROCPRIM_400000_NS6detail17trampoline_kernelINS0_14default_configENS1_20scan_config_selectorIyEEZZNS1_9scan_implILNS1_25lookback_scan_determinismE0ELb0ELb0ES3_N6thrust23THRUST_200600_302600_NS6detail15normal_iteratorINS9_10device_ptrIyEEEESE_y11max_functorIyEyEEDaPvRmT3_T4_T5_mT6_P12ihipStream_tbENKUlT_T0_E_clISt17integral_constantIbLb0EESU_EEDaSP_SQ_EUlSP_E_NS1_11comp_targetILNS1_3genE3ELNS1_11target_archE908ELNS1_3gpuE7ELNS1_3repE0EEENS1_30default_config_static_selectorELNS0_4arch9wavefront6targetE1EEEvT1_
	.globl	_ZN7rocprim17ROCPRIM_400000_NS6detail17trampoline_kernelINS0_14default_configENS1_20scan_config_selectorIyEEZZNS1_9scan_implILNS1_25lookback_scan_determinismE0ELb0ELb0ES3_N6thrust23THRUST_200600_302600_NS6detail15normal_iteratorINS9_10device_ptrIyEEEESE_y11max_functorIyEyEEDaPvRmT3_T4_T5_mT6_P12ihipStream_tbENKUlT_T0_E_clISt17integral_constantIbLb0EESU_EEDaSP_SQ_EUlSP_E_NS1_11comp_targetILNS1_3genE3ELNS1_11target_archE908ELNS1_3gpuE7ELNS1_3repE0EEENS1_30default_config_static_selectorELNS0_4arch9wavefront6targetE1EEEvT1_
	.p2align	8
	.type	_ZN7rocprim17ROCPRIM_400000_NS6detail17trampoline_kernelINS0_14default_configENS1_20scan_config_selectorIyEEZZNS1_9scan_implILNS1_25lookback_scan_determinismE0ELb0ELb0ES3_N6thrust23THRUST_200600_302600_NS6detail15normal_iteratorINS9_10device_ptrIyEEEESE_y11max_functorIyEyEEDaPvRmT3_T4_T5_mT6_P12ihipStream_tbENKUlT_T0_E_clISt17integral_constantIbLb0EESU_EEDaSP_SQ_EUlSP_E_NS1_11comp_targetILNS1_3genE3ELNS1_11target_archE908ELNS1_3gpuE7ELNS1_3repE0EEENS1_30default_config_static_selectorELNS0_4arch9wavefront6targetE1EEEvT1_,@function
_ZN7rocprim17ROCPRIM_400000_NS6detail17trampoline_kernelINS0_14default_configENS1_20scan_config_selectorIyEEZZNS1_9scan_implILNS1_25lookback_scan_determinismE0ELb0ELb0ES3_N6thrust23THRUST_200600_302600_NS6detail15normal_iteratorINS9_10device_ptrIyEEEESE_y11max_functorIyEyEEDaPvRmT3_T4_T5_mT6_P12ihipStream_tbENKUlT_T0_E_clISt17integral_constantIbLb0EESU_EEDaSP_SQ_EUlSP_E_NS1_11comp_targetILNS1_3genE3ELNS1_11target_archE908ELNS1_3gpuE7ELNS1_3repE0EEENS1_30default_config_static_selectorELNS0_4arch9wavefront6targetE1EEEvT1_: ; @_ZN7rocprim17ROCPRIM_400000_NS6detail17trampoline_kernelINS0_14default_configENS1_20scan_config_selectorIyEEZZNS1_9scan_implILNS1_25lookback_scan_determinismE0ELb0ELb0ES3_N6thrust23THRUST_200600_302600_NS6detail15normal_iteratorINS9_10device_ptrIyEEEESE_y11max_functorIyEyEEDaPvRmT3_T4_T5_mT6_P12ihipStream_tbENKUlT_T0_E_clISt17integral_constantIbLb0EESU_EEDaSP_SQ_EUlSP_E_NS1_11comp_targetILNS1_3genE3ELNS1_11target_archE908ELNS1_3gpuE7ELNS1_3repE0EEENS1_30default_config_static_selectorELNS0_4arch9wavefront6targetE1EEEvT1_
; %bb.0:
	.section	.rodata,"a",@progbits
	.p2align	6, 0x0
	.amdhsa_kernel _ZN7rocprim17ROCPRIM_400000_NS6detail17trampoline_kernelINS0_14default_configENS1_20scan_config_selectorIyEEZZNS1_9scan_implILNS1_25lookback_scan_determinismE0ELb0ELb0ES3_N6thrust23THRUST_200600_302600_NS6detail15normal_iteratorINS9_10device_ptrIyEEEESE_y11max_functorIyEyEEDaPvRmT3_T4_T5_mT6_P12ihipStream_tbENKUlT_T0_E_clISt17integral_constantIbLb0EESU_EEDaSP_SQ_EUlSP_E_NS1_11comp_targetILNS1_3genE3ELNS1_11target_archE908ELNS1_3gpuE7ELNS1_3repE0EEENS1_30default_config_static_selectorELNS0_4arch9wavefront6targetE1EEEvT1_
		.amdhsa_group_segment_fixed_size 0
		.amdhsa_private_segment_fixed_size 0
		.amdhsa_kernarg_size 104
		.amdhsa_user_sgpr_count 6
		.amdhsa_user_sgpr_private_segment_buffer 1
		.amdhsa_user_sgpr_dispatch_ptr 0
		.amdhsa_user_sgpr_queue_ptr 0
		.amdhsa_user_sgpr_kernarg_segment_ptr 1
		.amdhsa_user_sgpr_dispatch_id 0
		.amdhsa_user_sgpr_flat_scratch_init 0
		.amdhsa_user_sgpr_kernarg_preload_length 0
		.amdhsa_user_sgpr_kernarg_preload_offset 0
		.amdhsa_user_sgpr_private_segment_size 0
		.amdhsa_uses_dynamic_stack 0
		.amdhsa_system_sgpr_private_segment_wavefront_offset 0
		.amdhsa_system_sgpr_workgroup_id_x 1
		.amdhsa_system_sgpr_workgroup_id_y 0
		.amdhsa_system_sgpr_workgroup_id_z 0
		.amdhsa_system_sgpr_workgroup_info 0
		.amdhsa_system_vgpr_workitem_id 0
		.amdhsa_next_free_vgpr 1
		.amdhsa_next_free_sgpr 0
		.amdhsa_accum_offset 4
		.amdhsa_reserve_vcc 0
		.amdhsa_reserve_flat_scratch 0
		.amdhsa_float_round_mode_32 0
		.amdhsa_float_round_mode_16_64 0
		.amdhsa_float_denorm_mode_32 3
		.amdhsa_float_denorm_mode_16_64 3
		.amdhsa_dx10_clamp 1
		.amdhsa_ieee_mode 1
		.amdhsa_fp16_overflow 0
		.amdhsa_tg_split 0
		.amdhsa_exception_fp_ieee_invalid_op 0
		.amdhsa_exception_fp_denorm_src 0
		.amdhsa_exception_fp_ieee_div_zero 0
		.amdhsa_exception_fp_ieee_overflow 0
		.amdhsa_exception_fp_ieee_underflow 0
		.amdhsa_exception_fp_ieee_inexact 0
		.amdhsa_exception_int_div_zero 0
	.end_amdhsa_kernel
	.section	.text._ZN7rocprim17ROCPRIM_400000_NS6detail17trampoline_kernelINS0_14default_configENS1_20scan_config_selectorIyEEZZNS1_9scan_implILNS1_25lookback_scan_determinismE0ELb0ELb0ES3_N6thrust23THRUST_200600_302600_NS6detail15normal_iteratorINS9_10device_ptrIyEEEESE_y11max_functorIyEyEEDaPvRmT3_T4_T5_mT6_P12ihipStream_tbENKUlT_T0_E_clISt17integral_constantIbLb0EESU_EEDaSP_SQ_EUlSP_E_NS1_11comp_targetILNS1_3genE3ELNS1_11target_archE908ELNS1_3gpuE7ELNS1_3repE0EEENS1_30default_config_static_selectorELNS0_4arch9wavefront6targetE1EEEvT1_,"axG",@progbits,_ZN7rocprim17ROCPRIM_400000_NS6detail17trampoline_kernelINS0_14default_configENS1_20scan_config_selectorIyEEZZNS1_9scan_implILNS1_25lookback_scan_determinismE0ELb0ELb0ES3_N6thrust23THRUST_200600_302600_NS6detail15normal_iteratorINS9_10device_ptrIyEEEESE_y11max_functorIyEyEEDaPvRmT3_T4_T5_mT6_P12ihipStream_tbENKUlT_T0_E_clISt17integral_constantIbLb0EESU_EEDaSP_SQ_EUlSP_E_NS1_11comp_targetILNS1_3genE3ELNS1_11target_archE908ELNS1_3gpuE7ELNS1_3repE0EEENS1_30default_config_static_selectorELNS0_4arch9wavefront6targetE1EEEvT1_,comdat
.Lfunc_end2092:
	.size	_ZN7rocprim17ROCPRIM_400000_NS6detail17trampoline_kernelINS0_14default_configENS1_20scan_config_selectorIyEEZZNS1_9scan_implILNS1_25lookback_scan_determinismE0ELb0ELb0ES3_N6thrust23THRUST_200600_302600_NS6detail15normal_iteratorINS9_10device_ptrIyEEEESE_y11max_functorIyEyEEDaPvRmT3_T4_T5_mT6_P12ihipStream_tbENKUlT_T0_E_clISt17integral_constantIbLb0EESU_EEDaSP_SQ_EUlSP_E_NS1_11comp_targetILNS1_3genE3ELNS1_11target_archE908ELNS1_3gpuE7ELNS1_3repE0EEENS1_30default_config_static_selectorELNS0_4arch9wavefront6targetE1EEEvT1_, .Lfunc_end2092-_ZN7rocprim17ROCPRIM_400000_NS6detail17trampoline_kernelINS0_14default_configENS1_20scan_config_selectorIyEEZZNS1_9scan_implILNS1_25lookback_scan_determinismE0ELb0ELb0ES3_N6thrust23THRUST_200600_302600_NS6detail15normal_iteratorINS9_10device_ptrIyEEEESE_y11max_functorIyEyEEDaPvRmT3_T4_T5_mT6_P12ihipStream_tbENKUlT_T0_E_clISt17integral_constantIbLb0EESU_EEDaSP_SQ_EUlSP_E_NS1_11comp_targetILNS1_3genE3ELNS1_11target_archE908ELNS1_3gpuE7ELNS1_3repE0EEENS1_30default_config_static_selectorELNS0_4arch9wavefront6targetE1EEEvT1_
                                        ; -- End function
	.section	.AMDGPU.csdata,"",@progbits
; Kernel info:
; codeLenInByte = 0
; NumSgprs: 4
; NumVgprs: 0
; NumAgprs: 0
; TotalNumVgprs: 0
; ScratchSize: 0
; MemoryBound: 0
; FloatMode: 240
; IeeeMode: 1
; LDSByteSize: 0 bytes/workgroup (compile time only)
; SGPRBlocks: 0
; VGPRBlocks: 0
; NumSGPRsForWavesPerEU: 4
; NumVGPRsForWavesPerEU: 1
; AccumOffset: 4
; Occupancy: 8
; WaveLimiterHint : 0
; COMPUTE_PGM_RSRC2:SCRATCH_EN: 0
; COMPUTE_PGM_RSRC2:USER_SGPR: 6
; COMPUTE_PGM_RSRC2:TRAP_HANDLER: 0
; COMPUTE_PGM_RSRC2:TGID_X_EN: 1
; COMPUTE_PGM_RSRC2:TGID_Y_EN: 0
; COMPUTE_PGM_RSRC2:TGID_Z_EN: 0
; COMPUTE_PGM_RSRC2:TIDIG_COMP_CNT: 0
; COMPUTE_PGM_RSRC3_GFX90A:ACCUM_OFFSET: 0
; COMPUTE_PGM_RSRC3_GFX90A:TG_SPLIT: 0
	.section	.text._ZN7rocprim17ROCPRIM_400000_NS6detail17trampoline_kernelINS0_14default_configENS1_20scan_config_selectorIyEEZZNS1_9scan_implILNS1_25lookback_scan_determinismE0ELb0ELb0ES3_N6thrust23THRUST_200600_302600_NS6detail15normal_iteratorINS9_10device_ptrIyEEEESE_y11max_functorIyEyEEDaPvRmT3_T4_T5_mT6_P12ihipStream_tbENKUlT_T0_E_clISt17integral_constantIbLb0EESU_EEDaSP_SQ_EUlSP_E_NS1_11comp_targetILNS1_3genE2ELNS1_11target_archE906ELNS1_3gpuE6ELNS1_3repE0EEENS1_30default_config_static_selectorELNS0_4arch9wavefront6targetE1EEEvT1_,"axG",@progbits,_ZN7rocprim17ROCPRIM_400000_NS6detail17trampoline_kernelINS0_14default_configENS1_20scan_config_selectorIyEEZZNS1_9scan_implILNS1_25lookback_scan_determinismE0ELb0ELb0ES3_N6thrust23THRUST_200600_302600_NS6detail15normal_iteratorINS9_10device_ptrIyEEEESE_y11max_functorIyEyEEDaPvRmT3_T4_T5_mT6_P12ihipStream_tbENKUlT_T0_E_clISt17integral_constantIbLb0EESU_EEDaSP_SQ_EUlSP_E_NS1_11comp_targetILNS1_3genE2ELNS1_11target_archE906ELNS1_3gpuE6ELNS1_3repE0EEENS1_30default_config_static_selectorELNS0_4arch9wavefront6targetE1EEEvT1_,comdat
	.protected	_ZN7rocprim17ROCPRIM_400000_NS6detail17trampoline_kernelINS0_14default_configENS1_20scan_config_selectorIyEEZZNS1_9scan_implILNS1_25lookback_scan_determinismE0ELb0ELb0ES3_N6thrust23THRUST_200600_302600_NS6detail15normal_iteratorINS9_10device_ptrIyEEEESE_y11max_functorIyEyEEDaPvRmT3_T4_T5_mT6_P12ihipStream_tbENKUlT_T0_E_clISt17integral_constantIbLb0EESU_EEDaSP_SQ_EUlSP_E_NS1_11comp_targetILNS1_3genE2ELNS1_11target_archE906ELNS1_3gpuE6ELNS1_3repE0EEENS1_30default_config_static_selectorELNS0_4arch9wavefront6targetE1EEEvT1_ ; -- Begin function _ZN7rocprim17ROCPRIM_400000_NS6detail17trampoline_kernelINS0_14default_configENS1_20scan_config_selectorIyEEZZNS1_9scan_implILNS1_25lookback_scan_determinismE0ELb0ELb0ES3_N6thrust23THRUST_200600_302600_NS6detail15normal_iteratorINS9_10device_ptrIyEEEESE_y11max_functorIyEyEEDaPvRmT3_T4_T5_mT6_P12ihipStream_tbENKUlT_T0_E_clISt17integral_constantIbLb0EESU_EEDaSP_SQ_EUlSP_E_NS1_11comp_targetILNS1_3genE2ELNS1_11target_archE906ELNS1_3gpuE6ELNS1_3repE0EEENS1_30default_config_static_selectorELNS0_4arch9wavefront6targetE1EEEvT1_
	.globl	_ZN7rocprim17ROCPRIM_400000_NS6detail17trampoline_kernelINS0_14default_configENS1_20scan_config_selectorIyEEZZNS1_9scan_implILNS1_25lookback_scan_determinismE0ELb0ELb0ES3_N6thrust23THRUST_200600_302600_NS6detail15normal_iteratorINS9_10device_ptrIyEEEESE_y11max_functorIyEyEEDaPvRmT3_T4_T5_mT6_P12ihipStream_tbENKUlT_T0_E_clISt17integral_constantIbLb0EESU_EEDaSP_SQ_EUlSP_E_NS1_11comp_targetILNS1_3genE2ELNS1_11target_archE906ELNS1_3gpuE6ELNS1_3repE0EEENS1_30default_config_static_selectorELNS0_4arch9wavefront6targetE1EEEvT1_
	.p2align	8
	.type	_ZN7rocprim17ROCPRIM_400000_NS6detail17trampoline_kernelINS0_14default_configENS1_20scan_config_selectorIyEEZZNS1_9scan_implILNS1_25lookback_scan_determinismE0ELb0ELb0ES3_N6thrust23THRUST_200600_302600_NS6detail15normal_iteratorINS9_10device_ptrIyEEEESE_y11max_functorIyEyEEDaPvRmT3_T4_T5_mT6_P12ihipStream_tbENKUlT_T0_E_clISt17integral_constantIbLb0EESU_EEDaSP_SQ_EUlSP_E_NS1_11comp_targetILNS1_3genE2ELNS1_11target_archE906ELNS1_3gpuE6ELNS1_3repE0EEENS1_30default_config_static_selectorELNS0_4arch9wavefront6targetE1EEEvT1_,@function
_ZN7rocprim17ROCPRIM_400000_NS6detail17trampoline_kernelINS0_14default_configENS1_20scan_config_selectorIyEEZZNS1_9scan_implILNS1_25lookback_scan_determinismE0ELb0ELb0ES3_N6thrust23THRUST_200600_302600_NS6detail15normal_iteratorINS9_10device_ptrIyEEEESE_y11max_functorIyEyEEDaPvRmT3_T4_T5_mT6_P12ihipStream_tbENKUlT_T0_E_clISt17integral_constantIbLb0EESU_EEDaSP_SQ_EUlSP_E_NS1_11comp_targetILNS1_3genE2ELNS1_11target_archE906ELNS1_3gpuE6ELNS1_3repE0EEENS1_30default_config_static_selectorELNS0_4arch9wavefront6targetE1EEEvT1_: ; @_ZN7rocprim17ROCPRIM_400000_NS6detail17trampoline_kernelINS0_14default_configENS1_20scan_config_selectorIyEEZZNS1_9scan_implILNS1_25lookback_scan_determinismE0ELb0ELb0ES3_N6thrust23THRUST_200600_302600_NS6detail15normal_iteratorINS9_10device_ptrIyEEEESE_y11max_functorIyEyEEDaPvRmT3_T4_T5_mT6_P12ihipStream_tbENKUlT_T0_E_clISt17integral_constantIbLb0EESU_EEDaSP_SQ_EUlSP_E_NS1_11comp_targetILNS1_3genE2ELNS1_11target_archE906ELNS1_3gpuE6ELNS1_3repE0EEENS1_30default_config_static_selectorELNS0_4arch9wavefront6targetE1EEEvT1_
; %bb.0:
	.section	.rodata,"a",@progbits
	.p2align	6, 0x0
	.amdhsa_kernel _ZN7rocprim17ROCPRIM_400000_NS6detail17trampoline_kernelINS0_14default_configENS1_20scan_config_selectorIyEEZZNS1_9scan_implILNS1_25lookback_scan_determinismE0ELb0ELb0ES3_N6thrust23THRUST_200600_302600_NS6detail15normal_iteratorINS9_10device_ptrIyEEEESE_y11max_functorIyEyEEDaPvRmT3_T4_T5_mT6_P12ihipStream_tbENKUlT_T0_E_clISt17integral_constantIbLb0EESU_EEDaSP_SQ_EUlSP_E_NS1_11comp_targetILNS1_3genE2ELNS1_11target_archE906ELNS1_3gpuE6ELNS1_3repE0EEENS1_30default_config_static_selectorELNS0_4arch9wavefront6targetE1EEEvT1_
		.amdhsa_group_segment_fixed_size 0
		.amdhsa_private_segment_fixed_size 0
		.amdhsa_kernarg_size 104
		.amdhsa_user_sgpr_count 6
		.amdhsa_user_sgpr_private_segment_buffer 1
		.amdhsa_user_sgpr_dispatch_ptr 0
		.amdhsa_user_sgpr_queue_ptr 0
		.amdhsa_user_sgpr_kernarg_segment_ptr 1
		.amdhsa_user_sgpr_dispatch_id 0
		.amdhsa_user_sgpr_flat_scratch_init 0
		.amdhsa_user_sgpr_kernarg_preload_length 0
		.amdhsa_user_sgpr_kernarg_preload_offset 0
		.amdhsa_user_sgpr_private_segment_size 0
		.amdhsa_uses_dynamic_stack 0
		.amdhsa_system_sgpr_private_segment_wavefront_offset 0
		.amdhsa_system_sgpr_workgroup_id_x 1
		.amdhsa_system_sgpr_workgroup_id_y 0
		.amdhsa_system_sgpr_workgroup_id_z 0
		.amdhsa_system_sgpr_workgroup_info 0
		.amdhsa_system_vgpr_workitem_id 0
		.amdhsa_next_free_vgpr 1
		.amdhsa_next_free_sgpr 0
		.amdhsa_accum_offset 4
		.amdhsa_reserve_vcc 0
		.amdhsa_reserve_flat_scratch 0
		.amdhsa_float_round_mode_32 0
		.amdhsa_float_round_mode_16_64 0
		.amdhsa_float_denorm_mode_32 3
		.amdhsa_float_denorm_mode_16_64 3
		.amdhsa_dx10_clamp 1
		.amdhsa_ieee_mode 1
		.amdhsa_fp16_overflow 0
		.amdhsa_tg_split 0
		.amdhsa_exception_fp_ieee_invalid_op 0
		.amdhsa_exception_fp_denorm_src 0
		.amdhsa_exception_fp_ieee_div_zero 0
		.amdhsa_exception_fp_ieee_overflow 0
		.amdhsa_exception_fp_ieee_underflow 0
		.amdhsa_exception_fp_ieee_inexact 0
		.amdhsa_exception_int_div_zero 0
	.end_amdhsa_kernel
	.section	.text._ZN7rocprim17ROCPRIM_400000_NS6detail17trampoline_kernelINS0_14default_configENS1_20scan_config_selectorIyEEZZNS1_9scan_implILNS1_25lookback_scan_determinismE0ELb0ELb0ES3_N6thrust23THRUST_200600_302600_NS6detail15normal_iteratorINS9_10device_ptrIyEEEESE_y11max_functorIyEyEEDaPvRmT3_T4_T5_mT6_P12ihipStream_tbENKUlT_T0_E_clISt17integral_constantIbLb0EESU_EEDaSP_SQ_EUlSP_E_NS1_11comp_targetILNS1_3genE2ELNS1_11target_archE906ELNS1_3gpuE6ELNS1_3repE0EEENS1_30default_config_static_selectorELNS0_4arch9wavefront6targetE1EEEvT1_,"axG",@progbits,_ZN7rocprim17ROCPRIM_400000_NS6detail17trampoline_kernelINS0_14default_configENS1_20scan_config_selectorIyEEZZNS1_9scan_implILNS1_25lookback_scan_determinismE0ELb0ELb0ES3_N6thrust23THRUST_200600_302600_NS6detail15normal_iteratorINS9_10device_ptrIyEEEESE_y11max_functorIyEyEEDaPvRmT3_T4_T5_mT6_P12ihipStream_tbENKUlT_T0_E_clISt17integral_constantIbLb0EESU_EEDaSP_SQ_EUlSP_E_NS1_11comp_targetILNS1_3genE2ELNS1_11target_archE906ELNS1_3gpuE6ELNS1_3repE0EEENS1_30default_config_static_selectorELNS0_4arch9wavefront6targetE1EEEvT1_,comdat
.Lfunc_end2093:
	.size	_ZN7rocprim17ROCPRIM_400000_NS6detail17trampoline_kernelINS0_14default_configENS1_20scan_config_selectorIyEEZZNS1_9scan_implILNS1_25lookback_scan_determinismE0ELb0ELb0ES3_N6thrust23THRUST_200600_302600_NS6detail15normal_iteratorINS9_10device_ptrIyEEEESE_y11max_functorIyEyEEDaPvRmT3_T4_T5_mT6_P12ihipStream_tbENKUlT_T0_E_clISt17integral_constantIbLb0EESU_EEDaSP_SQ_EUlSP_E_NS1_11comp_targetILNS1_3genE2ELNS1_11target_archE906ELNS1_3gpuE6ELNS1_3repE0EEENS1_30default_config_static_selectorELNS0_4arch9wavefront6targetE1EEEvT1_, .Lfunc_end2093-_ZN7rocprim17ROCPRIM_400000_NS6detail17trampoline_kernelINS0_14default_configENS1_20scan_config_selectorIyEEZZNS1_9scan_implILNS1_25lookback_scan_determinismE0ELb0ELb0ES3_N6thrust23THRUST_200600_302600_NS6detail15normal_iteratorINS9_10device_ptrIyEEEESE_y11max_functorIyEyEEDaPvRmT3_T4_T5_mT6_P12ihipStream_tbENKUlT_T0_E_clISt17integral_constantIbLb0EESU_EEDaSP_SQ_EUlSP_E_NS1_11comp_targetILNS1_3genE2ELNS1_11target_archE906ELNS1_3gpuE6ELNS1_3repE0EEENS1_30default_config_static_selectorELNS0_4arch9wavefront6targetE1EEEvT1_
                                        ; -- End function
	.section	.AMDGPU.csdata,"",@progbits
; Kernel info:
; codeLenInByte = 0
; NumSgprs: 4
; NumVgprs: 0
; NumAgprs: 0
; TotalNumVgprs: 0
; ScratchSize: 0
; MemoryBound: 0
; FloatMode: 240
; IeeeMode: 1
; LDSByteSize: 0 bytes/workgroup (compile time only)
; SGPRBlocks: 0
; VGPRBlocks: 0
; NumSGPRsForWavesPerEU: 4
; NumVGPRsForWavesPerEU: 1
; AccumOffset: 4
; Occupancy: 8
; WaveLimiterHint : 0
; COMPUTE_PGM_RSRC2:SCRATCH_EN: 0
; COMPUTE_PGM_RSRC2:USER_SGPR: 6
; COMPUTE_PGM_RSRC2:TRAP_HANDLER: 0
; COMPUTE_PGM_RSRC2:TGID_X_EN: 1
; COMPUTE_PGM_RSRC2:TGID_Y_EN: 0
; COMPUTE_PGM_RSRC2:TGID_Z_EN: 0
; COMPUTE_PGM_RSRC2:TIDIG_COMP_CNT: 0
; COMPUTE_PGM_RSRC3_GFX90A:ACCUM_OFFSET: 0
; COMPUTE_PGM_RSRC3_GFX90A:TG_SPLIT: 0
	.section	.text._ZN7rocprim17ROCPRIM_400000_NS6detail17trampoline_kernelINS0_14default_configENS1_20scan_config_selectorIyEEZZNS1_9scan_implILNS1_25lookback_scan_determinismE0ELb0ELb0ES3_N6thrust23THRUST_200600_302600_NS6detail15normal_iteratorINS9_10device_ptrIyEEEESE_y11max_functorIyEyEEDaPvRmT3_T4_T5_mT6_P12ihipStream_tbENKUlT_T0_E_clISt17integral_constantIbLb0EESU_EEDaSP_SQ_EUlSP_E_NS1_11comp_targetILNS1_3genE10ELNS1_11target_archE1201ELNS1_3gpuE5ELNS1_3repE0EEENS1_30default_config_static_selectorELNS0_4arch9wavefront6targetE1EEEvT1_,"axG",@progbits,_ZN7rocprim17ROCPRIM_400000_NS6detail17trampoline_kernelINS0_14default_configENS1_20scan_config_selectorIyEEZZNS1_9scan_implILNS1_25lookback_scan_determinismE0ELb0ELb0ES3_N6thrust23THRUST_200600_302600_NS6detail15normal_iteratorINS9_10device_ptrIyEEEESE_y11max_functorIyEyEEDaPvRmT3_T4_T5_mT6_P12ihipStream_tbENKUlT_T0_E_clISt17integral_constantIbLb0EESU_EEDaSP_SQ_EUlSP_E_NS1_11comp_targetILNS1_3genE10ELNS1_11target_archE1201ELNS1_3gpuE5ELNS1_3repE0EEENS1_30default_config_static_selectorELNS0_4arch9wavefront6targetE1EEEvT1_,comdat
	.protected	_ZN7rocprim17ROCPRIM_400000_NS6detail17trampoline_kernelINS0_14default_configENS1_20scan_config_selectorIyEEZZNS1_9scan_implILNS1_25lookback_scan_determinismE0ELb0ELb0ES3_N6thrust23THRUST_200600_302600_NS6detail15normal_iteratorINS9_10device_ptrIyEEEESE_y11max_functorIyEyEEDaPvRmT3_T4_T5_mT6_P12ihipStream_tbENKUlT_T0_E_clISt17integral_constantIbLb0EESU_EEDaSP_SQ_EUlSP_E_NS1_11comp_targetILNS1_3genE10ELNS1_11target_archE1201ELNS1_3gpuE5ELNS1_3repE0EEENS1_30default_config_static_selectorELNS0_4arch9wavefront6targetE1EEEvT1_ ; -- Begin function _ZN7rocprim17ROCPRIM_400000_NS6detail17trampoline_kernelINS0_14default_configENS1_20scan_config_selectorIyEEZZNS1_9scan_implILNS1_25lookback_scan_determinismE0ELb0ELb0ES3_N6thrust23THRUST_200600_302600_NS6detail15normal_iteratorINS9_10device_ptrIyEEEESE_y11max_functorIyEyEEDaPvRmT3_T4_T5_mT6_P12ihipStream_tbENKUlT_T0_E_clISt17integral_constantIbLb0EESU_EEDaSP_SQ_EUlSP_E_NS1_11comp_targetILNS1_3genE10ELNS1_11target_archE1201ELNS1_3gpuE5ELNS1_3repE0EEENS1_30default_config_static_selectorELNS0_4arch9wavefront6targetE1EEEvT1_
	.globl	_ZN7rocprim17ROCPRIM_400000_NS6detail17trampoline_kernelINS0_14default_configENS1_20scan_config_selectorIyEEZZNS1_9scan_implILNS1_25lookback_scan_determinismE0ELb0ELb0ES3_N6thrust23THRUST_200600_302600_NS6detail15normal_iteratorINS9_10device_ptrIyEEEESE_y11max_functorIyEyEEDaPvRmT3_T4_T5_mT6_P12ihipStream_tbENKUlT_T0_E_clISt17integral_constantIbLb0EESU_EEDaSP_SQ_EUlSP_E_NS1_11comp_targetILNS1_3genE10ELNS1_11target_archE1201ELNS1_3gpuE5ELNS1_3repE0EEENS1_30default_config_static_selectorELNS0_4arch9wavefront6targetE1EEEvT1_
	.p2align	8
	.type	_ZN7rocprim17ROCPRIM_400000_NS6detail17trampoline_kernelINS0_14default_configENS1_20scan_config_selectorIyEEZZNS1_9scan_implILNS1_25lookback_scan_determinismE0ELb0ELb0ES3_N6thrust23THRUST_200600_302600_NS6detail15normal_iteratorINS9_10device_ptrIyEEEESE_y11max_functorIyEyEEDaPvRmT3_T4_T5_mT6_P12ihipStream_tbENKUlT_T0_E_clISt17integral_constantIbLb0EESU_EEDaSP_SQ_EUlSP_E_NS1_11comp_targetILNS1_3genE10ELNS1_11target_archE1201ELNS1_3gpuE5ELNS1_3repE0EEENS1_30default_config_static_selectorELNS0_4arch9wavefront6targetE1EEEvT1_,@function
_ZN7rocprim17ROCPRIM_400000_NS6detail17trampoline_kernelINS0_14default_configENS1_20scan_config_selectorIyEEZZNS1_9scan_implILNS1_25lookback_scan_determinismE0ELb0ELb0ES3_N6thrust23THRUST_200600_302600_NS6detail15normal_iteratorINS9_10device_ptrIyEEEESE_y11max_functorIyEyEEDaPvRmT3_T4_T5_mT6_P12ihipStream_tbENKUlT_T0_E_clISt17integral_constantIbLb0EESU_EEDaSP_SQ_EUlSP_E_NS1_11comp_targetILNS1_3genE10ELNS1_11target_archE1201ELNS1_3gpuE5ELNS1_3repE0EEENS1_30default_config_static_selectorELNS0_4arch9wavefront6targetE1EEEvT1_: ; @_ZN7rocprim17ROCPRIM_400000_NS6detail17trampoline_kernelINS0_14default_configENS1_20scan_config_selectorIyEEZZNS1_9scan_implILNS1_25lookback_scan_determinismE0ELb0ELb0ES3_N6thrust23THRUST_200600_302600_NS6detail15normal_iteratorINS9_10device_ptrIyEEEESE_y11max_functorIyEyEEDaPvRmT3_T4_T5_mT6_P12ihipStream_tbENKUlT_T0_E_clISt17integral_constantIbLb0EESU_EEDaSP_SQ_EUlSP_E_NS1_11comp_targetILNS1_3genE10ELNS1_11target_archE1201ELNS1_3gpuE5ELNS1_3repE0EEENS1_30default_config_static_selectorELNS0_4arch9wavefront6targetE1EEEvT1_
; %bb.0:
	.section	.rodata,"a",@progbits
	.p2align	6, 0x0
	.amdhsa_kernel _ZN7rocprim17ROCPRIM_400000_NS6detail17trampoline_kernelINS0_14default_configENS1_20scan_config_selectorIyEEZZNS1_9scan_implILNS1_25lookback_scan_determinismE0ELb0ELb0ES3_N6thrust23THRUST_200600_302600_NS6detail15normal_iteratorINS9_10device_ptrIyEEEESE_y11max_functorIyEyEEDaPvRmT3_T4_T5_mT6_P12ihipStream_tbENKUlT_T0_E_clISt17integral_constantIbLb0EESU_EEDaSP_SQ_EUlSP_E_NS1_11comp_targetILNS1_3genE10ELNS1_11target_archE1201ELNS1_3gpuE5ELNS1_3repE0EEENS1_30default_config_static_selectorELNS0_4arch9wavefront6targetE1EEEvT1_
		.amdhsa_group_segment_fixed_size 0
		.amdhsa_private_segment_fixed_size 0
		.amdhsa_kernarg_size 104
		.amdhsa_user_sgpr_count 6
		.amdhsa_user_sgpr_private_segment_buffer 1
		.amdhsa_user_sgpr_dispatch_ptr 0
		.amdhsa_user_sgpr_queue_ptr 0
		.amdhsa_user_sgpr_kernarg_segment_ptr 1
		.amdhsa_user_sgpr_dispatch_id 0
		.amdhsa_user_sgpr_flat_scratch_init 0
		.amdhsa_user_sgpr_kernarg_preload_length 0
		.amdhsa_user_sgpr_kernarg_preload_offset 0
		.amdhsa_user_sgpr_private_segment_size 0
		.amdhsa_uses_dynamic_stack 0
		.amdhsa_system_sgpr_private_segment_wavefront_offset 0
		.amdhsa_system_sgpr_workgroup_id_x 1
		.amdhsa_system_sgpr_workgroup_id_y 0
		.amdhsa_system_sgpr_workgroup_id_z 0
		.amdhsa_system_sgpr_workgroup_info 0
		.amdhsa_system_vgpr_workitem_id 0
		.amdhsa_next_free_vgpr 1
		.amdhsa_next_free_sgpr 0
		.amdhsa_accum_offset 4
		.amdhsa_reserve_vcc 0
		.amdhsa_reserve_flat_scratch 0
		.amdhsa_float_round_mode_32 0
		.amdhsa_float_round_mode_16_64 0
		.amdhsa_float_denorm_mode_32 3
		.amdhsa_float_denorm_mode_16_64 3
		.amdhsa_dx10_clamp 1
		.amdhsa_ieee_mode 1
		.amdhsa_fp16_overflow 0
		.amdhsa_tg_split 0
		.amdhsa_exception_fp_ieee_invalid_op 0
		.amdhsa_exception_fp_denorm_src 0
		.amdhsa_exception_fp_ieee_div_zero 0
		.amdhsa_exception_fp_ieee_overflow 0
		.amdhsa_exception_fp_ieee_underflow 0
		.amdhsa_exception_fp_ieee_inexact 0
		.amdhsa_exception_int_div_zero 0
	.end_amdhsa_kernel
	.section	.text._ZN7rocprim17ROCPRIM_400000_NS6detail17trampoline_kernelINS0_14default_configENS1_20scan_config_selectorIyEEZZNS1_9scan_implILNS1_25lookback_scan_determinismE0ELb0ELb0ES3_N6thrust23THRUST_200600_302600_NS6detail15normal_iteratorINS9_10device_ptrIyEEEESE_y11max_functorIyEyEEDaPvRmT3_T4_T5_mT6_P12ihipStream_tbENKUlT_T0_E_clISt17integral_constantIbLb0EESU_EEDaSP_SQ_EUlSP_E_NS1_11comp_targetILNS1_3genE10ELNS1_11target_archE1201ELNS1_3gpuE5ELNS1_3repE0EEENS1_30default_config_static_selectorELNS0_4arch9wavefront6targetE1EEEvT1_,"axG",@progbits,_ZN7rocprim17ROCPRIM_400000_NS6detail17trampoline_kernelINS0_14default_configENS1_20scan_config_selectorIyEEZZNS1_9scan_implILNS1_25lookback_scan_determinismE0ELb0ELb0ES3_N6thrust23THRUST_200600_302600_NS6detail15normal_iteratorINS9_10device_ptrIyEEEESE_y11max_functorIyEyEEDaPvRmT3_T4_T5_mT6_P12ihipStream_tbENKUlT_T0_E_clISt17integral_constantIbLb0EESU_EEDaSP_SQ_EUlSP_E_NS1_11comp_targetILNS1_3genE10ELNS1_11target_archE1201ELNS1_3gpuE5ELNS1_3repE0EEENS1_30default_config_static_selectorELNS0_4arch9wavefront6targetE1EEEvT1_,comdat
.Lfunc_end2094:
	.size	_ZN7rocprim17ROCPRIM_400000_NS6detail17trampoline_kernelINS0_14default_configENS1_20scan_config_selectorIyEEZZNS1_9scan_implILNS1_25lookback_scan_determinismE0ELb0ELb0ES3_N6thrust23THRUST_200600_302600_NS6detail15normal_iteratorINS9_10device_ptrIyEEEESE_y11max_functorIyEyEEDaPvRmT3_T4_T5_mT6_P12ihipStream_tbENKUlT_T0_E_clISt17integral_constantIbLb0EESU_EEDaSP_SQ_EUlSP_E_NS1_11comp_targetILNS1_3genE10ELNS1_11target_archE1201ELNS1_3gpuE5ELNS1_3repE0EEENS1_30default_config_static_selectorELNS0_4arch9wavefront6targetE1EEEvT1_, .Lfunc_end2094-_ZN7rocprim17ROCPRIM_400000_NS6detail17trampoline_kernelINS0_14default_configENS1_20scan_config_selectorIyEEZZNS1_9scan_implILNS1_25lookback_scan_determinismE0ELb0ELb0ES3_N6thrust23THRUST_200600_302600_NS6detail15normal_iteratorINS9_10device_ptrIyEEEESE_y11max_functorIyEyEEDaPvRmT3_T4_T5_mT6_P12ihipStream_tbENKUlT_T0_E_clISt17integral_constantIbLb0EESU_EEDaSP_SQ_EUlSP_E_NS1_11comp_targetILNS1_3genE10ELNS1_11target_archE1201ELNS1_3gpuE5ELNS1_3repE0EEENS1_30default_config_static_selectorELNS0_4arch9wavefront6targetE1EEEvT1_
                                        ; -- End function
	.section	.AMDGPU.csdata,"",@progbits
; Kernel info:
; codeLenInByte = 0
; NumSgprs: 4
; NumVgprs: 0
; NumAgprs: 0
; TotalNumVgprs: 0
; ScratchSize: 0
; MemoryBound: 0
; FloatMode: 240
; IeeeMode: 1
; LDSByteSize: 0 bytes/workgroup (compile time only)
; SGPRBlocks: 0
; VGPRBlocks: 0
; NumSGPRsForWavesPerEU: 4
; NumVGPRsForWavesPerEU: 1
; AccumOffset: 4
; Occupancy: 8
; WaveLimiterHint : 0
; COMPUTE_PGM_RSRC2:SCRATCH_EN: 0
; COMPUTE_PGM_RSRC2:USER_SGPR: 6
; COMPUTE_PGM_RSRC2:TRAP_HANDLER: 0
; COMPUTE_PGM_RSRC2:TGID_X_EN: 1
; COMPUTE_PGM_RSRC2:TGID_Y_EN: 0
; COMPUTE_PGM_RSRC2:TGID_Z_EN: 0
; COMPUTE_PGM_RSRC2:TIDIG_COMP_CNT: 0
; COMPUTE_PGM_RSRC3_GFX90A:ACCUM_OFFSET: 0
; COMPUTE_PGM_RSRC3_GFX90A:TG_SPLIT: 0
	.section	.text._ZN7rocprim17ROCPRIM_400000_NS6detail17trampoline_kernelINS0_14default_configENS1_20scan_config_selectorIyEEZZNS1_9scan_implILNS1_25lookback_scan_determinismE0ELb0ELb0ES3_N6thrust23THRUST_200600_302600_NS6detail15normal_iteratorINS9_10device_ptrIyEEEESE_y11max_functorIyEyEEDaPvRmT3_T4_T5_mT6_P12ihipStream_tbENKUlT_T0_E_clISt17integral_constantIbLb0EESU_EEDaSP_SQ_EUlSP_E_NS1_11comp_targetILNS1_3genE10ELNS1_11target_archE1200ELNS1_3gpuE4ELNS1_3repE0EEENS1_30default_config_static_selectorELNS0_4arch9wavefront6targetE1EEEvT1_,"axG",@progbits,_ZN7rocprim17ROCPRIM_400000_NS6detail17trampoline_kernelINS0_14default_configENS1_20scan_config_selectorIyEEZZNS1_9scan_implILNS1_25lookback_scan_determinismE0ELb0ELb0ES3_N6thrust23THRUST_200600_302600_NS6detail15normal_iteratorINS9_10device_ptrIyEEEESE_y11max_functorIyEyEEDaPvRmT3_T4_T5_mT6_P12ihipStream_tbENKUlT_T0_E_clISt17integral_constantIbLb0EESU_EEDaSP_SQ_EUlSP_E_NS1_11comp_targetILNS1_3genE10ELNS1_11target_archE1200ELNS1_3gpuE4ELNS1_3repE0EEENS1_30default_config_static_selectorELNS0_4arch9wavefront6targetE1EEEvT1_,comdat
	.protected	_ZN7rocprim17ROCPRIM_400000_NS6detail17trampoline_kernelINS0_14default_configENS1_20scan_config_selectorIyEEZZNS1_9scan_implILNS1_25lookback_scan_determinismE0ELb0ELb0ES3_N6thrust23THRUST_200600_302600_NS6detail15normal_iteratorINS9_10device_ptrIyEEEESE_y11max_functorIyEyEEDaPvRmT3_T4_T5_mT6_P12ihipStream_tbENKUlT_T0_E_clISt17integral_constantIbLb0EESU_EEDaSP_SQ_EUlSP_E_NS1_11comp_targetILNS1_3genE10ELNS1_11target_archE1200ELNS1_3gpuE4ELNS1_3repE0EEENS1_30default_config_static_selectorELNS0_4arch9wavefront6targetE1EEEvT1_ ; -- Begin function _ZN7rocprim17ROCPRIM_400000_NS6detail17trampoline_kernelINS0_14default_configENS1_20scan_config_selectorIyEEZZNS1_9scan_implILNS1_25lookback_scan_determinismE0ELb0ELb0ES3_N6thrust23THRUST_200600_302600_NS6detail15normal_iteratorINS9_10device_ptrIyEEEESE_y11max_functorIyEyEEDaPvRmT3_T4_T5_mT6_P12ihipStream_tbENKUlT_T0_E_clISt17integral_constantIbLb0EESU_EEDaSP_SQ_EUlSP_E_NS1_11comp_targetILNS1_3genE10ELNS1_11target_archE1200ELNS1_3gpuE4ELNS1_3repE0EEENS1_30default_config_static_selectorELNS0_4arch9wavefront6targetE1EEEvT1_
	.globl	_ZN7rocprim17ROCPRIM_400000_NS6detail17trampoline_kernelINS0_14default_configENS1_20scan_config_selectorIyEEZZNS1_9scan_implILNS1_25lookback_scan_determinismE0ELb0ELb0ES3_N6thrust23THRUST_200600_302600_NS6detail15normal_iteratorINS9_10device_ptrIyEEEESE_y11max_functorIyEyEEDaPvRmT3_T4_T5_mT6_P12ihipStream_tbENKUlT_T0_E_clISt17integral_constantIbLb0EESU_EEDaSP_SQ_EUlSP_E_NS1_11comp_targetILNS1_3genE10ELNS1_11target_archE1200ELNS1_3gpuE4ELNS1_3repE0EEENS1_30default_config_static_selectorELNS0_4arch9wavefront6targetE1EEEvT1_
	.p2align	8
	.type	_ZN7rocprim17ROCPRIM_400000_NS6detail17trampoline_kernelINS0_14default_configENS1_20scan_config_selectorIyEEZZNS1_9scan_implILNS1_25lookback_scan_determinismE0ELb0ELb0ES3_N6thrust23THRUST_200600_302600_NS6detail15normal_iteratorINS9_10device_ptrIyEEEESE_y11max_functorIyEyEEDaPvRmT3_T4_T5_mT6_P12ihipStream_tbENKUlT_T0_E_clISt17integral_constantIbLb0EESU_EEDaSP_SQ_EUlSP_E_NS1_11comp_targetILNS1_3genE10ELNS1_11target_archE1200ELNS1_3gpuE4ELNS1_3repE0EEENS1_30default_config_static_selectorELNS0_4arch9wavefront6targetE1EEEvT1_,@function
_ZN7rocprim17ROCPRIM_400000_NS6detail17trampoline_kernelINS0_14default_configENS1_20scan_config_selectorIyEEZZNS1_9scan_implILNS1_25lookback_scan_determinismE0ELb0ELb0ES3_N6thrust23THRUST_200600_302600_NS6detail15normal_iteratorINS9_10device_ptrIyEEEESE_y11max_functorIyEyEEDaPvRmT3_T4_T5_mT6_P12ihipStream_tbENKUlT_T0_E_clISt17integral_constantIbLb0EESU_EEDaSP_SQ_EUlSP_E_NS1_11comp_targetILNS1_3genE10ELNS1_11target_archE1200ELNS1_3gpuE4ELNS1_3repE0EEENS1_30default_config_static_selectorELNS0_4arch9wavefront6targetE1EEEvT1_: ; @_ZN7rocprim17ROCPRIM_400000_NS6detail17trampoline_kernelINS0_14default_configENS1_20scan_config_selectorIyEEZZNS1_9scan_implILNS1_25lookback_scan_determinismE0ELb0ELb0ES3_N6thrust23THRUST_200600_302600_NS6detail15normal_iteratorINS9_10device_ptrIyEEEESE_y11max_functorIyEyEEDaPvRmT3_T4_T5_mT6_P12ihipStream_tbENKUlT_T0_E_clISt17integral_constantIbLb0EESU_EEDaSP_SQ_EUlSP_E_NS1_11comp_targetILNS1_3genE10ELNS1_11target_archE1200ELNS1_3gpuE4ELNS1_3repE0EEENS1_30default_config_static_selectorELNS0_4arch9wavefront6targetE1EEEvT1_
; %bb.0:
	.section	.rodata,"a",@progbits
	.p2align	6, 0x0
	.amdhsa_kernel _ZN7rocprim17ROCPRIM_400000_NS6detail17trampoline_kernelINS0_14default_configENS1_20scan_config_selectorIyEEZZNS1_9scan_implILNS1_25lookback_scan_determinismE0ELb0ELb0ES3_N6thrust23THRUST_200600_302600_NS6detail15normal_iteratorINS9_10device_ptrIyEEEESE_y11max_functorIyEyEEDaPvRmT3_T4_T5_mT6_P12ihipStream_tbENKUlT_T0_E_clISt17integral_constantIbLb0EESU_EEDaSP_SQ_EUlSP_E_NS1_11comp_targetILNS1_3genE10ELNS1_11target_archE1200ELNS1_3gpuE4ELNS1_3repE0EEENS1_30default_config_static_selectorELNS0_4arch9wavefront6targetE1EEEvT1_
		.amdhsa_group_segment_fixed_size 0
		.amdhsa_private_segment_fixed_size 0
		.amdhsa_kernarg_size 104
		.amdhsa_user_sgpr_count 6
		.amdhsa_user_sgpr_private_segment_buffer 1
		.amdhsa_user_sgpr_dispatch_ptr 0
		.amdhsa_user_sgpr_queue_ptr 0
		.amdhsa_user_sgpr_kernarg_segment_ptr 1
		.amdhsa_user_sgpr_dispatch_id 0
		.amdhsa_user_sgpr_flat_scratch_init 0
		.amdhsa_user_sgpr_kernarg_preload_length 0
		.amdhsa_user_sgpr_kernarg_preload_offset 0
		.amdhsa_user_sgpr_private_segment_size 0
		.amdhsa_uses_dynamic_stack 0
		.amdhsa_system_sgpr_private_segment_wavefront_offset 0
		.amdhsa_system_sgpr_workgroup_id_x 1
		.amdhsa_system_sgpr_workgroup_id_y 0
		.amdhsa_system_sgpr_workgroup_id_z 0
		.amdhsa_system_sgpr_workgroup_info 0
		.amdhsa_system_vgpr_workitem_id 0
		.amdhsa_next_free_vgpr 1
		.amdhsa_next_free_sgpr 0
		.amdhsa_accum_offset 4
		.amdhsa_reserve_vcc 0
		.amdhsa_reserve_flat_scratch 0
		.amdhsa_float_round_mode_32 0
		.amdhsa_float_round_mode_16_64 0
		.amdhsa_float_denorm_mode_32 3
		.amdhsa_float_denorm_mode_16_64 3
		.amdhsa_dx10_clamp 1
		.amdhsa_ieee_mode 1
		.amdhsa_fp16_overflow 0
		.amdhsa_tg_split 0
		.amdhsa_exception_fp_ieee_invalid_op 0
		.amdhsa_exception_fp_denorm_src 0
		.amdhsa_exception_fp_ieee_div_zero 0
		.amdhsa_exception_fp_ieee_overflow 0
		.amdhsa_exception_fp_ieee_underflow 0
		.amdhsa_exception_fp_ieee_inexact 0
		.amdhsa_exception_int_div_zero 0
	.end_amdhsa_kernel
	.section	.text._ZN7rocprim17ROCPRIM_400000_NS6detail17trampoline_kernelINS0_14default_configENS1_20scan_config_selectorIyEEZZNS1_9scan_implILNS1_25lookback_scan_determinismE0ELb0ELb0ES3_N6thrust23THRUST_200600_302600_NS6detail15normal_iteratorINS9_10device_ptrIyEEEESE_y11max_functorIyEyEEDaPvRmT3_T4_T5_mT6_P12ihipStream_tbENKUlT_T0_E_clISt17integral_constantIbLb0EESU_EEDaSP_SQ_EUlSP_E_NS1_11comp_targetILNS1_3genE10ELNS1_11target_archE1200ELNS1_3gpuE4ELNS1_3repE0EEENS1_30default_config_static_selectorELNS0_4arch9wavefront6targetE1EEEvT1_,"axG",@progbits,_ZN7rocprim17ROCPRIM_400000_NS6detail17trampoline_kernelINS0_14default_configENS1_20scan_config_selectorIyEEZZNS1_9scan_implILNS1_25lookback_scan_determinismE0ELb0ELb0ES3_N6thrust23THRUST_200600_302600_NS6detail15normal_iteratorINS9_10device_ptrIyEEEESE_y11max_functorIyEyEEDaPvRmT3_T4_T5_mT6_P12ihipStream_tbENKUlT_T0_E_clISt17integral_constantIbLb0EESU_EEDaSP_SQ_EUlSP_E_NS1_11comp_targetILNS1_3genE10ELNS1_11target_archE1200ELNS1_3gpuE4ELNS1_3repE0EEENS1_30default_config_static_selectorELNS0_4arch9wavefront6targetE1EEEvT1_,comdat
.Lfunc_end2095:
	.size	_ZN7rocprim17ROCPRIM_400000_NS6detail17trampoline_kernelINS0_14default_configENS1_20scan_config_selectorIyEEZZNS1_9scan_implILNS1_25lookback_scan_determinismE0ELb0ELb0ES3_N6thrust23THRUST_200600_302600_NS6detail15normal_iteratorINS9_10device_ptrIyEEEESE_y11max_functorIyEyEEDaPvRmT3_T4_T5_mT6_P12ihipStream_tbENKUlT_T0_E_clISt17integral_constantIbLb0EESU_EEDaSP_SQ_EUlSP_E_NS1_11comp_targetILNS1_3genE10ELNS1_11target_archE1200ELNS1_3gpuE4ELNS1_3repE0EEENS1_30default_config_static_selectorELNS0_4arch9wavefront6targetE1EEEvT1_, .Lfunc_end2095-_ZN7rocprim17ROCPRIM_400000_NS6detail17trampoline_kernelINS0_14default_configENS1_20scan_config_selectorIyEEZZNS1_9scan_implILNS1_25lookback_scan_determinismE0ELb0ELb0ES3_N6thrust23THRUST_200600_302600_NS6detail15normal_iteratorINS9_10device_ptrIyEEEESE_y11max_functorIyEyEEDaPvRmT3_T4_T5_mT6_P12ihipStream_tbENKUlT_T0_E_clISt17integral_constantIbLb0EESU_EEDaSP_SQ_EUlSP_E_NS1_11comp_targetILNS1_3genE10ELNS1_11target_archE1200ELNS1_3gpuE4ELNS1_3repE0EEENS1_30default_config_static_selectorELNS0_4arch9wavefront6targetE1EEEvT1_
                                        ; -- End function
	.section	.AMDGPU.csdata,"",@progbits
; Kernel info:
; codeLenInByte = 0
; NumSgprs: 4
; NumVgprs: 0
; NumAgprs: 0
; TotalNumVgprs: 0
; ScratchSize: 0
; MemoryBound: 0
; FloatMode: 240
; IeeeMode: 1
; LDSByteSize: 0 bytes/workgroup (compile time only)
; SGPRBlocks: 0
; VGPRBlocks: 0
; NumSGPRsForWavesPerEU: 4
; NumVGPRsForWavesPerEU: 1
; AccumOffset: 4
; Occupancy: 8
; WaveLimiterHint : 0
; COMPUTE_PGM_RSRC2:SCRATCH_EN: 0
; COMPUTE_PGM_RSRC2:USER_SGPR: 6
; COMPUTE_PGM_RSRC2:TRAP_HANDLER: 0
; COMPUTE_PGM_RSRC2:TGID_X_EN: 1
; COMPUTE_PGM_RSRC2:TGID_Y_EN: 0
; COMPUTE_PGM_RSRC2:TGID_Z_EN: 0
; COMPUTE_PGM_RSRC2:TIDIG_COMP_CNT: 0
; COMPUTE_PGM_RSRC3_GFX90A:ACCUM_OFFSET: 0
; COMPUTE_PGM_RSRC3_GFX90A:TG_SPLIT: 0
	.section	.text._ZN7rocprim17ROCPRIM_400000_NS6detail17trampoline_kernelINS0_14default_configENS1_20scan_config_selectorIyEEZZNS1_9scan_implILNS1_25lookback_scan_determinismE0ELb0ELb0ES3_N6thrust23THRUST_200600_302600_NS6detail15normal_iteratorINS9_10device_ptrIyEEEESE_y11max_functorIyEyEEDaPvRmT3_T4_T5_mT6_P12ihipStream_tbENKUlT_T0_E_clISt17integral_constantIbLb0EESU_EEDaSP_SQ_EUlSP_E_NS1_11comp_targetILNS1_3genE9ELNS1_11target_archE1100ELNS1_3gpuE3ELNS1_3repE0EEENS1_30default_config_static_selectorELNS0_4arch9wavefront6targetE1EEEvT1_,"axG",@progbits,_ZN7rocprim17ROCPRIM_400000_NS6detail17trampoline_kernelINS0_14default_configENS1_20scan_config_selectorIyEEZZNS1_9scan_implILNS1_25lookback_scan_determinismE0ELb0ELb0ES3_N6thrust23THRUST_200600_302600_NS6detail15normal_iteratorINS9_10device_ptrIyEEEESE_y11max_functorIyEyEEDaPvRmT3_T4_T5_mT6_P12ihipStream_tbENKUlT_T0_E_clISt17integral_constantIbLb0EESU_EEDaSP_SQ_EUlSP_E_NS1_11comp_targetILNS1_3genE9ELNS1_11target_archE1100ELNS1_3gpuE3ELNS1_3repE0EEENS1_30default_config_static_selectorELNS0_4arch9wavefront6targetE1EEEvT1_,comdat
	.protected	_ZN7rocprim17ROCPRIM_400000_NS6detail17trampoline_kernelINS0_14default_configENS1_20scan_config_selectorIyEEZZNS1_9scan_implILNS1_25lookback_scan_determinismE0ELb0ELb0ES3_N6thrust23THRUST_200600_302600_NS6detail15normal_iteratorINS9_10device_ptrIyEEEESE_y11max_functorIyEyEEDaPvRmT3_T4_T5_mT6_P12ihipStream_tbENKUlT_T0_E_clISt17integral_constantIbLb0EESU_EEDaSP_SQ_EUlSP_E_NS1_11comp_targetILNS1_3genE9ELNS1_11target_archE1100ELNS1_3gpuE3ELNS1_3repE0EEENS1_30default_config_static_selectorELNS0_4arch9wavefront6targetE1EEEvT1_ ; -- Begin function _ZN7rocprim17ROCPRIM_400000_NS6detail17trampoline_kernelINS0_14default_configENS1_20scan_config_selectorIyEEZZNS1_9scan_implILNS1_25lookback_scan_determinismE0ELb0ELb0ES3_N6thrust23THRUST_200600_302600_NS6detail15normal_iteratorINS9_10device_ptrIyEEEESE_y11max_functorIyEyEEDaPvRmT3_T4_T5_mT6_P12ihipStream_tbENKUlT_T0_E_clISt17integral_constantIbLb0EESU_EEDaSP_SQ_EUlSP_E_NS1_11comp_targetILNS1_3genE9ELNS1_11target_archE1100ELNS1_3gpuE3ELNS1_3repE0EEENS1_30default_config_static_selectorELNS0_4arch9wavefront6targetE1EEEvT1_
	.globl	_ZN7rocprim17ROCPRIM_400000_NS6detail17trampoline_kernelINS0_14default_configENS1_20scan_config_selectorIyEEZZNS1_9scan_implILNS1_25lookback_scan_determinismE0ELb0ELb0ES3_N6thrust23THRUST_200600_302600_NS6detail15normal_iteratorINS9_10device_ptrIyEEEESE_y11max_functorIyEyEEDaPvRmT3_T4_T5_mT6_P12ihipStream_tbENKUlT_T0_E_clISt17integral_constantIbLb0EESU_EEDaSP_SQ_EUlSP_E_NS1_11comp_targetILNS1_3genE9ELNS1_11target_archE1100ELNS1_3gpuE3ELNS1_3repE0EEENS1_30default_config_static_selectorELNS0_4arch9wavefront6targetE1EEEvT1_
	.p2align	8
	.type	_ZN7rocprim17ROCPRIM_400000_NS6detail17trampoline_kernelINS0_14default_configENS1_20scan_config_selectorIyEEZZNS1_9scan_implILNS1_25lookback_scan_determinismE0ELb0ELb0ES3_N6thrust23THRUST_200600_302600_NS6detail15normal_iteratorINS9_10device_ptrIyEEEESE_y11max_functorIyEyEEDaPvRmT3_T4_T5_mT6_P12ihipStream_tbENKUlT_T0_E_clISt17integral_constantIbLb0EESU_EEDaSP_SQ_EUlSP_E_NS1_11comp_targetILNS1_3genE9ELNS1_11target_archE1100ELNS1_3gpuE3ELNS1_3repE0EEENS1_30default_config_static_selectorELNS0_4arch9wavefront6targetE1EEEvT1_,@function
_ZN7rocprim17ROCPRIM_400000_NS6detail17trampoline_kernelINS0_14default_configENS1_20scan_config_selectorIyEEZZNS1_9scan_implILNS1_25lookback_scan_determinismE0ELb0ELb0ES3_N6thrust23THRUST_200600_302600_NS6detail15normal_iteratorINS9_10device_ptrIyEEEESE_y11max_functorIyEyEEDaPvRmT3_T4_T5_mT6_P12ihipStream_tbENKUlT_T0_E_clISt17integral_constantIbLb0EESU_EEDaSP_SQ_EUlSP_E_NS1_11comp_targetILNS1_3genE9ELNS1_11target_archE1100ELNS1_3gpuE3ELNS1_3repE0EEENS1_30default_config_static_selectorELNS0_4arch9wavefront6targetE1EEEvT1_: ; @_ZN7rocprim17ROCPRIM_400000_NS6detail17trampoline_kernelINS0_14default_configENS1_20scan_config_selectorIyEEZZNS1_9scan_implILNS1_25lookback_scan_determinismE0ELb0ELb0ES3_N6thrust23THRUST_200600_302600_NS6detail15normal_iteratorINS9_10device_ptrIyEEEESE_y11max_functorIyEyEEDaPvRmT3_T4_T5_mT6_P12ihipStream_tbENKUlT_T0_E_clISt17integral_constantIbLb0EESU_EEDaSP_SQ_EUlSP_E_NS1_11comp_targetILNS1_3genE9ELNS1_11target_archE1100ELNS1_3gpuE3ELNS1_3repE0EEENS1_30default_config_static_selectorELNS0_4arch9wavefront6targetE1EEEvT1_
; %bb.0:
	.section	.rodata,"a",@progbits
	.p2align	6, 0x0
	.amdhsa_kernel _ZN7rocprim17ROCPRIM_400000_NS6detail17trampoline_kernelINS0_14default_configENS1_20scan_config_selectorIyEEZZNS1_9scan_implILNS1_25lookback_scan_determinismE0ELb0ELb0ES3_N6thrust23THRUST_200600_302600_NS6detail15normal_iteratorINS9_10device_ptrIyEEEESE_y11max_functorIyEyEEDaPvRmT3_T4_T5_mT6_P12ihipStream_tbENKUlT_T0_E_clISt17integral_constantIbLb0EESU_EEDaSP_SQ_EUlSP_E_NS1_11comp_targetILNS1_3genE9ELNS1_11target_archE1100ELNS1_3gpuE3ELNS1_3repE0EEENS1_30default_config_static_selectorELNS0_4arch9wavefront6targetE1EEEvT1_
		.amdhsa_group_segment_fixed_size 0
		.amdhsa_private_segment_fixed_size 0
		.amdhsa_kernarg_size 104
		.amdhsa_user_sgpr_count 6
		.amdhsa_user_sgpr_private_segment_buffer 1
		.amdhsa_user_sgpr_dispatch_ptr 0
		.amdhsa_user_sgpr_queue_ptr 0
		.amdhsa_user_sgpr_kernarg_segment_ptr 1
		.amdhsa_user_sgpr_dispatch_id 0
		.amdhsa_user_sgpr_flat_scratch_init 0
		.amdhsa_user_sgpr_kernarg_preload_length 0
		.amdhsa_user_sgpr_kernarg_preload_offset 0
		.amdhsa_user_sgpr_private_segment_size 0
		.amdhsa_uses_dynamic_stack 0
		.amdhsa_system_sgpr_private_segment_wavefront_offset 0
		.amdhsa_system_sgpr_workgroup_id_x 1
		.amdhsa_system_sgpr_workgroup_id_y 0
		.amdhsa_system_sgpr_workgroup_id_z 0
		.amdhsa_system_sgpr_workgroup_info 0
		.amdhsa_system_vgpr_workitem_id 0
		.amdhsa_next_free_vgpr 1
		.amdhsa_next_free_sgpr 0
		.amdhsa_accum_offset 4
		.amdhsa_reserve_vcc 0
		.amdhsa_reserve_flat_scratch 0
		.amdhsa_float_round_mode_32 0
		.amdhsa_float_round_mode_16_64 0
		.amdhsa_float_denorm_mode_32 3
		.amdhsa_float_denorm_mode_16_64 3
		.amdhsa_dx10_clamp 1
		.amdhsa_ieee_mode 1
		.amdhsa_fp16_overflow 0
		.amdhsa_tg_split 0
		.amdhsa_exception_fp_ieee_invalid_op 0
		.amdhsa_exception_fp_denorm_src 0
		.amdhsa_exception_fp_ieee_div_zero 0
		.amdhsa_exception_fp_ieee_overflow 0
		.amdhsa_exception_fp_ieee_underflow 0
		.amdhsa_exception_fp_ieee_inexact 0
		.amdhsa_exception_int_div_zero 0
	.end_amdhsa_kernel
	.section	.text._ZN7rocprim17ROCPRIM_400000_NS6detail17trampoline_kernelINS0_14default_configENS1_20scan_config_selectorIyEEZZNS1_9scan_implILNS1_25lookback_scan_determinismE0ELb0ELb0ES3_N6thrust23THRUST_200600_302600_NS6detail15normal_iteratorINS9_10device_ptrIyEEEESE_y11max_functorIyEyEEDaPvRmT3_T4_T5_mT6_P12ihipStream_tbENKUlT_T0_E_clISt17integral_constantIbLb0EESU_EEDaSP_SQ_EUlSP_E_NS1_11comp_targetILNS1_3genE9ELNS1_11target_archE1100ELNS1_3gpuE3ELNS1_3repE0EEENS1_30default_config_static_selectorELNS0_4arch9wavefront6targetE1EEEvT1_,"axG",@progbits,_ZN7rocprim17ROCPRIM_400000_NS6detail17trampoline_kernelINS0_14default_configENS1_20scan_config_selectorIyEEZZNS1_9scan_implILNS1_25lookback_scan_determinismE0ELb0ELb0ES3_N6thrust23THRUST_200600_302600_NS6detail15normal_iteratorINS9_10device_ptrIyEEEESE_y11max_functorIyEyEEDaPvRmT3_T4_T5_mT6_P12ihipStream_tbENKUlT_T0_E_clISt17integral_constantIbLb0EESU_EEDaSP_SQ_EUlSP_E_NS1_11comp_targetILNS1_3genE9ELNS1_11target_archE1100ELNS1_3gpuE3ELNS1_3repE0EEENS1_30default_config_static_selectorELNS0_4arch9wavefront6targetE1EEEvT1_,comdat
.Lfunc_end2096:
	.size	_ZN7rocprim17ROCPRIM_400000_NS6detail17trampoline_kernelINS0_14default_configENS1_20scan_config_selectorIyEEZZNS1_9scan_implILNS1_25lookback_scan_determinismE0ELb0ELb0ES3_N6thrust23THRUST_200600_302600_NS6detail15normal_iteratorINS9_10device_ptrIyEEEESE_y11max_functorIyEyEEDaPvRmT3_T4_T5_mT6_P12ihipStream_tbENKUlT_T0_E_clISt17integral_constantIbLb0EESU_EEDaSP_SQ_EUlSP_E_NS1_11comp_targetILNS1_3genE9ELNS1_11target_archE1100ELNS1_3gpuE3ELNS1_3repE0EEENS1_30default_config_static_selectorELNS0_4arch9wavefront6targetE1EEEvT1_, .Lfunc_end2096-_ZN7rocprim17ROCPRIM_400000_NS6detail17trampoline_kernelINS0_14default_configENS1_20scan_config_selectorIyEEZZNS1_9scan_implILNS1_25lookback_scan_determinismE0ELb0ELb0ES3_N6thrust23THRUST_200600_302600_NS6detail15normal_iteratorINS9_10device_ptrIyEEEESE_y11max_functorIyEyEEDaPvRmT3_T4_T5_mT6_P12ihipStream_tbENKUlT_T0_E_clISt17integral_constantIbLb0EESU_EEDaSP_SQ_EUlSP_E_NS1_11comp_targetILNS1_3genE9ELNS1_11target_archE1100ELNS1_3gpuE3ELNS1_3repE0EEENS1_30default_config_static_selectorELNS0_4arch9wavefront6targetE1EEEvT1_
                                        ; -- End function
	.section	.AMDGPU.csdata,"",@progbits
; Kernel info:
; codeLenInByte = 0
; NumSgprs: 4
; NumVgprs: 0
; NumAgprs: 0
; TotalNumVgprs: 0
; ScratchSize: 0
; MemoryBound: 0
; FloatMode: 240
; IeeeMode: 1
; LDSByteSize: 0 bytes/workgroup (compile time only)
; SGPRBlocks: 0
; VGPRBlocks: 0
; NumSGPRsForWavesPerEU: 4
; NumVGPRsForWavesPerEU: 1
; AccumOffset: 4
; Occupancy: 8
; WaveLimiterHint : 0
; COMPUTE_PGM_RSRC2:SCRATCH_EN: 0
; COMPUTE_PGM_RSRC2:USER_SGPR: 6
; COMPUTE_PGM_RSRC2:TRAP_HANDLER: 0
; COMPUTE_PGM_RSRC2:TGID_X_EN: 1
; COMPUTE_PGM_RSRC2:TGID_Y_EN: 0
; COMPUTE_PGM_RSRC2:TGID_Z_EN: 0
; COMPUTE_PGM_RSRC2:TIDIG_COMP_CNT: 0
; COMPUTE_PGM_RSRC3_GFX90A:ACCUM_OFFSET: 0
; COMPUTE_PGM_RSRC3_GFX90A:TG_SPLIT: 0
	.section	.text._ZN7rocprim17ROCPRIM_400000_NS6detail17trampoline_kernelINS0_14default_configENS1_20scan_config_selectorIyEEZZNS1_9scan_implILNS1_25lookback_scan_determinismE0ELb0ELb0ES3_N6thrust23THRUST_200600_302600_NS6detail15normal_iteratorINS9_10device_ptrIyEEEESE_y11max_functorIyEyEEDaPvRmT3_T4_T5_mT6_P12ihipStream_tbENKUlT_T0_E_clISt17integral_constantIbLb0EESU_EEDaSP_SQ_EUlSP_E_NS1_11comp_targetILNS1_3genE8ELNS1_11target_archE1030ELNS1_3gpuE2ELNS1_3repE0EEENS1_30default_config_static_selectorELNS0_4arch9wavefront6targetE1EEEvT1_,"axG",@progbits,_ZN7rocprim17ROCPRIM_400000_NS6detail17trampoline_kernelINS0_14default_configENS1_20scan_config_selectorIyEEZZNS1_9scan_implILNS1_25lookback_scan_determinismE0ELb0ELb0ES3_N6thrust23THRUST_200600_302600_NS6detail15normal_iteratorINS9_10device_ptrIyEEEESE_y11max_functorIyEyEEDaPvRmT3_T4_T5_mT6_P12ihipStream_tbENKUlT_T0_E_clISt17integral_constantIbLb0EESU_EEDaSP_SQ_EUlSP_E_NS1_11comp_targetILNS1_3genE8ELNS1_11target_archE1030ELNS1_3gpuE2ELNS1_3repE0EEENS1_30default_config_static_selectorELNS0_4arch9wavefront6targetE1EEEvT1_,comdat
	.protected	_ZN7rocprim17ROCPRIM_400000_NS6detail17trampoline_kernelINS0_14default_configENS1_20scan_config_selectorIyEEZZNS1_9scan_implILNS1_25lookback_scan_determinismE0ELb0ELb0ES3_N6thrust23THRUST_200600_302600_NS6detail15normal_iteratorINS9_10device_ptrIyEEEESE_y11max_functorIyEyEEDaPvRmT3_T4_T5_mT6_P12ihipStream_tbENKUlT_T0_E_clISt17integral_constantIbLb0EESU_EEDaSP_SQ_EUlSP_E_NS1_11comp_targetILNS1_3genE8ELNS1_11target_archE1030ELNS1_3gpuE2ELNS1_3repE0EEENS1_30default_config_static_selectorELNS0_4arch9wavefront6targetE1EEEvT1_ ; -- Begin function _ZN7rocprim17ROCPRIM_400000_NS6detail17trampoline_kernelINS0_14default_configENS1_20scan_config_selectorIyEEZZNS1_9scan_implILNS1_25lookback_scan_determinismE0ELb0ELb0ES3_N6thrust23THRUST_200600_302600_NS6detail15normal_iteratorINS9_10device_ptrIyEEEESE_y11max_functorIyEyEEDaPvRmT3_T4_T5_mT6_P12ihipStream_tbENKUlT_T0_E_clISt17integral_constantIbLb0EESU_EEDaSP_SQ_EUlSP_E_NS1_11comp_targetILNS1_3genE8ELNS1_11target_archE1030ELNS1_3gpuE2ELNS1_3repE0EEENS1_30default_config_static_selectorELNS0_4arch9wavefront6targetE1EEEvT1_
	.globl	_ZN7rocprim17ROCPRIM_400000_NS6detail17trampoline_kernelINS0_14default_configENS1_20scan_config_selectorIyEEZZNS1_9scan_implILNS1_25lookback_scan_determinismE0ELb0ELb0ES3_N6thrust23THRUST_200600_302600_NS6detail15normal_iteratorINS9_10device_ptrIyEEEESE_y11max_functorIyEyEEDaPvRmT3_T4_T5_mT6_P12ihipStream_tbENKUlT_T0_E_clISt17integral_constantIbLb0EESU_EEDaSP_SQ_EUlSP_E_NS1_11comp_targetILNS1_3genE8ELNS1_11target_archE1030ELNS1_3gpuE2ELNS1_3repE0EEENS1_30default_config_static_selectorELNS0_4arch9wavefront6targetE1EEEvT1_
	.p2align	8
	.type	_ZN7rocprim17ROCPRIM_400000_NS6detail17trampoline_kernelINS0_14default_configENS1_20scan_config_selectorIyEEZZNS1_9scan_implILNS1_25lookback_scan_determinismE0ELb0ELb0ES3_N6thrust23THRUST_200600_302600_NS6detail15normal_iteratorINS9_10device_ptrIyEEEESE_y11max_functorIyEyEEDaPvRmT3_T4_T5_mT6_P12ihipStream_tbENKUlT_T0_E_clISt17integral_constantIbLb0EESU_EEDaSP_SQ_EUlSP_E_NS1_11comp_targetILNS1_3genE8ELNS1_11target_archE1030ELNS1_3gpuE2ELNS1_3repE0EEENS1_30default_config_static_selectorELNS0_4arch9wavefront6targetE1EEEvT1_,@function
_ZN7rocprim17ROCPRIM_400000_NS6detail17trampoline_kernelINS0_14default_configENS1_20scan_config_selectorIyEEZZNS1_9scan_implILNS1_25lookback_scan_determinismE0ELb0ELb0ES3_N6thrust23THRUST_200600_302600_NS6detail15normal_iteratorINS9_10device_ptrIyEEEESE_y11max_functorIyEyEEDaPvRmT3_T4_T5_mT6_P12ihipStream_tbENKUlT_T0_E_clISt17integral_constantIbLb0EESU_EEDaSP_SQ_EUlSP_E_NS1_11comp_targetILNS1_3genE8ELNS1_11target_archE1030ELNS1_3gpuE2ELNS1_3repE0EEENS1_30default_config_static_selectorELNS0_4arch9wavefront6targetE1EEEvT1_: ; @_ZN7rocprim17ROCPRIM_400000_NS6detail17trampoline_kernelINS0_14default_configENS1_20scan_config_selectorIyEEZZNS1_9scan_implILNS1_25lookback_scan_determinismE0ELb0ELb0ES3_N6thrust23THRUST_200600_302600_NS6detail15normal_iteratorINS9_10device_ptrIyEEEESE_y11max_functorIyEyEEDaPvRmT3_T4_T5_mT6_P12ihipStream_tbENKUlT_T0_E_clISt17integral_constantIbLb0EESU_EEDaSP_SQ_EUlSP_E_NS1_11comp_targetILNS1_3genE8ELNS1_11target_archE1030ELNS1_3gpuE2ELNS1_3repE0EEENS1_30default_config_static_selectorELNS0_4arch9wavefront6targetE1EEEvT1_
; %bb.0:
	.section	.rodata,"a",@progbits
	.p2align	6, 0x0
	.amdhsa_kernel _ZN7rocprim17ROCPRIM_400000_NS6detail17trampoline_kernelINS0_14default_configENS1_20scan_config_selectorIyEEZZNS1_9scan_implILNS1_25lookback_scan_determinismE0ELb0ELb0ES3_N6thrust23THRUST_200600_302600_NS6detail15normal_iteratorINS9_10device_ptrIyEEEESE_y11max_functorIyEyEEDaPvRmT3_T4_T5_mT6_P12ihipStream_tbENKUlT_T0_E_clISt17integral_constantIbLb0EESU_EEDaSP_SQ_EUlSP_E_NS1_11comp_targetILNS1_3genE8ELNS1_11target_archE1030ELNS1_3gpuE2ELNS1_3repE0EEENS1_30default_config_static_selectorELNS0_4arch9wavefront6targetE1EEEvT1_
		.amdhsa_group_segment_fixed_size 0
		.amdhsa_private_segment_fixed_size 0
		.amdhsa_kernarg_size 104
		.amdhsa_user_sgpr_count 6
		.amdhsa_user_sgpr_private_segment_buffer 1
		.amdhsa_user_sgpr_dispatch_ptr 0
		.amdhsa_user_sgpr_queue_ptr 0
		.amdhsa_user_sgpr_kernarg_segment_ptr 1
		.amdhsa_user_sgpr_dispatch_id 0
		.amdhsa_user_sgpr_flat_scratch_init 0
		.amdhsa_user_sgpr_kernarg_preload_length 0
		.amdhsa_user_sgpr_kernarg_preload_offset 0
		.amdhsa_user_sgpr_private_segment_size 0
		.amdhsa_uses_dynamic_stack 0
		.amdhsa_system_sgpr_private_segment_wavefront_offset 0
		.amdhsa_system_sgpr_workgroup_id_x 1
		.amdhsa_system_sgpr_workgroup_id_y 0
		.amdhsa_system_sgpr_workgroup_id_z 0
		.amdhsa_system_sgpr_workgroup_info 0
		.amdhsa_system_vgpr_workitem_id 0
		.amdhsa_next_free_vgpr 1
		.amdhsa_next_free_sgpr 0
		.amdhsa_accum_offset 4
		.amdhsa_reserve_vcc 0
		.amdhsa_reserve_flat_scratch 0
		.amdhsa_float_round_mode_32 0
		.amdhsa_float_round_mode_16_64 0
		.amdhsa_float_denorm_mode_32 3
		.amdhsa_float_denorm_mode_16_64 3
		.amdhsa_dx10_clamp 1
		.amdhsa_ieee_mode 1
		.amdhsa_fp16_overflow 0
		.amdhsa_tg_split 0
		.amdhsa_exception_fp_ieee_invalid_op 0
		.amdhsa_exception_fp_denorm_src 0
		.amdhsa_exception_fp_ieee_div_zero 0
		.amdhsa_exception_fp_ieee_overflow 0
		.amdhsa_exception_fp_ieee_underflow 0
		.amdhsa_exception_fp_ieee_inexact 0
		.amdhsa_exception_int_div_zero 0
	.end_amdhsa_kernel
	.section	.text._ZN7rocprim17ROCPRIM_400000_NS6detail17trampoline_kernelINS0_14default_configENS1_20scan_config_selectorIyEEZZNS1_9scan_implILNS1_25lookback_scan_determinismE0ELb0ELb0ES3_N6thrust23THRUST_200600_302600_NS6detail15normal_iteratorINS9_10device_ptrIyEEEESE_y11max_functorIyEyEEDaPvRmT3_T4_T5_mT6_P12ihipStream_tbENKUlT_T0_E_clISt17integral_constantIbLb0EESU_EEDaSP_SQ_EUlSP_E_NS1_11comp_targetILNS1_3genE8ELNS1_11target_archE1030ELNS1_3gpuE2ELNS1_3repE0EEENS1_30default_config_static_selectorELNS0_4arch9wavefront6targetE1EEEvT1_,"axG",@progbits,_ZN7rocprim17ROCPRIM_400000_NS6detail17trampoline_kernelINS0_14default_configENS1_20scan_config_selectorIyEEZZNS1_9scan_implILNS1_25lookback_scan_determinismE0ELb0ELb0ES3_N6thrust23THRUST_200600_302600_NS6detail15normal_iteratorINS9_10device_ptrIyEEEESE_y11max_functorIyEyEEDaPvRmT3_T4_T5_mT6_P12ihipStream_tbENKUlT_T0_E_clISt17integral_constantIbLb0EESU_EEDaSP_SQ_EUlSP_E_NS1_11comp_targetILNS1_3genE8ELNS1_11target_archE1030ELNS1_3gpuE2ELNS1_3repE0EEENS1_30default_config_static_selectorELNS0_4arch9wavefront6targetE1EEEvT1_,comdat
.Lfunc_end2097:
	.size	_ZN7rocprim17ROCPRIM_400000_NS6detail17trampoline_kernelINS0_14default_configENS1_20scan_config_selectorIyEEZZNS1_9scan_implILNS1_25lookback_scan_determinismE0ELb0ELb0ES3_N6thrust23THRUST_200600_302600_NS6detail15normal_iteratorINS9_10device_ptrIyEEEESE_y11max_functorIyEyEEDaPvRmT3_T4_T5_mT6_P12ihipStream_tbENKUlT_T0_E_clISt17integral_constantIbLb0EESU_EEDaSP_SQ_EUlSP_E_NS1_11comp_targetILNS1_3genE8ELNS1_11target_archE1030ELNS1_3gpuE2ELNS1_3repE0EEENS1_30default_config_static_selectorELNS0_4arch9wavefront6targetE1EEEvT1_, .Lfunc_end2097-_ZN7rocprim17ROCPRIM_400000_NS6detail17trampoline_kernelINS0_14default_configENS1_20scan_config_selectorIyEEZZNS1_9scan_implILNS1_25lookback_scan_determinismE0ELb0ELb0ES3_N6thrust23THRUST_200600_302600_NS6detail15normal_iteratorINS9_10device_ptrIyEEEESE_y11max_functorIyEyEEDaPvRmT3_T4_T5_mT6_P12ihipStream_tbENKUlT_T0_E_clISt17integral_constantIbLb0EESU_EEDaSP_SQ_EUlSP_E_NS1_11comp_targetILNS1_3genE8ELNS1_11target_archE1030ELNS1_3gpuE2ELNS1_3repE0EEENS1_30default_config_static_selectorELNS0_4arch9wavefront6targetE1EEEvT1_
                                        ; -- End function
	.section	.AMDGPU.csdata,"",@progbits
; Kernel info:
; codeLenInByte = 0
; NumSgprs: 4
; NumVgprs: 0
; NumAgprs: 0
; TotalNumVgprs: 0
; ScratchSize: 0
; MemoryBound: 0
; FloatMode: 240
; IeeeMode: 1
; LDSByteSize: 0 bytes/workgroup (compile time only)
; SGPRBlocks: 0
; VGPRBlocks: 0
; NumSGPRsForWavesPerEU: 4
; NumVGPRsForWavesPerEU: 1
; AccumOffset: 4
; Occupancy: 8
; WaveLimiterHint : 0
; COMPUTE_PGM_RSRC2:SCRATCH_EN: 0
; COMPUTE_PGM_RSRC2:USER_SGPR: 6
; COMPUTE_PGM_RSRC2:TRAP_HANDLER: 0
; COMPUTE_PGM_RSRC2:TGID_X_EN: 1
; COMPUTE_PGM_RSRC2:TGID_Y_EN: 0
; COMPUTE_PGM_RSRC2:TGID_Z_EN: 0
; COMPUTE_PGM_RSRC2:TIDIG_COMP_CNT: 0
; COMPUTE_PGM_RSRC3_GFX90A:ACCUM_OFFSET: 0
; COMPUTE_PGM_RSRC3_GFX90A:TG_SPLIT: 0
	.section	.text._ZN7rocprim17ROCPRIM_400000_NS6detail17trampoline_kernelINS0_14default_configENS1_25transform_config_selectorIyLb1EEEZNS1_14transform_implILb1ES3_S5_PyS7_NS0_8identityIyEEEE10hipError_tT2_T3_mT4_P12ihipStream_tbEUlT_E_NS1_11comp_targetILNS1_3genE0ELNS1_11target_archE4294967295ELNS1_3gpuE0ELNS1_3repE0EEENS1_30default_config_static_selectorELNS0_4arch9wavefront6targetE1EEEvT1_,"axG",@progbits,_ZN7rocprim17ROCPRIM_400000_NS6detail17trampoline_kernelINS0_14default_configENS1_25transform_config_selectorIyLb1EEEZNS1_14transform_implILb1ES3_S5_PyS7_NS0_8identityIyEEEE10hipError_tT2_T3_mT4_P12ihipStream_tbEUlT_E_NS1_11comp_targetILNS1_3genE0ELNS1_11target_archE4294967295ELNS1_3gpuE0ELNS1_3repE0EEENS1_30default_config_static_selectorELNS0_4arch9wavefront6targetE1EEEvT1_,comdat
	.protected	_ZN7rocprim17ROCPRIM_400000_NS6detail17trampoline_kernelINS0_14default_configENS1_25transform_config_selectorIyLb1EEEZNS1_14transform_implILb1ES3_S5_PyS7_NS0_8identityIyEEEE10hipError_tT2_T3_mT4_P12ihipStream_tbEUlT_E_NS1_11comp_targetILNS1_3genE0ELNS1_11target_archE4294967295ELNS1_3gpuE0ELNS1_3repE0EEENS1_30default_config_static_selectorELNS0_4arch9wavefront6targetE1EEEvT1_ ; -- Begin function _ZN7rocprim17ROCPRIM_400000_NS6detail17trampoline_kernelINS0_14default_configENS1_25transform_config_selectorIyLb1EEEZNS1_14transform_implILb1ES3_S5_PyS7_NS0_8identityIyEEEE10hipError_tT2_T3_mT4_P12ihipStream_tbEUlT_E_NS1_11comp_targetILNS1_3genE0ELNS1_11target_archE4294967295ELNS1_3gpuE0ELNS1_3repE0EEENS1_30default_config_static_selectorELNS0_4arch9wavefront6targetE1EEEvT1_
	.globl	_ZN7rocprim17ROCPRIM_400000_NS6detail17trampoline_kernelINS0_14default_configENS1_25transform_config_selectorIyLb1EEEZNS1_14transform_implILb1ES3_S5_PyS7_NS0_8identityIyEEEE10hipError_tT2_T3_mT4_P12ihipStream_tbEUlT_E_NS1_11comp_targetILNS1_3genE0ELNS1_11target_archE4294967295ELNS1_3gpuE0ELNS1_3repE0EEENS1_30default_config_static_selectorELNS0_4arch9wavefront6targetE1EEEvT1_
	.p2align	8
	.type	_ZN7rocprim17ROCPRIM_400000_NS6detail17trampoline_kernelINS0_14default_configENS1_25transform_config_selectorIyLb1EEEZNS1_14transform_implILb1ES3_S5_PyS7_NS0_8identityIyEEEE10hipError_tT2_T3_mT4_P12ihipStream_tbEUlT_E_NS1_11comp_targetILNS1_3genE0ELNS1_11target_archE4294967295ELNS1_3gpuE0ELNS1_3repE0EEENS1_30default_config_static_selectorELNS0_4arch9wavefront6targetE1EEEvT1_,@function
_ZN7rocprim17ROCPRIM_400000_NS6detail17trampoline_kernelINS0_14default_configENS1_25transform_config_selectorIyLb1EEEZNS1_14transform_implILb1ES3_S5_PyS7_NS0_8identityIyEEEE10hipError_tT2_T3_mT4_P12ihipStream_tbEUlT_E_NS1_11comp_targetILNS1_3genE0ELNS1_11target_archE4294967295ELNS1_3gpuE0ELNS1_3repE0EEENS1_30default_config_static_selectorELNS0_4arch9wavefront6targetE1EEEvT1_: ; @_ZN7rocprim17ROCPRIM_400000_NS6detail17trampoline_kernelINS0_14default_configENS1_25transform_config_selectorIyLb1EEEZNS1_14transform_implILb1ES3_S5_PyS7_NS0_8identityIyEEEE10hipError_tT2_T3_mT4_P12ihipStream_tbEUlT_E_NS1_11comp_targetILNS1_3genE0ELNS1_11target_archE4294967295ELNS1_3gpuE0ELNS1_3repE0EEENS1_30default_config_static_selectorELNS0_4arch9wavefront6targetE1EEEvT1_
; %bb.0:
	.section	.rodata,"a",@progbits
	.p2align	6, 0x0
	.amdhsa_kernel _ZN7rocprim17ROCPRIM_400000_NS6detail17trampoline_kernelINS0_14default_configENS1_25transform_config_selectorIyLb1EEEZNS1_14transform_implILb1ES3_S5_PyS7_NS0_8identityIyEEEE10hipError_tT2_T3_mT4_P12ihipStream_tbEUlT_E_NS1_11comp_targetILNS1_3genE0ELNS1_11target_archE4294967295ELNS1_3gpuE0ELNS1_3repE0EEENS1_30default_config_static_selectorELNS0_4arch9wavefront6targetE1EEEvT1_
		.amdhsa_group_segment_fixed_size 0
		.amdhsa_private_segment_fixed_size 0
		.amdhsa_kernarg_size 40
		.amdhsa_user_sgpr_count 6
		.amdhsa_user_sgpr_private_segment_buffer 1
		.amdhsa_user_sgpr_dispatch_ptr 0
		.amdhsa_user_sgpr_queue_ptr 0
		.amdhsa_user_sgpr_kernarg_segment_ptr 1
		.amdhsa_user_sgpr_dispatch_id 0
		.amdhsa_user_sgpr_flat_scratch_init 0
		.amdhsa_user_sgpr_kernarg_preload_length 0
		.amdhsa_user_sgpr_kernarg_preload_offset 0
		.amdhsa_user_sgpr_private_segment_size 0
		.amdhsa_uses_dynamic_stack 0
		.amdhsa_system_sgpr_private_segment_wavefront_offset 0
		.amdhsa_system_sgpr_workgroup_id_x 1
		.amdhsa_system_sgpr_workgroup_id_y 0
		.amdhsa_system_sgpr_workgroup_id_z 0
		.amdhsa_system_sgpr_workgroup_info 0
		.amdhsa_system_vgpr_workitem_id 0
		.amdhsa_next_free_vgpr 1
		.amdhsa_next_free_sgpr 0
		.amdhsa_accum_offset 4
		.amdhsa_reserve_vcc 0
		.amdhsa_reserve_flat_scratch 0
		.amdhsa_float_round_mode_32 0
		.amdhsa_float_round_mode_16_64 0
		.amdhsa_float_denorm_mode_32 3
		.amdhsa_float_denorm_mode_16_64 3
		.amdhsa_dx10_clamp 1
		.amdhsa_ieee_mode 1
		.amdhsa_fp16_overflow 0
		.amdhsa_tg_split 0
		.amdhsa_exception_fp_ieee_invalid_op 0
		.amdhsa_exception_fp_denorm_src 0
		.amdhsa_exception_fp_ieee_div_zero 0
		.amdhsa_exception_fp_ieee_overflow 0
		.amdhsa_exception_fp_ieee_underflow 0
		.amdhsa_exception_fp_ieee_inexact 0
		.amdhsa_exception_int_div_zero 0
	.end_amdhsa_kernel
	.section	.text._ZN7rocprim17ROCPRIM_400000_NS6detail17trampoline_kernelINS0_14default_configENS1_25transform_config_selectorIyLb1EEEZNS1_14transform_implILb1ES3_S5_PyS7_NS0_8identityIyEEEE10hipError_tT2_T3_mT4_P12ihipStream_tbEUlT_E_NS1_11comp_targetILNS1_3genE0ELNS1_11target_archE4294967295ELNS1_3gpuE0ELNS1_3repE0EEENS1_30default_config_static_selectorELNS0_4arch9wavefront6targetE1EEEvT1_,"axG",@progbits,_ZN7rocprim17ROCPRIM_400000_NS6detail17trampoline_kernelINS0_14default_configENS1_25transform_config_selectorIyLb1EEEZNS1_14transform_implILb1ES3_S5_PyS7_NS0_8identityIyEEEE10hipError_tT2_T3_mT4_P12ihipStream_tbEUlT_E_NS1_11comp_targetILNS1_3genE0ELNS1_11target_archE4294967295ELNS1_3gpuE0ELNS1_3repE0EEENS1_30default_config_static_selectorELNS0_4arch9wavefront6targetE1EEEvT1_,comdat
.Lfunc_end2098:
	.size	_ZN7rocprim17ROCPRIM_400000_NS6detail17trampoline_kernelINS0_14default_configENS1_25transform_config_selectorIyLb1EEEZNS1_14transform_implILb1ES3_S5_PyS7_NS0_8identityIyEEEE10hipError_tT2_T3_mT4_P12ihipStream_tbEUlT_E_NS1_11comp_targetILNS1_3genE0ELNS1_11target_archE4294967295ELNS1_3gpuE0ELNS1_3repE0EEENS1_30default_config_static_selectorELNS0_4arch9wavefront6targetE1EEEvT1_, .Lfunc_end2098-_ZN7rocprim17ROCPRIM_400000_NS6detail17trampoline_kernelINS0_14default_configENS1_25transform_config_selectorIyLb1EEEZNS1_14transform_implILb1ES3_S5_PyS7_NS0_8identityIyEEEE10hipError_tT2_T3_mT4_P12ihipStream_tbEUlT_E_NS1_11comp_targetILNS1_3genE0ELNS1_11target_archE4294967295ELNS1_3gpuE0ELNS1_3repE0EEENS1_30default_config_static_selectorELNS0_4arch9wavefront6targetE1EEEvT1_
                                        ; -- End function
	.section	.AMDGPU.csdata,"",@progbits
; Kernel info:
; codeLenInByte = 0
; NumSgprs: 4
; NumVgprs: 0
; NumAgprs: 0
; TotalNumVgprs: 0
; ScratchSize: 0
; MemoryBound: 0
; FloatMode: 240
; IeeeMode: 1
; LDSByteSize: 0 bytes/workgroup (compile time only)
; SGPRBlocks: 0
; VGPRBlocks: 0
; NumSGPRsForWavesPerEU: 4
; NumVGPRsForWavesPerEU: 1
; AccumOffset: 4
; Occupancy: 8
; WaveLimiterHint : 0
; COMPUTE_PGM_RSRC2:SCRATCH_EN: 0
; COMPUTE_PGM_RSRC2:USER_SGPR: 6
; COMPUTE_PGM_RSRC2:TRAP_HANDLER: 0
; COMPUTE_PGM_RSRC2:TGID_X_EN: 1
; COMPUTE_PGM_RSRC2:TGID_Y_EN: 0
; COMPUTE_PGM_RSRC2:TGID_Z_EN: 0
; COMPUTE_PGM_RSRC2:TIDIG_COMP_CNT: 0
; COMPUTE_PGM_RSRC3_GFX90A:ACCUM_OFFSET: 0
; COMPUTE_PGM_RSRC3_GFX90A:TG_SPLIT: 0
	.section	.text._ZN7rocprim17ROCPRIM_400000_NS6detail17trampoline_kernelINS0_14default_configENS1_25transform_config_selectorIyLb1EEEZNS1_14transform_implILb1ES3_S5_PyS7_NS0_8identityIyEEEE10hipError_tT2_T3_mT4_P12ihipStream_tbEUlT_E_NS1_11comp_targetILNS1_3genE10ELNS1_11target_archE1201ELNS1_3gpuE5ELNS1_3repE0EEENS1_30default_config_static_selectorELNS0_4arch9wavefront6targetE1EEEvT1_,"axG",@progbits,_ZN7rocprim17ROCPRIM_400000_NS6detail17trampoline_kernelINS0_14default_configENS1_25transform_config_selectorIyLb1EEEZNS1_14transform_implILb1ES3_S5_PyS7_NS0_8identityIyEEEE10hipError_tT2_T3_mT4_P12ihipStream_tbEUlT_E_NS1_11comp_targetILNS1_3genE10ELNS1_11target_archE1201ELNS1_3gpuE5ELNS1_3repE0EEENS1_30default_config_static_selectorELNS0_4arch9wavefront6targetE1EEEvT1_,comdat
	.protected	_ZN7rocprim17ROCPRIM_400000_NS6detail17trampoline_kernelINS0_14default_configENS1_25transform_config_selectorIyLb1EEEZNS1_14transform_implILb1ES3_S5_PyS7_NS0_8identityIyEEEE10hipError_tT2_T3_mT4_P12ihipStream_tbEUlT_E_NS1_11comp_targetILNS1_3genE10ELNS1_11target_archE1201ELNS1_3gpuE5ELNS1_3repE0EEENS1_30default_config_static_selectorELNS0_4arch9wavefront6targetE1EEEvT1_ ; -- Begin function _ZN7rocprim17ROCPRIM_400000_NS6detail17trampoline_kernelINS0_14default_configENS1_25transform_config_selectorIyLb1EEEZNS1_14transform_implILb1ES3_S5_PyS7_NS0_8identityIyEEEE10hipError_tT2_T3_mT4_P12ihipStream_tbEUlT_E_NS1_11comp_targetILNS1_3genE10ELNS1_11target_archE1201ELNS1_3gpuE5ELNS1_3repE0EEENS1_30default_config_static_selectorELNS0_4arch9wavefront6targetE1EEEvT1_
	.globl	_ZN7rocprim17ROCPRIM_400000_NS6detail17trampoline_kernelINS0_14default_configENS1_25transform_config_selectorIyLb1EEEZNS1_14transform_implILb1ES3_S5_PyS7_NS0_8identityIyEEEE10hipError_tT2_T3_mT4_P12ihipStream_tbEUlT_E_NS1_11comp_targetILNS1_3genE10ELNS1_11target_archE1201ELNS1_3gpuE5ELNS1_3repE0EEENS1_30default_config_static_selectorELNS0_4arch9wavefront6targetE1EEEvT1_
	.p2align	8
	.type	_ZN7rocprim17ROCPRIM_400000_NS6detail17trampoline_kernelINS0_14default_configENS1_25transform_config_selectorIyLb1EEEZNS1_14transform_implILb1ES3_S5_PyS7_NS0_8identityIyEEEE10hipError_tT2_T3_mT4_P12ihipStream_tbEUlT_E_NS1_11comp_targetILNS1_3genE10ELNS1_11target_archE1201ELNS1_3gpuE5ELNS1_3repE0EEENS1_30default_config_static_selectorELNS0_4arch9wavefront6targetE1EEEvT1_,@function
_ZN7rocprim17ROCPRIM_400000_NS6detail17trampoline_kernelINS0_14default_configENS1_25transform_config_selectorIyLb1EEEZNS1_14transform_implILb1ES3_S5_PyS7_NS0_8identityIyEEEE10hipError_tT2_T3_mT4_P12ihipStream_tbEUlT_E_NS1_11comp_targetILNS1_3genE10ELNS1_11target_archE1201ELNS1_3gpuE5ELNS1_3repE0EEENS1_30default_config_static_selectorELNS0_4arch9wavefront6targetE1EEEvT1_: ; @_ZN7rocprim17ROCPRIM_400000_NS6detail17trampoline_kernelINS0_14default_configENS1_25transform_config_selectorIyLb1EEEZNS1_14transform_implILb1ES3_S5_PyS7_NS0_8identityIyEEEE10hipError_tT2_T3_mT4_P12ihipStream_tbEUlT_E_NS1_11comp_targetILNS1_3genE10ELNS1_11target_archE1201ELNS1_3gpuE5ELNS1_3repE0EEENS1_30default_config_static_selectorELNS0_4arch9wavefront6targetE1EEEvT1_
; %bb.0:
	.section	.rodata,"a",@progbits
	.p2align	6, 0x0
	.amdhsa_kernel _ZN7rocprim17ROCPRIM_400000_NS6detail17trampoline_kernelINS0_14default_configENS1_25transform_config_selectorIyLb1EEEZNS1_14transform_implILb1ES3_S5_PyS7_NS0_8identityIyEEEE10hipError_tT2_T3_mT4_P12ihipStream_tbEUlT_E_NS1_11comp_targetILNS1_3genE10ELNS1_11target_archE1201ELNS1_3gpuE5ELNS1_3repE0EEENS1_30default_config_static_selectorELNS0_4arch9wavefront6targetE1EEEvT1_
		.amdhsa_group_segment_fixed_size 0
		.amdhsa_private_segment_fixed_size 0
		.amdhsa_kernarg_size 40
		.amdhsa_user_sgpr_count 6
		.amdhsa_user_sgpr_private_segment_buffer 1
		.amdhsa_user_sgpr_dispatch_ptr 0
		.amdhsa_user_sgpr_queue_ptr 0
		.amdhsa_user_sgpr_kernarg_segment_ptr 1
		.amdhsa_user_sgpr_dispatch_id 0
		.amdhsa_user_sgpr_flat_scratch_init 0
		.amdhsa_user_sgpr_kernarg_preload_length 0
		.amdhsa_user_sgpr_kernarg_preload_offset 0
		.amdhsa_user_sgpr_private_segment_size 0
		.amdhsa_uses_dynamic_stack 0
		.amdhsa_system_sgpr_private_segment_wavefront_offset 0
		.amdhsa_system_sgpr_workgroup_id_x 1
		.amdhsa_system_sgpr_workgroup_id_y 0
		.amdhsa_system_sgpr_workgroup_id_z 0
		.amdhsa_system_sgpr_workgroup_info 0
		.amdhsa_system_vgpr_workitem_id 0
		.amdhsa_next_free_vgpr 1
		.amdhsa_next_free_sgpr 0
		.amdhsa_accum_offset 4
		.amdhsa_reserve_vcc 0
		.amdhsa_reserve_flat_scratch 0
		.amdhsa_float_round_mode_32 0
		.amdhsa_float_round_mode_16_64 0
		.amdhsa_float_denorm_mode_32 3
		.amdhsa_float_denorm_mode_16_64 3
		.amdhsa_dx10_clamp 1
		.amdhsa_ieee_mode 1
		.amdhsa_fp16_overflow 0
		.amdhsa_tg_split 0
		.amdhsa_exception_fp_ieee_invalid_op 0
		.amdhsa_exception_fp_denorm_src 0
		.amdhsa_exception_fp_ieee_div_zero 0
		.amdhsa_exception_fp_ieee_overflow 0
		.amdhsa_exception_fp_ieee_underflow 0
		.amdhsa_exception_fp_ieee_inexact 0
		.amdhsa_exception_int_div_zero 0
	.end_amdhsa_kernel
	.section	.text._ZN7rocprim17ROCPRIM_400000_NS6detail17trampoline_kernelINS0_14default_configENS1_25transform_config_selectorIyLb1EEEZNS1_14transform_implILb1ES3_S5_PyS7_NS0_8identityIyEEEE10hipError_tT2_T3_mT4_P12ihipStream_tbEUlT_E_NS1_11comp_targetILNS1_3genE10ELNS1_11target_archE1201ELNS1_3gpuE5ELNS1_3repE0EEENS1_30default_config_static_selectorELNS0_4arch9wavefront6targetE1EEEvT1_,"axG",@progbits,_ZN7rocprim17ROCPRIM_400000_NS6detail17trampoline_kernelINS0_14default_configENS1_25transform_config_selectorIyLb1EEEZNS1_14transform_implILb1ES3_S5_PyS7_NS0_8identityIyEEEE10hipError_tT2_T3_mT4_P12ihipStream_tbEUlT_E_NS1_11comp_targetILNS1_3genE10ELNS1_11target_archE1201ELNS1_3gpuE5ELNS1_3repE0EEENS1_30default_config_static_selectorELNS0_4arch9wavefront6targetE1EEEvT1_,comdat
.Lfunc_end2099:
	.size	_ZN7rocprim17ROCPRIM_400000_NS6detail17trampoline_kernelINS0_14default_configENS1_25transform_config_selectorIyLb1EEEZNS1_14transform_implILb1ES3_S5_PyS7_NS0_8identityIyEEEE10hipError_tT2_T3_mT4_P12ihipStream_tbEUlT_E_NS1_11comp_targetILNS1_3genE10ELNS1_11target_archE1201ELNS1_3gpuE5ELNS1_3repE0EEENS1_30default_config_static_selectorELNS0_4arch9wavefront6targetE1EEEvT1_, .Lfunc_end2099-_ZN7rocprim17ROCPRIM_400000_NS6detail17trampoline_kernelINS0_14default_configENS1_25transform_config_selectorIyLb1EEEZNS1_14transform_implILb1ES3_S5_PyS7_NS0_8identityIyEEEE10hipError_tT2_T3_mT4_P12ihipStream_tbEUlT_E_NS1_11comp_targetILNS1_3genE10ELNS1_11target_archE1201ELNS1_3gpuE5ELNS1_3repE0EEENS1_30default_config_static_selectorELNS0_4arch9wavefront6targetE1EEEvT1_
                                        ; -- End function
	.section	.AMDGPU.csdata,"",@progbits
; Kernel info:
; codeLenInByte = 0
; NumSgprs: 4
; NumVgprs: 0
; NumAgprs: 0
; TotalNumVgprs: 0
; ScratchSize: 0
; MemoryBound: 0
; FloatMode: 240
; IeeeMode: 1
; LDSByteSize: 0 bytes/workgroup (compile time only)
; SGPRBlocks: 0
; VGPRBlocks: 0
; NumSGPRsForWavesPerEU: 4
; NumVGPRsForWavesPerEU: 1
; AccumOffset: 4
; Occupancy: 8
; WaveLimiterHint : 0
; COMPUTE_PGM_RSRC2:SCRATCH_EN: 0
; COMPUTE_PGM_RSRC2:USER_SGPR: 6
; COMPUTE_PGM_RSRC2:TRAP_HANDLER: 0
; COMPUTE_PGM_RSRC2:TGID_X_EN: 1
; COMPUTE_PGM_RSRC2:TGID_Y_EN: 0
; COMPUTE_PGM_RSRC2:TGID_Z_EN: 0
; COMPUTE_PGM_RSRC2:TIDIG_COMP_CNT: 0
; COMPUTE_PGM_RSRC3_GFX90A:ACCUM_OFFSET: 0
; COMPUTE_PGM_RSRC3_GFX90A:TG_SPLIT: 0
	.section	.text._ZN7rocprim17ROCPRIM_400000_NS6detail17trampoline_kernelINS0_14default_configENS1_25transform_config_selectorIyLb1EEEZNS1_14transform_implILb1ES3_S5_PyS7_NS0_8identityIyEEEE10hipError_tT2_T3_mT4_P12ihipStream_tbEUlT_E_NS1_11comp_targetILNS1_3genE5ELNS1_11target_archE942ELNS1_3gpuE9ELNS1_3repE0EEENS1_30default_config_static_selectorELNS0_4arch9wavefront6targetE1EEEvT1_,"axG",@progbits,_ZN7rocprim17ROCPRIM_400000_NS6detail17trampoline_kernelINS0_14default_configENS1_25transform_config_selectorIyLb1EEEZNS1_14transform_implILb1ES3_S5_PyS7_NS0_8identityIyEEEE10hipError_tT2_T3_mT4_P12ihipStream_tbEUlT_E_NS1_11comp_targetILNS1_3genE5ELNS1_11target_archE942ELNS1_3gpuE9ELNS1_3repE0EEENS1_30default_config_static_selectorELNS0_4arch9wavefront6targetE1EEEvT1_,comdat
	.protected	_ZN7rocprim17ROCPRIM_400000_NS6detail17trampoline_kernelINS0_14default_configENS1_25transform_config_selectorIyLb1EEEZNS1_14transform_implILb1ES3_S5_PyS7_NS0_8identityIyEEEE10hipError_tT2_T3_mT4_P12ihipStream_tbEUlT_E_NS1_11comp_targetILNS1_3genE5ELNS1_11target_archE942ELNS1_3gpuE9ELNS1_3repE0EEENS1_30default_config_static_selectorELNS0_4arch9wavefront6targetE1EEEvT1_ ; -- Begin function _ZN7rocprim17ROCPRIM_400000_NS6detail17trampoline_kernelINS0_14default_configENS1_25transform_config_selectorIyLb1EEEZNS1_14transform_implILb1ES3_S5_PyS7_NS0_8identityIyEEEE10hipError_tT2_T3_mT4_P12ihipStream_tbEUlT_E_NS1_11comp_targetILNS1_3genE5ELNS1_11target_archE942ELNS1_3gpuE9ELNS1_3repE0EEENS1_30default_config_static_selectorELNS0_4arch9wavefront6targetE1EEEvT1_
	.globl	_ZN7rocprim17ROCPRIM_400000_NS6detail17trampoline_kernelINS0_14default_configENS1_25transform_config_selectorIyLb1EEEZNS1_14transform_implILb1ES3_S5_PyS7_NS0_8identityIyEEEE10hipError_tT2_T3_mT4_P12ihipStream_tbEUlT_E_NS1_11comp_targetILNS1_3genE5ELNS1_11target_archE942ELNS1_3gpuE9ELNS1_3repE0EEENS1_30default_config_static_selectorELNS0_4arch9wavefront6targetE1EEEvT1_
	.p2align	8
	.type	_ZN7rocprim17ROCPRIM_400000_NS6detail17trampoline_kernelINS0_14default_configENS1_25transform_config_selectorIyLb1EEEZNS1_14transform_implILb1ES3_S5_PyS7_NS0_8identityIyEEEE10hipError_tT2_T3_mT4_P12ihipStream_tbEUlT_E_NS1_11comp_targetILNS1_3genE5ELNS1_11target_archE942ELNS1_3gpuE9ELNS1_3repE0EEENS1_30default_config_static_selectorELNS0_4arch9wavefront6targetE1EEEvT1_,@function
_ZN7rocprim17ROCPRIM_400000_NS6detail17trampoline_kernelINS0_14default_configENS1_25transform_config_selectorIyLb1EEEZNS1_14transform_implILb1ES3_S5_PyS7_NS0_8identityIyEEEE10hipError_tT2_T3_mT4_P12ihipStream_tbEUlT_E_NS1_11comp_targetILNS1_3genE5ELNS1_11target_archE942ELNS1_3gpuE9ELNS1_3repE0EEENS1_30default_config_static_selectorELNS0_4arch9wavefront6targetE1EEEvT1_: ; @_ZN7rocprim17ROCPRIM_400000_NS6detail17trampoline_kernelINS0_14default_configENS1_25transform_config_selectorIyLb1EEEZNS1_14transform_implILb1ES3_S5_PyS7_NS0_8identityIyEEEE10hipError_tT2_T3_mT4_P12ihipStream_tbEUlT_E_NS1_11comp_targetILNS1_3genE5ELNS1_11target_archE942ELNS1_3gpuE9ELNS1_3repE0EEENS1_30default_config_static_selectorELNS0_4arch9wavefront6targetE1EEEvT1_
; %bb.0:
	.section	.rodata,"a",@progbits
	.p2align	6, 0x0
	.amdhsa_kernel _ZN7rocprim17ROCPRIM_400000_NS6detail17trampoline_kernelINS0_14default_configENS1_25transform_config_selectorIyLb1EEEZNS1_14transform_implILb1ES3_S5_PyS7_NS0_8identityIyEEEE10hipError_tT2_T3_mT4_P12ihipStream_tbEUlT_E_NS1_11comp_targetILNS1_3genE5ELNS1_11target_archE942ELNS1_3gpuE9ELNS1_3repE0EEENS1_30default_config_static_selectorELNS0_4arch9wavefront6targetE1EEEvT1_
		.amdhsa_group_segment_fixed_size 0
		.amdhsa_private_segment_fixed_size 0
		.amdhsa_kernarg_size 40
		.amdhsa_user_sgpr_count 6
		.amdhsa_user_sgpr_private_segment_buffer 1
		.amdhsa_user_sgpr_dispatch_ptr 0
		.amdhsa_user_sgpr_queue_ptr 0
		.amdhsa_user_sgpr_kernarg_segment_ptr 1
		.amdhsa_user_sgpr_dispatch_id 0
		.amdhsa_user_sgpr_flat_scratch_init 0
		.amdhsa_user_sgpr_kernarg_preload_length 0
		.amdhsa_user_sgpr_kernarg_preload_offset 0
		.amdhsa_user_sgpr_private_segment_size 0
		.amdhsa_uses_dynamic_stack 0
		.amdhsa_system_sgpr_private_segment_wavefront_offset 0
		.amdhsa_system_sgpr_workgroup_id_x 1
		.amdhsa_system_sgpr_workgroup_id_y 0
		.amdhsa_system_sgpr_workgroup_id_z 0
		.amdhsa_system_sgpr_workgroup_info 0
		.amdhsa_system_vgpr_workitem_id 0
		.amdhsa_next_free_vgpr 1
		.amdhsa_next_free_sgpr 0
		.amdhsa_accum_offset 4
		.amdhsa_reserve_vcc 0
		.amdhsa_reserve_flat_scratch 0
		.amdhsa_float_round_mode_32 0
		.amdhsa_float_round_mode_16_64 0
		.amdhsa_float_denorm_mode_32 3
		.amdhsa_float_denorm_mode_16_64 3
		.amdhsa_dx10_clamp 1
		.amdhsa_ieee_mode 1
		.amdhsa_fp16_overflow 0
		.amdhsa_tg_split 0
		.amdhsa_exception_fp_ieee_invalid_op 0
		.amdhsa_exception_fp_denorm_src 0
		.amdhsa_exception_fp_ieee_div_zero 0
		.amdhsa_exception_fp_ieee_overflow 0
		.amdhsa_exception_fp_ieee_underflow 0
		.amdhsa_exception_fp_ieee_inexact 0
		.amdhsa_exception_int_div_zero 0
	.end_amdhsa_kernel
	.section	.text._ZN7rocprim17ROCPRIM_400000_NS6detail17trampoline_kernelINS0_14default_configENS1_25transform_config_selectorIyLb1EEEZNS1_14transform_implILb1ES3_S5_PyS7_NS0_8identityIyEEEE10hipError_tT2_T3_mT4_P12ihipStream_tbEUlT_E_NS1_11comp_targetILNS1_3genE5ELNS1_11target_archE942ELNS1_3gpuE9ELNS1_3repE0EEENS1_30default_config_static_selectorELNS0_4arch9wavefront6targetE1EEEvT1_,"axG",@progbits,_ZN7rocprim17ROCPRIM_400000_NS6detail17trampoline_kernelINS0_14default_configENS1_25transform_config_selectorIyLb1EEEZNS1_14transform_implILb1ES3_S5_PyS7_NS0_8identityIyEEEE10hipError_tT2_T3_mT4_P12ihipStream_tbEUlT_E_NS1_11comp_targetILNS1_3genE5ELNS1_11target_archE942ELNS1_3gpuE9ELNS1_3repE0EEENS1_30default_config_static_selectorELNS0_4arch9wavefront6targetE1EEEvT1_,comdat
.Lfunc_end2100:
	.size	_ZN7rocprim17ROCPRIM_400000_NS6detail17trampoline_kernelINS0_14default_configENS1_25transform_config_selectorIyLb1EEEZNS1_14transform_implILb1ES3_S5_PyS7_NS0_8identityIyEEEE10hipError_tT2_T3_mT4_P12ihipStream_tbEUlT_E_NS1_11comp_targetILNS1_3genE5ELNS1_11target_archE942ELNS1_3gpuE9ELNS1_3repE0EEENS1_30default_config_static_selectorELNS0_4arch9wavefront6targetE1EEEvT1_, .Lfunc_end2100-_ZN7rocprim17ROCPRIM_400000_NS6detail17trampoline_kernelINS0_14default_configENS1_25transform_config_selectorIyLb1EEEZNS1_14transform_implILb1ES3_S5_PyS7_NS0_8identityIyEEEE10hipError_tT2_T3_mT4_P12ihipStream_tbEUlT_E_NS1_11comp_targetILNS1_3genE5ELNS1_11target_archE942ELNS1_3gpuE9ELNS1_3repE0EEENS1_30default_config_static_selectorELNS0_4arch9wavefront6targetE1EEEvT1_
                                        ; -- End function
	.section	.AMDGPU.csdata,"",@progbits
; Kernel info:
; codeLenInByte = 0
; NumSgprs: 4
; NumVgprs: 0
; NumAgprs: 0
; TotalNumVgprs: 0
; ScratchSize: 0
; MemoryBound: 0
; FloatMode: 240
; IeeeMode: 1
; LDSByteSize: 0 bytes/workgroup (compile time only)
; SGPRBlocks: 0
; VGPRBlocks: 0
; NumSGPRsForWavesPerEU: 4
; NumVGPRsForWavesPerEU: 1
; AccumOffset: 4
; Occupancy: 8
; WaveLimiterHint : 0
; COMPUTE_PGM_RSRC2:SCRATCH_EN: 0
; COMPUTE_PGM_RSRC2:USER_SGPR: 6
; COMPUTE_PGM_RSRC2:TRAP_HANDLER: 0
; COMPUTE_PGM_RSRC2:TGID_X_EN: 1
; COMPUTE_PGM_RSRC2:TGID_Y_EN: 0
; COMPUTE_PGM_RSRC2:TGID_Z_EN: 0
; COMPUTE_PGM_RSRC2:TIDIG_COMP_CNT: 0
; COMPUTE_PGM_RSRC3_GFX90A:ACCUM_OFFSET: 0
; COMPUTE_PGM_RSRC3_GFX90A:TG_SPLIT: 0
	.section	.text._ZN7rocprim17ROCPRIM_400000_NS6detail17trampoline_kernelINS0_14default_configENS1_25transform_config_selectorIyLb1EEEZNS1_14transform_implILb1ES3_S5_PyS7_NS0_8identityIyEEEE10hipError_tT2_T3_mT4_P12ihipStream_tbEUlT_E_NS1_11comp_targetILNS1_3genE4ELNS1_11target_archE910ELNS1_3gpuE8ELNS1_3repE0EEENS1_30default_config_static_selectorELNS0_4arch9wavefront6targetE1EEEvT1_,"axG",@progbits,_ZN7rocprim17ROCPRIM_400000_NS6detail17trampoline_kernelINS0_14default_configENS1_25transform_config_selectorIyLb1EEEZNS1_14transform_implILb1ES3_S5_PyS7_NS0_8identityIyEEEE10hipError_tT2_T3_mT4_P12ihipStream_tbEUlT_E_NS1_11comp_targetILNS1_3genE4ELNS1_11target_archE910ELNS1_3gpuE8ELNS1_3repE0EEENS1_30default_config_static_selectorELNS0_4arch9wavefront6targetE1EEEvT1_,comdat
	.protected	_ZN7rocprim17ROCPRIM_400000_NS6detail17trampoline_kernelINS0_14default_configENS1_25transform_config_selectorIyLb1EEEZNS1_14transform_implILb1ES3_S5_PyS7_NS0_8identityIyEEEE10hipError_tT2_T3_mT4_P12ihipStream_tbEUlT_E_NS1_11comp_targetILNS1_3genE4ELNS1_11target_archE910ELNS1_3gpuE8ELNS1_3repE0EEENS1_30default_config_static_selectorELNS0_4arch9wavefront6targetE1EEEvT1_ ; -- Begin function _ZN7rocprim17ROCPRIM_400000_NS6detail17trampoline_kernelINS0_14default_configENS1_25transform_config_selectorIyLb1EEEZNS1_14transform_implILb1ES3_S5_PyS7_NS0_8identityIyEEEE10hipError_tT2_T3_mT4_P12ihipStream_tbEUlT_E_NS1_11comp_targetILNS1_3genE4ELNS1_11target_archE910ELNS1_3gpuE8ELNS1_3repE0EEENS1_30default_config_static_selectorELNS0_4arch9wavefront6targetE1EEEvT1_
	.globl	_ZN7rocprim17ROCPRIM_400000_NS6detail17trampoline_kernelINS0_14default_configENS1_25transform_config_selectorIyLb1EEEZNS1_14transform_implILb1ES3_S5_PyS7_NS0_8identityIyEEEE10hipError_tT2_T3_mT4_P12ihipStream_tbEUlT_E_NS1_11comp_targetILNS1_3genE4ELNS1_11target_archE910ELNS1_3gpuE8ELNS1_3repE0EEENS1_30default_config_static_selectorELNS0_4arch9wavefront6targetE1EEEvT1_
	.p2align	8
	.type	_ZN7rocprim17ROCPRIM_400000_NS6detail17trampoline_kernelINS0_14default_configENS1_25transform_config_selectorIyLb1EEEZNS1_14transform_implILb1ES3_S5_PyS7_NS0_8identityIyEEEE10hipError_tT2_T3_mT4_P12ihipStream_tbEUlT_E_NS1_11comp_targetILNS1_3genE4ELNS1_11target_archE910ELNS1_3gpuE8ELNS1_3repE0EEENS1_30default_config_static_selectorELNS0_4arch9wavefront6targetE1EEEvT1_,@function
_ZN7rocprim17ROCPRIM_400000_NS6detail17trampoline_kernelINS0_14default_configENS1_25transform_config_selectorIyLb1EEEZNS1_14transform_implILb1ES3_S5_PyS7_NS0_8identityIyEEEE10hipError_tT2_T3_mT4_P12ihipStream_tbEUlT_E_NS1_11comp_targetILNS1_3genE4ELNS1_11target_archE910ELNS1_3gpuE8ELNS1_3repE0EEENS1_30default_config_static_selectorELNS0_4arch9wavefront6targetE1EEEvT1_: ; @_ZN7rocprim17ROCPRIM_400000_NS6detail17trampoline_kernelINS0_14default_configENS1_25transform_config_selectorIyLb1EEEZNS1_14transform_implILb1ES3_S5_PyS7_NS0_8identityIyEEEE10hipError_tT2_T3_mT4_P12ihipStream_tbEUlT_E_NS1_11comp_targetILNS1_3genE4ELNS1_11target_archE910ELNS1_3gpuE8ELNS1_3repE0EEENS1_30default_config_static_selectorELNS0_4arch9wavefront6targetE1EEEvT1_
; %bb.0:
	s_load_dwordx8 s[8:15], s[4:5], 0x0
	s_load_dword s2, s[4:5], 0x28
	s_waitcnt lgkmcnt(0)
	s_lshl_b64 s[0:1], s[10:11], 3
	s_add_u32 s4, s8, s0
	s_addc_u32 s5, s9, s1
	s_add_u32 s8, s14, s0
	s_addc_u32 s9, s15, s1
	s_lshl_b32 s0, s6, 11
	s_mov_b32 s1, 0
	s_add_i32 s7, s2, -1
	s_lshl_b64 s[2:3], s[0:1], 3
	s_add_u32 s4, s4, s2
	s_addc_u32 s5, s5, s3
	s_cmp_lg_u32 s6, s7
	s_mov_b64 s[6:7], -1
	s_cbranch_scc0 .LBB2101_2
; %bb.1:
	v_lshlrev_b32_e32 v1, 4, v0
	global_load_dwordx4 v[2:5], v1, s[4:5]
	s_add_u32 s6, s8, s2
	s_addc_u32 s7, s9, s3
	s_waitcnt vmcnt(0)
	global_store_dwordx4 v1, v[2:5], s[6:7]
	s_mov_b64 s[6:7], 0
.LBB2101_2:
	s_andn2_b64 vcc, exec, s[6:7]
	s_cbranch_vccnz .LBB2101_11
; %bb.3:
	s_sub_i32 s6, s12, s0
	v_cmp_gt_u32_e32 vcc, s6, v0
	v_lshlrev_b32_e32 v1, 3, v0
                                        ; implicit-def: $vgpr2_vgpr3_vgpr4_vgpr5
	s_and_saveexec_b64 s[0:1], vcc
	s_cbranch_execz .LBB2101_5
; %bb.4:
	global_load_dwordx2 v[2:3], v1, s[4:5]
.LBB2101_5:
	s_or_b64 exec, exec, s[0:1]
	v_or_b32_e32 v0, 0x400, v0
	v_cmp_gt_u32_e64 s[0:1], s6, v0
	s_and_saveexec_b64 s[6:7], s[0:1]
	s_cbranch_execz .LBB2101_7
; %bb.6:
	v_lshlrev_b32_e32 v0, 3, v0
	global_load_dwordx2 v[4:5], v0, s[4:5]
.LBB2101_7:
	s_or_b64 exec, exec, s[6:7]
	s_add_u32 s2, s8, s2
	s_addc_u32 s3, s9, s3
	v_mov_b32_e32 v6, s3
	v_add_co_u32_e64 v0, s[2:3], s2, v1
	v_addc_co_u32_e64 v1, s[2:3], 0, v6, s[2:3]
	s_and_saveexec_b64 s[2:3], vcc
	s_cbranch_execz .LBB2101_9
; %bb.8:
	s_waitcnt vmcnt(0)
	global_store_dwordx2 v[0:1], v[2:3], off
.LBB2101_9:
	s_or_b64 exec, exec, s[2:3]
	s_and_saveexec_b64 s[2:3], s[0:1]
	s_cbranch_execz .LBB2101_11
; %bb.10:
	v_add_co_u32_e32 v0, vcc, 0x2000, v0
	v_addc_co_u32_e32 v1, vcc, 0, v1, vcc
	s_waitcnt vmcnt(0)
	global_store_dwordx2 v[0:1], v[4:5], off
.LBB2101_11:
	s_endpgm
	.section	.rodata,"a",@progbits
	.p2align	6, 0x0
	.amdhsa_kernel _ZN7rocprim17ROCPRIM_400000_NS6detail17trampoline_kernelINS0_14default_configENS1_25transform_config_selectorIyLb1EEEZNS1_14transform_implILb1ES3_S5_PyS7_NS0_8identityIyEEEE10hipError_tT2_T3_mT4_P12ihipStream_tbEUlT_E_NS1_11comp_targetILNS1_3genE4ELNS1_11target_archE910ELNS1_3gpuE8ELNS1_3repE0EEENS1_30default_config_static_selectorELNS0_4arch9wavefront6targetE1EEEvT1_
		.amdhsa_group_segment_fixed_size 0
		.amdhsa_private_segment_fixed_size 0
		.amdhsa_kernarg_size 296
		.amdhsa_user_sgpr_count 6
		.amdhsa_user_sgpr_private_segment_buffer 1
		.amdhsa_user_sgpr_dispatch_ptr 0
		.amdhsa_user_sgpr_queue_ptr 0
		.amdhsa_user_sgpr_kernarg_segment_ptr 1
		.amdhsa_user_sgpr_dispatch_id 0
		.amdhsa_user_sgpr_flat_scratch_init 0
		.amdhsa_user_sgpr_kernarg_preload_length 0
		.amdhsa_user_sgpr_kernarg_preload_offset 0
		.amdhsa_user_sgpr_private_segment_size 0
		.amdhsa_uses_dynamic_stack 0
		.amdhsa_system_sgpr_private_segment_wavefront_offset 0
		.amdhsa_system_sgpr_workgroup_id_x 1
		.amdhsa_system_sgpr_workgroup_id_y 0
		.amdhsa_system_sgpr_workgroup_id_z 0
		.amdhsa_system_sgpr_workgroup_info 0
		.amdhsa_system_vgpr_workitem_id 0
		.amdhsa_next_free_vgpr 7
		.amdhsa_next_free_sgpr 16
		.amdhsa_accum_offset 8
		.amdhsa_reserve_vcc 1
		.amdhsa_reserve_flat_scratch 0
		.amdhsa_float_round_mode_32 0
		.amdhsa_float_round_mode_16_64 0
		.amdhsa_float_denorm_mode_32 3
		.amdhsa_float_denorm_mode_16_64 3
		.amdhsa_dx10_clamp 1
		.amdhsa_ieee_mode 1
		.amdhsa_fp16_overflow 0
		.amdhsa_tg_split 0
		.amdhsa_exception_fp_ieee_invalid_op 0
		.amdhsa_exception_fp_denorm_src 0
		.amdhsa_exception_fp_ieee_div_zero 0
		.amdhsa_exception_fp_ieee_overflow 0
		.amdhsa_exception_fp_ieee_underflow 0
		.amdhsa_exception_fp_ieee_inexact 0
		.amdhsa_exception_int_div_zero 0
	.end_amdhsa_kernel
	.section	.text._ZN7rocprim17ROCPRIM_400000_NS6detail17trampoline_kernelINS0_14default_configENS1_25transform_config_selectorIyLb1EEEZNS1_14transform_implILb1ES3_S5_PyS7_NS0_8identityIyEEEE10hipError_tT2_T3_mT4_P12ihipStream_tbEUlT_E_NS1_11comp_targetILNS1_3genE4ELNS1_11target_archE910ELNS1_3gpuE8ELNS1_3repE0EEENS1_30default_config_static_selectorELNS0_4arch9wavefront6targetE1EEEvT1_,"axG",@progbits,_ZN7rocprim17ROCPRIM_400000_NS6detail17trampoline_kernelINS0_14default_configENS1_25transform_config_selectorIyLb1EEEZNS1_14transform_implILb1ES3_S5_PyS7_NS0_8identityIyEEEE10hipError_tT2_T3_mT4_P12ihipStream_tbEUlT_E_NS1_11comp_targetILNS1_3genE4ELNS1_11target_archE910ELNS1_3gpuE8ELNS1_3repE0EEENS1_30default_config_static_selectorELNS0_4arch9wavefront6targetE1EEEvT1_,comdat
.Lfunc_end2101:
	.size	_ZN7rocprim17ROCPRIM_400000_NS6detail17trampoline_kernelINS0_14default_configENS1_25transform_config_selectorIyLb1EEEZNS1_14transform_implILb1ES3_S5_PyS7_NS0_8identityIyEEEE10hipError_tT2_T3_mT4_P12ihipStream_tbEUlT_E_NS1_11comp_targetILNS1_3genE4ELNS1_11target_archE910ELNS1_3gpuE8ELNS1_3repE0EEENS1_30default_config_static_selectorELNS0_4arch9wavefront6targetE1EEEvT1_, .Lfunc_end2101-_ZN7rocprim17ROCPRIM_400000_NS6detail17trampoline_kernelINS0_14default_configENS1_25transform_config_selectorIyLb1EEEZNS1_14transform_implILb1ES3_S5_PyS7_NS0_8identityIyEEEE10hipError_tT2_T3_mT4_P12ihipStream_tbEUlT_E_NS1_11comp_targetILNS1_3genE4ELNS1_11target_archE910ELNS1_3gpuE8ELNS1_3repE0EEENS1_30default_config_static_selectorELNS0_4arch9wavefront6targetE1EEEvT1_
                                        ; -- End function
	.section	.AMDGPU.csdata,"",@progbits
; Kernel info:
; codeLenInByte = 280
; NumSgprs: 20
; NumVgprs: 7
; NumAgprs: 0
; TotalNumVgprs: 7
; ScratchSize: 0
; MemoryBound: 1
; FloatMode: 240
; IeeeMode: 1
; LDSByteSize: 0 bytes/workgroup (compile time only)
; SGPRBlocks: 2
; VGPRBlocks: 0
; NumSGPRsForWavesPerEU: 20
; NumVGPRsForWavesPerEU: 7
; AccumOffset: 8
; Occupancy: 8
; WaveLimiterHint : 0
; COMPUTE_PGM_RSRC2:SCRATCH_EN: 0
; COMPUTE_PGM_RSRC2:USER_SGPR: 6
; COMPUTE_PGM_RSRC2:TRAP_HANDLER: 0
; COMPUTE_PGM_RSRC2:TGID_X_EN: 1
; COMPUTE_PGM_RSRC2:TGID_Y_EN: 0
; COMPUTE_PGM_RSRC2:TGID_Z_EN: 0
; COMPUTE_PGM_RSRC2:TIDIG_COMP_CNT: 0
; COMPUTE_PGM_RSRC3_GFX90A:ACCUM_OFFSET: 1
; COMPUTE_PGM_RSRC3_GFX90A:TG_SPLIT: 0
	.section	.text._ZN7rocprim17ROCPRIM_400000_NS6detail17trampoline_kernelINS0_14default_configENS1_25transform_config_selectorIyLb1EEEZNS1_14transform_implILb1ES3_S5_PyS7_NS0_8identityIyEEEE10hipError_tT2_T3_mT4_P12ihipStream_tbEUlT_E_NS1_11comp_targetILNS1_3genE3ELNS1_11target_archE908ELNS1_3gpuE7ELNS1_3repE0EEENS1_30default_config_static_selectorELNS0_4arch9wavefront6targetE1EEEvT1_,"axG",@progbits,_ZN7rocprim17ROCPRIM_400000_NS6detail17trampoline_kernelINS0_14default_configENS1_25transform_config_selectorIyLb1EEEZNS1_14transform_implILb1ES3_S5_PyS7_NS0_8identityIyEEEE10hipError_tT2_T3_mT4_P12ihipStream_tbEUlT_E_NS1_11comp_targetILNS1_3genE3ELNS1_11target_archE908ELNS1_3gpuE7ELNS1_3repE0EEENS1_30default_config_static_selectorELNS0_4arch9wavefront6targetE1EEEvT1_,comdat
	.protected	_ZN7rocprim17ROCPRIM_400000_NS6detail17trampoline_kernelINS0_14default_configENS1_25transform_config_selectorIyLb1EEEZNS1_14transform_implILb1ES3_S5_PyS7_NS0_8identityIyEEEE10hipError_tT2_T3_mT4_P12ihipStream_tbEUlT_E_NS1_11comp_targetILNS1_3genE3ELNS1_11target_archE908ELNS1_3gpuE7ELNS1_3repE0EEENS1_30default_config_static_selectorELNS0_4arch9wavefront6targetE1EEEvT1_ ; -- Begin function _ZN7rocprim17ROCPRIM_400000_NS6detail17trampoline_kernelINS0_14default_configENS1_25transform_config_selectorIyLb1EEEZNS1_14transform_implILb1ES3_S5_PyS7_NS0_8identityIyEEEE10hipError_tT2_T3_mT4_P12ihipStream_tbEUlT_E_NS1_11comp_targetILNS1_3genE3ELNS1_11target_archE908ELNS1_3gpuE7ELNS1_3repE0EEENS1_30default_config_static_selectorELNS0_4arch9wavefront6targetE1EEEvT1_
	.globl	_ZN7rocprim17ROCPRIM_400000_NS6detail17trampoline_kernelINS0_14default_configENS1_25transform_config_selectorIyLb1EEEZNS1_14transform_implILb1ES3_S5_PyS7_NS0_8identityIyEEEE10hipError_tT2_T3_mT4_P12ihipStream_tbEUlT_E_NS1_11comp_targetILNS1_3genE3ELNS1_11target_archE908ELNS1_3gpuE7ELNS1_3repE0EEENS1_30default_config_static_selectorELNS0_4arch9wavefront6targetE1EEEvT1_
	.p2align	8
	.type	_ZN7rocprim17ROCPRIM_400000_NS6detail17trampoline_kernelINS0_14default_configENS1_25transform_config_selectorIyLb1EEEZNS1_14transform_implILb1ES3_S5_PyS7_NS0_8identityIyEEEE10hipError_tT2_T3_mT4_P12ihipStream_tbEUlT_E_NS1_11comp_targetILNS1_3genE3ELNS1_11target_archE908ELNS1_3gpuE7ELNS1_3repE0EEENS1_30default_config_static_selectorELNS0_4arch9wavefront6targetE1EEEvT1_,@function
_ZN7rocprim17ROCPRIM_400000_NS6detail17trampoline_kernelINS0_14default_configENS1_25transform_config_selectorIyLb1EEEZNS1_14transform_implILb1ES3_S5_PyS7_NS0_8identityIyEEEE10hipError_tT2_T3_mT4_P12ihipStream_tbEUlT_E_NS1_11comp_targetILNS1_3genE3ELNS1_11target_archE908ELNS1_3gpuE7ELNS1_3repE0EEENS1_30default_config_static_selectorELNS0_4arch9wavefront6targetE1EEEvT1_: ; @_ZN7rocprim17ROCPRIM_400000_NS6detail17trampoline_kernelINS0_14default_configENS1_25transform_config_selectorIyLb1EEEZNS1_14transform_implILb1ES3_S5_PyS7_NS0_8identityIyEEEE10hipError_tT2_T3_mT4_P12ihipStream_tbEUlT_E_NS1_11comp_targetILNS1_3genE3ELNS1_11target_archE908ELNS1_3gpuE7ELNS1_3repE0EEENS1_30default_config_static_selectorELNS0_4arch9wavefront6targetE1EEEvT1_
; %bb.0:
	.section	.rodata,"a",@progbits
	.p2align	6, 0x0
	.amdhsa_kernel _ZN7rocprim17ROCPRIM_400000_NS6detail17trampoline_kernelINS0_14default_configENS1_25transform_config_selectorIyLb1EEEZNS1_14transform_implILb1ES3_S5_PyS7_NS0_8identityIyEEEE10hipError_tT2_T3_mT4_P12ihipStream_tbEUlT_E_NS1_11comp_targetILNS1_3genE3ELNS1_11target_archE908ELNS1_3gpuE7ELNS1_3repE0EEENS1_30default_config_static_selectorELNS0_4arch9wavefront6targetE1EEEvT1_
		.amdhsa_group_segment_fixed_size 0
		.amdhsa_private_segment_fixed_size 0
		.amdhsa_kernarg_size 40
		.amdhsa_user_sgpr_count 6
		.amdhsa_user_sgpr_private_segment_buffer 1
		.amdhsa_user_sgpr_dispatch_ptr 0
		.amdhsa_user_sgpr_queue_ptr 0
		.amdhsa_user_sgpr_kernarg_segment_ptr 1
		.amdhsa_user_sgpr_dispatch_id 0
		.amdhsa_user_sgpr_flat_scratch_init 0
		.amdhsa_user_sgpr_kernarg_preload_length 0
		.amdhsa_user_sgpr_kernarg_preload_offset 0
		.amdhsa_user_sgpr_private_segment_size 0
		.amdhsa_uses_dynamic_stack 0
		.amdhsa_system_sgpr_private_segment_wavefront_offset 0
		.amdhsa_system_sgpr_workgroup_id_x 1
		.amdhsa_system_sgpr_workgroup_id_y 0
		.amdhsa_system_sgpr_workgroup_id_z 0
		.amdhsa_system_sgpr_workgroup_info 0
		.amdhsa_system_vgpr_workitem_id 0
		.amdhsa_next_free_vgpr 1
		.amdhsa_next_free_sgpr 0
		.amdhsa_accum_offset 4
		.amdhsa_reserve_vcc 0
		.amdhsa_reserve_flat_scratch 0
		.amdhsa_float_round_mode_32 0
		.amdhsa_float_round_mode_16_64 0
		.amdhsa_float_denorm_mode_32 3
		.amdhsa_float_denorm_mode_16_64 3
		.amdhsa_dx10_clamp 1
		.amdhsa_ieee_mode 1
		.amdhsa_fp16_overflow 0
		.amdhsa_tg_split 0
		.amdhsa_exception_fp_ieee_invalid_op 0
		.amdhsa_exception_fp_denorm_src 0
		.amdhsa_exception_fp_ieee_div_zero 0
		.amdhsa_exception_fp_ieee_overflow 0
		.amdhsa_exception_fp_ieee_underflow 0
		.amdhsa_exception_fp_ieee_inexact 0
		.amdhsa_exception_int_div_zero 0
	.end_amdhsa_kernel
	.section	.text._ZN7rocprim17ROCPRIM_400000_NS6detail17trampoline_kernelINS0_14default_configENS1_25transform_config_selectorIyLb1EEEZNS1_14transform_implILb1ES3_S5_PyS7_NS0_8identityIyEEEE10hipError_tT2_T3_mT4_P12ihipStream_tbEUlT_E_NS1_11comp_targetILNS1_3genE3ELNS1_11target_archE908ELNS1_3gpuE7ELNS1_3repE0EEENS1_30default_config_static_selectorELNS0_4arch9wavefront6targetE1EEEvT1_,"axG",@progbits,_ZN7rocprim17ROCPRIM_400000_NS6detail17trampoline_kernelINS0_14default_configENS1_25transform_config_selectorIyLb1EEEZNS1_14transform_implILb1ES3_S5_PyS7_NS0_8identityIyEEEE10hipError_tT2_T3_mT4_P12ihipStream_tbEUlT_E_NS1_11comp_targetILNS1_3genE3ELNS1_11target_archE908ELNS1_3gpuE7ELNS1_3repE0EEENS1_30default_config_static_selectorELNS0_4arch9wavefront6targetE1EEEvT1_,comdat
.Lfunc_end2102:
	.size	_ZN7rocprim17ROCPRIM_400000_NS6detail17trampoline_kernelINS0_14default_configENS1_25transform_config_selectorIyLb1EEEZNS1_14transform_implILb1ES3_S5_PyS7_NS0_8identityIyEEEE10hipError_tT2_T3_mT4_P12ihipStream_tbEUlT_E_NS1_11comp_targetILNS1_3genE3ELNS1_11target_archE908ELNS1_3gpuE7ELNS1_3repE0EEENS1_30default_config_static_selectorELNS0_4arch9wavefront6targetE1EEEvT1_, .Lfunc_end2102-_ZN7rocprim17ROCPRIM_400000_NS6detail17trampoline_kernelINS0_14default_configENS1_25transform_config_selectorIyLb1EEEZNS1_14transform_implILb1ES3_S5_PyS7_NS0_8identityIyEEEE10hipError_tT2_T3_mT4_P12ihipStream_tbEUlT_E_NS1_11comp_targetILNS1_3genE3ELNS1_11target_archE908ELNS1_3gpuE7ELNS1_3repE0EEENS1_30default_config_static_selectorELNS0_4arch9wavefront6targetE1EEEvT1_
                                        ; -- End function
	.section	.AMDGPU.csdata,"",@progbits
; Kernel info:
; codeLenInByte = 0
; NumSgprs: 4
; NumVgprs: 0
; NumAgprs: 0
; TotalNumVgprs: 0
; ScratchSize: 0
; MemoryBound: 0
; FloatMode: 240
; IeeeMode: 1
; LDSByteSize: 0 bytes/workgroup (compile time only)
; SGPRBlocks: 0
; VGPRBlocks: 0
; NumSGPRsForWavesPerEU: 4
; NumVGPRsForWavesPerEU: 1
; AccumOffset: 4
; Occupancy: 8
; WaveLimiterHint : 0
; COMPUTE_PGM_RSRC2:SCRATCH_EN: 0
; COMPUTE_PGM_RSRC2:USER_SGPR: 6
; COMPUTE_PGM_RSRC2:TRAP_HANDLER: 0
; COMPUTE_PGM_RSRC2:TGID_X_EN: 1
; COMPUTE_PGM_RSRC2:TGID_Y_EN: 0
; COMPUTE_PGM_RSRC2:TGID_Z_EN: 0
; COMPUTE_PGM_RSRC2:TIDIG_COMP_CNT: 0
; COMPUTE_PGM_RSRC3_GFX90A:ACCUM_OFFSET: 0
; COMPUTE_PGM_RSRC3_GFX90A:TG_SPLIT: 0
	.section	.text._ZN7rocprim17ROCPRIM_400000_NS6detail17trampoline_kernelINS0_14default_configENS1_25transform_config_selectorIyLb1EEEZNS1_14transform_implILb1ES3_S5_PyS7_NS0_8identityIyEEEE10hipError_tT2_T3_mT4_P12ihipStream_tbEUlT_E_NS1_11comp_targetILNS1_3genE2ELNS1_11target_archE906ELNS1_3gpuE6ELNS1_3repE0EEENS1_30default_config_static_selectorELNS0_4arch9wavefront6targetE1EEEvT1_,"axG",@progbits,_ZN7rocprim17ROCPRIM_400000_NS6detail17trampoline_kernelINS0_14default_configENS1_25transform_config_selectorIyLb1EEEZNS1_14transform_implILb1ES3_S5_PyS7_NS0_8identityIyEEEE10hipError_tT2_T3_mT4_P12ihipStream_tbEUlT_E_NS1_11comp_targetILNS1_3genE2ELNS1_11target_archE906ELNS1_3gpuE6ELNS1_3repE0EEENS1_30default_config_static_selectorELNS0_4arch9wavefront6targetE1EEEvT1_,comdat
	.protected	_ZN7rocprim17ROCPRIM_400000_NS6detail17trampoline_kernelINS0_14default_configENS1_25transform_config_selectorIyLb1EEEZNS1_14transform_implILb1ES3_S5_PyS7_NS0_8identityIyEEEE10hipError_tT2_T3_mT4_P12ihipStream_tbEUlT_E_NS1_11comp_targetILNS1_3genE2ELNS1_11target_archE906ELNS1_3gpuE6ELNS1_3repE0EEENS1_30default_config_static_selectorELNS0_4arch9wavefront6targetE1EEEvT1_ ; -- Begin function _ZN7rocprim17ROCPRIM_400000_NS6detail17trampoline_kernelINS0_14default_configENS1_25transform_config_selectorIyLb1EEEZNS1_14transform_implILb1ES3_S5_PyS7_NS0_8identityIyEEEE10hipError_tT2_T3_mT4_P12ihipStream_tbEUlT_E_NS1_11comp_targetILNS1_3genE2ELNS1_11target_archE906ELNS1_3gpuE6ELNS1_3repE0EEENS1_30default_config_static_selectorELNS0_4arch9wavefront6targetE1EEEvT1_
	.globl	_ZN7rocprim17ROCPRIM_400000_NS6detail17trampoline_kernelINS0_14default_configENS1_25transform_config_selectorIyLb1EEEZNS1_14transform_implILb1ES3_S5_PyS7_NS0_8identityIyEEEE10hipError_tT2_T3_mT4_P12ihipStream_tbEUlT_E_NS1_11comp_targetILNS1_3genE2ELNS1_11target_archE906ELNS1_3gpuE6ELNS1_3repE0EEENS1_30default_config_static_selectorELNS0_4arch9wavefront6targetE1EEEvT1_
	.p2align	8
	.type	_ZN7rocprim17ROCPRIM_400000_NS6detail17trampoline_kernelINS0_14default_configENS1_25transform_config_selectorIyLb1EEEZNS1_14transform_implILb1ES3_S5_PyS7_NS0_8identityIyEEEE10hipError_tT2_T3_mT4_P12ihipStream_tbEUlT_E_NS1_11comp_targetILNS1_3genE2ELNS1_11target_archE906ELNS1_3gpuE6ELNS1_3repE0EEENS1_30default_config_static_selectorELNS0_4arch9wavefront6targetE1EEEvT1_,@function
_ZN7rocprim17ROCPRIM_400000_NS6detail17trampoline_kernelINS0_14default_configENS1_25transform_config_selectorIyLb1EEEZNS1_14transform_implILb1ES3_S5_PyS7_NS0_8identityIyEEEE10hipError_tT2_T3_mT4_P12ihipStream_tbEUlT_E_NS1_11comp_targetILNS1_3genE2ELNS1_11target_archE906ELNS1_3gpuE6ELNS1_3repE0EEENS1_30default_config_static_selectorELNS0_4arch9wavefront6targetE1EEEvT1_: ; @_ZN7rocprim17ROCPRIM_400000_NS6detail17trampoline_kernelINS0_14default_configENS1_25transform_config_selectorIyLb1EEEZNS1_14transform_implILb1ES3_S5_PyS7_NS0_8identityIyEEEE10hipError_tT2_T3_mT4_P12ihipStream_tbEUlT_E_NS1_11comp_targetILNS1_3genE2ELNS1_11target_archE906ELNS1_3gpuE6ELNS1_3repE0EEENS1_30default_config_static_selectorELNS0_4arch9wavefront6targetE1EEEvT1_
; %bb.0:
	.section	.rodata,"a",@progbits
	.p2align	6, 0x0
	.amdhsa_kernel _ZN7rocprim17ROCPRIM_400000_NS6detail17trampoline_kernelINS0_14default_configENS1_25transform_config_selectorIyLb1EEEZNS1_14transform_implILb1ES3_S5_PyS7_NS0_8identityIyEEEE10hipError_tT2_T3_mT4_P12ihipStream_tbEUlT_E_NS1_11comp_targetILNS1_3genE2ELNS1_11target_archE906ELNS1_3gpuE6ELNS1_3repE0EEENS1_30default_config_static_selectorELNS0_4arch9wavefront6targetE1EEEvT1_
		.amdhsa_group_segment_fixed_size 0
		.amdhsa_private_segment_fixed_size 0
		.amdhsa_kernarg_size 40
		.amdhsa_user_sgpr_count 6
		.amdhsa_user_sgpr_private_segment_buffer 1
		.amdhsa_user_sgpr_dispatch_ptr 0
		.amdhsa_user_sgpr_queue_ptr 0
		.amdhsa_user_sgpr_kernarg_segment_ptr 1
		.amdhsa_user_sgpr_dispatch_id 0
		.amdhsa_user_sgpr_flat_scratch_init 0
		.amdhsa_user_sgpr_kernarg_preload_length 0
		.amdhsa_user_sgpr_kernarg_preload_offset 0
		.amdhsa_user_sgpr_private_segment_size 0
		.amdhsa_uses_dynamic_stack 0
		.amdhsa_system_sgpr_private_segment_wavefront_offset 0
		.amdhsa_system_sgpr_workgroup_id_x 1
		.amdhsa_system_sgpr_workgroup_id_y 0
		.amdhsa_system_sgpr_workgroup_id_z 0
		.amdhsa_system_sgpr_workgroup_info 0
		.amdhsa_system_vgpr_workitem_id 0
		.amdhsa_next_free_vgpr 1
		.amdhsa_next_free_sgpr 0
		.amdhsa_accum_offset 4
		.amdhsa_reserve_vcc 0
		.amdhsa_reserve_flat_scratch 0
		.amdhsa_float_round_mode_32 0
		.amdhsa_float_round_mode_16_64 0
		.amdhsa_float_denorm_mode_32 3
		.amdhsa_float_denorm_mode_16_64 3
		.amdhsa_dx10_clamp 1
		.amdhsa_ieee_mode 1
		.amdhsa_fp16_overflow 0
		.amdhsa_tg_split 0
		.amdhsa_exception_fp_ieee_invalid_op 0
		.amdhsa_exception_fp_denorm_src 0
		.amdhsa_exception_fp_ieee_div_zero 0
		.amdhsa_exception_fp_ieee_overflow 0
		.amdhsa_exception_fp_ieee_underflow 0
		.amdhsa_exception_fp_ieee_inexact 0
		.amdhsa_exception_int_div_zero 0
	.end_amdhsa_kernel
	.section	.text._ZN7rocprim17ROCPRIM_400000_NS6detail17trampoline_kernelINS0_14default_configENS1_25transform_config_selectorIyLb1EEEZNS1_14transform_implILb1ES3_S5_PyS7_NS0_8identityIyEEEE10hipError_tT2_T3_mT4_P12ihipStream_tbEUlT_E_NS1_11comp_targetILNS1_3genE2ELNS1_11target_archE906ELNS1_3gpuE6ELNS1_3repE0EEENS1_30default_config_static_selectorELNS0_4arch9wavefront6targetE1EEEvT1_,"axG",@progbits,_ZN7rocprim17ROCPRIM_400000_NS6detail17trampoline_kernelINS0_14default_configENS1_25transform_config_selectorIyLb1EEEZNS1_14transform_implILb1ES3_S5_PyS7_NS0_8identityIyEEEE10hipError_tT2_T3_mT4_P12ihipStream_tbEUlT_E_NS1_11comp_targetILNS1_3genE2ELNS1_11target_archE906ELNS1_3gpuE6ELNS1_3repE0EEENS1_30default_config_static_selectorELNS0_4arch9wavefront6targetE1EEEvT1_,comdat
.Lfunc_end2103:
	.size	_ZN7rocprim17ROCPRIM_400000_NS6detail17trampoline_kernelINS0_14default_configENS1_25transform_config_selectorIyLb1EEEZNS1_14transform_implILb1ES3_S5_PyS7_NS0_8identityIyEEEE10hipError_tT2_T3_mT4_P12ihipStream_tbEUlT_E_NS1_11comp_targetILNS1_3genE2ELNS1_11target_archE906ELNS1_3gpuE6ELNS1_3repE0EEENS1_30default_config_static_selectorELNS0_4arch9wavefront6targetE1EEEvT1_, .Lfunc_end2103-_ZN7rocprim17ROCPRIM_400000_NS6detail17trampoline_kernelINS0_14default_configENS1_25transform_config_selectorIyLb1EEEZNS1_14transform_implILb1ES3_S5_PyS7_NS0_8identityIyEEEE10hipError_tT2_T3_mT4_P12ihipStream_tbEUlT_E_NS1_11comp_targetILNS1_3genE2ELNS1_11target_archE906ELNS1_3gpuE6ELNS1_3repE0EEENS1_30default_config_static_selectorELNS0_4arch9wavefront6targetE1EEEvT1_
                                        ; -- End function
	.section	.AMDGPU.csdata,"",@progbits
; Kernel info:
; codeLenInByte = 0
; NumSgprs: 4
; NumVgprs: 0
; NumAgprs: 0
; TotalNumVgprs: 0
; ScratchSize: 0
; MemoryBound: 0
; FloatMode: 240
; IeeeMode: 1
; LDSByteSize: 0 bytes/workgroup (compile time only)
; SGPRBlocks: 0
; VGPRBlocks: 0
; NumSGPRsForWavesPerEU: 4
; NumVGPRsForWavesPerEU: 1
; AccumOffset: 4
; Occupancy: 8
; WaveLimiterHint : 0
; COMPUTE_PGM_RSRC2:SCRATCH_EN: 0
; COMPUTE_PGM_RSRC2:USER_SGPR: 6
; COMPUTE_PGM_RSRC2:TRAP_HANDLER: 0
; COMPUTE_PGM_RSRC2:TGID_X_EN: 1
; COMPUTE_PGM_RSRC2:TGID_Y_EN: 0
; COMPUTE_PGM_RSRC2:TGID_Z_EN: 0
; COMPUTE_PGM_RSRC2:TIDIG_COMP_CNT: 0
; COMPUTE_PGM_RSRC3_GFX90A:ACCUM_OFFSET: 0
; COMPUTE_PGM_RSRC3_GFX90A:TG_SPLIT: 0
	.section	.text._ZN7rocprim17ROCPRIM_400000_NS6detail17trampoline_kernelINS0_14default_configENS1_25transform_config_selectorIyLb1EEEZNS1_14transform_implILb1ES3_S5_PyS7_NS0_8identityIyEEEE10hipError_tT2_T3_mT4_P12ihipStream_tbEUlT_E_NS1_11comp_targetILNS1_3genE9ELNS1_11target_archE1100ELNS1_3gpuE3ELNS1_3repE0EEENS1_30default_config_static_selectorELNS0_4arch9wavefront6targetE1EEEvT1_,"axG",@progbits,_ZN7rocprim17ROCPRIM_400000_NS6detail17trampoline_kernelINS0_14default_configENS1_25transform_config_selectorIyLb1EEEZNS1_14transform_implILb1ES3_S5_PyS7_NS0_8identityIyEEEE10hipError_tT2_T3_mT4_P12ihipStream_tbEUlT_E_NS1_11comp_targetILNS1_3genE9ELNS1_11target_archE1100ELNS1_3gpuE3ELNS1_3repE0EEENS1_30default_config_static_selectorELNS0_4arch9wavefront6targetE1EEEvT1_,comdat
	.protected	_ZN7rocprim17ROCPRIM_400000_NS6detail17trampoline_kernelINS0_14default_configENS1_25transform_config_selectorIyLb1EEEZNS1_14transform_implILb1ES3_S5_PyS7_NS0_8identityIyEEEE10hipError_tT2_T3_mT4_P12ihipStream_tbEUlT_E_NS1_11comp_targetILNS1_3genE9ELNS1_11target_archE1100ELNS1_3gpuE3ELNS1_3repE0EEENS1_30default_config_static_selectorELNS0_4arch9wavefront6targetE1EEEvT1_ ; -- Begin function _ZN7rocprim17ROCPRIM_400000_NS6detail17trampoline_kernelINS0_14default_configENS1_25transform_config_selectorIyLb1EEEZNS1_14transform_implILb1ES3_S5_PyS7_NS0_8identityIyEEEE10hipError_tT2_T3_mT4_P12ihipStream_tbEUlT_E_NS1_11comp_targetILNS1_3genE9ELNS1_11target_archE1100ELNS1_3gpuE3ELNS1_3repE0EEENS1_30default_config_static_selectorELNS0_4arch9wavefront6targetE1EEEvT1_
	.globl	_ZN7rocprim17ROCPRIM_400000_NS6detail17trampoline_kernelINS0_14default_configENS1_25transform_config_selectorIyLb1EEEZNS1_14transform_implILb1ES3_S5_PyS7_NS0_8identityIyEEEE10hipError_tT2_T3_mT4_P12ihipStream_tbEUlT_E_NS1_11comp_targetILNS1_3genE9ELNS1_11target_archE1100ELNS1_3gpuE3ELNS1_3repE0EEENS1_30default_config_static_selectorELNS0_4arch9wavefront6targetE1EEEvT1_
	.p2align	8
	.type	_ZN7rocprim17ROCPRIM_400000_NS6detail17trampoline_kernelINS0_14default_configENS1_25transform_config_selectorIyLb1EEEZNS1_14transform_implILb1ES3_S5_PyS7_NS0_8identityIyEEEE10hipError_tT2_T3_mT4_P12ihipStream_tbEUlT_E_NS1_11comp_targetILNS1_3genE9ELNS1_11target_archE1100ELNS1_3gpuE3ELNS1_3repE0EEENS1_30default_config_static_selectorELNS0_4arch9wavefront6targetE1EEEvT1_,@function
_ZN7rocprim17ROCPRIM_400000_NS6detail17trampoline_kernelINS0_14default_configENS1_25transform_config_selectorIyLb1EEEZNS1_14transform_implILb1ES3_S5_PyS7_NS0_8identityIyEEEE10hipError_tT2_T3_mT4_P12ihipStream_tbEUlT_E_NS1_11comp_targetILNS1_3genE9ELNS1_11target_archE1100ELNS1_3gpuE3ELNS1_3repE0EEENS1_30default_config_static_selectorELNS0_4arch9wavefront6targetE1EEEvT1_: ; @_ZN7rocprim17ROCPRIM_400000_NS6detail17trampoline_kernelINS0_14default_configENS1_25transform_config_selectorIyLb1EEEZNS1_14transform_implILb1ES3_S5_PyS7_NS0_8identityIyEEEE10hipError_tT2_T3_mT4_P12ihipStream_tbEUlT_E_NS1_11comp_targetILNS1_3genE9ELNS1_11target_archE1100ELNS1_3gpuE3ELNS1_3repE0EEENS1_30default_config_static_selectorELNS0_4arch9wavefront6targetE1EEEvT1_
; %bb.0:
	.section	.rodata,"a",@progbits
	.p2align	6, 0x0
	.amdhsa_kernel _ZN7rocprim17ROCPRIM_400000_NS6detail17trampoline_kernelINS0_14default_configENS1_25transform_config_selectorIyLb1EEEZNS1_14transform_implILb1ES3_S5_PyS7_NS0_8identityIyEEEE10hipError_tT2_T3_mT4_P12ihipStream_tbEUlT_E_NS1_11comp_targetILNS1_3genE9ELNS1_11target_archE1100ELNS1_3gpuE3ELNS1_3repE0EEENS1_30default_config_static_selectorELNS0_4arch9wavefront6targetE1EEEvT1_
		.amdhsa_group_segment_fixed_size 0
		.amdhsa_private_segment_fixed_size 0
		.amdhsa_kernarg_size 40
		.amdhsa_user_sgpr_count 6
		.amdhsa_user_sgpr_private_segment_buffer 1
		.amdhsa_user_sgpr_dispatch_ptr 0
		.amdhsa_user_sgpr_queue_ptr 0
		.amdhsa_user_sgpr_kernarg_segment_ptr 1
		.amdhsa_user_sgpr_dispatch_id 0
		.amdhsa_user_sgpr_flat_scratch_init 0
		.amdhsa_user_sgpr_kernarg_preload_length 0
		.amdhsa_user_sgpr_kernarg_preload_offset 0
		.amdhsa_user_sgpr_private_segment_size 0
		.amdhsa_uses_dynamic_stack 0
		.amdhsa_system_sgpr_private_segment_wavefront_offset 0
		.amdhsa_system_sgpr_workgroup_id_x 1
		.amdhsa_system_sgpr_workgroup_id_y 0
		.amdhsa_system_sgpr_workgroup_id_z 0
		.amdhsa_system_sgpr_workgroup_info 0
		.amdhsa_system_vgpr_workitem_id 0
		.amdhsa_next_free_vgpr 1
		.amdhsa_next_free_sgpr 0
		.amdhsa_accum_offset 4
		.amdhsa_reserve_vcc 0
		.amdhsa_reserve_flat_scratch 0
		.amdhsa_float_round_mode_32 0
		.amdhsa_float_round_mode_16_64 0
		.amdhsa_float_denorm_mode_32 3
		.amdhsa_float_denorm_mode_16_64 3
		.amdhsa_dx10_clamp 1
		.amdhsa_ieee_mode 1
		.amdhsa_fp16_overflow 0
		.amdhsa_tg_split 0
		.amdhsa_exception_fp_ieee_invalid_op 0
		.amdhsa_exception_fp_denorm_src 0
		.amdhsa_exception_fp_ieee_div_zero 0
		.amdhsa_exception_fp_ieee_overflow 0
		.amdhsa_exception_fp_ieee_underflow 0
		.amdhsa_exception_fp_ieee_inexact 0
		.amdhsa_exception_int_div_zero 0
	.end_amdhsa_kernel
	.section	.text._ZN7rocprim17ROCPRIM_400000_NS6detail17trampoline_kernelINS0_14default_configENS1_25transform_config_selectorIyLb1EEEZNS1_14transform_implILb1ES3_S5_PyS7_NS0_8identityIyEEEE10hipError_tT2_T3_mT4_P12ihipStream_tbEUlT_E_NS1_11comp_targetILNS1_3genE9ELNS1_11target_archE1100ELNS1_3gpuE3ELNS1_3repE0EEENS1_30default_config_static_selectorELNS0_4arch9wavefront6targetE1EEEvT1_,"axG",@progbits,_ZN7rocprim17ROCPRIM_400000_NS6detail17trampoline_kernelINS0_14default_configENS1_25transform_config_selectorIyLb1EEEZNS1_14transform_implILb1ES3_S5_PyS7_NS0_8identityIyEEEE10hipError_tT2_T3_mT4_P12ihipStream_tbEUlT_E_NS1_11comp_targetILNS1_3genE9ELNS1_11target_archE1100ELNS1_3gpuE3ELNS1_3repE0EEENS1_30default_config_static_selectorELNS0_4arch9wavefront6targetE1EEEvT1_,comdat
.Lfunc_end2104:
	.size	_ZN7rocprim17ROCPRIM_400000_NS6detail17trampoline_kernelINS0_14default_configENS1_25transform_config_selectorIyLb1EEEZNS1_14transform_implILb1ES3_S5_PyS7_NS0_8identityIyEEEE10hipError_tT2_T3_mT4_P12ihipStream_tbEUlT_E_NS1_11comp_targetILNS1_3genE9ELNS1_11target_archE1100ELNS1_3gpuE3ELNS1_3repE0EEENS1_30default_config_static_selectorELNS0_4arch9wavefront6targetE1EEEvT1_, .Lfunc_end2104-_ZN7rocprim17ROCPRIM_400000_NS6detail17trampoline_kernelINS0_14default_configENS1_25transform_config_selectorIyLb1EEEZNS1_14transform_implILb1ES3_S5_PyS7_NS0_8identityIyEEEE10hipError_tT2_T3_mT4_P12ihipStream_tbEUlT_E_NS1_11comp_targetILNS1_3genE9ELNS1_11target_archE1100ELNS1_3gpuE3ELNS1_3repE0EEENS1_30default_config_static_selectorELNS0_4arch9wavefront6targetE1EEEvT1_
                                        ; -- End function
	.section	.AMDGPU.csdata,"",@progbits
; Kernel info:
; codeLenInByte = 0
; NumSgprs: 4
; NumVgprs: 0
; NumAgprs: 0
; TotalNumVgprs: 0
; ScratchSize: 0
; MemoryBound: 0
; FloatMode: 240
; IeeeMode: 1
; LDSByteSize: 0 bytes/workgroup (compile time only)
; SGPRBlocks: 0
; VGPRBlocks: 0
; NumSGPRsForWavesPerEU: 4
; NumVGPRsForWavesPerEU: 1
; AccumOffset: 4
; Occupancy: 8
; WaveLimiterHint : 0
; COMPUTE_PGM_RSRC2:SCRATCH_EN: 0
; COMPUTE_PGM_RSRC2:USER_SGPR: 6
; COMPUTE_PGM_RSRC2:TRAP_HANDLER: 0
; COMPUTE_PGM_RSRC2:TGID_X_EN: 1
; COMPUTE_PGM_RSRC2:TGID_Y_EN: 0
; COMPUTE_PGM_RSRC2:TGID_Z_EN: 0
; COMPUTE_PGM_RSRC2:TIDIG_COMP_CNT: 0
; COMPUTE_PGM_RSRC3_GFX90A:ACCUM_OFFSET: 0
; COMPUTE_PGM_RSRC3_GFX90A:TG_SPLIT: 0
	.section	.text._ZN7rocprim17ROCPRIM_400000_NS6detail17trampoline_kernelINS0_14default_configENS1_25transform_config_selectorIyLb1EEEZNS1_14transform_implILb1ES3_S5_PyS7_NS0_8identityIyEEEE10hipError_tT2_T3_mT4_P12ihipStream_tbEUlT_E_NS1_11comp_targetILNS1_3genE8ELNS1_11target_archE1030ELNS1_3gpuE2ELNS1_3repE0EEENS1_30default_config_static_selectorELNS0_4arch9wavefront6targetE1EEEvT1_,"axG",@progbits,_ZN7rocprim17ROCPRIM_400000_NS6detail17trampoline_kernelINS0_14default_configENS1_25transform_config_selectorIyLb1EEEZNS1_14transform_implILb1ES3_S5_PyS7_NS0_8identityIyEEEE10hipError_tT2_T3_mT4_P12ihipStream_tbEUlT_E_NS1_11comp_targetILNS1_3genE8ELNS1_11target_archE1030ELNS1_3gpuE2ELNS1_3repE0EEENS1_30default_config_static_selectorELNS0_4arch9wavefront6targetE1EEEvT1_,comdat
	.protected	_ZN7rocprim17ROCPRIM_400000_NS6detail17trampoline_kernelINS0_14default_configENS1_25transform_config_selectorIyLb1EEEZNS1_14transform_implILb1ES3_S5_PyS7_NS0_8identityIyEEEE10hipError_tT2_T3_mT4_P12ihipStream_tbEUlT_E_NS1_11comp_targetILNS1_3genE8ELNS1_11target_archE1030ELNS1_3gpuE2ELNS1_3repE0EEENS1_30default_config_static_selectorELNS0_4arch9wavefront6targetE1EEEvT1_ ; -- Begin function _ZN7rocprim17ROCPRIM_400000_NS6detail17trampoline_kernelINS0_14default_configENS1_25transform_config_selectorIyLb1EEEZNS1_14transform_implILb1ES3_S5_PyS7_NS0_8identityIyEEEE10hipError_tT2_T3_mT4_P12ihipStream_tbEUlT_E_NS1_11comp_targetILNS1_3genE8ELNS1_11target_archE1030ELNS1_3gpuE2ELNS1_3repE0EEENS1_30default_config_static_selectorELNS0_4arch9wavefront6targetE1EEEvT1_
	.globl	_ZN7rocprim17ROCPRIM_400000_NS6detail17trampoline_kernelINS0_14default_configENS1_25transform_config_selectorIyLb1EEEZNS1_14transform_implILb1ES3_S5_PyS7_NS0_8identityIyEEEE10hipError_tT2_T3_mT4_P12ihipStream_tbEUlT_E_NS1_11comp_targetILNS1_3genE8ELNS1_11target_archE1030ELNS1_3gpuE2ELNS1_3repE0EEENS1_30default_config_static_selectorELNS0_4arch9wavefront6targetE1EEEvT1_
	.p2align	8
	.type	_ZN7rocprim17ROCPRIM_400000_NS6detail17trampoline_kernelINS0_14default_configENS1_25transform_config_selectorIyLb1EEEZNS1_14transform_implILb1ES3_S5_PyS7_NS0_8identityIyEEEE10hipError_tT2_T3_mT4_P12ihipStream_tbEUlT_E_NS1_11comp_targetILNS1_3genE8ELNS1_11target_archE1030ELNS1_3gpuE2ELNS1_3repE0EEENS1_30default_config_static_selectorELNS0_4arch9wavefront6targetE1EEEvT1_,@function
_ZN7rocprim17ROCPRIM_400000_NS6detail17trampoline_kernelINS0_14default_configENS1_25transform_config_selectorIyLb1EEEZNS1_14transform_implILb1ES3_S5_PyS7_NS0_8identityIyEEEE10hipError_tT2_T3_mT4_P12ihipStream_tbEUlT_E_NS1_11comp_targetILNS1_3genE8ELNS1_11target_archE1030ELNS1_3gpuE2ELNS1_3repE0EEENS1_30default_config_static_selectorELNS0_4arch9wavefront6targetE1EEEvT1_: ; @_ZN7rocprim17ROCPRIM_400000_NS6detail17trampoline_kernelINS0_14default_configENS1_25transform_config_selectorIyLb1EEEZNS1_14transform_implILb1ES3_S5_PyS7_NS0_8identityIyEEEE10hipError_tT2_T3_mT4_P12ihipStream_tbEUlT_E_NS1_11comp_targetILNS1_3genE8ELNS1_11target_archE1030ELNS1_3gpuE2ELNS1_3repE0EEENS1_30default_config_static_selectorELNS0_4arch9wavefront6targetE1EEEvT1_
; %bb.0:
	.section	.rodata,"a",@progbits
	.p2align	6, 0x0
	.amdhsa_kernel _ZN7rocprim17ROCPRIM_400000_NS6detail17trampoline_kernelINS0_14default_configENS1_25transform_config_selectorIyLb1EEEZNS1_14transform_implILb1ES3_S5_PyS7_NS0_8identityIyEEEE10hipError_tT2_T3_mT4_P12ihipStream_tbEUlT_E_NS1_11comp_targetILNS1_3genE8ELNS1_11target_archE1030ELNS1_3gpuE2ELNS1_3repE0EEENS1_30default_config_static_selectorELNS0_4arch9wavefront6targetE1EEEvT1_
		.amdhsa_group_segment_fixed_size 0
		.amdhsa_private_segment_fixed_size 0
		.amdhsa_kernarg_size 40
		.amdhsa_user_sgpr_count 6
		.amdhsa_user_sgpr_private_segment_buffer 1
		.amdhsa_user_sgpr_dispatch_ptr 0
		.amdhsa_user_sgpr_queue_ptr 0
		.amdhsa_user_sgpr_kernarg_segment_ptr 1
		.amdhsa_user_sgpr_dispatch_id 0
		.amdhsa_user_sgpr_flat_scratch_init 0
		.amdhsa_user_sgpr_kernarg_preload_length 0
		.amdhsa_user_sgpr_kernarg_preload_offset 0
		.amdhsa_user_sgpr_private_segment_size 0
		.amdhsa_uses_dynamic_stack 0
		.amdhsa_system_sgpr_private_segment_wavefront_offset 0
		.amdhsa_system_sgpr_workgroup_id_x 1
		.amdhsa_system_sgpr_workgroup_id_y 0
		.amdhsa_system_sgpr_workgroup_id_z 0
		.amdhsa_system_sgpr_workgroup_info 0
		.amdhsa_system_vgpr_workitem_id 0
		.amdhsa_next_free_vgpr 1
		.amdhsa_next_free_sgpr 0
		.amdhsa_accum_offset 4
		.amdhsa_reserve_vcc 0
		.amdhsa_reserve_flat_scratch 0
		.amdhsa_float_round_mode_32 0
		.amdhsa_float_round_mode_16_64 0
		.amdhsa_float_denorm_mode_32 3
		.amdhsa_float_denorm_mode_16_64 3
		.amdhsa_dx10_clamp 1
		.amdhsa_ieee_mode 1
		.amdhsa_fp16_overflow 0
		.amdhsa_tg_split 0
		.amdhsa_exception_fp_ieee_invalid_op 0
		.amdhsa_exception_fp_denorm_src 0
		.amdhsa_exception_fp_ieee_div_zero 0
		.amdhsa_exception_fp_ieee_overflow 0
		.amdhsa_exception_fp_ieee_underflow 0
		.amdhsa_exception_fp_ieee_inexact 0
		.amdhsa_exception_int_div_zero 0
	.end_amdhsa_kernel
	.section	.text._ZN7rocprim17ROCPRIM_400000_NS6detail17trampoline_kernelINS0_14default_configENS1_25transform_config_selectorIyLb1EEEZNS1_14transform_implILb1ES3_S5_PyS7_NS0_8identityIyEEEE10hipError_tT2_T3_mT4_P12ihipStream_tbEUlT_E_NS1_11comp_targetILNS1_3genE8ELNS1_11target_archE1030ELNS1_3gpuE2ELNS1_3repE0EEENS1_30default_config_static_selectorELNS0_4arch9wavefront6targetE1EEEvT1_,"axG",@progbits,_ZN7rocprim17ROCPRIM_400000_NS6detail17trampoline_kernelINS0_14default_configENS1_25transform_config_selectorIyLb1EEEZNS1_14transform_implILb1ES3_S5_PyS7_NS0_8identityIyEEEE10hipError_tT2_T3_mT4_P12ihipStream_tbEUlT_E_NS1_11comp_targetILNS1_3genE8ELNS1_11target_archE1030ELNS1_3gpuE2ELNS1_3repE0EEENS1_30default_config_static_selectorELNS0_4arch9wavefront6targetE1EEEvT1_,comdat
.Lfunc_end2105:
	.size	_ZN7rocprim17ROCPRIM_400000_NS6detail17trampoline_kernelINS0_14default_configENS1_25transform_config_selectorIyLb1EEEZNS1_14transform_implILb1ES3_S5_PyS7_NS0_8identityIyEEEE10hipError_tT2_T3_mT4_P12ihipStream_tbEUlT_E_NS1_11comp_targetILNS1_3genE8ELNS1_11target_archE1030ELNS1_3gpuE2ELNS1_3repE0EEENS1_30default_config_static_selectorELNS0_4arch9wavefront6targetE1EEEvT1_, .Lfunc_end2105-_ZN7rocprim17ROCPRIM_400000_NS6detail17trampoline_kernelINS0_14default_configENS1_25transform_config_selectorIyLb1EEEZNS1_14transform_implILb1ES3_S5_PyS7_NS0_8identityIyEEEE10hipError_tT2_T3_mT4_P12ihipStream_tbEUlT_E_NS1_11comp_targetILNS1_3genE8ELNS1_11target_archE1030ELNS1_3gpuE2ELNS1_3repE0EEENS1_30default_config_static_selectorELNS0_4arch9wavefront6targetE1EEEvT1_
                                        ; -- End function
	.section	.AMDGPU.csdata,"",@progbits
; Kernel info:
; codeLenInByte = 0
; NumSgprs: 4
; NumVgprs: 0
; NumAgprs: 0
; TotalNumVgprs: 0
; ScratchSize: 0
; MemoryBound: 0
; FloatMode: 240
; IeeeMode: 1
; LDSByteSize: 0 bytes/workgroup (compile time only)
; SGPRBlocks: 0
; VGPRBlocks: 0
; NumSGPRsForWavesPerEU: 4
; NumVGPRsForWavesPerEU: 1
; AccumOffset: 4
; Occupancy: 8
; WaveLimiterHint : 0
; COMPUTE_PGM_RSRC2:SCRATCH_EN: 0
; COMPUTE_PGM_RSRC2:USER_SGPR: 6
; COMPUTE_PGM_RSRC2:TRAP_HANDLER: 0
; COMPUTE_PGM_RSRC2:TGID_X_EN: 1
; COMPUTE_PGM_RSRC2:TGID_Y_EN: 0
; COMPUTE_PGM_RSRC2:TGID_Z_EN: 0
; COMPUTE_PGM_RSRC2:TIDIG_COMP_CNT: 0
; COMPUTE_PGM_RSRC3_GFX90A:ACCUM_OFFSET: 0
; COMPUTE_PGM_RSRC3_GFX90A:TG_SPLIT: 0
	.section	.text._ZN7rocprim17ROCPRIM_400000_NS6detail17trampoline_kernelINS0_14default_configENS1_20scan_config_selectorIyEEZZNS1_9scan_implILNS1_25lookback_scan_determinismE0ELb0ELb0ES3_N6thrust23THRUST_200600_302600_NS6detail15normal_iteratorINS9_10device_ptrIyEEEESE_y11max_functorIyEyEEDaPvRmT3_T4_T5_mT6_P12ihipStream_tbENKUlT_T0_E_clISt17integral_constantIbLb0EESU_EEDaSP_SQ_EUlSP_E0_NS1_11comp_targetILNS1_3genE0ELNS1_11target_archE4294967295ELNS1_3gpuE0ELNS1_3repE0EEENS1_30default_config_static_selectorELNS0_4arch9wavefront6targetE1EEEvT1_,"axG",@progbits,_ZN7rocprim17ROCPRIM_400000_NS6detail17trampoline_kernelINS0_14default_configENS1_20scan_config_selectorIyEEZZNS1_9scan_implILNS1_25lookback_scan_determinismE0ELb0ELb0ES3_N6thrust23THRUST_200600_302600_NS6detail15normal_iteratorINS9_10device_ptrIyEEEESE_y11max_functorIyEyEEDaPvRmT3_T4_T5_mT6_P12ihipStream_tbENKUlT_T0_E_clISt17integral_constantIbLb0EESU_EEDaSP_SQ_EUlSP_E0_NS1_11comp_targetILNS1_3genE0ELNS1_11target_archE4294967295ELNS1_3gpuE0ELNS1_3repE0EEENS1_30default_config_static_selectorELNS0_4arch9wavefront6targetE1EEEvT1_,comdat
	.protected	_ZN7rocprim17ROCPRIM_400000_NS6detail17trampoline_kernelINS0_14default_configENS1_20scan_config_selectorIyEEZZNS1_9scan_implILNS1_25lookback_scan_determinismE0ELb0ELb0ES3_N6thrust23THRUST_200600_302600_NS6detail15normal_iteratorINS9_10device_ptrIyEEEESE_y11max_functorIyEyEEDaPvRmT3_T4_T5_mT6_P12ihipStream_tbENKUlT_T0_E_clISt17integral_constantIbLb0EESU_EEDaSP_SQ_EUlSP_E0_NS1_11comp_targetILNS1_3genE0ELNS1_11target_archE4294967295ELNS1_3gpuE0ELNS1_3repE0EEENS1_30default_config_static_selectorELNS0_4arch9wavefront6targetE1EEEvT1_ ; -- Begin function _ZN7rocprim17ROCPRIM_400000_NS6detail17trampoline_kernelINS0_14default_configENS1_20scan_config_selectorIyEEZZNS1_9scan_implILNS1_25lookback_scan_determinismE0ELb0ELb0ES3_N6thrust23THRUST_200600_302600_NS6detail15normal_iteratorINS9_10device_ptrIyEEEESE_y11max_functorIyEyEEDaPvRmT3_T4_T5_mT6_P12ihipStream_tbENKUlT_T0_E_clISt17integral_constantIbLb0EESU_EEDaSP_SQ_EUlSP_E0_NS1_11comp_targetILNS1_3genE0ELNS1_11target_archE4294967295ELNS1_3gpuE0ELNS1_3repE0EEENS1_30default_config_static_selectorELNS0_4arch9wavefront6targetE1EEEvT1_
	.globl	_ZN7rocprim17ROCPRIM_400000_NS6detail17trampoline_kernelINS0_14default_configENS1_20scan_config_selectorIyEEZZNS1_9scan_implILNS1_25lookback_scan_determinismE0ELb0ELb0ES3_N6thrust23THRUST_200600_302600_NS6detail15normal_iteratorINS9_10device_ptrIyEEEESE_y11max_functorIyEyEEDaPvRmT3_T4_T5_mT6_P12ihipStream_tbENKUlT_T0_E_clISt17integral_constantIbLb0EESU_EEDaSP_SQ_EUlSP_E0_NS1_11comp_targetILNS1_3genE0ELNS1_11target_archE4294967295ELNS1_3gpuE0ELNS1_3repE0EEENS1_30default_config_static_selectorELNS0_4arch9wavefront6targetE1EEEvT1_
	.p2align	8
	.type	_ZN7rocprim17ROCPRIM_400000_NS6detail17trampoline_kernelINS0_14default_configENS1_20scan_config_selectorIyEEZZNS1_9scan_implILNS1_25lookback_scan_determinismE0ELb0ELb0ES3_N6thrust23THRUST_200600_302600_NS6detail15normal_iteratorINS9_10device_ptrIyEEEESE_y11max_functorIyEyEEDaPvRmT3_T4_T5_mT6_P12ihipStream_tbENKUlT_T0_E_clISt17integral_constantIbLb0EESU_EEDaSP_SQ_EUlSP_E0_NS1_11comp_targetILNS1_3genE0ELNS1_11target_archE4294967295ELNS1_3gpuE0ELNS1_3repE0EEENS1_30default_config_static_selectorELNS0_4arch9wavefront6targetE1EEEvT1_,@function
_ZN7rocprim17ROCPRIM_400000_NS6detail17trampoline_kernelINS0_14default_configENS1_20scan_config_selectorIyEEZZNS1_9scan_implILNS1_25lookback_scan_determinismE0ELb0ELb0ES3_N6thrust23THRUST_200600_302600_NS6detail15normal_iteratorINS9_10device_ptrIyEEEESE_y11max_functorIyEyEEDaPvRmT3_T4_T5_mT6_P12ihipStream_tbENKUlT_T0_E_clISt17integral_constantIbLb0EESU_EEDaSP_SQ_EUlSP_E0_NS1_11comp_targetILNS1_3genE0ELNS1_11target_archE4294967295ELNS1_3gpuE0ELNS1_3repE0EEENS1_30default_config_static_selectorELNS0_4arch9wavefront6targetE1EEEvT1_: ; @_ZN7rocprim17ROCPRIM_400000_NS6detail17trampoline_kernelINS0_14default_configENS1_20scan_config_selectorIyEEZZNS1_9scan_implILNS1_25lookback_scan_determinismE0ELb0ELb0ES3_N6thrust23THRUST_200600_302600_NS6detail15normal_iteratorINS9_10device_ptrIyEEEESE_y11max_functorIyEyEEDaPvRmT3_T4_T5_mT6_P12ihipStream_tbENKUlT_T0_E_clISt17integral_constantIbLb0EESU_EEDaSP_SQ_EUlSP_E0_NS1_11comp_targetILNS1_3genE0ELNS1_11target_archE4294967295ELNS1_3gpuE0ELNS1_3repE0EEENS1_30default_config_static_selectorELNS0_4arch9wavefront6targetE1EEEvT1_
; %bb.0:
	.section	.rodata,"a",@progbits
	.p2align	6, 0x0
	.amdhsa_kernel _ZN7rocprim17ROCPRIM_400000_NS6detail17trampoline_kernelINS0_14default_configENS1_20scan_config_selectorIyEEZZNS1_9scan_implILNS1_25lookback_scan_determinismE0ELb0ELb0ES3_N6thrust23THRUST_200600_302600_NS6detail15normal_iteratorINS9_10device_ptrIyEEEESE_y11max_functorIyEyEEDaPvRmT3_T4_T5_mT6_P12ihipStream_tbENKUlT_T0_E_clISt17integral_constantIbLb0EESU_EEDaSP_SQ_EUlSP_E0_NS1_11comp_targetILNS1_3genE0ELNS1_11target_archE4294967295ELNS1_3gpuE0ELNS1_3repE0EEENS1_30default_config_static_selectorELNS0_4arch9wavefront6targetE1EEEvT1_
		.amdhsa_group_segment_fixed_size 0
		.amdhsa_private_segment_fixed_size 0
		.amdhsa_kernarg_size 40
		.amdhsa_user_sgpr_count 6
		.amdhsa_user_sgpr_private_segment_buffer 1
		.amdhsa_user_sgpr_dispatch_ptr 0
		.amdhsa_user_sgpr_queue_ptr 0
		.amdhsa_user_sgpr_kernarg_segment_ptr 1
		.amdhsa_user_sgpr_dispatch_id 0
		.amdhsa_user_sgpr_flat_scratch_init 0
		.amdhsa_user_sgpr_kernarg_preload_length 0
		.amdhsa_user_sgpr_kernarg_preload_offset 0
		.amdhsa_user_sgpr_private_segment_size 0
		.amdhsa_uses_dynamic_stack 0
		.amdhsa_system_sgpr_private_segment_wavefront_offset 0
		.amdhsa_system_sgpr_workgroup_id_x 1
		.amdhsa_system_sgpr_workgroup_id_y 0
		.amdhsa_system_sgpr_workgroup_id_z 0
		.amdhsa_system_sgpr_workgroup_info 0
		.amdhsa_system_vgpr_workitem_id 0
		.amdhsa_next_free_vgpr 1
		.amdhsa_next_free_sgpr 0
		.amdhsa_accum_offset 4
		.amdhsa_reserve_vcc 0
		.amdhsa_reserve_flat_scratch 0
		.amdhsa_float_round_mode_32 0
		.amdhsa_float_round_mode_16_64 0
		.amdhsa_float_denorm_mode_32 3
		.amdhsa_float_denorm_mode_16_64 3
		.amdhsa_dx10_clamp 1
		.amdhsa_ieee_mode 1
		.amdhsa_fp16_overflow 0
		.amdhsa_tg_split 0
		.amdhsa_exception_fp_ieee_invalid_op 0
		.amdhsa_exception_fp_denorm_src 0
		.amdhsa_exception_fp_ieee_div_zero 0
		.amdhsa_exception_fp_ieee_overflow 0
		.amdhsa_exception_fp_ieee_underflow 0
		.amdhsa_exception_fp_ieee_inexact 0
		.amdhsa_exception_int_div_zero 0
	.end_amdhsa_kernel
	.section	.text._ZN7rocprim17ROCPRIM_400000_NS6detail17trampoline_kernelINS0_14default_configENS1_20scan_config_selectorIyEEZZNS1_9scan_implILNS1_25lookback_scan_determinismE0ELb0ELb0ES3_N6thrust23THRUST_200600_302600_NS6detail15normal_iteratorINS9_10device_ptrIyEEEESE_y11max_functorIyEyEEDaPvRmT3_T4_T5_mT6_P12ihipStream_tbENKUlT_T0_E_clISt17integral_constantIbLb0EESU_EEDaSP_SQ_EUlSP_E0_NS1_11comp_targetILNS1_3genE0ELNS1_11target_archE4294967295ELNS1_3gpuE0ELNS1_3repE0EEENS1_30default_config_static_selectorELNS0_4arch9wavefront6targetE1EEEvT1_,"axG",@progbits,_ZN7rocprim17ROCPRIM_400000_NS6detail17trampoline_kernelINS0_14default_configENS1_20scan_config_selectorIyEEZZNS1_9scan_implILNS1_25lookback_scan_determinismE0ELb0ELb0ES3_N6thrust23THRUST_200600_302600_NS6detail15normal_iteratorINS9_10device_ptrIyEEEESE_y11max_functorIyEyEEDaPvRmT3_T4_T5_mT6_P12ihipStream_tbENKUlT_T0_E_clISt17integral_constantIbLb0EESU_EEDaSP_SQ_EUlSP_E0_NS1_11comp_targetILNS1_3genE0ELNS1_11target_archE4294967295ELNS1_3gpuE0ELNS1_3repE0EEENS1_30default_config_static_selectorELNS0_4arch9wavefront6targetE1EEEvT1_,comdat
.Lfunc_end2106:
	.size	_ZN7rocprim17ROCPRIM_400000_NS6detail17trampoline_kernelINS0_14default_configENS1_20scan_config_selectorIyEEZZNS1_9scan_implILNS1_25lookback_scan_determinismE0ELb0ELb0ES3_N6thrust23THRUST_200600_302600_NS6detail15normal_iteratorINS9_10device_ptrIyEEEESE_y11max_functorIyEyEEDaPvRmT3_T4_T5_mT6_P12ihipStream_tbENKUlT_T0_E_clISt17integral_constantIbLb0EESU_EEDaSP_SQ_EUlSP_E0_NS1_11comp_targetILNS1_3genE0ELNS1_11target_archE4294967295ELNS1_3gpuE0ELNS1_3repE0EEENS1_30default_config_static_selectorELNS0_4arch9wavefront6targetE1EEEvT1_, .Lfunc_end2106-_ZN7rocprim17ROCPRIM_400000_NS6detail17trampoline_kernelINS0_14default_configENS1_20scan_config_selectorIyEEZZNS1_9scan_implILNS1_25lookback_scan_determinismE0ELb0ELb0ES3_N6thrust23THRUST_200600_302600_NS6detail15normal_iteratorINS9_10device_ptrIyEEEESE_y11max_functorIyEyEEDaPvRmT3_T4_T5_mT6_P12ihipStream_tbENKUlT_T0_E_clISt17integral_constantIbLb0EESU_EEDaSP_SQ_EUlSP_E0_NS1_11comp_targetILNS1_3genE0ELNS1_11target_archE4294967295ELNS1_3gpuE0ELNS1_3repE0EEENS1_30default_config_static_selectorELNS0_4arch9wavefront6targetE1EEEvT1_
                                        ; -- End function
	.section	.AMDGPU.csdata,"",@progbits
; Kernel info:
; codeLenInByte = 0
; NumSgprs: 4
; NumVgprs: 0
; NumAgprs: 0
; TotalNumVgprs: 0
; ScratchSize: 0
; MemoryBound: 0
; FloatMode: 240
; IeeeMode: 1
; LDSByteSize: 0 bytes/workgroup (compile time only)
; SGPRBlocks: 0
; VGPRBlocks: 0
; NumSGPRsForWavesPerEU: 4
; NumVGPRsForWavesPerEU: 1
; AccumOffset: 4
; Occupancy: 8
; WaveLimiterHint : 0
; COMPUTE_PGM_RSRC2:SCRATCH_EN: 0
; COMPUTE_PGM_RSRC2:USER_SGPR: 6
; COMPUTE_PGM_RSRC2:TRAP_HANDLER: 0
; COMPUTE_PGM_RSRC2:TGID_X_EN: 1
; COMPUTE_PGM_RSRC2:TGID_Y_EN: 0
; COMPUTE_PGM_RSRC2:TGID_Z_EN: 0
; COMPUTE_PGM_RSRC2:TIDIG_COMP_CNT: 0
; COMPUTE_PGM_RSRC3_GFX90A:ACCUM_OFFSET: 0
; COMPUTE_PGM_RSRC3_GFX90A:TG_SPLIT: 0
	.section	.text._ZN7rocprim17ROCPRIM_400000_NS6detail17trampoline_kernelINS0_14default_configENS1_20scan_config_selectorIyEEZZNS1_9scan_implILNS1_25lookback_scan_determinismE0ELb0ELb0ES3_N6thrust23THRUST_200600_302600_NS6detail15normal_iteratorINS9_10device_ptrIyEEEESE_y11max_functorIyEyEEDaPvRmT3_T4_T5_mT6_P12ihipStream_tbENKUlT_T0_E_clISt17integral_constantIbLb0EESU_EEDaSP_SQ_EUlSP_E0_NS1_11comp_targetILNS1_3genE5ELNS1_11target_archE942ELNS1_3gpuE9ELNS1_3repE0EEENS1_30default_config_static_selectorELNS0_4arch9wavefront6targetE1EEEvT1_,"axG",@progbits,_ZN7rocprim17ROCPRIM_400000_NS6detail17trampoline_kernelINS0_14default_configENS1_20scan_config_selectorIyEEZZNS1_9scan_implILNS1_25lookback_scan_determinismE0ELb0ELb0ES3_N6thrust23THRUST_200600_302600_NS6detail15normal_iteratorINS9_10device_ptrIyEEEESE_y11max_functorIyEyEEDaPvRmT3_T4_T5_mT6_P12ihipStream_tbENKUlT_T0_E_clISt17integral_constantIbLb0EESU_EEDaSP_SQ_EUlSP_E0_NS1_11comp_targetILNS1_3genE5ELNS1_11target_archE942ELNS1_3gpuE9ELNS1_3repE0EEENS1_30default_config_static_selectorELNS0_4arch9wavefront6targetE1EEEvT1_,comdat
	.protected	_ZN7rocprim17ROCPRIM_400000_NS6detail17trampoline_kernelINS0_14default_configENS1_20scan_config_selectorIyEEZZNS1_9scan_implILNS1_25lookback_scan_determinismE0ELb0ELb0ES3_N6thrust23THRUST_200600_302600_NS6detail15normal_iteratorINS9_10device_ptrIyEEEESE_y11max_functorIyEyEEDaPvRmT3_T4_T5_mT6_P12ihipStream_tbENKUlT_T0_E_clISt17integral_constantIbLb0EESU_EEDaSP_SQ_EUlSP_E0_NS1_11comp_targetILNS1_3genE5ELNS1_11target_archE942ELNS1_3gpuE9ELNS1_3repE0EEENS1_30default_config_static_selectorELNS0_4arch9wavefront6targetE1EEEvT1_ ; -- Begin function _ZN7rocprim17ROCPRIM_400000_NS6detail17trampoline_kernelINS0_14default_configENS1_20scan_config_selectorIyEEZZNS1_9scan_implILNS1_25lookback_scan_determinismE0ELb0ELb0ES3_N6thrust23THRUST_200600_302600_NS6detail15normal_iteratorINS9_10device_ptrIyEEEESE_y11max_functorIyEyEEDaPvRmT3_T4_T5_mT6_P12ihipStream_tbENKUlT_T0_E_clISt17integral_constantIbLb0EESU_EEDaSP_SQ_EUlSP_E0_NS1_11comp_targetILNS1_3genE5ELNS1_11target_archE942ELNS1_3gpuE9ELNS1_3repE0EEENS1_30default_config_static_selectorELNS0_4arch9wavefront6targetE1EEEvT1_
	.globl	_ZN7rocprim17ROCPRIM_400000_NS6detail17trampoline_kernelINS0_14default_configENS1_20scan_config_selectorIyEEZZNS1_9scan_implILNS1_25lookback_scan_determinismE0ELb0ELb0ES3_N6thrust23THRUST_200600_302600_NS6detail15normal_iteratorINS9_10device_ptrIyEEEESE_y11max_functorIyEyEEDaPvRmT3_T4_T5_mT6_P12ihipStream_tbENKUlT_T0_E_clISt17integral_constantIbLb0EESU_EEDaSP_SQ_EUlSP_E0_NS1_11comp_targetILNS1_3genE5ELNS1_11target_archE942ELNS1_3gpuE9ELNS1_3repE0EEENS1_30default_config_static_selectorELNS0_4arch9wavefront6targetE1EEEvT1_
	.p2align	8
	.type	_ZN7rocprim17ROCPRIM_400000_NS6detail17trampoline_kernelINS0_14default_configENS1_20scan_config_selectorIyEEZZNS1_9scan_implILNS1_25lookback_scan_determinismE0ELb0ELb0ES3_N6thrust23THRUST_200600_302600_NS6detail15normal_iteratorINS9_10device_ptrIyEEEESE_y11max_functorIyEyEEDaPvRmT3_T4_T5_mT6_P12ihipStream_tbENKUlT_T0_E_clISt17integral_constantIbLb0EESU_EEDaSP_SQ_EUlSP_E0_NS1_11comp_targetILNS1_3genE5ELNS1_11target_archE942ELNS1_3gpuE9ELNS1_3repE0EEENS1_30default_config_static_selectorELNS0_4arch9wavefront6targetE1EEEvT1_,@function
_ZN7rocprim17ROCPRIM_400000_NS6detail17trampoline_kernelINS0_14default_configENS1_20scan_config_selectorIyEEZZNS1_9scan_implILNS1_25lookback_scan_determinismE0ELb0ELb0ES3_N6thrust23THRUST_200600_302600_NS6detail15normal_iteratorINS9_10device_ptrIyEEEESE_y11max_functorIyEyEEDaPvRmT3_T4_T5_mT6_P12ihipStream_tbENKUlT_T0_E_clISt17integral_constantIbLb0EESU_EEDaSP_SQ_EUlSP_E0_NS1_11comp_targetILNS1_3genE5ELNS1_11target_archE942ELNS1_3gpuE9ELNS1_3repE0EEENS1_30default_config_static_selectorELNS0_4arch9wavefront6targetE1EEEvT1_: ; @_ZN7rocprim17ROCPRIM_400000_NS6detail17trampoline_kernelINS0_14default_configENS1_20scan_config_selectorIyEEZZNS1_9scan_implILNS1_25lookback_scan_determinismE0ELb0ELb0ES3_N6thrust23THRUST_200600_302600_NS6detail15normal_iteratorINS9_10device_ptrIyEEEESE_y11max_functorIyEyEEDaPvRmT3_T4_T5_mT6_P12ihipStream_tbENKUlT_T0_E_clISt17integral_constantIbLb0EESU_EEDaSP_SQ_EUlSP_E0_NS1_11comp_targetILNS1_3genE5ELNS1_11target_archE942ELNS1_3gpuE9ELNS1_3repE0EEENS1_30default_config_static_selectorELNS0_4arch9wavefront6targetE1EEEvT1_
; %bb.0:
	.section	.rodata,"a",@progbits
	.p2align	6, 0x0
	.amdhsa_kernel _ZN7rocprim17ROCPRIM_400000_NS6detail17trampoline_kernelINS0_14default_configENS1_20scan_config_selectorIyEEZZNS1_9scan_implILNS1_25lookback_scan_determinismE0ELb0ELb0ES3_N6thrust23THRUST_200600_302600_NS6detail15normal_iteratorINS9_10device_ptrIyEEEESE_y11max_functorIyEyEEDaPvRmT3_T4_T5_mT6_P12ihipStream_tbENKUlT_T0_E_clISt17integral_constantIbLb0EESU_EEDaSP_SQ_EUlSP_E0_NS1_11comp_targetILNS1_3genE5ELNS1_11target_archE942ELNS1_3gpuE9ELNS1_3repE0EEENS1_30default_config_static_selectorELNS0_4arch9wavefront6targetE1EEEvT1_
		.amdhsa_group_segment_fixed_size 0
		.amdhsa_private_segment_fixed_size 0
		.amdhsa_kernarg_size 40
		.amdhsa_user_sgpr_count 6
		.amdhsa_user_sgpr_private_segment_buffer 1
		.amdhsa_user_sgpr_dispatch_ptr 0
		.amdhsa_user_sgpr_queue_ptr 0
		.amdhsa_user_sgpr_kernarg_segment_ptr 1
		.amdhsa_user_sgpr_dispatch_id 0
		.amdhsa_user_sgpr_flat_scratch_init 0
		.amdhsa_user_sgpr_kernarg_preload_length 0
		.amdhsa_user_sgpr_kernarg_preload_offset 0
		.amdhsa_user_sgpr_private_segment_size 0
		.amdhsa_uses_dynamic_stack 0
		.amdhsa_system_sgpr_private_segment_wavefront_offset 0
		.amdhsa_system_sgpr_workgroup_id_x 1
		.amdhsa_system_sgpr_workgroup_id_y 0
		.amdhsa_system_sgpr_workgroup_id_z 0
		.amdhsa_system_sgpr_workgroup_info 0
		.amdhsa_system_vgpr_workitem_id 0
		.amdhsa_next_free_vgpr 1
		.amdhsa_next_free_sgpr 0
		.amdhsa_accum_offset 4
		.amdhsa_reserve_vcc 0
		.amdhsa_reserve_flat_scratch 0
		.amdhsa_float_round_mode_32 0
		.amdhsa_float_round_mode_16_64 0
		.amdhsa_float_denorm_mode_32 3
		.amdhsa_float_denorm_mode_16_64 3
		.amdhsa_dx10_clamp 1
		.amdhsa_ieee_mode 1
		.amdhsa_fp16_overflow 0
		.amdhsa_tg_split 0
		.amdhsa_exception_fp_ieee_invalid_op 0
		.amdhsa_exception_fp_denorm_src 0
		.amdhsa_exception_fp_ieee_div_zero 0
		.amdhsa_exception_fp_ieee_overflow 0
		.amdhsa_exception_fp_ieee_underflow 0
		.amdhsa_exception_fp_ieee_inexact 0
		.amdhsa_exception_int_div_zero 0
	.end_amdhsa_kernel
	.section	.text._ZN7rocprim17ROCPRIM_400000_NS6detail17trampoline_kernelINS0_14default_configENS1_20scan_config_selectorIyEEZZNS1_9scan_implILNS1_25lookback_scan_determinismE0ELb0ELb0ES3_N6thrust23THRUST_200600_302600_NS6detail15normal_iteratorINS9_10device_ptrIyEEEESE_y11max_functorIyEyEEDaPvRmT3_T4_T5_mT6_P12ihipStream_tbENKUlT_T0_E_clISt17integral_constantIbLb0EESU_EEDaSP_SQ_EUlSP_E0_NS1_11comp_targetILNS1_3genE5ELNS1_11target_archE942ELNS1_3gpuE9ELNS1_3repE0EEENS1_30default_config_static_selectorELNS0_4arch9wavefront6targetE1EEEvT1_,"axG",@progbits,_ZN7rocprim17ROCPRIM_400000_NS6detail17trampoline_kernelINS0_14default_configENS1_20scan_config_selectorIyEEZZNS1_9scan_implILNS1_25lookback_scan_determinismE0ELb0ELb0ES3_N6thrust23THRUST_200600_302600_NS6detail15normal_iteratorINS9_10device_ptrIyEEEESE_y11max_functorIyEyEEDaPvRmT3_T4_T5_mT6_P12ihipStream_tbENKUlT_T0_E_clISt17integral_constantIbLb0EESU_EEDaSP_SQ_EUlSP_E0_NS1_11comp_targetILNS1_3genE5ELNS1_11target_archE942ELNS1_3gpuE9ELNS1_3repE0EEENS1_30default_config_static_selectorELNS0_4arch9wavefront6targetE1EEEvT1_,comdat
.Lfunc_end2107:
	.size	_ZN7rocprim17ROCPRIM_400000_NS6detail17trampoline_kernelINS0_14default_configENS1_20scan_config_selectorIyEEZZNS1_9scan_implILNS1_25lookback_scan_determinismE0ELb0ELb0ES3_N6thrust23THRUST_200600_302600_NS6detail15normal_iteratorINS9_10device_ptrIyEEEESE_y11max_functorIyEyEEDaPvRmT3_T4_T5_mT6_P12ihipStream_tbENKUlT_T0_E_clISt17integral_constantIbLb0EESU_EEDaSP_SQ_EUlSP_E0_NS1_11comp_targetILNS1_3genE5ELNS1_11target_archE942ELNS1_3gpuE9ELNS1_3repE0EEENS1_30default_config_static_selectorELNS0_4arch9wavefront6targetE1EEEvT1_, .Lfunc_end2107-_ZN7rocprim17ROCPRIM_400000_NS6detail17trampoline_kernelINS0_14default_configENS1_20scan_config_selectorIyEEZZNS1_9scan_implILNS1_25lookback_scan_determinismE0ELb0ELb0ES3_N6thrust23THRUST_200600_302600_NS6detail15normal_iteratorINS9_10device_ptrIyEEEESE_y11max_functorIyEyEEDaPvRmT3_T4_T5_mT6_P12ihipStream_tbENKUlT_T0_E_clISt17integral_constantIbLb0EESU_EEDaSP_SQ_EUlSP_E0_NS1_11comp_targetILNS1_3genE5ELNS1_11target_archE942ELNS1_3gpuE9ELNS1_3repE0EEENS1_30default_config_static_selectorELNS0_4arch9wavefront6targetE1EEEvT1_
                                        ; -- End function
	.section	.AMDGPU.csdata,"",@progbits
; Kernel info:
; codeLenInByte = 0
; NumSgprs: 4
; NumVgprs: 0
; NumAgprs: 0
; TotalNumVgprs: 0
; ScratchSize: 0
; MemoryBound: 0
; FloatMode: 240
; IeeeMode: 1
; LDSByteSize: 0 bytes/workgroup (compile time only)
; SGPRBlocks: 0
; VGPRBlocks: 0
; NumSGPRsForWavesPerEU: 4
; NumVGPRsForWavesPerEU: 1
; AccumOffset: 4
; Occupancy: 8
; WaveLimiterHint : 0
; COMPUTE_PGM_RSRC2:SCRATCH_EN: 0
; COMPUTE_PGM_RSRC2:USER_SGPR: 6
; COMPUTE_PGM_RSRC2:TRAP_HANDLER: 0
; COMPUTE_PGM_RSRC2:TGID_X_EN: 1
; COMPUTE_PGM_RSRC2:TGID_Y_EN: 0
; COMPUTE_PGM_RSRC2:TGID_Z_EN: 0
; COMPUTE_PGM_RSRC2:TIDIG_COMP_CNT: 0
; COMPUTE_PGM_RSRC3_GFX90A:ACCUM_OFFSET: 0
; COMPUTE_PGM_RSRC3_GFX90A:TG_SPLIT: 0
	.section	.text._ZN7rocprim17ROCPRIM_400000_NS6detail17trampoline_kernelINS0_14default_configENS1_20scan_config_selectorIyEEZZNS1_9scan_implILNS1_25lookback_scan_determinismE0ELb0ELb0ES3_N6thrust23THRUST_200600_302600_NS6detail15normal_iteratorINS9_10device_ptrIyEEEESE_y11max_functorIyEyEEDaPvRmT3_T4_T5_mT6_P12ihipStream_tbENKUlT_T0_E_clISt17integral_constantIbLb0EESU_EEDaSP_SQ_EUlSP_E0_NS1_11comp_targetILNS1_3genE4ELNS1_11target_archE910ELNS1_3gpuE8ELNS1_3repE0EEENS1_30default_config_static_selectorELNS0_4arch9wavefront6targetE1EEEvT1_,"axG",@progbits,_ZN7rocprim17ROCPRIM_400000_NS6detail17trampoline_kernelINS0_14default_configENS1_20scan_config_selectorIyEEZZNS1_9scan_implILNS1_25lookback_scan_determinismE0ELb0ELb0ES3_N6thrust23THRUST_200600_302600_NS6detail15normal_iteratorINS9_10device_ptrIyEEEESE_y11max_functorIyEyEEDaPvRmT3_T4_T5_mT6_P12ihipStream_tbENKUlT_T0_E_clISt17integral_constantIbLb0EESU_EEDaSP_SQ_EUlSP_E0_NS1_11comp_targetILNS1_3genE4ELNS1_11target_archE910ELNS1_3gpuE8ELNS1_3repE0EEENS1_30default_config_static_selectorELNS0_4arch9wavefront6targetE1EEEvT1_,comdat
	.protected	_ZN7rocprim17ROCPRIM_400000_NS6detail17trampoline_kernelINS0_14default_configENS1_20scan_config_selectorIyEEZZNS1_9scan_implILNS1_25lookback_scan_determinismE0ELb0ELb0ES3_N6thrust23THRUST_200600_302600_NS6detail15normal_iteratorINS9_10device_ptrIyEEEESE_y11max_functorIyEyEEDaPvRmT3_T4_T5_mT6_P12ihipStream_tbENKUlT_T0_E_clISt17integral_constantIbLb0EESU_EEDaSP_SQ_EUlSP_E0_NS1_11comp_targetILNS1_3genE4ELNS1_11target_archE910ELNS1_3gpuE8ELNS1_3repE0EEENS1_30default_config_static_selectorELNS0_4arch9wavefront6targetE1EEEvT1_ ; -- Begin function _ZN7rocprim17ROCPRIM_400000_NS6detail17trampoline_kernelINS0_14default_configENS1_20scan_config_selectorIyEEZZNS1_9scan_implILNS1_25lookback_scan_determinismE0ELb0ELb0ES3_N6thrust23THRUST_200600_302600_NS6detail15normal_iteratorINS9_10device_ptrIyEEEESE_y11max_functorIyEyEEDaPvRmT3_T4_T5_mT6_P12ihipStream_tbENKUlT_T0_E_clISt17integral_constantIbLb0EESU_EEDaSP_SQ_EUlSP_E0_NS1_11comp_targetILNS1_3genE4ELNS1_11target_archE910ELNS1_3gpuE8ELNS1_3repE0EEENS1_30default_config_static_selectorELNS0_4arch9wavefront6targetE1EEEvT1_
	.globl	_ZN7rocprim17ROCPRIM_400000_NS6detail17trampoline_kernelINS0_14default_configENS1_20scan_config_selectorIyEEZZNS1_9scan_implILNS1_25lookback_scan_determinismE0ELb0ELb0ES3_N6thrust23THRUST_200600_302600_NS6detail15normal_iteratorINS9_10device_ptrIyEEEESE_y11max_functorIyEyEEDaPvRmT3_T4_T5_mT6_P12ihipStream_tbENKUlT_T0_E_clISt17integral_constantIbLb0EESU_EEDaSP_SQ_EUlSP_E0_NS1_11comp_targetILNS1_3genE4ELNS1_11target_archE910ELNS1_3gpuE8ELNS1_3repE0EEENS1_30default_config_static_selectorELNS0_4arch9wavefront6targetE1EEEvT1_
	.p2align	8
	.type	_ZN7rocprim17ROCPRIM_400000_NS6detail17trampoline_kernelINS0_14default_configENS1_20scan_config_selectorIyEEZZNS1_9scan_implILNS1_25lookback_scan_determinismE0ELb0ELb0ES3_N6thrust23THRUST_200600_302600_NS6detail15normal_iteratorINS9_10device_ptrIyEEEESE_y11max_functorIyEyEEDaPvRmT3_T4_T5_mT6_P12ihipStream_tbENKUlT_T0_E_clISt17integral_constantIbLb0EESU_EEDaSP_SQ_EUlSP_E0_NS1_11comp_targetILNS1_3genE4ELNS1_11target_archE910ELNS1_3gpuE8ELNS1_3repE0EEENS1_30default_config_static_selectorELNS0_4arch9wavefront6targetE1EEEvT1_,@function
_ZN7rocprim17ROCPRIM_400000_NS6detail17trampoline_kernelINS0_14default_configENS1_20scan_config_selectorIyEEZZNS1_9scan_implILNS1_25lookback_scan_determinismE0ELb0ELb0ES3_N6thrust23THRUST_200600_302600_NS6detail15normal_iteratorINS9_10device_ptrIyEEEESE_y11max_functorIyEyEEDaPvRmT3_T4_T5_mT6_P12ihipStream_tbENKUlT_T0_E_clISt17integral_constantIbLb0EESU_EEDaSP_SQ_EUlSP_E0_NS1_11comp_targetILNS1_3genE4ELNS1_11target_archE910ELNS1_3gpuE8ELNS1_3repE0EEENS1_30default_config_static_selectorELNS0_4arch9wavefront6targetE1EEEvT1_: ; @_ZN7rocprim17ROCPRIM_400000_NS6detail17trampoline_kernelINS0_14default_configENS1_20scan_config_selectorIyEEZZNS1_9scan_implILNS1_25lookback_scan_determinismE0ELb0ELb0ES3_N6thrust23THRUST_200600_302600_NS6detail15normal_iteratorINS9_10device_ptrIyEEEESE_y11max_functorIyEyEEDaPvRmT3_T4_T5_mT6_P12ihipStream_tbENKUlT_T0_E_clISt17integral_constantIbLb0EESU_EEDaSP_SQ_EUlSP_E0_NS1_11comp_targetILNS1_3genE4ELNS1_11target_archE910ELNS1_3gpuE8ELNS1_3repE0EEENS1_30default_config_static_selectorELNS0_4arch9wavefront6targetE1EEEvT1_
; %bb.0:
	s_load_dwordx4 s[16:19], s[4:5], 0x0
	v_lshlrev_b32_e32 v36, 3, v0
	s_waitcnt lgkmcnt(0)
	s_load_dwordx2 s[14:15], s[16:17], 0x0
	v_cmp_gt_u32_e32 vcc, s18, v0
	s_waitcnt lgkmcnt(0)
	v_pk_mov_b32 v[2:3], s[14:15], s[14:15] op_sel:[0,1]
	s_and_saveexec_b64 s[0:1], vcc
	s_cbranch_execz .LBB2108_2
; %bb.1:
	global_load_dwordx2 v[2:3], v36, s[16:17]
.LBB2108_2:
	s_or_b64 exec, exec, s[0:1]
	v_or_b32_e32 v1, 0x80, v0
	v_cmp_gt_u32_e64 s[0:1], s18, v1
	v_pk_mov_b32 v[4:5], s[14:15], s[14:15] op_sel:[0,1]
	s_and_saveexec_b64 s[2:3], s[0:1]
	s_cbranch_execz .LBB2108_4
; %bb.3:
	global_load_dwordx2 v[4:5], v36, s[16:17] offset:1024
.LBB2108_4:
	s_or_b64 exec, exec, s[2:3]
	v_or_b32_e32 v1, 0x100, v0
	v_cmp_gt_u32_e64 s[2:3], s18, v1
	v_pk_mov_b32 v[6:7], s[14:15], s[14:15] op_sel:[0,1]
	s_and_saveexec_b64 s[6:7], s[2:3]
	s_cbranch_execz .LBB2108_6
; %bb.5:
	global_load_dwordx2 v[6:7], v36, s[16:17] offset:2048
.LBB2108_6:
	;; [unrolled: 9-line block ×3, first 2 shown]
	s_or_b64 exec, exec, s[6:7]
	v_or_b32_e32 v1, 0x200, v0
	v_cmp_gt_u32_e64 s[6:7], s18, v1
	v_pk_mov_b32 v[10:11], s[14:15], s[14:15] op_sel:[0,1]
	s_and_saveexec_b64 s[8:9], s[6:7]
	s_cbranch_execz .LBB2108_10
; %bb.9:
	v_lshlrev_b32_e32 v1, 3, v1
	global_load_dwordx2 v[10:11], v1, s[16:17]
.LBB2108_10:
	s_or_b64 exec, exec, s[8:9]
	v_or_b32_e32 v1, 0x280, v0
	v_cmp_gt_u32_e64 s[8:9], s18, v1
	v_pk_mov_b32 v[12:13], s[14:15], s[14:15] op_sel:[0,1]
	s_and_saveexec_b64 s[10:11], s[8:9]
	s_cbranch_execz .LBB2108_12
; %bb.11:
	v_lshlrev_b32_e32 v1, 3, v1
	global_load_dwordx2 v[12:13], v1, s[16:17]
.LBB2108_12:
	;; [unrolled: 10-line block ×3, first 2 shown]
	s_or_b64 exec, exec, s[14:15]
	v_mad_u32_u24 v1, v0, 48, v36
	s_waitcnt vmcnt(0)
	ds_write2st64_b64 v36, v[2:3], v[4:5] offset1:2
	ds_write2st64_b64 v36, v[6:7], v[8:9] offset0:4 offset1:6
	ds_write2st64_b64 v36, v[10:11], v[12:13] offset0:8 offset1:10
	ds_write_b64 v36, v[14:15] offset:6144
	s_waitcnt lgkmcnt(0)
	s_barrier
	ds_read2_b64 v[2:5], v1 offset1:1
	ds_read2_b64 v[10:13], v1 offset0:2 offset1:3
	ds_read2_b64 v[6:9], v1 offset0:4 offset1:5
	ds_read_b64 v[26:27], v1 offset:48
	s_load_dwordx2 s[16:17], s[4:5], 0x20
	s_waitcnt lgkmcnt(0)
	v_cmp_gt_u64_e64 s[4:5], v[2:3], v[4:5]
	v_cndmask_b32_e64 v19, v5, v3, s[4:5]
	v_cndmask_b32_e64 v18, v4, v2, s[4:5]
	v_cmp_gt_u64_e64 s[4:5], v[18:19], v[10:11]
	v_cndmask_b32_e64 v21, v11, v19, s[4:5]
	v_cndmask_b32_e64 v20, v10, v18, s[4:5]
	;; [unrolled: 3-line block ×5, first 2 shown]
	v_lshrrev_b32_e32 v14, 2, v0
	v_cmp_gt_u64_e64 s[4:5], v[28:29], v[26:27]
	v_and_b32_e32 v14, 24, v14
	v_cndmask_b32_e64 v31, v27, v29, s[4:5]
	v_cndmask_b32_e64 v30, v26, v28, s[4:5]
	v_add_u32_e32 v14, v36, v14
	v_cmp_gt_u32_e64 s[4:5], 64, v0
	s_barrier
	ds_write_b64 v14, v[30:31]
	s_waitcnt lgkmcnt(0)
	s_barrier
	s_and_saveexec_b64 s[18:19], s[4:5]
	s_cbranch_execz .LBB2108_18
; %bb.15:
	v_lshlrev_b32_e32 v14, 1, v0
	v_lshrrev_b32_e32 v15, 4, v0
	v_add_lshl_u32 v37, v15, v14, 3
	ds_read2_b64 v[14:17], v37 offset1:1
	v_mbcnt_lo_u32_b32 v32, -1, 0
	v_mbcnt_hi_u32_b32 v38, -1, v32
	v_and_b32_e32 v39, 15, v38
	v_and_b32_e32 v41, 16, v38
	s_waitcnt lgkmcnt(0)
	v_cmp_gt_u64_e64 s[4:5], v[14:15], v[16:17]
	v_cndmask_b32_e64 v17, v17, v15, s[4:5]
	v_cndmask_b32_e64 v16, v16, v14, s[4:5]
	v_cmp_ne_u32_e64 s[14:15], 0, v38
	v_mov_b32_dpp v33, v17 row_shr:1 row_mask:0xf bank_mask:0xf
	v_mov_b32_dpp v32, v16 row_shr:1 row_mask:0xf bank_mask:0xf
	v_cmp_gt_u64_e64 s[4:5], v[32:33], v[16:17]
	v_cndmask_b32_e64 v32, v16, v32, s[4:5]
	v_cndmask_b32_e64 v33, v17, v33, s[4:5]
	v_cmp_eq_u32_e64 s[4:5], 0, v39
	v_cndmask_b32_e64 v33, v33, v17, s[4:5]
	v_cndmask_b32_e64 v32, v32, v16, s[4:5]
	s_nop 0
	v_mov_b32_dpp v35, v33 row_shr:2 row_mask:0xf bank_mask:0xf
	v_mov_b32_dpp v34, v32 row_shr:2 row_mask:0xf bank_mask:0xf
	v_cmp_gt_u64_e64 s[4:5], v[34:35], v[32:33]
	v_cndmask_b32_e64 v34, v32, v34, s[4:5]
	v_cndmask_b32_e64 v35, v33, v35, s[4:5]
	v_cmp_lt_u32_e64 s[4:5], 1, v39
	v_cndmask_b32_e64 v33, v33, v35, s[4:5]
	v_cndmask_b32_e64 v32, v32, v34, s[4:5]
	s_nop 0
	v_mov_b32_dpp v35, v33 row_shr:4 row_mask:0xf bank_mask:0xf
	v_mov_b32_dpp v34, v32 row_shr:4 row_mask:0xf bank_mask:0xf
	v_cmp_gt_u64_e64 s[4:5], v[34:35], v[32:33]
	v_cndmask_b32_e64 v34, v32, v34, s[4:5]
	v_cndmask_b32_e64 v35, v33, v35, s[4:5]
	v_cmp_lt_u32_e64 s[4:5], 3, v39
	;; [unrolled: 9-line block ×3, first 2 shown]
	v_cndmask_b32_e64 v33, v33, v35, s[4:5]
	v_cndmask_b32_e64 v32, v32, v34, s[4:5]
	s_nop 0
	v_mov_b32_dpp v35, v33 row_bcast:15 row_mask:0xf bank_mask:0xf
	v_mov_b32_dpp v34, v32 row_bcast:15 row_mask:0xf bank_mask:0xf
	v_cmp_gt_u64_e64 s[4:5], v[34:35], v[32:33]
	v_cndmask_b32_e64 v39, v33, v35, s[4:5]
	v_cndmask_b32_e64 v40, v32, v34, s[4:5]
	v_cmp_eq_u32_e64 s[4:5], 0, v41
	v_cndmask_b32_e64 v35, v39, v33, s[4:5]
	v_cndmask_b32_e64 v34, v40, v32, s[4:5]
	s_nop 0
	v_mov_b32_dpp v35, v35 row_bcast:31 row_mask:0xf bank_mask:0xf
	v_mov_b32_dpp v34, v34 row_bcast:31 row_mask:0xf bank_mask:0xf
	s_and_saveexec_b64 s[20:21], s[14:15]
; %bb.16:
	v_cndmask_b32_e64 v17, v39, v33, s[4:5]
	v_cndmask_b32_e64 v16, v40, v32, s[4:5]
	v_cmp_lt_u32_e64 s[14:15], 31, v38
	v_cmp_gt_u64_e64 s[4:5], v[34:35], v[16:17]
	s_and_b64 s[4:5], s[14:15], s[4:5]
	v_cndmask_b32_e64 v16, v16, v34, s[4:5]
	v_cndmask_b32_e64 v17, v17, v35, s[4:5]
; %bb.17:
	s_or_b64 exec, exec, s[20:21]
	v_add_u32_e32 v32, -1, v38
	v_and_b32_e32 v33, 64, v38
	v_cmp_lt_i32_e64 s[4:5], v32, v33
	v_cndmask_b32_e64 v32, v32, v38, s[4:5]
	v_lshlrev_b32_e32 v32, 2, v32
	ds_bpermute_b32 v16, v32, v16
	ds_bpermute_b32 v17, v32, v17
	; wave barrier
	s_waitcnt lgkmcnt(0)
	v_cmp_gt_u64_e64 s[4:5], v[16:17], v[14:15]
	v_cndmask_b32_e64 v14, v14, v16, s[4:5]
	v_cndmask_b32_e64 v15, v15, v17, s[4:5]
	v_cmp_eq_u32_e64 s[4:5], 0, v0
	v_cndmask_b32_e64 v15, v15, v31, s[4:5]
	v_cndmask_b32_e64 v14, v14, v30, s[4:5]
	ds_write_b64 v37, v[14:15]
	; wave barrier
	ds_read_b64 v[16:17], v37 offset:8
	s_waitcnt lgkmcnt(0)
	v_cmp_gt_u64_e64 s[4:5], v[14:15], v[16:17]
	v_cndmask_b32_e64 v15, v17, v15, s[4:5]
	v_cndmask_b32_e64 v14, v16, v14, s[4:5]
	ds_write_b64 v37, v[14:15] offset:8
.LBB2108_18:
	s_or_b64 exec, exec, s[18:19]
	v_cmp_ne_u32_e64 s[4:5], 0, v0
	v_pk_mov_b32 v[14:15], v[30:31], v[30:31] op_sel:[0,1]
	s_waitcnt lgkmcnt(0)
	s_barrier
	s_and_saveexec_b64 s[14:15], s[4:5]
	s_cbranch_execz .LBB2108_20
; %bb.19:
	v_add_u32_e32 v14, -1, v0
	v_lshrrev_b32_e32 v15, 5, v14
	v_add_lshl_u32 v14, v15, v14, 3
	ds_read_b64 v[14:15], v14
.LBB2108_20:
	s_or_b64 exec, exec, s[14:15]
	s_and_saveexec_b64 s[14:15], s[4:5]
	s_cbranch_execz .LBB2108_22
; %bb.21:
	s_waitcnt lgkmcnt(0)
	v_cmp_gt_u64_e64 s[4:5], v[14:15], v[2:3]
	v_cndmask_b32_e64 v3, v3, v15, s[4:5]
	v_cndmask_b32_e64 v2, v2, v14, s[4:5]
	v_cmp_gt_u64_e64 s[4:5], v[2:3], v[4:5]
	v_cndmask_b32_e64 v19, v5, v3, s[4:5]
	v_cndmask_b32_e64 v18, v4, v2, s[4:5]
	;; [unrolled: 3-line block ×7, first 2 shown]
	;;#ASMSTART
	;;#ASMEND
.LBB2108_22:
	s_or_b64 exec, exec, s[14:15]
	s_movk_i32 s4, 0xffd0
	v_mad_i32_i24 v0, v0, s4, v1
	s_waitcnt lgkmcnt(0)
	s_barrier
	ds_write2_b64 v1, v[2:3], v[18:19] offset1:1
	ds_write2_b64 v1, v[20:21], v[22:23] offset0:2 offset1:3
	ds_write2_b64 v1, v[24:25], v[28:29] offset0:4 offset1:5
	ds_write_b64 v1, v[30:31] offset:48
	s_waitcnt lgkmcnt(0)
	s_barrier
	ds_read2st64_b64 v[8:11], v0 offset0:2 offset1:4
	ds_read2st64_b64 v[4:7], v0 offset0:6 offset1:8
	;; [unrolled: 1-line block ×3, first 2 shown]
	v_mov_b32_e32 v13, s17
	v_add_co_u32_e64 v12, s[4:5], s16, v36
	v_addc_co_u32_e64 v13, s[4:5], 0, v13, s[4:5]
	s_and_saveexec_b64 s[4:5], vcc
	s_cbranch_execnz .LBB2108_30
; %bb.23:
	s_or_b64 exec, exec, s[4:5]
	s_and_saveexec_b64 s[4:5], s[0:1]
	s_cbranch_execnz .LBB2108_31
.LBB2108_24:
	s_or_b64 exec, exec, s[4:5]
	s_and_saveexec_b64 s[0:1], s[2:3]
	s_cbranch_execnz .LBB2108_32
.LBB2108_25:
	s_or_b64 exec, exec, s[0:1]
	s_and_saveexec_b64 s[0:1], s[12:13]
	s_cbranch_execnz .LBB2108_33
.LBB2108_26:
	s_or_b64 exec, exec, s[0:1]
	s_and_saveexec_b64 s[0:1], s[6:7]
	s_cbranch_execnz .LBB2108_34
.LBB2108_27:
	s_or_b64 exec, exec, s[0:1]
	s_and_saveexec_b64 s[0:1], s[8:9]
	s_cbranch_execnz .LBB2108_35
.LBB2108_28:
	s_or_b64 exec, exec, s[0:1]
	s_and_saveexec_b64 s[0:1], s[10:11]
	s_cbranch_execnz .LBB2108_36
.LBB2108_29:
	s_endpgm
.LBB2108_30:
	ds_read_b64 v[14:15], v36
	s_waitcnt lgkmcnt(0)
	global_store_dwordx2 v[12:13], v[14:15], off
	s_or_b64 exec, exec, s[4:5]
	s_and_saveexec_b64 s[4:5], s[0:1]
	s_cbranch_execz .LBB2108_24
.LBB2108_31:
	s_waitcnt lgkmcnt(2)
	global_store_dwordx2 v[12:13], v[8:9], off offset:1024
	s_or_b64 exec, exec, s[4:5]
	s_and_saveexec_b64 s[0:1], s[2:3]
	s_cbranch_execz .LBB2108_25
.LBB2108_32:
	s_waitcnt lgkmcnt(2)
	global_store_dwordx2 v[12:13], v[10:11], off offset:2048
	s_or_b64 exec, exec, s[0:1]
	s_and_saveexec_b64 s[0:1], s[12:13]
	s_cbranch_execz .LBB2108_26
.LBB2108_33:
	s_waitcnt lgkmcnt(1)
	global_store_dwordx2 v[12:13], v[4:5], off offset:3072
	s_or_b64 exec, exec, s[0:1]
	s_and_saveexec_b64 s[0:1], s[6:7]
	s_cbranch_execz .LBB2108_27
.LBB2108_34:
	s_waitcnt lgkmcnt(1)
	v_add_co_u32_e32 v4, vcc, 0x1000, v12
	v_addc_co_u32_e32 v5, vcc, 0, v13, vcc
	global_store_dwordx2 v[4:5], v[6:7], off
	s_or_b64 exec, exec, s[0:1]
	s_and_saveexec_b64 s[0:1], s[8:9]
	s_cbranch_execz .LBB2108_28
.LBB2108_35:
	s_waitcnt lgkmcnt(1)
	v_add_co_u32_e32 v4, vcc, 0x1000, v12
	v_addc_co_u32_e32 v5, vcc, 0, v13, vcc
	s_waitcnt lgkmcnt(0)
	global_store_dwordx2 v[4:5], v[0:1], off offset:1024
	s_or_b64 exec, exec, s[0:1]
	s_and_saveexec_b64 s[0:1], s[10:11]
	s_cbranch_execz .LBB2108_29
.LBB2108_36:
	s_waitcnt lgkmcnt(0)
	v_add_co_u32_e32 v0, vcc, 0x1000, v12
	v_addc_co_u32_e32 v1, vcc, 0, v13, vcc
	global_store_dwordx2 v[0:1], v[2:3], off offset:2048
	s_endpgm
	.section	.rodata,"a",@progbits
	.p2align	6, 0x0
	.amdhsa_kernel _ZN7rocprim17ROCPRIM_400000_NS6detail17trampoline_kernelINS0_14default_configENS1_20scan_config_selectorIyEEZZNS1_9scan_implILNS1_25lookback_scan_determinismE0ELb0ELb0ES3_N6thrust23THRUST_200600_302600_NS6detail15normal_iteratorINS9_10device_ptrIyEEEESE_y11max_functorIyEyEEDaPvRmT3_T4_T5_mT6_P12ihipStream_tbENKUlT_T0_E_clISt17integral_constantIbLb0EESU_EEDaSP_SQ_EUlSP_E0_NS1_11comp_targetILNS1_3genE4ELNS1_11target_archE910ELNS1_3gpuE8ELNS1_3repE0EEENS1_30default_config_static_selectorELNS0_4arch9wavefront6targetE1EEEvT1_
		.amdhsa_group_segment_fixed_size 7168
		.amdhsa_private_segment_fixed_size 0
		.amdhsa_kernarg_size 40
		.amdhsa_user_sgpr_count 6
		.amdhsa_user_sgpr_private_segment_buffer 1
		.amdhsa_user_sgpr_dispatch_ptr 0
		.amdhsa_user_sgpr_queue_ptr 0
		.amdhsa_user_sgpr_kernarg_segment_ptr 1
		.amdhsa_user_sgpr_dispatch_id 0
		.amdhsa_user_sgpr_flat_scratch_init 0
		.amdhsa_user_sgpr_kernarg_preload_length 0
		.amdhsa_user_sgpr_kernarg_preload_offset 0
		.amdhsa_user_sgpr_private_segment_size 0
		.amdhsa_uses_dynamic_stack 0
		.amdhsa_system_sgpr_private_segment_wavefront_offset 0
		.amdhsa_system_sgpr_workgroup_id_x 1
		.amdhsa_system_sgpr_workgroup_id_y 0
		.amdhsa_system_sgpr_workgroup_id_z 0
		.amdhsa_system_sgpr_workgroup_info 0
		.amdhsa_system_vgpr_workitem_id 0
		.amdhsa_next_free_vgpr 42
		.amdhsa_next_free_sgpr 22
		.amdhsa_accum_offset 44
		.amdhsa_reserve_vcc 1
		.amdhsa_reserve_flat_scratch 0
		.amdhsa_float_round_mode_32 0
		.amdhsa_float_round_mode_16_64 0
		.amdhsa_float_denorm_mode_32 3
		.amdhsa_float_denorm_mode_16_64 3
		.amdhsa_dx10_clamp 1
		.amdhsa_ieee_mode 1
		.amdhsa_fp16_overflow 0
		.amdhsa_tg_split 0
		.amdhsa_exception_fp_ieee_invalid_op 0
		.amdhsa_exception_fp_denorm_src 0
		.amdhsa_exception_fp_ieee_div_zero 0
		.amdhsa_exception_fp_ieee_overflow 0
		.amdhsa_exception_fp_ieee_underflow 0
		.amdhsa_exception_fp_ieee_inexact 0
		.amdhsa_exception_int_div_zero 0
	.end_amdhsa_kernel
	.section	.text._ZN7rocprim17ROCPRIM_400000_NS6detail17trampoline_kernelINS0_14default_configENS1_20scan_config_selectorIyEEZZNS1_9scan_implILNS1_25lookback_scan_determinismE0ELb0ELb0ES3_N6thrust23THRUST_200600_302600_NS6detail15normal_iteratorINS9_10device_ptrIyEEEESE_y11max_functorIyEyEEDaPvRmT3_T4_T5_mT6_P12ihipStream_tbENKUlT_T0_E_clISt17integral_constantIbLb0EESU_EEDaSP_SQ_EUlSP_E0_NS1_11comp_targetILNS1_3genE4ELNS1_11target_archE910ELNS1_3gpuE8ELNS1_3repE0EEENS1_30default_config_static_selectorELNS0_4arch9wavefront6targetE1EEEvT1_,"axG",@progbits,_ZN7rocprim17ROCPRIM_400000_NS6detail17trampoline_kernelINS0_14default_configENS1_20scan_config_selectorIyEEZZNS1_9scan_implILNS1_25lookback_scan_determinismE0ELb0ELb0ES3_N6thrust23THRUST_200600_302600_NS6detail15normal_iteratorINS9_10device_ptrIyEEEESE_y11max_functorIyEyEEDaPvRmT3_T4_T5_mT6_P12ihipStream_tbENKUlT_T0_E_clISt17integral_constantIbLb0EESU_EEDaSP_SQ_EUlSP_E0_NS1_11comp_targetILNS1_3genE4ELNS1_11target_archE910ELNS1_3gpuE8ELNS1_3repE0EEENS1_30default_config_static_selectorELNS0_4arch9wavefront6targetE1EEEvT1_,comdat
.Lfunc_end2108:
	.size	_ZN7rocprim17ROCPRIM_400000_NS6detail17trampoline_kernelINS0_14default_configENS1_20scan_config_selectorIyEEZZNS1_9scan_implILNS1_25lookback_scan_determinismE0ELb0ELb0ES3_N6thrust23THRUST_200600_302600_NS6detail15normal_iteratorINS9_10device_ptrIyEEEESE_y11max_functorIyEyEEDaPvRmT3_T4_T5_mT6_P12ihipStream_tbENKUlT_T0_E_clISt17integral_constantIbLb0EESU_EEDaSP_SQ_EUlSP_E0_NS1_11comp_targetILNS1_3genE4ELNS1_11target_archE910ELNS1_3gpuE8ELNS1_3repE0EEENS1_30default_config_static_selectorELNS0_4arch9wavefront6targetE1EEEvT1_, .Lfunc_end2108-_ZN7rocprim17ROCPRIM_400000_NS6detail17trampoline_kernelINS0_14default_configENS1_20scan_config_selectorIyEEZZNS1_9scan_implILNS1_25lookback_scan_determinismE0ELb0ELb0ES3_N6thrust23THRUST_200600_302600_NS6detail15normal_iteratorINS9_10device_ptrIyEEEESE_y11max_functorIyEyEEDaPvRmT3_T4_T5_mT6_P12ihipStream_tbENKUlT_T0_E_clISt17integral_constantIbLb0EESU_EEDaSP_SQ_EUlSP_E0_NS1_11comp_targetILNS1_3genE4ELNS1_11target_archE910ELNS1_3gpuE8ELNS1_3repE0EEENS1_30default_config_static_selectorELNS0_4arch9wavefront6targetE1EEEvT1_
                                        ; -- End function
	.section	.AMDGPU.csdata,"",@progbits
; Kernel info:
; codeLenInByte = 1916
; NumSgprs: 26
; NumVgprs: 42
; NumAgprs: 0
; TotalNumVgprs: 42
; ScratchSize: 0
; MemoryBound: 0
; FloatMode: 240
; IeeeMode: 1
; LDSByteSize: 7168 bytes/workgroup (compile time only)
; SGPRBlocks: 3
; VGPRBlocks: 5
; NumSGPRsForWavesPerEU: 26
; NumVGPRsForWavesPerEU: 42
; AccumOffset: 44
; Occupancy: 5
; WaveLimiterHint : 0
; COMPUTE_PGM_RSRC2:SCRATCH_EN: 0
; COMPUTE_PGM_RSRC2:USER_SGPR: 6
; COMPUTE_PGM_RSRC2:TRAP_HANDLER: 0
; COMPUTE_PGM_RSRC2:TGID_X_EN: 1
; COMPUTE_PGM_RSRC2:TGID_Y_EN: 0
; COMPUTE_PGM_RSRC2:TGID_Z_EN: 0
; COMPUTE_PGM_RSRC2:TIDIG_COMP_CNT: 0
; COMPUTE_PGM_RSRC3_GFX90A:ACCUM_OFFSET: 10
; COMPUTE_PGM_RSRC3_GFX90A:TG_SPLIT: 0
	.section	.text._ZN7rocprim17ROCPRIM_400000_NS6detail17trampoline_kernelINS0_14default_configENS1_20scan_config_selectorIyEEZZNS1_9scan_implILNS1_25lookback_scan_determinismE0ELb0ELb0ES3_N6thrust23THRUST_200600_302600_NS6detail15normal_iteratorINS9_10device_ptrIyEEEESE_y11max_functorIyEyEEDaPvRmT3_T4_T5_mT6_P12ihipStream_tbENKUlT_T0_E_clISt17integral_constantIbLb0EESU_EEDaSP_SQ_EUlSP_E0_NS1_11comp_targetILNS1_3genE3ELNS1_11target_archE908ELNS1_3gpuE7ELNS1_3repE0EEENS1_30default_config_static_selectorELNS0_4arch9wavefront6targetE1EEEvT1_,"axG",@progbits,_ZN7rocprim17ROCPRIM_400000_NS6detail17trampoline_kernelINS0_14default_configENS1_20scan_config_selectorIyEEZZNS1_9scan_implILNS1_25lookback_scan_determinismE0ELb0ELb0ES3_N6thrust23THRUST_200600_302600_NS6detail15normal_iteratorINS9_10device_ptrIyEEEESE_y11max_functorIyEyEEDaPvRmT3_T4_T5_mT6_P12ihipStream_tbENKUlT_T0_E_clISt17integral_constantIbLb0EESU_EEDaSP_SQ_EUlSP_E0_NS1_11comp_targetILNS1_3genE3ELNS1_11target_archE908ELNS1_3gpuE7ELNS1_3repE0EEENS1_30default_config_static_selectorELNS0_4arch9wavefront6targetE1EEEvT1_,comdat
	.protected	_ZN7rocprim17ROCPRIM_400000_NS6detail17trampoline_kernelINS0_14default_configENS1_20scan_config_selectorIyEEZZNS1_9scan_implILNS1_25lookback_scan_determinismE0ELb0ELb0ES3_N6thrust23THRUST_200600_302600_NS6detail15normal_iteratorINS9_10device_ptrIyEEEESE_y11max_functorIyEyEEDaPvRmT3_T4_T5_mT6_P12ihipStream_tbENKUlT_T0_E_clISt17integral_constantIbLb0EESU_EEDaSP_SQ_EUlSP_E0_NS1_11comp_targetILNS1_3genE3ELNS1_11target_archE908ELNS1_3gpuE7ELNS1_3repE0EEENS1_30default_config_static_selectorELNS0_4arch9wavefront6targetE1EEEvT1_ ; -- Begin function _ZN7rocprim17ROCPRIM_400000_NS6detail17trampoline_kernelINS0_14default_configENS1_20scan_config_selectorIyEEZZNS1_9scan_implILNS1_25lookback_scan_determinismE0ELb0ELb0ES3_N6thrust23THRUST_200600_302600_NS6detail15normal_iteratorINS9_10device_ptrIyEEEESE_y11max_functorIyEyEEDaPvRmT3_T4_T5_mT6_P12ihipStream_tbENKUlT_T0_E_clISt17integral_constantIbLb0EESU_EEDaSP_SQ_EUlSP_E0_NS1_11comp_targetILNS1_3genE3ELNS1_11target_archE908ELNS1_3gpuE7ELNS1_3repE0EEENS1_30default_config_static_selectorELNS0_4arch9wavefront6targetE1EEEvT1_
	.globl	_ZN7rocprim17ROCPRIM_400000_NS6detail17trampoline_kernelINS0_14default_configENS1_20scan_config_selectorIyEEZZNS1_9scan_implILNS1_25lookback_scan_determinismE0ELb0ELb0ES3_N6thrust23THRUST_200600_302600_NS6detail15normal_iteratorINS9_10device_ptrIyEEEESE_y11max_functorIyEyEEDaPvRmT3_T4_T5_mT6_P12ihipStream_tbENKUlT_T0_E_clISt17integral_constantIbLb0EESU_EEDaSP_SQ_EUlSP_E0_NS1_11comp_targetILNS1_3genE3ELNS1_11target_archE908ELNS1_3gpuE7ELNS1_3repE0EEENS1_30default_config_static_selectorELNS0_4arch9wavefront6targetE1EEEvT1_
	.p2align	8
	.type	_ZN7rocprim17ROCPRIM_400000_NS6detail17trampoline_kernelINS0_14default_configENS1_20scan_config_selectorIyEEZZNS1_9scan_implILNS1_25lookback_scan_determinismE0ELb0ELb0ES3_N6thrust23THRUST_200600_302600_NS6detail15normal_iteratorINS9_10device_ptrIyEEEESE_y11max_functorIyEyEEDaPvRmT3_T4_T5_mT6_P12ihipStream_tbENKUlT_T0_E_clISt17integral_constantIbLb0EESU_EEDaSP_SQ_EUlSP_E0_NS1_11comp_targetILNS1_3genE3ELNS1_11target_archE908ELNS1_3gpuE7ELNS1_3repE0EEENS1_30default_config_static_selectorELNS0_4arch9wavefront6targetE1EEEvT1_,@function
_ZN7rocprim17ROCPRIM_400000_NS6detail17trampoline_kernelINS0_14default_configENS1_20scan_config_selectorIyEEZZNS1_9scan_implILNS1_25lookback_scan_determinismE0ELb0ELb0ES3_N6thrust23THRUST_200600_302600_NS6detail15normal_iteratorINS9_10device_ptrIyEEEESE_y11max_functorIyEyEEDaPvRmT3_T4_T5_mT6_P12ihipStream_tbENKUlT_T0_E_clISt17integral_constantIbLb0EESU_EEDaSP_SQ_EUlSP_E0_NS1_11comp_targetILNS1_3genE3ELNS1_11target_archE908ELNS1_3gpuE7ELNS1_3repE0EEENS1_30default_config_static_selectorELNS0_4arch9wavefront6targetE1EEEvT1_: ; @_ZN7rocprim17ROCPRIM_400000_NS6detail17trampoline_kernelINS0_14default_configENS1_20scan_config_selectorIyEEZZNS1_9scan_implILNS1_25lookback_scan_determinismE0ELb0ELb0ES3_N6thrust23THRUST_200600_302600_NS6detail15normal_iteratorINS9_10device_ptrIyEEEESE_y11max_functorIyEyEEDaPvRmT3_T4_T5_mT6_P12ihipStream_tbENKUlT_T0_E_clISt17integral_constantIbLb0EESU_EEDaSP_SQ_EUlSP_E0_NS1_11comp_targetILNS1_3genE3ELNS1_11target_archE908ELNS1_3gpuE7ELNS1_3repE0EEENS1_30default_config_static_selectorELNS0_4arch9wavefront6targetE1EEEvT1_
; %bb.0:
	.section	.rodata,"a",@progbits
	.p2align	6, 0x0
	.amdhsa_kernel _ZN7rocprim17ROCPRIM_400000_NS6detail17trampoline_kernelINS0_14default_configENS1_20scan_config_selectorIyEEZZNS1_9scan_implILNS1_25lookback_scan_determinismE0ELb0ELb0ES3_N6thrust23THRUST_200600_302600_NS6detail15normal_iteratorINS9_10device_ptrIyEEEESE_y11max_functorIyEyEEDaPvRmT3_T4_T5_mT6_P12ihipStream_tbENKUlT_T0_E_clISt17integral_constantIbLb0EESU_EEDaSP_SQ_EUlSP_E0_NS1_11comp_targetILNS1_3genE3ELNS1_11target_archE908ELNS1_3gpuE7ELNS1_3repE0EEENS1_30default_config_static_selectorELNS0_4arch9wavefront6targetE1EEEvT1_
		.amdhsa_group_segment_fixed_size 0
		.amdhsa_private_segment_fixed_size 0
		.amdhsa_kernarg_size 40
		.amdhsa_user_sgpr_count 6
		.amdhsa_user_sgpr_private_segment_buffer 1
		.amdhsa_user_sgpr_dispatch_ptr 0
		.amdhsa_user_sgpr_queue_ptr 0
		.amdhsa_user_sgpr_kernarg_segment_ptr 1
		.amdhsa_user_sgpr_dispatch_id 0
		.amdhsa_user_sgpr_flat_scratch_init 0
		.amdhsa_user_sgpr_kernarg_preload_length 0
		.amdhsa_user_sgpr_kernarg_preload_offset 0
		.amdhsa_user_sgpr_private_segment_size 0
		.amdhsa_uses_dynamic_stack 0
		.amdhsa_system_sgpr_private_segment_wavefront_offset 0
		.amdhsa_system_sgpr_workgroup_id_x 1
		.amdhsa_system_sgpr_workgroup_id_y 0
		.amdhsa_system_sgpr_workgroup_id_z 0
		.amdhsa_system_sgpr_workgroup_info 0
		.amdhsa_system_vgpr_workitem_id 0
		.amdhsa_next_free_vgpr 1
		.amdhsa_next_free_sgpr 0
		.amdhsa_accum_offset 4
		.amdhsa_reserve_vcc 0
		.amdhsa_reserve_flat_scratch 0
		.amdhsa_float_round_mode_32 0
		.amdhsa_float_round_mode_16_64 0
		.amdhsa_float_denorm_mode_32 3
		.amdhsa_float_denorm_mode_16_64 3
		.amdhsa_dx10_clamp 1
		.amdhsa_ieee_mode 1
		.amdhsa_fp16_overflow 0
		.amdhsa_tg_split 0
		.amdhsa_exception_fp_ieee_invalid_op 0
		.amdhsa_exception_fp_denorm_src 0
		.amdhsa_exception_fp_ieee_div_zero 0
		.amdhsa_exception_fp_ieee_overflow 0
		.amdhsa_exception_fp_ieee_underflow 0
		.amdhsa_exception_fp_ieee_inexact 0
		.amdhsa_exception_int_div_zero 0
	.end_amdhsa_kernel
	.section	.text._ZN7rocprim17ROCPRIM_400000_NS6detail17trampoline_kernelINS0_14default_configENS1_20scan_config_selectorIyEEZZNS1_9scan_implILNS1_25lookback_scan_determinismE0ELb0ELb0ES3_N6thrust23THRUST_200600_302600_NS6detail15normal_iteratorINS9_10device_ptrIyEEEESE_y11max_functorIyEyEEDaPvRmT3_T4_T5_mT6_P12ihipStream_tbENKUlT_T0_E_clISt17integral_constantIbLb0EESU_EEDaSP_SQ_EUlSP_E0_NS1_11comp_targetILNS1_3genE3ELNS1_11target_archE908ELNS1_3gpuE7ELNS1_3repE0EEENS1_30default_config_static_selectorELNS0_4arch9wavefront6targetE1EEEvT1_,"axG",@progbits,_ZN7rocprim17ROCPRIM_400000_NS6detail17trampoline_kernelINS0_14default_configENS1_20scan_config_selectorIyEEZZNS1_9scan_implILNS1_25lookback_scan_determinismE0ELb0ELb0ES3_N6thrust23THRUST_200600_302600_NS6detail15normal_iteratorINS9_10device_ptrIyEEEESE_y11max_functorIyEyEEDaPvRmT3_T4_T5_mT6_P12ihipStream_tbENKUlT_T0_E_clISt17integral_constantIbLb0EESU_EEDaSP_SQ_EUlSP_E0_NS1_11comp_targetILNS1_3genE3ELNS1_11target_archE908ELNS1_3gpuE7ELNS1_3repE0EEENS1_30default_config_static_selectorELNS0_4arch9wavefront6targetE1EEEvT1_,comdat
.Lfunc_end2109:
	.size	_ZN7rocprim17ROCPRIM_400000_NS6detail17trampoline_kernelINS0_14default_configENS1_20scan_config_selectorIyEEZZNS1_9scan_implILNS1_25lookback_scan_determinismE0ELb0ELb0ES3_N6thrust23THRUST_200600_302600_NS6detail15normal_iteratorINS9_10device_ptrIyEEEESE_y11max_functorIyEyEEDaPvRmT3_T4_T5_mT6_P12ihipStream_tbENKUlT_T0_E_clISt17integral_constantIbLb0EESU_EEDaSP_SQ_EUlSP_E0_NS1_11comp_targetILNS1_3genE3ELNS1_11target_archE908ELNS1_3gpuE7ELNS1_3repE0EEENS1_30default_config_static_selectorELNS0_4arch9wavefront6targetE1EEEvT1_, .Lfunc_end2109-_ZN7rocprim17ROCPRIM_400000_NS6detail17trampoline_kernelINS0_14default_configENS1_20scan_config_selectorIyEEZZNS1_9scan_implILNS1_25lookback_scan_determinismE0ELb0ELb0ES3_N6thrust23THRUST_200600_302600_NS6detail15normal_iteratorINS9_10device_ptrIyEEEESE_y11max_functorIyEyEEDaPvRmT3_T4_T5_mT6_P12ihipStream_tbENKUlT_T0_E_clISt17integral_constantIbLb0EESU_EEDaSP_SQ_EUlSP_E0_NS1_11comp_targetILNS1_3genE3ELNS1_11target_archE908ELNS1_3gpuE7ELNS1_3repE0EEENS1_30default_config_static_selectorELNS0_4arch9wavefront6targetE1EEEvT1_
                                        ; -- End function
	.section	.AMDGPU.csdata,"",@progbits
; Kernel info:
; codeLenInByte = 0
; NumSgprs: 4
; NumVgprs: 0
; NumAgprs: 0
; TotalNumVgprs: 0
; ScratchSize: 0
; MemoryBound: 0
; FloatMode: 240
; IeeeMode: 1
; LDSByteSize: 0 bytes/workgroup (compile time only)
; SGPRBlocks: 0
; VGPRBlocks: 0
; NumSGPRsForWavesPerEU: 4
; NumVGPRsForWavesPerEU: 1
; AccumOffset: 4
; Occupancy: 8
; WaveLimiterHint : 0
; COMPUTE_PGM_RSRC2:SCRATCH_EN: 0
; COMPUTE_PGM_RSRC2:USER_SGPR: 6
; COMPUTE_PGM_RSRC2:TRAP_HANDLER: 0
; COMPUTE_PGM_RSRC2:TGID_X_EN: 1
; COMPUTE_PGM_RSRC2:TGID_Y_EN: 0
; COMPUTE_PGM_RSRC2:TGID_Z_EN: 0
; COMPUTE_PGM_RSRC2:TIDIG_COMP_CNT: 0
; COMPUTE_PGM_RSRC3_GFX90A:ACCUM_OFFSET: 0
; COMPUTE_PGM_RSRC3_GFX90A:TG_SPLIT: 0
	.section	.text._ZN7rocprim17ROCPRIM_400000_NS6detail17trampoline_kernelINS0_14default_configENS1_20scan_config_selectorIyEEZZNS1_9scan_implILNS1_25lookback_scan_determinismE0ELb0ELb0ES3_N6thrust23THRUST_200600_302600_NS6detail15normal_iteratorINS9_10device_ptrIyEEEESE_y11max_functorIyEyEEDaPvRmT3_T4_T5_mT6_P12ihipStream_tbENKUlT_T0_E_clISt17integral_constantIbLb0EESU_EEDaSP_SQ_EUlSP_E0_NS1_11comp_targetILNS1_3genE2ELNS1_11target_archE906ELNS1_3gpuE6ELNS1_3repE0EEENS1_30default_config_static_selectorELNS0_4arch9wavefront6targetE1EEEvT1_,"axG",@progbits,_ZN7rocprim17ROCPRIM_400000_NS6detail17trampoline_kernelINS0_14default_configENS1_20scan_config_selectorIyEEZZNS1_9scan_implILNS1_25lookback_scan_determinismE0ELb0ELb0ES3_N6thrust23THRUST_200600_302600_NS6detail15normal_iteratorINS9_10device_ptrIyEEEESE_y11max_functorIyEyEEDaPvRmT3_T4_T5_mT6_P12ihipStream_tbENKUlT_T0_E_clISt17integral_constantIbLb0EESU_EEDaSP_SQ_EUlSP_E0_NS1_11comp_targetILNS1_3genE2ELNS1_11target_archE906ELNS1_3gpuE6ELNS1_3repE0EEENS1_30default_config_static_selectorELNS0_4arch9wavefront6targetE1EEEvT1_,comdat
	.protected	_ZN7rocprim17ROCPRIM_400000_NS6detail17trampoline_kernelINS0_14default_configENS1_20scan_config_selectorIyEEZZNS1_9scan_implILNS1_25lookback_scan_determinismE0ELb0ELb0ES3_N6thrust23THRUST_200600_302600_NS6detail15normal_iteratorINS9_10device_ptrIyEEEESE_y11max_functorIyEyEEDaPvRmT3_T4_T5_mT6_P12ihipStream_tbENKUlT_T0_E_clISt17integral_constantIbLb0EESU_EEDaSP_SQ_EUlSP_E0_NS1_11comp_targetILNS1_3genE2ELNS1_11target_archE906ELNS1_3gpuE6ELNS1_3repE0EEENS1_30default_config_static_selectorELNS0_4arch9wavefront6targetE1EEEvT1_ ; -- Begin function _ZN7rocprim17ROCPRIM_400000_NS6detail17trampoline_kernelINS0_14default_configENS1_20scan_config_selectorIyEEZZNS1_9scan_implILNS1_25lookback_scan_determinismE0ELb0ELb0ES3_N6thrust23THRUST_200600_302600_NS6detail15normal_iteratorINS9_10device_ptrIyEEEESE_y11max_functorIyEyEEDaPvRmT3_T4_T5_mT6_P12ihipStream_tbENKUlT_T0_E_clISt17integral_constantIbLb0EESU_EEDaSP_SQ_EUlSP_E0_NS1_11comp_targetILNS1_3genE2ELNS1_11target_archE906ELNS1_3gpuE6ELNS1_3repE0EEENS1_30default_config_static_selectorELNS0_4arch9wavefront6targetE1EEEvT1_
	.globl	_ZN7rocprim17ROCPRIM_400000_NS6detail17trampoline_kernelINS0_14default_configENS1_20scan_config_selectorIyEEZZNS1_9scan_implILNS1_25lookback_scan_determinismE0ELb0ELb0ES3_N6thrust23THRUST_200600_302600_NS6detail15normal_iteratorINS9_10device_ptrIyEEEESE_y11max_functorIyEyEEDaPvRmT3_T4_T5_mT6_P12ihipStream_tbENKUlT_T0_E_clISt17integral_constantIbLb0EESU_EEDaSP_SQ_EUlSP_E0_NS1_11comp_targetILNS1_3genE2ELNS1_11target_archE906ELNS1_3gpuE6ELNS1_3repE0EEENS1_30default_config_static_selectorELNS0_4arch9wavefront6targetE1EEEvT1_
	.p2align	8
	.type	_ZN7rocprim17ROCPRIM_400000_NS6detail17trampoline_kernelINS0_14default_configENS1_20scan_config_selectorIyEEZZNS1_9scan_implILNS1_25lookback_scan_determinismE0ELb0ELb0ES3_N6thrust23THRUST_200600_302600_NS6detail15normal_iteratorINS9_10device_ptrIyEEEESE_y11max_functorIyEyEEDaPvRmT3_T4_T5_mT6_P12ihipStream_tbENKUlT_T0_E_clISt17integral_constantIbLb0EESU_EEDaSP_SQ_EUlSP_E0_NS1_11comp_targetILNS1_3genE2ELNS1_11target_archE906ELNS1_3gpuE6ELNS1_3repE0EEENS1_30default_config_static_selectorELNS0_4arch9wavefront6targetE1EEEvT1_,@function
_ZN7rocprim17ROCPRIM_400000_NS6detail17trampoline_kernelINS0_14default_configENS1_20scan_config_selectorIyEEZZNS1_9scan_implILNS1_25lookback_scan_determinismE0ELb0ELb0ES3_N6thrust23THRUST_200600_302600_NS6detail15normal_iteratorINS9_10device_ptrIyEEEESE_y11max_functorIyEyEEDaPvRmT3_T4_T5_mT6_P12ihipStream_tbENKUlT_T0_E_clISt17integral_constantIbLb0EESU_EEDaSP_SQ_EUlSP_E0_NS1_11comp_targetILNS1_3genE2ELNS1_11target_archE906ELNS1_3gpuE6ELNS1_3repE0EEENS1_30default_config_static_selectorELNS0_4arch9wavefront6targetE1EEEvT1_: ; @_ZN7rocprim17ROCPRIM_400000_NS6detail17trampoline_kernelINS0_14default_configENS1_20scan_config_selectorIyEEZZNS1_9scan_implILNS1_25lookback_scan_determinismE0ELb0ELb0ES3_N6thrust23THRUST_200600_302600_NS6detail15normal_iteratorINS9_10device_ptrIyEEEESE_y11max_functorIyEyEEDaPvRmT3_T4_T5_mT6_P12ihipStream_tbENKUlT_T0_E_clISt17integral_constantIbLb0EESU_EEDaSP_SQ_EUlSP_E0_NS1_11comp_targetILNS1_3genE2ELNS1_11target_archE906ELNS1_3gpuE6ELNS1_3repE0EEENS1_30default_config_static_selectorELNS0_4arch9wavefront6targetE1EEEvT1_
; %bb.0:
	.section	.rodata,"a",@progbits
	.p2align	6, 0x0
	.amdhsa_kernel _ZN7rocprim17ROCPRIM_400000_NS6detail17trampoline_kernelINS0_14default_configENS1_20scan_config_selectorIyEEZZNS1_9scan_implILNS1_25lookback_scan_determinismE0ELb0ELb0ES3_N6thrust23THRUST_200600_302600_NS6detail15normal_iteratorINS9_10device_ptrIyEEEESE_y11max_functorIyEyEEDaPvRmT3_T4_T5_mT6_P12ihipStream_tbENKUlT_T0_E_clISt17integral_constantIbLb0EESU_EEDaSP_SQ_EUlSP_E0_NS1_11comp_targetILNS1_3genE2ELNS1_11target_archE906ELNS1_3gpuE6ELNS1_3repE0EEENS1_30default_config_static_selectorELNS0_4arch9wavefront6targetE1EEEvT1_
		.amdhsa_group_segment_fixed_size 0
		.amdhsa_private_segment_fixed_size 0
		.amdhsa_kernarg_size 40
		.amdhsa_user_sgpr_count 6
		.amdhsa_user_sgpr_private_segment_buffer 1
		.amdhsa_user_sgpr_dispatch_ptr 0
		.amdhsa_user_sgpr_queue_ptr 0
		.amdhsa_user_sgpr_kernarg_segment_ptr 1
		.amdhsa_user_sgpr_dispatch_id 0
		.amdhsa_user_sgpr_flat_scratch_init 0
		.amdhsa_user_sgpr_kernarg_preload_length 0
		.amdhsa_user_sgpr_kernarg_preload_offset 0
		.amdhsa_user_sgpr_private_segment_size 0
		.amdhsa_uses_dynamic_stack 0
		.amdhsa_system_sgpr_private_segment_wavefront_offset 0
		.amdhsa_system_sgpr_workgroup_id_x 1
		.amdhsa_system_sgpr_workgroup_id_y 0
		.amdhsa_system_sgpr_workgroup_id_z 0
		.amdhsa_system_sgpr_workgroup_info 0
		.amdhsa_system_vgpr_workitem_id 0
		.amdhsa_next_free_vgpr 1
		.amdhsa_next_free_sgpr 0
		.amdhsa_accum_offset 4
		.amdhsa_reserve_vcc 0
		.amdhsa_reserve_flat_scratch 0
		.amdhsa_float_round_mode_32 0
		.amdhsa_float_round_mode_16_64 0
		.amdhsa_float_denorm_mode_32 3
		.amdhsa_float_denorm_mode_16_64 3
		.amdhsa_dx10_clamp 1
		.amdhsa_ieee_mode 1
		.amdhsa_fp16_overflow 0
		.amdhsa_tg_split 0
		.amdhsa_exception_fp_ieee_invalid_op 0
		.amdhsa_exception_fp_denorm_src 0
		.amdhsa_exception_fp_ieee_div_zero 0
		.amdhsa_exception_fp_ieee_overflow 0
		.amdhsa_exception_fp_ieee_underflow 0
		.amdhsa_exception_fp_ieee_inexact 0
		.amdhsa_exception_int_div_zero 0
	.end_amdhsa_kernel
	.section	.text._ZN7rocprim17ROCPRIM_400000_NS6detail17trampoline_kernelINS0_14default_configENS1_20scan_config_selectorIyEEZZNS1_9scan_implILNS1_25lookback_scan_determinismE0ELb0ELb0ES3_N6thrust23THRUST_200600_302600_NS6detail15normal_iteratorINS9_10device_ptrIyEEEESE_y11max_functorIyEyEEDaPvRmT3_T4_T5_mT6_P12ihipStream_tbENKUlT_T0_E_clISt17integral_constantIbLb0EESU_EEDaSP_SQ_EUlSP_E0_NS1_11comp_targetILNS1_3genE2ELNS1_11target_archE906ELNS1_3gpuE6ELNS1_3repE0EEENS1_30default_config_static_selectorELNS0_4arch9wavefront6targetE1EEEvT1_,"axG",@progbits,_ZN7rocprim17ROCPRIM_400000_NS6detail17trampoline_kernelINS0_14default_configENS1_20scan_config_selectorIyEEZZNS1_9scan_implILNS1_25lookback_scan_determinismE0ELb0ELb0ES3_N6thrust23THRUST_200600_302600_NS6detail15normal_iteratorINS9_10device_ptrIyEEEESE_y11max_functorIyEyEEDaPvRmT3_T4_T5_mT6_P12ihipStream_tbENKUlT_T0_E_clISt17integral_constantIbLb0EESU_EEDaSP_SQ_EUlSP_E0_NS1_11comp_targetILNS1_3genE2ELNS1_11target_archE906ELNS1_3gpuE6ELNS1_3repE0EEENS1_30default_config_static_selectorELNS0_4arch9wavefront6targetE1EEEvT1_,comdat
.Lfunc_end2110:
	.size	_ZN7rocprim17ROCPRIM_400000_NS6detail17trampoline_kernelINS0_14default_configENS1_20scan_config_selectorIyEEZZNS1_9scan_implILNS1_25lookback_scan_determinismE0ELb0ELb0ES3_N6thrust23THRUST_200600_302600_NS6detail15normal_iteratorINS9_10device_ptrIyEEEESE_y11max_functorIyEyEEDaPvRmT3_T4_T5_mT6_P12ihipStream_tbENKUlT_T0_E_clISt17integral_constantIbLb0EESU_EEDaSP_SQ_EUlSP_E0_NS1_11comp_targetILNS1_3genE2ELNS1_11target_archE906ELNS1_3gpuE6ELNS1_3repE0EEENS1_30default_config_static_selectorELNS0_4arch9wavefront6targetE1EEEvT1_, .Lfunc_end2110-_ZN7rocprim17ROCPRIM_400000_NS6detail17trampoline_kernelINS0_14default_configENS1_20scan_config_selectorIyEEZZNS1_9scan_implILNS1_25lookback_scan_determinismE0ELb0ELb0ES3_N6thrust23THRUST_200600_302600_NS6detail15normal_iteratorINS9_10device_ptrIyEEEESE_y11max_functorIyEyEEDaPvRmT3_T4_T5_mT6_P12ihipStream_tbENKUlT_T0_E_clISt17integral_constantIbLb0EESU_EEDaSP_SQ_EUlSP_E0_NS1_11comp_targetILNS1_3genE2ELNS1_11target_archE906ELNS1_3gpuE6ELNS1_3repE0EEENS1_30default_config_static_selectorELNS0_4arch9wavefront6targetE1EEEvT1_
                                        ; -- End function
	.section	.AMDGPU.csdata,"",@progbits
; Kernel info:
; codeLenInByte = 0
; NumSgprs: 4
; NumVgprs: 0
; NumAgprs: 0
; TotalNumVgprs: 0
; ScratchSize: 0
; MemoryBound: 0
; FloatMode: 240
; IeeeMode: 1
; LDSByteSize: 0 bytes/workgroup (compile time only)
; SGPRBlocks: 0
; VGPRBlocks: 0
; NumSGPRsForWavesPerEU: 4
; NumVGPRsForWavesPerEU: 1
; AccumOffset: 4
; Occupancy: 8
; WaveLimiterHint : 0
; COMPUTE_PGM_RSRC2:SCRATCH_EN: 0
; COMPUTE_PGM_RSRC2:USER_SGPR: 6
; COMPUTE_PGM_RSRC2:TRAP_HANDLER: 0
; COMPUTE_PGM_RSRC2:TGID_X_EN: 1
; COMPUTE_PGM_RSRC2:TGID_Y_EN: 0
; COMPUTE_PGM_RSRC2:TGID_Z_EN: 0
; COMPUTE_PGM_RSRC2:TIDIG_COMP_CNT: 0
; COMPUTE_PGM_RSRC3_GFX90A:ACCUM_OFFSET: 0
; COMPUTE_PGM_RSRC3_GFX90A:TG_SPLIT: 0
	.section	.text._ZN7rocprim17ROCPRIM_400000_NS6detail17trampoline_kernelINS0_14default_configENS1_20scan_config_selectorIyEEZZNS1_9scan_implILNS1_25lookback_scan_determinismE0ELb0ELb0ES3_N6thrust23THRUST_200600_302600_NS6detail15normal_iteratorINS9_10device_ptrIyEEEESE_y11max_functorIyEyEEDaPvRmT3_T4_T5_mT6_P12ihipStream_tbENKUlT_T0_E_clISt17integral_constantIbLb0EESU_EEDaSP_SQ_EUlSP_E0_NS1_11comp_targetILNS1_3genE10ELNS1_11target_archE1201ELNS1_3gpuE5ELNS1_3repE0EEENS1_30default_config_static_selectorELNS0_4arch9wavefront6targetE1EEEvT1_,"axG",@progbits,_ZN7rocprim17ROCPRIM_400000_NS6detail17trampoline_kernelINS0_14default_configENS1_20scan_config_selectorIyEEZZNS1_9scan_implILNS1_25lookback_scan_determinismE0ELb0ELb0ES3_N6thrust23THRUST_200600_302600_NS6detail15normal_iteratorINS9_10device_ptrIyEEEESE_y11max_functorIyEyEEDaPvRmT3_T4_T5_mT6_P12ihipStream_tbENKUlT_T0_E_clISt17integral_constantIbLb0EESU_EEDaSP_SQ_EUlSP_E0_NS1_11comp_targetILNS1_3genE10ELNS1_11target_archE1201ELNS1_3gpuE5ELNS1_3repE0EEENS1_30default_config_static_selectorELNS0_4arch9wavefront6targetE1EEEvT1_,comdat
	.protected	_ZN7rocprim17ROCPRIM_400000_NS6detail17trampoline_kernelINS0_14default_configENS1_20scan_config_selectorIyEEZZNS1_9scan_implILNS1_25lookback_scan_determinismE0ELb0ELb0ES3_N6thrust23THRUST_200600_302600_NS6detail15normal_iteratorINS9_10device_ptrIyEEEESE_y11max_functorIyEyEEDaPvRmT3_T4_T5_mT6_P12ihipStream_tbENKUlT_T0_E_clISt17integral_constantIbLb0EESU_EEDaSP_SQ_EUlSP_E0_NS1_11comp_targetILNS1_3genE10ELNS1_11target_archE1201ELNS1_3gpuE5ELNS1_3repE0EEENS1_30default_config_static_selectorELNS0_4arch9wavefront6targetE1EEEvT1_ ; -- Begin function _ZN7rocprim17ROCPRIM_400000_NS6detail17trampoline_kernelINS0_14default_configENS1_20scan_config_selectorIyEEZZNS1_9scan_implILNS1_25lookback_scan_determinismE0ELb0ELb0ES3_N6thrust23THRUST_200600_302600_NS6detail15normal_iteratorINS9_10device_ptrIyEEEESE_y11max_functorIyEyEEDaPvRmT3_T4_T5_mT6_P12ihipStream_tbENKUlT_T0_E_clISt17integral_constantIbLb0EESU_EEDaSP_SQ_EUlSP_E0_NS1_11comp_targetILNS1_3genE10ELNS1_11target_archE1201ELNS1_3gpuE5ELNS1_3repE0EEENS1_30default_config_static_selectorELNS0_4arch9wavefront6targetE1EEEvT1_
	.globl	_ZN7rocprim17ROCPRIM_400000_NS6detail17trampoline_kernelINS0_14default_configENS1_20scan_config_selectorIyEEZZNS1_9scan_implILNS1_25lookback_scan_determinismE0ELb0ELb0ES3_N6thrust23THRUST_200600_302600_NS6detail15normal_iteratorINS9_10device_ptrIyEEEESE_y11max_functorIyEyEEDaPvRmT3_T4_T5_mT6_P12ihipStream_tbENKUlT_T0_E_clISt17integral_constantIbLb0EESU_EEDaSP_SQ_EUlSP_E0_NS1_11comp_targetILNS1_3genE10ELNS1_11target_archE1201ELNS1_3gpuE5ELNS1_3repE0EEENS1_30default_config_static_selectorELNS0_4arch9wavefront6targetE1EEEvT1_
	.p2align	8
	.type	_ZN7rocprim17ROCPRIM_400000_NS6detail17trampoline_kernelINS0_14default_configENS1_20scan_config_selectorIyEEZZNS1_9scan_implILNS1_25lookback_scan_determinismE0ELb0ELb0ES3_N6thrust23THRUST_200600_302600_NS6detail15normal_iteratorINS9_10device_ptrIyEEEESE_y11max_functorIyEyEEDaPvRmT3_T4_T5_mT6_P12ihipStream_tbENKUlT_T0_E_clISt17integral_constantIbLb0EESU_EEDaSP_SQ_EUlSP_E0_NS1_11comp_targetILNS1_3genE10ELNS1_11target_archE1201ELNS1_3gpuE5ELNS1_3repE0EEENS1_30default_config_static_selectorELNS0_4arch9wavefront6targetE1EEEvT1_,@function
_ZN7rocprim17ROCPRIM_400000_NS6detail17trampoline_kernelINS0_14default_configENS1_20scan_config_selectorIyEEZZNS1_9scan_implILNS1_25lookback_scan_determinismE0ELb0ELb0ES3_N6thrust23THRUST_200600_302600_NS6detail15normal_iteratorINS9_10device_ptrIyEEEESE_y11max_functorIyEyEEDaPvRmT3_T4_T5_mT6_P12ihipStream_tbENKUlT_T0_E_clISt17integral_constantIbLb0EESU_EEDaSP_SQ_EUlSP_E0_NS1_11comp_targetILNS1_3genE10ELNS1_11target_archE1201ELNS1_3gpuE5ELNS1_3repE0EEENS1_30default_config_static_selectorELNS0_4arch9wavefront6targetE1EEEvT1_: ; @_ZN7rocprim17ROCPRIM_400000_NS6detail17trampoline_kernelINS0_14default_configENS1_20scan_config_selectorIyEEZZNS1_9scan_implILNS1_25lookback_scan_determinismE0ELb0ELb0ES3_N6thrust23THRUST_200600_302600_NS6detail15normal_iteratorINS9_10device_ptrIyEEEESE_y11max_functorIyEyEEDaPvRmT3_T4_T5_mT6_P12ihipStream_tbENKUlT_T0_E_clISt17integral_constantIbLb0EESU_EEDaSP_SQ_EUlSP_E0_NS1_11comp_targetILNS1_3genE10ELNS1_11target_archE1201ELNS1_3gpuE5ELNS1_3repE0EEENS1_30default_config_static_selectorELNS0_4arch9wavefront6targetE1EEEvT1_
; %bb.0:
	.section	.rodata,"a",@progbits
	.p2align	6, 0x0
	.amdhsa_kernel _ZN7rocprim17ROCPRIM_400000_NS6detail17trampoline_kernelINS0_14default_configENS1_20scan_config_selectorIyEEZZNS1_9scan_implILNS1_25lookback_scan_determinismE0ELb0ELb0ES3_N6thrust23THRUST_200600_302600_NS6detail15normal_iteratorINS9_10device_ptrIyEEEESE_y11max_functorIyEyEEDaPvRmT3_T4_T5_mT6_P12ihipStream_tbENKUlT_T0_E_clISt17integral_constantIbLb0EESU_EEDaSP_SQ_EUlSP_E0_NS1_11comp_targetILNS1_3genE10ELNS1_11target_archE1201ELNS1_3gpuE5ELNS1_3repE0EEENS1_30default_config_static_selectorELNS0_4arch9wavefront6targetE1EEEvT1_
		.amdhsa_group_segment_fixed_size 0
		.amdhsa_private_segment_fixed_size 0
		.amdhsa_kernarg_size 40
		.amdhsa_user_sgpr_count 6
		.amdhsa_user_sgpr_private_segment_buffer 1
		.amdhsa_user_sgpr_dispatch_ptr 0
		.amdhsa_user_sgpr_queue_ptr 0
		.amdhsa_user_sgpr_kernarg_segment_ptr 1
		.amdhsa_user_sgpr_dispatch_id 0
		.amdhsa_user_sgpr_flat_scratch_init 0
		.amdhsa_user_sgpr_kernarg_preload_length 0
		.amdhsa_user_sgpr_kernarg_preload_offset 0
		.amdhsa_user_sgpr_private_segment_size 0
		.amdhsa_uses_dynamic_stack 0
		.amdhsa_system_sgpr_private_segment_wavefront_offset 0
		.amdhsa_system_sgpr_workgroup_id_x 1
		.amdhsa_system_sgpr_workgroup_id_y 0
		.amdhsa_system_sgpr_workgroup_id_z 0
		.amdhsa_system_sgpr_workgroup_info 0
		.amdhsa_system_vgpr_workitem_id 0
		.amdhsa_next_free_vgpr 1
		.amdhsa_next_free_sgpr 0
		.amdhsa_accum_offset 4
		.amdhsa_reserve_vcc 0
		.amdhsa_reserve_flat_scratch 0
		.amdhsa_float_round_mode_32 0
		.amdhsa_float_round_mode_16_64 0
		.amdhsa_float_denorm_mode_32 3
		.amdhsa_float_denorm_mode_16_64 3
		.amdhsa_dx10_clamp 1
		.amdhsa_ieee_mode 1
		.amdhsa_fp16_overflow 0
		.amdhsa_tg_split 0
		.amdhsa_exception_fp_ieee_invalid_op 0
		.amdhsa_exception_fp_denorm_src 0
		.amdhsa_exception_fp_ieee_div_zero 0
		.amdhsa_exception_fp_ieee_overflow 0
		.amdhsa_exception_fp_ieee_underflow 0
		.amdhsa_exception_fp_ieee_inexact 0
		.amdhsa_exception_int_div_zero 0
	.end_amdhsa_kernel
	.section	.text._ZN7rocprim17ROCPRIM_400000_NS6detail17trampoline_kernelINS0_14default_configENS1_20scan_config_selectorIyEEZZNS1_9scan_implILNS1_25lookback_scan_determinismE0ELb0ELb0ES3_N6thrust23THRUST_200600_302600_NS6detail15normal_iteratorINS9_10device_ptrIyEEEESE_y11max_functorIyEyEEDaPvRmT3_T4_T5_mT6_P12ihipStream_tbENKUlT_T0_E_clISt17integral_constantIbLb0EESU_EEDaSP_SQ_EUlSP_E0_NS1_11comp_targetILNS1_3genE10ELNS1_11target_archE1201ELNS1_3gpuE5ELNS1_3repE0EEENS1_30default_config_static_selectorELNS0_4arch9wavefront6targetE1EEEvT1_,"axG",@progbits,_ZN7rocprim17ROCPRIM_400000_NS6detail17trampoline_kernelINS0_14default_configENS1_20scan_config_selectorIyEEZZNS1_9scan_implILNS1_25lookback_scan_determinismE0ELb0ELb0ES3_N6thrust23THRUST_200600_302600_NS6detail15normal_iteratorINS9_10device_ptrIyEEEESE_y11max_functorIyEyEEDaPvRmT3_T4_T5_mT6_P12ihipStream_tbENKUlT_T0_E_clISt17integral_constantIbLb0EESU_EEDaSP_SQ_EUlSP_E0_NS1_11comp_targetILNS1_3genE10ELNS1_11target_archE1201ELNS1_3gpuE5ELNS1_3repE0EEENS1_30default_config_static_selectorELNS0_4arch9wavefront6targetE1EEEvT1_,comdat
.Lfunc_end2111:
	.size	_ZN7rocprim17ROCPRIM_400000_NS6detail17trampoline_kernelINS0_14default_configENS1_20scan_config_selectorIyEEZZNS1_9scan_implILNS1_25lookback_scan_determinismE0ELb0ELb0ES3_N6thrust23THRUST_200600_302600_NS6detail15normal_iteratorINS9_10device_ptrIyEEEESE_y11max_functorIyEyEEDaPvRmT3_T4_T5_mT6_P12ihipStream_tbENKUlT_T0_E_clISt17integral_constantIbLb0EESU_EEDaSP_SQ_EUlSP_E0_NS1_11comp_targetILNS1_3genE10ELNS1_11target_archE1201ELNS1_3gpuE5ELNS1_3repE0EEENS1_30default_config_static_selectorELNS0_4arch9wavefront6targetE1EEEvT1_, .Lfunc_end2111-_ZN7rocprim17ROCPRIM_400000_NS6detail17trampoline_kernelINS0_14default_configENS1_20scan_config_selectorIyEEZZNS1_9scan_implILNS1_25lookback_scan_determinismE0ELb0ELb0ES3_N6thrust23THRUST_200600_302600_NS6detail15normal_iteratorINS9_10device_ptrIyEEEESE_y11max_functorIyEyEEDaPvRmT3_T4_T5_mT6_P12ihipStream_tbENKUlT_T0_E_clISt17integral_constantIbLb0EESU_EEDaSP_SQ_EUlSP_E0_NS1_11comp_targetILNS1_3genE10ELNS1_11target_archE1201ELNS1_3gpuE5ELNS1_3repE0EEENS1_30default_config_static_selectorELNS0_4arch9wavefront6targetE1EEEvT1_
                                        ; -- End function
	.section	.AMDGPU.csdata,"",@progbits
; Kernel info:
; codeLenInByte = 0
; NumSgprs: 4
; NumVgprs: 0
; NumAgprs: 0
; TotalNumVgprs: 0
; ScratchSize: 0
; MemoryBound: 0
; FloatMode: 240
; IeeeMode: 1
; LDSByteSize: 0 bytes/workgroup (compile time only)
; SGPRBlocks: 0
; VGPRBlocks: 0
; NumSGPRsForWavesPerEU: 4
; NumVGPRsForWavesPerEU: 1
; AccumOffset: 4
; Occupancy: 8
; WaveLimiterHint : 0
; COMPUTE_PGM_RSRC2:SCRATCH_EN: 0
; COMPUTE_PGM_RSRC2:USER_SGPR: 6
; COMPUTE_PGM_RSRC2:TRAP_HANDLER: 0
; COMPUTE_PGM_RSRC2:TGID_X_EN: 1
; COMPUTE_PGM_RSRC2:TGID_Y_EN: 0
; COMPUTE_PGM_RSRC2:TGID_Z_EN: 0
; COMPUTE_PGM_RSRC2:TIDIG_COMP_CNT: 0
; COMPUTE_PGM_RSRC3_GFX90A:ACCUM_OFFSET: 0
; COMPUTE_PGM_RSRC3_GFX90A:TG_SPLIT: 0
	.section	.text._ZN7rocprim17ROCPRIM_400000_NS6detail17trampoline_kernelINS0_14default_configENS1_20scan_config_selectorIyEEZZNS1_9scan_implILNS1_25lookback_scan_determinismE0ELb0ELb0ES3_N6thrust23THRUST_200600_302600_NS6detail15normal_iteratorINS9_10device_ptrIyEEEESE_y11max_functorIyEyEEDaPvRmT3_T4_T5_mT6_P12ihipStream_tbENKUlT_T0_E_clISt17integral_constantIbLb0EESU_EEDaSP_SQ_EUlSP_E0_NS1_11comp_targetILNS1_3genE10ELNS1_11target_archE1200ELNS1_3gpuE4ELNS1_3repE0EEENS1_30default_config_static_selectorELNS0_4arch9wavefront6targetE1EEEvT1_,"axG",@progbits,_ZN7rocprim17ROCPRIM_400000_NS6detail17trampoline_kernelINS0_14default_configENS1_20scan_config_selectorIyEEZZNS1_9scan_implILNS1_25lookback_scan_determinismE0ELb0ELb0ES3_N6thrust23THRUST_200600_302600_NS6detail15normal_iteratorINS9_10device_ptrIyEEEESE_y11max_functorIyEyEEDaPvRmT3_T4_T5_mT6_P12ihipStream_tbENKUlT_T0_E_clISt17integral_constantIbLb0EESU_EEDaSP_SQ_EUlSP_E0_NS1_11comp_targetILNS1_3genE10ELNS1_11target_archE1200ELNS1_3gpuE4ELNS1_3repE0EEENS1_30default_config_static_selectorELNS0_4arch9wavefront6targetE1EEEvT1_,comdat
	.protected	_ZN7rocprim17ROCPRIM_400000_NS6detail17trampoline_kernelINS0_14default_configENS1_20scan_config_selectorIyEEZZNS1_9scan_implILNS1_25lookback_scan_determinismE0ELb0ELb0ES3_N6thrust23THRUST_200600_302600_NS6detail15normal_iteratorINS9_10device_ptrIyEEEESE_y11max_functorIyEyEEDaPvRmT3_T4_T5_mT6_P12ihipStream_tbENKUlT_T0_E_clISt17integral_constantIbLb0EESU_EEDaSP_SQ_EUlSP_E0_NS1_11comp_targetILNS1_3genE10ELNS1_11target_archE1200ELNS1_3gpuE4ELNS1_3repE0EEENS1_30default_config_static_selectorELNS0_4arch9wavefront6targetE1EEEvT1_ ; -- Begin function _ZN7rocprim17ROCPRIM_400000_NS6detail17trampoline_kernelINS0_14default_configENS1_20scan_config_selectorIyEEZZNS1_9scan_implILNS1_25lookback_scan_determinismE0ELb0ELb0ES3_N6thrust23THRUST_200600_302600_NS6detail15normal_iteratorINS9_10device_ptrIyEEEESE_y11max_functorIyEyEEDaPvRmT3_T4_T5_mT6_P12ihipStream_tbENKUlT_T0_E_clISt17integral_constantIbLb0EESU_EEDaSP_SQ_EUlSP_E0_NS1_11comp_targetILNS1_3genE10ELNS1_11target_archE1200ELNS1_3gpuE4ELNS1_3repE0EEENS1_30default_config_static_selectorELNS0_4arch9wavefront6targetE1EEEvT1_
	.globl	_ZN7rocprim17ROCPRIM_400000_NS6detail17trampoline_kernelINS0_14default_configENS1_20scan_config_selectorIyEEZZNS1_9scan_implILNS1_25lookback_scan_determinismE0ELb0ELb0ES3_N6thrust23THRUST_200600_302600_NS6detail15normal_iteratorINS9_10device_ptrIyEEEESE_y11max_functorIyEyEEDaPvRmT3_T4_T5_mT6_P12ihipStream_tbENKUlT_T0_E_clISt17integral_constantIbLb0EESU_EEDaSP_SQ_EUlSP_E0_NS1_11comp_targetILNS1_3genE10ELNS1_11target_archE1200ELNS1_3gpuE4ELNS1_3repE0EEENS1_30default_config_static_selectorELNS0_4arch9wavefront6targetE1EEEvT1_
	.p2align	8
	.type	_ZN7rocprim17ROCPRIM_400000_NS6detail17trampoline_kernelINS0_14default_configENS1_20scan_config_selectorIyEEZZNS1_9scan_implILNS1_25lookback_scan_determinismE0ELb0ELb0ES3_N6thrust23THRUST_200600_302600_NS6detail15normal_iteratorINS9_10device_ptrIyEEEESE_y11max_functorIyEyEEDaPvRmT3_T4_T5_mT6_P12ihipStream_tbENKUlT_T0_E_clISt17integral_constantIbLb0EESU_EEDaSP_SQ_EUlSP_E0_NS1_11comp_targetILNS1_3genE10ELNS1_11target_archE1200ELNS1_3gpuE4ELNS1_3repE0EEENS1_30default_config_static_selectorELNS0_4arch9wavefront6targetE1EEEvT1_,@function
_ZN7rocprim17ROCPRIM_400000_NS6detail17trampoline_kernelINS0_14default_configENS1_20scan_config_selectorIyEEZZNS1_9scan_implILNS1_25lookback_scan_determinismE0ELb0ELb0ES3_N6thrust23THRUST_200600_302600_NS6detail15normal_iteratorINS9_10device_ptrIyEEEESE_y11max_functorIyEyEEDaPvRmT3_T4_T5_mT6_P12ihipStream_tbENKUlT_T0_E_clISt17integral_constantIbLb0EESU_EEDaSP_SQ_EUlSP_E0_NS1_11comp_targetILNS1_3genE10ELNS1_11target_archE1200ELNS1_3gpuE4ELNS1_3repE0EEENS1_30default_config_static_selectorELNS0_4arch9wavefront6targetE1EEEvT1_: ; @_ZN7rocprim17ROCPRIM_400000_NS6detail17trampoline_kernelINS0_14default_configENS1_20scan_config_selectorIyEEZZNS1_9scan_implILNS1_25lookback_scan_determinismE0ELb0ELb0ES3_N6thrust23THRUST_200600_302600_NS6detail15normal_iteratorINS9_10device_ptrIyEEEESE_y11max_functorIyEyEEDaPvRmT3_T4_T5_mT6_P12ihipStream_tbENKUlT_T0_E_clISt17integral_constantIbLb0EESU_EEDaSP_SQ_EUlSP_E0_NS1_11comp_targetILNS1_3genE10ELNS1_11target_archE1200ELNS1_3gpuE4ELNS1_3repE0EEENS1_30default_config_static_selectorELNS0_4arch9wavefront6targetE1EEEvT1_
; %bb.0:
	.section	.rodata,"a",@progbits
	.p2align	6, 0x0
	.amdhsa_kernel _ZN7rocprim17ROCPRIM_400000_NS6detail17trampoline_kernelINS0_14default_configENS1_20scan_config_selectorIyEEZZNS1_9scan_implILNS1_25lookback_scan_determinismE0ELb0ELb0ES3_N6thrust23THRUST_200600_302600_NS6detail15normal_iteratorINS9_10device_ptrIyEEEESE_y11max_functorIyEyEEDaPvRmT3_T4_T5_mT6_P12ihipStream_tbENKUlT_T0_E_clISt17integral_constantIbLb0EESU_EEDaSP_SQ_EUlSP_E0_NS1_11comp_targetILNS1_3genE10ELNS1_11target_archE1200ELNS1_3gpuE4ELNS1_3repE0EEENS1_30default_config_static_selectorELNS0_4arch9wavefront6targetE1EEEvT1_
		.amdhsa_group_segment_fixed_size 0
		.amdhsa_private_segment_fixed_size 0
		.amdhsa_kernarg_size 40
		.amdhsa_user_sgpr_count 6
		.amdhsa_user_sgpr_private_segment_buffer 1
		.amdhsa_user_sgpr_dispatch_ptr 0
		.amdhsa_user_sgpr_queue_ptr 0
		.amdhsa_user_sgpr_kernarg_segment_ptr 1
		.amdhsa_user_sgpr_dispatch_id 0
		.amdhsa_user_sgpr_flat_scratch_init 0
		.amdhsa_user_sgpr_kernarg_preload_length 0
		.amdhsa_user_sgpr_kernarg_preload_offset 0
		.amdhsa_user_sgpr_private_segment_size 0
		.amdhsa_uses_dynamic_stack 0
		.amdhsa_system_sgpr_private_segment_wavefront_offset 0
		.amdhsa_system_sgpr_workgroup_id_x 1
		.amdhsa_system_sgpr_workgroup_id_y 0
		.amdhsa_system_sgpr_workgroup_id_z 0
		.amdhsa_system_sgpr_workgroup_info 0
		.amdhsa_system_vgpr_workitem_id 0
		.amdhsa_next_free_vgpr 1
		.amdhsa_next_free_sgpr 0
		.amdhsa_accum_offset 4
		.amdhsa_reserve_vcc 0
		.amdhsa_reserve_flat_scratch 0
		.amdhsa_float_round_mode_32 0
		.amdhsa_float_round_mode_16_64 0
		.amdhsa_float_denorm_mode_32 3
		.amdhsa_float_denorm_mode_16_64 3
		.amdhsa_dx10_clamp 1
		.amdhsa_ieee_mode 1
		.amdhsa_fp16_overflow 0
		.amdhsa_tg_split 0
		.amdhsa_exception_fp_ieee_invalid_op 0
		.amdhsa_exception_fp_denorm_src 0
		.amdhsa_exception_fp_ieee_div_zero 0
		.amdhsa_exception_fp_ieee_overflow 0
		.amdhsa_exception_fp_ieee_underflow 0
		.amdhsa_exception_fp_ieee_inexact 0
		.amdhsa_exception_int_div_zero 0
	.end_amdhsa_kernel
	.section	.text._ZN7rocprim17ROCPRIM_400000_NS6detail17trampoline_kernelINS0_14default_configENS1_20scan_config_selectorIyEEZZNS1_9scan_implILNS1_25lookback_scan_determinismE0ELb0ELb0ES3_N6thrust23THRUST_200600_302600_NS6detail15normal_iteratorINS9_10device_ptrIyEEEESE_y11max_functorIyEyEEDaPvRmT3_T4_T5_mT6_P12ihipStream_tbENKUlT_T0_E_clISt17integral_constantIbLb0EESU_EEDaSP_SQ_EUlSP_E0_NS1_11comp_targetILNS1_3genE10ELNS1_11target_archE1200ELNS1_3gpuE4ELNS1_3repE0EEENS1_30default_config_static_selectorELNS0_4arch9wavefront6targetE1EEEvT1_,"axG",@progbits,_ZN7rocprim17ROCPRIM_400000_NS6detail17trampoline_kernelINS0_14default_configENS1_20scan_config_selectorIyEEZZNS1_9scan_implILNS1_25lookback_scan_determinismE0ELb0ELb0ES3_N6thrust23THRUST_200600_302600_NS6detail15normal_iteratorINS9_10device_ptrIyEEEESE_y11max_functorIyEyEEDaPvRmT3_T4_T5_mT6_P12ihipStream_tbENKUlT_T0_E_clISt17integral_constantIbLb0EESU_EEDaSP_SQ_EUlSP_E0_NS1_11comp_targetILNS1_3genE10ELNS1_11target_archE1200ELNS1_3gpuE4ELNS1_3repE0EEENS1_30default_config_static_selectorELNS0_4arch9wavefront6targetE1EEEvT1_,comdat
.Lfunc_end2112:
	.size	_ZN7rocprim17ROCPRIM_400000_NS6detail17trampoline_kernelINS0_14default_configENS1_20scan_config_selectorIyEEZZNS1_9scan_implILNS1_25lookback_scan_determinismE0ELb0ELb0ES3_N6thrust23THRUST_200600_302600_NS6detail15normal_iteratorINS9_10device_ptrIyEEEESE_y11max_functorIyEyEEDaPvRmT3_T4_T5_mT6_P12ihipStream_tbENKUlT_T0_E_clISt17integral_constantIbLb0EESU_EEDaSP_SQ_EUlSP_E0_NS1_11comp_targetILNS1_3genE10ELNS1_11target_archE1200ELNS1_3gpuE4ELNS1_3repE0EEENS1_30default_config_static_selectorELNS0_4arch9wavefront6targetE1EEEvT1_, .Lfunc_end2112-_ZN7rocprim17ROCPRIM_400000_NS6detail17trampoline_kernelINS0_14default_configENS1_20scan_config_selectorIyEEZZNS1_9scan_implILNS1_25lookback_scan_determinismE0ELb0ELb0ES3_N6thrust23THRUST_200600_302600_NS6detail15normal_iteratorINS9_10device_ptrIyEEEESE_y11max_functorIyEyEEDaPvRmT3_T4_T5_mT6_P12ihipStream_tbENKUlT_T0_E_clISt17integral_constantIbLb0EESU_EEDaSP_SQ_EUlSP_E0_NS1_11comp_targetILNS1_3genE10ELNS1_11target_archE1200ELNS1_3gpuE4ELNS1_3repE0EEENS1_30default_config_static_selectorELNS0_4arch9wavefront6targetE1EEEvT1_
                                        ; -- End function
	.section	.AMDGPU.csdata,"",@progbits
; Kernel info:
; codeLenInByte = 0
; NumSgprs: 4
; NumVgprs: 0
; NumAgprs: 0
; TotalNumVgprs: 0
; ScratchSize: 0
; MemoryBound: 0
; FloatMode: 240
; IeeeMode: 1
; LDSByteSize: 0 bytes/workgroup (compile time only)
; SGPRBlocks: 0
; VGPRBlocks: 0
; NumSGPRsForWavesPerEU: 4
; NumVGPRsForWavesPerEU: 1
; AccumOffset: 4
; Occupancy: 8
; WaveLimiterHint : 0
; COMPUTE_PGM_RSRC2:SCRATCH_EN: 0
; COMPUTE_PGM_RSRC2:USER_SGPR: 6
; COMPUTE_PGM_RSRC2:TRAP_HANDLER: 0
; COMPUTE_PGM_RSRC2:TGID_X_EN: 1
; COMPUTE_PGM_RSRC2:TGID_Y_EN: 0
; COMPUTE_PGM_RSRC2:TGID_Z_EN: 0
; COMPUTE_PGM_RSRC2:TIDIG_COMP_CNT: 0
; COMPUTE_PGM_RSRC3_GFX90A:ACCUM_OFFSET: 0
; COMPUTE_PGM_RSRC3_GFX90A:TG_SPLIT: 0
	.section	.text._ZN7rocprim17ROCPRIM_400000_NS6detail17trampoline_kernelINS0_14default_configENS1_20scan_config_selectorIyEEZZNS1_9scan_implILNS1_25lookback_scan_determinismE0ELb0ELb0ES3_N6thrust23THRUST_200600_302600_NS6detail15normal_iteratorINS9_10device_ptrIyEEEESE_y11max_functorIyEyEEDaPvRmT3_T4_T5_mT6_P12ihipStream_tbENKUlT_T0_E_clISt17integral_constantIbLb0EESU_EEDaSP_SQ_EUlSP_E0_NS1_11comp_targetILNS1_3genE9ELNS1_11target_archE1100ELNS1_3gpuE3ELNS1_3repE0EEENS1_30default_config_static_selectorELNS0_4arch9wavefront6targetE1EEEvT1_,"axG",@progbits,_ZN7rocprim17ROCPRIM_400000_NS6detail17trampoline_kernelINS0_14default_configENS1_20scan_config_selectorIyEEZZNS1_9scan_implILNS1_25lookback_scan_determinismE0ELb0ELb0ES3_N6thrust23THRUST_200600_302600_NS6detail15normal_iteratorINS9_10device_ptrIyEEEESE_y11max_functorIyEyEEDaPvRmT3_T4_T5_mT6_P12ihipStream_tbENKUlT_T0_E_clISt17integral_constantIbLb0EESU_EEDaSP_SQ_EUlSP_E0_NS1_11comp_targetILNS1_3genE9ELNS1_11target_archE1100ELNS1_3gpuE3ELNS1_3repE0EEENS1_30default_config_static_selectorELNS0_4arch9wavefront6targetE1EEEvT1_,comdat
	.protected	_ZN7rocprim17ROCPRIM_400000_NS6detail17trampoline_kernelINS0_14default_configENS1_20scan_config_selectorIyEEZZNS1_9scan_implILNS1_25lookback_scan_determinismE0ELb0ELb0ES3_N6thrust23THRUST_200600_302600_NS6detail15normal_iteratorINS9_10device_ptrIyEEEESE_y11max_functorIyEyEEDaPvRmT3_T4_T5_mT6_P12ihipStream_tbENKUlT_T0_E_clISt17integral_constantIbLb0EESU_EEDaSP_SQ_EUlSP_E0_NS1_11comp_targetILNS1_3genE9ELNS1_11target_archE1100ELNS1_3gpuE3ELNS1_3repE0EEENS1_30default_config_static_selectorELNS0_4arch9wavefront6targetE1EEEvT1_ ; -- Begin function _ZN7rocprim17ROCPRIM_400000_NS6detail17trampoline_kernelINS0_14default_configENS1_20scan_config_selectorIyEEZZNS1_9scan_implILNS1_25lookback_scan_determinismE0ELb0ELb0ES3_N6thrust23THRUST_200600_302600_NS6detail15normal_iteratorINS9_10device_ptrIyEEEESE_y11max_functorIyEyEEDaPvRmT3_T4_T5_mT6_P12ihipStream_tbENKUlT_T0_E_clISt17integral_constantIbLb0EESU_EEDaSP_SQ_EUlSP_E0_NS1_11comp_targetILNS1_3genE9ELNS1_11target_archE1100ELNS1_3gpuE3ELNS1_3repE0EEENS1_30default_config_static_selectorELNS0_4arch9wavefront6targetE1EEEvT1_
	.globl	_ZN7rocprim17ROCPRIM_400000_NS6detail17trampoline_kernelINS0_14default_configENS1_20scan_config_selectorIyEEZZNS1_9scan_implILNS1_25lookback_scan_determinismE0ELb0ELb0ES3_N6thrust23THRUST_200600_302600_NS6detail15normal_iteratorINS9_10device_ptrIyEEEESE_y11max_functorIyEyEEDaPvRmT3_T4_T5_mT6_P12ihipStream_tbENKUlT_T0_E_clISt17integral_constantIbLb0EESU_EEDaSP_SQ_EUlSP_E0_NS1_11comp_targetILNS1_3genE9ELNS1_11target_archE1100ELNS1_3gpuE3ELNS1_3repE0EEENS1_30default_config_static_selectorELNS0_4arch9wavefront6targetE1EEEvT1_
	.p2align	8
	.type	_ZN7rocprim17ROCPRIM_400000_NS6detail17trampoline_kernelINS0_14default_configENS1_20scan_config_selectorIyEEZZNS1_9scan_implILNS1_25lookback_scan_determinismE0ELb0ELb0ES3_N6thrust23THRUST_200600_302600_NS6detail15normal_iteratorINS9_10device_ptrIyEEEESE_y11max_functorIyEyEEDaPvRmT3_T4_T5_mT6_P12ihipStream_tbENKUlT_T0_E_clISt17integral_constantIbLb0EESU_EEDaSP_SQ_EUlSP_E0_NS1_11comp_targetILNS1_3genE9ELNS1_11target_archE1100ELNS1_3gpuE3ELNS1_3repE0EEENS1_30default_config_static_selectorELNS0_4arch9wavefront6targetE1EEEvT1_,@function
_ZN7rocprim17ROCPRIM_400000_NS6detail17trampoline_kernelINS0_14default_configENS1_20scan_config_selectorIyEEZZNS1_9scan_implILNS1_25lookback_scan_determinismE0ELb0ELb0ES3_N6thrust23THRUST_200600_302600_NS6detail15normal_iteratorINS9_10device_ptrIyEEEESE_y11max_functorIyEyEEDaPvRmT3_T4_T5_mT6_P12ihipStream_tbENKUlT_T0_E_clISt17integral_constantIbLb0EESU_EEDaSP_SQ_EUlSP_E0_NS1_11comp_targetILNS1_3genE9ELNS1_11target_archE1100ELNS1_3gpuE3ELNS1_3repE0EEENS1_30default_config_static_selectorELNS0_4arch9wavefront6targetE1EEEvT1_: ; @_ZN7rocprim17ROCPRIM_400000_NS6detail17trampoline_kernelINS0_14default_configENS1_20scan_config_selectorIyEEZZNS1_9scan_implILNS1_25lookback_scan_determinismE0ELb0ELb0ES3_N6thrust23THRUST_200600_302600_NS6detail15normal_iteratorINS9_10device_ptrIyEEEESE_y11max_functorIyEyEEDaPvRmT3_T4_T5_mT6_P12ihipStream_tbENKUlT_T0_E_clISt17integral_constantIbLb0EESU_EEDaSP_SQ_EUlSP_E0_NS1_11comp_targetILNS1_3genE9ELNS1_11target_archE1100ELNS1_3gpuE3ELNS1_3repE0EEENS1_30default_config_static_selectorELNS0_4arch9wavefront6targetE1EEEvT1_
; %bb.0:
	.section	.rodata,"a",@progbits
	.p2align	6, 0x0
	.amdhsa_kernel _ZN7rocprim17ROCPRIM_400000_NS6detail17trampoline_kernelINS0_14default_configENS1_20scan_config_selectorIyEEZZNS1_9scan_implILNS1_25lookback_scan_determinismE0ELb0ELb0ES3_N6thrust23THRUST_200600_302600_NS6detail15normal_iteratorINS9_10device_ptrIyEEEESE_y11max_functorIyEyEEDaPvRmT3_T4_T5_mT6_P12ihipStream_tbENKUlT_T0_E_clISt17integral_constantIbLb0EESU_EEDaSP_SQ_EUlSP_E0_NS1_11comp_targetILNS1_3genE9ELNS1_11target_archE1100ELNS1_3gpuE3ELNS1_3repE0EEENS1_30default_config_static_selectorELNS0_4arch9wavefront6targetE1EEEvT1_
		.amdhsa_group_segment_fixed_size 0
		.amdhsa_private_segment_fixed_size 0
		.amdhsa_kernarg_size 40
		.amdhsa_user_sgpr_count 6
		.amdhsa_user_sgpr_private_segment_buffer 1
		.amdhsa_user_sgpr_dispatch_ptr 0
		.amdhsa_user_sgpr_queue_ptr 0
		.amdhsa_user_sgpr_kernarg_segment_ptr 1
		.amdhsa_user_sgpr_dispatch_id 0
		.amdhsa_user_sgpr_flat_scratch_init 0
		.amdhsa_user_sgpr_kernarg_preload_length 0
		.amdhsa_user_sgpr_kernarg_preload_offset 0
		.amdhsa_user_sgpr_private_segment_size 0
		.amdhsa_uses_dynamic_stack 0
		.amdhsa_system_sgpr_private_segment_wavefront_offset 0
		.amdhsa_system_sgpr_workgroup_id_x 1
		.amdhsa_system_sgpr_workgroup_id_y 0
		.amdhsa_system_sgpr_workgroup_id_z 0
		.amdhsa_system_sgpr_workgroup_info 0
		.amdhsa_system_vgpr_workitem_id 0
		.amdhsa_next_free_vgpr 1
		.amdhsa_next_free_sgpr 0
		.amdhsa_accum_offset 4
		.amdhsa_reserve_vcc 0
		.amdhsa_reserve_flat_scratch 0
		.amdhsa_float_round_mode_32 0
		.amdhsa_float_round_mode_16_64 0
		.amdhsa_float_denorm_mode_32 3
		.amdhsa_float_denorm_mode_16_64 3
		.amdhsa_dx10_clamp 1
		.amdhsa_ieee_mode 1
		.amdhsa_fp16_overflow 0
		.amdhsa_tg_split 0
		.amdhsa_exception_fp_ieee_invalid_op 0
		.amdhsa_exception_fp_denorm_src 0
		.amdhsa_exception_fp_ieee_div_zero 0
		.amdhsa_exception_fp_ieee_overflow 0
		.amdhsa_exception_fp_ieee_underflow 0
		.amdhsa_exception_fp_ieee_inexact 0
		.amdhsa_exception_int_div_zero 0
	.end_amdhsa_kernel
	.section	.text._ZN7rocprim17ROCPRIM_400000_NS6detail17trampoline_kernelINS0_14default_configENS1_20scan_config_selectorIyEEZZNS1_9scan_implILNS1_25lookback_scan_determinismE0ELb0ELb0ES3_N6thrust23THRUST_200600_302600_NS6detail15normal_iteratorINS9_10device_ptrIyEEEESE_y11max_functorIyEyEEDaPvRmT3_T4_T5_mT6_P12ihipStream_tbENKUlT_T0_E_clISt17integral_constantIbLb0EESU_EEDaSP_SQ_EUlSP_E0_NS1_11comp_targetILNS1_3genE9ELNS1_11target_archE1100ELNS1_3gpuE3ELNS1_3repE0EEENS1_30default_config_static_selectorELNS0_4arch9wavefront6targetE1EEEvT1_,"axG",@progbits,_ZN7rocprim17ROCPRIM_400000_NS6detail17trampoline_kernelINS0_14default_configENS1_20scan_config_selectorIyEEZZNS1_9scan_implILNS1_25lookback_scan_determinismE0ELb0ELb0ES3_N6thrust23THRUST_200600_302600_NS6detail15normal_iteratorINS9_10device_ptrIyEEEESE_y11max_functorIyEyEEDaPvRmT3_T4_T5_mT6_P12ihipStream_tbENKUlT_T0_E_clISt17integral_constantIbLb0EESU_EEDaSP_SQ_EUlSP_E0_NS1_11comp_targetILNS1_3genE9ELNS1_11target_archE1100ELNS1_3gpuE3ELNS1_3repE0EEENS1_30default_config_static_selectorELNS0_4arch9wavefront6targetE1EEEvT1_,comdat
.Lfunc_end2113:
	.size	_ZN7rocprim17ROCPRIM_400000_NS6detail17trampoline_kernelINS0_14default_configENS1_20scan_config_selectorIyEEZZNS1_9scan_implILNS1_25lookback_scan_determinismE0ELb0ELb0ES3_N6thrust23THRUST_200600_302600_NS6detail15normal_iteratorINS9_10device_ptrIyEEEESE_y11max_functorIyEyEEDaPvRmT3_T4_T5_mT6_P12ihipStream_tbENKUlT_T0_E_clISt17integral_constantIbLb0EESU_EEDaSP_SQ_EUlSP_E0_NS1_11comp_targetILNS1_3genE9ELNS1_11target_archE1100ELNS1_3gpuE3ELNS1_3repE0EEENS1_30default_config_static_selectorELNS0_4arch9wavefront6targetE1EEEvT1_, .Lfunc_end2113-_ZN7rocprim17ROCPRIM_400000_NS6detail17trampoline_kernelINS0_14default_configENS1_20scan_config_selectorIyEEZZNS1_9scan_implILNS1_25lookback_scan_determinismE0ELb0ELb0ES3_N6thrust23THRUST_200600_302600_NS6detail15normal_iteratorINS9_10device_ptrIyEEEESE_y11max_functorIyEyEEDaPvRmT3_T4_T5_mT6_P12ihipStream_tbENKUlT_T0_E_clISt17integral_constantIbLb0EESU_EEDaSP_SQ_EUlSP_E0_NS1_11comp_targetILNS1_3genE9ELNS1_11target_archE1100ELNS1_3gpuE3ELNS1_3repE0EEENS1_30default_config_static_selectorELNS0_4arch9wavefront6targetE1EEEvT1_
                                        ; -- End function
	.section	.AMDGPU.csdata,"",@progbits
; Kernel info:
; codeLenInByte = 0
; NumSgprs: 4
; NumVgprs: 0
; NumAgprs: 0
; TotalNumVgprs: 0
; ScratchSize: 0
; MemoryBound: 0
; FloatMode: 240
; IeeeMode: 1
; LDSByteSize: 0 bytes/workgroup (compile time only)
; SGPRBlocks: 0
; VGPRBlocks: 0
; NumSGPRsForWavesPerEU: 4
; NumVGPRsForWavesPerEU: 1
; AccumOffset: 4
; Occupancy: 8
; WaveLimiterHint : 0
; COMPUTE_PGM_RSRC2:SCRATCH_EN: 0
; COMPUTE_PGM_RSRC2:USER_SGPR: 6
; COMPUTE_PGM_RSRC2:TRAP_HANDLER: 0
; COMPUTE_PGM_RSRC2:TGID_X_EN: 1
; COMPUTE_PGM_RSRC2:TGID_Y_EN: 0
; COMPUTE_PGM_RSRC2:TGID_Z_EN: 0
; COMPUTE_PGM_RSRC2:TIDIG_COMP_CNT: 0
; COMPUTE_PGM_RSRC3_GFX90A:ACCUM_OFFSET: 0
; COMPUTE_PGM_RSRC3_GFX90A:TG_SPLIT: 0
	.section	.text._ZN7rocprim17ROCPRIM_400000_NS6detail17trampoline_kernelINS0_14default_configENS1_20scan_config_selectorIyEEZZNS1_9scan_implILNS1_25lookback_scan_determinismE0ELb0ELb0ES3_N6thrust23THRUST_200600_302600_NS6detail15normal_iteratorINS9_10device_ptrIyEEEESE_y11max_functorIyEyEEDaPvRmT3_T4_T5_mT6_P12ihipStream_tbENKUlT_T0_E_clISt17integral_constantIbLb0EESU_EEDaSP_SQ_EUlSP_E0_NS1_11comp_targetILNS1_3genE8ELNS1_11target_archE1030ELNS1_3gpuE2ELNS1_3repE0EEENS1_30default_config_static_selectorELNS0_4arch9wavefront6targetE1EEEvT1_,"axG",@progbits,_ZN7rocprim17ROCPRIM_400000_NS6detail17trampoline_kernelINS0_14default_configENS1_20scan_config_selectorIyEEZZNS1_9scan_implILNS1_25lookback_scan_determinismE0ELb0ELb0ES3_N6thrust23THRUST_200600_302600_NS6detail15normal_iteratorINS9_10device_ptrIyEEEESE_y11max_functorIyEyEEDaPvRmT3_T4_T5_mT6_P12ihipStream_tbENKUlT_T0_E_clISt17integral_constantIbLb0EESU_EEDaSP_SQ_EUlSP_E0_NS1_11comp_targetILNS1_3genE8ELNS1_11target_archE1030ELNS1_3gpuE2ELNS1_3repE0EEENS1_30default_config_static_selectorELNS0_4arch9wavefront6targetE1EEEvT1_,comdat
	.protected	_ZN7rocprim17ROCPRIM_400000_NS6detail17trampoline_kernelINS0_14default_configENS1_20scan_config_selectorIyEEZZNS1_9scan_implILNS1_25lookback_scan_determinismE0ELb0ELb0ES3_N6thrust23THRUST_200600_302600_NS6detail15normal_iteratorINS9_10device_ptrIyEEEESE_y11max_functorIyEyEEDaPvRmT3_T4_T5_mT6_P12ihipStream_tbENKUlT_T0_E_clISt17integral_constantIbLb0EESU_EEDaSP_SQ_EUlSP_E0_NS1_11comp_targetILNS1_3genE8ELNS1_11target_archE1030ELNS1_3gpuE2ELNS1_3repE0EEENS1_30default_config_static_selectorELNS0_4arch9wavefront6targetE1EEEvT1_ ; -- Begin function _ZN7rocprim17ROCPRIM_400000_NS6detail17trampoline_kernelINS0_14default_configENS1_20scan_config_selectorIyEEZZNS1_9scan_implILNS1_25lookback_scan_determinismE0ELb0ELb0ES3_N6thrust23THRUST_200600_302600_NS6detail15normal_iteratorINS9_10device_ptrIyEEEESE_y11max_functorIyEyEEDaPvRmT3_T4_T5_mT6_P12ihipStream_tbENKUlT_T0_E_clISt17integral_constantIbLb0EESU_EEDaSP_SQ_EUlSP_E0_NS1_11comp_targetILNS1_3genE8ELNS1_11target_archE1030ELNS1_3gpuE2ELNS1_3repE0EEENS1_30default_config_static_selectorELNS0_4arch9wavefront6targetE1EEEvT1_
	.globl	_ZN7rocprim17ROCPRIM_400000_NS6detail17trampoline_kernelINS0_14default_configENS1_20scan_config_selectorIyEEZZNS1_9scan_implILNS1_25lookback_scan_determinismE0ELb0ELb0ES3_N6thrust23THRUST_200600_302600_NS6detail15normal_iteratorINS9_10device_ptrIyEEEESE_y11max_functorIyEyEEDaPvRmT3_T4_T5_mT6_P12ihipStream_tbENKUlT_T0_E_clISt17integral_constantIbLb0EESU_EEDaSP_SQ_EUlSP_E0_NS1_11comp_targetILNS1_3genE8ELNS1_11target_archE1030ELNS1_3gpuE2ELNS1_3repE0EEENS1_30default_config_static_selectorELNS0_4arch9wavefront6targetE1EEEvT1_
	.p2align	8
	.type	_ZN7rocprim17ROCPRIM_400000_NS6detail17trampoline_kernelINS0_14default_configENS1_20scan_config_selectorIyEEZZNS1_9scan_implILNS1_25lookback_scan_determinismE0ELb0ELb0ES3_N6thrust23THRUST_200600_302600_NS6detail15normal_iteratorINS9_10device_ptrIyEEEESE_y11max_functorIyEyEEDaPvRmT3_T4_T5_mT6_P12ihipStream_tbENKUlT_T0_E_clISt17integral_constantIbLb0EESU_EEDaSP_SQ_EUlSP_E0_NS1_11comp_targetILNS1_3genE8ELNS1_11target_archE1030ELNS1_3gpuE2ELNS1_3repE0EEENS1_30default_config_static_selectorELNS0_4arch9wavefront6targetE1EEEvT1_,@function
_ZN7rocprim17ROCPRIM_400000_NS6detail17trampoline_kernelINS0_14default_configENS1_20scan_config_selectorIyEEZZNS1_9scan_implILNS1_25lookback_scan_determinismE0ELb0ELb0ES3_N6thrust23THRUST_200600_302600_NS6detail15normal_iteratorINS9_10device_ptrIyEEEESE_y11max_functorIyEyEEDaPvRmT3_T4_T5_mT6_P12ihipStream_tbENKUlT_T0_E_clISt17integral_constantIbLb0EESU_EEDaSP_SQ_EUlSP_E0_NS1_11comp_targetILNS1_3genE8ELNS1_11target_archE1030ELNS1_3gpuE2ELNS1_3repE0EEENS1_30default_config_static_selectorELNS0_4arch9wavefront6targetE1EEEvT1_: ; @_ZN7rocprim17ROCPRIM_400000_NS6detail17trampoline_kernelINS0_14default_configENS1_20scan_config_selectorIyEEZZNS1_9scan_implILNS1_25lookback_scan_determinismE0ELb0ELb0ES3_N6thrust23THRUST_200600_302600_NS6detail15normal_iteratorINS9_10device_ptrIyEEEESE_y11max_functorIyEyEEDaPvRmT3_T4_T5_mT6_P12ihipStream_tbENKUlT_T0_E_clISt17integral_constantIbLb0EESU_EEDaSP_SQ_EUlSP_E0_NS1_11comp_targetILNS1_3genE8ELNS1_11target_archE1030ELNS1_3gpuE2ELNS1_3repE0EEENS1_30default_config_static_selectorELNS0_4arch9wavefront6targetE1EEEvT1_
; %bb.0:
	.section	.rodata,"a",@progbits
	.p2align	6, 0x0
	.amdhsa_kernel _ZN7rocprim17ROCPRIM_400000_NS6detail17trampoline_kernelINS0_14default_configENS1_20scan_config_selectorIyEEZZNS1_9scan_implILNS1_25lookback_scan_determinismE0ELb0ELb0ES3_N6thrust23THRUST_200600_302600_NS6detail15normal_iteratorINS9_10device_ptrIyEEEESE_y11max_functorIyEyEEDaPvRmT3_T4_T5_mT6_P12ihipStream_tbENKUlT_T0_E_clISt17integral_constantIbLb0EESU_EEDaSP_SQ_EUlSP_E0_NS1_11comp_targetILNS1_3genE8ELNS1_11target_archE1030ELNS1_3gpuE2ELNS1_3repE0EEENS1_30default_config_static_selectorELNS0_4arch9wavefront6targetE1EEEvT1_
		.amdhsa_group_segment_fixed_size 0
		.amdhsa_private_segment_fixed_size 0
		.amdhsa_kernarg_size 40
		.amdhsa_user_sgpr_count 6
		.amdhsa_user_sgpr_private_segment_buffer 1
		.amdhsa_user_sgpr_dispatch_ptr 0
		.amdhsa_user_sgpr_queue_ptr 0
		.amdhsa_user_sgpr_kernarg_segment_ptr 1
		.amdhsa_user_sgpr_dispatch_id 0
		.amdhsa_user_sgpr_flat_scratch_init 0
		.amdhsa_user_sgpr_kernarg_preload_length 0
		.amdhsa_user_sgpr_kernarg_preload_offset 0
		.amdhsa_user_sgpr_private_segment_size 0
		.amdhsa_uses_dynamic_stack 0
		.amdhsa_system_sgpr_private_segment_wavefront_offset 0
		.amdhsa_system_sgpr_workgroup_id_x 1
		.amdhsa_system_sgpr_workgroup_id_y 0
		.amdhsa_system_sgpr_workgroup_id_z 0
		.amdhsa_system_sgpr_workgroup_info 0
		.amdhsa_system_vgpr_workitem_id 0
		.amdhsa_next_free_vgpr 1
		.amdhsa_next_free_sgpr 0
		.amdhsa_accum_offset 4
		.amdhsa_reserve_vcc 0
		.amdhsa_reserve_flat_scratch 0
		.amdhsa_float_round_mode_32 0
		.amdhsa_float_round_mode_16_64 0
		.amdhsa_float_denorm_mode_32 3
		.amdhsa_float_denorm_mode_16_64 3
		.amdhsa_dx10_clamp 1
		.amdhsa_ieee_mode 1
		.amdhsa_fp16_overflow 0
		.amdhsa_tg_split 0
		.amdhsa_exception_fp_ieee_invalid_op 0
		.amdhsa_exception_fp_denorm_src 0
		.amdhsa_exception_fp_ieee_div_zero 0
		.amdhsa_exception_fp_ieee_overflow 0
		.amdhsa_exception_fp_ieee_underflow 0
		.amdhsa_exception_fp_ieee_inexact 0
		.amdhsa_exception_int_div_zero 0
	.end_amdhsa_kernel
	.section	.text._ZN7rocprim17ROCPRIM_400000_NS6detail17trampoline_kernelINS0_14default_configENS1_20scan_config_selectorIyEEZZNS1_9scan_implILNS1_25lookback_scan_determinismE0ELb0ELb0ES3_N6thrust23THRUST_200600_302600_NS6detail15normal_iteratorINS9_10device_ptrIyEEEESE_y11max_functorIyEyEEDaPvRmT3_T4_T5_mT6_P12ihipStream_tbENKUlT_T0_E_clISt17integral_constantIbLb0EESU_EEDaSP_SQ_EUlSP_E0_NS1_11comp_targetILNS1_3genE8ELNS1_11target_archE1030ELNS1_3gpuE2ELNS1_3repE0EEENS1_30default_config_static_selectorELNS0_4arch9wavefront6targetE1EEEvT1_,"axG",@progbits,_ZN7rocprim17ROCPRIM_400000_NS6detail17trampoline_kernelINS0_14default_configENS1_20scan_config_selectorIyEEZZNS1_9scan_implILNS1_25lookback_scan_determinismE0ELb0ELb0ES3_N6thrust23THRUST_200600_302600_NS6detail15normal_iteratorINS9_10device_ptrIyEEEESE_y11max_functorIyEyEEDaPvRmT3_T4_T5_mT6_P12ihipStream_tbENKUlT_T0_E_clISt17integral_constantIbLb0EESU_EEDaSP_SQ_EUlSP_E0_NS1_11comp_targetILNS1_3genE8ELNS1_11target_archE1030ELNS1_3gpuE2ELNS1_3repE0EEENS1_30default_config_static_selectorELNS0_4arch9wavefront6targetE1EEEvT1_,comdat
.Lfunc_end2114:
	.size	_ZN7rocprim17ROCPRIM_400000_NS6detail17trampoline_kernelINS0_14default_configENS1_20scan_config_selectorIyEEZZNS1_9scan_implILNS1_25lookback_scan_determinismE0ELb0ELb0ES3_N6thrust23THRUST_200600_302600_NS6detail15normal_iteratorINS9_10device_ptrIyEEEESE_y11max_functorIyEyEEDaPvRmT3_T4_T5_mT6_P12ihipStream_tbENKUlT_T0_E_clISt17integral_constantIbLb0EESU_EEDaSP_SQ_EUlSP_E0_NS1_11comp_targetILNS1_3genE8ELNS1_11target_archE1030ELNS1_3gpuE2ELNS1_3repE0EEENS1_30default_config_static_selectorELNS0_4arch9wavefront6targetE1EEEvT1_, .Lfunc_end2114-_ZN7rocprim17ROCPRIM_400000_NS6detail17trampoline_kernelINS0_14default_configENS1_20scan_config_selectorIyEEZZNS1_9scan_implILNS1_25lookback_scan_determinismE0ELb0ELb0ES3_N6thrust23THRUST_200600_302600_NS6detail15normal_iteratorINS9_10device_ptrIyEEEESE_y11max_functorIyEyEEDaPvRmT3_T4_T5_mT6_P12ihipStream_tbENKUlT_T0_E_clISt17integral_constantIbLb0EESU_EEDaSP_SQ_EUlSP_E0_NS1_11comp_targetILNS1_3genE8ELNS1_11target_archE1030ELNS1_3gpuE2ELNS1_3repE0EEENS1_30default_config_static_selectorELNS0_4arch9wavefront6targetE1EEEvT1_
                                        ; -- End function
	.section	.AMDGPU.csdata,"",@progbits
; Kernel info:
; codeLenInByte = 0
; NumSgprs: 4
; NumVgprs: 0
; NumAgprs: 0
; TotalNumVgprs: 0
; ScratchSize: 0
; MemoryBound: 0
; FloatMode: 240
; IeeeMode: 1
; LDSByteSize: 0 bytes/workgroup (compile time only)
; SGPRBlocks: 0
; VGPRBlocks: 0
; NumSGPRsForWavesPerEU: 4
; NumVGPRsForWavesPerEU: 1
; AccumOffset: 4
; Occupancy: 8
; WaveLimiterHint : 0
; COMPUTE_PGM_RSRC2:SCRATCH_EN: 0
; COMPUTE_PGM_RSRC2:USER_SGPR: 6
; COMPUTE_PGM_RSRC2:TRAP_HANDLER: 0
; COMPUTE_PGM_RSRC2:TGID_X_EN: 1
; COMPUTE_PGM_RSRC2:TGID_Y_EN: 0
; COMPUTE_PGM_RSRC2:TGID_Z_EN: 0
; COMPUTE_PGM_RSRC2:TIDIG_COMP_CNT: 0
; COMPUTE_PGM_RSRC3_GFX90A:ACCUM_OFFSET: 0
; COMPUTE_PGM_RSRC3_GFX90A:TG_SPLIT: 0
	.section	.text._ZN7rocprim17ROCPRIM_400000_NS6detail31init_lookback_scan_state_kernelINS1_19lookback_scan_stateIyLb1ELb1EEENS1_16block_id_wrapperIjLb1EEEEEvT_jT0_jPNS7_10value_typeE,"axG",@progbits,_ZN7rocprim17ROCPRIM_400000_NS6detail31init_lookback_scan_state_kernelINS1_19lookback_scan_stateIyLb1ELb1EEENS1_16block_id_wrapperIjLb1EEEEEvT_jT0_jPNS7_10value_typeE,comdat
	.protected	_ZN7rocprim17ROCPRIM_400000_NS6detail31init_lookback_scan_state_kernelINS1_19lookback_scan_stateIyLb1ELb1EEENS1_16block_id_wrapperIjLb1EEEEEvT_jT0_jPNS7_10value_typeE ; -- Begin function _ZN7rocprim17ROCPRIM_400000_NS6detail31init_lookback_scan_state_kernelINS1_19lookback_scan_stateIyLb1ELb1EEENS1_16block_id_wrapperIjLb1EEEEEvT_jT0_jPNS7_10value_typeE
	.globl	_ZN7rocprim17ROCPRIM_400000_NS6detail31init_lookback_scan_state_kernelINS1_19lookback_scan_stateIyLb1ELb1EEENS1_16block_id_wrapperIjLb1EEEEEvT_jT0_jPNS7_10value_typeE
	.p2align	8
	.type	_ZN7rocprim17ROCPRIM_400000_NS6detail31init_lookback_scan_state_kernelINS1_19lookback_scan_stateIyLb1ELb1EEENS1_16block_id_wrapperIjLb1EEEEEvT_jT0_jPNS7_10value_typeE,@function
_ZN7rocprim17ROCPRIM_400000_NS6detail31init_lookback_scan_state_kernelINS1_19lookback_scan_stateIyLb1ELb1EEENS1_16block_id_wrapperIjLb1EEEEEvT_jT0_jPNS7_10value_typeE: ; @_ZN7rocprim17ROCPRIM_400000_NS6detail31init_lookback_scan_state_kernelINS1_19lookback_scan_stateIyLb1ELb1EEENS1_16block_id_wrapperIjLb1EEEEEvT_jT0_jPNS7_10value_typeE
; %bb.0:
	s_load_dword s7, s[4:5], 0x34
	s_load_dwordx2 s[2:3], s[4:5], 0x20
	s_load_dwordx2 s[0:1], s[4:5], 0x0
	s_load_dword s14, s[4:5], 0x8
	s_waitcnt lgkmcnt(0)
	s_and_b32 s7, s7, 0xffff
	s_mul_i32 s6, s6, s7
	s_cmp_eq_u64 s[2:3], 0
	v_add_u32_e32 v0, s6, v0
	s_cbranch_scc1 .LBB2115_10
; %bb.1:
	s_load_dword s8, s[4:5], 0x18
	s_mov_b32 s9, 0
	s_waitcnt lgkmcnt(0)
	s_cmp_lt_u32 s8, s14
	s_cselect_b32 s6, s8, 0
	v_cmp_eq_u32_e32 vcc, s6, v0
	s_and_saveexec_b64 s[6:7], vcc
	s_cbranch_execz .LBB2115_9
; %bb.2:
	s_add_i32 s8, s8, 64
	s_lshl_b64 s[8:9], s[8:9], 4
	s_add_u32 s12, s0, s8
	s_addc_u32 s13, s1, s9
	v_pk_mov_b32 v[2:3], s[12:13], s[12:13] op_sel:[0,1]
	;;#ASMSTART
	global_load_dwordx4 v[2:5], v[2:3] off glc	
s_waitcnt vmcnt(0)
	;;#ASMEND
	v_mov_b32_e32 v7, 0
	v_and_b32_e32 v6, 0xff, v4
	s_mov_b64 s[10:11], 0
	v_cmp_eq_u64_e32 vcc, 0, v[6:7]
	s_and_saveexec_b64 s[8:9], vcc
	s_cbranch_execz .LBB2115_8
; %bb.3:
	s_mov_b32 s15, 1
	v_pk_mov_b32 v[8:9], s[12:13], s[12:13] op_sel:[0,1]
.LBB2115_4:                             ; =>This Loop Header: Depth=1
                                        ;     Child Loop BB2115_5 Depth 2
	s_max_u32 s12, s15, 1
.LBB2115_5:                             ;   Parent Loop BB2115_4 Depth=1
                                        ; =>  This Inner Loop Header: Depth=2
	s_add_i32 s12, s12, -1
	s_cmp_eq_u32 s12, 0
	s_sleep 1
	s_cbranch_scc0 .LBB2115_5
; %bb.6:                                ;   in Loop: Header=BB2115_4 Depth=1
	s_cmp_lt_u32 s15, 32
	s_cselect_b64 s[12:13], -1, 0
	s_cmp_lg_u64 s[12:13], 0
	;;#ASMSTART
	global_load_dwordx4 v[2:5], v[8:9] off glc	
s_waitcnt vmcnt(0)
	;;#ASMEND
	v_and_b32_e32 v6, 0xff, v4
	s_addc_u32 s15, s15, 0
	v_cmp_ne_u64_e32 vcc, 0, v[6:7]
	s_or_b64 s[10:11], vcc, s[10:11]
	s_andn2_b64 exec, exec, s[10:11]
	s_cbranch_execnz .LBB2115_4
; %bb.7:
	s_or_b64 exec, exec, s[10:11]
.LBB2115_8:
	s_or_b64 exec, exec, s[8:9]
	v_mov_b32_e32 v1, 0
	global_store_dwordx2 v1, v[2:3], s[2:3]
.LBB2115_9:
	s_or_b64 exec, exec, s[6:7]
.LBB2115_10:
	v_cmp_eq_u32_e32 vcc, 0, v0
	s_and_saveexec_b64 s[2:3], vcc
	s_cbranch_execnz .LBB2115_14
; %bb.11:
	s_or_b64 exec, exec, s[2:3]
	v_cmp_gt_u32_e32 vcc, s14, v0
	s_and_saveexec_b64 s[2:3], vcc
	s_cbranch_execnz .LBB2115_15
.LBB2115_12:
	s_or_b64 exec, exec, s[2:3]
	v_cmp_gt_u32_e32 vcc, 64, v0
	s_and_saveexec_b64 s[2:3], vcc
	s_cbranch_execnz .LBB2115_16
.LBB2115_13:
	s_endpgm
.LBB2115_14:
	s_load_dwordx2 s[4:5], s[4:5], 0x10
	v_mov_b32_e32 v1, 0
	s_waitcnt lgkmcnt(0)
	global_store_dword v1, v1, s[4:5]
	s_or_b64 exec, exec, s[2:3]
	v_cmp_gt_u32_e32 vcc, s14, v0
	s_and_saveexec_b64 s[2:3], vcc
	s_cbranch_execz .LBB2115_12
.LBB2115_15:
	v_add_u32_e32 v2, 64, v0
	v_mov_b32_e32 v3, 0
	v_lshlrev_b64 v[4:5], 4, v[2:3]
	v_mov_b32_e32 v1, s1
	v_add_co_u32_e32 v6, vcc, s0, v4
	v_addc_co_u32_e32 v7, vcc, v1, v5, vcc
	v_mov_b32_e32 v2, v3
	v_mov_b32_e32 v4, v3
	;; [unrolled: 1-line block ×3, first 2 shown]
	global_store_dwordx4 v[6:7], v[2:5], off
	s_or_b64 exec, exec, s[2:3]
	v_cmp_gt_u32_e32 vcc, 64, v0
	s_and_saveexec_b64 s[2:3], vcc
	s_cbranch_execz .LBB2115_13
.LBB2115_16:
	v_mov_b32_e32 v1, 0
	v_lshlrev_b64 v[2:3], 4, v[0:1]
	v_mov_b32_e32 v0, s1
	v_add_co_u32_e32 v4, vcc, s0, v2
	v_addc_co_u32_e32 v5, vcc, v0, v3, vcc
	v_mov_b32_e32 v2, 0xff
	v_mov_b32_e32 v0, v1
	v_mov_b32_e32 v3, v1
	global_store_dwordx4 v[4:5], v[0:3], off
	s_endpgm
	.section	.rodata,"a",@progbits
	.p2align	6, 0x0
	.amdhsa_kernel _ZN7rocprim17ROCPRIM_400000_NS6detail31init_lookback_scan_state_kernelINS1_19lookback_scan_stateIyLb1ELb1EEENS1_16block_id_wrapperIjLb1EEEEEvT_jT0_jPNS7_10value_typeE
		.amdhsa_group_segment_fixed_size 0
		.amdhsa_private_segment_fixed_size 0
		.amdhsa_kernarg_size 296
		.amdhsa_user_sgpr_count 6
		.amdhsa_user_sgpr_private_segment_buffer 1
		.amdhsa_user_sgpr_dispatch_ptr 0
		.amdhsa_user_sgpr_queue_ptr 0
		.amdhsa_user_sgpr_kernarg_segment_ptr 1
		.amdhsa_user_sgpr_dispatch_id 0
		.amdhsa_user_sgpr_flat_scratch_init 0
		.amdhsa_user_sgpr_kernarg_preload_length 0
		.amdhsa_user_sgpr_kernarg_preload_offset 0
		.amdhsa_user_sgpr_private_segment_size 0
		.amdhsa_uses_dynamic_stack 0
		.amdhsa_system_sgpr_private_segment_wavefront_offset 0
		.amdhsa_system_sgpr_workgroup_id_x 1
		.amdhsa_system_sgpr_workgroup_id_y 0
		.amdhsa_system_sgpr_workgroup_id_z 0
		.amdhsa_system_sgpr_workgroup_info 0
		.amdhsa_system_vgpr_workitem_id 0
		.amdhsa_next_free_vgpr 10
		.amdhsa_next_free_sgpr 16
		.amdhsa_accum_offset 12
		.amdhsa_reserve_vcc 1
		.amdhsa_reserve_flat_scratch 0
		.amdhsa_float_round_mode_32 0
		.amdhsa_float_round_mode_16_64 0
		.amdhsa_float_denorm_mode_32 3
		.amdhsa_float_denorm_mode_16_64 3
		.amdhsa_dx10_clamp 1
		.amdhsa_ieee_mode 1
		.amdhsa_fp16_overflow 0
		.amdhsa_tg_split 0
		.amdhsa_exception_fp_ieee_invalid_op 0
		.amdhsa_exception_fp_denorm_src 0
		.amdhsa_exception_fp_ieee_div_zero 0
		.amdhsa_exception_fp_ieee_overflow 0
		.amdhsa_exception_fp_ieee_underflow 0
		.amdhsa_exception_fp_ieee_inexact 0
		.amdhsa_exception_int_div_zero 0
	.end_amdhsa_kernel
	.section	.text._ZN7rocprim17ROCPRIM_400000_NS6detail31init_lookback_scan_state_kernelINS1_19lookback_scan_stateIyLb1ELb1EEENS1_16block_id_wrapperIjLb1EEEEEvT_jT0_jPNS7_10value_typeE,"axG",@progbits,_ZN7rocprim17ROCPRIM_400000_NS6detail31init_lookback_scan_state_kernelINS1_19lookback_scan_stateIyLb1ELb1EEENS1_16block_id_wrapperIjLb1EEEEEvT_jT0_jPNS7_10value_typeE,comdat
.Lfunc_end2115:
	.size	_ZN7rocprim17ROCPRIM_400000_NS6detail31init_lookback_scan_state_kernelINS1_19lookback_scan_stateIyLb1ELb1EEENS1_16block_id_wrapperIjLb1EEEEEvT_jT0_jPNS7_10value_typeE, .Lfunc_end2115-_ZN7rocprim17ROCPRIM_400000_NS6detail31init_lookback_scan_state_kernelINS1_19lookback_scan_stateIyLb1ELb1EEENS1_16block_id_wrapperIjLb1EEEEEvT_jT0_jPNS7_10value_typeE
                                        ; -- End function
	.section	.AMDGPU.csdata,"",@progbits
; Kernel info:
; codeLenInByte = 480
; NumSgprs: 20
; NumVgprs: 10
; NumAgprs: 0
; TotalNumVgprs: 10
; ScratchSize: 0
; MemoryBound: 0
; FloatMode: 240
; IeeeMode: 1
; LDSByteSize: 0 bytes/workgroup (compile time only)
; SGPRBlocks: 2
; VGPRBlocks: 1
; NumSGPRsForWavesPerEU: 20
; NumVGPRsForWavesPerEU: 10
; AccumOffset: 12
; Occupancy: 8
; WaveLimiterHint : 0
; COMPUTE_PGM_RSRC2:SCRATCH_EN: 0
; COMPUTE_PGM_RSRC2:USER_SGPR: 6
; COMPUTE_PGM_RSRC2:TRAP_HANDLER: 0
; COMPUTE_PGM_RSRC2:TGID_X_EN: 1
; COMPUTE_PGM_RSRC2:TGID_Y_EN: 0
; COMPUTE_PGM_RSRC2:TGID_Z_EN: 0
; COMPUTE_PGM_RSRC2:TIDIG_COMP_CNT: 0
; COMPUTE_PGM_RSRC3_GFX90A:ACCUM_OFFSET: 2
; COMPUTE_PGM_RSRC3_GFX90A:TG_SPLIT: 0
	.section	.text._ZN7rocprim17ROCPRIM_400000_NS6detail17trampoline_kernelINS0_14default_configENS1_20scan_config_selectorIyEEZZNS1_9scan_implILNS1_25lookback_scan_determinismE0ELb0ELb0ES3_N6thrust23THRUST_200600_302600_NS6detail15normal_iteratorINS9_10device_ptrIyEEEESE_y11max_functorIyEyEEDaPvRmT3_T4_T5_mT6_P12ihipStream_tbENKUlT_T0_E_clISt17integral_constantIbLb1EESU_EEDaSP_SQ_EUlSP_E_NS1_11comp_targetILNS1_3genE0ELNS1_11target_archE4294967295ELNS1_3gpuE0ELNS1_3repE0EEENS1_30default_config_static_selectorELNS0_4arch9wavefront6targetE1EEEvT1_,"axG",@progbits,_ZN7rocprim17ROCPRIM_400000_NS6detail17trampoline_kernelINS0_14default_configENS1_20scan_config_selectorIyEEZZNS1_9scan_implILNS1_25lookback_scan_determinismE0ELb0ELb0ES3_N6thrust23THRUST_200600_302600_NS6detail15normal_iteratorINS9_10device_ptrIyEEEESE_y11max_functorIyEyEEDaPvRmT3_T4_T5_mT6_P12ihipStream_tbENKUlT_T0_E_clISt17integral_constantIbLb1EESU_EEDaSP_SQ_EUlSP_E_NS1_11comp_targetILNS1_3genE0ELNS1_11target_archE4294967295ELNS1_3gpuE0ELNS1_3repE0EEENS1_30default_config_static_selectorELNS0_4arch9wavefront6targetE1EEEvT1_,comdat
	.protected	_ZN7rocprim17ROCPRIM_400000_NS6detail17trampoline_kernelINS0_14default_configENS1_20scan_config_selectorIyEEZZNS1_9scan_implILNS1_25lookback_scan_determinismE0ELb0ELb0ES3_N6thrust23THRUST_200600_302600_NS6detail15normal_iteratorINS9_10device_ptrIyEEEESE_y11max_functorIyEyEEDaPvRmT3_T4_T5_mT6_P12ihipStream_tbENKUlT_T0_E_clISt17integral_constantIbLb1EESU_EEDaSP_SQ_EUlSP_E_NS1_11comp_targetILNS1_3genE0ELNS1_11target_archE4294967295ELNS1_3gpuE0ELNS1_3repE0EEENS1_30default_config_static_selectorELNS0_4arch9wavefront6targetE1EEEvT1_ ; -- Begin function _ZN7rocprim17ROCPRIM_400000_NS6detail17trampoline_kernelINS0_14default_configENS1_20scan_config_selectorIyEEZZNS1_9scan_implILNS1_25lookback_scan_determinismE0ELb0ELb0ES3_N6thrust23THRUST_200600_302600_NS6detail15normal_iteratorINS9_10device_ptrIyEEEESE_y11max_functorIyEyEEDaPvRmT3_T4_T5_mT6_P12ihipStream_tbENKUlT_T0_E_clISt17integral_constantIbLb1EESU_EEDaSP_SQ_EUlSP_E_NS1_11comp_targetILNS1_3genE0ELNS1_11target_archE4294967295ELNS1_3gpuE0ELNS1_3repE0EEENS1_30default_config_static_selectorELNS0_4arch9wavefront6targetE1EEEvT1_
	.globl	_ZN7rocprim17ROCPRIM_400000_NS6detail17trampoline_kernelINS0_14default_configENS1_20scan_config_selectorIyEEZZNS1_9scan_implILNS1_25lookback_scan_determinismE0ELb0ELb0ES3_N6thrust23THRUST_200600_302600_NS6detail15normal_iteratorINS9_10device_ptrIyEEEESE_y11max_functorIyEyEEDaPvRmT3_T4_T5_mT6_P12ihipStream_tbENKUlT_T0_E_clISt17integral_constantIbLb1EESU_EEDaSP_SQ_EUlSP_E_NS1_11comp_targetILNS1_3genE0ELNS1_11target_archE4294967295ELNS1_3gpuE0ELNS1_3repE0EEENS1_30default_config_static_selectorELNS0_4arch9wavefront6targetE1EEEvT1_
	.p2align	8
	.type	_ZN7rocprim17ROCPRIM_400000_NS6detail17trampoline_kernelINS0_14default_configENS1_20scan_config_selectorIyEEZZNS1_9scan_implILNS1_25lookback_scan_determinismE0ELb0ELb0ES3_N6thrust23THRUST_200600_302600_NS6detail15normal_iteratorINS9_10device_ptrIyEEEESE_y11max_functorIyEyEEDaPvRmT3_T4_T5_mT6_P12ihipStream_tbENKUlT_T0_E_clISt17integral_constantIbLb1EESU_EEDaSP_SQ_EUlSP_E_NS1_11comp_targetILNS1_3genE0ELNS1_11target_archE4294967295ELNS1_3gpuE0ELNS1_3repE0EEENS1_30default_config_static_selectorELNS0_4arch9wavefront6targetE1EEEvT1_,@function
_ZN7rocprim17ROCPRIM_400000_NS6detail17trampoline_kernelINS0_14default_configENS1_20scan_config_selectorIyEEZZNS1_9scan_implILNS1_25lookback_scan_determinismE0ELb0ELb0ES3_N6thrust23THRUST_200600_302600_NS6detail15normal_iteratorINS9_10device_ptrIyEEEESE_y11max_functorIyEyEEDaPvRmT3_T4_T5_mT6_P12ihipStream_tbENKUlT_T0_E_clISt17integral_constantIbLb1EESU_EEDaSP_SQ_EUlSP_E_NS1_11comp_targetILNS1_3genE0ELNS1_11target_archE4294967295ELNS1_3gpuE0ELNS1_3repE0EEENS1_30default_config_static_selectorELNS0_4arch9wavefront6targetE1EEEvT1_: ; @_ZN7rocprim17ROCPRIM_400000_NS6detail17trampoline_kernelINS0_14default_configENS1_20scan_config_selectorIyEEZZNS1_9scan_implILNS1_25lookback_scan_determinismE0ELb0ELb0ES3_N6thrust23THRUST_200600_302600_NS6detail15normal_iteratorINS9_10device_ptrIyEEEESE_y11max_functorIyEyEEDaPvRmT3_T4_T5_mT6_P12ihipStream_tbENKUlT_T0_E_clISt17integral_constantIbLb1EESU_EEDaSP_SQ_EUlSP_E_NS1_11comp_targetILNS1_3genE0ELNS1_11target_archE4294967295ELNS1_3gpuE0ELNS1_3repE0EEENS1_30default_config_static_selectorELNS0_4arch9wavefront6targetE1EEEvT1_
; %bb.0:
	.section	.rodata,"a",@progbits
	.p2align	6, 0x0
	.amdhsa_kernel _ZN7rocprim17ROCPRIM_400000_NS6detail17trampoline_kernelINS0_14default_configENS1_20scan_config_selectorIyEEZZNS1_9scan_implILNS1_25lookback_scan_determinismE0ELb0ELb0ES3_N6thrust23THRUST_200600_302600_NS6detail15normal_iteratorINS9_10device_ptrIyEEEESE_y11max_functorIyEyEEDaPvRmT3_T4_T5_mT6_P12ihipStream_tbENKUlT_T0_E_clISt17integral_constantIbLb1EESU_EEDaSP_SQ_EUlSP_E_NS1_11comp_targetILNS1_3genE0ELNS1_11target_archE4294967295ELNS1_3gpuE0ELNS1_3repE0EEENS1_30default_config_static_selectorELNS0_4arch9wavefront6targetE1EEEvT1_
		.amdhsa_group_segment_fixed_size 0
		.amdhsa_private_segment_fixed_size 0
		.amdhsa_kernarg_size 104
		.amdhsa_user_sgpr_count 6
		.amdhsa_user_sgpr_private_segment_buffer 1
		.amdhsa_user_sgpr_dispatch_ptr 0
		.amdhsa_user_sgpr_queue_ptr 0
		.amdhsa_user_sgpr_kernarg_segment_ptr 1
		.amdhsa_user_sgpr_dispatch_id 0
		.amdhsa_user_sgpr_flat_scratch_init 0
		.amdhsa_user_sgpr_kernarg_preload_length 0
		.amdhsa_user_sgpr_kernarg_preload_offset 0
		.amdhsa_user_sgpr_private_segment_size 0
		.amdhsa_uses_dynamic_stack 0
		.amdhsa_system_sgpr_private_segment_wavefront_offset 0
		.amdhsa_system_sgpr_workgroup_id_x 1
		.amdhsa_system_sgpr_workgroup_id_y 0
		.amdhsa_system_sgpr_workgroup_id_z 0
		.amdhsa_system_sgpr_workgroup_info 0
		.amdhsa_system_vgpr_workitem_id 0
		.amdhsa_next_free_vgpr 1
		.amdhsa_next_free_sgpr 0
		.amdhsa_accum_offset 4
		.amdhsa_reserve_vcc 0
		.amdhsa_reserve_flat_scratch 0
		.amdhsa_float_round_mode_32 0
		.amdhsa_float_round_mode_16_64 0
		.amdhsa_float_denorm_mode_32 3
		.amdhsa_float_denorm_mode_16_64 3
		.amdhsa_dx10_clamp 1
		.amdhsa_ieee_mode 1
		.amdhsa_fp16_overflow 0
		.amdhsa_tg_split 0
		.amdhsa_exception_fp_ieee_invalid_op 0
		.amdhsa_exception_fp_denorm_src 0
		.amdhsa_exception_fp_ieee_div_zero 0
		.amdhsa_exception_fp_ieee_overflow 0
		.amdhsa_exception_fp_ieee_underflow 0
		.amdhsa_exception_fp_ieee_inexact 0
		.amdhsa_exception_int_div_zero 0
	.end_amdhsa_kernel
	.section	.text._ZN7rocprim17ROCPRIM_400000_NS6detail17trampoline_kernelINS0_14default_configENS1_20scan_config_selectorIyEEZZNS1_9scan_implILNS1_25lookback_scan_determinismE0ELb0ELb0ES3_N6thrust23THRUST_200600_302600_NS6detail15normal_iteratorINS9_10device_ptrIyEEEESE_y11max_functorIyEyEEDaPvRmT3_T4_T5_mT6_P12ihipStream_tbENKUlT_T0_E_clISt17integral_constantIbLb1EESU_EEDaSP_SQ_EUlSP_E_NS1_11comp_targetILNS1_3genE0ELNS1_11target_archE4294967295ELNS1_3gpuE0ELNS1_3repE0EEENS1_30default_config_static_selectorELNS0_4arch9wavefront6targetE1EEEvT1_,"axG",@progbits,_ZN7rocprim17ROCPRIM_400000_NS6detail17trampoline_kernelINS0_14default_configENS1_20scan_config_selectorIyEEZZNS1_9scan_implILNS1_25lookback_scan_determinismE0ELb0ELb0ES3_N6thrust23THRUST_200600_302600_NS6detail15normal_iteratorINS9_10device_ptrIyEEEESE_y11max_functorIyEyEEDaPvRmT3_T4_T5_mT6_P12ihipStream_tbENKUlT_T0_E_clISt17integral_constantIbLb1EESU_EEDaSP_SQ_EUlSP_E_NS1_11comp_targetILNS1_3genE0ELNS1_11target_archE4294967295ELNS1_3gpuE0ELNS1_3repE0EEENS1_30default_config_static_selectorELNS0_4arch9wavefront6targetE1EEEvT1_,comdat
.Lfunc_end2116:
	.size	_ZN7rocprim17ROCPRIM_400000_NS6detail17trampoline_kernelINS0_14default_configENS1_20scan_config_selectorIyEEZZNS1_9scan_implILNS1_25lookback_scan_determinismE0ELb0ELb0ES3_N6thrust23THRUST_200600_302600_NS6detail15normal_iteratorINS9_10device_ptrIyEEEESE_y11max_functorIyEyEEDaPvRmT3_T4_T5_mT6_P12ihipStream_tbENKUlT_T0_E_clISt17integral_constantIbLb1EESU_EEDaSP_SQ_EUlSP_E_NS1_11comp_targetILNS1_3genE0ELNS1_11target_archE4294967295ELNS1_3gpuE0ELNS1_3repE0EEENS1_30default_config_static_selectorELNS0_4arch9wavefront6targetE1EEEvT1_, .Lfunc_end2116-_ZN7rocprim17ROCPRIM_400000_NS6detail17trampoline_kernelINS0_14default_configENS1_20scan_config_selectorIyEEZZNS1_9scan_implILNS1_25lookback_scan_determinismE0ELb0ELb0ES3_N6thrust23THRUST_200600_302600_NS6detail15normal_iteratorINS9_10device_ptrIyEEEESE_y11max_functorIyEyEEDaPvRmT3_T4_T5_mT6_P12ihipStream_tbENKUlT_T0_E_clISt17integral_constantIbLb1EESU_EEDaSP_SQ_EUlSP_E_NS1_11comp_targetILNS1_3genE0ELNS1_11target_archE4294967295ELNS1_3gpuE0ELNS1_3repE0EEENS1_30default_config_static_selectorELNS0_4arch9wavefront6targetE1EEEvT1_
                                        ; -- End function
	.section	.AMDGPU.csdata,"",@progbits
; Kernel info:
; codeLenInByte = 0
; NumSgprs: 4
; NumVgprs: 0
; NumAgprs: 0
; TotalNumVgprs: 0
; ScratchSize: 0
; MemoryBound: 0
; FloatMode: 240
; IeeeMode: 1
; LDSByteSize: 0 bytes/workgroup (compile time only)
; SGPRBlocks: 0
; VGPRBlocks: 0
; NumSGPRsForWavesPerEU: 4
; NumVGPRsForWavesPerEU: 1
; AccumOffset: 4
; Occupancy: 8
; WaveLimiterHint : 0
; COMPUTE_PGM_RSRC2:SCRATCH_EN: 0
; COMPUTE_PGM_RSRC2:USER_SGPR: 6
; COMPUTE_PGM_RSRC2:TRAP_HANDLER: 0
; COMPUTE_PGM_RSRC2:TGID_X_EN: 1
; COMPUTE_PGM_RSRC2:TGID_Y_EN: 0
; COMPUTE_PGM_RSRC2:TGID_Z_EN: 0
; COMPUTE_PGM_RSRC2:TIDIG_COMP_CNT: 0
; COMPUTE_PGM_RSRC3_GFX90A:ACCUM_OFFSET: 0
; COMPUTE_PGM_RSRC3_GFX90A:TG_SPLIT: 0
	.section	.text._ZN7rocprim17ROCPRIM_400000_NS6detail17trampoline_kernelINS0_14default_configENS1_20scan_config_selectorIyEEZZNS1_9scan_implILNS1_25lookback_scan_determinismE0ELb0ELb0ES3_N6thrust23THRUST_200600_302600_NS6detail15normal_iteratorINS9_10device_ptrIyEEEESE_y11max_functorIyEyEEDaPvRmT3_T4_T5_mT6_P12ihipStream_tbENKUlT_T0_E_clISt17integral_constantIbLb1EESU_EEDaSP_SQ_EUlSP_E_NS1_11comp_targetILNS1_3genE5ELNS1_11target_archE942ELNS1_3gpuE9ELNS1_3repE0EEENS1_30default_config_static_selectorELNS0_4arch9wavefront6targetE1EEEvT1_,"axG",@progbits,_ZN7rocprim17ROCPRIM_400000_NS6detail17trampoline_kernelINS0_14default_configENS1_20scan_config_selectorIyEEZZNS1_9scan_implILNS1_25lookback_scan_determinismE0ELb0ELb0ES3_N6thrust23THRUST_200600_302600_NS6detail15normal_iteratorINS9_10device_ptrIyEEEESE_y11max_functorIyEyEEDaPvRmT3_T4_T5_mT6_P12ihipStream_tbENKUlT_T0_E_clISt17integral_constantIbLb1EESU_EEDaSP_SQ_EUlSP_E_NS1_11comp_targetILNS1_3genE5ELNS1_11target_archE942ELNS1_3gpuE9ELNS1_3repE0EEENS1_30default_config_static_selectorELNS0_4arch9wavefront6targetE1EEEvT1_,comdat
	.protected	_ZN7rocprim17ROCPRIM_400000_NS6detail17trampoline_kernelINS0_14default_configENS1_20scan_config_selectorIyEEZZNS1_9scan_implILNS1_25lookback_scan_determinismE0ELb0ELb0ES3_N6thrust23THRUST_200600_302600_NS6detail15normal_iteratorINS9_10device_ptrIyEEEESE_y11max_functorIyEyEEDaPvRmT3_T4_T5_mT6_P12ihipStream_tbENKUlT_T0_E_clISt17integral_constantIbLb1EESU_EEDaSP_SQ_EUlSP_E_NS1_11comp_targetILNS1_3genE5ELNS1_11target_archE942ELNS1_3gpuE9ELNS1_3repE0EEENS1_30default_config_static_selectorELNS0_4arch9wavefront6targetE1EEEvT1_ ; -- Begin function _ZN7rocprim17ROCPRIM_400000_NS6detail17trampoline_kernelINS0_14default_configENS1_20scan_config_selectorIyEEZZNS1_9scan_implILNS1_25lookback_scan_determinismE0ELb0ELb0ES3_N6thrust23THRUST_200600_302600_NS6detail15normal_iteratorINS9_10device_ptrIyEEEESE_y11max_functorIyEyEEDaPvRmT3_T4_T5_mT6_P12ihipStream_tbENKUlT_T0_E_clISt17integral_constantIbLb1EESU_EEDaSP_SQ_EUlSP_E_NS1_11comp_targetILNS1_3genE5ELNS1_11target_archE942ELNS1_3gpuE9ELNS1_3repE0EEENS1_30default_config_static_selectorELNS0_4arch9wavefront6targetE1EEEvT1_
	.globl	_ZN7rocprim17ROCPRIM_400000_NS6detail17trampoline_kernelINS0_14default_configENS1_20scan_config_selectorIyEEZZNS1_9scan_implILNS1_25lookback_scan_determinismE0ELb0ELb0ES3_N6thrust23THRUST_200600_302600_NS6detail15normal_iteratorINS9_10device_ptrIyEEEESE_y11max_functorIyEyEEDaPvRmT3_T4_T5_mT6_P12ihipStream_tbENKUlT_T0_E_clISt17integral_constantIbLb1EESU_EEDaSP_SQ_EUlSP_E_NS1_11comp_targetILNS1_3genE5ELNS1_11target_archE942ELNS1_3gpuE9ELNS1_3repE0EEENS1_30default_config_static_selectorELNS0_4arch9wavefront6targetE1EEEvT1_
	.p2align	8
	.type	_ZN7rocprim17ROCPRIM_400000_NS6detail17trampoline_kernelINS0_14default_configENS1_20scan_config_selectorIyEEZZNS1_9scan_implILNS1_25lookback_scan_determinismE0ELb0ELb0ES3_N6thrust23THRUST_200600_302600_NS6detail15normal_iteratorINS9_10device_ptrIyEEEESE_y11max_functorIyEyEEDaPvRmT3_T4_T5_mT6_P12ihipStream_tbENKUlT_T0_E_clISt17integral_constantIbLb1EESU_EEDaSP_SQ_EUlSP_E_NS1_11comp_targetILNS1_3genE5ELNS1_11target_archE942ELNS1_3gpuE9ELNS1_3repE0EEENS1_30default_config_static_selectorELNS0_4arch9wavefront6targetE1EEEvT1_,@function
_ZN7rocprim17ROCPRIM_400000_NS6detail17trampoline_kernelINS0_14default_configENS1_20scan_config_selectorIyEEZZNS1_9scan_implILNS1_25lookback_scan_determinismE0ELb0ELb0ES3_N6thrust23THRUST_200600_302600_NS6detail15normal_iteratorINS9_10device_ptrIyEEEESE_y11max_functorIyEyEEDaPvRmT3_T4_T5_mT6_P12ihipStream_tbENKUlT_T0_E_clISt17integral_constantIbLb1EESU_EEDaSP_SQ_EUlSP_E_NS1_11comp_targetILNS1_3genE5ELNS1_11target_archE942ELNS1_3gpuE9ELNS1_3repE0EEENS1_30default_config_static_selectorELNS0_4arch9wavefront6targetE1EEEvT1_: ; @_ZN7rocprim17ROCPRIM_400000_NS6detail17trampoline_kernelINS0_14default_configENS1_20scan_config_selectorIyEEZZNS1_9scan_implILNS1_25lookback_scan_determinismE0ELb0ELb0ES3_N6thrust23THRUST_200600_302600_NS6detail15normal_iteratorINS9_10device_ptrIyEEEESE_y11max_functorIyEyEEDaPvRmT3_T4_T5_mT6_P12ihipStream_tbENKUlT_T0_E_clISt17integral_constantIbLb1EESU_EEDaSP_SQ_EUlSP_E_NS1_11comp_targetILNS1_3genE5ELNS1_11target_archE942ELNS1_3gpuE9ELNS1_3repE0EEENS1_30default_config_static_selectorELNS0_4arch9wavefront6targetE1EEEvT1_
; %bb.0:
	.section	.rodata,"a",@progbits
	.p2align	6, 0x0
	.amdhsa_kernel _ZN7rocprim17ROCPRIM_400000_NS6detail17trampoline_kernelINS0_14default_configENS1_20scan_config_selectorIyEEZZNS1_9scan_implILNS1_25lookback_scan_determinismE0ELb0ELb0ES3_N6thrust23THRUST_200600_302600_NS6detail15normal_iteratorINS9_10device_ptrIyEEEESE_y11max_functorIyEyEEDaPvRmT3_T4_T5_mT6_P12ihipStream_tbENKUlT_T0_E_clISt17integral_constantIbLb1EESU_EEDaSP_SQ_EUlSP_E_NS1_11comp_targetILNS1_3genE5ELNS1_11target_archE942ELNS1_3gpuE9ELNS1_3repE0EEENS1_30default_config_static_selectorELNS0_4arch9wavefront6targetE1EEEvT1_
		.amdhsa_group_segment_fixed_size 0
		.amdhsa_private_segment_fixed_size 0
		.amdhsa_kernarg_size 104
		.amdhsa_user_sgpr_count 6
		.amdhsa_user_sgpr_private_segment_buffer 1
		.amdhsa_user_sgpr_dispatch_ptr 0
		.amdhsa_user_sgpr_queue_ptr 0
		.amdhsa_user_sgpr_kernarg_segment_ptr 1
		.amdhsa_user_sgpr_dispatch_id 0
		.amdhsa_user_sgpr_flat_scratch_init 0
		.amdhsa_user_sgpr_kernarg_preload_length 0
		.amdhsa_user_sgpr_kernarg_preload_offset 0
		.amdhsa_user_sgpr_private_segment_size 0
		.amdhsa_uses_dynamic_stack 0
		.amdhsa_system_sgpr_private_segment_wavefront_offset 0
		.amdhsa_system_sgpr_workgroup_id_x 1
		.amdhsa_system_sgpr_workgroup_id_y 0
		.amdhsa_system_sgpr_workgroup_id_z 0
		.amdhsa_system_sgpr_workgroup_info 0
		.amdhsa_system_vgpr_workitem_id 0
		.amdhsa_next_free_vgpr 1
		.amdhsa_next_free_sgpr 0
		.amdhsa_accum_offset 4
		.amdhsa_reserve_vcc 0
		.amdhsa_reserve_flat_scratch 0
		.amdhsa_float_round_mode_32 0
		.amdhsa_float_round_mode_16_64 0
		.amdhsa_float_denorm_mode_32 3
		.amdhsa_float_denorm_mode_16_64 3
		.amdhsa_dx10_clamp 1
		.amdhsa_ieee_mode 1
		.amdhsa_fp16_overflow 0
		.amdhsa_tg_split 0
		.amdhsa_exception_fp_ieee_invalid_op 0
		.amdhsa_exception_fp_denorm_src 0
		.amdhsa_exception_fp_ieee_div_zero 0
		.amdhsa_exception_fp_ieee_overflow 0
		.amdhsa_exception_fp_ieee_underflow 0
		.amdhsa_exception_fp_ieee_inexact 0
		.amdhsa_exception_int_div_zero 0
	.end_amdhsa_kernel
	.section	.text._ZN7rocprim17ROCPRIM_400000_NS6detail17trampoline_kernelINS0_14default_configENS1_20scan_config_selectorIyEEZZNS1_9scan_implILNS1_25lookback_scan_determinismE0ELb0ELb0ES3_N6thrust23THRUST_200600_302600_NS6detail15normal_iteratorINS9_10device_ptrIyEEEESE_y11max_functorIyEyEEDaPvRmT3_T4_T5_mT6_P12ihipStream_tbENKUlT_T0_E_clISt17integral_constantIbLb1EESU_EEDaSP_SQ_EUlSP_E_NS1_11comp_targetILNS1_3genE5ELNS1_11target_archE942ELNS1_3gpuE9ELNS1_3repE0EEENS1_30default_config_static_selectorELNS0_4arch9wavefront6targetE1EEEvT1_,"axG",@progbits,_ZN7rocprim17ROCPRIM_400000_NS6detail17trampoline_kernelINS0_14default_configENS1_20scan_config_selectorIyEEZZNS1_9scan_implILNS1_25lookback_scan_determinismE0ELb0ELb0ES3_N6thrust23THRUST_200600_302600_NS6detail15normal_iteratorINS9_10device_ptrIyEEEESE_y11max_functorIyEyEEDaPvRmT3_T4_T5_mT6_P12ihipStream_tbENKUlT_T0_E_clISt17integral_constantIbLb1EESU_EEDaSP_SQ_EUlSP_E_NS1_11comp_targetILNS1_3genE5ELNS1_11target_archE942ELNS1_3gpuE9ELNS1_3repE0EEENS1_30default_config_static_selectorELNS0_4arch9wavefront6targetE1EEEvT1_,comdat
.Lfunc_end2117:
	.size	_ZN7rocprim17ROCPRIM_400000_NS6detail17trampoline_kernelINS0_14default_configENS1_20scan_config_selectorIyEEZZNS1_9scan_implILNS1_25lookback_scan_determinismE0ELb0ELb0ES3_N6thrust23THRUST_200600_302600_NS6detail15normal_iteratorINS9_10device_ptrIyEEEESE_y11max_functorIyEyEEDaPvRmT3_T4_T5_mT6_P12ihipStream_tbENKUlT_T0_E_clISt17integral_constantIbLb1EESU_EEDaSP_SQ_EUlSP_E_NS1_11comp_targetILNS1_3genE5ELNS1_11target_archE942ELNS1_3gpuE9ELNS1_3repE0EEENS1_30default_config_static_selectorELNS0_4arch9wavefront6targetE1EEEvT1_, .Lfunc_end2117-_ZN7rocprim17ROCPRIM_400000_NS6detail17trampoline_kernelINS0_14default_configENS1_20scan_config_selectorIyEEZZNS1_9scan_implILNS1_25lookback_scan_determinismE0ELb0ELb0ES3_N6thrust23THRUST_200600_302600_NS6detail15normal_iteratorINS9_10device_ptrIyEEEESE_y11max_functorIyEyEEDaPvRmT3_T4_T5_mT6_P12ihipStream_tbENKUlT_T0_E_clISt17integral_constantIbLb1EESU_EEDaSP_SQ_EUlSP_E_NS1_11comp_targetILNS1_3genE5ELNS1_11target_archE942ELNS1_3gpuE9ELNS1_3repE0EEENS1_30default_config_static_selectorELNS0_4arch9wavefront6targetE1EEEvT1_
                                        ; -- End function
	.section	.AMDGPU.csdata,"",@progbits
; Kernel info:
; codeLenInByte = 0
; NumSgprs: 4
; NumVgprs: 0
; NumAgprs: 0
; TotalNumVgprs: 0
; ScratchSize: 0
; MemoryBound: 0
; FloatMode: 240
; IeeeMode: 1
; LDSByteSize: 0 bytes/workgroup (compile time only)
; SGPRBlocks: 0
; VGPRBlocks: 0
; NumSGPRsForWavesPerEU: 4
; NumVGPRsForWavesPerEU: 1
; AccumOffset: 4
; Occupancy: 8
; WaveLimiterHint : 0
; COMPUTE_PGM_RSRC2:SCRATCH_EN: 0
; COMPUTE_PGM_RSRC2:USER_SGPR: 6
; COMPUTE_PGM_RSRC2:TRAP_HANDLER: 0
; COMPUTE_PGM_RSRC2:TGID_X_EN: 1
; COMPUTE_PGM_RSRC2:TGID_Y_EN: 0
; COMPUTE_PGM_RSRC2:TGID_Z_EN: 0
; COMPUTE_PGM_RSRC2:TIDIG_COMP_CNT: 0
; COMPUTE_PGM_RSRC3_GFX90A:ACCUM_OFFSET: 0
; COMPUTE_PGM_RSRC3_GFX90A:TG_SPLIT: 0
	.section	.text._ZN7rocprim17ROCPRIM_400000_NS6detail17trampoline_kernelINS0_14default_configENS1_20scan_config_selectorIyEEZZNS1_9scan_implILNS1_25lookback_scan_determinismE0ELb0ELb0ES3_N6thrust23THRUST_200600_302600_NS6detail15normal_iteratorINS9_10device_ptrIyEEEESE_y11max_functorIyEyEEDaPvRmT3_T4_T5_mT6_P12ihipStream_tbENKUlT_T0_E_clISt17integral_constantIbLb1EESU_EEDaSP_SQ_EUlSP_E_NS1_11comp_targetILNS1_3genE4ELNS1_11target_archE910ELNS1_3gpuE8ELNS1_3repE0EEENS1_30default_config_static_selectorELNS0_4arch9wavefront6targetE1EEEvT1_,"axG",@progbits,_ZN7rocprim17ROCPRIM_400000_NS6detail17trampoline_kernelINS0_14default_configENS1_20scan_config_selectorIyEEZZNS1_9scan_implILNS1_25lookback_scan_determinismE0ELb0ELb0ES3_N6thrust23THRUST_200600_302600_NS6detail15normal_iteratorINS9_10device_ptrIyEEEESE_y11max_functorIyEyEEDaPvRmT3_T4_T5_mT6_P12ihipStream_tbENKUlT_T0_E_clISt17integral_constantIbLb1EESU_EEDaSP_SQ_EUlSP_E_NS1_11comp_targetILNS1_3genE4ELNS1_11target_archE910ELNS1_3gpuE8ELNS1_3repE0EEENS1_30default_config_static_selectorELNS0_4arch9wavefront6targetE1EEEvT1_,comdat
	.protected	_ZN7rocprim17ROCPRIM_400000_NS6detail17trampoline_kernelINS0_14default_configENS1_20scan_config_selectorIyEEZZNS1_9scan_implILNS1_25lookback_scan_determinismE0ELb0ELb0ES3_N6thrust23THRUST_200600_302600_NS6detail15normal_iteratorINS9_10device_ptrIyEEEESE_y11max_functorIyEyEEDaPvRmT3_T4_T5_mT6_P12ihipStream_tbENKUlT_T0_E_clISt17integral_constantIbLb1EESU_EEDaSP_SQ_EUlSP_E_NS1_11comp_targetILNS1_3genE4ELNS1_11target_archE910ELNS1_3gpuE8ELNS1_3repE0EEENS1_30default_config_static_selectorELNS0_4arch9wavefront6targetE1EEEvT1_ ; -- Begin function _ZN7rocprim17ROCPRIM_400000_NS6detail17trampoline_kernelINS0_14default_configENS1_20scan_config_selectorIyEEZZNS1_9scan_implILNS1_25lookback_scan_determinismE0ELb0ELb0ES3_N6thrust23THRUST_200600_302600_NS6detail15normal_iteratorINS9_10device_ptrIyEEEESE_y11max_functorIyEyEEDaPvRmT3_T4_T5_mT6_P12ihipStream_tbENKUlT_T0_E_clISt17integral_constantIbLb1EESU_EEDaSP_SQ_EUlSP_E_NS1_11comp_targetILNS1_3genE4ELNS1_11target_archE910ELNS1_3gpuE8ELNS1_3repE0EEENS1_30default_config_static_selectorELNS0_4arch9wavefront6targetE1EEEvT1_
	.globl	_ZN7rocprim17ROCPRIM_400000_NS6detail17trampoline_kernelINS0_14default_configENS1_20scan_config_selectorIyEEZZNS1_9scan_implILNS1_25lookback_scan_determinismE0ELb0ELb0ES3_N6thrust23THRUST_200600_302600_NS6detail15normal_iteratorINS9_10device_ptrIyEEEESE_y11max_functorIyEyEEDaPvRmT3_T4_T5_mT6_P12ihipStream_tbENKUlT_T0_E_clISt17integral_constantIbLb1EESU_EEDaSP_SQ_EUlSP_E_NS1_11comp_targetILNS1_3genE4ELNS1_11target_archE910ELNS1_3gpuE8ELNS1_3repE0EEENS1_30default_config_static_selectorELNS0_4arch9wavefront6targetE1EEEvT1_
	.p2align	8
	.type	_ZN7rocprim17ROCPRIM_400000_NS6detail17trampoline_kernelINS0_14default_configENS1_20scan_config_selectorIyEEZZNS1_9scan_implILNS1_25lookback_scan_determinismE0ELb0ELb0ES3_N6thrust23THRUST_200600_302600_NS6detail15normal_iteratorINS9_10device_ptrIyEEEESE_y11max_functorIyEyEEDaPvRmT3_T4_T5_mT6_P12ihipStream_tbENKUlT_T0_E_clISt17integral_constantIbLb1EESU_EEDaSP_SQ_EUlSP_E_NS1_11comp_targetILNS1_3genE4ELNS1_11target_archE910ELNS1_3gpuE8ELNS1_3repE0EEENS1_30default_config_static_selectorELNS0_4arch9wavefront6targetE1EEEvT1_,@function
_ZN7rocprim17ROCPRIM_400000_NS6detail17trampoline_kernelINS0_14default_configENS1_20scan_config_selectorIyEEZZNS1_9scan_implILNS1_25lookback_scan_determinismE0ELb0ELb0ES3_N6thrust23THRUST_200600_302600_NS6detail15normal_iteratorINS9_10device_ptrIyEEEESE_y11max_functorIyEyEEDaPvRmT3_T4_T5_mT6_P12ihipStream_tbENKUlT_T0_E_clISt17integral_constantIbLb1EESU_EEDaSP_SQ_EUlSP_E_NS1_11comp_targetILNS1_3genE4ELNS1_11target_archE910ELNS1_3gpuE8ELNS1_3repE0EEENS1_30default_config_static_selectorELNS0_4arch9wavefront6targetE1EEEvT1_: ; @_ZN7rocprim17ROCPRIM_400000_NS6detail17trampoline_kernelINS0_14default_configENS1_20scan_config_selectorIyEEZZNS1_9scan_implILNS1_25lookback_scan_determinismE0ELb0ELb0ES3_N6thrust23THRUST_200600_302600_NS6detail15normal_iteratorINS9_10device_ptrIyEEEESE_y11max_functorIyEyEEDaPvRmT3_T4_T5_mT6_P12ihipStream_tbENKUlT_T0_E_clISt17integral_constantIbLb1EESU_EEDaSP_SQ_EUlSP_E_NS1_11comp_targetILNS1_3genE4ELNS1_11target_archE910ELNS1_3gpuE8ELNS1_3repE0EEENS1_30default_config_static_selectorELNS0_4arch9wavefront6targetE1EEEvT1_
; %bb.0:
	s_load_dwordx2 s[14:15], s[4:5], 0x30
	v_cmp_ne_u32_e64 s[0:1], 0, v0
	v_cmp_eq_u32_e64 s[2:3], 0, v0
	s_and_saveexec_b64 s[6:7], s[2:3]
	s_cbranch_execz .LBB2118_4
; %bb.1:
	s_mov_b64 s[10:11], exec
	v_mbcnt_lo_u32_b32 v1, s10, 0
	v_mbcnt_hi_u32_b32 v1, s11, v1
	v_cmp_eq_u32_e32 vcc, 0, v1
                                        ; implicit-def: $vgpr2
	s_and_saveexec_b64 s[8:9], vcc
	s_cbranch_execz .LBB2118_3
; %bb.2:
	s_load_dwordx2 s[12:13], s[4:5], 0x60
	s_bcnt1_i32_b64 s10, s[10:11]
	v_mov_b32_e32 v2, 0
	v_mov_b32_e32 v3, s10
	s_waitcnt lgkmcnt(0)
	global_atomic_add v2, v2, v3, s[12:13] glc
.LBB2118_3:
	s_or_b64 exec, exec, s[8:9]
	s_waitcnt vmcnt(0)
	v_readfirstlane_b32 s8, v2
	v_add_u32_e32 v1, s8, v1
	v_mov_b32_e32 v2, 0
	ds_write_b32 v2, v1
.LBB2118_4:
	s_or_b64 exec, exec, s[6:7]
	s_load_dwordx8 s[24:31], s[4:5], 0x0
	s_load_dword s6, s[4:5], 0x38
	s_load_dwordx8 s[16:23], s[4:5], 0x40
	v_mov_b32_e32 v1, 0
	s_waitcnt lgkmcnt(0)
	s_barrier
	ds_read_b32 v1, v1
	s_lshl_b64 s[26:27], s[26:27], 3
	s_add_u32 s7, s24, s26
	s_addc_u32 s8, s25, s27
	s_add_i32 s6, s6, -1
	s_mul_i32 s9, s6, 0x380
	s_sub_u32 s33, s30, s9
	s_waitcnt lgkmcnt(0)
	v_readfirstlane_b32 s37, v1
	s_subb_u32 s36, s31, 0
	s_mul_i32 s4, s37, 0x380
	s_mov_b32 s5, 0
	s_cmp_lg_u32 s37, s6
	s_cselect_b64 s[24:25], -1, 0
	s_lshl_b64 s[30:31], s[4:5], 3
	s_add_u32 s6, s7, s30
	s_addc_u32 s7, s8, s31
	s_mov_b64 s[4:5], -1
	s_and_b64 vcc, exec, s[24:25]
	v_lshlrev_b32_e32 v36, 3, v0
	s_barrier
	s_cbranch_vccz .LBB2118_6
; %bb.5:
	v_mov_b32_e32 v1, s7
	v_add_co_u32_e32 v2, vcc, s6, v36
	v_addc_co_u32_e32 v3, vcc, 0, v1, vcc
	flat_load_dwordx2 v[4:5], v[2:3]
	flat_load_dwordx2 v[6:7], v[2:3] offset:1024
	flat_load_dwordx2 v[8:9], v[2:3] offset:2048
	;; [unrolled: 1-line block ×3, first 2 shown]
	v_add_co_u32_e32 v2, vcc, 0x1000, v2
	v_addc_co_u32_e32 v3, vcc, 0, v3, vcc
	flat_load_dwordx2 v[12:13], v[2:3]
	flat_load_dwordx2 v[14:15], v[2:3] offset:1024
	flat_load_dwordx2 v[16:17], v[2:3] offset:2048
	s_mov_b64 s[4:5], 0
	s_waitcnt vmcnt(0) lgkmcnt(0)
	ds_write2st64_b64 v36, v[4:5], v[6:7] offset1:2
	ds_write2st64_b64 v36, v[8:9], v[10:11] offset0:4 offset1:6
	ds_write2st64_b64 v36, v[12:13], v[14:15] offset0:8 offset1:10
	ds_write_b64 v36, v[16:17] offset:6144
	s_waitcnt lgkmcnt(0)
	s_barrier
.LBB2118_6:
	s_andn2_b64 vcc, exec, s[4:5]
	v_cmp_gt_u32_e64 s[4:5], s33, v0
	s_cbranch_vccnz .LBB2118_22
; %bb.7:
	v_pk_mov_b32 v[2:3], s[6:7], s[6:7] op_sel:[0,1]
	flat_load_dwordx2 v[2:3], v[2:3]
	s_waitcnt vmcnt(0) lgkmcnt(0)
	v_mov_b32_e32 v4, v2
	v_mov_b32_e32 v5, v3
	;; [unrolled: 1-line block ×10, first 2 shown]
	v_pk_mov_b32 v[18:19], v[14:15], v[14:15] op_sel:[0,1]
	v_pk_mov_b32 v[16:17], v[12:13], v[12:13] op_sel:[0,1]
	;; [unrolled: 1-line block ×8, first 2 shown]
	s_and_saveexec_b64 s[8:9], s[4:5]
	s_cbranch_execz .LBB2118_9
; %bb.8:
	v_mov_b32_e32 v1, s7
	v_add_co_u32_e32 v4, vcc, s6, v36
	v_addc_co_u32_e32 v5, vcc, 0, v1, vcc
	flat_load_dwordx2 v[20:21], v[4:5]
	v_mov_b32_e32 v4, v2
	v_mov_b32_e32 v5, v3
	;; [unrolled: 1-line block ×10, first 2 shown]
	v_pk_mov_b32 v[18:19], v[14:15], v[14:15] op_sel:[0,1]
	v_pk_mov_b32 v[16:17], v[12:13], v[12:13] op_sel:[0,1]
	;; [unrolled: 1-line block ×8, first 2 shown]
	s_waitcnt vmcnt(0) lgkmcnt(0)
	v_pk_mov_b32 v[2:3], v[20:21], v[20:21] op_sel:[0,1]
.LBB2118_9:
	s_or_b64 exec, exec, s[8:9]
	v_or_b32_e32 v1, 0x80, v0
	v_cmp_gt_u32_e32 vcc, s33, v1
	s_and_saveexec_b64 s[4:5], vcc
	s_cbranch_execz .LBB2118_11
; %bb.10:
	v_mov_b32_e32 v1, s7
	v_add_co_u32_e32 v4, vcc, s6, v36
	v_addc_co_u32_e32 v5, vcc, 0, v1, vcc
	flat_load_dwordx2 v[6:7], v[4:5] offset:1024
.LBB2118_11:
	s_or_b64 exec, exec, s[4:5]
	v_or_b32_e32 v1, 0x100, v0
	v_cmp_gt_u32_e32 vcc, s33, v1
	s_and_saveexec_b64 s[4:5], vcc
	s_cbranch_execz .LBB2118_13
; %bb.12:
	v_mov_b32_e32 v1, s7
	v_add_co_u32_e32 v4, vcc, s6, v36
	v_addc_co_u32_e32 v5, vcc, 0, v1, vcc
	flat_load_dwordx2 v[8:9], v[4:5] offset:2048
.LBB2118_13:
	;; [unrolled: 11-line block ×3, first 2 shown]
	s_or_b64 exec, exec, s[4:5]
	v_or_b32_e32 v1, 0x200, v0
	v_cmp_gt_u32_e32 vcc, s33, v1
	s_and_saveexec_b64 s[4:5], vcc
	s_cbranch_execz .LBB2118_17
; %bb.16:
	v_lshlrev_b32_e32 v1, 3, v1
	v_mov_b32_e32 v5, s7
	v_add_co_u32_e32 v4, vcc, s6, v1
	v_addc_co_u32_e32 v5, vcc, 0, v5, vcc
	flat_load_dwordx2 v[12:13], v[4:5]
.LBB2118_17:
	s_or_b64 exec, exec, s[4:5]
	v_or_b32_e32 v1, 0x280, v0
	v_cmp_gt_u32_e32 vcc, s33, v1
	s_and_saveexec_b64 s[4:5], vcc
	s_cbranch_execz .LBB2118_19
; %bb.18:
	v_lshlrev_b32_e32 v1, 3, v1
	v_mov_b32_e32 v5, s7
	v_add_co_u32_e32 v4, vcc, s6, v1
	v_addc_co_u32_e32 v5, vcc, 0, v5, vcc
	flat_load_dwordx2 v[14:15], v[4:5]
.LBB2118_19:
	;; [unrolled: 12-line block ×3, first 2 shown]
	s_or_b64 exec, exec, s[4:5]
	s_waitcnt vmcnt(0) lgkmcnt(0)
	ds_write2st64_b64 v36, v[2:3], v[6:7] offset1:2
	ds_write2st64_b64 v36, v[8:9], v[10:11] offset0:4 offset1:6
	ds_write2st64_b64 v36, v[12:13], v[14:15] offset0:8 offset1:10
	ds_write_b64 v36, v[16:17] offset:6144
	s_waitcnt lgkmcnt(0)
	s_barrier
.LBB2118_22:
	v_mul_u32_u24_e32 v37, 7, v0
	v_lshlrev_b32_e32 v38, 3, v37
	ds_read2_b64 v[2:5], v38 offset1:1
	ds_read2_b64 v[10:13], v38 offset0:2 offset1:3
	ds_read2_b64 v[6:9], v38 offset0:4 offset1:5
	ds_read_b64 v[28:29], v38 offset:48
	s_cmp_lg_u32 s37, 0
	v_lshrrev_b32_e32 v1, 5, v0
	v_cmp_gt_u32_e32 vcc, 64, v0
	s_waitcnt lgkmcnt(0)
	s_barrier
	s_cbranch_scc0 .LBB2118_53
; %bb.23:
	v_cmp_gt_u64_e64 s[4:5], v[2:3], v[4:5]
	v_cndmask_b32_e64 v15, v5, v3, s[4:5]
	v_cndmask_b32_e64 v14, v4, v2, s[4:5]
	v_cmp_gt_u64_e64 s[4:5], v[14:15], v[10:11]
	v_cndmask_b32_e64 v15, v11, v15, s[4:5]
	v_cndmask_b32_e64 v14, v10, v14, s[4:5]
	;; [unrolled: 3-line block ×6, first 2 shown]
	v_add_lshl_u32 v14, v1, v0, 3
	ds_write_b64 v14, v[22:23]
	s_waitcnt lgkmcnt(0)
	s_barrier
	s_and_saveexec_b64 s[8:9], vcc
	s_cbranch_execz .LBB2118_27
; %bb.24:
	v_lshlrev_b32_e32 v14, 1, v0
	v_lshrrev_b32_e32 v15, 4, v0
	v_add_lshl_u32 v24, v15, v14, 3
	ds_read2_b64 v[14:17], v24 offset1:1
	v_mbcnt_lo_u32_b32 v18, -1, 0
	v_mbcnt_hi_u32_b32 v25, -1, v18
	v_and_b32_e32 v26, 15, v25
	v_and_b32_e32 v30, 16, v25
	s_waitcnt lgkmcnt(0)
	v_cmp_gt_u64_e64 s[4:5], v[14:15], v[16:17]
	v_cndmask_b32_e64 v17, v17, v15, s[4:5]
	v_cndmask_b32_e64 v16, v16, v14, s[4:5]
	v_cmp_ne_u32_e64 s[6:7], 0, v25
	v_mov_b32_dpp v19, v17 row_shr:1 row_mask:0xf bank_mask:0xf
	v_mov_b32_dpp v18, v16 row_shr:1 row_mask:0xf bank_mask:0xf
	v_cmp_gt_u64_e64 s[4:5], v[18:19], v[16:17]
	v_cndmask_b32_e64 v18, v16, v18, s[4:5]
	v_cndmask_b32_e64 v19, v17, v19, s[4:5]
	v_cmp_eq_u32_e64 s[4:5], 0, v26
	v_cndmask_b32_e64 v19, v19, v17, s[4:5]
	v_cndmask_b32_e64 v18, v18, v16, s[4:5]
	s_nop 0
	v_mov_b32_dpp v21, v19 row_shr:2 row_mask:0xf bank_mask:0xf
	v_mov_b32_dpp v20, v18 row_shr:2 row_mask:0xf bank_mask:0xf
	v_cmp_gt_u64_e64 s[4:5], v[20:21], v[18:19]
	v_cndmask_b32_e64 v20, v18, v20, s[4:5]
	v_cndmask_b32_e64 v21, v19, v21, s[4:5]
	v_cmp_lt_u32_e64 s[4:5], 1, v26
	v_cndmask_b32_e64 v19, v19, v21, s[4:5]
	v_cndmask_b32_e64 v18, v18, v20, s[4:5]
	s_nop 0
	v_mov_b32_dpp v21, v19 row_shr:4 row_mask:0xf bank_mask:0xf
	v_mov_b32_dpp v20, v18 row_shr:4 row_mask:0xf bank_mask:0xf
	v_cmp_gt_u64_e64 s[4:5], v[20:21], v[18:19]
	v_cndmask_b32_e64 v20, v18, v20, s[4:5]
	v_cndmask_b32_e64 v21, v19, v21, s[4:5]
	v_cmp_lt_u32_e64 s[4:5], 3, v26
	;; [unrolled: 9-line block ×3, first 2 shown]
	v_cndmask_b32_e64 v19, v19, v21, s[4:5]
	v_cndmask_b32_e64 v18, v18, v20, s[4:5]
	s_nop 0
	v_mov_b32_dpp v21, v19 row_bcast:15 row_mask:0xf bank_mask:0xf
	v_mov_b32_dpp v20, v18 row_bcast:15 row_mask:0xf bank_mask:0xf
	v_cmp_gt_u64_e64 s[4:5], v[20:21], v[18:19]
	v_cndmask_b32_e64 v26, v19, v21, s[4:5]
	v_cndmask_b32_e64 v27, v18, v20, s[4:5]
	v_cmp_eq_u32_e64 s[4:5], 0, v30
	v_cndmask_b32_e64 v21, v26, v19, s[4:5]
	v_cndmask_b32_e64 v20, v27, v18, s[4:5]
	s_nop 0
	v_mov_b32_dpp v21, v21 row_bcast:31 row_mask:0xf bank_mask:0xf
	v_mov_b32_dpp v20, v20 row_bcast:31 row_mask:0xf bank_mask:0xf
	s_and_saveexec_b64 s[10:11], s[6:7]
; %bb.25:
	v_cndmask_b32_e64 v17, v26, v19, s[4:5]
	v_cndmask_b32_e64 v16, v27, v18, s[4:5]
	v_cmp_lt_u32_e64 s[6:7], 31, v25
	v_cmp_gt_u64_e64 s[4:5], v[20:21], v[16:17]
	s_and_b64 s[4:5], s[6:7], s[4:5]
	v_cndmask_b32_e64 v16, v16, v20, s[4:5]
	v_cndmask_b32_e64 v17, v17, v21, s[4:5]
; %bb.26:
	s_or_b64 exec, exec, s[10:11]
	v_add_u32_e32 v18, -1, v25
	v_and_b32_e32 v19, 64, v25
	v_cmp_lt_i32_e64 s[4:5], v18, v19
	v_cndmask_b32_e64 v18, v18, v25, s[4:5]
	v_lshlrev_b32_e32 v18, 2, v18
	ds_bpermute_b32 v16, v18, v16
	ds_bpermute_b32 v17, v18, v17
	; wave barrier
	s_waitcnt lgkmcnt(0)
	v_cmp_gt_u64_e64 s[4:5], v[16:17], v[14:15]
	v_cndmask_b32_e64 v14, v14, v16, s[4:5]
	v_cndmask_b32_e64 v15, v15, v17, s[4:5]
	v_cndmask_b32_e64 v15, v15, v23, s[2:3]
	v_cndmask_b32_e64 v14, v14, v22, s[2:3]
	ds_write_b64 v24, v[14:15]
	; wave barrier
	ds_read_b64 v[16:17], v24 offset:8
	s_waitcnt lgkmcnt(0)
	v_cmp_gt_u64_e64 s[4:5], v[14:15], v[16:17]
	v_cndmask_b32_e64 v15, v17, v15, s[4:5]
	v_cndmask_b32_e64 v14, v16, v14, s[4:5]
	ds_write_b64 v24, v[14:15] offset:8
.LBB2118_27:
	s_or_b64 exec, exec, s[8:9]
	s_waitcnt lgkmcnt(0)
	s_barrier
	s_and_saveexec_b64 s[4:5], s[0:1]
	s_cbranch_execz .LBB2118_29
; %bb.28:
	v_add_u32_e32 v14, -1, v0
	v_lshrrev_b32_e32 v15, 5, v14
	v_add_lshl_u32 v14, v15, v14, 3
	ds_read_b64 v[22:23], v14
.LBB2118_29:
	s_or_b64 exec, exec, s[4:5]
	s_and_saveexec_b64 s[34:35], vcc
	s_cbranch_execz .LBB2118_52
; %bb.30:
	v_mov_b32_e32 v17, 0
	ds_read_b64 v[14:15], v17 offset:1040
	v_mbcnt_lo_u32_b32 v16, -1, 0
	v_mbcnt_hi_u32_b32 v25, -1, v16
	s_mov_b32 s9, 0
	v_cmp_eq_u32_e64 s[4:5], 0, v25
	s_and_saveexec_b64 s[6:7], s[4:5]
	s_cbranch_execz .LBB2118_32
; %bb.31:
	s_add_i32 s8, s37, 64
	s_lshl_b64 s[8:9], s[8:9], 4
	s_add_u32 s8, s14, s8
	s_addc_u32 s9, s15, s9
	v_mov_b32_e32 v16, 1
	v_pk_mov_b32 v[18:19], s[8:9], s[8:9] op_sel:[0,1]
	s_waitcnt lgkmcnt(0)
	;;#ASMSTART
	global_store_dwordx4 v[18:19], v[14:17] off	
s_waitcnt vmcnt(0)
	;;#ASMEND
.LBB2118_32:
	s_or_b64 exec, exec, s[6:7]
	v_xad_u32 v24, v25, -1, s37
	v_add_u32_e32 v16, 64, v24
	v_lshlrev_b64 v[18:19], 4, v[16:17]
	v_mov_b32_e32 v16, s15
	v_add_co_u32_e32 v26, vcc, s14, v18
	v_addc_co_u32_e32 v27, vcc, v16, v19, vcc
	;;#ASMSTART
	global_load_dwordx4 v[18:21], v[26:27] off glc	
s_waitcnt vmcnt(0)
	;;#ASMEND
	v_and_b32_e32 v16, 0xff, v19
	v_and_b32_e32 v21, 0xff00, v19
	v_or3_b32 v16, 0, v16, v21
	v_or3_b32 v18, v18, 0, 0
	v_and_b32_e32 v21, 0xff000000, v19
	v_and_b32_e32 v19, 0xff0000, v19
	v_or3_b32 v19, v16, v19, v21
	v_or3_b32 v18, v18, 0, 0
	v_cmp_eq_u16_sdwa s[8:9], v20, v17 src0_sel:BYTE_0 src1_sel:DWORD
	s_and_saveexec_b64 s[6:7], s[8:9]
	s_cbranch_execz .LBB2118_38
; %bb.33:
	s_mov_b32 s10, 1
	s_mov_b64 s[8:9], 0
	v_mov_b32_e32 v16, 0
.LBB2118_34:                            ; =>This Loop Header: Depth=1
                                        ;     Child Loop BB2118_35 Depth 2
	s_max_u32 s11, s10, 1
.LBB2118_35:                            ;   Parent Loop BB2118_34 Depth=1
                                        ; =>  This Inner Loop Header: Depth=2
	s_add_i32 s11, s11, -1
	s_cmp_eq_u32 s11, 0
	s_sleep 1
	s_cbranch_scc0 .LBB2118_35
; %bb.36:                               ;   in Loop: Header=BB2118_34 Depth=1
	s_cmp_lt_u32 s10, 32
	s_cselect_b64 s[12:13], -1, 0
	s_cmp_lg_u64 s[12:13], 0
	s_addc_u32 s10, s10, 0
	;;#ASMSTART
	global_load_dwordx4 v[18:21], v[26:27] off glc	
s_waitcnt vmcnt(0)
	;;#ASMEND
	v_cmp_ne_u16_sdwa s[12:13], v20, v16 src0_sel:BYTE_0 src1_sel:DWORD
	s_or_b64 s[8:9], s[12:13], s[8:9]
	s_andn2_b64 exec, exec, s[8:9]
	s_cbranch_execnz .LBB2118_34
; %bb.37:
	s_or_b64 exec, exec, s[8:9]
.LBB2118_38:
	s_or_b64 exec, exec, s[6:7]
	v_and_b32_e32 v33, 63, v25
	v_cmp_ne_u32_e32 vcc, 63, v33
	v_mov_b32_e32 v32, 2
	v_addc_co_u32_e32 v26, vcc, 0, v25, vcc
	v_cmp_eq_u16_sdwa s[6:7], v20, v32 src0_sel:BYTE_0 src1_sel:DWORD
	v_lshlrev_b64 v[16:17], v25, -1
	v_lshlrev_b32_e32 v34, 2, v26
	v_and_b32_e32 v21, s7, v17
	ds_bpermute_b32 v26, v34, v18
	ds_bpermute_b32 v27, v34, v19
	v_or_b32_e32 v21, 0x80000000, v21
	v_and_b32_e32 v30, s6, v16
	v_ffbl_b32_e32 v21, v21
	v_add_u32_e32 v21, 32, v21
	v_ffbl_b32_e32 v30, v30
	v_min_u32_e32 v21, v30, v21
	s_waitcnt lgkmcnt(0)
	v_cmp_gt_u64_e64 s[6:7], v[26:27], v[18:19]
	v_cmp_lt_u32_e32 vcc, v33, v21
	v_cndmask_b32_e64 v26, v18, v26, s[6:7]
	s_and_b64 s[6:7], vcc, s[6:7]
	v_cndmask_b32_e64 v27, v19, v27, s[6:7]
	v_cmp_gt_u32_e64 s[6:7], 62, v33
	v_cndmask_b32_e64 v30, 0, 1, s[6:7]
	v_lshlrev_b32_e32 v30, 1, v30
	v_cndmask_b32_e32 v26, v18, v26, vcc
	v_add_lshl_u32 v35, v30, v25, 2
	ds_bpermute_b32 v30, v35, v26
	ds_bpermute_b32 v31, v35, v27
	v_add_u32_e32 v39, 2, v33
	v_cmp_gt_u32_e64 s[8:9], 56, v33
	v_add_u32_e32 v41, 4, v33
	v_cndmask_b32_e64 v42, 0, 1, s[8:9]
	s_waitcnt lgkmcnt(0)
	v_cmp_gt_u64_e64 s[6:7], v[30:31], v[26:27]
	v_cndmask_b32_e64 v31, v27, v31, s[6:7]
	v_cndmask_b32_e64 v30, v26, v30, s[6:7]
	v_cmp_gt_u32_e64 s[6:7], v39, v21
	v_cndmask_b32_e64 v26, v30, v26, s[6:7]
	v_cndmask_b32_e64 v27, v31, v27, s[6:7]
	v_cmp_gt_u32_e64 s[6:7], 60, v33
	v_cndmask_b32_e64 v30, 0, 1, s[6:7]
	v_lshlrev_b32_e32 v30, 2, v30
	v_add_lshl_u32 v40, v30, v25, 2
	ds_bpermute_b32 v30, v40, v26
	ds_bpermute_b32 v31, v40, v27
	v_lshlrev_b32_e32 v42, 3, v42
	v_add_lshl_u32 v42, v42, v25, 2
	v_cmp_gt_u32_e64 s[10:11], 48, v33
	v_add_u32_e32 v43, 8, v33
	s_waitcnt lgkmcnt(0)
	v_cmp_gt_u64_e64 s[6:7], v[30:31], v[26:27]
	v_cndmask_b32_e64 v50, v27, v31, s[6:7]
	v_cndmask_b32_e64 v51, v26, v30, s[6:7]
	v_cmp_gt_u32_e64 s[6:7], v41, v21
	v_cndmask_b32_e64 v30, v51, v26, s[6:7]
	v_cndmask_b32_e64 v31, v50, v27, s[6:7]
	ds_bpermute_b32 v44, v42, v30
	ds_bpermute_b32 v45, v42, v31
	v_cmp_gt_u32_e64 s[12:13], 32, v33
	v_cndmask_b32_e32 v19, v19, v27, vcc
	v_cndmask_b32_e32 v18, v18, v26, vcc
	v_cndmask_b32_e64 v18, v51, v18, s[6:7]
	s_waitcnt lgkmcnt(0)
	v_cmp_gt_u64_e64 s[8:9], v[44:45], v[30:31]
	v_cndmask_b32_e64 v53, v30, v44, s[8:9]
	v_cndmask_b32_e64 v44, 0, 1, s[10:11]
	;; [unrolled: 1-line block ×3, first 2 shown]
	v_cmp_gt_u32_e64 s[8:9], v43, v21
	v_lshlrev_b32_e32 v44, 4, v44
	v_cndmask_b32_e64 v30, v53, v30, s[8:9]
	v_cndmask_b32_e64 v31, v52, v31, s[8:9]
	v_add_lshl_u32 v44, v44, v25, 2
	ds_bpermute_b32 v46, v44, v30
	ds_bpermute_b32 v47, v44, v31
	v_add_u32_e32 v45, 16, v33
	v_cndmask_b32_e64 v19, v50, v19, s[6:7]
	v_cndmask_b32_e64 v19, v52, v19, s[8:9]
	;; [unrolled: 1-line block ×3, first 2 shown]
	s_waitcnt lgkmcnt(0)
	v_cmp_gt_u64_e64 s[10:11], v[46:47], v[30:31]
	v_cndmask_b32_e64 v55, v30, v46, s[10:11]
	v_cndmask_b32_e64 v46, 0, 1, s[12:13]
	;; [unrolled: 1-line block ×3, first 2 shown]
	v_cmp_gt_u32_e64 s[10:11], v45, v21
	v_lshlrev_b32_e32 v46, 5, v46
	v_cndmask_b32_e64 v30, v55, v30, s[10:11]
	v_add_lshl_u32 v46, v46, v25, 2
	v_cndmask_b32_e64 v31, v54, v31, s[10:11]
	ds_bpermute_b32 v48, v46, v30
	ds_bpermute_b32 v49, v46, v31
	v_add_u32_e32 v47, 32, v33
	v_cndmask_b32_e64 v18, v55, v18, s[10:11]
	v_cndmask_b32_e64 v19, v54, v19, s[10:11]
	v_cmp_gt_u32_e32 vcc, v47, v21
	s_waitcnt lgkmcnt(0)
	v_cmp_gt_u64_e64 s[12:13], v[48:49], v[30:31]
	v_cndmask_b32_e64 v25, v30, v48, s[12:13]
	v_cndmask_b32_e64 v30, v31, v49, s[12:13]
	v_cndmask_b32_e32 v19, v30, v19, vcc
	v_cndmask_b32_e32 v18, v25, v18, vcc
	v_mov_b32_e32 v25, 0
	s_branch .LBB2118_40
.LBB2118_39:                            ;   in Loop: Header=BB2118_40 Depth=1
	s_or_b64 exec, exec, s[6:7]
	v_cmp_eq_u16_sdwa s[6:7], v20, v32 src0_sel:BYTE_0 src1_sel:DWORD
	v_and_b32_e32 v21, s7, v17
	ds_bpermute_b32 v30, v34, v18
	ds_bpermute_b32 v31, v34, v19
	v_or_b32_e32 v21, 0x80000000, v21
	v_and_b32_e32 v48, s6, v16
	v_ffbl_b32_e32 v21, v21
	v_add_u32_e32 v21, 32, v21
	v_ffbl_b32_e32 v48, v48
	v_min_u32_e32 v21, v48, v21
	s_waitcnt lgkmcnt(0)
	v_cmp_gt_u64_e32 vcc, v[30:31], v[18:19]
	v_cmp_lt_u32_e64 s[6:7], v33, v21
	v_cndmask_b32_e32 v30, v18, v30, vcc
	s_and_b64 vcc, s[6:7], vcc
	v_cndmask_b32_e64 v30, v18, v30, s[6:7]
	v_cndmask_b32_e32 v31, v19, v31, vcc
	ds_bpermute_b32 v48, v35, v30
	ds_bpermute_b32 v49, v35, v31
	v_subrev_u32_e32 v24, 64, v24
	s_waitcnt lgkmcnt(0)
	v_cmp_gt_u64_e32 vcc, v[48:49], v[30:31]
	v_cndmask_b32_e32 v49, v31, v49, vcc
	v_cndmask_b32_e32 v48, v30, v48, vcc
	v_cmp_gt_u32_e32 vcc, v39, v21
	v_cndmask_b32_e32 v30, v48, v30, vcc
	v_cndmask_b32_e32 v31, v49, v31, vcc
	ds_bpermute_b32 v48, v40, v30
	ds_bpermute_b32 v49, v40, v31
	v_cndmask_b32_e64 v19, v19, v31, s[6:7]
	v_cndmask_b32_e64 v18, v18, v30, s[6:7]
	s_waitcnt lgkmcnt(0)
	v_cmp_gt_u64_e32 vcc, v[48:49], v[30:31]
	v_cndmask_b32_e32 v52, v31, v49, vcc
	v_cndmask_b32_e32 v53, v30, v48, vcc
	v_cmp_gt_u32_e32 vcc, v41, v21
	v_cndmask_b32_e32 v48, v53, v30, vcc
	v_cndmask_b32_e32 v49, v52, v31, vcc
	ds_bpermute_b32 v50, v42, v48
	ds_bpermute_b32 v51, v42, v49
	v_cndmask_b32_e32 v18, v53, v18, vcc
	v_cndmask_b32_e32 v19, v52, v19, vcc
	v_cmp_gt_u32_e32 vcc, v47, v21
	s_waitcnt lgkmcnt(0)
	v_cmp_gt_u64_e64 s[8:9], v[50:51], v[48:49]
	v_cndmask_b32_e64 v54, v49, v51, s[8:9]
	v_cndmask_b32_e64 v55, v48, v50, s[8:9]
	v_cmp_gt_u32_e64 s[8:9], v43, v21
	v_cndmask_b32_e64 v48, v55, v48, s[8:9]
	v_cndmask_b32_e64 v49, v54, v49, s[8:9]
	ds_bpermute_b32 v50, v44, v48
	ds_bpermute_b32 v51, v44, v49
	v_cndmask_b32_e64 v19, v54, v19, s[8:9]
	v_cndmask_b32_e64 v18, v55, v18, s[8:9]
	s_waitcnt lgkmcnt(0)
	v_cmp_gt_u64_e64 s[10:11], v[50:51], v[48:49]
	v_cndmask_b32_e64 v56, v49, v51, s[10:11]
	v_cndmask_b32_e64 v57, v48, v50, s[10:11]
	v_cmp_gt_u32_e64 s[10:11], v45, v21
	v_cndmask_b32_e64 v48, v57, v48, s[10:11]
	v_cndmask_b32_e64 v49, v56, v49, s[10:11]
	ds_bpermute_b32 v50, v46, v48
	ds_bpermute_b32 v51, v46, v49
	v_cndmask_b32_e64 v18, v57, v18, s[10:11]
	v_cndmask_b32_e64 v19, v56, v19, s[10:11]
	s_waitcnt lgkmcnt(0)
	v_cmp_gt_u64_e64 s[12:13], v[50:51], v[48:49]
	v_cndmask_b32_e64 v48, v48, v50, s[12:13]
	v_cndmask_b32_e64 v49, v49, v51, s[12:13]
	v_cndmask_b32_e32 v19, v49, v19, vcc
	v_cndmask_b32_e32 v18, v48, v18, vcc
	v_cmp_gt_u64_e32 vcc, v[18:19], v[26:27]
	v_cndmask_b32_e32 v19, v27, v19, vcc
	v_cndmask_b32_e32 v18, v26, v18, vcc
.LBB2118_40:                            ; =>This Loop Header: Depth=1
                                        ;     Child Loop BB2118_43 Depth 2
                                        ;       Child Loop BB2118_44 Depth 3
	v_cmp_ne_u16_sdwa s[6:7], v20, v32 src0_sel:BYTE_0 src1_sel:DWORD
	v_cndmask_b32_e64 v20, 0, 1, s[6:7]
	;;#ASMSTART
	;;#ASMEND
	v_cmp_ne_u32_e32 vcc, 0, v20
	s_cmp_lg_u64 vcc, exec
	v_pk_mov_b32 v[26:27], v[18:19], v[18:19] op_sel:[0,1]
	s_cbranch_scc1 .LBB2118_47
; %bb.41:                               ;   in Loop: Header=BB2118_40 Depth=1
	v_lshlrev_b64 v[18:19], 4, v[24:25]
	v_mov_b32_e32 v20, s15
	v_add_co_u32_e32 v30, vcc, s14, v18
	v_addc_co_u32_e32 v31, vcc, v20, v19, vcc
	;;#ASMSTART
	global_load_dwordx4 v[18:21], v[30:31] off glc	
s_waitcnt vmcnt(0)
	;;#ASMEND
	v_and_b32_e32 v21, 0xff, v19
	v_and_b32_e32 v48, 0xff00, v19
	v_or3_b32 v21, 0, v21, v48
	v_or3_b32 v18, v18, 0, 0
	v_and_b32_e32 v48, 0xff000000, v19
	v_and_b32_e32 v19, 0xff0000, v19
	v_or3_b32 v19, v21, v19, v48
	v_or3_b32 v18, v18, 0, 0
	v_cmp_eq_u16_sdwa s[8:9], v20, v25 src0_sel:BYTE_0 src1_sel:DWORD
	s_and_saveexec_b64 s[6:7], s[8:9]
	s_cbranch_execz .LBB2118_39
; %bb.42:                               ;   in Loop: Header=BB2118_40 Depth=1
	s_mov_b32 s10, 1
	s_mov_b64 s[8:9], 0
.LBB2118_43:                            ;   Parent Loop BB2118_40 Depth=1
                                        ; =>  This Loop Header: Depth=2
                                        ;       Child Loop BB2118_44 Depth 3
	s_max_u32 s11, s10, 1
.LBB2118_44:                            ;   Parent Loop BB2118_40 Depth=1
                                        ;     Parent Loop BB2118_43 Depth=2
                                        ; =>    This Inner Loop Header: Depth=3
	s_add_i32 s11, s11, -1
	s_cmp_eq_u32 s11, 0
	s_sleep 1
	s_cbranch_scc0 .LBB2118_44
; %bb.45:                               ;   in Loop: Header=BB2118_43 Depth=2
	s_cmp_lt_u32 s10, 32
	s_cselect_b64 s[12:13], -1, 0
	s_cmp_lg_u64 s[12:13], 0
	s_addc_u32 s10, s10, 0
	;;#ASMSTART
	global_load_dwordx4 v[18:21], v[30:31] off glc	
s_waitcnt vmcnt(0)
	;;#ASMEND
	v_cmp_ne_u16_sdwa s[12:13], v20, v25 src0_sel:BYTE_0 src1_sel:DWORD
	s_or_b64 s[8:9], s[12:13], s[8:9]
	s_andn2_b64 exec, exec, s[8:9]
	s_cbranch_execnz .LBB2118_43
; %bb.46:                               ;   in Loop: Header=BB2118_40 Depth=1
	s_or_b64 exec, exec, s[8:9]
	s_branch .LBB2118_39
.LBB2118_47:                            ;   in Loop: Header=BB2118_40 Depth=1
                                        ; implicit-def: $vgpr18_vgpr19
                                        ; implicit-def: $vgpr20
	s_cbranch_execz .LBB2118_40
; %bb.48:
	s_and_saveexec_b64 s[6:7], s[4:5]
	s_cbranch_execz .LBB2118_50
; %bb.49:
	s_add_i32 s4, s37, 64
	s_mov_b32 s5, 0
	s_lshl_b64 s[4:5], s[4:5], 4
	s_add_u32 s4, s14, s4
	v_cmp_gt_u64_e32 vcc, v[26:27], v[14:15]
	s_addc_u32 s5, s15, s5
	v_cndmask_b32_e32 v15, v15, v27, vcc
	v_cndmask_b32_e32 v14, v14, v26, vcc
	v_mov_b32_e32 v16, 2
	v_mov_b32_e32 v17, 0
	v_pk_mov_b32 v[18:19], s[4:5], s[4:5] op_sel:[0,1]
	;;#ASMSTART
	global_store_dwordx4 v[18:19], v[14:17] off	
s_waitcnt vmcnt(0)
	;;#ASMEND
.LBB2118_50:
	s_or_b64 exec, exec, s[6:7]
	s_and_b64 exec, exec, s[2:3]
	s_cbranch_execz .LBB2118_52
; %bb.51:
	v_mov_b32_e32 v14, 0
	ds_write_b64 v14, v[26:27]
.LBB2118_52:
	s_or_b64 exec, exec, s[34:35]
	v_mov_b32_e32 v14, 0
	s_waitcnt lgkmcnt(0)
	s_barrier
	ds_read_b64 v[14:15], v14
	v_cmp_gt_u64_e32 vcc, v[22:23], v[2:3]
	v_cndmask_b32_e32 v16, v2, v22, vcc
	v_cndmask_b32_e32 v17, v3, v23, vcc
	v_cndmask_b32_e64 v17, v17, v3, s[2:3]
	v_cndmask_b32_e64 v16, v16, v2, s[2:3]
	s_waitcnt lgkmcnt(0)
	v_cmp_gt_u64_e32 vcc, v[14:15], v[16:17]
	v_cndmask_b32_e32 v25, v17, v15, vcc
	v_cndmask_b32_e32 v24, v16, v14, vcc
	v_cmp_gt_u64_e32 vcc, v[24:25], v[4:5]
	v_cndmask_b32_e32 v31, v5, v25, vcc
	v_cndmask_b32_e32 v30, v4, v24, vcc
	;; [unrolled: 3-line block ×7, first 2 shown]
	s_branch .LBB2118_67
.LBB2118_53:
                                        ; implicit-def: $vgpr22_vgpr23
                                        ; implicit-def: $vgpr34_vgpr35
                                        ; implicit-def: $vgpr32_vgpr33
                                        ; implicit-def: $vgpr30_vgpr31
                                        ; implicit-def: $vgpr18_vgpr19_vgpr20_vgpr21
                                        ; implicit-def: $vgpr14_vgpr15_vgpr16_vgpr17
                                        ; implicit-def: $vgpr24_vgpr25_vgpr26_vgpr27
	s_cbranch_execz .LBB2118_67
; %bb.54:
	s_cmp_lg_u64 s[20:21], 0
	s_cselect_b64 s[4:5], -1, 0
	s_and_b64 s[6:7], s[2:3], s[4:5]
	s_and_saveexec_b64 s[4:5], s[6:7]
	s_cbranch_execz .LBB2118_56
; %bb.55:
	v_mov_b32_e32 v14, 0
	global_load_dwordx2 v[14:15], v14, s[16:17]
	s_waitcnt vmcnt(0)
	v_cmp_gt_u64_e32 vcc, v[14:15], v[2:3]
	v_cndmask_b32_e32 v3, v3, v15, vcc
	v_cndmask_b32_e32 v2, v2, v14, vcc
.LBB2118_56:
	s_or_b64 exec, exec, s[4:5]
	v_cmp_gt_u64_e32 vcc, v[2:3], v[4:5]
	v_cndmask_b32_e32 v31, v5, v3, vcc
	v_cndmask_b32_e32 v30, v4, v2, vcc
	v_cmp_gt_u64_e32 vcc, v[30:31], v[10:11]
	v_cndmask_b32_e32 v15, v11, v31, vcc
	v_cndmask_b32_e32 v14, v10, v30, vcc
	;; [unrolled: 3-line block ×6, first 2 shown]
	v_add_lshl_u32 v1, v1, v0, 3
	v_cmp_gt_u32_e32 vcc, 64, v0
	ds_write_b64 v1, v[22:23]
	s_waitcnt lgkmcnt(0)
	s_barrier
	s_and_saveexec_b64 s[6:7], vcc
	s_cbranch_execz .LBB2118_60
; %bb.57:
	v_lshlrev_b32_e32 v1, 1, v0
	v_lshrrev_b32_e32 v16, 4, v0
	v_add_lshl_u32 v1, v16, v1, 3
	ds_read2_b64 v[24:27], v1 offset1:1
	v_mbcnt_lo_u32_b32 v16, -1, 0
	v_mbcnt_hi_u32_b32 v39, -1, v16
	v_and_b32_e32 v40, 15, v39
	v_and_b32_e32 v42, 16, v39
	s_waitcnt lgkmcnt(0)
	v_cmp_gt_u64_e32 vcc, v[24:25], v[26:27]
	v_cndmask_b32_e32 v17, v27, v25, vcc
	v_cndmask_b32_e32 v16, v26, v24, vcc
	v_cmp_ne_u32_e64 s[4:5], 0, v39
	v_mov_b32_dpp v21, v17 row_shr:1 row_mask:0xf bank_mask:0xf
	v_mov_b32_dpp v20, v16 row_shr:1 row_mask:0xf bank_mask:0xf
	v_cmp_gt_u64_e32 vcc, v[20:21], v[16:17]
	v_cndmask_b32_e32 v20, v16, v20, vcc
	v_cndmask_b32_e32 v21, v17, v21, vcc
	v_cmp_eq_u32_e32 vcc, 0, v40
	v_cndmask_b32_e32 v21, v21, v17, vcc
	v_cndmask_b32_e32 v20, v20, v16, vcc
	s_nop 0
	v_mov_b32_dpp v27, v21 row_shr:2 row_mask:0xf bank_mask:0xf
	v_mov_b32_dpp v26, v20 row_shr:2 row_mask:0xf bank_mask:0xf
	v_cmp_gt_u64_e32 vcc, v[26:27], v[20:21]
	v_cndmask_b32_e32 v26, v20, v26, vcc
	v_cndmask_b32_e32 v27, v21, v27, vcc
	v_cmp_lt_u32_e32 vcc, 1, v40
	v_cndmask_b32_e32 v21, v21, v27, vcc
	v_cndmask_b32_e32 v20, v20, v26, vcc
	s_nop 0
	v_mov_b32_dpp v27, v21 row_shr:4 row_mask:0xf bank_mask:0xf
	v_mov_b32_dpp v26, v20 row_shr:4 row_mask:0xf bank_mask:0xf
	v_cmp_gt_u64_e32 vcc, v[26:27], v[20:21]
	v_cndmask_b32_e32 v26, v20, v26, vcc
	v_cndmask_b32_e32 v27, v21, v27, vcc
	v_cmp_lt_u32_e32 vcc, 3, v40
	;; [unrolled: 9-line block ×3, first 2 shown]
	v_cndmask_b32_e32 v21, v21, v27, vcc
	v_cndmask_b32_e32 v20, v20, v26, vcc
	s_nop 0
	v_mov_b32_dpp v27, v21 row_bcast:15 row_mask:0xf bank_mask:0xf
	v_mov_b32_dpp v26, v20 row_bcast:15 row_mask:0xf bank_mask:0xf
	v_cmp_gt_u64_e32 vcc, v[26:27], v[20:21]
	v_cndmask_b32_e32 v40, v21, v27, vcc
	v_cndmask_b32_e32 v41, v20, v26, vcc
	v_cmp_eq_u32_e32 vcc, 0, v42
	v_cndmask_b32_e32 v27, v40, v21, vcc
	v_cndmask_b32_e32 v26, v41, v20, vcc
	s_nop 0
	v_mov_b32_dpp v27, v27 row_bcast:31 row_mask:0xf bank_mask:0xf
	v_mov_b32_dpp v26, v26 row_bcast:31 row_mask:0xf bank_mask:0xf
	s_and_saveexec_b64 s[8:9], s[4:5]
; %bb.58:
	v_cndmask_b32_e32 v17, v40, v21, vcc
	v_cndmask_b32_e32 v16, v41, v20, vcc
	v_cmp_lt_u32_e64 s[4:5], 31, v39
	v_cmp_gt_u64_e32 vcc, v[26:27], v[16:17]
	s_and_b64 vcc, s[4:5], vcc
	v_cndmask_b32_e32 v16, v16, v26, vcc
	v_cndmask_b32_e32 v17, v17, v27, vcc
; %bb.59:
	s_or_b64 exec, exec, s[8:9]
	v_add_u32_e32 v20, -1, v39
	v_and_b32_e32 v21, 64, v39
	v_cmp_lt_i32_e32 vcc, v20, v21
	v_cndmask_b32_e32 v20, v20, v39, vcc
	v_lshlrev_b32_e32 v20, 2, v20
	ds_bpermute_b32 v16, v20, v16
	ds_bpermute_b32 v17, v20, v17
	; wave barrier
	s_waitcnt lgkmcnt(0)
	v_cmp_gt_u64_e32 vcc, v[16:17], v[24:25]
	v_cndmask_b32_e32 v16, v24, v16, vcc
	v_cndmask_b32_e32 v17, v25, v17, vcc
	v_cndmask_b32_e64 v17, v17, v23, s[2:3]
	v_cndmask_b32_e64 v16, v16, v22, s[2:3]
	ds_write_b64 v1, v[16:17]
	; wave barrier
	ds_read_b64 v[20:21], v1 offset:8
	s_waitcnt lgkmcnt(0)
	v_cmp_gt_u64_e32 vcc, v[16:17], v[20:21]
	v_cndmask_b32_e32 v17, v21, v17, vcc
	v_cndmask_b32_e32 v16, v20, v16, vcc
	ds_write_b64 v1, v[16:17] offset:8
.LBB2118_60:
	s_or_b64 exec, exec, s[6:7]
	v_pk_mov_b32 v[16:17], v[22:23], v[22:23] op_sel:[0,1]
	s_waitcnt lgkmcnt(0)
	s_barrier
	s_and_saveexec_b64 s[2:3], s[0:1]
	s_cbranch_execz .LBB2118_62
; %bb.61:
	v_add_u32_e32 v1, -1, v0
	v_lshrrev_b32_e32 v16, 5, v1
	v_add_lshl_u32 v1, v16, v1, 3
	ds_read_b64 v[16:17], v1
.LBB2118_62:
	s_or_b64 exec, exec, s[2:3]
	s_and_saveexec_b64 s[2:3], s[0:1]
	s_cbranch_execz .LBB2118_64
; %bb.63:
	s_waitcnt lgkmcnt(0)
	v_cmp_gt_u64_e32 vcc, v[16:17], v[2:3]
	v_cndmask_b32_e32 v3, v3, v17, vcc
	v_cndmask_b32_e32 v2, v2, v16, vcc
	v_cmp_gt_u64_e32 vcc, v[2:3], v[4:5]
	v_cndmask_b32_e32 v31, v5, v3, vcc
	v_cndmask_b32_e32 v30, v4, v2, vcc
	;; [unrolled: 3-line block ×7, first 2 shown]
	;;#ASMSTART
	;;#ASMEND
.LBB2118_64:
	s_or_b64 exec, exec, s[2:3]
	s_movk_i32 s0, 0x7f
	v_cmp_eq_u32_e32 vcc, s0, v0
	s_and_saveexec_b64 s[0:1], vcc
	s_cbranch_execz .LBB2118_66
; %bb.65:
	s_add_u32 s2, s14, 0x400
	s_addc_u32 s3, s15, 0
	v_mov_b32_e32 v24, 2
	v_mov_b32_e32 v25, 0
	v_pk_mov_b32 v[4:5], s[2:3], s[2:3] op_sel:[0,1]
	;;#ASMSTART
	global_store_dwordx4 v[4:5], v[22:25] off	
s_waitcnt vmcnt(0)
	;;#ASMEND
.LBB2118_66:
	s_or_b64 exec, exec, s[0:1]
	v_pk_mov_b32 v[24:25], v[2:3], v[2:3] op_sel:[0,1]
.LBB2118_67:
	s_add_u32 s0, s28, s26
	s_addc_u32 s1, s29, s27
	s_add_u32 s2, s0, s30
	s_addc_u32 s3, s1, s31
	s_mov_b64 s[0:1], -1
	s_and_b64 vcc, exec, s[24:25]
	s_waitcnt lgkmcnt(0)
	s_barrier
	s_cbranch_vccz .LBB2118_69
; %bb.68:
	v_mul_u32_u24_e32 v1, 56, v0
	ds_write2_b64 v1, v[24:25], v[30:31] offset1:1
	ds_write2_b64 v1, v[14:15], v[32:33] offset0:2 offset1:3
	ds_write2_b64 v1, v[18:19], v[34:35] offset0:4 offset1:5
	ds_write_b64 v1, v[22:23] offset:48
	v_mul_i32_i24_e32 v1, 0xffffffd0, v0
	v_mad_u32_u24 v1, v0, 56, v1
	s_waitcnt lgkmcnt(0)
	s_barrier
	ds_read2st64_b64 v[2:5], v1 offset1:2
	ds_read2st64_b64 v[6:9], v1 offset0:4 offset1:6
	ds_read2st64_b64 v[10:13], v1 offset0:8 offset1:10
	ds_read_b64 v[16:17], v1 offset:6144
	v_mov_b32_e32 v1, s3
	v_add_co_u32_e32 v20, vcc, s2, v36
	v_addc_co_u32_e32 v21, vcc, 0, v1, vcc
	s_waitcnt lgkmcnt(3)
	flat_store_dwordx2 v[20:21], v[2:3]
	flat_store_dwordx2 v[20:21], v[4:5] offset:1024
	s_waitcnt lgkmcnt(0)
	flat_store_dwordx2 v[20:21], v[6:7] offset:2048
	flat_store_dwordx2 v[20:21], v[8:9] offset:3072
	v_add_co_u32_e32 v2, vcc, 0x1000, v20
	v_addc_co_u32_e32 v3, vcc, 0, v21, vcc
	flat_store_dwordx2 v[2:3], v[10:11]
	flat_store_dwordx2 v[2:3], v[12:13] offset:1024
	flat_store_dwordx2 v[2:3], v[16:17] offset:2048
	s_mov_b64 s[0:1], 0
.LBB2118_69:
	s_andn2_b64 vcc, exec, s[0:1]
	s_cbranch_vccnz .LBB2118_108
; %bb.70:
	s_movk_i32 s0, 0xffd0
	ds_write2_b64 v38, v[24:25], v[30:31] offset1:1
	ds_write2_b64 v38, v[14:15], v[32:33] offset0:2 offset1:3
	ds_write2_b64 v38, v[18:19], v[34:35] offset0:4 offset1:5
	ds_write_b64 v38, v[22:23] offset:48
	v_mad_i32_i24 v14, v0, s0, v38
	s_waitcnt lgkmcnt(0)
	s_barrier
	ds_read2st64_b64 v[2:5], v14 offset1:2
	ds_read2st64_b64 v[6:9], v14 offset0:4 offset1:6
	ds_read2st64_b64 v[10:13], v14 offset0:8 offset1:10
	ds_read_b64 v[14:15], v14 offset:6144
	v_mov_b32_e32 v17, s3
	v_add_co_u32_e32 v16, vcc, s2, v36
	v_addc_co_u32_e32 v17, vcc, 0, v17, vcc
	v_mov_b32_e32 v1, 0
	v_cmp_gt_u32_e32 vcc, s33, v0
	s_and_saveexec_b64 s[0:1], vcc
	s_cbranch_execz .LBB2118_72
; %bb.71:
	s_waitcnt lgkmcnt(0)
	flat_store_dwordx2 v[16:17], v[2:3]
.LBB2118_72:
	s_or_b64 exec, exec, s[0:1]
	v_or_b32_e32 v18, 0x80, v0
	v_cmp_gt_u32_e32 vcc, s33, v18
	s_and_saveexec_b64 s[0:1], vcc
	s_cbranch_execz .LBB2118_74
; %bb.73:
	s_waitcnt lgkmcnt(0)
	flat_store_dwordx2 v[16:17], v[4:5] offset:1024
.LBB2118_74:
	s_or_b64 exec, exec, s[0:1]
	v_or_b32_e32 v18, 0x100, v0
	v_cmp_gt_u32_e32 vcc, s33, v18
	s_and_saveexec_b64 s[0:1], vcc
	s_cbranch_execz .LBB2118_76
; %bb.75:
	s_waitcnt lgkmcnt(0)
	flat_store_dwordx2 v[16:17], v[6:7] offset:2048
.LBB2118_76:
	;; [unrolled: 9-line block ×3, first 2 shown]
	s_or_b64 exec, exec, s[0:1]
	v_or_b32_e32 v18, 0x200, v0
	v_cmp_gt_u32_e32 vcc, s33, v18
	s_and_saveexec_b64 s[0:1], vcc
	s_cbranch_execz .LBB2118_80
; %bb.79:
	v_add_co_u32_e32 v18, vcc, 0x1000, v16
	v_addc_co_u32_e32 v19, vcc, 0, v17, vcc
	s_waitcnt lgkmcnt(0)
	flat_store_dwordx2 v[18:19], v[10:11]
.LBB2118_80:
	s_or_b64 exec, exec, s[0:1]
	v_or_b32_e32 v18, 0x280, v0
	v_cmp_gt_u32_e32 vcc, s33, v18
	s_and_saveexec_b64 s[0:1], vcc
	s_cbranch_execz .LBB2118_82
; %bb.81:
	v_add_co_u32_e32 v18, vcc, 0x1000, v16
	v_addc_co_u32_e32 v19, vcc, 0, v17, vcc
	s_waitcnt lgkmcnt(0)
	flat_store_dwordx2 v[18:19], v[12:13] offset:1024
.LBB2118_82:
	s_or_b64 exec, exec, s[0:1]
	v_or_b32_e32 v18, 0x300, v0
	v_cmp_gt_u32_e32 vcc, s33, v18
	s_and_saveexec_b64 s[0:1], vcc
	s_cbranch_execz .LBB2118_84
; %bb.83:
	v_add_co_u32_e32 v16, vcc, 0x1000, v16
	v_addc_co_u32_e32 v17, vcc, 0, v17, vcc
	s_waitcnt lgkmcnt(0)
	flat_store_dwordx2 v[16:17], v[14:15] offset:2048
.LBB2118_84:
	s_or_b64 exec, exec, s[0:1]
	v_cmp_lt_u64_e64 s[0:1], s[22:23], 2
	s_and_b64 vcc, exec, s[0:1]
	s_cbranch_vccnz .LBB2118_108
; %bb.85:
	s_add_u32 s0, s33, -1
	s_addc_u32 s1, s36, -1
	s_add_u32 s2, 0, 0x92481000
	s_addc_u32 s3, 0, 0x64
	s_add_i32 s3, s3, 0x249248c0
	s_mul_hi_u32 s7, s2, -7
	s_sub_i32 s7, s7, s2
	s_mul_i32 s8, s3, -7
	s_mul_i32 s4, s2, -7
	s_add_i32 s7, s7, s8
	s_mul_hi_u32 s5, s3, s4
	s_mul_i32 s6, s3, s4
	s_mul_i32 s9, s2, s7
	s_mul_hi_u32 s4, s2, s4
	s_mul_hi_u32 s8, s2, s7
	s_add_u32 s4, s4, s9
	s_addc_u32 s8, 0, s8
	s_add_u32 s4, s4, s6
	s_mul_hi_u32 s9, s3, s7
	s_addc_u32 s4, s8, s5
	s_addc_u32 s5, s9, 0
	s_mul_i32 s6, s3, s7
	s_add_u32 s4, s4, s6
	v_mov_b32_e32 v16, s4
	s_addc_u32 s5, 0, s5
	v_add_co_u32_e32 v16, vcc, s2, v16
	s_cmp_lg_u64 vcc, 0
	s_addc_u32 s2, s3, s5
	v_readfirstlane_b32 s5, v16
	s_mul_i32 s4, s0, s2
	s_mul_hi_u32 s6, s0, s5
	s_mul_hi_u32 s3, s0, s2
	s_add_u32 s4, s6, s4
	s_addc_u32 s3, 0, s3
	s_mul_hi_u32 s7, s1, s5
	s_mul_i32 s5, s1, s5
	s_add_u32 s4, s4, s5
	s_mul_hi_u32 s6, s1, s2
	s_addc_u32 s3, s3, s7
	s_addc_u32 s4, s6, 0
	s_mul_i32 s2, s1, s2
	s_add_u32 s2, s3, s2
	s_addc_u32 s3, 0, s4
	s_add_u32 s4, s2, 1
	s_addc_u32 s5, s3, 0
	s_add_u32 s6, s2, 2
	s_mul_i32 s8, s3, 7
	s_mul_hi_u32 s9, s2, 7
	s_addc_u32 s7, s3, 0
	s_add_i32 s9, s9, s8
	s_mul_i32 s8, s2, 7
	v_mov_b32_e32 v16, s8
	v_sub_co_u32_e32 v16, vcc, s0, v16
	s_cmp_lg_u64 vcc, 0
	s_subb_u32 s8, s1, s9
	v_subrev_co_u32_e32 v17, vcc, 7, v16
	s_cmp_lg_u64 vcc, 0
	s_subb_u32 s9, s8, 0
	v_readfirstlane_b32 s10, v17
	s_cmp_gt_u32 s10, 6
	s_cselect_b32 s10, -1, 0
	s_cmp_eq_u32 s9, 0
	s_cselect_b32 s9, s10, -1
	s_cmp_lg_u32 s9, 0
	s_cselect_b32 s4, s6, s4
	v_readfirstlane_b32 s6, v16
	s_cselect_b32 s5, s7, s5
	s_cmp_gt_u32 s6, 6
	s_cselect_b32 s6, -1, 0
	s_cmp_eq_u32 s8, 0
	s_cselect_b32 s6, s6, -1
	s_cmp_lg_u32 s6, 0
	s_cselect_b32 s3, s5, s3
	s_cselect_b32 s2, s4, s2
	v_cmp_eq_u64_e32 vcc, s[2:3], v[0:1]
	s_and_saveexec_b64 s[2:3], vcc
	s_cbranch_execz .LBB2118_108
; %bb.86:
	v_mul_hi_u32_u24_e32 v1, 7, v0
	v_mov_b32_e32 v16, s1
	v_sub_co_u32_e32 v0, vcc, s0, v37
	v_subb_co_u32_e32 v1, vcc, v16, v1, vcc
	v_cmp_lt_i64_e32 vcc, 3, v[0:1]
	s_and_saveexec_b64 s[0:1], vcc
	s_xor_b64 s[0:1], exec, s[0:1]
	s_cbranch_execz .LBB2118_96
; %bb.87:
	v_cmp_lt_i64_e32 vcc, 4, v[0:1]
	s_and_saveexec_b64 s[2:3], vcc
	s_xor_b64 s[2:3], exec, s[2:3]
	s_cbranch_execz .LBB2118_93
; %bb.88:
	;; [unrolled: 5-line block ×3, first 2 shown]
	v_mov_b32_e32 v0, 0
	s_waitcnt lgkmcnt(0)
	global_store_dwordx2 v0, v[14:15], s[18:19]
                                        ; implicit-def: $vgpr10_vgpr11_vgpr12_vgpr13
.LBB2118_90:
	s_andn2_saveexec_b64 s[4:5], s[4:5]
	s_cbranch_execz .LBB2118_92
; %bb.91:
	v_mov_b32_e32 v0, 0
	s_waitcnt lgkmcnt(0)
	global_store_dwordx2 v0, v[12:13], s[18:19]
.LBB2118_92:
	s_or_b64 exec, exec, s[4:5]
                                        ; implicit-def: $vgpr10_vgpr11_vgpr12_vgpr13
.LBB2118_93:
	s_andn2_saveexec_b64 s[2:3], s[2:3]
	s_cbranch_execz .LBB2118_95
; %bb.94:
	v_mov_b32_e32 v0, 0
	s_waitcnt lgkmcnt(0)
	global_store_dwordx2 v0, v[10:11], s[18:19]
.LBB2118_95:
	s_or_b64 exec, exec, s[2:3]
                                        ; implicit-def: $vgpr0_vgpr1
                                        ; implicit-def: $vgpr2_vgpr3_vgpr4_vgpr5
                                        ; implicit-def: $vgpr6_vgpr7_vgpr8_vgpr9
.LBB2118_96:
	s_andn2_saveexec_b64 s[0:1], s[0:1]
	s_cbranch_execz .LBB2118_108
; %bb.97:
	v_cmp_lt_i64_e32 vcc, 1, v[0:1]
	s_and_saveexec_b64 s[0:1], vcc
	s_xor_b64 s[0:1], exec, s[0:1]
	s_cbranch_execz .LBB2118_103
; %bb.98:
	v_cmp_lt_i64_e32 vcc, 2, v[0:1]
	s_and_saveexec_b64 s[2:3], vcc
	s_xor_b64 s[2:3], exec, s[2:3]
	s_cbranch_execz .LBB2118_100
; %bb.99:
	v_mov_b32_e32 v0, 0
	s_waitcnt lgkmcnt(0)
	global_store_dwordx2 v0, v[8:9], s[18:19]
                                        ; implicit-def: $vgpr6_vgpr7_vgpr8_vgpr9
.LBB2118_100:
	s_andn2_saveexec_b64 s[2:3], s[2:3]
	s_cbranch_execz .LBB2118_102
; %bb.101:
	v_mov_b32_e32 v0, 0
	s_waitcnt lgkmcnt(0)
	global_store_dwordx2 v0, v[6:7], s[18:19]
.LBB2118_102:
	s_or_b64 exec, exec, s[2:3]
                                        ; implicit-def: $vgpr2_vgpr3_vgpr4_vgpr5
                                        ; implicit-def: $vgpr0_vgpr1
.LBB2118_103:
	s_andn2_saveexec_b64 s[0:1], s[0:1]
	s_cbranch_execz .LBB2118_108
; %bb.104:
	v_cmp_ne_u64_e32 vcc, 1, v[0:1]
	s_and_saveexec_b64 s[0:1], vcc
	s_xor_b64 s[0:1], exec, s[0:1]
	s_cbranch_execz .LBB2118_106
; %bb.105:
	v_mov_b32_e32 v0, 0
	s_waitcnt lgkmcnt(0)
	global_store_dwordx2 v0, v[2:3], s[18:19]
                                        ; implicit-def: $vgpr2_vgpr3_vgpr4_vgpr5
.LBB2118_106:
	s_andn2_saveexec_b64 s[0:1], s[0:1]
	s_cbranch_execz .LBB2118_108
; %bb.107:
	v_mov_b32_e32 v0, 0
	s_waitcnt lgkmcnt(0)
	global_store_dwordx2 v0, v[4:5], s[18:19]
.LBB2118_108:
	s_endpgm
	.section	.rodata,"a",@progbits
	.p2align	6, 0x0
	.amdhsa_kernel _ZN7rocprim17ROCPRIM_400000_NS6detail17trampoline_kernelINS0_14default_configENS1_20scan_config_selectorIyEEZZNS1_9scan_implILNS1_25lookback_scan_determinismE0ELb0ELb0ES3_N6thrust23THRUST_200600_302600_NS6detail15normal_iteratorINS9_10device_ptrIyEEEESE_y11max_functorIyEyEEDaPvRmT3_T4_T5_mT6_P12ihipStream_tbENKUlT_T0_E_clISt17integral_constantIbLb1EESU_EEDaSP_SQ_EUlSP_E_NS1_11comp_targetILNS1_3genE4ELNS1_11target_archE910ELNS1_3gpuE8ELNS1_3repE0EEENS1_30default_config_static_selectorELNS0_4arch9wavefront6targetE1EEEvT1_
		.amdhsa_group_segment_fixed_size 7168
		.amdhsa_private_segment_fixed_size 0
		.amdhsa_kernarg_size 104
		.amdhsa_user_sgpr_count 6
		.amdhsa_user_sgpr_private_segment_buffer 1
		.amdhsa_user_sgpr_dispatch_ptr 0
		.amdhsa_user_sgpr_queue_ptr 0
		.amdhsa_user_sgpr_kernarg_segment_ptr 1
		.amdhsa_user_sgpr_dispatch_id 0
		.amdhsa_user_sgpr_flat_scratch_init 0
		.amdhsa_user_sgpr_kernarg_preload_length 0
		.amdhsa_user_sgpr_kernarg_preload_offset 0
		.amdhsa_user_sgpr_private_segment_size 0
		.amdhsa_uses_dynamic_stack 0
		.amdhsa_system_sgpr_private_segment_wavefront_offset 0
		.amdhsa_system_sgpr_workgroup_id_x 1
		.amdhsa_system_sgpr_workgroup_id_y 0
		.amdhsa_system_sgpr_workgroup_id_z 0
		.amdhsa_system_sgpr_workgroup_info 0
		.amdhsa_system_vgpr_workitem_id 0
		.amdhsa_next_free_vgpr 58
		.amdhsa_next_free_sgpr 38
		.amdhsa_accum_offset 60
		.amdhsa_reserve_vcc 1
		.amdhsa_reserve_flat_scratch 0
		.amdhsa_float_round_mode_32 0
		.amdhsa_float_round_mode_16_64 0
		.amdhsa_float_denorm_mode_32 3
		.amdhsa_float_denorm_mode_16_64 3
		.amdhsa_dx10_clamp 1
		.amdhsa_ieee_mode 1
		.amdhsa_fp16_overflow 0
		.amdhsa_tg_split 0
		.amdhsa_exception_fp_ieee_invalid_op 0
		.amdhsa_exception_fp_denorm_src 0
		.amdhsa_exception_fp_ieee_div_zero 0
		.amdhsa_exception_fp_ieee_overflow 0
		.amdhsa_exception_fp_ieee_underflow 0
		.amdhsa_exception_fp_ieee_inexact 0
		.amdhsa_exception_int_div_zero 0
	.end_amdhsa_kernel
	.section	.text._ZN7rocprim17ROCPRIM_400000_NS6detail17trampoline_kernelINS0_14default_configENS1_20scan_config_selectorIyEEZZNS1_9scan_implILNS1_25lookback_scan_determinismE0ELb0ELb0ES3_N6thrust23THRUST_200600_302600_NS6detail15normal_iteratorINS9_10device_ptrIyEEEESE_y11max_functorIyEyEEDaPvRmT3_T4_T5_mT6_P12ihipStream_tbENKUlT_T0_E_clISt17integral_constantIbLb1EESU_EEDaSP_SQ_EUlSP_E_NS1_11comp_targetILNS1_3genE4ELNS1_11target_archE910ELNS1_3gpuE8ELNS1_3repE0EEENS1_30default_config_static_selectorELNS0_4arch9wavefront6targetE1EEEvT1_,"axG",@progbits,_ZN7rocprim17ROCPRIM_400000_NS6detail17trampoline_kernelINS0_14default_configENS1_20scan_config_selectorIyEEZZNS1_9scan_implILNS1_25lookback_scan_determinismE0ELb0ELb0ES3_N6thrust23THRUST_200600_302600_NS6detail15normal_iteratorINS9_10device_ptrIyEEEESE_y11max_functorIyEyEEDaPvRmT3_T4_T5_mT6_P12ihipStream_tbENKUlT_T0_E_clISt17integral_constantIbLb1EESU_EEDaSP_SQ_EUlSP_E_NS1_11comp_targetILNS1_3genE4ELNS1_11target_archE910ELNS1_3gpuE8ELNS1_3repE0EEENS1_30default_config_static_selectorELNS0_4arch9wavefront6targetE1EEEvT1_,comdat
.Lfunc_end2118:
	.size	_ZN7rocprim17ROCPRIM_400000_NS6detail17trampoline_kernelINS0_14default_configENS1_20scan_config_selectorIyEEZZNS1_9scan_implILNS1_25lookback_scan_determinismE0ELb0ELb0ES3_N6thrust23THRUST_200600_302600_NS6detail15normal_iteratorINS9_10device_ptrIyEEEESE_y11max_functorIyEyEEDaPvRmT3_T4_T5_mT6_P12ihipStream_tbENKUlT_T0_E_clISt17integral_constantIbLb1EESU_EEDaSP_SQ_EUlSP_E_NS1_11comp_targetILNS1_3genE4ELNS1_11target_archE910ELNS1_3gpuE8ELNS1_3repE0EEENS1_30default_config_static_selectorELNS0_4arch9wavefront6targetE1EEEvT1_, .Lfunc_end2118-_ZN7rocprim17ROCPRIM_400000_NS6detail17trampoline_kernelINS0_14default_configENS1_20scan_config_selectorIyEEZZNS1_9scan_implILNS1_25lookback_scan_determinismE0ELb0ELb0ES3_N6thrust23THRUST_200600_302600_NS6detail15normal_iteratorINS9_10device_ptrIyEEEESE_y11max_functorIyEyEEDaPvRmT3_T4_T5_mT6_P12ihipStream_tbENKUlT_T0_E_clISt17integral_constantIbLb1EESU_EEDaSP_SQ_EUlSP_E_NS1_11comp_targetILNS1_3genE4ELNS1_11target_archE910ELNS1_3gpuE8ELNS1_3repE0EEENS1_30default_config_static_selectorELNS0_4arch9wavefront6targetE1EEEvT1_
                                        ; -- End function
	.section	.AMDGPU.csdata,"",@progbits
; Kernel info:
; codeLenInByte = 5944
; NumSgprs: 42
; NumVgprs: 58
; NumAgprs: 0
; TotalNumVgprs: 58
; ScratchSize: 0
; MemoryBound: 0
; FloatMode: 240
; IeeeMode: 1
; LDSByteSize: 7168 bytes/workgroup (compile time only)
; SGPRBlocks: 5
; VGPRBlocks: 7
; NumSGPRsForWavesPerEU: 42
; NumVGPRsForWavesPerEU: 58
; AccumOffset: 60
; Occupancy: 5
; WaveLimiterHint : 1
; COMPUTE_PGM_RSRC2:SCRATCH_EN: 0
; COMPUTE_PGM_RSRC2:USER_SGPR: 6
; COMPUTE_PGM_RSRC2:TRAP_HANDLER: 0
; COMPUTE_PGM_RSRC2:TGID_X_EN: 1
; COMPUTE_PGM_RSRC2:TGID_Y_EN: 0
; COMPUTE_PGM_RSRC2:TGID_Z_EN: 0
; COMPUTE_PGM_RSRC2:TIDIG_COMP_CNT: 0
; COMPUTE_PGM_RSRC3_GFX90A:ACCUM_OFFSET: 14
; COMPUTE_PGM_RSRC3_GFX90A:TG_SPLIT: 0
	.section	.text._ZN7rocprim17ROCPRIM_400000_NS6detail17trampoline_kernelINS0_14default_configENS1_20scan_config_selectorIyEEZZNS1_9scan_implILNS1_25lookback_scan_determinismE0ELb0ELb0ES3_N6thrust23THRUST_200600_302600_NS6detail15normal_iteratorINS9_10device_ptrIyEEEESE_y11max_functorIyEyEEDaPvRmT3_T4_T5_mT6_P12ihipStream_tbENKUlT_T0_E_clISt17integral_constantIbLb1EESU_EEDaSP_SQ_EUlSP_E_NS1_11comp_targetILNS1_3genE3ELNS1_11target_archE908ELNS1_3gpuE7ELNS1_3repE0EEENS1_30default_config_static_selectorELNS0_4arch9wavefront6targetE1EEEvT1_,"axG",@progbits,_ZN7rocprim17ROCPRIM_400000_NS6detail17trampoline_kernelINS0_14default_configENS1_20scan_config_selectorIyEEZZNS1_9scan_implILNS1_25lookback_scan_determinismE0ELb0ELb0ES3_N6thrust23THRUST_200600_302600_NS6detail15normal_iteratorINS9_10device_ptrIyEEEESE_y11max_functorIyEyEEDaPvRmT3_T4_T5_mT6_P12ihipStream_tbENKUlT_T0_E_clISt17integral_constantIbLb1EESU_EEDaSP_SQ_EUlSP_E_NS1_11comp_targetILNS1_3genE3ELNS1_11target_archE908ELNS1_3gpuE7ELNS1_3repE0EEENS1_30default_config_static_selectorELNS0_4arch9wavefront6targetE1EEEvT1_,comdat
	.protected	_ZN7rocprim17ROCPRIM_400000_NS6detail17trampoline_kernelINS0_14default_configENS1_20scan_config_selectorIyEEZZNS1_9scan_implILNS1_25lookback_scan_determinismE0ELb0ELb0ES3_N6thrust23THRUST_200600_302600_NS6detail15normal_iteratorINS9_10device_ptrIyEEEESE_y11max_functorIyEyEEDaPvRmT3_T4_T5_mT6_P12ihipStream_tbENKUlT_T0_E_clISt17integral_constantIbLb1EESU_EEDaSP_SQ_EUlSP_E_NS1_11comp_targetILNS1_3genE3ELNS1_11target_archE908ELNS1_3gpuE7ELNS1_3repE0EEENS1_30default_config_static_selectorELNS0_4arch9wavefront6targetE1EEEvT1_ ; -- Begin function _ZN7rocprim17ROCPRIM_400000_NS6detail17trampoline_kernelINS0_14default_configENS1_20scan_config_selectorIyEEZZNS1_9scan_implILNS1_25lookback_scan_determinismE0ELb0ELb0ES3_N6thrust23THRUST_200600_302600_NS6detail15normal_iteratorINS9_10device_ptrIyEEEESE_y11max_functorIyEyEEDaPvRmT3_T4_T5_mT6_P12ihipStream_tbENKUlT_T0_E_clISt17integral_constantIbLb1EESU_EEDaSP_SQ_EUlSP_E_NS1_11comp_targetILNS1_3genE3ELNS1_11target_archE908ELNS1_3gpuE7ELNS1_3repE0EEENS1_30default_config_static_selectorELNS0_4arch9wavefront6targetE1EEEvT1_
	.globl	_ZN7rocprim17ROCPRIM_400000_NS6detail17trampoline_kernelINS0_14default_configENS1_20scan_config_selectorIyEEZZNS1_9scan_implILNS1_25lookback_scan_determinismE0ELb0ELb0ES3_N6thrust23THRUST_200600_302600_NS6detail15normal_iteratorINS9_10device_ptrIyEEEESE_y11max_functorIyEyEEDaPvRmT3_T4_T5_mT6_P12ihipStream_tbENKUlT_T0_E_clISt17integral_constantIbLb1EESU_EEDaSP_SQ_EUlSP_E_NS1_11comp_targetILNS1_3genE3ELNS1_11target_archE908ELNS1_3gpuE7ELNS1_3repE0EEENS1_30default_config_static_selectorELNS0_4arch9wavefront6targetE1EEEvT1_
	.p2align	8
	.type	_ZN7rocprim17ROCPRIM_400000_NS6detail17trampoline_kernelINS0_14default_configENS1_20scan_config_selectorIyEEZZNS1_9scan_implILNS1_25lookback_scan_determinismE0ELb0ELb0ES3_N6thrust23THRUST_200600_302600_NS6detail15normal_iteratorINS9_10device_ptrIyEEEESE_y11max_functorIyEyEEDaPvRmT3_T4_T5_mT6_P12ihipStream_tbENKUlT_T0_E_clISt17integral_constantIbLb1EESU_EEDaSP_SQ_EUlSP_E_NS1_11comp_targetILNS1_3genE3ELNS1_11target_archE908ELNS1_3gpuE7ELNS1_3repE0EEENS1_30default_config_static_selectorELNS0_4arch9wavefront6targetE1EEEvT1_,@function
_ZN7rocprim17ROCPRIM_400000_NS6detail17trampoline_kernelINS0_14default_configENS1_20scan_config_selectorIyEEZZNS1_9scan_implILNS1_25lookback_scan_determinismE0ELb0ELb0ES3_N6thrust23THRUST_200600_302600_NS6detail15normal_iteratorINS9_10device_ptrIyEEEESE_y11max_functorIyEyEEDaPvRmT3_T4_T5_mT6_P12ihipStream_tbENKUlT_T0_E_clISt17integral_constantIbLb1EESU_EEDaSP_SQ_EUlSP_E_NS1_11comp_targetILNS1_3genE3ELNS1_11target_archE908ELNS1_3gpuE7ELNS1_3repE0EEENS1_30default_config_static_selectorELNS0_4arch9wavefront6targetE1EEEvT1_: ; @_ZN7rocprim17ROCPRIM_400000_NS6detail17trampoline_kernelINS0_14default_configENS1_20scan_config_selectorIyEEZZNS1_9scan_implILNS1_25lookback_scan_determinismE0ELb0ELb0ES3_N6thrust23THRUST_200600_302600_NS6detail15normal_iteratorINS9_10device_ptrIyEEEESE_y11max_functorIyEyEEDaPvRmT3_T4_T5_mT6_P12ihipStream_tbENKUlT_T0_E_clISt17integral_constantIbLb1EESU_EEDaSP_SQ_EUlSP_E_NS1_11comp_targetILNS1_3genE3ELNS1_11target_archE908ELNS1_3gpuE7ELNS1_3repE0EEENS1_30default_config_static_selectorELNS0_4arch9wavefront6targetE1EEEvT1_
; %bb.0:
	.section	.rodata,"a",@progbits
	.p2align	6, 0x0
	.amdhsa_kernel _ZN7rocprim17ROCPRIM_400000_NS6detail17trampoline_kernelINS0_14default_configENS1_20scan_config_selectorIyEEZZNS1_9scan_implILNS1_25lookback_scan_determinismE0ELb0ELb0ES3_N6thrust23THRUST_200600_302600_NS6detail15normal_iteratorINS9_10device_ptrIyEEEESE_y11max_functorIyEyEEDaPvRmT3_T4_T5_mT6_P12ihipStream_tbENKUlT_T0_E_clISt17integral_constantIbLb1EESU_EEDaSP_SQ_EUlSP_E_NS1_11comp_targetILNS1_3genE3ELNS1_11target_archE908ELNS1_3gpuE7ELNS1_3repE0EEENS1_30default_config_static_selectorELNS0_4arch9wavefront6targetE1EEEvT1_
		.amdhsa_group_segment_fixed_size 0
		.amdhsa_private_segment_fixed_size 0
		.amdhsa_kernarg_size 104
		.amdhsa_user_sgpr_count 6
		.amdhsa_user_sgpr_private_segment_buffer 1
		.amdhsa_user_sgpr_dispatch_ptr 0
		.amdhsa_user_sgpr_queue_ptr 0
		.amdhsa_user_sgpr_kernarg_segment_ptr 1
		.amdhsa_user_sgpr_dispatch_id 0
		.amdhsa_user_sgpr_flat_scratch_init 0
		.amdhsa_user_sgpr_kernarg_preload_length 0
		.amdhsa_user_sgpr_kernarg_preload_offset 0
		.amdhsa_user_sgpr_private_segment_size 0
		.amdhsa_uses_dynamic_stack 0
		.amdhsa_system_sgpr_private_segment_wavefront_offset 0
		.amdhsa_system_sgpr_workgroup_id_x 1
		.amdhsa_system_sgpr_workgroup_id_y 0
		.amdhsa_system_sgpr_workgroup_id_z 0
		.amdhsa_system_sgpr_workgroup_info 0
		.amdhsa_system_vgpr_workitem_id 0
		.amdhsa_next_free_vgpr 1
		.amdhsa_next_free_sgpr 0
		.amdhsa_accum_offset 4
		.amdhsa_reserve_vcc 0
		.amdhsa_reserve_flat_scratch 0
		.amdhsa_float_round_mode_32 0
		.amdhsa_float_round_mode_16_64 0
		.amdhsa_float_denorm_mode_32 3
		.amdhsa_float_denorm_mode_16_64 3
		.amdhsa_dx10_clamp 1
		.amdhsa_ieee_mode 1
		.amdhsa_fp16_overflow 0
		.amdhsa_tg_split 0
		.amdhsa_exception_fp_ieee_invalid_op 0
		.amdhsa_exception_fp_denorm_src 0
		.amdhsa_exception_fp_ieee_div_zero 0
		.amdhsa_exception_fp_ieee_overflow 0
		.amdhsa_exception_fp_ieee_underflow 0
		.amdhsa_exception_fp_ieee_inexact 0
		.amdhsa_exception_int_div_zero 0
	.end_amdhsa_kernel
	.section	.text._ZN7rocprim17ROCPRIM_400000_NS6detail17trampoline_kernelINS0_14default_configENS1_20scan_config_selectorIyEEZZNS1_9scan_implILNS1_25lookback_scan_determinismE0ELb0ELb0ES3_N6thrust23THRUST_200600_302600_NS6detail15normal_iteratorINS9_10device_ptrIyEEEESE_y11max_functorIyEyEEDaPvRmT3_T4_T5_mT6_P12ihipStream_tbENKUlT_T0_E_clISt17integral_constantIbLb1EESU_EEDaSP_SQ_EUlSP_E_NS1_11comp_targetILNS1_3genE3ELNS1_11target_archE908ELNS1_3gpuE7ELNS1_3repE0EEENS1_30default_config_static_selectorELNS0_4arch9wavefront6targetE1EEEvT1_,"axG",@progbits,_ZN7rocprim17ROCPRIM_400000_NS6detail17trampoline_kernelINS0_14default_configENS1_20scan_config_selectorIyEEZZNS1_9scan_implILNS1_25lookback_scan_determinismE0ELb0ELb0ES3_N6thrust23THRUST_200600_302600_NS6detail15normal_iteratorINS9_10device_ptrIyEEEESE_y11max_functorIyEyEEDaPvRmT3_T4_T5_mT6_P12ihipStream_tbENKUlT_T0_E_clISt17integral_constantIbLb1EESU_EEDaSP_SQ_EUlSP_E_NS1_11comp_targetILNS1_3genE3ELNS1_11target_archE908ELNS1_3gpuE7ELNS1_3repE0EEENS1_30default_config_static_selectorELNS0_4arch9wavefront6targetE1EEEvT1_,comdat
.Lfunc_end2119:
	.size	_ZN7rocprim17ROCPRIM_400000_NS6detail17trampoline_kernelINS0_14default_configENS1_20scan_config_selectorIyEEZZNS1_9scan_implILNS1_25lookback_scan_determinismE0ELb0ELb0ES3_N6thrust23THRUST_200600_302600_NS6detail15normal_iteratorINS9_10device_ptrIyEEEESE_y11max_functorIyEyEEDaPvRmT3_T4_T5_mT6_P12ihipStream_tbENKUlT_T0_E_clISt17integral_constantIbLb1EESU_EEDaSP_SQ_EUlSP_E_NS1_11comp_targetILNS1_3genE3ELNS1_11target_archE908ELNS1_3gpuE7ELNS1_3repE0EEENS1_30default_config_static_selectorELNS0_4arch9wavefront6targetE1EEEvT1_, .Lfunc_end2119-_ZN7rocprim17ROCPRIM_400000_NS6detail17trampoline_kernelINS0_14default_configENS1_20scan_config_selectorIyEEZZNS1_9scan_implILNS1_25lookback_scan_determinismE0ELb0ELb0ES3_N6thrust23THRUST_200600_302600_NS6detail15normal_iteratorINS9_10device_ptrIyEEEESE_y11max_functorIyEyEEDaPvRmT3_T4_T5_mT6_P12ihipStream_tbENKUlT_T0_E_clISt17integral_constantIbLb1EESU_EEDaSP_SQ_EUlSP_E_NS1_11comp_targetILNS1_3genE3ELNS1_11target_archE908ELNS1_3gpuE7ELNS1_3repE0EEENS1_30default_config_static_selectorELNS0_4arch9wavefront6targetE1EEEvT1_
                                        ; -- End function
	.section	.AMDGPU.csdata,"",@progbits
; Kernel info:
; codeLenInByte = 0
; NumSgprs: 4
; NumVgprs: 0
; NumAgprs: 0
; TotalNumVgprs: 0
; ScratchSize: 0
; MemoryBound: 0
; FloatMode: 240
; IeeeMode: 1
; LDSByteSize: 0 bytes/workgroup (compile time only)
; SGPRBlocks: 0
; VGPRBlocks: 0
; NumSGPRsForWavesPerEU: 4
; NumVGPRsForWavesPerEU: 1
; AccumOffset: 4
; Occupancy: 8
; WaveLimiterHint : 0
; COMPUTE_PGM_RSRC2:SCRATCH_EN: 0
; COMPUTE_PGM_RSRC2:USER_SGPR: 6
; COMPUTE_PGM_RSRC2:TRAP_HANDLER: 0
; COMPUTE_PGM_RSRC2:TGID_X_EN: 1
; COMPUTE_PGM_RSRC2:TGID_Y_EN: 0
; COMPUTE_PGM_RSRC2:TGID_Z_EN: 0
; COMPUTE_PGM_RSRC2:TIDIG_COMP_CNT: 0
; COMPUTE_PGM_RSRC3_GFX90A:ACCUM_OFFSET: 0
; COMPUTE_PGM_RSRC3_GFX90A:TG_SPLIT: 0
	.section	.text._ZN7rocprim17ROCPRIM_400000_NS6detail17trampoline_kernelINS0_14default_configENS1_20scan_config_selectorIyEEZZNS1_9scan_implILNS1_25lookback_scan_determinismE0ELb0ELb0ES3_N6thrust23THRUST_200600_302600_NS6detail15normal_iteratorINS9_10device_ptrIyEEEESE_y11max_functorIyEyEEDaPvRmT3_T4_T5_mT6_P12ihipStream_tbENKUlT_T0_E_clISt17integral_constantIbLb1EESU_EEDaSP_SQ_EUlSP_E_NS1_11comp_targetILNS1_3genE2ELNS1_11target_archE906ELNS1_3gpuE6ELNS1_3repE0EEENS1_30default_config_static_selectorELNS0_4arch9wavefront6targetE1EEEvT1_,"axG",@progbits,_ZN7rocprim17ROCPRIM_400000_NS6detail17trampoline_kernelINS0_14default_configENS1_20scan_config_selectorIyEEZZNS1_9scan_implILNS1_25lookback_scan_determinismE0ELb0ELb0ES3_N6thrust23THRUST_200600_302600_NS6detail15normal_iteratorINS9_10device_ptrIyEEEESE_y11max_functorIyEyEEDaPvRmT3_T4_T5_mT6_P12ihipStream_tbENKUlT_T0_E_clISt17integral_constantIbLb1EESU_EEDaSP_SQ_EUlSP_E_NS1_11comp_targetILNS1_3genE2ELNS1_11target_archE906ELNS1_3gpuE6ELNS1_3repE0EEENS1_30default_config_static_selectorELNS0_4arch9wavefront6targetE1EEEvT1_,comdat
	.protected	_ZN7rocprim17ROCPRIM_400000_NS6detail17trampoline_kernelINS0_14default_configENS1_20scan_config_selectorIyEEZZNS1_9scan_implILNS1_25lookback_scan_determinismE0ELb0ELb0ES3_N6thrust23THRUST_200600_302600_NS6detail15normal_iteratorINS9_10device_ptrIyEEEESE_y11max_functorIyEyEEDaPvRmT3_T4_T5_mT6_P12ihipStream_tbENKUlT_T0_E_clISt17integral_constantIbLb1EESU_EEDaSP_SQ_EUlSP_E_NS1_11comp_targetILNS1_3genE2ELNS1_11target_archE906ELNS1_3gpuE6ELNS1_3repE0EEENS1_30default_config_static_selectorELNS0_4arch9wavefront6targetE1EEEvT1_ ; -- Begin function _ZN7rocprim17ROCPRIM_400000_NS6detail17trampoline_kernelINS0_14default_configENS1_20scan_config_selectorIyEEZZNS1_9scan_implILNS1_25lookback_scan_determinismE0ELb0ELb0ES3_N6thrust23THRUST_200600_302600_NS6detail15normal_iteratorINS9_10device_ptrIyEEEESE_y11max_functorIyEyEEDaPvRmT3_T4_T5_mT6_P12ihipStream_tbENKUlT_T0_E_clISt17integral_constantIbLb1EESU_EEDaSP_SQ_EUlSP_E_NS1_11comp_targetILNS1_3genE2ELNS1_11target_archE906ELNS1_3gpuE6ELNS1_3repE0EEENS1_30default_config_static_selectorELNS0_4arch9wavefront6targetE1EEEvT1_
	.globl	_ZN7rocprim17ROCPRIM_400000_NS6detail17trampoline_kernelINS0_14default_configENS1_20scan_config_selectorIyEEZZNS1_9scan_implILNS1_25lookback_scan_determinismE0ELb0ELb0ES3_N6thrust23THRUST_200600_302600_NS6detail15normal_iteratorINS9_10device_ptrIyEEEESE_y11max_functorIyEyEEDaPvRmT3_T4_T5_mT6_P12ihipStream_tbENKUlT_T0_E_clISt17integral_constantIbLb1EESU_EEDaSP_SQ_EUlSP_E_NS1_11comp_targetILNS1_3genE2ELNS1_11target_archE906ELNS1_3gpuE6ELNS1_3repE0EEENS1_30default_config_static_selectorELNS0_4arch9wavefront6targetE1EEEvT1_
	.p2align	8
	.type	_ZN7rocprim17ROCPRIM_400000_NS6detail17trampoline_kernelINS0_14default_configENS1_20scan_config_selectorIyEEZZNS1_9scan_implILNS1_25lookback_scan_determinismE0ELb0ELb0ES3_N6thrust23THRUST_200600_302600_NS6detail15normal_iteratorINS9_10device_ptrIyEEEESE_y11max_functorIyEyEEDaPvRmT3_T4_T5_mT6_P12ihipStream_tbENKUlT_T0_E_clISt17integral_constantIbLb1EESU_EEDaSP_SQ_EUlSP_E_NS1_11comp_targetILNS1_3genE2ELNS1_11target_archE906ELNS1_3gpuE6ELNS1_3repE0EEENS1_30default_config_static_selectorELNS0_4arch9wavefront6targetE1EEEvT1_,@function
_ZN7rocprim17ROCPRIM_400000_NS6detail17trampoline_kernelINS0_14default_configENS1_20scan_config_selectorIyEEZZNS1_9scan_implILNS1_25lookback_scan_determinismE0ELb0ELb0ES3_N6thrust23THRUST_200600_302600_NS6detail15normal_iteratorINS9_10device_ptrIyEEEESE_y11max_functorIyEyEEDaPvRmT3_T4_T5_mT6_P12ihipStream_tbENKUlT_T0_E_clISt17integral_constantIbLb1EESU_EEDaSP_SQ_EUlSP_E_NS1_11comp_targetILNS1_3genE2ELNS1_11target_archE906ELNS1_3gpuE6ELNS1_3repE0EEENS1_30default_config_static_selectorELNS0_4arch9wavefront6targetE1EEEvT1_: ; @_ZN7rocprim17ROCPRIM_400000_NS6detail17trampoline_kernelINS0_14default_configENS1_20scan_config_selectorIyEEZZNS1_9scan_implILNS1_25lookback_scan_determinismE0ELb0ELb0ES3_N6thrust23THRUST_200600_302600_NS6detail15normal_iteratorINS9_10device_ptrIyEEEESE_y11max_functorIyEyEEDaPvRmT3_T4_T5_mT6_P12ihipStream_tbENKUlT_T0_E_clISt17integral_constantIbLb1EESU_EEDaSP_SQ_EUlSP_E_NS1_11comp_targetILNS1_3genE2ELNS1_11target_archE906ELNS1_3gpuE6ELNS1_3repE0EEENS1_30default_config_static_selectorELNS0_4arch9wavefront6targetE1EEEvT1_
; %bb.0:
	.section	.rodata,"a",@progbits
	.p2align	6, 0x0
	.amdhsa_kernel _ZN7rocprim17ROCPRIM_400000_NS6detail17trampoline_kernelINS0_14default_configENS1_20scan_config_selectorIyEEZZNS1_9scan_implILNS1_25lookback_scan_determinismE0ELb0ELb0ES3_N6thrust23THRUST_200600_302600_NS6detail15normal_iteratorINS9_10device_ptrIyEEEESE_y11max_functorIyEyEEDaPvRmT3_T4_T5_mT6_P12ihipStream_tbENKUlT_T0_E_clISt17integral_constantIbLb1EESU_EEDaSP_SQ_EUlSP_E_NS1_11comp_targetILNS1_3genE2ELNS1_11target_archE906ELNS1_3gpuE6ELNS1_3repE0EEENS1_30default_config_static_selectorELNS0_4arch9wavefront6targetE1EEEvT1_
		.amdhsa_group_segment_fixed_size 0
		.amdhsa_private_segment_fixed_size 0
		.amdhsa_kernarg_size 104
		.amdhsa_user_sgpr_count 6
		.amdhsa_user_sgpr_private_segment_buffer 1
		.amdhsa_user_sgpr_dispatch_ptr 0
		.amdhsa_user_sgpr_queue_ptr 0
		.amdhsa_user_sgpr_kernarg_segment_ptr 1
		.amdhsa_user_sgpr_dispatch_id 0
		.amdhsa_user_sgpr_flat_scratch_init 0
		.amdhsa_user_sgpr_kernarg_preload_length 0
		.amdhsa_user_sgpr_kernarg_preload_offset 0
		.amdhsa_user_sgpr_private_segment_size 0
		.amdhsa_uses_dynamic_stack 0
		.amdhsa_system_sgpr_private_segment_wavefront_offset 0
		.amdhsa_system_sgpr_workgroup_id_x 1
		.amdhsa_system_sgpr_workgroup_id_y 0
		.amdhsa_system_sgpr_workgroup_id_z 0
		.amdhsa_system_sgpr_workgroup_info 0
		.amdhsa_system_vgpr_workitem_id 0
		.amdhsa_next_free_vgpr 1
		.amdhsa_next_free_sgpr 0
		.amdhsa_accum_offset 4
		.amdhsa_reserve_vcc 0
		.amdhsa_reserve_flat_scratch 0
		.amdhsa_float_round_mode_32 0
		.amdhsa_float_round_mode_16_64 0
		.amdhsa_float_denorm_mode_32 3
		.amdhsa_float_denorm_mode_16_64 3
		.amdhsa_dx10_clamp 1
		.amdhsa_ieee_mode 1
		.amdhsa_fp16_overflow 0
		.amdhsa_tg_split 0
		.amdhsa_exception_fp_ieee_invalid_op 0
		.amdhsa_exception_fp_denorm_src 0
		.amdhsa_exception_fp_ieee_div_zero 0
		.amdhsa_exception_fp_ieee_overflow 0
		.amdhsa_exception_fp_ieee_underflow 0
		.amdhsa_exception_fp_ieee_inexact 0
		.amdhsa_exception_int_div_zero 0
	.end_amdhsa_kernel
	.section	.text._ZN7rocprim17ROCPRIM_400000_NS6detail17trampoline_kernelINS0_14default_configENS1_20scan_config_selectorIyEEZZNS1_9scan_implILNS1_25lookback_scan_determinismE0ELb0ELb0ES3_N6thrust23THRUST_200600_302600_NS6detail15normal_iteratorINS9_10device_ptrIyEEEESE_y11max_functorIyEyEEDaPvRmT3_T4_T5_mT6_P12ihipStream_tbENKUlT_T0_E_clISt17integral_constantIbLb1EESU_EEDaSP_SQ_EUlSP_E_NS1_11comp_targetILNS1_3genE2ELNS1_11target_archE906ELNS1_3gpuE6ELNS1_3repE0EEENS1_30default_config_static_selectorELNS0_4arch9wavefront6targetE1EEEvT1_,"axG",@progbits,_ZN7rocprim17ROCPRIM_400000_NS6detail17trampoline_kernelINS0_14default_configENS1_20scan_config_selectorIyEEZZNS1_9scan_implILNS1_25lookback_scan_determinismE0ELb0ELb0ES3_N6thrust23THRUST_200600_302600_NS6detail15normal_iteratorINS9_10device_ptrIyEEEESE_y11max_functorIyEyEEDaPvRmT3_T4_T5_mT6_P12ihipStream_tbENKUlT_T0_E_clISt17integral_constantIbLb1EESU_EEDaSP_SQ_EUlSP_E_NS1_11comp_targetILNS1_3genE2ELNS1_11target_archE906ELNS1_3gpuE6ELNS1_3repE0EEENS1_30default_config_static_selectorELNS0_4arch9wavefront6targetE1EEEvT1_,comdat
.Lfunc_end2120:
	.size	_ZN7rocprim17ROCPRIM_400000_NS6detail17trampoline_kernelINS0_14default_configENS1_20scan_config_selectorIyEEZZNS1_9scan_implILNS1_25lookback_scan_determinismE0ELb0ELb0ES3_N6thrust23THRUST_200600_302600_NS6detail15normal_iteratorINS9_10device_ptrIyEEEESE_y11max_functorIyEyEEDaPvRmT3_T4_T5_mT6_P12ihipStream_tbENKUlT_T0_E_clISt17integral_constantIbLb1EESU_EEDaSP_SQ_EUlSP_E_NS1_11comp_targetILNS1_3genE2ELNS1_11target_archE906ELNS1_3gpuE6ELNS1_3repE0EEENS1_30default_config_static_selectorELNS0_4arch9wavefront6targetE1EEEvT1_, .Lfunc_end2120-_ZN7rocprim17ROCPRIM_400000_NS6detail17trampoline_kernelINS0_14default_configENS1_20scan_config_selectorIyEEZZNS1_9scan_implILNS1_25lookback_scan_determinismE0ELb0ELb0ES3_N6thrust23THRUST_200600_302600_NS6detail15normal_iteratorINS9_10device_ptrIyEEEESE_y11max_functorIyEyEEDaPvRmT3_T4_T5_mT6_P12ihipStream_tbENKUlT_T0_E_clISt17integral_constantIbLb1EESU_EEDaSP_SQ_EUlSP_E_NS1_11comp_targetILNS1_3genE2ELNS1_11target_archE906ELNS1_3gpuE6ELNS1_3repE0EEENS1_30default_config_static_selectorELNS0_4arch9wavefront6targetE1EEEvT1_
                                        ; -- End function
	.section	.AMDGPU.csdata,"",@progbits
; Kernel info:
; codeLenInByte = 0
; NumSgprs: 4
; NumVgprs: 0
; NumAgprs: 0
; TotalNumVgprs: 0
; ScratchSize: 0
; MemoryBound: 0
; FloatMode: 240
; IeeeMode: 1
; LDSByteSize: 0 bytes/workgroup (compile time only)
; SGPRBlocks: 0
; VGPRBlocks: 0
; NumSGPRsForWavesPerEU: 4
; NumVGPRsForWavesPerEU: 1
; AccumOffset: 4
; Occupancy: 8
; WaveLimiterHint : 0
; COMPUTE_PGM_RSRC2:SCRATCH_EN: 0
; COMPUTE_PGM_RSRC2:USER_SGPR: 6
; COMPUTE_PGM_RSRC2:TRAP_HANDLER: 0
; COMPUTE_PGM_RSRC2:TGID_X_EN: 1
; COMPUTE_PGM_RSRC2:TGID_Y_EN: 0
; COMPUTE_PGM_RSRC2:TGID_Z_EN: 0
; COMPUTE_PGM_RSRC2:TIDIG_COMP_CNT: 0
; COMPUTE_PGM_RSRC3_GFX90A:ACCUM_OFFSET: 0
; COMPUTE_PGM_RSRC3_GFX90A:TG_SPLIT: 0
	.section	.text._ZN7rocprim17ROCPRIM_400000_NS6detail17trampoline_kernelINS0_14default_configENS1_20scan_config_selectorIyEEZZNS1_9scan_implILNS1_25lookback_scan_determinismE0ELb0ELb0ES3_N6thrust23THRUST_200600_302600_NS6detail15normal_iteratorINS9_10device_ptrIyEEEESE_y11max_functorIyEyEEDaPvRmT3_T4_T5_mT6_P12ihipStream_tbENKUlT_T0_E_clISt17integral_constantIbLb1EESU_EEDaSP_SQ_EUlSP_E_NS1_11comp_targetILNS1_3genE10ELNS1_11target_archE1201ELNS1_3gpuE5ELNS1_3repE0EEENS1_30default_config_static_selectorELNS0_4arch9wavefront6targetE1EEEvT1_,"axG",@progbits,_ZN7rocprim17ROCPRIM_400000_NS6detail17trampoline_kernelINS0_14default_configENS1_20scan_config_selectorIyEEZZNS1_9scan_implILNS1_25lookback_scan_determinismE0ELb0ELb0ES3_N6thrust23THRUST_200600_302600_NS6detail15normal_iteratorINS9_10device_ptrIyEEEESE_y11max_functorIyEyEEDaPvRmT3_T4_T5_mT6_P12ihipStream_tbENKUlT_T0_E_clISt17integral_constantIbLb1EESU_EEDaSP_SQ_EUlSP_E_NS1_11comp_targetILNS1_3genE10ELNS1_11target_archE1201ELNS1_3gpuE5ELNS1_3repE0EEENS1_30default_config_static_selectorELNS0_4arch9wavefront6targetE1EEEvT1_,comdat
	.protected	_ZN7rocprim17ROCPRIM_400000_NS6detail17trampoline_kernelINS0_14default_configENS1_20scan_config_selectorIyEEZZNS1_9scan_implILNS1_25lookback_scan_determinismE0ELb0ELb0ES3_N6thrust23THRUST_200600_302600_NS6detail15normal_iteratorINS9_10device_ptrIyEEEESE_y11max_functorIyEyEEDaPvRmT3_T4_T5_mT6_P12ihipStream_tbENKUlT_T0_E_clISt17integral_constantIbLb1EESU_EEDaSP_SQ_EUlSP_E_NS1_11comp_targetILNS1_3genE10ELNS1_11target_archE1201ELNS1_3gpuE5ELNS1_3repE0EEENS1_30default_config_static_selectorELNS0_4arch9wavefront6targetE1EEEvT1_ ; -- Begin function _ZN7rocprim17ROCPRIM_400000_NS6detail17trampoline_kernelINS0_14default_configENS1_20scan_config_selectorIyEEZZNS1_9scan_implILNS1_25lookback_scan_determinismE0ELb0ELb0ES3_N6thrust23THRUST_200600_302600_NS6detail15normal_iteratorINS9_10device_ptrIyEEEESE_y11max_functorIyEyEEDaPvRmT3_T4_T5_mT6_P12ihipStream_tbENKUlT_T0_E_clISt17integral_constantIbLb1EESU_EEDaSP_SQ_EUlSP_E_NS1_11comp_targetILNS1_3genE10ELNS1_11target_archE1201ELNS1_3gpuE5ELNS1_3repE0EEENS1_30default_config_static_selectorELNS0_4arch9wavefront6targetE1EEEvT1_
	.globl	_ZN7rocprim17ROCPRIM_400000_NS6detail17trampoline_kernelINS0_14default_configENS1_20scan_config_selectorIyEEZZNS1_9scan_implILNS1_25lookback_scan_determinismE0ELb0ELb0ES3_N6thrust23THRUST_200600_302600_NS6detail15normal_iteratorINS9_10device_ptrIyEEEESE_y11max_functorIyEyEEDaPvRmT3_T4_T5_mT6_P12ihipStream_tbENKUlT_T0_E_clISt17integral_constantIbLb1EESU_EEDaSP_SQ_EUlSP_E_NS1_11comp_targetILNS1_3genE10ELNS1_11target_archE1201ELNS1_3gpuE5ELNS1_3repE0EEENS1_30default_config_static_selectorELNS0_4arch9wavefront6targetE1EEEvT1_
	.p2align	8
	.type	_ZN7rocprim17ROCPRIM_400000_NS6detail17trampoline_kernelINS0_14default_configENS1_20scan_config_selectorIyEEZZNS1_9scan_implILNS1_25lookback_scan_determinismE0ELb0ELb0ES3_N6thrust23THRUST_200600_302600_NS6detail15normal_iteratorINS9_10device_ptrIyEEEESE_y11max_functorIyEyEEDaPvRmT3_T4_T5_mT6_P12ihipStream_tbENKUlT_T0_E_clISt17integral_constantIbLb1EESU_EEDaSP_SQ_EUlSP_E_NS1_11comp_targetILNS1_3genE10ELNS1_11target_archE1201ELNS1_3gpuE5ELNS1_3repE0EEENS1_30default_config_static_selectorELNS0_4arch9wavefront6targetE1EEEvT1_,@function
_ZN7rocprim17ROCPRIM_400000_NS6detail17trampoline_kernelINS0_14default_configENS1_20scan_config_selectorIyEEZZNS1_9scan_implILNS1_25lookback_scan_determinismE0ELb0ELb0ES3_N6thrust23THRUST_200600_302600_NS6detail15normal_iteratorINS9_10device_ptrIyEEEESE_y11max_functorIyEyEEDaPvRmT3_T4_T5_mT6_P12ihipStream_tbENKUlT_T0_E_clISt17integral_constantIbLb1EESU_EEDaSP_SQ_EUlSP_E_NS1_11comp_targetILNS1_3genE10ELNS1_11target_archE1201ELNS1_3gpuE5ELNS1_3repE0EEENS1_30default_config_static_selectorELNS0_4arch9wavefront6targetE1EEEvT1_: ; @_ZN7rocprim17ROCPRIM_400000_NS6detail17trampoline_kernelINS0_14default_configENS1_20scan_config_selectorIyEEZZNS1_9scan_implILNS1_25lookback_scan_determinismE0ELb0ELb0ES3_N6thrust23THRUST_200600_302600_NS6detail15normal_iteratorINS9_10device_ptrIyEEEESE_y11max_functorIyEyEEDaPvRmT3_T4_T5_mT6_P12ihipStream_tbENKUlT_T0_E_clISt17integral_constantIbLb1EESU_EEDaSP_SQ_EUlSP_E_NS1_11comp_targetILNS1_3genE10ELNS1_11target_archE1201ELNS1_3gpuE5ELNS1_3repE0EEENS1_30default_config_static_selectorELNS0_4arch9wavefront6targetE1EEEvT1_
; %bb.0:
	.section	.rodata,"a",@progbits
	.p2align	6, 0x0
	.amdhsa_kernel _ZN7rocprim17ROCPRIM_400000_NS6detail17trampoline_kernelINS0_14default_configENS1_20scan_config_selectorIyEEZZNS1_9scan_implILNS1_25lookback_scan_determinismE0ELb0ELb0ES3_N6thrust23THRUST_200600_302600_NS6detail15normal_iteratorINS9_10device_ptrIyEEEESE_y11max_functorIyEyEEDaPvRmT3_T4_T5_mT6_P12ihipStream_tbENKUlT_T0_E_clISt17integral_constantIbLb1EESU_EEDaSP_SQ_EUlSP_E_NS1_11comp_targetILNS1_3genE10ELNS1_11target_archE1201ELNS1_3gpuE5ELNS1_3repE0EEENS1_30default_config_static_selectorELNS0_4arch9wavefront6targetE1EEEvT1_
		.amdhsa_group_segment_fixed_size 0
		.amdhsa_private_segment_fixed_size 0
		.amdhsa_kernarg_size 104
		.amdhsa_user_sgpr_count 6
		.amdhsa_user_sgpr_private_segment_buffer 1
		.amdhsa_user_sgpr_dispatch_ptr 0
		.amdhsa_user_sgpr_queue_ptr 0
		.amdhsa_user_sgpr_kernarg_segment_ptr 1
		.amdhsa_user_sgpr_dispatch_id 0
		.amdhsa_user_sgpr_flat_scratch_init 0
		.amdhsa_user_sgpr_kernarg_preload_length 0
		.amdhsa_user_sgpr_kernarg_preload_offset 0
		.amdhsa_user_sgpr_private_segment_size 0
		.amdhsa_uses_dynamic_stack 0
		.amdhsa_system_sgpr_private_segment_wavefront_offset 0
		.amdhsa_system_sgpr_workgroup_id_x 1
		.amdhsa_system_sgpr_workgroup_id_y 0
		.amdhsa_system_sgpr_workgroup_id_z 0
		.amdhsa_system_sgpr_workgroup_info 0
		.amdhsa_system_vgpr_workitem_id 0
		.amdhsa_next_free_vgpr 1
		.amdhsa_next_free_sgpr 0
		.amdhsa_accum_offset 4
		.amdhsa_reserve_vcc 0
		.amdhsa_reserve_flat_scratch 0
		.amdhsa_float_round_mode_32 0
		.amdhsa_float_round_mode_16_64 0
		.amdhsa_float_denorm_mode_32 3
		.amdhsa_float_denorm_mode_16_64 3
		.amdhsa_dx10_clamp 1
		.amdhsa_ieee_mode 1
		.amdhsa_fp16_overflow 0
		.amdhsa_tg_split 0
		.amdhsa_exception_fp_ieee_invalid_op 0
		.amdhsa_exception_fp_denorm_src 0
		.amdhsa_exception_fp_ieee_div_zero 0
		.amdhsa_exception_fp_ieee_overflow 0
		.amdhsa_exception_fp_ieee_underflow 0
		.amdhsa_exception_fp_ieee_inexact 0
		.amdhsa_exception_int_div_zero 0
	.end_amdhsa_kernel
	.section	.text._ZN7rocprim17ROCPRIM_400000_NS6detail17trampoline_kernelINS0_14default_configENS1_20scan_config_selectorIyEEZZNS1_9scan_implILNS1_25lookback_scan_determinismE0ELb0ELb0ES3_N6thrust23THRUST_200600_302600_NS6detail15normal_iteratorINS9_10device_ptrIyEEEESE_y11max_functorIyEyEEDaPvRmT3_T4_T5_mT6_P12ihipStream_tbENKUlT_T0_E_clISt17integral_constantIbLb1EESU_EEDaSP_SQ_EUlSP_E_NS1_11comp_targetILNS1_3genE10ELNS1_11target_archE1201ELNS1_3gpuE5ELNS1_3repE0EEENS1_30default_config_static_selectorELNS0_4arch9wavefront6targetE1EEEvT1_,"axG",@progbits,_ZN7rocprim17ROCPRIM_400000_NS6detail17trampoline_kernelINS0_14default_configENS1_20scan_config_selectorIyEEZZNS1_9scan_implILNS1_25lookback_scan_determinismE0ELb0ELb0ES3_N6thrust23THRUST_200600_302600_NS6detail15normal_iteratorINS9_10device_ptrIyEEEESE_y11max_functorIyEyEEDaPvRmT3_T4_T5_mT6_P12ihipStream_tbENKUlT_T0_E_clISt17integral_constantIbLb1EESU_EEDaSP_SQ_EUlSP_E_NS1_11comp_targetILNS1_3genE10ELNS1_11target_archE1201ELNS1_3gpuE5ELNS1_3repE0EEENS1_30default_config_static_selectorELNS0_4arch9wavefront6targetE1EEEvT1_,comdat
.Lfunc_end2121:
	.size	_ZN7rocprim17ROCPRIM_400000_NS6detail17trampoline_kernelINS0_14default_configENS1_20scan_config_selectorIyEEZZNS1_9scan_implILNS1_25lookback_scan_determinismE0ELb0ELb0ES3_N6thrust23THRUST_200600_302600_NS6detail15normal_iteratorINS9_10device_ptrIyEEEESE_y11max_functorIyEyEEDaPvRmT3_T4_T5_mT6_P12ihipStream_tbENKUlT_T0_E_clISt17integral_constantIbLb1EESU_EEDaSP_SQ_EUlSP_E_NS1_11comp_targetILNS1_3genE10ELNS1_11target_archE1201ELNS1_3gpuE5ELNS1_3repE0EEENS1_30default_config_static_selectorELNS0_4arch9wavefront6targetE1EEEvT1_, .Lfunc_end2121-_ZN7rocprim17ROCPRIM_400000_NS6detail17trampoline_kernelINS0_14default_configENS1_20scan_config_selectorIyEEZZNS1_9scan_implILNS1_25lookback_scan_determinismE0ELb0ELb0ES3_N6thrust23THRUST_200600_302600_NS6detail15normal_iteratorINS9_10device_ptrIyEEEESE_y11max_functorIyEyEEDaPvRmT3_T4_T5_mT6_P12ihipStream_tbENKUlT_T0_E_clISt17integral_constantIbLb1EESU_EEDaSP_SQ_EUlSP_E_NS1_11comp_targetILNS1_3genE10ELNS1_11target_archE1201ELNS1_3gpuE5ELNS1_3repE0EEENS1_30default_config_static_selectorELNS0_4arch9wavefront6targetE1EEEvT1_
                                        ; -- End function
	.section	.AMDGPU.csdata,"",@progbits
; Kernel info:
; codeLenInByte = 0
; NumSgprs: 4
; NumVgprs: 0
; NumAgprs: 0
; TotalNumVgprs: 0
; ScratchSize: 0
; MemoryBound: 0
; FloatMode: 240
; IeeeMode: 1
; LDSByteSize: 0 bytes/workgroup (compile time only)
; SGPRBlocks: 0
; VGPRBlocks: 0
; NumSGPRsForWavesPerEU: 4
; NumVGPRsForWavesPerEU: 1
; AccumOffset: 4
; Occupancy: 8
; WaveLimiterHint : 0
; COMPUTE_PGM_RSRC2:SCRATCH_EN: 0
; COMPUTE_PGM_RSRC2:USER_SGPR: 6
; COMPUTE_PGM_RSRC2:TRAP_HANDLER: 0
; COMPUTE_PGM_RSRC2:TGID_X_EN: 1
; COMPUTE_PGM_RSRC2:TGID_Y_EN: 0
; COMPUTE_PGM_RSRC2:TGID_Z_EN: 0
; COMPUTE_PGM_RSRC2:TIDIG_COMP_CNT: 0
; COMPUTE_PGM_RSRC3_GFX90A:ACCUM_OFFSET: 0
; COMPUTE_PGM_RSRC3_GFX90A:TG_SPLIT: 0
	.section	.text._ZN7rocprim17ROCPRIM_400000_NS6detail17trampoline_kernelINS0_14default_configENS1_20scan_config_selectorIyEEZZNS1_9scan_implILNS1_25lookback_scan_determinismE0ELb0ELb0ES3_N6thrust23THRUST_200600_302600_NS6detail15normal_iteratorINS9_10device_ptrIyEEEESE_y11max_functorIyEyEEDaPvRmT3_T4_T5_mT6_P12ihipStream_tbENKUlT_T0_E_clISt17integral_constantIbLb1EESU_EEDaSP_SQ_EUlSP_E_NS1_11comp_targetILNS1_3genE10ELNS1_11target_archE1200ELNS1_3gpuE4ELNS1_3repE0EEENS1_30default_config_static_selectorELNS0_4arch9wavefront6targetE1EEEvT1_,"axG",@progbits,_ZN7rocprim17ROCPRIM_400000_NS6detail17trampoline_kernelINS0_14default_configENS1_20scan_config_selectorIyEEZZNS1_9scan_implILNS1_25lookback_scan_determinismE0ELb0ELb0ES3_N6thrust23THRUST_200600_302600_NS6detail15normal_iteratorINS9_10device_ptrIyEEEESE_y11max_functorIyEyEEDaPvRmT3_T4_T5_mT6_P12ihipStream_tbENKUlT_T0_E_clISt17integral_constantIbLb1EESU_EEDaSP_SQ_EUlSP_E_NS1_11comp_targetILNS1_3genE10ELNS1_11target_archE1200ELNS1_3gpuE4ELNS1_3repE0EEENS1_30default_config_static_selectorELNS0_4arch9wavefront6targetE1EEEvT1_,comdat
	.protected	_ZN7rocprim17ROCPRIM_400000_NS6detail17trampoline_kernelINS0_14default_configENS1_20scan_config_selectorIyEEZZNS1_9scan_implILNS1_25lookback_scan_determinismE0ELb0ELb0ES3_N6thrust23THRUST_200600_302600_NS6detail15normal_iteratorINS9_10device_ptrIyEEEESE_y11max_functorIyEyEEDaPvRmT3_T4_T5_mT6_P12ihipStream_tbENKUlT_T0_E_clISt17integral_constantIbLb1EESU_EEDaSP_SQ_EUlSP_E_NS1_11comp_targetILNS1_3genE10ELNS1_11target_archE1200ELNS1_3gpuE4ELNS1_3repE0EEENS1_30default_config_static_selectorELNS0_4arch9wavefront6targetE1EEEvT1_ ; -- Begin function _ZN7rocprim17ROCPRIM_400000_NS6detail17trampoline_kernelINS0_14default_configENS1_20scan_config_selectorIyEEZZNS1_9scan_implILNS1_25lookback_scan_determinismE0ELb0ELb0ES3_N6thrust23THRUST_200600_302600_NS6detail15normal_iteratorINS9_10device_ptrIyEEEESE_y11max_functorIyEyEEDaPvRmT3_T4_T5_mT6_P12ihipStream_tbENKUlT_T0_E_clISt17integral_constantIbLb1EESU_EEDaSP_SQ_EUlSP_E_NS1_11comp_targetILNS1_3genE10ELNS1_11target_archE1200ELNS1_3gpuE4ELNS1_3repE0EEENS1_30default_config_static_selectorELNS0_4arch9wavefront6targetE1EEEvT1_
	.globl	_ZN7rocprim17ROCPRIM_400000_NS6detail17trampoline_kernelINS0_14default_configENS1_20scan_config_selectorIyEEZZNS1_9scan_implILNS1_25lookback_scan_determinismE0ELb0ELb0ES3_N6thrust23THRUST_200600_302600_NS6detail15normal_iteratorINS9_10device_ptrIyEEEESE_y11max_functorIyEyEEDaPvRmT3_T4_T5_mT6_P12ihipStream_tbENKUlT_T0_E_clISt17integral_constantIbLb1EESU_EEDaSP_SQ_EUlSP_E_NS1_11comp_targetILNS1_3genE10ELNS1_11target_archE1200ELNS1_3gpuE4ELNS1_3repE0EEENS1_30default_config_static_selectorELNS0_4arch9wavefront6targetE1EEEvT1_
	.p2align	8
	.type	_ZN7rocprim17ROCPRIM_400000_NS6detail17trampoline_kernelINS0_14default_configENS1_20scan_config_selectorIyEEZZNS1_9scan_implILNS1_25lookback_scan_determinismE0ELb0ELb0ES3_N6thrust23THRUST_200600_302600_NS6detail15normal_iteratorINS9_10device_ptrIyEEEESE_y11max_functorIyEyEEDaPvRmT3_T4_T5_mT6_P12ihipStream_tbENKUlT_T0_E_clISt17integral_constantIbLb1EESU_EEDaSP_SQ_EUlSP_E_NS1_11comp_targetILNS1_3genE10ELNS1_11target_archE1200ELNS1_3gpuE4ELNS1_3repE0EEENS1_30default_config_static_selectorELNS0_4arch9wavefront6targetE1EEEvT1_,@function
_ZN7rocprim17ROCPRIM_400000_NS6detail17trampoline_kernelINS0_14default_configENS1_20scan_config_selectorIyEEZZNS1_9scan_implILNS1_25lookback_scan_determinismE0ELb0ELb0ES3_N6thrust23THRUST_200600_302600_NS6detail15normal_iteratorINS9_10device_ptrIyEEEESE_y11max_functorIyEyEEDaPvRmT3_T4_T5_mT6_P12ihipStream_tbENKUlT_T0_E_clISt17integral_constantIbLb1EESU_EEDaSP_SQ_EUlSP_E_NS1_11comp_targetILNS1_3genE10ELNS1_11target_archE1200ELNS1_3gpuE4ELNS1_3repE0EEENS1_30default_config_static_selectorELNS0_4arch9wavefront6targetE1EEEvT1_: ; @_ZN7rocprim17ROCPRIM_400000_NS6detail17trampoline_kernelINS0_14default_configENS1_20scan_config_selectorIyEEZZNS1_9scan_implILNS1_25lookback_scan_determinismE0ELb0ELb0ES3_N6thrust23THRUST_200600_302600_NS6detail15normal_iteratorINS9_10device_ptrIyEEEESE_y11max_functorIyEyEEDaPvRmT3_T4_T5_mT6_P12ihipStream_tbENKUlT_T0_E_clISt17integral_constantIbLb1EESU_EEDaSP_SQ_EUlSP_E_NS1_11comp_targetILNS1_3genE10ELNS1_11target_archE1200ELNS1_3gpuE4ELNS1_3repE0EEENS1_30default_config_static_selectorELNS0_4arch9wavefront6targetE1EEEvT1_
; %bb.0:
	.section	.rodata,"a",@progbits
	.p2align	6, 0x0
	.amdhsa_kernel _ZN7rocprim17ROCPRIM_400000_NS6detail17trampoline_kernelINS0_14default_configENS1_20scan_config_selectorIyEEZZNS1_9scan_implILNS1_25lookback_scan_determinismE0ELb0ELb0ES3_N6thrust23THRUST_200600_302600_NS6detail15normal_iteratorINS9_10device_ptrIyEEEESE_y11max_functorIyEyEEDaPvRmT3_T4_T5_mT6_P12ihipStream_tbENKUlT_T0_E_clISt17integral_constantIbLb1EESU_EEDaSP_SQ_EUlSP_E_NS1_11comp_targetILNS1_3genE10ELNS1_11target_archE1200ELNS1_3gpuE4ELNS1_3repE0EEENS1_30default_config_static_selectorELNS0_4arch9wavefront6targetE1EEEvT1_
		.amdhsa_group_segment_fixed_size 0
		.amdhsa_private_segment_fixed_size 0
		.amdhsa_kernarg_size 104
		.amdhsa_user_sgpr_count 6
		.amdhsa_user_sgpr_private_segment_buffer 1
		.amdhsa_user_sgpr_dispatch_ptr 0
		.amdhsa_user_sgpr_queue_ptr 0
		.amdhsa_user_sgpr_kernarg_segment_ptr 1
		.amdhsa_user_sgpr_dispatch_id 0
		.amdhsa_user_sgpr_flat_scratch_init 0
		.amdhsa_user_sgpr_kernarg_preload_length 0
		.amdhsa_user_sgpr_kernarg_preload_offset 0
		.amdhsa_user_sgpr_private_segment_size 0
		.amdhsa_uses_dynamic_stack 0
		.amdhsa_system_sgpr_private_segment_wavefront_offset 0
		.amdhsa_system_sgpr_workgroup_id_x 1
		.amdhsa_system_sgpr_workgroup_id_y 0
		.amdhsa_system_sgpr_workgroup_id_z 0
		.amdhsa_system_sgpr_workgroup_info 0
		.amdhsa_system_vgpr_workitem_id 0
		.amdhsa_next_free_vgpr 1
		.amdhsa_next_free_sgpr 0
		.amdhsa_accum_offset 4
		.amdhsa_reserve_vcc 0
		.amdhsa_reserve_flat_scratch 0
		.amdhsa_float_round_mode_32 0
		.amdhsa_float_round_mode_16_64 0
		.amdhsa_float_denorm_mode_32 3
		.amdhsa_float_denorm_mode_16_64 3
		.amdhsa_dx10_clamp 1
		.amdhsa_ieee_mode 1
		.amdhsa_fp16_overflow 0
		.amdhsa_tg_split 0
		.amdhsa_exception_fp_ieee_invalid_op 0
		.amdhsa_exception_fp_denorm_src 0
		.amdhsa_exception_fp_ieee_div_zero 0
		.amdhsa_exception_fp_ieee_overflow 0
		.amdhsa_exception_fp_ieee_underflow 0
		.amdhsa_exception_fp_ieee_inexact 0
		.amdhsa_exception_int_div_zero 0
	.end_amdhsa_kernel
	.section	.text._ZN7rocprim17ROCPRIM_400000_NS6detail17trampoline_kernelINS0_14default_configENS1_20scan_config_selectorIyEEZZNS1_9scan_implILNS1_25lookback_scan_determinismE0ELb0ELb0ES3_N6thrust23THRUST_200600_302600_NS6detail15normal_iteratorINS9_10device_ptrIyEEEESE_y11max_functorIyEyEEDaPvRmT3_T4_T5_mT6_P12ihipStream_tbENKUlT_T0_E_clISt17integral_constantIbLb1EESU_EEDaSP_SQ_EUlSP_E_NS1_11comp_targetILNS1_3genE10ELNS1_11target_archE1200ELNS1_3gpuE4ELNS1_3repE0EEENS1_30default_config_static_selectorELNS0_4arch9wavefront6targetE1EEEvT1_,"axG",@progbits,_ZN7rocprim17ROCPRIM_400000_NS6detail17trampoline_kernelINS0_14default_configENS1_20scan_config_selectorIyEEZZNS1_9scan_implILNS1_25lookback_scan_determinismE0ELb0ELb0ES3_N6thrust23THRUST_200600_302600_NS6detail15normal_iteratorINS9_10device_ptrIyEEEESE_y11max_functorIyEyEEDaPvRmT3_T4_T5_mT6_P12ihipStream_tbENKUlT_T0_E_clISt17integral_constantIbLb1EESU_EEDaSP_SQ_EUlSP_E_NS1_11comp_targetILNS1_3genE10ELNS1_11target_archE1200ELNS1_3gpuE4ELNS1_3repE0EEENS1_30default_config_static_selectorELNS0_4arch9wavefront6targetE1EEEvT1_,comdat
.Lfunc_end2122:
	.size	_ZN7rocprim17ROCPRIM_400000_NS6detail17trampoline_kernelINS0_14default_configENS1_20scan_config_selectorIyEEZZNS1_9scan_implILNS1_25lookback_scan_determinismE0ELb0ELb0ES3_N6thrust23THRUST_200600_302600_NS6detail15normal_iteratorINS9_10device_ptrIyEEEESE_y11max_functorIyEyEEDaPvRmT3_T4_T5_mT6_P12ihipStream_tbENKUlT_T0_E_clISt17integral_constantIbLb1EESU_EEDaSP_SQ_EUlSP_E_NS1_11comp_targetILNS1_3genE10ELNS1_11target_archE1200ELNS1_3gpuE4ELNS1_3repE0EEENS1_30default_config_static_selectorELNS0_4arch9wavefront6targetE1EEEvT1_, .Lfunc_end2122-_ZN7rocprim17ROCPRIM_400000_NS6detail17trampoline_kernelINS0_14default_configENS1_20scan_config_selectorIyEEZZNS1_9scan_implILNS1_25lookback_scan_determinismE0ELb0ELb0ES3_N6thrust23THRUST_200600_302600_NS6detail15normal_iteratorINS9_10device_ptrIyEEEESE_y11max_functorIyEyEEDaPvRmT3_T4_T5_mT6_P12ihipStream_tbENKUlT_T0_E_clISt17integral_constantIbLb1EESU_EEDaSP_SQ_EUlSP_E_NS1_11comp_targetILNS1_3genE10ELNS1_11target_archE1200ELNS1_3gpuE4ELNS1_3repE0EEENS1_30default_config_static_selectorELNS0_4arch9wavefront6targetE1EEEvT1_
                                        ; -- End function
	.section	.AMDGPU.csdata,"",@progbits
; Kernel info:
; codeLenInByte = 0
; NumSgprs: 4
; NumVgprs: 0
; NumAgprs: 0
; TotalNumVgprs: 0
; ScratchSize: 0
; MemoryBound: 0
; FloatMode: 240
; IeeeMode: 1
; LDSByteSize: 0 bytes/workgroup (compile time only)
; SGPRBlocks: 0
; VGPRBlocks: 0
; NumSGPRsForWavesPerEU: 4
; NumVGPRsForWavesPerEU: 1
; AccumOffset: 4
; Occupancy: 8
; WaveLimiterHint : 0
; COMPUTE_PGM_RSRC2:SCRATCH_EN: 0
; COMPUTE_PGM_RSRC2:USER_SGPR: 6
; COMPUTE_PGM_RSRC2:TRAP_HANDLER: 0
; COMPUTE_PGM_RSRC2:TGID_X_EN: 1
; COMPUTE_PGM_RSRC2:TGID_Y_EN: 0
; COMPUTE_PGM_RSRC2:TGID_Z_EN: 0
; COMPUTE_PGM_RSRC2:TIDIG_COMP_CNT: 0
; COMPUTE_PGM_RSRC3_GFX90A:ACCUM_OFFSET: 0
; COMPUTE_PGM_RSRC3_GFX90A:TG_SPLIT: 0
	.section	.text._ZN7rocprim17ROCPRIM_400000_NS6detail17trampoline_kernelINS0_14default_configENS1_20scan_config_selectorIyEEZZNS1_9scan_implILNS1_25lookback_scan_determinismE0ELb0ELb0ES3_N6thrust23THRUST_200600_302600_NS6detail15normal_iteratorINS9_10device_ptrIyEEEESE_y11max_functorIyEyEEDaPvRmT3_T4_T5_mT6_P12ihipStream_tbENKUlT_T0_E_clISt17integral_constantIbLb1EESU_EEDaSP_SQ_EUlSP_E_NS1_11comp_targetILNS1_3genE9ELNS1_11target_archE1100ELNS1_3gpuE3ELNS1_3repE0EEENS1_30default_config_static_selectorELNS0_4arch9wavefront6targetE1EEEvT1_,"axG",@progbits,_ZN7rocprim17ROCPRIM_400000_NS6detail17trampoline_kernelINS0_14default_configENS1_20scan_config_selectorIyEEZZNS1_9scan_implILNS1_25lookback_scan_determinismE0ELb0ELb0ES3_N6thrust23THRUST_200600_302600_NS6detail15normal_iteratorINS9_10device_ptrIyEEEESE_y11max_functorIyEyEEDaPvRmT3_T4_T5_mT6_P12ihipStream_tbENKUlT_T0_E_clISt17integral_constantIbLb1EESU_EEDaSP_SQ_EUlSP_E_NS1_11comp_targetILNS1_3genE9ELNS1_11target_archE1100ELNS1_3gpuE3ELNS1_3repE0EEENS1_30default_config_static_selectorELNS0_4arch9wavefront6targetE1EEEvT1_,comdat
	.protected	_ZN7rocprim17ROCPRIM_400000_NS6detail17trampoline_kernelINS0_14default_configENS1_20scan_config_selectorIyEEZZNS1_9scan_implILNS1_25lookback_scan_determinismE0ELb0ELb0ES3_N6thrust23THRUST_200600_302600_NS6detail15normal_iteratorINS9_10device_ptrIyEEEESE_y11max_functorIyEyEEDaPvRmT3_T4_T5_mT6_P12ihipStream_tbENKUlT_T0_E_clISt17integral_constantIbLb1EESU_EEDaSP_SQ_EUlSP_E_NS1_11comp_targetILNS1_3genE9ELNS1_11target_archE1100ELNS1_3gpuE3ELNS1_3repE0EEENS1_30default_config_static_selectorELNS0_4arch9wavefront6targetE1EEEvT1_ ; -- Begin function _ZN7rocprim17ROCPRIM_400000_NS6detail17trampoline_kernelINS0_14default_configENS1_20scan_config_selectorIyEEZZNS1_9scan_implILNS1_25lookback_scan_determinismE0ELb0ELb0ES3_N6thrust23THRUST_200600_302600_NS6detail15normal_iteratorINS9_10device_ptrIyEEEESE_y11max_functorIyEyEEDaPvRmT3_T4_T5_mT6_P12ihipStream_tbENKUlT_T0_E_clISt17integral_constantIbLb1EESU_EEDaSP_SQ_EUlSP_E_NS1_11comp_targetILNS1_3genE9ELNS1_11target_archE1100ELNS1_3gpuE3ELNS1_3repE0EEENS1_30default_config_static_selectorELNS0_4arch9wavefront6targetE1EEEvT1_
	.globl	_ZN7rocprim17ROCPRIM_400000_NS6detail17trampoline_kernelINS0_14default_configENS1_20scan_config_selectorIyEEZZNS1_9scan_implILNS1_25lookback_scan_determinismE0ELb0ELb0ES3_N6thrust23THRUST_200600_302600_NS6detail15normal_iteratorINS9_10device_ptrIyEEEESE_y11max_functorIyEyEEDaPvRmT3_T4_T5_mT6_P12ihipStream_tbENKUlT_T0_E_clISt17integral_constantIbLb1EESU_EEDaSP_SQ_EUlSP_E_NS1_11comp_targetILNS1_3genE9ELNS1_11target_archE1100ELNS1_3gpuE3ELNS1_3repE0EEENS1_30default_config_static_selectorELNS0_4arch9wavefront6targetE1EEEvT1_
	.p2align	8
	.type	_ZN7rocprim17ROCPRIM_400000_NS6detail17trampoline_kernelINS0_14default_configENS1_20scan_config_selectorIyEEZZNS1_9scan_implILNS1_25lookback_scan_determinismE0ELb0ELb0ES3_N6thrust23THRUST_200600_302600_NS6detail15normal_iteratorINS9_10device_ptrIyEEEESE_y11max_functorIyEyEEDaPvRmT3_T4_T5_mT6_P12ihipStream_tbENKUlT_T0_E_clISt17integral_constantIbLb1EESU_EEDaSP_SQ_EUlSP_E_NS1_11comp_targetILNS1_3genE9ELNS1_11target_archE1100ELNS1_3gpuE3ELNS1_3repE0EEENS1_30default_config_static_selectorELNS0_4arch9wavefront6targetE1EEEvT1_,@function
_ZN7rocprim17ROCPRIM_400000_NS6detail17trampoline_kernelINS0_14default_configENS1_20scan_config_selectorIyEEZZNS1_9scan_implILNS1_25lookback_scan_determinismE0ELb0ELb0ES3_N6thrust23THRUST_200600_302600_NS6detail15normal_iteratorINS9_10device_ptrIyEEEESE_y11max_functorIyEyEEDaPvRmT3_T4_T5_mT6_P12ihipStream_tbENKUlT_T0_E_clISt17integral_constantIbLb1EESU_EEDaSP_SQ_EUlSP_E_NS1_11comp_targetILNS1_3genE9ELNS1_11target_archE1100ELNS1_3gpuE3ELNS1_3repE0EEENS1_30default_config_static_selectorELNS0_4arch9wavefront6targetE1EEEvT1_: ; @_ZN7rocprim17ROCPRIM_400000_NS6detail17trampoline_kernelINS0_14default_configENS1_20scan_config_selectorIyEEZZNS1_9scan_implILNS1_25lookback_scan_determinismE0ELb0ELb0ES3_N6thrust23THRUST_200600_302600_NS6detail15normal_iteratorINS9_10device_ptrIyEEEESE_y11max_functorIyEyEEDaPvRmT3_T4_T5_mT6_P12ihipStream_tbENKUlT_T0_E_clISt17integral_constantIbLb1EESU_EEDaSP_SQ_EUlSP_E_NS1_11comp_targetILNS1_3genE9ELNS1_11target_archE1100ELNS1_3gpuE3ELNS1_3repE0EEENS1_30default_config_static_selectorELNS0_4arch9wavefront6targetE1EEEvT1_
; %bb.0:
	.section	.rodata,"a",@progbits
	.p2align	6, 0x0
	.amdhsa_kernel _ZN7rocprim17ROCPRIM_400000_NS6detail17trampoline_kernelINS0_14default_configENS1_20scan_config_selectorIyEEZZNS1_9scan_implILNS1_25lookback_scan_determinismE0ELb0ELb0ES3_N6thrust23THRUST_200600_302600_NS6detail15normal_iteratorINS9_10device_ptrIyEEEESE_y11max_functorIyEyEEDaPvRmT3_T4_T5_mT6_P12ihipStream_tbENKUlT_T0_E_clISt17integral_constantIbLb1EESU_EEDaSP_SQ_EUlSP_E_NS1_11comp_targetILNS1_3genE9ELNS1_11target_archE1100ELNS1_3gpuE3ELNS1_3repE0EEENS1_30default_config_static_selectorELNS0_4arch9wavefront6targetE1EEEvT1_
		.amdhsa_group_segment_fixed_size 0
		.amdhsa_private_segment_fixed_size 0
		.amdhsa_kernarg_size 104
		.amdhsa_user_sgpr_count 6
		.amdhsa_user_sgpr_private_segment_buffer 1
		.amdhsa_user_sgpr_dispatch_ptr 0
		.amdhsa_user_sgpr_queue_ptr 0
		.amdhsa_user_sgpr_kernarg_segment_ptr 1
		.amdhsa_user_sgpr_dispatch_id 0
		.amdhsa_user_sgpr_flat_scratch_init 0
		.amdhsa_user_sgpr_kernarg_preload_length 0
		.amdhsa_user_sgpr_kernarg_preload_offset 0
		.amdhsa_user_sgpr_private_segment_size 0
		.amdhsa_uses_dynamic_stack 0
		.amdhsa_system_sgpr_private_segment_wavefront_offset 0
		.amdhsa_system_sgpr_workgroup_id_x 1
		.amdhsa_system_sgpr_workgroup_id_y 0
		.amdhsa_system_sgpr_workgroup_id_z 0
		.amdhsa_system_sgpr_workgroup_info 0
		.amdhsa_system_vgpr_workitem_id 0
		.amdhsa_next_free_vgpr 1
		.amdhsa_next_free_sgpr 0
		.amdhsa_accum_offset 4
		.amdhsa_reserve_vcc 0
		.amdhsa_reserve_flat_scratch 0
		.amdhsa_float_round_mode_32 0
		.amdhsa_float_round_mode_16_64 0
		.amdhsa_float_denorm_mode_32 3
		.amdhsa_float_denorm_mode_16_64 3
		.amdhsa_dx10_clamp 1
		.amdhsa_ieee_mode 1
		.amdhsa_fp16_overflow 0
		.amdhsa_tg_split 0
		.amdhsa_exception_fp_ieee_invalid_op 0
		.amdhsa_exception_fp_denorm_src 0
		.amdhsa_exception_fp_ieee_div_zero 0
		.amdhsa_exception_fp_ieee_overflow 0
		.amdhsa_exception_fp_ieee_underflow 0
		.amdhsa_exception_fp_ieee_inexact 0
		.amdhsa_exception_int_div_zero 0
	.end_amdhsa_kernel
	.section	.text._ZN7rocprim17ROCPRIM_400000_NS6detail17trampoline_kernelINS0_14default_configENS1_20scan_config_selectorIyEEZZNS1_9scan_implILNS1_25lookback_scan_determinismE0ELb0ELb0ES3_N6thrust23THRUST_200600_302600_NS6detail15normal_iteratorINS9_10device_ptrIyEEEESE_y11max_functorIyEyEEDaPvRmT3_T4_T5_mT6_P12ihipStream_tbENKUlT_T0_E_clISt17integral_constantIbLb1EESU_EEDaSP_SQ_EUlSP_E_NS1_11comp_targetILNS1_3genE9ELNS1_11target_archE1100ELNS1_3gpuE3ELNS1_3repE0EEENS1_30default_config_static_selectorELNS0_4arch9wavefront6targetE1EEEvT1_,"axG",@progbits,_ZN7rocprim17ROCPRIM_400000_NS6detail17trampoline_kernelINS0_14default_configENS1_20scan_config_selectorIyEEZZNS1_9scan_implILNS1_25lookback_scan_determinismE0ELb0ELb0ES3_N6thrust23THRUST_200600_302600_NS6detail15normal_iteratorINS9_10device_ptrIyEEEESE_y11max_functorIyEyEEDaPvRmT3_T4_T5_mT6_P12ihipStream_tbENKUlT_T0_E_clISt17integral_constantIbLb1EESU_EEDaSP_SQ_EUlSP_E_NS1_11comp_targetILNS1_3genE9ELNS1_11target_archE1100ELNS1_3gpuE3ELNS1_3repE0EEENS1_30default_config_static_selectorELNS0_4arch9wavefront6targetE1EEEvT1_,comdat
.Lfunc_end2123:
	.size	_ZN7rocprim17ROCPRIM_400000_NS6detail17trampoline_kernelINS0_14default_configENS1_20scan_config_selectorIyEEZZNS1_9scan_implILNS1_25lookback_scan_determinismE0ELb0ELb0ES3_N6thrust23THRUST_200600_302600_NS6detail15normal_iteratorINS9_10device_ptrIyEEEESE_y11max_functorIyEyEEDaPvRmT3_T4_T5_mT6_P12ihipStream_tbENKUlT_T0_E_clISt17integral_constantIbLb1EESU_EEDaSP_SQ_EUlSP_E_NS1_11comp_targetILNS1_3genE9ELNS1_11target_archE1100ELNS1_3gpuE3ELNS1_3repE0EEENS1_30default_config_static_selectorELNS0_4arch9wavefront6targetE1EEEvT1_, .Lfunc_end2123-_ZN7rocprim17ROCPRIM_400000_NS6detail17trampoline_kernelINS0_14default_configENS1_20scan_config_selectorIyEEZZNS1_9scan_implILNS1_25lookback_scan_determinismE0ELb0ELb0ES3_N6thrust23THRUST_200600_302600_NS6detail15normal_iteratorINS9_10device_ptrIyEEEESE_y11max_functorIyEyEEDaPvRmT3_T4_T5_mT6_P12ihipStream_tbENKUlT_T0_E_clISt17integral_constantIbLb1EESU_EEDaSP_SQ_EUlSP_E_NS1_11comp_targetILNS1_3genE9ELNS1_11target_archE1100ELNS1_3gpuE3ELNS1_3repE0EEENS1_30default_config_static_selectorELNS0_4arch9wavefront6targetE1EEEvT1_
                                        ; -- End function
	.section	.AMDGPU.csdata,"",@progbits
; Kernel info:
; codeLenInByte = 0
; NumSgprs: 4
; NumVgprs: 0
; NumAgprs: 0
; TotalNumVgprs: 0
; ScratchSize: 0
; MemoryBound: 0
; FloatMode: 240
; IeeeMode: 1
; LDSByteSize: 0 bytes/workgroup (compile time only)
; SGPRBlocks: 0
; VGPRBlocks: 0
; NumSGPRsForWavesPerEU: 4
; NumVGPRsForWavesPerEU: 1
; AccumOffset: 4
; Occupancy: 8
; WaveLimiterHint : 0
; COMPUTE_PGM_RSRC2:SCRATCH_EN: 0
; COMPUTE_PGM_RSRC2:USER_SGPR: 6
; COMPUTE_PGM_RSRC2:TRAP_HANDLER: 0
; COMPUTE_PGM_RSRC2:TGID_X_EN: 1
; COMPUTE_PGM_RSRC2:TGID_Y_EN: 0
; COMPUTE_PGM_RSRC2:TGID_Z_EN: 0
; COMPUTE_PGM_RSRC2:TIDIG_COMP_CNT: 0
; COMPUTE_PGM_RSRC3_GFX90A:ACCUM_OFFSET: 0
; COMPUTE_PGM_RSRC3_GFX90A:TG_SPLIT: 0
	.section	.text._ZN7rocprim17ROCPRIM_400000_NS6detail17trampoline_kernelINS0_14default_configENS1_20scan_config_selectorIyEEZZNS1_9scan_implILNS1_25lookback_scan_determinismE0ELb0ELb0ES3_N6thrust23THRUST_200600_302600_NS6detail15normal_iteratorINS9_10device_ptrIyEEEESE_y11max_functorIyEyEEDaPvRmT3_T4_T5_mT6_P12ihipStream_tbENKUlT_T0_E_clISt17integral_constantIbLb1EESU_EEDaSP_SQ_EUlSP_E_NS1_11comp_targetILNS1_3genE8ELNS1_11target_archE1030ELNS1_3gpuE2ELNS1_3repE0EEENS1_30default_config_static_selectorELNS0_4arch9wavefront6targetE1EEEvT1_,"axG",@progbits,_ZN7rocprim17ROCPRIM_400000_NS6detail17trampoline_kernelINS0_14default_configENS1_20scan_config_selectorIyEEZZNS1_9scan_implILNS1_25lookback_scan_determinismE0ELb0ELb0ES3_N6thrust23THRUST_200600_302600_NS6detail15normal_iteratorINS9_10device_ptrIyEEEESE_y11max_functorIyEyEEDaPvRmT3_T4_T5_mT6_P12ihipStream_tbENKUlT_T0_E_clISt17integral_constantIbLb1EESU_EEDaSP_SQ_EUlSP_E_NS1_11comp_targetILNS1_3genE8ELNS1_11target_archE1030ELNS1_3gpuE2ELNS1_3repE0EEENS1_30default_config_static_selectorELNS0_4arch9wavefront6targetE1EEEvT1_,comdat
	.protected	_ZN7rocprim17ROCPRIM_400000_NS6detail17trampoline_kernelINS0_14default_configENS1_20scan_config_selectorIyEEZZNS1_9scan_implILNS1_25lookback_scan_determinismE0ELb0ELb0ES3_N6thrust23THRUST_200600_302600_NS6detail15normal_iteratorINS9_10device_ptrIyEEEESE_y11max_functorIyEyEEDaPvRmT3_T4_T5_mT6_P12ihipStream_tbENKUlT_T0_E_clISt17integral_constantIbLb1EESU_EEDaSP_SQ_EUlSP_E_NS1_11comp_targetILNS1_3genE8ELNS1_11target_archE1030ELNS1_3gpuE2ELNS1_3repE0EEENS1_30default_config_static_selectorELNS0_4arch9wavefront6targetE1EEEvT1_ ; -- Begin function _ZN7rocprim17ROCPRIM_400000_NS6detail17trampoline_kernelINS0_14default_configENS1_20scan_config_selectorIyEEZZNS1_9scan_implILNS1_25lookback_scan_determinismE0ELb0ELb0ES3_N6thrust23THRUST_200600_302600_NS6detail15normal_iteratorINS9_10device_ptrIyEEEESE_y11max_functorIyEyEEDaPvRmT3_T4_T5_mT6_P12ihipStream_tbENKUlT_T0_E_clISt17integral_constantIbLb1EESU_EEDaSP_SQ_EUlSP_E_NS1_11comp_targetILNS1_3genE8ELNS1_11target_archE1030ELNS1_3gpuE2ELNS1_3repE0EEENS1_30default_config_static_selectorELNS0_4arch9wavefront6targetE1EEEvT1_
	.globl	_ZN7rocprim17ROCPRIM_400000_NS6detail17trampoline_kernelINS0_14default_configENS1_20scan_config_selectorIyEEZZNS1_9scan_implILNS1_25lookback_scan_determinismE0ELb0ELb0ES3_N6thrust23THRUST_200600_302600_NS6detail15normal_iteratorINS9_10device_ptrIyEEEESE_y11max_functorIyEyEEDaPvRmT3_T4_T5_mT6_P12ihipStream_tbENKUlT_T0_E_clISt17integral_constantIbLb1EESU_EEDaSP_SQ_EUlSP_E_NS1_11comp_targetILNS1_3genE8ELNS1_11target_archE1030ELNS1_3gpuE2ELNS1_3repE0EEENS1_30default_config_static_selectorELNS0_4arch9wavefront6targetE1EEEvT1_
	.p2align	8
	.type	_ZN7rocprim17ROCPRIM_400000_NS6detail17trampoline_kernelINS0_14default_configENS1_20scan_config_selectorIyEEZZNS1_9scan_implILNS1_25lookback_scan_determinismE0ELb0ELb0ES3_N6thrust23THRUST_200600_302600_NS6detail15normal_iteratorINS9_10device_ptrIyEEEESE_y11max_functorIyEyEEDaPvRmT3_T4_T5_mT6_P12ihipStream_tbENKUlT_T0_E_clISt17integral_constantIbLb1EESU_EEDaSP_SQ_EUlSP_E_NS1_11comp_targetILNS1_3genE8ELNS1_11target_archE1030ELNS1_3gpuE2ELNS1_3repE0EEENS1_30default_config_static_selectorELNS0_4arch9wavefront6targetE1EEEvT1_,@function
_ZN7rocprim17ROCPRIM_400000_NS6detail17trampoline_kernelINS0_14default_configENS1_20scan_config_selectorIyEEZZNS1_9scan_implILNS1_25lookback_scan_determinismE0ELb0ELb0ES3_N6thrust23THRUST_200600_302600_NS6detail15normal_iteratorINS9_10device_ptrIyEEEESE_y11max_functorIyEyEEDaPvRmT3_T4_T5_mT6_P12ihipStream_tbENKUlT_T0_E_clISt17integral_constantIbLb1EESU_EEDaSP_SQ_EUlSP_E_NS1_11comp_targetILNS1_3genE8ELNS1_11target_archE1030ELNS1_3gpuE2ELNS1_3repE0EEENS1_30default_config_static_selectorELNS0_4arch9wavefront6targetE1EEEvT1_: ; @_ZN7rocprim17ROCPRIM_400000_NS6detail17trampoline_kernelINS0_14default_configENS1_20scan_config_selectorIyEEZZNS1_9scan_implILNS1_25lookback_scan_determinismE0ELb0ELb0ES3_N6thrust23THRUST_200600_302600_NS6detail15normal_iteratorINS9_10device_ptrIyEEEESE_y11max_functorIyEyEEDaPvRmT3_T4_T5_mT6_P12ihipStream_tbENKUlT_T0_E_clISt17integral_constantIbLb1EESU_EEDaSP_SQ_EUlSP_E_NS1_11comp_targetILNS1_3genE8ELNS1_11target_archE1030ELNS1_3gpuE2ELNS1_3repE0EEENS1_30default_config_static_selectorELNS0_4arch9wavefront6targetE1EEEvT1_
; %bb.0:
	.section	.rodata,"a",@progbits
	.p2align	6, 0x0
	.amdhsa_kernel _ZN7rocprim17ROCPRIM_400000_NS6detail17trampoline_kernelINS0_14default_configENS1_20scan_config_selectorIyEEZZNS1_9scan_implILNS1_25lookback_scan_determinismE0ELb0ELb0ES3_N6thrust23THRUST_200600_302600_NS6detail15normal_iteratorINS9_10device_ptrIyEEEESE_y11max_functorIyEyEEDaPvRmT3_T4_T5_mT6_P12ihipStream_tbENKUlT_T0_E_clISt17integral_constantIbLb1EESU_EEDaSP_SQ_EUlSP_E_NS1_11comp_targetILNS1_3genE8ELNS1_11target_archE1030ELNS1_3gpuE2ELNS1_3repE0EEENS1_30default_config_static_selectorELNS0_4arch9wavefront6targetE1EEEvT1_
		.amdhsa_group_segment_fixed_size 0
		.amdhsa_private_segment_fixed_size 0
		.amdhsa_kernarg_size 104
		.amdhsa_user_sgpr_count 6
		.amdhsa_user_sgpr_private_segment_buffer 1
		.amdhsa_user_sgpr_dispatch_ptr 0
		.amdhsa_user_sgpr_queue_ptr 0
		.amdhsa_user_sgpr_kernarg_segment_ptr 1
		.amdhsa_user_sgpr_dispatch_id 0
		.amdhsa_user_sgpr_flat_scratch_init 0
		.amdhsa_user_sgpr_kernarg_preload_length 0
		.amdhsa_user_sgpr_kernarg_preload_offset 0
		.amdhsa_user_sgpr_private_segment_size 0
		.amdhsa_uses_dynamic_stack 0
		.amdhsa_system_sgpr_private_segment_wavefront_offset 0
		.amdhsa_system_sgpr_workgroup_id_x 1
		.amdhsa_system_sgpr_workgroup_id_y 0
		.amdhsa_system_sgpr_workgroup_id_z 0
		.amdhsa_system_sgpr_workgroup_info 0
		.amdhsa_system_vgpr_workitem_id 0
		.amdhsa_next_free_vgpr 1
		.amdhsa_next_free_sgpr 0
		.amdhsa_accum_offset 4
		.amdhsa_reserve_vcc 0
		.amdhsa_reserve_flat_scratch 0
		.amdhsa_float_round_mode_32 0
		.amdhsa_float_round_mode_16_64 0
		.amdhsa_float_denorm_mode_32 3
		.amdhsa_float_denorm_mode_16_64 3
		.amdhsa_dx10_clamp 1
		.amdhsa_ieee_mode 1
		.amdhsa_fp16_overflow 0
		.amdhsa_tg_split 0
		.amdhsa_exception_fp_ieee_invalid_op 0
		.amdhsa_exception_fp_denorm_src 0
		.amdhsa_exception_fp_ieee_div_zero 0
		.amdhsa_exception_fp_ieee_overflow 0
		.amdhsa_exception_fp_ieee_underflow 0
		.amdhsa_exception_fp_ieee_inexact 0
		.amdhsa_exception_int_div_zero 0
	.end_amdhsa_kernel
	.section	.text._ZN7rocprim17ROCPRIM_400000_NS6detail17trampoline_kernelINS0_14default_configENS1_20scan_config_selectorIyEEZZNS1_9scan_implILNS1_25lookback_scan_determinismE0ELb0ELb0ES3_N6thrust23THRUST_200600_302600_NS6detail15normal_iteratorINS9_10device_ptrIyEEEESE_y11max_functorIyEyEEDaPvRmT3_T4_T5_mT6_P12ihipStream_tbENKUlT_T0_E_clISt17integral_constantIbLb1EESU_EEDaSP_SQ_EUlSP_E_NS1_11comp_targetILNS1_3genE8ELNS1_11target_archE1030ELNS1_3gpuE2ELNS1_3repE0EEENS1_30default_config_static_selectorELNS0_4arch9wavefront6targetE1EEEvT1_,"axG",@progbits,_ZN7rocprim17ROCPRIM_400000_NS6detail17trampoline_kernelINS0_14default_configENS1_20scan_config_selectorIyEEZZNS1_9scan_implILNS1_25lookback_scan_determinismE0ELb0ELb0ES3_N6thrust23THRUST_200600_302600_NS6detail15normal_iteratorINS9_10device_ptrIyEEEESE_y11max_functorIyEyEEDaPvRmT3_T4_T5_mT6_P12ihipStream_tbENKUlT_T0_E_clISt17integral_constantIbLb1EESU_EEDaSP_SQ_EUlSP_E_NS1_11comp_targetILNS1_3genE8ELNS1_11target_archE1030ELNS1_3gpuE2ELNS1_3repE0EEENS1_30default_config_static_selectorELNS0_4arch9wavefront6targetE1EEEvT1_,comdat
.Lfunc_end2124:
	.size	_ZN7rocprim17ROCPRIM_400000_NS6detail17trampoline_kernelINS0_14default_configENS1_20scan_config_selectorIyEEZZNS1_9scan_implILNS1_25lookback_scan_determinismE0ELb0ELb0ES3_N6thrust23THRUST_200600_302600_NS6detail15normal_iteratorINS9_10device_ptrIyEEEESE_y11max_functorIyEyEEDaPvRmT3_T4_T5_mT6_P12ihipStream_tbENKUlT_T0_E_clISt17integral_constantIbLb1EESU_EEDaSP_SQ_EUlSP_E_NS1_11comp_targetILNS1_3genE8ELNS1_11target_archE1030ELNS1_3gpuE2ELNS1_3repE0EEENS1_30default_config_static_selectorELNS0_4arch9wavefront6targetE1EEEvT1_, .Lfunc_end2124-_ZN7rocprim17ROCPRIM_400000_NS6detail17trampoline_kernelINS0_14default_configENS1_20scan_config_selectorIyEEZZNS1_9scan_implILNS1_25lookback_scan_determinismE0ELb0ELb0ES3_N6thrust23THRUST_200600_302600_NS6detail15normal_iteratorINS9_10device_ptrIyEEEESE_y11max_functorIyEyEEDaPvRmT3_T4_T5_mT6_P12ihipStream_tbENKUlT_T0_E_clISt17integral_constantIbLb1EESU_EEDaSP_SQ_EUlSP_E_NS1_11comp_targetILNS1_3genE8ELNS1_11target_archE1030ELNS1_3gpuE2ELNS1_3repE0EEENS1_30default_config_static_selectorELNS0_4arch9wavefront6targetE1EEEvT1_
                                        ; -- End function
	.section	.AMDGPU.csdata,"",@progbits
; Kernel info:
; codeLenInByte = 0
; NumSgprs: 4
; NumVgprs: 0
; NumAgprs: 0
; TotalNumVgprs: 0
; ScratchSize: 0
; MemoryBound: 0
; FloatMode: 240
; IeeeMode: 1
; LDSByteSize: 0 bytes/workgroup (compile time only)
; SGPRBlocks: 0
; VGPRBlocks: 0
; NumSGPRsForWavesPerEU: 4
; NumVGPRsForWavesPerEU: 1
; AccumOffset: 4
; Occupancy: 8
; WaveLimiterHint : 0
; COMPUTE_PGM_RSRC2:SCRATCH_EN: 0
; COMPUTE_PGM_RSRC2:USER_SGPR: 6
; COMPUTE_PGM_RSRC2:TRAP_HANDLER: 0
; COMPUTE_PGM_RSRC2:TGID_X_EN: 1
; COMPUTE_PGM_RSRC2:TGID_Y_EN: 0
; COMPUTE_PGM_RSRC2:TGID_Z_EN: 0
; COMPUTE_PGM_RSRC2:TIDIG_COMP_CNT: 0
; COMPUTE_PGM_RSRC3_GFX90A:ACCUM_OFFSET: 0
; COMPUTE_PGM_RSRC3_GFX90A:TG_SPLIT: 0
	.section	.text._ZN7rocprim17ROCPRIM_400000_NS6detail17trampoline_kernelINS0_14default_configENS1_20scan_config_selectorIyEEZZNS1_9scan_implILNS1_25lookback_scan_determinismE0ELb0ELb0ES3_N6thrust23THRUST_200600_302600_NS6detail15normal_iteratorINS9_10device_ptrIyEEEESE_y11max_functorIyEyEEDaPvRmT3_T4_T5_mT6_P12ihipStream_tbENKUlT_T0_E_clISt17integral_constantIbLb1EESU_EEDaSP_SQ_EUlSP_E0_NS1_11comp_targetILNS1_3genE0ELNS1_11target_archE4294967295ELNS1_3gpuE0ELNS1_3repE0EEENS1_30default_config_static_selectorELNS0_4arch9wavefront6targetE1EEEvT1_,"axG",@progbits,_ZN7rocprim17ROCPRIM_400000_NS6detail17trampoline_kernelINS0_14default_configENS1_20scan_config_selectorIyEEZZNS1_9scan_implILNS1_25lookback_scan_determinismE0ELb0ELb0ES3_N6thrust23THRUST_200600_302600_NS6detail15normal_iteratorINS9_10device_ptrIyEEEESE_y11max_functorIyEyEEDaPvRmT3_T4_T5_mT6_P12ihipStream_tbENKUlT_T0_E_clISt17integral_constantIbLb1EESU_EEDaSP_SQ_EUlSP_E0_NS1_11comp_targetILNS1_3genE0ELNS1_11target_archE4294967295ELNS1_3gpuE0ELNS1_3repE0EEENS1_30default_config_static_selectorELNS0_4arch9wavefront6targetE1EEEvT1_,comdat
	.protected	_ZN7rocprim17ROCPRIM_400000_NS6detail17trampoline_kernelINS0_14default_configENS1_20scan_config_selectorIyEEZZNS1_9scan_implILNS1_25lookback_scan_determinismE0ELb0ELb0ES3_N6thrust23THRUST_200600_302600_NS6detail15normal_iteratorINS9_10device_ptrIyEEEESE_y11max_functorIyEyEEDaPvRmT3_T4_T5_mT6_P12ihipStream_tbENKUlT_T0_E_clISt17integral_constantIbLb1EESU_EEDaSP_SQ_EUlSP_E0_NS1_11comp_targetILNS1_3genE0ELNS1_11target_archE4294967295ELNS1_3gpuE0ELNS1_3repE0EEENS1_30default_config_static_selectorELNS0_4arch9wavefront6targetE1EEEvT1_ ; -- Begin function _ZN7rocprim17ROCPRIM_400000_NS6detail17trampoline_kernelINS0_14default_configENS1_20scan_config_selectorIyEEZZNS1_9scan_implILNS1_25lookback_scan_determinismE0ELb0ELb0ES3_N6thrust23THRUST_200600_302600_NS6detail15normal_iteratorINS9_10device_ptrIyEEEESE_y11max_functorIyEyEEDaPvRmT3_T4_T5_mT6_P12ihipStream_tbENKUlT_T0_E_clISt17integral_constantIbLb1EESU_EEDaSP_SQ_EUlSP_E0_NS1_11comp_targetILNS1_3genE0ELNS1_11target_archE4294967295ELNS1_3gpuE0ELNS1_3repE0EEENS1_30default_config_static_selectorELNS0_4arch9wavefront6targetE1EEEvT1_
	.globl	_ZN7rocprim17ROCPRIM_400000_NS6detail17trampoline_kernelINS0_14default_configENS1_20scan_config_selectorIyEEZZNS1_9scan_implILNS1_25lookback_scan_determinismE0ELb0ELb0ES3_N6thrust23THRUST_200600_302600_NS6detail15normal_iteratorINS9_10device_ptrIyEEEESE_y11max_functorIyEyEEDaPvRmT3_T4_T5_mT6_P12ihipStream_tbENKUlT_T0_E_clISt17integral_constantIbLb1EESU_EEDaSP_SQ_EUlSP_E0_NS1_11comp_targetILNS1_3genE0ELNS1_11target_archE4294967295ELNS1_3gpuE0ELNS1_3repE0EEENS1_30default_config_static_selectorELNS0_4arch9wavefront6targetE1EEEvT1_
	.p2align	8
	.type	_ZN7rocprim17ROCPRIM_400000_NS6detail17trampoline_kernelINS0_14default_configENS1_20scan_config_selectorIyEEZZNS1_9scan_implILNS1_25lookback_scan_determinismE0ELb0ELb0ES3_N6thrust23THRUST_200600_302600_NS6detail15normal_iteratorINS9_10device_ptrIyEEEESE_y11max_functorIyEyEEDaPvRmT3_T4_T5_mT6_P12ihipStream_tbENKUlT_T0_E_clISt17integral_constantIbLb1EESU_EEDaSP_SQ_EUlSP_E0_NS1_11comp_targetILNS1_3genE0ELNS1_11target_archE4294967295ELNS1_3gpuE0ELNS1_3repE0EEENS1_30default_config_static_selectorELNS0_4arch9wavefront6targetE1EEEvT1_,@function
_ZN7rocprim17ROCPRIM_400000_NS6detail17trampoline_kernelINS0_14default_configENS1_20scan_config_selectorIyEEZZNS1_9scan_implILNS1_25lookback_scan_determinismE0ELb0ELb0ES3_N6thrust23THRUST_200600_302600_NS6detail15normal_iteratorINS9_10device_ptrIyEEEESE_y11max_functorIyEyEEDaPvRmT3_T4_T5_mT6_P12ihipStream_tbENKUlT_T0_E_clISt17integral_constantIbLb1EESU_EEDaSP_SQ_EUlSP_E0_NS1_11comp_targetILNS1_3genE0ELNS1_11target_archE4294967295ELNS1_3gpuE0ELNS1_3repE0EEENS1_30default_config_static_selectorELNS0_4arch9wavefront6targetE1EEEvT1_: ; @_ZN7rocprim17ROCPRIM_400000_NS6detail17trampoline_kernelINS0_14default_configENS1_20scan_config_selectorIyEEZZNS1_9scan_implILNS1_25lookback_scan_determinismE0ELb0ELb0ES3_N6thrust23THRUST_200600_302600_NS6detail15normal_iteratorINS9_10device_ptrIyEEEESE_y11max_functorIyEyEEDaPvRmT3_T4_T5_mT6_P12ihipStream_tbENKUlT_T0_E_clISt17integral_constantIbLb1EESU_EEDaSP_SQ_EUlSP_E0_NS1_11comp_targetILNS1_3genE0ELNS1_11target_archE4294967295ELNS1_3gpuE0ELNS1_3repE0EEENS1_30default_config_static_selectorELNS0_4arch9wavefront6targetE1EEEvT1_
; %bb.0:
	.section	.rodata,"a",@progbits
	.p2align	6, 0x0
	.amdhsa_kernel _ZN7rocprim17ROCPRIM_400000_NS6detail17trampoline_kernelINS0_14default_configENS1_20scan_config_selectorIyEEZZNS1_9scan_implILNS1_25lookback_scan_determinismE0ELb0ELb0ES3_N6thrust23THRUST_200600_302600_NS6detail15normal_iteratorINS9_10device_ptrIyEEEESE_y11max_functorIyEyEEDaPvRmT3_T4_T5_mT6_P12ihipStream_tbENKUlT_T0_E_clISt17integral_constantIbLb1EESU_EEDaSP_SQ_EUlSP_E0_NS1_11comp_targetILNS1_3genE0ELNS1_11target_archE4294967295ELNS1_3gpuE0ELNS1_3repE0EEENS1_30default_config_static_selectorELNS0_4arch9wavefront6targetE1EEEvT1_
		.amdhsa_group_segment_fixed_size 0
		.amdhsa_private_segment_fixed_size 0
		.amdhsa_kernarg_size 40
		.amdhsa_user_sgpr_count 6
		.amdhsa_user_sgpr_private_segment_buffer 1
		.amdhsa_user_sgpr_dispatch_ptr 0
		.amdhsa_user_sgpr_queue_ptr 0
		.amdhsa_user_sgpr_kernarg_segment_ptr 1
		.amdhsa_user_sgpr_dispatch_id 0
		.amdhsa_user_sgpr_flat_scratch_init 0
		.amdhsa_user_sgpr_kernarg_preload_length 0
		.amdhsa_user_sgpr_kernarg_preload_offset 0
		.amdhsa_user_sgpr_private_segment_size 0
		.amdhsa_uses_dynamic_stack 0
		.amdhsa_system_sgpr_private_segment_wavefront_offset 0
		.amdhsa_system_sgpr_workgroup_id_x 1
		.amdhsa_system_sgpr_workgroup_id_y 0
		.amdhsa_system_sgpr_workgroup_id_z 0
		.amdhsa_system_sgpr_workgroup_info 0
		.amdhsa_system_vgpr_workitem_id 0
		.amdhsa_next_free_vgpr 1
		.amdhsa_next_free_sgpr 0
		.amdhsa_accum_offset 4
		.amdhsa_reserve_vcc 0
		.amdhsa_reserve_flat_scratch 0
		.amdhsa_float_round_mode_32 0
		.amdhsa_float_round_mode_16_64 0
		.amdhsa_float_denorm_mode_32 3
		.amdhsa_float_denorm_mode_16_64 3
		.amdhsa_dx10_clamp 1
		.amdhsa_ieee_mode 1
		.amdhsa_fp16_overflow 0
		.amdhsa_tg_split 0
		.amdhsa_exception_fp_ieee_invalid_op 0
		.amdhsa_exception_fp_denorm_src 0
		.amdhsa_exception_fp_ieee_div_zero 0
		.amdhsa_exception_fp_ieee_overflow 0
		.amdhsa_exception_fp_ieee_underflow 0
		.amdhsa_exception_fp_ieee_inexact 0
		.amdhsa_exception_int_div_zero 0
	.end_amdhsa_kernel
	.section	.text._ZN7rocprim17ROCPRIM_400000_NS6detail17trampoline_kernelINS0_14default_configENS1_20scan_config_selectorIyEEZZNS1_9scan_implILNS1_25lookback_scan_determinismE0ELb0ELb0ES3_N6thrust23THRUST_200600_302600_NS6detail15normal_iteratorINS9_10device_ptrIyEEEESE_y11max_functorIyEyEEDaPvRmT3_T4_T5_mT6_P12ihipStream_tbENKUlT_T0_E_clISt17integral_constantIbLb1EESU_EEDaSP_SQ_EUlSP_E0_NS1_11comp_targetILNS1_3genE0ELNS1_11target_archE4294967295ELNS1_3gpuE0ELNS1_3repE0EEENS1_30default_config_static_selectorELNS0_4arch9wavefront6targetE1EEEvT1_,"axG",@progbits,_ZN7rocprim17ROCPRIM_400000_NS6detail17trampoline_kernelINS0_14default_configENS1_20scan_config_selectorIyEEZZNS1_9scan_implILNS1_25lookback_scan_determinismE0ELb0ELb0ES3_N6thrust23THRUST_200600_302600_NS6detail15normal_iteratorINS9_10device_ptrIyEEEESE_y11max_functorIyEyEEDaPvRmT3_T4_T5_mT6_P12ihipStream_tbENKUlT_T0_E_clISt17integral_constantIbLb1EESU_EEDaSP_SQ_EUlSP_E0_NS1_11comp_targetILNS1_3genE0ELNS1_11target_archE4294967295ELNS1_3gpuE0ELNS1_3repE0EEENS1_30default_config_static_selectorELNS0_4arch9wavefront6targetE1EEEvT1_,comdat
.Lfunc_end2125:
	.size	_ZN7rocprim17ROCPRIM_400000_NS6detail17trampoline_kernelINS0_14default_configENS1_20scan_config_selectorIyEEZZNS1_9scan_implILNS1_25lookback_scan_determinismE0ELb0ELb0ES3_N6thrust23THRUST_200600_302600_NS6detail15normal_iteratorINS9_10device_ptrIyEEEESE_y11max_functorIyEyEEDaPvRmT3_T4_T5_mT6_P12ihipStream_tbENKUlT_T0_E_clISt17integral_constantIbLb1EESU_EEDaSP_SQ_EUlSP_E0_NS1_11comp_targetILNS1_3genE0ELNS1_11target_archE4294967295ELNS1_3gpuE0ELNS1_3repE0EEENS1_30default_config_static_selectorELNS0_4arch9wavefront6targetE1EEEvT1_, .Lfunc_end2125-_ZN7rocprim17ROCPRIM_400000_NS6detail17trampoline_kernelINS0_14default_configENS1_20scan_config_selectorIyEEZZNS1_9scan_implILNS1_25lookback_scan_determinismE0ELb0ELb0ES3_N6thrust23THRUST_200600_302600_NS6detail15normal_iteratorINS9_10device_ptrIyEEEESE_y11max_functorIyEyEEDaPvRmT3_T4_T5_mT6_P12ihipStream_tbENKUlT_T0_E_clISt17integral_constantIbLb1EESU_EEDaSP_SQ_EUlSP_E0_NS1_11comp_targetILNS1_3genE0ELNS1_11target_archE4294967295ELNS1_3gpuE0ELNS1_3repE0EEENS1_30default_config_static_selectorELNS0_4arch9wavefront6targetE1EEEvT1_
                                        ; -- End function
	.section	.AMDGPU.csdata,"",@progbits
; Kernel info:
; codeLenInByte = 0
; NumSgprs: 4
; NumVgprs: 0
; NumAgprs: 0
; TotalNumVgprs: 0
; ScratchSize: 0
; MemoryBound: 0
; FloatMode: 240
; IeeeMode: 1
; LDSByteSize: 0 bytes/workgroup (compile time only)
; SGPRBlocks: 0
; VGPRBlocks: 0
; NumSGPRsForWavesPerEU: 4
; NumVGPRsForWavesPerEU: 1
; AccumOffset: 4
; Occupancy: 8
; WaveLimiterHint : 0
; COMPUTE_PGM_RSRC2:SCRATCH_EN: 0
; COMPUTE_PGM_RSRC2:USER_SGPR: 6
; COMPUTE_PGM_RSRC2:TRAP_HANDLER: 0
; COMPUTE_PGM_RSRC2:TGID_X_EN: 1
; COMPUTE_PGM_RSRC2:TGID_Y_EN: 0
; COMPUTE_PGM_RSRC2:TGID_Z_EN: 0
; COMPUTE_PGM_RSRC2:TIDIG_COMP_CNT: 0
; COMPUTE_PGM_RSRC3_GFX90A:ACCUM_OFFSET: 0
; COMPUTE_PGM_RSRC3_GFX90A:TG_SPLIT: 0
	.section	.text._ZN7rocprim17ROCPRIM_400000_NS6detail17trampoline_kernelINS0_14default_configENS1_20scan_config_selectorIyEEZZNS1_9scan_implILNS1_25lookback_scan_determinismE0ELb0ELb0ES3_N6thrust23THRUST_200600_302600_NS6detail15normal_iteratorINS9_10device_ptrIyEEEESE_y11max_functorIyEyEEDaPvRmT3_T4_T5_mT6_P12ihipStream_tbENKUlT_T0_E_clISt17integral_constantIbLb1EESU_EEDaSP_SQ_EUlSP_E0_NS1_11comp_targetILNS1_3genE5ELNS1_11target_archE942ELNS1_3gpuE9ELNS1_3repE0EEENS1_30default_config_static_selectorELNS0_4arch9wavefront6targetE1EEEvT1_,"axG",@progbits,_ZN7rocprim17ROCPRIM_400000_NS6detail17trampoline_kernelINS0_14default_configENS1_20scan_config_selectorIyEEZZNS1_9scan_implILNS1_25lookback_scan_determinismE0ELb0ELb0ES3_N6thrust23THRUST_200600_302600_NS6detail15normal_iteratorINS9_10device_ptrIyEEEESE_y11max_functorIyEyEEDaPvRmT3_T4_T5_mT6_P12ihipStream_tbENKUlT_T0_E_clISt17integral_constantIbLb1EESU_EEDaSP_SQ_EUlSP_E0_NS1_11comp_targetILNS1_3genE5ELNS1_11target_archE942ELNS1_3gpuE9ELNS1_3repE0EEENS1_30default_config_static_selectorELNS0_4arch9wavefront6targetE1EEEvT1_,comdat
	.protected	_ZN7rocprim17ROCPRIM_400000_NS6detail17trampoline_kernelINS0_14default_configENS1_20scan_config_selectorIyEEZZNS1_9scan_implILNS1_25lookback_scan_determinismE0ELb0ELb0ES3_N6thrust23THRUST_200600_302600_NS6detail15normal_iteratorINS9_10device_ptrIyEEEESE_y11max_functorIyEyEEDaPvRmT3_T4_T5_mT6_P12ihipStream_tbENKUlT_T0_E_clISt17integral_constantIbLb1EESU_EEDaSP_SQ_EUlSP_E0_NS1_11comp_targetILNS1_3genE5ELNS1_11target_archE942ELNS1_3gpuE9ELNS1_3repE0EEENS1_30default_config_static_selectorELNS0_4arch9wavefront6targetE1EEEvT1_ ; -- Begin function _ZN7rocprim17ROCPRIM_400000_NS6detail17trampoline_kernelINS0_14default_configENS1_20scan_config_selectorIyEEZZNS1_9scan_implILNS1_25lookback_scan_determinismE0ELb0ELb0ES3_N6thrust23THRUST_200600_302600_NS6detail15normal_iteratorINS9_10device_ptrIyEEEESE_y11max_functorIyEyEEDaPvRmT3_T4_T5_mT6_P12ihipStream_tbENKUlT_T0_E_clISt17integral_constantIbLb1EESU_EEDaSP_SQ_EUlSP_E0_NS1_11comp_targetILNS1_3genE5ELNS1_11target_archE942ELNS1_3gpuE9ELNS1_3repE0EEENS1_30default_config_static_selectorELNS0_4arch9wavefront6targetE1EEEvT1_
	.globl	_ZN7rocprim17ROCPRIM_400000_NS6detail17trampoline_kernelINS0_14default_configENS1_20scan_config_selectorIyEEZZNS1_9scan_implILNS1_25lookback_scan_determinismE0ELb0ELb0ES3_N6thrust23THRUST_200600_302600_NS6detail15normal_iteratorINS9_10device_ptrIyEEEESE_y11max_functorIyEyEEDaPvRmT3_T4_T5_mT6_P12ihipStream_tbENKUlT_T0_E_clISt17integral_constantIbLb1EESU_EEDaSP_SQ_EUlSP_E0_NS1_11comp_targetILNS1_3genE5ELNS1_11target_archE942ELNS1_3gpuE9ELNS1_3repE0EEENS1_30default_config_static_selectorELNS0_4arch9wavefront6targetE1EEEvT1_
	.p2align	8
	.type	_ZN7rocprim17ROCPRIM_400000_NS6detail17trampoline_kernelINS0_14default_configENS1_20scan_config_selectorIyEEZZNS1_9scan_implILNS1_25lookback_scan_determinismE0ELb0ELb0ES3_N6thrust23THRUST_200600_302600_NS6detail15normal_iteratorINS9_10device_ptrIyEEEESE_y11max_functorIyEyEEDaPvRmT3_T4_T5_mT6_P12ihipStream_tbENKUlT_T0_E_clISt17integral_constantIbLb1EESU_EEDaSP_SQ_EUlSP_E0_NS1_11comp_targetILNS1_3genE5ELNS1_11target_archE942ELNS1_3gpuE9ELNS1_3repE0EEENS1_30default_config_static_selectorELNS0_4arch9wavefront6targetE1EEEvT1_,@function
_ZN7rocprim17ROCPRIM_400000_NS6detail17trampoline_kernelINS0_14default_configENS1_20scan_config_selectorIyEEZZNS1_9scan_implILNS1_25lookback_scan_determinismE0ELb0ELb0ES3_N6thrust23THRUST_200600_302600_NS6detail15normal_iteratorINS9_10device_ptrIyEEEESE_y11max_functorIyEyEEDaPvRmT3_T4_T5_mT6_P12ihipStream_tbENKUlT_T0_E_clISt17integral_constantIbLb1EESU_EEDaSP_SQ_EUlSP_E0_NS1_11comp_targetILNS1_3genE5ELNS1_11target_archE942ELNS1_3gpuE9ELNS1_3repE0EEENS1_30default_config_static_selectorELNS0_4arch9wavefront6targetE1EEEvT1_: ; @_ZN7rocprim17ROCPRIM_400000_NS6detail17trampoline_kernelINS0_14default_configENS1_20scan_config_selectorIyEEZZNS1_9scan_implILNS1_25lookback_scan_determinismE0ELb0ELb0ES3_N6thrust23THRUST_200600_302600_NS6detail15normal_iteratorINS9_10device_ptrIyEEEESE_y11max_functorIyEyEEDaPvRmT3_T4_T5_mT6_P12ihipStream_tbENKUlT_T0_E_clISt17integral_constantIbLb1EESU_EEDaSP_SQ_EUlSP_E0_NS1_11comp_targetILNS1_3genE5ELNS1_11target_archE942ELNS1_3gpuE9ELNS1_3repE0EEENS1_30default_config_static_selectorELNS0_4arch9wavefront6targetE1EEEvT1_
; %bb.0:
	.section	.rodata,"a",@progbits
	.p2align	6, 0x0
	.amdhsa_kernel _ZN7rocprim17ROCPRIM_400000_NS6detail17trampoline_kernelINS0_14default_configENS1_20scan_config_selectorIyEEZZNS1_9scan_implILNS1_25lookback_scan_determinismE0ELb0ELb0ES3_N6thrust23THRUST_200600_302600_NS6detail15normal_iteratorINS9_10device_ptrIyEEEESE_y11max_functorIyEyEEDaPvRmT3_T4_T5_mT6_P12ihipStream_tbENKUlT_T0_E_clISt17integral_constantIbLb1EESU_EEDaSP_SQ_EUlSP_E0_NS1_11comp_targetILNS1_3genE5ELNS1_11target_archE942ELNS1_3gpuE9ELNS1_3repE0EEENS1_30default_config_static_selectorELNS0_4arch9wavefront6targetE1EEEvT1_
		.amdhsa_group_segment_fixed_size 0
		.amdhsa_private_segment_fixed_size 0
		.amdhsa_kernarg_size 40
		.amdhsa_user_sgpr_count 6
		.amdhsa_user_sgpr_private_segment_buffer 1
		.amdhsa_user_sgpr_dispatch_ptr 0
		.amdhsa_user_sgpr_queue_ptr 0
		.amdhsa_user_sgpr_kernarg_segment_ptr 1
		.amdhsa_user_sgpr_dispatch_id 0
		.amdhsa_user_sgpr_flat_scratch_init 0
		.amdhsa_user_sgpr_kernarg_preload_length 0
		.amdhsa_user_sgpr_kernarg_preload_offset 0
		.amdhsa_user_sgpr_private_segment_size 0
		.amdhsa_uses_dynamic_stack 0
		.amdhsa_system_sgpr_private_segment_wavefront_offset 0
		.amdhsa_system_sgpr_workgroup_id_x 1
		.amdhsa_system_sgpr_workgroup_id_y 0
		.amdhsa_system_sgpr_workgroup_id_z 0
		.amdhsa_system_sgpr_workgroup_info 0
		.amdhsa_system_vgpr_workitem_id 0
		.amdhsa_next_free_vgpr 1
		.amdhsa_next_free_sgpr 0
		.amdhsa_accum_offset 4
		.amdhsa_reserve_vcc 0
		.amdhsa_reserve_flat_scratch 0
		.amdhsa_float_round_mode_32 0
		.amdhsa_float_round_mode_16_64 0
		.amdhsa_float_denorm_mode_32 3
		.amdhsa_float_denorm_mode_16_64 3
		.amdhsa_dx10_clamp 1
		.amdhsa_ieee_mode 1
		.amdhsa_fp16_overflow 0
		.amdhsa_tg_split 0
		.amdhsa_exception_fp_ieee_invalid_op 0
		.amdhsa_exception_fp_denorm_src 0
		.amdhsa_exception_fp_ieee_div_zero 0
		.amdhsa_exception_fp_ieee_overflow 0
		.amdhsa_exception_fp_ieee_underflow 0
		.amdhsa_exception_fp_ieee_inexact 0
		.amdhsa_exception_int_div_zero 0
	.end_amdhsa_kernel
	.section	.text._ZN7rocprim17ROCPRIM_400000_NS6detail17trampoline_kernelINS0_14default_configENS1_20scan_config_selectorIyEEZZNS1_9scan_implILNS1_25lookback_scan_determinismE0ELb0ELb0ES3_N6thrust23THRUST_200600_302600_NS6detail15normal_iteratorINS9_10device_ptrIyEEEESE_y11max_functorIyEyEEDaPvRmT3_T4_T5_mT6_P12ihipStream_tbENKUlT_T0_E_clISt17integral_constantIbLb1EESU_EEDaSP_SQ_EUlSP_E0_NS1_11comp_targetILNS1_3genE5ELNS1_11target_archE942ELNS1_3gpuE9ELNS1_3repE0EEENS1_30default_config_static_selectorELNS0_4arch9wavefront6targetE1EEEvT1_,"axG",@progbits,_ZN7rocprim17ROCPRIM_400000_NS6detail17trampoline_kernelINS0_14default_configENS1_20scan_config_selectorIyEEZZNS1_9scan_implILNS1_25lookback_scan_determinismE0ELb0ELb0ES3_N6thrust23THRUST_200600_302600_NS6detail15normal_iteratorINS9_10device_ptrIyEEEESE_y11max_functorIyEyEEDaPvRmT3_T4_T5_mT6_P12ihipStream_tbENKUlT_T0_E_clISt17integral_constantIbLb1EESU_EEDaSP_SQ_EUlSP_E0_NS1_11comp_targetILNS1_3genE5ELNS1_11target_archE942ELNS1_3gpuE9ELNS1_3repE0EEENS1_30default_config_static_selectorELNS0_4arch9wavefront6targetE1EEEvT1_,comdat
.Lfunc_end2126:
	.size	_ZN7rocprim17ROCPRIM_400000_NS6detail17trampoline_kernelINS0_14default_configENS1_20scan_config_selectorIyEEZZNS1_9scan_implILNS1_25lookback_scan_determinismE0ELb0ELb0ES3_N6thrust23THRUST_200600_302600_NS6detail15normal_iteratorINS9_10device_ptrIyEEEESE_y11max_functorIyEyEEDaPvRmT3_T4_T5_mT6_P12ihipStream_tbENKUlT_T0_E_clISt17integral_constantIbLb1EESU_EEDaSP_SQ_EUlSP_E0_NS1_11comp_targetILNS1_3genE5ELNS1_11target_archE942ELNS1_3gpuE9ELNS1_3repE0EEENS1_30default_config_static_selectorELNS0_4arch9wavefront6targetE1EEEvT1_, .Lfunc_end2126-_ZN7rocprim17ROCPRIM_400000_NS6detail17trampoline_kernelINS0_14default_configENS1_20scan_config_selectorIyEEZZNS1_9scan_implILNS1_25lookback_scan_determinismE0ELb0ELb0ES3_N6thrust23THRUST_200600_302600_NS6detail15normal_iteratorINS9_10device_ptrIyEEEESE_y11max_functorIyEyEEDaPvRmT3_T4_T5_mT6_P12ihipStream_tbENKUlT_T0_E_clISt17integral_constantIbLb1EESU_EEDaSP_SQ_EUlSP_E0_NS1_11comp_targetILNS1_3genE5ELNS1_11target_archE942ELNS1_3gpuE9ELNS1_3repE0EEENS1_30default_config_static_selectorELNS0_4arch9wavefront6targetE1EEEvT1_
                                        ; -- End function
	.section	.AMDGPU.csdata,"",@progbits
; Kernel info:
; codeLenInByte = 0
; NumSgprs: 4
; NumVgprs: 0
; NumAgprs: 0
; TotalNumVgprs: 0
; ScratchSize: 0
; MemoryBound: 0
; FloatMode: 240
; IeeeMode: 1
; LDSByteSize: 0 bytes/workgroup (compile time only)
; SGPRBlocks: 0
; VGPRBlocks: 0
; NumSGPRsForWavesPerEU: 4
; NumVGPRsForWavesPerEU: 1
; AccumOffset: 4
; Occupancy: 8
; WaveLimiterHint : 0
; COMPUTE_PGM_RSRC2:SCRATCH_EN: 0
; COMPUTE_PGM_RSRC2:USER_SGPR: 6
; COMPUTE_PGM_RSRC2:TRAP_HANDLER: 0
; COMPUTE_PGM_RSRC2:TGID_X_EN: 1
; COMPUTE_PGM_RSRC2:TGID_Y_EN: 0
; COMPUTE_PGM_RSRC2:TGID_Z_EN: 0
; COMPUTE_PGM_RSRC2:TIDIG_COMP_CNT: 0
; COMPUTE_PGM_RSRC3_GFX90A:ACCUM_OFFSET: 0
; COMPUTE_PGM_RSRC3_GFX90A:TG_SPLIT: 0
	.section	.text._ZN7rocprim17ROCPRIM_400000_NS6detail17trampoline_kernelINS0_14default_configENS1_20scan_config_selectorIyEEZZNS1_9scan_implILNS1_25lookback_scan_determinismE0ELb0ELb0ES3_N6thrust23THRUST_200600_302600_NS6detail15normal_iteratorINS9_10device_ptrIyEEEESE_y11max_functorIyEyEEDaPvRmT3_T4_T5_mT6_P12ihipStream_tbENKUlT_T0_E_clISt17integral_constantIbLb1EESU_EEDaSP_SQ_EUlSP_E0_NS1_11comp_targetILNS1_3genE4ELNS1_11target_archE910ELNS1_3gpuE8ELNS1_3repE0EEENS1_30default_config_static_selectorELNS0_4arch9wavefront6targetE1EEEvT1_,"axG",@progbits,_ZN7rocprim17ROCPRIM_400000_NS6detail17trampoline_kernelINS0_14default_configENS1_20scan_config_selectorIyEEZZNS1_9scan_implILNS1_25lookback_scan_determinismE0ELb0ELb0ES3_N6thrust23THRUST_200600_302600_NS6detail15normal_iteratorINS9_10device_ptrIyEEEESE_y11max_functorIyEyEEDaPvRmT3_T4_T5_mT6_P12ihipStream_tbENKUlT_T0_E_clISt17integral_constantIbLb1EESU_EEDaSP_SQ_EUlSP_E0_NS1_11comp_targetILNS1_3genE4ELNS1_11target_archE910ELNS1_3gpuE8ELNS1_3repE0EEENS1_30default_config_static_selectorELNS0_4arch9wavefront6targetE1EEEvT1_,comdat
	.protected	_ZN7rocprim17ROCPRIM_400000_NS6detail17trampoline_kernelINS0_14default_configENS1_20scan_config_selectorIyEEZZNS1_9scan_implILNS1_25lookback_scan_determinismE0ELb0ELb0ES3_N6thrust23THRUST_200600_302600_NS6detail15normal_iteratorINS9_10device_ptrIyEEEESE_y11max_functorIyEyEEDaPvRmT3_T4_T5_mT6_P12ihipStream_tbENKUlT_T0_E_clISt17integral_constantIbLb1EESU_EEDaSP_SQ_EUlSP_E0_NS1_11comp_targetILNS1_3genE4ELNS1_11target_archE910ELNS1_3gpuE8ELNS1_3repE0EEENS1_30default_config_static_selectorELNS0_4arch9wavefront6targetE1EEEvT1_ ; -- Begin function _ZN7rocprim17ROCPRIM_400000_NS6detail17trampoline_kernelINS0_14default_configENS1_20scan_config_selectorIyEEZZNS1_9scan_implILNS1_25lookback_scan_determinismE0ELb0ELb0ES3_N6thrust23THRUST_200600_302600_NS6detail15normal_iteratorINS9_10device_ptrIyEEEESE_y11max_functorIyEyEEDaPvRmT3_T4_T5_mT6_P12ihipStream_tbENKUlT_T0_E_clISt17integral_constantIbLb1EESU_EEDaSP_SQ_EUlSP_E0_NS1_11comp_targetILNS1_3genE4ELNS1_11target_archE910ELNS1_3gpuE8ELNS1_3repE0EEENS1_30default_config_static_selectorELNS0_4arch9wavefront6targetE1EEEvT1_
	.globl	_ZN7rocprim17ROCPRIM_400000_NS6detail17trampoline_kernelINS0_14default_configENS1_20scan_config_selectorIyEEZZNS1_9scan_implILNS1_25lookback_scan_determinismE0ELb0ELb0ES3_N6thrust23THRUST_200600_302600_NS6detail15normal_iteratorINS9_10device_ptrIyEEEESE_y11max_functorIyEyEEDaPvRmT3_T4_T5_mT6_P12ihipStream_tbENKUlT_T0_E_clISt17integral_constantIbLb1EESU_EEDaSP_SQ_EUlSP_E0_NS1_11comp_targetILNS1_3genE4ELNS1_11target_archE910ELNS1_3gpuE8ELNS1_3repE0EEENS1_30default_config_static_selectorELNS0_4arch9wavefront6targetE1EEEvT1_
	.p2align	8
	.type	_ZN7rocprim17ROCPRIM_400000_NS6detail17trampoline_kernelINS0_14default_configENS1_20scan_config_selectorIyEEZZNS1_9scan_implILNS1_25lookback_scan_determinismE0ELb0ELb0ES3_N6thrust23THRUST_200600_302600_NS6detail15normal_iteratorINS9_10device_ptrIyEEEESE_y11max_functorIyEyEEDaPvRmT3_T4_T5_mT6_P12ihipStream_tbENKUlT_T0_E_clISt17integral_constantIbLb1EESU_EEDaSP_SQ_EUlSP_E0_NS1_11comp_targetILNS1_3genE4ELNS1_11target_archE910ELNS1_3gpuE8ELNS1_3repE0EEENS1_30default_config_static_selectorELNS0_4arch9wavefront6targetE1EEEvT1_,@function
_ZN7rocprim17ROCPRIM_400000_NS6detail17trampoline_kernelINS0_14default_configENS1_20scan_config_selectorIyEEZZNS1_9scan_implILNS1_25lookback_scan_determinismE0ELb0ELb0ES3_N6thrust23THRUST_200600_302600_NS6detail15normal_iteratorINS9_10device_ptrIyEEEESE_y11max_functorIyEyEEDaPvRmT3_T4_T5_mT6_P12ihipStream_tbENKUlT_T0_E_clISt17integral_constantIbLb1EESU_EEDaSP_SQ_EUlSP_E0_NS1_11comp_targetILNS1_3genE4ELNS1_11target_archE910ELNS1_3gpuE8ELNS1_3repE0EEENS1_30default_config_static_selectorELNS0_4arch9wavefront6targetE1EEEvT1_: ; @_ZN7rocprim17ROCPRIM_400000_NS6detail17trampoline_kernelINS0_14default_configENS1_20scan_config_selectorIyEEZZNS1_9scan_implILNS1_25lookback_scan_determinismE0ELb0ELb0ES3_N6thrust23THRUST_200600_302600_NS6detail15normal_iteratorINS9_10device_ptrIyEEEESE_y11max_functorIyEyEEDaPvRmT3_T4_T5_mT6_P12ihipStream_tbENKUlT_T0_E_clISt17integral_constantIbLb1EESU_EEDaSP_SQ_EUlSP_E0_NS1_11comp_targetILNS1_3genE4ELNS1_11target_archE910ELNS1_3gpuE8ELNS1_3repE0EEENS1_30default_config_static_selectorELNS0_4arch9wavefront6targetE1EEEvT1_
; %bb.0:
	s_load_dwordx4 s[16:19], s[4:5], 0x0
	v_lshlrev_b32_e32 v36, 3, v0
	s_waitcnt lgkmcnt(0)
	s_load_dwordx2 s[14:15], s[16:17], 0x0
	v_cmp_gt_u32_e32 vcc, s18, v0
	s_waitcnt lgkmcnt(0)
	v_pk_mov_b32 v[2:3], s[14:15], s[14:15] op_sel:[0,1]
	s_and_saveexec_b64 s[0:1], vcc
	s_cbranch_execz .LBB2127_2
; %bb.1:
	global_load_dwordx2 v[2:3], v36, s[16:17]
.LBB2127_2:
	s_or_b64 exec, exec, s[0:1]
	v_or_b32_e32 v1, 0x80, v0
	v_cmp_gt_u32_e64 s[0:1], s18, v1
	v_pk_mov_b32 v[4:5], s[14:15], s[14:15] op_sel:[0,1]
	s_and_saveexec_b64 s[2:3], s[0:1]
	s_cbranch_execz .LBB2127_4
; %bb.3:
	global_load_dwordx2 v[4:5], v36, s[16:17] offset:1024
.LBB2127_4:
	s_or_b64 exec, exec, s[2:3]
	v_or_b32_e32 v1, 0x100, v0
	v_cmp_gt_u32_e64 s[2:3], s18, v1
	v_pk_mov_b32 v[6:7], s[14:15], s[14:15] op_sel:[0,1]
	s_and_saveexec_b64 s[6:7], s[2:3]
	s_cbranch_execz .LBB2127_6
; %bb.5:
	global_load_dwordx2 v[6:7], v36, s[16:17] offset:2048
.LBB2127_6:
	s_or_b64 exec, exec, s[6:7]
	v_or_b32_e32 v1, 0x180, v0
	v_cmp_gt_u32_e64 s[12:13], s18, v1
	v_pk_mov_b32 v[8:9], s[14:15], s[14:15] op_sel:[0,1]
	s_and_saveexec_b64 s[6:7], s[12:13]
	s_cbranch_execz .LBB2127_8
; %bb.7:
	global_load_dwordx2 v[8:9], v36, s[16:17] offset:3072
.LBB2127_8:
	s_or_b64 exec, exec, s[6:7]
	v_or_b32_e32 v1, 0x200, v0
	v_cmp_gt_u32_e64 s[6:7], s18, v1
	v_pk_mov_b32 v[10:11], s[14:15], s[14:15] op_sel:[0,1]
	s_and_saveexec_b64 s[8:9], s[6:7]
	s_cbranch_execz .LBB2127_10
; %bb.9:
	v_lshlrev_b32_e32 v1, 3, v1
	global_load_dwordx2 v[10:11], v1, s[16:17]
.LBB2127_10:
	s_or_b64 exec, exec, s[8:9]
	v_or_b32_e32 v1, 0x280, v0
	v_cmp_gt_u32_e64 s[8:9], s18, v1
	v_pk_mov_b32 v[12:13], s[14:15], s[14:15] op_sel:[0,1]
	s_and_saveexec_b64 s[10:11], s[8:9]
	s_cbranch_execz .LBB2127_12
; %bb.11:
	v_lshlrev_b32_e32 v1, 3, v1
	global_load_dwordx2 v[12:13], v1, s[16:17]
.LBB2127_12:
	;; [unrolled: 10-line block ×3, first 2 shown]
	s_or_b64 exec, exec, s[14:15]
	v_mad_u32_u24 v1, v0, 48, v36
	s_waitcnt vmcnt(0)
	ds_write2st64_b64 v36, v[2:3], v[4:5] offset1:2
	ds_write2st64_b64 v36, v[6:7], v[8:9] offset0:4 offset1:6
	ds_write2st64_b64 v36, v[10:11], v[12:13] offset0:8 offset1:10
	ds_write_b64 v36, v[14:15] offset:6144
	s_waitcnt lgkmcnt(0)
	s_barrier
	ds_read2_b64 v[2:5], v1 offset1:1
	ds_read2_b64 v[10:13], v1 offset0:2 offset1:3
	ds_read2_b64 v[6:9], v1 offset0:4 offset1:5
	ds_read_b64 v[26:27], v1 offset:48
	s_load_dwordx2 s[16:17], s[4:5], 0x20
	s_waitcnt lgkmcnt(0)
	v_cmp_gt_u64_e64 s[4:5], v[2:3], v[4:5]
	v_cndmask_b32_e64 v19, v5, v3, s[4:5]
	v_cndmask_b32_e64 v18, v4, v2, s[4:5]
	v_cmp_gt_u64_e64 s[4:5], v[18:19], v[10:11]
	v_cndmask_b32_e64 v21, v11, v19, s[4:5]
	v_cndmask_b32_e64 v20, v10, v18, s[4:5]
	;; [unrolled: 3-line block ×5, first 2 shown]
	v_lshrrev_b32_e32 v14, 2, v0
	v_cmp_gt_u64_e64 s[4:5], v[28:29], v[26:27]
	v_and_b32_e32 v14, 24, v14
	v_cndmask_b32_e64 v31, v27, v29, s[4:5]
	v_cndmask_b32_e64 v30, v26, v28, s[4:5]
	v_add_u32_e32 v14, v36, v14
	v_cmp_gt_u32_e64 s[4:5], 64, v0
	s_barrier
	ds_write_b64 v14, v[30:31]
	s_waitcnt lgkmcnt(0)
	s_barrier
	s_and_saveexec_b64 s[18:19], s[4:5]
	s_cbranch_execz .LBB2127_18
; %bb.15:
	v_lshlrev_b32_e32 v14, 1, v0
	v_lshrrev_b32_e32 v15, 4, v0
	v_add_lshl_u32 v37, v15, v14, 3
	ds_read2_b64 v[14:17], v37 offset1:1
	v_mbcnt_lo_u32_b32 v32, -1, 0
	v_mbcnt_hi_u32_b32 v38, -1, v32
	v_and_b32_e32 v39, 15, v38
	v_and_b32_e32 v41, 16, v38
	s_waitcnt lgkmcnt(0)
	v_cmp_gt_u64_e64 s[4:5], v[14:15], v[16:17]
	v_cndmask_b32_e64 v17, v17, v15, s[4:5]
	v_cndmask_b32_e64 v16, v16, v14, s[4:5]
	v_cmp_ne_u32_e64 s[14:15], 0, v38
	v_mov_b32_dpp v33, v17 row_shr:1 row_mask:0xf bank_mask:0xf
	v_mov_b32_dpp v32, v16 row_shr:1 row_mask:0xf bank_mask:0xf
	v_cmp_gt_u64_e64 s[4:5], v[32:33], v[16:17]
	v_cndmask_b32_e64 v32, v16, v32, s[4:5]
	v_cndmask_b32_e64 v33, v17, v33, s[4:5]
	v_cmp_eq_u32_e64 s[4:5], 0, v39
	v_cndmask_b32_e64 v33, v33, v17, s[4:5]
	v_cndmask_b32_e64 v32, v32, v16, s[4:5]
	s_nop 0
	v_mov_b32_dpp v35, v33 row_shr:2 row_mask:0xf bank_mask:0xf
	v_mov_b32_dpp v34, v32 row_shr:2 row_mask:0xf bank_mask:0xf
	v_cmp_gt_u64_e64 s[4:5], v[34:35], v[32:33]
	v_cndmask_b32_e64 v34, v32, v34, s[4:5]
	v_cndmask_b32_e64 v35, v33, v35, s[4:5]
	v_cmp_lt_u32_e64 s[4:5], 1, v39
	v_cndmask_b32_e64 v33, v33, v35, s[4:5]
	v_cndmask_b32_e64 v32, v32, v34, s[4:5]
	s_nop 0
	v_mov_b32_dpp v35, v33 row_shr:4 row_mask:0xf bank_mask:0xf
	v_mov_b32_dpp v34, v32 row_shr:4 row_mask:0xf bank_mask:0xf
	v_cmp_gt_u64_e64 s[4:5], v[34:35], v[32:33]
	v_cndmask_b32_e64 v34, v32, v34, s[4:5]
	v_cndmask_b32_e64 v35, v33, v35, s[4:5]
	v_cmp_lt_u32_e64 s[4:5], 3, v39
	;; [unrolled: 9-line block ×3, first 2 shown]
	v_cndmask_b32_e64 v33, v33, v35, s[4:5]
	v_cndmask_b32_e64 v32, v32, v34, s[4:5]
	s_nop 0
	v_mov_b32_dpp v35, v33 row_bcast:15 row_mask:0xf bank_mask:0xf
	v_mov_b32_dpp v34, v32 row_bcast:15 row_mask:0xf bank_mask:0xf
	v_cmp_gt_u64_e64 s[4:5], v[34:35], v[32:33]
	v_cndmask_b32_e64 v39, v33, v35, s[4:5]
	v_cndmask_b32_e64 v40, v32, v34, s[4:5]
	v_cmp_eq_u32_e64 s[4:5], 0, v41
	v_cndmask_b32_e64 v35, v39, v33, s[4:5]
	v_cndmask_b32_e64 v34, v40, v32, s[4:5]
	s_nop 0
	v_mov_b32_dpp v35, v35 row_bcast:31 row_mask:0xf bank_mask:0xf
	v_mov_b32_dpp v34, v34 row_bcast:31 row_mask:0xf bank_mask:0xf
	s_and_saveexec_b64 s[20:21], s[14:15]
; %bb.16:
	v_cndmask_b32_e64 v17, v39, v33, s[4:5]
	v_cndmask_b32_e64 v16, v40, v32, s[4:5]
	v_cmp_lt_u32_e64 s[14:15], 31, v38
	v_cmp_gt_u64_e64 s[4:5], v[34:35], v[16:17]
	s_and_b64 s[4:5], s[14:15], s[4:5]
	v_cndmask_b32_e64 v16, v16, v34, s[4:5]
	v_cndmask_b32_e64 v17, v17, v35, s[4:5]
; %bb.17:
	s_or_b64 exec, exec, s[20:21]
	v_add_u32_e32 v32, -1, v38
	v_and_b32_e32 v33, 64, v38
	v_cmp_lt_i32_e64 s[4:5], v32, v33
	v_cndmask_b32_e64 v32, v32, v38, s[4:5]
	v_lshlrev_b32_e32 v32, 2, v32
	ds_bpermute_b32 v16, v32, v16
	ds_bpermute_b32 v17, v32, v17
	; wave barrier
	s_waitcnt lgkmcnt(0)
	v_cmp_gt_u64_e64 s[4:5], v[16:17], v[14:15]
	v_cndmask_b32_e64 v14, v14, v16, s[4:5]
	v_cndmask_b32_e64 v15, v15, v17, s[4:5]
	v_cmp_eq_u32_e64 s[4:5], 0, v0
	v_cndmask_b32_e64 v15, v15, v31, s[4:5]
	v_cndmask_b32_e64 v14, v14, v30, s[4:5]
	ds_write_b64 v37, v[14:15]
	; wave barrier
	ds_read_b64 v[16:17], v37 offset:8
	s_waitcnt lgkmcnt(0)
	v_cmp_gt_u64_e64 s[4:5], v[14:15], v[16:17]
	v_cndmask_b32_e64 v15, v17, v15, s[4:5]
	v_cndmask_b32_e64 v14, v16, v14, s[4:5]
	ds_write_b64 v37, v[14:15] offset:8
.LBB2127_18:
	s_or_b64 exec, exec, s[18:19]
	v_cmp_ne_u32_e64 s[4:5], 0, v0
	v_pk_mov_b32 v[14:15], v[30:31], v[30:31] op_sel:[0,1]
	s_waitcnt lgkmcnt(0)
	s_barrier
	s_and_saveexec_b64 s[14:15], s[4:5]
	s_cbranch_execz .LBB2127_20
; %bb.19:
	v_add_u32_e32 v14, -1, v0
	v_lshrrev_b32_e32 v15, 5, v14
	v_add_lshl_u32 v14, v15, v14, 3
	ds_read_b64 v[14:15], v14
.LBB2127_20:
	s_or_b64 exec, exec, s[14:15]
	s_and_saveexec_b64 s[14:15], s[4:5]
	s_cbranch_execz .LBB2127_22
; %bb.21:
	s_waitcnt lgkmcnt(0)
	v_cmp_gt_u64_e64 s[4:5], v[14:15], v[2:3]
	v_cndmask_b32_e64 v3, v3, v15, s[4:5]
	v_cndmask_b32_e64 v2, v2, v14, s[4:5]
	v_cmp_gt_u64_e64 s[4:5], v[2:3], v[4:5]
	v_cndmask_b32_e64 v19, v5, v3, s[4:5]
	v_cndmask_b32_e64 v18, v4, v2, s[4:5]
	;; [unrolled: 3-line block ×7, first 2 shown]
	;;#ASMSTART
	;;#ASMEND
.LBB2127_22:
	s_or_b64 exec, exec, s[14:15]
	s_movk_i32 s4, 0xffd0
	v_mad_i32_i24 v0, v0, s4, v1
	s_waitcnt lgkmcnt(0)
	s_barrier
	ds_write2_b64 v1, v[2:3], v[18:19] offset1:1
	ds_write2_b64 v1, v[20:21], v[22:23] offset0:2 offset1:3
	ds_write2_b64 v1, v[24:25], v[28:29] offset0:4 offset1:5
	ds_write_b64 v1, v[30:31] offset:48
	s_waitcnt lgkmcnt(0)
	s_barrier
	ds_read2st64_b64 v[8:11], v0 offset0:2 offset1:4
	ds_read2st64_b64 v[4:7], v0 offset0:6 offset1:8
	;; [unrolled: 1-line block ×3, first 2 shown]
	v_mov_b32_e32 v13, s17
	v_add_co_u32_e64 v12, s[4:5], s16, v36
	v_addc_co_u32_e64 v13, s[4:5], 0, v13, s[4:5]
	s_and_saveexec_b64 s[4:5], vcc
	s_cbranch_execnz .LBB2127_30
; %bb.23:
	s_or_b64 exec, exec, s[4:5]
	s_and_saveexec_b64 s[4:5], s[0:1]
	s_cbranch_execnz .LBB2127_31
.LBB2127_24:
	s_or_b64 exec, exec, s[4:5]
	s_and_saveexec_b64 s[0:1], s[2:3]
	s_cbranch_execnz .LBB2127_32
.LBB2127_25:
	s_or_b64 exec, exec, s[0:1]
	s_and_saveexec_b64 s[0:1], s[12:13]
	s_cbranch_execnz .LBB2127_33
.LBB2127_26:
	s_or_b64 exec, exec, s[0:1]
	s_and_saveexec_b64 s[0:1], s[6:7]
	s_cbranch_execnz .LBB2127_34
.LBB2127_27:
	s_or_b64 exec, exec, s[0:1]
	s_and_saveexec_b64 s[0:1], s[8:9]
	s_cbranch_execnz .LBB2127_35
.LBB2127_28:
	s_or_b64 exec, exec, s[0:1]
	s_and_saveexec_b64 s[0:1], s[10:11]
	s_cbranch_execnz .LBB2127_36
.LBB2127_29:
	s_endpgm
.LBB2127_30:
	ds_read_b64 v[14:15], v36
	s_waitcnt lgkmcnt(0)
	global_store_dwordx2 v[12:13], v[14:15], off
	s_or_b64 exec, exec, s[4:5]
	s_and_saveexec_b64 s[4:5], s[0:1]
	s_cbranch_execz .LBB2127_24
.LBB2127_31:
	s_waitcnt lgkmcnt(2)
	global_store_dwordx2 v[12:13], v[8:9], off offset:1024
	s_or_b64 exec, exec, s[4:5]
	s_and_saveexec_b64 s[0:1], s[2:3]
	s_cbranch_execz .LBB2127_25
.LBB2127_32:
	s_waitcnt lgkmcnt(2)
	global_store_dwordx2 v[12:13], v[10:11], off offset:2048
	s_or_b64 exec, exec, s[0:1]
	s_and_saveexec_b64 s[0:1], s[12:13]
	s_cbranch_execz .LBB2127_26
.LBB2127_33:
	s_waitcnt lgkmcnt(1)
	global_store_dwordx2 v[12:13], v[4:5], off offset:3072
	s_or_b64 exec, exec, s[0:1]
	s_and_saveexec_b64 s[0:1], s[6:7]
	s_cbranch_execz .LBB2127_27
.LBB2127_34:
	s_waitcnt lgkmcnt(1)
	v_add_co_u32_e32 v4, vcc, 0x1000, v12
	v_addc_co_u32_e32 v5, vcc, 0, v13, vcc
	global_store_dwordx2 v[4:5], v[6:7], off
	s_or_b64 exec, exec, s[0:1]
	s_and_saveexec_b64 s[0:1], s[8:9]
	s_cbranch_execz .LBB2127_28
.LBB2127_35:
	s_waitcnt lgkmcnt(1)
	v_add_co_u32_e32 v4, vcc, 0x1000, v12
	v_addc_co_u32_e32 v5, vcc, 0, v13, vcc
	s_waitcnt lgkmcnt(0)
	global_store_dwordx2 v[4:5], v[0:1], off offset:1024
	s_or_b64 exec, exec, s[0:1]
	s_and_saveexec_b64 s[0:1], s[10:11]
	s_cbranch_execz .LBB2127_29
.LBB2127_36:
	s_waitcnt lgkmcnt(0)
	v_add_co_u32_e32 v0, vcc, 0x1000, v12
	v_addc_co_u32_e32 v1, vcc, 0, v13, vcc
	global_store_dwordx2 v[0:1], v[2:3], off offset:2048
	s_endpgm
	.section	.rodata,"a",@progbits
	.p2align	6, 0x0
	.amdhsa_kernel _ZN7rocprim17ROCPRIM_400000_NS6detail17trampoline_kernelINS0_14default_configENS1_20scan_config_selectorIyEEZZNS1_9scan_implILNS1_25lookback_scan_determinismE0ELb0ELb0ES3_N6thrust23THRUST_200600_302600_NS6detail15normal_iteratorINS9_10device_ptrIyEEEESE_y11max_functorIyEyEEDaPvRmT3_T4_T5_mT6_P12ihipStream_tbENKUlT_T0_E_clISt17integral_constantIbLb1EESU_EEDaSP_SQ_EUlSP_E0_NS1_11comp_targetILNS1_3genE4ELNS1_11target_archE910ELNS1_3gpuE8ELNS1_3repE0EEENS1_30default_config_static_selectorELNS0_4arch9wavefront6targetE1EEEvT1_
		.amdhsa_group_segment_fixed_size 7168
		.amdhsa_private_segment_fixed_size 0
		.amdhsa_kernarg_size 40
		.amdhsa_user_sgpr_count 6
		.amdhsa_user_sgpr_private_segment_buffer 1
		.amdhsa_user_sgpr_dispatch_ptr 0
		.amdhsa_user_sgpr_queue_ptr 0
		.amdhsa_user_sgpr_kernarg_segment_ptr 1
		.amdhsa_user_sgpr_dispatch_id 0
		.amdhsa_user_sgpr_flat_scratch_init 0
		.amdhsa_user_sgpr_kernarg_preload_length 0
		.amdhsa_user_sgpr_kernarg_preload_offset 0
		.amdhsa_user_sgpr_private_segment_size 0
		.amdhsa_uses_dynamic_stack 0
		.amdhsa_system_sgpr_private_segment_wavefront_offset 0
		.amdhsa_system_sgpr_workgroup_id_x 1
		.amdhsa_system_sgpr_workgroup_id_y 0
		.amdhsa_system_sgpr_workgroup_id_z 0
		.amdhsa_system_sgpr_workgroup_info 0
		.amdhsa_system_vgpr_workitem_id 0
		.amdhsa_next_free_vgpr 42
		.amdhsa_next_free_sgpr 22
		.amdhsa_accum_offset 44
		.amdhsa_reserve_vcc 1
		.amdhsa_reserve_flat_scratch 0
		.amdhsa_float_round_mode_32 0
		.amdhsa_float_round_mode_16_64 0
		.amdhsa_float_denorm_mode_32 3
		.amdhsa_float_denorm_mode_16_64 3
		.amdhsa_dx10_clamp 1
		.amdhsa_ieee_mode 1
		.amdhsa_fp16_overflow 0
		.amdhsa_tg_split 0
		.amdhsa_exception_fp_ieee_invalid_op 0
		.amdhsa_exception_fp_denorm_src 0
		.amdhsa_exception_fp_ieee_div_zero 0
		.amdhsa_exception_fp_ieee_overflow 0
		.amdhsa_exception_fp_ieee_underflow 0
		.amdhsa_exception_fp_ieee_inexact 0
		.amdhsa_exception_int_div_zero 0
	.end_amdhsa_kernel
	.section	.text._ZN7rocprim17ROCPRIM_400000_NS6detail17trampoline_kernelINS0_14default_configENS1_20scan_config_selectorIyEEZZNS1_9scan_implILNS1_25lookback_scan_determinismE0ELb0ELb0ES3_N6thrust23THRUST_200600_302600_NS6detail15normal_iteratorINS9_10device_ptrIyEEEESE_y11max_functorIyEyEEDaPvRmT3_T4_T5_mT6_P12ihipStream_tbENKUlT_T0_E_clISt17integral_constantIbLb1EESU_EEDaSP_SQ_EUlSP_E0_NS1_11comp_targetILNS1_3genE4ELNS1_11target_archE910ELNS1_3gpuE8ELNS1_3repE0EEENS1_30default_config_static_selectorELNS0_4arch9wavefront6targetE1EEEvT1_,"axG",@progbits,_ZN7rocprim17ROCPRIM_400000_NS6detail17trampoline_kernelINS0_14default_configENS1_20scan_config_selectorIyEEZZNS1_9scan_implILNS1_25lookback_scan_determinismE0ELb0ELb0ES3_N6thrust23THRUST_200600_302600_NS6detail15normal_iteratorINS9_10device_ptrIyEEEESE_y11max_functorIyEyEEDaPvRmT3_T4_T5_mT6_P12ihipStream_tbENKUlT_T0_E_clISt17integral_constantIbLb1EESU_EEDaSP_SQ_EUlSP_E0_NS1_11comp_targetILNS1_3genE4ELNS1_11target_archE910ELNS1_3gpuE8ELNS1_3repE0EEENS1_30default_config_static_selectorELNS0_4arch9wavefront6targetE1EEEvT1_,comdat
.Lfunc_end2127:
	.size	_ZN7rocprim17ROCPRIM_400000_NS6detail17trampoline_kernelINS0_14default_configENS1_20scan_config_selectorIyEEZZNS1_9scan_implILNS1_25lookback_scan_determinismE0ELb0ELb0ES3_N6thrust23THRUST_200600_302600_NS6detail15normal_iteratorINS9_10device_ptrIyEEEESE_y11max_functorIyEyEEDaPvRmT3_T4_T5_mT6_P12ihipStream_tbENKUlT_T0_E_clISt17integral_constantIbLb1EESU_EEDaSP_SQ_EUlSP_E0_NS1_11comp_targetILNS1_3genE4ELNS1_11target_archE910ELNS1_3gpuE8ELNS1_3repE0EEENS1_30default_config_static_selectorELNS0_4arch9wavefront6targetE1EEEvT1_, .Lfunc_end2127-_ZN7rocprim17ROCPRIM_400000_NS6detail17trampoline_kernelINS0_14default_configENS1_20scan_config_selectorIyEEZZNS1_9scan_implILNS1_25lookback_scan_determinismE0ELb0ELb0ES3_N6thrust23THRUST_200600_302600_NS6detail15normal_iteratorINS9_10device_ptrIyEEEESE_y11max_functorIyEyEEDaPvRmT3_T4_T5_mT6_P12ihipStream_tbENKUlT_T0_E_clISt17integral_constantIbLb1EESU_EEDaSP_SQ_EUlSP_E0_NS1_11comp_targetILNS1_3genE4ELNS1_11target_archE910ELNS1_3gpuE8ELNS1_3repE0EEENS1_30default_config_static_selectorELNS0_4arch9wavefront6targetE1EEEvT1_
                                        ; -- End function
	.section	.AMDGPU.csdata,"",@progbits
; Kernel info:
; codeLenInByte = 1916
; NumSgprs: 26
; NumVgprs: 42
; NumAgprs: 0
; TotalNumVgprs: 42
; ScratchSize: 0
; MemoryBound: 0
; FloatMode: 240
; IeeeMode: 1
; LDSByteSize: 7168 bytes/workgroup (compile time only)
; SGPRBlocks: 3
; VGPRBlocks: 5
; NumSGPRsForWavesPerEU: 26
; NumVGPRsForWavesPerEU: 42
; AccumOffset: 44
; Occupancy: 5
; WaveLimiterHint : 0
; COMPUTE_PGM_RSRC2:SCRATCH_EN: 0
; COMPUTE_PGM_RSRC2:USER_SGPR: 6
; COMPUTE_PGM_RSRC2:TRAP_HANDLER: 0
; COMPUTE_PGM_RSRC2:TGID_X_EN: 1
; COMPUTE_PGM_RSRC2:TGID_Y_EN: 0
; COMPUTE_PGM_RSRC2:TGID_Z_EN: 0
; COMPUTE_PGM_RSRC2:TIDIG_COMP_CNT: 0
; COMPUTE_PGM_RSRC3_GFX90A:ACCUM_OFFSET: 10
; COMPUTE_PGM_RSRC3_GFX90A:TG_SPLIT: 0
	.section	.text._ZN7rocprim17ROCPRIM_400000_NS6detail17trampoline_kernelINS0_14default_configENS1_20scan_config_selectorIyEEZZNS1_9scan_implILNS1_25lookback_scan_determinismE0ELb0ELb0ES3_N6thrust23THRUST_200600_302600_NS6detail15normal_iteratorINS9_10device_ptrIyEEEESE_y11max_functorIyEyEEDaPvRmT3_T4_T5_mT6_P12ihipStream_tbENKUlT_T0_E_clISt17integral_constantIbLb1EESU_EEDaSP_SQ_EUlSP_E0_NS1_11comp_targetILNS1_3genE3ELNS1_11target_archE908ELNS1_3gpuE7ELNS1_3repE0EEENS1_30default_config_static_selectorELNS0_4arch9wavefront6targetE1EEEvT1_,"axG",@progbits,_ZN7rocprim17ROCPRIM_400000_NS6detail17trampoline_kernelINS0_14default_configENS1_20scan_config_selectorIyEEZZNS1_9scan_implILNS1_25lookback_scan_determinismE0ELb0ELb0ES3_N6thrust23THRUST_200600_302600_NS6detail15normal_iteratorINS9_10device_ptrIyEEEESE_y11max_functorIyEyEEDaPvRmT3_T4_T5_mT6_P12ihipStream_tbENKUlT_T0_E_clISt17integral_constantIbLb1EESU_EEDaSP_SQ_EUlSP_E0_NS1_11comp_targetILNS1_3genE3ELNS1_11target_archE908ELNS1_3gpuE7ELNS1_3repE0EEENS1_30default_config_static_selectorELNS0_4arch9wavefront6targetE1EEEvT1_,comdat
	.protected	_ZN7rocprim17ROCPRIM_400000_NS6detail17trampoline_kernelINS0_14default_configENS1_20scan_config_selectorIyEEZZNS1_9scan_implILNS1_25lookback_scan_determinismE0ELb0ELb0ES3_N6thrust23THRUST_200600_302600_NS6detail15normal_iteratorINS9_10device_ptrIyEEEESE_y11max_functorIyEyEEDaPvRmT3_T4_T5_mT6_P12ihipStream_tbENKUlT_T0_E_clISt17integral_constantIbLb1EESU_EEDaSP_SQ_EUlSP_E0_NS1_11comp_targetILNS1_3genE3ELNS1_11target_archE908ELNS1_3gpuE7ELNS1_3repE0EEENS1_30default_config_static_selectorELNS0_4arch9wavefront6targetE1EEEvT1_ ; -- Begin function _ZN7rocprim17ROCPRIM_400000_NS6detail17trampoline_kernelINS0_14default_configENS1_20scan_config_selectorIyEEZZNS1_9scan_implILNS1_25lookback_scan_determinismE0ELb0ELb0ES3_N6thrust23THRUST_200600_302600_NS6detail15normal_iteratorINS9_10device_ptrIyEEEESE_y11max_functorIyEyEEDaPvRmT3_T4_T5_mT6_P12ihipStream_tbENKUlT_T0_E_clISt17integral_constantIbLb1EESU_EEDaSP_SQ_EUlSP_E0_NS1_11comp_targetILNS1_3genE3ELNS1_11target_archE908ELNS1_3gpuE7ELNS1_3repE0EEENS1_30default_config_static_selectorELNS0_4arch9wavefront6targetE1EEEvT1_
	.globl	_ZN7rocprim17ROCPRIM_400000_NS6detail17trampoline_kernelINS0_14default_configENS1_20scan_config_selectorIyEEZZNS1_9scan_implILNS1_25lookback_scan_determinismE0ELb0ELb0ES3_N6thrust23THRUST_200600_302600_NS6detail15normal_iteratorINS9_10device_ptrIyEEEESE_y11max_functorIyEyEEDaPvRmT3_T4_T5_mT6_P12ihipStream_tbENKUlT_T0_E_clISt17integral_constantIbLb1EESU_EEDaSP_SQ_EUlSP_E0_NS1_11comp_targetILNS1_3genE3ELNS1_11target_archE908ELNS1_3gpuE7ELNS1_3repE0EEENS1_30default_config_static_selectorELNS0_4arch9wavefront6targetE1EEEvT1_
	.p2align	8
	.type	_ZN7rocprim17ROCPRIM_400000_NS6detail17trampoline_kernelINS0_14default_configENS1_20scan_config_selectorIyEEZZNS1_9scan_implILNS1_25lookback_scan_determinismE0ELb0ELb0ES3_N6thrust23THRUST_200600_302600_NS6detail15normal_iteratorINS9_10device_ptrIyEEEESE_y11max_functorIyEyEEDaPvRmT3_T4_T5_mT6_P12ihipStream_tbENKUlT_T0_E_clISt17integral_constantIbLb1EESU_EEDaSP_SQ_EUlSP_E0_NS1_11comp_targetILNS1_3genE3ELNS1_11target_archE908ELNS1_3gpuE7ELNS1_3repE0EEENS1_30default_config_static_selectorELNS0_4arch9wavefront6targetE1EEEvT1_,@function
_ZN7rocprim17ROCPRIM_400000_NS6detail17trampoline_kernelINS0_14default_configENS1_20scan_config_selectorIyEEZZNS1_9scan_implILNS1_25lookback_scan_determinismE0ELb0ELb0ES3_N6thrust23THRUST_200600_302600_NS6detail15normal_iteratorINS9_10device_ptrIyEEEESE_y11max_functorIyEyEEDaPvRmT3_T4_T5_mT6_P12ihipStream_tbENKUlT_T0_E_clISt17integral_constantIbLb1EESU_EEDaSP_SQ_EUlSP_E0_NS1_11comp_targetILNS1_3genE3ELNS1_11target_archE908ELNS1_3gpuE7ELNS1_3repE0EEENS1_30default_config_static_selectorELNS0_4arch9wavefront6targetE1EEEvT1_: ; @_ZN7rocprim17ROCPRIM_400000_NS6detail17trampoline_kernelINS0_14default_configENS1_20scan_config_selectorIyEEZZNS1_9scan_implILNS1_25lookback_scan_determinismE0ELb0ELb0ES3_N6thrust23THRUST_200600_302600_NS6detail15normal_iteratorINS9_10device_ptrIyEEEESE_y11max_functorIyEyEEDaPvRmT3_T4_T5_mT6_P12ihipStream_tbENKUlT_T0_E_clISt17integral_constantIbLb1EESU_EEDaSP_SQ_EUlSP_E0_NS1_11comp_targetILNS1_3genE3ELNS1_11target_archE908ELNS1_3gpuE7ELNS1_3repE0EEENS1_30default_config_static_selectorELNS0_4arch9wavefront6targetE1EEEvT1_
; %bb.0:
	.section	.rodata,"a",@progbits
	.p2align	6, 0x0
	.amdhsa_kernel _ZN7rocprim17ROCPRIM_400000_NS6detail17trampoline_kernelINS0_14default_configENS1_20scan_config_selectorIyEEZZNS1_9scan_implILNS1_25lookback_scan_determinismE0ELb0ELb0ES3_N6thrust23THRUST_200600_302600_NS6detail15normal_iteratorINS9_10device_ptrIyEEEESE_y11max_functorIyEyEEDaPvRmT3_T4_T5_mT6_P12ihipStream_tbENKUlT_T0_E_clISt17integral_constantIbLb1EESU_EEDaSP_SQ_EUlSP_E0_NS1_11comp_targetILNS1_3genE3ELNS1_11target_archE908ELNS1_3gpuE7ELNS1_3repE0EEENS1_30default_config_static_selectorELNS0_4arch9wavefront6targetE1EEEvT1_
		.amdhsa_group_segment_fixed_size 0
		.amdhsa_private_segment_fixed_size 0
		.amdhsa_kernarg_size 40
		.amdhsa_user_sgpr_count 6
		.amdhsa_user_sgpr_private_segment_buffer 1
		.amdhsa_user_sgpr_dispatch_ptr 0
		.amdhsa_user_sgpr_queue_ptr 0
		.amdhsa_user_sgpr_kernarg_segment_ptr 1
		.amdhsa_user_sgpr_dispatch_id 0
		.amdhsa_user_sgpr_flat_scratch_init 0
		.amdhsa_user_sgpr_kernarg_preload_length 0
		.amdhsa_user_sgpr_kernarg_preload_offset 0
		.amdhsa_user_sgpr_private_segment_size 0
		.amdhsa_uses_dynamic_stack 0
		.amdhsa_system_sgpr_private_segment_wavefront_offset 0
		.amdhsa_system_sgpr_workgroup_id_x 1
		.amdhsa_system_sgpr_workgroup_id_y 0
		.amdhsa_system_sgpr_workgroup_id_z 0
		.amdhsa_system_sgpr_workgroup_info 0
		.amdhsa_system_vgpr_workitem_id 0
		.amdhsa_next_free_vgpr 1
		.amdhsa_next_free_sgpr 0
		.amdhsa_accum_offset 4
		.amdhsa_reserve_vcc 0
		.amdhsa_reserve_flat_scratch 0
		.amdhsa_float_round_mode_32 0
		.amdhsa_float_round_mode_16_64 0
		.amdhsa_float_denorm_mode_32 3
		.amdhsa_float_denorm_mode_16_64 3
		.amdhsa_dx10_clamp 1
		.amdhsa_ieee_mode 1
		.amdhsa_fp16_overflow 0
		.amdhsa_tg_split 0
		.amdhsa_exception_fp_ieee_invalid_op 0
		.amdhsa_exception_fp_denorm_src 0
		.amdhsa_exception_fp_ieee_div_zero 0
		.amdhsa_exception_fp_ieee_overflow 0
		.amdhsa_exception_fp_ieee_underflow 0
		.amdhsa_exception_fp_ieee_inexact 0
		.amdhsa_exception_int_div_zero 0
	.end_amdhsa_kernel
	.section	.text._ZN7rocprim17ROCPRIM_400000_NS6detail17trampoline_kernelINS0_14default_configENS1_20scan_config_selectorIyEEZZNS1_9scan_implILNS1_25lookback_scan_determinismE0ELb0ELb0ES3_N6thrust23THRUST_200600_302600_NS6detail15normal_iteratorINS9_10device_ptrIyEEEESE_y11max_functorIyEyEEDaPvRmT3_T4_T5_mT6_P12ihipStream_tbENKUlT_T0_E_clISt17integral_constantIbLb1EESU_EEDaSP_SQ_EUlSP_E0_NS1_11comp_targetILNS1_3genE3ELNS1_11target_archE908ELNS1_3gpuE7ELNS1_3repE0EEENS1_30default_config_static_selectorELNS0_4arch9wavefront6targetE1EEEvT1_,"axG",@progbits,_ZN7rocprim17ROCPRIM_400000_NS6detail17trampoline_kernelINS0_14default_configENS1_20scan_config_selectorIyEEZZNS1_9scan_implILNS1_25lookback_scan_determinismE0ELb0ELb0ES3_N6thrust23THRUST_200600_302600_NS6detail15normal_iteratorINS9_10device_ptrIyEEEESE_y11max_functorIyEyEEDaPvRmT3_T4_T5_mT6_P12ihipStream_tbENKUlT_T0_E_clISt17integral_constantIbLb1EESU_EEDaSP_SQ_EUlSP_E0_NS1_11comp_targetILNS1_3genE3ELNS1_11target_archE908ELNS1_3gpuE7ELNS1_3repE0EEENS1_30default_config_static_selectorELNS0_4arch9wavefront6targetE1EEEvT1_,comdat
.Lfunc_end2128:
	.size	_ZN7rocprim17ROCPRIM_400000_NS6detail17trampoline_kernelINS0_14default_configENS1_20scan_config_selectorIyEEZZNS1_9scan_implILNS1_25lookback_scan_determinismE0ELb0ELb0ES3_N6thrust23THRUST_200600_302600_NS6detail15normal_iteratorINS9_10device_ptrIyEEEESE_y11max_functorIyEyEEDaPvRmT3_T4_T5_mT6_P12ihipStream_tbENKUlT_T0_E_clISt17integral_constantIbLb1EESU_EEDaSP_SQ_EUlSP_E0_NS1_11comp_targetILNS1_3genE3ELNS1_11target_archE908ELNS1_3gpuE7ELNS1_3repE0EEENS1_30default_config_static_selectorELNS0_4arch9wavefront6targetE1EEEvT1_, .Lfunc_end2128-_ZN7rocprim17ROCPRIM_400000_NS6detail17trampoline_kernelINS0_14default_configENS1_20scan_config_selectorIyEEZZNS1_9scan_implILNS1_25lookback_scan_determinismE0ELb0ELb0ES3_N6thrust23THRUST_200600_302600_NS6detail15normal_iteratorINS9_10device_ptrIyEEEESE_y11max_functorIyEyEEDaPvRmT3_T4_T5_mT6_P12ihipStream_tbENKUlT_T0_E_clISt17integral_constantIbLb1EESU_EEDaSP_SQ_EUlSP_E0_NS1_11comp_targetILNS1_3genE3ELNS1_11target_archE908ELNS1_3gpuE7ELNS1_3repE0EEENS1_30default_config_static_selectorELNS0_4arch9wavefront6targetE1EEEvT1_
                                        ; -- End function
	.section	.AMDGPU.csdata,"",@progbits
; Kernel info:
; codeLenInByte = 0
; NumSgprs: 4
; NumVgprs: 0
; NumAgprs: 0
; TotalNumVgprs: 0
; ScratchSize: 0
; MemoryBound: 0
; FloatMode: 240
; IeeeMode: 1
; LDSByteSize: 0 bytes/workgroup (compile time only)
; SGPRBlocks: 0
; VGPRBlocks: 0
; NumSGPRsForWavesPerEU: 4
; NumVGPRsForWavesPerEU: 1
; AccumOffset: 4
; Occupancy: 8
; WaveLimiterHint : 0
; COMPUTE_PGM_RSRC2:SCRATCH_EN: 0
; COMPUTE_PGM_RSRC2:USER_SGPR: 6
; COMPUTE_PGM_RSRC2:TRAP_HANDLER: 0
; COMPUTE_PGM_RSRC2:TGID_X_EN: 1
; COMPUTE_PGM_RSRC2:TGID_Y_EN: 0
; COMPUTE_PGM_RSRC2:TGID_Z_EN: 0
; COMPUTE_PGM_RSRC2:TIDIG_COMP_CNT: 0
; COMPUTE_PGM_RSRC3_GFX90A:ACCUM_OFFSET: 0
; COMPUTE_PGM_RSRC3_GFX90A:TG_SPLIT: 0
	.section	.text._ZN7rocprim17ROCPRIM_400000_NS6detail17trampoline_kernelINS0_14default_configENS1_20scan_config_selectorIyEEZZNS1_9scan_implILNS1_25lookback_scan_determinismE0ELb0ELb0ES3_N6thrust23THRUST_200600_302600_NS6detail15normal_iteratorINS9_10device_ptrIyEEEESE_y11max_functorIyEyEEDaPvRmT3_T4_T5_mT6_P12ihipStream_tbENKUlT_T0_E_clISt17integral_constantIbLb1EESU_EEDaSP_SQ_EUlSP_E0_NS1_11comp_targetILNS1_3genE2ELNS1_11target_archE906ELNS1_3gpuE6ELNS1_3repE0EEENS1_30default_config_static_selectorELNS0_4arch9wavefront6targetE1EEEvT1_,"axG",@progbits,_ZN7rocprim17ROCPRIM_400000_NS6detail17trampoline_kernelINS0_14default_configENS1_20scan_config_selectorIyEEZZNS1_9scan_implILNS1_25lookback_scan_determinismE0ELb0ELb0ES3_N6thrust23THRUST_200600_302600_NS6detail15normal_iteratorINS9_10device_ptrIyEEEESE_y11max_functorIyEyEEDaPvRmT3_T4_T5_mT6_P12ihipStream_tbENKUlT_T0_E_clISt17integral_constantIbLb1EESU_EEDaSP_SQ_EUlSP_E0_NS1_11comp_targetILNS1_3genE2ELNS1_11target_archE906ELNS1_3gpuE6ELNS1_3repE0EEENS1_30default_config_static_selectorELNS0_4arch9wavefront6targetE1EEEvT1_,comdat
	.protected	_ZN7rocprim17ROCPRIM_400000_NS6detail17trampoline_kernelINS0_14default_configENS1_20scan_config_selectorIyEEZZNS1_9scan_implILNS1_25lookback_scan_determinismE0ELb0ELb0ES3_N6thrust23THRUST_200600_302600_NS6detail15normal_iteratorINS9_10device_ptrIyEEEESE_y11max_functorIyEyEEDaPvRmT3_T4_T5_mT6_P12ihipStream_tbENKUlT_T0_E_clISt17integral_constantIbLb1EESU_EEDaSP_SQ_EUlSP_E0_NS1_11comp_targetILNS1_3genE2ELNS1_11target_archE906ELNS1_3gpuE6ELNS1_3repE0EEENS1_30default_config_static_selectorELNS0_4arch9wavefront6targetE1EEEvT1_ ; -- Begin function _ZN7rocprim17ROCPRIM_400000_NS6detail17trampoline_kernelINS0_14default_configENS1_20scan_config_selectorIyEEZZNS1_9scan_implILNS1_25lookback_scan_determinismE0ELb0ELb0ES3_N6thrust23THRUST_200600_302600_NS6detail15normal_iteratorINS9_10device_ptrIyEEEESE_y11max_functorIyEyEEDaPvRmT3_T4_T5_mT6_P12ihipStream_tbENKUlT_T0_E_clISt17integral_constantIbLb1EESU_EEDaSP_SQ_EUlSP_E0_NS1_11comp_targetILNS1_3genE2ELNS1_11target_archE906ELNS1_3gpuE6ELNS1_3repE0EEENS1_30default_config_static_selectorELNS0_4arch9wavefront6targetE1EEEvT1_
	.globl	_ZN7rocprim17ROCPRIM_400000_NS6detail17trampoline_kernelINS0_14default_configENS1_20scan_config_selectorIyEEZZNS1_9scan_implILNS1_25lookback_scan_determinismE0ELb0ELb0ES3_N6thrust23THRUST_200600_302600_NS6detail15normal_iteratorINS9_10device_ptrIyEEEESE_y11max_functorIyEyEEDaPvRmT3_T4_T5_mT6_P12ihipStream_tbENKUlT_T0_E_clISt17integral_constantIbLb1EESU_EEDaSP_SQ_EUlSP_E0_NS1_11comp_targetILNS1_3genE2ELNS1_11target_archE906ELNS1_3gpuE6ELNS1_3repE0EEENS1_30default_config_static_selectorELNS0_4arch9wavefront6targetE1EEEvT1_
	.p2align	8
	.type	_ZN7rocprim17ROCPRIM_400000_NS6detail17trampoline_kernelINS0_14default_configENS1_20scan_config_selectorIyEEZZNS1_9scan_implILNS1_25lookback_scan_determinismE0ELb0ELb0ES3_N6thrust23THRUST_200600_302600_NS6detail15normal_iteratorINS9_10device_ptrIyEEEESE_y11max_functorIyEyEEDaPvRmT3_T4_T5_mT6_P12ihipStream_tbENKUlT_T0_E_clISt17integral_constantIbLb1EESU_EEDaSP_SQ_EUlSP_E0_NS1_11comp_targetILNS1_3genE2ELNS1_11target_archE906ELNS1_3gpuE6ELNS1_3repE0EEENS1_30default_config_static_selectorELNS0_4arch9wavefront6targetE1EEEvT1_,@function
_ZN7rocprim17ROCPRIM_400000_NS6detail17trampoline_kernelINS0_14default_configENS1_20scan_config_selectorIyEEZZNS1_9scan_implILNS1_25lookback_scan_determinismE0ELb0ELb0ES3_N6thrust23THRUST_200600_302600_NS6detail15normal_iteratorINS9_10device_ptrIyEEEESE_y11max_functorIyEyEEDaPvRmT3_T4_T5_mT6_P12ihipStream_tbENKUlT_T0_E_clISt17integral_constantIbLb1EESU_EEDaSP_SQ_EUlSP_E0_NS1_11comp_targetILNS1_3genE2ELNS1_11target_archE906ELNS1_3gpuE6ELNS1_3repE0EEENS1_30default_config_static_selectorELNS0_4arch9wavefront6targetE1EEEvT1_: ; @_ZN7rocprim17ROCPRIM_400000_NS6detail17trampoline_kernelINS0_14default_configENS1_20scan_config_selectorIyEEZZNS1_9scan_implILNS1_25lookback_scan_determinismE0ELb0ELb0ES3_N6thrust23THRUST_200600_302600_NS6detail15normal_iteratorINS9_10device_ptrIyEEEESE_y11max_functorIyEyEEDaPvRmT3_T4_T5_mT6_P12ihipStream_tbENKUlT_T0_E_clISt17integral_constantIbLb1EESU_EEDaSP_SQ_EUlSP_E0_NS1_11comp_targetILNS1_3genE2ELNS1_11target_archE906ELNS1_3gpuE6ELNS1_3repE0EEENS1_30default_config_static_selectorELNS0_4arch9wavefront6targetE1EEEvT1_
; %bb.0:
	.section	.rodata,"a",@progbits
	.p2align	6, 0x0
	.amdhsa_kernel _ZN7rocprim17ROCPRIM_400000_NS6detail17trampoline_kernelINS0_14default_configENS1_20scan_config_selectorIyEEZZNS1_9scan_implILNS1_25lookback_scan_determinismE0ELb0ELb0ES3_N6thrust23THRUST_200600_302600_NS6detail15normal_iteratorINS9_10device_ptrIyEEEESE_y11max_functorIyEyEEDaPvRmT3_T4_T5_mT6_P12ihipStream_tbENKUlT_T0_E_clISt17integral_constantIbLb1EESU_EEDaSP_SQ_EUlSP_E0_NS1_11comp_targetILNS1_3genE2ELNS1_11target_archE906ELNS1_3gpuE6ELNS1_3repE0EEENS1_30default_config_static_selectorELNS0_4arch9wavefront6targetE1EEEvT1_
		.amdhsa_group_segment_fixed_size 0
		.amdhsa_private_segment_fixed_size 0
		.amdhsa_kernarg_size 40
		.amdhsa_user_sgpr_count 6
		.amdhsa_user_sgpr_private_segment_buffer 1
		.amdhsa_user_sgpr_dispatch_ptr 0
		.amdhsa_user_sgpr_queue_ptr 0
		.amdhsa_user_sgpr_kernarg_segment_ptr 1
		.amdhsa_user_sgpr_dispatch_id 0
		.amdhsa_user_sgpr_flat_scratch_init 0
		.amdhsa_user_sgpr_kernarg_preload_length 0
		.amdhsa_user_sgpr_kernarg_preload_offset 0
		.amdhsa_user_sgpr_private_segment_size 0
		.amdhsa_uses_dynamic_stack 0
		.amdhsa_system_sgpr_private_segment_wavefront_offset 0
		.amdhsa_system_sgpr_workgroup_id_x 1
		.amdhsa_system_sgpr_workgroup_id_y 0
		.amdhsa_system_sgpr_workgroup_id_z 0
		.amdhsa_system_sgpr_workgroup_info 0
		.amdhsa_system_vgpr_workitem_id 0
		.amdhsa_next_free_vgpr 1
		.amdhsa_next_free_sgpr 0
		.amdhsa_accum_offset 4
		.amdhsa_reserve_vcc 0
		.amdhsa_reserve_flat_scratch 0
		.amdhsa_float_round_mode_32 0
		.amdhsa_float_round_mode_16_64 0
		.amdhsa_float_denorm_mode_32 3
		.amdhsa_float_denorm_mode_16_64 3
		.amdhsa_dx10_clamp 1
		.amdhsa_ieee_mode 1
		.amdhsa_fp16_overflow 0
		.amdhsa_tg_split 0
		.amdhsa_exception_fp_ieee_invalid_op 0
		.amdhsa_exception_fp_denorm_src 0
		.amdhsa_exception_fp_ieee_div_zero 0
		.amdhsa_exception_fp_ieee_overflow 0
		.amdhsa_exception_fp_ieee_underflow 0
		.amdhsa_exception_fp_ieee_inexact 0
		.amdhsa_exception_int_div_zero 0
	.end_amdhsa_kernel
	.section	.text._ZN7rocprim17ROCPRIM_400000_NS6detail17trampoline_kernelINS0_14default_configENS1_20scan_config_selectorIyEEZZNS1_9scan_implILNS1_25lookback_scan_determinismE0ELb0ELb0ES3_N6thrust23THRUST_200600_302600_NS6detail15normal_iteratorINS9_10device_ptrIyEEEESE_y11max_functorIyEyEEDaPvRmT3_T4_T5_mT6_P12ihipStream_tbENKUlT_T0_E_clISt17integral_constantIbLb1EESU_EEDaSP_SQ_EUlSP_E0_NS1_11comp_targetILNS1_3genE2ELNS1_11target_archE906ELNS1_3gpuE6ELNS1_3repE0EEENS1_30default_config_static_selectorELNS0_4arch9wavefront6targetE1EEEvT1_,"axG",@progbits,_ZN7rocprim17ROCPRIM_400000_NS6detail17trampoline_kernelINS0_14default_configENS1_20scan_config_selectorIyEEZZNS1_9scan_implILNS1_25lookback_scan_determinismE0ELb0ELb0ES3_N6thrust23THRUST_200600_302600_NS6detail15normal_iteratorINS9_10device_ptrIyEEEESE_y11max_functorIyEyEEDaPvRmT3_T4_T5_mT6_P12ihipStream_tbENKUlT_T0_E_clISt17integral_constantIbLb1EESU_EEDaSP_SQ_EUlSP_E0_NS1_11comp_targetILNS1_3genE2ELNS1_11target_archE906ELNS1_3gpuE6ELNS1_3repE0EEENS1_30default_config_static_selectorELNS0_4arch9wavefront6targetE1EEEvT1_,comdat
.Lfunc_end2129:
	.size	_ZN7rocprim17ROCPRIM_400000_NS6detail17trampoline_kernelINS0_14default_configENS1_20scan_config_selectorIyEEZZNS1_9scan_implILNS1_25lookback_scan_determinismE0ELb0ELb0ES3_N6thrust23THRUST_200600_302600_NS6detail15normal_iteratorINS9_10device_ptrIyEEEESE_y11max_functorIyEyEEDaPvRmT3_T4_T5_mT6_P12ihipStream_tbENKUlT_T0_E_clISt17integral_constantIbLb1EESU_EEDaSP_SQ_EUlSP_E0_NS1_11comp_targetILNS1_3genE2ELNS1_11target_archE906ELNS1_3gpuE6ELNS1_3repE0EEENS1_30default_config_static_selectorELNS0_4arch9wavefront6targetE1EEEvT1_, .Lfunc_end2129-_ZN7rocprim17ROCPRIM_400000_NS6detail17trampoline_kernelINS0_14default_configENS1_20scan_config_selectorIyEEZZNS1_9scan_implILNS1_25lookback_scan_determinismE0ELb0ELb0ES3_N6thrust23THRUST_200600_302600_NS6detail15normal_iteratorINS9_10device_ptrIyEEEESE_y11max_functorIyEyEEDaPvRmT3_T4_T5_mT6_P12ihipStream_tbENKUlT_T0_E_clISt17integral_constantIbLb1EESU_EEDaSP_SQ_EUlSP_E0_NS1_11comp_targetILNS1_3genE2ELNS1_11target_archE906ELNS1_3gpuE6ELNS1_3repE0EEENS1_30default_config_static_selectorELNS0_4arch9wavefront6targetE1EEEvT1_
                                        ; -- End function
	.section	.AMDGPU.csdata,"",@progbits
; Kernel info:
; codeLenInByte = 0
; NumSgprs: 4
; NumVgprs: 0
; NumAgprs: 0
; TotalNumVgprs: 0
; ScratchSize: 0
; MemoryBound: 0
; FloatMode: 240
; IeeeMode: 1
; LDSByteSize: 0 bytes/workgroup (compile time only)
; SGPRBlocks: 0
; VGPRBlocks: 0
; NumSGPRsForWavesPerEU: 4
; NumVGPRsForWavesPerEU: 1
; AccumOffset: 4
; Occupancy: 8
; WaveLimiterHint : 0
; COMPUTE_PGM_RSRC2:SCRATCH_EN: 0
; COMPUTE_PGM_RSRC2:USER_SGPR: 6
; COMPUTE_PGM_RSRC2:TRAP_HANDLER: 0
; COMPUTE_PGM_RSRC2:TGID_X_EN: 1
; COMPUTE_PGM_RSRC2:TGID_Y_EN: 0
; COMPUTE_PGM_RSRC2:TGID_Z_EN: 0
; COMPUTE_PGM_RSRC2:TIDIG_COMP_CNT: 0
; COMPUTE_PGM_RSRC3_GFX90A:ACCUM_OFFSET: 0
; COMPUTE_PGM_RSRC3_GFX90A:TG_SPLIT: 0
	.section	.text._ZN7rocprim17ROCPRIM_400000_NS6detail17trampoline_kernelINS0_14default_configENS1_20scan_config_selectorIyEEZZNS1_9scan_implILNS1_25lookback_scan_determinismE0ELb0ELb0ES3_N6thrust23THRUST_200600_302600_NS6detail15normal_iteratorINS9_10device_ptrIyEEEESE_y11max_functorIyEyEEDaPvRmT3_T4_T5_mT6_P12ihipStream_tbENKUlT_T0_E_clISt17integral_constantIbLb1EESU_EEDaSP_SQ_EUlSP_E0_NS1_11comp_targetILNS1_3genE10ELNS1_11target_archE1201ELNS1_3gpuE5ELNS1_3repE0EEENS1_30default_config_static_selectorELNS0_4arch9wavefront6targetE1EEEvT1_,"axG",@progbits,_ZN7rocprim17ROCPRIM_400000_NS6detail17trampoline_kernelINS0_14default_configENS1_20scan_config_selectorIyEEZZNS1_9scan_implILNS1_25lookback_scan_determinismE0ELb0ELb0ES3_N6thrust23THRUST_200600_302600_NS6detail15normal_iteratorINS9_10device_ptrIyEEEESE_y11max_functorIyEyEEDaPvRmT3_T4_T5_mT6_P12ihipStream_tbENKUlT_T0_E_clISt17integral_constantIbLb1EESU_EEDaSP_SQ_EUlSP_E0_NS1_11comp_targetILNS1_3genE10ELNS1_11target_archE1201ELNS1_3gpuE5ELNS1_3repE0EEENS1_30default_config_static_selectorELNS0_4arch9wavefront6targetE1EEEvT1_,comdat
	.protected	_ZN7rocprim17ROCPRIM_400000_NS6detail17trampoline_kernelINS0_14default_configENS1_20scan_config_selectorIyEEZZNS1_9scan_implILNS1_25lookback_scan_determinismE0ELb0ELb0ES3_N6thrust23THRUST_200600_302600_NS6detail15normal_iteratorINS9_10device_ptrIyEEEESE_y11max_functorIyEyEEDaPvRmT3_T4_T5_mT6_P12ihipStream_tbENKUlT_T0_E_clISt17integral_constantIbLb1EESU_EEDaSP_SQ_EUlSP_E0_NS1_11comp_targetILNS1_3genE10ELNS1_11target_archE1201ELNS1_3gpuE5ELNS1_3repE0EEENS1_30default_config_static_selectorELNS0_4arch9wavefront6targetE1EEEvT1_ ; -- Begin function _ZN7rocprim17ROCPRIM_400000_NS6detail17trampoline_kernelINS0_14default_configENS1_20scan_config_selectorIyEEZZNS1_9scan_implILNS1_25lookback_scan_determinismE0ELb0ELb0ES3_N6thrust23THRUST_200600_302600_NS6detail15normal_iteratorINS9_10device_ptrIyEEEESE_y11max_functorIyEyEEDaPvRmT3_T4_T5_mT6_P12ihipStream_tbENKUlT_T0_E_clISt17integral_constantIbLb1EESU_EEDaSP_SQ_EUlSP_E0_NS1_11comp_targetILNS1_3genE10ELNS1_11target_archE1201ELNS1_3gpuE5ELNS1_3repE0EEENS1_30default_config_static_selectorELNS0_4arch9wavefront6targetE1EEEvT1_
	.globl	_ZN7rocprim17ROCPRIM_400000_NS6detail17trampoline_kernelINS0_14default_configENS1_20scan_config_selectorIyEEZZNS1_9scan_implILNS1_25lookback_scan_determinismE0ELb0ELb0ES3_N6thrust23THRUST_200600_302600_NS6detail15normal_iteratorINS9_10device_ptrIyEEEESE_y11max_functorIyEyEEDaPvRmT3_T4_T5_mT6_P12ihipStream_tbENKUlT_T0_E_clISt17integral_constantIbLb1EESU_EEDaSP_SQ_EUlSP_E0_NS1_11comp_targetILNS1_3genE10ELNS1_11target_archE1201ELNS1_3gpuE5ELNS1_3repE0EEENS1_30default_config_static_selectorELNS0_4arch9wavefront6targetE1EEEvT1_
	.p2align	8
	.type	_ZN7rocprim17ROCPRIM_400000_NS6detail17trampoline_kernelINS0_14default_configENS1_20scan_config_selectorIyEEZZNS1_9scan_implILNS1_25lookback_scan_determinismE0ELb0ELb0ES3_N6thrust23THRUST_200600_302600_NS6detail15normal_iteratorINS9_10device_ptrIyEEEESE_y11max_functorIyEyEEDaPvRmT3_T4_T5_mT6_P12ihipStream_tbENKUlT_T0_E_clISt17integral_constantIbLb1EESU_EEDaSP_SQ_EUlSP_E0_NS1_11comp_targetILNS1_3genE10ELNS1_11target_archE1201ELNS1_3gpuE5ELNS1_3repE0EEENS1_30default_config_static_selectorELNS0_4arch9wavefront6targetE1EEEvT1_,@function
_ZN7rocprim17ROCPRIM_400000_NS6detail17trampoline_kernelINS0_14default_configENS1_20scan_config_selectorIyEEZZNS1_9scan_implILNS1_25lookback_scan_determinismE0ELb0ELb0ES3_N6thrust23THRUST_200600_302600_NS6detail15normal_iteratorINS9_10device_ptrIyEEEESE_y11max_functorIyEyEEDaPvRmT3_T4_T5_mT6_P12ihipStream_tbENKUlT_T0_E_clISt17integral_constantIbLb1EESU_EEDaSP_SQ_EUlSP_E0_NS1_11comp_targetILNS1_3genE10ELNS1_11target_archE1201ELNS1_3gpuE5ELNS1_3repE0EEENS1_30default_config_static_selectorELNS0_4arch9wavefront6targetE1EEEvT1_: ; @_ZN7rocprim17ROCPRIM_400000_NS6detail17trampoline_kernelINS0_14default_configENS1_20scan_config_selectorIyEEZZNS1_9scan_implILNS1_25lookback_scan_determinismE0ELb0ELb0ES3_N6thrust23THRUST_200600_302600_NS6detail15normal_iteratorINS9_10device_ptrIyEEEESE_y11max_functorIyEyEEDaPvRmT3_T4_T5_mT6_P12ihipStream_tbENKUlT_T0_E_clISt17integral_constantIbLb1EESU_EEDaSP_SQ_EUlSP_E0_NS1_11comp_targetILNS1_3genE10ELNS1_11target_archE1201ELNS1_3gpuE5ELNS1_3repE0EEENS1_30default_config_static_selectorELNS0_4arch9wavefront6targetE1EEEvT1_
; %bb.0:
	.section	.rodata,"a",@progbits
	.p2align	6, 0x0
	.amdhsa_kernel _ZN7rocprim17ROCPRIM_400000_NS6detail17trampoline_kernelINS0_14default_configENS1_20scan_config_selectorIyEEZZNS1_9scan_implILNS1_25lookback_scan_determinismE0ELb0ELb0ES3_N6thrust23THRUST_200600_302600_NS6detail15normal_iteratorINS9_10device_ptrIyEEEESE_y11max_functorIyEyEEDaPvRmT3_T4_T5_mT6_P12ihipStream_tbENKUlT_T0_E_clISt17integral_constantIbLb1EESU_EEDaSP_SQ_EUlSP_E0_NS1_11comp_targetILNS1_3genE10ELNS1_11target_archE1201ELNS1_3gpuE5ELNS1_3repE0EEENS1_30default_config_static_selectorELNS0_4arch9wavefront6targetE1EEEvT1_
		.amdhsa_group_segment_fixed_size 0
		.amdhsa_private_segment_fixed_size 0
		.amdhsa_kernarg_size 40
		.amdhsa_user_sgpr_count 6
		.amdhsa_user_sgpr_private_segment_buffer 1
		.amdhsa_user_sgpr_dispatch_ptr 0
		.amdhsa_user_sgpr_queue_ptr 0
		.amdhsa_user_sgpr_kernarg_segment_ptr 1
		.amdhsa_user_sgpr_dispatch_id 0
		.amdhsa_user_sgpr_flat_scratch_init 0
		.amdhsa_user_sgpr_kernarg_preload_length 0
		.amdhsa_user_sgpr_kernarg_preload_offset 0
		.amdhsa_user_sgpr_private_segment_size 0
		.amdhsa_uses_dynamic_stack 0
		.amdhsa_system_sgpr_private_segment_wavefront_offset 0
		.amdhsa_system_sgpr_workgroup_id_x 1
		.amdhsa_system_sgpr_workgroup_id_y 0
		.amdhsa_system_sgpr_workgroup_id_z 0
		.amdhsa_system_sgpr_workgroup_info 0
		.amdhsa_system_vgpr_workitem_id 0
		.amdhsa_next_free_vgpr 1
		.amdhsa_next_free_sgpr 0
		.amdhsa_accum_offset 4
		.amdhsa_reserve_vcc 0
		.amdhsa_reserve_flat_scratch 0
		.amdhsa_float_round_mode_32 0
		.amdhsa_float_round_mode_16_64 0
		.amdhsa_float_denorm_mode_32 3
		.amdhsa_float_denorm_mode_16_64 3
		.amdhsa_dx10_clamp 1
		.amdhsa_ieee_mode 1
		.amdhsa_fp16_overflow 0
		.amdhsa_tg_split 0
		.amdhsa_exception_fp_ieee_invalid_op 0
		.amdhsa_exception_fp_denorm_src 0
		.amdhsa_exception_fp_ieee_div_zero 0
		.amdhsa_exception_fp_ieee_overflow 0
		.amdhsa_exception_fp_ieee_underflow 0
		.amdhsa_exception_fp_ieee_inexact 0
		.amdhsa_exception_int_div_zero 0
	.end_amdhsa_kernel
	.section	.text._ZN7rocprim17ROCPRIM_400000_NS6detail17trampoline_kernelINS0_14default_configENS1_20scan_config_selectorIyEEZZNS1_9scan_implILNS1_25lookback_scan_determinismE0ELb0ELb0ES3_N6thrust23THRUST_200600_302600_NS6detail15normal_iteratorINS9_10device_ptrIyEEEESE_y11max_functorIyEyEEDaPvRmT3_T4_T5_mT6_P12ihipStream_tbENKUlT_T0_E_clISt17integral_constantIbLb1EESU_EEDaSP_SQ_EUlSP_E0_NS1_11comp_targetILNS1_3genE10ELNS1_11target_archE1201ELNS1_3gpuE5ELNS1_3repE0EEENS1_30default_config_static_selectorELNS0_4arch9wavefront6targetE1EEEvT1_,"axG",@progbits,_ZN7rocprim17ROCPRIM_400000_NS6detail17trampoline_kernelINS0_14default_configENS1_20scan_config_selectorIyEEZZNS1_9scan_implILNS1_25lookback_scan_determinismE0ELb0ELb0ES3_N6thrust23THRUST_200600_302600_NS6detail15normal_iteratorINS9_10device_ptrIyEEEESE_y11max_functorIyEyEEDaPvRmT3_T4_T5_mT6_P12ihipStream_tbENKUlT_T0_E_clISt17integral_constantIbLb1EESU_EEDaSP_SQ_EUlSP_E0_NS1_11comp_targetILNS1_3genE10ELNS1_11target_archE1201ELNS1_3gpuE5ELNS1_3repE0EEENS1_30default_config_static_selectorELNS0_4arch9wavefront6targetE1EEEvT1_,comdat
.Lfunc_end2130:
	.size	_ZN7rocprim17ROCPRIM_400000_NS6detail17trampoline_kernelINS0_14default_configENS1_20scan_config_selectorIyEEZZNS1_9scan_implILNS1_25lookback_scan_determinismE0ELb0ELb0ES3_N6thrust23THRUST_200600_302600_NS6detail15normal_iteratorINS9_10device_ptrIyEEEESE_y11max_functorIyEyEEDaPvRmT3_T4_T5_mT6_P12ihipStream_tbENKUlT_T0_E_clISt17integral_constantIbLb1EESU_EEDaSP_SQ_EUlSP_E0_NS1_11comp_targetILNS1_3genE10ELNS1_11target_archE1201ELNS1_3gpuE5ELNS1_3repE0EEENS1_30default_config_static_selectorELNS0_4arch9wavefront6targetE1EEEvT1_, .Lfunc_end2130-_ZN7rocprim17ROCPRIM_400000_NS6detail17trampoline_kernelINS0_14default_configENS1_20scan_config_selectorIyEEZZNS1_9scan_implILNS1_25lookback_scan_determinismE0ELb0ELb0ES3_N6thrust23THRUST_200600_302600_NS6detail15normal_iteratorINS9_10device_ptrIyEEEESE_y11max_functorIyEyEEDaPvRmT3_T4_T5_mT6_P12ihipStream_tbENKUlT_T0_E_clISt17integral_constantIbLb1EESU_EEDaSP_SQ_EUlSP_E0_NS1_11comp_targetILNS1_3genE10ELNS1_11target_archE1201ELNS1_3gpuE5ELNS1_3repE0EEENS1_30default_config_static_selectorELNS0_4arch9wavefront6targetE1EEEvT1_
                                        ; -- End function
	.section	.AMDGPU.csdata,"",@progbits
; Kernel info:
; codeLenInByte = 0
; NumSgprs: 4
; NumVgprs: 0
; NumAgprs: 0
; TotalNumVgprs: 0
; ScratchSize: 0
; MemoryBound: 0
; FloatMode: 240
; IeeeMode: 1
; LDSByteSize: 0 bytes/workgroup (compile time only)
; SGPRBlocks: 0
; VGPRBlocks: 0
; NumSGPRsForWavesPerEU: 4
; NumVGPRsForWavesPerEU: 1
; AccumOffset: 4
; Occupancy: 8
; WaveLimiterHint : 0
; COMPUTE_PGM_RSRC2:SCRATCH_EN: 0
; COMPUTE_PGM_RSRC2:USER_SGPR: 6
; COMPUTE_PGM_RSRC2:TRAP_HANDLER: 0
; COMPUTE_PGM_RSRC2:TGID_X_EN: 1
; COMPUTE_PGM_RSRC2:TGID_Y_EN: 0
; COMPUTE_PGM_RSRC2:TGID_Z_EN: 0
; COMPUTE_PGM_RSRC2:TIDIG_COMP_CNT: 0
; COMPUTE_PGM_RSRC3_GFX90A:ACCUM_OFFSET: 0
; COMPUTE_PGM_RSRC3_GFX90A:TG_SPLIT: 0
	.section	.text._ZN7rocprim17ROCPRIM_400000_NS6detail17trampoline_kernelINS0_14default_configENS1_20scan_config_selectorIyEEZZNS1_9scan_implILNS1_25lookback_scan_determinismE0ELb0ELb0ES3_N6thrust23THRUST_200600_302600_NS6detail15normal_iteratorINS9_10device_ptrIyEEEESE_y11max_functorIyEyEEDaPvRmT3_T4_T5_mT6_P12ihipStream_tbENKUlT_T0_E_clISt17integral_constantIbLb1EESU_EEDaSP_SQ_EUlSP_E0_NS1_11comp_targetILNS1_3genE10ELNS1_11target_archE1200ELNS1_3gpuE4ELNS1_3repE0EEENS1_30default_config_static_selectorELNS0_4arch9wavefront6targetE1EEEvT1_,"axG",@progbits,_ZN7rocprim17ROCPRIM_400000_NS6detail17trampoline_kernelINS0_14default_configENS1_20scan_config_selectorIyEEZZNS1_9scan_implILNS1_25lookback_scan_determinismE0ELb0ELb0ES3_N6thrust23THRUST_200600_302600_NS6detail15normal_iteratorINS9_10device_ptrIyEEEESE_y11max_functorIyEyEEDaPvRmT3_T4_T5_mT6_P12ihipStream_tbENKUlT_T0_E_clISt17integral_constantIbLb1EESU_EEDaSP_SQ_EUlSP_E0_NS1_11comp_targetILNS1_3genE10ELNS1_11target_archE1200ELNS1_3gpuE4ELNS1_3repE0EEENS1_30default_config_static_selectorELNS0_4arch9wavefront6targetE1EEEvT1_,comdat
	.protected	_ZN7rocprim17ROCPRIM_400000_NS6detail17trampoline_kernelINS0_14default_configENS1_20scan_config_selectorIyEEZZNS1_9scan_implILNS1_25lookback_scan_determinismE0ELb0ELb0ES3_N6thrust23THRUST_200600_302600_NS6detail15normal_iteratorINS9_10device_ptrIyEEEESE_y11max_functorIyEyEEDaPvRmT3_T4_T5_mT6_P12ihipStream_tbENKUlT_T0_E_clISt17integral_constantIbLb1EESU_EEDaSP_SQ_EUlSP_E0_NS1_11comp_targetILNS1_3genE10ELNS1_11target_archE1200ELNS1_3gpuE4ELNS1_3repE0EEENS1_30default_config_static_selectorELNS0_4arch9wavefront6targetE1EEEvT1_ ; -- Begin function _ZN7rocprim17ROCPRIM_400000_NS6detail17trampoline_kernelINS0_14default_configENS1_20scan_config_selectorIyEEZZNS1_9scan_implILNS1_25lookback_scan_determinismE0ELb0ELb0ES3_N6thrust23THRUST_200600_302600_NS6detail15normal_iteratorINS9_10device_ptrIyEEEESE_y11max_functorIyEyEEDaPvRmT3_T4_T5_mT6_P12ihipStream_tbENKUlT_T0_E_clISt17integral_constantIbLb1EESU_EEDaSP_SQ_EUlSP_E0_NS1_11comp_targetILNS1_3genE10ELNS1_11target_archE1200ELNS1_3gpuE4ELNS1_3repE0EEENS1_30default_config_static_selectorELNS0_4arch9wavefront6targetE1EEEvT1_
	.globl	_ZN7rocprim17ROCPRIM_400000_NS6detail17trampoline_kernelINS0_14default_configENS1_20scan_config_selectorIyEEZZNS1_9scan_implILNS1_25lookback_scan_determinismE0ELb0ELb0ES3_N6thrust23THRUST_200600_302600_NS6detail15normal_iteratorINS9_10device_ptrIyEEEESE_y11max_functorIyEyEEDaPvRmT3_T4_T5_mT6_P12ihipStream_tbENKUlT_T0_E_clISt17integral_constantIbLb1EESU_EEDaSP_SQ_EUlSP_E0_NS1_11comp_targetILNS1_3genE10ELNS1_11target_archE1200ELNS1_3gpuE4ELNS1_3repE0EEENS1_30default_config_static_selectorELNS0_4arch9wavefront6targetE1EEEvT1_
	.p2align	8
	.type	_ZN7rocprim17ROCPRIM_400000_NS6detail17trampoline_kernelINS0_14default_configENS1_20scan_config_selectorIyEEZZNS1_9scan_implILNS1_25lookback_scan_determinismE0ELb0ELb0ES3_N6thrust23THRUST_200600_302600_NS6detail15normal_iteratorINS9_10device_ptrIyEEEESE_y11max_functorIyEyEEDaPvRmT3_T4_T5_mT6_P12ihipStream_tbENKUlT_T0_E_clISt17integral_constantIbLb1EESU_EEDaSP_SQ_EUlSP_E0_NS1_11comp_targetILNS1_3genE10ELNS1_11target_archE1200ELNS1_3gpuE4ELNS1_3repE0EEENS1_30default_config_static_selectorELNS0_4arch9wavefront6targetE1EEEvT1_,@function
_ZN7rocprim17ROCPRIM_400000_NS6detail17trampoline_kernelINS0_14default_configENS1_20scan_config_selectorIyEEZZNS1_9scan_implILNS1_25lookback_scan_determinismE0ELb0ELb0ES3_N6thrust23THRUST_200600_302600_NS6detail15normal_iteratorINS9_10device_ptrIyEEEESE_y11max_functorIyEyEEDaPvRmT3_T4_T5_mT6_P12ihipStream_tbENKUlT_T0_E_clISt17integral_constantIbLb1EESU_EEDaSP_SQ_EUlSP_E0_NS1_11comp_targetILNS1_3genE10ELNS1_11target_archE1200ELNS1_3gpuE4ELNS1_3repE0EEENS1_30default_config_static_selectorELNS0_4arch9wavefront6targetE1EEEvT1_: ; @_ZN7rocprim17ROCPRIM_400000_NS6detail17trampoline_kernelINS0_14default_configENS1_20scan_config_selectorIyEEZZNS1_9scan_implILNS1_25lookback_scan_determinismE0ELb0ELb0ES3_N6thrust23THRUST_200600_302600_NS6detail15normal_iteratorINS9_10device_ptrIyEEEESE_y11max_functorIyEyEEDaPvRmT3_T4_T5_mT6_P12ihipStream_tbENKUlT_T0_E_clISt17integral_constantIbLb1EESU_EEDaSP_SQ_EUlSP_E0_NS1_11comp_targetILNS1_3genE10ELNS1_11target_archE1200ELNS1_3gpuE4ELNS1_3repE0EEENS1_30default_config_static_selectorELNS0_4arch9wavefront6targetE1EEEvT1_
; %bb.0:
	.section	.rodata,"a",@progbits
	.p2align	6, 0x0
	.amdhsa_kernel _ZN7rocprim17ROCPRIM_400000_NS6detail17trampoline_kernelINS0_14default_configENS1_20scan_config_selectorIyEEZZNS1_9scan_implILNS1_25lookback_scan_determinismE0ELb0ELb0ES3_N6thrust23THRUST_200600_302600_NS6detail15normal_iteratorINS9_10device_ptrIyEEEESE_y11max_functorIyEyEEDaPvRmT3_T4_T5_mT6_P12ihipStream_tbENKUlT_T0_E_clISt17integral_constantIbLb1EESU_EEDaSP_SQ_EUlSP_E0_NS1_11comp_targetILNS1_3genE10ELNS1_11target_archE1200ELNS1_3gpuE4ELNS1_3repE0EEENS1_30default_config_static_selectorELNS0_4arch9wavefront6targetE1EEEvT1_
		.amdhsa_group_segment_fixed_size 0
		.amdhsa_private_segment_fixed_size 0
		.amdhsa_kernarg_size 40
		.amdhsa_user_sgpr_count 6
		.amdhsa_user_sgpr_private_segment_buffer 1
		.amdhsa_user_sgpr_dispatch_ptr 0
		.amdhsa_user_sgpr_queue_ptr 0
		.amdhsa_user_sgpr_kernarg_segment_ptr 1
		.amdhsa_user_sgpr_dispatch_id 0
		.amdhsa_user_sgpr_flat_scratch_init 0
		.amdhsa_user_sgpr_kernarg_preload_length 0
		.amdhsa_user_sgpr_kernarg_preload_offset 0
		.amdhsa_user_sgpr_private_segment_size 0
		.amdhsa_uses_dynamic_stack 0
		.amdhsa_system_sgpr_private_segment_wavefront_offset 0
		.amdhsa_system_sgpr_workgroup_id_x 1
		.amdhsa_system_sgpr_workgroup_id_y 0
		.amdhsa_system_sgpr_workgroup_id_z 0
		.amdhsa_system_sgpr_workgroup_info 0
		.amdhsa_system_vgpr_workitem_id 0
		.amdhsa_next_free_vgpr 1
		.amdhsa_next_free_sgpr 0
		.amdhsa_accum_offset 4
		.amdhsa_reserve_vcc 0
		.amdhsa_reserve_flat_scratch 0
		.amdhsa_float_round_mode_32 0
		.amdhsa_float_round_mode_16_64 0
		.amdhsa_float_denorm_mode_32 3
		.amdhsa_float_denorm_mode_16_64 3
		.amdhsa_dx10_clamp 1
		.amdhsa_ieee_mode 1
		.amdhsa_fp16_overflow 0
		.amdhsa_tg_split 0
		.amdhsa_exception_fp_ieee_invalid_op 0
		.amdhsa_exception_fp_denorm_src 0
		.amdhsa_exception_fp_ieee_div_zero 0
		.amdhsa_exception_fp_ieee_overflow 0
		.amdhsa_exception_fp_ieee_underflow 0
		.amdhsa_exception_fp_ieee_inexact 0
		.amdhsa_exception_int_div_zero 0
	.end_amdhsa_kernel
	.section	.text._ZN7rocprim17ROCPRIM_400000_NS6detail17trampoline_kernelINS0_14default_configENS1_20scan_config_selectorIyEEZZNS1_9scan_implILNS1_25lookback_scan_determinismE0ELb0ELb0ES3_N6thrust23THRUST_200600_302600_NS6detail15normal_iteratorINS9_10device_ptrIyEEEESE_y11max_functorIyEyEEDaPvRmT3_T4_T5_mT6_P12ihipStream_tbENKUlT_T0_E_clISt17integral_constantIbLb1EESU_EEDaSP_SQ_EUlSP_E0_NS1_11comp_targetILNS1_3genE10ELNS1_11target_archE1200ELNS1_3gpuE4ELNS1_3repE0EEENS1_30default_config_static_selectorELNS0_4arch9wavefront6targetE1EEEvT1_,"axG",@progbits,_ZN7rocprim17ROCPRIM_400000_NS6detail17trampoline_kernelINS0_14default_configENS1_20scan_config_selectorIyEEZZNS1_9scan_implILNS1_25lookback_scan_determinismE0ELb0ELb0ES3_N6thrust23THRUST_200600_302600_NS6detail15normal_iteratorINS9_10device_ptrIyEEEESE_y11max_functorIyEyEEDaPvRmT3_T4_T5_mT6_P12ihipStream_tbENKUlT_T0_E_clISt17integral_constantIbLb1EESU_EEDaSP_SQ_EUlSP_E0_NS1_11comp_targetILNS1_3genE10ELNS1_11target_archE1200ELNS1_3gpuE4ELNS1_3repE0EEENS1_30default_config_static_selectorELNS0_4arch9wavefront6targetE1EEEvT1_,comdat
.Lfunc_end2131:
	.size	_ZN7rocprim17ROCPRIM_400000_NS6detail17trampoline_kernelINS0_14default_configENS1_20scan_config_selectorIyEEZZNS1_9scan_implILNS1_25lookback_scan_determinismE0ELb0ELb0ES3_N6thrust23THRUST_200600_302600_NS6detail15normal_iteratorINS9_10device_ptrIyEEEESE_y11max_functorIyEyEEDaPvRmT3_T4_T5_mT6_P12ihipStream_tbENKUlT_T0_E_clISt17integral_constantIbLb1EESU_EEDaSP_SQ_EUlSP_E0_NS1_11comp_targetILNS1_3genE10ELNS1_11target_archE1200ELNS1_3gpuE4ELNS1_3repE0EEENS1_30default_config_static_selectorELNS0_4arch9wavefront6targetE1EEEvT1_, .Lfunc_end2131-_ZN7rocprim17ROCPRIM_400000_NS6detail17trampoline_kernelINS0_14default_configENS1_20scan_config_selectorIyEEZZNS1_9scan_implILNS1_25lookback_scan_determinismE0ELb0ELb0ES3_N6thrust23THRUST_200600_302600_NS6detail15normal_iteratorINS9_10device_ptrIyEEEESE_y11max_functorIyEyEEDaPvRmT3_T4_T5_mT6_P12ihipStream_tbENKUlT_T0_E_clISt17integral_constantIbLb1EESU_EEDaSP_SQ_EUlSP_E0_NS1_11comp_targetILNS1_3genE10ELNS1_11target_archE1200ELNS1_3gpuE4ELNS1_3repE0EEENS1_30default_config_static_selectorELNS0_4arch9wavefront6targetE1EEEvT1_
                                        ; -- End function
	.section	.AMDGPU.csdata,"",@progbits
; Kernel info:
; codeLenInByte = 0
; NumSgprs: 4
; NumVgprs: 0
; NumAgprs: 0
; TotalNumVgprs: 0
; ScratchSize: 0
; MemoryBound: 0
; FloatMode: 240
; IeeeMode: 1
; LDSByteSize: 0 bytes/workgroup (compile time only)
; SGPRBlocks: 0
; VGPRBlocks: 0
; NumSGPRsForWavesPerEU: 4
; NumVGPRsForWavesPerEU: 1
; AccumOffset: 4
; Occupancy: 8
; WaveLimiterHint : 0
; COMPUTE_PGM_RSRC2:SCRATCH_EN: 0
; COMPUTE_PGM_RSRC2:USER_SGPR: 6
; COMPUTE_PGM_RSRC2:TRAP_HANDLER: 0
; COMPUTE_PGM_RSRC2:TGID_X_EN: 1
; COMPUTE_PGM_RSRC2:TGID_Y_EN: 0
; COMPUTE_PGM_RSRC2:TGID_Z_EN: 0
; COMPUTE_PGM_RSRC2:TIDIG_COMP_CNT: 0
; COMPUTE_PGM_RSRC3_GFX90A:ACCUM_OFFSET: 0
; COMPUTE_PGM_RSRC3_GFX90A:TG_SPLIT: 0
	.section	.text._ZN7rocprim17ROCPRIM_400000_NS6detail17trampoline_kernelINS0_14default_configENS1_20scan_config_selectorIyEEZZNS1_9scan_implILNS1_25lookback_scan_determinismE0ELb0ELb0ES3_N6thrust23THRUST_200600_302600_NS6detail15normal_iteratorINS9_10device_ptrIyEEEESE_y11max_functorIyEyEEDaPvRmT3_T4_T5_mT6_P12ihipStream_tbENKUlT_T0_E_clISt17integral_constantIbLb1EESU_EEDaSP_SQ_EUlSP_E0_NS1_11comp_targetILNS1_3genE9ELNS1_11target_archE1100ELNS1_3gpuE3ELNS1_3repE0EEENS1_30default_config_static_selectorELNS0_4arch9wavefront6targetE1EEEvT1_,"axG",@progbits,_ZN7rocprim17ROCPRIM_400000_NS6detail17trampoline_kernelINS0_14default_configENS1_20scan_config_selectorIyEEZZNS1_9scan_implILNS1_25lookback_scan_determinismE0ELb0ELb0ES3_N6thrust23THRUST_200600_302600_NS6detail15normal_iteratorINS9_10device_ptrIyEEEESE_y11max_functorIyEyEEDaPvRmT3_T4_T5_mT6_P12ihipStream_tbENKUlT_T0_E_clISt17integral_constantIbLb1EESU_EEDaSP_SQ_EUlSP_E0_NS1_11comp_targetILNS1_3genE9ELNS1_11target_archE1100ELNS1_3gpuE3ELNS1_3repE0EEENS1_30default_config_static_selectorELNS0_4arch9wavefront6targetE1EEEvT1_,comdat
	.protected	_ZN7rocprim17ROCPRIM_400000_NS6detail17trampoline_kernelINS0_14default_configENS1_20scan_config_selectorIyEEZZNS1_9scan_implILNS1_25lookback_scan_determinismE0ELb0ELb0ES3_N6thrust23THRUST_200600_302600_NS6detail15normal_iteratorINS9_10device_ptrIyEEEESE_y11max_functorIyEyEEDaPvRmT3_T4_T5_mT6_P12ihipStream_tbENKUlT_T0_E_clISt17integral_constantIbLb1EESU_EEDaSP_SQ_EUlSP_E0_NS1_11comp_targetILNS1_3genE9ELNS1_11target_archE1100ELNS1_3gpuE3ELNS1_3repE0EEENS1_30default_config_static_selectorELNS0_4arch9wavefront6targetE1EEEvT1_ ; -- Begin function _ZN7rocprim17ROCPRIM_400000_NS6detail17trampoline_kernelINS0_14default_configENS1_20scan_config_selectorIyEEZZNS1_9scan_implILNS1_25lookback_scan_determinismE0ELb0ELb0ES3_N6thrust23THRUST_200600_302600_NS6detail15normal_iteratorINS9_10device_ptrIyEEEESE_y11max_functorIyEyEEDaPvRmT3_T4_T5_mT6_P12ihipStream_tbENKUlT_T0_E_clISt17integral_constantIbLb1EESU_EEDaSP_SQ_EUlSP_E0_NS1_11comp_targetILNS1_3genE9ELNS1_11target_archE1100ELNS1_3gpuE3ELNS1_3repE0EEENS1_30default_config_static_selectorELNS0_4arch9wavefront6targetE1EEEvT1_
	.globl	_ZN7rocprim17ROCPRIM_400000_NS6detail17trampoline_kernelINS0_14default_configENS1_20scan_config_selectorIyEEZZNS1_9scan_implILNS1_25lookback_scan_determinismE0ELb0ELb0ES3_N6thrust23THRUST_200600_302600_NS6detail15normal_iteratorINS9_10device_ptrIyEEEESE_y11max_functorIyEyEEDaPvRmT3_T4_T5_mT6_P12ihipStream_tbENKUlT_T0_E_clISt17integral_constantIbLb1EESU_EEDaSP_SQ_EUlSP_E0_NS1_11comp_targetILNS1_3genE9ELNS1_11target_archE1100ELNS1_3gpuE3ELNS1_3repE0EEENS1_30default_config_static_selectorELNS0_4arch9wavefront6targetE1EEEvT1_
	.p2align	8
	.type	_ZN7rocprim17ROCPRIM_400000_NS6detail17trampoline_kernelINS0_14default_configENS1_20scan_config_selectorIyEEZZNS1_9scan_implILNS1_25lookback_scan_determinismE0ELb0ELb0ES3_N6thrust23THRUST_200600_302600_NS6detail15normal_iteratorINS9_10device_ptrIyEEEESE_y11max_functorIyEyEEDaPvRmT3_T4_T5_mT6_P12ihipStream_tbENKUlT_T0_E_clISt17integral_constantIbLb1EESU_EEDaSP_SQ_EUlSP_E0_NS1_11comp_targetILNS1_3genE9ELNS1_11target_archE1100ELNS1_3gpuE3ELNS1_3repE0EEENS1_30default_config_static_selectorELNS0_4arch9wavefront6targetE1EEEvT1_,@function
_ZN7rocprim17ROCPRIM_400000_NS6detail17trampoline_kernelINS0_14default_configENS1_20scan_config_selectorIyEEZZNS1_9scan_implILNS1_25lookback_scan_determinismE0ELb0ELb0ES3_N6thrust23THRUST_200600_302600_NS6detail15normal_iteratorINS9_10device_ptrIyEEEESE_y11max_functorIyEyEEDaPvRmT3_T4_T5_mT6_P12ihipStream_tbENKUlT_T0_E_clISt17integral_constantIbLb1EESU_EEDaSP_SQ_EUlSP_E0_NS1_11comp_targetILNS1_3genE9ELNS1_11target_archE1100ELNS1_3gpuE3ELNS1_3repE0EEENS1_30default_config_static_selectorELNS0_4arch9wavefront6targetE1EEEvT1_: ; @_ZN7rocprim17ROCPRIM_400000_NS6detail17trampoline_kernelINS0_14default_configENS1_20scan_config_selectorIyEEZZNS1_9scan_implILNS1_25lookback_scan_determinismE0ELb0ELb0ES3_N6thrust23THRUST_200600_302600_NS6detail15normal_iteratorINS9_10device_ptrIyEEEESE_y11max_functorIyEyEEDaPvRmT3_T4_T5_mT6_P12ihipStream_tbENKUlT_T0_E_clISt17integral_constantIbLb1EESU_EEDaSP_SQ_EUlSP_E0_NS1_11comp_targetILNS1_3genE9ELNS1_11target_archE1100ELNS1_3gpuE3ELNS1_3repE0EEENS1_30default_config_static_selectorELNS0_4arch9wavefront6targetE1EEEvT1_
; %bb.0:
	.section	.rodata,"a",@progbits
	.p2align	6, 0x0
	.amdhsa_kernel _ZN7rocprim17ROCPRIM_400000_NS6detail17trampoline_kernelINS0_14default_configENS1_20scan_config_selectorIyEEZZNS1_9scan_implILNS1_25lookback_scan_determinismE0ELb0ELb0ES3_N6thrust23THRUST_200600_302600_NS6detail15normal_iteratorINS9_10device_ptrIyEEEESE_y11max_functorIyEyEEDaPvRmT3_T4_T5_mT6_P12ihipStream_tbENKUlT_T0_E_clISt17integral_constantIbLb1EESU_EEDaSP_SQ_EUlSP_E0_NS1_11comp_targetILNS1_3genE9ELNS1_11target_archE1100ELNS1_3gpuE3ELNS1_3repE0EEENS1_30default_config_static_selectorELNS0_4arch9wavefront6targetE1EEEvT1_
		.amdhsa_group_segment_fixed_size 0
		.amdhsa_private_segment_fixed_size 0
		.amdhsa_kernarg_size 40
		.amdhsa_user_sgpr_count 6
		.amdhsa_user_sgpr_private_segment_buffer 1
		.amdhsa_user_sgpr_dispatch_ptr 0
		.amdhsa_user_sgpr_queue_ptr 0
		.amdhsa_user_sgpr_kernarg_segment_ptr 1
		.amdhsa_user_sgpr_dispatch_id 0
		.amdhsa_user_sgpr_flat_scratch_init 0
		.amdhsa_user_sgpr_kernarg_preload_length 0
		.amdhsa_user_sgpr_kernarg_preload_offset 0
		.amdhsa_user_sgpr_private_segment_size 0
		.amdhsa_uses_dynamic_stack 0
		.amdhsa_system_sgpr_private_segment_wavefront_offset 0
		.amdhsa_system_sgpr_workgroup_id_x 1
		.amdhsa_system_sgpr_workgroup_id_y 0
		.amdhsa_system_sgpr_workgroup_id_z 0
		.amdhsa_system_sgpr_workgroup_info 0
		.amdhsa_system_vgpr_workitem_id 0
		.amdhsa_next_free_vgpr 1
		.amdhsa_next_free_sgpr 0
		.amdhsa_accum_offset 4
		.amdhsa_reserve_vcc 0
		.amdhsa_reserve_flat_scratch 0
		.amdhsa_float_round_mode_32 0
		.amdhsa_float_round_mode_16_64 0
		.amdhsa_float_denorm_mode_32 3
		.amdhsa_float_denorm_mode_16_64 3
		.amdhsa_dx10_clamp 1
		.amdhsa_ieee_mode 1
		.amdhsa_fp16_overflow 0
		.amdhsa_tg_split 0
		.amdhsa_exception_fp_ieee_invalid_op 0
		.amdhsa_exception_fp_denorm_src 0
		.amdhsa_exception_fp_ieee_div_zero 0
		.amdhsa_exception_fp_ieee_overflow 0
		.amdhsa_exception_fp_ieee_underflow 0
		.amdhsa_exception_fp_ieee_inexact 0
		.amdhsa_exception_int_div_zero 0
	.end_amdhsa_kernel
	.section	.text._ZN7rocprim17ROCPRIM_400000_NS6detail17trampoline_kernelINS0_14default_configENS1_20scan_config_selectorIyEEZZNS1_9scan_implILNS1_25lookback_scan_determinismE0ELb0ELb0ES3_N6thrust23THRUST_200600_302600_NS6detail15normal_iteratorINS9_10device_ptrIyEEEESE_y11max_functorIyEyEEDaPvRmT3_T4_T5_mT6_P12ihipStream_tbENKUlT_T0_E_clISt17integral_constantIbLb1EESU_EEDaSP_SQ_EUlSP_E0_NS1_11comp_targetILNS1_3genE9ELNS1_11target_archE1100ELNS1_3gpuE3ELNS1_3repE0EEENS1_30default_config_static_selectorELNS0_4arch9wavefront6targetE1EEEvT1_,"axG",@progbits,_ZN7rocprim17ROCPRIM_400000_NS6detail17trampoline_kernelINS0_14default_configENS1_20scan_config_selectorIyEEZZNS1_9scan_implILNS1_25lookback_scan_determinismE0ELb0ELb0ES3_N6thrust23THRUST_200600_302600_NS6detail15normal_iteratorINS9_10device_ptrIyEEEESE_y11max_functorIyEyEEDaPvRmT3_T4_T5_mT6_P12ihipStream_tbENKUlT_T0_E_clISt17integral_constantIbLb1EESU_EEDaSP_SQ_EUlSP_E0_NS1_11comp_targetILNS1_3genE9ELNS1_11target_archE1100ELNS1_3gpuE3ELNS1_3repE0EEENS1_30default_config_static_selectorELNS0_4arch9wavefront6targetE1EEEvT1_,comdat
.Lfunc_end2132:
	.size	_ZN7rocprim17ROCPRIM_400000_NS6detail17trampoline_kernelINS0_14default_configENS1_20scan_config_selectorIyEEZZNS1_9scan_implILNS1_25lookback_scan_determinismE0ELb0ELb0ES3_N6thrust23THRUST_200600_302600_NS6detail15normal_iteratorINS9_10device_ptrIyEEEESE_y11max_functorIyEyEEDaPvRmT3_T4_T5_mT6_P12ihipStream_tbENKUlT_T0_E_clISt17integral_constantIbLb1EESU_EEDaSP_SQ_EUlSP_E0_NS1_11comp_targetILNS1_3genE9ELNS1_11target_archE1100ELNS1_3gpuE3ELNS1_3repE0EEENS1_30default_config_static_selectorELNS0_4arch9wavefront6targetE1EEEvT1_, .Lfunc_end2132-_ZN7rocprim17ROCPRIM_400000_NS6detail17trampoline_kernelINS0_14default_configENS1_20scan_config_selectorIyEEZZNS1_9scan_implILNS1_25lookback_scan_determinismE0ELb0ELb0ES3_N6thrust23THRUST_200600_302600_NS6detail15normal_iteratorINS9_10device_ptrIyEEEESE_y11max_functorIyEyEEDaPvRmT3_T4_T5_mT6_P12ihipStream_tbENKUlT_T0_E_clISt17integral_constantIbLb1EESU_EEDaSP_SQ_EUlSP_E0_NS1_11comp_targetILNS1_3genE9ELNS1_11target_archE1100ELNS1_3gpuE3ELNS1_3repE0EEENS1_30default_config_static_selectorELNS0_4arch9wavefront6targetE1EEEvT1_
                                        ; -- End function
	.section	.AMDGPU.csdata,"",@progbits
; Kernel info:
; codeLenInByte = 0
; NumSgprs: 4
; NumVgprs: 0
; NumAgprs: 0
; TotalNumVgprs: 0
; ScratchSize: 0
; MemoryBound: 0
; FloatMode: 240
; IeeeMode: 1
; LDSByteSize: 0 bytes/workgroup (compile time only)
; SGPRBlocks: 0
; VGPRBlocks: 0
; NumSGPRsForWavesPerEU: 4
; NumVGPRsForWavesPerEU: 1
; AccumOffset: 4
; Occupancy: 8
; WaveLimiterHint : 0
; COMPUTE_PGM_RSRC2:SCRATCH_EN: 0
; COMPUTE_PGM_RSRC2:USER_SGPR: 6
; COMPUTE_PGM_RSRC2:TRAP_HANDLER: 0
; COMPUTE_PGM_RSRC2:TGID_X_EN: 1
; COMPUTE_PGM_RSRC2:TGID_Y_EN: 0
; COMPUTE_PGM_RSRC2:TGID_Z_EN: 0
; COMPUTE_PGM_RSRC2:TIDIG_COMP_CNT: 0
; COMPUTE_PGM_RSRC3_GFX90A:ACCUM_OFFSET: 0
; COMPUTE_PGM_RSRC3_GFX90A:TG_SPLIT: 0
	.section	.text._ZN7rocprim17ROCPRIM_400000_NS6detail17trampoline_kernelINS0_14default_configENS1_20scan_config_selectorIyEEZZNS1_9scan_implILNS1_25lookback_scan_determinismE0ELb0ELb0ES3_N6thrust23THRUST_200600_302600_NS6detail15normal_iteratorINS9_10device_ptrIyEEEESE_y11max_functorIyEyEEDaPvRmT3_T4_T5_mT6_P12ihipStream_tbENKUlT_T0_E_clISt17integral_constantIbLb1EESU_EEDaSP_SQ_EUlSP_E0_NS1_11comp_targetILNS1_3genE8ELNS1_11target_archE1030ELNS1_3gpuE2ELNS1_3repE0EEENS1_30default_config_static_selectorELNS0_4arch9wavefront6targetE1EEEvT1_,"axG",@progbits,_ZN7rocprim17ROCPRIM_400000_NS6detail17trampoline_kernelINS0_14default_configENS1_20scan_config_selectorIyEEZZNS1_9scan_implILNS1_25lookback_scan_determinismE0ELb0ELb0ES3_N6thrust23THRUST_200600_302600_NS6detail15normal_iteratorINS9_10device_ptrIyEEEESE_y11max_functorIyEyEEDaPvRmT3_T4_T5_mT6_P12ihipStream_tbENKUlT_T0_E_clISt17integral_constantIbLb1EESU_EEDaSP_SQ_EUlSP_E0_NS1_11comp_targetILNS1_3genE8ELNS1_11target_archE1030ELNS1_3gpuE2ELNS1_3repE0EEENS1_30default_config_static_selectorELNS0_4arch9wavefront6targetE1EEEvT1_,comdat
	.protected	_ZN7rocprim17ROCPRIM_400000_NS6detail17trampoline_kernelINS0_14default_configENS1_20scan_config_selectorIyEEZZNS1_9scan_implILNS1_25lookback_scan_determinismE0ELb0ELb0ES3_N6thrust23THRUST_200600_302600_NS6detail15normal_iteratorINS9_10device_ptrIyEEEESE_y11max_functorIyEyEEDaPvRmT3_T4_T5_mT6_P12ihipStream_tbENKUlT_T0_E_clISt17integral_constantIbLb1EESU_EEDaSP_SQ_EUlSP_E0_NS1_11comp_targetILNS1_3genE8ELNS1_11target_archE1030ELNS1_3gpuE2ELNS1_3repE0EEENS1_30default_config_static_selectorELNS0_4arch9wavefront6targetE1EEEvT1_ ; -- Begin function _ZN7rocprim17ROCPRIM_400000_NS6detail17trampoline_kernelINS0_14default_configENS1_20scan_config_selectorIyEEZZNS1_9scan_implILNS1_25lookback_scan_determinismE0ELb0ELb0ES3_N6thrust23THRUST_200600_302600_NS6detail15normal_iteratorINS9_10device_ptrIyEEEESE_y11max_functorIyEyEEDaPvRmT3_T4_T5_mT6_P12ihipStream_tbENKUlT_T0_E_clISt17integral_constantIbLb1EESU_EEDaSP_SQ_EUlSP_E0_NS1_11comp_targetILNS1_3genE8ELNS1_11target_archE1030ELNS1_3gpuE2ELNS1_3repE0EEENS1_30default_config_static_selectorELNS0_4arch9wavefront6targetE1EEEvT1_
	.globl	_ZN7rocprim17ROCPRIM_400000_NS6detail17trampoline_kernelINS0_14default_configENS1_20scan_config_selectorIyEEZZNS1_9scan_implILNS1_25lookback_scan_determinismE0ELb0ELb0ES3_N6thrust23THRUST_200600_302600_NS6detail15normal_iteratorINS9_10device_ptrIyEEEESE_y11max_functorIyEyEEDaPvRmT3_T4_T5_mT6_P12ihipStream_tbENKUlT_T0_E_clISt17integral_constantIbLb1EESU_EEDaSP_SQ_EUlSP_E0_NS1_11comp_targetILNS1_3genE8ELNS1_11target_archE1030ELNS1_3gpuE2ELNS1_3repE0EEENS1_30default_config_static_selectorELNS0_4arch9wavefront6targetE1EEEvT1_
	.p2align	8
	.type	_ZN7rocprim17ROCPRIM_400000_NS6detail17trampoline_kernelINS0_14default_configENS1_20scan_config_selectorIyEEZZNS1_9scan_implILNS1_25lookback_scan_determinismE0ELb0ELb0ES3_N6thrust23THRUST_200600_302600_NS6detail15normal_iteratorINS9_10device_ptrIyEEEESE_y11max_functorIyEyEEDaPvRmT3_T4_T5_mT6_P12ihipStream_tbENKUlT_T0_E_clISt17integral_constantIbLb1EESU_EEDaSP_SQ_EUlSP_E0_NS1_11comp_targetILNS1_3genE8ELNS1_11target_archE1030ELNS1_3gpuE2ELNS1_3repE0EEENS1_30default_config_static_selectorELNS0_4arch9wavefront6targetE1EEEvT1_,@function
_ZN7rocprim17ROCPRIM_400000_NS6detail17trampoline_kernelINS0_14default_configENS1_20scan_config_selectorIyEEZZNS1_9scan_implILNS1_25lookback_scan_determinismE0ELb0ELb0ES3_N6thrust23THRUST_200600_302600_NS6detail15normal_iteratorINS9_10device_ptrIyEEEESE_y11max_functorIyEyEEDaPvRmT3_T4_T5_mT6_P12ihipStream_tbENKUlT_T0_E_clISt17integral_constantIbLb1EESU_EEDaSP_SQ_EUlSP_E0_NS1_11comp_targetILNS1_3genE8ELNS1_11target_archE1030ELNS1_3gpuE2ELNS1_3repE0EEENS1_30default_config_static_selectorELNS0_4arch9wavefront6targetE1EEEvT1_: ; @_ZN7rocprim17ROCPRIM_400000_NS6detail17trampoline_kernelINS0_14default_configENS1_20scan_config_selectorIyEEZZNS1_9scan_implILNS1_25lookback_scan_determinismE0ELb0ELb0ES3_N6thrust23THRUST_200600_302600_NS6detail15normal_iteratorINS9_10device_ptrIyEEEESE_y11max_functorIyEyEEDaPvRmT3_T4_T5_mT6_P12ihipStream_tbENKUlT_T0_E_clISt17integral_constantIbLb1EESU_EEDaSP_SQ_EUlSP_E0_NS1_11comp_targetILNS1_3genE8ELNS1_11target_archE1030ELNS1_3gpuE2ELNS1_3repE0EEENS1_30default_config_static_selectorELNS0_4arch9wavefront6targetE1EEEvT1_
; %bb.0:
	.section	.rodata,"a",@progbits
	.p2align	6, 0x0
	.amdhsa_kernel _ZN7rocprim17ROCPRIM_400000_NS6detail17trampoline_kernelINS0_14default_configENS1_20scan_config_selectorIyEEZZNS1_9scan_implILNS1_25lookback_scan_determinismE0ELb0ELb0ES3_N6thrust23THRUST_200600_302600_NS6detail15normal_iteratorINS9_10device_ptrIyEEEESE_y11max_functorIyEyEEDaPvRmT3_T4_T5_mT6_P12ihipStream_tbENKUlT_T0_E_clISt17integral_constantIbLb1EESU_EEDaSP_SQ_EUlSP_E0_NS1_11comp_targetILNS1_3genE8ELNS1_11target_archE1030ELNS1_3gpuE2ELNS1_3repE0EEENS1_30default_config_static_selectorELNS0_4arch9wavefront6targetE1EEEvT1_
		.amdhsa_group_segment_fixed_size 0
		.amdhsa_private_segment_fixed_size 0
		.amdhsa_kernarg_size 40
		.amdhsa_user_sgpr_count 6
		.amdhsa_user_sgpr_private_segment_buffer 1
		.amdhsa_user_sgpr_dispatch_ptr 0
		.amdhsa_user_sgpr_queue_ptr 0
		.amdhsa_user_sgpr_kernarg_segment_ptr 1
		.amdhsa_user_sgpr_dispatch_id 0
		.amdhsa_user_sgpr_flat_scratch_init 0
		.amdhsa_user_sgpr_kernarg_preload_length 0
		.amdhsa_user_sgpr_kernarg_preload_offset 0
		.amdhsa_user_sgpr_private_segment_size 0
		.amdhsa_uses_dynamic_stack 0
		.amdhsa_system_sgpr_private_segment_wavefront_offset 0
		.amdhsa_system_sgpr_workgroup_id_x 1
		.amdhsa_system_sgpr_workgroup_id_y 0
		.amdhsa_system_sgpr_workgroup_id_z 0
		.amdhsa_system_sgpr_workgroup_info 0
		.amdhsa_system_vgpr_workitem_id 0
		.amdhsa_next_free_vgpr 1
		.amdhsa_next_free_sgpr 0
		.amdhsa_accum_offset 4
		.amdhsa_reserve_vcc 0
		.amdhsa_reserve_flat_scratch 0
		.amdhsa_float_round_mode_32 0
		.amdhsa_float_round_mode_16_64 0
		.amdhsa_float_denorm_mode_32 3
		.amdhsa_float_denorm_mode_16_64 3
		.amdhsa_dx10_clamp 1
		.amdhsa_ieee_mode 1
		.amdhsa_fp16_overflow 0
		.amdhsa_tg_split 0
		.amdhsa_exception_fp_ieee_invalid_op 0
		.amdhsa_exception_fp_denorm_src 0
		.amdhsa_exception_fp_ieee_div_zero 0
		.amdhsa_exception_fp_ieee_overflow 0
		.amdhsa_exception_fp_ieee_underflow 0
		.amdhsa_exception_fp_ieee_inexact 0
		.amdhsa_exception_int_div_zero 0
	.end_amdhsa_kernel
	.section	.text._ZN7rocprim17ROCPRIM_400000_NS6detail17trampoline_kernelINS0_14default_configENS1_20scan_config_selectorIyEEZZNS1_9scan_implILNS1_25lookback_scan_determinismE0ELb0ELb0ES3_N6thrust23THRUST_200600_302600_NS6detail15normal_iteratorINS9_10device_ptrIyEEEESE_y11max_functorIyEyEEDaPvRmT3_T4_T5_mT6_P12ihipStream_tbENKUlT_T0_E_clISt17integral_constantIbLb1EESU_EEDaSP_SQ_EUlSP_E0_NS1_11comp_targetILNS1_3genE8ELNS1_11target_archE1030ELNS1_3gpuE2ELNS1_3repE0EEENS1_30default_config_static_selectorELNS0_4arch9wavefront6targetE1EEEvT1_,"axG",@progbits,_ZN7rocprim17ROCPRIM_400000_NS6detail17trampoline_kernelINS0_14default_configENS1_20scan_config_selectorIyEEZZNS1_9scan_implILNS1_25lookback_scan_determinismE0ELb0ELb0ES3_N6thrust23THRUST_200600_302600_NS6detail15normal_iteratorINS9_10device_ptrIyEEEESE_y11max_functorIyEyEEDaPvRmT3_T4_T5_mT6_P12ihipStream_tbENKUlT_T0_E_clISt17integral_constantIbLb1EESU_EEDaSP_SQ_EUlSP_E0_NS1_11comp_targetILNS1_3genE8ELNS1_11target_archE1030ELNS1_3gpuE2ELNS1_3repE0EEENS1_30default_config_static_selectorELNS0_4arch9wavefront6targetE1EEEvT1_,comdat
.Lfunc_end2133:
	.size	_ZN7rocprim17ROCPRIM_400000_NS6detail17trampoline_kernelINS0_14default_configENS1_20scan_config_selectorIyEEZZNS1_9scan_implILNS1_25lookback_scan_determinismE0ELb0ELb0ES3_N6thrust23THRUST_200600_302600_NS6detail15normal_iteratorINS9_10device_ptrIyEEEESE_y11max_functorIyEyEEDaPvRmT3_T4_T5_mT6_P12ihipStream_tbENKUlT_T0_E_clISt17integral_constantIbLb1EESU_EEDaSP_SQ_EUlSP_E0_NS1_11comp_targetILNS1_3genE8ELNS1_11target_archE1030ELNS1_3gpuE2ELNS1_3repE0EEENS1_30default_config_static_selectorELNS0_4arch9wavefront6targetE1EEEvT1_, .Lfunc_end2133-_ZN7rocprim17ROCPRIM_400000_NS6detail17trampoline_kernelINS0_14default_configENS1_20scan_config_selectorIyEEZZNS1_9scan_implILNS1_25lookback_scan_determinismE0ELb0ELb0ES3_N6thrust23THRUST_200600_302600_NS6detail15normal_iteratorINS9_10device_ptrIyEEEESE_y11max_functorIyEyEEDaPvRmT3_T4_T5_mT6_P12ihipStream_tbENKUlT_T0_E_clISt17integral_constantIbLb1EESU_EEDaSP_SQ_EUlSP_E0_NS1_11comp_targetILNS1_3genE8ELNS1_11target_archE1030ELNS1_3gpuE2ELNS1_3repE0EEENS1_30default_config_static_selectorELNS0_4arch9wavefront6targetE1EEEvT1_
                                        ; -- End function
	.section	.AMDGPU.csdata,"",@progbits
; Kernel info:
; codeLenInByte = 0
; NumSgprs: 4
; NumVgprs: 0
; NumAgprs: 0
; TotalNumVgprs: 0
; ScratchSize: 0
; MemoryBound: 0
; FloatMode: 240
; IeeeMode: 1
; LDSByteSize: 0 bytes/workgroup (compile time only)
; SGPRBlocks: 0
; VGPRBlocks: 0
; NumSGPRsForWavesPerEU: 4
; NumVGPRsForWavesPerEU: 1
; AccumOffset: 4
; Occupancy: 8
; WaveLimiterHint : 0
; COMPUTE_PGM_RSRC2:SCRATCH_EN: 0
; COMPUTE_PGM_RSRC2:USER_SGPR: 6
; COMPUTE_PGM_RSRC2:TRAP_HANDLER: 0
; COMPUTE_PGM_RSRC2:TGID_X_EN: 1
; COMPUTE_PGM_RSRC2:TGID_Y_EN: 0
; COMPUTE_PGM_RSRC2:TGID_Z_EN: 0
; COMPUTE_PGM_RSRC2:TIDIG_COMP_CNT: 0
; COMPUTE_PGM_RSRC3_GFX90A:ACCUM_OFFSET: 0
; COMPUTE_PGM_RSRC3_GFX90A:TG_SPLIT: 0
	.section	.text._ZN7rocprim17ROCPRIM_400000_NS6detail31init_lookback_scan_state_kernelINS1_19lookback_scan_stateIyLb1ELb1EEENS1_16block_id_wrapperIjLb0EEEEEvT_jT0_jPNS7_10value_typeE,"axG",@progbits,_ZN7rocprim17ROCPRIM_400000_NS6detail31init_lookback_scan_state_kernelINS1_19lookback_scan_stateIyLb1ELb1EEENS1_16block_id_wrapperIjLb0EEEEEvT_jT0_jPNS7_10value_typeE,comdat
	.protected	_ZN7rocprim17ROCPRIM_400000_NS6detail31init_lookback_scan_state_kernelINS1_19lookback_scan_stateIyLb1ELb1EEENS1_16block_id_wrapperIjLb0EEEEEvT_jT0_jPNS7_10value_typeE ; -- Begin function _ZN7rocprim17ROCPRIM_400000_NS6detail31init_lookback_scan_state_kernelINS1_19lookback_scan_stateIyLb1ELb1EEENS1_16block_id_wrapperIjLb0EEEEEvT_jT0_jPNS7_10value_typeE
	.globl	_ZN7rocprim17ROCPRIM_400000_NS6detail31init_lookback_scan_state_kernelINS1_19lookback_scan_stateIyLb1ELb1EEENS1_16block_id_wrapperIjLb0EEEEEvT_jT0_jPNS7_10value_typeE
	.p2align	8
	.type	_ZN7rocprim17ROCPRIM_400000_NS6detail31init_lookback_scan_state_kernelINS1_19lookback_scan_stateIyLb1ELb1EEENS1_16block_id_wrapperIjLb0EEEEEvT_jT0_jPNS7_10value_typeE,@function
_ZN7rocprim17ROCPRIM_400000_NS6detail31init_lookback_scan_state_kernelINS1_19lookback_scan_stateIyLb1ELb1EEENS1_16block_id_wrapperIjLb0EEEEEvT_jT0_jPNS7_10value_typeE: ; @_ZN7rocprim17ROCPRIM_400000_NS6detail31init_lookback_scan_state_kernelINS1_19lookback_scan_stateIyLb1ELb1EEENS1_16block_id_wrapperIjLb0EEEEEvT_jT0_jPNS7_10value_typeE
; %bb.0:
	s_load_dword s7, s[4:5], 0x2c
	s_load_dwordx2 s[2:3], s[4:5], 0x18
	s_load_dwordx2 s[0:1], s[4:5], 0x0
	s_load_dword s12, s[4:5], 0x8
	s_waitcnt lgkmcnt(0)
	s_and_b32 s7, s7, 0xffff
	s_mul_i32 s6, s6, s7
	s_cmp_eq_u64 s[2:3], 0
	v_add_u32_e32 v0, s6, v0
	s_cbranch_scc1 .LBB2134_10
; %bb.1:
	s_load_dword s6, s[4:5], 0x10
	s_mov_b32 s7, 0
	s_waitcnt lgkmcnt(0)
	s_cmp_lt_u32 s6, s12
	s_cselect_b32 s4, s6, 0
	v_cmp_eq_u32_e32 vcc, s4, v0
	s_and_saveexec_b64 s[4:5], vcc
	s_cbranch_execz .LBB2134_9
; %bb.2:
	s_add_i32 s6, s6, 64
	s_lshl_b64 s[6:7], s[6:7], 4
	s_add_u32 s10, s0, s6
	s_addc_u32 s11, s1, s7
	v_pk_mov_b32 v[2:3], s[10:11], s[10:11] op_sel:[0,1]
	;;#ASMSTART
	global_load_dwordx4 v[2:5], v[2:3] off glc	
s_waitcnt vmcnt(0)
	;;#ASMEND
	v_mov_b32_e32 v7, 0
	v_and_b32_e32 v6, 0xff, v4
	s_mov_b64 s[8:9], 0
	v_cmp_eq_u64_e32 vcc, 0, v[6:7]
	s_and_saveexec_b64 s[6:7], vcc
	s_cbranch_execz .LBB2134_8
; %bb.3:
	s_mov_b32 s13, 1
	v_pk_mov_b32 v[8:9], s[10:11], s[10:11] op_sel:[0,1]
.LBB2134_4:                             ; =>This Loop Header: Depth=1
                                        ;     Child Loop BB2134_5 Depth 2
	s_max_u32 s10, s13, 1
.LBB2134_5:                             ;   Parent Loop BB2134_4 Depth=1
                                        ; =>  This Inner Loop Header: Depth=2
	s_add_i32 s10, s10, -1
	s_cmp_eq_u32 s10, 0
	s_sleep 1
	s_cbranch_scc0 .LBB2134_5
; %bb.6:                                ;   in Loop: Header=BB2134_4 Depth=1
	s_cmp_lt_u32 s13, 32
	s_cselect_b64 s[10:11], -1, 0
	s_cmp_lg_u64 s[10:11], 0
	;;#ASMSTART
	global_load_dwordx4 v[2:5], v[8:9] off glc	
s_waitcnt vmcnt(0)
	;;#ASMEND
	v_and_b32_e32 v6, 0xff, v4
	s_addc_u32 s13, s13, 0
	v_cmp_ne_u64_e32 vcc, 0, v[6:7]
	s_or_b64 s[8:9], vcc, s[8:9]
	s_andn2_b64 exec, exec, s[8:9]
	s_cbranch_execnz .LBB2134_4
; %bb.7:
	s_or_b64 exec, exec, s[8:9]
.LBB2134_8:
	s_or_b64 exec, exec, s[6:7]
	v_mov_b32_e32 v1, 0
	global_store_dwordx2 v1, v[2:3], s[2:3]
.LBB2134_9:
	s_or_b64 exec, exec, s[4:5]
.LBB2134_10:
	v_cmp_gt_u32_e32 vcc, s12, v0
	s_and_saveexec_b64 s[2:3], vcc
	s_cbranch_execnz .LBB2134_13
; %bb.11:
	s_or_b64 exec, exec, s[2:3]
	v_cmp_gt_u32_e32 vcc, 64, v0
	s_and_saveexec_b64 s[2:3], vcc
	s_cbranch_execnz .LBB2134_14
.LBB2134_12:
	s_endpgm
.LBB2134_13:
	v_add_u32_e32 v2, 64, v0
	v_mov_b32_e32 v3, 0
	v_lshlrev_b64 v[4:5], 4, v[2:3]
	v_mov_b32_e32 v1, s1
	v_add_co_u32_e32 v6, vcc, s0, v4
	v_addc_co_u32_e32 v7, vcc, v1, v5, vcc
	v_mov_b32_e32 v2, v3
	v_mov_b32_e32 v4, v3
	;; [unrolled: 1-line block ×3, first 2 shown]
	global_store_dwordx4 v[6:7], v[2:5], off
	s_or_b64 exec, exec, s[2:3]
	v_cmp_gt_u32_e32 vcc, 64, v0
	s_and_saveexec_b64 s[2:3], vcc
	s_cbranch_execz .LBB2134_12
.LBB2134_14:
	v_mov_b32_e32 v1, 0
	v_lshlrev_b64 v[2:3], 4, v[0:1]
	v_mov_b32_e32 v0, s1
	v_add_co_u32_e32 v4, vcc, s0, v2
	v_addc_co_u32_e32 v5, vcc, v0, v3, vcc
	v_mov_b32_e32 v2, 0xff
	v_mov_b32_e32 v0, v1
	;; [unrolled: 1-line block ×3, first 2 shown]
	global_store_dwordx4 v[4:5], v[0:3], off
	s_endpgm
	.section	.rodata,"a",@progbits
	.p2align	6, 0x0
	.amdhsa_kernel _ZN7rocprim17ROCPRIM_400000_NS6detail31init_lookback_scan_state_kernelINS1_19lookback_scan_stateIyLb1ELb1EEENS1_16block_id_wrapperIjLb0EEEEEvT_jT0_jPNS7_10value_typeE
		.amdhsa_group_segment_fixed_size 0
		.amdhsa_private_segment_fixed_size 0
		.amdhsa_kernarg_size 288
		.amdhsa_user_sgpr_count 6
		.amdhsa_user_sgpr_private_segment_buffer 1
		.amdhsa_user_sgpr_dispatch_ptr 0
		.amdhsa_user_sgpr_queue_ptr 0
		.amdhsa_user_sgpr_kernarg_segment_ptr 1
		.amdhsa_user_sgpr_dispatch_id 0
		.amdhsa_user_sgpr_flat_scratch_init 0
		.amdhsa_user_sgpr_kernarg_preload_length 0
		.amdhsa_user_sgpr_kernarg_preload_offset 0
		.amdhsa_user_sgpr_private_segment_size 0
		.amdhsa_uses_dynamic_stack 0
		.amdhsa_system_sgpr_private_segment_wavefront_offset 0
		.amdhsa_system_sgpr_workgroup_id_x 1
		.amdhsa_system_sgpr_workgroup_id_y 0
		.amdhsa_system_sgpr_workgroup_id_z 0
		.amdhsa_system_sgpr_workgroup_info 0
		.amdhsa_system_vgpr_workitem_id 0
		.amdhsa_next_free_vgpr 10
		.amdhsa_next_free_sgpr 14
		.amdhsa_accum_offset 12
		.amdhsa_reserve_vcc 1
		.amdhsa_reserve_flat_scratch 0
		.amdhsa_float_round_mode_32 0
		.amdhsa_float_round_mode_16_64 0
		.amdhsa_float_denorm_mode_32 3
		.amdhsa_float_denorm_mode_16_64 3
		.amdhsa_dx10_clamp 1
		.amdhsa_ieee_mode 1
		.amdhsa_fp16_overflow 0
		.amdhsa_tg_split 0
		.amdhsa_exception_fp_ieee_invalid_op 0
		.amdhsa_exception_fp_denorm_src 0
		.amdhsa_exception_fp_ieee_div_zero 0
		.amdhsa_exception_fp_ieee_overflow 0
		.amdhsa_exception_fp_ieee_underflow 0
		.amdhsa_exception_fp_ieee_inexact 0
		.amdhsa_exception_int_div_zero 0
	.end_amdhsa_kernel
	.section	.text._ZN7rocprim17ROCPRIM_400000_NS6detail31init_lookback_scan_state_kernelINS1_19lookback_scan_stateIyLb1ELb1EEENS1_16block_id_wrapperIjLb0EEEEEvT_jT0_jPNS7_10value_typeE,"axG",@progbits,_ZN7rocprim17ROCPRIM_400000_NS6detail31init_lookback_scan_state_kernelINS1_19lookback_scan_stateIyLb1ELb1EEENS1_16block_id_wrapperIjLb0EEEEEvT_jT0_jPNS7_10value_typeE,comdat
.Lfunc_end2134:
	.size	_ZN7rocprim17ROCPRIM_400000_NS6detail31init_lookback_scan_state_kernelINS1_19lookback_scan_stateIyLb1ELb1EEENS1_16block_id_wrapperIjLb0EEEEEvT_jT0_jPNS7_10value_typeE, .Lfunc_end2134-_ZN7rocprim17ROCPRIM_400000_NS6detail31init_lookback_scan_state_kernelINS1_19lookback_scan_stateIyLb1ELb1EEENS1_16block_id_wrapperIjLb0EEEEEvT_jT0_jPNS7_10value_typeE
                                        ; -- End function
	.section	.AMDGPU.csdata,"",@progbits
; Kernel info:
; codeLenInByte = 424
; NumSgprs: 18
; NumVgprs: 10
; NumAgprs: 0
; TotalNumVgprs: 10
; ScratchSize: 0
; MemoryBound: 0
; FloatMode: 240
; IeeeMode: 1
; LDSByteSize: 0 bytes/workgroup (compile time only)
; SGPRBlocks: 2
; VGPRBlocks: 1
; NumSGPRsForWavesPerEU: 18
; NumVGPRsForWavesPerEU: 10
; AccumOffset: 12
; Occupancy: 8
; WaveLimiterHint : 0
; COMPUTE_PGM_RSRC2:SCRATCH_EN: 0
; COMPUTE_PGM_RSRC2:USER_SGPR: 6
; COMPUTE_PGM_RSRC2:TRAP_HANDLER: 0
; COMPUTE_PGM_RSRC2:TGID_X_EN: 1
; COMPUTE_PGM_RSRC2:TGID_Y_EN: 0
; COMPUTE_PGM_RSRC2:TGID_Z_EN: 0
; COMPUTE_PGM_RSRC2:TIDIG_COMP_CNT: 0
; COMPUTE_PGM_RSRC3_GFX90A:ACCUM_OFFSET: 2
; COMPUTE_PGM_RSRC3_GFX90A:TG_SPLIT: 0
	.section	.text._ZN7rocprim17ROCPRIM_400000_NS6detail17trampoline_kernelINS0_14default_configENS1_20scan_config_selectorIyEEZZNS1_9scan_implILNS1_25lookback_scan_determinismE0ELb0ELb0ES3_N6thrust23THRUST_200600_302600_NS6detail15normal_iteratorINS9_10device_ptrIyEEEESE_y11max_functorIyEyEEDaPvRmT3_T4_T5_mT6_P12ihipStream_tbENKUlT_T0_E_clISt17integral_constantIbLb1EEST_IbLb0EEEEDaSP_SQ_EUlSP_E_NS1_11comp_targetILNS1_3genE0ELNS1_11target_archE4294967295ELNS1_3gpuE0ELNS1_3repE0EEENS1_30default_config_static_selectorELNS0_4arch9wavefront6targetE1EEEvT1_,"axG",@progbits,_ZN7rocprim17ROCPRIM_400000_NS6detail17trampoline_kernelINS0_14default_configENS1_20scan_config_selectorIyEEZZNS1_9scan_implILNS1_25lookback_scan_determinismE0ELb0ELb0ES3_N6thrust23THRUST_200600_302600_NS6detail15normal_iteratorINS9_10device_ptrIyEEEESE_y11max_functorIyEyEEDaPvRmT3_T4_T5_mT6_P12ihipStream_tbENKUlT_T0_E_clISt17integral_constantIbLb1EEST_IbLb0EEEEDaSP_SQ_EUlSP_E_NS1_11comp_targetILNS1_3genE0ELNS1_11target_archE4294967295ELNS1_3gpuE0ELNS1_3repE0EEENS1_30default_config_static_selectorELNS0_4arch9wavefront6targetE1EEEvT1_,comdat
	.protected	_ZN7rocprim17ROCPRIM_400000_NS6detail17trampoline_kernelINS0_14default_configENS1_20scan_config_selectorIyEEZZNS1_9scan_implILNS1_25lookback_scan_determinismE0ELb0ELb0ES3_N6thrust23THRUST_200600_302600_NS6detail15normal_iteratorINS9_10device_ptrIyEEEESE_y11max_functorIyEyEEDaPvRmT3_T4_T5_mT6_P12ihipStream_tbENKUlT_T0_E_clISt17integral_constantIbLb1EEST_IbLb0EEEEDaSP_SQ_EUlSP_E_NS1_11comp_targetILNS1_3genE0ELNS1_11target_archE4294967295ELNS1_3gpuE0ELNS1_3repE0EEENS1_30default_config_static_selectorELNS0_4arch9wavefront6targetE1EEEvT1_ ; -- Begin function _ZN7rocprim17ROCPRIM_400000_NS6detail17trampoline_kernelINS0_14default_configENS1_20scan_config_selectorIyEEZZNS1_9scan_implILNS1_25lookback_scan_determinismE0ELb0ELb0ES3_N6thrust23THRUST_200600_302600_NS6detail15normal_iteratorINS9_10device_ptrIyEEEESE_y11max_functorIyEyEEDaPvRmT3_T4_T5_mT6_P12ihipStream_tbENKUlT_T0_E_clISt17integral_constantIbLb1EEST_IbLb0EEEEDaSP_SQ_EUlSP_E_NS1_11comp_targetILNS1_3genE0ELNS1_11target_archE4294967295ELNS1_3gpuE0ELNS1_3repE0EEENS1_30default_config_static_selectorELNS0_4arch9wavefront6targetE1EEEvT1_
	.globl	_ZN7rocprim17ROCPRIM_400000_NS6detail17trampoline_kernelINS0_14default_configENS1_20scan_config_selectorIyEEZZNS1_9scan_implILNS1_25lookback_scan_determinismE0ELb0ELb0ES3_N6thrust23THRUST_200600_302600_NS6detail15normal_iteratorINS9_10device_ptrIyEEEESE_y11max_functorIyEyEEDaPvRmT3_T4_T5_mT6_P12ihipStream_tbENKUlT_T0_E_clISt17integral_constantIbLb1EEST_IbLb0EEEEDaSP_SQ_EUlSP_E_NS1_11comp_targetILNS1_3genE0ELNS1_11target_archE4294967295ELNS1_3gpuE0ELNS1_3repE0EEENS1_30default_config_static_selectorELNS0_4arch9wavefront6targetE1EEEvT1_
	.p2align	8
	.type	_ZN7rocprim17ROCPRIM_400000_NS6detail17trampoline_kernelINS0_14default_configENS1_20scan_config_selectorIyEEZZNS1_9scan_implILNS1_25lookback_scan_determinismE0ELb0ELb0ES3_N6thrust23THRUST_200600_302600_NS6detail15normal_iteratorINS9_10device_ptrIyEEEESE_y11max_functorIyEyEEDaPvRmT3_T4_T5_mT6_P12ihipStream_tbENKUlT_T0_E_clISt17integral_constantIbLb1EEST_IbLb0EEEEDaSP_SQ_EUlSP_E_NS1_11comp_targetILNS1_3genE0ELNS1_11target_archE4294967295ELNS1_3gpuE0ELNS1_3repE0EEENS1_30default_config_static_selectorELNS0_4arch9wavefront6targetE1EEEvT1_,@function
_ZN7rocprim17ROCPRIM_400000_NS6detail17trampoline_kernelINS0_14default_configENS1_20scan_config_selectorIyEEZZNS1_9scan_implILNS1_25lookback_scan_determinismE0ELb0ELb0ES3_N6thrust23THRUST_200600_302600_NS6detail15normal_iteratorINS9_10device_ptrIyEEEESE_y11max_functorIyEyEEDaPvRmT3_T4_T5_mT6_P12ihipStream_tbENKUlT_T0_E_clISt17integral_constantIbLb1EEST_IbLb0EEEEDaSP_SQ_EUlSP_E_NS1_11comp_targetILNS1_3genE0ELNS1_11target_archE4294967295ELNS1_3gpuE0ELNS1_3repE0EEENS1_30default_config_static_selectorELNS0_4arch9wavefront6targetE1EEEvT1_: ; @_ZN7rocprim17ROCPRIM_400000_NS6detail17trampoline_kernelINS0_14default_configENS1_20scan_config_selectorIyEEZZNS1_9scan_implILNS1_25lookback_scan_determinismE0ELb0ELb0ES3_N6thrust23THRUST_200600_302600_NS6detail15normal_iteratorINS9_10device_ptrIyEEEESE_y11max_functorIyEyEEDaPvRmT3_T4_T5_mT6_P12ihipStream_tbENKUlT_T0_E_clISt17integral_constantIbLb1EEST_IbLb0EEEEDaSP_SQ_EUlSP_E_NS1_11comp_targetILNS1_3genE0ELNS1_11target_archE4294967295ELNS1_3gpuE0ELNS1_3repE0EEENS1_30default_config_static_selectorELNS0_4arch9wavefront6targetE1EEEvT1_
; %bb.0:
	.section	.rodata,"a",@progbits
	.p2align	6, 0x0
	.amdhsa_kernel _ZN7rocprim17ROCPRIM_400000_NS6detail17trampoline_kernelINS0_14default_configENS1_20scan_config_selectorIyEEZZNS1_9scan_implILNS1_25lookback_scan_determinismE0ELb0ELb0ES3_N6thrust23THRUST_200600_302600_NS6detail15normal_iteratorINS9_10device_ptrIyEEEESE_y11max_functorIyEyEEDaPvRmT3_T4_T5_mT6_P12ihipStream_tbENKUlT_T0_E_clISt17integral_constantIbLb1EEST_IbLb0EEEEDaSP_SQ_EUlSP_E_NS1_11comp_targetILNS1_3genE0ELNS1_11target_archE4294967295ELNS1_3gpuE0ELNS1_3repE0EEENS1_30default_config_static_selectorELNS0_4arch9wavefront6targetE1EEEvT1_
		.amdhsa_group_segment_fixed_size 0
		.amdhsa_private_segment_fixed_size 0
		.amdhsa_kernarg_size 104
		.amdhsa_user_sgpr_count 6
		.amdhsa_user_sgpr_private_segment_buffer 1
		.amdhsa_user_sgpr_dispatch_ptr 0
		.amdhsa_user_sgpr_queue_ptr 0
		.amdhsa_user_sgpr_kernarg_segment_ptr 1
		.amdhsa_user_sgpr_dispatch_id 0
		.amdhsa_user_sgpr_flat_scratch_init 0
		.amdhsa_user_sgpr_kernarg_preload_length 0
		.amdhsa_user_sgpr_kernarg_preload_offset 0
		.amdhsa_user_sgpr_private_segment_size 0
		.amdhsa_uses_dynamic_stack 0
		.amdhsa_system_sgpr_private_segment_wavefront_offset 0
		.amdhsa_system_sgpr_workgroup_id_x 1
		.amdhsa_system_sgpr_workgroup_id_y 0
		.amdhsa_system_sgpr_workgroup_id_z 0
		.amdhsa_system_sgpr_workgroup_info 0
		.amdhsa_system_vgpr_workitem_id 0
		.amdhsa_next_free_vgpr 1
		.amdhsa_next_free_sgpr 0
		.amdhsa_accum_offset 4
		.amdhsa_reserve_vcc 0
		.amdhsa_reserve_flat_scratch 0
		.amdhsa_float_round_mode_32 0
		.amdhsa_float_round_mode_16_64 0
		.amdhsa_float_denorm_mode_32 3
		.amdhsa_float_denorm_mode_16_64 3
		.amdhsa_dx10_clamp 1
		.amdhsa_ieee_mode 1
		.amdhsa_fp16_overflow 0
		.amdhsa_tg_split 0
		.amdhsa_exception_fp_ieee_invalid_op 0
		.amdhsa_exception_fp_denorm_src 0
		.amdhsa_exception_fp_ieee_div_zero 0
		.amdhsa_exception_fp_ieee_overflow 0
		.amdhsa_exception_fp_ieee_underflow 0
		.amdhsa_exception_fp_ieee_inexact 0
		.amdhsa_exception_int_div_zero 0
	.end_amdhsa_kernel
	.section	.text._ZN7rocprim17ROCPRIM_400000_NS6detail17trampoline_kernelINS0_14default_configENS1_20scan_config_selectorIyEEZZNS1_9scan_implILNS1_25lookback_scan_determinismE0ELb0ELb0ES3_N6thrust23THRUST_200600_302600_NS6detail15normal_iteratorINS9_10device_ptrIyEEEESE_y11max_functorIyEyEEDaPvRmT3_T4_T5_mT6_P12ihipStream_tbENKUlT_T0_E_clISt17integral_constantIbLb1EEST_IbLb0EEEEDaSP_SQ_EUlSP_E_NS1_11comp_targetILNS1_3genE0ELNS1_11target_archE4294967295ELNS1_3gpuE0ELNS1_3repE0EEENS1_30default_config_static_selectorELNS0_4arch9wavefront6targetE1EEEvT1_,"axG",@progbits,_ZN7rocprim17ROCPRIM_400000_NS6detail17trampoline_kernelINS0_14default_configENS1_20scan_config_selectorIyEEZZNS1_9scan_implILNS1_25lookback_scan_determinismE0ELb0ELb0ES3_N6thrust23THRUST_200600_302600_NS6detail15normal_iteratorINS9_10device_ptrIyEEEESE_y11max_functorIyEyEEDaPvRmT3_T4_T5_mT6_P12ihipStream_tbENKUlT_T0_E_clISt17integral_constantIbLb1EEST_IbLb0EEEEDaSP_SQ_EUlSP_E_NS1_11comp_targetILNS1_3genE0ELNS1_11target_archE4294967295ELNS1_3gpuE0ELNS1_3repE0EEENS1_30default_config_static_selectorELNS0_4arch9wavefront6targetE1EEEvT1_,comdat
.Lfunc_end2135:
	.size	_ZN7rocprim17ROCPRIM_400000_NS6detail17trampoline_kernelINS0_14default_configENS1_20scan_config_selectorIyEEZZNS1_9scan_implILNS1_25lookback_scan_determinismE0ELb0ELb0ES3_N6thrust23THRUST_200600_302600_NS6detail15normal_iteratorINS9_10device_ptrIyEEEESE_y11max_functorIyEyEEDaPvRmT3_T4_T5_mT6_P12ihipStream_tbENKUlT_T0_E_clISt17integral_constantIbLb1EEST_IbLb0EEEEDaSP_SQ_EUlSP_E_NS1_11comp_targetILNS1_3genE0ELNS1_11target_archE4294967295ELNS1_3gpuE0ELNS1_3repE0EEENS1_30default_config_static_selectorELNS0_4arch9wavefront6targetE1EEEvT1_, .Lfunc_end2135-_ZN7rocprim17ROCPRIM_400000_NS6detail17trampoline_kernelINS0_14default_configENS1_20scan_config_selectorIyEEZZNS1_9scan_implILNS1_25lookback_scan_determinismE0ELb0ELb0ES3_N6thrust23THRUST_200600_302600_NS6detail15normal_iteratorINS9_10device_ptrIyEEEESE_y11max_functorIyEyEEDaPvRmT3_T4_T5_mT6_P12ihipStream_tbENKUlT_T0_E_clISt17integral_constantIbLb1EEST_IbLb0EEEEDaSP_SQ_EUlSP_E_NS1_11comp_targetILNS1_3genE0ELNS1_11target_archE4294967295ELNS1_3gpuE0ELNS1_3repE0EEENS1_30default_config_static_selectorELNS0_4arch9wavefront6targetE1EEEvT1_
                                        ; -- End function
	.section	.AMDGPU.csdata,"",@progbits
; Kernel info:
; codeLenInByte = 0
; NumSgprs: 4
; NumVgprs: 0
; NumAgprs: 0
; TotalNumVgprs: 0
; ScratchSize: 0
; MemoryBound: 0
; FloatMode: 240
; IeeeMode: 1
; LDSByteSize: 0 bytes/workgroup (compile time only)
; SGPRBlocks: 0
; VGPRBlocks: 0
; NumSGPRsForWavesPerEU: 4
; NumVGPRsForWavesPerEU: 1
; AccumOffset: 4
; Occupancy: 8
; WaveLimiterHint : 0
; COMPUTE_PGM_RSRC2:SCRATCH_EN: 0
; COMPUTE_PGM_RSRC2:USER_SGPR: 6
; COMPUTE_PGM_RSRC2:TRAP_HANDLER: 0
; COMPUTE_PGM_RSRC2:TGID_X_EN: 1
; COMPUTE_PGM_RSRC2:TGID_Y_EN: 0
; COMPUTE_PGM_RSRC2:TGID_Z_EN: 0
; COMPUTE_PGM_RSRC2:TIDIG_COMP_CNT: 0
; COMPUTE_PGM_RSRC3_GFX90A:ACCUM_OFFSET: 0
; COMPUTE_PGM_RSRC3_GFX90A:TG_SPLIT: 0
	.section	.text._ZN7rocprim17ROCPRIM_400000_NS6detail17trampoline_kernelINS0_14default_configENS1_20scan_config_selectorIyEEZZNS1_9scan_implILNS1_25lookback_scan_determinismE0ELb0ELb0ES3_N6thrust23THRUST_200600_302600_NS6detail15normal_iteratorINS9_10device_ptrIyEEEESE_y11max_functorIyEyEEDaPvRmT3_T4_T5_mT6_P12ihipStream_tbENKUlT_T0_E_clISt17integral_constantIbLb1EEST_IbLb0EEEEDaSP_SQ_EUlSP_E_NS1_11comp_targetILNS1_3genE5ELNS1_11target_archE942ELNS1_3gpuE9ELNS1_3repE0EEENS1_30default_config_static_selectorELNS0_4arch9wavefront6targetE1EEEvT1_,"axG",@progbits,_ZN7rocprim17ROCPRIM_400000_NS6detail17trampoline_kernelINS0_14default_configENS1_20scan_config_selectorIyEEZZNS1_9scan_implILNS1_25lookback_scan_determinismE0ELb0ELb0ES3_N6thrust23THRUST_200600_302600_NS6detail15normal_iteratorINS9_10device_ptrIyEEEESE_y11max_functorIyEyEEDaPvRmT3_T4_T5_mT6_P12ihipStream_tbENKUlT_T0_E_clISt17integral_constantIbLb1EEST_IbLb0EEEEDaSP_SQ_EUlSP_E_NS1_11comp_targetILNS1_3genE5ELNS1_11target_archE942ELNS1_3gpuE9ELNS1_3repE0EEENS1_30default_config_static_selectorELNS0_4arch9wavefront6targetE1EEEvT1_,comdat
	.protected	_ZN7rocprim17ROCPRIM_400000_NS6detail17trampoline_kernelINS0_14default_configENS1_20scan_config_selectorIyEEZZNS1_9scan_implILNS1_25lookback_scan_determinismE0ELb0ELb0ES3_N6thrust23THRUST_200600_302600_NS6detail15normal_iteratorINS9_10device_ptrIyEEEESE_y11max_functorIyEyEEDaPvRmT3_T4_T5_mT6_P12ihipStream_tbENKUlT_T0_E_clISt17integral_constantIbLb1EEST_IbLb0EEEEDaSP_SQ_EUlSP_E_NS1_11comp_targetILNS1_3genE5ELNS1_11target_archE942ELNS1_3gpuE9ELNS1_3repE0EEENS1_30default_config_static_selectorELNS0_4arch9wavefront6targetE1EEEvT1_ ; -- Begin function _ZN7rocprim17ROCPRIM_400000_NS6detail17trampoline_kernelINS0_14default_configENS1_20scan_config_selectorIyEEZZNS1_9scan_implILNS1_25lookback_scan_determinismE0ELb0ELb0ES3_N6thrust23THRUST_200600_302600_NS6detail15normal_iteratorINS9_10device_ptrIyEEEESE_y11max_functorIyEyEEDaPvRmT3_T4_T5_mT6_P12ihipStream_tbENKUlT_T0_E_clISt17integral_constantIbLb1EEST_IbLb0EEEEDaSP_SQ_EUlSP_E_NS1_11comp_targetILNS1_3genE5ELNS1_11target_archE942ELNS1_3gpuE9ELNS1_3repE0EEENS1_30default_config_static_selectorELNS0_4arch9wavefront6targetE1EEEvT1_
	.globl	_ZN7rocprim17ROCPRIM_400000_NS6detail17trampoline_kernelINS0_14default_configENS1_20scan_config_selectorIyEEZZNS1_9scan_implILNS1_25lookback_scan_determinismE0ELb0ELb0ES3_N6thrust23THRUST_200600_302600_NS6detail15normal_iteratorINS9_10device_ptrIyEEEESE_y11max_functorIyEyEEDaPvRmT3_T4_T5_mT6_P12ihipStream_tbENKUlT_T0_E_clISt17integral_constantIbLb1EEST_IbLb0EEEEDaSP_SQ_EUlSP_E_NS1_11comp_targetILNS1_3genE5ELNS1_11target_archE942ELNS1_3gpuE9ELNS1_3repE0EEENS1_30default_config_static_selectorELNS0_4arch9wavefront6targetE1EEEvT1_
	.p2align	8
	.type	_ZN7rocprim17ROCPRIM_400000_NS6detail17trampoline_kernelINS0_14default_configENS1_20scan_config_selectorIyEEZZNS1_9scan_implILNS1_25lookback_scan_determinismE0ELb0ELb0ES3_N6thrust23THRUST_200600_302600_NS6detail15normal_iteratorINS9_10device_ptrIyEEEESE_y11max_functorIyEyEEDaPvRmT3_T4_T5_mT6_P12ihipStream_tbENKUlT_T0_E_clISt17integral_constantIbLb1EEST_IbLb0EEEEDaSP_SQ_EUlSP_E_NS1_11comp_targetILNS1_3genE5ELNS1_11target_archE942ELNS1_3gpuE9ELNS1_3repE0EEENS1_30default_config_static_selectorELNS0_4arch9wavefront6targetE1EEEvT1_,@function
_ZN7rocprim17ROCPRIM_400000_NS6detail17trampoline_kernelINS0_14default_configENS1_20scan_config_selectorIyEEZZNS1_9scan_implILNS1_25lookback_scan_determinismE0ELb0ELb0ES3_N6thrust23THRUST_200600_302600_NS6detail15normal_iteratorINS9_10device_ptrIyEEEESE_y11max_functorIyEyEEDaPvRmT3_T4_T5_mT6_P12ihipStream_tbENKUlT_T0_E_clISt17integral_constantIbLb1EEST_IbLb0EEEEDaSP_SQ_EUlSP_E_NS1_11comp_targetILNS1_3genE5ELNS1_11target_archE942ELNS1_3gpuE9ELNS1_3repE0EEENS1_30default_config_static_selectorELNS0_4arch9wavefront6targetE1EEEvT1_: ; @_ZN7rocprim17ROCPRIM_400000_NS6detail17trampoline_kernelINS0_14default_configENS1_20scan_config_selectorIyEEZZNS1_9scan_implILNS1_25lookback_scan_determinismE0ELb0ELb0ES3_N6thrust23THRUST_200600_302600_NS6detail15normal_iteratorINS9_10device_ptrIyEEEESE_y11max_functorIyEyEEDaPvRmT3_T4_T5_mT6_P12ihipStream_tbENKUlT_T0_E_clISt17integral_constantIbLb1EEST_IbLb0EEEEDaSP_SQ_EUlSP_E_NS1_11comp_targetILNS1_3genE5ELNS1_11target_archE942ELNS1_3gpuE9ELNS1_3repE0EEENS1_30default_config_static_selectorELNS0_4arch9wavefront6targetE1EEEvT1_
; %bb.0:
	.section	.rodata,"a",@progbits
	.p2align	6, 0x0
	.amdhsa_kernel _ZN7rocprim17ROCPRIM_400000_NS6detail17trampoline_kernelINS0_14default_configENS1_20scan_config_selectorIyEEZZNS1_9scan_implILNS1_25lookback_scan_determinismE0ELb0ELb0ES3_N6thrust23THRUST_200600_302600_NS6detail15normal_iteratorINS9_10device_ptrIyEEEESE_y11max_functorIyEyEEDaPvRmT3_T4_T5_mT6_P12ihipStream_tbENKUlT_T0_E_clISt17integral_constantIbLb1EEST_IbLb0EEEEDaSP_SQ_EUlSP_E_NS1_11comp_targetILNS1_3genE5ELNS1_11target_archE942ELNS1_3gpuE9ELNS1_3repE0EEENS1_30default_config_static_selectorELNS0_4arch9wavefront6targetE1EEEvT1_
		.amdhsa_group_segment_fixed_size 0
		.amdhsa_private_segment_fixed_size 0
		.amdhsa_kernarg_size 104
		.amdhsa_user_sgpr_count 6
		.amdhsa_user_sgpr_private_segment_buffer 1
		.amdhsa_user_sgpr_dispatch_ptr 0
		.amdhsa_user_sgpr_queue_ptr 0
		.amdhsa_user_sgpr_kernarg_segment_ptr 1
		.amdhsa_user_sgpr_dispatch_id 0
		.amdhsa_user_sgpr_flat_scratch_init 0
		.amdhsa_user_sgpr_kernarg_preload_length 0
		.amdhsa_user_sgpr_kernarg_preload_offset 0
		.amdhsa_user_sgpr_private_segment_size 0
		.amdhsa_uses_dynamic_stack 0
		.amdhsa_system_sgpr_private_segment_wavefront_offset 0
		.amdhsa_system_sgpr_workgroup_id_x 1
		.amdhsa_system_sgpr_workgroup_id_y 0
		.amdhsa_system_sgpr_workgroup_id_z 0
		.amdhsa_system_sgpr_workgroup_info 0
		.amdhsa_system_vgpr_workitem_id 0
		.amdhsa_next_free_vgpr 1
		.amdhsa_next_free_sgpr 0
		.amdhsa_accum_offset 4
		.amdhsa_reserve_vcc 0
		.amdhsa_reserve_flat_scratch 0
		.amdhsa_float_round_mode_32 0
		.amdhsa_float_round_mode_16_64 0
		.amdhsa_float_denorm_mode_32 3
		.amdhsa_float_denorm_mode_16_64 3
		.amdhsa_dx10_clamp 1
		.amdhsa_ieee_mode 1
		.amdhsa_fp16_overflow 0
		.amdhsa_tg_split 0
		.amdhsa_exception_fp_ieee_invalid_op 0
		.amdhsa_exception_fp_denorm_src 0
		.amdhsa_exception_fp_ieee_div_zero 0
		.amdhsa_exception_fp_ieee_overflow 0
		.amdhsa_exception_fp_ieee_underflow 0
		.amdhsa_exception_fp_ieee_inexact 0
		.amdhsa_exception_int_div_zero 0
	.end_amdhsa_kernel
	.section	.text._ZN7rocprim17ROCPRIM_400000_NS6detail17trampoline_kernelINS0_14default_configENS1_20scan_config_selectorIyEEZZNS1_9scan_implILNS1_25lookback_scan_determinismE0ELb0ELb0ES3_N6thrust23THRUST_200600_302600_NS6detail15normal_iteratorINS9_10device_ptrIyEEEESE_y11max_functorIyEyEEDaPvRmT3_T4_T5_mT6_P12ihipStream_tbENKUlT_T0_E_clISt17integral_constantIbLb1EEST_IbLb0EEEEDaSP_SQ_EUlSP_E_NS1_11comp_targetILNS1_3genE5ELNS1_11target_archE942ELNS1_3gpuE9ELNS1_3repE0EEENS1_30default_config_static_selectorELNS0_4arch9wavefront6targetE1EEEvT1_,"axG",@progbits,_ZN7rocprim17ROCPRIM_400000_NS6detail17trampoline_kernelINS0_14default_configENS1_20scan_config_selectorIyEEZZNS1_9scan_implILNS1_25lookback_scan_determinismE0ELb0ELb0ES3_N6thrust23THRUST_200600_302600_NS6detail15normal_iteratorINS9_10device_ptrIyEEEESE_y11max_functorIyEyEEDaPvRmT3_T4_T5_mT6_P12ihipStream_tbENKUlT_T0_E_clISt17integral_constantIbLb1EEST_IbLb0EEEEDaSP_SQ_EUlSP_E_NS1_11comp_targetILNS1_3genE5ELNS1_11target_archE942ELNS1_3gpuE9ELNS1_3repE0EEENS1_30default_config_static_selectorELNS0_4arch9wavefront6targetE1EEEvT1_,comdat
.Lfunc_end2136:
	.size	_ZN7rocprim17ROCPRIM_400000_NS6detail17trampoline_kernelINS0_14default_configENS1_20scan_config_selectorIyEEZZNS1_9scan_implILNS1_25lookback_scan_determinismE0ELb0ELb0ES3_N6thrust23THRUST_200600_302600_NS6detail15normal_iteratorINS9_10device_ptrIyEEEESE_y11max_functorIyEyEEDaPvRmT3_T4_T5_mT6_P12ihipStream_tbENKUlT_T0_E_clISt17integral_constantIbLb1EEST_IbLb0EEEEDaSP_SQ_EUlSP_E_NS1_11comp_targetILNS1_3genE5ELNS1_11target_archE942ELNS1_3gpuE9ELNS1_3repE0EEENS1_30default_config_static_selectorELNS0_4arch9wavefront6targetE1EEEvT1_, .Lfunc_end2136-_ZN7rocprim17ROCPRIM_400000_NS6detail17trampoline_kernelINS0_14default_configENS1_20scan_config_selectorIyEEZZNS1_9scan_implILNS1_25lookback_scan_determinismE0ELb0ELb0ES3_N6thrust23THRUST_200600_302600_NS6detail15normal_iteratorINS9_10device_ptrIyEEEESE_y11max_functorIyEyEEDaPvRmT3_T4_T5_mT6_P12ihipStream_tbENKUlT_T0_E_clISt17integral_constantIbLb1EEST_IbLb0EEEEDaSP_SQ_EUlSP_E_NS1_11comp_targetILNS1_3genE5ELNS1_11target_archE942ELNS1_3gpuE9ELNS1_3repE0EEENS1_30default_config_static_selectorELNS0_4arch9wavefront6targetE1EEEvT1_
                                        ; -- End function
	.section	.AMDGPU.csdata,"",@progbits
; Kernel info:
; codeLenInByte = 0
; NumSgprs: 4
; NumVgprs: 0
; NumAgprs: 0
; TotalNumVgprs: 0
; ScratchSize: 0
; MemoryBound: 0
; FloatMode: 240
; IeeeMode: 1
; LDSByteSize: 0 bytes/workgroup (compile time only)
; SGPRBlocks: 0
; VGPRBlocks: 0
; NumSGPRsForWavesPerEU: 4
; NumVGPRsForWavesPerEU: 1
; AccumOffset: 4
; Occupancy: 8
; WaveLimiterHint : 0
; COMPUTE_PGM_RSRC2:SCRATCH_EN: 0
; COMPUTE_PGM_RSRC2:USER_SGPR: 6
; COMPUTE_PGM_RSRC2:TRAP_HANDLER: 0
; COMPUTE_PGM_RSRC2:TGID_X_EN: 1
; COMPUTE_PGM_RSRC2:TGID_Y_EN: 0
; COMPUTE_PGM_RSRC2:TGID_Z_EN: 0
; COMPUTE_PGM_RSRC2:TIDIG_COMP_CNT: 0
; COMPUTE_PGM_RSRC3_GFX90A:ACCUM_OFFSET: 0
; COMPUTE_PGM_RSRC3_GFX90A:TG_SPLIT: 0
	.section	.text._ZN7rocprim17ROCPRIM_400000_NS6detail17trampoline_kernelINS0_14default_configENS1_20scan_config_selectorIyEEZZNS1_9scan_implILNS1_25lookback_scan_determinismE0ELb0ELb0ES3_N6thrust23THRUST_200600_302600_NS6detail15normal_iteratorINS9_10device_ptrIyEEEESE_y11max_functorIyEyEEDaPvRmT3_T4_T5_mT6_P12ihipStream_tbENKUlT_T0_E_clISt17integral_constantIbLb1EEST_IbLb0EEEEDaSP_SQ_EUlSP_E_NS1_11comp_targetILNS1_3genE4ELNS1_11target_archE910ELNS1_3gpuE8ELNS1_3repE0EEENS1_30default_config_static_selectorELNS0_4arch9wavefront6targetE1EEEvT1_,"axG",@progbits,_ZN7rocprim17ROCPRIM_400000_NS6detail17trampoline_kernelINS0_14default_configENS1_20scan_config_selectorIyEEZZNS1_9scan_implILNS1_25lookback_scan_determinismE0ELb0ELb0ES3_N6thrust23THRUST_200600_302600_NS6detail15normal_iteratorINS9_10device_ptrIyEEEESE_y11max_functorIyEyEEDaPvRmT3_T4_T5_mT6_P12ihipStream_tbENKUlT_T0_E_clISt17integral_constantIbLb1EEST_IbLb0EEEEDaSP_SQ_EUlSP_E_NS1_11comp_targetILNS1_3genE4ELNS1_11target_archE910ELNS1_3gpuE8ELNS1_3repE0EEENS1_30default_config_static_selectorELNS0_4arch9wavefront6targetE1EEEvT1_,comdat
	.protected	_ZN7rocprim17ROCPRIM_400000_NS6detail17trampoline_kernelINS0_14default_configENS1_20scan_config_selectorIyEEZZNS1_9scan_implILNS1_25lookback_scan_determinismE0ELb0ELb0ES3_N6thrust23THRUST_200600_302600_NS6detail15normal_iteratorINS9_10device_ptrIyEEEESE_y11max_functorIyEyEEDaPvRmT3_T4_T5_mT6_P12ihipStream_tbENKUlT_T0_E_clISt17integral_constantIbLb1EEST_IbLb0EEEEDaSP_SQ_EUlSP_E_NS1_11comp_targetILNS1_3genE4ELNS1_11target_archE910ELNS1_3gpuE8ELNS1_3repE0EEENS1_30default_config_static_selectorELNS0_4arch9wavefront6targetE1EEEvT1_ ; -- Begin function _ZN7rocprim17ROCPRIM_400000_NS6detail17trampoline_kernelINS0_14default_configENS1_20scan_config_selectorIyEEZZNS1_9scan_implILNS1_25lookback_scan_determinismE0ELb0ELb0ES3_N6thrust23THRUST_200600_302600_NS6detail15normal_iteratorINS9_10device_ptrIyEEEESE_y11max_functorIyEyEEDaPvRmT3_T4_T5_mT6_P12ihipStream_tbENKUlT_T0_E_clISt17integral_constantIbLb1EEST_IbLb0EEEEDaSP_SQ_EUlSP_E_NS1_11comp_targetILNS1_3genE4ELNS1_11target_archE910ELNS1_3gpuE8ELNS1_3repE0EEENS1_30default_config_static_selectorELNS0_4arch9wavefront6targetE1EEEvT1_
	.globl	_ZN7rocprim17ROCPRIM_400000_NS6detail17trampoline_kernelINS0_14default_configENS1_20scan_config_selectorIyEEZZNS1_9scan_implILNS1_25lookback_scan_determinismE0ELb0ELb0ES3_N6thrust23THRUST_200600_302600_NS6detail15normal_iteratorINS9_10device_ptrIyEEEESE_y11max_functorIyEyEEDaPvRmT3_T4_T5_mT6_P12ihipStream_tbENKUlT_T0_E_clISt17integral_constantIbLb1EEST_IbLb0EEEEDaSP_SQ_EUlSP_E_NS1_11comp_targetILNS1_3genE4ELNS1_11target_archE910ELNS1_3gpuE8ELNS1_3repE0EEENS1_30default_config_static_selectorELNS0_4arch9wavefront6targetE1EEEvT1_
	.p2align	8
	.type	_ZN7rocprim17ROCPRIM_400000_NS6detail17trampoline_kernelINS0_14default_configENS1_20scan_config_selectorIyEEZZNS1_9scan_implILNS1_25lookback_scan_determinismE0ELb0ELb0ES3_N6thrust23THRUST_200600_302600_NS6detail15normal_iteratorINS9_10device_ptrIyEEEESE_y11max_functorIyEyEEDaPvRmT3_T4_T5_mT6_P12ihipStream_tbENKUlT_T0_E_clISt17integral_constantIbLb1EEST_IbLb0EEEEDaSP_SQ_EUlSP_E_NS1_11comp_targetILNS1_3genE4ELNS1_11target_archE910ELNS1_3gpuE8ELNS1_3repE0EEENS1_30default_config_static_selectorELNS0_4arch9wavefront6targetE1EEEvT1_,@function
_ZN7rocprim17ROCPRIM_400000_NS6detail17trampoline_kernelINS0_14default_configENS1_20scan_config_selectorIyEEZZNS1_9scan_implILNS1_25lookback_scan_determinismE0ELb0ELb0ES3_N6thrust23THRUST_200600_302600_NS6detail15normal_iteratorINS9_10device_ptrIyEEEESE_y11max_functorIyEyEEDaPvRmT3_T4_T5_mT6_P12ihipStream_tbENKUlT_T0_E_clISt17integral_constantIbLb1EEST_IbLb0EEEEDaSP_SQ_EUlSP_E_NS1_11comp_targetILNS1_3genE4ELNS1_11target_archE910ELNS1_3gpuE8ELNS1_3repE0EEENS1_30default_config_static_selectorELNS0_4arch9wavefront6targetE1EEEvT1_: ; @_ZN7rocprim17ROCPRIM_400000_NS6detail17trampoline_kernelINS0_14default_configENS1_20scan_config_selectorIyEEZZNS1_9scan_implILNS1_25lookback_scan_determinismE0ELb0ELb0ES3_N6thrust23THRUST_200600_302600_NS6detail15normal_iteratorINS9_10device_ptrIyEEEESE_y11max_functorIyEyEEDaPvRmT3_T4_T5_mT6_P12ihipStream_tbENKUlT_T0_E_clISt17integral_constantIbLb1EEST_IbLb0EEEEDaSP_SQ_EUlSP_E_NS1_11comp_targetILNS1_3genE4ELNS1_11target_archE910ELNS1_3gpuE8ELNS1_3repE0EEENS1_30default_config_static_selectorELNS0_4arch9wavefront6targetE1EEEvT1_
; %bb.0:
	s_load_dwordx8 s[12:19], s[4:5], 0x0
	s_load_dword s1, s[4:5], 0x38
	s_mul_i32 s0, s6, 0x380
	v_lshlrev_b32_e32 v36, 3, v0
	s_waitcnt lgkmcnt(0)
	s_lshl_b64 s[20:21], s[14:15], 3
	s_add_u32 s2, s12, s20
	s_addc_u32 s3, s13, s21
	s_add_i32 s7, s1, -1
	s_mul_i32 s8, s7, 0x380
	s_sub_u32 s28, s18, s8
	s_subb_u32 s29, s19, 0
	s_mov_b32 s1, 0
	s_cmp_lg_u32 s6, s7
	s_cselect_b64 s[18:19], -1, 0
	s_lshl_b64 s[22:23], s[0:1], 3
	s_add_u32 s2, s2, s22
	s_addc_u32 s3, s3, s23
	s_mov_b64 s[0:1], -1
	s_and_b64 vcc, exec, s[18:19]
	s_cbranch_vccz .LBB2137_2
; %bb.1:
	v_mov_b32_e32 v1, s3
	v_add_co_u32_e32 v2, vcc, s2, v36
	v_addc_co_u32_e32 v3, vcc, 0, v1, vcc
	flat_load_dwordx2 v[4:5], v[2:3]
	flat_load_dwordx2 v[6:7], v[2:3] offset:1024
	flat_load_dwordx2 v[8:9], v[2:3] offset:2048
	;; [unrolled: 1-line block ×3, first 2 shown]
	v_add_co_u32_e32 v2, vcc, 0x1000, v2
	v_addc_co_u32_e32 v3, vcc, 0, v3, vcc
	flat_load_dwordx2 v[12:13], v[2:3]
	flat_load_dwordx2 v[14:15], v[2:3] offset:1024
	flat_load_dwordx2 v[16:17], v[2:3] offset:2048
	s_mov_b64 s[0:1], 0
	s_waitcnt vmcnt(0) lgkmcnt(0)
	ds_write2st64_b64 v36, v[4:5], v[6:7] offset1:2
	ds_write2st64_b64 v36, v[8:9], v[10:11] offset0:4 offset1:6
	ds_write2st64_b64 v36, v[12:13], v[14:15] offset0:8 offset1:10
	ds_write_b64 v36, v[16:17] offset:6144
	s_waitcnt lgkmcnt(0)
	s_barrier
.LBB2137_2:
	s_load_dwordx2 s[24:25], s[4:5], 0x30
	s_andn2_b64 vcc, exec, s[0:1]
	v_cmp_gt_u32_e64 s[0:1], s28, v0
	s_cbranch_vccnz .LBB2137_18
; %bb.3:
	v_pk_mov_b32 v[2:3], s[2:3], s[2:3] op_sel:[0,1]
	flat_load_dwordx2 v[2:3], v[2:3]
	s_waitcnt vmcnt(0) lgkmcnt(0)
	v_mov_b32_e32 v4, v2
	v_mov_b32_e32 v5, v3
	;; [unrolled: 1-line block ×10, first 2 shown]
	v_pk_mov_b32 v[18:19], v[14:15], v[14:15] op_sel:[0,1]
	v_pk_mov_b32 v[16:17], v[12:13], v[12:13] op_sel:[0,1]
	;; [unrolled: 1-line block ×8, first 2 shown]
	s_and_saveexec_b64 s[8:9], s[0:1]
	s_cbranch_execz .LBB2137_5
; %bb.4:
	v_mov_b32_e32 v1, s3
	v_add_co_u32_e32 v4, vcc, s2, v36
	v_addc_co_u32_e32 v5, vcc, 0, v1, vcc
	flat_load_dwordx2 v[20:21], v[4:5]
	v_mov_b32_e32 v4, v2
	v_mov_b32_e32 v5, v3
	v_mov_b32_e32 v6, v2
	v_mov_b32_e32 v7, v3
	v_mov_b32_e32 v8, v2
	v_mov_b32_e32 v9, v3
	v_mov_b32_e32 v10, v2
	v_mov_b32_e32 v11, v3
	v_mov_b32_e32 v12, v2
	v_mov_b32_e32 v13, v3
	v_pk_mov_b32 v[18:19], v[14:15], v[14:15] op_sel:[0,1]
	v_pk_mov_b32 v[16:17], v[12:13], v[12:13] op_sel:[0,1]
	;; [unrolled: 1-line block ×8, first 2 shown]
	s_waitcnt vmcnt(0) lgkmcnt(0)
	v_pk_mov_b32 v[2:3], v[20:21], v[20:21] op_sel:[0,1]
.LBB2137_5:
	s_or_b64 exec, exec, s[8:9]
	v_or_b32_e32 v1, 0x80, v0
	v_cmp_gt_u32_e32 vcc, s28, v1
	s_and_saveexec_b64 s[0:1], vcc
	s_cbranch_execz .LBB2137_7
; %bb.6:
	v_mov_b32_e32 v1, s3
	v_add_co_u32_e32 v4, vcc, s2, v36
	v_addc_co_u32_e32 v5, vcc, 0, v1, vcc
	flat_load_dwordx2 v[6:7], v[4:5] offset:1024
.LBB2137_7:
	s_or_b64 exec, exec, s[0:1]
	v_or_b32_e32 v1, 0x100, v0
	v_cmp_gt_u32_e32 vcc, s28, v1
	s_and_saveexec_b64 s[0:1], vcc
	s_cbranch_execz .LBB2137_9
; %bb.8:
	v_mov_b32_e32 v1, s3
	v_add_co_u32_e32 v4, vcc, s2, v36
	v_addc_co_u32_e32 v5, vcc, 0, v1, vcc
	flat_load_dwordx2 v[8:9], v[4:5] offset:2048
.LBB2137_9:
	;; [unrolled: 11-line block ×3, first 2 shown]
	s_or_b64 exec, exec, s[0:1]
	v_or_b32_e32 v1, 0x200, v0
	v_cmp_gt_u32_e32 vcc, s28, v1
	s_and_saveexec_b64 s[0:1], vcc
	s_cbranch_execz .LBB2137_13
; %bb.12:
	v_lshlrev_b32_e32 v1, 3, v1
	v_mov_b32_e32 v5, s3
	v_add_co_u32_e32 v4, vcc, s2, v1
	v_addc_co_u32_e32 v5, vcc, 0, v5, vcc
	flat_load_dwordx2 v[12:13], v[4:5]
.LBB2137_13:
	s_or_b64 exec, exec, s[0:1]
	v_or_b32_e32 v1, 0x280, v0
	v_cmp_gt_u32_e32 vcc, s28, v1
	s_and_saveexec_b64 s[0:1], vcc
	s_cbranch_execz .LBB2137_15
; %bb.14:
	v_lshlrev_b32_e32 v1, 3, v1
	v_mov_b32_e32 v5, s3
	v_add_co_u32_e32 v4, vcc, s2, v1
	v_addc_co_u32_e32 v5, vcc, 0, v5, vcc
	flat_load_dwordx2 v[14:15], v[4:5]
.LBB2137_15:
	s_or_b64 exec, exec, s[0:1]
	v_or_b32_e32 v1, 0x300, v0
	v_cmp_gt_u32_e32 vcc, s28, v1
	s_and_saveexec_b64 s[0:1], vcc
	s_cbranch_execz .LBB2137_17
; %bb.16:
	v_lshlrev_b32_e32 v1, 3, v1
	v_mov_b32_e32 v5, s3
	v_add_co_u32_e32 v4, vcc, s2, v1
	v_addc_co_u32_e32 v5, vcc, 0, v5, vcc
	flat_load_dwordx2 v[16:17], v[4:5]
.LBB2137_17:
	s_or_b64 exec, exec, s[0:1]
	s_waitcnt vmcnt(0) lgkmcnt(0)
	ds_write2st64_b64 v36, v[2:3], v[6:7] offset1:2
	ds_write2st64_b64 v36, v[8:9], v[10:11] offset0:4 offset1:6
	ds_write2st64_b64 v36, v[12:13], v[14:15] offset0:8 offset1:10
	ds_write_b64 v36, v[16:17] offset:6144
	s_waitcnt lgkmcnt(0)
	s_barrier
.LBB2137_18:
	v_mul_u32_u24_e32 v37, 7, v0
	v_lshlrev_b32_e32 v38, 3, v37
	s_waitcnt lgkmcnt(0)
	ds_read2_b64 v[2:5], v38 offset1:1
	ds_read2_b64 v[10:13], v38 offset0:2 offset1:3
	ds_read2_b64 v[6:9], v38 offset0:4 offset1:5
	ds_read_b64 v[28:29], v38 offset:48
	s_cmp_lg_u32 s6, 0
	v_lshrrev_b32_e32 v1, 5, v0
	v_cmp_gt_u32_e32 vcc, 64, v0
	s_waitcnt lgkmcnt(0)
	s_barrier
	s_cbranch_scc0 .LBB2137_49
; %bb.19:
	v_cmp_gt_u64_e64 s[0:1], v[2:3], v[4:5]
	v_cndmask_b32_e64 v15, v5, v3, s[0:1]
	v_cndmask_b32_e64 v14, v4, v2, s[0:1]
	v_cmp_gt_u64_e64 s[0:1], v[14:15], v[10:11]
	v_cndmask_b32_e64 v15, v11, v15, s[0:1]
	v_cndmask_b32_e64 v14, v10, v14, s[0:1]
	v_cmp_gt_u64_e64 s[0:1], v[14:15], v[12:13]
	v_cndmask_b32_e64 v15, v13, v15, s[0:1]
	v_cndmask_b32_e64 v14, v12, v14, s[0:1]
	v_cmp_gt_u64_e64 s[0:1], v[14:15], v[6:7]
	v_cndmask_b32_e64 v15, v7, v15, s[0:1]
	v_cndmask_b32_e64 v14, v6, v14, s[0:1]
	v_cmp_gt_u64_e64 s[0:1], v[14:15], v[8:9]
	v_cndmask_b32_e64 v15, v9, v15, s[0:1]
	v_cndmask_b32_e64 v14, v8, v14, s[0:1]
	v_cmp_gt_u64_e64 s[0:1], v[14:15], v[28:29]
	v_cndmask_b32_e64 v23, v29, v15, s[0:1]
	v_cndmask_b32_e64 v22, v28, v14, s[0:1]
	v_add_lshl_u32 v14, v1, v0, 3
	ds_write_b64 v14, v[22:23]
	s_waitcnt lgkmcnt(0)
	s_barrier
	s_and_saveexec_b64 s[8:9], vcc
	s_cbranch_execz .LBB2137_23
; %bb.20:
	v_lshlrev_b32_e32 v14, 1, v0
	v_lshrrev_b32_e32 v15, 4, v0
	v_add_lshl_u32 v24, v15, v14, 3
	ds_read2_b64 v[14:17], v24 offset1:1
	v_mbcnt_lo_u32_b32 v18, -1, 0
	v_mbcnt_hi_u32_b32 v25, -1, v18
	v_and_b32_e32 v26, 15, v25
	v_and_b32_e32 v30, 16, v25
	s_waitcnt lgkmcnt(0)
	v_cmp_gt_u64_e64 s[0:1], v[14:15], v[16:17]
	v_cndmask_b32_e64 v17, v17, v15, s[0:1]
	v_cndmask_b32_e64 v16, v16, v14, s[0:1]
	v_cmp_ne_u32_e64 s[2:3], 0, v25
	v_mov_b32_dpp v19, v17 row_shr:1 row_mask:0xf bank_mask:0xf
	v_mov_b32_dpp v18, v16 row_shr:1 row_mask:0xf bank_mask:0xf
	v_cmp_gt_u64_e64 s[0:1], v[18:19], v[16:17]
	v_cndmask_b32_e64 v18, v16, v18, s[0:1]
	v_cndmask_b32_e64 v19, v17, v19, s[0:1]
	v_cmp_eq_u32_e64 s[0:1], 0, v26
	v_cndmask_b32_e64 v19, v19, v17, s[0:1]
	v_cndmask_b32_e64 v18, v18, v16, s[0:1]
	s_nop 0
	v_mov_b32_dpp v21, v19 row_shr:2 row_mask:0xf bank_mask:0xf
	v_mov_b32_dpp v20, v18 row_shr:2 row_mask:0xf bank_mask:0xf
	v_cmp_gt_u64_e64 s[0:1], v[20:21], v[18:19]
	v_cndmask_b32_e64 v20, v18, v20, s[0:1]
	v_cndmask_b32_e64 v21, v19, v21, s[0:1]
	v_cmp_lt_u32_e64 s[0:1], 1, v26
	v_cndmask_b32_e64 v19, v19, v21, s[0:1]
	v_cndmask_b32_e64 v18, v18, v20, s[0:1]
	s_nop 0
	v_mov_b32_dpp v21, v19 row_shr:4 row_mask:0xf bank_mask:0xf
	v_mov_b32_dpp v20, v18 row_shr:4 row_mask:0xf bank_mask:0xf
	v_cmp_gt_u64_e64 s[0:1], v[20:21], v[18:19]
	v_cndmask_b32_e64 v20, v18, v20, s[0:1]
	v_cndmask_b32_e64 v21, v19, v21, s[0:1]
	v_cmp_lt_u32_e64 s[0:1], 3, v26
	;; [unrolled: 9-line block ×3, first 2 shown]
	v_cndmask_b32_e64 v19, v19, v21, s[0:1]
	v_cndmask_b32_e64 v18, v18, v20, s[0:1]
	s_nop 0
	v_mov_b32_dpp v21, v19 row_bcast:15 row_mask:0xf bank_mask:0xf
	v_mov_b32_dpp v20, v18 row_bcast:15 row_mask:0xf bank_mask:0xf
	v_cmp_gt_u64_e64 s[0:1], v[20:21], v[18:19]
	v_cndmask_b32_e64 v26, v19, v21, s[0:1]
	v_cndmask_b32_e64 v27, v18, v20, s[0:1]
	v_cmp_eq_u32_e64 s[0:1], 0, v30
	v_cndmask_b32_e64 v21, v26, v19, s[0:1]
	v_cndmask_b32_e64 v20, v27, v18, s[0:1]
	s_nop 0
	v_mov_b32_dpp v21, v21 row_bcast:31 row_mask:0xf bank_mask:0xf
	v_mov_b32_dpp v20, v20 row_bcast:31 row_mask:0xf bank_mask:0xf
	s_and_saveexec_b64 s[10:11], s[2:3]
; %bb.21:
	v_cndmask_b32_e64 v17, v26, v19, s[0:1]
	v_cndmask_b32_e64 v16, v27, v18, s[0:1]
	v_cmp_lt_u32_e64 s[2:3], 31, v25
	v_cmp_gt_u64_e64 s[0:1], v[20:21], v[16:17]
	s_and_b64 s[0:1], s[2:3], s[0:1]
	v_cndmask_b32_e64 v16, v16, v20, s[0:1]
	v_cndmask_b32_e64 v17, v17, v21, s[0:1]
; %bb.22:
	s_or_b64 exec, exec, s[10:11]
	v_add_u32_e32 v18, -1, v25
	v_and_b32_e32 v19, 64, v25
	v_cmp_lt_i32_e64 s[0:1], v18, v19
	v_cndmask_b32_e64 v18, v18, v25, s[0:1]
	v_lshlrev_b32_e32 v18, 2, v18
	ds_bpermute_b32 v16, v18, v16
	ds_bpermute_b32 v17, v18, v17
	; wave barrier
	s_waitcnt lgkmcnt(0)
	v_cmp_gt_u64_e64 s[0:1], v[16:17], v[14:15]
	v_cndmask_b32_e64 v14, v14, v16, s[0:1]
	v_cndmask_b32_e64 v15, v15, v17, s[0:1]
	v_cmp_eq_u32_e64 s[0:1], 0, v0
	v_cndmask_b32_e64 v15, v15, v23, s[0:1]
	v_cndmask_b32_e64 v14, v14, v22, s[0:1]
	ds_write_b64 v24, v[14:15]
	; wave barrier
	ds_read_b64 v[16:17], v24 offset:8
	s_waitcnt lgkmcnt(0)
	v_cmp_gt_u64_e64 s[0:1], v[14:15], v[16:17]
	v_cndmask_b32_e64 v15, v17, v15, s[0:1]
	v_cndmask_b32_e64 v14, v16, v14, s[0:1]
	ds_write_b64 v24, v[14:15] offset:8
.LBB2137_23:
	s_or_b64 exec, exec, s[8:9]
	v_cmp_eq_u32_e64 s[0:1], 0, v0
	v_cmp_ne_u32_e64 s[2:3], 0, v0
	s_waitcnt lgkmcnt(0)
	s_barrier
	s_and_saveexec_b64 s[8:9], s[2:3]
	s_cbranch_execz .LBB2137_25
; %bb.24:
	v_add_u32_e32 v14, -1, v0
	v_lshrrev_b32_e32 v15, 5, v14
	v_add_lshl_u32 v14, v15, v14, 3
	ds_read_b64 v[22:23], v14
.LBB2137_25:
	s_or_b64 exec, exec, s[8:9]
	s_and_saveexec_b64 s[26:27], vcc
	s_cbranch_execz .LBB2137_48
; %bb.26:
	v_mov_b32_e32 v17, 0
	ds_read_b64 v[14:15], v17 offset:1040
	v_mbcnt_lo_u32_b32 v16, -1, 0
	v_mbcnt_hi_u32_b32 v25, -1, v16
	s_mov_b32 s11, 0
	v_cmp_eq_u32_e64 s[2:3], 0, v25
	s_and_saveexec_b64 s[8:9], s[2:3]
	s_cbranch_execz .LBB2137_28
; %bb.27:
	s_add_i32 s10, s6, 64
	s_lshl_b64 s[10:11], s[10:11], 4
	s_add_u32 s10, s24, s10
	s_addc_u32 s11, s25, s11
	v_mov_b32_e32 v16, 1
	v_pk_mov_b32 v[18:19], s[10:11], s[10:11] op_sel:[0,1]
	s_waitcnt lgkmcnt(0)
	;;#ASMSTART
	global_store_dwordx4 v[18:19], v[14:17] off	
s_waitcnt vmcnt(0)
	;;#ASMEND
.LBB2137_28:
	s_or_b64 exec, exec, s[8:9]
	v_xad_u32 v24, v25, -1, s6
	v_add_u32_e32 v16, 64, v24
	v_lshlrev_b64 v[18:19], 4, v[16:17]
	v_mov_b32_e32 v16, s25
	v_add_co_u32_e32 v26, vcc, s24, v18
	v_addc_co_u32_e32 v27, vcc, v16, v19, vcc
	;;#ASMSTART
	global_load_dwordx4 v[18:21], v[26:27] off glc	
s_waitcnt vmcnt(0)
	;;#ASMEND
	v_and_b32_e32 v16, 0xff, v19
	v_and_b32_e32 v21, 0xff00, v19
	v_or3_b32 v16, 0, v16, v21
	v_or3_b32 v18, v18, 0, 0
	v_and_b32_e32 v21, 0xff000000, v19
	v_and_b32_e32 v19, 0xff0000, v19
	v_or3_b32 v19, v16, v19, v21
	v_or3_b32 v18, v18, 0, 0
	v_cmp_eq_u16_sdwa s[10:11], v20, v17 src0_sel:BYTE_0 src1_sel:DWORD
	s_and_saveexec_b64 s[8:9], s[10:11]
	s_cbranch_execz .LBB2137_34
; %bb.29:
	s_mov_b32 s7, 1
	s_mov_b64 s[10:11], 0
	v_mov_b32_e32 v16, 0
.LBB2137_30:                            ; =>This Loop Header: Depth=1
                                        ;     Child Loop BB2137_31 Depth 2
	s_max_u32 s12, s7, 1
.LBB2137_31:                            ;   Parent Loop BB2137_30 Depth=1
                                        ; =>  This Inner Loop Header: Depth=2
	s_add_i32 s12, s12, -1
	s_cmp_eq_u32 s12, 0
	s_sleep 1
	s_cbranch_scc0 .LBB2137_31
; %bb.32:                               ;   in Loop: Header=BB2137_30 Depth=1
	s_cmp_lt_u32 s7, 32
	s_cselect_b64 s[12:13], -1, 0
	s_cmp_lg_u64 s[12:13], 0
	s_addc_u32 s7, s7, 0
	;;#ASMSTART
	global_load_dwordx4 v[18:21], v[26:27] off glc	
s_waitcnt vmcnt(0)
	;;#ASMEND
	v_cmp_ne_u16_sdwa s[12:13], v20, v16 src0_sel:BYTE_0 src1_sel:DWORD
	s_or_b64 s[10:11], s[12:13], s[10:11]
	s_andn2_b64 exec, exec, s[10:11]
	s_cbranch_execnz .LBB2137_30
; %bb.33:
	s_or_b64 exec, exec, s[10:11]
.LBB2137_34:
	s_or_b64 exec, exec, s[8:9]
	v_and_b32_e32 v33, 63, v25
	v_cmp_ne_u32_e32 vcc, 63, v33
	v_mov_b32_e32 v32, 2
	v_addc_co_u32_e32 v26, vcc, 0, v25, vcc
	v_cmp_eq_u16_sdwa s[8:9], v20, v32 src0_sel:BYTE_0 src1_sel:DWORD
	v_lshlrev_b64 v[16:17], v25, -1
	v_lshlrev_b32_e32 v34, 2, v26
	v_and_b32_e32 v21, s9, v17
	ds_bpermute_b32 v26, v34, v18
	ds_bpermute_b32 v27, v34, v19
	v_or_b32_e32 v21, 0x80000000, v21
	v_and_b32_e32 v30, s8, v16
	v_ffbl_b32_e32 v21, v21
	v_add_u32_e32 v21, 32, v21
	v_ffbl_b32_e32 v30, v30
	v_min_u32_e32 v21, v30, v21
	s_waitcnt lgkmcnt(0)
	v_cmp_gt_u64_e64 s[8:9], v[26:27], v[18:19]
	v_cmp_lt_u32_e32 vcc, v33, v21
	v_cndmask_b32_e64 v26, v18, v26, s[8:9]
	s_and_b64 s[8:9], vcc, s[8:9]
	v_cndmask_b32_e64 v27, v19, v27, s[8:9]
	v_cmp_gt_u32_e64 s[8:9], 62, v33
	v_cndmask_b32_e64 v30, 0, 1, s[8:9]
	v_lshlrev_b32_e32 v30, 1, v30
	v_cndmask_b32_e32 v26, v18, v26, vcc
	v_add_lshl_u32 v35, v30, v25, 2
	ds_bpermute_b32 v30, v35, v26
	ds_bpermute_b32 v31, v35, v27
	v_add_u32_e32 v39, 2, v33
	v_cmp_gt_u32_e64 s[10:11], 56, v33
	v_add_u32_e32 v41, 4, v33
	v_cndmask_b32_e64 v42, 0, 1, s[10:11]
	s_waitcnt lgkmcnt(0)
	v_cmp_gt_u64_e64 s[8:9], v[30:31], v[26:27]
	v_cndmask_b32_e64 v31, v27, v31, s[8:9]
	v_cndmask_b32_e64 v30, v26, v30, s[8:9]
	v_cmp_gt_u32_e64 s[8:9], v39, v21
	v_cndmask_b32_e64 v26, v30, v26, s[8:9]
	v_cndmask_b32_e64 v27, v31, v27, s[8:9]
	v_cmp_gt_u32_e64 s[8:9], 60, v33
	v_cndmask_b32_e64 v30, 0, 1, s[8:9]
	v_lshlrev_b32_e32 v30, 2, v30
	v_add_lshl_u32 v40, v30, v25, 2
	ds_bpermute_b32 v30, v40, v26
	ds_bpermute_b32 v31, v40, v27
	v_lshlrev_b32_e32 v42, 3, v42
	v_add_lshl_u32 v42, v42, v25, 2
	v_cmp_gt_u32_e64 s[12:13], 48, v33
	v_add_u32_e32 v43, 8, v33
	s_waitcnt lgkmcnt(0)
	v_cmp_gt_u64_e64 s[8:9], v[30:31], v[26:27]
	v_cndmask_b32_e64 v50, v27, v31, s[8:9]
	v_cndmask_b32_e64 v51, v26, v30, s[8:9]
	v_cmp_gt_u32_e64 s[8:9], v41, v21
	v_cndmask_b32_e64 v30, v51, v26, s[8:9]
	v_cndmask_b32_e64 v31, v50, v27, s[8:9]
	ds_bpermute_b32 v44, v42, v30
	ds_bpermute_b32 v45, v42, v31
	v_cmp_gt_u32_e64 s[14:15], 32, v33
	v_cndmask_b32_e32 v19, v19, v27, vcc
	v_cndmask_b32_e32 v18, v18, v26, vcc
	v_cndmask_b32_e64 v18, v51, v18, s[8:9]
	s_waitcnt lgkmcnt(0)
	v_cmp_gt_u64_e64 s[10:11], v[44:45], v[30:31]
	v_cndmask_b32_e64 v53, v30, v44, s[10:11]
	v_cndmask_b32_e64 v44, 0, 1, s[12:13]
	;; [unrolled: 1-line block ×3, first 2 shown]
	v_cmp_gt_u32_e64 s[10:11], v43, v21
	v_lshlrev_b32_e32 v44, 4, v44
	v_cndmask_b32_e64 v30, v53, v30, s[10:11]
	v_cndmask_b32_e64 v31, v52, v31, s[10:11]
	v_add_lshl_u32 v44, v44, v25, 2
	ds_bpermute_b32 v46, v44, v30
	ds_bpermute_b32 v47, v44, v31
	v_add_u32_e32 v45, 16, v33
	v_cndmask_b32_e64 v19, v50, v19, s[8:9]
	v_cndmask_b32_e64 v19, v52, v19, s[10:11]
	;; [unrolled: 1-line block ×3, first 2 shown]
	s_waitcnt lgkmcnt(0)
	v_cmp_gt_u64_e64 s[12:13], v[46:47], v[30:31]
	v_cndmask_b32_e64 v55, v30, v46, s[12:13]
	v_cndmask_b32_e64 v46, 0, 1, s[14:15]
	;; [unrolled: 1-line block ×3, first 2 shown]
	v_cmp_gt_u32_e64 s[12:13], v45, v21
	v_lshlrev_b32_e32 v46, 5, v46
	v_cndmask_b32_e64 v30, v55, v30, s[12:13]
	v_add_lshl_u32 v46, v46, v25, 2
	v_cndmask_b32_e64 v31, v54, v31, s[12:13]
	ds_bpermute_b32 v48, v46, v30
	ds_bpermute_b32 v49, v46, v31
	v_add_u32_e32 v47, 32, v33
	v_cndmask_b32_e64 v18, v55, v18, s[12:13]
	v_cndmask_b32_e64 v19, v54, v19, s[12:13]
	v_cmp_gt_u32_e32 vcc, v47, v21
	s_waitcnt lgkmcnt(0)
	v_cmp_gt_u64_e64 s[14:15], v[48:49], v[30:31]
	v_cndmask_b32_e64 v25, v30, v48, s[14:15]
	v_cndmask_b32_e64 v30, v31, v49, s[14:15]
	v_cndmask_b32_e32 v19, v30, v19, vcc
	v_cndmask_b32_e32 v18, v25, v18, vcc
	v_mov_b32_e32 v25, 0
	s_branch .LBB2137_36
.LBB2137_35:                            ;   in Loop: Header=BB2137_36 Depth=1
	s_or_b64 exec, exec, s[8:9]
	v_cmp_eq_u16_sdwa s[8:9], v20, v32 src0_sel:BYTE_0 src1_sel:DWORD
	v_and_b32_e32 v21, s9, v17
	ds_bpermute_b32 v30, v34, v18
	ds_bpermute_b32 v31, v34, v19
	v_or_b32_e32 v21, 0x80000000, v21
	v_and_b32_e32 v48, s8, v16
	v_ffbl_b32_e32 v21, v21
	v_add_u32_e32 v21, 32, v21
	v_ffbl_b32_e32 v48, v48
	v_min_u32_e32 v21, v48, v21
	s_waitcnt lgkmcnt(0)
	v_cmp_gt_u64_e32 vcc, v[30:31], v[18:19]
	v_cmp_lt_u32_e64 s[8:9], v33, v21
	v_cndmask_b32_e32 v30, v18, v30, vcc
	s_and_b64 vcc, s[8:9], vcc
	v_cndmask_b32_e64 v30, v18, v30, s[8:9]
	v_cndmask_b32_e32 v31, v19, v31, vcc
	ds_bpermute_b32 v48, v35, v30
	ds_bpermute_b32 v49, v35, v31
	v_subrev_u32_e32 v24, 64, v24
	s_waitcnt lgkmcnt(0)
	v_cmp_gt_u64_e32 vcc, v[48:49], v[30:31]
	v_cndmask_b32_e32 v49, v31, v49, vcc
	v_cndmask_b32_e32 v48, v30, v48, vcc
	v_cmp_gt_u32_e32 vcc, v39, v21
	v_cndmask_b32_e32 v30, v48, v30, vcc
	v_cndmask_b32_e32 v31, v49, v31, vcc
	ds_bpermute_b32 v48, v40, v30
	ds_bpermute_b32 v49, v40, v31
	v_cndmask_b32_e64 v19, v19, v31, s[8:9]
	v_cndmask_b32_e64 v18, v18, v30, s[8:9]
	s_waitcnt lgkmcnt(0)
	v_cmp_gt_u64_e32 vcc, v[48:49], v[30:31]
	v_cndmask_b32_e32 v52, v31, v49, vcc
	v_cndmask_b32_e32 v53, v30, v48, vcc
	v_cmp_gt_u32_e32 vcc, v41, v21
	v_cndmask_b32_e32 v48, v53, v30, vcc
	v_cndmask_b32_e32 v49, v52, v31, vcc
	ds_bpermute_b32 v50, v42, v48
	ds_bpermute_b32 v51, v42, v49
	v_cndmask_b32_e32 v18, v53, v18, vcc
	v_cndmask_b32_e32 v19, v52, v19, vcc
	v_cmp_gt_u32_e32 vcc, v47, v21
	s_waitcnt lgkmcnt(0)
	v_cmp_gt_u64_e64 s[10:11], v[50:51], v[48:49]
	v_cndmask_b32_e64 v54, v49, v51, s[10:11]
	v_cndmask_b32_e64 v55, v48, v50, s[10:11]
	v_cmp_gt_u32_e64 s[10:11], v43, v21
	v_cndmask_b32_e64 v48, v55, v48, s[10:11]
	v_cndmask_b32_e64 v49, v54, v49, s[10:11]
	ds_bpermute_b32 v50, v44, v48
	ds_bpermute_b32 v51, v44, v49
	v_cndmask_b32_e64 v19, v54, v19, s[10:11]
	v_cndmask_b32_e64 v18, v55, v18, s[10:11]
	s_waitcnt lgkmcnt(0)
	v_cmp_gt_u64_e64 s[12:13], v[50:51], v[48:49]
	v_cndmask_b32_e64 v56, v49, v51, s[12:13]
	v_cndmask_b32_e64 v57, v48, v50, s[12:13]
	v_cmp_gt_u32_e64 s[12:13], v45, v21
	v_cndmask_b32_e64 v48, v57, v48, s[12:13]
	v_cndmask_b32_e64 v49, v56, v49, s[12:13]
	ds_bpermute_b32 v50, v46, v48
	ds_bpermute_b32 v51, v46, v49
	v_cndmask_b32_e64 v18, v57, v18, s[12:13]
	v_cndmask_b32_e64 v19, v56, v19, s[12:13]
	s_waitcnt lgkmcnt(0)
	v_cmp_gt_u64_e64 s[14:15], v[50:51], v[48:49]
	v_cndmask_b32_e64 v48, v48, v50, s[14:15]
	v_cndmask_b32_e64 v49, v49, v51, s[14:15]
	v_cndmask_b32_e32 v19, v49, v19, vcc
	v_cndmask_b32_e32 v18, v48, v18, vcc
	v_cmp_gt_u64_e32 vcc, v[18:19], v[26:27]
	v_cndmask_b32_e32 v19, v27, v19, vcc
	v_cndmask_b32_e32 v18, v26, v18, vcc
.LBB2137_36:                            ; =>This Loop Header: Depth=1
                                        ;     Child Loop BB2137_39 Depth 2
                                        ;       Child Loop BB2137_40 Depth 3
	v_cmp_ne_u16_sdwa s[8:9], v20, v32 src0_sel:BYTE_0 src1_sel:DWORD
	v_cndmask_b32_e64 v20, 0, 1, s[8:9]
	;;#ASMSTART
	;;#ASMEND
	v_cmp_ne_u32_e32 vcc, 0, v20
	s_cmp_lg_u64 vcc, exec
	v_pk_mov_b32 v[26:27], v[18:19], v[18:19] op_sel:[0,1]
	s_cbranch_scc1 .LBB2137_43
; %bb.37:                               ;   in Loop: Header=BB2137_36 Depth=1
	v_lshlrev_b64 v[18:19], 4, v[24:25]
	v_mov_b32_e32 v20, s25
	v_add_co_u32_e32 v30, vcc, s24, v18
	v_addc_co_u32_e32 v31, vcc, v20, v19, vcc
	;;#ASMSTART
	global_load_dwordx4 v[18:21], v[30:31] off glc	
s_waitcnt vmcnt(0)
	;;#ASMEND
	v_and_b32_e32 v21, 0xff, v19
	v_and_b32_e32 v48, 0xff00, v19
	v_or3_b32 v21, 0, v21, v48
	v_or3_b32 v18, v18, 0, 0
	v_and_b32_e32 v48, 0xff000000, v19
	v_and_b32_e32 v19, 0xff0000, v19
	v_or3_b32 v19, v21, v19, v48
	v_or3_b32 v18, v18, 0, 0
	v_cmp_eq_u16_sdwa s[10:11], v20, v25 src0_sel:BYTE_0 src1_sel:DWORD
	s_and_saveexec_b64 s[8:9], s[10:11]
	s_cbranch_execz .LBB2137_35
; %bb.38:                               ;   in Loop: Header=BB2137_36 Depth=1
	s_mov_b32 s7, 1
	s_mov_b64 s[10:11], 0
.LBB2137_39:                            ;   Parent Loop BB2137_36 Depth=1
                                        ; =>  This Loop Header: Depth=2
                                        ;       Child Loop BB2137_40 Depth 3
	s_max_u32 s12, s7, 1
.LBB2137_40:                            ;   Parent Loop BB2137_36 Depth=1
                                        ;     Parent Loop BB2137_39 Depth=2
                                        ; =>    This Inner Loop Header: Depth=3
	s_add_i32 s12, s12, -1
	s_cmp_eq_u32 s12, 0
	s_sleep 1
	s_cbranch_scc0 .LBB2137_40
; %bb.41:                               ;   in Loop: Header=BB2137_39 Depth=2
	s_cmp_lt_u32 s7, 32
	s_cselect_b64 s[12:13], -1, 0
	s_cmp_lg_u64 s[12:13], 0
	s_addc_u32 s7, s7, 0
	;;#ASMSTART
	global_load_dwordx4 v[18:21], v[30:31] off glc	
s_waitcnt vmcnt(0)
	;;#ASMEND
	v_cmp_ne_u16_sdwa s[12:13], v20, v25 src0_sel:BYTE_0 src1_sel:DWORD
	s_or_b64 s[10:11], s[12:13], s[10:11]
	s_andn2_b64 exec, exec, s[10:11]
	s_cbranch_execnz .LBB2137_39
; %bb.42:                               ;   in Loop: Header=BB2137_36 Depth=1
	s_or_b64 exec, exec, s[10:11]
	s_branch .LBB2137_35
.LBB2137_43:                            ;   in Loop: Header=BB2137_36 Depth=1
                                        ; implicit-def: $vgpr18_vgpr19
                                        ; implicit-def: $vgpr20
	s_cbranch_execz .LBB2137_36
; %bb.44:
	s_and_saveexec_b64 s[8:9], s[2:3]
	s_cbranch_execz .LBB2137_46
; %bb.45:
	s_add_i32 s2, s6, 64
	s_mov_b32 s3, 0
	s_lshl_b64 s[2:3], s[2:3], 4
	s_add_u32 s2, s24, s2
	v_cmp_gt_u64_e32 vcc, v[26:27], v[14:15]
	s_addc_u32 s3, s25, s3
	v_cndmask_b32_e32 v15, v15, v27, vcc
	v_cndmask_b32_e32 v14, v14, v26, vcc
	v_mov_b32_e32 v16, 2
	v_mov_b32_e32 v17, 0
	v_pk_mov_b32 v[18:19], s[2:3], s[2:3] op_sel:[0,1]
	;;#ASMSTART
	global_store_dwordx4 v[18:19], v[14:17] off	
s_waitcnt vmcnt(0)
	;;#ASMEND
.LBB2137_46:
	s_or_b64 exec, exec, s[8:9]
	s_and_b64 exec, exec, s[0:1]
	s_cbranch_execz .LBB2137_48
; %bb.47:
	v_mov_b32_e32 v14, 0
	ds_write_b64 v14, v[26:27]
.LBB2137_48:
	s_or_b64 exec, exec, s[26:27]
	v_mov_b32_e32 v14, 0
	s_waitcnt lgkmcnt(0)
	s_barrier
	ds_read_b64 v[14:15], v14
	v_cmp_gt_u64_e32 vcc, v[22:23], v[2:3]
	v_cndmask_b32_e32 v16, v2, v22, vcc
	v_cndmask_b32_e32 v17, v3, v23, vcc
	v_cndmask_b32_e64 v17, v17, v3, s[0:1]
	v_cndmask_b32_e64 v16, v16, v2, s[0:1]
	s_waitcnt lgkmcnt(0)
	v_cmp_gt_u64_e32 vcc, v[14:15], v[16:17]
	v_cndmask_b32_e32 v25, v17, v15, vcc
	v_cndmask_b32_e32 v24, v16, v14, vcc
	v_cmp_gt_u64_e32 vcc, v[24:25], v[4:5]
	v_cndmask_b32_e32 v31, v5, v25, vcc
	v_cndmask_b32_e32 v30, v4, v24, vcc
	;; [unrolled: 3-line block ×7, first 2 shown]
	s_load_dwordx8 s[4:11], s[4:5], 0x40
	s_branch .LBB2137_63
.LBB2137_49:
                                        ; implicit-def: $vgpr22_vgpr23
                                        ; implicit-def: $vgpr34_vgpr35
                                        ; implicit-def: $vgpr32_vgpr33
                                        ; implicit-def: $vgpr30_vgpr31
                                        ; implicit-def: $vgpr18_vgpr19_vgpr20_vgpr21
                                        ; implicit-def: $vgpr14_vgpr15_vgpr16_vgpr17
                                        ; implicit-def: $vgpr24_vgpr25_vgpr26_vgpr27
	s_load_dwordx8 s[4:11], s[4:5], 0x40
	s_cbranch_execz .LBB2137_63
; %bb.50:
	s_waitcnt lgkmcnt(0)
	s_cmp_lg_u64 s[8:9], 0
	s_cselect_b64 s[2:3], -1, 0
	v_cmp_eq_u32_e64 s[0:1], 0, v0
	v_cmp_ne_u32_e32 vcc, 0, v0
	s_and_b64 s[2:3], s[0:1], s[2:3]
	s_and_saveexec_b64 s[8:9], s[2:3]
	s_cbranch_execz .LBB2137_52
; %bb.51:
	v_mov_b32_e32 v14, 0
	global_load_dwordx2 v[14:15], v14, s[4:5]
	s_waitcnt vmcnt(0)
	v_cmp_gt_u64_e64 s[2:3], v[14:15], v[2:3]
	v_cndmask_b32_e64 v3, v3, v15, s[2:3]
	v_cndmask_b32_e64 v2, v2, v14, s[2:3]
.LBB2137_52:
	s_or_b64 exec, exec, s[8:9]
	v_cmp_gt_u64_e64 s[2:3], v[2:3], v[4:5]
	v_cndmask_b32_e64 v31, v5, v3, s[2:3]
	v_cndmask_b32_e64 v30, v4, v2, s[2:3]
	v_cmp_gt_u64_e64 s[2:3], v[30:31], v[10:11]
	v_cndmask_b32_e64 v15, v11, v31, s[2:3]
	v_cndmask_b32_e64 v14, v10, v30, s[2:3]
	;; [unrolled: 3-line block ×6, first 2 shown]
	v_add_lshl_u32 v1, v1, v0, 3
	v_cmp_gt_u32_e64 s[2:3], 64, v0
	ds_write_b64 v1, v[22:23]
	s_waitcnt lgkmcnt(0)
	s_barrier
	s_and_saveexec_b64 s[8:9], s[2:3]
	s_cbranch_execz .LBB2137_56
; %bb.53:
	v_lshlrev_b32_e32 v1, 1, v0
	v_lshrrev_b32_e32 v16, 4, v0
	v_add_lshl_u32 v1, v16, v1, 3
	ds_read2_b64 v[24:27], v1 offset1:1
	v_mbcnt_lo_u32_b32 v16, -1, 0
	v_mbcnt_hi_u32_b32 v39, -1, v16
	v_and_b32_e32 v40, 15, v39
	v_and_b32_e32 v42, 16, v39
	s_waitcnt lgkmcnt(0)
	v_cmp_gt_u64_e64 s[2:3], v[24:25], v[26:27]
	v_cndmask_b32_e64 v17, v27, v25, s[2:3]
	v_cndmask_b32_e64 v16, v26, v24, s[2:3]
	v_cmp_ne_u32_e64 s[4:5], 0, v39
	v_mov_b32_dpp v21, v17 row_shr:1 row_mask:0xf bank_mask:0xf
	v_mov_b32_dpp v20, v16 row_shr:1 row_mask:0xf bank_mask:0xf
	v_cmp_gt_u64_e64 s[2:3], v[20:21], v[16:17]
	v_cndmask_b32_e64 v20, v16, v20, s[2:3]
	v_cndmask_b32_e64 v21, v17, v21, s[2:3]
	v_cmp_eq_u32_e64 s[2:3], 0, v40
	v_cndmask_b32_e64 v21, v21, v17, s[2:3]
	v_cndmask_b32_e64 v20, v20, v16, s[2:3]
	s_nop 0
	v_mov_b32_dpp v27, v21 row_shr:2 row_mask:0xf bank_mask:0xf
	v_mov_b32_dpp v26, v20 row_shr:2 row_mask:0xf bank_mask:0xf
	v_cmp_gt_u64_e64 s[2:3], v[26:27], v[20:21]
	v_cndmask_b32_e64 v26, v20, v26, s[2:3]
	v_cndmask_b32_e64 v27, v21, v27, s[2:3]
	v_cmp_lt_u32_e64 s[2:3], 1, v40
	v_cndmask_b32_e64 v21, v21, v27, s[2:3]
	v_cndmask_b32_e64 v20, v20, v26, s[2:3]
	s_nop 0
	v_mov_b32_dpp v27, v21 row_shr:4 row_mask:0xf bank_mask:0xf
	v_mov_b32_dpp v26, v20 row_shr:4 row_mask:0xf bank_mask:0xf
	v_cmp_gt_u64_e64 s[2:3], v[26:27], v[20:21]
	v_cndmask_b32_e64 v26, v20, v26, s[2:3]
	v_cndmask_b32_e64 v27, v21, v27, s[2:3]
	v_cmp_lt_u32_e64 s[2:3], 3, v40
	;; [unrolled: 9-line block ×3, first 2 shown]
	v_cndmask_b32_e64 v21, v21, v27, s[2:3]
	v_cndmask_b32_e64 v20, v20, v26, s[2:3]
	s_nop 0
	v_mov_b32_dpp v27, v21 row_bcast:15 row_mask:0xf bank_mask:0xf
	v_mov_b32_dpp v26, v20 row_bcast:15 row_mask:0xf bank_mask:0xf
	v_cmp_gt_u64_e64 s[2:3], v[26:27], v[20:21]
	v_cndmask_b32_e64 v40, v21, v27, s[2:3]
	v_cndmask_b32_e64 v41, v20, v26, s[2:3]
	v_cmp_eq_u32_e64 s[2:3], 0, v42
	v_cndmask_b32_e64 v27, v40, v21, s[2:3]
	v_cndmask_b32_e64 v26, v41, v20, s[2:3]
	s_nop 0
	v_mov_b32_dpp v27, v27 row_bcast:31 row_mask:0xf bank_mask:0xf
	v_mov_b32_dpp v26, v26 row_bcast:31 row_mask:0xf bank_mask:0xf
	s_and_saveexec_b64 s[12:13], s[4:5]
; %bb.54:
	v_cndmask_b32_e64 v17, v40, v21, s[2:3]
	v_cndmask_b32_e64 v16, v41, v20, s[2:3]
	v_cmp_lt_u32_e64 s[4:5], 31, v39
	v_cmp_gt_u64_e64 s[2:3], v[26:27], v[16:17]
	s_and_b64 s[2:3], s[4:5], s[2:3]
	v_cndmask_b32_e64 v16, v16, v26, s[2:3]
	v_cndmask_b32_e64 v17, v17, v27, s[2:3]
; %bb.55:
	s_or_b64 exec, exec, s[12:13]
	v_add_u32_e32 v20, -1, v39
	v_and_b32_e32 v21, 64, v39
	v_cmp_lt_i32_e64 s[2:3], v20, v21
	v_cndmask_b32_e64 v20, v20, v39, s[2:3]
	v_lshlrev_b32_e32 v20, 2, v20
	ds_bpermute_b32 v16, v20, v16
	ds_bpermute_b32 v17, v20, v17
	; wave barrier
	s_waitcnt lgkmcnt(0)
	v_cmp_gt_u64_e64 s[2:3], v[16:17], v[24:25]
	v_cndmask_b32_e64 v16, v24, v16, s[2:3]
	v_cndmask_b32_e64 v17, v25, v17, s[2:3]
	;; [unrolled: 1-line block ×4, first 2 shown]
	ds_write_b64 v1, v[16:17]
	; wave barrier
	ds_read_b64 v[20:21], v1 offset:8
	s_waitcnt lgkmcnt(0)
	v_cmp_gt_u64_e64 s[0:1], v[16:17], v[20:21]
	v_cndmask_b32_e64 v17, v21, v17, s[0:1]
	v_cndmask_b32_e64 v16, v20, v16, s[0:1]
	ds_write_b64 v1, v[16:17] offset:8
.LBB2137_56:
	s_or_b64 exec, exec, s[8:9]
	v_pk_mov_b32 v[16:17], v[22:23], v[22:23] op_sel:[0,1]
	s_waitcnt lgkmcnt(0)
	s_barrier
	s_and_saveexec_b64 s[0:1], vcc
	s_cbranch_execz .LBB2137_58
; %bb.57:
	v_add_u32_e32 v1, -1, v0
	v_lshrrev_b32_e32 v16, 5, v1
	v_add_lshl_u32 v1, v16, v1, 3
	ds_read_b64 v[16:17], v1
.LBB2137_58:
	s_or_b64 exec, exec, s[0:1]
	s_and_saveexec_b64 s[0:1], vcc
	s_cbranch_execz .LBB2137_60
; %bb.59:
	s_waitcnt lgkmcnt(0)
	v_cmp_gt_u64_e32 vcc, v[16:17], v[2:3]
	v_cndmask_b32_e32 v3, v3, v17, vcc
	v_cndmask_b32_e32 v2, v2, v16, vcc
	v_cmp_gt_u64_e32 vcc, v[2:3], v[4:5]
	v_cndmask_b32_e32 v31, v5, v3, vcc
	v_cndmask_b32_e32 v30, v4, v2, vcc
	;; [unrolled: 3-line block ×7, first 2 shown]
	;;#ASMSTART
	;;#ASMEND
.LBB2137_60:
	s_or_b64 exec, exec, s[0:1]
	s_movk_i32 s0, 0x7f
	v_cmp_eq_u32_e32 vcc, s0, v0
	s_and_saveexec_b64 s[0:1], vcc
	s_cbranch_execz .LBB2137_62
; %bb.61:
	s_add_u32 s2, s24, 0x400
	s_addc_u32 s3, s25, 0
	v_mov_b32_e32 v24, 2
	v_mov_b32_e32 v25, 0
	v_pk_mov_b32 v[4:5], s[2:3], s[2:3] op_sel:[0,1]
	;;#ASMSTART
	global_store_dwordx4 v[4:5], v[22:25] off	
s_waitcnt vmcnt(0)
	;;#ASMEND
.LBB2137_62:
	s_or_b64 exec, exec, s[0:1]
	v_pk_mov_b32 v[24:25], v[2:3], v[2:3] op_sel:[0,1]
.LBB2137_63:
	s_add_u32 s0, s16, s20
	s_addc_u32 s1, s17, s21
	s_add_u32 s2, s0, s22
	s_addc_u32 s3, s1, s23
	s_mov_b64 s[0:1], -1
	s_and_b64 vcc, exec, s[18:19]
	s_waitcnt lgkmcnt(0)
	s_barrier
	s_cbranch_vccz .LBB2137_65
; %bb.64:
	v_mul_u32_u24_e32 v1, 56, v0
	ds_write2_b64 v1, v[24:25], v[30:31] offset1:1
	ds_write2_b64 v1, v[14:15], v[32:33] offset0:2 offset1:3
	ds_write2_b64 v1, v[18:19], v[34:35] offset0:4 offset1:5
	ds_write_b64 v1, v[22:23] offset:48
	v_mul_i32_i24_e32 v1, 0xffffffd0, v0
	v_mad_u32_u24 v1, v0, 56, v1
	s_waitcnt lgkmcnt(0)
	s_barrier
	ds_read2st64_b64 v[2:5], v1 offset1:2
	ds_read2st64_b64 v[6:9], v1 offset0:4 offset1:6
	ds_read2st64_b64 v[10:13], v1 offset0:8 offset1:10
	ds_read_b64 v[16:17], v1 offset:6144
	v_mov_b32_e32 v1, s3
	v_add_co_u32_e32 v20, vcc, s2, v36
	v_addc_co_u32_e32 v21, vcc, 0, v1, vcc
	s_waitcnt lgkmcnt(3)
	flat_store_dwordx2 v[20:21], v[2:3]
	flat_store_dwordx2 v[20:21], v[4:5] offset:1024
	s_waitcnt lgkmcnt(0)
	flat_store_dwordx2 v[20:21], v[6:7] offset:2048
	flat_store_dwordx2 v[20:21], v[8:9] offset:3072
	v_add_co_u32_e32 v2, vcc, 0x1000, v20
	v_addc_co_u32_e32 v3, vcc, 0, v21, vcc
	flat_store_dwordx2 v[2:3], v[10:11]
	flat_store_dwordx2 v[2:3], v[12:13] offset:1024
	flat_store_dwordx2 v[2:3], v[16:17] offset:2048
	s_mov_b64 s[0:1], 0
.LBB2137_65:
	s_andn2_b64 vcc, exec, s[0:1]
	s_cbranch_vccnz .LBB2137_104
; %bb.66:
	s_movk_i32 s0, 0xffd0
	ds_write2_b64 v38, v[24:25], v[30:31] offset1:1
	ds_write2_b64 v38, v[14:15], v[32:33] offset0:2 offset1:3
	ds_write2_b64 v38, v[18:19], v[34:35] offset0:4 offset1:5
	ds_write_b64 v38, v[22:23] offset:48
	v_mad_i32_i24 v14, v0, s0, v38
	s_waitcnt lgkmcnt(0)
	s_barrier
	ds_read2st64_b64 v[2:5], v14 offset1:2
	ds_read2st64_b64 v[6:9], v14 offset0:4 offset1:6
	ds_read2st64_b64 v[10:13], v14 offset0:8 offset1:10
	ds_read_b64 v[14:15], v14 offset:6144
	v_mov_b32_e32 v17, s3
	v_add_co_u32_e32 v16, vcc, s2, v36
	v_addc_co_u32_e32 v17, vcc, 0, v17, vcc
	v_mov_b32_e32 v1, 0
	v_cmp_gt_u32_e32 vcc, s28, v0
	s_and_saveexec_b64 s[0:1], vcc
	s_cbranch_execz .LBB2137_68
; %bb.67:
	s_waitcnt lgkmcnt(0)
	flat_store_dwordx2 v[16:17], v[2:3]
.LBB2137_68:
	s_or_b64 exec, exec, s[0:1]
	v_or_b32_e32 v18, 0x80, v0
	v_cmp_gt_u32_e32 vcc, s28, v18
	s_and_saveexec_b64 s[0:1], vcc
	s_cbranch_execz .LBB2137_70
; %bb.69:
	s_waitcnt lgkmcnt(0)
	flat_store_dwordx2 v[16:17], v[4:5] offset:1024
.LBB2137_70:
	s_or_b64 exec, exec, s[0:1]
	v_or_b32_e32 v18, 0x100, v0
	v_cmp_gt_u32_e32 vcc, s28, v18
	s_and_saveexec_b64 s[0:1], vcc
	s_cbranch_execz .LBB2137_72
; %bb.71:
	s_waitcnt lgkmcnt(0)
	flat_store_dwordx2 v[16:17], v[6:7] offset:2048
.LBB2137_72:
	;; [unrolled: 9-line block ×3, first 2 shown]
	s_or_b64 exec, exec, s[0:1]
	v_or_b32_e32 v18, 0x200, v0
	v_cmp_gt_u32_e32 vcc, s28, v18
	s_and_saveexec_b64 s[0:1], vcc
	s_cbranch_execz .LBB2137_76
; %bb.75:
	v_add_co_u32_e32 v18, vcc, 0x1000, v16
	v_addc_co_u32_e32 v19, vcc, 0, v17, vcc
	s_waitcnt lgkmcnt(0)
	flat_store_dwordx2 v[18:19], v[10:11]
.LBB2137_76:
	s_or_b64 exec, exec, s[0:1]
	v_or_b32_e32 v18, 0x280, v0
	v_cmp_gt_u32_e32 vcc, s28, v18
	s_and_saveexec_b64 s[0:1], vcc
	s_cbranch_execz .LBB2137_78
; %bb.77:
	v_add_co_u32_e32 v18, vcc, 0x1000, v16
	v_addc_co_u32_e32 v19, vcc, 0, v17, vcc
	s_waitcnt lgkmcnt(0)
	flat_store_dwordx2 v[18:19], v[12:13] offset:1024
.LBB2137_78:
	s_or_b64 exec, exec, s[0:1]
	v_or_b32_e32 v18, 0x300, v0
	v_cmp_gt_u32_e32 vcc, s28, v18
	s_and_saveexec_b64 s[0:1], vcc
	s_cbranch_execz .LBB2137_80
; %bb.79:
	v_add_co_u32_e32 v16, vcc, 0x1000, v16
	v_addc_co_u32_e32 v17, vcc, 0, v17, vcc
	s_waitcnt lgkmcnt(0)
	flat_store_dwordx2 v[16:17], v[14:15] offset:2048
.LBB2137_80:
	s_or_b64 exec, exec, s[0:1]
	v_cmp_lt_u64_e64 s[0:1], s[10:11], 2
	s_and_b64 vcc, exec, s[0:1]
	s_cbranch_vccnz .LBB2137_104
; %bb.81:
	s_add_u32 s0, s28, -1
	s_addc_u32 s1, s29, -1
	s_add_u32 s2, 0, 0x92481000
	s_addc_u32 s3, 0, 0x64
	s_add_i32 s3, s3, 0x249248c0
	s_mul_hi_u32 s9, s2, -7
	s_sub_i32 s9, s9, s2
	s_mul_i32 s10, s3, -7
	s_mul_i32 s4, s2, -7
	s_add_i32 s9, s9, s10
	s_mul_hi_u32 s5, s3, s4
	s_mul_i32 s8, s3, s4
	s_mul_i32 s11, s2, s9
	s_mul_hi_u32 s4, s2, s4
	s_mul_hi_u32 s10, s2, s9
	s_add_u32 s4, s4, s11
	s_addc_u32 s10, 0, s10
	s_add_u32 s4, s4, s8
	s_mul_hi_u32 s11, s3, s9
	s_addc_u32 s4, s10, s5
	s_addc_u32 s5, s11, 0
	s_mul_i32 s8, s3, s9
	s_add_u32 s4, s4, s8
	v_mov_b32_e32 v16, s4
	s_addc_u32 s5, 0, s5
	v_add_co_u32_e32 v16, vcc, s2, v16
	s_cmp_lg_u64 vcc, 0
	s_addc_u32 s2, s3, s5
	v_readfirstlane_b32 s5, v16
	s_mul_i32 s4, s0, s2
	s_mul_hi_u32 s8, s0, s5
	s_mul_hi_u32 s3, s0, s2
	s_add_u32 s4, s8, s4
	s_addc_u32 s3, 0, s3
	s_mul_hi_u32 s9, s1, s5
	s_mul_i32 s5, s1, s5
	s_add_u32 s4, s4, s5
	s_mul_hi_u32 s8, s1, s2
	s_addc_u32 s3, s3, s9
	s_addc_u32 s4, s8, 0
	s_mul_i32 s2, s1, s2
	s_add_u32 s2, s3, s2
	s_addc_u32 s3, 0, s4
	s_add_u32 s4, s2, 1
	s_addc_u32 s5, s3, 0
	s_add_u32 s8, s2, 2
	s_mul_i32 s10, s3, 7
	s_mul_hi_u32 s11, s2, 7
	s_addc_u32 s9, s3, 0
	s_add_i32 s11, s11, s10
	s_mul_i32 s10, s2, 7
	v_mov_b32_e32 v16, s10
	v_sub_co_u32_e32 v16, vcc, s0, v16
	s_cmp_lg_u64 vcc, 0
	s_subb_u32 s10, s1, s11
	v_subrev_co_u32_e32 v17, vcc, 7, v16
	s_cmp_lg_u64 vcc, 0
	s_subb_u32 s11, s10, 0
	v_readfirstlane_b32 s12, v17
	s_cmp_gt_u32 s12, 6
	s_cselect_b32 s12, -1, 0
	s_cmp_eq_u32 s11, 0
	s_cselect_b32 s11, s12, -1
	s_cmp_lg_u32 s11, 0
	s_cselect_b32 s4, s8, s4
	v_readfirstlane_b32 s8, v16
	s_cselect_b32 s5, s9, s5
	s_cmp_gt_u32 s8, 6
	s_cselect_b32 s8, -1, 0
	s_cmp_eq_u32 s10, 0
	s_cselect_b32 s8, s8, -1
	s_cmp_lg_u32 s8, 0
	s_cselect_b32 s3, s5, s3
	s_cselect_b32 s2, s4, s2
	v_cmp_eq_u64_e32 vcc, s[2:3], v[0:1]
	s_and_saveexec_b64 s[2:3], vcc
	s_cbranch_execz .LBB2137_104
; %bb.82:
	v_mul_hi_u32_u24_e32 v1, 7, v0
	v_mov_b32_e32 v16, s1
	v_sub_co_u32_e32 v0, vcc, s0, v37
	v_subb_co_u32_e32 v1, vcc, v16, v1, vcc
	v_cmp_lt_i64_e32 vcc, 3, v[0:1]
	s_and_saveexec_b64 s[0:1], vcc
	s_xor_b64 s[0:1], exec, s[0:1]
	s_cbranch_execz .LBB2137_92
; %bb.83:
	v_cmp_lt_i64_e32 vcc, 4, v[0:1]
	s_and_saveexec_b64 s[2:3], vcc
	s_xor_b64 s[2:3], exec, s[2:3]
	s_cbranch_execz .LBB2137_89
; %bb.84:
	;; [unrolled: 5-line block ×3, first 2 shown]
	v_mov_b32_e32 v0, 0
	s_waitcnt lgkmcnt(0)
	global_store_dwordx2 v0, v[14:15], s[6:7]
                                        ; implicit-def: $vgpr10_vgpr11_vgpr12_vgpr13
.LBB2137_86:
	s_andn2_saveexec_b64 s[4:5], s[4:5]
	s_cbranch_execz .LBB2137_88
; %bb.87:
	v_mov_b32_e32 v0, 0
	s_waitcnt lgkmcnt(0)
	global_store_dwordx2 v0, v[12:13], s[6:7]
.LBB2137_88:
	s_or_b64 exec, exec, s[4:5]
                                        ; implicit-def: $vgpr10_vgpr11_vgpr12_vgpr13
.LBB2137_89:
	s_andn2_saveexec_b64 s[2:3], s[2:3]
	s_cbranch_execz .LBB2137_91
; %bb.90:
	v_mov_b32_e32 v0, 0
	s_waitcnt lgkmcnt(0)
	global_store_dwordx2 v0, v[10:11], s[6:7]
.LBB2137_91:
	s_or_b64 exec, exec, s[2:3]
                                        ; implicit-def: $vgpr0_vgpr1
                                        ; implicit-def: $vgpr2_vgpr3_vgpr4_vgpr5
                                        ; implicit-def: $vgpr6_vgpr7_vgpr8_vgpr9
.LBB2137_92:
	s_andn2_saveexec_b64 s[0:1], s[0:1]
	s_cbranch_execz .LBB2137_104
; %bb.93:
	v_cmp_lt_i64_e32 vcc, 1, v[0:1]
	s_and_saveexec_b64 s[0:1], vcc
	s_xor_b64 s[0:1], exec, s[0:1]
	s_cbranch_execz .LBB2137_99
; %bb.94:
	v_cmp_lt_i64_e32 vcc, 2, v[0:1]
	s_and_saveexec_b64 s[2:3], vcc
	s_xor_b64 s[2:3], exec, s[2:3]
	s_cbranch_execz .LBB2137_96
; %bb.95:
	v_mov_b32_e32 v0, 0
	s_waitcnt lgkmcnt(0)
	global_store_dwordx2 v0, v[8:9], s[6:7]
                                        ; implicit-def: $vgpr6_vgpr7_vgpr8_vgpr9
.LBB2137_96:
	s_andn2_saveexec_b64 s[2:3], s[2:3]
	s_cbranch_execz .LBB2137_98
; %bb.97:
	v_mov_b32_e32 v0, 0
	s_waitcnt lgkmcnt(0)
	global_store_dwordx2 v0, v[6:7], s[6:7]
.LBB2137_98:
	s_or_b64 exec, exec, s[2:3]
                                        ; implicit-def: $vgpr2_vgpr3_vgpr4_vgpr5
                                        ; implicit-def: $vgpr0_vgpr1
.LBB2137_99:
	s_andn2_saveexec_b64 s[0:1], s[0:1]
	s_cbranch_execz .LBB2137_104
; %bb.100:
	v_cmp_ne_u64_e32 vcc, 1, v[0:1]
	s_and_saveexec_b64 s[0:1], vcc
	s_xor_b64 s[0:1], exec, s[0:1]
	s_cbranch_execz .LBB2137_102
; %bb.101:
	v_mov_b32_e32 v0, 0
	s_waitcnt lgkmcnt(0)
	global_store_dwordx2 v0, v[2:3], s[6:7]
                                        ; implicit-def: $vgpr2_vgpr3_vgpr4_vgpr5
.LBB2137_102:
	s_andn2_saveexec_b64 s[0:1], s[0:1]
	s_cbranch_execz .LBB2137_104
; %bb.103:
	v_mov_b32_e32 v0, 0
	s_waitcnt lgkmcnt(0)
	global_store_dwordx2 v0, v[4:5], s[6:7]
.LBB2137_104:
	s_endpgm
	.section	.rodata,"a",@progbits
	.p2align	6, 0x0
	.amdhsa_kernel _ZN7rocprim17ROCPRIM_400000_NS6detail17trampoline_kernelINS0_14default_configENS1_20scan_config_selectorIyEEZZNS1_9scan_implILNS1_25lookback_scan_determinismE0ELb0ELb0ES3_N6thrust23THRUST_200600_302600_NS6detail15normal_iteratorINS9_10device_ptrIyEEEESE_y11max_functorIyEyEEDaPvRmT3_T4_T5_mT6_P12ihipStream_tbENKUlT_T0_E_clISt17integral_constantIbLb1EEST_IbLb0EEEEDaSP_SQ_EUlSP_E_NS1_11comp_targetILNS1_3genE4ELNS1_11target_archE910ELNS1_3gpuE8ELNS1_3repE0EEENS1_30default_config_static_selectorELNS0_4arch9wavefront6targetE1EEEvT1_
		.amdhsa_group_segment_fixed_size 7168
		.amdhsa_private_segment_fixed_size 0
		.amdhsa_kernarg_size 104
		.amdhsa_user_sgpr_count 6
		.amdhsa_user_sgpr_private_segment_buffer 1
		.amdhsa_user_sgpr_dispatch_ptr 0
		.amdhsa_user_sgpr_queue_ptr 0
		.amdhsa_user_sgpr_kernarg_segment_ptr 1
		.amdhsa_user_sgpr_dispatch_id 0
		.amdhsa_user_sgpr_flat_scratch_init 0
		.amdhsa_user_sgpr_kernarg_preload_length 0
		.amdhsa_user_sgpr_kernarg_preload_offset 0
		.amdhsa_user_sgpr_private_segment_size 0
		.amdhsa_uses_dynamic_stack 0
		.amdhsa_system_sgpr_private_segment_wavefront_offset 0
		.amdhsa_system_sgpr_workgroup_id_x 1
		.amdhsa_system_sgpr_workgroup_id_y 0
		.amdhsa_system_sgpr_workgroup_id_z 0
		.amdhsa_system_sgpr_workgroup_info 0
		.amdhsa_system_vgpr_workitem_id 0
		.amdhsa_next_free_vgpr 58
		.amdhsa_next_free_sgpr 30
		.amdhsa_accum_offset 60
		.amdhsa_reserve_vcc 1
		.amdhsa_reserve_flat_scratch 0
		.amdhsa_float_round_mode_32 0
		.amdhsa_float_round_mode_16_64 0
		.amdhsa_float_denorm_mode_32 3
		.amdhsa_float_denorm_mode_16_64 3
		.amdhsa_dx10_clamp 1
		.amdhsa_ieee_mode 1
		.amdhsa_fp16_overflow 0
		.amdhsa_tg_split 0
		.amdhsa_exception_fp_ieee_invalid_op 0
		.amdhsa_exception_fp_denorm_src 0
		.amdhsa_exception_fp_ieee_div_zero 0
		.amdhsa_exception_fp_ieee_overflow 0
		.amdhsa_exception_fp_ieee_underflow 0
		.amdhsa_exception_fp_ieee_inexact 0
		.amdhsa_exception_int_div_zero 0
	.end_amdhsa_kernel
	.section	.text._ZN7rocprim17ROCPRIM_400000_NS6detail17trampoline_kernelINS0_14default_configENS1_20scan_config_selectorIyEEZZNS1_9scan_implILNS1_25lookback_scan_determinismE0ELb0ELb0ES3_N6thrust23THRUST_200600_302600_NS6detail15normal_iteratorINS9_10device_ptrIyEEEESE_y11max_functorIyEyEEDaPvRmT3_T4_T5_mT6_P12ihipStream_tbENKUlT_T0_E_clISt17integral_constantIbLb1EEST_IbLb0EEEEDaSP_SQ_EUlSP_E_NS1_11comp_targetILNS1_3genE4ELNS1_11target_archE910ELNS1_3gpuE8ELNS1_3repE0EEENS1_30default_config_static_selectorELNS0_4arch9wavefront6targetE1EEEvT1_,"axG",@progbits,_ZN7rocprim17ROCPRIM_400000_NS6detail17trampoline_kernelINS0_14default_configENS1_20scan_config_selectorIyEEZZNS1_9scan_implILNS1_25lookback_scan_determinismE0ELb0ELb0ES3_N6thrust23THRUST_200600_302600_NS6detail15normal_iteratorINS9_10device_ptrIyEEEESE_y11max_functorIyEyEEDaPvRmT3_T4_T5_mT6_P12ihipStream_tbENKUlT_T0_E_clISt17integral_constantIbLb1EEST_IbLb0EEEEDaSP_SQ_EUlSP_E_NS1_11comp_targetILNS1_3genE4ELNS1_11target_archE910ELNS1_3gpuE8ELNS1_3repE0EEENS1_30default_config_static_selectorELNS0_4arch9wavefront6targetE1EEEvT1_,comdat
.Lfunc_end2137:
	.size	_ZN7rocprim17ROCPRIM_400000_NS6detail17trampoline_kernelINS0_14default_configENS1_20scan_config_selectorIyEEZZNS1_9scan_implILNS1_25lookback_scan_determinismE0ELb0ELb0ES3_N6thrust23THRUST_200600_302600_NS6detail15normal_iteratorINS9_10device_ptrIyEEEESE_y11max_functorIyEyEEDaPvRmT3_T4_T5_mT6_P12ihipStream_tbENKUlT_T0_E_clISt17integral_constantIbLb1EEST_IbLb0EEEEDaSP_SQ_EUlSP_E_NS1_11comp_targetILNS1_3genE4ELNS1_11target_archE910ELNS1_3gpuE8ELNS1_3repE0EEENS1_30default_config_static_selectorELNS0_4arch9wavefront6targetE1EEEvT1_, .Lfunc_end2137-_ZN7rocprim17ROCPRIM_400000_NS6detail17trampoline_kernelINS0_14default_configENS1_20scan_config_selectorIyEEZZNS1_9scan_implILNS1_25lookback_scan_determinismE0ELb0ELb0ES3_N6thrust23THRUST_200600_302600_NS6detail15normal_iteratorINS9_10device_ptrIyEEEESE_y11max_functorIyEyEEDaPvRmT3_T4_T5_mT6_P12ihipStream_tbENKUlT_T0_E_clISt17integral_constantIbLb1EEST_IbLb0EEEEDaSP_SQ_EUlSP_E_NS1_11comp_targetILNS1_3genE4ELNS1_11target_archE910ELNS1_3gpuE8ELNS1_3repE0EEENS1_30default_config_static_selectorELNS0_4arch9wavefront6targetE1EEEvT1_
                                        ; -- End function
	.section	.AMDGPU.csdata,"",@progbits
; Kernel info:
; codeLenInByte = 6120
; NumSgprs: 34
; NumVgprs: 58
; NumAgprs: 0
; TotalNumVgprs: 58
; ScratchSize: 0
; MemoryBound: 0
; FloatMode: 240
; IeeeMode: 1
; LDSByteSize: 7168 bytes/workgroup (compile time only)
; SGPRBlocks: 4
; VGPRBlocks: 7
; NumSGPRsForWavesPerEU: 34
; NumVGPRsForWavesPerEU: 58
; AccumOffset: 60
; Occupancy: 5
; WaveLimiterHint : 1
; COMPUTE_PGM_RSRC2:SCRATCH_EN: 0
; COMPUTE_PGM_RSRC2:USER_SGPR: 6
; COMPUTE_PGM_RSRC2:TRAP_HANDLER: 0
; COMPUTE_PGM_RSRC2:TGID_X_EN: 1
; COMPUTE_PGM_RSRC2:TGID_Y_EN: 0
; COMPUTE_PGM_RSRC2:TGID_Z_EN: 0
; COMPUTE_PGM_RSRC2:TIDIG_COMP_CNT: 0
; COMPUTE_PGM_RSRC3_GFX90A:ACCUM_OFFSET: 14
; COMPUTE_PGM_RSRC3_GFX90A:TG_SPLIT: 0
	.section	.text._ZN7rocprim17ROCPRIM_400000_NS6detail17trampoline_kernelINS0_14default_configENS1_20scan_config_selectorIyEEZZNS1_9scan_implILNS1_25lookback_scan_determinismE0ELb0ELb0ES3_N6thrust23THRUST_200600_302600_NS6detail15normal_iteratorINS9_10device_ptrIyEEEESE_y11max_functorIyEyEEDaPvRmT3_T4_T5_mT6_P12ihipStream_tbENKUlT_T0_E_clISt17integral_constantIbLb1EEST_IbLb0EEEEDaSP_SQ_EUlSP_E_NS1_11comp_targetILNS1_3genE3ELNS1_11target_archE908ELNS1_3gpuE7ELNS1_3repE0EEENS1_30default_config_static_selectorELNS0_4arch9wavefront6targetE1EEEvT1_,"axG",@progbits,_ZN7rocprim17ROCPRIM_400000_NS6detail17trampoline_kernelINS0_14default_configENS1_20scan_config_selectorIyEEZZNS1_9scan_implILNS1_25lookback_scan_determinismE0ELb0ELb0ES3_N6thrust23THRUST_200600_302600_NS6detail15normal_iteratorINS9_10device_ptrIyEEEESE_y11max_functorIyEyEEDaPvRmT3_T4_T5_mT6_P12ihipStream_tbENKUlT_T0_E_clISt17integral_constantIbLb1EEST_IbLb0EEEEDaSP_SQ_EUlSP_E_NS1_11comp_targetILNS1_3genE3ELNS1_11target_archE908ELNS1_3gpuE7ELNS1_3repE0EEENS1_30default_config_static_selectorELNS0_4arch9wavefront6targetE1EEEvT1_,comdat
	.protected	_ZN7rocprim17ROCPRIM_400000_NS6detail17trampoline_kernelINS0_14default_configENS1_20scan_config_selectorIyEEZZNS1_9scan_implILNS1_25lookback_scan_determinismE0ELb0ELb0ES3_N6thrust23THRUST_200600_302600_NS6detail15normal_iteratorINS9_10device_ptrIyEEEESE_y11max_functorIyEyEEDaPvRmT3_T4_T5_mT6_P12ihipStream_tbENKUlT_T0_E_clISt17integral_constantIbLb1EEST_IbLb0EEEEDaSP_SQ_EUlSP_E_NS1_11comp_targetILNS1_3genE3ELNS1_11target_archE908ELNS1_3gpuE7ELNS1_3repE0EEENS1_30default_config_static_selectorELNS0_4arch9wavefront6targetE1EEEvT1_ ; -- Begin function _ZN7rocprim17ROCPRIM_400000_NS6detail17trampoline_kernelINS0_14default_configENS1_20scan_config_selectorIyEEZZNS1_9scan_implILNS1_25lookback_scan_determinismE0ELb0ELb0ES3_N6thrust23THRUST_200600_302600_NS6detail15normal_iteratorINS9_10device_ptrIyEEEESE_y11max_functorIyEyEEDaPvRmT3_T4_T5_mT6_P12ihipStream_tbENKUlT_T0_E_clISt17integral_constantIbLb1EEST_IbLb0EEEEDaSP_SQ_EUlSP_E_NS1_11comp_targetILNS1_3genE3ELNS1_11target_archE908ELNS1_3gpuE7ELNS1_3repE0EEENS1_30default_config_static_selectorELNS0_4arch9wavefront6targetE1EEEvT1_
	.globl	_ZN7rocprim17ROCPRIM_400000_NS6detail17trampoline_kernelINS0_14default_configENS1_20scan_config_selectorIyEEZZNS1_9scan_implILNS1_25lookback_scan_determinismE0ELb0ELb0ES3_N6thrust23THRUST_200600_302600_NS6detail15normal_iteratorINS9_10device_ptrIyEEEESE_y11max_functorIyEyEEDaPvRmT3_T4_T5_mT6_P12ihipStream_tbENKUlT_T0_E_clISt17integral_constantIbLb1EEST_IbLb0EEEEDaSP_SQ_EUlSP_E_NS1_11comp_targetILNS1_3genE3ELNS1_11target_archE908ELNS1_3gpuE7ELNS1_3repE0EEENS1_30default_config_static_selectorELNS0_4arch9wavefront6targetE1EEEvT1_
	.p2align	8
	.type	_ZN7rocprim17ROCPRIM_400000_NS6detail17trampoline_kernelINS0_14default_configENS1_20scan_config_selectorIyEEZZNS1_9scan_implILNS1_25lookback_scan_determinismE0ELb0ELb0ES3_N6thrust23THRUST_200600_302600_NS6detail15normal_iteratorINS9_10device_ptrIyEEEESE_y11max_functorIyEyEEDaPvRmT3_T4_T5_mT6_P12ihipStream_tbENKUlT_T0_E_clISt17integral_constantIbLb1EEST_IbLb0EEEEDaSP_SQ_EUlSP_E_NS1_11comp_targetILNS1_3genE3ELNS1_11target_archE908ELNS1_3gpuE7ELNS1_3repE0EEENS1_30default_config_static_selectorELNS0_4arch9wavefront6targetE1EEEvT1_,@function
_ZN7rocprim17ROCPRIM_400000_NS6detail17trampoline_kernelINS0_14default_configENS1_20scan_config_selectorIyEEZZNS1_9scan_implILNS1_25lookback_scan_determinismE0ELb0ELb0ES3_N6thrust23THRUST_200600_302600_NS6detail15normal_iteratorINS9_10device_ptrIyEEEESE_y11max_functorIyEyEEDaPvRmT3_T4_T5_mT6_P12ihipStream_tbENKUlT_T0_E_clISt17integral_constantIbLb1EEST_IbLb0EEEEDaSP_SQ_EUlSP_E_NS1_11comp_targetILNS1_3genE3ELNS1_11target_archE908ELNS1_3gpuE7ELNS1_3repE0EEENS1_30default_config_static_selectorELNS0_4arch9wavefront6targetE1EEEvT1_: ; @_ZN7rocprim17ROCPRIM_400000_NS6detail17trampoline_kernelINS0_14default_configENS1_20scan_config_selectorIyEEZZNS1_9scan_implILNS1_25lookback_scan_determinismE0ELb0ELb0ES3_N6thrust23THRUST_200600_302600_NS6detail15normal_iteratorINS9_10device_ptrIyEEEESE_y11max_functorIyEyEEDaPvRmT3_T4_T5_mT6_P12ihipStream_tbENKUlT_T0_E_clISt17integral_constantIbLb1EEST_IbLb0EEEEDaSP_SQ_EUlSP_E_NS1_11comp_targetILNS1_3genE3ELNS1_11target_archE908ELNS1_3gpuE7ELNS1_3repE0EEENS1_30default_config_static_selectorELNS0_4arch9wavefront6targetE1EEEvT1_
; %bb.0:
	.section	.rodata,"a",@progbits
	.p2align	6, 0x0
	.amdhsa_kernel _ZN7rocprim17ROCPRIM_400000_NS6detail17trampoline_kernelINS0_14default_configENS1_20scan_config_selectorIyEEZZNS1_9scan_implILNS1_25lookback_scan_determinismE0ELb0ELb0ES3_N6thrust23THRUST_200600_302600_NS6detail15normal_iteratorINS9_10device_ptrIyEEEESE_y11max_functorIyEyEEDaPvRmT3_T4_T5_mT6_P12ihipStream_tbENKUlT_T0_E_clISt17integral_constantIbLb1EEST_IbLb0EEEEDaSP_SQ_EUlSP_E_NS1_11comp_targetILNS1_3genE3ELNS1_11target_archE908ELNS1_3gpuE7ELNS1_3repE0EEENS1_30default_config_static_selectorELNS0_4arch9wavefront6targetE1EEEvT1_
		.amdhsa_group_segment_fixed_size 0
		.amdhsa_private_segment_fixed_size 0
		.amdhsa_kernarg_size 104
		.amdhsa_user_sgpr_count 6
		.amdhsa_user_sgpr_private_segment_buffer 1
		.amdhsa_user_sgpr_dispatch_ptr 0
		.amdhsa_user_sgpr_queue_ptr 0
		.amdhsa_user_sgpr_kernarg_segment_ptr 1
		.amdhsa_user_sgpr_dispatch_id 0
		.amdhsa_user_sgpr_flat_scratch_init 0
		.amdhsa_user_sgpr_kernarg_preload_length 0
		.amdhsa_user_sgpr_kernarg_preload_offset 0
		.amdhsa_user_sgpr_private_segment_size 0
		.amdhsa_uses_dynamic_stack 0
		.amdhsa_system_sgpr_private_segment_wavefront_offset 0
		.amdhsa_system_sgpr_workgroup_id_x 1
		.amdhsa_system_sgpr_workgroup_id_y 0
		.amdhsa_system_sgpr_workgroup_id_z 0
		.amdhsa_system_sgpr_workgroup_info 0
		.amdhsa_system_vgpr_workitem_id 0
		.amdhsa_next_free_vgpr 1
		.amdhsa_next_free_sgpr 0
		.amdhsa_accum_offset 4
		.amdhsa_reserve_vcc 0
		.amdhsa_reserve_flat_scratch 0
		.amdhsa_float_round_mode_32 0
		.amdhsa_float_round_mode_16_64 0
		.amdhsa_float_denorm_mode_32 3
		.amdhsa_float_denorm_mode_16_64 3
		.amdhsa_dx10_clamp 1
		.amdhsa_ieee_mode 1
		.amdhsa_fp16_overflow 0
		.amdhsa_tg_split 0
		.amdhsa_exception_fp_ieee_invalid_op 0
		.amdhsa_exception_fp_denorm_src 0
		.amdhsa_exception_fp_ieee_div_zero 0
		.amdhsa_exception_fp_ieee_overflow 0
		.amdhsa_exception_fp_ieee_underflow 0
		.amdhsa_exception_fp_ieee_inexact 0
		.amdhsa_exception_int_div_zero 0
	.end_amdhsa_kernel
	.section	.text._ZN7rocprim17ROCPRIM_400000_NS6detail17trampoline_kernelINS0_14default_configENS1_20scan_config_selectorIyEEZZNS1_9scan_implILNS1_25lookback_scan_determinismE0ELb0ELb0ES3_N6thrust23THRUST_200600_302600_NS6detail15normal_iteratorINS9_10device_ptrIyEEEESE_y11max_functorIyEyEEDaPvRmT3_T4_T5_mT6_P12ihipStream_tbENKUlT_T0_E_clISt17integral_constantIbLb1EEST_IbLb0EEEEDaSP_SQ_EUlSP_E_NS1_11comp_targetILNS1_3genE3ELNS1_11target_archE908ELNS1_3gpuE7ELNS1_3repE0EEENS1_30default_config_static_selectorELNS0_4arch9wavefront6targetE1EEEvT1_,"axG",@progbits,_ZN7rocprim17ROCPRIM_400000_NS6detail17trampoline_kernelINS0_14default_configENS1_20scan_config_selectorIyEEZZNS1_9scan_implILNS1_25lookback_scan_determinismE0ELb0ELb0ES3_N6thrust23THRUST_200600_302600_NS6detail15normal_iteratorINS9_10device_ptrIyEEEESE_y11max_functorIyEyEEDaPvRmT3_T4_T5_mT6_P12ihipStream_tbENKUlT_T0_E_clISt17integral_constantIbLb1EEST_IbLb0EEEEDaSP_SQ_EUlSP_E_NS1_11comp_targetILNS1_3genE3ELNS1_11target_archE908ELNS1_3gpuE7ELNS1_3repE0EEENS1_30default_config_static_selectorELNS0_4arch9wavefront6targetE1EEEvT1_,comdat
.Lfunc_end2138:
	.size	_ZN7rocprim17ROCPRIM_400000_NS6detail17trampoline_kernelINS0_14default_configENS1_20scan_config_selectorIyEEZZNS1_9scan_implILNS1_25lookback_scan_determinismE0ELb0ELb0ES3_N6thrust23THRUST_200600_302600_NS6detail15normal_iteratorINS9_10device_ptrIyEEEESE_y11max_functorIyEyEEDaPvRmT3_T4_T5_mT6_P12ihipStream_tbENKUlT_T0_E_clISt17integral_constantIbLb1EEST_IbLb0EEEEDaSP_SQ_EUlSP_E_NS1_11comp_targetILNS1_3genE3ELNS1_11target_archE908ELNS1_3gpuE7ELNS1_3repE0EEENS1_30default_config_static_selectorELNS0_4arch9wavefront6targetE1EEEvT1_, .Lfunc_end2138-_ZN7rocprim17ROCPRIM_400000_NS6detail17trampoline_kernelINS0_14default_configENS1_20scan_config_selectorIyEEZZNS1_9scan_implILNS1_25lookback_scan_determinismE0ELb0ELb0ES3_N6thrust23THRUST_200600_302600_NS6detail15normal_iteratorINS9_10device_ptrIyEEEESE_y11max_functorIyEyEEDaPvRmT3_T4_T5_mT6_P12ihipStream_tbENKUlT_T0_E_clISt17integral_constantIbLb1EEST_IbLb0EEEEDaSP_SQ_EUlSP_E_NS1_11comp_targetILNS1_3genE3ELNS1_11target_archE908ELNS1_3gpuE7ELNS1_3repE0EEENS1_30default_config_static_selectorELNS0_4arch9wavefront6targetE1EEEvT1_
                                        ; -- End function
	.section	.AMDGPU.csdata,"",@progbits
; Kernel info:
; codeLenInByte = 0
; NumSgprs: 4
; NumVgprs: 0
; NumAgprs: 0
; TotalNumVgprs: 0
; ScratchSize: 0
; MemoryBound: 0
; FloatMode: 240
; IeeeMode: 1
; LDSByteSize: 0 bytes/workgroup (compile time only)
; SGPRBlocks: 0
; VGPRBlocks: 0
; NumSGPRsForWavesPerEU: 4
; NumVGPRsForWavesPerEU: 1
; AccumOffset: 4
; Occupancy: 8
; WaveLimiterHint : 0
; COMPUTE_PGM_RSRC2:SCRATCH_EN: 0
; COMPUTE_PGM_RSRC2:USER_SGPR: 6
; COMPUTE_PGM_RSRC2:TRAP_HANDLER: 0
; COMPUTE_PGM_RSRC2:TGID_X_EN: 1
; COMPUTE_PGM_RSRC2:TGID_Y_EN: 0
; COMPUTE_PGM_RSRC2:TGID_Z_EN: 0
; COMPUTE_PGM_RSRC2:TIDIG_COMP_CNT: 0
; COMPUTE_PGM_RSRC3_GFX90A:ACCUM_OFFSET: 0
; COMPUTE_PGM_RSRC3_GFX90A:TG_SPLIT: 0
	.section	.text._ZN7rocprim17ROCPRIM_400000_NS6detail17trampoline_kernelINS0_14default_configENS1_20scan_config_selectorIyEEZZNS1_9scan_implILNS1_25lookback_scan_determinismE0ELb0ELb0ES3_N6thrust23THRUST_200600_302600_NS6detail15normal_iteratorINS9_10device_ptrIyEEEESE_y11max_functorIyEyEEDaPvRmT3_T4_T5_mT6_P12ihipStream_tbENKUlT_T0_E_clISt17integral_constantIbLb1EEST_IbLb0EEEEDaSP_SQ_EUlSP_E_NS1_11comp_targetILNS1_3genE2ELNS1_11target_archE906ELNS1_3gpuE6ELNS1_3repE0EEENS1_30default_config_static_selectorELNS0_4arch9wavefront6targetE1EEEvT1_,"axG",@progbits,_ZN7rocprim17ROCPRIM_400000_NS6detail17trampoline_kernelINS0_14default_configENS1_20scan_config_selectorIyEEZZNS1_9scan_implILNS1_25lookback_scan_determinismE0ELb0ELb0ES3_N6thrust23THRUST_200600_302600_NS6detail15normal_iteratorINS9_10device_ptrIyEEEESE_y11max_functorIyEyEEDaPvRmT3_T4_T5_mT6_P12ihipStream_tbENKUlT_T0_E_clISt17integral_constantIbLb1EEST_IbLb0EEEEDaSP_SQ_EUlSP_E_NS1_11comp_targetILNS1_3genE2ELNS1_11target_archE906ELNS1_3gpuE6ELNS1_3repE0EEENS1_30default_config_static_selectorELNS0_4arch9wavefront6targetE1EEEvT1_,comdat
	.protected	_ZN7rocprim17ROCPRIM_400000_NS6detail17trampoline_kernelINS0_14default_configENS1_20scan_config_selectorIyEEZZNS1_9scan_implILNS1_25lookback_scan_determinismE0ELb0ELb0ES3_N6thrust23THRUST_200600_302600_NS6detail15normal_iteratorINS9_10device_ptrIyEEEESE_y11max_functorIyEyEEDaPvRmT3_T4_T5_mT6_P12ihipStream_tbENKUlT_T0_E_clISt17integral_constantIbLb1EEST_IbLb0EEEEDaSP_SQ_EUlSP_E_NS1_11comp_targetILNS1_3genE2ELNS1_11target_archE906ELNS1_3gpuE6ELNS1_3repE0EEENS1_30default_config_static_selectorELNS0_4arch9wavefront6targetE1EEEvT1_ ; -- Begin function _ZN7rocprim17ROCPRIM_400000_NS6detail17trampoline_kernelINS0_14default_configENS1_20scan_config_selectorIyEEZZNS1_9scan_implILNS1_25lookback_scan_determinismE0ELb0ELb0ES3_N6thrust23THRUST_200600_302600_NS6detail15normal_iteratorINS9_10device_ptrIyEEEESE_y11max_functorIyEyEEDaPvRmT3_T4_T5_mT6_P12ihipStream_tbENKUlT_T0_E_clISt17integral_constantIbLb1EEST_IbLb0EEEEDaSP_SQ_EUlSP_E_NS1_11comp_targetILNS1_3genE2ELNS1_11target_archE906ELNS1_3gpuE6ELNS1_3repE0EEENS1_30default_config_static_selectorELNS0_4arch9wavefront6targetE1EEEvT1_
	.globl	_ZN7rocprim17ROCPRIM_400000_NS6detail17trampoline_kernelINS0_14default_configENS1_20scan_config_selectorIyEEZZNS1_9scan_implILNS1_25lookback_scan_determinismE0ELb0ELb0ES3_N6thrust23THRUST_200600_302600_NS6detail15normal_iteratorINS9_10device_ptrIyEEEESE_y11max_functorIyEyEEDaPvRmT3_T4_T5_mT6_P12ihipStream_tbENKUlT_T0_E_clISt17integral_constantIbLb1EEST_IbLb0EEEEDaSP_SQ_EUlSP_E_NS1_11comp_targetILNS1_3genE2ELNS1_11target_archE906ELNS1_3gpuE6ELNS1_3repE0EEENS1_30default_config_static_selectorELNS0_4arch9wavefront6targetE1EEEvT1_
	.p2align	8
	.type	_ZN7rocprim17ROCPRIM_400000_NS6detail17trampoline_kernelINS0_14default_configENS1_20scan_config_selectorIyEEZZNS1_9scan_implILNS1_25lookback_scan_determinismE0ELb0ELb0ES3_N6thrust23THRUST_200600_302600_NS6detail15normal_iteratorINS9_10device_ptrIyEEEESE_y11max_functorIyEyEEDaPvRmT3_T4_T5_mT6_P12ihipStream_tbENKUlT_T0_E_clISt17integral_constantIbLb1EEST_IbLb0EEEEDaSP_SQ_EUlSP_E_NS1_11comp_targetILNS1_3genE2ELNS1_11target_archE906ELNS1_3gpuE6ELNS1_3repE0EEENS1_30default_config_static_selectorELNS0_4arch9wavefront6targetE1EEEvT1_,@function
_ZN7rocprim17ROCPRIM_400000_NS6detail17trampoline_kernelINS0_14default_configENS1_20scan_config_selectorIyEEZZNS1_9scan_implILNS1_25lookback_scan_determinismE0ELb0ELb0ES3_N6thrust23THRUST_200600_302600_NS6detail15normal_iteratorINS9_10device_ptrIyEEEESE_y11max_functorIyEyEEDaPvRmT3_T4_T5_mT6_P12ihipStream_tbENKUlT_T0_E_clISt17integral_constantIbLb1EEST_IbLb0EEEEDaSP_SQ_EUlSP_E_NS1_11comp_targetILNS1_3genE2ELNS1_11target_archE906ELNS1_3gpuE6ELNS1_3repE0EEENS1_30default_config_static_selectorELNS0_4arch9wavefront6targetE1EEEvT1_: ; @_ZN7rocprim17ROCPRIM_400000_NS6detail17trampoline_kernelINS0_14default_configENS1_20scan_config_selectorIyEEZZNS1_9scan_implILNS1_25lookback_scan_determinismE0ELb0ELb0ES3_N6thrust23THRUST_200600_302600_NS6detail15normal_iteratorINS9_10device_ptrIyEEEESE_y11max_functorIyEyEEDaPvRmT3_T4_T5_mT6_P12ihipStream_tbENKUlT_T0_E_clISt17integral_constantIbLb1EEST_IbLb0EEEEDaSP_SQ_EUlSP_E_NS1_11comp_targetILNS1_3genE2ELNS1_11target_archE906ELNS1_3gpuE6ELNS1_3repE0EEENS1_30default_config_static_selectorELNS0_4arch9wavefront6targetE1EEEvT1_
; %bb.0:
	.section	.rodata,"a",@progbits
	.p2align	6, 0x0
	.amdhsa_kernel _ZN7rocprim17ROCPRIM_400000_NS6detail17trampoline_kernelINS0_14default_configENS1_20scan_config_selectorIyEEZZNS1_9scan_implILNS1_25lookback_scan_determinismE0ELb0ELb0ES3_N6thrust23THRUST_200600_302600_NS6detail15normal_iteratorINS9_10device_ptrIyEEEESE_y11max_functorIyEyEEDaPvRmT3_T4_T5_mT6_P12ihipStream_tbENKUlT_T0_E_clISt17integral_constantIbLb1EEST_IbLb0EEEEDaSP_SQ_EUlSP_E_NS1_11comp_targetILNS1_3genE2ELNS1_11target_archE906ELNS1_3gpuE6ELNS1_3repE0EEENS1_30default_config_static_selectorELNS0_4arch9wavefront6targetE1EEEvT1_
		.amdhsa_group_segment_fixed_size 0
		.amdhsa_private_segment_fixed_size 0
		.amdhsa_kernarg_size 104
		.amdhsa_user_sgpr_count 6
		.amdhsa_user_sgpr_private_segment_buffer 1
		.amdhsa_user_sgpr_dispatch_ptr 0
		.amdhsa_user_sgpr_queue_ptr 0
		.amdhsa_user_sgpr_kernarg_segment_ptr 1
		.amdhsa_user_sgpr_dispatch_id 0
		.amdhsa_user_sgpr_flat_scratch_init 0
		.amdhsa_user_sgpr_kernarg_preload_length 0
		.amdhsa_user_sgpr_kernarg_preload_offset 0
		.amdhsa_user_sgpr_private_segment_size 0
		.amdhsa_uses_dynamic_stack 0
		.amdhsa_system_sgpr_private_segment_wavefront_offset 0
		.amdhsa_system_sgpr_workgroup_id_x 1
		.amdhsa_system_sgpr_workgroup_id_y 0
		.amdhsa_system_sgpr_workgroup_id_z 0
		.amdhsa_system_sgpr_workgroup_info 0
		.amdhsa_system_vgpr_workitem_id 0
		.amdhsa_next_free_vgpr 1
		.amdhsa_next_free_sgpr 0
		.amdhsa_accum_offset 4
		.amdhsa_reserve_vcc 0
		.amdhsa_reserve_flat_scratch 0
		.amdhsa_float_round_mode_32 0
		.amdhsa_float_round_mode_16_64 0
		.amdhsa_float_denorm_mode_32 3
		.amdhsa_float_denorm_mode_16_64 3
		.amdhsa_dx10_clamp 1
		.amdhsa_ieee_mode 1
		.amdhsa_fp16_overflow 0
		.amdhsa_tg_split 0
		.amdhsa_exception_fp_ieee_invalid_op 0
		.amdhsa_exception_fp_denorm_src 0
		.amdhsa_exception_fp_ieee_div_zero 0
		.amdhsa_exception_fp_ieee_overflow 0
		.amdhsa_exception_fp_ieee_underflow 0
		.amdhsa_exception_fp_ieee_inexact 0
		.amdhsa_exception_int_div_zero 0
	.end_amdhsa_kernel
	.section	.text._ZN7rocprim17ROCPRIM_400000_NS6detail17trampoline_kernelINS0_14default_configENS1_20scan_config_selectorIyEEZZNS1_9scan_implILNS1_25lookback_scan_determinismE0ELb0ELb0ES3_N6thrust23THRUST_200600_302600_NS6detail15normal_iteratorINS9_10device_ptrIyEEEESE_y11max_functorIyEyEEDaPvRmT3_T4_T5_mT6_P12ihipStream_tbENKUlT_T0_E_clISt17integral_constantIbLb1EEST_IbLb0EEEEDaSP_SQ_EUlSP_E_NS1_11comp_targetILNS1_3genE2ELNS1_11target_archE906ELNS1_3gpuE6ELNS1_3repE0EEENS1_30default_config_static_selectorELNS0_4arch9wavefront6targetE1EEEvT1_,"axG",@progbits,_ZN7rocprim17ROCPRIM_400000_NS6detail17trampoline_kernelINS0_14default_configENS1_20scan_config_selectorIyEEZZNS1_9scan_implILNS1_25lookback_scan_determinismE0ELb0ELb0ES3_N6thrust23THRUST_200600_302600_NS6detail15normal_iteratorINS9_10device_ptrIyEEEESE_y11max_functorIyEyEEDaPvRmT3_T4_T5_mT6_P12ihipStream_tbENKUlT_T0_E_clISt17integral_constantIbLb1EEST_IbLb0EEEEDaSP_SQ_EUlSP_E_NS1_11comp_targetILNS1_3genE2ELNS1_11target_archE906ELNS1_3gpuE6ELNS1_3repE0EEENS1_30default_config_static_selectorELNS0_4arch9wavefront6targetE1EEEvT1_,comdat
.Lfunc_end2139:
	.size	_ZN7rocprim17ROCPRIM_400000_NS6detail17trampoline_kernelINS0_14default_configENS1_20scan_config_selectorIyEEZZNS1_9scan_implILNS1_25lookback_scan_determinismE0ELb0ELb0ES3_N6thrust23THRUST_200600_302600_NS6detail15normal_iteratorINS9_10device_ptrIyEEEESE_y11max_functorIyEyEEDaPvRmT3_T4_T5_mT6_P12ihipStream_tbENKUlT_T0_E_clISt17integral_constantIbLb1EEST_IbLb0EEEEDaSP_SQ_EUlSP_E_NS1_11comp_targetILNS1_3genE2ELNS1_11target_archE906ELNS1_3gpuE6ELNS1_3repE0EEENS1_30default_config_static_selectorELNS0_4arch9wavefront6targetE1EEEvT1_, .Lfunc_end2139-_ZN7rocprim17ROCPRIM_400000_NS6detail17trampoline_kernelINS0_14default_configENS1_20scan_config_selectorIyEEZZNS1_9scan_implILNS1_25lookback_scan_determinismE0ELb0ELb0ES3_N6thrust23THRUST_200600_302600_NS6detail15normal_iteratorINS9_10device_ptrIyEEEESE_y11max_functorIyEyEEDaPvRmT3_T4_T5_mT6_P12ihipStream_tbENKUlT_T0_E_clISt17integral_constantIbLb1EEST_IbLb0EEEEDaSP_SQ_EUlSP_E_NS1_11comp_targetILNS1_3genE2ELNS1_11target_archE906ELNS1_3gpuE6ELNS1_3repE0EEENS1_30default_config_static_selectorELNS0_4arch9wavefront6targetE1EEEvT1_
                                        ; -- End function
	.section	.AMDGPU.csdata,"",@progbits
; Kernel info:
; codeLenInByte = 0
; NumSgprs: 4
; NumVgprs: 0
; NumAgprs: 0
; TotalNumVgprs: 0
; ScratchSize: 0
; MemoryBound: 0
; FloatMode: 240
; IeeeMode: 1
; LDSByteSize: 0 bytes/workgroup (compile time only)
; SGPRBlocks: 0
; VGPRBlocks: 0
; NumSGPRsForWavesPerEU: 4
; NumVGPRsForWavesPerEU: 1
; AccumOffset: 4
; Occupancy: 8
; WaveLimiterHint : 0
; COMPUTE_PGM_RSRC2:SCRATCH_EN: 0
; COMPUTE_PGM_RSRC2:USER_SGPR: 6
; COMPUTE_PGM_RSRC2:TRAP_HANDLER: 0
; COMPUTE_PGM_RSRC2:TGID_X_EN: 1
; COMPUTE_PGM_RSRC2:TGID_Y_EN: 0
; COMPUTE_PGM_RSRC2:TGID_Z_EN: 0
; COMPUTE_PGM_RSRC2:TIDIG_COMP_CNT: 0
; COMPUTE_PGM_RSRC3_GFX90A:ACCUM_OFFSET: 0
; COMPUTE_PGM_RSRC3_GFX90A:TG_SPLIT: 0
	.section	.text._ZN7rocprim17ROCPRIM_400000_NS6detail17trampoline_kernelINS0_14default_configENS1_20scan_config_selectorIyEEZZNS1_9scan_implILNS1_25lookback_scan_determinismE0ELb0ELb0ES3_N6thrust23THRUST_200600_302600_NS6detail15normal_iteratorINS9_10device_ptrIyEEEESE_y11max_functorIyEyEEDaPvRmT3_T4_T5_mT6_P12ihipStream_tbENKUlT_T0_E_clISt17integral_constantIbLb1EEST_IbLb0EEEEDaSP_SQ_EUlSP_E_NS1_11comp_targetILNS1_3genE10ELNS1_11target_archE1201ELNS1_3gpuE5ELNS1_3repE0EEENS1_30default_config_static_selectorELNS0_4arch9wavefront6targetE1EEEvT1_,"axG",@progbits,_ZN7rocprim17ROCPRIM_400000_NS6detail17trampoline_kernelINS0_14default_configENS1_20scan_config_selectorIyEEZZNS1_9scan_implILNS1_25lookback_scan_determinismE0ELb0ELb0ES3_N6thrust23THRUST_200600_302600_NS6detail15normal_iteratorINS9_10device_ptrIyEEEESE_y11max_functorIyEyEEDaPvRmT3_T4_T5_mT6_P12ihipStream_tbENKUlT_T0_E_clISt17integral_constantIbLb1EEST_IbLb0EEEEDaSP_SQ_EUlSP_E_NS1_11comp_targetILNS1_3genE10ELNS1_11target_archE1201ELNS1_3gpuE5ELNS1_3repE0EEENS1_30default_config_static_selectorELNS0_4arch9wavefront6targetE1EEEvT1_,comdat
	.protected	_ZN7rocprim17ROCPRIM_400000_NS6detail17trampoline_kernelINS0_14default_configENS1_20scan_config_selectorIyEEZZNS1_9scan_implILNS1_25lookback_scan_determinismE0ELb0ELb0ES3_N6thrust23THRUST_200600_302600_NS6detail15normal_iteratorINS9_10device_ptrIyEEEESE_y11max_functorIyEyEEDaPvRmT3_T4_T5_mT6_P12ihipStream_tbENKUlT_T0_E_clISt17integral_constantIbLb1EEST_IbLb0EEEEDaSP_SQ_EUlSP_E_NS1_11comp_targetILNS1_3genE10ELNS1_11target_archE1201ELNS1_3gpuE5ELNS1_3repE0EEENS1_30default_config_static_selectorELNS0_4arch9wavefront6targetE1EEEvT1_ ; -- Begin function _ZN7rocprim17ROCPRIM_400000_NS6detail17trampoline_kernelINS0_14default_configENS1_20scan_config_selectorIyEEZZNS1_9scan_implILNS1_25lookback_scan_determinismE0ELb0ELb0ES3_N6thrust23THRUST_200600_302600_NS6detail15normal_iteratorINS9_10device_ptrIyEEEESE_y11max_functorIyEyEEDaPvRmT3_T4_T5_mT6_P12ihipStream_tbENKUlT_T0_E_clISt17integral_constantIbLb1EEST_IbLb0EEEEDaSP_SQ_EUlSP_E_NS1_11comp_targetILNS1_3genE10ELNS1_11target_archE1201ELNS1_3gpuE5ELNS1_3repE0EEENS1_30default_config_static_selectorELNS0_4arch9wavefront6targetE1EEEvT1_
	.globl	_ZN7rocprim17ROCPRIM_400000_NS6detail17trampoline_kernelINS0_14default_configENS1_20scan_config_selectorIyEEZZNS1_9scan_implILNS1_25lookback_scan_determinismE0ELb0ELb0ES3_N6thrust23THRUST_200600_302600_NS6detail15normal_iteratorINS9_10device_ptrIyEEEESE_y11max_functorIyEyEEDaPvRmT3_T4_T5_mT6_P12ihipStream_tbENKUlT_T0_E_clISt17integral_constantIbLb1EEST_IbLb0EEEEDaSP_SQ_EUlSP_E_NS1_11comp_targetILNS1_3genE10ELNS1_11target_archE1201ELNS1_3gpuE5ELNS1_3repE0EEENS1_30default_config_static_selectorELNS0_4arch9wavefront6targetE1EEEvT1_
	.p2align	8
	.type	_ZN7rocprim17ROCPRIM_400000_NS6detail17trampoline_kernelINS0_14default_configENS1_20scan_config_selectorIyEEZZNS1_9scan_implILNS1_25lookback_scan_determinismE0ELb0ELb0ES3_N6thrust23THRUST_200600_302600_NS6detail15normal_iteratorINS9_10device_ptrIyEEEESE_y11max_functorIyEyEEDaPvRmT3_T4_T5_mT6_P12ihipStream_tbENKUlT_T0_E_clISt17integral_constantIbLb1EEST_IbLb0EEEEDaSP_SQ_EUlSP_E_NS1_11comp_targetILNS1_3genE10ELNS1_11target_archE1201ELNS1_3gpuE5ELNS1_3repE0EEENS1_30default_config_static_selectorELNS0_4arch9wavefront6targetE1EEEvT1_,@function
_ZN7rocprim17ROCPRIM_400000_NS6detail17trampoline_kernelINS0_14default_configENS1_20scan_config_selectorIyEEZZNS1_9scan_implILNS1_25lookback_scan_determinismE0ELb0ELb0ES3_N6thrust23THRUST_200600_302600_NS6detail15normal_iteratorINS9_10device_ptrIyEEEESE_y11max_functorIyEyEEDaPvRmT3_T4_T5_mT6_P12ihipStream_tbENKUlT_T0_E_clISt17integral_constantIbLb1EEST_IbLb0EEEEDaSP_SQ_EUlSP_E_NS1_11comp_targetILNS1_3genE10ELNS1_11target_archE1201ELNS1_3gpuE5ELNS1_3repE0EEENS1_30default_config_static_selectorELNS0_4arch9wavefront6targetE1EEEvT1_: ; @_ZN7rocprim17ROCPRIM_400000_NS6detail17trampoline_kernelINS0_14default_configENS1_20scan_config_selectorIyEEZZNS1_9scan_implILNS1_25lookback_scan_determinismE0ELb0ELb0ES3_N6thrust23THRUST_200600_302600_NS6detail15normal_iteratorINS9_10device_ptrIyEEEESE_y11max_functorIyEyEEDaPvRmT3_T4_T5_mT6_P12ihipStream_tbENKUlT_T0_E_clISt17integral_constantIbLb1EEST_IbLb0EEEEDaSP_SQ_EUlSP_E_NS1_11comp_targetILNS1_3genE10ELNS1_11target_archE1201ELNS1_3gpuE5ELNS1_3repE0EEENS1_30default_config_static_selectorELNS0_4arch9wavefront6targetE1EEEvT1_
; %bb.0:
	.section	.rodata,"a",@progbits
	.p2align	6, 0x0
	.amdhsa_kernel _ZN7rocprim17ROCPRIM_400000_NS6detail17trampoline_kernelINS0_14default_configENS1_20scan_config_selectorIyEEZZNS1_9scan_implILNS1_25lookback_scan_determinismE0ELb0ELb0ES3_N6thrust23THRUST_200600_302600_NS6detail15normal_iteratorINS9_10device_ptrIyEEEESE_y11max_functorIyEyEEDaPvRmT3_T4_T5_mT6_P12ihipStream_tbENKUlT_T0_E_clISt17integral_constantIbLb1EEST_IbLb0EEEEDaSP_SQ_EUlSP_E_NS1_11comp_targetILNS1_3genE10ELNS1_11target_archE1201ELNS1_3gpuE5ELNS1_3repE0EEENS1_30default_config_static_selectorELNS0_4arch9wavefront6targetE1EEEvT1_
		.amdhsa_group_segment_fixed_size 0
		.amdhsa_private_segment_fixed_size 0
		.amdhsa_kernarg_size 104
		.amdhsa_user_sgpr_count 6
		.amdhsa_user_sgpr_private_segment_buffer 1
		.amdhsa_user_sgpr_dispatch_ptr 0
		.amdhsa_user_sgpr_queue_ptr 0
		.amdhsa_user_sgpr_kernarg_segment_ptr 1
		.amdhsa_user_sgpr_dispatch_id 0
		.amdhsa_user_sgpr_flat_scratch_init 0
		.amdhsa_user_sgpr_kernarg_preload_length 0
		.amdhsa_user_sgpr_kernarg_preload_offset 0
		.amdhsa_user_sgpr_private_segment_size 0
		.amdhsa_uses_dynamic_stack 0
		.amdhsa_system_sgpr_private_segment_wavefront_offset 0
		.amdhsa_system_sgpr_workgroup_id_x 1
		.amdhsa_system_sgpr_workgroup_id_y 0
		.amdhsa_system_sgpr_workgroup_id_z 0
		.amdhsa_system_sgpr_workgroup_info 0
		.amdhsa_system_vgpr_workitem_id 0
		.amdhsa_next_free_vgpr 1
		.amdhsa_next_free_sgpr 0
		.amdhsa_accum_offset 4
		.amdhsa_reserve_vcc 0
		.amdhsa_reserve_flat_scratch 0
		.amdhsa_float_round_mode_32 0
		.amdhsa_float_round_mode_16_64 0
		.amdhsa_float_denorm_mode_32 3
		.amdhsa_float_denorm_mode_16_64 3
		.amdhsa_dx10_clamp 1
		.amdhsa_ieee_mode 1
		.amdhsa_fp16_overflow 0
		.amdhsa_tg_split 0
		.amdhsa_exception_fp_ieee_invalid_op 0
		.amdhsa_exception_fp_denorm_src 0
		.amdhsa_exception_fp_ieee_div_zero 0
		.amdhsa_exception_fp_ieee_overflow 0
		.amdhsa_exception_fp_ieee_underflow 0
		.amdhsa_exception_fp_ieee_inexact 0
		.amdhsa_exception_int_div_zero 0
	.end_amdhsa_kernel
	.section	.text._ZN7rocprim17ROCPRIM_400000_NS6detail17trampoline_kernelINS0_14default_configENS1_20scan_config_selectorIyEEZZNS1_9scan_implILNS1_25lookback_scan_determinismE0ELb0ELb0ES3_N6thrust23THRUST_200600_302600_NS6detail15normal_iteratorINS9_10device_ptrIyEEEESE_y11max_functorIyEyEEDaPvRmT3_T4_T5_mT6_P12ihipStream_tbENKUlT_T0_E_clISt17integral_constantIbLb1EEST_IbLb0EEEEDaSP_SQ_EUlSP_E_NS1_11comp_targetILNS1_3genE10ELNS1_11target_archE1201ELNS1_3gpuE5ELNS1_3repE0EEENS1_30default_config_static_selectorELNS0_4arch9wavefront6targetE1EEEvT1_,"axG",@progbits,_ZN7rocprim17ROCPRIM_400000_NS6detail17trampoline_kernelINS0_14default_configENS1_20scan_config_selectorIyEEZZNS1_9scan_implILNS1_25lookback_scan_determinismE0ELb0ELb0ES3_N6thrust23THRUST_200600_302600_NS6detail15normal_iteratorINS9_10device_ptrIyEEEESE_y11max_functorIyEyEEDaPvRmT3_T4_T5_mT6_P12ihipStream_tbENKUlT_T0_E_clISt17integral_constantIbLb1EEST_IbLb0EEEEDaSP_SQ_EUlSP_E_NS1_11comp_targetILNS1_3genE10ELNS1_11target_archE1201ELNS1_3gpuE5ELNS1_3repE0EEENS1_30default_config_static_selectorELNS0_4arch9wavefront6targetE1EEEvT1_,comdat
.Lfunc_end2140:
	.size	_ZN7rocprim17ROCPRIM_400000_NS6detail17trampoline_kernelINS0_14default_configENS1_20scan_config_selectorIyEEZZNS1_9scan_implILNS1_25lookback_scan_determinismE0ELb0ELb0ES3_N6thrust23THRUST_200600_302600_NS6detail15normal_iteratorINS9_10device_ptrIyEEEESE_y11max_functorIyEyEEDaPvRmT3_T4_T5_mT6_P12ihipStream_tbENKUlT_T0_E_clISt17integral_constantIbLb1EEST_IbLb0EEEEDaSP_SQ_EUlSP_E_NS1_11comp_targetILNS1_3genE10ELNS1_11target_archE1201ELNS1_3gpuE5ELNS1_3repE0EEENS1_30default_config_static_selectorELNS0_4arch9wavefront6targetE1EEEvT1_, .Lfunc_end2140-_ZN7rocprim17ROCPRIM_400000_NS6detail17trampoline_kernelINS0_14default_configENS1_20scan_config_selectorIyEEZZNS1_9scan_implILNS1_25lookback_scan_determinismE0ELb0ELb0ES3_N6thrust23THRUST_200600_302600_NS6detail15normal_iteratorINS9_10device_ptrIyEEEESE_y11max_functorIyEyEEDaPvRmT3_T4_T5_mT6_P12ihipStream_tbENKUlT_T0_E_clISt17integral_constantIbLb1EEST_IbLb0EEEEDaSP_SQ_EUlSP_E_NS1_11comp_targetILNS1_3genE10ELNS1_11target_archE1201ELNS1_3gpuE5ELNS1_3repE0EEENS1_30default_config_static_selectorELNS0_4arch9wavefront6targetE1EEEvT1_
                                        ; -- End function
	.section	.AMDGPU.csdata,"",@progbits
; Kernel info:
; codeLenInByte = 0
; NumSgprs: 4
; NumVgprs: 0
; NumAgprs: 0
; TotalNumVgprs: 0
; ScratchSize: 0
; MemoryBound: 0
; FloatMode: 240
; IeeeMode: 1
; LDSByteSize: 0 bytes/workgroup (compile time only)
; SGPRBlocks: 0
; VGPRBlocks: 0
; NumSGPRsForWavesPerEU: 4
; NumVGPRsForWavesPerEU: 1
; AccumOffset: 4
; Occupancy: 8
; WaveLimiterHint : 0
; COMPUTE_PGM_RSRC2:SCRATCH_EN: 0
; COMPUTE_PGM_RSRC2:USER_SGPR: 6
; COMPUTE_PGM_RSRC2:TRAP_HANDLER: 0
; COMPUTE_PGM_RSRC2:TGID_X_EN: 1
; COMPUTE_PGM_RSRC2:TGID_Y_EN: 0
; COMPUTE_PGM_RSRC2:TGID_Z_EN: 0
; COMPUTE_PGM_RSRC2:TIDIG_COMP_CNT: 0
; COMPUTE_PGM_RSRC3_GFX90A:ACCUM_OFFSET: 0
; COMPUTE_PGM_RSRC3_GFX90A:TG_SPLIT: 0
	.section	.text._ZN7rocprim17ROCPRIM_400000_NS6detail17trampoline_kernelINS0_14default_configENS1_20scan_config_selectorIyEEZZNS1_9scan_implILNS1_25lookback_scan_determinismE0ELb0ELb0ES3_N6thrust23THRUST_200600_302600_NS6detail15normal_iteratorINS9_10device_ptrIyEEEESE_y11max_functorIyEyEEDaPvRmT3_T4_T5_mT6_P12ihipStream_tbENKUlT_T0_E_clISt17integral_constantIbLb1EEST_IbLb0EEEEDaSP_SQ_EUlSP_E_NS1_11comp_targetILNS1_3genE10ELNS1_11target_archE1200ELNS1_3gpuE4ELNS1_3repE0EEENS1_30default_config_static_selectorELNS0_4arch9wavefront6targetE1EEEvT1_,"axG",@progbits,_ZN7rocprim17ROCPRIM_400000_NS6detail17trampoline_kernelINS0_14default_configENS1_20scan_config_selectorIyEEZZNS1_9scan_implILNS1_25lookback_scan_determinismE0ELb0ELb0ES3_N6thrust23THRUST_200600_302600_NS6detail15normal_iteratorINS9_10device_ptrIyEEEESE_y11max_functorIyEyEEDaPvRmT3_T4_T5_mT6_P12ihipStream_tbENKUlT_T0_E_clISt17integral_constantIbLb1EEST_IbLb0EEEEDaSP_SQ_EUlSP_E_NS1_11comp_targetILNS1_3genE10ELNS1_11target_archE1200ELNS1_3gpuE4ELNS1_3repE0EEENS1_30default_config_static_selectorELNS0_4arch9wavefront6targetE1EEEvT1_,comdat
	.protected	_ZN7rocprim17ROCPRIM_400000_NS6detail17trampoline_kernelINS0_14default_configENS1_20scan_config_selectorIyEEZZNS1_9scan_implILNS1_25lookback_scan_determinismE0ELb0ELb0ES3_N6thrust23THRUST_200600_302600_NS6detail15normal_iteratorINS9_10device_ptrIyEEEESE_y11max_functorIyEyEEDaPvRmT3_T4_T5_mT6_P12ihipStream_tbENKUlT_T0_E_clISt17integral_constantIbLb1EEST_IbLb0EEEEDaSP_SQ_EUlSP_E_NS1_11comp_targetILNS1_3genE10ELNS1_11target_archE1200ELNS1_3gpuE4ELNS1_3repE0EEENS1_30default_config_static_selectorELNS0_4arch9wavefront6targetE1EEEvT1_ ; -- Begin function _ZN7rocprim17ROCPRIM_400000_NS6detail17trampoline_kernelINS0_14default_configENS1_20scan_config_selectorIyEEZZNS1_9scan_implILNS1_25lookback_scan_determinismE0ELb0ELb0ES3_N6thrust23THRUST_200600_302600_NS6detail15normal_iteratorINS9_10device_ptrIyEEEESE_y11max_functorIyEyEEDaPvRmT3_T4_T5_mT6_P12ihipStream_tbENKUlT_T0_E_clISt17integral_constantIbLb1EEST_IbLb0EEEEDaSP_SQ_EUlSP_E_NS1_11comp_targetILNS1_3genE10ELNS1_11target_archE1200ELNS1_3gpuE4ELNS1_3repE0EEENS1_30default_config_static_selectorELNS0_4arch9wavefront6targetE1EEEvT1_
	.globl	_ZN7rocprim17ROCPRIM_400000_NS6detail17trampoline_kernelINS0_14default_configENS1_20scan_config_selectorIyEEZZNS1_9scan_implILNS1_25lookback_scan_determinismE0ELb0ELb0ES3_N6thrust23THRUST_200600_302600_NS6detail15normal_iteratorINS9_10device_ptrIyEEEESE_y11max_functorIyEyEEDaPvRmT3_T4_T5_mT6_P12ihipStream_tbENKUlT_T0_E_clISt17integral_constantIbLb1EEST_IbLb0EEEEDaSP_SQ_EUlSP_E_NS1_11comp_targetILNS1_3genE10ELNS1_11target_archE1200ELNS1_3gpuE4ELNS1_3repE0EEENS1_30default_config_static_selectorELNS0_4arch9wavefront6targetE1EEEvT1_
	.p2align	8
	.type	_ZN7rocprim17ROCPRIM_400000_NS6detail17trampoline_kernelINS0_14default_configENS1_20scan_config_selectorIyEEZZNS1_9scan_implILNS1_25lookback_scan_determinismE0ELb0ELb0ES3_N6thrust23THRUST_200600_302600_NS6detail15normal_iteratorINS9_10device_ptrIyEEEESE_y11max_functorIyEyEEDaPvRmT3_T4_T5_mT6_P12ihipStream_tbENKUlT_T0_E_clISt17integral_constantIbLb1EEST_IbLb0EEEEDaSP_SQ_EUlSP_E_NS1_11comp_targetILNS1_3genE10ELNS1_11target_archE1200ELNS1_3gpuE4ELNS1_3repE0EEENS1_30default_config_static_selectorELNS0_4arch9wavefront6targetE1EEEvT1_,@function
_ZN7rocprim17ROCPRIM_400000_NS6detail17trampoline_kernelINS0_14default_configENS1_20scan_config_selectorIyEEZZNS1_9scan_implILNS1_25lookback_scan_determinismE0ELb0ELb0ES3_N6thrust23THRUST_200600_302600_NS6detail15normal_iteratorINS9_10device_ptrIyEEEESE_y11max_functorIyEyEEDaPvRmT3_T4_T5_mT6_P12ihipStream_tbENKUlT_T0_E_clISt17integral_constantIbLb1EEST_IbLb0EEEEDaSP_SQ_EUlSP_E_NS1_11comp_targetILNS1_3genE10ELNS1_11target_archE1200ELNS1_3gpuE4ELNS1_3repE0EEENS1_30default_config_static_selectorELNS0_4arch9wavefront6targetE1EEEvT1_: ; @_ZN7rocprim17ROCPRIM_400000_NS6detail17trampoline_kernelINS0_14default_configENS1_20scan_config_selectorIyEEZZNS1_9scan_implILNS1_25lookback_scan_determinismE0ELb0ELb0ES3_N6thrust23THRUST_200600_302600_NS6detail15normal_iteratorINS9_10device_ptrIyEEEESE_y11max_functorIyEyEEDaPvRmT3_T4_T5_mT6_P12ihipStream_tbENKUlT_T0_E_clISt17integral_constantIbLb1EEST_IbLb0EEEEDaSP_SQ_EUlSP_E_NS1_11comp_targetILNS1_3genE10ELNS1_11target_archE1200ELNS1_3gpuE4ELNS1_3repE0EEENS1_30default_config_static_selectorELNS0_4arch9wavefront6targetE1EEEvT1_
; %bb.0:
	.section	.rodata,"a",@progbits
	.p2align	6, 0x0
	.amdhsa_kernel _ZN7rocprim17ROCPRIM_400000_NS6detail17trampoline_kernelINS0_14default_configENS1_20scan_config_selectorIyEEZZNS1_9scan_implILNS1_25lookback_scan_determinismE0ELb0ELb0ES3_N6thrust23THRUST_200600_302600_NS6detail15normal_iteratorINS9_10device_ptrIyEEEESE_y11max_functorIyEyEEDaPvRmT3_T4_T5_mT6_P12ihipStream_tbENKUlT_T0_E_clISt17integral_constantIbLb1EEST_IbLb0EEEEDaSP_SQ_EUlSP_E_NS1_11comp_targetILNS1_3genE10ELNS1_11target_archE1200ELNS1_3gpuE4ELNS1_3repE0EEENS1_30default_config_static_selectorELNS0_4arch9wavefront6targetE1EEEvT1_
		.amdhsa_group_segment_fixed_size 0
		.amdhsa_private_segment_fixed_size 0
		.amdhsa_kernarg_size 104
		.amdhsa_user_sgpr_count 6
		.amdhsa_user_sgpr_private_segment_buffer 1
		.amdhsa_user_sgpr_dispatch_ptr 0
		.amdhsa_user_sgpr_queue_ptr 0
		.amdhsa_user_sgpr_kernarg_segment_ptr 1
		.amdhsa_user_sgpr_dispatch_id 0
		.amdhsa_user_sgpr_flat_scratch_init 0
		.amdhsa_user_sgpr_kernarg_preload_length 0
		.amdhsa_user_sgpr_kernarg_preload_offset 0
		.amdhsa_user_sgpr_private_segment_size 0
		.amdhsa_uses_dynamic_stack 0
		.amdhsa_system_sgpr_private_segment_wavefront_offset 0
		.amdhsa_system_sgpr_workgroup_id_x 1
		.amdhsa_system_sgpr_workgroup_id_y 0
		.amdhsa_system_sgpr_workgroup_id_z 0
		.amdhsa_system_sgpr_workgroup_info 0
		.amdhsa_system_vgpr_workitem_id 0
		.amdhsa_next_free_vgpr 1
		.amdhsa_next_free_sgpr 0
		.amdhsa_accum_offset 4
		.amdhsa_reserve_vcc 0
		.amdhsa_reserve_flat_scratch 0
		.amdhsa_float_round_mode_32 0
		.amdhsa_float_round_mode_16_64 0
		.amdhsa_float_denorm_mode_32 3
		.amdhsa_float_denorm_mode_16_64 3
		.amdhsa_dx10_clamp 1
		.amdhsa_ieee_mode 1
		.amdhsa_fp16_overflow 0
		.amdhsa_tg_split 0
		.amdhsa_exception_fp_ieee_invalid_op 0
		.amdhsa_exception_fp_denorm_src 0
		.amdhsa_exception_fp_ieee_div_zero 0
		.amdhsa_exception_fp_ieee_overflow 0
		.amdhsa_exception_fp_ieee_underflow 0
		.amdhsa_exception_fp_ieee_inexact 0
		.amdhsa_exception_int_div_zero 0
	.end_amdhsa_kernel
	.section	.text._ZN7rocprim17ROCPRIM_400000_NS6detail17trampoline_kernelINS0_14default_configENS1_20scan_config_selectorIyEEZZNS1_9scan_implILNS1_25lookback_scan_determinismE0ELb0ELb0ES3_N6thrust23THRUST_200600_302600_NS6detail15normal_iteratorINS9_10device_ptrIyEEEESE_y11max_functorIyEyEEDaPvRmT3_T4_T5_mT6_P12ihipStream_tbENKUlT_T0_E_clISt17integral_constantIbLb1EEST_IbLb0EEEEDaSP_SQ_EUlSP_E_NS1_11comp_targetILNS1_3genE10ELNS1_11target_archE1200ELNS1_3gpuE4ELNS1_3repE0EEENS1_30default_config_static_selectorELNS0_4arch9wavefront6targetE1EEEvT1_,"axG",@progbits,_ZN7rocprim17ROCPRIM_400000_NS6detail17trampoline_kernelINS0_14default_configENS1_20scan_config_selectorIyEEZZNS1_9scan_implILNS1_25lookback_scan_determinismE0ELb0ELb0ES3_N6thrust23THRUST_200600_302600_NS6detail15normal_iteratorINS9_10device_ptrIyEEEESE_y11max_functorIyEyEEDaPvRmT3_T4_T5_mT6_P12ihipStream_tbENKUlT_T0_E_clISt17integral_constantIbLb1EEST_IbLb0EEEEDaSP_SQ_EUlSP_E_NS1_11comp_targetILNS1_3genE10ELNS1_11target_archE1200ELNS1_3gpuE4ELNS1_3repE0EEENS1_30default_config_static_selectorELNS0_4arch9wavefront6targetE1EEEvT1_,comdat
.Lfunc_end2141:
	.size	_ZN7rocprim17ROCPRIM_400000_NS6detail17trampoline_kernelINS0_14default_configENS1_20scan_config_selectorIyEEZZNS1_9scan_implILNS1_25lookback_scan_determinismE0ELb0ELb0ES3_N6thrust23THRUST_200600_302600_NS6detail15normal_iteratorINS9_10device_ptrIyEEEESE_y11max_functorIyEyEEDaPvRmT3_T4_T5_mT6_P12ihipStream_tbENKUlT_T0_E_clISt17integral_constantIbLb1EEST_IbLb0EEEEDaSP_SQ_EUlSP_E_NS1_11comp_targetILNS1_3genE10ELNS1_11target_archE1200ELNS1_3gpuE4ELNS1_3repE0EEENS1_30default_config_static_selectorELNS0_4arch9wavefront6targetE1EEEvT1_, .Lfunc_end2141-_ZN7rocprim17ROCPRIM_400000_NS6detail17trampoline_kernelINS0_14default_configENS1_20scan_config_selectorIyEEZZNS1_9scan_implILNS1_25lookback_scan_determinismE0ELb0ELb0ES3_N6thrust23THRUST_200600_302600_NS6detail15normal_iteratorINS9_10device_ptrIyEEEESE_y11max_functorIyEyEEDaPvRmT3_T4_T5_mT6_P12ihipStream_tbENKUlT_T0_E_clISt17integral_constantIbLb1EEST_IbLb0EEEEDaSP_SQ_EUlSP_E_NS1_11comp_targetILNS1_3genE10ELNS1_11target_archE1200ELNS1_3gpuE4ELNS1_3repE0EEENS1_30default_config_static_selectorELNS0_4arch9wavefront6targetE1EEEvT1_
                                        ; -- End function
	.section	.AMDGPU.csdata,"",@progbits
; Kernel info:
; codeLenInByte = 0
; NumSgprs: 4
; NumVgprs: 0
; NumAgprs: 0
; TotalNumVgprs: 0
; ScratchSize: 0
; MemoryBound: 0
; FloatMode: 240
; IeeeMode: 1
; LDSByteSize: 0 bytes/workgroup (compile time only)
; SGPRBlocks: 0
; VGPRBlocks: 0
; NumSGPRsForWavesPerEU: 4
; NumVGPRsForWavesPerEU: 1
; AccumOffset: 4
; Occupancy: 8
; WaveLimiterHint : 0
; COMPUTE_PGM_RSRC2:SCRATCH_EN: 0
; COMPUTE_PGM_RSRC2:USER_SGPR: 6
; COMPUTE_PGM_RSRC2:TRAP_HANDLER: 0
; COMPUTE_PGM_RSRC2:TGID_X_EN: 1
; COMPUTE_PGM_RSRC2:TGID_Y_EN: 0
; COMPUTE_PGM_RSRC2:TGID_Z_EN: 0
; COMPUTE_PGM_RSRC2:TIDIG_COMP_CNT: 0
; COMPUTE_PGM_RSRC3_GFX90A:ACCUM_OFFSET: 0
; COMPUTE_PGM_RSRC3_GFX90A:TG_SPLIT: 0
	.section	.text._ZN7rocprim17ROCPRIM_400000_NS6detail17trampoline_kernelINS0_14default_configENS1_20scan_config_selectorIyEEZZNS1_9scan_implILNS1_25lookback_scan_determinismE0ELb0ELb0ES3_N6thrust23THRUST_200600_302600_NS6detail15normal_iteratorINS9_10device_ptrIyEEEESE_y11max_functorIyEyEEDaPvRmT3_T4_T5_mT6_P12ihipStream_tbENKUlT_T0_E_clISt17integral_constantIbLb1EEST_IbLb0EEEEDaSP_SQ_EUlSP_E_NS1_11comp_targetILNS1_3genE9ELNS1_11target_archE1100ELNS1_3gpuE3ELNS1_3repE0EEENS1_30default_config_static_selectorELNS0_4arch9wavefront6targetE1EEEvT1_,"axG",@progbits,_ZN7rocprim17ROCPRIM_400000_NS6detail17trampoline_kernelINS0_14default_configENS1_20scan_config_selectorIyEEZZNS1_9scan_implILNS1_25lookback_scan_determinismE0ELb0ELb0ES3_N6thrust23THRUST_200600_302600_NS6detail15normal_iteratorINS9_10device_ptrIyEEEESE_y11max_functorIyEyEEDaPvRmT3_T4_T5_mT6_P12ihipStream_tbENKUlT_T0_E_clISt17integral_constantIbLb1EEST_IbLb0EEEEDaSP_SQ_EUlSP_E_NS1_11comp_targetILNS1_3genE9ELNS1_11target_archE1100ELNS1_3gpuE3ELNS1_3repE0EEENS1_30default_config_static_selectorELNS0_4arch9wavefront6targetE1EEEvT1_,comdat
	.protected	_ZN7rocprim17ROCPRIM_400000_NS6detail17trampoline_kernelINS0_14default_configENS1_20scan_config_selectorIyEEZZNS1_9scan_implILNS1_25lookback_scan_determinismE0ELb0ELb0ES3_N6thrust23THRUST_200600_302600_NS6detail15normal_iteratorINS9_10device_ptrIyEEEESE_y11max_functorIyEyEEDaPvRmT3_T4_T5_mT6_P12ihipStream_tbENKUlT_T0_E_clISt17integral_constantIbLb1EEST_IbLb0EEEEDaSP_SQ_EUlSP_E_NS1_11comp_targetILNS1_3genE9ELNS1_11target_archE1100ELNS1_3gpuE3ELNS1_3repE0EEENS1_30default_config_static_selectorELNS0_4arch9wavefront6targetE1EEEvT1_ ; -- Begin function _ZN7rocprim17ROCPRIM_400000_NS6detail17trampoline_kernelINS0_14default_configENS1_20scan_config_selectorIyEEZZNS1_9scan_implILNS1_25lookback_scan_determinismE0ELb0ELb0ES3_N6thrust23THRUST_200600_302600_NS6detail15normal_iteratorINS9_10device_ptrIyEEEESE_y11max_functorIyEyEEDaPvRmT3_T4_T5_mT6_P12ihipStream_tbENKUlT_T0_E_clISt17integral_constantIbLb1EEST_IbLb0EEEEDaSP_SQ_EUlSP_E_NS1_11comp_targetILNS1_3genE9ELNS1_11target_archE1100ELNS1_3gpuE3ELNS1_3repE0EEENS1_30default_config_static_selectorELNS0_4arch9wavefront6targetE1EEEvT1_
	.globl	_ZN7rocprim17ROCPRIM_400000_NS6detail17trampoline_kernelINS0_14default_configENS1_20scan_config_selectorIyEEZZNS1_9scan_implILNS1_25lookback_scan_determinismE0ELb0ELb0ES3_N6thrust23THRUST_200600_302600_NS6detail15normal_iteratorINS9_10device_ptrIyEEEESE_y11max_functorIyEyEEDaPvRmT3_T4_T5_mT6_P12ihipStream_tbENKUlT_T0_E_clISt17integral_constantIbLb1EEST_IbLb0EEEEDaSP_SQ_EUlSP_E_NS1_11comp_targetILNS1_3genE9ELNS1_11target_archE1100ELNS1_3gpuE3ELNS1_3repE0EEENS1_30default_config_static_selectorELNS0_4arch9wavefront6targetE1EEEvT1_
	.p2align	8
	.type	_ZN7rocprim17ROCPRIM_400000_NS6detail17trampoline_kernelINS0_14default_configENS1_20scan_config_selectorIyEEZZNS1_9scan_implILNS1_25lookback_scan_determinismE0ELb0ELb0ES3_N6thrust23THRUST_200600_302600_NS6detail15normal_iteratorINS9_10device_ptrIyEEEESE_y11max_functorIyEyEEDaPvRmT3_T4_T5_mT6_P12ihipStream_tbENKUlT_T0_E_clISt17integral_constantIbLb1EEST_IbLb0EEEEDaSP_SQ_EUlSP_E_NS1_11comp_targetILNS1_3genE9ELNS1_11target_archE1100ELNS1_3gpuE3ELNS1_3repE0EEENS1_30default_config_static_selectorELNS0_4arch9wavefront6targetE1EEEvT1_,@function
_ZN7rocprim17ROCPRIM_400000_NS6detail17trampoline_kernelINS0_14default_configENS1_20scan_config_selectorIyEEZZNS1_9scan_implILNS1_25lookback_scan_determinismE0ELb0ELb0ES3_N6thrust23THRUST_200600_302600_NS6detail15normal_iteratorINS9_10device_ptrIyEEEESE_y11max_functorIyEyEEDaPvRmT3_T4_T5_mT6_P12ihipStream_tbENKUlT_T0_E_clISt17integral_constantIbLb1EEST_IbLb0EEEEDaSP_SQ_EUlSP_E_NS1_11comp_targetILNS1_3genE9ELNS1_11target_archE1100ELNS1_3gpuE3ELNS1_3repE0EEENS1_30default_config_static_selectorELNS0_4arch9wavefront6targetE1EEEvT1_: ; @_ZN7rocprim17ROCPRIM_400000_NS6detail17trampoline_kernelINS0_14default_configENS1_20scan_config_selectorIyEEZZNS1_9scan_implILNS1_25lookback_scan_determinismE0ELb0ELb0ES3_N6thrust23THRUST_200600_302600_NS6detail15normal_iteratorINS9_10device_ptrIyEEEESE_y11max_functorIyEyEEDaPvRmT3_T4_T5_mT6_P12ihipStream_tbENKUlT_T0_E_clISt17integral_constantIbLb1EEST_IbLb0EEEEDaSP_SQ_EUlSP_E_NS1_11comp_targetILNS1_3genE9ELNS1_11target_archE1100ELNS1_3gpuE3ELNS1_3repE0EEENS1_30default_config_static_selectorELNS0_4arch9wavefront6targetE1EEEvT1_
; %bb.0:
	.section	.rodata,"a",@progbits
	.p2align	6, 0x0
	.amdhsa_kernel _ZN7rocprim17ROCPRIM_400000_NS6detail17trampoline_kernelINS0_14default_configENS1_20scan_config_selectorIyEEZZNS1_9scan_implILNS1_25lookback_scan_determinismE0ELb0ELb0ES3_N6thrust23THRUST_200600_302600_NS6detail15normal_iteratorINS9_10device_ptrIyEEEESE_y11max_functorIyEyEEDaPvRmT3_T4_T5_mT6_P12ihipStream_tbENKUlT_T0_E_clISt17integral_constantIbLb1EEST_IbLb0EEEEDaSP_SQ_EUlSP_E_NS1_11comp_targetILNS1_3genE9ELNS1_11target_archE1100ELNS1_3gpuE3ELNS1_3repE0EEENS1_30default_config_static_selectorELNS0_4arch9wavefront6targetE1EEEvT1_
		.amdhsa_group_segment_fixed_size 0
		.amdhsa_private_segment_fixed_size 0
		.amdhsa_kernarg_size 104
		.amdhsa_user_sgpr_count 6
		.amdhsa_user_sgpr_private_segment_buffer 1
		.amdhsa_user_sgpr_dispatch_ptr 0
		.amdhsa_user_sgpr_queue_ptr 0
		.amdhsa_user_sgpr_kernarg_segment_ptr 1
		.amdhsa_user_sgpr_dispatch_id 0
		.amdhsa_user_sgpr_flat_scratch_init 0
		.amdhsa_user_sgpr_kernarg_preload_length 0
		.amdhsa_user_sgpr_kernarg_preload_offset 0
		.amdhsa_user_sgpr_private_segment_size 0
		.amdhsa_uses_dynamic_stack 0
		.amdhsa_system_sgpr_private_segment_wavefront_offset 0
		.amdhsa_system_sgpr_workgroup_id_x 1
		.amdhsa_system_sgpr_workgroup_id_y 0
		.amdhsa_system_sgpr_workgroup_id_z 0
		.amdhsa_system_sgpr_workgroup_info 0
		.amdhsa_system_vgpr_workitem_id 0
		.amdhsa_next_free_vgpr 1
		.amdhsa_next_free_sgpr 0
		.amdhsa_accum_offset 4
		.amdhsa_reserve_vcc 0
		.amdhsa_reserve_flat_scratch 0
		.amdhsa_float_round_mode_32 0
		.amdhsa_float_round_mode_16_64 0
		.amdhsa_float_denorm_mode_32 3
		.amdhsa_float_denorm_mode_16_64 3
		.amdhsa_dx10_clamp 1
		.amdhsa_ieee_mode 1
		.amdhsa_fp16_overflow 0
		.amdhsa_tg_split 0
		.amdhsa_exception_fp_ieee_invalid_op 0
		.amdhsa_exception_fp_denorm_src 0
		.amdhsa_exception_fp_ieee_div_zero 0
		.amdhsa_exception_fp_ieee_overflow 0
		.amdhsa_exception_fp_ieee_underflow 0
		.amdhsa_exception_fp_ieee_inexact 0
		.amdhsa_exception_int_div_zero 0
	.end_amdhsa_kernel
	.section	.text._ZN7rocprim17ROCPRIM_400000_NS6detail17trampoline_kernelINS0_14default_configENS1_20scan_config_selectorIyEEZZNS1_9scan_implILNS1_25lookback_scan_determinismE0ELb0ELb0ES3_N6thrust23THRUST_200600_302600_NS6detail15normal_iteratorINS9_10device_ptrIyEEEESE_y11max_functorIyEyEEDaPvRmT3_T4_T5_mT6_P12ihipStream_tbENKUlT_T0_E_clISt17integral_constantIbLb1EEST_IbLb0EEEEDaSP_SQ_EUlSP_E_NS1_11comp_targetILNS1_3genE9ELNS1_11target_archE1100ELNS1_3gpuE3ELNS1_3repE0EEENS1_30default_config_static_selectorELNS0_4arch9wavefront6targetE1EEEvT1_,"axG",@progbits,_ZN7rocprim17ROCPRIM_400000_NS6detail17trampoline_kernelINS0_14default_configENS1_20scan_config_selectorIyEEZZNS1_9scan_implILNS1_25lookback_scan_determinismE0ELb0ELb0ES3_N6thrust23THRUST_200600_302600_NS6detail15normal_iteratorINS9_10device_ptrIyEEEESE_y11max_functorIyEyEEDaPvRmT3_T4_T5_mT6_P12ihipStream_tbENKUlT_T0_E_clISt17integral_constantIbLb1EEST_IbLb0EEEEDaSP_SQ_EUlSP_E_NS1_11comp_targetILNS1_3genE9ELNS1_11target_archE1100ELNS1_3gpuE3ELNS1_3repE0EEENS1_30default_config_static_selectorELNS0_4arch9wavefront6targetE1EEEvT1_,comdat
.Lfunc_end2142:
	.size	_ZN7rocprim17ROCPRIM_400000_NS6detail17trampoline_kernelINS0_14default_configENS1_20scan_config_selectorIyEEZZNS1_9scan_implILNS1_25lookback_scan_determinismE0ELb0ELb0ES3_N6thrust23THRUST_200600_302600_NS6detail15normal_iteratorINS9_10device_ptrIyEEEESE_y11max_functorIyEyEEDaPvRmT3_T4_T5_mT6_P12ihipStream_tbENKUlT_T0_E_clISt17integral_constantIbLb1EEST_IbLb0EEEEDaSP_SQ_EUlSP_E_NS1_11comp_targetILNS1_3genE9ELNS1_11target_archE1100ELNS1_3gpuE3ELNS1_3repE0EEENS1_30default_config_static_selectorELNS0_4arch9wavefront6targetE1EEEvT1_, .Lfunc_end2142-_ZN7rocprim17ROCPRIM_400000_NS6detail17trampoline_kernelINS0_14default_configENS1_20scan_config_selectorIyEEZZNS1_9scan_implILNS1_25lookback_scan_determinismE0ELb0ELb0ES3_N6thrust23THRUST_200600_302600_NS6detail15normal_iteratorINS9_10device_ptrIyEEEESE_y11max_functorIyEyEEDaPvRmT3_T4_T5_mT6_P12ihipStream_tbENKUlT_T0_E_clISt17integral_constantIbLb1EEST_IbLb0EEEEDaSP_SQ_EUlSP_E_NS1_11comp_targetILNS1_3genE9ELNS1_11target_archE1100ELNS1_3gpuE3ELNS1_3repE0EEENS1_30default_config_static_selectorELNS0_4arch9wavefront6targetE1EEEvT1_
                                        ; -- End function
	.section	.AMDGPU.csdata,"",@progbits
; Kernel info:
; codeLenInByte = 0
; NumSgprs: 4
; NumVgprs: 0
; NumAgprs: 0
; TotalNumVgprs: 0
; ScratchSize: 0
; MemoryBound: 0
; FloatMode: 240
; IeeeMode: 1
; LDSByteSize: 0 bytes/workgroup (compile time only)
; SGPRBlocks: 0
; VGPRBlocks: 0
; NumSGPRsForWavesPerEU: 4
; NumVGPRsForWavesPerEU: 1
; AccumOffset: 4
; Occupancy: 8
; WaveLimiterHint : 0
; COMPUTE_PGM_RSRC2:SCRATCH_EN: 0
; COMPUTE_PGM_RSRC2:USER_SGPR: 6
; COMPUTE_PGM_RSRC2:TRAP_HANDLER: 0
; COMPUTE_PGM_RSRC2:TGID_X_EN: 1
; COMPUTE_PGM_RSRC2:TGID_Y_EN: 0
; COMPUTE_PGM_RSRC2:TGID_Z_EN: 0
; COMPUTE_PGM_RSRC2:TIDIG_COMP_CNT: 0
; COMPUTE_PGM_RSRC3_GFX90A:ACCUM_OFFSET: 0
; COMPUTE_PGM_RSRC3_GFX90A:TG_SPLIT: 0
	.section	.text._ZN7rocprim17ROCPRIM_400000_NS6detail17trampoline_kernelINS0_14default_configENS1_20scan_config_selectorIyEEZZNS1_9scan_implILNS1_25lookback_scan_determinismE0ELb0ELb0ES3_N6thrust23THRUST_200600_302600_NS6detail15normal_iteratorINS9_10device_ptrIyEEEESE_y11max_functorIyEyEEDaPvRmT3_T4_T5_mT6_P12ihipStream_tbENKUlT_T0_E_clISt17integral_constantIbLb1EEST_IbLb0EEEEDaSP_SQ_EUlSP_E_NS1_11comp_targetILNS1_3genE8ELNS1_11target_archE1030ELNS1_3gpuE2ELNS1_3repE0EEENS1_30default_config_static_selectorELNS0_4arch9wavefront6targetE1EEEvT1_,"axG",@progbits,_ZN7rocprim17ROCPRIM_400000_NS6detail17trampoline_kernelINS0_14default_configENS1_20scan_config_selectorIyEEZZNS1_9scan_implILNS1_25lookback_scan_determinismE0ELb0ELb0ES3_N6thrust23THRUST_200600_302600_NS6detail15normal_iteratorINS9_10device_ptrIyEEEESE_y11max_functorIyEyEEDaPvRmT3_T4_T5_mT6_P12ihipStream_tbENKUlT_T0_E_clISt17integral_constantIbLb1EEST_IbLb0EEEEDaSP_SQ_EUlSP_E_NS1_11comp_targetILNS1_3genE8ELNS1_11target_archE1030ELNS1_3gpuE2ELNS1_3repE0EEENS1_30default_config_static_selectorELNS0_4arch9wavefront6targetE1EEEvT1_,comdat
	.protected	_ZN7rocprim17ROCPRIM_400000_NS6detail17trampoline_kernelINS0_14default_configENS1_20scan_config_selectorIyEEZZNS1_9scan_implILNS1_25lookback_scan_determinismE0ELb0ELb0ES3_N6thrust23THRUST_200600_302600_NS6detail15normal_iteratorINS9_10device_ptrIyEEEESE_y11max_functorIyEyEEDaPvRmT3_T4_T5_mT6_P12ihipStream_tbENKUlT_T0_E_clISt17integral_constantIbLb1EEST_IbLb0EEEEDaSP_SQ_EUlSP_E_NS1_11comp_targetILNS1_3genE8ELNS1_11target_archE1030ELNS1_3gpuE2ELNS1_3repE0EEENS1_30default_config_static_selectorELNS0_4arch9wavefront6targetE1EEEvT1_ ; -- Begin function _ZN7rocprim17ROCPRIM_400000_NS6detail17trampoline_kernelINS0_14default_configENS1_20scan_config_selectorIyEEZZNS1_9scan_implILNS1_25lookback_scan_determinismE0ELb0ELb0ES3_N6thrust23THRUST_200600_302600_NS6detail15normal_iteratorINS9_10device_ptrIyEEEESE_y11max_functorIyEyEEDaPvRmT3_T4_T5_mT6_P12ihipStream_tbENKUlT_T0_E_clISt17integral_constantIbLb1EEST_IbLb0EEEEDaSP_SQ_EUlSP_E_NS1_11comp_targetILNS1_3genE8ELNS1_11target_archE1030ELNS1_3gpuE2ELNS1_3repE0EEENS1_30default_config_static_selectorELNS0_4arch9wavefront6targetE1EEEvT1_
	.globl	_ZN7rocprim17ROCPRIM_400000_NS6detail17trampoline_kernelINS0_14default_configENS1_20scan_config_selectorIyEEZZNS1_9scan_implILNS1_25lookback_scan_determinismE0ELb0ELb0ES3_N6thrust23THRUST_200600_302600_NS6detail15normal_iteratorINS9_10device_ptrIyEEEESE_y11max_functorIyEyEEDaPvRmT3_T4_T5_mT6_P12ihipStream_tbENKUlT_T0_E_clISt17integral_constantIbLb1EEST_IbLb0EEEEDaSP_SQ_EUlSP_E_NS1_11comp_targetILNS1_3genE8ELNS1_11target_archE1030ELNS1_3gpuE2ELNS1_3repE0EEENS1_30default_config_static_selectorELNS0_4arch9wavefront6targetE1EEEvT1_
	.p2align	8
	.type	_ZN7rocprim17ROCPRIM_400000_NS6detail17trampoline_kernelINS0_14default_configENS1_20scan_config_selectorIyEEZZNS1_9scan_implILNS1_25lookback_scan_determinismE0ELb0ELb0ES3_N6thrust23THRUST_200600_302600_NS6detail15normal_iteratorINS9_10device_ptrIyEEEESE_y11max_functorIyEyEEDaPvRmT3_T4_T5_mT6_P12ihipStream_tbENKUlT_T0_E_clISt17integral_constantIbLb1EEST_IbLb0EEEEDaSP_SQ_EUlSP_E_NS1_11comp_targetILNS1_3genE8ELNS1_11target_archE1030ELNS1_3gpuE2ELNS1_3repE0EEENS1_30default_config_static_selectorELNS0_4arch9wavefront6targetE1EEEvT1_,@function
_ZN7rocprim17ROCPRIM_400000_NS6detail17trampoline_kernelINS0_14default_configENS1_20scan_config_selectorIyEEZZNS1_9scan_implILNS1_25lookback_scan_determinismE0ELb0ELb0ES3_N6thrust23THRUST_200600_302600_NS6detail15normal_iteratorINS9_10device_ptrIyEEEESE_y11max_functorIyEyEEDaPvRmT3_T4_T5_mT6_P12ihipStream_tbENKUlT_T0_E_clISt17integral_constantIbLb1EEST_IbLb0EEEEDaSP_SQ_EUlSP_E_NS1_11comp_targetILNS1_3genE8ELNS1_11target_archE1030ELNS1_3gpuE2ELNS1_3repE0EEENS1_30default_config_static_selectorELNS0_4arch9wavefront6targetE1EEEvT1_: ; @_ZN7rocprim17ROCPRIM_400000_NS6detail17trampoline_kernelINS0_14default_configENS1_20scan_config_selectorIyEEZZNS1_9scan_implILNS1_25lookback_scan_determinismE0ELb0ELb0ES3_N6thrust23THRUST_200600_302600_NS6detail15normal_iteratorINS9_10device_ptrIyEEEESE_y11max_functorIyEyEEDaPvRmT3_T4_T5_mT6_P12ihipStream_tbENKUlT_T0_E_clISt17integral_constantIbLb1EEST_IbLb0EEEEDaSP_SQ_EUlSP_E_NS1_11comp_targetILNS1_3genE8ELNS1_11target_archE1030ELNS1_3gpuE2ELNS1_3repE0EEENS1_30default_config_static_selectorELNS0_4arch9wavefront6targetE1EEEvT1_
; %bb.0:
	.section	.rodata,"a",@progbits
	.p2align	6, 0x0
	.amdhsa_kernel _ZN7rocprim17ROCPRIM_400000_NS6detail17trampoline_kernelINS0_14default_configENS1_20scan_config_selectorIyEEZZNS1_9scan_implILNS1_25lookback_scan_determinismE0ELb0ELb0ES3_N6thrust23THRUST_200600_302600_NS6detail15normal_iteratorINS9_10device_ptrIyEEEESE_y11max_functorIyEyEEDaPvRmT3_T4_T5_mT6_P12ihipStream_tbENKUlT_T0_E_clISt17integral_constantIbLb1EEST_IbLb0EEEEDaSP_SQ_EUlSP_E_NS1_11comp_targetILNS1_3genE8ELNS1_11target_archE1030ELNS1_3gpuE2ELNS1_3repE0EEENS1_30default_config_static_selectorELNS0_4arch9wavefront6targetE1EEEvT1_
		.amdhsa_group_segment_fixed_size 0
		.amdhsa_private_segment_fixed_size 0
		.amdhsa_kernarg_size 104
		.amdhsa_user_sgpr_count 6
		.amdhsa_user_sgpr_private_segment_buffer 1
		.amdhsa_user_sgpr_dispatch_ptr 0
		.amdhsa_user_sgpr_queue_ptr 0
		.amdhsa_user_sgpr_kernarg_segment_ptr 1
		.amdhsa_user_sgpr_dispatch_id 0
		.amdhsa_user_sgpr_flat_scratch_init 0
		.amdhsa_user_sgpr_kernarg_preload_length 0
		.amdhsa_user_sgpr_kernarg_preload_offset 0
		.amdhsa_user_sgpr_private_segment_size 0
		.amdhsa_uses_dynamic_stack 0
		.amdhsa_system_sgpr_private_segment_wavefront_offset 0
		.amdhsa_system_sgpr_workgroup_id_x 1
		.amdhsa_system_sgpr_workgroup_id_y 0
		.amdhsa_system_sgpr_workgroup_id_z 0
		.amdhsa_system_sgpr_workgroup_info 0
		.amdhsa_system_vgpr_workitem_id 0
		.amdhsa_next_free_vgpr 1
		.amdhsa_next_free_sgpr 0
		.amdhsa_accum_offset 4
		.amdhsa_reserve_vcc 0
		.amdhsa_reserve_flat_scratch 0
		.amdhsa_float_round_mode_32 0
		.amdhsa_float_round_mode_16_64 0
		.amdhsa_float_denorm_mode_32 3
		.amdhsa_float_denorm_mode_16_64 3
		.amdhsa_dx10_clamp 1
		.amdhsa_ieee_mode 1
		.amdhsa_fp16_overflow 0
		.amdhsa_tg_split 0
		.amdhsa_exception_fp_ieee_invalid_op 0
		.amdhsa_exception_fp_denorm_src 0
		.amdhsa_exception_fp_ieee_div_zero 0
		.amdhsa_exception_fp_ieee_overflow 0
		.amdhsa_exception_fp_ieee_underflow 0
		.amdhsa_exception_fp_ieee_inexact 0
		.amdhsa_exception_int_div_zero 0
	.end_amdhsa_kernel
	.section	.text._ZN7rocprim17ROCPRIM_400000_NS6detail17trampoline_kernelINS0_14default_configENS1_20scan_config_selectorIyEEZZNS1_9scan_implILNS1_25lookback_scan_determinismE0ELb0ELb0ES3_N6thrust23THRUST_200600_302600_NS6detail15normal_iteratorINS9_10device_ptrIyEEEESE_y11max_functorIyEyEEDaPvRmT3_T4_T5_mT6_P12ihipStream_tbENKUlT_T0_E_clISt17integral_constantIbLb1EEST_IbLb0EEEEDaSP_SQ_EUlSP_E_NS1_11comp_targetILNS1_3genE8ELNS1_11target_archE1030ELNS1_3gpuE2ELNS1_3repE0EEENS1_30default_config_static_selectorELNS0_4arch9wavefront6targetE1EEEvT1_,"axG",@progbits,_ZN7rocprim17ROCPRIM_400000_NS6detail17trampoline_kernelINS0_14default_configENS1_20scan_config_selectorIyEEZZNS1_9scan_implILNS1_25lookback_scan_determinismE0ELb0ELb0ES3_N6thrust23THRUST_200600_302600_NS6detail15normal_iteratorINS9_10device_ptrIyEEEESE_y11max_functorIyEyEEDaPvRmT3_T4_T5_mT6_P12ihipStream_tbENKUlT_T0_E_clISt17integral_constantIbLb1EEST_IbLb0EEEEDaSP_SQ_EUlSP_E_NS1_11comp_targetILNS1_3genE8ELNS1_11target_archE1030ELNS1_3gpuE2ELNS1_3repE0EEENS1_30default_config_static_selectorELNS0_4arch9wavefront6targetE1EEEvT1_,comdat
.Lfunc_end2143:
	.size	_ZN7rocprim17ROCPRIM_400000_NS6detail17trampoline_kernelINS0_14default_configENS1_20scan_config_selectorIyEEZZNS1_9scan_implILNS1_25lookback_scan_determinismE0ELb0ELb0ES3_N6thrust23THRUST_200600_302600_NS6detail15normal_iteratorINS9_10device_ptrIyEEEESE_y11max_functorIyEyEEDaPvRmT3_T4_T5_mT6_P12ihipStream_tbENKUlT_T0_E_clISt17integral_constantIbLb1EEST_IbLb0EEEEDaSP_SQ_EUlSP_E_NS1_11comp_targetILNS1_3genE8ELNS1_11target_archE1030ELNS1_3gpuE2ELNS1_3repE0EEENS1_30default_config_static_selectorELNS0_4arch9wavefront6targetE1EEEvT1_, .Lfunc_end2143-_ZN7rocprim17ROCPRIM_400000_NS6detail17trampoline_kernelINS0_14default_configENS1_20scan_config_selectorIyEEZZNS1_9scan_implILNS1_25lookback_scan_determinismE0ELb0ELb0ES3_N6thrust23THRUST_200600_302600_NS6detail15normal_iteratorINS9_10device_ptrIyEEEESE_y11max_functorIyEyEEDaPvRmT3_T4_T5_mT6_P12ihipStream_tbENKUlT_T0_E_clISt17integral_constantIbLb1EEST_IbLb0EEEEDaSP_SQ_EUlSP_E_NS1_11comp_targetILNS1_3genE8ELNS1_11target_archE1030ELNS1_3gpuE2ELNS1_3repE0EEENS1_30default_config_static_selectorELNS0_4arch9wavefront6targetE1EEEvT1_
                                        ; -- End function
	.section	.AMDGPU.csdata,"",@progbits
; Kernel info:
; codeLenInByte = 0
; NumSgprs: 4
; NumVgprs: 0
; NumAgprs: 0
; TotalNumVgprs: 0
; ScratchSize: 0
; MemoryBound: 0
; FloatMode: 240
; IeeeMode: 1
; LDSByteSize: 0 bytes/workgroup (compile time only)
; SGPRBlocks: 0
; VGPRBlocks: 0
; NumSGPRsForWavesPerEU: 4
; NumVGPRsForWavesPerEU: 1
; AccumOffset: 4
; Occupancy: 8
; WaveLimiterHint : 0
; COMPUTE_PGM_RSRC2:SCRATCH_EN: 0
; COMPUTE_PGM_RSRC2:USER_SGPR: 6
; COMPUTE_PGM_RSRC2:TRAP_HANDLER: 0
; COMPUTE_PGM_RSRC2:TGID_X_EN: 1
; COMPUTE_PGM_RSRC2:TGID_Y_EN: 0
; COMPUTE_PGM_RSRC2:TGID_Z_EN: 0
; COMPUTE_PGM_RSRC2:TIDIG_COMP_CNT: 0
; COMPUTE_PGM_RSRC3_GFX90A:ACCUM_OFFSET: 0
; COMPUTE_PGM_RSRC3_GFX90A:TG_SPLIT: 0
	.section	.text._ZN7rocprim17ROCPRIM_400000_NS6detail17trampoline_kernelINS0_14default_configENS1_20scan_config_selectorIyEEZZNS1_9scan_implILNS1_25lookback_scan_determinismE0ELb0ELb0ES3_N6thrust23THRUST_200600_302600_NS6detail15normal_iteratorINS9_10device_ptrIyEEEESE_y11max_functorIyEyEEDaPvRmT3_T4_T5_mT6_P12ihipStream_tbENKUlT_T0_E_clISt17integral_constantIbLb1EEST_IbLb0EEEEDaSP_SQ_EUlSP_E0_NS1_11comp_targetILNS1_3genE0ELNS1_11target_archE4294967295ELNS1_3gpuE0ELNS1_3repE0EEENS1_30default_config_static_selectorELNS0_4arch9wavefront6targetE1EEEvT1_,"axG",@progbits,_ZN7rocprim17ROCPRIM_400000_NS6detail17trampoline_kernelINS0_14default_configENS1_20scan_config_selectorIyEEZZNS1_9scan_implILNS1_25lookback_scan_determinismE0ELb0ELb0ES3_N6thrust23THRUST_200600_302600_NS6detail15normal_iteratorINS9_10device_ptrIyEEEESE_y11max_functorIyEyEEDaPvRmT3_T4_T5_mT6_P12ihipStream_tbENKUlT_T0_E_clISt17integral_constantIbLb1EEST_IbLb0EEEEDaSP_SQ_EUlSP_E0_NS1_11comp_targetILNS1_3genE0ELNS1_11target_archE4294967295ELNS1_3gpuE0ELNS1_3repE0EEENS1_30default_config_static_selectorELNS0_4arch9wavefront6targetE1EEEvT1_,comdat
	.protected	_ZN7rocprim17ROCPRIM_400000_NS6detail17trampoline_kernelINS0_14default_configENS1_20scan_config_selectorIyEEZZNS1_9scan_implILNS1_25lookback_scan_determinismE0ELb0ELb0ES3_N6thrust23THRUST_200600_302600_NS6detail15normal_iteratorINS9_10device_ptrIyEEEESE_y11max_functorIyEyEEDaPvRmT3_T4_T5_mT6_P12ihipStream_tbENKUlT_T0_E_clISt17integral_constantIbLb1EEST_IbLb0EEEEDaSP_SQ_EUlSP_E0_NS1_11comp_targetILNS1_3genE0ELNS1_11target_archE4294967295ELNS1_3gpuE0ELNS1_3repE0EEENS1_30default_config_static_selectorELNS0_4arch9wavefront6targetE1EEEvT1_ ; -- Begin function _ZN7rocprim17ROCPRIM_400000_NS6detail17trampoline_kernelINS0_14default_configENS1_20scan_config_selectorIyEEZZNS1_9scan_implILNS1_25lookback_scan_determinismE0ELb0ELb0ES3_N6thrust23THRUST_200600_302600_NS6detail15normal_iteratorINS9_10device_ptrIyEEEESE_y11max_functorIyEyEEDaPvRmT3_T4_T5_mT6_P12ihipStream_tbENKUlT_T0_E_clISt17integral_constantIbLb1EEST_IbLb0EEEEDaSP_SQ_EUlSP_E0_NS1_11comp_targetILNS1_3genE0ELNS1_11target_archE4294967295ELNS1_3gpuE0ELNS1_3repE0EEENS1_30default_config_static_selectorELNS0_4arch9wavefront6targetE1EEEvT1_
	.globl	_ZN7rocprim17ROCPRIM_400000_NS6detail17trampoline_kernelINS0_14default_configENS1_20scan_config_selectorIyEEZZNS1_9scan_implILNS1_25lookback_scan_determinismE0ELb0ELb0ES3_N6thrust23THRUST_200600_302600_NS6detail15normal_iteratorINS9_10device_ptrIyEEEESE_y11max_functorIyEyEEDaPvRmT3_T4_T5_mT6_P12ihipStream_tbENKUlT_T0_E_clISt17integral_constantIbLb1EEST_IbLb0EEEEDaSP_SQ_EUlSP_E0_NS1_11comp_targetILNS1_3genE0ELNS1_11target_archE4294967295ELNS1_3gpuE0ELNS1_3repE0EEENS1_30default_config_static_selectorELNS0_4arch9wavefront6targetE1EEEvT1_
	.p2align	8
	.type	_ZN7rocprim17ROCPRIM_400000_NS6detail17trampoline_kernelINS0_14default_configENS1_20scan_config_selectorIyEEZZNS1_9scan_implILNS1_25lookback_scan_determinismE0ELb0ELb0ES3_N6thrust23THRUST_200600_302600_NS6detail15normal_iteratorINS9_10device_ptrIyEEEESE_y11max_functorIyEyEEDaPvRmT3_T4_T5_mT6_P12ihipStream_tbENKUlT_T0_E_clISt17integral_constantIbLb1EEST_IbLb0EEEEDaSP_SQ_EUlSP_E0_NS1_11comp_targetILNS1_3genE0ELNS1_11target_archE4294967295ELNS1_3gpuE0ELNS1_3repE0EEENS1_30default_config_static_selectorELNS0_4arch9wavefront6targetE1EEEvT1_,@function
_ZN7rocprim17ROCPRIM_400000_NS6detail17trampoline_kernelINS0_14default_configENS1_20scan_config_selectorIyEEZZNS1_9scan_implILNS1_25lookback_scan_determinismE0ELb0ELb0ES3_N6thrust23THRUST_200600_302600_NS6detail15normal_iteratorINS9_10device_ptrIyEEEESE_y11max_functorIyEyEEDaPvRmT3_T4_T5_mT6_P12ihipStream_tbENKUlT_T0_E_clISt17integral_constantIbLb1EEST_IbLb0EEEEDaSP_SQ_EUlSP_E0_NS1_11comp_targetILNS1_3genE0ELNS1_11target_archE4294967295ELNS1_3gpuE0ELNS1_3repE0EEENS1_30default_config_static_selectorELNS0_4arch9wavefront6targetE1EEEvT1_: ; @_ZN7rocprim17ROCPRIM_400000_NS6detail17trampoline_kernelINS0_14default_configENS1_20scan_config_selectorIyEEZZNS1_9scan_implILNS1_25lookback_scan_determinismE0ELb0ELb0ES3_N6thrust23THRUST_200600_302600_NS6detail15normal_iteratorINS9_10device_ptrIyEEEESE_y11max_functorIyEyEEDaPvRmT3_T4_T5_mT6_P12ihipStream_tbENKUlT_T0_E_clISt17integral_constantIbLb1EEST_IbLb0EEEEDaSP_SQ_EUlSP_E0_NS1_11comp_targetILNS1_3genE0ELNS1_11target_archE4294967295ELNS1_3gpuE0ELNS1_3repE0EEENS1_30default_config_static_selectorELNS0_4arch9wavefront6targetE1EEEvT1_
; %bb.0:
	.section	.rodata,"a",@progbits
	.p2align	6, 0x0
	.amdhsa_kernel _ZN7rocprim17ROCPRIM_400000_NS6detail17trampoline_kernelINS0_14default_configENS1_20scan_config_selectorIyEEZZNS1_9scan_implILNS1_25lookback_scan_determinismE0ELb0ELb0ES3_N6thrust23THRUST_200600_302600_NS6detail15normal_iteratorINS9_10device_ptrIyEEEESE_y11max_functorIyEyEEDaPvRmT3_T4_T5_mT6_P12ihipStream_tbENKUlT_T0_E_clISt17integral_constantIbLb1EEST_IbLb0EEEEDaSP_SQ_EUlSP_E0_NS1_11comp_targetILNS1_3genE0ELNS1_11target_archE4294967295ELNS1_3gpuE0ELNS1_3repE0EEENS1_30default_config_static_selectorELNS0_4arch9wavefront6targetE1EEEvT1_
		.amdhsa_group_segment_fixed_size 0
		.amdhsa_private_segment_fixed_size 0
		.amdhsa_kernarg_size 40
		.amdhsa_user_sgpr_count 6
		.amdhsa_user_sgpr_private_segment_buffer 1
		.amdhsa_user_sgpr_dispatch_ptr 0
		.amdhsa_user_sgpr_queue_ptr 0
		.amdhsa_user_sgpr_kernarg_segment_ptr 1
		.amdhsa_user_sgpr_dispatch_id 0
		.amdhsa_user_sgpr_flat_scratch_init 0
		.amdhsa_user_sgpr_kernarg_preload_length 0
		.amdhsa_user_sgpr_kernarg_preload_offset 0
		.amdhsa_user_sgpr_private_segment_size 0
		.amdhsa_uses_dynamic_stack 0
		.amdhsa_system_sgpr_private_segment_wavefront_offset 0
		.amdhsa_system_sgpr_workgroup_id_x 1
		.amdhsa_system_sgpr_workgroup_id_y 0
		.amdhsa_system_sgpr_workgroup_id_z 0
		.amdhsa_system_sgpr_workgroup_info 0
		.amdhsa_system_vgpr_workitem_id 0
		.amdhsa_next_free_vgpr 1
		.amdhsa_next_free_sgpr 0
		.amdhsa_accum_offset 4
		.amdhsa_reserve_vcc 0
		.amdhsa_reserve_flat_scratch 0
		.amdhsa_float_round_mode_32 0
		.amdhsa_float_round_mode_16_64 0
		.amdhsa_float_denorm_mode_32 3
		.amdhsa_float_denorm_mode_16_64 3
		.amdhsa_dx10_clamp 1
		.amdhsa_ieee_mode 1
		.amdhsa_fp16_overflow 0
		.amdhsa_tg_split 0
		.amdhsa_exception_fp_ieee_invalid_op 0
		.amdhsa_exception_fp_denorm_src 0
		.amdhsa_exception_fp_ieee_div_zero 0
		.amdhsa_exception_fp_ieee_overflow 0
		.amdhsa_exception_fp_ieee_underflow 0
		.amdhsa_exception_fp_ieee_inexact 0
		.amdhsa_exception_int_div_zero 0
	.end_amdhsa_kernel
	.section	.text._ZN7rocprim17ROCPRIM_400000_NS6detail17trampoline_kernelINS0_14default_configENS1_20scan_config_selectorIyEEZZNS1_9scan_implILNS1_25lookback_scan_determinismE0ELb0ELb0ES3_N6thrust23THRUST_200600_302600_NS6detail15normal_iteratorINS9_10device_ptrIyEEEESE_y11max_functorIyEyEEDaPvRmT3_T4_T5_mT6_P12ihipStream_tbENKUlT_T0_E_clISt17integral_constantIbLb1EEST_IbLb0EEEEDaSP_SQ_EUlSP_E0_NS1_11comp_targetILNS1_3genE0ELNS1_11target_archE4294967295ELNS1_3gpuE0ELNS1_3repE0EEENS1_30default_config_static_selectorELNS0_4arch9wavefront6targetE1EEEvT1_,"axG",@progbits,_ZN7rocprim17ROCPRIM_400000_NS6detail17trampoline_kernelINS0_14default_configENS1_20scan_config_selectorIyEEZZNS1_9scan_implILNS1_25lookback_scan_determinismE0ELb0ELb0ES3_N6thrust23THRUST_200600_302600_NS6detail15normal_iteratorINS9_10device_ptrIyEEEESE_y11max_functorIyEyEEDaPvRmT3_T4_T5_mT6_P12ihipStream_tbENKUlT_T0_E_clISt17integral_constantIbLb1EEST_IbLb0EEEEDaSP_SQ_EUlSP_E0_NS1_11comp_targetILNS1_3genE0ELNS1_11target_archE4294967295ELNS1_3gpuE0ELNS1_3repE0EEENS1_30default_config_static_selectorELNS0_4arch9wavefront6targetE1EEEvT1_,comdat
.Lfunc_end2144:
	.size	_ZN7rocprim17ROCPRIM_400000_NS6detail17trampoline_kernelINS0_14default_configENS1_20scan_config_selectorIyEEZZNS1_9scan_implILNS1_25lookback_scan_determinismE0ELb0ELb0ES3_N6thrust23THRUST_200600_302600_NS6detail15normal_iteratorINS9_10device_ptrIyEEEESE_y11max_functorIyEyEEDaPvRmT3_T4_T5_mT6_P12ihipStream_tbENKUlT_T0_E_clISt17integral_constantIbLb1EEST_IbLb0EEEEDaSP_SQ_EUlSP_E0_NS1_11comp_targetILNS1_3genE0ELNS1_11target_archE4294967295ELNS1_3gpuE0ELNS1_3repE0EEENS1_30default_config_static_selectorELNS0_4arch9wavefront6targetE1EEEvT1_, .Lfunc_end2144-_ZN7rocprim17ROCPRIM_400000_NS6detail17trampoline_kernelINS0_14default_configENS1_20scan_config_selectorIyEEZZNS1_9scan_implILNS1_25lookback_scan_determinismE0ELb0ELb0ES3_N6thrust23THRUST_200600_302600_NS6detail15normal_iteratorINS9_10device_ptrIyEEEESE_y11max_functorIyEyEEDaPvRmT3_T4_T5_mT6_P12ihipStream_tbENKUlT_T0_E_clISt17integral_constantIbLb1EEST_IbLb0EEEEDaSP_SQ_EUlSP_E0_NS1_11comp_targetILNS1_3genE0ELNS1_11target_archE4294967295ELNS1_3gpuE0ELNS1_3repE0EEENS1_30default_config_static_selectorELNS0_4arch9wavefront6targetE1EEEvT1_
                                        ; -- End function
	.section	.AMDGPU.csdata,"",@progbits
; Kernel info:
; codeLenInByte = 0
; NumSgprs: 4
; NumVgprs: 0
; NumAgprs: 0
; TotalNumVgprs: 0
; ScratchSize: 0
; MemoryBound: 0
; FloatMode: 240
; IeeeMode: 1
; LDSByteSize: 0 bytes/workgroup (compile time only)
; SGPRBlocks: 0
; VGPRBlocks: 0
; NumSGPRsForWavesPerEU: 4
; NumVGPRsForWavesPerEU: 1
; AccumOffset: 4
; Occupancy: 8
; WaveLimiterHint : 0
; COMPUTE_PGM_RSRC2:SCRATCH_EN: 0
; COMPUTE_PGM_RSRC2:USER_SGPR: 6
; COMPUTE_PGM_RSRC2:TRAP_HANDLER: 0
; COMPUTE_PGM_RSRC2:TGID_X_EN: 1
; COMPUTE_PGM_RSRC2:TGID_Y_EN: 0
; COMPUTE_PGM_RSRC2:TGID_Z_EN: 0
; COMPUTE_PGM_RSRC2:TIDIG_COMP_CNT: 0
; COMPUTE_PGM_RSRC3_GFX90A:ACCUM_OFFSET: 0
; COMPUTE_PGM_RSRC3_GFX90A:TG_SPLIT: 0
	.section	.text._ZN7rocprim17ROCPRIM_400000_NS6detail17trampoline_kernelINS0_14default_configENS1_20scan_config_selectorIyEEZZNS1_9scan_implILNS1_25lookback_scan_determinismE0ELb0ELb0ES3_N6thrust23THRUST_200600_302600_NS6detail15normal_iteratorINS9_10device_ptrIyEEEESE_y11max_functorIyEyEEDaPvRmT3_T4_T5_mT6_P12ihipStream_tbENKUlT_T0_E_clISt17integral_constantIbLb1EEST_IbLb0EEEEDaSP_SQ_EUlSP_E0_NS1_11comp_targetILNS1_3genE5ELNS1_11target_archE942ELNS1_3gpuE9ELNS1_3repE0EEENS1_30default_config_static_selectorELNS0_4arch9wavefront6targetE1EEEvT1_,"axG",@progbits,_ZN7rocprim17ROCPRIM_400000_NS6detail17trampoline_kernelINS0_14default_configENS1_20scan_config_selectorIyEEZZNS1_9scan_implILNS1_25lookback_scan_determinismE0ELb0ELb0ES3_N6thrust23THRUST_200600_302600_NS6detail15normal_iteratorINS9_10device_ptrIyEEEESE_y11max_functorIyEyEEDaPvRmT3_T4_T5_mT6_P12ihipStream_tbENKUlT_T0_E_clISt17integral_constantIbLb1EEST_IbLb0EEEEDaSP_SQ_EUlSP_E0_NS1_11comp_targetILNS1_3genE5ELNS1_11target_archE942ELNS1_3gpuE9ELNS1_3repE0EEENS1_30default_config_static_selectorELNS0_4arch9wavefront6targetE1EEEvT1_,comdat
	.protected	_ZN7rocprim17ROCPRIM_400000_NS6detail17trampoline_kernelINS0_14default_configENS1_20scan_config_selectorIyEEZZNS1_9scan_implILNS1_25lookback_scan_determinismE0ELb0ELb0ES3_N6thrust23THRUST_200600_302600_NS6detail15normal_iteratorINS9_10device_ptrIyEEEESE_y11max_functorIyEyEEDaPvRmT3_T4_T5_mT6_P12ihipStream_tbENKUlT_T0_E_clISt17integral_constantIbLb1EEST_IbLb0EEEEDaSP_SQ_EUlSP_E0_NS1_11comp_targetILNS1_3genE5ELNS1_11target_archE942ELNS1_3gpuE9ELNS1_3repE0EEENS1_30default_config_static_selectorELNS0_4arch9wavefront6targetE1EEEvT1_ ; -- Begin function _ZN7rocprim17ROCPRIM_400000_NS6detail17trampoline_kernelINS0_14default_configENS1_20scan_config_selectorIyEEZZNS1_9scan_implILNS1_25lookback_scan_determinismE0ELb0ELb0ES3_N6thrust23THRUST_200600_302600_NS6detail15normal_iteratorINS9_10device_ptrIyEEEESE_y11max_functorIyEyEEDaPvRmT3_T4_T5_mT6_P12ihipStream_tbENKUlT_T0_E_clISt17integral_constantIbLb1EEST_IbLb0EEEEDaSP_SQ_EUlSP_E0_NS1_11comp_targetILNS1_3genE5ELNS1_11target_archE942ELNS1_3gpuE9ELNS1_3repE0EEENS1_30default_config_static_selectorELNS0_4arch9wavefront6targetE1EEEvT1_
	.globl	_ZN7rocprim17ROCPRIM_400000_NS6detail17trampoline_kernelINS0_14default_configENS1_20scan_config_selectorIyEEZZNS1_9scan_implILNS1_25lookback_scan_determinismE0ELb0ELb0ES3_N6thrust23THRUST_200600_302600_NS6detail15normal_iteratorINS9_10device_ptrIyEEEESE_y11max_functorIyEyEEDaPvRmT3_T4_T5_mT6_P12ihipStream_tbENKUlT_T0_E_clISt17integral_constantIbLb1EEST_IbLb0EEEEDaSP_SQ_EUlSP_E0_NS1_11comp_targetILNS1_3genE5ELNS1_11target_archE942ELNS1_3gpuE9ELNS1_3repE0EEENS1_30default_config_static_selectorELNS0_4arch9wavefront6targetE1EEEvT1_
	.p2align	8
	.type	_ZN7rocprim17ROCPRIM_400000_NS6detail17trampoline_kernelINS0_14default_configENS1_20scan_config_selectorIyEEZZNS1_9scan_implILNS1_25lookback_scan_determinismE0ELb0ELb0ES3_N6thrust23THRUST_200600_302600_NS6detail15normal_iteratorINS9_10device_ptrIyEEEESE_y11max_functorIyEyEEDaPvRmT3_T4_T5_mT6_P12ihipStream_tbENKUlT_T0_E_clISt17integral_constantIbLb1EEST_IbLb0EEEEDaSP_SQ_EUlSP_E0_NS1_11comp_targetILNS1_3genE5ELNS1_11target_archE942ELNS1_3gpuE9ELNS1_3repE0EEENS1_30default_config_static_selectorELNS0_4arch9wavefront6targetE1EEEvT1_,@function
_ZN7rocprim17ROCPRIM_400000_NS6detail17trampoline_kernelINS0_14default_configENS1_20scan_config_selectorIyEEZZNS1_9scan_implILNS1_25lookback_scan_determinismE0ELb0ELb0ES3_N6thrust23THRUST_200600_302600_NS6detail15normal_iteratorINS9_10device_ptrIyEEEESE_y11max_functorIyEyEEDaPvRmT3_T4_T5_mT6_P12ihipStream_tbENKUlT_T0_E_clISt17integral_constantIbLb1EEST_IbLb0EEEEDaSP_SQ_EUlSP_E0_NS1_11comp_targetILNS1_3genE5ELNS1_11target_archE942ELNS1_3gpuE9ELNS1_3repE0EEENS1_30default_config_static_selectorELNS0_4arch9wavefront6targetE1EEEvT1_: ; @_ZN7rocprim17ROCPRIM_400000_NS6detail17trampoline_kernelINS0_14default_configENS1_20scan_config_selectorIyEEZZNS1_9scan_implILNS1_25lookback_scan_determinismE0ELb0ELb0ES3_N6thrust23THRUST_200600_302600_NS6detail15normal_iteratorINS9_10device_ptrIyEEEESE_y11max_functorIyEyEEDaPvRmT3_T4_T5_mT6_P12ihipStream_tbENKUlT_T0_E_clISt17integral_constantIbLb1EEST_IbLb0EEEEDaSP_SQ_EUlSP_E0_NS1_11comp_targetILNS1_3genE5ELNS1_11target_archE942ELNS1_3gpuE9ELNS1_3repE0EEENS1_30default_config_static_selectorELNS0_4arch9wavefront6targetE1EEEvT1_
; %bb.0:
	.section	.rodata,"a",@progbits
	.p2align	6, 0x0
	.amdhsa_kernel _ZN7rocprim17ROCPRIM_400000_NS6detail17trampoline_kernelINS0_14default_configENS1_20scan_config_selectorIyEEZZNS1_9scan_implILNS1_25lookback_scan_determinismE0ELb0ELb0ES3_N6thrust23THRUST_200600_302600_NS6detail15normal_iteratorINS9_10device_ptrIyEEEESE_y11max_functorIyEyEEDaPvRmT3_T4_T5_mT6_P12ihipStream_tbENKUlT_T0_E_clISt17integral_constantIbLb1EEST_IbLb0EEEEDaSP_SQ_EUlSP_E0_NS1_11comp_targetILNS1_3genE5ELNS1_11target_archE942ELNS1_3gpuE9ELNS1_3repE0EEENS1_30default_config_static_selectorELNS0_4arch9wavefront6targetE1EEEvT1_
		.amdhsa_group_segment_fixed_size 0
		.amdhsa_private_segment_fixed_size 0
		.amdhsa_kernarg_size 40
		.amdhsa_user_sgpr_count 6
		.amdhsa_user_sgpr_private_segment_buffer 1
		.amdhsa_user_sgpr_dispatch_ptr 0
		.amdhsa_user_sgpr_queue_ptr 0
		.amdhsa_user_sgpr_kernarg_segment_ptr 1
		.amdhsa_user_sgpr_dispatch_id 0
		.amdhsa_user_sgpr_flat_scratch_init 0
		.amdhsa_user_sgpr_kernarg_preload_length 0
		.amdhsa_user_sgpr_kernarg_preload_offset 0
		.amdhsa_user_sgpr_private_segment_size 0
		.amdhsa_uses_dynamic_stack 0
		.amdhsa_system_sgpr_private_segment_wavefront_offset 0
		.amdhsa_system_sgpr_workgroup_id_x 1
		.amdhsa_system_sgpr_workgroup_id_y 0
		.amdhsa_system_sgpr_workgroup_id_z 0
		.amdhsa_system_sgpr_workgroup_info 0
		.amdhsa_system_vgpr_workitem_id 0
		.amdhsa_next_free_vgpr 1
		.amdhsa_next_free_sgpr 0
		.amdhsa_accum_offset 4
		.amdhsa_reserve_vcc 0
		.amdhsa_reserve_flat_scratch 0
		.amdhsa_float_round_mode_32 0
		.amdhsa_float_round_mode_16_64 0
		.amdhsa_float_denorm_mode_32 3
		.amdhsa_float_denorm_mode_16_64 3
		.amdhsa_dx10_clamp 1
		.amdhsa_ieee_mode 1
		.amdhsa_fp16_overflow 0
		.amdhsa_tg_split 0
		.amdhsa_exception_fp_ieee_invalid_op 0
		.amdhsa_exception_fp_denorm_src 0
		.amdhsa_exception_fp_ieee_div_zero 0
		.amdhsa_exception_fp_ieee_overflow 0
		.amdhsa_exception_fp_ieee_underflow 0
		.amdhsa_exception_fp_ieee_inexact 0
		.amdhsa_exception_int_div_zero 0
	.end_amdhsa_kernel
	.section	.text._ZN7rocprim17ROCPRIM_400000_NS6detail17trampoline_kernelINS0_14default_configENS1_20scan_config_selectorIyEEZZNS1_9scan_implILNS1_25lookback_scan_determinismE0ELb0ELb0ES3_N6thrust23THRUST_200600_302600_NS6detail15normal_iteratorINS9_10device_ptrIyEEEESE_y11max_functorIyEyEEDaPvRmT3_T4_T5_mT6_P12ihipStream_tbENKUlT_T0_E_clISt17integral_constantIbLb1EEST_IbLb0EEEEDaSP_SQ_EUlSP_E0_NS1_11comp_targetILNS1_3genE5ELNS1_11target_archE942ELNS1_3gpuE9ELNS1_3repE0EEENS1_30default_config_static_selectorELNS0_4arch9wavefront6targetE1EEEvT1_,"axG",@progbits,_ZN7rocprim17ROCPRIM_400000_NS6detail17trampoline_kernelINS0_14default_configENS1_20scan_config_selectorIyEEZZNS1_9scan_implILNS1_25lookback_scan_determinismE0ELb0ELb0ES3_N6thrust23THRUST_200600_302600_NS6detail15normal_iteratorINS9_10device_ptrIyEEEESE_y11max_functorIyEyEEDaPvRmT3_T4_T5_mT6_P12ihipStream_tbENKUlT_T0_E_clISt17integral_constantIbLb1EEST_IbLb0EEEEDaSP_SQ_EUlSP_E0_NS1_11comp_targetILNS1_3genE5ELNS1_11target_archE942ELNS1_3gpuE9ELNS1_3repE0EEENS1_30default_config_static_selectorELNS0_4arch9wavefront6targetE1EEEvT1_,comdat
.Lfunc_end2145:
	.size	_ZN7rocprim17ROCPRIM_400000_NS6detail17trampoline_kernelINS0_14default_configENS1_20scan_config_selectorIyEEZZNS1_9scan_implILNS1_25lookback_scan_determinismE0ELb0ELb0ES3_N6thrust23THRUST_200600_302600_NS6detail15normal_iteratorINS9_10device_ptrIyEEEESE_y11max_functorIyEyEEDaPvRmT3_T4_T5_mT6_P12ihipStream_tbENKUlT_T0_E_clISt17integral_constantIbLb1EEST_IbLb0EEEEDaSP_SQ_EUlSP_E0_NS1_11comp_targetILNS1_3genE5ELNS1_11target_archE942ELNS1_3gpuE9ELNS1_3repE0EEENS1_30default_config_static_selectorELNS0_4arch9wavefront6targetE1EEEvT1_, .Lfunc_end2145-_ZN7rocprim17ROCPRIM_400000_NS6detail17trampoline_kernelINS0_14default_configENS1_20scan_config_selectorIyEEZZNS1_9scan_implILNS1_25lookback_scan_determinismE0ELb0ELb0ES3_N6thrust23THRUST_200600_302600_NS6detail15normal_iteratorINS9_10device_ptrIyEEEESE_y11max_functorIyEyEEDaPvRmT3_T4_T5_mT6_P12ihipStream_tbENKUlT_T0_E_clISt17integral_constantIbLb1EEST_IbLb0EEEEDaSP_SQ_EUlSP_E0_NS1_11comp_targetILNS1_3genE5ELNS1_11target_archE942ELNS1_3gpuE9ELNS1_3repE0EEENS1_30default_config_static_selectorELNS0_4arch9wavefront6targetE1EEEvT1_
                                        ; -- End function
	.section	.AMDGPU.csdata,"",@progbits
; Kernel info:
; codeLenInByte = 0
; NumSgprs: 4
; NumVgprs: 0
; NumAgprs: 0
; TotalNumVgprs: 0
; ScratchSize: 0
; MemoryBound: 0
; FloatMode: 240
; IeeeMode: 1
; LDSByteSize: 0 bytes/workgroup (compile time only)
; SGPRBlocks: 0
; VGPRBlocks: 0
; NumSGPRsForWavesPerEU: 4
; NumVGPRsForWavesPerEU: 1
; AccumOffset: 4
; Occupancy: 8
; WaveLimiterHint : 0
; COMPUTE_PGM_RSRC2:SCRATCH_EN: 0
; COMPUTE_PGM_RSRC2:USER_SGPR: 6
; COMPUTE_PGM_RSRC2:TRAP_HANDLER: 0
; COMPUTE_PGM_RSRC2:TGID_X_EN: 1
; COMPUTE_PGM_RSRC2:TGID_Y_EN: 0
; COMPUTE_PGM_RSRC2:TGID_Z_EN: 0
; COMPUTE_PGM_RSRC2:TIDIG_COMP_CNT: 0
; COMPUTE_PGM_RSRC3_GFX90A:ACCUM_OFFSET: 0
; COMPUTE_PGM_RSRC3_GFX90A:TG_SPLIT: 0
	.section	.text._ZN7rocprim17ROCPRIM_400000_NS6detail17trampoline_kernelINS0_14default_configENS1_20scan_config_selectorIyEEZZNS1_9scan_implILNS1_25lookback_scan_determinismE0ELb0ELb0ES3_N6thrust23THRUST_200600_302600_NS6detail15normal_iteratorINS9_10device_ptrIyEEEESE_y11max_functorIyEyEEDaPvRmT3_T4_T5_mT6_P12ihipStream_tbENKUlT_T0_E_clISt17integral_constantIbLb1EEST_IbLb0EEEEDaSP_SQ_EUlSP_E0_NS1_11comp_targetILNS1_3genE4ELNS1_11target_archE910ELNS1_3gpuE8ELNS1_3repE0EEENS1_30default_config_static_selectorELNS0_4arch9wavefront6targetE1EEEvT1_,"axG",@progbits,_ZN7rocprim17ROCPRIM_400000_NS6detail17trampoline_kernelINS0_14default_configENS1_20scan_config_selectorIyEEZZNS1_9scan_implILNS1_25lookback_scan_determinismE0ELb0ELb0ES3_N6thrust23THRUST_200600_302600_NS6detail15normal_iteratorINS9_10device_ptrIyEEEESE_y11max_functorIyEyEEDaPvRmT3_T4_T5_mT6_P12ihipStream_tbENKUlT_T0_E_clISt17integral_constantIbLb1EEST_IbLb0EEEEDaSP_SQ_EUlSP_E0_NS1_11comp_targetILNS1_3genE4ELNS1_11target_archE910ELNS1_3gpuE8ELNS1_3repE0EEENS1_30default_config_static_selectorELNS0_4arch9wavefront6targetE1EEEvT1_,comdat
	.protected	_ZN7rocprim17ROCPRIM_400000_NS6detail17trampoline_kernelINS0_14default_configENS1_20scan_config_selectorIyEEZZNS1_9scan_implILNS1_25lookback_scan_determinismE0ELb0ELb0ES3_N6thrust23THRUST_200600_302600_NS6detail15normal_iteratorINS9_10device_ptrIyEEEESE_y11max_functorIyEyEEDaPvRmT3_T4_T5_mT6_P12ihipStream_tbENKUlT_T0_E_clISt17integral_constantIbLb1EEST_IbLb0EEEEDaSP_SQ_EUlSP_E0_NS1_11comp_targetILNS1_3genE4ELNS1_11target_archE910ELNS1_3gpuE8ELNS1_3repE0EEENS1_30default_config_static_selectorELNS0_4arch9wavefront6targetE1EEEvT1_ ; -- Begin function _ZN7rocprim17ROCPRIM_400000_NS6detail17trampoline_kernelINS0_14default_configENS1_20scan_config_selectorIyEEZZNS1_9scan_implILNS1_25lookback_scan_determinismE0ELb0ELb0ES3_N6thrust23THRUST_200600_302600_NS6detail15normal_iteratorINS9_10device_ptrIyEEEESE_y11max_functorIyEyEEDaPvRmT3_T4_T5_mT6_P12ihipStream_tbENKUlT_T0_E_clISt17integral_constantIbLb1EEST_IbLb0EEEEDaSP_SQ_EUlSP_E0_NS1_11comp_targetILNS1_3genE4ELNS1_11target_archE910ELNS1_3gpuE8ELNS1_3repE0EEENS1_30default_config_static_selectorELNS0_4arch9wavefront6targetE1EEEvT1_
	.globl	_ZN7rocprim17ROCPRIM_400000_NS6detail17trampoline_kernelINS0_14default_configENS1_20scan_config_selectorIyEEZZNS1_9scan_implILNS1_25lookback_scan_determinismE0ELb0ELb0ES3_N6thrust23THRUST_200600_302600_NS6detail15normal_iteratorINS9_10device_ptrIyEEEESE_y11max_functorIyEyEEDaPvRmT3_T4_T5_mT6_P12ihipStream_tbENKUlT_T0_E_clISt17integral_constantIbLb1EEST_IbLb0EEEEDaSP_SQ_EUlSP_E0_NS1_11comp_targetILNS1_3genE4ELNS1_11target_archE910ELNS1_3gpuE8ELNS1_3repE0EEENS1_30default_config_static_selectorELNS0_4arch9wavefront6targetE1EEEvT1_
	.p2align	8
	.type	_ZN7rocprim17ROCPRIM_400000_NS6detail17trampoline_kernelINS0_14default_configENS1_20scan_config_selectorIyEEZZNS1_9scan_implILNS1_25lookback_scan_determinismE0ELb0ELb0ES3_N6thrust23THRUST_200600_302600_NS6detail15normal_iteratorINS9_10device_ptrIyEEEESE_y11max_functorIyEyEEDaPvRmT3_T4_T5_mT6_P12ihipStream_tbENKUlT_T0_E_clISt17integral_constantIbLb1EEST_IbLb0EEEEDaSP_SQ_EUlSP_E0_NS1_11comp_targetILNS1_3genE4ELNS1_11target_archE910ELNS1_3gpuE8ELNS1_3repE0EEENS1_30default_config_static_selectorELNS0_4arch9wavefront6targetE1EEEvT1_,@function
_ZN7rocprim17ROCPRIM_400000_NS6detail17trampoline_kernelINS0_14default_configENS1_20scan_config_selectorIyEEZZNS1_9scan_implILNS1_25lookback_scan_determinismE0ELb0ELb0ES3_N6thrust23THRUST_200600_302600_NS6detail15normal_iteratorINS9_10device_ptrIyEEEESE_y11max_functorIyEyEEDaPvRmT3_T4_T5_mT6_P12ihipStream_tbENKUlT_T0_E_clISt17integral_constantIbLb1EEST_IbLb0EEEEDaSP_SQ_EUlSP_E0_NS1_11comp_targetILNS1_3genE4ELNS1_11target_archE910ELNS1_3gpuE8ELNS1_3repE0EEENS1_30default_config_static_selectorELNS0_4arch9wavefront6targetE1EEEvT1_: ; @_ZN7rocprim17ROCPRIM_400000_NS6detail17trampoline_kernelINS0_14default_configENS1_20scan_config_selectorIyEEZZNS1_9scan_implILNS1_25lookback_scan_determinismE0ELb0ELb0ES3_N6thrust23THRUST_200600_302600_NS6detail15normal_iteratorINS9_10device_ptrIyEEEESE_y11max_functorIyEyEEDaPvRmT3_T4_T5_mT6_P12ihipStream_tbENKUlT_T0_E_clISt17integral_constantIbLb1EEST_IbLb0EEEEDaSP_SQ_EUlSP_E0_NS1_11comp_targetILNS1_3genE4ELNS1_11target_archE910ELNS1_3gpuE8ELNS1_3repE0EEENS1_30default_config_static_selectorELNS0_4arch9wavefront6targetE1EEEvT1_
; %bb.0:
	s_load_dwordx4 s[16:19], s[4:5], 0x0
	v_lshlrev_b32_e32 v36, 3, v0
	s_waitcnt lgkmcnt(0)
	s_load_dwordx2 s[14:15], s[16:17], 0x0
	v_cmp_gt_u32_e32 vcc, s18, v0
	s_waitcnt lgkmcnt(0)
	v_pk_mov_b32 v[2:3], s[14:15], s[14:15] op_sel:[0,1]
	s_and_saveexec_b64 s[0:1], vcc
	s_cbranch_execz .LBB2146_2
; %bb.1:
	global_load_dwordx2 v[2:3], v36, s[16:17]
.LBB2146_2:
	s_or_b64 exec, exec, s[0:1]
	v_or_b32_e32 v1, 0x80, v0
	v_cmp_gt_u32_e64 s[0:1], s18, v1
	v_pk_mov_b32 v[4:5], s[14:15], s[14:15] op_sel:[0,1]
	s_and_saveexec_b64 s[2:3], s[0:1]
	s_cbranch_execz .LBB2146_4
; %bb.3:
	global_load_dwordx2 v[4:5], v36, s[16:17] offset:1024
.LBB2146_4:
	s_or_b64 exec, exec, s[2:3]
	v_or_b32_e32 v1, 0x100, v0
	v_cmp_gt_u32_e64 s[2:3], s18, v1
	v_pk_mov_b32 v[6:7], s[14:15], s[14:15] op_sel:[0,1]
	s_and_saveexec_b64 s[6:7], s[2:3]
	s_cbranch_execz .LBB2146_6
; %bb.5:
	global_load_dwordx2 v[6:7], v36, s[16:17] offset:2048
.LBB2146_6:
	;; [unrolled: 9-line block ×3, first 2 shown]
	s_or_b64 exec, exec, s[6:7]
	v_or_b32_e32 v1, 0x200, v0
	v_cmp_gt_u32_e64 s[6:7], s18, v1
	v_pk_mov_b32 v[10:11], s[14:15], s[14:15] op_sel:[0,1]
	s_and_saveexec_b64 s[8:9], s[6:7]
	s_cbranch_execz .LBB2146_10
; %bb.9:
	v_lshlrev_b32_e32 v1, 3, v1
	global_load_dwordx2 v[10:11], v1, s[16:17]
.LBB2146_10:
	s_or_b64 exec, exec, s[8:9]
	v_or_b32_e32 v1, 0x280, v0
	v_cmp_gt_u32_e64 s[8:9], s18, v1
	v_pk_mov_b32 v[12:13], s[14:15], s[14:15] op_sel:[0,1]
	s_and_saveexec_b64 s[10:11], s[8:9]
	s_cbranch_execz .LBB2146_12
; %bb.11:
	v_lshlrev_b32_e32 v1, 3, v1
	global_load_dwordx2 v[12:13], v1, s[16:17]
.LBB2146_12:
	;; [unrolled: 10-line block ×3, first 2 shown]
	s_or_b64 exec, exec, s[14:15]
	v_mad_u32_u24 v1, v0, 48, v36
	s_waitcnt vmcnt(0)
	ds_write2st64_b64 v36, v[2:3], v[4:5] offset1:2
	ds_write2st64_b64 v36, v[6:7], v[8:9] offset0:4 offset1:6
	ds_write2st64_b64 v36, v[10:11], v[12:13] offset0:8 offset1:10
	ds_write_b64 v36, v[14:15] offset:6144
	s_waitcnt lgkmcnt(0)
	s_barrier
	ds_read2_b64 v[2:5], v1 offset1:1
	ds_read2_b64 v[10:13], v1 offset0:2 offset1:3
	ds_read2_b64 v[6:9], v1 offset0:4 offset1:5
	ds_read_b64 v[26:27], v1 offset:48
	s_load_dwordx2 s[16:17], s[4:5], 0x20
	s_waitcnt lgkmcnt(0)
	v_cmp_gt_u64_e64 s[4:5], v[2:3], v[4:5]
	v_cndmask_b32_e64 v19, v5, v3, s[4:5]
	v_cndmask_b32_e64 v18, v4, v2, s[4:5]
	v_cmp_gt_u64_e64 s[4:5], v[18:19], v[10:11]
	v_cndmask_b32_e64 v21, v11, v19, s[4:5]
	v_cndmask_b32_e64 v20, v10, v18, s[4:5]
	;; [unrolled: 3-line block ×5, first 2 shown]
	v_lshrrev_b32_e32 v14, 2, v0
	v_cmp_gt_u64_e64 s[4:5], v[28:29], v[26:27]
	v_and_b32_e32 v14, 24, v14
	v_cndmask_b32_e64 v31, v27, v29, s[4:5]
	v_cndmask_b32_e64 v30, v26, v28, s[4:5]
	v_add_u32_e32 v14, v36, v14
	v_cmp_gt_u32_e64 s[4:5], 64, v0
	s_barrier
	ds_write_b64 v14, v[30:31]
	s_waitcnt lgkmcnt(0)
	s_barrier
	s_and_saveexec_b64 s[18:19], s[4:5]
	s_cbranch_execz .LBB2146_18
; %bb.15:
	v_lshlrev_b32_e32 v14, 1, v0
	v_lshrrev_b32_e32 v15, 4, v0
	v_add_lshl_u32 v37, v15, v14, 3
	ds_read2_b64 v[14:17], v37 offset1:1
	v_mbcnt_lo_u32_b32 v32, -1, 0
	v_mbcnt_hi_u32_b32 v38, -1, v32
	v_and_b32_e32 v39, 15, v38
	v_and_b32_e32 v41, 16, v38
	s_waitcnt lgkmcnt(0)
	v_cmp_gt_u64_e64 s[4:5], v[14:15], v[16:17]
	v_cndmask_b32_e64 v17, v17, v15, s[4:5]
	v_cndmask_b32_e64 v16, v16, v14, s[4:5]
	v_cmp_ne_u32_e64 s[14:15], 0, v38
	v_mov_b32_dpp v33, v17 row_shr:1 row_mask:0xf bank_mask:0xf
	v_mov_b32_dpp v32, v16 row_shr:1 row_mask:0xf bank_mask:0xf
	v_cmp_gt_u64_e64 s[4:5], v[32:33], v[16:17]
	v_cndmask_b32_e64 v32, v16, v32, s[4:5]
	v_cndmask_b32_e64 v33, v17, v33, s[4:5]
	v_cmp_eq_u32_e64 s[4:5], 0, v39
	v_cndmask_b32_e64 v33, v33, v17, s[4:5]
	v_cndmask_b32_e64 v32, v32, v16, s[4:5]
	s_nop 0
	v_mov_b32_dpp v35, v33 row_shr:2 row_mask:0xf bank_mask:0xf
	v_mov_b32_dpp v34, v32 row_shr:2 row_mask:0xf bank_mask:0xf
	v_cmp_gt_u64_e64 s[4:5], v[34:35], v[32:33]
	v_cndmask_b32_e64 v34, v32, v34, s[4:5]
	v_cndmask_b32_e64 v35, v33, v35, s[4:5]
	v_cmp_lt_u32_e64 s[4:5], 1, v39
	v_cndmask_b32_e64 v33, v33, v35, s[4:5]
	v_cndmask_b32_e64 v32, v32, v34, s[4:5]
	s_nop 0
	v_mov_b32_dpp v35, v33 row_shr:4 row_mask:0xf bank_mask:0xf
	v_mov_b32_dpp v34, v32 row_shr:4 row_mask:0xf bank_mask:0xf
	v_cmp_gt_u64_e64 s[4:5], v[34:35], v[32:33]
	v_cndmask_b32_e64 v34, v32, v34, s[4:5]
	v_cndmask_b32_e64 v35, v33, v35, s[4:5]
	v_cmp_lt_u32_e64 s[4:5], 3, v39
	;; [unrolled: 9-line block ×3, first 2 shown]
	v_cndmask_b32_e64 v33, v33, v35, s[4:5]
	v_cndmask_b32_e64 v32, v32, v34, s[4:5]
	s_nop 0
	v_mov_b32_dpp v35, v33 row_bcast:15 row_mask:0xf bank_mask:0xf
	v_mov_b32_dpp v34, v32 row_bcast:15 row_mask:0xf bank_mask:0xf
	v_cmp_gt_u64_e64 s[4:5], v[34:35], v[32:33]
	v_cndmask_b32_e64 v39, v33, v35, s[4:5]
	v_cndmask_b32_e64 v40, v32, v34, s[4:5]
	v_cmp_eq_u32_e64 s[4:5], 0, v41
	v_cndmask_b32_e64 v35, v39, v33, s[4:5]
	v_cndmask_b32_e64 v34, v40, v32, s[4:5]
	s_nop 0
	v_mov_b32_dpp v35, v35 row_bcast:31 row_mask:0xf bank_mask:0xf
	v_mov_b32_dpp v34, v34 row_bcast:31 row_mask:0xf bank_mask:0xf
	s_and_saveexec_b64 s[20:21], s[14:15]
; %bb.16:
	v_cndmask_b32_e64 v17, v39, v33, s[4:5]
	v_cndmask_b32_e64 v16, v40, v32, s[4:5]
	v_cmp_lt_u32_e64 s[14:15], 31, v38
	v_cmp_gt_u64_e64 s[4:5], v[34:35], v[16:17]
	s_and_b64 s[4:5], s[14:15], s[4:5]
	v_cndmask_b32_e64 v16, v16, v34, s[4:5]
	v_cndmask_b32_e64 v17, v17, v35, s[4:5]
; %bb.17:
	s_or_b64 exec, exec, s[20:21]
	v_add_u32_e32 v32, -1, v38
	v_and_b32_e32 v33, 64, v38
	v_cmp_lt_i32_e64 s[4:5], v32, v33
	v_cndmask_b32_e64 v32, v32, v38, s[4:5]
	v_lshlrev_b32_e32 v32, 2, v32
	ds_bpermute_b32 v16, v32, v16
	ds_bpermute_b32 v17, v32, v17
	; wave barrier
	s_waitcnt lgkmcnt(0)
	v_cmp_gt_u64_e64 s[4:5], v[16:17], v[14:15]
	v_cndmask_b32_e64 v14, v14, v16, s[4:5]
	v_cndmask_b32_e64 v15, v15, v17, s[4:5]
	v_cmp_eq_u32_e64 s[4:5], 0, v0
	v_cndmask_b32_e64 v15, v15, v31, s[4:5]
	v_cndmask_b32_e64 v14, v14, v30, s[4:5]
	ds_write_b64 v37, v[14:15]
	; wave barrier
	ds_read_b64 v[16:17], v37 offset:8
	s_waitcnt lgkmcnt(0)
	v_cmp_gt_u64_e64 s[4:5], v[14:15], v[16:17]
	v_cndmask_b32_e64 v15, v17, v15, s[4:5]
	v_cndmask_b32_e64 v14, v16, v14, s[4:5]
	ds_write_b64 v37, v[14:15] offset:8
.LBB2146_18:
	s_or_b64 exec, exec, s[18:19]
	v_cmp_ne_u32_e64 s[4:5], 0, v0
	v_pk_mov_b32 v[14:15], v[30:31], v[30:31] op_sel:[0,1]
	s_waitcnt lgkmcnt(0)
	s_barrier
	s_and_saveexec_b64 s[14:15], s[4:5]
	s_cbranch_execz .LBB2146_20
; %bb.19:
	v_add_u32_e32 v14, -1, v0
	v_lshrrev_b32_e32 v15, 5, v14
	v_add_lshl_u32 v14, v15, v14, 3
	ds_read_b64 v[14:15], v14
.LBB2146_20:
	s_or_b64 exec, exec, s[14:15]
	s_and_saveexec_b64 s[14:15], s[4:5]
	s_cbranch_execz .LBB2146_22
; %bb.21:
	s_waitcnt lgkmcnt(0)
	v_cmp_gt_u64_e64 s[4:5], v[14:15], v[2:3]
	v_cndmask_b32_e64 v3, v3, v15, s[4:5]
	v_cndmask_b32_e64 v2, v2, v14, s[4:5]
	v_cmp_gt_u64_e64 s[4:5], v[2:3], v[4:5]
	v_cndmask_b32_e64 v19, v5, v3, s[4:5]
	v_cndmask_b32_e64 v18, v4, v2, s[4:5]
	;; [unrolled: 3-line block ×7, first 2 shown]
	;;#ASMSTART
	;;#ASMEND
.LBB2146_22:
	s_or_b64 exec, exec, s[14:15]
	s_movk_i32 s4, 0xffd0
	v_mad_i32_i24 v0, v0, s4, v1
	s_waitcnt lgkmcnt(0)
	s_barrier
	ds_write2_b64 v1, v[2:3], v[18:19] offset1:1
	ds_write2_b64 v1, v[20:21], v[22:23] offset0:2 offset1:3
	ds_write2_b64 v1, v[24:25], v[28:29] offset0:4 offset1:5
	ds_write_b64 v1, v[30:31] offset:48
	s_waitcnt lgkmcnt(0)
	s_barrier
	ds_read2st64_b64 v[8:11], v0 offset0:2 offset1:4
	ds_read2st64_b64 v[4:7], v0 offset0:6 offset1:8
	;; [unrolled: 1-line block ×3, first 2 shown]
	v_mov_b32_e32 v13, s17
	v_add_co_u32_e64 v12, s[4:5], s16, v36
	v_addc_co_u32_e64 v13, s[4:5], 0, v13, s[4:5]
	s_and_saveexec_b64 s[4:5], vcc
	s_cbranch_execnz .LBB2146_30
; %bb.23:
	s_or_b64 exec, exec, s[4:5]
	s_and_saveexec_b64 s[4:5], s[0:1]
	s_cbranch_execnz .LBB2146_31
.LBB2146_24:
	s_or_b64 exec, exec, s[4:5]
	s_and_saveexec_b64 s[0:1], s[2:3]
	s_cbranch_execnz .LBB2146_32
.LBB2146_25:
	s_or_b64 exec, exec, s[0:1]
	s_and_saveexec_b64 s[0:1], s[12:13]
	s_cbranch_execnz .LBB2146_33
.LBB2146_26:
	s_or_b64 exec, exec, s[0:1]
	s_and_saveexec_b64 s[0:1], s[6:7]
	s_cbranch_execnz .LBB2146_34
.LBB2146_27:
	s_or_b64 exec, exec, s[0:1]
	s_and_saveexec_b64 s[0:1], s[8:9]
	s_cbranch_execnz .LBB2146_35
.LBB2146_28:
	s_or_b64 exec, exec, s[0:1]
	s_and_saveexec_b64 s[0:1], s[10:11]
	s_cbranch_execnz .LBB2146_36
.LBB2146_29:
	s_endpgm
.LBB2146_30:
	ds_read_b64 v[14:15], v36
	s_waitcnt lgkmcnt(0)
	global_store_dwordx2 v[12:13], v[14:15], off
	s_or_b64 exec, exec, s[4:5]
	s_and_saveexec_b64 s[4:5], s[0:1]
	s_cbranch_execz .LBB2146_24
.LBB2146_31:
	s_waitcnt lgkmcnt(2)
	global_store_dwordx2 v[12:13], v[8:9], off offset:1024
	s_or_b64 exec, exec, s[4:5]
	s_and_saveexec_b64 s[0:1], s[2:3]
	s_cbranch_execz .LBB2146_25
.LBB2146_32:
	s_waitcnt lgkmcnt(2)
	global_store_dwordx2 v[12:13], v[10:11], off offset:2048
	s_or_b64 exec, exec, s[0:1]
	s_and_saveexec_b64 s[0:1], s[12:13]
	s_cbranch_execz .LBB2146_26
.LBB2146_33:
	s_waitcnt lgkmcnt(1)
	global_store_dwordx2 v[12:13], v[4:5], off offset:3072
	s_or_b64 exec, exec, s[0:1]
	s_and_saveexec_b64 s[0:1], s[6:7]
	s_cbranch_execz .LBB2146_27
.LBB2146_34:
	s_waitcnt lgkmcnt(1)
	v_add_co_u32_e32 v4, vcc, 0x1000, v12
	v_addc_co_u32_e32 v5, vcc, 0, v13, vcc
	global_store_dwordx2 v[4:5], v[6:7], off
	s_or_b64 exec, exec, s[0:1]
	s_and_saveexec_b64 s[0:1], s[8:9]
	s_cbranch_execz .LBB2146_28
.LBB2146_35:
	s_waitcnt lgkmcnt(1)
	v_add_co_u32_e32 v4, vcc, 0x1000, v12
	v_addc_co_u32_e32 v5, vcc, 0, v13, vcc
	s_waitcnt lgkmcnt(0)
	global_store_dwordx2 v[4:5], v[0:1], off offset:1024
	s_or_b64 exec, exec, s[0:1]
	s_and_saveexec_b64 s[0:1], s[10:11]
	s_cbranch_execz .LBB2146_29
.LBB2146_36:
	s_waitcnt lgkmcnt(0)
	v_add_co_u32_e32 v0, vcc, 0x1000, v12
	v_addc_co_u32_e32 v1, vcc, 0, v13, vcc
	global_store_dwordx2 v[0:1], v[2:3], off offset:2048
	s_endpgm
	.section	.rodata,"a",@progbits
	.p2align	6, 0x0
	.amdhsa_kernel _ZN7rocprim17ROCPRIM_400000_NS6detail17trampoline_kernelINS0_14default_configENS1_20scan_config_selectorIyEEZZNS1_9scan_implILNS1_25lookback_scan_determinismE0ELb0ELb0ES3_N6thrust23THRUST_200600_302600_NS6detail15normal_iteratorINS9_10device_ptrIyEEEESE_y11max_functorIyEyEEDaPvRmT3_T4_T5_mT6_P12ihipStream_tbENKUlT_T0_E_clISt17integral_constantIbLb1EEST_IbLb0EEEEDaSP_SQ_EUlSP_E0_NS1_11comp_targetILNS1_3genE4ELNS1_11target_archE910ELNS1_3gpuE8ELNS1_3repE0EEENS1_30default_config_static_selectorELNS0_4arch9wavefront6targetE1EEEvT1_
		.amdhsa_group_segment_fixed_size 7168
		.amdhsa_private_segment_fixed_size 0
		.amdhsa_kernarg_size 40
		.amdhsa_user_sgpr_count 6
		.amdhsa_user_sgpr_private_segment_buffer 1
		.amdhsa_user_sgpr_dispatch_ptr 0
		.amdhsa_user_sgpr_queue_ptr 0
		.amdhsa_user_sgpr_kernarg_segment_ptr 1
		.amdhsa_user_sgpr_dispatch_id 0
		.amdhsa_user_sgpr_flat_scratch_init 0
		.amdhsa_user_sgpr_kernarg_preload_length 0
		.amdhsa_user_sgpr_kernarg_preload_offset 0
		.amdhsa_user_sgpr_private_segment_size 0
		.amdhsa_uses_dynamic_stack 0
		.amdhsa_system_sgpr_private_segment_wavefront_offset 0
		.amdhsa_system_sgpr_workgroup_id_x 1
		.amdhsa_system_sgpr_workgroup_id_y 0
		.amdhsa_system_sgpr_workgroup_id_z 0
		.amdhsa_system_sgpr_workgroup_info 0
		.amdhsa_system_vgpr_workitem_id 0
		.amdhsa_next_free_vgpr 42
		.amdhsa_next_free_sgpr 22
		.amdhsa_accum_offset 44
		.amdhsa_reserve_vcc 1
		.amdhsa_reserve_flat_scratch 0
		.amdhsa_float_round_mode_32 0
		.amdhsa_float_round_mode_16_64 0
		.amdhsa_float_denorm_mode_32 3
		.amdhsa_float_denorm_mode_16_64 3
		.amdhsa_dx10_clamp 1
		.amdhsa_ieee_mode 1
		.amdhsa_fp16_overflow 0
		.amdhsa_tg_split 0
		.amdhsa_exception_fp_ieee_invalid_op 0
		.amdhsa_exception_fp_denorm_src 0
		.amdhsa_exception_fp_ieee_div_zero 0
		.amdhsa_exception_fp_ieee_overflow 0
		.amdhsa_exception_fp_ieee_underflow 0
		.amdhsa_exception_fp_ieee_inexact 0
		.amdhsa_exception_int_div_zero 0
	.end_amdhsa_kernel
	.section	.text._ZN7rocprim17ROCPRIM_400000_NS6detail17trampoline_kernelINS0_14default_configENS1_20scan_config_selectorIyEEZZNS1_9scan_implILNS1_25lookback_scan_determinismE0ELb0ELb0ES3_N6thrust23THRUST_200600_302600_NS6detail15normal_iteratorINS9_10device_ptrIyEEEESE_y11max_functorIyEyEEDaPvRmT3_T4_T5_mT6_P12ihipStream_tbENKUlT_T0_E_clISt17integral_constantIbLb1EEST_IbLb0EEEEDaSP_SQ_EUlSP_E0_NS1_11comp_targetILNS1_3genE4ELNS1_11target_archE910ELNS1_3gpuE8ELNS1_3repE0EEENS1_30default_config_static_selectorELNS0_4arch9wavefront6targetE1EEEvT1_,"axG",@progbits,_ZN7rocprim17ROCPRIM_400000_NS6detail17trampoline_kernelINS0_14default_configENS1_20scan_config_selectorIyEEZZNS1_9scan_implILNS1_25lookback_scan_determinismE0ELb0ELb0ES3_N6thrust23THRUST_200600_302600_NS6detail15normal_iteratorINS9_10device_ptrIyEEEESE_y11max_functorIyEyEEDaPvRmT3_T4_T5_mT6_P12ihipStream_tbENKUlT_T0_E_clISt17integral_constantIbLb1EEST_IbLb0EEEEDaSP_SQ_EUlSP_E0_NS1_11comp_targetILNS1_3genE4ELNS1_11target_archE910ELNS1_3gpuE8ELNS1_3repE0EEENS1_30default_config_static_selectorELNS0_4arch9wavefront6targetE1EEEvT1_,comdat
.Lfunc_end2146:
	.size	_ZN7rocprim17ROCPRIM_400000_NS6detail17trampoline_kernelINS0_14default_configENS1_20scan_config_selectorIyEEZZNS1_9scan_implILNS1_25lookback_scan_determinismE0ELb0ELb0ES3_N6thrust23THRUST_200600_302600_NS6detail15normal_iteratorINS9_10device_ptrIyEEEESE_y11max_functorIyEyEEDaPvRmT3_T4_T5_mT6_P12ihipStream_tbENKUlT_T0_E_clISt17integral_constantIbLb1EEST_IbLb0EEEEDaSP_SQ_EUlSP_E0_NS1_11comp_targetILNS1_3genE4ELNS1_11target_archE910ELNS1_3gpuE8ELNS1_3repE0EEENS1_30default_config_static_selectorELNS0_4arch9wavefront6targetE1EEEvT1_, .Lfunc_end2146-_ZN7rocprim17ROCPRIM_400000_NS6detail17trampoline_kernelINS0_14default_configENS1_20scan_config_selectorIyEEZZNS1_9scan_implILNS1_25lookback_scan_determinismE0ELb0ELb0ES3_N6thrust23THRUST_200600_302600_NS6detail15normal_iteratorINS9_10device_ptrIyEEEESE_y11max_functorIyEyEEDaPvRmT3_T4_T5_mT6_P12ihipStream_tbENKUlT_T0_E_clISt17integral_constantIbLb1EEST_IbLb0EEEEDaSP_SQ_EUlSP_E0_NS1_11comp_targetILNS1_3genE4ELNS1_11target_archE910ELNS1_3gpuE8ELNS1_3repE0EEENS1_30default_config_static_selectorELNS0_4arch9wavefront6targetE1EEEvT1_
                                        ; -- End function
	.section	.AMDGPU.csdata,"",@progbits
; Kernel info:
; codeLenInByte = 1916
; NumSgprs: 26
; NumVgprs: 42
; NumAgprs: 0
; TotalNumVgprs: 42
; ScratchSize: 0
; MemoryBound: 0
; FloatMode: 240
; IeeeMode: 1
; LDSByteSize: 7168 bytes/workgroup (compile time only)
; SGPRBlocks: 3
; VGPRBlocks: 5
; NumSGPRsForWavesPerEU: 26
; NumVGPRsForWavesPerEU: 42
; AccumOffset: 44
; Occupancy: 5
; WaveLimiterHint : 0
; COMPUTE_PGM_RSRC2:SCRATCH_EN: 0
; COMPUTE_PGM_RSRC2:USER_SGPR: 6
; COMPUTE_PGM_RSRC2:TRAP_HANDLER: 0
; COMPUTE_PGM_RSRC2:TGID_X_EN: 1
; COMPUTE_PGM_RSRC2:TGID_Y_EN: 0
; COMPUTE_PGM_RSRC2:TGID_Z_EN: 0
; COMPUTE_PGM_RSRC2:TIDIG_COMP_CNT: 0
; COMPUTE_PGM_RSRC3_GFX90A:ACCUM_OFFSET: 10
; COMPUTE_PGM_RSRC3_GFX90A:TG_SPLIT: 0
	.section	.text._ZN7rocprim17ROCPRIM_400000_NS6detail17trampoline_kernelINS0_14default_configENS1_20scan_config_selectorIyEEZZNS1_9scan_implILNS1_25lookback_scan_determinismE0ELb0ELb0ES3_N6thrust23THRUST_200600_302600_NS6detail15normal_iteratorINS9_10device_ptrIyEEEESE_y11max_functorIyEyEEDaPvRmT3_T4_T5_mT6_P12ihipStream_tbENKUlT_T0_E_clISt17integral_constantIbLb1EEST_IbLb0EEEEDaSP_SQ_EUlSP_E0_NS1_11comp_targetILNS1_3genE3ELNS1_11target_archE908ELNS1_3gpuE7ELNS1_3repE0EEENS1_30default_config_static_selectorELNS0_4arch9wavefront6targetE1EEEvT1_,"axG",@progbits,_ZN7rocprim17ROCPRIM_400000_NS6detail17trampoline_kernelINS0_14default_configENS1_20scan_config_selectorIyEEZZNS1_9scan_implILNS1_25lookback_scan_determinismE0ELb0ELb0ES3_N6thrust23THRUST_200600_302600_NS6detail15normal_iteratorINS9_10device_ptrIyEEEESE_y11max_functorIyEyEEDaPvRmT3_T4_T5_mT6_P12ihipStream_tbENKUlT_T0_E_clISt17integral_constantIbLb1EEST_IbLb0EEEEDaSP_SQ_EUlSP_E0_NS1_11comp_targetILNS1_3genE3ELNS1_11target_archE908ELNS1_3gpuE7ELNS1_3repE0EEENS1_30default_config_static_selectorELNS0_4arch9wavefront6targetE1EEEvT1_,comdat
	.protected	_ZN7rocprim17ROCPRIM_400000_NS6detail17trampoline_kernelINS0_14default_configENS1_20scan_config_selectorIyEEZZNS1_9scan_implILNS1_25lookback_scan_determinismE0ELb0ELb0ES3_N6thrust23THRUST_200600_302600_NS6detail15normal_iteratorINS9_10device_ptrIyEEEESE_y11max_functorIyEyEEDaPvRmT3_T4_T5_mT6_P12ihipStream_tbENKUlT_T0_E_clISt17integral_constantIbLb1EEST_IbLb0EEEEDaSP_SQ_EUlSP_E0_NS1_11comp_targetILNS1_3genE3ELNS1_11target_archE908ELNS1_3gpuE7ELNS1_3repE0EEENS1_30default_config_static_selectorELNS0_4arch9wavefront6targetE1EEEvT1_ ; -- Begin function _ZN7rocprim17ROCPRIM_400000_NS6detail17trampoline_kernelINS0_14default_configENS1_20scan_config_selectorIyEEZZNS1_9scan_implILNS1_25lookback_scan_determinismE0ELb0ELb0ES3_N6thrust23THRUST_200600_302600_NS6detail15normal_iteratorINS9_10device_ptrIyEEEESE_y11max_functorIyEyEEDaPvRmT3_T4_T5_mT6_P12ihipStream_tbENKUlT_T0_E_clISt17integral_constantIbLb1EEST_IbLb0EEEEDaSP_SQ_EUlSP_E0_NS1_11comp_targetILNS1_3genE3ELNS1_11target_archE908ELNS1_3gpuE7ELNS1_3repE0EEENS1_30default_config_static_selectorELNS0_4arch9wavefront6targetE1EEEvT1_
	.globl	_ZN7rocprim17ROCPRIM_400000_NS6detail17trampoline_kernelINS0_14default_configENS1_20scan_config_selectorIyEEZZNS1_9scan_implILNS1_25lookback_scan_determinismE0ELb0ELb0ES3_N6thrust23THRUST_200600_302600_NS6detail15normal_iteratorINS9_10device_ptrIyEEEESE_y11max_functorIyEyEEDaPvRmT3_T4_T5_mT6_P12ihipStream_tbENKUlT_T0_E_clISt17integral_constantIbLb1EEST_IbLb0EEEEDaSP_SQ_EUlSP_E0_NS1_11comp_targetILNS1_3genE3ELNS1_11target_archE908ELNS1_3gpuE7ELNS1_3repE0EEENS1_30default_config_static_selectorELNS0_4arch9wavefront6targetE1EEEvT1_
	.p2align	8
	.type	_ZN7rocprim17ROCPRIM_400000_NS6detail17trampoline_kernelINS0_14default_configENS1_20scan_config_selectorIyEEZZNS1_9scan_implILNS1_25lookback_scan_determinismE0ELb0ELb0ES3_N6thrust23THRUST_200600_302600_NS6detail15normal_iteratorINS9_10device_ptrIyEEEESE_y11max_functorIyEyEEDaPvRmT3_T4_T5_mT6_P12ihipStream_tbENKUlT_T0_E_clISt17integral_constantIbLb1EEST_IbLb0EEEEDaSP_SQ_EUlSP_E0_NS1_11comp_targetILNS1_3genE3ELNS1_11target_archE908ELNS1_3gpuE7ELNS1_3repE0EEENS1_30default_config_static_selectorELNS0_4arch9wavefront6targetE1EEEvT1_,@function
_ZN7rocprim17ROCPRIM_400000_NS6detail17trampoline_kernelINS0_14default_configENS1_20scan_config_selectorIyEEZZNS1_9scan_implILNS1_25lookback_scan_determinismE0ELb0ELb0ES3_N6thrust23THRUST_200600_302600_NS6detail15normal_iteratorINS9_10device_ptrIyEEEESE_y11max_functorIyEyEEDaPvRmT3_T4_T5_mT6_P12ihipStream_tbENKUlT_T0_E_clISt17integral_constantIbLb1EEST_IbLb0EEEEDaSP_SQ_EUlSP_E0_NS1_11comp_targetILNS1_3genE3ELNS1_11target_archE908ELNS1_3gpuE7ELNS1_3repE0EEENS1_30default_config_static_selectorELNS0_4arch9wavefront6targetE1EEEvT1_: ; @_ZN7rocprim17ROCPRIM_400000_NS6detail17trampoline_kernelINS0_14default_configENS1_20scan_config_selectorIyEEZZNS1_9scan_implILNS1_25lookback_scan_determinismE0ELb0ELb0ES3_N6thrust23THRUST_200600_302600_NS6detail15normal_iteratorINS9_10device_ptrIyEEEESE_y11max_functorIyEyEEDaPvRmT3_T4_T5_mT6_P12ihipStream_tbENKUlT_T0_E_clISt17integral_constantIbLb1EEST_IbLb0EEEEDaSP_SQ_EUlSP_E0_NS1_11comp_targetILNS1_3genE3ELNS1_11target_archE908ELNS1_3gpuE7ELNS1_3repE0EEENS1_30default_config_static_selectorELNS0_4arch9wavefront6targetE1EEEvT1_
; %bb.0:
	.section	.rodata,"a",@progbits
	.p2align	6, 0x0
	.amdhsa_kernel _ZN7rocprim17ROCPRIM_400000_NS6detail17trampoline_kernelINS0_14default_configENS1_20scan_config_selectorIyEEZZNS1_9scan_implILNS1_25lookback_scan_determinismE0ELb0ELb0ES3_N6thrust23THRUST_200600_302600_NS6detail15normal_iteratorINS9_10device_ptrIyEEEESE_y11max_functorIyEyEEDaPvRmT3_T4_T5_mT6_P12ihipStream_tbENKUlT_T0_E_clISt17integral_constantIbLb1EEST_IbLb0EEEEDaSP_SQ_EUlSP_E0_NS1_11comp_targetILNS1_3genE3ELNS1_11target_archE908ELNS1_3gpuE7ELNS1_3repE0EEENS1_30default_config_static_selectorELNS0_4arch9wavefront6targetE1EEEvT1_
		.amdhsa_group_segment_fixed_size 0
		.amdhsa_private_segment_fixed_size 0
		.amdhsa_kernarg_size 40
		.amdhsa_user_sgpr_count 6
		.amdhsa_user_sgpr_private_segment_buffer 1
		.amdhsa_user_sgpr_dispatch_ptr 0
		.amdhsa_user_sgpr_queue_ptr 0
		.amdhsa_user_sgpr_kernarg_segment_ptr 1
		.amdhsa_user_sgpr_dispatch_id 0
		.amdhsa_user_sgpr_flat_scratch_init 0
		.amdhsa_user_sgpr_kernarg_preload_length 0
		.amdhsa_user_sgpr_kernarg_preload_offset 0
		.amdhsa_user_sgpr_private_segment_size 0
		.amdhsa_uses_dynamic_stack 0
		.amdhsa_system_sgpr_private_segment_wavefront_offset 0
		.amdhsa_system_sgpr_workgroup_id_x 1
		.amdhsa_system_sgpr_workgroup_id_y 0
		.amdhsa_system_sgpr_workgroup_id_z 0
		.amdhsa_system_sgpr_workgroup_info 0
		.amdhsa_system_vgpr_workitem_id 0
		.amdhsa_next_free_vgpr 1
		.amdhsa_next_free_sgpr 0
		.amdhsa_accum_offset 4
		.amdhsa_reserve_vcc 0
		.amdhsa_reserve_flat_scratch 0
		.amdhsa_float_round_mode_32 0
		.amdhsa_float_round_mode_16_64 0
		.amdhsa_float_denorm_mode_32 3
		.amdhsa_float_denorm_mode_16_64 3
		.amdhsa_dx10_clamp 1
		.amdhsa_ieee_mode 1
		.amdhsa_fp16_overflow 0
		.amdhsa_tg_split 0
		.amdhsa_exception_fp_ieee_invalid_op 0
		.amdhsa_exception_fp_denorm_src 0
		.amdhsa_exception_fp_ieee_div_zero 0
		.amdhsa_exception_fp_ieee_overflow 0
		.amdhsa_exception_fp_ieee_underflow 0
		.amdhsa_exception_fp_ieee_inexact 0
		.amdhsa_exception_int_div_zero 0
	.end_amdhsa_kernel
	.section	.text._ZN7rocprim17ROCPRIM_400000_NS6detail17trampoline_kernelINS0_14default_configENS1_20scan_config_selectorIyEEZZNS1_9scan_implILNS1_25lookback_scan_determinismE0ELb0ELb0ES3_N6thrust23THRUST_200600_302600_NS6detail15normal_iteratorINS9_10device_ptrIyEEEESE_y11max_functorIyEyEEDaPvRmT3_T4_T5_mT6_P12ihipStream_tbENKUlT_T0_E_clISt17integral_constantIbLb1EEST_IbLb0EEEEDaSP_SQ_EUlSP_E0_NS1_11comp_targetILNS1_3genE3ELNS1_11target_archE908ELNS1_3gpuE7ELNS1_3repE0EEENS1_30default_config_static_selectorELNS0_4arch9wavefront6targetE1EEEvT1_,"axG",@progbits,_ZN7rocprim17ROCPRIM_400000_NS6detail17trampoline_kernelINS0_14default_configENS1_20scan_config_selectorIyEEZZNS1_9scan_implILNS1_25lookback_scan_determinismE0ELb0ELb0ES3_N6thrust23THRUST_200600_302600_NS6detail15normal_iteratorINS9_10device_ptrIyEEEESE_y11max_functorIyEyEEDaPvRmT3_T4_T5_mT6_P12ihipStream_tbENKUlT_T0_E_clISt17integral_constantIbLb1EEST_IbLb0EEEEDaSP_SQ_EUlSP_E0_NS1_11comp_targetILNS1_3genE3ELNS1_11target_archE908ELNS1_3gpuE7ELNS1_3repE0EEENS1_30default_config_static_selectorELNS0_4arch9wavefront6targetE1EEEvT1_,comdat
.Lfunc_end2147:
	.size	_ZN7rocprim17ROCPRIM_400000_NS6detail17trampoline_kernelINS0_14default_configENS1_20scan_config_selectorIyEEZZNS1_9scan_implILNS1_25lookback_scan_determinismE0ELb0ELb0ES3_N6thrust23THRUST_200600_302600_NS6detail15normal_iteratorINS9_10device_ptrIyEEEESE_y11max_functorIyEyEEDaPvRmT3_T4_T5_mT6_P12ihipStream_tbENKUlT_T0_E_clISt17integral_constantIbLb1EEST_IbLb0EEEEDaSP_SQ_EUlSP_E0_NS1_11comp_targetILNS1_3genE3ELNS1_11target_archE908ELNS1_3gpuE7ELNS1_3repE0EEENS1_30default_config_static_selectorELNS0_4arch9wavefront6targetE1EEEvT1_, .Lfunc_end2147-_ZN7rocprim17ROCPRIM_400000_NS6detail17trampoline_kernelINS0_14default_configENS1_20scan_config_selectorIyEEZZNS1_9scan_implILNS1_25lookback_scan_determinismE0ELb0ELb0ES3_N6thrust23THRUST_200600_302600_NS6detail15normal_iteratorINS9_10device_ptrIyEEEESE_y11max_functorIyEyEEDaPvRmT3_T4_T5_mT6_P12ihipStream_tbENKUlT_T0_E_clISt17integral_constantIbLb1EEST_IbLb0EEEEDaSP_SQ_EUlSP_E0_NS1_11comp_targetILNS1_3genE3ELNS1_11target_archE908ELNS1_3gpuE7ELNS1_3repE0EEENS1_30default_config_static_selectorELNS0_4arch9wavefront6targetE1EEEvT1_
                                        ; -- End function
	.section	.AMDGPU.csdata,"",@progbits
; Kernel info:
; codeLenInByte = 0
; NumSgprs: 4
; NumVgprs: 0
; NumAgprs: 0
; TotalNumVgprs: 0
; ScratchSize: 0
; MemoryBound: 0
; FloatMode: 240
; IeeeMode: 1
; LDSByteSize: 0 bytes/workgroup (compile time only)
; SGPRBlocks: 0
; VGPRBlocks: 0
; NumSGPRsForWavesPerEU: 4
; NumVGPRsForWavesPerEU: 1
; AccumOffset: 4
; Occupancy: 8
; WaveLimiterHint : 0
; COMPUTE_PGM_RSRC2:SCRATCH_EN: 0
; COMPUTE_PGM_RSRC2:USER_SGPR: 6
; COMPUTE_PGM_RSRC2:TRAP_HANDLER: 0
; COMPUTE_PGM_RSRC2:TGID_X_EN: 1
; COMPUTE_PGM_RSRC2:TGID_Y_EN: 0
; COMPUTE_PGM_RSRC2:TGID_Z_EN: 0
; COMPUTE_PGM_RSRC2:TIDIG_COMP_CNT: 0
; COMPUTE_PGM_RSRC3_GFX90A:ACCUM_OFFSET: 0
; COMPUTE_PGM_RSRC3_GFX90A:TG_SPLIT: 0
	.section	.text._ZN7rocprim17ROCPRIM_400000_NS6detail17trampoline_kernelINS0_14default_configENS1_20scan_config_selectorIyEEZZNS1_9scan_implILNS1_25lookback_scan_determinismE0ELb0ELb0ES3_N6thrust23THRUST_200600_302600_NS6detail15normal_iteratorINS9_10device_ptrIyEEEESE_y11max_functorIyEyEEDaPvRmT3_T4_T5_mT6_P12ihipStream_tbENKUlT_T0_E_clISt17integral_constantIbLb1EEST_IbLb0EEEEDaSP_SQ_EUlSP_E0_NS1_11comp_targetILNS1_3genE2ELNS1_11target_archE906ELNS1_3gpuE6ELNS1_3repE0EEENS1_30default_config_static_selectorELNS0_4arch9wavefront6targetE1EEEvT1_,"axG",@progbits,_ZN7rocprim17ROCPRIM_400000_NS6detail17trampoline_kernelINS0_14default_configENS1_20scan_config_selectorIyEEZZNS1_9scan_implILNS1_25lookback_scan_determinismE0ELb0ELb0ES3_N6thrust23THRUST_200600_302600_NS6detail15normal_iteratorINS9_10device_ptrIyEEEESE_y11max_functorIyEyEEDaPvRmT3_T4_T5_mT6_P12ihipStream_tbENKUlT_T0_E_clISt17integral_constantIbLb1EEST_IbLb0EEEEDaSP_SQ_EUlSP_E0_NS1_11comp_targetILNS1_3genE2ELNS1_11target_archE906ELNS1_3gpuE6ELNS1_3repE0EEENS1_30default_config_static_selectorELNS0_4arch9wavefront6targetE1EEEvT1_,comdat
	.protected	_ZN7rocprim17ROCPRIM_400000_NS6detail17trampoline_kernelINS0_14default_configENS1_20scan_config_selectorIyEEZZNS1_9scan_implILNS1_25lookback_scan_determinismE0ELb0ELb0ES3_N6thrust23THRUST_200600_302600_NS6detail15normal_iteratorINS9_10device_ptrIyEEEESE_y11max_functorIyEyEEDaPvRmT3_T4_T5_mT6_P12ihipStream_tbENKUlT_T0_E_clISt17integral_constantIbLb1EEST_IbLb0EEEEDaSP_SQ_EUlSP_E0_NS1_11comp_targetILNS1_3genE2ELNS1_11target_archE906ELNS1_3gpuE6ELNS1_3repE0EEENS1_30default_config_static_selectorELNS0_4arch9wavefront6targetE1EEEvT1_ ; -- Begin function _ZN7rocprim17ROCPRIM_400000_NS6detail17trampoline_kernelINS0_14default_configENS1_20scan_config_selectorIyEEZZNS1_9scan_implILNS1_25lookback_scan_determinismE0ELb0ELb0ES3_N6thrust23THRUST_200600_302600_NS6detail15normal_iteratorINS9_10device_ptrIyEEEESE_y11max_functorIyEyEEDaPvRmT3_T4_T5_mT6_P12ihipStream_tbENKUlT_T0_E_clISt17integral_constantIbLb1EEST_IbLb0EEEEDaSP_SQ_EUlSP_E0_NS1_11comp_targetILNS1_3genE2ELNS1_11target_archE906ELNS1_3gpuE6ELNS1_3repE0EEENS1_30default_config_static_selectorELNS0_4arch9wavefront6targetE1EEEvT1_
	.globl	_ZN7rocprim17ROCPRIM_400000_NS6detail17trampoline_kernelINS0_14default_configENS1_20scan_config_selectorIyEEZZNS1_9scan_implILNS1_25lookback_scan_determinismE0ELb0ELb0ES3_N6thrust23THRUST_200600_302600_NS6detail15normal_iteratorINS9_10device_ptrIyEEEESE_y11max_functorIyEyEEDaPvRmT3_T4_T5_mT6_P12ihipStream_tbENKUlT_T0_E_clISt17integral_constantIbLb1EEST_IbLb0EEEEDaSP_SQ_EUlSP_E0_NS1_11comp_targetILNS1_3genE2ELNS1_11target_archE906ELNS1_3gpuE6ELNS1_3repE0EEENS1_30default_config_static_selectorELNS0_4arch9wavefront6targetE1EEEvT1_
	.p2align	8
	.type	_ZN7rocprim17ROCPRIM_400000_NS6detail17trampoline_kernelINS0_14default_configENS1_20scan_config_selectorIyEEZZNS1_9scan_implILNS1_25lookback_scan_determinismE0ELb0ELb0ES3_N6thrust23THRUST_200600_302600_NS6detail15normal_iteratorINS9_10device_ptrIyEEEESE_y11max_functorIyEyEEDaPvRmT3_T4_T5_mT6_P12ihipStream_tbENKUlT_T0_E_clISt17integral_constantIbLb1EEST_IbLb0EEEEDaSP_SQ_EUlSP_E0_NS1_11comp_targetILNS1_3genE2ELNS1_11target_archE906ELNS1_3gpuE6ELNS1_3repE0EEENS1_30default_config_static_selectorELNS0_4arch9wavefront6targetE1EEEvT1_,@function
_ZN7rocprim17ROCPRIM_400000_NS6detail17trampoline_kernelINS0_14default_configENS1_20scan_config_selectorIyEEZZNS1_9scan_implILNS1_25lookback_scan_determinismE0ELb0ELb0ES3_N6thrust23THRUST_200600_302600_NS6detail15normal_iteratorINS9_10device_ptrIyEEEESE_y11max_functorIyEyEEDaPvRmT3_T4_T5_mT6_P12ihipStream_tbENKUlT_T0_E_clISt17integral_constantIbLb1EEST_IbLb0EEEEDaSP_SQ_EUlSP_E0_NS1_11comp_targetILNS1_3genE2ELNS1_11target_archE906ELNS1_3gpuE6ELNS1_3repE0EEENS1_30default_config_static_selectorELNS0_4arch9wavefront6targetE1EEEvT1_: ; @_ZN7rocprim17ROCPRIM_400000_NS6detail17trampoline_kernelINS0_14default_configENS1_20scan_config_selectorIyEEZZNS1_9scan_implILNS1_25lookback_scan_determinismE0ELb0ELb0ES3_N6thrust23THRUST_200600_302600_NS6detail15normal_iteratorINS9_10device_ptrIyEEEESE_y11max_functorIyEyEEDaPvRmT3_T4_T5_mT6_P12ihipStream_tbENKUlT_T0_E_clISt17integral_constantIbLb1EEST_IbLb0EEEEDaSP_SQ_EUlSP_E0_NS1_11comp_targetILNS1_3genE2ELNS1_11target_archE906ELNS1_3gpuE6ELNS1_3repE0EEENS1_30default_config_static_selectorELNS0_4arch9wavefront6targetE1EEEvT1_
; %bb.0:
	.section	.rodata,"a",@progbits
	.p2align	6, 0x0
	.amdhsa_kernel _ZN7rocprim17ROCPRIM_400000_NS6detail17trampoline_kernelINS0_14default_configENS1_20scan_config_selectorIyEEZZNS1_9scan_implILNS1_25lookback_scan_determinismE0ELb0ELb0ES3_N6thrust23THRUST_200600_302600_NS6detail15normal_iteratorINS9_10device_ptrIyEEEESE_y11max_functorIyEyEEDaPvRmT3_T4_T5_mT6_P12ihipStream_tbENKUlT_T0_E_clISt17integral_constantIbLb1EEST_IbLb0EEEEDaSP_SQ_EUlSP_E0_NS1_11comp_targetILNS1_3genE2ELNS1_11target_archE906ELNS1_3gpuE6ELNS1_3repE0EEENS1_30default_config_static_selectorELNS0_4arch9wavefront6targetE1EEEvT1_
		.amdhsa_group_segment_fixed_size 0
		.amdhsa_private_segment_fixed_size 0
		.amdhsa_kernarg_size 40
		.amdhsa_user_sgpr_count 6
		.amdhsa_user_sgpr_private_segment_buffer 1
		.amdhsa_user_sgpr_dispatch_ptr 0
		.amdhsa_user_sgpr_queue_ptr 0
		.amdhsa_user_sgpr_kernarg_segment_ptr 1
		.amdhsa_user_sgpr_dispatch_id 0
		.amdhsa_user_sgpr_flat_scratch_init 0
		.amdhsa_user_sgpr_kernarg_preload_length 0
		.amdhsa_user_sgpr_kernarg_preload_offset 0
		.amdhsa_user_sgpr_private_segment_size 0
		.amdhsa_uses_dynamic_stack 0
		.amdhsa_system_sgpr_private_segment_wavefront_offset 0
		.amdhsa_system_sgpr_workgroup_id_x 1
		.amdhsa_system_sgpr_workgroup_id_y 0
		.amdhsa_system_sgpr_workgroup_id_z 0
		.amdhsa_system_sgpr_workgroup_info 0
		.amdhsa_system_vgpr_workitem_id 0
		.amdhsa_next_free_vgpr 1
		.amdhsa_next_free_sgpr 0
		.amdhsa_accum_offset 4
		.amdhsa_reserve_vcc 0
		.amdhsa_reserve_flat_scratch 0
		.amdhsa_float_round_mode_32 0
		.amdhsa_float_round_mode_16_64 0
		.amdhsa_float_denorm_mode_32 3
		.amdhsa_float_denorm_mode_16_64 3
		.amdhsa_dx10_clamp 1
		.amdhsa_ieee_mode 1
		.amdhsa_fp16_overflow 0
		.amdhsa_tg_split 0
		.amdhsa_exception_fp_ieee_invalid_op 0
		.amdhsa_exception_fp_denorm_src 0
		.amdhsa_exception_fp_ieee_div_zero 0
		.amdhsa_exception_fp_ieee_overflow 0
		.amdhsa_exception_fp_ieee_underflow 0
		.amdhsa_exception_fp_ieee_inexact 0
		.amdhsa_exception_int_div_zero 0
	.end_amdhsa_kernel
	.section	.text._ZN7rocprim17ROCPRIM_400000_NS6detail17trampoline_kernelINS0_14default_configENS1_20scan_config_selectorIyEEZZNS1_9scan_implILNS1_25lookback_scan_determinismE0ELb0ELb0ES3_N6thrust23THRUST_200600_302600_NS6detail15normal_iteratorINS9_10device_ptrIyEEEESE_y11max_functorIyEyEEDaPvRmT3_T4_T5_mT6_P12ihipStream_tbENKUlT_T0_E_clISt17integral_constantIbLb1EEST_IbLb0EEEEDaSP_SQ_EUlSP_E0_NS1_11comp_targetILNS1_3genE2ELNS1_11target_archE906ELNS1_3gpuE6ELNS1_3repE0EEENS1_30default_config_static_selectorELNS0_4arch9wavefront6targetE1EEEvT1_,"axG",@progbits,_ZN7rocprim17ROCPRIM_400000_NS6detail17trampoline_kernelINS0_14default_configENS1_20scan_config_selectorIyEEZZNS1_9scan_implILNS1_25lookback_scan_determinismE0ELb0ELb0ES3_N6thrust23THRUST_200600_302600_NS6detail15normal_iteratorINS9_10device_ptrIyEEEESE_y11max_functorIyEyEEDaPvRmT3_T4_T5_mT6_P12ihipStream_tbENKUlT_T0_E_clISt17integral_constantIbLb1EEST_IbLb0EEEEDaSP_SQ_EUlSP_E0_NS1_11comp_targetILNS1_3genE2ELNS1_11target_archE906ELNS1_3gpuE6ELNS1_3repE0EEENS1_30default_config_static_selectorELNS0_4arch9wavefront6targetE1EEEvT1_,comdat
.Lfunc_end2148:
	.size	_ZN7rocprim17ROCPRIM_400000_NS6detail17trampoline_kernelINS0_14default_configENS1_20scan_config_selectorIyEEZZNS1_9scan_implILNS1_25lookback_scan_determinismE0ELb0ELb0ES3_N6thrust23THRUST_200600_302600_NS6detail15normal_iteratorINS9_10device_ptrIyEEEESE_y11max_functorIyEyEEDaPvRmT3_T4_T5_mT6_P12ihipStream_tbENKUlT_T0_E_clISt17integral_constantIbLb1EEST_IbLb0EEEEDaSP_SQ_EUlSP_E0_NS1_11comp_targetILNS1_3genE2ELNS1_11target_archE906ELNS1_3gpuE6ELNS1_3repE0EEENS1_30default_config_static_selectorELNS0_4arch9wavefront6targetE1EEEvT1_, .Lfunc_end2148-_ZN7rocprim17ROCPRIM_400000_NS6detail17trampoline_kernelINS0_14default_configENS1_20scan_config_selectorIyEEZZNS1_9scan_implILNS1_25lookback_scan_determinismE0ELb0ELb0ES3_N6thrust23THRUST_200600_302600_NS6detail15normal_iteratorINS9_10device_ptrIyEEEESE_y11max_functorIyEyEEDaPvRmT3_T4_T5_mT6_P12ihipStream_tbENKUlT_T0_E_clISt17integral_constantIbLb1EEST_IbLb0EEEEDaSP_SQ_EUlSP_E0_NS1_11comp_targetILNS1_3genE2ELNS1_11target_archE906ELNS1_3gpuE6ELNS1_3repE0EEENS1_30default_config_static_selectorELNS0_4arch9wavefront6targetE1EEEvT1_
                                        ; -- End function
	.section	.AMDGPU.csdata,"",@progbits
; Kernel info:
; codeLenInByte = 0
; NumSgprs: 4
; NumVgprs: 0
; NumAgprs: 0
; TotalNumVgprs: 0
; ScratchSize: 0
; MemoryBound: 0
; FloatMode: 240
; IeeeMode: 1
; LDSByteSize: 0 bytes/workgroup (compile time only)
; SGPRBlocks: 0
; VGPRBlocks: 0
; NumSGPRsForWavesPerEU: 4
; NumVGPRsForWavesPerEU: 1
; AccumOffset: 4
; Occupancy: 8
; WaveLimiterHint : 0
; COMPUTE_PGM_RSRC2:SCRATCH_EN: 0
; COMPUTE_PGM_RSRC2:USER_SGPR: 6
; COMPUTE_PGM_RSRC2:TRAP_HANDLER: 0
; COMPUTE_PGM_RSRC2:TGID_X_EN: 1
; COMPUTE_PGM_RSRC2:TGID_Y_EN: 0
; COMPUTE_PGM_RSRC2:TGID_Z_EN: 0
; COMPUTE_PGM_RSRC2:TIDIG_COMP_CNT: 0
; COMPUTE_PGM_RSRC3_GFX90A:ACCUM_OFFSET: 0
; COMPUTE_PGM_RSRC3_GFX90A:TG_SPLIT: 0
	.section	.text._ZN7rocprim17ROCPRIM_400000_NS6detail17trampoline_kernelINS0_14default_configENS1_20scan_config_selectorIyEEZZNS1_9scan_implILNS1_25lookback_scan_determinismE0ELb0ELb0ES3_N6thrust23THRUST_200600_302600_NS6detail15normal_iteratorINS9_10device_ptrIyEEEESE_y11max_functorIyEyEEDaPvRmT3_T4_T5_mT6_P12ihipStream_tbENKUlT_T0_E_clISt17integral_constantIbLb1EEST_IbLb0EEEEDaSP_SQ_EUlSP_E0_NS1_11comp_targetILNS1_3genE10ELNS1_11target_archE1201ELNS1_3gpuE5ELNS1_3repE0EEENS1_30default_config_static_selectorELNS0_4arch9wavefront6targetE1EEEvT1_,"axG",@progbits,_ZN7rocprim17ROCPRIM_400000_NS6detail17trampoline_kernelINS0_14default_configENS1_20scan_config_selectorIyEEZZNS1_9scan_implILNS1_25lookback_scan_determinismE0ELb0ELb0ES3_N6thrust23THRUST_200600_302600_NS6detail15normal_iteratorINS9_10device_ptrIyEEEESE_y11max_functorIyEyEEDaPvRmT3_T4_T5_mT6_P12ihipStream_tbENKUlT_T0_E_clISt17integral_constantIbLb1EEST_IbLb0EEEEDaSP_SQ_EUlSP_E0_NS1_11comp_targetILNS1_3genE10ELNS1_11target_archE1201ELNS1_3gpuE5ELNS1_3repE0EEENS1_30default_config_static_selectorELNS0_4arch9wavefront6targetE1EEEvT1_,comdat
	.protected	_ZN7rocprim17ROCPRIM_400000_NS6detail17trampoline_kernelINS0_14default_configENS1_20scan_config_selectorIyEEZZNS1_9scan_implILNS1_25lookback_scan_determinismE0ELb0ELb0ES3_N6thrust23THRUST_200600_302600_NS6detail15normal_iteratorINS9_10device_ptrIyEEEESE_y11max_functorIyEyEEDaPvRmT3_T4_T5_mT6_P12ihipStream_tbENKUlT_T0_E_clISt17integral_constantIbLb1EEST_IbLb0EEEEDaSP_SQ_EUlSP_E0_NS1_11comp_targetILNS1_3genE10ELNS1_11target_archE1201ELNS1_3gpuE5ELNS1_3repE0EEENS1_30default_config_static_selectorELNS0_4arch9wavefront6targetE1EEEvT1_ ; -- Begin function _ZN7rocprim17ROCPRIM_400000_NS6detail17trampoline_kernelINS0_14default_configENS1_20scan_config_selectorIyEEZZNS1_9scan_implILNS1_25lookback_scan_determinismE0ELb0ELb0ES3_N6thrust23THRUST_200600_302600_NS6detail15normal_iteratorINS9_10device_ptrIyEEEESE_y11max_functorIyEyEEDaPvRmT3_T4_T5_mT6_P12ihipStream_tbENKUlT_T0_E_clISt17integral_constantIbLb1EEST_IbLb0EEEEDaSP_SQ_EUlSP_E0_NS1_11comp_targetILNS1_3genE10ELNS1_11target_archE1201ELNS1_3gpuE5ELNS1_3repE0EEENS1_30default_config_static_selectorELNS0_4arch9wavefront6targetE1EEEvT1_
	.globl	_ZN7rocprim17ROCPRIM_400000_NS6detail17trampoline_kernelINS0_14default_configENS1_20scan_config_selectorIyEEZZNS1_9scan_implILNS1_25lookback_scan_determinismE0ELb0ELb0ES3_N6thrust23THRUST_200600_302600_NS6detail15normal_iteratorINS9_10device_ptrIyEEEESE_y11max_functorIyEyEEDaPvRmT3_T4_T5_mT6_P12ihipStream_tbENKUlT_T0_E_clISt17integral_constantIbLb1EEST_IbLb0EEEEDaSP_SQ_EUlSP_E0_NS1_11comp_targetILNS1_3genE10ELNS1_11target_archE1201ELNS1_3gpuE5ELNS1_3repE0EEENS1_30default_config_static_selectorELNS0_4arch9wavefront6targetE1EEEvT1_
	.p2align	8
	.type	_ZN7rocprim17ROCPRIM_400000_NS6detail17trampoline_kernelINS0_14default_configENS1_20scan_config_selectorIyEEZZNS1_9scan_implILNS1_25lookback_scan_determinismE0ELb0ELb0ES3_N6thrust23THRUST_200600_302600_NS6detail15normal_iteratorINS9_10device_ptrIyEEEESE_y11max_functorIyEyEEDaPvRmT3_T4_T5_mT6_P12ihipStream_tbENKUlT_T0_E_clISt17integral_constantIbLb1EEST_IbLb0EEEEDaSP_SQ_EUlSP_E0_NS1_11comp_targetILNS1_3genE10ELNS1_11target_archE1201ELNS1_3gpuE5ELNS1_3repE0EEENS1_30default_config_static_selectorELNS0_4arch9wavefront6targetE1EEEvT1_,@function
_ZN7rocprim17ROCPRIM_400000_NS6detail17trampoline_kernelINS0_14default_configENS1_20scan_config_selectorIyEEZZNS1_9scan_implILNS1_25lookback_scan_determinismE0ELb0ELb0ES3_N6thrust23THRUST_200600_302600_NS6detail15normal_iteratorINS9_10device_ptrIyEEEESE_y11max_functorIyEyEEDaPvRmT3_T4_T5_mT6_P12ihipStream_tbENKUlT_T0_E_clISt17integral_constantIbLb1EEST_IbLb0EEEEDaSP_SQ_EUlSP_E0_NS1_11comp_targetILNS1_3genE10ELNS1_11target_archE1201ELNS1_3gpuE5ELNS1_3repE0EEENS1_30default_config_static_selectorELNS0_4arch9wavefront6targetE1EEEvT1_: ; @_ZN7rocprim17ROCPRIM_400000_NS6detail17trampoline_kernelINS0_14default_configENS1_20scan_config_selectorIyEEZZNS1_9scan_implILNS1_25lookback_scan_determinismE0ELb0ELb0ES3_N6thrust23THRUST_200600_302600_NS6detail15normal_iteratorINS9_10device_ptrIyEEEESE_y11max_functorIyEyEEDaPvRmT3_T4_T5_mT6_P12ihipStream_tbENKUlT_T0_E_clISt17integral_constantIbLb1EEST_IbLb0EEEEDaSP_SQ_EUlSP_E0_NS1_11comp_targetILNS1_3genE10ELNS1_11target_archE1201ELNS1_3gpuE5ELNS1_3repE0EEENS1_30default_config_static_selectorELNS0_4arch9wavefront6targetE1EEEvT1_
; %bb.0:
	.section	.rodata,"a",@progbits
	.p2align	6, 0x0
	.amdhsa_kernel _ZN7rocprim17ROCPRIM_400000_NS6detail17trampoline_kernelINS0_14default_configENS1_20scan_config_selectorIyEEZZNS1_9scan_implILNS1_25lookback_scan_determinismE0ELb0ELb0ES3_N6thrust23THRUST_200600_302600_NS6detail15normal_iteratorINS9_10device_ptrIyEEEESE_y11max_functorIyEyEEDaPvRmT3_T4_T5_mT6_P12ihipStream_tbENKUlT_T0_E_clISt17integral_constantIbLb1EEST_IbLb0EEEEDaSP_SQ_EUlSP_E0_NS1_11comp_targetILNS1_3genE10ELNS1_11target_archE1201ELNS1_3gpuE5ELNS1_3repE0EEENS1_30default_config_static_selectorELNS0_4arch9wavefront6targetE1EEEvT1_
		.amdhsa_group_segment_fixed_size 0
		.amdhsa_private_segment_fixed_size 0
		.amdhsa_kernarg_size 40
		.amdhsa_user_sgpr_count 6
		.amdhsa_user_sgpr_private_segment_buffer 1
		.amdhsa_user_sgpr_dispatch_ptr 0
		.amdhsa_user_sgpr_queue_ptr 0
		.amdhsa_user_sgpr_kernarg_segment_ptr 1
		.amdhsa_user_sgpr_dispatch_id 0
		.amdhsa_user_sgpr_flat_scratch_init 0
		.amdhsa_user_sgpr_kernarg_preload_length 0
		.amdhsa_user_sgpr_kernarg_preload_offset 0
		.amdhsa_user_sgpr_private_segment_size 0
		.amdhsa_uses_dynamic_stack 0
		.amdhsa_system_sgpr_private_segment_wavefront_offset 0
		.amdhsa_system_sgpr_workgroup_id_x 1
		.amdhsa_system_sgpr_workgroup_id_y 0
		.amdhsa_system_sgpr_workgroup_id_z 0
		.amdhsa_system_sgpr_workgroup_info 0
		.amdhsa_system_vgpr_workitem_id 0
		.amdhsa_next_free_vgpr 1
		.amdhsa_next_free_sgpr 0
		.amdhsa_accum_offset 4
		.amdhsa_reserve_vcc 0
		.amdhsa_reserve_flat_scratch 0
		.amdhsa_float_round_mode_32 0
		.amdhsa_float_round_mode_16_64 0
		.amdhsa_float_denorm_mode_32 3
		.amdhsa_float_denorm_mode_16_64 3
		.amdhsa_dx10_clamp 1
		.amdhsa_ieee_mode 1
		.amdhsa_fp16_overflow 0
		.amdhsa_tg_split 0
		.amdhsa_exception_fp_ieee_invalid_op 0
		.amdhsa_exception_fp_denorm_src 0
		.amdhsa_exception_fp_ieee_div_zero 0
		.amdhsa_exception_fp_ieee_overflow 0
		.amdhsa_exception_fp_ieee_underflow 0
		.amdhsa_exception_fp_ieee_inexact 0
		.amdhsa_exception_int_div_zero 0
	.end_amdhsa_kernel
	.section	.text._ZN7rocprim17ROCPRIM_400000_NS6detail17trampoline_kernelINS0_14default_configENS1_20scan_config_selectorIyEEZZNS1_9scan_implILNS1_25lookback_scan_determinismE0ELb0ELb0ES3_N6thrust23THRUST_200600_302600_NS6detail15normal_iteratorINS9_10device_ptrIyEEEESE_y11max_functorIyEyEEDaPvRmT3_T4_T5_mT6_P12ihipStream_tbENKUlT_T0_E_clISt17integral_constantIbLb1EEST_IbLb0EEEEDaSP_SQ_EUlSP_E0_NS1_11comp_targetILNS1_3genE10ELNS1_11target_archE1201ELNS1_3gpuE5ELNS1_3repE0EEENS1_30default_config_static_selectorELNS0_4arch9wavefront6targetE1EEEvT1_,"axG",@progbits,_ZN7rocprim17ROCPRIM_400000_NS6detail17trampoline_kernelINS0_14default_configENS1_20scan_config_selectorIyEEZZNS1_9scan_implILNS1_25lookback_scan_determinismE0ELb0ELb0ES3_N6thrust23THRUST_200600_302600_NS6detail15normal_iteratorINS9_10device_ptrIyEEEESE_y11max_functorIyEyEEDaPvRmT3_T4_T5_mT6_P12ihipStream_tbENKUlT_T0_E_clISt17integral_constantIbLb1EEST_IbLb0EEEEDaSP_SQ_EUlSP_E0_NS1_11comp_targetILNS1_3genE10ELNS1_11target_archE1201ELNS1_3gpuE5ELNS1_3repE0EEENS1_30default_config_static_selectorELNS0_4arch9wavefront6targetE1EEEvT1_,comdat
.Lfunc_end2149:
	.size	_ZN7rocprim17ROCPRIM_400000_NS6detail17trampoline_kernelINS0_14default_configENS1_20scan_config_selectorIyEEZZNS1_9scan_implILNS1_25lookback_scan_determinismE0ELb0ELb0ES3_N6thrust23THRUST_200600_302600_NS6detail15normal_iteratorINS9_10device_ptrIyEEEESE_y11max_functorIyEyEEDaPvRmT3_T4_T5_mT6_P12ihipStream_tbENKUlT_T0_E_clISt17integral_constantIbLb1EEST_IbLb0EEEEDaSP_SQ_EUlSP_E0_NS1_11comp_targetILNS1_3genE10ELNS1_11target_archE1201ELNS1_3gpuE5ELNS1_3repE0EEENS1_30default_config_static_selectorELNS0_4arch9wavefront6targetE1EEEvT1_, .Lfunc_end2149-_ZN7rocprim17ROCPRIM_400000_NS6detail17trampoline_kernelINS0_14default_configENS1_20scan_config_selectorIyEEZZNS1_9scan_implILNS1_25lookback_scan_determinismE0ELb0ELb0ES3_N6thrust23THRUST_200600_302600_NS6detail15normal_iteratorINS9_10device_ptrIyEEEESE_y11max_functorIyEyEEDaPvRmT3_T4_T5_mT6_P12ihipStream_tbENKUlT_T0_E_clISt17integral_constantIbLb1EEST_IbLb0EEEEDaSP_SQ_EUlSP_E0_NS1_11comp_targetILNS1_3genE10ELNS1_11target_archE1201ELNS1_3gpuE5ELNS1_3repE0EEENS1_30default_config_static_selectorELNS0_4arch9wavefront6targetE1EEEvT1_
                                        ; -- End function
	.section	.AMDGPU.csdata,"",@progbits
; Kernel info:
; codeLenInByte = 0
; NumSgprs: 4
; NumVgprs: 0
; NumAgprs: 0
; TotalNumVgprs: 0
; ScratchSize: 0
; MemoryBound: 0
; FloatMode: 240
; IeeeMode: 1
; LDSByteSize: 0 bytes/workgroup (compile time only)
; SGPRBlocks: 0
; VGPRBlocks: 0
; NumSGPRsForWavesPerEU: 4
; NumVGPRsForWavesPerEU: 1
; AccumOffset: 4
; Occupancy: 8
; WaveLimiterHint : 0
; COMPUTE_PGM_RSRC2:SCRATCH_EN: 0
; COMPUTE_PGM_RSRC2:USER_SGPR: 6
; COMPUTE_PGM_RSRC2:TRAP_HANDLER: 0
; COMPUTE_PGM_RSRC2:TGID_X_EN: 1
; COMPUTE_PGM_RSRC2:TGID_Y_EN: 0
; COMPUTE_PGM_RSRC2:TGID_Z_EN: 0
; COMPUTE_PGM_RSRC2:TIDIG_COMP_CNT: 0
; COMPUTE_PGM_RSRC3_GFX90A:ACCUM_OFFSET: 0
; COMPUTE_PGM_RSRC3_GFX90A:TG_SPLIT: 0
	.section	.text._ZN7rocprim17ROCPRIM_400000_NS6detail17trampoline_kernelINS0_14default_configENS1_20scan_config_selectorIyEEZZNS1_9scan_implILNS1_25lookback_scan_determinismE0ELb0ELb0ES3_N6thrust23THRUST_200600_302600_NS6detail15normal_iteratorINS9_10device_ptrIyEEEESE_y11max_functorIyEyEEDaPvRmT3_T4_T5_mT6_P12ihipStream_tbENKUlT_T0_E_clISt17integral_constantIbLb1EEST_IbLb0EEEEDaSP_SQ_EUlSP_E0_NS1_11comp_targetILNS1_3genE10ELNS1_11target_archE1200ELNS1_3gpuE4ELNS1_3repE0EEENS1_30default_config_static_selectorELNS0_4arch9wavefront6targetE1EEEvT1_,"axG",@progbits,_ZN7rocprim17ROCPRIM_400000_NS6detail17trampoline_kernelINS0_14default_configENS1_20scan_config_selectorIyEEZZNS1_9scan_implILNS1_25lookback_scan_determinismE0ELb0ELb0ES3_N6thrust23THRUST_200600_302600_NS6detail15normal_iteratorINS9_10device_ptrIyEEEESE_y11max_functorIyEyEEDaPvRmT3_T4_T5_mT6_P12ihipStream_tbENKUlT_T0_E_clISt17integral_constantIbLb1EEST_IbLb0EEEEDaSP_SQ_EUlSP_E0_NS1_11comp_targetILNS1_3genE10ELNS1_11target_archE1200ELNS1_3gpuE4ELNS1_3repE0EEENS1_30default_config_static_selectorELNS0_4arch9wavefront6targetE1EEEvT1_,comdat
	.protected	_ZN7rocprim17ROCPRIM_400000_NS6detail17trampoline_kernelINS0_14default_configENS1_20scan_config_selectorIyEEZZNS1_9scan_implILNS1_25lookback_scan_determinismE0ELb0ELb0ES3_N6thrust23THRUST_200600_302600_NS6detail15normal_iteratorINS9_10device_ptrIyEEEESE_y11max_functorIyEyEEDaPvRmT3_T4_T5_mT6_P12ihipStream_tbENKUlT_T0_E_clISt17integral_constantIbLb1EEST_IbLb0EEEEDaSP_SQ_EUlSP_E0_NS1_11comp_targetILNS1_3genE10ELNS1_11target_archE1200ELNS1_3gpuE4ELNS1_3repE0EEENS1_30default_config_static_selectorELNS0_4arch9wavefront6targetE1EEEvT1_ ; -- Begin function _ZN7rocprim17ROCPRIM_400000_NS6detail17trampoline_kernelINS0_14default_configENS1_20scan_config_selectorIyEEZZNS1_9scan_implILNS1_25lookback_scan_determinismE0ELb0ELb0ES3_N6thrust23THRUST_200600_302600_NS6detail15normal_iteratorINS9_10device_ptrIyEEEESE_y11max_functorIyEyEEDaPvRmT3_T4_T5_mT6_P12ihipStream_tbENKUlT_T0_E_clISt17integral_constantIbLb1EEST_IbLb0EEEEDaSP_SQ_EUlSP_E0_NS1_11comp_targetILNS1_3genE10ELNS1_11target_archE1200ELNS1_3gpuE4ELNS1_3repE0EEENS1_30default_config_static_selectorELNS0_4arch9wavefront6targetE1EEEvT1_
	.globl	_ZN7rocprim17ROCPRIM_400000_NS6detail17trampoline_kernelINS0_14default_configENS1_20scan_config_selectorIyEEZZNS1_9scan_implILNS1_25lookback_scan_determinismE0ELb0ELb0ES3_N6thrust23THRUST_200600_302600_NS6detail15normal_iteratorINS9_10device_ptrIyEEEESE_y11max_functorIyEyEEDaPvRmT3_T4_T5_mT6_P12ihipStream_tbENKUlT_T0_E_clISt17integral_constantIbLb1EEST_IbLb0EEEEDaSP_SQ_EUlSP_E0_NS1_11comp_targetILNS1_3genE10ELNS1_11target_archE1200ELNS1_3gpuE4ELNS1_3repE0EEENS1_30default_config_static_selectorELNS0_4arch9wavefront6targetE1EEEvT1_
	.p2align	8
	.type	_ZN7rocprim17ROCPRIM_400000_NS6detail17trampoline_kernelINS0_14default_configENS1_20scan_config_selectorIyEEZZNS1_9scan_implILNS1_25lookback_scan_determinismE0ELb0ELb0ES3_N6thrust23THRUST_200600_302600_NS6detail15normal_iteratorINS9_10device_ptrIyEEEESE_y11max_functorIyEyEEDaPvRmT3_T4_T5_mT6_P12ihipStream_tbENKUlT_T0_E_clISt17integral_constantIbLb1EEST_IbLb0EEEEDaSP_SQ_EUlSP_E0_NS1_11comp_targetILNS1_3genE10ELNS1_11target_archE1200ELNS1_3gpuE4ELNS1_3repE0EEENS1_30default_config_static_selectorELNS0_4arch9wavefront6targetE1EEEvT1_,@function
_ZN7rocprim17ROCPRIM_400000_NS6detail17trampoline_kernelINS0_14default_configENS1_20scan_config_selectorIyEEZZNS1_9scan_implILNS1_25lookback_scan_determinismE0ELb0ELb0ES3_N6thrust23THRUST_200600_302600_NS6detail15normal_iteratorINS9_10device_ptrIyEEEESE_y11max_functorIyEyEEDaPvRmT3_T4_T5_mT6_P12ihipStream_tbENKUlT_T0_E_clISt17integral_constantIbLb1EEST_IbLb0EEEEDaSP_SQ_EUlSP_E0_NS1_11comp_targetILNS1_3genE10ELNS1_11target_archE1200ELNS1_3gpuE4ELNS1_3repE0EEENS1_30default_config_static_selectorELNS0_4arch9wavefront6targetE1EEEvT1_: ; @_ZN7rocprim17ROCPRIM_400000_NS6detail17trampoline_kernelINS0_14default_configENS1_20scan_config_selectorIyEEZZNS1_9scan_implILNS1_25lookback_scan_determinismE0ELb0ELb0ES3_N6thrust23THRUST_200600_302600_NS6detail15normal_iteratorINS9_10device_ptrIyEEEESE_y11max_functorIyEyEEDaPvRmT3_T4_T5_mT6_P12ihipStream_tbENKUlT_T0_E_clISt17integral_constantIbLb1EEST_IbLb0EEEEDaSP_SQ_EUlSP_E0_NS1_11comp_targetILNS1_3genE10ELNS1_11target_archE1200ELNS1_3gpuE4ELNS1_3repE0EEENS1_30default_config_static_selectorELNS0_4arch9wavefront6targetE1EEEvT1_
; %bb.0:
	.section	.rodata,"a",@progbits
	.p2align	6, 0x0
	.amdhsa_kernel _ZN7rocprim17ROCPRIM_400000_NS6detail17trampoline_kernelINS0_14default_configENS1_20scan_config_selectorIyEEZZNS1_9scan_implILNS1_25lookback_scan_determinismE0ELb0ELb0ES3_N6thrust23THRUST_200600_302600_NS6detail15normal_iteratorINS9_10device_ptrIyEEEESE_y11max_functorIyEyEEDaPvRmT3_T4_T5_mT6_P12ihipStream_tbENKUlT_T0_E_clISt17integral_constantIbLb1EEST_IbLb0EEEEDaSP_SQ_EUlSP_E0_NS1_11comp_targetILNS1_3genE10ELNS1_11target_archE1200ELNS1_3gpuE4ELNS1_3repE0EEENS1_30default_config_static_selectorELNS0_4arch9wavefront6targetE1EEEvT1_
		.amdhsa_group_segment_fixed_size 0
		.amdhsa_private_segment_fixed_size 0
		.amdhsa_kernarg_size 40
		.amdhsa_user_sgpr_count 6
		.amdhsa_user_sgpr_private_segment_buffer 1
		.amdhsa_user_sgpr_dispatch_ptr 0
		.amdhsa_user_sgpr_queue_ptr 0
		.amdhsa_user_sgpr_kernarg_segment_ptr 1
		.amdhsa_user_sgpr_dispatch_id 0
		.amdhsa_user_sgpr_flat_scratch_init 0
		.amdhsa_user_sgpr_kernarg_preload_length 0
		.amdhsa_user_sgpr_kernarg_preload_offset 0
		.amdhsa_user_sgpr_private_segment_size 0
		.amdhsa_uses_dynamic_stack 0
		.amdhsa_system_sgpr_private_segment_wavefront_offset 0
		.amdhsa_system_sgpr_workgroup_id_x 1
		.amdhsa_system_sgpr_workgroup_id_y 0
		.amdhsa_system_sgpr_workgroup_id_z 0
		.amdhsa_system_sgpr_workgroup_info 0
		.amdhsa_system_vgpr_workitem_id 0
		.amdhsa_next_free_vgpr 1
		.amdhsa_next_free_sgpr 0
		.amdhsa_accum_offset 4
		.amdhsa_reserve_vcc 0
		.amdhsa_reserve_flat_scratch 0
		.amdhsa_float_round_mode_32 0
		.amdhsa_float_round_mode_16_64 0
		.amdhsa_float_denorm_mode_32 3
		.amdhsa_float_denorm_mode_16_64 3
		.amdhsa_dx10_clamp 1
		.amdhsa_ieee_mode 1
		.amdhsa_fp16_overflow 0
		.amdhsa_tg_split 0
		.amdhsa_exception_fp_ieee_invalid_op 0
		.amdhsa_exception_fp_denorm_src 0
		.amdhsa_exception_fp_ieee_div_zero 0
		.amdhsa_exception_fp_ieee_overflow 0
		.amdhsa_exception_fp_ieee_underflow 0
		.amdhsa_exception_fp_ieee_inexact 0
		.amdhsa_exception_int_div_zero 0
	.end_amdhsa_kernel
	.section	.text._ZN7rocprim17ROCPRIM_400000_NS6detail17trampoline_kernelINS0_14default_configENS1_20scan_config_selectorIyEEZZNS1_9scan_implILNS1_25lookback_scan_determinismE0ELb0ELb0ES3_N6thrust23THRUST_200600_302600_NS6detail15normal_iteratorINS9_10device_ptrIyEEEESE_y11max_functorIyEyEEDaPvRmT3_T4_T5_mT6_P12ihipStream_tbENKUlT_T0_E_clISt17integral_constantIbLb1EEST_IbLb0EEEEDaSP_SQ_EUlSP_E0_NS1_11comp_targetILNS1_3genE10ELNS1_11target_archE1200ELNS1_3gpuE4ELNS1_3repE0EEENS1_30default_config_static_selectorELNS0_4arch9wavefront6targetE1EEEvT1_,"axG",@progbits,_ZN7rocprim17ROCPRIM_400000_NS6detail17trampoline_kernelINS0_14default_configENS1_20scan_config_selectorIyEEZZNS1_9scan_implILNS1_25lookback_scan_determinismE0ELb0ELb0ES3_N6thrust23THRUST_200600_302600_NS6detail15normal_iteratorINS9_10device_ptrIyEEEESE_y11max_functorIyEyEEDaPvRmT3_T4_T5_mT6_P12ihipStream_tbENKUlT_T0_E_clISt17integral_constantIbLb1EEST_IbLb0EEEEDaSP_SQ_EUlSP_E0_NS1_11comp_targetILNS1_3genE10ELNS1_11target_archE1200ELNS1_3gpuE4ELNS1_3repE0EEENS1_30default_config_static_selectorELNS0_4arch9wavefront6targetE1EEEvT1_,comdat
.Lfunc_end2150:
	.size	_ZN7rocprim17ROCPRIM_400000_NS6detail17trampoline_kernelINS0_14default_configENS1_20scan_config_selectorIyEEZZNS1_9scan_implILNS1_25lookback_scan_determinismE0ELb0ELb0ES3_N6thrust23THRUST_200600_302600_NS6detail15normal_iteratorINS9_10device_ptrIyEEEESE_y11max_functorIyEyEEDaPvRmT3_T4_T5_mT6_P12ihipStream_tbENKUlT_T0_E_clISt17integral_constantIbLb1EEST_IbLb0EEEEDaSP_SQ_EUlSP_E0_NS1_11comp_targetILNS1_3genE10ELNS1_11target_archE1200ELNS1_3gpuE4ELNS1_3repE0EEENS1_30default_config_static_selectorELNS0_4arch9wavefront6targetE1EEEvT1_, .Lfunc_end2150-_ZN7rocprim17ROCPRIM_400000_NS6detail17trampoline_kernelINS0_14default_configENS1_20scan_config_selectorIyEEZZNS1_9scan_implILNS1_25lookback_scan_determinismE0ELb0ELb0ES3_N6thrust23THRUST_200600_302600_NS6detail15normal_iteratorINS9_10device_ptrIyEEEESE_y11max_functorIyEyEEDaPvRmT3_T4_T5_mT6_P12ihipStream_tbENKUlT_T0_E_clISt17integral_constantIbLb1EEST_IbLb0EEEEDaSP_SQ_EUlSP_E0_NS1_11comp_targetILNS1_3genE10ELNS1_11target_archE1200ELNS1_3gpuE4ELNS1_3repE0EEENS1_30default_config_static_selectorELNS0_4arch9wavefront6targetE1EEEvT1_
                                        ; -- End function
	.section	.AMDGPU.csdata,"",@progbits
; Kernel info:
; codeLenInByte = 0
; NumSgprs: 4
; NumVgprs: 0
; NumAgprs: 0
; TotalNumVgprs: 0
; ScratchSize: 0
; MemoryBound: 0
; FloatMode: 240
; IeeeMode: 1
; LDSByteSize: 0 bytes/workgroup (compile time only)
; SGPRBlocks: 0
; VGPRBlocks: 0
; NumSGPRsForWavesPerEU: 4
; NumVGPRsForWavesPerEU: 1
; AccumOffset: 4
; Occupancy: 8
; WaveLimiterHint : 0
; COMPUTE_PGM_RSRC2:SCRATCH_EN: 0
; COMPUTE_PGM_RSRC2:USER_SGPR: 6
; COMPUTE_PGM_RSRC2:TRAP_HANDLER: 0
; COMPUTE_PGM_RSRC2:TGID_X_EN: 1
; COMPUTE_PGM_RSRC2:TGID_Y_EN: 0
; COMPUTE_PGM_RSRC2:TGID_Z_EN: 0
; COMPUTE_PGM_RSRC2:TIDIG_COMP_CNT: 0
; COMPUTE_PGM_RSRC3_GFX90A:ACCUM_OFFSET: 0
; COMPUTE_PGM_RSRC3_GFX90A:TG_SPLIT: 0
	.section	.text._ZN7rocprim17ROCPRIM_400000_NS6detail17trampoline_kernelINS0_14default_configENS1_20scan_config_selectorIyEEZZNS1_9scan_implILNS1_25lookback_scan_determinismE0ELb0ELb0ES3_N6thrust23THRUST_200600_302600_NS6detail15normal_iteratorINS9_10device_ptrIyEEEESE_y11max_functorIyEyEEDaPvRmT3_T4_T5_mT6_P12ihipStream_tbENKUlT_T0_E_clISt17integral_constantIbLb1EEST_IbLb0EEEEDaSP_SQ_EUlSP_E0_NS1_11comp_targetILNS1_3genE9ELNS1_11target_archE1100ELNS1_3gpuE3ELNS1_3repE0EEENS1_30default_config_static_selectorELNS0_4arch9wavefront6targetE1EEEvT1_,"axG",@progbits,_ZN7rocprim17ROCPRIM_400000_NS6detail17trampoline_kernelINS0_14default_configENS1_20scan_config_selectorIyEEZZNS1_9scan_implILNS1_25lookback_scan_determinismE0ELb0ELb0ES3_N6thrust23THRUST_200600_302600_NS6detail15normal_iteratorINS9_10device_ptrIyEEEESE_y11max_functorIyEyEEDaPvRmT3_T4_T5_mT6_P12ihipStream_tbENKUlT_T0_E_clISt17integral_constantIbLb1EEST_IbLb0EEEEDaSP_SQ_EUlSP_E0_NS1_11comp_targetILNS1_3genE9ELNS1_11target_archE1100ELNS1_3gpuE3ELNS1_3repE0EEENS1_30default_config_static_selectorELNS0_4arch9wavefront6targetE1EEEvT1_,comdat
	.protected	_ZN7rocprim17ROCPRIM_400000_NS6detail17trampoline_kernelINS0_14default_configENS1_20scan_config_selectorIyEEZZNS1_9scan_implILNS1_25lookback_scan_determinismE0ELb0ELb0ES3_N6thrust23THRUST_200600_302600_NS6detail15normal_iteratorINS9_10device_ptrIyEEEESE_y11max_functorIyEyEEDaPvRmT3_T4_T5_mT6_P12ihipStream_tbENKUlT_T0_E_clISt17integral_constantIbLb1EEST_IbLb0EEEEDaSP_SQ_EUlSP_E0_NS1_11comp_targetILNS1_3genE9ELNS1_11target_archE1100ELNS1_3gpuE3ELNS1_3repE0EEENS1_30default_config_static_selectorELNS0_4arch9wavefront6targetE1EEEvT1_ ; -- Begin function _ZN7rocprim17ROCPRIM_400000_NS6detail17trampoline_kernelINS0_14default_configENS1_20scan_config_selectorIyEEZZNS1_9scan_implILNS1_25lookback_scan_determinismE0ELb0ELb0ES3_N6thrust23THRUST_200600_302600_NS6detail15normal_iteratorINS9_10device_ptrIyEEEESE_y11max_functorIyEyEEDaPvRmT3_T4_T5_mT6_P12ihipStream_tbENKUlT_T0_E_clISt17integral_constantIbLb1EEST_IbLb0EEEEDaSP_SQ_EUlSP_E0_NS1_11comp_targetILNS1_3genE9ELNS1_11target_archE1100ELNS1_3gpuE3ELNS1_3repE0EEENS1_30default_config_static_selectorELNS0_4arch9wavefront6targetE1EEEvT1_
	.globl	_ZN7rocprim17ROCPRIM_400000_NS6detail17trampoline_kernelINS0_14default_configENS1_20scan_config_selectorIyEEZZNS1_9scan_implILNS1_25lookback_scan_determinismE0ELb0ELb0ES3_N6thrust23THRUST_200600_302600_NS6detail15normal_iteratorINS9_10device_ptrIyEEEESE_y11max_functorIyEyEEDaPvRmT3_T4_T5_mT6_P12ihipStream_tbENKUlT_T0_E_clISt17integral_constantIbLb1EEST_IbLb0EEEEDaSP_SQ_EUlSP_E0_NS1_11comp_targetILNS1_3genE9ELNS1_11target_archE1100ELNS1_3gpuE3ELNS1_3repE0EEENS1_30default_config_static_selectorELNS0_4arch9wavefront6targetE1EEEvT1_
	.p2align	8
	.type	_ZN7rocprim17ROCPRIM_400000_NS6detail17trampoline_kernelINS0_14default_configENS1_20scan_config_selectorIyEEZZNS1_9scan_implILNS1_25lookback_scan_determinismE0ELb0ELb0ES3_N6thrust23THRUST_200600_302600_NS6detail15normal_iteratorINS9_10device_ptrIyEEEESE_y11max_functorIyEyEEDaPvRmT3_T4_T5_mT6_P12ihipStream_tbENKUlT_T0_E_clISt17integral_constantIbLb1EEST_IbLb0EEEEDaSP_SQ_EUlSP_E0_NS1_11comp_targetILNS1_3genE9ELNS1_11target_archE1100ELNS1_3gpuE3ELNS1_3repE0EEENS1_30default_config_static_selectorELNS0_4arch9wavefront6targetE1EEEvT1_,@function
_ZN7rocprim17ROCPRIM_400000_NS6detail17trampoline_kernelINS0_14default_configENS1_20scan_config_selectorIyEEZZNS1_9scan_implILNS1_25lookback_scan_determinismE0ELb0ELb0ES3_N6thrust23THRUST_200600_302600_NS6detail15normal_iteratorINS9_10device_ptrIyEEEESE_y11max_functorIyEyEEDaPvRmT3_T4_T5_mT6_P12ihipStream_tbENKUlT_T0_E_clISt17integral_constantIbLb1EEST_IbLb0EEEEDaSP_SQ_EUlSP_E0_NS1_11comp_targetILNS1_3genE9ELNS1_11target_archE1100ELNS1_3gpuE3ELNS1_3repE0EEENS1_30default_config_static_selectorELNS0_4arch9wavefront6targetE1EEEvT1_: ; @_ZN7rocprim17ROCPRIM_400000_NS6detail17trampoline_kernelINS0_14default_configENS1_20scan_config_selectorIyEEZZNS1_9scan_implILNS1_25lookback_scan_determinismE0ELb0ELb0ES3_N6thrust23THRUST_200600_302600_NS6detail15normal_iteratorINS9_10device_ptrIyEEEESE_y11max_functorIyEyEEDaPvRmT3_T4_T5_mT6_P12ihipStream_tbENKUlT_T0_E_clISt17integral_constantIbLb1EEST_IbLb0EEEEDaSP_SQ_EUlSP_E0_NS1_11comp_targetILNS1_3genE9ELNS1_11target_archE1100ELNS1_3gpuE3ELNS1_3repE0EEENS1_30default_config_static_selectorELNS0_4arch9wavefront6targetE1EEEvT1_
; %bb.0:
	.section	.rodata,"a",@progbits
	.p2align	6, 0x0
	.amdhsa_kernel _ZN7rocprim17ROCPRIM_400000_NS6detail17trampoline_kernelINS0_14default_configENS1_20scan_config_selectorIyEEZZNS1_9scan_implILNS1_25lookback_scan_determinismE0ELb0ELb0ES3_N6thrust23THRUST_200600_302600_NS6detail15normal_iteratorINS9_10device_ptrIyEEEESE_y11max_functorIyEyEEDaPvRmT3_T4_T5_mT6_P12ihipStream_tbENKUlT_T0_E_clISt17integral_constantIbLb1EEST_IbLb0EEEEDaSP_SQ_EUlSP_E0_NS1_11comp_targetILNS1_3genE9ELNS1_11target_archE1100ELNS1_3gpuE3ELNS1_3repE0EEENS1_30default_config_static_selectorELNS0_4arch9wavefront6targetE1EEEvT1_
		.amdhsa_group_segment_fixed_size 0
		.amdhsa_private_segment_fixed_size 0
		.amdhsa_kernarg_size 40
		.amdhsa_user_sgpr_count 6
		.amdhsa_user_sgpr_private_segment_buffer 1
		.amdhsa_user_sgpr_dispatch_ptr 0
		.amdhsa_user_sgpr_queue_ptr 0
		.amdhsa_user_sgpr_kernarg_segment_ptr 1
		.amdhsa_user_sgpr_dispatch_id 0
		.amdhsa_user_sgpr_flat_scratch_init 0
		.amdhsa_user_sgpr_kernarg_preload_length 0
		.amdhsa_user_sgpr_kernarg_preload_offset 0
		.amdhsa_user_sgpr_private_segment_size 0
		.amdhsa_uses_dynamic_stack 0
		.amdhsa_system_sgpr_private_segment_wavefront_offset 0
		.amdhsa_system_sgpr_workgroup_id_x 1
		.amdhsa_system_sgpr_workgroup_id_y 0
		.amdhsa_system_sgpr_workgroup_id_z 0
		.amdhsa_system_sgpr_workgroup_info 0
		.amdhsa_system_vgpr_workitem_id 0
		.amdhsa_next_free_vgpr 1
		.amdhsa_next_free_sgpr 0
		.amdhsa_accum_offset 4
		.amdhsa_reserve_vcc 0
		.amdhsa_reserve_flat_scratch 0
		.amdhsa_float_round_mode_32 0
		.amdhsa_float_round_mode_16_64 0
		.amdhsa_float_denorm_mode_32 3
		.amdhsa_float_denorm_mode_16_64 3
		.amdhsa_dx10_clamp 1
		.amdhsa_ieee_mode 1
		.amdhsa_fp16_overflow 0
		.amdhsa_tg_split 0
		.amdhsa_exception_fp_ieee_invalid_op 0
		.amdhsa_exception_fp_denorm_src 0
		.amdhsa_exception_fp_ieee_div_zero 0
		.amdhsa_exception_fp_ieee_overflow 0
		.amdhsa_exception_fp_ieee_underflow 0
		.amdhsa_exception_fp_ieee_inexact 0
		.amdhsa_exception_int_div_zero 0
	.end_amdhsa_kernel
	.section	.text._ZN7rocprim17ROCPRIM_400000_NS6detail17trampoline_kernelINS0_14default_configENS1_20scan_config_selectorIyEEZZNS1_9scan_implILNS1_25lookback_scan_determinismE0ELb0ELb0ES3_N6thrust23THRUST_200600_302600_NS6detail15normal_iteratorINS9_10device_ptrIyEEEESE_y11max_functorIyEyEEDaPvRmT3_T4_T5_mT6_P12ihipStream_tbENKUlT_T0_E_clISt17integral_constantIbLb1EEST_IbLb0EEEEDaSP_SQ_EUlSP_E0_NS1_11comp_targetILNS1_3genE9ELNS1_11target_archE1100ELNS1_3gpuE3ELNS1_3repE0EEENS1_30default_config_static_selectorELNS0_4arch9wavefront6targetE1EEEvT1_,"axG",@progbits,_ZN7rocprim17ROCPRIM_400000_NS6detail17trampoline_kernelINS0_14default_configENS1_20scan_config_selectorIyEEZZNS1_9scan_implILNS1_25lookback_scan_determinismE0ELb0ELb0ES3_N6thrust23THRUST_200600_302600_NS6detail15normal_iteratorINS9_10device_ptrIyEEEESE_y11max_functorIyEyEEDaPvRmT3_T4_T5_mT6_P12ihipStream_tbENKUlT_T0_E_clISt17integral_constantIbLb1EEST_IbLb0EEEEDaSP_SQ_EUlSP_E0_NS1_11comp_targetILNS1_3genE9ELNS1_11target_archE1100ELNS1_3gpuE3ELNS1_3repE0EEENS1_30default_config_static_selectorELNS0_4arch9wavefront6targetE1EEEvT1_,comdat
.Lfunc_end2151:
	.size	_ZN7rocprim17ROCPRIM_400000_NS6detail17trampoline_kernelINS0_14default_configENS1_20scan_config_selectorIyEEZZNS1_9scan_implILNS1_25lookback_scan_determinismE0ELb0ELb0ES3_N6thrust23THRUST_200600_302600_NS6detail15normal_iteratorINS9_10device_ptrIyEEEESE_y11max_functorIyEyEEDaPvRmT3_T4_T5_mT6_P12ihipStream_tbENKUlT_T0_E_clISt17integral_constantIbLb1EEST_IbLb0EEEEDaSP_SQ_EUlSP_E0_NS1_11comp_targetILNS1_3genE9ELNS1_11target_archE1100ELNS1_3gpuE3ELNS1_3repE0EEENS1_30default_config_static_selectorELNS0_4arch9wavefront6targetE1EEEvT1_, .Lfunc_end2151-_ZN7rocprim17ROCPRIM_400000_NS6detail17trampoline_kernelINS0_14default_configENS1_20scan_config_selectorIyEEZZNS1_9scan_implILNS1_25lookback_scan_determinismE0ELb0ELb0ES3_N6thrust23THRUST_200600_302600_NS6detail15normal_iteratorINS9_10device_ptrIyEEEESE_y11max_functorIyEyEEDaPvRmT3_T4_T5_mT6_P12ihipStream_tbENKUlT_T0_E_clISt17integral_constantIbLb1EEST_IbLb0EEEEDaSP_SQ_EUlSP_E0_NS1_11comp_targetILNS1_3genE9ELNS1_11target_archE1100ELNS1_3gpuE3ELNS1_3repE0EEENS1_30default_config_static_selectorELNS0_4arch9wavefront6targetE1EEEvT1_
                                        ; -- End function
	.section	.AMDGPU.csdata,"",@progbits
; Kernel info:
; codeLenInByte = 0
; NumSgprs: 4
; NumVgprs: 0
; NumAgprs: 0
; TotalNumVgprs: 0
; ScratchSize: 0
; MemoryBound: 0
; FloatMode: 240
; IeeeMode: 1
; LDSByteSize: 0 bytes/workgroup (compile time only)
; SGPRBlocks: 0
; VGPRBlocks: 0
; NumSGPRsForWavesPerEU: 4
; NumVGPRsForWavesPerEU: 1
; AccumOffset: 4
; Occupancy: 8
; WaveLimiterHint : 0
; COMPUTE_PGM_RSRC2:SCRATCH_EN: 0
; COMPUTE_PGM_RSRC2:USER_SGPR: 6
; COMPUTE_PGM_RSRC2:TRAP_HANDLER: 0
; COMPUTE_PGM_RSRC2:TGID_X_EN: 1
; COMPUTE_PGM_RSRC2:TGID_Y_EN: 0
; COMPUTE_PGM_RSRC2:TGID_Z_EN: 0
; COMPUTE_PGM_RSRC2:TIDIG_COMP_CNT: 0
; COMPUTE_PGM_RSRC3_GFX90A:ACCUM_OFFSET: 0
; COMPUTE_PGM_RSRC3_GFX90A:TG_SPLIT: 0
	.section	.text._ZN7rocprim17ROCPRIM_400000_NS6detail17trampoline_kernelINS0_14default_configENS1_20scan_config_selectorIyEEZZNS1_9scan_implILNS1_25lookback_scan_determinismE0ELb0ELb0ES3_N6thrust23THRUST_200600_302600_NS6detail15normal_iteratorINS9_10device_ptrIyEEEESE_y11max_functorIyEyEEDaPvRmT3_T4_T5_mT6_P12ihipStream_tbENKUlT_T0_E_clISt17integral_constantIbLb1EEST_IbLb0EEEEDaSP_SQ_EUlSP_E0_NS1_11comp_targetILNS1_3genE8ELNS1_11target_archE1030ELNS1_3gpuE2ELNS1_3repE0EEENS1_30default_config_static_selectorELNS0_4arch9wavefront6targetE1EEEvT1_,"axG",@progbits,_ZN7rocprim17ROCPRIM_400000_NS6detail17trampoline_kernelINS0_14default_configENS1_20scan_config_selectorIyEEZZNS1_9scan_implILNS1_25lookback_scan_determinismE0ELb0ELb0ES3_N6thrust23THRUST_200600_302600_NS6detail15normal_iteratorINS9_10device_ptrIyEEEESE_y11max_functorIyEyEEDaPvRmT3_T4_T5_mT6_P12ihipStream_tbENKUlT_T0_E_clISt17integral_constantIbLb1EEST_IbLb0EEEEDaSP_SQ_EUlSP_E0_NS1_11comp_targetILNS1_3genE8ELNS1_11target_archE1030ELNS1_3gpuE2ELNS1_3repE0EEENS1_30default_config_static_selectorELNS0_4arch9wavefront6targetE1EEEvT1_,comdat
	.protected	_ZN7rocprim17ROCPRIM_400000_NS6detail17trampoline_kernelINS0_14default_configENS1_20scan_config_selectorIyEEZZNS1_9scan_implILNS1_25lookback_scan_determinismE0ELb0ELb0ES3_N6thrust23THRUST_200600_302600_NS6detail15normal_iteratorINS9_10device_ptrIyEEEESE_y11max_functorIyEyEEDaPvRmT3_T4_T5_mT6_P12ihipStream_tbENKUlT_T0_E_clISt17integral_constantIbLb1EEST_IbLb0EEEEDaSP_SQ_EUlSP_E0_NS1_11comp_targetILNS1_3genE8ELNS1_11target_archE1030ELNS1_3gpuE2ELNS1_3repE0EEENS1_30default_config_static_selectorELNS0_4arch9wavefront6targetE1EEEvT1_ ; -- Begin function _ZN7rocprim17ROCPRIM_400000_NS6detail17trampoline_kernelINS0_14default_configENS1_20scan_config_selectorIyEEZZNS1_9scan_implILNS1_25lookback_scan_determinismE0ELb0ELb0ES3_N6thrust23THRUST_200600_302600_NS6detail15normal_iteratorINS9_10device_ptrIyEEEESE_y11max_functorIyEyEEDaPvRmT3_T4_T5_mT6_P12ihipStream_tbENKUlT_T0_E_clISt17integral_constantIbLb1EEST_IbLb0EEEEDaSP_SQ_EUlSP_E0_NS1_11comp_targetILNS1_3genE8ELNS1_11target_archE1030ELNS1_3gpuE2ELNS1_3repE0EEENS1_30default_config_static_selectorELNS0_4arch9wavefront6targetE1EEEvT1_
	.globl	_ZN7rocprim17ROCPRIM_400000_NS6detail17trampoline_kernelINS0_14default_configENS1_20scan_config_selectorIyEEZZNS1_9scan_implILNS1_25lookback_scan_determinismE0ELb0ELb0ES3_N6thrust23THRUST_200600_302600_NS6detail15normal_iteratorINS9_10device_ptrIyEEEESE_y11max_functorIyEyEEDaPvRmT3_T4_T5_mT6_P12ihipStream_tbENKUlT_T0_E_clISt17integral_constantIbLb1EEST_IbLb0EEEEDaSP_SQ_EUlSP_E0_NS1_11comp_targetILNS1_3genE8ELNS1_11target_archE1030ELNS1_3gpuE2ELNS1_3repE0EEENS1_30default_config_static_selectorELNS0_4arch9wavefront6targetE1EEEvT1_
	.p2align	8
	.type	_ZN7rocprim17ROCPRIM_400000_NS6detail17trampoline_kernelINS0_14default_configENS1_20scan_config_selectorIyEEZZNS1_9scan_implILNS1_25lookback_scan_determinismE0ELb0ELb0ES3_N6thrust23THRUST_200600_302600_NS6detail15normal_iteratorINS9_10device_ptrIyEEEESE_y11max_functorIyEyEEDaPvRmT3_T4_T5_mT6_P12ihipStream_tbENKUlT_T0_E_clISt17integral_constantIbLb1EEST_IbLb0EEEEDaSP_SQ_EUlSP_E0_NS1_11comp_targetILNS1_3genE8ELNS1_11target_archE1030ELNS1_3gpuE2ELNS1_3repE0EEENS1_30default_config_static_selectorELNS0_4arch9wavefront6targetE1EEEvT1_,@function
_ZN7rocprim17ROCPRIM_400000_NS6detail17trampoline_kernelINS0_14default_configENS1_20scan_config_selectorIyEEZZNS1_9scan_implILNS1_25lookback_scan_determinismE0ELb0ELb0ES3_N6thrust23THRUST_200600_302600_NS6detail15normal_iteratorINS9_10device_ptrIyEEEESE_y11max_functorIyEyEEDaPvRmT3_T4_T5_mT6_P12ihipStream_tbENKUlT_T0_E_clISt17integral_constantIbLb1EEST_IbLb0EEEEDaSP_SQ_EUlSP_E0_NS1_11comp_targetILNS1_3genE8ELNS1_11target_archE1030ELNS1_3gpuE2ELNS1_3repE0EEENS1_30default_config_static_selectorELNS0_4arch9wavefront6targetE1EEEvT1_: ; @_ZN7rocprim17ROCPRIM_400000_NS6detail17trampoline_kernelINS0_14default_configENS1_20scan_config_selectorIyEEZZNS1_9scan_implILNS1_25lookback_scan_determinismE0ELb0ELb0ES3_N6thrust23THRUST_200600_302600_NS6detail15normal_iteratorINS9_10device_ptrIyEEEESE_y11max_functorIyEyEEDaPvRmT3_T4_T5_mT6_P12ihipStream_tbENKUlT_T0_E_clISt17integral_constantIbLb1EEST_IbLb0EEEEDaSP_SQ_EUlSP_E0_NS1_11comp_targetILNS1_3genE8ELNS1_11target_archE1030ELNS1_3gpuE2ELNS1_3repE0EEENS1_30default_config_static_selectorELNS0_4arch9wavefront6targetE1EEEvT1_
; %bb.0:
	.section	.rodata,"a",@progbits
	.p2align	6, 0x0
	.amdhsa_kernel _ZN7rocprim17ROCPRIM_400000_NS6detail17trampoline_kernelINS0_14default_configENS1_20scan_config_selectorIyEEZZNS1_9scan_implILNS1_25lookback_scan_determinismE0ELb0ELb0ES3_N6thrust23THRUST_200600_302600_NS6detail15normal_iteratorINS9_10device_ptrIyEEEESE_y11max_functorIyEyEEDaPvRmT3_T4_T5_mT6_P12ihipStream_tbENKUlT_T0_E_clISt17integral_constantIbLb1EEST_IbLb0EEEEDaSP_SQ_EUlSP_E0_NS1_11comp_targetILNS1_3genE8ELNS1_11target_archE1030ELNS1_3gpuE2ELNS1_3repE0EEENS1_30default_config_static_selectorELNS0_4arch9wavefront6targetE1EEEvT1_
		.amdhsa_group_segment_fixed_size 0
		.amdhsa_private_segment_fixed_size 0
		.amdhsa_kernarg_size 40
		.amdhsa_user_sgpr_count 6
		.amdhsa_user_sgpr_private_segment_buffer 1
		.amdhsa_user_sgpr_dispatch_ptr 0
		.amdhsa_user_sgpr_queue_ptr 0
		.amdhsa_user_sgpr_kernarg_segment_ptr 1
		.amdhsa_user_sgpr_dispatch_id 0
		.amdhsa_user_sgpr_flat_scratch_init 0
		.amdhsa_user_sgpr_kernarg_preload_length 0
		.amdhsa_user_sgpr_kernarg_preload_offset 0
		.amdhsa_user_sgpr_private_segment_size 0
		.amdhsa_uses_dynamic_stack 0
		.amdhsa_system_sgpr_private_segment_wavefront_offset 0
		.amdhsa_system_sgpr_workgroup_id_x 1
		.amdhsa_system_sgpr_workgroup_id_y 0
		.amdhsa_system_sgpr_workgroup_id_z 0
		.amdhsa_system_sgpr_workgroup_info 0
		.amdhsa_system_vgpr_workitem_id 0
		.amdhsa_next_free_vgpr 1
		.amdhsa_next_free_sgpr 0
		.amdhsa_accum_offset 4
		.amdhsa_reserve_vcc 0
		.amdhsa_reserve_flat_scratch 0
		.amdhsa_float_round_mode_32 0
		.amdhsa_float_round_mode_16_64 0
		.amdhsa_float_denorm_mode_32 3
		.amdhsa_float_denorm_mode_16_64 3
		.amdhsa_dx10_clamp 1
		.amdhsa_ieee_mode 1
		.amdhsa_fp16_overflow 0
		.amdhsa_tg_split 0
		.amdhsa_exception_fp_ieee_invalid_op 0
		.amdhsa_exception_fp_denorm_src 0
		.amdhsa_exception_fp_ieee_div_zero 0
		.amdhsa_exception_fp_ieee_overflow 0
		.amdhsa_exception_fp_ieee_underflow 0
		.amdhsa_exception_fp_ieee_inexact 0
		.amdhsa_exception_int_div_zero 0
	.end_amdhsa_kernel
	.section	.text._ZN7rocprim17ROCPRIM_400000_NS6detail17trampoline_kernelINS0_14default_configENS1_20scan_config_selectorIyEEZZNS1_9scan_implILNS1_25lookback_scan_determinismE0ELb0ELb0ES3_N6thrust23THRUST_200600_302600_NS6detail15normal_iteratorINS9_10device_ptrIyEEEESE_y11max_functorIyEyEEDaPvRmT3_T4_T5_mT6_P12ihipStream_tbENKUlT_T0_E_clISt17integral_constantIbLb1EEST_IbLb0EEEEDaSP_SQ_EUlSP_E0_NS1_11comp_targetILNS1_3genE8ELNS1_11target_archE1030ELNS1_3gpuE2ELNS1_3repE0EEENS1_30default_config_static_selectorELNS0_4arch9wavefront6targetE1EEEvT1_,"axG",@progbits,_ZN7rocprim17ROCPRIM_400000_NS6detail17trampoline_kernelINS0_14default_configENS1_20scan_config_selectorIyEEZZNS1_9scan_implILNS1_25lookback_scan_determinismE0ELb0ELb0ES3_N6thrust23THRUST_200600_302600_NS6detail15normal_iteratorINS9_10device_ptrIyEEEESE_y11max_functorIyEyEEDaPvRmT3_T4_T5_mT6_P12ihipStream_tbENKUlT_T0_E_clISt17integral_constantIbLb1EEST_IbLb0EEEEDaSP_SQ_EUlSP_E0_NS1_11comp_targetILNS1_3genE8ELNS1_11target_archE1030ELNS1_3gpuE2ELNS1_3repE0EEENS1_30default_config_static_selectorELNS0_4arch9wavefront6targetE1EEEvT1_,comdat
.Lfunc_end2152:
	.size	_ZN7rocprim17ROCPRIM_400000_NS6detail17trampoline_kernelINS0_14default_configENS1_20scan_config_selectorIyEEZZNS1_9scan_implILNS1_25lookback_scan_determinismE0ELb0ELb0ES3_N6thrust23THRUST_200600_302600_NS6detail15normal_iteratorINS9_10device_ptrIyEEEESE_y11max_functorIyEyEEDaPvRmT3_T4_T5_mT6_P12ihipStream_tbENKUlT_T0_E_clISt17integral_constantIbLb1EEST_IbLb0EEEEDaSP_SQ_EUlSP_E0_NS1_11comp_targetILNS1_3genE8ELNS1_11target_archE1030ELNS1_3gpuE2ELNS1_3repE0EEENS1_30default_config_static_selectorELNS0_4arch9wavefront6targetE1EEEvT1_, .Lfunc_end2152-_ZN7rocprim17ROCPRIM_400000_NS6detail17trampoline_kernelINS0_14default_configENS1_20scan_config_selectorIyEEZZNS1_9scan_implILNS1_25lookback_scan_determinismE0ELb0ELb0ES3_N6thrust23THRUST_200600_302600_NS6detail15normal_iteratorINS9_10device_ptrIyEEEESE_y11max_functorIyEyEEDaPvRmT3_T4_T5_mT6_P12ihipStream_tbENKUlT_T0_E_clISt17integral_constantIbLb1EEST_IbLb0EEEEDaSP_SQ_EUlSP_E0_NS1_11comp_targetILNS1_3genE8ELNS1_11target_archE1030ELNS1_3gpuE2ELNS1_3repE0EEENS1_30default_config_static_selectorELNS0_4arch9wavefront6targetE1EEEvT1_
                                        ; -- End function
	.section	.AMDGPU.csdata,"",@progbits
; Kernel info:
; codeLenInByte = 0
; NumSgprs: 4
; NumVgprs: 0
; NumAgprs: 0
; TotalNumVgprs: 0
; ScratchSize: 0
; MemoryBound: 0
; FloatMode: 240
; IeeeMode: 1
; LDSByteSize: 0 bytes/workgroup (compile time only)
; SGPRBlocks: 0
; VGPRBlocks: 0
; NumSGPRsForWavesPerEU: 4
; NumVGPRsForWavesPerEU: 1
; AccumOffset: 4
; Occupancy: 8
; WaveLimiterHint : 0
; COMPUTE_PGM_RSRC2:SCRATCH_EN: 0
; COMPUTE_PGM_RSRC2:USER_SGPR: 6
; COMPUTE_PGM_RSRC2:TRAP_HANDLER: 0
; COMPUTE_PGM_RSRC2:TGID_X_EN: 1
; COMPUTE_PGM_RSRC2:TGID_Y_EN: 0
; COMPUTE_PGM_RSRC2:TGID_Z_EN: 0
; COMPUTE_PGM_RSRC2:TIDIG_COMP_CNT: 0
; COMPUTE_PGM_RSRC3_GFX90A:ACCUM_OFFSET: 0
; COMPUTE_PGM_RSRC3_GFX90A:TG_SPLIT: 0
	.section	.text._ZN7rocprim17ROCPRIM_400000_NS6detail31init_lookback_scan_state_kernelINS1_19lookback_scan_stateIyLb0ELb1EEENS1_16block_id_wrapperIjLb1EEEEEvT_jT0_jPNS7_10value_typeE,"axG",@progbits,_ZN7rocprim17ROCPRIM_400000_NS6detail31init_lookback_scan_state_kernelINS1_19lookback_scan_stateIyLb0ELb1EEENS1_16block_id_wrapperIjLb1EEEEEvT_jT0_jPNS7_10value_typeE,comdat
	.protected	_ZN7rocprim17ROCPRIM_400000_NS6detail31init_lookback_scan_state_kernelINS1_19lookback_scan_stateIyLb0ELb1EEENS1_16block_id_wrapperIjLb1EEEEEvT_jT0_jPNS7_10value_typeE ; -- Begin function _ZN7rocprim17ROCPRIM_400000_NS6detail31init_lookback_scan_state_kernelINS1_19lookback_scan_stateIyLb0ELb1EEENS1_16block_id_wrapperIjLb1EEEEEvT_jT0_jPNS7_10value_typeE
	.globl	_ZN7rocprim17ROCPRIM_400000_NS6detail31init_lookback_scan_state_kernelINS1_19lookback_scan_stateIyLb0ELb1EEENS1_16block_id_wrapperIjLb1EEEEEvT_jT0_jPNS7_10value_typeE
	.p2align	8
	.type	_ZN7rocprim17ROCPRIM_400000_NS6detail31init_lookback_scan_state_kernelINS1_19lookback_scan_stateIyLb0ELb1EEENS1_16block_id_wrapperIjLb1EEEEEvT_jT0_jPNS7_10value_typeE,@function
_ZN7rocprim17ROCPRIM_400000_NS6detail31init_lookback_scan_state_kernelINS1_19lookback_scan_stateIyLb0ELb1EEENS1_16block_id_wrapperIjLb1EEEEEvT_jT0_jPNS7_10value_typeE: ; @_ZN7rocprim17ROCPRIM_400000_NS6detail31init_lookback_scan_state_kernelINS1_19lookback_scan_stateIyLb0ELb1EEENS1_16block_id_wrapperIjLb1EEEEEvT_jT0_jPNS7_10value_typeE
; %bb.0:
	s_load_dword s7, s[4:5], 0x34
	s_load_dwordx2 s[2:3], s[4:5], 0x20
	s_load_dwordx2 s[0:1], s[4:5], 0x0
	s_load_dword s14, s[4:5], 0x8
	s_waitcnt lgkmcnt(0)
	s_and_b32 s7, s7, 0xffff
	s_mul_i32 s6, s6, s7
	s_cmp_eq_u64 s[2:3], 0
	v_add_u32_e32 v0, s6, v0
	s_cbranch_scc1 .LBB2153_8
; %bb.1:
	s_load_dword s8, s[4:5], 0x18
	s_mov_b32 s9, 0
	s_waitcnt lgkmcnt(0)
	s_cmp_lt_u32 s8, s14
	s_cselect_b32 s6, s8, 0
	v_cmp_eq_u32_e32 vcc, s6, v0
	s_and_saveexec_b64 s[6:7], vcc
	s_cbranch_execz .LBB2153_7
; %bb.2:
	s_add_i32 s8, s8, 64
	s_lshl_b64 s[8:9], s[8:9], 4
	s_add_u32 s12, s0, s8
	s_addc_u32 s13, s1, s9
	v_pk_mov_b32 v[2:3], s[12:13], s[12:13] op_sel:[0,1]
	;;#ASMSTART
	global_load_dwordx4 v[2:5], v[2:3] off glc	
s_waitcnt vmcnt(0)
	;;#ASMEND
	v_mov_b32_e32 v7, 0
	v_and_b32_e32 v6, 0xff, v4
	s_mov_b64 s[10:11], 0
	v_cmp_eq_u64_e32 vcc, 0, v[6:7]
	s_and_saveexec_b64 s[8:9], vcc
	s_cbranch_execz .LBB2153_6
; %bb.3:
	v_pk_mov_b32 v[8:9], s[12:13], s[12:13] op_sel:[0,1]
.LBB2153_4:                             ; =>This Inner Loop Header: Depth=1
	;;#ASMSTART
	global_load_dwordx4 v[2:5], v[8:9] off glc	
s_waitcnt vmcnt(0)
	;;#ASMEND
	v_and_b32_e32 v6, 0xff, v4
	v_cmp_ne_u64_e32 vcc, 0, v[6:7]
	s_or_b64 s[10:11], vcc, s[10:11]
	s_andn2_b64 exec, exec, s[10:11]
	s_cbranch_execnz .LBB2153_4
; %bb.5:
	s_or_b64 exec, exec, s[10:11]
.LBB2153_6:
	s_or_b64 exec, exec, s[8:9]
	v_mov_b32_e32 v1, 0
	global_store_dwordx2 v1, v[2:3], s[2:3]
.LBB2153_7:
	s_or_b64 exec, exec, s[6:7]
.LBB2153_8:
	v_cmp_eq_u32_e32 vcc, 0, v0
	s_and_saveexec_b64 s[2:3], vcc
	s_cbranch_execnz .LBB2153_12
; %bb.9:
	s_or_b64 exec, exec, s[2:3]
	v_cmp_gt_u32_e32 vcc, s14, v0
	s_and_saveexec_b64 s[2:3], vcc
	s_cbranch_execnz .LBB2153_13
.LBB2153_10:
	s_or_b64 exec, exec, s[2:3]
	v_cmp_gt_u32_e32 vcc, 64, v0
	s_and_saveexec_b64 s[2:3], vcc
	s_cbranch_execnz .LBB2153_14
.LBB2153_11:
	s_endpgm
.LBB2153_12:
	s_load_dwordx2 s[4:5], s[4:5], 0x10
	v_mov_b32_e32 v1, 0
	s_waitcnt lgkmcnt(0)
	global_store_dword v1, v1, s[4:5]
	s_or_b64 exec, exec, s[2:3]
	v_cmp_gt_u32_e32 vcc, s14, v0
	s_and_saveexec_b64 s[2:3], vcc
	s_cbranch_execz .LBB2153_10
.LBB2153_13:
	v_add_u32_e32 v2, 64, v0
	v_mov_b32_e32 v3, 0
	v_lshlrev_b64 v[4:5], 4, v[2:3]
	v_mov_b32_e32 v1, s1
	v_add_co_u32_e32 v6, vcc, s0, v4
	v_addc_co_u32_e32 v7, vcc, v1, v5, vcc
	v_mov_b32_e32 v2, v3
	v_mov_b32_e32 v4, v3
	;; [unrolled: 1-line block ×3, first 2 shown]
	global_store_dwordx4 v[6:7], v[2:5], off
	s_or_b64 exec, exec, s[2:3]
	v_cmp_gt_u32_e32 vcc, 64, v0
	s_and_saveexec_b64 s[2:3], vcc
	s_cbranch_execz .LBB2153_11
.LBB2153_14:
	v_mov_b32_e32 v1, 0
	v_lshlrev_b64 v[2:3], 4, v[0:1]
	v_mov_b32_e32 v0, s1
	v_add_co_u32_e32 v4, vcc, s0, v2
	v_addc_co_u32_e32 v5, vcc, v0, v3, vcc
	v_mov_b32_e32 v2, 0xff
	v_mov_b32_e32 v0, v1
	;; [unrolled: 1-line block ×3, first 2 shown]
	global_store_dwordx4 v[4:5], v[0:3], off
	s_endpgm
	.section	.rodata,"a",@progbits
	.p2align	6, 0x0
	.amdhsa_kernel _ZN7rocprim17ROCPRIM_400000_NS6detail31init_lookback_scan_state_kernelINS1_19lookback_scan_stateIyLb0ELb1EEENS1_16block_id_wrapperIjLb1EEEEEvT_jT0_jPNS7_10value_typeE
		.amdhsa_group_segment_fixed_size 0
		.amdhsa_private_segment_fixed_size 0
		.amdhsa_kernarg_size 296
		.amdhsa_user_sgpr_count 6
		.amdhsa_user_sgpr_private_segment_buffer 1
		.amdhsa_user_sgpr_dispatch_ptr 0
		.amdhsa_user_sgpr_queue_ptr 0
		.amdhsa_user_sgpr_kernarg_segment_ptr 1
		.amdhsa_user_sgpr_dispatch_id 0
		.amdhsa_user_sgpr_flat_scratch_init 0
		.amdhsa_user_sgpr_kernarg_preload_length 0
		.amdhsa_user_sgpr_kernarg_preload_offset 0
		.amdhsa_user_sgpr_private_segment_size 0
		.amdhsa_uses_dynamic_stack 0
		.amdhsa_system_sgpr_private_segment_wavefront_offset 0
		.amdhsa_system_sgpr_workgroup_id_x 1
		.amdhsa_system_sgpr_workgroup_id_y 0
		.amdhsa_system_sgpr_workgroup_id_z 0
		.amdhsa_system_sgpr_workgroup_info 0
		.amdhsa_system_vgpr_workitem_id 0
		.amdhsa_next_free_vgpr 10
		.amdhsa_next_free_sgpr 15
		.amdhsa_accum_offset 12
		.amdhsa_reserve_vcc 1
		.amdhsa_reserve_flat_scratch 0
		.amdhsa_float_round_mode_32 0
		.amdhsa_float_round_mode_16_64 0
		.amdhsa_float_denorm_mode_32 3
		.amdhsa_float_denorm_mode_16_64 3
		.amdhsa_dx10_clamp 1
		.amdhsa_ieee_mode 1
		.amdhsa_fp16_overflow 0
		.amdhsa_tg_split 0
		.amdhsa_exception_fp_ieee_invalid_op 0
		.amdhsa_exception_fp_denorm_src 0
		.amdhsa_exception_fp_ieee_div_zero 0
		.amdhsa_exception_fp_ieee_overflow 0
		.amdhsa_exception_fp_ieee_underflow 0
		.amdhsa_exception_fp_ieee_inexact 0
		.amdhsa_exception_int_div_zero 0
	.end_amdhsa_kernel
	.section	.text._ZN7rocprim17ROCPRIM_400000_NS6detail31init_lookback_scan_state_kernelINS1_19lookback_scan_stateIyLb0ELb1EEENS1_16block_id_wrapperIjLb1EEEEEvT_jT0_jPNS7_10value_typeE,"axG",@progbits,_ZN7rocprim17ROCPRIM_400000_NS6detail31init_lookback_scan_state_kernelINS1_19lookback_scan_stateIyLb0ELb1EEENS1_16block_id_wrapperIjLb1EEEEEvT_jT0_jPNS7_10value_typeE,comdat
.Lfunc_end2153:
	.size	_ZN7rocprim17ROCPRIM_400000_NS6detail31init_lookback_scan_state_kernelINS1_19lookback_scan_stateIyLb0ELb1EEENS1_16block_id_wrapperIjLb1EEEEEvT_jT0_jPNS7_10value_typeE, .Lfunc_end2153-_ZN7rocprim17ROCPRIM_400000_NS6detail31init_lookback_scan_state_kernelINS1_19lookback_scan_stateIyLb0ELb1EEENS1_16block_id_wrapperIjLb1EEEEEvT_jT0_jPNS7_10value_typeE
                                        ; -- End function
	.section	.AMDGPU.csdata,"",@progbits
; Kernel info:
; codeLenInByte = 440
; NumSgprs: 19
; NumVgprs: 10
; NumAgprs: 0
; TotalNumVgprs: 10
; ScratchSize: 0
; MemoryBound: 0
; FloatMode: 240
; IeeeMode: 1
; LDSByteSize: 0 bytes/workgroup (compile time only)
; SGPRBlocks: 2
; VGPRBlocks: 1
; NumSGPRsForWavesPerEU: 19
; NumVGPRsForWavesPerEU: 10
; AccumOffset: 12
; Occupancy: 8
; WaveLimiterHint : 0
; COMPUTE_PGM_RSRC2:SCRATCH_EN: 0
; COMPUTE_PGM_RSRC2:USER_SGPR: 6
; COMPUTE_PGM_RSRC2:TRAP_HANDLER: 0
; COMPUTE_PGM_RSRC2:TGID_X_EN: 1
; COMPUTE_PGM_RSRC2:TGID_Y_EN: 0
; COMPUTE_PGM_RSRC2:TGID_Z_EN: 0
; COMPUTE_PGM_RSRC2:TIDIG_COMP_CNT: 0
; COMPUTE_PGM_RSRC3_GFX90A:ACCUM_OFFSET: 2
; COMPUTE_PGM_RSRC3_GFX90A:TG_SPLIT: 0
	.section	.text._ZN7rocprim17ROCPRIM_400000_NS6detail17trampoline_kernelINS0_14default_configENS1_20scan_config_selectorIyEEZZNS1_9scan_implILNS1_25lookback_scan_determinismE0ELb0ELb0ES3_N6thrust23THRUST_200600_302600_NS6detail15normal_iteratorINS9_10device_ptrIyEEEESE_y11max_functorIyEyEEDaPvRmT3_T4_T5_mT6_P12ihipStream_tbENKUlT_T0_E_clISt17integral_constantIbLb0EEST_IbLb1EEEEDaSP_SQ_EUlSP_E_NS1_11comp_targetILNS1_3genE0ELNS1_11target_archE4294967295ELNS1_3gpuE0ELNS1_3repE0EEENS1_30default_config_static_selectorELNS0_4arch9wavefront6targetE1EEEvT1_,"axG",@progbits,_ZN7rocprim17ROCPRIM_400000_NS6detail17trampoline_kernelINS0_14default_configENS1_20scan_config_selectorIyEEZZNS1_9scan_implILNS1_25lookback_scan_determinismE0ELb0ELb0ES3_N6thrust23THRUST_200600_302600_NS6detail15normal_iteratorINS9_10device_ptrIyEEEESE_y11max_functorIyEyEEDaPvRmT3_T4_T5_mT6_P12ihipStream_tbENKUlT_T0_E_clISt17integral_constantIbLb0EEST_IbLb1EEEEDaSP_SQ_EUlSP_E_NS1_11comp_targetILNS1_3genE0ELNS1_11target_archE4294967295ELNS1_3gpuE0ELNS1_3repE0EEENS1_30default_config_static_selectorELNS0_4arch9wavefront6targetE1EEEvT1_,comdat
	.protected	_ZN7rocprim17ROCPRIM_400000_NS6detail17trampoline_kernelINS0_14default_configENS1_20scan_config_selectorIyEEZZNS1_9scan_implILNS1_25lookback_scan_determinismE0ELb0ELb0ES3_N6thrust23THRUST_200600_302600_NS6detail15normal_iteratorINS9_10device_ptrIyEEEESE_y11max_functorIyEyEEDaPvRmT3_T4_T5_mT6_P12ihipStream_tbENKUlT_T0_E_clISt17integral_constantIbLb0EEST_IbLb1EEEEDaSP_SQ_EUlSP_E_NS1_11comp_targetILNS1_3genE0ELNS1_11target_archE4294967295ELNS1_3gpuE0ELNS1_3repE0EEENS1_30default_config_static_selectorELNS0_4arch9wavefront6targetE1EEEvT1_ ; -- Begin function _ZN7rocprim17ROCPRIM_400000_NS6detail17trampoline_kernelINS0_14default_configENS1_20scan_config_selectorIyEEZZNS1_9scan_implILNS1_25lookback_scan_determinismE0ELb0ELb0ES3_N6thrust23THRUST_200600_302600_NS6detail15normal_iteratorINS9_10device_ptrIyEEEESE_y11max_functorIyEyEEDaPvRmT3_T4_T5_mT6_P12ihipStream_tbENKUlT_T0_E_clISt17integral_constantIbLb0EEST_IbLb1EEEEDaSP_SQ_EUlSP_E_NS1_11comp_targetILNS1_3genE0ELNS1_11target_archE4294967295ELNS1_3gpuE0ELNS1_3repE0EEENS1_30default_config_static_selectorELNS0_4arch9wavefront6targetE1EEEvT1_
	.globl	_ZN7rocprim17ROCPRIM_400000_NS6detail17trampoline_kernelINS0_14default_configENS1_20scan_config_selectorIyEEZZNS1_9scan_implILNS1_25lookback_scan_determinismE0ELb0ELb0ES3_N6thrust23THRUST_200600_302600_NS6detail15normal_iteratorINS9_10device_ptrIyEEEESE_y11max_functorIyEyEEDaPvRmT3_T4_T5_mT6_P12ihipStream_tbENKUlT_T0_E_clISt17integral_constantIbLb0EEST_IbLb1EEEEDaSP_SQ_EUlSP_E_NS1_11comp_targetILNS1_3genE0ELNS1_11target_archE4294967295ELNS1_3gpuE0ELNS1_3repE0EEENS1_30default_config_static_selectorELNS0_4arch9wavefront6targetE1EEEvT1_
	.p2align	8
	.type	_ZN7rocprim17ROCPRIM_400000_NS6detail17trampoline_kernelINS0_14default_configENS1_20scan_config_selectorIyEEZZNS1_9scan_implILNS1_25lookback_scan_determinismE0ELb0ELb0ES3_N6thrust23THRUST_200600_302600_NS6detail15normal_iteratorINS9_10device_ptrIyEEEESE_y11max_functorIyEyEEDaPvRmT3_T4_T5_mT6_P12ihipStream_tbENKUlT_T0_E_clISt17integral_constantIbLb0EEST_IbLb1EEEEDaSP_SQ_EUlSP_E_NS1_11comp_targetILNS1_3genE0ELNS1_11target_archE4294967295ELNS1_3gpuE0ELNS1_3repE0EEENS1_30default_config_static_selectorELNS0_4arch9wavefront6targetE1EEEvT1_,@function
_ZN7rocprim17ROCPRIM_400000_NS6detail17trampoline_kernelINS0_14default_configENS1_20scan_config_selectorIyEEZZNS1_9scan_implILNS1_25lookback_scan_determinismE0ELb0ELb0ES3_N6thrust23THRUST_200600_302600_NS6detail15normal_iteratorINS9_10device_ptrIyEEEESE_y11max_functorIyEyEEDaPvRmT3_T4_T5_mT6_P12ihipStream_tbENKUlT_T0_E_clISt17integral_constantIbLb0EEST_IbLb1EEEEDaSP_SQ_EUlSP_E_NS1_11comp_targetILNS1_3genE0ELNS1_11target_archE4294967295ELNS1_3gpuE0ELNS1_3repE0EEENS1_30default_config_static_selectorELNS0_4arch9wavefront6targetE1EEEvT1_: ; @_ZN7rocprim17ROCPRIM_400000_NS6detail17trampoline_kernelINS0_14default_configENS1_20scan_config_selectorIyEEZZNS1_9scan_implILNS1_25lookback_scan_determinismE0ELb0ELb0ES3_N6thrust23THRUST_200600_302600_NS6detail15normal_iteratorINS9_10device_ptrIyEEEESE_y11max_functorIyEyEEDaPvRmT3_T4_T5_mT6_P12ihipStream_tbENKUlT_T0_E_clISt17integral_constantIbLb0EEST_IbLb1EEEEDaSP_SQ_EUlSP_E_NS1_11comp_targetILNS1_3genE0ELNS1_11target_archE4294967295ELNS1_3gpuE0ELNS1_3repE0EEENS1_30default_config_static_selectorELNS0_4arch9wavefront6targetE1EEEvT1_
; %bb.0:
	.section	.rodata,"a",@progbits
	.p2align	6, 0x0
	.amdhsa_kernel _ZN7rocprim17ROCPRIM_400000_NS6detail17trampoline_kernelINS0_14default_configENS1_20scan_config_selectorIyEEZZNS1_9scan_implILNS1_25lookback_scan_determinismE0ELb0ELb0ES3_N6thrust23THRUST_200600_302600_NS6detail15normal_iteratorINS9_10device_ptrIyEEEESE_y11max_functorIyEyEEDaPvRmT3_T4_T5_mT6_P12ihipStream_tbENKUlT_T0_E_clISt17integral_constantIbLb0EEST_IbLb1EEEEDaSP_SQ_EUlSP_E_NS1_11comp_targetILNS1_3genE0ELNS1_11target_archE4294967295ELNS1_3gpuE0ELNS1_3repE0EEENS1_30default_config_static_selectorELNS0_4arch9wavefront6targetE1EEEvT1_
		.amdhsa_group_segment_fixed_size 0
		.amdhsa_private_segment_fixed_size 0
		.amdhsa_kernarg_size 104
		.amdhsa_user_sgpr_count 6
		.amdhsa_user_sgpr_private_segment_buffer 1
		.amdhsa_user_sgpr_dispatch_ptr 0
		.amdhsa_user_sgpr_queue_ptr 0
		.amdhsa_user_sgpr_kernarg_segment_ptr 1
		.amdhsa_user_sgpr_dispatch_id 0
		.amdhsa_user_sgpr_flat_scratch_init 0
		.amdhsa_user_sgpr_kernarg_preload_length 0
		.amdhsa_user_sgpr_kernarg_preload_offset 0
		.amdhsa_user_sgpr_private_segment_size 0
		.amdhsa_uses_dynamic_stack 0
		.amdhsa_system_sgpr_private_segment_wavefront_offset 0
		.amdhsa_system_sgpr_workgroup_id_x 1
		.amdhsa_system_sgpr_workgroup_id_y 0
		.amdhsa_system_sgpr_workgroup_id_z 0
		.amdhsa_system_sgpr_workgroup_info 0
		.amdhsa_system_vgpr_workitem_id 0
		.amdhsa_next_free_vgpr 1
		.amdhsa_next_free_sgpr 0
		.amdhsa_accum_offset 4
		.amdhsa_reserve_vcc 0
		.amdhsa_reserve_flat_scratch 0
		.amdhsa_float_round_mode_32 0
		.amdhsa_float_round_mode_16_64 0
		.amdhsa_float_denorm_mode_32 3
		.amdhsa_float_denorm_mode_16_64 3
		.amdhsa_dx10_clamp 1
		.amdhsa_ieee_mode 1
		.amdhsa_fp16_overflow 0
		.amdhsa_tg_split 0
		.amdhsa_exception_fp_ieee_invalid_op 0
		.amdhsa_exception_fp_denorm_src 0
		.amdhsa_exception_fp_ieee_div_zero 0
		.amdhsa_exception_fp_ieee_overflow 0
		.amdhsa_exception_fp_ieee_underflow 0
		.amdhsa_exception_fp_ieee_inexact 0
		.amdhsa_exception_int_div_zero 0
	.end_amdhsa_kernel
	.section	.text._ZN7rocprim17ROCPRIM_400000_NS6detail17trampoline_kernelINS0_14default_configENS1_20scan_config_selectorIyEEZZNS1_9scan_implILNS1_25lookback_scan_determinismE0ELb0ELb0ES3_N6thrust23THRUST_200600_302600_NS6detail15normal_iteratorINS9_10device_ptrIyEEEESE_y11max_functorIyEyEEDaPvRmT3_T4_T5_mT6_P12ihipStream_tbENKUlT_T0_E_clISt17integral_constantIbLb0EEST_IbLb1EEEEDaSP_SQ_EUlSP_E_NS1_11comp_targetILNS1_3genE0ELNS1_11target_archE4294967295ELNS1_3gpuE0ELNS1_3repE0EEENS1_30default_config_static_selectorELNS0_4arch9wavefront6targetE1EEEvT1_,"axG",@progbits,_ZN7rocprim17ROCPRIM_400000_NS6detail17trampoline_kernelINS0_14default_configENS1_20scan_config_selectorIyEEZZNS1_9scan_implILNS1_25lookback_scan_determinismE0ELb0ELb0ES3_N6thrust23THRUST_200600_302600_NS6detail15normal_iteratorINS9_10device_ptrIyEEEESE_y11max_functorIyEyEEDaPvRmT3_T4_T5_mT6_P12ihipStream_tbENKUlT_T0_E_clISt17integral_constantIbLb0EEST_IbLb1EEEEDaSP_SQ_EUlSP_E_NS1_11comp_targetILNS1_3genE0ELNS1_11target_archE4294967295ELNS1_3gpuE0ELNS1_3repE0EEENS1_30default_config_static_selectorELNS0_4arch9wavefront6targetE1EEEvT1_,comdat
.Lfunc_end2154:
	.size	_ZN7rocprim17ROCPRIM_400000_NS6detail17trampoline_kernelINS0_14default_configENS1_20scan_config_selectorIyEEZZNS1_9scan_implILNS1_25lookback_scan_determinismE0ELb0ELb0ES3_N6thrust23THRUST_200600_302600_NS6detail15normal_iteratorINS9_10device_ptrIyEEEESE_y11max_functorIyEyEEDaPvRmT3_T4_T5_mT6_P12ihipStream_tbENKUlT_T0_E_clISt17integral_constantIbLb0EEST_IbLb1EEEEDaSP_SQ_EUlSP_E_NS1_11comp_targetILNS1_3genE0ELNS1_11target_archE4294967295ELNS1_3gpuE0ELNS1_3repE0EEENS1_30default_config_static_selectorELNS0_4arch9wavefront6targetE1EEEvT1_, .Lfunc_end2154-_ZN7rocprim17ROCPRIM_400000_NS6detail17trampoline_kernelINS0_14default_configENS1_20scan_config_selectorIyEEZZNS1_9scan_implILNS1_25lookback_scan_determinismE0ELb0ELb0ES3_N6thrust23THRUST_200600_302600_NS6detail15normal_iteratorINS9_10device_ptrIyEEEESE_y11max_functorIyEyEEDaPvRmT3_T4_T5_mT6_P12ihipStream_tbENKUlT_T0_E_clISt17integral_constantIbLb0EEST_IbLb1EEEEDaSP_SQ_EUlSP_E_NS1_11comp_targetILNS1_3genE0ELNS1_11target_archE4294967295ELNS1_3gpuE0ELNS1_3repE0EEENS1_30default_config_static_selectorELNS0_4arch9wavefront6targetE1EEEvT1_
                                        ; -- End function
	.section	.AMDGPU.csdata,"",@progbits
; Kernel info:
; codeLenInByte = 0
; NumSgprs: 4
; NumVgprs: 0
; NumAgprs: 0
; TotalNumVgprs: 0
; ScratchSize: 0
; MemoryBound: 0
; FloatMode: 240
; IeeeMode: 1
; LDSByteSize: 0 bytes/workgroup (compile time only)
; SGPRBlocks: 0
; VGPRBlocks: 0
; NumSGPRsForWavesPerEU: 4
; NumVGPRsForWavesPerEU: 1
; AccumOffset: 4
; Occupancy: 8
; WaveLimiterHint : 0
; COMPUTE_PGM_RSRC2:SCRATCH_EN: 0
; COMPUTE_PGM_RSRC2:USER_SGPR: 6
; COMPUTE_PGM_RSRC2:TRAP_HANDLER: 0
; COMPUTE_PGM_RSRC2:TGID_X_EN: 1
; COMPUTE_PGM_RSRC2:TGID_Y_EN: 0
; COMPUTE_PGM_RSRC2:TGID_Z_EN: 0
; COMPUTE_PGM_RSRC2:TIDIG_COMP_CNT: 0
; COMPUTE_PGM_RSRC3_GFX90A:ACCUM_OFFSET: 0
; COMPUTE_PGM_RSRC3_GFX90A:TG_SPLIT: 0
	.section	.text._ZN7rocprim17ROCPRIM_400000_NS6detail17trampoline_kernelINS0_14default_configENS1_20scan_config_selectorIyEEZZNS1_9scan_implILNS1_25lookback_scan_determinismE0ELb0ELb0ES3_N6thrust23THRUST_200600_302600_NS6detail15normal_iteratorINS9_10device_ptrIyEEEESE_y11max_functorIyEyEEDaPvRmT3_T4_T5_mT6_P12ihipStream_tbENKUlT_T0_E_clISt17integral_constantIbLb0EEST_IbLb1EEEEDaSP_SQ_EUlSP_E_NS1_11comp_targetILNS1_3genE5ELNS1_11target_archE942ELNS1_3gpuE9ELNS1_3repE0EEENS1_30default_config_static_selectorELNS0_4arch9wavefront6targetE1EEEvT1_,"axG",@progbits,_ZN7rocprim17ROCPRIM_400000_NS6detail17trampoline_kernelINS0_14default_configENS1_20scan_config_selectorIyEEZZNS1_9scan_implILNS1_25lookback_scan_determinismE0ELb0ELb0ES3_N6thrust23THRUST_200600_302600_NS6detail15normal_iteratorINS9_10device_ptrIyEEEESE_y11max_functorIyEyEEDaPvRmT3_T4_T5_mT6_P12ihipStream_tbENKUlT_T0_E_clISt17integral_constantIbLb0EEST_IbLb1EEEEDaSP_SQ_EUlSP_E_NS1_11comp_targetILNS1_3genE5ELNS1_11target_archE942ELNS1_3gpuE9ELNS1_3repE0EEENS1_30default_config_static_selectorELNS0_4arch9wavefront6targetE1EEEvT1_,comdat
	.protected	_ZN7rocprim17ROCPRIM_400000_NS6detail17trampoline_kernelINS0_14default_configENS1_20scan_config_selectorIyEEZZNS1_9scan_implILNS1_25lookback_scan_determinismE0ELb0ELb0ES3_N6thrust23THRUST_200600_302600_NS6detail15normal_iteratorINS9_10device_ptrIyEEEESE_y11max_functorIyEyEEDaPvRmT3_T4_T5_mT6_P12ihipStream_tbENKUlT_T0_E_clISt17integral_constantIbLb0EEST_IbLb1EEEEDaSP_SQ_EUlSP_E_NS1_11comp_targetILNS1_3genE5ELNS1_11target_archE942ELNS1_3gpuE9ELNS1_3repE0EEENS1_30default_config_static_selectorELNS0_4arch9wavefront6targetE1EEEvT1_ ; -- Begin function _ZN7rocprim17ROCPRIM_400000_NS6detail17trampoline_kernelINS0_14default_configENS1_20scan_config_selectorIyEEZZNS1_9scan_implILNS1_25lookback_scan_determinismE0ELb0ELb0ES3_N6thrust23THRUST_200600_302600_NS6detail15normal_iteratorINS9_10device_ptrIyEEEESE_y11max_functorIyEyEEDaPvRmT3_T4_T5_mT6_P12ihipStream_tbENKUlT_T0_E_clISt17integral_constantIbLb0EEST_IbLb1EEEEDaSP_SQ_EUlSP_E_NS1_11comp_targetILNS1_3genE5ELNS1_11target_archE942ELNS1_3gpuE9ELNS1_3repE0EEENS1_30default_config_static_selectorELNS0_4arch9wavefront6targetE1EEEvT1_
	.globl	_ZN7rocprim17ROCPRIM_400000_NS6detail17trampoline_kernelINS0_14default_configENS1_20scan_config_selectorIyEEZZNS1_9scan_implILNS1_25lookback_scan_determinismE0ELb0ELb0ES3_N6thrust23THRUST_200600_302600_NS6detail15normal_iteratorINS9_10device_ptrIyEEEESE_y11max_functorIyEyEEDaPvRmT3_T4_T5_mT6_P12ihipStream_tbENKUlT_T0_E_clISt17integral_constantIbLb0EEST_IbLb1EEEEDaSP_SQ_EUlSP_E_NS1_11comp_targetILNS1_3genE5ELNS1_11target_archE942ELNS1_3gpuE9ELNS1_3repE0EEENS1_30default_config_static_selectorELNS0_4arch9wavefront6targetE1EEEvT1_
	.p2align	8
	.type	_ZN7rocprim17ROCPRIM_400000_NS6detail17trampoline_kernelINS0_14default_configENS1_20scan_config_selectorIyEEZZNS1_9scan_implILNS1_25lookback_scan_determinismE0ELb0ELb0ES3_N6thrust23THRUST_200600_302600_NS6detail15normal_iteratorINS9_10device_ptrIyEEEESE_y11max_functorIyEyEEDaPvRmT3_T4_T5_mT6_P12ihipStream_tbENKUlT_T0_E_clISt17integral_constantIbLb0EEST_IbLb1EEEEDaSP_SQ_EUlSP_E_NS1_11comp_targetILNS1_3genE5ELNS1_11target_archE942ELNS1_3gpuE9ELNS1_3repE0EEENS1_30default_config_static_selectorELNS0_4arch9wavefront6targetE1EEEvT1_,@function
_ZN7rocprim17ROCPRIM_400000_NS6detail17trampoline_kernelINS0_14default_configENS1_20scan_config_selectorIyEEZZNS1_9scan_implILNS1_25lookback_scan_determinismE0ELb0ELb0ES3_N6thrust23THRUST_200600_302600_NS6detail15normal_iteratorINS9_10device_ptrIyEEEESE_y11max_functorIyEyEEDaPvRmT3_T4_T5_mT6_P12ihipStream_tbENKUlT_T0_E_clISt17integral_constantIbLb0EEST_IbLb1EEEEDaSP_SQ_EUlSP_E_NS1_11comp_targetILNS1_3genE5ELNS1_11target_archE942ELNS1_3gpuE9ELNS1_3repE0EEENS1_30default_config_static_selectorELNS0_4arch9wavefront6targetE1EEEvT1_: ; @_ZN7rocprim17ROCPRIM_400000_NS6detail17trampoline_kernelINS0_14default_configENS1_20scan_config_selectorIyEEZZNS1_9scan_implILNS1_25lookback_scan_determinismE0ELb0ELb0ES3_N6thrust23THRUST_200600_302600_NS6detail15normal_iteratorINS9_10device_ptrIyEEEESE_y11max_functorIyEyEEDaPvRmT3_T4_T5_mT6_P12ihipStream_tbENKUlT_T0_E_clISt17integral_constantIbLb0EEST_IbLb1EEEEDaSP_SQ_EUlSP_E_NS1_11comp_targetILNS1_3genE5ELNS1_11target_archE942ELNS1_3gpuE9ELNS1_3repE0EEENS1_30default_config_static_selectorELNS0_4arch9wavefront6targetE1EEEvT1_
; %bb.0:
	.section	.rodata,"a",@progbits
	.p2align	6, 0x0
	.amdhsa_kernel _ZN7rocprim17ROCPRIM_400000_NS6detail17trampoline_kernelINS0_14default_configENS1_20scan_config_selectorIyEEZZNS1_9scan_implILNS1_25lookback_scan_determinismE0ELb0ELb0ES3_N6thrust23THRUST_200600_302600_NS6detail15normal_iteratorINS9_10device_ptrIyEEEESE_y11max_functorIyEyEEDaPvRmT3_T4_T5_mT6_P12ihipStream_tbENKUlT_T0_E_clISt17integral_constantIbLb0EEST_IbLb1EEEEDaSP_SQ_EUlSP_E_NS1_11comp_targetILNS1_3genE5ELNS1_11target_archE942ELNS1_3gpuE9ELNS1_3repE0EEENS1_30default_config_static_selectorELNS0_4arch9wavefront6targetE1EEEvT1_
		.amdhsa_group_segment_fixed_size 0
		.amdhsa_private_segment_fixed_size 0
		.amdhsa_kernarg_size 104
		.amdhsa_user_sgpr_count 6
		.amdhsa_user_sgpr_private_segment_buffer 1
		.amdhsa_user_sgpr_dispatch_ptr 0
		.amdhsa_user_sgpr_queue_ptr 0
		.amdhsa_user_sgpr_kernarg_segment_ptr 1
		.amdhsa_user_sgpr_dispatch_id 0
		.amdhsa_user_sgpr_flat_scratch_init 0
		.amdhsa_user_sgpr_kernarg_preload_length 0
		.amdhsa_user_sgpr_kernarg_preload_offset 0
		.amdhsa_user_sgpr_private_segment_size 0
		.amdhsa_uses_dynamic_stack 0
		.amdhsa_system_sgpr_private_segment_wavefront_offset 0
		.amdhsa_system_sgpr_workgroup_id_x 1
		.amdhsa_system_sgpr_workgroup_id_y 0
		.amdhsa_system_sgpr_workgroup_id_z 0
		.amdhsa_system_sgpr_workgroup_info 0
		.amdhsa_system_vgpr_workitem_id 0
		.amdhsa_next_free_vgpr 1
		.amdhsa_next_free_sgpr 0
		.amdhsa_accum_offset 4
		.amdhsa_reserve_vcc 0
		.amdhsa_reserve_flat_scratch 0
		.amdhsa_float_round_mode_32 0
		.amdhsa_float_round_mode_16_64 0
		.amdhsa_float_denorm_mode_32 3
		.amdhsa_float_denorm_mode_16_64 3
		.amdhsa_dx10_clamp 1
		.amdhsa_ieee_mode 1
		.amdhsa_fp16_overflow 0
		.amdhsa_tg_split 0
		.amdhsa_exception_fp_ieee_invalid_op 0
		.amdhsa_exception_fp_denorm_src 0
		.amdhsa_exception_fp_ieee_div_zero 0
		.amdhsa_exception_fp_ieee_overflow 0
		.amdhsa_exception_fp_ieee_underflow 0
		.amdhsa_exception_fp_ieee_inexact 0
		.amdhsa_exception_int_div_zero 0
	.end_amdhsa_kernel
	.section	.text._ZN7rocprim17ROCPRIM_400000_NS6detail17trampoline_kernelINS0_14default_configENS1_20scan_config_selectorIyEEZZNS1_9scan_implILNS1_25lookback_scan_determinismE0ELb0ELb0ES3_N6thrust23THRUST_200600_302600_NS6detail15normal_iteratorINS9_10device_ptrIyEEEESE_y11max_functorIyEyEEDaPvRmT3_T4_T5_mT6_P12ihipStream_tbENKUlT_T0_E_clISt17integral_constantIbLb0EEST_IbLb1EEEEDaSP_SQ_EUlSP_E_NS1_11comp_targetILNS1_3genE5ELNS1_11target_archE942ELNS1_3gpuE9ELNS1_3repE0EEENS1_30default_config_static_selectorELNS0_4arch9wavefront6targetE1EEEvT1_,"axG",@progbits,_ZN7rocprim17ROCPRIM_400000_NS6detail17trampoline_kernelINS0_14default_configENS1_20scan_config_selectorIyEEZZNS1_9scan_implILNS1_25lookback_scan_determinismE0ELb0ELb0ES3_N6thrust23THRUST_200600_302600_NS6detail15normal_iteratorINS9_10device_ptrIyEEEESE_y11max_functorIyEyEEDaPvRmT3_T4_T5_mT6_P12ihipStream_tbENKUlT_T0_E_clISt17integral_constantIbLb0EEST_IbLb1EEEEDaSP_SQ_EUlSP_E_NS1_11comp_targetILNS1_3genE5ELNS1_11target_archE942ELNS1_3gpuE9ELNS1_3repE0EEENS1_30default_config_static_selectorELNS0_4arch9wavefront6targetE1EEEvT1_,comdat
.Lfunc_end2155:
	.size	_ZN7rocprim17ROCPRIM_400000_NS6detail17trampoline_kernelINS0_14default_configENS1_20scan_config_selectorIyEEZZNS1_9scan_implILNS1_25lookback_scan_determinismE0ELb0ELb0ES3_N6thrust23THRUST_200600_302600_NS6detail15normal_iteratorINS9_10device_ptrIyEEEESE_y11max_functorIyEyEEDaPvRmT3_T4_T5_mT6_P12ihipStream_tbENKUlT_T0_E_clISt17integral_constantIbLb0EEST_IbLb1EEEEDaSP_SQ_EUlSP_E_NS1_11comp_targetILNS1_3genE5ELNS1_11target_archE942ELNS1_3gpuE9ELNS1_3repE0EEENS1_30default_config_static_selectorELNS0_4arch9wavefront6targetE1EEEvT1_, .Lfunc_end2155-_ZN7rocprim17ROCPRIM_400000_NS6detail17trampoline_kernelINS0_14default_configENS1_20scan_config_selectorIyEEZZNS1_9scan_implILNS1_25lookback_scan_determinismE0ELb0ELb0ES3_N6thrust23THRUST_200600_302600_NS6detail15normal_iteratorINS9_10device_ptrIyEEEESE_y11max_functorIyEyEEDaPvRmT3_T4_T5_mT6_P12ihipStream_tbENKUlT_T0_E_clISt17integral_constantIbLb0EEST_IbLb1EEEEDaSP_SQ_EUlSP_E_NS1_11comp_targetILNS1_3genE5ELNS1_11target_archE942ELNS1_3gpuE9ELNS1_3repE0EEENS1_30default_config_static_selectorELNS0_4arch9wavefront6targetE1EEEvT1_
                                        ; -- End function
	.section	.AMDGPU.csdata,"",@progbits
; Kernel info:
; codeLenInByte = 0
; NumSgprs: 4
; NumVgprs: 0
; NumAgprs: 0
; TotalNumVgprs: 0
; ScratchSize: 0
; MemoryBound: 0
; FloatMode: 240
; IeeeMode: 1
; LDSByteSize: 0 bytes/workgroup (compile time only)
; SGPRBlocks: 0
; VGPRBlocks: 0
; NumSGPRsForWavesPerEU: 4
; NumVGPRsForWavesPerEU: 1
; AccumOffset: 4
; Occupancy: 8
; WaveLimiterHint : 0
; COMPUTE_PGM_RSRC2:SCRATCH_EN: 0
; COMPUTE_PGM_RSRC2:USER_SGPR: 6
; COMPUTE_PGM_RSRC2:TRAP_HANDLER: 0
; COMPUTE_PGM_RSRC2:TGID_X_EN: 1
; COMPUTE_PGM_RSRC2:TGID_Y_EN: 0
; COMPUTE_PGM_RSRC2:TGID_Z_EN: 0
; COMPUTE_PGM_RSRC2:TIDIG_COMP_CNT: 0
; COMPUTE_PGM_RSRC3_GFX90A:ACCUM_OFFSET: 0
; COMPUTE_PGM_RSRC3_GFX90A:TG_SPLIT: 0
	.section	.text._ZN7rocprim17ROCPRIM_400000_NS6detail17trampoline_kernelINS0_14default_configENS1_20scan_config_selectorIyEEZZNS1_9scan_implILNS1_25lookback_scan_determinismE0ELb0ELb0ES3_N6thrust23THRUST_200600_302600_NS6detail15normal_iteratorINS9_10device_ptrIyEEEESE_y11max_functorIyEyEEDaPvRmT3_T4_T5_mT6_P12ihipStream_tbENKUlT_T0_E_clISt17integral_constantIbLb0EEST_IbLb1EEEEDaSP_SQ_EUlSP_E_NS1_11comp_targetILNS1_3genE4ELNS1_11target_archE910ELNS1_3gpuE8ELNS1_3repE0EEENS1_30default_config_static_selectorELNS0_4arch9wavefront6targetE1EEEvT1_,"axG",@progbits,_ZN7rocprim17ROCPRIM_400000_NS6detail17trampoline_kernelINS0_14default_configENS1_20scan_config_selectorIyEEZZNS1_9scan_implILNS1_25lookback_scan_determinismE0ELb0ELb0ES3_N6thrust23THRUST_200600_302600_NS6detail15normal_iteratorINS9_10device_ptrIyEEEESE_y11max_functorIyEyEEDaPvRmT3_T4_T5_mT6_P12ihipStream_tbENKUlT_T0_E_clISt17integral_constantIbLb0EEST_IbLb1EEEEDaSP_SQ_EUlSP_E_NS1_11comp_targetILNS1_3genE4ELNS1_11target_archE910ELNS1_3gpuE8ELNS1_3repE0EEENS1_30default_config_static_selectorELNS0_4arch9wavefront6targetE1EEEvT1_,comdat
	.protected	_ZN7rocprim17ROCPRIM_400000_NS6detail17trampoline_kernelINS0_14default_configENS1_20scan_config_selectorIyEEZZNS1_9scan_implILNS1_25lookback_scan_determinismE0ELb0ELb0ES3_N6thrust23THRUST_200600_302600_NS6detail15normal_iteratorINS9_10device_ptrIyEEEESE_y11max_functorIyEyEEDaPvRmT3_T4_T5_mT6_P12ihipStream_tbENKUlT_T0_E_clISt17integral_constantIbLb0EEST_IbLb1EEEEDaSP_SQ_EUlSP_E_NS1_11comp_targetILNS1_3genE4ELNS1_11target_archE910ELNS1_3gpuE8ELNS1_3repE0EEENS1_30default_config_static_selectorELNS0_4arch9wavefront6targetE1EEEvT1_ ; -- Begin function _ZN7rocprim17ROCPRIM_400000_NS6detail17trampoline_kernelINS0_14default_configENS1_20scan_config_selectorIyEEZZNS1_9scan_implILNS1_25lookback_scan_determinismE0ELb0ELb0ES3_N6thrust23THRUST_200600_302600_NS6detail15normal_iteratorINS9_10device_ptrIyEEEESE_y11max_functorIyEyEEDaPvRmT3_T4_T5_mT6_P12ihipStream_tbENKUlT_T0_E_clISt17integral_constantIbLb0EEST_IbLb1EEEEDaSP_SQ_EUlSP_E_NS1_11comp_targetILNS1_3genE4ELNS1_11target_archE910ELNS1_3gpuE8ELNS1_3repE0EEENS1_30default_config_static_selectorELNS0_4arch9wavefront6targetE1EEEvT1_
	.globl	_ZN7rocprim17ROCPRIM_400000_NS6detail17trampoline_kernelINS0_14default_configENS1_20scan_config_selectorIyEEZZNS1_9scan_implILNS1_25lookback_scan_determinismE0ELb0ELb0ES3_N6thrust23THRUST_200600_302600_NS6detail15normal_iteratorINS9_10device_ptrIyEEEESE_y11max_functorIyEyEEDaPvRmT3_T4_T5_mT6_P12ihipStream_tbENKUlT_T0_E_clISt17integral_constantIbLb0EEST_IbLb1EEEEDaSP_SQ_EUlSP_E_NS1_11comp_targetILNS1_3genE4ELNS1_11target_archE910ELNS1_3gpuE8ELNS1_3repE0EEENS1_30default_config_static_selectorELNS0_4arch9wavefront6targetE1EEEvT1_
	.p2align	8
	.type	_ZN7rocprim17ROCPRIM_400000_NS6detail17trampoline_kernelINS0_14default_configENS1_20scan_config_selectorIyEEZZNS1_9scan_implILNS1_25lookback_scan_determinismE0ELb0ELb0ES3_N6thrust23THRUST_200600_302600_NS6detail15normal_iteratorINS9_10device_ptrIyEEEESE_y11max_functorIyEyEEDaPvRmT3_T4_T5_mT6_P12ihipStream_tbENKUlT_T0_E_clISt17integral_constantIbLb0EEST_IbLb1EEEEDaSP_SQ_EUlSP_E_NS1_11comp_targetILNS1_3genE4ELNS1_11target_archE910ELNS1_3gpuE8ELNS1_3repE0EEENS1_30default_config_static_selectorELNS0_4arch9wavefront6targetE1EEEvT1_,@function
_ZN7rocprim17ROCPRIM_400000_NS6detail17trampoline_kernelINS0_14default_configENS1_20scan_config_selectorIyEEZZNS1_9scan_implILNS1_25lookback_scan_determinismE0ELb0ELb0ES3_N6thrust23THRUST_200600_302600_NS6detail15normal_iteratorINS9_10device_ptrIyEEEESE_y11max_functorIyEyEEDaPvRmT3_T4_T5_mT6_P12ihipStream_tbENKUlT_T0_E_clISt17integral_constantIbLb0EEST_IbLb1EEEEDaSP_SQ_EUlSP_E_NS1_11comp_targetILNS1_3genE4ELNS1_11target_archE910ELNS1_3gpuE8ELNS1_3repE0EEENS1_30default_config_static_selectorELNS0_4arch9wavefront6targetE1EEEvT1_: ; @_ZN7rocprim17ROCPRIM_400000_NS6detail17trampoline_kernelINS0_14default_configENS1_20scan_config_selectorIyEEZZNS1_9scan_implILNS1_25lookback_scan_determinismE0ELb0ELb0ES3_N6thrust23THRUST_200600_302600_NS6detail15normal_iteratorINS9_10device_ptrIyEEEESE_y11max_functorIyEyEEDaPvRmT3_T4_T5_mT6_P12ihipStream_tbENKUlT_T0_E_clISt17integral_constantIbLb0EEST_IbLb1EEEEDaSP_SQ_EUlSP_E_NS1_11comp_targetILNS1_3genE4ELNS1_11target_archE910ELNS1_3gpuE8ELNS1_3repE0EEENS1_30default_config_static_selectorELNS0_4arch9wavefront6targetE1EEEvT1_
; %bb.0:
	s_load_dwordx2 s[14:15], s[4:5], 0x30
	v_cmp_ne_u32_e64 s[0:1], 0, v0
	v_cmp_eq_u32_e64 s[2:3], 0, v0
	s_and_saveexec_b64 s[6:7], s[2:3]
	s_cbranch_execz .LBB2156_4
; %bb.1:
	s_mov_b64 s[10:11], exec
	v_mbcnt_lo_u32_b32 v1, s10, 0
	v_mbcnt_hi_u32_b32 v1, s11, v1
	v_cmp_eq_u32_e32 vcc, 0, v1
                                        ; implicit-def: $vgpr2
	s_and_saveexec_b64 s[8:9], vcc
	s_cbranch_execz .LBB2156_3
; %bb.2:
	s_load_dwordx2 s[12:13], s[4:5], 0x60
	s_bcnt1_i32_b64 s10, s[10:11]
	v_mov_b32_e32 v2, 0
	v_mov_b32_e32 v3, s10
	s_waitcnt lgkmcnt(0)
	global_atomic_add v2, v2, v3, s[12:13] glc
.LBB2156_3:
	s_or_b64 exec, exec, s[8:9]
	s_waitcnt vmcnt(0)
	v_readfirstlane_b32 s8, v2
	v_add_u32_e32 v1, s8, v1
	v_mov_b32_e32 v2, 0
	ds_write_b32 v2, v1
.LBB2156_4:
	s_or_b64 exec, exec, s[6:7]
	s_load_dwordx8 s[24:31], s[4:5], 0x0
	s_load_dword s6, s[4:5], 0x38
	s_load_dwordx8 s[16:23], s[4:5], 0x40
	v_mov_b32_e32 v1, 0
	s_waitcnt lgkmcnt(0)
	s_barrier
	ds_read_b32 v1, v1
	s_lshl_b64 s[26:27], s[26:27], 3
	s_add_u32 s7, s24, s26
	s_addc_u32 s8, s25, s27
	s_add_i32 s6, s6, -1
	s_mul_i32 s9, s6, 0x380
	s_sub_u32 s33, s30, s9
	s_waitcnt lgkmcnt(0)
	v_readfirstlane_b32 s37, v1
	s_subb_u32 s36, s31, 0
	s_mul_i32 s4, s37, 0x380
	s_mov_b32 s5, 0
	s_cmp_lg_u32 s37, s6
	s_cselect_b64 s[24:25], -1, 0
	s_lshl_b64 s[30:31], s[4:5], 3
	s_add_u32 s6, s7, s30
	s_addc_u32 s7, s8, s31
	s_mov_b64 s[4:5], -1
	s_and_b64 vcc, exec, s[24:25]
	v_lshlrev_b32_e32 v36, 3, v0
	s_barrier
	s_cbranch_vccz .LBB2156_6
; %bb.5:
	v_mov_b32_e32 v1, s7
	v_add_co_u32_e32 v2, vcc, s6, v36
	v_addc_co_u32_e32 v3, vcc, 0, v1, vcc
	flat_load_dwordx2 v[4:5], v[2:3]
	flat_load_dwordx2 v[6:7], v[2:3] offset:1024
	flat_load_dwordx2 v[8:9], v[2:3] offset:2048
	;; [unrolled: 1-line block ×3, first 2 shown]
	v_add_co_u32_e32 v2, vcc, 0x1000, v2
	v_addc_co_u32_e32 v3, vcc, 0, v3, vcc
	flat_load_dwordx2 v[12:13], v[2:3]
	flat_load_dwordx2 v[14:15], v[2:3] offset:1024
	flat_load_dwordx2 v[16:17], v[2:3] offset:2048
	s_mov_b64 s[4:5], 0
	s_waitcnt vmcnt(0) lgkmcnt(0)
	ds_write2st64_b64 v36, v[4:5], v[6:7] offset1:2
	ds_write2st64_b64 v36, v[8:9], v[10:11] offset0:4 offset1:6
	ds_write2st64_b64 v36, v[12:13], v[14:15] offset0:8 offset1:10
	ds_write_b64 v36, v[16:17] offset:6144
	s_waitcnt lgkmcnt(0)
	s_barrier
.LBB2156_6:
	s_andn2_b64 vcc, exec, s[4:5]
	v_cmp_gt_u32_e64 s[4:5], s33, v0
	s_cbranch_vccnz .LBB2156_22
; %bb.7:
	v_pk_mov_b32 v[2:3], s[6:7], s[6:7] op_sel:[0,1]
	flat_load_dwordx2 v[2:3], v[2:3]
	s_waitcnt vmcnt(0) lgkmcnt(0)
	v_mov_b32_e32 v4, v2
	v_mov_b32_e32 v5, v3
	v_mov_b32_e32 v6, v2
	v_mov_b32_e32 v7, v3
	v_mov_b32_e32 v8, v2
	v_mov_b32_e32 v9, v3
	v_mov_b32_e32 v10, v2
	v_mov_b32_e32 v11, v3
	v_mov_b32_e32 v12, v2
	v_mov_b32_e32 v13, v3
	v_pk_mov_b32 v[18:19], v[14:15], v[14:15] op_sel:[0,1]
	v_pk_mov_b32 v[16:17], v[12:13], v[12:13] op_sel:[0,1]
	;; [unrolled: 1-line block ×8, first 2 shown]
	s_and_saveexec_b64 s[8:9], s[4:5]
	s_cbranch_execz .LBB2156_9
; %bb.8:
	v_mov_b32_e32 v1, s7
	v_add_co_u32_e32 v4, vcc, s6, v36
	v_addc_co_u32_e32 v5, vcc, 0, v1, vcc
	flat_load_dwordx2 v[20:21], v[4:5]
	v_mov_b32_e32 v4, v2
	v_mov_b32_e32 v5, v3
	;; [unrolled: 1-line block ×10, first 2 shown]
	v_pk_mov_b32 v[18:19], v[14:15], v[14:15] op_sel:[0,1]
	v_pk_mov_b32 v[16:17], v[12:13], v[12:13] op_sel:[0,1]
	;; [unrolled: 1-line block ×8, first 2 shown]
	s_waitcnt vmcnt(0) lgkmcnt(0)
	v_pk_mov_b32 v[2:3], v[20:21], v[20:21] op_sel:[0,1]
.LBB2156_9:
	s_or_b64 exec, exec, s[8:9]
	v_or_b32_e32 v1, 0x80, v0
	v_cmp_gt_u32_e32 vcc, s33, v1
	s_and_saveexec_b64 s[4:5], vcc
	s_cbranch_execz .LBB2156_11
; %bb.10:
	v_mov_b32_e32 v1, s7
	v_add_co_u32_e32 v4, vcc, s6, v36
	v_addc_co_u32_e32 v5, vcc, 0, v1, vcc
	flat_load_dwordx2 v[6:7], v[4:5] offset:1024
.LBB2156_11:
	s_or_b64 exec, exec, s[4:5]
	v_or_b32_e32 v1, 0x100, v0
	v_cmp_gt_u32_e32 vcc, s33, v1
	s_and_saveexec_b64 s[4:5], vcc
	s_cbranch_execz .LBB2156_13
; %bb.12:
	v_mov_b32_e32 v1, s7
	v_add_co_u32_e32 v4, vcc, s6, v36
	v_addc_co_u32_e32 v5, vcc, 0, v1, vcc
	flat_load_dwordx2 v[8:9], v[4:5] offset:2048
.LBB2156_13:
	;; [unrolled: 11-line block ×3, first 2 shown]
	s_or_b64 exec, exec, s[4:5]
	v_or_b32_e32 v1, 0x200, v0
	v_cmp_gt_u32_e32 vcc, s33, v1
	s_and_saveexec_b64 s[4:5], vcc
	s_cbranch_execz .LBB2156_17
; %bb.16:
	v_lshlrev_b32_e32 v1, 3, v1
	v_mov_b32_e32 v5, s7
	v_add_co_u32_e32 v4, vcc, s6, v1
	v_addc_co_u32_e32 v5, vcc, 0, v5, vcc
	flat_load_dwordx2 v[12:13], v[4:5]
.LBB2156_17:
	s_or_b64 exec, exec, s[4:5]
	v_or_b32_e32 v1, 0x280, v0
	v_cmp_gt_u32_e32 vcc, s33, v1
	s_and_saveexec_b64 s[4:5], vcc
	s_cbranch_execz .LBB2156_19
; %bb.18:
	v_lshlrev_b32_e32 v1, 3, v1
	v_mov_b32_e32 v5, s7
	v_add_co_u32_e32 v4, vcc, s6, v1
	v_addc_co_u32_e32 v5, vcc, 0, v5, vcc
	flat_load_dwordx2 v[14:15], v[4:5]
.LBB2156_19:
	;; [unrolled: 12-line block ×3, first 2 shown]
	s_or_b64 exec, exec, s[4:5]
	s_waitcnt vmcnt(0) lgkmcnt(0)
	ds_write2st64_b64 v36, v[2:3], v[6:7] offset1:2
	ds_write2st64_b64 v36, v[8:9], v[10:11] offset0:4 offset1:6
	ds_write2st64_b64 v36, v[12:13], v[14:15] offset0:8 offset1:10
	ds_write_b64 v36, v[16:17] offset:6144
	s_waitcnt lgkmcnt(0)
	s_barrier
.LBB2156_22:
	v_mul_u32_u24_e32 v37, 7, v0
	v_lshlrev_b32_e32 v38, 3, v37
	ds_read2_b64 v[2:5], v38 offset1:1
	ds_read2_b64 v[10:13], v38 offset0:2 offset1:3
	ds_read2_b64 v[6:9], v38 offset0:4 offset1:5
	ds_read_b64 v[28:29], v38 offset:48
	s_cmp_lg_u32 s37, 0
	v_lshrrev_b32_e32 v1, 5, v0
	v_cmp_gt_u32_e32 vcc, 64, v0
	s_waitcnt lgkmcnt(0)
	s_barrier
	s_cbranch_scc0 .LBB2156_49
; %bb.23:
	v_cmp_gt_u64_e64 s[4:5], v[2:3], v[4:5]
	v_cndmask_b32_e64 v15, v5, v3, s[4:5]
	v_cndmask_b32_e64 v14, v4, v2, s[4:5]
	v_cmp_gt_u64_e64 s[4:5], v[14:15], v[10:11]
	v_cndmask_b32_e64 v15, v11, v15, s[4:5]
	v_cndmask_b32_e64 v14, v10, v14, s[4:5]
	;; [unrolled: 3-line block ×6, first 2 shown]
	v_add_lshl_u32 v14, v1, v0, 3
	ds_write_b64 v14, v[22:23]
	s_waitcnt lgkmcnt(0)
	s_barrier
	s_and_saveexec_b64 s[8:9], vcc
	s_cbranch_execz .LBB2156_27
; %bb.24:
	v_lshlrev_b32_e32 v14, 1, v0
	v_lshrrev_b32_e32 v15, 4, v0
	v_add_lshl_u32 v24, v15, v14, 3
	ds_read2_b64 v[14:17], v24 offset1:1
	v_mbcnt_lo_u32_b32 v18, -1, 0
	v_mbcnt_hi_u32_b32 v25, -1, v18
	v_and_b32_e32 v26, 15, v25
	v_and_b32_e32 v30, 16, v25
	s_waitcnt lgkmcnt(0)
	v_cmp_gt_u64_e64 s[4:5], v[14:15], v[16:17]
	v_cndmask_b32_e64 v17, v17, v15, s[4:5]
	v_cndmask_b32_e64 v16, v16, v14, s[4:5]
	v_cmp_ne_u32_e64 s[6:7], 0, v25
	v_mov_b32_dpp v19, v17 row_shr:1 row_mask:0xf bank_mask:0xf
	v_mov_b32_dpp v18, v16 row_shr:1 row_mask:0xf bank_mask:0xf
	v_cmp_gt_u64_e64 s[4:5], v[18:19], v[16:17]
	v_cndmask_b32_e64 v18, v16, v18, s[4:5]
	v_cndmask_b32_e64 v19, v17, v19, s[4:5]
	v_cmp_eq_u32_e64 s[4:5], 0, v26
	v_cndmask_b32_e64 v19, v19, v17, s[4:5]
	v_cndmask_b32_e64 v18, v18, v16, s[4:5]
	s_nop 0
	v_mov_b32_dpp v21, v19 row_shr:2 row_mask:0xf bank_mask:0xf
	v_mov_b32_dpp v20, v18 row_shr:2 row_mask:0xf bank_mask:0xf
	v_cmp_gt_u64_e64 s[4:5], v[20:21], v[18:19]
	v_cndmask_b32_e64 v20, v18, v20, s[4:5]
	v_cndmask_b32_e64 v21, v19, v21, s[4:5]
	v_cmp_lt_u32_e64 s[4:5], 1, v26
	v_cndmask_b32_e64 v19, v19, v21, s[4:5]
	v_cndmask_b32_e64 v18, v18, v20, s[4:5]
	s_nop 0
	v_mov_b32_dpp v21, v19 row_shr:4 row_mask:0xf bank_mask:0xf
	v_mov_b32_dpp v20, v18 row_shr:4 row_mask:0xf bank_mask:0xf
	v_cmp_gt_u64_e64 s[4:5], v[20:21], v[18:19]
	v_cndmask_b32_e64 v20, v18, v20, s[4:5]
	v_cndmask_b32_e64 v21, v19, v21, s[4:5]
	v_cmp_lt_u32_e64 s[4:5], 3, v26
	;; [unrolled: 9-line block ×3, first 2 shown]
	v_cndmask_b32_e64 v19, v19, v21, s[4:5]
	v_cndmask_b32_e64 v18, v18, v20, s[4:5]
	s_nop 0
	v_mov_b32_dpp v21, v19 row_bcast:15 row_mask:0xf bank_mask:0xf
	v_mov_b32_dpp v20, v18 row_bcast:15 row_mask:0xf bank_mask:0xf
	v_cmp_gt_u64_e64 s[4:5], v[20:21], v[18:19]
	v_cndmask_b32_e64 v26, v19, v21, s[4:5]
	v_cndmask_b32_e64 v27, v18, v20, s[4:5]
	v_cmp_eq_u32_e64 s[4:5], 0, v30
	v_cndmask_b32_e64 v21, v26, v19, s[4:5]
	v_cndmask_b32_e64 v20, v27, v18, s[4:5]
	s_nop 0
	v_mov_b32_dpp v21, v21 row_bcast:31 row_mask:0xf bank_mask:0xf
	v_mov_b32_dpp v20, v20 row_bcast:31 row_mask:0xf bank_mask:0xf
	s_and_saveexec_b64 s[10:11], s[6:7]
; %bb.25:
	v_cndmask_b32_e64 v17, v26, v19, s[4:5]
	v_cndmask_b32_e64 v16, v27, v18, s[4:5]
	v_cmp_lt_u32_e64 s[6:7], 31, v25
	v_cmp_gt_u64_e64 s[4:5], v[20:21], v[16:17]
	s_and_b64 s[4:5], s[6:7], s[4:5]
	v_cndmask_b32_e64 v16, v16, v20, s[4:5]
	v_cndmask_b32_e64 v17, v17, v21, s[4:5]
; %bb.26:
	s_or_b64 exec, exec, s[10:11]
	v_add_u32_e32 v18, -1, v25
	v_and_b32_e32 v19, 64, v25
	v_cmp_lt_i32_e64 s[4:5], v18, v19
	v_cndmask_b32_e64 v18, v18, v25, s[4:5]
	v_lshlrev_b32_e32 v18, 2, v18
	ds_bpermute_b32 v16, v18, v16
	ds_bpermute_b32 v17, v18, v17
	; wave barrier
	s_waitcnt lgkmcnt(0)
	v_cmp_gt_u64_e64 s[4:5], v[16:17], v[14:15]
	v_cndmask_b32_e64 v14, v14, v16, s[4:5]
	v_cndmask_b32_e64 v15, v15, v17, s[4:5]
	;; [unrolled: 1-line block ×4, first 2 shown]
	ds_write_b64 v24, v[14:15]
	; wave barrier
	ds_read_b64 v[16:17], v24 offset:8
	s_waitcnt lgkmcnt(0)
	v_cmp_gt_u64_e64 s[4:5], v[14:15], v[16:17]
	v_cndmask_b32_e64 v15, v17, v15, s[4:5]
	v_cndmask_b32_e64 v14, v16, v14, s[4:5]
	ds_write_b64 v24, v[14:15] offset:8
.LBB2156_27:
	s_or_b64 exec, exec, s[8:9]
	s_waitcnt lgkmcnt(0)
	s_barrier
	s_and_saveexec_b64 s[4:5], s[0:1]
	s_cbranch_execz .LBB2156_29
; %bb.28:
	v_add_u32_e32 v14, -1, v0
	v_lshrrev_b32_e32 v15, 5, v14
	v_add_lshl_u32 v14, v15, v14, 3
	ds_read_b64 v[22:23], v14
.LBB2156_29:
	s_or_b64 exec, exec, s[4:5]
	s_and_saveexec_b64 s[34:35], vcc
	s_cbranch_execz .LBB2156_48
; %bb.30:
	v_mov_b32_e32 v17, 0
	ds_read_b64 v[14:15], v17 offset:1040
	v_mbcnt_lo_u32_b32 v16, -1, 0
	v_mbcnt_hi_u32_b32 v25, -1, v16
	s_mov_b32 s9, 0
	v_cmp_eq_u32_e64 s[4:5], 0, v25
	s_and_saveexec_b64 s[6:7], s[4:5]
	s_cbranch_execz .LBB2156_32
; %bb.31:
	s_add_i32 s8, s37, 64
	s_lshl_b64 s[8:9], s[8:9], 4
	s_add_u32 s8, s14, s8
	s_addc_u32 s9, s15, s9
	v_mov_b32_e32 v16, 1
	v_pk_mov_b32 v[18:19], s[8:9], s[8:9] op_sel:[0,1]
	s_waitcnt lgkmcnt(0)
	;;#ASMSTART
	global_store_dwordx4 v[18:19], v[14:17] off	
s_waitcnt vmcnt(0)
	;;#ASMEND
.LBB2156_32:
	s_or_b64 exec, exec, s[6:7]
	v_xad_u32 v24, v25, -1, s37
	v_add_u32_e32 v16, 64, v24
	v_lshlrev_b64 v[18:19], 4, v[16:17]
	v_mov_b32_e32 v16, s15
	v_add_co_u32_e32 v26, vcc, s14, v18
	v_addc_co_u32_e32 v27, vcc, v16, v19, vcc
	;;#ASMSTART
	global_load_dwordx4 v[18:21], v[26:27] off glc	
s_waitcnt vmcnt(0)
	;;#ASMEND
	v_and_b32_e32 v16, 0xff, v19
	v_and_b32_e32 v21, 0xff00, v19
	v_or3_b32 v16, 0, v16, v21
	v_or3_b32 v18, v18, 0, 0
	v_and_b32_e32 v21, 0xff000000, v19
	v_and_b32_e32 v19, 0xff0000, v19
	v_or3_b32 v19, v16, v19, v21
	v_or3_b32 v18, v18, 0, 0
	v_cmp_eq_u16_sdwa s[8:9], v20, v17 src0_sel:BYTE_0 src1_sel:DWORD
	s_and_saveexec_b64 s[6:7], s[8:9]
	s_cbranch_execz .LBB2156_36
; %bb.33:
	s_mov_b64 s[8:9], 0
	v_mov_b32_e32 v16, 0
.LBB2156_34:                            ; =>This Inner Loop Header: Depth=1
	;;#ASMSTART
	global_load_dwordx4 v[18:21], v[26:27] off glc	
s_waitcnt vmcnt(0)
	;;#ASMEND
	v_cmp_ne_u16_sdwa s[10:11], v20, v16 src0_sel:BYTE_0 src1_sel:DWORD
	s_or_b64 s[8:9], s[10:11], s[8:9]
	s_andn2_b64 exec, exec, s[8:9]
	s_cbranch_execnz .LBB2156_34
; %bb.35:
	s_or_b64 exec, exec, s[8:9]
.LBB2156_36:
	s_or_b64 exec, exec, s[6:7]
	v_and_b32_e32 v33, 63, v25
	v_cmp_ne_u32_e32 vcc, 63, v33
	v_mov_b32_e32 v32, 2
	v_addc_co_u32_e32 v26, vcc, 0, v25, vcc
	v_cmp_eq_u16_sdwa s[6:7], v20, v32 src0_sel:BYTE_0 src1_sel:DWORD
	v_lshlrev_b64 v[16:17], v25, -1
	v_lshlrev_b32_e32 v34, 2, v26
	v_and_b32_e32 v21, s7, v17
	ds_bpermute_b32 v26, v34, v18
	ds_bpermute_b32 v27, v34, v19
	v_or_b32_e32 v21, 0x80000000, v21
	v_and_b32_e32 v30, s6, v16
	v_ffbl_b32_e32 v21, v21
	v_add_u32_e32 v21, 32, v21
	v_ffbl_b32_e32 v30, v30
	v_min_u32_e32 v21, v30, v21
	s_waitcnt lgkmcnt(0)
	v_cmp_gt_u64_e64 s[6:7], v[26:27], v[18:19]
	v_cmp_lt_u32_e32 vcc, v33, v21
	v_cndmask_b32_e64 v26, v18, v26, s[6:7]
	s_and_b64 s[6:7], vcc, s[6:7]
	v_cndmask_b32_e64 v27, v19, v27, s[6:7]
	v_cmp_gt_u32_e64 s[6:7], 62, v33
	v_cndmask_b32_e64 v30, 0, 1, s[6:7]
	v_lshlrev_b32_e32 v30, 1, v30
	v_cndmask_b32_e32 v26, v18, v26, vcc
	v_add_lshl_u32 v35, v30, v25, 2
	ds_bpermute_b32 v30, v35, v26
	ds_bpermute_b32 v31, v35, v27
	v_add_u32_e32 v39, 2, v33
	v_cmp_gt_u32_e64 s[8:9], 56, v33
	v_add_u32_e32 v41, 4, v33
	v_cndmask_b32_e64 v42, 0, 1, s[8:9]
	s_waitcnt lgkmcnt(0)
	v_cmp_gt_u64_e64 s[6:7], v[30:31], v[26:27]
	v_cndmask_b32_e64 v31, v27, v31, s[6:7]
	v_cndmask_b32_e64 v30, v26, v30, s[6:7]
	v_cmp_gt_u32_e64 s[6:7], v39, v21
	v_cndmask_b32_e64 v26, v30, v26, s[6:7]
	v_cndmask_b32_e64 v27, v31, v27, s[6:7]
	v_cmp_gt_u32_e64 s[6:7], 60, v33
	v_cndmask_b32_e64 v30, 0, 1, s[6:7]
	v_lshlrev_b32_e32 v30, 2, v30
	v_add_lshl_u32 v40, v30, v25, 2
	ds_bpermute_b32 v30, v40, v26
	ds_bpermute_b32 v31, v40, v27
	v_lshlrev_b32_e32 v42, 3, v42
	v_add_lshl_u32 v42, v42, v25, 2
	v_cmp_gt_u32_e64 s[10:11], 48, v33
	v_add_u32_e32 v43, 8, v33
	s_waitcnt lgkmcnt(0)
	v_cmp_gt_u64_e64 s[6:7], v[30:31], v[26:27]
	v_cndmask_b32_e64 v50, v27, v31, s[6:7]
	v_cndmask_b32_e64 v51, v26, v30, s[6:7]
	v_cmp_gt_u32_e64 s[6:7], v41, v21
	v_cndmask_b32_e64 v30, v51, v26, s[6:7]
	v_cndmask_b32_e64 v31, v50, v27, s[6:7]
	ds_bpermute_b32 v44, v42, v30
	ds_bpermute_b32 v45, v42, v31
	v_cmp_gt_u32_e64 s[12:13], 32, v33
	v_cndmask_b32_e32 v19, v19, v27, vcc
	v_cndmask_b32_e32 v18, v18, v26, vcc
	v_cndmask_b32_e64 v18, v51, v18, s[6:7]
	s_waitcnt lgkmcnt(0)
	v_cmp_gt_u64_e64 s[8:9], v[44:45], v[30:31]
	v_cndmask_b32_e64 v53, v30, v44, s[8:9]
	v_cndmask_b32_e64 v44, 0, 1, s[10:11]
	;; [unrolled: 1-line block ×3, first 2 shown]
	v_cmp_gt_u32_e64 s[8:9], v43, v21
	v_lshlrev_b32_e32 v44, 4, v44
	v_cndmask_b32_e64 v30, v53, v30, s[8:9]
	v_cndmask_b32_e64 v31, v52, v31, s[8:9]
	v_add_lshl_u32 v44, v44, v25, 2
	ds_bpermute_b32 v46, v44, v30
	ds_bpermute_b32 v47, v44, v31
	v_add_u32_e32 v45, 16, v33
	v_cndmask_b32_e64 v19, v50, v19, s[6:7]
	v_cndmask_b32_e64 v19, v52, v19, s[8:9]
	;; [unrolled: 1-line block ×3, first 2 shown]
	s_waitcnt lgkmcnt(0)
	v_cmp_gt_u64_e64 s[10:11], v[46:47], v[30:31]
	v_cndmask_b32_e64 v55, v30, v46, s[10:11]
	v_cndmask_b32_e64 v46, 0, 1, s[12:13]
	;; [unrolled: 1-line block ×3, first 2 shown]
	v_cmp_gt_u32_e64 s[10:11], v45, v21
	v_lshlrev_b32_e32 v46, 5, v46
	v_cndmask_b32_e64 v30, v55, v30, s[10:11]
	v_add_lshl_u32 v46, v46, v25, 2
	v_cndmask_b32_e64 v31, v54, v31, s[10:11]
	ds_bpermute_b32 v48, v46, v30
	ds_bpermute_b32 v49, v46, v31
	v_add_u32_e32 v47, 32, v33
	v_cndmask_b32_e64 v18, v55, v18, s[10:11]
	v_cndmask_b32_e64 v19, v54, v19, s[10:11]
	v_cmp_gt_u32_e32 vcc, v47, v21
	s_waitcnt lgkmcnt(0)
	v_cmp_gt_u64_e64 s[12:13], v[48:49], v[30:31]
	v_cndmask_b32_e64 v25, v30, v48, s[12:13]
	v_cndmask_b32_e64 v30, v31, v49, s[12:13]
	v_cndmask_b32_e32 v19, v30, v19, vcc
	v_cndmask_b32_e32 v18, v25, v18, vcc
	v_mov_b32_e32 v25, 0
	s_branch .LBB2156_38
.LBB2156_37:                            ;   in Loop: Header=BB2156_38 Depth=1
	s_or_b64 exec, exec, s[6:7]
	v_cmp_eq_u16_sdwa s[6:7], v20, v32 src0_sel:BYTE_0 src1_sel:DWORD
	v_and_b32_e32 v21, s7, v17
	ds_bpermute_b32 v30, v34, v18
	ds_bpermute_b32 v31, v34, v19
	v_or_b32_e32 v21, 0x80000000, v21
	v_and_b32_e32 v48, s6, v16
	v_ffbl_b32_e32 v21, v21
	v_add_u32_e32 v21, 32, v21
	v_ffbl_b32_e32 v48, v48
	v_min_u32_e32 v21, v48, v21
	s_waitcnt lgkmcnt(0)
	v_cmp_gt_u64_e32 vcc, v[30:31], v[18:19]
	v_cmp_lt_u32_e64 s[6:7], v33, v21
	v_cndmask_b32_e32 v30, v18, v30, vcc
	s_and_b64 vcc, s[6:7], vcc
	v_cndmask_b32_e64 v30, v18, v30, s[6:7]
	v_cndmask_b32_e32 v31, v19, v31, vcc
	ds_bpermute_b32 v48, v35, v30
	ds_bpermute_b32 v49, v35, v31
	v_subrev_u32_e32 v24, 64, v24
	s_waitcnt lgkmcnt(0)
	v_cmp_gt_u64_e32 vcc, v[48:49], v[30:31]
	v_cndmask_b32_e32 v49, v31, v49, vcc
	v_cndmask_b32_e32 v48, v30, v48, vcc
	v_cmp_gt_u32_e32 vcc, v39, v21
	v_cndmask_b32_e32 v30, v48, v30, vcc
	v_cndmask_b32_e32 v31, v49, v31, vcc
	ds_bpermute_b32 v48, v40, v30
	ds_bpermute_b32 v49, v40, v31
	v_cndmask_b32_e64 v19, v19, v31, s[6:7]
	v_cndmask_b32_e64 v18, v18, v30, s[6:7]
	s_waitcnt lgkmcnt(0)
	v_cmp_gt_u64_e32 vcc, v[48:49], v[30:31]
	v_cndmask_b32_e32 v52, v31, v49, vcc
	v_cndmask_b32_e32 v53, v30, v48, vcc
	v_cmp_gt_u32_e32 vcc, v41, v21
	v_cndmask_b32_e32 v48, v53, v30, vcc
	v_cndmask_b32_e32 v49, v52, v31, vcc
	ds_bpermute_b32 v50, v42, v48
	ds_bpermute_b32 v51, v42, v49
	v_cndmask_b32_e32 v18, v53, v18, vcc
	v_cndmask_b32_e32 v19, v52, v19, vcc
	v_cmp_gt_u32_e32 vcc, v47, v21
	s_waitcnt lgkmcnt(0)
	v_cmp_gt_u64_e64 s[8:9], v[50:51], v[48:49]
	v_cndmask_b32_e64 v54, v49, v51, s[8:9]
	v_cndmask_b32_e64 v55, v48, v50, s[8:9]
	v_cmp_gt_u32_e64 s[8:9], v43, v21
	v_cndmask_b32_e64 v48, v55, v48, s[8:9]
	v_cndmask_b32_e64 v49, v54, v49, s[8:9]
	ds_bpermute_b32 v50, v44, v48
	ds_bpermute_b32 v51, v44, v49
	v_cndmask_b32_e64 v19, v54, v19, s[8:9]
	v_cndmask_b32_e64 v18, v55, v18, s[8:9]
	s_waitcnt lgkmcnt(0)
	v_cmp_gt_u64_e64 s[10:11], v[50:51], v[48:49]
	v_cndmask_b32_e64 v56, v49, v51, s[10:11]
	v_cndmask_b32_e64 v57, v48, v50, s[10:11]
	v_cmp_gt_u32_e64 s[10:11], v45, v21
	v_cndmask_b32_e64 v48, v57, v48, s[10:11]
	v_cndmask_b32_e64 v49, v56, v49, s[10:11]
	ds_bpermute_b32 v50, v46, v48
	ds_bpermute_b32 v51, v46, v49
	v_cndmask_b32_e64 v18, v57, v18, s[10:11]
	v_cndmask_b32_e64 v19, v56, v19, s[10:11]
	s_waitcnt lgkmcnt(0)
	v_cmp_gt_u64_e64 s[12:13], v[50:51], v[48:49]
	v_cndmask_b32_e64 v48, v48, v50, s[12:13]
	v_cndmask_b32_e64 v49, v49, v51, s[12:13]
	v_cndmask_b32_e32 v19, v49, v19, vcc
	v_cndmask_b32_e32 v18, v48, v18, vcc
	v_cmp_gt_u64_e32 vcc, v[18:19], v[26:27]
	v_cndmask_b32_e32 v19, v27, v19, vcc
	v_cndmask_b32_e32 v18, v26, v18, vcc
.LBB2156_38:                            ; =>This Loop Header: Depth=1
                                        ;     Child Loop BB2156_41 Depth 2
	v_cmp_ne_u16_sdwa s[6:7], v20, v32 src0_sel:BYTE_0 src1_sel:DWORD
	v_cndmask_b32_e64 v20, 0, 1, s[6:7]
	;;#ASMSTART
	;;#ASMEND
	v_cmp_ne_u32_e32 vcc, 0, v20
	s_cmp_lg_u64 vcc, exec
	v_pk_mov_b32 v[26:27], v[18:19], v[18:19] op_sel:[0,1]
	s_cbranch_scc1 .LBB2156_43
; %bb.39:                               ;   in Loop: Header=BB2156_38 Depth=1
	v_lshlrev_b64 v[18:19], 4, v[24:25]
	v_mov_b32_e32 v20, s15
	v_add_co_u32_e32 v30, vcc, s14, v18
	v_addc_co_u32_e32 v31, vcc, v20, v19, vcc
	;;#ASMSTART
	global_load_dwordx4 v[18:21], v[30:31] off glc	
s_waitcnt vmcnt(0)
	;;#ASMEND
	v_and_b32_e32 v21, 0xff, v19
	v_and_b32_e32 v48, 0xff00, v19
	v_or3_b32 v21, 0, v21, v48
	v_or3_b32 v18, v18, 0, 0
	v_and_b32_e32 v48, 0xff000000, v19
	v_and_b32_e32 v19, 0xff0000, v19
	v_or3_b32 v19, v21, v19, v48
	v_or3_b32 v18, v18, 0, 0
	v_cmp_eq_u16_sdwa s[8:9], v20, v25 src0_sel:BYTE_0 src1_sel:DWORD
	s_and_saveexec_b64 s[6:7], s[8:9]
	s_cbranch_execz .LBB2156_37
; %bb.40:                               ;   in Loop: Header=BB2156_38 Depth=1
	s_mov_b64 s[8:9], 0
.LBB2156_41:                            ;   Parent Loop BB2156_38 Depth=1
                                        ; =>  This Inner Loop Header: Depth=2
	;;#ASMSTART
	global_load_dwordx4 v[18:21], v[30:31] off glc	
s_waitcnt vmcnt(0)
	;;#ASMEND
	v_cmp_ne_u16_sdwa s[10:11], v20, v25 src0_sel:BYTE_0 src1_sel:DWORD
	s_or_b64 s[8:9], s[10:11], s[8:9]
	s_andn2_b64 exec, exec, s[8:9]
	s_cbranch_execnz .LBB2156_41
; %bb.42:                               ;   in Loop: Header=BB2156_38 Depth=1
	s_or_b64 exec, exec, s[8:9]
	s_branch .LBB2156_37
.LBB2156_43:                            ;   in Loop: Header=BB2156_38 Depth=1
                                        ; implicit-def: $vgpr18_vgpr19
                                        ; implicit-def: $vgpr20
	s_cbranch_execz .LBB2156_38
; %bb.44:
	s_and_saveexec_b64 s[6:7], s[4:5]
	s_cbranch_execz .LBB2156_46
; %bb.45:
	s_add_i32 s4, s37, 64
	s_mov_b32 s5, 0
	s_lshl_b64 s[4:5], s[4:5], 4
	s_add_u32 s4, s14, s4
	v_cmp_gt_u64_e32 vcc, v[26:27], v[14:15]
	s_addc_u32 s5, s15, s5
	v_cndmask_b32_e32 v15, v15, v27, vcc
	v_cndmask_b32_e32 v14, v14, v26, vcc
	v_mov_b32_e32 v16, 2
	v_mov_b32_e32 v17, 0
	v_pk_mov_b32 v[18:19], s[4:5], s[4:5] op_sel:[0,1]
	;;#ASMSTART
	global_store_dwordx4 v[18:19], v[14:17] off	
s_waitcnt vmcnt(0)
	;;#ASMEND
.LBB2156_46:
	s_or_b64 exec, exec, s[6:7]
	s_and_b64 exec, exec, s[2:3]
	s_cbranch_execz .LBB2156_48
; %bb.47:
	v_mov_b32_e32 v14, 0
	ds_write_b64 v14, v[26:27]
.LBB2156_48:
	s_or_b64 exec, exec, s[34:35]
	v_mov_b32_e32 v14, 0
	s_waitcnt lgkmcnt(0)
	s_barrier
	ds_read_b64 v[14:15], v14
	v_cmp_gt_u64_e32 vcc, v[22:23], v[2:3]
	v_cndmask_b32_e32 v16, v2, v22, vcc
	v_cndmask_b32_e32 v17, v3, v23, vcc
	v_cndmask_b32_e64 v17, v17, v3, s[2:3]
	v_cndmask_b32_e64 v16, v16, v2, s[2:3]
	s_waitcnt lgkmcnt(0)
	v_cmp_gt_u64_e32 vcc, v[14:15], v[16:17]
	v_cndmask_b32_e32 v25, v17, v15, vcc
	v_cndmask_b32_e32 v24, v16, v14, vcc
	v_cmp_gt_u64_e32 vcc, v[24:25], v[4:5]
	v_cndmask_b32_e32 v31, v5, v25, vcc
	v_cndmask_b32_e32 v30, v4, v24, vcc
	;; [unrolled: 3-line block ×7, first 2 shown]
	s_branch .LBB2156_63
.LBB2156_49:
                                        ; implicit-def: $vgpr22_vgpr23
                                        ; implicit-def: $vgpr34_vgpr35
                                        ; implicit-def: $vgpr32_vgpr33
                                        ; implicit-def: $vgpr30_vgpr31
                                        ; implicit-def: $vgpr18_vgpr19_vgpr20_vgpr21
                                        ; implicit-def: $vgpr14_vgpr15_vgpr16_vgpr17
                                        ; implicit-def: $vgpr24_vgpr25_vgpr26_vgpr27
	s_cbranch_execz .LBB2156_63
; %bb.50:
	s_cmp_lg_u64 s[20:21], 0
	s_cselect_b64 s[4:5], -1, 0
	s_and_b64 s[6:7], s[2:3], s[4:5]
	s_and_saveexec_b64 s[4:5], s[6:7]
	s_cbranch_execz .LBB2156_52
; %bb.51:
	v_mov_b32_e32 v14, 0
	global_load_dwordx2 v[14:15], v14, s[16:17]
	s_waitcnt vmcnt(0)
	v_cmp_gt_u64_e32 vcc, v[14:15], v[2:3]
	v_cndmask_b32_e32 v3, v3, v15, vcc
	v_cndmask_b32_e32 v2, v2, v14, vcc
.LBB2156_52:
	s_or_b64 exec, exec, s[4:5]
	v_cmp_gt_u64_e32 vcc, v[2:3], v[4:5]
	v_cndmask_b32_e32 v31, v5, v3, vcc
	v_cndmask_b32_e32 v30, v4, v2, vcc
	v_cmp_gt_u64_e32 vcc, v[30:31], v[10:11]
	v_cndmask_b32_e32 v15, v11, v31, vcc
	v_cndmask_b32_e32 v14, v10, v30, vcc
	;; [unrolled: 3-line block ×6, first 2 shown]
	v_add_lshl_u32 v1, v1, v0, 3
	v_cmp_gt_u32_e32 vcc, 64, v0
	ds_write_b64 v1, v[22:23]
	s_waitcnt lgkmcnt(0)
	s_barrier
	s_and_saveexec_b64 s[6:7], vcc
	s_cbranch_execz .LBB2156_56
; %bb.53:
	v_lshlrev_b32_e32 v1, 1, v0
	v_lshrrev_b32_e32 v16, 4, v0
	v_add_lshl_u32 v1, v16, v1, 3
	ds_read2_b64 v[24:27], v1 offset1:1
	v_mbcnt_lo_u32_b32 v16, -1, 0
	v_mbcnt_hi_u32_b32 v39, -1, v16
	v_and_b32_e32 v40, 15, v39
	v_and_b32_e32 v42, 16, v39
	s_waitcnt lgkmcnt(0)
	v_cmp_gt_u64_e32 vcc, v[24:25], v[26:27]
	v_cndmask_b32_e32 v17, v27, v25, vcc
	v_cndmask_b32_e32 v16, v26, v24, vcc
	v_cmp_ne_u32_e64 s[4:5], 0, v39
	v_mov_b32_dpp v21, v17 row_shr:1 row_mask:0xf bank_mask:0xf
	v_mov_b32_dpp v20, v16 row_shr:1 row_mask:0xf bank_mask:0xf
	v_cmp_gt_u64_e32 vcc, v[20:21], v[16:17]
	v_cndmask_b32_e32 v20, v16, v20, vcc
	v_cndmask_b32_e32 v21, v17, v21, vcc
	v_cmp_eq_u32_e32 vcc, 0, v40
	v_cndmask_b32_e32 v21, v21, v17, vcc
	v_cndmask_b32_e32 v20, v20, v16, vcc
	s_nop 0
	v_mov_b32_dpp v27, v21 row_shr:2 row_mask:0xf bank_mask:0xf
	v_mov_b32_dpp v26, v20 row_shr:2 row_mask:0xf bank_mask:0xf
	v_cmp_gt_u64_e32 vcc, v[26:27], v[20:21]
	v_cndmask_b32_e32 v26, v20, v26, vcc
	v_cndmask_b32_e32 v27, v21, v27, vcc
	v_cmp_lt_u32_e32 vcc, 1, v40
	v_cndmask_b32_e32 v21, v21, v27, vcc
	v_cndmask_b32_e32 v20, v20, v26, vcc
	s_nop 0
	v_mov_b32_dpp v27, v21 row_shr:4 row_mask:0xf bank_mask:0xf
	v_mov_b32_dpp v26, v20 row_shr:4 row_mask:0xf bank_mask:0xf
	v_cmp_gt_u64_e32 vcc, v[26:27], v[20:21]
	v_cndmask_b32_e32 v26, v20, v26, vcc
	v_cndmask_b32_e32 v27, v21, v27, vcc
	v_cmp_lt_u32_e32 vcc, 3, v40
	v_cndmask_b32_e32 v21, v21, v27, vcc
	v_cndmask_b32_e32 v20, v20, v26, vcc
	s_nop 0
	v_mov_b32_dpp v27, v21 row_shr:8 row_mask:0xf bank_mask:0xf
	v_mov_b32_dpp v26, v20 row_shr:8 row_mask:0xf bank_mask:0xf
	v_cmp_gt_u64_e32 vcc, v[26:27], v[20:21]
	v_cndmask_b32_e32 v26, v20, v26, vcc
	v_cndmask_b32_e32 v27, v21, v27, vcc
	v_cmp_lt_u32_e32 vcc, 7, v40
	v_cndmask_b32_e32 v21, v21, v27, vcc
	v_cndmask_b32_e32 v20, v20, v26, vcc
	s_nop 0
	v_mov_b32_dpp v27, v21 row_bcast:15 row_mask:0xf bank_mask:0xf
	v_mov_b32_dpp v26, v20 row_bcast:15 row_mask:0xf bank_mask:0xf
	v_cmp_gt_u64_e32 vcc, v[26:27], v[20:21]
	v_cndmask_b32_e32 v40, v21, v27, vcc
	v_cndmask_b32_e32 v41, v20, v26, vcc
	v_cmp_eq_u32_e32 vcc, 0, v42
	v_cndmask_b32_e32 v27, v40, v21, vcc
	v_cndmask_b32_e32 v26, v41, v20, vcc
	s_nop 0
	v_mov_b32_dpp v27, v27 row_bcast:31 row_mask:0xf bank_mask:0xf
	v_mov_b32_dpp v26, v26 row_bcast:31 row_mask:0xf bank_mask:0xf
	s_and_saveexec_b64 s[8:9], s[4:5]
; %bb.54:
	v_cndmask_b32_e32 v17, v40, v21, vcc
	v_cndmask_b32_e32 v16, v41, v20, vcc
	v_cmp_lt_u32_e64 s[4:5], 31, v39
	v_cmp_gt_u64_e32 vcc, v[26:27], v[16:17]
	s_and_b64 vcc, s[4:5], vcc
	v_cndmask_b32_e32 v16, v16, v26, vcc
	v_cndmask_b32_e32 v17, v17, v27, vcc
; %bb.55:
	s_or_b64 exec, exec, s[8:9]
	v_add_u32_e32 v20, -1, v39
	v_and_b32_e32 v21, 64, v39
	v_cmp_lt_i32_e32 vcc, v20, v21
	v_cndmask_b32_e32 v20, v20, v39, vcc
	v_lshlrev_b32_e32 v20, 2, v20
	ds_bpermute_b32 v16, v20, v16
	ds_bpermute_b32 v17, v20, v17
	; wave barrier
	s_waitcnt lgkmcnt(0)
	v_cmp_gt_u64_e32 vcc, v[16:17], v[24:25]
	v_cndmask_b32_e32 v16, v24, v16, vcc
	v_cndmask_b32_e32 v17, v25, v17, vcc
	v_cndmask_b32_e64 v17, v17, v23, s[2:3]
	v_cndmask_b32_e64 v16, v16, v22, s[2:3]
	ds_write_b64 v1, v[16:17]
	; wave barrier
	ds_read_b64 v[20:21], v1 offset:8
	s_waitcnt lgkmcnt(0)
	v_cmp_gt_u64_e32 vcc, v[16:17], v[20:21]
	v_cndmask_b32_e32 v17, v21, v17, vcc
	v_cndmask_b32_e32 v16, v20, v16, vcc
	ds_write_b64 v1, v[16:17] offset:8
.LBB2156_56:
	s_or_b64 exec, exec, s[6:7]
	v_pk_mov_b32 v[16:17], v[22:23], v[22:23] op_sel:[0,1]
	s_waitcnt lgkmcnt(0)
	s_barrier
	s_and_saveexec_b64 s[2:3], s[0:1]
	s_cbranch_execz .LBB2156_58
; %bb.57:
	v_add_u32_e32 v1, -1, v0
	v_lshrrev_b32_e32 v16, 5, v1
	v_add_lshl_u32 v1, v16, v1, 3
	ds_read_b64 v[16:17], v1
.LBB2156_58:
	s_or_b64 exec, exec, s[2:3]
	s_and_saveexec_b64 s[2:3], s[0:1]
	s_cbranch_execz .LBB2156_60
; %bb.59:
	s_waitcnt lgkmcnt(0)
	v_cmp_gt_u64_e32 vcc, v[16:17], v[2:3]
	v_cndmask_b32_e32 v3, v3, v17, vcc
	v_cndmask_b32_e32 v2, v2, v16, vcc
	v_cmp_gt_u64_e32 vcc, v[2:3], v[4:5]
	v_cndmask_b32_e32 v31, v5, v3, vcc
	v_cndmask_b32_e32 v30, v4, v2, vcc
	;; [unrolled: 3-line block ×7, first 2 shown]
	;;#ASMSTART
	;;#ASMEND
.LBB2156_60:
	s_or_b64 exec, exec, s[2:3]
	s_movk_i32 s0, 0x7f
	v_cmp_eq_u32_e32 vcc, s0, v0
	s_and_saveexec_b64 s[0:1], vcc
	s_cbranch_execz .LBB2156_62
; %bb.61:
	s_add_u32 s2, s14, 0x400
	s_addc_u32 s3, s15, 0
	v_mov_b32_e32 v24, 2
	v_mov_b32_e32 v25, 0
	v_pk_mov_b32 v[4:5], s[2:3], s[2:3] op_sel:[0,1]
	;;#ASMSTART
	global_store_dwordx4 v[4:5], v[22:25] off	
s_waitcnt vmcnt(0)
	;;#ASMEND
.LBB2156_62:
	s_or_b64 exec, exec, s[0:1]
	v_pk_mov_b32 v[24:25], v[2:3], v[2:3] op_sel:[0,1]
.LBB2156_63:
	s_add_u32 s0, s28, s26
	s_addc_u32 s1, s29, s27
	s_add_u32 s2, s0, s30
	s_addc_u32 s3, s1, s31
	s_mov_b64 s[0:1], -1
	s_and_b64 vcc, exec, s[24:25]
	s_waitcnt lgkmcnt(0)
	s_barrier
	s_cbranch_vccz .LBB2156_65
; %bb.64:
	v_mul_u32_u24_e32 v1, 56, v0
	ds_write2_b64 v1, v[24:25], v[30:31] offset1:1
	ds_write2_b64 v1, v[14:15], v[32:33] offset0:2 offset1:3
	ds_write2_b64 v1, v[18:19], v[34:35] offset0:4 offset1:5
	ds_write_b64 v1, v[22:23] offset:48
	v_mul_i32_i24_e32 v1, 0xffffffd0, v0
	v_mad_u32_u24 v1, v0, 56, v1
	s_waitcnt lgkmcnt(0)
	s_barrier
	ds_read2st64_b64 v[2:5], v1 offset1:2
	ds_read2st64_b64 v[6:9], v1 offset0:4 offset1:6
	ds_read2st64_b64 v[10:13], v1 offset0:8 offset1:10
	ds_read_b64 v[16:17], v1 offset:6144
	v_mov_b32_e32 v1, s3
	v_add_co_u32_e32 v20, vcc, s2, v36
	v_addc_co_u32_e32 v21, vcc, 0, v1, vcc
	s_waitcnt lgkmcnt(3)
	flat_store_dwordx2 v[20:21], v[2:3]
	flat_store_dwordx2 v[20:21], v[4:5] offset:1024
	s_waitcnt lgkmcnt(0)
	flat_store_dwordx2 v[20:21], v[6:7] offset:2048
	flat_store_dwordx2 v[20:21], v[8:9] offset:3072
	v_add_co_u32_e32 v2, vcc, 0x1000, v20
	v_addc_co_u32_e32 v3, vcc, 0, v21, vcc
	flat_store_dwordx2 v[2:3], v[10:11]
	flat_store_dwordx2 v[2:3], v[12:13] offset:1024
	flat_store_dwordx2 v[2:3], v[16:17] offset:2048
	s_mov_b64 s[0:1], 0
.LBB2156_65:
	s_andn2_b64 vcc, exec, s[0:1]
	s_cbranch_vccnz .LBB2156_104
; %bb.66:
	s_movk_i32 s0, 0xffd0
	ds_write2_b64 v38, v[24:25], v[30:31] offset1:1
	ds_write2_b64 v38, v[14:15], v[32:33] offset0:2 offset1:3
	ds_write2_b64 v38, v[18:19], v[34:35] offset0:4 offset1:5
	ds_write_b64 v38, v[22:23] offset:48
	v_mad_i32_i24 v14, v0, s0, v38
	s_waitcnt lgkmcnt(0)
	s_barrier
	ds_read2st64_b64 v[2:5], v14 offset1:2
	ds_read2st64_b64 v[6:9], v14 offset0:4 offset1:6
	ds_read2st64_b64 v[10:13], v14 offset0:8 offset1:10
	ds_read_b64 v[14:15], v14 offset:6144
	v_mov_b32_e32 v17, s3
	v_add_co_u32_e32 v16, vcc, s2, v36
	v_addc_co_u32_e32 v17, vcc, 0, v17, vcc
	v_mov_b32_e32 v1, 0
	v_cmp_gt_u32_e32 vcc, s33, v0
	s_and_saveexec_b64 s[0:1], vcc
	s_cbranch_execz .LBB2156_68
; %bb.67:
	s_waitcnt lgkmcnt(0)
	flat_store_dwordx2 v[16:17], v[2:3]
.LBB2156_68:
	s_or_b64 exec, exec, s[0:1]
	v_or_b32_e32 v18, 0x80, v0
	v_cmp_gt_u32_e32 vcc, s33, v18
	s_and_saveexec_b64 s[0:1], vcc
	s_cbranch_execz .LBB2156_70
; %bb.69:
	s_waitcnt lgkmcnt(0)
	flat_store_dwordx2 v[16:17], v[4:5] offset:1024
.LBB2156_70:
	s_or_b64 exec, exec, s[0:1]
	v_or_b32_e32 v18, 0x100, v0
	v_cmp_gt_u32_e32 vcc, s33, v18
	s_and_saveexec_b64 s[0:1], vcc
	s_cbranch_execz .LBB2156_72
; %bb.71:
	s_waitcnt lgkmcnt(0)
	flat_store_dwordx2 v[16:17], v[6:7] offset:2048
.LBB2156_72:
	;; [unrolled: 9-line block ×3, first 2 shown]
	s_or_b64 exec, exec, s[0:1]
	v_or_b32_e32 v18, 0x200, v0
	v_cmp_gt_u32_e32 vcc, s33, v18
	s_and_saveexec_b64 s[0:1], vcc
	s_cbranch_execz .LBB2156_76
; %bb.75:
	v_add_co_u32_e32 v18, vcc, 0x1000, v16
	v_addc_co_u32_e32 v19, vcc, 0, v17, vcc
	s_waitcnt lgkmcnt(0)
	flat_store_dwordx2 v[18:19], v[10:11]
.LBB2156_76:
	s_or_b64 exec, exec, s[0:1]
	v_or_b32_e32 v18, 0x280, v0
	v_cmp_gt_u32_e32 vcc, s33, v18
	s_and_saveexec_b64 s[0:1], vcc
	s_cbranch_execz .LBB2156_78
; %bb.77:
	v_add_co_u32_e32 v18, vcc, 0x1000, v16
	v_addc_co_u32_e32 v19, vcc, 0, v17, vcc
	s_waitcnt lgkmcnt(0)
	flat_store_dwordx2 v[18:19], v[12:13] offset:1024
.LBB2156_78:
	s_or_b64 exec, exec, s[0:1]
	v_or_b32_e32 v18, 0x300, v0
	v_cmp_gt_u32_e32 vcc, s33, v18
	s_and_saveexec_b64 s[0:1], vcc
	s_cbranch_execz .LBB2156_80
; %bb.79:
	v_add_co_u32_e32 v16, vcc, 0x1000, v16
	v_addc_co_u32_e32 v17, vcc, 0, v17, vcc
	s_waitcnt lgkmcnt(0)
	flat_store_dwordx2 v[16:17], v[14:15] offset:2048
.LBB2156_80:
	s_or_b64 exec, exec, s[0:1]
	v_cmp_lt_u64_e64 s[0:1], s[22:23], 2
	s_and_b64 vcc, exec, s[0:1]
	s_cbranch_vccnz .LBB2156_104
; %bb.81:
	s_add_u32 s0, s33, -1
	s_addc_u32 s1, s36, -1
	s_add_u32 s2, 0, 0x92481000
	s_addc_u32 s3, 0, 0x64
	s_add_i32 s3, s3, 0x249248c0
	s_mul_hi_u32 s7, s2, -7
	s_sub_i32 s7, s7, s2
	s_mul_i32 s8, s3, -7
	s_mul_i32 s4, s2, -7
	s_add_i32 s7, s7, s8
	s_mul_hi_u32 s5, s3, s4
	s_mul_i32 s6, s3, s4
	s_mul_i32 s9, s2, s7
	s_mul_hi_u32 s4, s2, s4
	s_mul_hi_u32 s8, s2, s7
	s_add_u32 s4, s4, s9
	s_addc_u32 s8, 0, s8
	s_add_u32 s4, s4, s6
	s_mul_hi_u32 s9, s3, s7
	s_addc_u32 s4, s8, s5
	s_addc_u32 s5, s9, 0
	s_mul_i32 s6, s3, s7
	s_add_u32 s4, s4, s6
	v_mov_b32_e32 v16, s4
	s_addc_u32 s5, 0, s5
	v_add_co_u32_e32 v16, vcc, s2, v16
	s_cmp_lg_u64 vcc, 0
	s_addc_u32 s2, s3, s5
	v_readfirstlane_b32 s5, v16
	s_mul_i32 s4, s0, s2
	s_mul_hi_u32 s6, s0, s5
	s_mul_hi_u32 s3, s0, s2
	s_add_u32 s4, s6, s4
	s_addc_u32 s3, 0, s3
	s_mul_hi_u32 s7, s1, s5
	s_mul_i32 s5, s1, s5
	s_add_u32 s4, s4, s5
	s_mul_hi_u32 s6, s1, s2
	s_addc_u32 s3, s3, s7
	s_addc_u32 s4, s6, 0
	s_mul_i32 s2, s1, s2
	s_add_u32 s2, s3, s2
	s_addc_u32 s3, 0, s4
	s_add_u32 s4, s2, 1
	s_addc_u32 s5, s3, 0
	s_add_u32 s6, s2, 2
	s_mul_i32 s8, s3, 7
	s_mul_hi_u32 s9, s2, 7
	s_addc_u32 s7, s3, 0
	s_add_i32 s9, s9, s8
	s_mul_i32 s8, s2, 7
	v_mov_b32_e32 v16, s8
	v_sub_co_u32_e32 v16, vcc, s0, v16
	s_cmp_lg_u64 vcc, 0
	s_subb_u32 s8, s1, s9
	v_subrev_co_u32_e32 v17, vcc, 7, v16
	s_cmp_lg_u64 vcc, 0
	s_subb_u32 s9, s8, 0
	v_readfirstlane_b32 s10, v17
	s_cmp_gt_u32 s10, 6
	s_cselect_b32 s10, -1, 0
	s_cmp_eq_u32 s9, 0
	s_cselect_b32 s9, s10, -1
	s_cmp_lg_u32 s9, 0
	s_cselect_b32 s4, s6, s4
	v_readfirstlane_b32 s6, v16
	s_cselect_b32 s5, s7, s5
	s_cmp_gt_u32 s6, 6
	s_cselect_b32 s6, -1, 0
	s_cmp_eq_u32 s8, 0
	s_cselect_b32 s6, s6, -1
	s_cmp_lg_u32 s6, 0
	s_cselect_b32 s3, s5, s3
	s_cselect_b32 s2, s4, s2
	v_cmp_eq_u64_e32 vcc, s[2:3], v[0:1]
	s_and_saveexec_b64 s[2:3], vcc
	s_cbranch_execz .LBB2156_104
; %bb.82:
	v_mul_hi_u32_u24_e32 v1, 7, v0
	v_mov_b32_e32 v16, s1
	v_sub_co_u32_e32 v0, vcc, s0, v37
	v_subb_co_u32_e32 v1, vcc, v16, v1, vcc
	v_cmp_lt_i64_e32 vcc, 3, v[0:1]
	s_and_saveexec_b64 s[0:1], vcc
	s_xor_b64 s[0:1], exec, s[0:1]
	s_cbranch_execz .LBB2156_92
; %bb.83:
	v_cmp_lt_i64_e32 vcc, 4, v[0:1]
	s_and_saveexec_b64 s[2:3], vcc
	s_xor_b64 s[2:3], exec, s[2:3]
	s_cbranch_execz .LBB2156_89
; %bb.84:
	;; [unrolled: 5-line block ×3, first 2 shown]
	v_mov_b32_e32 v0, 0
	s_waitcnt lgkmcnt(0)
	global_store_dwordx2 v0, v[14:15], s[18:19]
                                        ; implicit-def: $vgpr10_vgpr11_vgpr12_vgpr13
.LBB2156_86:
	s_andn2_saveexec_b64 s[4:5], s[4:5]
	s_cbranch_execz .LBB2156_88
; %bb.87:
	v_mov_b32_e32 v0, 0
	s_waitcnt lgkmcnt(0)
	global_store_dwordx2 v0, v[12:13], s[18:19]
.LBB2156_88:
	s_or_b64 exec, exec, s[4:5]
                                        ; implicit-def: $vgpr10_vgpr11_vgpr12_vgpr13
.LBB2156_89:
	s_andn2_saveexec_b64 s[2:3], s[2:3]
	s_cbranch_execz .LBB2156_91
; %bb.90:
	v_mov_b32_e32 v0, 0
	s_waitcnt lgkmcnt(0)
	global_store_dwordx2 v0, v[10:11], s[18:19]
.LBB2156_91:
	s_or_b64 exec, exec, s[2:3]
                                        ; implicit-def: $vgpr0_vgpr1
                                        ; implicit-def: $vgpr2_vgpr3_vgpr4_vgpr5
                                        ; implicit-def: $vgpr6_vgpr7_vgpr8_vgpr9
.LBB2156_92:
	s_andn2_saveexec_b64 s[0:1], s[0:1]
	s_cbranch_execz .LBB2156_104
; %bb.93:
	v_cmp_lt_i64_e32 vcc, 1, v[0:1]
	s_and_saveexec_b64 s[0:1], vcc
	s_xor_b64 s[0:1], exec, s[0:1]
	s_cbranch_execz .LBB2156_99
; %bb.94:
	v_cmp_lt_i64_e32 vcc, 2, v[0:1]
	s_and_saveexec_b64 s[2:3], vcc
	s_xor_b64 s[2:3], exec, s[2:3]
	s_cbranch_execz .LBB2156_96
; %bb.95:
	v_mov_b32_e32 v0, 0
	s_waitcnt lgkmcnt(0)
	global_store_dwordx2 v0, v[8:9], s[18:19]
                                        ; implicit-def: $vgpr6_vgpr7_vgpr8_vgpr9
.LBB2156_96:
	s_andn2_saveexec_b64 s[2:3], s[2:3]
	s_cbranch_execz .LBB2156_98
; %bb.97:
	v_mov_b32_e32 v0, 0
	s_waitcnt lgkmcnt(0)
	global_store_dwordx2 v0, v[6:7], s[18:19]
.LBB2156_98:
	s_or_b64 exec, exec, s[2:3]
                                        ; implicit-def: $vgpr2_vgpr3_vgpr4_vgpr5
                                        ; implicit-def: $vgpr0_vgpr1
.LBB2156_99:
	s_andn2_saveexec_b64 s[0:1], s[0:1]
	s_cbranch_execz .LBB2156_104
; %bb.100:
	v_cmp_ne_u64_e32 vcc, 1, v[0:1]
	s_and_saveexec_b64 s[0:1], vcc
	s_xor_b64 s[0:1], exec, s[0:1]
	s_cbranch_execz .LBB2156_102
; %bb.101:
	v_mov_b32_e32 v0, 0
	s_waitcnt lgkmcnt(0)
	global_store_dwordx2 v0, v[2:3], s[18:19]
                                        ; implicit-def: $vgpr2_vgpr3_vgpr4_vgpr5
.LBB2156_102:
	s_andn2_saveexec_b64 s[0:1], s[0:1]
	s_cbranch_execz .LBB2156_104
; %bb.103:
	v_mov_b32_e32 v0, 0
	s_waitcnt lgkmcnt(0)
	global_store_dwordx2 v0, v[4:5], s[18:19]
.LBB2156_104:
	s_endpgm
	.section	.rodata,"a",@progbits
	.p2align	6, 0x0
	.amdhsa_kernel _ZN7rocprim17ROCPRIM_400000_NS6detail17trampoline_kernelINS0_14default_configENS1_20scan_config_selectorIyEEZZNS1_9scan_implILNS1_25lookback_scan_determinismE0ELb0ELb0ES3_N6thrust23THRUST_200600_302600_NS6detail15normal_iteratorINS9_10device_ptrIyEEEESE_y11max_functorIyEyEEDaPvRmT3_T4_T5_mT6_P12ihipStream_tbENKUlT_T0_E_clISt17integral_constantIbLb0EEST_IbLb1EEEEDaSP_SQ_EUlSP_E_NS1_11comp_targetILNS1_3genE4ELNS1_11target_archE910ELNS1_3gpuE8ELNS1_3repE0EEENS1_30default_config_static_selectorELNS0_4arch9wavefront6targetE1EEEvT1_
		.amdhsa_group_segment_fixed_size 7168
		.amdhsa_private_segment_fixed_size 0
		.amdhsa_kernarg_size 104
		.amdhsa_user_sgpr_count 6
		.amdhsa_user_sgpr_private_segment_buffer 1
		.amdhsa_user_sgpr_dispatch_ptr 0
		.amdhsa_user_sgpr_queue_ptr 0
		.amdhsa_user_sgpr_kernarg_segment_ptr 1
		.amdhsa_user_sgpr_dispatch_id 0
		.amdhsa_user_sgpr_flat_scratch_init 0
		.amdhsa_user_sgpr_kernarg_preload_length 0
		.amdhsa_user_sgpr_kernarg_preload_offset 0
		.amdhsa_user_sgpr_private_segment_size 0
		.amdhsa_uses_dynamic_stack 0
		.amdhsa_system_sgpr_private_segment_wavefront_offset 0
		.amdhsa_system_sgpr_workgroup_id_x 1
		.amdhsa_system_sgpr_workgroup_id_y 0
		.amdhsa_system_sgpr_workgroup_id_z 0
		.amdhsa_system_sgpr_workgroup_info 0
		.amdhsa_system_vgpr_workitem_id 0
		.amdhsa_next_free_vgpr 58
		.amdhsa_next_free_sgpr 38
		.amdhsa_accum_offset 60
		.amdhsa_reserve_vcc 1
		.amdhsa_reserve_flat_scratch 0
		.amdhsa_float_round_mode_32 0
		.amdhsa_float_round_mode_16_64 0
		.amdhsa_float_denorm_mode_32 3
		.amdhsa_float_denorm_mode_16_64 3
		.amdhsa_dx10_clamp 1
		.amdhsa_ieee_mode 1
		.amdhsa_fp16_overflow 0
		.amdhsa_tg_split 0
		.amdhsa_exception_fp_ieee_invalid_op 0
		.amdhsa_exception_fp_denorm_src 0
		.amdhsa_exception_fp_ieee_div_zero 0
		.amdhsa_exception_fp_ieee_overflow 0
		.amdhsa_exception_fp_ieee_underflow 0
		.amdhsa_exception_fp_ieee_inexact 0
		.amdhsa_exception_int_div_zero 0
	.end_amdhsa_kernel
	.section	.text._ZN7rocprim17ROCPRIM_400000_NS6detail17trampoline_kernelINS0_14default_configENS1_20scan_config_selectorIyEEZZNS1_9scan_implILNS1_25lookback_scan_determinismE0ELb0ELb0ES3_N6thrust23THRUST_200600_302600_NS6detail15normal_iteratorINS9_10device_ptrIyEEEESE_y11max_functorIyEyEEDaPvRmT3_T4_T5_mT6_P12ihipStream_tbENKUlT_T0_E_clISt17integral_constantIbLb0EEST_IbLb1EEEEDaSP_SQ_EUlSP_E_NS1_11comp_targetILNS1_3genE4ELNS1_11target_archE910ELNS1_3gpuE8ELNS1_3repE0EEENS1_30default_config_static_selectorELNS0_4arch9wavefront6targetE1EEEvT1_,"axG",@progbits,_ZN7rocprim17ROCPRIM_400000_NS6detail17trampoline_kernelINS0_14default_configENS1_20scan_config_selectorIyEEZZNS1_9scan_implILNS1_25lookback_scan_determinismE0ELb0ELb0ES3_N6thrust23THRUST_200600_302600_NS6detail15normal_iteratorINS9_10device_ptrIyEEEESE_y11max_functorIyEyEEDaPvRmT3_T4_T5_mT6_P12ihipStream_tbENKUlT_T0_E_clISt17integral_constantIbLb0EEST_IbLb1EEEEDaSP_SQ_EUlSP_E_NS1_11comp_targetILNS1_3genE4ELNS1_11target_archE910ELNS1_3gpuE8ELNS1_3repE0EEENS1_30default_config_static_selectorELNS0_4arch9wavefront6targetE1EEEvT1_,comdat
.Lfunc_end2156:
	.size	_ZN7rocprim17ROCPRIM_400000_NS6detail17trampoline_kernelINS0_14default_configENS1_20scan_config_selectorIyEEZZNS1_9scan_implILNS1_25lookback_scan_determinismE0ELb0ELb0ES3_N6thrust23THRUST_200600_302600_NS6detail15normal_iteratorINS9_10device_ptrIyEEEESE_y11max_functorIyEyEEDaPvRmT3_T4_T5_mT6_P12ihipStream_tbENKUlT_T0_E_clISt17integral_constantIbLb0EEST_IbLb1EEEEDaSP_SQ_EUlSP_E_NS1_11comp_targetILNS1_3genE4ELNS1_11target_archE910ELNS1_3gpuE8ELNS1_3repE0EEENS1_30default_config_static_selectorELNS0_4arch9wavefront6targetE1EEEvT1_, .Lfunc_end2156-_ZN7rocprim17ROCPRIM_400000_NS6detail17trampoline_kernelINS0_14default_configENS1_20scan_config_selectorIyEEZZNS1_9scan_implILNS1_25lookback_scan_determinismE0ELb0ELb0ES3_N6thrust23THRUST_200600_302600_NS6detail15normal_iteratorINS9_10device_ptrIyEEEESE_y11max_functorIyEyEEDaPvRmT3_T4_T5_mT6_P12ihipStream_tbENKUlT_T0_E_clISt17integral_constantIbLb0EEST_IbLb1EEEEDaSP_SQ_EUlSP_E_NS1_11comp_targetILNS1_3genE4ELNS1_11target_archE910ELNS1_3gpuE8ELNS1_3repE0EEENS1_30default_config_static_selectorELNS0_4arch9wavefront6targetE1EEEvT1_
                                        ; -- End function
	.section	.AMDGPU.csdata,"",@progbits
; Kernel info:
; codeLenInByte = 5864
; NumSgprs: 42
; NumVgprs: 58
; NumAgprs: 0
; TotalNumVgprs: 58
; ScratchSize: 0
; MemoryBound: 0
; FloatMode: 240
; IeeeMode: 1
; LDSByteSize: 7168 bytes/workgroup (compile time only)
; SGPRBlocks: 5
; VGPRBlocks: 7
; NumSGPRsForWavesPerEU: 42
; NumVGPRsForWavesPerEU: 58
; AccumOffset: 60
; Occupancy: 5
; WaveLimiterHint : 1
; COMPUTE_PGM_RSRC2:SCRATCH_EN: 0
; COMPUTE_PGM_RSRC2:USER_SGPR: 6
; COMPUTE_PGM_RSRC2:TRAP_HANDLER: 0
; COMPUTE_PGM_RSRC2:TGID_X_EN: 1
; COMPUTE_PGM_RSRC2:TGID_Y_EN: 0
; COMPUTE_PGM_RSRC2:TGID_Z_EN: 0
; COMPUTE_PGM_RSRC2:TIDIG_COMP_CNT: 0
; COMPUTE_PGM_RSRC3_GFX90A:ACCUM_OFFSET: 14
; COMPUTE_PGM_RSRC3_GFX90A:TG_SPLIT: 0
	.section	.text._ZN7rocprim17ROCPRIM_400000_NS6detail17trampoline_kernelINS0_14default_configENS1_20scan_config_selectorIyEEZZNS1_9scan_implILNS1_25lookback_scan_determinismE0ELb0ELb0ES3_N6thrust23THRUST_200600_302600_NS6detail15normal_iteratorINS9_10device_ptrIyEEEESE_y11max_functorIyEyEEDaPvRmT3_T4_T5_mT6_P12ihipStream_tbENKUlT_T0_E_clISt17integral_constantIbLb0EEST_IbLb1EEEEDaSP_SQ_EUlSP_E_NS1_11comp_targetILNS1_3genE3ELNS1_11target_archE908ELNS1_3gpuE7ELNS1_3repE0EEENS1_30default_config_static_selectorELNS0_4arch9wavefront6targetE1EEEvT1_,"axG",@progbits,_ZN7rocprim17ROCPRIM_400000_NS6detail17trampoline_kernelINS0_14default_configENS1_20scan_config_selectorIyEEZZNS1_9scan_implILNS1_25lookback_scan_determinismE0ELb0ELb0ES3_N6thrust23THRUST_200600_302600_NS6detail15normal_iteratorINS9_10device_ptrIyEEEESE_y11max_functorIyEyEEDaPvRmT3_T4_T5_mT6_P12ihipStream_tbENKUlT_T0_E_clISt17integral_constantIbLb0EEST_IbLb1EEEEDaSP_SQ_EUlSP_E_NS1_11comp_targetILNS1_3genE3ELNS1_11target_archE908ELNS1_3gpuE7ELNS1_3repE0EEENS1_30default_config_static_selectorELNS0_4arch9wavefront6targetE1EEEvT1_,comdat
	.protected	_ZN7rocprim17ROCPRIM_400000_NS6detail17trampoline_kernelINS0_14default_configENS1_20scan_config_selectorIyEEZZNS1_9scan_implILNS1_25lookback_scan_determinismE0ELb0ELb0ES3_N6thrust23THRUST_200600_302600_NS6detail15normal_iteratorINS9_10device_ptrIyEEEESE_y11max_functorIyEyEEDaPvRmT3_T4_T5_mT6_P12ihipStream_tbENKUlT_T0_E_clISt17integral_constantIbLb0EEST_IbLb1EEEEDaSP_SQ_EUlSP_E_NS1_11comp_targetILNS1_3genE3ELNS1_11target_archE908ELNS1_3gpuE7ELNS1_3repE0EEENS1_30default_config_static_selectorELNS0_4arch9wavefront6targetE1EEEvT1_ ; -- Begin function _ZN7rocprim17ROCPRIM_400000_NS6detail17trampoline_kernelINS0_14default_configENS1_20scan_config_selectorIyEEZZNS1_9scan_implILNS1_25lookback_scan_determinismE0ELb0ELb0ES3_N6thrust23THRUST_200600_302600_NS6detail15normal_iteratorINS9_10device_ptrIyEEEESE_y11max_functorIyEyEEDaPvRmT3_T4_T5_mT6_P12ihipStream_tbENKUlT_T0_E_clISt17integral_constantIbLb0EEST_IbLb1EEEEDaSP_SQ_EUlSP_E_NS1_11comp_targetILNS1_3genE3ELNS1_11target_archE908ELNS1_3gpuE7ELNS1_3repE0EEENS1_30default_config_static_selectorELNS0_4arch9wavefront6targetE1EEEvT1_
	.globl	_ZN7rocprim17ROCPRIM_400000_NS6detail17trampoline_kernelINS0_14default_configENS1_20scan_config_selectorIyEEZZNS1_9scan_implILNS1_25lookback_scan_determinismE0ELb0ELb0ES3_N6thrust23THRUST_200600_302600_NS6detail15normal_iteratorINS9_10device_ptrIyEEEESE_y11max_functorIyEyEEDaPvRmT3_T4_T5_mT6_P12ihipStream_tbENKUlT_T0_E_clISt17integral_constantIbLb0EEST_IbLb1EEEEDaSP_SQ_EUlSP_E_NS1_11comp_targetILNS1_3genE3ELNS1_11target_archE908ELNS1_3gpuE7ELNS1_3repE0EEENS1_30default_config_static_selectorELNS0_4arch9wavefront6targetE1EEEvT1_
	.p2align	8
	.type	_ZN7rocprim17ROCPRIM_400000_NS6detail17trampoline_kernelINS0_14default_configENS1_20scan_config_selectorIyEEZZNS1_9scan_implILNS1_25lookback_scan_determinismE0ELb0ELb0ES3_N6thrust23THRUST_200600_302600_NS6detail15normal_iteratorINS9_10device_ptrIyEEEESE_y11max_functorIyEyEEDaPvRmT3_T4_T5_mT6_P12ihipStream_tbENKUlT_T0_E_clISt17integral_constantIbLb0EEST_IbLb1EEEEDaSP_SQ_EUlSP_E_NS1_11comp_targetILNS1_3genE3ELNS1_11target_archE908ELNS1_3gpuE7ELNS1_3repE0EEENS1_30default_config_static_selectorELNS0_4arch9wavefront6targetE1EEEvT1_,@function
_ZN7rocprim17ROCPRIM_400000_NS6detail17trampoline_kernelINS0_14default_configENS1_20scan_config_selectorIyEEZZNS1_9scan_implILNS1_25lookback_scan_determinismE0ELb0ELb0ES3_N6thrust23THRUST_200600_302600_NS6detail15normal_iteratorINS9_10device_ptrIyEEEESE_y11max_functorIyEyEEDaPvRmT3_T4_T5_mT6_P12ihipStream_tbENKUlT_T0_E_clISt17integral_constantIbLb0EEST_IbLb1EEEEDaSP_SQ_EUlSP_E_NS1_11comp_targetILNS1_3genE3ELNS1_11target_archE908ELNS1_3gpuE7ELNS1_3repE0EEENS1_30default_config_static_selectorELNS0_4arch9wavefront6targetE1EEEvT1_: ; @_ZN7rocprim17ROCPRIM_400000_NS6detail17trampoline_kernelINS0_14default_configENS1_20scan_config_selectorIyEEZZNS1_9scan_implILNS1_25lookback_scan_determinismE0ELb0ELb0ES3_N6thrust23THRUST_200600_302600_NS6detail15normal_iteratorINS9_10device_ptrIyEEEESE_y11max_functorIyEyEEDaPvRmT3_T4_T5_mT6_P12ihipStream_tbENKUlT_T0_E_clISt17integral_constantIbLb0EEST_IbLb1EEEEDaSP_SQ_EUlSP_E_NS1_11comp_targetILNS1_3genE3ELNS1_11target_archE908ELNS1_3gpuE7ELNS1_3repE0EEENS1_30default_config_static_selectorELNS0_4arch9wavefront6targetE1EEEvT1_
; %bb.0:
	.section	.rodata,"a",@progbits
	.p2align	6, 0x0
	.amdhsa_kernel _ZN7rocprim17ROCPRIM_400000_NS6detail17trampoline_kernelINS0_14default_configENS1_20scan_config_selectorIyEEZZNS1_9scan_implILNS1_25lookback_scan_determinismE0ELb0ELb0ES3_N6thrust23THRUST_200600_302600_NS6detail15normal_iteratorINS9_10device_ptrIyEEEESE_y11max_functorIyEyEEDaPvRmT3_T4_T5_mT6_P12ihipStream_tbENKUlT_T0_E_clISt17integral_constantIbLb0EEST_IbLb1EEEEDaSP_SQ_EUlSP_E_NS1_11comp_targetILNS1_3genE3ELNS1_11target_archE908ELNS1_3gpuE7ELNS1_3repE0EEENS1_30default_config_static_selectorELNS0_4arch9wavefront6targetE1EEEvT1_
		.amdhsa_group_segment_fixed_size 0
		.amdhsa_private_segment_fixed_size 0
		.amdhsa_kernarg_size 104
		.amdhsa_user_sgpr_count 6
		.amdhsa_user_sgpr_private_segment_buffer 1
		.amdhsa_user_sgpr_dispatch_ptr 0
		.amdhsa_user_sgpr_queue_ptr 0
		.amdhsa_user_sgpr_kernarg_segment_ptr 1
		.amdhsa_user_sgpr_dispatch_id 0
		.amdhsa_user_sgpr_flat_scratch_init 0
		.amdhsa_user_sgpr_kernarg_preload_length 0
		.amdhsa_user_sgpr_kernarg_preload_offset 0
		.amdhsa_user_sgpr_private_segment_size 0
		.amdhsa_uses_dynamic_stack 0
		.amdhsa_system_sgpr_private_segment_wavefront_offset 0
		.amdhsa_system_sgpr_workgroup_id_x 1
		.amdhsa_system_sgpr_workgroup_id_y 0
		.amdhsa_system_sgpr_workgroup_id_z 0
		.amdhsa_system_sgpr_workgroup_info 0
		.amdhsa_system_vgpr_workitem_id 0
		.amdhsa_next_free_vgpr 1
		.amdhsa_next_free_sgpr 0
		.amdhsa_accum_offset 4
		.amdhsa_reserve_vcc 0
		.amdhsa_reserve_flat_scratch 0
		.amdhsa_float_round_mode_32 0
		.amdhsa_float_round_mode_16_64 0
		.amdhsa_float_denorm_mode_32 3
		.amdhsa_float_denorm_mode_16_64 3
		.amdhsa_dx10_clamp 1
		.amdhsa_ieee_mode 1
		.amdhsa_fp16_overflow 0
		.amdhsa_tg_split 0
		.amdhsa_exception_fp_ieee_invalid_op 0
		.amdhsa_exception_fp_denorm_src 0
		.amdhsa_exception_fp_ieee_div_zero 0
		.amdhsa_exception_fp_ieee_overflow 0
		.amdhsa_exception_fp_ieee_underflow 0
		.amdhsa_exception_fp_ieee_inexact 0
		.amdhsa_exception_int_div_zero 0
	.end_amdhsa_kernel
	.section	.text._ZN7rocprim17ROCPRIM_400000_NS6detail17trampoline_kernelINS0_14default_configENS1_20scan_config_selectorIyEEZZNS1_9scan_implILNS1_25lookback_scan_determinismE0ELb0ELb0ES3_N6thrust23THRUST_200600_302600_NS6detail15normal_iteratorINS9_10device_ptrIyEEEESE_y11max_functorIyEyEEDaPvRmT3_T4_T5_mT6_P12ihipStream_tbENKUlT_T0_E_clISt17integral_constantIbLb0EEST_IbLb1EEEEDaSP_SQ_EUlSP_E_NS1_11comp_targetILNS1_3genE3ELNS1_11target_archE908ELNS1_3gpuE7ELNS1_3repE0EEENS1_30default_config_static_selectorELNS0_4arch9wavefront6targetE1EEEvT1_,"axG",@progbits,_ZN7rocprim17ROCPRIM_400000_NS6detail17trampoline_kernelINS0_14default_configENS1_20scan_config_selectorIyEEZZNS1_9scan_implILNS1_25lookback_scan_determinismE0ELb0ELb0ES3_N6thrust23THRUST_200600_302600_NS6detail15normal_iteratorINS9_10device_ptrIyEEEESE_y11max_functorIyEyEEDaPvRmT3_T4_T5_mT6_P12ihipStream_tbENKUlT_T0_E_clISt17integral_constantIbLb0EEST_IbLb1EEEEDaSP_SQ_EUlSP_E_NS1_11comp_targetILNS1_3genE3ELNS1_11target_archE908ELNS1_3gpuE7ELNS1_3repE0EEENS1_30default_config_static_selectorELNS0_4arch9wavefront6targetE1EEEvT1_,comdat
.Lfunc_end2157:
	.size	_ZN7rocprim17ROCPRIM_400000_NS6detail17trampoline_kernelINS0_14default_configENS1_20scan_config_selectorIyEEZZNS1_9scan_implILNS1_25lookback_scan_determinismE0ELb0ELb0ES3_N6thrust23THRUST_200600_302600_NS6detail15normal_iteratorINS9_10device_ptrIyEEEESE_y11max_functorIyEyEEDaPvRmT3_T4_T5_mT6_P12ihipStream_tbENKUlT_T0_E_clISt17integral_constantIbLb0EEST_IbLb1EEEEDaSP_SQ_EUlSP_E_NS1_11comp_targetILNS1_3genE3ELNS1_11target_archE908ELNS1_3gpuE7ELNS1_3repE0EEENS1_30default_config_static_selectorELNS0_4arch9wavefront6targetE1EEEvT1_, .Lfunc_end2157-_ZN7rocprim17ROCPRIM_400000_NS6detail17trampoline_kernelINS0_14default_configENS1_20scan_config_selectorIyEEZZNS1_9scan_implILNS1_25lookback_scan_determinismE0ELb0ELb0ES3_N6thrust23THRUST_200600_302600_NS6detail15normal_iteratorINS9_10device_ptrIyEEEESE_y11max_functorIyEyEEDaPvRmT3_T4_T5_mT6_P12ihipStream_tbENKUlT_T0_E_clISt17integral_constantIbLb0EEST_IbLb1EEEEDaSP_SQ_EUlSP_E_NS1_11comp_targetILNS1_3genE3ELNS1_11target_archE908ELNS1_3gpuE7ELNS1_3repE0EEENS1_30default_config_static_selectorELNS0_4arch9wavefront6targetE1EEEvT1_
                                        ; -- End function
	.section	.AMDGPU.csdata,"",@progbits
; Kernel info:
; codeLenInByte = 0
; NumSgprs: 4
; NumVgprs: 0
; NumAgprs: 0
; TotalNumVgprs: 0
; ScratchSize: 0
; MemoryBound: 0
; FloatMode: 240
; IeeeMode: 1
; LDSByteSize: 0 bytes/workgroup (compile time only)
; SGPRBlocks: 0
; VGPRBlocks: 0
; NumSGPRsForWavesPerEU: 4
; NumVGPRsForWavesPerEU: 1
; AccumOffset: 4
; Occupancy: 8
; WaveLimiterHint : 0
; COMPUTE_PGM_RSRC2:SCRATCH_EN: 0
; COMPUTE_PGM_RSRC2:USER_SGPR: 6
; COMPUTE_PGM_RSRC2:TRAP_HANDLER: 0
; COMPUTE_PGM_RSRC2:TGID_X_EN: 1
; COMPUTE_PGM_RSRC2:TGID_Y_EN: 0
; COMPUTE_PGM_RSRC2:TGID_Z_EN: 0
; COMPUTE_PGM_RSRC2:TIDIG_COMP_CNT: 0
; COMPUTE_PGM_RSRC3_GFX90A:ACCUM_OFFSET: 0
; COMPUTE_PGM_RSRC3_GFX90A:TG_SPLIT: 0
	.section	.text._ZN7rocprim17ROCPRIM_400000_NS6detail17trampoline_kernelINS0_14default_configENS1_20scan_config_selectorIyEEZZNS1_9scan_implILNS1_25lookback_scan_determinismE0ELb0ELb0ES3_N6thrust23THRUST_200600_302600_NS6detail15normal_iteratorINS9_10device_ptrIyEEEESE_y11max_functorIyEyEEDaPvRmT3_T4_T5_mT6_P12ihipStream_tbENKUlT_T0_E_clISt17integral_constantIbLb0EEST_IbLb1EEEEDaSP_SQ_EUlSP_E_NS1_11comp_targetILNS1_3genE2ELNS1_11target_archE906ELNS1_3gpuE6ELNS1_3repE0EEENS1_30default_config_static_selectorELNS0_4arch9wavefront6targetE1EEEvT1_,"axG",@progbits,_ZN7rocprim17ROCPRIM_400000_NS6detail17trampoline_kernelINS0_14default_configENS1_20scan_config_selectorIyEEZZNS1_9scan_implILNS1_25lookback_scan_determinismE0ELb0ELb0ES3_N6thrust23THRUST_200600_302600_NS6detail15normal_iteratorINS9_10device_ptrIyEEEESE_y11max_functorIyEyEEDaPvRmT3_T4_T5_mT6_P12ihipStream_tbENKUlT_T0_E_clISt17integral_constantIbLb0EEST_IbLb1EEEEDaSP_SQ_EUlSP_E_NS1_11comp_targetILNS1_3genE2ELNS1_11target_archE906ELNS1_3gpuE6ELNS1_3repE0EEENS1_30default_config_static_selectorELNS0_4arch9wavefront6targetE1EEEvT1_,comdat
	.protected	_ZN7rocprim17ROCPRIM_400000_NS6detail17trampoline_kernelINS0_14default_configENS1_20scan_config_selectorIyEEZZNS1_9scan_implILNS1_25lookback_scan_determinismE0ELb0ELb0ES3_N6thrust23THRUST_200600_302600_NS6detail15normal_iteratorINS9_10device_ptrIyEEEESE_y11max_functorIyEyEEDaPvRmT3_T4_T5_mT6_P12ihipStream_tbENKUlT_T0_E_clISt17integral_constantIbLb0EEST_IbLb1EEEEDaSP_SQ_EUlSP_E_NS1_11comp_targetILNS1_3genE2ELNS1_11target_archE906ELNS1_3gpuE6ELNS1_3repE0EEENS1_30default_config_static_selectorELNS0_4arch9wavefront6targetE1EEEvT1_ ; -- Begin function _ZN7rocprim17ROCPRIM_400000_NS6detail17trampoline_kernelINS0_14default_configENS1_20scan_config_selectorIyEEZZNS1_9scan_implILNS1_25lookback_scan_determinismE0ELb0ELb0ES3_N6thrust23THRUST_200600_302600_NS6detail15normal_iteratorINS9_10device_ptrIyEEEESE_y11max_functorIyEyEEDaPvRmT3_T4_T5_mT6_P12ihipStream_tbENKUlT_T0_E_clISt17integral_constantIbLb0EEST_IbLb1EEEEDaSP_SQ_EUlSP_E_NS1_11comp_targetILNS1_3genE2ELNS1_11target_archE906ELNS1_3gpuE6ELNS1_3repE0EEENS1_30default_config_static_selectorELNS0_4arch9wavefront6targetE1EEEvT1_
	.globl	_ZN7rocprim17ROCPRIM_400000_NS6detail17trampoline_kernelINS0_14default_configENS1_20scan_config_selectorIyEEZZNS1_9scan_implILNS1_25lookback_scan_determinismE0ELb0ELb0ES3_N6thrust23THRUST_200600_302600_NS6detail15normal_iteratorINS9_10device_ptrIyEEEESE_y11max_functorIyEyEEDaPvRmT3_T4_T5_mT6_P12ihipStream_tbENKUlT_T0_E_clISt17integral_constantIbLb0EEST_IbLb1EEEEDaSP_SQ_EUlSP_E_NS1_11comp_targetILNS1_3genE2ELNS1_11target_archE906ELNS1_3gpuE6ELNS1_3repE0EEENS1_30default_config_static_selectorELNS0_4arch9wavefront6targetE1EEEvT1_
	.p2align	8
	.type	_ZN7rocprim17ROCPRIM_400000_NS6detail17trampoline_kernelINS0_14default_configENS1_20scan_config_selectorIyEEZZNS1_9scan_implILNS1_25lookback_scan_determinismE0ELb0ELb0ES3_N6thrust23THRUST_200600_302600_NS6detail15normal_iteratorINS9_10device_ptrIyEEEESE_y11max_functorIyEyEEDaPvRmT3_T4_T5_mT6_P12ihipStream_tbENKUlT_T0_E_clISt17integral_constantIbLb0EEST_IbLb1EEEEDaSP_SQ_EUlSP_E_NS1_11comp_targetILNS1_3genE2ELNS1_11target_archE906ELNS1_3gpuE6ELNS1_3repE0EEENS1_30default_config_static_selectorELNS0_4arch9wavefront6targetE1EEEvT1_,@function
_ZN7rocprim17ROCPRIM_400000_NS6detail17trampoline_kernelINS0_14default_configENS1_20scan_config_selectorIyEEZZNS1_9scan_implILNS1_25lookback_scan_determinismE0ELb0ELb0ES3_N6thrust23THRUST_200600_302600_NS6detail15normal_iteratorINS9_10device_ptrIyEEEESE_y11max_functorIyEyEEDaPvRmT3_T4_T5_mT6_P12ihipStream_tbENKUlT_T0_E_clISt17integral_constantIbLb0EEST_IbLb1EEEEDaSP_SQ_EUlSP_E_NS1_11comp_targetILNS1_3genE2ELNS1_11target_archE906ELNS1_3gpuE6ELNS1_3repE0EEENS1_30default_config_static_selectorELNS0_4arch9wavefront6targetE1EEEvT1_: ; @_ZN7rocprim17ROCPRIM_400000_NS6detail17trampoline_kernelINS0_14default_configENS1_20scan_config_selectorIyEEZZNS1_9scan_implILNS1_25lookback_scan_determinismE0ELb0ELb0ES3_N6thrust23THRUST_200600_302600_NS6detail15normal_iteratorINS9_10device_ptrIyEEEESE_y11max_functorIyEyEEDaPvRmT3_T4_T5_mT6_P12ihipStream_tbENKUlT_T0_E_clISt17integral_constantIbLb0EEST_IbLb1EEEEDaSP_SQ_EUlSP_E_NS1_11comp_targetILNS1_3genE2ELNS1_11target_archE906ELNS1_3gpuE6ELNS1_3repE0EEENS1_30default_config_static_selectorELNS0_4arch9wavefront6targetE1EEEvT1_
; %bb.0:
	.section	.rodata,"a",@progbits
	.p2align	6, 0x0
	.amdhsa_kernel _ZN7rocprim17ROCPRIM_400000_NS6detail17trampoline_kernelINS0_14default_configENS1_20scan_config_selectorIyEEZZNS1_9scan_implILNS1_25lookback_scan_determinismE0ELb0ELb0ES3_N6thrust23THRUST_200600_302600_NS6detail15normal_iteratorINS9_10device_ptrIyEEEESE_y11max_functorIyEyEEDaPvRmT3_T4_T5_mT6_P12ihipStream_tbENKUlT_T0_E_clISt17integral_constantIbLb0EEST_IbLb1EEEEDaSP_SQ_EUlSP_E_NS1_11comp_targetILNS1_3genE2ELNS1_11target_archE906ELNS1_3gpuE6ELNS1_3repE0EEENS1_30default_config_static_selectorELNS0_4arch9wavefront6targetE1EEEvT1_
		.amdhsa_group_segment_fixed_size 0
		.amdhsa_private_segment_fixed_size 0
		.amdhsa_kernarg_size 104
		.amdhsa_user_sgpr_count 6
		.amdhsa_user_sgpr_private_segment_buffer 1
		.amdhsa_user_sgpr_dispatch_ptr 0
		.amdhsa_user_sgpr_queue_ptr 0
		.amdhsa_user_sgpr_kernarg_segment_ptr 1
		.amdhsa_user_sgpr_dispatch_id 0
		.amdhsa_user_sgpr_flat_scratch_init 0
		.amdhsa_user_sgpr_kernarg_preload_length 0
		.amdhsa_user_sgpr_kernarg_preload_offset 0
		.amdhsa_user_sgpr_private_segment_size 0
		.amdhsa_uses_dynamic_stack 0
		.amdhsa_system_sgpr_private_segment_wavefront_offset 0
		.amdhsa_system_sgpr_workgroup_id_x 1
		.amdhsa_system_sgpr_workgroup_id_y 0
		.amdhsa_system_sgpr_workgroup_id_z 0
		.amdhsa_system_sgpr_workgroup_info 0
		.amdhsa_system_vgpr_workitem_id 0
		.amdhsa_next_free_vgpr 1
		.amdhsa_next_free_sgpr 0
		.amdhsa_accum_offset 4
		.amdhsa_reserve_vcc 0
		.amdhsa_reserve_flat_scratch 0
		.amdhsa_float_round_mode_32 0
		.amdhsa_float_round_mode_16_64 0
		.amdhsa_float_denorm_mode_32 3
		.amdhsa_float_denorm_mode_16_64 3
		.amdhsa_dx10_clamp 1
		.amdhsa_ieee_mode 1
		.amdhsa_fp16_overflow 0
		.amdhsa_tg_split 0
		.amdhsa_exception_fp_ieee_invalid_op 0
		.amdhsa_exception_fp_denorm_src 0
		.amdhsa_exception_fp_ieee_div_zero 0
		.amdhsa_exception_fp_ieee_overflow 0
		.amdhsa_exception_fp_ieee_underflow 0
		.amdhsa_exception_fp_ieee_inexact 0
		.amdhsa_exception_int_div_zero 0
	.end_amdhsa_kernel
	.section	.text._ZN7rocprim17ROCPRIM_400000_NS6detail17trampoline_kernelINS0_14default_configENS1_20scan_config_selectorIyEEZZNS1_9scan_implILNS1_25lookback_scan_determinismE0ELb0ELb0ES3_N6thrust23THRUST_200600_302600_NS6detail15normal_iteratorINS9_10device_ptrIyEEEESE_y11max_functorIyEyEEDaPvRmT3_T4_T5_mT6_P12ihipStream_tbENKUlT_T0_E_clISt17integral_constantIbLb0EEST_IbLb1EEEEDaSP_SQ_EUlSP_E_NS1_11comp_targetILNS1_3genE2ELNS1_11target_archE906ELNS1_3gpuE6ELNS1_3repE0EEENS1_30default_config_static_selectorELNS0_4arch9wavefront6targetE1EEEvT1_,"axG",@progbits,_ZN7rocprim17ROCPRIM_400000_NS6detail17trampoline_kernelINS0_14default_configENS1_20scan_config_selectorIyEEZZNS1_9scan_implILNS1_25lookback_scan_determinismE0ELb0ELb0ES3_N6thrust23THRUST_200600_302600_NS6detail15normal_iteratorINS9_10device_ptrIyEEEESE_y11max_functorIyEyEEDaPvRmT3_T4_T5_mT6_P12ihipStream_tbENKUlT_T0_E_clISt17integral_constantIbLb0EEST_IbLb1EEEEDaSP_SQ_EUlSP_E_NS1_11comp_targetILNS1_3genE2ELNS1_11target_archE906ELNS1_3gpuE6ELNS1_3repE0EEENS1_30default_config_static_selectorELNS0_4arch9wavefront6targetE1EEEvT1_,comdat
.Lfunc_end2158:
	.size	_ZN7rocprim17ROCPRIM_400000_NS6detail17trampoline_kernelINS0_14default_configENS1_20scan_config_selectorIyEEZZNS1_9scan_implILNS1_25lookback_scan_determinismE0ELb0ELb0ES3_N6thrust23THRUST_200600_302600_NS6detail15normal_iteratorINS9_10device_ptrIyEEEESE_y11max_functorIyEyEEDaPvRmT3_T4_T5_mT6_P12ihipStream_tbENKUlT_T0_E_clISt17integral_constantIbLb0EEST_IbLb1EEEEDaSP_SQ_EUlSP_E_NS1_11comp_targetILNS1_3genE2ELNS1_11target_archE906ELNS1_3gpuE6ELNS1_3repE0EEENS1_30default_config_static_selectorELNS0_4arch9wavefront6targetE1EEEvT1_, .Lfunc_end2158-_ZN7rocprim17ROCPRIM_400000_NS6detail17trampoline_kernelINS0_14default_configENS1_20scan_config_selectorIyEEZZNS1_9scan_implILNS1_25lookback_scan_determinismE0ELb0ELb0ES3_N6thrust23THRUST_200600_302600_NS6detail15normal_iteratorINS9_10device_ptrIyEEEESE_y11max_functorIyEyEEDaPvRmT3_T4_T5_mT6_P12ihipStream_tbENKUlT_T0_E_clISt17integral_constantIbLb0EEST_IbLb1EEEEDaSP_SQ_EUlSP_E_NS1_11comp_targetILNS1_3genE2ELNS1_11target_archE906ELNS1_3gpuE6ELNS1_3repE0EEENS1_30default_config_static_selectorELNS0_4arch9wavefront6targetE1EEEvT1_
                                        ; -- End function
	.section	.AMDGPU.csdata,"",@progbits
; Kernel info:
; codeLenInByte = 0
; NumSgprs: 4
; NumVgprs: 0
; NumAgprs: 0
; TotalNumVgprs: 0
; ScratchSize: 0
; MemoryBound: 0
; FloatMode: 240
; IeeeMode: 1
; LDSByteSize: 0 bytes/workgroup (compile time only)
; SGPRBlocks: 0
; VGPRBlocks: 0
; NumSGPRsForWavesPerEU: 4
; NumVGPRsForWavesPerEU: 1
; AccumOffset: 4
; Occupancy: 8
; WaveLimiterHint : 0
; COMPUTE_PGM_RSRC2:SCRATCH_EN: 0
; COMPUTE_PGM_RSRC2:USER_SGPR: 6
; COMPUTE_PGM_RSRC2:TRAP_HANDLER: 0
; COMPUTE_PGM_RSRC2:TGID_X_EN: 1
; COMPUTE_PGM_RSRC2:TGID_Y_EN: 0
; COMPUTE_PGM_RSRC2:TGID_Z_EN: 0
; COMPUTE_PGM_RSRC2:TIDIG_COMP_CNT: 0
; COMPUTE_PGM_RSRC3_GFX90A:ACCUM_OFFSET: 0
; COMPUTE_PGM_RSRC3_GFX90A:TG_SPLIT: 0
	.section	.text._ZN7rocprim17ROCPRIM_400000_NS6detail17trampoline_kernelINS0_14default_configENS1_20scan_config_selectorIyEEZZNS1_9scan_implILNS1_25lookback_scan_determinismE0ELb0ELb0ES3_N6thrust23THRUST_200600_302600_NS6detail15normal_iteratorINS9_10device_ptrIyEEEESE_y11max_functorIyEyEEDaPvRmT3_T4_T5_mT6_P12ihipStream_tbENKUlT_T0_E_clISt17integral_constantIbLb0EEST_IbLb1EEEEDaSP_SQ_EUlSP_E_NS1_11comp_targetILNS1_3genE10ELNS1_11target_archE1201ELNS1_3gpuE5ELNS1_3repE0EEENS1_30default_config_static_selectorELNS0_4arch9wavefront6targetE1EEEvT1_,"axG",@progbits,_ZN7rocprim17ROCPRIM_400000_NS6detail17trampoline_kernelINS0_14default_configENS1_20scan_config_selectorIyEEZZNS1_9scan_implILNS1_25lookback_scan_determinismE0ELb0ELb0ES3_N6thrust23THRUST_200600_302600_NS6detail15normal_iteratorINS9_10device_ptrIyEEEESE_y11max_functorIyEyEEDaPvRmT3_T4_T5_mT6_P12ihipStream_tbENKUlT_T0_E_clISt17integral_constantIbLb0EEST_IbLb1EEEEDaSP_SQ_EUlSP_E_NS1_11comp_targetILNS1_3genE10ELNS1_11target_archE1201ELNS1_3gpuE5ELNS1_3repE0EEENS1_30default_config_static_selectorELNS0_4arch9wavefront6targetE1EEEvT1_,comdat
	.protected	_ZN7rocprim17ROCPRIM_400000_NS6detail17trampoline_kernelINS0_14default_configENS1_20scan_config_selectorIyEEZZNS1_9scan_implILNS1_25lookback_scan_determinismE0ELb0ELb0ES3_N6thrust23THRUST_200600_302600_NS6detail15normal_iteratorINS9_10device_ptrIyEEEESE_y11max_functorIyEyEEDaPvRmT3_T4_T5_mT6_P12ihipStream_tbENKUlT_T0_E_clISt17integral_constantIbLb0EEST_IbLb1EEEEDaSP_SQ_EUlSP_E_NS1_11comp_targetILNS1_3genE10ELNS1_11target_archE1201ELNS1_3gpuE5ELNS1_3repE0EEENS1_30default_config_static_selectorELNS0_4arch9wavefront6targetE1EEEvT1_ ; -- Begin function _ZN7rocprim17ROCPRIM_400000_NS6detail17trampoline_kernelINS0_14default_configENS1_20scan_config_selectorIyEEZZNS1_9scan_implILNS1_25lookback_scan_determinismE0ELb0ELb0ES3_N6thrust23THRUST_200600_302600_NS6detail15normal_iteratorINS9_10device_ptrIyEEEESE_y11max_functorIyEyEEDaPvRmT3_T4_T5_mT6_P12ihipStream_tbENKUlT_T0_E_clISt17integral_constantIbLb0EEST_IbLb1EEEEDaSP_SQ_EUlSP_E_NS1_11comp_targetILNS1_3genE10ELNS1_11target_archE1201ELNS1_3gpuE5ELNS1_3repE0EEENS1_30default_config_static_selectorELNS0_4arch9wavefront6targetE1EEEvT1_
	.globl	_ZN7rocprim17ROCPRIM_400000_NS6detail17trampoline_kernelINS0_14default_configENS1_20scan_config_selectorIyEEZZNS1_9scan_implILNS1_25lookback_scan_determinismE0ELb0ELb0ES3_N6thrust23THRUST_200600_302600_NS6detail15normal_iteratorINS9_10device_ptrIyEEEESE_y11max_functorIyEyEEDaPvRmT3_T4_T5_mT6_P12ihipStream_tbENKUlT_T0_E_clISt17integral_constantIbLb0EEST_IbLb1EEEEDaSP_SQ_EUlSP_E_NS1_11comp_targetILNS1_3genE10ELNS1_11target_archE1201ELNS1_3gpuE5ELNS1_3repE0EEENS1_30default_config_static_selectorELNS0_4arch9wavefront6targetE1EEEvT1_
	.p2align	8
	.type	_ZN7rocprim17ROCPRIM_400000_NS6detail17trampoline_kernelINS0_14default_configENS1_20scan_config_selectorIyEEZZNS1_9scan_implILNS1_25lookback_scan_determinismE0ELb0ELb0ES3_N6thrust23THRUST_200600_302600_NS6detail15normal_iteratorINS9_10device_ptrIyEEEESE_y11max_functorIyEyEEDaPvRmT3_T4_T5_mT6_P12ihipStream_tbENKUlT_T0_E_clISt17integral_constantIbLb0EEST_IbLb1EEEEDaSP_SQ_EUlSP_E_NS1_11comp_targetILNS1_3genE10ELNS1_11target_archE1201ELNS1_3gpuE5ELNS1_3repE0EEENS1_30default_config_static_selectorELNS0_4arch9wavefront6targetE1EEEvT1_,@function
_ZN7rocprim17ROCPRIM_400000_NS6detail17trampoline_kernelINS0_14default_configENS1_20scan_config_selectorIyEEZZNS1_9scan_implILNS1_25lookback_scan_determinismE0ELb0ELb0ES3_N6thrust23THRUST_200600_302600_NS6detail15normal_iteratorINS9_10device_ptrIyEEEESE_y11max_functorIyEyEEDaPvRmT3_T4_T5_mT6_P12ihipStream_tbENKUlT_T0_E_clISt17integral_constantIbLb0EEST_IbLb1EEEEDaSP_SQ_EUlSP_E_NS1_11comp_targetILNS1_3genE10ELNS1_11target_archE1201ELNS1_3gpuE5ELNS1_3repE0EEENS1_30default_config_static_selectorELNS0_4arch9wavefront6targetE1EEEvT1_: ; @_ZN7rocprim17ROCPRIM_400000_NS6detail17trampoline_kernelINS0_14default_configENS1_20scan_config_selectorIyEEZZNS1_9scan_implILNS1_25lookback_scan_determinismE0ELb0ELb0ES3_N6thrust23THRUST_200600_302600_NS6detail15normal_iteratorINS9_10device_ptrIyEEEESE_y11max_functorIyEyEEDaPvRmT3_T4_T5_mT6_P12ihipStream_tbENKUlT_T0_E_clISt17integral_constantIbLb0EEST_IbLb1EEEEDaSP_SQ_EUlSP_E_NS1_11comp_targetILNS1_3genE10ELNS1_11target_archE1201ELNS1_3gpuE5ELNS1_3repE0EEENS1_30default_config_static_selectorELNS0_4arch9wavefront6targetE1EEEvT1_
; %bb.0:
	.section	.rodata,"a",@progbits
	.p2align	6, 0x0
	.amdhsa_kernel _ZN7rocprim17ROCPRIM_400000_NS6detail17trampoline_kernelINS0_14default_configENS1_20scan_config_selectorIyEEZZNS1_9scan_implILNS1_25lookback_scan_determinismE0ELb0ELb0ES3_N6thrust23THRUST_200600_302600_NS6detail15normal_iteratorINS9_10device_ptrIyEEEESE_y11max_functorIyEyEEDaPvRmT3_T4_T5_mT6_P12ihipStream_tbENKUlT_T0_E_clISt17integral_constantIbLb0EEST_IbLb1EEEEDaSP_SQ_EUlSP_E_NS1_11comp_targetILNS1_3genE10ELNS1_11target_archE1201ELNS1_3gpuE5ELNS1_3repE0EEENS1_30default_config_static_selectorELNS0_4arch9wavefront6targetE1EEEvT1_
		.amdhsa_group_segment_fixed_size 0
		.amdhsa_private_segment_fixed_size 0
		.amdhsa_kernarg_size 104
		.amdhsa_user_sgpr_count 6
		.amdhsa_user_sgpr_private_segment_buffer 1
		.amdhsa_user_sgpr_dispatch_ptr 0
		.amdhsa_user_sgpr_queue_ptr 0
		.amdhsa_user_sgpr_kernarg_segment_ptr 1
		.amdhsa_user_sgpr_dispatch_id 0
		.amdhsa_user_sgpr_flat_scratch_init 0
		.amdhsa_user_sgpr_kernarg_preload_length 0
		.amdhsa_user_sgpr_kernarg_preload_offset 0
		.amdhsa_user_sgpr_private_segment_size 0
		.amdhsa_uses_dynamic_stack 0
		.amdhsa_system_sgpr_private_segment_wavefront_offset 0
		.amdhsa_system_sgpr_workgroup_id_x 1
		.amdhsa_system_sgpr_workgroup_id_y 0
		.amdhsa_system_sgpr_workgroup_id_z 0
		.amdhsa_system_sgpr_workgroup_info 0
		.amdhsa_system_vgpr_workitem_id 0
		.amdhsa_next_free_vgpr 1
		.amdhsa_next_free_sgpr 0
		.amdhsa_accum_offset 4
		.amdhsa_reserve_vcc 0
		.amdhsa_reserve_flat_scratch 0
		.amdhsa_float_round_mode_32 0
		.amdhsa_float_round_mode_16_64 0
		.amdhsa_float_denorm_mode_32 3
		.amdhsa_float_denorm_mode_16_64 3
		.amdhsa_dx10_clamp 1
		.amdhsa_ieee_mode 1
		.amdhsa_fp16_overflow 0
		.amdhsa_tg_split 0
		.amdhsa_exception_fp_ieee_invalid_op 0
		.amdhsa_exception_fp_denorm_src 0
		.amdhsa_exception_fp_ieee_div_zero 0
		.amdhsa_exception_fp_ieee_overflow 0
		.amdhsa_exception_fp_ieee_underflow 0
		.amdhsa_exception_fp_ieee_inexact 0
		.amdhsa_exception_int_div_zero 0
	.end_amdhsa_kernel
	.section	.text._ZN7rocprim17ROCPRIM_400000_NS6detail17trampoline_kernelINS0_14default_configENS1_20scan_config_selectorIyEEZZNS1_9scan_implILNS1_25lookback_scan_determinismE0ELb0ELb0ES3_N6thrust23THRUST_200600_302600_NS6detail15normal_iteratorINS9_10device_ptrIyEEEESE_y11max_functorIyEyEEDaPvRmT3_T4_T5_mT6_P12ihipStream_tbENKUlT_T0_E_clISt17integral_constantIbLb0EEST_IbLb1EEEEDaSP_SQ_EUlSP_E_NS1_11comp_targetILNS1_3genE10ELNS1_11target_archE1201ELNS1_3gpuE5ELNS1_3repE0EEENS1_30default_config_static_selectorELNS0_4arch9wavefront6targetE1EEEvT1_,"axG",@progbits,_ZN7rocprim17ROCPRIM_400000_NS6detail17trampoline_kernelINS0_14default_configENS1_20scan_config_selectorIyEEZZNS1_9scan_implILNS1_25lookback_scan_determinismE0ELb0ELb0ES3_N6thrust23THRUST_200600_302600_NS6detail15normal_iteratorINS9_10device_ptrIyEEEESE_y11max_functorIyEyEEDaPvRmT3_T4_T5_mT6_P12ihipStream_tbENKUlT_T0_E_clISt17integral_constantIbLb0EEST_IbLb1EEEEDaSP_SQ_EUlSP_E_NS1_11comp_targetILNS1_3genE10ELNS1_11target_archE1201ELNS1_3gpuE5ELNS1_3repE0EEENS1_30default_config_static_selectorELNS0_4arch9wavefront6targetE1EEEvT1_,comdat
.Lfunc_end2159:
	.size	_ZN7rocprim17ROCPRIM_400000_NS6detail17trampoline_kernelINS0_14default_configENS1_20scan_config_selectorIyEEZZNS1_9scan_implILNS1_25lookback_scan_determinismE0ELb0ELb0ES3_N6thrust23THRUST_200600_302600_NS6detail15normal_iteratorINS9_10device_ptrIyEEEESE_y11max_functorIyEyEEDaPvRmT3_T4_T5_mT6_P12ihipStream_tbENKUlT_T0_E_clISt17integral_constantIbLb0EEST_IbLb1EEEEDaSP_SQ_EUlSP_E_NS1_11comp_targetILNS1_3genE10ELNS1_11target_archE1201ELNS1_3gpuE5ELNS1_3repE0EEENS1_30default_config_static_selectorELNS0_4arch9wavefront6targetE1EEEvT1_, .Lfunc_end2159-_ZN7rocprim17ROCPRIM_400000_NS6detail17trampoline_kernelINS0_14default_configENS1_20scan_config_selectorIyEEZZNS1_9scan_implILNS1_25lookback_scan_determinismE0ELb0ELb0ES3_N6thrust23THRUST_200600_302600_NS6detail15normal_iteratorINS9_10device_ptrIyEEEESE_y11max_functorIyEyEEDaPvRmT3_T4_T5_mT6_P12ihipStream_tbENKUlT_T0_E_clISt17integral_constantIbLb0EEST_IbLb1EEEEDaSP_SQ_EUlSP_E_NS1_11comp_targetILNS1_3genE10ELNS1_11target_archE1201ELNS1_3gpuE5ELNS1_3repE0EEENS1_30default_config_static_selectorELNS0_4arch9wavefront6targetE1EEEvT1_
                                        ; -- End function
	.section	.AMDGPU.csdata,"",@progbits
; Kernel info:
; codeLenInByte = 0
; NumSgprs: 4
; NumVgprs: 0
; NumAgprs: 0
; TotalNumVgprs: 0
; ScratchSize: 0
; MemoryBound: 0
; FloatMode: 240
; IeeeMode: 1
; LDSByteSize: 0 bytes/workgroup (compile time only)
; SGPRBlocks: 0
; VGPRBlocks: 0
; NumSGPRsForWavesPerEU: 4
; NumVGPRsForWavesPerEU: 1
; AccumOffset: 4
; Occupancy: 8
; WaveLimiterHint : 0
; COMPUTE_PGM_RSRC2:SCRATCH_EN: 0
; COMPUTE_PGM_RSRC2:USER_SGPR: 6
; COMPUTE_PGM_RSRC2:TRAP_HANDLER: 0
; COMPUTE_PGM_RSRC2:TGID_X_EN: 1
; COMPUTE_PGM_RSRC2:TGID_Y_EN: 0
; COMPUTE_PGM_RSRC2:TGID_Z_EN: 0
; COMPUTE_PGM_RSRC2:TIDIG_COMP_CNT: 0
; COMPUTE_PGM_RSRC3_GFX90A:ACCUM_OFFSET: 0
; COMPUTE_PGM_RSRC3_GFX90A:TG_SPLIT: 0
	.section	.text._ZN7rocprim17ROCPRIM_400000_NS6detail17trampoline_kernelINS0_14default_configENS1_20scan_config_selectorIyEEZZNS1_9scan_implILNS1_25lookback_scan_determinismE0ELb0ELb0ES3_N6thrust23THRUST_200600_302600_NS6detail15normal_iteratorINS9_10device_ptrIyEEEESE_y11max_functorIyEyEEDaPvRmT3_T4_T5_mT6_P12ihipStream_tbENKUlT_T0_E_clISt17integral_constantIbLb0EEST_IbLb1EEEEDaSP_SQ_EUlSP_E_NS1_11comp_targetILNS1_3genE10ELNS1_11target_archE1200ELNS1_3gpuE4ELNS1_3repE0EEENS1_30default_config_static_selectorELNS0_4arch9wavefront6targetE1EEEvT1_,"axG",@progbits,_ZN7rocprim17ROCPRIM_400000_NS6detail17trampoline_kernelINS0_14default_configENS1_20scan_config_selectorIyEEZZNS1_9scan_implILNS1_25lookback_scan_determinismE0ELb0ELb0ES3_N6thrust23THRUST_200600_302600_NS6detail15normal_iteratorINS9_10device_ptrIyEEEESE_y11max_functorIyEyEEDaPvRmT3_T4_T5_mT6_P12ihipStream_tbENKUlT_T0_E_clISt17integral_constantIbLb0EEST_IbLb1EEEEDaSP_SQ_EUlSP_E_NS1_11comp_targetILNS1_3genE10ELNS1_11target_archE1200ELNS1_3gpuE4ELNS1_3repE0EEENS1_30default_config_static_selectorELNS0_4arch9wavefront6targetE1EEEvT1_,comdat
	.protected	_ZN7rocprim17ROCPRIM_400000_NS6detail17trampoline_kernelINS0_14default_configENS1_20scan_config_selectorIyEEZZNS1_9scan_implILNS1_25lookback_scan_determinismE0ELb0ELb0ES3_N6thrust23THRUST_200600_302600_NS6detail15normal_iteratorINS9_10device_ptrIyEEEESE_y11max_functorIyEyEEDaPvRmT3_T4_T5_mT6_P12ihipStream_tbENKUlT_T0_E_clISt17integral_constantIbLb0EEST_IbLb1EEEEDaSP_SQ_EUlSP_E_NS1_11comp_targetILNS1_3genE10ELNS1_11target_archE1200ELNS1_3gpuE4ELNS1_3repE0EEENS1_30default_config_static_selectorELNS0_4arch9wavefront6targetE1EEEvT1_ ; -- Begin function _ZN7rocprim17ROCPRIM_400000_NS6detail17trampoline_kernelINS0_14default_configENS1_20scan_config_selectorIyEEZZNS1_9scan_implILNS1_25lookback_scan_determinismE0ELb0ELb0ES3_N6thrust23THRUST_200600_302600_NS6detail15normal_iteratorINS9_10device_ptrIyEEEESE_y11max_functorIyEyEEDaPvRmT3_T4_T5_mT6_P12ihipStream_tbENKUlT_T0_E_clISt17integral_constantIbLb0EEST_IbLb1EEEEDaSP_SQ_EUlSP_E_NS1_11comp_targetILNS1_3genE10ELNS1_11target_archE1200ELNS1_3gpuE4ELNS1_3repE0EEENS1_30default_config_static_selectorELNS0_4arch9wavefront6targetE1EEEvT1_
	.globl	_ZN7rocprim17ROCPRIM_400000_NS6detail17trampoline_kernelINS0_14default_configENS1_20scan_config_selectorIyEEZZNS1_9scan_implILNS1_25lookback_scan_determinismE0ELb0ELb0ES3_N6thrust23THRUST_200600_302600_NS6detail15normal_iteratorINS9_10device_ptrIyEEEESE_y11max_functorIyEyEEDaPvRmT3_T4_T5_mT6_P12ihipStream_tbENKUlT_T0_E_clISt17integral_constantIbLb0EEST_IbLb1EEEEDaSP_SQ_EUlSP_E_NS1_11comp_targetILNS1_3genE10ELNS1_11target_archE1200ELNS1_3gpuE4ELNS1_3repE0EEENS1_30default_config_static_selectorELNS0_4arch9wavefront6targetE1EEEvT1_
	.p2align	8
	.type	_ZN7rocprim17ROCPRIM_400000_NS6detail17trampoline_kernelINS0_14default_configENS1_20scan_config_selectorIyEEZZNS1_9scan_implILNS1_25lookback_scan_determinismE0ELb0ELb0ES3_N6thrust23THRUST_200600_302600_NS6detail15normal_iteratorINS9_10device_ptrIyEEEESE_y11max_functorIyEyEEDaPvRmT3_T4_T5_mT6_P12ihipStream_tbENKUlT_T0_E_clISt17integral_constantIbLb0EEST_IbLb1EEEEDaSP_SQ_EUlSP_E_NS1_11comp_targetILNS1_3genE10ELNS1_11target_archE1200ELNS1_3gpuE4ELNS1_3repE0EEENS1_30default_config_static_selectorELNS0_4arch9wavefront6targetE1EEEvT1_,@function
_ZN7rocprim17ROCPRIM_400000_NS6detail17trampoline_kernelINS0_14default_configENS1_20scan_config_selectorIyEEZZNS1_9scan_implILNS1_25lookback_scan_determinismE0ELb0ELb0ES3_N6thrust23THRUST_200600_302600_NS6detail15normal_iteratorINS9_10device_ptrIyEEEESE_y11max_functorIyEyEEDaPvRmT3_T4_T5_mT6_P12ihipStream_tbENKUlT_T0_E_clISt17integral_constantIbLb0EEST_IbLb1EEEEDaSP_SQ_EUlSP_E_NS1_11comp_targetILNS1_3genE10ELNS1_11target_archE1200ELNS1_3gpuE4ELNS1_3repE0EEENS1_30default_config_static_selectorELNS0_4arch9wavefront6targetE1EEEvT1_: ; @_ZN7rocprim17ROCPRIM_400000_NS6detail17trampoline_kernelINS0_14default_configENS1_20scan_config_selectorIyEEZZNS1_9scan_implILNS1_25lookback_scan_determinismE0ELb0ELb0ES3_N6thrust23THRUST_200600_302600_NS6detail15normal_iteratorINS9_10device_ptrIyEEEESE_y11max_functorIyEyEEDaPvRmT3_T4_T5_mT6_P12ihipStream_tbENKUlT_T0_E_clISt17integral_constantIbLb0EEST_IbLb1EEEEDaSP_SQ_EUlSP_E_NS1_11comp_targetILNS1_3genE10ELNS1_11target_archE1200ELNS1_3gpuE4ELNS1_3repE0EEENS1_30default_config_static_selectorELNS0_4arch9wavefront6targetE1EEEvT1_
; %bb.0:
	.section	.rodata,"a",@progbits
	.p2align	6, 0x0
	.amdhsa_kernel _ZN7rocprim17ROCPRIM_400000_NS6detail17trampoline_kernelINS0_14default_configENS1_20scan_config_selectorIyEEZZNS1_9scan_implILNS1_25lookback_scan_determinismE0ELb0ELb0ES3_N6thrust23THRUST_200600_302600_NS6detail15normal_iteratorINS9_10device_ptrIyEEEESE_y11max_functorIyEyEEDaPvRmT3_T4_T5_mT6_P12ihipStream_tbENKUlT_T0_E_clISt17integral_constantIbLb0EEST_IbLb1EEEEDaSP_SQ_EUlSP_E_NS1_11comp_targetILNS1_3genE10ELNS1_11target_archE1200ELNS1_3gpuE4ELNS1_3repE0EEENS1_30default_config_static_selectorELNS0_4arch9wavefront6targetE1EEEvT1_
		.amdhsa_group_segment_fixed_size 0
		.amdhsa_private_segment_fixed_size 0
		.amdhsa_kernarg_size 104
		.amdhsa_user_sgpr_count 6
		.amdhsa_user_sgpr_private_segment_buffer 1
		.amdhsa_user_sgpr_dispatch_ptr 0
		.amdhsa_user_sgpr_queue_ptr 0
		.amdhsa_user_sgpr_kernarg_segment_ptr 1
		.amdhsa_user_sgpr_dispatch_id 0
		.amdhsa_user_sgpr_flat_scratch_init 0
		.amdhsa_user_sgpr_kernarg_preload_length 0
		.amdhsa_user_sgpr_kernarg_preload_offset 0
		.amdhsa_user_sgpr_private_segment_size 0
		.amdhsa_uses_dynamic_stack 0
		.amdhsa_system_sgpr_private_segment_wavefront_offset 0
		.amdhsa_system_sgpr_workgroup_id_x 1
		.amdhsa_system_sgpr_workgroup_id_y 0
		.amdhsa_system_sgpr_workgroup_id_z 0
		.amdhsa_system_sgpr_workgroup_info 0
		.amdhsa_system_vgpr_workitem_id 0
		.amdhsa_next_free_vgpr 1
		.amdhsa_next_free_sgpr 0
		.amdhsa_accum_offset 4
		.amdhsa_reserve_vcc 0
		.amdhsa_reserve_flat_scratch 0
		.amdhsa_float_round_mode_32 0
		.amdhsa_float_round_mode_16_64 0
		.amdhsa_float_denorm_mode_32 3
		.amdhsa_float_denorm_mode_16_64 3
		.amdhsa_dx10_clamp 1
		.amdhsa_ieee_mode 1
		.amdhsa_fp16_overflow 0
		.amdhsa_tg_split 0
		.amdhsa_exception_fp_ieee_invalid_op 0
		.amdhsa_exception_fp_denorm_src 0
		.amdhsa_exception_fp_ieee_div_zero 0
		.amdhsa_exception_fp_ieee_overflow 0
		.amdhsa_exception_fp_ieee_underflow 0
		.amdhsa_exception_fp_ieee_inexact 0
		.amdhsa_exception_int_div_zero 0
	.end_amdhsa_kernel
	.section	.text._ZN7rocprim17ROCPRIM_400000_NS6detail17trampoline_kernelINS0_14default_configENS1_20scan_config_selectorIyEEZZNS1_9scan_implILNS1_25lookback_scan_determinismE0ELb0ELb0ES3_N6thrust23THRUST_200600_302600_NS6detail15normal_iteratorINS9_10device_ptrIyEEEESE_y11max_functorIyEyEEDaPvRmT3_T4_T5_mT6_P12ihipStream_tbENKUlT_T0_E_clISt17integral_constantIbLb0EEST_IbLb1EEEEDaSP_SQ_EUlSP_E_NS1_11comp_targetILNS1_3genE10ELNS1_11target_archE1200ELNS1_3gpuE4ELNS1_3repE0EEENS1_30default_config_static_selectorELNS0_4arch9wavefront6targetE1EEEvT1_,"axG",@progbits,_ZN7rocprim17ROCPRIM_400000_NS6detail17trampoline_kernelINS0_14default_configENS1_20scan_config_selectorIyEEZZNS1_9scan_implILNS1_25lookback_scan_determinismE0ELb0ELb0ES3_N6thrust23THRUST_200600_302600_NS6detail15normal_iteratorINS9_10device_ptrIyEEEESE_y11max_functorIyEyEEDaPvRmT3_T4_T5_mT6_P12ihipStream_tbENKUlT_T0_E_clISt17integral_constantIbLb0EEST_IbLb1EEEEDaSP_SQ_EUlSP_E_NS1_11comp_targetILNS1_3genE10ELNS1_11target_archE1200ELNS1_3gpuE4ELNS1_3repE0EEENS1_30default_config_static_selectorELNS0_4arch9wavefront6targetE1EEEvT1_,comdat
.Lfunc_end2160:
	.size	_ZN7rocprim17ROCPRIM_400000_NS6detail17trampoline_kernelINS0_14default_configENS1_20scan_config_selectorIyEEZZNS1_9scan_implILNS1_25lookback_scan_determinismE0ELb0ELb0ES3_N6thrust23THRUST_200600_302600_NS6detail15normal_iteratorINS9_10device_ptrIyEEEESE_y11max_functorIyEyEEDaPvRmT3_T4_T5_mT6_P12ihipStream_tbENKUlT_T0_E_clISt17integral_constantIbLb0EEST_IbLb1EEEEDaSP_SQ_EUlSP_E_NS1_11comp_targetILNS1_3genE10ELNS1_11target_archE1200ELNS1_3gpuE4ELNS1_3repE0EEENS1_30default_config_static_selectorELNS0_4arch9wavefront6targetE1EEEvT1_, .Lfunc_end2160-_ZN7rocprim17ROCPRIM_400000_NS6detail17trampoline_kernelINS0_14default_configENS1_20scan_config_selectorIyEEZZNS1_9scan_implILNS1_25lookback_scan_determinismE0ELb0ELb0ES3_N6thrust23THRUST_200600_302600_NS6detail15normal_iteratorINS9_10device_ptrIyEEEESE_y11max_functorIyEyEEDaPvRmT3_T4_T5_mT6_P12ihipStream_tbENKUlT_T0_E_clISt17integral_constantIbLb0EEST_IbLb1EEEEDaSP_SQ_EUlSP_E_NS1_11comp_targetILNS1_3genE10ELNS1_11target_archE1200ELNS1_3gpuE4ELNS1_3repE0EEENS1_30default_config_static_selectorELNS0_4arch9wavefront6targetE1EEEvT1_
                                        ; -- End function
	.section	.AMDGPU.csdata,"",@progbits
; Kernel info:
; codeLenInByte = 0
; NumSgprs: 4
; NumVgprs: 0
; NumAgprs: 0
; TotalNumVgprs: 0
; ScratchSize: 0
; MemoryBound: 0
; FloatMode: 240
; IeeeMode: 1
; LDSByteSize: 0 bytes/workgroup (compile time only)
; SGPRBlocks: 0
; VGPRBlocks: 0
; NumSGPRsForWavesPerEU: 4
; NumVGPRsForWavesPerEU: 1
; AccumOffset: 4
; Occupancy: 8
; WaveLimiterHint : 0
; COMPUTE_PGM_RSRC2:SCRATCH_EN: 0
; COMPUTE_PGM_RSRC2:USER_SGPR: 6
; COMPUTE_PGM_RSRC2:TRAP_HANDLER: 0
; COMPUTE_PGM_RSRC2:TGID_X_EN: 1
; COMPUTE_PGM_RSRC2:TGID_Y_EN: 0
; COMPUTE_PGM_RSRC2:TGID_Z_EN: 0
; COMPUTE_PGM_RSRC2:TIDIG_COMP_CNT: 0
; COMPUTE_PGM_RSRC3_GFX90A:ACCUM_OFFSET: 0
; COMPUTE_PGM_RSRC3_GFX90A:TG_SPLIT: 0
	.section	.text._ZN7rocprim17ROCPRIM_400000_NS6detail17trampoline_kernelINS0_14default_configENS1_20scan_config_selectorIyEEZZNS1_9scan_implILNS1_25lookback_scan_determinismE0ELb0ELb0ES3_N6thrust23THRUST_200600_302600_NS6detail15normal_iteratorINS9_10device_ptrIyEEEESE_y11max_functorIyEyEEDaPvRmT3_T4_T5_mT6_P12ihipStream_tbENKUlT_T0_E_clISt17integral_constantIbLb0EEST_IbLb1EEEEDaSP_SQ_EUlSP_E_NS1_11comp_targetILNS1_3genE9ELNS1_11target_archE1100ELNS1_3gpuE3ELNS1_3repE0EEENS1_30default_config_static_selectorELNS0_4arch9wavefront6targetE1EEEvT1_,"axG",@progbits,_ZN7rocprim17ROCPRIM_400000_NS6detail17trampoline_kernelINS0_14default_configENS1_20scan_config_selectorIyEEZZNS1_9scan_implILNS1_25lookback_scan_determinismE0ELb0ELb0ES3_N6thrust23THRUST_200600_302600_NS6detail15normal_iteratorINS9_10device_ptrIyEEEESE_y11max_functorIyEyEEDaPvRmT3_T4_T5_mT6_P12ihipStream_tbENKUlT_T0_E_clISt17integral_constantIbLb0EEST_IbLb1EEEEDaSP_SQ_EUlSP_E_NS1_11comp_targetILNS1_3genE9ELNS1_11target_archE1100ELNS1_3gpuE3ELNS1_3repE0EEENS1_30default_config_static_selectorELNS0_4arch9wavefront6targetE1EEEvT1_,comdat
	.protected	_ZN7rocprim17ROCPRIM_400000_NS6detail17trampoline_kernelINS0_14default_configENS1_20scan_config_selectorIyEEZZNS1_9scan_implILNS1_25lookback_scan_determinismE0ELb0ELb0ES3_N6thrust23THRUST_200600_302600_NS6detail15normal_iteratorINS9_10device_ptrIyEEEESE_y11max_functorIyEyEEDaPvRmT3_T4_T5_mT6_P12ihipStream_tbENKUlT_T0_E_clISt17integral_constantIbLb0EEST_IbLb1EEEEDaSP_SQ_EUlSP_E_NS1_11comp_targetILNS1_3genE9ELNS1_11target_archE1100ELNS1_3gpuE3ELNS1_3repE0EEENS1_30default_config_static_selectorELNS0_4arch9wavefront6targetE1EEEvT1_ ; -- Begin function _ZN7rocprim17ROCPRIM_400000_NS6detail17trampoline_kernelINS0_14default_configENS1_20scan_config_selectorIyEEZZNS1_9scan_implILNS1_25lookback_scan_determinismE0ELb0ELb0ES3_N6thrust23THRUST_200600_302600_NS6detail15normal_iteratorINS9_10device_ptrIyEEEESE_y11max_functorIyEyEEDaPvRmT3_T4_T5_mT6_P12ihipStream_tbENKUlT_T0_E_clISt17integral_constantIbLb0EEST_IbLb1EEEEDaSP_SQ_EUlSP_E_NS1_11comp_targetILNS1_3genE9ELNS1_11target_archE1100ELNS1_3gpuE3ELNS1_3repE0EEENS1_30default_config_static_selectorELNS0_4arch9wavefront6targetE1EEEvT1_
	.globl	_ZN7rocprim17ROCPRIM_400000_NS6detail17trampoline_kernelINS0_14default_configENS1_20scan_config_selectorIyEEZZNS1_9scan_implILNS1_25lookback_scan_determinismE0ELb0ELb0ES3_N6thrust23THRUST_200600_302600_NS6detail15normal_iteratorINS9_10device_ptrIyEEEESE_y11max_functorIyEyEEDaPvRmT3_T4_T5_mT6_P12ihipStream_tbENKUlT_T0_E_clISt17integral_constantIbLb0EEST_IbLb1EEEEDaSP_SQ_EUlSP_E_NS1_11comp_targetILNS1_3genE9ELNS1_11target_archE1100ELNS1_3gpuE3ELNS1_3repE0EEENS1_30default_config_static_selectorELNS0_4arch9wavefront6targetE1EEEvT1_
	.p2align	8
	.type	_ZN7rocprim17ROCPRIM_400000_NS6detail17trampoline_kernelINS0_14default_configENS1_20scan_config_selectorIyEEZZNS1_9scan_implILNS1_25lookback_scan_determinismE0ELb0ELb0ES3_N6thrust23THRUST_200600_302600_NS6detail15normal_iteratorINS9_10device_ptrIyEEEESE_y11max_functorIyEyEEDaPvRmT3_T4_T5_mT6_P12ihipStream_tbENKUlT_T0_E_clISt17integral_constantIbLb0EEST_IbLb1EEEEDaSP_SQ_EUlSP_E_NS1_11comp_targetILNS1_3genE9ELNS1_11target_archE1100ELNS1_3gpuE3ELNS1_3repE0EEENS1_30default_config_static_selectorELNS0_4arch9wavefront6targetE1EEEvT1_,@function
_ZN7rocprim17ROCPRIM_400000_NS6detail17trampoline_kernelINS0_14default_configENS1_20scan_config_selectorIyEEZZNS1_9scan_implILNS1_25lookback_scan_determinismE0ELb0ELb0ES3_N6thrust23THRUST_200600_302600_NS6detail15normal_iteratorINS9_10device_ptrIyEEEESE_y11max_functorIyEyEEDaPvRmT3_T4_T5_mT6_P12ihipStream_tbENKUlT_T0_E_clISt17integral_constantIbLb0EEST_IbLb1EEEEDaSP_SQ_EUlSP_E_NS1_11comp_targetILNS1_3genE9ELNS1_11target_archE1100ELNS1_3gpuE3ELNS1_3repE0EEENS1_30default_config_static_selectorELNS0_4arch9wavefront6targetE1EEEvT1_: ; @_ZN7rocprim17ROCPRIM_400000_NS6detail17trampoline_kernelINS0_14default_configENS1_20scan_config_selectorIyEEZZNS1_9scan_implILNS1_25lookback_scan_determinismE0ELb0ELb0ES3_N6thrust23THRUST_200600_302600_NS6detail15normal_iteratorINS9_10device_ptrIyEEEESE_y11max_functorIyEyEEDaPvRmT3_T4_T5_mT6_P12ihipStream_tbENKUlT_T0_E_clISt17integral_constantIbLb0EEST_IbLb1EEEEDaSP_SQ_EUlSP_E_NS1_11comp_targetILNS1_3genE9ELNS1_11target_archE1100ELNS1_3gpuE3ELNS1_3repE0EEENS1_30default_config_static_selectorELNS0_4arch9wavefront6targetE1EEEvT1_
; %bb.0:
	.section	.rodata,"a",@progbits
	.p2align	6, 0x0
	.amdhsa_kernel _ZN7rocprim17ROCPRIM_400000_NS6detail17trampoline_kernelINS0_14default_configENS1_20scan_config_selectorIyEEZZNS1_9scan_implILNS1_25lookback_scan_determinismE0ELb0ELb0ES3_N6thrust23THRUST_200600_302600_NS6detail15normal_iteratorINS9_10device_ptrIyEEEESE_y11max_functorIyEyEEDaPvRmT3_T4_T5_mT6_P12ihipStream_tbENKUlT_T0_E_clISt17integral_constantIbLb0EEST_IbLb1EEEEDaSP_SQ_EUlSP_E_NS1_11comp_targetILNS1_3genE9ELNS1_11target_archE1100ELNS1_3gpuE3ELNS1_3repE0EEENS1_30default_config_static_selectorELNS0_4arch9wavefront6targetE1EEEvT1_
		.amdhsa_group_segment_fixed_size 0
		.amdhsa_private_segment_fixed_size 0
		.amdhsa_kernarg_size 104
		.amdhsa_user_sgpr_count 6
		.amdhsa_user_sgpr_private_segment_buffer 1
		.amdhsa_user_sgpr_dispatch_ptr 0
		.amdhsa_user_sgpr_queue_ptr 0
		.amdhsa_user_sgpr_kernarg_segment_ptr 1
		.amdhsa_user_sgpr_dispatch_id 0
		.amdhsa_user_sgpr_flat_scratch_init 0
		.amdhsa_user_sgpr_kernarg_preload_length 0
		.amdhsa_user_sgpr_kernarg_preload_offset 0
		.amdhsa_user_sgpr_private_segment_size 0
		.amdhsa_uses_dynamic_stack 0
		.amdhsa_system_sgpr_private_segment_wavefront_offset 0
		.amdhsa_system_sgpr_workgroup_id_x 1
		.amdhsa_system_sgpr_workgroup_id_y 0
		.amdhsa_system_sgpr_workgroup_id_z 0
		.amdhsa_system_sgpr_workgroup_info 0
		.amdhsa_system_vgpr_workitem_id 0
		.amdhsa_next_free_vgpr 1
		.amdhsa_next_free_sgpr 0
		.amdhsa_accum_offset 4
		.amdhsa_reserve_vcc 0
		.amdhsa_reserve_flat_scratch 0
		.amdhsa_float_round_mode_32 0
		.amdhsa_float_round_mode_16_64 0
		.amdhsa_float_denorm_mode_32 3
		.amdhsa_float_denorm_mode_16_64 3
		.amdhsa_dx10_clamp 1
		.amdhsa_ieee_mode 1
		.amdhsa_fp16_overflow 0
		.amdhsa_tg_split 0
		.amdhsa_exception_fp_ieee_invalid_op 0
		.amdhsa_exception_fp_denorm_src 0
		.amdhsa_exception_fp_ieee_div_zero 0
		.amdhsa_exception_fp_ieee_overflow 0
		.amdhsa_exception_fp_ieee_underflow 0
		.amdhsa_exception_fp_ieee_inexact 0
		.amdhsa_exception_int_div_zero 0
	.end_amdhsa_kernel
	.section	.text._ZN7rocprim17ROCPRIM_400000_NS6detail17trampoline_kernelINS0_14default_configENS1_20scan_config_selectorIyEEZZNS1_9scan_implILNS1_25lookback_scan_determinismE0ELb0ELb0ES3_N6thrust23THRUST_200600_302600_NS6detail15normal_iteratorINS9_10device_ptrIyEEEESE_y11max_functorIyEyEEDaPvRmT3_T4_T5_mT6_P12ihipStream_tbENKUlT_T0_E_clISt17integral_constantIbLb0EEST_IbLb1EEEEDaSP_SQ_EUlSP_E_NS1_11comp_targetILNS1_3genE9ELNS1_11target_archE1100ELNS1_3gpuE3ELNS1_3repE0EEENS1_30default_config_static_selectorELNS0_4arch9wavefront6targetE1EEEvT1_,"axG",@progbits,_ZN7rocprim17ROCPRIM_400000_NS6detail17trampoline_kernelINS0_14default_configENS1_20scan_config_selectorIyEEZZNS1_9scan_implILNS1_25lookback_scan_determinismE0ELb0ELb0ES3_N6thrust23THRUST_200600_302600_NS6detail15normal_iteratorINS9_10device_ptrIyEEEESE_y11max_functorIyEyEEDaPvRmT3_T4_T5_mT6_P12ihipStream_tbENKUlT_T0_E_clISt17integral_constantIbLb0EEST_IbLb1EEEEDaSP_SQ_EUlSP_E_NS1_11comp_targetILNS1_3genE9ELNS1_11target_archE1100ELNS1_3gpuE3ELNS1_3repE0EEENS1_30default_config_static_selectorELNS0_4arch9wavefront6targetE1EEEvT1_,comdat
.Lfunc_end2161:
	.size	_ZN7rocprim17ROCPRIM_400000_NS6detail17trampoline_kernelINS0_14default_configENS1_20scan_config_selectorIyEEZZNS1_9scan_implILNS1_25lookback_scan_determinismE0ELb0ELb0ES3_N6thrust23THRUST_200600_302600_NS6detail15normal_iteratorINS9_10device_ptrIyEEEESE_y11max_functorIyEyEEDaPvRmT3_T4_T5_mT6_P12ihipStream_tbENKUlT_T0_E_clISt17integral_constantIbLb0EEST_IbLb1EEEEDaSP_SQ_EUlSP_E_NS1_11comp_targetILNS1_3genE9ELNS1_11target_archE1100ELNS1_3gpuE3ELNS1_3repE0EEENS1_30default_config_static_selectorELNS0_4arch9wavefront6targetE1EEEvT1_, .Lfunc_end2161-_ZN7rocprim17ROCPRIM_400000_NS6detail17trampoline_kernelINS0_14default_configENS1_20scan_config_selectorIyEEZZNS1_9scan_implILNS1_25lookback_scan_determinismE0ELb0ELb0ES3_N6thrust23THRUST_200600_302600_NS6detail15normal_iteratorINS9_10device_ptrIyEEEESE_y11max_functorIyEyEEDaPvRmT3_T4_T5_mT6_P12ihipStream_tbENKUlT_T0_E_clISt17integral_constantIbLb0EEST_IbLb1EEEEDaSP_SQ_EUlSP_E_NS1_11comp_targetILNS1_3genE9ELNS1_11target_archE1100ELNS1_3gpuE3ELNS1_3repE0EEENS1_30default_config_static_selectorELNS0_4arch9wavefront6targetE1EEEvT1_
                                        ; -- End function
	.section	.AMDGPU.csdata,"",@progbits
; Kernel info:
; codeLenInByte = 0
; NumSgprs: 4
; NumVgprs: 0
; NumAgprs: 0
; TotalNumVgprs: 0
; ScratchSize: 0
; MemoryBound: 0
; FloatMode: 240
; IeeeMode: 1
; LDSByteSize: 0 bytes/workgroup (compile time only)
; SGPRBlocks: 0
; VGPRBlocks: 0
; NumSGPRsForWavesPerEU: 4
; NumVGPRsForWavesPerEU: 1
; AccumOffset: 4
; Occupancy: 8
; WaveLimiterHint : 0
; COMPUTE_PGM_RSRC2:SCRATCH_EN: 0
; COMPUTE_PGM_RSRC2:USER_SGPR: 6
; COMPUTE_PGM_RSRC2:TRAP_HANDLER: 0
; COMPUTE_PGM_RSRC2:TGID_X_EN: 1
; COMPUTE_PGM_RSRC2:TGID_Y_EN: 0
; COMPUTE_PGM_RSRC2:TGID_Z_EN: 0
; COMPUTE_PGM_RSRC2:TIDIG_COMP_CNT: 0
; COMPUTE_PGM_RSRC3_GFX90A:ACCUM_OFFSET: 0
; COMPUTE_PGM_RSRC3_GFX90A:TG_SPLIT: 0
	.section	.text._ZN7rocprim17ROCPRIM_400000_NS6detail17trampoline_kernelINS0_14default_configENS1_20scan_config_selectorIyEEZZNS1_9scan_implILNS1_25lookback_scan_determinismE0ELb0ELb0ES3_N6thrust23THRUST_200600_302600_NS6detail15normal_iteratorINS9_10device_ptrIyEEEESE_y11max_functorIyEyEEDaPvRmT3_T4_T5_mT6_P12ihipStream_tbENKUlT_T0_E_clISt17integral_constantIbLb0EEST_IbLb1EEEEDaSP_SQ_EUlSP_E_NS1_11comp_targetILNS1_3genE8ELNS1_11target_archE1030ELNS1_3gpuE2ELNS1_3repE0EEENS1_30default_config_static_selectorELNS0_4arch9wavefront6targetE1EEEvT1_,"axG",@progbits,_ZN7rocprim17ROCPRIM_400000_NS6detail17trampoline_kernelINS0_14default_configENS1_20scan_config_selectorIyEEZZNS1_9scan_implILNS1_25lookback_scan_determinismE0ELb0ELb0ES3_N6thrust23THRUST_200600_302600_NS6detail15normal_iteratorINS9_10device_ptrIyEEEESE_y11max_functorIyEyEEDaPvRmT3_T4_T5_mT6_P12ihipStream_tbENKUlT_T0_E_clISt17integral_constantIbLb0EEST_IbLb1EEEEDaSP_SQ_EUlSP_E_NS1_11comp_targetILNS1_3genE8ELNS1_11target_archE1030ELNS1_3gpuE2ELNS1_3repE0EEENS1_30default_config_static_selectorELNS0_4arch9wavefront6targetE1EEEvT1_,comdat
	.protected	_ZN7rocprim17ROCPRIM_400000_NS6detail17trampoline_kernelINS0_14default_configENS1_20scan_config_selectorIyEEZZNS1_9scan_implILNS1_25lookback_scan_determinismE0ELb0ELb0ES3_N6thrust23THRUST_200600_302600_NS6detail15normal_iteratorINS9_10device_ptrIyEEEESE_y11max_functorIyEyEEDaPvRmT3_T4_T5_mT6_P12ihipStream_tbENKUlT_T0_E_clISt17integral_constantIbLb0EEST_IbLb1EEEEDaSP_SQ_EUlSP_E_NS1_11comp_targetILNS1_3genE8ELNS1_11target_archE1030ELNS1_3gpuE2ELNS1_3repE0EEENS1_30default_config_static_selectorELNS0_4arch9wavefront6targetE1EEEvT1_ ; -- Begin function _ZN7rocprim17ROCPRIM_400000_NS6detail17trampoline_kernelINS0_14default_configENS1_20scan_config_selectorIyEEZZNS1_9scan_implILNS1_25lookback_scan_determinismE0ELb0ELb0ES3_N6thrust23THRUST_200600_302600_NS6detail15normal_iteratorINS9_10device_ptrIyEEEESE_y11max_functorIyEyEEDaPvRmT3_T4_T5_mT6_P12ihipStream_tbENKUlT_T0_E_clISt17integral_constantIbLb0EEST_IbLb1EEEEDaSP_SQ_EUlSP_E_NS1_11comp_targetILNS1_3genE8ELNS1_11target_archE1030ELNS1_3gpuE2ELNS1_3repE0EEENS1_30default_config_static_selectorELNS0_4arch9wavefront6targetE1EEEvT1_
	.globl	_ZN7rocprim17ROCPRIM_400000_NS6detail17trampoline_kernelINS0_14default_configENS1_20scan_config_selectorIyEEZZNS1_9scan_implILNS1_25lookback_scan_determinismE0ELb0ELb0ES3_N6thrust23THRUST_200600_302600_NS6detail15normal_iteratorINS9_10device_ptrIyEEEESE_y11max_functorIyEyEEDaPvRmT3_T4_T5_mT6_P12ihipStream_tbENKUlT_T0_E_clISt17integral_constantIbLb0EEST_IbLb1EEEEDaSP_SQ_EUlSP_E_NS1_11comp_targetILNS1_3genE8ELNS1_11target_archE1030ELNS1_3gpuE2ELNS1_3repE0EEENS1_30default_config_static_selectorELNS0_4arch9wavefront6targetE1EEEvT1_
	.p2align	8
	.type	_ZN7rocprim17ROCPRIM_400000_NS6detail17trampoline_kernelINS0_14default_configENS1_20scan_config_selectorIyEEZZNS1_9scan_implILNS1_25lookback_scan_determinismE0ELb0ELb0ES3_N6thrust23THRUST_200600_302600_NS6detail15normal_iteratorINS9_10device_ptrIyEEEESE_y11max_functorIyEyEEDaPvRmT3_T4_T5_mT6_P12ihipStream_tbENKUlT_T0_E_clISt17integral_constantIbLb0EEST_IbLb1EEEEDaSP_SQ_EUlSP_E_NS1_11comp_targetILNS1_3genE8ELNS1_11target_archE1030ELNS1_3gpuE2ELNS1_3repE0EEENS1_30default_config_static_selectorELNS0_4arch9wavefront6targetE1EEEvT1_,@function
_ZN7rocprim17ROCPRIM_400000_NS6detail17trampoline_kernelINS0_14default_configENS1_20scan_config_selectorIyEEZZNS1_9scan_implILNS1_25lookback_scan_determinismE0ELb0ELb0ES3_N6thrust23THRUST_200600_302600_NS6detail15normal_iteratorINS9_10device_ptrIyEEEESE_y11max_functorIyEyEEDaPvRmT3_T4_T5_mT6_P12ihipStream_tbENKUlT_T0_E_clISt17integral_constantIbLb0EEST_IbLb1EEEEDaSP_SQ_EUlSP_E_NS1_11comp_targetILNS1_3genE8ELNS1_11target_archE1030ELNS1_3gpuE2ELNS1_3repE0EEENS1_30default_config_static_selectorELNS0_4arch9wavefront6targetE1EEEvT1_: ; @_ZN7rocprim17ROCPRIM_400000_NS6detail17trampoline_kernelINS0_14default_configENS1_20scan_config_selectorIyEEZZNS1_9scan_implILNS1_25lookback_scan_determinismE0ELb0ELb0ES3_N6thrust23THRUST_200600_302600_NS6detail15normal_iteratorINS9_10device_ptrIyEEEESE_y11max_functorIyEyEEDaPvRmT3_T4_T5_mT6_P12ihipStream_tbENKUlT_T0_E_clISt17integral_constantIbLb0EEST_IbLb1EEEEDaSP_SQ_EUlSP_E_NS1_11comp_targetILNS1_3genE8ELNS1_11target_archE1030ELNS1_3gpuE2ELNS1_3repE0EEENS1_30default_config_static_selectorELNS0_4arch9wavefront6targetE1EEEvT1_
; %bb.0:
	.section	.rodata,"a",@progbits
	.p2align	6, 0x0
	.amdhsa_kernel _ZN7rocprim17ROCPRIM_400000_NS6detail17trampoline_kernelINS0_14default_configENS1_20scan_config_selectorIyEEZZNS1_9scan_implILNS1_25lookback_scan_determinismE0ELb0ELb0ES3_N6thrust23THRUST_200600_302600_NS6detail15normal_iteratorINS9_10device_ptrIyEEEESE_y11max_functorIyEyEEDaPvRmT3_T4_T5_mT6_P12ihipStream_tbENKUlT_T0_E_clISt17integral_constantIbLb0EEST_IbLb1EEEEDaSP_SQ_EUlSP_E_NS1_11comp_targetILNS1_3genE8ELNS1_11target_archE1030ELNS1_3gpuE2ELNS1_3repE0EEENS1_30default_config_static_selectorELNS0_4arch9wavefront6targetE1EEEvT1_
		.amdhsa_group_segment_fixed_size 0
		.amdhsa_private_segment_fixed_size 0
		.amdhsa_kernarg_size 104
		.amdhsa_user_sgpr_count 6
		.amdhsa_user_sgpr_private_segment_buffer 1
		.amdhsa_user_sgpr_dispatch_ptr 0
		.amdhsa_user_sgpr_queue_ptr 0
		.amdhsa_user_sgpr_kernarg_segment_ptr 1
		.amdhsa_user_sgpr_dispatch_id 0
		.amdhsa_user_sgpr_flat_scratch_init 0
		.amdhsa_user_sgpr_kernarg_preload_length 0
		.amdhsa_user_sgpr_kernarg_preload_offset 0
		.amdhsa_user_sgpr_private_segment_size 0
		.amdhsa_uses_dynamic_stack 0
		.amdhsa_system_sgpr_private_segment_wavefront_offset 0
		.amdhsa_system_sgpr_workgroup_id_x 1
		.amdhsa_system_sgpr_workgroup_id_y 0
		.amdhsa_system_sgpr_workgroup_id_z 0
		.amdhsa_system_sgpr_workgroup_info 0
		.amdhsa_system_vgpr_workitem_id 0
		.amdhsa_next_free_vgpr 1
		.amdhsa_next_free_sgpr 0
		.amdhsa_accum_offset 4
		.amdhsa_reserve_vcc 0
		.amdhsa_reserve_flat_scratch 0
		.amdhsa_float_round_mode_32 0
		.amdhsa_float_round_mode_16_64 0
		.amdhsa_float_denorm_mode_32 3
		.amdhsa_float_denorm_mode_16_64 3
		.amdhsa_dx10_clamp 1
		.amdhsa_ieee_mode 1
		.amdhsa_fp16_overflow 0
		.amdhsa_tg_split 0
		.amdhsa_exception_fp_ieee_invalid_op 0
		.amdhsa_exception_fp_denorm_src 0
		.amdhsa_exception_fp_ieee_div_zero 0
		.amdhsa_exception_fp_ieee_overflow 0
		.amdhsa_exception_fp_ieee_underflow 0
		.amdhsa_exception_fp_ieee_inexact 0
		.amdhsa_exception_int_div_zero 0
	.end_amdhsa_kernel
	.section	.text._ZN7rocprim17ROCPRIM_400000_NS6detail17trampoline_kernelINS0_14default_configENS1_20scan_config_selectorIyEEZZNS1_9scan_implILNS1_25lookback_scan_determinismE0ELb0ELb0ES3_N6thrust23THRUST_200600_302600_NS6detail15normal_iteratorINS9_10device_ptrIyEEEESE_y11max_functorIyEyEEDaPvRmT3_T4_T5_mT6_P12ihipStream_tbENKUlT_T0_E_clISt17integral_constantIbLb0EEST_IbLb1EEEEDaSP_SQ_EUlSP_E_NS1_11comp_targetILNS1_3genE8ELNS1_11target_archE1030ELNS1_3gpuE2ELNS1_3repE0EEENS1_30default_config_static_selectorELNS0_4arch9wavefront6targetE1EEEvT1_,"axG",@progbits,_ZN7rocprim17ROCPRIM_400000_NS6detail17trampoline_kernelINS0_14default_configENS1_20scan_config_selectorIyEEZZNS1_9scan_implILNS1_25lookback_scan_determinismE0ELb0ELb0ES3_N6thrust23THRUST_200600_302600_NS6detail15normal_iteratorINS9_10device_ptrIyEEEESE_y11max_functorIyEyEEDaPvRmT3_T4_T5_mT6_P12ihipStream_tbENKUlT_T0_E_clISt17integral_constantIbLb0EEST_IbLb1EEEEDaSP_SQ_EUlSP_E_NS1_11comp_targetILNS1_3genE8ELNS1_11target_archE1030ELNS1_3gpuE2ELNS1_3repE0EEENS1_30default_config_static_selectorELNS0_4arch9wavefront6targetE1EEEvT1_,comdat
.Lfunc_end2162:
	.size	_ZN7rocprim17ROCPRIM_400000_NS6detail17trampoline_kernelINS0_14default_configENS1_20scan_config_selectorIyEEZZNS1_9scan_implILNS1_25lookback_scan_determinismE0ELb0ELb0ES3_N6thrust23THRUST_200600_302600_NS6detail15normal_iteratorINS9_10device_ptrIyEEEESE_y11max_functorIyEyEEDaPvRmT3_T4_T5_mT6_P12ihipStream_tbENKUlT_T0_E_clISt17integral_constantIbLb0EEST_IbLb1EEEEDaSP_SQ_EUlSP_E_NS1_11comp_targetILNS1_3genE8ELNS1_11target_archE1030ELNS1_3gpuE2ELNS1_3repE0EEENS1_30default_config_static_selectorELNS0_4arch9wavefront6targetE1EEEvT1_, .Lfunc_end2162-_ZN7rocprim17ROCPRIM_400000_NS6detail17trampoline_kernelINS0_14default_configENS1_20scan_config_selectorIyEEZZNS1_9scan_implILNS1_25lookback_scan_determinismE0ELb0ELb0ES3_N6thrust23THRUST_200600_302600_NS6detail15normal_iteratorINS9_10device_ptrIyEEEESE_y11max_functorIyEyEEDaPvRmT3_T4_T5_mT6_P12ihipStream_tbENKUlT_T0_E_clISt17integral_constantIbLb0EEST_IbLb1EEEEDaSP_SQ_EUlSP_E_NS1_11comp_targetILNS1_3genE8ELNS1_11target_archE1030ELNS1_3gpuE2ELNS1_3repE0EEENS1_30default_config_static_selectorELNS0_4arch9wavefront6targetE1EEEvT1_
                                        ; -- End function
	.section	.AMDGPU.csdata,"",@progbits
; Kernel info:
; codeLenInByte = 0
; NumSgprs: 4
; NumVgprs: 0
; NumAgprs: 0
; TotalNumVgprs: 0
; ScratchSize: 0
; MemoryBound: 0
; FloatMode: 240
; IeeeMode: 1
; LDSByteSize: 0 bytes/workgroup (compile time only)
; SGPRBlocks: 0
; VGPRBlocks: 0
; NumSGPRsForWavesPerEU: 4
; NumVGPRsForWavesPerEU: 1
; AccumOffset: 4
; Occupancy: 8
; WaveLimiterHint : 0
; COMPUTE_PGM_RSRC2:SCRATCH_EN: 0
; COMPUTE_PGM_RSRC2:USER_SGPR: 6
; COMPUTE_PGM_RSRC2:TRAP_HANDLER: 0
; COMPUTE_PGM_RSRC2:TGID_X_EN: 1
; COMPUTE_PGM_RSRC2:TGID_Y_EN: 0
; COMPUTE_PGM_RSRC2:TGID_Z_EN: 0
; COMPUTE_PGM_RSRC2:TIDIG_COMP_CNT: 0
; COMPUTE_PGM_RSRC3_GFX90A:ACCUM_OFFSET: 0
; COMPUTE_PGM_RSRC3_GFX90A:TG_SPLIT: 0
	.section	.text._ZN7rocprim17ROCPRIM_400000_NS6detail17trampoline_kernelINS0_14default_configENS1_20scan_config_selectorIyEEZZNS1_9scan_implILNS1_25lookback_scan_determinismE0ELb0ELb0ES3_N6thrust23THRUST_200600_302600_NS6detail15normal_iteratorINS9_10device_ptrIyEEEESE_y11max_functorIyEyEEDaPvRmT3_T4_T5_mT6_P12ihipStream_tbENKUlT_T0_E_clISt17integral_constantIbLb0EEST_IbLb1EEEEDaSP_SQ_EUlSP_E0_NS1_11comp_targetILNS1_3genE0ELNS1_11target_archE4294967295ELNS1_3gpuE0ELNS1_3repE0EEENS1_30default_config_static_selectorELNS0_4arch9wavefront6targetE1EEEvT1_,"axG",@progbits,_ZN7rocprim17ROCPRIM_400000_NS6detail17trampoline_kernelINS0_14default_configENS1_20scan_config_selectorIyEEZZNS1_9scan_implILNS1_25lookback_scan_determinismE0ELb0ELb0ES3_N6thrust23THRUST_200600_302600_NS6detail15normal_iteratorINS9_10device_ptrIyEEEESE_y11max_functorIyEyEEDaPvRmT3_T4_T5_mT6_P12ihipStream_tbENKUlT_T0_E_clISt17integral_constantIbLb0EEST_IbLb1EEEEDaSP_SQ_EUlSP_E0_NS1_11comp_targetILNS1_3genE0ELNS1_11target_archE4294967295ELNS1_3gpuE0ELNS1_3repE0EEENS1_30default_config_static_selectorELNS0_4arch9wavefront6targetE1EEEvT1_,comdat
	.protected	_ZN7rocprim17ROCPRIM_400000_NS6detail17trampoline_kernelINS0_14default_configENS1_20scan_config_selectorIyEEZZNS1_9scan_implILNS1_25lookback_scan_determinismE0ELb0ELb0ES3_N6thrust23THRUST_200600_302600_NS6detail15normal_iteratorINS9_10device_ptrIyEEEESE_y11max_functorIyEyEEDaPvRmT3_T4_T5_mT6_P12ihipStream_tbENKUlT_T0_E_clISt17integral_constantIbLb0EEST_IbLb1EEEEDaSP_SQ_EUlSP_E0_NS1_11comp_targetILNS1_3genE0ELNS1_11target_archE4294967295ELNS1_3gpuE0ELNS1_3repE0EEENS1_30default_config_static_selectorELNS0_4arch9wavefront6targetE1EEEvT1_ ; -- Begin function _ZN7rocprim17ROCPRIM_400000_NS6detail17trampoline_kernelINS0_14default_configENS1_20scan_config_selectorIyEEZZNS1_9scan_implILNS1_25lookback_scan_determinismE0ELb0ELb0ES3_N6thrust23THRUST_200600_302600_NS6detail15normal_iteratorINS9_10device_ptrIyEEEESE_y11max_functorIyEyEEDaPvRmT3_T4_T5_mT6_P12ihipStream_tbENKUlT_T0_E_clISt17integral_constantIbLb0EEST_IbLb1EEEEDaSP_SQ_EUlSP_E0_NS1_11comp_targetILNS1_3genE0ELNS1_11target_archE4294967295ELNS1_3gpuE0ELNS1_3repE0EEENS1_30default_config_static_selectorELNS0_4arch9wavefront6targetE1EEEvT1_
	.globl	_ZN7rocprim17ROCPRIM_400000_NS6detail17trampoline_kernelINS0_14default_configENS1_20scan_config_selectorIyEEZZNS1_9scan_implILNS1_25lookback_scan_determinismE0ELb0ELb0ES3_N6thrust23THRUST_200600_302600_NS6detail15normal_iteratorINS9_10device_ptrIyEEEESE_y11max_functorIyEyEEDaPvRmT3_T4_T5_mT6_P12ihipStream_tbENKUlT_T0_E_clISt17integral_constantIbLb0EEST_IbLb1EEEEDaSP_SQ_EUlSP_E0_NS1_11comp_targetILNS1_3genE0ELNS1_11target_archE4294967295ELNS1_3gpuE0ELNS1_3repE0EEENS1_30default_config_static_selectorELNS0_4arch9wavefront6targetE1EEEvT1_
	.p2align	8
	.type	_ZN7rocprim17ROCPRIM_400000_NS6detail17trampoline_kernelINS0_14default_configENS1_20scan_config_selectorIyEEZZNS1_9scan_implILNS1_25lookback_scan_determinismE0ELb0ELb0ES3_N6thrust23THRUST_200600_302600_NS6detail15normal_iteratorINS9_10device_ptrIyEEEESE_y11max_functorIyEyEEDaPvRmT3_T4_T5_mT6_P12ihipStream_tbENKUlT_T0_E_clISt17integral_constantIbLb0EEST_IbLb1EEEEDaSP_SQ_EUlSP_E0_NS1_11comp_targetILNS1_3genE0ELNS1_11target_archE4294967295ELNS1_3gpuE0ELNS1_3repE0EEENS1_30default_config_static_selectorELNS0_4arch9wavefront6targetE1EEEvT1_,@function
_ZN7rocprim17ROCPRIM_400000_NS6detail17trampoline_kernelINS0_14default_configENS1_20scan_config_selectorIyEEZZNS1_9scan_implILNS1_25lookback_scan_determinismE0ELb0ELb0ES3_N6thrust23THRUST_200600_302600_NS6detail15normal_iteratorINS9_10device_ptrIyEEEESE_y11max_functorIyEyEEDaPvRmT3_T4_T5_mT6_P12ihipStream_tbENKUlT_T0_E_clISt17integral_constantIbLb0EEST_IbLb1EEEEDaSP_SQ_EUlSP_E0_NS1_11comp_targetILNS1_3genE0ELNS1_11target_archE4294967295ELNS1_3gpuE0ELNS1_3repE0EEENS1_30default_config_static_selectorELNS0_4arch9wavefront6targetE1EEEvT1_: ; @_ZN7rocprim17ROCPRIM_400000_NS6detail17trampoline_kernelINS0_14default_configENS1_20scan_config_selectorIyEEZZNS1_9scan_implILNS1_25lookback_scan_determinismE0ELb0ELb0ES3_N6thrust23THRUST_200600_302600_NS6detail15normal_iteratorINS9_10device_ptrIyEEEESE_y11max_functorIyEyEEDaPvRmT3_T4_T5_mT6_P12ihipStream_tbENKUlT_T0_E_clISt17integral_constantIbLb0EEST_IbLb1EEEEDaSP_SQ_EUlSP_E0_NS1_11comp_targetILNS1_3genE0ELNS1_11target_archE4294967295ELNS1_3gpuE0ELNS1_3repE0EEENS1_30default_config_static_selectorELNS0_4arch9wavefront6targetE1EEEvT1_
; %bb.0:
	.section	.rodata,"a",@progbits
	.p2align	6, 0x0
	.amdhsa_kernel _ZN7rocprim17ROCPRIM_400000_NS6detail17trampoline_kernelINS0_14default_configENS1_20scan_config_selectorIyEEZZNS1_9scan_implILNS1_25lookback_scan_determinismE0ELb0ELb0ES3_N6thrust23THRUST_200600_302600_NS6detail15normal_iteratorINS9_10device_ptrIyEEEESE_y11max_functorIyEyEEDaPvRmT3_T4_T5_mT6_P12ihipStream_tbENKUlT_T0_E_clISt17integral_constantIbLb0EEST_IbLb1EEEEDaSP_SQ_EUlSP_E0_NS1_11comp_targetILNS1_3genE0ELNS1_11target_archE4294967295ELNS1_3gpuE0ELNS1_3repE0EEENS1_30default_config_static_selectorELNS0_4arch9wavefront6targetE1EEEvT1_
		.amdhsa_group_segment_fixed_size 0
		.amdhsa_private_segment_fixed_size 0
		.amdhsa_kernarg_size 40
		.amdhsa_user_sgpr_count 6
		.amdhsa_user_sgpr_private_segment_buffer 1
		.amdhsa_user_sgpr_dispatch_ptr 0
		.amdhsa_user_sgpr_queue_ptr 0
		.amdhsa_user_sgpr_kernarg_segment_ptr 1
		.amdhsa_user_sgpr_dispatch_id 0
		.amdhsa_user_sgpr_flat_scratch_init 0
		.amdhsa_user_sgpr_kernarg_preload_length 0
		.amdhsa_user_sgpr_kernarg_preload_offset 0
		.amdhsa_user_sgpr_private_segment_size 0
		.amdhsa_uses_dynamic_stack 0
		.amdhsa_system_sgpr_private_segment_wavefront_offset 0
		.amdhsa_system_sgpr_workgroup_id_x 1
		.amdhsa_system_sgpr_workgroup_id_y 0
		.amdhsa_system_sgpr_workgroup_id_z 0
		.amdhsa_system_sgpr_workgroup_info 0
		.amdhsa_system_vgpr_workitem_id 0
		.amdhsa_next_free_vgpr 1
		.amdhsa_next_free_sgpr 0
		.amdhsa_accum_offset 4
		.amdhsa_reserve_vcc 0
		.amdhsa_reserve_flat_scratch 0
		.amdhsa_float_round_mode_32 0
		.amdhsa_float_round_mode_16_64 0
		.amdhsa_float_denorm_mode_32 3
		.amdhsa_float_denorm_mode_16_64 3
		.amdhsa_dx10_clamp 1
		.amdhsa_ieee_mode 1
		.amdhsa_fp16_overflow 0
		.amdhsa_tg_split 0
		.amdhsa_exception_fp_ieee_invalid_op 0
		.amdhsa_exception_fp_denorm_src 0
		.amdhsa_exception_fp_ieee_div_zero 0
		.amdhsa_exception_fp_ieee_overflow 0
		.amdhsa_exception_fp_ieee_underflow 0
		.amdhsa_exception_fp_ieee_inexact 0
		.amdhsa_exception_int_div_zero 0
	.end_amdhsa_kernel
	.section	.text._ZN7rocprim17ROCPRIM_400000_NS6detail17trampoline_kernelINS0_14default_configENS1_20scan_config_selectorIyEEZZNS1_9scan_implILNS1_25lookback_scan_determinismE0ELb0ELb0ES3_N6thrust23THRUST_200600_302600_NS6detail15normal_iteratorINS9_10device_ptrIyEEEESE_y11max_functorIyEyEEDaPvRmT3_T4_T5_mT6_P12ihipStream_tbENKUlT_T0_E_clISt17integral_constantIbLb0EEST_IbLb1EEEEDaSP_SQ_EUlSP_E0_NS1_11comp_targetILNS1_3genE0ELNS1_11target_archE4294967295ELNS1_3gpuE0ELNS1_3repE0EEENS1_30default_config_static_selectorELNS0_4arch9wavefront6targetE1EEEvT1_,"axG",@progbits,_ZN7rocprim17ROCPRIM_400000_NS6detail17trampoline_kernelINS0_14default_configENS1_20scan_config_selectorIyEEZZNS1_9scan_implILNS1_25lookback_scan_determinismE0ELb0ELb0ES3_N6thrust23THRUST_200600_302600_NS6detail15normal_iteratorINS9_10device_ptrIyEEEESE_y11max_functorIyEyEEDaPvRmT3_T4_T5_mT6_P12ihipStream_tbENKUlT_T0_E_clISt17integral_constantIbLb0EEST_IbLb1EEEEDaSP_SQ_EUlSP_E0_NS1_11comp_targetILNS1_3genE0ELNS1_11target_archE4294967295ELNS1_3gpuE0ELNS1_3repE0EEENS1_30default_config_static_selectorELNS0_4arch9wavefront6targetE1EEEvT1_,comdat
.Lfunc_end2163:
	.size	_ZN7rocprim17ROCPRIM_400000_NS6detail17trampoline_kernelINS0_14default_configENS1_20scan_config_selectorIyEEZZNS1_9scan_implILNS1_25lookback_scan_determinismE0ELb0ELb0ES3_N6thrust23THRUST_200600_302600_NS6detail15normal_iteratorINS9_10device_ptrIyEEEESE_y11max_functorIyEyEEDaPvRmT3_T4_T5_mT6_P12ihipStream_tbENKUlT_T0_E_clISt17integral_constantIbLb0EEST_IbLb1EEEEDaSP_SQ_EUlSP_E0_NS1_11comp_targetILNS1_3genE0ELNS1_11target_archE4294967295ELNS1_3gpuE0ELNS1_3repE0EEENS1_30default_config_static_selectorELNS0_4arch9wavefront6targetE1EEEvT1_, .Lfunc_end2163-_ZN7rocprim17ROCPRIM_400000_NS6detail17trampoline_kernelINS0_14default_configENS1_20scan_config_selectorIyEEZZNS1_9scan_implILNS1_25lookback_scan_determinismE0ELb0ELb0ES3_N6thrust23THRUST_200600_302600_NS6detail15normal_iteratorINS9_10device_ptrIyEEEESE_y11max_functorIyEyEEDaPvRmT3_T4_T5_mT6_P12ihipStream_tbENKUlT_T0_E_clISt17integral_constantIbLb0EEST_IbLb1EEEEDaSP_SQ_EUlSP_E0_NS1_11comp_targetILNS1_3genE0ELNS1_11target_archE4294967295ELNS1_3gpuE0ELNS1_3repE0EEENS1_30default_config_static_selectorELNS0_4arch9wavefront6targetE1EEEvT1_
                                        ; -- End function
	.section	.AMDGPU.csdata,"",@progbits
; Kernel info:
; codeLenInByte = 0
; NumSgprs: 4
; NumVgprs: 0
; NumAgprs: 0
; TotalNumVgprs: 0
; ScratchSize: 0
; MemoryBound: 0
; FloatMode: 240
; IeeeMode: 1
; LDSByteSize: 0 bytes/workgroup (compile time only)
; SGPRBlocks: 0
; VGPRBlocks: 0
; NumSGPRsForWavesPerEU: 4
; NumVGPRsForWavesPerEU: 1
; AccumOffset: 4
; Occupancy: 8
; WaveLimiterHint : 0
; COMPUTE_PGM_RSRC2:SCRATCH_EN: 0
; COMPUTE_PGM_RSRC2:USER_SGPR: 6
; COMPUTE_PGM_RSRC2:TRAP_HANDLER: 0
; COMPUTE_PGM_RSRC2:TGID_X_EN: 1
; COMPUTE_PGM_RSRC2:TGID_Y_EN: 0
; COMPUTE_PGM_RSRC2:TGID_Z_EN: 0
; COMPUTE_PGM_RSRC2:TIDIG_COMP_CNT: 0
; COMPUTE_PGM_RSRC3_GFX90A:ACCUM_OFFSET: 0
; COMPUTE_PGM_RSRC3_GFX90A:TG_SPLIT: 0
	.section	.text._ZN7rocprim17ROCPRIM_400000_NS6detail17trampoline_kernelINS0_14default_configENS1_20scan_config_selectorIyEEZZNS1_9scan_implILNS1_25lookback_scan_determinismE0ELb0ELb0ES3_N6thrust23THRUST_200600_302600_NS6detail15normal_iteratorINS9_10device_ptrIyEEEESE_y11max_functorIyEyEEDaPvRmT3_T4_T5_mT6_P12ihipStream_tbENKUlT_T0_E_clISt17integral_constantIbLb0EEST_IbLb1EEEEDaSP_SQ_EUlSP_E0_NS1_11comp_targetILNS1_3genE5ELNS1_11target_archE942ELNS1_3gpuE9ELNS1_3repE0EEENS1_30default_config_static_selectorELNS0_4arch9wavefront6targetE1EEEvT1_,"axG",@progbits,_ZN7rocprim17ROCPRIM_400000_NS6detail17trampoline_kernelINS0_14default_configENS1_20scan_config_selectorIyEEZZNS1_9scan_implILNS1_25lookback_scan_determinismE0ELb0ELb0ES3_N6thrust23THRUST_200600_302600_NS6detail15normal_iteratorINS9_10device_ptrIyEEEESE_y11max_functorIyEyEEDaPvRmT3_T4_T5_mT6_P12ihipStream_tbENKUlT_T0_E_clISt17integral_constantIbLb0EEST_IbLb1EEEEDaSP_SQ_EUlSP_E0_NS1_11comp_targetILNS1_3genE5ELNS1_11target_archE942ELNS1_3gpuE9ELNS1_3repE0EEENS1_30default_config_static_selectorELNS0_4arch9wavefront6targetE1EEEvT1_,comdat
	.protected	_ZN7rocprim17ROCPRIM_400000_NS6detail17trampoline_kernelINS0_14default_configENS1_20scan_config_selectorIyEEZZNS1_9scan_implILNS1_25lookback_scan_determinismE0ELb0ELb0ES3_N6thrust23THRUST_200600_302600_NS6detail15normal_iteratorINS9_10device_ptrIyEEEESE_y11max_functorIyEyEEDaPvRmT3_T4_T5_mT6_P12ihipStream_tbENKUlT_T0_E_clISt17integral_constantIbLb0EEST_IbLb1EEEEDaSP_SQ_EUlSP_E0_NS1_11comp_targetILNS1_3genE5ELNS1_11target_archE942ELNS1_3gpuE9ELNS1_3repE0EEENS1_30default_config_static_selectorELNS0_4arch9wavefront6targetE1EEEvT1_ ; -- Begin function _ZN7rocprim17ROCPRIM_400000_NS6detail17trampoline_kernelINS0_14default_configENS1_20scan_config_selectorIyEEZZNS1_9scan_implILNS1_25lookback_scan_determinismE0ELb0ELb0ES3_N6thrust23THRUST_200600_302600_NS6detail15normal_iteratorINS9_10device_ptrIyEEEESE_y11max_functorIyEyEEDaPvRmT3_T4_T5_mT6_P12ihipStream_tbENKUlT_T0_E_clISt17integral_constantIbLb0EEST_IbLb1EEEEDaSP_SQ_EUlSP_E0_NS1_11comp_targetILNS1_3genE5ELNS1_11target_archE942ELNS1_3gpuE9ELNS1_3repE0EEENS1_30default_config_static_selectorELNS0_4arch9wavefront6targetE1EEEvT1_
	.globl	_ZN7rocprim17ROCPRIM_400000_NS6detail17trampoline_kernelINS0_14default_configENS1_20scan_config_selectorIyEEZZNS1_9scan_implILNS1_25lookback_scan_determinismE0ELb0ELb0ES3_N6thrust23THRUST_200600_302600_NS6detail15normal_iteratorINS9_10device_ptrIyEEEESE_y11max_functorIyEyEEDaPvRmT3_T4_T5_mT6_P12ihipStream_tbENKUlT_T0_E_clISt17integral_constantIbLb0EEST_IbLb1EEEEDaSP_SQ_EUlSP_E0_NS1_11comp_targetILNS1_3genE5ELNS1_11target_archE942ELNS1_3gpuE9ELNS1_3repE0EEENS1_30default_config_static_selectorELNS0_4arch9wavefront6targetE1EEEvT1_
	.p2align	8
	.type	_ZN7rocprim17ROCPRIM_400000_NS6detail17trampoline_kernelINS0_14default_configENS1_20scan_config_selectorIyEEZZNS1_9scan_implILNS1_25lookback_scan_determinismE0ELb0ELb0ES3_N6thrust23THRUST_200600_302600_NS6detail15normal_iteratorINS9_10device_ptrIyEEEESE_y11max_functorIyEyEEDaPvRmT3_T4_T5_mT6_P12ihipStream_tbENKUlT_T0_E_clISt17integral_constantIbLb0EEST_IbLb1EEEEDaSP_SQ_EUlSP_E0_NS1_11comp_targetILNS1_3genE5ELNS1_11target_archE942ELNS1_3gpuE9ELNS1_3repE0EEENS1_30default_config_static_selectorELNS0_4arch9wavefront6targetE1EEEvT1_,@function
_ZN7rocprim17ROCPRIM_400000_NS6detail17trampoline_kernelINS0_14default_configENS1_20scan_config_selectorIyEEZZNS1_9scan_implILNS1_25lookback_scan_determinismE0ELb0ELb0ES3_N6thrust23THRUST_200600_302600_NS6detail15normal_iteratorINS9_10device_ptrIyEEEESE_y11max_functorIyEyEEDaPvRmT3_T4_T5_mT6_P12ihipStream_tbENKUlT_T0_E_clISt17integral_constantIbLb0EEST_IbLb1EEEEDaSP_SQ_EUlSP_E0_NS1_11comp_targetILNS1_3genE5ELNS1_11target_archE942ELNS1_3gpuE9ELNS1_3repE0EEENS1_30default_config_static_selectorELNS0_4arch9wavefront6targetE1EEEvT1_: ; @_ZN7rocprim17ROCPRIM_400000_NS6detail17trampoline_kernelINS0_14default_configENS1_20scan_config_selectorIyEEZZNS1_9scan_implILNS1_25lookback_scan_determinismE0ELb0ELb0ES3_N6thrust23THRUST_200600_302600_NS6detail15normal_iteratorINS9_10device_ptrIyEEEESE_y11max_functorIyEyEEDaPvRmT3_T4_T5_mT6_P12ihipStream_tbENKUlT_T0_E_clISt17integral_constantIbLb0EEST_IbLb1EEEEDaSP_SQ_EUlSP_E0_NS1_11comp_targetILNS1_3genE5ELNS1_11target_archE942ELNS1_3gpuE9ELNS1_3repE0EEENS1_30default_config_static_selectorELNS0_4arch9wavefront6targetE1EEEvT1_
; %bb.0:
	.section	.rodata,"a",@progbits
	.p2align	6, 0x0
	.amdhsa_kernel _ZN7rocprim17ROCPRIM_400000_NS6detail17trampoline_kernelINS0_14default_configENS1_20scan_config_selectorIyEEZZNS1_9scan_implILNS1_25lookback_scan_determinismE0ELb0ELb0ES3_N6thrust23THRUST_200600_302600_NS6detail15normal_iteratorINS9_10device_ptrIyEEEESE_y11max_functorIyEyEEDaPvRmT3_T4_T5_mT6_P12ihipStream_tbENKUlT_T0_E_clISt17integral_constantIbLb0EEST_IbLb1EEEEDaSP_SQ_EUlSP_E0_NS1_11comp_targetILNS1_3genE5ELNS1_11target_archE942ELNS1_3gpuE9ELNS1_3repE0EEENS1_30default_config_static_selectorELNS0_4arch9wavefront6targetE1EEEvT1_
		.amdhsa_group_segment_fixed_size 0
		.amdhsa_private_segment_fixed_size 0
		.amdhsa_kernarg_size 40
		.amdhsa_user_sgpr_count 6
		.amdhsa_user_sgpr_private_segment_buffer 1
		.amdhsa_user_sgpr_dispatch_ptr 0
		.amdhsa_user_sgpr_queue_ptr 0
		.amdhsa_user_sgpr_kernarg_segment_ptr 1
		.amdhsa_user_sgpr_dispatch_id 0
		.amdhsa_user_sgpr_flat_scratch_init 0
		.amdhsa_user_sgpr_kernarg_preload_length 0
		.amdhsa_user_sgpr_kernarg_preload_offset 0
		.amdhsa_user_sgpr_private_segment_size 0
		.amdhsa_uses_dynamic_stack 0
		.amdhsa_system_sgpr_private_segment_wavefront_offset 0
		.amdhsa_system_sgpr_workgroup_id_x 1
		.amdhsa_system_sgpr_workgroup_id_y 0
		.amdhsa_system_sgpr_workgroup_id_z 0
		.amdhsa_system_sgpr_workgroup_info 0
		.amdhsa_system_vgpr_workitem_id 0
		.amdhsa_next_free_vgpr 1
		.amdhsa_next_free_sgpr 0
		.amdhsa_accum_offset 4
		.amdhsa_reserve_vcc 0
		.amdhsa_reserve_flat_scratch 0
		.amdhsa_float_round_mode_32 0
		.amdhsa_float_round_mode_16_64 0
		.amdhsa_float_denorm_mode_32 3
		.amdhsa_float_denorm_mode_16_64 3
		.amdhsa_dx10_clamp 1
		.amdhsa_ieee_mode 1
		.amdhsa_fp16_overflow 0
		.amdhsa_tg_split 0
		.amdhsa_exception_fp_ieee_invalid_op 0
		.amdhsa_exception_fp_denorm_src 0
		.amdhsa_exception_fp_ieee_div_zero 0
		.amdhsa_exception_fp_ieee_overflow 0
		.amdhsa_exception_fp_ieee_underflow 0
		.amdhsa_exception_fp_ieee_inexact 0
		.amdhsa_exception_int_div_zero 0
	.end_amdhsa_kernel
	.section	.text._ZN7rocprim17ROCPRIM_400000_NS6detail17trampoline_kernelINS0_14default_configENS1_20scan_config_selectorIyEEZZNS1_9scan_implILNS1_25lookback_scan_determinismE0ELb0ELb0ES3_N6thrust23THRUST_200600_302600_NS6detail15normal_iteratorINS9_10device_ptrIyEEEESE_y11max_functorIyEyEEDaPvRmT3_T4_T5_mT6_P12ihipStream_tbENKUlT_T0_E_clISt17integral_constantIbLb0EEST_IbLb1EEEEDaSP_SQ_EUlSP_E0_NS1_11comp_targetILNS1_3genE5ELNS1_11target_archE942ELNS1_3gpuE9ELNS1_3repE0EEENS1_30default_config_static_selectorELNS0_4arch9wavefront6targetE1EEEvT1_,"axG",@progbits,_ZN7rocprim17ROCPRIM_400000_NS6detail17trampoline_kernelINS0_14default_configENS1_20scan_config_selectorIyEEZZNS1_9scan_implILNS1_25lookback_scan_determinismE0ELb0ELb0ES3_N6thrust23THRUST_200600_302600_NS6detail15normal_iteratorINS9_10device_ptrIyEEEESE_y11max_functorIyEyEEDaPvRmT3_T4_T5_mT6_P12ihipStream_tbENKUlT_T0_E_clISt17integral_constantIbLb0EEST_IbLb1EEEEDaSP_SQ_EUlSP_E0_NS1_11comp_targetILNS1_3genE5ELNS1_11target_archE942ELNS1_3gpuE9ELNS1_3repE0EEENS1_30default_config_static_selectorELNS0_4arch9wavefront6targetE1EEEvT1_,comdat
.Lfunc_end2164:
	.size	_ZN7rocprim17ROCPRIM_400000_NS6detail17trampoline_kernelINS0_14default_configENS1_20scan_config_selectorIyEEZZNS1_9scan_implILNS1_25lookback_scan_determinismE0ELb0ELb0ES3_N6thrust23THRUST_200600_302600_NS6detail15normal_iteratorINS9_10device_ptrIyEEEESE_y11max_functorIyEyEEDaPvRmT3_T4_T5_mT6_P12ihipStream_tbENKUlT_T0_E_clISt17integral_constantIbLb0EEST_IbLb1EEEEDaSP_SQ_EUlSP_E0_NS1_11comp_targetILNS1_3genE5ELNS1_11target_archE942ELNS1_3gpuE9ELNS1_3repE0EEENS1_30default_config_static_selectorELNS0_4arch9wavefront6targetE1EEEvT1_, .Lfunc_end2164-_ZN7rocprim17ROCPRIM_400000_NS6detail17trampoline_kernelINS0_14default_configENS1_20scan_config_selectorIyEEZZNS1_9scan_implILNS1_25lookback_scan_determinismE0ELb0ELb0ES3_N6thrust23THRUST_200600_302600_NS6detail15normal_iteratorINS9_10device_ptrIyEEEESE_y11max_functorIyEyEEDaPvRmT3_T4_T5_mT6_P12ihipStream_tbENKUlT_T0_E_clISt17integral_constantIbLb0EEST_IbLb1EEEEDaSP_SQ_EUlSP_E0_NS1_11comp_targetILNS1_3genE5ELNS1_11target_archE942ELNS1_3gpuE9ELNS1_3repE0EEENS1_30default_config_static_selectorELNS0_4arch9wavefront6targetE1EEEvT1_
                                        ; -- End function
	.section	.AMDGPU.csdata,"",@progbits
; Kernel info:
; codeLenInByte = 0
; NumSgprs: 4
; NumVgprs: 0
; NumAgprs: 0
; TotalNumVgprs: 0
; ScratchSize: 0
; MemoryBound: 0
; FloatMode: 240
; IeeeMode: 1
; LDSByteSize: 0 bytes/workgroup (compile time only)
; SGPRBlocks: 0
; VGPRBlocks: 0
; NumSGPRsForWavesPerEU: 4
; NumVGPRsForWavesPerEU: 1
; AccumOffset: 4
; Occupancy: 8
; WaveLimiterHint : 0
; COMPUTE_PGM_RSRC2:SCRATCH_EN: 0
; COMPUTE_PGM_RSRC2:USER_SGPR: 6
; COMPUTE_PGM_RSRC2:TRAP_HANDLER: 0
; COMPUTE_PGM_RSRC2:TGID_X_EN: 1
; COMPUTE_PGM_RSRC2:TGID_Y_EN: 0
; COMPUTE_PGM_RSRC2:TGID_Z_EN: 0
; COMPUTE_PGM_RSRC2:TIDIG_COMP_CNT: 0
; COMPUTE_PGM_RSRC3_GFX90A:ACCUM_OFFSET: 0
; COMPUTE_PGM_RSRC3_GFX90A:TG_SPLIT: 0
	.section	.text._ZN7rocprim17ROCPRIM_400000_NS6detail17trampoline_kernelINS0_14default_configENS1_20scan_config_selectorIyEEZZNS1_9scan_implILNS1_25lookback_scan_determinismE0ELb0ELb0ES3_N6thrust23THRUST_200600_302600_NS6detail15normal_iteratorINS9_10device_ptrIyEEEESE_y11max_functorIyEyEEDaPvRmT3_T4_T5_mT6_P12ihipStream_tbENKUlT_T0_E_clISt17integral_constantIbLb0EEST_IbLb1EEEEDaSP_SQ_EUlSP_E0_NS1_11comp_targetILNS1_3genE4ELNS1_11target_archE910ELNS1_3gpuE8ELNS1_3repE0EEENS1_30default_config_static_selectorELNS0_4arch9wavefront6targetE1EEEvT1_,"axG",@progbits,_ZN7rocprim17ROCPRIM_400000_NS6detail17trampoline_kernelINS0_14default_configENS1_20scan_config_selectorIyEEZZNS1_9scan_implILNS1_25lookback_scan_determinismE0ELb0ELb0ES3_N6thrust23THRUST_200600_302600_NS6detail15normal_iteratorINS9_10device_ptrIyEEEESE_y11max_functorIyEyEEDaPvRmT3_T4_T5_mT6_P12ihipStream_tbENKUlT_T0_E_clISt17integral_constantIbLb0EEST_IbLb1EEEEDaSP_SQ_EUlSP_E0_NS1_11comp_targetILNS1_3genE4ELNS1_11target_archE910ELNS1_3gpuE8ELNS1_3repE0EEENS1_30default_config_static_selectorELNS0_4arch9wavefront6targetE1EEEvT1_,comdat
	.protected	_ZN7rocprim17ROCPRIM_400000_NS6detail17trampoline_kernelINS0_14default_configENS1_20scan_config_selectorIyEEZZNS1_9scan_implILNS1_25lookback_scan_determinismE0ELb0ELb0ES3_N6thrust23THRUST_200600_302600_NS6detail15normal_iteratorINS9_10device_ptrIyEEEESE_y11max_functorIyEyEEDaPvRmT3_T4_T5_mT6_P12ihipStream_tbENKUlT_T0_E_clISt17integral_constantIbLb0EEST_IbLb1EEEEDaSP_SQ_EUlSP_E0_NS1_11comp_targetILNS1_3genE4ELNS1_11target_archE910ELNS1_3gpuE8ELNS1_3repE0EEENS1_30default_config_static_selectorELNS0_4arch9wavefront6targetE1EEEvT1_ ; -- Begin function _ZN7rocprim17ROCPRIM_400000_NS6detail17trampoline_kernelINS0_14default_configENS1_20scan_config_selectorIyEEZZNS1_9scan_implILNS1_25lookback_scan_determinismE0ELb0ELb0ES3_N6thrust23THRUST_200600_302600_NS6detail15normal_iteratorINS9_10device_ptrIyEEEESE_y11max_functorIyEyEEDaPvRmT3_T4_T5_mT6_P12ihipStream_tbENKUlT_T0_E_clISt17integral_constantIbLb0EEST_IbLb1EEEEDaSP_SQ_EUlSP_E0_NS1_11comp_targetILNS1_3genE4ELNS1_11target_archE910ELNS1_3gpuE8ELNS1_3repE0EEENS1_30default_config_static_selectorELNS0_4arch9wavefront6targetE1EEEvT1_
	.globl	_ZN7rocprim17ROCPRIM_400000_NS6detail17trampoline_kernelINS0_14default_configENS1_20scan_config_selectorIyEEZZNS1_9scan_implILNS1_25lookback_scan_determinismE0ELb0ELb0ES3_N6thrust23THRUST_200600_302600_NS6detail15normal_iteratorINS9_10device_ptrIyEEEESE_y11max_functorIyEyEEDaPvRmT3_T4_T5_mT6_P12ihipStream_tbENKUlT_T0_E_clISt17integral_constantIbLb0EEST_IbLb1EEEEDaSP_SQ_EUlSP_E0_NS1_11comp_targetILNS1_3genE4ELNS1_11target_archE910ELNS1_3gpuE8ELNS1_3repE0EEENS1_30default_config_static_selectorELNS0_4arch9wavefront6targetE1EEEvT1_
	.p2align	8
	.type	_ZN7rocprim17ROCPRIM_400000_NS6detail17trampoline_kernelINS0_14default_configENS1_20scan_config_selectorIyEEZZNS1_9scan_implILNS1_25lookback_scan_determinismE0ELb0ELb0ES3_N6thrust23THRUST_200600_302600_NS6detail15normal_iteratorINS9_10device_ptrIyEEEESE_y11max_functorIyEyEEDaPvRmT3_T4_T5_mT6_P12ihipStream_tbENKUlT_T0_E_clISt17integral_constantIbLb0EEST_IbLb1EEEEDaSP_SQ_EUlSP_E0_NS1_11comp_targetILNS1_3genE4ELNS1_11target_archE910ELNS1_3gpuE8ELNS1_3repE0EEENS1_30default_config_static_selectorELNS0_4arch9wavefront6targetE1EEEvT1_,@function
_ZN7rocprim17ROCPRIM_400000_NS6detail17trampoline_kernelINS0_14default_configENS1_20scan_config_selectorIyEEZZNS1_9scan_implILNS1_25lookback_scan_determinismE0ELb0ELb0ES3_N6thrust23THRUST_200600_302600_NS6detail15normal_iteratorINS9_10device_ptrIyEEEESE_y11max_functorIyEyEEDaPvRmT3_T4_T5_mT6_P12ihipStream_tbENKUlT_T0_E_clISt17integral_constantIbLb0EEST_IbLb1EEEEDaSP_SQ_EUlSP_E0_NS1_11comp_targetILNS1_3genE4ELNS1_11target_archE910ELNS1_3gpuE8ELNS1_3repE0EEENS1_30default_config_static_selectorELNS0_4arch9wavefront6targetE1EEEvT1_: ; @_ZN7rocprim17ROCPRIM_400000_NS6detail17trampoline_kernelINS0_14default_configENS1_20scan_config_selectorIyEEZZNS1_9scan_implILNS1_25lookback_scan_determinismE0ELb0ELb0ES3_N6thrust23THRUST_200600_302600_NS6detail15normal_iteratorINS9_10device_ptrIyEEEESE_y11max_functorIyEyEEDaPvRmT3_T4_T5_mT6_P12ihipStream_tbENKUlT_T0_E_clISt17integral_constantIbLb0EEST_IbLb1EEEEDaSP_SQ_EUlSP_E0_NS1_11comp_targetILNS1_3genE4ELNS1_11target_archE910ELNS1_3gpuE8ELNS1_3repE0EEENS1_30default_config_static_selectorELNS0_4arch9wavefront6targetE1EEEvT1_
; %bb.0:
	s_load_dwordx4 s[16:19], s[4:5], 0x0
	v_lshlrev_b32_e32 v36, 3, v0
	s_waitcnt lgkmcnt(0)
	s_load_dwordx2 s[14:15], s[16:17], 0x0
	v_cmp_gt_u32_e32 vcc, s18, v0
	s_waitcnt lgkmcnt(0)
	v_pk_mov_b32 v[2:3], s[14:15], s[14:15] op_sel:[0,1]
	s_and_saveexec_b64 s[0:1], vcc
	s_cbranch_execz .LBB2165_2
; %bb.1:
	global_load_dwordx2 v[2:3], v36, s[16:17]
.LBB2165_2:
	s_or_b64 exec, exec, s[0:1]
	v_or_b32_e32 v1, 0x80, v0
	v_cmp_gt_u32_e64 s[0:1], s18, v1
	v_pk_mov_b32 v[4:5], s[14:15], s[14:15] op_sel:[0,1]
	s_and_saveexec_b64 s[2:3], s[0:1]
	s_cbranch_execz .LBB2165_4
; %bb.3:
	global_load_dwordx2 v[4:5], v36, s[16:17] offset:1024
.LBB2165_4:
	s_or_b64 exec, exec, s[2:3]
	v_or_b32_e32 v1, 0x100, v0
	v_cmp_gt_u32_e64 s[2:3], s18, v1
	v_pk_mov_b32 v[6:7], s[14:15], s[14:15] op_sel:[0,1]
	s_and_saveexec_b64 s[6:7], s[2:3]
	s_cbranch_execz .LBB2165_6
; %bb.5:
	global_load_dwordx2 v[6:7], v36, s[16:17] offset:2048
.LBB2165_6:
	;; [unrolled: 9-line block ×3, first 2 shown]
	s_or_b64 exec, exec, s[6:7]
	v_or_b32_e32 v1, 0x200, v0
	v_cmp_gt_u32_e64 s[6:7], s18, v1
	v_pk_mov_b32 v[10:11], s[14:15], s[14:15] op_sel:[0,1]
	s_and_saveexec_b64 s[8:9], s[6:7]
	s_cbranch_execz .LBB2165_10
; %bb.9:
	v_lshlrev_b32_e32 v1, 3, v1
	global_load_dwordx2 v[10:11], v1, s[16:17]
.LBB2165_10:
	s_or_b64 exec, exec, s[8:9]
	v_or_b32_e32 v1, 0x280, v0
	v_cmp_gt_u32_e64 s[8:9], s18, v1
	v_pk_mov_b32 v[12:13], s[14:15], s[14:15] op_sel:[0,1]
	s_and_saveexec_b64 s[10:11], s[8:9]
	s_cbranch_execz .LBB2165_12
; %bb.11:
	v_lshlrev_b32_e32 v1, 3, v1
	global_load_dwordx2 v[12:13], v1, s[16:17]
.LBB2165_12:
	;; [unrolled: 10-line block ×3, first 2 shown]
	s_or_b64 exec, exec, s[14:15]
	v_mad_u32_u24 v1, v0, 48, v36
	s_waitcnt vmcnt(0)
	ds_write2st64_b64 v36, v[2:3], v[4:5] offset1:2
	ds_write2st64_b64 v36, v[6:7], v[8:9] offset0:4 offset1:6
	ds_write2st64_b64 v36, v[10:11], v[12:13] offset0:8 offset1:10
	ds_write_b64 v36, v[14:15] offset:6144
	s_waitcnt lgkmcnt(0)
	s_barrier
	ds_read2_b64 v[2:5], v1 offset1:1
	ds_read2_b64 v[10:13], v1 offset0:2 offset1:3
	ds_read2_b64 v[6:9], v1 offset0:4 offset1:5
	ds_read_b64 v[26:27], v1 offset:48
	s_load_dwordx2 s[16:17], s[4:5], 0x20
	s_waitcnt lgkmcnt(0)
	v_cmp_gt_u64_e64 s[4:5], v[2:3], v[4:5]
	v_cndmask_b32_e64 v19, v5, v3, s[4:5]
	v_cndmask_b32_e64 v18, v4, v2, s[4:5]
	v_cmp_gt_u64_e64 s[4:5], v[18:19], v[10:11]
	v_cndmask_b32_e64 v21, v11, v19, s[4:5]
	v_cndmask_b32_e64 v20, v10, v18, s[4:5]
	;; [unrolled: 3-line block ×5, first 2 shown]
	v_lshrrev_b32_e32 v14, 2, v0
	v_cmp_gt_u64_e64 s[4:5], v[28:29], v[26:27]
	v_and_b32_e32 v14, 24, v14
	v_cndmask_b32_e64 v31, v27, v29, s[4:5]
	v_cndmask_b32_e64 v30, v26, v28, s[4:5]
	v_add_u32_e32 v14, v36, v14
	v_cmp_gt_u32_e64 s[4:5], 64, v0
	s_barrier
	ds_write_b64 v14, v[30:31]
	s_waitcnt lgkmcnt(0)
	s_barrier
	s_and_saveexec_b64 s[18:19], s[4:5]
	s_cbranch_execz .LBB2165_18
; %bb.15:
	v_lshlrev_b32_e32 v14, 1, v0
	v_lshrrev_b32_e32 v15, 4, v0
	v_add_lshl_u32 v37, v15, v14, 3
	ds_read2_b64 v[14:17], v37 offset1:1
	v_mbcnt_lo_u32_b32 v32, -1, 0
	v_mbcnt_hi_u32_b32 v38, -1, v32
	v_and_b32_e32 v39, 15, v38
	v_and_b32_e32 v41, 16, v38
	s_waitcnt lgkmcnt(0)
	v_cmp_gt_u64_e64 s[4:5], v[14:15], v[16:17]
	v_cndmask_b32_e64 v17, v17, v15, s[4:5]
	v_cndmask_b32_e64 v16, v16, v14, s[4:5]
	v_cmp_ne_u32_e64 s[14:15], 0, v38
	v_mov_b32_dpp v33, v17 row_shr:1 row_mask:0xf bank_mask:0xf
	v_mov_b32_dpp v32, v16 row_shr:1 row_mask:0xf bank_mask:0xf
	v_cmp_gt_u64_e64 s[4:5], v[32:33], v[16:17]
	v_cndmask_b32_e64 v32, v16, v32, s[4:5]
	v_cndmask_b32_e64 v33, v17, v33, s[4:5]
	v_cmp_eq_u32_e64 s[4:5], 0, v39
	v_cndmask_b32_e64 v33, v33, v17, s[4:5]
	v_cndmask_b32_e64 v32, v32, v16, s[4:5]
	s_nop 0
	v_mov_b32_dpp v35, v33 row_shr:2 row_mask:0xf bank_mask:0xf
	v_mov_b32_dpp v34, v32 row_shr:2 row_mask:0xf bank_mask:0xf
	v_cmp_gt_u64_e64 s[4:5], v[34:35], v[32:33]
	v_cndmask_b32_e64 v34, v32, v34, s[4:5]
	v_cndmask_b32_e64 v35, v33, v35, s[4:5]
	v_cmp_lt_u32_e64 s[4:5], 1, v39
	v_cndmask_b32_e64 v33, v33, v35, s[4:5]
	v_cndmask_b32_e64 v32, v32, v34, s[4:5]
	s_nop 0
	v_mov_b32_dpp v35, v33 row_shr:4 row_mask:0xf bank_mask:0xf
	v_mov_b32_dpp v34, v32 row_shr:4 row_mask:0xf bank_mask:0xf
	v_cmp_gt_u64_e64 s[4:5], v[34:35], v[32:33]
	v_cndmask_b32_e64 v34, v32, v34, s[4:5]
	v_cndmask_b32_e64 v35, v33, v35, s[4:5]
	v_cmp_lt_u32_e64 s[4:5], 3, v39
	v_cndmask_b32_e64 v33, v33, v35, s[4:5]
	v_cndmask_b32_e64 v32, v32, v34, s[4:5]
	s_nop 0
	v_mov_b32_dpp v35, v33 row_shr:8 row_mask:0xf bank_mask:0xf
	v_mov_b32_dpp v34, v32 row_shr:8 row_mask:0xf bank_mask:0xf
	v_cmp_gt_u64_e64 s[4:5], v[34:35], v[32:33]
	v_cndmask_b32_e64 v34, v32, v34, s[4:5]
	v_cndmask_b32_e64 v35, v33, v35, s[4:5]
	v_cmp_lt_u32_e64 s[4:5], 7, v39
	v_cndmask_b32_e64 v33, v33, v35, s[4:5]
	v_cndmask_b32_e64 v32, v32, v34, s[4:5]
	s_nop 0
	v_mov_b32_dpp v35, v33 row_bcast:15 row_mask:0xf bank_mask:0xf
	v_mov_b32_dpp v34, v32 row_bcast:15 row_mask:0xf bank_mask:0xf
	v_cmp_gt_u64_e64 s[4:5], v[34:35], v[32:33]
	v_cndmask_b32_e64 v39, v33, v35, s[4:5]
	v_cndmask_b32_e64 v40, v32, v34, s[4:5]
	v_cmp_eq_u32_e64 s[4:5], 0, v41
	v_cndmask_b32_e64 v35, v39, v33, s[4:5]
	v_cndmask_b32_e64 v34, v40, v32, s[4:5]
	s_nop 0
	v_mov_b32_dpp v35, v35 row_bcast:31 row_mask:0xf bank_mask:0xf
	v_mov_b32_dpp v34, v34 row_bcast:31 row_mask:0xf bank_mask:0xf
	s_and_saveexec_b64 s[20:21], s[14:15]
; %bb.16:
	v_cndmask_b32_e64 v17, v39, v33, s[4:5]
	v_cndmask_b32_e64 v16, v40, v32, s[4:5]
	v_cmp_lt_u32_e64 s[14:15], 31, v38
	v_cmp_gt_u64_e64 s[4:5], v[34:35], v[16:17]
	s_and_b64 s[4:5], s[14:15], s[4:5]
	v_cndmask_b32_e64 v16, v16, v34, s[4:5]
	v_cndmask_b32_e64 v17, v17, v35, s[4:5]
; %bb.17:
	s_or_b64 exec, exec, s[20:21]
	v_add_u32_e32 v32, -1, v38
	v_and_b32_e32 v33, 64, v38
	v_cmp_lt_i32_e64 s[4:5], v32, v33
	v_cndmask_b32_e64 v32, v32, v38, s[4:5]
	v_lshlrev_b32_e32 v32, 2, v32
	ds_bpermute_b32 v16, v32, v16
	ds_bpermute_b32 v17, v32, v17
	; wave barrier
	s_waitcnt lgkmcnt(0)
	v_cmp_gt_u64_e64 s[4:5], v[16:17], v[14:15]
	v_cndmask_b32_e64 v14, v14, v16, s[4:5]
	v_cndmask_b32_e64 v15, v15, v17, s[4:5]
	v_cmp_eq_u32_e64 s[4:5], 0, v0
	v_cndmask_b32_e64 v15, v15, v31, s[4:5]
	v_cndmask_b32_e64 v14, v14, v30, s[4:5]
	ds_write_b64 v37, v[14:15]
	; wave barrier
	ds_read_b64 v[16:17], v37 offset:8
	s_waitcnt lgkmcnt(0)
	v_cmp_gt_u64_e64 s[4:5], v[14:15], v[16:17]
	v_cndmask_b32_e64 v15, v17, v15, s[4:5]
	v_cndmask_b32_e64 v14, v16, v14, s[4:5]
	ds_write_b64 v37, v[14:15] offset:8
.LBB2165_18:
	s_or_b64 exec, exec, s[18:19]
	v_cmp_ne_u32_e64 s[4:5], 0, v0
	v_pk_mov_b32 v[14:15], v[30:31], v[30:31] op_sel:[0,1]
	s_waitcnt lgkmcnt(0)
	s_barrier
	s_and_saveexec_b64 s[14:15], s[4:5]
	s_cbranch_execz .LBB2165_20
; %bb.19:
	v_add_u32_e32 v14, -1, v0
	v_lshrrev_b32_e32 v15, 5, v14
	v_add_lshl_u32 v14, v15, v14, 3
	ds_read_b64 v[14:15], v14
.LBB2165_20:
	s_or_b64 exec, exec, s[14:15]
	s_and_saveexec_b64 s[14:15], s[4:5]
	s_cbranch_execz .LBB2165_22
; %bb.21:
	s_waitcnt lgkmcnt(0)
	v_cmp_gt_u64_e64 s[4:5], v[14:15], v[2:3]
	v_cndmask_b32_e64 v3, v3, v15, s[4:5]
	v_cndmask_b32_e64 v2, v2, v14, s[4:5]
	v_cmp_gt_u64_e64 s[4:5], v[2:3], v[4:5]
	v_cndmask_b32_e64 v19, v5, v3, s[4:5]
	v_cndmask_b32_e64 v18, v4, v2, s[4:5]
	;; [unrolled: 3-line block ×7, first 2 shown]
	;;#ASMSTART
	;;#ASMEND
.LBB2165_22:
	s_or_b64 exec, exec, s[14:15]
	s_movk_i32 s4, 0xffd0
	v_mad_i32_i24 v0, v0, s4, v1
	s_waitcnt lgkmcnt(0)
	s_barrier
	ds_write2_b64 v1, v[2:3], v[18:19] offset1:1
	ds_write2_b64 v1, v[20:21], v[22:23] offset0:2 offset1:3
	ds_write2_b64 v1, v[24:25], v[28:29] offset0:4 offset1:5
	ds_write_b64 v1, v[30:31] offset:48
	s_waitcnt lgkmcnt(0)
	s_barrier
	ds_read2st64_b64 v[8:11], v0 offset0:2 offset1:4
	ds_read2st64_b64 v[4:7], v0 offset0:6 offset1:8
	;; [unrolled: 1-line block ×3, first 2 shown]
	v_mov_b32_e32 v13, s17
	v_add_co_u32_e64 v12, s[4:5], s16, v36
	v_addc_co_u32_e64 v13, s[4:5], 0, v13, s[4:5]
	s_and_saveexec_b64 s[4:5], vcc
	s_cbranch_execnz .LBB2165_30
; %bb.23:
	s_or_b64 exec, exec, s[4:5]
	s_and_saveexec_b64 s[4:5], s[0:1]
	s_cbranch_execnz .LBB2165_31
.LBB2165_24:
	s_or_b64 exec, exec, s[4:5]
	s_and_saveexec_b64 s[0:1], s[2:3]
	s_cbranch_execnz .LBB2165_32
.LBB2165_25:
	s_or_b64 exec, exec, s[0:1]
	s_and_saveexec_b64 s[0:1], s[12:13]
	s_cbranch_execnz .LBB2165_33
.LBB2165_26:
	s_or_b64 exec, exec, s[0:1]
	s_and_saveexec_b64 s[0:1], s[6:7]
	s_cbranch_execnz .LBB2165_34
.LBB2165_27:
	s_or_b64 exec, exec, s[0:1]
	s_and_saveexec_b64 s[0:1], s[8:9]
	s_cbranch_execnz .LBB2165_35
.LBB2165_28:
	s_or_b64 exec, exec, s[0:1]
	s_and_saveexec_b64 s[0:1], s[10:11]
	s_cbranch_execnz .LBB2165_36
.LBB2165_29:
	s_endpgm
.LBB2165_30:
	ds_read_b64 v[14:15], v36
	s_waitcnt lgkmcnt(0)
	global_store_dwordx2 v[12:13], v[14:15], off
	s_or_b64 exec, exec, s[4:5]
	s_and_saveexec_b64 s[4:5], s[0:1]
	s_cbranch_execz .LBB2165_24
.LBB2165_31:
	s_waitcnt lgkmcnt(2)
	global_store_dwordx2 v[12:13], v[8:9], off offset:1024
	s_or_b64 exec, exec, s[4:5]
	s_and_saveexec_b64 s[0:1], s[2:3]
	s_cbranch_execz .LBB2165_25
.LBB2165_32:
	s_waitcnt lgkmcnt(2)
	global_store_dwordx2 v[12:13], v[10:11], off offset:2048
	s_or_b64 exec, exec, s[0:1]
	s_and_saveexec_b64 s[0:1], s[12:13]
	s_cbranch_execz .LBB2165_26
.LBB2165_33:
	s_waitcnt lgkmcnt(1)
	global_store_dwordx2 v[12:13], v[4:5], off offset:3072
	s_or_b64 exec, exec, s[0:1]
	s_and_saveexec_b64 s[0:1], s[6:7]
	s_cbranch_execz .LBB2165_27
.LBB2165_34:
	s_waitcnt lgkmcnt(1)
	v_add_co_u32_e32 v4, vcc, 0x1000, v12
	v_addc_co_u32_e32 v5, vcc, 0, v13, vcc
	global_store_dwordx2 v[4:5], v[6:7], off
	s_or_b64 exec, exec, s[0:1]
	s_and_saveexec_b64 s[0:1], s[8:9]
	s_cbranch_execz .LBB2165_28
.LBB2165_35:
	s_waitcnt lgkmcnt(1)
	v_add_co_u32_e32 v4, vcc, 0x1000, v12
	v_addc_co_u32_e32 v5, vcc, 0, v13, vcc
	s_waitcnt lgkmcnt(0)
	global_store_dwordx2 v[4:5], v[0:1], off offset:1024
	s_or_b64 exec, exec, s[0:1]
	s_and_saveexec_b64 s[0:1], s[10:11]
	s_cbranch_execz .LBB2165_29
.LBB2165_36:
	s_waitcnt lgkmcnt(0)
	v_add_co_u32_e32 v0, vcc, 0x1000, v12
	v_addc_co_u32_e32 v1, vcc, 0, v13, vcc
	global_store_dwordx2 v[0:1], v[2:3], off offset:2048
	s_endpgm
	.section	.rodata,"a",@progbits
	.p2align	6, 0x0
	.amdhsa_kernel _ZN7rocprim17ROCPRIM_400000_NS6detail17trampoline_kernelINS0_14default_configENS1_20scan_config_selectorIyEEZZNS1_9scan_implILNS1_25lookback_scan_determinismE0ELb0ELb0ES3_N6thrust23THRUST_200600_302600_NS6detail15normal_iteratorINS9_10device_ptrIyEEEESE_y11max_functorIyEyEEDaPvRmT3_T4_T5_mT6_P12ihipStream_tbENKUlT_T0_E_clISt17integral_constantIbLb0EEST_IbLb1EEEEDaSP_SQ_EUlSP_E0_NS1_11comp_targetILNS1_3genE4ELNS1_11target_archE910ELNS1_3gpuE8ELNS1_3repE0EEENS1_30default_config_static_selectorELNS0_4arch9wavefront6targetE1EEEvT1_
		.amdhsa_group_segment_fixed_size 7168
		.amdhsa_private_segment_fixed_size 0
		.amdhsa_kernarg_size 40
		.amdhsa_user_sgpr_count 6
		.amdhsa_user_sgpr_private_segment_buffer 1
		.amdhsa_user_sgpr_dispatch_ptr 0
		.amdhsa_user_sgpr_queue_ptr 0
		.amdhsa_user_sgpr_kernarg_segment_ptr 1
		.amdhsa_user_sgpr_dispatch_id 0
		.amdhsa_user_sgpr_flat_scratch_init 0
		.amdhsa_user_sgpr_kernarg_preload_length 0
		.amdhsa_user_sgpr_kernarg_preload_offset 0
		.amdhsa_user_sgpr_private_segment_size 0
		.amdhsa_uses_dynamic_stack 0
		.amdhsa_system_sgpr_private_segment_wavefront_offset 0
		.amdhsa_system_sgpr_workgroup_id_x 1
		.amdhsa_system_sgpr_workgroup_id_y 0
		.amdhsa_system_sgpr_workgroup_id_z 0
		.amdhsa_system_sgpr_workgroup_info 0
		.amdhsa_system_vgpr_workitem_id 0
		.amdhsa_next_free_vgpr 42
		.amdhsa_next_free_sgpr 22
		.amdhsa_accum_offset 44
		.amdhsa_reserve_vcc 1
		.amdhsa_reserve_flat_scratch 0
		.amdhsa_float_round_mode_32 0
		.amdhsa_float_round_mode_16_64 0
		.amdhsa_float_denorm_mode_32 3
		.amdhsa_float_denorm_mode_16_64 3
		.amdhsa_dx10_clamp 1
		.amdhsa_ieee_mode 1
		.amdhsa_fp16_overflow 0
		.amdhsa_tg_split 0
		.amdhsa_exception_fp_ieee_invalid_op 0
		.amdhsa_exception_fp_denorm_src 0
		.amdhsa_exception_fp_ieee_div_zero 0
		.amdhsa_exception_fp_ieee_overflow 0
		.amdhsa_exception_fp_ieee_underflow 0
		.amdhsa_exception_fp_ieee_inexact 0
		.amdhsa_exception_int_div_zero 0
	.end_amdhsa_kernel
	.section	.text._ZN7rocprim17ROCPRIM_400000_NS6detail17trampoline_kernelINS0_14default_configENS1_20scan_config_selectorIyEEZZNS1_9scan_implILNS1_25lookback_scan_determinismE0ELb0ELb0ES3_N6thrust23THRUST_200600_302600_NS6detail15normal_iteratorINS9_10device_ptrIyEEEESE_y11max_functorIyEyEEDaPvRmT3_T4_T5_mT6_P12ihipStream_tbENKUlT_T0_E_clISt17integral_constantIbLb0EEST_IbLb1EEEEDaSP_SQ_EUlSP_E0_NS1_11comp_targetILNS1_3genE4ELNS1_11target_archE910ELNS1_3gpuE8ELNS1_3repE0EEENS1_30default_config_static_selectorELNS0_4arch9wavefront6targetE1EEEvT1_,"axG",@progbits,_ZN7rocprim17ROCPRIM_400000_NS6detail17trampoline_kernelINS0_14default_configENS1_20scan_config_selectorIyEEZZNS1_9scan_implILNS1_25lookback_scan_determinismE0ELb0ELb0ES3_N6thrust23THRUST_200600_302600_NS6detail15normal_iteratorINS9_10device_ptrIyEEEESE_y11max_functorIyEyEEDaPvRmT3_T4_T5_mT6_P12ihipStream_tbENKUlT_T0_E_clISt17integral_constantIbLb0EEST_IbLb1EEEEDaSP_SQ_EUlSP_E0_NS1_11comp_targetILNS1_3genE4ELNS1_11target_archE910ELNS1_3gpuE8ELNS1_3repE0EEENS1_30default_config_static_selectorELNS0_4arch9wavefront6targetE1EEEvT1_,comdat
.Lfunc_end2165:
	.size	_ZN7rocprim17ROCPRIM_400000_NS6detail17trampoline_kernelINS0_14default_configENS1_20scan_config_selectorIyEEZZNS1_9scan_implILNS1_25lookback_scan_determinismE0ELb0ELb0ES3_N6thrust23THRUST_200600_302600_NS6detail15normal_iteratorINS9_10device_ptrIyEEEESE_y11max_functorIyEyEEDaPvRmT3_T4_T5_mT6_P12ihipStream_tbENKUlT_T0_E_clISt17integral_constantIbLb0EEST_IbLb1EEEEDaSP_SQ_EUlSP_E0_NS1_11comp_targetILNS1_3genE4ELNS1_11target_archE910ELNS1_3gpuE8ELNS1_3repE0EEENS1_30default_config_static_selectorELNS0_4arch9wavefront6targetE1EEEvT1_, .Lfunc_end2165-_ZN7rocprim17ROCPRIM_400000_NS6detail17trampoline_kernelINS0_14default_configENS1_20scan_config_selectorIyEEZZNS1_9scan_implILNS1_25lookback_scan_determinismE0ELb0ELb0ES3_N6thrust23THRUST_200600_302600_NS6detail15normal_iteratorINS9_10device_ptrIyEEEESE_y11max_functorIyEyEEDaPvRmT3_T4_T5_mT6_P12ihipStream_tbENKUlT_T0_E_clISt17integral_constantIbLb0EEST_IbLb1EEEEDaSP_SQ_EUlSP_E0_NS1_11comp_targetILNS1_3genE4ELNS1_11target_archE910ELNS1_3gpuE8ELNS1_3repE0EEENS1_30default_config_static_selectorELNS0_4arch9wavefront6targetE1EEEvT1_
                                        ; -- End function
	.section	.AMDGPU.csdata,"",@progbits
; Kernel info:
; codeLenInByte = 1916
; NumSgprs: 26
; NumVgprs: 42
; NumAgprs: 0
; TotalNumVgprs: 42
; ScratchSize: 0
; MemoryBound: 0
; FloatMode: 240
; IeeeMode: 1
; LDSByteSize: 7168 bytes/workgroup (compile time only)
; SGPRBlocks: 3
; VGPRBlocks: 5
; NumSGPRsForWavesPerEU: 26
; NumVGPRsForWavesPerEU: 42
; AccumOffset: 44
; Occupancy: 5
; WaveLimiterHint : 0
; COMPUTE_PGM_RSRC2:SCRATCH_EN: 0
; COMPUTE_PGM_RSRC2:USER_SGPR: 6
; COMPUTE_PGM_RSRC2:TRAP_HANDLER: 0
; COMPUTE_PGM_RSRC2:TGID_X_EN: 1
; COMPUTE_PGM_RSRC2:TGID_Y_EN: 0
; COMPUTE_PGM_RSRC2:TGID_Z_EN: 0
; COMPUTE_PGM_RSRC2:TIDIG_COMP_CNT: 0
; COMPUTE_PGM_RSRC3_GFX90A:ACCUM_OFFSET: 10
; COMPUTE_PGM_RSRC3_GFX90A:TG_SPLIT: 0
	.section	.text._ZN7rocprim17ROCPRIM_400000_NS6detail17trampoline_kernelINS0_14default_configENS1_20scan_config_selectorIyEEZZNS1_9scan_implILNS1_25lookback_scan_determinismE0ELb0ELb0ES3_N6thrust23THRUST_200600_302600_NS6detail15normal_iteratorINS9_10device_ptrIyEEEESE_y11max_functorIyEyEEDaPvRmT3_T4_T5_mT6_P12ihipStream_tbENKUlT_T0_E_clISt17integral_constantIbLb0EEST_IbLb1EEEEDaSP_SQ_EUlSP_E0_NS1_11comp_targetILNS1_3genE3ELNS1_11target_archE908ELNS1_3gpuE7ELNS1_3repE0EEENS1_30default_config_static_selectorELNS0_4arch9wavefront6targetE1EEEvT1_,"axG",@progbits,_ZN7rocprim17ROCPRIM_400000_NS6detail17trampoline_kernelINS0_14default_configENS1_20scan_config_selectorIyEEZZNS1_9scan_implILNS1_25lookback_scan_determinismE0ELb0ELb0ES3_N6thrust23THRUST_200600_302600_NS6detail15normal_iteratorINS9_10device_ptrIyEEEESE_y11max_functorIyEyEEDaPvRmT3_T4_T5_mT6_P12ihipStream_tbENKUlT_T0_E_clISt17integral_constantIbLb0EEST_IbLb1EEEEDaSP_SQ_EUlSP_E0_NS1_11comp_targetILNS1_3genE3ELNS1_11target_archE908ELNS1_3gpuE7ELNS1_3repE0EEENS1_30default_config_static_selectorELNS0_4arch9wavefront6targetE1EEEvT1_,comdat
	.protected	_ZN7rocprim17ROCPRIM_400000_NS6detail17trampoline_kernelINS0_14default_configENS1_20scan_config_selectorIyEEZZNS1_9scan_implILNS1_25lookback_scan_determinismE0ELb0ELb0ES3_N6thrust23THRUST_200600_302600_NS6detail15normal_iteratorINS9_10device_ptrIyEEEESE_y11max_functorIyEyEEDaPvRmT3_T4_T5_mT6_P12ihipStream_tbENKUlT_T0_E_clISt17integral_constantIbLb0EEST_IbLb1EEEEDaSP_SQ_EUlSP_E0_NS1_11comp_targetILNS1_3genE3ELNS1_11target_archE908ELNS1_3gpuE7ELNS1_3repE0EEENS1_30default_config_static_selectorELNS0_4arch9wavefront6targetE1EEEvT1_ ; -- Begin function _ZN7rocprim17ROCPRIM_400000_NS6detail17trampoline_kernelINS0_14default_configENS1_20scan_config_selectorIyEEZZNS1_9scan_implILNS1_25lookback_scan_determinismE0ELb0ELb0ES3_N6thrust23THRUST_200600_302600_NS6detail15normal_iteratorINS9_10device_ptrIyEEEESE_y11max_functorIyEyEEDaPvRmT3_T4_T5_mT6_P12ihipStream_tbENKUlT_T0_E_clISt17integral_constantIbLb0EEST_IbLb1EEEEDaSP_SQ_EUlSP_E0_NS1_11comp_targetILNS1_3genE3ELNS1_11target_archE908ELNS1_3gpuE7ELNS1_3repE0EEENS1_30default_config_static_selectorELNS0_4arch9wavefront6targetE1EEEvT1_
	.globl	_ZN7rocprim17ROCPRIM_400000_NS6detail17trampoline_kernelINS0_14default_configENS1_20scan_config_selectorIyEEZZNS1_9scan_implILNS1_25lookback_scan_determinismE0ELb0ELb0ES3_N6thrust23THRUST_200600_302600_NS6detail15normal_iteratorINS9_10device_ptrIyEEEESE_y11max_functorIyEyEEDaPvRmT3_T4_T5_mT6_P12ihipStream_tbENKUlT_T0_E_clISt17integral_constantIbLb0EEST_IbLb1EEEEDaSP_SQ_EUlSP_E0_NS1_11comp_targetILNS1_3genE3ELNS1_11target_archE908ELNS1_3gpuE7ELNS1_3repE0EEENS1_30default_config_static_selectorELNS0_4arch9wavefront6targetE1EEEvT1_
	.p2align	8
	.type	_ZN7rocprim17ROCPRIM_400000_NS6detail17trampoline_kernelINS0_14default_configENS1_20scan_config_selectorIyEEZZNS1_9scan_implILNS1_25lookback_scan_determinismE0ELb0ELb0ES3_N6thrust23THRUST_200600_302600_NS6detail15normal_iteratorINS9_10device_ptrIyEEEESE_y11max_functorIyEyEEDaPvRmT3_T4_T5_mT6_P12ihipStream_tbENKUlT_T0_E_clISt17integral_constantIbLb0EEST_IbLb1EEEEDaSP_SQ_EUlSP_E0_NS1_11comp_targetILNS1_3genE3ELNS1_11target_archE908ELNS1_3gpuE7ELNS1_3repE0EEENS1_30default_config_static_selectorELNS0_4arch9wavefront6targetE1EEEvT1_,@function
_ZN7rocprim17ROCPRIM_400000_NS6detail17trampoline_kernelINS0_14default_configENS1_20scan_config_selectorIyEEZZNS1_9scan_implILNS1_25lookback_scan_determinismE0ELb0ELb0ES3_N6thrust23THRUST_200600_302600_NS6detail15normal_iteratorINS9_10device_ptrIyEEEESE_y11max_functorIyEyEEDaPvRmT3_T4_T5_mT6_P12ihipStream_tbENKUlT_T0_E_clISt17integral_constantIbLb0EEST_IbLb1EEEEDaSP_SQ_EUlSP_E0_NS1_11comp_targetILNS1_3genE3ELNS1_11target_archE908ELNS1_3gpuE7ELNS1_3repE0EEENS1_30default_config_static_selectorELNS0_4arch9wavefront6targetE1EEEvT1_: ; @_ZN7rocprim17ROCPRIM_400000_NS6detail17trampoline_kernelINS0_14default_configENS1_20scan_config_selectorIyEEZZNS1_9scan_implILNS1_25lookback_scan_determinismE0ELb0ELb0ES3_N6thrust23THRUST_200600_302600_NS6detail15normal_iteratorINS9_10device_ptrIyEEEESE_y11max_functorIyEyEEDaPvRmT3_T4_T5_mT6_P12ihipStream_tbENKUlT_T0_E_clISt17integral_constantIbLb0EEST_IbLb1EEEEDaSP_SQ_EUlSP_E0_NS1_11comp_targetILNS1_3genE3ELNS1_11target_archE908ELNS1_3gpuE7ELNS1_3repE0EEENS1_30default_config_static_selectorELNS0_4arch9wavefront6targetE1EEEvT1_
; %bb.0:
	.section	.rodata,"a",@progbits
	.p2align	6, 0x0
	.amdhsa_kernel _ZN7rocprim17ROCPRIM_400000_NS6detail17trampoline_kernelINS0_14default_configENS1_20scan_config_selectorIyEEZZNS1_9scan_implILNS1_25lookback_scan_determinismE0ELb0ELb0ES3_N6thrust23THRUST_200600_302600_NS6detail15normal_iteratorINS9_10device_ptrIyEEEESE_y11max_functorIyEyEEDaPvRmT3_T4_T5_mT6_P12ihipStream_tbENKUlT_T0_E_clISt17integral_constantIbLb0EEST_IbLb1EEEEDaSP_SQ_EUlSP_E0_NS1_11comp_targetILNS1_3genE3ELNS1_11target_archE908ELNS1_3gpuE7ELNS1_3repE0EEENS1_30default_config_static_selectorELNS0_4arch9wavefront6targetE1EEEvT1_
		.amdhsa_group_segment_fixed_size 0
		.amdhsa_private_segment_fixed_size 0
		.amdhsa_kernarg_size 40
		.amdhsa_user_sgpr_count 6
		.amdhsa_user_sgpr_private_segment_buffer 1
		.amdhsa_user_sgpr_dispatch_ptr 0
		.amdhsa_user_sgpr_queue_ptr 0
		.amdhsa_user_sgpr_kernarg_segment_ptr 1
		.amdhsa_user_sgpr_dispatch_id 0
		.amdhsa_user_sgpr_flat_scratch_init 0
		.amdhsa_user_sgpr_kernarg_preload_length 0
		.amdhsa_user_sgpr_kernarg_preload_offset 0
		.amdhsa_user_sgpr_private_segment_size 0
		.amdhsa_uses_dynamic_stack 0
		.amdhsa_system_sgpr_private_segment_wavefront_offset 0
		.amdhsa_system_sgpr_workgroup_id_x 1
		.amdhsa_system_sgpr_workgroup_id_y 0
		.amdhsa_system_sgpr_workgroup_id_z 0
		.amdhsa_system_sgpr_workgroup_info 0
		.amdhsa_system_vgpr_workitem_id 0
		.amdhsa_next_free_vgpr 1
		.amdhsa_next_free_sgpr 0
		.amdhsa_accum_offset 4
		.amdhsa_reserve_vcc 0
		.amdhsa_reserve_flat_scratch 0
		.amdhsa_float_round_mode_32 0
		.amdhsa_float_round_mode_16_64 0
		.amdhsa_float_denorm_mode_32 3
		.amdhsa_float_denorm_mode_16_64 3
		.amdhsa_dx10_clamp 1
		.amdhsa_ieee_mode 1
		.amdhsa_fp16_overflow 0
		.amdhsa_tg_split 0
		.amdhsa_exception_fp_ieee_invalid_op 0
		.amdhsa_exception_fp_denorm_src 0
		.amdhsa_exception_fp_ieee_div_zero 0
		.amdhsa_exception_fp_ieee_overflow 0
		.amdhsa_exception_fp_ieee_underflow 0
		.amdhsa_exception_fp_ieee_inexact 0
		.amdhsa_exception_int_div_zero 0
	.end_amdhsa_kernel
	.section	.text._ZN7rocprim17ROCPRIM_400000_NS6detail17trampoline_kernelINS0_14default_configENS1_20scan_config_selectorIyEEZZNS1_9scan_implILNS1_25lookback_scan_determinismE0ELb0ELb0ES3_N6thrust23THRUST_200600_302600_NS6detail15normal_iteratorINS9_10device_ptrIyEEEESE_y11max_functorIyEyEEDaPvRmT3_T4_T5_mT6_P12ihipStream_tbENKUlT_T0_E_clISt17integral_constantIbLb0EEST_IbLb1EEEEDaSP_SQ_EUlSP_E0_NS1_11comp_targetILNS1_3genE3ELNS1_11target_archE908ELNS1_3gpuE7ELNS1_3repE0EEENS1_30default_config_static_selectorELNS0_4arch9wavefront6targetE1EEEvT1_,"axG",@progbits,_ZN7rocprim17ROCPRIM_400000_NS6detail17trampoline_kernelINS0_14default_configENS1_20scan_config_selectorIyEEZZNS1_9scan_implILNS1_25lookback_scan_determinismE0ELb0ELb0ES3_N6thrust23THRUST_200600_302600_NS6detail15normal_iteratorINS9_10device_ptrIyEEEESE_y11max_functorIyEyEEDaPvRmT3_T4_T5_mT6_P12ihipStream_tbENKUlT_T0_E_clISt17integral_constantIbLb0EEST_IbLb1EEEEDaSP_SQ_EUlSP_E0_NS1_11comp_targetILNS1_3genE3ELNS1_11target_archE908ELNS1_3gpuE7ELNS1_3repE0EEENS1_30default_config_static_selectorELNS0_4arch9wavefront6targetE1EEEvT1_,comdat
.Lfunc_end2166:
	.size	_ZN7rocprim17ROCPRIM_400000_NS6detail17trampoline_kernelINS0_14default_configENS1_20scan_config_selectorIyEEZZNS1_9scan_implILNS1_25lookback_scan_determinismE0ELb0ELb0ES3_N6thrust23THRUST_200600_302600_NS6detail15normal_iteratorINS9_10device_ptrIyEEEESE_y11max_functorIyEyEEDaPvRmT3_T4_T5_mT6_P12ihipStream_tbENKUlT_T0_E_clISt17integral_constantIbLb0EEST_IbLb1EEEEDaSP_SQ_EUlSP_E0_NS1_11comp_targetILNS1_3genE3ELNS1_11target_archE908ELNS1_3gpuE7ELNS1_3repE0EEENS1_30default_config_static_selectorELNS0_4arch9wavefront6targetE1EEEvT1_, .Lfunc_end2166-_ZN7rocprim17ROCPRIM_400000_NS6detail17trampoline_kernelINS0_14default_configENS1_20scan_config_selectorIyEEZZNS1_9scan_implILNS1_25lookback_scan_determinismE0ELb0ELb0ES3_N6thrust23THRUST_200600_302600_NS6detail15normal_iteratorINS9_10device_ptrIyEEEESE_y11max_functorIyEyEEDaPvRmT3_T4_T5_mT6_P12ihipStream_tbENKUlT_T0_E_clISt17integral_constantIbLb0EEST_IbLb1EEEEDaSP_SQ_EUlSP_E0_NS1_11comp_targetILNS1_3genE3ELNS1_11target_archE908ELNS1_3gpuE7ELNS1_3repE0EEENS1_30default_config_static_selectorELNS0_4arch9wavefront6targetE1EEEvT1_
                                        ; -- End function
	.section	.AMDGPU.csdata,"",@progbits
; Kernel info:
; codeLenInByte = 0
; NumSgprs: 4
; NumVgprs: 0
; NumAgprs: 0
; TotalNumVgprs: 0
; ScratchSize: 0
; MemoryBound: 0
; FloatMode: 240
; IeeeMode: 1
; LDSByteSize: 0 bytes/workgroup (compile time only)
; SGPRBlocks: 0
; VGPRBlocks: 0
; NumSGPRsForWavesPerEU: 4
; NumVGPRsForWavesPerEU: 1
; AccumOffset: 4
; Occupancy: 8
; WaveLimiterHint : 0
; COMPUTE_PGM_RSRC2:SCRATCH_EN: 0
; COMPUTE_PGM_RSRC2:USER_SGPR: 6
; COMPUTE_PGM_RSRC2:TRAP_HANDLER: 0
; COMPUTE_PGM_RSRC2:TGID_X_EN: 1
; COMPUTE_PGM_RSRC2:TGID_Y_EN: 0
; COMPUTE_PGM_RSRC2:TGID_Z_EN: 0
; COMPUTE_PGM_RSRC2:TIDIG_COMP_CNT: 0
; COMPUTE_PGM_RSRC3_GFX90A:ACCUM_OFFSET: 0
; COMPUTE_PGM_RSRC3_GFX90A:TG_SPLIT: 0
	.section	.text._ZN7rocprim17ROCPRIM_400000_NS6detail17trampoline_kernelINS0_14default_configENS1_20scan_config_selectorIyEEZZNS1_9scan_implILNS1_25lookback_scan_determinismE0ELb0ELb0ES3_N6thrust23THRUST_200600_302600_NS6detail15normal_iteratorINS9_10device_ptrIyEEEESE_y11max_functorIyEyEEDaPvRmT3_T4_T5_mT6_P12ihipStream_tbENKUlT_T0_E_clISt17integral_constantIbLb0EEST_IbLb1EEEEDaSP_SQ_EUlSP_E0_NS1_11comp_targetILNS1_3genE2ELNS1_11target_archE906ELNS1_3gpuE6ELNS1_3repE0EEENS1_30default_config_static_selectorELNS0_4arch9wavefront6targetE1EEEvT1_,"axG",@progbits,_ZN7rocprim17ROCPRIM_400000_NS6detail17trampoline_kernelINS0_14default_configENS1_20scan_config_selectorIyEEZZNS1_9scan_implILNS1_25lookback_scan_determinismE0ELb0ELb0ES3_N6thrust23THRUST_200600_302600_NS6detail15normal_iteratorINS9_10device_ptrIyEEEESE_y11max_functorIyEyEEDaPvRmT3_T4_T5_mT6_P12ihipStream_tbENKUlT_T0_E_clISt17integral_constantIbLb0EEST_IbLb1EEEEDaSP_SQ_EUlSP_E0_NS1_11comp_targetILNS1_3genE2ELNS1_11target_archE906ELNS1_3gpuE6ELNS1_3repE0EEENS1_30default_config_static_selectorELNS0_4arch9wavefront6targetE1EEEvT1_,comdat
	.protected	_ZN7rocprim17ROCPRIM_400000_NS6detail17trampoline_kernelINS0_14default_configENS1_20scan_config_selectorIyEEZZNS1_9scan_implILNS1_25lookback_scan_determinismE0ELb0ELb0ES3_N6thrust23THRUST_200600_302600_NS6detail15normal_iteratorINS9_10device_ptrIyEEEESE_y11max_functorIyEyEEDaPvRmT3_T4_T5_mT6_P12ihipStream_tbENKUlT_T0_E_clISt17integral_constantIbLb0EEST_IbLb1EEEEDaSP_SQ_EUlSP_E0_NS1_11comp_targetILNS1_3genE2ELNS1_11target_archE906ELNS1_3gpuE6ELNS1_3repE0EEENS1_30default_config_static_selectorELNS0_4arch9wavefront6targetE1EEEvT1_ ; -- Begin function _ZN7rocprim17ROCPRIM_400000_NS6detail17trampoline_kernelINS0_14default_configENS1_20scan_config_selectorIyEEZZNS1_9scan_implILNS1_25lookback_scan_determinismE0ELb0ELb0ES3_N6thrust23THRUST_200600_302600_NS6detail15normal_iteratorINS9_10device_ptrIyEEEESE_y11max_functorIyEyEEDaPvRmT3_T4_T5_mT6_P12ihipStream_tbENKUlT_T0_E_clISt17integral_constantIbLb0EEST_IbLb1EEEEDaSP_SQ_EUlSP_E0_NS1_11comp_targetILNS1_3genE2ELNS1_11target_archE906ELNS1_3gpuE6ELNS1_3repE0EEENS1_30default_config_static_selectorELNS0_4arch9wavefront6targetE1EEEvT1_
	.globl	_ZN7rocprim17ROCPRIM_400000_NS6detail17trampoline_kernelINS0_14default_configENS1_20scan_config_selectorIyEEZZNS1_9scan_implILNS1_25lookback_scan_determinismE0ELb0ELb0ES3_N6thrust23THRUST_200600_302600_NS6detail15normal_iteratorINS9_10device_ptrIyEEEESE_y11max_functorIyEyEEDaPvRmT3_T4_T5_mT6_P12ihipStream_tbENKUlT_T0_E_clISt17integral_constantIbLb0EEST_IbLb1EEEEDaSP_SQ_EUlSP_E0_NS1_11comp_targetILNS1_3genE2ELNS1_11target_archE906ELNS1_3gpuE6ELNS1_3repE0EEENS1_30default_config_static_selectorELNS0_4arch9wavefront6targetE1EEEvT1_
	.p2align	8
	.type	_ZN7rocprim17ROCPRIM_400000_NS6detail17trampoline_kernelINS0_14default_configENS1_20scan_config_selectorIyEEZZNS1_9scan_implILNS1_25lookback_scan_determinismE0ELb0ELb0ES3_N6thrust23THRUST_200600_302600_NS6detail15normal_iteratorINS9_10device_ptrIyEEEESE_y11max_functorIyEyEEDaPvRmT3_T4_T5_mT6_P12ihipStream_tbENKUlT_T0_E_clISt17integral_constantIbLb0EEST_IbLb1EEEEDaSP_SQ_EUlSP_E0_NS1_11comp_targetILNS1_3genE2ELNS1_11target_archE906ELNS1_3gpuE6ELNS1_3repE0EEENS1_30default_config_static_selectorELNS0_4arch9wavefront6targetE1EEEvT1_,@function
_ZN7rocprim17ROCPRIM_400000_NS6detail17trampoline_kernelINS0_14default_configENS1_20scan_config_selectorIyEEZZNS1_9scan_implILNS1_25lookback_scan_determinismE0ELb0ELb0ES3_N6thrust23THRUST_200600_302600_NS6detail15normal_iteratorINS9_10device_ptrIyEEEESE_y11max_functorIyEyEEDaPvRmT3_T4_T5_mT6_P12ihipStream_tbENKUlT_T0_E_clISt17integral_constantIbLb0EEST_IbLb1EEEEDaSP_SQ_EUlSP_E0_NS1_11comp_targetILNS1_3genE2ELNS1_11target_archE906ELNS1_3gpuE6ELNS1_3repE0EEENS1_30default_config_static_selectorELNS0_4arch9wavefront6targetE1EEEvT1_: ; @_ZN7rocprim17ROCPRIM_400000_NS6detail17trampoline_kernelINS0_14default_configENS1_20scan_config_selectorIyEEZZNS1_9scan_implILNS1_25lookback_scan_determinismE0ELb0ELb0ES3_N6thrust23THRUST_200600_302600_NS6detail15normal_iteratorINS9_10device_ptrIyEEEESE_y11max_functorIyEyEEDaPvRmT3_T4_T5_mT6_P12ihipStream_tbENKUlT_T0_E_clISt17integral_constantIbLb0EEST_IbLb1EEEEDaSP_SQ_EUlSP_E0_NS1_11comp_targetILNS1_3genE2ELNS1_11target_archE906ELNS1_3gpuE6ELNS1_3repE0EEENS1_30default_config_static_selectorELNS0_4arch9wavefront6targetE1EEEvT1_
; %bb.0:
	.section	.rodata,"a",@progbits
	.p2align	6, 0x0
	.amdhsa_kernel _ZN7rocprim17ROCPRIM_400000_NS6detail17trampoline_kernelINS0_14default_configENS1_20scan_config_selectorIyEEZZNS1_9scan_implILNS1_25lookback_scan_determinismE0ELb0ELb0ES3_N6thrust23THRUST_200600_302600_NS6detail15normal_iteratorINS9_10device_ptrIyEEEESE_y11max_functorIyEyEEDaPvRmT3_T4_T5_mT6_P12ihipStream_tbENKUlT_T0_E_clISt17integral_constantIbLb0EEST_IbLb1EEEEDaSP_SQ_EUlSP_E0_NS1_11comp_targetILNS1_3genE2ELNS1_11target_archE906ELNS1_3gpuE6ELNS1_3repE0EEENS1_30default_config_static_selectorELNS0_4arch9wavefront6targetE1EEEvT1_
		.amdhsa_group_segment_fixed_size 0
		.amdhsa_private_segment_fixed_size 0
		.amdhsa_kernarg_size 40
		.amdhsa_user_sgpr_count 6
		.amdhsa_user_sgpr_private_segment_buffer 1
		.amdhsa_user_sgpr_dispatch_ptr 0
		.amdhsa_user_sgpr_queue_ptr 0
		.amdhsa_user_sgpr_kernarg_segment_ptr 1
		.amdhsa_user_sgpr_dispatch_id 0
		.amdhsa_user_sgpr_flat_scratch_init 0
		.amdhsa_user_sgpr_kernarg_preload_length 0
		.amdhsa_user_sgpr_kernarg_preload_offset 0
		.amdhsa_user_sgpr_private_segment_size 0
		.amdhsa_uses_dynamic_stack 0
		.amdhsa_system_sgpr_private_segment_wavefront_offset 0
		.amdhsa_system_sgpr_workgroup_id_x 1
		.amdhsa_system_sgpr_workgroup_id_y 0
		.amdhsa_system_sgpr_workgroup_id_z 0
		.amdhsa_system_sgpr_workgroup_info 0
		.amdhsa_system_vgpr_workitem_id 0
		.amdhsa_next_free_vgpr 1
		.amdhsa_next_free_sgpr 0
		.amdhsa_accum_offset 4
		.amdhsa_reserve_vcc 0
		.amdhsa_reserve_flat_scratch 0
		.amdhsa_float_round_mode_32 0
		.amdhsa_float_round_mode_16_64 0
		.amdhsa_float_denorm_mode_32 3
		.amdhsa_float_denorm_mode_16_64 3
		.amdhsa_dx10_clamp 1
		.amdhsa_ieee_mode 1
		.amdhsa_fp16_overflow 0
		.amdhsa_tg_split 0
		.amdhsa_exception_fp_ieee_invalid_op 0
		.amdhsa_exception_fp_denorm_src 0
		.amdhsa_exception_fp_ieee_div_zero 0
		.amdhsa_exception_fp_ieee_overflow 0
		.amdhsa_exception_fp_ieee_underflow 0
		.amdhsa_exception_fp_ieee_inexact 0
		.amdhsa_exception_int_div_zero 0
	.end_amdhsa_kernel
	.section	.text._ZN7rocprim17ROCPRIM_400000_NS6detail17trampoline_kernelINS0_14default_configENS1_20scan_config_selectorIyEEZZNS1_9scan_implILNS1_25lookback_scan_determinismE0ELb0ELb0ES3_N6thrust23THRUST_200600_302600_NS6detail15normal_iteratorINS9_10device_ptrIyEEEESE_y11max_functorIyEyEEDaPvRmT3_T4_T5_mT6_P12ihipStream_tbENKUlT_T0_E_clISt17integral_constantIbLb0EEST_IbLb1EEEEDaSP_SQ_EUlSP_E0_NS1_11comp_targetILNS1_3genE2ELNS1_11target_archE906ELNS1_3gpuE6ELNS1_3repE0EEENS1_30default_config_static_selectorELNS0_4arch9wavefront6targetE1EEEvT1_,"axG",@progbits,_ZN7rocprim17ROCPRIM_400000_NS6detail17trampoline_kernelINS0_14default_configENS1_20scan_config_selectorIyEEZZNS1_9scan_implILNS1_25lookback_scan_determinismE0ELb0ELb0ES3_N6thrust23THRUST_200600_302600_NS6detail15normal_iteratorINS9_10device_ptrIyEEEESE_y11max_functorIyEyEEDaPvRmT3_T4_T5_mT6_P12ihipStream_tbENKUlT_T0_E_clISt17integral_constantIbLb0EEST_IbLb1EEEEDaSP_SQ_EUlSP_E0_NS1_11comp_targetILNS1_3genE2ELNS1_11target_archE906ELNS1_3gpuE6ELNS1_3repE0EEENS1_30default_config_static_selectorELNS0_4arch9wavefront6targetE1EEEvT1_,comdat
.Lfunc_end2167:
	.size	_ZN7rocprim17ROCPRIM_400000_NS6detail17trampoline_kernelINS0_14default_configENS1_20scan_config_selectorIyEEZZNS1_9scan_implILNS1_25lookback_scan_determinismE0ELb0ELb0ES3_N6thrust23THRUST_200600_302600_NS6detail15normal_iteratorINS9_10device_ptrIyEEEESE_y11max_functorIyEyEEDaPvRmT3_T4_T5_mT6_P12ihipStream_tbENKUlT_T0_E_clISt17integral_constantIbLb0EEST_IbLb1EEEEDaSP_SQ_EUlSP_E0_NS1_11comp_targetILNS1_3genE2ELNS1_11target_archE906ELNS1_3gpuE6ELNS1_3repE0EEENS1_30default_config_static_selectorELNS0_4arch9wavefront6targetE1EEEvT1_, .Lfunc_end2167-_ZN7rocprim17ROCPRIM_400000_NS6detail17trampoline_kernelINS0_14default_configENS1_20scan_config_selectorIyEEZZNS1_9scan_implILNS1_25lookback_scan_determinismE0ELb0ELb0ES3_N6thrust23THRUST_200600_302600_NS6detail15normal_iteratorINS9_10device_ptrIyEEEESE_y11max_functorIyEyEEDaPvRmT3_T4_T5_mT6_P12ihipStream_tbENKUlT_T0_E_clISt17integral_constantIbLb0EEST_IbLb1EEEEDaSP_SQ_EUlSP_E0_NS1_11comp_targetILNS1_3genE2ELNS1_11target_archE906ELNS1_3gpuE6ELNS1_3repE0EEENS1_30default_config_static_selectorELNS0_4arch9wavefront6targetE1EEEvT1_
                                        ; -- End function
	.section	.AMDGPU.csdata,"",@progbits
; Kernel info:
; codeLenInByte = 0
; NumSgprs: 4
; NumVgprs: 0
; NumAgprs: 0
; TotalNumVgprs: 0
; ScratchSize: 0
; MemoryBound: 0
; FloatMode: 240
; IeeeMode: 1
; LDSByteSize: 0 bytes/workgroup (compile time only)
; SGPRBlocks: 0
; VGPRBlocks: 0
; NumSGPRsForWavesPerEU: 4
; NumVGPRsForWavesPerEU: 1
; AccumOffset: 4
; Occupancy: 8
; WaveLimiterHint : 0
; COMPUTE_PGM_RSRC2:SCRATCH_EN: 0
; COMPUTE_PGM_RSRC2:USER_SGPR: 6
; COMPUTE_PGM_RSRC2:TRAP_HANDLER: 0
; COMPUTE_PGM_RSRC2:TGID_X_EN: 1
; COMPUTE_PGM_RSRC2:TGID_Y_EN: 0
; COMPUTE_PGM_RSRC2:TGID_Z_EN: 0
; COMPUTE_PGM_RSRC2:TIDIG_COMP_CNT: 0
; COMPUTE_PGM_RSRC3_GFX90A:ACCUM_OFFSET: 0
; COMPUTE_PGM_RSRC3_GFX90A:TG_SPLIT: 0
	.section	.text._ZN7rocprim17ROCPRIM_400000_NS6detail17trampoline_kernelINS0_14default_configENS1_20scan_config_selectorIyEEZZNS1_9scan_implILNS1_25lookback_scan_determinismE0ELb0ELb0ES3_N6thrust23THRUST_200600_302600_NS6detail15normal_iteratorINS9_10device_ptrIyEEEESE_y11max_functorIyEyEEDaPvRmT3_T4_T5_mT6_P12ihipStream_tbENKUlT_T0_E_clISt17integral_constantIbLb0EEST_IbLb1EEEEDaSP_SQ_EUlSP_E0_NS1_11comp_targetILNS1_3genE10ELNS1_11target_archE1201ELNS1_3gpuE5ELNS1_3repE0EEENS1_30default_config_static_selectorELNS0_4arch9wavefront6targetE1EEEvT1_,"axG",@progbits,_ZN7rocprim17ROCPRIM_400000_NS6detail17trampoline_kernelINS0_14default_configENS1_20scan_config_selectorIyEEZZNS1_9scan_implILNS1_25lookback_scan_determinismE0ELb0ELb0ES3_N6thrust23THRUST_200600_302600_NS6detail15normal_iteratorINS9_10device_ptrIyEEEESE_y11max_functorIyEyEEDaPvRmT3_T4_T5_mT6_P12ihipStream_tbENKUlT_T0_E_clISt17integral_constantIbLb0EEST_IbLb1EEEEDaSP_SQ_EUlSP_E0_NS1_11comp_targetILNS1_3genE10ELNS1_11target_archE1201ELNS1_3gpuE5ELNS1_3repE0EEENS1_30default_config_static_selectorELNS0_4arch9wavefront6targetE1EEEvT1_,comdat
	.protected	_ZN7rocprim17ROCPRIM_400000_NS6detail17trampoline_kernelINS0_14default_configENS1_20scan_config_selectorIyEEZZNS1_9scan_implILNS1_25lookback_scan_determinismE0ELb0ELb0ES3_N6thrust23THRUST_200600_302600_NS6detail15normal_iteratorINS9_10device_ptrIyEEEESE_y11max_functorIyEyEEDaPvRmT3_T4_T5_mT6_P12ihipStream_tbENKUlT_T0_E_clISt17integral_constantIbLb0EEST_IbLb1EEEEDaSP_SQ_EUlSP_E0_NS1_11comp_targetILNS1_3genE10ELNS1_11target_archE1201ELNS1_3gpuE5ELNS1_3repE0EEENS1_30default_config_static_selectorELNS0_4arch9wavefront6targetE1EEEvT1_ ; -- Begin function _ZN7rocprim17ROCPRIM_400000_NS6detail17trampoline_kernelINS0_14default_configENS1_20scan_config_selectorIyEEZZNS1_9scan_implILNS1_25lookback_scan_determinismE0ELb0ELb0ES3_N6thrust23THRUST_200600_302600_NS6detail15normal_iteratorINS9_10device_ptrIyEEEESE_y11max_functorIyEyEEDaPvRmT3_T4_T5_mT6_P12ihipStream_tbENKUlT_T0_E_clISt17integral_constantIbLb0EEST_IbLb1EEEEDaSP_SQ_EUlSP_E0_NS1_11comp_targetILNS1_3genE10ELNS1_11target_archE1201ELNS1_3gpuE5ELNS1_3repE0EEENS1_30default_config_static_selectorELNS0_4arch9wavefront6targetE1EEEvT1_
	.globl	_ZN7rocprim17ROCPRIM_400000_NS6detail17trampoline_kernelINS0_14default_configENS1_20scan_config_selectorIyEEZZNS1_9scan_implILNS1_25lookback_scan_determinismE0ELb0ELb0ES3_N6thrust23THRUST_200600_302600_NS6detail15normal_iteratorINS9_10device_ptrIyEEEESE_y11max_functorIyEyEEDaPvRmT3_T4_T5_mT6_P12ihipStream_tbENKUlT_T0_E_clISt17integral_constantIbLb0EEST_IbLb1EEEEDaSP_SQ_EUlSP_E0_NS1_11comp_targetILNS1_3genE10ELNS1_11target_archE1201ELNS1_3gpuE5ELNS1_3repE0EEENS1_30default_config_static_selectorELNS0_4arch9wavefront6targetE1EEEvT1_
	.p2align	8
	.type	_ZN7rocprim17ROCPRIM_400000_NS6detail17trampoline_kernelINS0_14default_configENS1_20scan_config_selectorIyEEZZNS1_9scan_implILNS1_25lookback_scan_determinismE0ELb0ELb0ES3_N6thrust23THRUST_200600_302600_NS6detail15normal_iteratorINS9_10device_ptrIyEEEESE_y11max_functorIyEyEEDaPvRmT3_T4_T5_mT6_P12ihipStream_tbENKUlT_T0_E_clISt17integral_constantIbLb0EEST_IbLb1EEEEDaSP_SQ_EUlSP_E0_NS1_11comp_targetILNS1_3genE10ELNS1_11target_archE1201ELNS1_3gpuE5ELNS1_3repE0EEENS1_30default_config_static_selectorELNS0_4arch9wavefront6targetE1EEEvT1_,@function
_ZN7rocprim17ROCPRIM_400000_NS6detail17trampoline_kernelINS0_14default_configENS1_20scan_config_selectorIyEEZZNS1_9scan_implILNS1_25lookback_scan_determinismE0ELb0ELb0ES3_N6thrust23THRUST_200600_302600_NS6detail15normal_iteratorINS9_10device_ptrIyEEEESE_y11max_functorIyEyEEDaPvRmT3_T4_T5_mT6_P12ihipStream_tbENKUlT_T0_E_clISt17integral_constantIbLb0EEST_IbLb1EEEEDaSP_SQ_EUlSP_E0_NS1_11comp_targetILNS1_3genE10ELNS1_11target_archE1201ELNS1_3gpuE5ELNS1_3repE0EEENS1_30default_config_static_selectorELNS0_4arch9wavefront6targetE1EEEvT1_: ; @_ZN7rocprim17ROCPRIM_400000_NS6detail17trampoline_kernelINS0_14default_configENS1_20scan_config_selectorIyEEZZNS1_9scan_implILNS1_25lookback_scan_determinismE0ELb0ELb0ES3_N6thrust23THRUST_200600_302600_NS6detail15normal_iteratorINS9_10device_ptrIyEEEESE_y11max_functorIyEyEEDaPvRmT3_T4_T5_mT6_P12ihipStream_tbENKUlT_T0_E_clISt17integral_constantIbLb0EEST_IbLb1EEEEDaSP_SQ_EUlSP_E0_NS1_11comp_targetILNS1_3genE10ELNS1_11target_archE1201ELNS1_3gpuE5ELNS1_3repE0EEENS1_30default_config_static_selectorELNS0_4arch9wavefront6targetE1EEEvT1_
; %bb.0:
	.section	.rodata,"a",@progbits
	.p2align	6, 0x0
	.amdhsa_kernel _ZN7rocprim17ROCPRIM_400000_NS6detail17trampoline_kernelINS0_14default_configENS1_20scan_config_selectorIyEEZZNS1_9scan_implILNS1_25lookback_scan_determinismE0ELb0ELb0ES3_N6thrust23THRUST_200600_302600_NS6detail15normal_iteratorINS9_10device_ptrIyEEEESE_y11max_functorIyEyEEDaPvRmT3_T4_T5_mT6_P12ihipStream_tbENKUlT_T0_E_clISt17integral_constantIbLb0EEST_IbLb1EEEEDaSP_SQ_EUlSP_E0_NS1_11comp_targetILNS1_3genE10ELNS1_11target_archE1201ELNS1_3gpuE5ELNS1_3repE0EEENS1_30default_config_static_selectorELNS0_4arch9wavefront6targetE1EEEvT1_
		.amdhsa_group_segment_fixed_size 0
		.amdhsa_private_segment_fixed_size 0
		.amdhsa_kernarg_size 40
		.amdhsa_user_sgpr_count 6
		.amdhsa_user_sgpr_private_segment_buffer 1
		.amdhsa_user_sgpr_dispatch_ptr 0
		.amdhsa_user_sgpr_queue_ptr 0
		.amdhsa_user_sgpr_kernarg_segment_ptr 1
		.amdhsa_user_sgpr_dispatch_id 0
		.amdhsa_user_sgpr_flat_scratch_init 0
		.amdhsa_user_sgpr_kernarg_preload_length 0
		.amdhsa_user_sgpr_kernarg_preload_offset 0
		.amdhsa_user_sgpr_private_segment_size 0
		.amdhsa_uses_dynamic_stack 0
		.amdhsa_system_sgpr_private_segment_wavefront_offset 0
		.amdhsa_system_sgpr_workgroup_id_x 1
		.amdhsa_system_sgpr_workgroup_id_y 0
		.amdhsa_system_sgpr_workgroup_id_z 0
		.amdhsa_system_sgpr_workgroup_info 0
		.amdhsa_system_vgpr_workitem_id 0
		.amdhsa_next_free_vgpr 1
		.amdhsa_next_free_sgpr 0
		.amdhsa_accum_offset 4
		.amdhsa_reserve_vcc 0
		.amdhsa_reserve_flat_scratch 0
		.amdhsa_float_round_mode_32 0
		.amdhsa_float_round_mode_16_64 0
		.amdhsa_float_denorm_mode_32 3
		.amdhsa_float_denorm_mode_16_64 3
		.amdhsa_dx10_clamp 1
		.amdhsa_ieee_mode 1
		.amdhsa_fp16_overflow 0
		.amdhsa_tg_split 0
		.amdhsa_exception_fp_ieee_invalid_op 0
		.amdhsa_exception_fp_denorm_src 0
		.amdhsa_exception_fp_ieee_div_zero 0
		.amdhsa_exception_fp_ieee_overflow 0
		.amdhsa_exception_fp_ieee_underflow 0
		.amdhsa_exception_fp_ieee_inexact 0
		.amdhsa_exception_int_div_zero 0
	.end_amdhsa_kernel
	.section	.text._ZN7rocprim17ROCPRIM_400000_NS6detail17trampoline_kernelINS0_14default_configENS1_20scan_config_selectorIyEEZZNS1_9scan_implILNS1_25lookback_scan_determinismE0ELb0ELb0ES3_N6thrust23THRUST_200600_302600_NS6detail15normal_iteratorINS9_10device_ptrIyEEEESE_y11max_functorIyEyEEDaPvRmT3_T4_T5_mT6_P12ihipStream_tbENKUlT_T0_E_clISt17integral_constantIbLb0EEST_IbLb1EEEEDaSP_SQ_EUlSP_E0_NS1_11comp_targetILNS1_3genE10ELNS1_11target_archE1201ELNS1_3gpuE5ELNS1_3repE0EEENS1_30default_config_static_selectorELNS0_4arch9wavefront6targetE1EEEvT1_,"axG",@progbits,_ZN7rocprim17ROCPRIM_400000_NS6detail17trampoline_kernelINS0_14default_configENS1_20scan_config_selectorIyEEZZNS1_9scan_implILNS1_25lookback_scan_determinismE0ELb0ELb0ES3_N6thrust23THRUST_200600_302600_NS6detail15normal_iteratorINS9_10device_ptrIyEEEESE_y11max_functorIyEyEEDaPvRmT3_T4_T5_mT6_P12ihipStream_tbENKUlT_T0_E_clISt17integral_constantIbLb0EEST_IbLb1EEEEDaSP_SQ_EUlSP_E0_NS1_11comp_targetILNS1_3genE10ELNS1_11target_archE1201ELNS1_3gpuE5ELNS1_3repE0EEENS1_30default_config_static_selectorELNS0_4arch9wavefront6targetE1EEEvT1_,comdat
.Lfunc_end2168:
	.size	_ZN7rocprim17ROCPRIM_400000_NS6detail17trampoline_kernelINS0_14default_configENS1_20scan_config_selectorIyEEZZNS1_9scan_implILNS1_25lookback_scan_determinismE0ELb0ELb0ES3_N6thrust23THRUST_200600_302600_NS6detail15normal_iteratorINS9_10device_ptrIyEEEESE_y11max_functorIyEyEEDaPvRmT3_T4_T5_mT6_P12ihipStream_tbENKUlT_T0_E_clISt17integral_constantIbLb0EEST_IbLb1EEEEDaSP_SQ_EUlSP_E0_NS1_11comp_targetILNS1_3genE10ELNS1_11target_archE1201ELNS1_3gpuE5ELNS1_3repE0EEENS1_30default_config_static_selectorELNS0_4arch9wavefront6targetE1EEEvT1_, .Lfunc_end2168-_ZN7rocprim17ROCPRIM_400000_NS6detail17trampoline_kernelINS0_14default_configENS1_20scan_config_selectorIyEEZZNS1_9scan_implILNS1_25lookback_scan_determinismE0ELb0ELb0ES3_N6thrust23THRUST_200600_302600_NS6detail15normal_iteratorINS9_10device_ptrIyEEEESE_y11max_functorIyEyEEDaPvRmT3_T4_T5_mT6_P12ihipStream_tbENKUlT_T0_E_clISt17integral_constantIbLb0EEST_IbLb1EEEEDaSP_SQ_EUlSP_E0_NS1_11comp_targetILNS1_3genE10ELNS1_11target_archE1201ELNS1_3gpuE5ELNS1_3repE0EEENS1_30default_config_static_selectorELNS0_4arch9wavefront6targetE1EEEvT1_
                                        ; -- End function
	.section	.AMDGPU.csdata,"",@progbits
; Kernel info:
; codeLenInByte = 0
; NumSgprs: 4
; NumVgprs: 0
; NumAgprs: 0
; TotalNumVgprs: 0
; ScratchSize: 0
; MemoryBound: 0
; FloatMode: 240
; IeeeMode: 1
; LDSByteSize: 0 bytes/workgroup (compile time only)
; SGPRBlocks: 0
; VGPRBlocks: 0
; NumSGPRsForWavesPerEU: 4
; NumVGPRsForWavesPerEU: 1
; AccumOffset: 4
; Occupancy: 8
; WaveLimiterHint : 0
; COMPUTE_PGM_RSRC2:SCRATCH_EN: 0
; COMPUTE_PGM_RSRC2:USER_SGPR: 6
; COMPUTE_PGM_RSRC2:TRAP_HANDLER: 0
; COMPUTE_PGM_RSRC2:TGID_X_EN: 1
; COMPUTE_PGM_RSRC2:TGID_Y_EN: 0
; COMPUTE_PGM_RSRC2:TGID_Z_EN: 0
; COMPUTE_PGM_RSRC2:TIDIG_COMP_CNT: 0
; COMPUTE_PGM_RSRC3_GFX90A:ACCUM_OFFSET: 0
; COMPUTE_PGM_RSRC3_GFX90A:TG_SPLIT: 0
	.section	.text._ZN7rocprim17ROCPRIM_400000_NS6detail17trampoline_kernelINS0_14default_configENS1_20scan_config_selectorIyEEZZNS1_9scan_implILNS1_25lookback_scan_determinismE0ELb0ELb0ES3_N6thrust23THRUST_200600_302600_NS6detail15normal_iteratorINS9_10device_ptrIyEEEESE_y11max_functorIyEyEEDaPvRmT3_T4_T5_mT6_P12ihipStream_tbENKUlT_T0_E_clISt17integral_constantIbLb0EEST_IbLb1EEEEDaSP_SQ_EUlSP_E0_NS1_11comp_targetILNS1_3genE10ELNS1_11target_archE1200ELNS1_3gpuE4ELNS1_3repE0EEENS1_30default_config_static_selectorELNS0_4arch9wavefront6targetE1EEEvT1_,"axG",@progbits,_ZN7rocprim17ROCPRIM_400000_NS6detail17trampoline_kernelINS0_14default_configENS1_20scan_config_selectorIyEEZZNS1_9scan_implILNS1_25lookback_scan_determinismE0ELb0ELb0ES3_N6thrust23THRUST_200600_302600_NS6detail15normal_iteratorINS9_10device_ptrIyEEEESE_y11max_functorIyEyEEDaPvRmT3_T4_T5_mT6_P12ihipStream_tbENKUlT_T0_E_clISt17integral_constantIbLb0EEST_IbLb1EEEEDaSP_SQ_EUlSP_E0_NS1_11comp_targetILNS1_3genE10ELNS1_11target_archE1200ELNS1_3gpuE4ELNS1_3repE0EEENS1_30default_config_static_selectorELNS0_4arch9wavefront6targetE1EEEvT1_,comdat
	.protected	_ZN7rocprim17ROCPRIM_400000_NS6detail17trampoline_kernelINS0_14default_configENS1_20scan_config_selectorIyEEZZNS1_9scan_implILNS1_25lookback_scan_determinismE0ELb0ELb0ES3_N6thrust23THRUST_200600_302600_NS6detail15normal_iteratorINS9_10device_ptrIyEEEESE_y11max_functorIyEyEEDaPvRmT3_T4_T5_mT6_P12ihipStream_tbENKUlT_T0_E_clISt17integral_constantIbLb0EEST_IbLb1EEEEDaSP_SQ_EUlSP_E0_NS1_11comp_targetILNS1_3genE10ELNS1_11target_archE1200ELNS1_3gpuE4ELNS1_3repE0EEENS1_30default_config_static_selectorELNS0_4arch9wavefront6targetE1EEEvT1_ ; -- Begin function _ZN7rocprim17ROCPRIM_400000_NS6detail17trampoline_kernelINS0_14default_configENS1_20scan_config_selectorIyEEZZNS1_9scan_implILNS1_25lookback_scan_determinismE0ELb0ELb0ES3_N6thrust23THRUST_200600_302600_NS6detail15normal_iteratorINS9_10device_ptrIyEEEESE_y11max_functorIyEyEEDaPvRmT3_T4_T5_mT6_P12ihipStream_tbENKUlT_T0_E_clISt17integral_constantIbLb0EEST_IbLb1EEEEDaSP_SQ_EUlSP_E0_NS1_11comp_targetILNS1_3genE10ELNS1_11target_archE1200ELNS1_3gpuE4ELNS1_3repE0EEENS1_30default_config_static_selectorELNS0_4arch9wavefront6targetE1EEEvT1_
	.globl	_ZN7rocprim17ROCPRIM_400000_NS6detail17trampoline_kernelINS0_14default_configENS1_20scan_config_selectorIyEEZZNS1_9scan_implILNS1_25lookback_scan_determinismE0ELb0ELb0ES3_N6thrust23THRUST_200600_302600_NS6detail15normal_iteratorINS9_10device_ptrIyEEEESE_y11max_functorIyEyEEDaPvRmT3_T4_T5_mT6_P12ihipStream_tbENKUlT_T0_E_clISt17integral_constantIbLb0EEST_IbLb1EEEEDaSP_SQ_EUlSP_E0_NS1_11comp_targetILNS1_3genE10ELNS1_11target_archE1200ELNS1_3gpuE4ELNS1_3repE0EEENS1_30default_config_static_selectorELNS0_4arch9wavefront6targetE1EEEvT1_
	.p2align	8
	.type	_ZN7rocprim17ROCPRIM_400000_NS6detail17trampoline_kernelINS0_14default_configENS1_20scan_config_selectorIyEEZZNS1_9scan_implILNS1_25lookback_scan_determinismE0ELb0ELb0ES3_N6thrust23THRUST_200600_302600_NS6detail15normal_iteratorINS9_10device_ptrIyEEEESE_y11max_functorIyEyEEDaPvRmT3_T4_T5_mT6_P12ihipStream_tbENKUlT_T0_E_clISt17integral_constantIbLb0EEST_IbLb1EEEEDaSP_SQ_EUlSP_E0_NS1_11comp_targetILNS1_3genE10ELNS1_11target_archE1200ELNS1_3gpuE4ELNS1_3repE0EEENS1_30default_config_static_selectorELNS0_4arch9wavefront6targetE1EEEvT1_,@function
_ZN7rocprim17ROCPRIM_400000_NS6detail17trampoline_kernelINS0_14default_configENS1_20scan_config_selectorIyEEZZNS1_9scan_implILNS1_25lookback_scan_determinismE0ELb0ELb0ES3_N6thrust23THRUST_200600_302600_NS6detail15normal_iteratorINS9_10device_ptrIyEEEESE_y11max_functorIyEyEEDaPvRmT3_T4_T5_mT6_P12ihipStream_tbENKUlT_T0_E_clISt17integral_constantIbLb0EEST_IbLb1EEEEDaSP_SQ_EUlSP_E0_NS1_11comp_targetILNS1_3genE10ELNS1_11target_archE1200ELNS1_3gpuE4ELNS1_3repE0EEENS1_30default_config_static_selectorELNS0_4arch9wavefront6targetE1EEEvT1_: ; @_ZN7rocprim17ROCPRIM_400000_NS6detail17trampoline_kernelINS0_14default_configENS1_20scan_config_selectorIyEEZZNS1_9scan_implILNS1_25lookback_scan_determinismE0ELb0ELb0ES3_N6thrust23THRUST_200600_302600_NS6detail15normal_iteratorINS9_10device_ptrIyEEEESE_y11max_functorIyEyEEDaPvRmT3_T4_T5_mT6_P12ihipStream_tbENKUlT_T0_E_clISt17integral_constantIbLb0EEST_IbLb1EEEEDaSP_SQ_EUlSP_E0_NS1_11comp_targetILNS1_3genE10ELNS1_11target_archE1200ELNS1_3gpuE4ELNS1_3repE0EEENS1_30default_config_static_selectorELNS0_4arch9wavefront6targetE1EEEvT1_
; %bb.0:
	.section	.rodata,"a",@progbits
	.p2align	6, 0x0
	.amdhsa_kernel _ZN7rocprim17ROCPRIM_400000_NS6detail17trampoline_kernelINS0_14default_configENS1_20scan_config_selectorIyEEZZNS1_9scan_implILNS1_25lookback_scan_determinismE0ELb0ELb0ES3_N6thrust23THRUST_200600_302600_NS6detail15normal_iteratorINS9_10device_ptrIyEEEESE_y11max_functorIyEyEEDaPvRmT3_T4_T5_mT6_P12ihipStream_tbENKUlT_T0_E_clISt17integral_constantIbLb0EEST_IbLb1EEEEDaSP_SQ_EUlSP_E0_NS1_11comp_targetILNS1_3genE10ELNS1_11target_archE1200ELNS1_3gpuE4ELNS1_3repE0EEENS1_30default_config_static_selectorELNS0_4arch9wavefront6targetE1EEEvT1_
		.amdhsa_group_segment_fixed_size 0
		.amdhsa_private_segment_fixed_size 0
		.amdhsa_kernarg_size 40
		.amdhsa_user_sgpr_count 6
		.amdhsa_user_sgpr_private_segment_buffer 1
		.amdhsa_user_sgpr_dispatch_ptr 0
		.amdhsa_user_sgpr_queue_ptr 0
		.amdhsa_user_sgpr_kernarg_segment_ptr 1
		.amdhsa_user_sgpr_dispatch_id 0
		.amdhsa_user_sgpr_flat_scratch_init 0
		.amdhsa_user_sgpr_kernarg_preload_length 0
		.amdhsa_user_sgpr_kernarg_preload_offset 0
		.amdhsa_user_sgpr_private_segment_size 0
		.amdhsa_uses_dynamic_stack 0
		.amdhsa_system_sgpr_private_segment_wavefront_offset 0
		.amdhsa_system_sgpr_workgroup_id_x 1
		.amdhsa_system_sgpr_workgroup_id_y 0
		.amdhsa_system_sgpr_workgroup_id_z 0
		.amdhsa_system_sgpr_workgroup_info 0
		.amdhsa_system_vgpr_workitem_id 0
		.amdhsa_next_free_vgpr 1
		.amdhsa_next_free_sgpr 0
		.amdhsa_accum_offset 4
		.amdhsa_reserve_vcc 0
		.amdhsa_reserve_flat_scratch 0
		.amdhsa_float_round_mode_32 0
		.amdhsa_float_round_mode_16_64 0
		.amdhsa_float_denorm_mode_32 3
		.amdhsa_float_denorm_mode_16_64 3
		.amdhsa_dx10_clamp 1
		.amdhsa_ieee_mode 1
		.amdhsa_fp16_overflow 0
		.amdhsa_tg_split 0
		.amdhsa_exception_fp_ieee_invalid_op 0
		.amdhsa_exception_fp_denorm_src 0
		.amdhsa_exception_fp_ieee_div_zero 0
		.amdhsa_exception_fp_ieee_overflow 0
		.amdhsa_exception_fp_ieee_underflow 0
		.amdhsa_exception_fp_ieee_inexact 0
		.amdhsa_exception_int_div_zero 0
	.end_amdhsa_kernel
	.section	.text._ZN7rocprim17ROCPRIM_400000_NS6detail17trampoline_kernelINS0_14default_configENS1_20scan_config_selectorIyEEZZNS1_9scan_implILNS1_25lookback_scan_determinismE0ELb0ELb0ES3_N6thrust23THRUST_200600_302600_NS6detail15normal_iteratorINS9_10device_ptrIyEEEESE_y11max_functorIyEyEEDaPvRmT3_T4_T5_mT6_P12ihipStream_tbENKUlT_T0_E_clISt17integral_constantIbLb0EEST_IbLb1EEEEDaSP_SQ_EUlSP_E0_NS1_11comp_targetILNS1_3genE10ELNS1_11target_archE1200ELNS1_3gpuE4ELNS1_3repE0EEENS1_30default_config_static_selectorELNS0_4arch9wavefront6targetE1EEEvT1_,"axG",@progbits,_ZN7rocprim17ROCPRIM_400000_NS6detail17trampoline_kernelINS0_14default_configENS1_20scan_config_selectorIyEEZZNS1_9scan_implILNS1_25lookback_scan_determinismE0ELb0ELb0ES3_N6thrust23THRUST_200600_302600_NS6detail15normal_iteratorINS9_10device_ptrIyEEEESE_y11max_functorIyEyEEDaPvRmT3_T4_T5_mT6_P12ihipStream_tbENKUlT_T0_E_clISt17integral_constantIbLb0EEST_IbLb1EEEEDaSP_SQ_EUlSP_E0_NS1_11comp_targetILNS1_3genE10ELNS1_11target_archE1200ELNS1_3gpuE4ELNS1_3repE0EEENS1_30default_config_static_selectorELNS0_4arch9wavefront6targetE1EEEvT1_,comdat
.Lfunc_end2169:
	.size	_ZN7rocprim17ROCPRIM_400000_NS6detail17trampoline_kernelINS0_14default_configENS1_20scan_config_selectorIyEEZZNS1_9scan_implILNS1_25lookback_scan_determinismE0ELb0ELb0ES3_N6thrust23THRUST_200600_302600_NS6detail15normal_iteratorINS9_10device_ptrIyEEEESE_y11max_functorIyEyEEDaPvRmT3_T4_T5_mT6_P12ihipStream_tbENKUlT_T0_E_clISt17integral_constantIbLb0EEST_IbLb1EEEEDaSP_SQ_EUlSP_E0_NS1_11comp_targetILNS1_3genE10ELNS1_11target_archE1200ELNS1_3gpuE4ELNS1_3repE0EEENS1_30default_config_static_selectorELNS0_4arch9wavefront6targetE1EEEvT1_, .Lfunc_end2169-_ZN7rocprim17ROCPRIM_400000_NS6detail17trampoline_kernelINS0_14default_configENS1_20scan_config_selectorIyEEZZNS1_9scan_implILNS1_25lookback_scan_determinismE0ELb0ELb0ES3_N6thrust23THRUST_200600_302600_NS6detail15normal_iteratorINS9_10device_ptrIyEEEESE_y11max_functorIyEyEEDaPvRmT3_T4_T5_mT6_P12ihipStream_tbENKUlT_T0_E_clISt17integral_constantIbLb0EEST_IbLb1EEEEDaSP_SQ_EUlSP_E0_NS1_11comp_targetILNS1_3genE10ELNS1_11target_archE1200ELNS1_3gpuE4ELNS1_3repE0EEENS1_30default_config_static_selectorELNS0_4arch9wavefront6targetE1EEEvT1_
                                        ; -- End function
	.section	.AMDGPU.csdata,"",@progbits
; Kernel info:
; codeLenInByte = 0
; NumSgprs: 4
; NumVgprs: 0
; NumAgprs: 0
; TotalNumVgprs: 0
; ScratchSize: 0
; MemoryBound: 0
; FloatMode: 240
; IeeeMode: 1
; LDSByteSize: 0 bytes/workgroup (compile time only)
; SGPRBlocks: 0
; VGPRBlocks: 0
; NumSGPRsForWavesPerEU: 4
; NumVGPRsForWavesPerEU: 1
; AccumOffset: 4
; Occupancy: 8
; WaveLimiterHint : 0
; COMPUTE_PGM_RSRC2:SCRATCH_EN: 0
; COMPUTE_PGM_RSRC2:USER_SGPR: 6
; COMPUTE_PGM_RSRC2:TRAP_HANDLER: 0
; COMPUTE_PGM_RSRC2:TGID_X_EN: 1
; COMPUTE_PGM_RSRC2:TGID_Y_EN: 0
; COMPUTE_PGM_RSRC2:TGID_Z_EN: 0
; COMPUTE_PGM_RSRC2:TIDIG_COMP_CNT: 0
; COMPUTE_PGM_RSRC3_GFX90A:ACCUM_OFFSET: 0
; COMPUTE_PGM_RSRC3_GFX90A:TG_SPLIT: 0
	.section	.text._ZN7rocprim17ROCPRIM_400000_NS6detail17trampoline_kernelINS0_14default_configENS1_20scan_config_selectorIyEEZZNS1_9scan_implILNS1_25lookback_scan_determinismE0ELb0ELb0ES3_N6thrust23THRUST_200600_302600_NS6detail15normal_iteratorINS9_10device_ptrIyEEEESE_y11max_functorIyEyEEDaPvRmT3_T4_T5_mT6_P12ihipStream_tbENKUlT_T0_E_clISt17integral_constantIbLb0EEST_IbLb1EEEEDaSP_SQ_EUlSP_E0_NS1_11comp_targetILNS1_3genE9ELNS1_11target_archE1100ELNS1_3gpuE3ELNS1_3repE0EEENS1_30default_config_static_selectorELNS0_4arch9wavefront6targetE1EEEvT1_,"axG",@progbits,_ZN7rocprim17ROCPRIM_400000_NS6detail17trampoline_kernelINS0_14default_configENS1_20scan_config_selectorIyEEZZNS1_9scan_implILNS1_25lookback_scan_determinismE0ELb0ELb0ES3_N6thrust23THRUST_200600_302600_NS6detail15normal_iteratorINS9_10device_ptrIyEEEESE_y11max_functorIyEyEEDaPvRmT3_T4_T5_mT6_P12ihipStream_tbENKUlT_T0_E_clISt17integral_constantIbLb0EEST_IbLb1EEEEDaSP_SQ_EUlSP_E0_NS1_11comp_targetILNS1_3genE9ELNS1_11target_archE1100ELNS1_3gpuE3ELNS1_3repE0EEENS1_30default_config_static_selectorELNS0_4arch9wavefront6targetE1EEEvT1_,comdat
	.protected	_ZN7rocprim17ROCPRIM_400000_NS6detail17trampoline_kernelINS0_14default_configENS1_20scan_config_selectorIyEEZZNS1_9scan_implILNS1_25lookback_scan_determinismE0ELb0ELb0ES3_N6thrust23THRUST_200600_302600_NS6detail15normal_iteratorINS9_10device_ptrIyEEEESE_y11max_functorIyEyEEDaPvRmT3_T4_T5_mT6_P12ihipStream_tbENKUlT_T0_E_clISt17integral_constantIbLb0EEST_IbLb1EEEEDaSP_SQ_EUlSP_E0_NS1_11comp_targetILNS1_3genE9ELNS1_11target_archE1100ELNS1_3gpuE3ELNS1_3repE0EEENS1_30default_config_static_selectorELNS0_4arch9wavefront6targetE1EEEvT1_ ; -- Begin function _ZN7rocprim17ROCPRIM_400000_NS6detail17trampoline_kernelINS0_14default_configENS1_20scan_config_selectorIyEEZZNS1_9scan_implILNS1_25lookback_scan_determinismE0ELb0ELb0ES3_N6thrust23THRUST_200600_302600_NS6detail15normal_iteratorINS9_10device_ptrIyEEEESE_y11max_functorIyEyEEDaPvRmT3_T4_T5_mT6_P12ihipStream_tbENKUlT_T0_E_clISt17integral_constantIbLb0EEST_IbLb1EEEEDaSP_SQ_EUlSP_E0_NS1_11comp_targetILNS1_3genE9ELNS1_11target_archE1100ELNS1_3gpuE3ELNS1_3repE0EEENS1_30default_config_static_selectorELNS0_4arch9wavefront6targetE1EEEvT1_
	.globl	_ZN7rocprim17ROCPRIM_400000_NS6detail17trampoline_kernelINS0_14default_configENS1_20scan_config_selectorIyEEZZNS1_9scan_implILNS1_25lookback_scan_determinismE0ELb0ELb0ES3_N6thrust23THRUST_200600_302600_NS6detail15normal_iteratorINS9_10device_ptrIyEEEESE_y11max_functorIyEyEEDaPvRmT3_T4_T5_mT6_P12ihipStream_tbENKUlT_T0_E_clISt17integral_constantIbLb0EEST_IbLb1EEEEDaSP_SQ_EUlSP_E0_NS1_11comp_targetILNS1_3genE9ELNS1_11target_archE1100ELNS1_3gpuE3ELNS1_3repE0EEENS1_30default_config_static_selectorELNS0_4arch9wavefront6targetE1EEEvT1_
	.p2align	8
	.type	_ZN7rocprim17ROCPRIM_400000_NS6detail17trampoline_kernelINS0_14default_configENS1_20scan_config_selectorIyEEZZNS1_9scan_implILNS1_25lookback_scan_determinismE0ELb0ELb0ES3_N6thrust23THRUST_200600_302600_NS6detail15normal_iteratorINS9_10device_ptrIyEEEESE_y11max_functorIyEyEEDaPvRmT3_T4_T5_mT6_P12ihipStream_tbENKUlT_T0_E_clISt17integral_constantIbLb0EEST_IbLb1EEEEDaSP_SQ_EUlSP_E0_NS1_11comp_targetILNS1_3genE9ELNS1_11target_archE1100ELNS1_3gpuE3ELNS1_3repE0EEENS1_30default_config_static_selectorELNS0_4arch9wavefront6targetE1EEEvT1_,@function
_ZN7rocprim17ROCPRIM_400000_NS6detail17trampoline_kernelINS0_14default_configENS1_20scan_config_selectorIyEEZZNS1_9scan_implILNS1_25lookback_scan_determinismE0ELb0ELb0ES3_N6thrust23THRUST_200600_302600_NS6detail15normal_iteratorINS9_10device_ptrIyEEEESE_y11max_functorIyEyEEDaPvRmT3_T4_T5_mT6_P12ihipStream_tbENKUlT_T0_E_clISt17integral_constantIbLb0EEST_IbLb1EEEEDaSP_SQ_EUlSP_E0_NS1_11comp_targetILNS1_3genE9ELNS1_11target_archE1100ELNS1_3gpuE3ELNS1_3repE0EEENS1_30default_config_static_selectorELNS0_4arch9wavefront6targetE1EEEvT1_: ; @_ZN7rocprim17ROCPRIM_400000_NS6detail17trampoline_kernelINS0_14default_configENS1_20scan_config_selectorIyEEZZNS1_9scan_implILNS1_25lookback_scan_determinismE0ELb0ELb0ES3_N6thrust23THRUST_200600_302600_NS6detail15normal_iteratorINS9_10device_ptrIyEEEESE_y11max_functorIyEyEEDaPvRmT3_T4_T5_mT6_P12ihipStream_tbENKUlT_T0_E_clISt17integral_constantIbLb0EEST_IbLb1EEEEDaSP_SQ_EUlSP_E0_NS1_11comp_targetILNS1_3genE9ELNS1_11target_archE1100ELNS1_3gpuE3ELNS1_3repE0EEENS1_30default_config_static_selectorELNS0_4arch9wavefront6targetE1EEEvT1_
; %bb.0:
	.section	.rodata,"a",@progbits
	.p2align	6, 0x0
	.amdhsa_kernel _ZN7rocprim17ROCPRIM_400000_NS6detail17trampoline_kernelINS0_14default_configENS1_20scan_config_selectorIyEEZZNS1_9scan_implILNS1_25lookback_scan_determinismE0ELb0ELb0ES3_N6thrust23THRUST_200600_302600_NS6detail15normal_iteratorINS9_10device_ptrIyEEEESE_y11max_functorIyEyEEDaPvRmT3_T4_T5_mT6_P12ihipStream_tbENKUlT_T0_E_clISt17integral_constantIbLb0EEST_IbLb1EEEEDaSP_SQ_EUlSP_E0_NS1_11comp_targetILNS1_3genE9ELNS1_11target_archE1100ELNS1_3gpuE3ELNS1_3repE0EEENS1_30default_config_static_selectorELNS0_4arch9wavefront6targetE1EEEvT1_
		.amdhsa_group_segment_fixed_size 0
		.amdhsa_private_segment_fixed_size 0
		.amdhsa_kernarg_size 40
		.amdhsa_user_sgpr_count 6
		.amdhsa_user_sgpr_private_segment_buffer 1
		.amdhsa_user_sgpr_dispatch_ptr 0
		.amdhsa_user_sgpr_queue_ptr 0
		.amdhsa_user_sgpr_kernarg_segment_ptr 1
		.amdhsa_user_sgpr_dispatch_id 0
		.amdhsa_user_sgpr_flat_scratch_init 0
		.amdhsa_user_sgpr_kernarg_preload_length 0
		.amdhsa_user_sgpr_kernarg_preload_offset 0
		.amdhsa_user_sgpr_private_segment_size 0
		.amdhsa_uses_dynamic_stack 0
		.amdhsa_system_sgpr_private_segment_wavefront_offset 0
		.amdhsa_system_sgpr_workgroup_id_x 1
		.amdhsa_system_sgpr_workgroup_id_y 0
		.amdhsa_system_sgpr_workgroup_id_z 0
		.amdhsa_system_sgpr_workgroup_info 0
		.amdhsa_system_vgpr_workitem_id 0
		.amdhsa_next_free_vgpr 1
		.amdhsa_next_free_sgpr 0
		.amdhsa_accum_offset 4
		.amdhsa_reserve_vcc 0
		.amdhsa_reserve_flat_scratch 0
		.amdhsa_float_round_mode_32 0
		.amdhsa_float_round_mode_16_64 0
		.amdhsa_float_denorm_mode_32 3
		.amdhsa_float_denorm_mode_16_64 3
		.amdhsa_dx10_clamp 1
		.amdhsa_ieee_mode 1
		.amdhsa_fp16_overflow 0
		.amdhsa_tg_split 0
		.amdhsa_exception_fp_ieee_invalid_op 0
		.amdhsa_exception_fp_denorm_src 0
		.amdhsa_exception_fp_ieee_div_zero 0
		.amdhsa_exception_fp_ieee_overflow 0
		.amdhsa_exception_fp_ieee_underflow 0
		.amdhsa_exception_fp_ieee_inexact 0
		.amdhsa_exception_int_div_zero 0
	.end_amdhsa_kernel
	.section	.text._ZN7rocprim17ROCPRIM_400000_NS6detail17trampoline_kernelINS0_14default_configENS1_20scan_config_selectorIyEEZZNS1_9scan_implILNS1_25lookback_scan_determinismE0ELb0ELb0ES3_N6thrust23THRUST_200600_302600_NS6detail15normal_iteratorINS9_10device_ptrIyEEEESE_y11max_functorIyEyEEDaPvRmT3_T4_T5_mT6_P12ihipStream_tbENKUlT_T0_E_clISt17integral_constantIbLb0EEST_IbLb1EEEEDaSP_SQ_EUlSP_E0_NS1_11comp_targetILNS1_3genE9ELNS1_11target_archE1100ELNS1_3gpuE3ELNS1_3repE0EEENS1_30default_config_static_selectorELNS0_4arch9wavefront6targetE1EEEvT1_,"axG",@progbits,_ZN7rocprim17ROCPRIM_400000_NS6detail17trampoline_kernelINS0_14default_configENS1_20scan_config_selectorIyEEZZNS1_9scan_implILNS1_25lookback_scan_determinismE0ELb0ELb0ES3_N6thrust23THRUST_200600_302600_NS6detail15normal_iteratorINS9_10device_ptrIyEEEESE_y11max_functorIyEyEEDaPvRmT3_T4_T5_mT6_P12ihipStream_tbENKUlT_T0_E_clISt17integral_constantIbLb0EEST_IbLb1EEEEDaSP_SQ_EUlSP_E0_NS1_11comp_targetILNS1_3genE9ELNS1_11target_archE1100ELNS1_3gpuE3ELNS1_3repE0EEENS1_30default_config_static_selectorELNS0_4arch9wavefront6targetE1EEEvT1_,comdat
.Lfunc_end2170:
	.size	_ZN7rocprim17ROCPRIM_400000_NS6detail17trampoline_kernelINS0_14default_configENS1_20scan_config_selectorIyEEZZNS1_9scan_implILNS1_25lookback_scan_determinismE0ELb0ELb0ES3_N6thrust23THRUST_200600_302600_NS6detail15normal_iteratorINS9_10device_ptrIyEEEESE_y11max_functorIyEyEEDaPvRmT3_T4_T5_mT6_P12ihipStream_tbENKUlT_T0_E_clISt17integral_constantIbLb0EEST_IbLb1EEEEDaSP_SQ_EUlSP_E0_NS1_11comp_targetILNS1_3genE9ELNS1_11target_archE1100ELNS1_3gpuE3ELNS1_3repE0EEENS1_30default_config_static_selectorELNS0_4arch9wavefront6targetE1EEEvT1_, .Lfunc_end2170-_ZN7rocprim17ROCPRIM_400000_NS6detail17trampoline_kernelINS0_14default_configENS1_20scan_config_selectorIyEEZZNS1_9scan_implILNS1_25lookback_scan_determinismE0ELb0ELb0ES3_N6thrust23THRUST_200600_302600_NS6detail15normal_iteratorINS9_10device_ptrIyEEEESE_y11max_functorIyEyEEDaPvRmT3_T4_T5_mT6_P12ihipStream_tbENKUlT_T0_E_clISt17integral_constantIbLb0EEST_IbLb1EEEEDaSP_SQ_EUlSP_E0_NS1_11comp_targetILNS1_3genE9ELNS1_11target_archE1100ELNS1_3gpuE3ELNS1_3repE0EEENS1_30default_config_static_selectorELNS0_4arch9wavefront6targetE1EEEvT1_
                                        ; -- End function
	.section	.AMDGPU.csdata,"",@progbits
; Kernel info:
; codeLenInByte = 0
; NumSgprs: 4
; NumVgprs: 0
; NumAgprs: 0
; TotalNumVgprs: 0
; ScratchSize: 0
; MemoryBound: 0
; FloatMode: 240
; IeeeMode: 1
; LDSByteSize: 0 bytes/workgroup (compile time only)
; SGPRBlocks: 0
; VGPRBlocks: 0
; NumSGPRsForWavesPerEU: 4
; NumVGPRsForWavesPerEU: 1
; AccumOffset: 4
; Occupancy: 8
; WaveLimiterHint : 0
; COMPUTE_PGM_RSRC2:SCRATCH_EN: 0
; COMPUTE_PGM_RSRC2:USER_SGPR: 6
; COMPUTE_PGM_RSRC2:TRAP_HANDLER: 0
; COMPUTE_PGM_RSRC2:TGID_X_EN: 1
; COMPUTE_PGM_RSRC2:TGID_Y_EN: 0
; COMPUTE_PGM_RSRC2:TGID_Z_EN: 0
; COMPUTE_PGM_RSRC2:TIDIG_COMP_CNT: 0
; COMPUTE_PGM_RSRC3_GFX90A:ACCUM_OFFSET: 0
; COMPUTE_PGM_RSRC3_GFX90A:TG_SPLIT: 0
	.section	.text._ZN7rocprim17ROCPRIM_400000_NS6detail17trampoline_kernelINS0_14default_configENS1_20scan_config_selectorIyEEZZNS1_9scan_implILNS1_25lookback_scan_determinismE0ELb0ELb0ES3_N6thrust23THRUST_200600_302600_NS6detail15normal_iteratorINS9_10device_ptrIyEEEESE_y11max_functorIyEyEEDaPvRmT3_T4_T5_mT6_P12ihipStream_tbENKUlT_T0_E_clISt17integral_constantIbLb0EEST_IbLb1EEEEDaSP_SQ_EUlSP_E0_NS1_11comp_targetILNS1_3genE8ELNS1_11target_archE1030ELNS1_3gpuE2ELNS1_3repE0EEENS1_30default_config_static_selectorELNS0_4arch9wavefront6targetE1EEEvT1_,"axG",@progbits,_ZN7rocprim17ROCPRIM_400000_NS6detail17trampoline_kernelINS0_14default_configENS1_20scan_config_selectorIyEEZZNS1_9scan_implILNS1_25lookback_scan_determinismE0ELb0ELb0ES3_N6thrust23THRUST_200600_302600_NS6detail15normal_iteratorINS9_10device_ptrIyEEEESE_y11max_functorIyEyEEDaPvRmT3_T4_T5_mT6_P12ihipStream_tbENKUlT_T0_E_clISt17integral_constantIbLb0EEST_IbLb1EEEEDaSP_SQ_EUlSP_E0_NS1_11comp_targetILNS1_3genE8ELNS1_11target_archE1030ELNS1_3gpuE2ELNS1_3repE0EEENS1_30default_config_static_selectorELNS0_4arch9wavefront6targetE1EEEvT1_,comdat
	.protected	_ZN7rocprim17ROCPRIM_400000_NS6detail17trampoline_kernelINS0_14default_configENS1_20scan_config_selectorIyEEZZNS1_9scan_implILNS1_25lookback_scan_determinismE0ELb0ELb0ES3_N6thrust23THRUST_200600_302600_NS6detail15normal_iteratorINS9_10device_ptrIyEEEESE_y11max_functorIyEyEEDaPvRmT3_T4_T5_mT6_P12ihipStream_tbENKUlT_T0_E_clISt17integral_constantIbLb0EEST_IbLb1EEEEDaSP_SQ_EUlSP_E0_NS1_11comp_targetILNS1_3genE8ELNS1_11target_archE1030ELNS1_3gpuE2ELNS1_3repE0EEENS1_30default_config_static_selectorELNS0_4arch9wavefront6targetE1EEEvT1_ ; -- Begin function _ZN7rocprim17ROCPRIM_400000_NS6detail17trampoline_kernelINS0_14default_configENS1_20scan_config_selectorIyEEZZNS1_9scan_implILNS1_25lookback_scan_determinismE0ELb0ELb0ES3_N6thrust23THRUST_200600_302600_NS6detail15normal_iteratorINS9_10device_ptrIyEEEESE_y11max_functorIyEyEEDaPvRmT3_T4_T5_mT6_P12ihipStream_tbENKUlT_T0_E_clISt17integral_constantIbLb0EEST_IbLb1EEEEDaSP_SQ_EUlSP_E0_NS1_11comp_targetILNS1_3genE8ELNS1_11target_archE1030ELNS1_3gpuE2ELNS1_3repE0EEENS1_30default_config_static_selectorELNS0_4arch9wavefront6targetE1EEEvT1_
	.globl	_ZN7rocprim17ROCPRIM_400000_NS6detail17trampoline_kernelINS0_14default_configENS1_20scan_config_selectorIyEEZZNS1_9scan_implILNS1_25lookback_scan_determinismE0ELb0ELb0ES3_N6thrust23THRUST_200600_302600_NS6detail15normal_iteratorINS9_10device_ptrIyEEEESE_y11max_functorIyEyEEDaPvRmT3_T4_T5_mT6_P12ihipStream_tbENKUlT_T0_E_clISt17integral_constantIbLb0EEST_IbLb1EEEEDaSP_SQ_EUlSP_E0_NS1_11comp_targetILNS1_3genE8ELNS1_11target_archE1030ELNS1_3gpuE2ELNS1_3repE0EEENS1_30default_config_static_selectorELNS0_4arch9wavefront6targetE1EEEvT1_
	.p2align	8
	.type	_ZN7rocprim17ROCPRIM_400000_NS6detail17trampoline_kernelINS0_14default_configENS1_20scan_config_selectorIyEEZZNS1_9scan_implILNS1_25lookback_scan_determinismE0ELb0ELb0ES3_N6thrust23THRUST_200600_302600_NS6detail15normal_iteratorINS9_10device_ptrIyEEEESE_y11max_functorIyEyEEDaPvRmT3_T4_T5_mT6_P12ihipStream_tbENKUlT_T0_E_clISt17integral_constantIbLb0EEST_IbLb1EEEEDaSP_SQ_EUlSP_E0_NS1_11comp_targetILNS1_3genE8ELNS1_11target_archE1030ELNS1_3gpuE2ELNS1_3repE0EEENS1_30default_config_static_selectorELNS0_4arch9wavefront6targetE1EEEvT1_,@function
_ZN7rocprim17ROCPRIM_400000_NS6detail17trampoline_kernelINS0_14default_configENS1_20scan_config_selectorIyEEZZNS1_9scan_implILNS1_25lookback_scan_determinismE0ELb0ELb0ES3_N6thrust23THRUST_200600_302600_NS6detail15normal_iteratorINS9_10device_ptrIyEEEESE_y11max_functorIyEyEEDaPvRmT3_T4_T5_mT6_P12ihipStream_tbENKUlT_T0_E_clISt17integral_constantIbLb0EEST_IbLb1EEEEDaSP_SQ_EUlSP_E0_NS1_11comp_targetILNS1_3genE8ELNS1_11target_archE1030ELNS1_3gpuE2ELNS1_3repE0EEENS1_30default_config_static_selectorELNS0_4arch9wavefront6targetE1EEEvT1_: ; @_ZN7rocprim17ROCPRIM_400000_NS6detail17trampoline_kernelINS0_14default_configENS1_20scan_config_selectorIyEEZZNS1_9scan_implILNS1_25lookback_scan_determinismE0ELb0ELb0ES3_N6thrust23THRUST_200600_302600_NS6detail15normal_iteratorINS9_10device_ptrIyEEEESE_y11max_functorIyEyEEDaPvRmT3_T4_T5_mT6_P12ihipStream_tbENKUlT_T0_E_clISt17integral_constantIbLb0EEST_IbLb1EEEEDaSP_SQ_EUlSP_E0_NS1_11comp_targetILNS1_3genE8ELNS1_11target_archE1030ELNS1_3gpuE2ELNS1_3repE0EEENS1_30default_config_static_selectorELNS0_4arch9wavefront6targetE1EEEvT1_
; %bb.0:
	.section	.rodata,"a",@progbits
	.p2align	6, 0x0
	.amdhsa_kernel _ZN7rocprim17ROCPRIM_400000_NS6detail17trampoline_kernelINS0_14default_configENS1_20scan_config_selectorIyEEZZNS1_9scan_implILNS1_25lookback_scan_determinismE0ELb0ELb0ES3_N6thrust23THRUST_200600_302600_NS6detail15normal_iteratorINS9_10device_ptrIyEEEESE_y11max_functorIyEyEEDaPvRmT3_T4_T5_mT6_P12ihipStream_tbENKUlT_T0_E_clISt17integral_constantIbLb0EEST_IbLb1EEEEDaSP_SQ_EUlSP_E0_NS1_11comp_targetILNS1_3genE8ELNS1_11target_archE1030ELNS1_3gpuE2ELNS1_3repE0EEENS1_30default_config_static_selectorELNS0_4arch9wavefront6targetE1EEEvT1_
		.amdhsa_group_segment_fixed_size 0
		.amdhsa_private_segment_fixed_size 0
		.amdhsa_kernarg_size 40
		.amdhsa_user_sgpr_count 6
		.amdhsa_user_sgpr_private_segment_buffer 1
		.amdhsa_user_sgpr_dispatch_ptr 0
		.amdhsa_user_sgpr_queue_ptr 0
		.amdhsa_user_sgpr_kernarg_segment_ptr 1
		.amdhsa_user_sgpr_dispatch_id 0
		.amdhsa_user_sgpr_flat_scratch_init 0
		.amdhsa_user_sgpr_kernarg_preload_length 0
		.amdhsa_user_sgpr_kernarg_preload_offset 0
		.amdhsa_user_sgpr_private_segment_size 0
		.amdhsa_uses_dynamic_stack 0
		.amdhsa_system_sgpr_private_segment_wavefront_offset 0
		.amdhsa_system_sgpr_workgroup_id_x 1
		.amdhsa_system_sgpr_workgroup_id_y 0
		.amdhsa_system_sgpr_workgroup_id_z 0
		.amdhsa_system_sgpr_workgroup_info 0
		.amdhsa_system_vgpr_workitem_id 0
		.amdhsa_next_free_vgpr 1
		.amdhsa_next_free_sgpr 0
		.amdhsa_accum_offset 4
		.amdhsa_reserve_vcc 0
		.amdhsa_reserve_flat_scratch 0
		.amdhsa_float_round_mode_32 0
		.amdhsa_float_round_mode_16_64 0
		.amdhsa_float_denorm_mode_32 3
		.amdhsa_float_denorm_mode_16_64 3
		.amdhsa_dx10_clamp 1
		.amdhsa_ieee_mode 1
		.amdhsa_fp16_overflow 0
		.amdhsa_tg_split 0
		.amdhsa_exception_fp_ieee_invalid_op 0
		.amdhsa_exception_fp_denorm_src 0
		.amdhsa_exception_fp_ieee_div_zero 0
		.amdhsa_exception_fp_ieee_overflow 0
		.amdhsa_exception_fp_ieee_underflow 0
		.amdhsa_exception_fp_ieee_inexact 0
		.amdhsa_exception_int_div_zero 0
	.end_amdhsa_kernel
	.section	.text._ZN7rocprim17ROCPRIM_400000_NS6detail17trampoline_kernelINS0_14default_configENS1_20scan_config_selectorIyEEZZNS1_9scan_implILNS1_25lookback_scan_determinismE0ELb0ELb0ES3_N6thrust23THRUST_200600_302600_NS6detail15normal_iteratorINS9_10device_ptrIyEEEESE_y11max_functorIyEyEEDaPvRmT3_T4_T5_mT6_P12ihipStream_tbENKUlT_T0_E_clISt17integral_constantIbLb0EEST_IbLb1EEEEDaSP_SQ_EUlSP_E0_NS1_11comp_targetILNS1_3genE8ELNS1_11target_archE1030ELNS1_3gpuE2ELNS1_3repE0EEENS1_30default_config_static_selectorELNS0_4arch9wavefront6targetE1EEEvT1_,"axG",@progbits,_ZN7rocprim17ROCPRIM_400000_NS6detail17trampoline_kernelINS0_14default_configENS1_20scan_config_selectorIyEEZZNS1_9scan_implILNS1_25lookback_scan_determinismE0ELb0ELb0ES3_N6thrust23THRUST_200600_302600_NS6detail15normal_iteratorINS9_10device_ptrIyEEEESE_y11max_functorIyEyEEDaPvRmT3_T4_T5_mT6_P12ihipStream_tbENKUlT_T0_E_clISt17integral_constantIbLb0EEST_IbLb1EEEEDaSP_SQ_EUlSP_E0_NS1_11comp_targetILNS1_3genE8ELNS1_11target_archE1030ELNS1_3gpuE2ELNS1_3repE0EEENS1_30default_config_static_selectorELNS0_4arch9wavefront6targetE1EEEvT1_,comdat
.Lfunc_end2171:
	.size	_ZN7rocprim17ROCPRIM_400000_NS6detail17trampoline_kernelINS0_14default_configENS1_20scan_config_selectorIyEEZZNS1_9scan_implILNS1_25lookback_scan_determinismE0ELb0ELb0ES3_N6thrust23THRUST_200600_302600_NS6detail15normal_iteratorINS9_10device_ptrIyEEEESE_y11max_functorIyEyEEDaPvRmT3_T4_T5_mT6_P12ihipStream_tbENKUlT_T0_E_clISt17integral_constantIbLb0EEST_IbLb1EEEEDaSP_SQ_EUlSP_E0_NS1_11comp_targetILNS1_3genE8ELNS1_11target_archE1030ELNS1_3gpuE2ELNS1_3repE0EEENS1_30default_config_static_selectorELNS0_4arch9wavefront6targetE1EEEvT1_, .Lfunc_end2171-_ZN7rocprim17ROCPRIM_400000_NS6detail17trampoline_kernelINS0_14default_configENS1_20scan_config_selectorIyEEZZNS1_9scan_implILNS1_25lookback_scan_determinismE0ELb0ELb0ES3_N6thrust23THRUST_200600_302600_NS6detail15normal_iteratorINS9_10device_ptrIyEEEESE_y11max_functorIyEyEEDaPvRmT3_T4_T5_mT6_P12ihipStream_tbENKUlT_T0_E_clISt17integral_constantIbLb0EEST_IbLb1EEEEDaSP_SQ_EUlSP_E0_NS1_11comp_targetILNS1_3genE8ELNS1_11target_archE1030ELNS1_3gpuE2ELNS1_3repE0EEENS1_30default_config_static_selectorELNS0_4arch9wavefront6targetE1EEEvT1_
                                        ; -- End function
	.section	.AMDGPU.csdata,"",@progbits
; Kernel info:
; codeLenInByte = 0
; NumSgprs: 4
; NumVgprs: 0
; NumAgprs: 0
; TotalNumVgprs: 0
; ScratchSize: 0
; MemoryBound: 0
; FloatMode: 240
; IeeeMode: 1
; LDSByteSize: 0 bytes/workgroup (compile time only)
; SGPRBlocks: 0
; VGPRBlocks: 0
; NumSGPRsForWavesPerEU: 4
; NumVGPRsForWavesPerEU: 1
; AccumOffset: 4
; Occupancy: 8
; WaveLimiterHint : 0
; COMPUTE_PGM_RSRC2:SCRATCH_EN: 0
; COMPUTE_PGM_RSRC2:USER_SGPR: 6
; COMPUTE_PGM_RSRC2:TRAP_HANDLER: 0
; COMPUTE_PGM_RSRC2:TGID_X_EN: 1
; COMPUTE_PGM_RSRC2:TGID_Y_EN: 0
; COMPUTE_PGM_RSRC2:TGID_Z_EN: 0
; COMPUTE_PGM_RSRC2:TIDIG_COMP_CNT: 0
; COMPUTE_PGM_RSRC3_GFX90A:ACCUM_OFFSET: 0
; COMPUTE_PGM_RSRC3_GFX90A:TG_SPLIT: 0
	.section	.text._ZN7rocprim17ROCPRIM_400000_NS6detail17trampoline_kernelINS0_14default_configENS1_20scan_config_selectorIyEEZZNS1_9scan_implILNS1_25lookback_scan_determinismE0ELb1ELb1ES3_N6thrust23THRUST_200600_302600_NS6detail15normal_iteratorINS9_10device_ptrIyEEEESE_y11max_functorIyEyEEDaPvRmT3_T4_T5_mT6_P12ihipStream_tbENKUlT_T0_E_clISt17integral_constantIbLb0EESU_EEDaSP_SQ_EUlSP_E_NS1_11comp_targetILNS1_3genE0ELNS1_11target_archE4294967295ELNS1_3gpuE0ELNS1_3repE0EEENS1_30default_config_static_selectorELNS0_4arch9wavefront6targetE1EEEvT1_,"axG",@progbits,_ZN7rocprim17ROCPRIM_400000_NS6detail17trampoline_kernelINS0_14default_configENS1_20scan_config_selectorIyEEZZNS1_9scan_implILNS1_25lookback_scan_determinismE0ELb1ELb1ES3_N6thrust23THRUST_200600_302600_NS6detail15normal_iteratorINS9_10device_ptrIyEEEESE_y11max_functorIyEyEEDaPvRmT3_T4_T5_mT6_P12ihipStream_tbENKUlT_T0_E_clISt17integral_constantIbLb0EESU_EEDaSP_SQ_EUlSP_E_NS1_11comp_targetILNS1_3genE0ELNS1_11target_archE4294967295ELNS1_3gpuE0ELNS1_3repE0EEENS1_30default_config_static_selectorELNS0_4arch9wavefront6targetE1EEEvT1_,comdat
	.protected	_ZN7rocprim17ROCPRIM_400000_NS6detail17trampoline_kernelINS0_14default_configENS1_20scan_config_selectorIyEEZZNS1_9scan_implILNS1_25lookback_scan_determinismE0ELb1ELb1ES3_N6thrust23THRUST_200600_302600_NS6detail15normal_iteratorINS9_10device_ptrIyEEEESE_y11max_functorIyEyEEDaPvRmT3_T4_T5_mT6_P12ihipStream_tbENKUlT_T0_E_clISt17integral_constantIbLb0EESU_EEDaSP_SQ_EUlSP_E_NS1_11comp_targetILNS1_3genE0ELNS1_11target_archE4294967295ELNS1_3gpuE0ELNS1_3repE0EEENS1_30default_config_static_selectorELNS0_4arch9wavefront6targetE1EEEvT1_ ; -- Begin function _ZN7rocprim17ROCPRIM_400000_NS6detail17trampoline_kernelINS0_14default_configENS1_20scan_config_selectorIyEEZZNS1_9scan_implILNS1_25lookback_scan_determinismE0ELb1ELb1ES3_N6thrust23THRUST_200600_302600_NS6detail15normal_iteratorINS9_10device_ptrIyEEEESE_y11max_functorIyEyEEDaPvRmT3_T4_T5_mT6_P12ihipStream_tbENKUlT_T0_E_clISt17integral_constantIbLb0EESU_EEDaSP_SQ_EUlSP_E_NS1_11comp_targetILNS1_3genE0ELNS1_11target_archE4294967295ELNS1_3gpuE0ELNS1_3repE0EEENS1_30default_config_static_selectorELNS0_4arch9wavefront6targetE1EEEvT1_
	.globl	_ZN7rocprim17ROCPRIM_400000_NS6detail17trampoline_kernelINS0_14default_configENS1_20scan_config_selectorIyEEZZNS1_9scan_implILNS1_25lookback_scan_determinismE0ELb1ELb1ES3_N6thrust23THRUST_200600_302600_NS6detail15normal_iteratorINS9_10device_ptrIyEEEESE_y11max_functorIyEyEEDaPvRmT3_T4_T5_mT6_P12ihipStream_tbENKUlT_T0_E_clISt17integral_constantIbLb0EESU_EEDaSP_SQ_EUlSP_E_NS1_11comp_targetILNS1_3genE0ELNS1_11target_archE4294967295ELNS1_3gpuE0ELNS1_3repE0EEENS1_30default_config_static_selectorELNS0_4arch9wavefront6targetE1EEEvT1_
	.p2align	8
	.type	_ZN7rocprim17ROCPRIM_400000_NS6detail17trampoline_kernelINS0_14default_configENS1_20scan_config_selectorIyEEZZNS1_9scan_implILNS1_25lookback_scan_determinismE0ELb1ELb1ES3_N6thrust23THRUST_200600_302600_NS6detail15normal_iteratorINS9_10device_ptrIyEEEESE_y11max_functorIyEyEEDaPvRmT3_T4_T5_mT6_P12ihipStream_tbENKUlT_T0_E_clISt17integral_constantIbLb0EESU_EEDaSP_SQ_EUlSP_E_NS1_11comp_targetILNS1_3genE0ELNS1_11target_archE4294967295ELNS1_3gpuE0ELNS1_3repE0EEENS1_30default_config_static_selectorELNS0_4arch9wavefront6targetE1EEEvT1_,@function
_ZN7rocprim17ROCPRIM_400000_NS6detail17trampoline_kernelINS0_14default_configENS1_20scan_config_selectorIyEEZZNS1_9scan_implILNS1_25lookback_scan_determinismE0ELb1ELb1ES3_N6thrust23THRUST_200600_302600_NS6detail15normal_iteratorINS9_10device_ptrIyEEEESE_y11max_functorIyEyEEDaPvRmT3_T4_T5_mT6_P12ihipStream_tbENKUlT_T0_E_clISt17integral_constantIbLb0EESU_EEDaSP_SQ_EUlSP_E_NS1_11comp_targetILNS1_3genE0ELNS1_11target_archE4294967295ELNS1_3gpuE0ELNS1_3repE0EEENS1_30default_config_static_selectorELNS0_4arch9wavefront6targetE1EEEvT1_: ; @_ZN7rocprim17ROCPRIM_400000_NS6detail17trampoline_kernelINS0_14default_configENS1_20scan_config_selectorIyEEZZNS1_9scan_implILNS1_25lookback_scan_determinismE0ELb1ELb1ES3_N6thrust23THRUST_200600_302600_NS6detail15normal_iteratorINS9_10device_ptrIyEEEESE_y11max_functorIyEyEEDaPvRmT3_T4_T5_mT6_P12ihipStream_tbENKUlT_T0_E_clISt17integral_constantIbLb0EESU_EEDaSP_SQ_EUlSP_E_NS1_11comp_targetILNS1_3genE0ELNS1_11target_archE4294967295ELNS1_3gpuE0ELNS1_3repE0EEENS1_30default_config_static_selectorELNS0_4arch9wavefront6targetE1EEEvT1_
; %bb.0:
	.section	.rodata,"a",@progbits
	.p2align	6, 0x0
	.amdhsa_kernel _ZN7rocprim17ROCPRIM_400000_NS6detail17trampoline_kernelINS0_14default_configENS1_20scan_config_selectorIyEEZZNS1_9scan_implILNS1_25lookback_scan_determinismE0ELb1ELb1ES3_N6thrust23THRUST_200600_302600_NS6detail15normal_iteratorINS9_10device_ptrIyEEEESE_y11max_functorIyEyEEDaPvRmT3_T4_T5_mT6_P12ihipStream_tbENKUlT_T0_E_clISt17integral_constantIbLb0EESU_EEDaSP_SQ_EUlSP_E_NS1_11comp_targetILNS1_3genE0ELNS1_11target_archE4294967295ELNS1_3gpuE0ELNS1_3repE0EEENS1_30default_config_static_selectorELNS0_4arch9wavefront6targetE1EEEvT1_
		.amdhsa_group_segment_fixed_size 0
		.amdhsa_private_segment_fixed_size 0
		.amdhsa_kernarg_size 104
		.amdhsa_user_sgpr_count 6
		.amdhsa_user_sgpr_private_segment_buffer 1
		.amdhsa_user_sgpr_dispatch_ptr 0
		.amdhsa_user_sgpr_queue_ptr 0
		.amdhsa_user_sgpr_kernarg_segment_ptr 1
		.amdhsa_user_sgpr_dispatch_id 0
		.amdhsa_user_sgpr_flat_scratch_init 0
		.amdhsa_user_sgpr_kernarg_preload_length 0
		.amdhsa_user_sgpr_kernarg_preload_offset 0
		.amdhsa_user_sgpr_private_segment_size 0
		.amdhsa_uses_dynamic_stack 0
		.amdhsa_system_sgpr_private_segment_wavefront_offset 0
		.amdhsa_system_sgpr_workgroup_id_x 1
		.amdhsa_system_sgpr_workgroup_id_y 0
		.amdhsa_system_sgpr_workgroup_id_z 0
		.amdhsa_system_sgpr_workgroup_info 0
		.amdhsa_system_vgpr_workitem_id 0
		.amdhsa_next_free_vgpr 1
		.amdhsa_next_free_sgpr 0
		.amdhsa_accum_offset 4
		.amdhsa_reserve_vcc 0
		.amdhsa_reserve_flat_scratch 0
		.amdhsa_float_round_mode_32 0
		.amdhsa_float_round_mode_16_64 0
		.amdhsa_float_denorm_mode_32 3
		.amdhsa_float_denorm_mode_16_64 3
		.amdhsa_dx10_clamp 1
		.amdhsa_ieee_mode 1
		.amdhsa_fp16_overflow 0
		.amdhsa_tg_split 0
		.amdhsa_exception_fp_ieee_invalid_op 0
		.amdhsa_exception_fp_denorm_src 0
		.amdhsa_exception_fp_ieee_div_zero 0
		.amdhsa_exception_fp_ieee_overflow 0
		.amdhsa_exception_fp_ieee_underflow 0
		.amdhsa_exception_fp_ieee_inexact 0
		.amdhsa_exception_int_div_zero 0
	.end_amdhsa_kernel
	.section	.text._ZN7rocprim17ROCPRIM_400000_NS6detail17trampoline_kernelINS0_14default_configENS1_20scan_config_selectorIyEEZZNS1_9scan_implILNS1_25lookback_scan_determinismE0ELb1ELb1ES3_N6thrust23THRUST_200600_302600_NS6detail15normal_iteratorINS9_10device_ptrIyEEEESE_y11max_functorIyEyEEDaPvRmT3_T4_T5_mT6_P12ihipStream_tbENKUlT_T0_E_clISt17integral_constantIbLb0EESU_EEDaSP_SQ_EUlSP_E_NS1_11comp_targetILNS1_3genE0ELNS1_11target_archE4294967295ELNS1_3gpuE0ELNS1_3repE0EEENS1_30default_config_static_selectorELNS0_4arch9wavefront6targetE1EEEvT1_,"axG",@progbits,_ZN7rocprim17ROCPRIM_400000_NS6detail17trampoline_kernelINS0_14default_configENS1_20scan_config_selectorIyEEZZNS1_9scan_implILNS1_25lookback_scan_determinismE0ELb1ELb1ES3_N6thrust23THRUST_200600_302600_NS6detail15normal_iteratorINS9_10device_ptrIyEEEESE_y11max_functorIyEyEEDaPvRmT3_T4_T5_mT6_P12ihipStream_tbENKUlT_T0_E_clISt17integral_constantIbLb0EESU_EEDaSP_SQ_EUlSP_E_NS1_11comp_targetILNS1_3genE0ELNS1_11target_archE4294967295ELNS1_3gpuE0ELNS1_3repE0EEENS1_30default_config_static_selectorELNS0_4arch9wavefront6targetE1EEEvT1_,comdat
.Lfunc_end2172:
	.size	_ZN7rocprim17ROCPRIM_400000_NS6detail17trampoline_kernelINS0_14default_configENS1_20scan_config_selectorIyEEZZNS1_9scan_implILNS1_25lookback_scan_determinismE0ELb1ELb1ES3_N6thrust23THRUST_200600_302600_NS6detail15normal_iteratorINS9_10device_ptrIyEEEESE_y11max_functorIyEyEEDaPvRmT3_T4_T5_mT6_P12ihipStream_tbENKUlT_T0_E_clISt17integral_constantIbLb0EESU_EEDaSP_SQ_EUlSP_E_NS1_11comp_targetILNS1_3genE0ELNS1_11target_archE4294967295ELNS1_3gpuE0ELNS1_3repE0EEENS1_30default_config_static_selectorELNS0_4arch9wavefront6targetE1EEEvT1_, .Lfunc_end2172-_ZN7rocprim17ROCPRIM_400000_NS6detail17trampoline_kernelINS0_14default_configENS1_20scan_config_selectorIyEEZZNS1_9scan_implILNS1_25lookback_scan_determinismE0ELb1ELb1ES3_N6thrust23THRUST_200600_302600_NS6detail15normal_iteratorINS9_10device_ptrIyEEEESE_y11max_functorIyEyEEDaPvRmT3_T4_T5_mT6_P12ihipStream_tbENKUlT_T0_E_clISt17integral_constantIbLb0EESU_EEDaSP_SQ_EUlSP_E_NS1_11comp_targetILNS1_3genE0ELNS1_11target_archE4294967295ELNS1_3gpuE0ELNS1_3repE0EEENS1_30default_config_static_selectorELNS0_4arch9wavefront6targetE1EEEvT1_
                                        ; -- End function
	.section	.AMDGPU.csdata,"",@progbits
; Kernel info:
; codeLenInByte = 0
; NumSgprs: 4
; NumVgprs: 0
; NumAgprs: 0
; TotalNumVgprs: 0
; ScratchSize: 0
; MemoryBound: 0
; FloatMode: 240
; IeeeMode: 1
; LDSByteSize: 0 bytes/workgroup (compile time only)
; SGPRBlocks: 0
; VGPRBlocks: 0
; NumSGPRsForWavesPerEU: 4
; NumVGPRsForWavesPerEU: 1
; AccumOffset: 4
; Occupancy: 8
; WaveLimiterHint : 0
; COMPUTE_PGM_RSRC2:SCRATCH_EN: 0
; COMPUTE_PGM_RSRC2:USER_SGPR: 6
; COMPUTE_PGM_RSRC2:TRAP_HANDLER: 0
; COMPUTE_PGM_RSRC2:TGID_X_EN: 1
; COMPUTE_PGM_RSRC2:TGID_Y_EN: 0
; COMPUTE_PGM_RSRC2:TGID_Z_EN: 0
; COMPUTE_PGM_RSRC2:TIDIG_COMP_CNT: 0
; COMPUTE_PGM_RSRC3_GFX90A:ACCUM_OFFSET: 0
; COMPUTE_PGM_RSRC3_GFX90A:TG_SPLIT: 0
	.section	.text._ZN7rocprim17ROCPRIM_400000_NS6detail17trampoline_kernelINS0_14default_configENS1_20scan_config_selectorIyEEZZNS1_9scan_implILNS1_25lookback_scan_determinismE0ELb1ELb1ES3_N6thrust23THRUST_200600_302600_NS6detail15normal_iteratorINS9_10device_ptrIyEEEESE_y11max_functorIyEyEEDaPvRmT3_T4_T5_mT6_P12ihipStream_tbENKUlT_T0_E_clISt17integral_constantIbLb0EESU_EEDaSP_SQ_EUlSP_E_NS1_11comp_targetILNS1_3genE5ELNS1_11target_archE942ELNS1_3gpuE9ELNS1_3repE0EEENS1_30default_config_static_selectorELNS0_4arch9wavefront6targetE1EEEvT1_,"axG",@progbits,_ZN7rocprim17ROCPRIM_400000_NS6detail17trampoline_kernelINS0_14default_configENS1_20scan_config_selectorIyEEZZNS1_9scan_implILNS1_25lookback_scan_determinismE0ELb1ELb1ES3_N6thrust23THRUST_200600_302600_NS6detail15normal_iteratorINS9_10device_ptrIyEEEESE_y11max_functorIyEyEEDaPvRmT3_T4_T5_mT6_P12ihipStream_tbENKUlT_T0_E_clISt17integral_constantIbLb0EESU_EEDaSP_SQ_EUlSP_E_NS1_11comp_targetILNS1_3genE5ELNS1_11target_archE942ELNS1_3gpuE9ELNS1_3repE0EEENS1_30default_config_static_selectorELNS0_4arch9wavefront6targetE1EEEvT1_,comdat
	.protected	_ZN7rocprim17ROCPRIM_400000_NS6detail17trampoline_kernelINS0_14default_configENS1_20scan_config_selectorIyEEZZNS1_9scan_implILNS1_25lookback_scan_determinismE0ELb1ELb1ES3_N6thrust23THRUST_200600_302600_NS6detail15normal_iteratorINS9_10device_ptrIyEEEESE_y11max_functorIyEyEEDaPvRmT3_T4_T5_mT6_P12ihipStream_tbENKUlT_T0_E_clISt17integral_constantIbLb0EESU_EEDaSP_SQ_EUlSP_E_NS1_11comp_targetILNS1_3genE5ELNS1_11target_archE942ELNS1_3gpuE9ELNS1_3repE0EEENS1_30default_config_static_selectorELNS0_4arch9wavefront6targetE1EEEvT1_ ; -- Begin function _ZN7rocprim17ROCPRIM_400000_NS6detail17trampoline_kernelINS0_14default_configENS1_20scan_config_selectorIyEEZZNS1_9scan_implILNS1_25lookback_scan_determinismE0ELb1ELb1ES3_N6thrust23THRUST_200600_302600_NS6detail15normal_iteratorINS9_10device_ptrIyEEEESE_y11max_functorIyEyEEDaPvRmT3_T4_T5_mT6_P12ihipStream_tbENKUlT_T0_E_clISt17integral_constantIbLb0EESU_EEDaSP_SQ_EUlSP_E_NS1_11comp_targetILNS1_3genE5ELNS1_11target_archE942ELNS1_3gpuE9ELNS1_3repE0EEENS1_30default_config_static_selectorELNS0_4arch9wavefront6targetE1EEEvT1_
	.globl	_ZN7rocprim17ROCPRIM_400000_NS6detail17trampoline_kernelINS0_14default_configENS1_20scan_config_selectorIyEEZZNS1_9scan_implILNS1_25lookback_scan_determinismE0ELb1ELb1ES3_N6thrust23THRUST_200600_302600_NS6detail15normal_iteratorINS9_10device_ptrIyEEEESE_y11max_functorIyEyEEDaPvRmT3_T4_T5_mT6_P12ihipStream_tbENKUlT_T0_E_clISt17integral_constantIbLb0EESU_EEDaSP_SQ_EUlSP_E_NS1_11comp_targetILNS1_3genE5ELNS1_11target_archE942ELNS1_3gpuE9ELNS1_3repE0EEENS1_30default_config_static_selectorELNS0_4arch9wavefront6targetE1EEEvT1_
	.p2align	8
	.type	_ZN7rocprim17ROCPRIM_400000_NS6detail17trampoline_kernelINS0_14default_configENS1_20scan_config_selectorIyEEZZNS1_9scan_implILNS1_25lookback_scan_determinismE0ELb1ELb1ES3_N6thrust23THRUST_200600_302600_NS6detail15normal_iteratorINS9_10device_ptrIyEEEESE_y11max_functorIyEyEEDaPvRmT3_T4_T5_mT6_P12ihipStream_tbENKUlT_T0_E_clISt17integral_constantIbLb0EESU_EEDaSP_SQ_EUlSP_E_NS1_11comp_targetILNS1_3genE5ELNS1_11target_archE942ELNS1_3gpuE9ELNS1_3repE0EEENS1_30default_config_static_selectorELNS0_4arch9wavefront6targetE1EEEvT1_,@function
_ZN7rocprim17ROCPRIM_400000_NS6detail17trampoline_kernelINS0_14default_configENS1_20scan_config_selectorIyEEZZNS1_9scan_implILNS1_25lookback_scan_determinismE0ELb1ELb1ES3_N6thrust23THRUST_200600_302600_NS6detail15normal_iteratorINS9_10device_ptrIyEEEESE_y11max_functorIyEyEEDaPvRmT3_T4_T5_mT6_P12ihipStream_tbENKUlT_T0_E_clISt17integral_constantIbLb0EESU_EEDaSP_SQ_EUlSP_E_NS1_11comp_targetILNS1_3genE5ELNS1_11target_archE942ELNS1_3gpuE9ELNS1_3repE0EEENS1_30default_config_static_selectorELNS0_4arch9wavefront6targetE1EEEvT1_: ; @_ZN7rocprim17ROCPRIM_400000_NS6detail17trampoline_kernelINS0_14default_configENS1_20scan_config_selectorIyEEZZNS1_9scan_implILNS1_25lookback_scan_determinismE0ELb1ELb1ES3_N6thrust23THRUST_200600_302600_NS6detail15normal_iteratorINS9_10device_ptrIyEEEESE_y11max_functorIyEyEEDaPvRmT3_T4_T5_mT6_P12ihipStream_tbENKUlT_T0_E_clISt17integral_constantIbLb0EESU_EEDaSP_SQ_EUlSP_E_NS1_11comp_targetILNS1_3genE5ELNS1_11target_archE942ELNS1_3gpuE9ELNS1_3repE0EEENS1_30default_config_static_selectorELNS0_4arch9wavefront6targetE1EEEvT1_
; %bb.0:
	.section	.rodata,"a",@progbits
	.p2align	6, 0x0
	.amdhsa_kernel _ZN7rocprim17ROCPRIM_400000_NS6detail17trampoline_kernelINS0_14default_configENS1_20scan_config_selectorIyEEZZNS1_9scan_implILNS1_25lookback_scan_determinismE0ELb1ELb1ES3_N6thrust23THRUST_200600_302600_NS6detail15normal_iteratorINS9_10device_ptrIyEEEESE_y11max_functorIyEyEEDaPvRmT3_T4_T5_mT6_P12ihipStream_tbENKUlT_T0_E_clISt17integral_constantIbLb0EESU_EEDaSP_SQ_EUlSP_E_NS1_11comp_targetILNS1_3genE5ELNS1_11target_archE942ELNS1_3gpuE9ELNS1_3repE0EEENS1_30default_config_static_selectorELNS0_4arch9wavefront6targetE1EEEvT1_
		.amdhsa_group_segment_fixed_size 0
		.amdhsa_private_segment_fixed_size 0
		.amdhsa_kernarg_size 104
		.amdhsa_user_sgpr_count 6
		.amdhsa_user_sgpr_private_segment_buffer 1
		.amdhsa_user_sgpr_dispatch_ptr 0
		.amdhsa_user_sgpr_queue_ptr 0
		.amdhsa_user_sgpr_kernarg_segment_ptr 1
		.amdhsa_user_sgpr_dispatch_id 0
		.amdhsa_user_sgpr_flat_scratch_init 0
		.amdhsa_user_sgpr_kernarg_preload_length 0
		.amdhsa_user_sgpr_kernarg_preload_offset 0
		.amdhsa_user_sgpr_private_segment_size 0
		.amdhsa_uses_dynamic_stack 0
		.amdhsa_system_sgpr_private_segment_wavefront_offset 0
		.amdhsa_system_sgpr_workgroup_id_x 1
		.amdhsa_system_sgpr_workgroup_id_y 0
		.amdhsa_system_sgpr_workgroup_id_z 0
		.amdhsa_system_sgpr_workgroup_info 0
		.amdhsa_system_vgpr_workitem_id 0
		.amdhsa_next_free_vgpr 1
		.amdhsa_next_free_sgpr 0
		.amdhsa_accum_offset 4
		.amdhsa_reserve_vcc 0
		.amdhsa_reserve_flat_scratch 0
		.amdhsa_float_round_mode_32 0
		.amdhsa_float_round_mode_16_64 0
		.amdhsa_float_denorm_mode_32 3
		.amdhsa_float_denorm_mode_16_64 3
		.amdhsa_dx10_clamp 1
		.amdhsa_ieee_mode 1
		.amdhsa_fp16_overflow 0
		.amdhsa_tg_split 0
		.amdhsa_exception_fp_ieee_invalid_op 0
		.amdhsa_exception_fp_denorm_src 0
		.amdhsa_exception_fp_ieee_div_zero 0
		.amdhsa_exception_fp_ieee_overflow 0
		.amdhsa_exception_fp_ieee_underflow 0
		.amdhsa_exception_fp_ieee_inexact 0
		.amdhsa_exception_int_div_zero 0
	.end_amdhsa_kernel
	.section	.text._ZN7rocprim17ROCPRIM_400000_NS6detail17trampoline_kernelINS0_14default_configENS1_20scan_config_selectorIyEEZZNS1_9scan_implILNS1_25lookback_scan_determinismE0ELb1ELb1ES3_N6thrust23THRUST_200600_302600_NS6detail15normal_iteratorINS9_10device_ptrIyEEEESE_y11max_functorIyEyEEDaPvRmT3_T4_T5_mT6_P12ihipStream_tbENKUlT_T0_E_clISt17integral_constantIbLb0EESU_EEDaSP_SQ_EUlSP_E_NS1_11comp_targetILNS1_3genE5ELNS1_11target_archE942ELNS1_3gpuE9ELNS1_3repE0EEENS1_30default_config_static_selectorELNS0_4arch9wavefront6targetE1EEEvT1_,"axG",@progbits,_ZN7rocprim17ROCPRIM_400000_NS6detail17trampoline_kernelINS0_14default_configENS1_20scan_config_selectorIyEEZZNS1_9scan_implILNS1_25lookback_scan_determinismE0ELb1ELb1ES3_N6thrust23THRUST_200600_302600_NS6detail15normal_iteratorINS9_10device_ptrIyEEEESE_y11max_functorIyEyEEDaPvRmT3_T4_T5_mT6_P12ihipStream_tbENKUlT_T0_E_clISt17integral_constantIbLb0EESU_EEDaSP_SQ_EUlSP_E_NS1_11comp_targetILNS1_3genE5ELNS1_11target_archE942ELNS1_3gpuE9ELNS1_3repE0EEENS1_30default_config_static_selectorELNS0_4arch9wavefront6targetE1EEEvT1_,comdat
.Lfunc_end2173:
	.size	_ZN7rocprim17ROCPRIM_400000_NS6detail17trampoline_kernelINS0_14default_configENS1_20scan_config_selectorIyEEZZNS1_9scan_implILNS1_25lookback_scan_determinismE0ELb1ELb1ES3_N6thrust23THRUST_200600_302600_NS6detail15normal_iteratorINS9_10device_ptrIyEEEESE_y11max_functorIyEyEEDaPvRmT3_T4_T5_mT6_P12ihipStream_tbENKUlT_T0_E_clISt17integral_constantIbLb0EESU_EEDaSP_SQ_EUlSP_E_NS1_11comp_targetILNS1_3genE5ELNS1_11target_archE942ELNS1_3gpuE9ELNS1_3repE0EEENS1_30default_config_static_selectorELNS0_4arch9wavefront6targetE1EEEvT1_, .Lfunc_end2173-_ZN7rocprim17ROCPRIM_400000_NS6detail17trampoline_kernelINS0_14default_configENS1_20scan_config_selectorIyEEZZNS1_9scan_implILNS1_25lookback_scan_determinismE0ELb1ELb1ES3_N6thrust23THRUST_200600_302600_NS6detail15normal_iteratorINS9_10device_ptrIyEEEESE_y11max_functorIyEyEEDaPvRmT3_T4_T5_mT6_P12ihipStream_tbENKUlT_T0_E_clISt17integral_constantIbLb0EESU_EEDaSP_SQ_EUlSP_E_NS1_11comp_targetILNS1_3genE5ELNS1_11target_archE942ELNS1_3gpuE9ELNS1_3repE0EEENS1_30default_config_static_selectorELNS0_4arch9wavefront6targetE1EEEvT1_
                                        ; -- End function
	.section	.AMDGPU.csdata,"",@progbits
; Kernel info:
; codeLenInByte = 0
; NumSgprs: 4
; NumVgprs: 0
; NumAgprs: 0
; TotalNumVgprs: 0
; ScratchSize: 0
; MemoryBound: 0
; FloatMode: 240
; IeeeMode: 1
; LDSByteSize: 0 bytes/workgroup (compile time only)
; SGPRBlocks: 0
; VGPRBlocks: 0
; NumSGPRsForWavesPerEU: 4
; NumVGPRsForWavesPerEU: 1
; AccumOffset: 4
; Occupancy: 8
; WaveLimiterHint : 0
; COMPUTE_PGM_RSRC2:SCRATCH_EN: 0
; COMPUTE_PGM_RSRC2:USER_SGPR: 6
; COMPUTE_PGM_RSRC2:TRAP_HANDLER: 0
; COMPUTE_PGM_RSRC2:TGID_X_EN: 1
; COMPUTE_PGM_RSRC2:TGID_Y_EN: 0
; COMPUTE_PGM_RSRC2:TGID_Z_EN: 0
; COMPUTE_PGM_RSRC2:TIDIG_COMP_CNT: 0
; COMPUTE_PGM_RSRC3_GFX90A:ACCUM_OFFSET: 0
; COMPUTE_PGM_RSRC3_GFX90A:TG_SPLIT: 0
	.section	.text._ZN7rocprim17ROCPRIM_400000_NS6detail17trampoline_kernelINS0_14default_configENS1_20scan_config_selectorIyEEZZNS1_9scan_implILNS1_25lookback_scan_determinismE0ELb1ELb1ES3_N6thrust23THRUST_200600_302600_NS6detail15normal_iteratorINS9_10device_ptrIyEEEESE_y11max_functorIyEyEEDaPvRmT3_T4_T5_mT6_P12ihipStream_tbENKUlT_T0_E_clISt17integral_constantIbLb0EESU_EEDaSP_SQ_EUlSP_E_NS1_11comp_targetILNS1_3genE4ELNS1_11target_archE910ELNS1_3gpuE8ELNS1_3repE0EEENS1_30default_config_static_selectorELNS0_4arch9wavefront6targetE1EEEvT1_,"axG",@progbits,_ZN7rocprim17ROCPRIM_400000_NS6detail17trampoline_kernelINS0_14default_configENS1_20scan_config_selectorIyEEZZNS1_9scan_implILNS1_25lookback_scan_determinismE0ELb1ELb1ES3_N6thrust23THRUST_200600_302600_NS6detail15normal_iteratorINS9_10device_ptrIyEEEESE_y11max_functorIyEyEEDaPvRmT3_T4_T5_mT6_P12ihipStream_tbENKUlT_T0_E_clISt17integral_constantIbLb0EESU_EEDaSP_SQ_EUlSP_E_NS1_11comp_targetILNS1_3genE4ELNS1_11target_archE910ELNS1_3gpuE8ELNS1_3repE0EEENS1_30default_config_static_selectorELNS0_4arch9wavefront6targetE1EEEvT1_,comdat
	.protected	_ZN7rocprim17ROCPRIM_400000_NS6detail17trampoline_kernelINS0_14default_configENS1_20scan_config_selectorIyEEZZNS1_9scan_implILNS1_25lookback_scan_determinismE0ELb1ELb1ES3_N6thrust23THRUST_200600_302600_NS6detail15normal_iteratorINS9_10device_ptrIyEEEESE_y11max_functorIyEyEEDaPvRmT3_T4_T5_mT6_P12ihipStream_tbENKUlT_T0_E_clISt17integral_constantIbLb0EESU_EEDaSP_SQ_EUlSP_E_NS1_11comp_targetILNS1_3genE4ELNS1_11target_archE910ELNS1_3gpuE8ELNS1_3repE0EEENS1_30default_config_static_selectorELNS0_4arch9wavefront6targetE1EEEvT1_ ; -- Begin function _ZN7rocprim17ROCPRIM_400000_NS6detail17trampoline_kernelINS0_14default_configENS1_20scan_config_selectorIyEEZZNS1_9scan_implILNS1_25lookback_scan_determinismE0ELb1ELb1ES3_N6thrust23THRUST_200600_302600_NS6detail15normal_iteratorINS9_10device_ptrIyEEEESE_y11max_functorIyEyEEDaPvRmT3_T4_T5_mT6_P12ihipStream_tbENKUlT_T0_E_clISt17integral_constantIbLb0EESU_EEDaSP_SQ_EUlSP_E_NS1_11comp_targetILNS1_3genE4ELNS1_11target_archE910ELNS1_3gpuE8ELNS1_3repE0EEENS1_30default_config_static_selectorELNS0_4arch9wavefront6targetE1EEEvT1_
	.globl	_ZN7rocprim17ROCPRIM_400000_NS6detail17trampoline_kernelINS0_14default_configENS1_20scan_config_selectorIyEEZZNS1_9scan_implILNS1_25lookback_scan_determinismE0ELb1ELb1ES3_N6thrust23THRUST_200600_302600_NS6detail15normal_iteratorINS9_10device_ptrIyEEEESE_y11max_functorIyEyEEDaPvRmT3_T4_T5_mT6_P12ihipStream_tbENKUlT_T0_E_clISt17integral_constantIbLb0EESU_EEDaSP_SQ_EUlSP_E_NS1_11comp_targetILNS1_3genE4ELNS1_11target_archE910ELNS1_3gpuE8ELNS1_3repE0EEENS1_30default_config_static_selectorELNS0_4arch9wavefront6targetE1EEEvT1_
	.p2align	8
	.type	_ZN7rocprim17ROCPRIM_400000_NS6detail17trampoline_kernelINS0_14default_configENS1_20scan_config_selectorIyEEZZNS1_9scan_implILNS1_25lookback_scan_determinismE0ELb1ELb1ES3_N6thrust23THRUST_200600_302600_NS6detail15normal_iteratorINS9_10device_ptrIyEEEESE_y11max_functorIyEyEEDaPvRmT3_T4_T5_mT6_P12ihipStream_tbENKUlT_T0_E_clISt17integral_constantIbLb0EESU_EEDaSP_SQ_EUlSP_E_NS1_11comp_targetILNS1_3genE4ELNS1_11target_archE910ELNS1_3gpuE8ELNS1_3repE0EEENS1_30default_config_static_selectorELNS0_4arch9wavefront6targetE1EEEvT1_,@function
_ZN7rocprim17ROCPRIM_400000_NS6detail17trampoline_kernelINS0_14default_configENS1_20scan_config_selectorIyEEZZNS1_9scan_implILNS1_25lookback_scan_determinismE0ELb1ELb1ES3_N6thrust23THRUST_200600_302600_NS6detail15normal_iteratorINS9_10device_ptrIyEEEESE_y11max_functorIyEyEEDaPvRmT3_T4_T5_mT6_P12ihipStream_tbENKUlT_T0_E_clISt17integral_constantIbLb0EESU_EEDaSP_SQ_EUlSP_E_NS1_11comp_targetILNS1_3genE4ELNS1_11target_archE910ELNS1_3gpuE8ELNS1_3repE0EEENS1_30default_config_static_selectorELNS0_4arch9wavefront6targetE1EEEvT1_: ; @_ZN7rocprim17ROCPRIM_400000_NS6detail17trampoline_kernelINS0_14default_configENS1_20scan_config_selectorIyEEZZNS1_9scan_implILNS1_25lookback_scan_determinismE0ELb1ELb1ES3_N6thrust23THRUST_200600_302600_NS6detail15normal_iteratorINS9_10device_ptrIyEEEESE_y11max_functorIyEyEEDaPvRmT3_T4_T5_mT6_P12ihipStream_tbENKUlT_T0_E_clISt17integral_constantIbLb0EESU_EEDaSP_SQ_EUlSP_E_NS1_11comp_targetILNS1_3genE4ELNS1_11target_archE910ELNS1_3gpuE8ELNS1_3repE0EEENS1_30default_config_static_selectorELNS0_4arch9wavefront6targetE1EEEvT1_
; %bb.0:
	s_load_dwordx8 s[12:19], s[4:5], 0x0
	s_load_dword s1, s[4:5], 0x38
	s_mul_i32 s0, s6, 0x380
	v_lshlrev_b32_e32 v36, 3, v0
	s_waitcnt lgkmcnt(0)
	s_lshl_b64 s[20:21], s[14:15], 3
	s_add_u32 s33, s12, s20
	s_addc_u32 s34, s13, s21
	s_add_i32 s2, s1, -1
	s_mul_i32 s3, s2, 0x380
	s_sub_u32 s30, s18, s3
	s_subb_u32 s31, s19, 0
	s_mov_b32 s1, 0
	s_cmp_lg_u32 s6, s2
	s_cselect_b64 s[18:19], -1, 0
	s_lshl_b64 s[22:23], s[0:1], 3
	s_add_u32 s2, s33, s22
	s_addc_u32 s3, s34, s23
	s_mov_b64 s[0:1], -1
	s_and_b64 vcc, exec, s[18:19]
	s_cbranch_vccz .LBB2174_2
; %bb.1:
	v_mov_b32_e32 v1, s3
	v_add_co_u32_e32 v2, vcc, s2, v36
	v_addc_co_u32_e32 v3, vcc, 0, v1, vcc
	flat_load_dwordx2 v[4:5], v[2:3]
	flat_load_dwordx2 v[6:7], v[2:3] offset:1024
	flat_load_dwordx2 v[8:9], v[2:3] offset:2048
	;; [unrolled: 1-line block ×3, first 2 shown]
	v_add_co_u32_e32 v2, vcc, 0x1000, v2
	v_addc_co_u32_e32 v3, vcc, 0, v3, vcc
	flat_load_dwordx2 v[12:13], v[2:3]
	flat_load_dwordx2 v[14:15], v[2:3] offset:1024
	flat_load_dwordx2 v[16:17], v[2:3] offset:2048
	s_mov_b64 s[0:1], 0
	s_waitcnt vmcnt(0) lgkmcnt(0)
	ds_write2st64_b64 v36, v[4:5], v[6:7] offset1:2
	ds_write2st64_b64 v36, v[8:9], v[10:11] offset0:4 offset1:6
	ds_write2st64_b64 v36, v[12:13], v[14:15] offset0:8 offset1:10
	ds_write_b64 v36, v[16:17] offset:6144
	s_waitcnt lgkmcnt(0)
	s_barrier
.LBB2174_2:
	s_load_dwordx2 s[26:27], s[4:5], 0x20
	s_load_dwordx2 s[24:25], s[4:5], 0x30
	s_andn2_b64 vcc, exec, s[0:1]
	v_cmp_gt_u32_e64 s[0:1], s30, v0
	s_cbranch_vccnz .LBB2174_18
; %bb.3:
	v_pk_mov_b32 v[2:3], s[2:3], s[2:3] op_sel:[0,1]
	flat_load_dwordx2 v[2:3], v[2:3]
	s_waitcnt vmcnt(0) lgkmcnt(0)
	v_mov_b32_e32 v4, v2
	v_mov_b32_e32 v5, v3
	v_mov_b32_e32 v6, v2
	v_mov_b32_e32 v7, v3
	v_mov_b32_e32 v8, v2
	v_mov_b32_e32 v9, v3
	v_mov_b32_e32 v10, v2
	v_mov_b32_e32 v11, v3
	v_mov_b32_e32 v12, v2
	v_mov_b32_e32 v13, v3
	v_pk_mov_b32 v[18:19], v[14:15], v[14:15] op_sel:[0,1]
	v_pk_mov_b32 v[16:17], v[12:13], v[12:13] op_sel:[0,1]
	;; [unrolled: 1-line block ×8, first 2 shown]
	s_and_saveexec_b64 s[8:9], s[0:1]
	s_cbranch_execz .LBB2174_5
; %bb.4:
	v_mov_b32_e32 v1, s3
	v_add_co_u32_e32 v4, vcc, s2, v36
	v_addc_co_u32_e32 v5, vcc, 0, v1, vcc
	flat_load_dwordx2 v[20:21], v[4:5]
	v_mov_b32_e32 v4, v2
	v_mov_b32_e32 v5, v3
	;; [unrolled: 1-line block ×10, first 2 shown]
	v_pk_mov_b32 v[18:19], v[14:15], v[14:15] op_sel:[0,1]
	v_pk_mov_b32 v[16:17], v[12:13], v[12:13] op_sel:[0,1]
	;; [unrolled: 1-line block ×8, first 2 shown]
	s_waitcnt vmcnt(0) lgkmcnt(0)
	v_pk_mov_b32 v[2:3], v[20:21], v[20:21] op_sel:[0,1]
.LBB2174_5:
	s_or_b64 exec, exec, s[8:9]
	v_or_b32_e32 v1, 0x80, v0
	v_cmp_gt_u32_e32 vcc, s30, v1
	s_and_saveexec_b64 s[0:1], vcc
	s_cbranch_execz .LBB2174_7
; %bb.6:
	v_mov_b32_e32 v1, s3
	v_add_co_u32_e32 v4, vcc, s2, v36
	v_addc_co_u32_e32 v5, vcc, 0, v1, vcc
	flat_load_dwordx2 v[6:7], v[4:5] offset:1024
.LBB2174_7:
	s_or_b64 exec, exec, s[0:1]
	v_or_b32_e32 v1, 0x100, v0
	v_cmp_gt_u32_e32 vcc, s30, v1
	s_and_saveexec_b64 s[0:1], vcc
	s_cbranch_execz .LBB2174_9
; %bb.8:
	v_mov_b32_e32 v1, s3
	v_add_co_u32_e32 v4, vcc, s2, v36
	v_addc_co_u32_e32 v5, vcc, 0, v1, vcc
	flat_load_dwordx2 v[8:9], v[4:5] offset:2048
.LBB2174_9:
	;; [unrolled: 11-line block ×3, first 2 shown]
	s_or_b64 exec, exec, s[0:1]
	v_or_b32_e32 v1, 0x200, v0
	v_cmp_gt_u32_e32 vcc, s30, v1
	s_and_saveexec_b64 s[0:1], vcc
	s_cbranch_execz .LBB2174_13
; %bb.12:
	v_lshlrev_b32_e32 v1, 3, v1
	v_mov_b32_e32 v5, s3
	v_add_co_u32_e32 v4, vcc, s2, v1
	v_addc_co_u32_e32 v5, vcc, 0, v5, vcc
	flat_load_dwordx2 v[12:13], v[4:5]
.LBB2174_13:
	s_or_b64 exec, exec, s[0:1]
	v_or_b32_e32 v1, 0x280, v0
	v_cmp_gt_u32_e32 vcc, s30, v1
	s_and_saveexec_b64 s[0:1], vcc
	s_cbranch_execz .LBB2174_15
; %bb.14:
	v_lshlrev_b32_e32 v1, 3, v1
	v_mov_b32_e32 v5, s3
	v_add_co_u32_e32 v4, vcc, s2, v1
	v_addc_co_u32_e32 v5, vcc, 0, v5, vcc
	flat_load_dwordx2 v[14:15], v[4:5]
.LBB2174_15:
	s_or_b64 exec, exec, s[0:1]
	v_or_b32_e32 v1, 0x300, v0
	v_cmp_gt_u32_e32 vcc, s30, v1
	s_and_saveexec_b64 s[0:1], vcc
	s_cbranch_execz .LBB2174_17
; %bb.16:
	v_lshlrev_b32_e32 v1, 3, v1
	v_mov_b32_e32 v5, s3
	v_add_co_u32_e32 v4, vcc, s2, v1
	v_addc_co_u32_e32 v5, vcc, 0, v5, vcc
	flat_load_dwordx2 v[16:17], v[4:5]
.LBB2174_17:
	s_or_b64 exec, exec, s[0:1]
	s_waitcnt vmcnt(0) lgkmcnt(0)
	ds_write2st64_b64 v36, v[2:3], v[6:7] offset1:2
	ds_write2st64_b64 v36, v[8:9], v[10:11] offset0:4 offset1:6
	ds_write2st64_b64 v36, v[12:13], v[14:15] offset0:8 offset1:10
	ds_write_b64 v36, v[16:17] offset:6144
	s_waitcnt lgkmcnt(0)
	s_barrier
.LBB2174_18:
	v_mul_u32_u24_e32 v37, 7, v0
	v_lshlrev_b32_e32 v38, 3, v37
	s_waitcnt lgkmcnt(0)
	ds_read2_b64 v[10:13], v38 offset1:1
	ds_read2_b64 v[6:9], v38 offset0:2 offset1:3
	ds_read2_b64 v[2:5], v38 offset0:4 offset1:5
	ds_read_b64 v[26:27], v38 offset:48
	s_cmp_lg_u32 s6, 0
	s_waitcnt lgkmcnt(3)
	v_cmp_gt_u64_e64 s[0:1], v[10:11], v[12:13]
	v_lshrrev_b32_e32 v1, 5, v0
	v_cmp_gt_u32_e32 vcc, 64, v0
	s_waitcnt lgkmcnt(0)
	s_barrier
	s_cbranch_scc0 .LBB2174_45
; %bb.19:
	v_cndmask_b32_e64 v15, v13, v11, s[0:1]
	v_cndmask_b32_e64 v14, v12, v10, s[0:1]
	v_cmp_gt_u64_e64 s[0:1], v[14:15], v[6:7]
	v_cndmask_b32_e64 v15, v7, v15, s[0:1]
	v_cndmask_b32_e64 v14, v6, v14, s[0:1]
	v_cmp_gt_u64_e64 s[0:1], v[14:15], v[8:9]
	;; [unrolled: 3-line block ×5, first 2 shown]
	v_cndmask_b32_e64 v23, v27, v15, s[0:1]
	v_cndmask_b32_e64 v22, v26, v14, s[0:1]
	v_add_lshl_u32 v14, v1, v0, 3
	ds_write_b64 v14, v[22:23]
	s_waitcnt lgkmcnt(0)
	s_barrier
	s_and_saveexec_b64 s[8:9], vcc
	s_cbranch_execz .LBB2174_23
; %bb.20:
	v_lshlrev_b32_e32 v14, 1, v0
	v_lshrrev_b32_e32 v15, 4, v0
	v_add_lshl_u32 v24, v15, v14, 3
	ds_read2_b64 v[14:17], v24 offset1:1
	v_mbcnt_lo_u32_b32 v18, -1, 0
	v_mbcnt_hi_u32_b32 v25, -1, v18
	v_and_b32_e32 v28, 15, v25
	v_and_b32_e32 v30, 16, v25
	s_waitcnt lgkmcnt(0)
	v_cmp_gt_u64_e64 s[0:1], v[14:15], v[16:17]
	v_cndmask_b32_e64 v17, v17, v15, s[0:1]
	v_cndmask_b32_e64 v16, v16, v14, s[0:1]
	v_cmp_ne_u32_e64 s[2:3], 0, v25
	v_mov_b32_dpp v19, v17 row_shr:1 row_mask:0xf bank_mask:0xf
	v_mov_b32_dpp v18, v16 row_shr:1 row_mask:0xf bank_mask:0xf
	v_cmp_gt_u64_e64 s[0:1], v[18:19], v[16:17]
	v_cndmask_b32_e64 v18, v16, v18, s[0:1]
	v_cndmask_b32_e64 v19, v17, v19, s[0:1]
	v_cmp_eq_u32_e64 s[0:1], 0, v28
	v_cndmask_b32_e64 v19, v19, v17, s[0:1]
	v_cndmask_b32_e64 v18, v18, v16, s[0:1]
	s_nop 0
	v_mov_b32_dpp v21, v19 row_shr:2 row_mask:0xf bank_mask:0xf
	v_mov_b32_dpp v20, v18 row_shr:2 row_mask:0xf bank_mask:0xf
	v_cmp_gt_u64_e64 s[0:1], v[20:21], v[18:19]
	v_cndmask_b32_e64 v20, v18, v20, s[0:1]
	v_cndmask_b32_e64 v21, v19, v21, s[0:1]
	v_cmp_lt_u32_e64 s[0:1], 1, v28
	v_cndmask_b32_e64 v19, v19, v21, s[0:1]
	v_cndmask_b32_e64 v18, v18, v20, s[0:1]
	s_nop 0
	v_mov_b32_dpp v21, v19 row_shr:4 row_mask:0xf bank_mask:0xf
	v_mov_b32_dpp v20, v18 row_shr:4 row_mask:0xf bank_mask:0xf
	v_cmp_gt_u64_e64 s[0:1], v[20:21], v[18:19]
	v_cndmask_b32_e64 v20, v18, v20, s[0:1]
	v_cndmask_b32_e64 v21, v19, v21, s[0:1]
	v_cmp_lt_u32_e64 s[0:1], 3, v28
	;; [unrolled: 9-line block ×3, first 2 shown]
	v_cndmask_b32_e64 v19, v19, v21, s[0:1]
	v_cndmask_b32_e64 v18, v18, v20, s[0:1]
	s_nop 0
	v_mov_b32_dpp v21, v19 row_bcast:15 row_mask:0xf bank_mask:0xf
	v_mov_b32_dpp v20, v18 row_bcast:15 row_mask:0xf bank_mask:0xf
	v_cmp_gt_u64_e64 s[0:1], v[20:21], v[18:19]
	v_cndmask_b32_e64 v28, v19, v21, s[0:1]
	v_cndmask_b32_e64 v29, v18, v20, s[0:1]
	v_cmp_eq_u32_e64 s[0:1], 0, v30
	v_cndmask_b32_e64 v21, v28, v19, s[0:1]
	v_cndmask_b32_e64 v20, v29, v18, s[0:1]
	s_nop 0
	v_mov_b32_dpp v21, v21 row_bcast:31 row_mask:0xf bank_mask:0xf
	v_mov_b32_dpp v20, v20 row_bcast:31 row_mask:0xf bank_mask:0xf
	s_and_saveexec_b64 s[10:11], s[2:3]
; %bb.21:
	v_cndmask_b32_e64 v17, v28, v19, s[0:1]
	v_cndmask_b32_e64 v16, v29, v18, s[0:1]
	v_cmp_lt_u32_e64 s[2:3], 31, v25
	v_cmp_gt_u64_e64 s[0:1], v[20:21], v[16:17]
	s_and_b64 s[0:1], s[2:3], s[0:1]
	v_cndmask_b32_e64 v16, v16, v20, s[0:1]
	v_cndmask_b32_e64 v17, v17, v21, s[0:1]
; %bb.22:
	s_or_b64 exec, exec, s[10:11]
	v_add_u32_e32 v18, -1, v25
	v_and_b32_e32 v19, 64, v25
	v_cmp_lt_i32_e64 s[0:1], v18, v19
	v_cndmask_b32_e64 v18, v18, v25, s[0:1]
	v_lshlrev_b32_e32 v18, 2, v18
	ds_bpermute_b32 v16, v18, v16
	ds_bpermute_b32 v17, v18, v17
	; wave barrier
	s_waitcnt lgkmcnt(0)
	v_cmp_gt_u64_e64 s[0:1], v[16:17], v[14:15]
	v_cndmask_b32_e64 v14, v14, v16, s[0:1]
	v_cndmask_b32_e64 v15, v15, v17, s[0:1]
	v_cmp_eq_u32_e64 s[0:1], 0, v0
	v_cndmask_b32_e64 v15, v15, v23, s[0:1]
	v_cndmask_b32_e64 v14, v14, v22, s[0:1]
	ds_write_b64 v24, v[14:15]
	; wave barrier
	ds_read_b64 v[16:17], v24 offset:8
	s_waitcnt lgkmcnt(0)
	v_cmp_gt_u64_e64 s[0:1], v[14:15], v[16:17]
	v_cndmask_b32_e64 v15, v17, v15, s[0:1]
	v_cndmask_b32_e64 v14, v16, v14, s[0:1]
	ds_write_b64 v24, v[14:15] offset:8
.LBB2174_23:
	s_or_b64 exec, exec, s[8:9]
	v_cmp_eq_u32_e64 s[0:1], 0, v0
	v_cmp_ne_u32_e64 s[2:3], 0, v0
	s_waitcnt lgkmcnt(0)
	s_barrier
	s_and_saveexec_b64 s[8:9], s[2:3]
	s_cbranch_execz .LBB2174_25
; %bb.24:
	v_add_u32_e32 v14, -1, v0
	v_lshrrev_b32_e32 v15, 5, v14
	v_add_lshl_u32 v14, v15, v14, 3
	ds_read_b64 v[22:23], v14
.LBB2174_25:
	s_or_b64 exec, exec, s[8:9]
	s_and_saveexec_b64 s[28:29], vcc
	s_cbranch_execz .LBB2174_44
; %bb.26:
	v_mov_b32_e32 v17, 0
	ds_read_b64 v[14:15], v17 offset:1040
	v_mbcnt_lo_u32_b32 v16, -1, 0
	v_mbcnt_hi_u32_b32 v25, -1, v16
	s_mov_b32 s11, 0
	v_cmp_eq_u32_e64 s[2:3], 0, v25
	s_and_saveexec_b64 s[8:9], s[2:3]
	s_cbranch_execz .LBB2174_28
; %bb.27:
	s_add_i32 s10, s6, 64
	s_lshl_b64 s[10:11], s[10:11], 4
	s_add_u32 s10, s24, s10
	s_addc_u32 s11, s25, s11
	v_mov_b32_e32 v16, 1
	v_pk_mov_b32 v[18:19], s[10:11], s[10:11] op_sel:[0,1]
	s_waitcnt lgkmcnt(0)
	;;#ASMSTART
	global_store_dwordx4 v[18:19], v[14:17] off	
s_waitcnt vmcnt(0)
	;;#ASMEND
.LBB2174_28:
	s_or_b64 exec, exec, s[8:9]
	v_xad_u32 v24, v25, -1, s6
	v_add_u32_e32 v16, 64, v24
	v_lshlrev_b64 v[18:19], 4, v[16:17]
	v_mov_b32_e32 v16, s25
	v_add_co_u32_e32 v28, vcc, s24, v18
	v_addc_co_u32_e32 v29, vcc, v16, v19, vcc
	;;#ASMSTART
	global_load_dwordx4 v[18:21], v[28:29] off glc	
s_waitcnt vmcnt(0)
	;;#ASMEND
	v_and_b32_e32 v16, 0xff, v19
	v_and_b32_e32 v21, 0xff00, v19
	v_or3_b32 v16, 0, v16, v21
	v_or3_b32 v18, v18, 0, 0
	v_and_b32_e32 v21, 0xff000000, v19
	v_and_b32_e32 v19, 0xff0000, v19
	v_or3_b32 v19, v16, v19, v21
	v_or3_b32 v18, v18, 0, 0
	v_cmp_eq_u16_sdwa s[10:11], v20, v17 src0_sel:BYTE_0 src1_sel:DWORD
	s_and_saveexec_b64 s[8:9], s[10:11]
	s_cbranch_execz .LBB2174_32
; %bb.29:
	s_mov_b64 s[10:11], 0
	v_mov_b32_e32 v16, 0
.LBB2174_30:                            ; =>This Inner Loop Header: Depth=1
	;;#ASMSTART
	global_load_dwordx4 v[18:21], v[28:29] off glc	
s_waitcnt vmcnt(0)
	;;#ASMEND
	v_cmp_ne_u16_sdwa s[12:13], v20, v16 src0_sel:BYTE_0 src1_sel:DWORD
	s_or_b64 s[10:11], s[12:13], s[10:11]
	s_andn2_b64 exec, exec, s[10:11]
	s_cbranch_execnz .LBB2174_30
; %bb.31:
	s_or_b64 exec, exec, s[10:11]
.LBB2174_32:
	s_or_b64 exec, exec, s[8:9]
	v_and_b32_e32 v33, 63, v25
	v_cmp_ne_u32_e32 vcc, 63, v33
	v_mov_b32_e32 v32, 2
	v_addc_co_u32_e32 v28, vcc, 0, v25, vcc
	v_cmp_eq_u16_sdwa s[8:9], v20, v32 src0_sel:BYTE_0 src1_sel:DWORD
	v_lshlrev_b64 v[16:17], v25, -1
	v_lshlrev_b32_e32 v34, 2, v28
	v_and_b32_e32 v21, s9, v17
	ds_bpermute_b32 v28, v34, v18
	ds_bpermute_b32 v29, v34, v19
	v_or_b32_e32 v21, 0x80000000, v21
	v_and_b32_e32 v30, s8, v16
	v_ffbl_b32_e32 v21, v21
	v_add_u32_e32 v21, 32, v21
	v_ffbl_b32_e32 v30, v30
	v_min_u32_e32 v21, v30, v21
	s_waitcnt lgkmcnt(0)
	v_cmp_gt_u64_e64 s[8:9], v[28:29], v[18:19]
	v_cmp_lt_u32_e32 vcc, v33, v21
	v_cndmask_b32_e64 v28, v18, v28, s[8:9]
	s_and_b64 s[8:9], vcc, s[8:9]
	v_cndmask_b32_e64 v29, v19, v29, s[8:9]
	v_cmp_gt_u32_e64 s[8:9], 62, v33
	v_cndmask_b32_e64 v30, 0, 1, s[8:9]
	v_lshlrev_b32_e32 v30, 1, v30
	v_cndmask_b32_e32 v28, v18, v28, vcc
	v_add_lshl_u32 v35, v30, v25, 2
	ds_bpermute_b32 v30, v35, v28
	ds_bpermute_b32 v31, v35, v29
	v_add_u32_e32 v39, 2, v33
	v_cmp_gt_u32_e64 s[10:11], 56, v33
	v_add_u32_e32 v41, 4, v33
	v_cndmask_b32_e64 v42, 0, 1, s[10:11]
	s_waitcnt lgkmcnt(0)
	v_cmp_gt_u64_e64 s[8:9], v[30:31], v[28:29]
	v_cndmask_b32_e64 v31, v29, v31, s[8:9]
	v_cndmask_b32_e64 v30, v28, v30, s[8:9]
	v_cmp_gt_u32_e64 s[8:9], v39, v21
	v_cndmask_b32_e64 v28, v30, v28, s[8:9]
	v_cndmask_b32_e64 v29, v31, v29, s[8:9]
	v_cmp_gt_u32_e64 s[8:9], 60, v33
	v_cndmask_b32_e64 v30, 0, 1, s[8:9]
	v_lshlrev_b32_e32 v30, 2, v30
	v_add_lshl_u32 v40, v30, v25, 2
	ds_bpermute_b32 v30, v40, v28
	ds_bpermute_b32 v31, v40, v29
	v_lshlrev_b32_e32 v42, 3, v42
	v_add_lshl_u32 v42, v42, v25, 2
	v_cmp_gt_u32_e64 s[12:13], 48, v33
	v_add_u32_e32 v43, 8, v33
	s_waitcnt lgkmcnt(0)
	v_cmp_gt_u64_e64 s[8:9], v[30:31], v[28:29]
	v_cndmask_b32_e64 v50, v29, v31, s[8:9]
	v_cndmask_b32_e64 v51, v28, v30, s[8:9]
	v_cmp_gt_u32_e64 s[8:9], v41, v21
	v_cndmask_b32_e64 v30, v51, v28, s[8:9]
	v_cndmask_b32_e64 v31, v50, v29, s[8:9]
	ds_bpermute_b32 v44, v42, v30
	ds_bpermute_b32 v45, v42, v31
	v_cmp_gt_u32_e64 s[14:15], 32, v33
	v_cndmask_b32_e32 v19, v19, v29, vcc
	v_cndmask_b32_e32 v18, v18, v28, vcc
	v_cndmask_b32_e64 v18, v51, v18, s[8:9]
	s_waitcnt lgkmcnt(0)
	v_cmp_gt_u64_e64 s[10:11], v[44:45], v[30:31]
	v_cndmask_b32_e64 v53, v30, v44, s[10:11]
	v_cndmask_b32_e64 v44, 0, 1, s[12:13]
	;; [unrolled: 1-line block ×3, first 2 shown]
	v_cmp_gt_u32_e64 s[10:11], v43, v21
	v_lshlrev_b32_e32 v44, 4, v44
	v_cndmask_b32_e64 v30, v53, v30, s[10:11]
	v_cndmask_b32_e64 v31, v52, v31, s[10:11]
	v_add_lshl_u32 v44, v44, v25, 2
	ds_bpermute_b32 v46, v44, v30
	ds_bpermute_b32 v47, v44, v31
	v_add_u32_e32 v45, 16, v33
	v_cndmask_b32_e64 v19, v50, v19, s[8:9]
	v_cndmask_b32_e64 v19, v52, v19, s[10:11]
	;; [unrolled: 1-line block ×3, first 2 shown]
	s_waitcnt lgkmcnt(0)
	v_cmp_gt_u64_e64 s[12:13], v[46:47], v[30:31]
	v_cndmask_b32_e64 v55, v30, v46, s[12:13]
	v_cndmask_b32_e64 v46, 0, 1, s[14:15]
	;; [unrolled: 1-line block ×3, first 2 shown]
	v_cmp_gt_u32_e64 s[12:13], v45, v21
	v_lshlrev_b32_e32 v46, 5, v46
	v_cndmask_b32_e64 v30, v55, v30, s[12:13]
	v_add_lshl_u32 v46, v46, v25, 2
	v_cndmask_b32_e64 v31, v54, v31, s[12:13]
	ds_bpermute_b32 v48, v46, v30
	ds_bpermute_b32 v49, v46, v31
	v_add_u32_e32 v47, 32, v33
	v_cndmask_b32_e64 v18, v55, v18, s[12:13]
	v_cndmask_b32_e64 v19, v54, v19, s[12:13]
	v_cmp_gt_u32_e32 vcc, v47, v21
	s_waitcnt lgkmcnt(0)
	v_cmp_gt_u64_e64 s[14:15], v[48:49], v[30:31]
	v_cndmask_b32_e64 v25, v30, v48, s[14:15]
	v_cndmask_b32_e64 v30, v31, v49, s[14:15]
	v_cndmask_b32_e32 v19, v30, v19, vcc
	v_cndmask_b32_e32 v18, v25, v18, vcc
	v_mov_b32_e32 v25, 0
	s_branch .LBB2174_34
.LBB2174_33:                            ;   in Loop: Header=BB2174_34 Depth=1
	s_or_b64 exec, exec, s[8:9]
	v_cmp_eq_u16_sdwa s[8:9], v20, v32 src0_sel:BYTE_0 src1_sel:DWORD
	v_and_b32_e32 v21, s9, v17
	ds_bpermute_b32 v30, v34, v18
	ds_bpermute_b32 v31, v34, v19
	v_or_b32_e32 v21, 0x80000000, v21
	v_and_b32_e32 v48, s8, v16
	v_ffbl_b32_e32 v21, v21
	v_add_u32_e32 v21, 32, v21
	v_ffbl_b32_e32 v48, v48
	v_min_u32_e32 v21, v48, v21
	s_waitcnt lgkmcnt(0)
	v_cmp_gt_u64_e32 vcc, v[30:31], v[18:19]
	v_cmp_lt_u32_e64 s[8:9], v33, v21
	v_cndmask_b32_e32 v30, v18, v30, vcc
	s_and_b64 vcc, s[8:9], vcc
	v_cndmask_b32_e64 v30, v18, v30, s[8:9]
	v_cndmask_b32_e32 v31, v19, v31, vcc
	ds_bpermute_b32 v48, v35, v30
	ds_bpermute_b32 v49, v35, v31
	v_subrev_u32_e32 v24, 64, v24
	s_waitcnt lgkmcnt(0)
	v_cmp_gt_u64_e32 vcc, v[48:49], v[30:31]
	v_cndmask_b32_e32 v49, v31, v49, vcc
	v_cndmask_b32_e32 v48, v30, v48, vcc
	v_cmp_gt_u32_e32 vcc, v39, v21
	v_cndmask_b32_e32 v30, v48, v30, vcc
	v_cndmask_b32_e32 v31, v49, v31, vcc
	ds_bpermute_b32 v48, v40, v30
	ds_bpermute_b32 v49, v40, v31
	v_cndmask_b32_e64 v19, v19, v31, s[8:9]
	v_cndmask_b32_e64 v18, v18, v30, s[8:9]
	s_waitcnt lgkmcnt(0)
	v_cmp_gt_u64_e32 vcc, v[48:49], v[30:31]
	v_cndmask_b32_e32 v52, v31, v49, vcc
	v_cndmask_b32_e32 v53, v30, v48, vcc
	v_cmp_gt_u32_e32 vcc, v41, v21
	v_cndmask_b32_e32 v48, v53, v30, vcc
	v_cndmask_b32_e32 v49, v52, v31, vcc
	ds_bpermute_b32 v50, v42, v48
	ds_bpermute_b32 v51, v42, v49
	v_cndmask_b32_e32 v18, v53, v18, vcc
	v_cndmask_b32_e32 v19, v52, v19, vcc
	v_cmp_gt_u32_e32 vcc, v47, v21
	s_waitcnt lgkmcnt(0)
	v_cmp_gt_u64_e64 s[10:11], v[50:51], v[48:49]
	v_cndmask_b32_e64 v54, v49, v51, s[10:11]
	v_cndmask_b32_e64 v55, v48, v50, s[10:11]
	v_cmp_gt_u32_e64 s[10:11], v43, v21
	v_cndmask_b32_e64 v48, v55, v48, s[10:11]
	v_cndmask_b32_e64 v49, v54, v49, s[10:11]
	ds_bpermute_b32 v50, v44, v48
	ds_bpermute_b32 v51, v44, v49
	v_cndmask_b32_e64 v19, v54, v19, s[10:11]
	v_cndmask_b32_e64 v18, v55, v18, s[10:11]
	s_waitcnt lgkmcnt(0)
	v_cmp_gt_u64_e64 s[12:13], v[50:51], v[48:49]
	v_cndmask_b32_e64 v56, v49, v51, s[12:13]
	v_cndmask_b32_e64 v57, v48, v50, s[12:13]
	v_cmp_gt_u32_e64 s[12:13], v45, v21
	v_cndmask_b32_e64 v48, v57, v48, s[12:13]
	v_cndmask_b32_e64 v49, v56, v49, s[12:13]
	ds_bpermute_b32 v50, v46, v48
	ds_bpermute_b32 v51, v46, v49
	v_cndmask_b32_e64 v18, v57, v18, s[12:13]
	v_cndmask_b32_e64 v19, v56, v19, s[12:13]
	s_waitcnt lgkmcnt(0)
	v_cmp_gt_u64_e64 s[14:15], v[50:51], v[48:49]
	v_cndmask_b32_e64 v48, v48, v50, s[14:15]
	v_cndmask_b32_e64 v49, v49, v51, s[14:15]
	v_cndmask_b32_e32 v19, v49, v19, vcc
	v_cndmask_b32_e32 v18, v48, v18, vcc
	v_cmp_gt_u64_e32 vcc, v[18:19], v[28:29]
	v_cndmask_b32_e32 v19, v29, v19, vcc
	v_cndmask_b32_e32 v18, v28, v18, vcc
.LBB2174_34:                            ; =>This Loop Header: Depth=1
                                        ;     Child Loop BB2174_37 Depth 2
	v_cmp_ne_u16_sdwa s[8:9], v20, v32 src0_sel:BYTE_0 src1_sel:DWORD
	v_cndmask_b32_e64 v20, 0, 1, s[8:9]
	;;#ASMSTART
	;;#ASMEND
	v_cmp_ne_u32_e32 vcc, 0, v20
	s_cmp_lg_u64 vcc, exec
	v_pk_mov_b32 v[28:29], v[18:19], v[18:19] op_sel:[0,1]
	s_cbranch_scc1 .LBB2174_39
; %bb.35:                               ;   in Loop: Header=BB2174_34 Depth=1
	v_lshlrev_b64 v[18:19], 4, v[24:25]
	v_mov_b32_e32 v20, s25
	v_add_co_u32_e32 v30, vcc, s24, v18
	v_addc_co_u32_e32 v31, vcc, v20, v19, vcc
	;;#ASMSTART
	global_load_dwordx4 v[18:21], v[30:31] off glc	
s_waitcnt vmcnt(0)
	;;#ASMEND
	v_and_b32_e32 v21, 0xff, v19
	v_and_b32_e32 v48, 0xff00, v19
	v_or3_b32 v21, 0, v21, v48
	v_or3_b32 v18, v18, 0, 0
	v_and_b32_e32 v48, 0xff000000, v19
	v_and_b32_e32 v19, 0xff0000, v19
	v_or3_b32 v19, v21, v19, v48
	v_or3_b32 v18, v18, 0, 0
	v_cmp_eq_u16_sdwa s[10:11], v20, v25 src0_sel:BYTE_0 src1_sel:DWORD
	s_and_saveexec_b64 s[8:9], s[10:11]
	s_cbranch_execz .LBB2174_33
; %bb.36:                               ;   in Loop: Header=BB2174_34 Depth=1
	s_mov_b64 s[10:11], 0
.LBB2174_37:                            ;   Parent Loop BB2174_34 Depth=1
                                        ; =>  This Inner Loop Header: Depth=2
	;;#ASMSTART
	global_load_dwordx4 v[18:21], v[30:31] off glc	
s_waitcnt vmcnt(0)
	;;#ASMEND
	v_cmp_ne_u16_sdwa s[12:13], v20, v25 src0_sel:BYTE_0 src1_sel:DWORD
	s_or_b64 s[10:11], s[12:13], s[10:11]
	s_andn2_b64 exec, exec, s[10:11]
	s_cbranch_execnz .LBB2174_37
; %bb.38:                               ;   in Loop: Header=BB2174_34 Depth=1
	s_or_b64 exec, exec, s[10:11]
	s_branch .LBB2174_33
.LBB2174_39:                            ;   in Loop: Header=BB2174_34 Depth=1
                                        ; implicit-def: $vgpr18_vgpr19
                                        ; implicit-def: $vgpr20
	s_cbranch_execz .LBB2174_34
; %bb.40:
	s_and_saveexec_b64 s[8:9], s[2:3]
	s_cbranch_execz .LBB2174_42
; %bb.41:
	s_add_i32 s2, s6, 64
	s_mov_b32 s3, 0
	s_lshl_b64 s[2:3], s[2:3], 4
	s_add_u32 s2, s24, s2
	v_cmp_gt_u64_e32 vcc, v[28:29], v[14:15]
	s_addc_u32 s3, s25, s3
	v_cndmask_b32_e32 v15, v15, v29, vcc
	v_cndmask_b32_e32 v14, v14, v28, vcc
	v_mov_b32_e32 v16, 2
	v_mov_b32_e32 v17, 0
	v_pk_mov_b32 v[18:19], s[2:3], s[2:3] op_sel:[0,1]
	;;#ASMSTART
	global_store_dwordx4 v[18:19], v[14:17] off	
s_waitcnt vmcnt(0)
	;;#ASMEND
.LBB2174_42:
	s_or_b64 exec, exec, s[8:9]
	s_and_b64 exec, exec, s[0:1]
	s_cbranch_execz .LBB2174_44
; %bb.43:
	v_mov_b32_e32 v14, 0
	ds_write_b64 v14, v[28:29]
.LBB2174_44:
	s_or_b64 exec, exec, s[28:29]
	v_mov_b32_e32 v14, 0
	s_waitcnt lgkmcnt(0)
	s_barrier
	ds_read_b64 v[14:15], v14
	s_waitcnt lgkmcnt(0)
	v_cmp_gt_u64_e32 vcc, v[14:15], v[22:23]
	v_cndmask_b32_e32 v16, v22, v14, vcc
	v_cndmask_b32_e32 v17, v23, v15, vcc
	v_cndmask_b32_e64 v15, v17, v15, s[0:1]
	v_cndmask_b32_e64 v14, v16, v14, s[0:1]
	v_cmp_gt_u64_e32 vcc, v[14:15], v[10:11]
	v_cndmask_b32_e32 v29, v11, v15, vcc
	v_cndmask_b32_e32 v28, v10, v14, vcc
	v_cmp_gt_u64_e32 vcc, v[28:29], v[12:13]
	v_cndmask_b32_e32 v19, v13, v29, vcc
	v_cndmask_b32_e32 v18, v12, v28, vcc
	;; [unrolled: 3-line block ×6, first 2 shown]
	s_load_dwordx8 s[0:7], s[4:5], 0x40
	s_branch .LBB2174_57
.LBB2174_45:
                                        ; implicit-def: $vgpr34_vgpr35
                                        ; implicit-def: $vgpr32_vgpr33
                                        ; implicit-def: $vgpr30_vgpr31
                                        ; implicit-def: $vgpr28_vgpr29
                                        ; implicit-def: $vgpr22_vgpr23_vgpr24_vgpr25
                                        ; implicit-def: $vgpr18_vgpr19_vgpr20_vgpr21
                                        ; implicit-def: $vgpr14_vgpr15_vgpr16_vgpr17
	s_load_dwordx8 s[0:7], s[4:5], 0x40
	s_cbranch_execz .LBB2174_57
; %bb.46:
	s_waitcnt lgkmcnt(0)
	s_cmp_eq_u64 s[4:5], 0
	v_pk_mov_b32 v[20:21], s[26:27], s[26:27] op_sel:[0,1]
	s_cbranch_scc1 .LBB2174_48
; %bb.47:
	v_mov_b32_e32 v17, s34
	v_add_co_u32_e64 v16, vcc, -8, s33
	v_mov_b32_e32 v14, 0
	v_addc_co_u32_e32 v17, vcc, -1, v17, vcc
	global_load_dwordx2 v[14:15], v14, s[0:1]
	s_nop 0
	flat_load_dwordx2 v[16:17], v[16:17]
	s_waitcnt vmcnt(0) lgkmcnt(0)
	v_cmp_gt_u64_e32 vcc, v[14:15], v[16:17]
	v_cndmask_b32_e32 v21, v17, v15, vcc
	v_cndmask_b32_e32 v20, v16, v14, vcc
.LBB2174_48:
	v_cmp_gt_u64_e32 vcc, v[10:11], v[12:13]
	v_cndmask_b32_e32 v15, v13, v11, vcc
	v_cndmask_b32_e32 v14, v12, v10, vcc
	v_cmp_gt_u64_e32 vcc, v[14:15], v[6:7]
	v_cndmask_b32_e32 v15, v7, v15, vcc
	v_cndmask_b32_e32 v14, v6, v14, vcc
	;; [unrolled: 3-line block ×6, first 2 shown]
	v_add_lshl_u32 v1, v1, v0, 3
	v_cmp_gt_u32_e32 vcc, 64, v0
	ds_write_b64 v1, v[18:19]
	s_waitcnt lgkmcnt(0)
	s_barrier
	s_and_saveexec_b64 s[4:5], vcc
	s_cbranch_execz .LBB2174_52
; %bb.49:
	v_lshlrev_b32_e32 v1, 1, v0
	v_lshrrev_b32_e32 v14, 4, v0
	v_add_lshl_u32 v1, v14, v1, 3
	ds_read2_b64 v[14:17], v1 offset1:1
	v_mbcnt_lo_u32_b32 v22, -1, 0
	v_mbcnt_hi_u32_b32 v26, -1, v22
	v_and_b32_e32 v27, 15, v26
	v_and_b32_e32 v29, 16, v26
	s_waitcnt lgkmcnt(0)
	v_cmp_gt_u64_e32 vcc, v[14:15], v[16:17]
	v_cndmask_b32_e32 v17, v17, v15, vcc
	v_cndmask_b32_e32 v16, v16, v14, vcc
	v_cmp_ne_u32_e64 s[0:1], 0, v26
	v_mov_b32_dpp v23, v17 row_shr:1 row_mask:0xf bank_mask:0xf
	v_mov_b32_dpp v22, v16 row_shr:1 row_mask:0xf bank_mask:0xf
	v_cmp_gt_u64_e32 vcc, v[22:23], v[16:17]
	v_cndmask_b32_e32 v22, v16, v22, vcc
	v_cndmask_b32_e32 v23, v17, v23, vcc
	v_cmp_eq_u32_e32 vcc, 0, v27
	v_cndmask_b32_e32 v23, v23, v17, vcc
	v_cndmask_b32_e32 v22, v22, v16, vcc
	s_nop 0
	v_mov_b32_dpp v25, v23 row_shr:2 row_mask:0xf bank_mask:0xf
	v_mov_b32_dpp v24, v22 row_shr:2 row_mask:0xf bank_mask:0xf
	v_cmp_gt_u64_e32 vcc, v[24:25], v[22:23]
	v_cndmask_b32_e32 v24, v22, v24, vcc
	v_cndmask_b32_e32 v25, v23, v25, vcc
	v_cmp_lt_u32_e32 vcc, 1, v27
	v_cndmask_b32_e32 v23, v23, v25, vcc
	v_cndmask_b32_e32 v22, v22, v24, vcc
	s_nop 0
	v_mov_b32_dpp v25, v23 row_shr:4 row_mask:0xf bank_mask:0xf
	v_mov_b32_dpp v24, v22 row_shr:4 row_mask:0xf bank_mask:0xf
	v_cmp_gt_u64_e32 vcc, v[24:25], v[22:23]
	v_cndmask_b32_e32 v24, v22, v24, vcc
	v_cndmask_b32_e32 v25, v23, v25, vcc
	v_cmp_lt_u32_e32 vcc, 3, v27
	;; [unrolled: 9-line block ×3, first 2 shown]
	v_cndmask_b32_e32 v23, v23, v25, vcc
	v_cndmask_b32_e32 v22, v22, v24, vcc
	s_nop 0
	v_mov_b32_dpp v25, v23 row_bcast:15 row_mask:0xf bank_mask:0xf
	v_mov_b32_dpp v24, v22 row_bcast:15 row_mask:0xf bank_mask:0xf
	v_cmp_gt_u64_e32 vcc, v[24:25], v[22:23]
	v_cndmask_b32_e32 v27, v23, v25, vcc
	v_cndmask_b32_e32 v28, v22, v24, vcc
	v_cmp_eq_u32_e32 vcc, 0, v29
	v_cndmask_b32_e32 v25, v27, v23, vcc
	v_cndmask_b32_e32 v24, v28, v22, vcc
	s_nop 0
	v_mov_b32_dpp v25, v25 row_bcast:31 row_mask:0xf bank_mask:0xf
	v_mov_b32_dpp v24, v24 row_bcast:31 row_mask:0xf bank_mask:0xf
	s_and_saveexec_b64 s[8:9], s[0:1]
; %bb.50:
	v_cndmask_b32_e32 v17, v27, v23, vcc
	v_cndmask_b32_e32 v16, v28, v22, vcc
	v_cmp_lt_u32_e64 s[0:1], 31, v26
	v_cmp_gt_u64_e32 vcc, v[24:25], v[16:17]
	s_and_b64 vcc, s[0:1], vcc
	v_cndmask_b32_e32 v16, v16, v24, vcc
	v_cndmask_b32_e32 v17, v17, v25, vcc
; %bb.51:
	s_or_b64 exec, exec, s[8:9]
	v_add_u32_e32 v22, -1, v26
	v_and_b32_e32 v23, 64, v26
	v_cmp_lt_i32_e32 vcc, v22, v23
	v_cndmask_b32_e32 v22, v22, v26, vcc
	v_lshlrev_b32_e32 v22, 2, v22
	ds_bpermute_b32 v16, v22, v16
	ds_bpermute_b32 v17, v22, v17
	; wave barrier
	s_waitcnt lgkmcnt(0)
	v_cmp_gt_u64_e32 vcc, v[16:17], v[14:15]
	v_cndmask_b32_e32 v14, v14, v16, vcc
	v_cndmask_b32_e32 v15, v15, v17, vcc
	v_cmp_eq_u32_e32 vcc, 0, v0
	v_cndmask_b32_e32 v15, v15, v19, vcc
	v_cndmask_b32_e32 v14, v14, v18, vcc
	ds_write_b64 v1, v[14:15]
	; wave barrier
	ds_read_b64 v[16:17], v1 offset:8
	s_waitcnt lgkmcnt(0)
	v_cmp_gt_u64_e32 vcc, v[14:15], v[16:17]
	v_cndmask_b32_e32 v15, v17, v15, vcc
	v_cndmask_b32_e32 v14, v16, v14, vcc
	ds_write_b64 v1, v[14:15] offset:8
.LBB2174_52:
	s_or_b64 exec, exec, s[4:5]
	v_cmp_eq_u32_e32 vcc, 0, v0
	v_cmp_ne_u32_e64 s[0:1], 0, v0
	v_pk_mov_b32 v[14:15], v[20:21], v[20:21] op_sel:[0,1]
	s_waitcnt lgkmcnt(0)
	s_barrier
	s_and_saveexec_b64 s[4:5], s[0:1]
	s_cbranch_execz .LBB2174_54
; %bb.53:
	v_add_u32_e32 v1, -1, v0
	v_lshrrev_b32_e32 v14, 5, v1
	v_add_lshl_u32 v1, v14, v1, 3
	ds_read_b64 v[14:15], v1
	s_waitcnt lgkmcnt(0)
	v_cmp_gt_u64_e64 s[0:1], v[20:21], v[14:15]
	v_cndmask_b32_e64 v15, v15, v21, s[0:1]
	v_cndmask_b32_e64 v14, v14, v20, s[0:1]
.LBB2174_54:
	s_or_b64 exec, exec, s[4:5]
	v_cmp_gt_u64_e64 s[0:1], v[14:15], v[10:11]
	v_cndmask_b32_e64 v29, v11, v15, s[0:1]
	v_cndmask_b32_e64 v28, v10, v14, s[0:1]
	v_cmp_gt_u64_e64 s[0:1], v[28:29], v[12:13]
	v_cndmask_b32_e64 v19, v13, v29, s[0:1]
	v_cndmask_b32_e64 v18, v12, v28, s[0:1]
	;; [unrolled: 3-line block ×6, first 2 shown]
	s_and_saveexec_b64 s[0:1], vcc
	s_cbranch_execz .LBB2174_56
; %bb.55:
	v_mov_b32_e32 v5, 0
	ds_read_b64 v[2:3], v5 offset:1040
	s_add_u32 s4, s24, 0x400
	s_addc_u32 s5, s25, 0
	v_mov_b32_e32 v4, 2
	v_pk_mov_b32 v[6:7], s[4:5], s[4:5] op_sel:[0,1]
	s_waitcnt lgkmcnt(0)
	v_cmp_gt_u64_e32 vcc, v[20:21], v[2:3]
	v_cndmask_b32_e32 v3, v3, v21, vcc
	v_cndmask_b32_e32 v2, v2, v20, vcc
	;;#ASMSTART
	global_store_dwordx4 v[6:7], v[2:5] off	
s_waitcnt vmcnt(0)
	;;#ASMEND
.LBB2174_56:
	s_or_b64 exec, exec, s[0:1]
.LBB2174_57:
	s_waitcnt lgkmcnt(0)
	s_add_u32 s0, s16, s20
	s_addc_u32 s1, s17, s21
	s_add_u32 s4, s0, s22
	s_addc_u32 s5, s1, s23
	s_mov_b64 s[0:1], -1
	s_and_b64 vcc, exec, s[18:19]
	s_barrier
	s_cbranch_vccz .LBB2174_59
; %bb.58:
	v_mul_u32_u24_e32 v1, 56, v0
	ds_write2_b64 v1, v[14:15], v[28:29] offset1:1
	ds_write2_b64 v1, v[18:19], v[30:31] offset0:2 offset1:3
	ds_write2_b64 v1, v[22:23], v[32:33] offset0:4 offset1:5
	ds_write_b64 v1, v[34:35] offset:48
	v_mul_i32_i24_e32 v1, 0xffffffd0, v0
	v_mad_u32_u24 v1, v0, 56, v1
	s_waitcnt lgkmcnt(0)
	s_barrier
	ds_read2st64_b64 v[2:5], v1 offset1:2
	ds_read2st64_b64 v[6:9], v1 offset0:4 offset1:6
	ds_read2st64_b64 v[10:13], v1 offset0:8 offset1:10
	ds_read_b64 v[16:17], v1 offset:6144
	v_mov_b32_e32 v1, s5
	v_add_co_u32_e32 v20, vcc, s4, v36
	v_addc_co_u32_e32 v21, vcc, 0, v1, vcc
	s_waitcnt lgkmcnt(3)
	flat_store_dwordx2 v[20:21], v[2:3]
	flat_store_dwordx2 v[20:21], v[4:5] offset:1024
	s_waitcnt lgkmcnt(0)
	flat_store_dwordx2 v[20:21], v[6:7] offset:2048
	flat_store_dwordx2 v[20:21], v[8:9] offset:3072
	v_add_co_u32_e32 v2, vcc, 0x1000, v20
	v_addc_co_u32_e32 v3, vcc, 0, v21, vcc
	flat_store_dwordx2 v[2:3], v[10:11]
	flat_store_dwordx2 v[2:3], v[12:13] offset:1024
	flat_store_dwordx2 v[2:3], v[16:17] offset:2048
	s_mov_b64 s[0:1], 0
.LBB2174_59:
	s_andn2_b64 vcc, exec, s[0:1]
	s_cbranch_vccnz .LBB2174_98
; %bb.60:
	s_movk_i32 s0, 0xffd0
	ds_write2_b64 v38, v[14:15], v[28:29] offset1:1
	ds_write2_b64 v38, v[18:19], v[30:31] offset0:2 offset1:3
	ds_write2_b64 v38, v[22:23], v[32:33] offset0:4 offset1:5
	ds_write_b64 v38, v[34:35] offset:48
	v_mad_i32_i24 v14, v0, s0, v38
	s_waitcnt lgkmcnt(0)
	s_barrier
	ds_read2st64_b64 v[2:5], v14 offset1:2
	ds_read2st64_b64 v[6:9], v14 offset0:4 offset1:6
	ds_read2st64_b64 v[10:13], v14 offset0:8 offset1:10
	ds_read_b64 v[14:15], v14 offset:6144
	v_mov_b32_e32 v17, s5
	v_add_co_u32_e32 v16, vcc, s4, v36
	v_addc_co_u32_e32 v17, vcc, 0, v17, vcc
	v_mov_b32_e32 v1, 0
	v_cmp_gt_u32_e32 vcc, s30, v0
	s_and_saveexec_b64 s[0:1], vcc
	s_cbranch_execz .LBB2174_62
; %bb.61:
	s_waitcnt lgkmcnt(0)
	flat_store_dwordx2 v[16:17], v[2:3]
.LBB2174_62:
	s_or_b64 exec, exec, s[0:1]
	v_or_b32_e32 v18, 0x80, v0
	v_cmp_gt_u32_e32 vcc, s30, v18
	s_and_saveexec_b64 s[0:1], vcc
	s_cbranch_execz .LBB2174_64
; %bb.63:
	s_waitcnt lgkmcnt(0)
	flat_store_dwordx2 v[16:17], v[4:5] offset:1024
.LBB2174_64:
	s_or_b64 exec, exec, s[0:1]
	v_or_b32_e32 v18, 0x100, v0
	v_cmp_gt_u32_e32 vcc, s30, v18
	s_and_saveexec_b64 s[0:1], vcc
	s_cbranch_execz .LBB2174_66
; %bb.65:
	s_waitcnt lgkmcnt(0)
	flat_store_dwordx2 v[16:17], v[6:7] offset:2048
.LBB2174_66:
	;; [unrolled: 9-line block ×3, first 2 shown]
	s_or_b64 exec, exec, s[0:1]
	v_or_b32_e32 v18, 0x200, v0
	v_cmp_gt_u32_e32 vcc, s30, v18
	s_and_saveexec_b64 s[0:1], vcc
	s_cbranch_execz .LBB2174_70
; %bb.69:
	v_add_co_u32_e32 v18, vcc, 0x1000, v16
	v_addc_co_u32_e32 v19, vcc, 0, v17, vcc
	s_waitcnt lgkmcnt(0)
	flat_store_dwordx2 v[18:19], v[10:11]
.LBB2174_70:
	s_or_b64 exec, exec, s[0:1]
	v_or_b32_e32 v18, 0x280, v0
	v_cmp_gt_u32_e32 vcc, s30, v18
	s_and_saveexec_b64 s[0:1], vcc
	s_cbranch_execz .LBB2174_72
; %bb.71:
	v_add_co_u32_e32 v18, vcc, 0x1000, v16
	v_addc_co_u32_e32 v19, vcc, 0, v17, vcc
	s_waitcnt lgkmcnt(0)
	flat_store_dwordx2 v[18:19], v[12:13] offset:1024
.LBB2174_72:
	s_or_b64 exec, exec, s[0:1]
	v_or_b32_e32 v18, 0x300, v0
	v_cmp_gt_u32_e32 vcc, s30, v18
	s_and_saveexec_b64 s[0:1], vcc
	s_cbranch_execz .LBB2174_74
; %bb.73:
	v_add_co_u32_e32 v16, vcc, 0x1000, v16
	v_addc_co_u32_e32 v17, vcc, 0, v17, vcc
	s_waitcnt lgkmcnt(0)
	flat_store_dwordx2 v[16:17], v[14:15] offset:2048
.LBB2174_74:
	s_or_b64 exec, exec, s[0:1]
	v_cmp_lt_u64_e64 s[0:1], s[6:7], 2
	s_and_b64 vcc, exec, s[0:1]
	s_cbranch_vccnz .LBB2174_98
; %bb.75:
	s_add_u32 s0, s30, -1
	s_addc_u32 s1, s31, -1
	s_add_u32 s4, 0, 0x92481000
	s_addc_u32 s5, 0, 0x64
	s_add_i32 s5, s5, 0x249248c0
	s_mul_hi_u32 s9, s4, -7
	s_sub_i32 s9, s9, s4
	s_mul_i32 s10, s5, -7
	s_mul_i32 s6, s4, -7
	s_add_i32 s9, s9, s10
	s_mul_hi_u32 s7, s5, s6
	s_mul_i32 s8, s5, s6
	s_mul_i32 s11, s4, s9
	s_mul_hi_u32 s6, s4, s6
	s_mul_hi_u32 s10, s4, s9
	s_add_u32 s6, s6, s11
	s_addc_u32 s10, 0, s10
	s_add_u32 s6, s6, s8
	s_mul_hi_u32 s11, s5, s9
	s_addc_u32 s6, s10, s7
	s_addc_u32 s7, s11, 0
	s_mul_i32 s8, s5, s9
	s_add_u32 s6, s6, s8
	v_mov_b32_e32 v16, s6
	s_addc_u32 s7, 0, s7
	v_add_co_u32_e32 v16, vcc, s4, v16
	s_cmp_lg_u64 vcc, 0
	s_addc_u32 s4, s5, s7
	v_readfirstlane_b32 s7, v16
	s_mul_i32 s6, s0, s4
	s_mul_hi_u32 s8, s0, s7
	s_mul_hi_u32 s5, s0, s4
	s_add_u32 s6, s8, s6
	s_addc_u32 s5, 0, s5
	s_mul_hi_u32 s9, s1, s7
	s_mul_i32 s7, s1, s7
	s_add_u32 s6, s6, s7
	s_mul_hi_u32 s8, s1, s4
	s_addc_u32 s5, s5, s9
	s_addc_u32 s6, s8, 0
	s_mul_i32 s4, s1, s4
	s_add_u32 s4, s5, s4
	s_addc_u32 s5, 0, s6
	s_add_u32 s6, s4, 1
	s_addc_u32 s7, s5, 0
	s_add_u32 s8, s4, 2
	s_mul_i32 s10, s5, 7
	s_mul_hi_u32 s11, s4, 7
	s_addc_u32 s9, s5, 0
	s_add_i32 s11, s11, s10
	s_mul_i32 s10, s4, 7
	v_mov_b32_e32 v16, s10
	v_sub_co_u32_e32 v16, vcc, s0, v16
	s_cmp_lg_u64 vcc, 0
	s_subb_u32 s10, s1, s11
	v_subrev_co_u32_e32 v17, vcc, 7, v16
	s_cmp_lg_u64 vcc, 0
	s_subb_u32 s11, s10, 0
	v_readfirstlane_b32 s12, v17
	s_cmp_gt_u32 s12, 6
	s_cselect_b32 s12, -1, 0
	s_cmp_eq_u32 s11, 0
	s_cselect_b32 s11, s12, -1
	s_cmp_lg_u32 s11, 0
	s_cselect_b32 s6, s8, s6
	v_readfirstlane_b32 s8, v16
	s_cselect_b32 s7, s9, s7
	s_cmp_gt_u32 s8, 6
	s_cselect_b32 s8, -1, 0
	s_cmp_eq_u32 s10, 0
	s_cselect_b32 s8, s8, -1
	s_cmp_lg_u32 s8, 0
	s_cselect_b32 s5, s7, s5
	s_cselect_b32 s4, s6, s4
	v_cmp_eq_u64_e32 vcc, s[4:5], v[0:1]
	s_and_saveexec_b64 s[4:5], vcc
	s_cbranch_execz .LBB2174_98
; %bb.76:
	v_mul_hi_u32_u24_e32 v1, 7, v0
	v_mov_b32_e32 v16, s1
	v_sub_co_u32_e32 v0, vcc, s0, v37
	v_subb_co_u32_e32 v1, vcc, v16, v1, vcc
	v_cmp_lt_i64_e32 vcc, 3, v[0:1]
	s_and_saveexec_b64 s[0:1], vcc
	s_xor_b64 s[0:1], exec, s[0:1]
	s_cbranch_execz .LBB2174_86
; %bb.77:
	v_cmp_lt_i64_e32 vcc, 4, v[0:1]
	s_and_saveexec_b64 s[4:5], vcc
	s_xor_b64 s[4:5], exec, s[4:5]
	s_cbranch_execz .LBB2174_83
; %bb.78:
	;; [unrolled: 5-line block ×3, first 2 shown]
	v_mov_b32_e32 v0, 0
	s_waitcnt lgkmcnt(0)
	global_store_dwordx2 v0, v[14:15], s[2:3]
                                        ; implicit-def: $vgpr10_vgpr11_vgpr12_vgpr13
.LBB2174_80:
	s_andn2_saveexec_b64 s[6:7], s[6:7]
	s_cbranch_execz .LBB2174_82
; %bb.81:
	v_mov_b32_e32 v0, 0
	s_waitcnt lgkmcnt(0)
	global_store_dwordx2 v0, v[12:13], s[2:3]
.LBB2174_82:
	s_or_b64 exec, exec, s[6:7]
                                        ; implicit-def: $vgpr10_vgpr11_vgpr12_vgpr13
.LBB2174_83:
	s_andn2_saveexec_b64 s[4:5], s[4:5]
	s_cbranch_execz .LBB2174_85
; %bb.84:
	v_mov_b32_e32 v0, 0
	s_waitcnt lgkmcnt(0)
	global_store_dwordx2 v0, v[10:11], s[2:3]
.LBB2174_85:
	s_or_b64 exec, exec, s[4:5]
                                        ; implicit-def: $vgpr0_vgpr1
                                        ; implicit-def: $vgpr2_vgpr3_vgpr4_vgpr5
                                        ; implicit-def: $vgpr6_vgpr7_vgpr8_vgpr9
.LBB2174_86:
	s_andn2_saveexec_b64 s[0:1], s[0:1]
	s_cbranch_execz .LBB2174_98
; %bb.87:
	v_cmp_lt_i64_e32 vcc, 1, v[0:1]
	s_and_saveexec_b64 s[0:1], vcc
	s_xor_b64 s[0:1], exec, s[0:1]
	s_cbranch_execz .LBB2174_93
; %bb.88:
	v_cmp_lt_i64_e32 vcc, 2, v[0:1]
	s_and_saveexec_b64 s[4:5], vcc
	s_xor_b64 s[4:5], exec, s[4:5]
	s_cbranch_execz .LBB2174_90
; %bb.89:
	v_mov_b32_e32 v0, 0
	s_waitcnt lgkmcnt(0)
	global_store_dwordx2 v0, v[8:9], s[2:3]
                                        ; implicit-def: $vgpr6_vgpr7_vgpr8_vgpr9
.LBB2174_90:
	s_andn2_saveexec_b64 s[4:5], s[4:5]
	s_cbranch_execz .LBB2174_92
; %bb.91:
	v_mov_b32_e32 v0, 0
	s_waitcnt lgkmcnt(0)
	global_store_dwordx2 v0, v[6:7], s[2:3]
.LBB2174_92:
	s_or_b64 exec, exec, s[4:5]
                                        ; implicit-def: $vgpr2_vgpr3_vgpr4_vgpr5
                                        ; implicit-def: $vgpr0_vgpr1
.LBB2174_93:
	s_andn2_saveexec_b64 s[0:1], s[0:1]
	s_cbranch_execz .LBB2174_98
; %bb.94:
	v_cmp_ne_u64_e32 vcc, 1, v[0:1]
	s_and_saveexec_b64 s[0:1], vcc
	s_xor_b64 s[0:1], exec, s[0:1]
	s_cbranch_execz .LBB2174_96
; %bb.95:
	v_mov_b32_e32 v0, 0
	s_waitcnt lgkmcnt(0)
	global_store_dwordx2 v0, v[2:3], s[2:3]
                                        ; implicit-def: $vgpr2_vgpr3_vgpr4_vgpr5
.LBB2174_96:
	s_andn2_saveexec_b64 s[0:1], s[0:1]
	s_cbranch_execz .LBB2174_98
; %bb.97:
	v_mov_b32_e32 v0, 0
	s_waitcnt lgkmcnt(0)
	global_store_dwordx2 v0, v[4:5], s[2:3]
.LBB2174_98:
	s_endpgm
	.section	.rodata,"a",@progbits
	.p2align	6, 0x0
	.amdhsa_kernel _ZN7rocprim17ROCPRIM_400000_NS6detail17trampoline_kernelINS0_14default_configENS1_20scan_config_selectorIyEEZZNS1_9scan_implILNS1_25lookback_scan_determinismE0ELb1ELb1ES3_N6thrust23THRUST_200600_302600_NS6detail15normal_iteratorINS9_10device_ptrIyEEEESE_y11max_functorIyEyEEDaPvRmT3_T4_T5_mT6_P12ihipStream_tbENKUlT_T0_E_clISt17integral_constantIbLb0EESU_EEDaSP_SQ_EUlSP_E_NS1_11comp_targetILNS1_3genE4ELNS1_11target_archE910ELNS1_3gpuE8ELNS1_3repE0EEENS1_30default_config_static_selectorELNS0_4arch9wavefront6targetE1EEEvT1_
		.amdhsa_group_segment_fixed_size 7168
		.amdhsa_private_segment_fixed_size 0
		.amdhsa_kernarg_size 104
		.amdhsa_user_sgpr_count 6
		.amdhsa_user_sgpr_private_segment_buffer 1
		.amdhsa_user_sgpr_dispatch_ptr 0
		.amdhsa_user_sgpr_queue_ptr 0
		.amdhsa_user_sgpr_kernarg_segment_ptr 1
		.amdhsa_user_sgpr_dispatch_id 0
		.amdhsa_user_sgpr_flat_scratch_init 0
		.amdhsa_user_sgpr_kernarg_preload_length 0
		.amdhsa_user_sgpr_kernarg_preload_offset 0
		.amdhsa_user_sgpr_private_segment_size 0
		.amdhsa_uses_dynamic_stack 0
		.amdhsa_system_sgpr_private_segment_wavefront_offset 0
		.amdhsa_system_sgpr_workgroup_id_x 1
		.amdhsa_system_sgpr_workgroup_id_y 0
		.amdhsa_system_sgpr_workgroup_id_z 0
		.amdhsa_system_sgpr_workgroup_info 0
		.amdhsa_system_vgpr_workitem_id 0
		.amdhsa_next_free_vgpr 58
		.amdhsa_next_free_sgpr 35
		.amdhsa_accum_offset 60
		.amdhsa_reserve_vcc 1
		.amdhsa_reserve_flat_scratch 0
		.amdhsa_float_round_mode_32 0
		.amdhsa_float_round_mode_16_64 0
		.amdhsa_float_denorm_mode_32 3
		.amdhsa_float_denorm_mode_16_64 3
		.amdhsa_dx10_clamp 1
		.amdhsa_ieee_mode 1
		.amdhsa_fp16_overflow 0
		.amdhsa_tg_split 0
		.amdhsa_exception_fp_ieee_invalid_op 0
		.amdhsa_exception_fp_denorm_src 0
		.amdhsa_exception_fp_ieee_div_zero 0
		.amdhsa_exception_fp_ieee_overflow 0
		.amdhsa_exception_fp_ieee_underflow 0
		.amdhsa_exception_fp_ieee_inexact 0
		.amdhsa_exception_int_div_zero 0
	.end_amdhsa_kernel
	.section	.text._ZN7rocprim17ROCPRIM_400000_NS6detail17trampoline_kernelINS0_14default_configENS1_20scan_config_selectorIyEEZZNS1_9scan_implILNS1_25lookback_scan_determinismE0ELb1ELb1ES3_N6thrust23THRUST_200600_302600_NS6detail15normal_iteratorINS9_10device_ptrIyEEEESE_y11max_functorIyEyEEDaPvRmT3_T4_T5_mT6_P12ihipStream_tbENKUlT_T0_E_clISt17integral_constantIbLb0EESU_EEDaSP_SQ_EUlSP_E_NS1_11comp_targetILNS1_3genE4ELNS1_11target_archE910ELNS1_3gpuE8ELNS1_3repE0EEENS1_30default_config_static_selectorELNS0_4arch9wavefront6targetE1EEEvT1_,"axG",@progbits,_ZN7rocprim17ROCPRIM_400000_NS6detail17trampoline_kernelINS0_14default_configENS1_20scan_config_selectorIyEEZZNS1_9scan_implILNS1_25lookback_scan_determinismE0ELb1ELb1ES3_N6thrust23THRUST_200600_302600_NS6detail15normal_iteratorINS9_10device_ptrIyEEEESE_y11max_functorIyEyEEDaPvRmT3_T4_T5_mT6_P12ihipStream_tbENKUlT_T0_E_clISt17integral_constantIbLb0EESU_EEDaSP_SQ_EUlSP_E_NS1_11comp_targetILNS1_3genE4ELNS1_11target_archE910ELNS1_3gpuE8ELNS1_3repE0EEENS1_30default_config_static_selectorELNS0_4arch9wavefront6targetE1EEEvT1_,comdat
.Lfunc_end2174:
	.size	_ZN7rocprim17ROCPRIM_400000_NS6detail17trampoline_kernelINS0_14default_configENS1_20scan_config_selectorIyEEZZNS1_9scan_implILNS1_25lookback_scan_determinismE0ELb1ELb1ES3_N6thrust23THRUST_200600_302600_NS6detail15normal_iteratorINS9_10device_ptrIyEEEESE_y11max_functorIyEyEEDaPvRmT3_T4_T5_mT6_P12ihipStream_tbENKUlT_T0_E_clISt17integral_constantIbLb0EESU_EEDaSP_SQ_EUlSP_E_NS1_11comp_targetILNS1_3genE4ELNS1_11target_archE910ELNS1_3gpuE8ELNS1_3repE0EEENS1_30default_config_static_selectorELNS0_4arch9wavefront6targetE1EEEvT1_, .Lfunc_end2174-_ZN7rocprim17ROCPRIM_400000_NS6detail17trampoline_kernelINS0_14default_configENS1_20scan_config_selectorIyEEZZNS1_9scan_implILNS1_25lookback_scan_determinismE0ELb1ELb1ES3_N6thrust23THRUST_200600_302600_NS6detail15normal_iteratorINS9_10device_ptrIyEEEESE_y11max_functorIyEyEEDaPvRmT3_T4_T5_mT6_P12ihipStream_tbENKUlT_T0_E_clISt17integral_constantIbLb0EESU_EEDaSP_SQ_EUlSP_E_NS1_11comp_targetILNS1_3genE4ELNS1_11target_archE910ELNS1_3gpuE8ELNS1_3repE0EEENS1_30default_config_static_selectorELNS0_4arch9wavefront6targetE1EEEvT1_
                                        ; -- End function
	.section	.AMDGPU.csdata,"",@progbits
; Kernel info:
; codeLenInByte = 5864
; NumSgprs: 39
; NumVgprs: 58
; NumAgprs: 0
; TotalNumVgprs: 58
; ScratchSize: 0
; MemoryBound: 0
; FloatMode: 240
; IeeeMode: 1
; LDSByteSize: 7168 bytes/workgroup (compile time only)
; SGPRBlocks: 4
; VGPRBlocks: 7
; NumSGPRsForWavesPerEU: 39
; NumVGPRsForWavesPerEU: 58
; AccumOffset: 60
; Occupancy: 5
; WaveLimiterHint : 1
; COMPUTE_PGM_RSRC2:SCRATCH_EN: 0
; COMPUTE_PGM_RSRC2:USER_SGPR: 6
; COMPUTE_PGM_RSRC2:TRAP_HANDLER: 0
; COMPUTE_PGM_RSRC2:TGID_X_EN: 1
; COMPUTE_PGM_RSRC2:TGID_Y_EN: 0
; COMPUTE_PGM_RSRC2:TGID_Z_EN: 0
; COMPUTE_PGM_RSRC2:TIDIG_COMP_CNT: 0
; COMPUTE_PGM_RSRC3_GFX90A:ACCUM_OFFSET: 14
; COMPUTE_PGM_RSRC3_GFX90A:TG_SPLIT: 0
	.section	.text._ZN7rocprim17ROCPRIM_400000_NS6detail17trampoline_kernelINS0_14default_configENS1_20scan_config_selectorIyEEZZNS1_9scan_implILNS1_25lookback_scan_determinismE0ELb1ELb1ES3_N6thrust23THRUST_200600_302600_NS6detail15normal_iteratorINS9_10device_ptrIyEEEESE_y11max_functorIyEyEEDaPvRmT3_T4_T5_mT6_P12ihipStream_tbENKUlT_T0_E_clISt17integral_constantIbLb0EESU_EEDaSP_SQ_EUlSP_E_NS1_11comp_targetILNS1_3genE3ELNS1_11target_archE908ELNS1_3gpuE7ELNS1_3repE0EEENS1_30default_config_static_selectorELNS0_4arch9wavefront6targetE1EEEvT1_,"axG",@progbits,_ZN7rocprim17ROCPRIM_400000_NS6detail17trampoline_kernelINS0_14default_configENS1_20scan_config_selectorIyEEZZNS1_9scan_implILNS1_25lookback_scan_determinismE0ELb1ELb1ES3_N6thrust23THRUST_200600_302600_NS6detail15normal_iteratorINS9_10device_ptrIyEEEESE_y11max_functorIyEyEEDaPvRmT3_T4_T5_mT6_P12ihipStream_tbENKUlT_T0_E_clISt17integral_constantIbLb0EESU_EEDaSP_SQ_EUlSP_E_NS1_11comp_targetILNS1_3genE3ELNS1_11target_archE908ELNS1_3gpuE7ELNS1_3repE0EEENS1_30default_config_static_selectorELNS0_4arch9wavefront6targetE1EEEvT1_,comdat
	.protected	_ZN7rocprim17ROCPRIM_400000_NS6detail17trampoline_kernelINS0_14default_configENS1_20scan_config_selectorIyEEZZNS1_9scan_implILNS1_25lookback_scan_determinismE0ELb1ELb1ES3_N6thrust23THRUST_200600_302600_NS6detail15normal_iteratorINS9_10device_ptrIyEEEESE_y11max_functorIyEyEEDaPvRmT3_T4_T5_mT6_P12ihipStream_tbENKUlT_T0_E_clISt17integral_constantIbLb0EESU_EEDaSP_SQ_EUlSP_E_NS1_11comp_targetILNS1_3genE3ELNS1_11target_archE908ELNS1_3gpuE7ELNS1_3repE0EEENS1_30default_config_static_selectorELNS0_4arch9wavefront6targetE1EEEvT1_ ; -- Begin function _ZN7rocprim17ROCPRIM_400000_NS6detail17trampoline_kernelINS0_14default_configENS1_20scan_config_selectorIyEEZZNS1_9scan_implILNS1_25lookback_scan_determinismE0ELb1ELb1ES3_N6thrust23THRUST_200600_302600_NS6detail15normal_iteratorINS9_10device_ptrIyEEEESE_y11max_functorIyEyEEDaPvRmT3_T4_T5_mT6_P12ihipStream_tbENKUlT_T0_E_clISt17integral_constantIbLb0EESU_EEDaSP_SQ_EUlSP_E_NS1_11comp_targetILNS1_3genE3ELNS1_11target_archE908ELNS1_3gpuE7ELNS1_3repE0EEENS1_30default_config_static_selectorELNS0_4arch9wavefront6targetE1EEEvT1_
	.globl	_ZN7rocprim17ROCPRIM_400000_NS6detail17trampoline_kernelINS0_14default_configENS1_20scan_config_selectorIyEEZZNS1_9scan_implILNS1_25lookback_scan_determinismE0ELb1ELb1ES3_N6thrust23THRUST_200600_302600_NS6detail15normal_iteratorINS9_10device_ptrIyEEEESE_y11max_functorIyEyEEDaPvRmT3_T4_T5_mT6_P12ihipStream_tbENKUlT_T0_E_clISt17integral_constantIbLb0EESU_EEDaSP_SQ_EUlSP_E_NS1_11comp_targetILNS1_3genE3ELNS1_11target_archE908ELNS1_3gpuE7ELNS1_3repE0EEENS1_30default_config_static_selectorELNS0_4arch9wavefront6targetE1EEEvT1_
	.p2align	8
	.type	_ZN7rocprim17ROCPRIM_400000_NS6detail17trampoline_kernelINS0_14default_configENS1_20scan_config_selectorIyEEZZNS1_9scan_implILNS1_25lookback_scan_determinismE0ELb1ELb1ES3_N6thrust23THRUST_200600_302600_NS6detail15normal_iteratorINS9_10device_ptrIyEEEESE_y11max_functorIyEyEEDaPvRmT3_T4_T5_mT6_P12ihipStream_tbENKUlT_T0_E_clISt17integral_constantIbLb0EESU_EEDaSP_SQ_EUlSP_E_NS1_11comp_targetILNS1_3genE3ELNS1_11target_archE908ELNS1_3gpuE7ELNS1_3repE0EEENS1_30default_config_static_selectorELNS0_4arch9wavefront6targetE1EEEvT1_,@function
_ZN7rocprim17ROCPRIM_400000_NS6detail17trampoline_kernelINS0_14default_configENS1_20scan_config_selectorIyEEZZNS1_9scan_implILNS1_25lookback_scan_determinismE0ELb1ELb1ES3_N6thrust23THRUST_200600_302600_NS6detail15normal_iteratorINS9_10device_ptrIyEEEESE_y11max_functorIyEyEEDaPvRmT3_T4_T5_mT6_P12ihipStream_tbENKUlT_T0_E_clISt17integral_constantIbLb0EESU_EEDaSP_SQ_EUlSP_E_NS1_11comp_targetILNS1_3genE3ELNS1_11target_archE908ELNS1_3gpuE7ELNS1_3repE0EEENS1_30default_config_static_selectorELNS0_4arch9wavefront6targetE1EEEvT1_: ; @_ZN7rocprim17ROCPRIM_400000_NS6detail17trampoline_kernelINS0_14default_configENS1_20scan_config_selectorIyEEZZNS1_9scan_implILNS1_25lookback_scan_determinismE0ELb1ELb1ES3_N6thrust23THRUST_200600_302600_NS6detail15normal_iteratorINS9_10device_ptrIyEEEESE_y11max_functorIyEyEEDaPvRmT3_T4_T5_mT6_P12ihipStream_tbENKUlT_T0_E_clISt17integral_constantIbLb0EESU_EEDaSP_SQ_EUlSP_E_NS1_11comp_targetILNS1_3genE3ELNS1_11target_archE908ELNS1_3gpuE7ELNS1_3repE0EEENS1_30default_config_static_selectorELNS0_4arch9wavefront6targetE1EEEvT1_
; %bb.0:
	.section	.rodata,"a",@progbits
	.p2align	6, 0x0
	.amdhsa_kernel _ZN7rocprim17ROCPRIM_400000_NS6detail17trampoline_kernelINS0_14default_configENS1_20scan_config_selectorIyEEZZNS1_9scan_implILNS1_25lookback_scan_determinismE0ELb1ELb1ES3_N6thrust23THRUST_200600_302600_NS6detail15normal_iteratorINS9_10device_ptrIyEEEESE_y11max_functorIyEyEEDaPvRmT3_T4_T5_mT6_P12ihipStream_tbENKUlT_T0_E_clISt17integral_constantIbLb0EESU_EEDaSP_SQ_EUlSP_E_NS1_11comp_targetILNS1_3genE3ELNS1_11target_archE908ELNS1_3gpuE7ELNS1_3repE0EEENS1_30default_config_static_selectorELNS0_4arch9wavefront6targetE1EEEvT1_
		.amdhsa_group_segment_fixed_size 0
		.amdhsa_private_segment_fixed_size 0
		.amdhsa_kernarg_size 104
		.amdhsa_user_sgpr_count 6
		.amdhsa_user_sgpr_private_segment_buffer 1
		.amdhsa_user_sgpr_dispatch_ptr 0
		.amdhsa_user_sgpr_queue_ptr 0
		.amdhsa_user_sgpr_kernarg_segment_ptr 1
		.amdhsa_user_sgpr_dispatch_id 0
		.amdhsa_user_sgpr_flat_scratch_init 0
		.amdhsa_user_sgpr_kernarg_preload_length 0
		.amdhsa_user_sgpr_kernarg_preload_offset 0
		.amdhsa_user_sgpr_private_segment_size 0
		.amdhsa_uses_dynamic_stack 0
		.amdhsa_system_sgpr_private_segment_wavefront_offset 0
		.amdhsa_system_sgpr_workgroup_id_x 1
		.amdhsa_system_sgpr_workgroup_id_y 0
		.amdhsa_system_sgpr_workgroup_id_z 0
		.amdhsa_system_sgpr_workgroup_info 0
		.amdhsa_system_vgpr_workitem_id 0
		.amdhsa_next_free_vgpr 1
		.amdhsa_next_free_sgpr 0
		.amdhsa_accum_offset 4
		.amdhsa_reserve_vcc 0
		.amdhsa_reserve_flat_scratch 0
		.amdhsa_float_round_mode_32 0
		.amdhsa_float_round_mode_16_64 0
		.amdhsa_float_denorm_mode_32 3
		.amdhsa_float_denorm_mode_16_64 3
		.amdhsa_dx10_clamp 1
		.amdhsa_ieee_mode 1
		.amdhsa_fp16_overflow 0
		.amdhsa_tg_split 0
		.amdhsa_exception_fp_ieee_invalid_op 0
		.amdhsa_exception_fp_denorm_src 0
		.amdhsa_exception_fp_ieee_div_zero 0
		.amdhsa_exception_fp_ieee_overflow 0
		.amdhsa_exception_fp_ieee_underflow 0
		.amdhsa_exception_fp_ieee_inexact 0
		.amdhsa_exception_int_div_zero 0
	.end_amdhsa_kernel
	.section	.text._ZN7rocprim17ROCPRIM_400000_NS6detail17trampoline_kernelINS0_14default_configENS1_20scan_config_selectorIyEEZZNS1_9scan_implILNS1_25lookback_scan_determinismE0ELb1ELb1ES3_N6thrust23THRUST_200600_302600_NS6detail15normal_iteratorINS9_10device_ptrIyEEEESE_y11max_functorIyEyEEDaPvRmT3_T4_T5_mT6_P12ihipStream_tbENKUlT_T0_E_clISt17integral_constantIbLb0EESU_EEDaSP_SQ_EUlSP_E_NS1_11comp_targetILNS1_3genE3ELNS1_11target_archE908ELNS1_3gpuE7ELNS1_3repE0EEENS1_30default_config_static_selectorELNS0_4arch9wavefront6targetE1EEEvT1_,"axG",@progbits,_ZN7rocprim17ROCPRIM_400000_NS6detail17trampoline_kernelINS0_14default_configENS1_20scan_config_selectorIyEEZZNS1_9scan_implILNS1_25lookback_scan_determinismE0ELb1ELb1ES3_N6thrust23THRUST_200600_302600_NS6detail15normal_iteratorINS9_10device_ptrIyEEEESE_y11max_functorIyEyEEDaPvRmT3_T4_T5_mT6_P12ihipStream_tbENKUlT_T0_E_clISt17integral_constantIbLb0EESU_EEDaSP_SQ_EUlSP_E_NS1_11comp_targetILNS1_3genE3ELNS1_11target_archE908ELNS1_3gpuE7ELNS1_3repE0EEENS1_30default_config_static_selectorELNS0_4arch9wavefront6targetE1EEEvT1_,comdat
.Lfunc_end2175:
	.size	_ZN7rocprim17ROCPRIM_400000_NS6detail17trampoline_kernelINS0_14default_configENS1_20scan_config_selectorIyEEZZNS1_9scan_implILNS1_25lookback_scan_determinismE0ELb1ELb1ES3_N6thrust23THRUST_200600_302600_NS6detail15normal_iteratorINS9_10device_ptrIyEEEESE_y11max_functorIyEyEEDaPvRmT3_T4_T5_mT6_P12ihipStream_tbENKUlT_T0_E_clISt17integral_constantIbLb0EESU_EEDaSP_SQ_EUlSP_E_NS1_11comp_targetILNS1_3genE3ELNS1_11target_archE908ELNS1_3gpuE7ELNS1_3repE0EEENS1_30default_config_static_selectorELNS0_4arch9wavefront6targetE1EEEvT1_, .Lfunc_end2175-_ZN7rocprim17ROCPRIM_400000_NS6detail17trampoline_kernelINS0_14default_configENS1_20scan_config_selectorIyEEZZNS1_9scan_implILNS1_25lookback_scan_determinismE0ELb1ELb1ES3_N6thrust23THRUST_200600_302600_NS6detail15normal_iteratorINS9_10device_ptrIyEEEESE_y11max_functorIyEyEEDaPvRmT3_T4_T5_mT6_P12ihipStream_tbENKUlT_T0_E_clISt17integral_constantIbLb0EESU_EEDaSP_SQ_EUlSP_E_NS1_11comp_targetILNS1_3genE3ELNS1_11target_archE908ELNS1_3gpuE7ELNS1_3repE0EEENS1_30default_config_static_selectorELNS0_4arch9wavefront6targetE1EEEvT1_
                                        ; -- End function
	.section	.AMDGPU.csdata,"",@progbits
; Kernel info:
; codeLenInByte = 0
; NumSgprs: 4
; NumVgprs: 0
; NumAgprs: 0
; TotalNumVgprs: 0
; ScratchSize: 0
; MemoryBound: 0
; FloatMode: 240
; IeeeMode: 1
; LDSByteSize: 0 bytes/workgroup (compile time only)
; SGPRBlocks: 0
; VGPRBlocks: 0
; NumSGPRsForWavesPerEU: 4
; NumVGPRsForWavesPerEU: 1
; AccumOffset: 4
; Occupancy: 8
; WaveLimiterHint : 0
; COMPUTE_PGM_RSRC2:SCRATCH_EN: 0
; COMPUTE_PGM_RSRC2:USER_SGPR: 6
; COMPUTE_PGM_RSRC2:TRAP_HANDLER: 0
; COMPUTE_PGM_RSRC2:TGID_X_EN: 1
; COMPUTE_PGM_RSRC2:TGID_Y_EN: 0
; COMPUTE_PGM_RSRC2:TGID_Z_EN: 0
; COMPUTE_PGM_RSRC2:TIDIG_COMP_CNT: 0
; COMPUTE_PGM_RSRC3_GFX90A:ACCUM_OFFSET: 0
; COMPUTE_PGM_RSRC3_GFX90A:TG_SPLIT: 0
	.section	.text._ZN7rocprim17ROCPRIM_400000_NS6detail17trampoline_kernelINS0_14default_configENS1_20scan_config_selectorIyEEZZNS1_9scan_implILNS1_25lookback_scan_determinismE0ELb1ELb1ES3_N6thrust23THRUST_200600_302600_NS6detail15normal_iteratorINS9_10device_ptrIyEEEESE_y11max_functorIyEyEEDaPvRmT3_T4_T5_mT6_P12ihipStream_tbENKUlT_T0_E_clISt17integral_constantIbLb0EESU_EEDaSP_SQ_EUlSP_E_NS1_11comp_targetILNS1_3genE2ELNS1_11target_archE906ELNS1_3gpuE6ELNS1_3repE0EEENS1_30default_config_static_selectorELNS0_4arch9wavefront6targetE1EEEvT1_,"axG",@progbits,_ZN7rocprim17ROCPRIM_400000_NS6detail17trampoline_kernelINS0_14default_configENS1_20scan_config_selectorIyEEZZNS1_9scan_implILNS1_25lookback_scan_determinismE0ELb1ELb1ES3_N6thrust23THRUST_200600_302600_NS6detail15normal_iteratorINS9_10device_ptrIyEEEESE_y11max_functorIyEyEEDaPvRmT3_T4_T5_mT6_P12ihipStream_tbENKUlT_T0_E_clISt17integral_constantIbLb0EESU_EEDaSP_SQ_EUlSP_E_NS1_11comp_targetILNS1_3genE2ELNS1_11target_archE906ELNS1_3gpuE6ELNS1_3repE0EEENS1_30default_config_static_selectorELNS0_4arch9wavefront6targetE1EEEvT1_,comdat
	.protected	_ZN7rocprim17ROCPRIM_400000_NS6detail17trampoline_kernelINS0_14default_configENS1_20scan_config_selectorIyEEZZNS1_9scan_implILNS1_25lookback_scan_determinismE0ELb1ELb1ES3_N6thrust23THRUST_200600_302600_NS6detail15normal_iteratorINS9_10device_ptrIyEEEESE_y11max_functorIyEyEEDaPvRmT3_T4_T5_mT6_P12ihipStream_tbENKUlT_T0_E_clISt17integral_constantIbLb0EESU_EEDaSP_SQ_EUlSP_E_NS1_11comp_targetILNS1_3genE2ELNS1_11target_archE906ELNS1_3gpuE6ELNS1_3repE0EEENS1_30default_config_static_selectorELNS0_4arch9wavefront6targetE1EEEvT1_ ; -- Begin function _ZN7rocprim17ROCPRIM_400000_NS6detail17trampoline_kernelINS0_14default_configENS1_20scan_config_selectorIyEEZZNS1_9scan_implILNS1_25lookback_scan_determinismE0ELb1ELb1ES3_N6thrust23THRUST_200600_302600_NS6detail15normal_iteratorINS9_10device_ptrIyEEEESE_y11max_functorIyEyEEDaPvRmT3_T4_T5_mT6_P12ihipStream_tbENKUlT_T0_E_clISt17integral_constantIbLb0EESU_EEDaSP_SQ_EUlSP_E_NS1_11comp_targetILNS1_3genE2ELNS1_11target_archE906ELNS1_3gpuE6ELNS1_3repE0EEENS1_30default_config_static_selectorELNS0_4arch9wavefront6targetE1EEEvT1_
	.globl	_ZN7rocprim17ROCPRIM_400000_NS6detail17trampoline_kernelINS0_14default_configENS1_20scan_config_selectorIyEEZZNS1_9scan_implILNS1_25lookback_scan_determinismE0ELb1ELb1ES3_N6thrust23THRUST_200600_302600_NS6detail15normal_iteratorINS9_10device_ptrIyEEEESE_y11max_functorIyEyEEDaPvRmT3_T4_T5_mT6_P12ihipStream_tbENKUlT_T0_E_clISt17integral_constantIbLb0EESU_EEDaSP_SQ_EUlSP_E_NS1_11comp_targetILNS1_3genE2ELNS1_11target_archE906ELNS1_3gpuE6ELNS1_3repE0EEENS1_30default_config_static_selectorELNS0_4arch9wavefront6targetE1EEEvT1_
	.p2align	8
	.type	_ZN7rocprim17ROCPRIM_400000_NS6detail17trampoline_kernelINS0_14default_configENS1_20scan_config_selectorIyEEZZNS1_9scan_implILNS1_25lookback_scan_determinismE0ELb1ELb1ES3_N6thrust23THRUST_200600_302600_NS6detail15normal_iteratorINS9_10device_ptrIyEEEESE_y11max_functorIyEyEEDaPvRmT3_T4_T5_mT6_P12ihipStream_tbENKUlT_T0_E_clISt17integral_constantIbLb0EESU_EEDaSP_SQ_EUlSP_E_NS1_11comp_targetILNS1_3genE2ELNS1_11target_archE906ELNS1_3gpuE6ELNS1_3repE0EEENS1_30default_config_static_selectorELNS0_4arch9wavefront6targetE1EEEvT1_,@function
_ZN7rocprim17ROCPRIM_400000_NS6detail17trampoline_kernelINS0_14default_configENS1_20scan_config_selectorIyEEZZNS1_9scan_implILNS1_25lookback_scan_determinismE0ELb1ELb1ES3_N6thrust23THRUST_200600_302600_NS6detail15normal_iteratorINS9_10device_ptrIyEEEESE_y11max_functorIyEyEEDaPvRmT3_T4_T5_mT6_P12ihipStream_tbENKUlT_T0_E_clISt17integral_constantIbLb0EESU_EEDaSP_SQ_EUlSP_E_NS1_11comp_targetILNS1_3genE2ELNS1_11target_archE906ELNS1_3gpuE6ELNS1_3repE0EEENS1_30default_config_static_selectorELNS0_4arch9wavefront6targetE1EEEvT1_: ; @_ZN7rocprim17ROCPRIM_400000_NS6detail17trampoline_kernelINS0_14default_configENS1_20scan_config_selectorIyEEZZNS1_9scan_implILNS1_25lookback_scan_determinismE0ELb1ELb1ES3_N6thrust23THRUST_200600_302600_NS6detail15normal_iteratorINS9_10device_ptrIyEEEESE_y11max_functorIyEyEEDaPvRmT3_T4_T5_mT6_P12ihipStream_tbENKUlT_T0_E_clISt17integral_constantIbLb0EESU_EEDaSP_SQ_EUlSP_E_NS1_11comp_targetILNS1_3genE2ELNS1_11target_archE906ELNS1_3gpuE6ELNS1_3repE0EEENS1_30default_config_static_selectorELNS0_4arch9wavefront6targetE1EEEvT1_
; %bb.0:
	.section	.rodata,"a",@progbits
	.p2align	6, 0x0
	.amdhsa_kernel _ZN7rocprim17ROCPRIM_400000_NS6detail17trampoline_kernelINS0_14default_configENS1_20scan_config_selectorIyEEZZNS1_9scan_implILNS1_25lookback_scan_determinismE0ELb1ELb1ES3_N6thrust23THRUST_200600_302600_NS6detail15normal_iteratorINS9_10device_ptrIyEEEESE_y11max_functorIyEyEEDaPvRmT3_T4_T5_mT6_P12ihipStream_tbENKUlT_T0_E_clISt17integral_constantIbLb0EESU_EEDaSP_SQ_EUlSP_E_NS1_11comp_targetILNS1_3genE2ELNS1_11target_archE906ELNS1_3gpuE6ELNS1_3repE0EEENS1_30default_config_static_selectorELNS0_4arch9wavefront6targetE1EEEvT1_
		.amdhsa_group_segment_fixed_size 0
		.amdhsa_private_segment_fixed_size 0
		.amdhsa_kernarg_size 104
		.amdhsa_user_sgpr_count 6
		.amdhsa_user_sgpr_private_segment_buffer 1
		.amdhsa_user_sgpr_dispatch_ptr 0
		.amdhsa_user_sgpr_queue_ptr 0
		.amdhsa_user_sgpr_kernarg_segment_ptr 1
		.amdhsa_user_sgpr_dispatch_id 0
		.amdhsa_user_sgpr_flat_scratch_init 0
		.amdhsa_user_sgpr_kernarg_preload_length 0
		.amdhsa_user_sgpr_kernarg_preload_offset 0
		.amdhsa_user_sgpr_private_segment_size 0
		.amdhsa_uses_dynamic_stack 0
		.amdhsa_system_sgpr_private_segment_wavefront_offset 0
		.amdhsa_system_sgpr_workgroup_id_x 1
		.amdhsa_system_sgpr_workgroup_id_y 0
		.amdhsa_system_sgpr_workgroup_id_z 0
		.amdhsa_system_sgpr_workgroup_info 0
		.amdhsa_system_vgpr_workitem_id 0
		.amdhsa_next_free_vgpr 1
		.amdhsa_next_free_sgpr 0
		.amdhsa_accum_offset 4
		.amdhsa_reserve_vcc 0
		.amdhsa_reserve_flat_scratch 0
		.amdhsa_float_round_mode_32 0
		.amdhsa_float_round_mode_16_64 0
		.amdhsa_float_denorm_mode_32 3
		.amdhsa_float_denorm_mode_16_64 3
		.amdhsa_dx10_clamp 1
		.amdhsa_ieee_mode 1
		.amdhsa_fp16_overflow 0
		.amdhsa_tg_split 0
		.amdhsa_exception_fp_ieee_invalid_op 0
		.amdhsa_exception_fp_denorm_src 0
		.amdhsa_exception_fp_ieee_div_zero 0
		.amdhsa_exception_fp_ieee_overflow 0
		.amdhsa_exception_fp_ieee_underflow 0
		.amdhsa_exception_fp_ieee_inexact 0
		.amdhsa_exception_int_div_zero 0
	.end_amdhsa_kernel
	.section	.text._ZN7rocprim17ROCPRIM_400000_NS6detail17trampoline_kernelINS0_14default_configENS1_20scan_config_selectorIyEEZZNS1_9scan_implILNS1_25lookback_scan_determinismE0ELb1ELb1ES3_N6thrust23THRUST_200600_302600_NS6detail15normal_iteratorINS9_10device_ptrIyEEEESE_y11max_functorIyEyEEDaPvRmT3_T4_T5_mT6_P12ihipStream_tbENKUlT_T0_E_clISt17integral_constantIbLb0EESU_EEDaSP_SQ_EUlSP_E_NS1_11comp_targetILNS1_3genE2ELNS1_11target_archE906ELNS1_3gpuE6ELNS1_3repE0EEENS1_30default_config_static_selectorELNS0_4arch9wavefront6targetE1EEEvT1_,"axG",@progbits,_ZN7rocprim17ROCPRIM_400000_NS6detail17trampoline_kernelINS0_14default_configENS1_20scan_config_selectorIyEEZZNS1_9scan_implILNS1_25lookback_scan_determinismE0ELb1ELb1ES3_N6thrust23THRUST_200600_302600_NS6detail15normal_iteratorINS9_10device_ptrIyEEEESE_y11max_functorIyEyEEDaPvRmT3_T4_T5_mT6_P12ihipStream_tbENKUlT_T0_E_clISt17integral_constantIbLb0EESU_EEDaSP_SQ_EUlSP_E_NS1_11comp_targetILNS1_3genE2ELNS1_11target_archE906ELNS1_3gpuE6ELNS1_3repE0EEENS1_30default_config_static_selectorELNS0_4arch9wavefront6targetE1EEEvT1_,comdat
.Lfunc_end2176:
	.size	_ZN7rocprim17ROCPRIM_400000_NS6detail17trampoline_kernelINS0_14default_configENS1_20scan_config_selectorIyEEZZNS1_9scan_implILNS1_25lookback_scan_determinismE0ELb1ELb1ES3_N6thrust23THRUST_200600_302600_NS6detail15normal_iteratorINS9_10device_ptrIyEEEESE_y11max_functorIyEyEEDaPvRmT3_T4_T5_mT6_P12ihipStream_tbENKUlT_T0_E_clISt17integral_constantIbLb0EESU_EEDaSP_SQ_EUlSP_E_NS1_11comp_targetILNS1_3genE2ELNS1_11target_archE906ELNS1_3gpuE6ELNS1_3repE0EEENS1_30default_config_static_selectorELNS0_4arch9wavefront6targetE1EEEvT1_, .Lfunc_end2176-_ZN7rocprim17ROCPRIM_400000_NS6detail17trampoline_kernelINS0_14default_configENS1_20scan_config_selectorIyEEZZNS1_9scan_implILNS1_25lookback_scan_determinismE0ELb1ELb1ES3_N6thrust23THRUST_200600_302600_NS6detail15normal_iteratorINS9_10device_ptrIyEEEESE_y11max_functorIyEyEEDaPvRmT3_T4_T5_mT6_P12ihipStream_tbENKUlT_T0_E_clISt17integral_constantIbLb0EESU_EEDaSP_SQ_EUlSP_E_NS1_11comp_targetILNS1_3genE2ELNS1_11target_archE906ELNS1_3gpuE6ELNS1_3repE0EEENS1_30default_config_static_selectorELNS0_4arch9wavefront6targetE1EEEvT1_
                                        ; -- End function
	.section	.AMDGPU.csdata,"",@progbits
; Kernel info:
; codeLenInByte = 0
; NumSgprs: 4
; NumVgprs: 0
; NumAgprs: 0
; TotalNumVgprs: 0
; ScratchSize: 0
; MemoryBound: 0
; FloatMode: 240
; IeeeMode: 1
; LDSByteSize: 0 bytes/workgroup (compile time only)
; SGPRBlocks: 0
; VGPRBlocks: 0
; NumSGPRsForWavesPerEU: 4
; NumVGPRsForWavesPerEU: 1
; AccumOffset: 4
; Occupancy: 8
; WaveLimiterHint : 0
; COMPUTE_PGM_RSRC2:SCRATCH_EN: 0
; COMPUTE_PGM_RSRC2:USER_SGPR: 6
; COMPUTE_PGM_RSRC2:TRAP_HANDLER: 0
; COMPUTE_PGM_RSRC2:TGID_X_EN: 1
; COMPUTE_PGM_RSRC2:TGID_Y_EN: 0
; COMPUTE_PGM_RSRC2:TGID_Z_EN: 0
; COMPUTE_PGM_RSRC2:TIDIG_COMP_CNT: 0
; COMPUTE_PGM_RSRC3_GFX90A:ACCUM_OFFSET: 0
; COMPUTE_PGM_RSRC3_GFX90A:TG_SPLIT: 0
	.section	.text._ZN7rocprim17ROCPRIM_400000_NS6detail17trampoline_kernelINS0_14default_configENS1_20scan_config_selectorIyEEZZNS1_9scan_implILNS1_25lookback_scan_determinismE0ELb1ELb1ES3_N6thrust23THRUST_200600_302600_NS6detail15normal_iteratorINS9_10device_ptrIyEEEESE_y11max_functorIyEyEEDaPvRmT3_T4_T5_mT6_P12ihipStream_tbENKUlT_T0_E_clISt17integral_constantIbLb0EESU_EEDaSP_SQ_EUlSP_E_NS1_11comp_targetILNS1_3genE10ELNS1_11target_archE1201ELNS1_3gpuE5ELNS1_3repE0EEENS1_30default_config_static_selectorELNS0_4arch9wavefront6targetE1EEEvT1_,"axG",@progbits,_ZN7rocprim17ROCPRIM_400000_NS6detail17trampoline_kernelINS0_14default_configENS1_20scan_config_selectorIyEEZZNS1_9scan_implILNS1_25lookback_scan_determinismE0ELb1ELb1ES3_N6thrust23THRUST_200600_302600_NS6detail15normal_iteratorINS9_10device_ptrIyEEEESE_y11max_functorIyEyEEDaPvRmT3_T4_T5_mT6_P12ihipStream_tbENKUlT_T0_E_clISt17integral_constantIbLb0EESU_EEDaSP_SQ_EUlSP_E_NS1_11comp_targetILNS1_3genE10ELNS1_11target_archE1201ELNS1_3gpuE5ELNS1_3repE0EEENS1_30default_config_static_selectorELNS0_4arch9wavefront6targetE1EEEvT1_,comdat
	.protected	_ZN7rocprim17ROCPRIM_400000_NS6detail17trampoline_kernelINS0_14default_configENS1_20scan_config_selectorIyEEZZNS1_9scan_implILNS1_25lookback_scan_determinismE0ELb1ELb1ES3_N6thrust23THRUST_200600_302600_NS6detail15normal_iteratorINS9_10device_ptrIyEEEESE_y11max_functorIyEyEEDaPvRmT3_T4_T5_mT6_P12ihipStream_tbENKUlT_T0_E_clISt17integral_constantIbLb0EESU_EEDaSP_SQ_EUlSP_E_NS1_11comp_targetILNS1_3genE10ELNS1_11target_archE1201ELNS1_3gpuE5ELNS1_3repE0EEENS1_30default_config_static_selectorELNS0_4arch9wavefront6targetE1EEEvT1_ ; -- Begin function _ZN7rocprim17ROCPRIM_400000_NS6detail17trampoline_kernelINS0_14default_configENS1_20scan_config_selectorIyEEZZNS1_9scan_implILNS1_25lookback_scan_determinismE0ELb1ELb1ES3_N6thrust23THRUST_200600_302600_NS6detail15normal_iteratorINS9_10device_ptrIyEEEESE_y11max_functorIyEyEEDaPvRmT3_T4_T5_mT6_P12ihipStream_tbENKUlT_T0_E_clISt17integral_constantIbLb0EESU_EEDaSP_SQ_EUlSP_E_NS1_11comp_targetILNS1_3genE10ELNS1_11target_archE1201ELNS1_3gpuE5ELNS1_3repE0EEENS1_30default_config_static_selectorELNS0_4arch9wavefront6targetE1EEEvT1_
	.globl	_ZN7rocprim17ROCPRIM_400000_NS6detail17trampoline_kernelINS0_14default_configENS1_20scan_config_selectorIyEEZZNS1_9scan_implILNS1_25lookback_scan_determinismE0ELb1ELb1ES3_N6thrust23THRUST_200600_302600_NS6detail15normal_iteratorINS9_10device_ptrIyEEEESE_y11max_functorIyEyEEDaPvRmT3_T4_T5_mT6_P12ihipStream_tbENKUlT_T0_E_clISt17integral_constantIbLb0EESU_EEDaSP_SQ_EUlSP_E_NS1_11comp_targetILNS1_3genE10ELNS1_11target_archE1201ELNS1_3gpuE5ELNS1_3repE0EEENS1_30default_config_static_selectorELNS0_4arch9wavefront6targetE1EEEvT1_
	.p2align	8
	.type	_ZN7rocprim17ROCPRIM_400000_NS6detail17trampoline_kernelINS0_14default_configENS1_20scan_config_selectorIyEEZZNS1_9scan_implILNS1_25lookback_scan_determinismE0ELb1ELb1ES3_N6thrust23THRUST_200600_302600_NS6detail15normal_iteratorINS9_10device_ptrIyEEEESE_y11max_functorIyEyEEDaPvRmT3_T4_T5_mT6_P12ihipStream_tbENKUlT_T0_E_clISt17integral_constantIbLb0EESU_EEDaSP_SQ_EUlSP_E_NS1_11comp_targetILNS1_3genE10ELNS1_11target_archE1201ELNS1_3gpuE5ELNS1_3repE0EEENS1_30default_config_static_selectorELNS0_4arch9wavefront6targetE1EEEvT1_,@function
_ZN7rocprim17ROCPRIM_400000_NS6detail17trampoline_kernelINS0_14default_configENS1_20scan_config_selectorIyEEZZNS1_9scan_implILNS1_25lookback_scan_determinismE0ELb1ELb1ES3_N6thrust23THRUST_200600_302600_NS6detail15normal_iteratorINS9_10device_ptrIyEEEESE_y11max_functorIyEyEEDaPvRmT3_T4_T5_mT6_P12ihipStream_tbENKUlT_T0_E_clISt17integral_constantIbLb0EESU_EEDaSP_SQ_EUlSP_E_NS1_11comp_targetILNS1_3genE10ELNS1_11target_archE1201ELNS1_3gpuE5ELNS1_3repE0EEENS1_30default_config_static_selectorELNS0_4arch9wavefront6targetE1EEEvT1_: ; @_ZN7rocprim17ROCPRIM_400000_NS6detail17trampoline_kernelINS0_14default_configENS1_20scan_config_selectorIyEEZZNS1_9scan_implILNS1_25lookback_scan_determinismE0ELb1ELb1ES3_N6thrust23THRUST_200600_302600_NS6detail15normal_iteratorINS9_10device_ptrIyEEEESE_y11max_functorIyEyEEDaPvRmT3_T4_T5_mT6_P12ihipStream_tbENKUlT_T0_E_clISt17integral_constantIbLb0EESU_EEDaSP_SQ_EUlSP_E_NS1_11comp_targetILNS1_3genE10ELNS1_11target_archE1201ELNS1_3gpuE5ELNS1_3repE0EEENS1_30default_config_static_selectorELNS0_4arch9wavefront6targetE1EEEvT1_
; %bb.0:
	.section	.rodata,"a",@progbits
	.p2align	6, 0x0
	.amdhsa_kernel _ZN7rocprim17ROCPRIM_400000_NS6detail17trampoline_kernelINS0_14default_configENS1_20scan_config_selectorIyEEZZNS1_9scan_implILNS1_25lookback_scan_determinismE0ELb1ELb1ES3_N6thrust23THRUST_200600_302600_NS6detail15normal_iteratorINS9_10device_ptrIyEEEESE_y11max_functorIyEyEEDaPvRmT3_T4_T5_mT6_P12ihipStream_tbENKUlT_T0_E_clISt17integral_constantIbLb0EESU_EEDaSP_SQ_EUlSP_E_NS1_11comp_targetILNS1_3genE10ELNS1_11target_archE1201ELNS1_3gpuE5ELNS1_3repE0EEENS1_30default_config_static_selectorELNS0_4arch9wavefront6targetE1EEEvT1_
		.amdhsa_group_segment_fixed_size 0
		.amdhsa_private_segment_fixed_size 0
		.amdhsa_kernarg_size 104
		.amdhsa_user_sgpr_count 6
		.amdhsa_user_sgpr_private_segment_buffer 1
		.amdhsa_user_sgpr_dispatch_ptr 0
		.amdhsa_user_sgpr_queue_ptr 0
		.amdhsa_user_sgpr_kernarg_segment_ptr 1
		.amdhsa_user_sgpr_dispatch_id 0
		.amdhsa_user_sgpr_flat_scratch_init 0
		.amdhsa_user_sgpr_kernarg_preload_length 0
		.amdhsa_user_sgpr_kernarg_preload_offset 0
		.amdhsa_user_sgpr_private_segment_size 0
		.amdhsa_uses_dynamic_stack 0
		.amdhsa_system_sgpr_private_segment_wavefront_offset 0
		.amdhsa_system_sgpr_workgroup_id_x 1
		.amdhsa_system_sgpr_workgroup_id_y 0
		.amdhsa_system_sgpr_workgroup_id_z 0
		.amdhsa_system_sgpr_workgroup_info 0
		.amdhsa_system_vgpr_workitem_id 0
		.amdhsa_next_free_vgpr 1
		.amdhsa_next_free_sgpr 0
		.amdhsa_accum_offset 4
		.amdhsa_reserve_vcc 0
		.amdhsa_reserve_flat_scratch 0
		.amdhsa_float_round_mode_32 0
		.amdhsa_float_round_mode_16_64 0
		.amdhsa_float_denorm_mode_32 3
		.amdhsa_float_denorm_mode_16_64 3
		.amdhsa_dx10_clamp 1
		.amdhsa_ieee_mode 1
		.amdhsa_fp16_overflow 0
		.amdhsa_tg_split 0
		.amdhsa_exception_fp_ieee_invalid_op 0
		.amdhsa_exception_fp_denorm_src 0
		.amdhsa_exception_fp_ieee_div_zero 0
		.amdhsa_exception_fp_ieee_overflow 0
		.amdhsa_exception_fp_ieee_underflow 0
		.amdhsa_exception_fp_ieee_inexact 0
		.amdhsa_exception_int_div_zero 0
	.end_amdhsa_kernel
	.section	.text._ZN7rocprim17ROCPRIM_400000_NS6detail17trampoline_kernelINS0_14default_configENS1_20scan_config_selectorIyEEZZNS1_9scan_implILNS1_25lookback_scan_determinismE0ELb1ELb1ES3_N6thrust23THRUST_200600_302600_NS6detail15normal_iteratorINS9_10device_ptrIyEEEESE_y11max_functorIyEyEEDaPvRmT3_T4_T5_mT6_P12ihipStream_tbENKUlT_T0_E_clISt17integral_constantIbLb0EESU_EEDaSP_SQ_EUlSP_E_NS1_11comp_targetILNS1_3genE10ELNS1_11target_archE1201ELNS1_3gpuE5ELNS1_3repE0EEENS1_30default_config_static_selectorELNS0_4arch9wavefront6targetE1EEEvT1_,"axG",@progbits,_ZN7rocprim17ROCPRIM_400000_NS6detail17trampoline_kernelINS0_14default_configENS1_20scan_config_selectorIyEEZZNS1_9scan_implILNS1_25lookback_scan_determinismE0ELb1ELb1ES3_N6thrust23THRUST_200600_302600_NS6detail15normal_iteratorINS9_10device_ptrIyEEEESE_y11max_functorIyEyEEDaPvRmT3_T4_T5_mT6_P12ihipStream_tbENKUlT_T0_E_clISt17integral_constantIbLb0EESU_EEDaSP_SQ_EUlSP_E_NS1_11comp_targetILNS1_3genE10ELNS1_11target_archE1201ELNS1_3gpuE5ELNS1_3repE0EEENS1_30default_config_static_selectorELNS0_4arch9wavefront6targetE1EEEvT1_,comdat
.Lfunc_end2177:
	.size	_ZN7rocprim17ROCPRIM_400000_NS6detail17trampoline_kernelINS0_14default_configENS1_20scan_config_selectorIyEEZZNS1_9scan_implILNS1_25lookback_scan_determinismE0ELb1ELb1ES3_N6thrust23THRUST_200600_302600_NS6detail15normal_iteratorINS9_10device_ptrIyEEEESE_y11max_functorIyEyEEDaPvRmT3_T4_T5_mT6_P12ihipStream_tbENKUlT_T0_E_clISt17integral_constantIbLb0EESU_EEDaSP_SQ_EUlSP_E_NS1_11comp_targetILNS1_3genE10ELNS1_11target_archE1201ELNS1_3gpuE5ELNS1_3repE0EEENS1_30default_config_static_selectorELNS0_4arch9wavefront6targetE1EEEvT1_, .Lfunc_end2177-_ZN7rocprim17ROCPRIM_400000_NS6detail17trampoline_kernelINS0_14default_configENS1_20scan_config_selectorIyEEZZNS1_9scan_implILNS1_25lookback_scan_determinismE0ELb1ELb1ES3_N6thrust23THRUST_200600_302600_NS6detail15normal_iteratorINS9_10device_ptrIyEEEESE_y11max_functorIyEyEEDaPvRmT3_T4_T5_mT6_P12ihipStream_tbENKUlT_T0_E_clISt17integral_constantIbLb0EESU_EEDaSP_SQ_EUlSP_E_NS1_11comp_targetILNS1_3genE10ELNS1_11target_archE1201ELNS1_3gpuE5ELNS1_3repE0EEENS1_30default_config_static_selectorELNS0_4arch9wavefront6targetE1EEEvT1_
                                        ; -- End function
	.section	.AMDGPU.csdata,"",@progbits
; Kernel info:
; codeLenInByte = 0
; NumSgprs: 4
; NumVgprs: 0
; NumAgprs: 0
; TotalNumVgprs: 0
; ScratchSize: 0
; MemoryBound: 0
; FloatMode: 240
; IeeeMode: 1
; LDSByteSize: 0 bytes/workgroup (compile time only)
; SGPRBlocks: 0
; VGPRBlocks: 0
; NumSGPRsForWavesPerEU: 4
; NumVGPRsForWavesPerEU: 1
; AccumOffset: 4
; Occupancy: 8
; WaveLimiterHint : 0
; COMPUTE_PGM_RSRC2:SCRATCH_EN: 0
; COMPUTE_PGM_RSRC2:USER_SGPR: 6
; COMPUTE_PGM_RSRC2:TRAP_HANDLER: 0
; COMPUTE_PGM_RSRC2:TGID_X_EN: 1
; COMPUTE_PGM_RSRC2:TGID_Y_EN: 0
; COMPUTE_PGM_RSRC2:TGID_Z_EN: 0
; COMPUTE_PGM_RSRC2:TIDIG_COMP_CNT: 0
; COMPUTE_PGM_RSRC3_GFX90A:ACCUM_OFFSET: 0
; COMPUTE_PGM_RSRC3_GFX90A:TG_SPLIT: 0
	.section	.text._ZN7rocprim17ROCPRIM_400000_NS6detail17trampoline_kernelINS0_14default_configENS1_20scan_config_selectorIyEEZZNS1_9scan_implILNS1_25lookback_scan_determinismE0ELb1ELb1ES3_N6thrust23THRUST_200600_302600_NS6detail15normal_iteratorINS9_10device_ptrIyEEEESE_y11max_functorIyEyEEDaPvRmT3_T4_T5_mT6_P12ihipStream_tbENKUlT_T0_E_clISt17integral_constantIbLb0EESU_EEDaSP_SQ_EUlSP_E_NS1_11comp_targetILNS1_3genE10ELNS1_11target_archE1200ELNS1_3gpuE4ELNS1_3repE0EEENS1_30default_config_static_selectorELNS0_4arch9wavefront6targetE1EEEvT1_,"axG",@progbits,_ZN7rocprim17ROCPRIM_400000_NS6detail17trampoline_kernelINS0_14default_configENS1_20scan_config_selectorIyEEZZNS1_9scan_implILNS1_25lookback_scan_determinismE0ELb1ELb1ES3_N6thrust23THRUST_200600_302600_NS6detail15normal_iteratorINS9_10device_ptrIyEEEESE_y11max_functorIyEyEEDaPvRmT3_T4_T5_mT6_P12ihipStream_tbENKUlT_T0_E_clISt17integral_constantIbLb0EESU_EEDaSP_SQ_EUlSP_E_NS1_11comp_targetILNS1_3genE10ELNS1_11target_archE1200ELNS1_3gpuE4ELNS1_3repE0EEENS1_30default_config_static_selectorELNS0_4arch9wavefront6targetE1EEEvT1_,comdat
	.protected	_ZN7rocprim17ROCPRIM_400000_NS6detail17trampoline_kernelINS0_14default_configENS1_20scan_config_selectorIyEEZZNS1_9scan_implILNS1_25lookback_scan_determinismE0ELb1ELb1ES3_N6thrust23THRUST_200600_302600_NS6detail15normal_iteratorINS9_10device_ptrIyEEEESE_y11max_functorIyEyEEDaPvRmT3_T4_T5_mT6_P12ihipStream_tbENKUlT_T0_E_clISt17integral_constantIbLb0EESU_EEDaSP_SQ_EUlSP_E_NS1_11comp_targetILNS1_3genE10ELNS1_11target_archE1200ELNS1_3gpuE4ELNS1_3repE0EEENS1_30default_config_static_selectorELNS0_4arch9wavefront6targetE1EEEvT1_ ; -- Begin function _ZN7rocprim17ROCPRIM_400000_NS6detail17trampoline_kernelINS0_14default_configENS1_20scan_config_selectorIyEEZZNS1_9scan_implILNS1_25lookback_scan_determinismE0ELb1ELb1ES3_N6thrust23THRUST_200600_302600_NS6detail15normal_iteratorINS9_10device_ptrIyEEEESE_y11max_functorIyEyEEDaPvRmT3_T4_T5_mT6_P12ihipStream_tbENKUlT_T0_E_clISt17integral_constantIbLb0EESU_EEDaSP_SQ_EUlSP_E_NS1_11comp_targetILNS1_3genE10ELNS1_11target_archE1200ELNS1_3gpuE4ELNS1_3repE0EEENS1_30default_config_static_selectorELNS0_4arch9wavefront6targetE1EEEvT1_
	.globl	_ZN7rocprim17ROCPRIM_400000_NS6detail17trampoline_kernelINS0_14default_configENS1_20scan_config_selectorIyEEZZNS1_9scan_implILNS1_25lookback_scan_determinismE0ELb1ELb1ES3_N6thrust23THRUST_200600_302600_NS6detail15normal_iteratorINS9_10device_ptrIyEEEESE_y11max_functorIyEyEEDaPvRmT3_T4_T5_mT6_P12ihipStream_tbENKUlT_T0_E_clISt17integral_constantIbLb0EESU_EEDaSP_SQ_EUlSP_E_NS1_11comp_targetILNS1_3genE10ELNS1_11target_archE1200ELNS1_3gpuE4ELNS1_3repE0EEENS1_30default_config_static_selectorELNS0_4arch9wavefront6targetE1EEEvT1_
	.p2align	8
	.type	_ZN7rocprim17ROCPRIM_400000_NS6detail17trampoline_kernelINS0_14default_configENS1_20scan_config_selectorIyEEZZNS1_9scan_implILNS1_25lookback_scan_determinismE0ELb1ELb1ES3_N6thrust23THRUST_200600_302600_NS6detail15normal_iteratorINS9_10device_ptrIyEEEESE_y11max_functorIyEyEEDaPvRmT3_T4_T5_mT6_P12ihipStream_tbENKUlT_T0_E_clISt17integral_constantIbLb0EESU_EEDaSP_SQ_EUlSP_E_NS1_11comp_targetILNS1_3genE10ELNS1_11target_archE1200ELNS1_3gpuE4ELNS1_3repE0EEENS1_30default_config_static_selectorELNS0_4arch9wavefront6targetE1EEEvT1_,@function
_ZN7rocprim17ROCPRIM_400000_NS6detail17trampoline_kernelINS0_14default_configENS1_20scan_config_selectorIyEEZZNS1_9scan_implILNS1_25lookback_scan_determinismE0ELb1ELb1ES3_N6thrust23THRUST_200600_302600_NS6detail15normal_iteratorINS9_10device_ptrIyEEEESE_y11max_functorIyEyEEDaPvRmT3_T4_T5_mT6_P12ihipStream_tbENKUlT_T0_E_clISt17integral_constantIbLb0EESU_EEDaSP_SQ_EUlSP_E_NS1_11comp_targetILNS1_3genE10ELNS1_11target_archE1200ELNS1_3gpuE4ELNS1_3repE0EEENS1_30default_config_static_selectorELNS0_4arch9wavefront6targetE1EEEvT1_: ; @_ZN7rocprim17ROCPRIM_400000_NS6detail17trampoline_kernelINS0_14default_configENS1_20scan_config_selectorIyEEZZNS1_9scan_implILNS1_25lookback_scan_determinismE0ELb1ELb1ES3_N6thrust23THRUST_200600_302600_NS6detail15normal_iteratorINS9_10device_ptrIyEEEESE_y11max_functorIyEyEEDaPvRmT3_T4_T5_mT6_P12ihipStream_tbENKUlT_T0_E_clISt17integral_constantIbLb0EESU_EEDaSP_SQ_EUlSP_E_NS1_11comp_targetILNS1_3genE10ELNS1_11target_archE1200ELNS1_3gpuE4ELNS1_3repE0EEENS1_30default_config_static_selectorELNS0_4arch9wavefront6targetE1EEEvT1_
; %bb.0:
	.section	.rodata,"a",@progbits
	.p2align	6, 0x0
	.amdhsa_kernel _ZN7rocprim17ROCPRIM_400000_NS6detail17trampoline_kernelINS0_14default_configENS1_20scan_config_selectorIyEEZZNS1_9scan_implILNS1_25lookback_scan_determinismE0ELb1ELb1ES3_N6thrust23THRUST_200600_302600_NS6detail15normal_iteratorINS9_10device_ptrIyEEEESE_y11max_functorIyEyEEDaPvRmT3_T4_T5_mT6_P12ihipStream_tbENKUlT_T0_E_clISt17integral_constantIbLb0EESU_EEDaSP_SQ_EUlSP_E_NS1_11comp_targetILNS1_3genE10ELNS1_11target_archE1200ELNS1_3gpuE4ELNS1_3repE0EEENS1_30default_config_static_selectorELNS0_4arch9wavefront6targetE1EEEvT1_
		.amdhsa_group_segment_fixed_size 0
		.amdhsa_private_segment_fixed_size 0
		.amdhsa_kernarg_size 104
		.amdhsa_user_sgpr_count 6
		.amdhsa_user_sgpr_private_segment_buffer 1
		.amdhsa_user_sgpr_dispatch_ptr 0
		.amdhsa_user_sgpr_queue_ptr 0
		.amdhsa_user_sgpr_kernarg_segment_ptr 1
		.amdhsa_user_sgpr_dispatch_id 0
		.amdhsa_user_sgpr_flat_scratch_init 0
		.amdhsa_user_sgpr_kernarg_preload_length 0
		.amdhsa_user_sgpr_kernarg_preload_offset 0
		.amdhsa_user_sgpr_private_segment_size 0
		.amdhsa_uses_dynamic_stack 0
		.amdhsa_system_sgpr_private_segment_wavefront_offset 0
		.amdhsa_system_sgpr_workgroup_id_x 1
		.amdhsa_system_sgpr_workgroup_id_y 0
		.amdhsa_system_sgpr_workgroup_id_z 0
		.amdhsa_system_sgpr_workgroup_info 0
		.amdhsa_system_vgpr_workitem_id 0
		.amdhsa_next_free_vgpr 1
		.amdhsa_next_free_sgpr 0
		.amdhsa_accum_offset 4
		.amdhsa_reserve_vcc 0
		.amdhsa_reserve_flat_scratch 0
		.amdhsa_float_round_mode_32 0
		.amdhsa_float_round_mode_16_64 0
		.amdhsa_float_denorm_mode_32 3
		.amdhsa_float_denorm_mode_16_64 3
		.amdhsa_dx10_clamp 1
		.amdhsa_ieee_mode 1
		.amdhsa_fp16_overflow 0
		.amdhsa_tg_split 0
		.amdhsa_exception_fp_ieee_invalid_op 0
		.amdhsa_exception_fp_denorm_src 0
		.amdhsa_exception_fp_ieee_div_zero 0
		.amdhsa_exception_fp_ieee_overflow 0
		.amdhsa_exception_fp_ieee_underflow 0
		.amdhsa_exception_fp_ieee_inexact 0
		.amdhsa_exception_int_div_zero 0
	.end_amdhsa_kernel
	.section	.text._ZN7rocprim17ROCPRIM_400000_NS6detail17trampoline_kernelINS0_14default_configENS1_20scan_config_selectorIyEEZZNS1_9scan_implILNS1_25lookback_scan_determinismE0ELb1ELb1ES3_N6thrust23THRUST_200600_302600_NS6detail15normal_iteratorINS9_10device_ptrIyEEEESE_y11max_functorIyEyEEDaPvRmT3_T4_T5_mT6_P12ihipStream_tbENKUlT_T0_E_clISt17integral_constantIbLb0EESU_EEDaSP_SQ_EUlSP_E_NS1_11comp_targetILNS1_3genE10ELNS1_11target_archE1200ELNS1_3gpuE4ELNS1_3repE0EEENS1_30default_config_static_selectorELNS0_4arch9wavefront6targetE1EEEvT1_,"axG",@progbits,_ZN7rocprim17ROCPRIM_400000_NS6detail17trampoline_kernelINS0_14default_configENS1_20scan_config_selectorIyEEZZNS1_9scan_implILNS1_25lookback_scan_determinismE0ELb1ELb1ES3_N6thrust23THRUST_200600_302600_NS6detail15normal_iteratorINS9_10device_ptrIyEEEESE_y11max_functorIyEyEEDaPvRmT3_T4_T5_mT6_P12ihipStream_tbENKUlT_T0_E_clISt17integral_constantIbLb0EESU_EEDaSP_SQ_EUlSP_E_NS1_11comp_targetILNS1_3genE10ELNS1_11target_archE1200ELNS1_3gpuE4ELNS1_3repE0EEENS1_30default_config_static_selectorELNS0_4arch9wavefront6targetE1EEEvT1_,comdat
.Lfunc_end2178:
	.size	_ZN7rocprim17ROCPRIM_400000_NS6detail17trampoline_kernelINS0_14default_configENS1_20scan_config_selectorIyEEZZNS1_9scan_implILNS1_25lookback_scan_determinismE0ELb1ELb1ES3_N6thrust23THRUST_200600_302600_NS6detail15normal_iteratorINS9_10device_ptrIyEEEESE_y11max_functorIyEyEEDaPvRmT3_T4_T5_mT6_P12ihipStream_tbENKUlT_T0_E_clISt17integral_constantIbLb0EESU_EEDaSP_SQ_EUlSP_E_NS1_11comp_targetILNS1_3genE10ELNS1_11target_archE1200ELNS1_3gpuE4ELNS1_3repE0EEENS1_30default_config_static_selectorELNS0_4arch9wavefront6targetE1EEEvT1_, .Lfunc_end2178-_ZN7rocprim17ROCPRIM_400000_NS6detail17trampoline_kernelINS0_14default_configENS1_20scan_config_selectorIyEEZZNS1_9scan_implILNS1_25lookback_scan_determinismE0ELb1ELb1ES3_N6thrust23THRUST_200600_302600_NS6detail15normal_iteratorINS9_10device_ptrIyEEEESE_y11max_functorIyEyEEDaPvRmT3_T4_T5_mT6_P12ihipStream_tbENKUlT_T0_E_clISt17integral_constantIbLb0EESU_EEDaSP_SQ_EUlSP_E_NS1_11comp_targetILNS1_3genE10ELNS1_11target_archE1200ELNS1_3gpuE4ELNS1_3repE0EEENS1_30default_config_static_selectorELNS0_4arch9wavefront6targetE1EEEvT1_
                                        ; -- End function
	.section	.AMDGPU.csdata,"",@progbits
; Kernel info:
; codeLenInByte = 0
; NumSgprs: 4
; NumVgprs: 0
; NumAgprs: 0
; TotalNumVgprs: 0
; ScratchSize: 0
; MemoryBound: 0
; FloatMode: 240
; IeeeMode: 1
; LDSByteSize: 0 bytes/workgroup (compile time only)
; SGPRBlocks: 0
; VGPRBlocks: 0
; NumSGPRsForWavesPerEU: 4
; NumVGPRsForWavesPerEU: 1
; AccumOffset: 4
; Occupancy: 8
; WaveLimiterHint : 0
; COMPUTE_PGM_RSRC2:SCRATCH_EN: 0
; COMPUTE_PGM_RSRC2:USER_SGPR: 6
; COMPUTE_PGM_RSRC2:TRAP_HANDLER: 0
; COMPUTE_PGM_RSRC2:TGID_X_EN: 1
; COMPUTE_PGM_RSRC2:TGID_Y_EN: 0
; COMPUTE_PGM_RSRC2:TGID_Z_EN: 0
; COMPUTE_PGM_RSRC2:TIDIG_COMP_CNT: 0
; COMPUTE_PGM_RSRC3_GFX90A:ACCUM_OFFSET: 0
; COMPUTE_PGM_RSRC3_GFX90A:TG_SPLIT: 0
	.section	.text._ZN7rocprim17ROCPRIM_400000_NS6detail17trampoline_kernelINS0_14default_configENS1_20scan_config_selectorIyEEZZNS1_9scan_implILNS1_25lookback_scan_determinismE0ELb1ELb1ES3_N6thrust23THRUST_200600_302600_NS6detail15normal_iteratorINS9_10device_ptrIyEEEESE_y11max_functorIyEyEEDaPvRmT3_T4_T5_mT6_P12ihipStream_tbENKUlT_T0_E_clISt17integral_constantIbLb0EESU_EEDaSP_SQ_EUlSP_E_NS1_11comp_targetILNS1_3genE9ELNS1_11target_archE1100ELNS1_3gpuE3ELNS1_3repE0EEENS1_30default_config_static_selectorELNS0_4arch9wavefront6targetE1EEEvT1_,"axG",@progbits,_ZN7rocprim17ROCPRIM_400000_NS6detail17trampoline_kernelINS0_14default_configENS1_20scan_config_selectorIyEEZZNS1_9scan_implILNS1_25lookback_scan_determinismE0ELb1ELb1ES3_N6thrust23THRUST_200600_302600_NS6detail15normal_iteratorINS9_10device_ptrIyEEEESE_y11max_functorIyEyEEDaPvRmT3_T4_T5_mT6_P12ihipStream_tbENKUlT_T0_E_clISt17integral_constantIbLb0EESU_EEDaSP_SQ_EUlSP_E_NS1_11comp_targetILNS1_3genE9ELNS1_11target_archE1100ELNS1_3gpuE3ELNS1_3repE0EEENS1_30default_config_static_selectorELNS0_4arch9wavefront6targetE1EEEvT1_,comdat
	.protected	_ZN7rocprim17ROCPRIM_400000_NS6detail17trampoline_kernelINS0_14default_configENS1_20scan_config_selectorIyEEZZNS1_9scan_implILNS1_25lookback_scan_determinismE0ELb1ELb1ES3_N6thrust23THRUST_200600_302600_NS6detail15normal_iteratorINS9_10device_ptrIyEEEESE_y11max_functorIyEyEEDaPvRmT3_T4_T5_mT6_P12ihipStream_tbENKUlT_T0_E_clISt17integral_constantIbLb0EESU_EEDaSP_SQ_EUlSP_E_NS1_11comp_targetILNS1_3genE9ELNS1_11target_archE1100ELNS1_3gpuE3ELNS1_3repE0EEENS1_30default_config_static_selectorELNS0_4arch9wavefront6targetE1EEEvT1_ ; -- Begin function _ZN7rocprim17ROCPRIM_400000_NS6detail17trampoline_kernelINS0_14default_configENS1_20scan_config_selectorIyEEZZNS1_9scan_implILNS1_25lookback_scan_determinismE0ELb1ELb1ES3_N6thrust23THRUST_200600_302600_NS6detail15normal_iteratorINS9_10device_ptrIyEEEESE_y11max_functorIyEyEEDaPvRmT3_T4_T5_mT6_P12ihipStream_tbENKUlT_T0_E_clISt17integral_constantIbLb0EESU_EEDaSP_SQ_EUlSP_E_NS1_11comp_targetILNS1_3genE9ELNS1_11target_archE1100ELNS1_3gpuE3ELNS1_3repE0EEENS1_30default_config_static_selectorELNS0_4arch9wavefront6targetE1EEEvT1_
	.globl	_ZN7rocprim17ROCPRIM_400000_NS6detail17trampoline_kernelINS0_14default_configENS1_20scan_config_selectorIyEEZZNS1_9scan_implILNS1_25lookback_scan_determinismE0ELb1ELb1ES3_N6thrust23THRUST_200600_302600_NS6detail15normal_iteratorINS9_10device_ptrIyEEEESE_y11max_functorIyEyEEDaPvRmT3_T4_T5_mT6_P12ihipStream_tbENKUlT_T0_E_clISt17integral_constantIbLb0EESU_EEDaSP_SQ_EUlSP_E_NS1_11comp_targetILNS1_3genE9ELNS1_11target_archE1100ELNS1_3gpuE3ELNS1_3repE0EEENS1_30default_config_static_selectorELNS0_4arch9wavefront6targetE1EEEvT1_
	.p2align	8
	.type	_ZN7rocprim17ROCPRIM_400000_NS6detail17trampoline_kernelINS0_14default_configENS1_20scan_config_selectorIyEEZZNS1_9scan_implILNS1_25lookback_scan_determinismE0ELb1ELb1ES3_N6thrust23THRUST_200600_302600_NS6detail15normal_iteratorINS9_10device_ptrIyEEEESE_y11max_functorIyEyEEDaPvRmT3_T4_T5_mT6_P12ihipStream_tbENKUlT_T0_E_clISt17integral_constantIbLb0EESU_EEDaSP_SQ_EUlSP_E_NS1_11comp_targetILNS1_3genE9ELNS1_11target_archE1100ELNS1_3gpuE3ELNS1_3repE0EEENS1_30default_config_static_selectorELNS0_4arch9wavefront6targetE1EEEvT1_,@function
_ZN7rocprim17ROCPRIM_400000_NS6detail17trampoline_kernelINS0_14default_configENS1_20scan_config_selectorIyEEZZNS1_9scan_implILNS1_25lookback_scan_determinismE0ELb1ELb1ES3_N6thrust23THRUST_200600_302600_NS6detail15normal_iteratorINS9_10device_ptrIyEEEESE_y11max_functorIyEyEEDaPvRmT3_T4_T5_mT6_P12ihipStream_tbENKUlT_T0_E_clISt17integral_constantIbLb0EESU_EEDaSP_SQ_EUlSP_E_NS1_11comp_targetILNS1_3genE9ELNS1_11target_archE1100ELNS1_3gpuE3ELNS1_3repE0EEENS1_30default_config_static_selectorELNS0_4arch9wavefront6targetE1EEEvT1_: ; @_ZN7rocprim17ROCPRIM_400000_NS6detail17trampoline_kernelINS0_14default_configENS1_20scan_config_selectorIyEEZZNS1_9scan_implILNS1_25lookback_scan_determinismE0ELb1ELb1ES3_N6thrust23THRUST_200600_302600_NS6detail15normal_iteratorINS9_10device_ptrIyEEEESE_y11max_functorIyEyEEDaPvRmT3_T4_T5_mT6_P12ihipStream_tbENKUlT_T0_E_clISt17integral_constantIbLb0EESU_EEDaSP_SQ_EUlSP_E_NS1_11comp_targetILNS1_3genE9ELNS1_11target_archE1100ELNS1_3gpuE3ELNS1_3repE0EEENS1_30default_config_static_selectorELNS0_4arch9wavefront6targetE1EEEvT1_
; %bb.0:
	.section	.rodata,"a",@progbits
	.p2align	6, 0x0
	.amdhsa_kernel _ZN7rocprim17ROCPRIM_400000_NS6detail17trampoline_kernelINS0_14default_configENS1_20scan_config_selectorIyEEZZNS1_9scan_implILNS1_25lookback_scan_determinismE0ELb1ELb1ES3_N6thrust23THRUST_200600_302600_NS6detail15normal_iteratorINS9_10device_ptrIyEEEESE_y11max_functorIyEyEEDaPvRmT3_T4_T5_mT6_P12ihipStream_tbENKUlT_T0_E_clISt17integral_constantIbLb0EESU_EEDaSP_SQ_EUlSP_E_NS1_11comp_targetILNS1_3genE9ELNS1_11target_archE1100ELNS1_3gpuE3ELNS1_3repE0EEENS1_30default_config_static_selectorELNS0_4arch9wavefront6targetE1EEEvT1_
		.amdhsa_group_segment_fixed_size 0
		.amdhsa_private_segment_fixed_size 0
		.amdhsa_kernarg_size 104
		.amdhsa_user_sgpr_count 6
		.amdhsa_user_sgpr_private_segment_buffer 1
		.amdhsa_user_sgpr_dispatch_ptr 0
		.amdhsa_user_sgpr_queue_ptr 0
		.amdhsa_user_sgpr_kernarg_segment_ptr 1
		.amdhsa_user_sgpr_dispatch_id 0
		.amdhsa_user_sgpr_flat_scratch_init 0
		.amdhsa_user_sgpr_kernarg_preload_length 0
		.amdhsa_user_sgpr_kernarg_preload_offset 0
		.amdhsa_user_sgpr_private_segment_size 0
		.amdhsa_uses_dynamic_stack 0
		.amdhsa_system_sgpr_private_segment_wavefront_offset 0
		.amdhsa_system_sgpr_workgroup_id_x 1
		.amdhsa_system_sgpr_workgroup_id_y 0
		.amdhsa_system_sgpr_workgroup_id_z 0
		.amdhsa_system_sgpr_workgroup_info 0
		.amdhsa_system_vgpr_workitem_id 0
		.amdhsa_next_free_vgpr 1
		.amdhsa_next_free_sgpr 0
		.amdhsa_accum_offset 4
		.amdhsa_reserve_vcc 0
		.amdhsa_reserve_flat_scratch 0
		.amdhsa_float_round_mode_32 0
		.amdhsa_float_round_mode_16_64 0
		.amdhsa_float_denorm_mode_32 3
		.amdhsa_float_denorm_mode_16_64 3
		.amdhsa_dx10_clamp 1
		.amdhsa_ieee_mode 1
		.amdhsa_fp16_overflow 0
		.amdhsa_tg_split 0
		.amdhsa_exception_fp_ieee_invalid_op 0
		.amdhsa_exception_fp_denorm_src 0
		.amdhsa_exception_fp_ieee_div_zero 0
		.amdhsa_exception_fp_ieee_overflow 0
		.amdhsa_exception_fp_ieee_underflow 0
		.amdhsa_exception_fp_ieee_inexact 0
		.amdhsa_exception_int_div_zero 0
	.end_amdhsa_kernel
	.section	.text._ZN7rocprim17ROCPRIM_400000_NS6detail17trampoline_kernelINS0_14default_configENS1_20scan_config_selectorIyEEZZNS1_9scan_implILNS1_25lookback_scan_determinismE0ELb1ELb1ES3_N6thrust23THRUST_200600_302600_NS6detail15normal_iteratorINS9_10device_ptrIyEEEESE_y11max_functorIyEyEEDaPvRmT3_T4_T5_mT6_P12ihipStream_tbENKUlT_T0_E_clISt17integral_constantIbLb0EESU_EEDaSP_SQ_EUlSP_E_NS1_11comp_targetILNS1_3genE9ELNS1_11target_archE1100ELNS1_3gpuE3ELNS1_3repE0EEENS1_30default_config_static_selectorELNS0_4arch9wavefront6targetE1EEEvT1_,"axG",@progbits,_ZN7rocprim17ROCPRIM_400000_NS6detail17trampoline_kernelINS0_14default_configENS1_20scan_config_selectorIyEEZZNS1_9scan_implILNS1_25lookback_scan_determinismE0ELb1ELb1ES3_N6thrust23THRUST_200600_302600_NS6detail15normal_iteratorINS9_10device_ptrIyEEEESE_y11max_functorIyEyEEDaPvRmT3_T4_T5_mT6_P12ihipStream_tbENKUlT_T0_E_clISt17integral_constantIbLb0EESU_EEDaSP_SQ_EUlSP_E_NS1_11comp_targetILNS1_3genE9ELNS1_11target_archE1100ELNS1_3gpuE3ELNS1_3repE0EEENS1_30default_config_static_selectorELNS0_4arch9wavefront6targetE1EEEvT1_,comdat
.Lfunc_end2179:
	.size	_ZN7rocprim17ROCPRIM_400000_NS6detail17trampoline_kernelINS0_14default_configENS1_20scan_config_selectorIyEEZZNS1_9scan_implILNS1_25lookback_scan_determinismE0ELb1ELb1ES3_N6thrust23THRUST_200600_302600_NS6detail15normal_iteratorINS9_10device_ptrIyEEEESE_y11max_functorIyEyEEDaPvRmT3_T4_T5_mT6_P12ihipStream_tbENKUlT_T0_E_clISt17integral_constantIbLb0EESU_EEDaSP_SQ_EUlSP_E_NS1_11comp_targetILNS1_3genE9ELNS1_11target_archE1100ELNS1_3gpuE3ELNS1_3repE0EEENS1_30default_config_static_selectorELNS0_4arch9wavefront6targetE1EEEvT1_, .Lfunc_end2179-_ZN7rocprim17ROCPRIM_400000_NS6detail17trampoline_kernelINS0_14default_configENS1_20scan_config_selectorIyEEZZNS1_9scan_implILNS1_25lookback_scan_determinismE0ELb1ELb1ES3_N6thrust23THRUST_200600_302600_NS6detail15normal_iteratorINS9_10device_ptrIyEEEESE_y11max_functorIyEyEEDaPvRmT3_T4_T5_mT6_P12ihipStream_tbENKUlT_T0_E_clISt17integral_constantIbLb0EESU_EEDaSP_SQ_EUlSP_E_NS1_11comp_targetILNS1_3genE9ELNS1_11target_archE1100ELNS1_3gpuE3ELNS1_3repE0EEENS1_30default_config_static_selectorELNS0_4arch9wavefront6targetE1EEEvT1_
                                        ; -- End function
	.section	.AMDGPU.csdata,"",@progbits
; Kernel info:
; codeLenInByte = 0
; NumSgprs: 4
; NumVgprs: 0
; NumAgprs: 0
; TotalNumVgprs: 0
; ScratchSize: 0
; MemoryBound: 0
; FloatMode: 240
; IeeeMode: 1
; LDSByteSize: 0 bytes/workgroup (compile time only)
; SGPRBlocks: 0
; VGPRBlocks: 0
; NumSGPRsForWavesPerEU: 4
; NumVGPRsForWavesPerEU: 1
; AccumOffset: 4
; Occupancy: 8
; WaveLimiterHint : 0
; COMPUTE_PGM_RSRC2:SCRATCH_EN: 0
; COMPUTE_PGM_RSRC2:USER_SGPR: 6
; COMPUTE_PGM_RSRC2:TRAP_HANDLER: 0
; COMPUTE_PGM_RSRC2:TGID_X_EN: 1
; COMPUTE_PGM_RSRC2:TGID_Y_EN: 0
; COMPUTE_PGM_RSRC2:TGID_Z_EN: 0
; COMPUTE_PGM_RSRC2:TIDIG_COMP_CNT: 0
; COMPUTE_PGM_RSRC3_GFX90A:ACCUM_OFFSET: 0
; COMPUTE_PGM_RSRC3_GFX90A:TG_SPLIT: 0
	.section	.text._ZN7rocprim17ROCPRIM_400000_NS6detail17trampoline_kernelINS0_14default_configENS1_20scan_config_selectorIyEEZZNS1_9scan_implILNS1_25lookback_scan_determinismE0ELb1ELb1ES3_N6thrust23THRUST_200600_302600_NS6detail15normal_iteratorINS9_10device_ptrIyEEEESE_y11max_functorIyEyEEDaPvRmT3_T4_T5_mT6_P12ihipStream_tbENKUlT_T0_E_clISt17integral_constantIbLb0EESU_EEDaSP_SQ_EUlSP_E_NS1_11comp_targetILNS1_3genE8ELNS1_11target_archE1030ELNS1_3gpuE2ELNS1_3repE0EEENS1_30default_config_static_selectorELNS0_4arch9wavefront6targetE1EEEvT1_,"axG",@progbits,_ZN7rocprim17ROCPRIM_400000_NS6detail17trampoline_kernelINS0_14default_configENS1_20scan_config_selectorIyEEZZNS1_9scan_implILNS1_25lookback_scan_determinismE0ELb1ELb1ES3_N6thrust23THRUST_200600_302600_NS6detail15normal_iteratorINS9_10device_ptrIyEEEESE_y11max_functorIyEyEEDaPvRmT3_T4_T5_mT6_P12ihipStream_tbENKUlT_T0_E_clISt17integral_constantIbLb0EESU_EEDaSP_SQ_EUlSP_E_NS1_11comp_targetILNS1_3genE8ELNS1_11target_archE1030ELNS1_3gpuE2ELNS1_3repE0EEENS1_30default_config_static_selectorELNS0_4arch9wavefront6targetE1EEEvT1_,comdat
	.protected	_ZN7rocprim17ROCPRIM_400000_NS6detail17trampoline_kernelINS0_14default_configENS1_20scan_config_selectorIyEEZZNS1_9scan_implILNS1_25lookback_scan_determinismE0ELb1ELb1ES3_N6thrust23THRUST_200600_302600_NS6detail15normal_iteratorINS9_10device_ptrIyEEEESE_y11max_functorIyEyEEDaPvRmT3_T4_T5_mT6_P12ihipStream_tbENKUlT_T0_E_clISt17integral_constantIbLb0EESU_EEDaSP_SQ_EUlSP_E_NS1_11comp_targetILNS1_3genE8ELNS1_11target_archE1030ELNS1_3gpuE2ELNS1_3repE0EEENS1_30default_config_static_selectorELNS0_4arch9wavefront6targetE1EEEvT1_ ; -- Begin function _ZN7rocprim17ROCPRIM_400000_NS6detail17trampoline_kernelINS0_14default_configENS1_20scan_config_selectorIyEEZZNS1_9scan_implILNS1_25lookback_scan_determinismE0ELb1ELb1ES3_N6thrust23THRUST_200600_302600_NS6detail15normal_iteratorINS9_10device_ptrIyEEEESE_y11max_functorIyEyEEDaPvRmT3_T4_T5_mT6_P12ihipStream_tbENKUlT_T0_E_clISt17integral_constantIbLb0EESU_EEDaSP_SQ_EUlSP_E_NS1_11comp_targetILNS1_3genE8ELNS1_11target_archE1030ELNS1_3gpuE2ELNS1_3repE0EEENS1_30default_config_static_selectorELNS0_4arch9wavefront6targetE1EEEvT1_
	.globl	_ZN7rocprim17ROCPRIM_400000_NS6detail17trampoline_kernelINS0_14default_configENS1_20scan_config_selectorIyEEZZNS1_9scan_implILNS1_25lookback_scan_determinismE0ELb1ELb1ES3_N6thrust23THRUST_200600_302600_NS6detail15normal_iteratorINS9_10device_ptrIyEEEESE_y11max_functorIyEyEEDaPvRmT3_T4_T5_mT6_P12ihipStream_tbENKUlT_T0_E_clISt17integral_constantIbLb0EESU_EEDaSP_SQ_EUlSP_E_NS1_11comp_targetILNS1_3genE8ELNS1_11target_archE1030ELNS1_3gpuE2ELNS1_3repE0EEENS1_30default_config_static_selectorELNS0_4arch9wavefront6targetE1EEEvT1_
	.p2align	8
	.type	_ZN7rocprim17ROCPRIM_400000_NS6detail17trampoline_kernelINS0_14default_configENS1_20scan_config_selectorIyEEZZNS1_9scan_implILNS1_25lookback_scan_determinismE0ELb1ELb1ES3_N6thrust23THRUST_200600_302600_NS6detail15normal_iteratorINS9_10device_ptrIyEEEESE_y11max_functorIyEyEEDaPvRmT3_T4_T5_mT6_P12ihipStream_tbENKUlT_T0_E_clISt17integral_constantIbLb0EESU_EEDaSP_SQ_EUlSP_E_NS1_11comp_targetILNS1_3genE8ELNS1_11target_archE1030ELNS1_3gpuE2ELNS1_3repE0EEENS1_30default_config_static_selectorELNS0_4arch9wavefront6targetE1EEEvT1_,@function
_ZN7rocprim17ROCPRIM_400000_NS6detail17trampoline_kernelINS0_14default_configENS1_20scan_config_selectorIyEEZZNS1_9scan_implILNS1_25lookback_scan_determinismE0ELb1ELb1ES3_N6thrust23THRUST_200600_302600_NS6detail15normal_iteratorINS9_10device_ptrIyEEEESE_y11max_functorIyEyEEDaPvRmT3_T4_T5_mT6_P12ihipStream_tbENKUlT_T0_E_clISt17integral_constantIbLb0EESU_EEDaSP_SQ_EUlSP_E_NS1_11comp_targetILNS1_3genE8ELNS1_11target_archE1030ELNS1_3gpuE2ELNS1_3repE0EEENS1_30default_config_static_selectorELNS0_4arch9wavefront6targetE1EEEvT1_: ; @_ZN7rocprim17ROCPRIM_400000_NS6detail17trampoline_kernelINS0_14default_configENS1_20scan_config_selectorIyEEZZNS1_9scan_implILNS1_25lookback_scan_determinismE0ELb1ELb1ES3_N6thrust23THRUST_200600_302600_NS6detail15normal_iteratorINS9_10device_ptrIyEEEESE_y11max_functorIyEyEEDaPvRmT3_T4_T5_mT6_P12ihipStream_tbENKUlT_T0_E_clISt17integral_constantIbLb0EESU_EEDaSP_SQ_EUlSP_E_NS1_11comp_targetILNS1_3genE8ELNS1_11target_archE1030ELNS1_3gpuE2ELNS1_3repE0EEENS1_30default_config_static_selectorELNS0_4arch9wavefront6targetE1EEEvT1_
; %bb.0:
	.section	.rodata,"a",@progbits
	.p2align	6, 0x0
	.amdhsa_kernel _ZN7rocprim17ROCPRIM_400000_NS6detail17trampoline_kernelINS0_14default_configENS1_20scan_config_selectorIyEEZZNS1_9scan_implILNS1_25lookback_scan_determinismE0ELb1ELb1ES3_N6thrust23THRUST_200600_302600_NS6detail15normal_iteratorINS9_10device_ptrIyEEEESE_y11max_functorIyEyEEDaPvRmT3_T4_T5_mT6_P12ihipStream_tbENKUlT_T0_E_clISt17integral_constantIbLb0EESU_EEDaSP_SQ_EUlSP_E_NS1_11comp_targetILNS1_3genE8ELNS1_11target_archE1030ELNS1_3gpuE2ELNS1_3repE0EEENS1_30default_config_static_selectorELNS0_4arch9wavefront6targetE1EEEvT1_
		.amdhsa_group_segment_fixed_size 0
		.amdhsa_private_segment_fixed_size 0
		.amdhsa_kernarg_size 104
		.amdhsa_user_sgpr_count 6
		.amdhsa_user_sgpr_private_segment_buffer 1
		.amdhsa_user_sgpr_dispatch_ptr 0
		.amdhsa_user_sgpr_queue_ptr 0
		.amdhsa_user_sgpr_kernarg_segment_ptr 1
		.amdhsa_user_sgpr_dispatch_id 0
		.amdhsa_user_sgpr_flat_scratch_init 0
		.amdhsa_user_sgpr_kernarg_preload_length 0
		.amdhsa_user_sgpr_kernarg_preload_offset 0
		.amdhsa_user_sgpr_private_segment_size 0
		.amdhsa_uses_dynamic_stack 0
		.amdhsa_system_sgpr_private_segment_wavefront_offset 0
		.amdhsa_system_sgpr_workgroup_id_x 1
		.amdhsa_system_sgpr_workgroup_id_y 0
		.amdhsa_system_sgpr_workgroup_id_z 0
		.amdhsa_system_sgpr_workgroup_info 0
		.amdhsa_system_vgpr_workitem_id 0
		.amdhsa_next_free_vgpr 1
		.amdhsa_next_free_sgpr 0
		.amdhsa_accum_offset 4
		.amdhsa_reserve_vcc 0
		.amdhsa_reserve_flat_scratch 0
		.amdhsa_float_round_mode_32 0
		.amdhsa_float_round_mode_16_64 0
		.amdhsa_float_denorm_mode_32 3
		.amdhsa_float_denorm_mode_16_64 3
		.amdhsa_dx10_clamp 1
		.amdhsa_ieee_mode 1
		.amdhsa_fp16_overflow 0
		.amdhsa_tg_split 0
		.amdhsa_exception_fp_ieee_invalid_op 0
		.amdhsa_exception_fp_denorm_src 0
		.amdhsa_exception_fp_ieee_div_zero 0
		.amdhsa_exception_fp_ieee_overflow 0
		.amdhsa_exception_fp_ieee_underflow 0
		.amdhsa_exception_fp_ieee_inexact 0
		.amdhsa_exception_int_div_zero 0
	.end_amdhsa_kernel
	.section	.text._ZN7rocprim17ROCPRIM_400000_NS6detail17trampoline_kernelINS0_14default_configENS1_20scan_config_selectorIyEEZZNS1_9scan_implILNS1_25lookback_scan_determinismE0ELb1ELb1ES3_N6thrust23THRUST_200600_302600_NS6detail15normal_iteratorINS9_10device_ptrIyEEEESE_y11max_functorIyEyEEDaPvRmT3_T4_T5_mT6_P12ihipStream_tbENKUlT_T0_E_clISt17integral_constantIbLb0EESU_EEDaSP_SQ_EUlSP_E_NS1_11comp_targetILNS1_3genE8ELNS1_11target_archE1030ELNS1_3gpuE2ELNS1_3repE0EEENS1_30default_config_static_selectorELNS0_4arch9wavefront6targetE1EEEvT1_,"axG",@progbits,_ZN7rocprim17ROCPRIM_400000_NS6detail17trampoline_kernelINS0_14default_configENS1_20scan_config_selectorIyEEZZNS1_9scan_implILNS1_25lookback_scan_determinismE0ELb1ELb1ES3_N6thrust23THRUST_200600_302600_NS6detail15normal_iteratorINS9_10device_ptrIyEEEESE_y11max_functorIyEyEEDaPvRmT3_T4_T5_mT6_P12ihipStream_tbENKUlT_T0_E_clISt17integral_constantIbLb0EESU_EEDaSP_SQ_EUlSP_E_NS1_11comp_targetILNS1_3genE8ELNS1_11target_archE1030ELNS1_3gpuE2ELNS1_3repE0EEENS1_30default_config_static_selectorELNS0_4arch9wavefront6targetE1EEEvT1_,comdat
.Lfunc_end2180:
	.size	_ZN7rocprim17ROCPRIM_400000_NS6detail17trampoline_kernelINS0_14default_configENS1_20scan_config_selectorIyEEZZNS1_9scan_implILNS1_25lookback_scan_determinismE0ELb1ELb1ES3_N6thrust23THRUST_200600_302600_NS6detail15normal_iteratorINS9_10device_ptrIyEEEESE_y11max_functorIyEyEEDaPvRmT3_T4_T5_mT6_P12ihipStream_tbENKUlT_T0_E_clISt17integral_constantIbLb0EESU_EEDaSP_SQ_EUlSP_E_NS1_11comp_targetILNS1_3genE8ELNS1_11target_archE1030ELNS1_3gpuE2ELNS1_3repE0EEENS1_30default_config_static_selectorELNS0_4arch9wavefront6targetE1EEEvT1_, .Lfunc_end2180-_ZN7rocprim17ROCPRIM_400000_NS6detail17trampoline_kernelINS0_14default_configENS1_20scan_config_selectorIyEEZZNS1_9scan_implILNS1_25lookback_scan_determinismE0ELb1ELb1ES3_N6thrust23THRUST_200600_302600_NS6detail15normal_iteratorINS9_10device_ptrIyEEEESE_y11max_functorIyEyEEDaPvRmT3_T4_T5_mT6_P12ihipStream_tbENKUlT_T0_E_clISt17integral_constantIbLb0EESU_EEDaSP_SQ_EUlSP_E_NS1_11comp_targetILNS1_3genE8ELNS1_11target_archE1030ELNS1_3gpuE2ELNS1_3repE0EEENS1_30default_config_static_selectorELNS0_4arch9wavefront6targetE1EEEvT1_
                                        ; -- End function
	.section	.AMDGPU.csdata,"",@progbits
; Kernel info:
; codeLenInByte = 0
; NumSgprs: 4
; NumVgprs: 0
; NumAgprs: 0
; TotalNumVgprs: 0
; ScratchSize: 0
; MemoryBound: 0
; FloatMode: 240
; IeeeMode: 1
; LDSByteSize: 0 bytes/workgroup (compile time only)
; SGPRBlocks: 0
; VGPRBlocks: 0
; NumSGPRsForWavesPerEU: 4
; NumVGPRsForWavesPerEU: 1
; AccumOffset: 4
; Occupancy: 8
; WaveLimiterHint : 0
; COMPUTE_PGM_RSRC2:SCRATCH_EN: 0
; COMPUTE_PGM_RSRC2:USER_SGPR: 6
; COMPUTE_PGM_RSRC2:TRAP_HANDLER: 0
; COMPUTE_PGM_RSRC2:TGID_X_EN: 1
; COMPUTE_PGM_RSRC2:TGID_Y_EN: 0
; COMPUTE_PGM_RSRC2:TGID_Z_EN: 0
; COMPUTE_PGM_RSRC2:TIDIG_COMP_CNT: 0
; COMPUTE_PGM_RSRC3_GFX90A:ACCUM_OFFSET: 0
; COMPUTE_PGM_RSRC3_GFX90A:TG_SPLIT: 0
	.section	.text._ZN7rocprim17ROCPRIM_400000_NS6detail17trampoline_kernelINS0_14default_configENS1_20scan_config_selectorIyEEZZNS1_9scan_implILNS1_25lookback_scan_determinismE0ELb1ELb1ES3_N6thrust23THRUST_200600_302600_NS6detail15normal_iteratorINS9_10device_ptrIyEEEESE_y11max_functorIyEyEEDaPvRmT3_T4_T5_mT6_P12ihipStream_tbENKUlT_T0_E_clISt17integral_constantIbLb0EESU_EEDaSP_SQ_EUlSP_E0_NS1_11comp_targetILNS1_3genE0ELNS1_11target_archE4294967295ELNS1_3gpuE0ELNS1_3repE0EEENS1_30default_config_static_selectorELNS0_4arch9wavefront6targetE1EEEvT1_,"axG",@progbits,_ZN7rocprim17ROCPRIM_400000_NS6detail17trampoline_kernelINS0_14default_configENS1_20scan_config_selectorIyEEZZNS1_9scan_implILNS1_25lookback_scan_determinismE0ELb1ELb1ES3_N6thrust23THRUST_200600_302600_NS6detail15normal_iteratorINS9_10device_ptrIyEEEESE_y11max_functorIyEyEEDaPvRmT3_T4_T5_mT6_P12ihipStream_tbENKUlT_T0_E_clISt17integral_constantIbLb0EESU_EEDaSP_SQ_EUlSP_E0_NS1_11comp_targetILNS1_3genE0ELNS1_11target_archE4294967295ELNS1_3gpuE0ELNS1_3repE0EEENS1_30default_config_static_selectorELNS0_4arch9wavefront6targetE1EEEvT1_,comdat
	.protected	_ZN7rocprim17ROCPRIM_400000_NS6detail17trampoline_kernelINS0_14default_configENS1_20scan_config_selectorIyEEZZNS1_9scan_implILNS1_25lookback_scan_determinismE0ELb1ELb1ES3_N6thrust23THRUST_200600_302600_NS6detail15normal_iteratorINS9_10device_ptrIyEEEESE_y11max_functorIyEyEEDaPvRmT3_T4_T5_mT6_P12ihipStream_tbENKUlT_T0_E_clISt17integral_constantIbLb0EESU_EEDaSP_SQ_EUlSP_E0_NS1_11comp_targetILNS1_3genE0ELNS1_11target_archE4294967295ELNS1_3gpuE0ELNS1_3repE0EEENS1_30default_config_static_selectorELNS0_4arch9wavefront6targetE1EEEvT1_ ; -- Begin function _ZN7rocprim17ROCPRIM_400000_NS6detail17trampoline_kernelINS0_14default_configENS1_20scan_config_selectorIyEEZZNS1_9scan_implILNS1_25lookback_scan_determinismE0ELb1ELb1ES3_N6thrust23THRUST_200600_302600_NS6detail15normal_iteratorINS9_10device_ptrIyEEEESE_y11max_functorIyEyEEDaPvRmT3_T4_T5_mT6_P12ihipStream_tbENKUlT_T0_E_clISt17integral_constantIbLb0EESU_EEDaSP_SQ_EUlSP_E0_NS1_11comp_targetILNS1_3genE0ELNS1_11target_archE4294967295ELNS1_3gpuE0ELNS1_3repE0EEENS1_30default_config_static_selectorELNS0_4arch9wavefront6targetE1EEEvT1_
	.globl	_ZN7rocprim17ROCPRIM_400000_NS6detail17trampoline_kernelINS0_14default_configENS1_20scan_config_selectorIyEEZZNS1_9scan_implILNS1_25lookback_scan_determinismE0ELb1ELb1ES3_N6thrust23THRUST_200600_302600_NS6detail15normal_iteratorINS9_10device_ptrIyEEEESE_y11max_functorIyEyEEDaPvRmT3_T4_T5_mT6_P12ihipStream_tbENKUlT_T0_E_clISt17integral_constantIbLb0EESU_EEDaSP_SQ_EUlSP_E0_NS1_11comp_targetILNS1_3genE0ELNS1_11target_archE4294967295ELNS1_3gpuE0ELNS1_3repE0EEENS1_30default_config_static_selectorELNS0_4arch9wavefront6targetE1EEEvT1_
	.p2align	8
	.type	_ZN7rocprim17ROCPRIM_400000_NS6detail17trampoline_kernelINS0_14default_configENS1_20scan_config_selectorIyEEZZNS1_9scan_implILNS1_25lookback_scan_determinismE0ELb1ELb1ES3_N6thrust23THRUST_200600_302600_NS6detail15normal_iteratorINS9_10device_ptrIyEEEESE_y11max_functorIyEyEEDaPvRmT3_T4_T5_mT6_P12ihipStream_tbENKUlT_T0_E_clISt17integral_constantIbLb0EESU_EEDaSP_SQ_EUlSP_E0_NS1_11comp_targetILNS1_3genE0ELNS1_11target_archE4294967295ELNS1_3gpuE0ELNS1_3repE0EEENS1_30default_config_static_selectorELNS0_4arch9wavefront6targetE1EEEvT1_,@function
_ZN7rocprim17ROCPRIM_400000_NS6detail17trampoline_kernelINS0_14default_configENS1_20scan_config_selectorIyEEZZNS1_9scan_implILNS1_25lookback_scan_determinismE0ELb1ELb1ES3_N6thrust23THRUST_200600_302600_NS6detail15normal_iteratorINS9_10device_ptrIyEEEESE_y11max_functorIyEyEEDaPvRmT3_T4_T5_mT6_P12ihipStream_tbENKUlT_T0_E_clISt17integral_constantIbLb0EESU_EEDaSP_SQ_EUlSP_E0_NS1_11comp_targetILNS1_3genE0ELNS1_11target_archE4294967295ELNS1_3gpuE0ELNS1_3repE0EEENS1_30default_config_static_selectorELNS0_4arch9wavefront6targetE1EEEvT1_: ; @_ZN7rocprim17ROCPRIM_400000_NS6detail17trampoline_kernelINS0_14default_configENS1_20scan_config_selectorIyEEZZNS1_9scan_implILNS1_25lookback_scan_determinismE0ELb1ELb1ES3_N6thrust23THRUST_200600_302600_NS6detail15normal_iteratorINS9_10device_ptrIyEEEESE_y11max_functorIyEyEEDaPvRmT3_T4_T5_mT6_P12ihipStream_tbENKUlT_T0_E_clISt17integral_constantIbLb0EESU_EEDaSP_SQ_EUlSP_E0_NS1_11comp_targetILNS1_3genE0ELNS1_11target_archE4294967295ELNS1_3gpuE0ELNS1_3repE0EEENS1_30default_config_static_selectorELNS0_4arch9wavefront6targetE1EEEvT1_
; %bb.0:
	.section	.rodata,"a",@progbits
	.p2align	6, 0x0
	.amdhsa_kernel _ZN7rocprim17ROCPRIM_400000_NS6detail17trampoline_kernelINS0_14default_configENS1_20scan_config_selectorIyEEZZNS1_9scan_implILNS1_25lookback_scan_determinismE0ELb1ELb1ES3_N6thrust23THRUST_200600_302600_NS6detail15normal_iteratorINS9_10device_ptrIyEEEESE_y11max_functorIyEyEEDaPvRmT3_T4_T5_mT6_P12ihipStream_tbENKUlT_T0_E_clISt17integral_constantIbLb0EESU_EEDaSP_SQ_EUlSP_E0_NS1_11comp_targetILNS1_3genE0ELNS1_11target_archE4294967295ELNS1_3gpuE0ELNS1_3repE0EEENS1_30default_config_static_selectorELNS0_4arch9wavefront6targetE1EEEvT1_
		.amdhsa_group_segment_fixed_size 0
		.amdhsa_private_segment_fixed_size 0
		.amdhsa_kernarg_size 40
		.amdhsa_user_sgpr_count 6
		.amdhsa_user_sgpr_private_segment_buffer 1
		.amdhsa_user_sgpr_dispatch_ptr 0
		.amdhsa_user_sgpr_queue_ptr 0
		.amdhsa_user_sgpr_kernarg_segment_ptr 1
		.amdhsa_user_sgpr_dispatch_id 0
		.amdhsa_user_sgpr_flat_scratch_init 0
		.amdhsa_user_sgpr_kernarg_preload_length 0
		.amdhsa_user_sgpr_kernarg_preload_offset 0
		.amdhsa_user_sgpr_private_segment_size 0
		.amdhsa_uses_dynamic_stack 0
		.amdhsa_system_sgpr_private_segment_wavefront_offset 0
		.amdhsa_system_sgpr_workgroup_id_x 1
		.amdhsa_system_sgpr_workgroup_id_y 0
		.amdhsa_system_sgpr_workgroup_id_z 0
		.amdhsa_system_sgpr_workgroup_info 0
		.amdhsa_system_vgpr_workitem_id 0
		.amdhsa_next_free_vgpr 1
		.amdhsa_next_free_sgpr 0
		.amdhsa_accum_offset 4
		.amdhsa_reserve_vcc 0
		.amdhsa_reserve_flat_scratch 0
		.amdhsa_float_round_mode_32 0
		.amdhsa_float_round_mode_16_64 0
		.amdhsa_float_denorm_mode_32 3
		.amdhsa_float_denorm_mode_16_64 3
		.amdhsa_dx10_clamp 1
		.amdhsa_ieee_mode 1
		.amdhsa_fp16_overflow 0
		.amdhsa_tg_split 0
		.amdhsa_exception_fp_ieee_invalid_op 0
		.amdhsa_exception_fp_denorm_src 0
		.amdhsa_exception_fp_ieee_div_zero 0
		.amdhsa_exception_fp_ieee_overflow 0
		.amdhsa_exception_fp_ieee_underflow 0
		.amdhsa_exception_fp_ieee_inexact 0
		.amdhsa_exception_int_div_zero 0
	.end_amdhsa_kernel
	.section	.text._ZN7rocprim17ROCPRIM_400000_NS6detail17trampoline_kernelINS0_14default_configENS1_20scan_config_selectorIyEEZZNS1_9scan_implILNS1_25lookback_scan_determinismE0ELb1ELb1ES3_N6thrust23THRUST_200600_302600_NS6detail15normal_iteratorINS9_10device_ptrIyEEEESE_y11max_functorIyEyEEDaPvRmT3_T4_T5_mT6_P12ihipStream_tbENKUlT_T0_E_clISt17integral_constantIbLb0EESU_EEDaSP_SQ_EUlSP_E0_NS1_11comp_targetILNS1_3genE0ELNS1_11target_archE4294967295ELNS1_3gpuE0ELNS1_3repE0EEENS1_30default_config_static_selectorELNS0_4arch9wavefront6targetE1EEEvT1_,"axG",@progbits,_ZN7rocprim17ROCPRIM_400000_NS6detail17trampoline_kernelINS0_14default_configENS1_20scan_config_selectorIyEEZZNS1_9scan_implILNS1_25lookback_scan_determinismE0ELb1ELb1ES3_N6thrust23THRUST_200600_302600_NS6detail15normal_iteratorINS9_10device_ptrIyEEEESE_y11max_functorIyEyEEDaPvRmT3_T4_T5_mT6_P12ihipStream_tbENKUlT_T0_E_clISt17integral_constantIbLb0EESU_EEDaSP_SQ_EUlSP_E0_NS1_11comp_targetILNS1_3genE0ELNS1_11target_archE4294967295ELNS1_3gpuE0ELNS1_3repE0EEENS1_30default_config_static_selectorELNS0_4arch9wavefront6targetE1EEEvT1_,comdat
.Lfunc_end2181:
	.size	_ZN7rocprim17ROCPRIM_400000_NS6detail17trampoline_kernelINS0_14default_configENS1_20scan_config_selectorIyEEZZNS1_9scan_implILNS1_25lookback_scan_determinismE0ELb1ELb1ES3_N6thrust23THRUST_200600_302600_NS6detail15normal_iteratorINS9_10device_ptrIyEEEESE_y11max_functorIyEyEEDaPvRmT3_T4_T5_mT6_P12ihipStream_tbENKUlT_T0_E_clISt17integral_constantIbLb0EESU_EEDaSP_SQ_EUlSP_E0_NS1_11comp_targetILNS1_3genE0ELNS1_11target_archE4294967295ELNS1_3gpuE0ELNS1_3repE0EEENS1_30default_config_static_selectorELNS0_4arch9wavefront6targetE1EEEvT1_, .Lfunc_end2181-_ZN7rocprim17ROCPRIM_400000_NS6detail17trampoline_kernelINS0_14default_configENS1_20scan_config_selectorIyEEZZNS1_9scan_implILNS1_25lookback_scan_determinismE0ELb1ELb1ES3_N6thrust23THRUST_200600_302600_NS6detail15normal_iteratorINS9_10device_ptrIyEEEESE_y11max_functorIyEyEEDaPvRmT3_T4_T5_mT6_P12ihipStream_tbENKUlT_T0_E_clISt17integral_constantIbLb0EESU_EEDaSP_SQ_EUlSP_E0_NS1_11comp_targetILNS1_3genE0ELNS1_11target_archE4294967295ELNS1_3gpuE0ELNS1_3repE0EEENS1_30default_config_static_selectorELNS0_4arch9wavefront6targetE1EEEvT1_
                                        ; -- End function
	.section	.AMDGPU.csdata,"",@progbits
; Kernel info:
; codeLenInByte = 0
; NumSgprs: 4
; NumVgprs: 0
; NumAgprs: 0
; TotalNumVgprs: 0
; ScratchSize: 0
; MemoryBound: 0
; FloatMode: 240
; IeeeMode: 1
; LDSByteSize: 0 bytes/workgroup (compile time only)
; SGPRBlocks: 0
; VGPRBlocks: 0
; NumSGPRsForWavesPerEU: 4
; NumVGPRsForWavesPerEU: 1
; AccumOffset: 4
; Occupancy: 8
; WaveLimiterHint : 0
; COMPUTE_PGM_RSRC2:SCRATCH_EN: 0
; COMPUTE_PGM_RSRC2:USER_SGPR: 6
; COMPUTE_PGM_RSRC2:TRAP_HANDLER: 0
; COMPUTE_PGM_RSRC2:TGID_X_EN: 1
; COMPUTE_PGM_RSRC2:TGID_Y_EN: 0
; COMPUTE_PGM_RSRC2:TGID_Z_EN: 0
; COMPUTE_PGM_RSRC2:TIDIG_COMP_CNT: 0
; COMPUTE_PGM_RSRC3_GFX90A:ACCUM_OFFSET: 0
; COMPUTE_PGM_RSRC3_GFX90A:TG_SPLIT: 0
	.section	.text._ZN7rocprim17ROCPRIM_400000_NS6detail17trampoline_kernelINS0_14default_configENS1_20scan_config_selectorIyEEZZNS1_9scan_implILNS1_25lookback_scan_determinismE0ELb1ELb1ES3_N6thrust23THRUST_200600_302600_NS6detail15normal_iteratorINS9_10device_ptrIyEEEESE_y11max_functorIyEyEEDaPvRmT3_T4_T5_mT6_P12ihipStream_tbENKUlT_T0_E_clISt17integral_constantIbLb0EESU_EEDaSP_SQ_EUlSP_E0_NS1_11comp_targetILNS1_3genE5ELNS1_11target_archE942ELNS1_3gpuE9ELNS1_3repE0EEENS1_30default_config_static_selectorELNS0_4arch9wavefront6targetE1EEEvT1_,"axG",@progbits,_ZN7rocprim17ROCPRIM_400000_NS6detail17trampoline_kernelINS0_14default_configENS1_20scan_config_selectorIyEEZZNS1_9scan_implILNS1_25lookback_scan_determinismE0ELb1ELb1ES3_N6thrust23THRUST_200600_302600_NS6detail15normal_iteratorINS9_10device_ptrIyEEEESE_y11max_functorIyEyEEDaPvRmT3_T4_T5_mT6_P12ihipStream_tbENKUlT_T0_E_clISt17integral_constantIbLb0EESU_EEDaSP_SQ_EUlSP_E0_NS1_11comp_targetILNS1_3genE5ELNS1_11target_archE942ELNS1_3gpuE9ELNS1_3repE0EEENS1_30default_config_static_selectorELNS0_4arch9wavefront6targetE1EEEvT1_,comdat
	.protected	_ZN7rocprim17ROCPRIM_400000_NS6detail17trampoline_kernelINS0_14default_configENS1_20scan_config_selectorIyEEZZNS1_9scan_implILNS1_25lookback_scan_determinismE0ELb1ELb1ES3_N6thrust23THRUST_200600_302600_NS6detail15normal_iteratorINS9_10device_ptrIyEEEESE_y11max_functorIyEyEEDaPvRmT3_T4_T5_mT6_P12ihipStream_tbENKUlT_T0_E_clISt17integral_constantIbLb0EESU_EEDaSP_SQ_EUlSP_E0_NS1_11comp_targetILNS1_3genE5ELNS1_11target_archE942ELNS1_3gpuE9ELNS1_3repE0EEENS1_30default_config_static_selectorELNS0_4arch9wavefront6targetE1EEEvT1_ ; -- Begin function _ZN7rocprim17ROCPRIM_400000_NS6detail17trampoline_kernelINS0_14default_configENS1_20scan_config_selectorIyEEZZNS1_9scan_implILNS1_25lookback_scan_determinismE0ELb1ELb1ES3_N6thrust23THRUST_200600_302600_NS6detail15normal_iteratorINS9_10device_ptrIyEEEESE_y11max_functorIyEyEEDaPvRmT3_T4_T5_mT6_P12ihipStream_tbENKUlT_T0_E_clISt17integral_constantIbLb0EESU_EEDaSP_SQ_EUlSP_E0_NS1_11comp_targetILNS1_3genE5ELNS1_11target_archE942ELNS1_3gpuE9ELNS1_3repE0EEENS1_30default_config_static_selectorELNS0_4arch9wavefront6targetE1EEEvT1_
	.globl	_ZN7rocprim17ROCPRIM_400000_NS6detail17trampoline_kernelINS0_14default_configENS1_20scan_config_selectorIyEEZZNS1_9scan_implILNS1_25lookback_scan_determinismE0ELb1ELb1ES3_N6thrust23THRUST_200600_302600_NS6detail15normal_iteratorINS9_10device_ptrIyEEEESE_y11max_functorIyEyEEDaPvRmT3_T4_T5_mT6_P12ihipStream_tbENKUlT_T0_E_clISt17integral_constantIbLb0EESU_EEDaSP_SQ_EUlSP_E0_NS1_11comp_targetILNS1_3genE5ELNS1_11target_archE942ELNS1_3gpuE9ELNS1_3repE0EEENS1_30default_config_static_selectorELNS0_4arch9wavefront6targetE1EEEvT1_
	.p2align	8
	.type	_ZN7rocprim17ROCPRIM_400000_NS6detail17trampoline_kernelINS0_14default_configENS1_20scan_config_selectorIyEEZZNS1_9scan_implILNS1_25lookback_scan_determinismE0ELb1ELb1ES3_N6thrust23THRUST_200600_302600_NS6detail15normal_iteratorINS9_10device_ptrIyEEEESE_y11max_functorIyEyEEDaPvRmT3_T4_T5_mT6_P12ihipStream_tbENKUlT_T0_E_clISt17integral_constantIbLb0EESU_EEDaSP_SQ_EUlSP_E0_NS1_11comp_targetILNS1_3genE5ELNS1_11target_archE942ELNS1_3gpuE9ELNS1_3repE0EEENS1_30default_config_static_selectorELNS0_4arch9wavefront6targetE1EEEvT1_,@function
_ZN7rocprim17ROCPRIM_400000_NS6detail17trampoline_kernelINS0_14default_configENS1_20scan_config_selectorIyEEZZNS1_9scan_implILNS1_25lookback_scan_determinismE0ELb1ELb1ES3_N6thrust23THRUST_200600_302600_NS6detail15normal_iteratorINS9_10device_ptrIyEEEESE_y11max_functorIyEyEEDaPvRmT3_T4_T5_mT6_P12ihipStream_tbENKUlT_T0_E_clISt17integral_constantIbLb0EESU_EEDaSP_SQ_EUlSP_E0_NS1_11comp_targetILNS1_3genE5ELNS1_11target_archE942ELNS1_3gpuE9ELNS1_3repE0EEENS1_30default_config_static_selectorELNS0_4arch9wavefront6targetE1EEEvT1_: ; @_ZN7rocprim17ROCPRIM_400000_NS6detail17trampoline_kernelINS0_14default_configENS1_20scan_config_selectorIyEEZZNS1_9scan_implILNS1_25lookback_scan_determinismE0ELb1ELb1ES3_N6thrust23THRUST_200600_302600_NS6detail15normal_iteratorINS9_10device_ptrIyEEEESE_y11max_functorIyEyEEDaPvRmT3_T4_T5_mT6_P12ihipStream_tbENKUlT_T0_E_clISt17integral_constantIbLb0EESU_EEDaSP_SQ_EUlSP_E0_NS1_11comp_targetILNS1_3genE5ELNS1_11target_archE942ELNS1_3gpuE9ELNS1_3repE0EEENS1_30default_config_static_selectorELNS0_4arch9wavefront6targetE1EEEvT1_
; %bb.0:
	.section	.rodata,"a",@progbits
	.p2align	6, 0x0
	.amdhsa_kernel _ZN7rocprim17ROCPRIM_400000_NS6detail17trampoline_kernelINS0_14default_configENS1_20scan_config_selectorIyEEZZNS1_9scan_implILNS1_25lookback_scan_determinismE0ELb1ELb1ES3_N6thrust23THRUST_200600_302600_NS6detail15normal_iteratorINS9_10device_ptrIyEEEESE_y11max_functorIyEyEEDaPvRmT3_T4_T5_mT6_P12ihipStream_tbENKUlT_T0_E_clISt17integral_constantIbLb0EESU_EEDaSP_SQ_EUlSP_E0_NS1_11comp_targetILNS1_3genE5ELNS1_11target_archE942ELNS1_3gpuE9ELNS1_3repE0EEENS1_30default_config_static_selectorELNS0_4arch9wavefront6targetE1EEEvT1_
		.amdhsa_group_segment_fixed_size 0
		.amdhsa_private_segment_fixed_size 0
		.amdhsa_kernarg_size 40
		.amdhsa_user_sgpr_count 6
		.amdhsa_user_sgpr_private_segment_buffer 1
		.amdhsa_user_sgpr_dispatch_ptr 0
		.amdhsa_user_sgpr_queue_ptr 0
		.amdhsa_user_sgpr_kernarg_segment_ptr 1
		.amdhsa_user_sgpr_dispatch_id 0
		.amdhsa_user_sgpr_flat_scratch_init 0
		.amdhsa_user_sgpr_kernarg_preload_length 0
		.amdhsa_user_sgpr_kernarg_preload_offset 0
		.amdhsa_user_sgpr_private_segment_size 0
		.amdhsa_uses_dynamic_stack 0
		.amdhsa_system_sgpr_private_segment_wavefront_offset 0
		.amdhsa_system_sgpr_workgroup_id_x 1
		.amdhsa_system_sgpr_workgroup_id_y 0
		.amdhsa_system_sgpr_workgroup_id_z 0
		.amdhsa_system_sgpr_workgroup_info 0
		.amdhsa_system_vgpr_workitem_id 0
		.amdhsa_next_free_vgpr 1
		.amdhsa_next_free_sgpr 0
		.amdhsa_accum_offset 4
		.amdhsa_reserve_vcc 0
		.amdhsa_reserve_flat_scratch 0
		.amdhsa_float_round_mode_32 0
		.amdhsa_float_round_mode_16_64 0
		.amdhsa_float_denorm_mode_32 3
		.amdhsa_float_denorm_mode_16_64 3
		.amdhsa_dx10_clamp 1
		.amdhsa_ieee_mode 1
		.amdhsa_fp16_overflow 0
		.amdhsa_tg_split 0
		.amdhsa_exception_fp_ieee_invalid_op 0
		.amdhsa_exception_fp_denorm_src 0
		.amdhsa_exception_fp_ieee_div_zero 0
		.amdhsa_exception_fp_ieee_overflow 0
		.amdhsa_exception_fp_ieee_underflow 0
		.amdhsa_exception_fp_ieee_inexact 0
		.amdhsa_exception_int_div_zero 0
	.end_amdhsa_kernel
	.section	.text._ZN7rocprim17ROCPRIM_400000_NS6detail17trampoline_kernelINS0_14default_configENS1_20scan_config_selectorIyEEZZNS1_9scan_implILNS1_25lookback_scan_determinismE0ELb1ELb1ES3_N6thrust23THRUST_200600_302600_NS6detail15normal_iteratorINS9_10device_ptrIyEEEESE_y11max_functorIyEyEEDaPvRmT3_T4_T5_mT6_P12ihipStream_tbENKUlT_T0_E_clISt17integral_constantIbLb0EESU_EEDaSP_SQ_EUlSP_E0_NS1_11comp_targetILNS1_3genE5ELNS1_11target_archE942ELNS1_3gpuE9ELNS1_3repE0EEENS1_30default_config_static_selectorELNS0_4arch9wavefront6targetE1EEEvT1_,"axG",@progbits,_ZN7rocprim17ROCPRIM_400000_NS6detail17trampoline_kernelINS0_14default_configENS1_20scan_config_selectorIyEEZZNS1_9scan_implILNS1_25lookback_scan_determinismE0ELb1ELb1ES3_N6thrust23THRUST_200600_302600_NS6detail15normal_iteratorINS9_10device_ptrIyEEEESE_y11max_functorIyEyEEDaPvRmT3_T4_T5_mT6_P12ihipStream_tbENKUlT_T0_E_clISt17integral_constantIbLb0EESU_EEDaSP_SQ_EUlSP_E0_NS1_11comp_targetILNS1_3genE5ELNS1_11target_archE942ELNS1_3gpuE9ELNS1_3repE0EEENS1_30default_config_static_selectorELNS0_4arch9wavefront6targetE1EEEvT1_,comdat
.Lfunc_end2182:
	.size	_ZN7rocprim17ROCPRIM_400000_NS6detail17trampoline_kernelINS0_14default_configENS1_20scan_config_selectorIyEEZZNS1_9scan_implILNS1_25lookback_scan_determinismE0ELb1ELb1ES3_N6thrust23THRUST_200600_302600_NS6detail15normal_iteratorINS9_10device_ptrIyEEEESE_y11max_functorIyEyEEDaPvRmT3_T4_T5_mT6_P12ihipStream_tbENKUlT_T0_E_clISt17integral_constantIbLb0EESU_EEDaSP_SQ_EUlSP_E0_NS1_11comp_targetILNS1_3genE5ELNS1_11target_archE942ELNS1_3gpuE9ELNS1_3repE0EEENS1_30default_config_static_selectorELNS0_4arch9wavefront6targetE1EEEvT1_, .Lfunc_end2182-_ZN7rocprim17ROCPRIM_400000_NS6detail17trampoline_kernelINS0_14default_configENS1_20scan_config_selectorIyEEZZNS1_9scan_implILNS1_25lookback_scan_determinismE0ELb1ELb1ES3_N6thrust23THRUST_200600_302600_NS6detail15normal_iteratorINS9_10device_ptrIyEEEESE_y11max_functorIyEyEEDaPvRmT3_T4_T5_mT6_P12ihipStream_tbENKUlT_T0_E_clISt17integral_constantIbLb0EESU_EEDaSP_SQ_EUlSP_E0_NS1_11comp_targetILNS1_3genE5ELNS1_11target_archE942ELNS1_3gpuE9ELNS1_3repE0EEENS1_30default_config_static_selectorELNS0_4arch9wavefront6targetE1EEEvT1_
                                        ; -- End function
	.section	.AMDGPU.csdata,"",@progbits
; Kernel info:
; codeLenInByte = 0
; NumSgprs: 4
; NumVgprs: 0
; NumAgprs: 0
; TotalNumVgprs: 0
; ScratchSize: 0
; MemoryBound: 0
; FloatMode: 240
; IeeeMode: 1
; LDSByteSize: 0 bytes/workgroup (compile time only)
; SGPRBlocks: 0
; VGPRBlocks: 0
; NumSGPRsForWavesPerEU: 4
; NumVGPRsForWavesPerEU: 1
; AccumOffset: 4
; Occupancy: 8
; WaveLimiterHint : 0
; COMPUTE_PGM_RSRC2:SCRATCH_EN: 0
; COMPUTE_PGM_RSRC2:USER_SGPR: 6
; COMPUTE_PGM_RSRC2:TRAP_HANDLER: 0
; COMPUTE_PGM_RSRC2:TGID_X_EN: 1
; COMPUTE_PGM_RSRC2:TGID_Y_EN: 0
; COMPUTE_PGM_RSRC2:TGID_Z_EN: 0
; COMPUTE_PGM_RSRC2:TIDIG_COMP_CNT: 0
; COMPUTE_PGM_RSRC3_GFX90A:ACCUM_OFFSET: 0
; COMPUTE_PGM_RSRC3_GFX90A:TG_SPLIT: 0
	.section	.text._ZN7rocprim17ROCPRIM_400000_NS6detail17trampoline_kernelINS0_14default_configENS1_20scan_config_selectorIyEEZZNS1_9scan_implILNS1_25lookback_scan_determinismE0ELb1ELb1ES3_N6thrust23THRUST_200600_302600_NS6detail15normal_iteratorINS9_10device_ptrIyEEEESE_y11max_functorIyEyEEDaPvRmT3_T4_T5_mT6_P12ihipStream_tbENKUlT_T0_E_clISt17integral_constantIbLb0EESU_EEDaSP_SQ_EUlSP_E0_NS1_11comp_targetILNS1_3genE4ELNS1_11target_archE910ELNS1_3gpuE8ELNS1_3repE0EEENS1_30default_config_static_selectorELNS0_4arch9wavefront6targetE1EEEvT1_,"axG",@progbits,_ZN7rocprim17ROCPRIM_400000_NS6detail17trampoline_kernelINS0_14default_configENS1_20scan_config_selectorIyEEZZNS1_9scan_implILNS1_25lookback_scan_determinismE0ELb1ELb1ES3_N6thrust23THRUST_200600_302600_NS6detail15normal_iteratorINS9_10device_ptrIyEEEESE_y11max_functorIyEyEEDaPvRmT3_T4_T5_mT6_P12ihipStream_tbENKUlT_T0_E_clISt17integral_constantIbLb0EESU_EEDaSP_SQ_EUlSP_E0_NS1_11comp_targetILNS1_3genE4ELNS1_11target_archE910ELNS1_3gpuE8ELNS1_3repE0EEENS1_30default_config_static_selectorELNS0_4arch9wavefront6targetE1EEEvT1_,comdat
	.protected	_ZN7rocprim17ROCPRIM_400000_NS6detail17trampoline_kernelINS0_14default_configENS1_20scan_config_selectorIyEEZZNS1_9scan_implILNS1_25lookback_scan_determinismE0ELb1ELb1ES3_N6thrust23THRUST_200600_302600_NS6detail15normal_iteratorINS9_10device_ptrIyEEEESE_y11max_functorIyEyEEDaPvRmT3_T4_T5_mT6_P12ihipStream_tbENKUlT_T0_E_clISt17integral_constantIbLb0EESU_EEDaSP_SQ_EUlSP_E0_NS1_11comp_targetILNS1_3genE4ELNS1_11target_archE910ELNS1_3gpuE8ELNS1_3repE0EEENS1_30default_config_static_selectorELNS0_4arch9wavefront6targetE1EEEvT1_ ; -- Begin function _ZN7rocprim17ROCPRIM_400000_NS6detail17trampoline_kernelINS0_14default_configENS1_20scan_config_selectorIyEEZZNS1_9scan_implILNS1_25lookback_scan_determinismE0ELb1ELb1ES3_N6thrust23THRUST_200600_302600_NS6detail15normal_iteratorINS9_10device_ptrIyEEEESE_y11max_functorIyEyEEDaPvRmT3_T4_T5_mT6_P12ihipStream_tbENKUlT_T0_E_clISt17integral_constantIbLb0EESU_EEDaSP_SQ_EUlSP_E0_NS1_11comp_targetILNS1_3genE4ELNS1_11target_archE910ELNS1_3gpuE8ELNS1_3repE0EEENS1_30default_config_static_selectorELNS0_4arch9wavefront6targetE1EEEvT1_
	.globl	_ZN7rocprim17ROCPRIM_400000_NS6detail17trampoline_kernelINS0_14default_configENS1_20scan_config_selectorIyEEZZNS1_9scan_implILNS1_25lookback_scan_determinismE0ELb1ELb1ES3_N6thrust23THRUST_200600_302600_NS6detail15normal_iteratorINS9_10device_ptrIyEEEESE_y11max_functorIyEyEEDaPvRmT3_T4_T5_mT6_P12ihipStream_tbENKUlT_T0_E_clISt17integral_constantIbLb0EESU_EEDaSP_SQ_EUlSP_E0_NS1_11comp_targetILNS1_3genE4ELNS1_11target_archE910ELNS1_3gpuE8ELNS1_3repE0EEENS1_30default_config_static_selectorELNS0_4arch9wavefront6targetE1EEEvT1_
	.p2align	8
	.type	_ZN7rocprim17ROCPRIM_400000_NS6detail17trampoline_kernelINS0_14default_configENS1_20scan_config_selectorIyEEZZNS1_9scan_implILNS1_25lookback_scan_determinismE0ELb1ELb1ES3_N6thrust23THRUST_200600_302600_NS6detail15normal_iteratorINS9_10device_ptrIyEEEESE_y11max_functorIyEyEEDaPvRmT3_T4_T5_mT6_P12ihipStream_tbENKUlT_T0_E_clISt17integral_constantIbLb0EESU_EEDaSP_SQ_EUlSP_E0_NS1_11comp_targetILNS1_3genE4ELNS1_11target_archE910ELNS1_3gpuE8ELNS1_3repE0EEENS1_30default_config_static_selectorELNS0_4arch9wavefront6targetE1EEEvT1_,@function
_ZN7rocprim17ROCPRIM_400000_NS6detail17trampoline_kernelINS0_14default_configENS1_20scan_config_selectorIyEEZZNS1_9scan_implILNS1_25lookback_scan_determinismE0ELb1ELb1ES3_N6thrust23THRUST_200600_302600_NS6detail15normal_iteratorINS9_10device_ptrIyEEEESE_y11max_functorIyEyEEDaPvRmT3_T4_T5_mT6_P12ihipStream_tbENKUlT_T0_E_clISt17integral_constantIbLb0EESU_EEDaSP_SQ_EUlSP_E0_NS1_11comp_targetILNS1_3genE4ELNS1_11target_archE910ELNS1_3gpuE8ELNS1_3repE0EEENS1_30default_config_static_selectorELNS0_4arch9wavefront6targetE1EEEvT1_: ; @_ZN7rocprim17ROCPRIM_400000_NS6detail17trampoline_kernelINS0_14default_configENS1_20scan_config_selectorIyEEZZNS1_9scan_implILNS1_25lookback_scan_determinismE0ELb1ELb1ES3_N6thrust23THRUST_200600_302600_NS6detail15normal_iteratorINS9_10device_ptrIyEEEESE_y11max_functorIyEyEEDaPvRmT3_T4_T5_mT6_P12ihipStream_tbENKUlT_T0_E_clISt17integral_constantIbLb0EESU_EEDaSP_SQ_EUlSP_E0_NS1_11comp_targetILNS1_3genE4ELNS1_11target_archE910ELNS1_3gpuE8ELNS1_3repE0EEENS1_30default_config_static_selectorELNS0_4arch9wavefront6targetE1EEEvT1_
; %bb.0:
	s_load_dwordx4 s[16:19], s[4:5], 0x0
	v_lshlrev_b32_e32 v24, 3, v0
	s_waitcnt lgkmcnt(0)
	s_load_dwordx2 s[14:15], s[16:17], 0x0
	v_cmp_gt_u32_e32 vcc, s18, v0
	s_waitcnt lgkmcnt(0)
	v_pk_mov_b32 v[2:3], s[14:15], s[14:15] op_sel:[0,1]
	s_and_saveexec_b64 s[0:1], vcc
	s_cbranch_execz .LBB2183_2
; %bb.1:
	global_load_dwordx2 v[2:3], v24, s[16:17]
.LBB2183_2:
	s_or_b64 exec, exec, s[0:1]
	v_or_b32_e32 v1, 0x80, v0
	v_cmp_gt_u32_e64 s[0:1], s18, v1
	v_pk_mov_b32 v[4:5], s[14:15], s[14:15] op_sel:[0,1]
	s_and_saveexec_b64 s[2:3], s[0:1]
	s_cbranch_execz .LBB2183_4
; %bb.3:
	global_load_dwordx2 v[4:5], v24, s[16:17] offset:1024
.LBB2183_4:
	s_or_b64 exec, exec, s[2:3]
	v_or_b32_e32 v1, 0x100, v0
	v_cmp_gt_u32_e64 s[2:3], s18, v1
	v_pk_mov_b32 v[6:7], s[14:15], s[14:15] op_sel:[0,1]
	s_and_saveexec_b64 s[6:7], s[2:3]
	s_cbranch_execz .LBB2183_6
; %bb.5:
	global_load_dwordx2 v[6:7], v24, s[16:17] offset:2048
.LBB2183_6:
	;; [unrolled: 9-line block ×3, first 2 shown]
	s_or_b64 exec, exec, s[6:7]
	v_or_b32_e32 v1, 0x200, v0
	v_cmp_gt_u32_e64 s[6:7], s18, v1
	v_pk_mov_b32 v[10:11], s[14:15], s[14:15] op_sel:[0,1]
	s_and_saveexec_b64 s[8:9], s[6:7]
	s_cbranch_execz .LBB2183_10
; %bb.9:
	v_lshlrev_b32_e32 v1, 3, v1
	global_load_dwordx2 v[10:11], v1, s[16:17]
.LBB2183_10:
	s_or_b64 exec, exec, s[8:9]
	v_or_b32_e32 v1, 0x280, v0
	v_cmp_gt_u32_e64 s[8:9], s18, v1
	v_pk_mov_b32 v[12:13], s[14:15], s[14:15] op_sel:[0,1]
	s_and_saveexec_b64 s[10:11], s[8:9]
	s_cbranch_execz .LBB2183_12
; %bb.11:
	v_lshlrev_b32_e32 v1, 3, v1
	global_load_dwordx2 v[12:13], v1, s[16:17]
.LBB2183_12:
	s_or_b64 exec, exec, s[10:11]
	s_load_dwordx2 s[20:21], s[4:5], 0x10
	v_or_b32_e32 v1, 0x300, v0
	v_cmp_gt_u32_e64 s[10:11], s18, v1
	v_pk_mov_b32 v[14:15], s[14:15], s[14:15] op_sel:[0,1]
	s_and_saveexec_b64 s[14:15], s[10:11]
	s_cbranch_execz .LBB2183_14
; %bb.13:
	v_lshlrev_b32_e32 v1, 3, v1
	global_load_dwordx2 v[14:15], v1, s[16:17]
.LBB2183_14:
	s_or_b64 exec, exec, s[14:15]
	v_mad_u32_u24 v1, v0, 48, v24
	s_waitcnt vmcnt(0)
	ds_write2st64_b64 v24, v[2:3], v[4:5] offset1:2
	ds_write2st64_b64 v24, v[6:7], v[8:9] offset0:4 offset1:6
	ds_write2st64_b64 v24, v[10:11], v[12:13] offset0:8 offset1:10
	ds_write_b64 v24, v[14:15] offset:6144
	s_waitcnt lgkmcnt(0)
	s_barrier
	ds_read2_b64 v[10:13], v1 offset1:1
	ds_read2_b64 v[6:9], v1 offset0:2 offset1:3
	ds_read2_b64 v[2:5], v1 offset0:4 offset1:5
	ds_read_b64 v[14:15], v1 offset:48
	s_load_dwordx2 s[16:17], s[4:5], 0x20
	s_waitcnt lgkmcnt(0)
	v_cmp_gt_u64_e64 s[4:5], v[10:11], v[12:13]
	v_cndmask_b32_e64 v17, v13, v11, s[4:5]
	v_cndmask_b32_e64 v16, v12, v10, s[4:5]
	v_cmp_gt_u64_e64 s[4:5], v[16:17], v[6:7]
	v_cndmask_b32_e64 v17, v7, v17, s[4:5]
	v_cndmask_b32_e64 v16, v6, v16, s[4:5]
	;; [unrolled: 3-line block ×5, first 2 shown]
	v_cmp_gt_u64_e64 s[4:5], v[16:17], v[14:15]
	v_cndmask_b32_e64 v18, v14, v16, s[4:5]
	v_lshrrev_b32_e32 v14, 2, v0
	v_and_b32_e32 v14, 24, v14
	v_cndmask_b32_e64 v19, v15, v17, s[4:5]
	v_add_u32_e32 v14, v24, v14
	v_cmp_gt_u32_e64 s[4:5], 64, v0
	s_barrier
	ds_write_b64 v14, v[18:19]
	s_waitcnt lgkmcnt(0)
	s_barrier
	s_and_saveexec_b64 s[18:19], s[4:5]
	s_cbranch_execz .LBB2183_18
; %bb.15:
	v_lshlrev_b32_e32 v14, 1, v0
	v_lshrrev_b32_e32 v15, 4, v0
	v_add_lshl_u32 v25, v15, v14, 3
	ds_read2_b64 v[14:17], v25 offset1:1
	v_mbcnt_lo_u32_b32 v20, -1, 0
	v_mbcnt_hi_u32_b32 v26, -1, v20
	v_and_b32_e32 v27, 15, v26
	v_and_b32_e32 v29, 16, v26
	s_waitcnt lgkmcnt(0)
	v_cmp_gt_u64_e64 s[4:5], v[14:15], v[16:17]
	v_cndmask_b32_e64 v17, v17, v15, s[4:5]
	v_cndmask_b32_e64 v16, v16, v14, s[4:5]
	v_cmp_ne_u32_e64 s[14:15], 0, v26
	v_mov_b32_dpp v21, v17 row_shr:1 row_mask:0xf bank_mask:0xf
	v_mov_b32_dpp v20, v16 row_shr:1 row_mask:0xf bank_mask:0xf
	v_cmp_gt_u64_e64 s[4:5], v[20:21], v[16:17]
	v_cndmask_b32_e64 v20, v16, v20, s[4:5]
	v_cndmask_b32_e64 v21, v17, v21, s[4:5]
	v_cmp_eq_u32_e64 s[4:5], 0, v27
	v_cndmask_b32_e64 v21, v21, v17, s[4:5]
	v_cndmask_b32_e64 v20, v20, v16, s[4:5]
	s_nop 0
	v_mov_b32_dpp v23, v21 row_shr:2 row_mask:0xf bank_mask:0xf
	v_mov_b32_dpp v22, v20 row_shr:2 row_mask:0xf bank_mask:0xf
	v_cmp_gt_u64_e64 s[4:5], v[22:23], v[20:21]
	v_cndmask_b32_e64 v22, v20, v22, s[4:5]
	v_cndmask_b32_e64 v23, v21, v23, s[4:5]
	v_cmp_lt_u32_e64 s[4:5], 1, v27
	v_cndmask_b32_e64 v21, v21, v23, s[4:5]
	v_cndmask_b32_e64 v20, v20, v22, s[4:5]
	s_nop 0
	v_mov_b32_dpp v23, v21 row_shr:4 row_mask:0xf bank_mask:0xf
	v_mov_b32_dpp v22, v20 row_shr:4 row_mask:0xf bank_mask:0xf
	v_cmp_gt_u64_e64 s[4:5], v[22:23], v[20:21]
	v_cndmask_b32_e64 v22, v20, v22, s[4:5]
	v_cndmask_b32_e64 v23, v21, v23, s[4:5]
	v_cmp_lt_u32_e64 s[4:5], 3, v27
	;; [unrolled: 9-line block ×3, first 2 shown]
	v_cndmask_b32_e64 v21, v21, v23, s[4:5]
	v_cndmask_b32_e64 v20, v20, v22, s[4:5]
	s_nop 0
	v_mov_b32_dpp v23, v21 row_bcast:15 row_mask:0xf bank_mask:0xf
	v_mov_b32_dpp v22, v20 row_bcast:15 row_mask:0xf bank_mask:0xf
	v_cmp_gt_u64_e64 s[4:5], v[22:23], v[20:21]
	v_cndmask_b32_e64 v27, v21, v23, s[4:5]
	v_cndmask_b32_e64 v28, v20, v22, s[4:5]
	v_cmp_eq_u32_e64 s[4:5], 0, v29
	v_cndmask_b32_e64 v23, v27, v21, s[4:5]
	v_cndmask_b32_e64 v22, v28, v20, s[4:5]
	s_nop 0
	v_mov_b32_dpp v23, v23 row_bcast:31 row_mask:0xf bank_mask:0xf
	v_mov_b32_dpp v22, v22 row_bcast:31 row_mask:0xf bank_mask:0xf
	s_and_saveexec_b64 s[22:23], s[14:15]
; %bb.16:
	v_cndmask_b32_e64 v17, v27, v21, s[4:5]
	v_cndmask_b32_e64 v16, v28, v20, s[4:5]
	v_cmp_lt_u32_e64 s[14:15], 31, v26
	v_cmp_gt_u64_e64 s[4:5], v[22:23], v[16:17]
	s_and_b64 s[4:5], s[14:15], s[4:5]
	v_cndmask_b32_e64 v16, v16, v22, s[4:5]
	v_cndmask_b32_e64 v17, v17, v23, s[4:5]
; %bb.17:
	s_or_b64 exec, exec, s[22:23]
	v_add_u32_e32 v20, -1, v26
	v_and_b32_e32 v21, 64, v26
	v_cmp_lt_i32_e64 s[4:5], v20, v21
	v_cndmask_b32_e64 v20, v20, v26, s[4:5]
	v_lshlrev_b32_e32 v20, 2, v20
	ds_bpermute_b32 v16, v20, v16
	ds_bpermute_b32 v17, v20, v17
	; wave barrier
	s_waitcnt lgkmcnt(0)
	v_cmp_gt_u64_e64 s[4:5], v[16:17], v[14:15]
	v_cndmask_b32_e64 v14, v14, v16, s[4:5]
	v_cndmask_b32_e64 v15, v15, v17, s[4:5]
	v_cmp_eq_u32_e64 s[4:5], 0, v0
	v_cndmask_b32_e64 v15, v15, v19, s[4:5]
	v_cndmask_b32_e64 v14, v14, v18, s[4:5]
	ds_write_b64 v25, v[14:15]
	; wave barrier
	ds_read_b64 v[16:17], v25 offset:8
	s_waitcnt lgkmcnt(0)
	v_cmp_gt_u64_e64 s[4:5], v[14:15], v[16:17]
	v_cndmask_b32_e64 v15, v17, v15, s[4:5]
	v_cndmask_b32_e64 v14, v16, v14, s[4:5]
	ds_write_b64 v25, v[14:15] offset:8
.LBB2183_18:
	s_or_b64 exec, exec, s[18:19]
	v_cmp_ne_u32_e64 s[4:5], 0, v0
	v_pk_mov_b32 v[14:15], s[20:21], s[20:21] op_sel:[0,1]
	s_waitcnt lgkmcnt(0)
	s_barrier
	s_and_saveexec_b64 s[14:15], s[4:5]
	s_cbranch_execz .LBB2183_20
; %bb.19:
	v_add_u32_e32 v14, -1, v0
	v_lshrrev_b32_e32 v15, 5, v14
	v_add_lshl_u32 v14, v15, v14, 3
	ds_read_b64 v[14:15], v14
	v_mov_b32_e32 v16, s21
	s_waitcnt lgkmcnt(0)
	v_cmp_gt_u64_e64 s[4:5], s[20:21], v[14:15]
	v_cndmask_b32_e64 v15, v15, v16, s[4:5]
	v_mov_b32_e32 v16, s20
	v_cndmask_b32_e64 v14, v14, v16, s[4:5]
.LBB2183_20:
	s_or_b64 exec, exec, s[14:15]
	v_cmp_gt_u64_e64 s[4:5], v[14:15], v[10:11]
	v_cndmask_b32_e64 v11, v11, v15, s[4:5]
	v_cndmask_b32_e64 v10, v10, v14, s[4:5]
	v_cmp_gt_u64_e64 s[4:5], v[10:11], v[12:13]
	v_cndmask_b32_e64 v13, v13, v11, s[4:5]
	v_cndmask_b32_e64 v12, v12, v10, s[4:5]
	;; [unrolled: 3-line block ×6, first 2 shown]
	s_movk_i32 s4, 0xffd0
	v_mad_i32_i24 v0, v0, s4, v1
	s_barrier
	ds_write2_b64 v1, v[14:15], v[10:11] offset1:1
	ds_write2_b64 v1, v[12:13], v[6:7] offset0:2 offset1:3
	ds_write2_b64 v1, v[8:9], v[2:3] offset0:4 offset1:5
	ds_write_b64 v1, v[4:5] offset:48
	s_waitcnt lgkmcnt(0)
	s_barrier
	ds_read2st64_b64 v[8:11], v0 offset0:2 offset1:4
	ds_read2st64_b64 v[4:7], v0 offset0:6 offset1:8
	;; [unrolled: 1-line block ×3, first 2 shown]
	v_mov_b32_e32 v13, s17
	v_add_co_u32_e64 v12, s[4:5], s16, v24
	v_addc_co_u32_e64 v13, s[4:5], 0, v13, s[4:5]
	s_and_saveexec_b64 s[4:5], vcc
	s_cbranch_execnz .LBB2183_28
; %bb.21:
	s_or_b64 exec, exec, s[4:5]
	s_and_saveexec_b64 s[4:5], s[0:1]
	s_cbranch_execnz .LBB2183_29
.LBB2183_22:
	s_or_b64 exec, exec, s[4:5]
	s_and_saveexec_b64 s[0:1], s[2:3]
	s_cbranch_execnz .LBB2183_30
.LBB2183_23:
	s_or_b64 exec, exec, s[0:1]
	s_and_saveexec_b64 s[0:1], s[12:13]
	s_cbranch_execnz .LBB2183_31
.LBB2183_24:
	s_or_b64 exec, exec, s[0:1]
	s_and_saveexec_b64 s[0:1], s[6:7]
	s_cbranch_execnz .LBB2183_32
.LBB2183_25:
	s_or_b64 exec, exec, s[0:1]
	s_and_saveexec_b64 s[0:1], s[8:9]
	s_cbranch_execnz .LBB2183_33
.LBB2183_26:
	s_or_b64 exec, exec, s[0:1]
	s_and_saveexec_b64 s[0:1], s[10:11]
	s_cbranch_execnz .LBB2183_34
.LBB2183_27:
	s_endpgm
.LBB2183_28:
	ds_read_b64 v[14:15], v24
	s_waitcnt lgkmcnt(0)
	global_store_dwordx2 v[12:13], v[14:15], off
	s_or_b64 exec, exec, s[4:5]
	s_and_saveexec_b64 s[4:5], s[0:1]
	s_cbranch_execz .LBB2183_22
.LBB2183_29:
	s_waitcnt lgkmcnt(2)
	global_store_dwordx2 v[12:13], v[8:9], off offset:1024
	s_or_b64 exec, exec, s[4:5]
	s_and_saveexec_b64 s[0:1], s[2:3]
	s_cbranch_execz .LBB2183_23
.LBB2183_30:
	s_waitcnt lgkmcnt(2)
	global_store_dwordx2 v[12:13], v[10:11], off offset:2048
	s_or_b64 exec, exec, s[0:1]
	s_and_saveexec_b64 s[0:1], s[12:13]
	s_cbranch_execz .LBB2183_24
.LBB2183_31:
	s_waitcnt lgkmcnt(1)
	global_store_dwordx2 v[12:13], v[4:5], off offset:3072
	s_or_b64 exec, exec, s[0:1]
	s_and_saveexec_b64 s[0:1], s[6:7]
	s_cbranch_execz .LBB2183_25
.LBB2183_32:
	s_waitcnt lgkmcnt(1)
	v_add_co_u32_e32 v4, vcc, 0x1000, v12
	v_addc_co_u32_e32 v5, vcc, 0, v13, vcc
	global_store_dwordx2 v[4:5], v[6:7], off
	s_or_b64 exec, exec, s[0:1]
	s_and_saveexec_b64 s[0:1], s[8:9]
	s_cbranch_execz .LBB2183_26
.LBB2183_33:
	s_waitcnt lgkmcnt(1)
	v_add_co_u32_e32 v4, vcc, 0x1000, v12
	v_addc_co_u32_e32 v5, vcc, 0, v13, vcc
	s_waitcnt lgkmcnt(0)
	global_store_dwordx2 v[4:5], v[0:1], off offset:1024
	s_or_b64 exec, exec, s[0:1]
	s_and_saveexec_b64 s[0:1], s[10:11]
	s_cbranch_execz .LBB2183_27
.LBB2183_34:
	s_waitcnt lgkmcnt(0)
	v_add_co_u32_e32 v0, vcc, 0x1000, v12
	v_addc_co_u32_e32 v1, vcc, 0, v13, vcc
	global_store_dwordx2 v[0:1], v[2:3], off offset:2048
	s_endpgm
	.section	.rodata,"a",@progbits
	.p2align	6, 0x0
	.amdhsa_kernel _ZN7rocprim17ROCPRIM_400000_NS6detail17trampoline_kernelINS0_14default_configENS1_20scan_config_selectorIyEEZZNS1_9scan_implILNS1_25lookback_scan_determinismE0ELb1ELb1ES3_N6thrust23THRUST_200600_302600_NS6detail15normal_iteratorINS9_10device_ptrIyEEEESE_y11max_functorIyEyEEDaPvRmT3_T4_T5_mT6_P12ihipStream_tbENKUlT_T0_E_clISt17integral_constantIbLb0EESU_EEDaSP_SQ_EUlSP_E0_NS1_11comp_targetILNS1_3genE4ELNS1_11target_archE910ELNS1_3gpuE8ELNS1_3repE0EEENS1_30default_config_static_selectorELNS0_4arch9wavefront6targetE1EEEvT1_
		.amdhsa_group_segment_fixed_size 7168
		.amdhsa_private_segment_fixed_size 0
		.amdhsa_kernarg_size 40
		.amdhsa_user_sgpr_count 6
		.amdhsa_user_sgpr_private_segment_buffer 1
		.amdhsa_user_sgpr_dispatch_ptr 0
		.amdhsa_user_sgpr_queue_ptr 0
		.amdhsa_user_sgpr_kernarg_segment_ptr 1
		.amdhsa_user_sgpr_dispatch_id 0
		.amdhsa_user_sgpr_flat_scratch_init 0
		.amdhsa_user_sgpr_kernarg_preload_length 0
		.amdhsa_user_sgpr_kernarg_preload_offset 0
		.amdhsa_user_sgpr_private_segment_size 0
		.amdhsa_uses_dynamic_stack 0
		.amdhsa_system_sgpr_private_segment_wavefront_offset 0
		.amdhsa_system_sgpr_workgroup_id_x 1
		.amdhsa_system_sgpr_workgroup_id_y 0
		.amdhsa_system_sgpr_workgroup_id_z 0
		.amdhsa_system_sgpr_workgroup_info 0
		.amdhsa_system_vgpr_workitem_id 0
		.amdhsa_next_free_vgpr 30
		.amdhsa_next_free_sgpr 24
		.amdhsa_accum_offset 32
		.amdhsa_reserve_vcc 1
		.amdhsa_reserve_flat_scratch 0
		.amdhsa_float_round_mode_32 0
		.amdhsa_float_round_mode_16_64 0
		.amdhsa_float_denorm_mode_32 3
		.amdhsa_float_denorm_mode_16_64 3
		.amdhsa_dx10_clamp 1
		.amdhsa_ieee_mode 1
		.amdhsa_fp16_overflow 0
		.amdhsa_tg_split 0
		.amdhsa_exception_fp_ieee_invalid_op 0
		.amdhsa_exception_fp_denorm_src 0
		.amdhsa_exception_fp_ieee_div_zero 0
		.amdhsa_exception_fp_ieee_overflow 0
		.amdhsa_exception_fp_ieee_underflow 0
		.amdhsa_exception_fp_ieee_inexact 0
		.amdhsa_exception_int_div_zero 0
	.end_amdhsa_kernel
	.section	.text._ZN7rocprim17ROCPRIM_400000_NS6detail17trampoline_kernelINS0_14default_configENS1_20scan_config_selectorIyEEZZNS1_9scan_implILNS1_25lookback_scan_determinismE0ELb1ELb1ES3_N6thrust23THRUST_200600_302600_NS6detail15normal_iteratorINS9_10device_ptrIyEEEESE_y11max_functorIyEyEEDaPvRmT3_T4_T5_mT6_P12ihipStream_tbENKUlT_T0_E_clISt17integral_constantIbLb0EESU_EEDaSP_SQ_EUlSP_E0_NS1_11comp_targetILNS1_3genE4ELNS1_11target_archE910ELNS1_3gpuE8ELNS1_3repE0EEENS1_30default_config_static_selectorELNS0_4arch9wavefront6targetE1EEEvT1_,"axG",@progbits,_ZN7rocprim17ROCPRIM_400000_NS6detail17trampoline_kernelINS0_14default_configENS1_20scan_config_selectorIyEEZZNS1_9scan_implILNS1_25lookback_scan_determinismE0ELb1ELb1ES3_N6thrust23THRUST_200600_302600_NS6detail15normal_iteratorINS9_10device_ptrIyEEEESE_y11max_functorIyEyEEDaPvRmT3_T4_T5_mT6_P12ihipStream_tbENKUlT_T0_E_clISt17integral_constantIbLb0EESU_EEDaSP_SQ_EUlSP_E0_NS1_11comp_targetILNS1_3genE4ELNS1_11target_archE910ELNS1_3gpuE8ELNS1_3repE0EEENS1_30default_config_static_selectorELNS0_4arch9wavefront6targetE1EEEvT1_,comdat
.Lfunc_end2183:
	.size	_ZN7rocprim17ROCPRIM_400000_NS6detail17trampoline_kernelINS0_14default_configENS1_20scan_config_selectorIyEEZZNS1_9scan_implILNS1_25lookback_scan_determinismE0ELb1ELb1ES3_N6thrust23THRUST_200600_302600_NS6detail15normal_iteratorINS9_10device_ptrIyEEEESE_y11max_functorIyEyEEDaPvRmT3_T4_T5_mT6_P12ihipStream_tbENKUlT_T0_E_clISt17integral_constantIbLb0EESU_EEDaSP_SQ_EUlSP_E0_NS1_11comp_targetILNS1_3genE4ELNS1_11target_archE910ELNS1_3gpuE8ELNS1_3repE0EEENS1_30default_config_static_selectorELNS0_4arch9wavefront6targetE1EEEvT1_, .Lfunc_end2183-_ZN7rocprim17ROCPRIM_400000_NS6detail17trampoline_kernelINS0_14default_configENS1_20scan_config_selectorIyEEZZNS1_9scan_implILNS1_25lookback_scan_determinismE0ELb1ELb1ES3_N6thrust23THRUST_200600_302600_NS6detail15normal_iteratorINS9_10device_ptrIyEEEESE_y11max_functorIyEyEEDaPvRmT3_T4_T5_mT6_P12ihipStream_tbENKUlT_T0_E_clISt17integral_constantIbLb0EESU_EEDaSP_SQ_EUlSP_E0_NS1_11comp_targetILNS1_3genE4ELNS1_11target_archE910ELNS1_3gpuE8ELNS1_3repE0EEENS1_30default_config_static_selectorELNS0_4arch9wavefront6targetE1EEEvT1_
                                        ; -- End function
	.section	.AMDGPU.csdata,"",@progbits
; Kernel info:
; codeLenInByte = 1916
; NumSgprs: 28
; NumVgprs: 30
; NumAgprs: 0
; TotalNumVgprs: 30
; ScratchSize: 0
; MemoryBound: 0
; FloatMode: 240
; IeeeMode: 1
; LDSByteSize: 7168 bytes/workgroup (compile time only)
; SGPRBlocks: 3
; VGPRBlocks: 3
; NumSGPRsForWavesPerEU: 28
; NumVGPRsForWavesPerEU: 30
; AccumOffset: 32
; Occupancy: 5
; WaveLimiterHint : 0
; COMPUTE_PGM_RSRC2:SCRATCH_EN: 0
; COMPUTE_PGM_RSRC2:USER_SGPR: 6
; COMPUTE_PGM_RSRC2:TRAP_HANDLER: 0
; COMPUTE_PGM_RSRC2:TGID_X_EN: 1
; COMPUTE_PGM_RSRC2:TGID_Y_EN: 0
; COMPUTE_PGM_RSRC2:TGID_Z_EN: 0
; COMPUTE_PGM_RSRC2:TIDIG_COMP_CNT: 0
; COMPUTE_PGM_RSRC3_GFX90A:ACCUM_OFFSET: 7
; COMPUTE_PGM_RSRC3_GFX90A:TG_SPLIT: 0
	.section	.text._ZN7rocprim17ROCPRIM_400000_NS6detail17trampoline_kernelINS0_14default_configENS1_20scan_config_selectorIyEEZZNS1_9scan_implILNS1_25lookback_scan_determinismE0ELb1ELb1ES3_N6thrust23THRUST_200600_302600_NS6detail15normal_iteratorINS9_10device_ptrIyEEEESE_y11max_functorIyEyEEDaPvRmT3_T4_T5_mT6_P12ihipStream_tbENKUlT_T0_E_clISt17integral_constantIbLb0EESU_EEDaSP_SQ_EUlSP_E0_NS1_11comp_targetILNS1_3genE3ELNS1_11target_archE908ELNS1_3gpuE7ELNS1_3repE0EEENS1_30default_config_static_selectorELNS0_4arch9wavefront6targetE1EEEvT1_,"axG",@progbits,_ZN7rocprim17ROCPRIM_400000_NS6detail17trampoline_kernelINS0_14default_configENS1_20scan_config_selectorIyEEZZNS1_9scan_implILNS1_25lookback_scan_determinismE0ELb1ELb1ES3_N6thrust23THRUST_200600_302600_NS6detail15normal_iteratorINS9_10device_ptrIyEEEESE_y11max_functorIyEyEEDaPvRmT3_T4_T5_mT6_P12ihipStream_tbENKUlT_T0_E_clISt17integral_constantIbLb0EESU_EEDaSP_SQ_EUlSP_E0_NS1_11comp_targetILNS1_3genE3ELNS1_11target_archE908ELNS1_3gpuE7ELNS1_3repE0EEENS1_30default_config_static_selectorELNS0_4arch9wavefront6targetE1EEEvT1_,comdat
	.protected	_ZN7rocprim17ROCPRIM_400000_NS6detail17trampoline_kernelINS0_14default_configENS1_20scan_config_selectorIyEEZZNS1_9scan_implILNS1_25lookback_scan_determinismE0ELb1ELb1ES3_N6thrust23THRUST_200600_302600_NS6detail15normal_iteratorINS9_10device_ptrIyEEEESE_y11max_functorIyEyEEDaPvRmT3_T4_T5_mT6_P12ihipStream_tbENKUlT_T0_E_clISt17integral_constantIbLb0EESU_EEDaSP_SQ_EUlSP_E0_NS1_11comp_targetILNS1_3genE3ELNS1_11target_archE908ELNS1_3gpuE7ELNS1_3repE0EEENS1_30default_config_static_selectorELNS0_4arch9wavefront6targetE1EEEvT1_ ; -- Begin function _ZN7rocprim17ROCPRIM_400000_NS6detail17trampoline_kernelINS0_14default_configENS1_20scan_config_selectorIyEEZZNS1_9scan_implILNS1_25lookback_scan_determinismE0ELb1ELb1ES3_N6thrust23THRUST_200600_302600_NS6detail15normal_iteratorINS9_10device_ptrIyEEEESE_y11max_functorIyEyEEDaPvRmT3_T4_T5_mT6_P12ihipStream_tbENKUlT_T0_E_clISt17integral_constantIbLb0EESU_EEDaSP_SQ_EUlSP_E0_NS1_11comp_targetILNS1_3genE3ELNS1_11target_archE908ELNS1_3gpuE7ELNS1_3repE0EEENS1_30default_config_static_selectorELNS0_4arch9wavefront6targetE1EEEvT1_
	.globl	_ZN7rocprim17ROCPRIM_400000_NS6detail17trampoline_kernelINS0_14default_configENS1_20scan_config_selectorIyEEZZNS1_9scan_implILNS1_25lookback_scan_determinismE0ELb1ELb1ES3_N6thrust23THRUST_200600_302600_NS6detail15normal_iteratorINS9_10device_ptrIyEEEESE_y11max_functorIyEyEEDaPvRmT3_T4_T5_mT6_P12ihipStream_tbENKUlT_T0_E_clISt17integral_constantIbLb0EESU_EEDaSP_SQ_EUlSP_E0_NS1_11comp_targetILNS1_3genE3ELNS1_11target_archE908ELNS1_3gpuE7ELNS1_3repE0EEENS1_30default_config_static_selectorELNS0_4arch9wavefront6targetE1EEEvT1_
	.p2align	8
	.type	_ZN7rocprim17ROCPRIM_400000_NS6detail17trampoline_kernelINS0_14default_configENS1_20scan_config_selectorIyEEZZNS1_9scan_implILNS1_25lookback_scan_determinismE0ELb1ELb1ES3_N6thrust23THRUST_200600_302600_NS6detail15normal_iteratorINS9_10device_ptrIyEEEESE_y11max_functorIyEyEEDaPvRmT3_T4_T5_mT6_P12ihipStream_tbENKUlT_T0_E_clISt17integral_constantIbLb0EESU_EEDaSP_SQ_EUlSP_E0_NS1_11comp_targetILNS1_3genE3ELNS1_11target_archE908ELNS1_3gpuE7ELNS1_3repE0EEENS1_30default_config_static_selectorELNS0_4arch9wavefront6targetE1EEEvT1_,@function
_ZN7rocprim17ROCPRIM_400000_NS6detail17trampoline_kernelINS0_14default_configENS1_20scan_config_selectorIyEEZZNS1_9scan_implILNS1_25lookback_scan_determinismE0ELb1ELb1ES3_N6thrust23THRUST_200600_302600_NS6detail15normal_iteratorINS9_10device_ptrIyEEEESE_y11max_functorIyEyEEDaPvRmT3_T4_T5_mT6_P12ihipStream_tbENKUlT_T0_E_clISt17integral_constantIbLb0EESU_EEDaSP_SQ_EUlSP_E0_NS1_11comp_targetILNS1_3genE3ELNS1_11target_archE908ELNS1_3gpuE7ELNS1_3repE0EEENS1_30default_config_static_selectorELNS0_4arch9wavefront6targetE1EEEvT1_: ; @_ZN7rocprim17ROCPRIM_400000_NS6detail17trampoline_kernelINS0_14default_configENS1_20scan_config_selectorIyEEZZNS1_9scan_implILNS1_25lookback_scan_determinismE0ELb1ELb1ES3_N6thrust23THRUST_200600_302600_NS6detail15normal_iteratorINS9_10device_ptrIyEEEESE_y11max_functorIyEyEEDaPvRmT3_T4_T5_mT6_P12ihipStream_tbENKUlT_T0_E_clISt17integral_constantIbLb0EESU_EEDaSP_SQ_EUlSP_E0_NS1_11comp_targetILNS1_3genE3ELNS1_11target_archE908ELNS1_3gpuE7ELNS1_3repE0EEENS1_30default_config_static_selectorELNS0_4arch9wavefront6targetE1EEEvT1_
; %bb.0:
	.section	.rodata,"a",@progbits
	.p2align	6, 0x0
	.amdhsa_kernel _ZN7rocprim17ROCPRIM_400000_NS6detail17trampoline_kernelINS0_14default_configENS1_20scan_config_selectorIyEEZZNS1_9scan_implILNS1_25lookback_scan_determinismE0ELb1ELb1ES3_N6thrust23THRUST_200600_302600_NS6detail15normal_iteratorINS9_10device_ptrIyEEEESE_y11max_functorIyEyEEDaPvRmT3_T4_T5_mT6_P12ihipStream_tbENKUlT_T0_E_clISt17integral_constantIbLb0EESU_EEDaSP_SQ_EUlSP_E0_NS1_11comp_targetILNS1_3genE3ELNS1_11target_archE908ELNS1_3gpuE7ELNS1_3repE0EEENS1_30default_config_static_selectorELNS0_4arch9wavefront6targetE1EEEvT1_
		.amdhsa_group_segment_fixed_size 0
		.amdhsa_private_segment_fixed_size 0
		.amdhsa_kernarg_size 40
		.amdhsa_user_sgpr_count 6
		.amdhsa_user_sgpr_private_segment_buffer 1
		.amdhsa_user_sgpr_dispatch_ptr 0
		.amdhsa_user_sgpr_queue_ptr 0
		.amdhsa_user_sgpr_kernarg_segment_ptr 1
		.amdhsa_user_sgpr_dispatch_id 0
		.amdhsa_user_sgpr_flat_scratch_init 0
		.amdhsa_user_sgpr_kernarg_preload_length 0
		.amdhsa_user_sgpr_kernarg_preload_offset 0
		.amdhsa_user_sgpr_private_segment_size 0
		.amdhsa_uses_dynamic_stack 0
		.amdhsa_system_sgpr_private_segment_wavefront_offset 0
		.amdhsa_system_sgpr_workgroup_id_x 1
		.amdhsa_system_sgpr_workgroup_id_y 0
		.amdhsa_system_sgpr_workgroup_id_z 0
		.amdhsa_system_sgpr_workgroup_info 0
		.amdhsa_system_vgpr_workitem_id 0
		.amdhsa_next_free_vgpr 1
		.amdhsa_next_free_sgpr 0
		.amdhsa_accum_offset 4
		.amdhsa_reserve_vcc 0
		.amdhsa_reserve_flat_scratch 0
		.amdhsa_float_round_mode_32 0
		.amdhsa_float_round_mode_16_64 0
		.amdhsa_float_denorm_mode_32 3
		.amdhsa_float_denorm_mode_16_64 3
		.amdhsa_dx10_clamp 1
		.amdhsa_ieee_mode 1
		.amdhsa_fp16_overflow 0
		.amdhsa_tg_split 0
		.amdhsa_exception_fp_ieee_invalid_op 0
		.amdhsa_exception_fp_denorm_src 0
		.amdhsa_exception_fp_ieee_div_zero 0
		.amdhsa_exception_fp_ieee_overflow 0
		.amdhsa_exception_fp_ieee_underflow 0
		.amdhsa_exception_fp_ieee_inexact 0
		.amdhsa_exception_int_div_zero 0
	.end_amdhsa_kernel
	.section	.text._ZN7rocprim17ROCPRIM_400000_NS6detail17trampoline_kernelINS0_14default_configENS1_20scan_config_selectorIyEEZZNS1_9scan_implILNS1_25lookback_scan_determinismE0ELb1ELb1ES3_N6thrust23THRUST_200600_302600_NS6detail15normal_iteratorINS9_10device_ptrIyEEEESE_y11max_functorIyEyEEDaPvRmT3_T4_T5_mT6_P12ihipStream_tbENKUlT_T0_E_clISt17integral_constantIbLb0EESU_EEDaSP_SQ_EUlSP_E0_NS1_11comp_targetILNS1_3genE3ELNS1_11target_archE908ELNS1_3gpuE7ELNS1_3repE0EEENS1_30default_config_static_selectorELNS0_4arch9wavefront6targetE1EEEvT1_,"axG",@progbits,_ZN7rocprim17ROCPRIM_400000_NS6detail17trampoline_kernelINS0_14default_configENS1_20scan_config_selectorIyEEZZNS1_9scan_implILNS1_25lookback_scan_determinismE0ELb1ELb1ES3_N6thrust23THRUST_200600_302600_NS6detail15normal_iteratorINS9_10device_ptrIyEEEESE_y11max_functorIyEyEEDaPvRmT3_T4_T5_mT6_P12ihipStream_tbENKUlT_T0_E_clISt17integral_constantIbLb0EESU_EEDaSP_SQ_EUlSP_E0_NS1_11comp_targetILNS1_3genE3ELNS1_11target_archE908ELNS1_3gpuE7ELNS1_3repE0EEENS1_30default_config_static_selectorELNS0_4arch9wavefront6targetE1EEEvT1_,comdat
.Lfunc_end2184:
	.size	_ZN7rocprim17ROCPRIM_400000_NS6detail17trampoline_kernelINS0_14default_configENS1_20scan_config_selectorIyEEZZNS1_9scan_implILNS1_25lookback_scan_determinismE0ELb1ELb1ES3_N6thrust23THRUST_200600_302600_NS6detail15normal_iteratorINS9_10device_ptrIyEEEESE_y11max_functorIyEyEEDaPvRmT3_T4_T5_mT6_P12ihipStream_tbENKUlT_T0_E_clISt17integral_constantIbLb0EESU_EEDaSP_SQ_EUlSP_E0_NS1_11comp_targetILNS1_3genE3ELNS1_11target_archE908ELNS1_3gpuE7ELNS1_3repE0EEENS1_30default_config_static_selectorELNS0_4arch9wavefront6targetE1EEEvT1_, .Lfunc_end2184-_ZN7rocprim17ROCPRIM_400000_NS6detail17trampoline_kernelINS0_14default_configENS1_20scan_config_selectorIyEEZZNS1_9scan_implILNS1_25lookback_scan_determinismE0ELb1ELb1ES3_N6thrust23THRUST_200600_302600_NS6detail15normal_iteratorINS9_10device_ptrIyEEEESE_y11max_functorIyEyEEDaPvRmT3_T4_T5_mT6_P12ihipStream_tbENKUlT_T0_E_clISt17integral_constantIbLb0EESU_EEDaSP_SQ_EUlSP_E0_NS1_11comp_targetILNS1_3genE3ELNS1_11target_archE908ELNS1_3gpuE7ELNS1_3repE0EEENS1_30default_config_static_selectorELNS0_4arch9wavefront6targetE1EEEvT1_
                                        ; -- End function
	.section	.AMDGPU.csdata,"",@progbits
; Kernel info:
; codeLenInByte = 0
; NumSgprs: 4
; NumVgprs: 0
; NumAgprs: 0
; TotalNumVgprs: 0
; ScratchSize: 0
; MemoryBound: 0
; FloatMode: 240
; IeeeMode: 1
; LDSByteSize: 0 bytes/workgroup (compile time only)
; SGPRBlocks: 0
; VGPRBlocks: 0
; NumSGPRsForWavesPerEU: 4
; NumVGPRsForWavesPerEU: 1
; AccumOffset: 4
; Occupancy: 8
; WaveLimiterHint : 0
; COMPUTE_PGM_RSRC2:SCRATCH_EN: 0
; COMPUTE_PGM_RSRC2:USER_SGPR: 6
; COMPUTE_PGM_RSRC2:TRAP_HANDLER: 0
; COMPUTE_PGM_RSRC2:TGID_X_EN: 1
; COMPUTE_PGM_RSRC2:TGID_Y_EN: 0
; COMPUTE_PGM_RSRC2:TGID_Z_EN: 0
; COMPUTE_PGM_RSRC2:TIDIG_COMP_CNT: 0
; COMPUTE_PGM_RSRC3_GFX90A:ACCUM_OFFSET: 0
; COMPUTE_PGM_RSRC3_GFX90A:TG_SPLIT: 0
	.section	.text._ZN7rocprim17ROCPRIM_400000_NS6detail17trampoline_kernelINS0_14default_configENS1_20scan_config_selectorIyEEZZNS1_9scan_implILNS1_25lookback_scan_determinismE0ELb1ELb1ES3_N6thrust23THRUST_200600_302600_NS6detail15normal_iteratorINS9_10device_ptrIyEEEESE_y11max_functorIyEyEEDaPvRmT3_T4_T5_mT6_P12ihipStream_tbENKUlT_T0_E_clISt17integral_constantIbLb0EESU_EEDaSP_SQ_EUlSP_E0_NS1_11comp_targetILNS1_3genE2ELNS1_11target_archE906ELNS1_3gpuE6ELNS1_3repE0EEENS1_30default_config_static_selectorELNS0_4arch9wavefront6targetE1EEEvT1_,"axG",@progbits,_ZN7rocprim17ROCPRIM_400000_NS6detail17trampoline_kernelINS0_14default_configENS1_20scan_config_selectorIyEEZZNS1_9scan_implILNS1_25lookback_scan_determinismE0ELb1ELb1ES3_N6thrust23THRUST_200600_302600_NS6detail15normal_iteratorINS9_10device_ptrIyEEEESE_y11max_functorIyEyEEDaPvRmT3_T4_T5_mT6_P12ihipStream_tbENKUlT_T0_E_clISt17integral_constantIbLb0EESU_EEDaSP_SQ_EUlSP_E0_NS1_11comp_targetILNS1_3genE2ELNS1_11target_archE906ELNS1_3gpuE6ELNS1_3repE0EEENS1_30default_config_static_selectorELNS0_4arch9wavefront6targetE1EEEvT1_,comdat
	.protected	_ZN7rocprim17ROCPRIM_400000_NS6detail17trampoline_kernelINS0_14default_configENS1_20scan_config_selectorIyEEZZNS1_9scan_implILNS1_25lookback_scan_determinismE0ELb1ELb1ES3_N6thrust23THRUST_200600_302600_NS6detail15normal_iteratorINS9_10device_ptrIyEEEESE_y11max_functorIyEyEEDaPvRmT3_T4_T5_mT6_P12ihipStream_tbENKUlT_T0_E_clISt17integral_constantIbLb0EESU_EEDaSP_SQ_EUlSP_E0_NS1_11comp_targetILNS1_3genE2ELNS1_11target_archE906ELNS1_3gpuE6ELNS1_3repE0EEENS1_30default_config_static_selectorELNS0_4arch9wavefront6targetE1EEEvT1_ ; -- Begin function _ZN7rocprim17ROCPRIM_400000_NS6detail17trampoline_kernelINS0_14default_configENS1_20scan_config_selectorIyEEZZNS1_9scan_implILNS1_25lookback_scan_determinismE0ELb1ELb1ES3_N6thrust23THRUST_200600_302600_NS6detail15normal_iteratorINS9_10device_ptrIyEEEESE_y11max_functorIyEyEEDaPvRmT3_T4_T5_mT6_P12ihipStream_tbENKUlT_T0_E_clISt17integral_constantIbLb0EESU_EEDaSP_SQ_EUlSP_E0_NS1_11comp_targetILNS1_3genE2ELNS1_11target_archE906ELNS1_3gpuE6ELNS1_3repE0EEENS1_30default_config_static_selectorELNS0_4arch9wavefront6targetE1EEEvT1_
	.globl	_ZN7rocprim17ROCPRIM_400000_NS6detail17trampoline_kernelINS0_14default_configENS1_20scan_config_selectorIyEEZZNS1_9scan_implILNS1_25lookback_scan_determinismE0ELb1ELb1ES3_N6thrust23THRUST_200600_302600_NS6detail15normal_iteratorINS9_10device_ptrIyEEEESE_y11max_functorIyEyEEDaPvRmT3_T4_T5_mT6_P12ihipStream_tbENKUlT_T0_E_clISt17integral_constantIbLb0EESU_EEDaSP_SQ_EUlSP_E0_NS1_11comp_targetILNS1_3genE2ELNS1_11target_archE906ELNS1_3gpuE6ELNS1_3repE0EEENS1_30default_config_static_selectorELNS0_4arch9wavefront6targetE1EEEvT1_
	.p2align	8
	.type	_ZN7rocprim17ROCPRIM_400000_NS6detail17trampoline_kernelINS0_14default_configENS1_20scan_config_selectorIyEEZZNS1_9scan_implILNS1_25lookback_scan_determinismE0ELb1ELb1ES3_N6thrust23THRUST_200600_302600_NS6detail15normal_iteratorINS9_10device_ptrIyEEEESE_y11max_functorIyEyEEDaPvRmT3_T4_T5_mT6_P12ihipStream_tbENKUlT_T0_E_clISt17integral_constantIbLb0EESU_EEDaSP_SQ_EUlSP_E0_NS1_11comp_targetILNS1_3genE2ELNS1_11target_archE906ELNS1_3gpuE6ELNS1_3repE0EEENS1_30default_config_static_selectorELNS0_4arch9wavefront6targetE1EEEvT1_,@function
_ZN7rocprim17ROCPRIM_400000_NS6detail17trampoline_kernelINS0_14default_configENS1_20scan_config_selectorIyEEZZNS1_9scan_implILNS1_25lookback_scan_determinismE0ELb1ELb1ES3_N6thrust23THRUST_200600_302600_NS6detail15normal_iteratorINS9_10device_ptrIyEEEESE_y11max_functorIyEyEEDaPvRmT3_T4_T5_mT6_P12ihipStream_tbENKUlT_T0_E_clISt17integral_constantIbLb0EESU_EEDaSP_SQ_EUlSP_E0_NS1_11comp_targetILNS1_3genE2ELNS1_11target_archE906ELNS1_3gpuE6ELNS1_3repE0EEENS1_30default_config_static_selectorELNS0_4arch9wavefront6targetE1EEEvT1_: ; @_ZN7rocprim17ROCPRIM_400000_NS6detail17trampoline_kernelINS0_14default_configENS1_20scan_config_selectorIyEEZZNS1_9scan_implILNS1_25lookback_scan_determinismE0ELb1ELb1ES3_N6thrust23THRUST_200600_302600_NS6detail15normal_iteratorINS9_10device_ptrIyEEEESE_y11max_functorIyEyEEDaPvRmT3_T4_T5_mT6_P12ihipStream_tbENKUlT_T0_E_clISt17integral_constantIbLb0EESU_EEDaSP_SQ_EUlSP_E0_NS1_11comp_targetILNS1_3genE2ELNS1_11target_archE906ELNS1_3gpuE6ELNS1_3repE0EEENS1_30default_config_static_selectorELNS0_4arch9wavefront6targetE1EEEvT1_
; %bb.0:
	.section	.rodata,"a",@progbits
	.p2align	6, 0x0
	.amdhsa_kernel _ZN7rocprim17ROCPRIM_400000_NS6detail17trampoline_kernelINS0_14default_configENS1_20scan_config_selectorIyEEZZNS1_9scan_implILNS1_25lookback_scan_determinismE0ELb1ELb1ES3_N6thrust23THRUST_200600_302600_NS6detail15normal_iteratorINS9_10device_ptrIyEEEESE_y11max_functorIyEyEEDaPvRmT3_T4_T5_mT6_P12ihipStream_tbENKUlT_T0_E_clISt17integral_constantIbLb0EESU_EEDaSP_SQ_EUlSP_E0_NS1_11comp_targetILNS1_3genE2ELNS1_11target_archE906ELNS1_3gpuE6ELNS1_3repE0EEENS1_30default_config_static_selectorELNS0_4arch9wavefront6targetE1EEEvT1_
		.amdhsa_group_segment_fixed_size 0
		.amdhsa_private_segment_fixed_size 0
		.amdhsa_kernarg_size 40
		.amdhsa_user_sgpr_count 6
		.amdhsa_user_sgpr_private_segment_buffer 1
		.amdhsa_user_sgpr_dispatch_ptr 0
		.amdhsa_user_sgpr_queue_ptr 0
		.amdhsa_user_sgpr_kernarg_segment_ptr 1
		.amdhsa_user_sgpr_dispatch_id 0
		.amdhsa_user_sgpr_flat_scratch_init 0
		.amdhsa_user_sgpr_kernarg_preload_length 0
		.amdhsa_user_sgpr_kernarg_preload_offset 0
		.amdhsa_user_sgpr_private_segment_size 0
		.amdhsa_uses_dynamic_stack 0
		.amdhsa_system_sgpr_private_segment_wavefront_offset 0
		.amdhsa_system_sgpr_workgroup_id_x 1
		.amdhsa_system_sgpr_workgroup_id_y 0
		.amdhsa_system_sgpr_workgroup_id_z 0
		.amdhsa_system_sgpr_workgroup_info 0
		.amdhsa_system_vgpr_workitem_id 0
		.amdhsa_next_free_vgpr 1
		.amdhsa_next_free_sgpr 0
		.amdhsa_accum_offset 4
		.amdhsa_reserve_vcc 0
		.amdhsa_reserve_flat_scratch 0
		.amdhsa_float_round_mode_32 0
		.amdhsa_float_round_mode_16_64 0
		.amdhsa_float_denorm_mode_32 3
		.amdhsa_float_denorm_mode_16_64 3
		.amdhsa_dx10_clamp 1
		.amdhsa_ieee_mode 1
		.amdhsa_fp16_overflow 0
		.amdhsa_tg_split 0
		.amdhsa_exception_fp_ieee_invalid_op 0
		.amdhsa_exception_fp_denorm_src 0
		.amdhsa_exception_fp_ieee_div_zero 0
		.amdhsa_exception_fp_ieee_overflow 0
		.amdhsa_exception_fp_ieee_underflow 0
		.amdhsa_exception_fp_ieee_inexact 0
		.amdhsa_exception_int_div_zero 0
	.end_amdhsa_kernel
	.section	.text._ZN7rocprim17ROCPRIM_400000_NS6detail17trampoline_kernelINS0_14default_configENS1_20scan_config_selectorIyEEZZNS1_9scan_implILNS1_25lookback_scan_determinismE0ELb1ELb1ES3_N6thrust23THRUST_200600_302600_NS6detail15normal_iteratorINS9_10device_ptrIyEEEESE_y11max_functorIyEyEEDaPvRmT3_T4_T5_mT6_P12ihipStream_tbENKUlT_T0_E_clISt17integral_constantIbLb0EESU_EEDaSP_SQ_EUlSP_E0_NS1_11comp_targetILNS1_3genE2ELNS1_11target_archE906ELNS1_3gpuE6ELNS1_3repE0EEENS1_30default_config_static_selectorELNS0_4arch9wavefront6targetE1EEEvT1_,"axG",@progbits,_ZN7rocprim17ROCPRIM_400000_NS6detail17trampoline_kernelINS0_14default_configENS1_20scan_config_selectorIyEEZZNS1_9scan_implILNS1_25lookback_scan_determinismE0ELb1ELb1ES3_N6thrust23THRUST_200600_302600_NS6detail15normal_iteratorINS9_10device_ptrIyEEEESE_y11max_functorIyEyEEDaPvRmT3_T4_T5_mT6_P12ihipStream_tbENKUlT_T0_E_clISt17integral_constantIbLb0EESU_EEDaSP_SQ_EUlSP_E0_NS1_11comp_targetILNS1_3genE2ELNS1_11target_archE906ELNS1_3gpuE6ELNS1_3repE0EEENS1_30default_config_static_selectorELNS0_4arch9wavefront6targetE1EEEvT1_,comdat
.Lfunc_end2185:
	.size	_ZN7rocprim17ROCPRIM_400000_NS6detail17trampoline_kernelINS0_14default_configENS1_20scan_config_selectorIyEEZZNS1_9scan_implILNS1_25lookback_scan_determinismE0ELb1ELb1ES3_N6thrust23THRUST_200600_302600_NS6detail15normal_iteratorINS9_10device_ptrIyEEEESE_y11max_functorIyEyEEDaPvRmT3_T4_T5_mT6_P12ihipStream_tbENKUlT_T0_E_clISt17integral_constantIbLb0EESU_EEDaSP_SQ_EUlSP_E0_NS1_11comp_targetILNS1_3genE2ELNS1_11target_archE906ELNS1_3gpuE6ELNS1_3repE0EEENS1_30default_config_static_selectorELNS0_4arch9wavefront6targetE1EEEvT1_, .Lfunc_end2185-_ZN7rocprim17ROCPRIM_400000_NS6detail17trampoline_kernelINS0_14default_configENS1_20scan_config_selectorIyEEZZNS1_9scan_implILNS1_25lookback_scan_determinismE0ELb1ELb1ES3_N6thrust23THRUST_200600_302600_NS6detail15normal_iteratorINS9_10device_ptrIyEEEESE_y11max_functorIyEyEEDaPvRmT3_T4_T5_mT6_P12ihipStream_tbENKUlT_T0_E_clISt17integral_constantIbLb0EESU_EEDaSP_SQ_EUlSP_E0_NS1_11comp_targetILNS1_3genE2ELNS1_11target_archE906ELNS1_3gpuE6ELNS1_3repE0EEENS1_30default_config_static_selectorELNS0_4arch9wavefront6targetE1EEEvT1_
                                        ; -- End function
	.section	.AMDGPU.csdata,"",@progbits
; Kernel info:
; codeLenInByte = 0
; NumSgprs: 4
; NumVgprs: 0
; NumAgprs: 0
; TotalNumVgprs: 0
; ScratchSize: 0
; MemoryBound: 0
; FloatMode: 240
; IeeeMode: 1
; LDSByteSize: 0 bytes/workgroup (compile time only)
; SGPRBlocks: 0
; VGPRBlocks: 0
; NumSGPRsForWavesPerEU: 4
; NumVGPRsForWavesPerEU: 1
; AccumOffset: 4
; Occupancy: 8
; WaveLimiterHint : 0
; COMPUTE_PGM_RSRC2:SCRATCH_EN: 0
; COMPUTE_PGM_RSRC2:USER_SGPR: 6
; COMPUTE_PGM_RSRC2:TRAP_HANDLER: 0
; COMPUTE_PGM_RSRC2:TGID_X_EN: 1
; COMPUTE_PGM_RSRC2:TGID_Y_EN: 0
; COMPUTE_PGM_RSRC2:TGID_Z_EN: 0
; COMPUTE_PGM_RSRC2:TIDIG_COMP_CNT: 0
; COMPUTE_PGM_RSRC3_GFX90A:ACCUM_OFFSET: 0
; COMPUTE_PGM_RSRC3_GFX90A:TG_SPLIT: 0
	.section	.text._ZN7rocprim17ROCPRIM_400000_NS6detail17trampoline_kernelINS0_14default_configENS1_20scan_config_selectorIyEEZZNS1_9scan_implILNS1_25lookback_scan_determinismE0ELb1ELb1ES3_N6thrust23THRUST_200600_302600_NS6detail15normal_iteratorINS9_10device_ptrIyEEEESE_y11max_functorIyEyEEDaPvRmT3_T4_T5_mT6_P12ihipStream_tbENKUlT_T0_E_clISt17integral_constantIbLb0EESU_EEDaSP_SQ_EUlSP_E0_NS1_11comp_targetILNS1_3genE10ELNS1_11target_archE1201ELNS1_3gpuE5ELNS1_3repE0EEENS1_30default_config_static_selectorELNS0_4arch9wavefront6targetE1EEEvT1_,"axG",@progbits,_ZN7rocprim17ROCPRIM_400000_NS6detail17trampoline_kernelINS0_14default_configENS1_20scan_config_selectorIyEEZZNS1_9scan_implILNS1_25lookback_scan_determinismE0ELb1ELb1ES3_N6thrust23THRUST_200600_302600_NS6detail15normal_iteratorINS9_10device_ptrIyEEEESE_y11max_functorIyEyEEDaPvRmT3_T4_T5_mT6_P12ihipStream_tbENKUlT_T0_E_clISt17integral_constantIbLb0EESU_EEDaSP_SQ_EUlSP_E0_NS1_11comp_targetILNS1_3genE10ELNS1_11target_archE1201ELNS1_3gpuE5ELNS1_3repE0EEENS1_30default_config_static_selectorELNS0_4arch9wavefront6targetE1EEEvT1_,comdat
	.protected	_ZN7rocprim17ROCPRIM_400000_NS6detail17trampoline_kernelINS0_14default_configENS1_20scan_config_selectorIyEEZZNS1_9scan_implILNS1_25lookback_scan_determinismE0ELb1ELb1ES3_N6thrust23THRUST_200600_302600_NS6detail15normal_iteratorINS9_10device_ptrIyEEEESE_y11max_functorIyEyEEDaPvRmT3_T4_T5_mT6_P12ihipStream_tbENKUlT_T0_E_clISt17integral_constantIbLb0EESU_EEDaSP_SQ_EUlSP_E0_NS1_11comp_targetILNS1_3genE10ELNS1_11target_archE1201ELNS1_3gpuE5ELNS1_3repE0EEENS1_30default_config_static_selectorELNS0_4arch9wavefront6targetE1EEEvT1_ ; -- Begin function _ZN7rocprim17ROCPRIM_400000_NS6detail17trampoline_kernelINS0_14default_configENS1_20scan_config_selectorIyEEZZNS1_9scan_implILNS1_25lookback_scan_determinismE0ELb1ELb1ES3_N6thrust23THRUST_200600_302600_NS6detail15normal_iteratorINS9_10device_ptrIyEEEESE_y11max_functorIyEyEEDaPvRmT3_T4_T5_mT6_P12ihipStream_tbENKUlT_T0_E_clISt17integral_constantIbLb0EESU_EEDaSP_SQ_EUlSP_E0_NS1_11comp_targetILNS1_3genE10ELNS1_11target_archE1201ELNS1_3gpuE5ELNS1_3repE0EEENS1_30default_config_static_selectorELNS0_4arch9wavefront6targetE1EEEvT1_
	.globl	_ZN7rocprim17ROCPRIM_400000_NS6detail17trampoline_kernelINS0_14default_configENS1_20scan_config_selectorIyEEZZNS1_9scan_implILNS1_25lookback_scan_determinismE0ELb1ELb1ES3_N6thrust23THRUST_200600_302600_NS6detail15normal_iteratorINS9_10device_ptrIyEEEESE_y11max_functorIyEyEEDaPvRmT3_T4_T5_mT6_P12ihipStream_tbENKUlT_T0_E_clISt17integral_constantIbLb0EESU_EEDaSP_SQ_EUlSP_E0_NS1_11comp_targetILNS1_3genE10ELNS1_11target_archE1201ELNS1_3gpuE5ELNS1_3repE0EEENS1_30default_config_static_selectorELNS0_4arch9wavefront6targetE1EEEvT1_
	.p2align	8
	.type	_ZN7rocprim17ROCPRIM_400000_NS6detail17trampoline_kernelINS0_14default_configENS1_20scan_config_selectorIyEEZZNS1_9scan_implILNS1_25lookback_scan_determinismE0ELb1ELb1ES3_N6thrust23THRUST_200600_302600_NS6detail15normal_iteratorINS9_10device_ptrIyEEEESE_y11max_functorIyEyEEDaPvRmT3_T4_T5_mT6_P12ihipStream_tbENKUlT_T0_E_clISt17integral_constantIbLb0EESU_EEDaSP_SQ_EUlSP_E0_NS1_11comp_targetILNS1_3genE10ELNS1_11target_archE1201ELNS1_3gpuE5ELNS1_3repE0EEENS1_30default_config_static_selectorELNS0_4arch9wavefront6targetE1EEEvT1_,@function
_ZN7rocprim17ROCPRIM_400000_NS6detail17trampoline_kernelINS0_14default_configENS1_20scan_config_selectorIyEEZZNS1_9scan_implILNS1_25lookback_scan_determinismE0ELb1ELb1ES3_N6thrust23THRUST_200600_302600_NS6detail15normal_iteratorINS9_10device_ptrIyEEEESE_y11max_functorIyEyEEDaPvRmT3_T4_T5_mT6_P12ihipStream_tbENKUlT_T0_E_clISt17integral_constantIbLb0EESU_EEDaSP_SQ_EUlSP_E0_NS1_11comp_targetILNS1_3genE10ELNS1_11target_archE1201ELNS1_3gpuE5ELNS1_3repE0EEENS1_30default_config_static_selectorELNS0_4arch9wavefront6targetE1EEEvT1_: ; @_ZN7rocprim17ROCPRIM_400000_NS6detail17trampoline_kernelINS0_14default_configENS1_20scan_config_selectorIyEEZZNS1_9scan_implILNS1_25lookback_scan_determinismE0ELb1ELb1ES3_N6thrust23THRUST_200600_302600_NS6detail15normal_iteratorINS9_10device_ptrIyEEEESE_y11max_functorIyEyEEDaPvRmT3_T4_T5_mT6_P12ihipStream_tbENKUlT_T0_E_clISt17integral_constantIbLb0EESU_EEDaSP_SQ_EUlSP_E0_NS1_11comp_targetILNS1_3genE10ELNS1_11target_archE1201ELNS1_3gpuE5ELNS1_3repE0EEENS1_30default_config_static_selectorELNS0_4arch9wavefront6targetE1EEEvT1_
; %bb.0:
	.section	.rodata,"a",@progbits
	.p2align	6, 0x0
	.amdhsa_kernel _ZN7rocprim17ROCPRIM_400000_NS6detail17trampoline_kernelINS0_14default_configENS1_20scan_config_selectorIyEEZZNS1_9scan_implILNS1_25lookback_scan_determinismE0ELb1ELb1ES3_N6thrust23THRUST_200600_302600_NS6detail15normal_iteratorINS9_10device_ptrIyEEEESE_y11max_functorIyEyEEDaPvRmT3_T4_T5_mT6_P12ihipStream_tbENKUlT_T0_E_clISt17integral_constantIbLb0EESU_EEDaSP_SQ_EUlSP_E0_NS1_11comp_targetILNS1_3genE10ELNS1_11target_archE1201ELNS1_3gpuE5ELNS1_3repE0EEENS1_30default_config_static_selectorELNS0_4arch9wavefront6targetE1EEEvT1_
		.amdhsa_group_segment_fixed_size 0
		.amdhsa_private_segment_fixed_size 0
		.amdhsa_kernarg_size 40
		.amdhsa_user_sgpr_count 6
		.amdhsa_user_sgpr_private_segment_buffer 1
		.amdhsa_user_sgpr_dispatch_ptr 0
		.amdhsa_user_sgpr_queue_ptr 0
		.amdhsa_user_sgpr_kernarg_segment_ptr 1
		.amdhsa_user_sgpr_dispatch_id 0
		.amdhsa_user_sgpr_flat_scratch_init 0
		.amdhsa_user_sgpr_kernarg_preload_length 0
		.amdhsa_user_sgpr_kernarg_preload_offset 0
		.amdhsa_user_sgpr_private_segment_size 0
		.amdhsa_uses_dynamic_stack 0
		.amdhsa_system_sgpr_private_segment_wavefront_offset 0
		.amdhsa_system_sgpr_workgroup_id_x 1
		.amdhsa_system_sgpr_workgroup_id_y 0
		.amdhsa_system_sgpr_workgroup_id_z 0
		.amdhsa_system_sgpr_workgroup_info 0
		.amdhsa_system_vgpr_workitem_id 0
		.amdhsa_next_free_vgpr 1
		.amdhsa_next_free_sgpr 0
		.amdhsa_accum_offset 4
		.amdhsa_reserve_vcc 0
		.amdhsa_reserve_flat_scratch 0
		.amdhsa_float_round_mode_32 0
		.amdhsa_float_round_mode_16_64 0
		.amdhsa_float_denorm_mode_32 3
		.amdhsa_float_denorm_mode_16_64 3
		.amdhsa_dx10_clamp 1
		.amdhsa_ieee_mode 1
		.amdhsa_fp16_overflow 0
		.amdhsa_tg_split 0
		.amdhsa_exception_fp_ieee_invalid_op 0
		.amdhsa_exception_fp_denorm_src 0
		.amdhsa_exception_fp_ieee_div_zero 0
		.amdhsa_exception_fp_ieee_overflow 0
		.amdhsa_exception_fp_ieee_underflow 0
		.amdhsa_exception_fp_ieee_inexact 0
		.amdhsa_exception_int_div_zero 0
	.end_amdhsa_kernel
	.section	.text._ZN7rocprim17ROCPRIM_400000_NS6detail17trampoline_kernelINS0_14default_configENS1_20scan_config_selectorIyEEZZNS1_9scan_implILNS1_25lookback_scan_determinismE0ELb1ELb1ES3_N6thrust23THRUST_200600_302600_NS6detail15normal_iteratorINS9_10device_ptrIyEEEESE_y11max_functorIyEyEEDaPvRmT3_T4_T5_mT6_P12ihipStream_tbENKUlT_T0_E_clISt17integral_constantIbLb0EESU_EEDaSP_SQ_EUlSP_E0_NS1_11comp_targetILNS1_3genE10ELNS1_11target_archE1201ELNS1_3gpuE5ELNS1_3repE0EEENS1_30default_config_static_selectorELNS0_4arch9wavefront6targetE1EEEvT1_,"axG",@progbits,_ZN7rocprim17ROCPRIM_400000_NS6detail17trampoline_kernelINS0_14default_configENS1_20scan_config_selectorIyEEZZNS1_9scan_implILNS1_25lookback_scan_determinismE0ELb1ELb1ES3_N6thrust23THRUST_200600_302600_NS6detail15normal_iteratorINS9_10device_ptrIyEEEESE_y11max_functorIyEyEEDaPvRmT3_T4_T5_mT6_P12ihipStream_tbENKUlT_T0_E_clISt17integral_constantIbLb0EESU_EEDaSP_SQ_EUlSP_E0_NS1_11comp_targetILNS1_3genE10ELNS1_11target_archE1201ELNS1_3gpuE5ELNS1_3repE0EEENS1_30default_config_static_selectorELNS0_4arch9wavefront6targetE1EEEvT1_,comdat
.Lfunc_end2186:
	.size	_ZN7rocprim17ROCPRIM_400000_NS6detail17trampoline_kernelINS0_14default_configENS1_20scan_config_selectorIyEEZZNS1_9scan_implILNS1_25lookback_scan_determinismE0ELb1ELb1ES3_N6thrust23THRUST_200600_302600_NS6detail15normal_iteratorINS9_10device_ptrIyEEEESE_y11max_functorIyEyEEDaPvRmT3_T4_T5_mT6_P12ihipStream_tbENKUlT_T0_E_clISt17integral_constantIbLb0EESU_EEDaSP_SQ_EUlSP_E0_NS1_11comp_targetILNS1_3genE10ELNS1_11target_archE1201ELNS1_3gpuE5ELNS1_3repE0EEENS1_30default_config_static_selectorELNS0_4arch9wavefront6targetE1EEEvT1_, .Lfunc_end2186-_ZN7rocprim17ROCPRIM_400000_NS6detail17trampoline_kernelINS0_14default_configENS1_20scan_config_selectorIyEEZZNS1_9scan_implILNS1_25lookback_scan_determinismE0ELb1ELb1ES3_N6thrust23THRUST_200600_302600_NS6detail15normal_iteratorINS9_10device_ptrIyEEEESE_y11max_functorIyEyEEDaPvRmT3_T4_T5_mT6_P12ihipStream_tbENKUlT_T0_E_clISt17integral_constantIbLb0EESU_EEDaSP_SQ_EUlSP_E0_NS1_11comp_targetILNS1_3genE10ELNS1_11target_archE1201ELNS1_3gpuE5ELNS1_3repE0EEENS1_30default_config_static_selectorELNS0_4arch9wavefront6targetE1EEEvT1_
                                        ; -- End function
	.section	.AMDGPU.csdata,"",@progbits
; Kernel info:
; codeLenInByte = 0
; NumSgprs: 4
; NumVgprs: 0
; NumAgprs: 0
; TotalNumVgprs: 0
; ScratchSize: 0
; MemoryBound: 0
; FloatMode: 240
; IeeeMode: 1
; LDSByteSize: 0 bytes/workgroup (compile time only)
; SGPRBlocks: 0
; VGPRBlocks: 0
; NumSGPRsForWavesPerEU: 4
; NumVGPRsForWavesPerEU: 1
; AccumOffset: 4
; Occupancy: 8
; WaveLimiterHint : 0
; COMPUTE_PGM_RSRC2:SCRATCH_EN: 0
; COMPUTE_PGM_RSRC2:USER_SGPR: 6
; COMPUTE_PGM_RSRC2:TRAP_HANDLER: 0
; COMPUTE_PGM_RSRC2:TGID_X_EN: 1
; COMPUTE_PGM_RSRC2:TGID_Y_EN: 0
; COMPUTE_PGM_RSRC2:TGID_Z_EN: 0
; COMPUTE_PGM_RSRC2:TIDIG_COMP_CNT: 0
; COMPUTE_PGM_RSRC3_GFX90A:ACCUM_OFFSET: 0
; COMPUTE_PGM_RSRC3_GFX90A:TG_SPLIT: 0
	.section	.text._ZN7rocprim17ROCPRIM_400000_NS6detail17trampoline_kernelINS0_14default_configENS1_20scan_config_selectorIyEEZZNS1_9scan_implILNS1_25lookback_scan_determinismE0ELb1ELb1ES3_N6thrust23THRUST_200600_302600_NS6detail15normal_iteratorINS9_10device_ptrIyEEEESE_y11max_functorIyEyEEDaPvRmT3_T4_T5_mT6_P12ihipStream_tbENKUlT_T0_E_clISt17integral_constantIbLb0EESU_EEDaSP_SQ_EUlSP_E0_NS1_11comp_targetILNS1_3genE10ELNS1_11target_archE1200ELNS1_3gpuE4ELNS1_3repE0EEENS1_30default_config_static_selectorELNS0_4arch9wavefront6targetE1EEEvT1_,"axG",@progbits,_ZN7rocprim17ROCPRIM_400000_NS6detail17trampoline_kernelINS0_14default_configENS1_20scan_config_selectorIyEEZZNS1_9scan_implILNS1_25lookback_scan_determinismE0ELb1ELb1ES3_N6thrust23THRUST_200600_302600_NS6detail15normal_iteratorINS9_10device_ptrIyEEEESE_y11max_functorIyEyEEDaPvRmT3_T4_T5_mT6_P12ihipStream_tbENKUlT_T0_E_clISt17integral_constantIbLb0EESU_EEDaSP_SQ_EUlSP_E0_NS1_11comp_targetILNS1_3genE10ELNS1_11target_archE1200ELNS1_3gpuE4ELNS1_3repE0EEENS1_30default_config_static_selectorELNS0_4arch9wavefront6targetE1EEEvT1_,comdat
	.protected	_ZN7rocprim17ROCPRIM_400000_NS6detail17trampoline_kernelINS0_14default_configENS1_20scan_config_selectorIyEEZZNS1_9scan_implILNS1_25lookback_scan_determinismE0ELb1ELb1ES3_N6thrust23THRUST_200600_302600_NS6detail15normal_iteratorINS9_10device_ptrIyEEEESE_y11max_functorIyEyEEDaPvRmT3_T4_T5_mT6_P12ihipStream_tbENKUlT_T0_E_clISt17integral_constantIbLb0EESU_EEDaSP_SQ_EUlSP_E0_NS1_11comp_targetILNS1_3genE10ELNS1_11target_archE1200ELNS1_3gpuE4ELNS1_3repE0EEENS1_30default_config_static_selectorELNS0_4arch9wavefront6targetE1EEEvT1_ ; -- Begin function _ZN7rocprim17ROCPRIM_400000_NS6detail17trampoline_kernelINS0_14default_configENS1_20scan_config_selectorIyEEZZNS1_9scan_implILNS1_25lookback_scan_determinismE0ELb1ELb1ES3_N6thrust23THRUST_200600_302600_NS6detail15normal_iteratorINS9_10device_ptrIyEEEESE_y11max_functorIyEyEEDaPvRmT3_T4_T5_mT6_P12ihipStream_tbENKUlT_T0_E_clISt17integral_constantIbLb0EESU_EEDaSP_SQ_EUlSP_E0_NS1_11comp_targetILNS1_3genE10ELNS1_11target_archE1200ELNS1_3gpuE4ELNS1_3repE0EEENS1_30default_config_static_selectorELNS0_4arch9wavefront6targetE1EEEvT1_
	.globl	_ZN7rocprim17ROCPRIM_400000_NS6detail17trampoline_kernelINS0_14default_configENS1_20scan_config_selectorIyEEZZNS1_9scan_implILNS1_25lookback_scan_determinismE0ELb1ELb1ES3_N6thrust23THRUST_200600_302600_NS6detail15normal_iteratorINS9_10device_ptrIyEEEESE_y11max_functorIyEyEEDaPvRmT3_T4_T5_mT6_P12ihipStream_tbENKUlT_T0_E_clISt17integral_constantIbLb0EESU_EEDaSP_SQ_EUlSP_E0_NS1_11comp_targetILNS1_3genE10ELNS1_11target_archE1200ELNS1_3gpuE4ELNS1_3repE0EEENS1_30default_config_static_selectorELNS0_4arch9wavefront6targetE1EEEvT1_
	.p2align	8
	.type	_ZN7rocprim17ROCPRIM_400000_NS6detail17trampoline_kernelINS0_14default_configENS1_20scan_config_selectorIyEEZZNS1_9scan_implILNS1_25lookback_scan_determinismE0ELb1ELb1ES3_N6thrust23THRUST_200600_302600_NS6detail15normal_iteratorINS9_10device_ptrIyEEEESE_y11max_functorIyEyEEDaPvRmT3_T4_T5_mT6_P12ihipStream_tbENKUlT_T0_E_clISt17integral_constantIbLb0EESU_EEDaSP_SQ_EUlSP_E0_NS1_11comp_targetILNS1_3genE10ELNS1_11target_archE1200ELNS1_3gpuE4ELNS1_3repE0EEENS1_30default_config_static_selectorELNS0_4arch9wavefront6targetE1EEEvT1_,@function
_ZN7rocprim17ROCPRIM_400000_NS6detail17trampoline_kernelINS0_14default_configENS1_20scan_config_selectorIyEEZZNS1_9scan_implILNS1_25lookback_scan_determinismE0ELb1ELb1ES3_N6thrust23THRUST_200600_302600_NS6detail15normal_iteratorINS9_10device_ptrIyEEEESE_y11max_functorIyEyEEDaPvRmT3_T4_T5_mT6_P12ihipStream_tbENKUlT_T0_E_clISt17integral_constantIbLb0EESU_EEDaSP_SQ_EUlSP_E0_NS1_11comp_targetILNS1_3genE10ELNS1_11target_archE1200ELNS1_3gpuE4ELNS1_3repE0EEENS1_30default_config_static_selectorELNS0_4arch9wavefront6targetE1EEEvT1_: ; @_ZN7rocprim17ROCPRIM_400000_NS6detail17trampoline_kernelINS0_14default_configENS1_20scan_config_selectorIyEEZZNS1_9scan_implILNS1_25lookback_scan_determinismE0ELb1ELb1ES3_N6thrust23THRUST_200600_302600_NS6detail15normal_iteratorINS9_10device_ptrIyEEEESE_y11max_functorIyEyEEDaPvRmT3_T4_T5_mT6_P12ihipStream_tbENKUlT_T0_E_clISt17integral_constantIbLb0EESU_EEDaSP_SQ_EUlSP_E0_NS1_11comp_targetILNS1_3genE10ELNS1_11target_archE1200ELNS1_3gpuE4ELNS1_3repE0EEENS1_30default_config_static_selectorELNS0_4arch9wavefront6targetE1EEEvT1_
; %bb.0:
	.section	.rodata,"a",@progbits
	.p2align	6, 0x0
	.amdhsa_kernel _ZN7rocprim17ROCPRIM_400000_NS6detail17trampoline_kernelINS0_14default_configENS1_20scan_config_selectorIyEEZZNS1_9scan_implILNS1_25lookback_scan_determinismE0ELb1ELb1ES3_N6thrust23THRUST_200600_302600_NS6detail15normal_iteratorINS9_10device_ptrIyEEEESE_y11max_functorIyEyEEDaPvRmT3_T4_T5_mT6_P12ihipStream_tbENKUlT_T0_E_clISt17integral_constantIbLb0EESU_EEDaSP_SQ_EUlSP_E0_NS1_11comp_targetILNS1_3genE10ELNS1_11target_archE1200ELNS1_3gpuE4ELNS1_3repE0EEENS1_30default_config_static_selectorELNS0_4arch9wavefront6targetE1EEEvT1_
		.amdhsa_group_segment_fixed_size 0
		.amdhsa_private_segment_fixed_size 0
		.amdhsa_kernarg_size 40
		.amdhsa_user_sgpr_count 6
		.amdhsa_user_sgpr_private_segment_buffer 1
		.amdhsa_user_sgpr_dispatch_ptr 0
		.amdhsa_user_sgpr_queue_ptr 0
		.amdhsa_user_sgpr_kernarg_segment_ptr 1
		.amdhsa_user_sgpr_dispatch_id 0
		.amdhsa_user_sgpr_flat_scratch_init 0
		.amdhsa_user_sgpr_kernarg_preload_length 0
		.amdhsa_user_sgpr_kernarg_preload_offset 0
		.amdhsa_user_sgpr_private_segment_size 0
		.amdhsa_uses_dynamic_stack 0
		.amdhsa_system_sgpr_private_segment_wavefront_offset 0
		.amdhsa_system_sgpr_workgroup_id_x 1
		.amdhsa_system_sgpr_workgroup_id_y 0
		.amdhsa_system_sgpr_workgroup_id_z 0
		.amdhsa_system_sgpr_workgroup_info 0
		.amdhsa_system_vgpr_workitem_id 0
		.amdhsa_next_free_vgpr 1
		.amdhsa_next_free_sgpr 0
		.amdhsa_accum_offset 4
		.amdhsa_reserve_vcc 0
		.amdhsa_reserve_flat_scratch 0
		.amdhsa_float_round_mode_32 0
		.amdhsa_float_round_mode_16_64 0
		.amdhsa_float_denorm_mode_32 3
		.amdhsa_float_denorm_mode_16_64 3
		.amdhsa_dx10_clamp 1
		.amdhsa_ieee_mode 1
		.amdhsa_fp16_overflow 0
		.amdhsa_tg_split 0
		.amdhsa_exception_fp_ieee_invalid_op 0
		.amdhsa_exception_fp_denorm_src 0
		.amdhsa_exception_fp_ieee_div_zero 0
		.amdhsa_exception_fp_ieee_overflow 0
		.amdhsa_exception_fp_ieee_underflow 0
		.amdhsa_exception_fp_ieee_inexact 0
		.amdhsa_exception_int_div_zero 0
	.end_amdhsa_kernel
	.section	.text._ZN7rocprim17ROCPRIM_400000_NS6detail17trampoline_kernelINS0_14default_configENS1_20scan_config_selectorIyEEZZNS1_9scan_implILNS1_25lookback_scan_determinismE0ELb1ELb1ES3_N6thrust23THRUST_200600_302600_NS6detail15normal_iteratorINS9_10device_ptrIyEEEESE_y11max_functorIyEyEEDaPvRmT3_T4_T5_mT6_P12ihipStream_tbENKUlT_T0_E_clISt17integral_constantIbLb0EESU_EEDaSP_SQ_EUlSP_E0_NS1_11comp_targetILNS1_3genE10ELNS1_11target_archE1200ELNS1_3gpuE4ELNS1_3repE0EEENS1_30default_config_static_selectorELNS0_4arch9wavefront6targetE1EEEvT1_,"axG",@progbits,_ZN7rocprim17ROCPRIM_400000_NS6detail17trampoline_kernelINS0_14default_configENS1_20scan_config_selectorIyEEZZNS1_9scan_implILNS1_25lookback_scan_determinismE0ELb1ELb1ES3_N6thrust23THRUST_200600_302600_NS6detail15normal_iteratorINS9_10device_ptrIyEEEESE_y11max_functorIyEyEEDaPvRmT3_T4_T5_mT6_P12ihipStream_tbENKUlT_T0_E_clISt17integral_constantIbLb0EESU_EEDaSP_SQ_EUlSP_E0_NS1_11comp_targetILNS1_3genE10ELNS1_11target_archE1200ELNS1_3gpuE4ELNS1_3repE0EEENS1_30default_config_static_selectorELNS0_4arch9wavefront6targetE1EEEvT1_,comdat
.Lfunc_end2187:
	.size	_ZN7rocprim17ROCPRIM_400000_NS6detail17trampoline_kernelINS0_14default_configENS1_20scan_config_selectorIyEEZZNS1_9scan_implILNS1_25lookback_scan_determinismE0ELb1ELb1ES3_N6thrust23THRUST_200600_302600_NS6detail15normal_iteratorINS9_10device_ptrIyEEEESE_y11max_functorIyEyEEDaPvRmT3_T4_T5_mT6_P12ihipStream_tbENKUlT_T0_E_clISt17integral_constantIbLb0EESU_EEDaSP_SQ_EUlSP_E0_NS1_11comp_targetILNS1_3genE10ELNS1_11target_archE1200ELNS1_3gpuE4ELNS1_3repE0EEENS1_30default_config_static_selectorELNS0_4arch9wavefront6targetE1EEEvT1_, .Lfunc_end2187-_ZN7rocprim17ROCPRIM_400000_NS6detail17trampoline_kernelINS0_14default_configENS1_20scan_config_selectorIyEEZZNS1_9scan_implILNS1_25lookback_scan_determinismE0ELb1ELb1ES3_N6thrust23THRUST_200600_302600_NS6detail15normal_iteratorINS9_10device_ptrIyEEEESE_y11max_functorIyEyEEDaPvRmT3_T4_T5_mT6_P12ihipStream_tbENKUlT_T0_E_clISt17integral_constantIbLb0EESU_EEDaSP_SQ_EUlSP_E0_NS1_11comp_targetILNS1_3genE10ELNS1_11target_archE1200ELNS1_3gpuE4ELNS1_3repE0EEENS1_30default_config_static_selectorELNS0_4arch9wavefront6targetE1EEEvT1_
                                        ; -- End function
	.section	.AMDGPU.csdata,"",@progbits
; Kernel info:
; codeLenInByte = 0
; NumSgprs: 4
; NumVgprs: 0
; NumAgprs: 0
; TotalNumVgprs: 0
; ScratchSize: 0
; MemoryBound: 0
; FloatMode: 240
; IeeeMode: 1
; LDSByteSize: 0 bytes/workgroup (compile time only)
; SGPRBlocks: 0
; VGPRBlocks: 0
; NumSGPRsForWavesPerEU: 4
; NumVGPRsForWavesPerEU: 1
; AccumOffset: 4
; Occupancy: 8
; WaveLimiterHint : 0
; COMPUTE_PGM_RSRC2:SCRATCH_EN: 0
; COMPUTE_PGM_RSRC2:USER_SGPR: 6
; COMPUTE_PGM_RSRC2:TRAP_HANDLER: 0
; COMPUTE_PGM_RSRC2:TGID_X_EN: 1
; COMPUTE_PGM_RSRC2:TGID_Y_EN: 0
; COMPUTE_PGM_RSRC2:TGID_Z_EN: 0
; COMPUTE_PGM_RSRC2:TIDIG_COMP_CNT: 0
; COMPUTE_PGM_RSRC3_GFX90A:ACCUM_OFFSET: 0
; COMPUTE_PGM_RSRC3_GFX90A:TG_SPLIT: 0
	.section	.text._ZN7rocprim17ROCPRIM_400000_NS6detail17trampoline_kernelINS0_14default_configENS1_20scan_config_selectorIyEEZZNS1_9scan_implILNS1_25lookback_scan_determinismE0ELb1ELb1ES3_N6thrust23THRUST_200600_302600_NS6detail15normal_iteratorINS9_10device_ptrIyEEEESE_y11max_functorIyEyEEDaPvRmT3_T4_T5_mT6_P12ihipStream_tbENKUlT_T0_E_clISt17integral_constantIbLb0EESU_EEDaSP_SQ_EUlSP_E0_NS1_11comp_targetILNS1_3genE9ELNS1_11target_archE1100ELNS1_3gpuE3ELNS1_3repE0EEENS1_30default_config_static_selectorELNS0_4arch9wavefront6targetE1EEEvT1_,"axG",@progbits,_ZN7rocprim17ROCPRIM_400000_NS6detail17trampoline_kernelINS0_14default_configENS1_20scan_config_selectorIyEEZZNS1_9scan_implILNS1_25lookback_scan_determinismE0ELb1ELb1ES3_N6thrust23THRUST_200600_302600_NS6detail15normal_iteratorINS9_10device_ptrIyEEEESE_y11max_functorIyEyEEDaPvRmT3_T4_T5_mT6_P12ihipStream_tbENKUlT_T0_E_clISt17integral_constantIbLb0EESU_EEDaSP_SQ_EUlSP_E0_NS1_11comp_targetILNS1_3genE9ELNS1_11target_archE1100ELNS1_3gpuE3ELNS1_3repE0EEENS1_30default_config_static_selectorELNS0_4arch9wavefront6targetE1EEEvT1_,comdat
	.protected	_ZN7rocprim17ROCPRIM_400000_NS6detail17trampoline_kernelINS0_14default_configENS1_20scan_config_selectorIyEEZZNS1_9scan_implILNS1_25lookback_scan_determinismE0ELb1ELb1ES3_N6thrust23THRUST_200600_302600_NS6detail15normal_iteratorINS9_10device_ptrIyEEEESE_y11max_functorIyEyEEDaPvRmT3_T4_T5_mT6_P12ihipStream_tbENKUlT_T0_E_clISt17integral_constantIbLb0EESU_EEDaSP_SQ_EUlSP_E0_NS1_11comp_targetILNS1_3genE9ELNS1_11target_archE1100ELNS1_3gpuE3ELNS1_3repE0EEENS1_30default_config_static_selectorELNS0_4arch9wavefront6targetE1EEEvT1_ ; -- Begin function _ZN7rocprim17ROCPRIM_400000_NS6detail17trampoline_kernelINS0_14default_configENS1_20scan_config_selectorIyEEZZNS1_9scan_implILNS1_25lookback_scan_determinismE0ELb1ELb1ES3_N6thrust23THRUST_200600_302600_NS6detail15normal_iteratorINS9_10device_ptrIyEEEESE_y11max_functorIyEyEEDaPvRmT3_T4_T5_mT6_P12ihipStream_tbENKUlT_T0_E_clISt17integral_constantIbLb0EESU_EEDaSP_SQ_EUlSP_E0_NS1_11comp_targetILNS1_3genE9ELNS1_11target_archE1100ELNS1_3gpuE3ELNS1_3repE0EEENS1_30default_config_static_selectorELNS0_4arch9wavefront6targetE1EEEvT1_
	.globl	_ZN7rocprim17ROCPRIM_400000_NS6detail17trampoline_kernelINS0_14default_configENS1_20scan_config_selectorIyEEZZNS1_9scan_implILNS1_25lookback_scan_determinismE0ELb1ELb1ES3_N6thrust23THRUST_200600_302600_NS6detail15normal_iteratorINS9_10device_ptrIyEEEESE_y11max_functorIyEyEEDaPvRmT3_T4_T5_mT6_P12ihipStream_tbENKUlT_T0_E_clISt17integral_constantIbLb0EESU_EEDaSP_SQ_EUlSP_E0_NS1_11comp_targetILNS1_3genE9ELNS1_11target_archE1100ELNS1_3gpuE3ELNS1_3repE0EEENS1_30default_config_static_selectorELNS0_4arch9wavefront6targetE1EEEvT1_
	.p2align	8
	.type	_ZN7rocprim17ROCPRIM_400000_NS6detail17trampoline_kernelINS0_14default_configENS1_20scan_config_selectorIyEEZZNS1_9scan_implILNS1_25lookback_scan_determinismE0ELb1ELb1ES3_N6thrust23THRUST_200600_302600_NS6detail15normal_iteratorINS9_10device_ptrIyEEEESE_y11max_functorIyEyEEDaPvRmT3_T4_T5_mT6_P12ihipStream_tbENKUlT_T0_E_clISt17integral_constantIbLb0EESU_EEDaSP_SQ_EUlSP_E0_NS1_11comp_targetILNS1_3genE9ELNS1_11target_archE1100ELNS1_3gpuE3ELNS1_3repE0EEENS1_30default_config_static_selectorELNS0_4arch9wavefront6targetE1EEEvT1_,@function
_ZN7rocprim17ROCPRIM_400000_NS6detail17trampoline_kernelINS0_14default_configENS1_20scan_config_selectorIyEEZZNS1_9scan_implILNS1_25lookback_scan_determinismE0ELb1ELb1ES3_N6thrust23THRUST_200600_302600_NS6detail15normal_iteratorINS9_10device_ptrIyEEEESE_y11max_functorIyEyEEDaPvRmT3_T4_T5_mT6_P12ihipStream_tbENKUlT_T0_E_clISt17integral_constantIbLb0EESU_EEDaSP_SQ_EUlSP_E0_NS1_11comp_targetILNS1_3genE9ELNS1_11target_archE1100ELNS1_3gpuE3ELNS1_3repE0EEENS1_30default_config_static_selectorELNS0_4arch9wavefront6targetE1EEEvT1_: ; @_ZN7rocprim17ROCPRIM_400000_NS6detail17trampoline_kernelINS0_14default_configENS1_20scan_config_selectorIyEEZZNS1_9scan_implILNS1_25lookback_scan_determinismE0ELb1ELb1ES3_N6thrust23THRUST_200600_302600_NS6detail15normal_iteratorINS9_10device_ptrIyEEEESE_y11max_functorIyEyEEDaPvRmT3_T4_T5_mT6_P12ihipStream_tbENKUlT_T0_E_clISt17integral_constantIbLb0EESU_EEDaSP_SQ_EUlSP_E0_NS1_11comp_targetILNS1_3genE9ELNS1_11target_archE1100ELNS1_3gpuE3ELNS1_3repE0EEENS1_30default_config_static_selectorELNS0_4arch9wavefront6targetE1EEEvT1_
; %bb.0:
	.section	.rodata,"a",@progbits
	.p2align	6, 0x0
	.amdhsa_kernel _ZN7rocprim17ROCPRIM_400000_NS6detail17trampoline_kernelINS0_14default_configENS1_20scan_config_selectorIyEEZZNS1_9scan_implILNS1_25lookback_scan_determinismE0ELb1ELb1ES3_N6thrust23THRUST_200600_302600_NS6detail15normal_iteratorINS9_10device_ptrIyEEEESE_y11max_functorIyEyEEDaPvRmT3_T4_T5_mT6_P12ihipStream_tbENKUlT_T0_E_clISt17integral_constantIbLb0EESU_EEDaSP_SQ_EUlSP_E0_NS1_11comp_targetILNS1_3genE9ELNS1_11target_archE1100ELNS1_3gpuE3ELNS1_3repE0EEENS1_30default_config_static_selectorELNS0_4arch9wavefront6targetE1EEEvT1_
		.amdhsa_group_segment_fixed_size 0
		.amdhsa_private_segment_fixed_size 0
		.amdhsa_kernarg_size 40
		.amdhsa_user_sgpr_count 6
		.amdhsa_user_sgpr_private_segment_buffer 1
		.amdhsa_user_sgpr_dispatch_ptr 0
		.amdhsa_user_sgpr_queue_ptr 0
		.amdhsa_user_sgpr_kernarg_segment_ptr 1
		.amdhsa_user_sgpr_dispatch_id 0
		.amdhsa_user_sgpr_flat_scratch_init 0
		.amdhsa_user_sgpr_kernarg_preload_length 0
		.amdhsa_user_sgpr_kernarg_preload_offset 0
		.amdhsa_user_sgpr_private_segment_size 0
		.amdhsa_uses_dynamic_stack 0
		.amdhsa_system_sgpr_private_segment_wavefront_offset 0
		.amdhsa_system_sgpr_workgroup_id_x 1
		.amdhsa_system_sgpr_workgroup_id_y 0
		.amdhsa_system_sgpr_workgroup_id_z 0
		.amdhsa_system_sgpr_workgroup_info 0
		.amdhsa_system_vgpr_workitem_id 0
		.amdhsa_next_free_vgpr 1
		.amdhsa_next_free_sgpr 0
		.amdhsa_accum_offset 4
		.amdhsa_reserve_vcc 0
		.amdhsa_reserve_flat_scratch 0
		.amdhsa_float_round_mode_32 0
		.amdhsa_float_round_mode_16_64 0
		.amdhsa_float_denorm_mode_32 3
		.amdhsa_float_denorm_mode_16_64 3
		.amdhsa_dx10_clamp 1
		.amdhsa_ieee_mode 1
		.amdhsa_fp16_overflow 0
		.amdhsa_tg_split 0
		.amdhsa_exception_fp_ieee_invalid_op 0
		.amdhsa_exception_fp_denorm_src 0
		.amdhsa_exception_fp_ieee_div_zero 0
		.amdhsa_exception_fp_ieee_overflow 0
		.amdhsa_exception_fp_ieee_underflow 0
		.amdhsa_exception_fp_ieee_inexact 0
		.amdhsa_exception_int_div_zero 0
	.end_amdhsa_kernel
	.section	.text._ZN7rocprim17ROCPRIM_400000_NS6detail17trampoline_kernelINS0_14default_configENS1_20scan_config_selectorIyEEZZNS1_9scan_implILNS1_25lookback_scan_determinismE0ELb1ELb1ES3_N6thrust23THRUST_200600_302600_NS6detail15normal_iteratorINS9_10device_ptrIyEEEESE_y11max_functorIyEyEEDaPvRmT3_T4_T5_mT6_P12ihipStream_tbENKUlT_T0_E_clISt17integral_constantIbLb0EESU_EEDaSP_SQ_EUlSP_E0_NS1_11comp_targetILNS1_3genE9ELNS1_11target_archE1100ELNS1_3gpuE3ELNS1_3repE0EEENS1_30default_config_static_selectorELNS0_4arch9wavefront6targetE1EEEvT1_,"axG",@progbits,_ZN7rocprim17ROCPRIM_400000_NS6detail17trampoline_kernelINS0_14default_configENS1_20scan_config_selectorIyEEZZNS1_9scan_implILNS1_25lookback_scan_determinismE0ELb1ELb1ES3_N6thrust23THRUST_200600_302600_NS6detail15normal_iteratorINS9_10device_ptrIyEEEESE_y11max_functorIyEyEEDaPvRmT3_T4_T5_mT6_P12ihipStream_tbENKUlT_T0_E_clISt17integral_constantIbLb0EESU_EEDaSP_SQ_EUlSP_E0_NS1_11comp_targetILNS1_3genE9ELNS1_11target_archE1100ELNS1_3gpuE3ELNS1_3repE0EEENS1_30default_config_static_selectorELNS0_4arch9wavefront6targetE1EEEvT1_,comdat
.Lfunc_end2188:
	.size	_ZN7rocprim17ROCPRIM_400000_NS6detail17trampoline_kernelINS0_14default_configENS1_20scan_config_selectorIyEEZZNS1_9scan_implILNS1_25lookback_scan_determinismE0ELb1ELb1ES3_N6thrust23THRUST_200600_302600_NS6detail15normal_iteratorINS9_10device_ptrIyEEEESE_y11max_functorIyEyEEDaPvRmT3_T4_T5_mT6_P12ihipStream_tbENKUlT_T0_E_clISt17integral_constantIbLb0EESU_EEDaSP_SQ_EUlSP_E0_NS1_11comp_targetILNS1_3genE9ELNS1_11target_archE1100ELNS1_3gpuE3ELNS1_3repE0EEENS1_30default_config_static_selectorELNS0_4arch9wavefront6targetE1EEEvT1_, .Lfunc_end2188-_ZN7rocprim17ROCPRIM_400000_NS6detail17trampoline_kernelINS0_14default_configENS1_20scan_config_selectorIyEEZZNS1_9scan_implILNS1_25lookback_scan_determinismE0ELb1ELb1ES3_N6thrust23THRUST_200600_302600_NS6detail15normal_iteratorINS9_10device_ptrIyEEEESE_y11max_functorIyEyEEDaPvRmT3_T4_T5_mT6_P12ihipStream_tbENKUlT_T0_E_clISt17integral_constantIbLb0EESU_EEDaSP_SQ_EUlSP_E0_NS1_11comp_targetILNS1_3genE9ELNS1_11target_archE1100ELNS1_3gpuE3ELNS1_3repE0EEENS1_30default_config_static_selectorELNS0_4arch9wavefront6targetE1EEEvT1_
                                        ; -- End function
	.section	.AMDGPU.csdata,"",@progbits
; Kernel info:
; codeLenInByte = 0
; NumSgprs: 4
; NumVgprs: 0
; NumAgprs: 0
; TotalNumVgprs: 0
; ScratchSize: 0
; MemoryBound: 0
; FloatMode: 240
; IeeeMode: 1
; LDSByteSize: 0 bytes/workgroup (compile time only)
; SGPRBlocks: 0
; VGPRBlocks: 0
; NumSGPRsForWavesPerEU: 4
; NumVGPRsForWavesPerEU: 1
; AccumOffset: 4
; Occupancy: 8
; WaveLimiterHint : 0
; COMPUTE_PGM_RSRC2:SCRATCH_EN: 0
; COMPUTE_PGM_RSRC2:USER_SGPR: 6
; COMPUTE_PGM_RSRC2:TRAP_HANDLER: 0
; COMPUTE_PGM_RSRC2:TGID_X_EN: 1
; COMPUTE_PGM_RSRC2:TGID_Y_EN: 0
; COMPUTE_PGM_RSRC2:TGID_Z_EN: 0
; COMPUTE_PGM_RSRC2:TIDIG_COMP_CNT: 0
; COMPUTE_PGM_RSRC3_GFX90A:ACCUM_OFFSET: 0
; COMPUTE_PGM_RSRC3_GFX90A:TG_SPLIT: 0
	.section	.text._ZN7rocprim17ROCPRIM_400000_NS6detail17trampoline_kernelINS0_14default_configENS1_20scan_config_selectorIyEEZZNS1_9scan_implILNS1_25lookback_scan_determinismE0ELb1ELb1ES3_N6thrust23THRUST_200600_302600_NS6detail15normal_iteratorINS9_10device_ptrIyEEEESE_y11max_functorIyEyEEDaPvRmT3_T4_T5_mT6_P12ihipStream_tbENKUlT_T0_E_clISt17integral_constantIbLb0EESU_EEDaSP_SQ_EUlSP_E0_NS1_11comp_targetILNS1_3genE8ELNS1_11target_archE1030ELNS1_3gpuE2ELNS1_3repE0EEENS1_30default_config_static_selectorELNS0_4arch9wavefront6targetE1EEEvT1_,"axG",@progbits,_ZN7rocprim17ROCPRIM_400000_NS6detail17trampoline_kernelINS0_14default_configENS1_20scan_config_selectorIyEEZZNS1_9scan_implILNS1_25lookback_scan_determinismE0ELb1ELb1ES3_N6thrust23THRUST_200600_302600_NS6detail15normal_iteratorINS9_10device_ptrIyEEEESE_y11max_functorIyEyEEDaPvRmT3_T4_T5_mT6_P12ihipStream_tbENKUlT_T0_E_clISt17integral_constantIbLb0EESU_EEDaSP_SQ_EUlSP_E0_NS1_11comp_targetILNS1_3genE8ELNS1_11target_archE1030ELNS1_3gpuE2ELNS1_3repE0EEENS1_30default_config_static_selectorELNS0_4arch9wavefront6targetE1EEEvT1_,comdat
	.protected	_ZN7rocprim17ROCPRIM_400000_NS6detail17trampoline_kernelINS0_14default_configENS1_20scan_config_selectorIyEEZZNS1_9scan_implILNS1_25lookback_scan_determinismE0ELb1ELb1ES3_N6thrust23THRUST_200600_302600_NS6detail15normal_iteratorINS9_10device_ptrIyEEEESE_y11max_functorIyEyEEDaPvRmT3_T4_T5_mT6_P12ihipStream_tbENKUlT_T0_E_clISt17integral_constantIbLb0EESU_EEDaSP_SQ_EUlSP_E0_NS1_11comp_targetILNS1_3genE8ELNS1_11target_archE1030ELNS1_3gpuE2ELNS1_3repE0EEENS1_30default_config_static_selectorELNS0_4arch9wavefront6targetE1EEEvT1_ ; -- Begin function _ZN7rocprim17ROCPRIM_400000_NS6detail17trampoline_kernelINS0_14default_configENS1_20scan_config_selectorIyEEZZNS1_9scan_implILNS1_25lookback_scan_determinismE0ELb1ELb1ES3_N6thrust23THRUST_200600_302600_NS6detail15normal_iteratorINS9_10device_ptrIyEEEESE_y11max_functorIyEyEEDaPvRmT3_T4_T5_mT6_P12ihipStream_tbENKUlT_T0_E_clISt17integral_constantIbLb0EESU_EEDaSP_SQ_EUlSP_E0_NS1_11comp_targetILNS1_3genE8ELNS1_11target_archE1030ELNS1_3gpuE2ELNS1_3repE0EEENS1_30default_config_static_selectorELNS0_4arch9wavefront6targetE1EEEvT1_
	.globl	_ZN7rocprim17ROCPRIM_400000_NS6detail17trampoline_kernelINS0_14default_configENS1_20scan_config_selectorIyEEZZNS1_9scan_implILNS1_25lookback_scan_determinismE0ELb1ELb1ES3_N6thrust23THRUST_200600_302600_NS6detail15normal_iteratorINS9_10device_ptrIyEEEESE_y11max_functorIyEyEEDaPvRmT3_T4_T5_mT6_P12ihipStream_tbENKUlT_T0_E_clISt17integral_constantIbLb0EESU_EEDaSP_SQ_EUlSP_E0_NS1_11comp_targetILNS1_3genE8ELNS1_11target_archE1030ELNS1_3gpuE2ELNS1_3repE0EEENS1_30default_config_static_selectorELNS0_4arch9wavefront6targetE1EEEvT1_
	.p2align	8
	.type	_ZN7rocprim17ROCPRIM_400000_NS6detail17trampoline_kernelINS0_14default_configENS1_20scan_config_selectorIyEEZZNS1_9scan_implILNS1_25lookback_scan_determinismE0ELb1ELb1ES3_N6thrust23THRUST_200600_302600_NS6detail15normal_iteratorINS9_10device_ptrIyEEEESE_y11max_functorIyEyEEDaPvRmT3_T4_T5_mT6_P12ihipStream_tbENKUlT_T0_E_clISt17integral_constantIbLb0EESU_EEDaSP_SQ_EUlSP_E0_NS1_11comp_targetILNS1_3genE8ELNS1_11target_archE1030ELNS1_3gpuE2ELNS1_3repE0EEENS1_30default_config_static_selectorELNS0_4arch9wavefront6targetE1EEEvT1_,@function
_ZN7rocprim17ROCPRIM_400000_NS6detail17trampoline_kernelINS0_14default_configENS1_20scan_config_selectorIyEEZZNS1_9scan_implILNS1_25lookback_scan_determinismE0ELb1ELb1ES3_N6thrust23THRUST_200600_302600_NS6detail15normal_iteratorINS9_10device_ptrIyEEEESE_y11max_functorIyEyEEDaPvRmT3_T4_T5_mT6_P12ihipStream_tbENKUlT_T0_E_clISt17integral_constantIbLb0EESU_EEDaSP_SQ_EUlSP_E0_NS1_11comp_targetILNS1_3genE8ELNS1_11target_archE1030ELNS1_3gpuE2ELNS1_3repE0EEENS1_30default_config_static_selectorELNS0_4arch9wavefront6targetE1EEEvT1_: ; @_ZN7rocprim17ROCPRIM_400000_NS6detail17trampoline_kernelINS0_14default_configENS1_20scan_config_selectorIyEEZZNS1_9scan_implILNS1_25lookback_scan_determinismE0ELb1ELb1ES3_N6thrust23THRUST_200600_302600_NS6detail15normal_iteratorINS9_10device_ptrIyEEEESE_y11max_functorIyEyEEDaPvRmT3_T4_T5_mT6_P12ihipStream_tbENKUlT_T0_E_clISt17integral_constantIbLb0EESU_EEDaSP_SQ_EUlSP_E0_NS1_11comp_targetILNS1_3genE8ELNS1_11target_archE1030ELNS1_3gpuE2ELNS1_3repE0EEENS1_30default_config_static_selectorELNS0_4arch9wavefront6targetE1EEEvT1_
; %bb.0:
	.section	.rodata,"a",@progbits
	.p2align	6, 0x0
	.amdhsa_kernel _ZN7rocprim17ROCPRIM_400000_NS6detail17trampoline_kernelINS0_14default_configENS1_20scan_config_selectorIyEEZZNS1_9scan_implILNS1_25lookback_scan_determinismE0ELb1ELb1ES3_N6thrust23THRUST_200600_302600_NS6detail15normal_iteratorINS9_10device_ptrIyEEEESE_y11max_functorIyEyEEDaPvRmT3_T4_T5_mT6_P12ihipStream_tbENKUlT_T0_E_clISt17integral_constantIbLb0EESU_EEDaSP_SQ_EUlSP_E0_NS1_11comp_targetILNS1_3genE8ELNS1_11target_archE1030ELNS1_3gpuE2ELNS1_3repE0EEENS1_30default_config_static_selectorELNS0_4arch9wavefront6targetE1EEEvT1_
		.amdhsa_group_segment_fixed_size 0
		.amdhsa_private_segment_fixed_size 0
		.amdhsa_kernarg_size 40
		.amdhsa_user_sgpr_count 6
		.amdhsa_user_sgpr_private_segment_buffer 1
		.amdhsa_user_sgpr_dispatch_ptr 0
		.amdhsa_user_sgpr_queue_ptr 0
		.amdhsa_user_sgpr_kernarg_segment_ptr 1
		.amdhsa_user_sgpr_dispatch_id 0
		.amdhsa_user_sgpr_flat_scratch_init 0
		.amdhsa_user_sgpr_kernarg_preload_length 0
		.amdhsa_user_sgpr_kernarg_preload_offset 0
		.amdhsa_user_sgpr_private_segment_size 0
		.amdhsa_uses_dynamic_stack 0
		.amdhsa_system_sgpr_private_segment_wavefront_offset 0
		.amdhsa_system_sgpr_workgroup_id_x 1
		.amdhsa_system_sgpr_workgroup_id_y 0
		.amdhsa_system_sgpr_workgroup_id_z 0
		.amdhsa_system_sgpr_workgroup_info 0
		.amdhsa_system_vgpr_workitem_id 0
		.amdhsa_next_free_vgpr 1
		.amdhsa_next_free_sgpr 0
		.amdhsa_accum_offset 4
		.amdhsa_reserve_vcc 0
		.amdhsa_reserve_flat_scratch 0
		.amdhsa_float_round_mode_32 0
		.amdhsa_float_round_mode_16_64 0
		.amdhsa_float_denorm_mode_32 3
		.amdhsa_float_denorm_mode_16_64 3
		.amdhsa_dx10_clamp 1
		.amdhsa_ieee_mode 1
		.amdhsa_fp16_overflow 0
		.amdhsa_tg_split 0
		.amdhsa_exception_fp_ieee_invalid_op 0
		.amdhsa_exception_fp_denorm_src 0
		.amdhsa_exception_fp_ieee_div_zero 0
		.amdhsa_exception_fp_ieee_overflow 0
		.amdhsa_exception_fp_ieee_underflow 0
		.amdhsa_exception_fp_ieee_inexact 0
		.amdhsa_exception_int_div_zero 0
	.end_amdhsa_kernel
	.section	.text._ZN7rocprim17ROCPRIM_400000_NS6detail17trampoline_kernelINS0_14default_configENS1_20scan_config_selectorIyEEZZNS1_9scan_implILNS1_25lookback_scan_determinismE0ELb1ELb1ES3_N6thrust23THRUST_200600_302600_NS6detail15normal_iteratorINS9_10device_ptrIyEEEESE_y11max_functorIyEyEEDaPvRmT3_T4_T5_mT6_P12ihipStream_tbENKUlT_T0_E_clISt17integral_constantIbLb0EESU_EEDaSP_SQ_EUlSP_E0_NS1_11comp_targetILNS1_3genE8ELNS1_11target_archE1030ELNS1_3gpuE2ELNS1_3repE0EEENS1_30default_config_static_selectorELNS0_4arch9wavefront6targetE1EEEvT1_,"axG",@progbits,_ZN7rocprim17ROCPRIM_400000_NS6detail17trampoline_kernelINS0_14default_configENS1_20scan_config_selectorIyEEZZNS1_9scan_implILNS1_25lookback_scan_determinismE0ELb1ELb1ES3_N6thrust23THRUST_200600_302600_NS6detail15normal_iteratorINS9_10device_ptrIyEEEESE_y11max_functorIyEyEEDaPvRmT3_T4_T5_mT6_P12ihipStream_tbENKUlT_T0_E_clISt17integral_constantIbLb0EESU_EEDaSP_SQ_EUlSP_E0_NS1_11comp_targetILNS1_3genE8ELNS1_11target_archE1030ELNS1_3gpuE2ELNS1_3repE0EEENS1_30default_config_static_selectorELNS0_4arch9wavefront6targetE1EEEvT1_,comdat
.Lfunc_end2189:
	.size	_ZN7rocprim17ROCPRIM_400000_NS6detail17trampoline_kernelINS0_14default_configENS1_20scan_config_selectorIyEEZZNS1_9scan_implILNS1_25lookback_scan_determinismE0ELb1ELb1ES3_N6thrust23THRUST_200600_302600_NS6detail15normal_iteratorINS9_10device_ptrIyEEEESE_y11max_functorIyEyEEDaPvRmT3_T4_T5_mT6_P12ihipStream_tbENKUlT_T0_E_clISt17integral_constantIbLb0EESU_EEDaSP_SQ_EUlSP_E0_NS1_11comp_targetILNS1_3genE8ELNS1_11target_archE1030ELNS1_3gpuE2ELNS1_3repE0EEENS1_30default_config_static_selectorELNS0_4arch9wavefront6targetE1EEEvT1_, .Lfunc_end2189-_ZN7rocprim17ROCPRIM_400000_NS6detail17trampoline_kernelINS0_14default_configENS1_20scan_config_selectorIyEEZZNS1_9scan_implILNS1_25lookback_scan_determinismE0ELb1ELb1ES3_N6thrust23THRUST_200600_302600_NS6detail15normal_iteratorINS9_10device_ptrIyEEEESE_y11max_functorIyEyEEDaPvRmT3_T4_T5_mT6_P12ihipStream_tbENKUlT_T0_E_clISt17integral_constantIbLb0EESU_EEDaSP_SQ_EUlSP_E0_NS1_11comp_targetILNS1_3genE8ELNS1_11target_archE1030ELNS1_3gpuE2ELNS1_3repE0EEENS1_30default_config_static_selectorELNS0_4arch9wavefront6targetE1EEEvT1_
                                        ; -- End function
	.section	.AMDGPU.csdata,"",@progbits
; Kernel info:
; codeLenInByte = 0
; NumSgprs: 4
; NumVgprs: 0
; NumAgprs: 0
; TotalNumVgprs: 0
; ScratchSize: 0
; MemoryBound: 0
; FloatMode: 240
; IeeeMode: 1
; LDSByteSize: 0 bytes/workgroup (compile time only)
; SGPRBlocks: 0
; VGPRBlocks: 0
; NumSGPRsForWavesPerEU: 4
; NumVGPRsForWavesPerEU: 1
; AccumOffset: 4
; Occupancy: 8
; WaveLimiterHint : 0
; COMPUTE_PGM_RSRC2:SCRATCH_EN: 0
; COMPUTE_PGM_RSRC2:USER_SGPR: 6
; COMPUTE_PGM_RSRC2:TRAP_HANDLER: 0
; COMPUTE_PGM_RSRC2:TGID_X_EN: 1
; COMPUTE_PGM_RSRC2:TGID_Y_EN: 0
; COMPUTE_PGM_RSRC2:TGID_Z_EN: 0
; COMPUTE_PGM_RSRC2:TIDIG_COMP_CNT: 0
; COMPUTE_PGM_RSRC3_GFX90A:ACCUM_OFFSET: 0
; COMPUTE_PGM_RSRC3_GFX90A:TG_SPLIT: 0
	.section	.text._ZN7rocprim17ROCPRIM_400000_NS6detail17trampoline_kernelINS0_14default_configENS1_20scan_config_selectorIyEEZZNS1_9scan_implILNS1_25lookback_scan_determinismE0ELb1ELb1ES3_N6thrust23THRUST_200600_302600_NS6detail15normal_iteratorINS9_10device_ptrIyEEEESE_y11max_functorIyEyEEDaPvRmT3_T4_T5_mT6_P12ihipStream_tbENKUlT_T0_E_clISt17integral_constantIbLb1EESU_EEDaSP_SQ_EUlSP_E_NS1_11comp_targetILNS1_3genE0ELNS1_11target_archE4294967295ELNS1_3gpuE0ELNS1_3repE0EEENS1_30default_config_static_selectorELNS0_4arch9wavefront6targetE1EEEvT1_,"axG",@progbits,_ZN7rocprim17ROCPRIM_400000_NS6detail17trampoline_kernelINS0_14default_configENS1_20scan_config_selectorIyEEZZNS1_9scan_implILNS1_25lookback_scan_determinismE0ELb1ELb1ES3_N6thrust23THRUST_200600_302600_NS6detail15normal_iteratorINS9_10device_ptrIyEEEESE_y11max_functorIyEyEEDaPvRmT3_T4_T5_mT6_P12ihipStream_tbENKUlT_T0_E_clISt17integral_constantIbLb1EESU_EEDaSP_SQ_EUlSP_E_NS1_11comp_targetILNS1_3genE0ELNS1_11target_archE4294967295ELNS1_3gpuE0ELNS1_3repE0EEENS1_30default_config_static_selectorELNS0_4arch9wavefront6targetE1EEEvT1_,comdat
	.protected	_ZN7rocprim17ROCPRIM_400000_NS6detail17trampoline_kernelINS0_14default_configENS1_20scan_config_selectorIyEEZZNS1_9scan_implILNS1_25lookback_scan_determinismE0ELb1ELb1ES3_N6thrust23THRUST_200600_302600_NS6detail15normal_iteratorINS9_10device_ptrIyEEEESE_y11max_functorIyEyEEDaPvRmT3_T4_T5_mT6_P12ihipStream_tbENKUlT_T0_E_clISt17integral_constantIbLb1EESU_EEDaSP_SQ_EUlSP_E_NS1_11comp_targetILNS1_3genE0ELNS1_11target_archE4294967295ELNS1_3gpuE0ELNS1_3repE0EEENS1_30default_config_static_selectorELNS0_4arch9wavefront6targetE1EEEvT1_ ; -- Begin function _ZN7rocprim17ROCPRIM_400000_NS6detail17trampoline_kernelINS0_14default_configENS1_20scan_config_selectorIyEEZZNS1_9scan_implILNS1_25lookback_scan_determinismE0ELb1ELb1ES3_N6thrust23THRUST_200600_302600_NS6detail15normal_iteratorINS9_10device_ptrIyEEEESE_y11max_functorIyEyEEDaPvRmT3_T4_T5_mT6_P12ihipStream_tbENKUlT_T0_E_clISt17integral_constantIbLb1EESU_EEDaSP_SQ_EUlSP_E_NS1_11comp_targetILNS1_3genE0ELNS1_11target_archE4294967295ELNS1_3gpuE0ELNS1_3repE0EEENS1_30default_config_static_selectorELNS0_4arch9wavefront6targetE1EEEvT1_
	.globl	_ZN7rocprim17ROCPRIM_400000_NS6detail17trampoline_kernelINS0_14default_configENS1_20scan_config_selectorIyEEZZNS1_9scan_implILNS1_25lookback_scan_determinismE0ELb1ELb1ES3_N6thrust23THRUST_200600_302600_NS6detail15normal_iteratorINS9_10device_ptrIyEEEESE_y11max_functorIyEyEEDaPvRmT3_T4_T5_mT6_P12ihipStream_tbENKUlT_T0_E_clISt17integral_constantIbLb1EESU_EEDaSP_SQ_EUlSP_E_NS1_11comp_targetILNS1_3genE0ELNS1_11target_archE4294967295ELNS1_3gpuE0ELNS1_3repE0EEENS1_30default_config_static_selectorELNS0_4arch9wavefront6targetE1EEEvT1_
	.p2align	8
	.type	_ZN7rocprim17ROCPRIM_400000_NS6detail17trampoline_kernelINS0_14default_configENS1_20scan_config_selectorIyEEZZNS1_9scan_implILNS1_25lookback_scan_determinismE0ELb1ELb1ES3_N6thrust23THRUST_200600_302600_NS6detail15normal_iteratorINS9_10device_ptrIyEEEESE_y11max_functorIyEyEEDaPvRmT3_T4_T5_mT6_P12ihipStream_tbENKUlT_T0_E_clISt17integral_constantIbLb1EESU_EEDaSP_SQ_EUlSP_E_NS1_11comp_targetILNS1_3genE0ELNS1_11target_archE4294967295ELNS1_3gpuE0ELNS1_3repE0EEENS1_30default_config_static_selectorELNS0_4arch9wavefront6targetE1EEEvT1_,@function
_ZN7rocprim17ROCPRIM_400000_NS6detail17trampoline_kernelINS0_14default_configENS1_20scan_config_selectorIyEEZZNS1_9scan_implILNS1_25lookback_scan_determinismE0ELb1ELb1ES3_N6thrust23THRUST_200600_302600_NS6detail15normal_iteratorINS9_10device_ptrIyEEEESE_y11max_functorIyEyEEDaPvRmT3_T4_T5_mT6_P12ihipStream_tbENKUlT_T0_E_clISt17integral_constantIbLb1EESU_EEDaSP_SQ_EUlSP_E_NS1_11comp_targetILNS1_3genE0ELNS1_11target_archE4294967295ELNS1_3gpuE0ELNS1_3repE0EEENS1_30default_config_static_selectorELNS0_4arch9wavefront6targetE1EEEvT1_: ; @_ZN7rocprim17ROCPRIM_400000_NS6detail17trampoline_kernelINS0_14default_configENS1_20scan_config_selectorIyEEZZNS1_9scan_implILNS1_25lookback_scan_determinismE0ELb1ELb1ES3_N6thrust23THRUST_200600_302600_NS6detail15normal_iteratorINS9_10device_ptrIyEEEESE_y11max_functorIyEyEEDaPvRmT3_T4_T5_mT6_P12ihipStream_tbENKUlT_T0_E_clISt17integral_constantIbLb1EESU_EEDaSP_SQ_EUlSP_E_NS1_11comp_targetILNS1_3genE0ELNS1_11target_archE4294967295ELNS1_3gpuE0ELNS1_3repE0EEENS1_30default_config_static_selectorELNS0_4arch9wavefront6targetE1EEEvT1_
; %bb.0:
	.section	.rodata,"a",@progbits
	.p2align	6, 0x0
	.amdhsa_kernel _ZN7rocprim17ROCPRIM_400000_NS6detail17trampoline_kernelINS0_14default_configENS1_20scan_config_selectorIyEEZZNS1_9scan_implILNS1_25lookback_scan_determinismE0ELb1ELb1ES3_N6thrust23THRUST_200600_302600_NS6detail15normal_iteratorINS9_10device_ptrIyEEEESE_y11max_functorIyEyEEDaPvRmT3_T4_T5_mT6_P12ihipStream_tbENKUlT_T0_E_clISt17integral_constantIbLb1EESU_EEDaSP_SQ_EUlSP_E_NS1_11comp_targetILNS1_3genE0ELNS1_11target_archE4294967295ELNS1_3gpuE0ELNS1_3repE0EEENS1_30default_config_static_selectorELNS0_4arch9wavefront6targetE1EEEvT1_
		.amdhsa_group_segment_fixed_size 0
		.amdhsa_private_segment_fixed_size 0
		.amdhsa_kernarg_size 104
		.amdhsa_user_sgpr_count 6
		.amdhsa_user_sgpr_private_segment_buffer 1
		.amdhsa_user_sgpr_dispatch_ptr 0
		.amdhsa_user_sgpr_queue_ptr 0
		.amdhsa_user_sgpr_kernarg_segment_ptr 1
		.amdhsa_user_sgpr_dispatch_id 0
		.amdhsa_user_sgpr_flat_scratch_init 0
		.amdhsa_user_sgpr_kernarg_preload_length 0
		.amdhsa_user_sgpr_kernarg_preload_offset 0
		.amdhsa_user_sgpr_private_segment_size 0
		.amdhsa_uses_dynamic_stack 0
		.amdhsa_system_sgpr_private_segment_wavefront_offset 0
		.amdhsa_system_sgpr_workgroup_id_x 1
		.amdhsa_system_sgpr_workgroup_id_y 0
		.amdhsa_system_sgpr_workgroup_id_z 0
		.amdhsa_system_sgpr_workgroup_info 0
		.amdhsa_system_vgpr_workitem_id 0
		.amdhsa_next_free_vgpr 1
		.amdhsa_next_free_sgpr 0
		.amdhsa_accum_offset 4
		.amdhsa_reserve_vcc 0
		.amdhsa_reserve_flat_scratch 0
		.amdhsa_float_round_mode_32 0
		.amdhsa_float_round_mode_16_64 0
		.amdhsa_float_denorm_mode_32 3
		.amdhsa_float_denorm_mode_16_64 3
		.amdhsa_dx10_clamp 1
		.amdhsa_ieee_mode 1
		.amdhsa_fp16_overflow 0
		.amdhsa_tg_split 0
		.amdhsa_exception_fp_ieee_invalid_op 0
		.amdhsa_exception_fp_denorm_src 0
		.amdhsa_exception_fp_ieee_div_zero 0
		.amdhsa_exception_fp_ieee_overflow 0
		.amdhsa_exception_fp_ieee_underflow 0
		.amdhsa_exception_fp_ieee_inexact 0
		.amdhsa_exception_int_div_zero 0
	.end_amdhsa_kernel
	.section	.text._ZN7rocprim17ROCPRIM_400000_NS6detail17trampoline_kernelINS0_14default_configENS1_20scan_config_selectorIyEEZZNS1_9scan_implILNS1_25lookback_scan_determinismE0ELb1ELb1ES3_N6thrust23THRUST_200600_302600_NS6detail15normal_iteratorINS9_10device_ptrIyEEEESE_y11max_functorIyEyEEDaPvRmT3_T4_T5_mT6_P12ihipStream_tbENKUlT_T0_E_clISt17integral_constantIbLb1EESU_EEDaSP_SQ_EUlSP_E_NS1_11comp_targetILNS1_3genE0ELNS1_11target_archE4294967295ELNS1_3gpuE0ELNS1_3repE0EEENS1_30default_config_static_selectorELNS0_4arch9wavefront6targetE1EEEvT1_,"axG",@progbits,_ZN7rocprim17ROCPRIM_400000_NS6detail17trampoline_kernelINS0_14default_configENS1_20scan_config_selectorIyEEZZNS1_9scan_implILNS1_25lookback_scan_determinismE0ELb1ELb1ES3_N6thrust23THRUST_200600_302600_NS6detail15normal_iteratorINS9_10device_ptrIyEEEESE_y11max_functorIyEyEEDaPvRmT3_T4_T5_mT6_P12ihipStream_tbENKUlT_T0_E_clISt17integral_constantIbLb1EESU_EEDaSP_SQ_EUlSP_E_NS1_11comp_targetILNS1_3genE0ELNS1_11target_archE4294967295ELNS1_3gpuE0ELNS1_3repE0EEENS1_30default_config_static_selectorELNS0_4arch9wavefront6targetE1EEEvT1_,comdat
.Lfunc_end2190:
	.size	_ZN7rocprim17ROCPRIM_400000_NS6detail17trampoline_kernelINS0_14default_configENS1_20scan_config_selectorIyEEZZNS1_9scan_implILNS1_25lookback_scan_determinismE0ELb1ELb1ES3_N6thrust23THRUST_200600_302600_NS6detail15normal_iteratorINS9_10device_ptrIyEEEESE_y11max_functorIyEyEEDaPvRmT3_T4_T5_mT6_P12ihipStream_tbENKUlT_T0_E_clISt17integral_constantIbLb1EESU_EEDaSP_SQ_EUlSP_E_NS1_11comp_targetILNS1_3genE0ELNS1_11target_archE4294967295ELNS1_3gpuE0ELNS1_3repE0EEENS1_30default_config_static_selectorELNS0_4arch9wavefront6targetE1EEEvT1_, .Lfunc_end2190-_ZN7rocprim17ROCPRIM_400000_NS6detail17trampoline_kernelINS0_14default_configENS1_20scan_config_selectorIyEEZZNS1_9scan_implILNS1_25lookback_scan_determinismE0ELb1ELb1ES3_N6thrust23THRUST_200600_302600_NS6detail15normal_iteratorINS9_10device_ptrIyEEEESE_y11max_functorIyEyEEDaPvRmT3_T4_T5_mT6_P12ihipStream_tbENKUlT_T0_E_clISt17integral_constantIbLb1EESU_EEDaSP_SQ_EUlSP_E_NS1_11comp_targetILNS1_3genE0ELNS1_11target_archE4294967295ELNS1_3gpuE0ELNS1_3repE0EEENS1_30default_config_static_selectorELNS0_4arch9wavefront6targetE1EEEvT1_
                                        ; -- End function
	.section	.AMDGPU.csdata,"",@progbits
; Kernel info:
; codeLenInByte = 0
; NumSgprs: 4
; NumVgprs: 0
; NumAgprs: 0
; TotalNumVgprs: 0
; ScratchSize: 0
; MemoryBound: 0
; FloatMode: 240
; IeeeMode: 1
; LDSByteSize: 0 bytes/workgroup (compile time only)
; SGPRBlocks: 0
; VGPRBlocks: 0
; NumSGPRsForWavesPerEU: 4
; NumVGPRsForWavesPerEU: 1
; AccumOffset: 4
; Occupancy: 8
; WaveLimiterHint : 0
; COMPUTE_PGM_RSRC2:SCRATCH_EN: 0
; COMPUTE_PGM_RSRC2:USER_SGPR: 6
; COMPUTE_PGM_RSRC2:TRAP_HANDLER: 0
; COMPUTE_PGM_RSRC2:TGID_X_EN: 1
; COMPUTE_PGM_RSRC2:TGID_Y_EN: 0
; COMPUTE_PGM_RSRC2:TGID_Z_EN: 0
; COMPUTE_PGM_RSRC2:TIDIG_COMP_CNT: 0
; COMPUTE_PGM_RSRC3_GFX90A:ACCUM_OFFSET: 0
; COMPUTE_PGM_RSRC3_GFX90A:TG_SPLIT: 0
	.section	.text._ZN7rocprim17ROCPRIM_400000_NS6detail17trampoline_kernelINS0_14default_configENS1_20scan_config_selectorIyEEZZNS1_9scan_implILNS1_25lookback_scan_determinismE0ELb1ELb1ES3_N6thrust23THRUST_200600_302600_NS6detail15normal_iteratorINS9_10device_ptrIyEEEESE_y11max_functorIyEyEEDaPvRmT3_T4_T5_mT6_P12ihipStream_tbENKUlT_T0_E_clISt17integral_constantIbLb1EESU_EEDaSP_SQ_EUlSP_E_NS1_11comp_targetILNS1_3genE5ELNS1_11target_archE942ELNS1_3gpuE9ELNS1_3repE0EEENS1_30default_config_static_selectorELNS0_4arch9wavefront6targetE1EEEvT1_,"axG",@progbits,_ZN7rocprim17ROCPRIM_400000_NS6detail17trampoline_kernelINS0_14default_configENS1_20scan_config_selectorIyEEZZNS1_9scan_implILNS1_25lookback_scan_determinismE0ELb1ELb1ES3_N6thrust23THRUST_200600_302600_NS6detail15normal_iteratorINS9_10device_ptrIyEEEESE_y11max_functorIyEyEEDaPvRmT3_T4_T5_mT6_P12ihipStream_tbENKUlT_T0_E_clISt17integral_constantIbLb1EESU_EEDaSP_SQ_EUlSP_E_NS1_11comp_targetILNS1_3genE5ELNS1_11target_archE942ELNS1_3gpuE9ELNS1_3repE0EEENS1_30default_config_static_selectorELNS0_4arch9wavefront6targetE1EEEvT1_,comdat
	.protected	_ZN7rocprim17ROCPRIM_400000_NS6detail17trampoline_kernelINS0_14default_configENS1_20scan_config_selectorIyEEZZNS1_9scan_implILNS1_25lookback_scan_determinismE0ELb1ELb1ES3_N6thrust23THRUST_200600_302600_NS6detail15normal_iteratorINS9_10device_ptrIyEEEESE_y11max_functorIyEyEEDaPvRmT3_T4_T5_mT6_P12ihipStream_tbENKUlT_T0_E_clISt17integral_constantIbLb1EESU_EEDaSP_SQ_EUlSP_E_NS1_11comp_targetILNS1_3genE5ELNS1_11target_archE942ELNS1_3gpuE9ELNS1_3repE0EEENS1_30default_config_static_selectorELNS0_4arch9wavefront6targetE1EEEvT1_ ; -- Begin function _ZN7rocprim17ROCPRIM_400000_NS6detail17trampoline_kernelINS0_14default_configENS1_20scan_config_selectorIyEEZZNS1_9scan_implILNS1_25lookback_scan_determinismE0ELb1ELb1ES3_N6thrust23THRUST_200600_302600_NS6detail15normal_iteratorINS9_10device_ptrIyEEEESE_y11max_functorIyEyEEDaPvRmT3_T4_T5_mT6_P12ihipStream_tbENKUlT_T0_E_clISt17integral_constantIbLb1EESU_EEDaSP_SQ_EUlSP_E_NS1_11comp_targetILNS1_3genE5ELNS1_11target_archE942ELNS1_3gpuE9ELNS1_3repE0EEENS1_30default_config_static_selectorELNS0_4arch9wavefront6targetE1EEEvT1_
	.globl	_ZN7rocprim17ROCPRIM_400000_NS6detail17trampoline_kernelINS0_14default_configENS1_20scan_config_selectorIyEEZZNS1_9scan_implILNS1_25lookback_scan_determinismE0ELb1ELb1ES3_N6thrust23THRUST_200600_302600_NS6detail15normal_iteratorINS9_10device_ptrIyEEEESE_y11max_functorIyEyEEDaPvRmT3_T4_T5_mT6_P12ihipStream_tbENKUlT_T0_E_clISt17integral_constantIbLb1EESU_EEDaSP_SQ_EUlSP_E_NS1_11comp_targetILNS1_3genE5ELNS1_11target_archE942ELNS1_3gpuE9ELNS1_3repE0EEENS1_30default_config_static_selectorELNS0_4arch9wavefront6targetE1EEEvT1_
	.p2align	8
	.type	_ZN7rocprim17ROCPRIM_400000_NS6detail17trampoline_kernelINS0_14default_configENS1_20scan_config_selectorIyEEZZNS1_9scan_implILNS1_25lookback_scan_determinismE0ELb1ELb1ES3_N6thrust23THRUST_200600_302600_NS6detail15normal_iteratorINS9_10device_ptrIyEEEESE_y11max_functorIyEyEEDaPvRmT3_T4_T5_mT6_P12ihipStream_tbENKUlT_T0_E_clISt17integral_constantIbLb1EESU_EEDaSP_SQ_EUlSP_E_NS1_11comp_targetILNS1_3genE5ELNS1_11target_archE942ELNS1_3gpuE9ELNS1_3repE0EEENS1_30default_config_static_selectorELNS0_4arch9wavefront6targetE1EEEvT1_,@function
_ZN7rocprim17ROCPRIM_400000_NS6detail17trampoline_kernelINS0_14default_configENS1_20scan_config_selectorIyEEZZNS1_9scan_implILNS1_25lookback_scan_determinismE0ELb1ELb1ES3_N6thrust23THRUST_200600_302600_NS6detail15normal_iteratorINS9_10device_ptrIyEEEESE_y11max_functorIyEyEEDaPvRmT3_T4_T5_mT6_P12ihipStream_tbENKUlT_T0_E_clISt17integral_constantIbLb1EESU_EEDaSP_SQ_EUlSP_E_NS1_11comp_targetILNS1_3genE5ELNS1_11target_archE942ELNS1_3gpuE9ELNS1_3repE0EEENS1_30default_config_static_selectorELNS0_4arch9wavefront6targetE1EEEvT1_: ; @_ZN7rocprim17ROCPRIM_400000_NS6detail17trampoline_kernelINS0_14default_configENS1_20scan_config_selectorIyEEZZNS1_9scan_implILNS1_25lookback_scan_determinismE0ELb1ELb1ES3_N6thrust23THRUST_200600_302600_NS6detail15normal_iteratorINS9_10device_ptrIyEEEESE_y11max_functorIyEyEEDaPvRmT3_T4_T5_mT6_P12ihipStream_tbENKUlT_T0_E_clISt17integral_constantIbLb1EESU_EEDaSP_SQ_EUlSP_E_NS1_11comp_targetILNS1_3genE5ELNS1_11target_archE942ELNS1_3gpuE9ELNS1_3repE0EEENS1_30default_config_static_selectorELNS0_4arch9wavefront6targetE1EEEvT1_
; %bb.0:
	.section	.rodata,"a",@progbits
	.p2align	6, 0x0
	.amdhsa_kernel _ZN7rocprim17ROCPRIM_400000_NS6detail17trampoline_kernelINS0_14default_configENS1_20scan_config_selectorIyEEZZNS1_9scan_implILNS1_25lookback_scan_determinismE0ELb1ELb1ES3_N6thrust23THRUST_200600_302600_NS6detail15normal_iteratorINS9_10device_ptrIyEEEESE_y11max_functorIyEyEEDaPvRmT3_T4_T5_mT6_P12ihipStream_tbENKUlT_T0_E_clISt17integral_constantIbLb1EESU_EEDaSP_SQ_EUlSP_E_NS1_11comp_targetILNS1_3genE5ELNS1_11target_archE942ELNS1_3gpuE9ELNS1_3repE0EEENS1_30default_config_static_selectorELNS0_4arch9wavefront6targetE1EEEvT1_
		.amdhsa_group_segment_fixed_size 0
		.amdhsa_private_segment_fixed_size 0
		.amdhsa_kernarg_size 104
		.amdhsa_user_sgpr_count 6
		.amdhsa_user_sgpr_private_segment_buffer 1
		.amdhsa_user_sgpr_dispatch_ptr 0
		.amdhsa_user_sgpr_queue_ptr 0
		.amdhsa_user_sgpr_kernarg_segment_ptr 1
		.amdhsa_user_sgpr_dispatch_id 0
		.amdhsa_user_sgpr_flat_scratch_init 0
		.amdhsa_user_sgpr_kernarg_preload_length 0
		.amdhsa_user_sgpr_kernarg_preload_offset 0
		.amdhsa_user_sgpr_private_segment_size 0
		.amdhsa_uses_dynamic_stack 0
		.amdhsa_system_sgpr_private_segment_wavefront_offset 0
		.amdhsa_system_sgpr_workgroup_id_x 1
		.amdhsa_system_sgpr_workgroup_id_y 0
		.amdhsa_system_sgpr_workgroup_id_z 0
		.amdhsa_system_sgpr_workgroup_info 0
		.amdhsa_system_vgpr_workitem_id 0
		.amdhsa_next_free_vgpr 1
		.amdhsa_next_free_sgpr 0
		.amdhsa_accum_offset 4
		.amdhsa_reserve_vcc 0
		.amdhsa_reserve_flat_scratch 0
		.amdhsa_float_round_mode_32 0
		.amdhsa_float_round_mode_16_64 0
		.amdhsa_float_denorm_mode_32 3
		.amdhsa_float_denorm_mode_16_64 3
		.amdhsa_dx10_clamp 1
		.amdhsa_ieee_mode 1
		.amdhsa_fp16_overflow 0
		.amdhsa_tg_split 0
		.amdhsa_exception_fp_ieee_invalid_op 0
		.amdhsa_exception_fp_denorm_src 0
		.amdhsa_exception_fp_ieee_div_zero 0
		.amdhsa_exception_fp_ieee_overflow 0
		.amdhsa_exception_fp_ieee_underflow 0
		.amdhsa_exception_fp_ieee_inexact 0
		.amdhsa_exception_int_div_zero 0
	.end_amdhsa_kernel
	.section	.text._ZN7rocprim17ROCPRIM_400000_NS6detail17trampoline_kernelINS0_14default_configENS1_20scan_config_selectorIyEEZZNS1_9scan_implILNS1_25lookback_scan_determinismE0ELb1ELb1ES3_N6thrust23THRUST_200600_302600_NS6detail15normal_iteratorINS9_10device_ptrIyEEEESE_y11max_functorIyEyEEDaPvRmT3_T4_T5_mT6_P12ihipStream_tbENKUlT_T0_E_clISt17integral_constantIbLb1EESU_EEDaSP_SQ_EUlSP_E_NS1_11comp_targetILNS1_3genE5ELNS1_11target_archE942ELNS1_3gpuE9ELNS1_3repE0EEENS1_30default_config_static_selectorELNS0_4arch9wavefront6targetE1EEEvT1_,"axG",@progbits,_ZN7rocprim17ROCPRIM_400000_NS6detail17trampoline_kernelINS0_14default_configENS1_20scan_config_selectorIyEEZZNS1_9scan_implILNS1_25lookback_scan_determinismE0ELb1ELb1ES3_N6thrust23THRUST_200600_302600_NS6detail15normal_iteratorINS9_10device_ptrIyEEEESE_y11max_functorIyEyEEDaPvRmT3_T4_T5_mT6_P12ihipStream_tbENKUlT_T0_E_clISt17integral_constantIbLb1EESU_EEDaSP_SQ_EUlSP_E_NS1_11comp_targetILNS1_3genE5ELNS1_11target_archE942ELNS1_3gpuE9ELNS1_3repE0EEENS1_30default_config_static_selectorELNS0_4arch9wavefront6targetE1EEEvT1_,comdat
.Lfunc_end2191:
	.size	_ZN7rocprim17ROCPRIM_400000_NS6detail17trampoline_kernelINS0_14default_configENS1_20scan_config_selectorIyEEZZNS1_9scan_implILNS1_25lookback_scan_determinismE0ELb1ELb1ES3_N6thrust23THRUST_200600_302600_NS6detail15normal_iteratorINS9_10device_ptrIyEEEESE_y11max_functorIyEyEEDaPvRmT3_T4_T5_mT6_P12ihipStream_tbENKUlT_T0_E_clISt17integral_constantIbLb1EESU_EEDaSP_SQ_EUlSP_E_NS1_11comp_targetILNS1_3genE5ELNS1_11target_archE942ELNS1_3gpuE9ELNS1_3repE0EEENS1_30default_config_static_selectorELNS0_4arch9wavefront6targetE1EEEvT1_, .Lfunc_end2191-_ZN7rocprim17ROCPRIM_400000_NS6detail17trampoline_kernelINS0_14default_configENS1_20scan_config_selectorIyEEZZNS1_9scan_implILNS1_25lookback_scan_determinismE0ELb1ELb1ES3_N6thrust23THRUST_200600_302600_NS6detail15normal_iteratorINS9_10device_ptrIyEEEESE_y11max_functorIyEyEEDaPvRmT3_T4_T5_mT6_P12ihipStream_tbENKUlT_T0_E_clISt17integral_constantIbLb1EESU_EEDaSP_SQ_EUlSP_E_NS1_11comp_targetILNS1_3genE5ELNS1_11target_archE942ELNS1_3gpuE9ELNS1_3repE0EEENS1_30default_config_static_selectorELNS0_4arch9wavefront6targetE1EEEvT1_
                                        ; -- End function
	.section	.AMDGPU.csdata,"",@progbits
; Kernel info:
; codeLenInByte = 0
; NumSgprs: 4
; NumVgprs: 0
; NumAgprs: 0
; TotalNumVgprs: 0
; ScratchSize: 0
; MemoryBound: 0
; FloatMode: 240
; IeeeMode: 1
; LDSByteSize: 0 bytes/workgroup (compile time only)
; SGPRBlocks: 0
; VGPRBlocks: 0
; NumSGPRsForWavesPerEU: 4
; NumVGPRsForWavesPerEU: 1
; AccumOffset: 4
; Occupancy: 8
; WaveLimiterHint : 0
; COMPUTE_PGM_RSRC2:SCRATCH_EN: 0
; COMPUTE_PGM_RSRC2:USER_SGPR: 6
; COMPUTE_PGM_RSRC2:TRAP_HANDLER: 0
; COMPUTE_PGM_RSRC2:TGID_X_EN: 1
; COMPUTE_PGM_RSRC2:TGID_Y_EN: 0
; COMPUTE_PGM_RSRC2:TGID_Z_EN: 0
; COMPUTE_PGM_RSRC2:TIDIG_COMP_CNT: 0
; COMPUTE_PGM_RSRC3_GFX90A:ACCUM_OFFSET: 0
; COMPUTE_PGM_RSRC3_GFX90A:TG_SPLIT: 0
	.section	.text._ZN7rocprim17ROCPRIM_400000_NS6detail17trampoline_kernelINS0_14default_configENS1_20scan_config_selectorIyEEZZNS1_9scan_implILNS1_25lookback_scan_determinismE0ELb1ELb1ES3_N6thrust23THRUST_200600_302600_NS6detail15normal_iteratorINS9_10device_ptrIyEEEESE_y11max_functorIyEyEEDaPvRmT3_T4_T5_mT6_P12ihipStream_tbENKUlT_T0_E_clISt17integral_constantIbLb1EESU_EEDaSP_SQ_EUlSP_E_NS1_11comp_targetILNS1_3genE4ELNS1_11target_archE910ELNS1_3gpuE8ELNS1_3repE0EEENS1_30default_config_static_selectorELNS0_4arch9wavefront6targetE1EEEvT1_,"axG",@progbits,_ZN7rocprim17ROCPRIM_400000_NS6detail17trampoline_kernelINS0_14default_configENS1_20scan_config_selectorIyEEZZNS1_9scan_implILNS1_25lookback_scan_determinismE0ELb1ELb1ES3_N6thrust23THRUST_200600_302600_NS6detail15normal_iteratorINS9_10device_ptrIyEEEESE_y11max_functorIyEyEEDaPvRmT3_T4_T5_mT6_P12ihipStream_tbENKUlT_T0_E_clISt17integral_constantIbLb1EESU_EEDaSP_SQ_EUlSP_E_NS1_11comp_targetILNS1_3genE4ELNS1_11target_archE910ELNS1_3gpuE8ELNS1_3repE0EEENS1_30default_config_static_selectorELNS0_4arch9wavefront6targetE1EEEvT1_,comdat
	.protected	_ZN7rocprim17ROCPRIM_400000_NS6detail17trampoline_kernelINS0_14default_configENS1_20scan_config_selectorIyEEZZNS1_9scan_implILNS1_25lookback_scan_determinismE0ELb1ELb1ES3_N6thrust23THRUST_200600_302600_NS6detail15normal_iteratorINS9_10device_ptrIyEEEESE_y11max_functorIyEyEEDaPvRmT3_T4_T5_mT6_P12ihipStream_tbENKUlT_T0_E_clISt17integral_constantIbLb1EESU_EEDaSP_SQ_EUlSP_E_NS1_11comp_targetILNS1_3genE4ELNS1_11target_archE910ELNS1_3gpuE8ELNS1_3repE0EEENS1_30default_config_static_selectorELNS0_4arch9wavefront6targetE1EEEvT1_ ; -- Begin function _ZN7rocprim17ROCPRIM_400000_NS6detail17trampoline_kernelINS0_14default_configENS1_20scan_config_selectorIyEEZZNS1_9scan_implILNS1_25lookback_scan_determinismE0ELb1ELb1ES3_N6thrust23THRUST_200600_302600_NS6detail15normal_iteratorINS9_10device_ptrIyEEEESE_y11max_functorIyEyEEDaPvRmT3_T4_T5_mT6_P12ihipStream_tbENKUlT_T0_E_clISt17integral_constantIbLb1EESU_EEDaSP_SQ_EUlSP_E_NS1_11comp_targetILNS1_3genE4ELNS1_11target_archE910ELNS1_3gpuE8ELNS1_3repE0EEENS1_30default_config_static_selectorELNS0_4arch9wavefront6targetE1EEEvT1_
	.globl	_ZN7rocprim17ROCPRIM_400000_NS6detail17trampoline_kernelINS0_14default_configENS1_20scan_config_selectorIyEEZZNS1_9scan_implILNS1_25lookback_scan_determinismE0ELb1ELb1ES3_N6thrust23THRUST_200600_302600_NS6detail15normal_iteratorINS9_10device_ptrIyEEEESE_y11max_functorIyEyEEDaPvRmT3_T4_T5_mT6_P12ihipStream_tbENKUlT_T0_E_clISt17integral_constantIbLb1EESU_EEDaSP_SQ_EUlSP_E_NS1_11comp_targetILNS1_3genE4ELNS1_11target_archE910ELNS1_3gpuE8ELNS1_3repE0EEENS1_30default_config_static_selectorELNS0_4arch9wavefront6targetE1EEEvT1_
	.p2align	8
	.type	_ZN7rocprim17ROCPRIM_400000_NS6detail17trampoline_kernelINS0_14default_configENS1_20scan_config_selectorIyEEZZNS1_9scan_implILNS1_25lookback_scan_determinismE0ELb1ELb1ES3_N6thrust23THRUST_200600_302600_NS6detail15normal_iteratorINS9_10device_ptrIyEEEESE_y11max_functorIyEyEEDaPvRmT3_T4_T5_mT6_P12ihipStream_tbENKUlT_T0_E_clISt17integral_constantIbLb1EESU_EEDaSP_SQ_EUlSP_E_NS1_11comp_targetILNS1_3genE4ELNS1_11target_archE910ELNS1_3gpuE8ELNS1_3repE0EEENS1_30default_config_static_selectorELNS0_4arch9wavefront6targetE1EEEvT1_,@function
_ZN7rocprim17ROCPRIM_400000_NS6detail17trampoline_kernelINS0_14default_configENS1_20scan_config_selectorIyEEZZNS1_9scan_implILNS1_25lookback_scan_determinismE0ELb1ELb1ES3_N6thrust23THRUST_200600_302600_NS6detail15normal_iteratorINS9_10device_ptrIyEEEESE_y11max_functorIyEyEEDaPvRmT3_T4_T5_mT6_P12ihipStream_tbENKUlT_T0_E_clISt17integral_constantIbLb1EESU_EEDaSP_SQ_EUlSP_E_NS1_11comp_targetILNS1_3genE4ELNS1_11target_archE910ELNS1_3gpuE8ELNS1_3repE0EEENS1_30default_config_static_selectorELNS0_4arch9wavefront6targetE1EEEvT1_: ; @_ZN7rocprim17ROCPRIM_400000_NS6detail17trampoline_kernelINS0_14default_configENS1_20scan_config_selectorIyEEZZNS1_9scan_implILNS1_25lookback_scan_determinismE0ELb1ELb1ES3_N6thrust23THRUST_200600_302600_NS6detail15normal_iteratorINS9_10device_ptrIyEEEESE_y11max_functorIyEyEEDaPvRmT3_T4_T5_mT6_P12ihipStream_tbENKUlT_T0_E_clISt17integral_constantIbLb1EESU_EEDaSP_SQ_EUlSP_E_NS1_11comp_targetILNS1_3genE4ELNS1_11target_archE910ELNS1_3gpuE8ELNS1_3repE0EEENS1_30default_config_static_selectorELNS0_4arch9wavefront6targetE1EEEvT1_
; %bb.0:
	s_load_dwordx8 s[24:31], s[4:5], 0x0
	s_load_dwordx2 s[34:35], s[4:5], 0x20
	s_load_dwordx2 s[14:15], s[4:5], 0x30
	v_cmp_ne_u32_e64 s[2:3], 0, v0
	v_cmp_eq_u32_e64 s[0:1], 0, v0
	s_and_saveexec_b64 s[6:7], s[0:1]
	s_cbranch_execz .LBB2192_4
; %bb.1:
	s_mov_b64 s[10:11], exec
	v_mbcnt_lo_u32_b32 v1, s10, 0
	v_mbcnt_hi_u32_b32 v1, s11, v1
	v_cmp_eq_u32_e32 vcc, 0, v1
                                        ; implicit-def: $vgpr2
	s_and_saveexec_b64 s[8:9], vcc
	s_cbranch_execz .LBB2192_3
; %bb.2:
	s_load_dwordx2 s[12:13], s[4:5], 0x60
	s_bcnt1_i32_b64 s10, s[10:11]
	v_mov_b32_e32 v2, 0
	v_mov_b32_e32 v3, s10
	s_waitcnt lgkmcnt(0)
	global_atomic_add v2, v2, v3, s[12:13] glc
.LBB2192_3:
	s_or_b64 exec, exec, s[8:9]
	s_waitcnt vmcnt(0)
	v_readfirstlane_b32 s8, v2
	v_add_u32_e32 v1, s8, v1
	v_mov_b32_e32 v2, 0
	ds_write_b32 v2, v1
.LBB2192_4:
	s_or_b64 exec, exec, s[6:7]
	s_load_dword s6, s[4:5], 0x38
	s_load_dwordx8 s[16:23], s[4:5], 0x40
	v_mov_b32_e32 v1, 0
	s_waitcnt lgkmcnt(0)
	s_barrier
	ds_read_b32 v1, v1
	s_lshl_b64 s[26:27], s[26:27], 3
	s_add_u32 s39, s24, s26
	s_addc_u32 s40, s25, s27
	s_add_i32 s6, s6, -1
	s_mul_i32 s7, s6, 0x380
	s_sub_u32 s33, s30, s7
	s_waitcnt lgkmcnt(0)
	v_readfirstlane_b32 s41, v1
	s_subb_u32 s38, s31, 0
	s_mul_i32 s4, s41, 0x380
	s_mov_b32 s5, 0
	s_cmp_lg_u32 s41, s6
	s_cselect_b64 s[24:25], -1, 0
	s_lshl_b64 s[30:31], s[4:5], 3
	s_add_u32 s6, s39, s30
	s_addc_u32 s7, s40, s31
	s_mov_b64 s[4:5], -1
	s_and_b64 vcc, exec, s[24:25]
	v_lshlrev_b32_e32 v36, 3, v0
	s_barrier
	s_cbranch_vccz .LBB2192_6
; %bb.5:
	v_mov_b32_e32 v1, s7
	v_add_co_u32_e32 v2, vcc, s6, v36
	v_addc_co_u32_e32 v3, vcc, 0, v1, vcc
	flat_load_dwordx2 v[4:5], v[2:3]
	flat_load_dwordx2 v[6:7], v[2:3] offset:1024
	flat_load_dwordx2 v[8:9], v[2:3] offset:2048
	;; [unrolled: 1-line block ×3, first 2 shown]
	v_add_co_u32_e32 v2, vcc, 0x1000, v2
	v_addc_co_u32_e32 v3, vcc, 0, v3, vcc
	flat_load_dwordx2 v[12:13], v[2:3]
	flat_load_dwordx2 v[14:15], v[2:3] offset:1024
	flat_load_dwordx2 v[16:17], v[2:3] offset:2048
	s_mov_b64 s[4:5], 0
	s_waitcnt vmcnt(0) lgkmcnt(0)
	ds_write2st64_b64 v36, v[4:5], v[6:7] offset1:2
	ds_write2st64_b64 v36, v[8:9], v[10:11] offset0:4 offset1:6
	ds_write2st64_b64 v36, v[12:13], v[14:15] offset0:8 offset1:10
	ds_write_b64 v36, v[16:17] offset:6144
	s_waitcnt lgkmcnt(0)
	s_barrier
.LBB2192_6:
	s_andn2_b64 vcc, exec, s[4:5]
	v_cmp_gt_u32_e64 s[4:5], s33, v0
	s_cbranch_vccnz .LBB2192_22
; %bb.7:
	v_pk_mov_b32 v[2:3], s[6:7], s[6:7] op_sel:[0,1]
	flat_load_dwordx2 v[2:3], v[2:3]
	s_waitcnt vmcnt(0) lgkmcnt(0)
	v_mov_b32_e32 v4, v2
	v_mov_b32_e32 v5, v3
	;; [unrolled: 1-line block ×10, first 2 shown]
	v_pk_mov_b32 v[18:19], v[14:15], v[14:15] op_sel:[0,1]
	v_pk_mov_b32 v[16:17], v[12:13], v[12:13] op_sel:[0,1]
	;; [unrolled: 1-line block ×8, first 2 shown]
	s_and_saveexec_b64 s[8:9], s[4:5]
	s_cbranch_execz .LBB2192_9
; %bb.8:
	v_mov_b32_e32 v1, s7
	v_add_co_u32_e32 v4, vcc, s6, v36
	v_addc_co_u32_e32 v5, vcc, 0, v1, vcc
	flat_load_dwordx2 v[20:21], v[4:5]
	v_mov_b32_e32 v4, v2
	v_mov_b32_e32 v5, v3
	;; [unrolled: 1-line block ×10, first 2 shown]
	v_pk_mov_b32 v[18:19], v[14:15], v[14:15] op_sel:[0,1]
	v_pk_mov_b32 v[16:17], v[12:13], v[12:13] op_sel:[0,1]
	v_pk_mov_b32 v[14:15], v[10:11], v[10:11] op_sel:[0,1]
	v_pk_mov_b32 v[12:13], v[8:9], v[8:9] op_sel:[0,1]
	v_pk_mov_b32 v[10:11], v[6:7], v[6:7] op_sel:[0,1]
	v_pk_mov_b32 v[8:9], v[4:5], v[4:5] op_sel:[0,1]
	v_pk_mov_b32 v[6:7], v[2:3], v[2:3] op_sel:[0,1]
	v_pk_mov_b32 v[4:5], v[0:1], v[0:1] op_sel:[0,1]
	s_waitcnt vmcnt(0) lgkmcnt(0)
	v_pk_mov_b32 v[2:3], v[20:21], v[20:21] op_sel:[0,1]
.LBB2192_9:
	s_or_b64 exec, exec, s[8:9]
	v_or_b32_e32 v1, 0x80, v0
	v_cmp_gt_u32_e32 vcc, s33, v1
	s_and_saveexec_b64 s[4:5], vcc
	s_cbranch_execz .LBB2192_11
; %bb.10:
	v_mov_b32_e32 v1, s7
	v_add_co_u32_e32 v4, vcc, s6, v36
	v_addc_co_u32_e32 v5, vcc, 0, v1, vcc
	flat_load_dwordx2 v[6:7], v[4:5] offset:1024
.LBB2192_11:
	s_or_b64 exec, exec, s[4:5]
	v_or_b32_e32 v1, 0x100, v0
	v_cmp_gt_u32_e32 vcc, s33, v1
	s_and_saveexec_b64 s[4:5], vcc
	s_cbranch_execz .LBB2192_13
; %bb.12:
	v_mov_b32_e32 v1, s7
	v_add_co_u32_e32 v4, vcc, s6, v36
	v_addc_co_u32_e32 v5, vcc, 0, v1, vcc
	flat_load_dwordx2 v[8:9], v[4:5] offset:2048
.LBB2192_13:
	;; [unrolled: 11-line block ×3, first 2 shown]
	s_or_b64 exec, exec, s[4:5]
	v_or_b32_e32 v1, 0x200, v0
	v_cmp_gt_u32_e32 vcc, s33, v1
	s_and_saveexec_b64 s[4:5], vcc
	s_cbranch_execz .LBB2192_17
; %bb.16:
	v_lshlrev_b32_e32 v1, 3, v1
	v_mov_b32_e32 v5, s7
	v_add_co_u32_e32 v4, vcc, s6, v1
	v_addc_co_u32_e32 v5, vcc, 0, v5, vcc
	flat_load_dwordx2 v[12:13], v[4:5]
.LBB2192_17:
	s_or_b64 exec, exec, s[4:5]
	v_or_b32_e32 v1, 0x280, v0
	v_cmp_gt_u32_e32 vcc, s33, v1
	s_and_saveexec_b64 s[4:5], vcc
	s_cbranch_execz .LBB2192_19
; %bb.18:
	v_lshlrev_b32_e32 v1, 3, v1
	v_mov_b32_e32 v5, s7
	v_add_co_u32_e32 v4, vcc, s6, v1
	v_addc_co_u32_e32 v5, vcc, 0, v5, vcc
	flat_load_dwordx2 v[14:15], v[4:5]
.LBB2192_19:
	;; [unrolled: 12-line block ×3, first 2 shown]
	s_or_b64 exec, exec, s[4:5]
	s_waitcnt vmcnt(0) lgkmcnt(0)
	ds_write2st64_b64 v36, v[2:3], v[6:7] offset1:2
	ds_write2st64_b64 v36, v[8:9], v[10:11] offset0:4 offset1:6
	ds_write2st64_b64 v36, v[12:13], v[14:15] offset0:8 offset1:10
	ds_write_b64 v36, v[16:17] offset:6144
	s_waitcnt lgkmcnt(0)
	s_barrier
.LBB2192_22:
	v_mul_u32_u24_e32 v37, 7, v0
	v_lshlrev_b32_e32 v38, 3, v37
	ds_read2_b64 v[10:13], v38 offset1:1
	ds_read2_b64 v[6:9], v38 offset0:2 offset1:3
	ds_read2_b64 v[2:5], v38 offset0:4 offset1:5
	ds_read_b64 v[26:27], v38 offset:48
	s_cmp_lg_u32 s41, 0
	s_waitcnt lgkmcnt(3)
	v_cmp_gt_u64_e64 s[4:5], v[10:11], v[12:13]
	v_lshrrev_b32_e32 v1, 5, v0
	v_cmp_gt_u32_e32 vcc, 64, v0
	s_waitcnt lgkmcnt(0)
	s_barrier
	s_cbranch_scc0 .LBB2192_53
; %bb.23:
	v_cndmask_b32_e64 v15, v13, v11, s[4:5]
	v_cndmask_b32_e64 v14, v12, v10, s[4:5]
	v_cmp_gt_u64_e64 s[4:5], v[14:15], v[6:7]
	v_cndmask_b32_e64 v15, v7, v15, s[4:5]
	v_cndmask_b32_e64 v14, v6, v14, s[4:5]
	v_cmp_gt_u64_e64 s[4:5], v[14:15], v[8:9]
	;; [unrolled: 3-line block ×5, first 2 shown]
	v_cndmask_b32_e64 v23, v27, v15, s[4:5]
	v_cndmask_b32_e64 v22, v26, v14, s[4:5]
	v_add_lshl_u32 v14, v1, v0, 3
	ds_write_b64 v14, v[22:23]
	s_waitcnt lgkmcnt(0)
	s_barrier
	s_and_saveexec_b64 s[8:9], vcc
	s_cbranch_execz .LBB2192_27
; %bb.24:
	v_lshlrev_b32_e32 v14, 1, v0
	v_lshrrev_b32_e32 v15, 4, v0
	v_add_lshl_u32 v24, v15, v14, 3
	ds_read2_b64 v[14:17], v24 offset1:1
	v_mbcnt_lo_u32_b32 v18, -1, 0
	v_mbcnt_hi_u32_b32 v25, -1, v18
	v_and_b32_e32 v28, 15, v25
	v_and_b32_e32 v30, 16, v25
	s_waitcnt lgkmcnt(0)
	v_cmp_gt_u64_e64 s[4:5], v[14:15], v[16:17]
	v_cndmask_b32_e64 v17, v17, v15, s[4:5]
	v_cndmask_b32_e64 v16, v16, v14, s[4:5]
	v_cmp_ne_u32_e64 s[6:7], 0, v25
	v_mov_b32_dpp v19, v17 row_shr:1 row_mask:0xf bank_mask:0xf
	v_mov_b32_dpp v18, v16 row_shr:1 row_mask:0xf bank_mask:0xf
	v_cmp_gt_u64_e64 s[4:5], v[18:19], v[16:17]
	v_cndmask_b32_e64 v18, v16, v18, s[4:5]
	v_cndmask_b32_e64 v19, v17, v19, s[4:5]
	v_cmp_eq_u32_e64 s[4:5], 0, v28
	v_cndmask_b32_e64 v19, v19, v17, s[4:5]
	v_cndmask_b32_e64 v18, v18, v16, s[4:5]
	s_nop 0
	v_mov_b32_dpp v21, v19 row_shr:2 row_mask:0xf bank_mask:0xf
	v_mov_b32_dpp v20, v18 row_shr:2 row_mask:0xf bank_mask:0xf
	v_cmp_gt_u64_e64 s[4:5], v[20:21], v[18:19]
	v_cndmask_b32_e64 v20, v18, v20, s[4:5]
	v_cndmask_b32_e64 v21, v19, v21, s[4:5]
	v_cmp_lt_u32_e64 s[4:5], 1, v28
	v_cndmask_b32_e64 v19, v19, v21, s[4:5]
	v_cndmask_b32_e64 v18, v18, v20, s[4:5]
	s_nop 0
	v_mov_b32_dpp v21, v19 row_shr:4 row_mask:0xf bank_mask:0xf
	v_mov_b32_dpp v20, v18 row_shr:4 row_mask:0xf bank_mask:0xf
	v_cmp_gt_u64_e64 s[4:5], v[20:21], v[18:19]
	v_cndmask_b32_e64 v20, v18, v20, s[4:5]
	v_cndmask_b32_e64 v21, v19, v21, s[4:5]
	v_cmp_lt_u32_e64 s[4:5], 3, v28
	;; [unrolled: 9-line block ×3, first 2 shown]
	v_cndmask_b32_e64 v19, v19, v21, s[4:5]
	v_cndmask_b32_e64 v18, v18, v20, s[4:5]
	s_nop 0
	v_mov_b32_dpp v21, v19 row_bcast:15 row_mask:0xf bank_mask:0xf
	v_mov_b32_dpp v20, v18 row_bcast:15 row_mask:0xf bank_mask:0xf
	v_cmp_gt_u64_e64 s[4:5], v[20:21], v[18:19]
	v_cndmask_b32_e64 v28, v19, v21, s[4:5]
	v_cndmask_b32_e64 v29, v18, v20, s[4:5]
	v_cmp_eq_u32_e64 s[4:5], 0, v30
	v_cndmask_b32_e64 v21, v28, v19, s[4:5]
	v_cndmask_b32_e64 v20, v29, v18, s[4:5]
	s_nop 0
	v_mov_b32_dpp v21, v21 row_bcast:31 row_mask:0xf bank_mask:0xf
	v_mov_b32_dpp v20, v20 row_bcast:31 row_mask:0xf bank_mask:0xf
	s_and_saveexec_b64 s[10:11], s[6:7]
; %bb.25:
	v_cndmask_b32_e64 v17, v28, v19, s[4:5]
	v_cndmask_b32_e64 v16, v29, v18, s[4:5]
	v_cmp_lt_u32_e64 s[6:7], 31, v25
	v_cmp_gt_u64_e64 s[4:5], v[20:21], v[16:17]
	s_and_b64 s[4:5], s[6:7], s[4:5]
	v_cndmask_b32_e64 v16, v16, v20, s[4:5]
	v_cndmask_b32_e64 v17, v17, v21, s[4:5]
; %bb.26:
	s_or_b64 exec, exec, s[10:11]
	v_add_u32_e32 v18, -1, v25
	v_and_b32_e32 v19, 64, v25
	v_cmp_lt_i32_e64 s[4:5], v18, v19
	v_cndmask_b32_e64 v18, v18, v25, s[4:5]
	v_lshlrev_b32_e32 v18, 2, v18
	ds_bpermute_b32 v16, v18, v16
	ds_bpermute_b32 v17, v18, v17
	; wave barrier
	s_waitcnt lgkmcnt(0)
	v_cmp_gt_u64_e64 s[4:5], v[16:17], v[14:15]
	v_cndmask_b32_e64 v14, v14, v16, s[4:5]
	v_cndmask_b32_e64 v15, v15, v17, s[4:5]
	;; [unrolled: 1-line block ×4, first 2 shown]
	ds_write_b64 v24, v[14:15]
	; wave barrier
	ds_read_b64 v[16:17], v24 offset:8
	s_waitcnt lgkmcnt(0)
	v_cmp_gt_u64_e64 s[4:5], v[14:15], v[16:17]
	v_cndmask_b32_e64 v15, v17, v15, s[4:5]
	v_cndmask_b32_e64 v14, v16, v14, s[4:5]
	ds_write_b64 v24, v[14:15] offset:8
.LBB2192_27:
	s_or_b64 exec, exec, s[8:9]
	s_waitcnt lgkmcnt(0)
	s_barrier
	s_and_saveexec_b64 s[4:5], s[2:3]
	s_cbranch_execz .LBB2192_29
; %bb.28:
	v_add_u32_e32 v14, -1, v0
	v_lshrrev_b32_e32 v15, 5, v14
	v_add_lshl_u32 v14, v15, v14, 3
	ds_read_b64 v[22:23], v14
.LBB2192_29:
	s_or_b64 exec, exec, s[4:5]
	s_and_saveexec_b64 s[36:37], vcc
	s_cbranch_execz .LBB2192_52
; %bb.30:
	v_mov_b32_e32 v17, 0
	ds_read_b64 v[14:15], v17 offset:1040
	v_mbcnt_lo_u32_b32 v16, -1, 0
	v_mbcnt_hi_u32_b32 v25, -1, v16
	s_mov_b32 s9, 0
	v_cmp_eq_u32_e64 s[4:5], 0, v25
	s_and_saveexec_b64 s[6:7], s[4:5]
	s_cbranch_execz .LBB2192_32
; %bb.31:
	s_add_i32 s8, s41, 64
	s_lshl_b64 s[8:9], s[8:9], 4
	s_add_u32 s8, s14, s8
	s_addc_u32 s9, s15, s9
	v_mov_b32_e32 v16, 1
	v_pk_mov_b32 v[18:19], s[8:9], s[8:9] op_sel:[0,1]
	s_waitcnt lgkmcnt(0)
	;;#ASMSTART
	global_store_dwordx4 v[18:19], v[14:17] off	
s_waitcnt vmcnt(0)
	;;#ASMEND
.LBB2192_32:
	s_or_b64 exec, exec, s[6:7]
	v_xad_u32 v24, v25, -1, s41
	v_add_u32_e32 v16, 64, v24
	v_lshlrev_b64 v[18:19], 4, v[16:17]
	v_mov_b32_e32 v16, s15
	v_add_co_u32_e32 v28, vcc, s14, v18
	v_addc_co_u32_e32 v29, vcc, v16, v19, vcc
	;;#ASMSTART
	global_load_dwordx4 v[18:21], v[28:29] off glc	
s_waitcnt vmcnt(0)
	;;#ASMEND
	v_and_b32_e32 v16, 0xff, v19
	v_and_b32_e32 v21, 0xff00, v19
	v_or3_b32 v16, 0, v16, v21
	v_or3_b32 v18, v18, 0, 0
	v_and_b32_e32 v21, 0xff000000, v19
	v_and_b32_e32 v19, 0xff0000, v19
	v_or3_b32 v19, v16, v19, v21
	v_or3_b32 v18, v18, 0, 0
	v_cmp_eq_u16_sdwa s[8:9], v20, v17 src0_sel:BYTE_0 src1_sel:DWORD
	s_and_saveexec_b64 s[6:7], s[8:9]
	s_cbranch_execz .LBB2192_38
; %bb.33:
	s_mov_b32 s10, 1
	s_mov_b64 s[8:9], 0
	v_mov_b32_e32 v16, 0
.LBB2192_34:                            ; =>This Loop Header: Depth=1
                                        ;     Child Loop BB2192_35 Depth 2
	s_max_u32 s11, s10, 1
.LBB2192_35:                            ;   Parent Loop BB2192_34 Depth=1
                                        ; =>  This Inner Loop Header: Depth=2
	s_add_i32 s11, s11, -1
	s_cmp_eq_u32 s11, 0
	s_sleep 1
	s_cbranch_scc0 .LBB2192_35
; %bb.36:                               ;   in Loop: Header=BB2192_34 Depth=1
	s_cmp_lt_u32 s10, 32
	s_cselect_b64 s[12:13], -1, 0
	s_cmp_lg_u64 s[12:13], 0
	s_addc_u32 s10, s10, 0
	;;#ASMSTART
	global_load_dwordx4 v[18:21], v[28:29] off glc	
s_waitcnt vmcnt(0)
	;;#ASMEND
	v_cmp_ne_u16_sdwa s[12:13], v20, v16 src0_sel:BYTE_0 src1_sel:DWORD
	s_or_b64 s[8:9], s[12:13], s[8:9]
	s_andn2_b64 exec, exec, s[8:9]
	s_cbranch_execnz .LBB2192_34
; %bb.37:
	s_or_b64 exec, exec, s[8:9]
.LBB2192_38:
	s_or_b64 exec, exec, s[6:7]
	v_and_b32_e32 v33, 63, v25
	v_cmp_ne_u32_e32 vcc, 63, v33
	v_mov_b32_e32 v32, 2
	v_addc_co_u32_e32 v28, vcc, 0, v25, vcc
	v_cmp_eq_u16_sdwa s[6:7], v20, v32 src0_sel:BYTE_0 src1_sel:DWORD
	v_lshlrev_b64 v[16:17], v25, -1
	v_lshlrev_b32_e32 v34, 2, v28
	v_and_b32_e32 v21, s7, v17
	ds_bpermute_b32 v28, v34, v18
	ds_bpermute_b32 v29, v34, v19
	v_or_b32_e32 v21, 0x80000000, v21
	v_and_b32_e32 v30, s6, v16
	v_ffbl_b32_e32 v21, v21
	v_add_u32_e32 v21, 32, v21
	v_ffbl_b32_e32 v30, v30
	v_min_u32_e32 v21, v30, v21
	s_waitcnt lgkmcnt(0)
	v_cmp_gt_u64_e64 s[6:7], v[28:29], v[18:19]
	v_cmp_lt_u32_e32 vcc, v33, v21
	v_cndmask_b32_e64 v28, v18, v28, s[6:7]
	s_and_b64 s[6:7], vcc, s[6:7]
	v_cndmask_b32_e64 v29, v19, v29, s[6:7]
	v_cmp_gt_u32_e64 s[6:7], 62, v33
	v_cndmask_b32_e64 v30, 0, 1, s[6:7]
	v_lshlrev_b32_e32 v30, 1, v30
	v_cndmask_b32_e32 v28, v18, v28, vcc
	v_add_lshl_u32 v35, v30, v25, 2
	ds_bpermute_b32 v30, v35, v28
	ds_bpermute_b32 v31, v35, v29
	v_add_u32_e32 v39, 2, v33
	v_cmp_gt_u32_e64 s[8:9], 56, v33
	v_add_u32_e32 v41, 4, v33
	v_cndmask_b32_e64 v42, 0, 1, s[8:9]
	s_waitcnt lgkmcnt(0)
	v_cmp_gt_u64_e64 s[6:7], v[30:31], v[28:29]
	v_cndmask_b32_e64 v31, v29, v31, s[6:7]
	v_cndmask_b32_e64 v30, v28, v30, s[6:7]
	v_cmp_gt_u32_e64 s[6:7], v39, v21
	v_cndmask_b32_e64 v28, v30, v28, s[6:7]
	v_cndmask_b32_e64 v29, v31, v29, s[6:7]
	v_cmp_gt_u32_e64 s[6:7], 60, v33
	v_cndmask_b32_e64 v30, 0, 1, s[6:7]
	v_lshlrev_b32_e32 v30, 2, v30
	v_add_lshl_u32 v40, v30, v25, 2
	ds_bpermute_b32 v30, v40, v28
	ds_bpermute_b32 v31, v40, v29
	v_lshlrev_b32_e32 v42, 3, v42
	v_add_lshl_u32 v42, v42, v25, 2
	v_cmp_gt_u32_e64 s[10:11], 48, v33
	v_add_u32_e32 v43, 8, v33
	s_waitcnt lgkmcnt(0)
	v_cmp_gt_u64_e64 s[6:7], v[30:31], v[28:29]
	v_cndmask_b32_e64 v50, v29, v31, s[6:7]
	v_cndmask_b32_e64 v51, v28, v30, s[6:7]
	v_cmp_gt_u32_e64 s[6:7], v41, v21
	v_cndmask_b32_e64 v30, v51, v28, s[6:7]
	v_cndmask_b32_e64 v31, v50, v29, s[6:7]
	ds_bpermute_b32 v44, v42, v30
	ds_bpermute_b32 v45, v42, v31
	v_cmp_gt_u32_e64 s[12:13], 32, v33
	v_cndmask_b32_e32 v19, v19, v29, vcc
	v_cndmask_b32_e32 v18, v18, v28, vcc
	v_cndmask_b32_e64 v18, v51, v18, s[6:7]
	s_waitcnt lgkmcnt(0)
	v_cmp_gt_u64_e64 s[8:9], v[44:45], v[30:31]
	v_cndmask_b32_e64 v53, v30, v44, s[8:9]
	v_cndmask_b32_e64 v44, 0, 1, s[10:11]
	;; [unrolled: 1-line block ×3, first 2 shown]
	v_cmp_gt_u32_e64 s[8:9], v43, v21
	v_lshlrev_b32_e32 v44, 4, v44
	v_cndmask_b32_e64 v30, v53, v30, s[8:9]
	v_cndmask_b32_e64 v31, v52, v31, s[8:9]
	v_add_lshl_u32 v44, v44, v25, 2
	ds_bpermute_b32 v46, v44, v30
	ds_bpermute_b32 v47, v44, v31
	v_add_u32_e32 v45, 16, v33
	v_cndmask_b32_e64 v19, v50, v19, s[6:7]
	v_cndmask_b32_e64 v19, v52, v19, s[8:9]
	;; [unrolled: 1-line block ×3, first 2 shown]
	s_waitcnt lgkmcnt(0)
	v_cmp_gt_u64_e64 s[10:11], v[46:47], v[30:31]
	v_cndmask_b32_e64 v55, v30, v46, s[10:11]
	v_cndmask_b32_e64 v46, 0, 1, s[12:13]
	;; [unrolled: 1-line block ×3, first 2 shown]
	v_cmp_gt_u32_e64 s[10:11], v45, v21
	v_lshlrev_b32_e32 v46, 5, v46
	v_cndmask_b32_e64 v30, v55, v30, s[10:11]
	v_add_lshl_u32 v46, v46, v25, 2
	v_cndmask_b32_e64 v31, v54, v31, s[10:11]
	ds_bpermute_b32 v48, v46, v30
	ds_bpermute_b32 v49, v46, v31
	v_add_u32_e32 v47, 32, v33
	v_cndmask_b32_e64 v18, v55, v18, s[10:11]
	v_cndmask_b32_e64 v19, v54, v19, s[10:11]
	v_cmp_gt_u32_e32 vcc, v47, v21
	s_waitcnt lgkmcnt(0)
	v_cmp_gt_u64_e64 s[12:13], v[48:49], v[30:31]
	v_cndmask_b32_e64 v25, v30, v48, s[12:13]
	v_cndmask_b32_e64 v30, v31, v49, s[12:13]
	v_cndmask_b32_e32 v19, v30, v19, vcc
	v_cndmask_b32_e32 v18, v25, v18, vcc
	v_mov_b32_e32 v25, 0
	s_branch .LBB2192_40
.LBB2192_39:                            ;   in Loop: Header=BB2192_40 Depth=1
	s_or_b64 exec, exec, s[6:7]
	v_cmp_eq_u16_sdwa s[6:7], v20, v32 src0_sel:BYTE_0 src1_sel:DWORD
	v_and_b32_e32 v21, s7, v17
	ds_bpermute_b32 v30, v34, v18
	ds_bpermute_b32 v31, v34, v19
	v_or_b32_e32 v21, 0x80000000, v21
	v_and_b32_e32 v48, s6, v16
	v_ffbl_b32_e32 v21, v21
	v_add_u32_e32 v21, 32, v21
	v_ffbl_b32_e32 v48, v48
	v_min_u32_e32 v21, v48, v21
	s_waitcnt lgkmcnt(0)
	v_cmp_gt_u64_e32 vcc, v[30:31], v[18:19]
	v_cmp_lt_u32_e64 s[6:7], v33, v21
	v_cndmask_b32_e32 v30, v18, v30, vcc
	s_and_b64 vcc, s[6:7], vcc
	v_cndmask_b32_e64 v30, v18, v30, s[6:7]
	v_cndmask_b32_e32 v31, v19, v31, vcc
	ds_bpermute_b32 v48, v35, v30
	ds_bpermute_b32 v49, v35, v31
	v_subrev_u32_e32 v24, 64, v24
	s_waitcnt lgkmcnt(0)
	v_cmp_gt_u64_e32 vcc, v[48:49], v[30:31]
	v_cndmask_b32_e32 v49, v31, v49, vcc
	v_cndmask_b32_e32 v48, v30, v48, vcc
	v_cmp_gt_u32_e32 vcc, v39, v21
	v_cndmask_b32_e32 v30, v48, v30, vcc
	v_cndmask_b32_e32 v31, v49, v31, vcc
	ds_bpermute_b32 v48, v40, v30
	ds_bpermute_b32 v49, v40, v31
	v_cndmask_b32_e64 v19, v19, v31, s[6:7]
	v_cndmask_b32_e64 v18, v18, v30, s[6:7]
	s_waitcnt lgkmcnt(0)
	v_cmp_gt_u64_e32 vcc, v[48:49], v[30:31]
	v_cndmask_b32_e32 v52, v31, v49, vcc
	v_cndmask_b32_e32 v53, v30, v48, vcc
	v_cmp_gt_u32_e32 vcc, v41, v21
	v_cndmask_b32_e32 v48, v53, v30, vcc
	v_cndmask_b32_e32 v49, v52, v31, vcc
	ds_bpermute_b32 v50, v42, v48
	ds_bpermute_b32 v51, v42, v49
	v_cndmask_b32_e32 v18, v53, v18, vcc
	v_cndmask_b32_e32 v19, v52, v19, vcc
	v_cmp_gt_u32_e32 vcc, v47, v21
	s_waitcnt lgkmcnt(0)
	v_cmp_gt_u64_e64 s[8:9], v[50:51], v[48:49]
	v_cndmask_b32_e64 v54, v49, v51, s[8:9]
	v_cndmask_b32_e64 v55, v48, v50, s[8:9]
	v_cmp_gt_u32_e64 s[8:9], v43, v21
	v_cndmask_b32_e64 v48, v55, v48, s[8:9]
	v_cndmask_b32_e64 v49, v54, v49, s[8:9]
	ds_bpermute_b32 v50, v44, v48
	ds_bpermute_b32 v51, v44, v49
	v_cndmask_b32_e64 v19, v54, v19, s[8:9]
	v_cndmask_b32_e64 v18, v55, v18, s[8:9]
	s_waitcnt lgkmcnt(0)
	v_cmp_gt_u64_e64 s[10:11], v[50:51], v[48:49]
	v_cndmask_b32_e64 v56, v49, v51, s[10:11]
	v_cndmask_b32_e64 v57, v48, v50, s[10:11]
	v_cmp_gt_u32_e64 s[10:11], v45, v21
	v_cndmask_b32_e64 v48, v57, v48, s[10:11]
	v_cndmask_b32_e64 v49, v56, v49, s[10:11]
	ds_bpermute_b32 v50, v46, v48
	ds_bpermute_b32 v51, v46, v49
	v_cndmask_b32_e64 v18, v57, v18, s[10:11]
	v_cndmask_b32_e64 v19, v56, v19, s[10:11]
	s_waitcnt lgkmcnt(0)
	v_cmp_gt_u64_e64 s[12:13], v[50:51], v[48:49]
	v_cndmask_b32_e64 v48, v48, v50, s[12:13]
	v_cndmask_b32_e64 v49, v49, v51, s[12:13]
	v_cndmask_b32_e32 v19, v49, v19, vcc
	v_cndmask_b32_e32 v18, v48, v18, vcc
	v_cmp_gt_u64_e32 vcc, v[18:19], v[28:29]
	v_cndmask_b32_e32 v19, v29, v19, vcc
	v_cndmask_b32_e32 v18, v28, v18, vcc
.LBB2192_40:                            ; =>This Loop Header: Depth=1
                                        ;     Child Loop BB2192_43 Depth 2
                                        ;       Child Loop BB2192_44 Depth 3
	v_cmp_ne_u16_sdwa s[6:7], v20, v32 src0_sel:BYTE_0 src1_sel:DWORD
	v_cndmask_b32_e64 v20, 0, 1, s[6:7]
	;;#ASMSTART
	;;#ASMEND
	v_cmp_ne_u32_e32 vcc, 0, v20
	s_cmp_lg_u64 vcc, exec
	v_pk_mov_b32 v[28:29], v[18:19], v[18:19] op_sel:[0,1]
	s_cbranch_scc1 .LBB2192_47
; %bb.41:                               ;   in Loop: Header=BB2192_40 Depth=1
	v_lshlrev_b64 v[18:19], 4, v[24:25]
	v_mov_b32_e32 v20, s15
	v_add_co_u32_e32 v30, vcc, s14, v18
	v_addc_co_u32_e32 v31, vcc, v20, v19, vcc
	;;#ASMSTART
	global_load_dwordx4 v[18:21], v[30:31] off glc	
s_waitcnt vmcnt(0)
	;;#ASMEND
	v_and_b32_e32 v21, 0xff, v19
	v_and_b32_e32 v48, 0xff00, v19
	v_or3_b32 v21, 0, v21, v48
	v_or3_b32 v18, v18, 0, 0
	v_and_b32_e32 v48, 0xff000000, v19
	v_and_b32_e32 v19, 0xff0000, v19
	v_or3_b32 v19, v21, v19, v48
	v_or3_b32 v18, v18, 0, 0
	v_cmp_eq_u16_sdwa s[8:9], v20, v25 src0_sel:BYTE_0 src1_sel:DWORD
	s_and_saveexec_b64 s[6:7], s[8:9]
	s_cbranch_execz .LBB2192_39
; %bb.42:                               ;   in Loop: Header=BB2192_40 Depth=1
	s_mov_b32 s10, 1
	s_mov_b64 s[8:9], 0
.LBB2192_43:                            ;   Parent Loop BB2192_40 Depth=1
                                        ; =>  This Loop Header: Depth=2
                                        ;       Child Loop BB2192_44 Depth 3
	s_max_u32 s11, s10, 1
.LBB2192_44:                            ;   Parent Loop BB2192_40 Depth=1
                                        ;     Parent Loop BB2192_43 Depth=2
                                        ; =>    This Inner Loop Header: Depth=3
	s_add_i32 s11, s11, -1
	s_cmp_eq_u32 s11, 0
	s_sleep 1
	s_cbranch_scc0 .LBB2192_44
; %bb.45:                               ;   in Loop: Header=BB2192_43 Depth=2
	s_cmp_lt_u32 s10, 32
	s_cselect_b64 s[12:13], -1, 0
	s_cmp_lg_u64 s[12:13], 0
	s_addc_u32 s10, s10, 0
	;;#ASMSTART
	global_load_dwordx4 v[18:21], v[30:31] off glc	
s_waitcnt vmcnt(0)
	;;#ASMEND
	v_cmp_ne_u16_sdwa s[12:13], v20, v25 src0_sel:BYTE_0 src1_sel:DWORD
	s_or_b64 s[8:9], s[12:13], s[8:9]
	s_andn2_b64 exec, exec, s[8:9]
	s_cbranch_execnz .LBB2192_43
; %bb.46:                               ;   in Loop: Header=BB2192_40 Depth=1
	s_or_b64 exec, exec, s[8:9]
	s_branch .LBB2192_39
.LBB2192_47:                            ;   in Loop: Header=BB2192_40 Depth=1
                                        ; implicit-def: $vgpr18_vgpr19
                                        ; implicit-def: $vgpr20
	s_cbranch_execz .LBB2192_40
; %bb.48:
	s_and_saveexec_b64 s[6:7], s[4:5]
	s_cbranch_execz .LBB2192_50
; %bb.49:
	s_add_i32 s4, s41, 64
	s_mov_b32 s5, 0
	s_lshl_b64 s[4:5], s[4:5], 4
	s_add_u32 s4, s14, s4
	v_cmp_gt_u64_e32 vcc, v[28:29], v[14:15]
	s_addc_u32 s5, s15, s5
	v_cndmask_b32_e32 v15, v15, v29, vcc
	v_cndmask_b32_e32 v14, v14, v28, vcc
	v_mov_b32_e32 v16, 2
	v_mov_b32_e32 v17, 0
	v_pk_mov_b32 v[18:19], s[4:5], s[4:5] op_sel:[0,1]
	;;#ASMSTART
	global_store_dwordx4 v[18:19], v[14:17] off	
s_waitcnt vmcnt(0)
	;;#ASMEND
.LBB2192_50:
	s_or_b64 exec, exec, s[6:7]
	s_and_b64 exec, exec, s[0:1]
	s_cbranch_execz .LBB2192_52
; %bb.51:
	v_mov_b32_e32 v14, 0
	ds_write_b64 v14, v[28:29]
.LBB2192_52:
	s_or_b64 exec, exec, s[36:37]
	v_mov_b32_e32 v14, 0
	s_waitcnt lgkmcnt(0)
	s_barrier
	ds_read_b64 v[14:15], v14
	s_waitcnt lgkmcnt(0)
	v_cmp_gt_u64_e32 vcc, v[14:15], v[22:23]
	v_cndmask_b32_e32 v16, v22, v14, vcc
	v_cndmask_b32_e32 v17, v23, v15, vcc
	v_cndmask_b32_e64 v15, v17, v15, s[0:1]
	v_cndmask_b32_e64 v14, v16, v14, s[0:1]
	v_cmp_gt_u64_e32 vcc, v[14:15], v[10:11]
	v_cndmask_b32_e32 v29, v11, v15, vcc
	v_cndmask_b32_e32 v28, v10, v14, vcc
	v_cmp_gt_u64_e32 vcc, v[28:29], v[12:13]
	v_cndmask_b32_e32 v19, v13, v29, vcc
	v_cndmask_b32_e32 v18, v12, v28, vcc
	;; [unrolled: 3-line block ×6, first 2 shown]
	s_branch .LBB2192_65
.LBB2192_53:
                                        ; implicit-def: $vgpr34_vgpr35
                                        ; implicit-def: $vgpr32_vgpr33
                                        ; implicit-def: $vgpr30_vgpr31
                                        ; implicit-def: $vgpr28_vgpr29
                                        ; implicit-def: $vgpr22_vgpr23_vgpr24_vgpr25
                                        ; implicit-def: $vgpr18_vgpr19_vgpr20_vgpr21
                                        ; implicit-def: $vgpr14_vgpr15_vgpr16_vgpr17
	s_cbranch_execz .LBB2192_65
; %bb.54:
	s_cmp_eq_u64 s[20:21], 0
	v_pk_mov_b32 v[20:21], s[34:35], s[34:35] op_sel:[0,1]
	s_cbranch_scc1 .LBB2192_56
; %bb.55:
	v_mov_b32_e32 v17, s40
	v_add_co_u32_e64 v16, vcc, -8, s39
	v_mov_b32_e32 v14, 0
	v_addc_co_u32_e32 v17, vcc, -1, v17, vcc
	global_load_dwordx2 v[14:15], v14, s[16:17]
	s_nop 0
	flat_load_dwordx2 v[16:17], v[16:17]
	s_waitcnt vmcnt(0) lgkmcnt(0)
	v_cmp_gt_u64_e32 vcc, v[14:15], v[16:17]
	v_cndmask_b32_e32 v21, v17, v15, vcc
	v_cndmask_b32_e32 v20, v16, v14, vcc
.LBB2192_56:
	v_cmp_gt_u64_e32 vcc, v[10:11], v[12:13]
	v_cndmask_b32_e32 v15, v13, v11, vcc
	v_cndmask_b32_e32 v14, v12, v10, vcc
	v_cmp_gt_u64_e32 vcc, v[14:15], v[6:7]
	v_cndmask_b32_e32 v15, v7, v15, vcc
	v_cndmask_b32_e32 v14, v6, v14, vcc
	;; [unrolled: 3-line block ×6, first 2 shown]
	v_add_lshl_u32 v1, v1, v0, 3
	v_cmp_gt_u32_e32 vcc, 64, v0
	ds_write_b64 v1, v[18:19]
	s_waitcnt lgkmcnt(0)
	s_barrier
	s_and_saveexec_b64 s[6:7], vcc
	s_cbranch_execz .LBB2192_60
; %bb.57:
	v_lshlrev_b32_e32 v1, 1, v0
	v_lshrrev_b32_e32 v14, 4, v0
	v_add_lshl_u32 v1, v14, v1, 3
	ds_read2_b64 v[14:17], v1 offset1:1
	v_mbcnt_lo_u32_b32 v22, -1, 0
	v_mbcnt_hi_u32_b32 v26, -1, v22
	v_and_b32_e32 v27, 15, v26
	v_and_b32_e32 v29, 16, v26
	s_waitcnt lgkmcnt(0)
	v_cmp_gt_u64_e32 vcc, v[14:15], v[16:17]
	v_cndmask_b32_e32 v17, v17, v15, vcc
	v_cndmask_b32_e32 v16, v16, v14, vcc
	v_cmp_ne_u32_e64 s[4:5], 0, v26
	v_mov_b32_dpp v23, v17 row_shr:1 row_mask:0xf bank_mask:0xf
	v_mov_b32_dpp v22, v16 row_shr:1 row_mask:0xf bank_mask:0xf
	v_cmp_gt_u64_e32 vcc, v[22:23], v[16:17]
	v_cndmask_b32_e32 v22, v16, v22, vcc
	v_cndmask_b32_e32 v23, v17, v23, vcc
	v_cmp_eq_u32_e32 vcc, 0, v27
	v_cndmask_b32_e32 v23, v23, v17, vcc
	v_cndmask_b32_e32 v22, v22, v16, vcc
	s_nop 0
	v_mov_b32_dpp v25, v23 row_shr:2 row_mask:0xf bank_mask:0xf
	v_mov_b32_dpp v24, v22 row_shr:2 row_mask:0xf bank_mask:0xf
	v_cmp_gt_u64_e32 vcc, v[24:25], v[22:23]
	v_cndmask_b32_e32 v24, v22, v24, vcc
	v_cndmask_b32_e32 v25, v23, v25, vcc
	v_cmp_lt_u32_e32 vcc, 1, v27
	v_cndmask_b32_e32 v23, v23, v25, vcc
	v_cndmask_b32_e32 v22, v22, v24, vcc
	s_nop 0
	v_mov_b32_dpp v25, v23 row_shr:4 row_mask:0xf bank_mask:0xf
	v_mov_b32_dpp v24, v22 row_shr:4 row_mask:0xf bank_mask:0xf
	v_cmp_gt_u64_e32 vcc, v[24:25], v[22:23]
	v_cndmask_b32_e32 v24, v22, v24, vcc
	v_cndmask_b32_e32 v25, v23, v25, vcc
	v_cmp_lt_u32_e32 vcc, 3, v27
	;; [unrolled: 9-line block ×3, first 2 shown]
	v_cndmask_b32_e32 v23, v23, v25, vcc
	v_cndmask_b32_e32 v22, v22, v24, vcc
	s_nop 0
	v_mov_b32_dpp v25, v23 row_bcast:15 row_mask:0xf bank_mask:0xf
	v_mov_b32_dpp v24, v22 row_bcast:15 row_mask:0xf bank_mask:0xf
	v_cmp_gt_u64_e32 vcc, v[24:25], v[22:23]
	v_cndmask_b32_e32 v27, v23, v25, vcc
	v_cndmask_b32_e32 v28, v22, v24, vcc
	v_cmp_eq_u32_e32 vcc, 0, v29
	v_cndmask_b32_e32 v25, v27, v23, vcc
	v_cndmask_b32_e32 v24, v28, v22, vcc
	s_nop 0
	v_mov_b32_dpp v25, v25 row_bcast:31 row_mask:0xf bank_mask:0xf
	v_mov_b32_dpp v24, v24 row_bcast:31 row_mask:0xf bank_mask:0xf
	s_and_saveexec_b64 s[8:9], s[4:5]
; %bb.58:
	v_cndmask_b32_e32 v17, v27, v23, vcc
	v_cndmask_b32_e32 v16, v28, v22, vcc
	v_cmp_lt_u32_e64 s[4:5], 31, v26
	v_cmp_gt_u64_e32 vcc, v[24:25], v[16:17]
	s_and_b64 vcc, s[4:5], vcc
	v_cndmask_b32_e32 v16, v16, v24, vcc
	v_cndmask_b32_e32 v17, v17, v25, vcc
; %bb.59:
	s_or_b64 exec, exec, s[8:9]
	v_add_u32_e32 v22, -1, v26
	v_and_b32_e32 v23, 64, v26
	v_cmp_lt_i32_e32 vcc, v22, v23
	v_cndmask_b32_e32 v22, v22, v26, vcc
	v_lshlrev_b32_e32 v22, 2, v22
	ds_bpermute_b32 v16, v22, v16
	ds_bpermute_b32 v17, v22, v17
	; wave barrier
	s_waitcnt lgkmcnt(0)
	v_cmp_gt_u64_e32 vcc, v[16:17], v[14:15]
	v_cndmask_b32_e32 v14, v14, v16, vcc
	v_cndmask_b32_e32 v15, v15, v17, vcc
	v_cndmask_b32_e64 v15, v15, v19, s[0:1]
	v_cndmask_b32_e64 v14, v14, v18, s[0:1]
	ds_write_b64 v1, v[14:15]
	; wave barrier
	ds_read_b64 v[16:17], v1 offset:8
	s_waitcnt lgkmcnt(0)
	v_cmp_gt_u64_e32 vcc, v[14:15], v[16:17]
	v_cndmask_b32_e32 v15, v17, v15, vcc
	v_cndmask_b32_e32 v14, v16, v14, vcc
	ds_write_b64 v1, v[14:15] offset:8
.LBB2192_60:
	s_or_b64 exec, exec, s[6:7]
	v_pk_mov_b32 v[14:15], v[20:21], v[20:21] op_sel:[0,1]
	s_waitcnt lgkmcnt(0)
	s_barrier
	s_and_saveexec_b64 s[4:5], s[2:3]
	s_cbranch_execz .LBB2192_62
; %bb.61:
	v_add_u32_e32 v1, -1, v0
	v_lshrrev_b32_e32 v14, 5, v1
	v_add_lshl_u32 v1, v14, v1, 3
	ds_read_b64 v[14:15], v1
	s_waitcnt lgkmcnt(0)
	v_cmp_gt_u64_e32 vcc, v[20:21], v[14:15]
	v_cndmask_b32_e32 v15, v15, v21, vcc
	v_cndmask_b32_e32 v14, v14, v20, vcc
.LBB2192_62:
	s_or_b64 exec, exec, s[4:5]
	v_cmp_gt_u64_e32 vcc, v[14:15], v[10:11]
	v_cndmask_b32_e32 v29, v11, v15, vcc
	v_cndmask_b32_e32 v28, v10, v14, vcc
	v_cmp_gt_u64_e32 vcc, v[28:29], v[12:13]
	v_cndmask_b32_e32 v19, v13, v29, vcc
	v_cndmask_b32_e32 v18, v12, v28, vcc
	;; [unrolled: 3-line block ×6, first 2 shown]
	s_and_saveexec_b64 s[2:3], s[0:1]
	s_cbranch_execz .LBB2192_64
; %bb.63:
	v_mov_b32_e32 v5, 0
	ds_read_b64 v[2:3], v5 offset:1040
	s_add_u32 s0, s14, 0x400
	s_addc_u32 s1, s15, 0
	v_mov_b32_e32 v4, 2
	v_pk_mov_b32 v[6:7], s[0:1], s[0:1] op_sel:[0,1]
	s_waitcnt lgkmcnt(0)
	v_cmp_gt_u64_e32 vcc, v[20:21], v[2:3]
	v_cndmask_b32_e32 v3, v3, v21, vcc
	v_cndmask_b32_e32 v2, v2, v20, vcc
	;;#ASMSTART
	global_store_dwordx4 v[6:7], v[2:5] off	
s_waitcnt vmcnt(0)
	;;#ASMEND
.LBB2192_64:
	s_or_b64 exec, exec, s[2:3]
.LBB2192_65:
	s_add_u32 s0, s28, s26
	s_addc_u32 s1, s29, s27
	s_add_u32 s2, s0, s30
	s_addc_u32 s3, s1, s31
	s_mov_b64 s[0:1], -1
	s_and_b64 vcc, exec, s[24:25]
	s_barrier
	s_cbranch_vccz .LBB2192_67
; %bb.66:
	v_mul_u32_u24_e32 v1, 56, v0
	ds_write2_b64 v1, v[14:15], v[28:29] offset1:1
	ds_write2_b64 v1, v[18:19], v[30:31] offset0:2 offset1:3
	ds_write2_b64 v1, v[22:23], v[32:33] offset0:4 offset1:5
	ds_write_b64 v1, v[34:35] offset:48
	v_mul_i32_i24_e32 v1, 0xffffffd0, v0
	v_mad_u32_u24 v1, v0, 56, v1
	s_waitcnt lgkmcnt(0)
	s_barrier
	ds_read2st64_b64 v[2:5], v1 offset1:2
	ds_read2st64_b64 v[6:9], v1 offset0:4 offset1:6
	ds_read2st64_b64 v[10:13], v1 offset0:8 offset1:10
	ds_read_b64 v[16:17], v1 offset:6144
	v_mov_b32_e32 v1, s3
	v_add_co_u32_e32 v20, vcc, s2, v36
	v_addc_co_u32_e32 v21, vcc, 0, v1, vcc
	s_waitcnt lgkmcnt(3)
	flat_store_dwordx2 v[20:21], v[2:3]
	flat_store_dwordx2 v[20:21], v[4:5] offset:1024
	s_waitcnt lgkmcnt(0)
	flat_store_dwordx2 v[20:21], v[6:7] offset:2048
	flat_store_dwordx2 v[20:21], v[8:9] offset:3072
	v_add_co_u32_e32 v2, vcc, 0x1000, v20
	v_addc_co_u32_e32 v3, vcc, 0, v21, vcc
	flat_store_dwordx2 v[2:3], v[10:11]
	flat_store_dwordx2 v[2:3], v[12:13] offset:1024
	flat_store_dwordx2 v[2:3], v[16:17] offset:2048
	s_mov_b64 s[0:1], 0
.LBB2192_67:
	s_andn2_b64 vcc, exec, s[0:1]
	s_cbranch_vccnz .LBB2192_106
; %bb.68:
	s_movk_i32 s0, 0xffd0
	ds_write2_b64 v38, v[14:15], v[28:29] offset1:1
	ds_write2_b64 v38, v[18:19], v[30:31] offset0:2 offset1:3
	ds_write2_b64 v38, v[22:23], v[32:33] offset0:4 offset1:5
	ds_write_b64 v38, v[34:35] offset:48
	v_mad_i32_i24 v14, v0, s0, v38
	s_waitcnt lgkmcnt(0)
	s_barrier
	ds_read2st64_b64 v[2:5], v14 offset1:2
	ds_read2st64_b64 v[6:9], v14 offset0:4 offset1:6
	ds_read2st64_b64 v[10:13], v14 offset0:8 offset1:10
	ds_read_b64 v[14:15], v14 offset:6144
	v_mov_b32_e32 v17, s3
	v_add_co_u32_e32 v16, vcc, s2, v36
	v_addc_co_u32_e32 v17, vcc, 0, v17, vcc
	v_mov_b32_e32 v1, 0
	v_cmp_gt_u32_e32 vcc, s33, v0
	s_and_saveexec_b64 s[0:1], vcc
	s_cbranch_execz .LBB2192_70
; %bb.69:
	s_waitcnt lgkmcnt(0)
	flat_store_dwordx2 v[16:17], v[2:3]
.LBB2192_70:
	s_or_b64 exec, exec, s[0:1]
	v_or_b32_e32 v18, 0x80, v0
	v_cmp_gt_u32_e32 vcc, s33, v18
	s_and_saveexec_b64 s[0:1], vcc
	s_cbranch_execz .LBB2192_72
; %bb.71:
	s_waitcnt lgkmcnt(0)
	flat_store_dwordx2 v[16:17], v[4:5] offset:1024
.LBB2192_72:
	s_or_b64 exec, exec, s[0:1]
	v_or_b32_e32 v18, 0x100, v0
	v_cmp_gt_u32_e32 vcc, s33, v18
	s_and_saveexec_b64 s[0:1], vcc
	s_cbranch_execz .LBB2192_74
; %bb.73:
	s_waitcnt lgkmcnt(0)
	flat_store_dwordx2 v[16:17], v[6:7] offset:2048
.LBB2192_74:
	;; [unrolled: 9-line block ×3, first 2 shown]
	s_or_b64 exec, exec, s[0:1]
	v_or_b32_e32 v18, 0x200, v0
	v_cmp_gt_u32_e32 vcc, s33, v18
	s_and_saveexec_b64 s[0:1], vcc
	s_cbranch_execz .LBB2192_78
; %bb.77:
	v_add_co_u32_e32 v18, vcc, 0x1000, v16
	v_addc_co_u32_e32 v19, vcc, 0, v17, vcc
	s_waitcnt lgkmcnt(0)
	flat_store_dwordx2 v[18:19], v[10:11]
.LBB2192_78:
	s_or_b64 exec, exec, s[0:1]
	v_or_b32_e32 v18, 0x280, v0
	v_cmp_gt_u32_e32 vcc, s33, v18
	s_and_saveexec_b64 s[0:1], vcc
	s_cbranch_execz .LBB2192_80
; %bb.79:
	v_add_co_u32_e32 v18, vcc, 0x1000, v16
	v_addc_co_u32_e32 v19, vcc, 0, v17, vcc
	s_waitcnt lgkmcnt(0)
	flat_store_dwordx2 v[18:19], v[12:13] offset:1024
.LBB2192_80:
	s_or_b64 exec, exec, s[0:1]
	v_or_b32_e32 v18, 0x300, v0
	v_cmp_gt_u32_e32 vcc, s33, v18
	s_and_saveexec_b64 s[0:1], vcc
	s_cbranch_execz .LBB2192_82
; %bb.81:
	v_add_co_u32_e32 v16, vcc, 0x1000, v16
	v_addc_co_u32_e32 v17, vcc, 0, v17, vcc
	s_waitcnt lgkmcnt(0)
	flat_store_dwordx2 v[16:17], v[14:15] offset:2048
.LBB2192_82:
	s_or_b64 exec, exec, s[0:1]
	v_cmp_lt_u64_e64 s[0:1], s[22:23], 2
	s_and_b64 vcc, exec, s[0:1]
	s_cbranch_vccnz .LBB2192_106
; %bb.83:
	s_add_u32 s0, s33, -1
	s_addc_u32 s1, s38, -1
	s_add_u32 s2, 0, 0x92481000
	s_addc_u32 s3, 0, 0x64
	s_add_i32 s3, s3, 0x249248c0
	s_mul_hi_u32 s7, s2, -7
	s_sub_i32 s7, s7, s2
	s_mul_i32 s8, s3, -7
	s_mul_i32 s4, s2, -7
	s_add_i32 s7, s7, s8
	s_mul_hi_u32 s5, s3, s4
	s_mul_i32 s6, s3, s4
	s_mul_i32 s9, s2, s7
	s_mul_hi_u32 s4, s2, s4
	s_mul_hi_u32 s8, s2, s7
	s_add_u32 s4, s4, s9
	s_addc_u32 s8, 0, s8
	s_add_u32 s4, s4, s6
	s_mul_hi_u32 s9, s3, s7
	s_addc_u32 s4, s8, s5
	s_addc_u32 s5, s9, 0
	s_mul_i32 s6, s3, s7
	s_add_u32 s4, s4, s6
	v_mov_b32_e32 v16, s4
	s_addc_u32 s5, 0, s5
	v_add_co_u32_e32 v16, vcc, s2, v16
	s_cmp_lg_u64 vcc, 0
	s_addc_u32 s2, s3, s5
	v_readfirstlane_b32 s5, v16
	s_mul_i32 s4, s0, s2
	s_mul_hi_u32 s6, s0, s5
	s_mul_hi_u32 s3, s0, s2
	s_add_u32 s4, s6, s4
	s_addc_u32 s3, 0, s3
	s_mul_hi_u32 s7, s1, s5
	s_mul_i32 s5, s1, s5
	s_add_u32 s4, s4, s5
	s_mul_hi_u32 s6, s1, s2
	s_addc_u32 s3, s3, s7
	s_addc_u32 s4, s6, 0
	s_mul_i32 s2, s1, s2
	s_add_u32 s2, s3, s2
	s_addc_u32 s3, 0, s4
	s_add_u32 s4, s2, 1
	s_addc_u32 s5, s3, 0
	s_add_u32 s6, s2, 2
	s_mul_i32 s8, s3, 7
	s_mul_hi_u32 s9, s2, 7
	s_addc_u32 s7, s3, 0
	s_add_i32 s9, s9, s8
	s_mul_i32 s8, s2, 7
	v_mov_b32_e32 v16, s8
	v_sub_co_u32_e32 v16, vcc, s0, v16
	s_cmp_lg_u64 vcc, 0
	s_subb_u32 s8, s1, s9
	v_subrev_co_u32_e32 v17, vcc, 7, v16
	s_cmp_lg_u64 vcc, 0
	s_subb_u32 s9, s8, 0
	v_readfirstlane_b32 s10, v17
	s_cmp_gt_u32 s10, 6
	s_cselect_b32 s10, -1, 0
	s_cmp_eq_u32 s9, 0
	s_cselect_b32 s9, s10, -1
	s_cmp_lg_u32 s9, 0
	s_cselect_b32 s4, s6, s4
	v_readfirstlane_b32 s6, v16
	s_cselect_b32 s5, s7, s5
	s_cmp_gt_u32 s6, 6
	s_cselect_b32 s6, -1, 0
	s_cmp_eq_u32 s8, 0
	s_cselect_b32 s6, s6, -1
	s_cmp_lg_u32 s6, 0
	s_cselect_b32 s3, s5, s3
	s_cselect_b32 s2, s4, s2
	v_cmp_eq_u64_e32 vcc, s[2:3], v[0:1]
	s_and_saveexec_b64 s[2:3], vcc
	s_cbranch_execz .LBB2192_106
; %bb.84:
	v_mul_hi_u32_u24_e32 v1, 7, v0
	v_mov_b32_e32 v16, s1
	v_sub_co_u32_e32 v0, vcc, s0, v37
	v_subb_co_u32_e32 v1, vcc, v16, v1, vcc
	v_cmp_lt_i64_e32 vcc, 3, v[0:1]
	s_and_saveexec_b64 s[0:1], vcc
	s_xor_b64 s[0:1], exec, s[0:1]
	s_cbranch_execz .LBB2192_94
; %bb.85:
	v_cmp_lt_i64_e32 vcc, 4, v[0:1]
	s_and_saveexec_b64 s[2:3], vcc
	s_xor_b64 s[2:3], exec, s[2:3]
	s_cbranch_execz .LBB2192_91
; %bb.86:
	v_cmp_lt_i64_e32 vcc, 5, v[0:1]
	s_and_saveexec_b64 s[4:5], vcc
	s_xor_b64 s[4:5], exec, s[4:5]
	s_cbranch_execz .LBB2192_88
; %bb.87:
	v_mov_b32_e32 v0, 0
	s_waitcnt lgkmcnt(0)
	global_store_dwordx2 v0, v[14:15], s[18:19]
                                        ; implicit-def: $vgpr10_vgpr11_vgpr12_vgpr13
.LBB2192_88:
	s_andn2_saveexec_b64 s[4:5], s[4:5]
	s_cbranch_execz .LBB2192_90
; %bb.89:
	v_mov_b32_e32 v0, 0
	s_waitcnt lgkmcnt(0)
	global_store_dwordx2 v0, v[12:13], s[18:19]
.LBB2192_90:
	s_or_b64 exec, exec, s[4:5]
                                        ; implicit-def: $vgpr10_vgpr11_vgpr12_vgpr13
.LBB2192_91:
	s_andn2_saveexec_b64 s[2:3], s[2:3]
	s_cbranch_execz .LBB2192_93
; %bb.92:
	v_mov_b32_e32 v0, 0
	s_waitcnt lgkmcnt(0)
	global_store_dwordx2 v0, v[10:11], s[18:19]
.LBB2192_93:
	s_or_b64 exec, exec, s[2:3]
                                        ; implicit-def: $vgpr0_vgpr1
                                        ; implicit-def: $vgpr2_vgpr3_vgpr4_vgpr5
                                        ; implicit-def: $vgpr6_vgpr7_vgpr8_vgpr9
.LBB2192_94:
	s_andn2_saveexec_b64 s[0:1], s[0:1]
	s_cbranch_execz .LBB2192_106
; %bb.95:
	v_cmp_lt_i64_e32 vcc, 1, v[0:1]
	s_and_saveexec_b64 s[0:1], vcc
	s_xor_b64 s[0:1], exec, s[0:1]
	s_cbranch_execz .LBB2192_101
; %bb.96:
	v_cmp_lt_i64_e32 vcc, 2, v[0:1]
	s_and_saveexec_b64 s[2:3], vcc
	s_xor_b64 s[2:3], exec, s[2:3]
	s_cbranch_execz .LBB2192_98
; %bb.97:
	v_mov_b32_e32 v0, 0
	s_waitcnt lgkmcnt(0)
	global_store_dwordx2 v0, v[8:9], s[18:19]
                                        ; implicit-def: $vgpr6_vgpr7_vgpr8_vgpr9
.LBB2192_98:
	s_andn2_saveexec_b64 s[2:3], s[2:3]
	s_cbranch_execz .LBB2192_100
; %bb.99:
	v_mov_b32_e32 v0, 0
	s_waitcnt lgkmcnt(0)
	global_store_dwordx2 v0, v[6:7], s[18:19]
.LBB2192_100:
	s_or_b64 exec, exec, s[2:3]
                                        ; implicit-def: $vgpr2_vgpr3_vgpr4_vgpr5
                                        ; implicit-def: $vgpr0_vgpr1
.LBB2192_101:
	s_andn2_saveexec_b64 s[0:1], s[0:1]
	s_cbranch_execz .LBB2192_106
; %bb.102:
	v_cmp_ne_u64_e32 vcc, 1, v[0:1]
	s_and_saveexec_b64 s[0:1], vcc
	s_xor_b64 s[0:1], exec, s[0:1]
	s_cbranch_execz .LBB2192_104
; %bb.103:
	v_mov_b32_e32 v0, 0
	s_waitcnt lgkmcnt(0)
	global_store_dwordx2 v0, v[2:3], s[18:19]
                                        ; implicit-def: $vgpr2_vgpr3_vgpr4_vgpr5
.LBB2192_104:
	s_andn2_saveexec_b64 s[0:1], s[0:1]
	s_cbranch_execz .LBB2192_106
; %bb.105:
	v_mov_b32_e32 v0, 0
	s_waitcnt lgkmcnt(0)
	global_store_dwordx2 v0, v[4:5], s[18:19]
.LBB2192_106:
	s_endpgm
	.section	.rodata,"a",@progbits
	.p2align	6, 0x0
	.amdhsa_kernel _ZN7rocprim17ROCPRIM_400000_NS6detail17trampoline_kernelINS0_14default_configENS1_20scan_config_selectorIyEEZZNS1_9scan_implILNS1_25lookback_scan_determinismE0ELb1ELb1ES3_N6thrust23THRUST_200600_302600_NS6detail15normal_iteratorINS9_10device_ptrIyEEEESE_y11max_functorIyEyEEDaPvRmT3_T4_T5_mT6_P12ihipStream_tbENKUlT_T0_E_clISt17integral_constantIbLb1EESU_EEDaSP_SQ_EUlSP_E_NS1_11comp_targetILNS1_3genE4ELNS1_11target_archE910ELNS1_3gpuE8ELNS1_3repE0EEENS1_30default_config_static_selectorELNS0_4arch9wavefront6targetE1EEEvT1_
		.amdhsa_group_segment_fixed_size 7168
		.amdhsa_private_segment_fixed_size 0
		.amdhsa_kernarg_size 104
		.amdhsa_user_sgpr_count 6
		.amdhsa_user_sgpr_private_segment_buffer 1
		.amdhsa_user_sgpr_dispatch_ptr 0
		.amdhsa_user_sgpr_queue_ptr 0
		.amdhsa_user_sgpr_kernarg_segment_ptr 1
		.amdhsa_user_sgpr_dispatch_id 0
		.amdhsa_user_sgpr_flat_scratch_init 0
		.amdhsa_user_sgpr_kernarg_preload_length 0
		.amdhsa_user_sgpr_kernarg_preload_offset 0
		.amdhsa_user_sgpr_private_segment_size 0
		.amdhsa_uses_dynamic_stack 0
		.amdhsa_system_sgpr_private_segment_wavefront_offset 0
		.amdhsa_system_sgpr_workgroup_id_x 1
		.amdhsa_system_sgpr_workgroup_id_y 0
		.amdhsa_system_sgpr_workgroup_id_z 0
		.amdhsa_system_sgpr_workgroup_info 0
		.amdhsa_system_vgpr_workitem_id 0
		.amdhsa_next_free_vgpr 58
		.amdhsa_next_free_sgpr 42
		.amdhsa_accum_offset 60
		.amdhsa_reserve_vcc 1
		.amdhsa_reserve_flat_scratch 0
		.amdhsa_float_round_mode_32 0
		.amdhsa_float_round_mode_16_64 0
		.amdhsa_float_denorm_mode_32 3
		.amdhsa_float_denorm_mode_16_64 3
		.amdhsa_dx10_clamp 1
		.amdhsa_ieee_mode 1
		.amdhsa_fp16_overflow 0
		.amdhsa_tg_split 0
		.amdhsa_exception_fp_ieee_invalid_op 0
		.amdhsa_exception_fp_denorm_src 0
		.amdhsa_exception_fp_ieee_div_zero 0
		.amdhsa_exception_fp_ieee_overflow 0
		.amdhsa_exception_fp_ieee_underflow 0
		.amdhsa_exception_fp_ieee_inexact 0
		.amdhsa_exception_int_div_zero 0
	.end_amdhsa_kernel
	.section	.text._ZN7rocprim17ROCPRIM_400000_NS6detail17trampoline_kernelINS0_14default_configENS1_20scan_config_selectorIyEEZZNS1_9scan_implILNS1_25lookback_scan_determinismE0ELb1ELb1ES3_N6thrust23THRUST_200600_302600_NS6detail15normal_iteratorINS9_10device_ptrIyEEEESE_y11max_functorIyEyEEDaPvRmT3_T4_T5_mT6_P12ihipStream_tbENKUlT_T0_E_clISt17integral_constantIbLb1EESU_EEDaSP_SQ_EUlSP_E_NS1_11comp_targetILNS1_3genE4ELNS1_11target_archE910ELNS1_3gpuE8ELNS1_3repE0EEENS1_30default_config_static_selectorELNS0_4arch9wavefront6targetE1EEEvT1_,"axG",@progbits,_ZN7rocprim17ROCPRIM_400000_NS6detail17trampoline_kernelINS0_14default_configENS1_20scan_config_selectorIyEEZZNS1_9scan_implILNS1_25lookback_scan_determinismE0ELb1ELb1ES3_N6thrust23THRUST_200600_302600_NS6detail15normal_iteratorINS9_10device_ptrIyEEEESE_y11max_functorIyEyEEDaPvRmT3_T4_T5_mT6_P12ihipStream_tbENKUlT_T0_E_clISt17integral_constantIbLb1EESU_EEDaSP_SQ_EUlSP_E_NS1_11comp_targetILNS1_3genE4ELNS1_11target_archE910ELNS1_3gpuE8ELNS1_3repE0EEENS1_30default_config_static_selectorELNS0_4arch9wavefront6targetE1EEEvT1_,comdat
.Lfunc_end2192:
	.size	_ZN7rocprim17ROCPRIM_400000_NS6detail17trampoline_kernelINS0_14default_configENS1_20scan_config_selectorIyEEZZNS1_9scan_implILNS1_25lookback_scan_determinismE0ELb1ELb1ES3_N6thrust23THRUST_200600_302600_NS6detail15normal_iteratorINS9_10device_ptrIyEEEESE_y11max_functorIyEyEEDaPvRmT3_T4_T5_mT6_P12ihipStream_tbENKUlT_T0_E_clISt17integral_constantIbLb1EESU_EEDaSP_SQ_EUlSP_E_NS1_11comp_targetILNS1_3genE4ELNS1_11target_archE910ELNS1_3gpuE8ELNS1_3repE0EEENS1_30default_config_static_selectorELNS0_4arch9wavefront6targetE1EEEvT1_, .Lfunc_end2192-_ZN7rocprim17ROCPRIM_400000_NS6detail17trampoline_kernelINS0_14default_configENS1_20scan_config_selectorIyEEZZNS1_9scan_implILNS1_25lookback_scan_determinismE0ELb1ELb1ES3_N6thrust23THRUST_200600_302600_NS6detail15normal_iteratorINS9_10device_ptrIyEEEESE_y11max_functorIyEyEEDaPvRmT3_T4_T5_mT6_P12ihipStream_tbENKUlT_T0_E_clISt17integral_constantIbLb1EESU_EEDaSP_SQ_EUlSP_E_NS1_11comp_targetILNS1_3genE4ELNS1_11target_archE910ELNS1_3gpuE8ELNS1_3repE0EEENS1_30default_config_static_selectorELNS0_4arch9wavefront6targetE1EEEvT1_
                                        ; -- End function
	.section	.AMDGPU.csdata,"",@progbits
; Kernel info:
; codeLenInByte = 5956
; NumSgprs: 46
; NumVgprs: 58
; NumAgprs: 0
; TotalNumVgprs: 58
; ScratchSize: 0
; MemoryBound: 0
; FloatMode: 240
; IeeeMode: 1
; LDSByteSize: 7168 bytes/workgroup (compile time only)
; SGPRBlocks: 5
; VGPRBlocks: 7
; NumSGPRsForWavesPerEU: 46
; NumVGPRsForWavesPerEU: 58
; AccumOffset: 60
; Occupancy: 5
; WaveLimiterHint : 1
; COMPUTE_PGM_RSRC2:SCRATCH_EN: 0
; COMPUTE_PGM_RSRC2:USER_SGPR: 6
; COMPUTE_PGM_RSRC2:TRAP_HANDLER: 0
; COMPUTE_PGM_RSRC2:TGID_X_EN: 1
; COMPUTE_PGM_RSRC2:TGID_Y_EN: 0
; COMPUTE_PGM_RSRC2:TGID_Z_EN: 0
; COMPUTE_PGM_RSRC2:TIDIG_COMP_CNT: 0
; COMPUTE_PGM_RSRC3_GFX90A:ACCUM_OFFSET: 14
; COMPUTE_PGM_RSRC3_GFX90A:TG_SPLIT: 0
	.section	.text._ZN7rocprim17ROCPRIM_400000_NS6detail17trampoline_kernelINS0_14default_configENS1_20scan_config_selectorIyEEZZNS1_9scan_implILNS1_25lookback_scan_determinismE0ELb1ELb1ES3_N6thrust23THRUST_200600_302600_NS6detail15normal_iteratorINS9_10device_ptrIyEEEESE_y11max_functorIyEyEEDaPvRmT3_T4_T5_mT6_P12ihipStream_tbENKUlT_T0_E_clISt17integral_constantIbLb1EESU_EEDaSP_SQ_EUlSP_E_NS1_11comp_targetILNS1_3genE3ELNS1_11target_archE908ELNS1_3gpuE7ELNS1_3repE0EEENS1_30default_config_static_selectorELNS0_4arch9wavefront6targetE1EEEvT1_,"axG",@progbits,_ZN7rocprim17ROCPRIM_400000_NS6detail17trampoline_kernelINS0_14default_configENS1_20scan_config_selectorIyEEZZNS1_9scan_implILNS1_25lookback_scan_determinismE0ELb1ELb1ES3_N6thrust23THRUST_200600_302600_NS6detail15normal_iteratorINS9_10device_ptrIyEEEESE_y11max_functorIyEyEEDaPvRmT3_T4_T5_mT6_P12ihipStream_tbENKUlT_T0_E_clISt17integral_constantIbLb1EESU_EEDaSP_SQ_EUlSP_E_NS1_11comp_targetILNS1_3genE3ELNS1_11target_archE908ELNS1_3gpuE7ELNS1_3repE0EEENS1_30default_config_static_selectorELNS0_4arch9wavefront6targetE1EEEvT1_,comdat
	.protected	_ZN7rocprim17ROCPRIM_400000_NS6detail17trampoline_kernelINS0_14default_configENS1_20scan_config_selectorIyEEZZNS1_9scan_implILNS1_25lookback_scan_determinismE0ELb1ELb1ES3_N6thrust23THRUST_200600_302600_NS6detail15normal_iteratorINS9_10device_ptrIyEEEESE_y11max_functorIyEyEEDaPvRmT3_T4_T5_mT6_P12ihipStream_tbENKUlT_T0_E_clISt17integral_constantIbLb1EESU_EEDaSP_SQ_EUlSP_E_NS1_11comp_targetILNS1_3genE3ELNS1_11target_archE908ELNS1_3gpuE7ELNS1_3repE0EEENS1_30default_config_static_selectorELNS0_4arch9wavefront6targetE1EEEvT1_ ; -- Begin function _ZN7rocprim17ROCPRIM_400000_NS6detail17trampoline_kernelINS0_14default_configENS1_20scan_config_selectorIyEEZZNS1_9scan_implILNS1_25lookback_scan_determinismE0ELb1ELb1ES3_N6thrust23THRUST_200600_302600_NS6detail15normal_iteratorINS9_10device_ptrIyEEEESE_y11max_functorIyEyEEDaPvRmT3_T4_T5_mT6_P12ihipStream_tbENKUlT_T0_E_clISt17integral_constantIbLb1EESU_EEDaSP_SQ_EUlSP_E_NS1_11comp_targetILNS1_3genE3ELNS1_11target_archE908ELNS1_3gpuE7ELNS1_3repE0EEENS1_30default_config_static_selectorELNS0_4arch9wavefront6targetE1EEEvT1_
	.globl	_ZN7rocprim17ROCPRIM_400000_NS6detail17trampoline_kernelINS0_14default_configENS1_20scan_config_selectorIyEEZZNS1_9scan_implILNS1_25lookback_scan_determinismE0ELb1ELb1ES3_N6thrust23THRUST_200600_302600_NS6detail15normal_iteratorINS9_10device_ptrIyEEEESE_y11max_functorIyEyEEDaPvRmT3_T4_T5_mT6_P12ihipStream_tbENKUlT_T0_E_clISt17integral_constantIbLb1EESU_EEDaSP_SQ_EUlSP_E_NS1_11comp_targetILNS1_3genE3ELNS1_11target_archE908ELNS1_3gpuE7ELNS1_3repE0EEENS1_30default_config_static_selectorELNS0_4arch9wavefront6targetE1EEEvT1_
	.p2align	8
	.type	_ZN7rocprim17ROCPRIM_400000_NS6detail17trampoline_kernelINS0_14default_configENS1_20scan_config_selectorIyEEZZNS1_9scan_implILNS1_25lookback_scan_determinismE0ELb1ELb1ES3_N6thrust23THRUST_200600_302600_NS6detail15normal_iteratorINS9_10device_ptrIyEEEESE_y11max_functorIyEyEEDaPvRmT3_T4_T5_mT6_P12ihipStream_tbENKUlT_T0_E_clISt17integral_constantIbLb1EESU_EEDaSP_SQ_EUlSP_E_NS1_11comp_targetILNS1_3genE3ELNS1_11target_archE908ELNS1_3gpuE7ELNS1_3repE0EEENS1_30default_config_static_selectorELNS0_4arch9wavefront6targetE1EEEvT1_,@function
_ZN7rocprim17ROCPRIM_400000_NS6detail17trampoline_kernelINS0_14default_configENS1_20scan_config_selectorIyEEZZNS1_9scan_implILNS1_25lookback_scan_determinismE0ELb1ELb1ES3_N6thrust23THRUST_200600_302600_NS6detail15normal_iteratorINS9_10device_ptrIyEEEESE_y11max_functorIyEyEEDaPvRmT3_T4_T5_mT6_P12ihipStream_tbENKUlT_T0_E_clISt17integral_constantIbLb1EESU_EEDaSP_SQ_EUlSP_E_NS1_11comp_targetILNS1_3genE3ELNS1_11target_archE908ELNS1_3gpuE7ELNS1_3repE0EEENS1_30default_config_static_selectorELNS0_4arch9wavefront6targetE1EEEvT1_: ; @_ZN7rocprim17ROCPRIM_400000_NS6detail17trampoline_kernelINS0_14default_configENS1_20scan_config_selectorIyEEZZNS1_9scan_implILNS1_25lookback_scan_determinismE0ELb1ELb1ES3_N6thrust23THRUST_200600_302600_NS6detail15normal_iteratorINS9_10device_ptrIyEEEESE_y11max_functorIyEyEEDaPvRmT3_T4_T5_mT6_P12ihipStream_tbENKUlT_T0_E_clISt17integral_constantIbLb1EESU_EEDaSP_SQ_EUlSP_E_NS1_11comp_targetILNS1_3genE3ELNS1_11target_archE908ELNS1_3gpuE7ELNS1_3repE0EEENS1_30default_config_static_selectorELNS0_4arch9wavefront6targetE1EEEvT1_
; %bb.0:
	.section	.rodata,"a",@progbits
	.p2align	6, 0x0
	.amdhsa_kernel _ZN7rocprim17ROCPRIM_400000_NS6detail17trampoline_kernelINS0_14default_configENS1_20scan_config_selectorIyEEZZNS1_9scan_implILNS1_25lookback_scan_determinismE0ELb1ELb1ES3_N6thrust23THRUST_200600_302600_NS6detail15normal_iteratorINS9_10device_ptrIyEEEESE_y11max_functorIyEyEEDaPvRmT3_T4_T5_mT6_P12ihipStream_tbENKUlT_T0_E_clISt17integral_constantIbLb1EESU_EEDaSP_SQ_EUlSP_E_NS1_11comp_targetILNS1_3genE3ELNS1_11target_archE908ELNS1_3gpuE7ELNS1_3repE0EEENS1_30default_config_static_selectorELNS0_4arch9wavefront6targetE1EEEvT1_
		.amdhsa_group_segment_fixed_size 0
		.amdhsa_private_segment_fixed_size 0
		.amdhsa_kernarg_size 104
		.amdhsa_user_sgpr_count 6
		.amdhsa_user_sgpr_private_segment_buffer 1
		.amdhsa_user_sgpr_dispatch_ptr 0
		.amdhsa_user_sgpr_queue_ptr 0
		.amdhsa_user_sgpr_kernarg_segment_ptr 1
		.amdhsa_user_sgpr_dispatch_id 0
		.amdhsa_user_sgpr_flat_scratch_init 0
		.amdhsa_user_sgpr_kernarg_preload_length 0
		.amdhsa_user_sgpr_kernarg_preload_offset 0
		.amdhsa_user_sgpr_private_segment_size 0
		.amdhsa_uses_dynamic_stack 0
		.amdhsa_system_sgpr_private_segment_wavefront_offset 0
		.amdhsa_system_sgpr_workgroup_id_x 1
		.amdhsa_system_sgpr_workgroup_id_y 0
		.amdhsa_system_sgpr_workgroup_id_z 0
		.amdhsa_system_sgpr_workgroup_info 0
		.amdhsa_system_vgpr_workitem_id 0
		.amdhsa_next_free_vgpr 1
		.amdhsa_next_free_sgpr 0
		.amdhsa_accum_offset 4
		.amdhsa_reserve_vcc 0
		.amdhsa_reserve_flat_scratch 0
		.amdhsa_float_round_mode_32 0
		.amdhsa_float_round_mode_16_64 0
		.amdhsa_float_denorm_mode_32 3
		.amdhsa_float_denorm_mode_16_64 3
		.amdhsa_dx10_clamp 1
		.amdhsa_ieee_mode 1
		.amdhsa_fp16_overflow 0
		.amdhsa_tg_split 0
		.amdhsa_exception_fp_ieee_invalid_op 0
		.amdhsa_exception_fp_denorm_src 0
		.amdhsa_exception_fp_ieee_div_zero 0
		.amdhsa_exception_fp_ieee_overflow 0
		.amdhsa_exception_fp_ieee_underflow 0
		.amdhsa_exception_fp_ieee_inexact 0
		.amdhsa_exception_int_div_zero 0
	.end_amdhsa_kernel
	.section	.text._ZN7rocprim17ROCPRIM_400000_NS6detail17trampoline_kernelINS0_14default_configENS1_20scan_config_selectorIyEEZZNS1_9scan_implILNS1_25lookback_scan_determinismE0ELb1ELb1ES3_N6thrust23THRUST_200600_302600_NS6detail15normal_iteratorINS9_10device_ptrIyEEEESE_y11max_functorIyEyEEDaPvRmT3_T4_T5_mT6_P12ihipStream_tbENKUlT_T0_E_clISt17integral_constantIbLb1EESU_EEDaSP_SQ_EUlSP_E_NS1_11comp_targetILNS1_3genE3ELNS1_11target_archE908ELNS1_3gpuE7ELNS1_3repE0EEENS1_30default_config_static_selectorELNS0_4arch9wavefront6targetE1EEEvT1_,"axG",@progbits,_ZN7rocprim17ROCPRIM_400000_NS6detail17trampoline_kernelINS0_14default_configENS1_20scan_config_selectorIyEEZZNS1_9scan_implILNS1_25lookback_scan_determinismE0ELb1ELb1ES3_N6thrust23THRUST_200600_302600_NS6detail15normal_iteratorINS9_10device_ptrIyEEEESE_y11max_functorIyEyEEDaPvRmT3_T4_T5_mT6_P12ihipStream_tbENKUlT_T0_E_clISt17integral_constantIbLb1EESU_EEDaSP_SQ_EUlSP_E_NS1_11comp_targetILNS1_3genE3ELNS1_11target_archE908ELNS1_3gpuE7ELNS1_3repE0EEENS1_30default_config_static_selectorELNS0_4arch9wavefront6targetE1EEEvT1_,comdat
.Lfunc_end2193:
	.size	_ZN7rocprim17ROCPRIM_400000_NS6detail17trampoline_kernelINS0_14default_configENS1_20scan_config_selectorIyEEZZNS1_9scan_implILNS1_25lookback_scan_determinismE0ELb1ELb1ES3_N6thrust23THRUST_200600_302600_NS6detail15normal_iteratorINS9_10device_ptrIyEEEESE_y11max_functorIyEyEEDaPvRmT3_T4_T5_mT6_P12ihipStream_tbENKUlT_T0_E_clISt17integral_constantIbLb1EESU_EEDaSP_SQ_EUlSP_E_NS1_11comp_targetILNS1_3genE3ELNS1_11target_archE908ELNS1_3gpuE7ELNS1_3repE0EEENS1_30default_config_static_selectorELNS0_4arch9wavefront6targetE1EEEvT1_, .Lfunc_end2193-_ZN7rocprim17ROCPRIM_400000_NS6detail17trampoline_kernelINS0_14default_configENS1_20scan_config_selectorIyEEZZNS1_9scan_implILNS1_25lookback_scan_determinismE0ELb1ELb1ES3_N6thrust23THRUST_200600_302600_NS6detail15normal_iteratorINS9_10device_ptrIyEEEESE_y11max_functorIyEyEEDaPvRmT3_T4_T5_mT6_P12ihipStream_tbENKUlT_T0_E_clISt17integral_constantIbLb1EESU_EEDaSP_SQ_EUlSP_E_NS1_11comp_targetILNS1_3genE3ELNS1_11target_archE908ELNS1_3gpuE7ELNS1_3repE0EEENS1_30default_config_static_selectorELNS0_4arch9wavefront6targetE1EEEvT1_
                                        ; -- End function
	.section	.AMDGPU.csdata,"",@progbits
; Kernel info:
; codeLenInByte = 0
; NumSgprs: 4
; NumVgprs: 0
; NumAgprs: 0
; TotalNumVgprs: 0
; ScratchSize: 0
; MemoryBound: 0
; FloatMode: 240
; IeeeMode: 1
; LDSByteSize: 0 bytes/workgroup (compile time only)
; SGPRBlocks: 0
; VGPRBlocks: 0
; NumSGPRsForWavesPerEU: 4
; NumVGPRsForWavesPerEU: 1
; AccumOffset: 4
; Occupancy: 8
; WaveLimiterHint : 0
; COMPUTE_PGM_RSRC2:SCRATCH_EN: 0
; COMPUTE_PGM_RSRC2:USER_SGPR: 6
; COMPUTE_PGM_RSRC2:TRAP_HANDLER: 0
; COMPUTE_PGM_RSRC2:TGID_X_EN: 1
; COMPUTE_PGM_RSRC2:TGID_Y_EN: 0
; COMPUTE_PGM_RSRC2:TGID_Z_EN: 0
; COMPUTE_PGM_RSRC2:TIDIG_COMP_CNT: 0
; COMPUTE_PGM_RSRC3_GFX90A:ACCUM_OFFSET: 0
; COMPUTE_PGM_RSRC3_GFX90A:TG_SPLIT: 0
	.section	.text._ZN7rocprim17ROCPRIM_400000_NS6detail17trampoline_kernelINS0_14default_configENS1_20scan_config_selectorIyEEZZNS1_9scan_implILNS1_25lookback_scan_determinismE0ELb1ELb1ES3_N6thrust23THRUST_200600_302600_NS6detail15normal_iteratorINS9_10device_ptrIyEEEESE_y11max_functorIyEyEEDaPvRmT3_T4_T5_mT6_P12ihipStream_tbENKUlT_T0_E_clISt17integral_constantIbLb1EESU_EEDaSP_SQ_EUlSP_E_NS1_11comp_targetILNS1_3genE2ELNS1_11target_archE906ELNS1_3gpuE6ELNS1_3repE0EEENS1_30default_config_static_selectorELNS0_4arch9wavefront6targetE1EEEvT1_,"axG",@progbits,_ZN7rocprim17ROCPRIM_400000_NS6detail17trampoline_kernelINS0_14default_configENS1_20scan_config_selectorIyEEZZNS1_9scan_implILNS1_25lookback_scan_determinismE0ELb1ELb1ES3_N6thrust23THRUST_200600_302600_NS6detail15normal_iteratorINS9_10device_ptrIyEEEESE_y11max_functorIyEyEEDaPvRmT3_T4_T5_mT6_P12ihipStream_tbENKUlT_T0_E_clISt17integral_constantIbLb1EESU_EEDaSP_SQ_EUlSP_E_NS1_11comp_targetILNS1_3genE2ELNS1_11target_archE906ELNS1_3gpuE6ELNS1_3repE0EEENS1_30default_config_static_selectorELNS0_4arch9wavefront6targetE1EEEvT1_,comdat
	.protected	_ZN7rocprim17ROCPRIM_400000_NS6detail17trampoline_kernelINS0_14default_configENS1_20scan_config_selectorIyEEZZNS1_9scan_implILNS1_25lookback_scan_determinismE0ELb1ELb1ES3_N6thrust23THRUST_200600_302600_NS6detail15normal_iteratorINS9_10device_ptrIyEEEESE_y11max_functorIyEyEEDaPvRmT3_T4_T5_mT6_P12ihipStream_tbENKUlT_T0_E_clISt17integral_constantIbLb1EESU_EEDaSP_SQ_EUlSP_E_NS1_11comp_targetILNS1_3genE2ELNS1_11target_archE906ELNS1_3gpuE6ELNS1_3repE0EEENS1_30default_config_static_selectorELNS0_4arch9wavefront6targetE1EEEvT1_ ; -- Begin function _ZN7rocprim17ROCPRIM_400000_NS6detail17trampoline_kernelINS0_14default_configENS1_20scan_config_selectorIyEEZZNS1_9scan_implILNS1_25lookback_scan_determinismE0ELb1ELb1ES3_N6thrust23THRUST_200600_302600_NS6detail15normal_iteratorINS9_10device_ptrIyEEEESE_y11max_functorIyEyEEDaPvRmT3_T4_T5_mT6_P12ihipStream_tbENKUlT_T0_E_clISt17integral_constantIbLb1EESU_EEDaSP_SQ_EUlSP_E_NS1_11comp_targetILNS1_3genE2ELNS1_11target_archE906ELNS1_3gpuE6ELNS1_3repE0EEENS1_30default_config_static_selectorELNS0_4arch9wavefront6targetE1EEEvT1_
	.globl	_ZN7rocprim17ROCPRIM_400000_NS6detail17trampoline_kernelINS0_14default_configENS1_20scan_config_selectorIyEEZZNS1_9scan_implILNS1_25lookback_scan_determinismE0ELb1ELb1ES3_N6thrust23THRUST_200600_302600_NS6detail15normal_iteratorINS9_10device_ptrIyEEEESE_y11max_functorIyEyEEDaPvRmT3_T4_T5_mT6_P12ihipStream_tbENKUlT_T0_E_clISt17integral_constantIbLb1EESU_EEDaSP_SQ_EUlSP_E_NS1_11comp_targetILNS1_3genE2ELNS1_11target_archE906ELNS1_3gpuE6ELNS1_3repE0EEENS1_30default_config_static_selectorELNS0_4arch9wavefront6targetE1EEEvT1_
	.p2align	8
	.type	_ZN7rocprim17ROCPRIM_400000_NS6detail17trampoline_kernelINS0_14default_configENS1_20scan_config_selectorIyEEZZNS1_9scan_implILNS1_25lookback_scan_determinismE0ELb1ELb1ES3_N6thrust23THRUST_200600_302600_NS6detail15normal_iteratorINS9_10device_ptrIyEEEESE_y11max_functorIyEyEEDaPvRmT3_T4_T5_mT6_P12ihipStream_tbENKUlT_T0_E_clISt17integral_constantIbLb1EESU_EEDaSP_SQ_EUlSP_E_NS1_11comp_targetILNS1_3genE2ELNS1_11target_archE906ELNS1_3gpuE6ELNS1_3repE0EEENS1_30default_config_static_selectorELNS0_4arch9wavefront6targetE1EEEvT1_,@function
_ZN7rocprim17ROCPRIM_400000_NS6detail17trampoline_kernelINS0_14default_configENS1_20scan_config_selectorIyEEZZNS1_9scan_implILNS1_25lookback_scan_determinismE0ELb1ELb1ES3_N6thrust23THRUST_200600_302600_NS6detail15normal_iteratorINS9_10device_ptrIyEEEESE_y11max_functorIyEyEEDaPvRmT3_T4_T5_mT6_P12ihipStream_tbENKUlT_T0_E_clISt17integral_constantIbLb1EESU_EEDaSP_SQ_EUlSP_E_NS1_11comp_targetILNS1_3genE2ELNS1_11target_archE906ELNS1_3gpuE6ELNS1_3repE0EEENS1_30default_config_static_selectorELNS0_4arch9wavefront6targetE1EEEvT1_: ; @_ZN7rocprim17ROCPRIM_400000_NS6detail17trampoline_kernelINS0_14default_configENS1_20scan_config_selectorIyEEZZNS1_9scan_implILNS1_25lookback_scan_determinismE0ELb1ELb1ES3_N6thrust23THRUST_200600_302600_NS6detail15normal_iteratorINS9_10device_ptrIyEEEESE_y11max_functorIyEyEEDaPvRmT3_T4_T5_mT6_P12ihipStream_tbENKUlT_T0_E_clISt17integral_constantIbLb1EESU_EEDaSP_SQ_EUlSP_E_NS1_11comp_targetILNS1_3genE2ELNS1_11target_archE906ELNS1_3gpuE6ELNS1_3repE0EEENS1_30default_config_static_selectorELNS0_4arch9wavefront6targetE1EEEvT1_
; %bb.0:
	.section	.rodata,"a",@progbits
	.p2align	6, 0x0
	.amdhsa_kernel _ZN7rocprim17ROCPRIM_400000_NS6detail17trampoline_kernelINS0_14default_configENS1_20scan_config_selectorIyEEZZNS1_9scan_implILNS1_25lookback_scan_determinismE0ELb1ELb1ES3_N6thrust23THRUST_200600_302600_NS6detail15normal_iteratorINS9_10device_ptrIyEEEESE_y11max_functorIyEyEEDaPvRmT3_T4_T5_mT6_P12ihipStream_tbENKUlT_T0_E_clISt17integral_constantIbLb1EESU_EEDaSP_SQ_EUlSP_E_NS1_11comp_targetILNS1_3genE2ELNS1_11target_archE906ELNS1_3gpuE6ELNS1_3repE0EEENS1_30default_config_static_selectorELNS0_4arch9wavefront6targetE1EEEvT1_
		.amdhsa_group_segment_fixed_size 0
		.amdhsa_private_segment_fixed_size 0
		.amdhsa_kernarg_size 104
		.amdhsa_user_sgpr_count 6
		.amdhsa_user_sgpr_private_segment_buffer 1
		.amdhsa_user_sgpr_dispatch_ptr 0
		.amdhsa_user_sgpr_queue_ptr 0
		.amdhsa_user_sgpr_kernarg_segment_ptr 1
		.amdhsa_user_sgpr_dispatch_id 0
		.amdhsa_user_sgpr_flat_scratch_init 0
		.amdhsa_user_sgpr_kernarg_preload_length 0
		.amdhsa_user_sgpr_kernarg_preload_offset 0
		.amdhsa_user_sgpr_private_segment_size 0
		.amdhsa_uses_dynamic_stack 0
		.amdhsa_system_sgpr_private_segment_wavefront_offset 0
		.amdhsa_system_sgpr_workgroup_id_x 1
		.amdhsa_system_sgpr_workgroup_id_y 0
		.amdhsa_system_sgpr_workgroup_id_z 0
		.amdhsa_system_sgpr_workgroup_info 0
		.amdhsa_system_vgpr_workitem_id 0
		.amdhsa_next_free_vgpr 1
		.amdhsa_next_free_sgpr 0
		.amdhsa_accum_offset 4
		.amdhsa_reserve_vcc 0
		.amdhsa_reserve_flat_scratch 0
		.amdhsa_float_round_mode_32 0
		.amdhsa_float_round_mode_16_64 0
		.amdhsa_float_denorm_mode_32 3
		.amdhsa_float_denorm_mode_16_64 3
		.amdhsa_dx10_clamp 1
		.amdhsa_ieee_mode 1
		.amdhsa_fp16_overflow 0
		.amdhsa_tg_split 0
		.amdhsa_exception_fp_ieee_invalid_op 0
		.amdhsa_exception_fp_denorm_src 0
		.amdhsa_exception_fp_ieee_div_zero 0
		.amdhsa_exception_fp_ieee_overflow 0
		.amdhsa_exception_fp_ieee_underflow 0
		.amdhsa_exception_fp_ieee_inexact 0
		.amdhsa_exception_int_div_zero 0
	.end_amdhsa_kernel
	.section	.text._ZN7rocprim17ROCPRIM_400000_NS6detail17trampoline_kernelINS0_14default_configENS1_20scan_config_selectorIyEEZZNS1_9scan_implILNS1_25lookback_scan_determinismE0ELb1ELb1ES3_N6thrust23THRUST_200600_302600_NS6detail15normal_iteratorINS9_10device_ptrIyEEEESE_y11max_functorIyEyEEDaPvRmT3_T4_T5_mT6_P12ihipStream_tbENKUlT_T0_E_clISt17integral_constantIbLb1EESU_EEDaSP_SQ_EUlSP_E_NS1_11comp_targetILNS1_3genE2ELNS1_11target_archE906ELNS1_3gpuE6ELNS1_3repE0EEENS1_30default_config_static_selectorELNS0_4arch9wavefront6targetE1EEEvT1_,"axG",@progbits,_ZN7rocprim17ROCPRIM_400000_NS6detail17trampoline_kernelINS0_14default_configENS1_20scan_config_selectorIyEEZZNS1_9scan_implILNS1_25lookback_scan_determinismE0ELb1ELb1ES3_N6thrust23THRUST_200600_302600_NS6detail15normal_iteratorINS9_10device_ptrIyEEEESE_y11max_functorIyEyEEDaPvRmT3_T4_T5_mT6_P12ihipStream_tbENKUlT_T0_E_clISt17integral_constantIbLb1EESU_EEDaSP_SQ_EUlSP_E_NS1_11comp_targetILNS1_3genE2ELNS1_11target_archE906ELNS1_3gpuE6ELNS1_3repE0EEENS1_30default_config_static_selectorELNS0_4arch9wavefront6targetE1EEEvT1_,comdat
.Lfunc_end2194:
	.size	_ZN7rocprim17ROCPRIM_400000_NS6detail17trampoline_kernelINS0_14default_configENS1_20scan_config_selectorIyEEZZNS1_9scan_implILNS1_25lookback_scan_determinismE0ELb1ELb1ES3_N6thrust23THRUST_200600_302600_NS6detail15normal_iteratorINS9_10device_ptrIyEEEESE_y11max_functorIyEyEEDaPvRmT3_T4_T5_mT6_P12ihipStream_tbENKUlT_T0_E_clISt17integral_constantIbLb1EESU_EEDaSP_SQ_EUlSP_E_NS1_11comp_targetILNS1_3genE2ELNS1_11target_archE906ELNS1_3gpuE6ELNS1_3repE0EEENS1_30default_config_static_selectorELNS0_4arch9wavefront6targetE1EEEvT1_, .Lfunc_end2194-_ZN7rocprim17ROCPRIM_400000_NS6detail17trampoline_kernelINS0_14default_configENS1_20scan_config_selectorIyEEZZNS1_9scan_implILNS1_25lookback_scan_determinismE0ELb1ELb1ES3_N6thrust23THRUST_200600_302600_NS6detail15normal_iteratorINS9_10device_ptrIyEEEESE_y11max_functorIyEyEEDaPvRmT3_T4_T5_mT6_P12ihipStream_tbENKUlT_T0_E_clISt17integral_constantIbLb1EESU_EEDaSP_SQ_EUlSP_E_NS1_11comp_targetILNS1_3genE2ELNS1_11target_archE906ELNS1_3gpuE6ELNS1_3repE0EEENS1_30default_config_static_selectorELNS0_4arch9wavefront6targetE1EEEvT1_
                                        ; -- End function
	.section	.AMDGPU.csdata,"",@progbits
; Kernel info:
; codeLenInByte = 0
; NumSgprs: 4
; NumVgprs: 0
; NumAgprs: 0
; TotalNumVgprs: 0
; ScratchSize: 0
; MemoryBound: 0
; FloatMode: 240
; IeeeMode: 1
; LDSByteSize: 0 bytes/workgroup (compile time only)
; SGPRBlocks: 0
; VGPRBlocks: 0
; NumSGPRsForWavesPerEU: 4
; NumVGPRsForWavesPerEU: 1
; AccumOffset: 4
; Occupancy: 8
; WaveLimiterHint : 0
; COMPUTE_PGM_RSRC2:SCRATCH_EN: 0
; COMPUTE_PGM_RSRC2:USER_SGPR: 6
; COMPUTE_PGM_RSRC2:TRAP_HANDLER: 0
; COMPUTE_PGM_RSRC2:TGID_X_EN: 1
; COMPUTE_PGM_RSRC2:TGID_Y_EN: 0
; COMPUTE_PGM_RSRC2:TGID_Z_EN: 0
; COMPUTE_PGM_RSRC2:TIDIG_COMP_CNT: 0
; COMPUTE_PGM_RSRC3_GFX90A:ACCUM_OFFSET: 0
; COMPUTE_PGM_RSRC3_GFX90A:TG_SPLIT: 0
	.section	.text._ZN7rocprim17ROCPRIM_400000_NS6detail17trampoline_kernelINS0_14default_configENS1_20scan_config_selectorIyEEZZNS1_9scan_implILNS1_25lookback_scan_determinismE0ELb1ELb1ES3_N6thrust23THRUST_200600_302600_NS6detail15normal_iteratorINS9_10device_ptrIyEEEESE_y11max_functorIyEyEEDaPvRmT3_T4_T5_mT6_P12ihipStream_tbENKUlT_T0_E_clISt17integral_constantIbLb1EESU_EEDaSP_SQ_EUlSP_E_NS1_11comp_targetILNS1_3genE10ELNS1_11target_archE1201ELNS1_3gpuE5ELNS1_3repE0EEENS1_30default_config_static_selectorELNS0_4arch9wavefront6targetE1EEEvT1_,"axG",@progbits,_ZN7rocprim17ROCPRIM_400000_NS6detail17trampoline_kernelINS0_14default_configENS1_20scan_config_selectorIyEEZZNS1_9scan_implILNS1_25lookback_scan_determinismE0ELb1ELb1ES3_N6thrust23THRUST_200600_302600_NS6detail15normal_iteratorINS9_10device_ptrIyEEEESE_y11max_functorIyEyEEDaPvRmT3_T4_T5_mT6_P12ihipStream_tbENKUlT_T0_E_clISt17integral_constantIbLb1EESU_EEDaSP_SQ_EUlSP_E_NS1_11comp_targetILNS1_3genE10ELNS1_11target_archE1201ELNS1_3gpuE5ELNS1_3repE0EEENS1_30default_config_static_selectorELNS0_4arch9wavefront6targetE1EEEvT1_,comdat
	.protected	_ZN7rocprim17ROCPRIM_400000_NS6detail17trampoline_kernelINS0_14default_configENS1_20scan_config_selectorIyEEZZNS1_9scan_implILNS1_25lookback_scan_determinismE0ELb1ELb1ES3_N6thrust23THRUST_200600_302600_NS6detail15normal_iteratorINS9_10device_ptrIyEEEESE_y11max_functorIyEyEEDaPvRmT3_T4_T5_mT6_P12ihipStream_tbENKUlT_T0_E_clISt17integral_constantIbLb1EESU_EEDaSP_SQ_EUlSP_E_NS1_11comp_targetILNS1_3genE10ELNS1_11target_archE1201ELNS1_3gpuE5ELNS1_3repE0EEENS1_30default_config_static_selectorELNS0_4arch9wavefront6targetE1EEEvT1_ ; -- Begin function _ZN7rocprim17ROCPRIM_400000_NS6detail17trampoline_kernelINS0_14default_configENS1_20scan_config_selectorIyEEZZNS1_9scan_implILNS1_25lookback_scan_determinismE0ELb1ELb1ES3_N6thrust23THRUST_200600_302600_NS6detail15normal_iteratorINS9_10device_ptrIyEEEESE_y11max_functorIyEyEEDaPvRmT3_T4_T5_mT6_P12ihipStream_tbENKUlT_T0_E_clISt17integral_constantIbLb1EESU_EEDaSP_SQ_EUlSP_E_NS1_11comp_targetILNS1_3genE10ELNS1_11target_archE1201ELNS1_3gpuE5ELNS1_3repE0EEENS1_30default_config_static_selectorELNS0_4arch9wavefront6targetE1EEEvT1_
	.globl	_ZN7rocprim17ROCPRIM_400000_NS6detail17trampoline_kernelINS0_14default_configENS1_20scan_config_selectorIyEEZZNS1_9scan_implILNS1_25lookback_scan_determinismE0ELb1ELb1ES3_N6thrust23THRUST_200600_302600_NS6detail15normal_iteratorINS9_10device_ptrIyEEEESE_y11max_functorIyEyEEDaPvRmT3_T4_T5_mT6_P12ihipStream_tbENKUlT_T0_E_clISt17integral_constantIbLb1EESU_EEDaSP_SQ_EUlSP_E_NS1_11comp_targetILNS1_3genE10ELNS1_11target_archE1201ELNS1_3gpuE5ELNS1_3repE0EEENS1_30default_config_static_selectorELNS0_4arch9wavefront6targetE1EEEvT1_
	.p2align	8
	.type	_ZN7rocprim17ROCPRIM_400000_NS6detail17trampoline_kernelINS0_14default_configENS1_20scan_config_selectorIyEEZZNS1_9scan_implILNS1_25lookback_scan_determinismE0ELb1ELb1ES3_N6thrust23THRUST_200600_302600_NS6detail15normal_iteratorINS9_10device_ptrIyEEEESE_y11max_functorIyEyEEDaPvRmT3_T4_T5_mT6_P12ihipStream_tbENKUlT_T0_E_clISt17integral_constantIbLb1EESU_EEDaSP_SQ_EUlSP_E_NS1_11comp_targetILNS1_3genE10ELNS1_11target_archE1201ELNS1_3gpuE5ELNS1_3repE0EEENS1_30default_config_static_selectorELNS0_4arch9wavefront6targetE1EEEvT1_,@function
_ZN7rocprim17ROCPRIM_400000_NS6detail17trampoline_kernelINS0_14default_configENS1_20scan_config_selectorIyEEZZNS1_9scan_implILNS1_25lookback_scan_determinismE0ELb1ELb1ES3_N6thrust23THRUST_200600_302600_NS6detail15normal_iteratorINS9_10device_ptrIyEEEESE_y11max_functorIyEyEEDaPvRmT3_T4_T5_mT6_P12ihipStream_tbENKUlT_T0_E_clISt17integral_constantIbLb1EESU_EEDaSP_SQ_EUlSP_E_NS1_11comp_targetILNS1_3genE10ELNS1_11target_archE1201ELNS1_3gpuE5ELNS1_3repE0EEENS1_30default_config_static_selectorELNS0_4arch9wavefront6targetE1EEEvT1_: ; @_ZN7rocprim17ROCPRIM_400000_NS6detail17trampoline_kernelINS0_14default_configENS1_20scan_config_selectorIyEEZZNS1_9scan_implILNS1_25lookback_scan_determinismE0ELb1ELb1ES3_N6thrust23THRUST_200600_302600_NS6detail15normal_iteratorINS9_10device_ptrIyEEEESE_y11max_functorIyEyEEDaPvRmT3_T4_T5_mT6_P12ihipStream_tbENKUlT_T0_E_clISt17integral_constantIbLb1EESU_EEDaSP_SQ_EUlSP_E_NS1_11comp_targetILNS1_3genE10ELNS1_11target_archE1201ELNS1_3gpuE5ELNS1_3repE0EEENS1_30default_config_static_selectorELNS0_4arch9wavefront6targetE1EEEvT1_
; %bb.0:
	.section	.rodata,"a",@progbits
	.p2align	6, 0x0
	.amdhsa_kernel _ZN7rocprim17ROCPRIM_400000_NS6detail17trampoline_kernelINS0_14default_configENS1_20scan_config_selectorIyEEZZNS1_9scan_implILNS1_25lookback_scan_determinismE0ELb1ELb1ES3_N6thrust23THRUST_200600_302600_NS6detail15normal_iteratorINS9_10device_ptrIyEEEESE_y11max_functorIyEyEEDaPvRmT3_T4_T5_mT6_P12ihipStream_tbENKUlT_T0_E_clISt17integral_constantIbLb1EESU_EEDaSP_SQ_EUlSP_E_NS1_11comp_targetILNS1_3genE10ELNS1_11target_archE1201ELNS1_3gpuE5ELNS1_3repE0EEENS1_30default_config_static_selectorELNS0_4arch9wavefront6targetE1EEEvT1_
		.amdhsa_group_segment_fixed_size 0
		.amdhsa_private_segment_fixed_size 0
		.amdhsa_kernarg_size 104
		.amdhsa_user_sgpr_count 6
		.amdhsa_user_sgpr_private_segment_buffer 1
		.amdhsa_user_sgpr_dispatch_ptr 0
		.amdhsa_user_sgpr_queue_ptr 0
		.amdhsa_user_sgpr_kernarg_segment_ptr 1
		.amdhsa_user_sgpr_dispatch_id 0
		.amdhsa_user_sgpr_flat_scratch_init 0
		.amdhsa_user_sgpr_kernarg_preload_length 0
		.amdhsa_user_sgpr_kernarg_preload_offset 0
		.amdhsa_user_sgpr_private_segment_size 0
		.amdhsa_uses_dynamic_stack 0
		.amdhsa_system_sgpr_private_segment_wavefront_offset 0
		.amdhsa_system_sgpr_workgroup_id_x 1
		.amdhsa_system_sgpr_workgroup_id_y 0
		.amdhsa_system_sgpr_workgroup_id_z 0
		.amdhsa_system_sgpr_workgroup_info 0
		.amdhsa_system_vgpr_workitem_id 0
		.amdhsa_next_free_vgpr 1
		.amdhsa_next_free_sgpr 0
		.amdhsa_accum_offset 4
		.amdhsa_reserve_vcc 0
		.amdhsa_reserve_flat_scratch 0
		.amdhsa_float_round_mode_32 0
		.amdhsa_float_round_mode_16_64 0
		.amdhsa_float_denorm_mode_32 3
		.amdhsa_float_denorm_mode_16_64 3
		.amdhsa_dx10_clamp 1
		.amdhsa_ieee_mode 1
		.amdhsa_fp16_overflow 0
		.amdhsa_tg_split 0
		.amdhsa_exception_fp_ieee_invalid_op 0
		.amdhsa_exception_fp_denorm_src 0
		.amdhsa_exception_fp_ieee_div_zero 0
		.amdhsa_exception_fp_ieee_overflow 0
		.amdhsa_exception_fp_ieee_underflow 0
		.amdhsa_exception_fp_ieee_inexact 0
		.amdhsa_exception_int_div_zero 0
	.end_amdhsa_kernel
	.section	.text._ZN7rocprim17ROCPRIM_400000_NS6detail17trampoline_kernelINS0_14default_configENS1_20scan_config_selectorIyEEZZNS1_9scan_implILNS1_25lookback_scan_determinismE0ELb1ELb1ES3_N6thrust23THRUST_200600_302600_NS6detail15normal_iteratorINS9_10device_ptrIyEEEESE_y11max_functorIyEyEEDaPvRmT3_T4_T5_mT6_P12ihipStream_tbENKUlT_T0_E_clISt17integral_constantIbLb1EESU_EEDaSP_SQ_EUlSP_E_NS1_11comp_targetILNS1_3genE10ELNS1_11target_archE1201ELNS1_3gpuE5ELNS1_3repE0EEENS1_30default_config_static_selectorELNS0_4arch9wavefront6targetE1EEEvT1_,"axG",@progbits,_ZN7rocprim17ROCPRIM_400000_NS6detail17trampoline_kernelINS0_14default_configENS1_20scan_config_selectorIyEEZZNS1_9scan_implILNS1_25lookback_scan_determinismE0ELb1ELb1ES3_N6thrust23THRUST_200600_302600_NS6detail15normal_iteratorINS9_10device_ptrIyEEEESE_y11max_functorIyEyEEDaPvRmT3_T4_T5_mT6_P12ihipStream_tbENKUlT_T0_E_clISt17integral_constantIbLb1EESU_EEDaSP_SQ_EUlSP_E_NS1_11comp_targetILNS1_3genE10ELNS1_11target_archE1201ELNS1_3gpuE5ELNS1_3repE0EEENS1_30default_config_static_selectorELNS0_4arch9wavefront6targetE1EEEvT1_,comdat
.Lfunc_end2195:
	.size	_ZN7rocprim17ROCPRIM_400000_NS6detail17trampoline_kernelINS0_14default_configENS1_20scan_config_selectorIyEEZZNS1_9scan_implILNS1_25lookback_scan_determinismE0ELb1ELb1ES3_N6thrust23THRUST_200600_302600_NS6detail15normal_iteratorINS9_10device_ptrIyEEEESE_y11max_functorIyEyEEDaPvRmT3_T4_T5_mT6_P12ihipStream_tbENKUlT_T0_E_clISt17integral_constantIbLb1EESU_EEDaSP_SQ_EUlSP_E_NS1_11comp_targetILNS1_3genE10ELNS1_11target_archE1201ELNS1_3gpuE5ELNS1_3repE0EEENS1_30default_config_static_selectorELNS0_4arch9wavefront6targetE1EEEvT1_, .Lfunc_end2195-_ZN7rocprim17ROCPRIM_400000_NS6detail17trampoline_kernelINS0_14default_configENS1_20scan_config_selectorIyEEZZNS1_9scan_implILNS1_25lookback_scan_determinismE0ELb1ELb1ES3_N6thrust23THRUST_200600_302600_NS6detail15normal_iteratorINS9_10device_ptrIyEEEESE_y11max_functorIyEyEEDaPvRmT3_T4_T5_mT6_P12ihipStream_tbENKUlT_T0_E_clISt17integral_constantIbLb1EESU_EEDaSP_SQ_EUlSP_E_NS1_11comp_targetILNS1_3genE10ELNS1_11target_archE1201ELNS1_3gpuE5ELNS1_3repE0EEENS1_30default_config_static_selectorELNS0_4arch9wavefront6targetE1EEEvT1_
                                        ; -- End function
	.section	.AMDGPU.csdata,"",@progbits
; Kernel info:
; codeLenInByte = 0
; NumSgprs: 4
; NumVgprs: 0
; NumAgprs: 0
; TotalNumVgprs: 0
; ScratchSize: 0
; MemoryBound: 0
; FloatMode: 240
; IeeeMode: 1
; LDSByteSize: 0 bytes/workgroup (compile time only)
; SGPRBlocks: 0
; VGPRBlocks: 0
; NumSGPRsForWavesPerEU: 4
; NumVGPRsForWavesPerEU: 1
; AccumOffset: 4
; Occupancy: 8
; WaveLimiterHint : 0
; COMPUTE_PGM_RSRC2:SCRATCH_EN: 0
; COMPUTE_PGM_RSRC2:USER_SGPR: 6
; COMPUTE_PGM_RSRC2:TRAP_HANDLER: 0
; COMPUTE_PGM_RSRC2:TGID_X_EN: 1
; COMPUTE_PGM_RSRC2:TGID_Y_EN: 0
; COMPUTE_PGM_RSRC2:TGID_Z_EN: 0
; COMPUTE_PGM_RSRC2:TIDIG_COMP_CNT: 0
; COMPUTE_PGM_RSRC3_GFX90A:ACCUM_OFFSET: 0
; COMPUTE_PGM_RSRC3_GFX90A:TG_SPLIT: 0
	.section	.text._ZN7rocprim17ROCPRIM_400000_NS6detail17trampoline_kernelINS0_14default_configENS1_20scan_config_selectorIyEEZZNS1_9scan_implILNS1_25lookback_scan_determinismE0ELb1ELb1ES3_N6thrust23THRUST_200600_302600_NS6detail15normal_iteratorINS9_10device_ptrIyEEEESE_y11max_functorIyEyEEDaPvRmT3_T4_T5_mT6_P12ihipStream_tbENKUlT_T0_E_clISt17integral_constantIbLb1EESU_EEDaSP_SQ_EUlSP_E_NS1_11comp_targetILNS1_3genE10ELNS1_11target_archE1200ELNS1_3gpuE4ELNS1_3repE0EEENS1_30default_config_static_selectorELNS0_4arch9wavefront6targetE1EEEvT1_,"axG",@progbits,_ZN7rocprim17ROCPRIM_400000_NS6detail17trampoline_kernelINS0_14default_configENS1_20scan_config_selectorIyEEZZNS1_9scan_implILNS1_25lookback_scan_determinismE0ELb1ELb1ES3_N6thrust23THRUST_200600_302600_NS6detail15normal_iteratorINS9_10device_ptrIyEEEESE_y11max_functorIyEyEEDaPvRmT3_T4_T5_mT6_P12ihipStream_tbENKUlT_T0_E_clISt17integral_constantIbLb1EESU_EEDaSP_SQ_EUlSP_E_NS1_11comp_targetILNS1_3genE10ELNS1_11target_archE1200ELNS1_3gpuE4ELNS1_3repE0EEENS1_30default_config_static_selectorELNS0_4arch9wavefront6targetE1EEEvT1_,comdat
	.protected	_ZN7rocprim17ROCPRIM_400000_NS6detail17trampoline_kernelINS0_14default_configENS1_20scan_config_selectorIyEEZZNS1_9scan_implILNS1_25lookback_scan_determinismE0ELb1ELb1ES3_N6thrust23THRUST_200600_302600_NS6detail15normal_iteratorINS9_10device_ptrIyEEEESE_y11max_functorIyEyEEDaPvRmT3_T4_T5_mT6_P12ihipStream_tbENKUlT_T0_E_clISt17integral_constantIbLb1EESU_EEDaSP_SQ_EUlSP_E_NS1_11comp_targetILNS1_3genE10ELNS1_11target_archE1200ELNS1_3gpuE4ELNS1_3repE0EEENS1_30default_config_static_selectorELNS0_4arch9wavefront6targetE1EEEvT1_ ; -- Begin function _ZN7rocprim17ROCPRIM_400000_NS6detail17trampoline_kernelINS0_14default_configENS1_20scan_config_selectorIyEEZZNS1_9scan_implILNS1_25lookback_scan_determinismE0ELb1ELb1ES3_N6thrust23THRUST_200600_302600_NS6detail15normal_iteratorINS9_10device_ptrIyEEEESE_y11max_functorIyEyEEDaPvRmT3_T4_T5_mT6_P12ihipStream_tbENKUlT_T0_E_clISt17integral_constantIbLb1EESU_EEDaSP_SQ_EUlSP_E_NS1_11comp_targetILNS1_3genE10ELNS1_11target_archE1200ELNS1_3gpuE4ELNS1_3repE0EEENS1_30default_config_static_selectorELNS0_4arch9wavefront6targetE1EEEvT1_
	.globl	_ZN7rocprim17ROCPRIM_400000_NS6detail17trampoline_kernelINS0_14default_configENS1_20scan_config_selectorIyEEZZNS1_9scan_implILNS1_25lookback_scan_determinismE0ELb1ELb1ES3_N6thrust23THRUST_200600_302600_NS6detail15normal_iteratorINS9_10device_ptrIyEEEESE_y11max_functorIyEyEEDaPvRmT3_T4_T5_mT6_P12ihipStream_tbENKUlT_T0_E_clISt17integral_constantIbLb1EESU_EEDaSP_SQ_EUlSP_E_NS1_11comp_targetILNS1_3genE10ELNS1_11target_archE1200ELNS1_3gpuE4ELNS1_3repE0EEENS1_30default_config_static_selectorELNS0_4arch9wavefront6targetE1EEEvT1_
	.p2align	8
	.type	_ZN7rocprim17ROCPRIM_400000_NS6detail17trampoline_kernelINS0_14default_configENS1_20scan_config_selectorIyEEZZNS1_9scan_implILNS1_25lookback_scan_determinismE0ELb1ELb1ES3_N6thrust23THRUST_200600_302600_NS6detail15normal_iteratorINS9_10device_ptrIyEEEESE_y11max_functorIyEyEEDaPvRmT3_T4_T5_mT6_P12ihipStream_tbENKUlT_T0_E_clISt17integral_constantIbLb1EESU_EEDaSP_SQ_EUlSP_E_NS1_11comp_targetILNS1_3genE10ELNS1_11target_archE1200ELNS1_3gpuE4ELNS1_3repE0EEENS1_30default_config_static_selectorELNS0_4arch9wavefront6targetE1EEEvT1_,@function
_ZN7rocprim17ROCPRIM_400000_NS6detail17trampoline_kernelINS0_14default_configENS1_20scan_config_selectorIyEEZZNS1_9scan_implILNS1_25lookback_scan_determinismE0ELb1ELb1ES3_N6thrust23THRUST_200600_302600_NS6detail15normal_iteratorINS9_10device_ptrIyEEEESE_y11max_functorIyEyEEDaPvRmT3_T4_T5_mT6_P12ihipStream_tbENKUlT_T0_E_clISt17integral_constantIbLb1EESU_EEDaSP_SQ_EUlSP_E_NS1_11comp_targetILNS1_3genE10ELNS1_11target_archE1200ELNS1_3gpuE4ELNS1_3repE0EEENS1_30default_config_static_selectorELNS0_4arch9wavefront6targetE1EEEvT1_: ; @_ZN7rocprim17ROCPRIM_400000_NS6detail17trampoline_kernelINS0_14default_configENS1_20scan_config_selectorIyEEZZNS1_9scan_implILNS1_25lookback_scan_determinismE0ELb1ELb1ES3_N6thrust23THRUST_200600_302600_NS6detail15normal_iteratorINS9_10device_ptrIyEEEESE_y11max_functorIyEyEEDaPvRmT3_T4_T5_mT6_P12ihipStream_tbENKUlT_T0_E_clISt17integral_constantIbLb1EESU_EEDaSP_SQ_EUlSP_E_NS1_11comp_targetILNS1_3genE10ELNS1_11target_archE1200ELNS1_3gpuE4ELNS1_3repE0EEENS1_30default_config_static_selectorELNS0_4arch9wavefront6targetE1EEEvT1_
; %bb.0:
	.section	.rodata,"a",@progbits
	.p2align	6, 0x0
	.amdhsa_kernel _ZN7rocprim17ROCPRIM_400000_NS6detail17trampoline_kernelINS0_14default_configENS1_20scan_config_selectorIyEEZZNS1_9scan_implILNS1_25lookback_scan_determinismE0ELb1ELb1ES3_N6thrust23THRUST_200600_302600_NS6detail15normal_iteratorINS9_10device_ptrIyEEEESE_y11max_functorIyEyEEDaPvRmT3_T4_T5_mT6_P12ihipStream_tbENKUlT_T0_E_clISt17integral_constantIbLb1EESU_EEDaSP_SQ_EUlSP_E_NS1_11comp_targetILNS1_3genE10ELNS1_11target_archE1200ELNS1_3gpuE4ELNS1_3repE0EEENS1_30default_config_static_selectorELNS0_4arch9wavefront6targetE1EEEvT1_
		.amdhsa_group_segment_fixed_size 0
		.amdhsa_private_segment_fixed_size 0
		.amdhsa_kernarg_size 104
		.amdhsa_user_sgpr_count 6
		.amdhsa_user_sgpr_private_segment_buffer 1
		.amdhsa_user_sgpr_dispatch_ptr 0
		.amdhsa_user_sgpr_queue_ptr 0
		.amdhsa_user_sgpr_kernarg_segment_ptr 1
		.amdhsa_user_sgpr_dispatch_id 0
		.amdhsa_user_sgpr_flat_scratch_init 0
		.amdhsa_user_sgpr_kernarg_preload_length 0
		.amdhsa_user_sgpr_kernarg_preload_offset 0
		.amdhsa_user_sgpr_private_segment_size 0
		.amdhsa_uses_dynamic_stack 0
		.amdhsa_system_sgpr_private_segment_wavefront_offset 0
		.amdhsa_system_sgpr_workgroup_id_x 1
		.amdhsa_system_sgpr_workgroup_id_y 0
		.amdhsa_system_sgpr_workgroup_id_z 0
		.amdhsa_system_sgpr_workgroup_info 0
		.amdhsa_system_vgpr_workitem_id 0
		.amdhsa_next_free_vgpr 1
		.amdhsa_next_free_sgpr 0
		.amdhsa_accum_offset 4
		.amdhsa_reserve_vcc 0
		.amdhsa_reserve_flat_scratch 0
		.amdhsa_float_round_mode_32 0
		.amdhsa_float_round_mode_16_64 0
		.amdhsa_float_denorm_mode_32 3
		.amdhsa_float_denorm_mode_16_64 3
		.amdhsa_dx10_clamp 1
		.amdhsa_ieee_mode 1
		.amdhsa_fp16_overflow 0
		.amdhsa_tg_split 0
		.amdhsa_exception_fp_ieee_invalid_op 0
		.amdhsa_exception_fp_denorm_src 0
		.amdhsa_exception_fp_ieee_div_zero 0
		.amdhsa_exception_fp_ieee_overflow 0
		.amdhsa_exception_fp_ieee_underflow 0
		.amdhsa_exception_fp_ieee_inexact 0
		.amdhsa_exception_int_div_zero 0
	.end_amdhsa_kernel
	.section	.text._ZN7rocprim17ROCPRIM_400000_NS6detail17trampoline_kernelINS0_14default_configENS1_20scan_config_selectorIyEEZZNS1_9scan_implILNS1_25lookback_scan_determinismE0ELb1ELb1ES3_N6thrust23THRUST_200600_302600_NS6detail15normal_iteratorINS9_10device_ptrIyEEEESE_y11max_functorIyEyEEDaPvRmT3_T4_T5_mT6_P12ihipStream_tbENKUlT_T0_E_clISt17integral_constantIbLb1EESU_EEDaSP_SQ_EUlSP_E_NS1_11comp_targetILNS1_3genE10ELNS1_11target_archE1200ELNS1_3gpuE4ELNS1_3repE0EEENS1_30default_config_static_selectorELNS0_4arch9wavefront6targetE1EEEvT1_,"axG",@progbits,_ZN7rocprim17ROCPRIM_400000_NS6detail17trampoline_kernelINS0_14default_configENS1_20scan_config_selectorIyEEZZNS1_9scan_implILNS1_25lookback_scan_determinismE0ELb1ELb1ES3_N6thrust23THRUST_200600_302600_NS6detail15normal_iteratorINS9_10device_ptrIyEEEESE_y11max_functorIyEyEEDaPvRmT3_T4_T5_mT6_P12ihipStream_tbENKUlT_T0_E_clISt17integral_constantIbLb1EESU_EEDaSP_SQ_EUlSP_E_NS1_11comp_targetILNS1_3genE10ELNS1_11target_archE1200ELNS1_3gpuE4ELNS1_3repE0EEENS1_30default_config_static_selectorELNS0_4arch9wavefront6targetE1EEEvT1_,comdat
.Lfunc_end2196:
	.size	_ZN7rocprim17ROCPRIM_400000_NS6detail17trampoline_kernelINS0_14default_configENS1_20scan_config_selectorIyEEZZNS1_9scan_implILNS1_25lookback_scan_determinismE0ELb1ELb1ES3_N6thrust23THRUST_200600_302600_NS6detail15normal_iteratorINS9_10device_ptrIyEEEESE_y11max_functorIyEyEEDaPvRmT3_T4_T5_mT6_P12ihipStream_tbENKUlT_T0_E_clISt17integral_constantIbLb1EESU_EEDaSP_SQ_EUlSP_E_NS1_11comp_targetILNS1_3genE10ELNS1_11target_archE1200ELNS1_3gpuE4ELNS1_3repE0EEENS1_30default_config_static_selectorELNS0_4arch9wavefront6targetE1EEEvT1_, .Lfunc_end2196-_ZN7rocprim17ROCPRIM_400000_NS6detail17trampoline_kernelINS0_14default_configENS1_20scan_config_selectorIyEEZZNS1_9scan_implILNS1_25lookback_scan_determinismE0ELb1ELb1ES3_N6thrust23THRUST_200600_302600_NS6detail15normal_iteratorINS9_10device_ptrIyEEEESE_y11max_functorIyEyEEDaPvRmT3_T4_T5_mT6_P12ihipStream_tbENKUlT_T0_E_clISt17integral_constantIbLb1EESU_EEDaSP_SQ_EUlSP_E_NS1_11comp_targetILNS1_3genE10ELNS1_11target_archE1200ELNS1_3gpuE4ELNS1_3repE0EEENS1_30default_config_static_selectorELNS0_4arch9wavefront6targetE1EEEvT1_
                                        ; -- End function
	.section	.AMDGPU.csdata,"",@progbits
; Kernel info:
; codeLenInByte = 0
; NumSgprs: 4
; NumVgprs: 0
; NumAgprs: 0
; TotalNumVgprs: 0
; ScratchSize: 0
; MemoryBound: 0
; FloatMode: 240
; IeeeMode: 1
; LDSByteSize: 0 bytes/workgroup (compile time only)
; SGPRBlocks: 0
; VGPRBlocks: 0
; NumSGPRsForWavesPerEU: 4
; NumVGPRsForWavesPerEU: 1
; AccumOffset: 4
; Occupancy: 8
; WaveLimiterHint : 0
; COMPUTE_PGM_RSRC2:SCRATCH_EN: 0
; COMPUTE_PGM_RSRC2:USER_SGPR: 6
; COMPUTE_PGM_RSRC2:TRAP_HANDLER: 0
; COMPUTE_PGM_RSRC2:TGID_X_EN: 1
; COMPUTE_PGM_RSRC2:TGID_Y_EN: 0
; COMPUTE_PGM_RSRC2:TGID_Z_EN: 0
; COMPUTE_PGM_RSRC2:TIDIG_COMP_CNT: 0
; COMPUTE_PGM_RSRC3_GFX90A:ACCUM_OFFSET: 0
; COMPUTE_PGM_RSRC3_GFX90A:TG_SPLIT: 0
	.section	.text._ZN7rocprim17ROCPRIM_400000_NS6detail17trampoline_kernelINS0_14default_configENS1_20scan_config_selectorIyEEZZNS1_9scan_implILNS1_25lookback_scan_determinismE0ELb1ELb1ES3_N6thrust23THRUST_200600_302600_NS6detail15normal_iteratorINS9_10device_ptrIyEEEESE_y11max_functorIyEyEEDaPvRmT3_T4_T5_mT6_P12ihipStream_tbENKUlT_T0_E_clISt17integral_constantIbLb1EESU_EEDaSP_SQ_EUlSP_E_NS1_11comp_targetILNS1_3genE9ELNS1_11target_archE1100ELNS1_3gpuE3ELNS1_3repE0EEENS1_30default_config_static_selectorELNS0_4arch9wavefront6targetE1EEEvT1_,"axG",@progbits,_ZN7rocprim17ROCPRIM_400000_NS6detail17trampoline_kernelINS0_14default_configENS1_20scan_config_selectorIyEEZZNS1_9scan_implILNS1_25lookback_scan_determinismE0ELb1ELb1ES3_N6thrust23THRUST_200600_302600_NS6detail15normal_iteratorINS9_10device_ptrIyEEEESE_y11max_functorIyEyEEDaPvRmT3_T4_T5_mT6_P12ihipStream_tbENKUlT_T0_E_clISt17integral_constantIbLb1EESU_EEDaSP_SQ_EUlSP_E_NS1_11comp_targetILNS1_3genE9ELNS1_11target_archE1100ELNS1_3gpuE3ELNS1_3repE0EEENS1_30default_config_static_selectorELNS0_4arch9wavefront6targetE1EEEvT1_,comdat
	.protected	_ZN7rocprim17ROCPRIM_400000_NS6detail17trampoline_kernelINS0_14default_configENS1_20scan_config_selectorIyEEZZNS1_9scan_implILNS1_25lookback_scan_determinismE0ELb1ELb1ES3_N6thrust23THRUST_200600_302600_NS6detail15normal_iteratorINS9_10device_ptrIyEEEESE_y11max_functorIyEyEEDaPvRmT3_T4_T5_mT6_P12ihipStream_tbENKUlT_T0_E_clISt17integral_constantIbLb1EESU_EEDaSP_SQ_EUlSP_E_NS1_11comp_targetILNS1_3genE9ELNS1_11target_archE1100ELNS1_3gpuE3ELNS1_3repE0EEENS1_30default_config_static_selectorELNS0_4arch9wavefront6targetE1EEEvT1_ ; -- Begin function _ZN7rocprim17ROCPRIM_400000_NS6detail17trampoline_kernelINS0_14default_configENS1_20scan_config_selectorIyEEZZNS1_9scan_implILNS1_25lookback_scan_determinismE0ELb1ELb1ES3_N6thrust23THRUST_200600_302600_NS6detail15normal_iteratorINS9_10device_ptrIyEEEESE_y11max_functorIyEyEEDaPvRmT3_T4_T5_mT6_P12ihipStream_tbENKUlT_T0_E_clISt17integral_constantIbLb1EESU_EEDaSP_SQ_EUlSP_E_NS1_11comp_targetILNS1_3genE9ELNS1_11target_archE1100ELNS1_3gpuE3ELNS1_3repE0EEENS1_30default_config_static_selectorELNS0_4arch9wavefront6targetE1EEEvT1_
	.globl	_ZN7rocprim17ROCPRIM_400000_NS6detail17trampoline_kernelINS0_14default_configENS1_20scan_config_selectorIyEEZZNS1_9scan_implILNS1_25lookback_scan_determinismE0ELb1ELb1ES3_N6thrust23THRUST_200600_302600_NS6detail15normal_iteratorINS9_10device_ptrIyEEEESE_y11max_functorIyEyEEDaPvRmT3_T4_T5_mT6_P12ihipStream_tbENKUlT_T0_E_clISt17integral_constantIbLb1EESU_EEDaSP_SQ_EUlSP_E_NS1_11comp_targetILNS1_3genE9ELNS1_11target_archE1100ELNS1_3gpuE3ELNS1_3repE0EEENS1_30default_config_static_selectorELNS0_4arch9wavefront6targetE1EEEvT1_
	.p2align	8
	.type	_ZN7rocprim17ROCPRIM_400000_NS6detail17trampoline_kernelINS0_14default_configENS1_20scan_config_selectorIyEEZZNS1_9scan_implILNS1_25lookback_scan_determinismE0ELb1ELb1ES3_N6thrust23THRUST_200600_302600_NS6detail15normal_iteratorINS9_10device_ptrIyEEEESE_y11max_functorIyEyEEDaPvRmT3_T4_T5_mT6_P12ihipStream_tbENKUlT_T0_E_clISt17integral_constantIbLb1EESU_EEDaSP_SQ_EUlSP_E_NS1_11comp_targetILNS1_3genE9ELNS1_11target_archE1100ELNS1_3gpuE3ELNS1_3repE0EEENS1_30default_config_static_selectorELNS0_4arch9wavefront6targetE1EEEvT1_,@function
_ZN7rocprim17ROCPRIM_400000_NS6detail17trampoline_kernelINS0_14default_configENS1_20scan_config_selectorIyEEZZNS1_9scan_implILNS1_25lookback_scan_determinismE0ELb1ELb1ES3_N6thrust23THRUST_200600_302600_NS6detail15normal_iteratorINS9_10device_ptrIyEEEESE_y11max_functorIyEyEEDaPvRmT3_T4_T5_mT6_P12ihipStream_tbENKUlT_T0_E_clISt17integral_constantIbLb1EESU_EEDaSP_SQ_EUlSP_E_NS1_11comp_targetILNS1_3genE9ELNS1_11target_archE1100ELNS1_3gpuE3ELNS1_3repE0EEENS1_30default_config_static_selectorELNS0_4arch9wavefront6targetE1EEEvT1_: ; @_ZN7rocprim17ROCPRIM_400000_NS6detail17trampoline_kernelINS0_14default_configENS1_20scan_config_selectorIyEEZZNS1_9scan_implILNS1_25lookback_scan_determinismE0ELb1ELb1ES3_N6thrust23THRUST_200600_302600_NS6detail15normal_iteratorINS9_10device_ptrIyEEEESE_y11max_functorIyEyEEDaPvRmT3_T4_T5_mT6_P12ihipStream_tbENKUlT_T0_E_clISt17integral_constantIbLb1EESU_EEDaSP_SQ_EUlSP_E_NS1_11comp_targetILNS1_3genE9ELNS1_11target_archE1100ELNS1_3gpuE3ELNS1_3repE0EEENS1_30default_config_static_selectorELNS0_4arch9wavefront6targetE1EEEvT1_
; %bb.0:
	.section	.rodata,"a",@progbits
	.p2align	6, 0x0
	.amdhsa_kernel _ZN7rocprim17ROCPRIM_400000_NS6detail17trampoline_kernelINS0_14default_configENS1_20scan_config_selectorIyEEZZNS1_9scan_implILNS1_25lookback_scan_determinismE0ELb1ELb1ES3_N6thrust23THRUST_200600_302600_NS6detail15normal_iteratorINS9_10device_ptrIyEEEESE_y11max_functorIyEyEEDaPvRmT3_T4_T5_mT6_P12ihipStream_tbENKUlT_T0_E_clISt17integral_constantIbLb1EESU_EEDaSP_SQ_EUlSP_E_NS1_11comp_targetILNS1_3genE9ELNS1_11target_archE1100ELNS1_3gpuE3ELNS1_3repE0EEENS1_30default_config_static_selectorELNS0_4arch9wavefront6targetE1EEEvT1_
		.amdhsa_group_segment_fixed_size 0
		.amdhsa_private_segment_fixed_size 0
		.amdhsa_kernarg_size 104
		.amdhsa_user_sgpr_count 6
		.amdhsa_user_sgpr_private_segment_buffer 1
		.amdhsa_user_sgpr_dispatch_ptr 0
		.amdhsa_user_sgpr_queue_ptr 0
		.amdhsa_user_sgpr_kernarg_segment_ptr 1
		.amdhsa_user_sgpr_dispatch_id 0
		.amdhsa_user_sgpr_flat_scratch_init 0
		.amdhsa_user_sgpr_kernarg_preload_length 0
		.amdhsa_user_sgpr_kernarg_preload_offset 0
		.amdhsa_user_sgpr_private_segment_size 0
		.amdhsa_uses_dynamic_stack 0
		.amdhsa_system_sgpr_private_segment_wavefront_offset 0
		.amdhsa_system_sgpr_workgroup_id_x 1
		.amdhsa_system_sgpr_workgroup_id_y 0
		.amdhsa_system_sgpr_workgroup_id_z 0
		.amdhsa_system_sgpr_workgroup_info 0
		.amdhsa_system_vgpr_workitem_id 0
		.amdhsa_next_free_vgpr 1
		.amdhsa_next_free_sgpr 0
		.amdhsa_accum_offset 4
		.amdhsa_reserve_vcc 0
		.amdhsa_reserve_flat_scratch 0
		.amdhsa_float_round_mode_32 0
		.amdhsa_float_round_mode_16_64 0
		.amdhsa_float_denorm_mode_32 3
		.amdhsa_float_denorm_mode_16_64 3
		.amdhsa_dx10_clamp 1
		.amdhsa_ieee_mode 1
		.amdhsa_fp16_overflow 0
		.amdhsa_tg_split 0
		.amdhsa_exception_fp_ieee_invalid_op 0
		.amdhsa_exception_fp_denorm_src 0
		.amdhsa_exception_fp_ieee_div_zero 0
		.amdhsa_exception_fp_ieee_overflow 0
		.amdhsa_exception_fp_ieee_underflow 0
		.amdhsa_exception_fp_ieee_inexact 0
		.amdhsa_exception_int_div_zero 0
	.end_amdhsa_kernel
	.section	.text._ZN7rocprim17ROCPRIM_400000_NS6detail17trampoline_kernelINS0_14default_configENS1_20scan_config_selectorIyEEZZNS1_9scan_implILNS1_25lookback_scan_determinismE0ELb1ELb1ES3_N6thrust23THRUST_200600_302600_NS6detail15normal_iteratorINS9_10device_ptrIyEEEESE_y11max_functorIyEyEEDaPvRmT3_T4_T5_mT6_P12ihipStream_tbENKUlT_T0_E_clISt17integral_constantIbLb1EESU_EEDaSP_SQ_EUlSP_E_NS1_11comp_targetILNS1_3genE9ELNS1_11target_archE1100ELNS1_3gpuE3ELNS1_3repE0EEENS1_30default_config_static_selectorELNS0_4arch9wavefront6targetE1EEEvT1_,"axG",@progbits,_ZN7rocprim17ROCPRIM_400000_NS6detail17trampoline_kernelINS0_14default_configENS1_20scan_config_selectorIyEEZZNS1_9scan_implILNS1_25lookback_scan_determinismE0ELb1ELb1ES3_N6thrust23THRUST_200600_302600_NS6detail15normal_iteratorINS9_10device_ptrIyEEEESE_y11max_functorIyEyEEDaPvRmT3_T4_T5_mT6_P12ihipStream_tbENKUlT_T0_E_clISt17integral_constantIbLb1EESU_EEDaSP_SQ_EUlSP_E_NS1_11comp_targetILNS1_3genE9ELNS1_11target_archE1100ELNS1_3gpuE3ELNS1_3repE0EEENS1_30default_config_static_selectorELNS0_4arch9wavefront6targetE1EEEvT1_,comdat
.Lfunc_end2197:
	.size	_ZN7rocprim17ROCPRIM_400000_NS6detail17trampoline_kernelINS0_14default_configENS1_20scan_config_selectorIyEEZZNS1_9scan_implILNS1_25lookback_scan_determinismE0ELb1ELb1ES3_N6thrust23THRUST_200600_302600_NS6detail15normal_iteratorINS9_10device_ptrIyEEEESE_y11max_functorIyEyEEDaPvRmT3_T4_T5_mT6_P12ihipStream_tbENKUlT_T0_E_clISt17integral_constantIbLb1EESU_EEDaSP_SQ_EUlSP_E_NS1_11comp_targetILNS1_3genE9ELNS1_11target_archE1100ELNS1_3gpuE3ELNS1_3repE0EEENS1_30default_config_static_selectorELNS0_4arch9wavefront6targetE1EEEvT1_, .Lfunc_end2197-_ZN7rocprim17ROCPRIM_400000_NS6detail17trampoline_kernelINS0_14default_configENS1_20scan_config_selectorIyEEZZNS1_9scan_implILNS1_25lookback_scan_determinismE0ELb1ELb1ES3_N6thrust23THRUST_200600_302600_NS6detail15normal_iteratorINS9_10device_ptrIyEEEESE_y11max_functorIyEyEEDaPvRmT3_T4_T5_mT6_P12ihipStream_tbENKUlT_T0_E_clISt17integral_constantIbLb1EESU_EEDaSP_SQ_EUlSP_E_NS1_11comp_targetILNS1_3genE9ELNS1_11target_archE1100ELNS1_3gpuE3ELNS1_3repE0EEENS1_30default_config_static_selectorELNS0_4arch9wavefront6targetE1EEEvT1_
                                        ; -- End function
	.section	.AMDGPU.csdata,"",@progbits
; Kernel info:
; codeLenInByte = 0
; NumSgprs: 4
; NumVgprs: 0
; NumAgprs: 0
; TotalNumVgprs: 0
; ScratchSize: 0
; MemoryBound: 0
; FloatMode: 240
; IeeeMode: 1
; LDSByteSize: 0 bytes/workgroup (compile time only)
; SGPRBlocks: 0
; VGPRBlocks: 0
; NumSGPRsForWavesPerEU: 4
; NumVGPRsForWavesPerEU: 1
; AccumOffset: 4
; Occupancy: 8
; WaveLimiterHint : 0
; COMPUTE_PGM_RSRC2:SCRATCH_EN: 0
; COMPUTE_PGM_RSRC2:USER_SGPR: 6
; COMPUTE_PGM_RSRC2:TRAP_HANDLER: 0
; COMPUTE_PGM_RSRC2:TGID_X_EN: 1
; COMPUTE_PGM_RSRC2:TGID_Y_EN: 0
; COMPUTE_PGM_RSRC2:TGID_Z_EN: 0
; COMPUTE_PGM_RSRC2:TIDIG_COMP_CNT: 0
; COMPUTE_PGM_RSRC3_GFX90A:ACCUM_OFFSET: 0
; COMPUTE_PGM_RSRC3_GFX90A:TG_SPLIT: 0
	.section	.text._ZN7rocprim17ROCPRIM_400000_NS6detail17trampoline_kernelINS0_14default_configENS1_20scan_config_selectorIyEEZZNS1_9scan_implILNS1_25lookback_scan_determinismE0ELb1ELb1ES3_N6thrust23THRUST_200600_302600_NS6detail15normal_iteratorINS9_10device_ptrIyEEEESE_y11max_functorIyEyEEDaPvRmT3_T4_T5_mT6_P12ihipStream_tbENKUlT_T0_E_clISt17integral_constantIbLb1EESU_EEDaSP_SQ_EUlSP_E_NS1_11comp_targetILNS1_3genE8ELNS1_11target_archE1030ELNS1_3gpuE2ELNS1_3repE0EEENS1_30default_config_static_selectorELNS0_4arch9wavefront6targetE1EEEvT1_,"axG",@progbits,_ZN7rocprim17ROCPRIM_400000_NS6detail17trampoline_kernelINS0_14default_configENS1_20scan_config_selectorIyEEZZNS1_9scan_implILNS1_25lookback_scan_determinismE0ELb1ELb1ES3_N6thrust23THRUST_200600_302600_NS6detail15normal_iteratorINS9_10device_ptrIyEEEESE_y11max_functorIyEyEEDaPvRmT3_T4_T5_mT6_P12ihipStream_tbENKUlT_T0_E_clISt17integral_constantIbLb1EESU_EEDaSP_SQ_EUlSP_E_NS1_11comp_targetILNS1_3genE8ELNS1_11target_archE1030ELNS1_3gpuE2ELNS1_3repE0EEENS1_30default_config_static_selectorELNS0_4arch9wavefront6targetE1EEEvT1_,comdat
	.protected	_ZN7rocprim17ROCPRIM_400000_NS6detail17trampoline_kernelINS0_14default_configENS1_20scan_config_selectorIyEEZZNS1_9scan_implILNS1_25lookback_scan_determinismE0ELb1ELb1ES3_N6thrust23THRUST_200600_302600_NS6detail15normal_iteratorINS9_10device_ptrIyEEEESE_y11max_functorIyEyEEDaPvRmT3_T4_T5_mT6_P12ihipStream_tbENKUlT_T0_E_clISt17integral_constantIbLb1EESU_EEDaSP_SQ_EUlSP_E_NS1_11comp_targetILNS1_3genE8ELNS1_11target_archE1030ELNS1_3gpuE2ELNS1_3repE0EEENS1_30default_config_static_selectorELNS0_4arch9wavefront6targetE1EEEvT1_ ; -- Begin function _ZN7rocprim17ROCPRIM_400000_NS6detail17trampoline_kernelINS0_14default_configENS1_20scan_config_selectorIyEEZZNS1_9scan_implILNS1_25lookback_scan_determinismE0ELb1ELb1ES3_N6thrust23THRUST_200600_302600_NS6detail15normal_iteratorINS9_10device_ptrIyEEEESE_y11max_functorIyEyEEDaPvRmT3_T4_T5_mT6_P12ihipStream_tbENKUlT_T0_E_clISt17integral_constantIbLb1EESU_EEDaSP_SQ_EUlSP_E_NS1_11comp_targetILNS1_3genE8ELNS1_11target_archE1030ELNS1_3gpuE2ELNS1_3repE0EEENS1_30default_config_static_selectorELNS0_4arch9wavefront6targetE1EEEvT1_
	.globl	_ZN7rocprim17ROCPRIM_400000_NS6detail17trampoline_kernelINS0_14default_configENS1_20scan_config_selectorIyEEZZNS1_9scan_implILNS1_25lookback_scan_determinismE0ELb1ELb1ES3_N6thrust23THRUST_200600_302600_NS6detail15normal_iteratorINS9_10device_ptrIyEEEESE_y11max_functorIyEyEEDaPvRmT3_T4_T5_mT6_P12ihipStream_tbENKUlT_T0_E_clISt17integral_constantIbLb1EESU_EEDaSP_SQ_EUlSP_E_NS1_11comp_targetILNS1_3genE8ELNS1_11target_archE1030ELNS1_3gpuE2ELNS1_3repE0EEENS1_30default_config_static_selectorELNS0_4arch9wavefront6targetE1EEEvT1_
	.p2align	8
	.type	_ZN7rocprim17ROCPRIM_400000_NS6detail17trampoline_kernelINS0_14default_configENS1_20scan_config_selectorIyEEZZNS1_9scan_implILNS1_25lookback_scan_determinismE0ELb1ELb1ES3_N6thrust23THRUST_200600_302600_NS6detail15normal_iteratorINS9_10device_ptrIyEEEESE_y11max_functorIyEyEEDaPvRmT3_T4_T5_mT6_P12ihipStream_tbENKUlT_T0_E_clISt17integral_constantIbLb1EESU_EEDaSP_SQ_EUlSP_E_NS1_11comp_targetILNS1_3genE8ELNS1_11target_archE1030ELNS1_3gpuE2ELNS1_3repE0EEENS1_30default_config_static_selectorELNS0_4arch9wavefront6targetE1EEEvT1_,@function
_ZN7rocprim17ROCPRIM_400000_NS6detail17trampoline_kernelINS0_14default_configENS1_20scan_config_selectorIyEEZZNS1_9scan_implILNS1_25lookback_scan_determinismE0ELb1ELb1ES3_N6thrust23THRUST_200600_302600_NS6detail15normal_iteratorINS9_10device_ptrIyEEEESE_y11max_functorIyEyEEDaPvRmT3_T4_T5_mT6_P12ihipStream_tbENKUlT_T0_E_clISt17integral_constantIbLb1EESU_EEDaSP_SQ_EUlSP_E_NS1_11comp_targetILNS1_3genE8ELNS1_11target_archE1030ELNS1_3gpuE2ELNS1_3repE0EEENS1_30default_config_static_selectorELNS0_4arch9wavefront6targetE1EEEvT1_: ; @_ZN7rocprim17ROCPRIM_400000_NS6detail17trampoline_kernelINS0_14default_configENS1_20scan_config_selectorIyEEZZNS1_9scan_implILNS1_25lookback_scan_determinismE0ELb1ELb1ES3_N6thrust23THRUST_200600_302600_NS6detail15normal_iteratorINS9_10device_ptrIyEEEESE_y11max_functorIyEyEEDaPvRmT3_T4_T5_mT6_P12ihipStream_tbENKUlT_T0_E_clISt17integral_constantIbLb1EESU_EEDaSP_SQ_EUlSP_E_NS1_11comp_targetILNS1_3genE8ELNS1_11target_archE1030ELNS1_3gpuE2ELNS1_3repE0EEENS1_30default_config_static_selectorELNS0_4arch9wavefront6targetE1EEEvT1_
; %bb.0:
	.section	.rodata,"a",@progbits
	.p2align	6, 0x0
	.amdhsa_kernel _ZN7rocprim17ROCPRIM_400000_NS6detail17trampoline_kernelINS0_14default_configENS1_20scan_config_selectorIyEEZZNS1_9scan_implILNS1_25lookback_scan_determinismE0ELb1ELb1ES3_N6thrust23THRUST_200600_302600_NS6detail15normal_iteratorINS9_10device_ptrIyEEEESE_y11max_functorIyEyEEDaPvRmT3_T4_T5_mT6_P12ihipStream_tbENKUlT_T0_E_clISt17integral_constantIbLb1EESU_EEDaSP_SQ_EUlSP_E_NS1_11comp_targetILNS1_3genE8ELNS1_11target_archE1030ELNS1_3gpuE2ELNS1_3repE0EEENS1_30default_config_static_selectorELNS0_4arch9wavefront6targetE1EEEvT1_
		.amdhsa_group_segment_fixed_size 0
		.amdhsa_private_segment_fixed_size 0
		.amdhsa_kernarg_size 104
		.amdhsa_user_sgpr_count 6
		.amdhsa_user_sgpr_private_segment_buffer 1
		.amdhsa_user_sgpr_dispatch_ptr 0
		.amdhsa_user_sgpr_queue_ptr 0
		.amdhsa_user_sgpr_kernarg_segment_ptr 1
		.amdhsa_user_sgpr_dispatch_id 0
		.amdhsa_user_sgpr_flat_scratch_init 0
		.amdhsa_user_sgpr_kernarg_preload_length 0
		.amdhsa_user_sgpr_kernarg_preload_offset 0
		.amdhsa_user_sgpr_private_segment_size 0
		.amdhsa_uses_dynamic_stack 0
		.amdhsa_system_sgpr_private_segment_wavefront_offset 0
		.amdhsa_system_sgpr_workgroup_id_x 1
		.amdhsa_system_sgpr_workgroup_id_y 0
		.amdhsa_system_sgpr_workgroup_id_z 0
		.amdhsa_system_sgpr_workgroup_info 0
		.amdhsa_system_vgpr_workitem_id 0
		.amdhsa_next_free_vgpr 1
		.amdhsa_next_free_sgpr 0
		.amdhsa_accum_offset 4
		.amdhsa_reserve_vcc 0
		.amdhsa_reserve_flat_scratch 0
		.amdhsa_float_round_mode_32 0
		.amdhsa_float_round_mode_16_64 0
		.amdhsa_float_denorm_mode_32 3
		.amdhsa_float_denorm_mode_16_64 3
		.amdhsa_dx10_clamp 1
		.amdhsa_ieee_mode 1
		.amdhsa_fp16_overflow 0
		.amdhsa_tg_split 0
		.amdhsa_exception_fp_ieee_invalid_op 0
		.amdhsa_exception_fp_denorm_src 0
		.amdhsa_exception_fp_ieee_div_zero 0
		.amdhsa_exception_fp_ieee_overflow 0
		.amdhsa_exception_fp_ieee_underflow 0
		.amdhsa_exception_fp_ieee_inexact 0
		.amdhsa_exception_int_div_zero 0
	.end_amdhsa_kernel
	.section	.text._ZN7rocprim17ROCPRIM_400000_NS6detail17trampoline_kernelINS0_14default_configENS1_20scan_config_selectorIyEEZZNS1_9scan_implILNS1_25lookback_scan_determinismE0ELb1ELb1ES3_N6thrust23THRUST_200600_302600_NS6detail15normal_iteratorINS9_10device_ptrIyEEEESE_y11max_functorIyEyEEDaPvRmT3_T4_T5_mT6_P12ihipStream_tbENKUlT_T0_E_clISt17integral_constantIbLb1EESU_EEDaSP_SQ_EUlSP_E_NS1_11comp_targetILNS1_3genE8ELNS1_11target_archE1030ELNS1_3gpuE2ELNS1_3repE0EEENS1_30default_config_static_selectorELNS0_4arch9wavefront6targetE1EEEvT1_,"axG",@progbits,_ZN7rocprim17ROCPRIM_400000_NS6detail17trampoline_kernelINS0_14default_configENS1_20scan_config_selectorIyEEZZNS1_9scan_implILNS1_25lookback_scan_determinismE0ELb1ELb1ES3_N6thrust23THRUST_200600_302600_NS6detail15normal_iteratorINS9_10device_ptrIyEEEESE_y11max_functorIyEyEEDaPvRmT3_T4_T5_mT6_P12ihipStream_tbENKUlT_T0_E_clISt17integral_constantIbLb1EESU_EEDaSP_SQ_EUlSP_E_NS1_11comp_targetILNS1_3genE8ELNS1_11target_archE1030ELNS1_3gpuE2ELNS1_3repE0EEENS1_30default_config_static_selectorELNS0_4arch9wavefront6targetE1EEEvT1_,comdat
.Lfunc_end2198:
	.size	_ZN7rocprim17ROCPRIM_400000_NS6detail17trampoline_kernelINS0_14default_configENS1_20scan_config_selectorIyEEZZNS1_9scan_implILNS1_25lookback_scan_determinismE0ELb1ELb1ES3_N6thrust23THRUST_200600_302600_NS6detail15normal_iteratorINS9_10device_ptrIyEEEESE_y11max_functorIyEyEEDaPvRmT3_T4_T5_mT6_P12ihipStream_tbENKUlT_T0_E_clISt17integral_constantIbLb1EESU_EEDaSP_SQ_EUlSP_E_NS1_11comp_targetILNS1_3genE8ELNS1_11target_archE1030ELNS1_3gpuE2ELNS1_3repE0EEENS1_30default_config_static_selectorELNS0_4arch9wavefront6targetE1EEEvT1_, .Lfunc_end2198-_ZN7rocprim17ROCPRIM_400000_NS6detail17trampoline_kernelINS0_14default_configENS1_20scan_config_selectorIyEEZZNS1_9scan_implILNS1_25lookback_scan_determinismE0ELb1ELb1ES3_N6thrust23THRUST_200600_302600_NS6detail15normal_iteratorINS9_10device_ptrIyEEEESE_y11max_functorIyEyEEDaPvRmT3_T4_T5_mT6_P12ihipStream_tbENKUlT_T0_E_clISt17integral_constantIbLb1EESU_EEDaSP_SQ_EUlSP_E_NS1_11comp_targetILNS1_3genE8ELNS1_11target_archE1030ELNS1_3gpuE2ELNS1_3repE0EEENS1_30default_config_static_selectorELNS0_4arch9wavefront6targetE1EEEvT1_
                                        ; -- End function
	.section	.AMDGPU.csdata,"",@progbits
; Kernel info:
; codeLenInByte = 0
; NumSgprs: 4
; NumVgprs: 0
; NumAgprs: 0
; TotalNumVgprs: 0
; ScratchSize: 0
; MemoryBound: 0
; FloatMode: 240
; IeeeMode: 1
; LDSByteSize: 0 bytes/workgroup (compile time only)
; SGPRBlocks: 0
; VGPRBlocks: 0
; NumSGPRsForWavesPerEU: 4
; NumVGPRsForWavesPerEU: 1
; AccumOffset: 4
; Occupancy: 8
; WaveLimiterHint : 0
; COMPUTE_PGM_RSRC2:SCRATCH_EN: 0
; COMPUTE_PGM_RSRC2:USER_SGPR: 6
; COMPUTE_PGM_RSRC2:TRAP_HANDLER: 0
; COMPUTE_PGM_RSRC2:TGID_X_EN: 1
; COMPUTE_PGM_RSRC2:TGID_Y_EN: 0
; COMPUTE_PGM_RSRC2:TGID_Z_EN: 0
; COMPUTE_PGM_RSRC2:TIDIG_COMP_CNT: 0
; COMPUTE_PGM_RSRC3_GFX90A:ACCUM_OFFSET: 0
; COMPUTE_PGM_RSRC3_GFX90A:TG_SPLIT: 0
	.section	.text._ZN7rocprim17ROCPRIM_400000_NS6detail17trampoline_kernelINS0_14default_configENS1_20scan_config_selectorIyEEZZNS1_9scan_implILNS1_25lookback_scan_determinismE0ELb1ELb1ES3_N6thrust23THRUST_200600_302600_NS6detail15normal_iteratorINS9_10device_ptrIyEEEESE_y11max_functorIyEyEEDaPvRmT3_T4_T5_mT6_P12ihipStream_tbENKUlT_T0_E_clISt17integral_constantIbLb1EESU_EEDaSP_SQ_EUlSP_E0_NS1_11comp_targetILNS1_3genE0ELNS1_11target_archE4294967295ELNS1_3gpuE0ELNS1_3repE0EEENS1_30default_config_static_selectorELNS0_4arch9wavefront6targetE1EEEvT1_,"axG",@progbits,_ZN7rocprim17ROCPRIM_400000_NS6detail17trampoline_kernelINS0_14default_configENS1_20scan_config_selectorIyEEZZNS1_9scan_implILNS1_25lookback_scan_determinismE0ELb1ELb1ES3_N6thrust23THRUST_200600_302600_NS6detail15normal_iteratorINS9_10device_ptrIyEEEESE_y11max_functorIyEyEEDaPvRmT3_T4_T5_mT6_P12ihipStream_tbENKUlT_T0_E_clISt17integral_constantIbLb1EESU_EEDaSP_SQ_EUlSP_E0_NS1_11comp_targetILNS1_3genE0ELNS1_11target_archE4294967295ELNS1_3gpuE0ELNS1_3repE0EEENS1_30default_config_static_selectorELNS0_4arch9wavefront6targetE1EEEvT1_,comdat
	.protected	_ZN7rocprim17ROCPRIM_400000_NS6detail17trampoline_kernelINS0_14default_configENS1_20scan_config_selectorIyEEZZNS1_9scan_implILNS1_25lookback_scan_determinismE0ELb1ELb1ES3_N6thrust23THRUST_200600_302600_NS6detail15normal_iteratorINS9_10device_ptrIyEEEESE_y11max_functorIyEyEEDaPvRmT3_T4_T5_mT6_P12ihipStream_tbENKUlT_T0_E_clISt17integral_constantIbLb1EESU_EEDaSP_SQ_EUlSP_E0_NS1_11comp_targetILNS1_3genE0ELNS1_11target_archE4294967295ELNS1_3gpuE0ELNS1_3repE0EEENS1_30default_config_static_selectorELNS0_4arch9wavefront6targetE1EEEvT1_ ; -- Begin function _ZN7rocprim17ROCPRIM_400000_NS6detail17trampoline_kernelINS0_14default_configENS1_20scan_config_selectorIyEEZZNS1_9scan_implILNS1_25lookback_scan_determinismE0ELb1ELb1ES3_N6thrust23THRUST_200600_302600_NS6detail15normal_iteratorINS9_10device_ptrIyEEEESE_y11max_functorIyEyEEDaPvRmT3_T4_T5_mT6_P12ihipStream_tbENKUlT_T0_E_clISt17integral_constantIbLb1EESU_EEDaSP_SQ_EUlSP_E0_NS1_11comp_targetILNS1_3genE0ELNS1_11target_archE4294967295ELNS1_3gpuE0ELNS1_3repE0EEENS1_30default_config_static_selectorELNS0_4arch9wavefront6targetE1EEEvT1_
	.globl	_ZN7rocprim17ROCPRIM_400000_NS6detail17trampoline_kernelINS0_14default_configENS1_20scan_config_selectorIyEEZZNS1_9scan_implILNS1_25lookback_scan_determinismE0ELb1ELb1ES3_N6thrust23THRUST_200600_302600_NS6detail15normal_iteratorINS9_10device_ptrIyEEEESE_y11max_functorIyEyEEDaPvRmT3_T4_T5_mT6_P12ihipStream_tbENKUlT_T0_E_clISt17integral_constantIbLb1EESU_EEDaSP_SQ_EUlSP_E0_NS1_11comp_targetILNS1_3genE0ELNS1_11target_archE4294967295ELNS1_3gpuE0ELNS1_3repE0EEENS1_30default_config_static_selectorELNS0_4arch9wavefront6targetE1EEEvT1_
	.p2align	8
	.type	_ZN7rocprim17ROCPRIM_400000_NS6detail17trampoline_kernelINS0_14default_configENS1_20scan_config_selectorIyEEZZNS1_9scan_implILNS1_25lookback_scan_determinismE0ELb1ELb1ES3_N6thrust23THRUST_200600_302600_NS6detail15normal_iteratorINS9_10device_ptrIyEEEESE_y11max_functorIyEyEEDaPvRmT3_T4_T5_mT6_P12ihipStream_tbENKUlT_T0_E_clISt17integral_constantIbLb1EESU_EEDaSP_SQ_EUlSP_E0_NS1_11comp_targetILNS1_3genE0ELNS1_11target_archE4294967295ELNS1_3gpuE0ELNS1_3repE0EEENS1_30default_config_static_selectorELNS0_4arch9wavefront6targetE1EEEvT1_,@function
_ZN7rocprim17ROCPRIM_400000_NS6detail17trampoline_kernelINS0_14default_configENS1_20scan_config_selectorIyEEZZNS1_9scan_implILNS1_25lookback_scan_determinismE0ELb1ELb1ES3_N6thrust23THRUST_200600_302600_NS6detail15normal_iteratorINS9_10device_ptrIyEEEESE_y11max_functorIyEyEEDaPvRmT3_T4_T5_mT6_P12ihipStream_tbENKUlT_T0_E_clISt17integral_constantIbLb1EESU_EEDaSP_SQ_EUlSP_E0_NS1_11comp_targetILNS1_3genE0ELNS1_11target_archE4294967295ELNS1_3gpuE0ELNS1_3repE0EEENS1_30default_config_static_selectorELNS0_4arch9wavefront6targetE1EEEvT1_: ; @_ZN7rocprim17ROCPRIM_400000_NS6detail17trampoline_kernelINS0_14default_configENS1_20scan_config_selectorIyEEZZNS1_9scan_implILNS1_25lookback_scan_determinismE0ELb1ELb1ES3_N6thrust23THRUST_200600_302600_NS6detail15normal_iteratorINS9_10device_ptrIyEEEESE_y11max_functorIyEyEEDaPvRmT3_T4_T5_mT6_P12ihipStream_tbENKUlT_T0_E_clISt17integral_constantIbLb1EESU_EEDaSP_SQ_EUlSP_E0_NS1_11comp_targetILNS1_3genE0ELNS1_11target_archE4294967295ELNS1_3gpuE0ELNS1_3repE0EEENS1_30default_config_static_selectorELNS0_4arch9wavefront6targetE1EEEvT1_
; %bb.0:
	.section	.rodata,"a",@progbits
	.p2align	6, 0x0
	.amdhsa_kernel _ZN7rocprim17ROCPRIM_400000_NS6detail17trampoline_kernelINS0_14default_configENS1_20scan_config_selectorIyEEZZNS1_9scan_implILNS1_25lookback_scan_determinismE0ELb1ELb1ES3_N6thrust23THRUST_200600_302600_NS6detail15normal_iteratorINS9_10device_ptrIyEEEESE_y11max_functorIyEyEEDaPvRmT3_T4_T5_mT6_P12ihipStream_tbENKUlT_T0_E_clISt17integral_constantIbLb1EESU_EEDaSP_SQ_EUlSP_E0_NS1_11comp_targetILNS1_3genE0ELNS1_11target_archE4294967295ELNS1_3gpuE0ELNS1_3repE0EEENS1_30default_config_static_selectorELNS0_4arch9wavefront6targetE1EEEvT1_
		.amdhsa_group_segment_fixed_size 0
		.amdhsa_private_segment_fixed_size 0
		.amdhsa_kernarg_size 40
		.amdhsa_user_sgpr_count 6
		.amdhsa_user_sgpr_private_segment_buffer 1
		.amdhsa_user_sgpr_dispatch_ptr 0
		.amdhsa_user_sgpr_queue_ptr 0
		.amdhsa_user_sgpr_kernarg_segment_ptr 1
		.amdhsa_user_sgpr_dispatch_id 0
		.amdhsa_user_sgpr_flat_scratch_init 0
		.amdhsa_user_sgpr_kernarg_preload_length 0
		.amdhsa_user_sgpr_kernarg_preload_offset 0
		.amdhsa_user_sgpr_private_segment_size 0
		.amdhsa_uses_dynamic_stack 0
		.amdhsa_system_sgpr_private_segment_wavefront_offset 0
		.amdhsa_system_sgpr_workgroup_id_x 1
		.amdhsa_system_sgpr_workgroup_id_y 0
		.amdhsa_system_sgpr_workgroup_id_z 0
		.amdhsa_system_sgpr_workgroup_info 0
		.amdhsa_system_vgpr_workitem_id 0
		.amdhsa_next_free_vgpr 1
		.amdhsa_next_free_sgpr 0
		.amdhsa_accum_offset 4
		.amdhsa_reserve_vcc 0
		.amdhsa_reserve_flat_scratch 0
		.amdhsa_float_round_mode_32 0
		.amdhsa_float_round_mode_16_64 0
		.amdhsa_float_denorm_mode_32 3
		.amdhsa_float_denorm_mode_16_64 3
		.amdhsa_dx10_clamp 1
		.amdhsa_ieee_mode 1
		.amdhsa_fp16_overflow 0
		.amdhsa_tg_split 0
		.amdhsa_exception_fp_ieee_invalid_op 0
		.amdhsa_exception_fp_denorm_src 0
		.amdhsa_exception_fp_ieee_div_zero 0
		.amdhsa_exception_fp_ieee_overflow 0
		.amdhsa_exception_fp_ieee_underflow 0
		.amdhsa_exception_fp_ieee_inexact 0
		.amdhsa_exception_int_div_zero 0
	.end_amdhsa_kernel
	.section	.text._ZN7rocprim17ROCPRIM_400000_NS6detail17trampoline_kernelINS0_14default_configENS1_20scan_config_selectorIyEEZZNS1_9scan_implILNS1_25lookback_scan_determinismE0ELb1ELb1ES3_N6thrust23THRUST_200600_302600_NS6detail15normal_iteratorINS9_10device_ptrIyEEEESE_y11max_functorIyEyEEDaPvRmT3_T4_T5_mT6_P12ihipStream_tbENKUlT_T0_E_clISt17integral_constantIbLb1EESU_EEDaSP_SQ_EUlSP_E0_NS1_11comp_targetILNS1_3genE0ELNS1_11target_archE4294967295ELNS1_3gpuE0ELNS1_3repE0EEENS1_30default_config_static_selectorELNS0_4arch9wavefront6targetE1EEEvT1_,"axG",@progbits,_ZN7rocprim17ROCPRIM_400000_NS6detail17trampoline_kernelINS0_14default_configENS1_20scan_config_selectorIyEEZZNS1_9scan_implILNS1_25lookback_scan_determinismE0ELb1ELb1ES3_N6thrust23THRUST_200600_302600_NS6detail15normal_iteratorINS9_10device_ptrIyEEEESE_y11max_functorIyEyEEDaPvRmT3_T4_T5_mT6_P12ihipStream_tbENKUlT_T0_E_clISt17integral_constantIbLb1EESU_EEDaSP_SQ_EUlSP_E0_NS1_11comp_targetILNS1_3genE0ELNS1_11target_archE4294967295ELNS1_3gpuE0ELNS1_3repE0EEENS1_30default_config_static_selectorELNS0_4arch9wavefront6targetE1EEEvT1_,comdat
.Lfunc_end2199:
	.size	_ZN7rocprim17ROCPRIM_400000_NS6detail17trampoline_kernelINS0_14default_configENS1_20scan_config_selectorIyEEZZNS1_9scan_implILNS1_25lookback_scan_determinismE0ELb1ELb1ES3_N6thrust23THRUST_200600_302600_NS6detail15normal_iteratorINS9_10device_ptrIyEEEESE_y11max_functorIyEyEEDaPvRmT3_T4_T5_mT6_P12ihipStream_tbENKUlT_T0_E_clISt17integral_constantIbLb1EESU_EEDaSP_SQ_EUlSP_E0_NS1_11comp_targetILNS1_3genE0ELNS1_11target_archE4294967295ELNS1_3gpuE0ELNS1_3repE0EEENS1_30default_config_static_selectorELNS0_4arch9wavefront6targetE1EEEvT1_, .Lfunc_end2199-_ZN7rocprim17ROCPRIM_400000_NS6detail17trampoline_kernelINS0_14default_configENS1_20scan_config_selectorIyEEZZNS1_9scan_implILNS1_25lookback_scan_determinismE0ELb1ELb1ES3_N6thrust23THRUST_200600_302600_NS6detail15normal_iteratorINS9_10device_ptrIyEEEESE_y11max_functorIyEyEEDaPvRmT3_T4_T5_mT6_P12ihipStream_tbENKUlT_T0_E_clISt17integral_constantIbLb1EESU_EEDaSP_SQ_EUlSP_E0_NS1_11comp_targetILNS1_3genE0ELNS1_11target_archE4294967295ELNS1_3gpuE0ELNS1_3repE0EEENS1_30default_config_static_selectorELNS0_4arch9wavefront6targetE1EEEvT1_
                                        ; -- End function
	.section	.AMDGPU.csdata,"",@progbits
; Kernel info:
; codeLenInByte = 0
; NumSgprs: 4
; NumVgprs: 0
; NumAgprs: 0
; TotalNumVgprs: 0
; ScratchSize: 0
; MemoryBound: 0
; FloatMode: 240
; IeeeMode: 1
; LDSByteSize: 0 bytes/workgroup (compile time only)
; SGPRBlocks: 0
; VGPRBlocks: 0
; NumSGPRsForWavesPerEU: 4
; NumVGPRsForWavesPerEU: 1
; AccumOffset: 4
; Occupancy: 8
; WaveLimiterHint : 0
; COMPUTE_PGM_RSRC2:SCRATCH_EN: 0
; COMPUTE_PGM_RSRC2:USER_SGPR: 6
; COMPUTE_PGM_RSRC2:TRAP_HANDLER: 0
; COMPUTE_PGM_RSRC2:TGID_X_EN: 1
; COMPUTE_PGM_RSRC2:TGID_Y_EN: 0
; COMPUTE_PGM_RSRC2:TGID_Z_EN: 0
; COMPUTE_PGM_RSRC2:TIDIG_COMP_CNT: 0
; COMPUTE_PGM_RSRC3_GFX90A:ACCUM_OFFSET: 0
; COMPUTE_PGM_RSRC3_GFX90A:TG_SPLIT: 0
	.section	.text._ZN7rocprim17ROCPRIM_400000_NS6detail17trampoline_kernelINS0_14default_configENS1_20scan_config_selectorIyEEZZNS1_9scan_implILNS1_25lookback_scan_determinismE0ELb1ELb1ES3_N6thrust23THRUST_200600_302600_NS6detail15normal_iteratorINS9_10device_ptrIyEEEESE_y11max_functorIyEyEEDaPvRmT3_T4_T5_mT6_P12ihipStream_tbENKUlT_T0_E_clISt17integral_constantIbLb1EESU_EEDaSP_SQ_EUlSP_E0_NS1_11comp_targetILNS1_3genE5ELNS1_11target_archE942ELNS1_3gpuE9ELNS1_3repE0EEENS1_30default_config_static_selectorELNS0_4arch9wavefront6targetE1EEEvT1_,"axG",@progbits,_ZN7rocprim17ROCPRIM_400000_NS6detail17trampoline_kernelINS0_14default_configENS1_20scan_config_selectorIyEEZZNS1_9scan_implILNS1_25lookback_scan_determinismE0ELb1ELb1ES3_N6thrust23THRUST_200600_302600_NS6detail15normal_iteratorINS9_10device_ptrIyEEEESE_y11max_functorIyEyEEDaPvRmT3_T4_T5_mT6_P12ihipStream_tbENKUlT_T0_E_clISt17integral_constantIbLb1EESU_EEDaSP_SQ_EUlSP_E0_NS1_11comp_targetILNS1_3genE5ELNS1_11target_archE942ELNS1_3gpuE9ELNS1_3repE0EEENS1_30default_config_static_selectorELNS0_4arch9wavefront6targetE1EEEvT1_,comdat
	.protected	_ZN7rocprim17ROCPRIM_400000_NS6detail17trampoline_kernelINS0_14default_configENS1_20scan_config_selectorIyEEZZNS1_9scan_implILNS1_25lookback_scan_determinismE0ELb1ELb1ES3_N6thrust23THRUST_200600_302600_NS6detail15normal_iteratorINS9_10device_ptrIyEEEESE_y11max_functorIyEyEEDaPvRmT3_T4_T5_mT6_P12ihipStream_tbENKUlT_T0_E_clISt17integral_constantIbLb1EESU_EEDaSP_SQ_EUlSP_E0_NS1_11comp_targetILNS1_3genE5ELNS1_11target_archE942ELNS1_3gpuE9ELNS1_3repE0EEENS1_30default_config_static_selectorELNS0_4arch9wavefront6targetE1EEEvT1_ ; -- Begin function _ZN7rocprim17ROCPRIM_400000_NS6detail17trampoline_kernelINS0_14default_configENS1_20scan_config_selectorIyEEZZNS1_9scan_implILNS1_25lookback_scan_determinismE0ELb1ELb1ES3_N6thrust23THRUST_200600_302600_NS6detail15normal_iteratorINS9_10device_ptrIyEEEESE_y11max_functorIyEyEEDaPvRmT3_T4_T5_mT6_P12ihipStream_tbENKUlT_T0_E_clISt17integral_constantIbLb1EESU_EEDaSP_SQ_EUlSP_E0_NS1_11comp_targetILNS1_3genE5ELNS1_11target_archE942ELNS1_3gpuE9ELNS1_3repE0EEENS1_30default_config_static_selectorELNS0_4arch9wavefront6targetE1EEEvT1_
	.globl	_ZN7rocprim17ROCPRIM_400000_NS6detail17trampoline_kernelINS0_14default_configENS1_20scan_config_selectorIyEEZZNS1_9scan_implILNS1_25lookback_scan_determinismE0ELb1ELb1ES3_N6thrust23THRUST_200600_302600_NS6detail15normal_iteratorINS9_10device_ptrIyEEEESE_y11max_functorIyEyEEDaPvRmT3_T4_T5_mT6_P12ihipStream_tbENKUlT_T0_E_clISt17integral_constantIbLb1EESU_EEDaSP_SQ_EUlSP_E0_NS1_11comp_targetILNS1_3genE5ELNS1_11target_archE942ELNS1_3gpuE9ELNS1_3repE0EEENS1_30default_config_static_selectorELNS0_4arch9wavefront6targetE1EEEvT1_
	.p2align	8
	.type	_ZN7rocprim17ROCPRIM_400000_NS6detail17trampoline_kernelINS0_14default_configENS1_20scan_config_selectorIyEEZZNS1_9scan_implILNS1_25lookback_scan_determinismE0ELb1ELb1ES3_N6thrust23THRUST_200600_302600_NS6detail15normal_iteratorINS9_10device_ptrIyEEEESE_y11max_functorIyEyEEDaPvRmT3_T4_T5_mT6_P12ihipStream_tbENKUlT_T0_E_clISt17integral_constantIbLb1EESU_EEDaSP_SQ_EUlSP_E0_NS1_11comp_targetILNS1_3genE5ELNS1_11target_archE942ELNS1_3gpuE9ELNS1_3repE0EEENS1_30default_config_static_selectorELNS0_4arch9wavefront6targetE1EEEvT1_,@function
_ZN7rocprim17ROCPRIM_400000_NS6detail17trampoline_kernelINS0_14default_configENS1_20scan_config_selectorIyEEZZNS1_9scan_implILNS1_25lookback_scan_determinismE0ELb1ELb1ES3_N6thrust23THRUST_200600_302600_NS6detail15normal_iteratorINS9_10device_ptrIyEEEESE_y11max_functorIyEyEEDaPvRmT3_T4_T5_mT6_P12ihipStream_tbENKUlT_T0_E_clISt17integral_constantIbLb1EESU_EEDaSP_SQ_EUlSP_E0_NS1_11comp_targetILNS1_3genE5ELNS1_11target_archE942ELNS1_3gpuE9ELNS1_3repE0EEENS1_30default_config_static_selectorELNS0_4arch9wavefront6targetE1EEEvT1_: ; @_ZN7rocprim17ROCPRIM_400000_NS6detail17trampoline_kernelINS0_14default_configENS1_20scan_config_selectorIyEEZZNS1_9scan_implILNS1_25lookback_scan_determinismE0ELb1ELb1ES3_N6thrust23THRUST_200600_302600_NS6detail15normal_iteratorINS9_10device_ptrIyEEEESE_y11max_functorIyEyEEDaPvRmT3_T4_T5_mT6_P12ihipStream_tbENKUlT_T0_E_clISt17integral_constantIbLb1EESU_EEDaSP_SQ_EUlSP_E0_NS1_11comp_targetILNS1_3genE5ELNS1_11target_archE942ELNS1_3gpuE9ELNS1_3repE0EEENS1_30default_config_static_selectorELNS0_4arch9wavefront6targetE1EEEvT1_
; %bb.0:
	.section	.rodata,"a",@progbits
	.p2align	6, 0x0
	.amdhsa_kernel _ZN7rocprim17ROCPRIM_400000_NS6detail17trampoline_kernelINS0_14default_configENS1_20scan_config_selectorIyEEZZNS1_9scan_implILNS1_25lookback_scan_determinismE0ELb1ELb1ES3_N6thrust23THRUST_200600_302600_NS6detail15normal_iteratorINS9_10device_ptrIyEEEESE_y11max_functorIyEyEEDaPvRmT3_T4_T5_mT6_P12ihipStream_tbENKUlT_T0_E_clISt17integral_constantIbLb1EESU_EEDaSP_SQ_EUlSP_E0_NS1_11comp_targetILNS1_3genE5ELNS1_11target_archE942ELNS1_3gpuE9ELNS1_3repE0EEENS1_30default_config_static_selectorELNS0_4arch9wavefront6targetE1EEEvT1_
		.amdhsa_group_segment_fixed_size 0
		.amdhsa_private_segment_fixed_size 0
		.amdhsa_kernarg_size 40
		.amdhsa_user_sgpr_count 6
		.amdhsa_user_sgpr_private_segment_buffer 1
		.amdhsa_user_sgpr_dispatch_ptr 0
		.amdhsa_user_sgpr_queue_ptr 0
		.amdhsa_user_sgpr_kernarg_segment_ptr 1
		.amdhsa_user_sgpr_dispatch_id 0
		.amdhsa_user_sgpr_flat_scratch_init 0
		.amdhsa_user_sgpr_kernarg_preload_length 0
		.amdhsa_user_sgpr_kernarg_preload_offset 0
		.amdhsa_user_sgpr_private_segment_size 0
		.amdhsa_uses_dynamic_stack 0
		.amdhsa_system_sgpr_private_segment_wavefront_offset 0
		.amdhsa_system_sgpr_workgroup_id_x 1
		.amdhsa_system_sgpr_workgroup_id_y 0
		.amdhsa_system_sgpr_workgroup_id_z 0
		.amdhsa_system_sgpr_workgroup_info 0
		.amdhsa_system_vgpr_workitem_id 0
		.amdhsa_next_free_vgpr 1
		.amdhsa_next_free_sgpr 0
		.amdhsa_accum_offset 4
		.amdhsa_reserve_vcc 0
		.amdhsa_reserve_flat_scratch 0
		.amdhsa_float_round_mode_32 0
		.amdhsa_float_round_mode_16_64 0
		.amdhsa_float_denorm_mode_32 3
		.amdhsa_float_denorm_mode_16_64 3
		.amdhsa_dx10_clamp 1
		.amdhsa_ieee_mode 1
		.amdhsa_fp16_overflow 0
		.amdhsa_tg_split 0
		.amdhsa_exception_fp_ieee_invalid_op 0
		.amdhsa_exception_fp_denorm_src 0
		.amdhsa_exception_fp_ieee_div_zero 0
		.amdhsa_exception_fp_ieee_overflow 0
		.amdhsa_exception_fp_ieee_underflow 0
		.amdhsa_exception_fp_ieee_inexact 0
		.amdhsa_exception_int_div_zero 0
	.end_amdhsa_kernel
	.section	.text._ZN7rocprim17ROCPRIM_400000_NS6detail17trampoline_kernelINS0_14default_configENS1_20scan_config_selectorIyEEZZNS1_9scan_implILNS1_25lookback_scan_determinismE0ELb1ELb1ES3_N6thrust23THRUST_200600_302600_NS6detail15normal_iteratorINS9_10device_ptrIyEEEESE_y11max_functorIyEyEEDaPvRmT3_T4_T5_mT6_P12ihipStream_tbENKUlT_T0_E_clISt17integral_constantIbLb1EESU_EEDaSP_SQ_EUlSP_E0_NS1_11comp_targetILNS1_3genE5ELNS1_11target_archE942ELNS1_3gpuE9ELNS1_3repE0EEENS1_30default_config_static_selectorELNS0_4arch9wavefront6targetE1EEEvT1_,"axG",@progbits,_ZN7rocprim17ROCPRIM_400000_NS6detail17trampoline_kernelINS0_14default_configENS1_20scan_config_selectorIyEEZZNS1_9scan_implILNS1_25lookback_scan_determinismE0ELb1ELb1ES3_N6thrust23THRUST_200600_302600_NS6detail15normal_iteratorINS9_10device_ptrIyEEEESE_y11max_functorIyEyEEDaPvRmT3_T4_T5_mT6_P12ihipStream_tbENKUlT_T0_E_clISt17integral_constantIbLb1EESU_EEDaSP_SQ_EUlSP_E0_NS1_11comp_targetILNS1_3genE5ELNS1_11target_archE942ELNS1_3gpuE9ELNS1_3repE0EEENS1_30default_config_static_selectorELNS0_4arch9wavefront6targetE1EEEvT1_,comdat
.Lfunc_end2200:
	.size	_ZN7rocprim17ROCPRIM_400000_NS6detail17trampoline_kernelINS0_14default_configENS1_20scan_config_selectorIyEEZZNS1_9scan_implILNS1_25lookback_scan_determinismE0ELb1ELb1ES3_N6thrust23THRUST_200600_302600_NS6detail15normal_iteratorINS9_10device_ptrIyEEEESE_y11max_functorIyEyEEDaPvRmT3_T4_T5_mT6_P12ihipStream_tbENKUlT_T0_E_clISt17integral_constantIbLb1EESU_EEDaSP_SQ_EUlSP_E0_NS1_11comp_targetILNS1_3genE5ELNS1_11target_archE942ELNS1_3gpuE9ELNS1_3repE0EEENS1_30default_config_static_selectorELNS0_4arch9wavefront6targetE1EEEvT1_, .Lfunc_end2200-_ZN7rocprim17ROCPRIM_400000_NS6detail17trampoline_kernelINS0_14default_configENS1_20scan_config_selectorIyEEZZNS1_9scan_implILNS1_25lookback_scan_determinismE0ELb1ELb1ES3_N6thrust23THRUST_200600_302600_NS6detail15normal_iteratorINS9_10device_ptrIyEEEESE_y11max_functorIyEyEEDaPvRmT3_T4_T5_mT6_P12ihipStream_tbENKUlT_T0_E_clISt17integral_constantIbLb1EESU_EEDaSP_SQ_EUlSP_E0_NS1_11comp_targetILNS1_3genE5ELNS1_11target_archE942ELNS1_3gpuE9ELNS1_3repE0EEENS1_30default_config_static_selectorELNS0_4arch9wavefront6targetE1EEEvT1_
                                        ; -- End function
	.section	.AMDGPU.csdata,"",@progbits
; Kernel info:
; codeLenInByte = 0
; NumSgprs: 4
; NumVgprs: 0
; NumAgprs: 0
; TotalNumVgprs: 0
; ScratchSize: 0
; MemoryBound: 0
; FloatMode: 240
; IeeeMode: 1
; LDSByteSize: 0 bytes/workgroup (compile time only)
; SGPRBlocks: 0
; VGPRBlocks: 0
; NumSGPRsForWavesPerEU: 4
; NumVGPRsForWavesPerEU: 1
; AccumOffset: 4
; Occupancy: 8
; WaveLimiterHint : 0
; COMPUTE_PGM_RSRC2:SCRATCH_EN: 0
; COMPUTE_PGM_RSRC2:USER_SGPR: 6
; COMPUTE_PGM_RSRC2:TRAP_HANDLER: 0
; COMPUTE_PGM_RSRC2:TGID_X_EN: 1
; COMPUTE_PGM_RSRC2:TGID_Y_EN: 0
; COMPUTE_PGM_RSRC2:TGID_Z_EN: 0
; COMPUTE_PGM_RSRC2:TIDIG_COMP_CNT: 0
; COMPUTE_PGM_RSRC3_GFX90A:ACCUM_OFFSET: 0
; COMPUTE_PGM_RSRC3_GFX90A:TG_SPLIT: 0
	.section	.text._ZN7rocprim17ROCPRIM_400000_NS6detail17trampoline_kernelINS0_14default_configENS1_20scan_config_selectorIyEEZZNS1_9scan_implILNS1_25lookback_scan_determinismE0ELb1ELb1ES3_N6thrust23THRUST_200600_302600_NS6detail15normal_iteratorINS9_10device_ptrIyEEEESE_y11max_functorIyEyEEDaPvRmT3_T4_T5_mT6_P12ihipStream_tbENKUlT_T0_E_clISt17integral_constantIbLb1EESU_EEDaSP_SQ_EUlSP_E0_NS1_11comp_targetILNS1_3genE4ELNS1_11target_archE910ELNS1_3gpuE8ELNS1_3repE0EEENS1_30default_config_static_selectorELNS0_4arch9wavefront6targetE1EEEvT1_,"axG",@progbits,_ZN7rocprim17ROCPRIM_400000_NS6detail17trampoline_kernelINS0_14default_configENS1_20scan_config_selectorIyEEZZNS1_9scan_implILNS1_25lookback_scan_determinismE0ELb1ELb1ES3_N6thrust23THRUST_200600_302600_NS6detail15normal_iteratorINS9_10device_ptrIyEEEESE_y11max_functorIyEyEEDaPvRmT3_T4_T5_mT6_P12ihipStream_tbENKUlT_T0_E_clISt17integral_constantIbLb1EESU_EEDaSP_SQ_EUlSP_E0_NS1_11comp_targetILNS1_3genE4ELNS1_11target_archE910ELNS1_3gpuE8ELNS1_3repE0EEENS1_30default_config_static_selectorELNS0_4arch9wavefront6targetE1EEEvT1_,comdat
	.protected	_ZN7rocprim17ROCPRIM_400000_NS6detail17trampoline_kernelINS0_14default_configENS1_20scan_config_selectorIyEEZZNS1_9scan_implILNS1_25lookback_scan_determinismE0ELb1ELb1ES3_N6thrust23THRUST_200600_302600_NS6detail15normal_iteratorINS9_10device_ptrIyEEEESE_y11max_functorIyEyEEDaPvRmT3_T4_T5_mT6_P12ihipStream_tbENKUlT_T0_E_clISt17integral_constantIbLb1EESU_EEDaSP_SQ_EUlSP_E0_NS1_11comp_targetILNS1_3genE4ELNS1_11target_archE910ELNS1_3gpuE8ELNS1_3repE0EEENS1_30default_config_static_selectorELNS0_4arch9wavefront6targetE1EEEvT1_ ; -- Begin function _ZN7rocprim17ROCPRIM_400000_NS6detail17trampoline_kernelINS0_14default_configENS1_20scan_config_selectorIyEEZZNS1_9scan_implILNS1_25lookback_scan_determinismE0ELb1ELb1ES3_N6thrust23THRUST_200600_302600_NS6detail15normal_iteratorINS9_10device_ptrIyEEEESE_y11max_functorIyEyEEDaPvRmT3_T4_T5_mT6_P12ihipStream_tbENKUlT_T0_E_clISt17integral_constantIbLb1EESU_EEDaSP_SQ_EUlSP_E0_NS1_11comp_targetILNS1_3genE4ELNS1_11target_archE910ELNS1_3gpuE8ELNS1_3repE0EEENS1_30default_config_static_selectorELNS0_4arch9wavefront6targetE1EEEvT1_
	.globl	_ZN7rocprim17ROCPRIM_400000_NS6detail17trampoline_kernelINS0_14default_configENS1_20scan_config_selectorIyEEZZNS1_9scan_implILNS1_25lookback_scan_determinismE0ELb1ELb1ES3_N6thrust23THRUST_200600_302600_NS6detail15normal_iteratorINS9_10device_ptrIyEEEESE_y11max_functorIyEyEEDaPvRmT3_T4_T5_mT6_P12ihipStream_tbENKUlT_T0_E_clISt17integral_constantIbLb1EESU_EEDaSP_SQ_EUlSP_E0_NS1_11comp_targetILNS1_3genE4ELNS1_11target_archE910ELNS1_3gpuE8ELNS1_3repE0EEENS1_30default_config_static_selectorELNS0_4arch9wavefront6targetE1EEEvT1_
	.p2align	8
	.type	_ZN7rocprim17ROCPRIM_400000_NS6detail17trampoline_kernelINS0_14default_configENS1_20scan_config_selectorIyEEZZNS1_9scan_implILNS1_25lookback_scan_determinismE0ELb1ELb1ES3_N6thrust23THRUST_200600_302600_NS6detail15normal_iteratorINS9_10device_ptrIyEEEESE_y11max_functorIyEyEEDaPvRmT3_T4_T5_mT6_P12ihipStream_tbENKUlT_T0_E_clISt17integral_constantIbLb1EESU_EEDaSP_SQ_EUlSP_E0_NS1_11comp_targetILNS1_3genE4ELNS1_11target_archE910ELNS1_3gpuE8ELNS1_3repE0EEENS1_30default_config_static_selectorELNS0_4arch9wavefront6targetE1EEEvT1_,@function
_ZN7rocprim17ROCPRIM_400000_NS6detail17trampoline_kernelINS0_14default_configENS1_20scan_config_selectorIyEEZZNS1_9scan_implILNS1_25lookback_scan_determinismE0ELb1ELb1ES3_N6thrust23THRUST_200600_302600_NS6detail15normal_iteratorINS9_10device_ptrIyEEEESE_y11max_functorIyEyEEDaPvRmT3_T4_T5_mT6_P12ihipStream_tbENKUlT_T0_E_clISt17integral_constantIbLb1EESU_EEDaSP_SQ_EUlSP_E0_NS1_11comp_targetILNS1_3genE4ELNS1_11target_archE910ELNS1_3gpuE8ELNS1_3repE0EEENS1_30default_config_static_selectorELNS0_4arch9wavefront6targetE1EEEvT1_: ; @_ZN7rocprim17ROCPRIM_400000_NS6detail17trampoline_kernelINS0_14default_configENS1_20scan_config_selectorIyEEZZNS1_9scan_implILNS1_25lookback_scan_determinismE0ELb1ELb1ES3_N6thrust23THRUST_200600_302600_NS6detail15normal_iteratorINS9_10device_ptrIyEEEESE_y11max_functorIyEyEEDaPvRmT3_T4_T5_mT6_P12ihipStream_tbENKUlT_T0_E_clISt17integral_constantIbLb1EESU_EEDaSP_SQ_EUlSP_E0_NS1_11comp_targetILNS1_3genE4ELNS1_11target_archE910ELNS1_3gpuE8ELNS1_3repE0EEENS1_30default_config_static_selectorELNS0_4arch9wavefront6targetE1EEEvT1_
; %bb.0:
	s_load_dwordx4 s[16:19], s[4:5], 0x0
	v_lshlrev_b32_e32 v24, 3, v0
	s_waitcnt lgkmcnt(0)
	s_load_dwordx2 s[14:15], s[16:17], 0x0
	v_cmp_gt_u32_e32 vcc, s18, v0
	s_waitcnt lgkmcnt(0)
	v_pk_mov_b32 v[2:3], s[14:15], s[14:15] op_sel:[0,1]
	s_and_saveexec_b64 s[0:1], vcc
	s_cbranch_execz .LBB2201_2
; %bb.1:
	global_load_dwordx2 v[2:3], v24, s[16:17]
.LBB2201_2:
	s_or_b64 exec, exec, s[0:1]
	v_or_b32_e32 v1, 0x80, v0
	v_cmp_gt_u32_e64 s[0:1], s18, v1
	v_pk_mov_b32 v[4:5], s[14:15], s[14:15] op_sel:[0,1]
	s_and_saveexec_b64 s[2:3], s[0:1]
	s_cbranch_execz .LBB2201_4
; %bb.3:
	global_load_dwordx2 v[4:5], v24, s[16:17] offset:1024
.LBB2201_4:
	s_or_b64 exec, exec, s[2:3]
	v_or_b32_e32 v1, 0x100, v0
	v_cmp_gt_u32_e64 s[2:3], s18, v1
	v_pk_mov_b32 v[6:7], s[14:15], s[14:15] op_sel:[0,1]
	s_and_saveexec_b64 s[6:7], s[2:3]
	s_cbranch_execz .LBB2201_6
; %bb.5:
	global_load_dwordx2 v[6:7], v24, s[16:17] offset:2048
.LBB2201_6:
	;; [unrolled: 9-line block ×3, first 2 shown]
	s_or_b64 exec, exec, s[6:7]
	v_or_b32_e32 v1, 0x200, v0
	v_cmp_gt_u32_e64 s[6:7], s18, v1
	v_pk_mov_b32 v[10:11], s[14:15], s[14:15] op_sel:[0,1]
	s_and_saveexec_b64 s[8:9], s[6:7]
	s_cbranch_execz .LBB2201_10
; %bb.9:
	v_lshlrev_b32_e32 v1, 3, v1
	global_load_dwordx2 v[10:11], v1, s[16:17]
.LBB2201_10:
	s_or_b64 exec, exec, s[8:9]
	v_or_b32_e32 v1, 0x280, v0
	v_cmp_gt_u32_e64 s[8:9], s18, v1
	v_pk_mov_b32 v[12:13], s[14:15], s[14:15] op_sel:[0,1]
	s_and_saveexec_b64 s[10:11], s[8:9]
	s_cbranch_execz .LBB2201_12
; %bb.11:
	v_lshlrev_b32_e32 v1, 3, v1
	global_load_dwordx2 v[12:13], v1, s[16:17]
.LBB2201_12:
	s_or_b64 exec, exec, s[10:11]
	s_load_dwordx2 s[20:21], s[4:5], 0x10
	v_or_b32_e32 v1, 0x300, v0
	v_cmp_gt_u32_e64 s[10:11], s18, v1
	v_pk_mov_b32 v[14:15], s[14:15], s[14:15] op_sel:[0,1]
	s_and_saveexec_b64 s[14:15], s[10:11]
	s_cbranch_execz .LBB2201_14
; %bb.13:
	v_lshlrev_b32_e32 v1, 3, v1
	global_load_dwordx2 v[14:15], v1, s[16:17]
.LBB2201_14:
	s_or_b64 exec, exec, s[14:15]
	v_mad_u32_u24 v1, v0, 48, v24
	s_waitcnt vmcnt(0)
	ds_write2st64_b64 v24, v[2:3], v[4:5] offset1:2
	ds_write2st64_b64 v24, v[6:7], v[8:9] offset0:4 offset1:6
	ds_write2st64_b64 v24, v[10:11], v[12:13] offset0:8 offset1:10
	ds_write_b64 v24, v[14:15] offset:6144
	s_waitcnt lgkmcnt(0)
	s_barrier
	ds_read2_b64 v[10:13], v1 offset1:1
	ds_read2_b64 v[6:9], v1 offset0:2 offset1:3
	ds_read2_b64 v[2:5], v1 offset0:4 offset1:5
	ds_read_b64 v[14:15], v1 offset:48
	s_load_dwordx2 s[16:17], s[4:5], 0x20
	s_waitcnt lgkmcnt(0)
	v_cmp_gt_u64_e64 s[4:5], v[10:11], v[12:13]
	v_cndmask_b32_e64 v17, v13, v11, s[4:5]
	v_cndmask_b32_e64 v16, v12, v10, s[4:5]
	v_cmp_gt_u64_e64 s[4:5], v[16:17], v[6:7]
	v_cndmask_b32_e64 v17, v7, v17, s[4:5]
	v_cndmask_b32_e64 v16, v6, v16, s[4:5]
	;; [unrolled: 3-line block ×5, first 2 shown]
	v_cmp_gt_u64_e64 s[4:5], v[16:17], v[14:15]
	v_cndmask_b32_e64 v18, v14, v16, s[4:5]
	v_lshrrev_b32_e32 v14, 2, v0
	v_and_b32_e32 v14, 24, v14
	v_cndmask_b32_e64 v19, v15, v17, s[4:5]
	v_add_u32_e32 v14, v24, v14
	v_cmp_gt_u32_e64 s[4:5], 64, v0
	s_barrier
	ds_write_b64 v14, v[18:19]
	s_waitcnt lgkmcnt(0)
	s_barrier
	s_and_saveexec_b64 s[18:19], s[4:5]
	s_cbranch_execz .LBB2201_18
; %bb.15:
	v_lshlrev_b32_e32 v14, 1, v0
	v_lshrrev_b32_e32 v15, 4, v0
	v_add_lshl_u32 v25, v15, v14, 3
	ds_read2_b64 v[14:17], v25 offset1:1
	v_mbcnt_lo_u32_b32 v20, -1, 0
	v_mbcnt_hi_u32_b32 v26, -1, v20
	v_and_b32_e32 v27, 15, v26
	v_and_b32_e32 v29, 16, v26
	s_waitcnt lgkmcnt(0)
	v_cmp_gt_u64_e64 s[4:5], v[14:15], v[16:17]
	v_cndmask_b32_e64 v17, v17, v15, s[4:5]
	v_cndmask_b32_e64 v16, v16, v14, s[4:5]
	v_cmp_ne_u32_e64 s[14:15], 0, v26
	v_mov_b32_dpp v21, v17 row_shr:1 row_mask:0xf bank_mask:0xf
	v_mov_b32_dpp v20, v16 row_shr:1 row_mask:0xf bank_mask:0xf
	v_cmp_gt_u64_e64 s[4:5], v[20:21], v[16:17]
	v_cndmask_b32_e64 v20, v16, v20, s[4:5]
	v_cndmask_b32_e64 v21, v17, v21, s[4:5]
	v_cmp_eq_u32_e64 s[4:5], 0, v27
	v_cndmask_b32_e64 v21, v21, v17, s[4:5]
	v_cndmask_b32_e64 v20, v20, v16, s[4:5]
	s_nop 0
	v_mov_b32_dpp v23, v21 row_shr:2 row_mask:0xf bank_mask:0xf
	v_mov_b32_dpp v22, v20 row_shr:2 row_mask:0xf bank_mask:0xf
	v_cmp_gt_u64_e64 s[4:5], v[22:23], v[20:21]
	v_cndmask_b32_e64 v22, v20, v22, s[4:5]
	v_cndmask_b32_e64 v23, v21, v23, s[4:5]
	v_cmp_lt_u32_e64 s[4:5], 1, v27
	v_cndmask_b32_e64 v21, v21, v23, s[4:5]
	v_cndmask_b32_e64 v20, v20, v22, s[4:5]
	s_nop 0
	v_mov_b32_dpp v23, v21 row_shr:4 row_mask:0xf bank_mask:0xf
	v_mov_b32_dpp v22, v20 row_shr:4 row_mask:0xf bank_mask:0xf
	v_cmp_gt_u64_e64 s[4:5], v[22:23], v[20:21]
	v_cndmask_b32_e64 v22, v20, v22, s[4:5]
	v_cndmask_b32_e64 v23, v21, v23, s[4:5]
	v_cmp_lt_u32_e64 s[4:5], 3, v27
	;; [unrolled: 9-line block ×3, first 2 shown]
	v_cndmask_b32_e64 v21, v21, v23, s[4:5]
	v_cndmask_b32_e64 v20, v20, v22, s[4:5]
	s_nop 0
	v_mov_b32_dpp v23, v21 row_bcast:15 row_mask:0xf bank_mask:0xf
	v_mov_b32_dpp v22, v20 row_bcast:15 row_mask:0xf bank_mask:0xf
	v_cmp_gt_u64_e64 s[4:5], v[22:23], v[20:21]
	v_cndmask_b32_e64 v27, v21, v23, s[4:5]
	v_cndmask_b32_e64 v28, v20, v22, s[4:5]
	v_cmp_eq_u32_e64 s[4:5], 0, v29
	v_cndmask_b32_e64 v23, v27, v21, s[4:5]
	v_cndmask_b32_e64 v22, v28, v20, s[4:5]
	s_nop 0
	v_mov_b32_dpp v23, v23 row_bcast:31 row_mask:0xf bank_mask:0xf
	v_mov_b32_dpp v22, v22 row_bcast:31 row_mask:0xf bank_mask:0xf
	s_and_saveexec_b64 s[22:23], s[14:15]
; %bb.16:
	v_cndmask_b32_e64 v17, v27, v21, s[4:5]
	v_cndmask_b32_e64 v16, v28, v20, s[4:5]
	v_cmp_lt_u32_e64 s[14:15], 31, v26
	v_cmp_gt_u64_e64 s[4:5], v[22:23], v[16:17]
	s_and_b64 s[4:5], s[14:15], s[4:5]
	v_cndmask_b32_e64 v16, v16, v22, s[4:5]
	v_cndmask_b32_e64 v17, v17, v23, s[4:5]
; %bb.17:
	s_or_b64 exec, exec, s[22:23]
	v_add_u32_e32 v20, -1, v26
	v_and_b32_e32 v21, 64, v26
	v_cmp_lt_i32_e64 s[4:5], v20, v21
	v_cndmask_b32_e64 v20, v20, v26, s[4:5]
	v_lshlrev_b32_e32 v20, 2, v20
	ds_bpermute_b32 v16, v20, v16
	ds_bpermute_b32 v17, v20, v17
	; wave barrier
	s_waitcnt lgkmcnt(0)
	v_cmp_gt_u64_e64 s[4:5], v[16:17], v[14:15]
	v_cndmask_b32_e64 v14, v14, v16, s[4:5]
	v_cndmask_b32_e64 v15, v15, v17, s[4:5]
	v_cmp_eq_u32_e64 s[4:5], 0, v0
	v_cndmask_b32_e64 v15, v15, v19, s[4:5]
	v_cndmask_b32_e64 v14, v14, v18, s[4:5]
	ds_write_b64 v25, v[14:15]
	; wave barrier
	ds_read_b64 v[16:17], v25 offset:8
	s_waitcnt lgkmcnt(0)
	v_cmp_gt_u64_e64 s[4:5], v[14:15], v[16:17]
	v_cndmask_b32_e64 v15, v17, v15, s[4:5]
	v_cndmask_b32_e64 v14, v16, v14, s[4:5]
	ds_write_b64 v25, v[14:15] offset:8
.LBB2201_18:
	s_or_b64 exec, exec, s[18:19]
	v_cmp_ne_u32_e64 s[4:5], 0, v0
	v_pk_mov_b32 v[14:15], s[20:21], s[20:21] op_sel:[0,1]
	s_waitcnt lgkmcnt(0)
	s_barrier
	s_and_saveexec_b64 s[14:15], s[4:5]
	s_cbranch_execz .LBB2201_20
; %bb.19:
	v_add_u32_e32 v14, -1, v0
	v_lshrrev_b32_e32 v15, 5, v14
	v_add_lshl_u32 v14, v15, v14, 3
	ds_read_b64 v[14:15], v14
	v_mov_b32_e32 v16, s21
	s_waitcnt lgkmcnt(0)
	v_cmp_gt_u64_e64 s[4:5], s[20:21], v[14:15]
	v_cndmask_b32_e64 v15, v15, v16, s[4:5]
	v_mov_b32_e32 v16, s20
	v_cndmask_b32_e64 v14, v14, v16, s[4:5]
.LBB2201_20:
	s_or_b64 exec, exec, s[14:15]
	v_cmp_gt_u64_e64 s[4:5], v[14:15], v[10:11]
	v_cndmask_b32_e64 v11, v11, v15, s[4:5]
	v_cndmask_b32_e64 v10, v10, v14, s[4:5]
	v_cmp_gt_u64_e64 s[4:5], v[10:11], v[12:13]
	v_cndmask_b32_e64 v13, v13, v11, s[4:5]
	v_cndmask_b32_e64 v12, v12, v10, s[4:5]
	;; [unrolled: 3-line block ×6, first 2 shown]
	s_movk_i32 s4, 0xffd0
	v_mad_i32_i24 v0, v0, s4, v1
	s_barrier
	ds_write2_b64 v1, v[14:15], v[10:11] offset1:1
	ds_write2_b64 v1, v[12:13], v[6:7] offset0:2 offset1:3
	ds_write2_b64 v1, v[8:9], v[2:3] offset0:4 offset1:5
	ds_write_b64 v1, v[4:5] offset:48
	s_waitcnt lgkmcnt(0)
	s_barrier
	ds_read2st64_b64 v[8:11], v0 offset0:2 offset1:4
	ds_read2st64_b64 v[4:7], v0 offset0:6 offset1:8
	ds_read2st64_b64 v[0:3], v0 offset0:10 offset1:12
	v_mov_b32_e32 v13, s17
	v_add_co_u32_e64 v12, s[4:5], s16, v24
	v_addc_co_u32_e64 v13, s[4:5], 0, v13, s[4:5]
	s_and_saveexec_b64 s[4:5], vcc
	s_cbranch_execnz .LBB2201_28
; %bb.21:
	s_or_b64 exec, exec, s[4:5]
	s_and_saveexec_b64 s[4:5], s[0:1]
	s_cbranch_execnz .LBB2201_29
.LBB2201_22:
	s_or_b64 exec, exec, s[4:5]
	s_and_saveexec_b64 s[0:1], s[2:3]
	s_cbranch_execnz .LBB2201_30
.LBB2201_23:
	s_or_b64 exec, exec, s[0:1]
	s_and_saveexec_b64 s[0:1], s[12:13]
	s_cbranch_execnz .LBB2201_31
.LBB2201_24:
	s_or_b64 exec, exec, s[0:1]
	s_and_saveexec_b64 s[0:1], s[6:7]
	s_cbranch_execnz .LBB2201_32
.LBB2201_25:
	s_or_b64 exec, exec, s[0:1]
	s_and_saveexec_b64 s[0:1], s[8:9]
	s_cbranch_execnz .LBB2201_33
.LBB2201_26:
	s_or_b64 exec, exec, s[0:1]
	s_and_saveexec_b64 s[0:1], s[10:11]
	s_cbranch_execnz .LBB2201_34
.LBB2201_27:
	s_endpgm
.LBB2201_28:
	ds_read_b64 v[14:15], v24
	s_waitcnt lgkmcnt(0)
	global_store_dwordx2 v[12:13], v[14:15], off
	s_or_b64 exec, exec, s[4:5]
	s_and_saveexec_b64 s[4:5], s[0:1]
	s_cbranch_execz .LBB2201_22
.LBB2201_29:
	s_waitcnt lgkmcnt(2)
	global_store_dwordx2 v[12:13], v[8:9], off offset:1024
	s_or_b64 exec, exec, s[4:5]
	s_and_saveexec_b64 s[0:1], s[2:3]
	s_cbranch_execz .LBB2201_23
.LBB2201_30:
	s_waitcnt lgkmcnt(2)
	global_store_dwordx2 v[12:13], v[10:11], off offset:2048
	s_or_b64 exec, exec, s[0:1]
	s_and_saveexec_b64 s[0:1], s[12:13]
	s_cbranch_execz .LBB2201_24
.LBB2201_31:
	s_waitcnt lgkmcnt(1)
	global_store_dwordx2 v[12:13], v[4:5], off offset:3072
	s_or_b64 exec, exec, s[0:1]
	s_and_saveexec_b64 s[0:1], s[6:7]
	s_cbranch_execz .LBB2201_25
.LBB2201_32:
	s_waitcnt lgkmcnt(1)
	v_add_co_u32_e32 v4, vcc, 0x1000, v12
	v_addc_co_u32_e32 v5, vcc, 0, v13, vcc
	global_store_dwordx2 v[4:5], v[6:7], off
	s_or_b64 exec, exec, s[0:1]
	s_and_saveexec_b64 s[0:1], s[8:9]
	s_cbranch_execz .LBB2201_26
.LBB2201_33:
	s_waitcnt lgkmcnt(1)
	v_add_co_u32_e32 v4, vcc, 0x1000, v12
	v_addc_co_u32_e32 v5, vcc, 0, v13, vcc
	s_waitcnt lgkmcnt(0)
	global_store_dwordx2 v[4:5], v[0:1], off offset:1024
	s_or_b64 exec, exec, s[0:1]
	s_and_saveexec_b64 s[0:1], s[10:11]
	s_cbranch_execz .LBB2201_27
.LBB2201_34:
	s_waitcnt lgkmcnt(0)
	v_add_co_u32_e32 v0, vcc, 0x1000, v12
	v_addc_co_u32_e32 v1, vcc, 0, v13, vcc
	global_store_dwordx2 v[0:1], v[2:3], off offset:2048
	s_endpgm
	.section	.rodata,"a",@progbits
	.p2align	6, 0x0
	.amdhsa_kernel _ZN7rocprim17ROCPRIM_400000_NS6detail17trampoline_kernelINS0_14default_configENS1_20scan_config_selectorIyEEZZNS1_9scan_implILNS1_25lookback_scan_determinismE0ELb1ELb1ES3_N6thrust23THRUST_200600_302600_NS6detail15normal_iteratorINS9_10device_ptrIyEEEESE_y11max_functorIyEyEEDaPvRmT3_T4_T5_mT6_P12ihipStream_tbENKUlT_T0_E_clISt17integral_constantIbLb1EESU_EEDaSP_SQ_EUlSP_E0_NS1_11comp_targetILNS1_3genE4ELNS1_11target_archE910ELNS1_3gpuE8ELNS1_3repE0EEENS1_30default_config_static_selectorELNS0_4arch9wavefront6targetE1EEEvT1_
		.amdhsa_group_segment_fixed_size 7168
		.amdhsa_private_segment_fixed_size 0
		.amdhsa_kernarg_size 40
		.amdhsa_user_sgpr_count 6
		.amdhsa_user_sgpr_private_segment_buffer 1
		.amdhsa_user_sgpr_dispatch_ptr 0
		.amdhsa_user_sgpr_queue_ptr 0
		.amdhsa_user_sgpr_kernarg_segment_ptr 1
		.amdhsa_user_sgpr_dispatch_id 0
		.amdhsa_user_sgpr_flat_scratch_init 0
		.amdhsa_user_sgpr_kernarg_preload_length 0
		.amdhsa_user_sgpr_kernarg_preload_offset 0
		.amdhsa_user_sgpr_private_segment_size 0
		.amdhsa_uses_dynamic_stack 0
		.amdhsa_system_sgpr_private_segment_wavefront_offset 0
		.amdhsa_system_sgpr_workgroup_id_x 1
		.amdhsa_system_sgpr_workgroup_id_y 0
		.amdhsa_system_sgpr_workgroup_id_z 0
		.amdhsa_system_sgpr_workgroup_info 0
		.amdhsa_system_vgpr_workitem_id 0
		.amdhsa_next_free_vgpr 30
		.amdhsa_next_free_sgpr 24
		.amdhsa_accum_offset 32
		.amdhsa_reserve_vcc 1
		.amdhsa_reserve_flat_scratch 0
		.amdhsa_float_round_mode_32 0
		.amdhsa_float_round_mode_16_64 0
		.amdhsa_float_denorm_mode_32 3
		.amdhsa_float_denorm_mode_16_64 3
		.amdhsa_dx10_clamp 1
		.amdhsa_ieee_mode 1
		.amdhsa_fp16_overflow 0
		.amdhsa_tg_split 0
		.amdhsa_exception_fp_ieee_invalid_op 0
		.amdhsa_exception_fp_denorm_src 0
		.amdhsa_exception_fp_ieee_div_zero 0
		.amdhsa_exception_fp_ieee_overflow 0
		.amdhsa_exception_fp_ieee_underflow 0
		.amdhsa_exception_fp_ieee_inexact 0
		.amdhsa_exception_int_div_zero 0
	.end_amdhsa_kernel
	.section	.text._ZN7rocprim17ROCPRIM_400000_NS6detail17trampoline_kernelINS0_14default_configENS1_20scan_config_selectorIyEEZZNS1_9scan_implILNS1_25lookback_scan_determinismE0ELb1ELb1ES3_N6thrust23THRUST_200600_302600_NS6detail15normal_iteratorINS9_10device_ptrIyEEEESE_y11max_functorIyEyEEDaPvRmT3_T4_T5_mT6_P12ihipStream_tbENKUlT_T0_E_clISt17integral_constantIbLb1EESU_EEDaSP_SQ_EUlSP_E0_NS1_11comp_targetILNS1_3genE4ELNS1_11target_archE910ELNS1_3gpuE8ELNS1_3repE0EEENS1_30default_config_static_selectorELNS0_4arch9wavefront6targetE1EEEvT1_,"axG",@progbits,_ZN7rocprim17ROCPRIM_400000_NS6detail17trampoline_kernelINS0_14default_configENS1_20scan_config_selectorIyEEZZNS1_9scan_implILNS1_25lookback_scan_determinismE0ELb1ELb1ES3_N6thrust23THRUST_200600_302600_NS6detail15normal_iteratorINS9_10device_ptrIyEEEESE_y11max_functorIyEyEEDaPvRmT3_T4_T5_mT6_P12ihipStream_tbENKUlT_T0_E_clISt17integral_constantIbLb1EESU_EEDaSP_SQ_EUlSP_E0_NS1_11comp_targetILNS1_3genE4ELNS1_11target_archE910ELNS1_3gpuE8ELNS1_3repE0EEENS1_30default_config_static_selectorELNS0_4arch9wavefront6targetE1EEEvT1_,comdat
.Lfunc_end2201:
	.size	_ZN7rocprim17ROCPRIM_400000_NS6detail17trampoline_kernelINS0_14default_configENS1_20scan_config_selectorIyEEZZNS1_9scan_implILNS1_25lookback_scan_determinismE0ELb1ELb1ES3_N6thrust23THRUST_200600_302600_NS6detail15normal_iteratorINS9_10device_ptrIyEEEESE_y11max_functorIyEyEEDaPvRmT3_T4_T5_mT6_P12ihipStream_tbENKUlT_T0_E_clISt17integral_constantIbLb1EESU_EEDaSP_SQ_EUlSP_E0_NS1_11comp_targetILNS1_3genE4ELNS1_11target_archE910ELNS1_3gpuE8ELNS1_3repE0EEENS1_30default_config_static_selectorELNS0_4arch9wavefront6targetE1EEEvT1_, .Lfunc_end2201-_ZN7rocprim17ROCPRIM_400000_NS6detail17trampoline_kernelINS0_14default_configENS1_20scan_config_selectorIyEEZZNS1_9scan_implILNS1_25lookback_scan_determinismE0ELb1ELb1ES3_N6thrust23THRUST_200600_302600_NS6detail15normal_iteratorINS9_10device_ptrIyEEEESE_y11max_functorIyEyEEDaPvRmT3_T4_T5_mT6_P12ihipStream_tbENKUlT_T0_E_clISt17integral_constantIbLb1EESU_EEDaSP_SQ_EUlSP_E0_NS1_11comp_targetILNS1_3genE4ELNS1_11target_archE910ELNS1_3gpuE8ELNS1_3repE0EEENS1_30default_config_static_selectorELNS0_4arch9wavefront6targetE1EEEvT1_
                                        ; -- End function
	.section	.AMDGPU.csdata,"",@progbits
; Kernel info:
; codeLenInByte = 1916
; NumSgprs: 28
; NumVgprs: 30
; NumAgprs: 0
; TotalNumVgprs: 30
; ScratchSize: 0
; MemoryBound: 0
; FloatMode: 240
; IeeeMode: 1
; LDSByteSize: 7168 bytes/workgroup (compile time only)
; SGPRBlocks: 3
; VGPRBlocks: 3
; NumSGPRsForWavesPerEU: 28
; NumVGPRsForWavesPerEU: 30
; AccumOffset: 32
; Occupancy: 5
; WaveLimiterHint : 0
; COMPUTE_PGM_RSRC2:SCRATCH_EN: 0
; COMPUTE_PGM_RSRC2:USER_SGPR: 6
; COMPUTE_PGM_RSRC2:TRAP_HANDLER: 0
; COMPUTE_PGM_RSRC2:TGID_X_EN: 1
; COMPUTE_PGM_RSRC2:TGID_Y_EN: 0
; COMPUTE_PGM_RSRC2:TGID_Z_EN: 0
; COMPUTE_PGM_RSRC2:TIDIG_COMP_CNT: 0
; COMPUTE_PGM_RSRC3_GFX90A:ACCUM_OFFSET: 7
; COMPUTE_PGM_RSRC3_GFX90A:TG_SPLIT: 0
	.section	.text._ZN7rocprim17ROCPRIM_400000_NS6detail17trampoline_kernelINS0_14default_configENS1_20scan_config_selectorIyEEZZNS1_9scan_implILNS1_25lookback_scan_determinismE0ELb1ELb1ES3_N6thrust23THRUST_200600_302600_NS6detail15normal_iteratorINS9_10device_ptrIyEEEESE_y11max_functorIyEyEEDaPvRmT3_T4_T5_mT6_P12ihipStream_tbENKUlT_T0_E_clISt17integral_constantIbLb1EESU_EEDaSP_SQ_EUlSP_E0_NS1_11comp_targetILNS1_3genE3ELNS1_11target_archE908ELNS1_3gpuE7ELNS1_3repE0EEENS1_30default_config_static_selectorELNS0_4arch9wavefront6targetE1EEEvT1_,"axG",@progbits,_ZN7rocprim17ROCPRIM_400000_NS6detail17trampoline_kernelINS0_14default_configENS1_20scan_config_selectorIyEEZZNS1_9scan_implILNS1_25lookback_scan_determinismE0ELb1ELb1ES3_N6thrust23THRUST_200600_302600_NS6detail15normal_iteratorINS9_10device_ptrIyEEEESE_y11max_functorIyEyEEDaPvRmT3_T4_T5_mT6_P12ihipStream_tbENKUlT_T0_E_clISt17integral_constantIbLb1EESU_EEDaSP_SQ_EUlSP_E0_NS1_11comp_targetILNS1_3genE3ELNS1_11target_archE908ELNS1_3gpuE7ELNS1_3repE0EEENS1_30default_config_static_selectorELNS0_4arch9wavefront6targetE1EEEvT1_,comdat
	.protected	_ZN7rocprim17ROCPRIM_400000_NS6detail17trampoline_kernelINS0_14default_configENS1_20scan_config_selectorIyEEZZNS1_9scan_implILNS1_25lookback_scan_determinismE0ELb1ELb1ES3_N6thrust23THRUST_200600_302600_NS6detail15normal_iteratorINS9_10device_ptrIyEEEESE_y11max_functorIyEyEEDaPvRmT3_T4_T5_mT6_P12ihipStream_tbENKUlT_T0_E_clISt17integral_constantIbLb1EESU_EEDaSP_SQ_EUlSP_E0_NS1_11comp_targetILNS1_3genE3ELNS1_11target_archE908ELNS1_3gpuE7ELNS1_3repE0EEENS1_30default_config_static_selectorELNS0_4arch9wavefront6targetE1EEEvT1_ ; -- Begin function _ZN7rocprim17ROCPRIM_400000_NS6detail17trampoline_kernelINS0_14default_configENS1_20scan_config_selectorIyEEZZNS1_9scan_implILNS1_25lookback_scan_determinismE0ELb1ELb1ES3_N6thrust23THRUST_200600_302600_NS6detail15normal_iteratorINS9_10device_ptrIyEEEESE_y11max_functorIyEyEEDaPvRmT3_T4_T5_mT6_P12ihipStream_tbENKUlT_T0_E_clISt17integral_constantIbLb1EESU_EEDaSP_SQ_EUlSP_E0_NS1_11comp_targetILNS1_3genE3ELNS1_11target_archE908ELNS1_3gpuE7ELNS1_3repE0EEENS1_30default_config_static_selectorELNS0_4arch9wavefront6targetE1EEEvT1_
	.globl	_ZN7rocprim17ROCPRIM_400000_NS6detail17trampoline_kernelINS0_14default_configENS1_20scan_config_selectorIyEEZZNS1_9scan_implILNS1_25lookback_scan_determinismE0ELb1ELb1ES3_N6thrust23THRUST_200600_302600_NS6detail15normal_iteratorINS9_10device_ptrIyEEEESE_y11max_functorIyEyEEDaPvRmT3_T4_T5_mT6_P12ihipStream_tbENKUlT_T0_E_clISt17integral_constantIbLb1EESU_EEDaSP_SQ_EUlSP_E0_NS1_11comp_targetILNS1_3genE3ELNS1_11target_archE908ELNS1_3gpuE7ELNS1_3repE0EEENS1_30default_config_static_selectorELNS0_4arch9wavefront6targetE1EEEvT1_
	.p2align	8
	.type	_ZN7rocprim17ROCPRIM_400000_NS6detail17trampoline_kernelINS0_14default_configENS1_20scan_config_selectorIyEEZZNS1_9scan_implILNS1_25lookback_scan_determinismE0ELb1ELb1ES3_N6thrust23THRUST_200600_302600_NS6detail15normal_iteratorINS9_10device_ptrIyEEEESE_y11max_functorIyEyEEDaPvRmT3_T4_T5_mT6_P12ihipStream_tbENKUlT_T0_E_clISt17integral_constantIbLb1EESU_EEDaSP_SQ_EUlSP_E0_NS1_11comp_targetILNS1_3genE3ELNS1_11target_archE908ELNS1_3gpuE7ELNS1_3repE0EEENS1_30default_config_static_selectorELNS0_4arch9wavefront6targetE1EEEvT1_,@function
_ZN7rocprim17ROCPRIM_400000_NS6detail17trampoline_kernelINS0_14default_configENS1_20scan_config_selectorIyEEZZNS1_9scan_implILNS1_25lookback_scan_determinismE0ELb1ELb1ES3_N6thrust23THRUST_200600_302600_NS6detail15normal_iteratorINS9_10device_ptrIyEEEESE_y11max_functorIyEyEEDaPvRmT3_T4_T5_mT6_P12ihipStream_tbENKUlT_T0_E_clISt17integral_constantIbLb1EESU_EEDaSP_SQ_EUlSP_E0_NS1_11comp_targetILNS1_3genE3ELNS1_11target_archE908ELNS1_3gpuE7ELNS1_3repE0EEENS1_30default_config_static_selectorELNS0_4arch9wavefront6targetE1EEEvT1_: ; @_ZN7rocprim17ROCPRIM_400000_NS6detail17trampoline_kernelINS0_14default_configENS1_20scan_config_selectorIyEEZZNS1_9scan_implILNS1_25lookback_scan_determinismE0ELb1ELb1ES3_N6thrust23THRUST_200600_302600_NS6detail15normal_iteratorINS9_10device_ptrIyEEEESE_y11max_functorIyEyEEDaPvRmT3_T4_T5_mT6_P12ihipStream_tbENKUlT_T0_E_clISt17integral_constantIbLb1EESU_EEDaSP_SQ_EUlSP_E0_NS1_11comp_targetILNS1_3genE3ELNS1_11target_archE908ELNS1_3gpuE7ELNS1_3repE0EEENS1_30default_config_static_selectorELNS0_4arch9wavefront6targetE1EEEvT1_
; %bb.0:
	.section	.rodata,"a",@progbits
	.p2align	6, 0x0
	.amdhsa_kernel _ZN7rocprim17ROCPRIM_400000_NS6detail17trampoline_kernelINS0_14default_configENS1_20scan_config_selectorIyEEZZNS1_9scan_implILNS1_25lookback_scan_determinismE0ELb1ELb1ES3_N6thrust23THRUST_200600_302600_NS6detail15normal_iteratorINS9_10device_ptrIyEEEESE_y11max_functorIyEyEEDaPvRmT3_T4_T5_mT6_P12ihipStream_tbENKUlT_T0_E_clISt17integral_constantIbLb1EESU_EEDaSP_SQ_EUlSP_E0_NS1_11comp_targetILNS1_3genE3ELNS1_11target_archE908ELNS1_3gpuE7ELNS1_3repE0EEENS1_30default_config_static_selectorELNS0_4arch9wavefront6targetE1EEEvT1_
		.amdhsa_group_segment_fixed_size 0
		.amdhsa_private_segment_fixed_size 0
		.amdhsa_kernarg_size 40
		.amdhsa_user_sgpr_count 6
		.amdhsa_user_sgpr_private_segment_buffer 1
		.amdhsa_user_sgpr_dispatch_ptr 0
		.amdhsa_user_sgpr_queue_ptr 0
		.amdhsa_user_sgpr_kernarg_segment_ptr 1
		.amdhsa_user_sgpr_dispatch_id 0
		.amdhsa_user_sgpr_flat_scratch_init 0
		.amdhsa_user_sgpr_kernarg_preload_length 0
		.amdhsa_user_sgpr_kernarg_preload_offset 0
		.amdhsa_user_sgpr_private_segment_size 0
		.amdhsa_uses_dynamic_stack 0
		.amdhsa_system_sgpr_private_segment_wavefront_offset 0
		.amdhsa_system_sgpr_workgroup_id_x 1
		.amdhsa_system_sgpr_workgroup_id_y 0
		.amdhsa_system_sgpr_workgroup_id_z 0
		.amdhsa_system_sgpr_workgroup_info 0
		.amdhsa_system_vgpr_workitem_id 0
		.amdhsa_next_free_vgpr 1
		.amdhsa_next_free_sgpr 0
		.amdhsa_accum_offset 4
		.amdhsa_reserve_vcc 0
		.amdhsa_reserve_flat_scratch 0
		.amdhsa_float_round_mode_32 0
		.amdhsa_float_round_mode_16_64 0
		.amdhsa_float_denorm_mode_32 3
		.amdhsa_float_denorm_mode_16_64 3
		.amdhsa_dx10_clamp 1
		.amdhsa_ieee_mode 1
		.amdhsa_fp16_overflow 0
		.amdhsa_tg_split 0
		.amdhsa_exception_fp_ieee_invalid_op 0
		.amdhsa_exception_fp_denorm_src 0
		.amdhsa_exception_fp_ieee_div_zero 0
		.amdhsa_exception_fp_ieee_overflow 0
		.amdhsa_exception_fp_ieee_underflow 0
		.amdhsa_exception_fp_ieee_inexact 0
		.amdhsa_exception_int_div_zero 0
	.end_amdhsa_kernel
	.section	.text._ZN7rocprim17ROCPRIM_400000_NS6detail17trampoline_kernelINS0_14default_configENS1_20scan_config_selectorIyEEZZNS1_9scan_implILNS1_25lookback_scan_determinismE0ELb1ELb1ES3_N6thrust23THRUST_200600_302600_NS6detail15normal_iteratorINS9_10device_ptrIyEEEESE_y11max_functorIyEyEEDaPvRmT3_T4_T5_mT6_P12ihipStream_tbENKUlT_T0_E_clISt17integral_constantIbLb1EESU_EEDaSP_SQ_EUlSP_E0_NS1_11comp_targetILNS1_3genE3ELNS1_11target_archE908ELNS1_3gpuE7ELNS1_3repE0EEENS1_30default_config_static_selectorELNS0_4arch9wavefront6targetE1EEEvT1_,"axG",@progbits,_ZN7rocprim17ROCPRIM_400000_NS6detail17trampoline_kernelINS0_14default_configENS1_20scan_config_selectorIyEEZZNS1_9scan_implILNS1_25lookback_scan_determinismE0ELb1ELb1ES3_N6thrust23THRUST_200600_302600_NS6detail15normal_iteratorINS9_10device_ptrIyEEEESE_y11max_functorIyEyEEDaPvRmT3_T4_T5_mT6_P12ihipStream_tbENKUlT_T0_E_clISt17integral_constantIbLb1EESU_EEDaSP_SQ_EUlSP_E0_NS1_11comp_targetILNS1_3genE3ELNS1_11target_archE908ELNS1_3gpuE7ELNS1_3repE0EEENS1_30default_config_static_selectorELNS0_4arch9wavefront6targetE1EEEvT1_,comdat
.Lfunc_end2202:
	.size	_ZN7rocprim17ROCPRIM_400000_NS6detail17trampoline_kernelINS0_14default_configENS1_20scan_config_selectorIyEEZZNS1_9scan_implILNS1_25lookback_scan_determinismE0ELb1ELb1ES3_N6thrust23THRUST_200600_302600_NS6detail15normal_iteratorINS9_10device_ptrIyEEEESE_y11max_functorIyEyEEDaPvRmT3_T4_T5_mT6_P12ihipStream_tbENKUlT_T0_E_clISt17integral_constantIbLb1EESU_EEDaSP_SQ_EUlSP_E0_NS1_11comp_targetILNS1_3genE3ELNS1_11target_archE908ELNS1_3gpuE7ELNS1_3repE0EEENS1_30default_config_static_selectorELNS0_4arch9wavefront6targetE1EEEvT1_, .Lfunc_end2202-_ZN7rocprim17ROCPRIM_400000_NS6detail17trampoline_kernelINS0_14default_configENS1_20scan_config_selectorIyEEZZNS1_9scan_implILNS1_25lookback_scan_determinismE0ELb1ELb1ES3_N6thrust23THRUST_200600_302600_NS6detail15normal_iteratorINS9_10device_ptrIyEEEESE_y11max_functorIyEyEEDaPvRmT3_T4_T5_mT6_P12ihipStream_tbENKUlT_T0_E_clISt17integral_constantIbLb1EESU_EEDaSP_SQ_EUlSP_E0_NS1_11comp_targetILNS1_3genE3ELNS1_11target_archE908ELNS1_3gpuE7ELNS1_3repE0EEENS1_30default_config_static_selectorELNS0_4arch9wavefront6targetE1EEEvT1_
                                        ; -- End function
	.section	.AMDGPU.csdata,"",@progbits
; Kernel info:
; codeLenInByte = 0
; NumSgprs: 4
; NumVgprs: 0
; NumAgprs: 0
; TotalNumVgprs: 0
; ScratchSize: 0
; MemoryBound: 0
; FloatMode: 240
; IeeeMode: 1
; LDSByteSize: 0 bytes/workgroup (compile time only)
; SGPRBlocks: 0
; VGPRBlocks: 0
; NumSGPRsForWavesPerEU: 4
; NumVGPRsForWavesPerEU: 1
; AccumOffset: 4
; Occupancy: 8
; WaveLimiterHint : 0
; COMPUTE_PGM_RSRC2:SCRATCH_EN: 0
; COMPUTE_PGM_RSRC2:USER_SGPR: 6
; COMPUTE_PGM_RSRC2:TRAP_HANDLER: 0
; COMPUTE_PGM_RSRC2:TGID_X_EN: 1
; COMPUTE_PGM_RSRC2:TGID_Y_EN: 0
; COMPUTE_PGM_RSRC2:TGID_Z_EN: 0
; COMPUTE_PGM_RSRC2:TIDIG_COMP_CNT: 0
; COMPUTE_PGM_RSRC3_GFX90A:ACCUM_OFFSET: 0
; COMPUTE_PGM_RSRC3_GFX90A:TG_SPLIT: 0
	.section	.text._ZN7rocprim17ROCPRIM_400000_NS6detail17trampoline_kernelINS0_14default_configENS1_20scan_config_selectorIyEEZZNS1_9scan_implILNS1_25lookback_scan_determinismE0ELb1ELb1ES3_N6thrust23THRUST_200600_302600_NS6detail15normal_iteratorINS9_10device_ptrIyEEEESE_y11max_functorIyEyEEDaPvRmT3_T4_T5_mT6_P12ihipStream_tbENKUlT_T0_E_clISt17integral_constantIbLb1EESU_EEDaSP_SQ_EUlSP_E0_NS1_11comp_targetILNS1_3genE2ELNS1_11target_archE906ELNS1_3gpuE6ELNS1_3repE0EEENS1_30default_config_static_selectorELNS0_4arch9wavefront6targetE1EEEvT1_,"axG",@progbits,_ZN7rocprim17ROCPRIM_400000_NS6detail17trampoline_kernelINS0_14default_configENS1_20scan_config_selectorIyEEZZNS1_9scan_implILNS1_25lookback_scan_determinismE0ELb1ELb1ES3_N6thrust23THRUST_200600_302600_NS6detail15normal_iteratorINS9_10device_ptrIyEEEESE_y11max_functorIyEyEEDaPvRmT3_T4_T5_mT6_P12ihipStream_tbENKUlT_T0_E_clISt17integral_constantIbLb1EESU_EEDaSP_SQ_EUlSP_E0_NS1_11comp_targetILNS1_3genE2ELNS1_11target_archE906ELNS1_3gpuE6ELNS1_3repE0EEENS1_30default_config_static_selectorELNS0_4arch9wavefront6targetE1EEEvT1_,comdat
	.protected	_ZN7rocprim17ROCPRIM_400000_NS6detail17trampoline_kernelINS0_14default_configENS1_20scan_config_selectorIyEEZZNS1_9scan_implILNS1_25lookback_scan_determinismE0ELb1ELb1ES3_N6thrust23THRUST_200600_302600_NS6detail15normal_iteratorINS9_10device_ptrIyEEEESE_y11max_functorIyEyEEDaPvRmT3_T4_T5_mT6_P12ihipStream_tbENKUlT_T0_E_clISt17integral_constantIbLb1EESU_EEDaSP_SQ_EUlSP_E0_NS1_11comp_targetILNS1_3genE2ELNS1_11target_archE906ELNS1_3gpuE6ELNS1_3repE0EEENS1_30default_config_static_selectorELNS0_4arch9wavefront6targetE1EEEvT1_ ; -- Begin function _ZN7rocprim17ROCPRIM_400000_NS6detail17trampoline_kernelINS0_14default_configENS1_20scan_config_selectorIyEEZZNS1_9scan_implILNS1_25lookback_scan_determinismE0ELb1ELb1ES3_N6thrust23THRUST_200600_302600_NS6detail15normal_iteratorINS9_10device_ptrIyEEEESE_y11max_functorIyEyEEDaPvRmT3_T4_T5_mT6_P12ihipStream_tbENKUlT_T0_E_clISt17integral_constantIbLb1EESU_EEDaSP_SQ_EUlSP_E0_NS1_11comp_targetILNS1_3genE2ELNS1_11target_archE906ELNS1_3gpuE6ELNS1_3repE0EEENS1_30default_config_static_selectorELNS0_4arch9wavefront6targetE1EEEvT1_
	.globl	_ZN7rocprim17ROCPRIM_400000_NS6detail17trampoline_kernelINS0_14default_configENS1_20scan_config_selectorIyEEZZNS1_9scan_implILNS1_25lookback_scan_determinismE0ELb1ELb1ES3_N6thrust23THRUST_200600_302600_NS6detail15normal_iteratorINS9_10device_ptrIyEEEESE_y11max_functorIyEyEEDaPvRmT3_T4_T5_mT6_P12ihipStream_tbENKUlT_T0_E_clISt17integral_constantIbLb1EESU_EEDaSP_SQ_EUlSP_E0_NS1_11comp_targetILNS1_3genE2ELNS1_11target_archE906ELNS1_3gpuE6ELNS1_3repE0EEENS1_30default_config_static_selectorELNS0_4arch9wavefront6targetE1EEEvT1_
	.p2align	8
	.type	_ZN7rocprim17ROCPRIM_400000_NS6detail17trampoline_kernelINS0_14default_configENS1_20scan_config_selectorIyEEZZNS1_9scan_implILNS1_25lookback_scan_determinismE0ELb1ELb1ES3_N6thrust23THRUST_200600_302600_NS6detail15normal_iteratorINS9_10device_ptrIyEEEESE_y11max_functorIyEyEEDaPvRmT3_T4_T5_mT6_P12ihipStream_tbENKUlT_T0_E_clISt17integral_constantIbLb1EESU_EEDaSP_SQ_EUlSP_E0_NS1_11comp_targetILNS1_3genE2ELNS1_11target_archE906ELNS1_3gpuE6ELNS1_3repE0EEENS1_30default_config_static_selectorELNS0_4arch9wavefront6targetE1EEEvT1_,@function
_ZN7rocprim17ROCPRIM_400000_NS6detail17trampoline_kernelINS0_14default_configENS1_20scan_config_selectorIyEEZZNS1_9scan_implILNS1_25lookback_scan_determinismE0ELb1ELb1ES3_N6thrust23THRUST_200600_302600_NS6detail15normal_iteratorINS9_10device_ptrIyEEEESE_y11max_functorIyEyEEDaPvRmT3_T4_T5_mT6_P12ihipStream_tbENKUlT_T0_E_clISt17integral_constantIbLb1EESU_EEDaSP_SQ_EUlSP_E0_NS1_11comp_targetILNS1_3genE2ELNS1_11target_archE906ELNS1_3gpuE6ELNS1_3repE0EEENS1_30default_config_static_selectorELNS0_4arch9wavefront6targetE1EEEvT1_: ; @_ZN7rocprim17ROCPRIM_400000_NS6detail17trampoline_kernelINS0_14default_configENS1_20scan_config_selectorIyEEZZNS1_9scan_implILNS1_25lookback_scan_determinismE0ELb1ELb1ES3_N6thrust23THRUST_200600_302600_NS6detail15normal_iteratorINS9_10device_ptrIyEEEESE_y11max_functorIyEyEEDaPvRmT3_T4_T5_mT6_P12ihipStream_tbENKUlT_T0_E_clISt17integral_constantIbLb1EESU_EEDaSP_SQ_EUlSP_E0_NS1_11comp_targetILNS1_3genE2ELNS1_11target_archE906ELNS1_3gpuE6ELNS1_3repE0EEENS1_30default_config_static_selectorELNS0_4arch9wavefront6targetE1EEEvT1_
; %bb.0:
	.section	.rodata,"a",@progbits
	.p2align	6, 0x0
	.amdhsa_kernel _ZN7rocprim17ROCPRIM_400000_NS6detail17trampoline_kernelINS0_14default_configENS1_20scan_config_selectorIyEEZZNS1_9scan_implILNS1_25lookback_scan_determinismE0ELb1ELb1ES3_N6thrust23THRUST_200600_302600_NS6detail15normal_iteratorINS9_10device_ptrIyEEEESE_y11max_functorIyEyEEDaPvRmT3_T4_T5_mT6_P12ihipStream_tbENKUlT_T0_E_clISt17integral_constantIbLb1EESU_EEDaSP_SQ_EUlSP_E0_NS1_11comp_targetILNS1_3genE2ELNS1_11target_archE906ELNS1_3gpuE6ELNS1_3repE0EEENS1_30default_config_static_selectorELNS0_4arch9wavefront6targetE1EEEvT1_
		.amdhsa_group_segment_fixed_size 0
		.amdhsa_private_segment_fixed_size 0
		.amdhsa_kernarg_size 40
		.amdhsa_user_sgpr_count 6
		.amdhsa_user_sgpr_private_segment_buffer 1
		.amdhsa_user_sgpr_dispatch_ptr 0
		.amdhsa_user_sgpr_queue_ptr 0
		.amdhsa_user_sgpr_kernarg_segment_ptr 1
		.amdhsa_user_sgpr_dispatch_id 0
		.amdhsa_user_sgpr_flat_scratch_init 0
		.amdhsa_user_sgpr_kernarg_preload_length 0
		.amdhsa_user_sgpr_kernarg_preload_offset 0
		.amdhsa_user_sgpr_private_segment_size 0
		.amdhsa_uses_dynamic_stack 0
		.amdhsa_system_sgpr_private_segment_wavefront_offset 0
		.amdhsa_system_sgpr_workgroup_id_x 1
		.amdhsa_system_sgpr_workgroup_id_y 0
		.amdhsa_system_sgpr_workgroup_id_z 0
		.amdhsa_system_sgpr_workgroup_info 0
		.amdhsa_system_vgpr_workitem_id 0
		.amdhsa_next_free_vgpr 1
		.amdhsa_next_free_sgpr 0
		.amdhsa_accum_offset 4
		.amdhsa_reserve_vcc 0
		.amdhsa_reserve_flat_scratch 0
		.amdhsa_float_round_mode_32 0
		.amdhsa_float_round_mode_16_64 0
		.amdhsa_float_denorm_mode_32 3
		.amdhsa_float_denorm_mode_16_64 3
		.amdhsa_dx10_clamp 1
		.amdhsa_ieee_mode 1
		.amdhsa_fp16_overflow 0
		.amdhsa_tg_split 0
		.amdhsa_exception_fp_ieee_invalid_op 0
		.amdhsa_exception_fp_denorm_src 0
		.amdhsa_exception_fp_ieee_div_zero 0
		.amdhsa_exception_fp_ieee_overflow 0
		.amdhsa_exception_fp_ieee_underflow 0
		.amdhsa_exception_fp_ieee_inexact 0
		.amdhsa_exception_int_div_zero 0
	.end_amdhsa_kernel
	.section	.text._ZN7rocprim17ROCPRIM_400000_NS6detail17trampoline_kernelINS0_14default_configENS1_20scan_config_selectorIyEEZZNS1_9scan_implILNS1_25lookback_scan_determinismE0ELb1ELb1ES3_N6thrust23THRUST_200600_302600_NS6detail15normal_iteratorINS9_10device_ptrIyEEEESE_y11max_functorIyEyEEDaPvRmT3_T4_T5_mT6_P12ihipStream_tbENKUlT_T0_E_clISt17integral_constantIbLb1EESU_EEDaSP_SQ_EUlSP_E0_NS1_11comp_targetILNS1_3genE2ELNS1_11target_archE906ELNS1_3gpuE6ELNS1_3repE0EEENS1_30default_config_static_selectorELNS0_4arch9wavefront6targetE1EEEvT1_,"axG",@progbits,_ZN7rocprim17ROCPRIM_400000_NS6detail17trampoline_kernelINS0_14default_configENS1_20scan_config_selectorIyEEZZNS1_9scan_implILNS1_25lookback_scan_determinismE0ELb1ELb1ES3_N6thrust23THRUST_200600_302600_NS6detail15normal_iteratorINS9_10device_ptrIyEEEESE_y11max_functorIyEyEEDaPvRmT3_T4_T5_mT6_P12ihipStream_tbENKUlT_T0_E_clISt17integral_constantIbLb1EESU_EEDaSP_SQ_EUlSP_E0_NS1_11comp_targetILNS1_3genE2ELNS1_11target_archE906ELNS1_3gpuE6ELNS1_3repE0EEENS1_30default_config_static_selectorELNS0_4arch9wavefront6targetE1EEEvT1_,comdat
.Lfunc_end2203:
	.size	_ZN7rocprim17ROCPRIM_400000_NS6detail17trampoline_kernelINS0_14default_configENS1_20scan_config_selectorIyEEZZNS1_9scan_implILNS1_25lookback_scan_determinismE0ELb1ELb1ES3_N6thrust23THRUST_200600_302600_NS6detail15normal_iteratorINS9_10device_ptrIyEEEESE_y11max_functorIyEyEEDaPvRmT3_T4_T5_mT6_P12ihipStream_tbENKUlT_T0_E_clISt17integral_constantIbLb1EESU_EEDaSP_SQ_EUlSP_E0_NS1_11comp_targetILNS1_3genE2ELNS1_11target_archE906ELNS1_3gpuE6ELNS1_3repE0EEENS1_30default_config_static_selectorELNS0_4arch9wavefront6targetE1EEEvT1_, .Lfunc_end2203-_ZN7rocprim17ROCPRIM_400000_NS6detail17trampoline_kernelINS0_14default_configENS1_20scan_config_selectorIyEEZZNS1_9scan_implILNS1_25lookback_scan_determinismE0ELb1ELb1ES3_N6thrust23THRUST_200600_302600_NS6detail15normal_iteratorINS9_10device_ptrIyEEEESE_y11max_functorIyEyEEDaPvRmT3_T4_T5_mT6_P12ihipStream_tbENKUlT_T0_E_clISt17integral_constantIbLb1EESU_EEDaSP_SQ_EUlSP_E0_NS1_11comp_targetILNS1_3genE2ELNS1_11target_archE906ELNS1_3gpuE6ELNS1_3repE0EEENS1_30default_config_static_selectorELNS0_4arch9wavefront6targetE1EEEvT1_
                                        ; -- End function
	.section	.AMDGPU.csdata,"",@progbits
; Kernel info:
; codeLenInByte = 0
; NumSgprs: 4
; NumVgprs: 0
; NumAgprs: 0
; TotalNumVgprs: 0
; ScratchSize: 0
; MemoryBound: 0
; FloatMode: 240
; IeeeMode: 1
; LDSByteSize: 0 bytes/workgroup (compile time only)
; SGPRBlocks: 0
; VGPRBlocks: 0
; NumSGPRsForWavesPerEU: 4
; NumVGPRsForWavesPerEU: 1
; AccumOffset: 4
; Occupancy: 8
; WaveLimiterHint : 0
; COMPUTE_PGM_RSRC2:SCRATCH_EN: 0
; COMPUTE_PGM_RSRC2:USER_SGPR: 6
; COMPUTE_PGM_RSRC2:TRAP_HANDLER: 0
; COMPUTE_PGM_RSRC2:TGID_X_EN: 1
; COMPUTE_PGM_RSRC2:TGID_Y_EN: 0
; COMPUTE_PGM_RSRC2:TGID_Z_EN: 0
; COMPUTE_PGM_RSRC2:TIDIG_COMP_CNT: 0
; COMPUTE_PGM_RSRC3_GFX90A:ACCUM_OFFSET: 0
; COMPUTE_PGM_RSRC3_GFX90A:TG_SPLIT: 0
	.section	.text._ZN7rocprim17ROCPRIM_400000_NS6detail17trampoline_kernelINS0_14default_configENS1_20scan_config_selectorIyEEZZNS1_9scan_implILNS1_25lookback_scan_determinismE0ELb1ELb1ES3_N6thrust23THRUST_200600_302600_NS6detail15normal_iteratorINS9_10device_ptrIyEEEESE_y11max_functorIyEyEEDaPvRmT3_T4_T5_mT6_P12ihipStream_tbENKUlT_T0_E_clISt17integral_constantIbLb1EESU_EEDaSP_SQ_EUlSP_E0_NS1_11comp_targetILNS1_3genE10ELNS1_11target_archE1201ELNS1_3gpuE5ELNS1_3repE0EEENS1_30default_config_static_selectorELNS0_4arch9wavefront6targetE1EEEvT1_,"axG",@progbits,_ZN7rocprim17ROCPRIM_400000_NS6detail17trampoline_kernelINS0_14default_configENS1_20scan_config_selectorIyEEZZNS1_9scan_implILNS1_25lookback_scan_determinismE0ELb1ELb1ES3_N6thrust23THRUST_200600_302600_NS6detail15normal_iteratorINS9_10device_ptrIyEEEESE_y11max_functorIyEyEEDaPvRmT3_T4_T5_mT6_P12ihipStream_tbENKUlT_T0_E_clISt17integral_constantIbLb1EESU_EEDaSP_SQ_EUlSP_E0_NS1_11comp_targetILNS1_3genE10ELNS1_11target_archE1201ELNS1_3gpuE5ELNS1_3repE0EEENS1_30default_config_static_selectorELNS0_4arch9wavefront6targetE1EEEvT1_,comdat
	.protected	_ZN7rocprim17ROCPRIM_400000_NS6detail17trampoline_kernelINS0_14default_configENS1_20scan_config_selectorIyEEZZNS1_9scan_implILNS1_25lookback_scan_determinismE0ELb1ELb1ES3_N6thrust23THRUST_200600_302600_NS6detail15normal_iteratorINS9_10device_ptrIyEEEESE_y11max_functorIyEyEEDaPvRmT3_T4_T5_mT6_P12ihipStream_tbENKUlT_T0_E_clISt17integral_constantIbLb1EESU_EEDaSP_SQ_EUlSP_E0_NS1_11comp_targetILNS1_3genE10ELNS1_11target_archE1201ELNS1_3gpuE5ELNS1_3repE0EEENS1_30default_config_static_selectorELNS0_4arch9wavefront6targetE1EEEvT1_ ; -- Begin function _ZN7rocprim17ROCPRIM_400000_NS6detail17trampoline_kernelINS0_14default_configENS1_20scan_config_selectorIyEEZZNS1_9scan_implILNS1_25lookback_scan_determinismE0ELb1ELb1ES3_N6thrust23THRUST_200600_302600_NS6detail15normal_iteratorINS9_10device_ptrIyEEEESE_y11max_functorIyEyEEDaPvRmT3_T4_T5_mT6_P12ihipStream_tbENKUlT_T0_E_clISt17integral_constantIbLb1EESU_EEDaSP_SQ_EUlSP_E0_NS1_11comp_targetILNS1_3genE10ELNS1_11target_archE1201ELNS1_3gpuE5ELNS1_3repE0EEENS1_30default_config_static_selectorELNS0_4arch9wavefront6targetE1EEEvT1_
	.globl	_ZN7rocprim17ROCPRIM_400000_NS6detail17trampoline_kernelINS0_14default_configENS1_20scan_config_selectorIyEEZZNS1_9scan_implILNS1_25lookback_scan_determinismE0ELb1ELb1ES3_N6thrust23THRUST_200600_302600_NS6detail15normal_iteratorINS9_10device_ptrIyEEEESE_y11max_functorIyEyEEDaPvRmT3_T4_T5_mT6_P12ihipStream_tbENKUlT_T0_E_clISt17integral_constantIbLb1EESU_EEDaSP_SQ_EUlSP_E0_NS1_11comp_targetILNS1_3genE10ELNS1_11target_archE1201ELNS1_3gpuE5ELNS1_3repE0EEENS1_30default_config_static_selectorELNS0_4arch9wavefront6targetE1EEEvT1_
	.p2align	8
	.type	_ZN7rocprim17ROCPRIM_400000_NS6detail17trampoline_kernelINS0_14default_configENS1_20scan_config_selectorIyEEZZNS1_9scan_implILNS1_25lookback_scan_determinismE0ELb1ELb1ES3_N6thrust23THRUST_200600_302600_NS6detail15normal_iteratorINS9_10device_ptrIyEEEESE_y11max_functorIyEyEEDaPvRmT3_T4_T5_mT6_P12ihipStream_tbENKUlT_T0_E_clISt17integral_constantIbLb1EESU_EEDaSP_SQ_EUlSP_E0_NS1_11comp_targetILNS1_3genE10ELNS1_11target_archE1201ELNS1_3gpuE5ELNS1_3repE0EEENS1_30default_config_static_selectorELNS0_4arch9wavefront6targetE1EEEvT1_,@function
_ZN7rocprim17ROCPRIM_400000_NS6detail17trampoline_kernelINS0_14default_configENS1_20scan_config_selectorIyEEZZNS1_9scan_implILNS1_25lookback_scan_determinismE0ELb1ELb1ES3_N6thrust23THRUST_200600_302600_NS6detail15normal_iteratorINS9_10device_ptrIyEEEESE_y11max_functorIyEyEEDaPvRmT3_T4_T5_mT6_P12ihipStream_tbENKUlT_T0_E_clISt17integral_constantIbLb1EESU_EEDaSP_SQ_EUlSP_E0_NS1_11comp_targetILNS1_3genE10ELNS1_11target_archE1201ELNS1_3gpuE5ELNS1_3repE0EEENS1_30default_config_static_selectorELNS0_4arch9wavefront6targetE1EEEvT1_: ; @_ZN7rocprim17ROCPRIM_400000_NS6detail17trampoline_kernelINS0_14default_configENS1_20scan_config_selectorIyEEZZNS1_9scan_implILNS1_25lookback_scan_determinismE0ELb1ELb1ES3_N6thrust23THRUST_200600_302600_NS6detail15normal_iteratorINS9_10device_ptrIyEEEESE_y11max_functorIyEyEEDaPvRmT3_T4_T5_mT6_P12ihipStream_tbENKUlT_T0_E_clISt17integral_constantIbLb1EESU_EEDaSP_SQ_EUlSP_E0_NS1_11comp_targetILNS1_3genE10ELNS1_11target_archE1201ELNS1_3gpuE5ELNS1_3repE0EEENS1_30default_config_static_selectorELNS0_4arch9wavefront6targetE1EEEvT1_
; %bb.0:
	.section	.rodata,"a",@progbits
	.p2align	6, 0x0
	.amdhsa_kernel _ZN7rocprim17ROCPRIM_400000_NS6detail17trampoline_kernelINS0_14default_configENS1_20scan_config_selectorIyEEZZNS1_9scan_implILNS1_25lookback_scan_determinismE0ELb1ELb1ES3_N6thrust23THRUST_200600_302600_NS6detail15normal_iteratorINS9_10device_ptrIyEEEESE_y11max_functorIyEyEEDaPvRmT3_T4_T5_mT6_P12ihipStream_tbENKUlT_T0_E_clISt17integral_constantIbLb1EESU_EEDaSP_SQ_EUlSP_E0_NS1_11comp_targetILNS1_3genE10ELNS1_11target_archE1201ELNS1_3gpuE5ELNS1_3repE0EEENS1_30default_config_static_selectorELNS0_4arch9wavefront6targetE1EEEvT1_
		.amdhsa_group_segment_fixed_size 0
		.amdhsa_private_segment_fixed_size 0
		.amdhsa_kernarg_size 40
		.amdhsa_user_sgpr_count 6
		.amdhsa_user_sgpr_private_segment_buffer 1
		.amdhsa_user_sgpr_dispatch_ptr 0
		.amdhsa_user_sgpr_queue_ptr 0
		.amdhsa_user_sgpr_kernarg_segment_ptr 1
		.amdhsa_user_sgpr_dispatch_id 0
		.amdhsa_user_sgpr_flat_scratch_init 0
		.amdhsa_user_sgpr_kernarg_preload_length 0
		.amdhsa_user_sgpr_kernarg_preload_offset 0
		.amdhsa_user_sgpr_private_segment_size 0
		.amdhsa_uses_dynamic_stack 0
		.amdhsa_system_sgpr_private_segment_wavefront_offset 0
		.amdhsa_system_sgpr_workgroup_id_x 1
		.amdhsa_system_sgpr_workgroup_id_y 0
		.amdhsa_system_sgpr_workgroup_id_z 0
		.amdhsa_system_sgpr_workgroup_info 0
		.amdhsa_system_vgpr_workitem_id 0
		.amdhsa_next_free_vgpr 1
		.amdhsa_next_free_sgpr 0
		.amdhsa_accum_offset 4
		.amdhsa_reserve_vcc 0
		.amdhsa_reserve_flat_scratch 0
		.amdhsa_float_round_mode_32 0
		.amdhsa_float_round_mode_16_64 0
		.amdhsa_float_denorm_mode_32 3
		.amdhsa_float_denorm_mode_16_64 3
		.amdhsa_dx10_clamp 1
		.amdhsa_ieee_mode 1
		.amdhsa_fp16_overflow 0
		.amdhsa_tg_split 0
		.amdhsa_exception_fp_ieee_invalid_op 0
		.amdhsa_exception_fp_denorm_src 0
		.amdhsa_exception_fp_ieee_div_zero 0
		.amdhsa_exception_fp_ieee_overflow 0
		.amdhsa_exception_fp_ieee_underflow 0
		.amdhsa_exception_fp_ieee_inexact 0
		.amdhsa_exception_int_div_zero 0
	.end_amdhsa_kernel
	.section	.text._ZN7rocprim17ROCPRIM_400000_NS6detail17trampoline_kernelINS0_14default_configENS1_20scan_config_selectorIyEEZZNS1_9scan_implILNS1_25lookback_scan_determinismE0ELb1ELb1ES3_N6thrust23THRUST_200600_302600_NS6detail15normal_iteratorINS9_10device_ptrIyEEEESE_y11max_functorIyEyEEDaPvRmT3_T4_T5_mT6_P12ihipStream_tbENKUlT_T0_E_clISt17integral_constantIbLb1EESU_EEDaSP_SQ_EUlSP_E0_NS1_11comp_targetILNS1_3genE10ELNS1_11target_archE1201ELNS1_3gpuE5ELNS1_3repE0EEENS1_30default_config_static_selectorELNS0_4arch9wavefront6targetE1EEEvT1_,"axG",@progbits,_ZN7rocprim17ROCPRIM_400000_NS6detail17trampoline_kernelINS0_14default_configENS1_20scan_config_selectorIyEEZZNS1_9scan_implILNS1_25lookback_scan_determinismE0ELb1ELb1ES3_N6thrust23THRUST_200600_302600_NS6detail15normal_iteratorINS9_10device_ptrIyEEEESE_y11max_functorIyEyEEDaPvRmT3_T4_T5_mT6_P12ihipStream_tbENKUlT_T0_E_clISt17integral_constantIbLb1EESU_EEDaSP_SQ_EUlSP_E0_NS1_11comp_targetILNS1_3genE10ELNS1_11target_archE1201ELNS1_3gpuE5ELNS1_3repE0EEENS1_30default_config_static_selectorELNS0_4arch9wavefront6targetE1EEEvT1_,comdat
.Lfunc_end2204:
	.size	_ZN7rocprim17ROCPRIM_400000_NS6detail17trampoline_kernelINS0_14default_configENS1_20scan_config_selectorIyEEZZNS1_9scan_implILNS1_25lookback_scan_determinismE0ELb1ELb1ES3_N6thrust23THRUST_200600_302600_NS6detail15normal_iteratorINS9_10device_ptrIyEEEESE_y11max_functorIyEyEEDaPvRmT3_T4_T5_mT6_P12ihipStream_tbENKUlT_T0_E_clISt17integral_constantIbLb1EESU_EEDaSP_SQ_EUlSP_E0_NS1_11comp_targetILNS1_3genE10ELNS1_11target_archE1201ELNS1_3gpuE5ELNS1_3repE0EEENS1_30default_config_static_selectorELNS0_4arch9wavefront6targetE1EEEvT1_, .Lfunc_end2204-_ZN7rocprim17ROCPRIM_400000_NS6detail17trampoline_kernelINS0_14default_configENS1_20scan_config_selectorIyEEZZNS1_9scan_implILNS1_25lookback_scan_determinismE0ELb1ELb1ES3_N6thrust23THRUST_200600_302600_NS6detail15normal_iteratorINS9_10device_ptrIyEEEESE_y11max_functorIyEyEEDaPvRmT3_T4_T5_mT6_P12ihipStream_tbENKUlT_T0_E_clISt17integral_constantIbLb1EESU_EEDaSP_SQ_EUlSP_E0_NS1_11comp_targetILNS1_3genE10ELNS1_11target_archE1201ELNS1_3gpuE5ELNS1_3repE0EEENS1_30default_config_static_selectorELNS0_4arch9wavefront6targetE1EEEvT1_
                                        ; -- End function
	.section	.AMDGPU.csdata,"",@progbits
; Kernel info:
; codeLenInByte = 0
; NumSgprs: 4
; NumVgprs: 0
; NumAgprs: 0
; TotalNumVgprs: 0
; ScratchSize: 0
; MemoryBound: 0
; FloatMode: 240
; IeeeMode: 1
; LDSByteSize: 0 bytes/workgroup (compile time only)
; SGPRBlocks: 0
; VGPRBlocks: 0
; NumSGPRsForWavesPerEU: 4
; NumVGPRsForWavesPerEU: 1
; AccumOffset: 4
; Occupancy: 8
; WaveLimiterHint : 0
; COMPUTE_PGM_RSRC2:SCRATCH_EN: 0
; COMPUTE_PGM_RSRC2:USER_SGPR: 6
; COMPUTE_PGM_RSRC2:TRAP_HANDLER: 0
; COMPUTE_PGM_RSRC2:TGID_X_EN: 1
; COMPUTE_PGM_RSRC2:TGID_Y_EN: 0
; COMPUTE_PGM_RSRC2:TGID_Z_EN: 0
; COMPUTE_PGM_RSRC2:TIDIG_COMP_CNT: 0
; COMPUTE_PGM_RSRC3_GFX90A:ACCUM_OFFSET: 0
; COMPUTE_PGM_RSRC3_GFX90A:TG_SPLIT: 0
	.section	.text._ZN7rocprim17ROCPRIM_400000_NS6detail17trampoline_kernelINS0_14default_configENS1_20scan_config_selectorIyEEZZNS1_9scan_implILNS1_25lookback_scan_determinismE0ELb1ELb1ES3_N6thrust23THRUST_200600_302600_NS6detail15normal_iteratorINS9_10device_ptrIyEEEESE_y11max_functorIyEyEEDaPvRmT3_T4_T5_mT6_P12ihipStream_tbENKUlT_T0_E_clISt17integral_constantIbLb1EESU_EEDaSP_SQ_EUlSP_E0_NS1_11comp_targetILNS1_3genE10ELNS1_11target_archE1200ELNS1_3gpuE4ELNS1_3repE0EEENS1_30default_config_static_selectorELNS0_4arch9wavefront6targetE1EEEvT1_,"axG",@progbits,_ZN7rocprim17ROCPRIM_400000_NS6detail17trampoline_kernelINS0_14default_configENS1_20scan_config_selectorIyEEZZNS1_9scan_implILNS1_25lookback_scan_determinismE0ELb1ELb1ES3_N6thrust23THRUST_200600_302600_NS6detail15normal_iteratorINS9_10device_ptrIyEEEESE_y11max_functorIyEyEEDaPvRmT3_T4_T5_mT6_P12ihipStream_tbENKUlT_T0_E_clISt17integral_constantIbLb1EESU_EEDaSP_SQ_EUlSP_E0_NS1_11comp_targetILNS1_3genE10ELNS1_11target_archE1200ELNS1_3gpuE4ELNS1_3repE0EEENS1_30default_config_static_selectorELNS0_4arch9wavefront6targetE1EEEvT1_,comdat
	.protected	_ZN7rocprim17ROCPRIM_400000_NS6detail17trampoline_kernelINS0_14default_configENS1_20scan_config_selectorIyEEZZNS1_9scan_implILNS1_25lookback_scan_determinismE0ELb1ELb1ES3_N6thrust23THRUST_200600_302600_NS6detail15normal_iteratorINS9_10device_ptrIyEEEESE_y11max_functorIyEyEEDaPvRmT3_T4_T5_mT6_P12ihipStream_tbENKUlT_T0_E_clISt17integral_constantIbLb1EESU_EEDaSP_SQ_EUlSP_E0_NS1_11comp_targetILNS1_3genE10ELNS1_11target_archE1200ELNS1_3gpuE4ELNS1_3repE0EEENS1_30default_config_static_selectorELNS0_4arch9wavefront6targetE1EEEvT1_ ; -- Begin function _ZN7rocprim17ROCPRIM_400000_NS6detail17trampoline_kernelINS0_14default_configENS1_20scan_config_selectorIyEEZZNS1_9scan_implILNS1_25lookback_scan_determinismE0ELb1ELb1ES3_N6thrust23THRUST_200600_302600_NS6detail15normal_iteratorINS9_10device_ptrIyEEEESE_y11max_functorIyEyEEDaPvRmT3_T4_T5_mT6_P12ihipStream_tbENKUlT_T0_E_clISt17integral_constantIbLb1EESU_EEDaSP_SQ_EUlSP_E0_NS1_11comp_targetILNS1_3genE10ELNS1_11target_archE1200ELNS1_3gpuE4ELNS1_3repE0EEENS1_30default_config_static_selectorELNS0_4arch9wavefront6targetE1EEEvT1_
	.globl	_ZN7rocprim17ROCPRIM_400000_NS6detail17trampoline_kernelINS0_14default_configENS1_20scan_config_selectorIyEEZZNS1_9scan_implILNS1_25lookback_scan_determinismE0ELb1ELb1ES3_N6thrust23THRUST_200600_302600_NS6detail15normal_iteratorINS9_10device_ptrIyEEEESE_y11max_functorIyEyEEDaPvRmT3_T4_T5_mT6_P12ihipStream_tbENKUlT_T0_E_clISt17integral_constantIbLb1EESU_EEDaSP_SQ_EUlSP_E0_NS1_11comp_targetILNS1_3genE10ELNS1_11target_archE1200ELNS1_3gpuE4ELNS1_3repE0EEENS1_30default_config_static_selectorELNS0_4arch9wavefront6targetE1EEEvT1_
	.p2align	8
	.type	_ZN7rocprim17ROCPRIM_400000_NS6detail17trampoline_kernelINS0_14default_configENS1_20scan_config_selectorIyEEZZNS1_9scan_implILNS1_25lookback_scan_determinismE0ELb1ELb1ES3_N6thrust23THRUST_200600_302600_NS6detail15normal_iteratorINS9_10device_ptrIyEEEESE_y11max_functorIyEyEEDaPvRmT3_T4_T5_mT6_P12ihipStream_tbENKUlT_T0_E_clISt17integral_constantIbLb1EESU_EEDaSP_SQ_EUlSP_E0_NS1_11comp_targetILNS1_3genE10ELNS1_11target_archE1200ELNS1_3gpuE4ELNS1_3repE0EEENS1_30default_config_static_selectorELNS0_4arch9wavefront6targetE1EEEvT1_,@function
_ZN7rocprim17ROCPRIM_400000_NS6detail17trampoline_kernelINS0_14default_configENS1_20scan_config_selectorIyEEZZNS1_9scan_implILNS1_25lookback_scan_determinismE0ELb1ELb1ES3_N6thrust23THRUST_200600_302600_NS6detail15normal_iteratorINS9_10device_ptrIyEEEESE_y11max_functorIyEyEEDaPvRmT3_T4_T5_mT6_P12ihipStream_tbENKUlT_T0_E_clISt17integral_constantIbLb1EESU_EEDaSP_SQ_EUlSP_E0_NS1_11comp_targetILNS1_3genE10ELNS1_11target_archE1200ELNS1_3gpuE4ELNS1_3repE0EEENS1_30default_config_static_selectorELNS0_4arch9wavefront6targetE1EEEvT1_: ; @_ZN7rocprim17ROCPRIM_400000_NS6detail17trampoline_kernelINS0_14default_configENS1_20scan_config_selectorIyEEZZNS1_9scan_implILNS1_25lookback_scan_determinismE0ELb1ELb1ES3_N6thrust23THRUST_200600_302600_NS6detail15normal_iteratorINS9_10device_ptrIyEEEESE_y11max_functorIyEyEEDaPvRmT3_T4_T5_mT6_P12ihipStream_tbENKUlT_T0_E_clISt17integral_constantIbLb1EESU_EEDaSP_SQ_EUlSP_E0_NS1_11comp_targetILNS1_3genE10ELNS1_11target_archE1200ELNS1_3gpuE4ELNS1_3repE0EEENS1_30default_config_static_selectorELNS0_4arch9wavefront6targetE1EEEvT1_
; %bb.0:
	.section	.rodata,"a",@progbits
	.p2align	6, 0x0
	.amdhsa_kernel _ZN7rocprim17ROCPRIM_400000_NS6detail17trampoline_kernelINS0_14default_configENS1_20scan_config_selectorIyEEZZNS1_9scan_implILNS1_25lookback_scan_determinismE0ELb1ELb1ES3_N6thrust23THRUST_200600_302600_NS6detail15normal_iteratorINS9_10device_ptrIyEEEESE_y11max_functorIyEyEEDaPvRmT3_T4_T5_mT6_P12ihipStream_tbENKUlT_T0_E_clISt17integral_constantIbLb1EESU_EEDaSP_SQ_EUlSP_E0_NS1_11comp_targetILNS1_3genE10ELNS1_11target_archE1200ELNS1_3gpuE4ELNS1_3repE0EEENS1_30default_config_static_selectorELNS0_4arch9wavefront6targetE1EEEvT1_
		.amdhsa_group_segment_fixed_size 0
		.amdhsa_private_segment_fixed_size 0
		.amdhsa_kernarg_size 40
		.amdhsa_user_sgpr_count 6
		.amdhsa_user_sgpr_private_segment_buffer 1
		.amdhsa_user_sgpr_dispatch_ptr 0
		.amdhsa_user_sgpr_queue_ptr 0
		.amdhsa_user_sgpr_kernarg_segment_ptr 1
		.amdhsa_user_sgpr_dispatch_id 0
		.amdhsa_user_sgpr_flat_scratch_init 0
		.amdhsa_user_sgpr_kernarg_preload_length 0
		.amdhsa_user_sgpr_kernarg_preload_offset 0
		.amdhsa_user_sgpr_private_segment_size 0
		.amdhsa_uses_dynamic_stack 0
		.amdhsa_system_sgpr_private_segment_wavefront_offset 0
		.amdhsa_system_sgpr_workgroup_id_x 1
		.amdhsa_system_sgpr_workgroup_id_y 0
		.amdhsa_system_sgpr_workgroup_id_z 0
		.amdhsa_system_sgpr_workgroup_info 0
		.amdhsa_system_vgpr_workitem_id 0
		.amdhsa_next_free_vgpr 1
		.amdhsa_next_free_sgpr 0
		.amdhsa_accum_offset 4
		.amdhsa_reserve_vcc 0
		.amdhsa_reserve_flat_scratch 0
		.amdhsa_float_round_mode_32 0
		.amdhsa_float_round_mode_16_64 0
		.amdhsa_float_denorm_mode_32 3
		.amdhsa_float_denorm_mode_16_64 3
		.amdhsa_dx10_clamp 1
		.amdhsa_ieee_mode 1
		.amdhsa_fp16_overflow 0
		.amdhsa_tg_split 0
		.amdhsa_exception_fp_ieee_invalid_op 0
		.amdhsa_exception_fp_denorm_src 0
		.amdhsa_exception_fp_ieee_div_zero 0
		.amdhsa_exception_fp_ieee_overflow 0
		.amdhsa_exception_fp_ieee_underflow 0
		.amdhsa_exception_fp_ieee_inexact 0
		.amdhsa_exception_int_div_zero 0
	.end_amdhsa_kernel
	.section	.text._ZN7rocprim17ROCPRIM_400000_NS6detail17trampoline_kernelINS0_14default_configENS1_20scan_config_selectorIyEEZZNS1_9scan_implILNS1_25lookback_scan_determinismE0ELb1ELb1ES3_N6thrust23THRUST_200600_302600_NS6detail15normal_iteratorINS9_10device_ptrIyEEEESE_y11max_functorIyEyEEDaPvRmT3_T4_T5_mT6_P12ihipStream_tbENKUlT_T0_E_clISt17integral_constantIbLb1EESU_EEDaSP_SQ_EUlSP_E0_NS1_11comp_targetILNS1_3genE10ELNS1_11target_archE1200ELNS1_3gpuE4ELNS1_3repE0EEENS1_30default_config_static_selectorELNS0_4arch9wavefront6targetE1EEEvT1_,"axG",@progbits,_ZN7rocprim17ROCPRIM_400000_NS6detail17trampoline_kernelINS0_14default_configENS1_20scan_config_selectorIyEEZZNS1_9scan_implILNS1_25lookback_scan_determinismE0ELb1ELb1ES3_N6thrust23THRUST_200600_302600_NS6detail15normal_iteratorINS9_10device_ptrIyEEEESE_y11max_functorIyEyEEDaPvRmT3_T4_T5_mT6_P12ihipStream_tbENKUlT_T0_E_clISt17integral_constantIbLb1EESU_EEDaSP_SQ_EUlSP_E0_NS1_11comp_targetILNS1_3genE10ELNS1_11target_archE1200ELNS1_3gpuE4ELNS1_3repE0EEENS1_30default_config_static_selectorELNS0_4arch9wavefront6targetE1EEEvT1_,comdat
.Lfunc_end2205:
	.size	_ZN7rocprim17ROCPRIM_400000_NS6detail17trampoline_kernelINS0_14default_configENS1_20scan_config_selectorIyEEZZNS1_9scan_implILNS1_25lookback_scan_determinismE0ELb1ELb1ES3_N6thrust23THRUST_200600_302600_NS6detail15normal_iteratorINS9_10device_ptrIyEEEESE_y11max_functorIyEyEEDaPvRmT3_T4_T5_mT6_P12ihipStream_tbENKUlT_T0_E_clISt17integral_constantIbLb1EESU_EEDaSP_SQ_EUlSP_E0_NS1_11comp_targetILNS1_3genE10ELNS1_11target_archE1200ELNS1_3gpuE4ELNS1_3repE0EEENS1_30default_config_static_selectorELNS0_4arch9wavefront6targetE1EEEvT1_, .Lfunc_end2205-_ZN7rocprim17ROCPRIM_400000_NS6detail17trampoline_kernelINS0_14default_configENS1_20scan_config_selectorIyEEZZNS1_9scan_implILNS1_25lookback_scan_determinismE0ELb1ELb1ES3_N6thrust23THRUST_200600_302600_NS6detail15normal_iteratorINS9_10device_ptrIyEEEESE_y11max_functorIyEyEEDaPvRmT3_T4_T5_mT6_P12ihipStream_tbENKUlT_T0_E_clISt17integral_constantIbLb1EESU_EEDaSP_SQ_EUlSP_E0_NS1_11comp_targetILNS1_3genE10ELNS1_11target_archE1200ELNS1_3gpuE4ELNS1_3repE0EEENS1_30default_config_static_selectorELNS0_4arch9wavefront6targetE1EEEvT1_
                                        ; -- End function
	.section	.AMDGPU.csdata,"",@progbits
; Kernel info:
; codeLenInByte = 0
; NumSgprs: 4
; NumVgprs: 0
; NumAgprs: 0
; TotalNumVgprs: 0
; ScratchSize: 0
; MemoryBound: 0
; FloatMode: 240
; IeeeMode: 1
; LDSByteSize: 0 bytes/workgroup (compile time only)
; SGPRBlocks: 0
; VGPRBlocks: 0
; NumSGPRsForWavesPerEU: 4
; NumVGPRsForWavesPerEU: 1
; AccumOffset: 4
; Occupancy: 8
; WaveLimiterHint : 0
; COMPUTE_PGM_RSRC2:SCRATCH_EN: 0
; COMPUTE_PGM_RSRC2:USER_SGPR: 6
; COMPUTE_PGM_RSRC2:TRAP_HANDLER: 0
; COMPUTE_PGM_RSRC2:TGID_X_EN: 1
; COMPUTE_PGM_RSRC2:TGID_Y_EN: 0
; COMPUTE_PGM_RSRC2:TGID_Z_EN: 0
; COMPUTE_PGM_RSRC2:TIDIG_COMP_CNT: 0
; COMPUTE_PGM_RSRC3_GFX90A:ACCUM_OFFSET: 0
; COMPUTE_PGM_RSRC3_GFX90A:TG_SPLIT: 0
	.section	.text._ZN7rocprim17ROCPRIM_400000_NS6detail17trampoline_kernelINS0_14default_configENS1_20scan_config_selectorIyEEZZNS1_9scan_implILNS1_25lookback_scan_determinismE0ELb1ELb1ES3_N6thrust23THRUST_200600_302600_NS6detail15normal_iteratorINS9_10device_ptrIyEEEESE_y11max_functorIyEyEEDaPvRmT3_T4_T5_mT6_P12ihipStream_tbENKUlT_T0_E_clISt17integral_constantIbLb1EESU_EEDaSP_SQ_EUlSP_E0_NS1_11comp_targetILNS1_3genE9ELNS1_11target_archE1100ELNS1_3gpuE3ELNS1_3repE0EEENS1_30default_config_static_selectorELNS0_4arch9wavefront6targetE1EEEvT1_,"axG",@progbits,_ZN7rocprim17ROCPRIM_400000_NS6detail17trampoline_kernelINS0_14default_configENS1_20scan_config_selectorIyEEZZNS1_9scan_implILNS1_25lookback_scan_determinismE0ELb1ELb1ES3_N6thrust23THRUST_200600_302600_NS6detail15normal_iteratorINS9_10device_ptrIyEEEESE_y11max_functorIyEyEEDaPvRmT3_T4_T5_mT6_P12ihipStream_tbENKUlT_T0_E_clISt17integral_constantIbLb1EESU_EEDaSP_SQ_EUlSP_E0_NS1_11comp_targetILNS1_3genE9ELNS1_11target_archE1100ELNS1_3gpuE3ELNS1_3repE0EEENS1_30default_config_static_selectorELNS0_4arch9wavefront6targetE1EEEvT1_,comdat
	.protected	_ZN7rocprim17ROCPRIM_400000_NS6detail17trampoline_kernelINS0_14default_configENS1_20scan_config_selectorIyEEZZNS1_9scan_implILNS1_25lookback_scan_determinismE0ELb1ELb1ES3_N6thrust23THRUST_200600_302600_NS6detail15normal_iteratorINS9_10device_ptrIyEEEESE_y11max_functorIyEyEEDaPvRmT3_T4_T5_mT6_P12ihipStream_tbENKUlT_T0_E_clISt17integral_constantIbLb1EESU_EEDaSP_SQ_EUlSP_E0_NS1_11comp_targetILNS1_3genE9ELNS1_11target_archE1100ELNS1_3gpuE3ELNS1_3repE0EEENS1_30default_config_static_selectorELNS0_4arch9wavefront6targetE1EEEvT1_ ; -- Begin function _ZN7rocprim17ROCPRIM_400000_NS6detail17trampoline_kernelINS0_14default_configENS1_20scan_config_selectorIyEEZZNS1_9scan_implILNS1_25lookback_scan_determinismE0ELb1ELb1ES3_N6thrust23THRUST_200600_302600_NS6detail15normal_iteratorINS9_10device_ptrIyEEEESE_y11max_functorIyEyEEDaPvRmT3_T4_T5_mT6_P12ihipStream_tbENKUlT_T0_E_clISt17integral_constantIbLb1EESU_EEDaSP_SQ_EUlSP_E0_NS1_11comp_targetILNS1_3genE9ELNS1_11target_archE1100ELNS1_3gpuE3ELNS1_3repE0EEENS1_30default_config_static_selectorELNS0_4arch9wavefront6targetE1EEEvT1_
	.globl	_ZN7rocprim17ROCPRIM_400000_NS6detail17trampoline_kernelINS0_14default_configENS1_20scan_config_selectorIyEEZZNS1_9scan_implILNS1_25lookback_scan_determinismE0ELb1ELb1ES3_N6thrust23THRUST_200600_302600_NS6detail15normal_iteratorINS9_10device_ptrIyEEEESE_y11max_functorIyEyEEDaPvRmT3_T4_T5_mT6_P12ihipStream_tbENKUlT_T0_E_clISt17integral_constantIbLb1EESU_EEDaSP_SQ_EUlSP_E0_NS1_11comp_targetILNS1_3genE9ELNS1_11target_archE1100ELNS1_3gpuE3ELNS1_3repE0EEENS1_30default_config_static_selectorELNS0_4arch9wavefront6targetE1EEEvT1_
	.p2align	8
	.type	_ZN7rocprim17ROCPRIM_400000_NS6detail17trampoline_kernelINS0_14default_configENS1_20scan_config_selectorIyEEZZNS1_9scan_implILNS1_25lookback_scan_determinismE0ELb1ELb1ES3_N6thrust23THRUST_200600_302600_NS6detail15normal_iteratorINS9_10device_ptrIyEEEESE_y11max_functorIyEyEEDaPvRmT3_T4_T5_mT6_P12ihipStream_tbENKUlT_T0_E_clISt17integral_constantIbLb1EESU_EEDaSP_SQ_EUlSP_E0_NS1_11comp_targetILNS1_3genE9ELNS1_11target_archE1100ELNS1_3gpuE3ELNS1_3repE0EEENS1_30default_config_static_selectorELNS0_4arch9wavefront6targetE1EEEvT1_,@function
_ZN7rocprim17ROCPRIM_400000_NS6detail17trampoline_kernelINS0_14default_configENS1_20scan_config_selectorIyEEZZNS1_9scan_implILNS1_25lookback_scan_determinismE0ELb1ELb1ES3_N6thrust23THRUST_200600_302600_NS6detail15normal_iteratorINS9_10device_ptrIyEEEESE_y11max_functorIyEyEEDaPvRmT3_T4_T5_mT6_P12ihipStream_tbENKUlT_T0_E_clISt17integral_constantIbLb1EESU_EEDaSP_SQ_EUlSP_E0_NS1_11comp_targetILNS1_3genE9ELNS1_11target_archE1100ELNS1_3gpuE3ELNS1_3repE0EEENS1_30default_config_static_selectorELNS0_4arch9wavefront6targetE1EEEvT1_: ; @_ZN7rocprim17ROCPRIM_400000_NS6detail17trampoline_kernelINS0_14default_configENS1_20scan_config_selectorIyEEZZNS1_9scan_implILNS1_25lookback_scan_determinismE0ELb1ELb1ES3_N6thrust23THRUST_200600_302600_NS6detail15normal_iteratorINS9_10device_ptrIyEEEESE_y11max_functorIyEyEEDaPvRmT3_T4_T5_mT6_P12ihipStream_tbENKUlT_T0_E_clISt17integral_constantIbLb1EESU_EEDaSP_SQ_EUlSP_E0_NS1_11comp_targetILNS1_3genE9ELNS1_11target_archE1100ELNS1_3gpuE3ELNS1_3repE0EEENS1_30default_config_static_selectorELNS0_4arch9wavefront6targetE1EEEvT1_
; %bb.0:
	.section	.rodata,"a",@progbits
	.p2align	6, 0x0
	.amdhsa_kernel _ZN7rocprim17ROCPRIM_400000_NS6detail17trampoline_kernelINS0_14default_configENS1_20scan_config_selectorIyEEZZNS1_9scan_implILNS1_25lookback_scan_determinismE0ELb1ELb1ES3_N6thrust23THRUST_200600_302600_NS6detail15normal_iteratorINS9_10device_ptrIyEEEESE_y11max_functorIyEyEEDaPvRmT3_T4_T5_mT6_P12ihipStream_tbENKUlT_T0_E_clISt17integral_constantIbLb1EESU_EEDaSP_SQ_EUlSP_E0_NS1_11comp_targetILNS1_3genE9ELNS1_11target_archE1100ELNS1_3gpuE3ELNS1_3repE0EEENS1_30default_config_static_selectorELNS0_4arch9wavefront6targetE1EEEvT1_
		.amdhsa_group_segment_fixed_size 0
		.amdhsa_private_segment_fixed_size 0
		.amdhsa_kernarg_size 40
		.amdhsa_user_sgpr_count 6
		.amdhsa_user_sgpr_private_segment_buffer 1
		.amdhsa_user_sgpr_dispatch_ptr 0
		.amdhsa_user_sgpr_queue_ptr 0
		.amdhsa_user_sgpr_kernarg_segment_ptr 1
		.amdhsa_user_sgpr_dispatch_id 0
		.amdhsa_user_sgpr_flat_scratch_init 0
		.amdhsa_user_sgpr_kernarg_preload_length 0
		.amdhsa_user_sgpr_kernarg_preload_offset 0
		.amdhsa_user_sgpr_private_segment_size 0
		.amdhsa_uses_dynamic_stack 0
		.amdhsa_system_sgpr_private_segment_wavefront_offset 0
		.amdhsa_system_sgpr_workgroup_id_x 1
		.amdhsa_system_sgpr_workgroup_id_y 0
		.amdhsa_system_sgpr_workgroup_id_z 0
		.amdhsa_system_sgpr_workgroup_info 0
		.amdhsa_system_vgpr_workitem_id 0
		.amdhsa_next_free_vgpr 1
		.amdhsa_next_free_sgpr 0
		.amdhsa_accum_offset 4
		.amdhsa_reserve_vcc 0
		.amdhsa_reserve_flat_scratch 0
		.amdhsa_float_round_mode_32 0
		.amdhsa_float_round_mode_16_64 0
		.amdhsa_float_denorm_mode_32 3
		.amdhsa_float_denorm_mode_16_64 3
		.amdhsa_dx10_clamp 1
		.amdhsa_ieee_mode 1
		.amdhsa_fp16_overflow 0
		.amdhsa_tg_split 0
		.amdhsa_exception_fp_ieee_invalid_op 0
		.amdhsa_exception_fp_denorm_src 0
		.amdhsa_exception_fp_ieee_div_zero 0
		.amdhsa_exception_fp_ieee_overflow 0
		.amdhsa_exception_fp_ieee_underflow 0
		.amdhsa_exception_fp_ieee_inexact 0
		.amdhsa_exception_int_div_zero 0
	.end_amdhsa_kernel
	.section	.text._ZN7rocprim17ROCPRIM_400000_NS6detail17trampoline_kernelINS0_14default_configENS1_20scan_config_selectorIyEEZZNS1_9scan_implILNS1_25lookback_scan_determinismE0ELb1ELb1ES3_N6thrust23THRUST_200600_302600_NS6detail15normal_iteratorINS9_10device_ptrIyEEEESE_y11max_functorIyEyEEDaPvRmT3_T4_T5_mT6_P12ihipStream_tbENKUlT_T0_E_clISt17integral_constantIbLb1EESU_EEDaSP_SQ_EUlSP_E0_NS1_11comp_targetILNS1_3genE9ELNS1_11target_archE1100ELNS1_3gpuE3ELNS1_3repE0EEENS1_30default_config_static_selectorELNS0_4arch9wavefront6targetE1EEEvT1_,"axG",@progbits,_ZN7rocprim17ROCPRIM_400000_NS6detail17trampoline_kernelINS0_14default_configENS1_20scan_config_selectorIyEEZZNS1_9scan_implILNS1_25lookback_scan_determinismE0ELb1ELb1ES3_N6thrust23THRUST_200600_302600_NS6detail15normal_iteratorINS9_10device_ptrIyEEEESE_y11max_functorIyEyEEDaPvRmT3_T4_T5_mT6_P12ihipStream_tbENKUlT_T0_E_clISt17integral_constantIbLb1EESU_EEDaSP_SQ_EUlSP_E0_NS1_11comp_targetILNS1_3genE9ELNS1_11target_archE1100ELNS1_3gpuE3ELNS1_3repE0EEENS1_30default_config_static_selectorELNS0_4arch9wavefront6targetE1EEEvT1_,comdat
.Lfunc_end2206:
	.size	_ZN7rocprim17ROCPRIM_400000_NS6detail17trampoline_kernelINS0_14default_configENS1_20scan_config_selectorIyEEZZNS1_9scan_implILNS1_25lookback_scan_determinismE0ELb1ELb1ES3_N6thrust23THRUST_200600_302600_NS6detail15normal_iteratorINS9_10device_ptrIyEEEESE_y11max_functorIyEyEEDaPvRmT3_T4_T5_mT6_P12ihipStream_tbENKUlT_T0_E_clISt17integral_constantIbLb1EESU_EEDaSP_SQ_EUlSP_E0_NS1_11comp_targetILNS1_3genE9ELNS1_11target_archE1100ELNS1_3gpuE3ELNS1_3repE0EEENS1_30default_config_static_selectorELNS0_4arch9wavefront6targetE1EEEvT1_, .Lfunc_end2206-_ZN7rocprim17ROCPRIM_400000_NS6detail17trampoline_kernelINS0_14default_configENS1_20scan_config_selectorIyEEZZNS1_9scan_implILNS1_25lookback_scan_determinismE0ELb1ELb1ES3_N6thrust23THRUST_200600_302600_NS6detail15normal_iteratorINS9_10device_ptrIyEEEESE_y11max_functorIyEyEEDaPvRmT3_T4_T5_mT6_P12ihipStream_tbENKUlT_T0_E_clISt17integral_constantIbLb1EESU_EEDaSP_SQ_EUlSP_E0_NS1_11comp_targetILNS1_3genE9ELNS1_11target_archE1100ELNS1_3gpuE3ELNS1_3repE0EEENS1_30default_config_static_selectorELNS0_4arch9wavefront6targetE1EEEvT1_
                                        ; -- End function
	.section	.AMDGPU.csdata,"",@progbits
; Kernel info:
; codeLenInByte = 0
; NumSgprs: 4
; NumVgprs: 0
; NumAgprs: 0
; TotalNumVgprs: 0
; ScratchSize: 0
; MemoryBound: 0
; FloatMode: 240
; IeeeMode: 1
; LDSByteSize: 0 bytes/workgroup (compile time only)
; SGPRBlocks: 0
; VGPRBlocks: 0
; NumSGPRsForWavesPerEU: 4
; NumVGPRsForWavesPerEU: 1
; AccumOffset: 4
; Occupancy: 8
; WaveLimiterHint : 0
; COMPUTE_PGM_RSRC2:SCRATCH_EN: 0
; COMPUTE_PGM_RSRC2:USER_SGPR: 6
; COMPUTE_PGM_RSRC2:TRAP_HANDLER: 0
; COMPUTE_PGM_RSRC2:TGID_X_EN: 1
; COMPUTE_PGM_RSRC2:TGID_Y_EN: 0
; COMPUTE_PGM_RSRC2:TGID_Z_EN: 0
; COMPUTE_PGM_RSRC2:TIDIG_COMP_CNT: 0
; COMPUTE_PGM_RSRC3_GFX90A:ACCUM_OFFSET: 0
; COMPUTE_PGM_RSRC3_GFX90A:TG_SPLIT: 0
	.section	.text._ZN7rocprim17ROCPRIM_400000_NS6detail17trampoline_kernelINS0_14default_configENS1_20scan_config_selectorIyEEZZNS1_9scan_implILNS1_25lookback_scan_determinismE0ELb1ELb1ES3_N6thrust23THRUST_200600_302600_NS6detail15normal_iteratorINS9_10device_ptrIyEEEESE_y11max_functorIyEyEEDaPvRmT3_T4_T5_mT6_P12ihipStream_tbENKUlT_T0_E_clISt17integral_constantIbLb1EESU_EEDaSP_SQ_EUlSP_E0_NS1_11comp_targetILNS1_3genE8ELNS1_11target_archE1030ELNS1_3gpuE2ELNS1_3repE0EEENS1_30default_config_static_selectorELNS0_4arch9wavefront6targetE1EEEvT1_,"axG",@progbits,_ZN7rocprim17ROCPRIM_400000_NS6detail17trampoline_kernelINS0_14default_configENS1_20scan_config_selectorIyEEZZNS1_9scan_implILNS1_25lookback_scan_determinismE0ELb1ELb1ES3_N6thrust23THRUST_200600_302600_NS6detail15normal_iteratorINS9_10device_ptrIyEEEESE_y11max_functorIyEyEEDaPvRmT3_T4_T5_mT6_P12ihipStream_tbENKUlT_T0_E_clISt17integral_constantIbLb1EESU_EEDaSP_SQ_EUlSP_E0_NS1_11comp_targetILNS1_3genE8ELNS1_11target_archE1030ELNS1_3gpuE2ELNS1_3repE0EEENS1_30default_config_static_selectorELNS0_4arch9wavefront6targetE1EEEvT1_,comdat
	.protected	_ZN7rocprim17ROCPRIM_400000_NS6detail17trampoline_kernelINS0_14default_configENS1_20scan_config_selectorIyEEZZNS1_9scan_implILNS1_25lookback_scan_determinismE0ELb1ELb1ES3_N6thrust23THRUST_200600_302600_NS6detail15normal_iteratorINS9_10device_ptrIyEEEESE_y11max_functorIyEyEEDaPvRmT3_T4_T5_mT6_P12ihipStream_tbENKUlT_T0_E_clISt17integral_constantIbLb1EESU_EEDaSP_SQ_EUlSP_E0_NS1_11comp_targetILNS1_3genE8ELNS1_11target_archE1030ELNS1_3gpuE2ELNS1_3repE0EEENS1_30default_config_static_selectorELNS0_4arch9wavefront6targetE1EEEvT1_ ; -- Begin function _ZN7rocprim17ROCPRIM_400000_NS6detail17trampoline_kernelINS0_14default_configENS1_20scan_config_selectorIyEEZZNS1_9scan_implILNS1_25lookback_scan_determinismE0ELb1ELb1ES3_N6thrust23THRUST_200600_302600_NS6detail15normal_iteratorINS9_10device_ptrIyEEEESE_y11max_functorIyEyEEDaPvRmT3_T4_T5_mT6_P12ihipStream_tbENKUlT_T0_E_clISt17integral_constantIbLb1EESU_EEDaSP_SQ_EUlSP_E0_NS1_11comp_targetILNS1_3genE8ELNS1_11target_archE1030ELNS1_3gpuE2ELNS1_3repE0EEENS1_30default_config_static_selectorELNS0_4arch9wavefront6targetE1EEEvT1_
	.globl	_ZN7rocprim17ROCPRIM_400000_NS6detail17trampoline_kernelINS0_14default_configENS1_20scan_config_selectorIyEEZZNS1_9scan_implILNS1_25lookback_scan_determinismE0ELb1ELb1ES3_N6thrust23THRUST_200600_302600_NS6detail15normal_iteratorINS9_10device_ptrIyEEEESE_y11max_functorIyEyEEDaPvRmT3_T4_T5_mT6_P12ihipStream_tbENKUlT_T0_E_clISt17integral_constantIbLb1EESU_EEDaSP_SQ_EUlSP_E0_NS1_11comp_targetILNS1_3genE8ELNS1_11target_archE1030ELNS1_3gpuE2ELNS1_3repE0EEENS1_30default_config_static_selectorELNS0_4arch9wavefront6targetE1EEEvT1_
	.p2align	8
	.type	_ZN7rocprim17ROCPRIM_400000_NS6detail17trampoline_kernelINS0_14default_configENS1_20scan_config_selectorIyEEZZNS1_9scan_implILNS1_25lookback_scan_determinismE0ELb1ELb1ES3_N6thrust23THRUST_200600_302600_NS6detail15normal_iteratorINS9_10device_ptrIyEEEESE_y11max_functorIyEyEEDaPvRmT3_T4_T5_mT6_P12ihipStream_tbENKUlT_T0_E_clISt17integral_constantIbLb1EESU_EEDaSP_SQ_EUlSP_E0_NS1_11comp_targetILNS1_3genE8ELNS1_11target_archE1030ELNS1_3gpuE2ELNS1_3repE0EEENS1_30default_config_static_selectorELNS0_4arch9wavefront6targetE1EEEvT1_,@function
_ZN7rocprim17ROCPRIM_400000_NS6detail17trampoline_kernelINS0_14default_configENS1_20scan_config_selectorIyEEZZNS1_9scan_implILNS1_25lookback_scan_determinismE0ELb1ELb1ES3_N6thrust23THRUST_200600_302600_NS6detail15normal_iteratorINS9_10device_ptrIyEEEESE_y11max_functorIyEyEEDaPvRmT3_T4_T5_mT6_P12ihipStream_tbENKUlT_T0_E_clISt17integral_constantIbLb1EESU_EEDaSP_SQ_EUlSP_E0_NS1_11comp_targetILNS1_3genE8ELNS1_11target_archE1030ELNS1_3gpuE2ELNS1_3repE0EEENS1_30default_config_static_selectorELNS0_4arch9wavefront6targetE1EEEvT1_: ; @_ZN7rocprim17ROCPRIM_400000_NS6detail17trampoline_kernelINS0_14default_configENS1_20scan_config_selectorIyEEZZNS1_9scan_implILNS1_25lookback_scan_determinismE0ELb1ELb1ES3_N6thrust23THRUST_200600_302600_NS6detail15normal_iteratorINS9_10device_ptrIyEEEESE_y11max_functorIyEyEEDaPvRmT3_T4_T5_mT6_P12ihipStream_tbENKUlT_T0_E_clISt17integral_constantIbLb1EESU_EEDaSP_SQ_EUlSP_E0_NS1_11comp_targetILNS1_3genE8ELNS1_11target_archE1030ELNS1_3gpuE2ELNS1_3repE0EEENS1_30default_config_static_selectorELNS0_4arch9wavefront6targetE1EEEvT1_
; %bb.0:
	.section	.rodata,"a",@progbits
	.p2align	6, 0x0
	.amdhsa_kernel _ZN7rocprim17ROCPRIM_400000_NS6detail17trampoline_kernelINS0_14default_configENS1_20scan_config_selectorIyEEZZNS1_9scan_implILNS1_25lookback_scan_determinismE0ELb1ELb1ES3_N6thrust23THRUST_200600_302600_NS6detail15normal_iteratorINS9_10device_ptrIyEEEESE_y11max_functorIyEyEEDaPvRmT3_T4_T5_mT6_P12ihipStream_tbENKUlT_T0_E_clISt17integral_constantIbLb1EESU_EEDaSP_SQ_EUlSP_E0_NS1_11comp_targetILNS1_3genE8ELNS1_11target_archE1030ELNS1_3gpuE2ELNS1_3repE0EEENS1_30default_config_static_selectorELNS0_4arch9wavefront6targetE1EEEvT1_
		.amdhsa_group_segment_fixed_size 0
		.amdhsa_private_segment_fixed_size 0
		.amdhsa_kernarg_size 40
		.amdhsa_user_sgpr_count 6
		.amdhsa_user_sgpr_private_segment_buffer 1
		.amdhsa_user_sgpr_dispatch_ptr 0
		.amdhsa_user_sgpr_queue_ptr 0
		.amdhsa_user_sgpr_kernarg_segment_ptr 1
		.amdhsa_user_sgpr_dispatch_id 0
		.amdhsa_user_sgpr_flat_scratch_init 0
		.amdhsa_user_sgpr_kernarg_preload_length 0
		.amdhsa_user_sgpr_kernarg_preload_offset 0
		.amdhsa_user_sgpr_private_segment_size 0
		.amdhsa_uses_dynamic_stack 0
		.amdhsa_system_sgpr_private_segment_wavefront_offset 0
		.amdhsa_system_sgpr_workgroup_id_x 1
		.amdhsa_system_sgpr_workgroup_id_y 0
		.amdhsa_system_sgpr_workgroup_id_z 0
		.amdhsa_system_sgpr_workgroup_info 0
		.amdhsa_system_vgpr_workitem_id 0
		.amdhsa_next_free_vgpr 1
		.amdhsa_next_free_sgpr 0
		.amdhsa_accum_offset 4
		.amdhsa_reserve_vcc 0
		.amdhsa_reserve_flat_scratch 0
		.amdhsa_float_round_mode_32 0
		.amdhsa_float_round_mode_16_64 0
		.amdhsa_float_denorm_mode_32 3
		.amdhsa_float_denorm_mode_16_64 3
		.amdhsa_dx10_clamp 1
		.amdhsa_ieee_mode 1
		.amdhsa_fp16_overflow 0
		.amdhsa_tg_split 0
		.amdhsa_exception_fp_ieee_invalid_op 0
		.amdhsa_exception_fp_denorm_src 0
		.amdhsa_exception_fp_ieee_div_zero 0
		.amdhsa_exception_fp_ieee_overflow 0
		.amdhsa_exception_fp_ieee_underflow 0
		.amdhsa_exception_fp_ieee_inexact 0
		.amdhsa_exception_int_div_zero 0
	.end_amdhsa_kernel
	.section	.text._ZN7rocprim17ROCPRIM_400000_NS6detail17trampoline_kernelINS0_14default_configENS1_20scan_config_selectorIyEEZZNS1_9scan_implILNS1_25lookback_scan_determinismE0ELb1ELb1ES3_N6thrust23THRUST_200600_302600_NS6detail15normal_iteratorINS9_10device_ptrIyEEEESE_y11max_functorIyEyEEDaPvRmT3_T4_T5_mT6_P12ihipStream_tbENKUlT_T0_E_clISt17integral_constantIbLb1EESU_EEDaSP_SQ_EUlSP_E0_NS1_11comp_targetILNS1_3genE8ELNS1_11target_archE1030ELNS1_3gpuE2ELNS1_3repE0EEENS1_30default_config_static_selectorELNS0_4arch9wavefront6targetE1EEEvT1_,"axG",@progbits,_ZN7rocprim17ROCPRIM_400000_NS6detail17trampoline_kernelINS0_14default_configENS1_20scan_config_selectorIyEEZZNS1_9scan_implILNS1_25lookback_scan_determinismE0ELb1ELb1ES3_N6thrust23THRUST_200600_302600_NS6detail15normal_iteratorINS9_10device_ptrIyEEEESE_y11max_functorIyEyEEDaPvRmT3_T4_T5_mT6_P12ihipStream_tbENKUlT_T0_E_clISt17integral_constantIbLb1EESU_EEDaSP_SQ_EUlSP_E0_NS1_11comp_targetILNS1_3genE8ELNS1_11target_archE1030ELNS1_3gpuE2ELNS1_3repE0EEENS1_30default_config_static_selectorELNS0_4arch9wavefront6targetE1EEEvT1_,comdat
.Lfunc_end2207:
	.size	_ZN7rocprim17ROCPRIM_400000_NS6detail17trampoline_kernelINS0_14default_configENS1_20scan_config_selectorIyEEZZNS1_9scan_implILNS1_25lookback_scan_determinismE0ELb1ELb1ES3_N6thrust23THRUST_200600_302600_NS6detail15normal_iteratorINS9_10device_ptrIyEEEESE_y11max_functorIyEyEEDaPvRmT3_T4_T5_mT6_P12ihipStream_tbENKUlT_T0_E_clISt17integral_constantIbLb1EESU_EEDaSP_SQ_EUlSP_E0_NS1_11comp_targetILNS1_3genE8ELNS1_11target_archE1030ELNS1_3gpuE2ELNS1_3repE0EEENS1_30default_config_static_selectorELNS0_4arch9wavefront6targetE1EEEvT1_, .Lfunc_end2207-_ZN7rocprim17ROCPRIM_400000_NS6detail17trampoline_kernelINS0_14default_configENS1_20scan_config_selectorIyEEZZNS1_9scan_implILNS1_25lookback_scan_determinismE0ELb1ELb1ES3_N6thrust23THRUST_200600_302600_NS6detail15normal_iteratorINS9_10device_ptrIyEEEESE_y11max_functorIyEyEEDaPvRmT3_T4_T5_mT6_P12ihipStream_tbENKUlT_T0_E_clISt17integral_constantIbLb1EESU_EEDaSP_SQ_EUlSP_E0_NS1_11comp_targetILNS1_3genE8ELNS1_11target_archE1030ELNS1_3gpuE2ELNS1_3repE0EEENS1_30default_config_static_selectorELNS0_4arch9wavefront6targetE1EEEvT1_
                                        ; -- End function
	.section	.AMDGPU.csdata,"",@progbits
; Kernel info:
; codeLenInByte = 0
; NumSgprs: 4
; NumVgprs: 0
; NumAgprs: 0
; TotalNumVgprs: 0
; ScratchSize: 0
; MemoryBound: 0
; FloatMode: 240
; IeeeMode: 1
; LDSByteSize: 0 bytes/workgroup (compile time only)
; SGPRBlocks: 0
; VGPRBlocks: 0
; NumSGPRsForWavesPerEU: 4
; NumVGPRsForWavesPerEU: 1
; AccumOffset: 4
; Occupancy: 8
; WaveLimiterHint : 0
; COMPUTE_PGM_RSRC2:SCRATCH_EN: 0
; COMPUTE_PGM_RSRC2:USER_SGPR: 6
; COMPUTE_PGM_RSRC2:TRAP_HANDLER: 0
; COMPUTE_PGM_RSRC2:TGID_X_EN: 1
; COMPUTE_PGM_RSRC2:TGID_Y_EN: 0
; COMPUTE_PGM_RSRC2:TGID_Z_EN: 0
; COMPUTE_PGM_RSRC2:TIDIG_COMP_CNT: 0
; COMPUTE_PGM_RSRC3_GFX90A:ACCUM_OFFSET: 0
; COMPUTE_PGM_RSRC3_GFX90A:TG_SPLIT: 0
	.section	.text._ZN7rocprim17ROCPRIM_400000_NS6detail17trampoline_kernelINS0_14default_configENS1_20scan_config_selectorIyEEZZNS1_9scan_implILNS1_25lookback_scan_determinismE0ELb1ELb1ES3_N6thrust23THRUST_200600_302600_NS6detail15normal_iteratorINS9_10device_ptrIyEEEESE_y11max_functorIyEyEEDaPvRmT3_T4_T5_mT6_P12ihipStream_tbENKUlT_T0_E_clISt17integral_constantIbLb1EEST_IbLb0EEEEDaSP_SQ_EUlSP_E_NS1_11comp_targetILNS1_3genE0ELNS1_11target_archE4294967295ELNS1_3gpuE0ELNS1_3repE0EEENS1_30default_config_static_selectorELNS0_4arch9wavefront6targetE1EEEvT1_,"axG",@progbits,_ZN7rocprim17ROCPRIM_400000_NS6detail17trampoline_kernelINS0_14default_configENS1_20scan_config_selectorIyEEZZNS1_9scan_implILNS1_25lookback_scan_determinismE0ELb1ELb1ES3_N6thrust23THRUST_200600_302600_NS6detail15normal_iteratorINS9_10device_ptrIyEEEESE_y11max_functorIyEyEEDaPvRmT3_T4_T5_mT6_P12ihipStream_tbENKUlT_T0_E_clISt17integral_constantIbLb1EEST_IbLb0EEEEDaSP_SQ_EUlSP_E_NS1_11comp_targetILNS1_3genE0ELNS1_11target_archE4294967295ELNS1_3gpuE0ELNS1_3repE0EEENS1_30default_config_static_selectorELNS0_4arch9wavefront6targetE1EEEvT1_,comdat
	.protected	_ZN7rocprim17ROCPRIM_400000_NS6detail17trampoline_kernelINS0_14default_configENS1_20scan_config_selectorIyEEZZNS1_9scan_implILNS1_25lookback_scan_determinismE0ELb1ELb1ES3_N6thrust23THRUST_200600_302600_NS6detail15normal_iteratorINS9_10device_ptrIyEEEESE_y11max_functorIyEyEEDaPvRmT3_T4_T5_mT6_P12ihipStream_tbENKUlT_T0_E_clISt17integral_constantIbLb1EEST_IbLb0EEEEDaSP_SQ_EUlSP_E_NS1_11comp_targetILNS1_3genE0ELNS1_11target_archE4294967295ELNS1_3gpuE0ELNS1_3repE0EEENS1_30default_config_static_selectorELNS0_4arch9wavefront6targetE1EEEvT1_ ; -- Begin function _ZN7rocprim17ROCPRIM_400000_NS6detail17trampoline_kernelINS0_14default_configENS1_20scan_config_selectorIyEEZZNS1_9scan_implILNS1_25lookback_scan_determinismE0ELb1ELb1ES3_N6thrust23THRUST_200600_302600_NS6detail15normal_iteratorINS9_10device_ptrIyEEEESE_y11max_functorIyEyEEDaPvRmT3_T4_T5_mT6_P12ihipStream_tbENKUlT_T0_E_clISt17integral_constantIbLb1EEST_IbLb0EEEEDaSP_SQ_EUlSP_E_NS1_11comp_targetILNS1_3genE0ELNS1_11target_archE4294967295ELNS1_3gpuE0ELNS1_3repE0EEENS1_30default_config_static_selectorELNS0_4arch9wavefront6targetE1EEEvT1_
	.globl	_ZN7rocprim17ROCPRIM_400000_NS6detail17trampoline_kernelINS0_14default_configENS1_20scan_config_selectorIyEEZZNS1_9scan_implILNS1_25lookback_scan_determinismE0ELb1ELb1ES3_N6thrust23THRUST_200600_302600_NS6detail15normal_iteratorINS9_10device_ptrIyEEEESE_y11max_functorIyEyEEDaPvRmT3_T4_T5_mT6_P12ihipStream_tbENKUlT_T0_E_clISt17integral_constantIbLb1EEST_IbLb0EEEEDaSP_SQ_EUlSP_E_NS1_11comp_targetILNS1_3genE0ELNS1_11target_archE4294967295ELNS1_3gpuE0ELNS1_3repE0EEENS1_30default_config_static_selectorELNS0_4arch9wavefront6targetE1EEEvT1_
	.p2align	8
	.type	_ZN7rocprim17ROCPRIM_400000_NS6detail17trampoline_kernelINS0_14default_configENS1_20scan_config_selectorIyEEZZNS1_9scan_implILNS1_25lookback_scan_determinismE0ELb1ELb1ES3_N6thrust23THRUST_200600_302600_NS6detail15normal_iteratorINS9_10device_ptrIyEEEESE_y11max_functorIyEyEEDaPvRmT3_T4_T5_mT6_P12ihipStream_tbENKUlT_T0_E_clISt17integral_constantIbLb1EEST_IbLb0EEEEDaSP_SQ_EUlSP_E_NS1_11comp_targetILNS1_3genE0ELNS1_11target_archE4294967295ELNS1_3gpuE0ELNS1_3repE0EEENS1_30default_config_static_selectorELNS0_4arch9wavefront6targetE1EEEvT1_,@function
_ZN7rocprim17ROCPRIM_400000_NS6detail17trampoline_kernelINS0_14default_configENS1_20scan_config_selectorIyEEZZNS1_9scan_implILNS1_25lookback_scan_determinismE0ELb1ELb1ES3_N6thrust23THRUST_200600_302600_NS6detail15normal_iteratorINS9_10device_ptrIyEEEESE_y11max_functorIyEyEEDaPvRmT3_T4_T5_mT6_P12ihipStream_tbENKUlT_T0_E_clISt17integral_constantIbLb1EEST_IbLb0EEEEDaSP_SQ_EUlSP_E_NS1_11comp_targetILNS1_3genE0ELNS1_11target_archE4294967295ELNS1_3gpuE0ELNS1_3repE0EEENS1_30default_config_static_selectorELNS0_4arch9wavefront6targetE1EEEvT1_: ; @_ZN7rocprim17ROCPRIM_400000_NS6detail17trampoline_kernelINS0_14default_configENS1_20scan_config_selectorIyEEZZNS1_9scan_implILNS1_25lookback_scan_determinismE0ELb1ELb1ES3_N6thrust23THRUST_200600_302600_NS6detail15normal_iteratorINS9_10device_ptrIyEEEESE_y11max_functorIyEyEEDaPvRmT3_T4_T5_mT6_P12ihipStream_tbENKUlT_T0_E_clISt17integral_constantIbLb1EEST_IbLb0EEEEDaSP_SQ_EUlSP_E_NS1_11comp_targetILNS1_3genE0ELNS1_11target_archE4294967295ELNS1_3gpuE0ELNS1_3repE0EEENS1_30default_config_static_selectorELNS0_4arch9wavefront6targetE1EEEvT1_
; %bb.0:
	.section	.rodata,"a",@progbits
	.p2align	6, 0x0
	.amdhsa_kernel _ZN7rocprim17ROCPRIM_400000_NS6detail17trampoline_kernelINS0_14default_configENS1_20scan_config_selectorIyEEZZNS1_9scan_implILNS1_25lookback_scan_determinismE0ELb1ELb1ES3_N6thrust23THRUST_200600_302600_NS6detail15normal_iteratorINS9_10device_ptrIyEEEESE_y11max_functorIyEyEEDaPvRmT3_T4_T5_mT6_P12ihipStream_tbENKUlT_T0_E_clISt17integral_constantIbLb1EEST_IbLb0EEEEDaSP_SQ_EUlSP_E_NS1_11comp_targetILNS1_3genE0ELNS1_11target_archE4294967295ELNS1_3gpuE0ELNS1_3repE0EEENS1_30default_config_static_selectorELNS0_4arch9wavefront6targetE1EEEvT1_
		.amdhsa_group_segment_fixed_size 0
		.amdhsa_private_segment_fixed_size 0
		.amdhsa_kernarg_size 104
		.amdhsa_user_sgpr_count 6
		.amdhsa_user_sgpr_private_segment_buffer 1
		.amdhsa_user_sgpr_dispatch_ptr 0
		.amdhsa_user_sgpr_queue_ptr 0
		.amdhsa_user_sgpr_kernarg_segment_ptr 1
		.amdhsa_user_sgpr_dispatch_id 0
		.amdhsa_user_sgpr_flat_scratch_init 0
		.amdhsa_user_sgpr_kernarg_preload_length 0
		.amdhsa_user_sgpr_kernarg_preload_offset 0
		.amdhsa_user_sgpr_private_segment_size 0
		.amdhsa_uses_dynamic_stack 0
		.amdhsa_system_sgpr_private_segment_wavefront_offset 0
		.amdhsa_system_sgpr_workgroup_id_x 1
		.amdhsa_system_sgpr_workgroup_id_y 0
		.amdhsa_system_sgpr_workgroup_id_z 0
		.amdhsa_system_sgpr_workgroup_info 0
		.amdhsa_system_vgpr_workitem_id 0
		.amdhsa_next_free_vgpr 1
		.amdhsa_next_free_sgpr 0
		.amdhsa_accum_offset 4
		.amdhsa_reserve_vcc 0
		.amdhsa_reserve_flat_scratch 0
		.amdhsa_float_round_mode_32 0
		.amdhsa_float_round_mode_16_64 0
		.amdhsa_float_denorm_mode_32 3
		.amdhsa_float_denorm_mode_16_64 3
		.amdhsa_dx10_clamp 1
		.amdhsa_ieee_mode 1
		.amdhsa_fp16_overflow 0
		.amdhsa_tg_split 0
		.amdhsa_exception_fp_ieee_invalid_op 0
		.amdhsa_exception_fp_denorm_src 0
		.amdhsa_exception_fp_ieee_div_zero 0
		.amdhsa_exception_fp_ieee_overflow 0
		.amdhsa_exception_fp_ieee_underflow 0
		.amdhsa_exception_fp_ieee_inexact 0
		.amdhsa_exception_int_div_zero 0
	.end_amdhsa_kernel
	.section	.text._ZN7rocprim17ROCPRIM_400000_NS6detail17trampoline_kernelINS0_14default_configENS1_20scan_config_selectorIyEEZZNS1_9scan_implILNS1_25lookback_scan_determinismE0ELb1ELb1ES3_N6thrust23THRUST_200600_302600_NS6detail15normal_iteratorINS9_10device_ptrIyEEEESE_y11max_functorIyEyEEDaPvRmT3_T4_T5_mT6_P12ihipStream_tbENKUlT_T0_E_clISt17integral_constantIbLb1EEST_IbLb0EEEEDaSP_SQ_EUlSP_E_NS1_11comp_targetILNS1_3genE0ELNS1_11target_archE4294967295ELNS1_3gpuE0ELNS1_3repE0EEENS1_30default_config_static_selectorELNS0_4arch9wavefront6targetE1EEEvT1_,"axG",@progbits,_ZN7rocprim17ROCPRIM_400000_NS6detail17trampoline_kernelINS0_14default_configENS1_20scan_config_selectorIyEEZZNS1_9scan_implILNS1_25lookback_scan_determinismE0ELb1ELb1ES3_N6thrust23THRUST_200600_302600_NS6detail15normal_iteratorINS9_10device_ptrIyEEEESE_y11max_functorIyEyEEDaPvRmT3_T4_T5_mT6_P12ihipStream_tbENKUlT_T0_E_clISt17integral_constantIbLb1EEST_IbLb0EEEEDaSP_SQ_EUlSP_E_NS1_11comp_targetILNS1_3genE0ELNS1_11target_archE4294967295ELNS1_3gpuE0ELNS1_3repE0EEENS1_30default_config_static_selectorELNS0_4arch9wavefront6targetE1EEEvT1_,comdat
.Lfunc_end2208:
	.size	_ZN7rocprim17ROCPRIM_400000_NS6detail17trampoline_kernelINS0_14default_configENS1_20scan_config_selectorIyEEZZNS1_9scan_implILNS1_25lookback_scan_determinismE0ELb1ELb1ES3_N6thrust23THRUST_200600_302600_NS6detail15normal_iteratorINS9_10device_ptrIyEEEESE_y11max_functorIyEyEEDaPvRmT3_T4_T5_mT6_P12ihipStream_tbENKUlT_T0_E_clISt17integral_constantIbLb1EEST_IbLb0EEEEDaSP_SQ_EUlSP_E_NS1_11comp_targetILNS1_3genE0ELNS1_11target_archE4294967295ELNS1_3gpuE0ELNS1_3repE0EEENS1_30default_config_static_selectorELNS0_4arch9wavefront6targetE1EEEvT1_, .Lfunc_end2208-_ZN7rocprim17ROCPRIM_400000_NS6detail17trampoline_kernelINS0_14default_configENS1_20scan_config_selectorIyEEZZNS1_9scan_implILNS1_25lookback_scan_determinismE0ELb1ELb1ES3_N6thrust23THRUST_200600_302600_NS6detail15normal_iteratorINS9_10device_ptrIyEEEESE_y11max_functorIyEyEEDaPvRmT3_T4_T5_mT6_P12ihipStream_tbENKUlT_T0_E_clISt17integral_constantIbLb1EEST_IbLb0EEEEDaSP_SQ_EUlSP_E_NS1_11comp_targetILNS1_3genE0ELNS1_11target_archE4294967295ELNS1_3gpuE0ELNS1_3repE0EEENS1_30default_config_static_selectorELNS0_4arch9wavefront6targetE1EEEvT1_
                                        ; -- End function
	.section	.AMDGPU.csdata,"",@progbits
; Kernel info:
; codeLenInByte = 0
; NumSgprs: 4
; NumVgprs: 0
; NumAgprs: 0
; TotalNumVgprs: 0
; ScratchSize: 0
; MemoryBound: 0
; FloatMode: 240
; IeeeMode: 1
; LDSByteSize: 0 bytes/workgroup (compile time only)
; SGPRBlocks: 0
; VGPRBlocks: 0
; NumSGPRsForWavesPerEU: 4
; NumVGPRsForWavesPerEU: 1
; AccumOffset: 4
; Occupancy: 8
; WaveLimiterHint : 0
; COMPUTE_PGM_RSRC2:SCRATCH_EN: 0
; COMPUTE_PGM_RSRC2:USER_SGPR: 6
; COMPUTE_PGM_RSRC2:TRAP_HANDLER: 0
; COMPUTE_PGM_RSRC2:TGID_X_EN: 1
; COMPUTE_PGM_RSRC2:TGID_Y_EN: 0
; COMPUTE_PGM_RSRC2:TGID_Z_EN: 0
; COMPUTE_PGM_RSRC2:TIDIG_COMP_CNT: 0
; COMPUTE_PGM_RSRC3_GFX90A:ACCUM_OFFSET: 0
; COMPUTE_PGM_RSRC3_GFX90A:TG_SPLIT: 0
	.section	.text._ZN7rocprim17ROCPRIM_400000_NS6detail17trampoline_kernelINS0_14default_configENS1_20scan_config_selectorIyEEZZNS1_9scan_implILNS1_25lookback_scan_determinismE0ELb1ELb1ES3_N6thrust23THRUST_200600_302600_NS6detail15normal_iteratorINS9_10device_ptrIyEEEESE_y11max_functorIyEyEEDaPvRmT3_T4_T5_mT6_P12ihipStream_tbENKUlT_T0_E_clISt17integral_constantIbLb1EEST_IbLb0EEEEDaSP_SQ_EUlSP_E_NS1_11comp_targetILNS1_3genE5ELNS1_11target_archE942ELNS1_3gpuE9ELNS1_3repE0EEENS1_30default_config_static_selectorELNS0_4arch9wavefront6targetE1EEEvT1_,"axG",@progbits,_ZN7rocprim17ROCPRIM_400000_NS6detail17trampoline_kernelINS0_14default_configENS1_20scan_config_selectorIyEEZZNS1_9scan_implILNS1_25lookback_scan_determinismE0ELb1ELb1ES3_N6thrust23THRUST_200600_302600_NS6detail15normal_iteratorINS9_10device_ptrIyEEEESE_y11max_functorIyEyEEDaPvRmT3_T4_T5_mT6_P12ihipStream_tbENKUlT_T0_E_clISt17integral_constantIbLb1EEST_IbLb0EEEEDaSP_SQ_EUlSP_E_NS1_11comp_targetILNS1_3genE5ELNS1_11target_archE942ELNS1_3gpuE9ELNS1_3repE0EEENS1_30default_config_static_selectorELNS0_4arch9wavefront6targetE1EEEvT1_,comdat
	.protected	_ZN7rocprim17ROCPRIM_400000_NS6detail17trampoline_kernelINS0_14default_configENS1_20scan_config_selectorIyEEZZNS1_9scan_implILNS1_25lookback_scan_determinismE0ELb1ELb1ES3_N6thrust23THRUST_200600_302600_NS6detail15normal_iteratorINS9_10device_ptrIyEEEESE_y11max_functorIyEyEEDaPvRmT3_T4_T5_mT6_P12ihipStream_tbENKUlT_T0_E_clISt17integral_constantIbLb1EEST_IbLb0EEEEDaSP_SQ_EUlSP_E_NS1_11comp_targetILNS1_3genE5ELNS1_11target_archE942ELNS1_3gpuE9ELNS1_3repE0EEENS1_30default_config_static_selectorELNS0_4arch9wavefront6targetE1EEEvT1_ ; -- Begin function _ZN7rocprim17ROCPRIM_400000_NS6detail17trampoline_kernelINS0_14default_configENS1_20scan_config_selectorIyEEZZNS1_9scan_implILNS1_25lookback_scan_determinismE0ELb1ELb1ES3_N6thrust23THRUST_200600_302600_NS6detail15normal_iteratorINS9_10device_ptrIyEEEESE_y11max_functorIyEyEEDaPvRmT3_T4_T5_mT6_P12ihipStream_tbENKUlT_T0_E_clISt17integral_constantIbLb1EEST_IbLb0EEEEDaSP_SQ_EUlSP_E_NS1_11comp_targetILNS1_3genE5ELNS1_11target_archE942ELNS1_3gpuE9ELNS1_3repE0EEENS1_30default_config_static_selectorELNS0_4arch9wavefront6targetE1EEEvT1_
	.globl	_ZN7rocprim17ROCPRIM_400000_NS6detail17trampoline_kernelINS0_14default_configENS1_20scan_config_selectorIyEEZZNS1_9scan_implILNS1_25lookback_scan_determinismE0ELb1ELb1ES3_N6thrust23THRUST_200600_302600_NS6detail15normal_iteratorINS9_10device_ptrIyEEEESE_y11max_functorIyEyEEDaPvRmT3_T4_T5_mT6_P12ihipStream_tbENKUlT_T0_E_clISt17integral_constantIbLb1EEST_IbLb0EEEEDaSP_SQ_EUlSP_E_NS1_11comp_targetILNS1_3genE5ELNS1_11target_archE942ELNS1_3gpuE9ELNS1_3repE0EEENS1_30default_config_static_selectorELNS0_4arch9wavefront6targetE1EEEvT1_
	.p2align	8
	.type	_ZN7rocprim17ROCPRIM_400000_NS6detail17trampoline_kernelINS0_14default_configENS1_20scan_config_selectorIyEEZZNS1_9scan_implILNS1_25lookback_scan_determinismE0ELb1ELb1ES3_N6thrust23THRUST_200600_302600_NS6detail15normal_iteratorINS9_10device_ptrIyEEEESE_y11max_functorIyEyEEDaPvRmT3_T4_T5_mT6_P12ihipStream_tbENKUlT_T0_E_clISt17integral_constantIbLb1EEST_IbLb0EEEEDaSP_SQ_EUlSP_E_NS1_11comp_targetILNS1_3genE5ELNS1_11target_archE942ELNS1_3gpuE9ELNS1_3repE0EEENS1_30default_config_static_selectorELNS0_4arch9wavefront6targetE1EEEvT1_,@function
_ZN7rocprim17ROCPRIM_400000_NS6detail17trampoline_kernelINS0_14default_configENS1_20scan_config_selectorIyEEZZNS1_9scan_implILNS1_25lookback_scan_determinismE0ELb1ELb1ES3_N6thrust23THRUST_200600_302600_NS6detail15normal_iteratorINS9_10device_ptrIyEEEESE_y11max_functorIyEyEEDaPvRmT3_T4_T5_mT6_P12ihipStream_tbENKUlT_T0_E_clISt17integral_constantIbLb1EEST_IbLb0EEEEDaSP_SQ_EUlSP_E_NS1_11comp_targetILNS1_3genE5ELNS1_11target_archE942ELNS1_3gpuE9ELNS1_3repE0EEENS1_30default_config_static_selectorELNS0_4arch9wavefront6targetE1EEEvT1_: ; @_ZN7rocprim17ROCPRIM_400000_NS6detail17trampoline_kernelINS0_14default_configENS1_20scan_config_selectorIyEEZZNS1_9scan_implILNS1_25lookback_scan_determinismE0ELb1ELb1ES3_N6thrust23THRUST_200600_302600_NS6detail15normal_iteratorINS9_10device_ptrIyEEEESE_y11max_functorIyEyEEDaPvRmT3_T4_T5_mT6_P12ihipStream_tbENKUlT_T0_E_clISt17integral_constantIbLb1EEST_IbLb0EEEEDaSP_SQ_EUlSP_E_NS1_11comp_targetILNS1_3genE5ELNS1_11target_archE942ELNS1_3gpuE9ELNS1_3repE0EEENS1_30default_config_static_selectorELNS0_4arch9wavefront6targetE1EEEvT1_
; %bb.0:
	.section	.rodata,"a",@progbits
	.p2align	6, 0x0
	.amdhsa_kernel _ZN7rocprim17ROCPRIM_400000_NS6detail17trampoline_kernelINS0_14default_configENS1_20scan_config_selectorIyEEZZNS1_9scan_implILNS1_25lookback_scan_determinismE0ELb1ELb1ES3_N6thrust23THRUST_200600_302600_NS6detail15normal_iteratorINS9_10device_ptrIyEEEESE_y11max_functorIyEyEEDaPvRmT3_T4_T5_mT6_P12ihipStream_tbENKUlT_T0_E_clISt17integral_constantIbLb1EEST_IbLb0EEEEDaSP_SQ_EUlSP_E_NS1_11comp_targetILNS1_3genE5ELNS1_11target_archE942ELNS1_3gpuE9ELNS1_3repE0EEENS1_30default_config_static_selectorELNS0_4arch9wavefront6targetE1EEEvT1_
		.amdhsa_group_segment_fixed_size 0
		.amdhsa_private_segment_fixed_size 0
		.amdhsa_kernarg_size 104
		.amdhsa_user_sgpr_count 6
		.amdhsa_user_sgpr_private_segment_buffer 1
		.amdhsa_user_sgpr_dispatch_ptr 0
		.amdhsa_user_sgpr_queue_ptr 0
		.amdhsa_user_sgpr_kernarg_segment_ptr 1
		.amdhsa_user_sgpr_dispatch_id 0
		.amdhsa_user_sgpr_flat_scratch_init 0
		.amdhsa_user_sgpr_kernarg_preload_length 0
		.amdhsa_user_sgpr_kernarg_preload_offset 0
		.amdhsa_user_sgpr_private_segment_size 0
		.amdhsa_uses_dynamic_stack 0
		.amdhsa_system_sgpr_private_segment_wavefront_offset 0
		.amdhsa_system_sgpr_workgroup_id_x 1
		.amdhsa_system_sgpr_workgroup_id_y 0
		.amdhsa_system_sgpr_workgroup_id_z 0
		.amdhsa_system_sgpr_workgroup_info 0
		.amdhsa_system_vgpr_workitem_id 0
		.amdhsa_next_free_vgpr 1
		.amdhsa_next_free_sgpr 0
		.amdhsa_accum_offset 4
		.amdhsa_reserve_vcc 0
		.amdhsa_reserve_flat_scratch 0
		.amdhsa_float_round_mode_32 0
		.amdhsa_float_round_mode_16_64 0
		.amdhsa_float_denorm_mode_32 3
		.amdhsa_float_denorm_mode_16_64 3
		.amdhsa_dx10_clamp 1
		.amdhsa_ieee_mode 1
		.amdhsa_fp16_overflow 0
		.amdhsa_tg_split 0
		.amdhsa_exception_fp_ieee_invalid_op 0
		.amdhsa_exception_fp_denorm_src 0
		.amdhsa_exception_fp_ieee_div_zero 0
		.amdhsa_exception_fp_ieee_overflow 0
		.amdhsa_exception_fp_ieee_underflow 0
		.amdhsa_exception_fp_ieee_inexact 0
		.amdhsa_exception_int_div_zero 0
	.end_amdhsa_kernel
	.section	.text._ZN7rocprim17ROCPRIM_400000_NS6detail17trampoline_kernelINS0_14default_configENS1_20scan_config_selectorIyEEZZNS1_9scan_implILNS1_25lookback_scan_determinismE0ELb1ELb1ES3_N6thrust23THRUST_200600_302600_NS6detail15normal_iteratorINS9_10device_ptrIyEEEESE_y11max_functorIyEyEEDaPvRmT3_T4_T5_mT6_P12ihipStream_tbENKUlT_T0_E_clISt17integral_constantIbLb1EEST_IbLb0EEEEDaSP_SQ_EUlSP_E_NS1_11comp_targetILNS1_3genE5ELNS1_11target_archE942ELNS1_3gpuE9ELNS1_3repE0EEENS1_30default_config_static_selectorELNS0_4arch9wavefront6targetE1EEEvT1_,"axG",@progbits,_ZN7rocprim17ROCPRIM_400000_NS6detail17trampoline_kernelINS0_14default_configENS1_20scan_config_selectorIyEEZZNS1_9scan_implILNS1_25lookback_scan_determinismE0ELb1ELb1ES3_N6thrust23THRUST_200600_302600_NS6detail15normal_iteratorINS9_10device_ptrIyEEEESE_y11max_functorIyEyEEDaPvRmT3_T4_T5_mT6_P12ihipStream_tbENKUlT_T0_E_clISt17integral_constantIbLb1EEST_IbLb0EEEEDaSP_SQ_EUlSP_E_NS1_11comp_targetILNS1_3genE5ELNS1_11target_archE942ELNS1_3gpuE9ELNS1_3repE0EEENS1_30default_config_static_selectorELNS0_4arch9wavefront6targetE1EEEvT1_,comdat
.Lfunc_end2209:
	.size	_ZN7rocprim17ROCPRIM_400000_NS6detail17trampoline_kernelINS0_14default_configENS1_20scan_config_selectorIyEEZZNS1_9scan_implILNS1_25lookback_scan_determinismE0ELb1ELb1ES3_N6thrust23THRUST_200600_302600_NS6detail15normal_iteratorINS9_10device_ptrIyEEEESE_y11max_functorIyEyEEDaPvRmT3_T4_T5_mT6_P12ihipStream_tbENKUlT_T0_E_clISt17integral_constantIbLb1EEST_IbLb0EEEEDaSP_SQ_EUlSP_E_NS1_11comp_targetILNS1_3genE5ELNS1_11target_archE942ELNS1_3gpuE9ELNS1_3repE0EEENS1_30default_config_static_selectorELNS0_4arch9wavefront6targetE1EEEvT1_, .Lfunc_end2209-_ZN7rocprim17ROCPRIM_400000_NS6detail17trampoline_kernelINS0_14default_configENS1_20scan_config_selectorIyEEZZNS1_9scan_implILNS1_25lookback_scan_determinismE0ELb1ELb1ES3_N6thrust23THRUST_200600_302600_NS6detail15normal_iteratorINS9_10device_ptrIyEEEESE_y11max_functorIyEyEEDaPvRmT3_T4_T5_mT6_P12ihipStream_tbENKUlT_T0_E_clISt17integral_constantIbLb1EEST_IbLb0EEEEDaSP_SQ_EUlSP_E_NS1_11comp_targetILNS1_3genE5ELNS1_11target_archE942ELNS1_3gpuE9ELNS1_3repE0EEENS1_30default_config_static_selectorELNS0_4arch9wavefront6targetE1EEEvT1_
                                        ; -- End function
	.section	.AMDGPU.csdata,"",@progbits
; Kernel info:
; codeLenInByte = 0
; NumSgprs: 4
; NumVgprs: 0
; NumAgprs: 0
; TotalNumVgprs: 0
; ScratchSize: 0
; MemoryBound: 0
; FloatMode: 240
; IeeeMode: 1
; LDSByteSize: 0 bytes/workgroup (compile time only)
; SGPRBlocks: 0
; VGPRBlocks: 0
; NumSGPRsForWavesPerEU: 4
; NumVGPRsForWavesPerEU: 1
; AccumOffset: 4
; Occupancy: 8
; WaveLimiterHint : 0
; COMPUTE_PGM_RSRC2:SCRATCH_EN: 0
; COMPUTE_PGM_RSRC2:USER_SGPR: 6
; COMPUTE_PGM_RSRC2:TRAP_HANDLER: 0
; COMPUTE_PGM_RSRC2:TGID_X_EN: 1
; COMPUTE_PGM_RSRC2:TGID_Y_EN: 0
; COMPUTE_PGM_RSRC2:TGID_Z_EN: 0
; COMPUTE_PGM_RSRC2:TIDIG_COMP_CNT: 0
; COMPUTE_PGM_RSRC3_GFX90A:ACCUM_OFFSET: 0
; COMPUTE_PGM_RSRC3_GFX90A:TG_SPLIT: 0
	.section	.text._ZN7rocprim17ROCPRIM_400000_NS6detail17trampoline_kernelINS0_14default_configENS1_20scan_config_selectorIyEEZZNS1_9scan_implILNS1_25lookback_scan_determinismE0ELb1ELb1ES3_N6thrust23THRUST_200600_302600_NS6detail15normal_iteratorINS9_10device_ptrIyEEEESE_y11max_functorIyEyEEDaPvRmT3_T4_T5_mT6_P12ihipStream_tbENKUlT_T0_E_clISt17integral_constantIbLb1EEST_IbLb0EEEEDaSP_SQ_EUlSP_E_NS1_11comp_targetILNS1_3genE4ELNS1_11target_archE910ELNS1_3gpuE8ELNS1_3repE0EEENS1_30default_config_static_selectorELNS0_4arch9wavefront6targetE1EEEvT1_,"axG",@progbits,_ZN7rocprim17ROCPRIM_400000_NS6detail17trampoline_kernelINS0_14default_configENS1_20scan_config_selectorIyEEZZNS1_9scan_implILNS1_25lookback_scan_determinismE0ELb1ELb1ES3_N6thrust23THRUST_200600_302600_NS6detail15normal_iteratorINS9_10device_ptrIyEEEESE_y11max_functorIyEyEEDaPvRmT3_T4_T5_mT6_P12ihipStream_tbENKUlT_T0_E_clISt17integral_constantIbLb1EEST_IbLb0EEEEDaSP_SQ_EUlSP_E_NS1_11comp_targetILNS1_3genE4ELNS1_11target_archE910ELNS1_3gpuE8ELNS1_3repE0EEENS1_30default_config_static_selectorELNS0_4arch9wavefront6targetE1EEEvT1_,comdat
	.protected	_ZN7rocprim17ROCPRIM_400000_NS6detail17trampoline_kernelINS0_14default_configENS1_20scan_config_selectorIyEEZZNS1_9scan_implILNS1_25lookback_scan_determinismE0ELb1ELb1ES3_N6thrust23THRUST_200600_302600_NS6detail15normal_iteratorINS9_10device_ptrIyEEEESE_y11max_functorIyEyEEDaPvRmT3_T4_T5_mT6_P12ihipStream_tbENKUlT_T0_E_clISt17integral_constantIbLb1EEST_IbLb0EEEEDaSP_SQ_EUlSP_E_NS1_11comp_targetILNS1_3genE4ELNS1_11target_archE910ELNS1_3gpuE8ELNS1_3repE0EEENS1_30default_config_static_selectorELNS0_4arch9wavefront6targetE1EEEvT1_ ; -- Begin function _ZN7rocprim17ROCPRIM_400000_NS6detail17trampoline_kernelINS0_14default_configENS1_20scan_config_selectorIyEEZZNS1_9scan_implILNS1_25lookback_scan_determinismE0ELb1ELb1ES3_N6thrust23THRUST_200600_302600_NS6detail15normal_iteratorINS9_10device_ptrIyEEEESE_y11max_functorIyEyEEDaPvRmT3_T4_T5_mT6_P12ihipStream_tbENKUlT_T0_E_clISt17integral_constantIbLb1EEST_IbLb0EEEEDaSP_SQ_EUlSP_E_NS1_11comp_targetILNS1_3genE4ELNS1_11target_archE910ELNS1_3gpuE8ELNS1_3repE0EEENS1_30default_config_static_selectorELNS0_4arch9wavefront6targetE1EEEvT1_
	.globl	_ZN7rocprim17ROCPRIM_400000_NS6detail17trampoline_kernelINS0_14default_configENS1_20scan_config_selectorIyEEZZNS1_9scan_implILNS1_25lookback_scan_determinismE0ELb1ELb1ES3_N6thrust23THRUST_200600_302600_NS6detail15normal_iteratorINS9_10device_ptrIyEEEESE_y11max_functorIyEyEEDaPvRmT3_T4_T5_mT6_P12ihipStream_tbENKUlT_T0_E_clISt17integral_constantIbLb1EEST_IbLb0EEEEDaSP_SQ_EUlSP_E_NS1_11comp_targetILNS1_3genE4ELNS1_11target_archE910ELNS1_3gpuE8ELNS1_3repE0EEENS1_30default_config_static_selectorELNS0_4arch9wavefront6targetE1EEEvT1_
	.p2align	8
	.type	_ZN7rocprim17ROCPRIM_400000_NS6detail17trampoline_kernelINS0_14default_configENS1_20scan_config_selectorIyEEZZNS1_9scan_implILNS1_25lookback_scan_determinismE0ELb1ELb1ES3_N6thrust23THRUST_200600_302600_NS6detail15normal_iteratorINS9_10device_ptrIyEEEESE_y11max_functorIyEyEEDaPvRmT3_T4_T5_mT6_P12ihipStream_tbENKUlT_T0_E_clISt17integral_constantIbLb1EEST_IbLb0EEEEDaSP_SQ_EUlSP_E_NS1_11comp_targetILNS1_3genE4ELNS1_11target_archE910ELNS1_3gpuE8ELNS1_3repE0EEENS1_30default_config_static_selectorELNS0_4arch9wavefront6targetE1EEEvT1_,@function
_ZN7rocprim17ROCPRIM_400000_NS6detail17trampoline_kernelINS0_14default_configENS1_20scan_config_selectorIyEEZZNS1_9scan_implILNS1_25lookback_scan_determinismE0ELb1ELb1ES3_N6thrust23THRUST_200600_302600_NS6detail15normal_iteratorINS9_10device_ptrIyEEEESE_y11max_functorIyEyEEDaPvRmT3_T4_T5_mT6_P12ihipStream_tbENKUlT_T0_E_clISt17integral_constantIbLb1EEST_IbLb0EEEEDaSP_SQ_EUlSP_E_NS1_11comp_targetILNS1_3genE4ELNS1_11target_archE910ELNS1_3gpuE8ELNS1_3repE0EEENS1_30default_config_static_selectorELNS0_4arch9wavefront6targetE1EEEvT1_: ; @_ZN7rocprim17ROCPRIM_400000_NS6detail17trampoline_kernelINS0_14default_configENS1_20scan_config_selectorIyEEZZNS1_9scan_implILNS1_25lookback_scan_determinismE0ELb1ELb1ES3_N6thrust23THRUST_200600_302600_NS6detail15normal_iteratorINS9_10device_ptrIyEEEESE_y11max_functorIyEyEEDaPvRmT3_T4_T5_mT6_P12ihipStream_tbENKUlT_T0_E_clISt17integral_constantIbLb1EEST_IbLb0EEEEDaSP_SQ_EUlSP_E_NS1_11comp_targetILNS1_3genE4ELNS1_11target_archE910ELNS1_3gpuE8ELNS1_3repE0EEENS1_30default_config_static_selectorELNS0_4arch9wavefront6targetE1EEEvT1_
; %bb.0:
	s_load_dwordx8 s[12:19], s[4:5], 0x0
	s_load_dword s1, s[4:5], 0x38
	s_mul_i32 s0, s6, 0x380
	v_lshlrev_b32_e32 v36, 3, v0
	s_waitcnt lgkmcnt(0)
	s_lshl_b64 s[20:21], s[14:15], 3
	s_add_u32 s33, s12, s20
	s_addc_u32 s34, s13, s21
	s_add_i32 s2, s1, -1
	s_mul_i32 s3, s2, 0x380
	s_sub_u32 s30, s18, s3
	s_subb_u32 s31, s19, 0
	s_mov_b32 s1, 0
	s_cmp_lg_u32 s6, s2
	s_cselect_b64 s[18:19], -1, 0
	s_lshl_b64 s[22:23], s[0:1], 3
	s_add_u32 s2, s33, s22
	s_addc_u32 s3, s34, s23
	s_mov_b64 s[0:1], -1
	s_and_b64 vcc, exec, s[18:19]
	s_cbranch_vccz .LBB2210_2
; %bb.1:
	v_mov_b32_e32 v1, s3
	v_add_co_u32_e32 v2, vcc, s2, v36
	v_addc_co_u32_e32 v3, vcc, 0, v1, vcc
	flat_load_dwordx2 v[4:5], v[2:3]
	flat_load_dwordx2 v[6:7], v[2:3] offset:1024
	flat_load_dwordx2 v[8:9], v[2:3] offset:2048
	;; [unrolled: 1-line block ×3, first 2 shown]
	v_add_co_u32_e32 v2, vcc, 0x1000, v2
	v_addc_co_u32_e32 v3, vcc, 0, v3, vcc
	flat_load_dwordx2 v[12:13], v[2:3]
	flat_load_dwordx2 v[14:15], v[2:3] offset:1024
	flat_load_dwordx2 v[16:17], v[2:3] offset:2048
	s_mov_b64 s[0:1], 0
	s_waitcnt vmcnt(0) lgkmcnt(0)
	ds_write2st64_b64 v36, v[4:5], v[6:7] offset1:2
	ds_write2st64_b64 v36, v[8:9], v[10:11] offset0:4 offset1:6
	ds_write2st64_b64 v36, v[12:13], v[14:15] offset0:8 offset1:10
	ds_write_b64 v36, v[16:17] offset:6144
	s_waitcnt lgkmcnt(0)
	s_barrier
.LBB2210_2:
	s_load_dwordx2 s[26:27], s[4:5], 0x20
	s_load_dwordx2 s[24:25], s[4:5], 0x30
	s_andn2_b64 vcc, exec, s[0:1]
	v_cmp_gt_u32_e64 s[0:1], s30, v0
	s_cbranch_vccnz .LBB2210_18
; %bb.3:
	v_pk_mov_b32 v[2:3], s[2:3], s[2:3] op_sel:[0,1]
	flat_load_dwordx2 v[2:3], v[2:3]
	s_waitcnt vmcnt(0) lgkmcnt(0)
	v_mov_b32_e32 v4, v2
	v_mov_b32_e32 v5, v3
	;; [unrolled: 1-line block ×10, first 2 shown]
	v_pk_mov_b32 v[18:19], v[14:15], v[14:15] op_sel:[0,1]
	v_pk_mov_b32 v[16:17], v[12:13], v[12:13] op_sel:[0,1]
	;; [unrolled: 1-line block ×8, first 2 shown]
	s_and_saveexec_b64 s[8:9], s[0:1]
	s_cbranch_execz .LBB2210_5
; %bb.4:
	v_mov_b32_e32 v1, s3
	v_add_co_u32_e32 v4, vcc, s2, v36
	v_addc_co_u32_e32 v5, vcc, 0, v1, vcc
	flat_load_dwordx2 v[20:21], v[4:5]
	v_mov_b32_e32 v4, v2
	v_mov_b32_e32 v5, v3
	;; [unrolled: 1-line block ×10, first 2 shown]
	v_pk_mov_b32 v[18:19], v[14:15], v[14:15] op_sel:[0,1]
	v_pk_mov_b32 v[16:17], v[12:13], v[12:13] op_sel:[0,1]
	;; [unrolled: 1-line block ×8, first 2 shown]
	s_waitcnt vmcnt(0) lgkmcnt(0)
	v_pk_mov_b32 v[2:3], v[20:21], v[20:21] op_sel:[0,1]
.LBB2210_5:
	s_or_b64 exec, exec, s[8:9]
	v_or_b32_e32 v1, 0x80, v0
	v_cmp_gt_u32_e32 vcc, s30, v1
	s_and_saveexec_b64 s[0:1], vcc
	s_cbranch_execz .LBB2210_7
; %bb.6:
	v_mov_b32_e32 v1, s3
	v_add_co_u32_e32 v4, vcc, s2, v36
	v_addc_co_u32_e32 v5, vcc, 0, v1, vcc
	flat_load_dwordx2 v[6:7], v[4:5] offset:1024
.LBB2210_7:
	s_or_b64 exec, exec, s[0:1]
	v_or_b32_e32 v1, 0x100, v0
	v_cmp_gt_u32_e32 vcc, s30, v1
	s_and_saveexec_b64 s[0:1], vcc
	s_cbranch_execz .LBB2210_9
; %bb.8:
	v_mov_b32_e32 v1, s3
	v_add_co_u32_e32 v4, vcc, s2, v36
	v_addc_co_u32_e32 v5, vcc, 0, v1, vcc
	flat_load_dwordx2 v[8:9], v[4:5] offset:2048
.LBB2210_9:
	s_or_b64 exec, exec, s[0:1]
	v_or_b32_e32 v1, 0x180, v0
	v_cmp_gt_u32_e32 vcc, s30, v1
	s_and_saveexec_b64 s[0:1], vcc
	s_cbranch_execz .LBB2210_11
; %bb.10:
	v_mov_b32_e32 v1, s3
	v_add_co_u32_e32 v4, vcc, s2, v36
	v_addc_co_u32_e32 v5, vcc, 0, v1, vcc
	flat_load_dwordx2 v[10:11], v[4:5] offset:3072
.LBB2210_11:
	s_or_b64 exec, exec, s[0:1]
	v_or_b32_e32 v1, 0x200, v0
	v_cmp_gt_u32_e32 vcc, s30, v1
	s_and_saveexec_b64 s[0:1], vcc
	s_cbranch_execz .LBB2210_13
; %bb.12:
	v_lshlrev_b32_e32 v1, 3, v1
	v_mov_b32_e32 v5, s3
	v_add_co_u32_e32 v4, vcc, s2, v1
	v_addc_co_u32_e32 v5, vcc, 0, v5, vcc
	flat_load_dwordx2 v[12:13], v[4:5]
.LBB2210_13:
	s_or_b64 exec, exec, s[0:1]
	v_or_b32_e32 v1, 0x280, v0
	v_cmp_gt_u32_e32 vcc, s30, v1
	s_and_saveexec_b64 s[0:1], vcc
	s_cbranch_execz .LBB2210_15
; %bb.14:
	v_lshlrev_b32_e32 v1, 3, v1
	v_mov_b32_e32 v5, s3
	v_add_co_u32_e32 v4, vcc, s2, v1
	v_addc_co_u32_e32 v5, vcc, 0, v5, vcc
	flat_load_dwordx2 v[14:15], v[4:5]
.LBB2210_15:
	;; [unrolled: 12-line block ×3, first 2 shown]
	s_or_b64 exec, exec, s[0:1]
	s_waitcnt vmcnt(0) lgkmcnt(0)
	ds_write2st64_b64 v36, v[2:3], v[6:7] offset1:2
	ds_write2st64_b64 v36, v[8:9], v[10:11] offset0:4 offset1:6
	ds_write2st64_b64 v36, v[12:13], v[14:15] offset0:8 offset1:10
	ds_write_b64 v36, v[16:17] offset:6144
	s_waitcnt lgkmcnt(0)
	s_barrier
.LBB2210_18:
	v_mul_u32_u24_e32 v37, 7, v0
	v_lshlrev_b32_e32 v38, 3, v37
	s_waitcnt lgkmcnt(0)
	ds_read2_b64 v[10:13], v38 offset1:1
	ds_read2_b64 v[6:9], v38 offset0:2 offset1:3
	ds_read2_b64 v[2:5], v38 offset0:4 offset1:5
	ds_read_b64 v[26:27], v38 offset:48
	s_cmp_lg_u32 s6, 0
	s_waitcnt lgkmcnt(3)
	v_cmp_gt_u64_e64 s[0:1], v[10:11], v[12:13]
	v_lshrrev_b32_e32 v1, 5, v0
	v_cmp_gt_u32_e32 vcc, 64, v0
	s_waitcnt lgkmcnt(0)
	s_barrier
	s_cbranch_scc0 .LBB2210_49
; %bb.19:
	v_cndmask_b32_e64 v15, v13, v11, s[0:1]
	v_cndmask_b32_e64 v14, v12, v10, s[0:1]
	v_cmp_gt_u64_e64 s[0:1], v[14:15], v[6:7]
	v_cndmask_b32_e64 v15, v7, v15, s[0:1]
	v_cndmask_b32_e64 v14, v6, v14, s[0:1]
	v_cmp_gt_u64_e64 s[0:1], v[14:15], v[8:9]
	;; [unrolled: 3-line block ×5, first 2 shown]
	v_cndmask_b32_e64 v23, v27, v15, s[0:1]
	v_cndmask_b32_e64 v22, v26, v14, s[0:1]
	v_add_lshl_u32 v14, v1, v0, 3
	ds_write_b64 v14, v[22:23]
	s_waitcnt lgkmcnt(0)
	s_barrier
	s_and_saveexec_b64 s[8:9], vcc
	s_cbranch_execz .LBB2210_23
; %bb.20:
	v_lshlrev_b32_e32 v14, 1, v0
	v_lshrrev_b32_e32 v15, 4, v0
	v_add_lshl_u32 v24, v15, v14, 3
	ds_read2_b64 v[14:17], v24 offset1:1
	v_mbcnt_lo_u32_b32 v18, -1, 0
	v_mbcnt_hi_u32_b32 v25, -1, v18
	v_and_b32_e32 v28, 15, v25
	v_and_b32_e32 v30, 16, v25
	s_waitcnt lgkmcnt(0)
	v_cmp_gt_u64_e64 s[0:1], v[14:15], v[16:17]
	v_cndmask_b32_e64 v17, v17, v15, s[0:1]
	v_cndmask_b32_e64 v16, v16, v14, s[0:1]
	v_cmp_ne_u32_e64 s[2:3], 0, v25
	v_mov_b32_dpp v19, v17 row_shr:1 row_mask:0xf bank_mask:0xf
	v_mov_b32_dpp v18, v16 row_shr:1 row_mask:0xf bank_mask:0xf
	v_cmp_gt_u64_e64 s[0:1], v[18:19], v[16:17]
	v_cndmask_b32_e64 v18, v16, v18, s[0:1]
	v_cndmask_b32_e64 v19, v17, v19, s[0:1]
	v_cmp_eq_u32_e64 s[0:1], 0, v28
	v_cndmask_b32_e64 v19, v19, v17, s[0:1]
	v_cndmask_b32_e64 v18, v18, v16, s[0:1]
	s_nop 0
	v_mov_b32_dpp v21, v19 row_shr:2 row_mask:0xf bank_mask:0xf
	v_mov_b32_dpp v20, v18 row_shr:2 row_mask:0xf bank_mask:0xf
	v_cmp_gt_u64_e64 s[0:1], v[20:21], v[18:19]
	v_cndmask_b32_e64 v20, v18, v20, s[0:1]
	v_cndmask_b32_e64 v21, v19, v21, s[0:1]
	v_cmp_lt_u32_e64 s[0:1], 1, v28
	v_cndmask_b32_e64 v19, v19, v21, s[0:1]
	v_cndmask_b32_e64 v18, v18, v20, s[0:1]
	s_nop 0
	v_mov_b32_dpp v21, v19 row_shr:4 row_mask:0xf bank_mask:0xf
	v_mov_b32_dpp v20, v18 row_shr:4 row_mask:0xf bank_mask:0xf
	v_cmp_gt_u64_e64 s[0:1], v[20:21], v[18:19]
	v_cndmask_b32_e64 v20, v18, v20, s[0:1]
	v_cndmask_b32_e64 v21, v19, v21, s[0:1]
	v_cmp_lt_u32_e64 s[0:1], 3, v28
	;; [unrolled: 9-line block ×3, first 2 shown]
	v_cndmask_b32_e64 v19, v19, v21, s[0:1]
	v_cndmask_b32_e64 v18, v18, v20, s[0:1]
	s_nop 0
	v_mov_b32_dpp v21, v19 row_bcast:15 row_mask:0xf bank_mask:0xf
	v_mov_b32_dpp v20, v18 row_bcast:15 row_mask:0xf bank_mask:0xf
	v_cmp_gt_u64_e64 s[0:1], v[20:21], v[18:19]
	v_cndmask_b32_e64 v28, v19, v21, s[0:1]
	v_cndmask_b32_e64 v29, v18, v20, s[0:1]
	v_cmp_eq_u32_e64 s[0:1], 0, v30
	v_cndmask_b32_e64 v21, v28, v19, s[0:1]
	v_cndmask_b32_e64 v20, v29, v18, s[0:1]
	s_nop 0
	v_mov_b32_dpp v21, v21 row_bcast:31 row_mask:0xf bank_mask:0xf
	v_mov_b32_dpp v20, v20 row_bcast:31 row_mask:0xf bank_mask:0xf
	s_and_saveexec_b64 s[10:11], s[2:3]
; %bb.21:
	v_cndmask_b32_e64 v17, v28, v19, s[0:1]
	v_cndmask_b32_e64 v16, v29, v18, s[0:1]
	v_cmp_lt_u32_e64 s[2:3], 31, v25
	v_cmp_gt_u64_e64 s[0:1], v[20:21], v[16:17]
	s_and_b64 s[0:1], s[2:3], s[0:1]
	v_cndmask_b32_e64 v16, v16, v20, s[0:1]
	v_cndmask_b32_e64 v17, v17, v21, s[0:1]
; %bb.22:
	s_or_b64 exec, exec, s[10:11]
	v_add_u32_e32 v18, -1, v25
	v_and_b32_e32 v19, 64, v25
	v_cmp_lt_i32_e64 s[0:1], v18, v19
	v_cndmask_b32_e64 v18, v18, v25, s[0:1]
	v_lshlrev_b32_e32 v18, 2, v18
	ds_bpermute_b32 v16, v18, v16
	ds_bpermute_b32 v17, v18, v17
	; wave barrier
	s_waitcnt lgkmcnt(0)
	v_cmp_gt_u64_e64 s[0:1], v[16:17], v[14:15]
	v_cndmask_b32_e64 v14, v14, v16, s[0:1]
	v_cndmask_b32_e64 v15, v15, v17, s[0:1]
	v_cmp_eq_u32_e64 s[0:1], 0, v0
	v_cndmask_b32_e64 v15, v15, v23, s[0:1]
	v_cndmask_b32_e64 v14, v14, v22, s[0:1]
	ds_write_b64 v24, v[14:15]
	; wave barrier
	ds_read_b64 v[16:17], v24 offset:8
	s_waitcnt lgkmcnt(0)
	v_cmp_gt_u64_e64 s[0:1], v[14:15], v[16:17]
	v_cndmask_b32_e64 v15, v17, v15, s[0:1]
	v_cndmask_b32_e64 v14, v16, v14, s[0:1]
	ds_write_b64 v24, v[14:15] offset:8
.LBB2210_23:
	s_or_b64 exec, exec, s[8:9]
	v_cmp_eq_u32_e64 s[0:1], 0, v0
	v_cmp_ne_u32_e64 s[2:3], 0, v0
	s_waitcnt lgkmcnt(0)
	s_barrier
	s_and_saveexec_b64 s[8:9], s[2:3]
	s_cbranch_execz .LBB2210_25
; %bb.24:
	v_add_u32_e32 v14, -1, v0
	v_lshrrev_b32_e32 v15, 5, v14
	v_add_lshl_u32 v14, v15, v14, 3
	ds_read_b64 v[22:23], v14
.LBB2210_25:
	s_or_b64 exec, exec, s[8:9]
	s_and_saveexec_b64 s[28:29], vcc
	s_cbranch_execz .LBB2210_48
; %bb.26:
	v_mov_b32_e32 v17, 0
	ds_read_b64 v[14:15], v17 offset:1040
	v_mbcnt_lo_u32_b32 v16, -1, 0
	v_mbcnt_hi_u32_b32 v25, -1, v16
	s_mov_b32 s11, 0
	v_cmp_eq_u32_e64 s[2:3], 0, v25
	s_and_saveexec_b64 s[8:9], s[2:3]
	s_cbranch_execz .LBB2210_28
; %bb.27:
	s_add_i32 s10, s6, 64
	s_lshl_b64 s[10:11], s[10:11], 4
	s_add_u32 s10, s24, s10
	s_addc_u32 s11, s25, s11
	v_mov_b32_e32 v16, 1
	v_pk_mov_b32 v[18:19], s[10:11], s[10:11] op_sel:[0,1]
	s_waitcnt lgkmcnt(0)
	;;#ASMSTART
	global_store_dwordx4 v[18:19], v[14:17] off	
s_waitcnt vmcnt(0)
	;;#ASMEND
.LBB2210_28:
	s_or_b64 exec, exec, s[8:9]
	v_xad_u32 v24, v25, -1, s6
	v_add_u32_e32 v16, 64, v24
	v_lshlrev_b64 v[18:19], 4, v[16:17]
	v_mov_b32_e32 v16, s25
	v_add_co_u32_e32 v28, vcc, s24, v18
	v_addc_co_u32_e32 v29, vcc, v16, v19, vcc
	;;#ASMSTART
	global_load_dwordx4 v[18:21], v[28:29] off glc	
s_waitcnt vmcnt(0)
	;;#ASMEND
	v_and_b32_e32 v16, 0xff, v19
	v_and_b32_e32 v21, 0xff00, v19
	v_or3_b32 v16, 0, v16, v21
	v_or3_b32 v18, v18, 0, 0
	v_and_b32_e32 v21, 0xff000000, v19
	v_and_b32_e32 v19, 0xff0000, v19
	v_or3_b32 v19, v16, v19, v21
	v_or3_b32 v18, v18, 0, 0
	v_cmp_eq_u16_sdwa s[10:11], v20, v17 src0_sel:BYTE_0 src1_sel:DWORD
	s_and_saveexec_b64 s[8:9], s[10:11]
	s_cbranch_execz .LBB2210_34
; %bb.29:
	s_mov_b32 s7, 1
	s_mov_b64 s[10:11], 0
	v_mov_b32_e32 v16, 0
.LBB2210_30:                            ; =>This Loop Header: Depth=1
                                        ;     Child Loop BB2210_31 Depth 2
	s_max_u32 s12, s7, 1
.LBB2210_31:                            ;   Parent Loop BB2210_30 Depth=1
                                        ; =>  This Inner Loop Header: Depth=2
	s_add_i32 s12, s12, -1
	s_cmp_eq_u32 s12, 0
	s_sleep 1
	s_cbranch_scc0 .LBB2210_31
; %bb.32:                               ;   in Loop: Header=BB2210_30 Depth=1
	s_cmp_lt_u32 s7, 32
	s_cselect_b64 s[12:13], -1, 0
	s_cmp_lg_u64 s[12:13], 0
	s_addc_u32 s7, s7, 0
	;;#ASMSTART
	global_load_dwordx4 v[18:21], v[28:29] off glc	
s_waitcnt vmcnt(0)
	;;#ASMEND
	v_cmp_ne_u16_sdwa s[12:13], v20, v16 src0_sel:BYTE_0 src1_sel:DWORD
	s_or_b64 s[10:11], s[12:13], s[10:11]
	s_andn2_b64 exec, exec, s[10:11]
	s_cbranch_execnz .LBB2210_30
; %bb.33:
	s_or_b64 exec, exec, s[10:11]
.LBB2210_34:
	s_or_b64 exec, exec, s[8:9]
	v_and_b32_e32 v33, 63, v25
	v_cmp_ne_u32_e32 vcc, 63, v33
	v_mov_b32_e32 v32, 2
	v_addc_co_u32_e32 v28, vcc, 0, v25, vcc
	v_cmp_eq_u16_sdwa s[8:9], v20, v32 src0_sel:BYTE_0 src1_sel:DWORD
	v_lshlrev_b64 v[16:17], v25, -1
	v_lshlrev_b32_e32 v34, 2, v28
	v_and_b32_e32 v21, s9, v17
	ds_bpermute_b32 v28, v34, v18
	ds_bpermute_b32 v29, v34, v19
	v_or_b32_e32 v21, 0x80000000, v21
	v_and_b32_e32 v30, s8, v16
	v_ffbl_b32_e32 v21, v21
	v_add_u32_e32 v21, 32, v21
	v_ffbl_b32_e32 v30, v30
	v_min_u32_e32 v21, v30, v21
	s_waitcnt lgkmcnt(0)
	v_cmp_gt_u64_e64 s[8:9], v[28:29], v[18:19]
	v_cmp_lt_u32_e32 vcc, v33, v21
	v_cndmask_b32_e64 v28, v18, v28, s[8:9]
	s_and_b64 s[8:9], vcc, s[8:9]
	v_cndmask_b32_e64 v29, v19, v29, s[8:9]
	v_cmp_gt_u32_e64 s[8:9], 62, v33
	v_cndmask_b32_e64 v30, 0, 1, s[8:9]
	v_lshlrev_b32_e32 v30, 1, v30
	v_cndmask_b32_e32 v28, v18, v28, vcc
	v_add_lshl_u32 v35, v30, v25, 2
	ds_bpermute_b32 v30, v35, v28
	ds_bpermute_b32 v31, v35, v29
	v_add_u32_e32 v39, 2, v33
	v_cmp_gt_u32_e64 s[10:11], 56, v33
	v_add_u32_e32 v41, 4, v33
	v_cndmask_b32_e64 v42, 0, 1, s[10:11]
	s_waitcnt lgkmcnt(0)
	v_cmp_gt_u64_e64 s[8:9], v[30:31], v[28:29]
	v_cndmask_b32_e64 v31, v29, v31, s[8:9]
	v_cndmask_b32_e64 v30, v28, v30, s[8:9]
	v_cmp_gt_u32_e64 s[8:9], v39, v21
	v_cndmask_b32_e64 v28, v30, v28, s[8:9]
	v_cndmask_b32_e64 v29, v31, v29, s[8:9]
	v_cmp_gt_u32_e64 s[8:9], 60, v33
	v_cndmask_b32_e64 v30, 0, 1, s[8:9]
	v_lshlrev_b32_e32 v30, 2, v30
	v_add_lshl_u32 v40, v30, v25, 2
	ds_bpermute_b32 v30, v40, v28
	ds_bpermute_b32 v31, v40, v29
	v_lshlrev_b32_e32 v42, 3, v42
	v_add_lshl_u32 v42, v42, v25, 2
	v_cmp_gt_u32_e64 s[12:13], 48, v33
	v_add_u32_e32 v43, 8, v33
	s_waitcnt lgkmcnt(0)
	v_cmp_gt_u64_e64 s[8:9], v[30:31], v[28:29]
	v_cndmask_b32_e64 v50, v29, v31, s[8:9]
	v_cndmask_b32_e64 v51, v28, v30, s[8:9]
	v_cmp_gt_u32_e64 s[8:9], v41, v21
	v_cndmask_b32_e64 v30, v51, v28, s[8:9]
	v_cndmask_b32_e64 v31, v50, v29, s[8:9]
	ds_bpermute_b32 v44, v42, v30
	ds_bpermute_b32 v45, v42, v31
	v_cmp_gt_u32_e64 s[14:15], 32, v33
	v_cndmask_b32_e32 v19, v19, v29, vcc
	v_cndmask_b32_e32 v18, v18, v28, vcc
	v_cndmask_b32_e64 v18, v51, v18, s[8:9]
	s_waitcnt lgkmcnt(0)
	v_cmp_gt_u64_e64 s[10:11], v[44:45], v[30:31]
	v_cndmask_b32_e64 v53, v30, v44, s[10:11]
	v_cndmask_b32_e64 v44, 0, 1, s[12:13]
	;; [unrolled: 1-line block ×3, first 2 shown]
	v_cmp_gt_u32_e64 s[10:11], v43, v21
	v_lshlrev_b32_e32 v44, 4, v44
	v_cndmask_b32_e64 v30, v53, v30, s[10:11]
	v_cndmask_b32_e64 v31, v52, v31, s[10:11]
	v_add_lshl_u32 v44, v44, v25, 2
	ds_bpermute_b32 v46, v44, v30
	ds_bpermute_b32 v47, v44, v31
	v_add_u32_e32 v45, 16, v33
	v_cndmask_b32_e64 v19, v50, v19, s[8:9]
	v_cndmask_b32_e64 v19, v52, v19, s[10:11]
	;; [unrolled: 1-line block ×3, first 2 shown]
	s_waitcnt lgkmcnt(0)
	v_cmp_gt_u64_e64 s[12:13], v[46:47], v[30:31]
	v_cndmask_b32_e64 v55, v30, v46, s[12:13]
	v_cndmask_b32_e64 v46, 0, 1, s[14:15]
	;; [unrolled: 1-line block ×3, first 2 shown]
	v_cmp_gt_u32_e64 s[12:13], v45, v21
	v_lshlrev_b32_e32 v46, 5, v46
	v_cndmask_b32_e64 v30, v55, v30, s[12:13]
	v_add_lshl_u32 v46, v46, v25, 2
	v_cndmask_b32_e64 v31, v54, v31, s[12:13]
	ds_bpermute_b32 v48, v46, v30
	ds_bpermute_b32 v49, v46, v31
	v_add_u32_e32 v47, 32, v33
	v_cndmask_b32_e64 v18, v55, v18, s[12:13]
	v_cndmask_b32_e64 v19, v54, v19, s[12:13]
	v_cmp_gt_u32_e32 vcc, v47, v21
	s_waitcnt lgkmcnt(0)
	v_cmp_gt_u64_e64 s[14:15], v[48:49], v[30:31]
	v_cndmask_b32_e64 v25, v30, v48, s[14:15]
	v_cndmask_b32_e64 v30, v31, v49, s[14:15]
	v_cndmask_b32_e32 v19, v30, v19, vcc
	v_cndmask_b32_e32 v18, v25, v18, vcc
	v_mov_b32_e32 v25, 0
	s_branch .LBB2210_36
.LBB2210_35:                            ;   in Loop: Header=BB2210_36 Depth=1
	s_or_b64 exec, exec, s[8:9]
	v_cmp_eq_u16_sdwa s[8:9], v20, v32 src0_sel:BYTE_0 src1_sel:DWORD
	v_and_b32_e32 v21, s9, v17
	ds_bpermute_b32 v30, v34, v18
	ds_bpermute_b32 v31, v34, v19
	v_or_b32_e32 v21, 0x80000000, v21
	v_and_b32_e32 v48, s8, v16
	v_ffbl_b32_e32 v21, v21
	v_add_u32_e32 v21, 32, v21
	v_ffbl_b32_e32 v48, v48
	v_min_u32_e32 v21, v48, v21
	s_waitcnt lgkmcnt(0)
	v_cmp_gt_u64_e32 vcc, v[30:31], v[18:19]
	v_cmp_lt_u32_e64 s[8:9], v33, v21
	v_cndmask_b32_e32 v30, v18, v30, vcc
	s_and_b64 vcc, s[8:9], vcc
	v_cndmask_b32_e64 v30, v18, v30, s[8:9]
	v_cndmask_b32_e32 v31, v19, v31, vcc
	ds_bpermute_b32 v48, v35, v30
	ds_bpermute_b32 v49, v35, v31
	v_subrev_u32_e32 v24, 64, v24
	s_waitcnt lgkmcnt(0)
	v_cmp_gt_u64_e32 vcc, v[48:49], v[30:31]
	v_cndmask_b32_e32 v49, v31, v49, vcc
	v_cndmask_b32_e32 v48, v30, v48, vcc
	v_cmp_gt_u32_e32 vcc, v39, v21
	v_cndmask_b32_e32 v30, v48, v30, vcc
	v_cndmask_b32_e32 v31, v49, v31, vcc
	ds_bpermute_b32 v48, v40, v30
	ds_bpermute_b32 v49, v40, v31
	v_cndmask_b32_e64 v19, v19, v31, s[8:9]
	v_cndmask_b32_e64 v18, v18, v30, s[8:9]
	s_waitcnt lgkmcnt(0)
	v_cmp_gt_u64_e32 vcc, v[48:49], v[30:31]
	v_cndmask_b32_e32 v52, v31, v49, vcc
	v_cndmask_b32_e32 v53, v30, v48, vcc
	v_cmp_gt_u32_e32 vcc, v41, v21
	v_cndmask_b32_e32 v48, v53, v30, vcc
	v_cndmask_b32_e32 v49, v52, v31, vcc
	ds_bpermute_b32 v50, v42, v48
	ds_bpermute_b32 v51, v42, v49
	v_cndmask_b32_e32 v18, v53, v18, vcc
	v_cndmask_b32_e32 v19, v52, v19, vcc
	v_cmp_gt_u32_e32 vcc, v47, v21
	s_waitcnt lgkmcnt(0)
	v_cmp_gt_u64_e64 s[10:11], v[50:51], v[48:49]
	v_cndmask_b32_e64 v54, v49, v51, s[10:11]
	v_cndmask_b32_e64 v55, v48, v50, s[10:11]
	v_cmp_gt_u32_e64 s[10:11], v43, v21
	v_cndmask_b32_e64 v48, v55, v48, s[10:11]
	v_cndmask_b32_e64 v49, v54, v49, s[10:11]
	ds_bpermute_b32 v50, v44, v48
	ds_bpermute_b32 v51, v44, v49
	v_cndmask_b32_e64 v19, v54, v19, s[10:11]
	v_cndmask_b32_e64 v18, v55, v18, s[10:11]
	s_waitcnt lgkmcnt(0)
	v_cmp_gt_u64_e64 s[12:13], v[50:51], v[48:49]
	v_cndmask_b32_e64 v56, v49, v51, s[12:13]
	v_cndmask_b32_e64 v57, v48, v50, s[12:13]
	v_cmp_gt_u32_e64 s[12:13], v45, v21
	v_cndmask_b32_e64 v48, v57, v48, s[12:13]
	v_cndmask_b32_e64 v49, v56, v49, s[12:13]
	ds_bpermute_b32 v50, v46, v48
	ds_bpermute_b32 v51, v46, v49
	v_cndmask_b32_e64 v18, v57, v18, s[12:13]
	v_cndmask_b32_e64 v19, v56, v19, s[12:13]
	s_waitcnt lgkmcnt(0)
	v_cmp_gt_u64_e64 s[14:15], v[50:51], v[48:49]
	v_cndmask_b32_e64 v48, v48, v50, s[14:15]
	v_cndmask_b32_e64 v49, v49, v51, s[14:15]
	v_cndmask_b32_e32 v19, v49, v19, vcc
	v_cndmask_b32_e32 v18, v48, v18, vcc
	v_cmp_gt_u64_e32 vcc, v[18:19], v[28:29]
	v_cndmask_b32_e32 v19, v29, v19, vcc
	v_cndmask_b32_e32 v18, v28, v18, vcc
.LBB2210_36:                            ; =>This Loop Header: Depth=1
                                        ;     Child Loop BB2210_39 Depth 2
                                        ;       Child Loop BB2210_40 Depth 3
	v_cmp_ne_u16_sdwa s[8:9], v20, v32 src0_sel:BYTE_0 src1_sel:DWORD
	v_cndmask_b32_e64 v20, 0, 1, s[8:9]
	;;#ASMSTART
	;;#ASMEND
	v_cmp_ne_u32_e32 vcc, 0, v20
	s_cmp_lg_u64 vcc, exec
	v_pk_mov_b32 v[28:29], v[18:19], v[18:19] op_sel:[0,1]
	s_cbranch_scc1 .LBB2210_43
; %bb.37:                               ;   in Loop: Header=BB2210_36 Depth=1
	v_lshlrev_b64 v[18:19], 4, v[24:25]
	v_mov_b32_e32 v20, s25
	v_add_co_u32_e32 v30, vcc, s24, v18
	v_addc_co_u32_e32 v31, vcc, v20, v19, vcc
	;;#ASMSTART
	global_load_dwordx4 v[18:21], v[30:31] off glc	
s_waitcnt vmcnt(0)
	;;#ASMEND
	v_and_b32_e32 v21, 0xff, v19
	v_and_b32_e32 v48, 0xff00, v19
	v_or3_b32 v21, 0, v21, v48
	v_or3_b32 v18, v18, 0, 0
	v_and_b32_e32 v48, 0xff000000, v19
	v_and_b32_e32 v19, 0xff0000, v19
	v_or3_b32 v19, v21, v19, v48
	v_or3_b32 v18, v18, 0, 0
	v_cmp_eq_u16_sdwa s[10:11], v20, v25 src0_sel:BYTE_0 src1_sel:DWORD
	s_and_saveexec_b64 s[8:9], s[10:11]
	s_cbranch_execz .LBB2210_35
; %bb.38:                               ;   in Loop: Header=BB2210_36 Depth=1
	s_mov_b32 s7, 1
	s_mov_b64 s[10:11], 0
.LBB2210_39:                            ;   Parent Loop BB2210_36 Depth=1
                                        ; =>  This Loop Header: Depth=2
                                        ;       Child Loop BB2210_40 Depth 3
	s_max_u32 s12, s7, 1
.LBB2210_40:                            ;   Parent Loop BB2210_36 Depth=1
                                        ;     Parent Loop BB2210_39 Depth=2
                                        ; =>    This Inner Loop Header: Depth=3
	s_add_i32 s12, s12, -1
	s_cmp_eq_u32 s12, 0
	s_sleep 1
	s_cbranch_scc0 .LBB2210_40
; %bb.41:                               ;   in Loop: Header=BB2210_39 Depth=2
	s_cmp_lt_u32 s7, 32
	s_cselect_b64 s[12:13], -1, 0
	s_cmp_lg_u64 s[12:13], 0
	s_addc_u32 s7, s7, 0
	;;#ASMSTART
	global_load_dwordx4 v[18:21], v[30:31] off glc	
s_waitcnt vmcnt(0)
	;;#ASMEND
	v_cmp_ne_u16_sdwa s[12:13], v20, v25 src0_sel:BYTE_0 src1_sel:DWORD
	s_or_b64 s[10:11], s[12:13], s[10:11]
	s_andn2_b64 exec, exec, s[10:11]
	s_cbranch_execnz .LBB2210_39
; %bb.42:                               ;   in Loop: Header=BB2210_36 Depth=1
	s_or_b64 exec, exec, s[10:11]
	s_branch .LBB2210_35
.LBB2210_43:                            ;   in Loop: Header=BB2210_36 Depth=1
                                        ; implicit-def: $vgpr18_vgpr19
                                        ; implicit-def: $vgpr20
	s_cbranch_execz .LBB2210_36
; %bb.44:
	s_and_saveexec_b64 s[8:9], s[2:3]
	s_cbranch_execz .LBB2210_46
; %bb.45:
	s_add_i32 s2, s6, 64
	s_mov_b32 s3, 0
	s_lshl_b64 s[2:3], s[2:3], 4
	s_add_u32 s2, s24, s2
	v_cmp_gt_u64_e32 vcc, v[28:29], v[14:15]
	s_addc_u32 s3, s25, s3
	v_cndmask_b32_e32 v15, v15, v29, vcc
	v_cndmask_b32_e32 v14, v14, v28, vcc
	v_mov_b32_e32 v16, 2
	v_mov_b32_e32 v17, 0
	v_pk_mov_b32 v[18:19], s[2:3], s[2:3] op_sel:[0,1]
	;;#ASMSTART
	global_store_dwordx4 v[18:19], v[14:17] off	
s_waitcnt vmcnt(0)
	;;#ASMEND
.LBB2210_46:
	s_or_b64 exec, exec, s[8:9]
	s_and_b64 exec, exec, s[0:1]
	s_cbranch_execz .LBB2210_48
; %bb.47:
	v_mov_b32_e32 v14, 0
	ds_write_b64 v14, v[28:29]
.LBB2210_48:
	s_or_b64 exec, exec, s[28:29]
	v_mov_b32_e32 v14, 0
	s_waitcnt lgkmcnt(0)
	s_barrier
	ds_read_b64 v[14:15], v14
	s_waitcnt lgkmcnt(0)
	v_cmp_gt_u64_e32 vcc, v[14:15], v[22:23]
	v_cndmask_b32_e32 v16, v22, v14, vcc
	v_cndmask_b32_e32 v17, v23, v15, vcc
	v_cndmask_b32_e64 v15, v17, v15, s[0:1]
	v_cndmask_b32_e64 v14, v16, v14, s[0:1]
	v_cmp_gt_u64_e32 vcc, v[14:15], v[10:11]
	v_cndmask_b32_e32 v29, v11, v15, vcc
	v_cndmask_b32_e32 v28, v10, v14, vcc
	v_cmp_gt_u64_e32 vcc, v[28:29], v[12:13]
	v_cndmask_b32_e32 v19, v13, v29, vcc
	v_cndmask_b32_e32 v18, v12, v28, vcc
	;; [unrolled: 3-line block ×6, first 2 shown]
	s_load_dwordx8 s[0:7], s[4:5], 0x40
	s_branch .LBB2210_61
.LBB2210_49:
                                        ; implicit-def: $vgpr34_vgpr35
                                        ; implicit-def: $vgpr32_vgpr33
                                        ; implicit-def: $vgpr30_vgpr31
                                        ; implicit-def: $vgpr28_vgpr29
                                        ; implicit-def: $vgpr22_vgpr23_vgpr24_vgpr25
                                        ; implicit-def: $vgpr18_vgpr19_vgpr20_vgpr21
                                        ; implicit-def: $vgpr14_vgpr15_vgpr16_vgpr17
	s_load_dwordx8 s[0:7], s[4:5], 0x40
	s_cbranch_execz .LBB2210_61
; %bb.50:
	s_waitcnt lgkmcnt(0)
	s_cmp_eq_u64 s[4:5], 0
	v_pk_mov_b32 v[20:21], s[26:27], s[26:27] op_sel:[0,1]
	s_cbranch_scc1 .LBB2210_52
; %bb.51:
	v_mov_b32_e32 v17, s34
	v_add_co_u32_e64 v16, vcc, -8, s33
	v_mov_b32_e32 v14, 0
	v_addc_co_u32_e32 v17, vcc, -1, v17, vcc
	global_load_dwordx2 v[14:15], v14, s[0:1]
	s_nop 0
	flat_load_dwordx2 v[16:17], v[16:17]
	s_waitcnt vmcnt(0) lgkmcnt(0)
	v_cmp_gt_u64_e32 vcc, v[14:15], v[16:17]
	v_cndmask_b32_e32 v21, v17, v15, vcc
	v_cndmask_b32_e32 v20, v16, v14, vcc
.LBB2210_52:
	v_cmp_gt_u64_e32 vcc, v[10:11], v[12:13]
	v_cndmask_b32_e32 v15, v13, v11, vcc
	v_cndmask_b32_e32 v14, v12, v10, vcc
	v_cmp_gt_u64_e32 vcc, v[14:15], v[6:7]
	v_cndmask_b32_e32 v15, v7, v15, vcc
	v_cndmask_b32_e32 v14, v6, v14, vcc
	;; [unrolled: 3-line block ×6, first 2 shown]
	v_add_lshl_u32 v1, v1, v0, 3
	v_cmp_gt_u32_e32 vcc, 64, v0
	ds_write_b64 v1, v[18:19]
	s_waitcnt lgkmcnt(0)
	s_barrier
	s_and_saveexec_b64 s[4:5], vcc
	s_cbranch_execz .LBB2210_56
; %bb.53:
	v_lshlrev_b32_e32 v1, 1, v0
	v_lshrrev_b32_e32 v14, 4, v0
	v_add_lshl_u32 v1, v14, v1, 3
	ds_read2_b64 v[14:17], v1 offset1:1
	v_mbcnt_lo_u32_b32 v22, -1, 0
	v_mbcnt_hi_u32_b32 v26, -1, v22
	v_and_b32_e32 v27, 15, v26
	v_and_b32_e32 v29, 16, v26
	s_waitcnt lgkmcnt(0)
	v_cmp_gt_u64_e32 vcc, v[14:15], v[16:17]
	v_cndmask_b32_e32 v17, v17, v15, vcc
	v_cndmask_b32_e32 v16, v16, v14, vcc
	v_cmp_ne_u32_e64 s[0:1], 0, v26
	v_mov_b32_dpp v23, v17 row_shr:1 row_mask:0xf bank_mask:0xf
	v_mov_b32_dpp v22, v16 row_shr:1 row_mask:0xf bank_mask:0xf
	v_cmp_gt_u64_e32 vcc, v[22:23], v[16:17]
	v_cndmask_b32_e32 v22, v16, v22, vcc
	v_cndmask_b32_e32 v23, v17, v23, vcc
	v_cmp_eq_u32_e32 vcc, 0, v27
	v_cndmask_b32_e32 v23, v23, v17, vcc
	v_cndmask_b32_e32 v22, v22, v16, vcc
	s_nop 0
	v_mov_b32_dpp v25, v23 row_shr:2 row_mask:0xf bank_mask:0xf
	v_mov_b32_dpp v24, v22 row_shr:2 row_mask:0xf bank_mask:0xf
	v_cmp_gt_u64_e32 vcc, v[24:25], v[22:23]
	v_cndmask_b32_e32 v24, v22, v24, vcc
	v_cndmask_b32_e32 v25, v23, v25, vcc
	v_cmp_lt_u32_e32 vcc, 1, v27
	v_cndmask_b32_e32 v23, v23, v25, vcc
	v_cndmask_b32_e32 v22, v22, v24, vcc
	s_nop 0
	v_mov_b32_dpp v25, v23 row_shr:4 row_mask:0xf bank_mask:0xf
	v_mov_b32_dpp v24, v22 row_shr:4 row_mask:0xf bank_mask:0xf
	v_cmp_gt_u64_e32 vcc, v[24:25], v[22:23]
	v_cndmask_b32_e32 v24, v22, v24, vcc
	v_cndmask_b32_e32 v25, v23, v25, vcc
	v_cmp_lt_u32_e32 vcc, 3, v27
	;; [unrolled: 9-line block ×3, first 2 shown]
	v_cndmask_b32_e32 v23, v23, v25, vcc
	v_cndmask_b32_e32 v22, v22, v24, vcc
	s_nop 0
	v_mov_b32_dpp v25, v23 row_bcast:15 row_mask:0xf bank_mask:0xf
	v_mov_b32_dpp v24, v22 row_bcast:15 row_mask:0xf bank_mask:0xf
	v_cmp_gt_u64_e32 vcc, v[24:25], v[22:23]
	v_cndmask_b32_e32 v27, v23, v25, vcc
	v_cndmask_b32_e32 v28, v22, v24, vcc
	v_cmp_eq_u32_e32 vcc, 0, v29
	v_cndmask_b32_e32 v25, v27, v23, vcc
	v_cndmask_b32_e32 v24, v28, v22, vcc
	s_nop 0
	v_mov_b32_dpp v25, v25 row_bcast:31 row_mask:0xf bank_mask:0xf
	v_mov_b32_dpp v24, v24 row_bcast:31 row_mask:0xf bank_mask:0xf
	s_and_saveexec_b64 s[8:9], s[0:1]
; %bb.54:
	v_cndmask_b32_e32 v17, v27, v23, vcc
	v_cndmask_b32_e32 v16, v28, v22, vcc
	v_cmp_lt_u32_e64 s[0:1], 31, v26
	v_cmp_gt_u64_e32 vcc, v[24:25], v[16:17]
	s_and_b64 vcc, s[0:1], vcc
	v_cndmask_b32_e32 v16, v16, v24, vcc
	v_cndmask_b32_e32 v17, v17, v25, vcc
; %bb.55:
	s_or_b64 exec, exec, s[8:9]
	v_add_u32_e32 v22, -1, v26
	v_and_b32_e32 v23, 64, v26
	v_cmp_lt_i32_e32 vcc, v22, v23
	v_cndmask_b32_e32 v22, v22, v26, vcc
	v_lshlrev_b32_e32 v22, 2, v22
	ds_bpermute_b32 v16, v22, v16
	ds_bpermute_b32 v17, v22, v17
	; wave barrier
	s_waitcnt lgkmcnt(0)
	v_cmp_gt_u64_e32 vcc, v[16:17], v[14:15]
	v_cndmask_b32_e32 v14, v14, v16, vcc
	v_cndmask_b32_e32 v15, v15, v17, vcc
	v_cmp_eq_u32_e32 vcc, 0, v0
	v_cndmask_b32_e32 v15, v15, v19, vcc
	v_cndmask_b32_e32 v14, v14, v18, vcc
	ds_write_b64 v1, v[14:15]
	; wave barrier
	ds_read_b64 v[16:17], v1 offset:8
	s_waitcnt lgkmcnt(0)
	v_cmp_gt_u64_e32 vcc, v[14:15], v[16:17]
	v_cndmask_b32_e32 v15, v17, v15, vcc
	v_cndmask_b32_e32 v14, v16, v14, vcc
	ds_write_b64 v1, v[14:15] offset:8
.LBB2210_56:
	s_or_b64 exec, exec, s[4:5]
	v_cmp_eq_u32_e32 vcc, 0, v0
	v_cmp_ne_u32_e64 s[0:1], 0, v0
	v_pk_mov_b32 v[14:15], v[20:21], v[20:21] op_sel:[0,1]
	s_waitcnt lgkmcnt(0)
	s_barrier
	s_and_saveexec_b64 s[4:5], s[0:1]
	s_cbranch_execz .LBB2210_58
; %bb.57:
	v_add_u32_e32 v1, -1, v0
	v_lshrrev_b32_e32 v14, 5, v1
	v_add_lshl_u32 v1, v14, v1, 3
	ds_read_b64 v[14:15], v1
	s_waitcnt lgkmcnt(0)
	v_cmp_gt_u64_e64 s[0:1], v[20:21], v[14:15]
	v_cndmask_b32_e64 v15, v15, v21, s[0:1]
	v_cndmask_b32_e64 v14, v14, v20, s[0:1]
.LBB2210_58:
	s_or_b64 exec, exec, s[4:5]
	v_cmp_gt_u64_e64 s[0:1], v[14:15], v[10:11]
	v_cndmask_b32_e64 v29, v11, v15, s[0:1]
	v_cndmask_b32_e64 v28, v10, v14, s[0:1]
	v_cmp_gt_u64_e64 s[0:1], v[28:29], v[12:13]
	v_cndmask_b32_e64 v19, v13, v29, s[0:1]
	v_cndmask_b32_e64 v18, v12, v28, s[0:1]
	;; [unrolled: 3-line block ×6, first 2 shown]
	s_and_saveexec_b64 s[0:1], vcc
	s_cbranch_execz .LBB2210_60
; %bb.59:
	v_mov_b32_e32 v5, 0
	ds_read_b64 v[2:3], v5 offset:1040
	s_add_u32 s4, s24, 0x400
	s_addc_u32 s5, s25, 0
	v_mov_b32_e32 v4, 2
	v_pk_mov_b32 v[6:7], s[4:5], s[4:5] op_sel:[0,1]
	s_waitcnt lgkmcnt(0)
	v_cmp_gt_u64_e32 vcc, v[20:21], v[2:3]
	v_cndmask_b32_e32 v3, v3, v21, vcc
	v_cndmask_b32_e32 v2, v2, v20, vcc
	;;#ASMSTART
	global_store_dwordx4 v[6:7], v[2:5] off	
s_waitcnt vmcnt(0)
	;;#ASMEND
.LBB2210_60:
	s_or_b64 exec, exec, s[0:1]
.LBB2210_61:
	s_waitcnt lgkmcnt(0)
	s_add_u32 s0, s16, s20
	s_addc_u32 s1, s17, s21
	s_add_u32 s4, s0, s22
	s_addc_u32 s5, s1, s23
	s_mov_b64 s[0:1], -1
	s_and_b64 vcc, exec, s[18:19]
	s_barrier
	s_cbranch_vccz .LBB2210_63
; %bb.62:
	v_mul_u32_u24_e32 v1, 56, v0
	ds_write2_b64 v1, v[14:15], v[28:29] offset1:1
	ds_write2_b64 v1, v[18:19], v[30:31] offset0:2 offset1:3
	ds_write2_b64 v1, v[22:23], v[32:33] offset0:4 offset1:5
	ds_write_b64 v1, v[34:35] offset:48
	v_mul_i32_i24_e32 v1, 0xffffffd0, v0
	v_mad_u32_u24 v1, v0, 56, v1
	s_waitcnt lgkmcnt(0)
	s_barrier
	ds_read2st64_b64 v[2:5], v1 offset1:2
	ds_read2st64_b64 v[6:9], v1 offset0:4 offset1:6
	ds_read2st64_b64 v[10:13], v1 offset0:8 offset1:10
	ds_read_b64 v[16:17], v1 offset:6144
	v_mov_b32_e32 v1, s5
	v_add_co_u32_e32 v20, vcc, s4, v36
	v_addc_co_u32_e32 v21, vcc, 0, v1, vcc
	s_waitcnt lgkmcnt(3)
	flat_store_dwordx2 v[20:21], v[2:3]
	flat_store_dwordx2 v[20:21], v[4:5] offset:1024
	s_waitcnt lgkmcnt(0)
	flat_store_dwordx2 v[20:21], v[6:7] offset:2048
	flat_store_dwordx2 v[20:21], v[8:9] offset:3072
	v_add_co_u32_e32 v2, vcc, 0x1000, v20
	v_addc_co_u32_e32 v3, vcc, 0, v21, vcc
	flat_store_dwordx2 v[2:3], v[10:11]
	flat_store_dwordx2 v[2:3], v[12:13] offset:1024
	flat_store_dwordx2 v[2:3], v[16:17] offset:2048
	s_mov_b64 s[0:1], 0
.LBB2210_63:
	s_andn2_b64 vcc, exec, s[0:1]
	s_cbranch_vccnz .LBB2210_102
; %bb.64:
	s_movk_i32 s0, 0xffd0
	ds_write2_b64 v38, v[14:15], v[28:29] offset1:1
	ds_write2_b64 v38, v[18:19], v[30:31] offset0:2 offset1:3
	ds_write2_b64 v38, v[22:23], v[32:33] offset0:4 offset1:5
	ds_write_b64 v38, v[34:35] offset:48
	v_mad_i32_i24 v14, v0, s0, v38
	s_waitcnt lgkmcnt(0)
	s_barrier
	ds_read2st64_b64 v[2:5], v14 offset1:2
	ds_read2st64_b64 v[6:9], v14 offset0:4 offset1:6
	ds_read2st64_b64 v[10:13], v14 offset0:8 offset1:10
	ds_read_b64 v[14:15], v14 offset:6144
	v_mov_b32_e32 v17, s5
	v_add_co_u32_e32 v16, vcc, s4, v36
	v_addc_co_u32_e32 v17, vcc, 0, v17, vcc
	v_mov_b32_e32 v1, 0
	v_cmp_gt_u32_e32 vcc, s30, v0
	s_and_saveexec_b64 s[0:1], vcc
	s_cbranch_execz .LBB2210_66
; %bb.65:
	s_waitcnt lgkmcnt(0)
	flat_store_dwordx2 v[16:17], v[2:3]
.LBB2210_66:
	s_or_b64 exec, exec, s[0:1]
	v_or_b32_e32 v18, 0x80, v0
	v_cmp_gt_u32_e32 vcc, s30, v18
	s_and_saveexec_b64 s[0:1], vcc
	s_cbranch_execz .LBB2210_68
; %bb.67:
	s_waitcnt lgkmcnt(0)
	flat_store_dwordx2 v[16:17], v[4:5] offset:1024
.LBB2210_68:
	s_or_b64 exec, exec, s[0:1]
	v_or_b32_e32 v18, 0x100, v0
	v_cmp_gt_u32_e32 vcc, s30, v18
	s_and_saveexec_b64 s[0:1], vcc
	s_cbranch_execz .LBB2210_70
; %bb.69:
	s_waitcnt lgkmcnt(0)
	flat_store_dwordx2 v[16:17], v[6:7] offset:2048
.LBB2210_70:
	s_or_b64 exec, exec, s[0:1]
	v_or_b32_e32 v18, 0x180, v0
	v_cmp_gt_u32_e32 vcc, s30, v18
	s_and_saveexec_b64 s[0:1], vcc
	s_cbranch_execz .LBB2210_72
; %bb.71:
	s_waitcnt lgkmcnt(0)
	flat_store_dwordx2 v[16:17], v[8:9] offset:3072
.LBB2210_72:
	s_or_b64 exec, exec, s[0:1]
	v_or_b32_e32 v18, 0x200, v0
	v_cmp_gt_u32_e32 vcc, s30, v18
	s_and_saveexec_b64 s[0:1], vcc
	s_cbranch_execz .LBB2210_74
; %bb.73:
	v_add_co_u32_e32 v18, vcc, 0x1000, v16
	v_addc_co_u32_e32 v19, vcc, 0, v17, vcc
	s_waitcnt lgkmcnt(0)
	flat_store_dwordx2 v[18:19], v[10:11]
.LBB2210_74:
	s_or_b64 exec, exec, s[0:1]
	v_or_b32_e32 v18, 0x280, v0
	v_cmp_gt_u32_e32 vcc, s30, v18
	s_and_saveexec_b64 s[0:1], vcc
	s_cbranch_execz .LBB2210_76
; %bb.75:
	v_add_co_u32_e32 v18, vcc, 0x1000, v16
	v_addc_co_u32_e32 v19, vcc, 0, v17, vcc
	s_waitcnt lgkmcnt(0)
	flat_store_dwordx2 v[18:19], v[12:13] offset:1024
.LBB2210_76:
	s_or_b64 exec, exec, s[0:1]
	v_or_b32_e32 v18, 0x300, v0
	v_cmp_gt_u32_e32 vcc, s30, v18
	s_and_saveexec_b64 s[0:1], vcc
	s_cbranch_execz .LBB2210_78
; %bb.77:
	v_add_co_u32_e32 v16, vcc, 0x1000, v16
	v_addc_co_u32_e32 v17, vcc, 0, v17, vcc
	s_waitcnt lgkmcnt(0)
	flat_store_dwordx2 v[16:17], v[14:15] offset:2048
.LBB2210_78:
	s_or_b64 exec, exec, s[0:1]
	v_cmp_lt_u64_e64 s[0:1], s[6:7], 2
	s_and_b64 vcc, exec, s[0:1]
	s_cbranch_vccnz .LBB2210_102
; %bb.79:
	s_add_u32 s0, s30, -1
	s_addc_u32 s1, s31, -1
	s_add_u32 s4, 0, 0x92481000
	s_addc_u32 s5, 0, 0x64
	s_add_i32 s5, s5, 0x249248c0
	s_mul_hi_u32 s9, s4, -7
	s_sub_i32 s9, s9, s4
	s_mul_i32 s10, s5, -7
	s_mul_i32 s6, s4, -7
	s_add_i32 s9, s9, s10
	s_mul_hi_u32 s7, s5, s6
	s_mul_i32 s8, s5, s6
	s_mul_i32 s11, s4, s9
	s_mul_hi_u32 s6, s4, s6
	s_mul_hi_u32 s10, s4, s9
	s_add_u32 s6, s6, s11
	s_addc_u32 s10, 0, s10
	s_add_u32 s6, s6, s8
	s_mul_hi_u32 s11, s5, s9
	s_addc_u32 s6, s10, s7
	s_addc_u32 s7, s11, 0
	s_mul_i32 s8, s5, s9
	s_add_u32 s6, s6, s8
	v_mov_b32_e32 v16, s6
	s_addc_u32 s7, 0, s7
	v_add_co_u32_e32 v16, vcc, s4, v16
	s_cmp_lg_u64 vcc, 0
	s_addc_u32 s4, s5, s7
	v_readfirstlane_b32 s7, v16
	s_mul_i32 s6, s0, s4
	s_mul_hi_u32 s8, s0, s7
	s_mul_hi_u32 s5, s0, s4
	s_add_u32 s6, s8, s6
	s_addc_u32 s5, 0, s5
	s_mul_hi_u32 s9, s1, s7
	s_mul_i32 s7, s1, s7
	s_add_u32 s6, s6, s7
	s_mul_hi_u32 s8, s1, s4
	s_addc_u32 s5, s5, s9
	s_addc_u32 s6, s8, 0
	s_mul_i32 s4, s1, s4
	s_add_u32 s4, s5, s4
	s_addc_u32 s5, 0, s6
	s_add_u32 s6, s4, 1
	s_addc_u32 s7, s5, 0
	s_add_u32 s8, s4, 2
	s_mul_i32 s10, s5, 7
	s_mul_hi_u32 s11, s4, 7
	s_addc_u32 s9, s5, 0
	s_add_i32 s11, s11, s10
	s_mul_i32 s10, s4, 7
	v_mov_b32_e32 v16, s10
	v_sub_co_u32_e32 v16, vcc, s0, v16
	s_cmp_lg_u64 vcc, 0
	s_subb_u32 s10, s1, s11
	v_subrev_co_u32_e32 v17, vcc, 7, v16
	s_cmp_lg_u64 vcc, 0
	s_subb_u32 s11, s10, 0
	v_readfirstlane_b32 s12, v17
	s_cmp_gt_u32 s12, 6
	s_cselect_b32 s12, -1, 0
	s_cmp_eq_u32 s11, 0
	s_cselect_b32 s11, s12, -1
	s_cmp_lg_u32 s11, 0
	s_cselect_b32 s6, s8, s6
	v_readfirstlane_b32 s8, v16
	s_cselect_b32 s7, s9, s7
	s_cmp_gt_u32 s8, 6
	s_cselect_b32 s8, -1, 0
	s_cmp_eq_u32 s10, 0
	s_cselect_b32 s8, s8, -1
	s_cmp_lg_u32 s8, 0
	s_cselect_b32 s5, s7, s5
	s_cselect_b32 s4, s6, s4
	v_cmp_eq_u64_e32 vcc, s[4:5], v[0:1]
	s_and_saveexec_b64 s[4:5], vcc
	s_cbranch_execz .LBB2210_102
; %bb.80:
	v_mul_hi_u32_u24_e32 v1, 7, v0
	v_mov_b32_e32 v16, s1
	v_sub_co_u32_e32 v0, vcc, s0, v37
	v_subb_co_u32_e32 v1, vcc, v16, v1, vcc
	v_cmp_lt_i64_e32 vcc, 3, v[0:1]
	s_and_saveexec_b64 s[0:1], vcc
	s_xor_b64 s[0:1], exec, s[0:1]
	s_cbranch_execz .LBB2210_90
; %bb.81:
	v_cmp_lt_i64_e32 vcc, 4, v[0:1]
	s_and_saveexec_b64 s[4:5], vcc
	s_xor_b64 s[4:5], exec, s[4:5]
	s_cbranch_execz .LBB2210_87
; %bb.82:
	;; [unrolled: 5-line block ×3, first 2 shown]
	v_mov_b32_e32 v0, 0
	s_waitcnt lgkmcnt(0)
	global_store_dwordx2 v0, v[14:15], s[2:3]
                                        ; implicit-def: $vgpr10_vgpr11_vgpr12_vgpr13
.LBB2210_84:
	s_andn2_saveexec_b64 s[6:7], s[6:7]
	s_cbranch_execz .LBB2210_86
; %bb.85:
	v_mov_b32_e32 v0, 0
	s_waitcnt lgkmcnt(0)
	global_store_dwordx2 v0, v[12:13], s[2:3]
.LBB2210_86:
	s_or_b64 exec, exec, s[6:7]
                                        ; implicit-def: $vgpr10_vgpr11_vgpr12_vgpr13
.LBB2210_87:
	s_andn2_saveexec_b64 s[4:5], s[4:5]
	s_cbranch_execz .LBB2210_89
; %bb.88:
	v_mov_b32_e32 v0, 0
	s_waitcnt lgkmcnt(0)
	global_store_dwordx2 v0, v[10:11], s[2:3]
.LBB2210_89:
	s_or_b64 exec, exec, s[4:5]
                                        ; implicit-def: $vgpr0_vgpr1
                                        ; implicit-def: $vgpr2_vgpr3_vgpr4_vgpr5
                                        ; implicit-def: $vgpr6_vgpr7_vgpr8_vgpr9
.LBB2210_90:
	s_andn2_saveexec_b64 s[0:1], s[0:1]
	s_cbranch_execz .LBB2210_102
; %bb.91:
	v_cmp_lt_i64_e32 vcc, 1, v[0:1]
	s_and_saveexec_b64 s[0:1], vcc
	s_xor_b64 s[0:1], exec, s[0:1]
	s_cbranch_execz .LBB2210_97
; %bb.92:
	v_cmp_lt_i64_e32 vcc, 2, v[0:1]
	s_and_saveexec_b64 s[4:5], vcc
	s_xor_b64 s[4:5], exec, s[4:5]
	s_cbranch_execz .LBB2210_94
; %bb.93:
	v_mov_b32_e32 v0, 0
	s_waitcnt lgkmcnt(0)
	global_store_dwordx2 v0, v[8:9], s[2:3]
                                        ; implicit-def: $vgpr6_vgpr7_vgpr8_vgpr9
.LBB2210_94:
	s_andn2_saveexec_b64 s[4:5], s[4:5]
	s_cbranch_execz .LBB2210_96
; %bb.95:
	v_mov_b32_e32 v0, 0
	s_waitcnt lgkmcnt(0)
	global_store_dwordx2 v0, v[6:7], s[2:3]
.LBB2210_96:
	s_or_b64 exec, exec, s[4:5]
                                        ; implicit-def: $vgpr2_vgpr3_vgpr4_vgpr5
                                        ; implicit-def: $vgpr0_vgpr1
.LBB2210_97:
	s_andn2_saveexec_b64 s[0:1], s[0:1]
	s_cbranch_execz .LBB2210_102
; %bb.98:
	v_cmp_ne_u64_e32 vcc, 1, v[0:1]
	s_and_saveexec_b64 s[0:1], vcc
	s_xor_b64 s[0:1], exec, s[0:1]
	s_cbranch_execz .LBB2210_100
; %bb.99:
	v_mov_b32_e32 v0, 0
	s_waitcnt lgkmcnt(0)
	global_store_dwordx2 v0, v[2:3], s[2:3]
                                        ; implicit-def: $vgpr2_vgpr3_vgpr4_vgpr5
.LBB2210_100:
	s_andn2_saveexec_b64 s[0:1], s[0:1]
	s_cbranch_execz .LBB2210_102
; %bb.101:
	v_mov_b32_e32 v0, 0
	s_waitcnt lgkmcnt(0)
	global_store_dwordx2 v0, v[4:5], s[2:3]
.LBB2210_102:
	s_endpgm
	.section	.rodata,"a",@progbits
	.p2align	6, 0x0
	.amdhsa_kernel _ZN7rocprim17ROCPRIM_400000_NS6detail17trampoline_kernelINS0_14default_configENS1_20scan_config_selectorIyEEZZNS1_9scan_implILNS1_25lookback_scan_determinismE0ELb1ELb1ES3_N6thrust23THRUST_200600_302600_NS6detail15normal_iteratorINS9_10device_ptrIyEEEESE_y11max_functorIyEyEEDaPvRmT3_T4_T5_mT6_P12ihipStream_tbENKUlT_T0_E_clISt17integral_constantIbLb1EEST_IbLb0EEEEDaSP_SQ_EUlSP_E_NS1_11comp_targetILNS1_3genE4ELNS1_11target_archE910ELNS1_3gpuE8ELNS1_3repE0EEENS1_30default_config_static_selectorELNS0_4arch9wavefront6targetE1EEEvT1_
		.amdhsa_group_segment_fixed_size 7168
		.amdhsa_private_segment_fixed_size 0
		.amdhsa_kernarg_size 104
		.amdhsa_user_sgpr_count 6
		.amdhsa_user_sgpr_private_segment_buffer 1
		.amdhsa_user_sgpr_dispatch_ptr 0
		.amdhsa_user_sgpr_queue_ptr 0
		.amdhsa_user_sgpr_kernarg_segment_ptr 1
		.amdhsa_user_sgpr_dispatch_id 0
		.amdhsa_user_sgpr_flat_scratch_init 0
		.amdhsa_user_sgpr_kernarg_preload_length 0
		.amdhsa_user_sgpr_kernarg_preload_offset 0
		.amdhsa_user_sgpr_private_segment_size 0
		.amdhsa_uses_dynamic_stack 0
		.amdhsa_system_sgpr_private_segment_wavefront_offset 0
		.amdhsa_system_sgpr_workgroup_id_x 1
		.amdhsa_system_sgpr_workgroup_id_y 0
		.amdhsa_system_sgpr_workgroup_id_z 0
		.amdhsa_system_sgpr_workgroup_info 0
		.amdhsa_system_vgpr_workitem_id 0
		.amdhsa_next_free_vgpr 58
		.amdhsa_next_free_sgpr 35
		.amdhsa_accum_offset 60
		.amdhsa_reserve_vcc 1
		.amdhsa_reserve_flat_scratch 0
		.amdhsa_float_round_mode_32 0
		.amdhsa_float_round_mode_16_64 0
		.amdhsa_float_denorm_mode_32 3
		.amdhsa_float_denorm_mode_16_64 3
		.amdhsa_dx10_clamp 1
		.amdhsa_ieee_mode 1
		.amdhsa_fp16_overflow 0
		.amdhsa_tg_split 0
		.amdhsa_exception_fp_ieee_invalid_op 0
		.amdhsa_exception_fp_denorm_src 0
		.amdhsa_exception_fp_ieee_div_zero 0
		.amdhsa_exception_fp_ieee_overflow 0
		.amdhsa_exception_fp_ieee_underflow 0
		.amdhsa_exception_fp_ieee_inexact 0
		.amdhsa_exception_int_div_zero 0
	.end_amdhsa_kernel
	.section	.text._ZN7rocprim17ROCPRIM_400000_NS6detail17trampoline_kernelINS0_14default_configENS1_20scan_config_selectorIyEEZZNS1_9scan_implILNS1_25lookback_scan_determinismE0ELb1ELb1ES3_N6thrust23THRUST_200600_302600_NS6detail15normal_iteratorINS9_10device_ptrIyEEEESE_y11max_functorIyEyEEDaPvRmT3_T4_T5_mT6_P12ihipStream_tbENKUlT_T0_E_clISt17integral_constantIbLb1EEST_IbLb0EEEEDaSP_SQ_EUlSP_E_NS1_11comp_targetILNS1_3genE4ELNS1_11target_archE910ELNS1_3gpuE8ELNS1_3repE0EEENS1_30default_config_static_selectorELNS0_4arch9wavefront6targetE1EEEvT1_,"axG",@progbits,_ZN7rocprim17ROCPRIM_400000_NS6detail17trampoline_kernelINS0_14default_configENS1_20scan_config_selectorIyEEZZNS1_9scan_implILNS1_25lookback_scan_determinismE0ELb1ELb1ES3_N6thrust23THRUST_200600_302600_NS6detail15normal_iteratorINS9_10device_ptrIyEEEESE_y11max_functorIyEyEEDaPvRmT3_T4_T5_mT6_P12ihipStream_tbENKUlT_T0_E_clISt17integral_constantIbLb1EEST_IbLb0EEEEDaSP_SQ_EUlSP_E_NS1_11comp_targetILNS1_3genE4ELNS1_11target_archE910ELNS1_3gpuE8ELNS1_3repE0EEENS1_30default_config_static_selectorELNS0_4arch9wavefront6targetE1EEEvT1_,comdat
.Lfunc_end2210:
	.size	_ZN7rocprim17ROCPRIM_400000_NS6detail17trampoline_kernelINS0_14default_configENS1_20scan_config_selectorIyEEZZNS1_9scan_implILNS1_25lookback_scan_determinismE0ELb1ELb1ES3_N6thrust23THRUST_200600_302600_NS6detail15normal_iteratorINS9_10device_ptrIyEEEESE_y11max_functorIyEyEEDaPvRmT3_T4_T5_mT6_P12ihipStream_tbENKUlT_T0_E_clISt17integral_constantIbLb1EEST_IbLb0EEEEDaSP_SQ_EUlSP_E_NS1_11comp_targetILNS1_3genE4ELNS1_11target_archE910ELNS1_3gpuE8ELNS1_3repE0EEENS1_30default_config_static_selectorELNS0_4arch9wavefront6targetE1EEEvT1_, .Lfunc_end2210-_ZN7rocprim17ROCPRIM_400000_NS6detail17trampoline_kernelINS0_14default_configENS1_20scan_config_selectorIyEEZZNS1_9scan_implILNS1_25lookback_scan_determinismE0ELb1ELb1ES3_N6thrust23THRUST_200600_302600_NS6detail15normal_iteratorINS9_10device_ptrIyEEEESE_y11max_functorIyEyEEDaPvRmT3_T4_T5_mT6_P12ihipStream_tbENKUlT_T0_E_clISt17integral_constantIbLb1EEST_IbLb0EEEEDaSP_SQ_EUlSP_E_NS1_11comp_targetILNS1_3genE4ELNS1_11target_archE910ELNS1_3gpuE8ELNS1_3repE0EEENS1_30default_config_static_selectorELNS0_4arch9wavefront6targetE1EEEvT1_
                                        ; -- End function
	.section	.AMDGPU.csdata,"",@progbits
; Kernel info:
; codeLenInByte = 5944
; NumSgprs: 39
; NumVgprs: 58
; NumAgprs: 0
; TotalNumVgprs: 58
; ScratchSize: 0
; MemoryBound: 0
; FloatMode: 240
; IeeeMode: 1
; LDSByteSize: 7168 bytes/workgroup (compile time only)
; SGPRBlocks: 4
; VGPRBlocks: 7
; NumSGPRsForWavesPerEU: 39
; NumVGPRsForWavesPerEU: 58
; AccumOffset: 60
; Occupancy: 5
; WaveLimiterHint : 1
; COMPUTE_PGM_RSRC2:SCRATCH_EN: 0
; COMPUTE_PGM_RSRC2:USER_SGPR: 6
; COMPUTE_PGM_RSRC2:TRAP_HANDLER: 0
; COMPUTE_PGM_RSRC2:TGID_X_EN: 1
; COMPUTE_PGM_RSRC2:TGID_Y_EN: 0
; COMPUTE_PGM_RSRC2:TGID_Z_EN: 0
; COMPUTE_PGM_RSRC2:TIDIG_COMP_CNT: 0
; COMPUTE_PGM_RSRC3_GFX90A:ACCUM_OFFSET: 14
; COMPUTE_PGM_RSRC3_GFX90A:TG_SPLIT: 0
	.section	.text._ZN7rocprim17ROCPRIM_400000_NS6detail17trampoline_kernelINS0_14default_configENS1_20scan_config_selectorIyEEZZNS1_9scan_implILNS1_25lookback_scan_determinismE0ELb1ELb1ES3_N6thrust23THRUST_200600_302600_NS6detail15normal_iteratorINS9_10device_ptrIyEEEESE_y11max_functorIyEyEEDaPvRmT3_T4_T5_mT6_P12ihipStream_tbENKUlT_T0_E_clISt17integral_constantIbLb1EEST_IbLb0EEEEDaSP_SQ_EUlSP_E_NS1_11comp_targetILNS1_3genE3ELNS1_11target_archE908ELNS1_3gpuE7ELNS1_3repE0EEENS1_30default_config_static_selectorELNS0_4arch9wavefront6targetE1EEEvT1_,"axG",@progbits,_ZN7rocprim17ROCPRIM_400000_NS6detail17trampoline_kernelINS0_14default_configENS1_20scan_config_selectorIyEEZZNS1_9scan_implILNS1_25lookback_scan_determinismE0ELb1ELb1ES3_N6thrust23THRUST_200600_302600_NS6detail15normal_iteratorINS9_10device_ptrIyEEEESE_y11max_functorIyEyEEDaPvRmT3_T4_T5_mT6_P12ihipStream_tbENKUlT_T0_E_clISt17integral_constantIbLb1EEST_IbLb0EEEEDaSP_SQ_EUlSP_E_NS1_11comp_targetILNS1_3genE3ELNS1_11target_archE908ELNS1_3gpuE7ELNS1_3repE0EEENS1_30default_config_static_selectorELNS0_4arch9wavefront6targetE1EEEvT1_,comdat
	.protected	_ZN7rocprim17ROCPRIM_400000_NS6detail17trampoline_kernelINS0_14default_configENS1_20scan_config_selectorIyEEZZNS1_9scan_implILNS1_25lookback_scan_determinismE0ELb1ELb1ES3_N6thrust23THRUST_200600_302600_NS6detail15normal_iteratorINS9_10device_ptrIyEEEESE_y11max_functorIyEyEEDaPvRmT3_T4_T5_mT6_P12ihipStream_tbENKUlT_T0_E_clISt17integral_constantIbLb1EEST_IbLb0EEEEDaSP_SQ_EUlSP_E_NS1_11comp_targetILNS1_3genE3ELNS1_11target_archE908ELNS1_3gpuE7ELNS1_3repE0EEENS1_30default_config_static_selectorELNS0_4arch9wavefront6targetE1EEEvT1_ ; -- Begin function _ZN7rocprim17ROCPRIM_400000_NS6detail17trampoline_kernelINS0_14default_configENS1_20scan_config_selectorIyEEZZNS1_9scan_implILNS1_25lookback_scan_determinismE0ELb1ELb1ES3_N6thrust23THRUST_200600_302600_NS6detail15normal_iteratorINS9_10device_ptrIyEEEESE_y11max_functorIyEyEEDaPvRmT3_T4_T5_mT6_P12ihipStream_tbENKUlT_T0_E_clISt17integral_constantIbLb1EEST_IbLb0EEEEDaSP_SQ_EUlSP_E_NS1_11comp_targetILNS1_3genE3ELNS1_11target_archE908ELNS1_3gpuE7ELNS1_3repE0EEENS1_30default_config_static_selectorELNS0_4arch9wavefront6targetE1EEEvT1_
	.globl	_ZN7rocprim17ROCPRIM_400000_NS6detail17trampoline_kernelINS0_14default_configENS1_20scan_config_selectorIyEEZZNS1_9scan_implILNS1_25lookback_scan_determinismE0ELb1ELb1ES3_N6thrust23THRUST_200600_302600_NS6detail15normal_iteratorINS9_10device_ptrIyEEEESE_y11max_functorIyEyEEDaPvRmT3_T4_T5_mT6_P12ihipStream_tbENKUlT_T0_E_clISt17integral_constantIbLb1EEST_IbLb0EEEEDaSP_SQ_EUlSP_E_NS1_11comp_targetILNS1_3genE3ELNS1_11target_archE908ELNS1_3gpuE7ELNS1_3repE0EEENS1_30default_config_static_selectorELNS0_4arch9wavefront6targetE1EEEvT1_
	.p2align	8
	.type	_ZN7rocprim17ROCPRIM_400000_NS6detail17trampoline_kernelINS0_14default_configENS1_20scan_config_selectorIyEEZZNS1_9scan_implILNS1_25lookback_scan_determinismE0ELb1ELb1ES3_N6thrust23THRUST_200600_302600_NS6detail15normal_iteratorINS9_10device_ptrIyEEEESE_y11max_functorIyEyEEDaPvRmT3_T4_T5_mT6_P12ihipStream_tbENKUlT_T0_E_clISt17integral_constantIbLb1EEST_IbLb0EEEEDaSP_SQ_EUlSP_E_NS1_11comp_targetILNS1_3genE3ELNS1_11target_archE908ELNS1_3gpuE7ELNS1_3repE0EEENS1_30default_config_static_selectorELNS0_4arch9wavefront6targetE1EEEvT1_,@function
_ZN7rocprim17ROCPRIM_400000_NS6detail17trampoline_kernelINS0_14default_configENS1_20scan_config_selectorIyEEZZNS1_9scan_implILNS1_25lookback_scan_determinismE0ELb1ELb1ES3_N6thrust23THRUST_200600_302600_NS6detail15normal_iteratorINS9_10device_ptrIyEEEESE_y11max_functorIyEyEEDaPvRmT3_T4_T5_mT6_P12ihipStream_tbENKUlT_T0_E_clISt17integral_constantIbLb1EEST_IbLb0EEEEDaSP_SQ_EUlSP_E_NS1_11comp_targetILNS1_3genE3ELNS1_11target_archE908ELNS1_3gpuE7ELNS1_3repE0EEENS1_30default_config_static_selectorELNS0_4arch9wavefront6targetE1EEEvT1_: ; @_ZN7rocprim17ROCPRIM_400000_NS6detail17trampoline_kernelINS0_14default_configENS1_20scan_config_selectorIyEEZZNS1_9scan_implILNS1_25lookback_scan_determinismE0ELb1ELb1ES3_N6thrust23THRUST_200600_302600_NS6detail15normal_iteratorINS9_10device_ptrIyEEEESE_y11max_functorIyEyEEDaPvRmT3_T4_T5_mT6_P12ihipStream_tbENKUlT_T0_E_clISt17integral_constantIbLb1EEST_IbLb0EEEEDaSP_SQ_EUlSP_E_NS1_11comp_targetILNS1_3genE3ELNS1_11target_archE908ELNS1_3gpuE7ELNS1_3repE0EEENS1_30default_config_static_selectorELNS0_4arch9wavefront6targetE1EEEvT1_
; %bb.0:
	.section	.rodata,"a",@progbits
	.p2align	6, 0x0
	.amdhsa_kernel _ZN7rocprim17ROCPRIM_400000_NS6detail17trampoline_kernelINS0_14default_configENS1_20scan_config_selectorIyEEZZNS1_9scan_implILNS1_25lookback_scan_determinismE0ELb1ELb1ES3_N6thrust23THRUST_200600_302600_NS6detail15normal_iteratorINS9_10device_ptrIyEEEESE_y11max_functorIyEyEEDaPvRmT3_T4_T5_mT6_P12ihipStream_tbENKUlT_T0_E_clISt17integral_constantIbLb1EEST_IbLb0EEEEDaSP_SQ_EUlSP_E_NS1_11comp_targetILNS1_3genE3ELNS1_11target_archE908ELNS1_3gpuE7ELNS1_3repE0EEENS1_30default_config_static_selectorELNS0_4arch9wavefront6targetE1EEEvT1_
		.amdhsa_group_segment_fixed_size 0
		.amdhsa_private_segment_fixed_size 0
		.amdhsa_kernarg_size 104
		.amdhsa_user_sgpr_count 6
		.amdhsa_user_sgpr_private_segment_buffer 1
		.amdhsa_user_sgpr_dispatch_ptr 0
		.amdhsa_user_sgpr_queue_ptr 0
		.amdhsa_user_sgpr_kernarg_segment_ptr 1
		.amdhsa_user_sgpr_dispatch_id 0
		.amdhsa_user_sgpr_flat_scratch_init 0
		.amdhsa_user_sgpr_kernarg_preload_length 0
		.amdhsa_user_sgpr_kernarg_preload_offset 0
		.amdhsa_user_sgpr_private_segment_size 0
		.amdhsa_uses_dynamic_stack 0
		.amdhsa_system_sgpr_private_segment_wavefront_offset 0
		.amdhsa_system_sgpr_workgroup_id_x 1
		.amdhsa_system_sgpr_workgroup_id_y 0
		.amdhsa_system_sgpr_workgroup_id_z 0
		.amdhsa_system_sgpr_workgroup_info 0
		.amdhsa_system_vgpr_workitem_id 0
		.amdhsa_next_free_vgpr 1
		.amdhsa_next_free_sgpr 0
		.amdhsa_accum_offset 4
		.amdhsa_reserve_vcc 0
		.amdhsa_reserve_flat_scratch 0
		.amdhsa_float_round_mode_32 0
		.amdhsa_float_round_mode_16_64 0
		.amdhsa_float_denorm_mode_32 3
		.amdhsa_float_denorm_mode_16_64 3
		.amdhsa_dx10_clamp 1
		.amdhsa_ieee_mode 1
		.amdhsa_fp16_overflow 0
		.amdhsa_tg_split 0
		.amdhsa_exception_fp_ieee_invalid_op 0
		.amdhsa_exception_fp_denorm_src 0
		.amdhsa_exception_fp_ieee_div_zero 0
		.amdhsa_exception_fp_ieee_overflow 0
		.amdhsa_exception_fp_ieee_underflow 0
		.amdhsa_exception_fp_ieee_inexact 0
		.amdhsa_exception_int_div_zero 0
	.end_amdhsa_kernel
	.section	.text._ZN7rocprim17ROCPRIM_400000_NS6detail17trampoline_kernelINS0_14default_configENS1_20scan_config_selectorIyEEZZNS1_9scan_implILNS1_25lookback_scan_determinismE0ELb1ELb1ES3_N6thrust23THRUST_200600_302600_NS6detail15normal_iteratorINS9_10device_ptrIyEEEESE_y11max_functorIyEyEEDaPvRmT3_T4_T5_mT6_P12ihipStream_tbENKUlT_T0_E_clISt17integral_constantIbLb1EEST_IbLb0EEEEDaSP_SQ_EUlSP_E_NS1_11comp_targetILNS1_3genE3ELNS1_11target_archE908ELNS1_3gpuE7ELNS1_3repE0EEENS1_30default_config_static_selectorELNS0_4arch9wavefront6targetE1EEEvT1_,"axG",@progbits,_ZN7rocprim17ROCPRIM_400000_NS6detail17trampoline_kernelINS0_14default_configENS1_20scan_config_selectorIyEEZZNS1_9scan_implILNS1_25lookback_scan_determinismE0ELb1ELb1ES3_N6thrust23THRUST_200600_302600_NS6detail15normal_iteratorINS9_10device_ptrIyEEEESE_y11max_functorIyEyEEDaPvRmT3_T4_T5_mT6_P12ihipStream_tbENKUlT_T0_E_clISt17integral_constantIbLb1EEST_IbLb0EEEEDaSP_SQ_EUlSP_E_NS1_11comp_targetILNS1_3genE3ELNS1_11target_archE908ELNS1_3gpuE7ELNS1_3repE0EEENS1_30default_config_static_selectorELNS0_4arch9wavefront6targetE1EEEvT1_,comdat
.Lfunc_end2211:
	.size	_ZN7rocprim17ROCPRIM_400000_NS6detail17trampoline_kernelINS0_14default_configENS1_20scan_config_selectorIyEEZZNS1_9scan_implILNS1_25lookback_scan_determinismE0ELb1ELb1ES3_N6thrust23THRUST_200600_302600_NS6detail15normal_iteratorINS9_10device_ptrIyEEEESE_y11max_functorIyEyEEDaPvRmT3_T4_T5_mT6_P12ihipStream_tbENKUlT_T0_E_clISt17integral_constantIbLb1EEST_IbLb0EEEEDaSP_SQ_EUlSP_E_NS1_11comp_targetILNS1_3genE3ELNS1_11target_archE908ELNS1_3gpuE7ELNS1_3repE0EEENS1_30default_config_static_selectorELNS0_4arch9wavefront6targetE1EEEvT1_, .Lfunc_end2211-_ZN7rocprim17ROCPRIM_400000_NS6detail17trampoline_kernelINS0_14default_configENS1_20scan_config_selectorIyEEZZNS1_9scan_implILNS1_25lookback_scan_determinismE0ELb1ELb1ES3_N6thrust23THRUST_200600_302600_NS6detail15normal_iteratorINS9_10device_ptrIyEEEESE_y11max_functorIyEyEEDaPvRmT3_T4_T5_mT6_P12ihipStream_tbENKUlT_T0_E_clISt17integral_constantIbLb1EEST_IbLb0EEEEDaSP_SQ_EUlSP_E_NS1_11comp_targetILNS1_3genE3ELNS1_11target_archE908ELNS1_3gpuE7ELNS1_3repE0EEENS1_30default_config_static_selectorELNS0_4arch9wavefront6targetE1EEEvT1_
                                        ; -- End function
	.section	.AMDGPU.csdata,"",@progbits
; Kernel info:
; codeLenInByte = 0
; NumSgprs: 4
; NumVgprs: 0
; NumAgprs: 0
; TotalNumVgprs: 0
; ScratchSize: 0
; MemoryBound: 0
; FloatMode: 240
; IeeeMode: 1
; LDSByteSize: 0 bytes/workgroup (compile time only)
; SGPRBlocks: 0
; VGPRBlocks: 0
; NumSGPRsForWavesPerEU: 4
; NumVGPRsForWavesPerEU: 1
; AccumOffset: 4
; Occupancy: 8
; WaveLimiterHint : 0
; COMPUTE_PGM_RSRC2:SCRATCH_EN: 0
; COMPUTE_PGM_RSRC2:USER_SGPR: 6
; COMPUTE_PGM_RSRC2:TRAP_HANDLER: 0
; COMPUTE_PGM_RSRC2:TGID_X_EN: 1
; COMPUTE_PGM_RSRC2:TGID_Y_EN: 0
; COMPUTE_PGM_RSRC2:TGID_Z_EN: 0
; COMPUTE_PGM_RSRC2:TIDIG_COMP_CNT: 0
; COMPUTE_PGM_RSRC3_GFX90A:ACCUM_OFFSET: 0
; COMPUTE_PGM_RSRC3_GFX90A:TG_SPLIT: 0
	.section	.text._ZN7rocprim17ROCPRIM_400000_NS6detail17trampoline_kernelINS0_14default_configENS1_20scan_config_selectorIyEEZZNS1_9scan_implILNS1_25lookback_scan_determinismE0ELb1ELb1ES3_N6thrust23THRUST_200600_302600_NS6detail15normal_iteratorINS9_10device_ptrIyEEEESE_y11max_functorIyEyEEDaPvRmT3_T4_T5_mT6_P12ihipStream_tbENKUlT_T0_E_clISt17integral_constantIbLb1EEST_IbLb0EEEEDaSP_SQ_EUlSP_E_NS1_11comp_targetILNS1_3genE2ELNS1_11target_archE906ELNS1_3gpuE6ELNS1_3repE0EEENS1_30default_config_static_selectorELNS0_4arch9wavefront6targetE1EEEvT1_,"axG",@progbits,_ZN7rocprim17ROCPRIM_400000_NS6detail17trampoline_kernelINS0_14default_configENS1_20scan_config_selectorIyEEZZNS1_9scan_implILNS1_25lookback_scan_determinismE0ELb1ELb1ES3_N6thrust23THRUST_200600_302600_NS6detail15normal_iteratorINS9_10device_ptrIyEEEESE_y11max_functorIyEyEEDaPvRmT3_T4_T5_mT6_P12ihipStream_tbENKUlT_T0_E_clISt17integral_constantIbLb1EEST_IbLb0EEEEDaSP_SQ_EUlSP_E_NS1_11comp_targetILNS1_3genE2ELNS1_11target_archE906ELNS1_3gpuE6ELNS1_3repE0EEENS1_30default_config_static_selectorELNS0_4arch9wavefront6targetE1EEEvT1_,comdat
	.protected	_ZN7rocprim17ROCPRIM_400000_NS6detail17trampoline_kernelINS0_14default_configENS1_20scan_config_selectorIyEEZZNS1_9scan_implILNS1_25lookback_scan_determinismE0ELb1ELb1ES3_N6thrust23THRUST_200600_302600_NS6detail15normal_iteratorINS9_10device_ptrIyEEEESE_y11max_functorIyEyEEDaPvRmT3_T4_T5_mT6_P12ihipStream_tbENKUlT_T0_E_clISt17integral_constantIbLb1EEST_IbLb0EEEEDaSP_SQ_EUlSP_E_NS1_11comp_targetILNS1_3genE2ELNS1_11target_archE906ELNS1_3gpuE6ELNS1_3repE0EEENS1_30default_config_static_selectorELNS0_4arch9wavefront6targetE1EEEvT1_ ; -- Begin function _ZN7rocprim17ROCPRIM_400000_NS6detail17trampoline_kernelINS0_14default_configENS1_20scan_config_selectorIyEEZZNS1_9scan_implILNS1_25lookback_scan_determinismE0ELb1ELb1ES3_N6thrust23THRUST_200600_302600_NS6detail15normal_iteratorINS9_10device_ptrIyEEEESE_y11max_functorIyEyEEDaPvRmT3_T4_T5_mT6_P12ihipStream_tbENKUlT_T0_E_clISt17integral_constantIbLb1EEST_IbLb0EEEEDaSP_SQ_EUlSP_E_NS1_11comp_targetILNS1_3genE2ELNS1_11target_archE906ELNS1_3gpuE6ELNS1_3repE0EEENS1_30default_config_static_selectorELNS0_4arch9wavefront6targetE1EEEvT1_
	.globl	_ZN7rocprim17ROCPRIM_400000_NS6detail17trampoline_kernelINS0_14default_configENS1_20scan_config_selectorIyEEZZNS1_9scan_implILNS1_25lookback_scan_determinismE0ELb1ELb1ES3_N6thrust23THRUST_200600_302600_NS6detail15normal_iteratorINS9_10device_ptrIyEEEESE_y11max_functorIyEyEEDaPvRmT3_T4_T5_mT6_P12ihipStream_tbENKUlT_T0_E_clISt17integral_constantIbLb1EEST_IbLb0EEEEDaSP_SQ_EUlSP_E_NS1_11comp_targetILNS1_3genE2ELNS1_11target_archE906ELNS1_3gpuE6ELNS1_3repE0EEENS1_30default_config_static_selectorELNS0_4arch9wavefront6targetE1EEEvT1_
	.p2align	8
	.type	_ZN7rocprim17ROCPRIM_400000_NS6detail17trampoline_kernelINS0_14default_configENS1_20scan_config_selectorIyEEZZNS1_9scan_implILNS1_25lookback_scan_determinismE0ELb1ELb1ES3_N6thrust23THRUST_200600_302600_NS6detail15normal_iteratorINS9_10device_ptrIyEEEESE_y11max_functorIyEyEEDaPvRmT3_T4_T5_mT6_P12ihipStream_tbENKUlT_T0_E_clISt17integral_constantIbLb1EEST_IbLb0EEEEDaSP_SQ_EUlSP_E_NS1_11comp_targetILNS1_3genE2ELNS1_11target_archE906ELNS1_3gpuE6ELNS1_3repE0EEENS1_30default_config_static_selectorELNS0_4arch9wavefront6targetE1EEEvT1_,@function
_ZN7rocprim17ROCPRIM_400000_NS6detail17trampoline_kernelINS0_14default_configENS1_20scan_config_selectorIyEEZZNS1_9scan_implILNS1_25lookback_scan_determinismE0ELb1ELb1ES3_N6thrust23THRUST_200600_302600_NS6detail15normal_iteratorINS9_10device_ptrIyEEEESE_y11max_functorIyEyEEDaPvRmT3_T4_T5_mT6_P12ihipStream_tbENKUlT_T0_E_clISt17integral_constantIbLb1EEST_IbLb0EEEEDaSP_SQ_EUlSP_E_NS1_11comp_targetILNS1_3genE2ELNS1_11target_archE906ELNS1_3gpuE6ELNS1_3repE0EEENS1_30default_config_static_selectorELNS0_4arch9wavefront6targetE1EEEvT1_: ; @_ZN7rocprim17ROCPRIM_400000_NS6detail17trampoline_kernelINS0_14default_configENS1_20scan_config_selectorIyEEZZNS1_9scan_implILNS1_25lookback_scan_determinismE0ELb1ELb1ES3_N6thrust23THRUST_200600_302600_NS6detail15normal_iteratorINS9_10device_ptrIyEEEESE_y11max_functorIyEyEEDaPvRmT3_T4_T5_mT6_P12ihipStream_tbENKUlT_T0_E_clISt17integral_constantIbLb1EEST_IbLb0EEEEDaSP_SQ_EUlSP_E_NS1_11comp_targetILNS1_3genE2ELNS1_11target_archE906ELNS1_3gpuE6ELNS1_3repE0EEENS1_30default_config_static_selectorELNS0_4arch9wavefront6targetE1EEEvT1_
; %bb.0:
	.section	.rodata,"a",@progbits
	.p2align	6, 0x0
	.amdhsa_kernel _ZN7rocprim17ROCPRIM_400000_NS6detail17trampoline_kernelINS0_14default_configENS1_20scan_config_selectorIyEEZZNS1_9scan_implILNS1_25lookback_scan_determinismE0ELb1ELb1ES3_N6thrust23THRUST_200600_302600_NS6detail15normal_iteratorINS9_10device_ptrIyEEEESE_y11max_functorIyEyEEDaPvRmT3_T4_T5_mT6_P12ihipStream_tbENKUlT_T0_E_clISt17integral_constantIbLb1EEST_IbLb0EEEEDaSP_SQ_EUlSP_E_NS1_11comp_targetILNS1_3genE2ELNS1_11target_archE906ELNS1_3gpuE6ELNS1_3repE0EEENS1_30default_config_static_selectorELNS0_4arch9wavefront6targetE1EEEvT1_
		.amdhsa_group_segment_fixed_size 0
		.amdhsa_private_segment_fixed_size 0
		.amdhsa_kernarg_size 104
		.amdhsa_user_sgpr_count 6
		.amdhsa_user_sgpr_private_segment_buffer 1
		.amdhsa_user_sgpr_dispatch_ptr 0
		.amdhsa_user_sgpr_queue_ptr 0
		.amdhsa_user_sgpr_kernarg_segment_ptr 1
		.amdhsa_user_sgpr_dispatch_id 0
		.amdhsa_user_sgpr_flat_scratch_init 0
		.amdhsa_user_sgpr_kernarg_preload_length 0
		.amdhsa_user_sgpr_kernarg_preload_offset 0
		.amdhsa_user_sgpr_private_segment_size 0
		.amdhsa_uses_dynamic_stack 0
		.amdhsa_system_sgpr_private_segment_wavefront_offset 0
		.amdhsa_system_sgpr_workgroup_id_x 1
		.amdhsa_system_sgpr_workgroup_id_y 0
		.amdhsa_system_sgpr_workgroup_id_z 0
		.amdhsa_system_sgpr_workgroup_info 0
		.amdhsa_system_vgpr_workitem_id 0
		.amdhsa_next_free_vgpr 1
		.amdhsa_next_free_sgpr 0
		.amdhsa_accum_offset 4
		.amdhsa_reserve_vcc 0
		.amdhsa_reserve_flat_scratch 0
		.amdhsa_float_round_mode_32 0
		.amdhsa_float_round_mode_16_64 0
		.amdhsa_float_denorm_mode_32 3
		.amdhsa_float_denorm_mode_16_64 3
		.amdhsa_dx10_clamp 1
		.amdhsa_ieee_mode 1
		.amdhsa_fp16_overflow 0
		.amdhsa_tg_split 0
		.amdhsa_exception_fp_ieee_invalid_op 0
		.amdhsa_exception_fp_denorm_src 0
		.amdhsa_exception_fp_ieee_div_zero 0
		.amdhsa_exception_fp_ieee_overflow 0
		.amdhsa_exception_fp_ieee_underflow 0
		.amdhsa_exception_fp_ieee_inexact 0
		.amdhsa_exception_int_div_zero 0
	.end_amdhsa_kernel
	.section	.text._ZN7rocprim17ROCPRIM_400000_NS6detail17trampoline_kernelINS0_14default_configENS1_20scan_config_selectorIyEEZZNS1_9scan_implILNS1_25lookback_scan_determinismE0ELb1ELb1ES3_N6thrust23THRUST_200600_302600_NS6detail15normal_iteratorINS9_10device_ptrIyEEEESE_y11max_functorIyEyEEDaPvRmT3_T4_T5_mT6_P12ihipStream_tbENKUlT_T0_E_clISt17integral_constantIbLb1EEST_IbLb0EEEEDaSP_SQ_EUlSP_E_NS1_11comp_targetILNS1_3genE2ELNS1_11target_archE906ELNS1_3gpuE6ELNS1_3repE0EEENS1_30default_config_static_selectorELNS0_4arch9wavefront6targetE1EEEvT1_,"axG",@progbits,_ZN7rocprim17ROCPRIM_400000_NS6detail17trampoline_kernelINS0_14default_configENS1_20scan_config_selectorIyEEZZNS1_9scan_implILNS1_25lookback_scan_determinismE0ELb1ELb1ES3_N6thrust23THRUST_200600_302600_NS6detail15normal_iteratorINS9_10device_ptrIyEEEESE_y11max_functorIyEyEEDaPvRmT3_T4_T5_mT6_P12ihipStream_tbENKUlT_T0_E_clISt17integral_constantIbLb1EEST_IbLb0EEEEDaSP_SQ_EUlSP_E_NS1_11comp_targetILNS1_3genE2ELNS1_11target_archE906ELNS1_3gpuE6ELNS1_3repE0EEENS1_30default_config_static_selectorELNS0_4arch9wavefront6targetE1EEEvT1_,comdat
.Lfunc_end2212:
	.size	_ZN7rocprim17ROCPRIM_400000_NS6detail17trampoline_kernelINS0_14default_configENS1_20scan_config_selectorIyEEZZNS1_9scan_implILNS1_25lookback_scan_determinismE0ELb1ELb1ES3_N6thrust23THRUST_200600_302600_NS6detail15normal_iteratorINS9_10device_ptrIyEEEESE_y11max_functorIyEyEEDaPvRmT3_T4_T5_mT6_P12ihipStream_tbENKUlT_T0_E_clISt17integral_constantIbLb1EEST_IbLb0EEEEDaSP_SQ_EUlSP_E_NS1_11comp_targetILNS1_3genE2ELNS1_11target_archE906ELNS1_3gpuE6ELNS1_3repE0EEENS1_30default_config_static_selectorELNS0_4arch9wavefront6targetE1EEEvT1_, .Lfunc_end2212-_ZN7rocprim17ROCPRIM_400000_NS6detail17trampoline_kernelINS0_14default_configENS1_20scan_config_selectorIyEEZZNS1_9scan_implILNS1_25lookback_scan_determinismE0ELb1ELb1ES3_N6thrust23THRUST_200600_302600_NS6detail15normal_iteratorINS9_10device_ptrIyEEEESE_y11max_functorIyEyEEDaPvRmT3_T4_T5_mT6_P12ihipStream_tbENKUlT_T0_E_clISt17integral_constantIbLb1EEST_IbLb0EEEEDaSP_SQ_EUlSP_E_NS1_11comp_targetILNS1_3genE2ELNS1_11target_archE906ELNS1_3gpuE6ELNS1_3repE0EEENS1_30default_config_static_selectorELNS0_4arch9wavefront6targetE1EEEvT1_
                                        ; -- End function
	.section	.AMDGPU.csdata,"",@progbits
; Kernel info:
; codeLenInByte = 0
; NumSgprs: 4
; NumVgprs: 0
; NumAgprs: 0
; TotalNumVgprs: 0
; ScratchSize: 0
; MemoryBound: 0
; FloatMode: 240
; IeeeMode: 1
; LDSByteSize: 0 bytes/workgroup (compile time only)
; SGPRBlocks: 0
; VGPRBlocks: 0
; NumSGPRsForWavesPerEU: 4
; NumVGPRsForWavesPerEU: 1
; AccumOffset: 4
; Occupancy: 8
; WaveLimiterHint : 0
; COMPUTE_PGM_RSRC2:SCRATCH_EN: 0
; COMPUTE_PGM_RSRC2:USER_SGPR: 6
; COMPUTE_PGM_RSRC2:TRAP_HANDLER: 0
; COMPUTE_PGM_RSRC2:TGID_X_EN: 1
; COMPUTE_PGM_RSRC2:TGID_Y_EN: 0
; COMPUTE_PGM_RSRC2:TGID_Z_EN: 0
; COMPUTE_PGM_RSRC2:TIDIG_COMP_CNT: 0
; COMPUTE_PGM_RSRC3_GFX90A:ACCUM_OFFSET: 0
; COMPUTE_PGM_RSRC3_GFX90A:TG_SPLIT: 0
	.section	.text._ZN7rocprim17ROCPRIM_400000_NS6detail17trampoline_kernelINS0_14default_configENS1_20scan_config_selectorIyEEZZNS1_9scan_implILNS1_25lookback_scan_determinismE0ELb1ELb1ES3_N6thrust23THRUST_200600_302600_NS6detail15normal_iteratorINS9_10device_ptrIyEEEESE_y11max_functorIyEyEEDaPvRmT3_T4_T5_mT6_P12ihipStream_tbENKUlT_T0_E_clISt17integral_constantIbLb1EEST_IbLb0EEEEDaSP_SQ_EUlSP_E_NS1_11comp_targetILNS1_3genE10ELNS1_11target_archE1201ELNS1_3gpuE5ELNS1_3repE0EEENS1_30default_config_static_selectorELNS0_4arch9wavefront6targetE1EEEvT1_,"axG",@progbits,_ZN7rocprim17ROCPRIM_400000_NS6detail17trampoline_kernelINS0_14default_configENS1_20scan_config_selectorIyEEZZNS1_9scan_implILNS1_25lookback_scan_determinismE0ELb1ELb1ES3_N6thrust23THRUST_200600_302600_NS6detail15normal_iteratorINS9_10device_ptrIyEEEESE_y11max_functorIyEyEEDaPvRmT3_T4_T5_mT6_P12ihipStream_tbENKUlT_T0_E_clISt17integral_constantIbLb1EEST_IbLb0EEEEDaSP_SQ_EUlSP_E_NS1_11comp_targetILNS1_3genE10ELNS1_11target_archE1201ELNS1_3gpuE5ELNS1_3repE0EEENS1_30default_config_static_selectorELNS0_4arch9wavefront6targetE1EEEvT1_,comdat
	.protected	_ZN7rocprim17ROCPRIM_400000_NS6detail17trampoline_kernelINS0_14default_configENS1_20scan_config_selectorIyEEZZNS1_9scan_implILNS1_25lookback_scan_determinismE0ELb1ELb1ES3_N6thrust23THRUST_200600_302600_NS6detail15normal_iteratorINS9_10device_ptrIyEEEESE_y11max_functorIyEyEEDaPvRmT3_T4_T5_mT6_P12ihipStream_tbENKUlT_T0_E_clISt17integral_constantIbLb1EEST_IbLb0EEEEDaSP_SQ_EUlSP_E_NS1_11comp_targetILNS1_3genE10ELNS1_11target_archE1201ELNS1_3gpuE5ELNS1_3repE0EEENS1_30default_config_static_selectorELNS0_4arch9wavefront6targetE1EEEvT1_ ; -- Begin function _ZN7rocprim17ROCPRIM_400000_NS6detail17trampoline_kernelINS0_14default_configENS1_20scan_config_selectorIyEEZZNS1_9scan_implILNS1_25lookback_scan_determinismE0ELb1ELb1ES3_N6thrust23THRUST_200600_302600_NS6detail15normal_iteratorINS9_10device_ptrIyEEEESE_y11max_functorIyEyEEDaPvRmT3_T4_T5_mT6_P12ihipStream_tbENKUlT_T0_E_clISt17integral_constantIbLb1EEST_IbLb0EEEEDaSP_SQ_EUlSP_E_NS1_11comp_targetILNS1_3genE10ELNS1_11target_archE1201ELNS1_3gpuE5ELNS1_3repE0EEENS1_30default_config_static_selectorELNS0_4arch9wavefront6targetE1EEEvT1_
	.globl	_ZN7rocprim17ROCPRIM_400000_NS6detail17trampoline_kernelINS0_14default_configENS1_20scan_config_selectorIyEEZZNS1_9scan_implILNS1_25lookback_scan_determinismE0ELb1ELb1ES3_N6thrust23THRUST_200600_302600_NS6detail15normal_iteratorINS9_10device_ptrIyEEEESE_y11max_functorIyEyEEDaPvRmT3_T4_T5_mT6_P12ihipStream_tbENKUlT_T0_E_clISt17integral_constantIbLb1EEST_IbLb0EEEEDaSP_SQ_EUlSP_E_NS1_11comp_targetILNS1_3genE10ELNS1_11target_archE1201ELNS1_3gpuE5ELNS1_3repE0EEENS1_30default_config_static_selectorELNS0_4arch9wavefront6targetE1EEEvT1_
	.p2align	8
	.type	_ZN7rocprim17ROCPRIM_400000_NS6detail17trampoline_kernelINS0_14default_configENS1_20scan_config_selectorIyEEZZNS1_9scan_implILNS1_25lookback_scan_determinismE0ELb1ELb1ES3_N6thrust23THRUST_200600_302600_NS6detail15normal_iteratorINS9_10device_ptrIyEEEESE_y11max_functorIyEyEEDaPvRmT3_T4_T5_mT6_P12ihipStream_tbENKUlT_T0_E_clISt17integral_constantIbLb1EEST_IbLb0EEEEDaSP_SQ_EUlSP_E_NS1_11comp_targetILNS1_3genE10ELNS1_11target_archE1201ELNS1_3gpuE5ELNS1_3repE0EEENS1_30default_config_static_selectorELNS0_4arch9wavefront6targetE1EEEvT1_,@function
_ZN7rocprim17ROCPRIM_400000_NS6detail17trampoline_kernelINS0_14default_configENS1_20scan_config_selectorIyEEZZNS1_9scan_implILNS1_25lookback_scan_determinismE0ELb1ELb1ES3_N6thrust23THRUST_200600_302600_NS6detail15normal_iteratorINS9_10device_ptrIyEEEESE_y11max_functorIyEyEEDaPvRmT3_T4_T5_mT6_P12ihipStream_tbENKUlT_T0_E_clISt17integral_constantIbLb1EEST_IbLb0EEEEDaSP_SQ_EUlSP_E_NS1_11comp_targetILNS1_3genE10ELNS1_11target_archE1201ELNS1_3gpuE5ELNS1_3repE0EEENS1_30default_config_static_selectorELNS0_4arch9wavefront6targetE1EEEvT1_: ; @_ZN7rocprim17ROCPRIM_400000_NS6detail17trampoline_kernelINS0_14default_configENS1_20scan_config_selectorIyEEZZNS1_9scan_implILNS1_25lookback_scan_determinismE0ELb1ELb1ES3_N6thrust23THRUST_200600_302600_NS6detail15normal_iteratorINS9_10device_ptrIyEEEESE_y11max_functorIyEyEEDaPvRmT3_T4_T5_mT6_P12ihipStream_tbENKUlT_T0_E_clISt17integral_constantIbLb1EEST_IbLb0EEEEDaSP_SQ_EUlSP_E_NS1_11comp_targetILNS1_3genE10ELNS1_11target_archE1201ELNS1_3gpuE5ELNS1_3repE0EEENS1_30default_config_static_selectorELNS0_4arch9wavefront6targetE1EEEvT1_
; %bb.0:
	.section	.rodata,"a",@progbits
	.p2align	6, 0x0
	.amdhsa_kernel _ZN7rocprim17ROCPRIM_400000_NS6detail17trampoline_kernelINS0_14default_configENS1_20scan_config_selectorIyEEZZNS1_9scan_implILNS1_25lookback_scan_determinismE0ELb1ELb1ES3_N6thrust23THRUST_200600_302600_NS6detail15normal_iteratorINS9_10device_ptrIyEEEESE_y11max_functorIyEyEEDaPvRmT3_T4_T5_mT6_P12ihipStream_tbENKUlT_T0_E_clISt17integral_constantIbLb1EEST_IbLb0EEEEDaSP_SQ_EUlSP_E_NS1_11comp_targetILNS1_3genE10ELNS1_11target_archE1201ELNS1_3gpuE5ELNS1_3repE0EEENS1_30default_config_static_selectorELNS0_4arch9wavefront6targetE1EEEvT1_
		.amdhsa_group_segment_fixed_size 0
		.amdhsa_private_segment_fixed_size 0
		.amdhsa_kernarg_size 104
		.amdhsa_user_sgpr_count 6
		.amdhsa_user_sgpr_private_segment_buffer 1
		.amdhsa_user_sgpr_dispatch_ptr 0
		.amdhsa_user_sgpr_queue_ptr 0
		.amdhsa_user_sgpr_kernarg_segment_ptr 1
		.amdhsa_user_sgpr_dispatch_id 0
		.amdhsa_user_sgpr_flat_scratch_init 0
		.amdhsa_user_sgpr_kernarg_preload_length 0
		.amdhsa_user_sgpr_kernarg_preload_offset 0
		.amdhsa_user_sgpr_private_segment_size 0
		.amdhsa_uses_dynamic_stack 0
		.amdhsa_system_sgpr_private_segment_wavefront_offset 0
		.amdhsa_system_sgpr_workgroup_id_x 1
		.amdhsa_system_sgpr_workgroup_id_y 0
		.amdhsa_system_sgpr_workgroup_id_z 0
		.amdhsa_system_sgpr_workgroup_info 0
		.amdhsa_system_vgpr_workitem_id 0
		.amdhsa_next_free_vgpr 1
		.amdhsa_next_free_sgpr 0
		.amdhsa_accum_offset 4
		.amdhsa_reserve_vcc 0
		.amdhsa_reserve_flat_scratch 0
		.amdhsa_float_round_mode_32 0
		.amdhsa_float_round_mode_16_64 0
		.amdhsa_float_denorm_mode_32 3
		.amdhsa_float_denorm_mode_16_64 3
		.amdhsa_dx10_clamp 1
		.amdhsa_ieee_mode 1
		.amdhsa_fp16_overflow 0
		.amdhsa_tg_split 0
		.amdhsa_exception_fp_ieee_invalid_op 0
		.amdhsa_exception_fp_denorm_src 0
		.amdhsa_exception_fp_ieee_div_zero 0
		.amdhsa_exception_fp_ieee_overflow 0
		.amdhsa_exception_fp_ieee_underflow 0
		.amdhsa_exception_fp_ieee_inexact 0
		.amdhsa_exception_int_div_zero 0
	.end_amdhsa_kernel
	.section	.text._ZN7rocprim17ROCPRIM_400000_NS6detail17trampoline_kernelINS0_14default_configENS1_20scan_config_selectorIyEEZZNS1_9scan_implILNS1_25lookback_scan_determinismE0ELb1ELb1ES3_N6thrust23THRUST_200600_302600_NS6detail15normal_iteratorINS9_10device_ptrIyEEEESE_y11max_functorIyEyEEDaPvRmT3_T4_T5_mT6_P12ihipStream_tbENKUlT_T0_E_clISt17integral_constantIbLb1EEST_IbLb0EEEEDaSP_SQ_EUlSP_E_NS1_11comp_targetILNS1_3genE10ELNS1_11target_archE1201ELNS1_3gpuE5ELNS1_3repE0EEENS1_30default_config_static_selectorELNS0_4arch9wavefront6targetE1EEEvT1_,"axG",@progbits,_ZN7rocprim17ROCPRIM_400000_NS6detail17trampoline_kernelINS0_14default_configENS1_20scan_config_selectorIyEEZZNS1_9scan_implILNS1_25lookback_scan_determinismE0ELb1ELb1ES3_N6thrust23THRUST_200600_302600_NS6detail15normal_iteratorINS9_10device_ptrIyEEEESE_y11max_functorIyEyEEDaPvRmT3_T4_T5_mT6_P12ihipStream_tbENKUlT_T0_E_clISt17integral_constantIbLb1EEST_IbLb0EEEEDaSP_SQ_EUlSP_E_NS1_11comp_targetILNS1_3genE10ELNS1_11target_archE1201ELNS1_3gpuE5ELNS1_3repE0EEENS1_30default_config_static_selectorELNS0_4arch9wavefront6targetE1EEEvT1_,comdat
.Lfunc_end2213:
	.size	_ZN7rocprim17ROCPRIM_400000_NS6detail17trampoline_kernelINS0_14default_configENS1_20scan_config_selectorIyEEZZNS1_9scan_implILNS1_25lookback_scan_determinismE0ELb1ELb1ES3_N6thrust23THRUST_200600_302600_NS6detail15normal_iteratorINS9_10device_ptrIyEEEESE_y11max_functorIyEyEEDaPvRmT3_T4_T5_mT6_P12ihipStream_tbENKUlT_T0_E_clISt17integral_constantIbLb1EEST_IbLb0EEEEDaSP_SQ_EUlSP_E_NS1_11comp_targetILNS1_3genE10ELNS1_11target_archE1201ELNS1_3gpuE5ELNS1_3repE0EEENS1_30default_config_static_selectorELNS0_4arch9wavefront6targetE1EEEvT1_, .Lfunc_end2213-_ZN7rocprim17ROCPRIM_400000_NS6detail17trampoline_kernelINS0_14default_configENS1_20scan_config_selectorIyEEZZNS1_9scan_implILNS1_25lookback_scan_determinismE0ELb1ELb1ES3_N6thrust23THRUST_200600_302600_NS6detail15normal_iteratorINS9_10device_ptrIyEEEESE_y11max_functorIyEyEEDaPvRmT3_T4_T5_mT6_P12ihipStream_tbENKUlT_T0_E_clISt17integral_constantIbLb1EEST_IbLb0EEEEDaSP_SQ_EUlSP_E_NS1_11comp_targetILNS1_3genE10ELNS1_11target_archE1201ELNS1_3gpuE5ELNS1_3repE0EEENS1_30default_config_static_selectorELNS0_4arch9wavefront6targetE1EEEvT1_
                                        ; -- End function
	.section	.AMDGPU.csdata,"",@progbits
; Kernel info:
; codeLenInByte = 0
; NumSgprs: 4
; NumVgprs: 0
; NumAgprs: 0
; TotalNumVgprs: 0
; ScratchSize: 0
; MemoryBound: 0
; FloatMode: 240
; IeeeMode: 1
; LDSByteSize: 0 bytes/workgroup (compile time only)
; SGPRBlocks: 0
; VGPRBlocks: 0
; NumSGPRsForWavesPerEU: 4
; NumVGPRsForWavesPerEU: 1
; AccumOffset: 4
; Occupancy: 8
; WaveLimiterHint : 0
; COMPUTE_PGM_RSRC2:SCRATCH_EN: 0
; COMPUTE_PGM_RSRC2:USER_SGPR: 6
; COMPUTE_PGM_RSRC2:TRAP_HANDLER: 0
; COMPUTE_PGM_RSRC2:TGID_X_EN: 1
; COMPUTE_PGM_RSRC2:TGID_Y_EN: 0
; COMPUTE_PGM_RSRC2:TGID_Z_EN: 0
; COMPUTE_PGM_RSRC2:TIDIG_COMP_CNT: 0
; COMPUTE_PGM_RSRC3_GFX90A:ACCUM_OFFSET: 0
; COMPUTE_PGM_RSRC3_GFX90A:TG_SPLIT: 0
	.section	.text._ZN7rocprim17ROCPRIM_400000_NS6detail17trampoline_kernelINS0_14default_configENS1_20scan_config_selectorIyEEZZNS1_9scan_implILNS1_25lookback_scan_determinismE0ELb1ELb1ES3_N6thrust23THRUST_200600_302600_NS6detail15normal_iteratorINS9_10device_ptrIyEEEESE_y11max_functorIyEyEEDaPvRmT3_T4_T5_mT6_P12ihipStream_tbENKUlT_T0_E_clISt17integral_constantIbLb1EEST_IbLb0EEEEDaSP_SQ_EUlSP_E_NS1_11comp_targetILNS1_3genE10ELNS1_11target_archE1200ELNS1_3gpuE4ELNS1_3repE0EEENS1_30default_config_static_selectorELNS0_4arch9wavefront6targetE1EEEvT1_,"axG",@progbits,_ZN7rocprim17ROCPRIM_400000_NS6detail17trampoline_kernelINS0_14default_configENS1_20scan_config_selectorIyEEZZNS1_9scan_implILNS1_25lookback_scan_determinismE0ELb1ELb1ES3_N6thrust23THRUST_200600_302600_NS6detail15normal_iteratorINS9_10device_ptrIyEEEESE_y11max_functorIyEyEEDaPvRmT3_T4_T5_mT6_P12ihipStream_tbENKUlT_T0_E_clISt17integral_constantIbLb1EEST_IbLb0EEEEDaSP_SQ_EUlSP_E_NS1_11comp_targetILNS1_3genE10ELNS1_11target_archE1200ELNS1_3gpuE4ELNS1_3repE0EEENS1_30default_config_static_selectorELNS0_4arch9wavefront6targetE1EEEvT1_,comdat
	.protected	_ZN7rocprim17ROCPRIM_400000_NS6detail17trampoline_kernelINS0_14default_configENS1_20scan_config_selectorIyEEZZNS1_9scan_implILNS1_25lookback_scan_determinismE0ELb1ELb1ES3_N6thrust23THRUST_200600_302600_NS6detail15normal_iteratorINS9_10device_ptrIyEEEESE_y11max_functorIyEyEEDaPvRmT3_T4_T5_mT6_P12ihipStream_tbENKUlT_T0_E_clISt17integral_constantIbLb1EEST_IbLb0EEEEDaSP_SQ_EUlSP_E_NS1_11comp_targetILNS1_3genE10ELNS1_11target_archE1200ELNS1_3gpuE4ELNS1_3repE0EEENS1_30default_config_static_selectorELNS0_4arch9wavefront6targetE1EEEvT1_ ; -- Begin function _ZN7rocprim17ROCPRIM_400000_NS6detail17trampoline_kernelINS0_14default_configENS1_20scan_config_selectorIyEEZZNS1_9scan_implILNS1_25lookback_scan_determinismE0ELb1ELb1ES3_N6thrust23THRUST_200600_302600_NS6detail15normal_iteratorINS9_10device_ptrIyEEEESE_y11max_functorIyEyEEDaPvRmT3_T4_T5_mT6_P12ihipStream_tbENKUlT_T0_E_clISt17integral_constantIbLb1EEST_IbLb0EEEEDaSP_SQ_EUlSP_E_NS1_11comp_targetILNS1_3genE10ELNS1_11target_archE1200ELNS1_3gpuE4ELNS1_3repE0EEENS1_30default_config_static_selectorELNS0_4arch9wavefront6targetE1EEEvT1_
	.globl	_ZN7rocprim17ROCPRIM_400000_NS6detail17trampoline_kernelINS0_14default_configENS1_20scan_config_selectorIyEEZZNS1_9scan_implILNS1_25lookback_scan_determinismE0ELb1ELb1ES3_N6thrust23THRUST_200600_302600_NS6detail15normal_iteratorINS9_10device_ptrIyEEEESE_y11max_functorIyEyEEDaPvRmT3_T4_T5_mT6_P12ihipStream_tbENKUlT_T0_E_clISt17integral_constantIbLb1EEST_IbLb0EEEEDaSP_SQ_EUlSP_E_NS1_11comp_targetILNS1_3genE10ELNS1_11target_archE1200ELNS1_3gpuE4ELNS1_3repE0EEENS1_30default_config_static_selectorELNS0_4arch9wavefront6targetE1EEEvT1_
	.p2align	8
	.type	_ZN7rocprim17ROCPRIM_400000_NS6detail17trampoline_kernelINS0_14default_configENS1_20scan_config_selectorIyEEZZNS1_9scan_implILNS1_25lookback_scan_determinismE0ELb1ELb1ES3_N6thrust23THRUST_200600_302600_NS6detail15normal_iteratorINS9_10device_ptrIyEEEESE_y11max_functorIyEyEEDaPvRmT3_T4_T5_mT6_P12ihipStream_tbENKUlT_T0_E_clISt17integral_constantIbLb1EEST_IbLb0EEEEDaSP_SQ_EUlSP_E_NS1_11comp_targetILNS1_3genE10ELNS1_11target_archE1200ELNS1_3gpuE4ELNS1_3repE0EEENS1_30default_config_static_selectorELNS0_4arch9wavefront6targetE1EEEvT1_,@function
_ZN7rocprim17ROCPRIM_400000_NS6detail17trampoline_kernelINS0_14default_configENS1_20scan_config_selectorIyEEZZNS1_9scan_implILNS1_25lookback_scan_determinismE0ELb1ELb1ES3_N6thrust23THRUST_200600_302600_NS6detail15normal_iteratorINS9_10device_ptrIyEEEESE_y11max_functorIyEyEEDaPvRmT3_T4_T5_mT6_P12ihipStream_tbENKUlT_T0_E_clISt17integral_constantIbLb1EEST_IbLb0EEEEDaSP_SQ_EUlSP_E_NS1_11comp_targetILNS1_3genE10ELNS1_11target_archE1200ELNS1_3gpuE4ELNS1_3repE0EEENS1_30default_config_static_selectorELNS0_4arch9wavefront6targetE1EEEvT1_: ; @_ZN7rocprim17ROCPRIM_400000_NS6detail17trampoline_kernelINS0_14default_configENS1_20scan_config_selectorIyEEZZNS1_9scan_implILNS1_25lookback_scan_determinismE0ELb1ELb1ES3_N6thrust23THRUST_200600_302600_NS6detail15normal_iteratorINS9_10device_ptrIyEEEESE_y11max_functorIyEyEEDaPvRmT3_T4_T5_mT6_P12ihipStream_tbENKUlT_T0_E_clISt17integral_constantIbLb1EEST_IbLb0EEEEDaSP_SQ_EUlSP_E_NS1_11comp_targetILNS1_3genE10ELNS1_11target_archE1200ELNS1_3gpuE4ELNS1_3repE0EEENS1_30default_config_static_selectorELNS0_4arch9wavefront6targetE1EEEvT1_
; %bb.0:
	.section	.rodata,"a",@progbits
	.p2align	6, 0x0
	.amdhsa_kernel _ZN7rocprim17ROCPRIM_400000_NS6detail17trampoline_kernelINS0_14default_configENS1_20scan_config_selectorIyEEZZNS1_9scan_implILNS1_25lookback_scan_determinismE0ELb1ELb1ES3_N6thrust23THRUST_200600_302600_NS6detail15normal_iteratorINS9_10device_ptrIyEEEESE_y11max_functorIyEyEEDaPvRmT3_T4_T5_mT6_P12ihipStream_tbENKUlT_T0_E_clISt17integral_constantIbLb1EEST_IbLb0EEEEDaSP_SQ_EUlSP_E_NS1_11comp_targetILNS1_3genE10ELNS1_11target_archE1200ELNS1_3gpuE4ELNS1_3repE0EEENS1_30default_config_static_selectorELNS0_4arch9wavefront6targetE1EEEvT1_
		.amdhsa_group_segment_fixed_size 0
		.amdhsa_private_segment_fixed_size 0
		.amdhsa_kernarg_size 104
		.amdhsa_user_sgpr_count 6
		.amdhsa_user_sgpr_private_segment_buffer 1
		.amdhsa_user_sgpr_dispatch_ptr 0
		.amdhsa_user_sgpr_queue_ptr 0
		.amdhsa_user_sgpr_kernarg_segment_ptr 1
		.amdhsa_user_sgpr_dispatch_id 0
		.amdhsa_user_sgpr_flat_scratch_init 0
		.amdhsa_user_sgpr_kernarg_preload_length 0
		.amdhsa_user_sgpr_kernarg_preload_offset 0
		.amdhsa_user_sgpr_private_segment_size 0
		.amdhsa_uses_dynamic_stack 0
		.amdhsa_system_sgpr_private_segment_wavefront_offset 0
		.amdhsa_system_sgpr_workgroup_id_x 1
		.amdhsa_system_sgpr_workgroup_id_y 0
		.amdhsa_system_sgpr_workgroup_id_z 0
		.amdhsa_system_sgpr_workgroup_info 0
		.amdhsa_system_vgpr_workitem_id 0
		.amdhsa_next_free_vgpr 1
		.amdhsa_next_free_sgpr 0
		.amdhsa_accum_offset 4
		.amdhsa_reserve_vcc 0
		.amdhsa_reserve_flat_scratch 0
		.amdhsa_float_round_mode_32 0
		.amdhsa_float_round_mode_16_64 0
		.amdhsa_float_denorm_mode_32 3
		.amdhsa_float_denorm_mode_16_64 3
		.amdhsa_dx10_clamp 1
		.amdhsa_ieee_mode 1
		.amdhsa_fp16_overflow 0
		.amdhsa_tg_split 0
		.amdhsa_exception_fp_ieee_invalid_op 0
		.amdhsa_exception_fp_denorm_src 0
		.amdhsa_exception_fp_ieee_div_zero 0
		.amdhsa_exception_fp_ieee_overflow 0
		.amdhsa_exception_fp_ieee_underflow 0
		.amdhsa_exception_fp_ieee_inexact 0
		.amdhsa_exception_int_div_zero 0
	.end_amdhsa_kernel
	.section	.text._ZN7rocprim17ROCPRIM_400000_NS6detail17trampoline_kernelINS0_14default_configENS1_20scan_config_selectorIyEEZZNS1_9scan_implILNS1_25lookback_scan_determinismE0ELb1ELb1ES3_N6thrust23THRUST_200600_302600_NS6detail15normal_iteratorINS9_10device_ptrIyEEEESE_y11max_functorIyEyEEDaPvRmT3_T4_T5_mT6_P12ihipStream_tbENKUlT_T0_E_clISt17integral_constantIbLb1EEST_IbLb0EEEEDaSP_SQ_EUlSP_E_NS1_11comp_targetILNS1_3genE10ELNS1_11target_archE1200ELNS1_3gpuE4ELNS1_3repE0EEENS1_30default_config_static_selectorELNS0_4arch9wavefront6targetE1EEEvT1_,"axG",@progbits,_ZN7rocprim17ROCPRIM_400000_NS6detail17trampoline_kernelINS0_14default_configENS1_20scan_config_selectorIyEEZZNS1_9scan_implILNS1_25lookback_scan_determinismE0ELb1ELb1ES3_N6thrust23THRUST_200600_302600_NS6detail15normal_iteratorINS9_10device_ptrIyEEEESE_y11max_functorIyEyEEDaPvRmT3_T4_T5_mT6_P12ihipStream_tbENKUlT_T0_E_clISt17integral_constantIbLb1EEST_IbLb0EEEEDaSP_SQ_EUlSP_E_NS1_11comp_targetILNS1_3genE10ELNS1_11target_archE1200ELNS1_3gpuE4ELNS1_3repE0EEENS1_30default_config_static_selectorELNS0_4arch9wavefront6targetE1EEEvT1_,comdat
.Lfunc_end2214:
	.size	_ZN7rocprim17ROCPRIM_400000_NS6detail17trampoline_kernelINS0_14default_configENS1_20scan_config_selectorIyEEZZNS1_9scan_implILNS1_25lookback_scan_determinismE0ELb1ELb1ES3_N6thrust23THRUST_200600_302600_NS6detail15normal_iteratorINS9_10device_ptrIyEEEESE_y11max_functorIyEyEEDaPvRmT3_T4_T5_mT6_P12ihipStream_tbENKUlT_T0_E_clISt17integral_constantIbLb1EEST_IbLb0EEEEDaSP_SQ_EUlSP_E_NS1_11comp_targetILNS1_3genE10ELNS1_11target_archE1200ELNS1_3gpuE4ELNS1_3repE0EEENS1_30default_config_static_selectorELNS0_4arch9wavefront6targetE1EEEvT1_, .Lfunc_end2214-_ZN7rocprim17ROCPRIM_400000_NS6detail17trampoline_kernelINS0_14default_configENS1_20scan_config_selectorIyEEZZNS1_9scan_implILNS1_25lookback_scan_determinismE0ELb1ELb1ES3_N6thrust23THRUST_200600_302600_NS6detail15normal_iteratorINS9_10device_ptrIyEEEESE_y11max_functorIyEyEEDaPvRmT3_T4_T5_mT6_P12ihipStream_tbENKUlT_T0_E_clISt17integral_constantIbLb1EEST_IbLb0EEEEDaSP_SQ_EUlSP_E_NS1_11comp_targetILNS1_3genE10ELNS1_11target_archE1200ELNS1_3gpuE4ELNS1_3repE0EEENS1_30default_config_static_selectorELNS0_4arch9wavefront6targetE1EEEvT1_
                                        ; -- End function
	.section	.AMDGPU.csdata,"",@progbits
; Kernel info:
; codeLenInByte = 0
; NumSgprs: 4
; NumVgprs: 0
; NumAgprs: 0
; TotalNumVgprs: 0
; ScratchSize: 0
; MemoryBound: 0
; FloatMode: 240
; IeeeMode: 1
; LDSByteSize: 0 bytes/workgroup (compile time only)
; SGPRBlocks: 0
; VGPRBlocks: 0
; NumSGPRsForWavesPerEU: 4
; NumVGPRsForWavesPerEU: 1
; AccumOffset: 4
; Occupancy: 8
; WaveLimiterHint : 0
; COMPUTE_PGM_RSRC2:SCRATCH_EN: 0
; COMPUTE_PGM_RSRC2:USER_SGPR: 6
; COMPUTE_PGM_RSRC2:TRAP_HANDLER: 0
; COMPUTE_PGM_RSRC2:TGID_X_EN: 1
; COMPUTE_PGM_RSRC2:TGID_Y_EN: 0
; COMPUTE_PGM_RSRC2:TGID_Z_EN: 0
; COMPUTE_PGM_RSRC2:TIDIG_COMP_CNT: 0
; COMPUTE_PGM_RSRC3_GFX90A:ACCUM_OFFSET: 0
; COMPUTE_PGM_RSRC3_GFX90A:TG_SPLIT: 0
	.section	.text._ZN7rocprim17ROCPRIM_400000_NS6detail17trampoline_kernelINS0_14default_configENS1_20scan_config_selectorIyEEZZNS1_9scan_implILNS1_25lookback_scan_determinismE0ELb1ELb1ES3_N6thrust23THRUST_200600_302600_NS6detail15normal_iteratorINS9_10device_ptrIyEEEESE_y11max_functorIyEyEEDaPvRmT3_T4_T5_mT6_P12ihipStream_tbENKUlT_T0_E_clISt17integral_constantIbLb1EEST_IbLb0EEEEDaSP_SQ_EUlSP_E_NS1_11comp_targetILNS1_3genE9ELNS1_11target_archE1100ELNS1_3gpuE3ELNS1_3repE0EEENS1_30default_config_static_selectorELNS0_4arch9wavefront6targetE1EEEvT1_,"axG",@progbits,_ZN7rocprim17ROCPRIM_400000_NS6detail17trampoline_kernelINS0_14default_configENS1_20scan_config_selectorIyEEZZNS1_9scan_implILNS1_25lookback_scan_determinismE0ELb1ELb1ES3_N6thrust23THRUST_200600_302600_NS6detail15normal_iteratorINS9_10device_ptrIyEEEESE_y11max_functorIyEyEEDaPvRmT3_T4_T5_mT6_P12ihipStream_tbENKUlT_T0_E_clISt17integral_constantIbLb1EEST_IbLb0EEEEDaSP_SQ_EUlSP_E_NS1_11comp_targetILNS1_3genE9ELNS1_11target_archE1100ELNS1_3gpuE3ELNS1_3repE0EEENS1_30default_config_static_selectorELNS0_4arch9wavefront6targetE1EEEvT1_,comdat
	.protected	_ZN7rocprim17ROCPRIM_400000_NS6detail17trampoline_kernelINS0_14default_configENS1_20scan_config_selectorIyEEZZNS1_9scan_implILNS1_25lookback_scan_determinismE0ELb1ELb1ES3_N6thrust23THRUST_200600_302600_NS6detail15normal_iteratorINS9_10device_ptrIyEEEESE_y11max_functorIyEyEEDaPvRmT3_T4_T5_mT6_P12ihipStream_tbENKUlT_T0_E_clISt17integral_constantIbLb1EEST_IbLb0EEEEDaSP_SQ_EUlSP_E_NS1_11comp_targetILNS1_3genE9ELNS1_11target_archE1100ELNS1_3gpuE3ELNS1_3repE0EEENS1_30default_config_static_selectorELNS0_4arch9wavefront6targetE1EEEvT1_ ; -- Begin function _ZN7rocprim17ROCPRIM_400000_NS6detail17trampoline_kernelINS0_14default_configENS1_20scan_config_selectorIyEEZZNS1_9scan_implILNS1_25lookback_scan_determinismE0ELb1ELb1ES3_N6thrust23THRUST_200600_302600_NS6detail15normal_iteratorINS9_10device_ptrIyEEEESE_y11max_functorIyEyEEDaPvRmT3_T4_T5_mT6_P12ihipStream_tbENKUlT_T0_E_clISt17integral_constantIbLb1EEST_IbLb0EEEEDaSP_SQ_EUlSP_E_NS1_11comp_targetILNS1_3genE9ELNS1_11target_archE1100ELNS1_3gpuE3ELNS1_3repE0EEENS1_30default_config_static_selectorELNS0_4arch9wavefront6targetE1EEEvT1_
	.globl	_ZN7rocprim17ROCPRIM_400000_NS6detail17trampoline_kernelINS0_14default_configENS1_20scan_config_selectorIyEEZZNS1_9scan_implILNS1_25lookback_scan_determinismE0ELb1ELb1ES3_N6thrust23THRUST_200600_302600_NS6detail15normal_iteratorINS9_10device_ptrIyEEEESE_y11max_functorIyEyEEDaPvRmT3_T4_T5_mT6_P12ihipStream_tbENKUlT_T0_E_clISt17integral_constantIbLb1EEST_IbLb0EEEEDaSP_SQ_EUlSP_E_NS1_11comp_targetILNS1_3genE9ELNS1_11target_archE1100ELNS1_3gpuE3ELNS1_3repE0EEENS1_30default_config_static_selectorELNS0_4arch9wavefront6targetE1EEEvT1_
	.p2align	8
	.type	_ZN7rocprim17ROCPRIM_400000_NS6detail17trampoline_kernelINS0_14default_configENS1_20scan_config_selectorIyEEZZNS1_9scan_implILNS1_25lookback_scan_determinismE0ELb1ELb1ES3_N6thrust23THRUST_200600_302600_NS6detail15normal_iteratorINS9_10device_ptrIyEEEESE_y11max_functorIyEyEEDaPvRmT3_T4_T5_mT6_P12ihipStream_tbENKUlT_T0_E_clISt17integral_constantIbLb1EEST_IbLb0EEEEDaSP_SQ_EUlSP_E_NS1_11comp_targetILNS1_3genE9ELNS1_11target_archE1100ELNS1_3gpuE3ELNS1_3repE0EEENS1_30default_config_static_selectorELNS0_4arch9wavefront6targetE1EEEvT1_,@function
_ZN7rocprim17ROCPRIM_400000_NS6detail17trampoline_kernelINS0_14default_configENS1_20scan_config_selectorIyEEZZNS1_9scan_implILNS1_25lookback_scan_determinismE0ELb1ELb1ES3_N6thrust23THRUST_200600_302600_NS6detail15normal_iteratorINS9_10device_ptrIyEEEESE_y11max_functorIyEyEEDaPvRmT3_T4_T5_mT6_P12ihipStream_tbENKUlT_T0_E_clISt17integral_constantIbLb1EEST_IbLb0EEEEDaSP_SQ_EUlSP_E_NS1_11comp_targetILNS1_3genE9ELNS1_11target_archE1100ELNS1_3gpuE3ELNS1_3repE0EEENS1_30default_config_static_selectorELNS0_4arch9wavefront6targetE1EEEvT1_: ; @_ZN7rocprim17ROCPRIM_400000_NS6detail17trampoline_kernelINS0_14default_configENS1_20scan_config_selectorIyEEZZNS1_9scan_implILNS1_25lookback_scan_determinismE0ELb1ELb1ES3_N6thrust23THRUST_200600_302600_NS6detail15normal_iteratorINS9_10device_ptrIyEEEESE_y11max_functorIyEyEEDaPvRmT3_T4_T5_mT6_P12ihipStream_tbENKUlT_T0_E_clISt17integral_constantIbLb1EEST_IbLb0EEEEDaSP_SQ_EUlSP_E_NS1_11comp_targetILNS1_3genE9ELNS1_11target_archE1100ELNS1_3gpuE3ELNS1_3repE0EEENS1_30default_config_static_selectorELNS0_4arch9wavefront6targetE1EEEvT1_
; %bb.0:
	.section	.rodata,"a",@progbits
	.p2align	6, 0x0
	.amdhsa_kernel _ZN7rocprim17ROCPRIM_400000_NS6detail17trampoline_kernelINS0_14default_configENS1_20scan_config_selectorIyEEZZNS1_9scan_implILNS1_25lookback_scan_determinismE0ELb1ELb1ES3_N6thrust23THRUST_200600_302600_NS6detail15normal_iteratorINS9_10device_ptrIyEEEESE_y11max_functorIyEyEEDaPvRmT3_T4_T5_mT6_P12ihipStream_tbENKUlT_T0_E_clISt17integral_constantIbLb1EEST_IbLb0EEEEDaSP_SQ_EUlSP_E_NS1_11comp_targetILNS1_3genE9ELNS1_11target_archE1100ELNS1_3gpuE3ELNS1_3repE0EEENS1_30default_config_static_selectorELNS0_4arch9wavefront6targetE1EEEvT1_
		.amdhsa_group_segment_fixed_size 0
		.amdhsa_private_segment_fixed_size 0
		.amdhsa_kernarg_size 104
		.amdhsa_user_sgpr_count 6
		.amdhsa_user_sgpr_private_segment_buffer 1
		.amdhsa_user_sgpr_dispatch_ptr 0
		.amdhsa_user_sgpr_queue_ptr 0
		.amdhsa_user_sgpr_kernarg_segment_ptr 1
		.amdhsa_user_sgpr_dispatch_id 0
		.amdhsa_user_sgpr_flat_scratch_init 0
		.amdhsa_user_sgpr_kernarg_preload_length 0
		.amdhsa_user_sgpr_kernarg_preload_offset 0
		.amdhsa_user_sgpr_private_segment_size 0
		.amdhsa_uses_dynamic_stack 0
		.amdhsa_system_sgpr_private_segment_wavefront_offset 0
		.amdhsa_system_sgpr_workgroup_id_x 1
		.amdhsa_system_sgpr_workgroup_id_y 0
		.amdhsa_system_sgpr_workgroup_id_z 0
		.amdhsa_system_sgpr_workgroup_info 0
		.amdhsa_system_vgpr_workitem_id 0
		.amdhsa_next_free_vgpr 1
		.amdhsa_next_free_sgpr 0
		.amdhsa_accum_offset 4
		.amdhsa_reserve_vcc 0
		.amdhsa_reserve_flat_scratch 0
		.amdhsa_float_round_mode_32 0
		.amdhsa_float_round_mode_16_64 0
		.amdhsa_float_denorm_mode_32 3
		.amdhsa_float_denorm_mode_16_64 3
		.amdhsa_dx10_clamp 1
		.amdhsa_ieee_mode 1
		.amdhsa_fp16_overflow 0
		.amdhsa_tg_split 0
		.amdhsa_exception_fp_ieee_invalid_op 0
		.amdhsa_exception_fp_denorm_src 0
		.amdhsa_exception_fp_ieee_div_zero 0
		.amdhsa_exception_fp_ieee_overflow 0
		.amdhsa_exception_fp_ieee_underflow 0
		.amdhsa_exception_fp_ieee_inexact 0
		.amdhsa_exception_int_div_zero 0
	.end_amdhsa_kernel
	.section	.text._ZN7rocprim17ROCPRIM_400000_NS6detail17trampoline_kernelINS0_14default_configENS1_20scan_config_selectorIyEEZZNS1_9scan_implILNS1_25lookback_scan_determinismE0ELb1ELb1ES3_N6thrust23THRUST_200600_302600_NS6detail15normal_iteratorINS9_10device_ptrIyEEEESE_y11max_functorIyEyEEDaPvRmT3_T4_T5_mT6_P12ihipStream_tbENKUlT_T0_E_clISt17integral_constantIbLb1EEST_IbLb0EEEEDaSP_SQ_EUlSP_E_NS1_11comp_targetILNS1_3genE9ELNS1_11target_archE1100ELNS1_3gpuE3ELNS1_3repE0EEENS1_30default_config_static_selectorELNS0_4arch9wavefront6targetE1EEEvT1_,"axG",@progbits,_ZN7rocprim17ROCPRIM_400000_NS6detail17trampoline_kernelINS0_14default_configENS1_20scan_config_selectorIyEEZZNS1_9scan_implILNS1_25lookback_scan_determinismE0ELb1ELb1ES3_N6thrust23THRUST_200600_302600_NS6detail15normal_iteratorINS9_10device_ptrIyEEEESE_y11max_functorIyEyEEDaPvRmT3_T4_T5_mT6_P12ihipStream_tbENKUlT_T0_E_clISt17integral_constantIbLb1EEST_IbLb0EEEEDaSP_SQ_EUlSP_E_NS1_11comp_targetILNS1_3genE9ELNS1_11target_archE1100ELNS1_3gpuE3ELNS1_3repE0EEENS1_30default_config_static_selectorELNS0_4arch9wavefront6targetE1EEEvT1_,comdat
.Lfunc_end2215:
	.size	_ZN7rocprim17ROCPRIM_400000_NS6detail17trampoline_kernelINS0_14default_configENS1_20scan_config_selectorIyEEZZNS1_9scan_implILNS1_25lookback_scan_determinismE0ELb1ELb1ES3_N6thrust23THRUST_200600_302600_NS6detail15normal_iteratorINS9_10device_ptrIyEEEESE_y11max_functorIyEyEEDaPvRmT3_T4_T5_mT6_P12ihipStream_tbENKUlT_T0_E_clISt17integral_constantIbLb1EEST_IbLb0EEEEDaSP_SQ_EUlSP_E_NS1_11comp_targetILNS1_3genE9ELNS1_11target_archE1100ELNS1_3gpuE3ELNS1_3repE0EEENS1_30default_config_static_selectorELNS0_4arch9wavefront6targetE1EEEvT1_, .Lfunc_end2215-_ZN7rocprim17ROCPRIM_400000_NS6detail17trampoline_kernelINS0_14default_configENS1_20scan_config_selectorIyEEZZNS1_9scan_implILNS1_25lookback_scan_determinismE0ELb1ELb1ES3_N6thrust23THRUST_200600_302600_NS6detail15normal_iteratorINS9_10device_ptrIyEEEESE_y11max_functorIyEyEEDaPvRmT3_T4_T5_mT6_P12ihipStream_tbENKUlT_T0_E_clISt17integral_constantIbLb1EEST_IbLb0EEEEDaSP_SQ_EUlSP_E_NS1_11comp_targetILNS1_3genE9ELNS1_11target_archE1100ELNS1_3gpuE3ELNS1_3repE0EEENS1_30default_config_static_selectorELNS0_4arch9wavefront6targetE1EEEvT1_
                                        ; -- End function
	.section	.AMDGPU.csdata,"",@progbits
; Kernel info:
; codeLenInByte = 0
; NumSgprs: 4
; NumVgprs: 0
; NumAgprs: 0
; TotalNumVgprs: 0
; ScratchSize: 0
; MemoryBound: 0
; FloatMode: 240
; IeeeMode: 1
; LDSByteSize: 0 bytes/workgroup (compile time only)
; SGPRBlocks: 0
; VGPRBlocks: 0
; NumSGPRsForWavesPerEU: 4
; NumVGPRsForWavesPerEU: 1
; AccumOffset: 4
; Occupancy: 8
; WaveLimiterHint : 0
; COMPUTE_PGM_RSRC2:SCRATCH_EN: 0
; COMPUTE_PGM_RSRC2:USER_SGPR: 6
; COMPUTE_PGM_RSRC2:TRAP_HANDLER: 0
; COMPUTE_PGM_RSRC2:TGID_X_EN: 1
; COMPUTE_PGM_RSRC2:TGID_Y_EN: 0
; COMPUTE_PGM_RSRC2:TGID_Z_EN: 0
; COMPUTE_PGM_RSRC2:TIDIG_COMP_CNT: 0
; COMPUTE_PGM_RSRC3_GFX90A:ACCUM_OFFSET: 0
; COMPUTE_PGM_RSRC3_GFX90A:TG_SPLIT: 0
	.section	.text._ZN7rocprim17ROCPRIM_400000_NS6detail17trampoline_kernelINS0_14default_configENS1_20scan_config_selectorIyEEZZNS1_9scan_implILNS1_25lookback_scan_determinismE0ELb1ELb1ES3_N6thrust23THRUST_200600_302600_NS6detail15normal_iteratorINS9_10device_ptrIyEEEESE_y11max_functorIyEyEEDaPvRmT3_T4_T5_mT6_P12ihipStream_tbENKUlT_T0_E_clISt17integral_constantIbLb1EEST_IbLb0EEEEDaSP_SQ_EUlSP_E_NS1_11comp_targetILNS1_3genE8ELNS1_11target_archE1030ELNS1_3gpuE2ELNS1_3repE0EEENS1_30default_config_static_selectorELNS0_4arch9wavefront6targetE1EEEvT1_,"axG",@progbits,_ZN7rocprim17ROCPRIM_400000_NS6detail17trampoline_kernelINS0_14default_configENS1_20scan_config_selectorIyEEZZNS1_9scan_implILNS1_25lookback_scan_determinismE0ELb1ELb1ES3_N6thrust23THRUST_200600_302600_NS6detail15normal_iteratorINS9_10device_ptrIyEEEESE_y11max_functorIyEyEEDaPvRmT3_T4_T5_mT6_P12ihipStream_tbENKUlT_T0_E_clISt17integral_constantIbLb1EEST_IbLb0EEEEDaSP_SQ_EUlSP_E_NS1_11comp_targetILNS1_3genE8ELNS1_11target_archE1030ELNS1_3gpuE2ELNS1_3repE0EEENS1_30default_config_static_selectorELNS0_4arch9wavefront6targetE1EEEvT1_,comdat
	.protected	_ZN7rocprim17ROCPRIM_400000_NS6detail17trampoline_kernelINS0_14default_configENS1_20scan_config_selectorIyEEZZNS1_9scan_implILNS1_25lookback_scan_determinismE0ELb1ELb1ES3_N6thrust23THRUST_200600_302600_NS6detail15normal_iteratorINS9_10device_ptrIyEEEESE_y11max_functorIyEyEEDaPvRmT3_T4_T5_mT6_P12ihipStream_tbENKUlT_T0_E_clISt17integral_constantIbLb1EEST_IbLb0EEEEDaSP_SQ_EUlSP_E_NS1_11comp_targetILNS1_3genE8ELNS1_11target_archE1030ELNS1_3gpuE2ELNS1_3repE0EEENS1_30default_config_static_selectorELNS0_4arch9wavefront6targetE1EEEvT1_ ; -- Begin function _ZN7rocprim17ROCPRIM_400000_NS6detail17trampoline_kernelINS0_14default_configENS1_20scan_config_selectorIyEEZZNS1_9scan_implILNS1_25lookback_scan_determinismE0ELb1ELb1ES3_N6thrust23THRUST_200600_302600_NS6detail15normal_iteratorINS9_10device_ptrIyEEEESE_y11max_functorIyEyEEDaPvRmT3_T4_T5_mT6_P12ihipStream_tbENKUlT_T0_E_clISt17integral_constantIbLb1EEST_IbLb0EEEEDaSP_SQ_EUlSP_E_NS1_11comp_targetILNS1_3genE8ELNS1_11target_archE1030ELNS1_3gpuE2ELNS1_3repE0EEENS1_30default_config_static_selectorELNS0_4arch9wavefront6targetE1EEEvT1_
	.globl	_ZN7rocprim17ROCPRIM_400000_NS6detail17trampoline_kernelINS0_14default_configENS1_20scan_config_selectorIyEEZZNS1_9scan_implILNS1_25lookback_scan_determinismE0ELb1ELb1ES3_N6thrust23THRUST_200600_302600_NS6detail15normal_iteratorINS9_10device_ptrIyEEEESE_y11max_functorIyEyEEDaPvRmT3_T4_T5_mT6_P12ihipStream_tbENKUlT_T0_E_clISt17integral_constantIbLb1EEST_IbLb0EEEEDaSP_SQ_EUlSP_E_NS1_11comp_targetILNS1_3genE8ELNS1_11target_archE1030ELNS1_3gpuE2ELNS1_3repE0EEENS1_30default_config_static_selectorELNS0_4arch9wavefront6targetE1EEEvT1_
	.p2align	8
	.type	_ZN7rocprim17ROCPRIM_400000_NS6detail17trampoline_kernelINS0_14default_configENS1_20scan_config_selectorIyEEZZNS1_9scan_implILNS1_25lookback_scan_determinismE0ELb1ELb1ES3_N6thrust23THRUST_200600_302600_NS6detail15normal_iteratorINS9_10device_ptrIyEEEESE_y11max_functorIyEyEEDaPvRmT3_T4_T5_mT6_P12ihipStream_tbENKUlT_T0_E_clISt17integral_constantIbLb1EEST_IbLb0EEEEDaSP_SQ_EUlSP_E_NS1_11comp_targetILNS1_3genE8ELNS1_11target_archE1030ELNS1_3gpuE2ELNS1_3repE0EEENS1_30default_config_static_selectorELNS0_4arch9wavefront6targetE1EEEvT1_,@function
_ZN7rocprim17ROCPRIM_400000_NS6detail17trampoline_kernelINS0_14default_configENS1_20scan_config_selectorIyEEZZNS1_9scan_implILNS1_25lookback_scan_determinismE0ELb1ELb1ES3_N6thrust23THRUST_200600_302600_NS6detail15normal_iteratorINS9_10device_ptrIyEEEESE_y11max_functorIyEyEEDaPvRmT3_T4_T5_mT6_P12ihipStream_tbENKUlT_T0_E_clISt17integral_constantIbLb1EEST_IbLb0EEEEDaSP_SQ_EUlSP_E_NS1_11comp_targetILNS1_3genE8ELNS1_11target_archE1030ELNS1_3gpuE2ELNS1_3repE0EEENS1_30default_config_static_selectorELNS0_4arch9wavefront6targetE1EEEvT1_: ; @_ZN7rocprim17ROCPRIM_400000_NS6detail17trampoline_kernelINS0_14default_configENS1_20scan_config_selectorIyEEZZNS1_9scan_implILNS1_25lookback_scan_determinismE0ELb1ELb1ES3_N6thrust23THRUST_200600_302600_NS6detail15normal_iteratorINS9_10device_ptrIyEEEESE_y11max_functorIyEyEEDaPvRmT3_T4_T5_mT6_P12ihipStream_tbENKUlT_T0_E_clISt17integral_constantIbLb1EEST_IbLb0EEEEDaSP_SQ_EUlSP_E_NS1_11comp_targetILNS1_3genE8ELNS1_11target_archE1030ELNS1_3gpuE2ELNS1_3repE0EEENS1_30default_config_static_selectorELNS0_4arch9wavefront6targetE1EEEvT1_
; %bb.0:
	.section	.rodata,"a",@progbits
	.p2align	6, 0x0
	.amdhsa_kernel _ZN7rocprim17ROCPRIM_400000_NS6detail17trampoline_kernelINS0_14default_configENS1_20scan_config_selectorIyEEZZNS1_9scan_implILNS1_25lookback_scan_determinismE0ELb1ELb1ES3_N6thrust23THRUST_200600_302600_NS6detail15normal_iteratorINS9_10device_ptrIyEEEESE_y11max_functorIyEyEEDaPvRmT3_T4_T5_mT6_P12ihipStream_tbENKUlT_T0_E_clISt17integral_constantIbLb1EEST_IbLb0EEEEDaSP_SQ_EUlSP_E_NS1_11comp_targetILNS1_3genE8ELNS1_11target_archE1030ELNS1_3gpuE2ELNS1_3repE0EEENS1_30default_config_static_selectorELNS0_4arch9wavefront6targetE1EEEvT1_
		.amdhsa_group_segment_fixed_size 0
		.amdhsa_private_segment_fixed_size 0
		.amdhsa_kernarg_size 104
		.amdhsa_user_sgpr_count 6
		.amdhsa_user_sgpr_private_segment_buffer 1
		.amdhsa_user_sgpr_dispatch_ptr 0
		.amdhsa_user_sgpr_queue_ptr 0
		.amdhsa_user_sgpr_kernarg_segment_ptr 1
		.amdhsa_user_sgpr_dispatch_id 0
		.amdhsa_user_sgpr_flat_scratch_init 0
		.amdhsa_user_sgpr_kernarg_preload_length 0
		.amdhsa_user_sgpr_kernarg_preload_offset 0
		.amdhsa_user_sgpr_private_segment_size 0
		.amdhsa_uses_dynamic_stack 0
		.amdhsa_system_sgpr_private_segment_wavefront_offset 0
		.amdhsa_system_sgpr_workgroup_id_x 1
		.amdhsa_system_sgpr_workgroup_id_y 0
		.amdhsa_system_sgpr_workgroup_id_z 0
		.amdhsa_system_sgpr_workgroup_info 0
		.amdhsa_system_vgpr_workitem_id 0
		.amdhsa_next_free_vgpr 1
		.amdhsa_next_free_sgpr 0
		.amdhsa_accum_offset 4
		.amdhsa_reserve_vcc 0
		.amdhsa_reserve_flat_scratch 0
		.amdhsa_float_round_mode_32 0
		.amdhsa_float_round_mode_16_64 0
		.amdhsa_float_denorm_mode_32 3
		.amdhsa_float_denorm_mode_16_64 3
		.amdhsa_dx10_clamp 1
		.amdhsa_ieee_mode 1
		.amdhsa_fp16_overflow 0
		.amdhsa_tg_split 0
		.amdhsa_exception_fp_ieee_invalid_op 0
		.amdhsa_exception_fp_denorm_src 0
		.amdhsa_exception_fp_ieee_div_zero 0
		.amdhsa_exception_fp_ieee_overflow 0
		.amdhsa_exception_fp_ieee_underflow 0
		.amdhsa_exception_fp_ieee_inexact 0
		.amdhsa_exception_int_div_zero 0
	.end_amdhsa_kernel
	.section	.text._ZN7rocprim17ROCPRIM_400000_NS6detail17trampoline_kernelINS0_14default_configENS1_20scan_config_selectorIyEEZZNS1_9scan_implILNS1_25lookback_scan_determinismE0ELb1ELb1ES3_N6thrust23THRUST_200600_302600_NS6detail15normal_iteratorINS9_10device_ptrIyEEEESE_y11max_functorIyEyEEDaPvRmT3_T4_T5_mT6_P12ihipStream_tbENKUlT_T0_E_clISt17integral_constantIbLb1EEST_IbLb0EEEEDaSP_SQ_EUlSP_E_NS1_11comp_targetILNS1_3genE8ELNS1_11target_archE1030ELNS1_3gpuE2ELNS1_3repE0EEENS1_30default_config_static_selectorELNS0_4arch9wavefront6targetE1EEEvT1_,"axG",@progbits,_ZN7rocprim17ROCPRIM_400000_NS6detail17trampoline_kernelINS0_14default_configENS1_20scan_config_selectorIyEEZZNS1_9scan_implILNS1_25lookback_scan_determinismE0ELb1ELb1ES3_N6thrust23THRUST_200600_302600_NS6detail15normal_iteratorINS9_10device_ptrIyEEEESE_y11max_functorIyEyEEDaPvRmT3_T4_T5_mT6_P12ihipStream_tbENKUlT_T0_E_clISt17integral_constantIbLb1EEST_IbLb0EEEEDaSP_SQ_EUlSP_E_NS1_11comp_targetILNS1_3genE8ELNS1_11target_archE1030ELNS1_3gpuE2ELNS1_3repE0EEENS1_30default_config_static_selectorELNS0_4arch9wavefront6targetE1EEEvT1_,comdat
.Lfunc_end2216:
	.size	_ZN7rocprim17ROCPRIM_400000_NS6detail17trampoline_kernelINS0_14default_configENS1_20scan_config_selectorIyEEZZNS1_9scan_implILNS1_25lookback_scan_determinismE0ELb1ELb1ES3_N6thrust23THRUST_200600_302600_NS6detail15normal_iteratorINS9_10device_ptrIyEEEESE_y11max_functorIyEyEEDaPvRmT3_T4_T5_mT6_P12ihipStream_tbENKUlT_T0_E_clISt17integral_constantIbLb1EEST_IbLb0EEEEDaSP_SQ_EUlSP_E_NS1_11comp_targetILNS1_3genE8ELNS1_11target_archE1030ELNS1_3gpuE2ELNS1_3repE0EEENS1_30default_config_static_selectorELNS0_4arch9wavefront6targetE1EEEvT1_, .Lfunc_end2216-_ZN7rocprim17ROCPRIM_400000_NS6detail17trampoline_kernelINS0_14default_configENS1_20scan_config_selectorIyEEZZNS1_9scan_implILNS1_25lookback_scan_determinismE0ELb1ELb1ES3_N6thrust23THRUST_200600_302600_NS6detail15normal_iteratorINS9_10device_ptrIyEEEESE_y11max_functorIyEyEEDaPvRmT3_T4_T5_mT6_P12ihipStream_tbENKUlT_T0_E_clISt17integral_constantIbLb1EEST_IbLb0EEEEDaSP_SQ_EUlSP_E_NS1_11comp_targetILNS1_3genE8ELNS1_11target_archE1030ELNS1_3gpuE2ELNS1_3repE0EEENS1_30default_config_static_selectorELNS0_4arch9wavefront6targetE1EEEvT1_
                                        ; -- End function
	.section	.AMDGPU.csdata,"",@progbits
; Kernel info:
; codeLenInByte = 0
; NumSgprs: 4
; NumVgprs: 0
; NumAgprs: 0
; TotalNumVgprs: 0
; ScratchSize: 0
; MemoryBound: 0
; FloatMode: 240
; IeeeMode: 1
; LDSByteSize: 0 bytes/workgroup (compile time only)
; SGPRBlocks: 0
; VGPRBlocks: 0
; NumSGPRsForWavesPerEU: 4
; NumVGPRsForWavesPerEU: 1
; AccumOffset: 4
; Occupancy: 8
; WaveLimiterHint : 0
; COMPUTE_PGM_RSRC2:SCRATCH_EN: 0
; COMPUTE_PGM_RSRC2:USER_SGPR: 6
; COMPUTE_PGM_RSRC2:TRAP_HANDLER: 0
; COMPUTE_PGM_RSRC2:TGID_X_EN: 1
; COMPUTE_PGM_RSRC2:TGID_Y_EN: 0
; COMPUTE_PGM_RSRC2:TGID_Z_EN: 0
; COMPUTE_PGM_RSRC2:TIDIG_COMP_CNT: 0
; COMPUTE_PGM_RSRC3_GFX90A:ACCUM_OFFSET: 0
; COMPUTE_PGM_RSRC3_GFX90A:TG_SPLIT: 0
	.section	.text._ZN7rocprim17ROCPRIM_400000_NS6detail17trampoline_kernelINS0_14default_configENS1_20scan_config_selectorIyEEZZNS1_9scan_implILNS1_25lookback_scan_determinismE0ELb1ELb1ES3_N6thrust23THRUST_200600_302600_NS6detail15normal_iteratorINS9_10device_ptrIyEEEESE_y11max_functorIyEyEEDaPvRmT3_T4_T5_mT6_P12ihipStream_tbENKUlT_T0_E_clISt17integral_constantIbLb1EEST_IbLb0EEEEDaSP_SQ_EUlSP_E0_NS1_11comp_targetILNS1_3genE0ELNS1_11target_archE4294967295ELNS1_3gpuE0ELNS1_3repE0EEENS1_30default_config_static_selectorELNS0_4arch9wavefront6targetE1EEEvT1_,"axG",@progbits,_ZN7rocprim17ROCPRIM_400000_NS6detail17trampoline_kernelINS0_14default_configENS1_20scan_config_selectorIyEEZZNS1_9scan_implILNS1_25lookback_scan_determinismE0ELb1ELb1ES3_N6thrust23THRUST_200600_302600_NS6detail15normal_iteratorINS9_10device_ptrIyEEEESE_y11max_functorIyEyEEDaPvRmT3_T4_T5_mT6_P12ihipStream_tbENKUlT_T0_E_clISt17integral_constantIbLb1EEST_IbLb0EEEEDaSP_SQ_EUlSP_E0_NS1_11comp_targetILNS1_3genE0ELNS1_11target_archE4294967295ELNS1_3gpuE0ELNS1_3repE0EEENS1_30default_config_static_selectorELNS0_4arch9wavefront6targetE1EEEvT1_,comdat
	.protected	_ZN7rocprim17ROCPRIM_400000_NS6detail17trampoline_kernelINS0_14default_configENS1_20scan_config_selectorIyEEZZNS1_9scan_implILNS1_25lookback_scan_determinismE0ELb1ELb1ES3_N6thrust23THRUST_200600_302600_NS6detail15normal_iteratorINS9_10device_ptrIyEEEESE_y11max_functorIyEyEEDaPvRmT3_T4_T5_mT6_P12ihipStream_tbENKUlT_T0_E_clISt17integral_constantIbLb1EEST_IbLb0EEEEDaSP_SQ_EUlSP_E0_NS1_11comp_targetILNS1_3genE0ELNS1_11target_archE4294967295ELNS1_3gpuE0ELNS1_3repE0EEENS1_30default_config_static_selectorELNS0_4arch9wavefront6targetE1EEEvT1_ ; -- Begin function _ZN7rocprim17ROCPRIM_400000_NS6detail17trampoline_kernelINS0_14default_configENS1_20scan_config_selectorIyEEZZNS1_9scan_implILNS1_25lookback_scan_determinismE0ELb1ELb1ES3_N6thrust23THRUST_200600_302600_NS6detail15normal_iteratorINS9_10device_ptrIyEEEESE_y11max_functorIyEyEEDaPvRmT3_T4_T5_mT6_P12ihipStream_tbENKUlT_T0_E_clISt17integral_constantIbLb1EEST_IbLb0EEEEDaSP_SQ_EUlSP_E0_NS1_11comp_targetILNS1_3genE0ELNS1_11target_archE4294967295ELNS1_3gpuE0ELNS1_3repE0EEENS1_30default_config_static_selectorELNS0_4arch9wavefront6targetE1EEEvT1_
	.globl	_ZN7rocprim17ROCPRIM_400000_NS6detail17trampoline_kernelINS0_14default_configENS1_20scan_config_selectorIyEEZZNS1_9scan_implILNS1_25lookback_scan_determinismE0ELb1ELb1ES3_N6thrust23THRUST_200600_302600_NS6detail15normal_iteratorINS9_10device_ptrIyEEEESE_y11max_functorIyEyEEDaPvRmT3_T4_T5_mT6_P12ihipStream_tbENKUlT_T0_E_clISt17integral_constantIbLb1EEST_IbLb0EEEEDaSP_SQ_EUlSP_E0_NS1_11comp_targetILNS1_3genE0ELNS1_11target_archE4294967295ELNS1_3gpuE0ELNS1_3repE0EEENS1_30default_config_static_selectorELNS0_4arch9wavefront6targetE1EEEvT1_
	.p2align	8
	.type	_ZN7rocprim17ROCPRIM_400000_NS6detail17trampoline_kernelINS0_14default_configENS1_20scan_config_selectorIyEEZZNS1_9scan_implILNS1_25lookback_scan_determinismE0ELb1ELb1ES3_N6thrust23THRUST_200600_302600_NS6detail15normal_iteratorINS9_10device_ptrIyEEEESE_y11max_functorIyEyEEDaPvRmT3_T4_T5_mT6_P12ihipStream_tbENKUlT_T0_E_clISt17integral_constantIbLb1EEST_IbLb0EEEEDaSP_SQ_EUlSP_E0_NS1_11comp_targetILNS1_3genE0ELNS1_11target_archE4294967295ELNS1_3gpuE0ELNS1_3repE0EEENS1_30default_config_static_selectorELNS0_4arch9wavefront6targetE1EEEvT1_,@function
_ZN7rocprim17ROCPRIM_400000_NS6detail17trampoline_kernelINS0_14default_configENS1_20scan_config_selectorIyEEZZNS1_9scan_implILNS1_25lookback_scan_determinismE0ELb1ELb1ES3_N6thrust23THRUST_200600_302600_NS6detail15normal_iteratorINS9_10device_ptrIyEEEESE_y11max_functorIyEyEEDaPvRmT3_T4_T5_mT6_P12ihipStream_tbENKUlT_T0_E_clISt17integral_constantIbLb1EEST_IbLb0EEEEDaSP_SQ_EUlSP_E0_NS1_11comp_targetILNS1_3genE0ELNS1_11target_archE4294967295ELNS1_3gpuE0ELNS1_3repE0EEENS1_30default_config_static_selectorELNS0_4arch9wavefront6targetE1EEEvT1_: ; @_ZN7rocprim17ROCPRIM_400000_NS6detail17trampoline_kernelINS0_14default_configENS1_20scan_config_selectorIyEEZZNS1_9scan_implILNS1_25lookback_scan_determinismE0ELb1ELb1ES3_N6thrust23THRUST_200600_302600_NS6detail15normal_iteratorINS9_10device_ptrIyEEEESE_y11max_functorIyEyEEDaPvRmT3_T4_T5_mT6_P12ihipStream_tbENKUlT_T0_E_clISt17integral_constantIbLb1EEST_IbLb0EEEEDaSP_SQ_EUlSP_E0_NS1_11comp_targetILNS1_3genE0ELNS1_11target_archE4294967295ELNS1_3gpuE0ELNS1_3repE0EEENS1_30default_config_static_selectorELNS0_4arch9wavefront6targetE1EEEvT1_
; %bb.0:
	.section	.rodata,"a",@progbits
	.p2align	6, 0x0
	.amdhsa_kernel _ZN7rocprim17ROCPRIM_400000_NS6detail17trampoline_kernelINS0_14default_configENS1_20scan_config_selectorIyEEZZNS1_9scan_implILNS1_25lookback_scan_determinismE0ELb1ELb1ES3_N6thrust23THRUST_200600_302600_NS6detail15normal_iteratorINS9_10device_ptrIyEEEESE_y11max_functorIyEyEEDaPvRmT3_T4_T5_mT6_P12ihipStream_tbENKUlT_T0_E_clISt17integral_constantIbLb1EEST_IbLb0EEEEDaSP_SQ_EUlSP_E0_NS1_11comp_targetILNS1_3genE0ELNS1_11target_archE4294967295ELNS1_3gpuE0ELNS1_3repE0EEENS1_30default_config_static_selectorELNS0_4arch9wavefront6targetE1EEEvT1_
		.amdhsa_group_segment_fixed_size 0
		.amdhsa_private_segment_fixed_size 0
		.amdhsa_kernarg_size 40
		.amdhsa_user_sgpr_count 6
		.amdhsa_user_sgpr_private_segment_buffer 1
		.amdhsa_user_sgpr_dispatch_ptr 0
		.amdhsa_user_sgpr_queue_ptr 0
		.amdhsa_user_sgpr_kernarg_segment_ptr 1
		.amdhsa_user_sgpr_dispatch_id 0
		.amdhsa_user_sgpr_flat_scratch_init 0
		.amdhsa_user_sgpr_kernarg_preload_length 0
		.amdhsa_user_sgpr_kernarg_preload_offset 0
		.amdhsa_user_sgpr_private_segment_size 0
		.amdhsa_uses_dynamic_stack 0
		.amdhsa_system_sgpr_private_segment_wavefront_offset 0
		.amdhsa_system_sgpr_workgroup_id_x 1
		.amdhsa_system_sgpr_workgroup_id_y 0
		.amdhsa_system_sgpr_workgroup_id_z 0
		.amdhsa_system_sgpr_workgroup_info 0
		.amdhsa_system_vgpr_workitem_id 0
		.amdhsa_next_free_vgpr 1
		.amdhsa_next_free_sgpr 0
		.amdhsa_accum_offset 4
		.amdhsa_reserve_vcc 0
		.amdhsa_reserve_flat_scratch 0
		.amdhsa_float_round_mode_32 0
		.amdhsa_float_round_mode_16_64 0
		.amdhsa_float_denorm_mode_32 3
		.amdhsa_float_denorm_mode_16_64 3
		.amdhsa_dx10_clamp 1
		.amdhsa_ieee_mode 1
		.amdhsa_fp16_overflow 0
		.amdhsa_tg_split 0
		.amdhsa_exception_fp_ieee_invalid_op 0
		.amdhsa_exception_fp_denorm_src 0
		.amdhsa_exception_fp_ieee_div_zero 0
		.amdhsa_exception_fp_ieee_overflow 0
		.amdhsa_exception_fp_ieee_underflow 0
		.amdhsa_exception_fp_ieee_inexact 0
		.amdhsa_exception_int_div_zero 0
	.end_amdhsa_kernel
	.section	.text._ZN7rocprim17ROCPRIM_400000_NS6detail17trampoline_kernelINS0_14default_configENS1_20scan_config_selectorIyEEZZNS1_9scan_implILNS1_25lookback_scan_determinismE0ELb1ELb1ES3_N6thrust23THRUST_200600_302600_NS6detail15normal_iteratorINS9_10device_ptrIyEEEESE_y11max_functorIyEyEEDaPvRmT3_T4_T5_mT6_P12ihipStream_tbENKUlT_T0_E_clISt17integral_constantIbLb1EEST_IbLb0EEEEDaSP_SQ_EUlSP_E0_NS1_11comp_targetILNS1_3genE0ELNS1_11target_archE4294967295ELNS1_3gpuE0ELNS1_3repE0EEENS1_30default_config_static_selectorELNS0_4arch9wavefront6targetE1EEEvT1_,"axG",@progbits,_ZN7rocprim17ROCPRIM_400000_NS6detail17trampoline_kernelINS0_14default_configENS1_20scan_config_selectorIyEEZZNS1_9scan_implILNS1_25lookback_scan_determinismE0ELb1ELb1ES3_N6thrust23THRUST_200600_302600_NS6detail15normal_iteratorINS9_10device_ptrIyEEEESE_y11max_functorIyEyEEDaPvRmT3_T4_T5_mT6_P12ihipStream_tbENKUlT_T0_E_clISt17integral_constantIbLb1EEST_IbLb0EEEEDaSP_SQ_EUlSP_E0_NS1_11comp_targetILNS1_3genE0ELNS1_11target_archE4294967295ELNS1_3gpuE0ELNS1_3repE0EEENS1_30default_config_static_selectorELNS0_4arch9wavefront6targetE1EEEvT1_,comdat
.Lfunc_end2217:
	.size	_ZN7rocprim17ROCPRIM_400000_NS6detail17trampoline_kernelINS0_14default_configENS1_20scan_config_selectorIyEEZZNS1_9scan_implILNS1_25lookback_scan_determinismE0ELb1ELb1ES3_N6thrust23THRUST_200600_302600_NS6detail15normal_iteratorINS9_10device_ptrIyEEEESE_y11max_functorIyEyEEDaPvRmT3_T4_T5_mT6_P12ihipStream_tbENKUlT_T0_E_clISt17integral_constantIbLb1EEST_IbLb0EEEEDaSP_SQ_EUlSP_E0_NS1_11comp_targetILNS1_3genE0ELNS1_11target_archE4294967295ELNS1_3gpuE0ELNS1_3repE0EEENS1_30default_config_static_selectorELNS0_4arch9wavefront6targetE1EEEvT1_, .Lfunc_end2217-_ZN7rocprim17ROCPRIM_400000_NS6detail17trampoline_kernelINS0_14default_configENS1_20scan_config_selectorIyEEZZNS1_9scan_implILNS1_25lookback_scan_determinismE0ELb1ELb1ES3_N6thrust23THRUST_200600_302600_NS6detail15normal_iteratorINS9_10device_ptrIyEEEESE_y11max_functorIyEyEEDaPvRmT3_T4_T5_mT6_P12ihipStream_tbENKUlT_T0_E_clISt17integral_constantIbLb1EEST_IbLb0EEEEDaSP_SQ_EUlSP_E0_NS1_11comp_targetILNS1_3genE0ELNS1_11target_archE4294967295ELNS1_3gpuE0ELNS1_3repE0EEENS1_30default_config_static_selectorELNS0_4arch9wavefront6targetE1EEEvT1_
                                        ; -- End function
	.section	.AMDGPU.csdata,"",@progbits
; Kernel info:
; codeLenInByte = 0
; NumSgprs: 4
; NumVgprs: 0
; NumAgprs: 0
; TotalNumVgprs: 0
; ScratchSize: 0
; MemoryBound: 0
; FloatMode: 240
; IeeeMode: 1
; LDSByteSize: 0 bytes/workgroup (compile time only)
; SGPRBlocks: 0
; VGPRBlocks: 0
; NumSGPRsForWavesPerEU: 4
; NumVGPRsForWavesPerEU: 1
; AccumOffset: 4
; Occupancy: 8
; WaveLimiterHint : 0
; COMPUTE_PGM_RSRC2:SCRATCH_EN: 0
; COMPUTE_PGM_RSRC2:USER_SGPR: 6
; COMPUTE_PGM_RSRC2:TRAP_HANDLER: 0
; COMPUTE_PGM_RSRC2:TGID_X_EN: 1
; COMPUTE_PGM_RSRC2:TGID_Y_EN: 0
; COMPUTE_PGM_RSRC2:TGID_Z_EN: 0
; COMPUTE_PGM_RSRC2:TIDIG_COMP_CNT: 0
; COMPUTE_PGM_RSRC3_GFX90A:ACCUM_OFFSET: 0
; COMPUTE_PGM_RSRC3_GFX90A:TG_SPLIT: 0
	.section	.text._ZN7rocprim17ROCPRIM_400000_NS6detail17trampoline_kernelINS0_14default_configENS1_20scan_config_selectorIyEEZZNS1_9scan_implILNS1_25lookback_scan_determinismE0ELb1ELb1ES3_N6thrust23THRUST_200600_302600_NS6detail15normal_iteratorINS9_10device_ptrIyEEEESE_y11max_functorIyEyEEDaPvRmT3_T4_T5_mT6_P12ihipStream_tbENKUlT_T0_E_clISt17integral_constantIbLb1EEST_IbLb0EEEEDaSP_SQ_EUlSP_E0_NS1_11comp_targetILNS1_3genE5ELNS1_11target_archE942ELNS1_3gpuE9ELNS1_3repE0EEENS1_30default_config_static_selectorELNS0_4arch9wavefront6targetE1EEEvT1_,"axG",@progbits,_ZN7rocprim17ROCPRIM_400000_NS6detail17trampoline_kernelINS0_14default_configENS1_20scan_config_selectorIyEEZZNS1_9scan_implILNS1_25lookback_scan_determinismE0ELb1ELb1ES3_N6thrust23THRUST_200600_302600_NS6detail15normal_iteratorINS9_10device_ptrIyEEEESE_y11max_functorIyEyEEDaPvRmT3_T4_T5_mT6_P12ihipStream_tbENKUlT_T0_E_clISt17integral_constantIbLb1EEST_IbLb0EEEEDaSP_SQ_EUlSP_E0_NS1_11comp_targetILNS1_3genE5ELNS1_11target_archE942ELNS1_3gpuE9ELNS1_3repE0EEENS1_30default_config_static_selectorELNS0_4arch9wavefront6targetE1EEEvT1_,comdat
	.protected	_ZN7rocprim17ROCPRIM_400000_NS6detail17trampoline_kernelINS0_14default_configENS1_20scan_config_selectorIyEEZZNS1_9scan_implILNS1_25lookback_scan_determinismE0ELb1ELb1ES3_N6thrust23THRUST_200600_302600_NS6detail15normal_iteratorINS9_10device_ptrIyEEEESE_y11max_functorIyEyEEDaPvRmT3_T4_T5_mT6_P12ihipStream_tbENKUlT_T0_E_clISt17integral_constantIbLb1EEST_IbLb0EEEEDaSP_SQ_EUlSP_E0_NS1_11comp_targetILNS1_3genE5ELNS1_11target_archE942ELNS1_3gpuE9ELNS1_3repE0EEENS1_30default_config_static_selectorELNS0_4arch9wavefront6targetE1EEEvT1_ ; -- Begin function _ZN7rocprim17ROCPRIM_400000_NS6detail17trampoline_kernelINS0_14default_configENS1_20scan_config_selectorIyEEZZNS1_9scan_implILNS1_25lookback_scan_determinismE0ELb1ELb1ES3_N6thrust23THRUST_200600_302600_NS6detail15normal_iteratorINS9_10device_ptrIyEEEESE_y11max_functorIyEyEEDaPvRmT3_T4_T5_mT6_P12ihipStream_tbENKUlT_T0_E_clISt17integral_constantIbLb1EEST_IbLb0EEEEDaSP_SQ_EUlSP_E0_NS1_11comp_targetILNS1_3genE5ELNS1_11target_archE942ELNS1_3gpuE9ELNS1_3repE0EEENS1_30default_config_static_selectorELNS0_4arch9wavefront6targetE1EEEvT1_
	.globl	_ZN7rocprim17ROCPRIM_400000_NS6detail17trampoline_kernelINS0_14default_configENS1_20scan_config_selectorIyEEZZNS1_9scan_implILNS1_25lookback_scan_determinismE0ELb1ELb1ES3_N6thrust23THRUST_200600_302600_NS6detail15normal_iteratorINS9_10device_ptrIyEEEESE_y11max_functorIyEyEEDaPvRmT3_T4_T5_mT6_P12ihipStream_tbENKUlT_T0_E_clISt17integral_constantIbLb1EEST_IbLb0EEEEDaSP_SQ_EUlSP_E0_NS1_11comp_targetILNS1_3genE5ELNS1_11target_archE942ELNS1_3gpuE9ELNS1_3repE0EEENS1_30default_config_static_selectorELNS0_4arch9wavefront6targetE1EEEvT1_
	.p2align	8
	.type	_ZN7rocprim17ROCPRIM_400000_NS6detail17trampoline_kernelINS0_14default_configENS1_20scan_config_selectorIyEEZZNS1_9scan_implILNS1_25lookback_scan_determinismE0ELb1ELb1ES3_N6thrust23THRUST_200600_302600_NS6detail15normal_iteratorINS9_10device_ptrIyEEEESE_y11max_functorIyEyEEDaPvRmT3_T4_T5_mT6_P12ihipStream_tbENKUlT_T0_E_clISt17integral_constantIbLb1EEST_IbLb0EEEEDaSP_SQ_EUlSP_E0_NS1_11comp_targetILNS1_3genE5ELNS1_11target_archE942ELNS1_3gpuE9ELNS1_3repE0EEENS1_30default_config_static_selectorELNS0_4arch9wavefront6targetE1EEEvT1_,@function
_ZN7rocprim17ROCPRIM_400000_NS6detail17trampoline_kernelINS0_14default_configENS1_20scan_config_selectorIyEEZZNS1_9scan_implILNS1_25lookback_scan_determinismE0ELb1ELb1ES3_N6thrust23THRUST_200600_302600_NS6detail15normal_iteratorINS9_10device_ptrIyEEEESE_y11max_functorIyEyEEDaPvRmT3_T4_T5_mT6_P12ihipStream_tbENKUlT_T0_E_clISt17integral_constantIbLb1EEST_IbLb0EEEEDaSP_SQ_EUlSP_E0_NS1_11comp_targetILNS1_3genE5ELNS1_11target_archE942ELNS1_3gpuE9ELNS1_3repE0EEENS1_30default_config_static_selectorELNS0_4arch9wavefront6targetE1EEEvT1_: ; @_ZN7rocprim17ROCPRIM_400000_NS6detail17trampoline_kernelINS0_14default_configENS1_20scan_config_selectorIyEEZZNS1_9scan_implILNS1_25lookback_scan_determinismE0ELb1ELb1ES3_N6thrust23THRUST_200600_302600_NS6detail15normal_iteratorINS9_10device_ptrIyEEEESE_y11max_functorIyEyEEDaPvRmT3_T4_T5_mT6_P12ihipStream_tbENKUlT_T0_E_clISt17integral_constantIbLb1EEST_IbLb0EEEEDaSP_SQ_EUlSP_E0_NS1_11comp_targetILNS1_3genE5ELNS1_11target_archE942ELNS1_3gpuE9ELNS1_3repE0EEENS1_30default_config_static_selectorELNS0_4arch9wavefront6targetE1EEEvT1_
; %bb.0:
	.section	.rodata,"a",@progbits
	.p2align	6, 0x0
	.amdhsa_kernel _ZN7rocprim17ROCPRIM_400000_NS6detail17trampoline_kernelINS0_14default_configENS1_20scan_config_selectorIyEEZZNS1_9scan_implILNS1_25lookback_scan_determinismE0ELb1ELb1ES3_N6thrust23THRUST_200600_302600_NS6detail15normal_iteratorINS9_10device_ptrIyEEEESE_y11max_functorIyEyEEDaPvRmT3_T4_T5_mT6_P12ihipStream_tbENKUlT_T0_E_clISt17integral_constantIbLb1EEST_IbLb0EEEEDaSP_SQ_EUlSP_E0_NS1_11comp_targetILNS1_3genE5ELNS1_11target_archE942ELNS1_3gpuE9ELNS1_3repE0EEENS1_30default_config_static_selectorELNS0_4arch9wavefront6targetE1EEEvT1_
		.amdhsa_group_segment_fixed_size 0
		.amdhsa_private_segment_fixed_size 0
		.amdhsa_kernarg_size 40
		.amdhsa_user_sgpr_count 6
		.amdhsa_user_sgpr_private_segment_buffer 1
		.amdhsa_user_sgpr_dispatch_ptr 0
		.amdhsa_user_sgpr_queue_ptr 0
		.amdhsa_user_sgpr_kernarg_segment_ptr 1
		.amdhsa_user_sgpr_dispatch_id 0
		.amdhsa_user_sgpr_flat_scratch_init 0
		.amdhsa_user_sgpr_kernarg_preload_length 0
		.amdhsa_user_sgpr_kernarg_preload_offset 0
		.amdhsa_user_sgpr_private_segment_size 0
		.amdhsa_uses_dynamic_stack 0
		.amdhsa_system_sgpr_private_segment_wavefront_offset 0
		.amdhsa_system_sgpr_workgroup_id_x 1
		.amdhsa_system_sgpr_workgroup_id_y 0
		.amdhsa_system_sgpr_workgroup_id_z 0
		.amdhsa_system_sgpr_workgroup_info 0
		.amdhsa_system_vgpr_workitem_id 0
		.amdhsa_next_free_vgpr 1
		.amdhsa_next_free_sgpr 0
		.amdhsa_accum_offset 4
		.amdhsa_reserve_vcc 0
		.amdhsa_reserve_flat_scratch 0
		.amdhsa_float_round_mode_32 0
		.amdhsa_float_round_mode_16_64 0
		.amdhsa_float_denorm_mode_32 3
		.amdhsa_float_denorm_mode_16_64 3
		.amdhsa_dx10_clamp 1
		.amdhsa_ieee_mode 1
		.amdhsa_fp16_overflow 0
		.amdhsa_tg_split 0
		.amdhsa_exception_fp_ieee_invalid_op 0
		.amdhsa_exception_fp_denorm_src 0
		.amdhsa_exception_fp_ieee_div_zero 0
		.amdhsa_exception_fp_ieee_overflow 0
		.amdhsa_exception_fp_ieee_underflow 0
		.amdhsa_exception_fp_ieee_inexact 0
		.amdhsa_exception_int_div_zero 0
	.end_amdhsa_kernel
	.section	.text._ZN7rocprim17ROCPRIM_400000_NS6detail17trampoline_kernelINS0_14default_configENS1_20scan_config_selectorIyEEZZNS1_9scan_implILNS1_25lookback_scan_determinismE0ELb1ELb1ES3_N6thrust23THRUST_200600_302600_NS6detail15normal_iteratorINS9_10device_ptrIyEEEESE_y11max_functorIyEyEEDaPvRmT3_T4_T5_mT6_P12ihipStream_tbENKUlT_T0_E_clISt17integral_constantIbLb1EEST_IbLb0EEEEDaSP_SQ_EUlSP_E0_NS1_11comp_targetILNS1_3genE5ELNS1_11target_archE942ELNS1_3gpuE9ELNS1_3repE0EEENS1_30default_config_static_selectorELNS0_4arch9wavefront6targetE1EEEvT1_,"axG",@progbits,_ZN7rocprim17ROCPRIM_400000_NS6detail17trampoline_kernelINS0_14default_configENS1_20scan_config_selectorIyEEZZNS1_9scan_implILNS1_25lookback_scan_determinismE0ELb1ELb1ES3_N6thrust23THRUST_200600_302600_NS6detail15normal_iteratorINS9_10device_ptrIyEEEESE_y11max_functorIyEyEEDaPvRmT3_T4_T5_mT6_P12ihipStream_tbENKUlT_T0_E_clISt17integral_constantIbLb1EEST_IbLb0EEEEDaSP_SQ_EUlSP_E0_NS1_11comp_targetILNS1_3genE5ELNS1_11target_archE942ELNS1_3gpuE9ELNS1_3repE0EEENS1_30default_config_static_selectorELNS0_4arch9wavefront6targetE1EEEvT1_,comdat
.Lfunc_end2218:
	.size	_ZN7rocprim17ROCPRIM_400000_NS6detail17trampoline_kernelINS0_14default_configENS1_20scan_config_selectorIyEEZZNS1_9scan_implILNS1_25lookback_scan_determinismE0ELb1ELb1ES3_N6thrust23THRUST_200600_302600_NS6detail15normal_iteratorINS9_10device_ptrIyEEEESE_y11max_functorIyEyEEDaPvRmT3_T4_T5_mT6_P12ihipStream_tbENKUlT_T0_E_clISt17integral_constantIbLb1EEST_IbLb0EEEEDaSP_SQ_EUlSP_E0_NS1_11comp_targetILNS1_3genE5ELNS1_11target_archE942ELNS1_3gpuE9ELNS1_3repE0EEENS1_30default_config_static_selectorELNS0_4arch9wavefront6targetE1EEEvT1_, .Lfunc_end2218-_ZN7rocprim17ROCPRIM_400000_NS6detail17trampoline_kernelINS0_14default_configENS1_20scan_config_selectorIyEEZZNS1_9scan_implILNS1_25lookback_scan_determinismE0ELb1ELb1ES3_N6thrust23THRUST_200600_302600_NS6detail15normal_iteratorINS9_10device_ptrIyEEEESE_y11max_functorIyEyEEDaPvRmT3_T4_T5_mT6_P12ihipStream_tbENKUlT_T0_E_clISt17integral_constantIbLb1EEST_IbLb0EEEEDaSP_SQ_EUlSP_E0_NS1_11comp_targetILNS1_3genE5ELNS1_11target_archE942ELNS1_3gpuE9ELNS1_3repE0EEENS1_30default_config_static_selectorELNS0_4arch9wavefront6targetE1EEEvT1_
                                        ; -- End function
	.section	.AMDGPU.csdata,"",@progbits
; Kernel info:
; codeLenInByte = 0
; NumSgprs: 4
; NumVgprs: 0
; NumAgprs: 0
; TotalNumVgprs: 0
; ScratchSize: 0
; MemoryBound: 0
; FloatMode: 240
; IeeeMode: 1
; LDSByteSize: 0 bytes/workgroup (compile time only)
; SGPRBlocks: 0
; VGPRBlocks: 0
; NumSGPRsForWavesPerEU: 4
; NumVGPRsForWavesPerEU: 1
; AccumOffset: 4
; Occupancy: 8
; WaveLimiterHint : 0
; COMPUTE_PGM_RSRC2:SCRATCH_EN: 0
; COMPUTE_PGM_RSRC2:USER_SGPR: 6
; COMPUTE_PGM_RSRC2:TRAP_HANDLER: 0
; COMPUTE_PGM_RSRC2:TGID_X_EN: 1
; COMPUTE_PGM_RSRC2:TGID_Y_EN: 0
; COMPUTE_PGM_RSRC2:TGID_Z_EN: 0
; COMPUTE_PGM_RSRC2:TIDIG_COMP_CNT: 0
; COMPUTE_PGM_RSRC3_GFX90A:ACCUM_OFFSET: 0
; COMPUTE_PGM_RSRC3_GFX90A:TG_SPLIT: 0
	.section	.text._ZN7rocprim17ROCPRIM_400000_NS6detail17trampoline_kernelINS0_14default_configENS1_20scan_config_selectorIyEEZZNS1_9scan_implILNS1_25lookback_scan_determinismE0ELb1ELb1ES3_N6thrust23THRUST_200600_302600_NS6detail15normal_iteratorINS9_10device_ptrIyEEEESE_y11max_functorIyEyEEDaPvRmT3_T4_T5_mT6_P12ihipStream_tbENKUlT_T0_E_clISt17integral_constantIbLb1EEST_IbLb0EEEEDaSP_SQ_EUlSP_E0_NS1_11comp_targetILNS1_3genE4ELNS1_11target_archE910ELNS1_3gpuE8ELNS1_3repE0EEENS1_30default_config_static_selectorELNS0_4arch9wavefront6targetE1EEEvT1_,"axG",@progbits,_ZN7rocprim17ROCPRIM_400000_NS6detail17trampoline_kernelINS0_14default_configENS1_20scan_config_selectorIyEEZZNS1_9scan_implILNS1_25lookback_scan_determinismE0ELb1ELb1ES3_N6thrust23THRUST_200600_302600_NS6detail15normal_iteratorINS9_10device_ptrIyEEEESE_y11max_functorIyEyEEDaPvRmT3_T4_T5_mT6_P12ihipStream_tbENKUlT_T0_E_clISt17integral_constantIbLb1EEST_IbLb0EEEEDaSP_SQ_EUlSP_E0_NS1_11comp_targetILNS1_3genE4ELNS1_11target_archE910ELNS1_3gpuE8ELNS1_3repE0EEENS1_30default_config_static_selectorELNS0_4arch9wavefront6targetE1EEEvT1_,comdat
	.protected	_ZN7rocprim17ROCPRIM_400000_NS6detail17trampoline_kernelINS0_14default_configENS1_20scan_config_selectorIyEEZZNS1_9scan_implILNS1_25lookback_scan_determinismE0ELb1ELb1ES3_N6thrust23THRUST_200600_302600_NS6detail15normal_iteratorINS9_10device_ptrIyEEEESE_y11max_functorIyEyEEDaPvRmT3_T4_T5_mT6_P12ihipStream_tbENKUlT_T0_E_clISt17integral_constantIbLb1EEST_IbLb0EEEEDaSP_SQ_EUlSP_E0_NS1_11comp_targetILNS1_3genE4ELNS1_11target_archE910ELNS1_3gpuE8ELNS1_3repE0EEENS1_30default_config_static_selectorELNS0_4arch9wavefront6targetE1EEEvT1_ ; -- Begin function _ZN7rocprim17ROCPRIM_400000_NS6detail17trampoline_kernelINS0_14default_configENS1_20scan_config_selectorIyEEZZNS1_9scan_implILNS1_25lookback_scan_determinismE0ELb1ELb1ES3_N6thrust23THRUST_200600_302600_NS6detail15normal_iteratorINS9_10device_ptrIyEEEESE_y11max_functorIyEyEEDaPvRmT3_T4_T5_mT6_P12ihipStream_tbENKUlT_T0_E_clISt17integral_constantIbLb1EEST_IbLb0EEEEDaSP_SQ_EUlSP_E0_NS1_11comp_targetILNS1_3genE4ELNS1_11target_archE910ELNS1_3gpuE8ELNS1_3repE0EEENS1_30default_config_static_selectorELNS0_4arch9wavefront6targetE1EEEvT1_
	.globl	_ZN7rocprim17ROCPRIM_400000_NS6detail17trampoline_kernelINS0_14default_configENS1_20scan_config_selectorIyEEZZNS1_9scan_implILNS1_25lookback_scan_determinismE0ELb1ELb1ES3_N6thrust23THRUST_200600_302600_NS6detail15normal_iteratorINS9_10device_ptrIyEEEESE_y11max_functorIyEyEEDaPvRmT3_T4_T5_mT6_P12ihipStream_tbENKUlT_T0_E_clISt17integral_constantIbLb1EEST_IbLb0EEEEDaSP_SQ_EUlSP_E0_NS1_11comp_targetILNS1_3genE4ELNS1_11target_archE910ELNS1_3gpuE8ELNS1_3repE0EEENS1_30default_config_static_selectorELNS0_4arch9wavefront6targetE1EEEvT1_
	.p2align	8
	.type	_ZN7rocprim17ROCPRIM_400000_NS6detail17trampoline_kernelINS0_14default_configENS1_20scan_config_selectorIyEEZZNS1_9scan_implILNS1_25lookback_scan_determinismE0ELb1ELb1ES3_N6thrust23THRUST_200600_302600_NS6detail15normal_iteratorINS9_10device_ptrIyEEEESE_y11max_functorIyEyEEDaPvRmT3_T4_T5_mT6_P12ihipStream_tbENKUlT_T0_E_clISt17integral_constantIbLb1EEST_IbLb0EEEEDaSP_SQ_EUlSP_E0_NS1_11comp_targetILNS1_3genE4ELNS1_11target_archE910ELNS1_3gpuE8ELNS1_3repE0EEENS1_30default_config_static_selectorELNS0_4arch9wavefront6targetE1EEEvT1_,@function
_ZN7rocprim17ROCPRIM_400000_NS6detail17trampoline_kernelINS0_14default_configENS1_20scan_config_selectorIyEEZZNS1_9scan_implILNS1_25lookback_scan_determinismE0ELb1ELb1ES3_N6thrust23THRUST_200600_302600_NS6detail15normal_iteratorINS9_10device_ptrIyEEEESE_y11max_functorIyEyEEDaPvRmT3_T4_T5_mT6_P12ihipStream_tbENKUlT_T0_E_clISt17integral_constantIbLb1EEST_IbLb0EEEEDaSP_SQ_EUlSP_E0_NS1_11comp_targetILNS1_3genE4ELNS1_11target_archE910ELNS1_3gpuE8ELNS1_3repE0EEENS1_30default_config_static_selectorELNS0_4arch9wavefront6targetE1EEEvT1_: ; @_ZN7rocprim17ROCPRIM_400000_NS6detail17trampoline_kernelINS0_14default_configENS1_20scan_config_selectorIyEEZZNS1_9scan_implILNS1_25lookback_scan_determinismE0ELb1ELb1ES3_N6thrust23THRUST_200600_302600_NS6detail15normal_iteratorINS9_10device_ptrIyEEEESE_y11max_functorIyEyEEDaPvRmT3_T4_T5_mT6_P12ihipStream_tbENKUlT_T0_E_clISt17integral_constantIbLb1EEST_IbLb0EEEEDaSP_SQ_EUlSP_E0_NS1_11comp_targetILNS1_3genE4ELNS1_11target_archE910ELNS1_3gpuE8ELNS1_3repE0EEENS1_30default_config_static_selectorELNS0_4arch9wavefront6targetE1EEEvT1_
; %bb.0:
	s_load_dwordx4 s[16:19], s[4:5], 0x0
	v_lshlrev_b32_e32 v24, 3, v0
	s_waitcnt lgkmcnt(0)
	s_load_dwordx2 s[14:15], s[16:17], 0x0
	v_cmp_gt_u32_e32 vcc, s18, v0
	s_waitcnt lgkmcnt(0)
	v_pk_mov_b32 v[2:3], s[14:15], s[14:15] op_sel:[0,1]
	s_and_saveexec_b64 s[0:1], vcc
	s_cbranch_execz .LBB2219_2
; %bb.1:
	global_load_dwordx2 v[2:3], v24, s[16:17]
.LBB2219_2:
	s_or_b64 exec, exec, s[0:1]
	v_or_b32_e32 v1, 0x80, v0
	v_cmp_gt_u32_e64 s[0:1], s18, v1
	v_pk_mov_b32 v[4:5], s[14:15], s[14:15] op_sel:[0,1]
	s_and_saveexec_b64 s[2:3], s[0:1]
	s_cbranch_execz .LBB2219_4
; %bb.3:
	global_load_dwordx2 v[4:5], v24, s[16:17] offset:1024
.LBB2219_4:
	s_or_b64 exec, exec, s[2:3]
	v_or_b32_e32 v1, 0x100, v0
	v_cmp_gt_u32_e64 s[2:3], s18, v1
	v_pk_mov_b32 v[6:7], s[14:15], s[14:15] op_sel:[0,1]
	s_and_saveexec_b64 s[6:7], s[2:3]
	s_cbranch_execz .LBB2219_6
; %bb.5:
	global_load_dwordx2 v[6:7], v24, s[16:17] offset:2048
.LBB2219_6:
	;; [unrolled: 9-line block ×3, first 2 shown]
	s_or_b64 exec, exec, s[6:7]
	v_or_b32_e32 v1, 0x200, v0
	v_cmp_gt_u32_e64 s[6:7], s18, v1
	v_pk_mov_b32 v[10:11], s[14:15], s[14:15] op_sel:[0,1]
	s_and_saveexec_b64 s[8:9], s[6:7]
	s_cbranch_execz .LBB2219_10
; %bb.9:
	v_lshlrev_b32_e32 v1, 3, v1
	global_load_dwordx2 v[10:11], v1, s[16:17]
.LBB2219_10:
	s_or_b64 exec, exec, s[8:9]
	v_or_b32_e32 v1, 0x280, v0
	v_cmp_gt_u32_e64 s[8:9], s18, v1
	v_pk_mov_b32 v[12:13], s[14:15], s[14:15] op_sel:[0,1]
	s_and_saveexec_b64 s[10:11], s[8:9]
	s_cbranch_execz .LBB2219_12
; %bb.11:
	v_lshlrev_b32_e32 v1, 3, v1
	global_load_dwordx2 v[12:13], v1, s[16:17]
.LBB2219_12:
	s_or_b64 exec, exec, s[10:11]
	s_load_dwordx2 s[20:21], s[4:5], 0x10
	v_or_b32_e32 v1, 0x300, v0
	v_cmp_gt_u32_e64 s[10:11], s18, v1
	v_pk_mov_b32 v[14:15], s[14:15], s[14:15] op_sel:[0,1]
	s_and_saveexec_b64 s[14:15], s[10:11]
	s_cbranch_execz .LBB2219_14
; %bb.13:
	v_lshlrev_b32_e32 v1, 3, v1
	global_load_dwordx2 v[14:15], v1, s[16:17]
.LBB2219_14:
	s_or_b64 exec, exec, s[14:15]
	v_mad_u32_u24 v1, v0, 48, v24
	s_waitcnt vmcnt(0)
	ds_write2st64_b64 v24, v[2:3], v[4:5] offset1:2
	ds_write2st64_b64 v24, v[6:7], v[8:9] offset0:4 offset1:6
	ds_write2st64_b64 v24, v[10:11], v[12:13] offset0:8 offset1:10
	ds_write_b64 v24, v[14:15] offset:6144
	s_waitcnt lgkmcnt(0)
	s_barrier
	ds_read2_b64 v[10:13], v1 offset1:1
	ds_read2_b64 v[6:9], v1 offset0:2 offset1:3
	ds_read2_b64 v[2:5], v1 offset0:4 offset1:5
	ds_read_b64 v[14:15], v1 offset:48
	s_load_dwordx2 s[16:17], s[4:5], 0x20
	s_waitcnt lgkmcnt(0)
	v_cmp_gt_u64_e64 s[4:5], v[10:11], v[12:13]
	v_cndmask_b32_e64 v17, v13, v11, s[4:5]
	v_cndmask_b32_e64 v16, v12, v10, s[4:5]
	v_cmp_gt_u64_e64 s[4:5], v[16:17], v[6:7]
	v_cndmask_b32_e64 v17, v7, v17, s[4:5]
	v_cndmask_b32_e64 v16, v6, v16, s[4:5]
	;; [unrolled: 3-line block ×5, first 2 shown]
	v_cmp_gt_u64_e64 s[4:5], v[16:17], v[14:15]
	v_cndmask_b32_e64 v18, v14, v16, s[4:5]
	v_lshrrev_b32_e32 v14, 2, v0
	v_and_b32_e32 v14, 24, v14
	v_cndmask_b32_e64 v19, v15, v17, s[4:5]
	v_add_u32_e32 v14, v24, v14
	v_cmp_gt_u32_e64 s[4:5], 64, v0
	s_barrier
	ds_write_b64 v14, v[18:19]
	s_waitcnt lgkmcnt(0)
	s_barrier
	s_and_saveexec_b64 s[18:19], s[4:5]
	s_cbranch_execz .LBB2219_18
; %bb.15:
	v_lshlrev_b32_e32 v14, 1, v0
	v_lshrrev_b32_e32 v15, 4, v0
	v_add_lshl_u32 v25, v15, v14, 3
	ds_read2_b64 v[14:17], v25 offset1:1
	v_mbcnt_lo_u32_b32 v20, -1, 0
	v_mbcnt_hi_u32_b32 v26, -1, v20
	v_and_b32_e32 v27, 15, v26
	v_and_b32_e32 v29, 16, v26
	s_waitcnt lgkmcnt(0)
	v_cmp_gt_u64_e64 s[4:5], v[14:15], v[16:17]
	v_cndmask_b32_e64 v17, v17, v15, s[4:5]
	v_cndmask_b32_e64 v16, v16, v14, s[4:5]
	v_cmp_ne_u32_e64 s[14:15], 0, v26
	v_mov_b32_dpp v21, v17 row_shr:1 row_mask:0xf bank_mask:0xf
	v_mov_b32_dpp v20, v16 row_shr:1 row_mask:0xf bank_mask:0xf
	v_cmp_gt_u64_e64 s[4:5], v[20:21], v[16:17]
	v_cndmask_b32_e64 v20, v16, v20, s[4:5]
	v_cndmask_b32_e64 v21, v17, v21, s[4:5]
	v_cmp_eq_u32_e64 s[4:5], 0, v27
	v_cndmask_b32_e64 v21, v21, v17, s[4:5]
	v_cndmask_b32_e64 v20, v20, v16, s[4:5]
	s_nop 0
	v_mov_b32_dpp v23, v21 row_shr:2 row_mask:0xf bank_mask:0xf
	v_mov_b32_dpp v22, v20 row_shr:2 row_mask:0xf bank_mask:0xf
	v_cmp_gt_u64_e64 s[4:5], v[22:23], v[20:21]
	v_cndmask_b32_e64 v22, v20, v22, s[4:5]
	v_cndmask_b32_e64 v23, v21, v23, s[4:5]
	v_cmp_lt_u32_e64 s[4:5], 1, v27
	v_cndmask_b32_e64 v21, v21, v23, s[4:5]
	v_cndmask_b32_e64 v20, v20, v22, s[4:5]
	s_nop 0
	v_mov_b32_dpp v23, v21 row_shr:4 row_mask:0xf bank_mask:0xf
	v_mov_b32_dpp v22, v20 row_shr:4 row_mask:0xf bank_mask:0xf
	v_cmp_gt_u64_e64 s[4:5], v[22:23], v[20:21]
	v_cndmask_b32_e64 v22, v20, v22, s[4:5]
	v_cndmask_b32_e64 v23, v21, v23, s[4:5]
	v_cmp_lt_u32_e64 s[4:5], 3, v27
	;; [unrolled: 9-line block ×3, first 2 shown]
	v_cndmask_b32_e64 v21, v21, v23, s[4:5]
	v_cndmask_b32_e64 v20, v20, v22, s[4:5]
	s_nop 0
	v_mov_b32_dpp v23, v21 row_bcast:15 row_mask:0xf bank_mask:0xf
	v_mov_b32_dpp v22, v20 row_bcast:15 row_mask:0xf bank_mask:0xf
	v_cmp_gt_u64_e64 s[4:5], v[22:23], v[20:21]
	v_cndmask_b32_e64 v27, v21, v23, s[4:5]
	v_cndmask_b32_e64 v28, v20, v22, s[4:5]
	v_cmp_eq_u32_e64 s[4:5], 0, v29
	v_cndmask_b32_e64 v23, v27, v21, s[4:5]
	v_cndmask_b32_e64 v22, v28, v20, s[4:5]
	s_nop 0
	v_mov_b32_dpp v23, v23 row_bcast:31 row_mask:0xf bank_mask:0xf
	v_mov_b32_dpp v22, v22 row_bcast:31 row_mask:0xf bank_mask:0xf
	s_and_saveexec_b64 s[22:23], s[14:15]
; %bb.16:
	v_cndmask_b32_e64 v17, v27, v21, s[4:5]
	v_cndmask_b32_e64 v16, v28, v20, s[4:5]
	v_cmp_lt_u32_e64 s[14:15], 31, v26
	v_cmp_gt_u64_e64 s[4:5], v[22:23], v[16:17]
	s_and_b64 s[4:5], s[14:15], s[4:5]
	v_cndmask_b32_e64 v16, v16, v22, s[4:5]
	v_cndmask_b32_e64 v17, v17, v23, s[4:5]
; %bb.17:
	s_or_b64 exec, exec, s[22:23]
	v_add_u32_e32 v20, -1, v26
	v_and_b32_e32 v21, 64, v26
	v_cmp_lt_i32_e64 s[4:5], v20, v21
	v_cndmask_b32_e64 v20, v20, v26, s[4:5]
	v_lshlrev_b32_e32 v20, 2, v20
	ds_bpermute_b32 v16, v20, v16
	ds_bpermute_b32 v17, v20, v17
	; wave barrier
	s_waitcnt lgkmcnt(0)
	v_cmp_gt_u64_e64 s[4:5], v[16:17], v[14:15]
	v_cndmask_b32_e64 v14, v14, v16, s[4:5]
	v_cndmask_b32_e64 v15, v15, v17, s[4:5]
	v_cmp_eq_u32_e64 s[4:5], 0, v0
	v_cndmask_b32_e64 v15, v15, v19, s[4:5]
	v_cndmask_b32_e64 v14, v14, v18, s[4:5]
	ds_write_b64 v25, v[14:15]
	; wave barrier
	ds_read_b64 v[16:17], v25 offset:8
	s_waitcnt lgkmcnt(0)
	v_cmp_gt_u64_e64 s[4:5], v[14:15], v[16:17]
	v_cndmask_b32_e64 v15, v17, v15, s[4:5]
	v_cndmask_b32_e64 v14, v16, v14, s[4:5]
	ds_write_b64 v25, v[14:15] offset:8
.LBB2219_18:
	s_or_b64 exec, exec, s[18:19]
	v_cmp_ne_u32_e64 s[4:5], 0, v0
	v_pk_mov_b32 v[14:15], s[20:21], s[20:21] op_sel:[0,1]
	s_waitcnt lgkmcnt(0)
	s_barrier
	s_and_saveexec_b64 s[14:15], s[4:5]
	s_cbranch_execz .LBB2219_20
; %bb.19:
	v_add_u32_e32 v14, -1, v0
	v_lshrrev_b32_e32 v15, 5, v14
	v_add_lshl_u32 v14, v15, v14, 3
	ds_read_b64 v[14:15], v14
	v_mov_b32_e32 v16, s21
	s_waitcnt lgkmcnt(0)
	v_cmp_gt_u64_e64 s[4:5], s[20:21], v[14:15]
	v_cndmask_b32_e64 v15, v15, v16, s[4:5]
	v_mov_b32_e32 v16, s20
	v_cndmask_b32_e64 v14, v14, v16, s[4:5]
.LBB2219_20:
	s_or_b64 exec, exec, s[14:15]
	v_cmp_gt_u64_e64 s[4:5], v[14:15], v[10:11]
	v_cndmask_b32_e64 v11, v11, v15, s[4:5]
	v_cndmask_b32_e64 v10, v10, v14, s[4:5]
	v_cmp_gt_u64_e64 s[4:5], v[10:11], v[12:13]
	v_cndmask_b32_e64 v13, v13, v11, s[4:5]
	v_cndmask_b32_e64 v12, v12, v10, s[4:5]
	;; [unrolled: 3-line block ×6, first 2 shown]
	s_movk_i32 s4, 0xffd0
	v_mad_i32_i24 v0, v0, s4, v1
	s_barrier
	ds_write2_b64 v1, v[14:15], v[10:11] offset1:1
	ds_write2_b64 v1, v[12:13], v[6:7] offset0:2 offset1:3
	ds_write2_b64 v1, v[8:9], v[2:3] offset0:4 offset1:5
	ds_write_b64 v1, v[4:5] offset:48
	s_waitcnt lgkmcnt(0)
	s_barrier
	ds_read2st64_b64 v[8:11], v0 offset0:2 offset1:4
	ds_read2st64_b64 v[4:7], v0 offset0:6 offset1:8
	;; [unrolled: 1-line block ×3, first 2 shown]
	v_mov_b32_e32 v13, s17
	v_add_co_u32_e64 v12, s[4:5], s16, v24
	v_addc_co_u32_e64 v13, s[4:5], 0, v13, s[4:5]
	s_and_saveexec_b64 s[4:5], vcc
	s_cbranch_execnz .LBB2219_28
; %bb.21:
	s_or_b64 exec, exec, s[4:5]
	s_and_saveexec_b64 s[4:5], s[0:1]
	s_cbranch_execnz .LBB2219_29
.LBB2219_22:
	s_or_b64 exec, exec, s[4:5]
	s_and_saveexec_b64 s[0:1], s[2:3]
	s_cbranch_execnz .LBB2219_30
.LBB2219_23:
	s_or_b64 exec, exec, s[0:1]
	s_and_saveexec_b64 s[0:1], s[12:13]
	s_cbranch_execnz .LBB2219_31
.LBB2219_24:
	s_or_b64 exec, exec, s[0:1]
	s_and_saveexec_b64 s[0:1], s[6:7]
	s_cbranch_execnz .LBB2219_32
.LBB2219_25:
	s_or_b64 exec, exec, s[0:1]
	s_and_saveexec_b64 s[0:1], s[8:9]
	s_cbranch_execnz .LBB2219_33
.LBB2219_26:
	s_or_b64 exec, exec, s[0:1]
	s_and_saveexec_b64 s[0:1], s[10:11]
	s_cbranch_execnz .LBB2219_34
.LBB2219_27:
	s_endpgm
.LBB2219_28:
	ds_read_b64 v[14:15], v24
	s_waitcnt lgkmcnt(0)
	global_store_dwordx2 v[12:13], v[14:15], off
	s_or_b64 exec, exec, s[4:5]
	s_and_saveexec_b64 s[4:5], s[0:1]
	s_cbranch_execz .LBB2219_22
.LBB2219_29:
	s_waitcnt lgkmcnt(2)
	global_store_dwordx2 v[12:13], v[8:9], off offset:1024
	s_or_b64 exec, exec, s[4:5]
	s_and_saveexec_b64 s[0:1], s[2:3]
	s_cbranch_execz .LBB2219_23
.LBB2219_30:
	s_waitcnt lgkmcnt(2)
	global_store_dwordx2 v[12:13], v[10:11], off offset:2048
	s_or_b64 exec, exec, s[0:1]
	s_and_saveexec_b64 s[0:1], s[12:13]
	s_cbranch_execz .LBB2219_24
.LBB2219_31:
	s_waitcnt lgkmcnt(1)
	global_store_dwordx2 v[12:13], v[4:5], off offset:3072
	s_or_b64 exec, exec, s[0:1]
	s_and_saveexec_b64 s[0:1], s[6:7]
	s_cbranch_execz .LBB2219_25
.LBB2219_32:
	s_waitcnt lgkmcnt(1)
	v_add_co_u32_e32 v4, vcc, 0x1000, v12
	v_addc_co_u32_e32 v5, vcc, 0, v13, vcc
	global_store_dwordx2 v[4:5], v[6:7], off
	s_or_b64 exec, exec, s[0:1]
	s_and_saveexec_b64 s[0:1], s[8:9]
	s_cbranch_execz .LBB2219_26
.LBB2219_33:
	s_waitcnt lgkmcnt(1)
	v_add_co_u32_e32 v4, vcc, 0x1000, v12
	v_addc_co_u32_e32 v5, vcc, 0, v13, vcc
	s_waitcnt lgkmcnt(0)
	global_store_dwordx2 v[4:5], v[0:1], off offset:1024
	s_or_b64 exec, exec, s[0:1]
	s_and_saveexec_b64 s[0:1], s[10:11]
	s_cbranch_execz .LBB2219_27
.LBB2219_34:
	s_waitcnt lgkmcnt(0)
	v_add_co_u32_e32 v0, vcc, 0x1000, v12
	v_addc_co_u32_e32 v1, vcc, 0, v13, vcc
	global_store_dwordx2 v[0:1], v[2:3], off offset:2048
	s_endpgm
	.section	.rodata,"a",@progbits
	.p2align	6, 0x0
	.amdhsa_kernel _ZN7rocprim17ROCPRIM_400000_NS6detail17trampoline_kernelINS0_14default_configENS1_20scan_config_selectorIyEEZZNS1_9scan_implILNS1_25lookback_scan_determinismE0ELb1ELb1ES3_N6thrust23THRUST_200600_302600_NS6detail15normal_iteratorINS9_10device_ptrIyEEEESE_y11max_functorIyEyEEDaPvRmT3_T4_T5_mT6_P12ihipStream_tbENKUlT_T0_E_clISt17integral_constantIbLb1EEST_IbLb0EEEEDaSP_SQ_EUlSP_E0_NS1_11comp_targetILNS1_3genE4ELNS1_11target_archE910ELNS1_3gpuE8ELNS1_3repE0EEENS1_30default_config_static_selectorELNS0_4arch9wavefront6targetE1EEEvT1_
		.amdhsa_group_segment_fixed_size 7168
		.amdhsa_private_segment_fixed_size 0
		.amdhsa_kernarg_size 40
		.amdhsa_user_sgpr_count 6
		.amdhsa_user_sgpr_private_segment_buffer 1
		.amdhsa_user_sgpr_dispatch_ptr 0
		.amdhsa_user_sgpr_queue_ptr 0
		.amdhsa_user_sgpr_kernarg_segment_ptr 1
		.amdhsa_user_sgpr_dispatch_id 0
		.amdhsa_user_sgpr_flat_scratch_init 0
		.amdhsa_user_sgpr_kernarg_preload_length 0
		.amdhsa_user_sgpr_kernarg_preload_offset 0
		.amdhsa_user_sgpr_private_segment_size 0
		.amdhsa_uses_dynamic_stack 0
		.amdhsa_system_sgpr_private_segment_wavefront_offset 0
		.amdhsa_system_sgpr_workgroup_id_x 1
		.amdhsa_system_sgpr_workgroup_id_y 0
		.amdhsa_system_sgpr_workgroup_id_z 0
		.amdhsa_system_sgpr_workgroup_info 0
		.amdhsa_system_vgpr_workitem_id 0
		.amdhsa_next_free_vgpr 30
		.amdhsa_next_free_sgpr 24
		.amdhsa_accum_offset 32
		.amdhsa_reserve_vcc 1
		.amdhsa_reserve_flat_scratch 0
		.amdhsa_float_round_mode_32 0
		.amdhsa_float_round_mode_16_64 0
		.amdhsa_float_denorm_mode_32 3
		.amdhsa_float_denorm_mode_16_64 3
		.amdhsa_dx10_clamp 1
		.amdhsa_ieee_mode 1
		.amdhsa_fp16_overflow 0
		.amdhsa_tg_split 0
		.amdhsa_exception_fp_ieee_invalid_op 0
		.amdhsa_exception_fp_denorm_src 0
		.amdhsa_exception_fp_ieee_div_zero 0
		.amdhsa_exception_fp_ieee_overflow 0
		.amdhsa_exception_fp_ieee_underflow 0
		.amdhsa_exception_fp_ieee_inexact 0
		.amdhsa_exception_int_div_zero 0
	.end_amdhsa_kernel
	.section	.text._ZN7rocprim17ROCPRIM_400000_NS6detail17trampoline_kernelINS0_14default_configENS1_20scan_config_selectorIyEEZZNS1_9scan_implILNS1_25lookback_scan_determinismE0ELb1ELb1ES3_N6thrust23THRUST_200600_302600_NS6detail15normal_iteratorINS9_10device_ptrIyEEEESE_y11max_functorIyEyEEDaPvRmT3_T4_T5_mT6_P12ihipStream_tbENKUlT_T0_E_clISt17integral_constantIbLb1EEST_IbLb0EEEEDaSP_SQ_EUlSP_E0_NS1_11comp_targetILNS1_3genE4ELNS1_11target_archE910ELNS1_3gpuE8ELNS1_3repE0EEENS1_30default_config_static_selectorELNS0_4arch9wavefront6targetE1EEEvT1_,"axG",@progbits,_ZN7rocprim17ROCPRIM_400000_NS6detail17trampoline_kernelINS0_14default_configENS1_20scan_config_selectorIyEEZZNS1_9scan_implILNS1_25lookback_scan_determinismE0ELb1ELb1ES3_N6thrust23THRUST_200600_302600_NS6detail15normal_iteratorINS9_10device_ptrIyEEEESE_y11max_functorIyEyEEDaPvRmT3_T4_T5_mT6_P12ihipStream_tbENKUlT_T0_E_clISt17integral_constantIbLb1EEST_IbLb0EEEEDaSP_SQ_EUlSP_E0_NS1_11comp_targetILNS1_3genE4ELNS1_11target_archE910ELNS1_3gpuE8ELNS1_3repE0EEENS1_30default_config_static_selectorELNS0_4arch9wavefront6targetE1EEEvT1_,comdat
.Lfunc_end2219:
	.size	_ZN7rocprim17ROCPRIM_400000_NS6detail17trampoline_kernelINS0_14default_configENS1_20scan_config_selectorIyEEZZNS1_9scan_implILNS1_25lookback_scan_determinismE0ELb1ELb1ES3_N6thrust23THRUST_200600_302600_NS6detail15normal_iteratorINS9_10device_ptrIyEEEESE_y11max_functorIyEyEEDaPvRmT3_T4_T5_mT6_P12ihipStream_tbENKUlT_T0_E_clISt17integral_constantIbLb1EEST_IbLb0EEEEDaSP_SQ_EUlSP_E0_NS1_11comp_targetILNS1_3genE4ELNS1_11target_archE910ELNS1_3gpuE8ELNS1_3repE0EEENS1_30default_config_static_selectorELNS0_4arch9wavefront6targetE1EEEvT1_, .Lfunc_end2219-_ZN7rocprim17ROCPRIM_400000_NS6detail17trampoline_kernelINS0_14default_configENS1_20scan_config_selectorIyEEZZNS1_9scan_implILNS1_25lookback_scan_determinismE0ELb1ELb1ES3_N6thrust23THRUST_200600_302600_NS6detail15normal_iteratorINS9_10device_ptrIyEEEESE_y11max_functorIyEyEEDaPvRmT3_T4_T5_mT6_P12ihipStream_tbENKUlT_T0_E_clISt17integral_constantIbLb1EEST_IbLb0EEEEDaSP_SQ_EUlSP_E0_NS1_11comp_targetILNS1_3genE4ELNS1_11target_archE910ELNS1_3gpuE8ELNS1_3repE0EEENS1_30default_config_static_selectorELNS0_4arch9wavefront6targetE1EEEvT1_
                                        ; -- End function
	.section	.AMDGPU.csdata,"",@progbits
; Kernel info:
; codeLenInByte = 1916
; NumSgprs: 28
; NumVgprs: 30
; NumAgprs: 0
; TotalNumVgprs: 30
; ScratchSize: 0
; MemoryBound: 0
; FloatMode: 240
; IeeeMode: 1
; LDSByteSize: 7168 bytes/workgroup (compile time only)
; SGPRBlocks: 3
; VGPRBlocks: 3
; NumSGPRsForWavesPerEU: 28
; NumVGPRsForWavesPerEU: 30
; AccumOffset: 32
; Occupancy: 5
; WaveLimiterHint : 0
; COMPUTE_PGM_RSRC2:SCRATCH_EN: 0
; COMPUTE_PGM_RSRC2:USER_SGPR: 6
; COMPUTE_PGM_RSRC2:TRAP_HANDLER: 0
; COMPUTE_PGM_RSRC2:TGID_X_EN: 1
; COMPUTE_PGM_RSRC2:TGID_Y_EN: 0
; COMPUTE_PGM_RSRC2:TGID_Z_EN: 0
; COMPUTE_PGM_RSRC2:TIDIG_COMP_CNT: 0
; COMPUTE_PGM_RSRC3_GFX90A:ACCUM_OFFSET: 7
; COMPUTE_PGM_RSRC3_GFX90A:TG_SPLIT: 0
	.section	.text._ZN7rocprim17ROCPRIM_400000_NS6detail17trampoline_kernelINS0_14default_configENS1_20scan_config_selectorIyEEZZNS1_9scan_implILNS1_25lookback_scan_determinismE0ELb1ELb1ES3_N6thrust23THRUST_200600_302600_NS6detail15normal_iteratorINS9_10device_ptrIyEEEESE_y11max_functorIyEyEEDaPvRmT3_T4_T5_mT6_P12ihipStream_tbENKUlT_T0_E_clISt17integral_constantIbLb1EEST_IbLb0EEEEDaSP_SQ_EUlSP_E0_NS1_11comp_targetILNS1_3genE3ELNS1_11target_archE908ELNS1_3gpuE7ELNS1_3repE0EEENS1_30default_config_static_selectorELNS0_4arch9wavefront6targetE1EEEvT1_,"axG",@progbits,_ZN7rocprim17ROCPRIM_400000_NS6detail17trampoline_kernelINS0_14default_configENS1_20scan_config_selectorIyEEZZNS1_9scan_implILNS1_25lookback_scan_determinismE0ELb1ELb1ES3_N6thrust23THRUST_200600_302600_NS6detail15normal_iteratorINS9_10device_ptrIyEEEESE_y11max_functorIyEyEEDaPvRmT3_T4_T5_mT6_P12ihipStream_tbENKUlT_T0_E_clISt17integral_constantIbLb1EEST_IbLb0EEEEDaSP_SQ_EUlSP_E0_NS1_11comp_targetILNS1_3genE3ELNS1_11target_archE908ELNS1_3gpuE7ELNS1_3repE0EEENS1_30default_config_static_selectorELNS0_4arch9wavefront6targetE1EEEvT1_,comdat
	.protected	_ZN7rocprim17ROCPRIM_400000_NS6detail17trampoline_kernelINS0_14default_configENS1_20scan_config_selectorIyEEZZNS1_9scan_implILNS1_25lookback_scan_determinismE0ELb1ELb1ES3_N6thrust23THRUST_200600_302600_NS6detail15normal_iteratorINS9_10device_ptrIyEEEESE_y11max_functorIyEyEEDaPvRmT3_T4_T5_mT6_P12ihipStream_tbENKUlT_T0_E_clISt17integral_constantIbLb1EEST_IbLb0EEEEDaSP_SQ_EUlSP_E0_NS1_11comp_targetILNS1_3genE3ELNS1_11target_archE908ELNS1_3gpuE7ELNS1_3repE0EEENS1_30default_config_static_selectorELNS0_4arch9wavefront6targetE1EEEvT1_ ; -- Begin function _ZN7rocprim17ROCPRIM_400000_NS6detail17trampoline_kernelINS0_14default_configENS1_20scan_config_selectorIyEEZZNS1_9scan_implILNS1_25lookback_scan_determinismE0ELb1ELb1ES3_N6thrust23THRUST_200600_302600_NS6detail15normal_iteratorINS9_10device_ptrIyEEEESE_y11max_functorIyEyEEDaPvRmT3_T4_T5_mT6_P12ihipStream_tbENKUlT_T0_E_clISt17integral_constantIbLb1EEST_IbLb0EEEEDaSP_SQ_EUlSP_E0_NS1_11comp_targetILNS1_3genE3ELNS1_11target_archE908ELNS1_3gpuE7ELNS1_3repE0EEENS1_30default_config_static_selectorELNS0_4arch9wavefront6targetE1EEEvT1_
	.globl	_ZN7rocprim17ROCPRIM_400000_NS6detail17trampoline_kernelINS0_14default_configENS1_20scan_config_selectorIyEEZZNS1_9scan_implILNS1_25lookback_scan_determinismE0ELb1ELb1ES3_N6thrust23THRUST_200600_302600_NS6detail15normal_iteratorINS9_10device_ptrIyEEEESE_y11max_functorIyEyEEDaPvRmT3_T4_T5_mT6_P12ihipStream_tbENKUlT_T0_E_clISt17integral_constantIbLb1EEST_IbLb0EEEEDaSP_SQ_EUlSP_E0_NS1_11comp_targetILNS1_3genE3ELNS1_11target_archE908ELNS1_3gpuE7ELNS1_3repE0EEENS1_30default_config_static_selectorELNS0_4arch9wavefront6targetE1EEEvT1_
	.p2align	8
	.type	_ZN7rocprim17ROCPRIM_400000_NS6detail17trampoline_kernelINS0_14default_configENS1_20scan_config_selectorIyEEZZNS1_9scan_implILNS1_25lookback_scan_determinismE0ELb1ELb1ES3_N6thrust23THRUST_200600_302600_NS6detail15normal_iteratorINS9_10device_ptrIyEEEESE_y11max_functorIyEyEEDaPvRmT3_T4_T5_mT6_P12ihipStream_tbENKUlT_T0_E_clISt17integral_constantIbLb1EEST_IbLb0EEEEDaSP_SQ_EUlSP_E0_NS1_11comp_targetILNS1_3genE3ELNS1_11target_archE908ELNS1_3gpuE7ELNS1_3repE0EEENS1_30default_config_static_selectorELNS0_4arch9wavefront6targetE1EEEvT1_,@function
_ZN7rocprim17ROCPRIM_400000_NS6detail17trampoline_kernelINS0_14default_configENS1_20scan_config_selectorIyEEZZNS1_9scan_implILNS1_25lookback_scan_determinismE0ELb1ELb1ES3_N6thrust23THRUST_200600_302600_NS6detail15normal_iteratorINS9_10device_ptrIyEEEESE_y11max_functorIyEyEEDaPvRmT3_T4_T5_mT6_P12ihipStream_tbENKUlT_T0_E_clISt17integral_constantIbLb1EEST_IbLb0EEEEDaSP_SQ_EUlSP_E0_NS1_11comp_targetILNS1_3genE3ELNS1_11target_archE908ELNS1_3gpuE7ELNS1_3repE0EEENS1_30default_config_static_selectorELNS0_4arch9wavefront6targetE1EEEvT1_: ; @_ZN7rocprim17ROCPRIM_400000_NS6detail17trampoline_kernelINS0_14default_configENS1_20scan_config_selectorIyEEZZNS1_9scan_implILNS1_25lookback_scan_determinismE0ELb1ELb1ES3_N6thrust23THRUST_200600_302600_NS6detail15normal_iteratorINS9_10device_ptrIyEEEESE_y11max_functorIyEyEEDaPvRmT3_T4_T5_mT6_P12ihipStream_tbENKUlT_T0_E_clISt17integral_constantIbLb1EEST_IbLb0EEEEDaSP_SQ_EUlSP_E0_NS1_11comp_targetILNS1_3genE3ELNS1_11target_archE908ELNS1_3gpuE7ELNS1_3repE0EEENS1_30default_config_static_selectorELNS0_4arch9wavefront6targetE1EEEvT1_
; %bb.0:
	.section	.rodata,"a",@progbits
	.p2align	6, 0x0
	.amdhsa_kernel _ZN7rocprim17ROCPRIM_400000_NS6detail17trampoline_kernelINS0_14default_configENS1_20scan_config_selectorIyEEZZNS1_9scan_implILNS1_25lookback_scan_determinismE0ELb1ELb1ES3_N6thrust23THRUST_200600_302600_NS6detail15normal_iteratorINS9_10device_ptrIyEEEESE_y11max_functorIyEyEEDaPvRmT3_T4_T5_mT6_P12ihipStream_tbENKUlT_T0_E_clISt17integral_constantIbLb1EEST_IbLb0EEEEDaSP_SQ_EUlSP_E0_NS1_11comp_targetILNS1_3genE3ELNS1_11target_archE908ELNS1_3gpuE7ELNS1_3repE0EEENS1_30default_config_static_selectorELNS0_4arch9wavefront6targetE1EEEvT1_
		.amdhsa_group_segment_fixed_size 0
		.amdhsa_private_segment_fixed_size 0
		.amdhsa_kernarg_size 40
		.amdhsa_user_sgpr_count 6
		.amdhsa_user_sgpr_private_segment_buffer 1
		.amdhsa_user_sgpr_dispatch_ptr 0
		.amdhsa_user_sgpr_queue_ptr 0
		.amdhsa_user_sgpr_kernarg_segment_ptr 1
		.amdhsa_user_sgpr_dispatch_id 0
		.amdhsa_user_sgpr_flat_scratch_init 0
		.amdhsa_user_sgpr_kernarg_preload_length 0
		.amdhsa_user_sgpr_kernarg_preload_offset 0
		.amdhsa_user_sgpr_private_segment_size 0
		.amdhsa_uses_dynamic_stack 0
		.amdhsa_system_sgpr_private_segment_wavefront_offset 0
		.amdhsa_system_sgpr_workgroup_id_x 1
		.amdhsa_system_sgpr_workgroup_id_y 0
		.amdhsa_system_sgpr_workgroup_id_z 0
		.amdhsa_system_sgpr_workgroup_info 0
		.amdhsa_system_vgpr_workitem_id 0
		.amdhsa_next_free_vgpr 1
		.amdhsa_next_free_sgpr 0
		.amdhsa_accum_offset 4
		.amdhsa_reserve_vcc 0
		.amdhsa_reserve_flat_scratch 0
		.amdhsa_float_round_mode_32 0
		.amdhsa_float_round_mode_16_64 0
		.amdhsa_float_denorm_mode_32 3
		.amdhsa_float_denorm_mode_16_64 3
		.amdhsa_dx10_clamp 1
		.amdhsa_ieee_mode 1
		.amdhsa_fp16_overflow 0
		.amdhsa_tg_split 0
		.amdhsa_exception_fp_ieee_invalid_op 0
		.amdhsa_exception_fp_denorm_src 0
		.amdhsa_exception_fp_ieee_div_zero 0
		.amdhsa_exception_fp_ieee_overflow 0
		.amdhsa_exception_fp_ieee_underflow 0
		.amdhsa_exception_fp_ieee_inexact 0
		.amdhsa_exception_int_div_zero 0
	.end_amdhsa_kernel
	.section	.text._ZN7rocprim17ROCPRIM_400000_NS6detail17trampoline_kernelINS0_14default_configENS1_20scan_config_selectorIyEEZZNS1_9scan_implILNS1_25lookback_scan_determinismE0ELb1ELb1ES3_N6thrust23THRUST_200600_302600_NS6detail15normal_iteratorINS9_10device_ptrIyEEEESE_y11max_functorIyEyEEDaPvRmT3_T4_T5_mT6_P12ihipStream_tbENKUlT_T0_E_clISt17integral_constantIbLb1EEST_IbLb0EEEEDaSP_SQ_EUlSP_E0_NS1_11comp_targetILNS1_3genE3ELNS1_11target_archE908ELNS1_3gpuE7ELNS1_3repE0EEENS1_30default_config_static_selectorELNS0_4arch9wavefront6targetE1EEEvT1_,"axG",@progbits,_ZN7rocprim17ROCPRIM_400000_NS6detail17trampoline_kernelINS0_14default_configENS1_20scan_config_selectorIyEEZZNS1_9scan_implILNS1_25lookback_scan_determinismE0ELb1ELb1ES3_N6thrust23THRUST_200600_302600_NS6detail15normal_iteratorINS9_10device_ptrIyEEEESE_y11max_functorIyEyEEDaPvRmT3_T4_T5_mT6_P12ihipStream_tbENKUlT_T0_E_clISt17integral_constantIbLb1EEST_IbLb0EEEEDaSP_SQ_EUlSP_E0_NS1_11comp_targetILNS1_3genE3ELNS1_11target_archE908ELNS1_3gpuE7ELNS1_3repE0EEENS1_30default_config_static_selectorELNS0_4arch9wavefront6targetE1EEEvT1_,comdat
.Lfunc_end2220:
	.size	_ZN7rocprim17ROCPRIM_400000_NS6detail17trampoline_kernelINS0_14default_configENS1_20scan_config_selectorIyEEZZNS1_9scan_implILNS1_25lookback_scan_determinismE0ELb1ELb1ES3_N6thrust23THRUST_200600_302600_NS6detail15normal_iteratorINS9_10device_ptrIyEEEESE_y11max_functorIyEyEEDaPvRmT3_T4_T5_mT6_P12ihipStream_tbENKUlT_T0_E_clISt17integral_constantIbLb1EEST_IbLb0EEEEDaSP_SQ_EUlSP_E0_NS1_11comp_targetILNS1_3genE3ELNS1_11target_archE908ELNS1_3gpuE7ELNS1_3repE0EEENS1_30default_config_static_selectorELNS0_4arch9wavefront6targetE1EEEvT1_, .Lfunc_end2220-_ZN7rocprim17ROCPRIM_400000_NS6detail17trampoline_kernelINS0_14default_configENS1_20scan_config_selectorIyEEZZNS1_9scan_implILNS1_25lookback_scan_determinismE0ELb1ELb1ES3_N6thrust23THRUST_200600_302600_NS6detail15normal_iteratorINS9_10device_ptrIyEEEESE_y11max_functorIyEyEEDaPvRmT3_T4_T5_mT6_P12ihipStream_tbENKUlT_T0_E_clISt17integral_constantIbLb1EEST_IbLb0EEEEDaSP_SQ_EUlSP_E0_NS1_11comp_targetILNS1_3genE3ELNS1_11target_archE908ELNS1_3gpuE7ELNS1_3repE0EEENS1_30default_config_static_selectorELNS0_4arch9wavefront6targetE1EEEvT1_
                                        ; -- End function
	.section	.AMDGPU.csdata,"",@progbits
; Kernel info:
; codeLenInByte = 0
; NumSgprs: 4
; NumVgprs: 0
; NumAgprs: 0
; TotalNumVgprs: 0
; ScratchSize: 0
; MemoryBound: 0
; FloatMode: 240
; IeeeMode: 1
; LDSByteSize: 0 bytes/workgroup (compile time only)
; SGPRBlocks: 0
; VGPRBlocks: 0
; NumSGPRsForWavesPerEU: 4
; NumVGPRsForWavesPerEU: 1
; AccumOffset: 4
; Occupancy: 8
; WaveLimiterHint : 0
; COMPUTE_PGM_RSRC2:SCRATCH_EN: 0
; COMPUTE_PGM_RSRC2:USER_SGPR: 6
; COMPUTE_PGM_RSRC2:TRAP_HANDLER: 0
; COMPUTE_PGM_RSRC2:TGID_X_EN: 1
; COMPUTE_PGM_RSRC2:TGID_Y_EN: 0
; COMPUTE_PGM_RSRC2:TGID_Z_EN: 0
; COMPUTE_PGM_RSRC2:TIDIG_COMP_CNT: 0
; COMPUTE_PGM_RSRC3_GFX90A:ACCUM_OFFSET: 0
; COMPUTE_PGM_RSRC3_GFX90A:TG_SPLIT: 0
	.section	.text._ZN7rocprim17ROCPRIM_400000_NS6detail17trampoline_kernelINS0_14default_configENS1_20scan_config_selectorIyEEZZNS1_9scan_implILNS1_25lookback_scan_determinismE0ELb1ELb1ES3_N6thrust23THRUST_200600_302600_NS6detail15normal_iteratorINS9_10device_ptrIyEEEESE_y11max_functorIyEyEEDaPvRmT3_T4_T5_mT6_P12ihipStream_tbENKUlT_T0_E_clISt17integral_constantIbLb1EEST_IbLb0EEEEDaSP_SQ_EUlSP_E0_NS1_11comp_targetILNS1_3genE2ELNS1_11target_archE906ELNS1_3gpuE6ELNS1_3repE0EEENS1_30default_config_static_selectorELNS0_4arch9wavefront6targetE1EEEvT1_,"axG",@progbits,_ZN7rocprim17ROCPRIM_400000_NS6detail17trampoline_kernelINS0_14default_configENS1_20scan_config_selectorIyEEZZNS1_9scan_implILNS1_25lookback_scan_determinismE0ELb1ELb1ES3_N6thrust23THRUST_200600_302600_NS6detail15normal_iteratorINS9_10device_ptrIyEEEESE_y11max_functorIyEyEEDaPvRmT3_T4_T5_mT6_P12ihipStream_tbENKUlT_T0_E_clISt17integral_constantIbLb1EEST_IbLb0EEEEDaSP_SQ_EUlSP_E0_NS1_11comp_targetILNS1_3genE2ELNS1_11target_archE906ELNS1_3gpuE6ELNS1_3repE0EEENS1_30default_config_static_selectorELNS0_4arch9wavefront6targetE1EEEvT1_,comdat
	.protected	_ZN7rocprim17ROCPRIM_400000_NS6detail17trampoline_kernelINS0_14default_configENS1_20scan_config_selectorIyEEZZNS1_9scan_implILNS1_25lookback_scan_determinismE0ELb1ELb1ES3_N6thrust23THRUST_200600_302600_NS6detail15normal_iteratorINS9_10device_ptrIyEEEESE_y11max_functorIyEyEEDaPvRmT3_T4_T5_mT6_P12ihipStream_tbENKUlT_T0_E_clISt17integral_constantIbLb1EEST_IbLb0EEEEDaSP_SQ_EUlSP_E0_NS1_11comp_targetILNS1_3genE2ELNS1_11target_archE906ELNS1_3gpuE6ELNS1_3repE0EEENS1_30default_config_static_selectorELNS0_4arch9wavefront6targetE1EEEvT1_ ; -- Begin function _ZN7rocprim17ROCPRIM_400000_NS6detail17trampoline_kernelINS0_14default_configENS1_20scan_config_selectorIyEEZZNS1_9scan_implILNS1_25lookback_scan_determinismE0ELb1ELb1ES3_N6thrust23THRUST_200600_302600_NS6detail15normal_iteratorINS9_10device_ptrIyEEEESE_y11max_functorIyEyEEDaPvRmT3_T4_T5_mT6_P12ihipStream_tbENKUlT_T0_E_clISt17integral_constantIbLb1EEST_IbLb0EEEEDaSP_SQ_EUlSP_E0_NS1_11comp_targetILNS1_3genE2ELNS1_11target_archE906ELNS1_3gpuE6ELNS1_3repE0EEENS1_30default_config_static_selectorELNS0_4arch9wavefront6targetE1EEEvT1_
	.globl	_ZN7rocprim17ROCPRIM_400000_NS6detail17trampoline_kernelINS0_14default_configENS1_20scan_config_selectorIyEEZZNS1_9scan_implILNS1_25lookback_scan_determinismE0ELb1ELb1ES3_N6thrust23THRUST_200600_302600_NS6detail15normal_iteratorINS9_10device_ptrIyEEEESE_y11max_functorIyEyEEDaPvRmT3_T4_T5_mT6_P12ihipStream_tbENKUlT_T0_E_clISt17integral_constantIbLb1EEST_IbLb0EEEEDaSP_SQ_EUlSP_E0_NS1_11comp_targetILNS1_3genE2ELNS1_11target_archE906ELNS1_3gpuE6ELNS1_3repE0EEENS1_30default_config_static_selectorELNS0_4arch9wavefront6targetE1EEEvT1_
	.p2align	8
	.type	_ZN7rocprim17ROCPRIM_400000_NS6detail17trampoline_kernelINS0_14default_configENS1_20scan_config_selectorIyEEZZNS1_9scan_implILNS1_25lookback_scan_determinismE0ELb1ELb1ES3_N6thrust23THRUST_200600_302600_NS6detail15normal_iteratorINS9_10device_ptrIyEEEESE_y11max_functorIyEyEEDaPvRmT3_T4_T5_mT6_P12ihipStream_tbENKUlT_T0_E_clISt17integral_constantIbLb1EEST_IbLb0EEEEDaSP_SQ_EUlSP_E0_NS1_11comp_targetILNS1_3genE2ELNS1_11target_archE906ELNS1_3gpuE6ELNS1_3repE0EEENS1_30default_config_static_selectorELNS0_4arch9wavefront6targetE1EEEvT1_,@function
_ZN7rocprim17ROCPRIM_400000_NS6detail17trampoline_kernelINS0_14default_configENS1_20scan_config_selectorIyEEZZNS1_9scan_implILNS1_25lookback_scan_determinismE0ELb1ELb1ES3_N6thrust23THRUST_200600_302600_NS6detail15normal_iteratorINS9_10device_ptrIyEEEESE_y11max_functorIyEyEEDaPvRmT3_T4_T5_mT6_P12ihipStream_tbENKUlT_T0_E_clISt17integral_constantIbLb1EEST_IbLb0EEEEDaSP_SQ_EUlSP_E0_NS1_11comp_targetILNS1_3genE2ELNS1_11target_archE906ELNS1_3gpuE6ELNS1_3repE0EEENS1_30default_config_static_selectorELNS0_4arch9wavefront6targetE1EEEvT1_: ; @_ZN7rocprim17ROCPRIM_400000_NS6detail17trampoline_kernelINS0_14default_configENS1_20scan_config_selectorIyEEZZNS1_9scan_implILNS1_25lookback_scan_determinismE0ELb1ELb1ES3_N6thrust23THRUST_200600_302600_NS6detail15normal_iteratorINS9_10device_ptrIyEEEESE_y11max_functorIyEyEEDaPvRmT3_T4_T5_mT6_P12ihipStream_tbENKUlT_T0_E_clISt17integral_constantIbLb1EEST_IbLb0EEEEDaSP_SQ_EUlSP_E0_NS1_11comp_targetILNS1_3genE2ELNS1_11target_archE906ELNS1_3gpuE6ELNS1_3repE0EEENS1_30default_config_static_selectorELNS0_4arch9wavefront6targetE1EEEvT1_
; %bb.0:
	.section	.rodata,"a",@progbits
	.p2align	6, 0x0
	.amdhsa_kernel _ZN7rocprim17ROCPRIM_400000_NS6detail17trampoline_kernelINS0_14default_configENS1_20scan_config_selectorIyEEZZNS1_9scan_implILNS1_25lookback_scan_determinismE0ELb1ELb1ES3_N6thrust23THRUST_200600_302600_NS6detail15normal_iteratorINS9_10device_ptrIyEEEESE_y11max_functorIyEyEEDaPvRmT3_T4_T5_mT6_P12ihipStream_tbENKUlT_T0_E_clISt17integral_constantIbLb1EEST_IbLb0EEEEDaSP_SQ_EUlSP_E0_NS1_11comp_targetILNS1_3genE2ELNS1_11target_archE906ELNS1_3gpuE6ELNS1_3repE0EEENS1_30default_config_static_selectorELNS0_4arch9wavefront6targetE1EEEvT1_
		.amdhsa_group_segment_fixed_size 0
		.amdhsa_private_segment_fixed_size 0
		.amdhsa_kernarg_size 40
		.amdhsa_user_sgpr_count 6
		.amdhsa_user_sgpr_private_segment_buffer 1
		.amdhsa_user_sgpr_dispatch_ptr 0
		.amdhsa_user_sgpr_queue_ptr 0
		.amdhsa_user_sgpr_kernarg_segment_ptr 1
		.amdhsa_user_sgpr_dispatch_id 0
		.amdhsa_user_sgpr_flat_scratch_init 0
		.amdhsa_user_sgpr_kernarg_preload_length 0
		.amdhsa_user_sgpr_kernarg_preload_offset 0
		.amdhsa_user_sgpr_private_segment_size 0
		.amdhsa_uses_dynamic_stack 0
		.amdhsa_system_sgpr_private_segment_wavefront_offset 0
		.amdhsa_system_sgpr_workgroup_id_x 1
		.amdhsa_system_sgpr_workgroup_id_y 0
		.amdhsa_system_sgpr_workgroup_id_z 0
		.amdhsa_system_sgpr_workgroup_info 0
		.amdhsa_system_vgpr_workitem_id 0
		.amdhsa_next_free_vgpr 1
		.amdhsa_next_free_sgpr 0
		.amdhsa_accum_offset 4
		.amdhsa_reserve_vcc 0
		.amdhsa_reserve_flat_scratch 0
		.amdhsa_float_round_mode_32 0
		.amdhsa_float_round_mode_16_64 0
		.amdhsa_float_denorm_mode_32 3
		.amdhsa_float_denorm_mode_16_64 3
		.amdhsa_dx10_clamp 1
		.amdhsa_ieee_mode 1
		.amdhsa_fp16_overflow 0
		.amdhsa_tg_split 0
		.amdhsa_exception_fp_ieee_invalid_op 0
		.amdhsa_exception_fp_denorm_src 0
		.amdhsa_exception_fp_ieee_div_zero 0
		.amdhsa_exception_fp_ieee_overflow 0
		.amdhsa_exception_fp_ieee_underflow 0
		.amdhsa_exception_fp_ieee_inexact 0
		.amdhsa_exception_int_div_zero 0
	.end_amdhsa_kernel
	.section	.text._ZN7rocprim17ROCPRIM_400000_NS6detail17trampoline_kernelINS0_14default_configENS1_20scan_config_selectorIyEEZZNS1_9scan_implILNS1_25lookback_scan_determinismE0ELb1ELb1ES3_N6thrust23THRUST_200600_302600_NS6detail15normal_iteratorINS9_10device_ptrIyEEEESE_y11max_functorIyEyEEDaPvRmT3_T4_T5_mT6_P12ihipStream_tbENKUlT_T0_E_clISt17integral_constantIbLb1EEST_IbLb0EEEEDaSP_SQ_EUlSP_E0_NS1_11comp_targetILNS1_3genE2ELNS1_11target_archE906ELNS1_3gpuE6ELNS1_3repE0EEENS1_30default_config_static_selectorELNS0_4arch9wavefront6targetE1EEEvT1_,"axG",@progbits,_ZN7rocprim17ROCPRIM_400000_NS6detail17trampoline_kernelINS0_14default_configENS1_20scan_config_selectorIyEEZZNS1_9scan_implILNS1_25lookback_scan_determinismE0ELb1ELb1ES3_N6thrust23THRUST_200600_302600_NS6detail15normal_iteratorINS9_10device_ptrIyEEEESE_y11max_functorIyEyEEDaPvRmT3_T4_T5_mT6_P12ihipStream_tbENKUlT_T0_E_clISt17integral_constantIbLb1EEST_IbLb0EEEEDaSP_SQ_EUlSP_E0_NS1_11comp_targetILNS1_3genE2ELNS1_11target_archE906ELNS1_3gpuE6ELNS1_3repE0EEENS1_30default_config_static_selectorELNS0_4arch9wavefront6targetE1EEEvT1_,comdat
.Lfunc_end2221:
	.size	_ZN7rocprim17ROCPRIM_400000_NS6detail17trampoline_kernelINS0_14default_configENS1_20scan_config_selectorIyEEZZNS1_9scan_implILNS1_25lookback_scan_determinismE0ELb1ELb1ES3_N6thrust23THRUST_200600_302600_NS6detail15normal_iteratorINS9_10device_ptrIyEEEESE_y11max_functorIyEyEEDaPvRmT3_T4_T5_mT6_P12ihipStream_tbENKUlT_T0_E_clISt17integral_constantIbLb1EEST_IbLb0EEEEDaSP_SQ_EUlSP_E0_NS1_11comp_targetILNS1_3genE2ELNS1_11target_archE906ELNS1_3gpuE6ELNS1_3repE0EEENS1_30default_config_static_selectorELNS0_4arch9wavefront6targetE1EEEvT1_, .Lfunc_end2221-_ZN7rocprim17ROCPRIM_400000_NS6detail17trampoline_kernelINS0_14default_configENS1_20scan_config_selectorIyEEZZNS1_9scan_implILNS1_25lookback_scan_determinismE0ELb1ELb1ES3_N6thrust23THRUST_200600_302600_NS6detail15normal_iteratorINS9_10device_ptrIyEEEESE_y11max_functorIyEyEEDaPvRmT3_T4_T5_mT6_P12ihipStream_tbENKUlT_T0_E_clISt17integral_constantIbLb1EEST_IbLb0EEEEDaSP_SQ_EUlSP_E0_NS1_11comp_targetILNS1_3genE2ELNS1_11target_archE906ELNS1_3gpuE6ELNS1_3repE0EEENS1_30default_config_static_selectorELNS0_4arch9wavefront6targetE1EEEvT1_
                                        ; -- End function
	.section	.AMDGPU.csdata,"",@progbits
; Kernel info:
; codeLenInByte = 0
; NumSgprs: 4
; NumVgprs: 0
; NumAgprs: 0
; TotalNumVgprs: 0
; ScratchSize: 0
; MemoryBound: 0
; FloatMode: 240
; IeeeMode: 1
; LDSByteSize: 0 bytes/workgroup (compile time only)
; SGPRBlocks: 0
; VGPRBlocks: 0
; NumSGPRsForWavesPerEU: 4
; NumVGPRsForWavesPerEU: 1
; AccumOffset: 4
; Occupancy: 8
; WaveLimiterHint : 0
; COMPUTE_PGM_RSRC2:SCRATCH_EN: 0
; COMPUTE_PGM_RSRC2:USER_SGPR: 6
; COMPUTE_PGM_RSRC2:TRAP_HANDLER: 0
; COMPUTE_PGM_RSRC2:TGID_X_EN: 1
; COMPUTE_PGM_RSRC2:TGID_Y_EN: 0
; COMPUTE_PGM_RSRC2:TGID_Z_EN: 0
; COMPUTE_PGM_RSRC2:TIDIG_COMP_CNT: 0
; COMPUTE_PGM_RSRC3_GFX90A:ACCUM_OFFSET: 0
; COMPUTE_PGM_RSRC3_GFX90A:TG_SPLIT: 0
	.section	.text._ZN7rocprim17ROCPRIM_400000_NS6detail17trampoline_kernelINS0_14default_configENS1_20scan_config_selectorIyEEZZNS1_9scan_implILNS1_25lookback_scan_determinismE0ELb1ELb1ES3_N6thrust23THRUST_200600_302600_NS6detail15normal_iteratorINS9_10device_ptrIyEEEESE_y11max_functorIyEyEEDaPvRmT3_T4_T5_mT6_P12ihipStream_tbENKUlT_T0_E_clISt17integral_constantIbLb1EEST_IbLb0EEEEDaSP_SQ_EUlSP_E0_NS1_11comp_targetILNS1_3genE10ELNS1_11target_archE1201ELNS1_3gpuE5ELNS1_3repE0EEENS1_30default_config_static_selectorELNS0_4arch9wavefront6targetE1EEEvT1_,"axG",@progbits,_ZN7rocprim17ROCPRIM_400000_NS6detail17trampoline_kernelINS0_14default_configENS1_20scan_config_selectorIyEEZZNS1_9scan_implILNS1_25lookback_scan_determinismE0ELb1ELb1ES3_N6thrust23THRUST_200600_302600_NS6detail15normal_iteratorINS9_10device_ptrIyEEEESE_y11max_functorIyEyEEDaPvRmT3_T4_T5_mT6_P12ihipStream_tbENKUlT_T0_E_clISt17integral_constantIbLb1EEST_IbLb0EEEEDaSP_SQ_EUlSP_E0_NS1_11comp_targetILNS1_3genE10ELNS1_11target_archE1201ELNS1_3gpuE5ELNS1_3repE0EEENS1_30default_config_static_selectorELNS0_4arch9wavefront6targetE1EEEvT1_,comdat
	.protected	_ZN7rocprim17ROCPRIM_400000_NS6detail17trampoline_kernelINS0_14default_configENS1_20scan_config_selectorIyEEZZNS1_9scan_implILNS1_25lookback_scan_determinismE0ELb1ELb1ES3_N6thrust23THRUST_200600_302600_NS6detail15normal_iteratorINS9_10device_ptrIyEEEESE_y11max_functorIyEyEEDaPvRmT3_T4_T5_mT6_P12ihipStream_tbENKUlT_T0_E_clISt17integral_constantIbLb1EEST_IbLb0EEEEDaSP_SQ_EUlSP_E0_NS1_11comp_targetILNS1_3genE10ELNS1_11target_archE1201ELNS1_3gpuE5ELNS1_3repE0EEENS1_30default_config_static_selectorELNS0_4arch9wavefront6targetE1EEEvT1_ ; -- Begin function _ZN7rocprim17ROCPRIM_400000_NS6detail17trampoline_kernelINS0_14default_configENS1_20scan_config_selectorIyEEZZNS1_9scan_implILNS1_25lookback_scan_determinismE0ELb1ELb1ES3_N6thrust23THRUST_200600_302600_NS6detail15normal_iteratorINS9_10device_ptrIyEEEESE_y11max_functorIyEyEEDaPvRmT3_T4_T5_mT6_P12ihipStream_tbENKUlT_T0_E_clISt17integral_constantIbLb1EEST_IbLb0EEEEDaSP_SQ_EUlSP_E0_NS1_11comp_targetILNS1_3genE10ELNS1_11target_archE1201ELNS1_3gpuE5ELNS1_3repE0EEENS1_30default_config_static_selectorELNS0_4arch9wavefront6targetE1EEEvT1_
	.globl	_ZN7rocprim17ROCPRIM_400000_NS6detail17trampoline_kernelINS0_14default_configENS1_20scan_config_selectorIyEEZZNS1_9scan_implILNS1_25lookback_scan_determinismE0ELb1ELb1ES3_N6thrust23THRUST_200600_302600_NS6detail15normal_iteratorINS9_10device_ptrIyEEEESE_y11max_functorIyEyEEDaPvRmT3_T4_T5_mT6_P12ihipStream_tbENKUlT_T0_E_clISt17integral_constantIbLb1EEST_IbLb0EEEEDaSP_SQ_EUlSP_E0_NS1_11comp_targetILNS1_3genE10ELNS1_11target_archE1201ELNS1_3gpuE5ELNS1_3repE0EEENS1_30default_config_static_selectorELNS0_4arch9wavefront6targetE1EEEvT1_
	.p2align	8
	.type	_ZN7rocprim17ROCPRIM_400000_NS6detail17trampoline_kernelINS0_14default_configENS1_20scan_config_selectorIyEEZZNS1_9scan_implILNS1_25lookback_scan_determinismE0ELb1ELb1ES3_N6thrust23THRUST_200600_302600_NS6detail15normal_iteratorINS9_10device_ptrIyEEEESE_y11max_functorIyEyEEDaPvRmT3_T4_T5_mT6_P12ihipStream_tbENKUlT_T0_E_clISt17integral_constantIbLb1EEST_IbLb0EEEEDaSP_SQ_EUlSP_E0_NS1_11comp_targetILNS1_3genE10ELNS1_11target_archE1201ELNS1_3gpuE5ELNS1_3repE0EEENS1_30default_config_static_selectorELNS0_4arch9wavefront6targetE1EEEvT1_,@function
_ZN7rocprim17ROCPRIM_400000_NS6detail17trampoline_kernelINS0_14default_configENS1_20scan_config_selectorIyEEZZNS1_9scan_implILNS1_25lookback_scan_determinismE0ELb1ELb1ES3_N6thrust23THRUST_200600_302600_NS6detail15normal_iteratorINS9_10device_ptrIyEEEESE_y11max_functorIyEyEEDaPvRmT3_T4_T5_mT6_P12ihipStream_tbENKUlT_T0_E_clISt17integral_constantIbLb1EEST_IbLb0EEEEDaSP_SQ_EUlSP_E0_NS1_11comp_targetILNS1_3genE10ELNS1_11target_archE1201ELNS1_3gpuE5ELNS1_3repE0EEENS1_30default_config_static_selectorELNS0_4arch9wavefront6targetE1EEEvT1_: ; @_ZN7rocprim17ROCPRIM_400000_NS6detail17trampoline_kernelINS0_14default_configENS1_20scan_config_selectorIyEEZZNS1_9scan_implILNS1_25lookback_scan_determinismE0ELb1ELb1ES3_N6thrust23THRUST_200600_302600_NS6detail15normal_iteratorINS9_10device_ptrIyEEEESE_y11max_functorIyEyEEDaPvRmT3_T4_T5_mT6_P12ihipStream_tbENKUlT_T0_E_clISt17integral_constantIbLb1EEST_IbLb0EEEEDaSP_SQ_EUlSP_E0_NS1_11comp_targetILNS1_3genE10ELNS1_11target_archE1201ELNS1_3gpuE5ELNS1_3repE0EEENS1_30default_config_static_selectorELNS0_4arch9wavefront6targetE1EEEvT1_
; %bb.0:
	.section	.rodata,"a",@progbits
	.p2align	6, 0x0
	.amdhsa_kernel _ZN7rocprim17ROCPRIM_400000_NS6detail17trampoline_kernelINS0_14default_configENS1_20scan_config_selectorIyEEZZNS1_9scan_implILNS1_25lookback_scan_determinismE0ELb1ELb1ES3_N6thrust23THRUST_200600_302600_NS6detail15normal_iteratorINS9_10device_ptrIyEEEESE_y11max_functorIyEyEEDaPvRmT3_T4_T5_mT6_P12ihipStream_tbENKUlT_T0_E_clISt17integral_constantIbLb1EEST_IbLb0EEEEDaSP_SQ_EUlSP_E0_NS1_11comp_targetILNS1_3genE10ELNS1_11target_archE1201ELNS1_3gpuE5ELNS1_3repE0EEENS1_30default_config_static_selectorELNS0_4arch9wavefront6targetE1EEEvT1_
		.amdhsa_group_segment_fixed_size 0
		.amdhsa_private_segment_fixed_size 0
		.amdhsa_kernarg_size 40
		.amdhsa_user_sgpr_count 6
		.amdhsa_user_sgpr_private_segment_buffer 1
		.amdhsa_user_sgpr_dispatch_ptr 0
		.amdhsa_user_sgpr_queue_ptr 0
		.amdhsa_user_sgpr_kernarg_segment_ptr 1
		.amdhsa_user_sgpr_dispatch_id 0
		.amdhsa_user_sgpr_flat_scratch_init 0
		.amdhsa_user_sgpr_kernarg_preload_length 0
		.amdhsa_user_sgpr_kernarg_preload_offset 0
		.amdhsa_user_sgpr_private_segment_size 0
		.amdhsa_uses_dynamic_stack 0
		.amdhsa_system_sgpr_private_segment_wavefront_offset 0
		.amdhsa_system_sgpr_workgroup_id_x 1
		.amdhsa_system_sgpr_workgroup_id_y 0
		.amdhsa_system_sgpr_workgroup_id_z 0
		.amdhsa_system_sgpr_workgroup_info 0
		.amdhsa_system_vgpr_workitem_id 0
		.amdhsa_next_free_vgpr 1
		.amdhsa_next_free_sgpr 0
		.amdhsa_accum_offset 4
		.amdhsa_reserve_vcc 0
		.amdhsa_reserve_flat_scratch 0
		.amdhsa_float_round_mode_32 0
		.amdhsa_float_round_mode_16_64 0
		.amdhsa_float_denorm_mode_32 3
		.amdhsa_float_denorm_mode_16_64 3
		.amdhsa_dx10_clamp 1
		.amdhsa_ieee_mode 1
		.amdhsa_fp16_overflow 0
		.amdhsa_tg_split 0
		.amdhsa_exception_fp_ieee_invalid_op 0
		.amdhsa_exception_fp_denorm_src 0
		.amdhsa_exception_fp_ieee_div_zero 0
		.amdhsa_exception_fp_ieee_overflow 0
		.amdhsa_exception_fp_ieee_underflow 0
		.amdhsa_exception_fp_ieee_inexact 0
		.amdhsa_exception_int_div_zero 0
	.end_amdhsa_kernel
	.section	.text._ZN7rocprim17ROCPRIM_400000_NS6detail17trampoline_kernelINS0_14default_configENS1_20scan_config_selectorIyEEZZNS1_9scan_implILNS1_25lookback_scan_determinismE0ELb1ELb1ES3_N6thrust23THRUST_200600_302600_NS6detail15normal_iteratorINS9_10device_ptrIyEEEESE_y11max_functorIyEyEEDaPvRmT3_T4_T5_mT6_P12ihipStream_tbENKUlT_T0_E_clISt17integral_constantIbLb1EEST_IbLb0EEEEDaSP_SQ_EUlSP_E0_NS1_11comp_targetILNS1_3genE10ELNS1_11target_archE1201ELNS1_3gpuE5ELNS1_3repE0EEENS1_30default_config_static_selectorELNS0_4arch9wavefront6targetE1EEEvT1_,"axG",@progbits,_ZN7rocprim17ROCPRIM_400000_NS6detail17trampoline_kernelINS0_14default_configENS1_20scan_config_selectorIyEEZZNS1_9scan_implILNS1_25lookback_scan_determinismE0ELb1ELb1ES3_N6thrust23THRUST_200600_302600_NS6detail15normal_iteratorINS9_10device_ptrIyEEEESE_y11max_functorIyEyEEDaPvRmT3_T4_T5_mT6_P12ihipStream_tbENKUlT_T0_E_clISt17integral_constantIbLb1EEST_IbLb0EEEEDaSP_SQ_EUlSP_E0_NS1_11comp_targetILNS1_3genE10ELNS1_11target_archE1201ELNS1_3gpuE5ELNS1_3repE0EEENS1_30default_config_static_selectorELNS0_4arch9wavefront6targetE1EEEvT1_,comdat
.Lfunc_end2222:
	.size	_ZN7rocprim17ROCPRIM_400000_NS6detail17trampoline_kernelINS0_14default_configENS1_20scan_config_selectorIyEEZZNS1_9scan_implILNS1_25lookback_scan_determinismE0ELb1ELb1ES3_N6thrust23THRUST_200600_302600_NS6detail15normal_iteratorINS9_10device_ptrIyEEEESE_y11max_functorIyEyEEDaPvRmT3_T4_T5_mT6_P12ihipStream_tbENKUlT_T0_E_clISt17integral_constantIbLb1EEST_IbLb0EEEEDaSP_SQ_EUlSP_E0_NS1_11comp_targetILNS1_3genE10ELNS1_11target_archE1201ELNS1_3gpuE5ELNS1_3repE0EEENS1_30default_config_static_selectorELNS0_4arch9wavefront6targetE1EEEvT1_, .Lfunc_end2222-_ZN7rocprim17ROCPRIM_400000_NS6detail17trampoline_kernelINS0_14default_configENS1_20scan_config_selectorIyEEZZNS1_9scan_implILNS1_25lookback_scan_determinismE0ELb1ELb1ES3_N6thrust23THRUST_200600_302600_NS6detail15normal_iteratorINS9_10device_ptrIyEEEESE_y11max_functorIyEyEEDaPvRmT3_T4_T5_mT6_P12ihipStream_tbENKUlT_T0_E_clISt17integral_constantIbLb1EEST_IbLb0EEEEDaSP_SQ_EUlSP_E0_NS1_11comp_targetILNS1_3genE10ELNS1_11target_archE1201ELNS1_3gpuE5ELNS1_3repE0EEENS1_30default_config_static_selectorELNS0_4arch9wavefront6targetE1EEEvT1_
                                        ; -- End function
	.section	.AMDGPU.csdata,"",@progbits
; Kernel info:
; codeLenInByte = 0
; NumSgprs: 4
; NumVgprs: 0
; NumAgprs: 0
; TotalNumVgprs: 0
; ScratchSize: 0
; MemoryBound: 0
; FloatMode: 240
; IeeeMode: 1
; LDSByteSize: 0 bytes/workgroup (compile time only)
; SGPRBlocks: 0
; VGPRBlocks: 0
; NumSGPRsForWavesPerEU: 4
; NumVGPRsForWavesPerEU: 1
; AccumOffset: 4
; Occupancy: 8
; WaveLimiterHint : 0
; COMPUTE_PGM_RSRC2:SCRATCH_EN: 0
; COMPUTE_PGM_RSRC2:USER_SGPR: 6
; COMPUTE_PGM_RSRC2:TRAP_HANDLER: 0
; COMPUTE_PGM_RSRC2:TGID_X_EN: 1
; COMPUTE_PGM_RSRC2:TGID_Y_EN: 0
; COMPUTE_PGM_RSRC2:TGID_Z_EN: 0
; COMPUTE_PGM_RSRC2:TIDIG_COMP_CNT: 0
; COMPUTE_PGM_RSRC3_GFX90A:ACCUM_OFFSET: 0
; COMPUTE_PGM_RSRC3_GFX90A:TG_SPLIT: 0
	.section	.text._ZN7rocprim17ROCPRIM_400000_NS6detail17trampoline_kernelINS0_14default_configENS1_20scan_config_selectorIyEEZZNS1_9scan_implILNS1_25lookback_scan_determinismE0ELb1ELb1ES3_N6thrust23THRUST_200600_302600_NS6detail15normal_iteratorINS9_10device_ptrIyEEEESE_y11max_functorIyEyEEDaPvRmT3_T4_T5_mT6_P12ihipStream_tbENKUlT_T0_E_clISt17integral_constantIbLb1EEST_IbLb0EEEEDaSP_SQ_EUlSP_E0_NS1_11comp_targetILNS1_3genE10ELNS1_11target_archE1200ELNS1_3gpuE4ELNS1_3repE0EEENS1_30default_config_static_selectorELNS0_4arch9wavefront6targetE1EEEvT1_,"axG",@progbits,_ZN7rocprim17ROCPRIM_400000_NS6detail17trampoline_kernelINS0_14default_configENS1_20scan_config_selectorIyEEZZNS1_9scan_implILNS1_25lookback_scan_determinismE0ELb1ELb1ES3_N6thrust23THRUST_200600_302600_NS6detail15normal_iteratorINS9_10device_ptrIyEEEESE_y11max_functorIyEyEEDaPvRmT3_T4_T5_mT6_P12ihipStream_tbENKUlT_T0_E_clISt17integral_constantIbLb1EEST_IbLb0EEEEDaSP_SQ_EUlSP_E0_NS1_11comp_targetILNS1_3genE10ELNS1_11target_archE1200ELNS1_3gpuE4ELNS1_3repE0EEENS1_30default_config_static_selectorELNS0_4arch9wavefront6targetE1EEEvT1_,comdat
	.protected	_ZN7rocprim17ROCPRIM_400000_NS6detail17trampoline_kernelINS0_14default_configENS1_20scan_config_selectorIyEEZZNS1_9scan_implILNS1_25lookback_scan_determinismE0ELb1ELb1ES3_N6thrust23THRUST_200600_302600_NS6detail15normal_iteratorINS9_10device_ptrIyEEEESE_y11max_functorIyEyEEDaPvRmT3_T4_T5_mT6_P12ihipStream_tbENKUlT_T0_E_clISt17integral_constantIbLb1EEST_IbLb0EEEEDaSP_SQ_EUlSP_E0_NS1_11comp_targetILNS1_3genE10ELNS1_11target_archE1200ELNS1_3gpuE4ELNS1_3repE0EEENS1_30default_config_static_selectorELNS0_4arch9wavefront6targetE1EEEvT1_ ; -- Begin function _ZN7rocprim17ROCPRIM_400000_NS6detail17trampoline_kernelINS0_14default_configENS1_20scan_config_selectorIyEEZZNS1_9scan_implILNS1_25lookback_scan_determinismE0ELb1ELb1ES3_N6thrust23THRUST_200600_302600_NS6detail15normal_iteratorINS9_10device_ptrIyEEEESE_y11max_functorIyEyEEDaPvRmT3_T4_T5_mT6_P12ihipStream_tbENKUlT_T0_E_clISt17integral_constantIbLb1EEST_IbLb0EEEEDaSP_SQ_EUlSP_E0_NS1_11comp_targetILNS1_3genE10ELNS1_11target_archE1200ELNS1_3gpuE4ELNS1_3repE0EEENS1_30default_config_static_selectorELNS0_4arch9wavefront6targetE1EEEvT1_
	.globl	_ZN7rocprim17ROCPRIM_400000_NS6detail17trampoline_kernelINS0_14default_configENS1_20scan_config_selectorIyEEZZNS1_9scan_implILNS1_25lookback_scan_determinismE0ELb1ELb1ES3_N6thrust23THRUST_200600_302600_NS6detail15normal_iteratorINS9_10device_ptrIyEEEESE_y11max_functorIyEyEEDaPvRmT3_T4_T5_mT6_P12ihipStream_tbENKUlT_T0_E_clISt17integral_constantIbLb1EEST_IbLb0EEEEDaSP_SQ_EUlSP_E0_NS1_11comp_targetILNS1_3genE10ELNS1_11target_archE1200ELNS1_3gpuE4ELNS1_3repE0EEENS1_30default_config_static_selectorELNS0_4arch9wavefront6targetE1EEEvT1_
	.p2align	8
	.type	_ZN7rocprim17ROCPRIM_400000_NS6detail17trampoline_kernelINS0_14default_configENS1_20scan_config_selectorIyEEZZNS1_9scan_implILNS1_25lookback_scan_determinismE0ELb1ELb1ES3_N6thrust23THRUST_200600_302600_NS6detail15normal_iteratorINS9_10device_ptrIyEEEESE_y11max_functorIyEyEEDaPvRmT3_T4_T5_mT6_P12ihipStream_tbENKUlT_T0_E_clISt17integral_constantIbLb1EEST_IbLb0EEEEDaSP_SQ_EUlSP_E0_NS1_11comp_targetILNS1_3genE10ELNS1_11target_archE1200ELNS1_3gpuE4ELNS1_3repE0EEENS1_30default_config_static_selectorELNS0_4arch9wavefront6targetE1EEEvT1_,@function
_ZN7rocprim17ROCPRIM_400000_NS6detail17trampoline_kernelINS0_14default_configENS1_20scan_config_selectorIyEEZZNS1_9scan_implILNS1_25lookback_scan_determinismE0ELb1ELb1ES3_N6thrust23THRUST_200600_302600_NS6detail15normal_iteratorINS9_10device_ptrIyEEEESE_y11max_functorIyEyEEDaPvRmT3_T4_T5_mT6_P12ihipStream_tbENKUlT_T0_E_clISt17integral_constantIbLb1EEST_IbLb0EEEEDaSP_SQ_EUlSP_E0_NS1_11comp_targetILNS1_3genE10ELNS1_11target_archE1200ELNS1_3gpuE4ELNS1_3repE0EEENS1_30default_config_static_selectorELNS0_4arch9wavefront6targetE1EEEvT1_: ; @_ZN7rocprim17ROCPRIM_400000_NS6detail17trampoline_kernelINS0_14default_configENS1_20scan_config_selectorIyEEZZNS1_9scan_implILNS1_25lookback_scan_determinismE0ELb1ELb1ES3_N6thrust23THRUST_200600_302600_NS6detail15normal_iteratorINS9_10device_ptrIyEEEESE_y11max_functorIyEyEEDaPvRmT3_T4_T5_mT6_P12ihipStream_tbENKUlT_T0_E_clISt17integral_constantIbLb1EEST_IbLb0EEEEDaSP_SQ_EUlSP_E0_NS1_11comp_targetILNS1_3genE10ELNS1_11target_archE1200ELNS1_3gpuE4ELNS1_3repE0EEENS1_30default_config_static_selectorELNS0_4arch9wavefront6targetE1EEEvT1_
; %bb.0:
	.section	.rodata,"a",@progbits
	.p2align	6, 0x0
	.amdhsa_kernel _ZN7rocprim17ROCPRIM_400000_NS6detail17trampoline_kernelINS0_14default_configENS1_20scan_config_selectorIyEEZZNS1_9scan_implILNS1_25lookback_scan_determinismE0ELb1ELb1ES3_N6thrust23THRUST_200600_302600_NS6detail15normal_iteratorINS9_10device_ptrIyEEEESE_y11max_functorIyEyEEDaPvRmT3_T4_T5_mT6_P12ihipStream_tbENKUlT_T0_E_clISt17integral_constantIbLb1EEST_IbLb0EEEEDaSP_SQ_EUlSP_E0_NS1_11comp_targetILNS1_3genE10ELNS1_11target_archE1200ELNS1_3gpuE4ELNS1_3repE0EEENS1_30default_config_static_selectorELNS0_4arch9wavefront6targetE1EEEvT1_
		.amdhsa_group_segment_fixed_size 0
		.amdhsa_private_segment_fixed_size 0
		.amdhsa_kernarg_size 40
		.amdhsa_user_sgpr_count 6
		.amdhsa_user_sgpr_private_segment_buffer 1
		.amdhsa_user_sgpr_dispatch_ptr 0
		.amdhsa_user_sgpr_queue_ptr 0
		.amdhsa_user_sgpr_kernarg_segment_ptr 1
		.amdhsa_user_sgpr_dispatch_id 0
		.amdhsa_user_sgpr_flat_scratch_init 0
		.amdhsa_user_sgpr_kernarg_preload_length 0
		.amdhsa_user_sgpr_kernarg_preload_offset 0
		.amdhsa_user_sgpr_private_segment_size 0
		.amdhsa_uses_dynamic_stack 0
		.amdhsa_system_sgpr_private_segment_wavefront_offset 0
		.amdhsa_system_sgpr_workgroup_id_x 1
		.amdhsa_system_sgpr_workgroup_id_y 0
		.amdhsa_system_sgpr_workgroup_id_z 0
		.amdhsa_system_sgpr_workgroup_info 0
		.amdhsa_system_vgpr_workitem_id 0
		.amdhsa_next_free_vgpr 1
		.amdhsa_next_free_sgpr 0
		.amdhsa_accum_offset 4
		.amdhsa_reserve_vcc 0
		.amdhsa_reserve_flat_scratch 0
		.amdhsa_float_round_mode_32 0
		.amdhsa_float_round_mode_16_64 0
		.amdhsa_float_denorm_mode_32 3
		.amdhsa_float_denorm_mode_16_64 3
		.amdhsa_dx10_clamp 1
		.amdhsa_ieee_mode 1
		.amdhsa_fp16_overflow 0
		.amdhsa_tg_split 0
		.amdhsa_exception_fp_ieee_invalid_op 0
		.amdhsa_exception_fp_denorm_src 0
		.amdhsa_exception_fp_ieee_div_zero 0
		.amdhsa_exception_fp_ieee_overflow 0
		.amdhsa_exception_fp_ieee_underflow 0
		.amdhsa_exception_fp_ieee_inexact 0
		.amdhsa_exception_int_div_zero 0
	.end_amdhsa_kernel
	.section	.text._ZN7rocprim17ROCPRIM_400000_NS6detail17trampoline_kernelINS0_14default_configENS1_20scan_config_selectorIyEEZZNS1_9scan_implILNS1_25lookback_scan_determinismE0ELb1ELb1ES3_N6thrust23THRUST_200600_302600_NS6detail15normal_iteratorINS9_10device_ptrIyEEEESE_y11max_functorIyEyEEDaPvRmT3_T4_T5_mT6_P12ihipStream_tbENKUlT_T0_E_clISt17integral_constantIbLb1EEST_IbLb0EEEEDaSP_SQ_EUlSP_E0_NS1_11comp_targetILNS1_3genE10ELNS1_11target_archE1200ELNS1_3gpuE4ELNS1_3repE0EEENS1_30default_config_static_selectorELNS0_4arch9wavefront6targetE1EEEvT1_,"axG",@progbits,_ZN7rocprim17ROCPRIM_400000_NS6detail17trampoline_kernelINS0_14default_configENS1_20scan_config_selectorIyEEZZNS1_9scan_implILNS1_25lookback_scan_determinismE0ELb1ELb1ES3_N6thrust23THRUST_200600_302600_NS6detail15normal_iteratorINS9_10device_ptrIyEEEESE_y11max_functorIyEyEEDaPvRmT3_T4_T5_mT6_P12ihipStream_tbENKUlT_T0_E_clISt17integral_constantIbLb1EEST_IbLb0EEEEDaSP_SQ_EUlSP_E0_NS1_11comp_targetILNS1_3genE10ELNS1_11target_archE1200ELNS1_3gpuE4ELNS1_3repE0EEENS1_30default_config_static_selectorELNS0_4arch9wavefront6targetE1EEEvT1_,comdat
.Lfunc_end2223:
	.size	_ZN7rocprim17ROCPRIM_400000_NS6detail17trampoline_kernelINS0_14default_configENS1_20scan_config_selectorIyEEZZNS1_9scan_implILNS1_25lookback_scan_determinismE0ELb1ELb1ES3_N6thrust23THRUST_200600_302600_NS6detail15normal_iteratorINS9_10device_ptrIyEEEESE_y11max_functorIyEyEEDaPvRmT3_T4_T5_mT6_P12ihipStream_tbENKUlT_T0_E_clISt17integral_constantIbLb1EEST_IbLb0EEEEDaSP_SQ_EUlSP_E0_NS1_11comp_targetILNS1_3genE10ELNS1_11target_archE1200ELNS1_3gpuE4ELNS1_3repE0EEENS1_30default_config_static_selectorELNS0_4arch9wavefront6targetE1EEEvT1_, .Lfunc_end2223-_ZN7rocprim17ROCPRIM_400000_NS6detail17trampoline_kernelINS0_14default_configENS1_20scan_config_selectorIyEEZZNS1_9scan_implILNS1_25lookback_scan_determinismE0ELb1ELb1ES3_N6thrust23THRUST_200600_302600_NS6detail15normal_iteratorINS9_10device_ptrIyEEEESE_y11max_functorIyEyEEDaPvRmT3_T4_T5_mT6_P12ihipStream_tbENKUlT_T0_E_clISt17integral_constantIbLb1EEST_IbLb0EEEEDaSP_SQ_EUlSP_E0_NS1_11comp_targetILNS1_3genE10ELNS1_11target_archE1200ELNS1_3gpuE4ELNS1_3repE0EEENS1_30default_config_static_selectorELNS0_4arch9wavefront6targetE1EEEvT1_
                                        ; -- End function
	.section	.AMDGPU.csdata,"",@progbits
; Kernel info:
; codeLenInByte = 0
; NumSgprs: 4
; NumVgprs: 0
; NumAgprs: 0
; TotalNumVgprs: 0
; ScratchSize: 0
; MemoryBound: 0
; FloatMode: 240
; IeeeMode: 1
; LDSByteSize: 0 bytes/workgroup (compile time only)
; SGPRBlocks: 0
; VGPRBlocks: 0
; NumSGPRsForWavesPerEU: 4
; NumVGPRsForWavesPerEU: 1
; AccumOffset: 4
; Occupancy: 8
; WaveLimiterHint : 0
; COMPUTE_PGM_RSRC2:SCRATCH_EN: 0
; COMPUTE_PGM_RSRC2:USER_SGPR: 6
; COMPUTE_PGM_RSRC2:TRAP_HANDLER: 0
; COMPUTE_PGM_RSRC2:TGID_X_EN: 1
; COMPUTE_PGM_RSRC2:TGID_Y_EN: 0
; COMPUTE_PGM_RSRC2:TGID_Z_EN: 0
; COMPUTE_PGM_RSRC2:TIDIG_COMP_CNT: 0
; COMPUTE_PGM_RSRC3_GFX90A:ACCUM_OFFSET: 0
; COMPUTE_PGM_RSRC3_GFX90A:TG_SPLIT: 0
	.section	.text._ZN7rocprim17ROCPRIM_400000_NS6detail17trampoline_kernelINS0_14default_configENS1_20scan_config_selectorIyEEZZNS1_9scan_implILNS1_25lookback_scan_determinismE0ELb1ELb1ES3_N6thrust23THRUST_200600_302600_NS6detail15normal_iteratorINS9_10device_ptrIyEEEESE_y11max_functorIyEyEEDaPvRmT3_T4_T5_mT6_P12ihipStream_tbENKUlT_T0_E_clISt17integral_constantIbLb1EEST_IbLb0EEEEDaSP_SQ_EUlSP_E0_NS1_11comp_targetILNS1_3genE9ELNS1_11target_archE1100ELNS1_3gpuE3ELNS1_3repE0EEENS1_30default_config_static_selectorELNS0_4arch9wavefront6targetE1EEEvT1_,"axG",@progbits,_ZN7rocprim17ROCPRIM_400000_NS6detail17trampoline_kernelINS0_14default_configENS1_20scan_config_selectorIyEEZZNS1_9scan_implILNS1_25lookback_scan_determinismE0ELb1ELb1ES3_N6thrust23THRUST_200600_302600_NS6detail15normal_iteratorINS9_10device_ptrIyEEEESE_y11max_functorIyEyEEDaPvRmT3_T4_T5_mT6_P12ihipStream_tbENKUlT_T0_E_clISt17integral_constantIbLb1EEST_IbLb0EEEEDaSP_SQ_EUlSP_E0_NS1_11comp_targetILNS1_3genE9ELNS1_11target_archE1100ELNS1_3gpuE3ELNS1_3repE0EEENS1_30default_config_static_selectorELNS0_4arch9wavefront6targetE1EEEvT1_,comdat
	.protected	_ZN7rocprim17ROCPRIM_400000_NS6detail17trampoline_kernelINS0_14default_configENS1_20scan_config_selectorIyEEZZNS1_9scan_implILNS1_25lookback_scan_determinismE0ELb1ELb1ES3_N6thrust23THRUST_200600_302600_NS6detail15normal_iteratorINS9_10device_ptrIyEEEESE_y11max_functorIyEyEEDaPvRmT3_T4_T5_mT6_P12ihipStream_tbENKUlT_T0_E_clISt17integral_constantIbLb1EEST_IbLb0EEEEDaSP_SQ_EUlSP_E0_NS1_11comp_targetILNS1_3genE9ELNS1_11target_archE1100ELNS1_3gpuE3ELNS1_3repE0EEENS1_30default_config_static_selectorELNS0_4arch9wavefront6targetE1EEEvT1_ ; -- Begin function _ZN7rocprim17ROCPRIM_400000_NS6detail17trampoline_kernelINS0_14default_configENS1_20scan_config_selectorIyEEZZNS1_9scan_implILNS1_25lookback_scan_determinismE0ELb1ELb1ES3_N6thrust23THRUST_200600_302600_NS6detail15normal_iteratorINS9_10device_ptrIyEEEESE_y11max_functorIyEyEEDaPvRmT3_T4_T5_mT6_P12ihipStream_tbENKUlT_T0_E_clISt17integral_constantIbLb1EEST_IbLb0EEEEDaSP_SQ_EUlSP_E0_NS1_11comp_targetILNS1_3genE9ELNS1_11target_archE1100ELNS1_3gpuE3ELNS1_3repE0EEENS1_30default_config_static_selectorELNS0_4arch9wavefront6targetE1EEEvT1_
	.globl	_ZN7rocprim17ROCPRIM_400000_NS6detail17trampoline_kernelINS0_14default_configENS1_20scan_config_selectorIyEEZZNS1_9scan_implILNS1_25lookback_scan_determinismE0ELb1ELb1ES3_N6thrust23THRUST_200600_302600_NS6detail15normal_iteratorINS9_10device_ptrIyEEEESE_y11max_functorIyEyEEDaPvRmT3_T4_T5_mT6_P12ihipStream_tbENKUlT_T0_E_clISt17integral_constantIbLb1EEST_IbLb0EEEEDaSP_SQ_EUlSP_E0_NS1_11comp_targetILNS1_3genE9ELNS1_11target_archE1100ELNS1_3gpuE3ELNS1_3repE0EEENS1_30default_config_static_selectorELNS0_4arch9wavefront6targetE1EEEvT1_
	.p2align	8
	.type	_ZN7rocprim17ROCPRIM_400000_NS6detail17trampoline_kernelINS0_14default_configENS1_20scan_config_selectorIyEEZZNS1_9scan_implILNS1_25lookback_scan_determinismE0ELb1ELb1ES3_N6thrust23THRUST_200600_302600_NS6detail15normal_iteratorINS9_10device_ptrIyEEEESE_y11max_functorIyEyEEDaPvRmT3_T4_T5_mT6_P12ihipStream_tbENKUlT_T0_E_clISt17integral_constantIbLb1EEST_IbLb0EEEEDaSP_SQ_EUlSP_E0_NS1_11comp_targetILNS1_3genE9ELNS1_11target_archE1100ELNS1_3gpuE3ELNS1_3repE0EEENS1_30default_config_static_selectorELNS0_4arch9wavefront6targetE1EEEvT1_,@function
_ZN7rocprim17ROCPRIM_400000_NS6detail17trampoline_kernelINS0_14default_configENS1_20scan_config_selectorIyEEZZNS1_9scan_implILNS1_25lookback_scan_determinismE0ELb1ELb1ES3_N6thrust23THRUST_200600_302600_NS6detail15normal_iteratorINS9_10device_ptrIyEEEESE_y11max_functorIyEyEEDaPvRmT3_T4_T5_mT6_P12ihipStream_tbENKUlT_T0_E_clISt17integral_constantIbLb1EEST_IbLb0EEEEDaSP_SQ_EUlSP_E0_NS1_11comp_targetILNS1_3genE9ELNS1_11target_archE1100ELNS1_3gpuE3ELNS1_3repE0EEENS1_30default_config_static_selectorELNS0_4arch9wavefront6targetE1EEEvT1_: ; @_ZN7rocprim17ROCPRIM_400000_NS6detail17trampoline_kernelINS0_14default_configENS1_20scan_config_selectorIyEEZZNS1_9scan_implILNS1_25lookback_scan_determinismE0ELb1ELb1ES3_N6thrust23THRUST_200600_302600_NS6detail15normal_iteratorINS9_10device_ptrIyEEEESE_y11max_functorIyEyEEDaPvRmT3_T4_T5_mT6_P12ihipStream_tbENKUlT_T0_E_clISt17integral_constantIbLb1EEST_IbLb0EEEEDaSP_SQ_EUlSP_E0_NS1_11comp_targetILNS1_3genE9ELNS1_11target_archE1100ELNS1_3gpuE3ELNS1_3repE0EEENS1_30default_config_static_selectorELNS0_4arch9wavefront6targetE1EEEvT1_
; %bb.0:
	.section	.rodata,"a",@progbits
	.p2align	6, 0x0
	.amdhsa_kernel _ZN7rocprim17ROCPRIM_400000_NS6detail17trampoline_kernelINS0_14default_configENS1_20scan_config_selectorIyEEZZNS1_9scan_implILNS1_25lookback_scan_determinismE0ELb1ELb1ES3_N6thrust23THRUST_200600_302600_NS6detail15normal_iteratorINS9_10device_ptrIyEEEESE_y11max_functorIyEyEEDaPvRmT3_T4_T5_mT6_P12ihipStream_tbENKUlT_T0_E_clISt17integral_constantIbLb1EEST_IbLb0EEEEDaSP_SQ_EUlSP_E0_NS1_11comp_targetILNS1_3genE9ELNS1_11target_archE1100ELNS1_3gpuE3ELNS1_3repE0EEENS1_30default_config_static_selectorELNS0_4arch9wavefront6targetE1EEEvT1_
		.amdhsa_group_segment_fixed_size 0
		.amdhsa_private_segment_fixed_size 0
		.amdhsa_kernarg_size 40
		.amdhsa_user_sgpr_count 6
		.amdhsa_user_sgpr_private_segment_buffer 1
		.amdhsa_user_sgpr_dispatch_ptr 0
		.amdhsa_user_sgpr_queue_ptr 0
		.amdhsa_user_sgpr_kernarg_segment_ptr 1
		.amdhsa_user_sgpr_dispatch_id 0
		.amdhsa_user_sgpr_flat_scratch_init 0
		.amdhsa_user_sgpr_kernarg_preload_length 0
		.amdhsa_user_sgpr_kernarg_preload_offset 0
		.amdhsa_user_sgpr_private_segment_size 0
		.amdhsa_uses_dynamic_stack 0
		.amdhsa_system_sgpr_private_segment_wavefront_offset 0
		.amdhsa_system_sgpr_workgroup_id_x 1
		.amdhsa_system_sgpr_workgroup_id_y 0
		.amdhsa_system_sgpr_workgroup_id_z 0
		.amdhsa_system_sgpr_workgroup_info 0
		.amdhsa_system_vgpr_workitem_id 0
		.amdhsa_next_free_vgpr 1
		.amdhsa_next_free_sgpr 0
		.amdhsa_accum_offset 4
		.amdhsa_reserve_vcc 0
		.amdhsa_reserve_flat_scratch 0
		.amdhsa_float_round_mode_32 0
		.amdhsa_float_round_mode_16_64 0
		.amdhsa_float_denorm_mode_32 3
		.amdhsa_float_denorm_mode_16_64 3
		.amdhsa_dx10_clamp 1
		.amdhsa_ieee_mode 1
		.amdhsa_fp16_overflow 0
		.amdhsa_tg_split 0
		.amdhsa_exception_fp_ieee_invalid_op 0
		.amdhsa_exception_fp_denorm_src 0
		.amdhsa_exception_fp_ieee_div_zero 0
		.amdhsa_exception_fp_ieee_overflow 0
		.amdhsa_exception_fp_ieee_underflow 0
		.amdhsa_exception_fp_ieee_inexact 0
		.amdhsa_exception_int_div_zero 0
	.end_amdhsa_kernel
	.section	.text._ZN7rocprim17ROCPRIM_400000_NS6detail17trampoline_kernelINS0_14default_configENS1_20scan_config_selectorIyEEZZNS1_9scan_implILNS1_25lookback_scan_determinismE0ELb1ELb1ES3_N6thrust23THRUST_200600_302600_NS6detail15normal_iteratorINS9_10device_ptrIyEEEESE_y11max_functorIyEyEEDaPvRmT3_T4_T5_mT6_P12ihipStream_tbENKUlT_T0_E_clISt17integral_constantIbLb1EEST_IbLb0EEEEDaSP_SQ_EUlSP_E0_NS1_11comp_targetILNS1_3genE9ELNS1_11target_archE1100ELNS1_3gpuE3ELNS1_3repE0EEENS1_30default_config_static_selectorELNS0_4arch9wavefront6targetE1EEEvT1_,"axG",@progbits,_ZN7rocprim17ROCPRIM_400000_NS6detail17trampoline_kernelINS0_14default_configENS1_20scan_config_selectorIyEEZZNS1_9scan_implILNS1_25lookback_scan_determinismE0ELb1ELb1ES3_N6thrust23THRUST_200600_302600_NS6detail15normal_iteratorINS9_10device_ptrIyEEEESE_y11max_functorIyEyEEDaPvRmT3_T4_T5_mT6_P12ihipStream_tbENKUlT_T0_E_clISt17integral_constantIbLb1EEST_IbLb0EEEEDaSP_SQ_EUlSP_E0_NS1_11comp_targetILNS1_3genE9ELNS1_11target_archE1100ELNS1_3gpuE3ELNS1_3repE0EEENS1_30default_config_static_selectorELNS0_4arch9wavefront6targetE1EEEvT1_,comdat
.Lfunc_end2224:
	.size	_ZN7rocprim17ROCPRIM_400000_NS6detail17trampoline_kernelINS0_14default_configENS1_20scan_config_selectorIyEEZZNS1_9scan_implILNS1_25lookback_scan_determinismE0ELb1ELb1ES3_N6thrust23THRUST_200600_302600_NS6detail15normal_iteratorINS9_10device_ptrIyEEEESE_y11max_functorIyEyEEDaPvRmT3_T4_T5_mT6_P12ihipStream_tbENKUlT_T0_E_clISt17integral_constantIbLb1EEST_IbLb0EEEEDaSP_SQ_EUlSP_E0_NS1_11comp_targetILNS1_3genE9ELNS1_11target_archE1100ELNS1_3gpuE3ELNS1_3repE0EEENS1_30default_config_static_selectorELNS0_4arch9wavefront6targetE1EEEvT1_, .Lfunc_end2224-_ZN7rocprim17ROCPRIM_400000_NS6detail17trampoline_kernelINS0_14default_configENS1_20scan_config_selectorIyEEZZNS1_9scan_implILNS1_25lookback_scan_determinismE0ELb1ELb1ES3_N6thrust23THRUST_200600_302600_NS6detail15normal_iteratorINS9_10device_ptrIyEEEESE_y11max_functorIyEyEEDaPvRmT3_T4_T5_mT6_P12ihipStream_tbENKUlT_T0_E_clISt17integral_constantIbLb1EEST_IbLb0EEEEDaSP_SQ_EUlSP_E0_NS1_11comp_targetILNS1_3genE9ELNS1_11target_archE1100ELNS1_3gpuE3ELNS1_3repE0EEENS1_30default_config_static_selectorELNS0_4arch9wavefront6targetE1EEEvT1_
                                        ; -- End function
	.section	.AMDGPU.csdata,"",@progbits
; Kernel info:
; codeLenInByte = 0
; NumSgprs: 4
; NumVgprs: 0
; NumAgprs: 0
; TotalNumVgprs: 0
; ScratchSize: 0
; MemoryBound: 0
; FloatMode: 240
; IeeeMode: 1
; LDSByteSize: 0 bytes/workgroup (compile time only)
; SGPRBlocks: 0
; VGPRBlocks: 0
; NumSGPRsForWavesPerEU: 4
; NumVGPRsForWavesPerEU: 1
; AccumOffset: 4
; Occupancy: 8
; WaveLimiterHint : 0
; COMPUTE_PGM_RSRC2:SCRATCH_EN: 0
; COMPUTE_PGM_RSRC2:USER_SGPR: 6
; COMPUTE_PGM_RSRC2:TRAP_HANDLER: 0
; COMPUTE_PGM_RSRC2:TGID_X_EN: 1
; COMPUTE_PGM_RSRC2:TGID_Y_EN: 0
; COMPUTE_PGM_RSRC2:TGID_Z_EN: 0
; COMPUTE_PGM_RSRC2:TIDIG_COMP_CNT: 0
; COMPUTE_PGM_RSRC3_GFX90A:ACCUM_OFFSET: 0
; COMPUTE_PGM_RSRC3_GFX90A:TG_SPLIT: 0
	.section	.text._ZN7rocprim17ROCPRIM_400000_NS6detail17trampoline_kernelINS0_14default_configENS1_20scan_config_selectorIyEEZZNS1_9scan_implILNS1_25lookback_scan_determinismE0ELb1ELb1ES3_N6thrust23THRUST_200600_302600_NS6detail15normal_iteratorINS9_10device_ptrIyEEEESE_y11max_functorIyEyEEDaPvRmT3_T4_T5_mT6_P12ihipStream_tbENKUlT_T0_E_clISt17integral_constantIbLb1EEST_IbLb0EEEEDaSP_SQ_EUlSP_E0_NS1_11comp_targetILNS1_3genE8ELNS1_11target_archE1030ELNS1_3gpuE2ELNS1_3repE0EEENS1_30default_config_static_selectorELNS0_4arch9wavefront6targetE1EEEvT1_,"axG",@progbits,_ZN7rocprim17ROCPRIM_400000_NS6detail17trampoline_kernelINS0_14default_configENS1_20scan_config_selectorIyEEZZNS1_9scan_implILNS1_25lookback_scan_determinismE0ELb1ELb1ES3_N6thrust23THRUST_200600_302600_NS6detail15normal_iteratorINS9_10device_ptrIyEEEESE_y11max_functorIyEyEEDaPvRmT3_T4_T5_mT6_P12ihipStream_tbENKUlT_T0_E_clISt17integral_constantIbLb1EEST_IbLb0EEEEDaSP_SQ_EUlSP_E0_NS1_11comp_targetILNS1_3genE8ELNS1_11target_archE1030ELNS1_3gpuE2ELNS1_3repE0EEENS1_30default_config_static_selectorELNS0_4arch9wavefront6targetE1EEEvT1_,comdat
	.protected	_ZN7rocprim17ROCPRIM_400000_NS6detail17trampoline_kernelINS0_14default_configENS1_20scan_config_selectorIyEEZZNS1_9scan_implILNS1_25lookback_scan_determinismE0ELb1ELb1ES3_N6thrust23THRUST_200600_302600_NS6detail15normal_iteratorINS9_10device_ptrIyEEEESE_y11max_functorIyEyEEDaPvRmT3_T4_T5_mT6_P12ihipStream_tbENKUlT_T0_E_clISt17integral_constantIbLb1EEST_IbLb0EEEEDaSP_SQ_EUlSP_E0_NS1_11comp_targetILNS1_3genE8ELNS1_11target_archE1030ELNS1_3gpuE2ELNS1_3repE0EEENS1_30default_config_static_selectorELNS0_4arch9wavefront6targetE1EEEvT1_ ; -- Begin function _ZN7rocprim17ROCPRIM_400000_NS6detail17trampoline_kernelINS0_14default_configENS1_20scan_config_selectorIyEEZZNS1_9scan_implILNS1_25lookback_scan_determinismE0ELb1ELb1ES3_N6thrust23THRUST_200600_302600_NS6detail15normal_iteratorINS9_10device_ptrIyEEEESE_y11max_functorIyEyEEDaPvRmT3_T4_T5_mT6_P12ihipStream_tbENKUlT_T0_E_clISt17integral_constantIbLb1EEST_IbLb0EEEEDaSP_SQ_EUlSP_E0_NS1_11comp_targetILNS1_3genE8ELNS1_11target_archE1030ELNS1_3gpuE2ELNS1_3repE0EEENS1_30default_config_static_selectorELNS0_4arch9wavefront6targetE1EEEvT1_
	.globl	_ZN7rocprim17ROCPRIM_400000_NS6detail17trampoline_kernelINS0_14default_configENS1_20scan_config_selectorIyEEZZNS1_9scan_implILNS1_25lookback_scan_determinismE0ELb1ELb1ES3_N6thrust23THRUST_200600_302600_NS6detail15normal_iteratorINS9_10device_ptrIyEEEESE_y11max_functorIyEyEEDaPvRmT3_T4_T5_mT6_P12ihipStream_tbENKUlT_T0_E_clISt17integral_constantIbLb1EEST_IbLb0EEEEDaSP_SQ_EUlSP_E0_NS1_11comp_targetILNS1_3genE8ELNS1_11target_archE1030ELNS1_3gpuE2ELNS1_3repE0EEENS1_30default_config_static_selectorELNS0_4arch9wavefront6targetE1EEEvT1_
	.p2align	8
	.type	_ZN7rocprim17ROCPRIM_400000_NS6detail17trampoline_kernelINS0_14default_configENS1_20scan_config_selectorIyEEZZNS1_9scan_implILNS1_25lookback_scan_determinismE0ELb1ELb1ES3_N6thrust23THRUST_200600_302600_NS6detail15normal_iteratorINS9_10device_ptrIyEEEESE_y11max_functorIyEyEEDaPvRmT3_T4_T5_mT6_P12ihipStream_tbENKUlT_T0_E_clISt17integral_constantIbLb1EEST_IbLb0EEEEDaSP_SQ_EUlSP_E0_NS1_11comp_targetILNS1_3genE8ELNS1_11target_archE1030ELNS1_3gpuE2ELNS1_3repE0EEENS1_30default_config_static_selectorELNS0_4arch9wavefront6targetE1EEEvT1_,@function
_ZN7rocprim17ROCPRIM_400000_NS6detail17trampoline_kernelINS0_14default_configENS1_20scan_config_selectorIyEEZZNS1_9scan_implILNS1_25lookback_scan_determinismE0ELb1ELb1ES3_N6thrust23THRUST_200600_302600_NS6detail15normal_iteratorINS9_10device_ptrIyEEEESE_y11max_functorIyEyEEDaPvRmT3_T4_T5_mT6_P12ihipStream_tbENKUlT_T0_E_clISt17integral_constantIbLb1EEST_IbLb0EEEEDaSP_SQ_EUlSP_E0_NS1_11comp_targetILNS1_3genE8ELNS1_11target_archE1030ELNS1_3gpuE2ELNS1_3repE0EEENS1_30default_config_static_selectorELNS0_4arch9wavefront6targetE1EEEvT1_: ; @_ZN7rocprim17ROCPRIM_400000_NS6detail17trampoline_kernelINS0_14default_configENS1_20scan_config_selectorIyEEZZNS1_9scan_implILNS1_25lookback_scan_determinismE0ELb1ELb1ES3_N6thrust23THRUST_200600_302600_NS6detail15normal_iteratorINS9_10device_ptrIyEEEESE_y11max_functorIyEyEEDaPvRmT3_T4_T5_mT6_P12ihipStream_tbENKUlT_T0_E_clISt17integral_constantIbLb1EEST_IbLb0EEEEDaSP_SQ_EUlSP_E0_NS1_11comp_targetILNS1_3genE8ELNS1_11target_archE1030ELNS1_3gpuE2ELNS1_3repE0EEENS1_30default_config_static_selectorELNS0_4arch9wavefront6targetE1EEEvT1_
; %bb.0:
	.section	.rodata,"a",@progbits
	.p2align	6, 0x0
	.amdhsa_kernel _ZN7rocprim17ROCPRIM_400000_NS6detail17trampoline_kernelINS0_14default_configENS1_20scan_config_selectorIyEEZZNS1_9scan_implILNS1_25lookback_scan_determinismE0ELb1ELb1ES3_N6thrust23THRUST_200600_302600_NS6detail15normal_iteratorINS9_10device_ptrIyEEEESE_y11max_functorIyEyEEDaPvRmT3_T4_T5_mT6_P12ihipStream_tbENKUlT_T0_E_clISt17integral_constantIbLb1EEST_IbLb0EEEEDaSP_SQ_EUlSP_E0_NS1_11comp_targetILNS1_3genE8ELNS1_11target_archE1030ELNS1_3gpuE2ELNS1_3repE0EEENS1_30default_config_static_selectorELNS0_4arch9wavefront6targetE1EEEvT1_
		.amdhsa_group_segment_fixed_size 0
		.amdhsa_private_segment_fixed_size 0
		.amdhsa_kernarg_size 40
		.amdhsa_user_sgpr_count 6
		.amdhsa_user_sgpr_private_segment_buffer 1
		.amdhsa_user_sgpr_dispatch_ptr 0
		.amdhsa_user_sgpr_queue_ptr 0
		.amdhsa_user_sgpr_kernarg_segment_ptr 1
		.amdhsa_user_sgpr_dispatch_id 0
		.amdhsa_user_sgpr_flat_scratch_init 0
		.amdhsa_user_sgpr_kernarg_preload_length 0
		.amdhsa_user_sgpr_kernarg_preload_offset 0
		.amdhsa_user_sgpr_private_segment_size 0
		.amdhsa_uses_dynamic_stack 0
		.amdhsa_system_sgpr_private_segment_wavefront_offset 0
		.amdhsa_system_sgpr_workgroup_id_x 1
		.amdhsa_system_sgpr_workgroup_id_y 0
		.amdhsa_system_sgpr_workgroup_id_z 0
		.amdhsa_system_sgpr_workgroup_info 0
		.amdhsa_system_vgpr_workitem_id 0
		.amdhsa_next_free_vgpr 1
		.amdhsa_next_free_sgpr 0
		.amdhsa_accum_offset 4
		.amdhsa_reserve_vcc 0
		.amdhsa_reserve_flat_scratch 0
		.amdhsa_float_round_mode_32 0
		.amdhsa_float_round_mode_16_64 0
		.amdhsa_float_denorm_mode_32 3
		.amdhsa_float_denorm_mode_16_64 3
		.amdhsa_dx10_clamp 1
		.amdhsa_ieee_mode 1
		.amdhsa_fp16_overflow 0
		.amdhsa_tg_split 0
		.amdhsa_exception_fp_ieee_invalid_op 0
		.amdhsa_exception_fp_denorm_src 0
		.amdhsa_exception_fp_ieee_div_zero 0
		.amdhsa_exception_fp_ieee_overflow 0
		.amdhsa_exception_fp_ieee_underflow 0
		.amdhsa_exception_fp_ieee_inexact 0
		.amdhsa_exception_int_div_zero 0
	.end_amdhsa_kernel
	.section	.text._ZN7rocprim17ROCPRIM_400000_NS6detail17trampoline_kernelINS0_14default_configENS1_20scan_config_selectorIyEEZZNS1_9scan_implILNS1_25lookback_scan_determinismE0ELb1ELb1ES3_N6thrust23THRUST_200600_302600_NS6detail15normal_iteratorINS9_10device_ptrIyEEEESE_y11max_functorIyEyEEDaPvRmT3_T4_T5_mT6_P12ihipStream_tbENKUlT_T0_E_clISt17integral_constantIbLb1EEST_IbLb0EEEEDaSP_SQ_EUlSP_E0_NS1_11comp_targetILNS1_3genE8ELNS1_11target_archE1030ELNS1_3gpuE2ELNS1_3repE0EEENS1_30default_config_static_selectorELNS0_4arch9wavefront6targetE1EEEvT1_,"axG",@progbits,_ZN7rocprim17ROCPRIM_400000_NS6detail17trampoline_kernelINS0_14default_configENS1_20scan_config_selectorIyEEZZNS1_9scan_implILNS1_25lookback_scan_determinismE0ELb1ELb1ES3_N6thrust23THRUST_200600_302600_NS6detail15normal_iteratorINS9_10device_ptrIyEEEESE_y11max_functorIyEyEEDaPvRmT3_T4_T5_mT6_P12ihipStream_tbENKUlT_T0_E_clISt17integral_constantIbLb1EEST_IbLb0EEEEDaSP_SQ_EUlSP_E0_NS1_11comp_targetILNS1_3genE8ELNS1_11target_archE1030ELNS1_3gpuE2ELNS1_3repE0EEENS1_30default_config_static_selectorELNS0_4arch9wavefront6targetE1EEEvT1_,comdat
.Lfunc_end2225:
	.size	_ZN7rocprim17ROCPRIM_400000_NS6detail17trampoline_kernelINS0_14default_configENS1_20scan_config_selectorIyEEZZNS1_9scan_implILNS1_25lookback_scan_determinismE0ELb1ELb1ES3_N6thrust23THRUST_200600_302600_NS6detail15normal_iteratorINS9_10device_ptrIyEEEESE_y11max_functorIyEyEEDaPvRmT3_T4_T5_mT6_P12ihipStream_tbENKUlT_T0_E_clISt17integral_constantIbLb1EEST_IbLb0EEEEDaSP_SQ_EUlSP_E0_NS1_11comp_targetILNS1_3genE8ELNS1_11target_archE1030ELNS1_3gpuE2ELNS1_3repE0EEENS1_30default_config_static_selectorELNS0_4arch9wavefront6targetE1EEEvT1_, .Lfunc_end2225-_ZN7rocprim17ROCPRIM_400000_NS6detail17trampoline_kernelINS0_14default_configENS1_20scan_config_selectorIyEEZZNS1_9scan_implILNS1_25lookback_scan_determinismE0ELb1ELb1ES3_N6thrust23THRUST_200600_302600_NS6detail15normal_iteratorINS9_10device_ptrIyEEEESE_y11max_functorIyEyEEDaPvRmT3_T4_T5_mT6_P12ihipStream_tbENKUlT_T0_E_clISt17integral_constantIbLb1EEST_IbLb0EEEEDaSP_SQ_EUlSP_E0_NS1_11comp_targetILNS1_3genE8ELNS1_11target_archE1030ELNS1_3gpuE2ELNS1_3repE0EEENS1_30default_config_static_selectorELNS0_4arch9wavefront6targetE1EEEvT1_
                                        ; -- End function
	.section	.AMDGPU.csdata,"",@progbits
; Kernel info:
; codeLenInByte = 0
; NumSgprs: 4
; NumVgprs: 0
; NumAgprs: 0
; TotalNumVgprs: 0
; ScratchSize: 0
; MemoryBound: 0
; FloatMode: 240
; IeeeMode: 1
; LDSByteSize: 0 bytes/workgroup (compile time only)
; SGPRBlocks: 0
; VGPRBlocks: 0
; NumSGPRsForWavesPerEU: 4
; NumVGPRsForWavesPerEU: 1
; AccumOffset: 4
; Occupancy: 8
; WaveLimiterHint : 0
; COMPUTE_PGM_RSRC2:SCRATCH_EN: 0
; COMPUTE_PGM_RSRC2:USER_SGPR: 6
; COMPUTE_PGM_RSRC2:TRAP_HANDLER: 0
; COMPUTE_PGM_RSRC2:TGID_X_EN: 1
; COMPUTE_PGM_RSRC2:TGID_Y_EN: 0
; COMPUTE_PGM_RSRC2:TGID_Z_EN: 0
; COMPUTE_PGM_RSRC2:TIDIG_COMP_CNT: 0
; COMPUTE_PGM_RSRC3_GFX90A:ACCUM_OFFSET: 0
; COMPUTE_PGM_RSRC3_GFX90A:TG_SPLIT: 0
	.section	.text._ZN7rocprim17ROCPRIM_400000_NS6detail17trampoline_kernelINS0_14default_configENS1_20scan_config_selectorIyEEZZNS1_9scan_implILNS1_25lookback_scan_determinismE0ELb1ELb1ES3_N6thrust23THRUST_200600_302600_NS6detail15normal_iteratorINS9_10device_ptrIyEEEESE_y11max_functorIyEyEEDaPvRmT3_T4_T5_mT6_P12ihipStream_tbENKUlT_T0_E_clISt17integral_constantIbLb0EEST_IbLb1EEEEDaSP_SQ_EUlSP_E_NS1_11comp_targetILNS1_3genE0ELNS1_11target_archE4294967295ELNS1_3gpuE0ELNS1_3repE0EEENS1_30default_config_static_selectorELNS0_4arch9wavefront6targetE1EEEvT1_,"axG",@progbits,_ZN7rocprim17ROCPRIM_400000_NS6detail17trampoline_kernelINS0_14default_configENS1_20scan_config_selectorIyEEZZNS1_9scan_implILNS1_25lookback_scan_determinismE0ELb1ELb1ES3_N6thrust23THRUST_200600_302600_NS6detail15normal_iteratorINS9_10device_ptrIyEEEESE_y11max_functorIyEyEEDaPvRmT3_T4_T5_mT6_P12ihipStream_tbENKUlT_T0_E_clISt17integral_constantIbLb0EEST_IbLb1EEEEDaSP_SQ_EUlSP_E_NS1_11comp_targetILNS1_3genE0ELNS1_11target_archE4294967295ELNS1_3gpuE0ELNS1_3repE0EEENS1_30default_config_static_selectorELNS0_4arch9wavefront6targetE1EEEvT1_,comdat
	.protected	_ZN7rocprim17ROCPRIM_400000_NS6detail17trampoline_kernelINS0_14default_configENS1_20scan_config_selectorIyEEZZNS1_9scan_implILNS1_25lookback_scan_determinismE0ELb1ELb1ES3_N6thrust23THRUST_200600_302600_NS6detail15normal_iteratorINS9_10device_ptrIyEEEESE_y11max_functorIyEyEEDaPvRmT3_T4_T5_mT6_P12ihipStream_tbENKUlT_T0_E_clISt17integral_constantIbLb0EEST_IbLb1EEEEDaSP_SQ_EUlSP_E_NS1_11comp_targetILNS1_3genE0ELNS1_11target_archE4294967295ELNS1_3gpuE0ELNS1_3repE0EEENS1_30default_config_static_selectorELNS0_4arch9wavefront6targetE1EEEvT1_ ; -- Begin function _ZN7rocprim17ROCPRIM_400000_NS6detail17trampoline_kernelINS0_14default_configENS1_20scan_config_selectorIyEEZZNS1_9scan_implILNS1_25lookback_scan_determinismE0ELb1ELb1ES3_N6thrust23THRUST_200600_302600_NS6detail15normal_iteratorINS9_10device_ptrIyEEEESE_y11max_functorIyEyEEDaPvRmT3_T4_T5_mT6_P12ihipStream_tbENKUlT_T0_E_clISt17integral_constantIbLb0EEST_IbLb1EEEEDaSP_SQ_EUlSP_E_NS1_11comp_targetILNS1_3genE0ELNS1_11target_archE4294967295ELNS1_3gpuE0ELNS1_3repE0EEENS1_30default_config_static_selectorELNS0_4arch9wavefront6targetE1EEEvT1_
	.globl	_ZN7rocprim17ROCPRIM_400000_NS6detail17trampoline_kernelINS0_14default_configENS1_20scan_config_selectorIyEEZZNS1_9scan_implILNS1_25lookback_scan_determinismE0ELb1ELb1ES3_N6thrust23THRUST_200600_302600_NS6detail15normal_iteratorINS9_10device_ptrIyEEEESE_y11max_functorIyEyEEDaPvRmT3_T4_T5_mT6_P12ihipStream_tbENKUlT_T0_E_clISt17integral_constantIbLb0EEST_IbLb1EEEEDaSP_SQ_EUlSP_E_NS1_11comp_targetILNS1_3genE0ELNS1_11target_archE4294967295ELNS1_3gpuE0ELNS1_3repE0EEENS1_30default_config_static_selectorELNS0_4arch9wavefront6targetE1EEEvT1_
	.p2align	8
	.type	_ZN7rocprim17ROCPRIM_400000_NS6detail17trampoline_kernelINS0_14default_configENS1_20scan_config_selectorIyEEZZNS1_9scan_implILNS1_25lookback_scan_determinismE0ELb1ELb1ES3_N6thrust23THRUST_200600_302600_NS6detail15normal_iteratorINS9_10device_ptrIyEEEESE_y11max_functorIyEyEEDaPvRmT3_T4_T5_mT6_P12ihipStream_tbENKUlT_T0_E_clISt17integral_constantIbLb0EEST_IbLb1EEEEDaSP_SQ_EUlSP_E_NS1_11comp_targetILNS1_3genE0ELNS1_11target_archE4294967295ELNS1_3gpuE0ELNS1_3repE0EEENS1_30default_config_static_selectorELNS0_4arch9wavefront6targetE1EEEvT1_,@function
_ZN7rocprim17ROCPRIM_400000_NS6detail17trampoline_kernelINS0_14default_configENS1_20scan_config_selectorIyEEZZNS1_9scan_implILNS1_25lookback_scan_determinismE0ELb1ELb1ES3_N6thrust23THRUST_200600_302600_NS6detail15normal_iteratorINS9_10device_ptrIyEEEESE_y11max_functorIyEyEEDaPvRmT3_T4_T5_mT6_P12ihipStream_tbENKUlT_T0_E_clISt17integral_constantIbLb0EEST_IbLb1EEEEDaSP_SQ_EUlSP_E_NS1_11comp_targetILNS1_3genE0ELNS1_11target_archE4294967295ELNS1_3gpuE0ELNS1_3repE0EEENS1_30default_config_static_selectorELNS0_4arch9wavefront6targetE1EEEvT1_: ; @_ZN7rocprim17ROCPRIM_400000_NS6detail17trampoline_kernelINS0_14default_configENS1_20scan_config_selectorIyEEZZNS1_9scan_implILNS1_25lookback_scan_determinismE0ELb1ELb1ES3_N6thrust23THRUST_200600_302600_NS6detail15normal_iteratorINS9_10device_ptrIyEEEESE_y11max_functorIyEyEEDaPvRmT3_T4_T5_mT6_P12ihipStream_tbENKUlT_T0_E_clISt17integral_constantIbLb0EEST_IbLb1EEEEDaSP_SQ_EUlSP_E_NS1_11comp_targetILNS1_3genE0ELNS1_11target_archE4294967295ELNS1_3gpuE0ELNS1_3repE0EEENS1_30default_config_static_selectorELNS0_4arch9wavefront6targetE1EEEvT1_
; %bb.0:
	.section	.rodata,"a",@progbits
	.p2align	6, 0x0
	.amdhsa_kernel _ZN7rocprim17ROCPRIM_400000_NS6detail17trampoline_kernelINS0_14default_configENS1_20scan_config_selectorIyEEZZNS1_9scan_implILNS1_25lookback_scan_determinismE0ELb1ELb1ES3_N6thrust23THRUST_200600_302600_NS6detail15normal_iteratorINS9_10device_ptrIyEEEESE_y11max_functorIyEyEEDaPvRmT3_T4_T5_mT6_P12ihipStream_tbENKUlT_T0_E_clISt17integral_constantIbLb0EEST_IbLb1EEEEDaSP_SQ_EUlSP_E_NS1_11comp_targetILNS1_3genE0ELNS1_11target_archE4294967295ELNS1_3gpuE0ELNS1_3repE0EEENS1_30default_config_static_selectorELNS0_4arch9wavefront6targetE1EEEvT1_
		.amdhsa_group_segment_fixed_size 0
		.amdhsa_private_segment_fixed_size 0
		.amdhsa_kernarg_size 104
		.amdhsa_user_sgpr_count 6
		.amdhsa_user_sgpr_private_segment_buffer 1
		.amdhsa_user_sgpr_dispatch_ptr 0
		.amdhsa_user_sgpr_queue_ptr 0
		.amdhsa_user_sgpr_kernarg_segment_ptr 1
		.amdhsa_user_sgpr_dispatch_id 0
		.amdhsa_user_sgpr_flat_scratch_init 0
		.amdhsa_user_sgpr_kernarg_preload_length 0
		.amdhsa_user_sgpr_kernarg_preload_offset 0
		.amdhsa_user_sgpr_private_segment_size 0
		.amdhsa_uses_dynamic_stack 0
		.amdhsa_system_sgpr_private_segment_wavefront_offset 0
		.amdhsa_system_sgpr_workgroup_id_x 1
		.amdhsa_system_sgpr_workgroup_id_y 0
		.amdhsa_system_sgpr_workgroup_id_z 0
		.amdhsa_system_sgpr_workgroup_info 0
		.amdhsa_system_vgpr_workitem_id 0
		.amdhsa_next_free_vgpr 1
		.amdhsa_next_free_sgpr 0
		.amdhsa_accum_offset 4
		.amdhsa_reserve_vcc 0
		.amdhsa_reserve_flat_scratch 0
		.amdhsa_float_round_mode_32 0
		.amdhsa_float_round_mode_16_64 0
		.amdhsa_float_denorm_mode_32 3
		.amdhsa_float_denorm_mode_16_64 3
		.amdhsa_dx10_clamp 1
		.amdhsa_ieee_mode 1
		.amdhsa_fp16_overflow 0
		.amdhsa_tg_split 0
		.amdhsa_exception_fp_ieee_invalid_op 0
		.amdhsa_exception_fp_denorm_src 0
		.amdhsa_exception_fp_ieee_div_zero 0
		.amdhsa_exception_fp_ieee_overflow 0
		.amdhsa_exception_fp_ieee_underflow 0
		.amdhsa_exception_fp_ieee_inexact 0
		.amdhsa_exception_int_div_zero 0
	.end_amdhsa_kernel
	.section	.text._ZN7rocprim17ROCPRIM_400000_NS6detail17trampoline_kernelINS0_14default_configENS1_20scan_config_selectorIyEEZZNS1_9scan_implILNS1_25lookback_scan_determinismE0ELb1ELb1ES3_N6thrust23THRUST_200600_302600_NS6detail15normal_iteratorINS9_10device_ptrIyEEEESE_y11max_functorIyEyEEDaPvRmT3_T4_T5_mT6_P12ihipStream_tbENKUlT_T0_E_clISt17integral_constantIbLb0EEST_IbLb1EEEEDaSP_SQ_EUlSP_E_NS1_11comp_targetILNS1_3genE0ELNS1_11target_archE4294967295ELNS1_3gpuE0ELNS1_3repE0EEENS1_30default_config_static_selectorELNS0_4arch9wavefront6targetE1EEEvT1_,"axG",@progbits,_ZN7rocprim17ROCPRIM_400000_NS6detail17trampoline_kernelINS0_14default_configENS1_20scan_config_selectorIyEEZZNS1_9scan_implILNS1_25lookback_scan_determinismE0ELb1ELb1ES3_N6thrust23THRUST_200600_302600_NS6detail15normal_iteratorINS9_10device_ptrIyEEEESE_y11max_functorIyEyEEDaPvRmT3_T4_T5_mT6_P12ihipStream_tbENKUlT_T0_E_clISt17integral_constantIbLb0EEST_IbLb1EEEEDaSP_SQ_EUlSP_E_NS1_11comp_targetILNS1_3genE0ELNS1_11target_archE4294967295ELNS1_3gpuE0ELNS1_3repE0EEENS1_30default_config_static_selectorELNS0_4arch9wavefront6targetE1EEEvT1_,comdat
.Lfunc_end2226:
	.size	_ZN7rocprim17ROCPRIM_400000_NS6detail17trampoline_kernelINS0_14default_configENS1_20scan_config_selectorIyEEZZNS1_9scan_implILNS1_25lookback_scan_determinismE0ELb1ELb1ES3_N6thrust23THRUST_200600_302600_NS6detail15normal_iteratorINS9_10device_ptrIyEEEESE_y11max_functorIyEyEEDaPvRmT3_T4_T5_mT6_P12ihipStream_tbENKUlT_T0_E_clISt17integral_constantIbLb0EEST_IbLb1EEEEDaSP_SQ_EUlSP_E_NS1_11comp_targetILNS1_3genE0ELNS1_11target_archE4294967295ELNS1_3gpuE0ELNS1_3repE0EEENS1_30default_config_static_selectorELNS0_4arch9wavefront6targetE1EEEvT1_, .Lfunc_end2226-_ZN7rocprim17ROCPRIM_400000_NS6detail17trampoline_kernelINS0_14default_configENS1_20scan_config_selectorIyEEZZNS1_9scan_implILNS1_25lookback_scan_determinismE0ELb1ELb1ES3_N6thrust23THRUST_200600_302600_NS6detail15normal_iteratorINS9_10device_ptrIyEEEESE_y11max_functorIyEyEEDaPvRmT3_T4_T5_mT6_P12ihipStream_tbENKUlT_T0_E_clISt17integral_constantIbLb0EEST_IbLb1EEEEDaSP_SQ_EUlSP_E_NS1_11comp_targetILNS1_3genE0ELNS1_11target_archE4294967295ELNS1_3gpuE0ELNS1_3repE0EEENS1_30default_config_static_selectorELNS0_4arch9wavefront6targetE1EEEvT1_
                                        ; -- End function
	.section	.AMDGPU.csdata,"",@progbits
; Kernel info:
; codeLenInByte = 0
; NumSgprs: 4
; NumVgprs: 0
; NumAgprs: 0
; TotalNumVgprs: 0
; ScratchSize: 0
; MemoryBound: 0
; FloatMode: 240
; IeeeMode: 1
; LDSByteSize: 0 bytes/workgroup (compile time only)
; SGPRBlocks: 0
; VGPRBlocks: 0
; NumSGPRsForWavesPerEU: 4
; NumVGPRsForWavesPerEU: 1
; AccumOffset: 4
; Occupancy: 8
; WaveLimiterHint : 0
; COMPUTE_PGM_RSRC2:SCRATCH_EN: 0
; COMPUTE_PGM_RSRC2:USER_SGPR: 6
; COMPUTE_PGM_RSRC2:TRAP_HANDLER: 0
; COMPUTE_PGM_RSRC2:TGID_X_EN: 1
; COMPUTE_PGM_RSRC2:TGID_Y_EN: 0
; COMPUTE_PGM_RSRC2:TGID_Z_EN: 0
; COMPUTE_PGM_RSRC2:TIDIG_COMP_CNT: 0
; COMPUTE_PGM_RSRC3_GFX90A:ACCUM_OFFSET: 0
; COMPUTE_PGM_RSRC3_GFX90A:TG_SPLIT: 0
	.section	.text._ZN7rocprim17ROCPRIM_400000_NS6detail17trampoline_kernelINS0_14default_configENS1_20scan_config_selectorIyEEZZNS1_9scan_implILNS1_25lookback_scan_determinismE0ELb1ELb1ES3_N6thrust23THRUST_200600_302600_NS6detail15normal_iteratorINS9_10device_ptrIyEEEESE_y11max_functorIyEyEEDaPvRmT3_T4_T5_mT6_P12ihipStream_tbENKUlT_T0_E_clISt17integral_constantIbLb0EEST_IbLb1EEEEDaSP_SQ_EUlSP_E_NS1_11comp_targetILNS1_3genE5ELNS1_11target_archE942ELNS1_3gpuE9ELNS1_3repE0EEENS1_30default_config_static_selectorELNS0_4arch9wavefront6targetE1EEEvT1_,"axG",@progbits,_ZN7rocprim17ROCPRIM_400000_NS6detail17trampoline_kernelINS0_14default_configENS1_20scan_config_selectorIyEEZZNS1_9scan_implILNS1_25lookback_scan_determinismE0ELb1ELb1ES3_N6thrust23THRUST_200600_302600_NS6detail15normal_iteratorINS9_10device_ptrIyEEEESE_y11max_functorIyEyEEDaPvRmT3_T4_T5_mT6_P12ihipStream_tbENKUlT_T0_E_clISt17integral_constantIbLb0EEST_IbLb1EEEEDaSP_SQ_EUlSP_E_NS1_11comp_targetILNS1_3genE5ELNS1_11target_archE942ELNS1_3gpuE9ELNS1_3repE0EEENS1_30default_config_static_selectorELNS0_4arch9wavefront6targetE1EEEvT1_,comdat
	.protected	_ZN7rocprim17ROCPRIM_400000_NS6detail17trampoline_kernelINS0_14default_configENS1_20scan_config_selectorIyEEZZNS1_9scan_implILNS1_25lookback_scan_determinismE0ELb1ELb1ES3_N6thrust23THRUST_200600_302600_NS6detail15normal_iteratorINS9_10device_ptrIyEEEESE_y11max_functorIyEyEEDaPvRmT3_T4_T5_mT6_P12ihipStream_tbENKUlT_T0_E_clISt17integral_constantIbLb0EEST_IbLb1EEEEDaSP_SQ_EUlSP_E_NS1_11comp_targetILNS1_3genE5ELNS1_11target_archE942ELNS1_3gpuE9ELNS1_3repE0EEENS1_30default_config_static_selectorELNS0_4arch9wavefront6targetE1EEEvT1_ ; -- Begin function _ZN7rocprim17ROCPRIM_400000_NS6detail17trampoline_kernelINS0_14default_configENS1_20scan_config_selectorIyEEZZNS1_9scan_implILNS1_25lookback_scan_determinismE0ELb1ELb1ES3_N6thrust23THRUST_200600_302600_NS6detail15normal_iteratorINS9_10device_ptrIyEEEESE_y11max_functorIyEyEEDaPvRmT3_T4_T5_mT6_P12ihipStream_tbENKUlT_T0_E_clISt17integral_constantIbLb0EEST_IbLb1EEEEDaSP_SQ_EUlSP_E_NS1_11comp_targetILNS1_3genE5ELNS1_11target_archE942ELNS1_3gpuE9ELNS1_3repE0EEENS1_30default_config_static_selectorELNS0_4arch9wavefront6targetE1EEEvT1_
	.globl	_ZN7rocprim17ROCPRIM_400000_NS6detail17trampoline_kernelINS0_14default_configENS1_20scan_config_selectorIyEEZZNS1_9scan_implILNS1_25lookback_scan_determinismE0ELb1ELb1ES3_N6thrust23THRUST_200600_302600_NS6detail15normal_iteratorINS9_10device_ptrIyEEEESE_y11max_functorIyEyEEDaPvRmT3_T4_T5_mT6_P12ihipStream_tbENKUlT_T0_E_clISt17integral_constantIbLb0EEST_IbLb1EEEEDaSP_SQ_EUlSP_E_NS1_11comp_targetILNS1_3genE5ELNS1_11target_archE942ELNS1_3gpuE9ELNS1_3repE0EEENS1_30default_config_static_selectorELNS0_4arch9wavefront6targetE1EEEvT1_
	.p2align	8
	.type	_ZN7rocprim17ROCPRIM_400000_NS6detail17trampoline_kernelINS0_14default_configENS1_20scan_config_selectorIyEEZZNS1_9scan_implILNS1_25lookback_scan_determinismE0ELb1ELb1ES3_N6thrust23THRUST_200600_302600_NS6detail15normal_iteratorINS9_10device_ptrIyEEEESE_y11max_functorIyEyEEDaPvRmT3_T4_T5_mT6_P12ihipStream_tbENKUlT_T0_E_clISt17integral_constantIbLb0EEST_IbLb1EEEEDaSP_SQ_EUlSP_E_NS1_11comp_targetILNS1_3genE5ELNS1_11target_archE942ELNS1_3gpuE9ELNS1_3repE0EEENS1_30default_config_static_selectorELNS0_4arch9wavefront6targetE1EEEvT1_,@function
_ZN7rocprim17ROCPRIM_400000_NS6detail17trampoline_kernelINS0_14default_configENS1_20scan_config_selectorIyEEZZNS1_9scan_implILNS1_25lookback_scan_determinismE0ELb1ELb1ES3_N6thrust23THRUST_200600_302600_NS6detail15normal_iteratorINS9_10device_ptrIyEEEESE_y11max_functorIyEyEEDaPvRmT3_T4_T5_mT6_P12ihipStream_tbENKUlT_T0_E_clISt17integral_constantIbLb0EEST_IbLb1EEEEDaSP_SQ_EUlSP_E_NS1_11comp_targetILNS1_3genE5ELNS1_11target_archE942ELNS1_3gpuE9ELNS1_3repE0EEENS1_30default_config_static_selectorELNS0_4arch9wavefront6targetE1EEEvT1_: ; @_ZN7rocprim17ROCPRIM_400000_NS6detail17trampoline_kernelINS0_14default_configENS1_20scan_config_selectorIyEEZZNS1_9scan_implILNS1_25lookback_scan_determinismE0ELb1ELb1ES3_N6thrust23THRUST_200600_302600_NS6detail15normal_iteratorINS9_10device_ptrIyEEEESE_y11max_functorIyEyEEDaPvRmT3_T4_T5_mT6_P12ihipStream_tbENKUlT_T0_E_clISt17integral_constantIbLb0EEST_IbLb1EEEEDaSP_SQ_EUlSP_E_NS1_11comp_targetILNS1_3genE5ELNS1_11target_archE942ELNS1_3gpuE9ELNS1_3repE0EEENS1_30default_config_static_selectorELNS0_4arch9wavefront6targetE1EEEvT1_
; %bb.0:
	.section	.rodata,"a",@progbits
	.p2align	6, 0x0
	.amdhsa_kernel _ZN7rocprim17ROCPRIM_400000_NS6detail17trampoline_kernelINS0_14default_configENS1_20scan_config_selectorIyEEZZNS1_9scan_implILNS1_25lookback_scan_determinismE0ELb1ELb1ES3_N6thrust23THRUST_200600_302600_NS6detail15normal_iteratorINS9_10device_ptrIyEEEESE_y11max_functorIyEyEEDaPvRmT3_T4_T5_mT6_P12ihipStream_tbENKUlT_T0_E_clISt17integral_constantIbLb0EEST_IbLb1EEEEDaSP_SQ_EUlSP_E_NS1_11comp_targetILNS1_3genE5ELNS1_11target_archE942ELNS1_3gpuE9ELNS1_3repE0EEENS1_30default_config_static_selectorELNS0_4arch9wavefront6targetE1EEEvT1_
		.amdhsa_group_segment_fixed_size 0
		.amdhsa_private_segment_fixed_size 0
		.amdhsa_kernarg_size 104
		.amdhsa_user_sgpr_count 6
		.amdhsa_user_sgpr_private_segment_buffer 1
		.amdhsa_user_sgpr_dispatch_ptr 0
		.amdhsa_user_sgpr_queue_ptr 0
		.amdhsa_user_sgpr_kernarg_segment_ptr 1
		.amdhsa_user_sgpr_dispatch_id 0
		.amdhsa_user_sgpr_flat_scratch_init 0
		.amdhsa_user_sgpr_kernarg_preload_length 0
		.amdhsa_user_sgpr_kernarg_preload_offset 0
		.amdhsa_user_sgpr_private_segment_size 0
		.amdhsa_uses_dynamic_stack 0
		.amdhsa_system_sgpr_private_segment_wavefront_offset 0
		.amdhsa_system_sgpr_workgroup_id_x 1
		.amdhsa_system_sgpr_workgroup_id_y 0
		.amdhsa_system_sgpr_workgroup_id_z 0
		.amdhsa_system_sgpr_workgroup_info 0
		.amdhsa_system_vgpr_workitem_id 0
		.amdhsa_next_free_vgpr 1
		.amdhsa_next_free_sgpr 0
		.amdhsa_accum_offset 4
		.amdhsa_reserve_vcc 0
		.amdhsa_reserve_flat_scratch 0
		.amdhsa_float_round_mode_32 0
		.amdhsa_float_round_mode_16_64 0
		.amdhsa_float_denorm_mode_32 3
		.amdhsa_float_denorm_mode_16_64 3
		.amdhsa_dx10_clamp 1
		.amdhsa_ieee_mode 1
		.amdhsa_fp16_overflow 0
		.amdhsa_tg_split 0
		.amdhsa_exception_fp_ieee_invalid_op 0
		.amdhsa_exception_fp_denorm_src 0
		.amdhsa_exception_fp_ieee_div_zero 0
		.amdhsa_exception_fp_ieee_overflow 0
		.amdhsa_exception_fp_ieee_underflow 0
		.amdhsa_exception_fp_ieee_inexact 0
		.amdhsa_exception_int_div_zero 0
	.end_amdhsa_kernel
	.section	.text._ZN7rocprim17ROCPRIM_400000_NS6detail17trampoline_kernelINS0_14default_configENS1_20scan_config_selectorIyEEZZNS1_9scan_implILNS1_25lookback_scan_determinismE0ELb1ELb1ES3_N6thrust23THRUST_200600_302600_NS6detail15normal_iteratorINS9_10device_ptrIyEEEESE_y11max_functorIyEyEEDaPvRmT3_T4_T5_mT6_P12ihipStream_tbENKUlT_T0_E_clISt17integral_constantIbLb0EEST_IbLb1EEEEDaSP_SQ_EUlSP_E_NS1_11comp_targetILNS1_3genE5ELNS1_11target_archE942ELNS1_3gpuE9ELNS1_3repE0EEENS1_30default_config_static_selectorELNS0_4arch9wavefront6targetE1EEEvT1_,"axG",@progbits,_ZN7rocprim17ROCPRIM_400000_NS6detail17trampoline_kernelINS0_14default_configENS1_20scan_config_selectorIyEEZZNS1_9scan_implILNS1_25lookback_scan_determinismE0ELb1ELb1ES3_N6thrust23THRUST_200600_302600_NS6detail15normal_iteratorINS9_10device_ptrIyEEEESE_y11max_functorIyEyEEDaPvRmT3_T4_T5_mT6_P12ihipStream_tbENKUlT_T0_E_clISt17integral_constantIbLb0EEST_IbLb1EEEEDaSP_SQ_EUlSP_E_NS1_11comp_targetILNS1_3genE5ELNS1_11target_archE942ELNS1_3gpuE9ELNS1_3repE0EEENS1_30default_config_static_selectorELNS0_4arch9wavefront6targetE1EEEvT1_,comdat
.Lfunc_end2227:
	.size	_ZN7rocprim17ROCPRIM_400000_NS6detail17trampoline_kernelINS0_14default_configENS1_20scan_config_selectorIyEEZZNS1_9scan_implILNS1_25lookback_scan_determinismE0ELb1ELb1ES3_N6thrust23THRUST_200600_302600_NS6detail15normal_iteratorINS9_10device_ptrIyEEEESE_y11max_functorIyEyEEDaPvRmT3_T4_T5_mT6_P12ihipStream_tbENKUlT_T0_E_clISt17integral_constantIbLb0EEST_IbLb1EEEEDaSP_SQ_EUlSP_E_NS1_11comp_targetILNS1_3genE5ELNS1_11target_archE942ELNS1_3gpuE9ELNS1_3repE0EEENS1_30default_config_static_selectorELNS0_4arch9wavefront6targetE1EEEvT1_, .Lfunc_end2227-_ZN7rocprim17ROCPRIM_400000_NS6detail17trampoline_kernelINS0_14default_configENS1_20scan_config_selectorIyEEZZNS1_9scan_implILNS1_25lookback_scan_determinismE0ELb1ELb1ES3_N6thrust23THRUST_200600_302600_NS6detail15normal_iteratorINS9_10device_ptrIyEEEESE_y11max_functorIyEyEEDaPvRmT3_T4_T5_mT6_P12ihipStream_tbENKUlT_T0_E_clISt17integral_constantIbLb0EEST_IbLb1EEEEDaSP_SQ_EUlSP_E_NS1_11comp_targetILNS1_3genE5ELNS1_11target_archE942ELNS1_3gpuE9ELNS1_3repE0EEENS1_30default_config_static_selectorELNS0_4arch9wavefront6targetE1EEEvT1_
                                        ; -- End function
	.section	.AMDGPU.csdata,"",@progbits
; Kernel info:
; codeLenInByte = 0
; NumSgprs: 4
; NumVgprs: 0
; NumAgprs: 0
; TotalNumVgprs: 0
; ScratchSize: 0
; MemoryBound: 0
; FloatMode: 240
; IeeeMode: 1
; LDSByteSize: 0 bytes/workgroup (compile time only)
; SGPRBlocks: 0
; VGPRBlocks: 0
; NumSGPRsForWavesPerEU: 4
; NumVGPRsForWavesPerEU: 1
; AccumOffset: 4
; Occupancy: 8
; WaveLimiterHint : 0
; COMPUTE_PGM_RSRC2:SCRATCH_EN: 0
; COMPUTE_PGM_RSRC2:USER_SGPR: 6
; COMPUTE_PGM_RSRC2:TRAP_HANDLER: 0
; COMPUTE_PGM_RSRC2:TGID_X_EN: 1
; COMPUTE_PGM_RSRC2:TGID_Y_EN: 0
; COMPUTE_PGM_RSRC2:TGID_Z_EN: 0
; COMPUTE_PGM_RSRC2:TIDIG_COMP_CNT: 0
; COMPUTE_PGM_RSRC3_GFX90A:ACCUM_OFFSET: 0
; COMPUTE_PGM_RSRC3_GFX90A:TG_SPLIT: 0
	.section	.text._ZN7rocprim17ROCPRIM_400000_NS6detail17trampoline_kernelINS0_14default_configENS1_20scan_config_selectorIyEEZZNS1_9scan_implILNS1_25lookback_scan_determinismE0ELb1ELb1ES3_N6thrust23THRUST_200600_302600_NS6detail15normal_iteratorINS9_10device_ptrIyEEEESE_y11max_functorIyEyEEDaPvRmT3_T4_T5_mT6_P12ihipStream_tbENKUlT_T0_E_clISt17integral_constantIbLb0EEST_IbLb1EEEEDaSP_SQ_EUlSP_E_NS1_11comp_targetILNS1_3genE4ELNS1_11target_archE910ELNS1_3gpuE8ELNS1_3repE0EEENS1_30default_config_static_selectorELNS0_4arch9wavefront6targetE1EEEvT1_,"axG",@progbits,_ZN7rocprim17ROCPRIM_400000_NS6detail17trampoline_kernelINS0_14default_configENS1_20scan_config_selectorIyEEZZNS1_9scan_implILNS1_25lookback_scan_determinismE0ELb1ELb1ES3_N6thrust23THRUST_200600_302600_NS6detail15normal_iteratorINS9_10device_ptrIyEEEESE_y11max_functorIyEyEEDaPvRmT3_T4_T5_mT6_P12ihipStream_tbENKUlT_T0_E_clISt17integral_constantIbLb0EEST_IbLb1EEEEDaSP_SQ_EUlSP_E_NS1_11comp_targetILNS1_3genE4ELNS1_11target_archE910ELNS1_3gpuE8ELNS1_3repE0EEENS1_30default_config_static_selectorELNS0_4arch9wavefront6targetE1EEEvT1_,comdat
	.protected	_ZN7rocprim17ROCPRIM_400000_NS6detail17trampoline_kernelINS0_14default_configENS1_20scan_config_selectorIyEEZZNS1_9scan_implILNS1_25lookback_scan_determinismE0ELb1ELb1ES3_N6thrust23THRUST_200600_302600_NS6detail15normal_iteratorINS9_10device_ptrIyEEEESE_y11max_functorIyEyEEDaPvRmT3_T4_T5_mT6_P12ihipStream_tbENKUlT_T0_E_clISt17integral_constantIbLb0EEST_IbLb1EEEEDaSP_SQ_EUlSP_E_NS1_11comp_targetILNS1_3genE4ELNS1_11target_archE910ELNS1_3gpuE8ELNS1_3repE0EEENS1_30default_config_static_selectorELNS0_4arch9wavefront6targetE1EEEvT1_ ; -- Begin function _ZN7rocprim17ROCPRIM_400000_NS6detail17trampoline_kernelINS0_14default_configENS1_20scan_config_selectorIyEEZZNS1_9scan_implILNS1_25lookback_scan_determinismE0ELb1ELb1ES3_N6thrust23THRUST_200600_302600_NS6detail15normal_iteratorINS9_10device_ptrIyEEEESE_y11max_functorIyEyEEDaPvRmT3_T4_T5_mT6_P12ihipStream_tbENKUlT_T0_E_clISt17integral_constantIbLb0EEST_IbLb1EEEEDaSP_SQ_EUlSP_E_NS1_11comp_targetILNS1_3genE4ELNS1_11target_archE910ELNS1_3gpuE8ELNS1_3repE0EEENS1_30default_config_static_selectorELNS0_4arch9wavefront6targetE1EEEvT1_
	.globl	_ZN7rocprim17ROCPRIM_400000_NS6detail17trampoline_kernelINS0_14default_configENS1_20scan_config_selectorIyEEZZNS1_9scan_implILNS1_25lookback_scan_determinismE0ELb1ELb1ES3_N6thrust23THRUST_200600_302600_NS6detail15normal_iteratorINS9_10device_ptrIyEEEESE_y11max_functorIyEyEEDaPvRmT3_T4_T5_mT6_P12ihipStream_tbENKUlT_T0_E_clISt17integral_constantIbLb0EEST_IbLb1EEEEDaSP_SQ_EUlSP_E_NS1_11comp_targetILNS1_3genE4ELNS1_11target_archE910ELNS1_3gpuE8ELNS1_3repE0EEENS1_30default_config_static_selectorELNS0_4arch9wavefront6targetE1EEEvT1_
	.p2align	8
	.type	_ZN7rocprim17ROCPRIM_400000_NS6detail17trampoline_kernelINS0_14default_configENS1_20scan_config_selectorIyEEZZNS1_9scan_implILNS1_25lookback_scan_determinismE0ELb1ELb1ES3_N6thrust23THRUST_200600_302600_NS6detail15normal_iteratorINS9_10device_ptrIyEEEESE_y11max_functorIyEyEEDaPvRmT3_T4_T5_mT6_P12ihipStream_tbENKUlT_T0_E_clISt17integral_constantIbLb0EEST_IbLb1EEEEDaSP_SQ_EUlSP_E_NS1_11comp_targetILNS1_3genE4ELNS1_11target_archE910ELNS1_3gpuE8ELNS1_3repE0EEENS1_30default_config_static_selectorELNS0_4arch9wavefront6targetE1EEEvT1_,@function
_ZN7rocprim17ROCPRIM_400000_NS6detail17trampoline_kernelINS0_14default_configENS1_20scan_config_selectorIyEEZZNS1_9scan_implILNS1_25lookback_scan_determinismE0ELb1ELb1ES3_N6thrust23THRUST_200600_302600_NS6detail15normal_iteratorINS9_10device_ptrIyEEEESE_y11max_functorIyEyEEDaPvRmT3_T4_T5_mT6_P12ihipStream_tbENKUlT_T0_E_clISt17integral_constantIbLb0EEST_IbLb1EEEEDaSP_SQ_EUlSP_E_NS1_11comp_targetILNS1_3genE4ELNS1_11target_archE910ELNS1_3gpuE8ELNS1_3repE0EEENS1_30default_config_static_selectorELNS0_4arch9wavefront6targetE1EEEvT1_: ; @_ZN7rocprim17ROCPRIM_400000_NS6detail17trampoline_kernelINS0_14default_configENS1_20scan_config_selectorIyEEZZNS1_9scan_implILNS1_25lookback_scan_determinismE0ELb1ELb1ES3_N6thrust23THRUST_200600_302600_NS6detail15normal_iteratorINS9_10device_ptrIyEEEESE_y11max_functorIyEyEEDaPvRmT3_T4_T5_mT6_P12ihipStream_tbENKUlT_T0_E_clISt17integral_constantIbLb0EEST_IbLb1EEEEDaSP_SQ_EUlSP_E_NS1_11comp_targetILNS1_3genE4ELNS1_11target_archE910ELNS1_3gpuE8ELNS1_3repE0EEENS1_30default_config_static_selectorELNS0_4arch9wavefront6targetE1EEEvT1_
; %bb.0:
	s_load_dwordx8 s[24:31], s[4:5], 0x0
	s_load_dwordx2 s[34:35], s[4:5], 0x20
	s_load_dwordx2 s[14:15], s[4:5], 0x30
	v_cmp_ne_u32_e64 s[2:3], 0, v0
	v_cmp_eq_u32_e64 s[0:1], 0, v0
	s_and_saveexec_b64 s[6:7], s[0:1]
	s_cbranch_execz .LBB2228_4
; %bb.1:
	s_mov_b64 s[10:11], exec
	v_mbcnt_lo_u32_b32 v1, s10, 0
	v_mbcnt_hi_u32_b32 v1, s11, v1
	v_cmp_eq_u32_e32 vcc, 0, v1
                                        ; implicit-def: $vgpr2
	s_and_saveexec_b64 s[8:9], vcc
	s_cbranch_execz .LBB2228_3
; %bb.2:
	s_load_dwordx2 s[12:13], s[4:5], 0x60
	s_bcnt1_i32_b64 s10, s[10:11]
	v_mov_b32_e32 v2, 0
	v_mov_b32_e32 v3, s10
	s_waitcnt lgkmcnt(0)
	global_atomic_add v2, v2, v3, s[12:13] glc
.LBB2228_3:
	s_or_b64 exec, exec, s[8:9]
	s_waitcnt vmcnt(0)
	v_readfirstlane_b32 s8, v2
	v_add_u32_e32 v1, s8, v1
	v_mov_b32_e32 v2, 0
	ds_write_b32 v2, v1
.LBB2228_4:
	s_or_b64 exec, exec, s[6:7]
	s_load_dword s6, s[4:5], 0x38
	s_load_dwordx8 s[16:23], s[4:5], 0x40
	v_mov_b32_e32 v1, 0
	s_waitcnt lgkmcnt(0)
	s_barrier
	ds_read_b32 v1, v1
	s_lshl_b64 s[26:27], s[26:27], 3
	s_add_u32 s39, s24, s26
	s_addc_u32 s40, s25, s27
	s_add_i32 s6, s6, -1
	s_mul_i32 s7, s6, 0x380
	s_sub_u32 s33, s30, s7
	s_waitcnt lgkmcnt(0)
	v_readfirstlane_b32 s41, v1
	s_subb_u32 s38, s31, 0
	s_mul_i32 s4, s41, 0x380
	s_mov_b32 s5, 0
	s_cmp_lg_u32 s41, s6
	s_cselect_b64 s[24:25], -1, 0
	s_lshl_b64 s[30:31], s[4:5], 3
	s_add_u32 s6, s39, s30
	s_addc_u32 s7, s40, s31
	s_mov_b64 s[4:5], -1
	s_and_b64 vcc, exec, s[24:25]
	v_lshlrev_b32_e32 v36, 3, v0
	s_barrier
	s_cbranch_vccz .LBB2228_6
; %bb.5:
	v_mov_b32_e32 v1, s7
	v_add_co_u32_e32 v2, vcc, s6, v36
	v_addc_co_u32_e32 v3, vcc, 0, v1, vcc
	flat_load_dwordx2 v[4:5], v[2:3]
	flat_load_dwordx2 v[6:7], v[2:3] offset:1024
	flat_load_dwordx2 v[8:9], v[2:3] offset:2048
	;; [unrolled: 1-line block ×3, first 2 shown]
	v_add_co_u32_e32 v2, vcc, 0x1000, v2
	v_addc_co_u32_e32 v3, vcc, 0, v3, vcc
	flat_load_dwordx2 v[12:13], v[2:3]
	flat_load_dwordx2 v[14:15], v[2:3] offset:1024
	flat_load_dwordx2 v[16:17], v[2:3] offset:2048
	s_mov_b64 s[4:5], 0
	s_waitcnt vmcnt(0) lgkmcnt(0)
	ds_write2st64_b64 v36, v[4:5], v[6:7] offset1:2
	ds_write2st64_b64 v36, v[8:9], v[10:11] offset0:4 offset1:6
	ds_write2st64_b64 v36, v[12:13], v[14:15] offset0:8 offset1:10
	ds_write_b64 v36, v[16:17] offset:6144
	s_waitcnt lgkmcnt(0)
	s_barrier
.LBB2228_6:
	s_andn2_b64 vcc, exec, s[4:5]
	v_cmp_gt_u32_e64 s[4:5], s33, v0
	s_cbranch_vccnz .LBB2228_22
; %bb.7:
	v_pk_mov_b32 v[2:3], s[6:7], s[6:7] op_sel:[0,1]
	flat_load_dwordx2 v[2:3], v[2:3]
	s_waitcnt vmcnt(0) lgkmcnt(0)
	v_mov_b32_e32 v4, v2
	v_mov_b32_e32 v5, v3
	;; [unrolled: 1-line block ×10, first 2 shown]
	v_pk_mov_b32 v[18:19], v[14:15], v[14:15] op_sel:[0,1]
	v_pk_mov_b32 v[16:17], v[12:13], v[12:13] op_sel:[0,1]
	v_pk_mov_b32 v[14:15], v[10:11], v[10:11] op_sel:[0,1]
	v_pk_mov_b32 v[12:13], v[8:9], v[8:9] op_sel:[0,1]
	v_pk_mov_b32 v[10:11], v[6:7], v[6:7] op_sel:[0,1]
	v_pk_mov_b32 v[8:9], v[4:5], v[4:5] op_sel:[0,1]
	v_pk_mov_b32 v[6:7], v[2:3], v[2:3] op_sel:[0,1]
	v_pk_mov_b32 v[4:5], v[0:1], v[0:1] op_sel:[0,1]
	s_and_saveexec_b64 s[8:9], s[4:5]
	s_cbranch_execz .LBB2228_9
; %bb.8:
	v_mov_b32_e32 v1, s7
	v_add_co_u32_e32 v4, vcc, s6, v36
	v_addc_co_u32_e32 v5, vcc, 0, v1, vcc
	flat_load_dwordx2 v[20:21], v[4:5]
	v_mov_b32_e32 v4, v2
	v_mov_b32_e32 v5, v3
	;; [unrolled: 1-line block ×10, first 2 shown]
	v_pk_mov_b32 v[18:19], v[14:15], v[14:15] op_sel:[0,1]
	v_pk_mov_b32 v[16:17], v[12:13], v[12:13] op_sel:[0,1]
	;; [unrolled: 1-line block ×8, first 2 shown]
	s_waitcnt vmcnt(0) lgkmcnt(0)
	v_pk_mov_b32 v[2:3], v[20:21], v[20:21] op_sel:[0,1]
.LBB2228_9:
	s_or_b64 exec, exec, s[8:9]
	v_or_b32_e32 v1, 0x80, v0
	v_cmp_gt_u32_e32 vcc, s33, v1
	s_and_saveexec_b64 s[4:5], vcc
	s_cbranch_execz .LBB2228_11
; %bb.10:
	v_mov_b32_e32 v1, s7
	v_add_co_u32_e32 v4, vcc, s6, v36
	v_addc_co_u32_e32 v5, vcc, 0, v1, vcc
	flat_load_dwordx2 v[6:7], v[4:5] offset:1024
.LBB2228_11:
	s_or_b64 exec, exec, s[4:5]
	v_or_b32_e32 v1, 0x100, v0
	v_cmp_gt_u32_e32 vcc, s33, v1
	s_and_saveexec_b64 s[4:5], vcc
	s_cbranch_execz .LBB2228_13
; %bb.12:
	v_mov_b32_e32 v1, s7
	v_add_co_u32_e32 v4, vcc, s6, v36
	v_addc_co_u32_e32 v5, vcc, 0, v1, vcc
	flat_load_dwordx2 v[8:9], v[4:5] offset:2048
.LBB2228_13:
	;; [unrolled: 11-line block ×3, first 2 shown]
	s_or_b64 exec, exec, s[4:5]
	v_or_b32_e32 v1, 0x200, v0
	v_cmp_gt_u32_e32 vcc, s33, v1
	s_and_saveexec_b64 s[4:5], vcc
	s_cbranch_execz .LBB2228_17
; %bb.16:
	v_lshlrev_b32_e32 v1, 3, v1
	v_mov_b32_e32 v5, s7
	v_add_co_u32_e32 v4, vcc, s6, v1
	v_addc_co_u32_e32 v5, vcc, 0, v5, vcc
	flat_load_dwordx2 v[12:13], v[4:5]
.LBB2228_17:
	s_or_b64 exec, exec, s[4:5]
	v_or_b32_e32 v1, 0x280, v0
	v_cmp_gt_u32_e32 vcc, s33, v1
	s_and_saveexec_b64 s[4:5], vcc
	s_cbranch_execz .LBB2228_19
; %bb.18:
	v_lshlrev_b32_e32 v1, 3, v1
	v_mov_b32_e32 v5, s7
	v_add_co_u32_e32 v4, vcc, s6, v1
	v_addc_co_u32_e32 v5, vcc, 0, v5, vcc
	flat_load_dwordx2 v[14:15], v[4:5]
.LBB2228_19:
	;; [unrolled: 12-line block ×3, first 2 shown]
	s_or_b64 exec, exec, s[4:5]
	s_waitcnt vmcnt(0) lgkmcnt(0)
	ds_write2st64_b64 v36, v[2:3], v[6:7] offset1:2
	ds_write2st64_b64 v36, v[8:9], v[10:11] offset0:4 offset1:6
	ds_write2st64_b64 v36, v[12:13], v[14:15] offset0:8 offset1:10
	ds_write_b64 v36, v[16:17] offset:6144
	s_waitcnt lgkmcnt(0)
	s_barrier
.LBB2228_22:
	v_mul_u32_u24_e32 v37, 7, v0
	v_lshlrev_b32_e32 v38, 3, v37
	ds_read2_b64 v[10:13], v38 offset1:1
	ds_read2_b64 v[6:9], v38 offset0:2 offset1:3
	ds_read2_b64 v[2:5], v38 offset0:4 offset1:5
	ds_read_b64 v[26:27], v38 offset:48
	s_cmp_lg_u32 s41, 0
	s_waitcnt lgkmcnt(3)
	v_cmp_gt_u64_e64 s[4:5], v[10:11], v[12:13]
	v_lshrrev_b32_e32 v1, 5, v0
	v_cmp_gt_u32_e32 vcc, 64, v0
	s_waitcnt lgkmcnt(0)
	s_barrier
	s_cbranch_scc0 .LBB2228_49
; %bb.23:
	v_cndmask_b32_e64 v15, v13, v11, s[4:5]
	v_cndmask_b32_e64 v14, v12, v10, s[4:5]
	v_cmp_gt_u64_e64 s[4:5], v[14:15], v[6:7]
	v_cndmask_b32_e64 v15, v7, v15, s[4:5]
	v_cndmask_b32_e64 v14, v6, v14, s[4:5]
	v_cmp_gt_u64_e64 s[4:5], v[14:15], v[8:9]
	;; [unrolled: 3-line block ×5, first 2 shown]
	v_cndmask_b32_e64 v23, v27, v15, s[4:5]
	v_cndmask_b32_e64 v22, v26, v14, s[4:5]
	v_add_lshl_u32 v14, v1, v0, 3
	ds_write_b64 v14, v[22:23]
	s_waitcnt lgkmcnt(0)
	s_barrier
	s_and_saveexec_b64 s[8:9], vcc
	s_cbranch_execz .LBB2228_27
; %bb.24:
	v_lshlrev_b32_e32 v14, 1, v0
	v_lshrrev_b32_e32 v15, 4, v0
	v_add_lshl_u32 v24, v15, v14, 3
	ds_read2_b64 v[14:17], v24 offset1:1
	v_mbcnt_lo_u32_b32 v18, -1, 0
	v_mbcnt_hi_u32_b32 v25, -1, v18
	v_and_b32_e32 v28, 15, v25
	v_and_b32_e32 v30, 16, v25
	s_waitcnt lgkmcnt(0)
	v_cmp_gt_u64_e64 s[4:5], v[14:15], v[16:17]
	v_cndmask_b32_e64 v17, v17, v15, s[4:5]
	v_cndmask_b32_e64 v16, v16, v14, s[4:5]
	v_cmp_ne_u32_e64 s[6:7], 0, v25
	v_mov_b32_dpp v19, v17 row_shr:1 row_mask:0xf bank_mask:0xf
	v_mov_b32_dpp v18, v16 row_shr:1 row_mask:0xf bank_mask:0xf
	v_cmp_gt_u64_e64 s[4:5], v[18:19], v[16:17]
	v_cndmask_b32_e64 v18, v16, v18, s[4:5]
	v_cndmask_b32_e64 v19, v17, v19, s[4:5]
	v_cmp_eq_u32_e64 s[4:5], 0, v28
	v_cndmask_b32_e64 v19, v19, v17, s[4:5]
	v_cndmask_b32_e64 v18, v18, v16, s[4:5]
	s_nop 0
	v_mov_b32_dpp v21, v19 row_shr:2 row_mask:0xf bank_mask:0xf
	v_mov_b32_dpp v20, v18 row_shr:2 row_mask:0xf bank_mask:0xf
	v_cmp_gt_u64_e64 s[4:5], v[20:21], v[18:19]
	v_cndmask_b32_e64 v20, v18, v20, s[4:5]
	v_cndmask_b32_e64 v21, v19, v21, s[4:5]
	v_cmp_lt_u32_e64 s[4:5], 1, v28
	v_cndmask_b32_e64 v19, v19, v21, s[4:5]
	v_cndmask_b32_e64 v18, v18, v20, s[4:5]
	s_nop 0
	v_mov_b32_dpp v21, v19 row_shr:4 row_mask:0xf bank_mask:0xf
	v_mov_b32_dpp v20, v18 row_shr:4 row_mask:0xf bank_mask:0xf
	v_cmp_gt_u64_e64 s[4:5], v[20:21], v[18:19]
	v_cndmask_b32_e64 v20, v18, v20, s[4:5]
	v_cndmask_b32_e64 v21, v19, v21, s[4:5]
	v_cmp_lt_u32_e64 s[4:5], 3, v28
	;; [unrolled: 9-line block ×3, first 2 shown]
	v_cndmask_b32_e64 v19, v19, v21, s[4:5]
	v_cndmask_b32_e64 v18, v18, v20, s[4:5]
	s_nop 0
	v_mov_b32_dpp v21, v19 row_bcast:15 row_mask:0xf bank_mask:0xf
	v_mov_b32_dpp v20, v18 row_bcast:15 row_mask:0xf bank_mask:0xf
	v_cmp_gt_u64_e64 s[4:5], v[20:21], v[18:19]
	v_cndmask_b32_e64 v28, v19, v21, s[4:5]
	v_cndmask_b32_e64 v29, v18, v20, s[4:5]
	v_cmp_eq_u32_e64 s[4:5], 0, v30
	v_cndmask_b32_e64 v21, v28, v19, s[4:5]
	v_cndmask_b32_e64 v20, v29, v18, s[4:5]
	s_nop 0
	v_mov_b32_dpp v21, v21 row_bcast:31 row_mask:0xf bank_mask:0xf
	v_mov_b32_dpp v20, v20 row_bcast:31 row_mask:0xf bank_mask:0xf
	s_and_saveexec_b64 s[10:11], s[6:7]
; %bb.25:
	v_cndmask_b32_e64 v17, v28, v19, s[4:5]
	v_cndmask_b32_e64 v16, v29, v18, s[4:5]
	v_cmp_lt_u32_e64 s[6:7], 31, v25
	v_cmp_gt_u64_e64 s[4:5], v[20:21], v[16:17]
	s_and_b64 s[4:5], s[6:7], s[4:5]
	v_cndmask_b32_e64 v16, v16, v20, s[4:5]
	v_cndmask_b32_e64 v17, v17, v21, s[4:5]
; %bb.26:
	s_or_b64 exec, exec, s[10:11]
	v_add_u32_e32 v18, -1, v25
	v_and_b32_e32 v19, 64, v25
	v_cmp_lt_i32_e64 s[4:5], v18, v19
	v_cndmask_b32_e64 v18, v18, v25, s[4:5]
	v_lshlrev_b32_e32 v18, 2, v18
	ds_bpermute_b32 v16, v18, v16
	ds_bpermute_b32 v17, v18, v17
	; wave barrier
	s_waitcnt lgkmcnt(0)
	v_cmp_gt_u64_e64 s[4:5], v[16:17], v[14:15]
	v_cndmask_b32_e64 v14, v14, v16, s[4:5]
	v_cndmask_b32_e64 v15, v15, v17, s[4:5]
	;; [unrolled: 1-line block ×4, first 2 shown]
	ds_write_b64 v24, v[14:15]
	; wave barrier
	ds_read_b64 v[16:17], v24 offset:8
	s_waitcnt lgkmcnt(0)
	v_cmp_gt_u64_e64 s[4:5], v[14:15], v[16:17]
	v_cndmask_b32_e64 v15, v17, v15, s[4:5]
	v_cndmask_b32_e64 v14, v16, v14, s[4:5]
	ds_write_b64 v24, v[14:15] offset:8
.LBB2228_27:
	s_or_b64 exec, exec, s[8:9]
	s_waitcnt lgkmcnt(0)
	s_barrier
	s_and_saveexec_b64 s[4:5], s[2:3]
	s_cbranch_execz .LBB2228_29
; %bb.28:
	v_add_u32_e32 v14, -1, v0
	v_lshrrev_b32_e32 v15, 5, v14
	v_add_lshl_u32 v14, v15, v14, 3
	ds_read_b64 v[22:23], v14
.LBB2228_29:
	s_or_b64 exec, exec, s[4:5]
	s_and_saveexec_b64 s[36:37], vcc
	s_cbranch_execz .LBB2228_48
; %bb.30:
	v_mov_b32_e32 v17, 0
	ds_read_b64 v[14:15], v17 offset:1040
	v_mbcnt_lo_u32_b32 v16, -1, 0
	v_mbcnt_hi_u32_b32 v25, -1, v16
	s_mov_b32 s9, 0
	v_cmp_eq_u32_e64 s[4:5], 0, v25
	s_and_saveexec_b64 s[6:7], s[4:5]
	s_cbranch_execz .LBB2228_32
; %bb.31:
	s_add_i32 s8, s41, 64
	s_lshl_b64 s[8:9], s[8:9], 4
	s_add_u32 s8, s14, s8
	s_addc_u32 s9, s15, s9
	v_mov_b32_e32 v16, 1
	v_pk_mov_b32 v[18:19], s[8:9], s[8:9] op_sel:[0,1]
	s_waitcnt lgkmcnt(0)
	;;#ASMSTART
	global_store_dwordx4 v[18:19], v[14:17] off	
s_waitcnt vmcnt(0)
	;;#ASMEND
.LBB2228_32:
	s_or_b64 exec, exec, s[6:7]
	v_xad_u32 v24, v25, -1, s41
	v_add_u32_e32 v16, 64, v24
	v_lshlrev_b64 v[18:19], 4, v[16:17]
	v_mov_b32_e32 v16, s15
	v_add_co_u32_e32 v28, vcc, s14, v18
	v_addc_co_u32_e32 v29, vcc, v16, v19, vcc
	;;#ASMSTART
	global_load_dwordx4 v[18:21], v[28:29] off glc	
s_waitcnt vmcnt(0)
	;;#ASMEND
	v_and_b32_e32 v16, 0xff, v19
	v_and_b32_e32 v21, 0xff00, v19
	v_or3_b32 v16, 0, v16, v21
	v_or3_b32 v18, v18, 0, 0
	v_and_b32_e32 v21, 0xff000000, v19
	v_and_b32_e32 v19, 0xff0000, v19
	v_or3_b32 v19, v16, v19, v21
	v_or3_b32 v18, v18, 0, 0
	v_cmp_eq_u16_sdwa s[8:9], v20, v17 src0_sel:BYTE_0 src1_sel:DWORD
	s_and_saveexec_b64 s[6:7], s[8:9]
	s_cbranch_execz .LBB2228_36
; %bb.33:
	s_mov_b64 s[8:9], 0
	v_mov_b32_e32 v16, 0
.LBB2228_34:                            ; =>This Inner Loop Header: Depth=1
	;;#ASMSTART
	global_load_dwordx4 v[18:21], v[28:29] off glc	
s_waitcnt vmcnt(0)
	;;#ASMEND
	v_cmp_ne_u16_sdwa s[10:11], v20, v16 src0_sel:BYTE_0 src1_sel:DWORD
	s_or_b64 s[8:9], s[10:11], s[8:9]
	s_andn2_b64 exec, exec, s[8:9]
	s_cbranch_execnz .LBB2228_34
; %bb.35:
	s_or_b64 exec, exec, s[8:9]
.LBB2228_36:
	s_or_b64 exec, exec, s[6:7]
	v_and_b32_e32 v33, 63, v25
	v_cmp_ne_u32_e32 vcc, 63, v33
	v_mov_b32_e32 v32, 2
	v_addc_co_u32_e32 v28, vcc, 0, v25, vcc
	v_cmp_eq_u16_sdwa s[6:7], v20, v32 src0_sel:BYTE_0 src1_sel:DWORD
	v_lshlrev_b64 v[16:17], v25, -1
	v_lshlrev_b32_e32 v34, 2, v28
	v_and_b32_e32 v21, s7, v17
	ds_bpermute_b32 v28, v34, v18
	ds_bpermute_b32 v29, v34, v19
	v_or_b32_e32 v21, 0x80000000, v21
	v_and_b32_e32 v30, s6, v16
	v_ffbl_b32_e32 v21, v21
	v_add_u32_e32 v21, 32, v21
	v_ffbl_b32_e32 v30, v30
	v_min_u32_e32 v21, v30, v21
	s_waitcnt lgkmcnt(0)
	v_cmp_gt_u64_e64 s[6:7], v[28:29], v[18:19]
	v_cmp_lt_u32_e32 vcc, v33, v21
	v_cndmask_b32_e64 v28, v18, v28, s[6:7]
	s_and_b64 s[6:7], vcc, s[6:7]
	v_cndmask_b32_e64 v29, v19, v29, s[6:7]
	v_cmp_gt_u32_e64 s[6:7], 62, v33
	v_cndmask_b32_e64 v30, 0, 1, s[6:7]
	v_lshlrev_b32_e32 v30, 1, v30
	v_cndmask_b32_e32 v28, v18, v28, vcc
	v_add_lshl_u32 v35, v30, v25, 2
	ds_bpermute_b32 v30, v35, v28
	ds_bpermute_b32 v31, v35, v29
	v_add_u32_e32 v39, 2, v33
	v_cmp_gt_u32_e64 s[8:9], 56, v33
	v_add_u32_e32 v41, 4, v33
	v_cndmask_b32_e64 v42, 0, 1, s[8:9]
	s_waitcnt lgkmcnt(0)
	v_cmp_gt_u64_e64 s[6:7], v[30:31], v[28:29]
	v_cndmask_b32_e64 v31, v29, v31, s[6:7]
	v_cndmask_b32_e64 v30, v28, v30, s[6:7]
	v_cmp_gt_u32_e64 s[6:7], v39, v21
	v_cndmask_b32_e64 v28, v30, v28, s[6:7]
	v_cndmask_b32_e64 v29, v31, v29, s[6:7]
	v_cmp_gt_u32_e64 s[6:7], 60, v33
	v_cndmask_b32_e64 v30, 0, 1, s[6:7]
	v_lshlrev_b32_e32 v30, 2, v30
	v_add_lshl_u32 v40, v30, v25, 2
	ds_bpermute_b32 v30, v40, v28
	ds_bpermute_b32 v31, v40, v29
	v_lshlrev_b32_e32 v42, 3, v42
	v_add_lshl_u32 v42, v42, v25, 2
	v_cmp_gt_u32_e64 s[10:11], 48, v33
	v_add_u32_e32 v43, 8, v33
	s_waitcnt lgkmcnt(0)
	v_cmp_gt_u64_e64 s[6:7], v[30:31], v[28:29]
	v_cndmask_b32_e64 v50, v29, v31, s[6:7]
	v_cndmask_b32_e64 v51, v28, v30, s[6:7]
	v_cmp_gt_u32_e64 s[6:7], v41, v21
	v_cndmask_b32_e64 v30, v51, v28, s[6:7]
	v_cndmask_b32_e64 v31, v50, v29, s[6:7]
	ds_bpermute_b32 v44, v42, v30
	ds_bpermute_b32 v45, v42, v31
	v_cmp_gt_u32_e64 s[12:13], 32, v33
	v_cndmask_b32_e32 v19, v19, v29, vcc
	v_cndmask_b32_e32 v18, v18, v28, vcc
	v_cndmask_b32_e64 v18, v51, v18, s[6:7]
	s_waitcnt lgkmcnt(0)
	v_cmp_gt_u64_e64 s[8:9], v[44:45], v[30:31]
	v_cndmask_b32_e64 v53, v30, v44, s[8:9]
	v_cndmask_b32_e64 v44, 0, 1, s[10:11]
	v_cndmask_b32_e64 v52, v31, v45, s[8:9]
	v_cmp_gt_u32_e64 s[8:9], v43, v21
	v_lshlrev_b32_e32 v44, 4, v44
	v_cndmask_b32_e64 v30, v53, v30, s[8:9]
	v_cndmask_b32_e64 v31, v52, v31, s[8:9]
	v_add_lshl_u32 v44, v44, v25, 2
	ds_bpermute_b32 v46, v44, v30
	ds_bpermute_b32 v47, v44, v31
	v_add_u32_e32 v45, 16, v33
	v_cndmask_b32_e64 v19, v50, v19, s[6:7]
	v_cndmask_b32_e64 v19, v52, v19, s[8:9]
	;; [unrolled: 1-line block ×3, first 2 shown]
	s_waitcnt lgkmcnt(0)
	v_cmp_gt_u64_e64 s[10:11], v[46:47], v[30:31]
	v_cndmask_b32_e64 v55, v30, v46, s[10:11]
	v_cndmask_b32_e64 v46, 0, 1, s[12:13]
	;; [unrolled: 1-line block ×3, first 2 shown]
	v_cmp_gt_u32_e64 s[10:11], v45, v21
	v_lshlrev_b32_e32 v46, 5, v46
	v_cndmask_b32_e64 v30, v55, v30, s[10:11]
	v_add_lshl_u32 v46, v46, v25, 2
	v_cndmask_b32_e64 v31, v54, v31, s[10:11]
	ds_bpermute_b32 v48, v46, v30
	ds_bpermute_b32 v49, v46, v31
	v_add_u32_e32 v47, 32, v33
	v_cndmask_b32_e64 v18, v55, v18, s[10:11]
	v_cndmask_b32_e64 v19, v54, v19, s[10:11]
	v_cmp_gt_u32_e32 vcc, v47, v21
	s_waitcnt lgkmcnt(0)
	v_cmp_gt_u64_e64 s[12:13], v[48:49], v[30:31]
	v_cndmask_b32_e64 v25, v30, v48, s[12:13]
	v_cndmask_b32_e64 v30, v31, v49, s[12:13]
	v_cndmask_b32_e32 v19, v30, v19, vcc
	v_cndmask_b32_e32 v18, v25, v18, vcc
	v_mov_b32_e32 v25, 0
	s_branch .LBB2228_38
.LBB2228_37:                            ;   in Loop: Header=BB2228_38 Depth=1
	s_or_b64 exec, exec, s[6:7]
	v_cmp_eq_u16_sdwa s[6:7], v20, v32 src0_sel:BYTE_0 src1_sel:DWORD
	v_and_b32_e32 v21, s7, v17
	ds_bpermute_b32 v30, v34, v18
	ds_bpermute_b32 v31, v34, v19
	v_or_b32_e32 v21, 0x80000000, v21
	v_and_b32_e32 v48, s6, v16
	v_ffbl_b32_e32 v21, v21
	v_add_u32_e32 v21, 32, v21
	v_ffbl_b32_e32 v48, v48
	v_min_u32_e32 v21, v48, v21
	s_waitcnt lgkmcnt(0)
	v_cmp_gt_u64_e32 vcc, v[30:31], v[18:19]
	v_cmp_lt_u32_e64 s[6:7], v33, v21
	v_cndmask_b32_e32 v30, v18, v30, vcc
	s_and_b64 vcc, s[6:7], vcc
	v_cndmask_b32_e64 v30, v18, v30, s[6:7]
	v_cndmask_b32_e32 v31, v19, v31, vcc
	ds_bpermute_b32 v48, v35, v30
	ds_bpermute_b32 v49, v35, v31
	v_subrev_u32_e32 v24, 64, v24
	s_waitcnt lgkmcnt(0)
	v_cmp_gt_u64_e32 vcc, v[48:49], v[30:31]
	v_cndmask_b32_e32 v49, v31, v49, vcc
	v_cndmask_b32_e32 v48, v30, v48, vcc
	v_cmp_gt_u32_e32 vcc, v39, v21
	v_cndmask_b32_e32 v30, v48, v30, vcc
	v_cndmask_b32_e32 v31, v49, v31, vcc
	ds_bpermute_b32 v48, v40, v30
	ds_bpermute_b32 v49, v40, v31
	v_cndmask_b32_e64 v19, v19, v31, s[6:7]
	v_cndmask_b32_e64 v18, v18, v30, s[6:7]
	s_waitcnt lgkmcnt(0)
	v_cmp_gt_u64_e32 vcc, v[48:49], v[30:31]
	v_cndmask_b32_e32 v52, v31, v49, vcc
	v_cndmask_b32_e32 v53, v30, v48, vcc
	v_cmp_gt_u32_e32 vcc, v41, v21
	v_cndmask_b32_e32 v48, v53, v30, vcc
	v_cndmask_b32_e32 v49, v52, v31, vcc
	ds_bpermute_b32 v50, v42, v48
	ds_bpermute_b32 v51, v42, v49
	v_cndmask_b32_e32 v18, v53, v18, vcc
	v_cndmask_b32_e32 v19, v52, v19, vcc
	v_cmp_gt_u32_e32 vcc, v47, v21
	s_waitcnt lgkmcnt(0)
	v_cmp_gt_u64_e64 s[8:9], v[50:51], v[48:49]
	v_cndmask_b32_e64 v54, v49, v51, s[8:9]
	v_cndmask_b32_e64 v55, v48, v50, s[8:9]
	v_cmp_gt_u32_e64 s[8:9], v43, v21
	v_cndmask_b32_e64 v48, v55, v48, s[8:9]
	v_cndmask_b32_e64 v49, v54, v49, s[8:9]
	ds_bpermute_b32 v50, v44, v48
	ds_bpermute_b32 v51, v44, v49
	v_cndmask_b32_e64 v19, v54, v19, s[8:9]
	v_cndmask_b32_e64 v18, v55, v18, s[8:9]
	s_waitcnt lgkmcnt(0)
	v_cmp_gt_u64_e64 s[10:11], v[50:51], v[48:49]
	v_cndmask_b32_e64 v56, v49, v51, s[10:11]
	v_cndmask_b32_e64 v57, v48, v50, s[10:11]
	v_cmp_gt_u32_e64 s[10:11], v45, v21
	v_cndmask_b32_e64 v48, v57, v48, s[10:11]
	v_cndmask_b32_e64 v49, v56, v49, s[10:11]
	ds_bpermute_b32 v50, v46, v48
	ds_bpermute_b32 v51, v46, v49
	v_cndmask_b32_e64 v18, v57, v18, s[10:11]
	v_cndmask_b32_e64 v19, v56, v19, s[10:11]
	s_waitcnt lgkmcnt(0)
	v_cmp_gt_u64_e64 s[12:13], v[50:51], v[48:49]
	v_cndmask_b32_e64 v48, v48, v50, s[12:13]
	v_cndmask_b32_e64 v49, v49, v51, s[12:13]
	v_cndmask_b32_e32 v19, v49, v19, vcc
	v_cndmask_b32_e32 v18, v48, v18, vcc
	v_cmp_gt_u64_e32 vcc, v[18:19], v[28:29]
	v_cndmask_b32_e32 v19, v29, v19, vcc
	v_cndmask_b32_e32 v18, v28, v18, vcc
.LBB2228_38:                            ; =>This Loop Header: Depth=1
                                        ;     Child Loop BB2228_41 Depth 2
	v_cmp_ne_u16_sdwa s[6:7], v20, v32 src0_sel:BYTE_0 src1_sel:DWORD
	v_cndmask_b32_e64 v20, 0, 1, s[6:7]
	;;#ASMSTART
	;;#ASMEND
	v_cmp_ne_u32_e32 vcc, 0, v20
	s_cmp_lg_u64 vcc, exec
	v_pk_mov_b32 v[28:29], v[18:19], v[18:19] op_sel:[0,1]
	s_cbranch_scc1 .LBB2228_43
; %bb.39:                               ;   in Loop: Header=BB2228_38 Depth=1
	v_lshlrev_b64 v[18:19], 4, v[24:25]
	v_mov_b32_e32 v20, s15
	v_add_co_u32_e32 v30, vcc, s14, v18
	v_addc_co_u32_e32 v31, vcc, v20, v19, vcc
	;;#ASMSTART
	global_load_dwordx4 v[18:21], v[30:31] off glc	
s_waitcnt vmcnt(0)
	;;#ASMEND
	v_and_b32_e32 v21, 0xff, v19
	v_and_b32_e32 v48, 0xff00, v19
	v_or3_b32 v21, 0, v21, v48
	v_or3_b32 v18, v18, 0, 0
	v_and_b32_e32 v48, 0xff000000, v19
	v_and_b32_e32 v19, 0xff0000, v19
	v_or3_b32 v19, v21, v19, v48
	v_or3_b32 v18, v18, 0, 0
	v_cmp_eq_u16_sdwa s[8:9], v20, v25 src0_sel:BYTE_0 src1_sel:DWORD
	s_and_saveexec_b64 s[6:7], s[8:9]
	s_cbranch_execz .LBB2228_37
; %bb.40:                               ;   in Loop: Header=BB2228_38 Depth=1
	s_mov_b64 s[8:9], 0
.LBB2228_41:                            ;   Parent Loop BB2228_38 Depth=1
                                        ; =>  This Inner Loop Header: Depth=2
	;;#ASMSTART
	global_load_dwordx4 v[18:21], v[30:31] off glc	
s_waitcnt vmcnt(0)
	;;#ASMEND
	v_cmp_ne_u16_sdwa s[10:11], v20, v25 src0_sel:BYTE_0 src1_sel:DWORD
	s_or_b64 s[8:9], s[10:11], s[8:9]
	s_andn2_b64 exec, exec, s[8:9]
	s_cbranch_execnz .LBB2228_41
; %bb.42:                               ;   in Loop: Header=BB2228_38 Depth=1
	s_or_b64 exec, exec, s[8:9]
	s_branch .LBB2228_37
.LBB2228_43:                            ;   in Loop: Header=BB2228_38 Depth=1
                                        ; implicit-def: $vgpr18_vgpr19
                                        ; implicit-def: $vgpr20
	s_cbranch_execz .LBB2228_38
; %bb.44:
	s_and_saveexec_b64 s[6:7], s[4:5]
	s_cbranch_execz .LBB2228_46
; %bb.45:
	s_add_i32 s4, s41, 64
	s_mov_b32 s5, 0
	s_lshl_b64 s[4:5], s[4:5], 4
	s_add_u32 s4, s14, s4
	v_cmp_gt_u64_e32 vcc, v[28:29], v[14:15]
	s_addc_u32 s5, s15, s5
	v_cndmask_b32_e32 v15, v15, v29, vcc
	v_cndmask_b32_e32 v14, v14, v28, vcc
	v_mov_b32_e32 v16, 2
	v_mov_b32_e32 v17, 0
	v_pk_mov_b32 v[18:19], s[4:5], s[4:5] op_sel:[0,1]
	;;#ASMSTART
	global_store_dwordx4 v[18:19], v[14:17] off	
s_waitcnt vmcnt(0)
	;;#ASMEND
.LBB2228_46:
	s_or_b64 exec, exec, s[6:7]
	s_and_b64 exec, exec, s[0:1]
	s_cbranch_execz .LBB2228_48
; %bb.47:
	v_mov_b32_e32 v14, 0
	ds_write_b64 v14, v[28:29]
.LBB2228_48:
	s_or_b64 exec, exec, s[36:37]
	v_mov_b32_e32 v14, 0
	s_waitcnt lgkmcnt(0)
	s_barrier
	ds_read_b64 v[14:15], v14
	s_waitcnt lgkmcnt(0)
	v_cmp_gt_u64_e32 vcc, v[14:15], v[22:23]
	v_cndmask_b32_e32 v16, v22, v14, vcc
	v_cndmask_b32_e32 v17, v23, v15, vcc
	v_cndmask_b32_e64 v15, v17, v15, s[0:1]
	v_cndmask_b32_e64 v14, v16, v14, s[0:1]
	v_cmp_gt_u64_e32 vcc, v[14:15], v[10:11]
	v_cndmask_b32_e32 v29, v11, v15, vcc
	v_cndmask_b32_e32 v28, v10, v14, vcc
	v_cmp_gt_u64_e32 vcc, v[28:29], v[12:13]
	v_cndmask_b32_e32 v19, v13, v29, vcc
	v_cndmask_b32_e32 v18, v12, v28, vcc
	;; [unrolled: 3-line block ×6, first 2 shown]
	s_branch .LBB2228_61
.LBB2228_49:
                                        ; implicit-def: $vgpr34_vgpr35
                                        ; implicit-def: $vgpr32_vgpr33
                                        ; implicit-def: $vgpr30_vgpr31
                                        ; implicit-def: $vgpr28_vgpr29
                                        ; implicit-def: $vgpr22_vgpr23_vgpr24_vgpr25
                                        ; implicit-def: $vgpr18_vgpr19_vgpr20_vgpr21
                                        ; implicit-def: $vgpr14_vgpr15_vgpr16_vgpr17
	s_cbranch_execz .LBB2228_61
; %bb.50:
	s_cmp_eq_u64 s[20:21], 0
	v_pk_mov_b32 v[20:21], s[34:35], s[34:35] op_sel:[0,1]
	s_cbranch_scc1 .LBB2228_52
; %bb.51:
	v_mov_b32_e32 v17, s40
	v_add_co_u32_e64 v16, vcc, -8, s39
	v_mov_b32_e32 v14, 0
	v_addc_co_u32_e32 v17, vcc, -1, v17, vcc
	global_load_dwordx2 v[14:15], v14, s[16:17]
	s_nop 0
	flat_load_dwordx2 v[16:17], v[16:17]
	s_waitcnt vmcnt(0) lgkmcnt(0)
	v_cmp_gt_u64_e32 vcc, v[14:15], v[16:17]
	v_cndmask_b32_e32 v21, v17, v15, vcc
	v_cndmask_b32_e32 v20, v16, v14, vcc
.LBB2228_52:
	v_cmp_gt_u64_e32 vcc, v[10:11], v[12:13]
	v_cndmask_b32_e32 v15, v13, v11, vcc
	v_cndmask_b32_e32 v14, v12, v10, vcc
	v_cmp_gt_u64_e32 vcc, v[14:15], v[6:7]
	v_cndmask_b32_e32 v15, v7, v15, vcc
	v_cndmask_b32_e32 v14, v6, v14, vcc
	;; [unrolled: 3-line block ×6, first 2 shown]
	v_add_lshl_u32 v1, v1, v0, 3
	v_cmp_gt_u32_e32 vcc, 64, v0
	ds_write_b64 v1, v[18:19]
	s_waitcnt lgkmcnt(0)
	s_barrier
	s_and_saveexec_b64 s[6:7], vcc
	s_cbranch_execz .LBB2228_56
; %bb.53:
	v_lshlrev_b32_e32 v1, 1, v0
	v_lshrrev_b32_e32 v14, 4, v0
	v_add_lshl_u32 v1, v14, v1, 3
	ds_read2_b64 v[14:17], v1 offset1:1
	v_mbcnt_lo_u32_b32 v22, -1, 0
	v_mbcnt_hi_u32_b32 v26, -1, v22
	v_and_b32_e32 v27, 15, v26
	v_and_b32_e32 v29, 16, v26
	s_waitcnt lgkmcnt(0)
	v_cmp_gt_u64_e32 vcc, v[14:15], v[16:17]
	v_cndmask_b32_e32 v17, v17, v15, vcc
	v_cndmask_b32_e32 v16, v16, v14, vcc
	v_cmp_ne_u32_e64 s[4:5], 0, v26
	v_mov_b32_dpp v23, v17 row_shr:1 row_mask:0xf bank_mask:0xf
	v_mov_b32_dpp v22, v16 row_shr:1 row_mask:0xf bank_mask:0xf
	v_cmp_gt_u64_e32 vcc, v[22:23], v[16:17]
	v_cndmask_b32_e32 v22, v16, v22, vcc
	v_cndmask_b32_e32 v23, v17, v23, vcc
	v_cmp_eq_u32_e32 vcc, 0, v27
	v_cndmask_b32_e32 v23, v23, v17, vcc
	v_cndmask_b32_e32 v22, v22, v16, vcc
	s_nop 0
	v_mov_b32_dpp v25, v23 row_shr:2 row_mask:0xf bank_mask:0xf
	v_mov_b32_dpp v24, v22 row_shr:2 row_mask:0xf bank_mask:0xf
	v_cmp_gt_u64_e32 vcc, v[24:25], v[22:23]
	v_cndmask_b32_e32 v24, v22, v24, vcc
	v_cndmask_b32_e32 v25, v23, v25, vcc
	v_cmp_lt_u32_e32 vcc, 1, v27
	v_cndmask_b32_e32 v23, v23, v25, vcc
	v_cndmask_b32_e32 v22, v22, v24, vcc
	s_nop 0
	v_mov_b32_dpp v25, v23 row_shr:4 row_mask:0xf bank_mask:0xf
	v_mov_b32_dpp v24, v22 row_shr:4 row_mask:0xf bank_mask:0xf
	v_cmp_gt_u64_e32 vcc, v[24:25], v[22:23]
	v_cndmask_b32_e32 v24, v22, v24, vcc
	v_cndmask_b32_e32 v25, v23, v25, vcc
	v_cmp_lt_u32_e32 vcc, 3, v27
	v_cndmask_b32_e32 v23, v23, v25, vcc
	v_cndmask_b32_e32 v22, v22, v24, vcc
	s_nop 0
	v_mov_b32_dpp v25, v23 row_shr:8 row_mask:0xf bank_mask:0xf
	v_mov_b32_dpp v24, v22 row_shr:8 row_mask:0xf bank_mask:0xf
	v_cmp_gt_u64_e32 vcc, v[24:25], v[22:23]
	v_cndmask_b32_e32 v24, v22, v24, vcc
	v_cndmask_b32_e32 v25, v23, v25, vcc
	v_cmp_lt_u32_e32 vcc, 7, v27
	v_cndmask_b32_e32 v23, v23, v25, vcc
	v_cndmask_b32_e32 v22, v22, v24, vcc
	s_nop 0
	v_mov_b32_dpp v25, v23 row_bcast:15 row_mask:0xf bank_mask:0xf
	v_mov_b32_dpp v24, v22 row_bcast:15 row_mask:0xf bank_mask:0xf
	v_cmp_gt_u64_e32 vcc, v[24:25], v[22:23]
	v_cndmask_b32_e32 v27, v23, v25, vcc
	v_cndmask_b32_e32 v28, v22, v24, vcc
	v_cmp_eq_u32_e32 vcc, 0, v29
	v_cndmask_b32_e32 v25, v27, v23, vcc
	v_cndmask_b32_e32 v24, v28, v22, vcc
	s_nop 0
	v_mov_b32_dpp v25, v25 row_bcast:31 row_mask:0xf bank_mask:0xf
	v_mov_b32_dpp v24, v24 row_bcast:31 row_mask:0xf bank_mask:0xf
	s_and_saveexec_b64 s[8:9], s[4:5]
; %bb.54:
	v_cndmask_b32_e32 v17, v27, v23, vcc
	v_cndmask_b32_e32 v16, v28, v22, vcc
	v_cmp_lt_u32_e64 s[4:5], 31, v26
	v_cmp_gt_u64_e32 vcc, v[24:25], v[16:17]
	s_and_b64 vcc, s[4:5], vcc
	v_cndmask_b32_e32 v16, v16, v24, vcc
	v_cndmask_b32_e32 v17, v17, v25, vcc
; %bb.55:
	s_or_b64 exec, exec, s[8:9]
	v_add_u32_e32 v22, -1, v26
	v_and_b32_e32 v23, 64, v26
	v_cmp_lt_i32_e32 vcc, v22, v23
	v_cndmask_b32_e32 v22, v22, v26, vcc
	v_lshlrev_b32_e32 v22, 2, v22
	ds_bpermute_b32 v16, v22, v16
	ds_bpermute_b32 v17, v22, v17
	; wave barrier
	s_waitcnt lgkmcnt(0)
	v_cmp_gt_u64_e32 vcc, v[16:17], v[14:15]
	v_cndmask_b32_e32 v14, v14, v16, vcc
	v_cndmask_b32_e32 v15, v15, v17, vcc
	v_cndmask_b32_e64 v15, v15, v19, s[0:1]
	v_cndmask_b32_e64 v14, v14, v18, s[0:1]
	ds_write_b64 v1, v[14:15]
	; wave barrier
	ds_read_b64 v[16:17], v1 offset:8
	s_waitcnt lgkmcnt(0)
	v_cmp_gt_u64_e32 vcc, v[14:15], v[16:17]
	v_cndmask_b32_e32 v15, v17, v15, vcc
	v_cndmask_b32_e32 v14, v16, v14, vcc
	ds_write_b64 v1, v[14:15] offset:8
.LBB2228_56:
	s_or_b64 exec, exec, s[6:7]
	v_pk_mov_b32 v[14:15], v[20:21], v[20:21] op_sel:[0,1]
	s_waitcnt lgkmcnt(0)
	s_barrier
	s_and_saveexec_b64 s[4:5], s[2:3]
	s_cbranch_execz .LBB2228_58
; %bb.57:
	v_add_u32_e32 v1, -1, v0
	v_lshrrev_b32_e32 v14, 5, v1
	v_add_lshl_u32 v1, v14, v1, 3
	ds_read_b64 v[14:15], v1
	s_waitcnt lgkmcnt(0)
	v_cmp_gt_u64_e32 vcc, v[20:21], v[14:15]
	v_cndmask_b32_e32 v15, v15, v21, vcc
	v_cndmask_b32_e32 v14, v14, v20, vcc
.LBB2228_58:
	s_or_b64 exec, exec, s[4:5]
	v_cmp_gt_u64_e32 vcc, v[14:15], v[10:11]
	v_cndmask_b32_e32 v29, v11, v15, vcc
	v_cndmask_b32_e32 v28, v10, v14, vcc
	v_cmp_gt_u64_e32 vcc, v[28:29], v[12:13]
	v_cndmask_b32_e32 v19, v13, v29, vcc
	v_cndmask_b32_e32 v18, v12, v28, vcc
	;; [unrolled: 3-line block ×6, first 2 shown]
	s_and_saveexec_b64 s[2:3], s[0:1]
	s_cbranch_execz .LBB2228_60
; %bb.59:
	v_mov_b32_e32 v5, 0
	ds_read_b64 v[2:3], v5 offset:1040
	s_add_u32 s0, s14, 0x400
	s_addc_u32 s1, s15, 0
	v_mov_b32_e32 v4, 2
	v_pk_mov_b32 v[6:7], s[0:1], s[0:1] op_sel:[0,1]
	s_waitcnt lgkmcnt(0)
	v_cmp_gt_u64_e32 vcc, v[20:21], v[2:3]
	v_cndmask_b32_e32 v3, v3, v21, vcc
	v_cndmask_b32_e32 v2, v2, v20, vcc
	;;#ASMSTART
	global_store_dwordx4 v[6:7], v[2:5] off	
s_waitcnt vmcnt(0)
	;;#ASMEND
.LBB2228_60:
	s_or_b64 exec, exec, s[2:3]
.LBB2228_61:
	s_add_u32 s0, s28, s26
	s_addc_u32 s1, s29, s27
	s_add_u32 s2, s0, s30
	s_addc_u32 s3, s1, s31
	s_mov_b64 s[0:1], -1
	s_and_b64 vcc, exec, s[24:25]
	s_barrier
	s_cbranch_vccz .LBB2228_63
; %bb.62:
	v_mul_u32_u24_e32 v1, 56, v0
	ds_write2_b64 v1, v[14:15], v[28:29] offset1:1
	ds_write2_b64 v1, v[18:19], v[30:31] offset0:2 offset1:3
	ds_write2_b64 v1, v[22:23], v[32:33] offset0:4 offset1:5
	ds_write_b64 v1, v[34:35] offset:48
	v_mul_i32_i24_e32 v1, 0xffffffd0, v0
	v_mad_u32_u24 v1, v0, 56, v1
	s_waitcnt lgkmcnt(0)
	s_barrier
	ds_read2st64_b64 v[2:5], v1 offset1:2
	ds_read2st64_b64 v[6:9], v1 offset0:4 offset1:6
	ds_read2st64_b64 v[10:13], v1 offset0:8 offset1:10
	ds_read_b64 v[16:17], v1 offset:6144
	v_mov_b32_e32 v1, s3
	v_add_co_u32_e32 v20, vcc, s2, v36
	v_addc_co_u32_e32 v21, vcc, 0, v1, vcc
	s_waitcnt lgkmcnt(3)
	flat_store_dwordx2 v[20:21], v[2:3]
	flat_store_dwordx2 v[20:21], v[4:5] offset:1024
	s_waitcnt lgkmcnt(0)
	flat_store_dwordx2 v[20:21], v[6:7] offset:2048
	flat_store_dwordx2 v[20:21], v[8:9] offset:3072
	v_add_co_u32_e32 v2, vcc, 0x1000, v20
	v_addc_co_u32_e32 v3, vcc, 0, v21, vcc
	flat_store_dwordx2 v[2:3], v[10:11]
	flat_store_dwordx2 v[2:3], v[12:13] offset:1024
	flat_store_dwordx2 v[2:3], v[16:17] offset:2048
	s_mov_b64 s[0:1], 0
.LBB2228_63:
	s_andn2_b64 vcc, exec, s[0:1]
	s_cbranch_vccnz .LBB2228_102
; %bb.64:
	s_movk_i32 s0, 0xffd0
	ds_write2_b64 v38, v[14:15], v[28:29] offset1:1
	ds_write2_b64 v38, v[18:19], v[30:31] offset0:2 offset1:3
	ds_write2_b64 v38, v[22:23], v[32:33] offset0:4 offset1:5
	ds_write_b64 v38, v[34:35] offset:48
	v_mad_i32_i24 v14, v0, s0, v38
	s_waitcnt lgkmcnt(0)
	s_barrier
	ds_read2st64_b64 v[2:5], v14 offset1:2
	ds_read2st64_b64 v[6:9], v14 offset0:4 offset1:6
	ds_read2st64_b64 v[10:13], v14 offset0:8 offset1:10
	ds_read_b64 v[14:15], v14 offset:6144
	v_mov_b32_e32 v17, s3
	v_add_co_u32_e32 v16, vcc, s2, v36
	v_addc_co_u32_e32 v17, vcc, 0, v17, vcc
	v_mov_b32_e32 v1, 0
	v_cmp_gt_u32_e32 vcc, s33, v0
	s_and_saveexec_b64 s[0:1], vcc
	s_cbranch_execz .LBB2228_66
; %bb.65:
	s_waitcnt lgkmcnt(0)
	flat_store_dwordx2 v[16:17], v[2:3]
.LBB2228_66:
	s_or_b64 exec, exec, s[0:1]
	v_or_b32_e32 v18, 0x80, v0
	v_cmp_gt_u32_e32 vcc, s33, v18
	s_and_saveexec_b64 s[0:1], vcc
	s_cbranch_execz .LBB2228_68
; %bb.67:
	s_waitcnt lgkmcnt(0)
	flat_store_dwordx2 v[16:17], v[4:5] offset:1024
.LBB2228_68:
	s_or_b64 exec, exec, s[0:1]
	v_or_b32_e32 v18, 0x100, v0
	v_cmp_gt_u32_e32 vcc, s33, v18
	s_and_saveexec_b64 s[0:1], vcc
	s_cbranch_execz .LBB2228_70
; %bb.69:
	s_waitcnt lgkmcnt(0)
	flat_store_dwordx2 v[16:17], v[6:7] offset:2048
.LBB2228_70:
	;; [unrolled: 9-line block ×3, first 2 shown]
	s_or_b64 exec, exec, s[0:1]
	v_or_b32_e32 v18, 0x200, v0
	v_cmp_gt_u32_e32 vcc, s33, v18
	s_and_saveexec_b64 s[0:1], vcc
	s_cbranch_execz .LBB2228_74
; %bb.73:
	v_add_co_u32_e32 v18, vcc, 0x1000, v16
	v_addc_co_u32_e32 v19, vcc, 0, v17, vcc
	s_waitcnt lgkmcnt(0)
	flat_store_dwordx2 v[18:19], v[10:11]
.LBB2228_74:
	s_or_b64 exec, exec, s[0:1]
	v_or_b32_e32 v18, 0x280, v0
	v_cmp_gt_u32_e32 vcc, s33, v18
	s_and_saveexec_b64 s[0:1], vcc
	s_cbranch_execz .LBB2228_76
; %bb.75:
	v_add_co_u32_e32 v18, vcc, 0x1000, v16
	v_addc_co_u32_e32 v19, vcc, 0, v17, vcc
	s_waitcnt lgkmcnt(0)
	flat_store_dwordx2 v[18:19], v[12:13] offset:1024
.LBB2228_76:
	s_or_b64 exec, exec, s[0:1]
	v_or_b32_e32 v18, 0x300, v0
	v_cmp_gt_u32_e32 vcc, s33, v18
	s_and_saveexec_b64 s[0:1], vcc
	s_cbranch_execz .LBB2228_78
; %bb.77:
	v_add_co_u32_e32 v16, vcc, 0x1000, v16
	v_addc_co_u32_e32 v17, vcc, 0, v17, vcc
	s_waitcnt lgkmcnt(0)
	flat_store_dwordx2 v[16:17], v[14:15] offset:2048
.LBB2228_78:
	s_or_b64 exec, exec, s[0:1]
	v_cmp_lt_u64_e64 s[0:1], s[22:23], 2
	s_and_b64 vcc, exec, s[0:1]
	s_cbranch_vccnz .LBB2228_102
; %bb.79:
	s_add_u32 s0, s33, -1
	s_addc_u32 s1, s38, -1
	s_add_u32 s2, 0, 0x92481000
	s_addc_u32 s3, 0, 0x64
	s_add_i32 s3, s3, 0x249248c0
	s_mul_hi_u32 s7, s2, -7
	s_sub_i32 s7, s7, s2
	s_mul_i32 s8, s3, -7
	s_mul_i32 s4, s2, -7
	s_add_i32 s7, s7, s8
	s_mul_hi_u32 s5, s3, s4
	s_mul_i32 s6, s3, s4
	s_mul_i32 s9, s2, s7
	s_mul_hi_u32 s4, s2, s4
	s_mul_hi_u32 s8, s2, s7
	s_add_u32 s4, s4, s9
	s_addc_u32 s8, 0, s8
	s_add_u32 s4, s4, s6
	s_mul_hi_u32 s9, s3, s7
	s_addc_u32 s4, s8, s5
	s_addc_u32 s5, s9, 0
	s_mul_i32 s6, s3, s7
	s_add_u32 s4, s4, s6
	v_mov_b32_e32 v16, s4
	s_addc_u32 s5, 0, s5
	v_add_co_u32_e32 v16, vcc, s2, v16
	s_cmp_lg_u64 vcc, 0
	s_addc_u32 s2, s3, s5
	v_readfirstlane_b32 s5, v16
	s_mul_i32 s4, s0, s2
	s_mul_hi_u32 s6, s0, s5
	s_mul_hi_u32 s3, s0, s2
	s_add_u32 s4, s6, s4
	s_addc_u32 s3, 0, s3
	s_mul_hi_u32 s7, s1, s5
	s_mul_i32 s5, s1, s5
	s_add_u32 s4, s4, s5
	s_mul_hi_u32 s6, s1, s2
	s_addc_u32 s3, s3, s7
	s_addc_u32 s4, s6, 0
	s_mul_i32 s2, s1, s2
	s_add_u32 s2, s3, s2
	s_addc_u32 s3, 0, s4
	s_add_u32 s4, s2, 1
	s_addc_u32 s5, s3, 0
	s_add_u32 s6, s2, 2
	s_mul_i32 s8, s3, 7
	s_mul_hi_u32 s9, s2, 7
	s_addc_u32 s7, s3, 0
	s_add_i32 s9, s9, s8
	s_mul_i32 s8, s2, 7
	v_mov_b32_e32 v16, s8
	v_sub_co_u32_e32 v16, vcc, s0, v16
	s_cmp_lg_u64 vcc, 0
	s_subb_u32 s8, s1, s9
	v_subrev_co_u32_e32 v17, vcc, 7, v16
	s_cmp_lg_u64 vcc, 0
	s_subb_u32 s9, s8, 0
	v_readfirstlane_b32 s10, v17
	s_cmp_gt_u32 s10, 6
	s_cselect_b32 s10, -1, 0
	s_cmp_eq_u32 s9, 0
	s_cselect_b32 s9, s10, -1
	s_cmp_lg_u32 s9, 0
	s_cselect_b32 s4, s6, s4
	v_readfirstlane_b32 s6, v16
	s_cselect_b32 s5, s7, s5
	s_cmp_gt_u32 s6, 6
	s_cselect_b32 s6, -1, 0
	s_cmp_eq_u32 s8, 0
	s_cselect_b32 s6, s6, -1
	s_cmp_lg_u32 s6, 0
	s_cselect_b32 s3, s5, s3
	s_cselect_b32 s2, s4, s2
	v_cmp_eq_u64_e32 vcc, s[2:3], v[0:1]
	s_and_saveexec_b64 s[2:3], vcc
	s_cbranch_execz .LBB2228_102
; %bb.80:
	v_mul_hi_u32_u24_e32 v1, 7, v0
	v_mov_b32_e32 v16, s1
	v_sub_co_u32_e32 v0, vcc, s0, v37
	v_subb_co_u32_e32 v1, vcc, v16, v1, vcc
	v_cmp_lt_i64_e32 vcc, 3, v[0:1]
	s_and_saveexec_b64 s[0:1], vcc
	s_xor_b64 s[0:1], exec, s[0:1]
	s_cbranch_execz .LBB2228_90
; %bb.81:
	v_cmp_lt_i64_e32 vcc, 4, v[0:1]
	s_and_saveexec_b64 s[2:3], vcc
	s_xor_b64 s[2:3], exec, s[2:3]
	s_cbranch_execz .LBB2228_87
; %bb.82:
	;; [unrolled: 5-line block ×3, first 2 shown]
	v_mov_b32_e32 v0, 0
	s_waitcnt lgkmcnt(0)
	global_store_dwordx2 v0, v[14:15], s[18:19]
                                        ; implicit-def: $vgpr10_vgpr11_vgpr12_vgpr13
.LBB2228_84:
	s_andn2_saveexec_b64 s[4:5], s[4:5]
	s_cbranch_execz .LBB2228_86
; %bb.85:
	v_mov_b32_e32 v0, 0
	s_waitcnt lgkmcnt(0)
	global_store_dwordx2 v0, v[12:13], s[18:19]
.LBB2228_86:
	s_or_b64 exec, exec, s[4:5]
                                        ; implicit-def: $vgpr10_vgpr11_vgpr12_vgpr13
.LBB2228_87:
	s_andn2_saveexec_b64 s[2:3], s[2:3]
	s_cbranch_execz .LBB2228_89
; %bb.88:
	v_mov_b32_e32 v0, 0
	s_waitcnt lgkmcnt(0)
	global_store_dwordx2 v0, v[10:11], s[18:19]
.LBB2228_89:
	s_or_b64 exec, exec, s[2:3]
                                        ; implicit-def: $vgpr0_vgpr1
                                        ; implicit-def: $vgpr2_vgpr3_vgpr4_vgpr5
                                        ; implicit-def: $vgpr6_vgpr7_vgpr8_vgpr9
.LBB2228_90:
	s_andn2_saveexec_b64 s[0:1], s[0:1]
	s_cbranch_execz .LBB2228_102
; %bb.91:
	v_cmp_lt_i64_e32 vcc, 1, v[0:1]
	s_and_saveexec_b64 s[0:1], vcc
	s_xor_b64 s[0:1], exec, s[0:1]
	s_cbranch_execz .LBB2228_97
; %bb.92:
	v_cmp_lt_i64_e32 vcc, 2, v[0:1]
	s_and_saveexec_b64 s[2:3], vcc
	s_xor_b64 s[2:3], exec, s[2:3]
	s_cbranch_execz .LBB2228_94
; %bb.93:
	v_mov_b32_e32 v0, 0
	s_waitcnt lgkmcnt(0)
	global_store_dwordx2 v0, v[8:9], s[18:19]
                                        ; implicit-def: $vgpr6_vgpr7_vgpr8_vgpr9
.LBB2228_94:
	s_andn2_saveexec_b64 s[2:3], s[2:3]
	s_cbranch_execz .LBB2228_96
; %bb.95:
	v_mov_b32_e32 v0, 0
	s_waitcnt lgkmcnt(0)
	global_store_dwordx2 v0, v[6:7], s[18:19]
.LBB2228_96:
	s_or_b64 exec, exec, s[2:3]
                                        ; implicit-def: $vgpr2_vgpr3_vgpr4_vgpr5
                                        ; implicit-def: $vgpr0_vgpr1
.LBB2228_97:
	s_andn2_saveexec_b64 s[0:1], s[0:1]
	s_cbranch_execz .LBB2228_102
; %bb.98:
	v_cmp_ne_u64_e32 vcc, 1, v[0:1]
	s_and_saveexec_b64 s[0:1], vcc
	s_xor_b64 s[0:1], exec, s[0:1]
	s_cbranch_execz .LBB2228_100
; %bb.99:
	v_mov_b32_e32 v0, 0
	s_waitcnt lgkmcnt(0)
	global_store_dwordx2 v0, v[2:3], s[18:19]
                                        ; implicit-def: $vgpr2_vgpr3_vgpr4_vgpr5
.LBB2228_100:
	s_andn2_saveexec_b64 s[0:1], s[0:1]
	s_cbranch_execz .LBB2228_102
; %bb.101:
	v_mov_b32_e32 v0, 0
	s_waitcnt lgkmcnt(0)
	global_store_dwordx2 v0, v[4:5], s[18:19]
.LBB2228_102:
	s_endpgm
	.section	.rodata,"a",@progbits
	.p2align	6, 0x0
	.amdhsa_kernel _ZN7rocprim17ROCPRIM_400000_NS6detail17trampoline_kernelINS0_14default_configENS1_20scan_config_selectorIyEEZZNS1_9scan_implILNS1_25lookback_scan_determinismE0ELb1ELb1ES3_N6thrust23THRUST_200600_302600_NS6detail15normal_iteratorINS9_10device_ptrIyEEEESE_y11max_functorIyEyEEDaPvRmT3_T4_T5_mT6_P12ihipStream_tbENKUlT_T0_E_clISt17integral_constantIbLb0EEST_IbLb1EEEEDaSP_SQ_EUlSP_E_NS1_11comp_targetILNS1_3genE4ELNS1_11target_archE910ELNS1_3gpuE8ELNS1_3repE0EEENS1_30default_config_static_selectorELNS0_4arch9wavefront6targetE1EEEvT1_
		.amdhsa_group_segment_fixed_size 7168
		.amdhsa_private_segment_fixed_size 0
		.amdhsa_kernarg_size 104
		.amdhsa_user_sgpr_count 6
		.amdhsa_user_sgpr_private_segment_buffer 1
		.amdhsa_user_sgpr_dispatch_ptr 0
		.amdhsa_user_sgpr_queue_ptr 0
		.amdhsa_user_sgpr_kernarg_segment_ptr 1
		.amdhsa_user_sgpr_dispatch_id 0
		.amdhsa_user_sgpr_flat_scratch_init 0
		.amdhsa_user_sgpr_kernarg_preload_length 0
		.amdhsa_user_sgpr_kernarg_preload_offset 0
		.amdhsa_user_sgpr_private_segment_size 0
		.amdhsa_uses_dynamic_stack 0
		.amdhsa_system_sgpr_private_segment_wavefront_offset 0
		.amdhsa_system_sgpr_workgroup_id_x 1
		.amdhsa_system_sgpr_workgroup_id_y 0
		.amdhsa_system_sgpr_workgroup_id_z 0
		.amdhsa_system_sgpr_workgroup_info 0
		.amdhsa_system_vgpr_workitem_id 0
		.amdhsa_next_free_vgpr 58
		.amdhsa_next_free_sgpr 42
		.amdhsa_accum_offset 60
		.amdhsa_reserve_vcc 1
		.amdhsa_reserve_flat_scratch 0
		.amdhsa_float_round_mode_32 0
		.amdhsa_float_round_mode_16_64 0
		.amdhsa_float_denorm_mode_32 3
		.amdhsa_float_denorm_mode_16_64 3
		.amdhsa_dx10_clamp 1
		.amdhsa_ieee_mode 1
		.amdhsa_fp16_overflow 0
		.amdhsa_tg_split 0
		.amdhsa_exception_fp_ieee_invalid_op 0
		.amdhsa_exception_fp_denorm_src 0
		.amdhsa_exception_fp_ieee_div_zero 0
		.amdhsa_exception_fp_ieee_overflow 0
		.amdhsa_exception_fp_ieee_underflow 0
		.amdhsa_exception_fp_ieee_inexact 0
		.amdhsa_exception_int_div_zero 0
	.end_amdhsa_kernel
	.section	.text._ZN7rocprim17ROCPRIM_400000_NS6detail17trampoline_kernelINS0_14default_configENS1_20scan_config_selectorIyEEZZNS1_9scan_implILNS1_25lookback_scan_determinismE0ELb1ELb1ES3_N6thrust23THRUST_200600_302600_NS6detail15normal_iteratorINS9_10device_ptrIyEEEESE_y11max_functorIyEyEEDaPvRmT3_T4_T5_mT6_P12ihipStream_tbENKUlT_T0_E_clISt17integral_constantIbLb0EEST_IbLb1EEEEDaSP_SQ_EUlSP_E_NS1_11comp_targetILNS1_3genE4ELNS1_11target_archE910ELNS1_3gpuE8ELNS1_3repE0EEENS1_30default_config_static_selectorELNS0_4arch9wavefront6targetE1EEEvT1_,"axG",@progbits,_ZN7rocprim17ROCPRIM_400000_NS6detail17trampoline_kernelINS0_14default_configENS1_20scan_config_selectorIyEEZZNS1_9scan_implILNS1_25lookback_scan_determinismE0ELb1ELb1ES3_N6thrust23THRUST_200600_302600_NS6detail15normal_iteratorINS9_10device_ptrIyEEEESE_y11max_functorIyEyEEDaPvRmT3_T4_T5_mT6_P12ihipStream_tbENKUlT_T0_E_clISt17integral_constantIbLb0EEST_IbLb1EEEEDaSP_SQ_EUlSP_E_NS1_11comp_targetILNS1_3genE4ELNS1_11target_archE910ELNS1_3gpuE8ELNS1_3repE0EEENS1_30default_config_static_selectorELNS0_4arch9wavefront6targetE1EEEvT1_,comdat
.Lfunc_end2228:
	.size	_ZN7rocprim17ROCPRIM_400000_NS6detail17trampoline_kernelINS0_14default_configENS1_20scan_config_selectorIyEEZZNS1_9scan_implILNS1_25lookback_scan_determinismE0ELb1ELb1ES3_N6thrust23THRUST_200600_302600_NS6detail15normal_iteratorINS9_10device_ptrIyEEEESE_y11max_functorIyEyEEDaPvRmT3_T4_T5_mT6_P12ihipStream_tbENKUlT_T0_E_clISt17integral_constantIbLb0EEST_IbLb1EEEEDaSP_SQ_EUlSP_E_NS1_11comp_targetILNS1_3genE4ELNS1_11target_archE910ELNS1_3gpuE8ELNS1_3repE0EEENS1_30default_config_static_selectorELNS0_4arch9wavefront6targetE1EEEvT1_, .Lfunc_end2228-_ZN7rocprim17ROCPRIM_400000_NS6detail17trampoline_kernelINS0_14default_configENS1_20scan_config_selectorIyEEZZNS1_9scan_implILNS1_25lookback_scan_determinismE0ELb1ELb1ES3_N6thrust23THRUST_200600_302600_NS6detail15normal_iteratorINS9_10device_ptrIyEEEESE_y11max_functorIyEyEEDaPvRmT3_T4_T5_mT6_P12ihipStream_tbENKUlT_T0_E_clISt17integral_constantIbLb0EEST_IbLb1EEEEDaSP_SQ_EUlSP_E_NS1_11comp_targetILNS1_3genE4ELNS1_11target_archE910ELNS1_3gpuE8ELNS1_3repE0EEENS1_30default_config_static_selectorELNS0_4arch9wavefront6targetE1EEEvT1_
                                        ; -- End function
	.section	.AMDGPU.csdata,"",@progbits
; Kernel info:
; codeLenInByte = 5876
; NumSgprs: 46
; NumVgprs: 58
; NumAgprs: 0
; TotalNumVgprs: 58
; ScratchSize: 0
; MemoryBound: 0
; FloatMode: 240
; IeeeMode: 1
; LDSByteSize: 7168 bytes/workgroup (compile time only)
; SGPRBlocks: 5
; VGPRBlocks: 7
; NumSGPRsForWavesPerEU: 46
; NumVGPRsForWavesPerEU: 58
; AccumOffset: 60
; Occupancy: 5
; WaveLimiterHint : 1
; COMPUTE_PGM_RSRC2:SCRATCH_EN: 0
; COMPUTE_PGM_RSRC2:USER_SGPR: 6
; COMPUTE_PGM_RSRC2:TRAP_HANDLER: 0
; COMPUTE_PGM_RSRC2:TGID_X_EN: 1
; COMPUTE_PGM_RSRC2:TGID_Y_EN: 0
; COMPUTE_PGM_RSRC2:TGID_Z_EN: 0
; COMPUTE_PGM_RSRC2:TIDIG_COMP_CNT: 0
; COMPUTE_PGM_RSRC3_GFX90A:ACCUM_OFFSET: 14
; COMPUTE_PGM_RSRC3_GFX90A:TG_SPLIT: 0
	.section	.text._ZN7rocprim17ROCPRIM_400000_NS6detail17trampoline_kernelINS0_14default_configENS1_20scan_config_selectorIyEEZZNS1_9scan_implILNS1_25lookback_scan_determinismE0ELb1ELb1ES3_N6thrust23THRUST_200600_302600_NS6detail15normal_iteratorINS9_10device_ptrIyEEEESE_y11max_functorIyEyEEDaPvRmT3_T4_T5_mT6_P12ihipStream_tbENKUlT_T0_E_clISt17integral_constantIbLb0EEST_IbLb1EEEEDaSP_SQ_EUlSP_E_NS1_11comp_targetILNS1_3genE3ELNS1_11target_archE908ELNS1_3gpuE7ELNS1_3repE0EEENS1_30default_config_static_selectorELNS0_4arch9wavefront6targetE1EEEvT1_,"axG",@progbits,_ZN7rocprim17ROCPRIM_400000_NS6detail17trampoline_kernelINS0_14default_configENS1_20scan_config_selectorIyEEZZNS1_9scan_implILNS1_25lookback_scan_determinismE0ELb1ELb1ES3_N6thrust23THRUST_200600_302600_NS6detail15normal_iteratorINS9_10device_ptrIyEEEESE_y11max_functorIyEyEEDaPvRmT3_T4_T5_mT6_P12ihipStream_tbENKUlT_T0_E_clISt17integral_constantIbLb0EEST_IbLb1EEEEDaSP_SQ_EUlSP_E_NS1_11comp_targetILNS1_3genE3ELNS1_11target_archE908ELNS1_3gpuE7ELNS1_3repE0EEENS1_30default_config_static_selectorELNS0_4arch9wavefront6targetE1EEEvT1_,comdat
	.protected	_ZN7rocprim17ROCPRIM_400000_NS6detail17trampoline_kernelINS0_14default_configENS1_20scan_config_selectorIyEEZZNS1_9scan_implILNS1_25lookback_scan_determinismE0ELb1ELb1ES3_N6thrust23THRUST_200600_302600_NS6detail15normal_iteratorINS9_10device_ptrIyEEEESE_y11max_functorIyEyEEDaPvRmT3_T4_T5_mT6_P12ihipStream_tbENKUlT_T0_E_clISt17integral_constantIbLb0EEST_IbLb1EEEEDaSP_SQ_EUlSP_E_NS1_11comp_targetILNS1_3genE3ELNS1_11target_archE908ELNS1_3gpuE7ELNS1_3repE0EEENS1_30default_config_static_selectorELNS0_4arch9wavefront6targetE1EEEvT1_ ; -- Begin function _ZN7rocprim17ROCPRIM_400000_NS6detail17trampoline_kernelINS0_14default_configENS1_20scan_config_selectorIyEEZZNS1_9scan_implILNS1_25lookback_scan_determinismE0ELb1ELb1ES3_N6thrust23THRUST_200600_302600_NS6detail15normal_iteratorINS9_10device_ptrIyEEEESE_y11max_functorIyEyEEDaPvRmT3_T4_T5_mT6_P12ihipStream_tbENKUlT_T0_E_clISt17integral_constantIbLb0EEST_IbLb1EEEEDaSP_SQ_EUlSP_E_NS1_11comp_targetILNS1_3genE3ELNS1_11target_archE908ELNS1_3gpuE7ELNS1_3repE0EEENS1_30default_config_static_selectorELNS0_4arch9wavefront6targetE1EEEvT1_
	.globl	_ZN7rocprim17ROCPRIM_400000_NS6detail17trampoline_kernelINS0_14default_configENS1_20scan_config_selectorIyEEZZNS1_9scan_implILNS1_25lookback_scan_determinismE0ELb1ELb1ES3_N6thrust23THRUST_200600_302600_NS6detail15normal_iteratorINS9_10device_ptrIyEEEESE_y11max_functorIyEyEEDaPvRmT3_T4_T5_mT6_P12ihipStream_tbENKUlT_T0_E_clISt17integral_constantIbLb0EEST_IbLb1EEEEDaSP_SQ_EUlSP_E_NS1_11comp_targetILNS1_3genE3ELNS1_11target_archE908ELNS1_3gpuE7ELNS1_3repE0EEENS1_30default_config_static_selectorELNS0_4arch9wavefront6targetE1EEEvT1_
	.p2align	8
	.type	_ZN7rocprim17ROCPRIM_400000_NS6detail17trampoline_kernelINS0_14default_configENS1_20scan_config_selectorIyEEZZNS1_9scan_implILNS1_25lookback_scan_determinismE0ELb1ELb1ES3_N6thrust23THRUST_200600_302600_NS6detail15normal_iteratorINS9_10device_ptrIyEEEESE_y11max_functorIyEyEEDaPvRmT3_T4_T5_mT6_P12ihipStream_tbENKUlT_T0_E_clISt17integral_constantIbLb0EEST_IbLb1EEEEDaSP_SQ_EUlSP_E_NS1_11comp_targetILNS1_3genE3ELNS1_11target_archE908ELNS1_3gpuE7ELNS1_3repE0EEENS1_30default_config_static_selectorELNS0_4arch9wavefront6targetE1EEEvT1_,@function
_ZN7rocprim17ROCPRIM_400000_NS6detail17trampoline_kernelINS0_14default_configENS1_20scan_config_selectorIyEEZZNS1_9scan_implILNS1_25lookback_scan_determinismE0ELb1ELb1ES3_N6thrust23THRUST_200600_302600_NS6detail15normal_iteratorINS9_10device_ptrIyEEEESE_y11max_functorIyEyEEDaPvRmT3_T4_T5_mT6_P12ihipStream_tbENKUlT_T0_E_clISt17integral_constantIbLb0EEST_IbLb1EEEEDaSP_SQ_EUlSP_E_NS1_11comp_targetILNS1_3genE3ELNS1_11target_archE908ELNS1_3gpuE7ELNS1_3repE0EEENS1_30default_config_static_selectorELNS0_4arch9wavefront6targetE1EEEvT1_: ; @_ZN7rocprim17ROCPRIM_400000_NS6detail17trampoline_kernelINS0_14default_configENS1_20scan_config_selectorIyEEZZNS1_9scan_implILNS1_25lookback_scan_determinismE0ELb1ELb1ES3_N6thrust23THRUST_200600_302600_NS6detail15normal_iteratorINS9_10device_ptrIyEEEESE_y11max_functorIyEyEEDaPvRmT3_T4_T5_mT6_P12ihipStream_tbENKUlT_T0_E_clISt17integral_constantIbLb0EEST_IbLb1EEEEDaSP_SQ_EUlSP_E_NS1_11comp_targetILNS1_3genE3ELNS1_11target_archE908ELNS1_3gpuE7ELNS1_3repE0EEENS1_30default_config_static_selectorELNS0_4arch9wavefront6targetE1EEEvT1_
; %bb.0:
	.section	.rodata,"a",@progbits
	.p2align	6, 0x0
	.amdhsa_kernel _ZN7rocprim17ROCPRIM_400000_NS6detail17trampoline_kernelINS0_14default_configENS1_20scan_config_selectorIyEEZZNS1_9scan_implILNS1_25lookback_scan_determinismE0ELb1ELb1ES3_N6thrust23THRUST_200600_302600_NS6detail15normal_iteratorINS9_10device_ptrIyEEEESE_y11max_functorIyEyEEDaPvRmT3_T4_T5_mT6_P12ihipStream_tbENKUlT_T0_E_clISt17integral_constantIbLb0EEST_IbLb1EEEEDaSP_SQ_EUlSP_E_NS1_11comp_targetILNS1_3genE3ELNS1_11target_archE908ELNS1_3gpuE7ELNS1_3repE0EEENS1_30default_config_static_selectorELNS0_4arch9wavefront6targetE1EEEvT1_
		.amdhsa_group_segment_fixed_size 0
		.amdhsa_private_segment_fixed_size 0
		.amdhsa_kernarg_size 104
		.amdhsa_user_sgpr_count 6
		.amdhsa_user_sgpr_private_segment_buffer 1
		.amdhsa_user_sgpr_dispatch_ptr 0
		.amdhsa_user_sgpr_queue_ptr 0
		.amdhsa_user_sgpr_kernarg_segment_ptr 1
		.amdhsa_user_sgpr_dispatch_id 0
		.amdhsa_user_sgpr_flat_scratch_init 0
		.amdhsa_user_sgpr_kernarg_preload_length 0
		.amdhsa_user_sgpr_kernarg_preload_offset 0
		.amdhsa_user_sgpr_private_segment_size 0
		.amdhsa_uses_dynamic_stack 0
		.amdhsa_system_sgpr_private_segment_wavefront_offset 0
		.amdhsa_system_sgpr_workgroup_id_x 1
		.amdhsa_system_sgpr_workgroup_id_y 0
		.amdhsa_system_sgpr_workgroup_id_z 0
		.amdhsa_system_sgpr_workgroup_info 0
		.amdhsa_system_vgpr_workitem_id 0
		.amdhsa_next_free_vgpr 1
		.amdhsa_next_free_sgpr 0
		.amdhsa_accum_offset 4
		.amdhsa_reserve_vcc 0
		.amdhsa_reserve_flat_scratch 0
		.amdhsa_float_round_mode_32 0
		.amdhsa_float_round_mode_16_64 0
		.amdhsa_float_denorm_mode_32 3
		.amdhsa_float_denorm_mode_16_64 3
		.amdhsa_dx10_clamp 1
		.amdhsa_ieee_mode 1
		.amdhsa_fp16_overflow 0
		.amdhsa_tg_split 0
		.amdhsa_exception_fp_ieee_invalid_op 0
		.amdhsa_exception_fp_denorm_src 0
		.amdhsa_exception_fp_ieee_div_zero 0
		.amdhsa_exception_fp_ieee_overflow 0
		.amdhsa_exception_fp_ieee_underflow 0
		.amdhsa_exception_fp_ieee_inexact 0
		.amdhsa_exception_int_div_zero 0
	.end_amdhsa_kernel
	.section	.text._ZN7rocprim17ROCPRIM_400000_NS6detail17trampoline_kernelINS0_14default_configENS1_20scan_config_selectorIyEEZZNS1_9scan_implILNS1_25lookback_scan_determinismE0ELb1ELb1ES3_N6thrust23THRUST_200600_302600_NS6detail15normal_iteratorINS9_10device_ptrIyEEEESE_y11max_functorIyEyEEDaPvRmT3_T4_T5_mT6_P12ihipStream_tbENKUlT_T0_E_clISt17integral_constantIbLb0EEST_IbLb1EEEEDaSP_SQ_EUlSP_E_NS1_11comp_targetILNS1_3genE3ELNS1_11target_archE908ELNS1_3gpuE7ELNS1_3repE0EEENS1_30default_config_static_selectorELNS0_4arch9wavefront6targetE1EEEvT1_,"axG",@progbits,_ZN7rocprim17ROCPRIM_400000_NS6detail17trampoline_kernelINS0_14default_configENS1_20scan_config_selectorIyEEZZNS1_9scan_implILNS1_25lookback_scan_determinismE0ELb1ELb1ES3_N6thrust23THRUST_200600_302600_NS6detail15normal_iteratorINS9_10device_ptrIyEEEESE_y11max_functorIyEyEEDaPvRmT3_T4_T5_mT6_P12ihipStream_tbENKUlT_T0_E_clISt17integral_constantIbLb0EEST_IbLb1EEEEDaSP_SQ_EUlSP_E_NS1_11comp_targetILNS1_3genE3ELNS1_11target_archE908ELNS1_3gpuE7ELNS1_3repE0EEENS1_30default_config_static_selectorELNS0_4arch9wavefront6targetE1EEEvT1_,comdat
.Lfunc_end2229:
	.size	_ZN7rocprim17ROCPRIM_400000_NS6detail17trampoline_kernelINS0_14default_configENS1_20scan_config_selectorIyEEZZNS1_9scan_implILNS1_25lookback_scan_determinismE0ELb1ELb1ES3_N6thrust23THRUST_200600_302600_NS6detail15normal_iteratorINS9_10device_ptrIyEEEESE_y11max_functorIyEyEEDaPvRmT3_T4_T5_mT6_P12ihipStream_tbENKUlT_T0_E_clISt17integral_constantIbLb0EEST_IbLb1EEEEDaSP_SQ_EUlSP_E_NS1_11comp_targetILNS1_3genE3ELNS1_11target_archE908ELNS1_3gpuE7ELNS1_3repE0EEENS1_30default_config_static_selectorELNS0_4arch9wavefront6targetE1EEEvT1_, .Lfunc_end2229-_ZN7rocprim17ROCPRIM_400000_NS6detail17trampoline_kernelINS0_14default_configENS1_20scan_config_selectorIyEEZZNS1_9scan_implILNS1_25lookback_scan_determinismE0ELb1ELb1ES3_N6thrust23THRUST_200600_302600_NS6detail15normal_iteratorINS9_10device_ptrIyEEEESE_y11max_functorIyEyEEDaPvRmT3_T4_T5_mT6_P12ihipStream_tbENKUlT_T0_E_clISt17integral_constantIbLb0EEST_IbLb1EEEEDaSP_SQ_EUlSP_E_NS1_11comp_targetILNS1_3genE3ELNS1_11target_archE908ELNS1_3gpuE7ELNS1_3repE0EEENS1_30default_config_static_selectorELNS0_4arch9wavefront6targetE1EEEvT1_
                                        ; -- End function
	.section	.AMDGPU.csdata,"",@progbits
; Kernel info:
; codeLenInByte = 0
; NumSgprs: 4
; NumVgprs: 0
; NumAgprs: 0
; TotalNumVgprs: 0
; ScratchSize: 0
; MemoryBound: 0
; FloatMode: 240
; IeeeMode: 1
; LDSByteSize: 0 bytes/workgroup (compile time only)
; SGPRBlocks: 0
; VGPRBlocks: 0
; NumSGPRsForWavesPerEU: 4
; NumVGPRsForWavesPerEU: 1
; AccumOffset: 4
; Occupancy: 8
; WaveLimiterHint : 0
; COMPUTE_PGM_RSRC2:SCRATCH_EN: 0
; COMPUTE_PGM_RSRC2:USER_SGPR: 6
; COMPUTE_PGM_RSRC2:TRAP_HANDLER: 0
; COMPUTE_PGM_RSRC2:TGID_X_EN: 1
; COMPUTE_PGM_RSRC2:TGID_Y_EN: 0
; COMPUTE_PGM_RSRC2:TGID_Z_EN: 0
; COMPUTE_PGM_RSRC2:TIDIG_COMP_CNT: 0
; COMPUTE_PGM_RSRC3_GFX90A:ACCUM_OFFSET: 0
; COMPUTE_PGM_RSRC3_GFX90A:TG_SPLIT: 0
	.section	.text._ZN7rocprim17ROCPRIM_400000_NS6detail17trampoline_kernelINS0_14default_configENS1_20scan_config_selectorIyEEZZNS1_9scan_implILNS1_25lookback_scan_determinismE0ELb1ELb1ES3_N6thrust23THRUST_200600_302600_NS6detail15normal_iteratorINS9_10device_ptrIyEEEESE_y11max_functorIyEyEEDaPvRmT3_T4_T5_mT6_P12ihipStream_tbENKUlT_T0_E_clISt17integral_constantIbLb0EEST_IbLb1EEEEDaSP_SQ_EUlSP_E_NS1_11comp_targetILNS1_3genE2ELNS1_11target_archE906ELNS1_3gpuE6ELNS1_3repE0EEENS1_30default_config_static_selectorELNS0_4arch9wavefront6targetE1EEEvT1_,"axG",@progbits,_ZN7rocprim17ROCPRIM_400000_NS6detail17trampoline_kernelINS0_14default_configENS1_20scan_config_selectorIyEEZZNS1_9scan_implILNS1_25lookback_scan_determinismE0ELb1ELb1ES3_N6thrust23THRUST_200600_302600_NS6detail15normal_iteratorINS9_10device_ptrIyEEEESE_y11max_functorIyEyEEDaPvRmT3_T4_T5_mT6_P12ihipStream_tbENKUlT_T0_E_clISt17integral_constantIbLb0EEST_IbLb1EEEEDaSP_SQ_EUlSP_E_NS1_11comp_targetILNS1_3genE2ELNS1_11target_archE906ELNS1_3gpuE6ELNS1_3repE0EEENS1_30default_config_static_selectorELNS0_4arch9wavefront6targetE1EEEvT1_,comdat
	.protected	_ZN7rocprim17ROCPRIM_400000_NS6detail17trampoline_kernelINS0_14default_configENS1_20scan_config_selectorIyEEZZNS1_9scan_implILNS1_25lookback_scan_determinismE0ELb1ELb1ES3_N6thrust23THRUST_200600_302600_NS6detail15normal_iteratorINS9_10device_ptrIyEEEESE_y11max_functorIyEyEEDaPvRmT3_T4_T5_mT6_P12ihipStream_tbENKUlT_T0_E_clISt17integral_constantIbLb0EEST_IbLb1EEEEDaSP_SQ_EUlSP_E_NS1_11comp_targetILNS1_3genE2ELNS1_11target_archE906ELNS1_3gpuE6ELNS1_3repE0EEENS1_30default_config_static_selectorELNS0_4arch9wavefront6targetE1EEEvT1_ ; -- Begin function _ZN7rocprim17ROCPRIM_400000_NS6detail17trampoline_kernelINS0_14default_configENS1_20scan_config_selectorIyEEZZNS1_9scan_implILNS1_25lookback_scan_determinismE0ELb1ELb1ES3_N6thrust23THRUST_200600_302600_NS6detail15normal_iteratorINS9_10device_ptrIyEEEESE_y11max_functorIyEyEEDaPvRmT3_T4_T5_mT6_P12ihipStream_tbENKUlT_T0_E_clISt17integral_constantIbLb0EEST_IbLb1EEEEDaSP_SQ_EUlSP_E_NS1_11comp_targetILNS1_3genE2ELNS1_11target_archE906ELNS1_3gpuE6ELNS1_3repE0EEENS1_30default_config_static_selectorELNS0_4arch9wavefront6targetE1EEEvT1_
	.globl	_ZN7rocprim17ROCPRIM_400000_NS6detail17trampoline_kernelINS0_14default_configENS1_20scan_config_selectorIyEEZZNS1_9scan_implILNS1_25lookback_scan_determinismE0ELb1ELb1ES3_N6thrust23THRUST_200600_302600_NS6detail15normal_iteratorINS9_10device_ptrIyEEEESE_y11max_functorIyEyEEDaPvRmT3_T4_T5_mT6_P12ihipStream_tbENKUlT_T0_E_clISt17integral_constantIbLb0EEST_IbLb1EEEEDaSP_SQ_EUlSP_E_NS1_11comp_targetILNS1_3genE2ELNS1_11target_archE906ELNS1_3gpuE6ELNS1_3repE0EEENS1_30default_config_static_selectorELNS0_4arch9wavefront6targetE1EEEvT1_
	.p2align	8
	.type	_ZN7rocprim17ROCPRIM_400000_NS6detail17trampoline_kernelINS0_14default_configENS1_20scan_config_selectorIyEEZZNS1_9scan_implILNS1_25lookback_scan_determinismE0ELb1ELb1ES3_N6thrust23THRUST_200600_302600_NS6detail15normal_iteratorINS9_10device_ptrIyEEEESE_y11max_functorIyEyEEDaPvRmT3_T4_T5_mT6_P12ihipStream_tbENKUlT_T0_E_clISt17integral_constantIbLb0EEST_IbLb1EEEEDaSP_SQ_EUlSP_E_NS1_11comp_targetILNS1_3genE2ELNS1_11target_archE906ELNS1_3gpuE6ELNS1_3repE0EEENS1_30default_config_static_selectorELNS0_4arch9wavefront6targetE1EEEvT1_,@function
_ZN7rocprim17ROCPRIM_400000_NS6detail17trampoline_kernelINS0_14default_configENS1_20scan_config_selectorIyEEZZNS1_9scan_implILNS1_25lookback_scan_determinismE0ELb1ELb1ES3_N6thrust23THRUST_200600_302600_NS6detail15normal_iteratorINS9_10device_ptrIyEEEESE_y11max_functorIyEyEEDaPvRmT3_T4_T5_mT6_P12ihipStream_tbENKUlT_T0_E_clISt17integral_constantIbLb0EEST_IbLb1EEEEDaSP_SQ_EUlSP_E_NS1_11comp_targetILNS1_3genE2ELNS1_11target_archE906ELNS1_3gpuE6ELNS1_3repE0EEENS1_30default_config_static_selectorELNS0_4arch9wavefront6targetE1EEEvT1_: ; @_ZN7rocprim17ROCPRIM_400000_NS6detail17trampoline_kernelINS0_14default_configENS1_20scan_config_selectorIyEEZZNS1_9scan_implILNS1_25lookback_scan_determinismE0ELb1ELb1ES3_N6thrust23THRUST_200600_302600_NS6detail15normal_iteratorINS9_10device_ptrIyEEEESE_y11max_functorIyEyEEDaPvRmT3_T4_T5_mT6_P12ihipStream_tbENKUlT_T0_E_clISt17integral_constantIbLb0EEST_IbLb1EEEEDaSP_SQ_EUlSP_E_NS1_11comp_targetILNS1_3genE2ELNS1_11target_archE906ELNS1_3gpuE6ELNS1_3repE0EEENS1_30default_config_static_selectorELNS0_4arch9wavefront6targetE1EEEvT1_
; %bb.0:
	.section	.rodata,"a",@progbits
	.p2align	6, 0x0
	.amdhsa_kernel _ZN7rocprim17ROCPRIM_400000_NS6detail17trampoline_kernelINS0_14default_configENS1_20scan_config_selectorIyEEZZNS1_9scan_implILNS1_25lookback_scan_determinismE0ELb1ELb1ES3_N6thrust23THRUST_200600_302600_NS6detail15normal_iteratorINS9_10device_ptrIyEEEESE_y11max_functorIyEyEEDaPvRmT3_T4_T5_mT6_P12ihipStream_tbENKUlT_T0_E_clISt17integral_constantIbLb0EEST_IbLb1EEEEDaSP_SQ_EUlSP_E_NS1_11comp_targetILNS1_3genE2ELNS1_11target_archE906ELNS1_3gpuE6ELNS1_3repE0EEENS1_30default_config_static_selectorELNS0_4arch9wavefront6targetE1EEEvT1_
		.amdhsa_group_segment_fixed_size 0
		.amdhsa_private_segment_fixed_size 0
		.amdhsa_kernarg_size 104
		.amdhsa_user_sgpr_count 6
		.amdhsa_user_sgpr_private_segment_buffer 1
		.amdhsa_user_sgpr_dispatch_ptr 0
		.amdhsa_user_sgpr_queue_ptr 0
		.amdhsa_user_sgpr_kernarg_segment_ptr 1
		.amdhsa_user_sgpr_dispatch_id 0
		.amdhsa_user_sgpr_flat_scratch_init 0
		.amdhsa_user_sgpr_kernarg_preload_length 0
		.amdhsa_user_sgpr_kernarg_preload_offset 0
		.amdhsa_user_sgpr_private_segment_size 0
		.amdhsa_uses_dynamic_stack 0
		.amdhsa_system_sgpr_private_segment_wavefront_offset 0
		.amdhsa_system_sgpr_workgroup_id_x 1
		.amdhsa_system_sgpr_workgroup_id_y 0
		.amdhsa_system_sgpr_workgroup_id_z 0
		.amdhsa_system_sgpr_workgroup_info 0
		.amdhsa_system_vgpr_workitem_id 0
		.amdhsa_next_free_vgpr 1
		.amdhsa_next_free_sgpr 0
		.amdhsa_accum_offset 4
		.amdhsa_reserve_vcc 0
		.amdhsa_reserve_flat_scratch 0
		.amdhsa_float_round_mode_32 0
		.amdhsa_float_round_mode_16_64 0
		.amdhsa_float_denorm_mode_32 3
		.amdhsa_float_denorm_mode_16_64 3
		.amdhsa_dx10_clamp 1
		.amdhsa_ieee_mode 1
		.amdhsa_fp16_overflow 0
		.amdhsa_tg_split 0
		.amdhsa_exception_fp_ieee_invalid_op 0
		.amdhsa_exception_fp_denorm_src 0
		.amdhsa_exception_fp_ieee_div_zero 0
		.amdhsa_exception_fp_ieee_overflow 0
		.amdhsa_exception_fp_ieee_underflow 0
		.amdhsa_exception_fp_ieee_inexact 0
		.amdhsa_exception_int_div_zero 0
	.end_amdhsa_kernel
	.section	.text._ZN7rocprim17ROCPRIM_400000_NS6detail17trampoline_kernelINS0_14default_configENS1_20scan_config_selectorIyEEZZNS1_9scan_implILNS1_25lookback_scan_determinismE0ELb1ELb1ES3_N6thrust23THRUST_200600_302600_NS6detail15normal_iteratorINS9_10device_ptrIyEEEESE_y11max_functorIyEyEEDaPvRmT3_T4_T5_mT6_P12ihipStream_tbENKUlT_T0_E_clISt17integral_constantIbLb0EEST_IbLb1EEEEDaSP_SQ_EUlSP_E_NS1_11comp_targetILNS1_3genE2ELNS1_11target_archE906ELNS1_3gpuE6ELNS1_3repE0EEENS1_30default_config_static_selectorELNS0_4arch9wavefront6targetE1EEEvT1_,"axG",@progbits,_ZN7rocprim17ROCPRIM_400000_NS6detail17trampoline_kernelINS0_14default_configENS1_20scan_config_selectorIyEEZZNS1_9scan_implILNS1_25lookback_scan_determinismE0ELb1ELb1ES3_N6thrust23THRUST_200600_302600_NS6detail15normal_iteratorINS9_10device_ptrIyEEEESE_y11max_functorIyEyEEDaPvRmT3_T4_T5_mT6_P12ihipStream_tbENKUlT_T0_E_clISt17integral_constantIbLb0EEST_IbLb1EEEEDaSP_SQ_EUlSP_E_NS1_11comp_targetILNS1_3genE2ELNS1_11target_archE906ELNS1_3gpuE6ELNS1_3repE0EEENS1_30default_config_static_selectorELNS0_4arch9wavefront6targetE1EEEvT1_,comdat
.Lfunc_end2230:
	.size	_ZN7rocprim17ROCPRIM_400000_NS6detail17trampoline_kernelINS0_14default_configENS1_20scan_config_selectorIyEEZZNS1_9scan_implILNS1_25lookback_scan_determinismE0ELb1ELb1ES3_N6thrust23THRUST_200600_302600_NS6detail15normal_iteratorINS9_10device_ptrIyEEEESE_y11max_functorIyEyEEDaPvRmT3_T4_T5_mT6_P12ihipStream_tbENKUlT_T0_E_clISt17integral_constantIbLb0EEST_IbLb1EEEEDaSP_SQ_EUlSP_E_NS1_11comp_targetILNS1_3genE2ELNS1_11target_archE906ELNS1_3gpuE6ELNS1_3repE0EEENS1_30default_config_static_selectorELNS0_4arch9wavefront6targetE1EEEvT1_, .Lfunc_end2230-_ZN7rocprim17ROCPRIM_400000_NS6detail17trampoline_kernelINS0_14default_configENS1_20scan_config_selectorIyEEZZNS1_9scan_implILNS1_25lookback_scan_determinismE0ELb1ELb1ES3_N6thrust23THRUST_200600_302600_NS6detail15normal_iteratorINS9_10device_ptrIyEEEESE_y11max_functorIyEyEEDaPvRmT3_T4_T5_mT6_P12ihipStream_tbENKUlT_T0_E_clISt17integral_constantIbLb0EEST_IbLb1EEEEDaSP_SQ_EUlSP_E_NS1_11comp_targetILNS1_3genE2ELNS1_11target_archE906ELNS1_3gpuE6ELNS1_3repE0EEENS1_30default_config_static_selectorELNS0_4arch9wavefront6targetE1EEEvT1_
                                        ; -- End function
	.section	.AMDGPU.csdata,"",@progbits
; Kernel info:
; codeLenInByte = 0
; NumSgprs: 4
; NumVgprs: 0
; NumAgprs: 0
; TotalNumVgprs: 0
; ScratchSize: 0
; MemoryBound: 0
; FloatMode: 240
; IeeeMode: 1
; LDSByteSize: 0 bytes/workgroup (compile time only)
; SGPRBlocks: 0
; VGPRBlocks: 0
; NumSGPRsForWavesPerEU: 4
; NumVGPRsForWavesPerEU: 1
; AccumOffset: 4
; Occupancy: 8
; WaveLimiterHint : 0
; COMPUTE_PGM_RSRC2:SCRATCH_EN: 0
; COMPUTE_PGM_RSRC2:USER_SGPR: 6
; COMPUTE_PGM_RSRC2:TRAP_HANDLER: 0
; COMPUTE_PGM_RSRC2:TGID_X_EN: 1
; COMPUTE_PGM_RSRC2:TGID_Y_EN: 0
; COMPUTE_PGM_RSRC2:TGID_Z_EN: 0
; COMPUTE_PGM_RSRC2:TIDIG_COMP_CNT: 0
; COMPUTE_PGM_RSRC3_GFX90A:ACCUM_OFFSET: 0
; COMPUTE_PGM_RSRC3_GFX90A:TG_SPLIT: 0
	.section	.text._ZN7rocprim17ROCPRIM_400000_NS6detail17trampoline_kernelINS0_14default_configENS1_20scan_config_selectorIyEEZZNS1_9scan_implILNS1_25lookback_scan_determinismE0ELb1ELb1ES3_N6thrust23THRUST_200600_302600_NS6detail15normal_iteratorINS9_10device_ptrIyEEEESE_y11max_functorIyEyEEDaPvRmT3_T4_T5_mT6_P12ihipStream_tbENKUlT_T0_E_clISt17integral_constantIbLb0EEST_IbLb1EEEEDaSP_SQ_EUlSP_E_NS1_11comp_targetILNS1_3genE10ELNS1_11target_archE1201ELNS1_3gpuE5ELNS1_3repE0EEENS1_30default_config_static_selectorELNS0_4arch9wavefront6targetE1EEEvT1_,"axG",@progbits,_ZN7rocprim17ROCPRIM_400000_NS6detail17trampoline_kernelINS0_14default_configENS1_20scan_config_selectorIyEEZZNS1_9scan_implILNS1_25lookback_scan_determinismE0ELb1ELb1ES3_N6thrust23THRUST_200600_302600_NS6detail15normal_iteratorINS9_10device_ptrIyEEEESE_y11max_functorIyEyEEDaPvRmT3_T4_T5_mT6_P12ihipStream_tbENKUlT_T0_E_clISt17integral_constantIbLb0EEST_IbLb1EEEEDaSP_SQ_EUlSP_E_NS1_11comp_targetILNS1_3genE10ELNS1_11target_archE1201ELNS1_3gpuE5ELNS1_3repE0EEENS1_30default_config_static_selectorELNS0_4arch9wavefront6targetE1EEEvT1_,comdat
	.protected	_ZN7rocprim17ROCPRIM_400000_NS6detail17trampoline_kernelINS0_14default_configENS1_20scan_config_selectorIyEEZZNS1_9scan_implILNS1_25lookback_scan_determinismE0ELb1ELb1ES3_N6thrust23THRUST_200600_302600_NS6detail15normal_iteratorINS9_10device_ptrIyEEEESE_y11max_functorIyEyEEDaPvRmT3_T4_T5_mT6_P12ihipStream_tbENKUlT_T0_E_clISt17integral_constantIbLb0EEST_IbLb1EEEEDaSP_SQ_EUlSP_E_NS1_11comp_targetILNS1_3genE10ELNS1_11target_archE1201ELNS1_3gpuE5ELNS1_3repE0EEENS1_30default_config_static_selectorELNS0_4arch9wavefront6targetE1EEEvT1_ ; -- Begin function _ZN7rocprim17ROCPRIM_400000_NS6detail17trampoline_kernelINS0_14default_configENS1_20scan_config_selectorIyEEZZNS1_9scan_implILNS1_25lookback_scan_determinismE0ELb1ELb1ES3_N6thrust23THRUST_200600_302600_NS6detail15normal_iteratorINS9_10device_ptrIyEEEESE_y11max_functorIyEyEEDaPvRmT3_T4_T5_mT6_P12ihipStream_tbENKUlT_T0_E_clISt17integral_constantIbLb0EEST_IbLb1EEEEDaSP_SQ_EUlSP_E_NS1_11comp_targetILNS1_3genE10ELNS1_11target_archE1201ELNS1_3gpuE5ELNS1_3repE0EEENS1_30default_config_static_selectorELNS0_4arch9wavefront6targetE1EEEvT1_
	.globl	_ZN7rocprim17ROCPRIM_400000_NS6detail17trampoline_kernelINS0_14default_configENS1_20scan_config_selectorIyEEZZNS1_9scan_implILNS1_25lookback_scan_determinismE0ELb1ELb1ES3_N6thrust23THRUST_200600_302600_NS6detail15normal_iteratorINS9_10device_ptrIyEEEESE_y11max_functorIyEyEEDaPvRmT3_T4_T5_mT6_P12ihipStream_tbENKUlT_T0_E_clISt17integral_constantIbLb0EEST_IbLb1EEEEDaSP_SQ_EUlSP_E_NS1_11comp_targetILNS1_3genE10ELNS1_11target_archE1201ELNS1_3gpuE5ELNS1_3repE0EEENS1_30default_config_static_selectorELNS0_4arch9wavefront6targetE1EEEvT1_
	.p2align	8
	.type	_ZN7rocprim17ROCPRIM_400000_NS6detail17trampoline_kernelINS0_14default_configENS1_20scan_config_selectorIyEEZZNS1_9scan_implILNS1_25lookback_scan_determinismE0ELb1ELb1ES3_N6thrust23THRUST_200600_302600_NS6detail15normal_iteratorINS9_10device_ptrIyEEEESE_y11max_functorIyEyEEDaPvRmT3_T4_T5_mT6_P12ihipStream_tbENKUlT_T0_E_clISt17integral_constantIbLb0EEST_IbLb1EEEEDaSP_SQ_EUlSP_E_NS1_11comp_targetILNS1_3genE10ELNS1_11target_archE1201ELNS1_3gpuE5ELNS1_3repE0EEENS1_30default_config_static_selectorELNS0_4arch9wavefront6targetE1EEEvT1_,@function
_ZN7rocprim17ROCPRIM_400000_NS6detail17trampoline_kernelINS0_14default_configENS1_20scan_config_selectorIyEEZZNS1_9scan_implILNS1_25lookback_scan_determinismE0ELb1ELb1ES3_N6thrust23THRUST_200600_302600_NS6detail15normal_iteratorINS9_10device_ptrIyEEEESE_y11max_functorIyEyEEDaPvRmT3_T4_T5_mT6_P12ihipStream_tbENKUlT_T0_E_clISt17integral_constantIbLb0EEST_IbLb1EEEEDaSP_SQ_EUlSP_E_NS1_11comp_targetILNS1_3genE10ELNS1_11target_archE1201ELNS1_3gpuE5ELNS1_3repE0EEENS1_30default_config_static_selectorELNS0_4arch9wavefront6targetE1EEEvT1_: ; @_ZN7rocprim17ROCPRIM_400000_NS6detail17trampoline_kernelINS0_14default_configENS1_20scan_config_selectorIyEEZZNS1_9scan_implILNS1_25lookback_scan_determinismE0ELb1ELb1ES3_N6thrust23THRUST_200600_302600_NS6detail15normal_iteratorINS9_10device_ptrIyEEEESE_y11max_functorIyEyEEDaPvRmT3_T4_T5_mT6_P12ihipStream_tbENKUlT_T0_E_clISt17integral_constantIbLb0EEST_IbLb1EEEEDaSP_SQ_EUlSP_E_NS1_11comp_targetILNS1_3genE10ELNS1_11target_archE1201ELNS1_3gpuE5ELNS1_3repE0EEENS1_30default_config_static_selectorELNS0_4arch9wavefront6targetE1EEEvT1_
; %bb.0:
	.section	.rodata,"a",@progbits
	.p2align	6, 0x0
	.amdhsa_kernel _ZN7rocprim17ROCPRIM_400000_NS6detail17trampoline_kernelINS0_14default_configENS1_20scan_config_selectorIyEEZZNS1_9scan_implILNS1_25lookback_scan_determinismE0ELb1ELb1ES3_N6thrust23THRUST_200600_302600_NS6detail15normal_iteratorINS9_10device_ptrIyEEEESE_y11max_functorIyEyEEDaPvRmT3_T4_T5_mT6_P12ihipStream_tbENKUlT_T0_E_clISt17integral_constantIbLb0EEST_IbLb1EEEEDaSP_SQ_EUlSP_E_NS1_11comp_targetILNS1_3genE10ELNS1_11target_archE1201ELNS1_3gpuE5ELNS1_3repE0EEENS1_30default_config_static_selectorELNS0_4arch9wavefront6targetE1EEEvT1_
		.amdhsa_group_segment_fixed_size 0
		.amdhsa_private_segment_fixed_size 0
		.amdhsa_kernarg_size 104
		.amdhsa_user_sgpr_count 6
		.amdhsa_user_sgpr_private_segment_buffer 1
		.amdhsa_user_sgpr_dispatch_ptr 0
		.amdhsa_user_sgpr_queue_ptr 0
		.amdhsa_user_sgpr_kernarg_segment_ptr 1
		.amdhsa_user_sgpr_dispatch_id 0
		.amdhsa_user_sgpr_flat_scratch_init 0
		.amdhsa_user_sgpr_kernarg_preload_length 0
		.amdhsa_user_sgpr_kernarg_preload_offset 0
		.amdhsa_user_sgpr_private_segment_size 0
		.amdhsa_uses_dynamic_stack 0
		.amdhsa_system_sgpr_private_segment_wavefront_offset 0
		.amdhsa_system_sgpr_workgroup_id_x 1
		.amdhsa_system_sgpr_workgroup_id_y 0
		.amdhsa_system_sgpr_workgroup_id_z 0
		.amdhsa_system_sgpr_workgroup_info 0
		.amdhsa_system_vgpr_workitem_id 0
		.amdhsa_next_free_vgpr 1
		.amdhsa_next_free_sgpr 0
		.amdhsa_accum_offset 4
		.amdhsa_reserve_vcc 0
		.amdhsa_reserve_flat_scratch 0
		.amdhsa_float_round_mode_32 0
		.amdhsa_float_round_mode_16_64 0
		.amdhsa_float_denorm_mode_32 3
		.amdhsa_float_denorm_mode_16_64 3
		.amdhsa_dx10_clamp 1
		.amdhsa_ieee_mode 1
		.amdhsa_fp16_overflow 0
		.amdhsa_tg_split 0
		.amdhsa_exception_fp_ieee_invalid_op 0
		.amdhsa_exception_fp_denorm_src 0
		.amdhsa_exception_fp_ieee_div_zero 0
		.amdhsa_exception_fp_ieee_overflow 0
		.amdhsa_exception_fp_ieee_underflow 0
		.amdhsa_exception_fp_ieee_inexact 0
		.amdhsa_exception_int_div_zero 0
	.end_amdhsa_kernel
	.section	.text._ZN7rocprim17ROCPRIM_400000_NS6detail17trampoline_kernelINS0_14default_configENS1_20scan_config_selectorIyEEZZNS1_9scan_implILNS1_25lookback_scan_determinismE0ELb1ELb1ES3_N6thrust23THRUST_200600_302600_NS6detail15normal_iteratorINS9_10device_ptrIyEEEESE_y11max_functorIyEyEEDaPvRmT3_T4_T5_mT6_P12ihipStream_tbENKUlT_T0_E_clISt17integral_constantIbLb0EEST_IbLb1EEEEDaSP_SQ_EUlSP_E_NS1_11comp_targetILNS1_3genE10ELNS1_11target_archE1201ELNS1_3gpuE5ELNS1_3repE0EEENS1_30default_config_static_selectorELNS0_4arch9wavefront6targetE1EEEvT1_,"axG",@progbits,_ZN7rocprim17ROCPRIM_400000_NS6detail17trampoline_kernelINS0_14default_configENS1_20scan_config_selectorIyEEZZNS1_9scan_implILNS1_25lookback_scan_determinismE0ELb1ELb1ES3_N6thrust23THRUST_200600_302600_NS6detail15normal_iteratorINS9_10device_ptrIyEEEESE_y11max_functorIyEyEEDaPvRmT3_T4_T5_mT6_P12ihipStream_tbENKUlT_T0_E_clISt17integral_constantIbLb0EEST_IbLb1EEEEDaSP_SQ_EUlSP_E_NS1_11comp_targetILNS1_3genE10ELNS1_11target_archE1201ELNS1_3gpuE5ELNS1_3repE0EEENS1_30default_config_static_selectorELNS0_4arch9wavefront6targetE1EEEvT1_,comdat
.Lfunc_end2231:
	.size	_ZN7rocprim17ROCPRIM_400000_NS6detail17trampoline_kernelINS0_14default_configENS1_20scan_config_selectorIyEEZZNS1_9scan_implILNS1_25lookback_scan_determinismE0ELb1ELb1ES3_N6thrust23THRUST_200600_302600_NS6detail15normal_iteratorINS9_10device_ptrIyEEEESE_y11max_functorIyEyEEDaPvRmT3_T4_T5_mT6_P12ihipStream_tbENKUlT_T0_E_clISt17integral_constantIbLb0EEST_IbLb1EEEEDaSP_SQ_EUlSP_E_NS1_11comp_targetILNS1_3genE10ELNS1_11target_archE1201ELNS1_3gpuE5ELNS1_3repE0EEENS1_30default_config_static_selectorELNS0_4arch9wavefront6targetE1EEEvT1_, .Lfunc_end2231-_ZN7rocprim17ROCPRIM_400000_NS6detail17trampoline_kernelINS0_14default_configENS1_20scan_config_selectorIyEEZZNS1_9scan_implILNS1_25lookback_scan_determinismE0ELb1ELb1ES3_N6thrust23THRUST_200600_302600_NS6detail15normal_iteratorINS9_10device_ptrIyEEEESE_y11max_functorIyEyEEDaPvRmT3_T4_T5_mT6_P12ihipStream_tbENKUlT_T0_E_clISt17integral_constantIbLb0EEST_IbLb1EEEEDaSP_SQ_EUlSP_E_NS1_11comp_targetILNS1_3genE10ELNS1_11target_archE1201ELNS1_3gpuE5ELNS1_3repE0EEENS1_30default_config_static_selectorELNS0_4arch9wavefront6targetE1EEEvT1_
                                        ; -- End function
	.section	.AMDGPU.csdata,"",@progbits
; Kernel info:
; codeLenInByte = 0
; NumSgprs: 4
; NumVgprs: 0
; NumAgprs: 0
; TotalNumVgprs: 0
; ScratchSize: 0
; MemoryBound: 0
; FloatMode: 240
; IeeeMode: 1
; LDSByteSize: 0 bytes/workgroup (compile time only)
; SGPRBlocks: 0
; VGPRBlocks: 0
; NumSGPRsForWavesPerEU: 4
; NumVGPRsForWavesPerEU: 1
; AccumOffset: 4
; Occupancy: 8
; WaveLimiterHint : 0
; COMPUTE_PGM_RSRC2:SCRATCH_EN: 0
; COMPUTE_PGM_RSRC2:USER_SGPR: 6
; COMPUTE_PGM_RSRC2:TRAP_HANDLER: 0
; COMPUTE_PGM_RSRC2:TGID_X_EN: 1
; COMPUTE_PGM_RSRC2:TGID_Y_EN: 0
; COMPUTE_PGM_RSRC2:TGID_Z_EN: 0
; COMPUTE_PGM_RSRC2:TIDIG_COMP_CNT: 0
; COMPUTE_PGM_RSRC3_GFX90A:ACCUM_OFFSET: 0
; COMPUTE_PGM_RSRC3_GFX90A:TG_SPLIT: 0
	.section	.text._ZN7rocprim17ROCPRIM_400000_NS6detail17trampoline_kernelINS0_14default_configENS1_20scan_config_selectorIyEEZZNS1_9scan_implILNS1_25lookback_scan_determinismE0ELb1ELb1ES3_N6thrust23THRUST_200600_302600_NS6detail15normal_iteratorINS9_10device_ptrIyEEEESE_y11max_functorIyEyEEDaPvRmT3_T4_T5_mT6_P12ihipStream_tbENKUlT_T0_E_clISt17integral_constantIbLb0EEST_IbLb1EEEEDaSP_SQ_EUlSP_E_NS1_11comp_targetILNS1_3genE10ELNS1_11target_archE1200ELNS1_3gpuE4ELNS1_3repE0EEENS1_30default_config_static_selectorELNS0_4arch9wavefront6targetE1EEEvT1_,"axG",@progbits,_ZN7rocprim17ROCPRIM_400000_NS6detail17trampoline_kernelINS0_14default_configENS1_20scan_config_selectorIyEEZZNS1_9scan_implILNS1_25lookback_scan_determinismE0ELb1ELb1ES3_N6thrust23THRUST_200600_302600_NS6detail15normal_iteratorINS9_10device_ptrIyEEEESE_y11max_functorIyEyEEDaPvRmT3_T4_T5_mT6_P12ihipStream_tbENKUlT_T0_E_clISt17integral_constantIbLb0EEST_IbLb1EEEEDaSP_SQ_EUlSP_E_NS1_11comp_targetILNS1_3genE10ELNS1_11target_archE1200ELNS1_3gpuE4ELNS1_3repE0EEENS1_30default_config_static_selectorELNS0_4arch9wavefront6targetE1EEEvT1_,comdat
	.protected	_ZN7rocprim17ROCPRIM_400000_NS6detail17trampoline_kernelINS0_14default_configENS1_20scan_config_selectorIyEEZZNS1_9scan_implILNS1_25lookback_scan_determinismE0ELb1ELb1ES3_N6thrust23THRUST_200600_302600_NS6detail15normal_iteratorINS9_10device_ptrIyEEEESE_y11max_functorIyEyEEDaPvRmT3_T4_T5_mT6_P12ihipStream_tbENKUlT_T0_E_clISt17integral_constantIbLb0EEST_IbLb1EEEEDaSP_SQ_EUlSP_E_NS1_11comp_targetILNS1_3genE10ELNS1_11target_archE1200ELNS1_3gpuE4ELNS1_3repE0EEENS1_30default_config_static_selectorELNS0_4arch9wavefront6targetE1EEEvT1_ ; -- Begin function _ZN7rocprim17ROCPRIM_400000_NS6detail17trampoline_kernelINS0_14default_configENS1_20scan_config_selectorIyEEZZNS1_9scan_implILNS1_25lookback_scan_determinismE0ELb1ELb1ES3_N6thrust23THRUST_200600_302600_NS6detail15normal_iteratorINS9_10device_ptrIyEEEESE_y11max_functorIyEyEEDaPvRmT3_T4_T5_mT6_P12ihipStream_tbENKUlT_T0_E_clISt17integral_constantIbLb0EEST_IbLb1EEEEDaSP_SQ_EUlSP_E_NS1_11comp_targetILNS1_3genE10ELNS1_11target_archE1200ELNS1_3gpuE4ELNS1_3repE0EEENS1_30default_config_static_selectorELNS0_4arch9wavefront6targetE1EEEvT1_
	.globl	_ZN7rocprim17ROCPRIM_400000_NS6detail17trampoline_kernelINS0_14default_configENS1_20scan_config_selectorIyEEZZNS1_9scan_implILNS1_25lookback_scan_determinismE0ELb1ELb1ES3_N6thrust23THRUST_200600_302600_NS6detail15normal_iteratorINS9_10device_ptrIyEEEESE_y11max_functorIyEyEEDaPvRmT3_T4_T5_mT6_P12ihipStream_tbENKUlT_T0_E_clISt17integral_constantIbLb0EEST_IbLb1EEEEDaSP_SQ_EUlSP_E_NS1_11comp_targetILNS1_3genE10ELNS1_11target_archE1200ELNS1_3gpuE4ELNS1_3repE0EEENS1_30default_config_static_selectorELNS0_4arch9wavefront6targetE1EEEvT1_
	.p2align	8
	.type	_ZN7rocprim17ROCPRIM_400000_NS6detail17trampoline_kernelINS0_14default_configENS1_20scan_config_selectorIyEEZZNS1_9scan_implILNS1_25lookback_scan_determinismE0ELb1ELb1ES3_N6thrust23THRUST_200600_302600_NS6detail15normal_iteratorINS9_10device_ptrIyEEEESE_y11max_functorIyEyEEDaPvRmT3_T4_T5_mT6_P12ihipStream_tbENKUlT_T0_E_clISt17integral_constantIbLb0EEST_IbLb1EEEEDaSP_SQ_EUlSP_E_NS1_11comp_targetILNS1_3genE10ELNS1_11target_archE1200ELNS1_3gpuE4ELNS1_3repE0EEENS1_30default_config_static_selectorELNS0_4arch9wavefront6targetE1EEEvT1_,@function
_ZN7rocprim17ROCPRIM_400000_NS6detail17trampoline_kernelINS0_14default_configENS1_20scan_config_selectorIyEEZZNS1_9scan_implILNS1_25lookback_scan_determinismE0ELb1ELb1ES3_N6thrust23THRUST_200600_302600_NS6detail15normal_iteratorINS9_10device_ptrIyEEEESE_y11max_functorIyEyEEDaPvRmT3_T4_T5_mT6_P12ihipStream_tbENKUlT_T0_E_clISt17integral_constantIbLb0EEST_IbLb1EEEEDaSP_SQ_EUlSP_E_NS1_11comp_targetILNS1_3genE10ELNS1_11target_archE1200ELNS1_3gpuE4ELNS1_3repE0EEENS1_30default_config_static_selectorELNS0_4arch9wavefront6targetE1EEEvT1_: ; @_ZN7rocprim17ROCPRIM_400000_NS6detail17trampoline_kernelINS0_14default_configENS1_20scan_config_selectorIyEEZZNS1_9scan_implILNS1_25lookback_scan_determinismE0ELb1ELb1ES3_N6thrust23THRUST_200600_302600_NS6detail15normal_iteratorINS9_10device_ptrIyEEEESE_y11max_functorIyEyEEDaPvRmT3_T4_T5_mT6_P12ihipStream_tbENKUlT_T0_E_clISt17integral_constantIbLb0EEST_IbLb1EEEEDaSP_SQ_EUlSP_E_NS1_11comp_targetILNS1_3genE10ELNS1_11target_archE1200ELNS1_3gpuE4ELNS1_3repE0EEENS1_30default_config_static_selectorELNS0_4arch9wavefront6targetE1EEEvT1_
; %bb.0:
	.section	.rodata,"a",@progbits
	.p2align	6, 0x0
	.amdhsa_kernel _ZN7rocprim17ROCPRIM_400000_NS6detail17trampoline_kernelINS0_14default_configENS1_20scan_config_selectorIyEEZZNS1_9scan_implILNS1_25lookback_scan_determinismE0ELb1ELb1ES3_N6thrust23THRUST_200600_302600_NS6detail15normal_iteratorINS9_10device_ptrIyEEEESE_y11max_functorIyEyEEDaPvRmT3_T4_T5_mT6_P12ihipStream_tbENKUlT_T0_E_clISt17integral_constantIbLb0EEST_IbLb1EEEEDaSP_SQ_EUlSP_E_NS1_11comp_targetILNS1_3genE10ELNS1_11target_archE1200ELNS1_3gpuE4ELNS1_3repE0EEENS1_30default_config_static_selectorELNS0_4arch9wavefront6targetE1EEEvT1_
		.amdhsa_group_segment_fixed_size 0
		.amdhsa_private_segment_fixed_size 0
		.amdhsa_kernarg_size 104
		.amdhsa_user_sgpr_count 6
		.amdhsa_user_sgpr_private_segment_buffer 1
		.amdhsa_user_sgpr_dispatch_ptr 0
		.amdhsa_user_sgpr_queue_ptr 0
		.amdhsa_user_sgpr_kernarg_segment_ptr 1
		.amdhsa_user_sgpr_dispatch_id 0
		.amdhsa_user_sgpr_flat_scratch_init 0
		.amdhsa_user_sgpr_kernarg_preload_length 0
		.amdhsa_user_sgpr_kernarg_preload_offset 0
		.amdhsa_user_sgpr_private_segment_size 0
		.amdhsa_uses_dynamic_stack 0
		.amdhsa_system_sgpr_private_segment_wavefront_offset 0
		.amdhsa_system_sgpr_workgroup_id_x 1
		.amdhsa_system_sgpr_workgroup_id_y 0
		.amdhsa_system_sgpr_workgroup_id_z 0
		.amdhsa_system_sgpr_workgroup_info 0
		.amdhsa_system_vgpr_workitem_id 0
		.amdhsa_next_free_vgpr 1
		.amdhsa_next_free_sgpr 0
		.amdhsa_accum_offset 4
		.amdhsa_reserve_vcc 0
		.amdhsa_reserve_flat_scratch 0
		.amdhsa_float_round_mode_32 0
		.amdhsa_float_round_mode_16_64 0
		.amdhsa_float_denorm_mode_32 3
		.amdhsa_float_denorm_mode_16_64 3
		.amdhsa_dx10_clamp 1
		.amdhsa_ieee_mode 1
		.amdhsa_fp16_overflow 0
		.amdhsa_tg_split 0
		.amdhsa_exception_fp_ieee_invalid_op 0
		.amdhsa_exception_fp_denorm_src 0
		.amdhsa_exception_fp_ieee_div_zero 0
		.amdhsa_exception_fp_ieee_overflow 0
		.amdhsa_exception_fp_ieee_underflow 0
		.amdhsa_exception_fp_ieee_inexact 0
		.amdhsa_exception_int_div_zero 0
	.end_amdhsa_kernel
	.section	.text._ZN7rocprim17ROCPRIM_400000_NS6detail17trampoline_kernelINS0_14default_configENS1_20scan_config_selectorIyEEZZNS1_9scan_implILNS1_25lookback_scan_determinismE0ELb1ELb1ES3_N6thrust23THRUST_200600_302600_NS6detail15normal_iteratorINS9_10device_ptrIyEEEESE_y11max_functorIyEyEEDaPvRmT3_T4_T5_mT6_P12ihipStream_tbENKUlT_T0_E_clISt17integral_constantIbLb0EEST_IbLb1EEEEDaSP_SQ_EUlSP_E_NS1_11comp_targetILNS1_3genE10ELNS1_11target_archE1200ELNS1_3gpuE4ELNS1_3repE0EEENS1_30default_config_static_selectorELNS0_4arch9wavefront6targetE1EEEvT1_,"axG",@progbits,_ZN7rocprim17ROCPRIM_400000_NS6detail17trampoline_kernelINS0_14default_configENS1_20scan_config_selectorIyEEZZNS1_9scan_implILNS1_25lookback_scan_determinismE0ELb1ELb1ES3_N6thrust23THRUST_200600_302600_NS6detail15normal_iteratorINS9_10device_ptrIyEEEESE_y11max_functorIyEyEEDaPvRmT3_T4_T5_mT6_P12ihipStream_tbENKUlT_T0_E_clISt17integral_constantIbLb0EEST_IbLb1EEEEDaSP_SQ_EUlSP_E_NS1_11comp_targetILNS1_3genE10ELNS1_11target_archE1200ELNS1_3gpuE4ELNS1_3repE0EEENS1_30default_config_static_selectorELNS0_4arch9wavefront6targetE1EEEvT1_,comdat
.Lfunc_end2232:
	.size	_ZN7rocprim17ROCPRIM_400000_NS6detail17trampoline_kernelINS0_14default_configENS1_20scan_config_selectorIyEEZZNS1_9scan_implILNS1_25lookback_scan_determinismE0ELb1ELb1ES3_N6thrust23THRUST_200600_302600_NS6detail15normal_iteratorINS9_10device_ptrIyEEEESE_y11max_functorIyEyEEDaPvRmT3_T4_T5_mT6_P12ihipStream_tbENKUlT_T0_E_clISt17integral_constantIbLb0EEST_IbLb1EEEEDaSP_SQ_EUlSP_E_NS1_11comp_targetILNS1_3genE10ELNS1_11target_archE1200ELNS1_3gpuE4ELNS1_3repE0EEENS1_30default_config_static_selectorELNS0_4arch9wavefront6targetE1EEEvT1_, .Lfunc_end2232-_ZN7rocprim17ROCPRIM_400000_NS6detail17trampoline_kernelINS0_14default_configENS1_20scan_config_selectorIyEEZZNS1_9scan_implILNS1_25lookback_scan_determinismE0ELb1ELb1ES3_N6thrust23THRUST_200600_302600_NS6detail15normal_iteratorINS9_10device_ptrIyEEEESE_y11max_functorIyEyEEDaPvRmT3_T4_T5_mT6_P12ihipStream_tbENKUlT_T0_E_clISt17integral_constantIbLb0EEST_IbLb1EEEEDaSP_SQ_EUlSP_E_NS1_11comp_targetILNS1_3genE10ELNS1_11target_archE1200ELNS1_3gpuE4ELNS1_3repE0EEENS1_30default_config_static_selectorELNS0_4arch9wavefront6targetE1EEEvT1_
                                        ; -- End function
	.section	.AMDGPU.csdata,"",@progbits
; Kernel info:
; codeLenInByte = 0
; NumSgprs: 4
; NumVgprs: 0
; NumAgprs: 0
; TotalNumVgprs: 0
; ScratchSize: 0
; MemoryBound: 0
; FloatMode: 240
; IeeeMode: 1
; LDSByteSize: 0 bytes/workgroup (compile time only)
; SGPRBlocks: 0
; VGPRBlocks: 0
; NumSGPRsForWavesPerEU: 4
; NumVGPRsForWavesPerEU: 1
; AccumOffset: 4
; Occupancy: 8
; WaveLimiterHint : 0
; COMPUTE_PGM_RSRC2:SCRATCH_EN: 0
; COMPUTE_PGM_RSRC2:USER_SGPR: 6
; COMPUTE_PGM_RSRC2:TRAP_HANDLER: 0
; COMPUTE_PGM_RSRC2:TGID_X_EN: 1
; COMPUTE_PGM_RSRC2:TGID_Y_EN: 0
; COMPUTE_PGM_RSRC2:TGID_Z_EN: 0
; COMPUTE_PGM_RSRC2:TIDIG_COMP_CNT: 0
; COMPUTE_PGM_RSRC3_GFX90A:ACCUM_OFFSET: 0
; COMPUTE_PGM_RSRC3_GFX90A:TG_SPLIT: 0
	.section	.text._ZN7rocprim17ROCPRIM_400000_NS6detail17trampoline_kernelINS0_14default_configENS1_20scan_config_selectorIyEEZZNS1_9scan_implILNS1_25lookback_scan_determinismE0ELb1ELb1ES3_N6thrust23THRUST_200600_302600_NS6detail15normal_iteratorINS9_10device_ptrIyEEEESE_y11max_functorIyEyEEDaPvRmT3_T4_T5_mT6_P12ihipStream_tbENKUlT_T0_E_clISt17integral_constantIbLb0EEST_IbLb1EEEEDaSP_SQ_EUlSP_E_NS1_11comp_targetILNS1_3genE9ELNS1_11target_archE1100ELNS1_3gpuE3ELNS1_3repE0EEENS1_30default_config_static_selectorELNS0_4arch9wavefront6targetE1EEEvT1_,"axG",@progbits,_ZN7rocprim17ROCPRIM_400000_NS6detail17trampoline_kernelINS0_14default_configENS1_20scan_config_selectorIyEEZZNS1_9scan_implILNS1_25lookback_scan_determinismE0ELb1ELb1ES3_N6thrust23THRUST_200600_302600_NS6detail15normal_iteratorINS9_10device_ptrIyEEEESE_y11max_functorIyEyEEDaPvRmT3_T4_T5_mT6_P12ihipStream_tbENKUlT_T0_E_clISt17integral_constantIbLb0EEST_IbLb1EEEEDaSP_SQ_EUlSP_E_NS1_11comp_targetILNS1_3genE9ELNS1_11target_archE1100ELNS1_3gpuE3ELNS1_3repE0EEENS1_30default_config_static_selectorELNS0_4arch9wavefront6targetE1EEEvT1_,comdat
	.protected	_ZN7rocprim17ROCPRIM_400000_NS6detail17trampoline_kernelINS0_14default_configENS1_20scan_config_selectorIyEEZZNS1_9scan_implILNS1_25lookback_scan_determinismE0ELb1ELb1ES3_N6thrust23THRUST_200600_302600_NS6detail15normal_iteratorINS9_10device_ptrIyEEEESE_y11max_functorIyEyEEDaPvRmT3_T4_T5_mT6_P12ihipStream_tbENKUlT_T0_E_clISt17integral_constantIbLb0EEST_IbLb1EEEEDaSP_SQ_EUlSP_E_NS1_11comp_targetILNS1_3genE9ELNS1_11target_archE1100ELNS1_3gpuE3ELNS1_3repE0EEENS1_30default_config_static_selectorELNS0_4arch9wavefront6targetE1EEEvT1_ ; -- Begin function _ZN7rocprim17ROCPRIM_400000_NS6detail17trampoline_kernelINS0_14default_configENS1_20scan_config_selectorIyEEZZNS1_9scan_implILNS1_25lookback_scan_determinismE0ELb1ELb1ES3_N6thrust23THRUST_200600_302600_NS6detail15normal_iteratorINS9_10device_ptrIyEEEESE_y11max_functorIyEyEEDaPvRmT3_T4_T5_mT6_P12ihipStream_tbENKUlT_T0_E_clISt17integral_constantIbLb0EEST_IbLb1EEEEDaSP_SQ_EUlSP_E_NS1_11comp_targetILNS1_3genE9ELNS1_11target_archE1100ELNS1_3gpuE3ELNS1_3repE0EEENS1_30default_config_static_selectorELNS0_4arch9wavefront6targetE1EEEvT1_
	.globl	_ZN7rocprim17ROCPRIM_400000_NS6detail17trampoline_kernelINS0_14default_configENS1_20scan_config_selectorIyEEZZNS1_9scan_implILNS1_25lookback_scan_determinismE0ELb1ELb1ES3_N6thrust23THRUST_200600_302600_NS6detail15normal_iteratorINS9_10device_ptrIyEEEESE_y11max_functorIyEyEEDaPvRmT3_T4_T5_mT6_P12ihipStream_tbENKUlT_T0_E_clISt17integral_constantIbLb0EEST_IbLb1EEEEDaSP_SQ_EUlSP_E_NS1_11comp_targetILNS1_3genE9ELNS1_11target_archE1100ELNS1_3gpuE3ELNS1_3repE0EEENS1_30default_config_static_selectorELNS0_4arch9wavefront6targetE1EEEvT1_
	.p2align	8
	.type	_ZN7rocprim17ROCPRIM_400000_NS6detail17trampoline_kernelINS0_14default_configENS1_20scan_config_selectorIyEEZZNS1_9scan_implILNS1_25lookback_scan_determinismE0ELb1ELb1ES3_N6thrust23THRUST_200600_302600_NS6detail15normal_iteratorINS9_10device_ptrIyEEEESE_y11max_functorIyEyEEDaPvRmT3_T4_T5_mT6_P12ihipStream_tbENKUlT_T0_E_clISt17integral_constantIbLb0EEST_IbLb1EEEEDaSP_SQ_EUlSP_E_NS1_11comp_targetILNS1_3genE9ELNS1_11target_archE1100ELNS1_3gpuE3ELNS1_3repE0EEENS1_30default_config_static_selectorELNS0_4arch9wavefront6targetE1EEEvT1_,@function
_ZN7rocprim17ROCPRIM_400000_NS6detail17trampoline_kernelINS0_14default_configENS1_20scan_config_selectorIyEEZZNS1_9scan_implILNS1_25lookback_scan_determinismE0ELb1ELb1ES3_N6thrust23THRUST_200600_302600_NS6detail15normal_iteratorINS9_10device_ptrIyEEEESE_y11max_functorIyEyEEDaPvRmT3_T4_T5_mT6_P12ihipStream_tbENKUlT_T0_E_clISt17integral_constantIbLb0EEST_IbLb1EEEEDaSP_SQ_EUlSP_E_NS1_11comp_targetILNS1_3genE9ELNS1_11target_archE1100ELNS1_3gpuE3ELNS1_3repE0EEENS1_30default_config_static_selectorELNS0_4arch9wavefront6targetE1EEEvT1_: ; @_ZN7rocprim17ROCPRIM_400000_NS6detail17trampoline_kernelINS0_14default_configENS1_20scan_config_selectorIyEEZZNS1_9scan_implILNS1_25lookback_scan_determinismE0ELb1ELb1ES3_N6thrust23THRUST_200600_302600_NS6detail15normal_iteratorINS9_10device_ptrIyEEEESE_y11max_functorIyEyEEDaPvRmT3_T4_T5_mT6_P12ihipStream_tbENKUlT_T0_E_clISt17integral_constantIbLb0EEST_IbLb1EEEEDaSP_SQ_EUlSP_E_NS1_11comp_targetILNS1_3genE9ELNS1_11target_archE1100ELNS1_3gpuE3ELNS1_3repE0EEENS1_30default_config_static_selectorELNS0_4arch9wavefront6targetE1EEEvT1_
; %bb.0:
	.section	.rodata,"a",@progbits
	.p2align	6, 0x0
	.amdhsa_kernel _ZN7rocprim17ROCPRIM_400000_NS6detail17trampoline_kernelINS0_14default_configENS1_20scan_config_selectorIyEEZZNS1_9scan_implILNS1_25lookback_scan_determinismE0ELb1ELb1ES3_N6thrust23THRUST_200600_302600_NS6detail15normal_iteratorINS9_10device_ptrIyEEEESE_y11max_functorIyEyEEDaPvRmT3_T4_T5_mT6_P12ihipStream_tbENKUlT_T0_E_clISt17integral_constantIbLb0EEST_IbLb1EEEEDaSP_SQ_EUlSP_E_NS1_11comp_targetILNS1_3genE9ELNS1_11target_archE1100ELNS1_3gpuE3ELNS1_3repE0EEENS1_30default_config_static_selectorELNS0_4arch9wavefront6targetE1EEEvT1_
		.amdhsa_group_segment_fixed_size 0
		.amdhsa_private_segment_fixed_size 0
		.amdhsa_kernarg_size 104
		.amdhsa_user_sgpr_count 6
		.amdhsa_user_sgpr_private_segment_buffer 1
		.amdhsa_user_sgpr_dispatch_ptr 0
		.amdhsa_user_sgpr_queue_ptr 0
		.amdhsa_user_sgpr_kernarg_segment_ptr 1
		.amdhsa_user_sgpr_dispatch_id 0
		.amdhsa_user_sgpr_flat_scratch_init 0
		.amdhsa_user_sgpr_kernarg_preload_length 0
		.amdhsa_user_sgpr_kernarg_preload_offset 0
		.amdhsa_user_sgpr_private_segment_size 0
		.amdhsa_uses_dynamic_stack 0
		.amdhsa_system_sgpr_private_segment_wavefront_offset 0
		.amdhsa_system_sgpr_workgroup_id_x 1
		.amdhsa_system_sgpr_workgroup_id_y 0
		.amdhsa_system_sgpr_workgroup_id_z 0
		.amdhsa_system_sgpr_workgroup_info 0
		.amdhsa_system_vgpr_workitem_id 0
		.amdhsa_next_free_vgpr 1
		.amdhsa_next_free_sgpr 0
		.amdhsa_accum_offset 4
		.amdhsa_reserve_vcc 0
		.amdhsa_reserve_flat_scratch 0
		.amdhsa_float_round_mode_32 0
		.amdhsa_float_round_mode_16_64 0
		.amdhsa_float_denorm_mode_32 3
		.amdhsa_float_denorm_mode_16_64 3
		.amdhsa_dx10_clamp 1
		.amdhsa_ieee_mode 1
		.amdhsa_fp16_overflow 0
		.amdhsa_tg_split 0
		.amdhsa_exception_fp_ieee_invalid_op 0
		.amdhsa_exception_fp_denorm_src 0
		.amdhsa_exception_fp_ieee_div_zero 0
		.amdhsa_exception_fp_ieee_overflow 0
		.amdhsa_exception_fp_ieee_underflow 0
		.amdhsa_exception_fp_ieee_inexact 0
		.amdhsa_exception_int_div_zero 0
	.end_amdhsa_kernel
	.section	.text._ZN7rocprim17ROCPRIM_400000_NS6detail17trampoline_kernelINS0_14default_configENS1_20scan_config_selectorIyEEZZNS1_9scan_implILNS1_25lookback_scan_determinismE0ELb1ELb1ES3_N6thrust23THRUST_200600_302600_NS6detail15normal_iteratorINS9_10device_ptrIyEEEESE_y11max_functorIyEyEEDaPvRmT3_T4_T5_mT6_P12ihipStream_tbENKUlT_T0_E_clISt17integral_constantIbLb0EEST_IbLb1EEEEDaSP_SQ_EUlSP_E_NS1_11comp_targetILNS1_3genE9ELNS1_11target_archE1100ELNS1_3gpuE3ELNS1_3repE0EEENS1_30default_config_static_selectorELNS0_4arch9wavefront6targetE1EEEvT1_,"axG",@progbits,_ZN7rocprim17ROCPRIM_400000_NS6detail17trampoline_kernelINS0_14default_configENS1_20scan_config_selectorIyEEZZNS1_9scan_implILNS1_25lookback_scan_determinismE0ELb1ELb1ES3_N6thrust23THRUST_200600_302600_NS6detail15normal_iteratorINS9_10device_ptrIyEEEESE_y11max_functorIyEyEEDaPvRmT3_T4_T5_mT6_P12ihipStream_tbENKUlT_T0_E_clISt17integral_constantIbLb0EEST_IbLb1EEEEDaSP_SQ_EUlSP_E_NS1_11comp_targetILNS1_3genE9ELNS1_11target_archE1100ELNS1_3gpuE3ELNS1_3repE0EEENS1_30default_config_static_selectorELNS0_4arch9wavefront6targetE1EEEvT1_,comdat
.Lfunc_end2233:
	.size	_ZN7rocprim17ROCPRIM_400000_NS6detail17trampoline_kernelINS0_14default_configENS1_20scan_config_selectorIyEEZZNS1_9scan_implILNS1_25lookback_scan_determinismE0ELb1ELb1ES3_N6thrust23THRUST_200600_302600_NS6detail15normal_iteratorINS9_10device_ptrIyEEEESE_y11max_functorIyEyEEDaPvRmT3_T4_T5_mT6_P12ihipStream_tbENKUlT_T0_E_clISt17integral_constantIbLb0EEST_IbLb1EEEEDaSP_SQ_EUlSP_E_NS1_11comp_targetILNS1_3genE9ELNS1_11target_archE1100ELNS1_3gpuE3ELNS1_3repE0EEENS1_30default_config_static_selectorELNS0_4arch9wavefront6targetE1EEEvT1_, .Lfunc_end2233-_ZN7rocprim17ROCPRIM_400000_NS6detail17trampoline_kernelINS0_14default_configENS1_20scan_config_selectorIyEEZZNS1_9scan_implILNS1_25lookback_scan_determinismE0ELb1ELb1ES3_N6thrust23THRUST_200600_302600_NS6detail15normal_iteratorINS9_10device_ptrIyEEEESE_y11max_functorIyEyEEDaPvRmT3_T4_T5_mT6_P12ihipStream_tbENKUlT_T0_E_clISt17integral_constantIbLb0EEST_IbLb1EEEEDaSP_SQ_EUlSP_E_NS1_11comp_targetILNS1_3genE9ELNS1_11target_archE1100ELNS1_3gpuE3ELNS1_3repE0EEENS1_30default_config_static_selectorELNS0_4arch9wavefront6targetE1EEEvT1_
                                        ; -- End function
	.section	.AMDGPU.csdata,"",@progbits
; Kernel info:
; codeLenInByte = 0
; NumSgprs: 4
; NumVgprs: 0
; NumAgprs: 0
; TotalNumVgprs: 0
; ScratchSize: 0
; MemoryBound: 0
; FloatMode: 240
; IeeeMode: 1
; LDSByteSize: 0 bytes/workgroup (compile time only)
; SGPRBlocks: 0
; VGPRBlocks: 0
; NumSGPRsForWavesPerEU: 4
; NumVGPRsForWavesPerEU: 1
; AccumOffset: 4
; Occupancy: 8
; WaveLimiterHint : 0
; COMPUTE_PGM_RSRC2:SCRATCH_EN: 0
; COMPUTE_PGM_RSRC2:USER_SGPR: 6
; COMPUTE_PGM_RSRC2:TRAP_HANDLER: 0
; COMPUTE_PGM_RSRC2:TGID_X_EN: 1
; COMPUTE_PGM_RSRC2:TGID_Y_EN: 0
; COMPUTE_PGM_RSRC2:TGID_Z_EN: 0
; COMPUTE_PGM_RSRC2:TIDIG_COMP_CNT: 0
; COMPUTE_PGM_RSRC3_GFX90A:ACCUM_OFFSET: 0
; COMPUTE_PGM_RSRC3_GFX90A:TG_SPLIT: 0
	.section	.text._ZN7rocprim17ROCPRIM_400000_NS6detail17trampoline_kernelINS0_14default_configENS1_20scan_config_selectorIyEEZZNS1_9scan_implILNS1_25lookback_scan_determinismE0ELb1ELb1ES3_N6thrust23THRUST_200600_302600_NS6detail15normal_iteratorINS9_10device_ptrIyEEEESE_y11max_functorIyEyEEDaPvRmT3_T4_T5_mT6_P12ihipStream_tbENKUlT_T0_E_clISt17integral_constantIbLb0EEST_IbLb1EEEEDaSP_SQ_EUlSP_E_NS1_11comp_targetILNS1_3genE8ELNS1_11target_archE1030ELNS1_3gpuE2ELNS1_3repE0EEENS1_30default_config_static_selectorELNS0_4arch9wavefront6targetE1EEEvT1_,"axG",@progbits,_ZN7rocprim17ROCPRIM_400000_NS6detail17trampoline_kernelINS0_14default_configENS1_20scan_config_selectorIyEEZZNS1_9scan_implILNS1_25lookback_scan_determinismE0ELb1ELb1ES3_N6thrust23THRUST_200600_302600_NS6detail15normal_iteratorINS9_10device_ptrIyEEEESE_y11max_functorIyEyEEDaPvRmT3_T4_T5_mT6_P12ihipStream_tbENKUlT_T0_E_clISt17integral_constantIbLb0EEST_IbLb1EEEEDaSP_SQ_EUlSP_E_NS1_11comp_targetILNS1_3genE8ELNS1_11target_archE1030ELNS1_3gpuE2ELNS1_3repE0EEENS1_30default_config_static_selectorELNS0_4arch9wavefront6targetE1EEEvT1_,comdat
	.protected	_ZN7rocprim17ROCPRIM_400000_NS6detail17trampoline_kernelINS0_14default_configENS1_20scan_config_selectorIyEEZZNS1_9scan_implILNS1_25lookback_scan_determinismE0ELb1ELb1ES3_N6thrust23THRUST_200600_302600_NS6detail15normal_iteratorINS9_10device_ptrIyEEEESE_y11max_functorIyEyEEDaPvRmT3_T4_T5_mT6_P12ihipStream_tbENKUlT_T0_E_clISt17integral_constantIbLb0EEST_IbLb1EEEEDaSP_SQ_EUlSP_E_NS1_11comp_targetILNS1_3genE8ELNS1_11target_archE1030ELNS1_3gpuE2ELNS1_3repE0EEENS1_30default_config_static_selectorELNS0_4arch9wavefront6targetE1EEEvT1_ ; -- Begin function _ZN7rocprim17ROCPRIM_400000_NS6detail17trampoline_kernelINS0_14default_configENS1_20scan_config_selectorIyEEZZNS1_9scan_implILNS1_25lookback_scan_determinismE0ELb1ELb1ES3_N6thrust23THRUST_200600_302600_NS6detail15normal_iteratorINS9_10device_ptrIyEEEESE_y11max_functorIyEyEEDaPvRmT3_T4_T5_mT6_P12ihipStream_tbENKUlT_T0_E_clISt17integral_constantIbLb0EEST_IbLb1EEEEDaSP_SQ_EUlSP_E_NS1_11comp_targetILNS1_3genE8ELNS1_11target_archE1030ELNS1_3gpuE2ELNS1_3repE0EEENS1_30default_config_static_selectorELNS0_4arch9wavefront6targetE1EEEvT1_
	.globl	_ZN7rocprim17ROCPRIM_400000_NS6detail17trampoline_kernelINS0_14default_configENS1_20scan_config_selectorIyEEZZNS1_9scan_implILNS1_25lookback_scan_determinismE0ELb1ELb1ES3_N6thrust23THRUST_200600_302600_NS6detail15normal_iteratorINS9_10device_ptrIyEEEESE_y11max_functorIyEyEEDaPvRmT3_T4_T5_mT6_P12ihipStream_tbENKUlT_T0_E_clISt17integral_constantIbLb0EEST_IbLb1EEEEDaSP_SQ_EUlSP_E_NS1_11comp_targetILNS1_3genE8ELNS1_11target_archE1030ELNS1_3gpuE2ELNS1_3repE0EEENS1_30default_config_static_selectorELNS0_4arch9wavefront6targetE1EEEvT1_
	.p2align	8
	.type	_ZN7rocprim17ROCPRIM_400000_NS6detail17trampoline_kernelINS0_14default_configENS1_20scan_config_selectorIyEEZZNS1_9scan_implILNS1_25lookback_scan_determinismE0ELb1ELb1ES3_N6thrust23THRUST_200600_302600_NS6detail15normal_iteratorINS9_10device_ptrIyEEEESE_y11max_functorIyEyEEDaPvRmT3_T4_T5_mT6_P12ihipStream_tbENKUlT_T0_E_clISt17integral_constantIbLb0EEST_IbLb1EEEEDaSP_SQ_EUlSP_E_NS1_11comp_targetILNS1_3genE8ELNS1_11target_archE1030ELNS1_3gpuE2ELNS1_3repE0EEENS1_30default_config_static_selectorELNS0_4arch9wavefront6targetE1EEEvT1_,@function
_ZN7rocprim17ROCPRIM_400000_NS6detail17trampoline_kernelINS0_14default_configENS1_20scan_config_selectorIyEEZZNS1_9scan_implILNS1_25lookback_scan_determinismE0ELb1ELb1ES3_N6thrust23THRUST_200600_302600_NS6detail15normal_iteratorINS9_10device_ptrIyEEEESE_y11max_functorIyEyEEDaPvRmT3_T4_T5_mT6_P12ihipStream_tbENKUlT_T0_E_clISt17integral_constantIbLb0EEST_IbLb1EEEEDaSP_SQ_EUlSP_E_NS1_11comp_targetILNS1_3genE8ELNS1_11target_archE1030ELNS1_3gpuE2ELNS1_3repE0EEENS1_30default_config_static_selectorELNS0_4arch9wavefront6targetE1EEEvT1_: ; @_ZN7rocprim17ROCPRIM_400000_NS6detail17trampoline_kernelINS0_14default_configENS1_20scan_config_selectorIyEEZZNS1_9scan_implILNS1_25lookback_scan_determinismE0ELb1ELb1ES3_N6thrust23THRUST_200600_302600_NS6detail15normal_iteratorINS9_10device_ptrIyEEEESE_y11max_functorIyEyEEDaPvRmT3_T4_T5_mT6_P12ihipStream_tbENKUlT_T0_E_clISt17integral_constantIbLb0EEST_IbLb1EEEEDaSP_SQ_EUlSP_E_NS1_11comp_targetILNS1_3genE8ELNS1_11target_archE1030ELNS1_3gpuE2ELNS1_3repE0EEENS1_30default_config_static_selectorELNS0_4arch9wavefront6targetE1EEEvT1_
; %bb.0:
	.section	.rodata,"a",@progbits
	.p2align	6, 0x0
	.amdhsa_kernel _ZN7rocprim17ROCPRIM_400000_NS6detail17trampoline_kernelINS0_14default_configENS1_20scan_config_selectorIyEEZZNS1_9scan_implILNS1_25lookback_scan_determinismE0ELb1ELb1ES3_N6thrust23THRUST_200600_302600_NS6detail15normal_iteratorINS9_10device_ptrIyEEEESE_y11max_functorIyEyEEDaPvRmT3_T4_T5_mT6_P12ihipStream_tbENKUlT_T0_E_clISt17integral_constantIbLb0EEST_IbLb1EEEEDaSP_SQ_EUlSP_E_NS1_11comp_targetILNS1_3genE8ELNS1_11target_archE1030ELNS1_3gpuE2ELNS1_3repE0EEENS1_30default_config_static_selectorELNS0_4arch9wavefront6targetE1EEEvT1_
		.amdhsa_group_segment_fixed_size 0
		.amdhsa_private_segment_fixed_size 0
		.amdhsa_kernarg_size 104
		.amdhsa_user_sgpr_count 6
		.amdhsa_user_sgpr_private_segment_buffer 1
		.amdhsa_user_sgpr_dispatch_ptr 0
		.amdhsa_user_sgpr_queue_ptr 0
		.amdhsa_user_sgpr_kernarg_segment_ptr 1
		.amdhsa_user_sgpr_dispatch_id 0
		.amdhsa_user_sgpr_flat_scratch_init 0
		.amdhsa_user_sgpr_kernarg_preload_length 0
		.amdhsa_user_sgpr_kernarg_preload_offset 0
		.amdhsa_user_sgpr_private_segment_size 0
		.amdhsa_uses_dynamic_stack 0
		.amdhsa_system_sgpr_private_segment_wavefront_offset 0
		.amdhsa_system_sgpr_workgroup_id_x 1
		.amdhsa_system_sgpr_workgroup_id_y 0
		.amdhsa_system_sgpr_workgroup_id_z 0
		.amdhsa_system_sgpr_workgroup_info 0
		.amdhsa_system_vgpr_workitem_id 0
		.amdhsa_next_free_vgpr 1
		.amdhsa_next_free_sgpr 0
		.amdhsa_accum_offset 4
		.amdhsa_reserve_vcc 0
		.amdhsa_reserve_flat_scratch 0
		.amdhsa_float_round_mode_32 0
		.amdhsa_float_round_mode_16_64 0
		.amdhsa_float_denorm_mode_32 3
		.amdhsa_float_denorm_mode_16_64 3
		.amdhsa_dx10_clamp 1
		.amdhsa_ieee_mode 1
		.amdhsa_fp16_overflow 0
		.amdhsa_tg_split 0
		.amdhsa_exception_fp_ieee_invalid_op 0
		.amdhsa_exception_fp_denorm_src 0
		.amdhsa_exception_fp_ieee_div_zero 0
		.amdhsa_exception_fp_ieee_overflow 0
		.amdhsa_exception_fp_ieee_underflow 0
		.amdhsa_exception_fp_ieee_inexact 0
		.amdhsa_exception_int_div_zero 0
	.end_amdhsa_kernel
	.section	.text._ZN7rocprim17ROCPRIM_400000_NS6detail17trampoline_kernelINS0_14default_configENS1_20scan_config_selectorIyEEZZNS1_9scan_implILNS1_25lookback_scan_determinismE0ELb1ELb1ES3_N6thrust23THRUST_200600_302600_NS6detail15normal_iteratorINS9_10device_ptrIyEEEESE_y11max_functorIyEyEEDaPvRmT3_T4_T5_mT6_P12ihipStream_tbENKUlT_T0_E_clISt17integral_constantIbLb0EEST_IbLb1EEEEDaSP_SQ_EUlSP_E_NS1_11comp_targetILNS1_3genE8ELNS1_11target_archE1030ELNS1_3gpuE2ELNS1_3repE0EEENS1_30default_config_static_selectorELNS0_4arch9wavefront6targetE1EEEvT1_,"axG",@progbits,_ZN7rocprim17ROCPRIM_400000_NS6detail17trampoline_kernelINS0_14default_configENS1_20scan_config_selectorIyEEZZNS1_9scan_implILNS1_25lookback_scan_determinismE0ELb1ELb1ES3_N6thrust23THRUST_200600_302600_NS6detail15normal_iteratorINS9_10device_ptrIyEEEESE_y11max_functorIyEyEEDaPvRmT3_T4_T5_mT6_P12ihipStream_tbENKUlT_T0_E_clISt17integral_constantIbLb0EEST_IbLb1EEEEDaSP_SQ_EUlSP_E_NS1_11comp_targetILNS1_3genE8ELNS1_11target_archE1030ELNS1_3gpuE2ELNS1_3repE0EEENS1_30default_config_static_selectorELNS0_4arch9wavefront6targetE1EEEvT1_,comdat
.Lfunc_end2234:
	.size	_ZN7rocprim17ROCPRIM_400000_NS6detail17trampoline_kernelINS0_14default_configENS1_20scan_config_selectorIyEEZZNS1_9scan_implILNS1_25lookback_scan_determinismE0ELb1ELb1ES3_N6thrust23THRUST_200600_302600_NS6detail15normal_iteratorINS9_10device_ptrIyEEEESE_y11max_functorIyEyEEDaPvRmT3_T4_T5_mT6_P12ihipStream_tbENKUlT_T0_E_clISt17integral_constantIbLb0EEST_IbLb1EEEEDaSP_SQ_EUlSP_E_NS1_11comp_targetILNS1_3genE8ELNS1_11target_archE1030ELNS1_3gpuE2ELNS1_3repE0EEENS1_30default_config_static_selectorELNS0_4arch9wavefront6targetE1EEEvT1_, .Lfunc_end2234-_ZN7rocprim17ROCPRIM_400000_NS6detail17trampoline_kernelINS0_14default_configENS1_20scan_config_selectorIyEEZZNS1_9scan_implILNS1_25lookback_scan_determinismE0ELb1ELb1ES3_N6thrust23THRUST_200600_302600_NS6detail15normal_iteratorINS9_10device_ptrIyEEEESE_y11max_functorIyEyEEDaPvRmT3_T4_T5_mT6_P12ihipStream_tbENKUlT_T0_E_clISt17integral_constantIbLb0EEST_IbLb1EEEEDaSP_SQ_EUlSP_E_NS1_11comp_targetILNS1_3genE8ELNS1_11target_archE1030ELNS1_3gpuE2ELNS1_3repE0EEENS1_30default_config_static_selectorELNS0_4arch9wavefront6targetE1EEEvT1_
                                        ; -- End function
	.section	.AMDGPU.csdata,"",@progbits
; Kernel info:
; codeLenInByte = 0
; NumSgprs: 4
; NumVgprs: 0
; NumAgprs: 0
; TotalNumVgprs: 0
; ScratchSize: 0
; MemoryBound: 0
; FloatMode: 240
; IeeeMode: 1
; LDSByteSize: 0 bytes/workgroup (compile time only)
; SGPRBlocks: 0
; VGPRBlocks: 0
; NumSGPRsForWavesPerEU: 4
; NumVGPRsForWavesPerEU: 1
; AccumOffset: 4
; Occupancy: 8
; WaveLimiterHint : 0
; COMPUTE_PGM_RSRC2:SCRATCH_EN: 0
; COMPUTE_PGM_RSRC2:USER_SGPR: 6
; COMPUTE_PGM_RSRC2:TRAP_HANDLER: 0
; COMPUTE_PGM_RSRC2:TGID_X_EN: 1
; COMPUTE_PGM_RSRC2:TGID_Y_EN: 0
; COMPUTE_PGM_RSRC2:TGID_Z_EN: 0
; COMPUTE_PGM_RSRC2:TIDIG_COMP_CNT: 0
; COMPUTE_PGM_RSRC3_GFX90A:ACCUM_OFFSET: 0
; COMPUTE_PGM_RSRC3_GFX90A:TG_SPLIT: 0
	.section	.text._ZN7rocprim17ROCPRIM_400000_NS6detail17trampoline_kernelINS0_14default_configENS1_20scan_config_selectorIyEEZZNS1_9scan_implILNS1_25lookback_scan_determinismE0ELb1ELb1ES3_N6thrust23THRUST_200600_302600_NS6detail15normal_iteratorINS9_10device_ptrIyEEEESE_y11max_functorIyEyEEDaPvRmT3_T4_T5_mT6_P12ihipStream_tbENKUlT_T0_E_clISt17integral_constantIbLb0EEST_IbLb1EEEEDaSP_SQ_EUlSP_E0_NS1_11comp_targetILNS1_3genE0ELNS1_11target_archE4294967295ELNS1_3gpuE0ELNS1_3repE0EEENS1_30default_config_static_selectorELNS0_4arch9wavefront6targetE1EEEvT1_,"axG",@progbits,_ZN7rocprim17ROCPRIM_400000_NS6detail17trampoline_kernelINS0_14default_configENS1_20scan_config_selectorIyEEZZNS1_9scan_implILNS1_25lookback_scan_determinismE0ELb1ELb1ES3_N6thrust23THRUST_200600_302600_NS6detail15normal_iteratorINS9_10device_ptrIyEEEESE_y11max_functorIyEyEEDaPvRmT3_T4_T5_mT6_P12ihipStream_tbENKUlT_T0_E_clISt17integral_constantIbLb0EEST_IbLb1EEEEDaSP_SQ_EUlSP_E0_NS1_11comp_targetILNS1_3genE0ELNS1_11target_archE4294967295ELNS1_3gpuE0ELNS1_3repE0EEENS1_30default_config_static_selectorELNS0_4arch9wavefront6targetE1EEEvT1_,comdat
	.protected	_ZN7rocprim17ROCPRIM_400000_NS6detail17trampoline_kernelINS0_14default_configENS1_20scan_config_selectorIyEEZZNS1_9scan_implILNS1_25lookback_scan_determinismE0ELb1ELb1ES3_N6thrust23THRUST_200600_302600_NS6detail15normal_iteratorINS9_10device_ptrIyEEEESE_y11max_functorIyEyEEDaPvRmT3_T4_T5_mT6_P12ihipStream_tbENKUlT_T0_E_clISt17integral_constantIbLb0EEST_IbLb1EEEEDaSP_SQ_EUlSP_E0_NS1_11comp_targetILNS1_3genE0ELNS1_11target_archE4294967295ELNS1_3gpuE0ELNS1_3repE0EEENS1_30default_config_static_selectorELNS0_4arch9wavefront6targetE1EEEvT1_ ; -- Begin function _ZN7rocprim17ROCPRIM_400000_NS6detail17trampoline_kernelINS0_14default_configENS1_20scan_config_selectorIyEEZZNS1_9scan_implILNS1_25lookback_scan_determinismE0ELb1ELb1ES3_N6thrust23THRUST_200600_302600_NS6detail15normal_iteratorINS9_10device_ptrIyEEEESE_y11max_functorIyEyEEDaPvRmT3_T4_T5_mT6_P12ihipStream_tbENKUlT_T0_E_clISt17integral_constantIbLb0EEST_IbLb1EEEEDaSP_SQ_EUlSP_E0_NS1_11comp_targetILNS1_3genE0ELNS1_11target_archE4294967295ELNS1_3gpuE0ELNS1_3repE0EEENS1_30default_config_static_selectorELNS0_4arch9wavefront6targetE1EEEvT1_
	.globl	_ZN7rocprim17ROCPRIM_400000_NS6detail17trampoline_kernelINS0_14default_configENS1_20scan_config_selectorIyEEZZNS1_9scan_implILNS1_25lookback_scan_determinismE0ELb1ELb1ES3_N6thrust23THRUST_200600_302600_NS6detail15normal_iteratorINS9_10device_ptrIyEEEESE_y11max_functorIyEyEEDaPvRmT3_T4_T5_mT6_P12ihipStream_tbENKUlT_T0_E_clISt17integral_constantIbLb0EEST_IbLb1EEEEDaSP_SQ_EUlSP_E0_NS1_11comp_targetILNS1_3genE0ELNS1_11target_archE4294967295ELNS1_3gpuE0ELNS1_3repE0EEENS1_30default_config_static_selectorELNS0_4arch9wavefront6targetE1EEEvT1_
	.p2align	8
	.type	_ZN7rocprim17ROCPRIM_400000_NS6detail17trampoline_kernelINS0_14default_configENS1_20scan_config_selectorIyEEZZNS1_9scan_implILNS1_25lookback_scan_determinismE0ELb1ELb1ES3_N6thrust23THRUST_200600_302600_NS6detail15normal_iteratorINS9_10device_ptrIyEEEESE_y11max_functorIyEyEEDaPvRmT3_T4_T5_mT6_P12ihipStream_tbENKUlT_T0_E_clISt17integral_constantIbLb0EEST_IbLb1EEEEDaSP_SQ_EUlSP_E0_NS1_11comp_targetILNS1_3genE0ELNS1_11target_archE4294967295ELNS1_3gpuE0ELNS1_3repE0EEENS1_30default_config_static_selectorELNS0_4arch9wavefront6targetE1EEEvT1_,@function
_ZN7rocprim17ROCPRIM_400000_NS6detail17trampoline_kernelINS0_14default_configENS1_20scan_config_selectorIyEEZZNS1_9scan_implILNS1_25lookback_scan_determinismE0ELb1ELb1ES3_N6thrust23THRUST_200600_302600_NS6detail15normal_iteratorINS9_10device_ptrIyEEEESE_y11max_functorIyEyEEDaPvRmT3_T4_T5_mT6_P12ihipStream_tbENKUlT_T0_E_clISt17integral_constantIbLb0EEST_IbLb1EEEEDaSP_SQ_EUlSP_E0_NS1_11comp_targetILNS1_3genE0ELNS1_11target_archE4294967295ELNS1_3gpuE0ELNS1_3repE0EEENS1_30default_config_static_selectorELNS0_4arch9wavefront6targetE1EEEvT1_: ; @_ZN7rocprim17ROCPRIM_400000_NS6detail17trampoline_kernelINS0_14default_configENS1_20scan_config_selectorIyEEZZNS1_9scan_implILNS1_25lookback_scan_determinismE0ELb1ELb1ES3_N6thrust23THRUST_200600_302600_NS6detail15normal_iteratorINS9_10device_ptrIyEEEESE_y11max_functorIyEyEEDaPvRmT3_T4_T5_mT6_P12ihipStream_tbENKUlT_T0_E_clISt17integral_constantIbLb0EEST_IbLb1EEEEDaSP_SQ_EUlSP_E0_NS1_11comp_targetILNS1_3genE0ELNS1_11target_archE4294967295ELNS1_3gpuE0ELNS1_3repE0EEENS1_30default_config_static_selectorELNS0_4arch9wavefront6targetE1EEEvT1_
; %bb.0:
	.section	.rodata,"a",@progbits
	.p2align	6, 0x0
	.amdhsa_kernel _ZN7rocprim17ROCPRIM_400000_NS6detail17trampoline_kernelINS0_14default_configENS1_20scan_config_selectorIyEEZZNS1_9scan_implILNS1_25lookback_scan_determinismE0ELb1ELb1ES3_N6thrust23THRUST_200600_302600_NS6detail15normal_iteratorINS9_10device_ptrIyEEEESE_y11max_functorIyEyEEDaPvRmT3_T4_T5_mT6_P12ihipStream_tbENKUlT_T0_E_clISt17integral_constantIbLb0EEST_IbLb1EEEEDaSP_SQ_EUlSP_E0_NS1_11comp_targetILNS1_3genE0ELNS1_11target_archE4294967295ELNS1_3gpuE0ELNS1_3repE0EEENS1_30default_config_static_selectorELNS0_4arch9wavefront6targetE1EEEvT1_
		.amdhsa_group_segment_fixed_size 0
		.amdhsa_private_segment_fixed_size 0
		.amdhsa_kernarg_size 40
		.amdhsa_user_sgpr_count 6
		.amdhsa_user_sgpr_private_segment_buffer 1
		.amdhsa_user_sgpr_dispatch_ptr 0
		.amdhsa_user_sgpr_queue_ptr 0
		.amdhsa_user_sgpr_kernarg_segment_ptr 1
		.amdhsa_user_sgpr_dispatch_id 0
		.amdhsa_user_sgpr_flat_scratch_init 0
		.amdhsa_user_sgpr_kernarg_preload_length 0
		.amdhsa_user_sgpr_kernarg_preload_offset 0
		.amdhsa_user_sgpr_private_segment_size 0
		.amdhsa_uses_dynamic_stack 0
		.amdhsa_system_sgpr_private_segment_wavefront_offset 0
		.amdhsa_system_sgpr_workgroup_id_x 1
		.amdhsa_system_sgpr_workgroup_id_y 0
		.amdhsa_system_sgpr_workgroup_id_z 0
		.amdhsa_system_sgpr_workgroup_info 0
		.amdhsa_system_vgpr_workitem_id 0
		.amdhsa_next_free_vgpr 1
		.amdhsa_next_free_sgpr 0
		.amdhsa_accum_offset 4
		.amdhsa_reserve_vcc 0
		.amdhsa_reserve_flat_scratch 0
		.amdhsa_float_round_mode_32 0
		.amdhsa_float_round_mode_16_64 0
		.amdhsa_float_denorm_mode_32 3
		.amdhsa_float_denorm_mode_16_64 3
		.amdhsa_dx10_clamp 1
		.amdhsa_ieee_mode 1
		.amdhsa_fp16_overflow 0
		.amdhsa_tg_split 0
		.amdhsa_exception_fp_ieee_invalid_op 0
		.amdhsa_exception_fp_denorm_src 0
		.amdhsa_exception_fp_ieee_div_zero 0
		.amdhsa_exception_fp_ieee_overflow 0
		.amdhsa_exception_fp_ieee_underflow 0
		.amdhsa_exception_fp_ieee_inexact 0
		.amdhsa_exception_int_div_zero 0
	.end_amdhsa_kernel
	.section	.text._ZN7rocprim17ROCPRIM_400000_NS6detail17trampoline_kernelINS0_14default_configENS1_20scan_config_selectorIyEEZZNS1_9scan_implILNS1_25lookback_scan_determinismE0ELb1ELb1ES3_N6thrust23THRUST_200600_302600_NS6detail15normal_iteratorINS9_10device_ptrIyEEEESE_y11max_functorIyEyEEDaPvRmT3_T4_T5_mT6_P12ihipStream_tbENKUlT_T0_E_clISt17integral_constantIbLb0EEST_IbLb1EEEEDaSP_SQ_EUlSP_E0_NS1_11comp_targetILNS1_3genE0ELNS1_11target_archE4294967295ELNS1_3gpuE0ELNS1_3repE0EEENS1_30default_config_static_selectorELNS0_4arch9wavefront6targetE1EEEvT1_,"axG",@progbits,_ZN7rocprim17ROCPRIM_400000_NS6detail17trampoline_kernelINS0_14default_configENS1_20scan_config_selectorIyEEZZNS1_9scan_implILNS1_25lookback_scan_determinismE0ELb1ELb1ES3_N6thrust23THRUST_200600_302600_NS6detail15normal_iteratorINS9_10device_ptrIyEEEESE_y11max_functorIyEyEEDaPvRmT3_T4_T5_mT6_P12ihipStream_tbENKUlT_T0_E_clISt17integral_constantIbLb0EEST_IbLb1EEEEDaSP_SQ_EUlSP_E0_NS1_11comp_targetILNS1_3genE0ELNS1_11target_archE4294967295ELNS1_3gpuE0ELNS1_3repE0EEENS1_30default_config_static_selectorELNS0_4arch9wavefront6targetE1EEEvT1_,comdat
.Lfunc_end2235:
	.size	_ZN7rocprim17ROCPRIM_400000_NS6detail17trampoline_kernelINS0_14default_configENS1_20scan_config_selectorIyEEZZNS1_9scan_implILNS1_25lookback_scan_determinismE0ELb1ELb1ES3_N6thrust23THRUST_200600_302600_NS6detail15normal_iteratorINS9_10device_ptrIyEEEESE_y11max_functorIyEyEEDaPvRmT3_T4_T5_mT6_P12ihipStream_tbENKUlT_T0_E_clISt17integral_constantIbLb0EEST_IbLb1EEEEDaSP_SQ_EUlSP_E0_NS1_11comp_targetILNS1_3genE0ELNS1_11target_archE4294967295ELNS1_3gpuE0ELNS1_3repE0EEENS1_30default_config_static_selectorELNS0_4arch9wavefront6targetE1EEEvT1_, .Lfunc_end2235-_ZN7rocprim17ROCPRIM_400000_NS6detail17trampoline_kernelINS0_14default_configENS1_20scan_config_selectorIyEEZZNS1_9scan_implILNS1_25lookback_scan_determinismE0ELb1ELb1ES3_N6thrust23THRUST_200600_302600_NS6detail15normal_iteratorINS9_10device_ptrIyEEEESE_y11max_functorIyEyEEDaPvRmT3_T4_T5_mT6_P12ihipStream_tbENKUlT_T0_E_clISt17integral_constantIbLb0EEST_IbLb1EEEEDaSP_SQ_EUlSP_E0_NS1_11comp_targetILNS1_3genE0ELNS1_11target_archE4294967295ELNS1_3gpuE0ELNS1_3repE0EEENS1_30default_config_static_selectorELNS0_4arch9wavefront6targetE1EEEvT1_
                                        ; -- End function
	.section	.AMDGPU.csdata,"",@progbits
; Kernel info:
; codeLenInByte = 0
; NumSgprs: 4
; NumVgprs: 0
; NumAgprs: 0
; TotalNumVgprs: 0
; ScratchSize: 0
; MemoryBound: 0
; FloatMode: 240
; IeeeMode: 1
; LDSByteSize: 0 bytes/workgroup (compile time only)
; SGPRBlocks: 0
; VGPRBlocks: 0
; NumSGPRsForWavesPerEU: 4
; NumVGPRsForWavesPerEU: 1
; AccumOffset: 4
; Occupancy: 8
; WaveLimiterHint : 0
; COMPUTE_PGM_RSRC2:SCRATCH_EN: 0
; COMPUTE_PGM_RSRC2:USER_SGPR: 6
; COMPUTE_PGM_RSRC2:TRAP_HANDLER: 0
; COMPUTE_PGM_RSRC2:TGID_X_EN: 1
; COMPUTE_PGM_RSRC2:TGID_Y_EN: 0
; COMPUTE_PGM_RSRC2:TGID_Z_EN: 0
; COMPUTE_PGM_RSRC2:TIDIG_COMP_CNT: 0
; COMPUTE_PGM_RSRC3_GFX90A:ACCUM_OFFSET: 0
; COMPUTE_PGM_RSRC3_GFX90A:TG_SPLIT: 0
	.section	.text._ZN7rocprim17ROCPRIM_400000_NS6detail17trampoline_kernelINS0_14default_configENS1_20scan_config_selectorIyEEZZNS1_9scan_implILNS1_25lookback_scan_determinismE0ELb1ELb1ES3_N6thrust23THRUST_200600_302600_NS6detail15normal_iteratorINS9_10device_ptrIyEEEESE_y11max_functorIyEyEEDaPvRmT3_T4_T5_mT6_P12ihipStream_tbENKUlT_T0_E_clISt17integral_constantIbLb0EEST_IbLb1EEEEDaSP_SQ_EUlSP_E0_NS1_11comp_targetILNS1_3genE5ELNS1_11target_archE942ELNS1_3gpuE9ELNS1_3repE0EEENS1_30default_config_static_selectorELNS0_4arch9wavefront6targetE1EEEvT1_,"axG",@progbits,_ZN7rocprim17ROCPRIM_400000_NS6detail17trampoline_kernelINS0_14default_configENS1_20scan_config_selectorIyEEZZNS1_9scan_implILNS1_25lookback_scan_determinismE0ELb1ELb1ES3_N6thrust23THRUST_200600_302600_NS6detail15normal_iteratorINS9_10device_ptrIyEEEESE_y11max_functorIyEyEEDaPvRmT3_T4_T5_mT6_P12ihipStream_tbENKUlT_T0_E_clISt17integral_constantIbLb0EEST_IbLb1EEEEDaSP_SQ_EUlSP_E0_NS1_11comp_targetILNS1_3genE5ELNS1_11target_archE942ELNS1_3gpuE9ELNS1_3repE0EEENS1_30default_config_static_selectorELNS0_4arch9wavefront6targetE1EEEvT1_,comdat
	.protected	_ZN7rocprim17ROCPRIM_400000_NS6detail17trampoline_kernelINS0_14default_configENS1_20scan_config_selectorIyEEZZNS1_9scan_implILNS1_25lookback_scan_determinismE0ELb1ELb1ES3_N6thrust23THRUST_200600_302600_NS6detail15normal_iteratorINS9_10device_ptrIyEEEESE_y11max_functorIyEyEEDaPvRmT3_T4_T5_mT6_P12ihipStream_tbENKUlT_T0_E_clISt17integral_constantIbLb0EEST_IbLb1EEEEDaSP_SQ_EUlSP_E0_NS1_11comp_targetILNS1_3genE5ELNS1_11target_archE942ELNS1_3gpuE9ELNS1_3repE0EEENS1_30default_config_static_selectorELNS0_4arch9wavefront6targetE1EEEvT1_ ; -- Begin function _ZN7rocprim17ROCPRIM_400000_NS6detail17trampoline_kernelINS0_14default_configENS1_20scan_config_selectorIyEEZZNS1_9scan_implILNS1_25lookback_scan_determinismE0ELb1ELb1ES3_N6thrust23THRUST_200600_302600_NS6detail15normal_iteratorINS9_10device_ptrIyEEEESE_y11max_functorIyEyEEDaPvRmT3_T4_T5_mT6_P12ihipStream_tbENKUlT_T0_E_clISt17integral_constantIbLb0EEST_IbLb1EEEEDaSP_SQ_EUlSP_E0_NS1_11comp_targetILNS1_3genE5ELNS1_11target_archE942ELNS1_3gpuE9ELNS1_3repE0EEENS1_30default_config_static_selectorELNS0_4arch9wavefront6targetE1EEEvT1_
	.globl	_ZN7rocprim17ROCPRIM_400000_NS6detail17trampoline_kernelINS0_14default_configENS1_20scan_config_selectorIyEEZZNS1_9scan_implILNS1_25lookback_scan_determinismE0ELb1ELb1ES3_N6thrust23THRUST_200600_302600_NS6detail15normal_iteratorINS9_10device_ptrIyEEEESE_y11max_functorIyEyEEDaPvRmT3_T4_T5_mT6_P12ihipStream_tbENKUlT_T0_E_clISt17integral_constantIbLb0EEST_IbLb1EEEEDaSP_SQ_EUlSP_E0_NS1_11comp_targetILNS1_3genE5ELNS1_11target_archE942ELNS1_3gpuE9ELNS1_3repE0EEENS1_30default_config_static_selectorELNS0_4arch9wavefront6targetE1EEEvT1_
	.p2align	8
	.type	_ZN7rocprim17ROCPRIM_400000_NS6detail17trampoline_kernelINS0_14default_configENS1_20scan_config_selectorIyEEZZNS1_9scan_implILNS1_25lookback_scan_determinismE0ELb1ELb1ES3_N6thrust23THRUST_200600_302600_NS6detail15normal_iteratorINS9_10device_ptrIyEEEESE_y11max_functorIyEyEEDaPvRmT3_T4_T5_mT6_P12ihipStream_tbENKUlT_T0_E_clISt17integral_constantIbLb0EEST_IbLb1EEEEDaSP_SQ_EUlSP_E0_NS1_11comp_targetILNS1_3genE5ELNS1_11target_archE942ELNS1_3gpuE9ELNS1_3repE0EEENS1_30default_config_static_selectorELNS0_4arch9wavefront6targetE1EEEvT1_,@function
_ZN7rocprim17ROCPRIM_400000_NS6detail17trampoline_kernelINS0_14default_configENS1_20scan_config_selectorIyEEZZNS1_9scan_implILNS1_25lookback_scan_determinismE0ELb1ELb1ES3_N6thrust23THRUST_200600_302600_NS6detail15normal_iteratorINS9_10device_ptrIyEEEESE_y11max_functorIyEyEEDaPvRmT3_T4_T5_mT6_P12ihipStream_tbENKUlT_T0_E_clISt17integral_constantIbLb0EEST_IbLb1EEEEDaSP_SQ_EUlSP_E0_NS1_11comp_targetILNS1_3genE5ELNS1_11target_archE942ELNS1_3gpuE9ELNS1_3repE0EEENS1_30default_config_static_selectorELNS0_4arch9wavefront6targetE1EEEvT1_: ; @_ZN7rocprim17ROCPRIM_400000_NS6detail17trampoline_kernelINS0_14default_configENS1_20scan_config_selectorIyEEZZNS1_9scan_implILNS1_25lookback_scan_determinismE0ELb1ELb1ES3_N6thrust23THRUST_200600_302600_NS6detail15normal_iteratorINS9_10device_ptrIyEEEESE_y11max_functorIyEyEEDaPvRmT3_T4_T5_mT6_P12ihipStream_tbENKUlT_T0_E_clISt17integral_constantIbLb0EEST_IbLb1EEEEDaSP_SQ_EUlSP_E0_NS1_11comp_targetILNS1_3genE5ELNS1_11target_archE942ELNS1_3gpuE9ELNS1_3repE0EEENS1_30default_config_static_selectorELNS0_4arch9wavefront6targetE1EEEvT1_
; %bb.0:
	.section	.rodata,"a",@progbits
	.p2align	6, 0x0
	.amdhsa_kernel _ZN7rocprim17ROCPRIM_400000_NS6detail17trampoline_kernelINS0_14default_configENS1_20scan_config_selectorIyEEZZNS1_9scan_implILNS1_25lookback_scan_determinismE0ELb1ELb1ES3_N6thrust23THRUST_200600_302600_NS6detail15normal_iteratorINS9_10device_ptrIyEEEESE_y11max_functorIyEyEEDaPvRmT3_T4_T5_mT6_P12ihipStream_tbENKUlT_T0_E_clISt17integral_constantIbLb0EEST_IbLb1EEEEDaSP_SQ_EUlSP_E0_NS1_11comp_targetILNS1_3genE5ELNS1_11target_archE942ELNS1_3gpuE9ELNS1_3repE0EEENS1_30default_config_static_selectorELNS0_4arch9wavefront6targetE1EEEvT1_
		.amdhsa_group_segment_fixed_size 0
		.amdhsa_private_segment_fixed_size 0
		.amdhsa_kernarg_size 40
		.amdhsa_user_sgpr_count 6
		.amdhsa_user_sgpr_private_segment_buffer 1
		.amdhsa_user_sgpr_dispatch_ptr 0
		.amdhsa_user_sgpr_queue_ptr 0
		.amdhsa_user_sgpr_kernarg_segment_ptr 1
		.amdhsa_user_sgpr_dispatch_id 0
		.amdhsa_user_sgpr_flat_scratch_init 0
		.amdhsa_user_sgpr_kernarg_preload_length 0
		.amdhsa_user_sgpr_kernarg_preload_offset 0
		.amdhsa_user_sgpr_private_segment_size 0
		.amdhsa_uses_dynamic_stack 0
		.amdhsa_system_sgpr_private_segment_wavefront_offset 0
		.amdhsa_system_sgpr_workgroup_id_x 1
		.amdhsa_system_sgpr_workgroup_id_y 0
		.amdhsa_system_sgpr_workgroup_id_z 0
		.amdhsa_system_sgpr_workgroup_info 0
		.amdhsa_system_vgpr_workitem_id 0
		.amdhsa_next_free_vgpr 1
		.amdhsa_next_free_sgpr 0
		.amdhsa_accum_offset 4
		.amdhsa_reserve_vcc 0
		.amdhsa_reserve_flat_scratch 0
		.amdhsa_float_round_mode_32 0
		.amdhsa_float_round_mode_16_64 0
		.amdhsa_float_denorm_mode_32 3
		.amdhsa_float_denorm_mode_16_64 3
		.amdhsa_dx10_clamp 1
		.amdhsa_ieee_mode 1
		.amdhsa_fp16_overflow 0
		.amdhsa_tg_split 0
		.amdhsa_exception_fp_ieee_invalid_op 0
		.amdhsa_exception_fp_denorm_src 0
		.amdhsa_exception_fp_ieee_div_zero 0
		.amdhsa_exception_fp_ieee_overflow 0
		.amdhsa_exception_fp_ieee_underflow 0
		.amdhsa_exception_fp_ieee_inexact 0
		.amdhsa_exception_int_div_zero 0
	.end_amdhsa_kernel
	.section	.text._ZN7rocprim17ROCPRIM_400000_NS6detail17trampoline_kernelINS0_14default_configENS1_20scan_config_selectorIyEEZZNS1_9scan_implILNS1_25lookback_scan_determinismE0ELb1ELb1ES3_N6thrust23THRUST_200600_302600_NS6detail15normal_iteratorINS9_10device_ptrIyEEEESE_y11max_functorIyEyEEDaPvRmT3_T4_T5_mT6_P12ihipStream_tbENKUlT_T0_E_clISt17integral_constantIbLb0EEST_IbLb1EEEEDaSP_SQ_EUlSP_E0_NS1_11comp_targetILNS1_3genE5ELNS1_11target_archE942ELNS1_3gpuE9ELNS1_3repE0EEENS1_30default_config_static_selectorELNS0_4arch9wavefront6targetE1EEEvT1_,"axG",@progbits,_ZN7rocprim17ROCPRIM_400000_NS6detail17trampoline_kernelINS0_14default_configENS1_20scan_config_selectorIyEEZZNS1_9scan_implILNS1_25lookback_scan_determinismE0ELb1ELb1ES3_N6thrust23THRUST_200600_302600_NS6detail15normal_iteratorINS9_10device_ptrIyEEEESE_y11max_functorIyEyEEDaPvRmT3_T4_T5_mT6_P12ihipStream_tbENKUlT_T0_E_clISt17integral_constantIbLb0EEST_IbLb1EEEEDaSP_SQ_EUlSP_E0_NS1_11comp_targetILNS1_3genE5ELNS1_11target_archE942ELNS1_3gpuE9ELNS1_3repE0EEENS1_30default_config_static_selectorELNS0_4arch9wavefront6targetE1EEEvT1_,comdat
.Lfunc_end2236:
	.size	_ZN7rocprim17ROCPRIM_400000_NS6detail17trampoline_kernelINS0_14default_configENS1_20scan_config_selectorIyEEZZNS1_9scan_implILNS1_25lookback_scan_determinismE0ELb1ELb1ES3_N6thrust23THRUST_200600_302600_NS6detail15normal_iteratorINS9_10device_ptrIyEEEESE_y11max_functorIyEyEEDaPvRmT3_T4_T5_mT6_P12ihipStream_tbENKUlT_T0_E_clISt17integral_constantIbLb0EEST_IbLb1EEEEDaSP_SQ_EUlSP_E0_NS1_11comp_targetILNS1_3genE5ELNS1_11target_archE942ELNS1_3gpuE9ELNS1_3repE0EEENS1_30default_config_static_selectorELNS0_4arch9wavefront6targetE1EEEvT1_, .Lfunc_end2236-_ZN7rocprim17ROCPRIM_400000_NS6detail17trampoline_kernelINS0_14default_configENS1_20scan_config_selectorIyEEZZNS1_9scan_implILNS1_25lookback_scan_determinismE0ELb1ELb1ES3_N6thrust23THRUST_200600_302600_NS6detail15normal_iteratorINS9_10device_ptrIyEEEESE_y11max_functorIyEyEEDaPvRmT3_T4_T5_mT6_P12ihipStream_tbENKUlT_T0_E_clISt17integral_constantIbLb0EEST_IbLb1EEEEDaSP_SQ_EUlSP_E0_NS1_11comp_targetILNS1_3genE5ELNS1_11target_archE942ELNS1_3gpuE9ELNS1_3repE0EEENS1_30default_config_static_selectorELNS0_4arch9wavefront6targetE1EEEvT1_
                                        ; -- End function
	.section	.AMDGPU.csdata,"",@progbits
; Kernel info:
; codeLenInByte = 0
; NumSgprs: 4
; NumVgprs: 0
; NumAgprs: 0
; TotalNumVgprs: 0
; ScratchSize: 0
; MemoryBound: 0
; FloatMode: 240
; IeeeMode: 1
; LDSByteSize: 0 bytes/workgroup (compile time only)
; SGPRBlocks: 0
; VGPRBlocks: 0
; NumSGPRsForWavesPerEU: 4
; NumVGPRsForWavesPerEU: 1
; AccumOffset: 4
; Occupancy: 8
; WaveLimiterHint : 0
; COMPUTE_PGM_RSRC2:SCRATCH_EN: 0
; COMPUTE_PGM_RSRC2:USER_SGPR: 6
; COMPUTE_PGM_RSRC2:TRAP_HANDLER: 0
; COMPUTE_PGM_RSRC2:TGID_X_EN: 1
; COMPUTE_PGM_RSRC2:TGID_Y_EN: 0
; COMPUTE_PGM_RSRC2:TGID_Z_EN: 0
; COMPUTE_PGM_RSRC2:TIDIG_COMP_CNT: 0
; COMPUTE_PGM_RSRC3_GFX90A:ACCUM_OFFSET: 0
; COMPUTE_PGM_RSRC3_GFX90A:TG_SPLIT: 0
	.section	.text._ZN7rocprim17ROCPRIM_400000_NS6detail17trampoline_kernelINS0_14default_configENS1_20scan_config_selectorIyEEZZNS1_9scan_implILNS1_25lookback_scan_determinismE0ELb1ELb1ES3_N6thrust23THRUST_200600_302600_NS6detail15normal_iteratorINS9_10device_ptrIyEEEESE_y11max_functorIyEyEEDaPvRmT3_T4_T5_mT6_P12ihipStream_tbENKUlT_T0_E_clISt17integral_constantIbLb0EEST_IbLb1EEEEDaSP_SQ_EUlSP_E0_NS1_11comp_targetILNS1_3genE4ELNS1_11target_archE910ELNS1_3gpuE8ELNS1_3repE0EEENS1_30default_config_static_selectorELNS0_4arch9wavefront6targetE1EEEvT1_,"axG",@progbits,_ZN7rocprim17ROCPRIM_400000_NS6detail17trampoline_kernelINS0_14default_configENS1_20scan_config_selectorIyEEZZNS1_9scan_implILNS1_25lookback_scan_determinismE0ELb1ELb1ES3_N6thrust23THRUST_200600_302600_NS6detail15normal_iteratorINS9_10device_ptrIyEEEESE_y11max_functorIyEyEEDaPvRmT3_T4_T5_mT6_P12ihipStream_tbENKUlT_T0_E_clISt17integral_constantIbLb0EEST_IbLb1EEEEDaSP_SQ_EUlSP_E0_NS1_11comp_targetILNS1_3genE4ELNS1_11target_archE910ELNS1_3gpuE8ELNS1_3repE0EEENS1_30default_config_static_selectorELNS0_4arch9wavefront6targetE1EEEvT1_,comdat
	.protected	_ZN7rocprim17ROCPRIM_400000_NS6detail17trampoline_kernelINS0_14default_configENS1_20scan_config_selectorIyEEZZNS1_9scan_implILNS1_25lookback_scan_determinismE0ELb1ELb1ES3_N6thrust23THRUST_200600_302600_NS6detail15normal_iteratorINS9_10device_ptrIyEEEESE_y11max_functorIyEyEEDaPvRmT3_T4_T5_mT6_P12ihipStream_tbENKUlT_T0_E_clISt17integral_constantIbLb0EEST_IbLb1EEEEDaSP_SQ_EUlSP_E0_NS1_11comp_targetILNS1_3genE4ELNS1_11target_archE910ELNS1_3gpuE8ELNS1_3repE0EEENS1_30default_config_static_selectorELNS0_4arch9wavefront6targetE1EEEvT1_ ; -- Begin function _ZN7rocprim17ROCPRIM_400000_NS6detail17trampoline_kernelINS0_14default_configENS1_20scan_config_selectorIyEEZZNS1_9scan_implILNS1_25lookback_scan_determinismE0ELb1ELb1ES3_N6thrust23THRUST_200600_302600_NS6detail15normal_iteratorINS9_10device_ptrIyEEEESE_y11max_functorIyEyEEDaPvRmT3_T4_T5_mT6_P12ihipStream_tbENKUlT_T0_E_clISt17integral_constantIbLb0EEST_IbLb1EEEEDaSP_SQ_EUlSP_E0_NS1_11comp_targetILNS1_3genE4ELNS1_11target_archE910ELNS1_3gpuE8ELNS1_3repE0EEENS1_30default_config_static_selectorELNS0_4arch9wavefront6targetE1EEEvT1_
	.globl	_ZN7rocprim17ROCPRIM_400000_NS6detail17trampoline_kernelINS0_14default_configENS1_20scan_config_selectorIyEEZZNS1_9scan_implILNS1_25lookback_scan_determinismE0ELb1ELb1ES3_N6thrust23THRUST_200600_302600_NS6detail15normal_iteratorINS9_10device_ptrIyEEEESE_y11max_functorIyEyEEDaPvRmT3_T4_T5_mT6_P12ihipStream_tbENKUlT_T0_E_clISt17integral_constantIbLb0EEST_IbLb1EEEEDaSP_SQ_EUlSP_E0_NS1_11comp_targetILNS1_3genE4ELNS1_11target_archE910ELNS1_3gpuE8ELNS1_3repE0EEENS1_30default_config_static_selectorELNS0_4arch9wavefront6targetE1EEEvT1_
	.p2align	8
	.type	_ZN7rocprim17ROCPRIM_400000_NS6detail17trampoline_kernelINS0_14default_configENS1_20scan_config_selectorIyEEZZNS1_9scan_implILNS1_25lookback_scan_determinismE0ELb1ELb1ES3_N6thrust23THRUST_200600_302600_NS6detail15normal_iteratorINS9_10device_ptrIyEEEESE_y11max_functorIyEyEEDaPvRmT3_T4_T5_mT6_P12ihipStream_tbENKUlT_T0_E_clISt17integral_constantIbLb0EEST_IbLb1EEEEDaSP_SQ_EUlSP_E0_NS1_11comp_targetILNS1_3genE4ELNS1_11target_archE910ELNS1_3gpuE8ELNS1_3repE0EEENS1_30default_config_static_selectorELNS0_4arch9wavefront6targetE1EEEvT1_,@function
_ZN7rocprim17ROCPRIM_400000_NS6detail17trampoline_kernelINS0_14default_configENS1_20scan_config_selectorIyEEZZNS1_9scan_implILNS1_25lookback_scan_determinismE0ELb1ELb1ES3_N6thrust23THRUST_200600_302600_NS6detail15normal_iteratorINS9_10device_ptrIyEEEESE_y11max_functorIyEyEEDaPvRmT3_T4_T5_mT6_P12ihipStream_tbENKUlT_T0_E_clISt17integral_constantIbLb0EEST_IbLb1EEEEDaSP_SQ_EUlSP_E0_NS1_11comp_targetILNS1_3genE4ELNS1_11target_archE910ELNS1_3gpuE8ELNS1_3repE0EEENS1_30default_config_static_selectorELNS0_4arch9wavefront6targetE1EEEvT1_: ; @_ZN7rocprim17ROCPRIM_400000_NS6detail17trampoline_kernelINS0_14default_configENS1_20scan_config_selectorIyEEZZNS1_9scan_implILNS1_25lookback_scan_determinismE0ELb1ELb1ES3_N6thrust23THRUST_200600_302600_NS6detail15normal_iteratorINS9_10device_ptrIyEEEESE_y11max_functorIyEyEEDaPvRmT3_T4_T5_mT6_P12ihipStream_tbENKUlT_T0_E_clISt17integral_constantIbLb0EEST_IbLb1EEEEDaSP_SQ_EUlSP_E0_NS1_11comp_targetILNS1_3genE4ELNS1_11target_archE910ELNS1_3gpuE8ELNS1_3repE0EEENS1_30default_config_static_selectorELNS0_4arch9wavefront6targetE1EEEvT1_
; %bb.0:
	s_load_dwordx4 s[16:19], s[4:5], 0x0
	v_lshlrev_b32_e32 v24, 3, v0
	s_waitcnt lgkmcnt(0)
	s_load_dwordx2 s[14:15], s[16:17], 0x0
	v_cmp_gt_u32_e32 vcc, s18, v0
	s_waitcnt lgkmcnt(0)
	v_pk_mov_b32 v[2:3], s[14:15], s[14:15] op_sel:[0,1]
	s_and_saveexec_b64 s[0:1], vcc
	s_cbranch_execz .LBB2237_2
; %bb.1:
	global_load_dwordx2 v[2:3], v24, s[16:17]
.LBB2237_2:
	s_or_b64 exec, exec, s[0:1]
	v_or_b32_e32 v1, 0x80, v0
	v_cmp_gt_u32_e64 s[0:1], s18, v1
	v_pk_mov_b32 v[4:5], s[14:15], s[14:15] op_sel:[0,1]
	s_and_saveexec_b64 s[2:3], s[0:1]
	s_cbranch_execz .LBB2237_4
; %bb.3:
	global_load_dwordx2 v[4:5], v24, s[16:17] offset:1024
.LBB2237_4:
	s_or_b64 exec, exec, s[2:3]
	v_or_b32_e32 v1, 0x100, v0
	v_cmp_gt_u32_e64 s[2:3], s18, v1
	v_pk_mov_b32 v[6:7], s[14:15], s[14:15] op_sel:[0,1]
	s_and_saveexec_b64 s[6:7], s[2:3]
	s_cbranch_execz .LBB2237_6
; %bb.5:
	global_load_dwordx2 v[6:7], v24, s[16:17] offset:2048
.LBB2237_6:
	;; [unrolled: 9-line block ×3, first 2 shown]
	s_or_b64 exec, exec, s[6:7]
	v_or_b32_e32 v1, 0x200, v0
	v_cmp_gt_u32_e64 s[6:7], s18, v1
	v_pk_mov_b32 v[10:11], s[14:15], s[14:15] op_sel:[0,1]
	s_and_saveexec_b64 s[8:9], s[6:7]
	s_cbranch_execz .LBB2237_10
; %bb.9:
	v_lshlrev_b32_e32 v1, 3, v1
	global_load_dwordx2 v[10:11], v1, s[16:17]
.LBB2237_10:
	s_or_b64 exec, exec, s[8:9]
	v_or_b32_e32 v1, 0x280, v0
	v_cmp_gt_u32_e64 s[8:9], s18, v1
	v_pk_mov_b32 v[12:13], s[14:15], s[14:15] op_sel:[0,1]
	s_and_saveexec_b64 s[10:11], s[8:9]
	s_cbranch_execz .LBB2237_12
; %bb.11:
	v_lshlrev_b32_e32 v1, 3, v1
	global_load_dwordx2 v[12:13], v1, s[16:17]
.LBB2237_12:
	s_or_b64 exec, exec, s[10:11]
	s_load_dwordx2 s[20:21], s[4:5], 0x10
	v_or_b32_e32 v1, 0x300, v0
	v_cmp_gt_u32_e64 s[10:11], s18, v1
	v_pk_mov_b32 v[14:15], s[14:15], s[14:15] op_sel:[0,1]
	s_and_saveexec_b64 s[14:15], s[10:11]
	s_cbranch_execz .LBB2237_14
; %bb.13:
	v_lshlrev_b32_e32 v1, 3, v1
	global_load_dwordx2 v[14:15], v1, s[16:17]
.LBB2237_14:
	s_or_b64 exec, exec, s[14:15]
	v_mad_u32_u24 v1, v0, 48, v24
	s_waitcnt vmcnt(0)
	ds_write2st64_b64 v24, v[2:3], v[4:5] offset1:2
	ds_write2st64_b64 v24, v[6:7], v[8:9] offset0:4 offset1:6
	ds_write2st64_b64 v24, v[10:11], v[12:13] offset0:8 offset1:10
	ds_write_b64 v24, v[14:15] offset:6144
	s_waitcnt lgkmcnt(0)
	s_barrier
	ds_read2_b64 v[10:13], v1 offset1:1
	ds_read2_b64 v[6:9], v1 offset0:2 offset1:3
	ds_read2_b64 v[2:5], v1 offset0:4 offset1:5
	ds_read_b64 v[14:15], v1 offset:48
	s_load_dwordx2 s[16:17], s[4:5], 0x20
	s_waitcnt lgkmcnt(0)
	v_cmp_gt_u64_e64 s[4:5], v[10:11], v[12:13]
	v_cndmask_b32_e64 v17, v13, v11, s[4:5]
	v_cndmask_b32_e64 v16, v12, v10, s[4:5]
	v_cmp_gt_u64_e64 s[4:5], v[16:17], v[6:7]
	v_cndmask_b32_e64 v17, v7, v17, s[4:5]
	v_cndmask_b32_e64 v16, v6, v16, s[4:5]
	;; [unrolled: 3-line block ×5, first 2 shown]
	v_cmp_gt_u64_e64 s[4:5], v[16:17], v[14:15]
	v_cndmask_b32_e64 v18, v14, v16, s[4:5]
	v_lshrrev_b32_e32 v14, 2, v0
	v_and_b32_e32 v14, 24, v14
	v_cndmask_b32_e64 v19, v15, v17, s[4:5]
	v_add_u32_e32 v14, v24, v14
	v_cmp_gt_u32_e64 s[4:5], 64, v0
	s_barrier
	ds_write_b64 v14, v[18:19]
	s_waitcnt lgkmcnt(0)
	s_barrier
	s_and_saveexec_b64 s[18:19], s[4:5]
	s_cbranch_execz .LBB2237_18
; %bb.15:
	v_lshlrev_b32_e32 v14, 1, v0
	v_lshrrev_b32_e32 v15, 4, v0
	v_add_lshl_u32 v25, v15, v14, 3
	ds_read2_b64 v[14:17], v25 offset1:1
	v_mbcnt_lo_u32_b32 v20, -1, 0
	v_mbcnt_hi_u32_b32 v26, -1, v20
	v_and_b32_e32 v27, 15, v26
	v_and_b32_e32 v29, 16, v26
	s_waitcnt lgkmcnt(0)
	v_cmp_gt_u64_e64 s[4:5], v[14:15], v[16:17]
	v_cndmask_b32_e64 v17, v17, v15, s[4:5]
	v_cndmask_b32_e64 v16, v16, v14, s[4:5]
	v_cmp_ne_u32_e64 s[14:15], 0, v26
	v_mov_b32_dpp v21, v17 row_shr:1 row_mask:0xf bank_mask:0xf
	v_mov_b32_dpp v20, v16 row_shr:1 row_mask:0xf bank_mask:0xf
	v_cmp_gt_u64_e64 s[4:5], v[20:21], v[16:17]
	v_cndmask_b32_e64 v20, v16, v20, s[4:5]
	v_cndmask_b32_e64 v21, v17, v21, s[4:5]
	v_cmp_eq_u32_e64 s[4:5], 0, v27
	v_cndmask_b32_e64 v21, v21, v17, s[4:5]
	v_cndmask_b32_e64 v20, v20, v16, s[4:5]
	s_nop 0
	v_mov_b32_dpp v23, v21 row_shr:2 row_mask:0xf bank_mask:0xf
	v_mov_b32_dpp v22, v20 row_shr:2 row_mask:0xf bank_mask:0xf
	v_cmp_gt_u64_e64 s[4:5], v[22:23], v[20:21]
	v_cndmask_b32_e64 v22, v20, v22, s[4:5]
	v_cndmask_b32_e64 v23, v21, v23, s[4:5]
	v_cmp_lt_u32_e64 s[4:5], 1, v27
	v_cndmask_b32_e64 v21, v21, v23, s[4:5]
	v_cndmask_b32_e64 v20, v20, v22, s[4:5]
	s_nop 0
	v_mov_b32_dpp v23, v21 row_shr:4 row_mask:0xf bank_mask:0xf
	v_mov_b32_dpp v22, v20 row_shr:4 row_mask:0xf bank_mask:0xf
	v_cmp_gt_u64_e64 s[4:5], v[22:23], v[20:21]
	v_cndmask_b32_e64 v22, v20, v22, s[4:5]
	v_cndmask_b32_e64 v23, v21, v23, s[4:5]
	v_cmp_lt_u32_e64 s[4:5], 3, v27
	;; [unrolled: 9-line block ×3, first 2 shown]
	v_cndmask_b32_e64 v21, v21, v23, s[4:5]
	v_cndmask_b32_e64 v20, v20, v22, s[4:5]
	s_nop 0
	v_mov_b32_dpp v23, v21 row_bcast:15 row_mask:0xf bank_mask:0xf
	v_mov_b32_dpp v22, v20 row_bcast:15 row_mask:0xf bank_mask:0xf
	v_cmp_gt_u64_e64 s[4:5], v[22:23], v[20:21]
	v_cndmask_b32_e64 v27, v21, v23, s[4:5]
	v_cndmask_b32_e64 v28, v20, v22, s[4:5]
	v_cmp_eq_u32_e64 s[4:5], 0, v29
	v_cndmask_b32_e64 v23, v27, v21, s[4:5]
	v_cndmask_b32_e64 v22, v28, v20, s[4:5]
	s_nop 0
	v_mov_b32_dpp v23, v23 row_bcast:31 row_mask:0xf bank_mask:0xf
	v_mov_b32_dpp v22, v22 row_bcast:31 row_mask:0xf bank_mask:0xf
	s_and_saveexec_b64 s[22:23], s[14:15]
; %bb.16:
	v_cndmask_b32_e64 v17, v27, v21, s[4:5]
	v_cndmask_b32_e64 v16, v28, v20, s[4:5]
	v_cmp_lt_u32_e64 s[14:15], 31, v26
	v_cmp_gt_u64_e64 s[4:5], v[22:23], v[16:17]
	s_and_b64 s[4:5], s[14:15], s[4:5]
	v_cndmask_b32_e64 v16, v16, v22, s[4:5]
	v_cndmask_b32_e64 v17, v17, v23, s[4:5]
; %bb.17:
	s_or_b64 exec, exec, s[22:23]
	v_add_u32_e32 v20, -1, v26
	v_and_b32_e32 v21, 64, v26
	v_cmp_lt_i32_e64 s[4:5], v20, v21
	v_cndmask_b32_e64 v20, v20, v26, s[4:5]
	v_lshlrev_b32_e32 v20, 2, v20
	ds_bpermute_b32 v16, v20, v16
	ds_bpermute_b32 v17, v20, v17
	; wave barrier
	s_waitcnt lgkmcnt(0)
	v_cmp_gt_u64_e64 s[4:5], v[16:17], v[14:15]
	v_cndmask_b32_e64 v14, v14, v16, s[4:5]
	v_cndmask_b32_e64 v15, v15, v17, s[4:5]
	v_cmp_eq_u32_e64 s[4:5], 0, v0
	v_cndmask_b32_e64 v15, v15, v19, s[4:5]
	v_cndmask_b32_e64 v14, v14, v18, s[4:5]
	ds_write_b64 v25, v[14:15]
	; wave barrier
	ds_read_b64 v[16:17], v25 offset:8
	s_waitcnt lgkmcnt(0)
	v_cmp_gt_u64_e64 s[4:5], v[14:15], v[16:17]
	v_cndmask_b32_e64 v15, v17, v15, s[4:5]
	v_cndmask_b32_e64 v14, v16, v14, s[4:5]
	ds_write_b64 v25, v[14:15] offset:8
.LBB2237_18:
	s_or_b64 exec, exec, s[18:19]
	v_cmp_ne_u32_e64 s[4:5], 0, v0
	v_pk_mov_b32 v[14:15], s[20:21], s[20:21] op_sel:[0,1]
	s_waitcnt lgkmcnt(0)
	s_barrier
	s_and_saveexec_b64 s[14:15], s[4:5]
	s_cbranch_execz .LBB2237_20
; %bb.19:
	v_add_u32_e32 v14, -1, v0
	v_lshrrev_b32_e32 v15, 5, v14
	v_add_lshl_u32 v14, v15, v14, 3
	ds_read_b64 v[14:15], v14
	v_mov_b32_e32 v16, s21
	s_waitcnt lgkmcnt(0)
	v_cmp_gt_u64_e64 s[4:5], s[20:21], v[14:15]
	v_cndmask_b32_e64 v15, v15, v16, s[4:5]
	v_mov_b32_e32 v16, s20
	v_cndmask_b32_e64 v14, v14, v16, s[4:5]
.LBB2237_20:
	s_or_b64 exec, exec, s[14:15]
	v_cmp_gt_u64_e64 s[4:5], v[14:15], v[10:11]
	v_cndmask_b32_e64 v11, v11, v15, s[4:5]
	v_cndmask_b32_e64 v10, v10, v14, s[4:5]
	v_cmp_gt_u64_e64 s[4:5], v[10:11], v[12:13]
	v_cndmask_b32_e64 v13, v13, v11, s[4:5]
	v_cndmask_b32_e64 v12, v12, v10, s[4:5]
	;; [unrolled: 3-line block ×6, first 2 shown]
	s_movk_i32 s4, 0xffd0
	v_mad_i32_i24 v0, v0, s4, v1
	s_barrier
	ds_write2_b64 v1, v[14:15], v[10:11] offset1:1
	ds_write2_b64 v1, v[12:13], v[6:7] offset0:2 offset1:3
	ds_write2_b64 v1, v[8:9], v[2:3] offset0:4 offset1:5
	ds_write_b64 v1, v[4:5] offset:48
	s_waitcnt lgkmcnt(0)
	s_barrier
	ds_read2st64_b64 v[8:11], v0 offset0:2 offset1:4
	ds_read2st64_b64 v[4:7], v0 offset0:6 offset1:8
	ds_read2st64_b64 v[0:3], v0 offset0:10 offset1:12
	v_mov_b32_e32 v13, s17
	v_add_co_u32_e64 v12, s[4:5], s16, v24
	v_addc_co_u32_e64 v13, s[4:5], 0, v13, s[4:5]
	s_and_saveexec_b64 s[4:5], vcc
	s_cbranch_execnz .LBB2237_28
; %bb.21:
	s_or_b64 exec, exec, s[4:5]
	s_and_saveexec_b64 s[4:5], s[0:1]
	s_cbranch_execnz .LBB2237_29
.LBB2237_22:
	s_or_b64 exec, exec, s[4:5]
	s_and_saveexec_b64 s[0:1], s[2:3]
	s_cbranch_execnz .LBB2237_30
.LBB2237_23:
	s_or_b64 exec, exec, s[0:1]
	s_and_saveexec_b64 s[0:1], s[12:13]
	s_cbranch_execnz .LBB2237_31
.LBB2237_24:
	s_or_b64 exec, exec, s[0:1]
	s_and_saveexec_b64 s[0:1], s[6:7]
	s_cbranch_execnz .LBB2237_32
.LBB2237_25:
	s_or_b64 exec, exec, s[0:1]
	s_and_saveexec_b64 s[0:1], s[8:9]
	s_cbranch_execnz .LBB2237_33
.LBB2237_26:
	s_or_b64 exec, exec, s[0:1]
	s_and_saveexec_b64 s[0:1], s[10:11]
	s_cbranch_execnz .LBB2237_34
.LBB2237_27:
	s_endpgm
.LBB2237_28:
	ds_read_b64 v[14:15], v24
	s_waitcnt lgkmcnt(0)
	global_store_dwordx2 v[12:13], v[14:15], off
	s_or_b64 exec, exec, s[4:5]
	s_and_saveexec_b64 s[4:5], s[0:1]
	s_cbranch_execz .LBB2237_22
.LBB2237_29:
	s_waitcnt lgkmcnt(2)
	global_store_dwordx2 v[12:13], v[8:9], off offset:1024
	s_or_b64 exec, exec, s[4:5]
	s_and_saveexec_b64 s[0:1], s[2:3]
	s_cbranch_execz .LBB2237_23
.LBB2237_30:
	s_waitcnt lgkmcnt(2)
	global_store_dwordx2 v[12:13], v[10:11], off offset:2048
	s_or_b64 exec, exec, s[0:1]
	s_and_saveexec_b64 s[0:1], s[12:13]
	s_cbranch_execz .LBB2237_24
.LBB2237_31:
	s_waitcnt lgkmcnt(1)
	global_store_dwordx2 v[12:13], v[4:5], off offset:3072
	s_or_b64 exec, exec, s[0:1]
	s_and_saveexec_b64 s[0:1], s[6:7]
	s_cbranch_execz .LBB2237_25
.LBB2237_32:
	s_waitcnt lgkmcnt(1)
	v_add_co_u32_e32 v4, vcc, 0x1000, v12
	v_addc_co_u32_e32 v5, vcc, 0, v13, vcc
	global_store_dwordx2 v[4:5], v[6:7], off
	s_or_b64 exec, exec, s[0:1]
	s_and_saveexec_b64 s[0:1], s[8:9]
	s_cbranch_execz .LBB2237_26
.LBB2237_33:
	s_waitcnt lgkmcnt(1)
	v_add_co_u32_e32 v4, vcc, 0x1000, v12
	v_addc_co_u32_e32 v5, vcc, 0, v13, vcc
	s_waitcnt lgkmcnt(0)
	global_store_dwordx2 v[4:5], v[0:1], off offset:1024
	s_or_b64 exec, exec, s[0:1]
	s_and_saveexec_b64 s[0:1], s[10:11]
	s_cbranch_execz .LBB2237_27
.LBB2237_34:
	s_waitcnt lgkmcnt(0)
	v_add_co_u32_e32 v0, vcc, 0x1000, v12
	v_addc_co_u32_e32 v1, vcc, 0, v13, vcc
	global_store_dwordx2 v[0:1], v[2:3], off offset:2048
	s_endpgm
	.section	.rodata,"a",@progbits
	.p2align	6, 0x0
	.amdhsa_kernel _ZN7rocprim17ROCPRIM_400000_NS6detail17trampoline_kernelINS0_14default_configENS1_20scan_config_selectorIyEEZZNS1_9scan_implILNS1_25lookback_scan_determinismE0ELb1ELb1ES3_N6thrust23THRUST_200600_302600_NS6detail15normal_iteratorINS9_10device_ptrIyEEEESE_y11max_functorIyEyEEDaPvRmT3_T4_T5_mT6_P12ihipStream_tbENKUlT_T0_E_clISt17integral_constantIbLb0EEST_IbLb1EEEEDaSP_SQ_EUlSP_E0_NS1_11comp_targetILNS1_3genE4ELNS1_11target_archE910ELNS1_3gpuE8ELNS1_3repE0EEENS1_30default_config_static_selectorELNS0_4arch9wavefront6targetE1EEEvT1_
		.amdhsa_group_segment_fixed_size 7168
		.amdhsa_private_segment_fixed_size 0
		.amdhsa_kernarg_size 40
		.amdhsa_user_sgpr_count 6
		.amdhsa_user_sgpr_private_segment_buffer 1
		.amdhsa_user_sgpr_dispatch_ptr 0
		.amdhsa_user_sgpr_queue_ptr 0
		.amdhsa_user_sgpr_kernarg_segment_ptr 1
		.amdhsa_user_sgpr_dispatch_id 0
		.amdhsa_user_sgpr_flat_scratch_init 0
		.amdhsa_user_sgpr_kernarg_preload_length 0
		.amdhsa_user_sgpr_kernarg_preload_offset 0
		.amdhsa_user_sgpr_private_segment_size 0
		.amdhsa_uses_dynamic_stack 0
		.amdhsa_system_sgpr_private_segment_wavefront_offset 0
		.amdhsa_system_sgpr_workgroup_id_x 1
		.amdhsa_system_sgpr_workgroup_id_y 0
		.amdhsa_system_sgpr_workgroup_id_z 0
		.amdhsa_system_sgpr_workgroup_info 0
		.amdhsa_system_vgpr_workitem_id 0
		.amdhsa_next_free_vgpr 30
		.amdhsa_next_free_sgpr 24
		.amdhsa_accum_offset 32
		.amdhsa_reserve_vcc 1
		.amdhsa_reserve_flat_scratch 0
		.amdhsa_float_round_mode_32 0
		.amdhsa_float_round_mode_16_64 0
		.amdhsa_float_denorm_mode_32 3
		.amdhsa_float_denorm_mode_16_64 3
		.amdhsa_dx10_clamp 1
		.amdhsa_ieee_mode 1
		.amdhsa_fp16_overflow 0
		.amdhsa_tg_split 0
		.amdhsa_exception_fp_ieee_invalid_op 0
		.amdhsa_exception_fp_denorm_src 0
		.amdhsa_exception_fp_ieee_div_zero 0
		.amdhsa_exception_fp_ieee_overflow 0
		.amdhsa_exception_fp_ieee_underflow 0
		.amdhsa_exception_fp_ieee_inexact 0
		.amdhsa_exception_int_div_zero 0
	.end_amdhsa_kernel
	.section	.text._ZN7rocprim17ROCPRIM_400000_NS6detail17trampoline_kernelINS0_14default_configENS1_20scan_config_selectorIyEEZZNS1_9scan_implILNS1_25lookback_scan_determinismE0ELb1ELb1ES3_N6thrust23THRUST_200600_302600_NS6detail15normal_iteratorINS9_10device_ptrIyEEEESE_y11max_functorIyEyEEDaPvRmT3_T4_T5_mT6_P12ihipStream_tbENKUlT_T0_E_clISt17integral_constantIbLb0EEST_IbLb1EEEEDaSP_SQ_EUlSP_E0_NS1_11comp_targetILNS1_3genE4ELNS1_11target_archE910ELNS1_3gpuE8ELNS1_3repE0EEENS1_30default_config_static_selectorELNS0_4arch9wavefront6targetE1EEEvT1_,"axG",@progbits,_ZN7rocprim17ROCPRIM_400000_NS6detail17trampoline_kernelINS0_14default_configENS1_20scan_config_selectorIyEEZZNS1_9scan_implILNS1_25lookback_scan_determinismE0ELb1ELb1ES3_N6thrust23THRUST_200600_302600_NS6detail15normal_iteratorINS9_10device_ptrIyEEEESE_y11max_functorIyEyEEDaPvRmT3_T4_T5_mT6_P12ihipStream_tbENKUlT_T0_E_clISt17integral_constantIbLb0EEST_IbLb1EEEEDaSP_SQ_EUlSP_E0_NS1_11comp_targetILNS1_3genE4ELNS1_11target_archE910ELNS1_3gpuE8ELNS1_3repE0EEENS1_30default_config_static_selectorELNS0_4arch9wavefront6targetE1EEEvT1_,comdat
.Lfunc_end2237:
	.size	_ZN7rocprim17ROCPRIM_400000_NS6detail17trampoline_kernelINS0_14default_configENS1_20scan_config_selectorIyEEZZNS1_9scan_implILNS1_25lookback_scan_determinismE0ELb1ELb1ES3_N6thrust23THRUST_200600_302600_NS6detail15normal_iteratorINS9_10device_ptrIyEEEESE_y11max_functorIyEyEEDaPvRmT3_T4_T5_mT6_P12ihipStream_tbENKUlT_T0_E_clISt17integral_constantIbLb0EEST_IbLb1EEEEDaSP_SQ_EUlSP_E0_NS1_11comp_targetILNS1_3genE4ELNS1_11target_archE910ELNS1_3gpuE8ELNS1_3repE0EEENS1_30default_config_static_selectorELNS0_4arch9wavefront6targetE1EEEvT1_, .Lfunc_end2237-_ZN7rocprim17ROCPRIM_400000_NS6detail17trampoline_kernelINS0_14default_configENS1_20scan_config_selectorIyEEZZNS1_9scan_implILNS1_25lookback_scan_determinismE0ELb1ELb1ES3_N6thrust23THRUST_200600_302600_NS6detail15normal_iteratorINS9_10device_ptrIyEEEESE_y11max_functorIyEyEEDaPvRmT3_T4_T5_mT6_P12ihipStream_tbENKUlT_T0_E_clISt17integral_constantIbLb0EEST_IbLb1EEEEDaSP_SQ_EUlSP_E0_NS1_11comp_targetILNS1_3genE4ELNS1_11target_archE910ELNS1_3gpuE8ELNS1_3repE0EEENS1_30default_config_static_selectorELNS0_4arch9wavefront6targetE1EEEvT1_
                                        ; -- End function
	.section	.AMDGPU.csdata,"",@progbits
; Kernel info:
; codeLenInByte = 1916
; NumSgprs: 28
; NumVgprs: 30
; NumAgprs: 0
; TotalNumVgprs: 30
; ScratchSize: 0
; MemoryBound: 0
; FloatMode: 240
; IeeeMode: 1
; LDSByteSize: 7168 bytes/workgroup (compile time only)
; SGPRBlocks: 3
; VGPRBlocks: 3
; NumSGPRsForWavesPerEU: 28
; NumVGPRsForWavesPerEU: 30
; AccumOffset: 32
; Occupancy: 5
; WaveLimiterHint : 0
; COMPUTE_PGM_RSRC2:SCRATCH_EN: 0
; COMPUTE_PGM_RSRC2:USER_SGPR: 6
; COMPUTE_PGM_RSRC2:TRAP_HANDLER: 0
; COMPUTE_PGM_RSRC2:TGID_X_EN: 1
; COMPUTE_PGM_RSRC2:TGID_Y_EN: 0
; COMPUTE_PGM_RSRC2:TGID_Z_EN: 0
; COMPUTE_PGM_RSRC2:TIDIG_COMP_CNT: 0
; COMPUTE_PGM_RSRC3_GFX90A:ACCUM_OFFSET: 7
; COMPUTE_PGM_RSRC3_GFX90A:TG_SPLIT: 0
	.section	.text._ZN7rocprim17ROCPRIM_400000_NS6detail17trampoline_kernelINS0_14default_configENS1_20scan_config_selectorIyEEZZNS1_9scan_implILNS1_25lookback_scan_determinismE0ELb1ELb1ES3_N6thrust23THRUST_200600_302600_NS6detail15normal_iteratorINS9_10device_ptrIyEEEESE_y11max_functorIyEyEEDaPvRmT3_T4_T5_mT6_P12ihipStream_tbENKUlT_T0_E_clISt17integral_constantIbLb0EEST_IbLb1EEEEDaSP_SQ_EUlSP_E0_NS1_11comp_targetILNS1_3genE3ELNS1_11target_archE908ELNS1_3gpuE7ELNS1_3repE0EEENS1_30default_config_static_selectorELNS0_4arch9wavefront6targetE1EEEvT1_,"axG",@progbits,_ZN7rocprim17ROCPRIM_400000_NS6detail17trampoline_kernelINS0_14default_configENS1_20scan_config_selectorIyEEZZNS1_9scan_implILNS1_25lookback_scan_determinismE0ELb1ELb1ES3_N6thrust23THRUST_200600_302600_NS6detail15normal_iteratorINS9_10device_ptrIyEEEESE_y11max_functorIyEyEEDaPvRmT3_T4_T5_mT6_P12ihipStream_tbENKUlT_T0_E_clISt17integral_constantIbLb0EEST_IbLb1EEEEDaSP_SQ_EUlSP_E0_NS1_11comp_targetILNS1_3genE3ELNS1_11target_archE908ELNS1_3gpuE7ELNS1_3repE0EEENS1_30default_config_static_selectorELNS0_4arch9wavefront6targetE1EEEvT1_,comdat
	.protected	_ZN7rocprim17ROCPRIM_400000_NS6detail17trampoline_kernelINS0_14default_configENS1_20scan_config_selectorIyEEZZNS1_9scan_implILNS1_25lookback_scan_determinismE0ELb1ELb1ES3_N6thrust23THRUST_200600_302600_NS6detail15normal_iteratorINS9_10device_ptrIyEEEESE_y11max_functorIyEyEEDaPvRmT3_T4_T5_mT6_P12ihipStream_tbENKUlT_T0_E_clISt17integral_constantIbLb0EEST_IbLb1EEEEDaSP_SQ_EUlSP_E0_NS1_11comp_targetILNS1_3genE3ELNS1_11target_archE908ELNS1_3gpuE7ELNS1_3repE0EEENS1_30default_config_static_selectorELNS0_4arch9wavefront6targetE1EEEvT1_ ; -- Begin function _ZN7rocprim17ROCPRIM_400000_NS6detail17trampoline_kernelINS0_14default_configENS1_20scan_config_selectorIyEEZZNS1_9scan_implILNS1_25lookback_scan_determinismE0ELb1ELb1ES3_N6thrust23THRUST_200600_302600_NS6detail15normal_iteratorINS9_10device_ptrIyEEEESE_y11max_functorIyEyEEDaPvRmT3_T4_T5_mT6_P12ihipStream_tbENKUlT_T0_E_clISt17integral_constantIbLb0EEST_IbLb1EEEEDaSP_SQ_EUlSP_E0_NS1_11comp_targetILNS1_3genE3ELNS1_11target_archE908ELNS1_3gpuE7ELNS1_3repE0EEENS1_30default_config_static_selectorELNS0_4arch9wavefront6targetE1EEEvT1_
	.globl	_ZN7rocprim17ROCPRIM_400000_NS6detail17trampoline_kernelINS0_14default_configENS1_20scan_config_selectorIyEEZZNS1_9scan_implILNS1_25lookback_scan_determinismE0ELb1ELb1ES3_N6thrust23THRUST_200600_302600_NS6detail15normal_iteratorINS9_10device_ptrIyEEEESE_y11max_functorIyEyEEDaPvRmT3_T4_T5_mT6_P12ihipStream_tbENKUlT_T0_E_clISt17integral_constantIbLb0EEST_IbLb1EEEEDaSP_SQ_EUlSP_E0_NS1_11comp_targetILNS1_3genE3ELNS1_11target_archE908ELNS1_3gpuE7ELNS1_3repE0EEENS1_30default_config_static_selectorELNS0_4arch9wavefront6targetE1EEEvT1_
	.p2align	8
	.type	_ZN7rocprim17ROCPRIM_400000_NS6detail17trampoline_kernelINS0_14default_configENS1_20scan_config_selectorIyEEZZNS1_9scan_implILNS1_25lookback_scan_determinismE0ELb1ELb1ES3_N6thrust23THRUST_200600_302600_NS6detail15normal_iteratorINS9_10device_ptrIyEEEESE_y11max_functorIyEyEEDaPvRmT3_T4_T5_mT6_P12ihipStream_tbENKUlT_T0_E_clISt17integral_constantIbLb0EEST_IbLb1EEEEDaSP_SQ_EUlSP_E0_NS1_11comp_targetILNS1_3genE3ELNS1_11target_archE908ELNS1_3gpuE7ELNS1_3repE0EEENS1_30default_config_static_selectorELNS0_4arch9wavefront6targetE1EEEvT1_,@function
_ZN7rocprim17ROCPRIM_400000_NS6detail17trampoline_kernelINS0_14default_configENS1_20scan_config_selectorIyEEZZNS1_9scan_implILNS1_25lookback_scan_determinismE0ELb1ELb1ES3_N6thrust23THRUST_200600_302600_NS6detail15normal_iteratorINS9_10device_ptrIyEEEESE_y11max_functorIyEyEEDaPvRmT3_T4_T5_mT6_P12ihipStream_tbENKUlT_T0_E_clISt17integral_constantIbLb0EEST_IbLb1EEEEDaSP_SQ_EUlSP_E0_NS1_11comp_targetILNS1_3genE3ELNS1_11target_archE908ELNS1_3gpuE7ELNS1_3repE0EEENS1_30default_config_static_selectorELNS0_4arch9wavefront6targetE1EEEvT1_: ; @_ZN7rocprim17ROCPRIM_400000_NS6detail17trampoline_kernelINS0_14default_configENS1_20scan_config_selectorIyEEZZNS1_9scan_implILNS1_25lookback_scan_determinismE0ELb1ELb1ES3_N6thrust23THRUST_200600_302600_NS6detail15normal_iteratorINS9_10device_ptrIyEEEESE_y11max_functorIyEyEEDaPvRmT3_T4_T5_mT6_P12ihipStream_tbENKUlT_T0_E_clISt17integral_constantIbLb0EEST_IbLb1EEEEDaSP_SQ_EUlSP_E0_NS1_11comp_targetILNS1_3genE3ELNS1_11target_archE908ELNS1_3gpuE7ELNS1_3repE0EEENS1_30default_config_static_selectorELNS0_4arch9wavefront6targetE1EEEvT1_
; %bb.0:
	.section	.rodata,"a",@progbits
	.p2align	6, 0x0
	.amdhsa_kernel _ZN7rocprim17ROCPRIM_400000_NS6detail17trampoline_kernelINS0_14default_configENS1_20scan_config_selectorIyEEZZNS1_9scan_implILNS1_25lookback_scan_determinismE0ELb1ELb1ES3_N6thrust23THRUST_200600_302600_NS6detail15normal_iteratorINS9_10device_ptrIyEEEESE_y11max_functorIyEyEEDaPvRmT3_T4_T5_mT6_P12ihipStream_tbENKUlT_T0_E_clISt17integral_constantIbLb0EEST_IbLb1EEEEDaSP_SQ_EUlSP_E0_NS1_11comp_targetILNS1_3genE3ELNS1_11target_archE908ELNS1_3gpuE7ELNS1_3repE0EEENS1_30default_config_static_selectorELNS0_4arch9wavefront6targetE1EEEvT1_
		.amdhsa_group_segment_fixed_size 0
		.amdhsa_private_segment_fixed_size 0
		.amdhsa_kernarg_size 40
		.amdhsa_user_sgpr_count 6
		.amdhsa_user_sgpr_private_segment_buffer 1
		.amdhsa_user_sgpr_dispatch_ptr 0
		.amdhsa_user_sgpr_queue_ptr 0
		.amdhsa_user_sgpr_kernarg_segment_ptr 1
		.amdhsa_user_sgpr_dispatch_id 0
		.amdhsa_user_sgpr_flat_scratch_init 0
		.amdhsa_user_sgpr_kernarg_preload_length 0
		.amdhsa_user_sgpr_kernarg_preload_offset 0
		.amdhsa_user_sgpr_private_segment_size 0
		.amdhsa_uses_dynamic_stack 0
		.amdhsa_system_sgpr_private_segment_wavefront_offset 0
		.amdhsa_system_sgpr_workgroup_id_x 1
		.amdhsa_system_sgpr_workgroup_id_y 0
		.amdhsa_system_sgpr_workgroup_id_z 0
		.amdhsa_system_sgpr_workgroup_info 0
		.amdhsa_system_vgpr_workitem_id 0
		.amdhsa_next_free_vgpr 1
		.amdhsa_next_free_sgpr 0
		.amdhsa_accum_offset 4
		.amdhsa_reserve_vcc 0
		.amdhsa_reserve_flat_scratch 0
		.amdhsa_float_round_mode_32 0
		.amdhsa_float_round_mode_16_64 0
		.amdhsa_float_denorm_mode_32 3
		.amdhsa_float_denorm_mode_16_64 3
		.amdhsa_dx10_clamp 1
		.amdhsa_ieee_mode 1
		.amdhsa_fp16_overflow 0
		.amdhsa_tg_split 0
		.amdhsa_exception_fp_ieee_invalid_op 0
		.amdhsa_exception_fp_denorm_src 0
		.amdhsa_exception_fp_ieee_div_zero 0
		.amdhsa_exception_fp_ieee_overflow 0
		.amdhsa_exception_fp_ieee_underflow 0
		.amdhsa_exception_fp_ieee_inexact 0
		.amdhsa_exception_int_div_zero 0
	.end_amdhsa_kernel
	.section	.text._ZN7rocprim17ROCPRIM_400000_NS6detail17trampoline_kernelINS0_14default_configENS1_20scan_config_selectorIyEEZZNS1_9scan_implILNS1_25lookback_scan_determinismE0ELb1ELb1ES3_N6thrust23THRUST_200600_302600_NS6detail15normal_iteratorINS9_10device_ptrIyEEEESE_y11max_functorIyEyEEDaPvRmT3_T4_T5_mT6_P12ihipStream_tbENKUlT_T0_E_clISt17integral_constantIbLb0EEST_IbLb1EEEEDaSP_SQ_EUlSP_E0_NS1_11comp_targetILNS1_3genE3ELNS1_11target_archE908ELNS1_3gpuE7ELNS1_3repE0EEENS1_30default_config_static_selectorELNS0_4arch9wavefront6targetE1EEEvT1_,"axG",@progbits,_ZN7rocprim17ROCPRIM_400000_NS6detail17trampoline_kernelINS0_14default_configENS1_20scan_config_selectorIyEEZZNS1_9scan_implILNS1_25lookback_scan_determinismE0ELb1ELb1ES3_N6thrust23THRUST_200600_302600_NS6detail15normal_iteratorINS9_10device_ptrIyEEEESE_y11max_functorIyEyEEDaPvRmT3_T4_T5_mT6_P12ihipStream_tbENKUlT_T0_E_clISt17integral_constantIbLb0EEST_IbLb1EEEEDaSP_SQ_EUlSP_E0_NS1_11comp_targetILNS1_3genE3ELNS1_11target_archE908ELNS1_3gpuE7ELNS1_3repE0EEENS1_30default_config_static_selectorELNS0_4arch9wavefront6targetE1EEEvT1_,comdat
.Lfunc_end2238:
	.size	_ZN7rocprim17ROCPRIM_400000_NS6detail17trampoline_kernelINS0_14default_configENS1_20scan_config_selectorIyEEZZNS1_9scan_implILNS1_25lookback_scan_determinismE0ELb1ELb1ES3_N6thrust23THRUST_200600_302600_NS6detail15normal_iteratorINS9_10device_ptrIyEEEESE_y11max_functorIyEyEEDaPvRmT3_T4_T5_mT6_P12ihipStream_tbENKUlT_T0_E_clISt17integral_constantIbLb0EEST_IbLb1EEEEDaSP_SQ_EUlSP_E0_NS1_11comp_targetILNS1_3genE3ELNS1_11target_archE908ELNS1_3gpuE7ELNS1_3repE0EEENS1_30default_config_static_selectorELNS0_4arch9wavefront6targetE1EEEvT1_, .Lfunc_end2238-_ZN7rocprim17ROCPRIM_400000_NS6detail17trampoline_kernelINS0_14default_configENS1_20scan_config_selectorIyEEZZNS1_9scan_implILNS1_25lookback_scan_determinismE0ELb1ELb1ES3_N6thrust23THRUST_200600_302600_NS6detail15normal_iteratorINS9_10device_ptrIyEEEESE_y11max_functorIyEyEEDaPvRmT3_T4_T5_mT6_P12ihipStream_tbENKUlT_T0_E_clISt17integral_constantIbLb0EEST_IbLb1EEEEDaSP_SQ_EUlSP_E0_NS1_11comp_targetILNS1_3genE3ELNS1_11target_archE908ELNS1_3gpuE7ELNS1_3repE0EEENS1_30default_config_static_selectorELNS0_4arch9wavefront6targetE1EEEvT1_
                                        ; -- End function
	.section	.AMDGPU.csdata,"",@progbits
; Kernel info:
; codeLenInByte = 0
; NumSgprs: 4
; NumVgprs: 0
; NumAgprs: 0
; TotalNumVgprs: 0
; ScratchSize: 0
; MemoryBound: 0
; FloatMode: 240
; IeeeMode: 1
; LDSByteSize: 0 bytes/workgroup (compile time only)
; SGPRBlocks: 0
; VGPRBlocks: 0
; NumSGPRsForWavesPerEU: 4
; NumVGPRsForWavesPerEU: 1
; AccumOffset: 4
; Occupancy: 8
; WaveLimiterHint : 0
; COMPUTE_PGM_RSRC2:SCRATCH_EN: 0
; COMPUTE_PGM_RSRC2:USER_SGPR: 6
; COMPUTE_PGM_RSRC2:TRAP_HANDLER: 0
; COMPUTE_PGM_RSRC2:TGID_X_EN: 1
; COMPUTE_PGM_RSRC2:TGID_Y_EN: 0
; COMPUTE_PGM_RSRC2:TGID_Z_EN: 0
; COMPUTE_PGM_RSRC2:TIDIG_COMP_CNT: 0
; COMPUTE_PGM_RSRC3_GFX90A:ACCUM_OFFSET: 0
; COMPUTE_PGM_RSRC3_GFX90A:TG_SPLIT: 0
	.section	.text._ZN7rocprim17ROCPRIM_400000_NS6detail17trampoline_kernelINS0_14default_configENS1_20scan_config_selectorIyEEZZNS1_9scan_implILNS1_25lookback_scan_determinismE0ELb1ELb1ES3_N6thrust23THRUST_200600_302600_NS6detail15normal_iteratorINS9_10device_ptrIyEEEESE_y11max_functorIyEyEEDaPvRmT3_T4_T5_mT6_P12ihipStream_tbENKUlT_T0_E_clISt17integral_constantIbLb0EEST_IbLb1EEEEDaSP_SQ_EUlSP_E0_NS1_11comp_targetILNS1_3genE2ELNS1_11target_archE906ELNS1_3gpuE6ELNS1_3repE0EEENS1_30default_config_static_selectorELNS0_4arch9wavefront6targetE1EEEvT1_,"axG",@progbits,_ZN7rocprim17ROCPRIM_400000_NS6detail17trampoline_kernelINS0_14default_configENS1_20scan_config_selectorIyEEZZNS1_9scan_implILNS1_25lookback_scan_determinismE0ELb1ELb1ES3_N6thrust23THRUST_200600_302600_NS6detail15normal_iteratorINS9_10device_ptrIyEEEESE_y11max_functorIyEyEEDaPvRmT3_T4_T5_mT6_P12ihipStream_tbENKUlT_T0_E_clISt17integral_constantIbLb0EEST_IbLb1EEEEDaSP_SQ_EUlSP_E0_NS1_11comp_targetILNS1_3genE2ELNS1_11target_archE906ELNS1_3gpuE6ELNS1_3repE0EEENS1_30default_config_static_selectorELNS0_4arch9wavefront6targetE1EEEvT1_,comdat
	.protected	_ZN7rocprim17ROCPRIM_400000_NS6detail17trampoline_kernelINS0_14default_configENS1_20scan_config_selectorIyEEZZNS1_9scan_implILNS1_25lookback_scan_determinismE0ELb1ELb1ES3_N6thrust23THRUST_200600_302600_NS6detail15normal_iteratorINS9_10device_ptrIyEEEESE_y11max_functorIyEyEEDaPvRmT3_T4_T5_mT6_P12ihipStream_tbENKUlT_T0_E_clISt17integral_constantIbLb0EEST_IbLb1EEEEDaSP_SQ_EUlSP_E0_NS1_11comp_targetILNS1_3genE2ELNS1_11target_archE906ELNS1_3gpuE6ELNS1_3repE0EEENS1_30default_config_static_selectorELNS0_4arch9wavefront6targetE1EEEvT1_ ; -- Begin function _ZN7rocprim17ROCPRIM_400000_NS6detail17trampoline_kernelINS0_14default_configENS1_20scan_config_selectorIyEEZZNS1_9scan_implILNS1_25lookback_scan_determinismE0ELb1ELb1ES3_N6thrust23THRUST_200600_302600_NS6detail15normal_iteratorINS9_10device_ptrIyEEEESE_y11max_functorIyEyEEDaPvRmT3_T4_T5_mT6_P12ihipStream_tbENKUlT_T0_E_clISt17integral_constantIbLb0EEST_IbLb1EEEEDaSP_SQ_EUlSP_E0_NS1_11comp_targetILNS1_3genE2ELNS1_11target_archE906ELNS1_3gpuE6ELNS1_3repE0EEENS1_30default_config_static_selectorELNS0_4arch9wavefront6targetE1EEEvT1_
	.globl	_ZN7rocprim17ROCPRIM_400000_NS6detail17trampoline_kernelINS0_14default_configENS1_20scan_config_selectorIyEEZZNS1_9scan_implILNS1_25lookback_scan_determinismE0ELb1ELb1ES3_N6thrust23THRUST_200600_302600_NS6detail15normal_iteratorINS9_10device_ptrIyEEEESE_y11max_functorIyEyEEDaPvRmT3_T4_T5_mT6_P12ihipStream_tbENKUlT_T0_E_clISt17integral_constantIbLb0EEST_IbLb1EEEEDaSP_SQ_EUlSP_E0_NS1_11comp_targetILNS1_3genE2ELNS1_11target_archE906ELNS1_3gpuE6ELNS1_3repE0EEENS1_30default_config_static_selectorELNS0_4arch9wavefront6targetE1EEEvT1_
	.p2align	8
	.type	_ZN7rocprim17ROCPRIM_400000_NS6detail17trampoline_kernelINS0_14default_configENS1_20scan_config_selectorIyEEZZNS1_9scan_implILNS1_25lookback_scan_determinismE0ELb1ELb1ES3_N6thrust23THRUST_200600_302600_NS6detail15normal_iteratorINS9_10device_ptrIyEEEESE_y11max_functorIyEyEEDaPvRmT3_T4_T5_mT6_P12ihipStream_tbENKUlT_T0_E_clISt17integral_constantIbLb0EEST_IbLb1EEEEDaSP_SQ_EUlSP_E0_NS1_11comp_targetILNS1_3genE2ELNS1_11target_archE906ELNS1_3gpuE6ELNS1_3repE0EEENS1_30default_config_static_selectorELNS0_4arch9wavefront6targetE1EEEvT1_,@function
_ZN7rocprim17ROCPRIM_400000_NS6detail17trampoline_kernelINS0_14default_configENS1_20scan_config_selectorIyEEZZNS1_9scan_implILNS1_25lookback_scan_determinismE0ELb1ELb1ES3_N6thrust23THRUST_200600_302600_NS6detail15normal_iteratorINS9_10device_ptrIyEEEESE_y11max_functorIyEyEEDaPvRmT3_T4_T5_mT6_P12ihipStream_tbENKUlT_T0_E_clISt17integral_constantIbLb0EEST_IbLb1EEEEDaSP_SQ_EUlSP_E0_NS1_11comp_targetILNS1_3genE2ELNS1_11target_archE906ELNS1_3gpuE6ELNS1_3repE0EEENS1_30default_config_static_selectorELNS0_4arch9wavefront6targetE1EEEvT1_: ; @_ZN7rocprim17ROCPRIM_400000_NS6detail17trampoline_kernelINS0_14default_configENS1_20scan_config_selectorIyEEZZNS1_9scan_implILNS1_25lookback_scan_determinismE0ELb1ELb1ES3_N6thrust23THRUST_200600_302600_NS6detail15normal_iteratorINS9_10device_ptrIyEEEESE_y11max_functorIyEyEEDaPvRmT3_T4_T5_mT6_P12ihipStream_tbENKUlT_T0_E_clISt17integral_constantIbLb0EEST_IbLb1EEEEDaSP_SQ_EUlSP_E0_NS1_11comp_targetILNS1_3genE2ELNS1_11target_archE906ELNS1_3gpuE6ELNS1_3repE0EEENS1_30default_config_static_selectorELNS0_4arch9wavefront6targetE1EEEvT1_
; %bb.0:
	.section	.rodata,"a",@progbits
	.p2align	6, 0x0
	.amdhsa_kernel _ZN7rocprim17ROCPRIM_400000_NS6detail17trampoline_kernelINS0_14default_configENS1_20scan_config_selectorIyEEZZNS1_9scan_implILNS1_25lookback_scan_determinismE0ELb1ELb1ES3_N6thrust23THRUST_200600_302600_NS6detail15normal_iteratorINS9_10device_ptrIyEEEESE_y11max_functorIyEyEEDaPvRmT3_T4_T5_mT6_P12ihipStream_tbENKUlT_T0_E_clISt17integral_constantIbLb0EEST_IbLb1EEEEDaSP_SQ_EUlSP_E0_NS1_11comp_targetILNS1_3genE2ELNS1_11target_archE906ELNS1_3gpuE6ELNS1_3repE0EEENS1_30default_config_static_selectorELNS0_4arch9wavefront6targetE1EEEvT1_
		.amdhsa_group_segment_fixed_size 0
		.amdhsa_private_segment_fixed_size 0
		.amdhsa_kernarg_size 40
		.amdhsa_user_sgpr_count 6
		.amdhsa_user_sgpr_private_segment_buffer 1
		.amdhsa_user_sgpr_dispatch_ptr 0
		.amdhsa_user_sgpr_queue_ptr 0
		.amdhsa_user_sgpr_kernarg_segment_ptr 1
		.amdhsa_user_sgpr_dispatch_id 0
		.amdhsa_user_sgpr_flat_scratch_init 0
		.amdhsa_user_sgpr_kernarg_preload_length 0
		.amdhsa_user_sgpr_kernarg_preload_offset 0
		.amdhsa_user_sgpr_private_segment_size 0
		.amdhsa_uses_dynamic_stack 0
		.amdhsa_system_sgpr_private_segment_wavefront_offset 0
		.amdhsa_system_sgpr_workgroup_id_x 1
		.amdhsa_system_sgpr_workgroup_id_y 0
		.amdhsa_system_sgpr_workgroup_id_z 0
		.amdhsa_system_sgpr_workgroup_info 0
		.amdhsa_system_vgpr_workitem_id 0
		.amdhsa_next_free_vgpr 1
		.amdhsa_next_free_sgpr 0
		.amdhsa_accum_offset 4
		.amdhsa_reserve_vcc 0
		.amdhsa_reserve_flat_scratch 0
		.amdhsa_float_round_mode_32 0
		.amdhsa_float_round_mode_16_64 0
		.amdhsa_float_denorm_mode_32 3
		.amdhsa_float_denorm_mode_16_64 3
		.amdhsa_dx10_clamp 1
		.amdhsa_ieee_mode 1
		.amdhsa_fp16_overflow 0
		.amdhsa_tg_split 0
		.amdhsa_exception_fp_ieee_invalid_op 0
		.amdhsa_exception_fp_denorm_src 0
		.amdhsa_exception_fp_ieee_div_zero 0
		.amdhsa_exception_fp_ieee_overflow 0
		.amdhsa_exception_fp_ieee_underflow 0
		.amdhsa_exception_fp_ieee_inexact 0
		.amdhsa_exception_int_div_zero 0
	.end_amdhsa_kernel
	.section	.text._ZN7rocprim17ROCPRIM_400000_NS6detail17trampoline_kernelINS0_14default_configENS1_20scan_config_selectorIyEEZZNS1_9scan_implILNS1_25lookback_scan_determinismE0ELb1ELb1ES3_N6thrust23THRUST_200600_302600_NS6detail15normal_iteratorINS9_10device_ptrIyEEEESE_y11max_functorIyEyEEDaPvRmT3_T4_T5_mT6_P12ihipStream_tbENKUlT_T0_E_clISt17integral_constantIbLb0EEST_IbLb1EEEEDaSP_SQ_EUlSP_E0_NS1_11comp_targetILNS1_3genE2ELNS1_11target_archE906ELNS1_3gpuE6ELNS1_3repE0EEENS1_30default_config_static_selectorELNS0_4arch9wavefront6targetE1EEEvT1_,"axG",@progbits,_ZN7rocprim17ROCPRIM_400000_NS6detail17trampoline_kernelINS0_14default_configENS1_20scan_config_selectorIyEEZZNS1_9scan_implILNS1_25lookback_scan_determinismE0ELb1ELb1ES3_N6thrust23THRUST_200600_302600_NS6detail15normal_iteratorINS9_10device_ptrIyEEEESE_y11max_functorIyEyEEDaPvRmT3_T4_T5_mT6_P12ihipStream_tbENKUlT_T0_E_clISt17integral_constantIbLb0EEST_IbLb1EEEEDaSP_SQ_EUlSP_E0_NS1_11comp_targetILNS1_3genE2ELNS1_11target_archE906ELNS1_3gpuE6ELNS1_3repE0EEENS1_30default_config_static_selectorELNS0_4arch9wavefront6targetE1EEEvT1_,comdat
.Lfunc_end2239:
	.size	_ZN7rocprim17ROCPRIM_400000_NS6detail17trampoline_kernelINS0_14default_configENS1_20scan_config_selectorIyEEZZNS1_9scan_implILNS1_25lookback_scan_determinismE0ELb1ELb1ES3_N6thrust23THRUST_200600_302600_NS6detail15normal_iteratorINS9_10device_ptrIyEEEESE_y11max_functorIyEyEEDaPvRmT3_T4_T5_mT6_P12ihipStream_tbENKUlT_T0_E_clISt17integral_constantIbLb0EEST_IbLb1EEEEDaSP_SQ_EUlSP_E0_NS1_11comp_targetILNS1_3genE2ELNS1_11target_archE906ELNS1_3gpuE6ELNS1_3repE0EEENS1_30default_config_static_selectorELNS0_4arch9wavefront6targetE1EEEvT1_, .Lfunc_end2239-_ZN7rocprim17ROCPRIM_400000_NS6detail17trampoline_kernelINS0_14default_configENS1_20scan_config_selectorIyEEZZNS1_9scan_implILNS1_25lookback_scan_determinismE0ELb1ELb1ES3_N6thrust23THRUST_200600_302600_NS6detail15normal_iteratorINS9_10device_ptrIyEEEESE_y11max_functorIyEyEEDaPvRmT3_T4_T5_mT6_P12ihipStream_tbENKUlT_T0_E_clISt17integral_constantIbLb0EEST_IbLb1EEEEDaSP_SQ_EUlSP_E0_NS1_11comp_targetILNS1_3genE2ELNS1_11target_archE906ELNS1_3gpuE6ELNS1_3repE0EEENS1_30default_config_static_selectorELNS0_4arch9wavefront6targetE1EEEvT1_
                                        ; -- End function
	.section	.AMDGPU.csdata,"",@progbits
; Kernel info:
; codeLenInByte = 0
; NumSgprs: 4
; NumVgprs: 0
; NumAgprs: 0
; TotalNumVgprs: 0
; ScratchSize: 0
; MemoryBound: 0
; FloatMode: 240
; IeeeMode: 1
; LDSByteSize: 0 bytes/workgroup (compile time only)
; SGPRBlocks: 0
; VGPRBlocks: 0
; NumSGPRsForWavesPerEU: 4
; NumVGPRsForWavesPerEU: 1
; AccumOffset: 4
; Occupancy: 8
; WaveLimiterHint : 0
; COMPUTE_PGM_RSRC2:SCRATCH_EN: 0
; COMPUTE_PGM_RSRC2:USER_SGPR: 6
; COMPUTE_PGM_RSRC2:TRAP_HANDLER: 0
; COMPUTE_PGM_RSRC2:TGID_X_EN: 1
; COMPUTE_PGM_RSRC2:TGID_Y_EN: 0
; COMPUTE_PGM_RSRC2:TGID_Z_EN: 0
; COMPUTE_PGM_RSRC2:TIDIG_COMP_CNT: 0
; COMPUTE_PGM_RSRC3_GFX90A:ACCUM_OFFSET: 0
; COMPUTE_PGM_RSRC3_GFX90A:TG_SPLIT: 0
	.section	.text._ZN7rocprim17ROCPRIM_400000_NS6detail17trampoline_kernelINS0_14default_configENS1_20scan_config_selectorIyEEZZNS1_9scan_implILNS1_25lookback_scan_determinismE0ELb1ELb1ES3_N6thrust23THRUST_200600_302600_NS6detail15normal_iteratorINS9_10device_ptrIyEEEESE_y11max_functorIyEyEEDaPvRmT3_T4_T5_mT6_P12ihipStream_tbENKUlT_T0_E_clISt17integral_constantIbLb0EEST_IbLb1EEEEDaSP_SQ_EUlSP_E0_NS1_11comp_targetILNS1_3genE10ELNS1_11target_archE1201ELNS1_3gpuE5ELNS1_3repE0EEENS1_30default_config_static_selectorELNS0_4arch9wavefront6targetE1EEEvT1_,"axG",@progbits,_ZN7rocprim17ROCPRIM_400000_NS6detail17trampoline_kernelINS0_14default_configENS1_20scan_config_selectorIyEEZZNS1_9scan_implILNS1_25lookback_scan_determinismE0ELb1ELb1ES3_N6thrust23THRUST_200600_302600_NS6detail15normal_iteratorINS9_10device_ptrIyEEEESE_y11max_functorIyEyEEDaPvRmT3_T4_T5_mT6_P12ihipStream_tbENKUlT_T0_E_clISt17integral_constantIbLb0EEST_IbLb1EEEEDaSP_SQ_EUlSP_E0_NS1_11comp_targetILNS1_3genE10ELNS1_11target_archE1201ELNS1_3gpuE5ELNS1_3repE0EEENS1_30default_config_static_selectorELNS0_4arch9wavefront6targetE1EEEvT1_,comdat
	.protected	_ZN7rocprim17ROCPRIM_400000_NS6detail17trampoline_kernelINS0_14default_configENS1_20scan_config_selectorIyEEZZNS1_9scan_implILNS1_25lookback_scan_determinismE0ELb1ELb1ES3_N6thrust23THRUST_200600_302600_NS6detail15normal_iteratorINS9_10device_ptrIyEEEESE_y11max_functorIyEyEEDaPvRmT3_T4_T5_mT6_P12ihipStream_tbENKUlT_T0_E_clISt17integral_constantIbLb0EEST_IbLb1EEEEDaSP_SQ_EUlSP_E0_NS1_11comp_targetILNS1_3genE10ELNS1_11target_archE1201ELNS1_3gpuE5ELNS1_3repE0EEENS1_30default_config_static_selectorELNS0_4arch9wavefront6targetE1EEEvT1_ ; -- Begin function _ZN7rocprim17ROCPRIM_400000_NS6detail17trampoline_kernelINS0_14default_configENS1_20scan_config_selectorIyEEZZNS1_9scan_implILNS1_25lookback_scan_determinismE0ELb1ELb1ES3_N6thrust23THRUST_200600_302600_NS6detail15normal_iteratorINS9_10device_ptrIyEEEESE_y11max_functorIyEyEEDaPvRmT3_T4_T5_mT6_P12ihipStream_tbENKUlT_T0_E_clISt17integral_constantIbLb0EEST_IbLb1EEEEDaSP_SQ_EUlSP_E0_NS1_11comp_targetILNS1_3genE10ELNS1_11target_archE1201ELNS1_3gpuE5ELNS1_3repE0EEENS1_30default_config_static_selectorELNS0_4arch9wavefront6targetE1EEEvT1_
	.globl	_ZN7rocprim17ROCPRIM_400000_NS6detail17trampoline_kernelINS0_14default_configENS1_20scan_config_selectorIyEEZZNS1_9scan_implILNS1_25lookback_scan_determinismE0ELb1ELb1ES3_N6thrust23THRUST_200600_302600_NS6detail15normal_iteratorINS9_10device_ptrIyEEEESE_y11max_functorIyEyEEDaPvRmT3_T4_T5_mT6_P12ihipStream_tbENKUlT_T0_E_clISt17integral_constantIbLb0EEST_IbLb1EEEEDaSP_SQ_EUlSP_E0_NS1_11comp_targetILNS1_3genE10ELNS1_11target_archE1201ELNS1_3gpuE5ELNS1_3repE0EEENS1_30default_config_static_selectorELNS0_4arch9wavefront6targetE1EEEvT1_
	.p2align	8
	.type	_ZN7rocprim17ROCPRIM_400000_NS6detail17trampoline_kernelINS0_14default_configENS1_20scan_config_selectorIyEEZZNS1_9scan_implILNS1_25lookback_scan_determinismE0ELb1ELb1ES3_N6thrust23THRUST_200600_302600_NS6detail15normal_iteratorINS9_10device_ptrIyEEEESE_y11max_functorIyEyEEDaPvRmT3_T4_T5_mT6_P12ihipStream_tbENKUlT_T0_E_clISt17integral_constantIbLb0EEST_IbLb1EEEEDaSP_SQ_EUlSP_E0_NS1_11comp_targetILNS1_3genE10ELNS1_11target_archE1201ELNS1_3gpuE5ELNS1_3repE0EEENS1_30default_config_static_selectorELNS0_4arch9wavefront6targetE1EEEvT1_,@function
_ZN7rocprim17ROCPRIM_400000_NS6detail17trampoline_kernelINS0_14default_configENS1_20scan_config_selectorIyEEZZNS1_9scan_implILNS1_25lookback_scan_determinismE0ELb1ELb1ES3_N6thrust23THRUST_200600_302600_NS6detail15normal_iteratorINS9_10device_ptrIyEEEESE_y11max_functorIyEyEEDaPvRmT3_T4_T5_mT6_P12ihipStream_tbENKUlT_T0_E_clISt17integral_constantIbLb0EEST_IbLb1EEEEDaSP_SQ_EUlSP_E0_NS1_11comp_targetILNS1_3genE10ELNS1_11target_archE1201ELNS1_3gpuE5ELNS1_3repE0EEENS1_30default_config_static_selectorELNS0_4arch9wavefront6targetE1EEEvT1_: ; @_ZN7rocprim17ROCPRIM_400000_NS6detail17trampoline_kernelINS0_14default_configENS1_20scan_config_selectorIyEEZZNS1_9scan_implILNS1_25lookback_scan_determinismE0ELb1ELb1ES3_N6thrust23THRUST_200600_302600_NS6detail15normal_iteratorINS9_10device_ptrIyEEEESE_y11max_functorIyEyEEDaPvRmT3_T4_T5_mT6_P12ihipStream_tbENKUlT_T0_E_clISt17integral_constantIbLb0EEST_IbLb1EEEEDaSP_SQ_EUlSP_E0_NS1_11comp_targetILNS1_3genE10ELNS1_11target_archE1201ELNS1_3gpuE5ELNS1_3repE0EEENS1_30default_config_static_selectorELNS0_4arch9wavefront6targetE1EEEvT1_
; %bb.0:
	.section	.rodata,"a",@progbits
	.p2align	6, 0x0
	.amdhsa_kernel _ZN7rocprim17ROCPRIM_400000_NS6detail17trampoline_kernelINS0_14default_configENS1_20scan_config_selectorIyEEZZNS1_9scan_implILNS1_25lookback_scan_determinismE0ELb1ELb1ES3_N6thrust23THRUST_200600_302600_NS6detail15normal_iteratorINS9_10device_ptrIyEEEESE_y11max_functorIyEyEEDaPvRmT3_T4_T5_mT6_P12ihipStream_tbENKUlT_T0_E_clISt17integral_constantIbLb0EEST_IbLb1EEEEDaSP_SQ_EUlSP_E0_NS1_11comp_targetILNS1_3genE10ELNS1_11target_archE1201ELNS1_3gpuE5ELNS1_3repE0EEENS1_30default_config_static_selectorELNS0_4arch9wavefront6targetE1EEEvT1_
		.amdhsa_group_segment_fixed_size 0
		.amdhsa_private_segment_fixed_size 0
		.amdhsa_kernarg_size 40
		.amdhsa_user_sgpr_count 6
		.amdhsa_user_sgpr_private_segment_buffer 1
		.amdhsa_user_sgpr_dispatch_ptr 0
		.amdhsa_user_sgpr_queue_ptr 0
		.amdhsa_user_sgpr_kernarg_segment_ptr 1
		.amdhsa_user_sgpr_dispatch_id 0
		.amdhsa_user_sgpr_flat_scratch_init 0
		.amdhsa_user_sgpr_kernarg_preload_length 0
		.amdhsa_user_sgpr_kernarg_preload_offset 0
		.amdhsa_user_sgpr_private_segment_size 0
		.amdhsa_uses_dynamic_stack 0
		.amdhsa_system_sgpr_private_segment_wavefront_offset 0
		.amdhsa_system_sgpr_workgroup_id_x 1
		.amdhsa_system_sgpr_workgroup_id_y 0
		.amdhsa_system_sgpr_workgroup_id_z 0
		.amdhsa_system_sgpr_workgroup_info 0
		.amdhsa_system_vgpr_workitem_id 0
		.amdhsa_next_free_vgpr 1
		.amdhsa_next_free_sgpr 0
		.amdhsa_accum_offset 4
		.amdhsa_reserve_vcc 0
		.amdhsa_reserve_flat_scratch 0
		.amdhsa_float_round_mode_32 0
		.amdhsa_float_round_mode_16_64 0
		.amdhsa_float_denorm_mode_32 3
		.amdhsa_float_denorm_mode_16_64 3
		.amdhsa_dx10_clamp 1
		.amdhsa_ieee_mode 1
		.amdhsa_fp16_overflow 0
		.amdhsa_tg_split 0
		.amdhsa_exception_fp_ieee_invalid_op 0
		.amdhsa_exception_fp_denorm_src 0
		.amdhsa_exception_fp_ieee_div_zero 0
		.amdhsa_exception_fp_ieee_overflow 0
		.amdhsa_exception_fp_ieee_underflow 0
		.amdhsa_exception_fp_ieee_inexact 0
		.amdhsa_exception_int_div_zero 0
	.end_amdhsa_kernel
	.section	.text._ZN7rocprim17ROCPRIM_400000_NS6detail17trampoline_kernelINS0_14default_configENS1_20scan_config_selectorIyEEZZNS1_9scan_implILNS1_25lookback_scan_determinismE0ELb1ELb1ES3_N6thrust23THRUST_200600_302600_NS6detail15normal_iteratorINS9_10device_ptrIyEEEESE_y11max_functorIyEyEEDaPvRmT3_T4_T5_mT6_P12ihipStream_tbENKUlT_T0_E_clISt17integral_constantIbLb0EEST_IbLb1EEEEDaSP_SQ_EUlSP_E0_NS1_11comp_targetILNS1_3genE10ELNS1_11target_archE1201ELNS1_3gpuE5ELNS1_3repE0EEENS1_30default_config_static_selectorELNS0_4arch9wavefront6targetE1EEEvT1_,"axG",@progbits,_ZN7rocprim17ROCPRIM_400000_NS6detail17trampoline_kernelINS0_14default_configENS1_20scan_config_selectorIyEEZZNS1_9scan_implILNS1_25lookback_scan_determinismE0ELb1ELb1ES3_N6thrust23THRUST_200600_302600_NS6detail15normal_iteratorINS9_10device_ptrIyEEEESE_y11max_functorIyEyEEDaPvRmT3_T4_T5_mT6_P12ihipStream_tbENKUlT_T0_E_clISt17integral_constantIbLb0EEST_IbLb1EEEEDaSP_SQ_EUlSP_E0_NS1_11comp_targetILNS1_3genE10ELNS1_11target_archE1201ELNS1_3gpuE5ELNS1_3repE0EEENS1_30default_config_static_selectorELNS0_4arch9wavefront6targetE1EEEvT1_,comdat
.Lfunc_end2240:
	.size	_ZN7rocprim17ROCPRIM_400000_NS6detail17trampoline_kernelINS0_14default_configENS1_20scan_config_selectorIyEEZZNS1_9scan_implILNS1_25lookback_scan_determinismE0ELb1ELb1ES3_N6thrust23THRUST_200600_302600_NS6detail15normal_iteratorINS9_10device_ptrIyEEEESE_y11max_functorIyEyEEDaPvRmT3_T4_T5_mT6_P12ihipStream_tbENKUlT_T0_E_clISt17integral_constantIbLb0EEST_IbLb1EEEEDaSP_SQ_EUlSP_E0_NS1_11comp_targetILNS1_3genE10ELNS1_11target_archE1201ELNS1_3gpuE5ELNS1_3repE0EEENS1_30default_config_static_selectorELNS0_4arch9wavefront6targetE1EEEvT1_, .Lfunc_end2240-_ZN7rocprim17ROCPRIM_400000_NS6detail17trampoline_kernelINS0_14default_configENS1_20scan_config_selectorIyEEZZNS1_9scan_implILNS1_25lookback_scan_determinismE0ELb1ELb1ES3_N6thrust23THRUST_200600_302600_NS6detail15normal_iteratorINS9_10device_ptrIyEEEESE_y11max_functorIyEyEEDaPvRmT3_T4_T5_mT6_P12ihipStream_tbENKUlT_T0_E_clISt17integral_constantIbLb0EEST_IbLb1EEEEDaSP_SQ_EUlSP_E0_NS1_11comp_targetILNS1_3genE10ELNS1_11target_archE1201ELNS1_3gpuE5ELNS1_3repE0EEENS1_30default_config_static_selectorELNS0_4arch9wavefront6targetE1EEEvT1_
                                        ; -- End function
	.section	.AMDGPU.csdata,"",@progbits
; Kernel info:
; codeLenInByte = 0
; NumSgprs: 4
; NumVgprs: 0
; NumAgprs: 0
; TotalNumVgprs: 0
; ScratchSize: 0
; MemoryBound: 0
; FloatMode: 240
; IeeeMode: 1
; LDSByteSize: 0 bytes/workgroup (compile time only)
; SGPRBlocks: 0
; VGPRBlocks: 0
; NumSGPRsForWavesPerEU: 4
; NumVGPRsForWavesPerEU: 1
; AccumOffset: 4
; Occupancy: 8
; WaveLimiterHint : 0
; COMPUTE_PGM_RSRC2:SCRATCH_EN: 0
; COMPUTE_PGM_RSRC2:USER_SGPR: 6
; COMPUTE_PGM_RSRC2:TRAP_HANDLER: 0
; COMPUTE_PGM_RSRC2:TGID_X_EN: 1
; COMPUTE_PGM_RSRC2:TGID_Y_EN: 0
; COMPUTE_PGM_RSRC2:TGID_Z_EN: 0
; COMPUTE_PGM_RSRC2:TIDIG_COMP_CNT: 0
; COMPUTE_PGM_RSRC3_GFX90A:ACCUM_OFFSET: 0
; COMPUTE_PGM_RSRC3_GFX90A:TG_SPLIT: 0
	.section	.text._ZN7rocprim17ROCPRIM_400000_NS6detail17trampoline_kernelINS0_14default_configENS1_20scan_config_selectorIyEEZZNS1_9scan_implILNS1_25lookback_scan_determinismE0ELb1ELb1ES3_N6thrust23THRUST_200600_302600_NS6detail15normal_iteratorINS9_10device_ptrIyEEEESE_y11max_functorIyEyEEDaPvRmT3_T4_T5_mT6_P12ihipStream_tbENKUlT_T0_E_clISt17integral_constantIbLb0EEST_IbLb1EEEEDaSP_SQ_EUlSP_E0_NS1_11comp_targetILNS1_3genE10ELNS1_11target_archE1200ELNS1_3gpuE4ELNS1_3repE0EEENS1_30default_config_static_selectorELNS0_4arch9wavefront6targetE1EEEvT1_,"axG",@progbits,_ZN7rocprim17ROCPRIM_400000_NS6detail17trampoline_kernelINS0_14default_configENS1_20scan_config_selectorIyEEZZNS1_9scan_implILNS1_25lookback_scan_determinismE0ELb1ELb1ES3_N6thrust23THRUST_200600_302600_NS6detail15normal_iteratorINS9_10device_ptrIyEEEESE_y11max_functorIyEyEEDaPvRmT3_T4_T5_mT6_P12ihipStream_tbENKUlT_T0_E_clISt17integral_constantIbLb0EEST_IbLb1EEEEDaSP_SQ_EUlSP_E0_NS1_11comp_targetILNS1_3genE10ELNS1_11target_archE1200ELNS1_3gpuE4ELNS1_3repE0EEENS1_30default_config_static_selectorELNS0_4arch9wavefront6targetE1EEEvT1_,comdat
	.protected	_ZN7rocprim17ROCPRIM_400000_NS6detail17trampoline_kernelINS0_14default_configENS1_20scan_config_selectorIyEEZZNS1_9scan_implILNS1_25lookback_scan_determinismE0ELb1ELb1ES3_N6thrust23THRUST_200600_302600_NS6detail15normal_iteratorINS9_10device_ptrIyEEEESE_y11max_functorIyEyEEDaPvRmT3_T4_T5_mT6_P12ihipStream_tbENKUlT_T0_E_clISt17integral_constantIbLb0EEST_IbLb1EEEEDaSP_SQ_EUlSP_E0_NS1_11comp_targetILNS1_3genE10ELNS1_11target_archE1200ELNS1_3gpuE4ELNS1_3repE0EEENS1_30default_config_static_selectorELNS0_4arch9wavefront6targetE1EEEvT1_ ; -- Begin function _ZN7rocprim17ROCPRIM_400000_NS6detail17trampoline_kernelINS0_14default_configENS1_20scan_config_selectorIyEEZZNS1_9scan_implILNS1_25lookback_scan_determinismE0ELb1ELb1ES3_N6thrust23THRUST_200600_302600_NS6detail15normal_iteratorINS9_10device_ptrIyEEEESE_y11max_functorIyEyEEDaPvRmT3_T4_T5_mT6_P12ihipStream_tbENKUlT_T0_E_clISt17integral_constantIbLb0EEST_IbLb1EEEEDaSP_SQ_EUlSP_E0_NS1_11comp_targetILNS1_3genE10ELNS1_11target_archE1200ELNS1_3gpuE4ELNS1_3repE0EEENS1_30default_config_static_selectorELNS0_4arch9wavefront6targetE1EEEvT1_
	.globl	_ZN7rocprim17ROCPRIM_400000_NS6detail17trampoline_kernelINS0_14default_configENS1_20scan_config_selectorIyEEZZNS1_9scan_implILNS1_25lookback_scan_determinismE0ELb1ELb1ES3_N6thrust23THRUST_200600_302600_NS6detail15normal_iteratorINS9_10device_ptrIyEEEESE_y11max_functorIyEyEEDaPvRmT3_T4_T5_mT6_P12ihipStream_tbENKUlT_T0_E_clISt17integral_constantIbLb0EEST_IbLb1EEEEDaSP_SQ_EUlSP_E0_NS1_11comp_targetILNS1_3genE10ELNS1_11target_archE1200ELNS1_3gpuE4ELNS1_3repE0EEENS1_30default_config_static_selectorELNS0_4arch9wavefront6targetE1EEEvT1_
	.p2align	8
	.type	_ZN7rocprim17ROCPRIM_400000_NS6detail17trampoline_kernelINS0_14default_configENS1_20scan_config_selectorIyEEZZNS1_9scan_implILNS1_25lookback_scan_determinismE0ELb1ELb1ES3_N6thrust23THRUST_200600_302600_NS6detail15normal_iteratorINS9_10device_ptrIyEEEESE_y11max_functorIyEyEEDaPvRmT3_T4_T5_mT6_P12ihipStream_tbENKUlT_T0_E_clISt17integral_constantIbLb0EEST_IbLb1EEEEDaSP_SQ_EUlSP_E0_NS1_11comp_targetILNS1_3genE10ELNS1_11target_archE1200ELNS1_3gpuE4ELNS1_3repE0EEENS1_30default_config_static_selectorELNS0_4arch9wavefront6targetE1EEEvT1_,@function
_ZN7rocprim17ROCPRIM_400000_NS6detail17trampoline_kernelINS0_14default_configENS1_20scan_config_selectorIyEEZZNS1_9scan_implILNS1_25lookback_scan_determinismE0ELb1ELb1ES3_N6thrust23THRUST_200600_302600_NS6detail15normal_iteratorINS9_10device_ptrIyEEEESE_y11max_functorIyEyEEDaPvRmT3_T4_T5_mT6_P12ihipStream_tbENKUlT_T0_E_clISt17integral_constantIbLb0EEST_IbLb1EEEEDaSP_SQ_EUlSP_E0_NS1_11comp_targetILNS1_3genE10ELNS1_11target_archE1200ELNS1_3gpuE4ELNS1_3repE0EEENS1_30default_config_static_selectorELNS0_4arch9wavefront6targetE1EEEvT1_: ; @_ZN7rocprim17ROCPRIM_400000_NS6detail17trampoline_kernelINS0_14default_configENS1_20scan_config_selectorIyEEZZNS1_9scan_implILNS1_25lookback_scan_determinismE0ELb1ELb1ES3_N6thrust23THRUST_200600_302600_NS6detail15normal_iteratorINS9_10device_ptrIyEEEESE_y11max_functorIyEyEEDaPvRmT3_T4_T5_mT6_P12ihipStream_tbENKUlT_T0_E_clISt17integral_constantIbLb0EEST_IbLb1EEEEDaSP_SQ_EUlSP_E0_NS1_11comp_targetILNS1_3genE10ELNS1_11target_archE1200ELNS1_3gpuE4ELNS1_3repE0EEENS1_30default_config_static_selectorELNS0_4arch9wavefront6targetE1EEEvT1_
; %bb.0:
	.section	.rodata,"a",@progbits
	.p2align	6, 0x0
	.amdhsa_kernel _ZN7rocprim17ROCPRIM_400000_NS6detail17trampoline_kernelINS0_14default_configENS1_20scan_config_selectorIyEEZZNS1_9scan_implILNS1_25lookback_scan_determinismE0ELb1ELb1ES3_N6thrust23THRUST_200600_302600_NS6detail15normal_iteratorINS9_10device_ptrIyEEEESE_y11max_functorIyEyEEDaPvRmT3_T4_T5_mT6_P12ihipStream_tbENKUlT_T0_E_clISt17integral_constantIbLb0EEST_IbLb1EEEEDaSP_SQ_EUlSP_E0_NS1_11comp_targetILNS1_3genE10ELNS1_11target_archE1200ELNS1_3gpuE4ELNS1_3repE0EEENS1_30default_config_static_selectorELNS0_4arch9wavefront6targetE1EEEvT1_
		.amdhsa_group_segment_fixed_size 0
		.amdhsa_private_segment_fixed_size 0
		.amdhsa_kernarg_size 40
		.amdhsa_user_sgpr_count 6
		.amdhsa_user_sgpr_private_segment_buffer 1
		.amdhsa_user_sgpr_dispatch_ptr 0
		.amdhsa_user_sgpr_queue_ptr 0
		.amdhsa_user_sgpr_kernarg_segment_ptr 1
		.amdhsa_user_sgpr_dispatch_id 0
		.amdhsa_user_sgpr_flat_scratch_init 0
		.amdhsa_user_sgpr_kernarg_preload_length 0
		.amdhsa_user_sgpr_kernarg_preload_offset 0
		.amdhsa_user_sgpr_private_segment_size 0
		.amdhsa_uses_dynamic_stack 0
		.amdhsa_system_sgpr_private_segment_wavefront_offset 0
		.amdhsa_system_sgpr_workgroup_id_x 1
		.amdhsa_system_sgpr_workgroup_id_y 0
		.amdhsa_system_sgpr_workgroup_id_z 0
		.amdhsa_system_sgpr_workgroup_info 0
		.amdhsa_system_vgpr_workitem_id 0
		.amdhsa_next_free_vgpr 1
		.amdhsa_next_free_sgpr 0
		.amdhsa_accum_offset 4
		.amdhsa_reserve_vcc 0
		.amdhsa_reserve_flat_scratch 0
		.amdhsa_float_round_mode_32 0
		.amdhsa_float_round_mode_16_64 0
		.amdhsa_float_denorm_mode_32 3
		.amdhsa_float_denorm_mode_16_64 3
		.amdhsa_dx10_clamp 1
		.amdhsa_ieee_mode 1
		.amdhsa_fp16_overflow 0
		.amdhsa_tg_split 0
		.amdhsa_exception_fp_ieee_invalid_op 0
		.amdhsa_exception_fp_denorm_src 0
		.amdhsa_exception_fp_ieee_div_zero 0
		.amdhsa_exception_fp_ieee_overflow 0
		.amdhsa_exception_fp_ieee_underflow 0
		.amdhsa_exception_fp_ieee_inexact 0
		.amdhsa_exception_int_div_zero 0
	.end_amdhsa_kernel
	.section	.text._ZN7rocprim17ROCPRIM_400000_NS6detail17trampoline_kernelINS0_14default_configENS1_20scan_config_selectorIyEEZZNS1_9scan_implILNS1_25lookback_scan_determinismE0ELb1ELb1ES3_N6thrust23THRUST_200600_302600_NS6detail15normal_iteratorINS9_10device_ptrIyEEEESE_y11max_functorIyEyEEDaPvRmT3_T4_T5_mT6_P12ihipStream_tbENKUlT_T0_E_clISt17integral_constantIbLb0EEST_IbLb1EEEEDaSP_SQ_EUlSP_E0_NS1_11comp_targetILNS1_3genE10ELNS1_11target_archE1200ELNS1_3gpuE4ELNS1_3repE0EEENS1_30default_config_static_selectorELNS0_4arch9wavefront6targetE1EEEvT1_,"axG",@progbits,_ZN7rocprim17ROCPRIM_400000_NS6detail17trampoline_kernelINS0_14default_configENS1_20scan_config_selectorIyEEZZNS1_9scan_implILNS1_25lookback_scan_determinismE0ELb1ELb1ES3_N6thrust23THRUST_200600_302600_NS6detail15normal_iteratorINS9_10device_ptrIyEEEESE_y11max_functorIyEyEEDaPvRmT3_T4_T5_mT6_P12ihipStream_tbENKUlT_T0_E_clISt17integral_constantIbLb0EEST_IbLb1EEEEDaSP_SQ_EUlSP_E0_NS1_11comp_targetILNS1_3genE10ELNS1_11target_archE1200ELNS1_3gpuE4ELNS1_3repE0EEENS1_30default_config_static_selectorELNS0_4arch9wavefront6targetE1EEEvT1_,comdat
.Lfunc_end2241:
	.size	_ZN7rocprim17ROCPRIM_400000_NS6detail17trampoline_kernelINS0_14default_configENS1_20scan_config_selectorIyEEZZNS1_9scan_implILNS1_25lookback_scan_determinismE0ELb1ELb1ES3_N6thrust23THRUST_200600_302600_NS6detail15normal_iteratorINS9_10device_ptrIyEEEESE_y11max_functorIyEyEEDaPvRmT3_T4_T5_mT6_P12ihipStream_tbENKUlT_T0_E_clISt17integral_constantIbLb0EEST_IbLb1EEEEDaSP_SQ_EUlSP_E0_NS1_11comp_targetILNS1_3genE10ELNS1_11target_archE1200ELNS1_3gpuE4ELNS1_3repE0EEENS1_30default_config_static_selectorELNS0_4arch9wavefront6targetE1EEEvT1_, .Lfunc_end2241-_ZN7rocprim17ROCPRIM_400000_NS6detail17trampoline_kernelINS0_14default_configENS1_20scan_config_selectorIyEEZZNS1_9scan_implILNS1_25lookback_scan_determinismE0ELb1ELb1ES3_N6thrust23THRUST_200600_302600_NS6detail15normal_iteratorINS9_10device_ptrIyEEEESE_y11max_functorIyEyEEDaPvRmT3_T4_T5_mT6_P12ihipStream_tbENKUlT_T0_E_clISt17integral_constantIbLb0EEST_IbLb1EEEEDaSP_SQ_EUlSP_E0_NS1_11comp_targetILNS1_3genE10ELNS1_11target_archE1200ELNS1_3gpuE4ELNS1_3repE0EEENS1_30default_config_static_selectorELNS0_4arch9wavefront6targetE1EEEvT1_
                                        ; -- End function
	.section	.AMDGPU.csdata,"",@progbits
; Kernel info:
; codeLenInByte = 0
; NumSgprs: 4
; NumVgprs: 0
; NumAgprs: 0
; TotalNumVgprs: 0
; ScratchSize: 0
; MemoryBound: 0
; FloatMode: 240
; IeeeMode: 1
; LDSByteSize: 0 bytes/workgroup (compile time only)
; SGPRBlocks: 0
; VGPRBlocks: 0
; NumSGPRsForWavesPerEU: 4
; NumVGPRsForWavesPerEU: 1
; AccumOffset: 4
; Occupancy: 8
; WaveLimiterHint : 0
; COMPUTE_PGM_RSRC2:SCRATCH_EN: 0
; COMPUTE_PGM_RSRC2:USER_SGPR: 6
; COMPUTE_PGM_RSRC2:TRAP_HANDLER: 0
; COMPUTE_PGM_RSRC2:TGID_X_EN: 1
; COMPUTE_PGM_RSRC2:TGID_Y_EN: 0
; COMPUTE_PGM_RSRC2:TGID_Z_EN: 0
; COMPUTE_PGM_RSRC2:TIDIG_COMP_CNT: 0
; COMPUTE_PGM_RSRC3_GFX90A:ACCUM_OFFSET: 0
; COMPUTE_PGM_RSRC3_GFX90A:TG_SPLIT: 0
	.section	.text._ZN7rocprim17ROCPRIM_400000_NS6detail17trampoline_kernelINS0_14default_configENS1_20scan_config_selectorIyEEZZNS1_9scan_implILNS1_25lookback_scan_determinismE0ELb1ELb1ES3_N6thrust23THRUST_200600_302600_NS6detail15normal_iteratorINS9_10device_ptrIyEEEESE_y11max_functorIyEyEEDaPvRmT3_T4_T5_mT6_P12ihipStream_tbENKUlT_T0_E_clISt17integral_constantIbLb0EEST_IbLb1EEEEDaSP_SQ_EUlSP_E0_NS1_11comp_targetILNS1_3genE9ELNS1_11target_archE1100ELNS1_3gpuE3ELNS1_3repE0EEENS1_30default_config_static_selectorELNS0_4arch9wavefront6targetE1EEEvT1_,"axG",@progbits,_ZN7rocprim17ROCPRIM_400000_NS6detail17trampoline_kernelINS0_14default_configENS1_20scan_config_selectorIyEEZZNS1_9scan_implILNS1_25lookback_scan_determinismE0ELb1ELb1ES3_N6thrust23THRUST_200600_302600_NS6detail15normal_iteratorINS9_10device_ptrIyEEEESE_y11max_functorIyEyEEDaPvRmT3_T4_T5_mT6_P12ihipStream_tbENKUlT_T0_E_clISt17integral_constantIbLb0EEST_IbLb1EEEEDaSP_SQ_EUlSP_E0_NS1_11comp_targetILNS1_3genE9ELNS1_11target_archE1100ELNS1_3gpuE3ELNS1_3repE0EEENS1_30default_config_static_selectorELNS0_4arch9wavefront6targetE1EEEvT1_,comdat
	.protected	_ZN7rocprim17ROCPRIM_400000_NS6detail17trampoline_kernelINS0_14default_configENS1_20scan_config_selectorIyEEZZNS1_9scan_implILNS1_25lookback_scan_determinismE0ELb1ELb1ES3_N6thrust23THRUST_200600_302600_NS6detail15normal_iteratorINS9_10device_ptrIyEEEESE_y11max_functorIyEyEEDaPvRmT3_T4_T5_mT6_P12ihipStream_tbENKUlT_T0_E_clISt17integral_constantIbLb0EEST_IbLb1EEEEDaSP_SQ_EUlSP_E0_NS1_11comp_targetILNS1_3genE9ELNS1_11target_archE1100ELNS1_3gpuE3ELNS1_3repE0EEENS1_30default_config_static_selectorELNS0_4arch9wavefront6targetE1EEEvT1_ ; -- Begin function _ZN7rocprim17ROCPRIM_400000_NS6detail17trampoline_kernelINS0_14default_configENS1_20scan_config_selectorIyEEZZNS1_9scan_implILNS1_25lookback_scan_determinismE0ELb1ELb1ES3_N6thrust23THRUST_200600_302600_NS6detail15normal_iteratorINS9_10device_ptrIyEEEESE_y11max_functorIyEyEEDaPvRmT3_T4_T5_mT6_P12ihipStream_tbENKUlT_T0_E_clISt17integral_constantIbLb0EEST_IbLb1EEEEDaSP_SQ_EUlSP_E0_NS1_11comp_targetILNS1_3genE9ELNS1_11target_archE1100ELNS1_3gpuE3ELNS1_3repE0EEENS1_30default_config_static_selectorELNS0_4arch9wavefront6targetE1EEEvT1_
	.globl	_ZN7rocprim17ROCPRIM_400000_NS6detail17trampoline_kernelINS0_14default_configENS1_20scan_config_selectorIyEEZZNS1_9scan_implILNS1_25lookback_scan_determinismE0ELb1ELb1ES3_N6thrust23THRUST_200600_302600_NS6detail15normal_iteratorINS9_10device_ptrIyEEEESE_y11max_functorIyEyEEDaPvRmT3_T4_T5_mT6_P12ihipStream_tbENKUlT_T0_E_clISt17integral_constantIbLb0EEST_IbLb1EEEEDaSP_SQ_EUlSP_E0_NS1_11comp_targetILNS1_3genE9ELNS1_11target_archE1100ELNS1_3gpuE3ELNS1_3repE0EEENS1_30default_config_static_selectorELNS0_4arch9wavefront6targetE1EEEvT1_
	.p2align	8
	.type	_ZN7rocprim17ROCPRIM_400000_NS6detail17trampoline_kernelINS0_14default_configENS1_20scan_config_selectorIyEEZZNS1_9scan_implILNS1_25lookback_scan_determinismE0ELb1ELb1ES3_N6thrust23THRUST_200600_302600_NS6detail15normal_iteratorINS9_10device_ptrIyEEEESE_y11max_functorIyEyEEDaPvRmT3_T4_T5_mT6_P12ihipStream_tbENKUlT_T0_E_clISt17integral_constantIbLb0EEST_IbLb1EEEEDaSP_SQ_EUlSP_E0_NS1_11comp_targetILNS1_3genE9ELNS1_11target_archE1100ELNS1_3gpuE3ELNS1_3repE0EEENS1_30default_config_static_selectorELNS0_4arch9wavefront6targetE1EEEvT1_,@function
_ZN7rocprim17ROCPRIM_400000_NS6detail17trampoline_kernelINS0_14default_configENS1_20scan_config_selectorIyEEZZNS1_9scan_implILNS1_25lookback_scan_determinismE0ELb1ELb1ES3_N6thrust23THRUST_200600_302600_NS6detail15normal_iteratorINS9_10device_ptrIyEEEESE_y11max_functorIyEyEEDaPvRmT3_T4_T5_mT6_P12ihipStream_tbENKUlT_T0_E_clISt17integral_constantIbLb0EEST_IbLb1EEEEDaSP_SQ_EUlSP_E0_NS1_11comp_targetILNS1_3genE9ELNS1_11target_archE1100ELNS1_3gpuE3ELNS1_3repE0EEENS1_30default_config_static_selectorELNS0_4arch9wavefront6targetE1EEEvT1_: ; @_ZN7rocprim17ROCPRIM_400000_NS6detail17trampoline_kernelINS0_14default_configENS1_20scan_config_selectorIyEEZZNS1_9scan_implILNS1_25lookback_scan_determinismE0ELb1ELb1ES3_N6thrust23THRUST_200600_302600_NS6detail15normal_iteratorINS9_10device_ptrIyEEEESE_y11max_functorIyEyEEDaPvRmT3_T4_T5_mT6_P12ihipStream_tbENKUlT_T0_E_clISt17integral_constantIbLb0EEST_IbLb1EEEEDaSP_SQ_EUlSP_E0_NS1_11comp_targetILNS1_3genE9ELNS1_11target_archE1100ELNS1_3gpuE3ELNS1_3repE0EEENS1_30default_config_static_selectorELNS0_4arch9wavefront6targetE1EEEvT1_
; %bb.0:
	.section	.rodata,"a",@progbits
	.p2align	6, 0x0
	.amdhsa_kernel _ZN7rocprim17ROCPRIM_400000_NS6detail17trampoline_kernelINS0_14default_configENS1_20scan_config_selectorIyEEZZNS1_9scan_implILNS1_25lookback_scan_determinismE0ELb1ELb1ES3_N6thrust23THRUST_200600_302600_NS6detail15normal_iteratorINS9_10device_ptrIyEEEESE_y11max_functorIyEyEEDaPvRmT3_T4_T5_mT6_P12ihipStream_tbENKUlT_T0_E_clISt17integral_constantIbLb0EEST_IbLb1EEEEDaSP_SQ_EUlSP_E0_NS1_11comp_targetILNS1_3genE9ELNS1_11target_archE1100ELNS1_3gpuE3ELNS1_3repE0EEENS1_30default_config_static_selectorELNS0_4arch9wavefront6targetE1EEEvT1_
		.amdhsa_group_segment_fixed_size 0
		.amdhsa_private_segment_fixed_size 0
		.amdhsa_kernarg_size 40
		.amdhsa_user_sgpr_count 6
		.amdhsa_user_sgpr_private_segment_buffer 1
		.amdhsa_user_sgpr_dispatch_ptr 0
		.amdhsa_user_sgpr_queue_ptr 0
		.amdhsa_user_sgpr_kernarg_segment_ptr 1
		.amdhsa_user_sgpr_dispatch_id 0
		.amdhsa_user_sgpr_flat_scratch_init 0
		.amdhsa_user_sgpr_kernarg_preload_length 0
		.amdhsa_user_sgpr_kernarg_preload_offset 0
		.amdhsa_user_sgpr_private_segment_size 0
		.amdhsa_uses_dynamic_stack 0
		.amdhsa_system_sgpr_private_segment_wavefront_offset 0
		.amdhsa_system_sgpr_workgroup_id_x 1
		.amdhsa_system_sgpr_workgroup_id_y 0
		.amdhsa_system_sgpr_workgroup_id_z 0
		.amdhsa_system_sgpr_workgroup_info 0
		.amdhsa_system_vgpr_workitem_id 0
		.amdhsa_next_free_vgpr 1
		.amdhsa_next_free_sgpr 0
		.amdhsa_accum_offset 4
		.amdhsa_reserve_vcc 0
		.amdhsa_reserve_flat_scratch 0
		.amdhsa_float_round_mode_32 0
		.amdhsa_float_round_mode_16_64 0
		.amdhsa_float_denorm_mode_32 3
		.amdhsa_float_denorm_mode_16_64 3
		.amdhsa_dx10_clamp 1
		.amdhsa_ieee_mode 1
		.amdhsa_fp16_overflow 0
		.amdhsa_tg_split 0
		.amdhsa_exception_fp_ieee_invalid_op 0
		.amdhsa_exception_fp_denorm_src 0
		.amdhsa_exception_fp_ieee_div_zero 0
		.amdhsa_exception_fp_ieee_overflow 0
		.amdhsa_exception_fp_ieee_underflow 0
		.amdhsa_exception_fp_ieee_inexact 0
		.amdhsa_exception_int_div_zero 0
	.end_amdhsa_kernel
	.section	.text._ZN7rocprim17ROCPRIM_400000_NS6detail17trampoline_kernelINS0_14default_configENS1_20scan_config_selectorIyEEZZNS1_9scan_implILNS1_25lookback_scan_determinismE0ELb1ELb1ES3_N6thrust23THRUST_200600_302600_NS6detail15normal_iteratorINS9_10device_ptrIyEEEESE_y11max_functorIyEyEEDaPvRmT3_T4_T5_mT6_P12ihipStream_tbENKUlT_T0_E_clISt17integral_constantIbLb0EEST_IbLb1EEEEDaSP_SQ_EUlSP_E0_NS1_11comp_targetILNS1_3genE9ELNS1_11target_archE1100ELNS1_3gpuE3ELNS1_3repE0EEENS1_30default_config_static_selectorELNS0_4arch9wavefront6targetE1EEEvT1_,"axG",@progbits,_ZN7rocprim17ROCPRIM_400000_NS6detail17trampoline_kernelINS0_14default_configENS1_20scan_config_selectorIyEEZZNS1_9scan_implILNS1_25lookback_scan_determinismE0ELb1ELb1ES3_N6thrust23THRUST_200600_302600_NS6detail15normal_iteratorINS9_10device_ptrIyEEEESE_y11max_functorIyEyEEDaPvRmT3_T4_T5_mT6_P12ihipStream_tbENKUlT_T0_E_clISt17integral_constantIbLb0EEST_IbLb1EEEEDaSP_SQ_EUlSP_E0_NS1_11comp_targetILNS1_3genE9ELNS1_11target_archE1100ELNS1_3gpuE3ELNS1_3repE0EEENS1_30default_config_static_selectorELNS0_4arch9wavefront6targetE1EEEvT1_,comdat
.Lfunc_end2242:
	.size	_ZN7rocprim17ROCPRIM_400000_NS6detail17trampoline_kernelINS0_14default_configENS1_20scan_config_selectorIyEEZZNS1_9scan_implILNS1_25lookback_scan_determinismE0ELb1ELb1ES3_N6thrust23THRUST_200600_302600_NS6detail15normal_iteratorINS9_10device_ptrIyEEEESE_y11max_functorIyEyEEDaPvRmT3_T4_T5_mT6_P12ihipStream_tbENKUlT_T0_E_clISt17integral_constantIbLb0EEST_IbLb1EEEEDaSP_SQ_EUlSP_E0_NS1_11comp_targetILNS1_3genE9ELNS1_11target_archE1100ELNS1_3gpuE3ELNS1_3repE0EEENS1_30default_config_static_selectorELNS0_4arch9wavefront6targetE1EEEvT1_, .Lfunc_end2242-_ZN7rocprim17ROCPRIM_400000_NS6detail17trampoline_kernelINS0_14default_configENS1_20scan_config_selectorIyEEZZNS1_9scan_implILNS1_25lookback_scan_determinismE0ELb1ELb1ES3_N6thrust23THRUST_200600_302600_NS6detail15normal_iteratorINS9_10device_ptrIyEEEESE_y11max_functorIyEyEEDaPvRmT3_T4_T5_mT6_P12ihipStream_tbENKUlT_T0_E_clISt17integral_constantIbLb0EEST_IbLb1EEEEDaSP_SQ_EUlSP_E0_NS1_11comp_targetILNS1_3genE9ELNS1_11target_archE1100ELNS1_3gpuE3ELNS1_3repE0EEENS1_30default_config_static_selectorELNS0_4arch9wavefront6targetE1EEEvT1_
                                        ; -- End function
	.section	.AMDGPU.csdata,"",@progbits
; Kernel info:
; codeLenInByte = 0
; NumSgprs: 4
; NumVgprs: 0
; NumAgprs: 0
; TotalNumVgprs: 0
; ScratchSize: 0
; MemoryBound: 0
; FloatMode: 240
; IeeeMode: 1
; LDSByteSize: 0 bytes/workgroup (compile time only)
; SGPRBlocks: 0
; VGPRBlocks: 0
; NumSGPRsForWavesPerEU: 4
; NumVGPRsForWavesPerEU: 1
; AccumOffset: 4
; Occupancy: 8
; WaveLimiterHint : 0
; COMPUTE_PGM_RSRC2:SCRATCH_EN: 0
; COMPUTE_PGM_RSRC2:USER_SGPR: 6
; COMPUTE_PGM_RSRC2:TRAP_HANDLER: 0
; COMPUTE_PGM_RSRC2:TGID_X_EN: 1
; COMPUTE_PGM_RSRC2:TGID_Y_EN: 0
; COMPUTE_PGM_RSRC2:TGID_Z_EN: 0
; COMPUTE_PGM_RSRC2:TIDIG_COMP_CNT: 0
; COMPUTE_PGM_RSRC3_GFX90A:ACCUM_OFFSET: 0
; COMPUTE_PGM_RSRC3_GFX90A:TG_SPLIT: 0
	.section	.text._ZN7rocprim17ROCPRIM_400000_NS6detail17trampoline_kernelINS0_14default_configENS1_20scan_config_selectorIyEEZZNS1_9scan_implILNS1_25lookback_scan_determinismE0ELb1ELb1ES3_N6thrust23THRUST_200600_302600_NS6detail15normal_iteratorINS9_10device_ptrIyEEEESE_y11max_functorIyEyEEDaPvRmT3_T4_T5_mT6_P12ihipStream_tbENKUlT_T0_E_clISt17integral_constantIbLb0EEST_IbLb1EEEEDaSP_SQ_EUlSP_E0_NS1_11comp_targetILNS1_3genE8ELNS1_11target_archE1030ELNS1_3gpuE2ELNS1_3repE0EEENS1_30default_config_static_selectorELNS0_4arch9wavefront6targetE1EEEvT1_,"axG",@progbits,_ZN7rocprim17ROCPRIM_400000_NS6detail17trampoline_kernelINS0_14default_configENS1_20scan_config_selectorIyEEZZNS1_9scan_implILNS1_25lookback_scan_determinismE0ELb1ELb1ES3_N6thrust23THRUST_200600_302600_NS6detail15normal_iteratorINS9_10device_ptrIyEEEESE_y11max_functorIyEyEEDaPvRmT3_T4_T5_mT6_P12ihipStream_tbENKUlT_T0_E_clISt17integral_constantIbLb0EEST_IbLb1EEEEDaSP_SQ_EUlSP_E0_NS1_11comp_targetILNS1_3genE8ELNS1_11target_archE1030ELNS1_3gpuE2ELNS1_3repE0EEENS1_30default_config_static_selectorELNS0_4arch9wavefront6targetE1EEEvT1_,comdat
	.protected	_ZN7rocprim17ROCPRIM_400000_NS6detail17trampoline_kernelINS0_14default_configENS1_20scan_config_selectorIyEEZZNS1_9scan_implILNS1_25lookback_scan_determinismE0ELb1ELb1ES3_N6thrust23THRUST_200600_302600_NS6detail15normal_iteratorINS9_10device_ptrIyEEEESE_y11max_functorIyEyEEDaPvRmT3_T4_T5_mT6_P12ihipStream_tbENKUlT_T0_E_clISt17integral_constantIbLb0EEST_IbLb1EEEEDaSP_SQ_EUlSP_E0_NS1_11comp_targetILNS1_3genE8ELNS1_11target_archE1030ELNS1_3gpuE2ELNS1_3repE0EEENS1_30default_config_static_selectorELNS0_4arch9wavefront6targetE1EEEvT1_ ; -- Begin function _ZN7rocprim17ROCPRIM_400000_NS6detail17trampoline_kernelINS0_14default_configENS1_20scan_config_selectorIyEEZZNS1_9scan_implILNS1_25lookback_scan_determinismE0ELb1ELb1ES3_N6thrust23THRUST_200600_302600_NS6detail15normal_iteratorINS9_10device_ptrIyEEEESE_y11max_functorIyEyEEDaPvRmT3_T4_T5_mT6_P12ihipStream_tbENKUlT_T0_E_clISt17integral_constantIbLb0EEST_IbLb1EEEEDaSP_SQ_EUlSP_E0_NS1_11comp_targetILNS1_3genE8ELNS1_11target_archE1030ELNS1_3gpuE2ELNS1_3repE0EEENS1_30default_config_static_selectorELNS0_4arch9wavefront6targetE1EEEvT1_
	.globl	_ZN7rocprim17ROCPRIM_400000_NS6detail17trampoline_kernelINS0_14default_configENS1_20scan_config_selectorIyEEZZNS1_9scan_implILNS1_25lookback_scan_determinismE0ELb1ELb1ES3_N6thrust23THRUST_200600_302600_NS6detail15normal_iteratorINS9_10device_ptrIyEEEESE_y11max_functorIyEyEEDaPvRmT3_T4_T5_mT6_P12ihipStream_tbENKUlT_T0_E_clISt17integral_constantIbLb0EEST_IbLb1EEEEDaSP_SQ_EUlSP_E0_NS1_11comp_targetILNS1_3genE8ELNS1_11target_archE1030ELNS1_3gpuE2ELNS1_3repE0EEENS1_30default_config_static_selectorELNS0_4arch9wavefront6targetE1EEEvT1_
	.p2align	8
	.type	_ZN7rocprim17ROCPRIM_400000_NS6detail17trampoline_kernelINS0_14default_configENS1_20scan_config_selectorIyEEZZNS1_9scan_implILNS1_25lookback_scan_determinismE0ELb1ELb1ES3_N6thrust23THRUST_200600_302600_NS6detail15normal_iteratorINS9_10device_ptrIyEEEESE_y11max_functorIyEyEEDaPvRmT3_T4_T5_mT6_P12ihipStream_tbENKUlT_T0_E_clISt17integral_constantIbLb0EEST_IbLb1EEEEDaSP_SQ_EUlSP_E0_NS1_11comp_targetILNS1_3genE8ELNS1_11target_archE1030ELNS1_3gpuE2ELNS1_3repE0EEENS1_30default_config_static_selectorELNS0_4arch9wavefront6targetE1EEEvT1_,@function
_ZN7rocprim17ROCPRIM_400000_NS6detail17trampoline_kernelINS0_14default_configENS1_20scan_config_selectorIyEEZZNS1_9scan_implILNS1_25lookback_scan_determinismE0ELb1ELb1ES3_N6thrust23THRUST_200600_302600_NS6detail15normal_iteratorINS9_10device_ptrIyEEEESE_y11max_functorIyEyEEDaPvRmT3_T4_T5_mT6_P12ihipStream_tbENKUlT_T0_E_clISt17integral_constantIbLb0EEST_IbLb1EEEEDaSP_SQ_EUlSP_E0_NS1_11comp_targetILNS1_3genE8ELNS1_11target_archE1030ELNS1_3gpuE2ELNS1_3repE0EEENS1_30default_config_static_selectorELNS0_4arch9wavefront6targetE1EEEvT1_: ; @_ZN7rocprim17ROCPRIM_400000_NS6detail17trampoline_kernelINS0_14default_configENS1_20scan_config_selectorIyEEZZNS1_9scan_implILNS1_25lookback_scan_determinismE0ELb1ELb1ES3_N6thrust23THRUST_200600_302600_NS6detail15normal_iteratorINS9_10device_ptrIyEEEESE_y11max_functorIyEyEEDaPvRmT3_T4_T5_mT6_P12ihipStream_tbENKUlT_T0_E_clISt17integral_constantIbLb0EEST_IbLb1EEEEDaSP_SQ_EUlSP_E0_NS1_11comp_targetILNS1_3genE8ELNS1_11target_archE1030ELNS1_3gpuE2ELNS1_3repE0EEENS1_30default_config_static_selectorELNS0_4arch9wavefront6targetE1EEEvT1_
; %bb.0:
	.section	.rodata,"a",@progbits
	.p2align	6, 0x0
	.amdhsa_kernel _ZN7rocprim17ROCPRIM_400000_NS6detail17trampoline_kernelINS0_14default_configENS1_20scan_config_selectorIyEEZZNS1_9scan_implILNS1_25lookback_scan_determinismE0ELb1ELb1ES3_N6thrust23THRUST_200600_302600_NS6detail15normal_iteratorINS9_10device_ptrIyEEEESE_y11max_functorIyEyEEDaPvRmT3_T4_T5_mT6_P12ihipStream_tbENKUlT_T0_E_clISt17integral_constantIbLb0EEST_IbLb1EEEEDaSP_SQ_EUlSP_E0_NS1_11comp_targetILNS1_3genE8ELNS1_11target_archE1030ELNS1_3gpuE2ELNS1_3repE0EEENS1_30default_config_static_selectorELNS0_4arch9wavefront6targetE1EEEvT1_
		.amdhsa_group_segment_fixed_size 0
		.amdhsa_private_segment_fixed_size 0
		.amdhsa_kernarg_size 40
		.amdhsa_user_sgpr_count 6
		.amdhsa_user_sgpr_private_segment_buffer 1
		.amdhsa_user_sgpr_dispatch_ptr 0
		.amdhsa_user_sgpr_queue_ptr 0
		.amdhsa_user_sgpr_kernarg_segment_ptr 1
		.amdhsa_user_sgpr_dispatch_id 0
		.amdhsa_user_sgpr_flat_scratch_init 0
		.amdhsa_user_sgpr_kernarg_preload_length 0
		.amdhsa_user_sgpr_kernarg_preload_offset 0
		.amdhsa_user_sgpr_private_segment_size 0
		.amdhsa_uses_dynamic_stack 0
		.amdhsa_system_sgpr_private_segment_wavefront_offset 0
		.amdhsa_system_sgpr_workgroup_id_x 1
		.amdhsa_system_sgpr_workgroup_id_y 0
		.amdhsa_system_sgpr_workgroup_id_z 0
		.amdhsa_system_sgpr_workgroup_info 0
		.amdhsa_system_vgpr_workitem_id 0
		.amdhsa_next_free_vgpr 1
		.amdhsa_next_free_sgpr 0
		.amdhsa_accum_offset 4
		.amdhsa_reserve_vcc 0
		.amdhsa_reserve_flat_scratch 0
		.amdhsa_float_round_mode_32 0
		.amdhsa_float_round_mode_16_64 0
		.amdhsa_float_denorm_mode_32 3
		.amdhsa_float_denorm_mode_16_64 3
		.amdhsa_dx10_clamp 1
		.amdhsa_ieee_mode 1
		.amdhsa_fp16_overflow 0
		.amdhsa_tg_split 0
		.amdhsa_exception_fp_ieee_invalid_op 0
		.amdhsa_exception_fp_denorm_src 0
		.amdhsa_exception_fp_ieee_div_zero 0
		.amdhsa_exception_fp_ieee_overflow 0
		.amdhsa_exception_fp_ieee_underflow 0
		.amdhsa_exception_fp_ieee_inexact 0
		.amdhsa_exception_int_div_zero 0
	.end_amdhsa_kernel
	.section	.text._ZN7rocprim17ROCPRIM_400000_NS6detail17trampoline_kernelINS0_14default_configENS1_20scan_config_selectorIyEEZZNS1_9scan_implILNS1_25lookback_scan_determinismE0ELb1ELb1ES3_N6thrust23THRUST_200600_302600_NS6detail15normal_iteratorINS9_10device_ptrIyEEEESE_y11max_functorIyEyEEDaPvRmT3_T4_T5_mT6_P12ihipStream_tbENKUlT_T0_E_clISt17integral_constantIbLb0EEST_IbLb1EEEEDaSP_SQ_EUlSP_E0_NS1_11comp_targetILNS1_3genE8ELNS1_11target_archE1030ELNS1_3gpuE2ELNS1_3repE0EEENS1_30default_config_static_selectorELNS0_4arch9wavefront6targetE1EEEvT1_,"axG",@progbits,_ZN7rocprim17ROCPRIM_400000_NS6detail17trampoline_kernelINS0_14default_configENS1_20scan_config_selectorIyEEZZNS1_9scan_implILNS1_25lookback_scan_determinismE0ELb1ELb1ES3_N6thrust23THRUST_200600_302600_NS6detail15normal_iteratorINS9_10device_ptrIyEEEESE_y11max_functorIyEyEEDaPvRmT3_T4_T5_mT6_P12ihipStream_tbENKUlT_T0_E_clISt17integral_constantIbLb0EEST_IbLb1EEEEDaSP_SQ_EUlSP_E0_NS1_11comp_targetILNS1_3genE8ELNS1_11target_archE1030ELNS1_3gpuE2ELNS1_3repE0EEENS1_30default_config_static_selectorELNS0_4arch9wavefront6targetE1EEEvT1_,comdat
.Lfunc_end2243:
	.size	_ZN7rocprim17ROCPRIM_400000_NS6detail17trampoline_kernelINS0_14default_configENS1_20scan_config_selectorIyEEZZNS1_9scan_implILNS1_25lookback_scan_determinismE0ELb1ELb1ES3_N6thrust23THRUST_200600_302600_NS6detail15normal_iteratorINS9_10device_ptrIyEEEESE_y11max_functorIyEyEEDaPvRmT3_T4_T5_mT6_P12ihipStream_tbENKUlT_T0_E_clISt17integral_constantIbLb0EEST_IbLb1EEEEDaSP_SQ_EUlSP_E0_NS1_11comp_targetILNS1_3genE8ELNS1_11target_archE1030ELNS1_3gpuE2ELNS1_3repE0EEENS1_30default_config_static_selectorELNS0_4arch9wavefront6targetE1EEEvT1_, .Lfunc_end2243-_ZN7rocprim17ROCPRIM_400000_NS6detail17trampoline_kernelINS0_14default_configENS1_20scan_config_selectorIyEEZZNS1_9scan_implILNS1_25lookback_scan_determinismE0ELb1ELb1ES3_N6thrust23THRUST_200600_302600_NS6detail15normal_iteratorINS9_10device_ptrIyEEEESE_y11max_functorIyEyEEDaPvRmT3_T4_T5_mT6_P12ihipStream_tbENKUlT_T0_E_clISt17integral_constantIbLb0EEST_IbLb1EEEEDaSP_SQ_EUlSP_E0_NS1_11comp_targetILNS1_3genE8ELNS1_11target_archE1030ELNS1_3gpuE2ELNS1_3repE0EEENS1_30default_config_static_selectorELNS0_4arch9wavefront6targetE1EEEvT1_
                                        ; -- End function
	.section	.AMDGPU.csdata,"",@progbits
; Kernel info:
; codeLenInByte = 0
; NumSgprs: 4
; NumVgprs: 0
; NumAgprs: 0
; TotalNumVgprs: 0
; ScratchSize: 0
; MemoryBound: 0
; FloatMode: 240
; IeeeMode: 1
; LDSByteSize: 0 bytes/workgroup (compile time only)
; SGPRBlocks: 0
; VGPRBlocks: 0
; NumSGPRsForWavesPerEU: 4
; NumVGPRsForWavesPerEU: 1
; AccumOffset: 4
; Occupancy: 8
; WaveLimiterHint : 0
; COMPUTE_PGM_RSRC2:SCRATCH_EN: 0
; COMPUTE_PGM_RSRC2:USER_SGPR: 6
; COMPUTE_PGM_RSRC2:TRAP_HANDLER: 0
; COMPUTE_PGM_RSRC2:TGID_X_EN: 1
; COMPUTE_PGM_RSRC2:TGID_Y_EN: 0
; COMPUTE_PGM_RSRC2:TGID_Z_EN: 0
; COMPUTE_PGM_RSRC2:TIDIG_COMP_CNT: 0
; COMPUTE_PGM_RSRC3_GFX90A:ACCUM_OFFSET: 0
; COMPUTE_PGM_RSRC3_GFX90A:TG_SPLIT: 0
	.section	.text._ZN6thrust23THRUST_200600_302600_NS11hip_rocprim14__parallel_for6kernelILj256ENS1_20__uninitialized_fill7functorINS0_10device_ptrIjEEjEEmLj1EEEvT0_T1_SA_,"axG",@progbits,_ZN6thrust23THRUST_200600_302600_NS11hip_rocprim14__parallel_for6kernelILj256ENS1_20__uninitialized_fill7functorINS0_10device_ptrIjEEjEEmLj1EEEvT0_T1_SA_,comdat
	.protected	_ZN6thrust23THRUST_200600_302600_NS11hip_rocprim14__parallel_for6kernelILj256ENS1_20__uninitialized_fill7functorINS0_10device_ptrIjEEjEEmLj1EEEvT0_T1_SA_ ; -- Begin function _ZN6thrust23THRUST_200600_302600_NS11hip_rocprim14__parallel_for6kernelILj256ENS1_20__uninitialized_fill7functorINS0_10device_ptrIjEEjEEmLj1EEEvT0_T1_SA_
	.globl	_ZN6thrust23THRUST_200600_302600_NS11hip_rocprim14__parallel_for6kernelILj256ENS1_20__uninitialized_fill7functorINS0_10device_ptrIjEEjEEmLj1EEEvT0_T1_SA_
	.p2align	8
	.type	_ZN6thrust23THRUST_200600_302600_NS11hip_rocprim14__parallel_for6kernelILj256ENS1_20__uninitialized_fill7functorINS0_10device_ptrIjEEjEEmLj1EEEvT0_T1_SA_,@function
_ZN6thrust23THRUST_200600_302600_NS11hip_rocprim14__parallel_for6kernelILj256ENS1_20__uninitialized_fill7functorINS0_10device_ptrIjEEjEEmLj1EEEvT0_T1_SA_: ; @_ZN6thrust23THRUST_200600_302600_NS11hip_rocprim14__parallel_for6kernelILj256ENS1_20__uninitialized_fill7functorINS0_10device_ptrIjEEjEEmLj1EEEvT0_T1_SA_
; %bb.0:
	s_load_dwordx4 s[8:11], s[4:5], 0x10
	s_lshl_b32 s0, s6, 8
	v_mov_b32_e32 v2, 0x100
	v_mov_b32_e32 v3, 0
	s_waitcnt lgkmcnt(0)
	s_add_u32 s0, s0, s10
	s_addc_u32 s1, 0, s11
	s_sub_u32 s2, s8, s0
	s_subb_u32 s3, s9, s1
	v_cmp_lt_u64_e32 vcc, s[2:3], v[2:3]
	s_cbranch_vccz .LBB2244_2
; %bb.1:
	v_cmp_gt_u32_e32 vcc, s2, v0
	s_and_b64 s[2:3], vcc, exec
	s_cbranch_execz .LBB2244_3
	s_branch .LBB2244_4
.LBB2244_2:
	s_mov_b64 s[2:3], 0
.LBB2244_3:
	s_or_b64 s[2:3], s[2:3], exec
.LBB2244_4:
	s_and_saveexec_b64 s[6:7], s[2:3]
	s_cbranch_execnz .LBB2244_6
; %bb.5:
	s_endpgm
.LBB2244_6:
	s_load_dwordx2 s[2:3], s[4:5], 0x0
	s_load_dword s6, s[4:5], 0x8
	s_lshl_b64 s[0:1], s[0:1], 2
	v_mov_b32_e32 v1, 0
	v_lshlrev_b64 v[0:1], 2, v[0:1]
	s_waitcnt lgkmcnt(0)
	s_add_u32 s0, s2, s0
	s_addc_u32 s1, s3, s1
	v_mov_b32_e32 v2, s1
	v_add_co_u32_e32 v0, vcc, s0, v0
	v_addc_co_u32_e32 v1, vcc, v2, v1, vcc
	v_mov_b32_e32 v2, s6
	flat_store_dword v[0:1], v2
	s_endpgm
	.section	.rodata,"a",@progbits
	.p2align	6, 0x0
	.amdhsa_kernel _ZN6thrust23THRUST_200600_302600_NS11hip_rocprim14__parallel_for6kernelILj256ENS1_20__uninitialized_fill7functorINS0_10device_ptrIjEEjEEmLj1EEEvT0_T1_SA_
		.amdhsa_group_segment_fixed_size 0
		.amdhsa_private_segment_fixed_size 0
		.amdhsa_kernarg_size 32
		.amdhsa_user_sgpr_count 6
		.amdhsa_user_sgpr_private_segment_buffer 1
		.amdhsa_user_sgpr_dispatch_ptr 0
		.amdhsa_user_sgpr_queue_ptr 0
		.amdhsa_user_sgpr_kernarg_segment_ptr 1
		.amdhsa_user_sgpr_dispatch_id 0
		.amdhsa_user_sgpr_flat_scratch_init 0
		.amdhsa_user_sgpr_kernarg_preload_length 0
		.amdhsa_user_sgpr_kernarg_preload_offset 0
		.amdhsa_user_sgpr_private_segment_size 0
		.amdhsa_uses_dynamic_stack 0
		.amdhsa_system_sgpr_private_segment_wavefront_offset 0
		.amdhsa_system_sgpr_workgroup_id_x 1
		.amdhsa_system_sgpr_workgroup_id_y 0
		.amdhsa_system_sgpr_workgroup_id_z 0
		.amdhsa_system_sgpr_workgroup_info 0
		.amdhsa_system_vgpr_workitem_id 0
		.amdhsa_next_free_vgpr 4
		.amdhsa_next_free_sgpr 12
		.amdhsa_accum_offset 4
		.amdhsa_reserve_vcc 1
		.amdhsa_reserve_flat_scratch 0
		.amdhsa_float_round_mode_32 0
		.amdhsa_float_round_mode_16_64 0
		.amdhsa_float_denorm_mode_32 3
		.amdhsa_float_denorm_mode_16_64 3
		.amdhsa_dx10_clamp 1
		.amdhsa_ieee_mode 1
		.amdhsa_fp16_overflow 0
		.amdhsa_tg_split 0
		.amdhsa_exception_fp_ieee_invalid_op 0
		.amdhsa_exception_fp_denorm_src 0
		.amdhsa_exception_fp_ieee_div_zero 0
		.amdhsa_exception_fp_ieee_overflow 0
		.amdhsa_exception_fp_ieee_underflow 0
		.amdhsa_exception_fp_ieee_inexact 0
		.amdhsa_exception_int_div_zero 0
	.end_amdhsa_kernel
	.section	.text._ZN6thrust23THRUST_200600_302600_NS11hip_rocprim14__parallel_for6kernelILj256ENS1_20__uninitialized_fill7functorINS0_10device_ptrIjEEjEEmLj1EEEvT0_T1_SA_,"axG",@progbits,_ZN6thrust23THRUST_200600_302600_NS11hip_rocprim14__parallel_for6kernelILj256ENS1_20__uninitialized_fill7functorINS0_10device_ptrIjEEjEEmLj1EEEvT0_T1_SA_,comdat
.Lfunc_end2244:
	.size	_ZN6thrust23THRUST_200600_302600_NS11hip_rocprim14__parallel_for6kernelILj256ENS1_20__uninitialized_fill7functorINS0_10device_ptrIjEEjEEmLj1EEEvT0_T1_SA_, .Lfunc_end2244-_ZN6thrust23THRUST_200600_302600_NS11hip_rocprim14__parallel_for6kernelILj256ENS1_20__uninitialized_fill7functorINS0_10device_ptrIjEEjEEmLj1EEEvT0_T1_SA_
                                        ; -- End function
	.section	.AMDGPU.csdata,"",@progbits
; Kernel info:
; codeLenInByte = 160
; NumSgprs: 16
; NumVgprs: 4
; NumAgprs: 0
; TotalNumVgprs: 4
; ScratchSize: 0
; MemoryBound: 0
; FloatMode: 240
; IeeeMode: 1
; LDSByteSize: 0 bytes/workgroup (compile time only)
; SGPRBlocks: 1
; VGPRBlocks: 0
; NumSGPRsForWavesPerEU: 16
; NumVGPRsForWavesPerEU: 4
; AccumOffset: 4
; Occupancy: 8
; WaveLimiterHint : 0
; COMPUTE_PGM_RSRC2:SCRATCH_EN: 0
; COMPUTE_PGM_RSRC2:USER_SGPR: 6
; COMPUTE_PGM_RSRC2:TRAP_HANDLER: 0
; COMPUTE_PGM_RSRC2:TGID_X_EN: 1
; COMPUTE_PGM_RSRC2:TGID_Y_EN: 0
; COMPUTE_PGM_RSRC2:TGID_Z_EN: 0
; COMPUTE_PGM_RSRC2:TIDIG_COMP_CNT: 0
; COMPUTE_PGM_RSRC3_GFX90A:ACCUM_OFFSET: 0
; COMPUTE_PGM_RSRC3_GFX90A:TG_SPLIT: 0
	.section	.text._ZN7rocprim17ROCPRIM_400000_NS6detail31init_lookback_scan_state_kernelINS1_19lookback_scan_stateIjLb0ELb1EEENS1_16block_id_wrapperIjLb0EEEEEvT_jT0_jPNS7_10value_typeE,"axG",@progbits,_ZN7rocprim17ROCPRIM_400000_NS6detail31init_lookback_scan_state_kernelINS1_19lookback_scan_stateIjLb0ELb1EEENS1_16block_id_wrapperIjLb0EEEEEvT_jT0_jPNS7_10value_typeE,comdat
	.protected	_ZN7rocprim17ROCPRIM_400000_NS6detail31init_lookback_scan_state_kernelINS1_19lookback_scan_stateIjLb0ELb1EEENS1_16block_id_wrapperIjLb0EEEEEvT_jT0_jPNS7_10value_typeE ; -- Begin function _ZN7rocprim17ROCPRIM_400000_NS6detail31init_lookback_scan_state_kernelINS1_19lookback_scan_stateIjLb0ELb1EEENS1_16block_id_wrapperIjLb0EEEEEvT_jT0_jPNS7_10value_typeE
	.globl	_ZN7rocprim17ROCPRIM_400000_NS6detail31init_lookback_scan_state_kernelINS1_19lookback_scan_stateIjLb0ELb1EEENS1_16block_id_wrapperIjLb0EEEEEvT_jT0_jPNS7_10value_typeE
	.p2align	8
	.type	_ZN7rocprim17ROCPRIM_400000_NS6detail31init_lookback_scan_state_kernelINS1_19lookback_scan_stateIjLb0ELb1EEENS1_16block_id_wrapperIjLb0EEEEEvT_jT0_jPNS7_10value_typeE,@function
_ZN7rocprim17ROCPRIM_400000_NS6detail31init_lookback_scan_state_kernelINS1_19lookback_scan_stateIjLb0ELb1EEENS1_16block_id_wrapperIjLb0EEEEEvT_jT0_jPNS7_10value_typeE: ; @_ZN7rocprim17ROCPRIM_400000_NS6detail31init_lookback_scan_state_kernelINS1_19lookback_scan_stateIjLb0ELb1EEENS1_16block_id_wrapperIjLb0EEEEEvT_jT0_jPNS7_10value_typeE
; %bb.0:
	s_load_dword s7, s[4:5], 0x2c
	s_load_dwordx2 s[2:3], s[4:5], 0x18
	s_load_dwordx2 s[0:1], s[4:5], 0x0
	s_load_dword s8, s[4:5], 0x8
	s_waitcnt lgkmcnt(0)
	s_and_b32 s7, s7, 0xffff
	s_mul_i32 s6, s6, s7
	s_cmp_eq_u64 s[2:3], 0
	v_add_u32_e32 v0, s6, v0
	s_cbranch_scc1 .LBB2245_6
; %bb.1:
	s_load_dword s6, s[4:5], 0x10
	s_mov_b32 s7, 0
	s_waitcnt lgkmcnt(0)
	s_cmp_lt_u32 s6, s8
	s_cselect_b32 s4, s6, 0
	v_cmp_eq_u32_e32 vcc, s4, v0
	s_and_saveexec_b64 s[4:5], vcc
	s_cbranch_execz .LBB2245_5
; %bb.2:
	s_add_i32 s6, s6, 64
	s_lshl_b64 s[6:7], s[6:7], 3
	s_add_u32 s6, s0, s6
	s_addc_u32 s7, s1, s7
	v_mov_b32_e32 v4, 0
	global_load_dwordx2 v[2:3], v4, s[6:7] glc
	s_waitcnt vmcnt(0)
	v_and_b32_e32 v5, 0xff, v3
	v_cmp_ne_u64_e32 vcc, 0, v[4:5]
	s_cbranch_vccnz .LBB2245_4
.LBB2245_3:                             ; =>This Inner Loop Header: Depth=1
	global_load_dwordx2 v[2:3], v4, s[6:7] glc
	s_waitcnt vmcnt(0)
	v_and_b32_e32 v5, 0xff, v3
	v_cmp_eq_u64_e32 vcc, 0, v[4:5]
	s_cbranch_vccnz .LBB2245_3
.LBB2245_4:
	v_mov_b32_e32 v1, 0
	global_store_dword v1, v2, s[2:3]
.LBB2245_5:
	s_or_b64 exec, exec, s[4:5]
.LBB2245_6:
	v_cmp_gt_u32_e32 vcc, s8, v0
	s_and_saveexec_b64 s[2:3], vcc
	s_cbranch_execnz .LBB2245_9
; %bb.7:
	s_or_b64 exec, exec, s[2:3]
	v_cmp_gt_u32_e32 vcc, 64, v0
	s_and_saveexec_b64 s[2:3], vcc
	s_cbranch_execnz .LBB2245_10
.LBB2245_8:
	s_endpgm
.LBB2245_9:
	v_add_u32_e32 v2, 64, v0
	v_mov_b32_e32 v3, 0
	v_lshlrev_b64 v[4:5], 3, v[2:3]
	v_mov_b32_e32 v1, s1
	v_add_co_u32_e32 v4, vcc, s0, v4
	v_addc_co_u32_e32 v5, vcc, v1, v5, vcc
	v_mov_b32_e32 v2, v3
	global_store_dwordx2 v[4:5], v[2:3], off
	s_or_b64 exec, exec, s[2:3]
	v_cmp_gt_u32_e32 vcc, 64, v0
	s_and_saveexec_b64 s[2:3], vcc
	s_cbranch_execz .LBB2245_8
.LBB2245_10:
	v_mov_b32_e32 v1, 0
	v_lshlrev_b64 v[2:3], 3, v[0:1]
	v_mov_b32_e32 v0, s1
	v_add_co_u32_e32 v2, vcc, s0, v2
	v_addc_co_u32_e32 v3, vcc, v0, v3, vcc
	v_mov_b32_e32 v5, 0xff
	v_mov_b32_e32 v4, v1
	global_store_dwordx2 v[2:3], v[4:5], off
	s_endpgm
	.section	.rodata,"a",@progbits
	.p2align	6, 0x0
	.amdhsa_kernel _ZN7rocprim17ROCPRIM_400000_NS6detail31init_lookback_scan_state_kernelINS1_19lookback_scan_stateIjLb0ELb1EEENS1_16block_id_wrapperIjLb0EEEEEvT_jT0_jPNS7_10value_typeE
		.amdhsa_group_segment_fixed_size 0
		.amdhsa_private_segment_fixed_size 0
		.amdhsa_kernarg_size 288
		.amdhsa_user_sgpr_count 6
		.amdhsa_user_sgpr_private_segment_buffer 1
		.amdhsa_user_sgpr_dispatch_ptr 0
		.amdhsa_user_sgpr_queue_ptr 0
		.amdhsa_user_sgpr_kernarg_segment_ptr 1
		.amdhsa_user_sgpr_dispatch_id 0
		.amdhsa_user_sgpr_flat_scratch_init 0
		.amdhsa_user_sgpr_kernarg_preload_length 0
		.amdhsa_user_sgpr_kernarg_preload_offset 0
		.amdhsa_user_sgpr_private_segment_size 0
		.amdhsa_uses_dynamic_stack 0
		.amdhsa_system_sgpr_private_segment_wavefront_offset 0
		.amdhsa_system_sgpr_workgroup_id_x 1
		.amdhsa_system_sgpr_workgroup_id_y 0
		.amdhsa_system_sgpr_workgroup_id_z 0
		.amdhsa_system_sgpr_workgroup_info 0
		.amdhsa_system_vgpr_workitem_id 0
		.amdhsa_next_free_vgpr 6
		.amdhsa_next_free_sgpr 9
		.amdhsa_accum_offset 8
		.amdhsa_reserve_vcc 1
		.amdhsa_reserve_flat_scratch 0
		.amdhsa_float_round_mode_32 0
		.amdhsa_float_round_mode_16_64 0
		.amdhsa_float_denorm_mode_32 3
		.amdhsa_float_denorm_mode_16_64 3
		.amdhsa_dx10_clamp 1
		.amdhsa_ieee_mode 1
		.amdhsa_fp16_overflow 0
		.amdhsa_tg_split 0
		.amdhsa_exception_fp_ieee_invalid_op 0
		.amdhsa_exception_fp_denorm_src 0
		.amdhsa_exception_fp_ieee_div_zero 0
		.amdhsa_exception_fp_ieee_overflow 0
		.amdhsa_exception_fp_ieee_underflow 0
		.amdhsa_exception_fp_ieee_inexact 0
		.amdhsa_exception_int_div_zero 0
	.end_amdhsa_kernel
	.section	.text._ZN7rocprim17ROCPRIM_400000_NS6detail31init_lookback_scan_state_kernelINS1_19lookback_scan_stateIjLb0ELb1EEENS1_16block_id_wrapperIjLb0EEEEEvT_jT0_jPNS7_10value_typeE,"axG",@progbits,_ZN7rocprim17ROCPRIM_400000_NS6detail31init_lookback_scan_state_kernelINS1_19lookback_scan_stateIjLb0ELb1EEENS1_16block_id_wrapperIjLb0EEEEEvT_jT0_jPNS7_10value_typeE,comdat
.Lfunc_end2245:
	.size	_ZN7rocprim17ROCPRIM_400000_NS6detail31init_lookback_scan_state_kernelINS1_19lookback_scan_stateIjLb0ELb1EEENS1_16block_id_wrapperIjLb0EEEEEvT_jT0_jPNS7_10value_typeE, .Lfunc_end2245-_ZN7rocprim17ROCPRIM_400000_NS6detail31init_lookback_scan_state_kernelINS1_19lookback_scan_stateIjLb0ELb1EEENS1_16block_id_wrapperIjLb0EEEEEvT_jT0_jPNS7_10value_typeE
                                        ; -- End function
	.section	.AMDGPU.csdata,"",@progbits
; Kernel info:
; codeLenInByte = 324
; NumSgprs: 13
; NumVgprs: 6
; NumAgprs: 0
; TotalNumVgprs: 6
; ScratchSize: 0
; MemoryBound: 0
; FloatMode: 240
; IeeeMode: 1
; LDSByteSize: 0 bytes/workgroup (compile time only)
; SGPRBlocks: 1
; VGPRBlocks: 0
; NumSGPRsForWavesPerEU: 13
; NumVGPRsForWavesPerEU: 6
; AccumOffset: 8
; Occupancy: 8
; WaveLimiterHint : 0
; COMPUTE_PGM_RSRC2:SCRATCH_EN: 0
; COMPUTE_PGM_RSRC2:USER_SGPR: 6
; COMPUTE_PGM_RSRC2:TRAP_HANDLER: 0
; COMPUTE_PGM_RSRC2:TGID_X_EN: 1
; COMPUTE_PGM_RSRC2:TGID_Y_EN: 0
; COMPUTE_PGM_RSRC2:TGID_Z_EN: 0
; COMPUTE_PGM_RSRC2:TIDIG_COMP_CNT: 0
; COMPUTE_PGM_RSRC3_GFX90A:ACCUM_OFFSET: 1
; COMPUTE_PGM_RSRC3_GFX90A:TG_SPLIT: 0
	.section	.text._ZN7rocprim17ROCPRIM_400000_NS6detail17trampoline_kernelINS0_14default_configENS1_20scan_config_selectorIjEEZZNS1_9scan_implILNS1_25lookback_scan_determinismE0ELb0ELb0ES3_N6thrust23THRUST_200600_302600_NS6detail15normal_iteratorINS9_10device_ptrIjEEEESE_j11max_functorIjEjEEDaPvRmT3_T4_T5_mT6_P12ihipStream_tbENKUlT_T0_E_clISt17integral_constantIbLb0EESU_EEDaSP_SQ_EUlSP_E_NS1_11comp_targetILNS1_3genE0ELNS1_11target_archE4294967295ELNS1_3gpuE0ELNS1_3repE0EEENS1_30default_config_static_selectorELNS0_4arch9wavefront6targetE1EEEvT1_,"axG",@progbits,_ZN7rocprim17ROCPRIM_400000_NS6detail17trampoline_kernelINS0_14default_configENS1_20scan_config_selectorIjEEZZNS1_9scan_implILNS1_25lookback_scan_determinismE0ELb0ELb0ES3_N6thrust23THRUST_200600_302600_NS6detail15normal_iteratorINS9_10device_ptrIjEEEESE_j11max_functorIjEjEEDaPvRmT3_T4_T5_mT6_P12ihipStream_tbENKUlT_T0_E_clISt17integral_constantIbLb0EESU_EEDaSP_SQ_EUlSP_E_NS1_11comp_targetILNS1_3genE0ELNS1_11target_archE4294967295ELNS1_3gpuE0ELNS1_3repE0EEENS1_30default_config_static_selectorELNS0_4arch9wavefront6targetE1EEEvT1_,comdat
	.protected	_ZN7rocprim17ROCPRIM_400000_NS6detail17trampoline_kernelINS0_14default_configENS1_20scan_config_selectorIjEEZZNS1_9scan_implILNS1_25lookback_scan_determinismE0ELb0ELb0ES3_N6thrust23THRUST_200600_302600_NS6detail15normal_iteratorINS9_10device_ptrIjEEEESE_j11max_functorIjEjEEDaPvRmT3_T4_T5_mT6_P12ihipStream_tbENKUlT_T0_E_clISt17integral_constantIbLb0EESU_EEDaSP_SQ_EUlSP_E_NS1_11comp_targetILNS1_3genE0ELNS1_11target_archE4294967295ELNS1_3gpuE0ELNS1_3repE0EEENS1_30default_config_static_selectorELNS0_4arch9wavefront6targetE1EEEvT1_ ; -- Begin function _ZN7rocprim17ROCPRIM_400000_NS6detail17trampoline_kernelINS0_14default_configENS1_20scan_config_selectorIjEEZZNS1_9scan_implILNS1_25lookback_scan_determinismE0ELb0ELb0ES3_N6thrust23THRUST_200600_302600_NS6detail15normal_iteratorINS9_10device_ptrIjEEEESE_j11max_functorIjEjEEDaPvRmT3_T4_T5_mT6_P12ihipStream_tbENKUlT_T0_E_clISt17integral_constantIbLb0EESU_EEDaSP_SQ_EUlSP_E_NS1_11comp_targetILNS1_3genE0ELNS1_11target_archE4294967295ELNS1_3gpuE0ELNS1_3repE0EEENS1_30default_config_static_selectorELNS0_4arch9wavefront6targetE1EEEvT1_
	.globl	_ZN7rocprim17ROCPRIM_400000_NS6detail17trampoline_kernelINS0_14default_configENS1_20scan_config_selectorIjEEZZNS1_9scan_implILNS1_25lookback_scan_determinismE0ELb0ELb0ES3_N6thrust23THRUST_200600_302600_NS6detail15normal_iteratorINS9_10device_ptrIjEEEESE_j11max_functorIjEjEEDaPvRmT3_T4_T5_mT6_P12ihipStream_tbENKUlT_T0_E_clISt17integral_constantIbLb0EESU_EEDaSP_SQ_EUlSP_E_NS1_11comp_targetILNS1_3genE0ELNS1_11target_archE4294967295ELNS1_3gpuE0ELNS1_3repE0EEENS1_30default_config_static_selectorELNS0_4arch9wavefront6targetE1EEEvT1_
	.p2align	8
	.type	_ZN7rocprim17ROCPRIM_400000_NS6detail17trampoline_kernelINS0_14default_configENS1_20scan_config_selectorIjEEZZNS1_9scan_implILNS1_25lookback_scan_determinismE0ELb0ELb0ES3_N6thrust23THRUST_200600_302600_NS6detail15normal_iteratorINS9_10device_ptrIjEEEESE_j11max_functorIjEjEEDaPvRmT3_T4_T5_mT6_P12ihipStream_tbENKUlT_T0_E_clISt17integral_constantIbLb0EESU_EEDaSP_SQ_EUlSP_E_NS1_11comp_targetILNS1_3genE0ELNS1_11target_archE4294967295ELNS1_3gpuE0ELNS1_3repE0EEENS1_30default_config_static_selectorELNS0_4arch9wavefront6targetE1EEEvT1_,@function
_ZN7rocprim17ROCPRIM_400000_NS6detail17trampoline_kernelINS0_14default_configENS1_20scan_config_selectorIjEEZZNS1_9scan_implILNS1_25lookback_scan_determinismE0ELb0ELb0ES3_N6thrust23THRUST_200600_302600_NS6detail15normal_iteratorINS9_10device_ptrIjEEEESE_j11max_functorIjEjEEDaPvRmT3_T4_T5_mT6_P12ihipStream_tbENKUlT_T0_E_clISt17integral_constantIbLb0EESU_EEDaSP_SQ_EUlSP_E_NS1_11comp_targetILNS1_3genE0ELNS1_11target_archE4294967295ELNS1_3gpuE0ELNS1_3repE0EEENS1_30default_config_static_selectorELNS0_4arch9wavefront6targetE1EEEvT1_: ; @_ZN7rocprim17ROCPRIM_400000_NS6detail17trampoline_kernelINS0_14default_configENS1_20scan_config_selectorIjEEZZNS1_9scan_implILNS1_25lookback_scan_determinismE0ELb0ELb0ES3_N6thrust23THRUST_200600_302600_NS6detail15normal_iteratorINS9_10device_ptrIjEEEESE_j11max_functorIjEjEEDaPvRmT3_T4_T5_mT6_P12ihipStream_tbENKUlT_T0_E_clISt17integral_constantIbLb0EESU_EEDaSP_SQ_EUlSP_E_NS1_11comp_targetILNS1_3genE0ELNS1_11target_archE4294967295ELNS1_3gpuE0ELNS1_3repE0EEENS1_30default_config_static_selectorELNS0_4arch9wavefront6targetE1EEEvT1_
; %bb.0:
	.section	.rodata,"a",@progbits
	.p2align	6, 0x0
	.amdhsa_kernel _ZN7rocprim17ROCPRIM_400000_NS6detail17trampoline_kernelINS0_14default_configENS1_20scan_config_selectorIjEEZZNS1_9scan_implILNS1_25lookback_scan_determinismE0ELb0ELb0ES3_N6thrust23THRUST_200600_302600_NS6detail15normal_iteratorINS9_10device_ptrIjEEEESE_j11max_functorIjEjEEDaPvRmT3_T4_T5_mT6_P12ihipStream_tbENKUlT_T0_E_clISt17integral_constantIbLb0EESU_EEDaSP_SQ_EUlSP_E_NS1_11comp_targetILNS1_3genE0ELNS1_11target_archE4294967295ELNS1_3gpuE0ELNS1_3repE0EEENS1_30default_config_static_selectorELNS0_4arch9wavefront6targetE1EEEvT1_
		.amdhsa_group_segment_fixed_size 0
		.amdhsa_private_segment_fixed_size 0
		.amdhsa_kernarg_size 96
		.amdhsa_user_sgpr_count 6
		.amdhsa_user_sgpr_private_segment_buffer 1
		.amdhsa_user_sgpr_dispatch_ptr 0
		.amdhsa_user_sgpr_queue_ptr 0
		.amdhsa_user_sgpr_kernarg_segment_ptr 1
		.amdhsa_user_sgpr_dispatch_id 0
		.amdhsa_user_sgpr_flat_scratch_init 0
		.amdhsa_user_sgpr_kernarg_preload_length 0
		.amdhsa_user_sgpr_kernarg_preload_offset 0
		.amdhsa_user_sgpr_private_segment_size 0
		.amdhsa_uses_dynamic_stack 0
		.amdhsa_system_sgpr_private_segment_wavefront_offset 0
		.amdhsa_system_sgpr_workgroup_id_x 1
		.amdhsa_system_sgpr_workgroup_id_y 0
		.amdhsa_system_sgpr_workgroup_id_z 0
		.amdhsa_system_sgpr_workgroup_info 0
		.amdhsa_system_vgpr_workitem_id 0
		.amdhsa_next_free_vgpr 1
		.amdhsa_next_free_sgpr 0
		.amdhsa_accum_offset 4
		.amdhsa_reserve_vcc 0
		.amdhsa_reserve_flat_scratch 0
		.amdhsa_float_round_mode_32 0
		.amdhsa_float_round_mode_16_64 0
		.amdhsa_float_denorm_mode_32 3
		.amdhsa_float_denorm_mode_16_64 3
		.amdhsa_dx10_clamp 1
		.amdhsa_ieee_mode 1
		.amdhsa_fp16_overflow 0
		.amdhsa_tg_split 0
		.amdhsa_exception_fp_ieee_invalid_op 0
		.amdhsa_exception_fp_denorm_src 0
		.amdhsa_exception_fp_ieee_div_zero 0
		.amdhsa_exception_fp_ieee_overflow 0
		.amdhsa_exception_fp_ieee_underflow 0
		.amdhsa_exception_fp_ieee_inexact 0
		.amdhsa_exception_int_div_zero 0
	.end_amdhsa_kernel
	.section	.text._ZN7rocprim17ROCPRIM_400000_NS6detail17trampoline_kernelINS0_14default_configENS1_20scan_config_selectorIjEEZZNS1_9scan_implILNS1_25lookback_scan_determinismE0ELb0ELb0ES3_N6thrust23THRUST_200600_302600_NS6detail15normal_iteratorINS9_10device_ptrIjEEEESE_j11max_functorIjEjEEDaPvRmT3_T4_T5_mT6_P12ihipStream_tbENKUlT_T0_E_clISt17integral_constantIbLb0EESU_EEDaSP_SQ_EUlSP_E_NS1_11comp_targetILNS1_3genE0ELNS1_11target_archE4294967295ELNS1_3gpuE0ELNS1_3repE0EEENS1_30default_config_static_selectorELNS0_4arch9wavefront6targetE1EEEvT1_,"axG",@progbits,_ZN7rocprim17ROCPRIM_400000_NS6detail17trampoline_kernelINS0_14default_configENS1_20scan_config_selectorIjEEZZNS1_9scan_implILNS1_25lookback_scan_determinismE0ELb0ELb0ES3_N6thrust23THRUST_200600_302600_NS6detail15normal_iteratorINS9_10device_ptrIjEEEESE_j11max_functorIjEjEEDaPvRmT3_T4_T5_mT6_P12ihipStream_tbENKUlT_T0_E_clISt17integral_constantIbLb0EESU_EEDaSP_SQ_EUlSP_E_NS1_11comp_targetILNS1_3genE0ELNS1_11target_archE4294967295ELNS1_3gpuE0ELNS1_3repE0EEENS1_30default_config_static_selectorELNS0_4arch9wavefront6targetE1EEEvT1_,comdat
.Lfunc_end2246:
	.size	_ZN7rocprim17ROCPRIM_400000_NS6detail17trampoline_kernelINS0_14default_configENS1_20scan_config_selectorIjEEZZNS1_9scan_implILNS1_25lookback_scan_determinismE0ELb0ELb0ES3_N6thrust23THRUST_200600_302600_NS6detail15normal_iteratorINS9_10device_ptrIjEEEESE_j11max_functorIjEjEEDaPvRmT3_T4_T5_mT6_P12ihipStream_tbENKUlT_T0_E_clISt17integral_constantIbLb0EESU_EEDaSP_SQ_EUlSP_E_NS1_11comp_targetILNS1_3genE0ELNS1_11target_archE4294967295ELNS1_3gpuE0ELNS1_3repE0EEENS1_30default_config_static_selectorELNS0_4arch9wavefront6targetE1EEEvT1_, .Lfunc_end2246-_ZN7rocprim17ROCPRIM_400000_NS6detail17trampoline_kernelINS0_14default_configENS1_20scan_config_selectorIjEEZZNS1_9scan_implILNS1_25lookback_scan_determinismE0ELb0ELb0ES3_N6thrust23THRUST_200600_302600_NS6detail15normal_iteratorINS9_10device_ptrIjEEEESE_j11max_functorIjEjEEDaPvRmT3_T4_T5_mT6_P12ihipStream_tbENKUlT_T0_E_clISt17integral_constantIbLb0EESU_EEDaSP_SQ_EUlSP_E_NS1_11comp_targetILNS1_3genE0ELNS1_11target_archE4294967295ELNS1_3gpuE0ELNS1_3repE0EEENS1_30default_config_static_selectorELNS0_4arch9wavefront6targetE1EEEvT1_
                                        ; -- End function
	.section	.AMDGPU.csdata,"",@progbits
; Kernel info:
; codeLenInByte = 0
; NumSgprs: 4
; NumVgprs: 0
; NumAgprs: 0
; TotalNumVgprs: 0
; ScratchSize: 0
; MemoryBound: 0
; FloatMode: 240
; IeeeMode: 1
; LDSByteSize: 0 bytes/workgroup (compile time only)
; SGPRBlocks: 0
; VGPRBlocks: 0
; NumSGPRsForWavesPerEU: 4
; NumVGPRsForWavesPerEU: 1
; AccumOffset: 4
; Occupancy: 8
; WaveLimiterHint : 0
; COMPUTE_PGM_RSRC2:SCRATCH_EN: 0
; COMPUTE_PGM_RSRC2:USER_SGPR: 6
; COMPUTE_PGM_RSRC2:TRAP_HANDLER: 0
; COMPUTE_PGM_RSRC2:TGID_X_EN: 1
; COMPUTE_PGM_RSRC2:TGID_Y_EN: 0
; COMPUTE_PGM_RSRC2:TGID_Z_EN: 0
; COMPUTE_PGM_RSRC2:TIDIG_COMP_CNT: 0
; COMPUTE_PGM_RSRC3_GFX90A:ACCUM_OFFSET: 0
; COMPUTE_PGM_RSRC3_GFX90A:TG_SPLIT: 0
	.section	.text._ZN7rocprim17ROCPRIM_400000_NS6detail17trampoline_kernelINS0_14default_configENS1_20scan_config_selectorIjEEZZNS1_9scan_implILNS1_25lookback_scan_determinismE0ELb0ELb0ES3_N6thrust23THRUST_200600_302600_NS6detail15normal_iteratorINS9_10device_ptrIjEEEESE_j11max_functorIjEjEEDaPvRmT3_T4_T5_mT6_P12ihipStream_tbENKUlT_T0_E_clISt17integral_constantIbLb0EESU_EEDaSP_SQ_EUlSP_E_NS1_11comp_targetILNS1_3genE5ELNS1_11target_archE942ELNS1_3gpuE9ELNS1_3repE0EEENS1_30default_config_static_selectorELNS0_4arch9wavefront6targetE1EEEvT1_,"axG",@progbits,_ZN7rocprim17ROCPRIM_400000_NS6detail17trampoline_kernelINS0_14default_configENS1_20scan_config_selectorIjEEZZNS1_9scan_implILNS1_25lookback_scan_determinismE0ELb0ELb0ES3_N6thrust23THRUST_200600_302600_NS6detail15normal_iteratorINS9_10device_ptrIjEEEESE_j11max_functorIjEjEEDaPvRmT3_T4_T5_mT6_P12ihipStream_tbENKUlT_T0_E_clISt17integral_constantIbLb0EESU_EEDaSP_SQ_EUlSP_E_NS1_11comp_targetILNS1_3genE5ELNS1_11target_archE942ELNS1_3gpuE9ELNS1_3repE0EEENS1_30default_config_static_selectorELNS0_4arch9wavefront6targetE1EEEvT1_,comdat
	.protected	_ZN7rocprim17ROCPRIM_400000_NS6detail17trampoline_kernelINS0_14default_configENS1_20scan_config_selectorIjEEZZNS1_9scan_implILNS1_25lookback_scan_determinismE0ELb0ELb0ES3_N6thrust23THRUST_200600_302600_NS6detail15normal_iteratorINS9_10device_ptrIjEEEESE_j11max_functorIjEjEEDaPvRmT3_T4_T5_mT6_P12ihipStream_tbENKUlT_T0_E_clISt17integral_constantIbLb0EESU_EEDaSP_SQ_EUlSP_E_NS1_11comp_targetILNS1_3genE5ELNS1_11target_archE942ELNS1_3gpuE9ELNS1_3repE0EEENS1_30default_config_static_selectorELNS0_4arch9wavefront6targetE1EEEvT1_ ; -- Begin function _ZN7rocprim17ROCPRIM_400000_NS6detail17trampoline_kernelINS0_14default_configENS1_20scan_config_selectorIjEEZZNS1_9scan_implILNS1_25lookback_scan_determinismE0ELb0ELb0ES3_N6thrust23THRUST_200600_302600_NS6detail15normal_iteratorINS9_10device_ptrIjEEEESE_j11max_functorIjEjEEDaPvRmT3_T4_T5_mT6_P12ihipStream_tbENKUlT_T0_E_clISt17integral_constantIbLb0EESU_EEDaSP_SQ_EUlSP_E_NS1_11comp_targetILNS1_3genE5ELNS1_11target_archE942ELNS1_3gpuE9ELNS1_3repE0EEENS1_30default_config_static_selectorELNS0_4arch9wavefront6targetE1EEEvT1_
	.globl	_ZN7rocprim17ROCPRIM_400000_NS6detail17trampoline_kernelINS0_14default_configENS1_20scan_config_selectorIjEEZZNS1_9scan_implILNS1_25lookback_scan_determinismE0ELb0ELb0ES3_N6thrust23THRUST_200600_302600_NS6detail15normal_iteratorINS9_10device_ptrIjEEEESE_j11max_functorIjEjEEDaPvRmT3_T4_T5_mT6_P12ihipStream_tbENKUlT_T0_E_clISt17integral_constantIbLb0EESU_EEDaSP_SQ_EUlSP_E_NS1_11comp_targetILNS1_3genE5ELNS1_11target_archE942ELNS1_3gpuE9ELNS1_3repE0EEENS1_30default_config_static_selectorELNS0_4arch9wavefront6targetE1EEEvT1_
	.p2align	8
	.type	_ZN7rocprim17ROCPRIM_400000_NS6detail17trampoline_kernelINS0_14default_configENS1_20scan_config_selectorIjEEZZNS1_9scan_implILNS1_25lookback_scan_determinismE0ELb0ELb0ES3_N6thrust23THRUST_200600_302600_NS6detail15normal_iteratorINS9_10device_ptrIjEEEESE_j11max_functorIjEjEEDaPvRmT3_T4_T5_mT6_P12ihipStream_tbENKUlT_T0_E_clISt17integral_constantIbLb0EESU_EEDaSP_SQ_EUlSP_E_NS1_11comp_targetILNS1_3genE5ELNS1_11target_archE942ELNS1_3gpuE9ELNS1_3repE0EEENS1_30default_config_static_selectorELNS0_4arch9wavefront6targetE1EEEvT1_,@function
_ZN7rocprim17ROCPRIM_400000_NS6detail17trampoline_kernelINS0_14default_configENS1_20scan_config_selectorIjEEZZNS1_9scan_implILNS1_25lookback_scan_determinismE0ELb0ELb0ES3_N6thrust23THRUST_200600_302600_NS6detail15normal_iteratorINS9_10device_ptrIjEEEESE_j11max_functorIjEjEEDaPvRmT3_T4_T5_mT6_P12ihipStream_tbENKUlT_T0_E_clISt17integral_constantIbLb0EESU_EEDaSP_SQ_EUlSP_E_NS1_11comp_targetILNS1_3genE5ELNS1_11target_archE942ELNS1_3gpuE9ELNS1_3repE0EEENS1_30default_config_static_selectorELNS0_4arch9wavefront6targetE1EEEvT1_: ; @_ZN7rocprim17ROCPRIM_400000_NS6detail17trampoline_kernelINS0_14default_configENS1_20scan_config_selectorIjEEZZNS1_9scan_implILNS1_25lookback_scan_determinismE0ELb0ELb0ES3_N6thrust23THRUST_200600_302600_NS6detail15normal_iteratorINS9_10device_ptrIjEEEESE_j11max_functorIjEjEEDaPvRmT3_T4_T5_mT6_P12ihipStream_tbENKUlT_T0_E_clISt17integral_constantIbLb0EESU_EEDaSP_SQ_EUlSP_E_NS1_11comp_targetILNS1_3genE5ELNS1_11target_archE942ELNS1_3gpuE9ELNS1_3repE0EEENS1_30default_config_static_selectorELNS0_4arch9wavefront6targetE1EEEvT1_
; %bb.0:
	.section	.rodata,"a",@progbits
	.p2align	6, 0x0
	.amdhsa_kernel _ZN7rocprim17ROCPRIM_400000_NS6detail17trampoline_kernelINS0_14default_configENS1_20scan_config_selectorIjEEZZNS1_9scan_implILNS1_25lookback_scan_determinismE0ELb0ELb0ES3_N6thrust23THRUST_200600_302600_NS6detail15normal_iteratorINS9_10device_ptrIjEEEESE_j11max_functorIjEjEEDaPvRmT3_T4_T5_mT6_P12ihipStream_tbENKUlT_T0_E_clISt17integral_constantIbLb0EESU_EEDaSP_SQ_EUlSP_E_NS1_11comp_targetILNS1_3genE5ELNS1_11target_archE942ELNS1_3gpuE9ELNS1_3repE0EEENS1_30default_config_static_selectorELNS0_4arch9wavefront6targetE1EEEvT1_
		.amdhsa_group_segment_fixed_size 0
		.amdhsa_private_segment_fixed_size 0
		.amdhsa_kernarg_size 96
		.amdhsa_user_sgpr_count 6
		.amdhsa_user_sgpr_private_segment_buffer 1
		.amdhsa_user_sgpr_dispatch_ptr 0
		.amdhsa_user_sgpr_queue_ptr 0
		.amdhsa_user_sgpr_kernarg_segment_ptr 1
		.amdhsa_user_sgpr_dispatch_id 0
		.amdhsa_user_sgpr_flat_scratch_init 0
		.amdhsa_user_sgpr_kernarg_preload_length 0
		.amdhsa_user_sgpr_kernarg_preload_offset 0
		.amdhsa_user_sgpr_private_segment_size 0
		.amdhsa_uses_dynamic_stack 0
		.amdhsa_system_sgpr_private_segment_wavefront_offset 0
		.amdhsa_system_sgpr_workgroup_id_x 1
		.amdhsa_system_sgpr_workgroup_id_y 0
		.amdhsa_system_sgpr_workgroup_id_z 0
		.amdhsa_system_sgpr_workgroup_info 0
		.amdhsa_system_vgpr_workitem_id 0
		.amdhsa_next_free_vgpr 1
		.amdhsa_next_free_sgpr 0
		.amdhsa_accum_offset 4
		.amdhsa_reserve_vcc 0
		.amdhsa_reserve_flat_scratch 0
		.amdhsa_float_round_mode_32 0
		.amdhsa_float_round_mode_16_64 0
		.amdhsa_float_denorm_mode_32 3
		.amdhsa_float_denorm_mode_16_64 3
		.amdhsa_dx10_clamp 1
		.amdhsa_ieee_mode 1
		.amdhsa_fp16_overflow 0
		.amdhsa_tg_split 0
		.amdhsa_exception_fp_ieee_invalid_op 0
		.amdhsa_exception_fp_denorm_src 0
		.amdhsa_exception_fp_ieee_div_zero 0
		.amdhsa_exception_fp_ieee_overflow 0
		.amdhsa_exception_fp_ieee_underflow 0
		.amdhsa_exception_fp_ieee_inexact 0
		.amdhsa_exception_int_div_zero 0
	.end_amdhsa_kernel
	.section	.text._ZN7rocprim17ROCPRIM_400000_NS6detail17trampoline_kernelINS0_14default_configENS1_20scan_config_selectorIjEEZZNS1_9scan_implILNS1_25lookback_scan_determinismE0ELb0ELb0ES3_N6thrust23THRUST_200600_302600_NS6detail15normal_iteratorINS9_10device_ptrIjEEEESE_j11max_functorIjEjEEDaPvRmT3_T4_T5_mT6_P12ihipStream_tbENKUlT_T0_E_clISt17integral_constantIbLb0EESU_EEDaSP_SQ_EUlSP_E_NS1_11comp_targetILNS1_3genE5ELNS1_11target_archE942ELNS1_3gpuE9ELNS1_3repE0EEENS1_30default_config_static_selectorELNS0_4arch9wavefront6targetE1EEEvT1_,"axG",@progbits,_ZN7rocprim17ROCPRIM_400000_NS6detail17trampoline_kernelINS0_14default_configENS1_20scan_config_selectorIjEEZZNS1_9scan_implILNS1_25lookback_scan_determinismE0ELb0ELb0ES3_N6thrust23THRUST_200600_302600_NS6detail15normal_iteratorINS9_10device_ptrIjEEEESE_j11max_functorIjEjEEDaPvRmT3_T4_T5_mT6_P12ihipStream_tbENKUlT_T0_E_clISt17integral_constantIbLb0EESU_EEDaSP_SQ_EUlSP_E_NS1_11comp_targetILNS1_3genE5ELNS1_11target_archE942ELNS1_3gpuE9ELNS1_3repE0EEENS1_30default_config_static_selectorELNS0_4arch9wavefront6targetE1EEEvT1_,comdat
.Lfunc_end2247:
	.size	_ZN7rocprim17ROCPRIM_400000_NS6detail17trampoline_kernelINS0_14default_configENS1_20scan_config_selectorIjEEZZNS1_9scan_implILNS1_25lookback_scan_determinismE0ELb0ELb0ES3_N6thrust23THRUST_200600_302600_NS6detail15normal_iteratorINS9_10device_ptrIjEEEESE_j11max_functorIjEjEEDaPvRmT3_T4_T5_mT6_P12ihipStream_tbENKUlT_T0_E_clISt17integral_constantIbLb0EESU_EEDaSP_SQ_EUlSP_E_NS1_11comp_targetILNS1_3genE5ELNS1_11target_archE942ELNS1_3gpuE9ELNS1_3repE0EEENS1_30default_config_static_selectorELNS0_4arch9wavefront6targetE1EEEvT1_, .Lfunc_end2247-_ZN7rocprim17ROCPRIM_400000_NS6detail17trampoline_kernelINS0_14default_configENS1_20scan_config_selectorIjEEZZNS1_9scan_implILNS1_25lookback_scan_determinismE0ELb0ELb0ES3_N6thrust23THRUST_200600_302600_NS6detail15normal_iteratorINS9_10device_ptrIjEEEESE_j11max_functorIjEjEEDaPvRmT3_T4_T5_mT6_P12ihipStream_tbENKUlT_T0_E_clISt17integral_constantIbLb0EESU_EEDaSP_SQ_EUlSP_E_NS1_11comp_targetILNS1_3genE5ELNS1_11target_archE942ELNS1_3gpuE9ELNS1_3repE0EEENS1_30default_config_static_selectorELNS0_4arch9wavefront6targetE1EEEvT1_
                                        ; -- End function
	.section	.AMDGPU.csdata,"",@progbits
; Kernel info:
; codeLenInByte = 0
; NumSgprs: 4
; NumVgprs: 0
; NumAgprs: 0
; TotalNumVgprs: 0
; ScratchSize: 0
; MemoryBound: 0
; FloatMode: 240
; IeeeMode: 1
; LDSByteSize: 0 bytes/workgroup (compile time only)
; SGPRBlocks: 0
; VGPRBlocks: 0
; NumSGPRsForWavesPerEU: 4
; NumVGPRsForWavesPerEU: 1
; AccumOffset: 4
; Occupancy: 8
; WaveLimiterHint : 0
; COMPUTE_PGM_RSRC2:SCRATCH_EN: 0
; COMPUTE_PGM_RSRC2:USER_SGPR: 6
; COMPUTE_PGM_RSRC2:TRAP_HANDLER: 0
; COMPUTE_PGM_RSRC2:TGID_X_EN: 1
; COMPUTE_PGM_RSRC2:TGID_Y_EN: 0
; COMPUTE_PGM_RSRC2:TGID_Z_EN: 0
; COMPUTE_PGM_RSRC2:TIDIG_COMP_CNT: 0
; COMPUTE_PGM_RSRC3_GFX90A:ACCUM_OFFSET: 0
; COMPUTE_PGM_RSRC3_GFX90A:TG_SPLIT: 0
	.section	.text._ZN7rocprim17ROCPRIM_400000_NS6detail17trampoline_kernelINS0_14default_configENS1_20scan_config_selectorIjEEZZNS1_9scan_implILNS1_25lookback_scan_determinismE0ELb0ELb0ES3_N6thrust23THRUST_200600_302600_NS6detail15normal_iteratorINS9_10device_ptrIjEEEESE_j11max_functorIjEjEEDaPvRmT3_T4_T5_mT6_P12ihipStream_tbENKUlT_T0_E_clISt17integral_constantIbLb0EESU_EEDaSP_SQ_EUlSP_E_NS1_11comp_targetILNS1_3genE4ELNS1_11target_archE910ELNS1_3gpuE8ELNS1_3repE0EEENS1_30default_config_static_selectorELNS0_4arch9wavefront6targetE1EEEvT1_,"axG",@progbits,_ZN7rocprim17ROCPRIM_400000_NS6detail17trampoline_kernelINS0_14default_configENS1_20scan_config_selectorIjEEZZNS1_9scan_implILNS1_25lookback_scan_determinismE0ELb0ELb0ES3_N6thrust23THRUST_200600_302600_NS6detail15normal_iteratorINS9_10device_ptrIjEEEESE_j11max_functorIjEjEEDaPvRmT3_T4_T5_mT6_P12ihipStream_tbENKUlT_T0_E_clISt17integral_constantIbLb0EESU_EEDaSP_SQ_EUlSP_E_NS1_11comp_targetILNS1_3genE4ELNS1_11target_archE910ELNS1_3gpuE8ELNS1_3repE0EEENS1_30default_config_static_selectorELNS0_4arch9wavefront6targetE1EEEvT1_,comdat
	.protected	_ZN7rocprim17ROCPRIM_400000_NS6detail17trampoline_kernelINS0_14default_configENS1_20scan_config_selectorIjEEZZNS1_9scan_implILNS1_25lookback_scan_determinismE0ELb0ELb0ES3_N6thrust23THRUST_200600_302600_NS6detail15normal_iteratorINS9_10device_ptrIjEEEESE_j11max_functorIjEjEEDaPvRmT3_T4_T5_mT6_P12ihipStream_tbENKUlT_T0_E_clISt17integral_constantIbLb0EESU_EEDaSP_SQ_EUlSP_E_NS1_11comp_targetILNS1_3genE4ELNS1_11target_archE910ELNS1_3gpuE8ELNS1_3repE0EEENS1_30default_config_static_selectorELNS0_4arch9wavefront6targetE1EEEvT1_ ; -- Begin function _ZN7rocprim17ROCPRIM_400000_NS6detail17trampoline_kernelINS0_14default_configENS1_20scan_config_selectorIjEEZZNS1_9scan_implILNS1_25lookback_scan_determinismE0ELb0ELb0ES3_N6thrust23THRUST_200600_302600_NS6detail15normal_iteratorINS9_10device_ptrIjEEEESE_j11max_functorIjEjEEDaPvRmT3_T4_T5_mT6_P12ihipStream_tbENKUlT_T0_E_clISt17integral_constantIbLb0EESU_EEDaSP_SQ_EUlSP_E_NS1_11comp_targetILNS1_3genE4ELNS1_11target_archE910ELNS1_3gpuE8ELNS1_3repE0EEENS1_30default_config_static_selectorELNS0_4arch9wavefront6targetE1EEEvT1_
	.globl	_ZN7rocprim17ROCPRIM_400000_NS6detail17trampoline_kernelINS0_14default_configENS1_20scan_config_selectorIjEEZZNS1_9scan_implILNS1_25lookback_scan_determinismE0ELb0ELb0ES3_N6thrust23THRUST_200600_302600_NS6detail15normal_iteratorINS9_10device_ptrIjEEEESE_j11max_functorIjEjEEDaPvRmT3_T4_T5_mT6_P12ihipStream_tbENKUlT_T0_E_clISt17integral_constantIbLb0EESU_EEDaSP_SQ_EUlSP_E_NS1_11comp_targetILNS1_3genE4ELNS1_11target_archE910ELNS1_3gpuE8ELNS1_3repE0EEENS1_30default_config_static_selectorELNS0_4arch9wavefront6targetE1EEEvT1_
	.p2align	8
	.type	_ZN7rocprim17ROCPRIM_400000_NS6detail17trampoline_kernelINS0_14default_configENS1_20scan_config_selectorIjEEZZNS1_9scan_implILNS1_25lookback_scan_determinismE0ELb0ELb0ES3_N6thrust23THRUST_200600_302600_NS6detail15normal_iteratorINS9_10device_ptrIjEEEESE_j11max_functorIjEjEEDaPvRmT3_T4_T5_mT6_P12ihipStream_tbENKUlT_T0_E_clISt17integral_constantIbLb0EESU_EEDaSP_SQ_EUlSP_E_NS1_11comp_targetILNS1_3genE4ELNS1_11target_archE910ELNS1_3gpuE8ELNS1_3repE0EEENS1_30default_config_static_selectorELNS0_4arch9wavefront6targetE1EEEvT1_,@function
_ZN7rocprim17ROCPRIM_400000_NS6detail17trampoline_kernelINS0_14default_configENS1_20scan_config_selectorIjEEZZNS1_9scan_implILNS1_25lookback_scan_determinismE0ELb0ELb0ES3_N6thrust23THRUST_200600_302600_NS6detail15normal_iteratorINS9_10device_ptrIjEEEESE_j11max_functorIjEjEEDaPvRmT3_T4_T5_mT6_P12ihipStream_tbENKUlT_T0_E_clISt17integral_constantIbLb0EESU_EEDaSP_SQ_EUlSP_E_NS1_11comp_targetILNS1_3genE4ELNS1_11target_archE910ELNS1_3gpuE8ELNS1_3repE0EEENS1_30default_config_static_selectorELNS0_4arch9wavefront6targetE1EEEvT1_: ; @_ZN7rocprim17ROCPRIM_400000_NS6detail17trampoline_kernelINS0_14default_configENS1_20scan_config_selectorIjEEZZNS1_9scan_implILNS1_25lookback_scan_determinismE0ELb0ELb0ES3_N6thrust23THRUST_200600_302600_NS6detail15normal_iteratorINS9_10device_ptrIjEEEESE_j11max_functorIjEjEEDaPvRmT3_T4_T5_mT6_P12ihipStream_tbENKUlT_T0_E_clISt17integral_constantIbLb0EESU_EEDaSP_SQ_EUlSP_E_NS1_11comp_targetILNS1_3genE4ELNS1_11target_archE910ELNS1_3gpuE8ELNS1_3repE0EEENS1_30default_config_static_selectorELNS0_4arch9wavefront6targetE1EEEvT1_
; %bb.0:
	s_load_dwordx8 s[8:15], s[4:5], 0x0
	s_load_dword s1, s[4:5], 0x30
	s_mul_i32 s0, s6, 0x500
	v_lshlrev_b32_e32 v22, 2, v0
	s_waitcnt lgkmcnt(0)
	s_lshl_b64 s[16:17], s[10:11], 2
	s_add_u32 s2, s8, s16
	s_addc_u32 s3, s9, s17
	s_add_i32 s7, s1, -1
	s_mul_i32 s8, s7, 0x500
	s_sub_u32 s24, s14, s8
	s_subb_u32 s25, s15, 0
	s_mov_b32 s1, 0
	s_cmp_lg_u32 s6, s7
	s_cselect_b64 s[14:15], -1, 0
	s_lshl_b64 s[18:19], s[0:1], 2
	s_add_u32 s2, s2, s18
	s_addc_u32 s3, s3, s19
	s_mov_b64 s[0:1], -1
	s_and_b64 vcc, exec, s[14:15]
	s_cbranch_vccz .LBB2248_2
; %bb.1:
	v_mov_b32_e32 v1, s3
	v_add_co_u32_e32 v2, vcc, s2, v22
	v_addc_co_u32_e32 v3, vcc, 0, v1, vcc
	flat_load_dword v1, v[2:3]
	flat_load_dword v4, v[2:3] offset:512
	flat_load_dword v5, v[2:3] offset:1024
	;; [unrolled: 1-line block ×7, first 2 shown]
	v_add_co_u32_e32 v2, vcc, 0x1000, v2
	v_addc_co_u32_e32 v3, vcc, 0, v3, vcc
	flat_load_dword v11, v[2:3]
	flat_load_dword v12, v[2:3] offset:512
	s_mov_b64 s[0:1], 0
	s_waitcnt vmcnt(0) lgkmcnt(0)
	ds_write2st64_b32 v22, v1, v4 offset1:2
	ds_write2st64_b32 v22, v5, v6 offset0:4 offset1:6
	ds_write2st64_b32 v22, v7, v8 offset0:8 offset1:10
	;; [unrolled: 1-line block ×4, first 2 shown]
	s_waitcnt lgkmcnt(0)
	s_barrier
.LBB2248_2:
	s_load_dwordx2 s[20:21], s[4:5], 0x28
	s_andn2_b64 vcc, exec, s[0:1]
	v_cmp_gt_u32_e64 s[0:1], s24, v0
	s_cbranch_vccnz .LBB2248_24
; %bb.3:
	v_pk_mov_b32 v[2:3], s[2:3], s[2:3] op_sel:[0,1]
	flat_load_dword v1, v[2:3]
	s_waitcnt vmcnt(0) lgkmcnt(0)
	v_mov_b32_e32 v2, v1
	v_mov_b32_e32 v3, v1
	;; [unrolled: 1-line block ×9, first 2 shown]
	s_and_saveexec_b64 s[8:9], s[0:1]
	s_cbranch_execz .LBB2248_5
; %bb.4:
	v_mov_b32_e32 v11, s3
	v_add_co_u32_e32 v10, vcc, s2, v22
	v_addc_co_u32_e32 v11, vcc, 0, v11, vcc
	flat_load_dword v10, v[10:11]
.LBB2248_5:
	s_or_b64 exec, exec, s[8:9]
	v_or_b32_e32 v11, 0x80, v0
	v_cmp_gt_u32_e32 vcc, s24, v11
	s_and_saveexec_b64 s[0:1], vcc
	s_cbranch_execz .LBB2248_7
; %bb.6:
	v_mov_b32_e32 v1, s3
	v_add_co_u32_e32 v12, vcc, s2, v22
	v_addc_co_u32_e32 v13, vcc, 0, v1, vcc
	flat_load_dword v1, v[12:13] offset:512
.LBB2248_7:
	s_or_b64 exec, exec, s[0:1]
	v_or_b32_e32 v11, 0x100, v0
	v_cmp_gt_u32_e32 vcc, s24, v11
	s_and_saveexec_b64 s[0:1], vcc
	s_cbranch_execz .LBB2248_9
; %bb.8:
	v_mov_b32_e32 v2, s3
	v_add_co_u32_e32 v12, vcc, s2, v22
	v_addc_co_u32_e32 v13, vcc, 0, v2, vcc
	flat_load_dword v2, v[12:13] offset:1024
.LBB2248_9:
	;; [unrolled: 11-line block ×7, first 2 shown]
	s_or_b64 exec, exec, s[0:1]
	v_or_b32_e32 v11, 0x400, v0
	v_cmp_gt_u32_e32 vcc, s24, v11
	s_and_saveexec_b64 s[0:1], vcc
	s_cbranch_execz .LBB2248_21
; %bb.20:
	v_lshlrev_b32_e32 v8, 2, v11
	v_mov_b32_e32 v11, s3
	v_add_co_u32_e32 v12, vcc, s2, v8
	v_addc_co_u32_e32 v13, vcc, 0, v11, vcc
	flat_load_dword v8, v[12:13]
.LBB2248_21:
	s_or_b64 exec, exec, s[0:1]
	v_or_b32_e32 v11, 0x480, v0
	v_cmp_gt_u32_e32 vcc, s24, v11
	s_and_saveexec_b64 s[0:1], vcc
	s_cbranch_execz .LBB2248_23
; %bb.22:
	v_lshlrev_b32_e32 v9, 2, v11
	v_mov_b32_e32 v11, s3
	v_add_co_u32_e32 v12, vcc, s2, v9
	v_addc_co_u32_e32 v13, vcc, 0, v11, vcc
	flat_load_dword v9, v[12:13]
.LBB2248_23:
	s_or_b64 exec, exec, s[0:1]
	s_waitcnt vmcnt(0) lgkmcnt(0)
	ds_write2st64_b32 v22, v10, v1 offset1:2
	ds_write2st64_b32 v22, v2, v3 offset0:4 offset1:6
	ds_write2st64_b32 v22, v4, v5 offset0:8 offset1:10
	;; [unrolled: 1-line block ×4, first 2 shown]
	s_waitcnt lgkmcnt(0)
	s_barrier
.LBB2248_24:
	v_mul_u32_u24_e32 v23, 10, v0
	v_lshlrev_b32_e32 v24, 2, v23
	s_waitcnt lgkmcnt(0)
	ds_read2_b64 v[2:5], v24 offset1:1
	ds_read2_b64 v[16:19], v24 offset0:2 offset1:3
	ds_read_b64 v[20:21], v24 offset:32
	s_cmp_lg_u32 s6, 0
	v_lshrrev_b32_e32 v1, 5, v0
	v_cmp_gt_u32_e32 vcc, 64, v0
	s_waitcnt lgkmcnt(0)
	s_barrier
	s_cbranch_scc0 .LBB2248_49
; %bb.25:
	v_max_u32_e32 v6, v2, v3
	v_max3_u32 v6, v6, v4, v5
	v_max3_u32 v6, v6, v16, v17
	v_max3_u32 v6, v6, v18, v19
	v_max3_u32 v25, v6, v20, v21
	v_add_lshl_u32 v6, v1, v0, 2
	ds_write_b32 v6, v25
	s_waitcnt lgkmcnt(0)
	s_barrier
	s_and_saveexec_b64 s[2:3], vcc
	s_cbranch_execz .LBB2248_27
; %bb.26:
	v_lshlrev_b32_e32 v6, 1, v0
	v_lshrrev_b32_e32 v7, 4, v0
	v_add_lshl_u32 v8, v7, v6, 2
	ds_read2_b32 v[6:7], v8 offset1:1
	v_mbcnt_lo_u32_b32 v9, -1, 0
	v_mbcnt_hi_u32_b32 v9, -1, v9
	v_and_b32_e32 v10, 15, v9
	v_cmp_eq_u32_e64 s[0:1], 0, v10
	s_waitcnt lgkmcnt(0)
	v_max_u32_e32 v7, v6, v7
	; wave barrier
	s_nop 1
	v_mov_b32_dpp v11, v7 row_shr:1 row_mask:0xf bank_mask:0xf
	v_max_u32_e32 v11, v11, v7
	v_cndmask_b32_e64 v7, v11, v7, s[0:1]
	v_cmp_lt_u32_e64 s[0:1], 1, v10
	s_nop 0
	v_mov_b32_dpp v11, v7 row_shr:2 row_mask:0xf bank_mask:0xf
	v_max_u32_e32 v11, v11, v7
	v_cndmask_b32_e64 v7, v7, v11, s[0:1]
	v_cmp_lt_u32_e64 s[0:1], 3, v10
	;; [unrolled: 5-line block ×3, first 2 shown]
	s_nop 0
	v_mov_b32_dpp v11, v7 row_shr:8 row_mask:0xf bank_mask:0xf
	v_max_u32_e32 v11, v11, v7
	v_cndmask_b32_e64 v7, v7, v11, s[0:1]
	v_and_b32_e32 v11, 16, v9
	v_cmp_eq_u32_e64 s[0:1], 0, v11
	v_mov_b32_dpp v10, v7 row_bcast:15 row_mask:0xf bank_mask:0xf
	v_max_u32_e32 v10, v10, v7
	v_cndmask_b32_e64 v7, v10, v7, s[0:1]
	v_cmp_lt_u32_e64 s[0:1], 31, v9
	v_and_b32_e32 v11, 64, v9
	v_mov_b32_dpp v10, v7 row_bcast:31 row_mask:0xf bank_mask:0xf
	v_max_u32_e32 v10, v10, v7
	v_cndmask_b32_e64 v7, v7, v10, s[0:1]
	v_add_u32_e32 v10, -1, v9
	v_cmp_lt_i32_e64 s[0:1], v10, v11
	v_cndmask_b32_e64 v9, v10, v9, s[0:1]
	v_lshlrev_b32_e32 v9, 2, v9
	ds_bpermute_b32 v7, v9, v7
	v_cmp_eq_u32_e64 s[0:1], 0, v0
	s_waitcnt lgkmcnt(0)
	v_max_u32_e32 v6, v7, v6
	v_cndmask_b32_e64 v6, v6, v25, s[0:1]
	ds_write_b32 v8, v6
	; wave barrier
	ds_read_b32 v7, v8 offset:4
	s_waitcnt lgkmcnt(0)
	v_max_u32_e32 v6, v6, v7
	ds_write_b32 v8, v6 offset:4
.LBB2248_27:
	s_or_b64 exec, exec, s[2:3]
	v_cmp_eq_u32_e64 s[0:1], 0, v0
	v_cmp_ne_u32_e64 s[2:3], 0, v0
	s_waitcnt lgkmcnt(0)
	s_barrier
	s_and_saveexec_b64 s[8:9], s[2:3]
	s_cbranch_execz .LBB2248_29
; %bb.28:
	v_add_u32_e32 v6, -1, v0
	v_lshrrev_b32_e32 v7, 5, v6
	v_add_lshl_u32 v6, v7, v6, 2
	ds_read_b32 v25, v6
.LBB2248_29:
	s_or_b64 exec, exec, s[8:9]
	s_and_saveexec_b64 s[8:9], vcc
	s_cbranch_execz .LBB2248_48
; %bb.30:
	v_mov_b32_e32 v13, 0
	ds_read_b32 v6, v13 offset:520
	v_mbcnt_lo_u32_b32 v7, -1, 0
	v_mbcnt_hi_u32_b32 v9, -1, v7
	s_mov_b32 s23, 0
	v_cmp_eq_u32_e64 s[2:3], 0, v9
	s_and_saveexec_b64 s[10:11], s[2:3]
	s_cbranch_execz .LBB2248_32
; %bb.31:
	s_add_i32 s22, s6, 64
	s_lshl_b64 s[22:23], s[22:23], 3
	s_add_u32 s22, s20, s22
	v_mov_b32_e32 v7, 1
	s_addc_u32 s23, s21, s23
	s_waitcnt lgkmcnt(0)
	global_store_dwordx2 v13, v[6:7], s[22:23]
.LBB2248_32:
	s_or_b64 exec, exec, s[10:11]
	v_xad_u32 v8, v9, -1, s6
	v_add_u32_e32 v12, 64, v8
	v_lshlrev_b64 v[10:11], 3, v[12:13]
	v_mov_b32_e32 v7, s21
	v_add_co_u32_e32 v14, vcc, s20, v10
	v_addc_co_u32_e32 v15, vcc, v7, v11, vcc
	global_load_dwordx2 v[10:11], v[14:15], off glc
	s_waitcnt vmcnt(0)
	v_cmp_eq_u16_sdwa s[22:23], v11, v13 src0_sel:BYTE_0 src1_sel:DWORD
	s_and_saveexec_b64 s[10:11], s[22:23]
	s_cbranch_execz .LBB2248_36
; %bb.33:
	s_mov_b64 s[22:23], 0
	v_mov_b32_e32 v7, 0
.LBB2248_34:                            ; =>This Inner Loop Header: Depth=1
	global_load_dwordx2 v[10:11], v[14:15], off glc
	s_waitcnt vmcnt(0)
	v_cmp_ne_u16_sdwa s[26:27], v11, v7 src0_sel:BYTE_0 src1_sel:DWORD
	s_or_b64 s[22:23], s[26:27], s[22:23]
	s_andn2_b64 exec, exec, s[22:23]
	s_cbranch_execnz .LBB2248_34
; %bb.35:
	s_or_b64 exec, exec, s[22:23]
.LBB2248_36:
	s_or_b64 exec, exec, s[10:11]
	v_and_b32_e32 v26, 63, v9
	v_cmp_ne_u32_e32 vcc, 63, v26
	v_mov_b32_e32 v7, 2
	v_addc_co_u32_e32 v27, vcc, 0, v9, vcc
	v_cmp_eq_u16_sdwa s[10:11], v11, v7 src0_sel:BYTE_0 src1_sel:DWORD
	v_lshlrev_b64 v[12:13], v9, -1
	v_lshlrev_b32_e32 v27, 2, v27
	v_and_b32_e32 v14, s11, v13
	ds_bpermute_b32 v28, v27, v10
	v_or_b32_e32 v14, 0x80000000, v14
	v_and_b32_e32 v15, s10, v12
	v_ffbl_b32_e32 v14, v14
	v_add_u32_e32 v14, 32, v14
	v_ffbl_b32_e32 v15, v15
	v_min_u32_e32 v14, v15, v14
	s_waitcnt lgkmcnt(0)
	v_max_u32_e32 v15, v28, v10
	v_cmp_lt_u32_e32 vcc, v26, v14
	v_cndmask_b32_e32 v10, v10, v15, vcc
	v_cmp_gt_u32_e32 vcc, 62, v26
	v_cndmask_b32_e64 v15, 0, 1, vcc
	v_lshlrev_b32_e32 v15, 1, v15
	v_add_lshl_u32 v28, v15, v9, 2
	ds_bpermute_b32 v15, v28, v10
	v_add_u32_e32 v29, 2, v26
	v_cmp_gt_u32_e32 vcc, v29, v14
	v_add_u32_e32 v31, 4, v26
	v_add_u32_e32 v33, 8, v26
	s_waitcnt lgkmcnt(0)
	v_max_u32_e32 v15, v15, v10
	v_cndmask_b32_e32 v10, v15, v10, vcc
	v_cmp_gt_u32_e32 vcc, 60, v26
	v_cndmask_b32_e64 v15, 0, 1, vcc
	v_lshlrev_b32_e32 v15, 2, v15
	v_add_lshl_u32 v30, v15, v9, 2
	ds_bpermute_b32 v15, v30, v10
	v_cmp_gt_u32_e32 vcc, v31, v14
	v_add_u32_e32 v36, 16, v26
	v_add_u32_e32 v38, 32, v26
	s_waitcnt lgkmcnt(0)
	v_max_u32_e32 v15, v15, v10
	v_cndmask_b32_e32 v10, v15, v10, vcc
	v_cmp_gt_u32_e32 vcc, 56, v26
	v_cndmask_b32_e64 v15, 0, 1, vcc
	v_lshlrev_b32_e32 v15, 3, v15
	v_add_lshl_u32 v32, v15, v9, 2
	ds_bpermute_b32 v15, v32, v10
	v_cmp_gt_u32_e32 vcc, v33, v14
	s_waitcnt lgkmcnt(0)
	v_max_u32_e32 v15, v15, v10
	v_cndmask_b32_e32 v10, v15, v10, vcc
	v_cmp_gt_u32_e32 vcc, 48, v26
	v_cndmask_b32_e64 v15, 0, 1, vcc
	v_lshlrev_b32_e32 v15, 4, v15
	v_add_lshl_u32 v34, v15, v9, 2
	ds_bpermute_b32 v15, v34, v10
	v_cmp_gt_u32_e32 vcc, v36, v14
	;; [unrolled: 9-line block ×3, first 2 shown]
	s_waitcnt lgkmcnt(0)
	v_max_u32_e32 v9, v9, v10
	v_cndmask_b32_e32 v10, v9, v10, vcc
	v_mov_b32_e32 v9, 0
	s_branch .LBB2248_38
.LBB2248_37:                            ;   in Loop: Header=BB2248_38 Depth=1
	s_or_b64 exec, exec, s[10:11]
	v_cmp_eq_u16_sdwa s[10:11], v11, v7 src0_sel:BYTE_0 src1_sel:DWORD
	v_and_b32_e32 v14, s11, v13
	ds_bpermute_b32 v39, v27, v10
	v_or_b32_e32 v14, 0x80000000, v14
	v_and_b32_e32 v15, s10, v12
	v_ffbl_b32_e32 v14, v14
	v_add_u32_e32 v14, 32, v14
	v_ffbl_b32_e32 v15, v15
	v_min_u32_e32 v14, v15, v14
	s_waitcnt lgkmcnt(0)
	v_max_u32_e32 v15, v39, v10
	v_cmp_lt_u32_e32 vcc, v26, v14
	v_cndmask_b32_e32 v10, v10, v15, vcc
	ds_bpermute_b32 v15, v28, v10
	v_cmp_gt_u32_e32 vcc, v29, v14
	v_subrev_u32_e32 v8, 64, v8
	s_waitcnt lgkmcnt(0)
	v_max_u32_e32 v15, v15, v10
	v_cndmask_b32_e32 v10, v15, v10, vcc
	ds_bpermute_b32 v15, v30, v10
	v_cmp_gt_u32_e32 vcc, v31, v14
	s_waitcnt lgkmcnt(0)
	v_max_u32_e32 v15, v15, v10
	v_cndmask_b32_e32 v10, v15, v10, vcc
	ds_bpermute_b32 v15, v32, v10
	v_cmp_gt_u32_e32 vcc, v33, v14
	;; [unrolled: 5-line block ×4, first 2 shown]
	s_waitcnt lgkmcnt(0)
	v_max_u32_e32 v15, v15, v10
	v_cndmask_b32_e32 v10, v15, v10, vcc
	v_max_u32_e32 v10, v10, v35
.LBB2248_38:                            ; =>This Loop Header: Depth=1
                                        ;     Child Loop BB2248_41 Depth 2
	v_cmp_ne_u16_sdwa s[10:11], v11, v7 src0_sel:BYTE_0 src1_sel:DWORD
	v_cndmask_b32_e64 v11, 0, 1, s[10:11]
	;;#ASMSTART
	;;#ASMEND
	v_cmp_ne_u32_e32 vcc, 0, v11
	s_cmp_lg_u64 vcc, exec
	v_mov_b32_e32 v35, v10
	s_cbranch_scc1 .LBB2248_43
; %bb.39:                               ;   in Loop: Header=BB2248_38 Depth=1
	v_lshlrev_b64 v[10:11], 3, v[8:9]
	v_mov_b32_e32 v15, s21
	v_add_co_u32_e32 v14, vcc, s20, v10
	v_addc_co_u32_e32 v15, vcc, v15, v11, vcc
	global_load_dwordx2 v[10:11], v[14:15], off glc
	s_waitcnt vmcnt(0)
	v_cmp_eq_u16_sdwa s[22:23], v11, v9 src0_sel:BYTE_0 src1_sel:DWORD
	s_and_saveexec_b64 s[10:11], s[22:23]
	s_cbranch_execz .LBB2248_37
; %bb.40:                               ;   in Loop: Header=BB2248_38 Depth=1
	s_mov_b64 s[22:23], 0
.LBB2248_41:                            ;   Parent Loop BB2248_38 Depth=1
                                        ; =>  This Inner Loop Header: Depth=2
	global_load_dwordx2 v[10:11], v[14:15], off glc
	s_waitcnt vmcnt(0)
	v_cmp_ne_u16_sdwa s[26:27], v11, v9 src0_sel:BYTE_0 src1_sel:DWORD
	s_or_b64 s[22:23], s[26:27], s[22:23]
	s_andn2_b64 exec, exec, s[22:23]
	s_cbranch_execnz .LBB2248_41
; %bb.42:                               ;   in Loop: Header=BB2248_38 Depth=1
	s_or_b64 exec, exec, s[22:23]
	s_branch .LBB2248_37
.LBB2248_43:                            ;   in Loop: Header=BB2248_38 Depth=1
                                        ; implicit-def: $vgpr10
                                        ; implicit-def: $vgpr11
	s_cbranch_execz .LBB2248_38
; %bb.44:
	s_and_saveexec_b64 s[10:11], s[2:3]
	s_cbranch_execz .LBB2248_46
; %bb.45:
	s_add_i32 s2, s6, 64
	s_mov_b32 s3, 0
	s_lshl_b64 s[2:3], s[2:3], 3
	s_add_u32 s2, s20, s2
	v_max_u32_e32 v6, v35, v6
	v_mov_b32_e32 v7, 2
	s_addc_u32 s3, s21, s3
	v_mov_b32_e32 v8, 0
	global_store_dwordx2 v8, v[6:7], s[2:3]
.LBB2248_46:
	s_or_b64 exec, exec, s[10:11]
	s_and_b64 exec, exec, s[0:1]
	s_cbranch_execz .LBB2248_48
; %bb.47:
	v_mov_b32_e32 v6, 0
	ds_write_b32 v6, v35
.LBB2248_48:
	s_or_b64 exec, exec, s[8:9]
	v_mov_b32_e32 v6, 0
	s_waitcnt lgkmcnt(0)
	s_barrier
	ds_read_b32 v6, v6
	v_max_u32_e32 v7, v25, v2
	v_cndmask_b32_e64 v7, v7, v2, s[0:1]
	s_waitcnt lgkmcnt(0)
	v_max_u32_e32 v6, v6, v7
	v_max_u32_e32 v7, v6, v3
	v_max_u32_e32 v8, v7, v4
	v_max_u32_e32 v9, v8, v5
	v_max_u32_e32 v10, v9, v16
	v_max_u32_e32 v11, v10, v17
	v_max_u32_e32 v12, v11, v18
	v_max_u32_e32 v13, v12, v19
	v_max_u32_e32 v14, v13, v20
	v_max_u32_e32 v15, v14, v21
	s_load_dwordx8 s[4:11], s[4:5], 0x38
	s_branch .LBB2248_61
.LBB2248_49:
                                        ; implicit-def: $vgpr6_vgpr7_vgpr8_vgpr9_vgpr10_vgpr11_vgpr12_vgpr13_vgpr14_vgpr15
	s_load_dwordx8 s[4:11], s[4:5], 0x38
	s_cbranch_execz .LBB2248_61
; %bb.50:
	s_waitcnt lgkmcnt(0)
	s_cmp_lg_u64 s[8:9], 0
	s_cselect_b64 s[2:3], -1, 0
	v_cmp_eq_u32_e64 s[0:1], 0, v0
	v_cmp_ne_u32_e32 vcc, 0, v0
	s_and_b64 s[8:9], s[0:1], s[2:3]
	v_mov_b32_e32 v12, v3
	v_mov_b32_e32 v13, v4
	v_mov_b32_e32 v14, v5
	s_and_saveexec_b64 s[2:3], s[8:9]
	s_cbranch_execz .LBB2248_52
; %bb.51:
	v_mov_b32_e32 v6, 0
	global_load_dword v6, v6, s[4:5]
	v_mov_b32_e32 v12, v3
	v_mov_b32_e32 v13, v4
	;; [unrolled: 1-line block ×3, first 2 shown]
	s_waitcnt vmcnt(0)
	v_max_u32_e32 v2, v6, v2
.LBB2248_52:
	s_or_b64 exec, exec, s[2:3]
	v_max_u32_e32 v3, v2, v12
	v_max_u32_e32 v4, v3, v13
	;; [unrolled: 1-line block ×9, first 2 shown]
	v_add_lshl_u32 v1, v1, v0, 2
	v_cmp_gt_u32_e64 s[2:3], 64, v0
	ds_write_b32 v1, v11
	s_waitcnt lgkmcnt(0)
	s_barrier
	s_and_saveexec_b64 s[4:5], s[2:3]
	s_cbranch_execz .LBB2248_54
; %bb.53:
	v_lshlrev_b32_e32 v1, 1, v0
	v_lshrrev_b32_e32 v15, 4, v0
	v_add_lshl_u32 v1, v15, v1, 2
	ds_read2_b32 v[26:27], v1 offset1:1
	v_mbcnt_lo_u32_b32 v15, -1, 0
	v_mbcnt_hi_u32_b32 v15, -1, v15
	v_and_b32_e32 v25, 15, v15
	v_cmp_eq_u32_e64 s[2:3], 0, v25
	s_waitcnt lgkmcnt(0)
	v_max_u32_e32 v27, v26, v27
	; wave barrier
	s_nop 1
	v_mov_b32_dpp v28, v27 row_shr:1 row_mask:0xf bank_mask:0xf
	v_max_u32_e32 v28, v28, v27
	v_cndmask_b32_e64 v27, v28, v27, s[2:3]
	v_cmp_lt_u32_e64 s[2:3], 1, v25
	s_nop 0
	v_mov_b32_dpp v28, v27 row_shr:2 row_mask:0xf bank_mask:0xf
	v_max_u32_e32 v28, v28, v27
	v_cndmask_b32_e64 v27, v27, v28, s[2:3]
	v_cmp_lt_u32_e64 s[2:3], 3, v25
	;; [unrolled: 5-line block ×3, first 2 shown]
	s_nop 0
	v_mov_b32_dpp v28, v27 row_shr:8 row_mask:0xf bank_mask:0xf
	v_max_u32_e32 v28, v28, v27
	v_cndmask_b32_e64 v25, v27, v28, s[2:3]
	v_and_b32_e32 v28, 16, v15
	v_cmp_eq_u32_e64 s[2:3], 0, v28
	v_mov_b32_dpp v27, v25 row_bcast:15 row_mask:0xf bank_mask:0xf
	v_max_u32_e32 v27, v27, v25
	v_cndmask_b32_e64 v25, v27, v25, s[2:3]
	v_cmp_lt_u32_e64 s[2:3], 31, v15
	v_and_b32_e32 v28, 64, v15
	v_mov_b32_dpp v27, v25 row_bcast:31 row_mask:0xf bank_mask:0xf
	v_max_u32_e32 v27, v27, v25
	v_cndmask_b32_e64 v25, v25, v27, s[2:3]
	v_add_u32_e32 v27, -1, v15
	v_cmp_lt_i32_e64 s[2:3], v27, v28
	v_cndmask_b32_e64 v15, v27, v15, s[2:3]
	v_lshlrev_b32_e32 v15, 2, v15
	ds_bpermute_b32 v15, v15, v25
	s_waitcnt lgkmcnt(0)
	v_max_u32_e32 v15, v15, v26
	v_cndmask_b32_e64 v15, v15, v11, s[0:1]
	ds_write_b32 v1, v15
	; wave barrier
	ds_read_b32 v25, v1 offset:4
	s_waitcnt lgkmcnt(0)
	v_max_u32_e32 v15, v15, v25
	ds_write_b32 v1, v15 offset:4
.LBB2248_54:
	s_or_b64 exec, exec, s[4:5]
	v_mov_b32_e32 v1, v11
	s_waitcnt lgkmcnt(0)
	s_barrier
	s_and_saveexec_b64 s[0:1], vcc
	s_cbranch_execz .LBB2248_56
; %bb.55:
	v_add_u32_e32 v1, -1, v0
	v_lshrrev_b32_e32 v15, 5, v1
	v_add_lshl_u32 v1, v15, v1, 2
	ds_read_b32 v1, v1
.LBB2248_56:
	s_or_b64 exec, exec, s[0:1]
	s_and_saveexec_b64 s[0:1], vcc
	s_cbranch_execz .LBB2248_58
; %bb.57:
	s_waitcnt lgkmcnt(0)
	v_max_u32_e32 v2, v1, v2
	v_max_u32_e32 v3, v2, v12
	;; [unrolled: 1-line block ×10, first 2 shown]
	;;#ASMSTART
	;;#ASMEND
.LBB2248_58:
	s_or_b64 exec, exec, s[0:1]
	s_movk_i32 s0, 0x7f
	v_cmp_eq_u32_e32 vcc, s0, v0
	s_and_saveexec_b64 s[0:1], vcc
	s_cbranch_execz .LBB2248_60
; %bb.59:
	s_waitcnt lgkmcnt(0)
	v_mov_b32_e32 v1, 0
	v_mov_b32_e32 v13, 2
	;; [unrolled: 1-line block ×3, first 2 shown]
	global_store_dwordx2 v1, v[12:13], s[20:21] offset:512
.LBB2248_60:
	s_or_b64 exec, exec, s[0:1]
	v_pk_mov_b32 v[14:15], v[10:11], v[10:11] op_sel:[0,1]
	v_pk_mov_b32 v[12:13], v[8:9], v[8:9] op_sel:[0,1]
	v_pk_mov_b32 v[10:11], v[6:7], v[6:7] op_sel:[0,1]
	v_pk_mov_b32 v[8:9], v[4:5], v[4:5] op_sel:[0,1]
	v_pk_mov_b32 v[6:7], v[2:3], v[2:3] op_sel:[0,1]
.LBB2248_61:
	s_add_u32 s0, s12, s16
	s_addc_u32 s1, s13, s17
	s_add_u32 s2, s0, s18
	s_addc_u32 s3, s1, s19
	s_mov_b64 s[0:1], -1
	s_and_b64 vcc, exec, s[14:15]
	s_waitcnt lgkmcnt(0)
	s_barrier
	s_cbranch_vccz .LBB2248_63
; %bb.62:
	ds_write2_b64 v24, v[6:7], v[8:9] offset1:1
	ds_write2_b64 v24, v[10:11], v[12:13] offset0:2 offset1:3
	ds_write_b64 v24, v[14:15] offset:32
	s_waitcnt lgkmcnt(0)
	s_barrier
	ds_read2st64_b32 v[2:3], v22 offset1:2
	ds_read2st64_b32 v[4:5], v22 offset0:4 offset1:6
	ds_read2st64_b32 v[16:17], v22 offset0:8 offset1:10
	;; [unrolled: 1-line block ×4, first 2 shown]
	v_mov_b32_e32 v1, s3
	v_add_co_u32_e32 v26, vcc, s2, v22
	v_addc_co_u32_e32 v27, vcc, 0, v1, vcc
	s_waitcnt lgkmcnt(4)
	flat_store_dword v[26:27], v2
	flat_store_dword v[26:27], v3 offset:512
	s_waitcnt lgkmcnt(0)
	flat_store_dword v[26:27], v4 offset:1024
	flat_store_dword v[26:27], v5 offset:1536
	;; [unrolled: 1-line block ×6, first 2 shown]
	v_add_co_u32_e32 v2, vcc, 0x1000, v26
	v_addc_co_u32_e32 v3, vcc, 0, v27, vcc
	flat_store_dword v[2:3], v20
	flat_store_dword v[2:3], v21 offset:512
	s_mov_b64 s[0:1], 0
.LBB2248_63:
	s_andn2_b64 vcc, exec, s[0:1]
	s_cbranch_vccnz .LBB2248_119
; %bb.64:
	s_movk_i32 s0, 0xffdc
	ds_write2_b64 v24, v[6:7], v[8:9] offset1:1
	ds_write2_b64 v24, v[10:11], v[12:13] offset0:2 offset1:3
	ds_write_b64 v24, v[14:15] offset:32
	v_mad_i32_i24 v10, v0, s0, v24
	s_waitcnt lgkmcnt(0)
	s_barrier
	ds_read2st64_b32 v[2:3], v10 offset1:2
	ds_read2st64_b32 v[6:7], v10 offset0:4 offset1:6
	ds_read2st64_b32 v[4:5], v10 offset0:8 offset1:10
	;; [unrolled: 1-line block ×4, first 2 shown]
	v_mov_b32_e32 v13, s3
	v_add_co_u32_e32 v12, vcc, s2, v22
	v_addc_co_u32_e32 v13, vcc, 0, v13, vcc
	v_mov_b32_e32 v1, 0
	v_cmp_gt_u32_e32 vcc, s24, v0
	s_and_saveexec_b64 s[0:1], vcc
	s_cbranch_execz .LBB2248_66
; %bb.65:
	s_waitcnt lgkmcnt(0)
	flat_store_dword v[12:13], v2
.LBB2248_66:
	s_or_b64 exec, exec, s[0:1]
	v_or_b32_e32 v14, 0x80, v0
	v_cmp_gt_u32_e32 vcc, s24, v14
	s_and_saveexec_b64 s[0:1], vcc
	s_cbranch_execz .LBB2248_68
; %bb.67:
	s_waitcnt lgkmcnt(0)
	flat_store_dword v[12:13], v3 offset:512
.LBB2248_68:
	s_or_b64 exec, exec, s[0:1]
	v_or_b32_e32 v14, 0x100, v0
	v_cmp_gt_u32_e32 vcc, s24, v14
	s_and_saveexec_b64 s[0:1], vcc
	s_cbranch_execz .LBB2248_70
; %bb.69:
	s_waitcnt lgkmcnt(0)
	flat_store_dword v[12:13], v6 offset:1024
.LBB2248_70:
	;; [unrolled: 9-line block ×7, first 2 shown]
	s_or_b64 exec, exec, s[0:1]
	v_or_b32_e32 v14, 0x400, v0
	v_cmp_gt_u32_e32 vcc, s24, v14
	s_and_saveexec_b64 s[0:1], vcc
	s_cbranch_execz .LBB2248_82
; %bb.81:
	v_add_co_u32_e32 v14, vcc, 0x1000, v12
	v_addc_co_u32_e32 v15, vcc, 0, v13, vcc
	s_waitcnt lgkmcnt(0)
	flat_store_dword v[14:15], v10
.LBB2248_82:
	s_or_b64 exec, exec, s[0:1]
	v_or_b32_e32 v14, 0x480, v0
	v_cmp_gt_u32_e32 vcc, s24, v14
	s_and_saveexec_b64 s[0:1], vcc
	s_cbranch_execz .LBB2248_84
; %bb.83:
	v_add_co_u32_e32 v12, vcc, 0x1000, v12
	v_addc_co_u32_e32 v13, vcc, 0, v13, vcc
	s_waitcnt lgkmcnt(0)
	flat_store_dword v[12:13], v11 offset:512
.LBB2248_84:
	s_or_b64 exec, exec, s[0:1]
	v_cmp_lt_u64_e64 s[0:1], s[10:11], 2
	s_and_b64 vcc, exec, s[0:1]
	s_cbranch_vccnz .LBB2248_119
; %bb.85:
	s_add_u32 s0, s24, -1
	s_addc_u32 s1, s25, -1
	s_add_u32 s2, 0, 0x99986000
	s_addc_u32 s3, 0, 0x59
	s_add_i32 s3, s3, 0x19999940
	s_mul_hi_u32 s9, s2, -10
	s_sub_i32 s9, s9, s2
	s_mul_i32 s10, s3, -10
	s_mul_i32 s4, s2, -10
	s_add_i32 s9, s9, s10
	s_mul_hi_u32 s5, s3, s4
	s_mul_i32 s8, s3, s4
	s_mul_i32 s11, s2, s9
	s_mul_hi_u32 s4, s2, s4
	s_mul_hi_u32 s10, s2, s9
	s_add_u32 s4, s4, s11
	s_addc_u32 s10, 0, s10
	s_add_u32 s4, s4, s8
	s_mul_hi_u32 s11, s3, s9
	s_addc_u32 s4, s10, s5
	s_addc_u32 s5, s11, 0
	s_mul_i32 s8, s3, s9
	s_add_u32 s4, s4, s8
	v_mov_b32_e32 v12, s4
	s_addc_u32 s5, 0, s5
	v_add_co_u32_e32 v12, vcc, s2, v12
	s_cmp_lg_u64 vcc, 0
	s_addc_u32 s2, s3, s5
	v_readfirstlane_b32 s5, v12
	s_mul_i32 s4, s0, s2
	s_mul_hi_u32 s8, s0, s5
	s_mul_hi_u32 s3, s0, s2
	s_add_u32 s4, s8, s4
	s_addc_u32 s3, 0, s3
	s_mul_hi_u32 s9, s1, s5
	s_mul_i32 s5, s1, s5
	s_add_u32 s4, s4, s5
	s_mul_hi_u32 s8, s1, s2
	s_addc_u32 s3, s3, s9
	s_addc_u32 s4, s8, 0
	s_mul_i32 s2, s1, s2
	s_add_u32 s2, s3, s2
	s_addc_u32 s3, 0, s4
	s_add_u32 s4, s2, 1
	s_addc_u32 s5, s3, 0
	s_add_u32 s8, s2, 2
	s_mul_i32 s10, s3, 10
	s_mul_hi_u32 s11, s2, 10
	s_addc_u32 s9, s3, 0
	s_add_i32 s11, s11, s10
	s_mul_i32 s10, s2, 10
	v_mov_b32_e32 v12, s10
	v_sub_co_u32_e32 v12, vcc, s0, v12
	s_cmp_lg_u64 vcc, 0
	s_subb_u32 s10, s1, s11
	v_subrev_co_u32_e32 v13, vcc, 10, v12
	s_cmp_lg_u64 vcc, 0
	s_subb_u32 s11, s10, 0
	v_readfirstlane_b32 s12, v13
	s_cmp_gt_u32 s12, 9
	s_cselect_b32 s12, -1, 0
	s_cmp_eq_u32 s11, 0
	s_cselect_b32 s11, s12, -1
	s_cmp_lg_u32 s11, 0
	s_cselect_b32 s4, s8, s4
	v_readfirstlane_b32 s8, v12
	s_cselect_b32 s5, s9, s5
	s_cmp_gt_u32 s8, 9
	s_cselect_b32 s8, -1, 0
	s_cmp_eq_u32 s10, 0
	s_cselect_b32 s8, s8, -1
	s_cmp_lg_u32 s8, 0
	s_cselect_b32 s3, s5, s3
	s_cselect_b32 s2, s4, s2
	v_cmp_eq_u64_e32 vcc, s[2:3], v[0:1]
	s_and_saveexec_b64 s[2:3], vcc
	s_cbranch_execz .LBB2248_119
; %bb.86:
	v_mul_hi_u32_u24_e32 v1, 10, v0
	v_mov_b32_e32 v12, s1
	v_sub_co_u32_e32 v0, vcc, s0, v23
	v_subb_co_u32_e32 v1, vcc, v12, v1, vcc
	v_cmp_lt_i64_e32 vcc, 4, v[0:1]
	s_and_saveexec_b64 s[0:1], vcc
	s_xor_b64 s[0:1], exec, s[0:1]
	s_cbranch_execz .LBB2248_104
; %bb.87:
	v_cmp_lt_i64_e32 vcc, 6, v[0:1]
	s_and_saveexec_b64 s[2:3], vcc
	s_xor_b64 s[2:3], exec, s[2:3]
	s_cbranch_execz .LBB2248_97
; %bb.88:
	;; [unrolled: 5-line block ×4, first 2 shown]
	v_mov_b32_e32 v0, 0
	s_waitcnt lgkmcnt(0)
	global_store_dword v0, v11, s[6:7]
                                        ; implicit-def: $vgpr10_vgpr11
.LBB2248_91:
	s_andn2_saveexec_b64 s[8:9], s[8:9]
	s_cbranch_execz .LBB2248_93
; %bb.92:
	v_mov_b32_e32 v0, 0
	s_waitcnt lgkmcnt(0)
	global_store_dword v0, v10, s[6:7]
.LBB2248_93:
	s_or_b64 exec, exec, s[8:9]
                                        ; implicit-def: $vgpr8_vgpr9
.LBB2248_94:
	s_andn2_saveexec_b64 s[4:5], s[4:5]
	s_cbranch_execz .LBB2248_96
; %bb.95:
	v_mov_b32_e32 v0, 0
	s_waitcnt lgkmcnt(0)
	global_store_dword v0, v9, s[6:7]
.LBB2248_96:
	s_or_b64 exec, exec, s[4:5]
                                        ; implicit-def: $vgpr4_vgpr5
                                        ; implicit-def: $vgpr0_vgpr1
                                        ; implicit-def: $vgpr8_vgpr9
.LBB2248_97:
	s_andn2_saveexec_b64 s[2:3], s[2:3]
	s_cbranch_execz .LBB2248_103
; %bb.98:
	v_cmp_lt_i64_e32 vcc, 5, v[0:1]
	s_and_saveexec_b64 s[4:5], vcc
	s_xor_b64 s[4:5], exec, s[4:5]
	s_cbranch_execz .LBB2248_100
; %bb.99:
	v_mov_b32_e32 v0, 0
	s_waitcnt lgkmcnt(0)
	global_store_dword v0, v8, s[6:7]
                                        ; implicit-def: $vgpr4_vgpr5
.LBB2248_100:
	s_andn2_saveexec_b64 s[4:5], s[4:5]
	s_cbranch_execz .LBB2248_102
; %bb.101:
	v_mov_b32_e32 v0, 0
	s_waitcnt lgkmcnt(0)
	global_store_dword v0, v5, s[6:7]
.LBB2248_102:
	s_or_b64 exec, exec, s[4:5]
.LBB2248_103:
	s_or_b64 exec, exec, s[2:3]
                                        ; implicit-def: $vgpr0_vgpr1
                                        ; implicit-def: $vgpr6_vgpr7
                                        ; implicit-def: $vgpr2_vgpr3
                                        ; implicit-def: $vgpr4_vgpr5
.LBB2248_104:
	s_andn2_saveexec_b64 s[0:1], s[0:1]
	s_cbranch_execz .LBB2248_119
; %bb.105:
	v_cmp_lt_i64_e32 vcc, 2, v[0:1]
	s_and_saveexec_b64 s[0:1], vcc
	s_xor_b64 s[0:1], exec, s[0:1]
	s_cbranch_execz .LBB2248_111
; %bb.106:
	v_cmp_lt_i64_e32 vcc, 3, v[0:1]
	s_and_saveexec_b64 s[2:3], vcc
	s_xor_b64 s[2:3], exec, s[2:3]
	s_cbranch_execz .LBB2248_108
; %bb.107:
	v_mov_b32_e32 v0, 0
	s_waitcnt lgkmcnt(0)
	global_store_dword v0, v4, s[6:7]
                                        ; implicit-def: $vgpr6_vgpr7
.LBB2248_108:
	s_andn2_saveexec_b64 s[2:3], s[2:3]
	s_cbranch_execz .LBB2248_110
; %bb.109:
	v_mov_b32_e32 v0, 0
	s_waitcnt lgkmcnt(0)
	global_store_dword v0, v7, s[6:7]
.LBB2248_110:
	s_or_b64 exec, exec, s[2:3]
                                        ; implicit-def: $vgpr0_vgpr1
                                        ; implicit-def: $vgpr6_vgpr7
                                        ; implicit-def: $vgpr2_vgpr3
.LBB2248_111:
	s_andn2_saveexec_b64 s[0:1], s[0:1]
	s_cbranch_execz .LBB2248_119
; %bb.112:
	v_cmp_lt_i64_e32 vcc, 1, v[0:1]
	s_and_saveexec_b64 s[0:1], vcc
	s_xor_b64 s[0:1], exec, s[0:1]
	s_cbranch_execz .LBB2248_114
; %bb.113:
	v_mov_b32_e32 v0, 0
	s_waitcnt lgkmcnt(0)
	global_store_dword v0, v6, s[6:7]
                                        ; implicit-def: $vgpr2_vgpr3
                                        ; implicit-def: $vgpr0_vgpr1
.LBB2248_114:
	s_andn2_saveexec_b64 s[0:1], s[0:1]
	s_cbranch_execz .LBB2248_119
; %bb.115:
	v_cmp_ne_u64_e32 vcc, 1, v[0:1]
	s_and_saveexec_b64 s[0:1], vcc
	s_xor_b64 s[0:1], exec, s[0:1]
	s_cbranch_execz .LBB2248_117
; %bb.116:
	v_mov_b32_e32 v0, 0
	s_waitcnt lgkmcnt(0)
	global_store_dword v0, v2, s[6:7]
                                        ; implicit-def: $vgpr2_vgpr3
.LBB2248_117:
	s_andn2_saveexec_b64 s[0:1], s[0:1]
	s_cbranch_execz .LBB2248_119
; %bb.118:
	v_mov_b32_e32 v0, 0
	s_waitcnt lgkmcnt(0)
	global_store_dword v0, v3, s[6:7]
.LBB2248_119:
	s_endpgm
	.section	.rodata,"a",@progbits
	.p2align	6, 0x0
	.amdhsa_kernel _ZN7rocprim17ROCPRIM_400000_NS6detail17trampoline_kernelINS0_14default_configENS1_20scan_config_selectorIjEEZZNS1_9scan_implILNS1_25lookback_scan_determinismE0ELb0ELb0ES3_N6thrust23THRUST_200600_302600_NS6detail15normal_iteratorINS9_10device_ptrIjEEEESE_j11max_functorIjEjEEDaPvRmT3_T4_T5_mT6_P12ihipStream_tbENKUlT_T0_E_clISt17integral_constantIbLb0EESU_EEDaSP_SQ_EUlSP_E_NS1_11comp_targetILNS1_3genE4ELNS1_11target_archE910ELNS1_3gpuE8ELNS1_3repE0EEENS1_30default_config_static_selectorELNS0_4arch9wavefront6targetE1EEEvT1_
		.amdhsa_group_segment_fixed_size 5120
		.amdhsa_private_segment_fixed_size 0
		.amdhsa_kernarg_size 96
		.amdhsa_user_sgpr_count 6
		.amdhsa_user_sgpr_private_segment_buffer 1
		.amdhsa_user_sgpr_dispatch_ptr 0
		.amdhsa_user_sgpr_queue_ptr 0
		.amdhsa_user_sgpr_kernarg_segment_ptr 1
		.amdhsa_user_sgpr_dispatch_id 0
		.amdhsa_user_sgpr_flat_scratch_init 0
		.amdhsa_user_sgpr_kernarg_preload_length 0
		.amdhsa_user_sgpr_kernarg_preload_offset 0
		.amdhsa_user_sgpr_private_segment_size 0
		.amdhsa_uses_dynamic_stack 0
		.amdhsa_system_sgpr_private_segment_wavefront_offset 0
		.amdhsa_system_sgpr_workgroup_id_x 1
		.amdhsa_system_sgpr_workgroup_id_y 0
		.amdhsa_system_sgpr_workgroup_id_z 0
		.amdhsa_system_sgpr_workgroup_info 0
		.amdhsa_system_vgpr_workitem_id 0
		.amdhsa_next_free_vgpr 40
		.amdhsa_next_free_sgpr 28
		.amdhsa_accum_offset 40
		.amdhsa_reserve_vcc 1
		.amdhsa_reserve_flat_scratch 0
		.amdhsa_float_round_mode_32 0
		.amdhsa_float_round_mode_16_64 0
		.amdhsa_float_denorm_mode_32 3
		.amdhsa_float_denorm_mode_16_64 3
		.amdhsa_dx10_clamp 1
		.amdhsa_ieee_mode 1
		.amdhsa_fp16_overflow 0
		.amdhsa_tg_split 0
		.amdhsa_exception_fp_ieee_invalid_op 0
		.amdhsa_exception_fp_denorm_src 0
		.amdhsa_exception_fp_ieee_div_zero 0
		.amdhsa_exception_fp_ieee_overflow 0
		.amdhsa_exception_fp_ieee_underflow 0
		.amdhsa_exception_fp_ieee_inexact 0
		.amdhsa_exception_int_div_zero 0
	.end_amdhsa_kernel
	.section	.text._ZN7rocprim17ROCPRIM_400000_NS6detail17trampoline_kernelINS0_14default_configENS1_20scan_config_selectorIjEEZZNS1_9scan_implILNS1_25lookback_scan_determinismE0ELb0ELb0ES3_N6thrust23THRUST_200600_302600_NS6detail15normal_iteratorINS9_10device_ptrIjEEEESE_j11max_functorIjEjEEDaPvRmT3_T4_T5_mT6_P12ihipStream_tbENKUlT_T0_E_clISt17integral_constantIbLb0EESU_EEDaSP_SQ_EUlSP_E_NS1_11comp_targetILNS1_3genE4ELNS1_11target_archE910ELNS1_3gpuE8ELNS1_3repE0EEENS1_30default_config_static_selectorELNS0_4arch9wavefront6targetE1EEEvT1_,"axG",@progbits,_ZN7rocprim17ROCPRIM_400000_NS6detail17trampoline_kernelINS0_14default_configENS1_20scan_config_selectorIjEEZZNS1_9scan_implILNS1_25lookback_scan_determinismE0ELb0ELb0ES3_N6thrust23THRUST_200600_302600_NS6detail15normal_iteratorINS9_10device_ptrIjEEEESE_j11max_functorIjEjEEDaPvRmT3_T4_T5_mT6_P12ihipStream_tbENKUlT_T0_E_clISt17integral_constantIbLb0EESU_EEDaSP_SQ_EUlSP_E_NS1_11comp_targetILNS1_3genE4ELNS1_11target_archE910ELNS1_3gpuE8ELNS1_3repE0EEENS1_30default_config_static_selectorELNS0_4arch9wavefront6targetE1EEEvT1_,comdat
.Lfunc_end2248:
	.size	_ZN7rocprim17ROCPRIM_400000_NS6detail17trampoline_kernelINS0_14default_configENS1_20scan_config_selectorIjEEZZNS1_9scan_implILNS1_25lookback_scan_determinismE0ELb0ELb0ES3_N6thrust23THRUST_200600_302600_NS6detail15normal_iteratorINS9_10device_ptrIjEEEESE_j11max_functorIjEjEEDaPvRmT3_T4_T5_mT6_P12ihipStream_tbENKUlT_T0_E_clISt17integral_constantIbLb0EESU_EEDaSP_SQ_EUlSP_E_NS1_11comp_targetILNS1_3genE4ELNS1_11target_archE910ELNS1_3gpuE8ELNS1_3repE0EEENS1_30default_config_static_selectorELNS0_4arch9wavefront6targetE1EEEvT1_, .Lfunc_end2248-_ZN7rocprim17ROCPRIM_400000_NS6detail17trampoline_kernelINS0_14default_configENS1_20scan_config_selectorIjEEZZNS1_9scan_implILNS1_25lookback_scan_determinismE0ELb0ELb0ES3_N6thrust23THRUST_200600_302600_NS6detail15normal_iteratorINS9_10device_ptrIjEEEESE_j11max_functorIjEjEEDaPvRmT3_T4_T5_mT6_P12ihipStream_tbENKUlT_T0_E_clISt17integral_constantIbLb0EESU_EEDaSP_SQ_EUlSP_E_NS1_11comp_targetILNS1_3genE4ELNS1_11target_archE910ELNS1_3gpuE8ELNS1_3repE0EEENS1_30default_config_static_selectorELNS0_4arch9wavefront6targetE1EEEvT1_
                                        ; -- End function
	.section	.AMDGPU.csdata,"",@progbits
; Kernel info:
; codeLenInByte = 4548
; NumSgprs: 32
; NumVgprs: 40
; NumAgprs: 0
; TotalNumVgprs: 40
; ScratchSize: 0
; MemoryBound: 0
; FloatMode: 240
; IeeeMode: 1
; LDSByteSize: 5120 bytes/workgroup (compile time only)
; SGPRBlocks: 3
; VGPRBlocks: 4
; NumSGPRsForWavesPerEU: 32
; NumVGPRsForWavesPerEU: 40
; AccumOffset: 40
; Occupancy: 6
; WaveLimiterHint : 1
; COMPUTE_PGM_RSRC2:SCRATCH_EN: 0
; COMPUTE_PGM_RSRC2:USER_SGPR: 6
; COMPUTE_PGM_RSRC2:TRAP_HANDLER: 0
; COMPUTE_PGM_RSRC2:TGID_X_EN: 1
; COMPUTE_PGM_RSRC2:TGID_Y_EN: 0
; COMPUTE_PGM_RSRC2:TGID_Z_EN: 0
; COMPUTE_PGM_RSRC2:TIDIG_COMP_CNT: 0
; COMPUTE_PGM_RSRC3_GFX90A:ACCUM_OFFSET: 9
; COMPUTE_PGM_RSRC3_GFX90A:TG_SPLIT: 0
	.section	.text._ZN7rocprim17ROCPRIM_400000_NS6detail17trampoline_kernelINS0_14default_configENS1_20scan_config_selectorIjEEZZNS1_9scan_implILNS1_25lookback_scan_determinismE0ELb0ELb0ES3_N6thrust23THRUST_200600_302600_NS6detail15normal_iteratorINS9_10device_ptrIjEEEESE_j11max_functorIjEjEEDaPvRmT3_T4_T5_mT6_P12ihipStream_tbENKUlT_T0_E_clISt17integral_constantIbLb0EESU_EEDaSP_SQ_EUlSP_E_NS1_11comp_targetILNS1_3genE3ELNS1_11target_archE908ELNS1_3gpuE7ELNS1_3repE0EEENS1_30default_config_static_selectorELNS0_4arch9wavefront6targetE1EEEvT1_,"axG",@progbits,_ZN7rocprim17ROCPRIM_400000_NS6detail17trampoline_kernelINS0_14default_configENS1_20scan_config_selectorIjEEZZNS1_9scan_implILNS1_25lookback_scan_determinismE0ELb0ELb0ES3_N6thrust23THRUST_200600_302600_NS6detail15normal_iteratorINS9_10device_ptrIjEEEESE_j11max_functorIjEjEEDaPvRmT3_T4_T5_mT6_P12ihipStream_tbENKUlT_T0_E_clISt17integral_constantIbLb0EESU_EEDaSP_SQ_EUlSP_E_NS1_11comp_targetILNS1_3genE3ELNS1_11target_archE908ELNS1_3gpuE7ELNS1_3repE0EEENS1_30default_config_static_selectorELNS0_4arch9wavefront6targetE1EEEvT1_,comdat
	.protected	_ZN7rocprim17ROCPRIM_400000_NS6detail17trampoline_kernelINS0_14default_configENS1_20scan_config_selectorIjEEZZNS1_9scan_implILNS1_25lookback_scan_determinismE0ELb0ELb0ES3_N6thrust23THRUST_200600_302600_NS6detail15normal_iteratorINS9_10device_ptrIjEEEESE_j11max_functorIjEjEEDaPvRmT3_T4_T5_mT6_P12ihipStream_tbENKUlT_T0_E_clISt17integral_constantIbLb0EESU_EEDaSP_SQ_EUlSP_E_NS1_11comp_targetILNS1_3genE3ELNS1_11target_archE908ELNS1_3gpuE7ELNS1_3repE0EEENS1_30default_config_static_selectorELNS0_4arch9wavefront6targetE1EEEvT1_ ; -- Begin function _ZN7rocprim17ROCPRIM_400000_NS6detail17trampoline_kernelINS0_14default_configENS1_20scan_config_selectorIjEEZZNS1_9scan_implILNS1_25lookback_scan_determinismE0ELb0ELb0ES3_N6thrust23THRUST_200600_302600_NS6detail15normal_iteratorINS9_10device_ptrIjEEEESE_j11max_functorIjEjEEDaPvRmT3_T4_T5_mT6_P12ihipStream_tbENKUlT_T0_E_clISt17integral_constantIbLb0EESU_EEDaSP_SQ_EUlSP_E_NS1_11comp_targetILNS1_3genE3ELNS1_11target_archE908ELNS1_3gpuE7ELNS1_3repE0EEENS1_30default_config_static_selectorELNS0_4arch9wavefront6targetE1EEEvT1_
	.globl	_ZN7rocprim17ROCPRIM_400000_NS6detail17trampoline_kernelINS0_14default_configENS1_20scan_config_selectorIjEEZZNS1_9scan_implILNS1_25lookback_scan_determinismE0ELb0ELb0ES3_N6thrust23THRUST_200600_302600_NS6detail15normal_iteratorINS9_10device_ptrIjEEEESE_j11max_functorIjEjEEDaPvRmT3_T4_T5_mT6_P12ihipStream_tbENKUlT_T0_E_clISt17integral_constantIbLb0EESU_EEDaSP_SQ_EUlSP_E_NS1_11comp_targetILNS1_3genE3ELNS1_11target_archE908ELNS1_3gpuE7ELNS1_3repE0EEENS1_30default_config_static_selectorELNS0_4arch9wavefront6targetE1EEEvT1_
	.p2align	8
	.type	_ZN7rocprim17ROCPRIM_400000_NS6detail17trampoline_kernelINS0_14default_configENS1_20scan_config_selectorIjEEZZNS1_9scan_implILNS1_25lookback_scan_determinismE0ELb0ELb0ES3_N6thrust23THRUST_200600_302600_NS6detail15normal_iteratorINS9_10device_ptrIjEEEESE_j11max_functorIjEjEEDaPvRmT3_T4_T5_mT6_P12ihipStream_tbENKUlT_T0_E_clISt17integral_constantIbLb0EESU_EEDaSP_SQ_EUlSP_E_NS1_11comp_targetILNS1_3genE3ELNS1_11target_archE908ELNS1_3gpuE7ELNS1_3repE0EEENS1_30default_config_static_selectorELNS0_4arch9wavefront6targetE1EEEvT1_,@function
_ZN7rocprim17ROCPRIM_400000_NS6detail17trampoline_kernelINS0_14default_configENS1_20scan_config_selectorIjEEZZNS1_9scan_implILNS1_25lookback_scan_determinismE0ELb0ELb0ES3_N6thrust23THRUST_200600_302600_NS6detail15normal_iteratorINS9_10device_ptrIjEEEESE_j11max_functorIjEjEEDaPvRmT3_T4_T5_mT6_P12ihipStream_tbENKUlT_T0_E_clISt17integral_constantIbLb0EESU_EEDaSP_SQ_EUlSP_E_NS1_11comp_targetILNS1_3genE3ELNS1_11target_archE908ELNS1_3gpuE7ELNS1_3repE0EEENS1_30default_config_static_selectorELNS0_4arch9wavefront6targetE1EEEvT1_: ; @_ZN7rocprim17ROCPRIM_400000_NS6detail17trampoline_kernelINS0_14default_configENS1_20scan_config_selectorIjEEZZNS1_9scan_implILNS1_25lookback_scan_determinismE0ELb0ELb0ES3_N6thrust23THRUST_200600_302600_NS6detail15normal_iteratorINS9_10device_ptrIjEEEESE_j11max_functorIjEjEEDaPvRmT3_T4_T5_mT6_P12ihipStream_tbENKUlT_T0_E_clISt17integral_constantIbLb0EESU_EEDaSP_SQ_EUlSP_E_NS1_11comp_targetILNS1_3genE3ELNS1_11target_archE908ELNS1_3gpuE7ELNS1_3repE0EEENS1_30default_config_static_selectorELNS0_4arch9wavefront6targetE1EEEvT1_
; %bb.0:
	.section	.rodata,"a",@progbits
	.p2align	6, 0x0
	.amdhsa_kernel _ZN7rocprim17ROCPRIM_400000_NS6detail17trampoline_kernelINS0_14default_configENS1_20scan_config_selectorIjEEZZNS1_9scan_implILNS1_25lookback_scan_determinismE0ELb0ELb0ES3_N6thrust23THRUST_200600_302600_NS6detail15normal_iteratorINS9_10device_ptrIjEEEESE_j11max_functorIjEjEEDaPvRmT3_T4_T5_mT6_P12ihipStream_tbENKUlT_T0_E_clISt17integral_constantIbLb0EESU_EEDaSP_SQ_EUlSP_E_NS1_11comp_targetILNS1_3genE3ELNS1_11target_archE908ELNS1_3gpuE7ELNS1_3repE0EEENS1_30default_config_static_selectorELNS0_4arch9wavefront6targetE1EEEvT1_
		.amdhsa_group_segment_fixed_size 0
		.amdhsa_private_segment_fixed_size 0
		.amdhsa_kernarg_size 96
		.amdhsa_user_sgpr_count 6
		.amdhsa_user_sgpr_private_segment_buffer 1
		.amdhsa_user_sgpr_dispatch_ptr 0
		.amdhsa_user_sgpr_queue_ptr 0
		.amdhsa_user_sgpr_kernarg_segment_ptr 1
		.amdhsa_user_sgpr_dispatch_id 0
		.amdhsa_user_sgpr_flat_scratch_init 0
		.amdhsa_user_sgpr_kernarg_preload_length 0
		.amdhsa_user_sgpr_kernarg_preload_offset 0
		.amdhsa_user_sgpr_private_segment_size 0
		.amdhsa_uses_dynamic_stack 0
		.amdhsa_system_sgpr_private_segment_wavefront_offset 0
		.amdhsa_system_sgpr_workgroup_id_x 1
		.amdhsa_system_sgpr_workgroup_id_y 0
		.amdhsa_system_sgpr_workgroup_id_z 0
		.amdhsa_system_sgpr_workgroup_info 0
		.amdhsa_system_vgpr_workitem_id 0
		.amdhsa_next_free_vgpr 1
		.amdhsa_next_free_sgpr 0
		.amdhsa_accum_offset 4
		.amdhsa_reserve_vcc 0
		.amdhsa_reserve_flat_scratch 0
		.amdhsa_float_round_mode_32 0
		.amdhsa_float_round_mode_16_64 0
		.amdhsa_float_denorm_mode_32 3
		.amdhsa_float_denorm_mode_16_64 3
		.amdhsa_dx10_clamp 1
		.amdhsa_ieee_mode 1
		.amdhsa_fp16_overflow 0
		.amdhsa_tg_split 0
		.amdhsa_exception_fp_ieee_invalid_op 0
		.amdhsa_exception_fp_denorm_src 0
		.amdhsa_exception_fp_ieee_div_zero 0
		.amdhsa_exception_fp_ieee_overflow 0
		.amdhsa_exception_fp_ieee_underflow 0
		.amdhsa_exception_fp_ieee_inexact 0
		.amdhsa_exception_int_div_zero 0
	.end_amdhsa_kernel
	.section	.text._ZN7rocprim17ROCPRIM_400000_NS6detail17trampoline_kernelINS0_14default_configENS1_20scan_config_selectorIjEEZZNS1_9scan_implILNS1_25lookback_scan_determinismE0ELb0ELb0ES3_N6thrust23THRUST_200600_302600_NS6detail15normal_iteratorINS9_10device_ptrIjEEEESE_j11max_functorIjEjEEDaPvRmT3_T4_T5_mT6_P12ihipStream_tbENKUlT_T0_E_clISt17integral_constantIbLb0EESU_EEDaSP_SQ_EUlSP_E_NS1_11comp_targetILNS1_3genE3ELNS1_11target_archE908ELNS1_3gpuE7ELNS1_3repE0EEENS1_30default_config_static_selectorELNS0_4arch9wavefront6targetE1EEEvT1_,"axG",@progbits,_ZN7rocprim17ROCPRIM_400000_NS6detail17trampoline_kernelINS0_14default_configENS1_20scan_config_selectorIjEEZZNS1_9scan_implILNS1_25lookback_scan_determinismE0ELb0ELb0ES3_N6thrust23THRUST_200600_302600_NS6detail15normal_iteratorINS9_10device_ptrIjEEEESE_j11max_functorIjEjEEDaPvRmT3_T4_T5_mT6_P12ihipStream_tbENKUlT_T0_E_clISt17integral_constantIbLb0EESU_EEDaSP_SQ_EUlSP_E_NS1_11comp_targetILNS1_3genE3ELNS1_11target_archE908ELNS1_3gpuE7ELNS1_3repE0EEENS1_30default_config_static_selectorELNS0_4arch9wavefront6targetE1EEEvT1_,comdat
.Lfunc_end2249:
	.size	_ZN7rocprim17ROCPRIM_400000_NS6detail17trampoline_kernelINS0_14default_configENS1_20scan_config_selectorIjEEZZNS1_9scan_implILNS1_25lookback_scan_determinismE0ELb0ELb0ES3_N6thrust23THRUST_200600_302600_NS6detail15normal_iteratorINS9_10device_ptrIjEEEESE_j11max_functorIjEjEEDaPvRmT3_T4_T5_mT6_P12ihipStream_tbENKUlT_T0_E_clISt17integral_constantIbLb0EESU_EEDaSP_SQ_EUlSP_E_NS1_11comp_targetILNS1_3genE3ELNS1_11target_archE908ELNS1_3gpuE7ELNS1_3repE0EEENS1_30default_config_static_selectorELNS0_4arch9wavefront6targetE1EEEvT1_, .Lfunc_end2249-_ZN7rocprim17ROCPRIM_400000_NS6detail17trampoline_kernelINS0_14default_configENS1_20scan_config_selectorIjEEZZNS1_9scan_implILNS1_25lookback_scan_determinismE0ELb0ELb0ES3_N6thrust23THRUST_200600_302600_NS6detail15normal_iteratorINS9_10device_ptrIjEEEESE_j11max_functorIjEjEEDaPvRmT3_T4_T5_mT6_P12ihipStream_tbENKUlT_T0_E_clISt17integral_constantIbLb0EESU_EEDaSP_SQ_EUlSP_E_NS1_11comp_targetILNS1_3genE3ELNS1_11target_archE908ELNS1_3gpuE7ELNS1_3repE0EEENS1_30default_config_static_selectorELNS0_4arch9wavefront6targetE1EEEvT1_
                                        ; -- End function
	.section	.AMDGPU.csdata,"",@progbits
; Kernel info:
; codeLenInByte = 0
; NumSgprs: 4
; NumVgprs: 0
; NumAgprs: 0
; TotalNumVgprs: 0
; ScratchSize: 0
; MemoryBound: 0
; FloatMode: 240
; IeeeMode: 1
; LDSByteSize: 0 bytes/workgroup (compile time only)
; SGPRBlocks: 0
; VGPRBlocks: 0
; NumSGPRsForWavesPerEU: 4
; NumVGPRsForWavesPerEU: 1
; AccumOffset: 4
; Occupancy: 8
; WaveLimiterHint : 0
; COMPUTE_PGM_RSRC2:SCRATCH_EN: 0
; COMPUTE_PGM_RSRC2:USER_SGPR: 6
; COMPUTE_PGM_RSRC2:TRAP_HANDLER: 0
; COMPUTE_PGM_RSRC2:TGID_X_EN: 1
; COMPUTE_PGM_RSRC2:TGID_Y_EN: 0
; COMPUTE_PGM_RSRC2:TGID_Z_EN: 0
; COMPUTE_PGM_RSRC2:TIDIG_COMP_CNT: 0
; COMPUTE_PGM_RSRC3_GFX90A:ACCUM_OFFSET: 0
; COMPUTE_PGM_RSRC3_GFX90A:TG_SPLIT: 0
	.section	.text._ZN7rocprim17ROCPRIM_400000_NS6detail17trampoline_kernelINS0_14default_configENS1_20scan_config_selectorIjEEZZNS1_9scan_implILNS1_25lookback_scan_determinismE0ELb0ELb0ES3_N6thrust23THRUST_200600_302600_NS6detail15normal_iteratorINS9_10device_ptrIjEEEESE_j11max_functorIjEjEEDaPvRmT3_T4_T5_mT6_P12ihipStream_tbENKUlT_T0_E_clISt17integral_constantIbLb0EESU_EEDaSP_SQ_EUlSP_E_NS1_11comp_targetILNS1_3genE2ELNS1_11target_archE906ELNS1_3gpuE6ELNS1_3repE0EEENS1_30default_config_static_selectorELNS0_4arch9wavefront6targetE1EEEvT1_,"axG",@progbits,_ZN7rocprim17ROCPRIM_400000_NS6detail17trampoline_kernelINS0_14default_configENS1_20scan_config_selectorIjEEZZNS1_9scan_implILNS1_25lookback_scan_determinismE0ELb0ELb0ES3_N6thrust23THRUST_200600_302600_NS6detail15normal_iteratorINS9_10device_ptrIjEEEESE_j11max_functorIjEjEEDaPvRmT3_T4_T5_mT6_P12ihipStream_tbENKUlT_T0_E_clISt17integral_constantIbLb0EESU_EEDaSP_SQ_EUlSP_E_NS1_11comp_targetILNS1_3genE2ELNS1_11target_archE906ELNS1_3gpuE6ELNS1_3repE0EEENS1_30default_config_static_selectorELNS0_4arch9wavefront6targetE1EEEvT1_,comdat
	.protected	_ZN7rocprim17ROCPRIM_400000_NS6detail17trampoline_kernelINS0_14default_configENS1_20scan_config_selectorIjEEZZNS1_9scan_implILNS1_25lookback_scan_determinismE0ELb0ELb0ES3_N6thrust23THRUST_200600_302600_NS6detail15normal_iteratorINS9_10device_ptrIjEEEESE_j11max_functorIjEjEEDaPvRmT3_T4_T5_mT6_P12ihipStream_tbENKUlT_T0_E_clISt17integral_constantIbLb0EESU_EEDaSP_SQ_EUlSP_E_NS1_11comp_targetILNS1_3genE2ELNS1_11target_archE906ELNS1_3gpuE6ELNS1_3repE0EEENS1_30default_config_static_selectorELNS0_4arch9wavefront6targetE1EEEvT1_ ; -- Begin function _ZN7rocprim17ROCPRIM_400000_NS6detail17trampoline_kernelINS0_14default_configENS1_20scan_config_selectorIjEEZZNS1_9scan_implILNS1_25lookback_scan_determinismE0ELb0ELb0ES3_N6thrust23THRUST_200600_302600_NS6detail15normal_iteratorINS9_10device_ptrIjEEEESE_j11max_functorIjEjEEDaPvRmT3_T4_T5_mT6_P12ihipStream_tbENKUlT_T0_E_clISt17integral_constantIbLb0EESU_EEDaSP_SQ_EUlSP_E_NS1_11comp_targetILNS1_3genE2ELNS1_11target_archE906ELNS1_3gpuE6ELNS1_3repE0EEENS1_30default_config_static_selectorELNS0_4arch9wavefront6targetE1EEEvT1_
	.globl	_ZN7rocprim17ROCPRIM_400000_NS6detail17trampoline_kernelINS0_14default_configENS1_20scan_config_selectorIjEEZZNS1_9scan_implILNS1_25lookback_scan_determinismE0ELb0ELb0ES3_N6thrust23THRUST_200600_302600_NS6detail15normal_iteratorINS9_10device_ptrIjEEEESE_j11max_functorIjEjEEDaPvRmT3_T4_T5_mT6_P12ihipStream_tbENKUlT_T0_E_clISt17integral_constantIbLb0EESU_EEDaSP_SQ_EUlSP_E_NS1_11comp_targetILNS1_3genE2ELNS1_11target_archE906ELNS1_3gpuE6ELNS1_3repE0EEENS1_30default_config_static_selectorELNS0_4arch9wavefront6targetE1EEEvT1_
	.p2align	8
	.type	_ZN7rocprim17ROCPRIM_400000_NS6detail17trampoline_kernelINS0_14default_configENS1_20scan_config_selectorIjEEZZNS1_9scan_implILNS1_25lookback_scan_determinismE0ELb0ELb0ES3_N6thrust23THRUST_200600_302600_NS6detail15normal_iteratorINS9_10device_ptrIjEEEESE_j11max_functorIjEjEEDaPvRmT3_T4_T5_mT6_P12ihipStream_tbENKUlT_T0_E_clISt17integral_constantIbLb0EESU_EEDaSP_SQ_EUlSP_E_NS1_11comp_targetILNS1_3genE2ELNS1_11target_archE906ELNS1_3gpuE6ELNS1_3repE0EEENS1_30default_config_static_selectorELNS0_4arch9wavefront6targetE1EEEvT1_,@function
_ZN7rocprim17ROCPRIM_400000_NS6detail17trampoline_kernelINS0_14default_configENS1_20scan_config_selectorIjEEZZNS1_9scan_implILNS1_25lookback_scan_determinismE0ELb0ELb0ES3_N6thrust23THRUST_200600_302600_NS6detail15normal_iteratorINS9_10device_ptrIjEEEESE_j11max_functorIjEjEEDaPvRmT3_T4_T5_mT6_P12ihipStream_tbENKUlT_T0_E_clISt17integral_constantIbLb0EESU_EEDaSP_SQ_EUlSP_E_NS1_11comp_targetILNS1_3genE2ELNS1_11target_archE906ELNS1_3gpuE6ELNS1_3repE0EEENS1_30default_config_static_selectorELNS0_4arch9wavefront6targetE1EEEvT1_: ; @_ZN7rocprim17ROCPRIM_400000_NS6detail17trampoline_kernelINS0_14default_configENS1_20scan_config_selectorIjEEZZNS1_9scan_implILNS1_25lookback_scan_determinismE0ELb0ELb0ES3_N6thrust23THRUST_200600_302600_NS6detail15normal_iteratorINS9_10device_ptrIjEEEESE_j11max_functorIjEjEEDaPvRmT3_T4_T5_mT6_P12ihipStream_tbENKUlT_T0_E_clISt17integral_constantIbLb0EESU_EEDaSP_SQ_EUlSP_E_NS1_11comp_targetILNS1_3genE2ELNS1_11target_archE906ELNS1_3gpuE6ELNS1_3repE0EEENS1_30default_config_static_selectorELNS0_4arch9wavefront6targetE1EEEvT1_
; %bb.0:
	.section	.rodata,"a",@progbits
	.p2align	6, 0x0
	.amdhsa_kernel _ZN7rocprim17ROCPRIM_400000_NS6detail17trampoline_kernelINS0_14default_configENS1_20scan_config_selectorIjEEZZNS1_9scan_implILNS1_25lookback_scan_determinismE0ELb0ELb0ES3_N6thrust23THRUST_200600_302600_NS6detail15normal_iteratorINS9_10device_ptrIjEEEESE_j11max_functorIjEjEEDaPvRmT3_T4_T5_mT6_P12ihipStream_tbENKUlT_T0_E_clISt17integral_constantIbLb0EESU_EEDaSP_SQ_EUlSP_E_NS1_11comp_targetILNS1_3genE2ELNS1_11target_archE906ELNS1_3gpuE6ELNS1_3repE0EEENS1_30default_config_static_selectorELNS0_4arch9wavefront6targetE1EEEvT1_
		.amdhsa_group_segment_fixed_size 0
		.amdhsa_private_segment_fixed_size 0
		.amdhsa_kernarg_size 96
		.amdhsa_user_sgpr_count 6
		.amdhsa_user_sgpr_private_segment_buffer 1
		.amdhsa_user_sgpr_dispatch_ptr 0
		.amdhsa_user_sgpr_queue_ptr 0
		.amdhsa_user_sgpr_kernarg_segment_ptr 1
		.amdhsa_user_sgpr_dispatch_id 0
		.amdhsa_user_sgpr_flat_scratch_init 0
		.amdhsa_user_sgpr_kernarg_preload_length 0
		.amdhsa_user_sgpr_kernarg_preload_offset 0
		.amdhsa_user_sgpr_private_segment_size 0
		.amdhsa_uses_dynamic_stack 0
		.amdhsa_system_sgpr_private_segment_wavefront_offset 0
		.amdhsa_system_sgpr_workgroup_id_x 1
		.amdhsa_system_sgpr_workgroup_id_y 0
		.amdhsa_system_sgpr_workgroup_id_z 0
		.amdhsa_system_sgpr_workgroup_info 0
		.amdhsa_system_vgpr_workitem_id 0
		.amdhsa_next_free_vgpr 1
		.amdhsa_next_free_sgpr 0
		.amdhsa_accum_offset 4
		.amdhsa_reserve_vcc 0
		.amdhsa_reserve_flat_scratch 0
		.amdhsa_float_round_mode_32 0
		.amdhsa_float_round_mode_16_64 0
		.amdhsa_float_denorm_mode_32 3
		.amdhsa_float_denorm_mode_16_64 3
		.amdhsa_dx10_clamp 1
		.amdhsa_ieee_mode 1
		.amdhsa_fp16_overflow 0
		.amdhsa_tg_split 0
		.amdhsa_exception_fp_ieee_invalid_op 0
		.amdhsa_exception_fp_denorm_src 0
		.amdhsa_exception_fp_ieee_div_zero 0
		.amdhsa_exception_fp_ieee_overflow 0
		.amdhsa_exception_fp_ieee_underflow 0
		.amdhsa_exception_fp_ieee_inexact 0
		.amdhsa_exception_int_div_zero 0
	.end_amdhsa_kernel
	.section	.text._ZN7rocprim17ROCPRIM_400000_NS6detail17trampoline_kernelINS0_14default_configENS1_20scan_config_selectorIjEEZZNS1_9scan_implILNS1_25lookback_scan_determinismE0ELb0ELb0ES3_N6thrust23THRUST_200600_302600_NS6detail15normal_iteratorINS9_10device_ptrIjEEEESE_j11max_functorIjEjEEDaPvRmT3_T4_T5_mT6_P12ihipStream_tbENKUlT_T0_E_clISt17integral_constantIbLb0EESU_EEDaSP_SQ_EUlSP_E_NS1_11comp_targetILNS1_3genE2ELNS1_11target_archE906ELNS1_3gpuE6ELNS1_3repE0EEENS1_30default_config_static_selectorELNS0_4arch9wavefront6targetE1EEEvT1_,"axG",@progbits,_ZN7rocprim17ROCPRIM_400000_NS6detail17trampoline_kernelINS0_14default_configENS1_20scan_config_selectorIjEEZZNS1_9scan_implILNS1_25lookback_scan_determinismE0ELb0ELb0ES3_N6thrust23THRUST_200600_302600_NS6detail15normal_iteratorINS9_10device_ptrIjEEEESE_j11max_functorIjEjEEDaPvRmT3_T4_T5_mT6_P12ihipStream_tbENKUlT_T0_E_clISt17integral_constantIbLb0EESU_EEDaSP_SQ_EUlSP_E_NS1_11comp_targetILNS1_3genE2ELNS1_11target_archE906ELNS1_3gpuE6ELNS1_3repE0EEENS1_30default_config_static_selectorELNS0_4arch9wavefront6targetE1EEEvT1_,comdat
.Lfunc_end2250:
	.size	_ZN7rocprim17ROCPRIM_400000_NS6detail17trampoline_kernelINS0_14default_configENS1_20scan_config_selectorIjEEZZNS1_9scan_implILNS1_25lookback_scan_determinismE0ELb0ELb0ES3_N6thrust23THRUST_200600_302600_NS6detail15normal_iteratorINS9_10device_ptrIjEEEESE_j11max_functorIjEjEEDaPvRmT3_T4_T5_mT6_P12ihipStream_tbENKUlT_T0_E_clISt17integral_constantIbLb0EESU_EEDaSP_SQ_EUlSP_E_NS1_11comp_targetILNS1_3genE2ELNS1_11target_archE906ELNS1_3gpuE6ELNS1_3repE0EEENS1_30default_config_static_selectorELNS0_4arch9wavefront6targetE1EEEvT1_, .Lfunc_end2250-_ZN7rocprim17ROCPRIM_400000_NS6detail17trampoline_kernelINS0_14default_configENS1_20scan_config_selectorIjEEZZNS1_9scan_implILNS1_25lookback_scan_determinismE0ELb0ELb0ES3_N6thrust23THRUST_200600_302600_NS6detail15normal_iteratorINS9_10device_ptrIjEEEESE_j11max_functorIjEjEEDaPvRmT3_T4_T5_mT6_P12ihipStream_tbENKUlT_T0_E_clISt17integral_constantIbLb0EESU_EEDaSP_SQ_EUlSP_E_NS1_11comp_targetILNS1_3genE2ELNS1_11target_archE906ELNS1_3gpuE6ELNS1_3repE0EEENS1_30default_config_static_selectorELNS0_4arch9wavefront6targetE1EEEvT1_
                                        ; -- End function
	.section	.AMDGPU.csdata,"",@progbits
; Kernel info:
; codeLenInByte = 0
; NumSgprs: 4
; NumVgprs: 0
; NumAgprs: 0
; TotalNumVgprs: 0
; ScratchSize: 0
; MemoryBound: 0
; FloatMode: 240
; IeeeMode: 1
; LDSByteSize: 0 bytes/workgroup (compile time only)
; SGPRBlocks: 0
; VGPRBlocks: 0
; NumSGPRsForWavesPerEU: 4
; NumVGPRsForWavesPerEU: 1
; AccumOffset: 4
; Occupancy: 8
; WaveLimiterHint : 0
; COMPUTE_PGM_RSRC2:SCRATCH_EN: 0
; COMPUTE_PGM_RSRC2:USER_SGPR: 6
; COMPUTE_PGM_RSRC2:TRAP_HANDLER: 0
; COMPUTE_PGM_RSRC2:TGID_X_EN: 1
; COMPUTE_PGM_RSRC2:TGID_Y_EN: 0
; COMPUTE_PGM_RSRC2:TGID_Z_EN: 0
; COMPUTE_PGM_RSRC2:TIDIG_COMP_CNT: 0
; COMPUTE_PGM_RSRC3_GFX90A:ACCUM_OFFSET: 0
; COMPUTE_PGM_RSRC3_GFX90A:TG_SPLIT: 0
	.section	.text._ZN7rocprim17ROCPRIM_400000_NS6detail17trampoline_kernelINS0_14default_configENS1_20scan_config_selectorIjEEZZNS1_9scan_implILNS1_25lookback_scan_determinismE0ELb0ELb0ES3_N6thrust23THRUST_200600_302600_NS6detail15normal_iteratorINS9_10device_ptrIjEEEESE_j11max_functorIjEjEEDaPvRmT3_T4_T5_mT6_P12ihipStream_tbENKUlT_T0_E_clISt17integral_constantIbLb0EESU_EEDaSP_SQ_EUlSP_E_NS1_11comp_targetILNS1_3genE10ELNS1_11target_archE1201ELNS1_3gpuE5ELNS1_3repE0EEENS1_30default_config_static_selectorELNS0_4arch9wavefront6targetE1EEEvT1_,"axG",@progbits,_ZN7rocprim17ROCPRIM_400000_NS6detail17trampoline_kernelINS0_14default_configENS1_20scan_config_selectorIjEEZZNS1_9scan_implILNS1_25lookback_scan_determinismE0ELb0ELb0ES3_N6thrust23THRUST_200600_302600_NS6detail15normal_iteratorINS9_10device_ptrIjEEEESE_j11max_functorIjEjEEDaPvRmT3_T4_T5_mT6_P12ihipStream_tbENKUlT_T0_E_clISt17integral_constantIbLb0EESU_EEDaSP_SQ_EUlSP_E_NS1_11comp_targetILNS1_3genE10ELNS1_11target_archE1201ELNS1_3gpuE5ELNS1_3repE0EEENS1_30default_config_static_selectorELNS0_4arch9wavefront6targetE1EEEvT1_,comdat
	.protected	_ZN7rocprim17ROCPRIM_400000_NS6detail17trampoline_kernelINS0_14default_configENS1_20scan_config_selectorIjEEZZNS1_9scan_implILNS1_25lookback_scan_determinismE0ELb0ELb0ES3_N6thrust23THRUST_200600_302600_NS6detail15normal_iteratorINS9_10device_ptrIjEEEESE_j11max_functorIjEjEEDaPvRmT3_T4_T5_mT6_P12ihipStream_tbENKUlT_T0_E_clISt17integral_constantIbLb0EESU_EEDaSP_SQ_EUlSP_E_NS1_11comp_targetILNS1_3genE10ELNS1_11target_archE1201ELNS1_3gpuE5ELNS1_3repE0EEENS1_30default_config_static_selectorELNS0_4arch9wavefront6targetE1EEEvT1_ ; -- Begin function _ZN7rocprim17ROCPRIM_400000_NS6detail17trampoline_kernelINS0_14default_configENS1_20scan_config_selectorIjEEZZNS1_9scan_implILNS1_25lookback_scan_determinismE0ELb0ELb0ES3_N6thrust23THRUST_200600_302600_NS6detail15normal_iteratorINS9_10device_ptrIjEEEESE_j11max_functorIjEjEEDaPvRmT3_T4_T5_mT6_P12ihipStream_tbENKUlT_T0_E_clISt17integral_constantIbLb0EESU_EEDaSP_SQ_EUlSP_E_NS1_11comp_targetILNS1_3genE10ELNS1_11target_archE1201ELNS1_3gpuE5ELNS1_3repE0EEENS1_30default_config_static_selectorELNS0_4arch9wavefront6targetE1EEEvT1_
	.globl	_ZN7rocprim17ROCPRIM_400000_NS6detail17trampoline_kernelINS0_14default_configENS1_20scan_config_selectorIjEEZZNS1_9scan_implILNS1_25lookback_scan_determinismE0ELb0ELb0ES3_N6thrust23THRUST_200600_302600_NS6detail15normal_iteratorINS9_10device_ptrIjEEEESE_j11max_functorIjEjEEDaPvRmT3_T4_T5_mT6_P12ihipStream_tbENKUlT_T0_E_clISt17integral_constantIbLb0EESU_EEDaSP_SQ_EUlSP_E_NS1_11comp_targetILNS1_3genE10ELNS1_11target_archE1201ELNS1_3gpuE5ELNS1_3repE0EEENS1_30default_config_static_selectorELNS0_4arch9wavefront6targetE1EEEvT1_
	.p2align	8
	.type	_ZN7rocprim17ROCPRIM_400000_NS6detail17trampoline_kernelINS0_14default_configENS1_20scan_config_selectorIjEEZZNS1_9scan_implILNS1_25lookback_scan_determinismE0ELb0ELb0ES3_N6thrust23THRUST_200600_302600_NS6detail15normal_iteratorINS9_10device_ptrIjEEEESE_j11max_functorIjEjEEDaPvRmT3_T4_T5_mT6_P12ihipStream_tbENKUlT_T0_E_clISt17integral_constantIbLb0EESU_EEDaSP_SQ_EUlSP_E_NS1_11comp_targetILNS1_3genE10ELNS1_11target_archE1201ELNS1_3gpuE5ELNS1_3repE0EEENS1_30default_config_static_selectorELNS0_4arch9wavefront6targetE1EEEvT1_,@function
_ZN7rocprim17ROCPRIM_400000_NS6detail17trampoline_kernelINS0_14default_configENS1_20scan_config_selectorIjEEZZNS1_9scan_implILNS1_25lookback_scan_determinismE0ELb0ELb0ES3_N6thrust23THRUST_200600_302600_NS6detail15normal_iteratorINS9_10device_ptrIjEEEESE_j11max_functorIjEjEEDaPvRmT3_T4_T5_mT6_P12ihipStream_tbENKUlT_T0_E_clISt17integral_constantIbLb0EESU_EEDaSP_SQ_EUlSP_E_NS1_11comp_targetILNS1_3genE10ELNS1_11target_archE1201ELNS1_3gpuE5ELNS1_3repE0EEENS1_30default_config_static_selectorELNS0_4arch9wavefront6targetE1EEEvT1_: ; @_ZN7rocprim17ROCPRIM_400000_NS6detail17trampoline_kernelINS0_14default_configENS1_20scan_config_selectorIjEEZZNS1_9scan_implILNS1_25lookback_scan_determinismE0ELb0ELb0ES3_N6thrust23THRUST_200600_302600_NS6detail15normal_iteratorINS9_10device_ptrIjEEEESE_j11max_functorIjEjEEDaPvRmT3_T4_T5_mT6_P12ihipStream_tbENKUlT_T0_E_clISt17integral_constantIbLb0EESU_EEDaSP_SQ_EUlSP_E_NS1_11comp_targetILNS1_3genE10ELNS1_11target_archE1201ELNS1_3gpuE5ELNS1_3repE0EEENS1_30default_config_static_selectorELNS0_4arch9wavefront6targetE1EEEvT1_
; %bb.0:
	.section	.rodata,"a",@progbits
	.p2align	6, 0x0
	.amdhsa_kernel _ZN7rocprim17ROCPRIM_400000_NS6detail17trampoline_kernelINS0_14default_configENS1_20scan_config_selectorIjEEZZNS1_9scan_implILNS1_25lookback_scan_determinismE0ELb0ELb0ES3_N6thrust23THRUST_200600_302600_NS6detail15normal_iteratorINS9_10device_ptrIjEEEESE_j11max_functorIjEjEEDaPvRmT3_T4_T5_mT6_P12ihipStream_tbENKUlT_T0_E_clISt17integral_constantIbLb0EESU_EEDaSP_SQ_EUlSP_E_NS1_11comp_targetILNS1_3genE10ELNS1_11target_archE1201ELNS1_3gpuE5ELNS1_3repE0EEENS1_30default_config_static_selectorELNS0_4arch9wavefront6targetE1EEEvT1_
		.amdhsa_group_segment_fixed_size 0
		.amdhsa_private_segment_fixed_size 0
		.amdhsa_kernarg_size 96
		.amdhsa_user_sgpr_count 6
		.amdhsa_user_sgpr_private_segment_buffer 1
		.amdhsa_user_sgpr_dispatch_ptr 0
		.amdhsa_user_sgpr_queue_ptr 0
		.amdhsa_user_sgpr_kernarg_segment_ptr 1
		.amdhsa_user_sgpr_dispatch_id 0
		.amdhsa_user_sgpr_flat_scratch_init 0
		.amdhsa_user_sgpr_kernarg_preload_length 0
		.amdhsa_user_sgpr_kernarg_preload_offset 0
		.amdhsa_user_sgpr_private_segment_size 0
		.amdhsa_uses_dynamic_stack 0
		.amdhsa_system_sgpr_private_segment_wavefront_offset 0
		.amdhsa_system_sgpr_workgroup_id_x 1
		.amdhsa_system_sgpr_workgroup_id_y 0
		.amdhsa_system_sgpr_workgroup_id_z 0
		.amdhsa_system_sgpr_workgroup_info 0
		.amdhsa_system_vgpr_workitem_id 0
		.amdhsa_next_free_vgpr 1
		.amdhsa_next_free_sgpr 0
		.amdhsa_accum_offset 4
		.amdhsa_reserve_vcc 0
		.amdhsa_reserve_flat_scratch 0
		.amdhsa_float_round_mode_32 0
		.amdhsa_float_round_mode_16_64 0
		.amdhsa_float_denorm_mode_32 3
		.amdhsa_float_denorm_mode_16_64 3
		.amdhsa_dx10_clamp 1
		.amdhsa_ieee_mode 1
		.amdhsa_fp16_overflow 0
		.amdhsa_tg_split 0
		.amdhsa_exception_fp_ieee_invalid_op 0
		.amdhsa_exception_fp_denorm_src 0
		.amdhsa_exception_fp_ieee_div_zero 0
		.amdhsa_exception_fp_ieee_overflow 0
		.amdhsa_exception_fp_ieee_underflow 0
		.amdhsa_exception_fp_ieee_inexact 0
		.amdhsa_exception_int_div_zero 0
	.end_amdhsa_kernel
	.section	.text._ZN7rocprim17ROCPRIM_400000_NS6detail17trampoline_kernelINS0_14default_configENS1_20scan_config_selectorIjEEZZNS1_9scan_implILNS1_25lookback_scan_determinismE0ELb0ELb0ES3_N6thrust23THRUST_200600_302600_NS6detail15normal_iteratorINS9_10device_ptrIjEEEESE_j11max_functorIjEjEEDaPvRmT3_T4_T5_mT6_P12ihipStream_tbENKUlT_T0_E_clISt17integral_constantIbLb0EESU_EEDaSP_SQ_EUlSP_E_NS1_11comp_targetILNS1_3genE10ELNS1_11target_archE1201ELNS1_3gpuE5ELNS1_3repE0EEENS1_30default_config_static_selectorELNS0_4arch9wavefront6targetE1EEEvT1_,"axG",@progbits,_ZN7rocprim17ROCPRIM_400000_NS6detail17trampoline_kernelINS0_14default_configENS1_20scan_config_selectorIjEEZZNS1_9scan_implILNS1_25lookback_scan_determinismE0ELb0ELb0ES3_N6thrust23THRUST_200600_302600_NS6detail15normal_iteratorINS9_10device_ptrIjEEEESE_j11max_functorIjEjEEDaPvRmT3_T4_T5_mT6_P12ihipStream_tbENKUlT_T0_E_clISt17integral_constantIbLb0EESU_EEDaSP_SQ_EUlSP_E_NS1_11comp_targetILNS1_3genE10ELNS1_11target_archE1201ELNS1_3gpuE5ELNS1_3repE0EEENS1_30default_config_static_selectorELNS0_4arch9wavefront6targetE1EEEvT1_,comdat
.Lfunc_end2251:
	.size	_ZN7rocprim17ROCPRIM_400000_NS6detail17trampoline_kernelINS0_14default_configENS1_20scan_config_selectorIjEEZZNS1_9scan_implILNS1_25lookback_scan_determinismE0ELb0ELb0ES3_N6thrust23THRUST_200600_302600_NS6detail15normal_iteratorINS9_10device_ptrIjEEEESE_j11max_functorIjEjEEDaPvRmT3_T4_T5_mT6_P12ihipStream_tbENKUlT_T0_E_clISt17integral_constantIbLb0EESU_EEDaSP_SQ_EUlSP_E_NS1_11comp_targetILNS1_3genE10ELNS1_11target_archE1201ELNS1_3gpuE5ELNS1_3repE0EEENS1_30default_config_static_selectorELNS0_4arch9wavefront6targetE1EEEvT1_, .Lfunc_end2251-_ZN7rocprim17ROCPRIM_400000_NS6detail17trampoline_kernelINS0_14default_configENS1_20scan_config_selectorIjEEZZNS1_9scan_implILNS1_25lookback_scan_determinismE0ELb0ELb0ES3_N6thrust23THRUST_200600_302600_NS6detail15normal_iteratorINS9_10device_ptrIjEEEESE_j11max_functorIjEjEEDaPvRmT3_T4_T5_mT6_P12ihipStream_tbENKUlT_T0_E_clISt17integral_constantIbLb0EESU_EEDaSP_SQ_EUlSP_E_NS1_11comp_targetILNS1_3genE10ELNS1_11target_archE1201ELNS1_3gpuE5ELNS1_3repE0EEENS1_30default_config_static_selectorELNS0_4arch9wavefront6targetE1EEEvT1_
                                        ; -- End function
	.section	.AMDGPU.csdata,"",@progbits
; Kernel info:
; codeLenInByte = 0
; NumSgprs: 4
; NumVgprs: 0
; NumAgprs: 0
; TotalNumVgprs: 0
; ScratchSize: 0
; MemoryBound: 0
; FloatMode: 240
; IeeeMode: 1
; LDSByteSize: 0 bytes/workgroup (compile time only)
; SGPRBlocks: 0
; VGPRBlocks: 0
; NumSGPRsForWavesPerEU: 4
; NumVGPRsForWavesPerEU: 1
; AccumOffset: 4
; Occupancy: 8
; WaveLimiterHint : 0
; COMPUTE_PGM_RSRC2:SCRATCH_EN: 0
; COMPUTE_PGM_RSRC2:USER_SGPR: 6
; COMPUTE_PGM_RSRC2:TRAP_HANDLER: 0
; COMPUTE_PGM_RSRC2:TGID_X_EN: 1
; COMPUTE_PGM_RSRC2:TGID_Y_EN: 0
; COMPUTE_PGM_RSRC2:TGID_Z_EN: 0
; COMPUTE_PGM_RSRC2:TIDIG_COMP_CNT: 0
; COMPUTE_PGM_RSRC3_GFX90A:ACCUM_OFFSET: 0
; COMPUTE_PGM_RSRC3_GFX90A:TG_SPLIT: 0
	.section	.text._ZN7rocprim17ROCPRIM_400000_NS6detail17trampoline_kernelINS0_14default_configENS1_20scan_config_selectorIjEEZZNS1_9scan_implILNS1_25lookback_scan_determinismE0ELb0ELb0ES3_N6thrust23THRUST_200600_302600_NS6detail15normal_iteratorINS9_10device_ptrIjEEEESE_j11max_functorIjEjEEDaPvRmT3_T4_T5_mT6_P12ihipStream_tbENKUlT_T0_E_clISt17integral_constantIbLb0EESU_EEDaSP_SQ_EUlSP_E_NS1_11comp_targetILNS1_3genE10ELNS1_11target_archE1200ELNS1_3gpuE4ELNS1_3repE0EEENS1_30default_config_static_selectorELNS0_4arch9wavefront6targetE1EEEvT1_,"axG",@progbits,_ZN7rocprim17ROCPRIM_400000_NS6detail17trampoline_kernelINS0_14default_configENS1_20scan_config_selectorIjEEZZNS1_9scan_implILNS1_25lookback_scan_determinismE0ELb0ELb0ES3_N6thrust23THRUST_200600_302600_NS6detail15normal_iteratorINS9_10device_ptrIjEEEESE_j11max_functorIjEjEEDaPvRmT3_T4_T5_mT6_P12ihipStream_tbENKUlT_T0_E_clISt17integral_constantIbLb0EESU_EEDaSP_SQ_EUlSP_E_NS1_11comp_targetILNS1_3genE10ELNS1_11target_archE1200ELNS1_3gpuE4ELNS1_3repE0EEENS1_30default_config_static_selectorELNS0_4arch9wavefront6targetE1EEEvT1_,comdat
	.protected	_ZN7rocprim17ROCPRIM_400000_NS6detail17trampoline_kernelINS0_14default_configENS1_20scan_config_selectorIjEEZZNS1_9scan_implILNS1_25lookback_scan_determinismE0ELb0ELb0ES3_N6thrust23THRUST_200600_302600_NS6detail15normal_iteratorINS9_10device_ptrIjEEEESE_j11max_functorIjEjEEDaPvRmT3_T4_T5_mT6_P12ihipStream_tbENKUlT_T0_E_clISt17integral_constantIbLb0EESU_EEDaSP_SQ_EUlSP_E_NS1_11comp_targetILNS1_3genE10ELNS1_11target_archE1200ELNS1_3gpuE4ELNS1_3repE0EEENS1_30default_config_static_selectorELNS0_4arch9wavefront6targetE1EEEvT1_ ; -- Begin function _ZN7rocprim17ROCPRIM_400000_NS6detail17trampoline_kernelINS0_14default_configENS1_20scan_config_selectorIjEEZZNS1_9scan_implILNS1_25lookback_scan_determinismE0ELb0ELb0ES3_N6thrust23THRUST_200600_302600_NS6detail15normal_iteratorINS9_10device_ptrIjEEEESE_j11max_functorIjEjEEDaPvRmT3_T4_T5_mT6_P12ihipStream_tbENKUlT_T0_E_clISt17integral_constantIbLb0EESU_EEDaSP_SQ_EUlSP_E_NS1_11comp_targetILNS1_3genE10ELNS1_11target_archE1200ELNS1_3gpuE4ELNS1_3repE0EEENS1_30default_config_static_selectorELNS0_4arch9wavefront6targetE1EEEvT1_
	.globl	_ZN7rocprim17ROCPRIM_400000_NS6detail17trampoline_kernelINS0_14default_configENS1_20scan_config_selectorIjEEZZNS1_9scan_implILNS1_25lookback_scan_determinismE0ELb0ELb0ES3_N6thrust23THRUST_200600_302600_NS6detail15normal_iteratorINS9_10device_ptrIjEEEESE_j11max_functorIjEjEEDaPvRmT3_T4_T5_mT6_P12ihipStream_tbENKUlT_T0_E_clISt17integral_constantIbLb0EESU_EEDaSP_SQ_EUlSP_E_NS1_11comp_targetILNS1_3genE10ELNS1_11target_archE1200ELNS1_3gpuE4ELNS1_3repE0EEENS1_30default_config_static_selectorELNS0_4arch9wavefront6targetE1EEEvT1_
	.p2align	8
	.type	_ZN7rocprim17ROCPRIM_400000_NS6detail17trampoline_kernelINS0_14default_configENS1_20scan_config_selectorIjEEZZNS1_9scan_implILNS1_25lookback_scan_determinismE0ELb0ELb0ES3_N6thrust23THRUST_200600_302600_NS6detail15normal_iteratorINS9_10device_ptrIjEEEESE_j11max_functorIjEjEEDaPvRmT3_T4_T5_mT6_P12ihipStream_tbENKUlT_T0_E_clISt17integral_constantIbLb0EESU_EEDaSP_SQ_EUlSP_E_NS1_11comp_targetILNS1_3genE10ELNS1_11target_archE1200ELNS1_3gpuE4ELNS1_3repE0EEENS1_30default_config_static_selectorELNS0_4arch9wavefront6targetE1EEEvT1_,@function
_ZN7rocprim17ROCPRIM_400000_NS6detail17trampoline_kernelINS0_14default_configENS1_20scan_config_selectorIjEEZZNS1_9scan_implILNS1_25lookback_scan_determinismE0ELb0ELb0ES3_N6thrust23THRUST_200600_302600_NS6detail15normal_iteratorINS9_10device_ptrIjEEEESE_j11max_functorIjEjEEDaPvRmT3_T4_T5_mT6_P12ihipStream_tbENKUlT_T0_E_clISt17integral_constantIbLb0EESU_EEDaSP_SQ_EUlSP_E_NS1_11comp_targetILNS1_3genE10ELNS1_11target_archE1200ELNS1_3gpuE4ELNS1_3repE0EEENS1_30default_config_static_selectorELNS0_4arch9wavefront6targetE1EEEvT1_: ; @_ZN7rocprim17ROCPRIM_400000_NS6detail17trampoline_kernelINS0_14default_configENS1_20scan_config_selectorIjEEZZNS1_9scan_implILNS1_25lookback_scan_determinismE0ELb0ELb0ES3_N6thrust23THRUST_200600_302600_NS6detail15normal_iteratorINS9_10device_ptrIjEEEESE_j11max_functorIjEjEEDaPvRmT3_T4_T5_mT6_P12ihipStream_tbENKUlT_T0_E_clISt17integral_constantIbLb0EESU_EEDaSP_SQ_EUlSP_E_NS1_11comp_targetILNS1_3genE10ELNS1_11target_archE1200ELNS1_3gpuE4ELNS1_3repE0EEENS1_30default_config_static_selectorELNS0_4arch9wavefront6targetE1EEEvT1_
; %bb.0:
	.section	.rodata,"a",@progbits
	.p2align	6, 0x0
	.amdhsa_kernel _ZN7rocprim17ROCPRIM_400000_NS6detail17trampoline_kernelINS0_14default_configENS1_20scan_config_selectorIjEEZZNS1_9scan_implILNS1_25lookback_scan_determinismE0ELb0ELb0ES3_N6thrust23THRUST_200600_302600_NS6detail15normal_iteratorINS9_10device_ptrIjEEEESE_j11max_functorIjEjEEDaPvRmT3_T4_T5_mT6_P12ihipStream_tbENKUlT_T0_E_clISt17integral_constantIbLb0EESU_EEDaSP_SQ_EUlSP_E_NS1_11comp_targetILNS1_3genE10ELNS1_11target_archE1200ELNS1_3gpuE4ELNS1_3repE0EEENS1_30default_config_static_selectorELNS0_4arch9wavefront6targetE1EEEvT1_
		.amdhsa_group_segment_fixed_size 0
		.amdhsa_private_segment_fixed_size 0
		.amdhsa_kernarg_size 96
		.amdhsa_user_sgpr_count 6
		.amdhsa_user_sgpr_private_segment_buffer 1
		.amdhsa_user_sgpr_dispatch_ptr 0
		.amdhsa_user_sgpr_queue_ptr 0
		.amdhsa_user_sgpr_kernarg_segment_ptr 1
		.amdhsa_user_sgpr_dispatch_id 0
		.amdhsa_user_sgpr_flat_scratch_init 0
		.amdhsa_user_sgpr_kernarg_preload_length 0
		.amdhsa_user_sgpr_kernarg_preload_offset 0
		.amdhsa_user_sgpr_private_segment_size 0
		.amdhsa_uses_dynamic_stack 0
		.amdhsa_system_sgpr_private_segment_wavefront_offset 0
		.amdhsa_system_sgpr_workgroup_id_x 1
		.amdhsa_system_sgpr_workgroup_id_y 0
		.amdhsa_system_sgpr_workgroup_id_z 0
		.amdhsa_system_sgpr_workgroup_info 0
		.amdhsa_system_vgpr_workitem_id 0
		.amdhsa_next_free_vgpr 1
		.amdhsa_next_free_sgpr 0
		.amdhsa_accum_offset 4
		.amdhsa_reserve_vcc 0
		.amdhsa_reserve_flat_scratch 0
		.amdhsa_float_round_mode_32 0
		.amdhsa_float_round_mode_16_64 0
		.amdhsa_float_denorm_mode_32 3
		.amdhsa_float_denorm_mode_16_64 3
		.amdhsa_dx10_clamp 1
		.amdhsa_ieee_mode 1
		.amdhsa_fp16_overflow 0
		.amdhsa_tg_split 0
		.amdhsa_exception_fp_ieee_invalid_op 0
		.amdhsa_exception_fp_denorm_src 0
		.amdhsa_exception_fp_ieee_div_zero 0
		.amdhsa_exception_fp_ieee_overflow 0
		.amdhsa_exception_fp_ieee_underflow 0
		.amdhsa_exception_fp_ieee_inexact 0
		.amdhsa_exception_int_div_zero 0
	.end_amdhsa_kernel
	.section	.text._ZN7rocprim17ROCPRIM_400000_NS6detail17trampoline_kernelINS0_14default_configENS1_20scan_config_selectorIjEEZZNS1_9scan_implILNS1_25lookback_scan_determinismE0ELb0ELb0ES3_N6thrust23THRUST_200600_302600_NS6detail15normal_iteratorINS9_10device_ptrIjEEEESE_j11max_functorIjEjEEDaPvRmT3_T4_T5_mT6_P12ihipStream_tbENKUlT_T0_E_clISt17integral_constantIbLb0EESU_EEDaSP_SQ_EUlSP_E_NS1_11comp_targetILNS1_3genE10ELNS1_11target_archE1200ELNS1_3gpuE4ELNS1_3repE0EEENS1_30default_config_static_selectorELNS0_4arch9wavefront6targetE1EEEvT1_,"axG",@progbits,_ZN7rocprim17ROCPRIM_400000_NS6detail17trampoline_kernelINS0_14default_configENS1_20scan_config_selectorIjEEZZNS1_9scan_implILNS1_25lookback_scan_determinismE0ELb0ELb0ES3_N6thrust23THRUST_200600_302600_NS6detail15normal_iteratorINS9_10device_ptrIjEEEESE_j11max_functorIjEjEEDaPvRmT3_T4_T5_mT6_P12ihipStream_tbENKUlT_T0_E_clISt17integral_constantIbLb0EESU_EEDaSP_SQ_EUlSP_E_NS1_11comp_targetILNS1_3genE10ELNS1_11target_archE1200ELNS1_3gpuE4ELNS1_3repE0EEENS1_30default_config_static_selectorELNS0_4arch9wavefront6targetE1EEEvT1_,comdat
.Lfunc_end2252:
	.size	_ZN7rocprim17ROCPRIM_400000_NS6detail17trampoline_kernelINS0_14default_configENS1_20scan_config_selectorIjEEZZNS1_9scan_implILNS1_25lookback_scan_determinismE0ELb0ELb0ES3_N6thrust23THRUST_200600_302600_NS6detail15normal_iteratorINS9_10device_ptrIjEEEESE_j11max_functorIjEjEEDaPvRmT3_T4_T5_mT6_P12ihipStream_tbENKUlT_T0_E_clISt17integral_constantIbLb0EESU_EEDaSP_SQ_EUlSP_E_NS1_11comp_targetILNS1_3genE10ELNS1_11target_archE1200ELNS1_3gpuE4ELNS1_3repE0EEENS1_30default_config_static_selectorELNS0_4arch9wavefront6targetE1EEEvT1_, .Lfunc_end2252-_ZN7rocprim17ROCPRIM_400000_NS6detail17trampoline_kernelINS0_14default_configENS1_20scan_config_selectorIjEEZZNS1_9scan_implILNS1_25lookback_scan_determinismE0ELb0ELb0ES3_N6thrust23THRUST_200600_302600_NS6detail15normal_iteratorINS9_10device_ptrIjEEEESE_j11max_functorIjEjEEDaPvRmT3_T4_T5_mT6_P12ihipStream_tbENKUlT_T0_E_clISt17integral_constantIbLb0EESU_EEDaSP_SQ_EUlSP_E_NS1_11comp_targetILNS1_3genE10ELNS1_11target_archE1200ELNS1_3gpuE4ELNS1_3repE0EEENS1_30default_config_static_selectorELNS0_4arch9wavefront6targetE1EEEvT1_
                                        ; -- End function
	.section	.AMDGPU.csdata,"",@progbits
; Kernel info:
; codeLenInByte = 0
; NumSgprs: 4
; NumVgprs: 0
; NumAgprs: 0
; TotalNumVgprs: 0
; ScratchSize: 0
; MemoryBound: 0
; FloatMode: 240
; IeeeMode: 1
; LDSByteSize: 0 bytes/workgroup (compile time only)
; SGPRBlocks: 0
; VGPRBlocks: 0
; NumSGPRsForWavesPerEU: 4
; NumVGPRsForWavesPerEU: 1
; AccumOffset: 4
; Occupancy: 8
; WaveLimiterHint : 0
; COMPUTE_PGM_RSRC2:SCRATCH_EN: 0
; COMPUTE_PGM_RSRC2:USER_SGPR: 6
; COMPUTE_PGM_RSRC2:TRAP_HANDLER: 0
; COMPUTE_PGM_RSRC2:TGID_X_EN: 1
; COMPUTE_PGM_RSRC2:TGID_Y_EN: 0
; COMPUTE_PGM_RSRC2:TGID_Z_EN: 0
; COMPUTE_PGM_RSRC2:TIDIG_COMP_CNT: 0
; COMPUTE_PGM_RSRC3_GFX90A:ACCUM_OFFSET: 0
; COMPUTE_PGM_RSRC3_GFX90A:TG_SPLIT: 0
	.section	.text._ZN7rocprim17ROCPRIM_400000_NS6detail17trampoline_kernelINS0_14default_configENS1_20scan_config_selectorIjEEZZNS1_9scan_implILNS1_25lookback_scan_determinismE0ELb0ELb0ES3_N6thrust23THRUST_200600_302600_NS6detail15normal_iteratorINS9_10device_ptrIjEEEESE_j11max_functorIjEjEEDaPvRmT3_T4_T5_mT6_P12ihipStream_tbENKUlT_T0_E_clISt17integral_constantIbLb0EESU_EEDaSP_SQ_EUlSP_E_NS1_11comp_targetILNS1_3genE9ELNS1_11target_archE1100ELNS1_3gpuE3ELNS1_3repE0EEENS1_30default_config_static_selectorELNS0_4arch9wavefront6targetE1EEEvT1_,"axG",@progbits,_ZN7rocprim17ROCPRIM_400000_NS6detail17trampoline_kernelINS0_14default_configENS1_20scan_config_selectorIjEEZZNS1_9scan_implILNS1_25lookback_scan_determinismE0ELb0ELb0ES3_N6thrust23THRUST_200600_302600_NS6detail15normal_iteratorINS9_10device_ptrIjEEEESE_j11max_functorIjEjEEDaPvRmT3_T4_T5_mT6_P12ihipStream_tbENKUlT_T0_E_clISt17integral_constantIbLb0EESU_EEDaSP_SQ_EUlSP_E_NS1_11comp_targetILNS1_3genE9ELNS1_11target_archE1100ELNS1_3gpuE3ELNS1_3repE0EEENS1_30default_config_static_selectorELNS0_4arch9wavefront6targetE1EEEvT1_,comdat
	.protected	_ZN7rocprim17ROCPRIM_400000_NS6detail17trampoline_kernelINS0_14default_configENS1_20scan_config_selectorIjEEZZNS1_9scan_implILNS1_25lookback_scan_determinismE0ELb0ELb0ES3_N6thrust23THRUST_200600_302600_NS6detail15normal_iteratorINS9_10device_ptrIjEEEESE_j11max_functorIjEjEEDaPvRmT3_T4_T5_mT6_P12ihipStream_tbENKUlT_T0_E_clISt17integral_constantIbLb0EESU_EEDaSP_SQ_EUlSP_E_NS1_11comp_targetILNS1_3genE9ELNS1_11target_archE1100ELNS1_3gpuE3ELNS1_3repE0EEENS1_30default_config_static_selectorELNS0_4arch9wavefront6targetE1EEEvT1_ ; -- Begin function _ZN7rocprim17ROCPRIM_400000_NS6detail17trampoline_kernelINS0_14default_configENS1_20scan_config_selectorIjEEZZNS1_9scan_implILNS1_25lookback_scan_determinismE0ELb0ELb0ES3_N6thrust23THRUST_200600_302600_NS6detail15normal_iteratorINS9_10device_ptrIjEEEESE_j11max_functorIjEjEEDaPvRmT3_T4_T5_mT6_P12ihipStream_tbENKUlT_T0_E_clISt17integral_constantIbLb0EESU_EEDaSP_SQ_EUlSP_E_NS1_11comp_targetILNS1_3genE9ELNS1_11target_archE1100ELNS1_3gpuE3ELNS1_3repE0EEENS1_30default_config_static_selectorELNS0_4arch9wavefront6targetE1EEEvT1_
	.globl	_ZN7rocprim17ROCPRIM_400000_NS6detail17trampoline_kernelINS0_14default_configENS1_20scan_config_selectorIjEEZZNS1_9scan_implILNS1_25lookback_scan_determinismE0ELb0ELb0ES3_N6thrust23THRUST_200600_302600_NS6detail15normal_iteratorINS9_10device_ptrIjEEEESE_j11max_functorIjEjEEDaPvRmT3_T4_T5_mT6_P12ihipStream_tbENKUlT_T0_E_clISt17integral_constantIbLb0EESU_EEDaSP_SQ_EUlSP_E_NS1_11comp_targetILNS1_3genE9ELNS1_11target_archE1100ELNS1_3gpuE3ELNS1_3repE0EEENS1_30default_config_static_selectorELNS0_4arch9wavefront6targetE1EEEvT1_
	.p2align	8
	.type	_ZN7rocprim17ROCPRIM_400000_NS6detail17trampoline_kernelINS0_14default_configENS1_20scan_config_selectorIjEEZZNS1_9scan_implILNS1_25lookback_scan_determinismE0ELb0ELb0ES3_N6thrust23THRUST_200600_302600_NS6detail15normal_iteratorINS9_10device_ptrIjEEEESE_j11max_functorIjEjEEDaPvRmT3_T4_T5_mT6_P12ihipStream_tbENKUlT_T0_E_clISt17integral_constantIbLb0EESU_EEDaSP_SQ_EUlSP_E_NS1_11comp_targetILNS1_3genE9ELNS1_11target_archE1100ELNS1_3gpuE3ELNS1_3repE0EEENS1_30default_config_static_selectorELNS0_4arch9wavefront6targetE1EEEvT1_,@function
_ZN7rocprim17ROCPRIM_400000_NS6detail17trampoline_kernelINS0_14default_configENS1_20scan_config_selectorIjEEZZNS1_9scan_implILNS1_25lookback_scan_determinismE0ELb0ELb0ES3_N6thrust23THRUST_200600_302600_NS6detail15normal_iteratorINS9_10device_ptrIjEEEESE_j11max_functorIjEjEEDaPvRmT3_T4_T5_mT6_P12ihipStream_tbENKUlT_T0_E_clISt17integral_constantIbLb0EESU_EEDaSP_SQ_EUlSP_E_NS1_11comp_targetILNS1_3genE9ELNS1_11target_archE1100ELNS1_3gpuE3ELNS1_3repE0EEENS1_30default_config_static_selectorELNS0_4arch9wavefront6targetE1EEEvT1_: ; @_ZN7rocprim17ROCPRIM_400000_NS6detail17trampoline_kernelINS0_14default_configENS1_20scan_config_selectorIjEEZZNS1_9scan_implILNS1_25lookback_scan_determinismE0ELb0ELb0ES3_N6thrust23THRUST_200600_302600_NS6detail15normal_iteratorINS9_10device_ptrIjEEEESE_j11max_functorIjEjEEDaPvRmT3_T4_T5_mT6_P12ihipStream_tbENKUlT_T0_E_clISt17integral_constantIbLb0EESU_EEDaSP_SQ_EUlSP_E_NS1_11comp_targetILNS1_3genE9ELNS1_11target_archE1100ELNS1_3gpuE3ELNS1_3repE0EEENS1_30default_config_static_selectorELNS0_4arch9wavefront6targetE1EEEvT1_
; %bb.0:
	.section	.rodata,"a",@progbits
	.p2align	6, 0x0
	.amdhsa_kernel _ZN7rocprim17ROCPRIM_400000_NS6detail17trampoline_kernelINS0_14default_configENS1_20scan_config_selectorIjEEZZNS1_9scan_implILNS1_25lookback_scan_determinismE0ELb0ELb0ES3_N6thrust23THRUST_200600_302600_NS6detail15normal_iteratorINS9_10device_ptrIjEEEESE_j11max_functorIjEjEEDaPvRmT3_T4_T5_mT6_P12ihipStream_tbENKUlT_T0_E_clISt17integral_constantIbLb0EESU_EEDaSP_SQ_EUlSP_E_NS1_11comp_targetILNS1_3genE9ELNS1_11target_archE1100ELNS1_3gpuE3ELNS1_3repE0EEENS1_30default_config_static_selectorELNS0_4arch9wavefront6targetE1EEEvT1_
		.amdhsa_group_segment_fixed_size 0
		.amdhsa_private_segment_fixed_size 0
		.amdhsa_kernarg_size 96
		.amdhsa_user_sgpr_count 6
		.amdhsa_user_sgpr_private_segment_buffer 1
		.amdhsa_user_sgpr_dispatch_ptr 0
		.amdhsa_user_sgpr_queue_ptr 0
		.amdhsa_user_sgpr_kernarg_segment_ptr 1
		.amdhsa_user_sgpr_dispatch_id 0
		.amdhsa_user_sgpr_flat_scratch_init 0
		.amdhsa_user_sgpr_kernarg_preload_length 0
		.amdhsa_user_sgpr_kernarg_preload_offset 0
		.amdhsa_user_sgpr_private_segment_size 0
		.amdhsa_uses_dynamic_stack 0
		.amdhsa_system_sgpr_private_segment_wavefront_offset 0
		.amdhsa_system_sgpr_workgroup_id_x 1
		.amdhsa_system_sgpr_workgroup_id_y 0
		.amdhsa_system_sgpr_workgroup_id_z 0
		.amdhsa_system_sgpr_workgroup_info 0
		.amdhsa_system_vgpr_workitem_id 0
		.amdhsa_next_free_vgpr 1
		.amdhsa_next_free_sgpr 0
		.amdhsa_accum_offset 4
		.amdhsa_reserve_vcc 0
		.amdhsa_reserve_flat_scratch 0
		.amdhsa_float_round_mode_32 0
		.amdhsa_float_round_mode_16_64 0
		.amdhsa_float_denorm_mode_32 3
		.amdhsa_float_denorm_mode_16_64 3
		.amdhsa_dx10_clamp 1
		.amdhsa_ieee_mode 1
		.amdhsa_fp16_overflow 0
		.amdhsa_tg_split 0
		.amdhsa_exception_fp_ieee_invalid_op 0
		.amdhsa_exception_fp_denorm_src 0
		.amdhsa_exception_fp_ieee_div_zero 0
		.amdhsa_exception_fp_ieee_overflow 0
		.amdhsa_exception_fp_ieee_underflow 0
		.amdhsa_exception_fp_ieee_inexact 0
		.amdhsa_exception_int_div_zero 0
	.end_amdhsa_kernel
	.section	.text._ZN7rocprim17ROCPRIM_400000_NS6detail17trampoline_kernelINS0_14default_configENS1_20scan_config_selectorIjEEZZNS1_9scan_implILNS1_25lookback_scan_determinismE0ELb0ELb0ES3_N6thrust23THRUST_200600_302600_NS6detail15normal_iteratorINS9_10device_ptrIjEEEESE_j11max_functorIjEjEEDaPvRmT3_T4_T5_mT6_P12ihipStream_tbENKUlT_T0_E_clISt17integral_constantIbLb0EESU_EEDaSP_SQ_EUlSP_E_NS1_11comp_targetILNS1_3genE9ELNS1_11target_archE1100ELNS1_3gpuE3ELNS1_3repE0EEENS1_30default_config_static_selectorELNS0_4arch9wavefront6targetE1EEEvT1_,"axG",@progbits,_ZN7rocprim17ROCPRIM_400000_NS6detail17trampoline_kernelINS0_14default_configENS1_20scan_config_selectorIjEEZZNS1_9scan_implILNS1_25lookback_scan_determinismE0ELb0ELb0ES3_N6thrust23THRUST_200600_302600_NS6detail15normal_iteratorINS9_10device_ptrIjEEEESE_j11max_functorIjEjEEDaPvRmT3_T4_T5_mT6_P12ihipStream_tbENKUlT_T0_E_clISt17integral_constantIbLb0EESU_EEDaSP_SQ_EUlSP_E_NS1_11comp_targetILNS1_3genE9ELNS1_11target_archE1100ELNS1_3gpuE3ELNS1_3repE0EEENS1_30default_config_static_selectorELNS0_4arch9wavefront6targetE1EEEvT1_,comdat
.Lfunc_end2253:
	.size	_ZN7rocprim17ROCPRIM_400000_NS6detail17trampoline_kernelINS0_14default_configENS1_20scan_config_selectorIjEEZZNS1_9scan_implILNS1_25lookback_scan_determinismE0ELb0ELb0ES3_N6thrust23THRUST_200600_302600_NS6detail15normal_iteratorINS9_10device_ptrIjEEEESE_j11max_functorIjEjEEDaPvRmT3_T4_T5_mT6_P12ihipStream_tbENKUlT_T0_E_clISt17integral_constantIbLb0EESU_EEDaSP_SQ_EUlSP_E_NS1_11comp_targetILNS1_3genE9ELNS1_11target_archE1100ELNS1_3gpuE3ELNS1_3repE0EEENS1_30default_config_static_selectorELNS0_4arch9wavefront6targetE1EEEvT1_, .Lfunc_end2253-_ZN7rocprim17ROCPRIM_400000_NS6detail17trampoline_kernelINS0_14default_configENS1_20scan_config_selectorIjEEZZNS1_9scan_implILNS1_25lookback_scan_determinismE0ELb0ELb0ES3_N6thrust23THRUST_200600_302600_NS6detail15normal_iteratorINS9_10device_ptrIjEEEESE_j11max_functorIjEjEEDaPvRmT3_T4_T5_mT6_P12ihipStream_tbENKUlT_T0_E_clISt17integral_constantIbLb0EESU_EEDaSP_SQ_EUlSP_E_NS1_11comp_targetILNS1_3genE9ELNS1_11target_archE1100ELNS1_3gpuE3ELNS1_3repE0EEENS1_30default_config_static_selectorELNS0_4arch9wavefront6targetE1EEEvT1_
                                        ; -- End function
	.section	.AMDGPU.csdata,"",@progbits
; Kernel info:
; codeLenInByte = 0
; NumSgprs: 4
; NumVgprs: 0
; NumAgprs: 0
; TotalNumVgprs: 0
; ScratchSize: 0
; MemoryBound: 0
; FloatMode: 240
; IeeeMode: 1
; LDSByteSize: 0 bytes/workgroup (compile time only)
; SGPRBlocks: 0
; VGPRBlocks: 0
; NumSGPRsForWavesPerEU: 4
; NumVGPRsForWavesPerEU: 1
; AccumOffset: 4
; Occupancy: 8
; WaveLimiterHint : 0
; COMPUTE_PGM_RSRC2:SCRATCH_EN: 0
; COMPUTE_PGM_RSRC2:USER_SGPR: 6
; COMPUTE_PGM_RSRC2:TRAP_HANDLER: 0
; COMPUTE_PGM_RSRC2:TGID_X_EN: 1
; COMPUTE_PGM_RSRC2:TGID_Y_EN: 0
; COMPUTE_PGM_RSRC2:TGID_Z_EN: 0
; COMPUTE_PGM_RSRC2:TIDIG_COMP_CNT: 0
; COMPUTE_PGM_RSRC3_GFX90A:ACCUM_OFFSET: 0
; COMPUTE_PGM_RSRC3_GFX90A:TG_SPLIT: 0
	.section	.text._ZN7rocprim17ROCPRIM_400000_NS6detail17trampoline_kernelINS0_14default_configENS1_20scan_config_selectorIjEEZZNS1_9scan_implILNS1_25lookback_scan_determinismE0ELb0ELb0ES3_N6thrust23THRUST_200600_302600_NS6detail15normal_iteratorINS9_10device_ptrIjEEEESE_j11max_functorIjEjEEDaPvRmT3_T4_T5_mT6_P12ihipStream_tbENKUlT_T0_E_clISt17integral_constantIbLb0EESU_EEDaSP_SQ_EUlSP_E_NS1_11comp_targetILNS1_3genE8ELNS1_11target_archE1030ELNS1_3gpuE2ELNS1_3repE0EEENS1_30default_config_static_selectorELNS0_4arch9wavefront6targetE1EEEvT1_,"axG",@progbits,_ZN7rocprim17ROCPRIM_400000_NS6detail17trampoline_kernelINS0_14default_configENS1_20scan_config_selectorIjEEZZNS1_9scan_implILNS1_25lookback_scan_determinismE0ELb0ELb0ES3_N6thrust23THRUST_200600_302600_NS6detail15normal_iteratorINS9_10device_ptrIjEEEESE_j11max_functorIjEjEEDaPvRmT3_T4_T5_mT6_P12ihipStream_tbENKUlT_T0_E_clISt17integral_constantIbLb0EESU_EEDaSP_SQ_EUlSP_E_NS1_11comp_targetILNS1_3genE8ELNS1_11target_archE1030ELNS1_3gpuE2ELNS1_3repE0EEENS1_30default_config_static_selectorELNS0_4arch9wavefront6targetE1EEEvT1_,comdat
	.protected	_ZN7rocprim17ROCPRIM_400000_NS6detail17trampoline_kernelINS0_14default_configENS1_20scan_config_selectorIjEEZZNS1_9scan_implILNS1_25lookback_scan_determinismE0ELb0ELb0ES3_N6thrust23THRUST_200600_302600_NS6detail15normal_iteratorINS9_10device_ptrIjEEEESE_j11max_functorIjEjEEDaPvRmT3_T4_T5_mT6_P12ihipStream_tbENKUlT_T0_E_clISt17integral_constantIbLb0EESU_EEDaSP_SQ_EUlSP_E_NS1_11comp_targetILNS1_3genE8ELNS1_11target_archE1030ELNS1_3gpuE2ELNS1_3repE0EEENS1_30default_config_static_selectorELNS0_4arch9wavefront6targetE1EEEvT1_ ; -- Begin function _ZN7rocprim17ROCPRIM_400000_NS6detail17trampoline_kernelINS0_14default_configENS1_20scan_config_selectorIjEEZZNS1_9scan_implILNS1_25lookback_scan_determinismE0ELb0ELb0ES3_N6thrust23THRUST_200600_302600_NS6detail15normal_iteratorINS9_10device_ptrIjEEEESE_j11max_functorIjEjEEDaPvRmT3_T4_T5_mT6_P12ihipStream_tbENKUlT_T0_E_clISt17integral_constantIbLb0EESU_EEDaSP_SQ_EUlSP_E_NS1_11comp_targetILNS1_3genE8ELNS1_11target_archE1030ELNS1_3gpuE2ELNS1_3repE0EEENS1_30default_config_static_selectorELNS0_4arch9wavefront6targetE1EEEvT1_
	.globl	_ZN7rocprim17ROCPRIM_400000_NS6detail17trampoline_kernelINS0_14default_configENS1_20scan_config_selectorIjEEZZNS1_9scan_implILNS1_25lookback_scan_determinismE0ELb0ELb0ES3_N6thrust23THRUST_200600_302600_NS6detail15normal_iteratorINS9_10device_ptrIjEEEESE_j11max_functorIjEjEEDaPvRmT3_T4_T5_mT6_P12ihipStream_tbENKUlT_T0_E_clISt17integral_constantIbLb0EESU_EEDaSP_SQ_EUlSP_E_NS1_11comp_targetILNS1_3genE8ELNS1_11target_archE1030ELNS1_3gpuE2ELNS1_3repE0EEENS1_30default_config_static_selectorELNS0_4arch9wavefront6targetE1EEEvT1_
	.p2align	8
	.type	_ZN7rocprim17ROCPRIM_400000_NS6detail17trampoline_kernelINS0_14default_configENS1_20scan_config_selectorIjEEZZNS1_9scan_implILNS1_25lookback_scan_determinismE0ELb0ELb0ES3_N6thrust23THRUST_200600_302600_NS6detail15normal_iteratorINS9_10device_ptrIjEEEESE_j11max_functorIjEjEEDaPvRmT3_T4_T5_mT6_P12ihipStream_tbENKUlT_T0_E_clISt17integral_constantIbLb0EESU_EEDaSP_SQ_EUlSP_E_NS1_11comp_targetILNS1_3genE8ELNS1_11target_archE1030ELNS1_3gpuE2ELNS1_3repE0EEENS1_30default_config_static_selectorELNS0_4arch9wavefront6targetE1EEEvT1_,@function
_ZN7rocprim17ROCPRIM_400000_NS6detail17trampoline_kernelINS0_14default_configENS1_20scan_config_selectorIjEEZZNS1_9scan_implILNS1_25lookback_scan_determinismE0ELb0ELb0ES3_N6thrust23THRUST_200600_302600_NS6detail15normal_iteratorINS9_10device_ptrIjEEEESE_j11max_functorIjEjEEDaPvRmT3_T4_T5_mT6_P12ihipStream_tbENKUlT_T0_E_clISt17integral_constantIbLb0EESU_EEDaSP_SQ_EUlSP_E_NS1_11comp_targetILNS1_3genE8ELNS1_11target_archE1030ELNS1_3gpuE2ELNS1_3repE0EEENS1_30default_config_static_selectorELNS0_4arch9wavefront6targetE1EEEvT1_: ; @_ZN7rocprim17ROCPRIM_400000_NS6detail17trampoline_kernelINS0_14default_configENS1_20scan_config_selectorIjEEZZNS1_9scan_implILNS1_25lookback_scan_determinismE0ELb0ELb0ES3_N6thrust23THRUST_200600_302600_NS6detail15normal_iteratorINS9_10device_ptrIjEEEESE_j11max_functorIjEjEEDaPvRmT3_T4_T5_mT6_P12ihipStream_tbENKUlT_T0_E_clISt17integral_constantIbLb0EESU_EEDaSP_SQ_EUlSP_E_NS1_11comp_targetILNS1_3genE8ELNS1_11target_archE1030ELNS1_3gpuE2ELNS1_3repE0EEENS1_30default_config_static_selectorELNS0_4arch9wavefront6targetE1EEEvT1_
; %bb.0:
	.section	.rodata,"a",@progbits
	.p2align	6, 0x0
	.amdhsa_kernel _ZN7rocprim17ROCPRIM_400000_NS6detail17trampoline_kernelINS0_14default_configENS1_20scan_config_selectorIjEEZZNS1_9scan_implILNS1_25lookback_scan_determinismE0ELb0ELb0ES3_N6thrust23THRUST_200600_302600_NS6detail15normal_iteratorINS9_10device_ptrIjEEEESE_j11max_functorIjEjEEDaPvRmT3_T4_T5_mT6_P12ihipStream_tbENKUlT_T0_E_clISt17integral_constantIbLb0EESU_EEDaSP_SQ_EUlSP_E_NS1_11comp_targetILNS1_3genE8ELNS1_11target_archE1030ELNS1_3gpuE2ELNS1_3repE0EEENS1_30default_config_static_selectorELNS0_4arch9wavefront6targetE1EEEvT1_
		.amdhsa_group_segment_fixed_size 0
		.amdhsa_private_segment_fixed_size 0
		.amdhsa_kernarg_size 96
		.amdhsa_user_sgpr_count 6
		.amdhsa_user_sgpr_private_segment_buffer 1
		.amdhsa_user_sgpr_dispatch_ptr 0
		.amdhsa_user_sgpr_queue_ptr 0
		.amdhsa_user_sgpr_kernarg_segment_ptr 1
		.amdhsa_user_sgpr_dispatch_id 0
		.amdhsa_user_sgpr_flat_scratch_init 0
		.amdhsa_user_sgpr_kernarg_preload_length 0
		.amdhsa_user_sgpr_kernarg_preload_offset 0
		.amdhsa_user_sgpr_private_segment_size 0
		.amdhsa_uses_dynamic_stack 0
		.amdhsa_system_sgpr_private_segment_wavefront_offset 0
		.amdhsa_system_sgpr_workgroup_id_x 1
		.amdhsa_system_sgpr_workgroup_id_y 0
		.amdhsa_system_sgpr_workgroup_id_z 0
		.amdhsa_system_sgpr_workgroup_info 0
		.amdhsa_system_vgpr_workitem_id 0
		.amdhsa_next_free_vgpr 1
		.amdhsa_next_free_sgpr 0
		.amdhsa_accum_offset 4
		.amdhsa_reserve_vcc 0
		.amdhsa_reserve_flat_scratch 0
		.amdhsa_float_round_mode_32 0
		.amdhsa_float_round_mode_16_64 0
		.amdhsa_float_denorm_mode_32 3
		.amdhsa_float_denorm_mode_16_64 3
		.amdhsa_dx10_clamp 1
		.amdhsa_ieee_mode 1
		.amdhsa_fp16_overflow 0
		.amdhsa_tg_split 0
		.amdhsa_exception_fp_ieee_invalid_op 0
		.amdhsa_exception_fp_denorm_src 0
		.amdhsa_exception_fp_ieee_div_zero 0
		.amdhsa_exception_fp_ieee_overflow 0
		.amdhsa_exception_fp_ieee_underflow 0
		.amdhsa_exception_fp_ieee_inexact 0
		.amdhsa_exception_int_div_zero 0
	.end_amdhsa_kernel
	.section	.text._ZN7rocprim17ROCPRIM_400000_NS6detail17trampoline_kernelINS0_14default_configENS1_20scan_config_selectorIjEEZZNS1_9scan_implILNS1_25lookback_scan_determinismE0ELb0ELb0ES3_N6thrust23THRUST_200600_302600_NS6detail15normal_iteratorINS9_10device_ptrIjEEEESE_j11max_functorIjEjEEDaPvRmT3_T4_T5_mT6_P12ihipStream_tbENKUlT_T0_E_clISt17integral_constantIbLb0EESU_EEDaSP_SQ_EUlSP_E_NS1_11comp_targetILNS1_3genE8ELNS1_11target_archE1030ELNS1_3gpuE2ELNS1_3repE0EEENS1_30default_config_static_selectorELNS0_4arch9wavefront6targetE1EEEvT1_,"axG",@progbits,_ZN7rocprim17ROCPRIM_400000_NS6detail17trampoline_kernelINS0_14default_configENS1_20scan_config_selectorIjEEZZNS1_9scan_implILNS1_25lookback_scan_determinismE0ELb0ELb0ES3_N6thrust23THRUST_200600_302600_NS6detail15normal_iteratorINS9_10device_ptrIjEEEESE_j11max_functorIjEjEEDaPvRmT3_T4_T5_mT6_P12ihipStream_tbENKUlT_T0_E_clISt17integral_constantIbLb0EESU_EEDaSP_SQ_EUlSP_E_NS1_11comp_targetILNS1_3genE8ELNS1_11target_archE1030ELNS1_3gpuE2ELNS1_3repE0EEENS1_30default_config_static_selectorELNS0_4arch9wavefront6targetE1EEEvT1_,comdat
.Lfunc_end2254:
	.size	_ZN7rocprim17ROCPRIM_400000_NS6detail17trampoline_kernelINS0_14default_configENS1_20scan_config_selectorIjEEZZNS1_9scan_implILNS1_25lookback_scan_determinismE0ELb0ELb0ES3_N6thrust23THRUST_200600_302600_NS6detail15normal_iteratorINS9_10device_ptrIjEEEESE_j11max_functorIjEjEEDaPvRmT3_T4_T5_mT6_P12ihipStream_tbENKUlT_T0_E_clISt17integral_constantIbLb0EESU_EEDaSP_SQ_EUlSP_E_NS1_11comp_targetILNS1_3genE8ELNS1_11target_archE1030ELNS1_3gpuE2ELNS1_3repE0EEENS1_30default_config_static_selectorELNS0_4arch9wavefront6targetE1EEEvT1_, .Lfunc_end2254-_ZN7rocprim17ROCPRIM_400000_NS6detail17trampoline_kernelINS0_14default_configENS1_20scan_config_selectorIjEEZZNS1_9scan_implILNS1_25lookback_scan_determinismE0ELb0ELb0ES3_N6thrust23THRUST_200600_302600_NS6detail15normal_iteratorINS9_10device_ptrIjEEEESE_j11max_functorIjEjEEDaPvRmT3_T4_T5_mT6_P12ihipStream_tbENKUlT_T0_E_clISt17integral_constantIbLb0EESU_EEDaSP_SQ_EUlSP_E_NS1_11comp_targetILNS1_3genE8ELNS1_11target_archE1030ELNS1_3gpuE2ELNS1_3repE0EEENS1_30default_config_static_selectorELNS0_4arch9wavefront6targetE1EEEvT1_
                                        ; -- End function
	.section	.AMDGPU.csdata,"",@progbits
; Kernel info:
; codeLenInByte = 0
; NumSgprs: 4
; NumVgprs: 0
; NumAgprs: 0
; TotalNumVgprs: 0
; ScratchSize: 0
; MemoryBound: 0
; FloatMode: 240
; IeeeMode: 1
; LDSByteSize: 0 bytes/workgroup (compile time only)
; SGPRBlocks: 0
; VGPRBlocks: 0
; NumSGPRsForWavesPerEU: 4
; NumVGPRsForWavesPerEU: 1
; AccumOffset: 4
; Occupancy: 8
; WaveLimiterHint : 0
; COMPUTE_PGM_RSRC2:SCRATCH_EN: 0
; COMPUTE_PGM_RSRC2:USER_SGPR: 6
; COMPUTE_PGM_RSRC2:TRAP_HANDLER: 0
; COMPUTE_PGM_RSRC2:TGID_X_EN: 1
; COMPUTE_PGM_RSRC2:TGID_Y_EN: 0
; COMPUTE_PGM_RSRC2:TGID_Z_EN: 0
; COMPUTE_PGM_RSRC2:TIDIG_COMP_CNT: 0
; COMPUTE_PGM_RSRC3_GFX90A:ACCUM_OFFSET: 0
; COMPUTE_PGM_RSRC3_GFX90A:TG_SPLIT: 0
	.section	.text._ZN7rocprim17ROCPRIM_400000_NS6detail17trampoline_kernelINS0_14default_configENS1_25transform_config_selectorIjLb1EEEZNS1_14transform_implILb1ES3_S5_PjS7_NS0_8identityIjEEEE10hipError_tT2_T3_mT4_P12ihipStream_tbEUlT_E_NS1_11comp_targetILNS1_3genE0ELNS1_11target_archE4294967295ELNS1_3gpuE0ELNS1_3repE0EEENS1_30default_config_static_selectorELNS0_4arch9wavefront6targetE1EEEvT1_,"axG",@progbits,_ZN7rocprim17ROCPRIM_400000_NS6detail17trampoline_kernelINS0_14default_configENS1_25transform_config_selectorIjLb1EEEZNS1_14transform_implILb1ES3_S5_PjS7_NS0_8identityIjEEEE10hipError_tT2_T3_mT4_P12ihipStream_tbEUlT_E_NS1_11comp_targetILNS1_3genE0ELNS1_11target_archE4294967295ELNS1_3gpuE0ELNS1_3repE0EEENS1_30default_config_static_selectorELNS0_4arch9wavefront6targetE1EEEvT1_,comdat
	.protected	_ZN7rocprim17ROCPRIM_400000_NS6detail17trampoline_kernelINS0_14default_configENS1_25transform_config_selectorIjLb1EEEZNS1_14transform_implILb1ES3_S5_PjS7_NS0_8identityIjEEEE10hipError_tT2_T3_mT4_P12ihipStream_tbEUlT_E_NS1_11comp_targetILNS1_3genE0ELNS1_11target_archE4294967295ELNS1_3gpuE0ELNS1_3repE0EEENS1_30default_config_static_selectorELNS0_4arch9wavefront6targetE1EEEvT1_ ; -- Begin function _ZN7rocprim17ROCPRIM_400000_NS6detail17trampoline_kernelINS0_14default_configENS1_25transform_config_selectorIjLb1EEEZNS1_14transform_implILb1ES3_S5_PjS7_NS0_8identityIjEEEE10hipError_tT2_T3_mT4_P12ihipStream_tbEUlT_E_NS1_11comp_targetILNS1_3genE0ELNS1_11target_archE4294967295ELNS1_3gpuE0ELNS1_3repE0EEENS1_30default_config_static_selectorELNS0_4arch9wavefront6targetE1EEEvT1_
	.globl	_ZN7rocprim17ROCPRIM_400000_NS6detail17trampoline_kernelINS0_14default_configENS1_25transform_config_selectorIjLb1EEEZNS1_14transform_implILb1ES3_S5_PjS7_NS0_8identityIjEEEE10hipError_tT2_T3_mT4_P12ihipStream_tbEUlT_E_NS1_11comp_targetILNS1_3genE0ELNS1_11target_archE4294967295ELNS1_3gpuE0ELNS1_3repE0EEENS1_30default_config_static_selectorELNS0_4arch9wavefront6targetE1EEEvT1_
	.p2align	8
	.type	_ZN7rocprim17ROCPRIM_400000_NS6detail17trampoline_kernelINS0_14default_configENS1_25transform_config_selectorIjLb1EEEZNS1_14transform_implILb1ES3_S5_PjS7_NS0_8identityIjEEEE10hipError_tT2_T3_mT4_P12ihipStream_tbEUlT_E_NS1_11comp_targetILNS1_3genE0ELNS1_11target_archE4294967295ELNS1_3gpuE0ELNS1_3repE0EEENS1_30default_config_static_selectorELNS0_4arch9wavefront6targetE1EEEvT1_,@function
_ZN7rocprim17ROCPRIM_400000_NS6detail17trampoline_kernelINS0_14default_configENS1_25transform_config_selectorIjLb1EEEZNS1_14transform_implILb1ES3_S5_PjS7_NS0_8identityIjEEEE10hipError_tT2_T3_mT4_P12ihipStream_tbEUlT_E_NS1_11comp_targetILNS1_3genE0ELNS1_11target_archE4294967295ELNS1_3gpuE0ELNS1_3repE0EEENS1_30default_config_static_selectorELNS0_4arch9wavefront6targetE1EEEvT1_: ; @_ZN7rocprim17ROCPRIM_400000_NS6detail17trampoline_kernelINS0_14default_configENS1_25transform_config_selectorIjLb1EEEZNS1_14transform_implILb1ES3_S5_PjS7_NS0_8identityIjEEEE10hipError_tT2_T3_mT4_P12ihipStream_tbEUlT_E_NS1_11comp_targetILNS1_3genE0ELNS1_11target_archE4294967295ELNS1_3gpuE0ELNS1_3repE0EEENS1_30default_config_static_selectorELNS0_4arch9wavefront6targetE1EEEvT1_
; %bb.0:
	.section	.rodata,"a",@progbits
	.p2align	6, 0x0
	.amdhsa_kernel _ZN7rocprim17ROCPRIM_400000_NS6detail17trampoline_kernelINS0_14default_configENS1_25transform_config_selectorIjLb1EEEZNS1_14transform_implILb1ES3_S5_PjS7_NS0_8identityIjEEEE10hipError_tT2_T3_mT4_P12ihipStream_tbEUlT_E_NS1_11comp_targetILNS1_3genE0ELNS1_11target_archE4294967295ELNS1_3gpuE0ELNS1_3repE0EEENS1_30default_config_static_selectorELNS0_4arch9wavefront6targetE1EEEvT1_
		.amdhsa_group_segment_fixed_size 0
		.amdhsa_private_segment_fixed_size 0
		.amdhsa_kernarg_size 40
		.amdhsa_user_sgpr_count 6
		.amdhsa_user_sgpr_private_segment_buffer 1
		.amdhsa_user_sgpr_dispatch_ptr 0
		.amdhsa_user_sgpr_queue_ptr 0
		.amdhsa_user_sgpr_kernarg_segment_ptr 1
		.amdhsa_user_sgpr_dispatch_id 0
		.amdhsa_user_sgpr_flat_scratch_init 0
		.amdhsa_user_sgpr_kernarg_preload_length 0
		.amdhsa_user_sgpr_kernarg_preload_offset 0
		.amdhsa_user_sgpr_private_segment_size 0
		.amdhsa_uses_dynamic_stack 0
		.amdhsa_system_sgpr_private_segment_wavefront_offset 0
		.amdhsa_system_sgpr_workgroup_id_x 1
		.amdhsa_system_sgpr_workgroup_id_y 0
		.amdhsa_system_sgpr_workgroup_id_z 0
		.amdhsa_system_sgpr_workgroup_info 0
		.amdhsa_system_vgpr_workitem_id 0
		.amdhsa_next_free_vgpr 1
		.amdhsa_next_free_sgpr 0
		.amdhsa_accum_offset 4
		.amdhsa_reserve_vcc 0
		.amdhsa_reserve_flat_scratch 0
		.amdhsa_float_round_mode_32 0
		.amdhsa_float_round_mode_16_64 0
		.amdhsa_float_denorm_mode_32 3
		.amdhsa_float_denorm_mode_16_64 3
		.amdhsa_dx10_clamp 1
		.amdhsa_ieee_mode 1
		.amdhsa_fp16_overflow 0
		.amdhsa_tg_split 0
		.amdhsa_exception_fp_ieee_invalid_op 0
		.amdhsa_exception_fp_denorm_src 0
		.amdhsa_exception_fp_ieee_div_zero 0
		.amdhsa_exception_fp_ieee_overflow 0
		.amdhsa_exception_fp_ieee_underflow 0
		.amdhsa_exception_fp_ieee_inexact 0
		.amdhsa_exception_int_div_zero 0
	.end_amdhsa_kernel
	.section	.text._ZN7rocprim17ROCPRIM_400000_NS6detail17trampoline_kernelINS0_14default_configENS1_25transform_config_selectorIjLb1EEEZNS1_14transform_implILb1ES3_S5_PjS7_NS0_8identityIjEEEE10hipError_tT2_T3_mT4_P12ihipStream_tbEUlT_E_NS1_11comp_targetILNS1_3genE0ELNS1_11target_archE4294967295ELNS1_3gpuE0ELNS1_3repE0EEENS1_30default_config_static_selectorELNS0_4arch9wavefront6targetE1EEEvT1_,"axG",@progbits,_ZN7rocprim17ROCPRIM_400000_NS6detail17trampoline_kernelINS0_14default_configENS1_25transform_config_selectorIjLb1EEEZNS1_14transform_implILb1ES3_S5_PjS7_NS0_8identityIjEEEE10hipError_tT2_T3_mT4_P12ihipStream_tbEUlT_E_NS1_11comp_targetILNS1_3genE0ELNS1_11target_archE4294967295ELNS1_3gpuE0ELNS1_3repE0EEENS1_30default_config_static_selectorELNS0_4arch9wavefront6targetE1EEEvT1_,comdat
.Lfunc_end2255:
	.size	_ZN7rocprim17ROCPRIM_400000_NS6detail17trampoline_kernelINS0_14default_configENS1_25transform_config_selectorIjLb1EEEZNS1_14transform_implILb1ES3_S5_PjS7_NS0_8identityIjEEEE10hipError_tT2_T3_mT4_P12ihipStream_tbEUlT_E_NS1_11comp_targetILNS1_3genE0ELNS1_11target_archE4294967295ELNS1_3gpuE0ELNS1_3repE0EEENS1_30default_config_static_selectorELNS0_4arch9wavefront6targetE1EEEvT1_, .Lfunc_end2255-_ZN7rocprim17ROCPRIM_400000_NS6detail17trampoline_kernelINS0_14default_configENS1_25transform_config_selectorIjLb1EEEZNS1_14transform_implILb1ES3_S5_PjS7_NS0_8identityIjEEEE10hipError_tT2_T3_mT4_P12ihipStream_tbEUlT_E_NS1_11comp_targetILNS1_3genE0ELNS1_11target_archE4294967295ELNS1_3gpuE0ELNS1_3repE0EEENS1_30default_config_static_selectorELNS0_4arch9wavefront6targetE1EEEvT1_
                                        ; -- End function
	.section	.AMDGPU.csdata,"",@progbits
; Kernel info:
; codeLenInByte = 0
; NumSgprs: 4
; NumVgprs: 0
; NumAgprs: 0
; TotalNumVgprs: 0
; ScratchSize: 0
; MemoryBound: 0
; FloatMode: 240
; IeeeMode: 1
; LDSByteSize: 0 bytes/workgroup (compile time only)
; SGPRBlocks: 0
; VGPRBlocks: 0
; NumSGPRsForWavesPerEU: 4
; NumVGPRsForWavesPerEU: 1
; AccumOffset: 4
; Occupancy: 8
; WaveLimiterHint : 0
; COMPUTE_PGM_RSRC2:SCRATCH_EN: 0
; COMPUTE_PGM_RSRC2:USER_SGPR: 6
; COMPUTE_PGM_RSRC2:TRAP_HANDLER: 0
; COMPUTE_PGM_RSRC2:TGID_X_EN: 1
; COMPUTE_PGM_RSRC2:TGID_Y_EN: 0
; COMPUTE_PGM_RSRC2:TGID_Z_EN: 0
; COMPUTE_PGM_RSRC2:TIDIG_COMP_CNT: 0
; COMPUTE_PGM_RSRC3_GFX90A:ACCUM_OFFSET: 0
; COMPUTE_PGM_RSRC3_GFX90A:TG_SPLIT: 0
	.section	.text._ZN7rocprim17ROCPRIM_400000_NS6detail17trampoline_kernelINS0_14default_configENS1_25transform_config_selectorIjLb1EEEZNS1_14transform_implILb1ES3_S5_PjS7_NS0_8identityIjEEEE10hipError_tT2_T3_mT4_P12ihipStream_tbEUlT_E_NS1_11comp_targetILNS1_3genE10ELNS1_11target_archE1201ELNS1_3gpuE5ELNS1_3repE0EEENS1_30default_config_static_selectorELNS0_4arch9wavefront6targetE1EEEvT1_,"axG",@progbits,_ZN7rocprim17ROCPRIM_400000_NS6detail17trampoline_kernelINS0_14default_configENS1_25transform_config_selectorIjLb1EEEZNS1_14transform_implILb1ES3_S5_PjS7_NS0_8identityIjEEEE10hipError_tT2_T3_mT4_P12ihipStream_tbEUlT_E_NS1_11comp_targetILNS1_3genE10ELNS1_11target_archE1201ELNS1_3gpuE5ELNS1_3repE0EEENS1_30default_config_static_selectorELNS0_4arch9wavefront6targetE1EEEvT1_,comdat
	.protected	_ZN7rocprim17ROCPRIM_400000_NS6detail17trampoline_kernelINS0_14default_configENS1_25transform_config_selectorIjLb1EEEZNS1_14transform_implILb1ES3_S5_PjS7_NS0_8identityIjEEEE10hipError_tT2_T3_mT4_P12ihipStream_tbEUlT_E_NS1_11comp_targetILNS1_3genE10ELNS1_11target_archE1201ELNS1_3gpuE5ELNS1_3repE0EEENS1_30default_config_static_selectorELNS0_4arch9wavefront6targetE1EEEvT1_ ; -- Begin function _ZN7rocprim17ROCPRIM_400000_NS6detail17trampoline_kernelINS0_14default_configENS1_25transform_config_selectorIjLb1EEEZNS1_14transform_implILb1ES3_S5_PjS7_NS0_8identityIjEEEE10hipError_tT2_T3_mT4_P12ihipStream_tbEUlT_E_NS1_11comp_targetILNS1_3genE10ELNS1_11target_archE1201ELNS1_3gpuE5ELNS1_3repE0EEENS1_30default_config_static_selectorELNS0_4arch9wavefront6targetE1EEEvT1_
	.globl	_ZN7rocprim17ROCPRIM_400000_NS6detail17trampoline_kernelINS0_14default_configENS1_25transform_config_selectorIjLb1EEEZNS1_14transform_implILb1ES3_S5_PjS7_NS0_8identityIjEEEE10hipError_tT2_T3_mT4_P12ihipStream_tbEUlT_E_NS1_11comp_targetILNS1_3genE10ELNS1_11target_archE1201ELNS1_3gpuE5ELNS1_3repE0EEENS1_30default_config_static_selectorELNS0_4arch9wavefront6targetE1EEEvT1_
	.p2align	8
	.type	_ZN7rocprim17ROCPRIM_400000_NS6detail17trampoline_kernelINS0_14default_configENS1_25transform_config_selectorIjLb1EEEZNS1_14transform_implILb1ES3_S5_PjS7_NS0_8identityIjEEEE10hipError_tT2_T3_mT4_P12ihipStream_tbEUlT_E_NS1_11comp_targetILNS1_3genE10ELNS1_11target_archE1201ELNS1_3gpuE5ELNS1_3repE0EEENS1_30default_config_static_selectorELNS0_4arch9wavefront6targetE1EEEvT1_,@function
_ZN7rocprim17ROCPRIM_400000_NS6detail17trampoline_kernelINS0_14default_configENS1_25transform_config_selectorIjLb1EEEZNS1_14transform_implILb1ES3_S5_PjS7_NS0_8identityIjEEEE10hipError_tT2_T3_mT4_P12ihipStream_tbEUlT_E_NS1_11comp_targetILNS1_3genE10ELNS1_11target_archE1201ELNS1_3gpuE5ELNS1_3repE0EEENS1_30default_config_static_selectorELNS0_4arch9wavefront6targetE1EEEvT1_: ; @_ZN7rocprim17ROCPRIM_400000_NS6detail17trampoline_kernelINS0_14default_configENS1_25transform_config_selectorIjLb1EEEZNS1_14transform_implILb1ES3_S5_PjS7_NS0_8identityIjEEEE10hipError_tT2_T3_mT4_P12ihipStream_tbEUlT_E_NS1_11comp_targetILNS1_3genE10ELNS1_11target_archE1201ELNS1_3gpuE5ELNS1_3repE0EEENS1_30default_config_static_selectorELNS0_4arch9wavefront6targetE1EEEvT1_
; %bb.0:
	.section	.rodata,"a",@progbits
	.p2align	6, 0x0
	.amdhsa_kernel _ZN7rocprim17ROCPRIM_400000_NS6detail17trampoline_kernelINS0_14default_configENS1_25transform_config_selectorIjLb1EEEZNS1_14transform_implILb1ES3_S5_PjS7_NS0_8identityIjEEEE10hipError_tT2_T3_mT4_P12ihipStream_tbEUlT_E_NS1_11comp_targetILNS1_3genE10ELNS1_11target_archE1201ELNS1_3gpuE5ELNS1_3repE0EEENS1_30default_config_static_selectorELNS0_4arch9wavefront6targetE1EEEvT1_
		.amdhsa_group_segment_fixed_size 0
		.amdhsa_private_segment_fixed_size 0
		.amdhsa_kernarg_size 40
		.amdhsa_user_sgpr_count 6
		.amdhsa_user_sgpr_private_segment_buffer 1
		.amdhsa_user_sgpr_dispatch_ptr 0
		.amdhsa_user_sgpr_queue_ptr 0
		.amdhsa_user_sgpr_kernarg_segment_ptr 1
		.amdhsa_user_sgpr_dispatch_id 0
		.amdhsa_user_sgpr_flat_scratch_init 0
		.amdhsa_user_sgpr_kernarg_preload_length 0
		.amdhsa_user_sgpr_kernarg_preload_offset 0
		.amdhsa_user_sgpr_private_segment_size 0
		.amdhsa_uses_dynamic_stack 0
		.amdhsa_system_sgpr_private_segment_wavefront_offset 0
		.amdhsa_system_sgpr_workgroup_id_x 1
		.amdhsa_system_sgpr_workgroup_id_y 0
		.amdhsa_system_sgpr_workgroup_id_z 0
		.amdhsa_system_sgpr_workgroup_info 0
		.amdhsa_system_vgpr_workitem_id 0
		.amdhsa_next_free_vgpr 1
		.amdhsa_next_free_sgpr 0
		.amdhsa_accum_offset 4
		.amdhsa_reserve_vcc 0
		.amdhsa_reserve_flat_scratch 0
		.amdhsa_float_round_mode_32 0
		.amdhsa_float_round_mode_16_64 0
		.amdhsa_float_denorm_mode_32 3
		.amdhsa_float_denorm_mode_16_64 3
		.amdhsa_dx10_clamp 1
		.amdhsa_ieee_mode 1
		.amdhsa_fp16_overflow 0
		.amdhsa_tg_split 0
		.amdhsa_exception_fp_ieee_invalid_op 0
		.amdhsa_exception_fp_denorm_src 0
		.amdhsa_exception_fp_ieee_div_zero 0
		.amdhsa_exception_fp_ieee_overflow 0
		.amdhsa_exception_fp_ieee_underflow 0
		.amdhsa_exception_fp_ieee_inexact 0
		.amdhsa_exception_int_div_zero 0
	.end_amdhsa_kernel
	.section	.text._ZN7rocprim17ROCPRIM_400000_NS6detail17trampoline_kernelINS0_14default_configENS1_25transform_config_selectorIjLb1EEEZNS1_14transform_implILb1ES3_S5_PjS7_NS0_8identityIjEEEE10hipError_tT2_T3_mT4_P12ihipStream_tbEUlT_E_NS1_11comp_targetILNS1_3genE10ELNS1_11target_archE1201ELNS1_3gpuE5ELNS1_3repE0EEENS1_30default_config_static_selectorELNS0_4arch9wavefront6targetE1EEEvT1_,"axG",@progbits,_ZN7rocprim17ROCPRIM_400000_NS6detail17trampoline_kernelINS0_14default_configENS1_25transform_config_selectorIjLb1EEEZNS1_14transform_implILb1ES3_S5_PjS7_NS0_8identityIjEEEE10hipError_tT2_T3_mT4_P12ihipStream_tbEUlT_E_NS1_11comp_targetILNS1_3genE10ELNS1_11target_archE1201ELNS1_3gpuE5ELNS1_3repE0EEENS1_30default_config_static_selectorELNS0_4arch9wavefront6targetE1EEEvT1_,comdat
.Lfunc_end2256:
	.size	_ZN7rocprim17ROCPRIM_400000_NS6detail17trampoline_kernelINS0_14default_configENS1_25transform_config_selectorIjLb1EEEZNS1_14transform_implILb1ES3_S5_PjS7_NS0_8identityIjEEEE10hipError_tT2_T3_mT4_P12ihipStream_tbEUlT_E_NS1_11comp_targetILNS1_3genE10ELNS1_11target_archE1201ELNS1_3gpuE5ELNS1_3repE0EEENS1_30default_config_static_selectorELNS0_4arch9wavefront6targetE1EEEvT1_, .Lfunc_end2256-_ZN7rocprim17ROCPRIM_400000_NS6detail17trampoline_kernelINS0_14default_configENS1_25transform_config_selectorIjLb1EEEZNS1_14transform_implILb1ES3_S5_PjS7_NS0_8identityIjEEEE10hipError_tT2_T3_mT4_P12ihipStream_tbEUlT_E_NS1_11comp_targetILNS1_3genE10ELNS1_11target_archE1201ELNS1_3gpuE5ELNS1_3repE0EEENS1_30default_config_static_selectorELNS0_4arch9wavefront6targetE1EEEvT1_
                                        ; -- End function
	.section	.AMDGPU.csdata,"",@progbits
; Kernel info:
; codeLenInByte = 0
; NumSgprs: 4
; NumVgprs: 0
; NumAgprs: 0
; TotalNumVgprs: 0
; ScratchSize: 0
; MemoryBound: 0
; FloatMode: 240
; IeeeMode: 1
; LDSByteSize: 0 bytes/workgroup (compile time only)
; SGPRBlocks: 0
; VGPRBlocks: 0
; NumSGPRsForWavesPerEU: 4
; NumVGPRsForWavesPerEU: 1
; AccumOffset: 4
; Occupancy: 8
; WaveLimiterHint : 0
; COMPUTE_PGM_RSRC2:SCRATCH_EN: 0
; COMPUTE_PGM_RSRC2:USER_SGPR: 6
; COMPUTE_PGM_RSRC2:TRAP_HANDLER: 0
; COMPUTE_PGM_RSRC2:TGID_X_EN: 1
; COMPUTE_PGM_RSRC2:TGID_Y_EN: 0
; COMPUTE_PGM_RSRC2:TGID_Z_EN: 0
; COMPUTE_PGM_RSRC2:TIDIG_COMP_CNT: 0
; COMPUTE_PGM_RSRC3_GFX90A:ACCUM_OFFSET: 0
; COMPUTE_PGM_RSRC3_GFX90A:TG_SPLIT: 0
	.section	.text._ZN7rocprim17ROCPRIM_400000_NS6detail17trampoline_kernelINS0_14default_configENS1_25transform_config_selectorIjLb1EEEZNS1_14transform_implILb1ES3_S5_PjS7_NS0_8identityIjEEEE10hipError_tT2_T3_mT4_P12ihipStream_tbEUlT_E_NS1_11comp_targetILNS1_3genE5ELNS1_11target_archE942ELNS1_3gpuE9ELNS1_3repE0EEENS1_30default_config_static_selectorELNS0_4arch9wavefront6targetE1EEEvT1_,"axG",@progbits,_ZN7rocprim17ROCPRIM_400000_NS6detail17trampoline_kernelINS0_14default_configENS1_25transform_config_selectorIjLb1EEEZNS1_14transform_implILb1ES3_S5_PjS7_NS0_8identityIjEEEE10hipError_tT2_T3_mT4_P12ihipStream_tbEUlT_E_NS1_11comp_targetILNS1_3genE5ELNS1_11target_archE942ELNS1_3gpuE9ELNS1_3repE0EEENS1_30default_config_static_selectorELNS0_4arch9wavefront6targetE1EEEvT1_,comdat
	.protected	_ZN7rocprim17ROCPRIM_400000_NS6detail17trampoline_kernelINS0_14default_configENS1_25transform_config_selectorIjLb1EEEZNS1_14transform_implILb1ES3_S5_PjS7_NS0_8identityIjEEEE10hipError_tT2_T3_mT4_P12ihipStream_tbEUlT_E_NS1_11comp_targetILNS1_3genE5ELNS1_11target_archE942ELNS1_3gpuE9ELNS1_3repE0EEENS1_30default_config_static_selectorELNS0_4arch9wavefront6targetE1EEEvT1_ ; -- Begin function _ZN7rocprim17ROCPRIM_400000_NS6detail17trampoline_kernelINS0_14default_configENS1_25transform_config_selectorIjLb1EEEZNS1_14transform_implILb1ES3_S5_PjS7_NS0_8identityIjEEEE10hipError_tT2_T3_mT4_P12ihipStream_tbEUlT_E_NS1_11comp_targetILNS1_3genE5ELNS1_11target_archE942ELNS1_3gpuE9ELNS1_3repE0EEENS1_30default_config_static_selectorELNS0_4arch9wavefront6targetE1EEEvT1_
	.globl	_ZN7rocprim17ROCPRIM_400000_NS6detail17trampoline_kernelINS0_14default_configENS1_25transform_config_selectorIjLb1EEEZNS1_14transform_implILb1ES3_S5_PjS7_NS0_8identityIjEEEE10hipError_tT2_T3_mT4_P12ihipStream_tbEUlT_E_NS1_11comp_targetILNS1_3genE5ELNS1_11target_archE942ELNS1_3gpuE9ELNS1_3repE0EEENS1_30default_config_static_selectorELNS0_4arch9wavefront6targetE1EEEvT1_
	.p2align	8
	.type	_ZN7rocprim17ROCPRIM_400000_NS6detail17trampoline_kernelINS0_14default_configENS1_25transform_config_selectorIjLb1EEEZNS1_14transform_implILb1ES3_S5_PjS7_NS0_8identityIjEEEE10hipError_tT2_T3_mT4_P12ihipStream_tbEUlT_E_NS1_11comp_targetILNS1_3genE5ELNS1_11target_archE942ELNS1_3gpuE9ELNS1_3repE0EEENS1_30default_config_static_selectorELNS0_4arch9wavefront6targetE1EEEvT1_,@function
_ZN7rocprim17ROCPRIM_400000_NS6detail17trampoline_kernelINS0_14default_configENS1_25transform_config_selectorIjLb1EEEZNS1_14transform_implILb1ES3_S5_PjS7_NS0_8identityIjEEEE10hipError_tT2_T3_mT4_P12ihipStream_tbEUlT_E_NS1_11comp_targetILNS1_3genE5ELNS1_11target_archE942ELNS1_3gpuE9ELNS1_3repE0EEENS1_30default_config_static_selectorELNS0_4arch9wavefront6targetE1EEEvT1_: ; @_ZN7rocprim17ROCPRIM_400000_NS6detail17trampoline_kernelINS0_14default_configENS1_25transform_config_selectorIjLb1EEEZNS1_14transform_implILb1ES3_S5_PjS7_NS0_8identityIjEEEE10hipError_tT2_T3_mT4_P12ihipStream_tbEUlT_E_NS1_11comp_targetILNS1_3genE5ELNS1_11target_archE942ELNS1_3gpuE9ELNS1_3repE0EEENS1_30default_config_static_selectorELNS0_4arch9wavefront6targetE1EEEvT1_
; %bb.0:
	.section	.rodata,"a",@progbits
	.p2align	6, 0x0
	.amdhsa_kernel _ZN7rocprim17ROCPRIM_400000_NS6detail17trampoline_kernelINS0_14default_configENS1_25transform_config_selectorIjLb1EEEZNS1_14transform_implILb1ES3_S5_PjS7_NS0_8identityIjEEEE10hipError_tT2_T3_mT4_P12ihipStream_tbEUlT_E_NS1_11comp_targetILNS1_3genE5ELNS1_11target_archE942ELNS1_3gpuE9ELNS1_3repE0EEENS1_30default_config_static_selectorELNS0_4arch9wavefront6targetE1EEEvT1_
		.amdhsa_group_segment_fixed_size 0
		.amdhsa_private_segment_fixed_size 0
		.amdhsa_kernarg_size 40
		.amdhsa_user_sgpr_count 6
		.amdhsa_user_sgpr_private_segment_buffer 1
		.amdhsa_user_sgpr_dispatch_ptr 0
		.amdhsa_user_sgpr_queue_ptr 0
		.amdhsa_user_sgpr_kernarg_segment_ptr 1
		.amdhsa_user_sgpr_dispatch_id 0
		.amdhsa_user_sgpr_flat_scratch_init 0
		.amdhsa_user_sgpr_kernarg_preload_length 0
		.amdhsa_user_sgpr_kernarg_preload_offset 0
		.amdhsa_user_sgpr_private_segment_size 0
		.amdhsa_uses_dynamic_stack 0
		.amdhsa_system_sgpr_private_segment_wavefront_offset 0
		.amdhsa_system_sgpr_workgroup_id_x 1
		.amdhsa_system_sgpr_workgroup_id_y 0
		.amdhsa_system_sgpr_workgroup_id_z 0
		.amdhsa_system_sgpr_workgroup_info 0
		.amdhsa_system_vgpr_workitem_id 0
		.amdhsa_next_free_vgpr 1
		.amdhsa_next_free_sgpr 0
		.amdhsa_accum_offset 4
		.amdhsa_reserve_vcc 0
		.amdhsa_reserve_flat_scratch 0
		.amdhsa_float_round_mode_32 0
		.amdhsa_float_round_mode_16_64 0
		.amdhsa_float_denorm_mode_32 3
		.amdhsa_float_denorm_mode_16_64 3
		.amdhsa_dx10_clamp 1
		.amdhsa_ieee_mode 1
		.amdhsa_fp16_overflow 0
		.amdhsa_tg_split 0
		.amdhsa_exception_fp_ieee_invalid_op 0
		.amdhsa_exception_fp_denorm_src 0
		.amdhsa_exception_fp_ieee_div_zero 0
		.amdhsa_exception_fp_ieee_overflow 0
		.amdhsa_exception_fp_ieee_underflow 0
		.amdhsa_exception_fp_ieee_inexact 0
		.amdhsa_exception_int_div_zero 0
	.end_amdhsa_kernel
	.section	.text._ZN7rocprim17ROCPRIM_400000_NS6detail17trampoline_kernelINS0_14default_configENS1_25transform_config_selectorIjLb1EEEZNS1_14transform_implILb1ES3_S5_PjS7_NS0_8identityIjEEEE10hipError_tT2_T3_mT4_P12ihipStream_tbEUlT_E_NS1_11comp_targetILNS1_3genE5ELNS1_11target_archE942ELNS1_3gpuE9ELNS1_3repE0EEENS1_30default_config_static_selectorELNS0_4arch9wavefront6targetE1EEEvT1_,"axG",@progbits,_ZN7rocprim17ROCPRIM_400000_NS6detail17trampoline_kernelINS0_14default_configENS1_25transform_config_selectorIjLb1EEEZNS1_14transform_implILb1ES3_S5_PjS7_NS0_8identityIjEEEE10hipError_tT2_T3_mT4_P12ihipStream_tbEUlT_E_NS1_11comp_targetILNS1_3genE5ELNS1_11target_archE942ELNS1_3gpuE9ELNS1_3repE0EEENS1_30default_config_static_selectorELNS0_4arch9wavefront6targetE1EEEvT1_,comdat
.Lfunc_end2257:
	.size	_ZN7rocprim17ROCPRIM_400000_NS6detail17trampoline_kernelINS0_14default_configENS1_25transform_config_selectorIjLb1EEEZNS1_14transform_implILb1ES3_S5_PjS7_NS0_8identityIjEEEE10hipError_tT2_T3_mT4_P12ihipStream_tbEUlT_E_NS1_11comp_targetILNS1_3genE5ELNS1_11target_archE942ELNS1_3gpuE9ELNS1_3repE0EEENS1_30default_config_static_selectorELNS0_4arch9wavefront6targetE1EEEvT1_, .Lfunc_end2257-_ZN7rocprim17ROCPRIM_400000_NS6detail17trampoline_kernelINS0_14default_configENS1_25transform_config_selectorIjLb1EEEZNS1_14transform_implILb1ES3_S5_PjS7_NS0_8identityIjEEEE10hipError_tT2_T3_mT4_P12ihipStream_tbEUlT_E_NS1_11comp_targetILNS1_3genE5ELNS1_11target_archE942ELNS1_3gpuE9ELNS1_3repE0EEENS1_30default_config_static_selectorELNS0_4arch9wavefront6targetE1EEEvT1_
                                        ; -- End function
	.section	.AMDGPU.csdata,"",@progbits
; Kernel info:
; codeLenInByte = 0
; NumSgprs: 4
; NumVgprs: 0
; NumAgprs: 0
; TotalNumVgprs: 0
; ScratchSize: 0
; MemoryBound: 0
; FloatMode: 240
; IeeeMode: 1
; LDSByteSize: 0 bytes/workgroup (compile time only)
; SGPRBlocks: 0
; VGPRBlocks: 0
; NumSGPRsForWavesPerEU: 4
; NumVGPRsForWavesPerEU: 1
; AccumOffset: 4
; Occupancy: 8
; WaveLimiterHint : 0
; COMPUTE_PGM_RSRC2:SCRATCH_EN: 0
; COMPUTE_PGM_RSRC2:USER_SGPR: 6
; COMPUTE_PGM_RSRC2:TRAP_HANDLER: 0
; COMPUTE_PGM_RSRC2:TGID_X_EN: 1
; COMPUTE_PGM_RSRC2:TGID_Y_EN: 0
; COMPUTE_PGM_RSRC2:TGID_Z_EN: 0
; COMPUTE_PGM_RSRC2:TIDIG_COMP_CNT: 0
; COMPUTE_PGM_RSRC3_GFX90A:ACCUM_OFFSET: 0
; COMPUTE_PGM_RSRC3_GFX90A:TG_SPLIT: 0
	.section	.text._ZN7rocprim17ROCPRIM_400000_NS6detail17trampoline_kernelINS0_14default_configENS1_25transform_config_selectorIjLb1EEEZNS1_14transform_implILb1ES3_S5_PjS7_NS0_8identityIjEEEE10hipError_tT2_T3_mT4_P12ihipStream_tbEUlT_E_NS1_11comp_targetILNS1_3genE4ELNS1_11target_archE910ELNS1_3gpuE8ELNS1_3repE0EEENS1_30default_config_static_selectorELNS0_4arch9wavefront6targetE1EEEvT1_,"axG",@progbits,_ZN7rocprim17ROCPRIM_400000_NS6detail17trampoline_kernelINS0_14default_configENS1_25transform_config_selectorIjLb1EEEZNS1_14transform_implILb1ES3_S5_PjS7_NS0_8identityIjEEEE10hipError_tT2_T3_mT4_P12ihipStream_tbEUlT_E_NS1_11comp_targetILNS1_3genE4ELNS1_11target_archE910ELNS1_3gpuE8ELNS1_3repE0EEENS1_30default_config_static_selectorELNS0_4arch9wavefront6targetE1EEEvT1_,comdat
	.protected	_ZN7rocprim17ROCPRIM_400000_NS6detail17trampoline_kernelINS0_14default_configENS1_25transform_config_selectorIjLb1EEEZNS1_14transform_implILb1ES3_S5_PjS7_NS0_8identityIjEEEE10hipError_tT2_T3_mT4_P12ihipStream_tbEUlT_E_NS1_11comp_targetILNS1_3genE4ELNS1_11target_archE910ELNS1_3gpuE8ELNS1_3repE0EEENS1_30default_config_static_selectorELNS0_4arch9wavefront6targetE1EEEvT1_ ; -- Begin function _ZN7rocprim17ROCPRIM_400000_NS6detail17trampoline_kernelINS0_14default_configENS1_25transform_config_selectorIjLb1EEEZNS1_14transform_implILb1ES3_S5_PjS7_NS0_8identityIjEEEE10hipError_tT2_T3_mT4_P12ihipStream_tbEUlT_E_NS1_11comp_targetILNS1_3genE4ELNS1_11target_archE910ELNS1_3gpuE8ELNS1_3repE0EEENS1_30default_config_static_selectorELNS0_4arch9wavefront6targetE1EEEvT1_
	.globl	_ZN7rocprim17ROCPRIM_400000_NS6detail17trampoline_kernelINS0_14default_configENS1_25transform_config_selectorIjLb1EEEZNS1_14transform_implILb1ES3_S5_PjS7_NS0_8identityIjEEEE10hipError_tT2_T3_mT4_P12ihipStream_tbEUlT_E_NS1_11comp_targetILNS1_3genE4ELNS1_11target_archE910ELNS1_3gpuE8ELNS1_3repE0EEENS1_30default_config_static_selectorELNS0_4arch9wavefront6targetE1EEEvT1_
	.p2align	8
	.type	_ZN7rocprim17ROCPRIM_400000_NS6detail17trampoline_kernelINS0_14default_configENS1_25transform_config_selectorIjLb1EEEZNS1_14transform_implILb1ES3_S5_PjS7_NS0_8identityIjEEEE10hipError_tT2_T3_mT4_P12ihipStream_tbEUlT_E_NS1_11comp_targetILNS1_3genE4ELNS1_11target_archE910ELNS1_3gpuE8ELNS1_3repE0EEENS1_30default_config_static_selectorELNS0_4arch9wavefront6targetE1EEEvT1_,@function
_ZN7rocprim17ROCPRIM_400000_NS6detail17trampoline_kernelINS0_14default_configENS1_25transform_config_selectorIjLb1EEEZNS1_14transform_implILb1ES3_S5_PjS7_NS0_8identityIjEEEE10hipError_tT2_T3_mT4_P12ihipStream_tbEUlT_E_NS1_11comp_targetILNS1_3genE4ELNS1_11target_archE910ELNS1_3gpuE8ELNS1_3repE0EEENS1_30default_config_static_selectorELNS0_4arch9wavefront6targetE1EEEvT1_: ; @_ZN7rocprim17ROCPRIM_400000_NS6detail17trampoline_kernelINS0_14default_configENS1_25transform_config_selectorIjLb1EEEZNS1_14transform_implILb1ES3_S5_PjS7_NS0_8identityIjEEEE10hipError_tT2_T3_mT4_P12ihipStream_tbEUlT_E_NS1_11comp_targetILNS1_3genE4ELNS1_11target_archE910ELNS1_3gpuE8ELNS1_3repE0EEENS1_30default_config_static_selectorELNS0_4arch9wavefront6targetE1EEEvT1_
; %bb.0:
	s_load_dwordx8 s[8:15], s[4:5], 0x0
	s_load_dword s2, s[4:5], 0x28
	s_waitcnt lgkmcnt(0)
	s_lshl_b64 s[0:1], s[10:11], 2
	s_add_u32 s3, s8, s0
	s_addc_u32 s4, s9, s1
	s_add_u32 s13, s14, s0
	s_addc_u32 s14, s15, s1
	s_lshl_b32 s0, s6, 12
	s_mov_b32 s1, 0
	s_add_i32 s2, s2, -1
	s_lshl_b64 s[8:9], s[0:1], 2
	s_add_u32 s10, s3, s8
	s_addc_u32 s11, s4, s9
	s_cmp_lg_u32 s6, s2
	s_mov_b64 s[2:3], -1
	s_cbranch_scc0 .LBB2258_2
; %bb.1:
	v_lshlrev_b32_e32 v1, 4, v0
	global_load_dwordx4 v[2:5], v1, s[10:11]
	s_add_u32 s2, s13, s8
	s_addc_u32 s3, s14, s9
	s_waitcnt vmcnt(0)
	global_store_dwordx4 v1, v[2:5], s[2:3]
	s_mov_b64 s[2:3], 0
.LBB2258_2:
	s_andn2_b64 vcc, exec, s[2:3]
	s_cbranch_vccnz .LBB2258_16
; %bb.3:
	s_sub_i32 s6, s12, s0
	v_cmp_gt_u32_e32 vcc, s6, v0
	v_lshlrev_b32_e32 v1, 2, v0
                                        ; implicit-def: $vgpr2_vgpr3_vgpr4_vgpr5
	s_and_saveexec_b64 s[0:1], vcc
	s_cbranch_execz .LBB2258_5
; %bb.4:
	global_load_dword v2, v1, s[10:11]
.LBB2258_5:
	s_or_b64 exec, exec, s[0:1]
	v_or_b32_e32 v6, 0x400, v0
	v_cmp_gt_u32_e64 s[4:5], s6, v6
	s_and_saveexec_b64 s[0:1], s[4:5]
	s_cbranch_execz .LBB2258_7
; %bb.6:
	v_lshlrev_b32_e32 v3, 2, v6
	global_load_dword v3, v3, s[10:11]
.LBB2258_7:
	s_or_b64 exec, exec, s[0:1]
	v_or_b32_e32 v6, 0x800, v0
	v_cmp_gt_u32_e64 s[0:1], s6, v6
	s_and_saveexec_b64 s[2:3], s[0:1]
	s_cbranch_execz .LBB2258_9
; %bb.8:
	v_lshlrev_b32_e32 v4, 2, v6
	global_load_dword v4, v4, s[10:11]
.LBB2258_9:
	;; [unrolled: 9-line block ×3, first 2 shown]
	s_or_b64 exec, exec, s[6:7]
	s_add_u32 s6, s13, s8
	s_addc_u32 s7, s14, s9
	v_mov_b32_e32 v6, s7
	v_add_co_u32_e64 v0, s[6:7], s6, v1
	v_addc_co_u32_e64 v1, s[6:7], 0, v6, s[6:7]
	s_and_saveexec_b64 s[6:7], vcc
	s_cbranch_execnz .LBB2258_17
; %bb.12:
	s_or_b64 exec, exec, s[6:7]
	s_and_saveexec_b64 s[6:7], s[4:5]
	s_cbranch_execnz .LBB2258_18
.LBB2258_13:
	s_or_b64 exec, exec, s[6:7]
	s_and_saveexec_b64 s[4:5], s[0:1]
	s_cbranch_execnz .LBB2258_19
.LBB2258_14:
	s_or_b64 exec, exec, s[4:5]
	s_and_saveexec_b64 s[0:1], s[2:3]
	s_cbranch_execz .LBB2258_16
.LBB2258_15:
	v_add_co_u32_e32 v0, vcc, 0x3000, v0
	s_waitcnt vmcnt(0)
	v_cndmask_b32_e64 v2, v5, v5, s[2:3]
	v_addc_co_u32_e32 v1, vcc, 0, v1, vcc
	global_store_dword v[0:1], v2, off
.LBB2258_16:
	s_endpgm
.LBB2258_17:
	s_waitcnt vmcnt(0)
	global_store_dword v[0:1], v2, off
	s_or_b64 exec, exec, s[6:7]
	s_and_saveexec_b64 s[6:7], s[4:5]
	s_cbranch_execz .LBB2258_13
.LBB2258_18:
	v_add_co_u32_e32 v6, vcc, 0x1000, v0
	v_addc_co_u32_e32 v7, vcc, 0, v1, vcc
	s_waitcnt vmcnt(0)
	global_store_dword v[6:7], v3, off
	s_or_b64 exec, exec, s[6:7]
	s_and_saveexec_b64 s[4:5], s[0:1]
	s_cbranch_execz .LBB2258_14
.LBB2258_19:
	s_waitcnt vmcnt(0)
	v_add_co_u32_e32 v2, vcc, 0x2000, v0
	v_cndmask_b32_e64 v4, v4, v4, s[0:1]
	v_addc_co_u32_e32 v3, vcc, 0, v1, vcc
	global_store_dword v[2:3], v4, off
	s_or_b64 exec, exec, s[4:5]
	s_and_saveexec_b64 s[0:1], s[2:3]
	s_cbranch_execnz .LBB2258_15
	s_branch .LBB2258_16
	.section	.rodata,"a",@progbits
	.p2align	6, 0x0
	.amdhsa_kernel _ZN7rocprim17ROCPRIM_400000_NS6detail17trampoline_kernelINS0_14default_configENS1_25transform_config_selectorIjLb1EEEZNS1_14transform_implILb1ES3_S5_PjS7_NS0_8identityIjEEEE10hipError_tT2_T3_mT4_P12ihipStream_tbEUlT_E_NS1_11comp_targetILNS1_3genE4ELNS1_11target_archE910ELNS1_3gpuE8ELNS1_3repE0EEENS1_30default_config_static_selectorELNS0_4arch9wavefront6targetE1EEEvT1_
		.amdhsa_group_segment_fixed_size 0
		.amdhsa_private_segment_fixed_size 0
		.amdhsa_kernarg_size 296
		.amdhsa_user_sgpr_count 6
		.amdhsa_user_sgpr_private_segment_buffer 1
		.amdhsa_user_sgpr_dispatch_ptr 0
		.amdhsa_user_sgpr_queue_ptr 0
		.amdhsa_user_sgpr_kernarg_segment_ptr 1
		.amdhsa_user_sgpr_dispatch_id 0
		.amdhsa_user_sgpr_flat_scratch_init 0
		.amdhsa_user_sgpr_kernarg_preload_length 0
		.amdhsa_user_sgpr_kernarg_preload_offset 0
		.amdhsa_user_sgpr_private_segment_size 0
		.amdhsa_uses_dynamic_stack 0
		.amdhsa_system_sgpr_private_segment_wavefront_offset 0
		.amdhsa_system_sgpr_workgroup_id_x 1
		.amdhsa_system_sgpr_workgroup_id_y 0
		.amdhsa_system_sgpr_workgroup_id_z 0
		.amdhsa_system_sgpr_workgroup_info 0
		.amdhsa_system_vgpr_workitem_id 0
		.amdhsa_next_free_vgpr 8
		.amdhsa_next_free_sgpr 16
		.amdhsa_accum_offset 8
		.amdhsa_reserve_vcc 1
		.amdhsa_reserve_flat_scratch 0
		.amdhsa_float_round_mode_32 0
		.amdhsa_float_round_mode_16_64 0
		.amdhsa_float_denorm_mode_32 3
		.amdhsa_float_denorm_mode_16_64 3
		.amdhsa_dx10_clamp 1
		.amdhsa_ieee_mode 1
		.amdhsa_fp16_overflow 0
		.amdhsa_tg_split 0
		.amdhsa_exception_fp_ieee_invalid_op 0
		.amdhsa_exception_fp_denorm_src 0
		.amdhsa_exception_fp_ieee_div_zero 0
		.amdhsa_exception_fp_ieee_overflow 0
		.amdhsa_exception_fp_ieee_underflow 0
		.amdhsa_exception_fp_ieee_inexact 0
		.amdhsa_exception_int_div_zero 0
	.end_amdhsa_kernel
	.section	.text._ZN7rocprim17ROCPRIM_400000_NS6detail17trampoline_kernelINS0_14default_configENS1_25transform_config_selectorIjLb1EEEZNS1_14transform_implILb1ES3_S5_PjS7_NS0_8identityIjEEEE10hipError_tT2_T3_mT4_P12ihipStream_tbEUlT_E_NS1_11comp_targetILNS1_3genE4ELNS1_11target_archE910ELNS1_3gpuE8ELNS1_3repE0EEENS1_30default_config_static_selectorELNS0_4arch9wavefront6targetE1EEEvT1_,"axG",@progbits,_ZN7rocprim17ROCPRIM_400000_NS6detail17trampoline_kernelINS0_14default_configENS1_25transform_config_selectorIjLb1EEEZNS1_14transform_implILb1ES3_S5_PjS7_NS0_8identityIjEEEE10hipError_tT2_T3_mT4_P12ihipStream_tbEUlT_E_NS1_11comp_targetILNS1_3genE4ELNS1_11target_archE910ELNS1_3gpuE8ELNS1_3repE0EEENS1_30default_config_static_selectorELNS0_4arch9wavefront6targetE1EEEvT1_,comdat
.Lfunc_end2258:
	.size	_ZN7rocprim17ROCPRIM_400000_NS6detail17trampoline_kernelINS0_14default_configENS1_25transform_config_selectorIjLb1EEEZNS1_14transform_implILb1ES3_S5_PjS7_NS0_8identityIjEEEE10hipError_tT2_T3_mT4_P12ihipStream_tbEUlT_E_NS1_11comp_targetILNS1_3genE4ELNS1_11target_archE910ELNS1_3gpuE8ELNS1_3repE0EEENS1_30default_config_static_selectorELNS0_4arch9wavefront6targetE1EEEvT1_, .Lfunc_end2258-_ZN7rocprim17ROCPRIM_400000_NS6detail17trampoline_kernelINS0_14default_configENS1_25transform_config_selectorIjLb1EEEZNS1_14transform_implILb1ES3_S5_PjS7_NS0_8identityIjEEEE10hipError_tT2_T3_mT4_P12ihipStream_tbEUlT_E_NS1_11comp_targetILNS1_3genE4ELNS1_11target_archE910ELNS1_3gpuE8ELNS1_3repE0EEENS1_30default_config_static_selectorELNS0_4arch9wavefront6targetE1EEEvT1_
                                        ; -- End function
	.section	.AMDGPU.csdata,"",@progbits
; Kernel info:
; codeLenInByte = 488
; NumSgprs: 20
; NumVgprs: 8
; NumAgprs: 0
; TotalNumVgprs: 8
; ScratchSize: 0
; MemoryBound: 1
; FloatMode: 240
; IeeeMode: 1
; LDSByteSize: 0 bytes/workgroup (compile time only)
; SGPRBlocks: 2
; VGPRBlocks: 0
; NumSGPRsForWavesPerEU: 20
; NumVGPRsForWavesPerEU: 8
; AccumOffset: 8
; Occupancy: 8
; WaveLimiterHint : 0
; COMPUTE_PGM_RSRC2:SCRATCH_EN: 0
; COMPUTE_PGM_RSRC2:USER_SGPR: 6
; COMPUTE_PGM_RSRC2:TRAP_HANDLER: 0
; COMPUTE_PGM_RSRC2:TGID_X_EN: 1
; COMPUTE_PGM_RSRC2:TGID_Y_EN: 0
; COMPUTE_PGM_RSRC2:TGID_Z_EN: 0
; COMPUTE_PGM_RSRC2:TIDIG_COMP_CNT: 0
; COMPUTE_PGM_RSRC3_GFX90A:ACCUM_OFFSET: 1
; COMPUTE_PGM_RSRC3_GFX90A:TG_SPLIT: 0
	.section	.text._ZN7rocprim17ROCPRIM_400000_NS6detail17trampoline_kernelINS0_14default_configENS1_25transform_config_selectorIjLb1EEEZNS1_14transform_implILb1ES3_S5_PjS7_NS0_8identityIjEEEE10hipError_tT2_T3_mT4_P12ihipStream_tbEUlT_E_NS1_11comp_targetILNS1_3genE3ELNS1_11target_archE908ELNS1_3gpuE7ELNS1_3repE0EEENS1_30default_config_static_selectorELNS0_4arch9wavefront6targetE1EEEvT1_,"axG",@progbits,_ZN7rocprim17ROCPRIM_400000_NS6detail17trampoline_kernelINS0_14default_configENS1_25transform_config_selectorIjLb1EEEZNS1_14transform_implILb1ES3_S5_PjS7_NS0_8identityIjEEEE10hipError_tT2_T3_mT4_P12ihipStream_tbEUlT_E_NS1_11comp_targetILNS1_3genE3ELNS1_11target_archE908ELNS1_3gpuE7ELNS1_3repE0EEENS1_30default_config_static_selectorELNS0_4arch9wavefront6targetE1EEEvT1_,comdat
	.protected	_ZN7rocprim17ROCPRIM_400000_NS6detail17trampoline_kernelINS0_14default_configENS1_25transform_config_selectorIjLb1EEEZNS1_14transform_implILb1ES3_S5_PjS7_NS0_8identityIjEEEE10hipError_tT2_T3_mT4_P12ihipStream_tbEUlT_E_NS1_11comp_targetILNS1_3genE3ELNS1_11target_archE908ELNS1_3gpuE7ELNS1_3repE0EEENS1_30default_config_static_selectorELNS0_4arch9wavefront6targetE1EEEvT1_ ; -- Begin function _ZN7rocprim17ROCPRIM_400000_NS6detail17trampoline_kernelINS0_14default_configENS1_25transform_config_selectorIjLb1EEEZNS1_14transform_implILb1ES3_S5_PjS7_NS0_8identityIjEEEE10hipError_tT2_T3_mT4_P12ihipStream_tbEUlT_E_NS1_11comp_targetILNS1_3genE3ELNS1_11target_archE908ELNS1_3gpuE7ELNS1_3repE0EEENS1_30default_config_static_selectorELNS0_4arch9wavefront6targetE1EEEvT1_
	.globl	_ZN7rocprim17ROCPRIM_400000_NS6detail17trampoline_kernelINS0_14default_configENS1_25transform_config_selectorIjLb1EEEZNS1_14transform_implILb1ES3_S5_PjS7_NS0_8identityIjEEEE10hipError_tT2_T3_mT4_P12ihipStream_tbEUlT_E_NS1_11comp_targetILNS1_3genE3ELNS1_11target_archE908ELNS1_3gpuE7ELNS1_3repE0EEENS1_30default_config_static_selectorELNS0_4arch9wavefront6targetE1EEEvT1_
	.p2align	8
	.type	_ZN7rocprim17ROCPRIM_400000_NS6detail17trampoline_kernelINS0_14default_configENS1_25transform_config_selectorIjLb1EEEZNS1_14transform_implILb1ES3_S5_PjS7_NS0_8identityIjEEEE10hipError_tT2_T3_mT4_P12ihipStream_tbEUlT_E_NS1_11comp_targetILNS1_3genE3ELNS1_11target_archE908ELNS1_3gpuE7ELNS1_3repE0EEENS1_30default_config_static_selectorELNS0_4arch9wavefront6targetE1EEEvT1_,@function
_ZN7rocprim17ROCPRIM_400000_NS6detail17trampoline_kernelINS0_14default_configENS1_25transform_config_selectorIjLb1EEEZNS1_14transform_implILb1ES3_S5_PjS7_NS0_8identityIjEEEE10hipError_tT2_T3_mT4_P12ihipStream_tbEUlT_E_NS1_11comp_targetILNS1_3genE3ELNS1_11target_archE908ELNS1_3gpuE7ELNS1_3repE0EEENS1_30default_config_static_selectorELNS0_4arch9wavefront6targetE1EEEvT1_: ; @_ZN7rocprim17ROCPRIM_400000_NS6detail17trampoline_kernelINS0_14default_configENS1_25transform_config_selectorIjLb1EEEZNS1_14transform_implILb1ES3_S5_PjS7_NS0_8identityIjEEEE10hipError_tT2_T3_mT4_P12ihipStream_tbEUlT_E_NS1_11comp_targetILNS1_3genE3ELNS1_11target_archE908ELNS1_3gpuE7ELNS1_3repE0EEENS1_30default_config_static_selectorELNS0_4arch9wavefront6targetE1EEEvT1_
; %bb.0:
	.section	.rodata,"a",@progbits
	.p2align	6, 0x0
	.amdhsa_kernel _ZN7rocprim17ROCPRIM_400000_NS6detail17trampoline_kernelINS0_14default_configENS1_25transform_config_selectorIjLb1EEEZNS1_14transform_implILb1ES3_S5_PjS7_NS0_8identityIjEEEE10hipError_tT2_T3_mT4_P12ihipStream_tbEUlT_E_NS1_11comp_targetILNS1_3genE3ELNS1_11target_archE908ELNS1_3gpuE7ELNS1_3repE0EEENS1_30default_config_static_selectorELNS0_4arch9wavefront6targetE1EEEvT1_
		.amdhsa_group_segment_fixed_size 0
		.amdhsa_private_segment_fixed_size 0
		.amdhsa_kernarg_size 40
		.amdhsa_user_sgpr_count 6
		.amdhsa_user_sgpr_private_segment_buffer 1
		.amdhsa_user_sgpr_dispatch_ptr 0
		.amdhsa_user_sgpr_queue_ptr 0
		.amdhsa_user_sgpr_kernarg_segment_ptr 1
		.amdhsa_user_sgpr_dispatch_id 0
		.amdhsa_user_sgpr_flat_scratch_init 0
		.amdhsa_user_sgpr_kernarg_preload_length 0
		.amdhsa_user_sgpr_kernarg_preload_offset 0
		.amdhsa_user_sgpr_private_segment_size 0
		.amdhsa_uses_dynamic_stack 0
		.amdhsa_system_sgpr_private_segment_wavefront_offset 0
		.amdhsa_system_sgpr_workgroup_id_x 1
		.amdhsa_system_sgpr_workgroup_id_y 0
		.amdhsa_system_sgpr_workgroup_id_z 0
		.amdhsa_system_sgpr_workgroup_info 0
		.amdhsa_system_vgpr_workitem_id 0
		.amdhsa_next_free_vgpr 1
		.amdhsa_next_free_sgpr 0
		.amdhsa_accum_offset 4
		.amdhsa_reserve_vcc 0
		.amdhsa_reserve_flat_scratch 0
		.amdhsa_float_round_mode_32 0
		.amdhsa_float_round_mode_16_64 0
		.amdhsa_float_denorm_mode_32 3
		.amdhsa_float_denorm_mode_16_64 3
		.amdhsa_dx10_clamp 1
		.amdhsa_ieee_mode 1
		.amdhsa_fp16_overflow 0
		.amdhsa_tg_split 0
		.amdhsa_exception_fp_ieee_invalid_op 0
		.amdhsa_exception_fp_denorm_src 0
		.amdhsa_exception_fp_ieee_div_zero 0
		.amdhsa_exception_fp_ieee_overflow 0
		.amdhsa_exception_fp_ieee_underflow 0
		.amdhsa_exception_fp_ieee_inexact 0
		.amdhsa_exception_int_div_zero 0
	.end_amdhsa_kernel
	.section	.text._ZN7rocprim17ROCPRIM_400000_NS6detail17trampoline_kernelINS0_14default_configENS1_25transform_config_selectorIjLb1EEEZNS1_14transform_implILb1ES3_S5_PjS7_NS0_8identityIjEEEE10hipError_tT2_T3_mT4_P12ihipStream_tbEUlT_E_NS1_11comp_targetILNS1_3genE3ELNS1_11target_archE908ELNS1_3gpuE7ELNS1_3repE0EEENS1_30default_config_static_selectorELNS0_4arch9wavefront6targetE1EEEvT1_,"axG",@progbits,_ZN7rocprim17ROCPRIM_400000_NS6detail17trampoline_kernelINS0_14default_configENS1_25transform_config_selectorIjLb1EEEZNS1_14transform_implILb1ES3_S5_PjS7_NS0_8identityIjEEEE10hipError_tT2_T3_mT4_P12ihipStream_tbEUlT_E_NS1_11comp_targetILNS1_3genE3ELNS1_11target_archE908ELNS1_3gpuE7ELNS1_3repE0EEENS1_30default_config_static_selectorELNS0_4arch9wavefront6targetE1EEEvT1_,comdat
.Lfunc_end2259:
	.size	_ZN7rocprim17ROCPRIM_400000_NS6detail17trampoline_kernelINS0_14default_configENS1_25transform_config_selectorIjLb1EEEZNS1_14transform_implILb1ES3_S5_PjS7_NS0_8identityIjEEEE10hipError_tT2_T3_mT4_P12ihipStream_tbEUlT_E_NS1_11comp_targetILNS1_3genE3ELNS1_11target_archE908ELNS1_3gpuE7ELNS1_3repE0EEENS1_30default_config_static_selectorELNS0_4arch9wavefront6targetE1EEEvT1_, .Lfunc_end2259-_ZN7rocprim17ROCPRIM_400000_NS6detail17trampoline_kernelINS0_14default_configENS1_25transform_config_selectorIjLb1EEEZNS1_14transform_implILb1ES3_S5_PjS7_NS0_8identityIjEEEE10hipError_tT2_T3_mT4_P12ihipStream_tbEUlT_E_NS1_11comp_targetILNS1_3genE3ELNS1_11target_archE908ELNS1_3gpuE7ELNS1_3repE0EEENS1_30default_config_static_selectorELNS0_4arch9wavefront6targetE1EEEvT1_
                                        ; -- End function
	.section	.AMDGPU.csdata,"",@progbits
; Kernel info:
; codeLenInByte = 0
; NumSgprs: 4
; NumVgprs: 0
; NumAgprs: 0
; TotalNumVgprs: 0
; ScratchSize: 0
; MemoryBound: 0
; FloatMode: 240
; IeeeMode: 1
; LDSByteSize: 0 bytes/workgroup (compile time only)
; SGPRBlocks: 0
; VGPRBlocks: 0
; NumSGPRsForWavesPerEU: 4
; NumVGPRsForWavesPerEU: 1
; AccumOffset: 4
; Occupancy: 8
; WaveLimiterHint : 0
; COMPUTE_PGM_RSRC2:SCRATCH_EN: 0
; COMPUTE_PGM_RSRC2:USER_SGPR: 6
; COMPUTE_PGM_RSRC2:TRAP_HANDLER: 0
; COMPUTE_PGM_RSRC2:TGID_X_EN: 1
; COMPUTE_PGM_RSRC2:TGID_Y_EN: 0
; COMPUTE_PGM_RSRC2:TGID_Z_EN: 0
; COMPUTE_PGM_RSRC2:TIDIG_COMP_CNT: 0
; COMPUTE_PGM_RSRC3_GFX90A:ACCUM_OFFSET: 0
; COMPUTE_PGM_RSRC3_GFX90A:TG_SPLIT: 0
	.section	.text._ZN7rocprim17ROCPRIM_400000_NS6detail17trampoline_kernelINS0_14default_configENS1_25transform_config_selectorIjLb1EEEZNS1_14transform_implILb1ES3_S5_PjS7_NS0_8identityIjEEEE10hipError_tT2_T3_mT4_P12ihipStream_tbEUlT_E_NS1_11comp_targetILNS1_3genE2ELNS1_11target_archE906ELNS1_3gpuE6ELNS1_3repE0EEENS1_30default_config_static_selectorELNS0_4arch9wavefront6targetE1EEEvT1_,"axG",@progbits,_ZN7rocprim17ROCPRIM_400000_NS6detail17trampoline_kernelINS0_14default_configENS1_25transform_config_selectorIjLb1EEEZNS1_14transform_implILb1ES3_S5_PjS7_NS0_8identityIjEEEE10hipError_tT2_T3_mT4_P12ihipStream_tbEUlT_E_NS1_11comp_targetILNS1_3genE2ELNS1_11target_archE906ELNS1_3gpuE6ELNS1_3repE0EEENS1_30default_config_static_selectorELNS0_4arch9wavefront6targetE1EEEvT1_,comdat
	.protected	_ZN7rocprim17ROCPRIM_400000_NS6detail17trampoline_kernelINS0_14default_configENS1_25transform_config_selectorIjLb1EEEZNS1_14transform_implILb1ES3_S5_PjS7_NS0_8identityIjEEEE10hipError_tT2_T3_mT4_P12ihipStream_tbEUlT_E_NS1_11comp_targetILNS1_3genE2ELNS1_11target_archE906ELNS1_3gpuE6ELNS1_3repE0EEENS1_30default_config_static_selectorELNS0_4arch9wavefront6targetE1EEEvT1_ ; -- Begin function _ZN7rocprim17ROCPRIM_400000_NS6detail17trampoline_kernelINS0_14default_configENS1_25transform_config_selectorIjLb1EEEZNS1_14transform_implILb1ES3_S5_PjS7_NS0_8identityIjEEEE10hipError_tT2_T3_mT4_P12ihipStream_tbEUlT_E_NS1_11comp_targetILNS1_3genE2ELNS1_11target_archE906ELNS1_3gpuE6ELNS1_3repE0EEENS1_30default_config_static_selectorELNS0_4arch9wavefront6targetE1EEEvT1_
	.globl	_ZN7rocprim17ROCPRIM_400000_NS6detail17trampoline_kernelINS0_14default_configENS1_25transform_config_selectorIjLb1EEEZNS1_14transform_implILb1ES3_S5_PjS7_NS0_8identityIjEEEE10hipError_tT2_T3_mT4_P12ihipStream_tbEUlT_E_NS1_11comp_targetILNS1_3genE2ELNS1_11target_archE906ELNS1_3gpuE6ELNS1_3repE0EEENS1_30default_config_static_selectorELNS0_4arch9wavefront6targetE1EEEvT1_
	.p2align	8
	.type	_ZN7rocprim17ROCPRIM_400000_NS6detail17trampoline_kernelINS0_14default_configENS1_25transform_config_selectorIjLb1EEEZNS1_14transform_implILb1ES3_S5_PjS7_NS0_8identityIjEEEE10hipError_tT2_T3_mT4_P12ihipStream_tbEUlT_E_NS1_11comp_targetILNS1_3genE2ELNS1_11target_archE906ELNS1_3gpuE6ELNS1_3repE0EEENS1_30default_config_static_selectorELNS0_4arch9wavefront6targetE1EEEvT1_,@function
_ZN7rocprim17ROCPRIM_400000_NS6detail17trampoline_kernelINS0_14default_configENS1_25transform_config_selectorIjLb1EEEZNS1_14transform_implILb1ES3_S5_PjS7_NS0_8identityIjEEEE10hipError_tT2_T3_mT4_P12ihipStream_tbEUlT_E_NS1_11comp_targetILNS1_3genE2ELNS1_11target_archE906ELNS1_3gpuE6ELNS1_3repE0EEENS1_30default_config_static_selectorELNS0_4arch9wavefront6targetE1EEEvT1_: ; @_ZN7rocprim17ROCPRIM_400000_NS6detail17trampoline_kernelINS0_14default_configENS1_25transform_config_selectorIjLb1EEEZNS1_14transform_implILb1ES3_S5_PjS7_NS0_8identityIjEEEE10hipError_tT2_T3_mT4_P12ihipStream_tbEUlT_E_NS1_11comp_targetILNS1_3genE2ELNS1_11target_archE906ELNS1_3gpuE6ELNS1_3repE0EEENS1_30default_config_static_selectorELNS0_4arch9wavefront6targetE1EEEvT1_
; %bb.0:
	.section	.rodata,"a",@progbits
	.p2align	6, 0x0
	.amdhsa_kernel _ZN7rocprim17ROCPRIM_400000_NS6detail17trampoline_kernelINS0_14default_configENS1_25transform_config_selectorIjLb1EEEZNS1_14transform_implILb1ES3_S5_PjS7_NS0_8identityIjEEEE10hipError_tT2_T3_mT4_P12ihipStream_tbEUlT_E_NS1_11comp_targetILNS1_3genE2ELNS1_11target_archE906ELNS1_3gpuE6ELNS1_3repE0EEENS1_30default_config_static_selectorELNS0_4arch9wavefront6targetE1EEEvT1_
		.amdhsa_group_segment_fixed_size 0
		.amdhsa_private_segment_fixed_size 0
		.amdhsa_kernarg_size 40
		.amdhsa_user_sgpr_count 6
		.amdhsa_user_sgpr_private_segment_buffer 1
		.amdhsa_user_sgpr_dispatch_ptr 0
		.amdhsa_user_sgpr_queue_ptr 0
		.amdhsa_user_sgpr_kernarg_segment_ptr 1
		.amdhsa_user_sgpr_dispatch_id 0
		.amdhsa_user_sgpr_flat_scratch_init 0
		.amdhsa_user_sgpr_kernarg_preload_length 0
		.amdhsa_user_sgpr_kernarg_preload_offset 0
		.amdhsa_user_sgpr_private_segment_size 0
		.amdhsa_uses_dynamic_stack 0
		.amdhsa_system_sgpr_private_segment_wavefront_offset 0
		.amdhsa_system_sgpr_workgroup_id_x 1
		.amdhsa_system_sgpr_workgroup_id_y 0
		.amdhsa_system_sgpr_workgroup_id_z 0
		.amdhsa_system_sgpr_workgroup_info 0
		.amdhsa_system_vgpr_workitem_id 0
		.amdhsa_next_free_vgpr 1
		.amdhsa_next_free_sgpr 0
		.amdhsa_accum_offset 4
		.amdhsa_reserve_vcc 0
		.amdhsa_reserve_flat_scratch 0
		.amdhsa_float_round_mode_32 0
		.amdhsa_float_round_mode_16_64 0
		.amdhsa_float_denorm_mode_32 3
		.amdhsa_float_denorm_mode_16_64 3
		.amdhsa_dx10_clamp 1
		.amdhsa_ieee_mode 1
		.amdhsa_fp16_overflow 0
		.amdhsa_tg_split 0
		.amdhsa_exception_fp_ieee_invalid_op 0
		.amdhsa_exception_fp_denorm_src 0
		.amdhsa_exception_fp_ieee_div_zero 0
		.amdhsa_exception_fp_ieee_overflow 0
		.amdhsa_exception_fp_ieee_underflow 0
		.amdhsa_exception_fp_ieee_inexact 0
		.amdhsa_exception_int_div_zero 0
	.end_amdhsa_kernel
	.section	.text._ZN7rocprim17ROCPRIM_400000_NS6detail17trampoline_kernelINS0_14default_configENS1_25transform_config_selectorIjLb1EEEZNS1_14transform_implILb1ES3_S5_PjS7_NS0_8identityIjEEEE10hipError_tT2_T3_mT4_P12ihipStream_tbEUlT_E_NS1_11comp_targetILNS1_3genE2ELNS1_11target_archE906ELNS1_3gpuE6ELNS1_3repE0EEENS1_30default_config_static_selectorELNS0_4arch9wavefront6targetE1EEEvT1_,"axG",@progbits,_ZN7rocprim17ROCPRIM_400000_NS6detail17trampoline_kernelINS0_14default_configENS1_25transform_config_selectorIjLb1EEEZNS1_14transform_implILb1ES3_S5_PjS7_NS0_8identityIjEEEE10hipError_tT2_T3_mT4_P12ihipStream_tbEUlT_E_NS1_11comp_targetILNS1_3genE2ELNS1_11target_archE906ELNS1_3gpuE6ELNS1_3repE0EEENS1_30default_config_static_selectorELNS0_4arch9wavefront6targetE1EEEvT1_,comdat
.Lfunc_end2260:
	.size	_ZN7rocprim17ROCPRIM_400000_NS6detail17trampoline_kernelINS0_14default_configENS1_25transform_config_selectorIjLb1EEEZNS1_14transform_implILb1ES3_S5_PjS7_NS0_8identityIjEEEE10hipError_tT2_T3_mT4_P12ihipStream_tbEUlT_E_NS1_11comp_targetILNS1_3genE2ELNS1_11target_archE906ELNS1_3gpuE6ELNS1_3repE0EEENS1_30default_config_static_selectorELNS0_4arch9wavefront6targetE1EEEvT1_, .Lfunc_end2260-_ZN7rocprim17ROCPRIM_400000_NS6detail17trampoline_kernelINS0_14default_configENS1_25transform_config_selectorIjLb1EEEZNS1_14transform_implILb1ES3_S5_PjS7_NS0_8identityIjEEEE10hipError_tT2_T3_mT4_P12ihipStream_tbEUlT_E_NS1_11comp_targetILNS1_3genE2ELNS1_11target_archE906ELNS1_3gpuE6ELNS1_3repE0EEENS1_30default_config_static_selectorELNS0_4arch9wavefront6targetE1EEEvT1_
                                        ; -- End function
	.section	.AMDGPU.csdata,"",@progbits
; Kernel info:
; codeLenInByte = 0
; NumSgprs: 4
; NumVgprs: 0
; NumAgprs: 0
; TotalNumVgprs: 0
; ScratchSize: 0
; MemoryBound: 0
; FloatMode: 240
; IeeeMode: 1
; LDSByteSize: 0 bytes/workgroup (compile time only)
; SGPRBlocks: 0
; VGPRBlocks: 0
; NumSGPRsForWavesPerEU: 4
; NumVGPRsForWavesPerEU: 1
; AccumOffset: 4
; Occupancy: 8
; WaveLimiterHint : 0
; COMPUTE_PGM_RSRC2:SCRATCH_EN: 0
; COMPUTE_PGM_RSRC2:USER_SGPR: 6
; COMPUTE_PGM_RSRC2:TRAP_HANDLER: 0
; COMPUTE_PGM_RSRC2:TGID_X_EN: 1
; COMPUTE_PGM_RSRC2:TGID_Y_EN: 0
; COMPUTE_PGM_RSRC2:TGID_Z_EN: 0
; COMPUTE_PGM_RSRC2:TIDIG_COMP_CNT: 0
; COMPUTE_PGM_RSRC3_GFX90A:ACCUM_OFFSET: 0
; COMPUTE_PGM_RSRC3_GFX90A:TG_SPLIT: 0
	.section	.text._ZN7rocprim17ROCPRIM_400000_NS6detail17trampoline_kernelINS0_14default_configENS1_25transform_config_selectorIjLb1EEEZNS1_14transform_implILb1ES3_S5_PjS7_NS0_8identityIjEEEE10hipError_tT2_T3_mT4_P12ihipStream_tbEUlT_E_NS1_11comp_targetILNS1_3genE9ELNS1_11target_archE1100ELNS1_3gpuE3ELNS1_3repE0EEENS1_30default_config_static_selectorELNS0_4arch9wavefront6targetE1EEEvT1_,"axG",@progbits,_ZN7rocprim17ROCPRIM_400000_NS6detail17trampoline_kernelINS0_14default_configENS1_25transform_config_selectorIjLb1EEEZNS1_14transform_implILb1ES3_S5_PjS7_NS0_8identityIjEEEE10hipError_tT2_T3_mT4_P12ihipStream_tbEUlT_E_NS1_11comp_targetILNS1_3genE9ELNS1_11target_archE1100ELNS1_3gpuE3ELNS1_3repE0EEENS1_30default_config_static_selectorELNS0_4arch9wavefront6targetE1EEEvT1_,comdat
	.protected	_ZN7rocprim17ROCPRIM_400000_NS6detail17trampoline_kernelINS0_14default_configENS1_25transform_config_selectorIjLb1EEEZNS1_14transform_implILb1ES3_S5_PjS7_NS0_8identityIjEEEE10hipError_tT2_T3_mT4_P12ihipStream_tbEUlT_E_NS1_11comp_targetILNS1_3genE9ELNS1_11target_archE1100ELNS1_3gpuE3ELNS1_3repE0EEENS1_30default_config_static_selectorELNS0_4arch9wavefront6targetE1EEEvT1_ ; -- Begin function _ZN7rocprim17ROCPRIM_400000_NS6detail17trampoline_kernelINS0_14default_configENS1_25transform_config_selectorIjLb1EEEZNS1_14transform_implILb1ES3_S5_PjS7_NS0_8identityIjEEEE10hipError_tT2_T3_mT4_P12ihipStream_tbEUlT_E_NS1_11comp_targetILNS1_3genE9ELNS1_11target_archE1100ELNS1_3gpuE3ELNS1_3repE0EEENS1_30default_config_static_selectorELNS0_4arch9wavefront6targetE1EEEvT1_
	.globl	_ZN7rocprim17ROCPRIM_400000_NS6detail17trampoline_kernelINS0_14default_configENS1_25transform_config_selectorIjLb1EEEZNS1_14transform_implILb1ES3_S5_PjS7_NS0_8identityIjEEEE10hipError_tT2_T3_mT4_P12ihipStream_tbEUlT_E_NS1_11comp_targetILNS1_3genE9ELNS1_11target_archE1100ELNS1_3gpuE3ELNS1_3repE0EEENS1_30default_config_static_selectorELNS0_4arch9wavefront6targetE1EEEvT1_
	.p2align	8
	.type	_ZN7rocprim17ROCPRIM_400000_NS6detail17trampoline_kernelINS0_14default_configENS1_25transform_config_selectorIjLb1EEEZNS1_14transform_implILb1ES3_S5_PjS7_NS0_8identityIjEEEE10hipError_tT2_T3_mT4_P12ihipStream_tbEUlT_E_NS1_11comp_targetILNS1_3genE9ELNS1_11target_archE1100ELNS1_3gpuE3ELNS1_3repE0EEENS1_30default_config_static_selectorELNS0_4arch9wavefront6targetE1EEEvT1_,@function
_ZN7rocprim17ROCPRIM_400000_NS6detail17trampoline_kernelINS0_14default_configENS1_25transform_config_selectorIjLb1EEEZNS1_14transform_implILb1ES3_S5_PjS7_NS0_8identityIjEEEE10hipError_tT2_T3_mT4_P12ihipStream_tbEUlT_E_NS1_11comp_targetILNS1_3genE9ELNS1_11target_archE1100ELNS1_3gpuE3ELNS1_3repE0EEENS1_30default_config_static_selectorELNS0_4arch9wavefront6targetE1EEEvT1_: ; @_ZN7rocprim17ROCPRIM_400000_NS6detail17trampoline_kernelINS0_14default_configENS1_25transform_config_selectorIjLb1EEEZNS1_14transform_implILb1ES3_S5_PjS7_NS0_8identityIjEEEE10hipError_tT2_T3_mT4_P12ihipStream_tbEUlT_E_NS1_11comp_targetILNS1_3genE9ELNS1_11target_archE1100ELNS1_3gpuE3ELNS1_3repE0EEENS1_30default_config_static_selectorELNS0_4arch9wavefront6targetE1EEEvT1_
; %bb.0:
	.section	.rodata,"a",@progbits
	.p2align	6, 0x0
	.amdhsa_kernel _ZN7rocprim17ROCPRIM_400000_NS6detail17trampoline_kernelINS0_14default_configENS1_25transform_config_selectorIjLb1EEEZNS1_14transform_implILb1ES3_S5_PjS7_NS0_8identityIjEEEE10hipError_tT2_T3_mT4_P12ihipStream_tbEUlT_E_NS1_11comp_targetILNS1_3genE9ELNS1_11target_archE1100ELNS1_3gpuE3ELNS1_3repE0EEENS1_30default_config_static_selectorELNS0_4arch9wavefront6targetE1EEEvT1_
		.amdhsa_group_segment_fixed_size 0
		.amdhsa_private_segment_fixed_size 0
		.amdhsa_kernarg_size 40
		.amdhsa_user_sgpr_count 6
		.amdhsa_user_sgpr_private_segment_buffer 1
		.amdhsa_user_sgpr_dispatch_ptr 0
		.amdhsa_user_sgpr_queue_ptr 0
		.amdhsa_user_sgpr_kernarg_segment_ptr 1
		.amdhsa_user_sgpr_dispatch_id 0
		.amdhsa_user_sgpr_flat_scratch_init 0
		.amdhsa_user_sgpr_kernarg_preload_length 0
		.amdhsa_user_sgpr_kernarg_preload_offset 0
		.amdhsa_user_sgpr_private_segment_size 0
		.amdhsa_uses_dynamic_stack 0
		.amdhsa_system_sgpr_private_segment_wavefront_offset 0
		.amdhsa_system_sgpr_workgroup_id_x 1
		.amdhsa_system_sgpr_workgroup_id_y 0
		.amdhsa_system_sgpr_workgroup_id_z 0
		.amdhsa_system_sgpr_workgroup_info 0
		.amdhsa_system_vgpr_workitem_id 0
		.amdhsa_next_free_vgpr 1
		.amdhsa_next_free_sgpr 0
		.amdhsa_accum_offset 4
		.amdhsa_reserve_vcc 0
		.amdhsa_reserve_flat_scratch 0
		.amdhsa_float_round_mode_32 0
		.amdhsa_float_round_mode_16_64 0
		.amdhsa_float_denorm_mode_32 3
		.amdhsa_float_denorm_mode_16_64 3
		.amdhsa_dx10_clamp 1
		.amdhsa_ieee_mode 1
		.amdhsa_fp16_overflow 0
		.amdhsa_tg_split 0
		.amdhsa_exception_fp_ieee_invalid_op 0
		.amdhsa_exception_fp_denorm_src 0
		.amdhsa_exception_fp_ieee_div_zero 0
		.amdhsa_exception_fp_ieee_overflow 0
		.amdhsa_exception_fp_ieee_underflow 0
		.amdhsa_exception_fp_ieee_inexact 0
		.amdhsa_exception_int_div_zero 0
	.end_amdhsa_kernel
	.section	.text._ZN7rocprim17ROCPRIM_400000_NS6detail17trampoline_kernelINS0_14default_configENS1_25transform_config_selectorIjLb1EEEZNS1_14transform_implILb1ES3_S5_PjS7_NS0_8identityIjEEEE10hipError_tT2_T3_mT4_P12ihipStream_tbEUlT_E_NS1_11comp_targetILNS1_3genE9ELNS1_11target_archE1100ELNS1_3gpuE3ELNS1_3repE0EEENS1_30default_config_static_selectorELNS0_4arch9wavefront6targetE1EEEvT1_,"axG",@progbits,_ZN7rocprim17ROCPRIM_400000_NS6detail17trampoline_kernelINS0_14default_configENS1_25transform_config_selectorIjLb1EEEZNS1_14transform_implILb1ES3_S5_PjS7_NS0_8identityIjEEEE10hipError_tT2_T3_mT4_P12ihipStream_tbEUlT_E_NS1_11comp_targetILNS1_3genE9ELNS1_11target_archE1100ELNS1_3gpuE3ELNS1_3repE0EEENS1_30default_config_static_selectorELNS0_4arch9wavefront6targetE1EEEvT1_,comdat
.Lfunc_end2261:
	.size	_ZN7rocprim17ROCPRIM_400000_NS6detail17trampoline_kernelINS0_14default_configENS1_25transform_config_selectorIjLb1EEEZNS1_14transform_implILb1ES3_S5_PjS7_NS0_8identityIjEEEE10hipError_tT2_T3_mT4_P12ihipStream_tbEUlT_E_NS1_11comp_targetILNS1_3genE9ELNS1_11target_archE1100ELNS1_3gpuE3ELNS1_3repE0EEENS1_30default_config_static_selectorELNS0_4arch9wavefront6targetE1EEEvT1_, .Lfunc_end2261-_ZN7rocprim17ROCPRIM_400000_NS6detail17trampoline_kernelINS0_14default_configENS1_25transform_config_selectorIjLb1EEEZNS1_14transform_implILb1ES3_S5_PjS7_NS0_8identityIjEEEE10hipError_tT2_T3_mT4_P12ihipStream_tbEUlT_E_NS1_11comp_targetILNS1_3genE9ELNS1_11target_archE1100ELNS1_3gpuE3ELNS1_3repE0EEENS1_30default_config_static_selectorELNS0_4arch9wavefront6targetE1EEEvT1_
                                        ; -- End function
	.section	.AMDGPU.csdata,"",@progbits
; Kernel info:
; codeLenInByte = 0
; NumSgprs: 4
; NumVgprs: 0
; NumAgprs: 0
; TotalNumVgprs: 0
; ScratchSize: 0
; MemoryBound: 0
; FloatMode: 240
; IeeeMode: 1
; LDSByteSize: 0 bytes/workgroup (compile time only)
; SGPRBlocks: 0
; VGPRBlocks: 0
; NumSGPRsForWavesPerEU: 4
; NumVGPRsForWavesPerEU: 1
; AccumOffset: 4
; Occupancy: 8
; WaveLimiterHint : 0
; COMPUTE_PGM_RSRC2:SCRATCH_EN: 0
; COMPUTE_PGM_RSRC2:USER_SGPR: 6
; COMPUTE_PGM_RSRC2:TRAP_HANDLER: 0
; COMPUTE_PGM_RSRC2:TGID_X_EN: 1
; COMPUTE_PGM_RSRC2:TGID_Y_EN: 0
; COMPUTE_PGM_RSRC2:TGID_Z_EN: 0
; COMPUTE_PGM_RSRC2:TIDIG_COMP_CNT: 0
; COMPUTE_PGM_RSRC3_GFX90A:ACCUM_OFFSET: 0
; COMPUTE_PGM_RSRC3_GFX90A:TG_SPLIT: 0
	.section	.text._ZN7rocprim17ROCPRIM_400000_NS6detail17trampoline_kernelINS0_14default_configENS1_25transform_config_selectorIjLb1EEEZNS1_14transform_implILb1ES3_S5_PjS7_NS0_8identityIjEEEE10hipError_tT2_T3_mT4_P12ihipStream_tbEUlT_E_NS1_11comp_targetILNS1_3genE8ELNS1_11target_archE1030ELNS1_3gpuE2ELNS1_3repE0EEENS1_30default_config_static_selectorELNS0_4arch9wavefront6targetE1EEEvT1_,"axG",@progbits,_ZN7rocprim17ROCPRIM_400000_NS6detail17trampoline_kernelINS0_14default_configENS1_25transform_config_selectorIjLb1EEEZNS1_14transform_implILb1ES3_S5_PjS7_NS0_8identityIjEEEE10hipError_tT2_T3_mT4_P12ihipStream_tbEUlT_E_NS1_11comp_targetILNS1_3genE8ELNS1_11target_archE1030ELNS1_3gpuE2ELNS1_3repE0EEENS1_30default_config_static_selectorELNS0_4arch9wavefront6targetE1EEEvT1_,comdat
	.protected	_ZN7rocprim17ROCPRIM_400000_NS6detail17trampoline_kernelINS0_14default_configENS1_25transform_config_selectorIjLb1EEEZNS1_14transform_implILb1ES3_S5_PjS7_NS0_8identityIjEEEE10hipError_tT2_T3_mT4_P12ihipStream_tbEUlT_E_NS1_11comp_targetILNS1_3genE8ELNS1_11target_archE1030ELNS1_3gpuE2ELNS1_3repE0EEENS1_30default_config_static_selectorELNS0_4arch9wavefront6targetE1EEEvT1_ ; -- Begin function _ZN7rocprim17ROCPRIM_400000_NS6detail17trampoline_kernelINS0_14default_configENS1_25transform_config_selectorIjLb1EEEZNS1_14transform_implILb1ES3_S5_PjS7_NS0_8identityIjEEEE10hipError_tT2_T3_mT4_P12ihipStream_tbEUlT_E_NS1_11comp_targetILNS1_3genE8ELNS1_11target_archE1030ELNS1_3gpuE2ELNS1_3repE0EEENS1_30default_config_static_selectorELNS0_4arch9wavefront6targetE1EEEvT1_
	.globl	_ZN7rocprim17ROCPRIM_400000_NS6detail17trampoline_kernelINS0_14default_configENS1_25transform_config_selectorIjLb1EEEZNS1_14transform_implILb1ES3_S5_PjS7_NS0_8identityIjEEEE10hipError_tT2_T3_mT4_P12ihipStream_tbEUlT_E_NS1_11comp_targetILNS1_3genE8ELNS1_11target_archE1030ELNS1_3gpuE2ELNS1_3repE0EEENS1_30default_config_static_selectorELNS0_4arch9wavefront6targetE1EEEvT1_
	.p2align	8
	.type	_ZN7rocprim17ROCPRIM_400000_NS6detail17trampoline_kernelINS0_14default_configENS1_25transform_config_selectorIjLb1EEEZNS1_14transform_implILb1ES3_S5_PjS7_NS0_8identityIjEEEE10hipError_tT2_T3_mT4_P12ihipStream_tbEUlT_E_NS1_11comp_targetILNS1_3genE8ELNS1_11target_archE1030ELNS1_3gpuE2ELNS1_3repE0EEENS1_30default_config_static_selectorELNS0_4arch9wavefront6targetE1EEEvT1_,@function
_ZN7rocprim17ROCPRIM_400000_NS6detail17trampoline_kernelINS0_14default_configENS1_25transform_config_selectorIjLb1EEEZNS1_14transform_implILb1ES3_S5_PjS7_NS0_8identityIjEEEE10hipError_tT2_T3_mT4_P12ihipStream_tbEUlT_E_NS1_11comp_targetILNS1_3genE8ELNS1_11target_archE1030ELNS1_3gpuE2ELNS1_3repE0EEENS1_30default_config_static_selectorELNS0_4arch9wavefront6targetE1EEEvT1_: ; @_ZN7rocprim17ROCPRIM_400000_NS6detail17trampoline_kernelINS0_14default_configENS1_25transform_config_selectorIjLb1EEEZNS1_14transform_implILb1ES3_S5_PjS7_NS0_8identityIjEEEE10hipError_tT2_T3_mT4_P12ihipStream_tbEUlT_E_NS1_11comp_targetILNS1_3genE8ELNS1_11target_archE1030ELNS1_3gpuE2ELNS1_3repE0EEENS1_30default_config_static_selectorELNS0_4arch9wavefront6targetE1EEEvT1_
; %bb.0:
	.section	.rodata,"a",@progbits
	.p2align	6, 0x0
	.amdhsa_kernel _ZN7rocprim17ROCPRIM_400000_NS6detail17trampoline_kernelINS0_14default_configENS1_25transform_config_selectorIjLb1EEEZNS1_14transform_implILb1ES3_S5_PjS7_NS0_8identityIjEEEE10hipError_tT2_T3_mT4_P12ihipStream_tbEUlT_E_NS1_11comp_targetILNS1_3genE8ELNS1_11target_archE1030ELNS1_3gpuE2ELNS1_3repE0EEENS1_30default_config_static_selectorELNS0_4arch9wavefront6targetE1EEEvT1_
		.amdhsa_group_segment_fixed_size 0
		.amdhsa_private_segment_fixed_size 0
		.amdhsa_kernarg_size 40
		.amdhsa_user_sgpr_count 6
		.amdhsa_user_sgpr_private_segment_buffer 1
		.amdhsa_user_sgpr_dispatch_ptr 0
		.amdhsa_user_sgpr_queue_ptr 0
		.amdhsa_user_sgpr_kernarg_segment_ptr 1
		.amdhsa_user_sgpr_dispatch_id 0
		.amdhsa_user_sgpr_flat_scratch_init 0
		.amdhsa_user_sgpr_kernarg_preload_length 0
		.amdhsa_user_sgpr_kernarg_preload_offset 0
		.amdhsa_user_sgpr_private_segment_size 0
		.amdhsa_uses_dynamic_stack 0
		.amdhsa_system_sgpr_private_segment_wavefront_offset 0
		.amdhsa_system_sgpr_workgroup_id_x 1
		.amdhsa_system_sgpr_workgroup_id_y 0
		.amdhsa_system_sgpr_workgroup_id_z 0
		.amdhsa_system_sgpr_workgroup_info 0
		.amdhsa_system_vgpr_workitem_id 0
		.amdhsa_next_free_vgpr 1
		.amdhsa_next_free_sgpr 0
		.amdhsa_accum_offset 4
		.amdhsa_reserve_vcc 0
		.amdhsa_reserve_flat_scratch 0
		.amdhsa_float_round_mode_32 0
		.amdhsa_float_round_mode_16_64 0
		.amdhsa_float_denorm_mode_32 3
		.amdhsa_float_denorm_mode_16_64 3
		.amdhsa_dx10_clamp 1
		.amdhsa_ieee_mode 1
		.amdhsa_fp16_overflow 0
		.amdhsa_tg_split 0
		.amdhsa_exception_fp_ieee_invalid_op 0
		.amdhsa_exception_fp_denorm_src 0
		.amdhsa_exception_fp_ieee_div_zero 0
		.amdhsa_exception_fp_ieee_overflow 0
		.amdhsa_exception_fp_ieee_underflow 0
		.amdhsa_exception_fp_ieee_inexact 0
		.amdhsa_exception_int_div_zero 0
	.end_amdhsa_kernel
	.section	.text._ZN7rocprim17ROCPRIM_400000_NS6detail17trampoline_kernelINS0_14default_configENS1_25transform_config_selectorIjLb1EEEZNS1_14transform_implILb1ES3_S5_PjS7_NS0_8identityIjEEEE10hipError_tT2_T3_mT4_P12ihipStream_tbEUlT_E_NS1_11comp_targetILNS1_3genE8ELNS1_11target_archE1030ELNS1_3gpuE2ELNS1_3repE0EEENS1_30default_config_static_selectorELNS0_4arch9wavefront6targetE1EEEvT1_,"axG",@progbits,_ZN7rocprim17ROCPRIM_400000_NS6detail17trampoline_kernelINS0_14default_configENS1_25transform_config_selectorIjLb1EEEZNS1_14transform_implILb1ES3_S5_PjS7_NS0_8identityIjEEEE10hipError_tT2_T3_mT4_P12ihipStream_tbEUlT_E_NS1_11comp_targetILNS1_3genE8ELNS1_11target_archE1030ELNS1_3gpuE2ELNS1_3repE0EEENS1_30default_config_static_selectorELNS0_4arch9wavefront6targetE1EEEvT1_,comdat
.Lfunc_end2262:
	.size	_ZN7rocprim17ROCPRIM_400000_NS6detail17trampoline_kernelINS0_14default_configENS1_25transform_config_selectorIjLb1EEEZNS1_14transform_implILb1ES3_S5_PjS7_NS0_8identityIjEEEE10hipError_tT2_T3_mT4_P12ihipStream_tbEUlT_E_NS1_11comp_targetILNS1_3genE8ELNS1_11target_archE1030ELNS1_3gpuE2ELNS1_3repE0EEENS1_30default_config_static_selectorELNS0_4arch9wavefront6targetE1EEEvT1_, .Lfunc_end2262-_ZN7rocprim17ROCPRIM_400000_NS6detail17trampoline_kernelINS0_14default_configENS1_25transform_config_selectorIjLb1EEEZNS1_14transform_implILb1ES3_S5_PjS7_NS0_8identityIjEEEE10hipError_tT2_T3_mT4_P12ihipStream_tbEUlT_E_NS1_11comp_targetILNS1_3genE8ELNS1_11target_archE1030ELNS1_3gpuE2ELNS1_3repE0EEENS1_30default_config_static_selectorELNS0_4arch9wavefront6targetE1EEEvT1_
                                        ; -- End function
	.section	.AMDGPU.csdata,"",@progbits
; Kernel info:
; codeLenInByte = 0
; NumSgprs: 4
; NumVgprs: 0
; NumAgprs: 0
; TotalNumVgprs: 0
; ScratchSize: 0
; MemoryBound: 0
; FloatMode: 240
; IeeeMode: 1
; LDSByteSize: 0 bytes/workgroup (compile time only)
; SGPRBlocks: 0
; VGPRBlocks: 0
; NumSGPRsForWavesPerEU: 4
; NumVGPRsForWavesPerEU: 1
; AccumOffset: 4
; Occupancy: 8
; WaveLimiterHint : 0
; COMPUTE_PGM_RSRC2:SCRATCH_EN: 0
; COMPUTE_PGM_RSRC2:USER_SGPR: 6
; COMPUTE_PGM_RSRC2:TRAP_HANDLER: 0
; COMPUTE_PGM_RSRC2:TGID_X_EN: 1
; COMPUTE_PGM_RSRC2:TGID_Y_EN: 0
; COMPUTE_PGM_RSRC2:TGID_Z_EN: 0
; COMPUTE_PGM_RSRC2:TIDIG_COMP_CNT: 0
; COMPUTE_PGM_RSRC3_GFX90A:ACCUM_OFFSET: 0
; COMPUTE_PGM_RSRC3_GFX90A:TG_SPLIT: 0
	.section	.text._ZN7rocprim17ROCPRIM_400000_NS6detail17trampoline_kernelINS0_14default_configENS1_20scan_config_selectorIjEEZZNS1_9scan_implILNS1_25lookback_scan_determinismE0ELb0ELb0ES3_N6thrust23THRUST_200600_302600_NS6detail15normal_iteratorINS9_10device_ptrIjEEEESE_j11max_functorIjEjEEDaPvRmT3_T4_T5_mT6_P12ihipStream_tbENKUlT_T0_E_clISt17integral_constantIbLb0EESU_EEDaSP_SQ_EUlSP_E0_NS1_11comp_targetILNS1_3genE0ELNS1_11target_archE4294967295ELNS1_3gpuE0ELNS1_3repE0EEENS1_30default_config_static_selectorELNS0_4arch9wavefront6targetE1EEEvT1_,"axG",@progbits,_ZN7rocprim17ROCPRIM_400000_NS6detail17trampoline_kernelINS0_14default_configENS1_20scan_config_selectorIjEEZZNS1_9scan_implILNS1_25lookback_scan_determinismE0ELb0ELb0ES3_N6thrust23THRUST_200600_302600_NS6detail15normal_iteratorINS9_10device_ptrIjEEEESE_j11max_functorIjEjEEDaPvRmT3_T4_T5_mT6_P12ihipStream_tbENKUlT_T0_E_clISt17integral_constantIbLb0EESU_EEDaSP_SQ_EUlSP_E0_NS1_11comp_targetILNS1_3genE0ELNS1_11target_archE4294967295ELNS1_3gpuE0ELNS1_3repE0EEENS1_30default_config_static_selectorELNS0_4arch9wavefront6targetE1EEEvT1_,comdat
	.protected	_ZN7rocprim17ROCPRIM_400000_NS6detail17trampoline_kernelINS0_14default_configENS1_20scan_config_selectorIjEEZZNS1_9scan_implILNS1_25lookback_scan_determinismE0ELb0ELb0ES3_N6thrust23THRUST_200600_302600_NS6detail15normal_iteratorINS9_10device_ptrIjEEEESE_j11max_functorIjEjEEDaPvRmT3_T4_T5_mT6_P12ihipStream_tbENKUlT_T0_E_clISt17integral_constantIbLb0EESU_EEDaSP_SQ_EUlSP_E0_NS1_11comp_targetILNS1_3genE0ELNS1_11target_archE4294967295ELNS1_3gpuE0ELNS1_3repE0EEENS1_30default_config_static_selectorELNS0_4arch9wavefront6targetE1EEEvT1_ ; -- Begin function _ZN7rocprim17ROCPRIM_400000_NS6detail17trampoline_kernelINS0_14default_configENS1_20scan_config_selectorIjEEZZNS1_9scan_implILNS1_25lookback_scan_determinismE0ELb0ELb0ES3_N6thrust23THRUST_200600_302600_NS6detail15normal_iteratorINS9_10device_ptrIjEEEESE_j11max_functorIjEjEEDaPvRmT3_T4_T5_mT6_P12ihipStream_tbENKUlT_T0_E_clISt17integral_constantIbLb0EESU_EEDaSP_SQ_EUlSP_E0_NS1_11comp_targetILNS1_3genE0ELNS1_11target_archE4294967295ELNS1_3gpuE0ELNS1_3repE0EEENS1_30default_config_static_selectorELNS0_4arch9wavefront6targetE1EEEvT1_
	.globl	_ZN7rocprim17ROCPRIM_400000_NS6detail17trampoline_kernelINS0_14default_configENS1_20scan_config_selectorIjEEZZNS1_9scan_implILNS1_25lookback_scan_determinismE0ELb0ELb0ES3_N6thrust23THRUST_200600_302600_NS6detail15normal_iteratorINS9_10device_ptrIjEEEESE_j11max_functorIjEjEEDaPvRmT3_T4_T5_mT6_P12ihipStream_tbENKUlT_T0_E_clISt17integral_constantIbLb0EESU_EEDaSP_SQ_EUlSP_E0_NS1_11comp_targetILNS1_3genE0ELNS1_11target_archE4294967295ELNS1_3gpuE0ELNS1_3repE0EEENS1_30default_config_static_selectorELNS0_4arch9wavefront6targetE1EEEvT1_
	.p2align	8
	.type	_ZN7rocprim17ROCPRIM_400000_NS6detail17trampoline_kernelINS0_14default_configENS1_20scan_config_selectorIjEEZZNS1_9scan_implILNS1_25lookback_scan_determinismE0ELb0ELb0ES3_N6thrust23THRUST_200600_302600_NS6detail15normal_iteratorINS9_10device_ptrIjEEEESE_j11max_functorIjEjEEDaPvRmT3_T4_T5_mT6_P12ihipStream_tbENKUlT_T0_E_clISt17integral_constantIbLb0EESU_EEDaSP_SQ_EUlSP_E0_NS1_11comp_targetILNS1_3genE0ELNS1_11target_archE4294967295ELNS1_3gpuE0ELNS1_3repE0EEENS1_30default_config_static_selectorELNS0_4arch9wavefront6targetE1EEEvT1_,@function
_ZN7rocprim17ROCPRIM_400000_NS6detail17trampoline_kernelINS0_14default_configENS1_20scan_config_selectorIjEEZZNS1_9scan_implILNS1_25lookback_scan_determinismE0ELb0ELb0ES3_N6thrust23THRUST_200600_302600_NS6detail15normal_iteratorINS9_10device_ptrIjEEEESE_j11max_functorIjEjEEDaPvRmT3_T4_T5_mT6_P12ihipStream_tbENKUlT_T0_E_clISt17integral_constantIbLb0EESU_EEDaSP_SQ_EUlSP_E0_NS1_11comp_targetILNS1_3genE0ELNS1_11target_archE4294967295ELNS1_3gpuE0ELNS1_3repE0EEENS1_30default_config_static_selectorELNS0_4arch9wavefront6targetE1EEEvT1_: ; @_ZN7rocprim17ROCPRIM_400000_NS6detail17trampoline_kernelINS0_14default_configENS1_20scan_config_selectorIjEEZZNS1_9scan_implILNS1_25lookback_scan_determinismE0ELb0ELb0ES3_N6thrust23THRUST_200600_302600_NS6detail15normal_iteratorINS9_10device_ptrIjEEEESE_j11max_functorIjEjEEDaPvRmT3_T4_T5_mT6_P12ihipStream_tbENKUlT_T0_E_clISt17integral_constantIbLb0EESU_EEDaSP_SQ_EUlSP_E0_NS1_11comp_targetILNS1_3genE0ELNS1_11target_archE4294967295ELNS1_3gpuE0ELNS1_3repE0EEENS1_30default_config_static_selectorELNS0_4arch9wavefront6targetE1EEEvT1_
; %bb.0:
	.section	.rodata,"a",@progbits
	.p2align	6, 0x0
	.amdhsa_kernel _ZN7rocprim17ROCPRIM_400000_NS6detail17trampoline_kernelINS0_14default_configENS1_20scan_config_selectorIjEEZZNS1_9scan_implILNS1_25lookback_scan_determinismE0ELb0ELb0ES3_N6thrust23THRUST_200600_302600_NS6detail15normal_iteratorINS9_10device_ptrIjEEEESE_j11max_functorIjEjEEDaPvRmT3_T4_T5_mT6_P12ihipStream_tbENKUlT_T0_E_clISt17integral_constantIbLb0EESU_EEDaSP_SQ_EUlSP_E0_NS1_11comp_targetILNS1_3genE0ELNS1_11target_archE4294967295ELNS1_3gpuE0ELNS1_3repE0EEENS1_30default_config_static_selectorELNS0_4arch9wavefront6targetE1EEEvT1_
		.amdhsa_group_segment_fixed_size 0
		.amdhsa_private_segment_fixed_size 0
		.amdhsa_kernarg_size 32
		.amdhsa_user_sgpr_count 6
		.amdhsa_user_sgpr_private_segment_buffer 1
		.amdhsa_user_sgpr_dispatch_ptr 0
		.amdhsa_user_sgpr_queue_ptr 0
		.amdhsa_user_sgpr_kernarg_segment_ptr 1
		.amdhsa_user_sgpr_dispatch_id 0
		.amdhsa_user_sgpr_flat_scratch_init 0
		.amdhsa_user_sgpr_kernarg_preload_length 0
		.amdhsa_user_sgpr_kernarg_preload_offset 0
		.amdhsa_user_sgpr_private_segment_size 0
		.amdhsa_uses_dynamic_stack 0
		.amdhsa_system_sgpr_private_segment_wavefront_offset 0
		.amdhsa_system_sgpr_workgroup_id_x 1
		.amdhsa_system_sgpr_workgroup_id_y 0
		.amdhsa_system_sgpr_workgroup_id_z 0
		.amdhsa_system_sgpr_workgroup_info 0
		.amdhsa_system_vgpr_workitem_id 0
		.amdhsa_next_free_vgpr 1
		.amdhsa_next_free_sgpr 0
		.amdhsa_accum_offset 4
		.amdhsa_reserve_vcc 0
		.amdhsa_reserve_flat_scratch 0
		.amdhsa_float_round_mode_32 0
		.amdhsa_float_round_mode_16_64 0
		.amdhsa_float_denorm_mode_32 3
		.amdhsa_float_denorm_mode_16_64 3
		.amdhsa_dx10_clamp 1
		.amdhsa_ieee_mode 1
		.amdhsa_fp16_overflow 0
		.amdhsa_tg_split 0
		.amdhsa_exception_fp_ieee_invalid_op 0
		.amdhsa_exception_fp_denorm_src 0
		.amdhsa_exception_fp_ieee_div_zero 0
		.amdhsa_exception_fp_ieee_overflow 0
		.amdhsa_exception_fp_ieee_underflow 0
		.amdhsa_exception_fp_ieee_inexact 0
		.amdhsa_exception_int_div_zero 0
	.end_amdhsa_kernel
	.section	.text._ZN7rocprim17ROCPRIM_400000_NS6detail17trampoline_kernelINS0_14default_configENS1_20scan_config_selectorIjEEZZNS1_9scan_implILNS1_25lookback_scan_determinismE0ELb0ELb0ES3_N6thrust23THRUST_200600_302600_NS6detail15normal_iteratorINS9_10device_ptrIjEEEESE_j11max_functorIjEjEEDaPvRmT3_T4_T5_mT6_P12ihipStream_tbENKUlT_T0_E_clISt17integral_constantIbLb0EESU_EEDaSP_SQ_EUlSP_E0_NS1_11comp_targetILNS1_3genE0ELNS1_11target_archE4294967295ELNS1_3gpuE0ELNS1_3repE0EEENS1_30default_config_static_selectorELNS0_4arch9wavefront6targetE1EEEvT1_,"axG",@progbits,_ZN7rocprim17ROCPRIM_400000_NS6detail17trampoline_kernelINS0_14default_configENS1_20scan_config_selectorIjEEZZNS1_9scan_implILNS1_25lookback_scan_determinismE0ELb0ELb0ES3_N6thrust23THRUST_200600_302600_NS6detail15normal_iteratorINS9_10device_ptrIjEEEESE_j11max_functorIjEjEEDaPvRmT3_T4_T5_mT6_P12ihipStream_tbENKUlT_T0_E_clISt17integral_constantIbLb0EESU_EEDaSP_SQ_EUlSP_E0_NS1_11comp_targetILNS1_3genE0ELNS1_11target_archE4294967295ELNS1_3gpuE0ELNS1_3repE0EEENS1_30default_config_static_selectorELNS0_4arch9wavefront6targetE1EEEvT1_,comdat
.Lfunc_end2263:
	.size	_ZN7rocprim17ROCPRIM_400000_NS6detail17trampoline_kernelINS0_14default_configENS1_20scan_config_selectorIjEEZZNS1_9scan_implILNS1_25lookback_scan_determinismE0ELb0ELb0ES3_N6thrust23THRUST_200600_302600_NS6detail15normal_iteratorINS9_10device_ptrIjEEEESE_j11max_functorIjEjEEDaPvRmT3_T4_T5_mT6_P12ihipStream_tbENKUlT_T0_E_clISt17integral_constantIbLb0EESU_EEDaSP_SQ_EUlSP_E0_NS1_11comp_targetILNS1_3genE0ELNS1_11target_archE4294967295ELNS1_3gpuE0ELNS1_3repE0EEENS1_30default_config_static_selectorELNS0_4arch9wavefront6targetE1EEEvT1_, .Lfunc_end2263-_ZN7rocprim17ROCPRIM_400000_NS6detail17trampoline_kernelINS0_14default_configENS1_20scan_config_selectorIjEEZZNS1_9scan_implILNS1_25lookback_scan_determinismE0ELb0ELb0ES3_N6thrust23THRUST_200600_302600_NS6detail15normal_iteratorINS9_10device_ptrIjEEEESE_j11max_functorIjEjEEDaPvRmT3_T4_T5_mT6_P12ihipStream_tbENKUlT_T0_E_clISt17integral_constantIbLb0EESU_EEDaSP_SQ_EUlSP_E0_NS1_11comp_targetILNS1_3genE0ELNS1_11target_archE4294967295ELNS1_3gpuE0ELNS1_3repE0EEENS1_30default_config_static_selectorELNS0_4arch9wavefront6targetE1EEEvT1_
                                        ; -- End function
	.section	.AMDGPU.csdata,"",@progbits
; Kernel info:
; codeLenInByte = 0
; NumSgprs: 4
; NumVgprs: 0
; NumAgprs: 0
; TotalNumVgprs: 0
; ScratchSize: 0
; MemoryBound: 0
; FloatMode: 240
; IeeeMode: 1
; LDSByteSize: 0 bytes/workgroup (compile time only)
; SGPRBlocks: 0
; VGPRBlocks: 0
; NumSGPRsForWavesPerEU: 4
; NumVGPRsForWavesPerEU: 1
; AccumOffset: 4
; Occupancy: 8
; WaveLimiterHint : 0
; COMPUTE_PGM_RSRC2:SCRATCH_EN: 0
; COMPUTE_PGM_RSRC2:USER_SGPR: 6
; COMPUTE_PGM_RSRC2:TRAP_HANDLER: 0
; COMPUTE_PGM_RSRC2:TGID_X_EN: 1
; COMPUTE_PGM_RSRC2:TGID_Y_EN: 0
; COMPUTE_PGM_RSRC2:TGID_Z_EN: 0
; COMPUTE_PGM_RSRC2:TIDIG_COMP_CNT: 0
; COMPUTE_PGM_RSRC3_GFX90A:ACCUM_OFFSET: 0
; COMPUTE_PGM_RSRC3_GFX90A:TG_SPLIT: 0
	.section	.text._ZN7rocprim17ROCPRIM_400000_NS6detail17trampoline_kernelINS0_14default_configENS1_20scan_config_selectorIjEEZZNS1_9scan_implILNS1_25lookback_scan_determinismE0ELb0ELb0ES3_N6thrust23THRUST_200600_302600_NS6detail15normal_iteratorINS9_10device_ptrIjEEEESE_j11max_functorIjEjEEDaPvRmT3_T4_T5_mT6_P12ihipStream_tbENKUlT_T0_E_clISt17integral_constantIbLb0EESU_EEDaSP_SQ_EUlSP_E0_NS1_11comp_targetILNS1_3genE5ELNS1_11target_archE942ELNS1_3gpuE9ELNS1_3repE0EEENS1_30default_config_static_selectorELNS0_4arch9wavefront6targetE1EEEvT1_,"axG",@progbits,_ZN7rocprim17ROCPRIM_400000_NS6detail17trampoline_kernelINS0_14default_configENS1_20scan_config_selectorIjEEZZNS1_9scan_implILNS1_25lookback_scan_determinismE0ELb0ELb0ES3_N6thrust23THRUST_200600_302600_NS6detail15normal_iteratorINS9_10device_ptrIjEEEESE_j11max_functorIjEjEEDaPvRmT3_T4_T5_mT6_P12ihipStream_tbENKUlT_T0_E_clISt17integral_constantIbLb0EESU_EEDaSP_SQ_EUlSP_E0_NS1_11comp_targetILNS1_3genE5ELNS1_11target_archE942ELNS1_3gpuE9ELNS1_3repE0EEENS1_30default_config_static_selectorELNS0_4arch9wavefront6targetE1EEEvT1_,comdat
	.protected	_ZN7rocprim17ROCPRIM_400000_NS6detail17trampoline_kernelINS0_14default_configENS1_20scan_config_selectorIjEEZZNS1_9scan_implILNS1_25lookback_scan_determinismE0ELb0ELb0ES3_N6thrust23THRUST_200600_302600_NS6detail15normal_iteratorINS9_10device_ptrIjEEEESE_j11max_functorIjEjEEDaPvRmT3_T4_T5_mT6_P12ihipStream_tbENKUlT_T0_E_clISt17integral_constantIbLb0EESU_EEDaSP_SQ_EUlSP_E0_NS1_11comp_targetILNS1_3genE5ELNS1_11target_archE942ELNS1_3gpuE9ELNS1_3repE0EEENS1_30default_config_static_selectorELNS0_4arch9wavefront6targetE1EEEvT1_ ; -- Begin function _ZN7rocprim17ROCPRIM_400000_NS6detail17trampoline_kernelINS0_14default_configENS1_20scan_config_selectorIjEEZZNS1_9scan_implILNS1_25lookback_scan_determinismE0ELb0ELb0ES3_N6thrust23THRUST_200600_302600_NS6detail15normal_iteratorINS9_10device_ptrIjEEEESE_j11max_functorIjEjEEDaPvRmT3_T4_T5_mT6_P12ihipStream_tbENKUlT_T0_E_clISt17integral_constantIbLb0EESU_EEDaSP_SQ_EUlSP_E0_NS1_11comp_targetILNS1_3genE5ELNS1_11target_archE942ELNS1_3gpuE9ELNS1_3repE0EEENS1_30default_config_static_selectorELNS0_4arch9wavefront6targetE1EEEvT1_
	.globl	_ZN7rocprim17ROCPRIM_400000_NS6detail17trampoline_kernelINS0_14default_configENS1_20scan_config_selectorIjEEZZNS1_9scan_implILNS1_25lookback_scan_determinismE0ELb0ELb0ES3_N6thrust23THRUST_200600_302600_NS6detail15normal_iteratorINS9_10device_ptrIjEEEESE_j11max_functorIjEjEEDaPvRmT3_T4_T5_mT6_P12ihipStream_tbENKUlT_T0_E_clISt17integral_constantIbLb0EESU_EEDaSP_SQ_EUlSP_E0_NS1_11comp_targetILNS1_3genE5ELNS1_11target_archE942ELNS1_3gpuE9ELNS1_3repE0EEENS1_30default_config_static_selectorELNS0_4arch9wavefront6targetE1EEEvT1_
	.p2align	8
	.type	_ZN7rocprim17ROCPRIM_400000_NS6detail17trampoline_kernelINS0_14default_configENS1_20scan_config_selectorIjEEZZNS1_9scan_implILNS1_25lookback_scan_determinismE0ELb0ELb0ES3_N6thrust23THRUST_200600_302600_NS6detail15normal_iteratorINS9_10device_ptrIjEEEESE_j11max_functorIjEjEEDaPvRmT3_T4_T5_mT6_P12ihipStream_tbENKUlT_T0_E_clISt17integral_constantIbLb0EESU_EEDaSP_SQ_EUlSP_E0_NS1_11comp_targetILNS1_3genE5ELNS1_11target_archE942ELNS1_3gpuE9ELNS1_3repE0EEENS1_30default_config_static_selectorELNS0_4arch9wavefront6targetE1EEEvT1_,@function
_ZN7rocprim17ROCPRIM_400000_NS6detail17trampoline_kernelINS0_14default_configENS1_20scan_config_selectorIjEEZZNS1_9scan_implILNS1_25lookback_scan_determinismE0ELb0ELb0ES3_N6thrust23THRUST_200600_302600_NS6detail15normal_iteratorINS9_10device_ptrIjEEEESE_j11max_functorIjEjEEDaPvRmT3_T4_T5_mT6_P12ihipStream_tbENKUlT_T0_E_clISt17integral_constantIbLb0EESU_EEDaSP_SQ_EUlSP_E0_NS1_11comp_targetILNS1_3genE5ELNS1_11target_archE942ELNS1_3gpuE9ELNS1_3repE0EEENS1_30default_config_static_selectorELNS0_4arch9wavefront6targetE1EEEvT1_: ; @_ZN7rocprim17ROCPRIM_400000_NS6detail17trampoline_kernelINS0_14default_configENS1_20scan_config_selectorIjEEZZNS1_9scan_implILNS1_25lookback_scan_determinismE0ELb0ELb0ES3_N6thrust23THRUST_200600_302600_NS6detail15normal_iteratorINS9_10device_ptrIjEEEESE_j11max_functorIjEjEEDaPvRmT3_T4_T5_mT6_P12ihipStream_tbENKUlT_T0_E_clISt17integral_constantIbLb0EESU_EEDaSP_SQ_EUlSP_E0_NS1_11comp_targetILNS1_3genE5ELNS1_11target_archE942ELNS1_3gpuE9ELNS1_3repE0EEENS1_30default_config_static_selectorELNS0_4arch9wavefront6targetE1EEEvT1_
; %bb.0:
	.section	.rodata,"a",@progbits
	.p2align	6, 0x0
	.amdhsa_kernel _ZN7rocprim17ROCPRIM_400000_NS6detail17trampoline_kernelINS0_14default_configENS1_20scan_config_selectorIjEEZZNS1_9scan_implILNS1_25lookback_scan_determinismE0ELb0ELb0ES3_N6thrust23THRUST_200600_302600_NS6detail15normal_iteratorINS9_10device_ptrIjEEEESE_j11max_functorIjEjEEDaPvRmT3_T4_T5_mT6_P12ihipStream_tbENKUlT_T0_E_clISt17integral_constantIbLb0EESU_EEDaSP_SQ_EUlSP_E0_NS1_11comp_targetILNS1_3genE5ELNS1_11target_archE942ELNS1_3gpuE9ELNS1_3repE0EEENS1_30default_config_static_selectorELNS0_4arch9wavefront6targetE1EEEvT1_
		.amdhsa_group_segment_fixed_size 0
		.amdhsa_private_segment_fixed_size 0
		.amdhsa_kernarg_size 32
		.amdhsa_user_sgpr_count 6
		.amdhsa_user_sgpr_private_segment_buffer 1
		.amdhsa_user_sgpr_dispatch_ptr 0
		.amdhsa_user_sgpr_queue_ptr 0
		.amdhsa_user_sgpr_kernarg_segment_ptr 1
		.amdhsa_user_sgpr_dispatch_id 0
		.amdhsa_user_sgpr_flat_scratch_init 0
		.amdhsa_user_sgpr_kernarg_preload_length 0
		.amdhsa_user_sgpr_kernarg_preload_offset 0
		.amdhsa_user_sgpr_private_segment_size 0
		.amdhsa_uses_dynamic_stack 0
		.amdhsa_system_sgpr_private_segment_wavefront_offset 0
		.amdhsa_system_sgpr_workgroup_id_x 1
		.amdhsa_system_sgpr_workgroup_id_y 0
		.amdhsa_system_sgpr_workgroup_id_z 0
		.amdhsa_system_sgpr_workgroup_info 0
		.amdhsa_system_vgpr_workitem_id 0
		.amdhsa_next_free_vgpr 1
		.amdhsa_next_free_sgpr 0
		.amdhsa_accum_offset 4
		.amdhsa_reserve_vcc 0
		.amdhsa_reserve_flat_scratch 0
		.amdhsa_float_round_mode_32 0
		.amdhsa_float_round_mode_16_64 0
		.amdhsa_float_denorm_mode_32 3
		.amdhsa_float_denorm_mode_16_64 3
		.amdhsa_dx10_clamp 1
		.amdhsa_ieee_mode 1
		.amdhsa_fp16_overflow 0
		.amdhsa_tg_split 0
		.amdhsa_exception_fp_ieee_invalid_op 0
		.amdhsa_exception_fp_denorm_src 0
		.amdhsa_exception_fp_ieee_div_zero 0
		.amdhsa_exception_fp_ieee_overflow 0
		.amdhsa_exception_fp_ieee_underflow 0
		.amdhsa_exception_fp_ieee_inexact 0
		.amdhsa_exception_int_div_zero 0
	.end_amdhsa_kernel
	.section	.text._ZN7rocprim17ROCPRIM_400000_NS6detail17trampoline_kernelINS0_14default_configENS1_20scan_config_selectorIjEEZZNS1_9scan_implILNS1_25lookback_scan_determinismE0ELb0ELb0ES3_N6thrust23THRUST_200600_302600_NS6detail15normal_iteratorINS9_10device_ptrIjEEEESE_j11max_functorIjEjEEDaPvRmT3_T4_T5_mT6_P12ihipStream_tbENKUlT_T0_E_clISt17integral_constantIbLb0EESU_EEDaSP_SQ_EUlSP_E0_NS1_11comp_targetILNS1_3genE5ELNS1_11target_archE942ELNS1_3gpuE9ELNS1_3repE0EEENS1_30default_config_static_selectorELNS0_4arch9wavefront6targetE1EEEvT1_,"axG",@progbits,_ZN7rocprim17ROCPRIM_400000_NS6detail17trampoline_kernelINS0_14default_configENS1_20scan_config_selectorIjEEZZNS1_9scan_implILNS1_25lookback_scan_determinismE0ELb0ELb0ES3_N6thrust23THRUST_200600_302600_NS6detail15normal_iteratorINS9_10device_ptrIjEEEESE_j11max_functorIjEjEEDaPvRmT3_T4_T5_mT6_P12ihipStream_tbENKUlT_T0_E_clISt17integral_constantIbLb0EESU_EEDaSP_SQ_EUlSP_E0_NS1_11comp_targetILNS1_3genE5ELNS1_11target_archE942ELNS1_3gpuE9ELNS1_3repE0EEENS1_30default_config_static_selectorELNS0_4arch9wavefront6targetE1EEEvT1_,comdat
.Lfunc_end2264:
	.size	_ZN7rocprim17ROCPRIM_400000_NS6detail17trampoline_kernelINS0_14default_configENS1_20scan_config_selectorIjEEZZNS1_9scan_implILNS1_25lookback_scan_determinismE0ELb0ELb0ES3_N6thrust23THRUST_200600_302600_NS6detail15normal_iteratorINS9_10device_ptrIjEEEESE_j11max_functorIjEjEEDaPvRmT3_T4_T5_mT6_P12ihipStream_tbENKUlT_T0_E_clISt17integral_constantIbLb0EESU_EEDaSP_SQ_EUlSP_E0_NS1_11comp_targetILNS1_3genE5ELNS1_11target_archE942ELNS1_3gpuE9ELNS1_3repE0EEENS1_30default_config_static_selectorELNS0_4arch9wavefront6targetE1EEEvT1_, .Lfunc_end2264-_ZN7rocprim17ROCPRIM_400000_NS6detail17trampoline_kernelINS0_14default_configENS1_20scan_config_selectorIjEEZZNS1_9scan_implILNS1_25lookback_scan_determinismE0ELb0ELb0ES3_N6thrust23THRUST_200600_302600_NS6detail15normal_iteratorINS9_10device_ptrIjEEEESE_j11max_functorIjEjEEDaPvRmT3_T4_T5_mT6_P12ihipStream_tbENKUlT_T0_E_clISt17integral_constantIbLb0EESU_EEDaSP_SQ_EUlSP_E0_NS1_11comp_targetILNS1_3genE5ELNS1_11target_archE942ELNS1_3gpuE9ELNS1_3repE0EEENS1_30default_config_static_selectorELNS0_4arch9wavefront6targetE1EEEvT1_
                                        ; -- End function
	.section	.AMDGPU.csdata,"",@progbits
; Kernel info:
; codeLenInByte = 0
; NumSgprs: 4
; NumVgprs: 0
; NumAgprs: 0
; TotalNumVgprs: 0
; ScratchSize: 0
; MemoryBound: 0
; FloatMode: 240
; IeeeMode: 1
; LDSByteSize: 0 bytes/workgroup (compile time only)
; SGPRBlocks: 0
; VGPRBlocks: 0
; NumSGPRsForWavesPerEU: 4
; NumVGPRsForWavesPerEU: 1
; AccumOffset: 4
; Occupancy: 8
; WaveLimiterHint : 0
; COMPUTE_PGM_RSRC2:SCRATCH_EN: 0
; COMPUTE_PGM_RSRC2:USER_SGPR: 6
; COMPUTE_PGM_RSRC2:TRAP_HANDLER: 0
; COMPUTE_PGM_RSRC2:TGID_X_EN: 1
; COMPUTE_PGM_RSRC2:TGID_Y_EN: 0
; COMPUTE_PGM_RSRC2:TGID_Z_EN: 0
; COMPUTE_PGM_RSRC2:TIDIG_COMP_CNT: 0
; COMPUTE_PGM_RSRC3_GFX90A:ACCUM_OFFSET: 0
; COMPUTE_PGM_RSRC3_GFX90A:TG_SPLIT: 0
	.section	.text._ZN7rocprim17ROCPRIM_400000_NS6detail17trampoline_kernelINS0_14default_configENS1_20scan_config_selectorIjEEZZNS1_9scan_implILNS1_25lookback_scan_determinismE0ELb0ELb0ES3_N6thrust23THRUST_200600_302600_NS6detail15normal_iteratorINS9_10device_ptrIjEEEESE_j11max_functorIjEjEEDaPvRmT3_T4_T5_mT6_P12ihipStream_tbENKUlT_T0_E_clISt17integral_constantIbLb0EESU_EEDaSP_SQ_EUlSP_E0_NS1_11comp_targetILNS1_3genE4ELNS1_11target_archE910ELNS1_3gpuE8ELNS1_3repE0EEENS1_30default_config_static_selectorELNS0_4arch9wavefront6targetE1EEEvT1_,"axG",@progbits,_ZN7rocprim17ROCPRIM_400000_NS6detail17trampoline_kernelINS0_14default_configENS1_20scan_config_selectorIjEEZZNS1_9scan_implILNS1_25lookback_scan_determinismE0ELb0ELb0ES3_N6thrust23THRUST_200600_302600_NS6detail15normal_iteratorINS9_10device_ptrIjEEEESE_j11max_functorIjEjEEDaPvRmT3_T4_T5_mT6_P12ihipStream_tbENKUlT_T0_E_clISt17integral_constantIbLb0EESU_EEDaSP_SQ_EUlSP_E0_NS1_11comp_targetILNS1_3genE4ELNS1_11target_archE910ELNS1_3gpuE8ELNS1_3repE0EEENS1_30default_config_static_selectorELNS0_4arch9wavefront6targetE1EEEvT1_,comdat
	.protected	_ZN7rocprim17ROCPRIM_400000_NS6detail17trampoline_kernelINS0_14default_configENS1_20scan_config_selectorIjEEZZNS1_9scan_implILNS1_25lookback_scan_determinismE0ELb0ELb0ES3_N6thrust23THRUST_200600_302600_NS6detail15normal_iteratorINS9_10device_ptrIjEEEESE_j11max_functorIjEjEEDaPvRmT3_T4_T5_mT6_P12ihipStream_tbENKUlT_T0_E_clISt17integral_constantIbLb0EESU_EEDaSP_SQ_EUlSP_E0_NS1_11comp_targetILNS1_3genE4ELNS1_11target_archE910ELNS1_3gpuE8ELNS1_3repE0EEENS1_30default_config_static_selectorELNS0_4arch9wavefront6targetE1EEEvT1_ ; -- Begin function _ZN7rocprim17ROCPRIM_400000_NS6detail17trampoline_kernelINS0_14default_configENS1_20scan_config_selectorIjEEZZNS1_9scan_implILNS1_25lookback_scan_determinismE0ELb0ELb0ES3_N6thrust23THRUST_200600_302600_NS6detail15normal_iteratorINS9_10device_ptrIjEEEESE_j11max_functorIjEjEEDaPvRmT3_T4_T5_mT6_P12ihipStream_tbENKUlT_T0_E_clISt17integral_constantIbLb0EESU_EEDaSP_SQ_EUlSP_E0_NS1_11comp_targetILNS1_3genE4ELNS1_11target_archE910ELNS1_3gpuE8ELNS1_3repE0EEENS1_30default_config_static_selectorELNS0_4arch9wavefront6targetE1EEEvT1_
	.globl	_ZN7rocprim17ROCPRIM_400000_NS6detail17trampoline_kernelINS0_14default_configENS1_20scan_config_selectorIjEEZZNS1_9scan_implILNS1_25lookback_scan_determinismE0ELb0ELb0ES3_N6thrust23THRUST_200600_302600_NS6detail15normal_iteratorINS9_10device_ptrIjEEEESE_j11max_functorIjEjEEDaPvRmT3_T4_T5_mT6_P12ihipStream_tbENKUlT_T0_E_clISt17integral_constantIbLb0EESU_EEDaSP_SQ_EUlSP_E0_NS1_11comp_targetILNS1_3genE4ELNS1_11target_archE910ELNS1_3gpuE8ELNS1_3repE0EEENS1_30default_config_static_selectorELNS0_4arch9wavefront6targetE1EEEvT1_
	.p2align	8
	.type	_ZN7rocprim17ROCPRIM_400000_NS6detail17trampoline_kernelINS0_14default_configENS1_20scan_config_selectorIjEEZZNS1_9scan_implILNS1_25lookback_scan_determinismE0ELb0ELb0ES3_N6thrust23THRUST_200600_302600_NS6detail15normal_iteratorINS9_10device_ptrIjEEEESE_j11max_functorIjEjEEDaPvRmT3_T4_T5_mT6_P12ihipStream_tbENKUlT_T0_E_clISt17integral_constantIbLb0EESU_EEDaSP_SQ_EUlSP_E0_NS1_11comp_targetILNS1_3genE4ELNS1_11target_archE910ELNS1_3gpuE8ELNS1_3repE0EEENS1_30default_config_static_selectorELNS0_4arch9wavefront6targetE1EEEvT1_,@function
_ZN7rocprim17ROCPRIM_400000_NS6detail17trampoline_kernelINS0_14default_configENS1_20scan_config_selectorIjEEZZNS1_9scan_implILNS1_25lookback_scan_determinismE0ELb0ELb0ES3_N6thrust23THRUST_200600_302600_NS6detail15normal_iteratorINS9_10device_ptrIjEEEESE_j11max_functorIjEjEEDaPvRmT3_T4_T5_mT6_P12ihipStream_tbENKUlT_T0_E_clISt17integral_constantIbLb0EESU_EEDaSP_SQ_EUlSP_E0_NS1_11comp_targetILNS1_3genE4ELNS1_11target_archE910ELNS1_3gpuE8ELNS1_3repE0EEENS1_30default_config_static_selectorELNS0_4arch9wavefront6targetE1EEEvT1_: ; @_ZN7rocprim17ROCPRIM_400000_NS6detail17trampoline_kernelINS0_14default_configENS1_20scan_config_selectorIjEEZZNS1_9scan_implILNS1_25lookback_scan_determinismE0ELb0ELb0ES3_N6thrust23THRUST_200600_302600_NS6detail15normal_iteratorINS9_10device_ptrIjEEEESE_j11max_functorIjEjEEDaPvRmT3_T4_T5_mT6_P12ihipStream_tbENKUlT_T0_E_clISt17integral_constantIbLb0EESU_EEDaSP_SQ_EUlSP_E0_NS1_11comp_targetILNS1_3genE4ELNS1_11target_archE910ELNS1_3gpuE8ELNS1_3repE0EEENS1_30default_config_static_selectorELNS0_4arch9wavefront6targetE1EEEvT1_
; %bb.0:
	s_load_dwordx4 s[20:23], s[4:5], 0x0
	v_lshlrev_b32_e32 v22, 2, v0
	s_waitcnt lgkmcnt(0)
	s_load_dword s23, s[20:21], 0x0
	v_cmp_gt_u32_e32 vcc, s22, v0
	s_waitcnt lgkmcnt(0)
	v_mov_b32_e32 v1, s23
	s_and_saveexec_b64 s[0:1], vcc
	s_cbranch_execz .LBB2265_2
; %bb.1:
	global_load_dword v1, v22, s[20:21]
.LBB2265_2:
	s_or_b64 exec, exec, s[0:1]
	v_or_b32_e32 v2, 0x80, v0
	v_cmp_gt_u32_e64 s[0:1], s22, v2
	v_mov_b32_e32 v2, s23
	s_and_saveexec_b64 s[2:3], s[0:1]
	s_cbranch_execz .LBB2265_4
; %bb.3:
	global_load_dword v2, v22, s[20:21] offset:512
.LBB2265_4:
	s_or_b64 exec, exec, s[2:3]
	v_or_b32_e32 v3, 0x100, v0
	v_cmp_gt_u32_e64 s[2:3], s22, v3
	v_mov_b32_e32 v3, s23
	s_and_saveexec_b64 s[6:7], s[2:3]
	s_cbranch_execz .LBB2265_6
; %bb.5:
	global_load_dword v3, v22, s[20:21] offset:1024
.LBB2265_6:
	;; [unrolled: 9-line block ×7, first 2 shown]
	s_or_b64 exec, exec, s[14:15]
	v_or_b32_e32 v10, 0x400, v0
	v_cmp_gt_u32_e64 s[14:15], s22, v10
	v_mov_b32_e32 v9, s23
	s_and_saveexec_b64 s[16:17], s[14:15]
	s_cbranch_execz .LBB2265_18
; %bb.17:
	v_lshlrev_b32_e32 v9, 2, v10
	global_load_dword v9, v9, s[20:21]
.LBB2265_18:
	s_or_b64 exec, exec, s[16:17]
	v_or_b32_e32 v11, 0x480, v0
	v_cmp_gt_u32_e64 s[16:17], s22, v11
	v_mov_b32_e32 v10, s23
	s_and_saveexec_b64 s[22:23], s[16:17]
	s_cbranch_execz .LBB2265_20
; %bb.19:
	v_lshlrev_b32_e32 v10, 2, v11
	global_load_dword v10, v10, s[20:21]
.LBB2265_20:
	s_or_b64 exec, exec, s[22:23]
	s_waitcnt vmcnt(0)
	ds_write2st64_b32 v22, v1, v2 offset1:2
	ds_write2st64_b32 v22, v3, v4 offset0:4 offset1:6
	ds_write2st64_b32 v22, v5, v6 offset0:8 offset1:10
	;; [unrolled: 1-line block ×4, first 2 shown]
	v_mad_u32_u24 v1, v0, 36, v22
	s_waitcnt lgkmcnt(0)
	s_barrier
	ds_read2_b64 v[6:9], v1 offset1:1
	ds_read2_b64 v[2:5], v1 offset0:2 offset1:3
	ds_read_b64 v[20:21], v1 offset:32
	v_lshrrev_b32_e32 v12, 3, v0
	v_and_b32_e32 v12, 12, v12
	s_waitcnt lgkmcnt(2)
	v_max_u32_e32 v13, v6, v7
	v_max_u32_e32 v16, v13, v8
	;; [unrolled: 1-line block ×3, first 2 shown]
	s_waitcnt lgkmcnt(1)
	v_max_u32_e32 v10, v17, v2
	v_max_u32_e32 v11, v10, v3
	;; [unrolled: 1-line block ×4, first 2 shown]
	s_waitcnt lgkmcnt(0)
	v_max_u32_e32 v18, v15, v20
	v_max_u32_e32 v19, v18, v21
	v_add_u32_e32 v12, v22, v12
	v_cmp_gt_u32_e64 s[20:21], 64, v0
	s_barrier
	ds_write_b32 v12, v19
	s_waitcnt lgkmcnt(0)
	s_barrier
	s_and_saveexec_b64 s[22:23], s[20:21]
	s_cbranch_execz .LBB2265_22
; %bb.21:
	v_lshlrev_b32_e32 v12, 1, v0
	v_lshrrev_b32_e32 v23, 4, v0
	v_add_lshl_u32 v12, v23, v12, 2
	ds_read2_b32 v[24:25], v12 offset1:1
	v_mbcnt_lo_u32_b32 v23, -1, 0
	v_mbcnt_hi_u32_b32 v23, -1, v23
	v_and_b32_e32 v26, 15, v23
	v_cmp_eq_u32_e64 s[20:21], 0, v26
	s_waitcnt lgkmcnt(0)
	v_max_u32_e32 v25, v24, v25
	; wave barrier
	s_nop 1
	v_mov_b32_dpp v27, v25 row_shr:1 row_mask:0xf bank_mask:0xf
	v_max_u32_e32 v27, v27, v25
	v_cndmask_b32_e64 v25, v27, v25, s[20:21]
	v_cmp_lt_u32_e64 s[20:21], 1, v26
	s_nop 0
	v_mov_b32_dpp v27, v25 row_shr:2 row_mask:0xf bank_mask:0xf
	v_max_u32_e32 v27, v27, v25
	v_cndmask_b32_e64 v25, v25, v27, s[20:21]
	v_cmp_lt_u32_e64 s[20:21], 3, v26
	;; [unrolled: 5-line block ×3, first 2 shown]
	s_nop 0
	v_mov_b32_dpp v27, v25 row_shr:8 row_mask:0xf bank_mask:0xf
	v_max_u32_e32 v27, v27, v25
	v_cndmask_b32_e64 v25, v25, v27, s[20:21]
	v_and_b32_e32 v27, 16, v23
	v_cmp_eq_u32_e64 s[20:21], 0, v27
	v_mov_b32_dpp v26, v25 row_bcast:15 row_mask:0xf bank_mask:0xf
	v_max_u32_e32 v26, v26, v25
	v_cndmask_b32_e64 v25, v26, v25, s[20:21]
	v_cmp_lt_u32_e64 s[20:21], 31, v23
	v_and_b32_e32 v27, 64, v23
	v_mov_b32_dpp v26, v25 row_bcast:31 row_mask:0xf bank_mask:0xf
	v_max_u32_e32 v26, v26, v25
	v_cndmask_b32_e64 v25, v25, v26, s[20:21]
	v_add_u32_e32 v26, -1, v23
	v_cmp_lt_i32_e64 s[20:21], v26, v27
	v_cndmask_b32_e64 v23, v26, v23, s[20:21]
	v_lshlrev_b32_e32 v23, 2, v23
	ds_bpermute_b32 v23, v23, v25
	v_cmp_eq_u32_e64 s[20:21], 0, v0
	s_waitcnt lgkmcnt(0)
	v_max_u32_e32 v23, v23, v24
	v_cndmask_b32_e64 v23, v23, v19, s[20:21]
	ds_write_b32 v12, v23
	; wave barrier
	ds_read_b32 v24, v12 offset:4
	s_waitcnt lgkmcnt(0)
	v_max_u32_e32 v23, v23, v24
	ds_write_b32 v12, v23 offset:4
.LBB2265_22:
	s_or_b64 exec, exec, s[22:23]
	s_load_dwordx2 s[20:21], s[4:5], 0x18
	v_cmp_ne_u32_e64 s[4:5], 0, v0
	v_mov_b32_e32 v23, v19
	s_waitcnt lgkmcnt(0)
	s_barrier
	s_and_saveexec_b64 s[22:23], s[4:5]
	s_cbranch_execz .LBB2265_24
; %bb.23:
	v_add_u32_e32 v12, -1, v0
	v_lshrrev_b32_e32 v23, 5, v12
	v_add_lshl_u32 v12, v23, v12, 2
	ds_read_b32 v23, v12
.LBB2265_24:
	s_or_b64 exec, exec, s[22:23]
	v_mov_b32_e32 v12, v6
	s_and_saveexec_b64 s[22:23], s[4:5]
	s_cbranch_execz .LBB2265_26
; %bb.25:
	s_waitcnt lgkmcnt(0)
	v_max_u32_e32 v12, v23, v6
	v_max_u32_e32 v13, v12, v7
	;; [unrolled: 1-line block ×10, first 2 shown]
	;;#ASMSTART
	;;#ASMEND
.LBB2265_26:
	s_or_b64 exec, exec, s[22:23]
	s_movk_i32 s4, 0xffdc
	v_mad_i32_i24 v0, v0, s4, v1
	s_waitcnt lgkmcnt(0)
	s_barrier
	ds_write2_b64 v1, v[12:13], v[16:17] offset1:1
	ds_write2_b64 v1, v[10:11], v[14:15] offset0:2 offset1:3
	ds_write_b64 v1, v[18:19] offset:32
	s_waitcnt lgkmcnt(0)
	s_barrier
	ds_read2st64_b32 v[8:9], v0 offset0:2 offset1:4
	ds_read2st64_b32 v[6:7], v0 offset0:6 offset1:8
	;; [unrolled: 1-line block ×4, first 2 shown]
	ds_read_b32 v10, v22 offset:4096
	v_mov_b32_e32 v3, s21
	v_add_co_u32_e64 v2, s[4:5], s20, v22
	v_addc_co_u32_e64 v3, s[4:5], 0, v3, s[4:5]
	s_and_saveexec_b64 s[4:5], vcc
	s_cbranch_execnz .LBB2265_37
; %bb.27:
	s_or_b64 exec, exec, s[4:5]
	s_and_saveexec_b64 s[4:5], s[0:1]
	s_cbranch_execnz .LBB2265_38
.LBB2265_28:
	s_or_b64 exec, exec, s[4:5]
	s_and_saveexec_b64 s[0:1], s[2:3]
	s_cbranch_execnz .LBB2265_39
.LBB2265_29:
	s_or_b64 exec, exec, s[0:1]
	s_and_saveexec_b64 s[0:1], s[18:19]
	s_cbranch_execnz .LBB2265_40
.LBB2265_30:
	s_or_b64 exec, exec, s[0:1]
	s_and_saveexec_b64 s[0:1], s[6:7]
	s_cbranch_execnz .LBB2265_41
.LBB2265_31:
	s_or_b64 exec, exec, s[0:1]
	s_and_saveexec_b64 s[0:1], s[8:9]
	s_cbranch_execnz .LBB2265_42
.LBB2265_32:
	s_or_b64 exec, exec, s[0:1]
	s_and_saveexec_b64 s[0:1], s[10:11]
	s_cbranch_execnz .LBB2265_43
.LBB2265_33:
	s_or_b64 exec, exec, s[0:1]
	s_and_saveexec_b64 s[0:1], s[12:13]
	s_cbranch_execnz .LBB2265_44
.LBB2265_34:
	s_or_b64 exec, exec, s[0:1]
	s_and_saveexec_b64 s[0:1], s[14:15]
	s_cbranch_execnz .LBB2265_45
.LBB2265_35:
	s_or_b64 exec, exec, s[0:1]
	s_and_saveexec_b64 s[0:1], s[16:17]
	s_cbranch_execnz .LBB2265_46
.LBB2265_36:
	s_endpgm
.LBB2265_37:
	ds_read_b32 v11, v22
	s_waitcnt lgkmcnt(0)
	global_store_dword v[2:3], v11, off
	s_or_b64 exec, exec, s[4:5]
	s_and_saveexec_b64 s[4:5], s[0:1]
	s_cbranch_execz .LBB2265_28
.LBB2265_38:
	s_waitcnt lgkmcnt(4)
	global_store_dword v[2:3], v8, off offset:512
	s_or_b64 exec, exec, s[4:5]
	s_and_saveexec_b64 s[0:1], s[2:3]
	s_cbranch_execz .LBB2265_29
.LBB2265_39:
	s_waitcnt lgkmcnt(4)
	global_store_dword v[2:3], v9, off offset:1024
	s_or_b64 exec, exec, s[0:1]
	s_and_saveexec_b64 s[0:1], s[18:19]
	s_cbranch_execz .LBB2265_30
.LBB2265_40:
	s_waitcnt lgkmcnt(3)
	global_store_dword v[2:3], v6, off offset:1536
	s_or_b64 exec, exec, s[0:1]
	s_and_saveexec_b64 s[0:1], s[6:7]
	s_cbranch_execz .LBB2265_31
.LBB2265_41:
	s_waitcnt lgkmcnt(3)
	global_store_dword v[2:3], v7, off offset:2048
	s_or_b64 exec, exec, s[0:1]
	s_and_saveexec_b64 s[0:1], s[8:9]
	s_cbranch_execz .LBB2265_32
.LBB2265_42:
	s_waitcnt lgkmcnt(2)
	global_store_dword v[2:3], v4, off offset:2560
	s_or_b64 exec, exec, s[0:1]
	s_and_saveexec_b64 s[0:1], s[10:11]
	s_cbranch_execz .LBB2265_33
.LBB2265_43:
	s_waitcnt lgkmcnt(2)
	global_store_dword v[2:3], v5, off offset:3072
	s_or_b64 exec, exec, s[0:1]
	s_and_saveexec_b64 s[0:1], s[12:13]
	s_cbranch_execz .LBB2265_34
.LBB2265_44:
	s_waitcnt lgkmcnt(1)
	global_store_dword v[2:3], v0, off offset:3584
	s_or_b64 exec, exec, s[0:1]
	s_and_saveexec_b64 s[0:1], s[14:15]
	s_cbranch_execz .LBB2265_35
.LBB2265_45:
	s_waitcnt lgkmcnt(2)
	v_add_co_u32_e32 v4, vcc, 0x1000, v2
	v_addc_co_u32_e32 v5, vcc, 0, v3, vcc
	s_waitcnt lgkmcnt(0)
	global_store_dword v[4:5], v10, off
	s_or_b64 exec, exec, s[0:1]
	s_and_saveexec_b64 s[0:1], s[16:17]
	s_cbranch_execz .LBB2265_36
.LBB2265_46:
	v_add_co_u32_e32 v2, vcc, 0x1000, v2
	v_addc_co_u32_e32 v3, vcc, 0, v3, vcc
	s_waitcnt lgkmcnt(1)
	global_store_dword v[2:3], v1, off offset:512
	s_endpgm
	.section	.rodata,"a",@progbits
	.p2align	6, 0x0
	.amdhsa_kernel _ZN7rocprim17ROCPRIM_400000_NS6detail17trampoline_kernelINS0_14default_configENS1_20scan_config_selectorIjEEZZNS1_9scan_implILNS1_25lookback_scan_determinismE0ELb0ELb0ES3_N6thrust23THRUST_200600_302600_NS6detail15normal_iteratorINS9_10device_ptrIjEEEESE_j11max_functorIjEjEEDaPvRmT3_T4_T5_mT6_P12ihipStream_tbENKUlT_T0_E_clISt17integral_constantIbLb0EESU_EEDaSP_SQ_EUlSP_E0_NS1_11comp_targetILNS1_3genE4ELNS1_11target_archE910ELNS1_3gpuE8ELNS1_3repE0EEENS1_30default_config_static_selectorELNS0_4arch9wavefront6targetE1EEEvT1_
		.amdhsa_group_segment_fixed_size 5120
		.amdhsa_private_segment_fixed_size 0
		.amdhsa_kernarg_size 32
		.amdhsa_user_sgpr_count 6
		.amdhsa_user_sgpr_private_segment_buffer 1
		.amdhsa_user_sgpr_dispatch_ptr 0
		.amdhsa_user_sgpr_queue_ptr 0
		.amdhsa_user_sgpr_kernarg_segment_ptr 1
		.amdhsa_user_sgpr_dispatch_id 0
		.amdhsa_user_sgpr_flat_scratch_init 0
		.amdhsa_user_sgpr_kernarg_preload_length 0
		.amdhsa_user_sgpr_kernarg_preload_offset 0
		.amdhsa_user_sgpr_private_segment_size 0
		.amdhsa_uses_dynamic_stack 0
		.amdhsa_system_sgpr_private_segment_wavefront_offset 0
		.amdhsa_system_sgpr_workgroup_id_x 1
		.amdhsa_system_sgpr_workgroup_id_y 0
		.amdhsa_system_sgpr_workgroup_id_z 0
		.amdhsa_system_sgpr_workgroup_info 0
		.amdhsa_system_vgpr_workitem_id 0
		.amdhsa_next_free_vgpr 28
		.amdhsa_next_free_sgpr 24
		.amdhsa_accum_offset 28
		.amdhsa_reserve_vcc 1
		.amdhsa_reserve_flat_scratch 0
		.amdhsa_float_round_mode_32 0
		.amdhsa_float_round_mode_16_64 0
		.amdhsa_float_denorm_mode_32 3
		.amdhsa_float_denorm_mode_16_64 3
		.amdhsa_dx10_clamp 1
		.amdhsa_ieee_mode 1
		.amdhsa_fp16_overflow 0
		.amdhsa_tg_split 0
		.amdhsa_exception_fp_ieee_invalid_op 0
		.amdhsa_exception_fp_denorm_src 0
		.amdhsa_exception_fp_ieee_div_zero 0
		.amdhsa_exception_fp_ieee_overflow 0
		.amdhsa_exception_fp_ieee_underflow 0
		.amdhsa_exception_fp_ieee_inexact 0
		.amdhsa_exception_int_div_zero 0
	.end_amdhsa_kernel
	.section	.text._ZN7rocprim17ROCPRIM_400000_NS6detail17trampoline_kernelINS0_14default_configENS1_20scan_config_selectorIjEEZZNS1_9scan_implILNS1_25lookback_scan_determinismE0ELb0ELb0ES3_N6thrust23THRUST_200600_302600_NS6detail15normal_iteratorINS9_10device_ptrIjEEEESE_j11max_functorIjEjEEDaPvRmT3_T4_T5_mT6_P12ihipStream_tbENKUlT_T0_E_clISt17integral_constantIbLb0EESU_EEDaSP_SQ_EUlSP_E0_NS1_11comp_targetILNS1_3genE4ELNS1_11target_archE910ELNS1_3gpuE8ELNS1_3repE0EEENS1_30default_config_static_selectorELNS0_4arch9wavefront6targetE1EEEvT1_,"axG",@progbits,_ZN7rocprim17ROCPRIM_400000_NS6detail17trampoline_kernelINS0_14default_configENS1_20scan_config_selectorIjEEZZNS1_9scan_implILNS1_25lookback_scan_determinismE0ELb0ELb0ES3_N6thrust23THRUST_200600_302600_NS6detail15normal_iteratorINS9_10device_ptrIjEEEESE_j11max_functorIjEjEEDaPvRmT3_T4_T5_mT6_P12ihipStream_tbENKUlT_T0_E_clISt17integral_constantIbLb0EESU_EEDaSP_SQ_EUlSP_E0_NS1_11comp_targetILNS1_3genE4ELNS1_11target_archE910ELNS1_3gpuE8ELNS1_3repE0EEENS1_30default_config_static_selectorELNS0_4arch9wavefront6targetE1EEEvT1_,comdat
.Lfunc_end2265:
	.size	_ZN7rocprim17ROCPRIM_400000_NS6detail17trampoline_kernelINS0_14default_configENS1_20scan_config_selectorIjEEZZNS1_9scan_implILNS1_25lookback_scan_determinismE0ELb0ELb0ES3_N6thrust23THRUST_200600_302600_NS6detail15normal_iteratorINS9_10device_ptrIjEEEESE_j11max_functorIjEjEEDaPvRmT3_T4_T5_mT6_P12ihipStream_tbENKUlT_T0_E_clISt17integral_constantIbLb0EESU_EEDaSP_SQ_EUlSP_E0_NS1_11comp_targetILNS1_3genE4ELNS1_11target_archE910ELNS1_3gpuE8ELNS1_3repE0EEENS1_30default_config_static_selectorELNS0_4arch9wavefront6targetE1EEEvT1_, .Lfunc_end2265-_ZN7rocprim17ROCPRIM_400000_NS6detail17trampoline_kernelINS0_14default_configENS1_20scan_config_selectorIjEEZZNS1_9scan_implILNS1_25lookback_scan_determinismE0ELb0ELb0ES3_N6thrust23THRUST_200600_302600_NS6detail15normal_iteratorINS9_10device_ptrIjEEEESE_j11max_functorIjEjEEDaPvRmT3_T4_T5_mT6_P12ihipStream_tbENKUlT_T0_E_clISt17integral_constantIbLb0EESU_EEDaSP_SQ_EUlSP_E0_NS1_11comp_targetILNS1_3genE4ELNS1_11target_archE910ELNS1_3gpuE8ELNS1_3repE0EEENS1_30default_config_static_selectorELNS0_4arch9wavefront6targetE1EEEvT1_
                                        ; -- End function
	.section	.AMDGPU.csdata,"",@progbits
; Kernel info:
; codeLenInByte = 1564
; NumSgprs: 28
; NumVgprs: 28
; NumAgprs: 0
; TotalNumVgprs: 28
; ScratchSize: 0
; MemoryBound: 0
; FloatMode: 240
; IeeeMode: 1
; LDSByteSize: 5120 bytes/workgroup (compile time only)
; SGPRBlocks: 3
; VGPRBlocks: 3
; NumSGPRsForWavesPerEU: 28
; NumVGPRsForWavesPerEU: 28
; AccumOffset: 28
; Occupancy: 6
; WaveLimiterHint : 0
; COMPUTE_PGM_RSRC2:SCRATCH_EN: 0
; COMPUTE_PGM_RSRC2:USER_SGPR: 6
; COMPUTE_PGM_RSRC2:TRAP_HANDLER: 0
; COMPUTE_PGM_RSRC2:TGID_X_EN: 1
; COMPUTE_PGM_RSRC2:TGID_Y_EN: 0
; COMPUTE_PGM_RSRC2:TGID_Z_EN: 0
; COMPUTE_PGM_RSRC2:TIDIG_COMP_CNT: 0
; COMPUTE_PGM_RSRC3_GFX90A:ACCUM_OFFSET: 6
; COMPUTE_PGM_RSRC3_GFX90A:TG_SPLIT: 0
	.section	.text._ZN7rocprim17ROCPRIM_400000_NS6detail17trampoline_kernelINS0_14default_configENS1_20scan_config_selectorIjEEZZNS1_9scan_implILNS1_25lookback_scan_determinismE0ELb0ELb0ES3_N6thrust23THRUST_200600_302600_NS6detail15normal_iteratorINS9_10device_ptrIjEEEESE_j11max_functorIjEjEEDaPvRmT3_T4_T5_mT6_P12ihipStream_tbENKUlT_T0_E_clISt17integral_constantIbLb0EESU_EEDaSP_SQ_EUlSP_E0_NS1_11comp_targetILNS1_3genE3ELNS1_11target_archE908ELNS1_3gpuE7ELNS1_3repE0EEENS1_30default_config_static_selectorELNS0_4arch9wavefront6targetE1EEEvT1_,"axG",@progbits,_ZN7rocprim17ROCPRIM_400000_NS6detail17trampoline_kernelINS0_14default_configENS1_20scan_config_selectorIjEEZZNS1_9scan_implILNS1_25lookback_scan_determinismE0ELb0ELb0ES3_N6thrust23THRUST_200600_302600_NS6detail15normal_iteratorINS9_10device_ptrIjEEEESE_j11max_functorIjEjEEDaPvRmT3_T4_T5_mT6_P12ihipStream_tbENKUlT_T0_E_clISt17integral_constantIbLb0EESU_EEDaSP_SQ_EUlSP_E0_NS1_11comp_targetILNS1_3genE3ELNS1_11target_archE908ELNS1_3gpuE7ELNS1_3repE0EEENS1_30default_config_static_selectorELNS0_4arch9wavefront6targetE1EEEvT1_,comdat
	.protected	_ZN7rocprim17ROCPRIM_400000_NS6detail17trampoline_kernelINS0_14default_configENS1_20scan_config_selectorIjEEZZNS1_9scan_implILNS1_25lookback_scan_determinismE0ELb0ELb0ES3_N6thrust23THRUST_200600_302600_NS6detail15normal_iteratorINS9_10device_ptrIjEEEESE_j11max_functorIjEjEEDaPvRmT3_T4_T5_mT6_P12ihipStream_tbENKUlT_T0_E_clISt17integral_constantIbLb0EESU_EEDaSP_SQ_EUlSP_E0_NS1_11comp_targetILNS1_3genE3ELNS1_11target_archE908ELNS1_3gpuE7ELNS1_3repE0EEENS1_30default_config_static_selectorELNS0_4arch9wavefront6targetE1EEEvT1_ ; -- Begin function _ZN7rocprim17ROCPRIM_400000_NS6detail17trampoline_kernelINS0_14default_configENS1_20scan_config_selectorIjEEZZNS1_9scan_implILNS1_25lookback_scan_determinismE0ELb0ELb0ES3_N6thrust23THRUST_200600_302600_NS6detail15normal_iteratorINS9_10device_ptrIjEEEESE_j11max_functorIjEjEEDaPvRmT3_T4_T5_mT6_P12ihipStream_tbENKUlT_T0_E_clISt17integral_constantIbLb0EESU_EEDaSP_SQ_EUlSP_E0_NS1_11comp_targetILNS1_3genE3ELNS1_11target_archE908ELNS1_3gpuE7ELNS1_3repE0EEENS1_30default_config_static_selectorELNS0_4arch9wavefront6targetE1EEEvT1_
	.globl	_ZN7rocprim17ROCPRIM_400000_NS6detail17trampoline_kernelINS0_14default_configENS1_20scan_config_selectorIjEEZZNS1_9scan_implILNS1_25lookback_scan_determinismE0ELb0ELb0ES3_N6thrust23THRUST_200600_302600_NS6detail15normal_iteratorINS9_10device_ptrIjEEEESE_j11max_functorIjEjEEDaPvRmT3_T4_T5_mT6_P12ihipStream_tbENKUlT_T0_E_clISt17integral_constantIbLb0EESU_EEDaSP_SQ_EUlSP_E0_NS1_11comp_targetILNS1_3genE3ELNS1_11target_archE908ELNS1_3gpuE7ELNS1_3repE0EEENS1_30default_config_static_selectorELNS0_4arch9wavefront6targetE1EEEvT1_
	.p2align	8
	.type	_ZN7rocprim17ROCPRIM_400000_NS6detail17trampoline_kernelINS0_14default_configENS1_20scan_config_selectorIjEEZZNS1_9scan_implILNS1_25lookback_scan_determinismE0ELb0ELb0ES3_N6thrust23THRUST_200600_302600_NS6detail15normal_iteratorINS9_10device_ptrIjEEEESE_j11max_functorIjEjEEDaPvRmT3_T4_T5_mT6_P12ihipStream_tbENKUlT_T0_E_clISt17integral_constantIbLb0EESU_EEDaSP_SQ_EUlSP_E0_NS1_11comp_targetILNS1_3genE3ELNS1_11target_archE908ELNS1_3gpuE7ELNS1_3repE0EEENS1_30default_config_static_selectorELNS0_4arch9wavefront6targetE1EEEvT1_,@function
_ZN7rocprim17ROCPRIM_400000_NS6detail17trampoline_kernelINS0_14default_configENS1_20scan_config_selectorIjEEZZNS1_9scan_implILNS1_25lookback_scan_determinismE0ELb0ELb0ES3_N6thrust23THRUST_200600_302600_NS6detail15normal_iteratorINS9_10device_ptrIjEEEESE_j11max_functorIjEjEEDaPvRmT3_T4_T5_mT6_P12ihipStream_tbENKUlT_T0_E_clISt17integral_constantIbLb0EESU_EEDaSP_SQ_EUlSP_E0_NS1_11comp_targetILNS1_3genE3ELNS1_11target_archE908ELNS1_3gpuE7ELNS1_3repE0EEENS1_30default_config_static_selectorELNS0_4arch9wavefront6targetE1EEEvT1_: ; @_ZN7rocprim17ROCPRIM_400000_NS6detail17trampoline_kernelINS0_14default_configENS1_20scan_config_selectorIjEEZZNS1_9scan_implILNS1_25lookback_scan_determinismE0ELb0ELb0ES3_N6thrust23THRUST_200600_302600_NS6detail15normal_iteratorINS9_10device_ptrIjEEEESE_j11max_functorIjEjEEDaPvRmT3_T4_T5_mT6_P12ihipStream_tbENKUlT_T0_E_clISt17integral_constantIbLb0EESU_EEDaSP_SQ_EUlSP_E0_NS1_11comp_targetILNS1_3genE3ELNS1_11target_archE908ELNS1_3gpuE7ELNS1_3repE0EEENS1_30default_config_static_selectorELNS0_4arch9wavefront6targetE1EEEvT1_
; %bb.0:
	.section	.rodata,"a",@progbits
	.p2align	6, 0x0
	.amdhsa_kernel _ZN7rocprim17ROCPRIM_400000_NS6detail17trampoline_kernelINS0_14default_configENS1_20scan_config_selectorIjEEZZNS1_9scan_implILNS1_25lookback_scan_determinismE0ELb0ELb0ES3_N6thrust23THRUST_200600_302600_NS6detail15normal_iteratorINS9_10device_ptrIjEEEESE_j11max_functorIjEjEEDaPvRmT3_T4_T5_mT6_P12ihipStream_tbENKUlT_T0_E_clISt17integral_constantIbLb0EESU_EEDaSP_SQ_EUlSP_E0_NS1_11comp_targetILNS1_3genE3ELNS1_11target_archE908ELNS1_3gpuE7ELNS1_3repE0EEENS1_30default_config_static_selectorELNS0_4arch9wavefront6targetE1EEEvT1_
		.amdhsa_group_segment_fixed_size 0
		.amdhsa_private_segment_fixed_size 0
		.amdhsa_kernarg_size 32
		.amdhsa_user_sgpr_count 6
		.amdhsa_user_sgpr_private_segment_buffer 1
		.amdhsa_user_sgpr_dispatch_ptr 0
		.amdhsa_user_sgpr_queue_ptr 0
		.amdhsa_user_sgpr_kernarg_segment_ptr 1
		.amdhsa_user_sgpr_dispatch_id 0
		.amdhsa_user_sgpr_flat_scratch_init 0
		.amdhsa_user_sgpr_kernarg_preload_length 0
		.amdhsa_user_sgpr_kernarg_preload_offset 0
		.amdhsa_user_sgpr_private_segment_size 0
		.amdhsa_uses_dynamic_stack 0
		.amdhsa_system_sgpr_private_segment_wavefront_offset 0
		.amdhsa_system_sgpr_workgroup_id_x 1
		.amdhsa_system_sgpr_workgroup_id_y 0
		.amdhsa_system_sgpr_workgroup_id_z 0
		.amdhsa_system_sgpr_workgroup_info 0
		.amdhsa_system_vgpr_workitem_id 0
		.amdhsa_next_free_vgpr 1
		.amdhsa_next_free_sgpr 0
		.amdhsa_accum_offset 4
		.amdhsa_reserve_vcc 0
		.amdhsa_reserve_flat_scratch 0
		.amdhsa_float_round_mode_32 0
		.amdhsa_float_round_mode_16_64 0
		.amdhsa_float_denorm_mode_32 3
		.amdhsa_float_denorm_mode_16_64 3
		.amdhsa_dx10_clamp 1
		.amdhsa_ieee_mode 1
		.amdhsa_fp16_overflow 0
		.amdhsa_tg_split 0
		.amdhsa_exception_fp_ieee_invalid_op 0
		.amdhsa_exception_fp_denorm_src 0
		.amdhsa_exception_fp_ieee_div_zero 0
		.amdhsa_exception_fp_ieee_overflow 0
		.amdhsa_exception_fp_ieee_underflow 0
		.amdhsa_exception_fp_ieee_inexact 0
		.amdhsa_exception_int_div_zero 0
	.end_amdhsa_kernel
	.section	.text._ZN7rocprim17ROCPRIM_400000_NS6detail17trampoline_kernelINS0_14default_configENS1_20scan_config_selectorIjEEZZNS1_9scan_implILNS1_25lookback_scan_determinismE0ELb0ELb0ES3_N6thrust23THRUST_200600_302600_NS6detail15normal_iteratorINS9_10device_ptrIjEEEESE_j11max_functorIjEjEEDaPvRmT3_T4_T5_mT6_P12ihipStream_tbENKUlT_T0_E_clISt17integral_constantIbLb0EESU_EEDaSP_SQ_EUlSP_E0_NS1_11comp_targetILNS1_3genE3ELNS1_11target_archE908ELNS1_3gpuE7ELNS1_3repE0EEENS1_30default_config_static_selectorELNS0_4arch9wavefront6targetE1EEEvT1_,"axG",@progbits,_ZN7rocprim17ROCPRIM_400000_NS6detail17trampoline_kernelINS0_14default_configENS1_20scan_config_selectorIjEEZZNS1_9scan_implILNS1_25lookback_scan_determinismE0ELb0ELb0ES3_N6thrust23THRUST_200600_302600_NS6detail15normal_iteratorINS9_10device_ptrIjEEEESE_j11max_functorIjEjEEDaPvRmT3_T4_T5_mT6_P12ihipStream_tbENKUlT_T0_E_clISt17integral_constantIbLb0EESU_EEDaSP_SQ_EUlSP_E0_NS1_11comp_targetILNS1_3genE3ELNS1_11target_archE908ELNS1_3gpuE7ELNS1_3repE0EEENS1_30default_config_static_selectorELNS0_4arch9wavefront6targetE1EEEvT1_,comdat
.Lfunc_end2266:
	.size	_ZN7rocprim17ROCPRIM_400000_NS6detail17trampoline_kernelINS0_14default_configENS1_20scan_config_selectorIjEEZZNS1_9scan_implILNS1_25lookback_scan_determinismE0ELb0ELb0ES3_N6thrust23THRUST_200600_302600_NS6detail15normal_iteratorINS9_10device_ptrIjEEEESE_j11max_functorIjEjEEDaPvRmT3_T4_T5_mT6_P12ihipStream_tbENKUlT_T0_E_clISt17integral_constantIbLb0EESU_EEDaSP_SQ_EUlSP_E0_NS1_11comp_targetILNS1_3genE3ELNS1_11target_archE908ELNS1_3gpuE7ELNS1_3repE0EEENS1_30default_config_static_selectorELNS0_4arch9wavefront6targetE1EEEvT1_, .Lfunc_end2266-_ZN7rocprim17ROCPRIM_400000_NS6detail17trampoline_kernelINS0_14default_configENS1_20scan_config_selectorIjEEZZNS1_9scan_implILNS1_25lookback_scan_determinismE0ELb0ELb0ES3_N6thrust23THRUST_200600_302600_NS6detail15normal_iteratorINS9_10device_ptrIjEEEESE_j11max_functorIjEjEEDaPvRmT3_T4_T5_mT6_P12ihipStream_tbENKUlT_T0_E_clISt17integral_constantIbLb0EESU_EEDaSP_SQ_EUlSP_E0_NS1_11comp_targetILNS1_3genE3ELNS1_11target_archE908ELNS1_3gpuE7ELNS1_3repE0EEENS1_30default_config_static_selectorELNS0_4arch9wavefront6targetE1EEEvT1_
                                        ; -- End function
	.section	.AMDGPU.csdata,"",@progbits
; Kernel info:
; codeLenInByte = 0
; NumSgprs: 4
; NumVgprs: 0
; NumAgprs: 0
; TotalNumVgprs: 0
; ScratchSize: 0
; MemoryBound: 0
; FloatMode: 240
; IeeeMode: 1
; LDSByteSize: 0 bytes/workgroup (compile time only)
; SGPRBlocks: 0
; VGPRBlocks: 0
; NumSGPRsForWavesPerEU: 4
; NumVGPRsForWavesPerEU: 1
; AccumOffset: 4
; Occupancy: 8
; WaveLimiterHint : 0
; COMPUTE_PGM_RSRC2:SCRATCH_EN: 0
; COMPUTE_PGM_RSRC2:USER_SGPR: 6
; COMPUTE_PGM_RSRC2:TRAP_HANDLER: 0
; COMPUTE_PGM_RSRC2:TGID_X_EN: 1
; COMPUTE_PGM_RSRC2:TGID_Y_EN: 0
; COMPUTE_PGM_RSRC2:TGID_Z_EN: 0
; COMPUTE_PGM_RSRC2:TIDIG_COMP_CNT: 0
; COMPUTE_PGM_RSRC3_GFX90A:ACCUM_OFFSET: 0
; COMPUTE_PGM_RSRC3_GFX90A:TG_SPLIT: 0
	.section	.text._ZN7rocprim17ROCPRIM_400000_NS6detail17trampoline_kernelINS0_14default_configENS1_20scan_config_selectorIjEEZZNS1_9scan_implILNS1_25lookback_scan_determinismE0ELb0ELb0ES3_N6thrust23THRUST_200600_302600_NS6detail15normal_iteratorINS9_10device_ptrIjEEEESE_j11max_functorIjEjEEDaPvRmT3_T4_T5_mT6_P12ihipStream_tbENKUlT_T0_E_clISt17integral_constantIbLb0EESU_EEDaSP_SQ_EUlSP_E0_NS1_11comp_targetILNS1_3genE2ELNS1_11target_archE906ELNS1_3gpuE6ELNS1_3repE0EEENS1_30default_config_static_selectorELNS0_4arch9wavefront6targetE1EEEvT1_,"axG",@progbits,_ZN7rocprim17ROCPRIM_400000_NS6detail17trampoline_kernelINS0_14default_configENS1_20scan_config_selectorIjEEZZNS1_9scan_implILNS1_25lookback_scan_determinismE0ELb0ELb0ES3_N6thrust23THRUST_200600_302600_NS6detail15normal_iteratorINS9_10device_ptrIjEEEESE_j11max_functorIjEjEEDaPvRmT3_T4_T5_mT6_P12ihipStream_tbENKUlT_T0_E_clISt17integral_constantIbLb0EESU_EEDaSP_SQ_EUlSP_E0_NS1_11comp_targetILNS1_3genE2ELNS1_11target_archE906ELNS1_3gpuE6ELNS1_3repE0EEENS1_30default_config_static_selectorELNS0_4arch9wavefront6targetE1EEEvT1_,comdat
	.protected	_ZN7rocprim17ROCPRIM_400000_NS6detail17trampoline_kernelINS0_14default_configENS1_20scan_config_selectorIjEEZZNS1_9scan_implILNS1_25lookback_scan_determinismE0ELb0ELb0ES3_N6thrust23THRUST_200600_302600_NS6detail15normal_iteratorINS9_10device_ptrIjEEEESE_j11max_functorIjEjEEDaPvRmT3_T4_T5_mT6_P12ihipStream_tbENKUlT_T0_E_clISt17integral_constantIbLb0EESU_EEDaSP_SQ_EUlSP_E0_NS1_11comp_targetILNS1_3genE2ELNS1_11target_archE906ELNS1_3gpuE6ELNS1_3repE0EEENS1_30default_config_static_selectorELNS0_4arch9wavefront6targetE1EEEvT1_ ; -- Begin function _ZN7rocprim17ROCPRIM_400000_NS6detail17trampoline_kernelINS0_14default_configENS1_20scan_config_selectorIjEEZZNS1_9scan_implILNS1_25lookback_scan_determinismE0ELb0ELb0ES3_N6thrust23THRUST_200600_302600_NS6detail15normal_iteratorINS9_10device_ptrIjEEEESE_j11max_functorIjEjEEDaPvRmT3_T4_T5_mT6_P12ihipStream_tbENKUlT_T0_E_clISt17integral_constantIbLb0EESU_EEDaSP_SQ_EUlSP_E0_NS1_11comp_targetILNS1_3genE2ELNS1_11target_archE906ELNS1_3gpuE6ELNS1_3repE0EEENS1_30default_config_static_selectorELNS0_4arch9wavefront6targetE1EEEvT1_
	.globl	_ZN7rocprim17ROCPRIM_400000_NS6detail17trampoline_kernelINS0_14default_configENS1_20scan_config_selectorIjEEZZNS1_9scan_implILNS1_25lookback_scan_determinismE0ELb0ELb0ES3_N6thrust23THRUST_200600_302600_NS6detail15normal_iteratorINS9_10device_ptrIjEEEESE_j11max_functorIjEjEEDaPvRmT3_T4_T5_mT6_P12ihipStream_tbENKUlT_T0_E_clISt17integral_constantIbLb0EESU_EEDaSP_SQ_EUlSP_E0_NS1_11comp_targetILNS1_3genE2ELNS1_11target_archE906ELNS1_3gpuE6ELNS1_3repE0EEENS1_30default_config_static_selectorELNS0_4arch9wavefront6targetE1EEEvT1_
	.p2align	8
	.type	_ZN7rocprim17ROCPRIM_400000_NS6detail17trampoline_kernelINS0_14default_configENS1_20scan_config_selectorIjEEZZNS1_9scan_implILNS1_25lookback_scan_determinismE0ELb0ELb0ES3_N6thrust23THRUST_200600_302600_NS6detail15normal_iteratorINS9_10device_ptrIjEEEESE_j11max_functorIjEjEEDaPvRmT3_T4_T5_mT6_P12ihipStream_tbENKUlT_T0_E_clISt17integral_constantIbLb0EESU_EEDaSP_SQ_EUlSP_E0_NS1_11comp_targetILNS1_3genE2ELNS1_11target_archE906ELNS1_3gpuE6ELNS1_3repE0EEENS1_30default_config_static_selectorELNS0_4arch9wavefront6targetE1EEEvT1_,@function
_ZN7rocprim17ROCPRIM_400000_NS6detail17trampoline_kernelINS0_14default_configENS1_20scan_config_selectorIjEEZZNS1_9scan_implILNS1_25lookback_scan_determinismE0ELb0ELb0ES3_N6thrust23THRUST_200600_302600_NS6detail15normal_iteratorINS9_10device_ptrIjEEEESE_j11max_functorIjEjEEDaPvRmT3_T4_T5_mT6_P12ihipStream_tbENKUlT_T0_E_clISt17integral_constantIbLb0EESU_EEDaSP_SQ_EUlSP_E0_NS1_11comp_targetILNS1_3genE2ELNS1_11target_archE906ELNS1_3gpuE6ELNS1_3repE0EEENS1_30default_config_static_selectorELNS0_4arch9wavefront6targetE1EEEvT1_: ; @_ZN7rocprim17ROCPRIM_400000_NS6detail17trampoline_kernelINS0_14default_configENS1_20scan_config_selectorIjEEZZNS1_9scan_implILNS1_25lookback_scan_determinismE0ELb0ELb0ES3_N6thrust23THRUST_200600_302600_NS6detail15normal_iteratorINS9_10device_ptrIjEEEESE_j11max_functorIjEjEEDaPvRmT3_T4_T5_mT6_P12ihipStream_tbENKUlT_T0_E_clISt17integral_constantIbLb0EESU_EEDaSP_SQ_EUlSP_E0_NS1_11comp_targetILNS1_3genE2ELNS1_11target_archE906ELNS1_3gpuE6ELNS1_3repE0EEENS1_30default_config_static_selectorELNS0_4arch9wavefront6targetE1EEEvT1_
; %bb.0:
	.section	.rodata,"a",@progbits
	.p2align	6, 0x0
	.amdhsa_kernel _ZN7rocprim17ROCPRIM_400000_NS6detail17trampoline_kernelINS0_14default_configENS1_20scan_config_selectorIjEEZZNS1_9scan_implILNS1_25lookback_scan_determinismE0ELb0ELb0ES3_N6thrust23THRUST_200600_302600_NS6detail15normal_iteratorINS9_10device_ptrIjEEEESE_j11max_functorIjEjEEDaPvRmT3_T4_T5_mT6_P12ihipStream_tbENKUlT_T0_E_clISt17integral_constantIbLb0EESU_EEDaSP_SQ_EUlSP_E0_NS1_11comp_targetILNS1_3genE2ELNS1_11target_archE906ELNS1_3gpuE6ELNS1_3repE0EEENS1_30default_config_static_selectorELNS0_4arch9wavefront6targetE1EEEvT1_
		.amdhsa_group_segment_fixed_size 0
		.amdhsa_private_segment_fixed_size 0
		.amdhsa_kernarg_size 32
		.amdhsa_user_sgpr_count 6
		.amdhsa_user_sgpr_private_segment_buffer 1
		.amdhsa_user_sgpr_dispatch_ptr 0
		.amdhsa_user_sgpr_queue_ptr 0
		.amdhsa_user_sgpr_kernarg_segment_ptr 1
		.amdhsa_user_sgpr_dispatch_id 0
		.amdhsa_user_sgpr_flat_scratch_init 0
		.amdhsa_user_sgpr_kernarg_preload_length 0
		.amdhsa_user_sgpr_kernarg_preload_offset 0
		.amdhsa_user_sgpr_private_segment_size 0
		.amdhsa_uses_dynamic_stack 0
		.amdhsa_system_sgpr_private_segment_wavefront_offset 0
		.amdhsa_system_sgpr_workgroup_id_x 1
		.amdhsa_system_sgpr_workgroup_id_y 0
		.amdhsa_system_sgpr_workgroup_id_z 0
		.amdhsa_system_sgpr_workgroup_info 0
		.amdhsa_system_vgpr_workitem_id 0
		.amdhsa_next_free_vgpr 1
		.amdhsa_next_free_sgpr 0
		.amdhsa_accum_offset 4
		.amdhsa_reserve_vcc 0
		.amdhsa_reserve_flat_scratch 0
		.amdhsa_float_round_mode_32 0
		.amdhsa_float_round_mode_16_64 0
		.amdhsa_float_denorm_mode_32 3
		.amdhsa_float_denorm_mode_16_64 3
		.amdhsa_dx10_clamp 1
		.amdhsa_ieee_mode 1
		.amdhsa_fp16_overflow 0
		.amdhsa_tg_split 0
		.amdhsa_exception_fp_ieee_invalid_op 0
		.amdhsa_exception_fp_denorm_src 0
		.amdhsa_exception_fp_ieee_div_zero 0
		.amdhsa_exception_fp_ieee_overflow 0
		.amdhsa_exception_fp_ieee_underflow 0
		.amdhsa_exception_fp_ieee_inexact 0
		.amdhsa_exception_int_div_zero 0
	.end_amdhsa_kernel
	.section	.text._ZN7rocprim17ROCPRIM_400000_NS6detail17trampoline_kernelINS0_14default_configENS1_20scan_config_selectorIjEEZZNS1_9scan_implILNS1_25lookback_scan_determinismE0ELb0ELb0ES3_N6thrust23THRUST_200600_302600_NS6detail15normal_iteratorINS9_10device_ptrIjEEEESE_j11max_functorIjEjEEDaPvRmT3_T4_T5_mT6_P12ihipStream_tbENKUlT_T0_E_clISt17integral_constantIbLb0EESU_EEDaSP_SQ_EUlSP_E0_NS1_11comp_targetILNS1_3genE2ELNS1_11target_archE906ELNS1_3gpuE6ELNS1_3repE0EEENS1_30default_config_static_selectorELNS0_4arch9wavefront6targetE1EEEvT1_,"axG",@progbits,_ZN7rocprim17ROCPRIM_400000_NS6detail17trampoline_kernelINS0_14default_configENS1_20scan_config_selectorIjEEZZNS1_9scan_implILNS1_25lookback_scan_determinismE0ELb0ELb0ES3_N6thrust23THRUST_200600_302600_NS6detail15normal_iteratorINS9_10device_ptrIjEEEESE_j11max_functorIjEjEEDaPvRmT3_T4_T5_mT6_P12ihipStream_tbENKUlT_T0_E_clISt17integral_constantIbLb0EESU_EEDaSP_SQ_EUlSP_E0_NS1_11comp_targetILNS1_3genE2ELNS1_11target_archE906ELNS1_3gpuE6ELNS1_3repE0EEENS1_30default_config_static_selectorELNS0_4arch9wavefront6targetE1EEEvT1_,comdat
.Lfunc_end2267:
	.size	_ZN7rocprim17ROCPRIM_400000_NS6detail17trampoline_kernelINS0_14default_configENS1_20scan_config_selectorIjEEZZNS1_9scan_implILNS1_25lookback_scan_determinismE0ELb0ELb0ES3_N6thrust23THRUST_200600_302600_NS6detail15normal_iteratorINS9_10device_ptrIjEEEESE_j11max_functorIjEjEEDaPvRmT3_T4_T5_mT6_P12ihipStream_tbENKUlT_T0_E_clISt17integral_constantIbLb0EESU_EEDaSP_SQ_EUlSP_E0_NS1_11comp_targetILNS1_3genE2ELNS1_11target_archE906ELNS1_3gpuE6ELNS1_3repE0EEENS1_30default_config_static_selectorELNS0_4arch9wavefront6targetE1EEEvT1_, .Lfunc_end2267-_ZN7rocprim17ROCPRIM_400000_NS6detail17trampoline_kernelINS0_14default_configENS1_20scan_config_selectorIjEEZZNS1_9scan_implILNS1_25lookback_scan_determinismE0ELb0ELb0ES3_N6thrust23THRUST_200600_302600_NS6detail15normal_iteratorINS9_10device_ptrIjEEEESE_j11max_functorIjEjEEDaPvRmT3_T4_T5_mT6_P12ihipStream_tbENKUlT_T0_E_clISt17integral_constantIbLb0EESU_EEDaSP_SQ_EUlSP_E0_NS1_11comp_targetILNS1_3genE2ELNS1_11target_archE906ELNS1_3gpuE6ELNS1_3repE0EEENS1_30default_config_static_selectorELNS0_4arch9wavefront6targetE1EEEvT1_
                                        ; -- End function
	.section	.AMDGPU.csdata,"",@progbits
; Kernel info:
; codeLenInByte = 0
; NumSgprs: 4
; NumVgprs: 0
; NumAgprs: 0
; TotalNumVgprs: 0
; ScratchSize: 0
; MemoryBound: 0
; FloatMode: 240
; IeeeMode: 1
; LDSByteSize: 0 bytes/workgroup (compile time only)
; SGPRBlocks: 0
; VGPRBlocks: 0
; NumSGPRsForWavesPerEU: 4
; NumVGPRsForWavesPerEU: 1
; AccumOffset: 4
; Occupancy: 8
; WaveLimiterHint : 0
; COMPUTE_PGM_RSRC2:SCRATCH_EN: 0
; COMPUTE_PGM_RSRC2:USER_SGPR: 6
; COMPUTE_PGM_RSRC2:TRAP_HANDLER: 0
; COMPUTE_PGM_RSRC2:TGID_X_EN: 1
; COMPUTE_PGM_RSRC2:TGID_Y_EN: 0
; COMPUTE_PGM_RSRC2:TGID_Z_EN: 0
; COMPUTE_PGM_RSRC2:TIDIG_COMP_CNT: 0
; COMPUTE_PGM_RSRC3_GFX90A:ACCUM_OFFSET: 0
; COMPUTE_PGM_RSRC3_GFX90A:TG_SPLIT: 0
	.section	.text._ZN7rocprim17ROCPRIM_400000_NS6detail17trampoline_kernelINS0_14default_configENS1_20scan_config_selectorIjEEZZNS1_9scan_implILNS1_25lookback_scan_determinismE0ELb0ELb0ES3_N6thrust23THRUST_200600_302600_NS6detail15normal_iteratorINS9_10device_ptrIjEEEESE_j11max_functorIjEjEEDaPvRmT3_T4_T5_mT6_P12ihipStream_tbENKUlT_T0_E_clISt17integral_constantIbLb0EESU_EEDaSP_SQ_EUlSP_E0_NS1_11comp_targetILNS1_3genE10ELNS1_11target_archE1201ELNS1_3gpuE5ELNS1_3repE0EEENS1_30default_config_static_selectorELNS0_4arch9wavefront6targetE1EEEvT1_,"axG",@progbits,_ZN7rocprim17ROCPRIM_400000_NS6detail17trampoline_kernelINS0_14default_configENS1_20scan_config_selectorIjEEZZNS1_9scan_implILNS1_25lookback_scan_determinismE0ELb0ELb0ES3_N6thrust23THRUST_200600_302600_NS6detail15normal_iteratorINS9_10device_ptrIjEEEESE_j11max_functorIjEjEEDaPvRmT3_T4_T5_mT6_P12ihipStream_tbENKUlT_T0_E_clISt17integral_constantIbLb0EESU_EEDaSP_SQ_EUlSP_E0_NS1_11comp_targetILNS1_3genE10ELNS1_11target_archE1201ELNS1_3gpuE5ELNS1_3repE0EEENS1_30default_config_static_selectorELNS0_4arch9wavefront6targetE1EEEvT1_,comdat
	.protected	_ZN7rocprim17ROCPRIM_400000_NS6detail17trampoline_kernelINS0_14default_configENS1_20scan_config_selectorIjEEZZNS1_9scan_implILNS1_25lookback_scan_determinismE0ELb0ELb0ES3_N6thrust23THRUST_200600_302600_NS6detail15normal_iteratorINS9_10device_ptrIjEEEESE_j11max_functorIjEjEEDaPvRmT3_T4_T5_mT6_P12ihipStream_tbENKUlT_T0_E_clISt17integral_constantIbLb0EESU_EEDaSP_SQ_EUlSP_E0_NS1_11comp_targetILNS1_3genE10ELNS1_11target_archE1201ELNS1_3gpuE5ELNS1_3repE0EEENS1_30default_config_static_selectorELNS0_4arch9wavefront6targetE1EEEvT1_ ; -- Begin function _ZN7rocprim17ROCPRIM_400000_NS6detail17trampoline_kernelINS0_14default_configENS1_20scan_config_selectorIjEEZZNS1_9scan_implILNS1_25lookback_scan_determinismE0ELb0ELb0ES3_N6thrust23THRUST_200600_302600_NS6detail15normal_iteratorINS9_10device_ptrIjEEEESE_j11max_functorIjEjEEDaPvRmT3_T4_T5_mT6_P12ihipStream_tbENKUlT_T0_E_clISt17integral_constantIbLb0EESU_EEDaSP_SQ_EUlSP_E0_NS1_11comp_targetILNS1_3genE10ELNS1_11target_archE1201ELNS1_3gpuE5ELNS1_3repE0EEENS1_30default_config_static_selectorELNS0_4arch9wavefront6targetE1EEEvT1_
	.globl	_ZN7rocprim17ROCPRIM_400000_NS6detail17trampoline_kernelINS0_14default_configENS1_20scan_config_selectorIjEEZZNS1_9scan_implILNS1_25lookback_scan_determinismE0ELb0ELb0ES3_N6thrust23THRUST_200600_302600_NS6detail15normal_iteratorINS9_10device_ptrIjEEEESE_j11max_functorIjEjEEDaPvRmT3_T4_T5_mT6_P12ihipStream_tbENKUlT_T0_E_clISt17integral_constantIbLb0EESU_EEDaSP_SQ_EUlSP_E0_NS1_11comp_targetILNS1_3genE10ELNS1_11target_archE1201ELNS1_3gpuE5ELNS1_3repE0EEENS1_30default_config_static_selectorELNS0_4arch9wavefront6targetE1EEEvT1_
	.p2align	8
	.type	_ZN7rocprim17ROCPRIM_400000_NS6detail17trampoline_kernelINS0_14default_configENS1_20scan_config_selectorIjEEZZNS1_9scan_implILNS1_25lookback_scan_determinismE0ELb0ELb0ES3_N6thrust23THRUST_200600_302600_NS6detail15normal_iteratorINS9_10device_ptrIjEEEESE_j11max_functorIjEjEEDaPvRmT3_T4_T5_mT6_P12ihipStream_tbENKUlT_T0_E_clISt17integral_constantIbLb0EESU_EEDaSP_SQ_EUlSP_E0_NS1_11comp_targetILNS1_3genE10ELNS1_11target_archE1201ELNS1_3gpuE5ELNS1_3repE0EEENS1_30default_config_static_selectorELNS0_4arch9wavefront6targetE1EEEvT1_,@function
_ZN7rocprim17ROCPRIM_400000_NS6detail17trampoline_kernelINS0_14default_configENS1_20scan_config_selectorIjEEZZNS1_9scan_implILNS1_25lookback_scan_determinismE0ELb0ELb0ES3_N6thrust23THRUST_200600_302600_NS6detail15normal_iteratorINS9_10device_ptrIjEEEESE_j11max_functorIjEjEEDaPvRmT3_T4_T5_mT6_P12ihipStream_tbENKUlT_T0_E_clISt17integral_constantIbLb0EESU_EEDaSP_SQ_EUlSP_E0_NS1_11comp_targetILNS1_3genE10ELNS1_11target_archE1201ELNS1_3gpuE5ELNS1_3repE0EEENS1_30default_config_static_selectorELNS0_4arch9wavefront6targetE1EEEvT1_: ; @_ZN7rocprim17ROCPRIM_400000_NS6detail17trampoline_kernelINS0_14default_configENS1_20scan_config_selectorIjEEZZNS1_9scan_implILNS1_25lookback_scan_determinismE0ELb0ELb0ES3_N6thrust23THRUST_200600_302600_NS6detail15normal_iteratorINS9_10device_ptrIjEEEESE_j11max_functorIjEjEEDaPvRmT3_T4_T5_mT6_P12ihipStream_tbENKUlT_T0_E_clISt17integral_constantIbLb0EESU_EEDaSP_SQ_EUlSP_E0_NS1_11comp_targetILNS1_3genE10ELNS1_11target_archE1201ELNS1_3gpuE5ELNS1_3repE0EEENS1_30default_config_static_selectorELNS0_4arch9wavefront6targetE1EEEvT1_
; %bb.0:
	.section	.rodata,"a",@progbits
	.p2align	6, 0x0
	.amdhsa_kernel _ZN7rocprim17ROCPRIM_400000_NS6detail17trampoline_kernelINS0_14default_configENS1_20scan_config_selectorIjEEZZNS1_9scan_implILNS1_25lookback_scan_determinismE0ELb0ELb0ES3_N6thrust23THRUST_200600_302600_NS6detail15normal_iteratorINS9_10device_ptrIjEEEESE_j11max_functorIjEjEEDaPvRmT3_T4_T5_mT6_P12ihipStream_tbENKUlT_T0_E_clISt17integral_constantIbLb0EESU_EEDaSP_SQ_EUlSP_E0_NS1_11comp_targetILNS1_3genE10ELNS1_11target_archE1201ELNS1_3gpuE5ELNS1_3repE0EEENS1_30default_config_static_selectorELNS0_4arch9wavefront6targetE1EEEvT1_
		.amdhsa_group_segment_fixed_size 0
		.amdhsa_private_segment_fixed_size 0
		.amdhsa_kernarg_size 32
		.amdhsa_user_sgpr_count 6
		.amdhsa_user_sgpr_private_segment_buffer 1
		.amdhsa_user_sgpr_dispatch_ptr 0
		.amdhsa_user_sgpr_queue_ptr 0
		.amdhsa_user_sgpr_kernarg_segment_ptr 1
		.amdhsa_user_sgpr_dispatch_id 0
		.amdhsa_user_sgpr_flat_scratch_init 0
		.amdhsa_user_sgpr_kernarg_preload_length 0
		.amdhsa_user_sgpr_kernarg_preload_offset 0
		.amdhsa_user_sgpr_private_segment_size 0
		.amdhsa_uses_dynamic_stack 0
		.amdhsa_system_sgpr_private_segment_wavefront_offset 0
		.amdhsa_system_sgpr_workgroup_id_x 1
		.amdhsa_system_sgpr_workgroup_id_y 0
		.amdhsa_system_sgpr_workgroup_id_z 0
		.amdhsa_system_sgpr_workgroup_info 0
		.amdhsa_system_vgpr_workitem_id 0
		.amdhsa_next_free_vgpr 1
		.amdhsa_next_free_sgpr 0
		.amdhsa_accum_offset 4
		.amdhsa_reserve_vcc 0
		.amdhsa_reserve_flat_scratch 0
		.amdhsa_float_round_mode_32 0
		.amdhsa_float_round_mode_16_64 0
		.amdhsa_float_denorm_mode_32 3
		.amdhsa_float_denorm_mode_16_64 3
		.amdhsa_dx10_clamp 1
		.amdhsa_ieee_mode 1
		.amdhsa_fp16_overflow 0
		.amdhsa_tg_split 0
		.amdhsa_exception_fp_ieee_invalid_op 0
		.amdhsa_exception_fp_denorm_src 0
		.amdhsa_exception_fp_ieee_div_zero 0
		.amdhsa_exception_fp_ieee_overflow 0
		.amdhsa_exception_fp_ieee_underflow 0
		.amdhsa_exception_fp_ieee_inexact 0
		.amdhsa_exception_int_div_zero 0
	.end_amdhsa_kernel
	.section	.text._ZN7rocprim17ROCPRIM_400000_NS6detail17trampoline_kernelINS0_14default_configENS1_20scan_config_selectorIjEEZZNS1_9scan_implILNS1_25lookback_scan_determinismE0ELb0ELb0ES3_N6thrust23THRUST_200600_302600_NS6detail15normal_iteratorINS9_10device_ptrIjEEEESE_j11max_functorIjEjEEDaPvRmT3_T4_T5_mT6_P12ihipStream_tbENKUlT_T0_E_clISt17integral_constantIbLb0EESU_EEDaSP_SQ_EUlSP_E0_NS1_11comp_targetILNS1_3genE10ELNS1_11target_archE1201ELNS1_3gpuE5ELNS1_3repE0EEENS1_30default_config_static_selectorELNS0_4arch9wavefront6targetE1EEEvT1_,"axG",@progbits,_ZN7rocprim17ROCPRIM_400000_NS6detail17trampoline_kernelINS0_14default_configENS1_20scan_config_selectorIjEEZZNS1_9scan_implILNS1_25lookback_scan_determinismE0ELb0ELb0ES3_N6thrust23THRUST_200600_302600_NS6detail15normal_iteratorINS9_10device_ptrIjEEEESE_j11max_functorIjEjEEDaPvRmT3_T4_T5_mT6_P12ihipStream_tbENKUlT_T0_E_clISt17integral_constantIbLb0EESU_EEDaSP_SQ_EUlSP_E0_NS1_11comp_targetILNS1_3genE10ELNS1_11target_archE1201ELNS1_3gpuE5ELNS1_3repE0EEENS1_30default_config_static_selectorELNS0_4arch9wavefront6targetE1EEEvT1_,comdat
.Lfunc_end2268:
	.size	_ZN7rocprim17ROCPRIM_400000_NS6detail17trampoline_kernelINS0_14default_configENS1_20scan_config_selectorIjEEZZNS1_9scan_implILNS1_25lookback_scan_determinismE0ELb0ELb0ES3_N6thrust23THRUST_200600_302600_NS6detail15normal_iteratorINS9_10device_ptrIjEEEESE_j11max_functorIjEjEEDaPvRmT3_T4_T5_mT6_P12ihipStream_tbENKUlT_T0_E_clISt17integral_constantIbLb0EESU_EEDaSP_SQ_EUlSP_E0_NS1_11comp_targetILNS1_3genE10ELNS1_11target_archE1201ELNS1_3gpuE5ELNS1_3repE0EEENS1_30default_config_static_selectorELNS0_4arch9wavefront6targetE1EEEvT1_, .Lfunc_end2268-_ZN7rocprim17ROCPRIM_400000_NS6detail17trampoline_kernelINS0_14default_configENS1_20scan_config_selectorIjEEZZNS1_9scan_implILNS1_25lookback_scan_determinismE0ELb0ELb0ES3_N6thrust23THRUST_200600_302600_NS6detail15normal_iteratorINS9_10device_ptrIjEEEESE_j11max_functorIjEjEEDaPvRmT3_T4_T5_mT6_P12ihipStream_tbENKUlT_T0_E_clISt17integral_constantIbLb0EESU_EEDaSP_SQ_EUlSP_E0_NS1_11comp_targetILNS1_3genE10ELNS1_11target_archE1201ELNS1_3gpuE5ELNS1_3repE0EEENS1_30default_config_static_selectorELNS0_4arch9wavefront6targetE1EEEvT1_
                                        ; -- End function
	.section	.AMDGPU.csdata,"",@progbits
; Kernel info:
; codeLenInByte = 0
; NumSgprs: 4
; NumVgprs: 0
; NumAgprs: 0
; TotalNumVgprs: 0
; ScratchSize: 0
; MemoryBound: 0
; FloatMode: 240
; IeeeMode: 1
; LDSByteSize: 0 bytes/workgroup (compile time only)
; SGPRBlocks: 0
; VGPRBlocks: 0
; NumSGPRsForWavesPerEU: 4
; NumVGPRsForWavesPerEU: 1
; AccumOffset: 4
; Occupancy: 8
; WaveLimiterHint : 0
; COMPUTE_PGM_RSRC2:SCRATCH_EN: 0
; COMPUTE_PGM_RSRC2:USER_SGPR: 6
; COMPUTE_PGM_RSRC2:TRAP_HANDLER: 0
; COMPUTE_PGM_RSRC2:TGID_X_EN: 1
; COMPUTE_PGM_RSRC2:TGID_Y_EN: 0
; COMPUTE_PGM_RSRC2:TGID_Z_EN: 0
; COMPUTE_PGM_RSRC2:TIDIG_COMP_CNT: 0
; COMPUTE_PGM_RSRC3_GFX90A:ACCUM_OFFSET: 0
; COMPUTE_PGM_RSRC3_GFX90A:TG_SPLIT: 0
	.section	.text._ZN7rocprim17ROCPRIM_400000_NS6detail17trampoline_kernelINS0_14default_configENS1_20scan_config_selectorIjEEZZNS1_9scan_implILNS1_25lookback_scan_determinismE0ELb0ELb0ES3_N6thrust23THRUST_200600_302600_NS6detail15normal_iteratorINS9_10device_ptrIjEEEESE_j11max_functorIjEjEEDaPvRmT3_T4_T5_mT6_P12ihipStream_tbENKUlT_T0_E_clISt17integral_constantIbLb0EESU_EEDaSP_SQ_EUlSP_E0_NS1_11comp_targetILNS1_3genE10ELNS1_11target_archE1200ELNS1_3gpuE4ELNS1_3repE0EEENS1_30default_config_static_selectorELNS0_4arch9wavefront6targetE1EEEvT1_,"axG",@progbits,_ZN7rocprim17ROCPRIM_400000_NS6detail17trampoline_kernelINS0_14default_configENS1_20scan_config_selectorIjEEZZNS1_9scan_implILNS1_25lookback_scan_determinismE0ELb0ELb0ES3_N6thrust23THRUST_200600_302600_NS6detail15normal_iteratorINS9_10device_ptrIjEEEESE_j11max_functorIjEjEEDaPvRmT3_T4_T5_mT6_P12ihipStream_tbENKUlT_T0_E_clISt17integral_constantIbLb0EESU_EEDaSP_SQ_EUlSP_E0_NS1_11comp_targetILNS1_3genE10ELNS1_11target_archE1200ELNS1_3gpuE4ELNS1_3repE0EEENS1_30default_config_static_selectorELNS0_4arch9wavefront6targetE1EEEvT1_,comdat
	.protected	_ZN7rocprim17ROCPRIM_400000_NS6detail17trampoline_kernelINS0_14default_configENS1_20scan_config_selectorIjEEZZNS1_9scan_implILNS1_25lookback_scan_determinismE0ELb0ELb0ES3_N6thrust23THRUST_200600_302600_NS6detail15normal_iteratorINS9_10device_ptrIjEEEESE_j11max_functorIjEjEEDaPvRmT3_T4_T5_mT6_P12ihipStream_tbENKUlT_T0_E_clISt17integral_constantIbLb0EESU_EEDaSP_SQ_EUlSP_E0_NS1_11comp_targetILNS1_3genE10ELNS1_11target_archE1200ELNS1_3gpuE4ELNS1_3repE0EEENS1_30default_config_static_selectorELNS0_4arch9wavefront6targetE1EEEvT1_ ; -- Begin function _ZN7rocprim17ROCPRIM_400000_NS6detail17trampoline_kernelINS0_14default_configENS1_20scan_config_selectorIjEEZZNS1_9scan_implILNS1_25lookback_scan_determinismE0ELb0ELb0ES3_N6thrust23THRUST_200600_302600_NS6detail15normal_iteratorINS9_10device_ptrIjEEEESE_j11max_functorIjEjEEDaPvRmT3_T4_T5_mT6_P12ihipStream_tbENKUlT_T0_E_clISt17integral_constantIbLb0EESU_EEDaSP_SQ_EUlSP_E0_NS1_11comp_targetILNS1_3genE10ELNS1_11target_archE1200ELNS1_3gpuE4ELNS1_3repE0EEENS1_30default_config_static_selectorELNS0_4arch9wavefront6targetE1EEEvT1_
	.globl	_ZN7rocprim17ROCPRIM_400000_NS6detail17trampoline_kernelINS0_14default_configENS1_20scan_config_selectorIjEEZZNS1_9scan_implILNS1_25lookback_scan_determinismE0ELb0ELb0ES3_N6thrust23THRUST_200600_302600_NS6detail15normal_iteratorINS9_10device_ptrIjEEEESE_j11max_functorIjEjEEDaPvRmT3_T4_T5_mT6_P12ihipStream_tbENKUlT_T0_E_clISt17integral_constantIbLb0EESU_EEDaSP_SQ_EUlSP_E0_NS1_11comp_targetILNS1_3genE10ELNS1_11target_archE1200ELNS1_3gpuE4ELNS1_3repE0EEENS1_30default_config_static_selectorELNS0_4arch9wavefront6targetE1EEEvT1_
	.p2align	8
	.type	_ZN7rocprim17ROCPRIM_400000_NS6detail17trampoline_kernelINS0_14default_configENS1_20scan_config_selectorIjEEZZNS1_9scan_implILNS1_25lookback_scan_determinismE0ELb0ELb0ES3_N6thrust23THRUST_200600_302600_NS6detail15normal_iteratorINS9_10device_ptrIjEEEESE_j11max_functorIjEjEEDaPvRmT3_T4_T5_mT6_P12ihipStream_tbENKUlT_T0_E_clISt17integral_constantIbLb0EESU_EEDaSP_SQ_EUlSP_E0_NS1_11comp_targetILNS1_3genE10ELNS1_11target_archE1200ELNS1_3gpuE4ELNS1_3repE0EEENS1_30default_config_static_selectorELNS0_4arch9wavefront6targetE1EEEvT1_,@function
_ZN7rocprim17ROCPRIM_400000_NS6detail17trampoline_kernelINS0_14default_configENS1_20scan_config_selectorIjEEZZNS1_9scan_implILNS1_25lookback_scan_determinismE0ELb0ELb0ES3_N6thrust23THRUST_200600_302600_NS6detail15normal_iteratorINS9_10device_ptrIjEEEESE_j11max_functorIjEjEEDaPvRmT3_T4_T5_mT6_P12ihipStream_tbENKUlT_T0_E_clISt17integral_constantIbLb0EESU_EEDaSP_SQ_EUlSP_E0_NS1_11comp_targetILNS1_3genE10ELNS1_11target_archE1200ELNS1_3gpuE4ELNS1_3repE0EEENS1_30default_config_static_selectorELNS0_4arch9wavefront6targetE1EEEvT1_: ; @_ZN7rocprim17ROCPRIM_400000_NS6detail17trampoline_kernelINS0_14default_configENS1_20scan_config_selectorIjEEZZNS1_9scan_implILNS1_25lookback_scan_determinismE0ELb0ELb0ES3_N6thrust23THRUST_200600_302600_NS6detail15normal_iteratorINS9_10device_ptrIjEEEESE_j11max_functorIjEjEEDaPvRmT3_T4_T5_mT6_P12ihipStream_tbENKUlT_T0_E_clISt17integral_constantIbLb0EESU_EEDaSP_SQ_EUlSP_E0_NS1_11comp_targetILNS1_3genE10ELNS1_11target_archE1200ELNS1_3gpuE4ELNS1_3repE0EEENS1_30default_config_static_selectorELNS0_4arch9wavefront6targetE1EEEvT1_
; %bb.0:
	.section	.rodata,"a",@progbits
	.p2align	6, 0x0
	.amdhsa_kernel _ZN7rocprim17ROCPRIM_400000_NS6detail17trampoline_kernelINS0_14default_configENS1_20scan_config_selectorIjEEZZNS1_9scan_implILNS1_25lookback_scan_determinismE0ELb0ELb0ES3_N6thrust23THRUST_200600_302600_NS6detail15normal_iteratorINS9_10device_ptrIjEEEESE_j11max_functorIjEjEEDaPvRmT3_T4_T5_mT6_P12ihipStream_tbENKUlT_T0_E_clISt17integral_constantIbLb0EESU_EEDaSP_SQ_EUlSP_E0_NS1_11comp_targetILNS1_3genE10ELNS1_11target_archE1200ELNS1_3gpuE4ELNS1_3repE0EEENS1_30default_config_static_selectorELNS0_4arch9wavefront6targetE1EEEvT1_
		.amdhsa_group_segment_fixed_size 0
		.amdhsa_private_segment_fixed_size 0
		.amdhsa_kernarg_size 32
		.amdhsa_user_sgpr_count 6
		.amdhsa_user_sgpr_private_segment_buffer 1
		.amdhsa_user_sgpr_dispatch_ptr 0
		.amdhsa_user_sgpr_queue_ptr 0
		.amdhsa_user_sgpr_kernarg_segment_ptr 1
		.amdhsa_user_sgpr_dispatch_id 0
		.amdhsa_user_sgpr_flat_scratch_init 0
		.amdhsa_user_sgpr_kernarg_preload_length 0
		.amdhsa_user_sgpr_kernarg_preload_offset 0
		.amdhsa_user_sgpr_private_segment_size 0
		.amdhsa_uses_dynamic_stack 0
		.amdhsa_system_sgpr_private_segment_wavefront_offset 0
		.amdhsa_system_sgpr_workgroup_id_x 1
		.amdhsa_system_sgpr_workgroup_id_y 0
		.amdhsa_system_sgpr_workgroup_id_z 0
		.amdhsa_system_sgpr_workgroup_info 0
		.amdhsa_system_vgpr_workitem_id 0
		.amdhsa_next_free_vgpr 1
		.amdhsa_next_free_sgpr 0
		.amdhsa_accum_offset 4
		.amdhsa_reserve_vcc 0
		.amdhsa_reserve_flat_scratch 0
		.amdhsa_float_round_mode_32 0
		.amdhsa_float_round_mode_16_64 0
		.amdhsa_float_denorm_mode_32 3
		.amdhsa_float_denorm_mode_16_64 3
		.amdhsa_dx10_clamp 1
		.amdhsa_ieee_mode 1
		.amdhsa_fp16_overflow 0
		.amdhsa_tg_split 0
		.amdhsa_exception_fp_ieee_invalid_op 0
		.amdhsa_exception_fp_denorm_src 0
		.amdhsa_exception_fp_ieee_div_zero 0
		.amdhsa_exception_fp_ieee_overflow 0
		.amdhsa_exception_fp_ieee_underflow 0
		.amdhsa_exception_fp_ieee_inexact 0
		.amdhsa_exception_int_div_zero 0
	.end_amdhsa_kernel
	.section	.text._ZN7rocprim17ROCPRIM_400000_NS6detail17trampoline_kernelINS0_14default_configENS1_20scan_config_selectorIjEEZZNS1_9scan_implILNS1_25lookback_scan_determinismE0ELb0ELb0ES3_N6thrust23THRUST_200600_302600_NS6detail15normal_iteratorINS9_10device_ptrIjEEEESE_j11max_functorIjEjEEDaPvRmT3_T4_T5_mT6_P12ihipStream_tbENKUlT_T0_E_clISt17integral_constantIbLb0EESU_EEDaSP_SQ_EUlSP_E0_NS1_11comp_targetILNS1_3genE10ELNS1_11target_archE1200ELNS1_3gpuE4ELNS1_3repE0EEENS1_30default_config_static_selectorELNS0_4arch9wavefront6targetE1EEEvT1_,"axG",@progbits,_ZN7rocprim17ROCPRIM_400000_NS6detail17trampoline_kernelINS0_14default_configENS1_20scan_config_selectorIjEEZZNS1_9scan_implILNS1_25lookback_scan_determinismE0ELb0ELb0ES3_N6thrust23THRUST_200600_302600_NS6detail15normal_iteratorINS9_10device_ptrIjEEEESE_j11max_functorIjEjEEDaPvRmT3_T4_T5_mT6_P12ihipStream_tbENKUlT_T0_E_clISt17integral_constantIbLb0EESU_EEDaSP_SQ_EUlSP_E0_NS1_11comp_targetILNS1_3genE10ELNS1_11target_archE1200ELNS1_3gpuE4ELNS1_3repE0EEENS1_30default_config_static_selectorELNS0_4arch9wavefront6targetE1EEEvT1_,comdat
.Lfunc_end2269:
	.size	_ZN7rocprim17ROCPRIM_400000_NS6detail17trampoline_kernelINS0_14default_configENS1_20scan_config_selectorIjEEZZNS1_9scan_implILNS1_25lookback_scan_determinismE0ELb0ELb0ES3_N6thrust23THRUST_200600_302600_NS6detail15normal_iteratorINS9_10device_ptrIjEEEESE_j11max_functorIjEjEEDaPvRmT3_T4_T5_mT6_P12ihipStream_tbENKUlT_T0_E_clISt17integral_constantIbLb0EESU_EEDaSP_SQ_EUlSP_E0_NS1_11comp_targetILNS1_3genE10ELNS1_11target_archE1200ELNS1_3gpuE4ELNS1_3repE0EEENS1_30default_config_static_selectorELNS0_4arch9wavefront6targetE1EEEvT1_, .Lfunc_end2269-_ZN7rocprim17ROCPRIM_400000_NS6detail17trampoline_kernelINS0_14default_configENS1_20scan_config_selectorIjEEZZNS1_9scan_implILNS1_25lookback_scan_determinismE0ELb0ELb0ES3_N6thrust23THRUST_200600_302600_NS6detail15normal_iteratorINS9_10device_ptrIjEEEESE_j11max_functorIjEjEEDaPvRmT3_T4_T5_mT6_P12ihipStream_tbENKUlT_T0_E_clISt17integral_constantIbLb0EESU_EEDaSP_SQ_EUlSP_E0_NS1_11comp_targetILNS1_3genE10ELNS1_11target_archE1200ELNS1_3gpuE4ELNS1_3repE0EEENS1_30default_config_static_selectorELNS0_4arch9wavefront6targetE1EEEvT1_
                                        ; -- End function
	.section	.AMDGPU.csdata,"",@progbits
; Kernel info:
; codeLenInByte = 0
; NumSgprs: 4
; NumVgprs: 0
; NumAgprs: 0
; TotalNumVgprs: 0
; ScratchSize: 0
; MemoryBound: 0
; FloatMode: 240
; IeeeMode: 1
; LDSByteSize: 0 bytes/workgroup (compile time only)
; SGPRBlocks: 0
; VGPRBlocks: 0
; NumSGPRsForWavesPerEU: 4
; NumVGPRsForWavesPerEU: 1
; AccumOffset: 4
; Occupancy: 8
; WaveLimiterHint : 0
; COMPUTE_PGM_RSRC2:SCRATCH_EN: 0
; COMPUTE_PGM_RSRC2:USER_SGPR: 6
; COMPUTE_PGM_RSRC2:TRAP_HANDLER: 0
; COMPUTE_PGM_RSRC2:TGID_X_EN: 1
; COMPUTE_PGM_RSRC2:TGID_Y_EN: 0
; COMPUTE_PGM_RSRC2:TGID_Z_EN: 0
; COMPUTE_PGM_RSRC2:TIDIG_COMP_CNT: 0
; COMPUTE_PGM_RSRC3_GFX90A:ACCUM_OFFSET: 0
; COMPUTE_PGM_RSRC3_GFX90A:TG_SPLIT: 0
	.section	.text._ZN7rocprim17ROCPRIM_400000_NS6detail17trampoline_kernelINS0_14default_configENS1_20scan_config_selectorIjEEZZNS1_9scan_implILNS1_25lookback_scan_determinismE0ELb0ELb0ES3_N6thrust23THRUST_200600_302600_NS6detail15normal_iteratorINS9_10device_ptrIjEEEESE_j11max_functorIjEjEEDaPvRmT3_T4_T5_mT6_P12ihipStream_tbENKUlT_T0_E_clISt17integral_constantIbLb0EESU_EEDaSP_SQ_EUlSP_E0_NS1_11comp_targetILNS1_3genE9ELNS1_11target_archE1100ELNS1_3gpuE3ELNS1_3repE0EEENS1_30default_config_static_selectorELNS0_4arch9wavefront6targetE1EEEvT1_,"axG",@progbits,_ZN7rocprim17ROCPRIM_400000_NS6detail17trampoline_kernelINS0_14default_configENS1_20scan_config_selectorIjEEZZNS1_9scan_implILNS1_25lookback_scan_determinismE0ELb0ELb0ES3_N6thrust23THRUST_200600_302600_NS6detail15normal_iteratorINS9_10device_ptrIjEEEESE_j11max_functorIjEjEEDaPvRmT3_T4_T5_mT6_P12ihipStream_tbENKUlT_T0_E_clISt17integral_constantIbLb0EESU_EEDaSP_SQ_EUlSP_E0_NS1_11comp_targetILNS1_3genE9ELNS1_11target_archE1100ELNS1_3gpuE3ELNS1_3repE0EEENS1_30default_config_static_selectorELNS0_4arch9wavefront6targetE1EEEvT1_,comdat
	.protected	_ZN7rocprim17ROCPRIM_400000_NS6detail17trampoline_kernelINS0_14default_configENS1_20scan_config_selectorIjEEZZNS1_9scan_implILNS1_25lookback_scan_determinismE0ELb0ELb0ES3_N6thrust23THRUST_200600_302600_NS6detail15normal_iteratorINS9_10device_ptrIjEEEESE_j11max_functorIjEjEEDaPvRmT3_T4_T5_mT6_P12ihipStream_tbENKUlT_T0_E_clISt17integral_constantIbLb0EESU_EEDaSP_SQ_EUlSP_E0_NS1_11comp_targetILNS1_3genE9ELNS1_11target_archE1100ELNS1_3gpuE3ELNS1_3repE0EEENS1_30default_config_static_selectorELNS0_4arch9wavefront6targetE1EEEvT1_ ; -- Begin function _ZN7rocprim17ROCPRIM_400000_NS6detail17trampoline_kernelINS0_14default_configENS1_20scan_config_selectorIjEEZZNS1_9scan_implILNS1_25lookback_scan_determinismE0ELb0ELb0ES3_N6thrust23THRUST_200600_302600_NS6detail15normal_iteratorINS9_10device_ptrIjEEEESE_j11max_functorIjEjEEDaPvRmT3_T4_T5_mT6_P12ihipStream_tbENKUlT_T0_E_clISt17integral_constantIbLb0EESU_EEDaSP_SQ_EUlSP_E0_NS1_11comp_targetILNS1_3genE9ELNS1_11target_archE1100ELNS1_3gpuE3ELNS1_3repE0EEENS1_30default_config_static_selectorELNS0_4arch9wavefront6targetE1EEEvT1_
	.globl	_ZN7rocprim17ROCPRIM_400000_NS6detail17trampoline_kernelINS0_14default_configENS1_20scan_config_selectorIjEEZZNS1_9scan_implILNS1_25lookback_scan_determinismE0ELb0ELb0ES3_N6thrust23THRUST_200600_302600_NS6detail15normal_iteratorINS9_10device_ptrIjEEEESE_j11max_functorIjEjEEDaPvRmT3_T4_T5_mT6_P12ihipStream_tbENKUlT_T0_E_clISt17integral_constantIbLb0EESU_EEDaSP_SQ_EUlSP_E0_NS1_11comp_targetILNS1_3genE9ELNS1_11target_archE1100ELNS1_3gpuE3ELNS1_3repE0EEENS1_30default_config_static_selectorELNS0_4arch9wavefront6targetE1EEEvT1_
	.p2align	8
	.type	_ZN7rocprim17ROCPRIM_400000_NS6detail17trampoline_kernelINS0_14default_configENS1_20scan_config_selectorIjEEZZNS1_9scan_implILNS1_25lookback_scan_determinismE0ELb0ELb0ES3_N6thrust23THRUST_200600_302600_NS6detail15normal_iteratorINS9_10device_ptrIjEEEESE_j11max_functorIjEjEEDaPvRmT3_T4_T5_mT6_P12ihipStream_tbENKUlT_T0_E_clISt17integral_constantIbLb0EESU_EEDaSP_SQ_EUlSP_E0_NS1_11comp_targetILNS1_3genE9ELNS1_11target_archE1100ELNS1_3gpuE3ELNS1_3repE0EEENS1_30default_config_static_selectorELNS0_4arch9wavefront6targetE1EEEvT1_,@function
_ZN7rocprim17ROCPRIM_400000_NS6detail17trampoline_kernelINS0_14default_configENS1_20scan_config_selectorIjEEZZNS1_9scan_implILNS1_25lookback_scan_determinismE0ELb0ELb0ES3_N6thrust23THRUST_200600_302600_NS6detail15normal_iteratorINS9_10device_ptrIjEEEESE_j11max_functorIjEjEEDaPvRmT3_T4_T5_mT6_P12ihipStream_tbENKUlT_T0_E_clISt17integral_constantIbLb0EESU_EEDaSP_SQ_EUlSP_E0_NS1_11comp_targetILNS1_3genE9ELNS1_11target_archE1100ELNS1_3gpuE3ELNS1_3repE0EEENS1_30default_config_static_selectorELNS0_4arch9wavefront6targetE1EEEvT1_: ; @_ZN7rocprim17ROCPRIM_400000_NS6detail17trampoline_kernelINS0_14default_configENS1_20scan_config_selectorIjEEZZNS1_9scan_implILNS1_25lookback_scan_determinismE0ELb0ELb0ES3_N6thrust23THRUST_200600_302600_NS6detail15normal_iteratorINS9_10device_ptrIjEEEESE_j11max_functorIjEjEEDaPvRmT3_T4_T5_mT6_P12ihipStream_tbENKUlT_T0_E_clISt17integral_constantIbLb0EESU_EEDaSP_SQ_EUlSP_E0_NS1_11comp_targetILNS1_3genE9ELNS1_11target_archE1100ELNS1_3gpuE3ELNS1_3repE0EEENS1_30default_config_static_selectorELNS0_4arch9wavefront6targetE1EEEvT1_
; %bb.0:
	.section	.rodata,"a",@progbits
	.p2align	6, 0x0
	.amdhsa_kernel _ZN7rocprim17ROCPRIM_400000_NS6detail17trampoline_kernelINS0_14default_configENS1_20scan_config_selectorIjEEZZNS1_9scan_implILNS1_25lookback_scan_determinismE0ELb0ELb0ES3_N6thrust23THRUST_200600_302600_NS6detail15normal_iteratorINS9_10device_ptrIjEEEESE_j11max_functorIjEjEEDaPvRmT3_T4_T5_mT6_P12ihipStream_tbENKUlT_T0_E_clISt17integral_constantIbLb0EESU_EEDaSP_SQ_EUlSP_E0_NS1_11comp_targetILNS1_3genE9ELNS1_11target_archE1100ELNS1_3gpuE3ELNS1_3repE0EEENS1_30default_config_static_selectorELNS0_4arch9wavefront6targetE1EEEvT1_
		.amdhsa_group_segment_fixed_size 0
		.amdhsa_private_segment_fixed_size 0
		.amdhsa_kernarg_size 32
		.amdhsa_user_sgpr_count 6
		.amdhsa_user_sgpr_private_segment_buffer 1
		.amdhsa_user_sgpr_dispatch_ptr 0
		.amdhsa_user_sgpr_queue_ptr 0
		.amdhsa_user_sgpr_kernarg_segment_ptr 1
		.amdhsa_user_sgpr_dispatch_id 0
		.amdhsa_user_sgpr_flat_scratch_init 0
		.amdhsa_user_sgpr_kernarg_preload_length 0
		.amdhsa_user_sgpr_kernarg_preload_offset 0
		.amdhsa_user_sgpr_private_segment_size 0
		.amdhsa_uses_dynamic_stack 0
		.amdhsa_system_sgpr_private_segment_wavefront_offset 0
		.amdhsa_system_sgpr_workgroup_id_x 1
		.amdhsa_system_sgpr_workgroup_id_y 0
		.amdhsa_system_sgpr_workgroup_id_z 0
		.amdhsa_system_sgpr_workgroup_info 0
		.amdhsa_system_vgpr_workitem_id 0
		.amdhsa_next_free_vgpr 1
		.amdhsa_next_free_sgpr 0
		.amdhsa_accum_offset 4
		.amdhsa_reserve_vcc 0
		.amdhsa_reserve_flat_scratch 0
		.amdhsa_float_round_mode_32 0
		.amdhsa_float_round_mode_16_64 0
		.amdhsa_float_denorm_mode_32 3
		.amdhsa_float_denorm_mode_16_64 3
		.amdhsa_dx10_clamp 1
		.amdhsa_ieee_mode 1
		.amdhsa_fp16_overflow 0
		.amdhsa_tg_split 0
		.amdhsa_exception_fp_ieee_invalid_op 0
		.amdhsa_exception_fp_denorm_src 0
		.amdhsa_exception_fp_ieee_div_zero 0
		.amdhsa_exception_fp_ieee_overflow 0
		.amdhsa_exception_fp_ieee_underflow 0
		.amdhsa_exception_fp_ieee_inexact 0
		.amdhsa_exception_int_div_zero 0
	.end_amdhsa_kernel
	.section	.text._ZN7rocprim17ROCPRIM_400000_NS6detail17trampoline_kernelINS0_14default_configENS1_20scan_config_selectorIjEEZZNS1_9scan_implILNS1_25lookback_scan_determinismE0ELb0ELb0ES3_N6thrust23THRUST_200600_302600_NS6detail15normal_iteratorINS9_10device_ptrIjEEEESE_j11max_functorIjEjEEDaPvRmT3_T4_T5_mT6_P12ihipStream_tbENKUlT_T0_E_clISt17integral_constantIbLb0EESU_EEDaSP_SQ_EUlSP_E0_NS1_11comp_targetILNS1_3genE9ELNS1_11target_archE1100ELNS1_3gpuE3ELNS1_3repE0EEENS1_30default_config_static_selectorELNS0_4arch9wavefront6targetE1EEEvT1_,"axG",@progbits,_ZN7rocprim17ROCPRIM_400000_NS6detail17trampoline_kernelINS0_14default_configENS1_20scan_config_selectorIjEEZZNS1_9scan_implILNS1_25lookback_scan_determinismE0ELb0ELb0ES3_N6thrust23THRUST_200600_302600_NS6detail15normal_iteratorINS9_10device_ptrIjEEEESE_j11max_functorIjEjEEDaPvRmT3_T4_T5_mT6_P12ihipStream_tbENKUlT_T0_E_clISt17integral_constantIbLb0EESU_EEDaSP_SQ_EUlSP_E0_NS1_11comp_targetILNS1_3genE9ELNS1_11target_archE1100ELNS1_3gpuE3ELNS1_3repE0EEENS1_30default_config_static_selectorELNS0_4arch9wavefront6targetE1EEEvT1_,comdat
.Lfunc_end2270:
	.size	_ZN7rocprim17ROCPRIM_400000_NS6detail17trampoline_kernelINS0_14default_configENS1_20scan_config_selectorIjEEZZNS1_9scan_implILNS1_25lookback_scan_determinismE0ELb0ELb0ES3_N6thrust23THRUST_200600_302600_NS6detail15normal_iteratorINS9_10device_ptrIjEEEESE_j11max_functorIjEjEEDaPvRmT3_T4_T5_mT6_P12ihipStream_tbENKUlT_T0_E_clISt17integral_constantIbLb0EESU_EEDaSP_SQ_EUlSP_E0_NS1_11comp_targetILNS1_3genE9ELNS1_11target_archE1100ELNS1_3gpuE3ELNS1_3repE0EEENS1_30default_config_static_selectorELNS0_4arch9wavefront6targetE1EEEvT1_, .Lfunc_end2270-_ZN7rocprim17ROCPRIM_400000_NS6detail17trampoline_kernelINS0_14default_configENS1_20scan_config_selectorIjEEZZNS1_9scan_implILNS1_25lookback_scan_determinismE0ELb0ELb0ES3_N6thrust23THRUST_200600_302600_NS6detail15normal_iteratorINS9_10device_ptrIjEEEESE_j11max_functorIjEjEEDaPvRmT3_T4_T5_mT6_P12ihipStream_tbENKUlT_T0_E_clISt17integral_constantIbLb0EESU_EEDaSP_SQ_EUlSP_E0_NS1_11comp_targetILNS1_3genE9ELNS1_11target_archE1100ELNS1_3gpuE3ELNS1_3repE0EEENS1_30default_config_static_selectorELNS0_4arch9wavefront6targetE1EEEvT1_
                                        ; -- End function
	.section	.AMDGPU.csdata,"",@progbits
; Kernel info:
; codeLenInByte = 0
; NumSgprs: 4
; NumVgprs: 0
; NumAgprs: 0
; TotalNumVgprs: 0
; ScratchSize: 0
; MemoryBound: 0
; FloatMode: 240
; IeeeMode: 1
; LDSByteSize: 0 bytes/workgroup (compile time only)
; SGPRBlocks: 0
; VGPRBlocks: 0
; NumSGPRsForWavesPerEU: 4
; NumVGPRsForWavesPerEU: 1
; AccumOffset: 4
; Occupancy: 8
; WaveLimiterHint : 0
; COMPUTE_PGM_RSRC2:SCRATCH_EN: 0
; COMPUTE_PGM_RSRC2:USER_SGPR: 6
; COMPUTE_PGM_RSRC2:TRAP_HANDLER: 0
; COMPUTE_PGM_RSRC2:TGID_X_EN: 1
; COMPUTE_PGM_RSRC2:TGID_Y_EN: 0
; COMPUTE_PGM_RSRC2:TGID_Z_EN: 0
; COMPUTE_PGM_RSRC2:TIDIG_COMP_CNT: 0
; COMPUTE_PGM_RSRC3_GFX90A:ACCUM_OFFSET: 0
; COMPUTE_PGM_RSRC3_GFX90A:TG_SPLIT: 0
	.section	.text._ZN7rocprim17ROCPRIM_400000_NS6detail17trampoline_kernelINS0_14default_configENS1_20scan_config_selectorIjEEZZNS1_9scan_implILNS1_25lookback_scan_determinismE0ELb0ELb0ES3_N6thrust23THRUST_200600_302600_NS6detail15normal_iteratorINS9_10device_ptrIjEEEESE_j11max_functorIjEjEEDaPvRmT3_T4_T5_mT6_P12ihipStream_tbENKUlT_T0_E_clISt17integral_constantIbLb0EESU_EEDaSP_SQ_EUlSP_E0_NS1_11comp_targetILNS1_3genE8ELNS1_11target_archE1030ELNS1_3gpuE2ELNS1_3repE0EEENS1_30default_config_static_selectorELNS0_4arch9wavefront6targetE1EEEvT1_,"axG",@progbits,_ZN7rocprim17ROCPRIM_400000_NS6detail17trampoline_kernelINS0_14default_configENS1_20scan_config_selectorIjEEZZNS1_9scan_implILNS1_25lookback_scan_determinismE0ELb0ELb0ES3_N6thrust23THRUST_200600_302600_NS6detail15normal_iteratorINS9_10device_ptrIjEEEESE_j11max_functorIjEjEEDaPvRmT3_T4_T5_mT6_P12ihipStream_tbENKUlT_T0_E_clISt17integral_constantIbLb0EESU_EEDaSP_SQ_EUlSP_E0_NS1_11comp_targetILNS1_3genE8ELNS1_11target_archE1030ELNS1_3gpuE2ELNS1_3repE0EEENS1_30default_config_static_selectorELNS0_4arch9wavefront6targetE1EEEvT1_,comdat
	.protected	_ZN7rocprim17ROCPRIM_400000_NS6detail17trampoline_kernelINS0_14default_configENS1_20scan_config_selectorIjEEZZNS1_9scan_implILNS1_25lookback_scan_determinismE0ELb0ELb0ES3_N6thrust23THRUST_200600_302600_NS6detail15normal_iteratorINS9_10device_ptrIjEEEESE_j11max_functorIjEjEEDaPvRmT3_T4_T5_mT6_P12ihipStream_tbENKUlT_T0_E_clISt17integral_constantIbLb0EESU_EEDaSP_SQ_EUlSP_E0_NS1_11comp_targetILNS1_3genE8ELNS1_11target_archE1030ELNS1_3gpuE2ELNS1_3repE0EEENS1_30default_config_static_selectorELNS0_4arch9wavefront6targetE1EEEvT1_ ; -- Begin function _ZN7rocprim17ROCPRIM_400000_NS6detail17trampoline_kernelINS0_14default_configENS1_20scan_config_selectorIjEEZZNS1_9scan_implILNS1_25lookback_scan_determinismE0ELb0ELb0ES3_N6thrust23THRUST_200600_302600_NS6detail15normal_iteratorINS9_10device_ptrIjEEEESE_j11max_functorIjEjEEDaPvRmT3_T4_T5_mT6_P12ihipStream_tbENKUlT_T0_E_clISt17integral_constantIbLb0EESU_EEDaSP_SQ_EUlSP_E0_NS1_11comp_targetILNS1_3genE8ELNS1_11target_archE1030ELNS1_3gpuE2ELNS1_3repE0EEENS1_30default_config_static_selectorELNS0_4arch9wavefront6targetE1EEEvT1_
	.globl	_ZN7rocprim17ROCPRIM_400000_NS6detail17trampoline_kernelINS0_14default_configENS1_20scan_config_selectorIjEEZZNS1_9scan_implILNS1_25lookback_scan_determinismE0ELb0ELb0ES3_N6thrust23THRUST_200600_302600_NS6detail15normal_iteratorINS9_10device_ptrIjEEEESE_j11max_functorIjEjEEDaPvRmT3_T4_T5_mT6_P12ihipStream_tbENKUlT_T0_E_clISt17integral_constantIbLb0EESU_EEDaSP_SQ_EUlSP_E0_NS1_11comp_targetILNS1_3genE8ELNS1_11target_archE1030ELNS1_3gpuE2ELNS1_3repE0EEENS1_30default_config_static_selectorELNS0_4arch9wavefront6targetE1EEEvT1_
	.p2align	8
	.type	_ZN7rocprim17ROCPRIM_400000_NS6detail17trampoline_kernelINS0_14default_configENS1_20scan_config_selectorIjEEZZNS1_9scan_implILNS1_25lookback_scan_determinismE0ELb0ELb0ES3_N6thrust23THRUST_200600_302600_NS6detail15normal_iteratorINS9_10device_ptrIjEEEESE_j11max_functorIjEjEEDaPvRmT3_T4_T5_mT6_P12ihipStream_tbENKUlT_T0_E_clISt17integral_constantIbLb0EESU_EEDaSP_SQ_EUlSP_E0_NS1_11comp_targetILNS1_3genE8ELNS1_11target_archE1030ELNS1_3gpuE2ELNS1_3repE0EEENS1_30default_config_static_selectorELNS0_4arch9wavefront6targetE1EEEvT1_,@function
_ZN7rocprim17ROCPRIM_400000_NS6detail17trampoline_kernelINS0_14default_configENS1_20scan_config_selectorIjEEZZNS1_9scan_implILNS1_25lookback_scan_determinismE0ELb0ELb0ES3_N6thrust23THRUST_200600_302600_NS6detail15normal_iteratorINS9_10device_ptrIjEEEESE_j11max_functorIjEjEEDaPvRmT3_T4_T5_mT6_P12ihipStream_tbENKUlT_T0_E_clISt17integral_constantIbLb0EESU_EEDaSP_SQ_EUlSP_E0_NS1_11comp_targetILNS1_3genE8ELNS1_11target_archE1030ELNS1_3gpuE2ELNS1_3repE0EEENS1_30default_config_static_selectorELNS0_4arch9wavefront6targetE1EEEvT1_: ; @_ZN7rocprim17ROCPRIM_400000_NS6detail17trampoline_kernelINS0_14default_configENS1_20scan_config_selectorIjEEZZNS1_9scan_implILNS1_25lookback_scan_determinismE0ELb0ELb0ES3_N6thrust23THRUST_200600_302600_NS6detail15normal_iteratorINS9_10device_ptrIjEEEESE_j11max_functorIjEjEEDaPvRmT3_T4_T5_mT6_P12ihipStream_tbENKUlT_T0_E_clISt17integral_constantIbLb0EESU_EEDaSP_SQ_EUlSP_E0_NS1_11comp_targetILNS1_3genE8ELNS1_11target_archE1030ELNS1_3gpuE2ELNS1_3repE0EEENS1_30default_config_static_selectorELNS0_4arch9wavefront6targetE1EEEvT1_
; %bb.0:
	.section	.rodata,"a",@progbits
	.p2align	6, 0x0
	.amdhsa_kernel _ZN7rocprim17ROCPRIM_400000_NS6detail17trampoline_kernelINS0_14default_configENS1_20scan_config_selectorIjEEZZNS1_9scan_implILNS1_25lookback_scan_determinismE0ELb0ELb0ES3_N6thrust23THRUST_200600_302600_NS6detail15normal_iteratorINS9_10device_ptrIjEEEESE_j11max_functorIjEjEEDaPvRmT3_T4_T5_mT6_P12ihipStream_tbENKUlT_T0_E_clISt17integral_constantIbLb0EESU_EEDaSP_SQ_EUlSP_E0_NS1_11comp_targetILNS1_3genE8ELNS1_11target_archE1030ELNS1_3gpuE2ELNS1_3repE0EEENS1_30default_config_static_selectorELNS0_4arch9wavefront6targetE1EEEvT1_
		.amdhsa_group_segment_fixed_size 0
		.amdhsa_private_segment_fixed_size 0
		.amdhsa_kernarg_size 32
		.amdhsa_user_sgpr_count 6
		.amdhsa_user_sgpr_private_segment_buffer 1
		.amdhsa_user_sgpr_dispatch_ptr 0
		.amdhsa_user_sgpr_queue_ptr 0
		.amdhsa_user_sgpr_kernarg_segment_ptr 1
		.amdhsa_user_sgpr_dispatch_id 0
		.amdhsa_user_sgpr_flat_scratch_init 0
		.amdhsa_user_sgpr_kernarg_preload_length 0
		.amdhsa_user_sgpr_kernarg_preload_offset 0
		.amdhsa_user_sgpr_private_segment_size 0
		.amdhsa_uses_dynamic_stack 0
		.amdhsa_system_sgpr_private_segment_wavefront_offset 0
		.amdhsa_system_sgpr_workgroup_id_x 1
		.amdhsa_system_sgpr_workgroup_id_y 0
		.amdhsa_system_sgpr_workgroup_id_z 0
		.amdhsa_system_sgpr_workgroup_info 0
		.amdhsa_system_vgpr_workitem_id 0
		.amdhsa_next_free_vgpr 1
		.amdhsa_next_free_sgpr 0
		.amdhsa_accum_offset 4
		.amdhsa_reserve_vcc 0
		.amdhsa_reserve_flat_scratch 0
		.amdhsa_float_round_mode_32 0
		.amdhsa_float_round_mode_16_64 0
		.amdhsa_float_denorm_mode_32 3
		.amdhsa_float_denorm_mode_16_64 3
		.amdhsa_dx10_clamp 1
		.amdhsa_ieee_mode 1
		.amdhsa_fp16_overflow 0
		.amdhsa_tg_split 0
		.amdhsa_exception_fp_ieee_invalid_op 0
		.amdhsa_exception_fp_denorm_src 0
		.amdhsa_exception_fp_ieee_div_zero 0
		.amdhsa_exception_fp_ieee_overflow 0
		.amdhsa_exception_fp_ieee_underflow 0
		.amdhsa_exception_fp_ieee_inexact 0
		.amdhsa_exception_int_div_zero 0
	.end_amdhsa_kernel
	.section	.text._ZN7rocprim17ROCPRIM_400000_NS6detail17trampoline_kernelINS0_14default_configENS1_20scan_config_selectorIjEEZZNS1_9scan_implILNS1_25lookback_scan_determinismE0ELb0ELb0ES3_N6thrust23THRUST_200600_302600_NS6detail15normal_iteratorINS9_10device_ptrIjEEEESE_j11max_functorIjEjEEDaPvRmT3_T4_T5_mT6_P12ihipStream_tbENKUlT_T0_E_clISt17integral_constantIbLb0EESU_EEDaSP_SQ_EUlSP_E0_NS1_11comp_targetILNS1_3genE8ELNS1_11target_archE1030ELNS1_3gpuE2ELNS1_3repE0EEENS1_30default_config_static_selectorELNS0_4arch9wavefront6targetE1EEEvT1_,"axG",@progbits,_ZN7rocprim17ROCPRIM_400000_NS6detail17trampoline_kernelINS0_14default_configENS1_20scan_config_selectorIjEEZZNS1_9scan_implILNS1_25lookback_scan_determinismE0ELb0ELb0ES3_N6thrust23THRUST_200600_302600_NS6detail15normal_iteratorINS9_10device_ptrIjEEEESE_j11max_functorIjEjEEDaPvRmT3_T4_T5_mT6_P12ihipStream_tbENKUlT_T0_E_clISt17integral_constantIbLb0EESU_EEDaSP_SQ_EUlSP_E0_NS1_11comp_targetILNS1_3genE8ELNS1_11target_archE1030ELNS1_3gpuE2ELNS1_3repE0EEENS1_30default_config_static_selectorELNS0_4arch9wavefront6targetE1EEEvT1_,comdat
.Lfunc_end2271:
	.size	_ZN7rocprim17ROCPRIM_400000_NS6detail17trampoline_kernelINS0_14default_configENS1_20scan_config_selectorIjEEZZNS1_9scan_implILNS1_25lookback_scan_determinismE0ELb0ELb0ES3_N6thrust23THRUST_200600_302600_NS6detail15normal_iteratorINS9_10device_ptrIjEEEESE_j11max_functorIjEjEEDaPvRmT3_T4_T5_mT6_P12ihipStream_tbENKUlT_T0_E_clISt17integral_constantIbLb0EESU_EEDaSP_SQ_EUlSP_E0_NS1_11comp_targetILNS1_3genE8ELNS1_11target_archE1030ELNS1_3gpuE2ELNS1_3repE0EEENS1_30default_config_static_selectorELNS0_4arch9wavefront6targetE1EEEvT1_, .Lfunc_end2271-_ZN7rocprim17ROCPRIM_400000_NS6detail17trampoline_kernelINS0_14default_configENS1_20scan_config_selectorIjEEZZNS1_9scan_implILNS1_25lookback_scan_determinismE0ELb0ELb0ES3_N6thrust23THRUST_200600_302600_NS6detail15normal_iteratorINS9_10device_ptrIjEEEESE_j11max_functorIjEjEEDaPvRmT3_T4_T5_mT6_P12ihipStream_tbENKUlT_T0_E_clISt17integral_constantIbLb0EESU_EEDaSP_SQ_EUlSP_E0_NS1_11comp_targetILNS1_3genE8ELNS1_11target_archE1030ELNS1_3gpuE2ELNS1_3repE0EEENS1_30default_config_static_selectorELNS0_4arch9wavefront6targetE1EEEvT1_
                                        ; -- End function
	.section	.AMDGPU.csdata,"",@progbits
; Kernel info:
; codeLenInByte = 0
; NumSgprs: 4
; NumVgprs: 0
; NumAgprs: 0
; TotalNumVgprs: 0
; ScratchSize: 0
; MemoryBound: 0
; FloatMode: 240
; IeeeMode: 1
; LDSByteSize: 0 bytes/workgroup (compile time only)
; SGPRBlocks: 0
; VGPRBlocks: 0
; NumSGPRsForWavesPerEU: 4
; NumVGPRsForWavesPerEU: 1
; AccumOffset: 4
; Occupancy: 8
; WaveLimiterHint : 0
; COMPUTE_PGM_RSRC2:SCRATCH_EN: 0
; COMPUTE_PGM_RSRC2:USER_SGPR: 6
; COMPUTE_PGM_RSRC2:TRAP_HANDLER: 0
; COMPUTE_PGM_RSRC2:TGID_X_EN: 1
; COMPUTE_PGM_RSRC2:TGID_Y_EN: 0
; COMPUTE_PGM_RSRC2:TGID_Z_EN: 0
; COMPUTE_PGM_RSRC2:TIDIG_COMP_CNT: 0
; COMPUTE_PGM_RSRC3_GFX90A:ACCUM_OFFSET: 0
; COMPUTE_PGM_RSRC3_GFX90A:TG_SPLIT: 0
	.section	.text._ZN7rocprim17ROCPRIM_400000_NS6detail31init_lookback_scan_state_kernelINS1_19lookback_scan_stateIjLb1ELb1EEENS1_16block_id_wrapperIjLb1EEEEEvT_jT0_jPNS7_10value_typeE,"axG",@progbits,_ZN7rocprim17ROCPRIM_400000_NS6detail31init_lookback_scan_state_kernelINS1_19lookback_scan_stateIjLb1ELb1EEENS1_16block_id_wrapperIjLb1EEEEEvT_jT0_jPNS7_10value_typeE,comdat
	.protected	_ZN7rocprim17ROCPRIM_400000_NS6detail31init_lookback_scan_state_kernelINS1_19lookback_scan_stateIjLb1ELb1EEENS1_16block_id_wrapperIjLb1EEEEEvT_jT0_jPNS7_10value_typeE ; -- Begin function _ZN7rocprim17ROCPRIM_400000_NS6detail31init_lookback_scan_state_kernelINS1_19lookback_scan_stateIjLb1ELb1EEENS1_16block_id_wrapperIjLb1EEEEEvT_jT0_jPNS7_10value_typeE
	.globl	_ZN7rocprim17ROCPRIM_400000_NS6detail31init_lookback_scan_state_kernelINS1_19lookback_scan_stateIjLb1ELb1EEENS1_16block_id_wrapperIjLb1EEEEEvT_jT0_jPNS7_10value_typeE
	.p2align	8
	.type	_ZN7rocprim17ROCPRIM_400000_NS6detail31init_lookback_scan_state_kernelINS1_19lookback_scan_stateIjLb1ELb1EEENS1_16block_id_wrapperIjLb1EEEEEvT_jT0_jPNS7_10value_typeE,@function
_ZN7rocprim17ROCPRIM_400000_NS6detail31init_lookback_scan_state_kernelINS1_19lookback_scan_stateIjLb1ELb1EEENS1_16block_id_wrapperIjLb1EEEEEvT_jT0_jPNS7_10value_typeE: ; @_ZN7rocprim17ROCPRIM_400000_NS6detail31init_lookback_scan_state_kernelINS1_19lookback_scan_stateIjLb1ELb1EEENS1_16block_id_wrapperIjLb1EEEEEvT_jT0_jPNS7_10value_typeE
; %bb.0:
	s_load_dword s7, s[4:5], 0x34
	s_load_dwordx2 s[2:3], s[4:5], 0x20
	s_load_dwordx2 s[0:1], s[4:5], 0x0
	s_load_dword s10, s[4:5], 0x8
	s_waitcnt lgkmcnt(0)
	s_and_b32 s7, s7, 0xffff
	s_mul_i32 s6, s6, s7
	s_cmp_eq_u64 s[2:3], 0
	v_add_u32_e32 v0, s6, v0
	s_cbranch_scc1 .LBB2272_9
; %bb.1:
	s_load_dword s8, s[4:5], 0x18
	s_mov_b32 s9, 0
	s_waitcnt lgkmcnt(0)
	s_cmp_lt_u32 s8, s10
	s_cselect_b32 s6, s8, 0
	v_cmp_eq_u32_e32 vcc, s6, v0
	s_and_saveexec_b64 s[6:7], vcc
	s_cbranch_execz .LBB2272_8
; %bb.2:
	s_add_i32 s8, s8, 64
	s_lshl_b64 s[8:9], s[8:9], 3
	s_add_u32 s8, s0, s8
	s_addc_u32 s9, s1, s9
	v_mov_b32_e32 v2, 0
	global_load_dwordx2 v[4:5], v2, s[8:9] glc
	s_waitcnt vmcnt(0)
	v_and_b32_e32 v3, 0xff, v5
	v_cmp_ne_u64_e32 vcc, 0, v[2:3]
	s_cbranch_vccnz .LBB2272_7
; %bb.3:
	s_mov_b32 s11, 1
.LBB2272_4:                             ; =>This Loop Header: Depth=1
                                        ;     Child Loop BB2272_5 Depth 2
	s_max_u32 s12, s11, 1
.LBB2272_5:                             ;   Parent Loop BB2272_4 Depth=1
                                        ; =>  This Inner Loop Header: Depth=2
	s_add_i32 s12, s12, -1
	s_cmp_eq_u32 s12, 0
	s_sleep 1
	s_cbranch_scc0 .LBB2272_5
; %bb.6:                                ;   in Loop: Header=BB2272_4 Depth=1
	global_load_dwordx2 v[4:5], v2, s[8:9] glc
	s_cmp_lt_u32 s11, 32
	s_cselect_b64 s[12:13], -1, 0
	s_cmp_lg_u64 s[12:13], 0
	s_addc_u32 s11, s11, 0
	s_waitcnt vmcnt(0)
	v_and_b32_e32 v3, 0xff, v5
	v_cmp_ne_u64_e32 vcc, 0, v[2:3]
	s_cbranch_vccz .LBB2272_4
.LBB2272_7:
	v_mov_b32_e32 v1, 0
	global_store_dword v1, v4, s[2:3]
.LBB2272_8:
	s_or_b64 exec, exec, s[6:7]
.LBB2272_9:
	v_cmp_eq_u32_e32 vcc, 0, v0
	s_and_saveexec_b64 s[2:3], vcc
	s_cbranch_execnz .LBB2272_13
; %bb.10:
	s_or_b64 exec, exec, s[2:3]
	v_cmp_gt_u32_e32 vcc, s10, v0
	s_and_saveexec_b64 s[2:3], vcc
	s_cbranch_execnz .LBB2272_14
.LBB2272_11:
	s_or_b64 exec, exec, s[2:3]
	v_cmp_gt_u32_e32 vcc, 64, v0
	s_and_saveexec_b64 s[2:3], vcc
	s_cbranch_execnz .LBB2272_15
.LBB2272_12:
	s_endpgm
.LBB2272_13:
	s_load_dwordx2 s[4:5], s[4:5], 0x10
	v_mov_b32_e32 v1, 0
	s_waitcnt lgkmcnt(0)
	global_store_dword v1, v1, s[4:5]
	s_or_b64 exec, exec, s[2:3]
	v_cmp_gt_u32_e32 vcc, s10, v0
	s_and_saveexec_b64 s[2:3], vcc
	s_cbranch_execz .LBB2272_11
.LBB2272_14:
	v_add_u32_e32 v2, 64, v0
	v_mov_b32_e32 v3, 0
	v_lshlrev_b64 v[4:5], 3, v[2:3]
	v_mov_b32_e32 v1, s1
	v_add_co_u32_e32 v4, vcc, s0, v4
	v_addc_co_u32_e32 v5, vcc, v1, v5, vcc
	v_mov_b32_e32 v2, v3
	global_store_dwordx2 v[4:5], v[2:3], off
	s_or_b64 exec, exec, s[2:3]
	v_cmp_gt_u32_e32 vcc, 64, v0
	s_and_saveexec_b64 s[2:3], vcc
	s_cbranch_execz .LBB2272_12
.LBB2272_15:
	v_mov_b32_e32 v1, 0
	v_lshlrev_b64 v[2:3], 3, v[0:1]
	v_mov_b32_e32 v0, s1
	v_add_co_u32_e32 v2, vcc, s0, v2
	v_addc_co_u32_e32 v3, vcc, v0, v3, vcc
	v_mov_b32_e32 v5, 0xff
	v_mov_b32_e32 v4, v1
	global_store_dwordx2 v[2:3], v[4:5], off
	s_endpgm
	.section	.rodata,"a",@progbits
	.p2align	6, 0x0
	.amdhsa_kernel _ZN7rocprim17ROCPRIM_400000_NS6detail31init_lookback_scan_state_kernelINS1_19lookback_scan_stateIjLb1ELb1EEENS1_16block_id_wrapperIjLb1EEEEEvT_jT0_jPNS7_10value_typeE
		.amdhsa_group_segment_fixed_size 0
		.amdhsa_private_segment_fixed_size 0
		.amdhsa_kernarg_size 296
		.amdhsa_user_sgpr_count 6
		.amdhsa_user_sgpr_private_segment_buffer 1
		.amdhsa_user_sgpr_dispatch_ptr 0
		.amdhsa_user_sgpr_queue_ptr 0
		.amdhsa_user_sgpr_kernarg_segment_ptr 1
		.amdhsa_user_sgpr_dispatch_id 0
		.amdhsa_user_sgpr_flat_scratch_init 0
		.amdhsa_user_sgpr_kernarg_preload_length 0
		.amdhsa_user_sgpr_kernarg_preload_offset 0
		.amdhsa_user_sgpr_private_segment_size 0
		.amdhsa_uses_dynamic_stack 0
		.amdhsa_system_sgpr_private_segment_wavefront_offset 0
		.amdhsa_system_sgpr_workgroup_id_x 1
		.amdhsa_system_sgpr_workgroup_id_y 0
		.amdhsa_system_sgpr_workgroup_id_z 0
		.amdhsa_system_sgpr_workgroup_info 0
		.amdhsa_system_vgpr_workitem_id 0
		.amdhsa_next_free_vgpr 6
		.amdhsa_next_free_sgpr 14
		.amdhsa_accum_offset 8
		.amdhsa_reserve_vcc 1
		.amdhsa_reserve_flat_scratch 0
		.amdhsa_float_round_mode_32 0
		.amdhsa_float_round_mode_16_64 0
		.amdhsa_float_denorm_mode_32 3
		.amdhsa_float_denorm_mode_16_64 3
		.amdhsa_dx10_clamp 1
		.amdhsa_ieee_mode 1
		.amdhsa_fp16_overflow 0
		.amdhsa_tg_split 0
		.amdhsa_exception_fp_ieee_invalid_op 0
		.amdhsa_exception_fp_denorm_src 0
		.amdhsa_exception_fp_ieee_div_zero 0
		.amdhsa_exception_fp_ieee_overflow 0
		.amdhsa_exception_fp_ieee_underflow 0
		.amdhsa_exception_fp_ieee_inexact 0
		.amdhsa_exception_int_div_zero 0
	.end_amdhsa_kernel
	.section	.text._ZN7rocprim17ROCPRIM_400000_NS6detail31init_lookback_scan_state_kernelINS1_19lookback_scan_stateIjLb1ELb1EEENS1_16block_id_wrapperIjLb1EEEEEvT_jT0_jPNS7_10value_typeE,"axG",@progbits,_ZN7rocprim17ROCPRIM_400000_NS6detail31init_lookback_scan_state_kernelINS1_19lookback_scan_stateIjLb1ELb1EEENS1_16block_id_wrapperIjLb1EEEEEvT_jT0_jPNS7_10value_typeE,comdat
.Lfunc_end2272:
	.size	_ZN7rocprim17ROCPRIM_400000_NS6detail31init_lookback_scan_state_kernelINS1_19lookback_scan_stateIjLb1ELb1EEENS1_16block_id_wrapperIjLb1EEEEEvT_jT0_jPNS7_10value_typeE, .Lfunc_end2272-_ZN7rocprim17ROCPRIM_400000_NS6detail31init_lookback_scan_state_kernelINS1_19lookback_scan_stateIjLb1ELb1EEENS1_16block_id_wrapperIjLb1EEEEEvT_jT0_jPNS7_10value_typeE
                                        ; -- End function
	.section	.AMDGPU.csdata,"",@progbits
; Kernel info:
; codeLenInByte = 420
; NumSgprs: 18
; NumVgprs: 6
; NumAgprs: 0
; TotalNumVgprs: 6
; ScratchSize: 0
; MemoryBound: 0
; FloatMode: 240
; IeeeMode: 1
; LDSByteSize: 0 bytes/workgroup (compile time only)
; SGPRBlocks: 2
; VGPRBlocks: 0
; NumSGPRsForWavesPerEU: 18
; NumVGPRsForWavesPerEU: 6
; AccumOffset: 8
; Occupancy: 8
; WaveLimiterHint : 0
; COMPUTE_PGM_RSRC2:SCRATCH_EN: 0
; COMPUTE_PGM_RSRC2:USER_SGPR: 6
; COMPUTE_PGM_RSRC2:TRAP_HANDLER: 0
; COMPUTE_PGM_RSRC2:TGID_X_EN: 1
; COMPUTE_PGM_RSRC2:TGID_Y_EN: 0
; COMPUTE_PGM_RSRC2:TGID_Z_EN: 0
; COMPUTE_PGM_RSRC2:TIDIG_COMP_CNT: 0
; COMPUTE_PGM_RSRC3_GFX90A:ACCUM_OFFSET: 1
; COMPUTE_PGM_RSRC3_GFX90A:TG_SPLIT: 0
	.section	.text._ZN7rocprim17ROCPRIM_400000_NS6detail17trampoline_kernelINS0_14default_configENS1_20scan_config_selectorIjEEZZNS1_9scan_implILNS1_25lookback_scan_determinismE0ELb0ELb0ES3_N6thrust23THRUST_200600_302600_NS6detail15normal_iteratorINS9_10device_ptrIjEEEESE_j11max_functorIjEjEEDaPvRmT3_T4_T5_mT6_P12ihipStream_tbENKUlT_T0_E_clISt17integral_constantIbLb1EESU_EEDaSP_SQ_EUlSP_E_NS1_11comp_targetILNS1_3genE0ELNS1_11target_archE4294967295ELNS1_3gpuE0ELNS1_3repE0EEENS1_30default_config_static_selectorELNS0_4arch9wavefront6targetE1EEEvT1_,"axG",@progbits,_ZN7rocprim17ROCPRIM_400000_NS6detail17trampoline_kernelINS0_14default_configENS1_20scan_config_selectorIjEEZZNS1_9scan_implILNS1_25lookback_scan_determinismE0ELb0ELb0ES3_N6thrust23THRUST_200600_302600_NS6detail15normal_iteratorINS9_10device_ptrIjEEEESE_j11max_functorIjEjEEDaPvRmT3_T4_T5_mT6_P12ihipStream_tbENKUlT_T0_E_clISt17integral_constantIbLb1EESU_EEDaSP_SQ_EUlSP_E_NS1_11comp_targetILNS1_3genE0ELNS1_11target_archE4294967295ELNS1_3gpuE0ELNS1_3repE0EEENS1_30default_config_static_selectorELNS0_4arch9wavefront6targetE1EEEvT1_,comdat
	.protected	_ZN7rocprim17ROCPRIM_400000_NS6detail17trampoline_kernelINS0_14default_configENS1_20scan_config_selectorIjEEZZNS1_9scan_implILNS1_25lookback_scan_determinismE0ELb0ELb0ES3_N6thrust23THRUST_200600_302600_NS6detail15normal_iteratorINS9_10device_ptrIjEEEESE_j11max_functorIjEjEEDaPvRmT3_T4_T5_mT6_P12ihipStream_tbENKUlT_T0_E_clISt17integral_constantIbLb1EESU_EEDaSP_SQ_EUlSP_E_NS1_11comp_targetILNS1_3genE0ELNS1_11target_archE4294967295ELNS1_3gpuE0ELNS1_3repE0EEENS1_30default_config_static_selectorELNS0_4arch9wavefront6targetE1EEEvT1_ ; -- Begin function _ZN7rocprim17ROCPRIM_400000_NS6detail17trampoline_kernelINS0_14default_configENS1_20scan_config_selectorIjEEZZNS1_9scan_implILNS1_25lookback_scan_determinismE0ELb0ELb0ES3_N6thrust23THRUST_200600_302600_NS6detail15normal_iteratorINS9_10device_ptrIjEEEESE_j11max_functorIjEjEEDaPvRmT3_T4_T5_mT6_P12ihipStream_tbENKUlT_T0_E_clISt17integral_constantIbLb1EESU_EEDaSP_SQ_EUlSP_E_NS1_11comp_targetILNS1_3genE0ELNS1_11target_archE4294967295ELNS1_3gpuE0ELNS1_3repE0EEENS1_30default_config_static_selectorELNS0_4arch9wavefront6targetE1EEEvT1_
	.globl	_ZN7rocprim17ROCPRIM_400000_NS6detail17trampoline_kernelINS0_14default_configENS1_20scan_config_selectorIjEEZZNS1_9scan_implILNS1_25lookback_scan_determinismE0ELb0ELb0ES3_N6thrust23THRUST_200600_302600_NS6detail15normal_iteratorINS9_10device_ptrIjEEEESE_j11max_functorIjEjEEDaPvRmT3_T4_T5_mT6_P12ihipStream_tbENKUlT_T0_E_clISt17integral_constantIbLb1EESU_EEDaSP_SQ_EUlSP_E_NS1_11comp_targetILNS1_3genE0ELNS1_11target_archE4294967295ELNS1_3gpuE0ELNS1_3repE0EEENS1_30default_config_static_selectorELNS0_4arch9wavefront6targetE1EEEvT1_
	.p2align	8
	.type	_ZN7rocprim17ROCPRIM_400000_NS6detail17trampoline_kernelINS0_14default_configENS1_20scan_config_selectorIjEEZZNS1_9scan_implILNS1_25lookback_scan_determinismE0ELb0ELb0ES3_N6thrust23THRUST_200600_302600_NS6detail15normal_iteratorINS9_10device_ptrIjEEEESE_j11max_functorIjEjEEDaPvRmT3_T4_T5_mT6_P12ihipStream_tbENKUlT_T0_E_clISt17integral_constantIbLb1EESU_EEDaSP_SQ_EUlSP_E_NS1_11comp_targetILNS1_3genE0ELNS1_11target_archE4294967295ELNS1_3gpuE0ELNS1_3repE0EEENS1_30default_config_static_selectorELNS0_4arch9wavefront6targetE1EEEvT1_,@function
_ZN7rocprim17ROCPRIM_400000_NS6detail17trampoline_kernelINS0_14default_configENS1_20scan_config_selectorIjEEZZNS1_9scan_implILNS1_25lookback_scan_determinismE0ELb0ELb0ES3_N6thrust23THRUST_200600_302600_NS6detail15normal_iteratorINS9_10device_ptrIjEEEESE_j11max_functorIjEjEEDaPvRmT3_T4_T5_mT6_P12ihipStream_tbENKUlT_T0_E_clISt17integral_constantIbLb1EESU_EEDaSP_SQ_EUlSP_E_NS1_11comp_targetILNS1_3genE0ELNS1_11target_archE4294967295ELNS1_3gpuE0ELNS1_3repE0EEENS1_30default_config_static_selectorELNS0_4arch9wavefront6targetE1EEEvT1_: ; @_ZN7rocprim17ROCPRIM_400000_NS6detail17trampoline_kernelINS0_14default_configENS1_20scan_config_selectorIjEEZZNS1_9scan_implILNS1_25lookback_scan_determinismE0ELb0ELb0ES3_N6thrust23THRUST_200600_302600_NS6detail15normal_iteratorINS9_10device_ptrIjEEEESE_j11max_functorIjEjEEDaPvRmT3_T4_T5_mT6_P12ihipStream_tbENKUlT_T0_E_clISt17integral_constantIbLb1EESU_EEDaSP_SQ_EUlSP_E_NS1_11comp_targetILNS1_3genE0ELNS1_11target_archE4294967295ELNS1_3gpuE0ELNS1_3repE0EEENS1_30default_config_static_selectorELNS0_4arch9wavefront6targetE1EEEvT1_
; %bb.0:
	.section	.rodata,"a",@progbits
	.p2align	6, 0x0
	.amdhsa_kernel _ZN7rocprim17ROCPRIM_400000_NS6detail17trampoline_kernelINS0_14default_configENS1_20scan_config_selectorIjEEZZNS1_9scan_implILNS1_25lookback_scan_determinismE0ELb0ELb0ES3_N6thrust23THRUST_200600_302600_NS6detail15normal_iteratorINS9_10device_ptrIjEEEESE_j11max_functorIjEjEEDaPvRmT3_T4_T5_mT6_P12ihipStream_tbENKUlT_T0_E_clISt17integral_constantIbLb1EESU_EEDaSP_SQ_EUlSP_E_NS1_11comp_targetILNS1_3genE0ELNS1_11target_archE4294967295ELNS1_3gpuE0ELNS1_3repE0EEENS1_30default_config_static_selectorELNS0_4arch9wavefront6targetE1EEEvT1_
		.amdhsa_group_segment_fixed_size 0
		.amdhsa_private_segment_fixed_size 0
		.amdhsa_kernarg_size 96
		.amdhsa_user_sgpr_count 6
		.amdhsa_user_sgpr_private_segment_buffer 1
		.amdhsa_user_sgpr_dispatch_ptr 0
		.amdhsa_user_sgpr_queue_ptr 0
		.amdhsa_user_sgpr_kernarg_segment_ptr 1
		.amdhsa_user_sgpr_dispatch_id 0
		.amdhsa_user_sgpr_flat_scratch_init 0
		.amdhsa_user_sgpr_kernarg_preload_length 0
		.amdhsa_user_sgpr_kernarg_preload_offset 0
		.amdhsa_user_sgpr_private_segment_size 0
		.amdhsa_uses_dynamic_stack 0
		.amdhsa_system_sgpr_private_segment_wavefront_offset 0
		.amdhsa_system_sgpr_workgroup_id_x 1
		.amdhsa_system_sgpr_workgroup_id_y 0
		.amdhsa_system_sgpr_workgroup_id_z 0
		.amdhsa_system_sgpr_workgroup_info 0
		.amdhsa_system_vgpr_workitem_id 0
		.amdhsa_next_free_vgpr 1
		.amdhsa_next_free_sgpr 0
		.amdhsa_accum_offset 4
		.amdhsa_reserve_vcc 0
		.amdhsa_reserve_flat_scratch 0
		.amdhsa_float_round_mode_32 0
		.amdhsa_float_round_mode_16_64 0
		.amdhsa_float_denorm_mode_32 3
		.amdhsa_float_denorm_mode_16_64 3
		.amdhsa_dx10_clamp 1
		.amdhsa_ieee_mode 1
		.amdhsa_fp16_overflow 0
		.amdhsa_tg_split 0
		.amdhsa_exception_fp_ieee_invalid_op 0
		.amdhsa_exception_fp_denorm_src 0
		.amdhsa_exception_fp_ieee_div_zero 0
		.amdhsa_exception_fp_ieee_overflow 0
		.amdhsa_exception_fp_ieee_underflow 0
		.amdhsa_exception_fp_ieee_inexact 0
		.amdhsa_exception_int_div_zero 0
	.end_amdhsa_kernel
	.section	.text._ZN7rocprim17ROCPRIM_400000_NS6detail17trampoline_kernelINS0_14default_configENS1_20scan_config_selectorIjEEZZNS1_9scan_implILNS1_25lookback_scan_determinismE0ELb0ELb0ES3_N6thrust23THRUST_200600_302600_NS6detail15normal_iteratorINS9_10device_ptrIjEEEESE_j11max_functorIjEjEEDaPvRmT3_T4_T5_mT6_P12ihipStream_tbENKUlT_T0_E_clISt17integral_constantIbLb1EESU_EEDaSP_SQ_EUlSP_E_NS1_11comp_targetILNS1_3genE0ELNS1_11target_archE4294967295ELNS1_3gpuE0ELNS1_3repE0EEENS1_30default_config_static_selectorELNS0_4arch9wavefront6targetE1EEEvT1_,"axG",@progbits,_ZN7rocprim17ROCPRIM_400000_NS6detail17trampoline_kernelINS0_14default_configENS1_20scan_config_selectorIjEEZZNS1_9scan_implILNS1_25lookback_scan_determinismE0ELb0ELb0ES3_N6thrust23THRUST_200600_302600_NS6detail15normal_iteratorINS9_10device_ptrIjEEEESE_j11max_functorIjEjEEDaPvRmT3_T4_T5_mT6_P12ihipStream_tbENKUlT_T0_E_clISt17integral_constantIbLb1EESU_EEDaSP_SQ_EUlSP_E_NS1_11comp_targetILNS1_3genE0ELNS1_11target_archE4294967295ELNS1_3gpuE0ELNS1_3repE0EEENS1_30default_config_static_selectorELNS0_4arch9wavefront6targetE1EEEvT1_,comdat
.Lfunc_end2273:
	.size	_ZN7rocprim17ROCPRIM_400000_NS6detail17trampoline_kernelINS0_14default_configENS1_20scan_config_selectorIjEEZZNS1_9scan_implILNS1_25lookback_scan_determinismE0ELb0ELb0ES3_N6thrust23THRUST_200600_302600_NS6detail15normal_iteratorINS9_10device_ptrIjEEEESE_j11max_functorIjEjEEDaPvRmT3_T4_T5_mT6_P12ihipStream_tbENKUlT_T0_E_clISt17integral_constantIbLb1EESU_EEDaSP_SQ_EUlSP_E_NS1_11comp_targetILNS1_3genE0ELNS1_11target_archE4294967295ELNS1_3gpuE0ELNS1_3repE0EEENS1_30default_config_static_selectorELNS0_4arch9wavefront6targetE1EEEvT1_, .Lfunc_end2273-_ZN7rocprim17ROCPRIM_400000_NS6detail17trampoline_kernelINS0_14default_configENS1_20scan_config_selectorIjEEZZNS1_9scan_implILNS1_25lookback_scan_determinismE0ELb0ELb0ES3_N6thrust23THRUST_200600_302600_NS6detail15normal_iteratorINS9_10device_ptrIjEEEESE_j11max_functorIjEjEEDaPvRmT3_T4_T5_mT6_P12ihipStream_tbENKUlT_T0_E_clISt17integral_constantIbLb1EESU_EEDaSP_SQ_EUlSP_E_NS1_11comp_targetILNS1_3genE0ELNS1_11target_archE4294967295ELNS1_3gpuE0ELNS1_3repE0EEENS1_30default_config_static_selectorELNS0_4arch9wavefront6targetE1EEEvT1_
                                        ; -- End function
	.section	.AMDGPU.csdata,"",@progbits
; Kernel info:
; codeLenInByte = 0
; NumSgprs: 4
; NumVgprs: 0
; NumAgprs: 0
; TotalNumVgprs: 0
; ScratchSize: 0
; MemoryBound: 0
; FloatMode: 240
; IeeeMode: 1
; LDSByteSize: 0 bytes/workgroup (compile time only)
; SGPRBlocks: 0
; VGPRBlocks: 0
; NumSGPRsForWavesPerEU: 4
; NumVGPRsForWavesPerEU: 1
; AccumOffset: 4
; Occupancy: 8
; WaveLimiterHint : 0
; COMPUTE_PGM_RSRC2:SCRATCH_EN: 0
; COMPUTE_PGM_RSRC2:USER_SGPR: 6
; COMPUTE_PGM_RSRC2:TRAP_HANDLER: 0
; COMPUTE_PGM_RSRC2:TGID_X_EN: 1
; COMPUTE_PGM_RSRC2:TGID_Y_EN: 0
; COMPUTE_PGM_RSRC2:TGID_Z_EN: 0
; COMPUTE_PGM_RSRC2:TIDIG_COMP_CNT: 0
; COMPUTE_PGM_RSRC3_GFX90A:ACCUM_OFFSET: 0
; COMPUTE_PGM_RSRC3_GFX90A:TG_SPLIT: 0
	.section	.text._ZN7rocprim17ROCPRIM_400000_NS6detail17trampoline_kernelINS0_14default_configENS1_20scan_config_selectorIjEEZZNS1_9scan_implILNS1_25lookback_scan_determinismE0ELb0ELb0ES3_N6thrust23THRUST_200600_302600_NS6detail15normal_iteratorINS9_10device_ptrIjEEEESE_j11max_functorIjEjEEDaPvRmT3_T4_T5_mT6_P12ihipStream_tbENKUlT_T0_E_clISt17integral_constantIbLb1EESU_EEDaSP_SQ_EUlSP_E_NS1_11comp_targetILNS1_3genE5ELNS1_11target_archE942ELNS1_3gpuE9ELNS1_3repE0EEENS1_30default_config_static_selectorELNS0_4arch9wavefront6targetE1EEEvT1_,"axG",@progbits,_ZN7rocprim17ROCPRIM_400000_NS6detail17trampoline_kernelINS0_14default_configENS1_20scan_config_selectorIjEEZZNS1_9scan_implILNS1_25lookback_scan_determinismE0ELb0ELb0ES3_N6thrust23THRUST_200600_302600_NS6detail15normal_iteratorINS9_10device_ptrIjEEEESE_j11max_functorIjEjEEDaPvRmT3_T4_T5_mT6_P12ihipStream_tbENKUlT_T0_E_clISt17integral_constantIbLb1EESU_EEDaSP_SQ_EUlSP_E_NS1_11comp_targetILNS1_3genE5ELNS1_11target_archE942ELNS1_3gpuE9ELNS1_3repE0EEENS1_30default_config_static_selectorELNS0_4arch9wavefront6targetE1EEEvT1_,comdat
	.protected	_ZN7rocprim17ROCPRIM_400000_NS6detail17trampoline_kernelINS0_14default_configENS1_20scan_config_selectorIjEEZZNS1_9scan_implILNS1_25lookback_scan_determinismE0ELb0ELb0ES3_N6thrust23THRUST_200600_302600_NS6detail15normal_iteratorINS9_10device_ptrIjEEEESE_j11max_functorIjEjEEDaPvRmT3_T4_T5_mT6_P12ihipStream_tbENKUlT_T0_E_clISt17integral_constantIbLb1EESU_EEDaSP_SQ_EUlSP_E_NS1_11comp_targetILNS1_3genE5ELNS1_11target_archE942ELNS1_3gpuE9ELNS1_3repE0EEENS1_30default_config_static_selectorELNS0_4arch9wavefront6targetE1EEEvT1_ ; -- Begin function _ZN7rocprim17ROCPRIM_400000_NS6detail17trampoline_kernelINS0_14default_configENS1_20scan_config_selectorIjEEZZNS1_9scan_implILNS1_25lookback_scan_determinismE0ELb0ELb0ES3_N6thrust23THRUST_200600_302600_NS6detail15normal_iteratorINS9_10device_ptrIjEEEESE_j11max_functorIjEjEEDaPvRmT3_T4_T5_mT6_P12ihipStream_tbENKUlT_T0_E_clISt17integral_constantIbLb1EESU_EEDaSP_SQ_EUlSP_E_NS1_11comp_targetILNS1_3genE5ELNS1_11target_archE942ELNS1_3gpuE9ELNS1_3repE0EEENS1_30default_config_static_selectorELNS0_4arch9wavefront6targetE1EEEvT1_
	.globl	_ZN7rocprim17ROCPRIM_400000_NS6detail17trampoline_kernelINS0_14default_configENS1_20scan_config_selectorIjEEZZNS1_9scan_implILNS1_25lookback_scan_determinismE0ELb0ELb0ES3_N6thrust23THRUST_200600_302600_NS6detail15normal_iteratorINS9_10device_ptrIjEEEESE_j11max_functorIjEjEEDaPvRmT3_T4_T5_mT6_P12ihipStream_tbENKUlT_T0_E_clISt17integral_constantIbLb1EESU_EEDaSP_SQ_EUlSP_E_NS1_11comp_targetILNS1_3genE5ELNS1_11target_archE942ELNS1_3gpuE9ELNS1_3repE0EEENS1_30default_config_static_selectorELNS0_4arch9wavefront6targetE1EEEvT1_
	.p2align	8
	.type	_ZN7rocprim17ROCPRIM_400000_NS6detail17trampoline_kernelINS0_14default_configENS1_20scan_config_selectorIjEEZZNS1_9scan_implILNS1_25lookback_scan_determinismE0ELb0ELb0ES3_N6thrust23THRUST_200600_302600_NS6detail15normal_iteratorINS9_10device_ptrIjEEEESE_j11max_functorIjEjEEDaPvRmT3_T4_T5_mT6_P12ihipStream_tbENKUlT_T0_E_clISt17integral_constantIbLb1EESU_EEDaSP_SQ_EUlSP_E_NS1_11comp_targetILNS1_3genE5ELNS1_11target_archE942ELNS1_3gpuE9ELNS1_3repE0EEENS1_30default_config_static_selectorELNS0_4arch9wavefront6targetE1EEEvT1_,@function
_ZN7rocprim17ROCPRIM_400000_NS6detail17trampoline_kernelINS0_14default_configENS1_20scan_config_selectorIjEEZZNS1_9scan_implILNS1_25lookback_scan_determinismE0ELb0ELb0ES3_N6thrust23THRUST_200600_302600_NS6detail15normal_iteratorINS9_10device_ptrIjEEEESE_j11max_functorIjEjEEDaPvRmT3_T4_T5_mT6_P12ihipStream_tbENKUlT_T0_E_clISt17integral_constantIbLb1EESU_EEDaSP_SQ_EUlSP_E_NS1_11comp_targetILNS1_3genE5ELNS1_11target_archE942ELNS1_3gpuE9ELNS1_3repE0EEENS1_30default_config_static_selectorELNS0_4arch9wavefront6targetE1EEEvT1_: ; @_ZN7rocprim17ROCPRIM_400000_NS6detail17trampoline_kernelINS0_14default_configENS1_20scan_config_selectorIjEEZZNS1_9scan_implILNS1_25lookback_scan_determinismE0ELb0ELb0ES3_N6thrust23THRUST_200600_302600_NS6detail15normal_iteratorINS9_10device_ptrIjEEEESE_j11max_functorIjEjEEDaPvRmT3_T4_T5_mT6_P12ihipStream_tbENKUlT_T0_E_clISt17integral_constantIbLb1EESU_EEDaSP_SQ_EUlSP_E_NS1_11comp_targetILNS1_3genE5ELNS1_11target_archE942ELNS1_3gpuE9ELNS1_3repE0EEENS1_30default_config_static_selectorELNS0_4arch9wavefront6targetE1EEEvT1_
; %bb.0:
	.section	.rodata,"a",@progbits
	.p2align	6, 0x0
	.amdhsa_kernel _ZN7rocprim17ROCPRIM_400000_NS6detail17trampoline_kernelINS0_14default_configENS1_20scan_config_selectorIjEEZZNS1_9scan_implILNS1_25lookback_scan_determinismE0ELb0ELb0ES3_N6thrust23THRUST_200600_302600_NS6detail15normal_iteratorINS9_10device_ptrIjEEEESE_j11max_functorIjEjEEDaPvRmT3_T4_T5_mT6_P12ihipStream_tbENKUlT_T0_E_clISt17integral_constantIbLb1EESU_EEDaSP_SQ_EUlSP_E_NS1_11comp_targetILNS1_3genE5ELNS1_11target_archE942ELNS1_3gpuE9ELNS1_3repE0EEENS1_30default_config_static_selectorELNS0_4arch9wavefront6targetE1EEEvT1_
		.amdhsa_group_segment_fixed_size 0
		.amdhsa_private_segment_fixed_size 0
		.amdhsa_kernarg_size 96
		.amdhsa_user_sgpr_count 6
		.amdhsa_user_sgpr_private_segment_buffer 1
		.amdhsa_user_sgpr_dispatch_ptr 0
		.amdhsa_user_sgpr_queue_ptr 0
		.amdhsa_user_sgpr_kernarg_segment_ptr 1
		.amdhsa_user_sgpr_dispatch_id 0
		.amdhsa_user_sgpr_flat_scratch_init 0
		.amdhsa_user_sgpr_kernarg_preload_length 0
		.amdhsa_user_sgpr_kernarg_preload_offset 0
		.amdhsa_user_sgpr_private_segment_size 0
		.amdhsa_uses_dynamic_stack 0
		.amdhsa_system_sgpr_private_segment_wavefront_offset 0
		.amdhsa_system_sgpr_workgroup_id_x 1
		.amdhsa_system_sgpr_workgroup_id_y 0
		.amdhsa_system_sgpr_workgroup_id_z 0
		.amdhsa_system_sgpr_workgroup_info 0
		.amdhsa_system_vgpr_workitem_id 0
		.amdhsa_next_free_vgpr 1
		.amdhsa_next_free_sgpr 0
		.amdhsa_accum_offset 4
		.amdhsa_reserve_vcc 0
		.amdhsa_reserve_flat_scratch 0
		.amdhsa_float_round_mode_32 0
		.amdhsa_float_round_mode_16_64 0
		.amdhsa_float_denorm_mode_32 3
		.amdhsa_float_denorm_mode_16_64 3
		.amdhsa_dx10_clamp 1
		.amdhsa_ieee_mode 1
		.amdhsa_fp16_overflow 0
		.amdhsa_tg_split 0
		.amdhsa_exception_fp_ieee_invalid_op 0
		.amdhsa_exception_fp_denorm_src 0
		.amdhsa_exception_fp_ieee_div_zero 0
		.amdhsa_exception_fp_ieee_overflow 0
		.amdhsa_exception_fp_ieee_underflow 0
		.amdhsa_exception_fp_ieee_inexact 0
		.amdhsa_exception_int_div_zero 0
	.end_amdhsa_kernel
	.section	.text._ZN7rocprim17ROCPRIM_400000_NS6detail17trampoline_kernelINS0_14default_configENS1_20scan_config_selectorIjEEZZNS1_9scan_implILNS1_25lookback_scan_determinismE0ELb0ELb0ES3_N6thrust23THRUST_200600_302600_NS6detail15normal_iteratorINS9_10device_ptrIjEEEESE_j11max_functorIjEjEEDaPvRmT3_T4_T5_mT6_P12ihipStream_tbENKUlT_T0_E_clISt17integral_constantIbLb1EESU_EEDaSP_SQ_EUlSP_E_NS1_11comp_targetILNS1_3genE5ELNS1_11target_archE942ELNS1_3gpuE9ELNS1_3repE0EEENS1_30default_config_static_selectorELNS0_4arch9wavefront6targetE1EEEvT1_,"axG",@progbits,_ZN7rocprim17ROCPRIM_400000_NS6detail17trampoline_kernelINS0_14default_configENS1_20scan_config_selectorIjEEZZNS1_9scan_implILNS1_25lookback_scan_determinismE0ELb0ELb0ES3_N6thrust23THRUST_200600_302600_NS6detail15normal_iteratorINS9_10device_ptrIjEEEESE_j11max_functorIjEjEEDaPvRmT3_T4_T5_mT6_P12ihipStream_tbENKUlT_T0_E_clISt17integral_constantIbLb1EESU_EEDaSP_SQ_EUlSP_E_NS1_11comp_targetILNS1_3genE5ELNS1_11target_archE942ELNS1_3gpuE9ELNS1_3repE0EEENS1_30default_config_static_selectorELNS0_4arch9wavefront6targetE1EEEvT1_,comdat
.Lfunc_end2274:
	.size	_ZN7rocprim17ROCPRIM_400000_NS6detail17trampoline_kernelINS0_14default_configENS1_20scan_config_selectorIjEEZZNS1_9scan_implILNS1_25lookback_scan_determinismE0ELb0ELb0ES3_N6thrust23THRUST_200600_302600_NS6detail15normal_iteratorINS9_10device_ptrIjEEEESE_j11max_functorIjEjEEDaPvRmT3_T4_T5_mT6_P12ihipStream_tbENKUlT_T0_E_clISt17integral_constantIbLb1EESU_EEDaSP_SQ_EUlSP_E_NS1_11comp_targetILNS1_3genE5ELNS1_11target_archE942ELNS1_3gpuE9ELNS1_3repE0EEENS1_30default_config_static_selectorELNS0_4arch9wavefront6targetE1EEEvT1_, .Lfunc_end2274-_ZN7rocprim17ROCPRIM_400000_NS6detail17trampoline_kernelINS0_14default_configENS1_20scan_config_selectorIjEEZZNS1_9scan_implILNS1_25lookback_scan_determinismE0ELb0ELb0ES3_N6thrust23THRUST_200600_302600_NS6detail15normal_iteratorINS9_10device_ptrIjEEEESE_j11max_functorIjEjEEDaPvRmT3_T4_T5_mT6_P12ihipStream_tbENKUlT_T0_E_clISt17integral_constantIbLb1EESU_EEDaSP_SQ_EUlSP_E_NS1_11comp_targetILNS1_3genE5ELNS1_11target_archE942ELNS1_3gpuE9ELNS1_3repE0EEENS1_30default_config_static_selectorELNS0_4arch9wavefront6targetE1EEEvT1_
                                        ; -- End function
	.section	.AMDGPU.csdata,"",@progbits
; Kernel info:
; codeLenInByte = 0
; NumSgprs: 4
; NumVgprs: 0
; NumAgprs: 0
; TotalNumVgprs: 0
; ScratchSize: 0
; MemoryBound: 0
; FloatMode: 240
; IeeeMode: 1
; LDSByteSize: 0 bytes/workgroup (compile time only)
; SGPRBlocks: 0
; VGPRBlocks: 0
; NumSGPRsForWavesPerEU: 4
; NumVGPRsForWavesPerEU: 1
; AccumOffset: 4
; Occupancy: 8
; WaveLimiterHint : 0
; COMPUTE_PGM_RSRC2:SCRATCH_EN: 0
; COMPUTE_PGM_RSRC2:USER_SGPR: 6
; COMPUTE_PGM_RSRC2:TRAP_HANDLER: 0
; COMPUTE_PGM_RSRC2:TGID_X_EN: 1
; COMPUTE_PGM_RSRC2:TGID_Y_EN: 0
; COMPUTE_PGM_RSRC2:TGID_Z_EN: 0
; COMPUTE_PGM_RSRC2:TIDIG_COMP_CNT: 0
; COMPUTE_PGM_RSRC3_GFX90A:ACCUM_OFFSET: 0
; COMPUTE_PGM_RSRC3_GFX90A:TG_SPLIT: 0
	.section	.text._ZN7rocprim17ROCPRIM_400000_NS6detail17trampoline_kernelINS0_14default_configENS1_20scan_config_selectorIjEEZZNS1_9scan_implILNS1_25lookback_scan_determinismE0ELb0ELb0ES3_N6thrust23THRUST_200600_302600_NS6detail15normal_iteratorINS9_10device_ptrIjEEEESE_j11max_functorIjEjEEDaPvRmT3_T4_T5_mT6_P12ihipStream_tbENKUlT_T0_E_clISt17integral_constantIbLb1EESU_EEDaSP_SQ_EUlSP_E_NS1_11comp_targetILNS1_3genE4ELNS1_11target_archE910ELNS1_3gpuE8ELNS1_3repE0EEENS1_30default_config_static_selectorELNS0_4arch9wavefront6targetE1EEEvT1_,"axG",@progbits,_ZN7rocprim17ROCPRIM_400000_NS6detail17trampoline_kernelINS0_14default_configENS1_20scan_config_selectorIjEEZZNS1_9scan_implILNS1_25lookback_scan_determinismE0ELb0ELb0ES3_N6thrust23THRUST_200600_302600_NS6detail15normal_iteratorINS9_10device_ptrIjEEEESE_j11max_functorIjEjEEDaPvRmT3_T4_T5_mT6_P12ihipStream_tbENKUlT_T0_E_clISt17integral_constantIbLb1EESU_EEDaSP_SQ_EUlSP_E_NS1_11comp_targetILNS1_3genE4ELNS1_11target_archE910ELNS1_3gpuE8ELNS1_3repE0EEENS1_30default_config_static_selectorELNS0_4arch9wavefront6targetE1EEEvT1_,comdat
	.protected	_ZN7rocprim17ROCPRIM_400000_NS6detail17trampoline_kernelINS0_14default_configENS1_20scan_config_selectorIjEEZZNS1_9scan_implILNS1_25lookback_scan_determinismE0ELb0ELb0ES3_N6thrust23THRUST_200600_302600_NS6detail15normal_iteratorINS9_10device_ptrIjEEEESE_j11max_functorIjEjEEDaPvRmT3_T4_T5_mT6_P12ihipStream_tbENKUlT_T0_E_clISt17integral_constantIbLb1EESU_EEDaSP_SQ_EUlSP_E_NS1_11comp_targetILNS1_3genE4ELNS1_11target_archE910ELNS1_3gpuE8ELNS1_3repE0EEENS1_30default_config_static_selectorELNS0_4arch9wavefront6targetE1EEEvT1_ ; -- Begin function _ZN7rocprim17ROCPRIM_400000_NS6detail17trampoline_kernelINS0_14default_configENS1_20scan_config_selectorIjEEZZNS1_9scan_implILNS1_25lookback_scan_determinismE0ELb0ELb0ES3_N6thrust23THRUST_200600_302600_NS6detail15normal_iteratorINS9_10device_ptrIjEEEESE_j11max_functorIjEjEEDaPvRmT3_T4_T5_mT6_P12ihipStream_tbENKUlT_T0_E_clISt17integral_constantIbLb1EESU_EEDaSP_SQ_EUlSP_E_NS1_11comp_targetILNS1_3genE4ELNS1_11target_archE910ELNS1_3gpuE8ELNS1_3repE0EEENS1_30default_config_static_selectorELNS0_4arch9wavefront6targetE1EEEvT1_
	.globl	_ZN7rocprim17ROCPRIM_400000_NS6detail17trampoline_kernelINS0_14default_configENS1_20scan_config_selectorIjEEZZNS1_9scan_implILNS1_25lookback_scan_determinismE0ELb0ELb0ES3_N6thrust23THRUST_200600_302600_NS6detail15normal_iteratorINS9_10device_ptrIjEEEESE_j11max_functorIjEjEEDaPvRmT3_T4_T5_mT6_P12ihipStream_tbENKUlT_T0_E_clISt17integral_constantIbLb1EESU_EEDaSP_SQ_EUlSP_E_NS1_11comp_targetILNS1_3genE4ELNS1_11target_archE910ELNS1_3gpuE8ELNS1_3repE0EEENS1_30default_config_static_selectorELNS0_4arch9wavefront6targetE1EEEvT1_
	.p2align	8
	.type	_ZN7rocprim17ROCPRIM_400000_NS6detail17trampoline_kernelINS0_14default_configENS1_20scan_config_selectorIjEEZZNS1_9scan_implILNS1_25lookback_scan_determinismE0ELb0ELb0ES3_N6thrust23THRUST_200600_302600_NS6detail15normal_iteratorINS9_10device_ptrIjEEEESE_j11max_functorIjEjEEDaPvRmT3_T4_T5_mT6_P12ihipStream_tbENKUlT_T0_E_clISt17integral_constantIbLb1EESU_EEDaSP_SQ_EUlSP_E_NS1_11comp_targetILNS1_3genE4ELNS1_11target_archE910ELNS1_3gpuE8ELNS1_3repE0EEENS1_30default_config_static_selectorELNS0_4arch9wavefront6targetE1EEEvT1_,@function
_ZN7rocprim17ROCPRIM_400000_NS6detail17trampoline_kernelINS0_14default_configENS1_20scan_config_selectorIjEEZZNS1_9scan_implILNS1_25lookback_scan_determinismE0ELb0ELb0ES3_N6thrust23THRUST_200600_302600_NS6detail15normal_iteratorINS9_10device_ptrIjEEEESE_j11max_functorIjEjEEDaPvRmT3_T4_T5_mT6_P12ihipStream_tbENKUlT_T0_E_clISt17integral_constantIbLb1EESU_EEDaSP_SQ_EUlSP_E_NS1_11comp_targetILNS1_3genE4ELNS1_11target_archE910ELNS1_3gpuE8ELNS1_3repE0EEENS1_30default_config_static_selectorELNS0_4arch9wavefront6targetE1EEEvT1_: ; @_ZN7rocprim17ROCPRIM_400000_NS6detail17trampoline_kernelINS0_14default_configENS1_20scan_config_selectorIjEEZZNS1_9scan_implILNS1_25lookback_scan_determinismE0ELb0ELb0ES3_N6thrust23THRUST_200600_302600_NS6detail15normal_iteratorINS9_10device_ptrIjEEEESE_j11max_functorIjEjEEDaPvRmT3_T4_T5_mT6_P12ihipStream_tbENKUlT_T0_E_clISt17integral_constantIbLb1EESU_EEDaSP_SQ_EUlSP_E_NS1_11comp_targetILNS1_3genE4ELNS1_11target_archE910ELNS1_3gpuE8ELNS1_3repE0EEENS1_30default_config_static_selectorELNS0_4arch9wavefront6targetE1EEEvT1_
; %bb.0:
	s_load_dwordx2 s[6:7], s[4:5], 0x28
	v_cmp_ne_u32_e64 s[0:1], 0, v0
	v_cmp_eq_u32_e64 s[2:3], 0, v0
	s_and_saveexec_b64 s[8:9], s[2:3]
	s_cbranch_execz .LBB2275_4
; %bb.1:
	s_mov_b64 s[12:13], exec
	v_mbcnt_lo_u32_b32 v1, s12, 0
	v_mbcnt_hi_u32_b32 v1, s13, v1
	v_cmp_eq_u32_e32 vcc, 0, v1
                                        ; implicit-def: $vgpr2
	s_and_saveexec_b64 s[10:11], vcc
	s_cbranch_execz .LBB2275_3
; %bb.2:
	s_load_dwordx2 s[14:15], s[4:5], 0x58
	s_bcnt1_i32_b64 s12, s[12:13]
	v_mov_b32_e32 v2, 0
	v_mov_b32_e32 v3, s12
	s_waitcnt lgkmcnt(0)
	global_atomic_add v2, v2, v3, s[14:15] glc
.LBB2275_3:
	s_or_b64 exec, exec, s[10:11]
	s_waitcnt vmcnt(0)
	v_readfirstlane_b32 s10, v2
	v_add_u32_e32 v1, s10, v1
	v_mov_b32_e32 v2, 0
	ds_write_b32 v2, v1
.LBB2275_4:
	s_or_b64 exec, exec, s[8:9]
	s_load_dwordx8 s[16:23], s[4:5], 0x0
	s_load_dword s24, s[4:5], 0x30
	s_load_dwordx8 s[8:15], s[4:5], 0x38
	v_mov_b32_e32 v1, 0
	s_waitcnt lgkmcnt(0)
	s_barrier
	ds_read_b32 v1, v1
	s_lshl_b64 s[18:19], s[18:19], 2
	s_add_u32 s25, s16, s18
	s_addc_u32 s26, s17, s19
	s_add_i32 s16, s24, -1
	s_mul_i32 s17, s16, 0x500
	s_sub_u32 s30, s22, s17
	s_waitcnt lgkmcnt(0)
	v_readfirstlane_b32 s33, v1
	s_subb_u32 s31, s23, 0
	s_mul_i32 s4, s33, 0x500
	s_mov_b32 s5, 0
	s_cmp_lg_u32 s33, s16
	s_cselect_b64 s[16:17], -1, 0
	s_lshl_b64 s[22:23], s[4:5], 2
	s_add_u32 s24, s25, s22
	s_addc_u32 s25, s26, s23
	s_mov_b64 s[4:5], -1
	s_and_b64 vcc, exec, s[16:17]
	v_lshlrev_b32_e32 v22, 2, v0
	s_barrier
	s_cbranch_vccz .LBB2275_6
; %bb.5:
	v_mov_b32_e32 v1, s25
	v_add_co_u32_e32 v2, vcc, s24, v22
	v_addc_co_u32_e32 v3, vcc, 0, v1, vcc
	flat_load_dword v1, v[2:3]
	flat_load_dword v4, v[2:3] offset:512
	flat_load_dword v5, v[2:3] offset:1024
	;; [unrolled: 1-line block ×7, first 2 shown]
	v_add_co_u32_e32 v2, vcc, 0x1000, v2
	v_addc_co_u32_e32 v3, vcc, 0, v3, vcc
	flat_load_dword v11, v[2:3]
	flat_load_dword v12, v[2:3] offset:512
	s_mov_b64 s[4:5], 0
	s_waitcnt vmcnt(0) lgkmcnt(0)
	ds_write2st64_b32 v22, v1, v4 offset1:2
	ds_write2st64_b32 v22, v5, v6 offset0:4 offset1:6
	ds_write2st64_b32 v22, v7, v8 offset0:8 offset1:10
	;; [unrolled: 1-line block ×4, first 2 shown]
	s_waitcnt lgkmcnt(0)
	s_barrier
.LBB2275_6:
	s_andn2_b64 vcc, exec, s[4:5]
	v_cmp_gt_u32_e64 s[4:5], s30, v0
	s_cbranch_vccnz .LBB2275_28
; %bb.7:
	v_pk_mov_b32 v[2:3], s[24:25], s[24:25] op_sel:[0,1]
	flat_load_dword v1, v[2:3]
	s_waitcnt vmcnt(0) lgkmcnt(0)
	v_mov_b32_e32 v2, v1
	v_mov_b32_e32 v3, v1
	;; [unrolled: 1-line block ×9, first 2 shown]
	s_and_saveexec_b64 s[26:27], s[4:5]
	s_cbranch_execz .LBB2275_9
; %bb.8:
	v_mov_b32_e32 v11, s25
	v_add_co_u32_e32 v10, vcc, s24, v22
	v_addc_co_u32_e32 v11, vcc, 0, v11, vcc
	flat_load_dword v10, v[10:11]
.LBB2275_9:
	s_or_b64 exec, exec, s[26:27]
	v_or_b32_e32 v11, 0x80, v0
	v_cmp_gt_u32_e32 vcc, s30, v11
	s_and_saveexec_b64 s[4:5], vcc
	s_cbranch_execz .LBB2275_11
; %bb.10:
	v_mov_b32_e32 v1, s25
	v_add_co_u32_e32 v12, vcc, s24, v22
	v_addc_co_u32_e32 v13, vcc, 0, v1, vcc
	flat_load_dword v1, v[12:13] offset:512
.LBB2275_11:
	s_or_b64 exec, exec, s[4:5]
	v_or_b32_e32 v11, 0x100, v0
	v_cmp_gt_u32_e32 vcc, s30, v11
	s_and_saveexec_b64 s[4:5], vcc
	s_cbranch_execz .LBB2275_13
; %bb.12:
	v_mov_b32_e32 v2, s25
	v_add_co_u32_e32 v12, vcc, s24, v22
	v_addc_co_u32_e32 v13, vcc, 0, v2, vcc
	flat_load_dword v2, v[12:13] offset:1024
.LBB2275_13:
	;; [unrolled: 11-line block ×7, first 2 shown]
	s_or_b64 exec, exec, s[4:5]
	v_or_b32_e32 v11, 0x400, v0
	v_cmp_gt_u32_e32 vcc, s30, v11
	s_and_saveexec_b64 s[4:5], vcc
	s_cbranch_execz .LBB2275_25
; %bb.24:
	v_lshlrev_b32_e32 v8, 2, v11
	v_mov_b32_e32 v11, s25
	v_add_co_u32_e32 v12, vcc, s24, v8
	v_addc_co_u32_e32 v13, vcc, 0, v11, vcc
	flat_load_dword v8, v[12:13]
.LBB2275_25:
	s_or_b64 exec, exec, s[4:5]
	v_or_b32_e32 v11, 0x480, v0
	v_cmp_gt_u32_e32 vcc, s30, v11
	s_and_saveexec_b64 s[4:5], vcc
	s_cbranch_execz .LBB2275_27
; %bb.26:
	v_lshlrev_b32_e32 v9, 2, v11
	v_mov_b32_e32 v11, s25
	v_add_co_u32_e32 v12, vcc, s24, v9
	v_addc_co_u32_e32 v13, vcc, 0, v11, vcc
	flat_load_dword v9, v[12:13]
.LBB2275_27:
	s_or_b64 exec, exec, s[4:5]
	s_waitcnt vmcnt(0) lgkmcnt(0)
	ds_write2st64_b32 v22, v10, v1 offset1:2
	ds_write2st64_b32 v22, v2, v3 offset0:4 offset1:6
	ds_write2st64_b32 v22, v4, v5 offset0:8 offset1:10
	;; [unrolled: 1-line block ×4, first 2 shown]
	s_waitcnt lgkmcnt(0)
	s_barrier
.LBB2275_28:
	v_mul_u32_u24_e32 v23, 10, v0
	v_lshlrev_b32_e32 v24, 2, v23
	ds_read2_b64 v[2:5], v24 offset1:1
	ds_read2_b64 v[16:19], v24 offset0:2 offset1:3
	ds_read_b64 v[20:21], v24 offset:32
	s_cmp_lg_u32 s33, 0
	v_lshrrev_b32_e32 v1, 5, v0
	v_cmp_gt_u32_e32 vcc, 64, v0
	s_waitcnt lgkmcnt(0)
	s_barrier
	s_cbranch_scc0 .LBB2275_57
; %bb.29:
	v_max_u32_e32 v6, v2, v3
	v_max3_u32 v6, v6, v4, v5
	v_max3_u32 v6, v6, v16, v17
	;; [unrolled: 1-line block ×4, first 2 shown]
	v_add_lshl_u32 v6, v1, v0, 2
	ds_write_b32 v6, v25
	s_waitcnt lgkmcnt(0)
	s_barrier
	s_and_saveexec_b64 s[24:25], vcc
	s_cbranch_execz .LBB2275_31
; %bb.30:
	v_lshlrev_b32_e32 v6, 1, v0
	v_lshrrev_b32_e32 v7, 4, v0
	v_add_lshl_u32 v8, v7, v6, 2
	ds_read2_b32 v[6:7], v8 offset1:1
	v_mbcnt_lo_u32_b32 v9, -1, 0
	v_mbcnt_hi_u32_b32 v9, -1, v9
	v_and_b32_e32 v10, 15, v9
	v_cmp_eq_u32_e64 s[4:5], 0, v10
	s_waitcnt lgkmcnt(0)
	v_max_u32_e32 v7, v6, v7
	; wave barrier
	s_nop 1
	v_mov_b32_dpp v11, v7 row_shr:1 row_mask:0xf bank_mask:0xf
	v_max_u32_e32 v11, v11, v7
	v_cndmask_b32_e64 v7, v11, v7, s[4:5]
	v_cmp_lt_u32_e64 s[4:5], 1, v10
	s_nop 0
	v_mov_b32_dpp v11, v7 row_shr:2 row_mask:0xf bank_mask:0xf
	v_max_u32_e32 v11, v11, v7
	v_cndmask_b32_e64 v7, v7, v11, s[4:5]
	v_cmp_lt_u32_e64 s[4:5], 3, v10
	;; [unrolled: 5-line block ×3, first 2 shown]
	s_nop 0
	v_mov_b32_dpp v11, v7 row_shr:8 row_mask:0xf bank_mask:0xf
	v_max_u32_e32 v11, v11, v7
	v_cndmask_b32_e64 v7, v7, v11, s[4:5]
	v_and_b32_e32 v11, 16, v9
	v_cmp_eq_u32_e64 s[4:5], 0, v11
	v_mov_b32_dpp v10, v7 row_bcast:15 row_mask:0xf bank_mask:0xf
	v_max_u32_e32 v10, v10, v7
	v_cndmask_b32_e64 v7, v10, v7, s[4:5]
	v_cmp_lt_u32_e64 s[4:5], 31, v9
	v_and_b32_e32 v11, 64, v9
	v_mov_b32_dpp v10, v7 row_bcast:31 row_mask:0xf bank_mask:0xf
	v_max_u32_e32 v10, v10, v7
	v_cndmask_b32_e64 v7, v7, v10, s[4:5]
	v_add_u32_e32 v10, -1, v9
	v_cmp_lt_i32_e64 s[4:5], v10, v11
	v_cndmask_b32_e64 v9, v10, v9, s[4:5]
	v_lshlrev_b32_e32 v9, 2, v9
	ds_bpermute_b32 v7, v9, v7
	s_waitcnt lgkmcnt(0)
	v_max_u32_e32 v6, v7, v6
	v_cndmask_b32_e64 v6, v6, v25, s[2:3]
	ds_write_b32 v8, v6
	; wave barrier
	ds_read_b32 v7, v8 offset:4
	s_waitcnt lgkmcnt(0)
	v_max_u32_e32 v6, v6, v7
	ds_write_b32 v8, v6 offset:4
.LBB2275_31:
	s_or_b64 exec, exec, s[24:25]
	s_waitcnt lgkmcnt(0)
	s_barrier
	s_and_saveexec_b64 s[4:5], s[0:1]
	s_cbranch_execz .LBB2275_33
; %bb.32:
	v_add_u32_e32 v6, -1, v0
	v_lshrrev_b32_e32 v7, 5, v6
	v_add_lshl_u32 v6, v7, v6, 2
	ds_read_b32 v25, v6
.LBB2275_33:
	s_or_b64 exec, exec, s[4:5]
	s_and_saveexec_b64 s[24:25], vcc
	s_cbranch_execz .LBB2275_56
; %bb.34:
	v_mov_b32_e32 v15, 0
	ds_read_b32 v6, v15 offset:520
	v_mbcnt_lo_u32_b32 v7, -1, 0
	v_mbcnt_hi_u32_b32 v9, -1, v7
	s_mov_b32 s29, 0
	v_cmp_eq_u32_e64 s[4:5], 0, v9
	s_and_saveexec_b64 s[26:27], s[4:5]
	s_cbranch_execz .LBB2275_36
; %bb.35:
	s_add_i32 s28, s33, 64
	s_lshl_b64 s[28:29], s[28:29], 3
	s_add_u32 s28, s6, s28
	v_mov_b32_e32 v7, 1
	s_addc_u32 s29, s7, s29
	s_waitcnt lgkmcnt(0)
	global_store_dwordx2 v15, v[6:7], s[28:29]
.LBB2275_36:
	s_or_b64 exec, exec, s[26:27]
	v_xad_u32 v8, v9, -1, s33
	v_add_u32_e32 v14, 64, v8
	v_lshlrev_b64 v[10:11], 3, v[14:15]
	v_mov_b32_e32 v7, s7
	v_add_co_u32_e32 v10, vcc, s6, v10
	v_addc_co_u32_e32 v11, vcc, v7, v11, vcc
	global_load_dwordx2 v[12:13], v[10:11], off glc
	s_waitcnt vmcnt(0)
	v_cmp_eq_u16_sdwa s[28:29], v13, v15 src0_sel:BYTE_0 src1_sel:DWORD
	s_and_saveexec_b64 s[26:27], s[28:29]
	s_cbranch_execz .LBB2275_42
; %bb.37:
	s_mov_b32 s34, 1
	s_mov_b64 s[28:29], 0
	v_mov_b32_e32 v7, 0
.LBB2275_38:                            ; =>This Loop Header: Depth=1
                                        ;     Child Loop BB2275_39 Depth 2
	s_max_u32 s35, s34, 1
.LBB2275_39:                            ;   Parent Loop BB2275_38 Depth=1
                                        ; =>  This Inner Loop Header: Depth=2
	s_add_i32 s35, s35, -1
	s_cmp_eq_u32 s35, 0
	s_sleep 1
	s_cbranch_scc0 .LBB2275_39
; %bb.40:                               ;   in Loop: Header=BB2275_38 Depth=1
	global_load_dwordx2 v[12:13], v[10:11], off glc
	s_cmp_lt_u32 s34, 32
	s_cselect_b64 s[36:37], -1, 0
	s_cmp_lg_u64 s[36:37], 0
	s_addc_u32 s34, s34, 0
	s_waitcnt vmcnt(0)
	v_cmp_ne_u16_sdwa s[36:37], v13, v7 src0_sel:BYTE_0 src1_sel:DWORD
	s_or_b64 s[28:29], s[36:37], s[28:29]
	s_andn2_b64 exec, exec, s[28:29]
	s_cbranch_execnz .LBB2275_38
; %bb.41:
	s_or_b64 exec, exec, s[28:29]
.LBB2275_42:
	s_or_b64 exec, exec, s[26:27]
	v_and_b32_e32 v26, 63, v9
	v_cmp_ne_u32_e32 vcc, 63, v26
	v_mov_b32_e32 v7, 2
	v_addc_co_u32_e32 v27, vcc, 0, v9, vcc
	v_cmp_eq_u16_sdwa s[26:27], v13, v7 src0_sel:BYTE_0 src1_sel:DWORD
	v_lshlrev_b64 v[10:11], v9, -1
	v_lshlrev_b32_e32 v27, 2, v27
	v_and_b32_e32 v14, s27, v11
	ds_bpermute_b32 v28, v27, v12
	v_or_b32_e32 v14, 0x80000000, v14
	v_and_b32_e32 v15, s26, v10
	v_ffbl_b32_e32 v14, v14
	v_add_u32_e32 v14, 32, v14
	v_ffbl_b32_e32 v15, v15
	v_min_u32_e32 v14, v15, v14
	s_waitcnt lgkmcnt(0)
	v_max_u32_e32 v15, v28, v12
	v_cmp_lt_u32_e32 vcc, v26, v14
	v_cndmask_b32_e32 v12, v12, v15, vcc
	v_cmp_gt_u32_e32 vcc, 62, v26
	v_cndmask_b32_e64 v15, 0, 1, vcc
	v_lshlrev_b32_e32 v15, 1, v15
	v_add_lshl_u32 v28, v15, v9, 2
	ds_bpermute_b32 v15, v28, v12
	v_add_u32_e32 v29, 2, v26
	v_cmp_gt_u32_e32 vcc, v29, v14
	v_add_u32_e32 v31, 4, v26
	v_add_u32_e32 v33, 8, v26
	s_waitcnt lgkmcnt(0)
	v_max_u32_e32 v15, v15, v12
	v_cndmask_b32_e32 v12, v15, v12, vcc
	v_cmp_gt_u32_e32 vcc, 60, v26
	v_cndmask_b32_e64 v15, 0, 1, vcc
	v_lshlrev_b32_e32 v15, 2, v15
	v_add_lshl_u32 v30, v15, v9, 2
	ds_bpermute_b32 v15, v30, v12
	v_cmp_gt_u32_e32 vcc, v31, v14
	v_add_u32_e32 v36, 16, v26
	v_add_u32_e32 v38, 32, v26
	s_waitcnt lgkmcnt(0)
	v_max_u32_e32 v15, v15, v12
	v_cndmask_b32_e32 v12, v15, v12, vcc
	v_cmp_gt_u32_e32 vcc, 56, v26
	v_cndmask_b32_e64 v15, 0, 1, vcc
	v_lshlrev_b32_e32 v15, 3, v15
	v_add_lshl_u32 v32, v15, v9, 2
	ds_bpermute_b32 v15, v32, v12
	v_cmp_gt_u32_e32 vcc, v33, v14
	s_waitcnt lgkmcnt(0)
	v_max_u32_e32 v15, v15, v12
	v_cndmask_b32_e32 v12, v15, v12, vcc
	v_cmp_gt_u32_e32 vcc, 48, v26
	v_cndmask_b32_e64 v15, 0, 1, vcc
	v_lshlrev_b32_e32 v15, 4, v15
	v_add_lshl_u32 v34, v15, v9, 2
	ds_bpermute_b32 v15, v34, v12
	v_cmp_gt_u32_e32 vcc, v36, v14
	;; [unrolled: 9-line block ×3, first 2 shown]
	s_waitcnt lgkmcnt(0)
	v_max_u32_e32 v9, v9, v12
	v_cndmask_b32_e32 v12, v9, v12, vcc
	v_mov_b32_e32 v9, 0
	s_branch .LBB2275_44
.LBB2275_43:                            ;   in Loop: Header=BB2275_44 Depth=1
	s_or_b64 exec, exec, s[26:27]
	v_cmp_eq_u16_sdwa s[26:27], v13, v7 src0_sel:BYTE_0 src1_sel:DWORD
	v_and_b32_e32 v14, s27, v11
	ds_bpermute_b32 v39, v27, v12
	v_or_b32_e32 v14, 0x80000000, v14
	v_and_b32_e32 v15, s26, v10
	v_ffbl_b32_e32 v14, v14
	v_add_u32_e32 v14, 32, v14
	v_ffbl_b32_e32 v15, v15
	v_min_u32_e32 v14, v15, v14
	s_waitcnt lgkmcnt(0)
	v_max_u32_e32 v15, v39, v12
	v_cmp_lt_u32_e32 vcc, v26, v14
	v_cndmask_b32_e32 v12, v12, v15, vcc
	ds_bpermute_b32 v15, v28, v12
	v_cmp_gt_u32_e32 vcc, v29, v14
	v_subrev_u32_e32 v8, 64, v8
	s_waitcnt lgkmcnt(0)
	v_max_u32_e32 v15, v15, v12
	v_cndmask_b32_e32 v12, v15, v12, vcc
	ds_bpermute_b32 v15, v30, v12
	v_cmp_gt_u32_e32 vcc, v31, v14
	s_waitcnt lgkmcnt(0)
	v_max_u32_e32 v15, v15, v12
	v_cndmask_b32_e32 v12, v15, v12, vcc
	ds_bpermute_b32 v15, v32, v12
	v_cmp_gt_u32_e32 vcc, v33, v14
	;; [unrolled: 5-line block ×4, first 2 shown]
	s_waitcnt lgkmcnt(0)
	v_max_u32_e32 v15, v15, v12
	v_cndmask_b32_e32 v12, v15, v12, vcc
	v_max_u32_e32 v12, v12, v35
.LBB2275_44:                            ; =>This Loop Header: Depth=1
                                        ;     Child Loop BB2275_47 Depth 2
                                        ;       Child Loop BB2275_48 Depth 3
	v_cmp_ne_u16_sdwa s[26:27], v13, v7 src0_sel:BYTE_0 src1_sel:DWORD
	v_cndmask_b32_e64 v13, 0, 1, s[26:27]
	;;#ASMSTART
	;;#ASMEND
	v_cmp_ne_u32_e32 vcc, 0, v13
	s_cmp_lg_u64 vcc, exec
	v_mov_b32_e32 v35, v12
	s_cbranch_scc1 .LBB2275_51
; %bb.45:                               ;   in Loop: Header=BB2275_44 Depth=1
	v_lshlrev_b64 v[12:13], 3, v[8:9]
	v_mov_b32_e32 v15, s7
	v_add_co_u32_e32 v14, vcc, s6, v12
	v_addc_co_u32_e32 v15, vcc, v15, v13, vcc
	global_load_dwordx2 v[12:13], v[14:15], off glc
	s_waitcnt vmcnt(0)
	v_cmp_eq_u16_sdwa s[28:29], v13, v9 src0_sel:BYTE_0 src1_sel:DWORD
	s_and_saveexec_b64 s[26:27], s[28:29]
	s_cbranch_execz .LBB2275_43
; %bb.46:                               ;   in Loop: Header=BB2275_44 Depth=1
	s_mov_b32 s34, 1
	s_mov_b64 s[28:29], 0
.LBB2275_47:                            ;   Parent Loop BB2275_44 Depth=1
                                        ; =>  This Loop Header: Depth=2
                                        ;       Child Loop BB2275_48 Depth 3
	s_max_u32 s35, s34, 1
.LBB2275_48:                            ;   Parent Loop BB2275_44 Depth=1
                                        ;     Parent Loop BB2275_47 Depth=2
                                        ; =>    This Inner Loop Header: Depth=3
	s_add_i32 s35, s35, -1
	s_cmp_eq_u32 s35, 0
	s_sleep 1
	s_cbranch_scc0 .LBB2275_48
; %bb.49:                               ;   in Loop: Header=BB2275_47 Depth=2
	global_load_dwordx2 v[12:13], v[14:15], off glc
	s_cmp_lt_u32 s34, 32
	s_cselect_b64 s[36:37], -1, 0
	s_cmp_lg_u64 s[36:37], 0
	s_addc_u32 s34, s34, 0
	s_waitcnt vmcnt(0)
	v_cmp_ne_u16_sdwa s[36:37], v13, v9 src0_sel:BYTE_0 src1_sel:DWORD
	s_or_b64 s[28:29], s[36:37], s[28:29]
	s_andn2_b64 exec, exec, s[28:29]
	s_cbranch_execnz .LBB2275_47
; %bb.50:                               ;   in Loop: Header=BB2275_44 Depth=1
	s_or_b64 exec, exec, s[28:29]
	s_branch .LBB2275_43
.LBB2275_51:                            ;   in Loop: Header=BB2275_44 Depth=1
                                        ; implicit-def: $vgpr12
                                        ; implicit-def: $vgpr13
	s_cbranch_execz .LBB2275_44
; %bb.52:
	s_and_saveexec_b64 s[26:27], s[4:5]
	s_cbranch_execz .LBB2275_54
; %bb.53:
	s_add_i32 s4, s33, 64
	s_mov_b32 s5, 0
	s_lshl_b64 s[4:5], s[4:5], 3
	s_add_u32 s4, s6, s4
	v_max_u32_e32 v6, v35, v6
	v_mov_b32_e32 v7, 2
	s_addc_u32 s5, s7, s5
	v_mov_b32_e32 v8, 0
	global_store_dwordx2 v8, v[6:7], s[4:5]
.LBB2275_54:
	s_or_b64 exec, exec, s[26:27]
	s_and_b64 exec, exec, s[2:3]
	s_cbranch_execz .LBB2275_56
; %bb.55:
	v_mov_b32_e32 v6, 0
	ds_write_b32 v6, v35
.LBB2275_56:
	s_or_b64 exec, exec, s[24:25]
	v_mov_b32_e32 v6, 0
	s_waitcnt lgkmcnt(0)
	s_barrier
	ds_read_b32 v6, v6
	v_max_u32_e32 v7, v25, v2
	v_cndmask_b32_e64 v7, v7, v2, s[2:3]
	s_waitcnt lgkmcnt(0)
	v_max_u32_e32 v6, v6, v7
	v_max_u32_e32 v7, v6, v3
	;; [unrolled: 1-line block ×10, first 2 shown]
	s_branch .LBB2275_69
.LBB2275_57:
                                        ; implicit-def: $vgpr6_vgpr7_vgpr8_vgpr9_vgpr10_vgpr11_vgpr12_vgpr13_vgpr14_vgpr15
	s_cbranch_execz .LBB2275_69
; %bb.58:
	s_cmp_lg_u64 s[12:13], 0
	s_cselect_b64 s[4:5], -1, 0
	s_and_b64 s[12:13], s[2:3], s[4:5]
	v_mov_b32_e32 v12, v3
	v_mov_b32_e32 v13, v4
	;; [unrolled: 1-line block ×3, first 2 shown]
	s_and_saveexec_b64 s[4:5], s[12:13]
	s_cbranch_execz .LBB2275_60
; %bb.59:
	v_mov_b32_e32 v6, 0
	global_load_dword v6, v6, s[8:9]
	v_mov_b32_e32 v12, v3
	v_mov_b32_e32 v13, v4
	;; [unrolled: 1-line block ×3, first 2 shown]
	s_waitcnt vmcnt(0)
	v_max_u32_e32 v2, v6, v2
.LBB2275_60:
	s_or_b64 exec, exec, s[4:5]
	v_max_u32_e32 v3, v2, v12
	v_max_u32_e32 v4, v3, v13
	;; [unrolled: 1-line block ×9, first 2 shown]
	v_add_lshl_u32 v1, v1, v0, 2
	v_cmp_gt_u32_e32 vcc, 64, v0
	ds_write_b32 v1, v11
	s_waitcnt lgkmcnt(0)
	s_barrier
	s_and_saveexec_b64 s[4:5], vcc
	s_cbranch_execz .LBB2275_62
; %bb.61:
	v_lshlrev_b32_e32 v1, 1, v0
	v_lshrrev_b32_e32 v15, 4, v0
	v_add_lshl_u32 v1, v15, v1, 2
	ds_read2_b32 v[26:27], v1 offset1:1
	v_mbcnt_lo_u32_b32 v15, -1, 0
	v_mbcnt_hi_u32_b32 v15, -1, v15
	v_and_b32_e32 v25, 15, v15
	v_cmp_eq_u32_e32 vcc, 0, v25
	s_waitcnt lgkmcnt(0)
	v_max_u32_e32 v27, v26, v27
	; wave barrier
	s_nop 1
	v_mov_b32_dpp v28, v27 row_shr:1 row_mask:0xf bank_mask:0xf
	v_max_u32_e32 v28, v28, v27
	v_cndmask_b32_e32 v27, v28, v27, vcc
	v_cmp_lt_u32_e32 vcc, 1, v25
	s_nop 0
	v_mov_b32_dpp v28, v27 row_shr:2 row_mask:0xf bank_mask:0xf
	v_max_u32_e32 v28, v28, v27
	v_cndmask_b32_e32 v27, v27, v28, vcc
	v_cmp_lt_u32_e32 vcc, 3, v25
	;; [unrolled: 5-line block ×3, first 2 shown]
	s_nop 0
	v_mov_b32_dpp v28, v27 row_shr:8 row_mask:0xf bank_mask:0xf
	v_max_u32_e32 v28, v28, v27
	v_cndmask_b32_e32 v25, v27, v28, vcc
	v_and_b32_e32 v28, 16, v15
	v_cmp_eq_u32_e32 vcc, 0, v28
	v_mov_b32_dpp v27, v25 row_bcast:15 row_mask:0xf bank_mask:0xf
	v_max_u32_e32 v27, v27, v25
	v_cndmask_b32_e32 v25, v27, v25, vcc
	v_cmp_lt_u32_e32 vcc, 31, v15
	v_and_b32_e32 v28, 64, v15
	v_mov_b32_dpp v27, v25 row_bcast:31 row_mask:0xf bank_mask:0xf
	v_max_u32_e32 v27, v27, v25
	v_cndmask_b32_e32 v25, v25, v27, vcc
	v_add_u32_e32 v27, -1, v15
	v_cmp_lt_i32_e32 vcc, v27, v28
	v_cndmask_b32_e32 v15, v27, v15, vcc
	v_lshlrev_b32_e32 v15, 2, v15
	ds_bpermute_b32 v15, v15, v25
	s_waitcnt lgkmcnt(0)
	v_max_u32_e32 v15, v15, v26
	v_cndmask_b32_e64 v15, v15, v11, s[2:3]
	ds_write_b32 v1, v15
	; wave barrier
	ds_read_b32 v25, v1 offset:4
	s_waitcnt lgkmcnt(0)
	v_max_u32_e32 v15, v15, v25
	ds_write_b32 v1, v15 offset:4
.LBB2275_62:
	s_or_b64 exec, exec, s[4:5]
	v_mov_b32_e32 v1, v11
	s_waitcnt lgkmcnt(0)
	s_barrier
	s_and_saveexec_b64 s[2:3], s[0:1]
	s_cbranch_execz .LBB2275_64
; %bb.63:
	v_add_u32_e32 v1, -1, v0
	v_lshrrev_b32_e32 v15, 5, v1
	v_add_lshl_u32 v1, v15, v1, 2
	ds_read_b32 v1, v1
.LBB2275_64:
	s_or_b64 exec, exec, s[2:3]
	s_and_saveexec_b64 s[2:3], s[0:1]
	s_cbranch_execz .LBB2275_66
; %bb.65:
	s_waitcnt lgkmcnt(0)
	v_max_u32_e32 v2, v1, v2
	v_max_u32_e32 v3, v2, v12
	;; [unrolled: 1-line block ×10, first 2 shown]
	;;#ASMSTART
	;;#ASMEND
.LBB2275_66:
	s_or_b64 exec, exec, s[2:3]
	s_movk_i32 s0, 0x7f
	v_cmp_eq_u32_e32 vcc, s0, v0
	s_and_saveexec_b64 s[0:1], vcc
	s_cbranch_execz .LBB2275_68
; %bb.67:
	s_waitcnt lgkmcnt(0)
	v_mov_b32_e32 v1, 0
	v_mov_b32_e32 v13, 2
	;; [unrolled: 1-line block ×3, first 2 shown]
	global_store_dwordx2 v1, v[12:13], s[6:7] offset:512
.LBB2275_68:
	s_or_b64 exec, exec, s[0:1]
	v_pk_mov_b32 v[14:15], v[10:11], v[10:11] op_sel:[0,1]
	v_pk_mov_b32 v[12:13], v[8:9], v[8:9] op_sel:[0,1]
	;; [unrolled: 1-line block ×5, first 2 shown]
.LBB2275_69:
	s_add_u32 s0, s20, s18
	s_addc_u32 s1, s21, s19
	s_add_u32 s2, s0, s22
	s_addc_u32 s3, s1, s23
	s_mov_b64 s[0:1], -1
	s_and_b64 vcc, exec, s[16:17]
	s_waitcnt lgkmcnt(0)
	s_barrier
	s_cbranch_vccz .LBB2275_71
; %bb.70:
	ds_write2_b64 v24, v[6:7], v[8:9] offset1:1
	ds_write2_b64 v24, v[10:11], v[12:13] offset0:2 offset1:3
	ds_write_b64 v24, v[14:15] offset:32
	s_waitcnt lgkmcnt(0)
	s_barrier
	ds_read2st64_b32 v[2:3], v22 offset1:2
	ds_read2st64_b32 v[4:5], v22 offset0:4 offset1:6
	ds_read2st64_b32 v[16:17], v22 offset0:8 offset1:10
	;; [unrolled: 1-line block ×4, first 2 shown]
	v_mov_b32_e32 v1, s3
	v_add_co_u32_e32 v26, vcc, s2, v22
	v_addc_co_u32_e32 v27, vcc, 0, v1, vcc
	s_waitcnt lgkmcnt(4)
	flat_store_dword v[26:27], v2
	flat_store_dword v[26:27], v3 offset:512
	s_waitcnt lgkmcnt(0)
	flat_store_dword v[26:27], v4 offset:1024
	flat_store_dword v[26:27], v5 offset:1536
	;; [unrolled: 1-line block ×6, first 2 shown]
	v_add_co_u32_e32 v2, vcc, 0x1000, v26
	v_addc_co_u32_e32 v3, vcc, 0, v27, vcc
	flat_store_dword v[2:3], v20
	flat_store_dword v[2:3], v21 offset:512
	s_mov_b64 s[0:1], 0
.LBB2275_71:
	s_andn2_b64 vcc, exec, s[0:1]
	s_cbranch_vccnz .LBB2275_127
; %bb.72:
	s_movk_i32 s0, 0xffdc
	ds_write2_b64 v24, v[6:7], v[8:9] offset1:1
	ds_write2_b64 v24, v[10:11], v[12:13] offset0:2 offset1:3
	ds_write_b64 v24, v[14:15] offset:32
	v_mad_i32_i24 v10, v0, s0, v24
	s_waitcnt lgkmcnt(0)
	s_barrier
	ds_read2st64_b32 v[2:3], v10 offset1:2
	ds_read2st64_b32 v[6:7], v10 offset0:4 offset1:6
	ds_read2st64_b32 v[4:5], v10 offset0:8 offset1:10
	;; [unrolled: 1-line block ×4, first 2 shown]
	v_mov_b32_e32 v13, s3
	v_add_co_u32_e32 v12, vcc, s2, v22
	v_addc_co_u32_e32 v13, vcc, 0, v13, vcc
	v_mov_b32_e32 v1, 0
	v_cmp_gt_u32_e32 vcc, s30, v0
	s_and_saveexec_b64 s[0:1], vcc
	s_cbranch_execz .LBB2275_74
; %bb.73:
	s_waitcnt lgkmcnt(0)
	flat_store_dword v[12:13], v2
.LBB2275_74:
	s_or_b64 exec, exec, s[0:1]
	v_or_b32_e32 v14, 0x80, v0
	v_cmp_gt_u32_e32 vcc, s30, v14
	s_and_saveexec_b64 s[0:1], vcc
	s_cbranch_execz .LBB2275_76
; %bb.75:
	s_waitcnt lgkmcnt(0)
	flat_store_dword v[12:13], v3 offset:512
.LBB2275_76:
	s_or_b64 exec, exec, s[0:1]
	v_or_b32_e32 v14, 0x100, v0
	v_cmp_gt_u32_e32 vcc, s30, v14
	s_and_saveexec_b64 s[0:1], vcc
	s_cbranch_execz .LBB2275_78
; %bb.77:
	s_waitcnt lgkmcnt(0)
	flat_store_dword v[12:13], v6 offset:1024
.LBB2275_78:
	;; [unrolled: 9-line block ×7, first 2 shown]
	s_or_b64 exec, exec, s[0:1]
	v_or_b32_e32 v14, 0x400, v0
	v_cmp_gt_u32_e32 vcc, s30, v14
	s_and_saveexec_b64 s[0:1], vcc
	s_cbranch_execz .LBB2275_90
; %bb.89:
	v_add_co_u32_e32 v14, vcc, 0x1000, v12
	v_addc_co_u32_e32 v15, vcc, 0, v13, vcc
	s_waitcnt lgkmcnt(0)
	flat_store_dword v[14:15], v10
.LBB2275_90:
	s_or_b64 exec, exec, s[0:1]
	v_or_b32_e32 v14, 0x480, v0
	v_cmp_gt_u32_e32 vcc, s30, v14
	s_and_saveexec_b64 s[0:1], vcc
	s_cbranch_execz .LBB2275_92
; %bb.91:
	v_add_co_u32_e32 v12, vcc, 0x1000, v12
	v_addc_co_u32_e32 v13, vcc, 0, v13, vcc
	s_waitcnt lgkmcnt(0)
	flat_store_dword v[12:13], v11 offset:512
.LBB2275_92:
	s_or_b64 exec, exec, s[0:1]
	v_cmp_lt_u64_e64 s[0:1], s[14:15], 2
	s_and_b64 vcc, exec, s[0:1]
	s_cbranch_vccnz .LBB2275_127
; %bb.93:
	s_add_u32 s0, s30, -1
	s_addc_u32 s1, s31, -1
	s_add_u32 s2, 0, 0x99986000
	s_addc_u32 s3, 0, 0x59
	s_add_i32 s3, s3, 0x19999940
	s_mul_hi_u32 s7, s2, -10
	s_sub_i32 s7, s7, s2
	s_mul_i32 s8, s3, -10
	s_mul_i32 s4, s2, -10
	s_add_i32 s7, s7, s8
	s_mul_hi_u32 s5, s3, s4
	s_mul_i32 s6, s3, s4
	s_mul_i32 s9, s2, s7
	s_mul_hi_u32 s4, s2, s4
	s_mul_hi_u32 s8, s2, s7
	s_add_u32 s4, s4, s9
	s_addc_u32 s8, 0, s8
	s_add_u32 s4, s4, s6
	s_mul_hi_u32 s9, s3, s7
	s_addc_u32 s4, s8, s5
	s_addc_u32 s5, s9, 0
	s_mul_i32 s6, s3, s7
	s_add_u32 s4, s4, s6
	v_mov_b32_e32 v12, s4
	s_addc_u32 s5, 0, s5
	v_add_co_u32_e32 v12, vcc, s2, v12
	s_cmp_lg_u64 vcc, 0
	s_addc_u32 s2, s3, s5
	v_readfirstlane_b32 s5, v12
	s_mul_i32 s4, s0, s2
	s_mul_hi_u32 s6, s0, s5
	s_mul_hi_u32 s3, s0, s2
	s_add_u32 s4, s6, s4
	s_addc_u32 s3, 0, s3
	s_mul_hi_u32 s7, s1, s5
	s_mul_i32 s5, s1, s5
	s_add_u32 s4, s4, s5
	s_mul_hi_u32 s6, s1, s2
	s_addc_u32 s3, s3, s7
	s_addc_u32 s4, s6, 0
	s_mul_i32 s2, s1, s2
	s_add_u32 s2, s3, s2
	s_addc_u32 s3, 0, s4
	s_add_u32 s4, s2, 1
	s_addc_u32 s5, s3, 0
	s_add_u32 s6, s2, 2
	s_mul_i32 s8, s3, 10
	s_mul_hi_u32 s9, s2, 10
	s_addc_u32 s7, s3, 0
	s_add_i32 s9, s9, s8
	s_mul_i32 s8, s2, 10
	v_mov_b32_e32 v12, s8
	v_sub_co_u32_e32 v12, vcc, s0, v12
	s_cmp_lg_u64 vcc, 0
	s_subb_u32 s8, s1, s9
	v_subrev_co_u32_e32 v13, vcc, 10, v12
	s_cmp_lg_u64 vcc, 0
	s_subb_u32 s9, s8, 0
	v_readfirstlane_b32 s12, v13
	s_cmp_gt_u32 s12, 9
	s_cselect_b32 s12, -1, 0
	s_cmp_eq_u32 s9, 0
	s_cselect_b32 s9, s12, -1
	s_cmp_lg_u32 s9, 0
	s_cselect_b32 s4, s6, s4
	v_readfirstlane_b32 s6, v12
	s_cselect_b32 s5, s7, s5
	s_cmp_gt_u32 s6, 9
	s_cselect_b32 s6, -1, 0
	s_cmp_eq_u32 s8, 0
	s_cselect_b32 s6, s6, -1
	s_cmp_lg_u32 s6, 0
	s_cselect_b32 s3, s5, s3
	s_cselect_b32 s2, s4, s2
	v_cmp_eq_u64_e32 vcc, s[2:3], v[0:1]
	s_and_saveexec_b64 s[2:3], vcc
	s_cbranch_execz .LBB2275_127
; %bb.94:
	v_mul_hi_u32_u24_e32 v1, 10, v0
	v_mov_b32_e32 v12, s1
	v_sub_co_u32_e32 v0, vcc, s0, v23
	v_subb_co_u32_e32 v1, vcc, v12, v1, vcc
	v_cmp_lt_i64_e32 vcc, 4, v[0:1]
	s_and_saveexec_b64 s[0:1], vcc
	s_xor_b64 s[0:1], exec, s[0:1]
	s_cbranch_execz .LBB2275_112
; %bb.95:
	v_cmp_lt_i64_e32 vcc, 6, v[0:1]
	s_and_saveexec_b64 s[2:3], vcc
	s_xor_b64 s[2:3], exec, s[2:3]
	s_cbranch_execz .LBB2275_105
; %bb.96:
	;; [unrolled: 5-line block ×4, first 2 shown]
	v_mov_b32_e32 v0, 0
	s_waitcnt lgkmcnt(0)
	global_store_dword v0, v11, s[10:11]
                                        ; implicit-def: $vgpr10_vgpr11
.LBB2275_99:
	s_andn2_saveexec_b64 s[6:7], s[6:7]
	s_cbranch_execz .LBB2275_101
; %bb.100:
	v_mov_b32_e32 v0, 0
	s_waitcnt lgkmcnt(0)
	global_store_dword v0, v10, s[10:11]
.LBB2275_101:
	s_or_b64 exec, exec, s[6:7]
                                        ; implicit-def: $vgpr8_vgpr9
.LBB2275_102:
	s_andn2_saveexec_b64 s[4:5], s[4:5]
	s_cbranch_execz .LBB2275_104
; %bb.103:
	v_mov_b32_e32 v0, 0
	s_waitcnt lgkmcnt(0)
	global_store_dword v0, v9, s[10:11]
.LBB2275_104:
	s_or_b64 exec, exec, s[4:5]
                                        ; implicit-def: $vgpr4_vgpr5
                                        ; implicit-def: $vgpr0_vgpr1
                                        ; implicit-def: $vgpr8_vgpr9
.LBB2275_105:
	s_andn2_saveexec_b64 s[2:3], s[2:3]
	s_cbranch_execz .LBB2275_111
; %bb.106:
	v_cmp_lt_i64_e32 vcc, 5, v[0:1]
	s_and_saveexec_b64 s[4:5], vcc
	s_xor_b64 s[4:5], exec, s[4:5]
	s_cbranch_execz .LBB2275_108
; %bb.107:
	v_mov_b32_e32 v0, 0
	s_waitcnt lgkmcnt(0)
	global_store_dword v0, v8, s[10:11]
                                        ; implicit-def: $vgpr4_vgpr5
.LBB2275_108:
	s_andn2_saveexec_b64 s[4:5], s[4:5]
	s_cbranch_execz .LBB2275_110
; %bb.109:
	v_mov_b32_e32 v0, 0
	s_waitcnt lgkmcnt(0)
	global_store_dword v0, v5, s[10:11]
.LBB2275_110:
	s_or_b64 exec, exec, s[4:5]
.LBB2275_111:
	s_or_b64 exec, exec, s[2:3]
                                        ; implicit-def: $vgpr0_vgpr1
                                        ; implicit-def: $vgpr6_vgpr7
                                        ; implicit-def: $vgpr2_vgpr3
                                        ; implicit-def: $vgpr4_vgpr5
.LBB2275_112:
	s_andn2_saveexec_b64 s[0:1], s[0:1]
	s_cbranch_execz .LBB2275_127
; %bb.113:
	v_cmp_lt_i64_e32 vcc, 2, v[0:1]
	s_and_saveexec_b64 s[0:1], vcc
	s_xor_b64 s[0:1], exec, s[0:1]
	s_cbranch_execz .LBB2275_119
; %bb.114:
	v_cmp_lt_i64_e32 vcc, 3, v[0:1]
	s_and_saveexec_b64 s[2:3], vcc
	s_xor_b64 s[2:3], exec, s[2:3]
	s_cbranch_execz .LBB2275_116
; %bb.115:
	v_mov_b32_e32 v0, 0
	s_waitcnt lgkmcnt(0)
	global_store_dword v0, v4, s[10:11]
                                        ; implicit-def: $vgpr6_vgpr7
.LBB2275_116:
	s_andn2_saveexec_b64 s[2:3], s[2:3]
	s_cbranch_execz .LBB2275_118
; %bb.117:
	v_mov_b32_e32 v0, 0
	s_waitcnt lgkmcnt(0)
	global_store_dword v0, v7, s[10:11]
.LBB2275_118:
	s_or_b64 exec, exec, s[2:3]
                                        ; implicit-def: $vgpr0_vgpr1
                                        ; implicit-def: $vgpr6_vgpr7
                                        ; implicit-def: $vgpr2_vgpr3
.LBB2275_119:
	s_andn2_saveexec_b64 s[0:1], s[0:1]
	s_cbranch_execz .LBB2275_127
; %bb.120:
	v_cmp_lt_i64_e32 vcc, 1, v[0:1]
	s_and_saveexec_b64 s[0:1], vcc
	s_xor_b64 s[0:1], exec, s[0:1]
	s_cbranch_execz .LBB2275_122
; %bb.121:
	v_mov_b32_e32 v0, 0
	s_waitcnt lgkmcnt(0)
	global_store_dword v0, v6, s[10:11]
                                        ; implicit-def: $vgpr2_vgpr3
                                        ; implicit-def: $vgpr0_vgpr1
.LBB2275_122:
	s_andn2_saveexec_b64 s[0:1], s[0:1]
	s_cbranch_execz .LBB2275_127
; %bb.123:
	v_cmp_ne_u64_e32 vcc, 1, v[0:1]
	s_and_saveexec_b64 s[0:1], vcc
	s_xor_b64 s[0:1], exec, s[0:1]
	s_cbranch_execz .LBB2275_125
; %bb.124:
	v_mov_b32_e32 v0, 0
	s_waitcnt lgkmcnt(0)
	global_store_dword v0, v2, s[10:11]
                                        ; implicit-def: $vgpr2_vgpr3
.LBB2275_125:
	s_andn2_saveexec_b64 s[0:1], s[0:1]
	s_cbranch_execz .LBB2275_127
; %bb.126:
	v_mov_b32_e32 v0, 0
	s_waitcnt lgkmcnt(0)
	global_store_dword v0, v3, s[10:11]
.LBB2275_127:
	s_endpgm
	.section	.rodata,"a",@progbits
	.p2align	6, 0x0
	.amdhsa_kernel _ZN7rocprim17ROCPRIM_400000_NS6detail17trampoline_kernelINS0_14default_configENS1_20scan_config_selectorIjEEZZNS1_9scan_implILNS1_25lookback_scan_determinismE0ELb0ELb0ES3_N6thrust23THRUST_200600_302600_NS6detail15normal_iteratorINS9_10device_ptrIjEEEESE_j11max_functorIjEjEEDaPvRmT3_T4_T5_mT6_P12ihipStream_tbENKUlT_T0_E_clISt17integral_constantIbLb1EESU_EEDaSP_SQ_EUlSP_E_NS1_11comp_targetILNS1_3genE4ELNS1_11target_archE910ELNS1_3gpuE8ELNS1_3repE0EEENS1_30default_config_static_selectorELNS0_4arch9wavefront6targetE1EEEvT1_
		.amdhsa_group_segment_fixed_size 5120
		.amdhsa_private_segment_fixed_size 0
		.amdhsa_kernarg_size 96
		.amdhsa_user_sgpr_count 6
		.amdhsa_user_sgpr_private_segment_buffer 1
		.amdhsa_user_sgpr_dispatch_ptr 0
		.amdhsa_user_sgpr_queue_ptr 0
		.amdhsa_user_sgpr_kernarg_segment_ptr 1
		.amdhsa_user_sgpr_dispatch_id 0
		.amdhsa_user_sgpr_flat_scratch_init 0
		.amdhsa_user_sgpr_kernarg_preload_length 0
		.amdhsa_user_sgpr_kernarg_preload_offset 0
		.amdhsa_user_sgpr_private_segment_size 0
		.amdhsa_uses_dynamic_stack 0
		.amdhsa_system_sgpr_private_segment_wavefront_offset 0
		.amdhsa_system_sgpr_workgroup_id_x 1
		.amdhsa_system_sgpr_workgroup_id_y 0
		.amdhsa_system_sgpr_workgroup_id_z 0
		.amdhsa_system_sgpr_workgroup_info 0
		.amdhsa_system_vgpr_workitem_id 0
		.amdhsa_next_free_vgpr 40
		.amdhsa_next_free_sgpr 38
		.amdhsa_accum_offset 40
		.amdhsa_reserve_vcc 1
		.amdhsa_reserve_flat_scratch 0
		.amdhsa_float_round_mode_32 0
		.amdhsa_float_round_mode_16_64 0
		.amdhsa_float_denorm_mode_32 3
		.amdhsa_float_denorm_mode_16_64 3
		.amdhsa_dx10_clamp 1
		.amdhsa_ieee_mode 1
		.amdhsa_fp16_overflow 0
		.amdhsa_tg_split 0
		.amdhsa_exception_fp_ieee_invalid_op 0
		.amdhsa_exception_fp_denorm_src 0
		.amdhsa_exception_fp_ieee_div_zero 0
		.amdhsa_exception_fp_ieee_overflow 0
		.amdhsa_exception_fp_ieee_underflow 0
		.amdhsa_exception_fp_ieee_inexact 0
		.amdhsa_exception_int_div_zero 0
	.end_amdhsa_kernel
	.section	.text._ZN7rocprim17ROCPRIM_400000_NS6detail17trampoline_kernelINS0_14default_configENS1_20scan_config_selectorIjEEZZNS1_9scan_implILNS1_25lookback_scan_determinismE0ELb0ELb0ES3_N6thrust23THRUST_200600_302600_NS6detail15normal_iteratorINS9_10device_ptrIjEEEESE_j11max_functorIjEjEEDaPvRmT3_T4_T5_mT6_P12ihipStream_tbENKUlT_T0_E_clISt17integral_constantIbLb1EESU_EEDaSP_SQ_EUlSP_E_NS1_11comp_targetILNS1_3genE4ELNS1_11target_archE910ELNS1_3gpuE8ELNS1_3repE0EEENS1_30default_config_static_selectorELNS0_4arch9wavefront6targetE1EEEvT1_,"axG",@progbits,_ZN7rocprim17ROCPRIM_400000_NS6detail17trampoline_kernelINS0_14default_configENS1_20scan_config_selectorIjEEZZNS1_9scan_implILNS1_25lookback_scan_determinismE0ELb0ELb0ES3_N6thrust23THRUST_200600_302600_NS6detail15normal_iteratorINS9_10device_ptrIjEEEESE_j11max_functorIjEjEEDaPvRmT3_T4_T5_mT6_P12ihipStream_tbENKUlT_T0_E_clISt17integral_constantIbLb1EESU_EEDaSP_SQ_EUlSP_E_NS1_11comp_targetILNS1_3genE4ELNS1_11target_archE910ELNS1_3gpuE8ELNS1_3repE0EEENS1_30default_config_static_selectorELNS0_4arch9wavefront6targetE1EEEvT1_,comdat
.Lfunc_end2275:
	.size	_ZN7rocprim17ROCPRIM_400000_NS6detail17trampoline_kernelINS0_14default_configENS1_20scan_config_selectorIjEEZZNS1_9scan_implILNS1_25lookback_scan_determinismE0ELb0ELb0ES3_N6thrust23THRUST_200600_302600_NS6detail15normal_iteratorINS9_10device_ptrIjEEEESE_j11max_functorIjEjEEDaPvRmT3_T4_T5_mT6_P12ihipStream_tbENKUlT_T0_E_clISt17integral_constantIbLb1EESU_EEDaSP_SQ_EUlSP_E_NS1_11comp_targetILNS1_3genE4ELNS1_11target_archE910ELNS1_3gpuE8ELNS1_3repE0EEENS1_30default_config_static_selectorELNS0_4arch9wavefront6targetE1EEEvT1_, .Lfunc_end2275-_ZN7rocprim17ROCPRIM_400000_NS6detail17trampoline_kernelINS0_14default_configENS1_20scan_config_selectorIjEEZZNS1_9scan_implILNS1_25lookback_scan_determinismE0ELb0ELb0ES3_N6thrust23THRUST_200600_302600_NS6detail15normal_iteratorINS9_10device_ptrIjEEEESE_j11max_functorIjEjEEDaPvRmT3_T4_T5_mT6_P12ihipStream_tbENKUlT_T0_E_clISt17integral_constantIbLb1EESU_EEDaSP_SQ_EUlSP_E_NS1_11comp_targetILNS1_3genE4ELNS1_11target_archE910ELNS1_3gpuE8ELNS1_3repE0EEENS1_30default_config_static_selectorELNS0_4arch9wavefront6targetE1EEEvT1_
                                        ; -- End function
	.section	.AMDGPU.csdata,"",@progbits
; Kernel info:
; codeLenInByte = 4664
; NumSgprs: 42
; NumVgprs: 40
; NumAgprs: 0
; TotalNumVgprs: 40
; ScratchSize: 0
; MemoryBound: 0
; FloatMode: 240
; IeeeMode: 1
; LDSByteSize: 5120 bytes/workgroup (compile time only)
; SGPRBlocks: 5
; VGPRBlocks: 4
; NumSGPRsForWavesPerEU: 42
; NumVGPRsForWavesPerEU: 40
; AccumOffset: 40
; Occupancy: 6
; WaveLimiterHint : 1
; COMPUTE_PGM_RSRC2:SCRATCH_EN: 0
; COMPUTE_PGM_RSRC2:USER_SGPR: 6
; COMPUTE_PGM_RSRC2:TRAP_HANDLER: 0
; COMPUTE_PGM_RSRC2:TGID_X_EN: 1
; COMPUTE_PGM_RSRC2:TGID_Y_EN: 0
; COMPUTE_PGM_RSRC2:TGID_Z_EN: 0
; COMPUTE_PGM_RSRC2:TIDIG_COMP_CNT: 0
; COMPUTE_PGM_RSRC3_GFX90A:ACCUM_OFFSET: 9
; COMPUTE_PGM_RSRC3_GFX90A:TG_SPLIT: 0
	.section	.text._ZN7rocprim17ROCPRIM_400000_NS6detail17trampoline_kernelINS0_14default_configENS1_20scan_config_selectorIjEEZZNS1_9scan_implILNS1_25lookback_scan_determinismE0ELb0ELb0ES3_N6thrust23THRUST_200600_302600_NS6detail15normal_iteratorINS9_10device_ptrIjEEEESE_j11max_functorIjEjEEDaPvRmT3_T4_T5_mT6_P12ihipStream_tbENKUlT_T0_E_clISt17integral_constantIbLb1EESU_EEDaSP_SQ_EUlSP_E_NS1_11comp_targetILNS1_3genE3ELNS1_11target_archE908ELNS1_3gpuE7ELNS1_3repE0EEENS1_30default_config_static_selectorELNS0_4arch9wavefront6targetE1EEEvT1_,"axG",@progbits,_ZN7rocprim17ROCPRIM_400000_NS6detail17trampoline_kernelINS0_14default_configENS1_20scan_config_selectorIjEEZZNS1_9scan_implILNS1_25lookback_scan_determinismE0ELb0ELb0ES3_N6thrust23THRUST_200600_302600_NS6detail15normal_iteratorINS9_10device_ptrIjEEEESE_j11max_functorIjEjEEDaPvRmT3_T4_T5_mT6_P12ihipStream_tbENKUlT_T0_E_clISt17integral_constantIbLb1EESU_EEDaSP_SQ_EUlSP_E_NS1_11comp_targetILNS1_3genE3ELNS1_11target_archE908ELNS1_3gpuE7ELNS1_3repE0EEENS1_30default_config_static_selectorELNS0_4arch9wavefront6targetE1EEEvT1_,comdat
	.protected	_ZN7rocprim17ROCPRIM_400000_NS6detail17trampoline_kernelINS0_14default_configENS1_20scan_config_selectorIjEEZZNS1_9scan_implILNS1_25lookback_scan_determinismE0ELb0ELb0ES3_N6thrust23THRUST_200600_302600_NS6detail15normal_iteratorINS9_10device_ptrIjEEEESE_j11max_functorIjEjEEDaPvRmT3_T4_T5_mT6_P12ihipStream_tbENKUlT_T0_E_clISt17integral_constantIbLb1EESU_EEDaSP_SQ_EUlSP_E_NS1_11comp_targetILNS1_3genE3ELNS1_11target_archE908ELNS1_3gpuE7ELNS1_3repE0EEENS1_30default_config_static_selectorELNS0_4arch9wavefront6targetE1EEEvT1_ ; -- Begin function _ZN7rocprim17ROCPRIM_400000_NS6detail17trampoline_kernelINS0_14default_configENS1_20scan_config_selectorIjEEZZNS1_9scan_implILNS1_25lookback_scan_determinismE0ELb0ELb0ES3_N6thrust23THRUST_200600_302600_NS6detail15normal_iteratorINS9_10device_ptrIjEEEESE_j11max_functorIjEjEEDaPvRmT3_T4_T5_mT6_P12ihipStream_tbENKUlT_T0_E_clISt17integral_constantIbLb1EESU_EEDaSP_SQ_EUlSP_E_NS1_11comp_targetILNS1_3genE3ELNS1_11target_archE908ELNS1_3gpuE7ELNS1_3repE0EEENS1_30default_config_static_selectorELNS0_4arch9wavefront6targetE1EEEvT1_
	.globl	_ZN7rocprim17ROCPRIM_400000_NS6detail17trampoline_kernelINS0_14default_configENS1_20scan_config_selectorIjEEZZNS1_9scan_implILNS1_25lookback_scan_determinismE0ELb0ELb0ES3_N6thrust23THRUST_200600_302600_NS6detail15normal_iteratorINS9_10device_ptrIjEEEESE_j11max_functorIjEjEEDaPvRmT3_T4_T5_mT6_P12ihipStream_tbENKUlT_T0_E_clISt17integral_constantIbLb1EESU_EEDaSP_SQ_EUlSP_E_NS1_11comp_targetILNS1_3genE3ELNS1_11target_archE908ELNS1_3gpuE7ELNS1_3repE0EEENS1_30default_config_static_selectorELNS0_4arch9wavefront6targetE1EEEvT1_
	.p2align	8
	.type	_ZN7rocprim17ROCPRIM_400000_NS6detail17trampoline_kernelINS0_14default_configENS1_20scan_config_selectorIjEEZZNS1_9scan_implILNS1_25lookback_scan_determinismE0ELb0ELb0ES3_N6thrust23THRUST_200600_302600_NS6detail15normal_iteratorINS9_10device_ptrIjEEEESE_j11max_functorIjEjEEDaPvRmT3_T4_T5_mT6_P12ihipStream_tbENKUlT_T0_E_clISt17integral_constantIbLb1EESU_EEDaSP_SQ_EUlSP_E_NS1_11comp_targetILNS1_3genE3ELNS1_11target_archE908ELNS1_3gpuE7ELNS1_3repE0EEENS1_30default_config_static_selectorELNS0_4arch9wavefront6targetE1EEEvT1_,@function
_ZN7rocprim17ROCPRIM_400000_NS6detail17trampoline_kernelINS0_14default_configENS1_20scan_config_selectorIjEEZZNS1_9scan_implILNS1_25lookback_scan_determinismE0ELb0ELb0ES3_N6thrust23THRUST_200600_302600_NS6detail15normal_iteratorINS9_10device_ptrIjEEEESE_j11max_functorIjEjEEDaPvRmT3_T4_T5_mT6_P12ihipStream_tbENKUlT_T0_E_clISt17integral_constantIbLb1EESU_EEDaSP_SQ_EUlSP_E_NS1_11comp_targetILNS1_3genE3ELNS1_11target_archE908ELNS1_3gpuE7ELNS1_3repE0EEENS1_30default_config_static_selectorELNS0_4arch9wavefront6targetE1EEEvT1_: ; @_ZN7rocprim17ROCPRIM_400000_NS6detail17trampoline_kernelINS0_14default_configENS1_20scan_config_selectorIjEEZZNS1_9scan_implILNS1_25lookback_scan_determinismE0ELb0ELb0ES3_N6thrust23THRUST_200600_302600_NS6detail15normal_iteratorINS9_10device_ptrIjEEEESE_j11max_functorIjEjEEDaPvRmT3_T4_T5_mT6_P12ihipStream_tbENKUlT_T0_E_clISt17integral_constantIbLb1EESU_EEDaSP_SQ_EUlSP_E_NS1_11comp_targetILNS1_3genE3ELNS1_11target_archE908ELNS1_3gpuE7ELNS1_3repE0EEENS1_30default_config_static_selectorELNS0_4arch9wavefront6targetE1EEEvT1_
; %bb.0:
	.section	.rodata,"a",@progbits
	.p2align	6, 0x0
	.amdhsa_kernel _ZN7rocprim17ROCPRIM_400000_NS6detail17trampoline_kernelINS0_14default_configENS1_20scan_config_selectorIjEEZZNS1_9scan_implILNS1_25lookback_scan_determinismE0ELb0ELb0ES3_N6thrust23THRUST_200600_302600_NS6detail15normal_iteratorINS9_10device_ptrIjEEEESE_j11max_functorIjEjEEDaPvRmT3_T4_T5_mT6_P12ihipStream_tbENKUlT_T0_E_clISt17integral_constantIbLb1EESU_EEDaSP_SQ_EUlSP_E_NS1_11comp_targetILNS1_3genE3ELNS1_11target_archE908ELNS1_3gpuE7ELNS1_3repE0EEENS1_30default_config_static_selectorELNS0_4arch9wavefront6targetE1EEEvT1_
		.amdhsa_group_segment_fixed_size 0
		.amdhsa_private_segment_fixed_size 0
		.amdhsa_kernarg_size 96
		.amdhsa_user_sgpr_count 6
		.amdhsa_user_sgpr_private_segment_buffer 1
		.amdhsa_user_sgpr_dispatch_ptr 0
		.amdhsa_user_sgpr_queue_ptr 0
		.amdhsa_user_sgpr_kernarg_segment_ptr 1
		.amdhsa_user_sgpr_dispatch_id 0
		.amdhsa_user_sgpr_flat_scratch_init 0
		.amdhsa_user_sgpr_kernarg_preload_length 0
		.amdhsa_user_sgpr_kernarg_preload_offset 0
		.amdhsa_user_sgpr_private_segment_size 0
		.amdhsa_uses_dynamic_stack 0
		.amdhsa_system_sgpr_private_segment_wavefront_offset 0
		.amdhsa_system_sgpr_workgroup_id_x 1
		.amdhsa_system_sgpr_workgroup_id_y 0
		.amdhsa_system_sgpr_workgroup_id_z 0
		.amdhsa_system_sgpr_workgroup_info 0
		.amdhsa_system_vgpr_workitem_id 0
		.amdhsa_next_free_vgpr 1
		.amdhsa_next_free_sgpr 0
		.amdhsa_accum_offset 4
		.amdhsa_reserve_vcc 0
		.amdhsa_reserve_flat_scratch 0
		.amdhsa_float_round_mode_32 0
		.amdhsa_float_round_mode_16_64 0
		.amdhsa_float_denorm_mode_32 3
		.amdhsa_float_denorm_mode_16_64 3
		.amdhsa_dx10_clamp 1
		.amdhsa_ieee_mode 1
		.amdhsa_fp16_overflow 0
		.amdhsa_tg_split 0
		.amdhsa_exception_fp_ieee_invalid_op 0
		.amdhsa_exception_fp_denorm_src 0
		.amdhsa_exception_fp_ieee_div_zero 0
		.amdhsa_exception_fp_ieee_overflow 0
		.amdhsa_exception_fp_ieee_underflow 0
		.amdhsa_exception_fp_ieee_inexact 0
		.amdhsa_exception_int_div_zero 0
	.end_amdhsa_kernel
	.section	.text._ZN7rocprim17ROCPRIM_400000_NS6detail17trampoline_kernelINS0_14default_configENS1_20scan_config_selectorIjEEZZNS1_9scan_implILNS1_25lookback_scan_determinismE0ELb0ELb0ES3_N6thrust23THRUST_200600_302600_NS6detail15normal_iteratorINS9_10device_ptrIjEEEESE_j11max_functorIjEjEEDaPvRmT3_T4_T5_mT6_P12ihipStream_tbENKUlT_T0_E_clISt17integral_constantIbLb1EESU_EEDaSP_SQ_EUlSP_E_NS1_11comp_targetILNS1_3genE3ELNS1_11target_archE908ELNS1_3gpuE7ELNS1_3repE0EEENS1_30default_config_static_selectorELNS0_4arch9wavefront6targetE1EEEvT1_,"axG",@progbits,_ZN7rocprim17ROCPRIM_400000_NS6detail17trampoline_kernelINS0_14default_configENS1_20scan_config_selectorIjEEZZNS1_9scan_implILNS1_25lookback_scan_determinismE0ELb0ELb0ES3_N6thrust23THRUST_200600_302600_NS6detail15normal_iteratorINS9_10device_ptrIjEEEESE_j11max_functorIjEjEEDaPvRmT3_T4_T5_mT6_P12ihipStream_tbENKUlT_T0_E_clISt17integral_constantIbLb1EESU_EEDaSP_SQ_EUlSP_E_NS1_11comp_targetILNS1_3genE3ELNS1_11target_archE908ELNS1_3gpuE7ELNS1_3repE0EEENS1_30default_config_static_selectorELNS0_4arch9wavefront6targetE1EEEvT1_,comdat
.Lfunc_end2276:
	.size	_ZN7rocprim17ROCPRIM_400000_NS6detail17trampoline_kernelINS0_14default_configENS1_20scan_config_selectorIjEEZZNS1_9scan_implILNS1_25lookback_scan_determinismE0ELb0ELb0ES3_N6thrust23THRUST_200600_302600_NS6detail15normal_iteratorINS9_10device_ptrIjEEEESE_j11max_functorIjEjEEDaPvRmT3_T4_T5_mT6_P12ihipStream_tbENKUlT_T0_E_clISt17integral_constantIbLb1EESU_EEDaSP_SQ_EUlSP_E_NS1_11comp_targetILNS1_3genE3ELNS1_11target_archE908ELNS1_3gpuE7ELNS1_3repE0EEENS1_30default_config_static_selectorELNS0_4arch9wavefront6targetE1EEEvT1_, .Lfunc_end2276-_ZN7rocprim17ROCPRIM_400000_NS6detail17trampoline_kernelINS0_14default_configENS1_20scan_config_selectorIjEEZZNS1_9scan_implILNS1_25lookback_scan_determinismE0ELb0ELb0ES3_N6thrust23THRUST_200600_302600_NS6detail15normal_iteratorINS9_10device_ptrIjEEEESE_j11max_functorIjEjEEDaPvRmT3_T4_T5_mT6_P12ihipStream_tbENKUlT_T0_E_clISt17integral_constantIbLb1EESU_EEDaSP_SQ_EUlSP_E_NS1_11comp_targetILNS1_3genE3ELNS1_11target_archE908ELNS1_3gpuE7ELNS1_3repE0EEENS1_30default_config_static_selectorELNS0_4arch9wavefront6targetE1EEEvT1_
                                        ; -- End function
	.section	.AMDGPU.csdata,"",@progbits
; Kernel info:
; codeLenInByte = 0
; NumSgprs: 4
; NumVgprs: 0
; NumAgprs: 0
; TotalNumVgprs: 0
; ScratchSize: 0
; MemoryBound: 0
; FloatMode: 240
; IeeeMode: 1
; LDSByteSize: 0 bytes/workgroup (compile time only)
; SGPRBlocks: 0
; VGPRBlocks: 0
; NumSGPRsForWavesPerEU: 4
; NumVGPRsForWavesPerEU: 1
; AccumOffset: 4
; Occupancy: 8
; WaveLimiterHint : 0
; COMPUTE_PGM_RSRC2:SCRATCH_EN: 0
; COMPUTE_PGM_RSRC2:USER_SGPR: 6
; COMPUTE_PGM_RSRC2:TRAP_HANDLER: 0
; COMPUTE_PGM_RSRC2:TGID_X_EN: 1
; COMPUTE_PGM_RSRC2:TGID_Y_EN: 0
; COMPUTE_PGM_RSRC2:TGID_Z_EN: 0
; COMPUTE_PGM_RSRC2:TIDIG_COMP_CNT: 0
; COMPUTE_PGM_RSRC3_GFX90A:ACCUM_OFFSET: 0
; COMPUTE_PGM_RSRC3_GFX90A:TG_SPLIT: 0
	.section	.text._ZN7rocprim17ROCPRIM_400000_NS6detail17trampoline_kernelINS0_14default_configENS1_20scan_config_selectorIjEEZZNS1_9scan_implILNS1_25lookback_scan_determinismE0ELb0ELb0ES3_N6thrust23THRUST_200600_302600_NS6detail15normal_iteratorINS9_10device_ptrIjEEEESE_j11max_functorIjEjEEDaPvRmT3_T4_T5_mT6_P12ihipStream_tbENKUlT_T0_E_clISt17integral_constantIbLb1EESU_EEDaSP_SQ_EUlSP_E_NS1_11comp_targetILNS1_3genE2ELNS1_11target_archE906ELNS1_3gpuE6ELNS1_3repE0EEENS1_30default_config_static_selectorELNS0_4arch9wavefront6targetE1EEEvT1_,"axG",@progbits,_ZN7rocprim17ROCPRIM_400000_NS6detail17trampoline_kernelINS0_14default_configENS1_20scan_config_selectorIjEEZZNS1_9scan_implILNS1_25lookback_scan_determinismE0ELb0ELb0ES3_N6thrust23THRUST_200600_302600_NS6detail15normal_iteratorINS9_10device_ptrIjEEEESE_j11max_functorIjEjEEDaPvRmT3_T4_T5_mT6_P12ihipStream_tbENKUlT_T0_E_clISt17integral_constantIbLb1EESU_EEDaSP_SQ_EUlSP_E_NS1_11comp_targetILNS1_3genE2ELNS1_11target_archE906ELNS1_3gpuE6ELNS1_3repE0EEENS1_30default_config_static_selectorELNS0_4arch9wavefront6targetE1EEEvT1_,comdat
	.protected	_ZN7rocprim17ROCPRIM_400000_NS6detail17trampoline_kernelINS0_14default_configENS1_20scan_config_selectorIjEEZZNS1_9scan_implILNS1_25lookback_scan_determinismE0ELb0ELb0ES3_N6thrust23THRUST_200600_302600_NS6detail15normal_iteratorINS9_10device_ptrIjEEEESE_j11max_functorIjEjEEDaPvRmT3_T4_T5_mT6_P12ihipStream_tbENKUlT_T0_E_clISt17integral_constantIbLb1EESU_EEDaSP_SQ_EUlSP_E_NS1_11comp_targetILNS1_3genE2ELNS1_11target_archE906ELNS1_3gpuE6ELNS1_3repE0EEENS1_30default_config_static_selectorELNS0_4arch9wavefront6targetE1EEEvT1_ ; -- Begin function _ZN7rocprim17ROCPRIM_400000_NS6detail17trampoline_kernelINS0_14default_configENS1_20scan_config_selectorIjEEZZNS1_9scan_implILNS1_25lookback_scan_determinismE0ELb0ELb0ES3_N6thrust23THRUST_200600_302600_NS6detail15normal_iteratorINS9_10device_ptrIjEEEESE_j11max_functorIjEjEEDaPvRmT3_T4_T5_mT6_P12ihipStream_tbENKUlT_T0_E_clISt17integral_constantIbLb1EESU_EEDaSP_SQ_EUlSP_E_NS1_11comp_targetILNS1_3genE2ELNS1_11target_archE906ELNS1_3gpuE6ELNS1_3repE0EEENS1_30default_config_static_selectorELNS0_4arch9wavefront6targetE1EEEvT1_
	.globl	_ZN7rocprim17ROCPRIM_400000_NS6detail17trampoline_kernelINS0_14default_configENS1_20scan_config_selectorIjEEZZNS1_9scan_implILNS1_25lookback_scan_determinismE0ELb0ELb0ES3_N6thrust23THRUST_200600_302600_NS6detail15normal_iteratorINS9_10device_ptrIjEEEESE_j11max_functorIjEjEEDaPvRmT3_T4_T5_mT6_P12ihipStream_tbENKUlT_T0_E_clISt17integral_constantIbLb1EESU_EEDaSP_SQ_EUlSP_E_NS1_11comp_targetILNS1_3genE2ELNS1_11target_archE906ELNS1_3gpuE6ELNS1_3repE0EEENS1_30default_config_static_selectorELNS0_4arch9wavefront6targetE1EEEvT1_
	.p2align	8
	.type	_ZN7rocprim17ROCPRIM_400000_NS6detail17trampoline_kernelINS0_14default_configENS1_20scan_config_selectorIjEEZZNS1_9scan_implILNS1_25lookback_scan_determinismE0ELb0ELb0ES3_N6thrust23THRUST_200600_302600_NS6detail15normal_iteratorINS9_10device_ptrIjEEEESE_j11max_functorIjEjEEDaPvRmT3_T4_T5_mT6_P12ihipStream_tbENKUlT_T0_E_clISt17integral_constantIbLb1EESU_EEDaSP_SQ_EUlSP_E_NS1_11comp_targetILNS1_3genE2ELNS1_11target_archE906ELNS1_3gpuE6ELNS1_3repE0EEENS1_30default_config_static_selectorELNS0_4arch9wavefront6targetE1EEEvT1_,@function
_ZN7rocprim17ROCPRIM_400000_NS6detail17trampoline_kernelINS0_14default_configENS1_20scan_config_selectorIjEEZZNS1_9scan_implILNS1_25lookback_scan_determinismE0ELb0ELb0ES3_N6thrust23THRUST_200600_302600_NS6detail15normal_iteratorINS9_10device_ptrIjEEEESE_j11max_functorIjEjEEDaPvRmT3_T4_T5_mT6_P12ihipStream_tbENKUlT_T0_E_clISt17integral_constantIbLb1EESU_EEDaSP_SQ_EUlSP_E_NS1_11comp_targetILNS1_3genE2ELNS1_11target_archE906ELNS1_3gpuE6ELNS1_3repE0EEENS1_30default_config_static_selectorELNS0_4arch9wavefront6targetE1EEEvT1_: ; @_ZN7rocprim17ROCPRIM_400000_NS6detail17trampoline_kernelINS0_14default_configENS1_20scan_config_selectorIjEEZZNS1_9scan_implILNS1_25lookback_scan_determinismE0ELb0ELb0ES3_N6thrust23THRUST_200600_302600_NS6detail15normal_iteratorINS9_10device_ptrIjEEEESE_j11max_functorIjEjEEDaPvRmT3_T4_T5_mT6_P12ihipStream_tbENKUlT_T0_E_clISt17integral_constantIbLb1EESU_EEDaSP_SQ_EUlSP_E_NS1_11comp_targetILNS1_3genE2ELNS1_11target_archE906ELNS1_3gpuE6ELNS1_3repE0EEENS1_30default_config_static_selectorELNS0_4arch9wavefront6targetE1EEEvT1_
; %bb.0:
	.section	.rodata,"a",@progbits
	.p2align	6, 0x0
	.amdhsa_kernel _ZN7rocprim17ROCPRIM_400000_NS6detail17trampoline_kernelINS0_14default_configENS1_20scan_config_selectorIjEEZZNS1_9scan_implILNS1_25lookback_scan_determinismE0ELb0ELb0ES3_N6thrust23THRUST_200600_302600_NS6detail15normal_iteratorINS9_10device_ptrIjEEEESE_j11max_functorIjEjEEDaPvRmT3_T4_T5_mT6_P12ihipStream_tbENKUlT_T0_E_clISt17integral_constantIbLb1EESU_EEDaSP_SQ_EUlSP_E_NS1_11comp_targetILNS1_3genE2ELNS1_11target_archE906ELNS1_3gpuE6ELNS1_3repE0EEENS1_30default_config_static_selectorELNS0_4arch9wavefront6targetE1EEEvT1_
		.amdhsa_group_segment_fixed_size 0
		.amdhsa_private_segment_fixed_size 0
		.amdhsa_kernarg_size 96
		.amdhsa_user_sgpr_count 6
		.amdhsa_user_sgpr_private_segment_buffer 1
		.amdhsa_user_sgpr_dispatch_ptr 0
		.amdhsa_user_sgpr_queue_ptr 0
		.amdhsa_user_sgpr_kernarg_segment_ptr 1
		.amdhsa_user_sgpr_dispatch_id 0
		.amdhsa_user_sgpr_flat_scratch_init 0
		.amdhsa_user_sgpr_kernarg_preload_length 0
		.amdhsa_user_sgpr_kernarg_preload_offset 0
		.amdhsa_user_sgpr_private_segment_size 0
		.amdhsa_uses_dynamic_stack 0
		.amdhsa_system_sgpr_private_segment_wavefront_offset 0
		.amdhsa_system_sgpr_workgroup_id_x 1
		.amdhsa_system_sgpr_workgroup_id_y 0
		.amdhsa_system_sgpr_workgroup_id_z 0
		.amdhsa_system_sgpr_workgroup_info 0
		.amdhsa_system_vgpr_workitem_id 0
		.amdhsa_next_free_vgpr 1
		.amdhsa_next_free_sgpr 0
		.amdhsa_accum_offset 4
		.amdhsa_reserve_vcc 0
		.amdhsa_reserve_flat_scratch 0
		.amdhsa_float_round_mode_32 0
		.amdhsa_float_round_mode_16_64 0
		.amdhsa_float_denorm_mode_32 3
		.amdhsa_float_denorm_mode_16_64 3
		.amdhsa_dx10_clamp 1
		.amdhsa_ieee_mode 1
		.amdhsa_fp16_overflow 0
		.amdhsa_tg_split 0
		.amdhsa_exception_fp_ieee_invalid_op 0
		.amdhsa_exception_fp_denorm_src 0
		.amdhsa_exception_fp_ieee_div_zero 0
		.amdhsa_exception_fp_ieee_overflow 0
		.amdhsa_exception_fp_ieee_underflow 0
		.amdhsa_exception_fp_ieee_inexact 0
		.amdhsa_exception_int_div_zero 0
	.end_amdhsa_kernel
	.section	.text._ZN7rocprim17ROCPRIM_400000_NS6detail17trampoline_kernelINS0_14default_configENS1_20scan_config_selectorIjEEZZNS1_9scan_implILNS1_25lookback_scan_determinismE0ELb0ELb0ES3_N6thrust23THRUST_200600_302600_NS6detail15normal_iteratorINS9_10device_ptrIjEEEESE_j11max_functorIjEjEEDaPvRmT3_T4_T5_mT6_P12ihipStream_tbENKUlT_T0_E_clISt17integral_constantIbLb1EESU_EEDaSP_SQ_EUlSP_E_NS1_11comp_targetILNS1_3genE2ELNS1_11target_archE906ELNS1_3gpuE6ELNS1_3repE0EEENS1_30default_config_static_selectorELNS0_4arch9wavefront6targetE1EEEvT1_,"axG",@progbits,_ZN7rocprim17ROCPRIM_400000_NS6detail17trampoline_kernelINS0_14default_configENS1_20scan_config_selectorIjEEZZNS1_9scan_implILNS1_25lookback_scan_determinismE0ELb0ELb0ES3_N6thrust23THRUST_200600_302600_NS6detail15normal_iteratorINS9_10device_ptrIjEEEESE_j11max_functorIjEjEEDaPvRmT3_T4_T5_mT6_P12ihipStream_tbENKUlT_T0_E_clISt17integral_constantIbLb1EESU_EEDaSP_SQ_EUlSP_E_NS1_11comp_targetILNS1_3genE2ELNS1_11target_archE906ELNS1_3gpuE6ELNS1_3repE0EEENS1_30default_config_static_selectorELNS0_4arch9wavefront6targetE1EEEvT1_,comdat
.Lfunc_end2277:
	.size	_ZN7rocprim17ROCPRIM_400000_NS6detail17trampoline_kernelINS0_14default_configENS1_20scan_config_selectorIjEEZZNS1_9scan_implILNS1_25lookback_scan_determinismE0ELb0ELb0ES3_N6thrust23THRUST_200600_302600_NS6detail15normal_iteratorINS9_10device_ptrIjEEEESE_j11max_functorIjEjEEDaPvRmT3_T4_T5_mT6_P12ihipStream_tbENKUlT_T0_E_clISt17integral_constantIbLb1EESU_EEDaSP_SQ_EUlSP_E_NS1_11comp_targetILNS1_3genE2ELNS1_11target_archE906ELNS1_3gpuE6ELNS1_3repE0EEENS1_30default_config_static_selectorELNS0_4arch9wavefront6targetE1EEEvT1_, .Lfunc_end2277-_ZN7rocprim17ROCPRIM_400000_NS6detail17trampoline_kernelINS0_14default_configENS1_20scan_config_selectorIjEEZZNS1_9scan_implILNS1_25lookback_scan_determinismE0ELb0ELb0ES3_N6thrust23THRUST_200600_302600_NS6detail15normal_iteratorINS9_10device_ptrIjEEEESE_j11max_functorIjEjEEDaPvRmT3_T4_T5_mT6_P12ihipStream_tbENKUlT_T0_E_clISt17integral_constantIbLb1EESU_EEDaSP_SQ_EUlSP_E_NS1_11comp_targetILNS1_3genE2ELNS1_11target_archE906ELNS1_3gpuE6ELNS1_3repE0EEENS1_30default_config_static_selectorELNS0_4arch9wavefront6targetE1EEEvT1_
                                        ; -- End function
	.section	.AMDGPU.csdata,"",@progbits
; Kernel info:
; codeLenInByte = 0
; NumSgprs: 4
; NumVgprs: 0
; NumAgprs: 0
; TotalNumVgprs: 0
; ScratchSize: 0
; MemoryBound: 0
; FloatMode: 240
; IeeeMode: 1
; LDSByteSize: 0 bytes/workgroup (compile time only)
; SGPRBlocks: 0
; VGPRBlocks: 0
; NumSGPRsForWavesPerEU: 4
; NumVGPRsForWavesPerEU: 1
; AccumOffset: 4
; Occupancy: 8
; WaveLimiterHint : 0
; COMPUTE_PGM_RSRC2:SCRATCH_EN: 0
; COMPUTE_PGM_RSRC2:USER_SGPR: 6
; COMPUTE_PGM_RSRC2:TRAP_HANDLER: 0
; COMPUTE_PGM_RSRC2:TGID_X_EN: 1
; COMPUTE_PGM_RSRC2:TGID_Y_EN: 0
; COMPUTE_PGM_RSRC2:TGID_Z_EN: 0
; COMPUTE_PGM_RSRC2:TIDIG_COMP_CNT: 0
; COMPUTE_PGM_RSRC3_GFX90A:ACCUM_OFFSET: 0
; COMPUTE_PGM_RSRC3_GFX90A:TG_SPLIT: 0
	.section	.text._ZN7rocprim17ROCPRIM_400000_NS6detail17trampoline_kernelINS0_14default_configENS1_20scan_config_selectorIjEEZZNS1_9scan_implILNS1_25lookback_scan_determinismE0ELb0ELb0ES3_N6thrust23THRUST_200600_302600_NS6detail15normal_iteratorINS9_10device_ptrIjEEEESE_j11max_functorIjEjEEDaPvRmT3_T4_T5_mT6_P12ihipStream_tbENKUlT_T0_E_clISt17integral_constantIbLb1EESU_EEDaSP_SQ_EUlSP_E_NS1_11comp_targetILNS1_3genE10ELNS1_11target_archE1201ELNS1_3gpuE5ELNS1_3repE0EEENS1_30default_config_static_selectorELNS0_4arch9wavefront6targetE1EEEvT1_,"axG",@progbits,_ZN7rocprim17ROCPRIM_400000_NS6detail17trampoline_kernelINS0_14default_configENS1_20scan_config_selectorIjEEZZNS1_9scan_implILNS1_25lookback_scan_determinismE0ELb0ELb0ES3_N6thrust23THRUST_200600_302600_NS6detail15normal_iteratorINS9_10device_ptrIjEEEESE_j11max_functorIjEjEEDaPvRmT3_T4_T5_mT6_P12ihipStream_tbENKUlT_T0_E_clISt17integral_constantIbLb1EESU_EEDaSP_SQ_EUlSP_E_NS1_11comp_targetILNS1_3genE10ELNS1_11target_archE1201ELNS1_3gpuE5ELNS1_3repE0EEENS1_30default_config_static_selectorELNS0_4arch9wavefront6targetE1EEEvT1_,comdat
	.protected	_ZN7rocprim17ROCPRIM_400000_NS6detail17trampoline_kernelINS0_14default_configENS1_20scan_config_selectorIjEEZZNS1_9scan_implILNS1_25lookback_scan_determinismE0ELb0ELb0ES3_N6thrust23THRUST_200600_302600_NS6detail15normal_iteratorINS9_10device_ptrIjEEEESE_j11max_functorIjEjEEDaPvRmT3_T4_T5_mT6_P12ihipStream_tbENKUlT_T0_E_clISt17integral_constantIbLb1EESU_EEDaSP_SQ_EUlSP_E_NS1_11comp_targetILNS1_3genE10ELNS1_11target_archE1201ELNS1_3gpuE5ELNS1_3repE0EEENS1_30default_config_static_selectorELNS0_4arch9wavefront6targetE1EEEvT1_ ; -- Begin function _ZN7rocprim17ROCPRIM_400000_NS6detail17trampoline_kernelINS0_14default_configENS1_20scan_config_selectorIjEEZZNS1_9scan_implILNS1_25lookback_scan_determinismE0ELb0ELb0ES3_N6thrust23THRUST_200600_302600_NS6detail15normal_iteratorINS9_10device_ptrIjEEEESE_j11max_functorIjEjEEDaPvRmT3_T4_T5_mT6_P12ihipStream_tbENKUlT_T0_E_clISt17integral_constantIbLb1EESU_EEDaSP_SQ_EUlSP_E_NS1_11comp_targetILNS1_3genE10ELNS1_11target_archE1201ELNS1_3gpuE5ELNS1_3repE0EEENS1_30default_config_static_selectorELNS0_4arch9wavefront6targetE1EEEvT1_
	.globl	_ZN7rocprim17ROCPRIM_400000_NS6detail17trampoline_kernelINS0_14default_configENS1_20scan_config_selectorIjEEZZNS1_9scan_implILNS1_25lookback_scan_determinismE0ELb0ELb0ES3_N6thrust23THRUST_200600_302600_NS6detail15normal_iteratorINS9_10device_ptrIjEEEESE_j11max_functorIjEjEEDaPvRmT3_T4_T5_mT6_P12ihipStream_tbENKUlT_T0_E_clISt17integral_constantIbLb1EESU_EEDaSP_SQ_EUlSP_E_NS1_11comp_targetILNS1_3genE10ELNS1_11target_archE1201ELNS1_3gpuE5ELNS1_3repE0EEENS1_30default_config_static_selectorELNS0_4arch9wavefront6targetE1EEEvT1_
	.p2align	8
	.type	_ZN7rocprim17ROCPRIM_400000_NS6detail17trampoline_kernelINS0_14default_configENS1_20scan_config_selectorIjEEZZNS1_9scan_implILNS1_25lookback_scan_determinismE0ELb0ELb0ES3_N6thrust23THRUST_200600_302600_NS6detail15normal_iteratorINS9_10device_ptrIjEEEESE_j11max_functorIjEjEEDaPvRmT3_T4_T5_mT6_P12ihipStream_tbENKUlT_T0_E_clISt17integral_constantIbLb1EESU_EEDaSP_SQ_EUlSP_E_NS1_11comp_targetILNS1_3genE10ELNS1_11target_archE1201ELNS1_3gpuE5ELNS1_3repE0EEENS1_30default_config_static_selectorELNS0_4arch9wavefront6targetE1EEEvT1_,@function
_ZN7rocprim17ROCPRIM_400000_NS6detail17trampoline_kernelINS0_14default_configENS1_20scan_config_selectorIjEEZZNS1_9scan_implILNS1_25lookback_scan_determinismE0ELb0ELb0ES3_N6thrust23THRUST_200600_302600_NS6detail15normal_iteratorINS9_10device_ptrIjEEEESE_j11max_functorIjEjEEDaPvRmT3_T4_T5_mT6_P12ihipStream_tbENKUlT_T0_E_clISt17integral_constantIbLb1EESU_EEDaSP_SQ_EUlSP_E_NS1_11comp_targetILNS1_3genE10ELNS1_11target_archE1201ELNS1_3gpuE5ELNS1_3repE0EEENS1_30default_config_static_selectorELNS0_4arch9wavefront6targetE1EEEvT1_: ; @_ZN7rocprim17ROCPRIM_400000_NS6detail17trampoline_kernelINS0_14default_configENS1_20scan_config_selectorIjEEZZNS1_9scan_implILNS1_25lookback_scan_determinismE0ELb0ELb0ES3_N6thrust23THRUST_200600_302600_NS6detail15normal_iteratorINS9_10device_ptrIjEEEESE_j11max_functorIjEjEEDaPvRmT3_T4_T5_mT6_P12ihipStream_tbENKUlT_T0_E_clISt17integral_constantIbLb1EESU_EEDaSP_SQ_EUlSP_E_NS1_11comp_targetILNS1_3genE10ELNS1_11target_archE1201ELNS1_3gpuE5ELNS1_3repE0EEENS1_30default_config_static_selectorELNS0_4arch9wavefront6targetE1EEEvT1_
; %bb.0:
	.section	.rodata,"a",@progbits
	.p2align	6, 0x0
	.amdhsa_kernel _ZN7rocprim17ROCPRIM_400000_NS6detail17trampoline_kernelINS0_14default_configENS1_20scan_config_selectorIjEEZZNS1_9scan_implILNS1_25lookback_scan_determinismE0ELb0ELb0ES3_N6thrust23THRUST_200600_302600_NS6detail15normal_iteratorINS9_10device_ptrIjEEEESE_j11max_functorIjEjEEDaPvRmT3_T4_T5_mT6_P12ihipStream_tbENKUlT_T0_E_clISt17integral_constantIbLb1EESU_EEDaSP_SQ_EUlSP_E_NS1_11comp_targetILNS1_3genE10ELNS1_11target_archE1201ELNS1_3gpuE5ELNS1_3repE0EEENS1_30default_config_static_selectorELNS0_4arch9wavefront6targetE1EEEvT1_
		.amdhsa_group_segment_fixed_size 0
		.amdhsa_private_segment_fixed_size 0
		.amdhsa_kernarg_size 96
		.amdhsa_user_sgpr_count 6
		.amdhsa_user_sgpr_private_segment_buffer 1
		.amdhsa_user_sgpr_dispatch_ptr 0
		.amdhsa_user_sgpr_queue_ptr 0
		.amdhsa_user_sgpr_kernarg_segment_ptr 1
		.amdhsa_user_sgpr_dispatch_id 0
		.amdhsa_user_sgpr_flat_scratch_init 0
		.amdhsa_user_sgpr_kernarg_preload_length 0
		.amdhsa_user_sgpr_kernarg_preload_offset 0
		.amdhsa_user_sgpr_private_segment_size 0
		.amdhsa_uses_dynamic_stack 0
		.amdhsa_system_sgpr_private_segment_wavefront_offset 0
		.amdhsa_system_sgpr_workgroup_id_x 1
		.amdhsa_system_sgpr_workgroup_id_y 0
		.amdhsa_system_sgpr_workgroup_id_z 0
		.amdhsa_system_sgpr_workgroup_info 0
		.amdhsa_system_vgpr_workitem_id 0
		.amdhsa_next_free_vgpr 1
		.amdhsa_next_free_sgpr 0
		.amdhsa_accum_offset 4
		.amdhsa_reserve_vcc 0
		.amdhsa_reserve_flat_scratch 0
		.amdhsa_float_round_mode_32 0
		.amdhsa_float_round_mode_16_64 0
		.amdhsa_float_denorm_mode_32 3
		.amdhsa_float_denorm_mode_16_64 3
		.amdhsa_dx10_clamp 1
		.amdhsa_ieee_mode 1
		.amdhsa_fp16_overflow 0
		.amdhsa_tg_split 0
		.amdhsa_exception_fp_ieee_invalid_op 0
		.amdhsa_exception_fp_denorm_src 0
		.amdhsa_exception_fp_ieee_div_zero 0
		.amdhsa_exception_fp_ieee_overflow 0
		.amdhsa_exception_fp_ieee_underflow 0
		.amdhsa_exception_fp_ieee_inexact 0
		.amdhsa_exception_int_div_zero 0
	.end_amdhsa_kernel
	.section	.text._ZN7rocprim17ROCPRIM_400000_NS6detail17trampoline_kernelINS0_14default_configENS1_20scan_config_selectorIjEEZZNS1_9scan_implILNS1_25lookback_scan_determinismE0ELb0ELb0ES3_N6thrust23THRUST_200600_302600_NS6detail15normal_iteratorINS9_10device_ptrIjEEEESE_j11max_functorIjEjEEDaPvRmT3_T4_T5_mT6_P12ihipStream_tbENKUlT_T0_E_clISt17integral_constantIbLb1EESU_EEDaSP_SQ_EUlSP_E_NS1_11comp_targetILNS1_3genE10ELNS1_11target_archE1201ELNS1_3gpuE5ELNS1_3repE0EEENS1_30default_config_static_selectorELNS0_4arch9wavefront6targetE1EEEvT1_,"axG",@progbits,_ZN7rocprim17ROCPRIM_400000_NS6detail17trampoline_kernelINS0_14default_configENS1_20scan_config_selectorIjEEZZNS1_9scan_implILNS1_25lookback_scan_determinismE0ELb0ELb0ES3_N6thrust23THRUST_200600_302600_NS6detail15normal_iteratorINS9_10device_ptrIjEEEESE_j11max_functorIjEjEEDaPvRmT3_T4_T5_mT6_P12ihipStream_tbENKUlT_T0_E_clISt17integral_constantIbLb1EESU_EEDaSP_SQ_EUlSP_E_NS1_11comp_targetILNS1_3genE10ELNS1_11target_archE1201ELNS1_3gpuE5ELNS1_3repE0EEENS1_30default_config_static_selectorELNS0_4arch9wavefront6targetE1EEEvT1_,comdat
.Lfunc_end2278:
	.size	_ZN7rocprim17ROCPRIM_400000_NS6detail17trampoline_kernelINS0_14default_configENS1_20scan_config_selectorIjEEZZNS1_9scan_implILNS1_25lookback_scan_determinismE0ELb0ELb0ES3_N6thrust23THRUST_200600_302600_NS6detail15normal_iteratorINS9_10device_ptrIjEEEESE_j11max_functorIjEjEEDaPvRmT3_T4_T5_mT6_P12ihipStream_tbENKUlT_T0_E_clISt17integral_constantIbLb1EESU_EEDaSP_SQ_EUlSP_E_NS1_11comp_targetILNS1_3genE10ELNS1_11target_archE1201ELNS1_3gpuE5ELNS1_3repE0EEENS1_30default_config_static_selectorELNS0_4arch9wavefront6targetE1EEEvT1_, .Lfunc_end2278-_ZN7rocprim17ROCPRIM_400000_NS6detail17trampoline_kernelINS0_14default_configENS1_20scan_config_selectorIjEEZZNS1_9scan_implILNS1_25lookback_scan_determinismE0ELb0ELb0ES3_N6thrust23THRUST_200600_302600_NS6detail15normal_iteratorINS9_10device_ptrIjEEEESE_j11max_functorIjEjEEDaPvRmT3_T4_T5_mT6_P12ihipStream_tbENKUlT_T0_E_clISt17integral_constantIbLb1EESU_EEDaSP_SQ_EUlSP_E_NS1_11comp_targetILNS1_3genE10ELNS1_11target_archE1201ELNS1_3gpuE5ELNS1_3repE0EEENS1_30default_config_static_selectorELNS0_4arch9wavefront6targetE1EEEvT1_
                                        ; -- End function
	.section	.AMDGPU.csdata,"",@progbits
; Kernel info:
; codeLenInByte = 0
; NumSgprs: 4
; NumVgprs: 0
; NumAgprs: 0
; TotalNumVgprs: 0
; ScratchSize: 0
; MemoryBound: 0
; FloatMode: 240
; IeeeMode: 1
; LDSByteSize: 0 bytes/workgroup (compile time only)
; SGPRBlocks: 0
; VGPRBlocks: 0
; NumSGPRsForWavesPerEU: 4
; NumVGPRsForWavesPerEU: 1
; AccumOffset: 4
; Occupancy: 8
; WaveLimiterHint : 0
; COMPUTE_PGM_RSRC2:SCRATCH_EN: 0
; COMPUTE_PGM_RSRC2:USER_SGPR: 6
; COMPUTE_PGM_RSRC2:TRAP_HANDLER: 0
; COMPUTE_PGM_RSRC2:TGID_X_EN: 1
; COMPUTE_PGM_RSRC2:TGID_Y_EN: 0
; COMPUTE_PGM_RSRC2:TGID_Z_EN: 0
; COMPUTE_PGM_RSRC2:TIDIG_COMP_CNT: 0
; COMPUTE_PGM_RSRC3_GFX90A:ACCUM_OFFSET: 0
; COMPUTE_PGM_RSRC3_GFX90A:TG_SPLIT: 0
	.section	.text._ZN7rocprim17ROCPRIM_400000_NS6detail17trampoline_kernelINS0_14default_configENS1_20scan_config_selectorIjEEZZNS1_9scan_implILNS1_25lookback_scan_determinismE0ELb0ELb0ES3_N6thrust23THRUST_200600_302600_NS6detail15normal_iteratorINS9_10device_ptrIjEEEESE_j11max_functorIjEjEEDaPvRmT3_T4_T5_mT6_P12ihipStream_tbENKUlT_T0_E_clISt17integral_constantIbLb1EESU_EEDaSP_SQ_EUlSP_E_NS1_11comp_targetILNS1_3genE10ELNS1_11target_archE1200ELNS1_3gpuE4ELNS1_3repE0EEENS1_30default_config_static_selectorELNS0_4arch9wavefront6targetE1EEEvT1_,"axG",@progbits,_ZN7rocprim17ROCPRIM_400000_NS6detail17trampoline_kernelINS0_14default_configENS1_20scan_config_selectorIjEEZZNS1_9scan_implILNS1_25lookback_scan_determinismE0ELb0ELb0ES3_N6thrust23THRUST_200600_302600_NS6detail15normal_iteratorINS9_10device_ptrIjEEEESE_j11max_functorIjEjEEDaPvRmT3_T4_T5_mT6_P12ihipStream_tbENKUlT_T0_E_clISt17integral_constantIbLb1EESU_EEDaSP_SQ_EUlSP_E_NS1_11comp_targetILNS1_3genE10ELNS1_11target_archE1200ELNS1_3gpuE4ELNS1_3repE0EEENS1_30default_config_static_selectorELNS0_4arch9wavefront6targetE1EEEvT1_,comdat
	.protected	_ZN7rocprim17ROCPRIM_400000_NS6detail17trampoline_kernelINS0_14default_configENS1_20scan_config_selectorIjEEZZNS1_9scan_implILNS1_25lookback_scan_determinismE0ELb0ELb0ES3_N6thrust23THRUST_200600_302600_NS6detail15normal_iteratorINS9_10device_ptrIjEEEESE_j11max_functorIjEjEEDaPvRmT3_T4_T5_mT6_P12ihipStream_tbENKUlT_T0_E_clISt17integral_constantIbLb1EESU_EEDaSP_SQ_EUlSP_E_NS1_11comp_targetILNS1_3genE10ELNS1_11target_archE1200ELNS1_3gpuE4ELNS1_3repE0EEENS1_30default_config_static_selectorELNS0_4arch9wavefront6targetE1EEEvT1_ ; -- Begin function _ZN7rocprim17ROCPRIM_400000_NS6detail17trampoline_kernelINS0_14default_configENS1_20scan_config_selectorIjEEZZNS1_9scan_implILNS1_25lookback_scan_determinismE0ELb0ELb0ES3_N6thrust23THRUST_200600_302600_NS6detail15normal_iteratorINS9_10device_ptrIjEEEESE_j11max_functorIjEjEEDaPvRmT3_T4_T5_mT6_P12ihipStream_tbENKUlT_T0_E_clISt17integral_constantIbLb1EESU_EEDaSP_SQ_EUlSP_E_NS1_11comp_targetILNS1_3genE10ELNS1_11target_archE1200ELNS1_3gpuE4ELNS1_3repE0EEENS1_30default_config_static_selectorELNS0_4arch9wavefront6targetE1EEEvT1_
	.globl	_ZN7rocprim17ROCPRIM_400000_NS6detail17trampoline_kernelINS0_14default_configENS1_20scan_config_selectorIjEEZZNS1_9scan_implILNS1_25lookback_scan_determinismE0ELb0ELb0ES3_N6thrust23THRUST_200600_302600_NS6detail15normal_iteratorINS9_10device_ptrIjEEEESE_j11max_functorIjEjEEDaPvRmT3_T4_T5_mT6_P12ihipStream_tbENKUlT_T0_E_clISt17integral_constantIbLb1EESU_EEDaSP_SQ_EUlSP_E_NS1_11comp_targetILNS1_3genE10ELNS1_11target_archE1200ELNS1_3gpuE4ELNS1_3repE0EEENS1_30default_config_static_selectorELNS0_4arch9wavefront6targetE1EEEvT1_
	.p2align	8
	.type	_ZN7rocprim17ROCPRIM_400000_NS6detail17trampoline_kernelINS0_14default_configENS1_20scan_config_selectorIjEEZZNS1_9scan_implILNS1_25lookback_scan_determinismE0ELb0ELb0ES3_N6thrust23THRUST_200600_302600_NS6detail15normal_iteratorINS9_10device_ptrIjEEEESE_j11max_functorIjEjEEDaPvRmT3_T4_T5_mT6_P12ihipStream_tbENKUlT_T0_E_clISt17integral_constantIbLb1EESU_EEDaSP_SQ_EUlSP_E_NS1_11comp_targetILNS1_3genE10ELNS1_11target_archE1200ELNS1_3gpuE4ELNS1_3repE0EEENS1_30default_config_static_selectorELNS0_4arch9wavefront6targetE1EEEvT1_,@function
_ZN7rocprim17ROCPRIM_400000_NS6detail17trampoline_kernelINS0_14default_configENS1_20scan_config_selectorIjEEZZNS1_9scan_implILNS1_25lookback_scan_determinismE0ELb0ELb0ES3_N6thrust23THRUST_200600_302600_NS6detail15normal_iteratorINS9_10device_ptrIjEEEESE_j11max_functorIjEjEEDaPvRmT3_T4_T5_mT6_P12ihipStream_tbENKUlT_T0_E_clISt17integral_constantIbLb1EESU_EEDaSP_SQ_EUlSP_E_NS1_11comp_targetILNS1_3genE10ELNS1_11target_archE1200ELNS1_3gpuE4ELNS1_3repE0EEENS1_30default_config_static_selectorELNS0_4arch9wavefront6targetE1EEEvT1_: ; @_ZN7rocprim17ROCPRIM_400000_NS6detail17trampoline_kernelINS0_14default_configENS1_20scan_config_selectorIjEEZZNS1_9scan_implILNS1_25lookback_scan_determinismE0ELb0ELb0ES3_N6thrust23THRUST_200600_302600_NS6detail15normal_iteratorINS9_10device_ptrIjEEEESE_j11max_functorIjEjEEDaPvRmT3_T4_T5_mT6_P12ihipStream_tbENKUlT_T0_E_clISt17integral_constantIbLb1EESU_EEDaSP_SQ_EUlSP_E_NS1_11comp_targetILNS1_3genE10ELNS1_11target_archE1200ELNS1_3gpuE4ELNS1_3repE0EEENS1_30default_config_static_selectorELNS0_4arch9wavefront6targetE1EEEvT1_
; %bb.0:
	.section	.rodata,"a",@progbits
	.p2align	6, 0x0
	.amdhsa_kernel _ZN7rocprim17ROCPRIM_400000_NS6detail17trampoline_kernelINS0_14default_configENS1_20scan_config_selectorIjEEZZNS1_9scan_implILNS1_25lookback_scan_determinismE0ELb0ELb0ES3_N6thrust23THRUST_200600_302600_NS6detail15normal_iteratorINS9_10device_ptrIjEEEESE_j11max_functorIjEjEEDaPvRmT3_T4_T5_mT6_P12ihipStream_tbENKUlT_T0_E_clISt17integral_constantIbLb1EESU_EEDaSP_SQ_EUlSP_E_NS1_11comp_targetILNS1_3genE10ELNS1_11target_archE1200ELNS1_3gpuE4ELNS1_3repE0EEENS1_30default_config_static_selectorELNS0_4arch9wavefront6targetE1EEEvT1_
		.amdhsa_group_segment_fixed_size 0
		.amdhsa_private_segment_fixed_size 0
		.amdhsa_kernarg_size 96
		.amdhsa_user_sgpr_count 6
		.amdhsa_user_sgpr_private_segment_buffer 1
		.amdhsa_user_sgpr_dispatch_ptr 0
		.amdhsa_user_sgpr_queue_ptr 0
		.amdhsa_user_sgpr_kernarg_segment_ptr 1
		.amdhsa_user_sgpr_dispatch_id 0
		.amdhsa_user_sgpr_flat_scratch_init 0
		.amdhsa_user_sgpr_kernarg_preload_length 0
		.amdhsa_user_sgpr_kernarg_preload_offset 0
		.amdhsa_user_sgpr_private_segment_size 0
		.amdhsa_uses_dynamic_stack 0
		.amdhsa_system_sgpr_private_segment_wavefront_offset 0
		.amdhsa_system_sgpr_workgroup_id_x 1
		.amdhsa_system_sgpr_workgroup_id_y 0
		.amdhsa_system_sgpr_workgroup_id_z 0
		.amdhsa_system_sgpr_workgroup_info 0
		.amdhsa_system_vgpr_workitem_id 0
		.amdhsa_next_free_vgpr 1
		.amdhsa_next_free_sgpr 0
		.amdhsa_accum_offset 4
		.amdhsa_reserve_vcc 0
		.amdhsa_reserve_flat_scratch 0
		.amdhsa_float_round_mode_32 0
		.amdhsa_float_round_mode_16_64 0
		.amdhsa_float_denorm_mode_32 3
		.amdhsa_float_denorm_mode_16_64 3
		.amdhsa_dx10_clamp 1
		.amdhsa_ieee_mode 1
		.amdhsa_fp16_overflow 0
		.amdhsa_tg_split 0
		.amdhsa_exception_fp_ieee_invalid_op 0
		.amdhsa_exception_fp_denorm_src 0
		.amdhsa_exception_fp_ieee_div_zero 0
		.amdhsa_exception_fp_ieee_overflow 0
		.amdhsa_exception_fp_ieee_underflow 0
		.amdhsa_exception_fp_ieee_inexact 0
		.amdhsa_exception_int_div_zero 0
	.end_amdhsa_kernel
	.section	.text._ZN7rocprim17ROCPRIM_400000_NS6detail17trampoline_kernelINS0_14default_configENS1_20scan_config_selectorIjEEZZNS1_9scan_implILNS1_25lookback_scan_determinismE0ELb0ELb0ES3_N6thrust23THRUST_200600_302600_NS6detail15normal_iteratorINS9_10device_ptrIjEEEESE_j11max_functorIjEjEEDaPvRmT3_T4_T5_mT6_P12ihipStream_tbENKUlT_T0_E_clISt17integral_constantIbLb1EESU_EEDaSP_SQ_EUlSP_E_NS1_11comp_targetILNS1_3genE10ELNS1_11target_archE1200ELNS1_3gpuE4ELNS1_3repE0EEENS1_30default_config_static_selectorELNS0_4arch9wavefront6targetE1EEEvT1_,"axG",@progbits,_ZN7rocprim17ROCPRIM_400000_NS6detail17trampoline_kernelINS0_14default_configENS1_20scan_config_selectorIjEEZZNS1_9scan_implILNS1_25lookback_scan_determinismE0ELb0ELb0ES3_N6thrust23THRUST_200600_302600_NS6detail15normal_iteratorINS9_10device_ptrIjEEEESE_j11max_functorIjEjEEDaPvRmT3_T4_T5_mT6_P12ihipStream_tbENKUlT_T0_E_clISt17integral_constantIbLb1EESU_EEDaSP_SQ_EUlSP_E_NS1_11comp_targetILNS1_3genE10ELNS1_11target_archE1200ELNS1_3gpuE4ELNS1_3repE0EEENS1_30default_config_static_selectorELNS0_4arch9wavefront6targetE1EEEvT1_,comdat
.Lfunc_end2279:
	.size	_ZN7rocprim17ROCPRIM_400000_NS6detail17trampoline_kernelINS0_14default_configENS1_20scan_config_selectorIjEEZZNS1_9scan_implILNS1_25lookback_scan_determinismE0ELb0ELb0ES3_N6thrust23THRUST_200600_302600_NS6detail15normal_iteratorINS9_10device_ptrIjEEEESE_j11max_functorIjEjEEDaPvRmT3_T4_T5_mT6_P12ihipStream_tbENKUlT_T0_E_clISt17integral_constantIbLb1EESU_EEDaSP_SQ_EUlSP_E_NS1_11comp_targetILNS1_3genE10ELNS1_11target_archE1200ELNS1_3gpuE4ELNS1_3repE0EEENS1_30default_config_static_selectorELNS0_4arch9wavefront6targetE1EEEvT1_, .Lfunc_end2279-_ZN7rocprim17ROCPRIM_400000_NS6detail17trampoline_kernelINS0_14default_configENS1_20scan_config_selectorIjEEZZNS1_9scan_implILNS1_25lookback_scan_determinismE0ELb0ELb0ES3_N6thrust23THRUST_200600_302600_NS6detail15normal_iteratorINS9_10device_ptrIjEEEESE_j11max_functorIjEjEEDaPvRmT3_T4_T5_mT6_P12ihipStream_tbENKUlT_T0_E_clISt17integral_constantIbLb1EESU_EEDaSP_SQ_EUlSP_E_NS1_11comp_targetILNS1_3genE10ELNS1_11target_archE1200ELNS1_3gpuE4ELNS1_3repE0EEENS1_30default_config_static_selectorELNS0_4arch9wavefront6targetE1EEEvT1_
                                        ; -- End function
	.section	.AMDGPU.csdata,"",@progbits
; Kernel info:
; codeLenInByte = 0
; NumSgprs: 4
; NumVgprs: 0
; NumAgprs: 0
; TotalNumVgprs: 0
; ScratchSize: 0
; MemoryBound: 0
; FloatMode: 240
; IeeeMode: 1
; LDSByteSize: 0 bytes/workgroup (compile time only)
; SGPRBlocks: 0
; VGPRBlocks: 0
; NumSGPRsForWavesPerEU: 4
; NumVGPRsForWavesPerEU: 1
; AccumOffset: 4
; Occupancy: 8
; WaveLimiterHint : 0
; COMPUTE_PGM_RSRC2:SCRATCH_EN: 0
; COMPUTE_PGM_RSRC2:USER_SGPR: 6
; COMPUTE_PGM_RSRC2:TRAP_HANDLER: 0
; COMPUTE_PGM_RSRC2:TGID_X_EN: 1
; COMPUTE_PGM_RSRC2:TGID_Y_EN: 0
; COMPUTE_PGM_RSRC2:TGID_Z_EN: 0
; COMPUTE_PGM_RSRC2:TIDIG_COMP_CNT: 0
; COMPUTE_PGM_RSRC3_GFX90A:ACCUM_OFFSET: 0
; COMPUTE_PGM_RSRC3_GFX90A:TG_SPLIT: 0
	.section	.text._ZN7rocprim17ROCPRIM_400000_NS6detail17trampoline_kernelINS0_14default_configENS1_20scan_config_selectorIjEEZZNS1_9scan_implILNS1_25lookback_scan_determinismE0ELb0ELb0ES3_N6thrust23THRUST_200600_302600_NS6detail15normal_iteratorINS9_10device_ptrIjEEEESE_j11max_functorIjEjEEDaPvRmT3_T4_T5_mT6_P12ihipStream_tbENKUlT_T0_E_clISt17integral_constantIbLb1EESU_EEDaSP_SQ_EUlSP_E_NS1_11comp_targetILNS1_3genE9ELNS1_11target_archE1100ELNS1_3gpuE3ELNS1_3repE0EEENS1_30default_config_static_selectorELNS0_4arch9wavefront6targetE1EEEvT1_,"axG",@progbits,_ZN7rocprim17ROCPRIM_400000_NS6detail17trampoline_kernelINS0_14default_configENS1_20scan_config_selectorIjEEZZNS1_9scan_implILNS1_25lookback_scan_determinismE0ELb0ELb0ES3_N6thrust23THRUST_200600_302600_NS6detail15normal_iteratorINS9_10device_ptrIjEEEESE_j11max_functorIjEjEEDaPvRmT3_T4_T5_mT6_P12ihipStream_tbENKUlT_T0_E_clISt17integral_constantIbLb1EESU_EEDaSP_SQ_EUlSP_E_NS1_11comp_targetILNS1_3genE9ELNS1_11target_archE1100ELNS1_3gpuE3ELNS1_3repE0EEENS1_30default_config_static_selectorELNS0_4arch9wavefront6targetE1EEEvT1_,comdat
	.protected	_ZN7rocprim17ROCPRIM_400000_NS6detail17trampoline_kernelINS0_14default_configENS1_20scan_config_selectorIjEEZZNS1_9scan_implILNS1_25lookback_scan_determinismE0ELb0ELb0ES3_N6thrust23THRUST_200600_302600_NS6detail15normal_iteratorINS9_10device_ptrIjEEEESE_j11max_functorIjEjEEDaPvRmT3_T4_T5_mT6_P12ihipStream_tbENKUlT_T0_E_clISt17integral_constantIbLb1EESU_EEDaSP_SQ_EUlSP_E_NS1_11comp_targetILNS1_3genE9ELNS1_11target_archE1100ELNS1_3gpuE3ELNS1_3repE0EEENS1_30default_config_static_selectorELNS0_4arch9wavefront6targetE1EEEvT1_ ; -- Begin function _ZN7rocprim17ROCPRIM_400000_NS6detail17trampoline_kernelINS0_14default_configENS1_20scan_config_selectorIjEEZZNS1_9scan_implILNS1_25lookback_scan_determinismE0ELb0ELb0ES3_N6thrust23THRUST_200600_302600_NS6detail15normal_iteratorINS9_10device_ptrIjEEEESE_j11max_functorIjEjEEDaPvRmT3_T4_T5_mT6_P12ihipStream_tbENKUlT_T0_E_clISt17integral_constantIbLb1EESU_EEDaSP_SQ_EUlSP_E_NS1_11comp_targetILNS1_3genE9ELNS1_11target_archE1100ELNS1_3gpuE3ELNS1_3repE0EEENS1_30default_config_static_selectorELNS0_4arch9wavefront6targetE1EEEvT1_
	.globl	_ZN7rocprim17ROCPRIM_400000_NS6detail17trampoline_kernelINS0_14default_configENS1_20scan_config_selectorIjEEZZNS1_9scan_implILNS1_25lookback_scan_determinismE0ELb0ELb0ES3_N6thrust23THRUST_200600_302600_NS6detail15normal_iteratorINS9_10device_ptrIjEEEESE_j11max_functorIjEjEEDaPvRmT3_T4_T5_mT6_P12ihipStream_tbENKUlT_T0_E_clISt17integral_constantIbLb1EESU_EEDaSP_SQ_EUlSP_E_NS1_11comp_targetILNS1_3genE9ELNS1_11target_archE1100ELNS1_3gpuE3ELNS1_3repE0EEENS1_30default_config_static_selectorELNS0_4arch9wavefront6targetE1EEEvT1_
	.p2align	8
	.type	_ZN7rocprim17ROCPRIM_400000_NS6detail17trampoline_kernelINS0_14default_configENS1_20scan_config_selectorIjEEZZNS1_9scan_implILNS1_25lookback_scan_determinismE0ELb0ELb0ES3_N6thrust23THRUST_200600_302600_NS6detail15normal_iteratorINS9_10device_ptrIjEEEESE_j11max_functorIjEjEEDaPvRmT3_T4_T5_mT6_P12ihipStream_tbENKUlT_T0_E_clISt17integral_constantIbLb1EESU_EEDaSP_SQ_EUlSP_E_NS1_11comp_targetILNS1_3genE9ELNS1_11target_archE1100ELNS1_3gpuE3ELNS1_3repE0EEENS1_30default_config_static_selectorELNS0_4arch9wavefront6targetE1EEEvT1_,@function
_ZN7rocprim17ROCPRIM_400000_NS6detail17trampoline_kernelINS0_14default_configENS1_20scan_config_selectorIjEEZZNS1_9scan_implILNS1_25lookback_scan_determinismE0ELb0ELb0ES3_N6thrust23THRUST_200600_302600_NS6detail15normal_iteratorINS9_10device_ptrIjEEEESE_j11max_functorIjEjEEDaPvRmT3_T4_T5_mT6_P12ihipStream_tbENKUlT_T0_E_clISt17integral_constantIbLb1EESU_EEDaSP_SQ_EUlSP_E_NS1_11comp_targetILNS1_3genE9ELNS1_11target_archE1100ELNS1_3gpuE3ELNS1_3repE0EEENS1_30default_config_static_selectorELNS0_4arch9wavefront6targetE1EEEvT1_: ; @_ZN7rocprim17ROCPRIM_400000_NS6detail17trampoline_kernelINS0_14default_configENS1_20scan_config_selectorIjEEZZNS1_9scan_implILNS1_25lookback_scan_determinismE0ELb0ELb0ES3_N6thrust23THRUST_200600_302600_NS6detail15normal_iteratorINS9_10device_ptrIjEEEESE_j11max_functorIjEjEEDaPvRmT3_T4_T5_mT6_P12ihipStream_tbENKUlT_T0_E_clISt17integral_constantIbLb1EESU_EEDaSP_SQ_EUlSP_E_NS1_11comp_targetILNS1_3genE9ELNS1_11target_archE1100ELNS1_3gpuE3ELNS1_3repE0EEENS1_30default_config_static_selectorELNS0_4arch9wavefront6targetE1EEEvT1_
; %bb.0:
	.section	.rodata,"a",@progbits
	.p2align	6, 0x0
	.amdhsa_kernel _ZN7rocprim17ROCPRIM_400000_NS6detail17trampoline_kernelINS0_14default_configENS1_20scan_config_selectorIjEEZZNS1_9scan_implILNS1_25lookback_scan_determinismE0ELb0ELb0ES3_N6thrust23THRUST_200600_302600_NS6detail15normal_iteratorINS9_10device_ptrIjEEEESE_j11max_functorIjEjEEDaPvRmT3_T4_T5_mT6_P12ihipStream_tbENKUlT_T0_E_clISt17integral_constantIbLb1EESU_EEDaSP_SQ_EUlSP_E_NS1_11comp_targetILNS1_3genE9ELNS1_11target_archE1100ELNS1_3gpuE3ELNS1_3repE0EEENS1_30default_config_static_selectorELNS0_4arch9wavefront6targetE1EEEvT1_
		.amdhsa_group_segment_fixed_size 0
		.amdhsa_private_segment_fixed_size 0
		.amdhsa_kernarg_size 96
		.amdhsa_user_sgpr_count 6
		.amdhsa_user_sgpr_private_segment_buffer 1
		.amdhsa_user_sgpr_dispatch_ptr 0
		.amdhsa_user_sgpr_queue_ptr 0
		.amdhsa_user_sgpr_kernarg_segment_ptr 1
		.amdhsa_user_sgpr_dispatch_id 0
		.amdhsa_user_sgpr_flat_scratch_init 0
		.amdhsa_user_sgpr_kernarg_preload_length 0
		.amdhsa_user_sgpr_kernarg_preload_offset 0
		.amdhsa_user_sgpr_private_segment_size 0
		.amdhsa_uses_dynamic_stack 0
		.amdhsa_system_sgpr_private_segment_wavefront_offset 0
		.amdhsa_system_sgpr_workgroup_id_x 1
		.amdhsa_system_sgpr_workgroup_id_y 0
		.amdhsa_system_sgpr_workgroup_id_z 0
		.amdhsa_system_sgpr_workgroup_info 0
		.amdhsa_system_vgpr_workitem_id 0
		.amdhsa_next_free_vgpr 1
		.amdhsa_next_free_sgpr 0
		.amdhsa_accum_offset 4
		.amdhsa_reserve_vcc 0
		.amdhsa_reserve_flat_scratch 0
		.amdhsa_float_round_mode_32 0
		.amdhsa_float_round_mode_16_64 0
		.amdhsa_float_denorm_mode_32 3
		.amdhsa_float_denorm_mode_16_64 3
		.amdhsa_dx10_clamp 1
		.amdhsa_ieee_mode 1
		.amdhsa_fp16_overflow 0
		.amdhsa_tg_split 0
		.amdhsa_exception_fp_ieee_invalid_op 0
		.amdhsa_exception_fp_denorm_src 0
		.amdhsa_exception_fp_ieee_div_zero 0
		.amdhsa_exception_fp_ieee_overflow 0
		.amdhsa_exception_fp_ieee_underflow 0
		.amdhsa_exception_fp_ieee_inexact 0
		.amdhsa_exception_int_div_zero 0
	.end_amdhsa_kernel
	.section	.text._ZN7rocprim17ROCPRIM_400000_NS6detail17trampoline_kernelINS0_14default_configENS1_20scan_config_selectorIjEEZZNS1_9scan_implILNS1_25lookback_scan_determinismE0ELb0ELb0ES3_N6thrust23THRUST_200600_302600_NS6detail15normal_iteratorINS9_10device_ptrIjEEEESE_j11max_functorIjEjEEDaPvRmT3_T4_T5_mT6_P12ihipStream_tbENKUlT_T0_E_clISt17integral_constantIbLb1EESU_EEDaSP_SQ_EUlSP_E_NS1_11comp_targetILNS1_3genE9ELNS1_11target_archE1100ELNS1_3gpuE3ELNS1_3repE0EEENS1_30default_config_static_selectorELNS0_4arch9wavefront6targetE1EEEvT1_,"axG",@progbits,_ZN7rocprim17ROCPRIM_400000_NS6detail17trampoline_kernelINS0_14default_configENS1_20scan_config_selectorIjEEZZNS1_9scan_implILNS1_25lookback_scan_determinismE0ELb0ELb0ES3_N6thrust23THRUST_200600_302600_NS6detail15normal_iteratorINS9_10device_ptrIjEEEESE_j11max_functorIjEjEEDaPvRmT3_T4_T5_mT6_P12ihipStream_tbENKUlT_T0_E_clISt17integral_constantIbLb1EESU_EEDaSP_SQ_EUlSP_E_NS1_11comp_targetILNS1_3genE9ELNS1_11target_archE1100ELNS1_3gpuE3ELNS1_3repE0EEENS1_30default_config_static_selectorELNS0_4arch9wavefront6targetE1EEEvT1_,comdat
.Lfunc_end2280:
	.size	_ZN7rocprim17ROCPRIM_400000_NS6detail17trampoline_kernelINS0_14default_configENS1_20scan_config_selectorIjEEZZNS1_9scan_implILNS1_25lookback_scan_determinismE0ELb0ELb0ES3_N6thrust23THRUST_200600_302600_NS6detail15normal_iteratorINS9_10device_ptrIjEEEESE_j11max_functorIjEjEEDaPvRmT3_T4_T5_mT6_P12ihipStream_tbENKUlT_T0_E_clISt17integral_constantIbLb1EESU_EEDaSP_SQ_EUlSP_E_NS1_11comp_targetILNS1_3genE9ELNS1_11target_archE1100ELNS1_3gpuE3ELNS1_3repE0EEENS1_30default_config_static_selectorELNS0_4arch9wavefront6targetE1EEEvT1_, .Lfunc_end2280-_ZN7rocprim17ROCPRIM_400000_NS6detail17trampoline_kernelINS0_14default_configENS1_20scan_config_selectorIjEEZZNS1_9scan_implILNS1_25lookback_scan_determinismE0ELb0ELb0ES3_N6thrust23THRUST_200600_302600_NS6detail15normal_iteratorINS9_10device_ptrIjEEEESE_j11max_functorIjEjEEDaPvRmT3_T4_T5_mT6_P12ihipStream_tbENKUlT_T0_E_clISt17integral_constantIbLb1EESU_EEDaSP_SQ_EUlSP_E_NS1_11comp_targetILNS1_3genE9ELNS1_11target_archE1100ELNS1_3gpuE3ELNS1_3repE0EEENS1_30default_config_static_selectorELNS0_4arch9wavefront6targetE1EEEvT1_
                                        ; -- End function
	.section	.AMDGPU.csdata,"",@progbits
; Kernel info:
; codeLenInByte = 0
; NumSgprs: 4
; NumVgprs: 0
; NumAgprs: 0
; TotalNumVgprs: 0
; ScratchSize: 0
; MemoryBound: 0
; FloatMode: 240
; IeeeMode: 1
; LDSByteSize: 0 bytes/workgroup (compile time only)
; SGPRBlocks: 0
; VGPRBlocks: 0
; NumSGPRsForWavesPerEU: 4
; NumVGPRsForWavesPerEU: 1
; AccumOffset: 4
; Occupancy: 8
; WaveLimiterHint : 0
; COMPUTE_PGM_RSRC2:SCRATCH_EN: 0
; COMPUTE_PGM_RSRC2:USER_SGPR: 6
; COMPUTE_PGM_RSRC2:TRAP_HANDLER: 0
; COMPUTE_PGM_RSRC2:TGID_X_EN: 1
; COMPUTE_PGM_RSRC2:TGID_Y_EN: 0
; COMPUTE_PGM_RSRC2:TGID_Z_EN: 0
; COMPUTE_PGM_RSRC2:TIDIG_COMP_CNT: 0
; COMPUTE_PGM_RSRC3_GFX90A:ACCUM_OFFSET: 0
; COMPUTE_PGM_RSRC3_GFX90A:TG_SPLIT: 0
	.section	.text._ZN7rocprim17ROCPRIM_400000_NS6detail17trampoline_kernelINS0_14default_configENS1_20scan_config_selectorIjEEZZNS1_9scan_implILNS1_25lookback_scan_determinismE0ELb0ELb0ES3_N6thrust23THRUST_200600_302600_NS6detail15normal_iteratorINS9_10device_ptrIjEEEESE_j11max_functorIjEjEEDaPvRmT3_T4_T5_mT6_P12ihipStream_tbENKUlT_T0_E_clISt17integral_constantIbLb1EESU_EEDaSP_SQ_EUlSP_E_NS1_11comp_targetILNS1_3genE8ELNS1_11target_archE1030ELNS1_3gpuE2ELNS1_3repE0EEENS1_30default_config_static_selectorELNS0_4arch9wavefront6targetE1EEEvT1_,"axG",@progbits,_ZN7rocprim17ROCPRIM_400000_NS6detail17trampoline_kernelINS0_14default_configENS1_20scan_config_selectorIjEEZZNS1_9scan_implILNS1_25lookback_scan_determinismE0ELb0ELb0ES3_N6thrust23THRUST_200600_302600_NS6detail15normal_iteratorINS9_10device_ptrIjEEEESE_j11max_functorIjEjEEDaPvRmT3_T4_T5_mT6_P12ihipStream_tbENKUlT_T0_E_clISt17integral_constantIbLb1EESU_EEDaSP_SQ_EUlSP_E_NS1_11comp_targetILNS1_3genE8ELNS1_11target_archE1030ELNS1_3gpuE2ELNS1_3repE0EEENS1_30default_config_static_selectorELNS0_4arch9wavefront6targetE1EEEvT1_,comdat
	.protected	_ZN7rocprim17ROCPRIM_400000_NS6detail17trampoline_kernelINS0_14default_configENS1_20scan_config_selectorIjEEZZNS1_9scan_implILNS1_25lookback_scan_determinismE0ELb0ELb0ES3_N6thrust23THRUST_200600_302600_NS6detail15normal_iteratorINS9_10device_ptrIjEEEESE_j11max_functorIjEjEEDaPvRmT3_T4_T5_mT6_P12ihipStream_tbENKUlT_T0_E_clISt17integral_constantIbLb1EESU_EEDaSP_SQ_EUlSP_E_NS1_11comp_targetILNS1_3genE8ELNS1_11target_archE1030ELNS1_3gpuE2ELNS1_3repE0EEENS1_30default_config_static_selectorELNS0_4arch9wavefront6targetE1EEEvT1_ ; -- Begin function _ZN7rocprim17ROCPRIM_400000_NS6detail17trampoline_kernelINS0_14default_configENS1_20scan_config_selectorIjEEZZNS1_9scan_implILNS1_25lookback_scan_determinismE0ELb0ELb0ES3_N6thrust23THRUST_200600_302600_NS6detail15normal_iteratorINS9_10device_ptrIjEEEESE_j11max_functorIjEjEEDaPvRmT3_T4_T5_mT6_P12ihipStream_tbENKUlT_T0_E_clISt17integral_constantIbLb1EESU_EEDaSP_SQ_EUlSP_E_NS1_11comp_targetILNS1_3genE8ELNS1_11target_archE1030ELNS1_3gpuE2ELNS1_3repE0EEENS1_30default_config_static_selectorELNS0_4arch9wavefront6targetE1EEEvT1_
	.globl	_ZN7rocprim17ROCPRIM_400000_NS6detail17trampoline_kernelINS0_14default_configENS1_20scan_config_selectorIjEEZZNS1_9scan_implILNS1_25lookback_scan_determinismE0ELb0ELb0ES3_N6thrust23THRUST_200600_302600_NS6detail15normal_iteratorINS9_10device_ptrIjEEEESE_j11max_functorIjEjEEDaPvRmT3_T4_T5_mT6_P12ihipStream_tbENKUlT_T0_E_clISt17integral_constantIbLb1EESU_EEDaSP_SQ_EUlSP_E_NS1_11comp_targetILNS1_3genE8ELNS1_11target_archE1030ELNS1_3gpuE2ELNS1_3repE0EEENS1_30default_config_static_selectorELNS0_4arch9wavefront6targetE1EEEvT1_
	.p2align	8
	.type	_ZN7rocprim17ROCPRIM_400000_NS6detail17trampoline_kernelINS0_14default_configENS1_20scan_config_selectorIjEEZZNS1_9scan_implILNS1_25lookback_scan_determinismE0ELb0ELb0ES3_N6thrust23THRUST_200600_302600_NS6detail15normal_iteratorINS9_10device_ptrIjEEEESE_j11max_functorIjEjEEDaPvRmT3_T4_T5_mT6_P12ihipStream_tbENKUlT_T0_E_clISt17integral_constantIbLb1EESU_EEDaSP_SQ_EUlSP_E_NS1_11comp_targetILNS1_3genE8ELNS1_11target_archE1030ELNS1_3gpuE2ELNS1_3repE0EEENS1_30default_config_static_selectorELNS0_4arch9wavefront6targetE1EEEvT1_,@function
_ZN7rocprim17ROCPRIM_400000_NS6detail17trampoline_kernelINS0_14default_configENS1_20scan_config_selectorIjEEZZNS1_9scan_implILNS1_25lookback_scan_determinismE0ELb0ELb0ES3_N6thrust23THRUST_200600_302600_NS6detail15normal_iteratorINS9_10device_ptrIjEEEESE_j11max_functorIjEjEEDaPvRmT3_T4_T5_mT6_P12ihipStream_tbENKUlT_T0_E_clISt17integral_constantIbLb1EESU_EEDaSP_SQ_EUlSP_E_NS1_11comp_targetILNS1_3genE8ELNS1_11target_archE1030ELNS1_3gpuE2ELNS1_3repE0EEENS1_30default_config_static_selectorELNS0_4arch9wavefront6targetE1EEEvT1_: ; @_ZN7rocprim17ROCPRIM_400000_NS6detail17trampoline_kernelINS0_14default_configENS1_20scan_config_selectorIjEEZZNS1_9scan_implILNS1_25lookback_scan_determinismE0ELb0ELb0ES3_N6thrust23THRUST_200600_302600_NS6detail15normal_iteratorINS9_10device_ptrIjEEEESE_j11max_functorIjEjEEDaPvRmT3_T4_T5_mT6_P12ihipStream_tbENKUlT_T0_E_clISt17integral_constantIbLb1EESU_EEDaSP_SQ_EUlSP_E_NS1_11comp_targetILNS1_3genE8ELNS1_11target_archE1030ELNS1_3gpuE2ELNS1_3repE0EEENS1_30default_config_static_selectorELNS0_4arch9wavefront6targetE1EEEvT1_
; %bb.0:
	.section	.rodata,"a",@progbits
	.p2align	6, 0x0
	.amdhsa_kernel _ZN7rocprim17ROCPRIM_400000_NS6detail17trampoline_kernelINS0_14default_configENS1_20scan_config_selectorIjEEZZNS1_9scan_implILNS1_25lookback_scan_determinismE0ELb0ELb0ES3_N6thrust23THRUST_200600_302600_NS6detail15normal_iteratorINS9_10device_ptrIjEEEESE_j11max_functorIjEjEEDaPvRmT3_T4_T5_mT6_P12ihipStream_tbENKUlT_T0_E_clISt17integral_constantIbLb1EESU_EEDaSP_SQ_EUlSP_E_NS1_11comp_targetILNS1_3genE8ELNS1_11target_archE1030ELNS1_3gpuE2ELNS1_3repE0EEENS1_30default_config_static_selectorELNS0_4arch9wavefront6targetE1EEEvT1_
		.amdhsa_group_segment_fixed_size 0
		.amdhsa_private_segment_fixed_size 0
		.amdhsa_kernarg_size 96
		.amdhsa_user_sgpr_count 6
		.amdhsa_user_sgpr_private_segment_buffer 1
		.amdhsa_user_sgpr_dispatch_ptr 0
		.amdhsa_user_sgpr_queue_ptr 0
		.amdhsa_user_sgpr_kernarg_segment_ptr 1
		.amdhsa_user_sgpr_dispatch_id 0
		.amdhsa_user_sgpr_flat_scratch_init 0
		.amdhsa_user_sgpr_kernarg_preload_length 0
		.amdhsa_user_sgpr_kernarg_preload_offset 0
		.amdhsa_user_sgpr_private_segment_size 0
		.amdhsa_uses_dynamic_stack 0
		.amdhsa_system_sgpr_private_segment_wavefront_offset 0
		.amdhsa_system_sgpr_workgroup_id_x 1
		.amdhsa_system_sgpr_workgroup_id_y 0
		.amdhsa_system_sgpr_workgroup_id_z 0
		.amdhsa_system_sgpr_workgroup_info 0
		.amdhsa_system_vgpr_workitem_id 0
		.amdhsa_next_free_vgpr 1
		.amdhsa_next_free_sgpr 0
		.amdhsa_accum_offset 4
		.amdhsa_reserve_vcc 0
		.amdhsa_reserve_flat_scratch 0
		.amdhsa_float_round_mode_32 0
		.amdhsa_float_round_mode_16_64 0
		.amdhsa_float_denorm_mode_32 3
		.amdhsa_float_denorm_mode_16_64 3
		.amdhsa_dx10_clamp 1
		.amdhsa_ieee_mode 1
		.amdhsa_fp16_overflow 0
		.amdhsa_tg_split 0
		.amdhsa_exception_fp_ieee_invalid_op 0
		.amdhsa_exception_fp_denorm_src 0
		.amdhsa_exception_fp_ieee_div_zero 0
		.amdhsa_exception_fp_ieee_overflow 0
		.amdhsa_exception_fp_ieee_underflow 0
		.amdhsa_exception_fp_ieee_inexact 0
		.amdhsa_exception_int_div_zero 0
	.end_amdhsa_kernel
	.section	.text._ZN7rocprim17ROCPRIM_400000_NS6detail17trampoline_kernelINS0_14default_configENS1_20scan_config_selectorIjEEZZNS1_9scan_implILNS1_25lookback_scan_determinismE0ELb0ELb0ES3_N6thrust23THRUST_200600_302600_NS6detail15normal_iteratorINS9_10device_ptrIjEEEESE_j11max_functorIjEjEEDaPvRmT3_T4_T5_mT6_P12ihipStream_tbENKUlT_T0_E_clISt17integral_constantIbLb1EESU_EEDaSP_SQ_EUlSP_E_NS1_11comp_targetILNS1_3genE8ELNS1_11target_archE1030ELNS1_3gpuE2ELNS1_3repE0EEENS1_30default_config_static_selectorELNS0_4arch9wavefront6targetE1EEEvT1_,"axG",@progbits,_ZN7rocprim17ROCPRIM_400000_NS6detail17trampoline_kernelINS0_14default_configENS1_20scan_config_selectorIjEEZZNS1_9scan_implILNS1_25lookback_scan_determinismE0ELb0ELb0ES3_N6thrust23THRUST_200600_302600_NS6detail15normal_iteratorINS9_10device_ptrIjEEEESE_j11max_functorIjEjEEDaPvRmT3_T4_T5_mT6_P12ihipStream_tbENKUlT_T0_E_clISt17integral_constantIbLb1EESU_EEDaSP_SQ_EUlSP_E_NS1_11comp_targetILNS1_3genE8ELNS1_11target_archE1030ELNS1_3gpuE2ELNS1_3repE0EEENS1_30default_config_static_selectorELNS0_4arch9wavefront6targetE1EEEvT1_,comdat
.Lfunc_end2281:
	.size	_ZN7rocprim17ROCPRIM_400000_NS6detail17trampoline_kernelINS0_14default_configENS1_20scan_config_selectorIjEEZZNS1_9scan_implILNS1_25lookback_scan_determinismE0ELb0ELb0ES3_N6thrust23THRUST_200600_302600_NS6detail15normal_iteratorINS9_10device_ptrIjEEEESE_j11max_functorIjEjEEDaPvRmT3_T4_T5_mT6_P12ihipStream_tbENKUlT_T0_E_clISt17integral_constantIbLb1EESU_EEDaSP_SQ_EUlSP_E_NS1_11comp_targetILNS1_3genE8ELNS1_11target_archE1030ELNS1_3gpuE2ELNS1_3repE0EEENS1_30default_config_static_selectorELNS0_4arch9wavefront6targetE1EEEvT1_, .Lfunc_end2281-_ZN7rocprim17ROCPRIM_400000_NS6detail17trampoline_kernelINS0_14default_configENS1_20scan_config_selectorIjEEZZNS1_9scan_implILNS1_25lookback_scan_determinismE0ELb0ELb0ES3_N6thrust23THRUST_200600_302600_NS6detail15normal_iteratorINS9_10device_ptrIjEEEESE_j11max_functorIjEjEEDaPvRmT3_T4_T5_mT6_P12ihipStream_tbENKUlT_T0_E_clISt17integral_constantIbLb1EESU_EEDaSP_SQ_EUlSP_E_NS1_11comp_targetILNS1_3genE8ELNS1_11target_archE1030ELNS1_3gpuE2ELNS1_3repE0EEENS1_30default_config_static_selectorELNS0_4arch9wavefront6targetE1EEEvT1_
                                        ; -- End function
	.section	.AMDGPU.csdata,"",@progbits
; Kernel info:
; codeLenInByte = 0
; NumSgprs: 4
; NumVgprs: 0
; NumAgprs: 0
; TotalNumVgprs: 0
; ScratchSize: 0
; MemoryBound: 0
; FloatMode: 240
; IeeeMode: 1
; LDSByteSize: 0 bytes/workgroup (compile time only)
; SGPRBlocks: 0
; VGPRBlocks: 0
; NumSGPRsForWavesPerEU: 4
; NumVGPRsForWavesPerEU: 1
; AccumOffset: 4
; Occupancy: 8
; WaveLimiterHint : 0
; COMPUTE_PGM_RSRC2:SCRATCH_EN: 0
; COMPUTE_PGM_RSRC2:USER_SGPR: 6
; COMPUTE_PGM_RSRC2:TRAP_HANDLER: 0
; COMPUTE_PGM_RSRC2:TGID_X_EN: 1
; COMPUTE_PGM_RSRC2:TGID_Y_EN: 0
; COMPUTE_PGM_RSRC2:TGID_Z_EN: 0
; COMPUTE_PGM_RSRC2:TIDIG_COMP_CNT: 0
; COMPUTE_PGM_RSRC3_GFX90A:ACCUM_OFFSET: 0
; COMPUTE_PGM_RSRC3_GFX90A:TG_SPLIT: 0
	.section	.text._ZN7rocprim17ROCPRIM_400000_NS6detail17trampoline_kernelINS0_14default_configENS1_20scan_config_selectorIjEEZZNS1_9scan_implILNS1_25lookback_scan_determinismE0ELb0ELb0ES3_N6thrust23THRUST_200600_302600_NS6detail15normal_iteratorINS9_10device_ptrIjEEEESE_j11max_functorIjEjEEDaPvRmT3_T4_T5_mT6_P12ihipStream_tbENKUlT_T0_E_clISt17integral_constantIbLb1EESU_EEDaSP_SQ_EUlSP_E0_NS1_11comp_targetILNS1_3genE0ELNS1_11target_archE4294967295ELNS1_3gpuE0ELNS1_3repE0EEENS1_30default_config_static_selectorELNS0_4arch9wavefront6targetE1EEEvT1_,"axG",@progbits,_ZN7rocprim17ROCPRIM_400000_NS6detail17trampoline_kernelINS0_14default_configENS1_20scan_config_selectorIjEEZZNS1_9scan_implILNS1_25lookback_scan_determinismE0ELb0ELb0ES3_N6thrust23THRUST_200600_302600_NS6detail15normal_iteratorINS9_10device_ptrIjEEEESE_j11max_functorIjEjEEDaPvRmT3_T4_T5_mT6_P12ihipStream_tbENKUlT_T0_E_clISt17integral_constantIbLb1EESU_EEDaSP_SQ_EUlSP_E0_NS1_11comp_targetILNS1_3genE0ELNS1_11target_archE4294967295ELNS1_3gpuE0ELNS1_3repE0EEENS1_30default_config_static_selectorELNS0_4arch9wavefront6targetE1EEEvT1_,comdat
	.protected	_ZN7rocprim17ROCPRIM_400000_NS6detail17trampoline_kernelINS0_14default_configENS1_20scan_config_selectorIjEEZZNS1_9scan_implILNS1_25lookback_scan_determinismE0ELb0ELb0ES3_N6thrust23THRUST_200600_302600_NS6detail15normal_iteratorINS9_10device_ptrIjEEEESE_j11max_functorIjEjEEDaPvRmT3_T4_T5_mT6_P12ihipStream_tbENKUlT_T0_E_clISt17integral_constantIbLb1EESU_EEDaSP_SQ_EUlSP_E0_NS1_11comp_targetILNS1_3genE0ELNS1_11target_archE4294967295ELNS1_3gpuE0ELNS1_3repE0EEENS1_30default_config_static_selectorELNS0_4arch9wavefront6targetE1EEEvT1_ ; -- Begin function _ZN7rocprim17ROCPRIM_400000_NS6detail17trampoline_kernelINS0_14default_configENS1_20scan_config_selectorIjEEZZNS1_9scan_implILNS1_25lookback_scan_determinismE0ELb0ELb0ES3_N6thrust23THRUST_200600_302600_NS6detail15normal_iteratorINS9_10device_ptrIjEEEESE_j11max_functorIjEjEEDaPvRmT3_T4_T5_mT6_P12ihipStream_tbENKUlT_T0_E_clISt17integral_constantIbLb1EESU_EEDaSP_SQ_EUlSP_E0_NS1_11comp_targetILNS1_3genE0ELNS1_11target_archE4294967295ELNS1_3gpuE0ELNS1_3repE0EEENS1_30default_config_static_selectorELNS0_4arch9wavefront6targetE1EEEvT1_
	.globl	_ZN7rocprim17ROCPRIM_400000_NS6detail17trampoline_kernelINS0_14default_configENS1_20scan_config_selectorIjEEZZNS1_9scan_implILNS1_25lookback_scan_determinismE0ELb0ELb0ES3_N6thrust23THRUST_200600_302600_NS6detail15normal_iteratorINS9_10device_ptrIjEEEESE_j11max_functorIjEjEEDaPvRmT3_T4_T5_mT6_P12ihipStream_tbENKUlT_T0_E_clISt17integral_constantIbLb1EESU_EEDaSP_SQ_EUlSP_E0_NS1_11comp_targetILNS1_3genE0ELNS1_11target_archE4294967295ELNS1_3gpuE0ELNS1_3repE0EEENS1_30default_config_static_selectorELNS0_4arch9wavefront6targetE1EEEvT1_
	.p2align	8
	.type	_ZN7rocprim17ROCPRIM_400000_NS6detail17trampoline_kernelINS0_14default_configENS1_20scan_config_selectorIjEEZZNS1_9scan_implILNS1_25lookback_scan_determinismE0ELb0ELb0ES3_N6thrust23THRUST_200600_302600_NS6detail15normal_iteratorINS9_10device_ptrIjEEEESE_j11max_functorIjEjEEDaPvRmT3_T4_T5_mT6_P12ihipStream_tbENKUlT_T0_E_clISt17integral_constantIbLb1EESU_EEDaSP_SQ_EUlSP_E0_NS1_11comp_targetILNS1_3genE0ELNS1_11target_archE4294967295ELNS1_3gpuE0ELNS1_3repE0EEENS1_30default_config_static_selectorELNS0_4arch9wavefront6targetE1EEEvT1_,@function
_ZN7rocprim17ROCPRIM_400000_NS6detail17trampoline_kernelINS0_14default_configENS1_20scan_config_selectorIjEEZZNS1_9scan_implILNS1_25lookback_scan_determinismE0ELb0ELb0ES3_N6thrust23THRUST_200600_302600_NS6detail15normal_iteratorINS9_10device_ptrIjEEEESE_j11max_functorIjEjEEDaPvRmT3_T4_T5_mT6_P12ihipStream_tbENKUlT_T0_E_clISt17integral_constantIbLb1EESU_EEDaSP_SQ_EUlSP_E0_NS1_11comp_targetILNS1_3genE0ELNS1_11target_archE4294967295ELNS1_3gpuE0ELNS1_3repE0EEENS1_30default_config_static_selectorELNS0_4arch9wavefront6targetE1EEEvT1_: ; @_ZN7rocprim17ROCPRIM_400000_NS6detail17trampoline_kernelINS0_14default_configENS1_20scan_config_selectorIjEEZZNS1_9scan_implILNS1_25lookback_scan_determinismE0ELb0ELb0ES3_N6thrust23THRUST_200600_302600_NS6detail15normal_iteratorINS9_10device_ptrIjEEEESE_j11max_functorIjEjEEDaPvRmT3_T4_T5_mT6_P12ihipStream_tbENKUlT_T0_E_clISt17integral_constantIbLb1EESU_EEDaSP_SQ_EUlSP_E0_NS1_11comp_targetILNS1_3genE0ELNS1_11target_archE4294967295ELNS1_3gpuE0ELNS1_3repE0EEENS1_30default_config_static_selectorELNS0_4arch9wavefront6targetE1EEEvT1_
; %bb.0:
	.section	.rodata,"a",@progbits
	.p2align	6, 0x0
	.amdhsa_kernel _ZN7rocprim17ROCPRIM_400000_NS6detail17trampoline_kernelINS0_14default_configENS1_20scan_config_selectorIjEEZZNS1_9scan_implILNS1_25lookback_scan_determinismE0ELb0ELb0ES3_N6thrust23THRUST_200600_302600_NS6detail15normal_iteratorINS9_10device_ptrIjEEEESE_j11max_functorIjEjEEDaPvRmT3_T4_T5_mT6_P12ihipStream_tbENKUlT_T0_E_clISt17integral_constantIbLb1EESU_EEDaSP_SQ_EUlSP_E0_NS1_11comp_targetILNS1_3genE0ELNS1_11target_archE4294967295ELNS1_3gpuE0ELNS1_3repE0EEENS1_30default_config_static_selectorELNS0_4arch9wavefront6targetE1EEEvT1_
		.amdhsa_group_segment_fixed_size 0
		.amdhsa_private_segment_fixed_size 0
		.amdhsa_kernarg_size 32
		.amdhsa_user_sgpr_count 6
		.amdhsa_user_sgpr_private_segment_buffer 1
		.amdhsa_user_sgpr_dispatch_ptr 0
		.amdhsa_user_sgpr_queue_ptr 0
		.amdhsa_user_sgpr_kernarg_segment_ptr 1
		.amdhsa_user_sgpr_dispatch_id 0
		.amdhsa_user_sgpr_flat_scratch_init 0
		.amdhsa_user_sgpr_kernarg_preload_length 0
		.amdhsa_user_sgpr_kernarg_preload_offset 0
		.amdhsa_user_sgpr_private_segment_size 0
		.amdhsa_uses_dynamic_stack 0
		.amdhsa_system_sgpr_private_segment_wavefront_offset 0
		.amdhsa_system_sgpr_workgroup_id_x 1
		.amdhsa_system_sgpr_workgroup_id_y 0
		.amdhsa_system_sgpr_workgroup_id_z 0
		.amdhsa_system_sgpr_workgroup_info 0
		.amdhsa_system_vgpr_workitem_id 0
		.amdhsa_next_free_vgpr 1
		.amdhsa_next_free_sgpr 0
		.amdhsa_accum_offset 4
		.amdhsa_reserve_vcc 0
		.amdhsa_reserve_flat_scratch 0
		.amdhsa_float_round_mode_32 0
		.amdhsa_float_round_mode_16_64 0
		.amdhsa_float_denorm_mode_32 3
		.amdhsa_float_denorm_mode_16_64 3
		.amdhsa_dx10_clamp 1
		.amdhsa_ieee_mode 1
		.amdhsa_fp16_overflow 0
		.amdhsa_tg_split 0
		.amdhsa_exception_fp_ieee_invalid_op 0
		.amdhsa_exception_fp_denorm_src 0
		.amdhsa_exception_fp_ieee_div_zero 0
		.amdhsa_exception_fp_ieee_overflow 0
		.amdhsa_exception_fp_ieee_underflow 0
		.amdhsa_exception_fp_ieee_inexact 0
		.amdhsa_exception_int_div_zero 0
	.end_amdhsa_kernel
	.section	.text._ZN7rocprim17ROCPRIM_400000_NS6detail17trampoline_kernelINS0_14default_configENS1_20scan_config_selectorIjEEZZNS1_9scan_implILNS1_25lookback_scan_determinismE0ELb0ELb0ES3_N6thrust23THRUST_200600_302600_NS6detail15normal_iteratorINS9_10device_ptrIjEEEESE_j11max_functorIjEjEEDaPvRmT3_T4_T5_mT6_P12ihipStream_tbENKUlT_T0_E_clISt17integral_constantIbLb1EESU_EEDaSP_SQ_EUlSP_E0_NS1_11comp_targetILNS1_3genE0ELNS1_11target_archE4294967295ELNS1_3gpuE0ELNS1_3repE0EEENS1_30default_config_static_selectorELNS0_4arch9wavefront6targetE1EEEvT1_,"axG",@progbits,_ZN7rocprim17ROCPRIM_400000_NS6detail17trampoline_kernelINS0_14default_configENS1_20scan_config_selectorIjEEZZNS1_9scan_implILNS1_25lookback_scan_determinismE0ELb0ELb0ES3_N6thrust23THRUST_200600_302600_NS6detail15normal_iteratorINS9_10device_ptrIjEEEESE_j11max_functorIjEjEEDaPvRmT3_T4_T5_mT6_P12ihipStream_tbENKUlT_T0_E_clISt17integral_constantIbLb1EESU_EEDaSP_SQ_EUlSP_E0_NS1_11comp_targetILNS1_3genE0ELNS1_11target_archE4294967295ELNS1_3gpuE0ELNS1_3repE0EEENS1_30default_config_static_selectorELNS0_4arch9wavefront6targetE1EEEvT1_,comdat
.Lfunc_end2282:
	.size	_ZN7rocprim17ROCPRIM_400000_NS6detail17trampoline_kernelINS0_14default_configENS1_20scan_config_selectorIjEEZZNS1_9scan_implILNS1_25lookback_scan_determinismE0ELb0ELb0ES3_N6thrust23THRUST_200600_302600_NS6detail15normal_iteratorINS9_10device_ptrIjEEEESE_j11max_functorIjEjEEDaPvRmT3_T4_T5_mT6_P12ihipStream_tbENKUlT_T0_E_clISt17integral_constantIbLb1EESU_EEDaSP_SQ_EUlSP_E0_NS1_11comp_targetILNS1_3genE0ELNS1_11target_archE4294967295ELNS1_3gpuE0ELNS1_3repE0EEENS1_30default_config_static_selectorELNS0_4arch9wavefront6targetE1EEEvT1_, .Lfunc_end2282-_ZN7rocprim17ROCPRIM_400000_NS6detail17trampoline_kernelINS0_14default_configENS1_20scan_config_selectorIjEEZZNS1_9scan_implILNS1_25lookback_scan_determinismE0ELb0ELb0ES3_N6thrust23THRUST_200600_302600_NS6detail15normal_iteratorINS9_10device_ptrIjEEEESE_j11max_functorIjEjEEDaPvRmT3_T4_T5_mT6_P12ihipStream_tbENKUlT_T0_E_clISt17integral_constantIbLb1EESU_EEDaSP_SQ_EUlSP_E0_NS1_11comp_targetILNS1_3genE0ELNS1_11target_archE4294967295ELNS1_3gpuE0ELNS1_3repE0EEENS1_30default_config_static_selectorELNS0_4arch9wavefront6targetE1EEEvT1_
                                        ; -- End function
	.section	.AMDGPU.csdata,"",@progbits
; Kernel info:
; codeLenInByte = 0
; NumSgprs: 4
; NumVgprs: 0
; NumAgprs: 0
; TotalNumVgprs: 0
; ScratchSize: 0
; MemoryBound: 0
; FloatMode: 240
; IeeeMode: 1
; LDSByteSize: 0 bytes/workgroup (compile time only)
; SGPRBlocks: 0
; VGPRBlocks: 0
; NumSGPRsForWavesPerEU: 4
; NumVGPRsForWavesPerEU: 1
; AccumOffset: 4
; Occupancy: 8
; WaveLimiterHint : 0
; COMPUTE_PGM_RSRC2:SCRATCH_EN: 0
; COMPUTE_PGM_RSRC2:USER_SGPR: 6
; COMPUTE_PGM_RSRC2:TRAP_HANDLER: 0
; COMPUTE_PGM_RSRC2:TGID_X_EN: 1
; COMPUTE_PGM_RSRC2:TGID_Y_EN: 0
; COMPUTE_PGM_RSRC2:TGID_Z_EN: 0
; COMPUTE_PGM_RSRC2:TIDIG_COMP_CNT: 0
; COMPUTE_PGM_RSRC3_GFX90A:ACCUM_OFFSET: 0
; COMPUTE_PGM_RSRC3_GFX90A:TG_SPLIT: 0
	.section	.text._ZN7rocprim17ROCPRIM_400000_NS6detail17trampoline_kernelINS0_14default_configENS1_20scan_config_selectorIjEEZZNS1_9scan_implILNS1_25lookback_scan_determinismE0ELb0ELb0ES3_N6thrust23THRUST_200600_302600_NS6detail15normal_iteratorINS9_10device_ptrIjEEEESE_j11max_functorIjEjEEDaPvRmT3_T4_T5_mT6_P12ihipStream_tbENKUlT_T0_E_clISt17integral_constantIbLb1EESU_EEDaSP_SQ_EUlSP_E0_NS1_11comp_targetILNS1_3genE5ELNS1_11target_archE942ELNS1_3gpuE9ELNS1_3repE0EEENS1_30default_config_static_selectorELNS0_4arch9wavefront6targetE1EEEvT1_,"axG",@progbits,_ZN7rocprim17ROCPRIM_400000_NS6detail17trampoline_kernelINS0_14default_configENS1_20scan_config_selectorIjEEZZNS1_9scan_implILNS1_25lookback_scan_determinismE0ELb0ELb0ES3_N6thrust23THRUST_200600_302600_NS6detail15normal_iteratorINS9_10device_ptrIjEEEESE_j11max_functorIjEjEEDaPvRmT3_T4_T5_mT6_P12ihipStream_tbENKUlT_T0_E_clISt17integral_constantIbLb1EESU_EEDaSP_SQ_EUlSP_E0_NS1_11comp_targetILNS1_3genE5ELNS1_11target_archE942ELNS1_3gpuE9ELNS1_3repE0EEENS1_30default_config_static_selectorELNS0_4arch9wavefront6targetE1EEEvT1_,comdat
	.protected	_ZN7rocprim17ROCPRIM_400000_NS6detail17trampoline_kernelINS0_14default_configENS1_20scan_config_selectorIjEEZZNS1_9scan_implILNS1_25lookback_scan_determinismE0ELb0ELb0ES3_N6thrust23THRUST_200600_302600_NS6detail15normal_iteratorINS9_10device_ptrIjEEEESE_j11max_functorIjEjEEDaPvRmT3_T4_T5_mT6_P12ihipStream_tbENKUlT_T0_E_clISt17integral_constantIbLb1EESU_EEDaSP_SQ_EUlSP_E0_NS1_11comp_targetILNS1_3genE5ELNS1_11target_archE942ELNS1_3gpuE9ELNS1_3repE0EEENS1_30default_config_static_selectorELNS0_4arch9wavefront6targetE1EEEvT1_ ; -- Begin function _ZN7rocprim17ROCPRIM_400000_NS6detail17trampoline_kernelINS0_14default_configENS1_20scan_config_selectorIjEEZZNS1_9scan_implILNS1_25lookback_scan_determinismE0ELb0ELb0ES3_N6thrust23THRUST_200600_302600_NS6detail15normal_iteratorINS9_10device_ptrIjEEEESE_j11max_functorIjEjEEDaPvRmT3_T4_T5_mT6_P12ihipStream_tbENKUlT_T0_E_clISt17integral_constantIbLb1EESU_EEDaSP_SQ_EUlSP_E0_NS1_11comp_targetILNS1_3genE5ELNS1_11target_archE942ELNS1_3gpuE9ELNS1_3repE0EEENS1_30default_config_static_selectorELNS0_4arch9wavefront6targetE1EEEvT1_
	.globl	_ZN7rocprim17ROCPRIM_400000_NS6detail17trampoline_kernelINS0_14default_configENS1_20scan_config_selectorIjEEZZNS1_9scan_implILNS1_25lookback_scan_determinismE0ELb0ELb0ES3_N6thrust23THRUST_200600_302600_NS6detail15normal_iteratorINS9_10device_ptrIjEEEESE_j11max_functorIjEjEEDaPvRmT3_T4_T5_mT6_P12ihipStream_tbENKUlT_T0_E_clISt17integral_constantIbLb1EESU_EEDaSP_SQ_EUlSP_E0_NS1_11comp_targetILNS1_3genE5ELNS1_11target_archE942ELNS1_3gpuE9ELNS1_3repE0EEENS1_30default_config_static_selectorELNS0_4arch9wavefront6targetE1EEEvT1_
	.p2align	8
	.type	_ZN7rocprim17ROCPRIM_400000_NS6detail17trampoline_kernelINS0_14default_configENS1_20scan_config_selectorIjEEZZNS1_9scan_implILNS1_25lookback_scan_determinismE0ELb0ELb0ES3_N6thrust23THRUST_200600_302600_NS6detail15normal_iteratorINS9_10device_ptrIjEEEESE_j11max_functorIjEjEEDaPvRmT3_T4_T5_mT6_P12ihipStream_tbENKUlT_T0_E_clISt17integral_constantIbLb1EESU_EEDaSP_SQ_EUlSP_E0_NS1_11comp_targetILNS1_3genE5ELNS1_11target_archE942ELNS1_3gpuE9ELNS1_3repE0EEENS1_30default_config_static_selectorELNS0_4arch9wavefront6targetE1EEEvT1_,@function
_ZN7rocprim17ROCPRIM_400000_NS6detail17trampoline_kernelINS0_14default_configENS1_20scan_config_selectorIjEEZZNS1_9scan_implILNS1_25lookback_scan_determinismE0ELb0ELb0ES3_N6thrust23THRUST_200600_302600_NS6detail15normal_iteratorINS9_10device_ptrIjEEEESE_j11max_functorIjEjEEDaPvRmT3_T4_T5_mT6_P12ihipStream_tbENKUlT_T0_E_clISt17integral_constantIbLb1EESU_EEDaSP_SQ_EUlSP_E0_NS1_11comp_targetILNS1_3genE5ELNS1_11target_archE942ELNS1_3gpuE9ELNS1_3repE0EEENS1_30default_config_static_selectorELNS0_4arch9wavefront6targetE1EEEvT1_: ; @_ZN7rocprim17ROCPRIM_400000_NS6detail17trampoline_kernelINS0_14default_configENS1_20scan_config_selectorIjEEZZNS1_9scan_implILNS1_25lookback_scan_determinismE0ELb0ELb0ES3_N6thrust23THRUST_200600_302600_NS6detail15normal_iteratorINS9_10device_ptrIjEEEESE_j11max_functorIjEjEEDaPvRmT3_T4_T5_mT6_P12ihipStream_tbENKUlT_T0_E_clISt17integral_constantIbLb1EESU_EEDaSP_SQ_EUlSP_E0_NS1_11comp_targetILNS1_3genE5ELNS1_11target_archE942ELNS1_3gpuE9ELNS1_3repE0EEENS1_30default_config_static_selectorELNS0_4arch9wavefront6targetE1EEEvT1_
; %bb.0:
	.section	.rodata,"a",@progbits
	.p2align	6, 0x0
	.amdhsa_kernel _ZN7rocprim17ROCPRIM_400000_NS6detail17trampoline_kernelINS0_14default_configENS1_20scan_config_selectorIjEEZZNS1_9scan_implILNS1_25lookback_scan_determinismE0ELb0ELb0ES3_N6thrust23THRUST_200600_302600_NS6detail15normal_iteratorINS9_10device_ptrIjEEEESE_j11max_functorIjEjEEDaPvRmT3_T4_T5_mT6_P12ihipStream_tbENKUlT_T0_E_clISt17integral_constantIbLb1EESU_EEDaSP_SQ_EUlSP_E0_NS1_11comp_targetILNS1_3genE5ELNS1_11target_archE942ELNS1_3gpuE9ELNS1_3repE0EEENS1_30default_config_static_selectorELNS0_4arch9wavefront6targetE1EEEvT1_
		.amdhsa_group_segment_fixed_size 0
		.amdhsa_private_segment_fixed_size 0
		.amdhsa_kernarg_size 32
		.amdhsa_user_sgpr_count 6
		.amdhsa_user_sgpr_private_segment_buffer 1
		.amdhsa_user_sgpr_dispatch_ptr 0
		.amdhsa_user_sgpr_queue_ptr 0
		.amdhsa_user_sgpr_kernarg_segment_ptr 1
		.amdhsa_user_sgpr_dispatch_id 0
		.amdhsa_user_sgpr_flat_scratch_init 0
		.amdhsa_user_sgpr_kernarg_preload_length 0
		.amdhsa_user_sgpr_kernarg_preload_offset 0
		.amdhsa_user_sgpr_private_segment_size 0
		.amdhsa_uses_dynamic_stack 0
		.amdhsa_system_sgpr_private_segment_wavefront_offset 0
		.amdhsa_system_sgpr_workgroup_id_x 1
		.amdhsa_system_sgpr_workgroup_id_y 0
		.amdhsa_system_sgpr_workgroup_id_z 0
		.amdhsa_system_sgpr_workgroup_info 0
		.amdhsa_system_vgpr_workitem_id 0
		.amdhsa_next_free_vgpr 1
		.amdhsa_next_free_sgpr 0
		.amdhsa_accum_offset 4
		.amdhsa_reserve_vcc 0
		.amdhsa_reserve_flat_scratch 0
		.amdhsa_float_round_mode_32 0
		.amdhsa_float_round_mode_16_64 0
		.amdhsa_float_denorm_mode_32 3
		.amdhsa_float_denorm_mode_16_64 3
		.amdhsa_dx10_clamp 1
		.amdhsa_ieee_mode 1
		.amdhsa_fp16_overflow 0
		.amdhsa_tg_split 0
		.amdhsa_exception_fp_ieee_invalid_op 0
		.amdhsa_exception_fp_denorm_src 0
		.amdhsa_exception_fp_ieee_div_zero 0
		.amdhsa_exception_fp_ieee_overflow 0
		.amdhsa_exception_fp_ieee_underflow 0
		.amdhsa_exception_fp_ieee_inexact 0
		.amdhsa_exception_int_div_zero 0
	.end_amdhsa_kernel
	.section	.text._ZN7rocprim17ROCPRIM_400000_NS6detail17trampoline_kernelINS0_14default_configENS1_20scan_config_selectorIjEEZZNS1_9scan_implILNS1_25lookback_scan_determinismE0ELb0ELb0ES3_N6thrust23THRUST_200600_302600_NS6detail15normal_iteratorINS9_10device_ptrIjEEEESE_j11max_functorIjEjEEDaPvRmT3_T4_T5_mT6_P12ihipStream_tbENKUlT_T0_E_clISt17integral_constantIbLb1EESU_EEDaSP_SQ_EUlSP_E0_NS1_11comp_targetILNS1_3genE5ELNS1_11target_archE942ELNS1_3gpuE9ELNS1_3repE0EEENS1_30default_config_static_selectorELNS0_4arch9wavefront6targetE1EEEvT1_,"axG",@progbits,_ZN7rocprim17ROCPRIM_400000_NS6detail17trampoline_kernelINS0_14default_configENS1_20scan_config_selectorIjEEZZNS1_9scan_implILNS1_25lookback_scan_determinismE0ELb0ELb0ES3_N6thrust23THRUST_200600_302600_NS6detail15normal_iteratorINS9_10device_ptrIjEEEESE_j11max_functorIjEjEEDaPvRmT3_T4_T5_mT6_P12ihipStream_tbENKUlT_T0_E_clISt17integral_constantIbLb1EESU_EEDaSP_SQ_EUlSP_E0_NS1_11comp_targetILNS1_3genE5ELNS1_11target_archE942ELNS1_3gpuE9ELNS1_3repE0EEENS1_30default_config_static_selectorELNS0_4arch9wavefront6targetE1EEEvT1_,comdat
.Lfunc_end2283:
	.size	_ZN7rocprim17ROCPRIM_400000_NS6detail17trampoline_kernelINS0_14default_configENS1_20scan_config_selectorIjEEZZNS1_9scan_implILNS1_25lookback_scan_determinismE0ELb0ELb0ES3_N6thrust23THRUST_200600_302600_NS6detail15normal_iteratorINS9_10device_ptrIjEEEESE_j11max_functorIjEjEEDaPvRmT3_T4_T5_mT6_P12ihipStream_tbENKUlT_T0_E_clISt17integral_constantIbLb1EESU_EEDaSP_SQ_EUlSP_E0_NS1_11comp_targetILNS1_3genE5ELNS1_11target_archE942ELNS1_3gpuE9ELNS1_3repE0EEENS1_30default_config_static_selectorELNS0_4arch9wavefront6targetE1EEEvT1_, .Lfunc_end2283-_ZN7rocprim17ROCPRIM_400000_NS6detail17trampoline_kernelINS0_14default_configENS1_20scan_config_selectorIjEEZZNS1_9scan_implILNS1_25lookback_scan_determinismE0ELb0ELb0ES3_N6thrust23THRUST_200600_302600_NS6detail15normal_iteratorINS9_10device_ptrIjEEEESE_j11max_functorIjEjEEDaPvRmT3_T4_T5_mT6_P12ihipStream_tbENKUlT_T0_E_clISt17integral_constantIbLb1EESU_EEDaSP_SQ_EUlSP_E0_NS1_11comp_targetILNS1_3genE5ELNS1_11target_archE942ELNS1_3gpuE9ELNS1_3repE0EEENS1_30default_config_static_selectorELNS0_4arch9wavefront6targetE1EEEvT1_
                                        ; -- End function
	.section	.AMDGPU.csdata,"",@progbits
; Kernel info:
; codeLenInByte = 0
; NumSgprs: 4
; NumVgprs: 0
; NumAgprs: 0
; TotalNumVgprs: 0
; ScratchSize: 0
; MemoryBound: 0
; FloatMode: 240
; IeeeMode: 1
; LDSByteSize: 0 bytes/workgroup (compile time only)
; SGPRBlocks: 0
; VGPRBlocks: 0
; NumSGPRsForWavesPerEU: 4
; NumVGPRsForWavesPerEU: 1
; AccumOffset: 4
; Occupancy: 8
; WaveLimiterHint : 0
; COMPUTE_PGM_RSRC2:SCRATCH_EN: 0
; COMPUTE_PGM_RSRC2:USER_SGPR: 6
; COMPUTE_PGM_RSRC2:TRAP_HANDLER: 0
; COMPUTE_PGM_RSRC2:TGID_X_EN: 1
; COMPUTE_PGM_RSRC2:TGID_Y_EN: 0
; COMPUTE_PGM_RSRC2:TGID_Z_EN: 0
; COMPUTE_PGM_RSRC2:TIDIG_COMP_CNT: 0
; COMPUTE_PGM_RSRC3_GFX90A:ACCUM_OFFSET: 0
; COMPUTE_PGM_RSRC3_GFX90A:TG_SPLIT: 0
	.section	.text._ZN7rocprim17ROCPRIM_400000_NS6detail17trampoline_kernelINS0_14default_configENS1_20scan_config_selectorIjEEZZNS1_9scan_implILNS1_25lookback_scan_determinismE0ELb0ELb0ES3_N6thrust23THRUST_200600_302600_NS6detail15normal_iteratorINS9_10device_ptrIjEEEESE_j11max_functorIjEjEEDaPvRmT3_T4_T5_mT6_P12ihipStream_tbENKUlT_T0_E_clISt17integral_constantIbLb1EESU_EEDaSP_SQ_EUlSP_E0_NS1_11comp_targetILNS1_3genE4ELNS1_11target_archE910ELNS1_3gpuE8ELNS1_3repE0EEENS1_30default_config_static_selectorELNS0_4arch9wavefront6targetE1EEEvT1_,"axG",@progbits,_ZN7rocprim17ROCPRIM_400000_NS6detail17trampoline_kernelINS0_14default_configENS1_20scan_config_selectorIjEEZZNS1_9scan_implILNS1_25lookback_scan_determinismE0ELb0ELb0ES3_N6thrust23THRUST_200600_302600_NS6detail15normal_iteratorINS9_10device_ptrIjEEEESE_j11max_functorIjEjEEDaPvRmT3_T4_T5_mT6_P12ihipStream_tbENKUlT_T0_E_clISt17integral_constantIbLb1EESU_EEDaSP_SQ_EUlSP_E0_NS1_11comp_targetILNS1_3genE4ELNS1_11target_archE910ELNS1_3gpuE8ELNS1_3repE0EEENS1_30default_config_static_selectorELNS0_4arch9wavefront6targetE1EEEvT1_,comdat
	.protected	_ZN7rocprim17ROCPRIM_400000_NS6detail17trampoline_kernelINS0_14default_configENS1_20scan_config_selectorIjEEZZNS1_9scan_implILNS1_25lookback_scan_determinismE0ELb0ELb0ES3_N6thrust23THRUST_200600_302600_NS6detail15normal_iteratorINS9_10device_ptrIjEEEESE_j11max_functorIjEjEEDaPvRmT3_T4_T5_mT6_P12ihipStream_tbENKUlT_T0_E_clISt17integral_constantIbLb1EESU_EEDaSP_SQ_EUlSP_E0_NS1_11comp_targetILNS1_3genE4ELNS1_11target_archE910ELNS1_3gpuE8ELNS1_3repE0EEENS1_30default_config_static_selectorELNS0_4arch9wavefront6targetE1EEEvT1_ ; -- Begin function _ZN7rocprim17ROCPRIM_400000_NS6detail17trampoline_kernelINS0_14default_configENS1_20scan_config_selectorIjEEZZNS1_9scan_implILNS1_25lookback_scan_determinismE0ELb0ELb0ES3_N6thrust23THRUST_200600_302600_NS6detail15normal_iteratorINS9_10device_ptrIjEEEESE_j11max_functorIjEjEEDaPvRmT3_T4_T5_mT6_P12ihipStream_tbENKUlT_T0_E_clISt17integral_constantIbLb1EESU_EEDaSP_SQ_EUlSP_E0_NS1_11comp_targetILNS1_3genE4ELNS1_11target_archE910ELNS1_3gpuE8ELNS1_3repE0EEENS1_30default_config_static_selectorELNS0_4arch9wavefront6targetE1EEEvT1_
	.globl	_ZN7rocprim17ROCPRIM_400000_NS6detail17trampoline_kernelINS0_14default_configENS1_20scan_config_selectorIjEEZZNS1_9scan_implILNS1_25lookback_scan_determinismE0ELb0ELb0ES3_N6thrust23THRUST_200600_302600_NS6detail15normal_iteratorINS9_10device_ptrIjEEEESE_j11max_functorIjEjEEDaPvRmT3_T4_T5_mT6_P12ihipStream_tbENKUlT_T0_E_clISt17integral_constantIbLb1EESU_EEDaSP_SQ_EUlSP_E0_NS1_11comp_targetILNS1_3genE4ELNS1_11target_archE910ELNS1_3gpuE8ELNS1_3repE0EEENS1_30default_config_static_selectorELNS0_4arch9wavefront6targetE1EEEvT1_
	.p2align	8
	.type	_ZN7rocprim17ROCPRIM_400000_NS6detail17trampoline_kernelINS0_14default_configENS1_20scan_config_selectorIjEEZZNS1_9scan_implILNS1_25lookback_scan_determinismE0ELb0ELb0ES3_N6thrust23THRUST_200600_302600_NS6detail15normal_iteratorINS9_10device_ptrIjEEEESE_j11max_functorIjEjEEDaPvRmT3_T4_T5_mT6_P12ihipStream_tbENKUlT_T0_E_clISt17integral_constantIbLb1EESU_EEDaSP_SQ_EUlSP_E0_NS1_11comp_targetILNS1_3genE4ELNS1_11target_archE910ELNS1_3gpuE8ELNS1_3repE0EEENS1_30default_config_static_selectorELNS0_4arch9wavefront6targetE1EEEvT1_,@function
_ZN7rocprim17ROCPRIM_400000_NS6detail17trampoline_kernelINS0_14default_configENS1_20scan_config_selectorIjEEZZNS1_9scan_implILNS1_25lookback_scan_determinismE0ELb0ELb0ES3_N6thrust23THRUST_200600_302600_NS6detail15normal_iteratorINS9_10device_ptrIjEEEESE_j11max_functorIjEjEEDaPvRmT3_T4_T5_mT6_P12ihipStream_tbENKUlT_T0_E_clISt17integral_constantIbLb1EESU_EEDaSP_SQ_EUlSP_E0_NS1_11comp_targetILNS1_3genE4ELNS1_11target_archE910ELNS1_3gpuE8ELNS1_3repE0EEENS1_30default_config_static_selectorELNS0_4arch9wavefront6targetE1EEEvT1_: ; @_ZN7rocprim17ROCPRIM_400000_NS6detail17trampoline_kernelINS0_14default_configENS1_20scan_config_selectorIjEEZZNS1_9scan_implILNS1_25lookback_scan_determinismE0ELb0ELb0ES3_N6thrust23THRUST_200600_302600_NS6detail15normal_iteratorINS9_10device_ptrIjEEEESE_j11max_functorIjEjEEDaPvRmT3_T4_T5_mT6_P12ihipStream_tbENKUlT_T0_E_clISt17integral_constantIbLb1EESU_EEDaSP_SQ_EUlSP_E0_NS1_11comp_targetILNS1_3genE4ELNS1_11target_archE910ELNS1_3gpuE8ELNS1_3repE0EEENS1_30default_config_static_selectorELNS0_4arch9wavefront6targetE1EEEvT1_
; %bb.0:
	s_load_dwordx4 s[20:23], s[4:5], 0x0
	v_lshlrev_b32_e32 v22, 2, v0
	s_waitcnt lgkmcnt(0)
	s_load_dword s23, s[20:21], 0x0
	v_cmp_gt_u32_e32 vcc, s22, v0
	s_waitcnt lgkmcnt(0)
	v_mov_b32_e32 v1, s23
	s_and_saveexec_b64 s[0:1], vcc
	s_cbranch_execz .LBB2284_2
; %bb.1:
	global_load_dword v1, v22, s[20:21]
.LBB2284_2:
	s_or_b64 exec, exec, s[0:1]
	v_or_b32_e32 v2, 0x80, v0
	v_cmp_gt_u32_e64 s[0:1], s22, v2
	v_mov_b32_e32 v2, s23
	s_and_saveexec_b64 s[2:3], s[0:1]
	s_cbranch_execz .LBB2284_4
; %bb.3:
	global_load_dword v2, v22, s[20:21] offset:512
.LBB2284_4:
	s_or_b64 exec, exec, s[2:3]
	v_or_b32_e32 v3, 0x100, v0
	v_cmp_gt_u32_e64 s[2:3], s22, v3
	v_mov_b32_e32 v3, s23
	s_and_saveexec_b64 s[6:7], s[2:3]
	s_cbranch_execz .LBB2284_6
; %bb.5:
	global_load_dword v3, v22, s[20:21] offset:1024
.LBB2284_6:
	;; [unrolled: 9-line block ×7, first 2 shown]
	s_or_b64 exec, exec, s[14:15]
	v_or_b32_e32 v10, 0x400, v0
	v_cmp_gt_u32_e64 s[14:15], s22, v10
	v_mov_b32_e32 v9, s23
	s_and_saveexec_b64 s[16:17], s[14:15]
	s_cbranch_execz .LBB2284_18
; %bb.17:
	v_lshlrev_b32_e32 v9, 2, v10
	global_load_dword v9, v9, s[20:21]
.LBB2284_18:
	s_or_b64 exec, exec, s[16:17]
	v_or_b32_e32 v11, 0x480, v0
	v_cmp_gt_u32_e64 s[16:17], s22, v11
	v_mov_b32_e32 v10, s23
	s_and_saveexec_b64 s[22:23], s[16:17]
	s_cbranch_execz .LBB2284_20
; %bb.19:
	v_lshlrev_b32_e32 v10, 2, v11
	global_load_dword v10, v10, s[20:21]
.LBB2284_20:
	s_or_b64 exec, exec, s[22:23]
	s_waitcnt vmcnt(0)
	ds_write2st64_b32 v22, v1, v2 offset1:2
	ds_write2st64_b32 v22, v3, v4 offset0:4 offset1:6
	ds_write2st64_b32 v22, v5, v6 offset0:8 offset1:10
	;; [unrolled: 1-line block ×4, first 2 shown]
	v_mad_u32_u24 v1, v0, 36, v22
	s_waitcnt lgkmcnt(0)
	s_barrier
	ds_read2_b64 v[6:9], v1 offset1:1
	ds_read2_b64 v[2:5], v1 offset0:2 offset1:3
	ds_read_b64 v[20:21], v1 offset:32
	v_lshrrev_b32_e32 v12, 3, v0
	v_and_b32_e32 v12, 12, v12
	s_waitcnt lgkmcnt(2)
	v_max_u32_e32 v13, v6, v7
	v_max_u32_e32 v16, v13, v8
	;; [unrolled: 1-line block ×3, first 2 shown]
	s_waitcnt lgkmcnt(1)
	v_max_u32_e32 v10, v17, v2
	v_max_u32_e32 v11, v10, v3
	;; [unrolled: 1-line block ×4, first 2 shown]
	s_waitcnt lgkmcnt(0)
	v_max_u32_e32 v18, v15, v20
	v_max_u32_e32 v19, v18, v21
	v_add_u32_e32 v12, v22, v12
	v_cmp_gt_u32_e64 s[20:21], 64, v0
	s_barrier
	ds_write_b32 v12, v19
	s_waitcnt lgkmcnt(0)
	s_barrier
	s_and_saveexec_b64 s[22:23], s[20:21]
	s_cbranch_execz .LBB2284_22
; %bb.21:
	v_lshlrev_b32_e32 v12, 1, v0
	v_lshrrev_b32_e32 v23, 4, v0
	v_add_lshl_u32 v12, v23, v12, 2
	ds_read2_b32 v[24:25], v12 offset1:1
	v_mbcnt_lo_u32_b32 v23, -1, 0
	v_mbcnt_hi_u32_b32 v23, -1, v23
	v_and_b32_e32 v26, 15, v23
	v_cmp_eq_u32_e64 s[20:21], 0, v26
	s_waitcnt lgkmcnt(0)
	v_max_u32_e32 v25, v24, v25
	; wave barrier
	s_nop 1
	v_mov_b32_dpp v27, v25 row_shr:1 row_mask:0xf bank_mask:0xf
	v_max_u32_e32 v27, v27, v25
	v_cndmask_b32_e64 v25, v27, v25, s[20:21]
	v_cmp_lt_u32_e64 s[20:21], 1, v26
	s_nop 0
	v_mov_b32_dpp v27, v25 row_shr:2 row_mask:0xf bank_mask:0xf
	v_max_u32_e32 v27, v27, v25
	v_cndmask_b32_e64 v25, v25, v27, s[20:21]
	v_cmp_lt_u32_e64 s[20:21], 3, v26
	;; [unrolled: 5-line block ×3, first 2 shown]
	s_nop 0
	v_mov_b32_dpp v27, v25 row_shr:8 row_mask:0xf bank_mask:0xf
	v_max_u32_e32 v27, v27, v25
	v_cndmask_b32_e64 v25, v25, v27, s[20:21]
	v_and_b32_e32 v27, 16, v23
	v_cmp_eq_u32_e64 s[20:21], 0, v27
	v_mov_b32_dpp v26, v25 row_bcast:15 row_mask:0xf bank_mask:0xf
	v_max_u32_e32 v26, v26, v25
	v_cndmask_b32_e64 v25, v26, v25, s[20:21]
	v_cmp_lt_u32_e64 s[20:21], 31, v23
	v_and_b32_e32 v27, 64, v23
	v_mov_b32_dpp v26, v25 row_bcast:31 row_mask:0xf bank_mask:0xf
	v_max_u32_e32 v26, v26, v25
	v_cndmask_b32_e64 v25, v25, v26, s[20:21]
	v_add_u32_e32 v26, -1, v23
	v_cmp_lt_i32_e64 s[20:21], v26, v27
	v_cndmask_b32_e64 v23, v26, v23, s[20:21]
	v_lshlrev_b32_e32 v23, 2, v23
	ds_bpermute_b32 v23, v23, v25
	v_cmp_eq_u32_e64 s[20:21], 0, v0
	s_waitcnt lgkmcnt(0)
	v_max_u32_e32 v23, v23, v24
	v_cndmask_b32_e64 v23, v23, v19, s[20:21]
	ds_write_b32 v12, v23
	; wave barrier
	ds_read_b32 v24, v12 offset:4
	s_waitcnt lgkmcnt(0)
	v_max_u32_e32 v23, v23, v24
	ds_write_b32 v12, v23 offset:4
.LBB2284_22:
	s_or_b64 exec, exec, s[22:23]
	s_load_dwordx2 s[20:21], s[4:5], 0x18
	v_cmp_ne_u32_e64 s[4:5], 0, v0
	v_mov_b32_e32 v23, v19
	s_waitcnt lgkmcnt(0)
	s_barrier
	s_and_saveexec_b64 s[22:23], s[4:5]
	s_cbranch_execz .LBB2284_24
; %bb.23:
	v_add_u32_e32 v12, -1, v0
	v_lshrrev_b32_e32 v23, 5, v12
	v_add_lshl_u32 v12, v23, v12, 2
	ds_read_b32 v23, v12
.LBB2284_24:
	s_or_b64 exec, exec, s[22:23]
	v_mov_b32_e32 v12, v6
	s_and_saveexec_b64 s[22:23], s[4:5]
	s_cbranch_execz .LBB2284_26
; %bb.25:
	s_waitcnt lgkmcnt(0)
	v_max_u32_e32 v12, v23, v6
	v_max_u32_e32 v13, v12, v7
	;; [unrolled: 1-line block ×10, first 2 shown]
	;;#ASMSTART
	;;#ASMEND
.LBB2284_26:
	s_or_b64 exec, exec, s[22:23]
	s_movk_i32 s4, 0xffdc
	v_mad_i32_i24 v0, v0, s4, v1
	s_waitcnt lgkmcnt(0)
	s_barrier
	ds_write2_b64 v1, v[12:13], v[16:17] offset1:1
	ds_write2_b64 v1, v[10:11], v[14:15] offset0:2 offset1:3
	ds_write_b64 v1, v[18:19] offset:32
	s_waitcnt lgkmcnt(0)
	s_barrier
	ds_read2st64_b32 v[8:9], v0 offset0:2 offset1:4
	ds_read2st64_b32 v[6:7], v0 offset0:6 offset1:8
	;; [unrolled: 1-line block ×4, first 2 shown]
	ds_read_b32 v10, v22 offset:4096
	v_mov_b32_e32 v3, s21
	v_add_co_u32_e64 v2, s[4:5], s20, v22
	v_addc_co_u32_e64 v3, s[4:5], 0, v3, s[4:5]
	s_and_saveexec_b64 s[4:5], vcc
	s_cbranch_execnz .LBB2284_37
; %bb.27:
	s_or_b64 exec, exec, s[4:5]
	s_and_saveexec_b64 s[4:5], s[0:1]
	s_cbranch_execnz .LBB2284_38
.LBB2284_28:
	s_or_b64 exec, exec, s[4:5]
	s_and_saveexec_b64 s[0:1], s[2:3]
	s_cbranch_execnz .LBB2284_39
.LBB2284_29:
	s_or_b64 exec, exec, s[0:1]
	s_and_saveexec_b64 s[0:1], s[18:19]
	s_cbranch_execnz .LBB2284_40
.LBB2284_30:
	s_or_b64 exec, exec, s[0:1]
	s_and_saveexec_b64 s[0:1], s[6:7]
	s_cbranch_execnz .LBB2284_41
.LBB2284_31:
	s_or_b64 exec, exec, s[0:1]
	s_and_saveexec_b64 s[0:1], s[8:9]
	s_cbranch_execnz .LBB2284_42
.LBB2284_32:
	s_or_b64 exec, exec, s[0:1]
	s_and_saveexec_b64 s[0:1], s[10:11]
	s_cbranch_execnz .LBB2284_43
.LBB2284_33:
	s_or_b64 exec, exec, s[0:1]
	s_and_saveexec_b64 s[0:1], s[12:13]
	s_cbranch_execnz .LBB2284_44
.LBB2284_34:
	s_or_b64 exec, exec, s[0:1]
	s_and_saveexec_b64 s[0:1], s[14:15]
	s_cbranch_execnz .LBB2284_45
.LBB2284_35:
	s_or_b64 exec, exec, s[0:1]
	s_and_saveexec_b64 s[0:1], s[16:17]
	s_cbranch_execnz .LBB2284_46
.LBB2284_36:
	s_endpgm
.LBB2284_37:
	ds_read_b32 v11, v22
	s_waitcnt lgkmcnt(0)
	global_store_dword v[2:3], v11, off
	s_or_b64 exec, exec, s[4:5]
	s_and_saveexec_b64 s[4:5], s[0:1]
	s_cbranch_execz .LBB2284_28
.LBB2284_38:
	s_waitcnt lgkmcnt(4)
	global_store_dword v[2:3], v8, off offset:512
	s_or_b64 exec, exec, s[4:5]
	s_and_saveexec_b64 s[0:1], s[2:3]
	s_cbranch_execz .LBB2284_29
.LBB2284_39:
	s_waitcnt lgkmcnt(4)
	global_store_dword v[2:3], v9, off offset:1024
	s_or_b64 exec, exec, s[0:1]
	s_and_saveexec_b64 s[0:1], s[18:19]
	s_cbranch_execz .LBB2284_30
.LBB2284_40:
	s_waitcnt lgkmcnt(3)
	global_store_dword v[2:3], v6, off offset:1536
	s_or_b64 exec, exec, s[0:1]
	s_and_saveexec_b64 s[0:1], s[6:7]
	s_cbranch_execz .LBB2284_31
.LBB2284_41:
	s_waitcnt lgkmcnt(3)
	global_store_dword v[2:3], v7, off offset:2048
	s_or_b64 exec, exec, s[0:1]
	s_and_saveexec_b64 s[0:1], s[8:9]
	s_cbranch_execz .LBB2284_32
.LBB2284_42:
	s_waitcnt lgkmcnt(2)
	global_store_dword v[2:3], v4, off offset:2560
	s_or_b64 exec, exec, s[0:1]
	s_and_saveexec_b64 s[0:1], s[10:11]
	s_cbranch_execz .LBB2284_33
.LBB2284_43:
	s_waitcnt lgkmcnt(2)
	global_store_dword v[2:3], v5, off offset:3072
	s_or_b64 exec, exec, s[0:1]
	s_and_saveexec_b64 s[0:1], s[12:13]
	s_cbranch_execz .LBB2284_34
.LBB2284_44:
	s_waitcnt lgkmcnt(1)
	global_store_dword v[2:3], v0, off offset:3584
	s_or_b64 exec, exec, s[0:1]
	s_and_saveexec_b64 s[0:1], s[14:15]
	s_cbranch_execz .LBB2284_35
.LBB2284_45:
	s_waitcnt lgkmcnt(2)
	v_add_co_u32_e32 v4, vcc, 0x1000, v2
	v_addc_co_u32_e32 v5, vcc, 0, v3, vcc
	s_waitcnt lgkmcnt(0)
	global_store_dword v[4:5], v10, off
	s_or_b64 exec, exec, s[0:1]
	s_and_saveexec_b64 s[0:1], s[16:17]
	s_cbranch_execz .LBB2284_36
.LBB2284_46:
	v_add_co_u32_e32 v2, vcc, 0x1000, v2
	v_addc_co_u32_e32 v3, vcc, 0, v3, vcc
	s_waitcnt lgkmcnt(1)
	global_store_dword v[2:3], v1, off offset:512
	s_endpgm
	.section	.rodata,"a",@progbits
	.p2align	6, 0x0
	.amdhsa_kernel _ZN7rocprim17ROCPRIM_400000_NS6detail17trampoline_kernelINS0_14default_configENS1_20scan_config_selectorIjEEZZNS1_9scan_implILNS1_25lookback_scan_determinismE0ELb0ELb0ES3_N6thrust23THRUST_200600_302600_NS6detail15normal_iteratorINS9_10device_ptrIjEEEESE_j11max_functorIjEjEEDaPvRmT3_T4_T5_mT6_P12ihipStream_tbENKUlT_T0_E_clISt17integral_constantIbLb1EESU_EEDaSP_SQ_EUlSP_E0_NS1_11comp_targetILNS1_3genE4ELNS1_11target_archE910ELNS1_3gpuE8ELNS1_3repE0EEENS1_30default_config_static_selectorELNS0_4arch9wavefront6targetE1EEEvT1_
		.amdhsa_group_segment_fixed_size 5120
		.amdhsa_private_segment_fixed_size 0
		.amdhsa_kernarg_size 32
		.amdhsa_user_sgpr_count 6
		.amdhsa_user_sgpr_private_segment_buffer 1
		.amdhsa_user_sgpr_dispatch_ptr 0
		.amdhsa_user_sgpr_queue_ptr 0
		.amdhsa_user_sgpr_kernarg_segment_ptr 1
		.amdhsa_user_sgpr_dispatch_id 0
		.amdhsa_user_sgpr_flat_scratch_init 0
		.amdhsa_user_sgpr_kernarg_preload_length 0
		.amdhsa_user_sgpr_kernarg_preload_offset 0
		.amdhsa_user_sgpr_private_segment_size 0
		.amdhsa_uses_dynamic_stack 0
		.amdhsa_system_sgpr_private_segment_wavefront_offset 0
		.amdhsa_system_sgpr_workgroup_id_x 1
		.amdhsa_system_sgpr_workgroup_id_y 0
		.amdhsa_system_sgpr_workgroup_id_z 0
		.amdhsa_system_sgpr_workgroup_info 0
		.amdhsa_system_vgpr_workitem_id 0
		.amdhsa_next_free_vgpr 28
		.amdhsa_next_free_sgpr 24
		.amdhsa_accum_offset 28
		.amdhsa_reserve_vcc 1
		.amdhsa_reserve_flat_scratch 0
		.amdhsa_float_round_mode_32 0
		.amdhsa_float_round_mode_16_64 0
		.amdhsa_float_denorm_mode_32 3
		.amdhsa_float_denorm_mode_16_64 3
		.amdhsa_dx10_clamp 1
		.amdhsa_ieee_mode 1
		.amdhsa_fp16_overflow 0
		.amdhsa_tg_split 0
		.amdhsa_exception_fp_ieee_invalid_op 0
		.amdhsa_exception_fp_denorm_src 0
		.amdhsa_exception_fp_ieee_div_zero 0
		.amdhsa_exception_fp_ieee_overflow 0
		.amdhsa_exception_fp_ieee_underflow 0
		.amdhsa_exception_fp_ieee_inexact 0
		.amdhsa_exception_int_div_zero 0
	.end_amdhsa_kernel
	.section	.text._ZN7rocprim17ROCPRIM_400000_NS6detail17trampoline_kernelINS0_14default_configENS1_20scan_config_selectorIjEEZZNS1_9scan_implILNS1_25lookback_scan_determinismE0ELb0ELb0ES3_N6thrust23THRUST_200600_302600_NS6detail15normal_iteratorINS9_10device_ptrIjEEEESE_j11max_functorIjEjEEDaPvRmT3_T4_T5_mT6_P12ihipStream_tbENKUlT_T0_E_clISt17integral_constantIbLb1EESU_EEDaSP_SQ_EUlSP_E0_NS1_11comp_targetILNS1_3genE4ELNS1_11target_archE910ELNS1_3gpuE8ELNS1_3repE0EEENS1_30default_config_static_selectorELNS0_4arch9wavefront6targetE1EEEvT1_,"axG",@progbits,_ZN7rocprim17ROCPRIM_400000_NS6detail17trampoline_kernelINS0_14default_configENS1_20scan_config_selectorIjEEZZNS1_9scan_implILNS1_25lookback_scan_determinismE0ELb0ELb0ES3_N6thrust23THRUST_200600_302600_NS6detail15normal_iteratorINS9_10device_ptrIjEEEESE_j11max_functorIjEjEEDaPvRmT3_T4_T5_mT6_P12ihipStream_tbENKUlT_T0_E_clISt17integral_constantIbLb1EESU_EEDaSP_SQ_EUlSP_E0_NS1_11comp_targetILNS1_3genE4ELNS1_11target_archE910ELNS1_3gpuE8ELNS1_3repE0EEENS1_30default_config_static_selectorELNS0_4arch9wavefront6targetE1EEEvT1_,comdat
.Lfunc_end2284:
	.size	_ZN7rocprim17ROCPRIM_400000_NS6detail17trampoline_kernelINS0_14default_configENS1_20scan_config_selectorIjEEZZNS1_9scan_implILNS1_25lookback_scan_determinismE0ELb0ELb0ES3_N6thrust23THRUST_200600_302600_NS6detail15normal_iteratorINS9_10device_ptrIjEEEESE_j11max_functorIjEjEEDaPvRmT3_T4_T5_mT6_P12ihipStream_tbENKUlT_T0_E_clISt17integral_constantIbLb1EESU_EEDaSP_SQ_EUlSP_E0_NS1_11comp_targetILNS1_3genE4ELNS1_11target_archE910ELNS1_3gpuE8ELNS1_3repE0EEENS1_30default_config_static_selectorELNS0_4arch9wavefront6targetE1EEEvT1_, .Lfunc_end2284-_ZN7rocprim17ROCPRIM_400000_NS6detail17trampoline_kernelINS0_14default_configENS1_20scan_config_selectorIjEEZZNS1_9scan_implILNS1_25lookback_scan_determinismE0ELb0ELb0ES3_N6thrust23THRUST_200600_302600_NS6detail15normal_iteratorINS9_10device_ptrIjEEEESE_j11max_functorIjEjEEDaPvRmT3_T4_T5_mT6_P12ihipStream_tbENKUlT_T0_E_clISt17integral_constantIbLb1EESU_EEDaSP_SQ_EUlSP_E0_NS1_11comp_targetILNS1_3genE4ELNS1_11target_archE910ELNS1_3gpuE8ELNS1_3repE0EEENS1_30default_config_static_selectorELNS0_4arch9wavefront6targetE1EEEvT1_
                                        ; -- End function
	.section	.AMDGPU.csdata,"",@progbits
; Kernel info:
; codeLenInByte = 1564
; NumSgprs: 28
; NumVgprs: 28
; NumAgprs: 0
; TotalNumVgprs: 28
; ScratchSize: 0
; MemoryBound: 0
; FloatMode: 240
; IeeeMode: 1
; LDSByteSize: 5120 bytes/workgroup (compile time only)
; SGPRBlocks: 3
; VGPRBlocks: 3
; NumSGPRsForWavesPerEU: 28
; NumVGPRsForWavesPerEU: 28
; AccumOffset: 28
; Occupancy: 6
; WaveLimiterHint : 0
; COMPUTE_PGM_RSRC2:SCRATCH_EN: 0
; COMPUTE_PGM_RSRC2:USER_SGPR: 6
; COMPUTE_PGM_RSRC2:TRAP_HANDLER: 0
; COMPUTE_PGM_RSRC2:TGID_X_EN: 1
; COMPUTE_PGM_RSRC2:TGID_Y_EN: 0
; COMPUTE_PGM_RSRC2:TGID_Z_EN: 0
; COMPUTE_PGM_RSRC2:TIDIG_COMP_CNT: 0
; COMPUTE_PGM_RSRC3_GFX90A:ACCUM_OFFSET: 6
; COMPUTE_PGM_RSRC3_GFX90A:TG_SPLIT: 0
	.section	.text._ZN7rocprim17ROCPRIM_400000_NS6detail17trampoline_kernelINS0_14default_configENS1_20scan_config_selectorIjEEZZNS1_9scan_implILNS1_25lookback_scan_determinismE0ELb0ELb0ES3_N6thrust23THRUST_200600_302600_NS6detail15normal_iteratorINS9_10device_ptrIjEEEESE_j11max_functorIjEjEEDaPvRmT3_T4_T5_mT6_P12ihipStream_tbENKUlT_T0_E_clISt17integral_constantIbLb1EESU_EEDaSP_SQ_EUlSP_E0_NS1_11comp_targetILNS1_3genE3ELNS1_11target_archE908ELNS1_3gpuE7ELNS1_3repE0EEENS1_30default_config_static_selectorELNS0_4arch9wavefront6targetE1EEEvT1_,"axG",@progbits,_ZN7rocprim17ROCPRIM_400000_NS6detail17trampoline_kernelINS0_14default_configENS1_20scan_config_selectorIjEEZZNS1_9scan_implILNS1_25lookback_scan_determinismE0ELb0ELb0ES3_N6thrust23THRUST_200600_302600_NS6detail15normal_iteratorINS9_10device_ptrIjEEEESE_j11max_functorIjEjEEDaPvRmT3_T4_T5_mT6_P12ihipStream_tbENKUlT_T0_E_clISt17integral_constantIbLb1EESU_EEDaSP_SQ_EUlSP_E0_NS1_11comp_targetILNS1_3genE3ELNS1_11target_archE908ELNS1_3gpuE7ELNS1_3repE0EEENS1_30default_config_static_selectorELNS0_4arch9wavefront6targetE1EEEvT1_,comdat
	.protected	_ZN7rocprim17ROCPRIM_400000_NS6detail17trampoline_kernelINS0_14default_configENS1_20scan_config_selectorIjEEZZNS1_9scan_implILNS1_25lookback_scan_determinismE0ELb0ELb0ES3_N6thrust23THRUST_200600_302600_NS6detail15normal_iteratorINS9_10device_ptrIjEEEESE_j11max_functorIjEjEEDaPvRmT3_T4_T5_mT6_P12ihipStream_tbENKUlT_T0_E_clISt17integral_constantIbLb1EESU_EEDaSP_SQ_EUlSP_E0_NS1_11comp_targetILNS1_3genE3ELNS1_11target_archE908ELNS1_3gpuE7ELNS1_3repE0EEENS1_30default_config_static_selectorELNS0_4arch9wavefront6targetE1EEEvT1_ ; -- Begin function _ZN7rocprim17ROCPRIM_400000_NS6detail17trampoline_kernelINS0_14default_configENS1_20scan_config_selectorIjEEZZNS1_9scan_implILNS1_25lookback_scan_determinismE0ELb0ELb0ES3_N6thrust23THRUST_200600_302600_NS6detail15normal_iteratorINS9_10device_ptrIjEEEESE_j11max_functorIjEjEEDaPvRmT3_T4_T5_mT6_P12ihipStream_tbENKUlT_T0_E_clISt17integral_constantIbLb1EESU_EEDaSP_SQ_EUlSP_E0_NS1_11comp_targetILNS1_3genE3ELNS1_11target_archE908ELNS1_3gpuE7ELNS1_3repE0EEENS1_30default_config_static_selectorELNS0_4arch9wavefront6targetE1EEEvT1_
	.globl	_ZN7rocprim17ROCPRIM_400000_NS6detail17trampoline_kernelINS0_14default_configENS1_20scan_config_selectorIjEEZZNS1_9scan_implILNS1_25lookback_scan_determinismE0ELb0ELb0ES3_N6thrust23THRUST_200600_302600_NS6detail15normal_iteratorINS9_10device_ptrIjEEEESE_j11max_functorIjEjEEDaPvRmT3_T4_T5_mT6_P12ihipStream_tbENKUlT_T0_E_clISt17integral_constantIbLb1EESU_EEDaSP_SQ_EUlSP_E0_NS1_11comp_targetILNS1_3genE3ELNS1_11target_archE908ELNS1_3gpuE7ELNS1_3repE0EEENS1_30default_config_static_selectorELNS0_4arch9wavefront6targetE1EEEvT1_
	.p2align	8
	.type	_ZN7rocprim17ROCPRIM_400000_NS6detail17trampoline_kernelINS0_14default_configENS1_20scan_config_selectorIjEEZZNS1_9scan_implILNS1_25lookback_scan_determinismE0ELb0ELb0ES3_N6thrust23THRUST_200600_302600_NS6detail15normal_iteratorINS9_10device_ptrIjEEEESE_j11max_functorIjEjEEDaPvRmT3_T4_T5_mT6_P12ihipStream_tbENKUlT_T0_E_clISt17integral_constantIbLb1EESU_EEDaSP_SQ_EUlSP_E0_NS1_11comp_targetILNS1_3genE3ELNS1_11target_archE908ELNS1_3gpuE7ELNS1_3repE0EEENS1_30default_config_static_selectorELNS0_4arch9wavefront6targetE1EEEvT1_,@function
_ZN7rocprim17ROCPRIM_400000_NS6detail17trampoline_kernelINS0_14default_configENS1_20scan_config_selectorIjEEZZNS1_9scan_implILNS1_25lookback_scan_determinismE0ELb0ELb0ES3_N6thrust23THRUST_200600_302600_NS6detail15normal_iteratorINS9_10device_ptrIjEEEESE_j11max_functorIjEjEEDaPvRmT3_T4_T5_mT6_P12ihipStream_tbENKUlT_T0_E_clISt17integral_constantIbLb1EESU_EEDaSP_SQ_EUlSP_E0_NS1_11comp_targetILNS1_3genE3ELNS1_11target_archE908ELNS1_3gpuE7ELNS1_3repE0EEENS1_30default_config_static_selectorELNS0_4arch9wavefront6targetE1EEEvT1_: ; @_ZN7rocprim17ROCPRIM_400000_NS6detail17trampoline_kernelINS0_14default_configENS1_20scan_config_selectorIjEEZZNS1_9scan_implILNS1_25lookback_scan_determinismE0ELb0ELb0ES3_N6thrust23THRUST_200600_302600_NS6detail15normal_iteratorINS9_10device_ptrIjEEEESE_j11max_functorIjEjEEDaPvRmT3_T4_T5_mT6_P12ihipStream_tbENKUlT_T0_E_clISt17integral_constantIbLb1EESU_EEDaSP_SQ_EUlSP_E0_NS1_11comp_targetILNS1_3genE3ELNS1_11target_archE908ELNS1_3gpuE7ELNS1_3repE0EEENS1_30default_config_static_selectorELNS0_4arch9wavefront6targetE1EEEvT1_
; %bb.0:
	.section	.rodata,"a",@progbits
	.p2align	6, 0x0
	.amdhsa_kernel _ZN7rocprim17ROCPRIM_400000_NS6detail17trampoline_kernelINS0_14default_configENS1_20scan_config_selectorIjEEZZNS1_9scan_implILNS1_25lookback_scan_determinismE0ELb0ELb0ES3_N6thrust23THRUST_200600_302600_NS6detail15normal_iteratorINS9_10device_ptrIjEEEESE_j11max_functorIjEjEEDaPvRmT3_T4_T5_mT6_P12ihipStream_tbENKUlT_T0_E_clISt17integral_constantIbLb1EESU_EEDaSP_SQ_EUlSP_E0_NS1_11comp_targetILNS1_3genE3ELNS1_11target_archE908ELNS1_3gpuE7ELNS1_3repE0EEENS1_30default_config_static_selectorELNS0_4arch9wavefront6targetE1EEEvT1_
		.amdhsa_group_segment_fixed_size 0
		.amdhsa_private_segment_fixed_size 0
		.amdhsa_kernarg_size 32
		.amdhsa_user_sgpr_count 6
		.amdhsa_user_sgpr_private_segment_buffer 1
		.amdhsa_user_sgpr_dispatch_ptr 0
		.amdhsa_user_sgpr_queue_ptr 0
		.amdhsa_user_sgpr_kernarg_segment_ptr 1
		.amdhsa_user_sgpr_dispatch_id 0
		.amdhsa_user_sgpr_flat_scratch_init 0
		.amdhsa_user_sgpr_kernarg_preload_length 0
		.amdhsa_user_sgpr_kernarg_preload_offset 0
		.amdhsa_user_sgpr_private_segment_size 0
		.amdhsa_uses_dynamic_stack 0
		.amdhsa_system_sgpr_private_segment_wavefront_offset 0
		.amdhsa_system_sgpr_workgroup_id_x 1
		.amdhsa_system_sgpr_workgroup_id_y 0
		.amdhsa_system_sgpr_workgroup_id_z 0
		.amdhsa_system_sgpr_workgroup_info 0
		.amdhsa_system_vgpr_workitem_id 0
		.amdhsa_next_free_vgpr 1
		.amdhsa_next_free_sgpr 0
		.amdhsa_accum_offset 4
		.amdhsa_reserve_vcc 0
		.amdhsa_reserve_flat_scratch 0
		.amdhsa_float_round_mode_32 0
		.amdhsa_float_round_mode_16_64 0
		.amdhsa_float_denorm_mode_32 3
		.amdhsa_float_denorm_mode_16_64 3
		.amdhsa_dx10_clamp 1
		.amdhsa_ieee_mode 1
		.amdhsa_fp16_overflow 0
		.amdhsa_tg_split 0
		.amdhsa_exception_fp_ieee_invalid_op 0
		.amdhsa_exception_fp_denorm_src 0
		.amdhsa_exception_fp_ieee_div_zero 0
		.amdhsa_exception_fp_ieee_overflow 0
		.amdhsa_exception_fp_ieee_underflow 0
		.amdhsa_exception_fp_ieee_inexact 0
		.amdhsa_exception_int_div_zero 0
	.end_amdhsa_kernel
	.section	.text._ZN7rocprim17ROCPRIM_400000_NS6detail17trampoline_kernelINS0_14default_configENS1_20scan_config_selectorIjEEZZNS1_9scan_implILNS1_25lookback_scan_determinismE0ELb0ELb0ES3_N6thrust23THRUST_200600_302600_NS6detail15normal_iteratorINS9_10device_ptrIjEEEESE_j11max_functorIjEjEEDaPvRmT3_T4_T5_mT6_P12ihipStream_tbENKUlT_T0_E_clISt17integral_constantIbLb1EESU_EEDaSP_SQ_EUlSP_E0_NS1_11comp_targetILNS1_3genE3ELNS1_11target_archE908ELNS1_3gpuE7ELNS1_3repE0EEENS1_30default_config_static_selectorELNS0_4arch9wavefront6targetE1EEEvT1_,"axG",@progbits,_ZN7rocprim17ROCPRIM_400000_NS6detail17trampoline_kernelINS0_14default_configENS1_20scan_config_selectorIjEEZZNS1_9scan_implILNS1_25lookback_scan_determinismE0ELb0ELb0ES3_N6thrust23THRUST_200600_302600_NS6detail15normal_iteratorINS9_10device_ptrIjEEEESE_j11max_functorIjEjEEDaPvRmT3_T4_T5_mT6_P12ihipStream_tbENKUlT_T0_E_clISt17integral_constantIbLb1EESU_EEDaSP_SQ_EUlSP_E0_NS1_11comp_targetILNS1_3genE3ELNS1_11target_archE908ELNS1_3gpuE7ELNS1_3repE0EEENS1_30default_config_static_selectorELNS0_4arch9wavefront6targetE1EEEvT1_,comdat
.Lfunc_end2285:
	.size	_ZN7rocprim17ROCPRIM_400000_NS6detail17trampoline_kernelINS0_14default_configENS1_20scan_config_selectorIjEEZZNS1_9scan_implILNS1_25lookback_scan_determinismE0ELb0ELb0ES3_N6thrust23THRUST_200600_302600_NS6detail15normal_iteratorINS9_10device_ptrIjEEEESE_j11max_functorIjEjEEDaPvRmT3_T4_T5_mT6_P12ihipStream_tbENKUlT_T0_E_clISt17integral_constantIbLb1EESU_EEDaSP_SQ_EUlSP_E0_NS1_11comp_targetILNS1_3genE3ELNS1_11target_archE908ELNS1_3gpuE7ELNS1_3repE0EEENS1_30default_config_static_selectorELNS0_4arch9wavefront6targetE1EEEvT1_, .Lfunc_end2285-_ZN7rocprim17ROCPRIM_400000_NS6detail17trampoline_kernelINS0_14default_configENS1_20scan_config_selectorIjEEZZNS1_9scan_implILNS1_25lookback_scan_determinismE0ELb0ELb0ES3_N6thrust23THRUST_200600_302600_NS6detail15normal_iteratorINS9_10device_ptrIjEEEESE_j11max_functorIjEjEEDaPvRmT3_T4_T5_mT6_P12ihipStream_tbENKUlT_T0_E_clISt17integral_constantIbLb1EESU_EEDaSP_SQ_EUlSP_E0_NS1_11comp_targetILNS1_3genE3ELNS1_11target_archE908ELNS1_3gpuE7ELNS1_3repE0EEENS1_30default_config_static_selectorELNS0_4arch9wavefront6targetE1EEEvT1_
                                        ; -- End function
	.section	.AMDGPU.csdata,"",@progbits
; Kernel info:
; codeLenInByte = 0
; NumSgprs: 4
; NumVgprs: 0
; NumAgprs: 0
; TotalNumVgprs: 0
; ScratchSize: 0
; MemoryBound: 0
; FloatMode: 240
; IeeeMode: 1
; LDSByteSize: 0 bytes/workgroup (compile time only)
; SGPRBlocks: 0
; VGPRBlocks: 0
; NumSGPRsForWavesPerEU: 4
; NumVGPRsForWavesPerEU: 1
; AccumOffset: 4
; Occupancy: 8
; WaveLimiterHint : 0
; COMPUTE_PGM_RSRC2:SCRATCH_EN: 0
; COMPUTE_PGM_RSRC2:USER_SGPR: 6
; COMPUTE_PGM_RSRC2:TRAP_HANDLER: 0
; COMPUTE_PGM_RSRC2:TGID_X_EN: 1
; COMPUTE_PGM_RSRC2:TGID_Y_EN: 0
; COMPUTE_PGM_RSRC2:TGID_Z_EN: 0
; COMPUTE_PGM_RSRC2:TIDIG_COMP_CNT: 0
; COMPUTE_PGM_RSRC3_GFX90A:ACCUM_OFFSET: 0
; COMPUTE_PGM_RSRC3_GFX90A:TG_SPLIT: 0
	.section	.text._ZN7rocprim17ROCPRIM_400000_NS6detail17trampoline_kernelINS0_14default_configENS1_20scan_config_selectorIjEEZZNS1_9scan_implILNS1_25lookback_scan_determinismE0ELb0ELb0ES3_N6thrust23THRUST_200600_302600_NS6detail15normal_iteratorINS9_10device_ptrIjEEEESE_j11max_functorIjEjEEDaPvRmT3_T4_T5_mT6_P12ihipStream_tbENKUlT_T0_E_clISt17integral_constantIbLb1EESU_EEDaSP_SQ_EUlSP_E0_NS1_11comp_targetILNS1_3genE2ELNS1_11target_archE906ELNS1_3gpuE6ELNS1_3repE0EEENS1_30default_config_static_selectorELNS0_4arch9wavefront6targetE1EEEvT1_,"axG",@progbits,_ZN7rocprim17ROCPRIM_400000_NS6detail17trampoline_kernelINS0_14default_configENS1_20scan_config_selectorIjEEZZNS1_9scan_implILNS1_25lookback_scan_determinismE0ELb0ELb0ES3_N6thrust23THRUST_200600_302600_NS6detail15normal_iteratorINS9_10device_ptrIjEEEESE_j11max_functorIjEjEEDaPvRmT3_T4_T5_mT6_P12ihipStream_tbENKUlT_T0_E_clISt17integral_constantIbLb1EESU_EEDaSP_SQ_EUlSP_E0_NS1_11comp_targetILNS1_3genE2ELNS1_11target_archE906ELNS1_3gpuE6ELNS1_3repE0EEENS1_30default_config_static_selectorELNS0_4arch9wavefront6targetE1EEEvT1_,comdat
	.protected	_ZN7rocprim17ROCPRIM_400000_NS6detail17trampoline_kernelINS0_14default_configENS1_20scan_config_selectorIjEEZZNS1_9scan_implILNS1_25lookback_scan_determinismE0ELb0ELb0ES3_N6thrust23THRUST_200600_302600_NS6detail15normal_iteratorINS9_10device_ptrIjEEEESE_j11max_functorIjEjEEDaPvRmT3_T4_T5_mT6_P12ihipStream_tbENKUlT_T0_E_clISt17integral_constantIbLb1EESU_EEDaSP_SQ_EUlSP_E0_NS1_11comp_targetILNS1_3genE2ELNS1_11target_archE906ELNS1_3gpuE6ELNS1_3repE0EEENS1_30default_config_static_selectorELNS0_4arch9wavefront6targetE1EEEvT1_ ; -- Begin function _ZN7rocprim17ROCPRIM_400000_NS6detail17trampoline_kernelINS0_14default_configENS1_20scan_config_selectorIjEEZZNS1_9scan_implILNS1_25lookback_scan_determinismE0ELb0ELb0ES3_N6thrust23THRUST_200600_302600_NS6detail15normal_iteratorINS9_10device_ptrIjEEEESE_j11max_functorIjEjEEDaPvRmT3_T4_T5_mT6_P12ihipStream_tbENKUlT_T0_E_clISt17integral_constantIbLb1EESU_EEDaSP_SQ_EUlSP_E0_NS1_11comp_targetILNS1_3genE2ELNS1_11target_archE906ELNS1_3gpuE6ELNS1_3repE0EEENS1_30default_config_static_selectorELNS0_4arch9wavefront6targetE1EEEvT1_
	.globl	_ZN7rocprim17ROCPRIM_400000_NS6detail17trampoline_kernelINS0_14default_configENS1_20scan_config_selectorIjEEZZNS1_9scan_implILNS1_25lookback_scan_determinismE0ELb0ELb0ES3_N6thrust23THRUST_200600_302600_NS6detail15normal_iteratorINS9_10device_ptrIjEEEESE_j11max_functorIjEjEEDaPvRmT3_T4_T5_mT6_P12ihipStream_tbENKUlT_T0_E_clISt17integral_constantIbLb1EESU_EEDaSP_SQ_EUlSP_E0_NS1_11comp_targetILNS1_3genE2ELNS1_11target_archE906ELNS1_3gpuE6ELNS1_3repE0EEENS1_30default_config_static_selectorELNS0_4arch9wavefront6targetE1EEEvT1_
	.p2align	8
	.type	_ZN7rocprim17ROCPRIM_400000_NS6detail17trampoline_kernelINS0_14default_configENS1_20scan_config_selectorIjEEZZNS1_9scan_implILNS1_25lookback_scan_determinismE0ELb0ELb0ES3_N6thrust23THRUST_200600_302600_NS6detail15normal_iteratorINS9_10device_ptrIjEEEESE_j11max_functorIjEjEEDaPvRmT3_T4_T5_mT6_P12ihipStream_tbENKUlT_T0_E_clISt17integral_constantIbLb1EESU_EEDaSP_SQ_EUlSP_E0_NS1_11comp_targetILNS1_3genE2ELNS1_11target_archE906ELNS1_3gpuE6ELNS1_3repE0EEENS1_30default_config_static_selectorELNS0_4arch9wavefront6targetE1EEEvT1_,@function
_ZN7rocprim17ROCPRIM_400000_NS6detail17trampoline_kernelINS0_14default_configENS1_20scan_config_selectorIjEEZZNS1_9scan_implILNS1_25lookback_scan_determinismE0ELb0ELb0ES3_N6thrust23THRUST_200600_302600_NS6detail15normal_iteratorINS9_10device_ptrIjEEEESE_j11max_functorIjEjEEDaPvRmT3_T4_T5_mT6_P12ihipStream_tbENKUlT_T0_E_clISt17integral_constantIbLb1EESU_EEDaSP_SQ_EUlSP_E0_NS1_11comp_targetILNS1_3genE2ELNS1_11target_archE906ELNS1_3gpuE6ELNS1_3repE0EEENS1_30default_config_static_selectorELNS0_4arch9wavefront6targetE1EEEvT1_: ; @_ZN7rocprim17ROCPRIM_400000_NS6detail17trampoline_kernelINS0_14default_configENS1_20scan_config_selectorIjEEZZNS1_9scan_implILNS1_25lookback_scan_determinismE0ELb0ELb0ES3_N6thrust23THRUST_200600_302600_NS6detail15normal_iteratorINS9_10device_ptrIjEEEESE_j11max_functorIjEjEEDaPvRmT3_T4_T5_mT6_P12ihipStream_tbENKUlT_T0_E_clISt17integral_constantIbLb1EESU_EEDaSP_SQ_EUlSP_E0_NS1_11comp_targetILNS1_3genE2ELNS1_11target_archE906ELNS1_3gpuE6ELNS1_3repE0EEENS1_30default_config_static_selectorELNS0_4arch9wavefront6targetE1EEEvT1_
; %bb.0:
	.section	.rodata,"a",@progbits
	.p2align	6, 0x0
	.amdhsa_kernel _ZN7rocprim17ROCPRIM_400000_NS6detail17trampoline_kernelINS0_14default_configENS1_20scan_config_selectorIjEEZZNS1_9scan_implILNS1_25lookback_scan_determinismE0ELb0ELb0ES3_N6thrust23THRUST_200600_302600_NS6detail15normal_iteratorINS9_10device_ptrIjEEEESE_j11max_functorIjEjEEDaPvRmT3_T4_T5_mT6_P12ihipStream_tbENKUlT_T0_E_clISt17integral_constantIbLb1EESU_EEDaSP_SQ_EUlSP_E0_NS1_11comp_targetILNS1_3genE2ELNS1_11target_archE906ELNS1_3gpuE6ELNS1_3repE0EEENS1_30default_config_static_selectorELNS0_4arch9wavefront6targetE1EEEvT1_
		.amdhsa_group_segment_fixed_size 0
		.amdhsa_private_segment_fixed_size 0
		.amdhsa_kernarg_size 32
		.amdhsa_user_sgpr_count 6
		.amdhsa_user_sgpr_private_segment_buffer 1
		.amdhsa_user_sgpr_dispatch_ptr 0
		.amdhsa_user_sgpr_queue_ptr 0
		.amdhsa_user_sgpr_kernarg_segment_ptr 1
		.amdhsa_user_sgpr_dispatch_id 0
		.amdhsa_user_sgpr_flat_scratch_init 0
		.amdhsa_user_sgpr_kernarg_preload_length 0
		.amdhsa_user_sgpr_kernarg_preload_offset 0
		.amdhsa_user_sgpr_private_segment_size 0
		.amdhsa_uses_dynamic_stack 0
		.amdhsa_system_sgpr_private_segment_wavefront_offset 0
		.amdhsa_system_sgpr_workgroup_id_x 1
		.amdhsa_system_sgpr_workgroup_id_y 0
		.amdhsa_system_sgpr_workgroup_id_z 0
		.amdhsa_system_sgpr_workgroup_info 0
		.amdhsa_system_vgpr_workitem_id 0
		.amdhsa_next_free_vgpr 1
		.amdhsa_next_free_sgpr 0
		.amdhsa_accum_offset 4
		.amdhsa_reserve_vcc 0
		.amdhsa_reserve_flat_scratch 0
		.amdhsa_float_round_mode_32 0
		.amdhsa_float_round_mode_16_64 0
		.amdhsa_float_denorm_mode_32 3
		.amdhsa_float_denorm_mode_16_64 3
		.amdhsa_dx10_clamp 1
		.amdhsa_ieee_mode 1
		.amdhsa_fp16_overflow 0
		.amdhsa_tg_split 0
		.amdhsa_exception_fp_ieee_invalid_op 0
		.amdhsa_exception_fp_denorm_src 0
		.amdhsa_exception_fp_ieee_div_zero 0
		.amdhsa_exception_fp_ieee_overflow 0
		.amdhsa_exception_fp_ieee_underflow 0
		.amdhsa_exception_fp_ieee_inexact 0
		.amdhsa_exception_int_div_zero 0
	.end_amdhsa_kernel
	.section	.text._ZN7rocprim17ROCPRIM_400000_NS6detail17trampoline_kernelINS0_14default_configENS1_20scan_config_selectorIjEEZZNS1_9scan_implILNS1_25lookback_scan_determinismE0ELb0ELb0ES3_N6thrust23THRUST_200600_302600_NS6detail15normal_iteratorINS9_10device_ptrIjEEEESE_j11max_functorIjEjEEDaPvRmT3_T4_T5_mT6_P12ihipStream_tbENKUlT_T0_E_clISt17integral_constantIbLb1EESU_EEDaSP_SQ_EUlSP_E0_NS1_11comp_targetILNS1_3genE2ELNS1_11target_archE906ELNS1_3gpuE6ELNS1_3repE0EEENS1_30default_config_static_selectorELNS0_4arch9wavefront6targetE1EEEvT1_,"axG",@progbits,_ZN7rocprim17ROCPRIM_400000_NS6detail17trampoline_kernelINS0_14default_configENS1_20scan_config_selectorIjEEZZNS1_9scan_implILNS1_25lookback_scan_determinismE0ELb0ELb0ES3_N6thrust23THRUST_200600_302600_NS6detail15normal_iteratorINS9_10device_ptrIjEEEESE_j11max_functorIjEjEEDaPvRmT3_T4_T5_mT6_P12ihipStream_tbENKUlT_T0_E_clISt17integral_constantIbLb1EESU_EEDaSP_SQ_EUlSP_E0_NS1_11comp_targetILNS1_3genE2ELNS1_11target_archE906ELNS1_3gpuE6ELNS1_3repE0EEENS1_30default_config_static_selectorELNS0_4arch9wavefront6targetE1EEEvT1_,comdat
.Lfunc_end2286:
	.size	_ZN7rocprim17ROCPRIM_400000_NS6detail17trampoline_kernelINS0_14default_configENS1_20scan_config_selectorIjEEZZNS1_9scan_implILNS1_25lookback_scan_determinismE0ELb0ELb0ES3_N6thrust23THRUST_200600_302600_NS6detail15normal_iteratorINS9_10device_ptrIjEEEESE_j11max_functorIjEjEEDaPvRmT3_T4_T5_mT6_P12ihipStream_tbENKUlT_T0_E_clISt17integral_constantIbLb1EESU_EEDaSP_SQ_EUlSP_E0_NS1_11comp_targetILNS1_3genE2ELNS1_11target_archE906ELNS1_3gpuE6ELNS1_3repE0EEENS1_30default_config_static_selectorELNS0_4arch9wavefront6targetE1EEEvT1_, .Lfunc_end2286-_ZN7rocprim17ROCPRIM_400000_NS6detail17trampoline_kernelINS0_14default_configENS1_20scan_config_selectorIjEEZZNS1_9scan_implILNS1_25lookback_scan_determinismE0ELb0ELb0ES3_N6thrust23THRUST_200600_302600_NS6detail15normal_iteratorINS9_10device_ptrIjEEEESE_j11max_functorIjEjEEDaPvRmT3_T4_T5_mT6_P12ihipStream_tbENKUlT_T0_E_clISt17integral_constantIbLb1EESU_EEDaSP_SQ_EUlSP_E0_NS1_11comp_targetILNS1_3genE2ELNS1_11target_archE906ELNS1_3gpuE6ELNS1_3repE0EEENS1_30default_config_static_selectorELNS0_4arch9wavefront6targetE1EEEvT1_
                                        ; -- End function
	.section	.AMDGPU.csdata,"",@progbits
; Kernel info:
; codeLenInByte = 0
; NumSgprs: 4
; NumVgprs: 0
; NumAgprs: 0
; TotalNumVgprs: 0
; ScratchSize: 0
; MemoryBound: 0
; FloatMode: 240
; IeeeMode: 1
; LDSByteSize: 0 bytes/workgroup (compile time only)
; SGPRBlocks: 0
; VGPRBlocks: 0
; NumSGPRsForWavesPerEU: 4
; NumVGPRsForWavesPerEU: 1
; AccumOffset: 4
; Occupancy: 8
; WaveLimiterHint : 0
; COMPUTE_PGM_RSRC2:SCRATCH_EN: 0
; COMPUTE_PGM_RSRC2:USER_SGPR: 6
; COMPUTE_PGM_RSRC2:TRAP_HANDLER: 0
; COMPUTE_PGM_RSRC2:TGID_X_EN: 1
; COMPUTE_PGM_RSRC2:TGID_Y_EN: 0
; COMPUTE_PGM_RSRC2:TGID_Z_EN: 0
; COMPUTE_PGM_RSRC2:TIDIG_COMP_CNT: 0
; COMPUTE_PGM_RSRC3_GFX90A:ACCUM_OFFSET: 0
; COMPUTE_PGM_RSRC3_GFX90A:TG_SPLIT: 0
	.section	.text._ZN7rocprim17ROCPRIM_400000_NS6detail17trampoline_kernelINS0_14default_configENS1_20scan_config_selectorIjEEZZNS1_9scan_implILNS1_25lookback_scan_determinismE0ELb0ELb0ES3_N6thrust23THRUST_200600_302600_NS6detail15normal_iteratorINS9_10device_ptrIjEEEESE_j11max_functorIjEjEEDaPvRmT3_T4_T5_mT6_P12ihipStream_tbENKUlT_T0_E_clISt17integral_constantIbLb1EESU_EEDaSP_SQ_EUlSP_E0_NS1_11comp_targetILNS1_3genE10ELNS1_11target_archE1201ELNS1_3gpuE5ELNS1_3repE0EEENS1_30default_config_static_selectorELNS0_4arch9wavefront6targetE1EEEvT1_,"axG",@progbits,_ZN7rocprim17ROCPRIM_400000_NS6detail17trampoline_kernelINS0_14default_configENS1_20scan_config_selectorIjEEZZNS1_9scan_implILNS1_25lookback_scan_determinismE0ELb0ELb0ES3_N6thrust23THRUST_200600_302600_NS6detail15normal_iteratorINS9_10device_ptrIjEEEESE_j11max_functorIjEjEEDaPvRmT3_T4_T5_mT6_P12ihipStream_tbENKUlT_T0_E_clISt17integral_constantIbLb1EESU_EEDaSP_SQ_EUlSP_E0_NS1_11comp_targetILNS1_3genE10ELNS1_11target_archE1201ELNS1_3gpuE5ELNS1_3repE0EEENS1_30default_config_static_selectorELNS0_4arch9wavefront6targetE1EEEvT1_,comdat
	.protected	_ZN7rocprim17ROCPRIM_400000_NS6detail17trampoline_kernelINS0_14default_configENS1_20scan_config_selectorIjEEZZNS1_9scan_implILNS1_25lookback_scan_determinismE0ELb0ELb0ES3_N6thrust23THRUST_200600_302600_NS6detail15normal_iteratorINS9_10device_ptrIjEEEESE_j11max_functorIjEjEEDaPvRmT3_T4_T5_mT6_P12ihipStream_tbENKUlT_T0_E_clISt17integral_constantIbLb1EESU_EEDaSP_SQ_EUlSP_E0_NS1_11comp_targetILNS1_3genE10ELNS1_11target_archE1201ELNS1_3gpuE5ELNS1_3repE0EEENS1_30default_config_static_selectorELNS0_4arch9wavefront6targetE1EEEvT1_ ; -- Begin function _ZN7rocprim17ROCPRIM_400000_NS6detail17trampoline_kernelINS0_14default_configENS1_20scan_config_selectorIjEEZZNS1_9scan_implILNS1_25lookback_scan_determinismE0ELb0ELb0ES3_N6thrust23THRUST_200600_302600_NS6detail15normal_iteratorINS9_10device_ptrIjEEEESE_j11max_functorIjEjEEDaPvRmT3_T4_T5_mT6_P12ihipStream_tbENKUlT_T0_E_clISt17integral_constantIbLb1EESU_EEDaSP_SQ_EUlSP_E0_NS1_11comp_targetILNS1_3genE10ELNS1_11target_archE1201ELNS1_3gpuE5ELNS1_3repE0EEENS1_30default_config_static_selectorELNS0_4arch9wavefront6targetE1EEEvT1_
	.globl	_ZN7rocprim17ROCPRIM_400000_NS6detail17trampoline_kernelINS0_14default_configENS1_20scan_config_selectorIjEEZZNS1_9scan_implILNS1_25lookback_scan_determinismE0ELb0ELb0ES3_N6thrust23THRUST_200600_302600_NS6detail15normal_iteratorINS9_10device_ptrIjEEEESE_j11max_functorIjEjEEDaPvRmT3_T4_T5_mT6_P12ihipStream_tbENKUlT_T0_E_clISt17integral_constantIbLb1EESU_EEDaSP_SQ_EUlSP_E0_NS1_11comp_targetILNS1_3genE10ELNS1_11target_archE1201ELNS1_3gpuE5ELNS1_3repE0EEENS1_30default_config_static_selectorELNS0_4arch9wavefront6targetE1EEEvT1_
	.p2align	8
	.type	_ZN7rocprim17ROCPRIM_400000_NS6detail17trampoline_kernelINS0_14default_configENS1_20scan_config_selectorIjEEZZNS1_9scan_implILNS1_25lookback_scan_determinismE0ELb0ELb0ES3_N6thrust23THRUST_200600_302600_NS6detail15normal_iteratorINS9_10device_ptrIjEEEESE_j11max_functorIjEjEEDaPvRmT3_T4_T5_mT6_P12ihipStream_tbENKUlT_T0_E_clISt17integral_constantIbLb1EESU_EEDaSP_SQ_EUlSP_E0_NS1_11comp_targetILNS1_3genE10ELNS1_11target_archE1201ELNS1_3gpuE5ELNS1_3repE0EEENS1_30default_config_static_selectorELNS0_4arch9wavefront6targetE1EEEvT1_,@function
_ZN7rocprim17ROCPRIM_400000_NS6detail17trampoline_kernelINS0_14default_configENS1_20scan_config_selectorIjEEZZNS1_9scan_implILNS1_25lookback_scan_determinismE0ELb0ELb0ES3_N6thrust23THRUST_200600_302600_NS6detail15normal_iteratorINS9_10device_ptrIjEEEESE_j11max_functorIjEjEEDaPvRmT3_T4_T5_mT6_P12ihipStream_tbENKUlT_T0_E_clISt17integral_constantIbLb1EESU_EEDaSP_SQ_EUlSP_E0_NS1_11comp_targetILNS1_3genE10ELNS1_11target_archE1201ELNS1_3gpuE5ELNS1_3repE0EEENS1_30default_config_static_selectorELNS0_4arch9wavefront6targetE1EEEvT1_: ; @_ZN7rocprim17ROCPRIM_400000_NS6detail17trampoline_kernelINS0_14default_configENS1_20scan_config_selectorIjEEZZNS1_9scan_implILNS1_25lookback_scan_determinismE0ELb0ELb0ES3_N6thrust23THRUST_200600_302600_NS6detail15normal_iteratorINS9_10device_ptrIjEEEESE_j11max_functorIjEjEEDaPvRmT3_T4_T5_mT6_P12ihipStream_tbENKUlT_T0_E_clISt17integral_constantIbLb1EESU_EEDaSP_SQ_EUlSP_E0_NS1_11comp_targetILNS1_3genE10ELNS1_11target_archE1201ELNS1_3gpuE5ELNS1_3repE0EEENS1_30default_config_static_selectorELNS0_4arch9wavefront6targetE1EEEvT1_
; %bb.0:
	.section	.rodata,"a",@progbits
	.p2align	6, 0x0
	.amdhsa_kernel _ZN7rocprim17ROCPRIM_400000_NS6detail17trampoline_kernelINS0_14default_configENS1_20scan_config_selectorIjEEZZNS1_9scan_implILNS1_25lookback_scan_determinismE0ELb0ELb0ES3_N6thrust23THRUST_200600_302600_NS6detail15normal_iteratorINS9_10device_ptrIjEEEESE_j11max_functorIjEjEEDaPvRmT3_T4_T5_mT6_P12ihipStream_tbENKUlT_T0_E_clISt17integral_constantIbLb1EESU_EEDaSP_SQ_EUlSP_E0_NS1_11comp_targetILNS1_3genE10ELNS1_11target_archE1201ELNS1_3gpuE5ELNS1_3repE0EEENS1_30default_config_static_selectorELNS0_4arch9wavefront6targetE1EEEvT1_
		.amdhsa_group_segment_fixed_size 0
		.amdhsa_private_segment_fixed_size 0
		.amdhsa_kernarg_size 32
		.amdhsa_user_sgpr_count 6
		.amdhsa_user_sgpr_private_segment_buffer 1
		.amdhsa_user_sgpr_dispatch_ptr 0
		.amdhsa_user_sgpr_queue_ptr 0
		.amdhsa_user_sgpr_kernarg_segment_ptr 1
		.amdhsa_user_sgpr_dispatch_id 0
		.amdhsa_user_sgpr_flat_scratch_init 0
		.amdhsa_user_sgpr_kernarg_preload_length 0
		.amdhsa_user_sgpr_kernarg_preload_offset 0
		.amdhsa_user_sgpr_private_segment_size 0
		.amdhsa_uses_dynamic_stack 0
		.amdhsa_system_sgpr_private_segment_wavefront_offset 0
		.amdhsa_system_sgpr_workgroup_id_x 1
		.amdhsa_system_sgpr_workgroup_id_y 0
		.amdhsa_system_sgpr_workgroup_id_z 0
		.amdhsa_system_sgpr_workgroup_info 0
		.amdhsa_system_vgpr_workitem_id 0
		.amdhsa_next_free_vgpr 1
		.amdhsa_next_free_sgpr 0
		.amdhsa_accum_offset 4
		.amdhsa_reserve_vcc 0
		.amdhsa_reserve_flat_scratch 0
		.amdhsa_float_round_mode_32 0
		.amdhsa_float_round_mode_16_64 0
		.amdhsa_float_denorm_mode_32 3
		.amdhsa_float_denorm_mode_16_64 3
		.amdhsa_dx10_clamp 1
		.amdhsa_ieee_mode 1
		.amdhsa_fp16_overflow 0
		.amdhsa_tg_split 0
		.amdhsa_exception_fp_ieee_invalid_op 0
		.amdhsa_exception_fp_denorm_src 0
		.amdhsa_exception_fp_ieee_div_zero 0
		.amdhsa_exception_fp_ieee_overflow 0
		.amdhsa_exception_fp_ieee_underflow 0
		.amdhsa_exception_fp_ieee_inexact 0
		.amdhsa_exception_int_div_zero 0
	.end_amdhsa_kernel
	.section	.text._ZN7rocprim17ROCPRIM_400000_NS6detail17trampoline_kernelINS0_14default_configENS1_20scan_config_selectorIjEEZZNS1_9scan_implILNS1_25lookback_scan_determinismE0ELb0ELb0ES3_N6thrust23THRUST_200600_302600_NS6detail15normal_iteratorINS9_10device_ptrIjEEEESE_j11max_functorIjEjEEDaPvRmT3_T4_T5_mT6_P12ihipStream_tbENKUlT_T0_E_clISt17integral_constantIbLb1EESU_EEDaSP_SQ_EUlSP_E0_NS1_11comp_targetILNS1_3genE10ELNS1_11target_archE1201ELNS1_3gpuE5ELNS1_3repE0EEENS1_30default_config_static_selectorELNS0_4arch9wavefront6targetE1EEEvT1_,"axG",@progbits,_ZN7rocprim17ROCPRIM_400000_NS6detail17trampoline_kernelINS0_14default_configENS1_20scan_config_selectorIjEEZZNS1_9scan_implILNS1_25lookback_scan_determinismE0ELb0ELb0ES3_N6thrust23THRUST_200600_302600_NS6detail15normal_iteratorINS9_10device_ptrIjEEEESE_j11max_functorIjEjEEDaPvRmT3_T4_T5_mT6_P12ihipStream_tbENKUlT_T0_E_clISt17integral_constantIbLb1EESU_EEDaSP_SQ_EUlSP_E0_NS1_11comp_targetILNS1_3genE10ELNS1_11target_archE1201ELNS1_3gpuE5ELNS1_3repE0EEENS1_30default_config_static_selectorELNS0_4arch9wavefront6targetE1EEEvT1_,comdat
.Lfunc_end2287:
	.size	_ZN7rocprim17ROCPRIM_400000_NS6detail17trampoline_kernelINS0_14default_configENS1_20scan_config_selectorIjEEZZNS1_9scan_implILNS1_25lookback_scan_determinismE0ELb0ELb0ES3_N6thrust23THRUST_200600_302600_NS6detail15normal_iteratorINS9_10device_ptrIjEEEESE_j11max_functorIjEjEEDaPvRmT3_T4_T5_mT6_P12ihipStream_tbENKUlT_T0_E_clISt17integral_constantIbLb1EESU_EEDaSP_SQ_EUlSP_E0_NS1_11comp_targetILNS1_3genE10ELNS1_11target_archE1201ELNS1_3gpuE5ELNS1_3repE0EEENS1_30default_config_static_selectorELNS0_4arch9wavefront6targetE1EEEvT1_, .Lfunc_end2287-_ZN7rocprim17ROCPRIM_400000_NS6detail17trampoline_kernelINS0_14default_configENS1_20scan_config_selectorIjEEZZNS1_9scan_implILNS1_25lookback_scan_determinismE0ELb0ELb0ES3_N6thrust23THRUST_200600_302600_NS6detail15normal_iteratorINS9_10device_ptrIjEEEESE_j11max_functorIjEjEEDaPvRmT3_T4_T5_mT6_P12ihipStream_tbENKUlT_T0_E_clISt17integral_constantIbLb1EESU_EEDaSP_SQ_EUlSP_E0_NS1_11comp_targetILNS1_3genE10ELNS1_11target_archE1201ELNS1_3gpuE5ELNS1_3repE0EEENS1_30default_config_static_selectorELNS0_4arch9wavefront6targetE1EEEvT1_
                                        ; -- End function
	.section	.AMDGPU.csdata,"",@progbits
; Kernel info:
; codeLenInByte = 0
; NumSgprs: 4
; NumVgprs: 0
; NumAgprs: 0
; TotalNumVgprs: 0
; ScratchSize: 0
; MemoryBound: 0
; FloatMode: 240
; IeeeMode: 1
; LDSByteSize: 0 bytes/workgroup (compile time only)
; SGPRBlocks: 0
; VGPRBlocks: 0
; NumSGPRsForWavesPerEU: 4
; NumVGPRsForWavesPerEU: 1
; AccumOffset: 4
; Occupancy: 8
; WaveLimiterHint : 0
; COMPUTE_PGM_RSRC2:SCRATCH_EN: 0
; COMPUTE_PGM_RSRC2:USER_SGPR: 6
; COMPUTE_PGM_RSRC2:TRAP_HANDLER: 0
; COMPUTE_PGM_RSRC2:TGID_X_EN: 1
; COMPUTE_PGM_RSRC2:TGID_Y_EN: 0
; COMPUTE_PGM_RSRC2:TGID_Z_EN: 0
; COMPUTE_PGM_RSRC2:TIDIG_COMP_CNT: 0
; COMPUTE_PGM_RSRC3_GFX90A:ACCUM_OFFSET: 0
; COMPUTE_PGM_RSRC3_GFX90A:TG_SPLIT: 0
	.section	.text._ZN7rocprim17ROCPRIM_400000_NS6detail17trampoline_kernelINS0_14default_configENS1_20scan_config_selectorIjEEZZNS1_9scan_implILNS1_25lookback_scan_determinismE0ELb0ELb0ES3_N6thrust23THRUST_200600_302600_NS6detail15normal_iteratorINS9_10device_ptrIjEEEESE_j11max_functorIjEjEEDaPvRmT3_T4_T5_mT6_P12ihipStream_tbENKUlT_T0_E_clISt17integral_constantIbLb1EESU_EEDaSP_SQ_EUlSP_E0_NS1_11comp_targetILNS1_3genE10ELNS1_11target_archE1200ELNS1_3gpuE4ELNS1_3repE0EEENS1_30default_config_static_selectorELNS0_4arch9wavefront6targetE1EEEvT1_,"axG",@progbits,_ZN7rocprim17ROCPRIM_400000_NS6detail17trampoline_kernelINS0_14default_configENS1_20scan_config_selectorIjEEZZNS1_9scan_implILNS1_25lookback_scan_determinismE0ELb0ELb0ES3_N6thrust23THRUST_200600_302600_NS6detail15normal_iteratorINS9_10device_ptrIjEEEESE_j11max_functorIjEjEEDaPvRmT3_T4_T5_mT6_P12ihipStream_tbENKUlT_T0_E_clISt17integral_constantIbLb1EESU_EEDaSP_SQ_EUlSP_E0_NS1_11comp_targetILNS1_3genE10ELNS1_11target_archE1200ELNS1_3gpuE4ELNS1_3repE0EEENS1_30default_config_static_selectorELNS0_4arch9wavefront6targetE1EEEvT1_,comdat
	.protected	_ZN7rocprim17ROCPRIM_400000_NS6detail17trampoline_kernelINS0_14default_configENS1_20scan_config_selectorIjEEZZNS1_9scan_implILNS1_25lookback_scan_determinismE0ELb0ELb0ES3_N6thrust23THRUST_200600_302600_NS6detail15normal_iteratorINS9_10device_ptrIjEEEESE_j11max_functorIjEjEEDaPvRmT3_T4_T5_mT6_P12ihipStream_tbENKUlT_T0_E_clISt17integral_constantIbLb1EESU_EEDaSP_SQ_EUlSP_E0_NS1_11comp_targetILNS1_3genE10ELNS1_11target_archE1200ELNS1_3gpuE4ELNS1_3repE0EEENS1_30default_config_static_selectorELNS0_4arch9wavefront6targetE1EEEvT1_ ; -- Begin function _ZN7rocprim17ROCPRIM_400000_NS6detail17trampoline_kernelINS0_14default_configENS1_20scan_config_selectorIjEEZZNS1_9scan_implILNS1_25lookback_scan_determinismE0ELb0ELb0ES3_N6thrust23THRUST_200600_302600_NS6detail15normal_iteratorINS9_10device_ptrIjEEEESE_j11max_functorIjEjEEDaPvRmT3_T4_T5_mT6_P12ihipStream_tbENKUlT_T0_E_clISt17integral_constantIbLb1EESU_EEDaSP_SQ_EUlSP_E0_NS1_11comp_targetILNS1_3genE10ELNS1_11target_archE1200ELNS1_3gpuE4ELNS1_3repE0EEENS1_30default_config_static_selectorELNS0_4arch9wavefront6targetE1EEEvT1_
	.globl	_ZN7rocprim17ROCPRIM_400000_NS6detail17trampoline_kernelINS0_14default_configENS1_20scan_config_selectorIjEEZZNS1_9scan_implILNS1_25lookback_scan_determinismE0ELb0ELb0ES3_N6thrust23THRUST_200600_302600_NS6detail15normal_iteratorINS9_10device_ptrIjEEEESE_j11max_functorIjEjEEDaPvRmT3_T4_T5_mT6_P12ihipStream_tbENKUlT_T0_E_clISt17integral_constantIbLb1EESU_EEDaSP_SQ_EUlSP_E0_NS1_11comp_targetILNS1_3genE10ELNS1_11target_archE1200ELNS1_3gpuE4ELNS1_3repE0EEENS1_30default_config_static_selectorELNS0_4arch9wavefront6targetE1EEEvT1_
	.p2align	8
	.type	_ZN7rocprim17ROCPRIM_400000_NS6detail17trampoline_kernelINS0_14default_configENS1_20scan_config_selectorIjEEZZNS1_9scan_implILNS1_25lookback_scan_determinismE0ELb0ELb0ES3_N6thrust23THRUST_200600_302600_NS6detail15normal_iteratorINS9_10device_ptrIjEEEESE_j11max_functorIjEjEEDaPvRmT3_T4_T5_mT6_P12ihipStream_tbENKUlT_T0_E_clISt17integral_constantIbLb1EESU_EEDaSP_SQ_EUlSP_E0_NS1_11comp_targetILNS1_3genE10ELNS1_11target_archE1200ELNS1_3gpuE4ELNS1_3repE0EEENS1_30default_config_static_selectorELNS0_4arch9wavefront6targetE1EEEvT1_,@function
_ZN7rocprim17ROCPRIM_400000_NS6detail17trampoline_kernelINS0_14default_configENS1_20scan_config_selectorIjEEZZNS1_9scan_implILNS1_25lookback_scan_determinismE0ELb0ELb0ES3_N6thrust23THRUST_200600_302600_NS6detail15normal_iteratorINS9_10device_ptrIjEEEESE_j11max_functorIjEjEEDaPvRmT3_T4_T5_mT6_P12ihipStream_tbENKUlT_T0_E_clISt17integral_constantIbLb1EESU_EEDaSP_SQ_EUlSP_E0_NS1_11comp_targetILNS1_3genE10ELNS1_11target_archE1200ELNS1_3gpuE4ELNS1_3repE0EEENS1_30default_config_static_selectorELNS0_4arch9wavefront6targetE1EEEvT1_: ; @_ZN7rocprim17ROCPRIM_400000_NS6detail17trampoline_kernelINS0_14default_configENS1_20scan_config_selectorIjEEZZNS1_9scan_implILNS1_25lookback_scan_determinismE0ELb0ELb0ES3_N6thrust23THRUST_200600_302600_NS6detail15normal_iteratorINS9_10device_ptrIjEEEESE_j11max_functorIjEjEEDaPvRmT3_T4_T5_mT6_P12ihipStream_tbENKUlT_T0_E_clISt17integral_constantIbLb1EESU_EEDaSP_SQ_EUlSP_E0_NS1_11comp_targetILNS1_3genE10ELNS1_11target_archE1200ELNS1_3gpuE4ELNS1_3repE0EEENS1_30default_config_static_selectorELNS0_4arch9wavefront6targetE1EEEvT1_
; %bb.0:
	.section	.rodata,"a",@progbits
	.p2align	6, 0x0
	.amdhsa_kernel _ZN7rocprim17ROCPRIM_400000_NS6detail17trampoline_kernelINS0_14default_configENS1_20scan_config_selectorIjEEZZNS1_9scan_implILNS1_25lookback_scan_determinismE0ELb0ELb0ES3_N6thrust23THRUST_200600_302600_NS6detail15normal_iteratorINS9_10device_ptrIjEEEESE_j11max_functorIjEjEEDaPvRmT3_T4_T5_mT6_P12ihipStream_tbENKUlT_T0_E_clISt17integral_constantIbLb1EESU_EEDaSP_SQ_EUlSP_E0_NS1_11comp_targetILNS1_3genE10ELNS1_11target_archE1200ELNS1_3gpuE4ELNS1_3repE0EEENS1_30default_config_static_selectorELNS0_4arch9wavefront6targetE1EEEvT1_
		.amdhsa_group_segment_fixed_size 0
		.amdhsa_private_segment_fixed_size 0
		.amdhsa_kernarg_size 32
		.amdhsa_user_sgpr_count 6
		.amdhsa_user_sgpr_private_segment_buffer 1
		.amdhsa_user_sgpr_dispatch_ptr 0
		.amdhsa_user_sgpr_queue_ptr 0
		.amdhsa_user_sgpr_kernarg_segment_ptr 1
		.amdhsa_user_sgpr_dispatch_id 0
		.amdhsa_user_sgpr_flat_scratch_init 0
		.amdhsa_user_sgpr_kernarg_preload_length 0
		.amdhsa_user_sgpr_kernarg_preload_offset 0
		.amdhsa_user_sgpr_private_segment_size 0
		.amdhsa_uses_dynamic_stack 0
		.amdhsa_system_sgpr_private_segment_wavefront_offset 0
		.amdhsa_system_sgpr_workgroup_id_x 1
		.amdhsa_system_sgpr_workgroup_id_y 0
		.amdhsa_system_sgpr_workgroup_id_z 0
		.amdhsa_system_sgpr_workgroup_info 0
		.amdhsa_system_vgpr_workitem_id 0
		.amdhsa_next_free_vgpr 1
		.amdhsa_next_free_sgpr 0
		.amdhsa_accum_offset 4
		.amdhsa_reserve_vcc 0
		.amdhsa_reserve_flat_scratch 0
		.amdhsa_float_round_mode_32 0
		.amdhsa_float_round_mode_16_64 0
		.amdhsa_float_denorm_mode_32 3
		.amdhsa_float_denorm_mode_16_64 3
		.amdhsa_dx10_clamp 1
		.amdhsa_ieee_mode 1
		.amdhsa_fp16_overflow 0
		.amdhsa_tg_split 0
		.amdhsa_exception_fp_ieee_invalid_op 0
		.amdhsa_exception_fp_denorm_src 0
		.amdhsa_exception_fp_ieee_div_zero 0
		.amdhsa_exception_fp_ieee_overflow 0
		.amdhsa_exception_fp_ieee_underflow 0
		.amdhsa_exception_fp_ieee_inexact 0
		.amdhsa_exception_int_div_zero 0
	.end_amdhsa_kernel
	.section	.text._ZN7rocprim17ROCPRIM_400000_NS6detail17trampoline_kernelINS0_14default_configENS1_20scan_config_selectorIjEEZZNS1_9scan_implILNS1_25lookback_scan_determinismE0ELb0ELb0ES3_N6thrust23THRUST_200600_302600_NS6detail15normal_iteratorINS9_10device_ptrIjEEEESE_j11max_functorIjEjEEDaPvRmT3_T4_T5_mT6_P12ihipStream_tbENKUlT_T0_E_clISt17integral_constantIbLb1EESU_EEDaSP_SQ_EUlSP_E0_NS1_11comp_targetILNS1_3genE10ELNS1_11target_archE1200ELNS1_3gpuE4ELNS1_3repE0EEENS1_30default_config_static_selectorELNS0_4arch9wavefront6targetE1EEEvT1_,"axG",@progbits,_ZN7rocprim17ROCPRIM_400000_NS6detail17trampoline_kernelINS0_14default_configENS1_20scan_config_selectorIjEEZZNS1_9scan_implILNS1_25lookback_scan_determinismE0ELb0ELb0ES3_N6thrust23THRUST_200600_302600_NS6detail15normal_iteratorINS9_10device_ptrIjEEEESE_j11max_functorIjEjEEDaPvRmT3_T4_T5_mT6_P12ihipStream_tbENKUlT_T0_E_clISt17integral_constantIbLb1EESU_EEDaSP_SQ_EUlSP_E0_NS1_11comp_targetILNS1_3genE10ELNS1_11target_archE1200ELNS1_3gpuE4ELNS1_3repE0EEENS1_30default_config_static_selectorELNS0_4arch9wavefront6targetE1EEEvT1_,comdat
.Lfunc_end2288:
	.size	_ZN7rocprim17ROCPRIM_400000_NS6detail17trampoline_kernelINS0_14default_configENS1_20scan_config_selectorIjEEZZNS1_9scan_implILNS1_25lookback_scan_determinismE0ELb0ELb0ES3_N6thrust23THRUST_200600_302600_NS6detail15normal_iteratorINS9_10device_ptrIjEEEESE_j11max_functorIjEjEEDaPvRmT3_T4_T5_mT6_P12ihipStream_tbENKUlT_T0_E_clISt17integral_constantIbLb1EESU_EEDaSP_SQ_EUlSP_E0_NS1_11comp_targetILNS1_3genE10ELNS1_11target_archE1200ELNS1_3gpuE4ELNS1_3repE0EEENS1_30default_config_static_selectorELNS0_4arch9wavefront6targetE1EEEvT1_, .Lfunc_end2288-_ZN7rocprim17ROCPRIM_400000_NS6detail17trampoline_kernelINS0_14default_configENS1_20scan_config_selectorIjEEZZNS1_9scan_implILNS1_25lookback_scan_determinismE0ELb0ELb0ES3_N6thrust23THRUST_200600_302600_NS6detail15normal_iteratorINS9_10device_ptrIjEEEESE_j11max_functorIjEjEEDaPvRmT3_T4_T5_mT6_P12ihipStream_tbENKUlT_T0_E_clISt17integral_constantIbLb1EESU_EEDaSP_SQ_EUlSP_E0_NS1_11comp_targetILNS1_3genE10ELNS1_11target_archE1200ELNS1_3gpuE4ELNS1_3repE0EEENS1_30default_config_static_selectorELNS0_4arch9wavefront6targetE1EEEvT1_
                                        ; -- End function
	.section	.AMDGPU.csdata,"",@progbits
; Kernel info:
; codeLenInByte = 0
; NumSgprs: 4
; NumVgprs: 0
; NumAgprs: 0
; TotalNumVgprs: 0
; ScratchSize: 0
; MemoryBound: 0
; FloatMode: 240
; IeeeMode: 1
; LDSByteSize: 0 bytes/workgroup (compile time only)
; SGPRBlocks: 0
; VGPRBlocks: 0
; NumSGPRsForWavesPerEU: 4
; NumVGPRsForWavesPerEU: 1
; AccumOffset: 4
; Occupancy: 8
; WaveLimiterHint : 0
; COMPUTE_PGM_RSRC2:SCRATCH_EN: 0
; COMPUTE_PGM_RSRC2:USER_SGPR: 6
; COMPUTE_PGM_RSRC2:TRAP_HANDLER: 0
; COMPUTE_PGM_RSRC2:TGID_X_EN: 1
; COMPUTE_PGM_RSRC2:TGID_Y_EN: 0
; COMPUTE_PGM_RSRC2:TGID_Z_EN: 0
; COMPUTE_PGM_RSRC2:TIDIG_COMP_CNT: 0
; COMPUTE_PGM_RSRC3_GFX90A:ACCUM_OFFSET: 0
; COMPUTE_PGM_RSRC3_GFX90A:TG_SPLIT: 0
	.section	.text._ZN7rocprim17ROCPRIM_400000_NS6detail17trampoline_kernelINS0_14default_configENS1_20scan_config_selectorIjEEZZNS1_9scan_implILNS1_25lookback_scan_determinismE0ELb0ELb0ES3_N6thrust23THRUST_200600_302600_NS6detail15normal_iteratorINS9_10device_ptrIjEEEESE_j11max_functorIjEjEEDaPvRmT3_T4_T5_mT6_P12ihipStream_tbENKUlT_T0_E_clISt17integral_constantIbLb1EESU_EEDaSP_SQ_EUlSP_E0_NS1_11comp_targetILNS1_3genE9ELNS1_11target_archE1100ELNS1_3gpuE3ELNS1_3repE0EEENS1_30default_config_static_selectorELNS0_4arch9wavefront6targetE1EEEvT1_,"axG",@progbits,_ZN7rocprim17ROCPRIM_400000_NS6detail17trampoline_kernelINS0_14default_configENS1_20scan_config_selectorIjEEZZNS1_9scan_implILNS1_25lookback_scan_determinismE0ELb0ELb0ES3_N6thrust23THRUST_200600_302600_NS6detail15normal_iteratorINS9_10device_ptrIjEEEESE_j11max_functorIjEjEEDaPvRmT3_T4_T5_mT6_P12ihipStream_tbENKUlT_T0_E_clISt17integral_constantIbLb1EESU_EEDaSP_SQ_EUlSP_E0_NS1_11comp_targetILNS1_3genE9ELNS1_11target_archE1100ELNS1_3gpuE3ELNS1_3repE0EEENS1_30default_config_static_selectorELNS0_4arch9wavefront6targetE1EEEvT1_,comdat
	.protected	_ZN7rocprim17ROCPRIM_400000_NS6detail17trampoline_kernelINS0_14default_configENS1_20scan_config_selectorIjEEZZNS1_9scan_implILNS1_25lookback_scan_determinismE0ELb0ELb0ES3_N6thrust23THRUST_200600_302600_NS6detail15normal_iteratorINS9_10device_ptrIjEEEESE_j11max_functorIjEjEEDaPvRmT3_T4_T5_mT6_P12ihipStream_tbENKUlT_T0_E_clISt17integral_constantIbLb1EESU_EEDaSP_SQ_EUlSP_E0_NS1_11comp_targetILNS1_3genE9ELNS1_11target_archE1100ELNS1_3gpuE3ELNS1_3repE0EEENS1_30default_config_static_selectorELNS0_4arch9wavefront6targetE1EEEvT1_ ; -- Begin function _ZN7rocprim17ROCPRIM_400000_NS6detail17trampoline_kernelINS0_14default_configENS1_20scan_config_selectorIjEEZZNS1_9scan_implILNS1_25lookback_scan_determinismE0ELb0ELb0ES3_N6thrust23THRUST_200600_302600_NS6detail15normal_iteratorINS9_10device_ptrIjEEEESE_j11max_functorIjEjEEDaPvRmT3_T4_T5_mT6_P12ihipStream_tbENKUlT_T0_E_clISt17integral_constantIbLb1EESU_EEDaSP_SQ_EUlSP_E0_NS1_11comp_targetILNS1_3genE9ELNS1_11target_archE1100ELNS1_3gpuE3ELNS1_3repE0EEENS1_30default_config_static_selectorELNS0_4arch9wavefront6targetE1EEEvT1_
	.globl	_ZN7rocprim17ROCPRIM_400000_NS6detail17trampoline_kernelINS0_14default_configENS1_20scan_config_selectorIjEEZZNS1_9scan_implILNS1_25lookback_scan_determinismE0ELb0ELb0ES3_N6thrust23THRUST_200600_302600_NS6detail15normal_iteratorINS9_10device_ptrIjEEEESE_j11max_functorIjEjEEDaPvRmT3_T4_T5_mT6_P12ihipStream_tbENKUlT_T0_E_clISt17integral_constantIbLb1EESU_EEDaSP_SQ_EUlSP_E0_NS1_11comp_targetILNS1_3genE9ELNS1_11target_archE1100ELNS1_3gpuE3ELNS1_3repE0EEENS1_30default_config_static_selectorELNS0_4arch9wavefront6targetE1EEEvT1_
	.p2align	8
	.type	_ZN7rocprim17ROCPRIM_400000_NS6detail17trampoline_kernelINS0_14default_configENS1_20scan_config_selectorIjEEZZNS1_9scan_implILNS1_25lookback_scan_determinismE0ELb0ELb0ES3_N6thrust23THRUST_200600_302600_NS6detail15normal_iteratorINS9_10device_ptrIjEEEESE_j11max_functorIjEjEEDaPvRmT3_T4_T5_mT6_P12ihipStream_tbENKUlT_T0_E_clISt17integral_constantIbLb1EESU_EEDaSP_SQ_EUlSP_E0_NS1_11comp_targetILNS1_3genE9ELNS1_11target_archE1100ELNS1_3gpuE3ELNS1_3repE0EEENS1_30default_config_static_selectorELNS0_4arch9wavefront6targetE1EEEvT1_,@function
_ZN7rocprim17ROCPRIM_400000_NS6detail17trampoline_kernelINS0_14default_configENS1_20scan_config_selectorIjEEZZNS1_9scan_implILNS1_25lookback_scan_determinismE0ELb0ELb0ES3_N6thrust23THRUST_200600_302600_NS6detail15normal_iteratorINS9_10device_ptrIjEEEESE_j11max_functorIjEjEEDaPvRmT3_T4_T5_mT6_P12ihipStream_tbENKUlT_T0_E_clISt17integral_constantIbLb1EESU_EEDaSP_SQ_EUlSP_E0_NS1_11comp_targetILNS1_3genE9ELNS1_11target_archE1100ELNS1_3gpuE3ELNS1_3repE0EEENS1_30default_config_static_selectorELNS0_4arch9wavefront6targetE1EEEvT1_: ; @_ZN7rocprim17ROCPRIM_400000_NS6detail17trampoline_kernelINS0_14default_configENS1_20scan_config_selectorIjEEZZNS1_9scan_implILNS1_25lookback_scan_determinismE0ELb0ELb0ES3_N6thrust23THRUST_200600_302600_NS6detail15normal_iteratorINS9_10device_ptrIjEEEESE_j11max_functorIjEjEEDaPvRmT3_T4_T5_mT6_P12ihipStream_tbENKUlT_T0_E_clISt17integral_constantIbLb1EESU_EEDaSP_SQ_EUlSP_E0_NS1_11comp_targetILNS1_3genE9ELNS1_11target_archE1100ELNS1_3gpuE3ELNS1_3repE0EEENS1_30default_config_static_selectorELNS0_4arch9wavefront6targetE1EEEvT1_
; %bb.0:
	.section	.rodata,"a",@progbits
	.p2align	6, 0x0
	.amdhsa_kernel _ZN7rocprim17ROCPRIM_400000_NS6detail17trampoline_kernelINS0_14default_configENS1_20scan_config_selectorIjEEZZNS1_9scan_implILNS1_25lookback_scan_determinismE0ELb0ELb0ES3_N6thrust23THRUST_200600_302600_NS6detail15normal_iteratorINS9_10device_ptrIjEEEESE_j11max_functorIjEjEEDaPvRmT3_T4_T5_mT6_P12ihipStream_tbENKUlT_T0_E_clISt17integral_constantIbLb1EESU_EEDaSP_SQ_EUlSP_E0_NS1_11comp_targetILNS1_3genE9ELNS1_11target_archE1100ELNS1_3gpuE3ELNS1_3repE0EEENS1_30default_config_static_selectorELNS0_4arch9wavefront6targetE1EEEvT1_
		.amdhsa_group_segment_fixed_size 0
		.amdhsa_private_segment_fixed_size 0
		.amdhsa_kernarg_size 32
		.amdhsa_user_sgpr_count 6
		.amdhsa_user_sgpr_private_segment_buffer 1
		.amdhsa_user_sgpr_dispatch_ptr 0
		.amdhsa_user_sgpr_queue_ptr 0
		.amdhsa_user_sgpr_kernarg_segment_ptr 1
		.amdhsa_user_sgpr_dispatch_id 0
		.amdhsa_user_sgpr_flat_scratch_init 0
		.amdhsa_user_sgpr_kernarg_preload_length 0
		.amdhsa_user_sgpr_kernarg_preload_offset 0
		.amdhsa_user_sgpr_private_segment_size 0
		.amdhsa_uses_dynamic_stack 0
		.amdhsa_system_sgpr_private_segment_wavefront_offset 0
		.amdhsa_system_sgpr_workgroup_id_x 1
		.amdhsa_system_sgpr_workgroup_id_y 0
		.amdhsa_system_sgpr_workgroup_id_z 0
		.amdhsa_system_sgpr_workgroup_info 0
		.amdhsa_system_vgpr_workitem_id 0
		.amdhsa_next_free_vgpr 1
		.amdhsa_next_free_sgpr 0
		.amdhsa_accum_offset 4
		.amdhsa_reserve_vcc 0
		.amdhsa_reserve_flat_scratch 0
		.amdhsa_float_round_mode_32 0
		.amdhsa_float_round_mode_16_64 0
		.amdhsa_float_denorm_mode_32 3
		.amdhsa_float_denorm_mode_16_64 3
		.amdhsa_dx10_clamp 1
		.amdhsa_ieee_mode 1
		.amdhsa_fp16_overflow 0
		.amdhsa_tg_split 0
		.amdhsa_exception_fp_ieee_invalid_op 0
		.amdhsa_exception_fp_denorm_src 0
		.amdhsa_exception_fp_ieee_div_zero 0
		.amdhsa_exception_fp_ieee_overflow 0
		.amdhsa_exception_fp_ieee_underflow 0
		.amdhsa_exception_fp_ieee_inexact 0
		.amdhsa_exception_int_div_zero 0
	.end_amdhsa_kernel
	.section	.text._ZN7rocprim17ROCPRIM_400000_NS6detail17trampoline_kernelINS0_14default_configENS1_20scan_config_selectorIjEEZZNS1_9scan_implILNS1_25lookback_scan_determinismE0ELb0ELb0ES3_N6thrust23THRUST_200600_302600_NS6detail15normal_iteratorINS9_10device_ptrIjEEEESE_j11max_functorIjEjEEDaPvRmT3_T4_T5_mT6_P12ihipStream_tbENKUlT_T0_E_clISt17integral_constantIbLb1EESU_EEDaSP_SQ_EUlSP_E0_NS1_11comp_targetILNS1_3genE9ELNS1_11target_archE1100ELNS1_3gpuE3ELNS1_3repE0EEENS1_30default_config_static_selectorELNS0_4arch9wavefront6targetE1EEEvT1_,"axG",@progbits,_ZN7rocprim17ROCPRIM_400000_NS6detail17trampoline_kernelINS0_14default_configENS1_20scan_config_selectorIjEEZZNS1_9scan_implILNS1_25lookback_scan_determinismE0ELb0ELb0ES3_N6thrust23THRUST_200600_302600_NS6detail15normal_iteratorINS9_10device_ptrIjEEEESE_j11max_functorIjEjEEDaPvRmT3_T4_T5_mT6_P12ihipStream_tbENKUlT_T0_E_clISt17integral_constantIbLb1EESU_EEDaSP_SQ_EUlSP_E0_NS1_11comp_targetILNS1_3genE9ELNS1_11target_archE1100ELNS1_3gpuE3ELNS1_3repE0EEENS1_30default_config_static_selectorELNS0_4arch9wavefront6targetE1EEEvT1_,comdat
.Lfunc_end2289:
	.size	_ZN7rocprim17ROCPRIM_400000_NS6detail17trampoline_kernelINS0_14default_configENS1_20scan_config_selectorIjEEZZNS1_9scan_implILNS1_25lookback_scan_determinismE0ELb0ELb0ES3_N6thrust23THRUST_200600_302600_NS6detail15normal_iteratorINS9_10device_ptrIjEEEESE_j11max_functorIjEjEEDaPvRmT3_T4_T5_mT6_P12ihipStream_tbENKUlT_T0_E_clISt17integral_constantIbLb1EESU_EEDaSP_SQ_EUlSP_E0_NS1_11comp_targetILNS1_3genE9ELNS1_11target_archE1100ELNS1_3gpuE3ELNS1_3repE0EEENS1_30default_config_static_selectorELNS0_4arch9wavefront6targetE1EEEvT1_, .Lfunc_end2289-_ZN7rocprim17ROCPRIM_400000_NS6detail17trampoline_kernelINS0_14default_configENS1_20scan_config_selectorIjEEZZNS1_9scan_implILNS1_25lookback_scan_determinismE0ELb0ELb0ES3_N6thrust23THRUST_200600_302600_NS6detail15normal_iteratorINS9_10device_ptrIjEEEESE_j11max_functorIjEjEEDaPvRmT3_T4_T5_mT6_P12ihipStream_tbENKUlT_T0_E_clISt17integral_constantIbLb1EESU_EEDaSP_SQ_EUlSP_E0_NS1_11comp_targetILNS1_3genE9ELNS1_11target_archE1100ELNS1_3gpuE3ELNS1_3repE0EEENS1_30default_config_static_selectorELNS0_4arch9wavefront6targetE1EEEvT1_
                                        ; -- End function
	.section	.AMDGPU.csdata,"",@progbits
; Kernel info:
; codeLenInByte = 0
; NumSgprs: 4
; NumVgprs: 0
; NumAgprs: 0
; TotalNumVgprs: 0
; ScratchSize: 0
; MemoryBound: 0
; FloatMode: 240
; IeeeMode: 1
; LDSByteSize: 0 bytes/workgroup (compile time only)
; SGPRBlocks: 0
; VGPRBlocks: 0
; NumSGPRsForWavesPerEU: 4
; NumVGPRsForWavesPerEU: 1
; AccumOffset: 4
; Occupancy: 8
; WaveLimiterHint : 0
; COMPUTE_PGM_RSRC2:SCRATCH_EN: 0
; COMPUTE_PGM_RSRC2:USER_SGPR: 6
; COMPUTE_PGM_RSRC2:TRAP_HANDLER: 0
; COMPUTE_PGM_RSRC2:TGID_X_EN: 1
; COMPUTE_PGM_RSRC2:TGID_Y_EN: 0
; COMPUTE_PGM_RSRC2:TGID_Z_EN: 0
; COMPUTE_PGM_RSRC2:TIDIG_COMP_CNT: 0
; COMPUTE_PGM_RSRC3_GFX90A:ACCUM_OFFSET: 0
; COMPUTE_PGM_RSRC3_GFX90A:TG_SPLIT: 0
	.section	.text._ZN7rocprim17ROCPRIM_400000_NS6detail17trampoline_kernelINS0_14default_configENS1_20scan_config_selectorIjEEZZNS1_9scan_implILNS1_25lookback_scan_determinismE0ELb0ELb0ES3_N6thrust23THRUST_200600_302600_NS6detail15normal_iteratorINS9_10device_ptrIjEEEESE_j11max_functorIjEjEEDaPvRmT3_T4_T5_mT6_P12ihipStream_tbENKUlT_T0_E_clISt17integral_constantIbLb1EESU_EEDaSP_SQ_EUlSP_E0_NS1_11comp_targetILNS1_3genE8ELNS1_11target_archE1030ELNS1_3gpuE2ELNS1_3repE0EEENS1_30default_config_static_selectorELNS0_4arch9wavefront6targetE1EEEvT1_,"axG",@progbits,_ZN7rocprim17ROCPRIM_400000_NS6detail17trampoline_kernelINS0_14default_configENS1_20scan_config_selectorIjEEZZNS1_9scan_implILNS1_25lookback_scan_determinismE0ELb0ELb0ES3_N6thrust23THRUST_200600_302600_NS6detail15normal_iteratorINS9_10device_ptrIjEEEESE_j11max_functorIjEjEEDaPvRmT3_T4_T5_mT6_P12ihipStream_tbENKUlT_T0_E_clISt17integral_constantIbLb1EESU_EEDaSP_SQ_EUlSP_E0_NS1_11comp_targetILNS1_3genE8ELNS1_11target_archE1030ELNS1_3gpuE2ELNS1_3repE0EEENS1_30default_config_static_selectorELNS0_4arch9wavefront6targetE1EEEvT1_,comdat
	.protected	_ZN7rocprim17ROCPRIM_400000_NS6detail17trampoline_kernelINS0_14default_configENS1_20scan_config_selectorIjEEZZNS1_9scan_implILNS1_25lookback_scan_determinismE0ELb0ELb0ES3_N6thrust23THRUST_200600_302600_NS6detail15normal_iteratorINS9_10device_ptrIjEEEESE_j11max_functorIjEjEEDaPvRmT3_T4_T5_mT6_P12ihipStream_tbENKUlT_T0_E_clISt17integral_constantIbLb1EESU_EEDaSP_SQ_EUlSP_E0_NS1_11comp_targetILNS1_3genE8ELNS1_11target_archE1030ELNS1_3gpuE2ELNS1_3repE0EEENS1_30default_config_static_selectorELNS0_4arch9wavefront6targetE1EEEvT1_ ; -- Begin function _ZN7rocprim17ROCPRIM_400000_NS6detail17trampoline_kernelINS0_14default_configENS1_20scan_config_selectorIjEEZZNS1_9scan_implILNS1_25lookback_scan_determinismE0ELb0ELb0ES3_N6thrust23THRUST_200600_302600_NS6detail15normal_iteratorINS9_10device_ptrIjEEEESE_j11max_functorIjEjEEDaPvRmT3_T4_T5_mT6_P12ihipStream_tbENKUlT_T0_E_clISt17integral_constantIbLb1EESU_EEDaSP_SQ_EUlSP_E0_NS1_11comp_targetILNS1_3genE8ELNS1_11target_archE1030ELNS1_3gpuE2ELNS1_3repE0EEENS1_30default_config_static_selectorELNS0_4arch9wavefront6targetE1EEEvT1_
	.globl	_ZN7rocprim17ROCPRIM_400000_NS6detail17trampoline_kernelINS0_14default_configENS1_20scan_config_selectorIjEEZZNS1_9scan_implILNS1_25lookback_scan_determinismE0ELb0ELb0ES3_N6thrust23THRUST_200600_302600_NS6detail15normal_iteratorINS9_10device_ptrIjEEEESE_j11max_functorIjEjEEDaPvRmT3_T4_T5_mT6_P12ihipStream_tbENKUlT_T0_E_clISt17integral_constantIbLb1EESU_EEDaSP_SQ_EUlSP_E0_NS1_11comp_targetILNS1_3genE8ELNS1_11target_archE1030ELNS1_3gpuE2ELNS1_3repE0EEENS1_30default_config_static_selectorELNS0_4arch9wavefront6targetE1EEEvT1_
	.p2align	8
	.type	_ZN7rocprim17ROCPRIM_400000_NS6detail17trampoline_kernelINS0_14default_configENS1_20scan_config_selectorIjEEZZNS1_9scan_implILNS1_25lookback_scan_determinismE0ELb0ELb0ES3_N6thrust23THRUST_200600_302600_NS6detail15normal_iteratorINS9_10device_ptrIjEEEESE_j11max_functorIjEjEEDaPvRmT3_T4_T5_mT6_P12ihipStream_tbENKUlT_T0_E_clISt17integral_constantIbLb1EESU_EEDaSP_SQ_EUlSP_E0_NS1_11comp_targetILNS1_3genE8ELNS1_11target_archE1030ELNS1_3gpuE2ELNS1_3repE0EEENS1_30default_config_static_selectorELNS0_4arch9wavefront6targetE1EEEvT1_,@function
_ZN7rocprim17ROCPRIM_400000_NS6detail17trampoline_kernelINS0_14default_configENS1_20scan_config_selectorIjEEZZNS1_9scan_implILNS1_25lookback_scan_determinismE0ELb0ELb0ES3_N6thrust23THRUST_200600_302600_NS6detail15normal_iteratorINS9_10device_ptrIjEEEESE_j11max_functorIjEjEEDaPvRmT3_T4_T5_mT6_P12ihipStream_tbENKUlT_T0_E_clISt17integral_constantIbLb1EESU_EEDaSP_SQ_EUlSP_E0_NS1_11comp_targetILNS1_3genE8ELNS1_11target_archE1030ELNS1_3gpuE2ELNS1_3repE0EEENS1_30default_config_static_selectorELNS0_4arch9wavefront6targetE1EEEvT1_: ; @_ZN7rocprim17ROCPRIM_400000_NS6detail17trampoline_kernelINS0_14default_configENS1_20scan_config_selectorIjEEZZNS1_9scan_implILNS1_25lookback_scan_determinismE0ELb0ELb0ES3_N6thrust23THRUST_200600_302600_NS6detail15normal_iteratorINS9_10device_ptrIjEEEESE_j11max_functorIjEjEEDaPvRmT3_T4_T5_mT6_P12ihipStream_tbENKUlT_T0_E_clISt17integral_constantIbLb1EESU_EEDaSP_SQ_EUlSP_E0_NS1_11comp_targetILNS1_3genE8ELNS1_11target_archE1030ELNS1_3gpuE2ELNS1_3repE0EEENS1_30default_config_static_selectorELNS0_4arch9wavefront6targetE1EEEvT1_
; %bb.0:
	.section	.rodata,"a",@progbits
	.p2align	6, 0x0
	.amdhsa_kernel _ZN7rocprim17ROCPRIM_400000_NS6detail17trampoline_kernelINS0_14default_configENS1_20scan_config_selectorIjEEZZNS1_9scan_implILNS1_25lookback_scan_determinismE0ELb0ELb0ES3_N6thrust23THRUST_200600_302600_NS6detail15normal_iteratorINS9_10device_ptrIjEEEESE_j11max_functorIjEjEEDaPvRmT3_T4_T5_mT6_P12ihipStream_tbENKUlT_T0_E_clISt17integral_constantIbLb1EESU_EEDaSP_SQ_EUlSP_E0_NS1_11comp_targetILNS1_3genE8ELNS1_11target_archE1030ELNS1_3gpuE2ELNS1_3repE0EEENS1_30default_config_static_selectorELNS0_4arch9wavefront6targetE1EEEvT1_
		.amdhsa_group_segment_fixed_size 0
		.amdhsa_private_segment_fixed_size 0
		.amdhsa_kernarg_size 32
		.amdhsa_user_sgpr_count 6
		.amdhsa_user_sgpr_private_segment_buffer 1
		.amdhsa_user_sgpr_dispatch_ptr 0
		.amdhsa_user_sgpr_queue_ptr 0
		.amdhsa_user_sgpr_kernarg_segment_ptr 1
		.amdhsa_user_sgpr_dispatch_id 0
		.amdhsa_user_sgpr_flat_scratch_init 0
		.amdhsa_user_sgpr_kernarg_preload_length 0
		.amdhsa_user_sgpr_kernarg_preload_offset 0
		.amdhsa_user_sgpr_private_segment_size 0
		.amdhsa_uses_dynamic_stack 0
		.amdhsa_system_sgpr_private_segment_wavefront_offset 0
		.amdhsa_system_sgpr_workgroup_id_x 1
		.amdhsa_system_sgpr_workgroup_id_y 0
		.amdhsa_system_sgpr_workgroup_id_z 0
		.amdhsa_system_sgpr_workgroup_info 0
		.amdhsa_system_vgpr_workitem_id 0
		.amdhsa_next_free_vgpr 1
		.amdhsa_next_free_sgpr 0
		.amdhsa_accum_offset 4
		.amdhsa_reserve_vcc 0
		.amdhsa_reserve_flat_scratch 0
		.amdhsa_float_round_mode_32 0
		.amdhsa_float_round_mode_16_64 0
		.amdhsa_float_denorm_mode_32 3
		.amdhsa_float_denorm_mode_16_64 3
		.amdhsa_dx10_clamp 1
		.amdhsa_ieee_mode 1
		.amdhsa_fp16_overflow 0
		.amdhsa_tg_split 0
		.amdhsa_exception_fp_ieee_invalid_op 0
		.amdhsa_exception_fp_denorm_src 0
		.amdhsa_exception_fp_ieee_div_zero 0
		.amdhsa_exception_fp_ieee_overflow 0
		.amdhsa_exception_fp_ieee_underflow 0
		.amdhsa_exception_fp_ieee_inexact 0
		.amdhsa_exception_int_div_zero 0
	.end_amdhsa_kernel
	.section	.text._ZN7rocprim17ROCPRIM_400000_NS6detail17trampoline_kernelINS0_14default_configENS1_20scan_config_selectorIjEEZZNS1_9scan_implILNS1_25lookback_scan_determinismE0ELb0ELb0ES3_N6thrust23THRUST_200600_302600_NS6detail15normal_iteratorINS9_10device_ptrIjEEEESE_j11max_functorIjEjEEDaPvRmT3_T4_T5_mT6_P12ihipStream_tbENKUlT_T0_E_clISt17integral_constantIbLb1EESU_EEDaSP_SQ_EUlSP_E0_NS1_11comp_targetILNS1_3genE8ELNS1_11target_archE1030ELNS1_3gpuE2ELNS1_3repE0EEENS1_30default_config_static_selectorELNS0_4arch9wavefront6targetE1EEEvT1_,"axG",@progbits,_ZN7rocprim17ROCPRIM_400000_NS6detail17trampoline_kernelINS0_14default_configENS1_20scan_config_selectorIjEEZZNS1_9scan_implILNS1_25lookback_scan_determinismE0ELb0ELb0ES3_N6thrust23THRUST_200600_302600_NS6detail15normal_iteratorINS9_10device_ptrIjEEEESE_j11max_functorIjEjEEDaPvRmT3_T4_T5_mT6_P12ihipStream_tbENKUlT_T0_E_clISt17integral_constantIbLb1EESU_EEDaSP_SQ_EUlSP_E0_NS1_11comp_targetILNS1_3genE8ELNS1_11target_archE1030ELNS1_3gpuE2ELNS1_3repE0EEENS1_30default_config_static_selectorELNS0_4arch9wavefront6targetE1EEEvT1_,comdat
.Lfunc_end2290:
	.size	_ZN7rocprim17ROCPRIM_400000_NS6detail17trampoline_kernelINS0_14default_configENS1_20scan_config_selectorIjEEZZNS1_9scan_implILNS1_25lookback_scan_determinismE0ELb0ELb0ES3_N6thrust23THRUST_200600_302600_NS6detail15normal_iteratorINS9_10device_ptrIjEEEESE_j11max_functorIjEjEEDaPvRmT3_T4_T5_mT6_P12ihipStream_tbENKUlT_T0_E_clISt17integral_constantIbLb1EESU_EEDaSP_SQ_EUlSP_E0_NS1_11comp_targetILNS1_3genE8ELNS1_11target_archE1030ELNS1_3gpuE2ELNS1_3repE0EEENS1_30default_config_static_selectorELNS0_4arch9wavefront6targetE1EEEvT1_, .Lfunc_end2290-_ZN7rocprim17ROCPRIM_400000_NS6detail17trampoline_kernelINS0_14default_configENS1_20scan_config_selectorIjEEZZNS1_9scan_implILNS1_25lookback_scan_determinismE0ELb0ELb0ES3_N6thrust23THRUST_200600_302600_NS6detail15normal_iteratorINS9_10device_ptrIjEEEESE_j11max_functorIjEjEEDaPvRmT3_T4_T5_mT6_P12ihipStream_tbENKUlT_T0_E_clISt17integral_constantIbLb1EESU_EEDaSP_SQ_EUlSP_E0_NS1_11comp_targetILNS1_3genE8ELNS1_11target_archE1030ELNS1_3gpuE2ELNS1_3repE0EEENS1_30default_config_static_selectorELNS0_4arch9wavefront6targetE1EEEvT1_
                                        ; -- End function
	.section	.AMDGPU.csdata,"",@progbits
; Kernel info:
; codeLenInByte = 0
; NumSgprs: 4
; NumVgprs: 0
; NumAgprs: 0
; TotalNumVgprs: 0
; ScratchSize: 0
; MemoryBound: 0
; FloatMode: 240
; IeeeMode: 1
; LDSByteSize: 0 bytes/workgroup (compile time only)
; SGPRBlocks: 0
; VGPRBlocks: 0
; NumSGPRsForWavesPerEU: 4
; NumVGPRsForWavesPerEU: 1
; AccumOffset: 4
; Occupancy: 8
; WaveLimiterHint : 0
; COMPUTE_PGM_RSRC2:SCRATCH_EN: 0
; COMPUTE_PGM_RSRC2:USER_SGPR: 6
; COMPUTE_PGM_RSRC2:TRAP_HANDLER: 0
; COMPUTE_PGM_RSRC2:TGID_X_EN: 1
; COMPUTE_PGM_RSRC2:TGID_Y_EN: 0
; COMPUTE_PGM_RSRC2:TGID_Z_EN: 0
; COMPUTE_PGM_RSRC2:TIDIG_COMP_CNT: 0
; COMPUTE_PGM_RSRC3_GFX90A:ACCUM_OFFSET: 0
; COMPUTE_PGM_RSRC3_GFX90A:TG_SPLIT: 0
	.section	.text._ZN7rocprim17ROCPRIM_400000_NS6detail31init_lookback_scan_state_kernelINS1_19lookback_scan_stateIjLb1ELb1EEENS1_16block_id_wrapperIjLb0EEEEEvT_jT0_jPNS7_10value_typeE,"axG",@progbits,_ZN7rocprim17ROCPRIM_400000_NS6detail31init_lookback_scan_state_kernelINS1_19lookback_scan_stateIjLb1ELb1EEENS1_16block_id_wrapperIjLb0EEEEEvT_jT0_jPNS7_10value_typeE,comdat
	.protected	_ZN7rocprim17ROCPRIM_400000_NS6detail31init_lookback_scan_state_kernelINS1_19lookback_scan_stateIjLb1ELb1EEENS1_16block_id_wrapperIjLb0EEEEEvT_jT0_jPNS7_10value_typeE ; -- Begin function _ZN7rocprim17ROCPRIM_400000_NS6detail31init_lookback_scan_state_kernelINS1_19lookback_scan_stateIjLb1ELb1EEENS1_16block_id_wrapperIjLb0EEEEEvT_jT0_jPNS7_10value_typeE
	.globl	_ZN7rocprim17ROCPRIM_400000_NS6detail31init_lookback_scan_state_kernelINS1_19lookback_scan_stateIjLb1ELb1EEENS1_16block_id_wrapperIjLb0EEEEEvT_jT0_jPNS7_10value_typeE
	.p2align	8
	.type	_ZN7rocprim17ROCPRIM_400000_NS6detail31init_lookback_scan_state_kernelINS1_19lookback_scan_stateIjLb1ELb1EEENS1_16block_id_wrapperIjLb0EEEEEvT_jT0_jPNS7_10value_typeE,@function
_ZN7rocprim17ROCPRIM_400000_NS6detail31init_lookback_scan_state_kernelINS1_19lookback_scan_stateIjLb1ELb1EEENS1_16block_id_wrapperIjLb0EEEEEvT_jT0_jPNS7_10value_typeE: ; @_ZN7rocprim17ROCPRIM_400000_NS6detail31init_lookback_scan_state_kernelINS1_19lookback_scan_stateIjLb1ELb1EEENS1_16block_id_wrapperIjLb0EEEEEvT_jT0_jPNS7_10value_typeE
; %bb.0:
	s_load_dword s7, s[4:5], 0x2c
	s_load_dwordx2 s[2:3], s[4:5], 0x18
	s_load_dwordx2 s[0:1], s[4:5], 0x0
	s_load_dword s8, s[4:5], 0x8
	s_waitcnt lgkmcnt(0)
	s_and_b32 s7, s7, 0xffff
	s_mul_i32 s6, s6, s7
	s_cmp_eq_u64 s[2:3], 0
	v_add_u32_e32 v0, s6, v0
	s_cbranch_scc1 .LBB2291_9
; %bb.1:
	s_load_dword s6, s[4:5], 0x10
	s_mov_b32 s7, 0
	s_waitcnt lgkmcnt(0)
	s_cmp_lt_u32 s6, s8
	s_cselect_b32 s4, s6, 0
	v_cmp_eq_u32_e32 vcc, s4, v0
	s_and_saveexec_b64 s[4:5], vcc
	s_cbranch_execz .LBB2291_8
; %bb.2:
	s_add_i32 s6, s6, 64
	s_lshl_b64 s[6:7], s[6:7], 3
	s_add_u32 s6, s0, s6
	s_addc_u32 s7, s1, s7
	v_mov_b32_e32 v2, 0
	global_load_dwordx2 v[4:5], v2, s[6:7] glc
	s_waitcnt vmcnt(0)
	v_and_b32_e32 v3, 0xff, v5
	v_cmp_ne_u64_e32 vcc, 0, v[2:3]
	s_cbranch_vccnz .LBB2291_7
; %bb.3:
	s_mov_b32 s9, 1
.LBB2291_4:                             ; =>This Loop Header: Depth=1
                                        ;     Child Loop BB2291_5 Depth 2
	s_max_u32 s10, s9, 1
.LBB2291_5:                             ;   Parent Loop BB2291_4 Depth=1
                                        ; =>  This Inner Loop Header: Depth=2
	s_add_i32 s10, s10, -1
	s_cmp_eq_u32 s10, 0
	s_sleep 1
	s_cbranch_scc0 .LBB2291_5
; %bb.6:                                ;   in Loop: Header=BB2291_4 Depth=1
	global_load_dwordx2 v[4:5], v2, s[6:7] glc
	s_cmp_lt_u32 s9, 32
	s_cselect_b64 s[10:11], -1, 0
	s_cmp_lg_u64 s[10:11], 0
	s_addc_u32 s9, s9, 0
	s_waitcnt vmcnt(0)
	v_and_b32_e32 v3, 0xff, v5
	v_cmp_ne_u64_e32 vcc, 0, v[2:3]
	s_cbranch_vccz .LBB2291_4
.LBB2291_7:
	v_mov_b32_e32 v1, 0
	global_store_dword v1, v4, s[2:3]
.LBB2291_8:
	s_or_b64 exec, exec, s[4:5]
.LBB2291_9:
	v_cmp_gt_u32_e32 vcc, s8, v0
	s_and_saveexec_b64 s[2:3], vcc
	s_cbranch_execnz .LBB2291_12
; %bb.10:
	s_or_b64 exec, exec, s[2:3]
	v_cmp_gt_u32_e32 vcc, 64, v0
	s_and_saveexec_b64 s[2:3], vcc
	s_cbranch_execnz .LBB2291_13
.LBB2291_11:
	s_endpgm
.LBB2291_12:
	v_add_u32_e32 v2, 64, v0
	v_mov_b32_e32 v3, 0
	v_lshlrev_b64 v[4:5], 3, v[2:3]
	v_mov_b32_e32 v1, s1
	v_add_co_u32_e32 v4, vcc, s0, v4
	v_addc_co_u32_e32 v5, vcc, v1, v5, vcc
	v_mov_b32_e32 v2, v3
	global_store_dwordx2 v[4:5], v[2:3], off
	s_or_b64 exec, exec, s[2:3]
	v_cmp_gt_u32_e32 vcc, 64, v0
	s_and_saveexec_b64 s[2:3], vcc
	s_cbranch_execz .LBB2291_11
.LBB2291_13:
	v_mov_b32_e32 v1, 0
	v_lshlrev_b64 v[2:3], 3, v[0:1]
	v_mov_b32_e32 v0, s1
	v_add_co_u32_e32 v2, vcc, s0, v2
	v_addc_co_u32_e32 v3, vcc, v0, v3, vcc
	v_mov_b32_e32 v5, 0xff
	v_mov_b32_e32 v4, v1
	global_store_dwordx2 v[2:3], v[4:5], off
	s_endpgm
	.section	.rodata,"a",@progbits
	.p2align	6, 0x0
	.amdhsa_kernel _ZN7rocprim17ROCPRIM_400000_NS6detail31init_lookback_scan_state_kernelINS1_19lookback_scan_stateIjLb1ELb1EEENS1_16block_id_wrapperIjLb0EEEEEvT_jT0_jPNS7_10value_typeE
		.amdhsa_group_segment_fixed_size 0
		.amdhsa_private_segment_fixed_size 0
		.amdhsa_kernarg_size 288
		.amdhsa_user_sgpr_count 6
		.amdhsa_user_sgpr_private_segment_buffer 1
		.amdhsa_user_sgpr_dispatch_ptr 0
		.amdhsa_user_sgpr_queue_ptr 0
		.amdhsa_user_sgpr_kernarg_segment_ptr 1
		.amdhsa_user_sgpr_dispatch_id 0
		.amdhsa_user_sgpr_flat_scratch_init 0
		.amdhsa_user_sgpr_kernarg_preload_length 0
		.amdhsa_user_sgpr_kernarg_preload_offset 0
		.amdhsa_user_sgpr_private_segment_size 0
		.amdhsa_uses_dynamic_stack 0
		.amdhsa_system_sgpr_private_segment_wavefront_offset 0
		.amdhsa_system_sgpr_workgroup_id_x 1
		.amdhsa_system_sgpr_workgroup_id_y 0
		.amdhsa_system_sgpr_workgroup_id_z 0
		.amdhsa_system_sgpr_workgroup_info 0
		.amdhsa_system_vgpr_workitem_id 0
		.amdhsa_next_free_vgpr 6
		.amdhsa_next_free_sgpr 12
		.amdhsa_accum_offset 8
		.amdhsa_reserve_vcc 1
		.amdhsa_reserve_flat_scratch 0
		.amdhsa_float_round_mode_32 0
		.amdhsa_float_round_mode_16_64 0
		.amdhsa_float_denorm_mode_32 3
		.amdhsa_float_denorm_mode_16_64 3
		.amdhsa_dx10_clamp 1
		.amdhsa_ieee_mode 1
		.amdhsa_fp16_overflow 0
		.amdhsa_tg_split 0
		.amdhsa_exception_fp_ieee_invalid_op 0
		.amdhsa_exception_fp_denorm_src 0
		.amdhsa_exception_fp_ieee_div_zero 0
		.amdhsa_exception_fp_ieee_overflow 0
		.amdhsa_exception_fp_ieee_underflow 0
		.amdhsa_exception_fp_ieee_inexact 0
		.amdhsa_exception_int_div_zero 0
	.end_amdhsa_kernel
	.section	.text._ZN7rocprim17ROCPRIM_400000_NS6detail31init_lookback_scan_state_kernelINS1_19lookback_scan_stateIjLb1ELb1EEENS1_16block_id_wrapperIjLb0EEEEEvT_jT0_jPNS7_10value_typeE,"axG",@progbits,_ZN7rocprim17ROCPRIM_400000_NS6detail31init_lookback_scan_state_kernelINS1_19lookback_scan_stateIjLb1ELb1EEENS1_16block_id_wrapperIjLb0EEEEEvT_jT0_jPNS7_10value_typeE,comdat
.Lfunc_end2291:
	.size	_ZN7rocprim17ROCPRIM_400000_NS6detail31init_lookback_scan_state_kernelINS1_19lookback_scan_stateIjLb1ELb1EEENS1_16block_id_wrapperIjLb0EEEEEvT_jT0_jPNS7_10value_typeE, .Lfunc_end2291-_ZN7rocprim17ROCPRIM_400000_NS6detail31init_lookback_scan_state_kernelINS1_19lookback_scan_stateIjLb1ELb1EEENS1_16block_id_wrapperIjLb0EEEEEvT_jT0_jPNS7_10value_typeE
                                        ; -- End function
	.section	.AMDGPU.csdata,"",@progbits
; Kernel info:
; codeLenInByte = 364
; NumSgprs: 16
; NumVgprs: 6
; NumAgprs: 0
; TotalNumVgprs: 6
; ScratchSize: 0
; MemoryBound: 0
; FloatMode: 240
; IeeeMode: 1
; LDSByteSize: 0 bytes/workgroup (compile time only)
; SGPRBlocks: 1
; VGPRBlocks: 0
; NumSGPRsForWavesPerEU: 16
; NumVGPRsForWavesPerEU: 6
; AccumOffset: 8
; Occupancy: 8
; WaveLimiterHint : 0
; COMPUTE_PGM_RSRC2:SCRATCH_EN: 0
; COMPUTE_PGM_RSRC2:USER_SGPR: 6
; COMPUTE_PGM_RSRC2:TRAP_HANDLER: 0
; COMPUTE_PGM_RSRC2:TGID_X_EN: 1
; COMPUTE_PGM_RSRC2:TGID_Y_EN: 0
; COMPUTE_PGM_RSRC2:TGID_Z_EN: 0
; COMPUTE_PGM_RSRC2:TIDIG_COMP_CNT: 0
; COMPUTE_PGM_RSRC3_GFX90A:ACCUM_OFFSET: 1
; COMPUTE_PGM_RSRC3_GFX90A:TG_SPLIT: 0
	.section	.text._ZN7rocprim17ROCPRIM_400000_NS6detail17trampoline_kernelINS0_14default_configENS1_20scan_config_selectorIjEEZZNS1_9scan_implILNS1_25lookback_scan_determinismE0ELb0ELb0ES3_N6thrust23THRUST_200600_302600_NS6detail15normal_iteratorINS9_10device_ptrIjEEEESE_j11max_functorIjEjEEDaPvRmT3_T4_T5_mT6_P12ihipStream_tbENKUlT_T0_E_clISt17integral_constantIbLb1EEST_IbLb0EEEEDaSP_SQ_EUlSP_E_NS1_11comp_targetILNS1_3genE0ELNS1_11target_archE4294967295ELNS1_3gpuE0ELNS1_3repE0EEENS1_30default_config_static_selectorELNS0_4arch9wavefront6targetE1EEEvT1_,"axG",@progbits,_ZN7rocprim17ROCPRIM_400000_NS6detail17trampoline_kernelINS0_14default_configENS1_20scan_config_selectorIjEEZZNS1_9scan_implILNS1_25lookback_scan_determinismE0ELb0ELb0ES3_N6thrust23THRUST_200600_302600_NS6detail15normal_iteratorINS9_10device_ptrIjEEEESE_j11max_functorIjEjEEDaPvRmT3_T4_T5_mT6_P12ihipStream_tbENKUlT_T0_E_clISt17integral_constantIbLb1EEST_IbLb0EEEEDaSP_SQ_EUlSP_E_NS1_11comp_targetILNS1_3genE0ELNS1_11target_archE4294967295ELNS1_3gpuE0ELNS1_3repE0EEENS1_30default_config_static_selectorELNS0_4arch9wavefront6targetE1EEEvT1_,comdat
	.protected	_ZN7rocprim17ROCPRIM_400000_NS6detail17trampoline_kernelINS0_14default_configENS1_20scan_config_selectorIjEEZZNS1_9scan_implILNS1_25lookback_scan_determinismE0ELb0ELb0ES3_N6thrust23THRUST_200600_302600_NS6detail15normal_iteratorINS9_10device_ptrIjEEEESE_j11max_functorIjEjEEDaPvRmT3_T4_T5_mT6_P12ihipStream_tbENKUlT_T0_E_clISt17integral_constantIbLb1EEST_IbLb0EEEEDaSP_SQ_EUlSP_E_NS1_11comp_targetILNS1_3genE0ELNS1_11target_archE4294967295ELNS1_3gpuE0ELNS1_3repE0EEENS1_30default_config_static_selectorELNS0_4arch9wavefront6targetE1EEEvT1_ ; -- Begin function _ZN7rocprim17ROCPRIM_400000_NS6detail17trampoline_kernelINS0_14default_configENS1_20scan_config_selectorIjEEZZNS1_9scan_implILNS1_25lookback_scan_determinismE0ELb0ELb0ES3_N6thrust23THRUST_200600_302600_NS6detail15normal_iteratorINS9_10device_ptrIjEEEESE_j11max_functorIjEjEEDaPvRmT3_T4_T5_mT6_P12ihipStream_tbENKUlT_T0_E_clISt17integral_constantIbLb1EEST_IbLb0EEEEDaSP_SQ_EUlSP_E_NS1_11comp_targetILNS1_3genE0ELNS1_11target_archE4294967295ELNS1_3gpuE0ELNS1_3repE0EEENS1_30default_config_static_selectorELNS0_4arch9wavefront6targetE1EEEvT1_
	.globl	_ZN7rocprim17ROCPRIM_400000_NS6detail17trampoline_kernelINS0_14default_configENS1_20scan_config_selectorIjEEZZNS1_9scan_implILNS1_25lookback_scan_determinismE0ELb0ELb0ES3_N6thrust23THRUST_200600_302600_NS6detail15normal_iteratorINS9_10device_ptrIjEEEESE_j11max_functorIjEjEEDaPvRmT3_T4_T5_mT6_P12ihipStream_tbENKUlT_T0_E_clISt17integral_constantIbLb1EEST_IbLb0EEEEDaSP_SQ_EUlSP_E_NS1_11comp_targetILNS1_3genE0ELNS1_11target_archE4294967295ELNS1_3gpuE0ELNS1_3repE0EEENS1_30default_config_static_selectorELNS0_4arch9wavefront6targetE1EEEvT1_
	.p2align	8
	.type	_ZN7rocprim17ROCPRIM_400000_NS6detail17trampoline_kernelINS0_14default_configENS1_20scan_config_selectorIjEEZZNS1_9scan_implILNS1_25lookback_scan_determinismE0ELb0ELb0ES3_N6thrust23THRUST_200600_302600_NS6detail15normal_iteratorINS9_10device_ptrIjEEEESE_j11max_functorIjEjEEDaPvRmT3_T4_T5_mT6_P12ihipStream_tbENKUlT_T0_E_clISt17integral_constantIbLb1EEST_IbLb0EEEEDaSP_SQ_EUlSP_E_NS1_11comp_targetILNS1_3genE0ELNS1_11target_archE4294967295ELNS1_3gpuE0ELNS1_3repE0EEENS1_30default_config_static_selectorELNS0_4arch9wavefront6targetE1EEEvT1_,@function
_ZN7rocprim17ROCPRIM_400000_NS6detail17trampoline_kernelINS0_14default_configENS1_20scan_config_selectorIjEEZZNS1_9scan_implILNS1_25lookback_scan_determinismE0ELb0ELb0ES3_N6thrust23THRUST_200600_302600_NS6detail15normal_iteratorINS9_10device_ptrIjEEEESE_j11max_functorIjEjEEDaPvRmT3_T4_T5_mT6_P12ihipStream_tbENKUlT_T0_E_clISt17integral_constantIbLb1EEST_IbLb0EEEEDaSP_SQ_EUlSP_E_NS1_11comp_targetILNS1_3genE0ELNS1_11target_archE4294967295ELNS1_3gpuE0ELNS1_3repE0EEENS1_30default_config_static_selectorELNS0_4arch9wavefront6targetE1EEEvT1_: ; @_ZN7rocprim17ROCPRIM_400000_NS6detail17trampoline_kernelINS0_14default_configENS1_20scan_config_selectorIjEEZZNS1_9scan_implILNS1_25lookback_scan_determinismE0ELb0ELb0ES3_N6thrust23THRUST_200600_302600_NS6detail15normal_iteratorINS9_10device_ptrIjEEEESE_j11max_functorIjEjEEDaPvRmT3_T4_T5_mT6_P12ihipStream_tbENKUlT_T0_E_clISt17integral_constantIbLb1EEST_IbLb0EEEEDaSP_SQ_EUlSP_E_NS1_11comp_targetILNS1_3genE0ELNS1_11target_archE4294967295ELNS1_3gpuE0ELNS1_3repE0EEENS1_30default_config_static_selectorELNS0_4arch9wavefront6targetE1EEEvT1_
; %bb.0:
	.section	.rodata,"a",@progbits
	.p2align	6, 0x0
	.amdhsa_kernel _ZN7rocprim17ROCPRIM_400000_NS6detail17trampoline_kernelINS0_14default_configENS1_20scan_config_selectorIjEEZZNS1_9scan_implILNS1_25lookback_scan_determinismE0ELb0ELb0ES3_N6thrust23THRUST_200600_302600_NS6detail15normal_iteratorINS9_10device_ptrIjEEEESE_j11max_functorIjEjEEDaPvRmT3_T4_T5_mT6_P12ihipStream_tbENKUlT_T0_E_clISt17integral_constantIbLb1EEST_IbLb0EEEEDaSP_SQ_EUlSP_E_NS1_11comp_targetILNS1_3genE0ELNS1_11target_archE4294967295ELNS1_3gpuE0ELNS1_3repE0EEENS1_30default_config_static_selectorELNS0_4arch9wavefront6targetE1EEEvT1_
		.amdhsa_group_segment_fixed_size 0
		.amdhsa_private_segment_fixed_size 0
		.amdhsa_kernarg_size 96
		.amdhsa_user_sgpr_count 6
		.amdhsa_user_sgpr_private_segment_buffer 1
		.amdhsa_user_sgpr_dispatch_ptr 0
		.amdhsa_user_sgpr_queue_ptr 0
		.amdhsa_user_sgpr_kernarg_segment_ptr 1
		.amdhsa_user_sgpr_dispatch_id 0
		.amdhsa_user_sgpr_flat_scratch_init 0
		.amdhsa_user_sgpr_kernarg_preload_length 0
		.amdhsa_user_sgpr_kernarg_preload_offset 0
		.amdhsa_user_sgpr_private_segment_size 0
		.amdhsa_uses_dynamic_stack 0
		.amdhsa_system_sgpr_private_segment_wavefront_offset 0
		.amdhsa_system_sgpr_workgroup_id_x 1
		.amdhsa_system_sgpr_workgroup_id_y 0
		.amdhsa_system_sgpr_workgroup_id_z 0
		.amdhsa_system_sgpr_workgroup_info 0
		.amdhsa_system_vgpr_workitem_id 0
		.amdhsa_next_free_vgpr 1
		.amdhsa_next_free_sgpr 0
		.amdhsa_accum_offset 4
		.amdhsa_reserve_vcc 0
		.amdhsa_reserve_flat_scratch 0
		.amdhsa_float_round_mode_32 0
		.amdhsa_float_round_mode_16_64 0
		.amdhsa_float_denorm_mode_32 3
		.amdhsa_float_denorm_mode_16_64 3
		.amdhsa_dx10_clamp 1
		.amdhsa_ieee_mode 1
		.amdhsa_fp16_overflow 0
		.amdhsa_tg_split 0
		.amdhsa_exception_fp_ieee_invalid_op 0
		.amdhsa_exception_fp_denorm_src 0
		.amdhsa_exception_fp_ieee_div_zero 0
		.amdhsa_exception_fp_ieee_overflow 0
		.amdhsa_exception_fp_ieee_underflow 0
		.amdhsa_exception_fp_ieee_inexact 0
		.amdhsa_exception_int_div_zero 0
	.end_amdhsa_kernel
	.section	.text._ZN7rocprim17ROCPRIM_400000_NS6detail17trampoline_kernelINS0_14default_configENS1_20scan_config_selectorIjEEZZNS1_9scan_implILNS1_25lookback_scan_determinismE0ELb0ELb0ES3_N6thrust23THRUST_200600_302600_NS6detail15normal_iteratorINS9_10device_ptrIjEEEESE_j11max_functorIjEjEEDaPvRmT3_T4_T5_mT6_P12ihipStream_tbENKUlT_T0_E_clISt17integral_constantIbLb1EEST_IbLb0EEEEDaSP_SQ_EUlSP_E_NS1_11comp_targetILNS1_3genE0ELNS1_11target_archE4294967295ELNS1_3gpuE0ELNS1_3repE0EEENS1_30default_config_static_selectorELNS0_4arch9wavefront6targetE1EEEvT1_,"axG",@progbits,_ZN7rocprim17ROCPRIM_400000_NS6detail17trampoline_kernelINS0_14default_configENS1_20scan_config_selectorIjEEZZNS1_9scan_implILNS1_25lookback_scan_determinismE0ELb0ELb0ES3_N6thrust23THRUST_200600_302600_NS6detail15normal_iteratorINS9_10device_ptrIjEEEESE_j11max_functorIjEjEEDaPvRmT3_T4_T5_mT6_P12ihipStream_tbENKUlT_T0_E_clISt17integral_constantIbLb1EEST_IbLb0EEEEDaSP_SQ_EUlSP_E_NS1_11comp_targetILNS1_3genE0ELNS1_11target_archE4294967295ELNS1_3gpuE0ELNS1_3repE0EEENS1_30default_config_static_selectorELNS0_4arch9wavefront6targetE1EEEvT1_,comdat
.Lfunc_end2292:
	.size	_ZN7rocprim17ROCPRIM_400000_NS6detail17trampoline_kernelINS0_14default_configENS1_20scan_config_selectorIjEEZZNS1_9scan_implILNS1_25lookback_scan_determinismE0ELb0ELb0ES3_N6thrust23THRUST_200600_302600_NS6detail15normal_iteratorINS9_10device_ptrIjEEEESE_j11max_functorIjEjEEDaPvRmT3_T4_T5_mT6_P12ihipStream_tbENKUlT_T0_E_clISt17integral_constantIbLb1EEST_IbLb0EEEEDaSP_SQ_EUlSP_E_NS1_11comp_targetILNS1_3genE0ELNS1_11target_archE4294967295ELNS1_3gpuE0ELNS1_3repE0EEENS1_30default_config_static_selectorELNS0_4arch9wavefront6targetE1EEEvT1_, .Lfunc_end2292-_ZN7rocprim17ROCPRIM_400000_NS6detail17trampoline_kernelINS0_14default_configENS1_20scan_config_selectorIjEEZZNS1_9scan_implILNS1_25lookback_scan_determinismE0ELb0ELb0ES3_N6thrust23THRUST_200600_302600_NS6detail15normal_iteratorINS9_10device_ptrIjEEEESE_j11max_functorIjEjEEDaPvRmT3_T4_T5_mT6_P12ihipStream_tbENKUlT_T0_E_clISt17integral_constantIbLb1EEST_IbLb0EEEEDaSP_SQ_EUlSP_E_NS1_11comp_targetILNS1_3genE0ELNS1_11target_archE4294967295ELNS1_3gpuE0ELNS1_3repE0EEENS1_30default_config_static_selectorELNS0_4arch9wavefront6targetE1EEEvT1_
                                        ; -- End function
	.section	.AMDGPU.csdata,"",@progbits
; Kernel info:
; codeLenInByte = 0
; NumSgprs: 4
; NumVgprs: 0
; NumAgprs: 0
; TotalNumVgprs: 0
; ScratchSize: 0
; MemoryBound: 0
; FloatMode: 240
; IeeeMode: 1
; LDSByteSize: 0 bytes/workgroup (compile time only)
; SGPRBlocks: 0
; VGPRBlocks: 0
; NumSGPRsForWavesPerEU: 4
; NumVGPRsForWavesPerEU: 1
; AccumOffset: 4
; Occupancy: 8
; WaveLimiterHint : 0
; COMPUTE_PGM_RSRC2:SCRATCH_EN: 0
; COMPUTE_PGM_RSRC2:USER_SGPR: 6
; COMPUTE_PGM_RSRC2:TRAP_HANDLER: 0
; COMPUTE_PGM_RSRC2:TGID_X_EN: 1
; COMPUTE_PGM_RSRC2:TGID_Y_EN: 0
; COMPUTE_PGM_RSRC2:TGID_Z_EN: 0
; COMPUTE_PGM_RSRC2:TIDIG_COMP_CNT: 0
; COMPUTE_PGM_RSRC3_GFX90A:ACCUM_OFFSET: 0
; COMPUTE_PGM_RSRC3_GFX90A:TG_SPLIT: 0
	.section	.text._ZN7rocprim17ROCPRIM_400000_NS6detail17trampoline_kernelINS0_14default_configENS1_20scan_config_selectorIjEEZZNS1_9scan_implILNS1_25lookback_scan_determinismE0ELb0ELb0ES3_N6thrust23THRUST_200600_302600_NS6detail15normal_iteratorINS9_10device_ptrIjEEEESE_j11max_functorIjEjEEDaPvRmT3_T4_T5_mT6_P12ihipStream_tbENKUlT_T0_E_clISt17integral_constantIbLb1EEST_IbLb0EEEEDaSP_SQ_EUlSP_E_NS1_11comp_targetILNS1_3genE5ELNS1_11target_archE942ELNS1_3gpuE9ELNS1_3repE0EEENS1_30default_config_static_selectorELNS0_4arch9wavefront6targetE1EEEvT1_,"axG",@progbits,_ZN7rocprim17ROCPRIM_400000_NS6detail17trampoline_kernelINS0_14default_configENS1_20scan_config_selectorIjEEZZNS1_9scan_implILNS1_25lookback_scan_determinismE0ELb0ELb0ES3_N6thrust23THRUST_200600_302600_NS6detail15normal_iteratorINS9_10device_ptrIjEEEESE_j11max_functorIjEjEEDaPvRmT3_T4_T5_mT6_P12ihipStream_tbENKUlT_T0_E_clISt17integral_constantIbLb1EEST_IbLb0EEEEDaSP_SQ_EUlSP_E_NS1_11comp_targetILNS1_3genE5ELNS1_11target_archE942ELNS1_3gpuE9ELNS1_3repE0EEENS1_30default_config_static_selectorELNS0_4arch9wavefront6targetE1EEEvT1_,comdat
	.protected	_ZN7rocprim17ROCPRIM_400000_NS6detail17trampoline_kernelINS0_14default_configENS1_20scan_config_selectorIjEEZZNS1_9scan_implILNS1_25lookback_scan_determinismE0ELb0ELb0ES3_N6thrust23THRUST_200600_302600_NS6detail15normal_iteratorINS9_10device_ptrIjEEEESE_j11max_functorIjEjEEDaPvRmT3_T4_T5_mT6_P12ihipStream_tbENKUlT_T0_E_clISt17integral_constantIbLb1EEST_IbLb0EEEEDaSP_SQ_EUlSP_E_NS1_11comp_targetILNS1_3genE5ELNS1_11target_archE942ELNS1_3gpuE9ELNS1_3repE0EEENS1_30default_config_static_selectorELNS0_4arch9wavefront6targetE1EEEvT1_ ; -- Begin function _ZN7rocprim17ROCPRIM_400000_NS6detail17trampoline_kernelINS0_14default_configENS1_20scan_config_selectorIjEEZZNS1_9scan_implILNS1_25lookback_scan_determinismE0ELb0ELb0ES3_N6thrust23THRUST_200600_302600_NS6detail15normal_iteratorINS9_10device_ptrIjEEEESE_j11max_functorIjEjEEDaPvRmT3_T4_T5_mT6_P12ihipStream_tbENKUlT_T0_E_clISt17integral_constantIbLb1EEST_IbLb0EEEEDaSP_SQ_EUlSP_E_NS1_11comp_targetILNS1_3genE5ELNS1_11target_archE942ELNS1_3gpuE9ELNS1_3repE0EEENS1_30default_config_static_selectorELNS0_4arch9wavefront6targetE1EEEvT1_
	.globl	_ZN7rocprim17ROCPRIM_400000_NS6detail17trampoline_kernelINS0_14default_configENS1_20scan_config_selectorIjEEZZNS1_9scan_implILNS1_25lookback_scan_determinismE0ELb0ELb0ES3_N6thrust23THRUST_200600_302600_NS6detail15normal_iteratorINS9_10device_ptrIjEEEESE_j11max_functorIjEjEEDaPvRmT3_T4_T5_mT6_P12ihipStream_tbENKUlT_T0_E_clISt17integral_constantIbLb1EEST_IbLb0EEEEDaSP_SQ_EUlSP_E_NS1_11comp_targetILNS1_3genE5ELNS1_11target_archE942ELNS1_3gpuE9ELNS1_3repE0EEENS1_30default_config_static_selectorELNS0_4arch9wavefront6targetE1EEEvT1_
	.p2align	8
	.type	_ZN7rocprim17ROCPRIM_400000_NS6detail17trampoline_kernelINS0_14default_configENS1_20scan_config_selectorIjEEZZNS1_9scan_implILNS1_25lookback_scan_determinismE0ELb0ELb0ES3_N6thrust23THRUST_200600_302600_NS6detail15normal_iteratorINS9_10device_ptrIjEEEESE_j11max_functorIjEjEEDaPvRmT3_T4_T5_mT6_P12ihipStream_tbENKUlT_T0_E_clISt17integral_constantIbLb1EEST_IbLb0EEEEDaSP_SQ_EUlSP_E_NS1_11comp_targetILNS1_3genE5ELNS1_11target_archE942ELNS1_3gpuE9ELNS1_3repE0EEENS1_30default_config_static_selectorELNS0_4arch9wavefront6targetE1EEEvT1_,@function
_ZN7rocprim17ROCPRIM_400000_NS6detail17trampoline_kernelINS0_14default_configENS1_20scan_config_selectorIjEEZZNS1_9scan_implILNS1_25lookback_scan_determinismE0ELb0ELb0ES3_N6thrust23THRUST_200600_302600_NS6detail15normal_iteratorINS9_10device_ptrIjEEEESE_j11max_functorIjEjEEDaPvRmT3_T4_T5_mT6_P12ihipStream_tbENKUlT_T0_E_clISt17integral_constantIbLb1EEST_IbLb0EEEEDaSP_SQ_EUlSP_E_NS1_11comp_targetILNS1_3genE5ELNS1_11target_archE942ELNS1_3gpuE9ELNS1_3repE0EEENS1_30default_config_static_selectorELNS0_4arch9wavefront6targetE1EEEvT1_: ; @_ZN7rocprim17ROCPRIM_400000_NS6detail17trampoline_kernelINS0_14default_configENS1_20scan_config_selectorIjEEZZNS1_9scan_implILNS1_25lookback_scan_determinismE0ELb0ELb0ES3_N6thrust23THRUST_200600_302600_NS6detail15normal_iteratorINS9_10device_ptrIjEEEESE_j11max_functorIjEjEEDaPvRmT3_T4_T5_mT6_P12ihipStream_tbENKUlT_T0_E_clISt17integral_constantIbLb1EEST_IbLb0EEEEDaSP_SQ_EUlSP_E_NS1_11comp_targetILNS1_3genE5ELNS1_11target_archE942ELNS1_3gpuE9ELNS1_3repE0EEENS1_30default_config_static_selectorELNS0_4arch9wavefront6targetE1EEEvT1_
; %bb.0:
	.section	.rodata,"a",@progbits
	.p2align	6, 0x0
	.amdhsa_kernel _ZN7rocprim17ROCPRIM_400000_NS6detail17trampoline_kernelINS0_14default_configENS1_20scan_config_selectorIjEEZZNS1_9scan_implILNS1_25lookback_scan_determinismE0ELb0ELb0ES3_N6thrust23THRUST_200600_302600_NS6detail15normal_iteratorINS9_10device_ptrIjEEEESE_j11max_functorIjEjEEDaPvRmT3_T4_T5_mT6_P12ihipStream_tbENKUlT_T0_E_clISt17integral_constantIbLb1EEST_IbLb0EEEEDaSP_SQ_EUlSP_E_NS1_11comp_targetILNS1_3genE5ELNS1_11target_archE942ELNS1_3gpuE9ELNS1_3repE0EEENS1_30default_config_static_selectorELNS0_4arch9wavefront6targetE1EEEvT1_
		.amdhsa_group_segment_fixed_size 0
		.amdhsa_private_segment_fixed_size 0
		.amdhsa_kernarg_size 96
		.amdhsa_user_sgpr_count 6
		.amdhsa_user_sgpr_private_segment_buffer 1
		.amdhsa_user_sgpr_dispatch_ptr 0
		.amdhsa_user_sgpr_queue_ptr 0
		.amdhsa_user_sgpr_kernarg_segment_ptr 1
		.amdhsa_user_sgpr_dispatch_id 0
		.amdhsa_user_sgpr_flat_scratch_init 0
		.amdhsa_user_sgpr_kernarg_preload_length 0
		.amdhsa_user_sgpr_kernarg_preload_offset 0
		.amdhsa_user_sgpr_private_segment_size 0
		.amdhsa_uses_dynamic_stack 0
		.amdhsa_system_sgpr_private_segment_wavefront_offset 0
		.amdhsa_system_sgpr_workgroup_id_x 1
		.amdhsa_system_sgpr_workgroup_id_y 0
		.amdhsa_system_sgpr_workgroup_id_z 0
		.amdhsa_system_sgpr_workgroup_info 0
		.amdhsa_system_vgpr_workitem_id 0
		.amdhsa_next_free_vgpr 1
		.amdhsa_next_free_sgpr 0
		.amdhsa_accum_offset 4
		.amdhsa_reserve_vcc 0
		.amdhsa_reserve_flat_scratch 0
		.amdhsa_float_round_mode_32 0
		.amdhsa_float_round_mode_16_64 0
		.amdhsa_float_denorm_mode_32 3
		.amdhsa_float_denorm_mode_16_64 3
		.amdhsa_dx10_clamp 1
		.amdhsa_ieee_mode 1
		.amdhsa_fp16_overflow 0
		.amdhsa_tg_split 0
		.amdhsa_exception_fp_ieee_invalid_op 0
		.amdhsa_exception_fp_denorm_src 0
		.amdhsa_exception_fp_ieee_div_zero 0
		.amdhsa_exception_fp_ieee_overflow 0
		.amdhsa_exception_fp_ieee_underflow 0
		.amdhsa_exception_fp_ieee_inexact 0
		.amdhsa_exception_int_div_zero 0
	.end_amdhsa_kernel
	.section	.text._ZN7rocprim17ROCPRIM_400000_NS6detail17trampoline_kernelINS0_14default_configENS1_20scan_config_selectorIjEEZZNS1_9scan_implILNS1_25lookback_scan_determinismE0ELb0ELb0ES3_N6thrust23THRUST_200600_302600_NS6detail15normal_iteratorINS9_10device_ptrIjEEEESE_j11max_functorIjEjEEDaPvRmT3_T4_T5_mT6_P12ihipStream_tbENKUlT_T0_E_clISt17integral_constantIbLb1EEST_IbLb0EEEEDaSP_SQ_EUlSP_E_NS1_11comp_targetILNS1_3genE5ELNS1_11target_archE942ELNS1_3gpuE9ELNS1_3repE0EEENS1_30default_config_static_selectorELNS0_4arch9wavefront6targetE1EEEvT1_,"axG",@progbits,_ZN7rocprim17ROCPRIM_400000_NS6detail17trampoline_kernelINS0_14default_configENS1_20scan_config_selectorIjEEZZNS1_9scan_implILNS1_25lookback_scan_determinismE0ELb0ELb0ES3_N6thrust23THRUST_200600_302600_NS6detail15normal_iteratorINS9_10device_ptrIjEEEESE_j11max_functorIjEjEEDaPvRmT3_T4_T5_mT6_P12ihipStream_tbENKUlT_T0_E_clISt17integral_constantIbLb1EEST_IbLb0EEEEDaSP_SQ_EUlSP_E_NS1_11comp_targetILNS1_3genE5ELNS1_11target_archE942ELNS1_3gpuE9ELNS1_3repE0EEENS1_30default_config_static_selectorELNS0_4arch9wavefront6targetE1EEEvT1_,comdat
.Lfunc_end2293:
	.size	_ZN7rocprim17ROCPRIM_400000_NS6detail17trampoline_kernelINS0_14default_configENS1_20scan_config_selectorIjEEZZNS1_9scan_implILNS1_25lookback_scan_determinismE0ELb0ELb0ES3_N6thrust23THRUST_200600_302600_NS6detail15normal_iteratorINS9_10device_ptrIjEEEESE_j11max_functorIjEjEEDaPvRmT3_T4_T5_mT6_P12ihipStream_tbENKUlT_T0_E_clISt17integral_constantIbLb1EEST_IbLb0EEEEDaSP_SQ_EUlSP_E_NS1_11comp_targetILNS1_3genE5ELNS1_11target_archE942ELNS1_3gpuE9ELNS1_3repE0EEENS1_30default_config_static_selectorELNS0_4arch9wavefront6targetE1EEEvT1_, .Lfunc_end2293-_ZN7rocprim17ROCPRIM_400000_NS6detail17trampoline_kernelINS0_14default_configENS1_20scan_config_selectorIjEEZZNS1_9scan_implILNS1_25lookback_scan_determinismE0ELb0ELb0ES3_N6thrust23THRUST_200600_302600_NS6detail15normal_iteratorINS9_10device_ptrIjEEEESE_j11max_functorIjEjEEDaPvRmT3_T4_T5_mT6_P12ihipStream_tbENKUlT_T0_E_clISt17integral_constantIbLb1EEST_IbLb0EEEEDaSP_SQ_EUlSP_E_NS1_11comp_targetILNS1_3genE5ELNS1_11target_archE942ELNS1_3gpuE9ELNS1_3repE0EEENS1_30default_config_static_selectorELNS0_4arch9wavefront6targetE1EEEvT1_
                                        ; -- End function
	.section	.AMDGPU.csdata,"",@progbits
; Kernel info:
; codeLenInByte = 0
; NumSgprs: 4
; NumVgprs: 0
; NumAgprs: 0
; TotalNumVgprs: 0
; ScratchSize: 0
; MemoryBound: 0
; FloatMode: 240
; IeeeMode: 1
; LDSByteSize: 0 bytes/workgroup (compile time only)
; SGPRBlocks: 0
; VGPRBlocks: 0
; NumSGPRsForWavesPerEU: 4
; NumVGPRsForWavesPerEU: 1
; AccumOffset: 4
; Occupancy: 8
; WaveLimiterHint : 0
; COMPUTE_PGM_RSRC2:SCRATCH_EN: 0
; COMPUTE_PGM_RSRC2:USER_SGPR: 6
; COMPUTE_PGM_RSRC2:TRAP_HANDLER: 0
; COMPUTE_PGM_RSRC2:TGID_X_EN: 1
; COMPUTE_PGM_RSRC2:TGID_Y_EN: 0
; COMPUTE_PGM_RSRC2:TGID_Z_EN: 0
; COMPUTE_PGM_RSRC2:TIDIG_COMP_CNT: 0
; COMPUTE_PGM_RSRC3_GFX90A:ACCUM_OFFSET: 0
; COMPUTE_PGM_RSRC3_GFX90A:TG_SPLIT: 0
	.section	.text._ZN7rocprim17ROCPRIM_400000_NS6detail17trampoline_kernelINS0_14default_configENS1_20scan_config_selectorIjEEZZNS1_9scan_implILNS1_25lookback_scan_determinismE0ELb0ELb0ES3_N6thrust23THRUST_200600_302600_NS6detail15normal_iteratorINS9_10device_ptrIjEEEESE_j11max_functorIjEjEEDaPvRmT3_T4_T5_mT6_P12ihipStream_tbENKUlT_T0_E_clISt17integral_constantIbLb1EEST_IbLb0EEEEDaSP_SQ_EUlSP_E_NS1_11comp_targetILNS1_3genE4ELNS1_11target_archE910ELNS1_3gpuE8ELNS1_3repE0EEENS1_30default_config_static_selectorELNS0_4arch9wavefront6targetE1EEEvT1_,"axG",@progbits,_ZN7rocprim17ROCPRIM_400000_NS6detail17trampoline_kernelINS0_14default_configENS1_20scan_config_selectorIjEEZZNS1_9scan_implILNS1_25lookback_scan_determinismE0ELb0ELb0ES3_N6thrust23THRUST_200600_302600_NS6detail15normal_iteratorINS9_10device_ptrIjEEEESE_j11max_functorIjEjEEDaPvRmT3_T4_T5_mT6_P12ihipStream_tbENKUlT_T0_E_clISt17integral_constantIbLb1EEST_IbLb0EEEEDaSP_SQ_EUlSP_E_NS1_11comp_targetILNS1_3genE4ELNS1_11target_archE910ELNS1_3gpuE8ELNS1_3repE0EEENS1_30default_config_static_selectorELNS0_4arch9wavefront6targetE1EEEvT1_,comdat
	.protected	_ZN7rocprim17ROCPRIM_400000_NS6detail17trampoline_kernelINS0_14default_configENS1_20scan_config_selectorIjEEZZNS1_9scan_implILNS1_25lookback_scan_determinismE0ELb0ELb0ES3_N6thrust23THRUST_200600_302600_NS6detail15normal_iteratorINS9_10device_ptrIjEEEESE_j11max_functorIjEjEEDaPvRmT3_T4_T5_mT6_P12ihipStream_tbENKUlT_T0_E_clISt17integral_constantIbLb1EEST_IbLb0EEEEDaSP_SQ_EUlSP_E_NS1_11comp_targetILNS1_3genE4ELNS1_11target_archE910ELNS1_3gpuE8ELNS1_3repE0EEENS1_30default_config_static_selectorELNS0_4arch9wavefront6targetE1EEEvT1_ ; -- Begin function _ZN7rocprim17ROCPRIM_400000_NS6detail17trampoline_kernelINS0_14default_configENS1_20scan_config_selectorIjEEZZNS1_9scan_implILNS1_25lookback_scan_determinismE0ELb0ELb0ES3_N6thrust23THRUST_200600_302600_NS6detail15normal_iteratorINS9_10device_ptrIjEEEESE_j11max_functorIjEjEEDaPvRmT3_T4_T5_mT6_P12ihipStream_tbENKUlT_T0_E_clISt17integral_constantIbLb1EEST_IbLb0EEEEDaSP_SQ_EUlSP_E_NS1_11comp_targetILNS1_3genE4ELNS1_11target_archE910ELNS1_3gpuE8ELNS1_3repE0EEENS1_30default_config_static_selectorELNS0_4arch9wavefront6targetE1EEEvT1_
	.globl	_ZN7rocprim17ROCPRIM_400000_NS6detail17trampoline_kernelINS0_14default_configENS1_20scan_config_selectorIjEEZZNS1_9scan_implILNS1_25lookback_scan_determinismE0ELb0ELb0ES3_N6thrust23THRUST_200600_302600_NS6detail15normal_iteratorINS9_10device_ptrIjEEEESE_j11max_functorIjEjEEDaPvRmT3_T4_T5_mT6_P12ihipStream_tbENKUlT_T0_E_clISt17integral_constantIbLb1EEST_IbLb0EEEEDaSP_SQ_EUlSP_E_NS1_11comp_targetILNS1_3genE4ELNS1_11target_archE910ELNS1_3gpuE8ELNS1_3repE0EEENS1_30default_config_static_selectorELNS0_4arch9wavefront6targetE1EEEvT1_
	.p2align	8
	.type	_ZN7rocprim17ROCPRIM_400000_NS6detail17trampoline_kernelINS0_14default_configENS1_20scan_config_selectorIjEEZZNS1_9scan_implILNS1_25lookback_scan_determinismE0ELb0ELb0ES3_N6thrust23THRUST_200600_302600_NS6detail15normal_iteratorINS9_10device_ptrIjEEEESE_j11max_functorIjEjEEDaPvRmT3_T4_T5_mT6_P12ihipStream_tbENKUlT_T0_E_clISt17integral_constantIbLb1EEST_IbLb0EEEEDaSP_SQ_EUlSP_E_NS1_11comp_targetILNS1_3genE4ELNS1_11target_archE910ELNS1_3gpuE8ELNS1_3repE0EEENS1_30default_config_static_selectorELNS0_4arch9wavefront6targetE1EEEvT1_,@function
_ZN7rocprim17ROCPRIM_400000_NS6detail17trampoline_kernelINS0_14default_configENS1_20scan_config_selectorIjEEZZNS1_9scan_implILNS1_25lookback_scan_determinismE0ELb0ELb0ES3_N6thrust23THRUST_200600_302600_NS6detail15normal_iteratorINS9_10device_ptrIjEEEESE_j11max_functorIjEjEEDaPvRmT3_T4_T5_mT6_P12ihipStream_tbENKUlT_T0_E_clISt17integral_constantIbLb1EEST_IbLb0EEEEDaSP_SQ_EUlSP_E_NS1_11comp_targetILNS1_3genE4ELNS1_11target_archE910ELNS1_3gpuE8ELNS1_3repE0EEENS1_30default_config_static_selectorELNS0_4arch9wavefront6targetE1EEEvT1_: ; @_ZN7rocprim17ROCPRIM_400000_NS6detail17trampoline_kernelINS0_14default_configENS1_20scan_config_selectorIjEEZZNS1_9scan_implILNS1_25lookback_scan_determinismE0ELb0ELb0ES3_N6thrust23THRUST_200600_302600_NS6detail15normal_iteratorINS9_10device_ptrIjEEEESE_j11max_functorIjEjEEDaPvRmT3_T4_T5_mT6_P12ihipStream_tbENKUlT_T0_E_clISt17integral_constantIbLb1EEST_IbLb0EEEEDaSP_SQ_EUlSP_E_NS1_11comp_targetILNS1_3genE4ELNS1_11target_archE910ELNS1_3gpuE8ELNS1_3repE0EEENS1_30default_config_static_selectorELNS0_4arch9wavefront6targetE1EEEvT1_
; %bb.0:
	s_load_dwordx8 s[8:15], s[4:5], 0x0
	s_load_dword s1, s[4:5], 0x30
	s_mul_i32 s0, s6, 0x500
	v_lshlrev_b32_e32 v22, 2, v0
	s_waitcnt lgkmcnt(0)
	s_lshl_b64 s[16:17], s[10:11], 2
	s_add_u32 s2, s8, s16
	s_addc_u32 s3, s9, s17
	s_add_i32 s7, s1, -1
	s_mul_i32 s8, s7, 0x500
	s_sub_u32 s24, s14, s8
	s_subb_u32 s25, s15, 0
	s_mov_b32 s1, 0
	s_cmp_lg_u32 s6, s7
	s_cselect_b64 s[14:15], -1, 0
	s_lshl_b64 s[18:19], s[0:1], 2
	s_add_u32 s2, s2, s18
	s_addc_u32 s3, s3, s19
	s_mov_b64 s[0:1], -1
	s_and_b64 vcc, exec, s[14:15]
	s_cbranch_vccz .LBB2294_2
; %bb.1:
	v_mov_b32_e32 v1, s3
	v_add_co_u32_e32 v2, vcc, s2, v22
	v_addc_co_u32_e32 v3, vcc, 0, v1, vcc
	flat_load_dword v1, v[2:3]
	flat_load_dword v4, v[2:3] offset:512
	flat_load_dword v5, v[2:3] offset:1024
	;; [unrolled: 1-line block ×7, first 2 shown]
	v_add_co_u32_e32 v2, vcc, 0x1000, v2
	v_addc_co_u32_e32 v3, vcc, 0, v3, vcc
	flat_load_dword v11, v[2:3]
	flat_load_dword v12, v[2:3] offset:512
	s_mov_b64 s[0:1], 0
	s_waitcnt vmcnt(0) lgkmcnt(0)
	ds_write2st64_b32 v22, v1, v4 offset1:2
	ds_write2st64_b32 v22, v5, v6 offset0:4 offset1:6
	ds_write2st64_b32 v22, v7, v8 offset0:8 offset1:10
	ds_write2st64_b32 v22, v9, v10 offset0:12 offset1:14
	ds_write2st64_b32 v22, v11, v12 offset0:16 offset1:18
	s_waitcnt lgkmcnt(0)
	s_barrier
.LBB2294_2:
	s_load_dwordx2 s[20:21], s[4:5], 0x28
	s_andn2_b64 vcc, exec, s[0:1]
	v_cmp_gt_u32_e64 s[0:1], s24, v0
	s_cbranch_vccnz .LBB2294_24
; %bb.3:
	v_pk_mov_b32 v[2:3], s[2:3], s[2:3] op_sel:[0,1]
	flat_load_dword v1, v[2:3]
	s_waitcnt vmcnt(0) lgkmcnt(0)
	v_mov_b32_e32 v2, v1
	v_mov_b32_e32 v3, v1
	v_mov_b32_e32 v4, v1
	v_mov_b32_e32 v5, v1
	v_mov_b32_e32 v6, v1
	v_mov_b32_e32 v7, v1
	v_mov_b32_e32 v8, v1
	v_mov_b32_e32 v9, v1
	v_mov_b32_e32 v10, v1
	s_and_saveexec_b64 s[8:9], s[0:1]
	s_cbranch_execz .LBB2294_5
; %bb.4:
	v_mov_b32_e32 v11, s3
	v_add_co_u32_e32 v10, vcc, s2, v22
	v_addc_co_u32_e32 v11, vcc, 0, v11, vcc
	flat_load_dword v10, v[10:11]
.LBB2294_5:
	s_or_b64 exec, exec, s[8:9]
	v_or_b32_e32 v11, 0x80, v0
	v_cmp_gt_u32_e32 vcc, s24, v11
	s_and_saveexec_b64 s[0:1], vcc
	s_cbranch_execz .LBB2294_7
; %bb.6:
	v_mov_b32_e32 v1, s3
	v_add_co_u32_e32 v12, vcc, s2, v22
	v_addc_co_u32_e32 v13, vcc, 0, v1, vcc
	flat_load_dword v1, v[12:13] offset:512
.LBB2294_7:
	s_or_b64 exec, exec, s[0:1]
	v_or_b32_e32 v11, 0x100, v0
	v_cmp_gt_u32_e32 vcc, s24, v11
	s_and_saveexec_b64 s[0:1], vcc
	s_cbranch_execz .LBB2294_9
; %bb.8:
	v_mov_b32_e32 v2, s3
	v_add_co_u32_e32 v12, vcc, s2, v22
	v_addc_co_u32_e32 v13, vcc, 0, v2, vcc
	flat_load_dword v2, v[12:13] offset:1024
.LBB2294_9:
	;; [unrolled: 11-line block ×7, first 2 shown]
	s_or_b64 exec, exec, s[0:1]
	v_or_b32_e32 v11, 0x400, v0
	v_cmp_gt_u32_e32 vcc, s24, v11
	s_and_saveexec_b64 s[0:1], vcc
	s_cbranch_execz .LBB2294_21
; %bb.20:
	v_lshlrev_b32_e32 v8, 2, v11
	v_mov_b32_e32 v11, s3
	v_add_co_u32_e32 v12, vcc, s2, v8
	v_addc_co_u32_e32 v13, vcc, 0, v11, vcc
	flat_load_dword v8, v[12:13]
.LBB2294_21:
	s_or_b64 exec, exec, s[0:1]
	v_or_b32_e32 v11, 0x480, v0
	v_cmp_gt_u32_e32 vcc, s24, v11
	s_and_saveexec_b64 s[0:1], vcc
	s_cbranch_execz .LBB2294_23
; %bb.22:
	v_lshlrev_b32_e32 v9, 2, v11
	v_mov_b32_e32 v11, s3
	v_add_co_u32_e32 v12, vcc, s2, v9
	v_addc_co_u32_e32 v13, vcc, 0, v11, vcc
	flat_load_dword v9, v[12:13]
.LBB2294_23:
	s_or_b64 exec, exec, s[0:1]
	s_waitcnt vmcnt(0) lgkmcnt(0)
	ds_write2st64_b32 v22, v10, v1 offset1:2
	ds_write2st64_b32 v22, v2, v3 offset0:4 offset1:6
	ds_write2st64_b32 v22, v4, v5 offset0:8 offset1:10
	ds_write2st64_b32 v22, v6, v7 offset0:12 offset1:14
	ds_write2st64_b32 v22, v8, v9 offset0:16 offset1:18
	s_waitcnt lgkmcnt(0)
	s_barrier
.LBB2294_24:
	v_mul_u32_u24_e32 v23, 10, v0
	v_lshlrev_b32_e32 v24, 2, v23
	s_waitcnt lgkmcnt(0)
	ds_read2_b64 v[2:5], v24 offset1:1
	ds_read2_b64 v[16:19], v24 offset0:2 offset1:3
	ds_read_b64 v[20:21], v24 offset:32
	s_cmp_lg_u32 s6, 0
	v_lshrrev_b32_e32 v1, 5, v0
	v_cmp_gt_u32_e32 vcc, 64, v0
	s_waitcnt lgkmcnt(0)
	s_barrier
	s_cbranch_scc0 .LBB2294_53
; %bb.25:
	v_max_u32_e32 v6, v2, v3
	v_max3_u32 v6, v6, v4, v5
	v_max3_u32 v6, v6, v16, v17
	;; [unrolled: 1-line block ×4, first 2 shown]
	v_add_lshl_u32 v6, v1, v0, 2
	ds_write_b32 v6, v25
	s_waitcnt lgkmcnt(0)
	s_barrier
	s_and_saveexec_b64 s[2:3], vcc
	s_cbranch_execz .LBB2294_27
; %bb.26:
	v_lshlrev_b32_e32 v6, 1, v0
	v_lshrrev_b32_e32 v7, 4, v0
	v_add_lshl_u32 v8, v7, v6, 2
	ds_read2_b32 v[6:7], v8 offset1:1
	v_mbcnt_lo_u32_b32 v9, -1, 0
	v_mbcnt_hi_u32_b32 v9, -1, v9
	v_and_b32_e32 v10, 15, v9
	v_cmp_eq_u32_e64 s[0:1], 0, v10
	s_waitcnt lgkmcnt(0)
	v_max_u32_e32 v7, v6, v7
	; wave barrier
	s_nop 1
	v_mov_b32_dpp v11, v7 row_shr:1 row_mask:0xf bank_mask:0xf
	v_max_u32_e32 v11, v11, v7
	v_cndmask_b32_e64 v7, v11, v7, s[0:1]
	v_cmp_lt_u32_e64 s[0:1], 1, v10
	s_nop 0
	v_mov_b32_dpp v11, v7 row_shr:2 row_mask:0xf bank_mask:0xf
	v_max_u32_e32 v11, v11, v7
	v_cndmask_b32_e64 v7, v7, v11, s[0:1]
	v_cmp_lt_u32_e64 s[0:1], 3, v10
	;; [unrolled: 5-line block ×3, first 2 shown]
	s_nop 0
	v_mov_b32_dpp v11, v7 row_shr:8 row_mask:0xf bank_mask:0xf
	v_max_u32_e32 v11, v11, v7
	v_cndmask_b32_e64 v7, v7, v11, s[0:1]
	v_and_b32_e32 v11, 16, v9
	v_cmp_eq_u32_e64 s[0:1], 0, v11
	v_mov_b32_dpp v10, v7 row_bcast:15 row_mask:0xf bank_mask:0xf
	v_max_u32_e32 v10, v10, v7
	v_cndmask_b32_e64 v7, v10, v7, s[0:1]
	v_cmp_lt_u32_e64 s[0:1], 31, v9
	v_and_b32_e32 v11, 64, v9
	v_mov_b32_dpp v10, v7 row_bcast:31 row_mask:0xf bank_mask:0xf
	v_max_u32_e32 v10, v10, v7
	v_cndmask_b32_e64 v7, v7, v10, s[0:1]
	v_add_u32_e32 v10, -1, v9
	v_cmp_lt_i32_e64 s[0:1], v10, v11
	v_cndmask_b32_e64 v9, v10, v9, s[0:1]
	v_lshlrev_b32_e32 v9, 2, v9
	ds_bpermute_b32 v7, v9, v7
	v_cmp_eq_u32_e64 s[0:1], 0, v0
	s_waitcnt lgkmcnt(0)
	v_max_u32_e32 v6, v7, v6
	v_cndmask_b32_e64 v6, v6, v25, s[0:1]
	ds_write_b32 v8, v6
	; wave barrier
	ds_read_b32 v7, v8 offset:4
	s_waitcnt lgkmcnt(0)
	v_max_u32_e32 v6, v6, v7
	ds_write_b32 v8, v6 offset:4
.LBB2294_27:
	s_or_b64 exec, exec, s[2:3]
	v_cmp_eq_u32_e64 s[0:1], 0, v0
	v_cmp_ne_u32_e64 s[2:3], 0, v0
	s_waitcnt lgkmcnt(0)
	s_barrier
	s_and_saveexec_b64 s[8:9], s[2:3]
	s_cbranch_execz .LBB2294_29
; %bb.28:
	v_add_u32_e32 v6, -1, v0
	v_lshrrev_b32_e32 v7, 5, v6
	v_add_lshl_u32 v6, v7, v6, 2
	ds_read_b32 v25, v6
.LBB2294_29:
	s_or_b64 exec, exec, s[8:9]
	s_and_saveexec_b64 s[8:9], vcc
	s_cbranch_execz .LBB2294_52
; %bb.30:
	v_mov_b32_e32 v15, 0
	ds_read_b32 v6, v15 offset:520
	v_mbcnt_lo_u32_b32 v7, -1, 0
	v_mbcnt_hi_u32_b32 v9, -1, v7
	s_mov_b32 s23, 0
	v_cmp_eq_u32_e64 s[2:3], 0, v9
	s_and_saveexec_b64 s[10:11], s[2:3]
	s_cbranch_execz .LBB2294_32
; %bb.31:
	s_add_i32 s22, s6, 64
	s_lshl_b64 s[22:23], s[22:23], 3
	s_add_u32 s22, s20, s22
	v_mov_b32_e32 v7, 1
	s_addc_u32 s23, s21, s23
	s_waitcnt lgkmcnt(0)
	global_store_dwordx2 v15, v[6:7], s[22:23]
.LBB2294_32:
	s_or_b64 exec, exec, s[10:11]
	v_xad_u32 v8, v9, -1, s6
	v_add_u32_e32 v14, 64, v8
	v_lshlrev_b64 v[10:11], 3, v[14:15]
	v_mov_b32_e32 v7, s21
	v_add_co_u32_e32 v10, vcc, s20, v10
	v_addc_co_u32_e32 v11, vcc, v7, v11, vcc
	global_load_dwordx2 v[12:13], v[10:11], off glc
	s_waitcnt vmcnt(0)
	v_cmp_eq_u16_sdwa s[22:23], v13, v15 src0_sel:BYTE_0 src1_sel:DWORD
	s_and_saveexec_b64 s[10:11], s[22:23]
	s_cbranch_execz .LBB2294_38
; %bb.33:
	s_mov_b32 s7, 1
	s_mov_b64 s[22:23], 0
	v_mov_b32_e32 v7, 0
.LBB2294_34:                            ; =>This Loop Header: Depth=1
                                        ;     Child Loop BB2294_35 Depth 2
	s_max_u32 s26, s7, 1
.LBB2294_35:                            ;   Parent Loop BB2294_34 Depth=1
                                        ; =>  This Inner Loop Header: Depth=2
	s_add_i32 s26, s26, -1
	s_cmp_eq_u32 s26, 0
	s_sleep 1
	s_cbranch_scc0 .LBB2294_35
; %bb.36:                               ;   in Loop: Header=BB2294_34 Depth=1
	global_load_dwordx2 v[12:13], v[10:11], off glc
	s_cmp_lt_u32 s7, 32
	s_cselect_b64 s[26:27], -1, 0
	s_cmp_lg_u64 s[26:27], 0
	s_addc_u32 s7, s7, 0
	s_waitcnt vmcnt(0)
	v_cmp_ne_u16_sdwa s[26:27], v13, v7 src0_sel:BYTE_0 src1_sel:DWORD
	s_or_b64 s[22:23], s[26:27], s[22:23]
	s_andn2_b64 exec, exec, s[22:23]
	s_cbranch_execnz .LBB2294_34
; %bb.37:
	s_or_b64 exec, exec, s[22:23]
.LBB2294_38:
	s_or_b64 exec, exec, s[10:11]
	v_and_b32_e32 v26, 63, v9
	v_cmp_ne_u32_e32 vcc, 63, v26
	v_mov_b32_e32 v7, 2
	v_addc_co_u32_e32 v27, vcc, 0, v9, vcc
	v_cmp_eq_u16_sdwa s[10:11], v13, v7 src0_sel:BYTE_0 src1_sel:DWORD
	v_lshlrev_b64 v[10:11], v9, -1
	v_lshlrev_b32_e32 v27, 2, v27
	v_and_b32_e32 v14, s11, v11
	ds_bpermute_b32 v28, v27, v12
	v_or_b32_e32 v14, 0x80000000, v14
	v_and_b32_e32 v15, s10, v10
	v_ffbl_b32_e32 v14, v14
	v_add_u32_e32 v14, 32, v14
	v_ffbl_b32_e32 v15, v15
	v_min_u32_e32 v14, v15, v14
	s_waitcnt lgkmcnt(0)
	v_max_u32_e32 v15, v28, v12
	v_cmp_lt_u32_e32 vcc, v26, v14
	v_cndmask_b32_e32 v12, v12, v15, vcc
	v_cmp_gt_u32_e32 vcc, 62, v26
	v_cndmask_b32_e64 v15, 0, 1, vcc
	v_lshlrev_b32_e32 v15, 1, v15
	v_add_lshl_u32 v28, v15, v9, 2
	ds_bpermute_b32 v15, v28, v12
	v_add_u32_e32 v29, 2, v26
	v_cmp_gt_u32_e32 vcc, v29, v14
	v_add_u32_e32 v31, 4, v26
	v_add_u32_e32 v33, 8, v26
	s_waitcnt lgkmcnt(0)
	v_max_u32_e32 v15, v15, v12
	v_cndmask_b32_e32 v12, v15, v12, vcc
	v_cmp_gt_u32_e32 vcc, 60, v26
	v_cndmask_b32_e64 v15, 0, 1, vcc
	v_lshlrev_b32_e32 v15, 2, v15
	v_add_lshl_u32 v30, v15, v9, 2
	ds_bpermute_b32 v15, v30, v12
	v_cmp_gt_u32_e32 vcc, v31, v14
	v_add_u32_e32 v36, 16, v26
	v_add_u32_e32 v38, 32, v26
	s_waitcnt lgkmcnt(0)
	v_max_u32_e32 v15, v15, v12
	v_cndmask_b32_e32 v12, v15, v12, vcc
	v_cmp_gt_u32_e32 vcc, 56, v26
	v_cndmask_b32_e64 v15, 0, 1, vcc
	v_lshlrev_b32_e32 v15, 3, v15
	v_add_lshl_u32 v32, v15, v9, 2
	ds_bpermute_b32 v15, v32, v12
	v_cmp_gt_u32_e32 vcc, v33, v14
	s_waitcnt lgkmcnt(0)
	v_max_u32_e32 v15, v15, v12
	v_cndmask_b32_e32 v12, v15, v12, vcc
	v_cmp_gt_u32_e32 vcc, 48, v26
	v_cndmask_b32_e64 v15, 0, 1, vcc
	v_lshlrev_b32_e32 v15, 4, v15
	v_add_lshl_u32 v34, v15, v9, 2
	ds_bpermute_b32 v15, v34, v12
	v_cmp_gt_u32_e32 vcc, v36, v14
	;; [unrolled: 9-line block ×3, first 2 shown]
	s_waitcnt lgkmcnt(0)
	v_max_u32_e32 v9, v9, v12
	v_cndmask_b32_e32 v12, v9, v12, vcc
	v_mov_b32_e32 v9, 0
	s_branch .LBB2294_40
.LBB2294_39:                            ;   in Loop: Header=BB2294_40 Depth=1
	s_or_b64 exec, exec, s[10:11]
	v_cmp_eq_u16_sdwa s[10:11], v13, v7 src0_sel:BYTE_0 src1_sel:DWORD
	v_and_b32_e32 v14, s11, v11
	ds_bpermute_b32 v39, v27, v12
	v_or_b32_e32 v14, 0x80000000, v14
	v_and_b32_e32 v15, s10, v10
	v_ffbl_b32_e32 v14, v14
	v_add_u32_e32 v14, 32, v14
	v_ffbl_b32_e32 v15, v15
	v_min_u32_e32 v14, v15, v14
	s_waitcnt lgkmcnt(0)
	v_max_u32_e32 v15, v39, v12
	v_cmp_lt_u32_e32 vcc, v26, v14
	v_cndmask_b32_e32 v12, v12, v15, vcc
	ds_bpermute_b32 v15, v28, v12
	v_cmp_gt_u32_e32 vcc, v29, v14
	v_subrev_u32_e32 v8, 64, v8
	s_waitcnt lgkmcnt(0)
	v_max_u32_e32 v15, v15, v12
	v_cndmask_b32_e32 v12, v15, v12, vcc
	ds_bpermute_b32 v15, v30, v12
	v_cmp_gt_u32_e32 vcc, v31, v14
	s_waitcnt lgkmcnt(0)
	v_max_u32_e32 v15, v15, v12
	v_cndmask_b32_e32 v12, v15, v12, vcc
	ds_bpermute_b32 v15, v32, v12
	v_cmp_gt_u32_e32 vcc, v33, v14
	;; [unrolled: 5-line block ×4, first 2 shown]
	s_waitcnt lgkmcnt(0)
	v_max_u32_e32 v15, v15, v12
	v_cndmask_b32_e32 v12, v15, v12, vcc
	v_max_u32_e32 v12, v12, v35
.LBB2294_40:                            ; =>This Loop Header: Depth=1
                                        ;     Child Loop BB2294_43 Depth 2
                                        ;       Child Loop BB2294_44 Depth 3
	v_cmp_ne_u16_sdwa s[10:11], v13, v7 src0_sel:BYTE_0 src1_sel:DWORD
	v_cndmask_b32_e64 v13, 0, 1, s[10:11]
	;;#ASMSTART
	;;#ASMEND
	v_cmp_ne_u32_e32 vcc, 0, v13
	s_cmp_lg_u64 vcc, exec
	v_mov_b32_e32 v35, v12
	s_cbranch_scc1 .LBB2294_47
; %bb.41:                               ;   in Loop: Header=BB2294_40 Depth=1
	v_lshlrev_b64 v[12:13], 3, v[8:9]
	v_mov_b32_e32 v15, s21
	v_add_co_u32_e32 v14, vcc, s20, v12
	v_addc_co_u32_e32 v15, vcc, v15, v13, vcc
	global_load_dwordx2 v[12:13], v[14:15], off glc
	s_waitcnt vmcnt(0)
	v_cmp_eq_u16_sdwa s[22:23], v13, v9 src0_sel:BYTE_0 src1_sel:DWORD
	s_and_saveexec_b64 s[10:11], s[22:23]
	s_cbranch_execz .LBB2294_39
; %bb.42:                               ;   in Loop: Header=BB2294_40 Depth=1
	s_mov_b32 s7, 1
	s_mov_b64 s[22:23], 0
.LBB2294_43:                            ;   Parent Loop BB2294_40 Depth=1
                                        ; =>  This Loop Header: Depth=2
                                        ;       Child Loop BB2294_44 Depth 3
	s_max_u32 s26, s7, 1
.LBB2294_44:                            ;   Parent Loop BB2294_40 Depth=1
                                        ;     Parent Loop BB2294_43 Depth=2
                                        ; =>    This Inner Loop Header: Depth=3
	s_add_i32 s26, s26, -1
	s_cmp_eq_u32 s26, 0
	s_sleep 1
	s_cbranch_scc0 .LBB2294_44
; %bb.45:                               ;   in Loop: Header=BB2294_43 Depth=2
	global_load_dwordx2 v[12:13], v[14:15], off glc
	s_cmp_lt_u32 s7, 32
	s_cselect_b64 s[26:27], -1, 0
	s_cmp_lg_u64 s[26:27], 0
	s_addc_u32 s7, s7, 0
	s_waitcnt vmcnt(0)
	v_cmp_ne_u16_sdwa s[26:27], v13, v9 src0_sel:BYTE_0 src1_sel:DWORD
	s_or_b64 s[22:23], s[26:27], s[22:23]
	s_andn2_b64 exec, exec, s[22:23]
	s_cbranch_execnz .LBB2294_43
; %bb.46:                               ;   in Loop: Header=BB2294_40 Depth=1
	s_or_b64 exec, exec, s[22:23]
	s_branch .LBB2294_39
.LBB2294_47:                            ;   in Loop: Header=BB2294_40 Depth=1
                                        ; implicit-def: $vgpr12
                                        ; implicit-def: $vgpr13
	s_cbranch_execz .LBB2294_40
; %bb.48:
	s_and_saveexec_b64 s[10:11], s[2:3]
	s_cbranch_execz .LBB2294_50
; %bb.49:
	s_add_i32 s2, s6, 64
	s_mov_b32 s3, 0
	s_lshl_b64 s[2:3], s[2:3], 3
	s_add_u32 s2, s20, s2
	v_max_u32_e32 v6, v35, v6
	v_mov_b32_e32 v7, 2
	s_addc_u32 s3, s21, s3
	v_mov_b32_e32 v8, 0
	global_store_dwordx2 v8, v[6:7], s[2:3]
.LBB2294_50:
	s_or_b64 exec, exec, s[10:11]
	s_and_b64 exec, exec, s[0:1]
	s_cbranch_execz .LBB2294_52
; %bb.51:
	v_mov_b32_e32 v6, 0
	ds_write_b32 v6, v35
.LBB2294_52:
	s_or_b64 exec, exec, s[8:9]
	v_mov_b32_e32 v6, 0
	s_waitcnt lgkmcnt(0)
	s_barrier
	ds_read_b32 v6, v6
	v_max_u32_e32 v7, v25, v2
	v_cndmask_b32_e64 v7, v7, v2, s[0:1]
	s_waitcnt lgkmcnt(0)
	v_max_u32_e32 v6, v6, v7
	v_max_u32_e32 v7, v6, v3
	;; [unrolled: 1-line block ×10, first 2 shown]
	s_load_dwordx8 s[4:11], s[4:5], 0x38
	s_branch .LBB2294_65
.LBB2294_53:
                                        ; implicit-def: $vgpr6_vgpr7_vgpr8_vgpr9_vgpr10_vgpr11_vgpr12_vgpr13_vgpr14_vgpr15
	s_load_dwordx8 s[4:11], s[4:5], 0x38
	s_cbranch_execz .LBB2294_65
; %bb.54:
	s_waitcnt lgkmcnt(0)
	s_cmp_lg_u64 s[8:9], 0
	s_cselect_b64 s[2:3], -1, 0
	v_cmp_eq_u32_e64 s[0:1], 0, v0
	v_cmp_ne_u32_e32 vcc, 0, v0
	s_and_b64 s[8:9], s[0:1], s[2:3]
	v_mov_b32_e32 v12, v3
	v_mov_b32_e32 v13, v4
	;; [unrolled: 1-line block ×3, first 2 shown]
	s_and_saveexec_b64 s[2:3], s[8:9]
	s_cbranch_execz .LBB2294_56
; %bb.55:
	v_mov_b32_e32 v6, 0
	global_load_dword v6, v6, s[4:5]
	v_mov_b32_e32 v12, v3
	v_mov_b32_e32 v13, v4
	;; [unrolled: 1-line block ×3, first 2 shown]
	s_waitcnt vmcnt(0)
	v_max_u32_e32 v2, v6, v2
.LBB2294_56:
	s_or_b64 exec, exec, s[2:3]
	v_max_u32_e32 v3, v2, v12
	v_max_u32_e32 v4, v3, v13
	;; [unrolled: 1-line block ×9, first 2 shown]
	v_add_lshl_u32 v1, v1, v0, 2
	v_cmp_gt_u32_e64 s[2:3], 64, v0
	ds_write_b32 v1, v11
	s_waitcnt lgkmcnt(0)
	s_barrier
	s_and_saveexec_b64 s[4:5], s[2:3]
	s_cbranch_execz .LBB2294_58
; %bb.57:
	v_lshlrev_b32_e32 v1, 1, v0
	v_lshrrev_b32_e32 v15, 4, v0
	v_add_lshl_u32 v1, v15, v1, 2
	ds_read2_b32 v[26:27], v1 offset1:1
	v_mbcnt_lo_u32_b32 v15, -1, 0
	v_mbcnt_hi_u32_b32 v15, -1, v15
	v_and_b32_e32 v25, 15, v15
	v_cmp_eq_u32_e64 s[2:3], 0, v25
	s_waitcnt lgkmcnt(0)
	v_max_u32_e32 v27, v26, v27
	; wave barrier
	s_nop 1
	v_mov_b32_dpp v28, v27 row_shr:1 row_mask:0xf bank_mask:0xf
	v_max_u32_e32 v28, v28, v27
	v_cndmask_b32_e64 v27, v28, v27, s[2:3]
	v_cmp_lt_u32_e64 s[2:3], 1, v25
	s_nop 0
	v_mov_b32_dpp v28, v27 row_shr:2 row_mask:0xf bank_mask:0xf
	v_max_u32_e32 v28, v28, v27
	v_cndmask_b32_e64 v27, v27, v28, s[2:3]
	v_cmp_lt_u32_e64 s[2:3], 3, v25
	;; [unrolled: 5-line block ×3, first 2 shown]
	s_nop 0
	v_mov_b32_dpp v28, v27 row_shr:8 row_mask:0xf bank_mask:0xf
	v_max_u32_e32 v28, v28, v27
	v_cndmask_b32_e64 v25, v27, v28, s[2:3]
	v_and_b32_e32 v28, 16, v15
	v_cmp_eq_u32_e64 s[2:3], 0, v28
	v_mov_b32_dpp v27, v25 row_bcast:15 row_mask:0xf bank_mask:0xf
	v_max_u32_e32 v27, v27, v25
	v_cndmask_b32_e64 v25, v27, v25, s[2:3]
	v_cmp_lt_u32_e64 s[2:3], 31, v15
	v_and_b32_e32 v28, 64, v15
	v_mov_b32_dpp v27, v25 row_bcast:31 row_mask:0xf bank_mask:0xf
	v_max_u32_e32 v27, v27, v25
	v_cndmask_b32_e64 v25, v25, v27, s[2:3]
	v_add_u32_e32 v27, -1, v15
	v_cmp_lt_i32_e64 s[2:3], v27, v28
	v_cndmask_b32_e64 v15, v27, v15, s[2:3]
	v_lshlrev_b32_e32 v15, 2, v15
	ds_bpermute_b32 v15, v15, v25
	s_waitcnt lgkmcnt(0)
	v_max_u32_e32 v15, v15, v26
	v_cndmask_b32_e64 v15, v15, v11, s[0:1]
	ds_write_b32 v1, v15
	; wave barrier
	ds_read_b32 v25, v1 offset:4
	s_waitcnt lgkmcnt(0)
	v_max_u32_e32 v15, v15, v25
	ds_write_b32 v1, v15 offset:4
.LBB2294_58:
	s_or_b64 exec, exec, s[4:5]
	v_mov_b32_e32 v1, v11
	s_waitcnt lgkmcnt(0)
	s_barrier
	s_and_saveexec_b64 s[0:1], vcc
	s_cbranch_execz .LBB2294_60
; %bb.59:
	v_add_u32_e32 v1, -1, v0
	v_lshrrev_b32_e32 v15, 5, v1
	v_add_lshl_u32 v1, v15, v1, 2
	ds_read_b32 v1, v1
.LBB2294_60:
	s_or_b64 exec, exec, s[0:1]
	s_and_saveexec_b64 s[0:1], vcc
	s_cbranch_execz .LBB2294_62
; %bb.61:
	s_waitcnt lgkmcnt(0)
	v_max_u32_e32 v2, v1, v2
	v_max_u32_e32 v3, v2, v12
	v_max_u32_e32 v4, v3, v13
	v_max_u32_e32 v5, v4, v14
	v_max_u32_e32 v6, v5, v16
	v_max_u32_e32 v7, v6, v17
	v_max_u32_e32 v8, v7, v18
	v_max_u32_e32 v9, v8, v19
	v_max_u32_e32 v10, v9, v20
	v_max_u32_e32 v11, v10, v21
	;;#ASMSTART
	;;#ASMEND
.LBB2294_62:
	s_or_b64 exec, exec, s[0:1]
	s_movk_i32 s0, 0x7f
	v_cmp_eq_u32_e32 vcc, s0, v0
	s_and_saveexec_b64 s[0:1], vcc
	s_cbranch_execz .LBB2294_64
; %bb.63:
	s_waitcnt lgkmcnt(0)
	v_mov_b32_e32 v1, 0
	v_mov_b32_e32 v13, 2
	;; [unrolled: 1-line block ×3, first 2 shown]
	global_store_dwordx2 v1, v[12:13], s[20:21] offset:512
.LBB2294_64:
	s_or_b64 exec, exec, s[0:1]
	v_pk_mov_b32 v[14:15], v[10:11], v[10:11] op_sel:[0,1]
	v_pk_mov_b32 v[12:13], v[8:9], v[8:9] op_sel:[0,1]
	;; [unrolled: 1-line block ×5, first 2 shown]
.LBB2294_65:
	s_add_u32 s0, s12, s16
	s_addc_u32 s1, s13, s17
	s_add_u32 s2, s0, s18
	s_addc_u32 s3, s1, s19
	s_mov_b64 s[0:1], -1
	s_and_b64 vcc, exec, s[14:15]
	s_waitcnt lgkmcnt(0)
	s_barrier
	s_cbranch_vccz .LBB2294_67
; %bb.66:
	ds_write2_b64 v24, v[6:7], v[8:9] offset1:1
	ds_write2_b64 v24, v[10:11], v[12:13] offset0:2 offset1:3
	ds_write_b64 v24, v[14:15] offset:32
	s_waitcnt lgkmcnt(0)
	s_barrier
	ds_read2st64_b32 v[2:3], v22 offset1:2
	ds_read2st64_b32 v[4:5], v22 offset0:4 offset1:6
	ds_read2st64_b32 v[16:17], v22 offset0:8 offset1:10
	;; [unrolled: 1-line block ×4, first 2 shown]
	v_mov_b32_e32 v1, s3
	v_add_co_u32_e32 v26, vcc, s2, v22
	v_addc_co_u32_e32 v27, vcc, 0, v1, vcc
	s_waitcnt lgkmcnt(4)
	flat_store_dword v[26:27], v2
	flat_store_dword v[26:27], v3 offset:512
	s_waitcnt lgkmcnt(0)
	flat_store_dword v[26:27], v4 offset:1024
	flat_store_dword v[26:27], v5 offset:1536
	;; [unrolled: 1-line block ×6, first 2 shown]
	v_add_co_u32_e32 v2, vcc, 0x1000, v26
	v_addc_co_u32_e32 v3, vcc, 0, v27, vcc
	flat_store_dword v[2:3], v20
	flat_store_dword v[2:3], v21 offset:512
	s_mov_b64 s[0:1], 0
.LBB2294_67:
	s_andn2_b64 vcc, exec, s[0:1]
	s_cbranch_vccnz .LBB2294_123
; %bb.68:
	s_movk_i32 s0, 0xffdc
	ds_write2_b64 v24, v[6:7], v[8:9] offset1:1
	ds_write2_b64 v24, v[10:11], v[12:13] offset0:2 offset1:3
	ds_write_b64 v24, v[14:15] offset:32
	v_mad_i32_i24 v10, v0, s0, v24
	s_waitcnt lgkmcnt(0)
	s_barrier
	ds_read2st64_b32 v[2:3], v10 offset1:2
	ds_read2st64_b32 v[6:7], v10 offset0:4 offset1:6
	ds_read2st64_b32 v[4:5], v10 offset0:8 offset1:10
	;; [unrolled: 1-line block ×4, first 2 shown]
	v_mov_b32_e32 v13, s3
	v_add_co_u32_e32 v12, vcc, s2, v22
	v_addc_co_u32_e32 v13, vcc, 0, v13, vcc
	v_mov_b32_e32 v1, 0
	v_cmp_gt_u32_e32 vcc, s24, v0
	s_and_saveexec_b64 s[0:1], vcc
	s_cbranch_execz .LBB2294_70
; %bb.69:
	s_waitcnt lgkmcnt(0)
	flat_store_dword v[12:13], v2
.LBB2294_70:
	s_or_b64 exec, exec, s[0:1]
	v_or_b32_e32 v14, 0x80, v0
	v_cmp_gt_u32_e32 vcc, s24, v14
	s_and_saveexec_b64 s[0:1], vcc
	s_cbranch_execz .LBB2294_72
; %bb.71:
	s_waitcnt lgkmcnt(0)
	flat_store_dword v[12:13], v3 offset:512
.LBB2294_72:
	s_or_b64 exec, exec, s[0:1]
	v_or_b32_e32 v14, 0x100, v0
	v_cmp_gt_u32_e32 vcc, s24, v14
	s_and_saveexec_b64 s[0:1], vcc
	s_cbranch_execz .LBB2294_74
; %bb.73:
	s_waitcnt lgkmcnt(0)
	flat_store_dword v[12:13], v6 offset:1024
.LBB2294_74:
	;; [unrolled: 9-line block ×7, first 2 shown]
	s_or_b64 exec, exec, s[0:1]
	v_or_b32_e32 v14, 0x400, v0
	v_cmp_gt_u32_e32 vcc, s24, v14
	s_and_saveexec_b64 s[0:1], vcc
	s_cbranch_execz .LBB2294_86
; %bb.85:
	v_add_co_u32_e32 v14, vcc, 0x1000, v12
	v_addc_co_u32_e32 v15, vcc, 0, v13, vcc
	s_waitcnt lgkmcnt(0)
	flat_store_dword v[14:15], v10
.LBB2294_86:
	s_or_b64 exec, exec, s[0:1]
	v_or_b32_e32 v14, 0x480, v0
	v_cmp_gt_u32_e32 vcc, s24, v14
	s_and_saveexec_b64 s[0:1], vcc
	s_cbranch_execz .LBB2294_88
; %bb.87:
	v_add_co_u32_e32 v12, vcc, 0x1000, v12
	v_addc_co_u32_e32 v13, vcc, 0, v13, vcc
	s_waitcnt lgkmcnt(0)
	flat_store_dword v[12:13], v11 offset:512
.LBB2294_88:
	s_or_b64 exec, exec, s[0:1]
	v_cmp_lt_u64_e64 s[0:1], s[10:11], 2
	s_and_b64 vcc, exec, s[0:1]
	s_cbranch_vccnz .LBB2294_123
; %bb.89:
	s_add_u32 s0, s24, -1
	s_addc_u32 s1, s25, -1
	s_add_u32 s2, 0, 0x99986000
	s_addc_u32 s3, 0, 0x59
	s_add_i32 s3, s3, 0x19999940
	s_mul_hi_u32 s9, s2, -10
	s_sub_i32 s9, s9, s2
	s_mul_i32 s10, s3, -10
	s_mul_i32 s4, s2, -10
	s_add_i32 s9, s9, s10
	s_mul_hi_u32 s5, s3, s4
	s_mul_i32 s8, s3, s4
	s_mul_i32 s11, s2, s9
	s_mul_hi_u32 s4, s2, s4
	s_mul_hi_u32 s10, s2, s9
	s_add_u32 s4, s4, s11
	s_addc_u32 s10, 0, s10
	s_add_u32 s4, s4, s8
	s_mul_hi_u32 s11, s3, s9
	s_addc_u32 s4, s10, s5
	s_addc_u32 s5, s11, 0
	s_mul_i32 s8, s3, s9
	s_add_u32 s4, s4, s8
	v_mov_b32_e32 v12, s4
	s_addc_u32 s5, 0, s5
	v_add_co_u32_e32 v12, vcc, s2, v12
	s_cmp_lg_u64 vcc, 0
	s_addc_u32 s2, s3, s5
	v_readfirstlane_b32 s5, v12
	s_mul_i32 s4, s0, s2
	s_mul_hi_u32 s8, s0, s5
	s_mul_hi_u32 s3, s0, s2
	s_add_u32 s4, s8, s4
	s_addc_u32 s3, 0, s3
	s_mul_hi_u32 s9, s1, s5
	s_mul_i32 s5, s1, s5
	s_add_u32 s4, s4, s5
	s_mul_hi_u32 s8, s1, s2
	s_addc_u32 s3, s3, s9
	s_addc_u32 s4, s8, 0
	s_mul_i32 s2, s1, s2
	s_add_u32 s2, s3, s2
	s_addc_u32 s3, 0, s4
	s_add_u32 s4, s2, 1
	s_addc_u32 s5, s3, 0
	s_add_u32 s8, s2, 2
	s_mul_i32 s10, s3, 10
	s_mul_hi_u32 s11, s2, 10
	s_addc_u32 s9, s3, 0
	s_add_i32 s11, s11, s10
	s_mul_i32 s10, s2, 10
	v_mov_b32_e32 v12, s10
	v_sub_co_u32_e32 v12, vcc, s0, v12
	s_cmp_lg_u64 vcc, 0
	s_subb_u32 s10, s1, s11
	v_subrev_co_u32_e32 v13, vcc, 10, v12
	s_cmp_lg_u64 vcc, 0
	s_subb_u32 s11, s10, 0
	v_readfirstlane_b32 s12, v13
	s_cmp_gt_u32 s12, 9
	s_cselect_b32 s12, -1, 0
	s_cmp_eq_u32 s11, 0
	s_cselect_b32 s11, s12, -1
	s_cmp_lg_u32 s11, 0
	s_cselect_b32 s4, s8, s4
	v_readfirstlane_b32 s8, v12
	s_cselect_b32 s5, s9, s5
	s_cmp_gt_u32 s8, 9
	s_cselect_b32 s8, -1, 0
	s_cmp_eq_u32 s10, 0
	s_cselect_b32 s8, s8, -1
	s_cmp_lg_u32 s8, 0
	s_cselect_b32 s3, s5, s3
	s_cselect_b32 s2, s4, s2
	v_cmp_eq_u64_e32 vcc, s[2:3], v[0:1]
	s_and_saveexec_b64 s[2:3], vcc
	s_cbranch_execz .LBB2294_123
; %bb.90:
	v_mul_hi_u32_u24_e32 v1, 10, v0
	v_mov_b32_e32 v12, s1
	v_sub_co_u32_e32 v0, vcc, s0, v23
	v_subb_co_u32_e32 v1, vcc, v12, v1, vcc
	v_cmp_lt_i64_e32 vcc, 4, v[0:1]
	s_and_saveexec_b64 s[0:1], vcc
	s_xor_b64 s[0:1], exec, s[0:1]
	s_cbranch_execz .LBB2294_108
; %bb.91:
	v_cmp_lt_i64_e32 vcc, 6, v[0:1]
	s_and_saveexec_b64 s[2:3], vcc
	s_xor_b64 s[2:3], exec, s[2:3]
	s_cbranch_execz .LBB2294_101
; %bb.92:
	v_cmp_lt_i64_e32 vcc, 7, v[0:1]
	s_and_saveexec_b64 s[4:5], vcc
	s_xor_b64 s[4:5], exec, s[4:5]
	s_cbranch_execz .LBB2294_98
; %bb.93:
	v_cmp_lt_i64_e32 vcc, 8, v[0:1]
	s_and_saveexec_b64 s[8:9], vcc
	s_xor_b64 s[8:9], exec, s[8:9]
	s_cbranch_execz .LBB2294_95
; %bb.94:
	v_mov_b32_e32 v0, 0
	s_waitcnt lgkmcnt(0)
	global_store_dword v0, v11, s[6:7]
                                        ; implicit-def: $vgpr10_vgpr11
.LBB2294_95:
	s_andn2_saveexec_b64 s[8:9], s[8:9]
	s_cbranch_execz .LBB2294_97
; %bb.96:
	v_mov_b32_e32 v0, 0
	s_waitcnt lgkmcnt(0)
	global_store_dword v0, v10, s[6:7]
.LBB2294_97:
	s_or_b64 exec, exec, s[8:9]
                                        ; implicit-def: $vgpr8_vgpr9
.LBB2294_98:
	s_andn2_saveexec_b64 s[4:5], s[4:5]
	s_cbranch_execz .LBB2294_100
; %bb.99:
	v_mov_b32_e32 v0, 0
	s_waitcnt lgkmcnt(0)
	global_store_dword v0, v9, s[6:7]
.LBB2294_100:
	s_or_b64 exec, exec, s[4:5]
                                        ; implicit-def: $vgpr4_vgpr5
                                        ; implicit-def: $vgpr0_vgpr1
                                        ; implicit-def: $vgpr8_vgpr9
.LBB2294_101:
	s_andn2_saveexec_b64 s[2:3], s[2:3]
	s_cbranch_execz .LBB2294_107
; %bb.102:
	v_cmp_lt_i64_e32 vcc, 5, v[0:1]
	s_and_saveexec_b64 s[4:5], vcc
	s_xor_b64 s[4:5], exec, s[4:5]
	s_cbranch_execz .LBB2294_104
; %bb.103:
	v_mov_b32_e32 v0, 0
	s_waitcnt lgkmcnt(0)
	global_store_dword v0, v8, s[6:7]
                                        ; implicit-def: $vgpr4_vgpr5
.LBB2294_104:
	s_andn2_saveexec_b64 s[4:5], s[4:5]
	s_cbranch_execz .LBB2294_106
; %bb.105:
	v_mov_b32_e32 v0, 0
	s_waitcnt lgkmcnt(0)
	global_store_dword v0, v5, s[6:7]
.LBB2294_106:
	s_or_b64 exec, exec, s[4:5]
.LBB2294_107:
	s_or_b64 exec, exec, s[2:3]
                                        ; implicit-def: $vgpr0_vgpr1
                                        ; implicit-def: $vgpr6_vgpr7
                                        ; implicit-def: $vgpr2_vgpr3
                                        ; implicit-def: $vgpr4_vgpr5
.LBB2294_108:
	s_andn2_saveexec_b64 s[0:1], s[0:1]
	s_cbranch_execz .LBB2294_123
; %bb.109:
	v_cmp_lt_i64_e32 vcc, 2, v[0:1]
	s_and_saveexec_b64 s[0:1], vcc
	s_xor_b64 s[0:1], exec, s[0:1]
	s_cbranch_execz .LBB2294_115
; %bb.110:
	v_cmp_lt_i64_e32 vcc, 3, v[0:1]
	s_and_saveexec_b64 s[2:3], vcc
	s_xor_b64 s[2:3], exec, s[2:3]
	s_cbranch_execz .LBB2294_112
; %bb.111:
	v_mov_b32_e32 v0, 0
	s_waitcnt lgkmcnt(0)
	global_store_dword v0, v4, s[6:7]
                                        ; implicit-def: $vgpr6_vgpr7
.LBB2294_112:
	s_andn2_saveexec_b64 s[2:3], s[2:3]
	s_cbranch_execz .LBB2294_114
; %bb.113:
	v_mov_b32_e32 v0, 0
	s_waitcnt lgkmcnt(0)
	global_store_dword v0, v7, s[6:7]
.LBB2294_114:
	s_or_b64 exec, exec, s[2:3]
                                        ; implicit-def: $vgpr0_vgpr1
                                        ; implicit-def: $vgpr6_vgpr7
                                        ; implicit-def: $vgpr2_vgpr3
.LBB2294_115:
	s_andn2_saveexec_b64 s[0:1], s[0:1]
	s_cbranch_execz .LBB2294_123
; %bb.116:
	v_cmp_lt_i64_e32 vcc, 1, v[0:1]
	s_and_saveexec_b64 s[0:1], vcc
	s_xor_b64 s[0:1], exec, s[0:1]
	s_cbranch_execz .LBB2294_118
; %bb.117:
	v_mov_b32_e32 v0, 0
	s_waitcnt lgkmcnt(0)
	global_store_dword v0, v6, s[6:7]
                                        ; implicit-def: $vgpr2_vgpr3
                                        ; implicit-def: $vgpr0_vgpr1
.LBB2294_118:
	s_andn2_saveexec_b64 s[0:1], s[0:1]
	s_cbranch_execz .LBB2294_123
; %bb.119:
	v_cmp_ne_u64_e32 vcc, 1, v[0:1]
	s_and_saveexec_b64 s[0:1], vcc
	s_xor_b64 s[0:1], exec, s[0:1]
	s_cbranch_execz .LBB2294_121
; %bb.120:
	v_mov_b32_e32 v0, 0
	s_waitcnt lgkmcnt(0)
	global_store_dword v0, v2, s[6:7]
                                        ; implicit-def: $vgpr2_vgpr3
.LBB2294_121:
	s_andn2_saveexec_b64 s[0:1], s[0:1]
	s_cbranch_execz .LBB2294_123
; %bb.122:
	v_mov_b32_e32 v0, 0
	s_waitcnt lgkmcnt(0)
	global_store_dword v0, v3, s[6:7]
.LBB2294_123:
	s_endpgm
	.section	.rodata,"a",@progbits
	.p2align	6, 0x0
	.amdhsa_kernel _ZN7rocprim17ROCPRIM_400000_NS6detail17trampoline_kernelINS0_14default_configENS1_20scan_config_selectorIjEEZZNS1_9scan_implILNS1_25lookback_scan_determinismE0ELb0ELb0ES3_N6thrust23THRUST_200600_302600_NS6detail15normal_iteratorINS9_10device_ptrIjEEEESE_j11max_functorIjEjEEDaPvRmT3_T4_T5_mT6_P12ihipStream_tbENKUlT_T0_E_clISt17integral_constantIbLb1EEST_IbLb0EEEEDaSP_SQ_EUlSP_E_NS1_11comp_targetILNS1_3genE4ELNS1_11target_archE910ELNS1_3gpuE8ELNS1_3repE0EEENS1_30default_config_static_selectorELNS0_4arch9wavefront6targetE1EEEvT1_
		.amdhsa_group_segment_fixed_size 5120
		.amdhsa_private_segment_fixed_size 0
		.amdhsa_kernarg_size 96
		.amdhsa_user_sgpr_count 6
		.amdhsa_user_sgpr_private_segment_buffer 1
		.amdhsa_user_sgpr_dispatch_ptr 0
		.amdhsa_user_sgpr_queue_ptr 0
		.amdhsa_user_sgpr_kernarg_segment_ptr 1
		.amdhsa_user_sgpr_dispatch_id 0
		.amdhsa_user_sgpr_flat_scratch_init 0
		.amdhsa_user_sgpr_kernarg_preload_length 0
		.amdhsa_user_sgpr_kernarg_preload_offset 0
		.amdhsa_user_sgpr_private_segment_size 0
		.amdhsa_uses_dynamic_stack 0
		.amdhsa_system_sgpr_private_segment_wavefront_offset 0
		.amdhsa_system_sgpr_workgroup_id_x 1
		.amdhsa_system_sgpr_workgroup_id_y 0
		.amdhsa_system_sgpr_workgroup_id_z 0
		.amdhsa_system_sgpr_workgroup_info 0
		.amdhsa_system_vgpr_workitem_id 0
		.amdhsa_next_free_vgpr 40
		.amdhsa_next_free_sgpr 28
		.amdhsa_accum_offset 40
		.amdhsa_reserve_vcc 1
		.amdhsa_reserve_flat_scratch 0
		.amdhsa_float_round_mode_32 0
		.amdhsa_float_round_mode_16_64 0
		.amdhsa_float_denorm_mode_32 3
		.amdhsa_float_denorm_mode_16_64 3
		.amdhsa_dx10_clamp 1
		.amdhsa_ieee_mode 1
		.amdhsa_fp16_overflow 0
		.amdhsa_tg_split 0
		.amdhsa_exception_fp_ieee_invalid_op 0
		.amdhsa_exception_fp_denorm_src 0
		.amdhsa_exception_fp_ieee_div_zero 0
		.amdhsa_exception_fp_ieee_overflow 0
		.amdhsa_exception_fp_ieee_underflow 0
		.amdhsa_exception_fp_ieee_inexact 0
		.amdhsa_exception_int_div_zero 0
	.end_amdhsa_kernel
	.section	.text._ZN7rocprim17ROCPRIM_400000_NS6detail17trampoline_kernelINS0_14default_configENS1_20scan_config_selectorIjEEZZNS1_9scan_implILNS1_25lookback_scan_determinismE0ELb0ELb0ES3_N6thrust23THRUST_200600_302600_NS6detail15normal_iteratorINS9_10device_ptrIjEEEESE_j11max_functorIjEjEEDaPvRmT3_T4_T5_mT6_P12ihipStream_tbENKUlT_T0_E_clISt17integral_constantIbLb1EEST_IbLb0EEEEDaSP_SQ_EUlSP_E_NS1_11comp_targetILNS1_3genE4ELNS1_11target_archE910ELNS1_3gpuE8ELNS1_3repE0EEENS1_30default_config_static_selectorELNS0_4arch9wavefront6targetE1EEEvT1_,"axG",@progbits,_ZN7rocprim17ROCPRIM_400000_NS6detail17trampoline_kernelINS0_14default_configENS1_20scan_config_selectorIjEEZZNS1_9scan_implILNS1_25lookback_scan_determinismE0ELb0ELb0ES3_N6thrust23THRUST_200600_302600_NS6detail15normal_iteratorINS9_10device_ptrIjEEEESE_j11max_functorIjEjEEDaPvRmT3_T4_T5_mT6_P12ihipStream_tbENKUlT_T0_E_clISt17integral_constantIbLb1EEST_IbLb0EEEEDaSP_SQ_EUlSP_E_NS1_11comp_targetILNS1_3genE4ELNS1_11target_archE910ELNS1_3gpuE8ELNS1_3repE0EEENS1_30default_config_static_selectorELNS0_4arch9wavefront6targetE1EEEvT1_,comdat
.Lfunc_end2294:
	.size	_ZN7rocprim17ROCPRIM_400000_NS6detail17trampoline_kernelINS0_14default_configENS1_20scan_config_selectorIjEEZZNS1_9scan_implILNS1_25lookback_scan_determinismE0ELb0ELb0ES3_N6thrust23THRUST_200600_302600_NS6detail15normal_iteratorINS9_10device_ptrIjEEEESE_j11max_functorIjEjEEDaPvRmT3_T4_T5_mT6_P12ihipStream_tbENKUlT_T0_E_clISt17integral_constantIbLb1EEST_IbLb0EEEEDaSP_SQ_EUlSP_E_NS1_11comp_targetILNS1_3genE4ELNS1_11target_archE910ELNS1_3gpuE8ELNS1_3repE0EEENS1_30default_config_static_selectorELNS0_4arch9wavefront6targetE1EEEvT1_, .Lfunc_end2294-_ZN7rocprim17ROCPRIM_400000_NS6detail17trampoline_kernelINS0_14default_configENS1_20scan_config_selectorIjEEZZNS1_9scan_implILNS1_25lookback_scan_determinismE0ELb0ELb0ES3_N6thrust23THRUST_200600_302600_NS6detail15normal_iteratorINS9_10device_ptrIjEEEESE_j11max_functorIjEjEEDaPvRmT3_T4_T5_mT6_P12ihipStream_tbENKUlT_T0_E_clISt17integral_constantIbLb1EEST_IbLb0EEEEDaSP_SQ_EUlSP_E_NS1_11comp_targetILNS1_3genE4ELNS1_11target_archE910ELNS1_3gpuE8ELNS1_3repE0EEENS1_30default_config_static_selectorELNS0_4arch9wavefront6targetE1EEEvT1_
                                        ; -- End function
	.section	.AMDGPU.csdata,"",@progbits
; Kernel info:
; codeLenInByte = 4628
; NumSgprs: 32
; NumVgprs: 40
; NumAgprs: 0
; TotalNumVgprs: 40
; ScratchSize: 0
; MemoryBound: 0
; FloatMode: 240
; IeeeMode: 1
; LDSByteSize: 5120 bytes/workgroup (compile time only)
; SGPRBlocks: 3
; VGPRBlocks: 4
; NumSGPRsForWavesPerEU: 32
; NumVGPRsForWavesPerEU: 40
; AccumOffset: 40
; Occupancy: 6
; WaveLimiterHint : 1
; COMPUTE_PGM_RSRC2:SCRATCH_EN: 0
; COMPUTE_PGM_RSRC2:USER_SGPR: 6
; COMPUTE_PGM_RSRC2:TRAP_HANDLER: 0
; COMPUTE_PGM_RSRC2:TGID_X_EN: 1
; COMPUTE_PGM_RSRC2:TGID_Y_EN: 0
; COMPUTE_PGM_RSRC2:TGID_Z_EN: 0
; COMPUTE_PGM_RSRC2:TIDIG_COMP_CNT: 0
; COMPUTE_PGM_RSRC3_GFX90A:ACCUM_OFFSET: 9
; COMPUTE_PGM_RSRC3_GFX90A:TG_SPLIT: 0
	.section	.text._ZN7rocprim17ROCPRIM_400000_NS6detail17trampoline_kernelINS0_14default_configENS1_20scan_config_selectorIjEEZZNS1_9scan_implILNS1_25lookback_scan_determinismE0ELb0ELb0ES3_N6thrust23THRUST_200600_302600_NS6detail15normal_iteratorINS9_10device_ptrIjEEEESE_j11max_functorIjEjEEDaPvRmT3_T4_T5_mT6_P12ihipStream_tbENKUlT_T0_E_clISt17integral_constantIbLb1EEST_IbLb0EEEEDaSP_SQ_EUlSP_E_NS1_11comp_targetILNS1_3genE3ELNS1_11target_archE908ELNS1_3gpuE7ELNS1_3repE0EEENS1_30default_config_static_selectorELNS0_4arch9wavefront6targetE1EEEvT1_,"axG",@progbits,_ZN7rocprim17ROCPRIM_400000_NS6detail17trampoline_kernelINS0_14default_configENS1_20scan_config_selectorIjEEZZNS1_9scan_implILNS1_25lookback_scan_determinismE0ELb0ELb0ES3_N6thrust23THRUST_200600_302600_NS6detail15normal_iteratorINS9_10device_ptrIjEEEESE_j11max_functorIjEjEEDaPvRmT3_T4_T5_mT6_P12ihipStream_tbENKUlT_T0_E_clISt17integral_constantIbLb1EEST_IbLb0EEEEDaSP_SQ_EUlSP_E_NS1_11comp_targetILNS1_3genE3ELNS1_11target_archE908ELNS1_3gpuE7ELNS1_3repE0EEENS1_30default_config_static_selectorELNS0_4arch9wavefront6targetE1EEEvT1_,comdat
	.protected	_ZN7rocprim17ROCPRIM_400000_NS6detail17trampoline_kernelINS0_14default_configENS1_20scan_config_selectorIjEEZZNS1_9scan_implILNS1_25lookback_scan_determinismE0ELb0ELb0ES3_N6thrust23THRUST_200600_302600_NS6detail15normal_iteratorINS9_10device_ptrIjEEEESE_j11max_functorIjEjEEDaPvRmT3_T4_T5_mT6_P12ihipStream_tbENKUlT_T0_E_clISt17integral_constantIbLb1EEST_IbLb0EEEEDaSP_SQ_EUlSP_E_NS1_11comp_targetILNS1_3genE3ELNS1_11target_archE908ELNS1_3gpuE7ELNS1_3repE0EEENS1_30default_config_static_selectorELNS0_4arch9wavefront6targetE1EEEvT1_ ; -- Begin function _ZN7rocprim17ROCPRIM_400000_NS6detail17trampoline_kernelINS0_14default_configENS1_20scan_config_selectorIjEEZZNS1_9scan_implILNS1_25lookback_scan_determinismE0ELb0ELb0ES3_N6thrust23THRUST_200600_302600_NS6detail15normal_iteratorINS9_10device_ptrIjEEEESE_j11max_functorIjEjEEDaPvRmT3_T4_T5_mT6_P12ihipStream_tbENKUlT_T0_E_clISt17integral_constantIbLb1EEST_IbLb0EEEEDaSP_SQ_EUlSP_E_NS1_11comp_targetILNS1_3genE3ELNS1_11target_archE908ELNS1_3gpuE7ELNS1_3repE0EEENS1_30default_config_static_selectorELNS0_4arch9wavefront6targetE1EEEvT1_
	.globl	_ZN7rocprim17ROCPRIM_400000_NS6detail17trampoline_kernelINS0_14default_configENS1_20scan_config_selectorIjEEZZNS1_9scan_implILNS1_25lookback_scan_determinismE0ELb0ELb0ES3_N6thrust23THRUST_200600_302600_NS6detail15normal_iteratorINS9_10device_ptrIjEEEESE_j11max_functorIjEjEEDaPvRmT3_T4_T5_mT6_P12ihipStream_tbENKUlT_T0_E_clISt17integral_constantIbLb1EEST_IbLb0EEEEDaSP_SQ_EUlSP_E_NS1_11comp_targetILNS1_3genE3ELNS1_11target_archE908ELNS1_3gpuE7ELNS1_3repE0EEENS1_30default_config_static_selectorELNS0_4arch9wavefront6targetE1EEEvT1_
	.p2align	8
	.type	_ZN7rocprim17ROCPRIM_400000_NS6detail17trampoline_kernelINS0_14default_configENS1_20scan_config_selectorIjEEZZNS1_9scan_implILNS1_25lookback_scan_determinismE0ELb0ELb0ES3_N6thrust23THRUST_200600_302600_NS6detail15normal_iteratorINS9_10device_ptrIjEEEESE_j11max_functorIjEjEEDaPvRmT3_T4_T5_mT6_P12ihipStream_tbENKUlT_T0_E_clISt17integral_constantIbLb1EEST_IbLb0EEEEDaSP_SQ_EUlSP_E_NS1_11comp_targetILNS1_3genE3ELNS1_11target_archE908ELNS1_3gpuE7ELNS1_3repE0EEENS1_30default_config_static_selectorELNS0_4arch9wavefront6targetE1EEEvT1_,@function
_ZN7rocprim17ROCPRIM_400000_NS6detail17trampoline_kernelINS0_14default_configENS1_20scan_config_selectorIjEEZZNS1_9scan_implILNS1_25lookback_scan_determinismE0ELb0ELb0ES3_N6thrust23THRUST_200600_302600_NS6detail15normal_iteratorINS9_10device_ptrIjEEEESE_j11max_functorIjEjEEDaPvRmT3_T4_T5_mT6_P12ihipStream_tbENKUlT_T0_E_clISt17integral_constantIbLb1EEST_IbLb0EEEEDaSP_SQ_EUlSP_E_NS1_11comp_targetILNS1_3genE3ELNS1_11target_archE908ELNS1_3gpuE7ELNS1_3repE0EEENS1_30default_config_static_selectorELNS0_4arch9wavefront6targetE1EEEvT1_: ; @_ZN7rocprim17ROCPRIM_400000_NS6detail17trampoline_kernelINS0_14default_configENS1_20scan_config_selectorIjEEZZNS1_9scan_implILNS1_25lookback_scan_determinismE0ELb0ELb0ES3_N6thrust23THRUST_200600_302600_NS6detail15normal_iteratorINS9_10device_ptrIjEEEESE_j11max_functorIjEjEEDaPvRmT3_T4_T5_mT6_P12ihipStream_tbENKUlT_T0_E_clISt17integral_constantIbLb1EEST_IbLb0EEEEDaSP_SQ_EUlSP_E_NS1_11comp_targetILNS1_3genE3ELNS1_11target_archE908ELNS1_3gpuE7ELNS1_3repE0EEENS1_30default_config_static_selectorELNS0_4arch9wavefront6targetE1EEEvT1_
; %bb.0:
	.section	.rodata,"a",@progbits
	.p2align	6, 0x0
	.amdhsa_kernel _ZN7rocprim17ROCPRIM_400000_NS6detail17trampoline_kernelINS0_14default_configENS1_20scan_config_selectorIjEEZZNS1_9scan_implILNS1_25lookback_scan_determinismE0ELb0ELb0ES3_N6thrust23THRUST_200600_302600_NS6detail15normal_iteratorINS9_10device_ptrIjEEEESE_j11max_functorIjEjEEDaPvRmT3_T4_T5_mT6_P12ihipStream_tbENKUlT_T0_E_clISt17integral_constantIbLb1EEST_IbLb0EEEEDaSP_SQ_EUlSP_E_NS1_11comp_targetILNS1_3genE3ELNS1_11target_archE908ELNS1_3gpuE7ELNS1_3repE0EEENS1_30default_config_static_selectorELNS0_4arch9wavefront6targetE1EEEvT1_
		.amdhsa_group_segment_fixed_size 0
		.amdhsa_private_segment_fixed_size 0
		.amdhsa_kernarg_size 96
		.amdhsa_user_sgpr_count 6
		.amdhsa_user_sgpr_private_segment_buffer 1
		.amdhsa_user_sgpr_dispatch_ptr 0
		.amdhsa_user_sgpr_queue_ptr 0
		.amdhsa_user_sgpr_kernarg_segment_ptr 1
		.amdhsa_user_sgpr_dispatch_id 0
		.amdhsa_user_sgpr_flat_scratch_init 0
		.amdhsa_user_sgpr_kernarg_preload_length 0
		.amdhsa_user_sgpr_kernarg_preload_offset 0
		.amdhsa_user_sgpr_private_segment_size 0
		.amdhsa_uses_dynamic_stack 0
		.amdhsa_system_sgpr_private_segment_wavefront_offset 0
		.amdhsa_system_sgpr_workgroup_id_x 1
		.amdhsa_system_sgpr_workgroup_id_y 0
		.amdhsa_system_sgpr_workgroup_id_z 0
		.amdhsa_system_sgpr_workgroup_info 0
		.amdhsa_system_vgpr_workitem_id 0
		.amdhsa_next_free_vgpr 1
		.amdhsa_next_free_sgpr 0
		.amdhsa_accum_offset 4
		.amdhsa_reserve_vcc 0
		.amdhsa_reserve_flat_scratch 0
		.amdhsa_float_round_mode_32 0
		.amdhsa_float_round_mode_16_64 0
		.amdhsa_float_denorm_mode_32 3
		.amdhsa_float_denorm_mode_16_64 3
		.amdhsa_dx10_clamp 1
		.amdhsa_ieee_mode 1
		.amdhsa_fp16_overflow 0
		.amdhsa_tg_split 0
		.amdhsa_exception_fp_ieee_invalid_op 0
		.amdhsa_exception_fp_denorm_src 0
		.amdhsa_exception_fp_ieee_div_zero 0
		.amdhsa_exception_fp_ieee_overflow 0
		.amdhsa_exception_fp_ieee_underflow 0
		.amdhsa_exception_fp_ieee_inexact 0
		.amdhsa_exception_int_div_zero 0
	.end_amdhsa_kernel
	.section	.text._ZN7rocprim17ROCPRIM_400000_NS6detail17trampoline_kernelINS0_14default_configENS1_20scan_config_selectorIjEEZZNS1_9scan_implILNS1_25lookback_scan_determinismE0ELb0ELb0ES3_N6thrust23THRUST_200600_302600_NS6detail15normal_iteratorINS9_10device_ptrIjEEEESE_j11max_functorIjEjEEDaPvRmT3_T4_T5_mT6_P12ihipStream_tbENKUlT_T0_E_clISt17integral_constantIbLb1EEST_IbLb0EEEEDaSP_SQ_EUlSP_E_NS1_11comp_targetILNS1_3genE3ELNS1_11target_archE908ELNS1_3gpuE7ELNS1_3repE0EEENS1_30default_config_static_selectorELNS0_4arch9wavefront6targetE1EEEvT1_,"axG",@progbits,_ZN7rocprim17ROCPRIM_400000_NS6detail17trampoline_kernelINS0_14default_configENS1_20scan_config_selectorIjEEZZNS1_9scan_implILNS1_25lookback_scan_determinismE0ELb0ELb0ES3_N6thrust23THRUST_200600_302600_NS6detail15normal_iteratorINS9_10device_ptrIjEEEESE_j11max_functorIjEjEEDaPvRmT3_T4_T5_mT6_P12ihipStream_tbENKUlT_T0_E_clISt17integral_constantIbLb1EEST_IbLb0EEEEDaSP_SQ_EUlSP_E_NS1_11comp_targetILNS1_3genE3ELNS1_11target_archE908ELNS1_3gpuE7ELNS1_3repE0EEENS1_30default_config_static_selectorELNS0_4arch9wavefront6targetE1EEEvT1_,comdat
.Lfunc_end2295:
	.size	_ZN7rocprim17ROCPRIM_400000_NS6detail17trampoline_kernelINS0_14default_configENS1_20scan_config_selectorIjEEZZNS1_9scan_implILNS1_25lookback_scan_determinismE0ELb0ELb0ES3_N6thrust23THRUST_200600_302600_NS6detail15normal_iteratorINS9_10device_ptrIjEEEESE_j11max_functorIjEjEEDaPvRmT3_T4_T5_mT6_P12ihipStream_tbENKUlT_T0_E_clISt17integral_constantIbLb1EEST_IbLb0EEEEDaSP_SQ_EUlSP_E_NS1_11comp_targetILNS1_3genE3ELNS1_11target_archE908ELNS1_3gpuE7ELNS1_3repE0EEENS1_30default_config_static_selectorELNS0_4arch9wavefront6targetE1EEEvT1_, .Lfunc_end2295-_ZN7rocprim17ROCPRIM_400000_NS6detail17trampoline_kernelINS0_14default_configENS1_20scan_config_selectorIjEEZZNS1_9scan_implILNS1_25lookback_scan_determinismE0ELb0ELb0ES3_N6thrust23THRUST_200600_302600_NS6detail15normal_iteratorINS9_10device_ptrIjEEEESE_j11max_functorIjEjEEDaPvRmT3_T4_T5_mT6_P12ihipStream_tbENKUlT_T0_E_clISt17integral_constantIbLb1EEST_IbLb0EEEEDaSP_SQ_EUlSP_E_NS1_11comp_targetILNS1_3genE3ELNS1_11target_archE908ELNS1_3gpuE7ELNS1_3repE0EEENS1_30default_config_static_selectorELNS0_4arch9wavefront6targetE1EEEvT1_
                                        ; -- End function
	.section	.AMDGPU.csdata,"",@progbits
; Kernel info:
; codeLenInByte = 0
; NumSgprs: 4
; NumVgprs: 0
; NumAgprs: 0
; TotalNumVgprs: 0
; ScratchSize: 0
; MemoryBound: 0
; FloatMode: 240
; IeeeMode: 1
; LDSByteSize: 0 bytes/workgroup (compile time only)
; SGPRBlocks: 0
; VGPRBlocks: 0
; NumSGPRsForWavesPerEU: 4
; NumVGPRsForWavesPerEU: 1
; AccumOffset: 4
; Occupancy: 8
; WaveLimiterHint : 0
; COMPUTE_PGM_RSRC2:SCRATCH_EN: 0
; COMPUTE_PGM_RSRC2:USER_SGPR: 6
; COMPUTE_PGM_RSRC2:TRAP_HANDLER: 0
; COMPUTE_PGM_RSRC2:TGID_X_EN: 1
; COMPUTE_PGM_RSRC2:TGID_Y_EN: 0
; COMPUTE_PGM_RSRC2:TGID_Z_EN: 0
; COMPUTE_PGM_RSRC2:TIDIG_COMP_CNT: 0
; COMPUTE_PGM_RSRC3_GFX90A:ACCUM_OFFSET: 0
; COMPUTE_PGM_RSRC3_GFX90A:TG_SPLIT: 0
	.section	.text._ZN7rocprim17ROCPRIM_400000_NS6detail17trampoline_kernelINS0_14default_configENS1_20scan_config_selectorIjEEZZNS1_9scan_implILNS1_25lookback_scan_determinismE0ELb0ELb0ES3_N6thrust23THRUST_200600_302600_NS6detail15normal_iteratorINS9_10device_ptrIjEEEESE_j11max_functorIjEjEEDaPvRmT3_T4_T5_mT6_P12ihipStream_tbENKUlT_T0_E_clISt17integral_constantIbLb1EEST_IbLb0EEEEDaSP_SQ_EUlSP_E_NS1_11comp_targetILNS1_3genE2ELNS1_11target_archE906ELNS1_3gpuE6ELNS1_3repE0EEENS1_30default_config_static_selectorELNS0_4arch9wavefront6targetE1EEEvT1_,"axG",@progbits,_ZN7rocprim17ROCPRIM_400000_NS6detail17trampoline_kernelINS0_14default_configENS1_20scan_config_selectorIjEEZZNS1_9scan_implILNS1_25lookback_scan_determinismE0ELb0ELb0ES3_N6thrust23THRUST_200600_302600_NS6detail15normal_iteratorINS9_10device_ptrIjEEEESE_j11max_functorIjEjEEDaPvRmT3_T4_T5_mT6_P12ihipStream_tbENKUlT_T0_E_clISt17integral_constantIbLb1EEST_IbLb0EEEEDaSP_SQ_EUlSP_E_NS1_11comp_targetILNS1_3genE2ELNS1_11target_archE906ELNS1_3gpuE6ELNS1_3repE0EEENS1_30default_config_static_selectorELNS0_4arch9wavefront6targetE1EEEvT1_,comdat
	.protected	_ZN7rocprim17ROCPRIM_400000_NS6detail17trampoline_kernelINS0_14default_configENS1_20scan_config_selectorIjEEZZNS1_9scan_implILNS1_25lookback_scan_determinismE0ELb0ELb0ES3_N6thrust23THRUST_200600_302600_NS6detail15normal_iteratorINS9_10device_ptrIjEEEESE_j11max_functorIjEjEEDaPvRmT3_T4_T5_mT6_P12ihipStream_tbENKUlT_T0_E_clISt17integral_constantIbLb1EEST_IbLb0EEEEDaSP_SQ_EUlSP_E_NS1_11comp_targetILNS1_3genE2ELNS1_11target_archE906ELNS1_3gpuE6ELNS1_3repE0EEENS1_30default_config_static_selectorELNS0_4arch9wavefront6targetE1EEEvT1_ ; -- Begin function _ZN7rocprim17ROCPRIM_400000_NS6detail17trampoline_kernelINS0_14default_configENS1_20scan_config_selectorIjEEZZNS1_9scan_implILNS1_25lookback_scan_determinismE0ELb0ELb0ES3_N6thrust23THRUST_200600_302600_NS6detail15normal_iteratorINS9_10device_ptrIjEEEESE_j11max_functorIjEjEEDaPvRmT3_T4_T5_mT6_P12ihipStream_tbENKUlT_T0_E_clISt17integral_constantIbLb1EEST_IbLb0EEEEDaSP_SQ_EUlSP_E_NS1_11comp_targetILNS1_3genE2ELNS1_11target_archE906ELNS1_3gpuE6ELNS1_3repE0EEENS1_30default_config_static_selectorELNS0_4arch9wavefront6targetE1EEEvT1_
	.globl	_ZN7rocprim17ROCPRIM_400000_NS6detail17trampoline_kernelINS0_14default_configENS1_20scan_config_selectorIjEEZZNS1_9scan_implILNS1_25lookback_scan_determinismE0ELb0ELb0ES3_N6thrust23THRUST_200600_302600_NS6detail15normal_iteratorINS9_10device_ptrIjEEEESE_j11max_functorIjEjEEDaPvRmT3_T4_T5_mT6_P12ihipStream_tbENKUlT_T0_E_clISt17integral_constantIbLb1EEST_IbLb0EEEEDaSP_SQ_EUlSP_E_NS1_11comp_targetILNS1_3genE2ELNS1_11target_archE906ELNS1_3gpuE6ELNS1_3repE0EEENS1_30default_config_static_selectorELNS0_4arch9wavefront6targetE1EEEvT1_
	.p2align	8
	.type	_ZN7rocprim17ROCPRIM_400000_NS6detail17trampoline_kernelINS0_14default_configENS1_20scan_config_selectorIjEEZZNS1_9scan_implILNS1_25lookback_scan_determinismE0ELb0ELb0ES3_N6thrust23THRUST_200600_302600_NS6detail15normal_iteratorINS9_10device_ptrIjEEEESE_j11max_functorIjEjEEDaPvRmT3_T4_T5_mT6_P12ihipStream_tbENKUlT_T0_E_clISt17integral_constantIbLb1EEST_IbLb0EEEEDaSP_SQ_EUlSP_E_NS1_11comp_targetILNS1_3genE2ELNS1_11target_archE906ELNS1_3gpuE6ELNS1_3repE0EEENS1_30default_config_static_selectorELNS0_4arch9wavefront6targetE1EEEvT1_,@function
_ZN7rocprim17ROCPRIM_400000_NS6detail17trampoline_kernelINS0_14default_configENS1_20scan_config_selectorIjEEZZNS1_9scan_implILNS1_25lookback_scan_determinismE0ELb0ELb0ES3_N6thrust23THRUST_200600_302600_NS6detail15normal_iteratorINS9_10device_ptrIjEEEESE_j11max_functorIjEjEEDaPvRmT3_T4_T5_mT6_P12ihipStream_tbENKUlT_T0_E_clISt17integral_constantIbLb1EEST_IbLb0EEEEDaSP_SQ_EUlSP_E_NS1_11comp_targetILNS1_3genE2ELNS1_11target_archE906ELNS1_3gpuE6ELNS1_3repE0EEENS1_30default_config_static_selectorELNS0_4arch9wavefront6targetE1EEEvT1_: ; @_ZN7rocprim17ROCPRIM_400000_NS6detail17trampoline_kernelINS0_14default_configENS1_20scan_config_selectorIjEEZZNS1_9scan_implILNS1_25lookback_scan_determinismE0ELb0ELb0ES3_N6thrust23THRUST_200600_302600_NS6detail15normal_iteratorINS9_10device_ptrIjEEEESE_j11max_functorIjEjEEDaPvRmT3_T4_T5_mT6_P12ihipStream_tbENKUlT_T0_E_clISt17integral_constantIbLb1EEST_IbLb0EEEEDaSP_SQ_EUlSP_E_NS1_11comp_targetILNS1_3genE2ELNS1_11target_archE906ELNS1_3gpuE6ELNS1_3repE0EEENS1_30default_config_static_selectorELNS0_4arch9wavefront6targetE1EEEvT1_
; %bb.0:
	.section	.rodata,"a",@progbits
	.p2align	6, 0x0
	.amdhsa_kernel _ZN7rocprim17ROCPRIM_400000_NS6detail17trampoline_kernelINS0_14default_configENS1_20scan_config_selectorIjEEZZNS1_9scan_implILNS1_25lookback_scan_determinismE0ELb0ELb0ES3_N6thrust23THRUST_200600_302600_NS6detail15normal_iteratorINS9_10device_ptrIjEEEESE_j11max_functorIjEjEEDaPvRmT3_T4_T5_mT6_P12ihipStream_tbENKUlT_T0_E_clISt17integral_constantIbLb1EEST_IbLb0EEEEDaSP_SQ_EUlSP_E_NS1_11comp_targetILNS1_3genE2ELNS1_11target_archE906ELNS1_3gpuE6ELNS1_3repE0EEENS1_30default_config_static_selectorELNS0_4arch9wavefront6targetE1EEEvT1_
		.amdhsa_group_segment_fixed_size 0
		.amdhsa_private_segment_fixed_size 0
		.amdhsa_kernarg_size 96
		.amdhsa_user_sgpr_count 6
		.amdhsa_user_sgpr_private_segment_buffer 1
		.amdhsa_user_sgpr_dispatch_ptr 0
		.amdhsa_user_sgpr_queue_ptr 0
		.amdhsa_user_sgpr_kernarg_segment_ptr 1
		.amdhsa_user_sgpr_dispatch_id 0
		.amdhsa_user_sgpr_flat_scratch_init 0
		.amdhsa_user_sgpr_kernarg_preload_length 0
		.amdhsa_user_sgpr_kernarg_preload_offset 0
		.amdhsa_user_sgpr_private_segment_size 0
		.amdhsa_uses_dynamic_stack 0
		.amdhsa_system_sgpr_private_segment_wavefront_offset 0
		.amdhsa_system_sgpr_workgroup_id_x 1
		.amdhsa_system_sgpr_workgroup_id_y 0
		.amdhsa_system_sgpr_workgroup_id_z 0
		.amdhsa_system_sgpr_workgroup_info 0
		.amdhsa_system_vgpr_workitem_id 0
		.amdhsa_next_free_vgpr 1
		.amdhsa_next_free_sgpr 0
		.amdhsa_accum_offset 4
		.amdhsa_reserve_vcc 0
		.amdhsa_reserve_flat_scratch 0
		.amdhsa_float_round_mode_32 0
		.amdhsa_float_round_mode_16_64 0
		.amdhsa_float_denorm_mode_32 3
		.amdhsa_float_denorm_mode_16_64 3
		.amdhsa_dx10_clamp 1
		.amdhsa_ieee_mode 1
		.amdhsa_fp16_overflow 0
		.amdhsa_tg_split 0
		.amdhsa_exception_fp_ieee_invalid_op 0
		.amdhsa_exception_fp_denorm_src 0
		.amdhsa_exception_fp_ieee_div_zero 0
		.amdhsa_exception_fp_ieee_overflow 0
		.amdhsa_exception_fp_ieee_underflow 0
		.amdhsa_exception_fp_ieee_inexact 0
		.amdhsa_exception_int_div_zero 0
	.end_amdhsa_kernel
	.section	.text._ZN7rocprim17ROCPRIM_400000_NS6detail17trampoline_kernelINS0_14default_configENS1_20scan_config_selectorIjEEZZNS1_9scan_implILNS1_25lookback_scan_determinismE0ELb0ELb0ES3_N6thrust23THRUST_200600_302600_NS6detail15normal_iteratorINS9_10device_ptrIjEEEESE_j11max_functorIjEjEEDaPvRmT3_T4_T5_mT6_P12ihipStream_tbENKUlT_T0_E_clISt17integral_constantIbLb1EEST_IbLb0EEEEDaSP_SQ_EUlSP_E_NS1_11comp_targetILNS1_3genE2ELNS1_11target_archE906ELNS1_3gpuE6ELNS1_3repE0EEENS1_30default_config_static_selectorELNS0_4arch9wavefront6targetE1EEEvT1_,"axG",@progbits,_ZN7rocprim17ROCPRIM_400000_NS6detail17trampoline_kernelINS0_14default_configENS1_20scan_config_selectorIjEEZZNS1_9scan_implILNS1_25lookback_scan_determinismE0ELb0ELb0ES3_N6thrust23THRUST_200600_302600_NS6detail15normal_iteratorINS9_10device_ptrIjEEEESE_j11max_functorIjEjEEDaPvRmT3_T4_T5_mT6_P12ihipStream_tbENKUlT_T0_E_clISt17integral_constantIbLb1EEST_IbLb0EEEEDaSP_SQ_EUlSP_E_NS1_11comp_targetILNS1_3genE2ELNS1_11target_archE906ELNS1_3gpuE6ELNS1_3repE0EEENS1_30default_config_static_selectorELNS0_4arch9wavefront6targetE1EEEvT1_,comdat
.Lfunc_end2296:
	.size	_ZN7rocprim17ROCPRIM_400000_NS6detail17trampoline_kernelINS0_14default_configENS1_20scan_config_selectorIjEEZZNS1_9scan_implILNS1_25lookback_scan_determinismE0ELb0ELb0ES3_N6thrust23THRUST_200600_302600_NS6detail15normal_iteratorINS9_10device_ptrIjEEEESE_j11max_functorIjEjEEDaPvRmT3_T4_T5_mT6_P12ihipStream_tbENKUlT_T0_E_clISt17integral_constantIbLb1EEST_IbLb0EEEEDaSP_SQ_EUlSP_E_NS1_11comp_targetILNS1_3genE2ELNS1_11target_archE906ELNS1_3gpuE6ELNS1_3repE0EEENS1_30default_config_static_selectorELNS0_4arch9wavefront6targetE1EEEvT1_, .Lfunc_end2296-_ZN7rocprim17ROCPRIM_400000_NS6detail17trampoline_kernelINS0_14default_configENS1_20scan_config_selectorIjEEZZNS1_9scan_implILNS1_25lookback_scan_determinismE0ELb0ELb0ES3_N6thrust23THRUST_200600_302600_NS6detail15normal_iteratorINS9_10device_ptrIjEEEESE_j11max_functorIjEjEEDaPvRmT3_T4_T5_mT6_P12ihipStream_tbENKUlT_T0_E_clISt17integral_constantIbLb1EEST_IbLb0EEEEDaSP_SQ_EUlSP_E_NS1_11comp_targetILNS1_3genE2ELNS1_11target_archE906ELNS1_3gpuE6ELNS1_3repE0EEENS1_30default_config_static_selectorELNS0_4arch9wavefront6targetE1EEEvT1_
                                        ; -- End function
	.section	.AMDGPU.csdata,"",@progbits
; Kernel info:
; codeLenInByte = 0
; NumSgprs: 4
; NumVgprs: 0
; NumAgprs: 0
; TotalNumVgprs: 0
; ScratchSize: 0
; MemoryBound: 0
; FloatMode: 240
; IeeeMode: 1
; LDSByteSize: 0 bytes/workgroup (compile time only)
; SGPRBlocks: 0
; VGPRBlocks: 0
; NumSGPRsForWavesPerEU: 4
; NumVGPRsForWavesPerEU: 1
; AccumOffset: 4
; Occupancy: 8
; WaveLimiterHint : 0
; COMPUTE_PGM_RSRC2:SCRATCH_EN: 0
; COMPUTE_PGM_RSRC2:USER_SGPR: 6
; COMPUTE_PGM_RSRC2:TRAP_HANDLER: 0
; COMPUTE_PGM_RSRC2:TGID_X_EN: 1
; COMPUTE_PGM_RSRC2:TGID_Y_EN: 0
; COMPUTE_PGM_RSRC2:TGID_Z_EN: 0
; COMPUTE_PGM_RSRC2:TIDIG_COMP_CNT: 0
; COMPUTE_PGM_RSRC3_GFX90A:ACCUM_OFFSET: 0
; COMPUTE_PGM_RSRC3_GFX90A:TG_SPLIT: 0
	.section	.text._ZN7rocprim17ROCPRIM_400000_NS6detail17trampoline_kernelINS0_14default_configENS1_20scan_config_selectorIjEEZZNS1_9scan_implILNS1_25lookback_scan_determinismE0ELb0ELb0ES3_N6thrust23THRUST_200600_302600_NS6detail15normal_iteratorINS9_10device_ptrIjEEEESE_j11max_functorIjEjEEDaPvRmT3_T4_T5_mT6_P12ihipStream_tbENKUlT_T0_E_clISt17integral_constantIbLb1EEST_IbLb0EEEEDaSP_SQ_EUlSP_E_NS1_11comp_targetILNS1_3genE10ELNS1_11target_archE1201ELNS1_3gpuE5ELNS1_3repE0EEENS1_30default_config_static_selectorELNS0_4arch9wavefront6targetE1EEEvT1_,"axG",@progbits,_ZN7rocprim17ROCPRIM_400000_NS6detail17trampoline_kernelINS0_14default_configENS1_20scan_config_selectorIjEEZZNS1_9scan_implILNS1_25lookback_scan_determinismE0ELb0ELb0ES3_N6thrust23THRUST_200600_302600_NS6detail15normal_iteratorINS9_10device_ptrIjEEEESE_j11max_functorIjEjEEDaPvRmT3_T4_T5_mT6_P12ihipStream_tbENKUlT_T0_E_clISt17integral_constantIbLb1EEST_IbLb0EEEEDaSP_SQ_EUlSP_E_NS1_11comp_targetILNS1_3genE10ELNS1_11target_archE1201ELNS1_3gpuE5ELNS1_3repE0EEENS1_30default_config_static_selectorELNS0_4arch9wavefront6targetE1EEEvT1_,comdat
	.protected	_ZN7rocprim17ROCPRIM_400000_NS6detail17trampoline_kernelINS0_14default_configENS1_20scan_config_selectorIjEEZZNS1_9scan_implILNS1_25lookback_scan_determinismE0ELb0ELb0ES3_N6thrust23THRUST_200600_302600_NS6detail15normal_iteratorINS9_10device_ptrIjEEEESE_j11max_functorIjEjEEDaPvRmT3_T4_T5_mT6_P12ihipStream_tbENKUlT_T0_E_clISt17integral_constantIbLb1EEST_IbLb0EEEEDaSP_SQ_EUlSP_E_NS1_11comp_targetILNS1_3genE10ELNS1_11target_archE1201ELNS1_3gpuE5ELNS1_3repE0EEENS1_30default_config_static_selectorELNS0_4arch9wavefront6targetE1EEEvT1_ ; -- Begin function _ZN7rocprim17ROCPRIM_400000_NS6detail17trampoline_kernelINS0_14default_configENS1_20scan_config_selectorIjEEZZNS1_9scan_implILNS1_25lookback_scan_determinismE0ELb0ELb0ES3_N6thrust23THRUST_200600_302600_NS6detail15normal_iteratorINS9_10device_ptrIjEEEESE_j11max_functorIjEjEEDaPvRmT3_T4_T5_mT6_P12ihipStream_tbENKUlT_T0_E_clISt17integral_constantIbLb1EEST_IbLb0EEEEDaSP_SQ_EUlSP_E_NS1_11comp_targetILNS1_3genE10ELNS1_11target_archE1201ELNS1_3gpuE5ELNS1_3repE0EEENS1_30default_config_static_selectorELNS0_4arch9wavefront6targetE1EEEvT1_
	.globl	_ZN7rocprim17ROCPRIM_400000_NS6detail17trampoline_kernelINS0_14default_configENS1_20scan_config_selectorIjEEZZNS1_9scan_implILNS1_25lookback_scan_determinismE0ELb0ELb0ES3_N6thrust23THRUST_200600_302600_NS6detail15normal_iteratorINS9_10device_ptrIjEEEESE_j11max_functorIjEjEEDaPvRmT3_T4_T5_mT6_P12ihipStream_tbENKUlT_T0_E_clISt17integral_constantIbLb1EEST_IbLb0EEEEDaSP_SQ_EUlSP_E_NS1_11comp_targetILNS1_3genE10ELNS1_11target_archE1201ELNS1_3gpuE5ELNS1_3repE0EEENS1_30default_config_static_selectorELNS0_4arch9wavefront6targetE1EEEvT1_
	.p2align	8
	.type	_ZN7rocprim17ROCPRIM_400000_NS6detail17trampoline_kernelINS0_14default_configENS1_20scan_config_selectorIjEEZZNS1_9scan_implILNS1_25lookback_scan_determinismE0ELb0ELb0ES3_N6thrust23THRUST_200600_302600_NS6detail15normal_iteratorINS9_10device_ptrIjEEEESE_j11max_functorIjEjEEDaPvRmT3_T4_T5_mT6_P12ihipStream_tbENKUlT_T0_E_clISt17integral_constantIbLb1EEST_IbLb0EEEEDaSP_SQ_EUlSP_E_NS1_11comp_targetILNS1_3genE10ELNS1_11target_archE1201ELNS1_3gpuE5ELNS1_3repE0EEENS1_30default_config_static_selectorELNS0_4arch9wavefront6targetE1EEEvT1_,@function
_ZN7rocprim17ROCPRIM_400000_NS6detail17trampoline_kernelINS0_14default_configENS1_20scan_config_selectorIjEEZZNS1_9scan_implILNS1_25lookback_scan_determinismE0ELb0ELb0ES3_N6thrust23THRUST_200600_302600_NS6detail15normal_iteratorINS9_10device_ptrIjEEEESE_j11max_functorIjEjEEDaPvRmT3_T4_T5_mT6_P12ihipStream_tbENKUlT_T0_E_clISt17integral_constantIbLb1EEST_IbLb0EEEEDaSP_SQ_EUlSP_E_NS1_11comp_targetILNS1_3genE10ELNS1_11target_archE1201ELNS1_3gpuE5ELNS1_3repE0EEENS1_30default_config_static_selectorELNS0_4arch9wavefront6targetE1EEEvT1_: ; @_ZN7rocprim17ROCPRIM_400000_NS6detail17trampoline_kernelINS0_14default_configENS1_20scan_config_selectorIjEEZZNS1_9scan_implILNS1_25lookback_scan_determinismE0ELb0ELb0ES3_N6thrust23THRUST_200600_302600_NS6detail15normal_iteratorINS9_10device_ptrIjEEEESE_j11max_functorIjEjEEDaPvRmT3_T4_T5_mT6_P12ihipStream_tbENKUlT_T0_E_clISt17integral_constantIbLb1EEST_IbLb0EEEEDaSP_SQ_EUlSP_E_NS1_11comp_targetILNS1_3genE10ELNS1_11target_archE1201ELNS1_3gpuE5ELNS1_3repE0EEENS1_30default_config_static_selectorELNS0_4arch9wavefront6targetE1EEEvT1_
; %bb.0:
	.section	.rodata,"a",@progbits
	.p2align	6, 0x0
	.amdhsa_kernel _ZN7rocprim17ROCPRIM_400000_NS6detail17trampoline_kernelINS0_14default_configENS1_20scan_config_selectorIjEEZZNS1_9scan_implILNS1_25lookback_scan_determinismE0ELb0ELb0ES3_N6thrust23THRUST_200600_302600_NS6detail15normal_iteratorINS9_10device_ptrIjEEEESE_j11max_functorIjEjEEDaPvRmT3_T4_T5_mT6_P12ihipStream_tbENKUlT_T0_E_clISt17integral_constantIbLb1EEST_IbLb0EEEEDaSP_SQ_EUlSP_E_NS1_11comp_targetILNS1_3genE10ELNS1_11target_archE1201ELNS1_3gpuE5ELNS1_3repE0EEENS1_30default_config_static_selectorELNS0_4arch9wavefront6targetE1EEEvT1_
		.amdhsa_group_segment_fixed_size 0
		.amdhsa_private_segment_fixed_size 0
		.amdhsa_kernarg_size 96
		.amdhsa_user_sgpr_count 6
		.amdhsa_user_sgpr_private_segment_buffer 1
		.amdhsa_user_sgpr_dispatch_ptr 0
		.amdhsa_user_sgpr_queue_ptr 0
		.amdhsa_user_sgpr_kernarg_segment_ptr 1
		.amdhsa_user_sgpr_dispatch_id 0
		.amdhsa_user_sgpr_flat_scratch_init 0
		.amdhsa_user_sgpr_kernarg_preload_length 0
		.amdhsa_user_sgpr_kernarg_preload_offset 0
		.amdhsa_user_sgpr_private_segment_size 0
		.amdhsa_uses_dynamic_stack 0
		.amdhsa_system_sgpr_private_segment_wavefront_offset 0
		.amdhsa_system_sgpr_workgroup_id_x 1
		.amdhsa_system_sgpr_workgroup_id_y 0
		.amdhsa_system_sgpr_workgroup_id_z 0
		.amdhsa_system_sgpr_workgroup_info 0
		.amdhsa_system_vgpr_workitem_id 0
		.amdhsa_next_free_vgpr 1
		.amdhsa_next_free_sgpr 0
		.amdhsa_accum_offset 4
		.amdhsa_reserve_vcc 0
		.amdhsa_reserve_flat_scratch 0
		.amdhsa_float_round_mode_32 0
		.amdhsa_float_round_mode_16_64 0
		.amdhsa_float_denorm_mode_32 3
		.amdhsa_float_denorm_mode_16_64 3
		.amdhsa_dx10_clamp 1
		.amdhsa_ieee_mode 1
		.amdhsa_fp16_overflow 0
		.amdhsa_tg_split 0
		.amdhsa_exception_fp_ieee_invalid_op 0
		.amdhsa_exception_fp_denorm_src 0
		.amdhsa_exception_fp_ieee_div_zero 0
		.amdhsa_exception_fp_ieee_overflow 0
		.amdhsa_exception_fp_ieee_underflow 0
		.amdhsa_exception_fp_ieee_inexact 0
		.amdhsa_exception_int_div_zero 0
	.end_amdhsa_kernel
	.section	.text._ZN7rocprim17ROCPRIM_400000_NS6detail17trampoline_kernelINS0_14default_configENS1_20scan_config_selectorIjEEZZNS1_9scan_implILNS1_25lookback_scan_determinismE0ELb0ELb0ES3_N6thrust23THRUST_200600_302600_NS6detail15normal_iteratorINS9_10device_ptrIjEEEESE_j11max_functorIjEjEEDaPvRmT3_T4_T5_mT6_P12ihipStream_tbENKUlT_T0_E_clISt17integral_constantIbLb1EEST_IbLb0EEEEDaSP_SQ_EUlSP_E_NS1_11comp_targetILNS1_3genE10ELNS1_11target_archE1201ELNS1_3gpuE5ELNS1_3repE0EEENS1_30default_config_static_selectorELNS0_4arch9wavefront6targetE1EEEvT1_,"axG",@progbits,_ZN7rocprim17ROCPRIM_400000_NS6detail17trampoline_kernelINS0_14default_configENS1_20scan_config_selectorIjEEZZNS1_9scan_implILNS1_25lookback_scan_determinismE0ELb0ELb0ES3_N6thrust23THRUST_200600_302600_NS6detail15normal_iteratorINS9_10device_ptrIjEEEESE_j11max_functorIjEjEEDaPvRmT3_T4_T5_mT6_P12ihipStream_tbENKUlT_T0_E_clISt17integral_constantIbLb1EEST_IbLb0EEEEDaSP_SQ_EUlSP_E_NS1_11comp_targetILNS1_3genE10ELNS1_11target_archE1201ELNS1_3gpuE5ELNS1_3repE0EEENS1_30default_config_static_selectorELNS0_4arch9wavefront6targetE1EEEvT1_,comdat
.Lfunc_end2297:
	.size	_ZN7rocprim17ROCPRIM_400000_NS6detail17trampoline_kernelINS0_14default_configENS1_20scan_config_selectorIjEEZZNS1_9scan_implILNS1_25lookback_scan_determinismE0ELb0ELb0ES3_N6thrust23THRUST_200600_302600_NS6detail15normal_iteratorINS9_10device_ptrIjEEEESE_j11max_functorIjEjEEDaPvRmT3_T4_T5_mT6_P12ihipStream_tbENKUlT_T0_E_clISt17integral_constantIbLb1EEST_IbLb0EEEEDaSP_SQ_EUlSP_E_NS1_11comp_targetILNS1_3genE10ELNS1_11target_archE1201ELNS1_3gpuE5ELNS1_3repE0EEENS1_30default_config_static_selectorELNS0_4arch9wavefront6targetE1EEEvT1_, .Lfunc_end2297-_ZN7rocprim17ROCPRIM_400000_NS6detail17trampoline_kernelINS0_14default_configENS1_20scan_config_selectorIjEEZZNS1_9scan_implILNS1_25lookback_scan_determinismE0ELb0ELb0ES3_N6thrust23THRUST_200600_302600_NS6detail15normal_iteratorINS9_10device_ptrIjEEEESE_j11max_functorIjEjEEDaPvRmT3_T4_T5_mT6_P12ihipStream_tbENKUlT_T0_E_clISt17integral_constantIbLb1EEST_IbLb0EEEEDaSP_SQ_EUlSP_E_NS1_11comp_targetILNS1_3genE10ELNS1_11target_archE1201ELNS1_3gpuE5ELNS1_3repE0EEENS1_30default_config_static_selectorELNS0_4arch9wavefront6targetE1EEEvT1_
                                        ; -- End function
	.section	.AMDGPU.csdata,"",@progbits
; Kernel info:
; codeLenInByte = 0
; NumSgprs: 4
; NumVgprs: 0
; NumAgprs: 0
; TotalNumVgprs: 0
; ScratchSize: 0
; MemoryBound: 0
; FloatMode: 240
; IeeeMode: 1
; LDSByteSize: 0 bytes/workgroup (compile time only)
; SGPRBlocks: 0
; VGPRBlocks: 0
; NumSGPRsForWavesPerEU: 4
; NumVGPRsForWavesPerEU: 1
; AccumOffset: 4
; Occupancy: 8
; WaveLimiterHint : 0
; COMPUTE_PGM_RSRC2:SCRATCH_EN: 0
; COMPUTE_PGM_RSRC2:USER_SGPR: 6
; COMPUTE_PGM_RSRC2:TRAP_HANDLER: 0
; COMPUTE_PGM_RSRC2:TGID_X_EN: 1
; COMPUTE_PGM_RSRC2:TGID_Y_EN: 0
; COMPUTE_PGM_RSRC2:TGID_Z_EN: 0
; COMPUTE_PGM_RSRC2:TIDIG_COMP_CNT: 0
; COMPUTE_PGM_RSRC3_GFX90A:ACCUM_OFFSET: 0
; COMPUTE_PGM_RSRC3_GFX90A:TG_SPLIT: 0
	.section	.text._ZN7rocprim17ROCPRIM_400000_NS6detail17trampoline_kernelINS0_14default_configENS1_20scan_config_selectorIjEEZZNS1_9scan_implILNS1_25lookback_scan_determinismE0ELb0ELb0ES3_N6thrust23THRUST_200600_302600_NS6detail15normal_iteratorINS9_10device_ptrIjEEEESE_j11max_functorIjEjEEDaPvRmT3_T4_T5_mT6_P12ihipStream_tbENKUlT_T0_E_clISt17integral_constantIbLb1EEST_IbLb0EEEEDaSP_SQ_EUlSP_E_NS1_11comp_targetILNS1_3genE10ELNS1_11target_archE1200ELNS1_3gpuE4ELNS1_3repE0EEENS1_30default_config_static_selectorELNS0_4arch9wavefront6targetE1EEEvT1_,"axG",@progbits,_ZN7rocprim17ROCPRIM_400000_NS6detail17trampoline_kernelINS0_14default_configENS1_20scan_config_selectorIjEEZZNS1_9scan_implILNS1_25lookback_scan_determinismE0ELb0ELb0ES3_N6thrust23THRUST_200600_302600_NS6detail15normal_iteratorINS9_10device_ptrIjEEEESE_j11max_functorIjEjEEDaPvRmT3_T4_T5_mT6_P12ihipStream_tbENKUlT_T0_E_clISt17integral_constantIbLb1EEST_IbLb0EEEEDaSP_SQ_EUlSP_E_NS1_11comp_targetILNS1_3genE10ELNS1_11target_archE1200ELNS1_3gpuE4ELNS1_3repE0EEENS1_30default_config_static_selectorELNS0_4arch9wavefront6targetE1EEEvT1_,comdat
	.protected	_ZN7rocprim17ROCPRIM_400000_NS6detail17trampoline_kernelINS0_14default_configENS1_20scan_config_selectorIjEEZZNS1_9scan_implILNS1_25lookback_scan_determinismE0ELb0ELb0ES3_N6thrust23THRUST_200600_302600_NS6detail15normal_iteratorINS9_10device_ptrIjEEEESE_j11max_functorIjEjEEDaPvRmT3_T4_T5_mT6_P12ihipStream_tbENKUlT_T0_E_clISt17integral_constantIbLb1EEST_IbLb0EEEEDaSP_SQ_EUlSP_E_NS1_11comp_targetILNS1_3genE10ELNS1_11target_archE1200ELNS1_3gpuE4ELNS1_3repE0EEENS1_30default_config_static_selectorELNS0_4arch9wavefront6targetE1EEEvT1_ ; -- Begin function _ZN7rocprim17ROCPRIM_400000_NS6detail17trampoline_kernelINS0_14default_configENS1_20scan_config_selectorIjEEZZNS1_9scan_implILNS1_25lookback_scan_determinismE0ELb0ELb0ES3_N6thrust23THRUST_200600_302600_NS6detail15normal_iteratorINS9_10device_ptrIjEEEESE_j11max_functorIjEjEEDaPvRmT3_T4_T5_mT6_P12ihipStream_tbENKUlT_T0_E_clISt17integral_constantIbLb1EEST_IbLb0EEEEDaSP_SQ_EUlSP_E_NS1_11comp_targetILNS1_3genE10ELNS1_11target_archE1200ELNS1_3gpuE4ELNS1_3repE0EEENS1_30default_config_static_selectorELNS0_4arch9wavefront6targetE1EEEvT1_
	.globl	_ZN7rocprim17ROCPRIM_400000_NS6detail17trampoline_kernelINS0_14default_configENS1_20scan_config_selectorIjEEZZNS1_9scan_implILNS1_25lookback_scan_determinismE0ELb0ELb0ES3_N6thrust23THRUST_200600_302600_NS6detail15normal_iteratorINS9_10device_ptrIjEEEESE_j11max_functorIjEjEEDaPvRmT3_T4_T5_mT6_P12ihipStream_tbENKUlT_T0_E_clISt17integral_constantIbLb1EEST_IbLb0EEEEDaSP_SQ_EUlSP_E_NS1_11comp_targetILNS1_3genE10ELNS1_11target_archE1200ELNS1_3gpuE4ELNS1_3repE0EEENS1_30default_config_static_selectorELNS0_4arch9wavefront6targetE1EEEvT1_
	.p2align	8
	.type	_ZN7rocprim17ROCPRIM_400000_NS6detail17trampoline_kernelINS0_14default_configENS1_20scan_config_selectorIjEEZZNS1_9scan_implILNS1_25lookback_scan_determinismE0ELb0ELb0ES3_N6thrust23THRUST_200600_302600_NS6detail15normal_iteratorINS9_10device_ptrIjEEEESE_j11max_functorIjEjEEDaPvRmT3_T4_T5_mT6_P12ihipStream_tbENKUlT_T0_E_clISt17integral_constantIbLb1EEST_IbLb0EEEEDaSP_SQ_EUlSP_E_NS1_11comp_targetILNS1_3genE10ELNS1_11target_archE1200ELNS1_3gpuE4ELNS1_3repE0EEENS1_30default_config_static_selectorELNS0_4arch9wavefront6targetE1EEEvT1_,@function
_ZN7rocprim17ROCPRIM_400000_NS6detail17trampoline_kernelINS0_14default_configENS1_20scan_config_selectorIjEEZZNS1_9scan_implILNS1_25lookback_scan_determinismE0ELb0ELb0ES3_N6thrust23THRUST_200600_302600_NS6detail15normal_iteratorINS9_10device_ptrIjEEEESE_j11max_functorIjEjEEDaPvRmT3_T4_T5_mT6_P12ihipStream_tbENKUlT_T0_E_clISt17integral_constantIbLb1EEST_IbLb0EEEEDaSP_SQ_EUlSP_E_NS1_11comp_targetILNS1_3genE10ELNS1_11target_archE1200ELNS1_3gpuE4ELNS1_3repE0EEENS1_30default_config_static_selectorELNS0_4arch9wavefront6targetE1EEEvT1_: ; @_ZN7rocprim17ROCPRIM_400000_NS6detail17trampoline_kernelINS0_14default_configENS1_20scan_config_selectorIjEEZZNS1_9scan_implILNS1_25lookback_scan_determinismE0ELb0ELb0ES3_N6thrust23THRUST_200600_302600_NS6detail15normal_iteratorINS9_10device_ptrIjEEEESE_j11max_functorIjEjEEDaPvRmT3_T4_T5_mT6_P12ihipStream_tbENKUlT_T0_E_clISt17integral_constantIbLb1EEST_IbLb0EEEEDaSP_SQ_EUlSP_E_NS1_11comp_targetILNS1_3genE10ELNS1_11target_archE1200ELNS1_3gpuE4ELNS1_3repE0EEENS1_30default_config_static_selectorELNS0_4arch9wavefront6targetE1EEEvT1_
; %bb.0:
	.section	.rodata,"a",@progbits
	.p2align	6, 0x0
	.amdhsa_kernel _ZN7rocprim17ROCPRIM_400000_NS6detail17trampoline_kernelINS0_14default_configENS1_20scan_config_selectorIjEEZZNS1_9scan_implILNS1_25lookback_scan_determinismE0ELb0ELb0ES3_N6thrust23THRUST_200600_302600_NS6detail15normal_iteratorINS9_10device_ptrIjEEEESE_j11max_functorIjEjEEDaPvRmT3_T4_T5_mT6_P12ihipStream_tbENKUlT_T0_E_clISt17integral_constantIbLb1EEST_IbLb0EEEEDaSP_SQ_EUlSP_E_NS1_11comp_targetILNS1_3genE10ELNS1_11target_archE1200ELNS1_3gpuE4ELNS1_3repE0EEENS1_30default_config_static_selectorELNS0_4arch9wavefront6targetE1EEEvT1_
		.amdhsa_group_segment_fixed_size 0
		.amdhsa_private_segment_fixed_size 0
		.amdhsa_kernarg_size 96
		.amdhsa_user_sgpr_count 6
		.amdhsa_user_sgpr_private_segment_buffer 1
		.amdhsa_user_sgpr_dispatch_ptr 0
		.amdhsa_user_sgpr_queue_ptr 0
		.amdhsa_user_sgpr_kernarg_segment_ptr 1
		.amdhsa_user_sgpr_dispatch_id 0
		.amdhsa_user_sgpr_flat_scratch_init 0
		.amdhsa_user_sgpr_kernarg_preload_length 0
		.amdhsa_user_sgpr_kernarg_preload_offset 0
		.amdhsa_user_sgpr_private_segment_size 0
		.amdhsa_uses_dynamic_stack 0
		.amdhsa_system_sgpr_private_segment_wavefront_offset 0
		.amdhsa_system_sgpr_workgroup_id_x 1
		.amdhsa_system_sgpr_workgroup_id_y 0
		.amdhsa_system_sgpr_workgroup_id_z 0
		.amdhsa_system_sgpr_workgroup_info 0
		.amdhsa_system_vgpr_workitem_id 0
		.amdhsa_next_free_vgpr 1
		.amdhsa_next_free_sgpr 0
		.amdhsa_accum_offset 4
		.amdhsa_reserve_vcc 0
		.amdhsa_reserve_flat_scratch 0
		.amdhsa_float_round_mode_32 0
		.amdhsa_float_round_mode_16_64 0
		.amdhsa_float_denorm_mode_32 3
		.amdhsa_float_denorm_mode_16_64 3
		.amdhsa_dx10_clamp 1
		.amdhsa_ieee_mode 1
		.amdhsa_fp16_overflow 0
		.amdhsa_tg_split 0
		.amdhsa_exception_fp_ieee_invalid_op 0
		.amdhsa_exception_fp_denorm_src 0
		.amdhsa_exception_fp_ieee_div_zero 0
		.amdhsa_exception_fp_ieee_overflow 0
		.amdhsa_exception_fp_ieee_underflow 0
		.amdhsa_exception_fp_ieee_inexact 0
		.amdhsa_exception_int_div_zero 0
	.end_amdhsa_kernel
	.section	.text._ZN7rocprim17ROCPRIM_400000_NS6detail17trampoline_kernelINS0_14default_configENS1_20scan_config_selectorIjEEZZNS1_9scan_implILNS1_25lookback_scan_determinismE0ELb0ELb0ES3_N6thrust23THRUST_200600_302600_NS6detail15normal_iteratorINS9_10device_ptrIjEEEESE_j11max_functorIjEjEEDaPvRmT3_T4_T5_mT6_P12ihipStream_tbENKUlT_T0_E_clISt17integral_constantIbLb1EEST_IbLb0EEEEDaSP_SQ_EUlSP_E_NS1_11comp_targetILNS1_3genE10ELNS1_11target_archE1200ELNS1_3gpuE4ELNS1_3repE0EEENS1_30default_config_static_selectorELNS0_4arch9wavefront6targetE1EEEvT1_,"axG",@progbits,_ZN7rocprim17ROCPRIM_400000_NS6detail17trampoline_kernelINS0_14default_configENS1_20scan_config_selectorIjEEZZNS1_9scan_implILNS1_25lookback_scan_determinismE0ELb0ELb0ES3_N6thrust23THRUST_200600_302600_NS6detail15normal_iteratorINS9_10device_ptrIjEEEESE_j11max_functorIjEjEEDaPvRmT3_T4_T5_mT6_P12ihipStream_tbENKUlT_T0_E_clISt17integral_constantIbLb1EEST_IbLb0EEEEDaSP_SQ_EUlSP_E_NS1_11comp_targetILNS1_3genE10ELNS1_11target_archE1200ELNS1_3gpuE4ELNS1_3repE0EEENS1_30default_config_static_selectorELNS0_4arch9wavefront6targetE1EEEvT1_,comdat
.Lfunc_end2298:
	.size	_ZN7rocprim17ROCPRIM_400000_NS6detail17trampoline_kernelINS0_14default_configENS1_20scan_config_selectorIjEEZZNS1_9scan_implILNS1_25lookback_scan_determinismE0ELb0ELb0ES3_N6thrust23THRUST_200600_302600_NS6detail15normal_iteratorINS9_10device_ptrIjEEEESE_j11max_functorIjEjEEDaPvRmT3_T4_T5_mT6_P12ihipStream_tbENKUlT_T0_E_clISt17integral_constantIbLb1EEST_IbLb0EEEEDaSP_SQ_EUlSP_E_NS1_11comp_targetILNS1_3genE10ELNS1_11target_archE1200ELNS1_3gpuE4ELNS1_3repE0EEENS1_30default_config_static_selectorELNS0_4arch9wavefront6targetE1EEEvT1_, .Lfunc_end2298-_ZN7rocprim17ROCPRIM_400000_NS6detail17trampoline_kernelINS0_14default_configENS1_20scan_config_selectorIjEEZZNS1_9scan_implILNS1_25lookback_scan_determinismE0ELb0ELb0ES3_N6thrust23THRUST_200600_302600_NS6detail15normal_iteratorINS9_10device_ptrIjEEEESE_j11max_functorIjEjEEDaPvRmT3_T4_T5_mT6_P12ihipStream_tbENKUlT_T0_E_clISt17integral_constantIbLb1EEST_IbLb0EEEEDaSP_SQ_EUlSP_E_NS1_11comp_targetILNS1_3genE10ELNS1_11target_archE1200ELNS1_3gpuE4ELNS1_3repE0EEENS1_30default_config_static_selectorELNS0_4arch9wavefront6targetE1EEEvT1_
                                        ; -- End function
	.section	.AMDGPU.csdata,"",@progbits
; Kernel info:
; codeLenInByte = 0
; NumSgprs: 4
; NumVgprs: 0
; NumAgprs: 0
; TotalNumVgprs: 0
; ScratchSize: 0
; MemoryBound: 0
; FloatMode: 240
; IeeeMode: 1
; LDSByteSize: 0 bytes/workgroup (compile time only)
; SGPRBlocks: 0
; VGPRBlocks: 0
; NumSGPRsForWavesPerEU: 4
; NumVGPRsForWavesPerEU: 1
; AccumOffset: 4
; Occupancy: 8
; WaveLimiterHint : 0
; COMPUTE_PGM_RSRC2:SCRATCH_EN: 0
; COMPUTE_PGM_RSRC2:USER_SGPR: 6
; COMPUTE_PGM_RSRC2:TRAP_HANDLER: 0
; COMPUTE_PGM_RSRC2:TGID_X_EN: 1
; COMPUTE_PGM_RSRC2:TGID_Y_EN: 0
; COMPUTE_PGM_RSRC2:TGID_Z_EN: 0
; COMPUTE_PGM_RSRC2:TIDIG_COMP_CNT: 0
; COMPUTE_PGM_RSRC3_GFX90A:ACCUM_OFFSET: 0
; COMPUTE_PGM_RSRC3_GFX90A:TG_SPLIT: 0
	.section	.text._ZN7rocprim17ROCPRIM_400000_NS6detail17trampoline_kernelINS0_14default_configENS1_20scan_config_selectorIjEEZZNS1_9scan_implILNS1_25lookback_scan_determinismE0ELb0ELb0ES3_N6thrust23THRUST_200600_302600_NS6detail15normal_iteratorINS9_10device_ptrIjEEEESE_j11max_functorIjEjEEDaPvRmT3_T4_T5_mT6_P12ihipStream_tbENKUlT_T0_E_clISt17integral_constantIbLb1EEST_IbLb0EEEEDaSP_SQ_EUlSP_E_NS1_11comp_targetILNS1_3genE9ELNS1_11target_archE1100ELNS1_3gpuE3ELNS1_3repE0EEENS1_30default_config_static_selectorELNS0_4arch9wavefront6targetE1EEEvT1_,"axG",@progbits,_ZN7rocprim17ROCPRIM_400000_NS6detail17trampoline_kernelINS0_14default_configENS1_20scan_config_selectorIjEEZZNS1_9scan_implILNS1_25lookback_scan_determinismE0ELb0ELb0ES3_N6thrust23THRUST_200600_302600_NS6detail15normal_iteratorINS9_10device_ptrIjEEEESE_j11max_functorIjEjEEDaPvRmT3_T4_T5_mT6_P12ihipStream_tbENKUlT_T0_E_clISt17integral_constantIbLb1EEST_IbLb0EEEEDaSP_SQ_EUlSP_E_NS1_11comp_targetILNS1_3genE9ELNS1_11target_archE1100ELNS1_3gpuE3ELNS1_3repE0EEENS1_30default_config_static_selectorELNS0_4arch9wavefront6targetE1EEEvT1_,comdat
	.protected	_ZN7rocprim17ROCPRIM_400000_NS6detail17trampoline_kernelINS0_14default_configENS1_20scan_config_selectorIjEEZZNS1_9scan_implILNS1_25lookback_scan_determinismE0ELb0ELb0ES3_N6thrust23THRUST_200600_302600_NS6detail15normal_iteratorINS9_10device_ptrIjEEEESE_j11max_functorIjEjEEDaPvRmT3_T4_T5_mT6_P12ihipStream_tbENKUlT_T0_E_clISt17integral_constantIbLb1EEST_IbLb0EEEEDaSP_SQ_EUlSP_E_NS1_11comp_targetILNS1_3genE9ELNS1_11target_archE1100ELNS1_3gpuE3ELNS1_3repE0EEENS1_30default_config_static_selectorELNS0_4arch9wavefront6targetE1EEEvT1_ ; -- Begin function _ZN7rocprim17ROCPRIM_400000_NS6detail17trampoline_kernelINS0_14default_configENS1_20scan_config_selectorIjEEZZNS1_9scan_implILNS1_25lookback_scan_determinismE0ELb0ELb0ES3_N6thrust23THRUST_200600_302600_NS6detail15normal_iteratorINS9_10device_ptrIjEEEESE_j11max_functorIjEjEEDaPvRmT3_T4_T5_mT6_P12ihipStream_tbENKUlT_T0_E_clISt17integral_constantIbLb1EEST_IbLb0EEEEDaSP_SQ_EUlSP_E_NS1_11comp_targetILNS1_3genE9ELNS1_11target_archE1100ELNS1_3gpuE3ELNS1_3repE0EEENS1_30default_config_static_selectorELNS0_4arch9wavefront6targetE1EEEvT1_
	.globl	_ZN7rocprim17ROCPRIM_400000_NS6detail17trampoline_kernelINS0_14default_configENS1_20scan_config_selectorIjEEZZNS1_9scan_implILNS1_25lookback_scan_determinismE0ELb0ELb0ES3_N6thrust23THRUST_200600_302600_NS6detail15normal_iteratorINS9_10device_ptrIjEEEESE_j11max_functorIjEjEEDaPvRmT3_T4_T5_mT6_P12ihipStream_tbENKUlT_T0_E_clISt17integral_constantIbLb1EEST_IbLb0EEEEDaSP_SQ_EUlSP_E_NS1_11comp_targetILNS1_3genE9ELNS1_11target_archE1100ELNS1_3gpuE3ELNS1_3repE0EEENS1_30default_config_static_selectorELNS0_4arch9wavefront6targetE1EEEvT1_
	.p2align	8
	.type	_ZN7rocprim17ROCPRIM_400000_NS6detail17trampoline_kernelINS0_14default_configENS1_20scan_config_selectorIjEEZZNS1_9scan_implILNS1_25lookback_scan_determinismE0ELb0ELb0ES3_N6thrust23THRUST_200600_302600_NS6detail15normal_iteratorINS9_10device_ptrIjEEEESE_j11max_functorIjEjEEDaPvRmT3_T4_T5_mT6_P12ihipStream_tbENKUlT_T0_E_clISt17integral_constantIbLb1EEST_IbLb0EEEEDaSP_SQ_EUlSP_E_NS1_11comp_targetILNS1_3genE9ELNS1_11target_archE1100ELNS1_3gpuE3ELNS1_3repE0EEENS1_30default_config_static_selectorELNS0_4arch9wavefront6targetE1EEEvT1_,@function
_ZN7rocprim17ROCPRIM_400000_NS6detail17trampoline_kernelINS0_14default_configENS1_20scan_config_selectorIjEEZZNS1_9scan_implILNS1_25lookback_scan_determinismE0ELb0ELb0ES3_N6thrust23THRUST_200600_302600_NS6detail15normal_iteratorINS9_10device_ptrIjEEEESE_j11max_functorIjEjEEDaPvRmT3_T4_T5_mT6_P12ihipStream_tbENKUlT_T0_E_clISt17integral_constantIbLb1EEST_IbLb0EEEEDaSP_SQ_EUlSP_E_NS1_11comp_targetILNS1_3genE9ELNS1_11target_archE1100ELNS1_3gpuE3ELNS1_3repE0EEENS1_30default_config_static_selectorELNS0_4arch9wavefront6targetE1EEEvT1_: ; @_ZN7rocprim17ROCPRIM_400000_NS6detail17trampoline_kernelINS0_14default_configENS1_20scan_config_selectorIjEEZZNS1_9scan_implILNS1_25lookback_scan_determinismE0ELb0ELb0ES3_N6thrust23THRUST_200600_302600_NS6detail15normal_iteratorINS9_10device_ptrIjEEEESE_j11max_functorIjEjEEDaPvRmT3_T4_T5_mT6_P12ihipStream_tbENKUlT_T0_E_clISt17integral_constantIbLb1EEST_IbLb0EEEEDaSP_SQ_EUlSP_E_NS1_11comp_targetILNS1_3genE9ELNS1_11target_archE1100ELNS1_3gpuE3ELNS1_3repE0EEENS1_30default_config_static_selectorELNS0_4arch9wavefront6targetE1EEEvT1_
; %bb.0:
	.section	.rodata,"a",@progbits
	.p2align	6, 0x0
	.amdhsa_kernel _ZN7rocprim17ROCPRIM_400000_NS6detail17trampoline_kernelINS0_14default_configENS1_20scan_config_selectorIjEEZZNS1_9scan_implILNS1_25lookback_scan_determinismE0ELb0ELb0ES3_N6thrust23THRUST_200600_302600_NS6detail15normal_iteratorINS9_10device_ptrIjEEEESE_j11max_functorIjEjEEDaPvRmT3_T4_T5_mT6_P12ihipStream_tbENKUlT_T0_E_clISt17integral_constantIbLb1EEST_IbLb0EEEEDaSP_SQ_EUlSP_E_NS1_11comp_targetILNS1_3genE9ELNS1_11target_archE1100ELNS1_3gpuE3ELNS1_3repE0EEENS1_30default_config_static_selectorELNS0_4arch9wavefront6targetE1EEEvT1_
		.amdhsa_group_segment_fixed_size 0
		.amdhsa_private_segment_fixed_size 0
		.amdhsa_kernarg_size 96
		.amdhsa_user_sgpr_count 6
		.amdhsa_user_sgpr_private_segment_buffer 1
		.amdhsa_user_sgpr_dispatch_ptr 0
		.amdhsa_user_sgpr_queue_ptr 0
		.amdhsa_user_sgpr_kernarg_segment_ptr 1
		.amdhsa_user_sgpr_dispatch_id 0
		.amdhsa_user_sgpr_flat_scratch_init 0
		.amdhsa_user_sgpr_kernarg_preload_length 0
		.amdhsa_user_sgpr_kernarg_preload_offset 0
		.amdhsa_user_sgpr_private_segment_size 0
		.amdhsa_uses_dynamic_stack 0
		.amdhsa_system_sgpr_private_segment_wavefront_offset 0
		.amdhsa_system_sgpr_workgroup_id_x 1
		.amdhsa_system_sgpr_workgroup_id_y 0
		.amdhsa_system_sgpr_workgroup_id_z 0
		.amdhsa_system_sgpr_workgroup_info 0
		.amdhsa_system_vgpr_workitem_id 0
		.amdhsa_next_free_vgpr 1
		.amdhsa_next_free_sgpr 0
		.amdhsa_accum_offset 4
		.amdhsa_reserve_vcc 0
		.amdhsa_reserve_flat_scratch 0
		.amdhsa_float_round_mode_32 0
		.amdhsa_float_round_mode_16_64 0
		.amdhsa_float_denorm_mode_32 3
		.amdhsa_float_denorm_mode_16_64 3
		.amdhsa_dx10_clamp 1
		.amdhsa_ieee_mode 1
		.amdhsa_fp16_overflow 0
		.amdhsa_tg_split 0
		.amdhsa_exception_fp_ieee_invalid_op 0
		.amdhsa_exception_fp_denorm_src 0
		.amdhsa_exception_fp_ieee_div_zero 0
		.amdhsa_exception_fp_ieee_overflow 0
		.amdhsa_exception_fp_ieee_underflow 0
		.amdhsa_exception_fp_ieee_inexact 0
		.amdhsa_exception_int_div_zero 0
	.end_amdhsa_kernel
	.section	.text._ZN7rocprim17ROCPRIM_400000_NS6detail17trampoline_kernelINS0_14default_configENS1_20scan_config_selectorIjEEZZNS1_9scan_implILNS1_25lookback_scan_determinismE0ELb0ELb0ES3_N6thrust23THRUST_200600_302600_NS6detail15normal_iteratorINS9_10device_ptrIjEEEESE_j11max_functorIjEjEEDaPvRmT3_T4_T5_mT6_P12ihipStream_tbENKUlT_T0_E_clISt17integral_constantIbLb1EEST_IbLb0EEEEDaSP_SQ_EUlSP_E_NS1_11comp_targetILNS1_3genE9ELNS1_11target_archE1100ELNS1_3gpuE3ELNS1_3repE0EEENS1_30default_config_static_selectorELNS0_4arch9wavefront6targetE1EEEvT1_,"axG",@progbits,_ZN7rocprim17ROCPRIM_400000_NS6detail17trampoline_kernelINS0_14default_configENS1_20scan_config_selectorIjEEZZNS1_9scan_implILNS1_25lookback_scan_determinismE0ELb0ELb0ES3_N6thrust23THRUST_200600_302600_NS6detail15normal_iteratorINS9_10device_ptrIjEEEESE_j11max_functorIjEjEEDaPvRmT3_T4_T5_mT6_P12ihipStream_tbENKUlT_T0_E_clISt17integral_constantIbLb1EEST_IbLb0EEEEDaSP_SQ_EUlSP_E_NS1_11comp_targetILNS1_3genE9ELNS1_11target_archE1100ELNS1_3gpuE3ELNS1_3repE0EEENS1_30default_config_static_selectorELNS0_4arch9wavefront6targetE1EEEvT1_,comdat
.Lfunc_end2299:
	.size	_ZN7rocprim17ROCPRIM_400000_NS6detail17trampoline_kernelINS0_14default_configENS1_20scan_config_selectorIjEEZZNS1_9scan_implILNS1_25lookback_scan_determinismE0ELb0ELb0ES3_N6thrust23THRUST_200600_302600_NS6detail15normal_iteratorINS9_10device_ptrIjEEEESE_j11max_functorIjEjEEDaPvRmT3_T4_T5_mT6_P12ihipStream_tbENKUlT_T0_E_clISt17integral_constantIbLb1EEST_IbLb0EEEEDaSP_SQ_EUlSP_E_NS1_11comp_targetILNS1_3genE9ELNS1_11target_archE1100ELNS1_3gpuE3ELNS1_3repE0EEENS1_30default_config_static_selectorELNS0_4arch9wavefront6targetE1EEEvT1_, .Lfunc_end2299-_ZN7rocprim17ROCPRIM_400000_NS6detail17trampoline_kernelINS0_14default_configENS1_20scan_config_selectorIjEEZZNS1_9scan_implILNS1_25lookback_scan_determinismE0ELb0ELb0ES3_N6thrust23THRUST_200600_302600_NS6detail15normal_iteratorINS9_10device_ptrIjEEEESE_j11max_functorIjEjEEDaPvRmT3_T4_T5_mT6_P12ihipStream_tbENKUlT_T0_E_clISt17integral_constantIbLb1EEST_IbLb0EEEEDaSP_SQ_EUlSP_E_NS1_11comp_targetILNS1_3genE9ELNS1_11target_archE1100ELNS1_3gpuE3ELNS1_3repE0EEENS1_30default_config_static_selectorELNS0_4arch9wavefront6targetE1EEEvT1_
                                        ; -- End function
	.section	.AMDGPU.csdata,"",@progbits
; Kernel info:
; codeLenInByte = 0
; NumSgprs: 4
; NumVgprs: 0
; NumAgprs: 0
; TotalNumVgprs: 0
; ScratchSize: 0
; MemoryBound: 0
; FloatMode: 240
; IeeeMode: 1
; LDSByteSize: 0 bytes/workgroup (compile time only)
; SGPRBlocks: 0
; VGPRBlocks: 0
; NumSGPRsForWavesPerEU: 4
; NumVGPRsForWavesPerEU: 1
; AccumOffset: 4
; Occupancy: 8
; WaveLimiterHint : 0
; COMPUTE_PGM_RSRC2:SCRATCH_EN: 0
; COMPUTE_PGM_RSRC2:USER_SGPR: 6
; COMPUTE_PGM_RSRC2:TRAP_HANDLER: 0
; COMPUTE_PGM_RSRC2:TGID_X_EN: 1
; COMPUTE_PGM_RSRC2:TGID_Y_EN: 0
; COMPUTE_PGM_RSRC2:TGID_Z_EN: 0
; COMPUTE_PGM_RSRC2:TIDIG_COMP_CNT: 0
; COMPUTE_PGM_RSRC3_GFX90A:ACCUM_OFFSET: 0
; COMPUTE_PGM_RSRC3_GFX90A:TG_SPLIT: 0
	.section	.text._ZN7rocprim17ROCPRIM_400000_NS6detail17trampoline_kernelINS0_14default_configENS1_20scan_config_selectorIjEEZZNS1_9scan_implILNS1_25lookback_scan_determinismE0ELb0ELb0ES3_N6thrust23THRUST_200600_302600_NS6detail15normal_iteratorINS9_10device_ptrIjEEEESE_j11max_functorIjEjEEDaPvRmT3_T4_T5_mT6_P12ihipStream_tbENKUlT_T0_E_clISt17integral_constantIbLb1EEST_IbLb0EEEEDaSP_SQ_EUlSP_E_NS1_11comp_targetILNS1_3genE8ELNS1_11target_archE1030ELNS1_3gpuE2ELNS1_3repE0EEENS1_30default_config_static_selectorELNS0_4arch9wavefront6targetE1EEEvT1_,"axG",@progbits,_ZN7rocprim17ROCPRIM_400000_NS6detail17trampoline_kernelINS0_14default_configENS1_20scan_config_selectorIjEEZZNS1_9scan_implILNS1_25lookback_scan_determinismE0ELb0ELb0ES3_N6thrust23THRUST_200600_302600_NS6detail15normal_iteratorINS9_10device_ptrIjEEEESE_j11max_functorIjEjEEDaPvRmT3_T4_T5_mT6_P12ihipStream_tbENKUlT_T0_E_clISt17integral_constantIbLb1EEST_IbLb0EEEEDaSP_SQ_EUlSP_E_NS1_11comp_targetILNS1_3genE8ELNS1_11target_archE1030ELNS1_3gpuE2ELNS1_3repE0EEENS1_30default_config_static_selectorELNS0_4arch9wavefront6targetE1EEEvT1_,comdat
	.protected	_ZN7rocprim17ROCPRIM_400000_NS6detail17trampoline_kernelINS0_14default_configENS1_20scan_config_selectorIjEEZZNS1_9scan_implILNS1_25lookback_scan_determinismE0ELb0ELb0ES3_N6thrust23THRUST_200600_302600_NS6detail15normal_iteratorINS9_10device_ptrIjEEEESE_j11max_functorIjEjEEDaPvRmT3_T4_T5_mT6_P12ihipStream_tbENKUlT_T0_E_clISt17integral_constantIbLb1EEST_IbLb0EEEEDaSP_SQ_EUlSP_E_NS1_11comp_targetILNS1_3genE8ELNS1_11target_archE1030ELNS1_3gpuE2ELNS1_3repE0EEENS1_30default_config_static_selectorELNS0_4arch9wavefront6targetE1EEEvT1_ ; -- Begin function _ZN7rocprim17ROCPRIM_400000_NS6detail17trampoline_kernelINS0_14default_configENS1_20scan_config_selectorIjEEZZNS1_9scan_implILNS1_25lookback_scan_determinismE0ELb0ELb0ES3_N6thrust23THRUST_200600_302600_NS6detail15normal_iteratorINS9_10device_ptrIjEEEESE_j11max_functorIjEjEEDaPvRmT3_T4_T5_mT6_P12ihipStream_tbENKUlT_T0_E_clISt17integral_constantIbLb1EEST_IbLb0EEEEDaSP_SQ_EUlSP_E_NS1_11comp_targetILNS1_3genE8ELNS1_11target_archE1030ELNS1_3gpuE2ELNS1_3repE0EEENS1_30default_config_static_selectorELNS0_4arch9wavefront6targetE1EEEvT1_
	.globl	_ZN7rocprim17ROCPRIM_400000_NS6detail17trampoline_kernelINS0_14default_configENS1_20scan_config_selectorIjEEZZNS1_9scan_implILNS1_25lookback_scan_determinismE0ELb0ELb0ES3_N6thrust23THRUST_200600_302600_NS6detail15normal_iteratorINS9_10device_ptrIjEEEESE_j11max_functorIjEjEEDaPvRmT3_T4_T5_mT6_P12ihipStream_tbENKUlT_T0_E_clISt17integral_constantIbLb1EEST_IbLb0EEEEDaSP_SQ_EUlSP_E_NS1_11comp_targetILNS1_3genE8ELNS1_11target_archE1030ELNS1_3gpuE2ELNS1_3repE0EEENS1_30default_config_static_selectorELNS0_4arch9wavefront6targetE1EEEvT1_
	.p2align	8
	.type	_ZN7rocprim17ROCPRIM_400000_NS6detail17trampoline_kernelINS0_14default_configENS1_20scan_config_selectorIjEEZZNS1_9scan_implILNS1_25lookback_scan_determinismE0ELb0ELb0ES3_N6thrust23THRUST_200600_302600_NS6detail15normal_iteratorINS9_10device_ptrIjEEEESE_j11max_functorIjEjEEDaPvRmT3_T4_T5_mT6_P12ihipStream_tbENKUlT_T0_E_clISt17integral_constantIbLb1EEST_IbLb0EEEEDaSP_SQ_EUlSP_E_NS1_11comp_targetILNS1_3genE8ELNS1_11target_archE1030ELNS1_3gpuE2ELNS1_3repE0EEENS1_30default_config_static_selectorELNS0_4arch9wavefront6targetE1EEEvT1_,@function
_ZN7rocprim17ROCPRIM_400000_NS6detail17trampoline_kernelINS0_14default_configENS1_20scan_config_selectorIjEEZZNS1_9scan_implILNS1_25lookback_scan_determinismE0ELb0ELb0ES3_N6thrust23THRUST_200600_302600_NS6detail15normal_iteratorINS9_10device_ptrIjEEEESE_j11max_functorIjEjEEDaPvRmT3_T4_T5_mT6_P12ihipStream_tbENKUlT_T0_E_clISt17integral_constantIbLb1EEST_IbLb0EEEEDaSP_SQ_EUlSP_E_NS1_11comp_targetILNS1_3genE8ELNS1_11target_archE1030ELNS1_3gpuE2ELNS1_3repE0EEENS1_30default_config_static_selectorELNS0_4arch9wavefront6targetE1EEEvT1_: ; @_ZN7rocprim17ROCPRIM_400000_NS6detail17trampoline_kernelINS0_14default_configENS1_20scan_config_selectorIjEEZZNS1_9scan_implILNS1_25lookback_scan_determinismE0ELb0ELb0ES3_N6thrust23THRUST_200600_302600_NS6detail15normal_iteratorINS9_10device_ptrIjEEEESE_j11max_functorIjEjEEDaPvRmT3_T4_T5_mT6_P12ihipStream_tbENKUlT_T0_E_clISt17integral_constantIbLb1EEST_IbLb0EEEEDaSP_SQ_EUlSP_E_NS1_11comp_targetILNS1_3genE8ELNS1_11target_archE1030ELNS1_3gpuE2ELNS1_3repE0EEENS1_30default_config_static_selectorELNS0_4arch9wavefront6targetE1EEEvT1_
; %bb.0:
	.section	.rodata,"a",@progbits
	.p2align	6, 0x0
	.amdhsa_kernel _ZN7rocprim17ROCPRIM_400000_NS6detail17trampoline_kernelINS0_14default_configENS1_20scan_config_selectorIjEEZZNS1_9scan_implILNS1_25lookback_scan_determinismE0ELb0ELb0ES3_N6thrust23THRUST_200600_302600_NS6detail15normal_iteratorINS9_10device_ptrIjEEEESE_j11max_functorIjEjEEDaPvRmT3_T4_T5_mT6_P12ihipStream_tbENKUlT_T0_E_clISt17integral_constantIbLb1EEST_IbLb0EEEEDaSP_SQ_EUlSP_E_NS1_11comp_targetILNS1_3genE8ELNS1_11target_archE1030ELNS1_3gpuE2ELNS1_3repE0EEENS1_30default_config_static_selectorELNS0_4arch9wavefront6targetE1EEEvT1_
		.amdhsa_group_segment_fixed_size 0
		.amdhsa_private_segment_fixed_size 0
		.amdhsa_kernarg_size 96
		.amdhsa_user_sgpr_count 6
		.amdhsa_user_sgpr_private_segment_buffer 1
		.amdhsa_user_sgpr_dispatch_ptr 0
		.amdhsa_user_sgpr_queue_ptr 0
		.amdhsa_user_sgpr_kernarg_segment_ptr 1
		.amdhsa_user_sgpr_dispatch_id 0
		.amdhsa_user_sgpr_flat_scratch_init 0
		.amdhsa_user_sgpr_kernarg_preload_length 0
		.amdhsa_user_sgpr_kernarg_preload_offset 0
		.amdhsa_user_sgpr_private_segment_size 0
		.amdhsa_uses_dynamic_stack 0
		.amdhsa_system_sgpr_private_segment_wavefront_offset 0
		.amdhsa_system_sgpr_workgroup_id_x 1
		.amdhsa_system_sgpr_workgroup_id_y 0
		.amdhsa_system_sgpr_workgroup_id_z 0
		.amdhsa_system_sgpr_workgroup_info 0
		.amdhsa_system_vgpr_workitem_id 0
		.amdhsa_next_free_vgpr 1
		.amdhsa_next_free_sgpr 0
		.amdhsa_accum_offset 4
		.amdhsa_reserve_vcc 0
		.amdhsa_reserve_flat_scratch 0
		.amdhsa_float_round_mode_32 0
		.amdhsa_float_round_mode_16_64 0
		.amdhsa_float_denorm_mode_32 3
		.amdhsa_float_denorm_mode_16_64 3
		.amdhsa_dx10_clamp 1
		.amdhsa_ieee_mode 1
		.amdhsa_fp16_overflow 0
		.amdhsa_tg_split 0
		.amdhsa_exception_fp_ieee_invalid_op 0
		.amdhsa_exception_fp_denorm_src 0
		.amdhsa_exception_fp_ieee_div_zero 0
		.amdhsa_exception_fp_ieee_overflow 0
		.amdhsa_exception_fp_ieee_underflow 0
		.amdhsa_exception_fp_ieee_inexact 0
		.amdhsa_exception_int_div_zero 0
	.end_amdhsa_kernel
	.section	.text._ZN7rocprim17ROCPRIM_400000_NS6detail17trampoline_kernelINS0_14default_configENS1_20scan_config_selectorIjEEZZNS1_9scan_implILNS1_25lookback_scan_determinismE0ELb0ELb0ES3_N6thrust23THRUST_200600_302600_NS6detail15normal_iteratorINS9_10device_ptrIjEEEESE_j11max_functorIjEjEEDaPvRmT3_T4_T5_mT6_P12ihipStream_tbENKUlT_T0_E_clISt17integral_constantIbLb1EEST_IbLb0EEEEDaSP_SQ_EUlSP_E_NS1_11comp_targetILNS1_3genE8ELNS1_11target_archE1030ELNS1_3gpuE2ELNS1_3repE0EEENS1_30default_config_static_selectorELNS0_4arch9wavefront6targetE1EEEvT1_,"axG",@progbits,_ZN7rocprim17ROCPRIM_400000_NS6detail17trampoline_kernelINS0_14default_configENS1_20scan_config_selectorIjEEZZNS1_9scan_implILNS1_25lookback_scan_determinismE0ELb0ELb0ES3_N6thrust23THRUST_200600_302600_NS6detail15normal_iteratorINS9_10device_ptrIjEEEESE_j11max_functorIjEjEEDaPvRmT3_T4_T5_mT6_P12ihipStream_tbENKUlT_T0_E_clISt17integral_constantIbLb1EEST_IbLb0EEEEDaSP_SQ_EUlSP_E_NS1_11comp_targetILNS1_3genE8ELNS1_11target_archE1030ELNS1_3gpuE2ELNS1_3repE0EEENS1_30default_config_static_selectorELNS0_4arch9wavefront6targetE1EEEvT1_,comdat
.Lfunc_end2300:
	.size	_ZN7rocprim17ROCPRIM_400000_NS6detail17trampoline_kernelINS0_14default_configENS1_20scan_config_selectorIjEEZZNS1_9scan_implILNS1_25lookback_scan_determinismE0ELb0ELb0ES3_N6thrust23THRUST_200600_302600_NS6detail15normal_iteratorINS9_10device_ptrIjEEEESE_j11max_functorIjEjEEDaPvRmT3_T4_T5_mT6_P12ihipStream_tbENKUlT_T0_E_clISt17integral_constantIbLb1EEST_IbLb0EEEEDaSP_SQ_EUlSP_E_NS1_11comp_targetILNS1_3genE8ELNS1_11target_archE1030ELNS1_3gpuE2ELNS1_3repE0EEENS1_30default_config_static_selectorELNS0_4arch9wavefront6targetE1EEEvT1_, .Lfunc_end2300-_ZN7rocprim17ROCPRIM_400000_NS6detail17trampoline_kernelINS0_14default_configENS1_20scan_config_selectorIjEEZZNS1_9scan_implILNS1_25lookback_scan_determinismE0ELb0ELb0ES3_N6thrust23THRUST_200600_302600_NS6detail15normal_iteratorINS9_10device_ptrIjEEEESE_j11max_functorIjEjEEDaPvRmT3_T4_T5_mT6_P12ihipStream_tbENKUlT_T0_E_clISt17integral_constantIbLb1EEST_IbLb0EEEEDaSP_SQ_EUlSP_E_NS1_11comp_targetILNS1_3genE8ELNS1_11target_archE1030ELNS1_3gpuE2ELNS1_3repE0EEENS1_30default_config_static_selectorELNS0_4arch9wavefront6targetE1EEEvT1_
                                        ; -- End function
	.section	.AMDGPU.csdata,"",@progbits
; Kernel info:
; codeLenInByte = 0
; NumSgprs: 4
; NumVgprs: 0
; NumAgprs: 0
; TotalNumVgprs: 0
; ScratchSize: 0
; MemoryBound: 0
; FloatMode: 240
; IeeeMode: 1
; LDSByteSize: 0 bytes/workgroup (compile time only)
; SGPRBlocks: 0
; VGPRBlocks: 0
; NumSGPRsForWavesPerEU: 4
; NumVGPRsForWavesPerEU: 1
; AccumOffset: 4
; Occupancy: 8
; WaveLimiterHint : 0
; COMPUTE_PGM_RSRC2:SCRATCH_EN: 0
; COMPUTE_PGM_RSRC2:USER_SGPR: 6
; COMPUTE_PGM_RSRC2:TRAP_HANDLER: 0
; COMPUTE_PGM_RSRC2:TGID_X_EN: 1
; COMPUTE_PGM_RSRC2:TGID_Y_EN: 0
; COMPUTE_PGM_RSRC2:TGID_Z_EN: 0
; COMPUTE_PGM_RSRC2:TIDIG_COMP_CNT: 0
; COMPUTE_PGM_RSRC3_GFX90A:ACCUM_OFFSET: 0
; COMPUTE_PGM_RSRC3_GFX90A:TG_SPLIT: 0
	.section	.text._ZN7rocprim17ROCPRIM_400000_NS6detail17trampoline_kernelINS0_14default_configENS1_20scan_config_selectorIjEEZZNS1_9scan_implILNS1_25lookback_scan_determinismE0ELb0ELb0ES3_N6thrust23THRUST_200600_302600_NS6detail15normal_iteratorINS9_10device_ptrIjEEEESE_j11max_functorIjEjEEDaPvRmT3_T4_T5_mT6_P12ihipStream_tbENKUlT_T0_E_clISt17integral_constantIbLb1EEST_IbLb0EEEEDaSP_SQ_EUlSP_E0_NS1_11comp_targetILNS1_3genE0ELNS1_11target_archE4294967295ELNS1_3gpuE0ELNS1_3repE0EEENS1_30default_config_static_selectorELNS0_4arch9wavefront6targetE1EEEvT1_,"axG",@progbits,_ZN7rocprim17ROCPRIM_400000_NS6detail17trampoline_kernelINS0_14default_configENS1_20scan_config_selectorIjEEZZNS1_9scan_implILNS1_25lookback_scan_determinismE0ELb0ELb0ES3_N6thrust23THRUST_200600_302600_NS6detail15normal_iteratorINS9_10device_ptrIjEEEESE_j11max_functorIjEjEEDaPvRmT3_T4_T5_mT6_P12ihipStream_tbENKUlT_T0_E_clISt17integral_constantIbLb1EEST_IbLb0EEEEDaSP_SQ_EUlSP_E0_NS1_11comp_targetILNS1_3genE0ELNS1_11target_archE4294967295ELNS1_3gpuE0ELNS1_3repE0EEENS1_30default_config_static_selectorELNS0_4arch9wavefront6targetE1EEEvT1_,comdat
	.protected	_ZN7rocprim17ROCPRIM_400000_NS6detail17trampoline_kernelINS0_14default_configENS1_20scan_config_selectorIjEEZZNS1_9scan_implILNS1_25lookback_scan_determinismE0ELb0ELb0ES3_N6thrust23THRUST_200600_302600_NS6detail15normal_iteratorINS9_10device_ptrIjEEEESE_j11max_functorIjEjEEDaPvRmT3_T4_T5_mT6_P12ihipStream_tbENKUlT_T0_E_clISt17integral_constantIbLb1EEST_IbLb0EEEEDaSP_SQ_EUlSP_E0_NS1_11comp_targetILNS1_3genE0ELNS1_11target_archE4294967295ELNS1_3gpuE0ELNS1_3repE0EEENS1_30default_config_static_selectorELNS0_4arch9wavefront6targetE1EEEvT1_ ; -- Begin function _ZN7rocprim17ROCPRIM_400000_NS6detail17trampoline_kernelINS0_14default_configENS1_20scan_config_selectorIjEEZZNS1_9scan_implILNS1_25lookback_scan_determinismE0ELb0ELb0ES3_N6thrust23THRUST_200600_302600_NS6detail15normal_iteratorINS9_10device_ptrIjEEEESE_j11max_functorIjEjEEDaPvRmT3_T4_T5_mT6_P12ihipStream_tbENKUlT_T0_E_clISt17integral_constantIbLb1EEST_IbLb0EEEEDaSP_SQ_EUlSP_E0_NS1_11comp_targetILNS1_3genE0ELNS1_11target_archE4294967295ELNS1_3gpuE0ELNS1_3repE0EEENS1_30default_config_static_selectorELNS0_4arch9wavefront6targetE1EEEvT1_
	.globl	_ZN7rocprim17ROCPRIM_400000_NS6detail17trampoline_kernelINS0_14default_configENS1_20scan_config_selectorIjEEZZNS1_9scan_implILNS1_25lookback_scan_determinismE0ELb0ELb0ES3_N6thrust23THRUST_200600_302600_NS6detail15normal_iteratorINS9_10device_ptrIjEEEESE_j11max_functorIjEjEEDaPvRmT3_T4_T5_mT6_P12ihipStream_tbENKUlT_T0_E_clISt17integral_constantIbLb1EEST_IbLb0EEEEDaSP_SQ_EUlSP_E0_NS1_11comp_targetILNS1_3genE0ELNS1_11target_archE4294967295ELNS1_3gpuE0ELNS1_3repE0EEENS1_30default_config_static_selectorELNS0_4arch9wavefront6targetE1EEEvT1_
	.p2align	8
	.type	_ZN7rocprim17ROCPRIM_400000_NS6detail17trampoline_kernelINS0_14default_configENS1_20scan_config_selectorIjEEZZNS1_9scan_implILNS1_25lookback_scan_determinismE0ELb0ELb0ES3_N6thrust23THRUST_200600_302600_NS6detail15normal_iteratorINS9_10device_ptrIjEEEESE_j11max_functorIjEjEEDaPvRmT3_T4_T5_mT6_P12ihipStream_tbENKUlT_T0_E_clISt17integral_constantIbLb1EEST_IbLb0EEEEDaSP_SQ_EUlSP_E0_NS1_11comp_targetILNS1_3genE0ELNS1_11target_archE4294967295ELNS1_3gpuE0ELNS1_3repE0EEENS1_30default_config_static_selectorELNS0_4arch9wavefront6targetE1EEEvT1_,@function
_ZN7rocprim17ROCPRIM_400000_NS6detail17trampoline_kernelINS0_14default_configENS1_20scan_config_selectorIjEEZZNS1_9scan_implILNS1_25lookback_scan_determinismE0ELb0ELb0ES3_N6thrust23THRUST_200600_302600_NS6detail15normal_iteratorINS9_10device_ptrIjEEEESE_j11max_functorIjEjEEDaPvRmT3_T4_T5_mT6_P12ihipStream_tbENKUlT_T0_E_clISt17integral_constantIbLb1EEST_IbLb0EEEEDaSP_SQ_EUlSP_E0_NS1_11comp_targetILNS1_3genE0ELNS1_11target_archE4294967295ELNS1_3gpuE0ELNS1_3repE0EEENS1_30default_config_static_selectorELNS0_4arch9wavefront6targetE1EEEvT1_: ; @_ZN7rocprim17ROCPRIM_400000_NS6detail17trampoline_kernelINS0_14default_configENS1_20scan_config_selectorIjEEZZNS1_9scan_implILNS1_25lookback_scan_determinismE0ELb0ELb0ES3_N6thrust23THRUST_200600_302600_NS6detail15normal_iteratorINS9_10device_ptrIjEEEESE_j11max_functorIjEjEEDaPvRmT3_T4_T5_mT6_P12ihipStream_tbENKUlT_T0_E_clISt17integral_constantIbLb1EEST_IbLb0EEEEDaSP_SQ_EUlSP_E0_NS1_11comp_targetILNS1_3genE0ELNS1_11target_archE4294967295ELNS1_3gpuE0ELNS1_3repE0EEENS1_30default_config_static_selectorELNS0_4arch9wavefront6targetE1EEEvT1_
; %bb.0:
	.section	.rodata,"a",@progbits
	.p2align	6, 0x0
	.amdhsa_kernel _ZN7rocprim17ROCPRIM_400000_NS6detail17trampoline_kernelINS0_14default_configENS1_20scan_config_selectorIjEEZZNS1_9scan_implILNS1_25lookback_scan_determinismE0ELb0ELb0ES3_N6thrust23THRUST_200600_302600_NS6detail15normal_iteratorINS9_10device_ptrIjEEEESE_j11max_functorIjEjEEDaPvRmT3_T4_T5_mT6_P12ihipStream_tbENKUlT_T0_E_clISt17integral_constantIbLb1EEST_IbLb0EEEEDaSP_SQ_EUlSP_E0_NS1_11comp_targetILNS1_3genE0ELNS1_11target_archE4294967295ELNS1_3gpuE0ELNS1_3repE0EEENS1_30default_config_static_selectorELNS0_4arch9wavefront6targetE1EEEvT1_
		.amdhsa_group_segment_fixed_size 0
		.amdhsa_private_segment_fixed_size 0
		.amdhsa_kernarg_size 32
		.amdhsa_user_sgpr_count 6
		.amdhsa_user_sgpr_private_segment_buffer 1
		.amdhsa_user_sgpr_dispatch_ptr 0
		.amdhsa_user_sgpr_queue_ptr 0
		.amdhsa_user_sgpr_kernarg_segment_ptr 1
		.amdhsa_user_sgpr_dispatch_id 0
		.amdhsa_user_sgpr_flat_scratch_init 0
		.amdhsa_user_sgpr_kernarg_preload_length 0
		.amdhsa_user_sgpr_kernarg_preload_offset 0
		.amdhsa_user_sgpr_private_segment_size 0
		.amdhsa_uses_dynamic_stack 0
		.amdhsa_system_sgpr_private_segment_wavefront_offset 0
		.amdhsa_system_sgpr_workgroup_id_x 1
		.amdhsa_system_sgpr_workgroup_id_y 0
		.amdhsa_system_sgpr_workgroup_id_z 0
		.amdhsa_system_sgpr_workgroup_info 0
		.amdhsa_system_vgpr_workitem_id 0
		.amdhsa_next_free_vgpr 1
		.amdhsa_next_free_sgpr 0
		.amdhsa_accum_offset 4
		.amdhsa_reserve_vcc 0
		.amdhsa_reserve_flat_scratch 0
		.amdhsa_float_round_mode_32 0
		.amdhsa_float_round_mode_16_64 0
		.amdhsa_float_denorm_mode_32 3
		.amdhsa_float_denorm_mode_16_64 3
		.amdhsa_dx10_clamp 1
		.amdhsa_ieee_mode 1
		.amdhsa_fp16_overflow 0
		.amdhsa_tg_split 0
		.amdhsa_exception_fp_ieee_invalid_op 0
		.amdhsa_exception_fp_denorm_src 0
		.amdhsa_exception_fp_ieee_div_zero 0
		.amdhsa_exception_fp_ieee_overflow 0
		.amdhsa_exception_fp_ieee_underflow 0
		.amdhsa_exception_fp_ieee_inexact 0
		.amdhsa_exception_int_div_zero 0
	.end_amdhsa_kernel
	.section	.text._ZN7rocprim17ROCPRIM_400000_NS6detail17trampoline_kernelINS0_14default_configENS1_20scan_config_selectorIjEEZZNS1_9scan_implILNS1_25lookback_scan_determinismE0ELb0ELb0ES3_N6thrust23THRUST_200600_302600_NS6detail15normal_iteratorINS9_10device_ptrIjEEEESE_j11max_functorIjEjEEDaPvRmT3_T4_T5_mT6_P12ihipStream_tbENKUlT_T0_E_clISt17integral_constantIbLb1EEST_IbLb0EEEEDaSP_SQ_EUlSP_E0_NS1_11comp_targetILNS1_3genE0ELNS1_11target_archE4294967295ELNS1_3gpuE0ELNS1_3repE0EEENS1_30default_config_static_selectorELNS0_4arch9wavefront6targetE1EEEvT1_,"axG",@progbits,_ZN7rocprim17ROCPRIM_400000_NS6detail17trampoline_kernelINS0_14default_configENS1_20scan_config_selectorIjEEZZNS1_9scan_implILNS1_25lookback_scan_determinismE0ELb0ELb0ES3_N6thrust23THRUST_200600_302600_NS6detail15normal_iteratorINS9_10device_ptrIjEEEESE_j11max_functorIjEjEEDaPvRmT3_T4_T5_mT6_P12ihipStream_tbENKUlT_T0_E_clISt17integral_constantIbLb1EEST_IbLb0EEEEDaSP_SQ_EUlSP_E0_NS1_11comp_targetILNS1_3genE0ELNS1_11target_archE4294967295ELNS1_3gpuE0ELNS1_3repE0EEENS1_30default_config_static_selectorELNS0_4arch9wavefront6targetE1EEEvT1_,comdat
.Lfunc_end2301:
	.size	_ZN7rocprim17ROCPRIM_400000_NS6detail17trampoline_kernelINS0_14default_configENS1_20scan_config_selectorIjEEZZNS1_9scan_implILNS1_25lookback_scan_determinismE0ELb0ELb0ES3_N6thrust23THRUST_200600_302600_NS6detail15normal_iteratorINS9_10device_ptrIjEEEESE_j11max_functorIjEjEEDaPvRmT3_T4_T5_mT6_P12ihipStream_tbENKUlT_T0_E_clISt17integral_constantIbLb1EEST_IbLb0EEEEDaSP_SQ_EUlSP_E0_NS1_11comp_targetILNS1_3genE0ELNS1_11target_archE4294967295ELNS1_3gpuE0ELNS1_3repE0EEENS1_30default_config_static_selectorELNS0_4arch9wavefront6targetE1EEEvT1_, .Lfunc_end2301-_ZN7rocprim17ROCPRIM_400000_NS6detail17trampoline_kernelINS0_14default_configENS1_20scan_config_selectorIjEEZZNS1_9scan_implILNS1_25lookback_scan_determinismE0ELb0ELb0ES3_N6thrust23THRUST_200600_302600_NS6detail15normal_iteratorINS9_10device_ptrIjEEEESE_j11max_functorIjEjEEDaPvRmT3_T4_T5_mT6_P12ihipStream_tbENKUlT_T0_E_clISt17integral_constantIbLb1EEST_IbLb0EEEEDaSP_SQ_EUlSP_E0_NS1_11comp_targetILNS1_3genE0ELNS1_11target_archE4294967295ELNS1_3gpuE0ELNS1_3repE0EEENS1_30default_config_static_selectorELNS0_4arch9wavefront6targetE1EEEvT1_
                                        ; -- End function
	.section	.AMDGPU.csdata,"",@progbits
; Kernel info:
; codeLenInByte = 0
; NumSgprs: 4
; NumVgprs: 0
; NumAgprs: 0
; TotalNumVgprs: 0
; ScratchSize: 0
; MemoryBound: 0
; FloatMode: 240
; IeeeMode: 1
; LDSByteSize: 0 bytes/workgroup (compile time only)
; SGPRBlocks: 0
; VGPRBlocks: 0
; NumSGPRsForWavesPerEU: 4
; NumVGPRsForWavesPerEU: 1
; AccumOffset: 4
; Occupancy: 8
; WaveLimiterHint : 0
; COMPUTE_PGM_RSRC2:SCRATCH_EN: 0
; COMPUTE_PGM_RSRC2:USER_SGPR: 6
; COMPUTE_PGM_RSRC2:TRAP_HANDLER: 0
; COMPUTE_PGM_RSRC2:TGID_X_EN: 1
; COMPUTE_PGM_RSRC2:TGID_Y_EN: 0
; COMPUTE_PGM_RSRC2:TGID_Z_EN: 0
; COMPUTE_PGM_RSRC2:TIDIG_COMP_CNT: 0
; COMPUTE_PGM_RSRC3_GFX90A:ACCUM_OFFSET: 0
; COMPUTE_PGM_RSRC3_GFX90A:TG_SPLIT: 0
	.section	.text._ZN7rocprim17ROCPRIM_400000_NS6detail17trampoline_kernelINS0_14default_configENS1_20scan_config_selectorIjEEZZNS1_9scan_implILNS1_25lookback_scan_determinismE0ELb0ELb0ES3_N6thrust23THRUST_200600_302600_NS6detail15normal_iteratorINS9_10device_ptrIjEEEESE_j11max_functorIjEjEEDaPvRmT3_T4_T5_mT6_P12ihipStream_tbENKUlT_T0_E_clISt17integral_constantIbLb1EEST_IbLb0EEEEDaSP_SQ_EUlSP_E0_NS1_11comp_targetILNS1_3genE5ELNS1_11target_archE942ELNS1_3gpuE9ELNS1_3repE0EEENS1_30default_config_static_selectorELNS0_4arch9wavefront6targetE1EEEvT1_,"axG",@progbits,_ZN7rocprim17ROCPRIM_400000_NS6detail17trampoline_kernelINS0_14default_configENS1_20scan_config_selectorIjEEZZNS1_9scan_implILNS1_25lookback_scan_determinismE0ELb0ELb0ES3_N6thrust23THRUST_200600_302600_NS6detail15normal_iteratorINS9_10device_ptrIjEEEESE_j11max_functorIjEjEEDaPvRmT3_T4_T5_mT6_P12ihipStream_tbENKUlT_T0_E_clISt17integral_constantIbLb1EEST_IbLb0EEEEDaSP_SQ_EUlSP_E0_NS1_11comp_targetILNS1_3genE5ELNS1_11target_archE942ELNS1_3gpuE9ELNS1_3repE0EEENS1_30default_config_static_selectorELNS0_4arch9wavefront6targetE1EEEvT1_,comdat
	.protected	_ZN7rocprim17ROCPRIM_400000_NS6detail17trampoline_kernelINS0_14default_configENS1_20scan_config_selectorIjEEZZNS1_9scan_implILNS1_25lookback_scan_determinismE0ELb0ELb0ES3_N6thrust23THRUST_200600_302600_NS6detail15normal_iteratorINS9_10device_ptrIjEEEESE_j11max_functorIjEjEEDaPvRmT3_T4_T5_mT6_P12ihipStream_tbENKUlT_T0_E_clISt17integral_constantIbLb1EEST_IbLb0EEEEDaSP_SQ_EUlSP_E0_NS1_11comp_targetILNS1_3genE5ELNS1_11target_archE942ELNS1_3gpuE9ELNS1_3repE0EEENS1_30default_config_static_selectorELNS0_4arch9wavefront6targetE1EEEvT1_ ; -- Begin function _ZN7rocprim17ROCPRIM_400000_NS6detail17trampoline_kernelINS0_14default_configENS1_20scan_config_selectorIjEEZZNS1_9scan_implILNS1_25lookback_scan_determinismE0ELb0ELb0ES3_N6thrust23THRUST_200600_302600_NS6detail15normal_iteratorINS9_10device_ptrIjEEEESE_j11max_functorIjEjEEDaPvRmT3_T4_T5_mT6_P12ihipStream_tbENKUlT_T0_E_clISt17integral_constantIbLb1EEST_IbLb0EEEEDaSP_SQ_EUlSP_E0_NS1_11comp_targetILNS1_3genE5ELNS1_11target_archE942ELNS1_3gpuE9ELNS1_3repE0EEENS1_30default_config_static_selectorELNS0_4arch9wavefront6targetE1EEEvT1_
	.globl	_ZN7rocprim17ROCPRIM_400000_NS6detail17trampoline_kernelINS0_14default_configENS1_20scan_config_selectorIjEEZZNS1_9scan_implILNS1_25lookback_scan_determinismE0ELb0ELb0ES3_N6thrust23THRUST_200600_302600_NS6detail15normal_iteratorINS9_10device_ptrIjEEEESE_j11max_functorIjEjEEDaPvRmT3_T4_T5_mT6_P12ihipStream_tbENKUlT_T0_E_clISt17integral_constantIbLb1EEST_IbLb0EEEEDaSP_SQ_EUlSP_E0_NS1_11comp_targetILNS1_3genE5ELNS1_11target_archE942ELNS1_3gpuE9ELNS1_3repE0EEENS1_30default_config_static_selectorELNS0_4arch9wavefront6targetE1EEEvT1_
	.p2align	8
	.type	_ZN7rocprim17ROCPRIM_400000_NS6detail17trampoline_kernelINS0_14default_configENS1_20scan_config_selectorIjEEZZNS1_9scan_implILNS1_25lookback_scan_determinismE0ELb0ELb0ES3_N6thrust23THRUST_200600_302600_NS6detail15normal_iteratorINS9_10device_ptrIjEEEESE_j11max_functorIjEjEEDaPvRmT3_T4_T5_mT6_P12ihipStream_tbENKUlT_T0_E_clISt17integral_constantIbLb1EEST_IbLb0EEEEDaSP_SQ_EUlSP_E0_NS1_11comp_targetILNS1_3genE5ELNS1_11target_archE942ELNS1_3gpuE9ELNS1_3repE0EEENS1_30default_config_static_selectorELNS0_4arch9wavefront6targetE1EEEvT1_,@function
_ZN7rocprim17ROCPRIM_400000_NS6detail17trampoline_kernelINS0_14default_configENS1_20scan_config_selectorIjEEZZNS1_9scan_implILNS1_25lookback_scan_determinismE0ELb0ELb0ES3_N6thrust23THRUST_200600_302600_NS6detail15normal_iteratorINS9_10device_ptrIjEEEESE_j11max_functorIjEjEEDaPvRmT3_T4_T5_mT6_P12ihipStream_tbENKUlT_T0_E_clISt17integral_constantIbLb1EEST_IbLb0EEEEDaSP_SQ_EUlSP_E0_NS1_11comp_targetILNS1_3genE5ELNS1_11target_archE942ELNS1_3gpuE9ELNS1_3repE0EEENS1_30default_config_static_selectorELNS0_4arch9wavefront6targetE1EEEvT1_: ; @_ZN7rocprim17ROCPRIM_400000_NS6detail17trampoline_kernelINS0_14default_configENS1_20scan_config_selectorIjEEZZNS1_9scan_implILNS1_25lookback_scan_determinismE0ELb0ELb0ES3_N6thrust23THRUST_200600_302600_NS6detail15normal_iteratorINS9_10device_ptrIjEEEESE_j11max_functorIjEjEEDaPvRmT3_T4_T5_mT6_P12ihipStream_tbENKUlT_T0_E_clISt17integral_constantIbLb1EEST_IbLb0EEEEDaSP_SQ_EUlSP_E0_NS1_11comp_targetILNS1_3genE5ELNS1_11target_archE942ELNS1_3gpuE9ELNS1_3repE0EEENS1_30default_config_static_selectorELNS0_4arch9wavefront6targetE1EEEvT1_
; %bb.0:
	.section	.rodata,"a",@progbits
	.p2align	6, 0x0
	.amdhsa_kernel _ZN7rocprim17ROCPRIM_400000_NS6detail17trampoline_kernelINS0_14default_configENS1_20scan_config_selectorIjEEZZNS1_9scan_implILNS1_25lookback_scan_determinismE0ELb0ELb0ES3_N6thrust23THRUST_200600_302600_NS6detail15normal_iteratorINS9_10device_ptrIjEEEESE_j11max_functorIjEjEEDaPvRmT3_T4_T5_mT6_P12ihipStream_tbENKUlT_T0_E_clISt17integral_constantIbLb1EEST_IbLb0EEEEDaSP_SQ_EUlSP_E0_NS1_11comp_targetILNS1_3genE5ELNS1_11target_archE942ELNS1_3gpuE9ELNS1_3repE0EEENS1_30default_config_static_selectorELNS0_4arch9wavefront6targetE1EEEvT1_
		.amdhsa_group_segment_fixed_size 0
		.amdhsa_private_segment_fixed_size 0
		.amdhsa_kernarg_size 32
		.amdhsa_user_sgpr_count 6
		.amdhsa_user_sgpr_private_segment_buffer 1
		.amdhsa_user_sgpr_dispatch_ptr 0
		.amdhsa_user_sgpr_queue_ptr 0
		.amdhsa_user_sgpr_kernarg_segment_ptr 1
		.amdhsa_user_sgpr_dispatch_id 0
		.amdhsa_user_sgpr_flat_scratch_init 0
		.amdhsa_user_sgpr_kernarg_preload_length 0
		.amdhsa_user_sgpr_kernarg_preload_offset 0
		.amdhsa_user_sgpr_private_segment_size 0
		.amdhsa_uses_dynamic_stack 0
		.amdhsa_system_sgpr_private_segment_wavefront_offset 0
		.amdhsa_system_sgpr_workgroup_id_x 1
		.amdhsa_system_sgpr_workgroup_id_y 0
		.amdhsa_system_sgpr_workgroup_id_z 0
		.amdhsa_system_sgpr_workgroup_info 0
		.amdhsa_system_vgpr_workitem_id 0
		.amdhsa_next_free_vgpr 1
		.amdhsa_next_free_sgpr 0
		.amdhsa_accum_offset 4
		.amdhsa_reserve_vcc 0
		.amdhsa_reserve_flat_scratch 0
		.amdhsa_float_round_mode_32 0
		.amdhsa_float_round_mode_16_64 0
		.amdhsa_float_denorm_mode_32 3
		.amdhsa_float_denorm_mode_16_64 3
		.amdhsa_dx10_clamp 1
		.amdhsa_ieee_mode 1
		.amdhsa_fp16_overflow 0
		.amdhsa_tg_split 0
		.amdhsa_exception_fp_ieee_invalid_op 0
		.amdhsa_exception_fp_denorm_src 0
		.amdhsa_exception_fp_ieee_div_zero 0
		.amdhsa_exception_fp_ieee_overflow 0
		.amdhsa_exception_fp_ieee_underflow 0
		.amdhsa_exception_fp_ieee_inexact 0
		.amdhsa_exception_int_div_zero 0
	.end_amdhsa_kernel
	.section	.text._ZN7rocprim17ROCPRIM_400000_NS6detail17trampoline_kernelINS0_14default_configENS1_20scan_config_selectorIjEEZZNS1_9scan_implILNS1_25lookback_scan_determinismE0ELb0ELb0ES3_N6thrust23THRUST_200600_302600_NS6detail15normal_iteratorINS9_10device_ptrIjEEEESE_j11max_functorIjEjEEDaPvRmT3_T4_T5_mT6_P12ihipStream_tbENKUlT_T0_E_clISt17integral_constantIbLb1EEST_IbLb0EEEEDaSP_SQ_EUlSP_E0_NS1_11comp_targetILNS1_3genE5ELNS1_11target_archE942ELNS1_3gpuE9ELNS1_3repE0EEENS1_30default_config_static_selectorELNS0_4arch9wavefront6targetE1EEEvT1_,"axG",@progbits,_ZN7rocprim17ROCPRIM_400000_NS6detail17trampoline_kernelINS0_14default_configENS1_20scan_config_selectorIjEEZZNS1_9scan_implILNS1_25lookback_scan_determinismE0ELb0ELb0ES3_N6thrust23THRUST_200600_302600_NS6detail15normal_iteratorINS9_10device_ptrIjEEEESE_j11max_functorIjEjEEDaPvRmT3_T4_T5_mT6_P12ihipStream_tbENKUlT_T0_E_clISt17integral_constantIbLb1EEST_IbLb0EEEEDaSP_SQ_EUlSP_E0_NS1_11comp_targetILNS1_3genE5ELNS1_11target_archE942ELNS1_3gpuE9ELNS1_3repE0EEENS1_30default_config_static_selectorELNS0_4arch9wavefront6targetE1EEEvT1_,comdat
.Lfunc_end2302:
	.size	_ZN7rocprim17ROCPRIM_400000_NS6detail17trampoline_kernelINS0_14default_configENS1_20scan_config_selectorIjEEZZNS1_9scan_implILNS1_25lookback_scan_determinismE0ELb0ELb0ES3_N6thrust23THRUST_200600_302600_NS6detail15normal_iteratorINS9_10device_ptrIjEEEESE_j11max_functorIjEjEEDaPvRmT3_T4_T5_mT6_P12ihipStream_tbENKUlT_T0_E_clISt17integral_constantIbLb1EEST_IbLb0EEEEDaSP_SQ_EUlSP_E0_NS1_11comp_targetILNS1_3genE5ELNS1_11target_archE942ELNS1_3gpuE9ELNS1_3repE0EEENS1_30default_config_static_selectorELNS0_4arch9wavefront6targetE1EEEvT1_, .Lfunc_end2302-_ZN7rocprim17ROCPRIM_400000_NS6detail17trampoline_kernelINS0_14default_configENS1_20scan_config_selectorIjEEZZNS1_9scan_implILNS1_25lookback_scan_determinismE0ELb0ELb0ES3_N6thrust23THRUST_200600_302600_NS6detail15normal_iteratorINS9_10device_ptrIjEEEESE_j11max_functorIjEjEEDaPvRmT3_T4_T5_mT6_P12ihipStream_tbENKUlT_T0_E_clISt17integral_constantIbLb1EEST_IbLb0EEEEDaSP_SQ_EUlSP_E0_NS1_11comp_targetILNS1_3genE5ELNS1_11target_archE942ELNS1_3gpuE9ELNS1_3repE0EEENS1_30default_config_static_selectorELNS0_4arch9wavefront6targetE1EEEvT1_
                                        ; -- End function
	.section	.AMDGPU.csdata,"",@progbits
; Kernel info:
; codeLenInByte = 0
; NumSgprs: 4
; NumVgprs: 0
; NumAgprs: 0
; TotalNumVgprs: 0
; ScratchSize: 0
; MemoryBound: 0
; FloatMode: 240
; IeeeMode: 1
; LDSByteSize: 0 bytes/workgroup (compile time only)
; SGPRBlocks: 0
; VGPRBlocks: 0
; NumSGPRsForWavesPerEU: 4
; NumVGPRsForWavesPerEU: 1
; AccumOffset: 4
; Occupancy: 8
; WaveLimiterHint : 0
; COMPUTE_PGM_RSRC2:SCRATCH_EN: 0
; COMPUTE_PGM_RSRC2:USER_SGPR: 6
; COMPUTE_PGM_RSRC2:TRAP_HANDLER: 0
; COMPUTE_PGM_RSRC2:TGID_X_EN: 1
; COMPUTE_PGM_RSRC2:TGID_Y_EN: 0
; COMPUTE_PGM_RSRC2:TGID_Z_EN: 0
; COMPUTE_PGM_RSRC2:TIDIG_COMP_CNT: 0
; COMPUTE_PGM_RSRC3_GFX90A:ACCUM_OFFSET: 0
; COMPUTE_PGM_RSRC3_GFX90A:TG_SPLIT: 0
	.section	.text._ZN7rocprim17ROCPRIM_400000_NS6detail17trampoline_kernelINS0_14default_configENS1_20scan_config_selectorIjEEZZNS1_9scan_implILNS1_25lookback_scan_determinismE0ELb0ELb0ES3_N6thrust23THRUST_200600_302600_NS6detail15normal_iteratorINS9_10device_ptrIjEEEESE_j11max_functorIjEjEEDaPvRmT3_T4_T5_mT6_P12ihipStream_tbENKUlT_T0_E_clISt17integral_constantIbLb1EEST_IbLb0EEEEDaSP_SQ_EUlSP_E0_NS1_11comp_targetILNS1_3genE4ELNS1_11target_archE910ELNS1_3gpuE8ELNS1_3repE0EEENS1_30default_config_static_selectorELNS0_4arch9wavefront6targetE1EEEvT1_,"axG",@progbits,_ZN7rocprim17ROCPRIM_400000_NS6detail17trampoline_kernelINS0_14default_configENS1_20scan_config_selectorIjEEZZNS1_9scan_implILNS1_25lookback_scan_determinismE0ELb0ELb0ES3_N6thrust23THRUST_200600_302600_NS6detail15normal_iteratorINS9_10device_ptrIjEEEESE_j11max_functorIjEjEEDaPvRmT3_T4_T5_mT6_P12ihipStream_tbENKUlT_T0_E_clISt17integral_constantIbLb1EEST_IbLb0EEEEDaSP_SQ_EUlSP_E0_NS1_11comp_targetILNS1_3genE4ELNS1_11target_archE910ELNS1_3gpuE8ELNS1_3repE0EEENS1_30default_config_static_selectorELNS0_4arch9wavefront6targetE1EEEvT1_,comdat
	.protected	_ZN7rocprim17ROCPRIM_400000_NS6detail17trampoline_kernelINS0_14default_configENS1_20scan_config_selectorIjEEZZNS1_9scan_implILNS1_25lookback_scan_determinismE0ELb0ELb0ES3_N6thrust23THRUST_200600_302600_NS6detail15normal_iteratorINS9_10device_ptrIjEEEESE_j11max_functorIjEjEEDaPvRmT3_T4_T5_mT6_P12ihipStream_tbENKUlT_T0_E_clISt17integral_constantIbLb1EEST_IbLb0EEEEDaSP_SQ_EUlSP_E0_NS1_11comp_targetILNS1_3genE4ELNS1_11target_archE910ELNS1_3gpuE8ELNS1_3repE0EEENS1_30default_config_static_selectorELNS0_4arch9wavefront6targetE1EEEvT1_ ; -- Begin function _ZN7rocprim17ROCPRIM_400000_NS6detail17trampoline_kernelINS0_14default_configENS1_20scan_config_selectorIjEEZZNS1_9scan_implILNS1_25lookback_scan_determinismE0ELb0ELb0ES3_N6thrust23THRUST_200600_302600_NS6detail15normal_iteratorINS9_10device_ptrIjEEEESE_j11max_functorIjEjEEDaPvRmT3_T4_T5_mT6_P12ihipStream_tbENKUlT_T0_E_clISt17integral_constantIbLb1EEST_IbLb0EEEEDaSP_SQ_EUlSP_E0_NS1_11comp_targetILNS1_3genE4ELNS1_11target_archE910ELNS1_3gpuE8ELNS1_3repE0EEENS1_30default_config_static_selectorELNS0_4arch9wavefront6targetE1EEEvT1_
	.globl	_ZN7rocprim17ROCPRIM_400000_NS6detail17trampoline_kernelINS0_14default_configENS1_20scan_config_selectorIjEEZZNS1_9scan_implILNS1_25lookback_scan_determinismE0ELb0ELb0ES3_N6thrust23THRUST_200600_302600_NS6detail15normal_iteratorINS9_10device_ptrIjEEEESE_j11max_functorIjEjEEDaPvRmT3_T4_T5_mT6_P12ihipStream_tbENKUlT_T0_E_clISt17integral_constantIbLb1EEST_IbLb0EEEEDaSP_SQ_EUlSP_E0_NS1_11comp_targetILNS1_3genE4ELNS1_11target_archE910ELNS1_3gpuE8ELNS1_3repE0EEENS1_30default_config_static_selectorELNS0_4arch9wavefront6targetE1EEEvT1_
	.p2align	8
	.type	_ZN7rocprim17ROCPRIM_400000_NS6detail17trampoline_kernelINS0_14default_configENS1_20scan_config_selectorIjEEZZNS1_9scan_implILNS1_25lookback_scan_determinismE0ELb0ELb0ES3_N6thrust23THRUST_200600_302600_NS6detail15normal_iteratorINS9_10device_ptrIjEEEESE_j11max_functorIjEjEEDaPvRmT3_T4_T5_mT6_P12ihipStream_tbENKUlT_T0_E_clISt17integral_constantIbLb1EEST_IbLb0EEEEDaSP_SQ_EUlSP_E0_NS1_11comp_targetILNS1_3genE4ELNS1_11target_archE910ELNS1_3gpuE8ELNS1_3repE0EEENS1_30default_config_static_selectorELNS0_4arch9wavefront6targetE1EEEvT1_,@function
_ZN7rocprim17ROCPRIM_400000_NS6detail17trampoline_kernelINS0_14default_configENS1_20scan_config_selectorIjEEZZNS1_9scan_implILNS1_25lookback_scan_determinismE0ELb0ELb0ES3_N6thrust23THRUST_200600_302600_NS6detail15normal_iteratorINS9_10device_ptrIjEEEESE_j11max_functorIjEjEEDaPvRmT3_T4_T5_mT6_P12ihipStream_tbENKUlT_T0_E_clISt17integral_constantIbLb1EEST_IbLb0EEEEDaSP_SQ_EUlSP_E0_NS1_11comp_targetILNS1_3genE4ELNS1_11target_archE910ELNS1_3gpuE8ELNS1_3repE0EEENS1_30default_config_static_selectorELNS0_4arch9wavefront6targetE1EEEvT1_: ; @_ZN7rocprim17ROCPRIM_400000_NS6detail17trampoline_kernelINS0_14default_configENS1_20scan_config_selectorIjEEZZNS1_9scan_implILNS1_25lookback_scan_determinismE0ELb0ELb0ES3_N6thrust23THRUST_200600_302600_NS6detail15normal_iteratorINS9_10device_ptrIjEEEESE_j11max_functorIjEjEEDaPvRmT3_T4_T5_mT6_P12ihipStream_tbENKUlT_T0_E_clISt17integral_constantIbLb1EEST_IbLb0EEEEDaSP_SQ_EUlSP_E0_NS1_11comp_targetILNS1_3genE4ELNS1_11target_archE910ELNS1_3gpuE8ELNS1_3repE0EEENS1_30default_config_static_selectorELNS0_4arch9wavefront6targetE1EEEvT1_
; %bb.0:
	s_load_dwordx4 s[20:23], s[4:5], 0x0
	v_lshlrev_b32_e32 v22, 2, v0
	s_waitcnt lgkmcnt(0)
	s_load_dword s23, s[20:21], 0x0
	v_cmp_gt_u32_e32 vcc, s22, v0
	s_waitcnt lgkmcnt(0)
	v_mov_b32_e32 v1, s23
	s_and_saveexec_b64 s[0:1], vcc
	s_cbranch_execz .LBB2303_2
; %bb.1:
	global_load_dword v1, v22, s[20:21]
.LBB2303_2:
	s_or_b64 exec, exec, s[0:1]
	v_or_b32_e32 v2, 0x80, v0
	v_cmp_gt_u32_e64 s[0:1], s22, v2
	v_mov_b32_e32 v2, s23
	s_and_saveexec_b64 s[2:3], s[0:1]
	s_cbranch_execz .LBB2303_4
; %bb.3:
	global_load_dword v2, v22, s[20:21] offset:512
.LBB2303_4:
	s_or_b64 exec, exec, s[2:3]
	v_or_b32_e32 v3, 0x100, v0
	v_cmp_gt_u32_e64 s[2:3], s22, v3
	v_mov_b32_e32 v3, s23
	s_and_saveexec_b64 s[6:7], s[2:3]
	s_cbranch_execz .LBB2303_6
; %bb.5:
	global_load_dword v3, v22, s[20:21] offset:1024
.LBB2303_6:
	s_or_b64 exec, exec, s[6:7]
	v_or_b32_e32 v4, 0x180, v0
	v_cmp_gt_u32_e64 s[18:19], s22, v4
	v_mov_b32_e32 v4, s23
	s_and_saveexec_b64 s[6:7], s[18:19]
	s_cbranch_execz .LBB2303_8
; %bb.7:
	global_load_dword v4, v22, s[20:21] offset:1536
.LBB2303_8:
	s_or_b64 exec, exec, s[6:7]
	v_or_b32_e32 v5, 0x200, v0
	v_cmp_gt_u32_e64 s[6:7], s22, v5
	v_mov_b32_e32 v5, s23
	s_and_saveexec_b64 s[8:9], s[6:7]
	s_cbranch_execz .LBB2303_10
; %bb.9:
	global_load_dword v5, v22, s[20:21] offset:2048
.LBB2303_10:
	s_or_b64 exec, exec, s[8:9]
	v_or_b32_e32 v6, 0x280, v0
	v_cmp_gt_u32_e64 s[8:9], s22, v6
	v_mov_b32_e32 v6, s23
	s_and_saveexec_b64 s[10:11], s[8:9]
	s_cbranch_execz .LBB2303_12
; %bb.11:
	global_load_dword v6, v22, s[20:21] offset:2560
.LBB2303_12:
	s_or_b64 exec, exec, s[10:11]
	v_or_b32_e32 v7, 0x300, v0
	v_cmp_gt_u32_e64 s[10:11], s22, v7
	v_mov_b32_e32 v7, s23
	s_and_saveexec_b64 s[12:13], s[10:11]
	s_cbranch_execz .LBB2303_14
; %bb.13:
	global_load_dword v7, v22, s[20:21] offset:3072
.LBB2303_14:
	s_or_b64 exec, exec, s[12:13]
	v_or_b32_e32 v8, 0x380, v0
	v_cmp_gt_u32_e64 s[12:13], s22, v8
	v_mov_b32_e32 v8, s23
	s_and_saveexec_b64 s[14:15], s[12:13]
	s_cbranch_execz .LBB2303_16
; %bb.15:
	global_load_dword v8, v22, s[20:21] offset:3584
.LBB2303_16:
	s_or_b64 exec, exec, s[14:15]
	v_or_b32_e32 v10, 0x400, v0
	v_cmp_gt_u32_e64 s[14:15], s22, v10
	v_mov_b32_e32 v9, s23
	s_and_saveexec_b64 s[16:17], s[14:15]
	s_cbranch_execz .LBB2303_18
; %bb.17:
	v_lshlrev_b32_e32 v9, 2, v10
	global_load_dword v9, v9, s[20:21]
.LBB2303_18:
	s_or_b64 exec, exec, s[16:17]
	v_or_b32_e32 v11, 0x480, v0
	v_cmp_gt_u32_e64 s[16:17], s22, v11
	v_mov_b32_e32 v10, s23
	s_and_saveexec_b64 s[22:23], s[16:17]
	s_cbranch_execz .LBB2303_20
; %bb.19:
	v_lshlrev_b32_e32 v10, 2, v11
	global_load_dword v10, v10, s[20:21]
.LBB2303_20:
	s_or_b64 exec, exec, s[22:23]
	s_waitcnt vmcnt(0)
	ds_write2st64_b32 v22, v1, v2 offset1:2
	ds_write2st64_b32 v22, v3, v4 offset0:4 offset1:6
	ds_write2st64_b32 v22, v5, v6 offset0:8 offset1:10
	;; [unrolled: 1-line block ×4, first 2 shown]
	v_mad_u32_u24 v1, v0, 36, v22
	s_waitcnt lgkmcnt(0)
	s_barrier
	ds_read2_b64 v[6:9], v1 offset1:1
	ds_read2_b64 v[2:5], v1 offset0:2 offset1:3
	ds_read_b64 v[20:21], v1 offset:32
	v_lshrrev_b32_e32 v12, 3, v0
	v_and_b32_e32 v12, 12, v12
	s_waitcnt lgkmcnt(2)
	v_max_u32_e32 v13, v6, v7
	v_max_u32_e32 v16, v13, v8
	;; [unrolled: 1-line block ×3, first 2 shown]
	s_waitcnt lgkmcnt(1)
	v_max_u32_e32 v10, v17, v2
	v_max_u32_e32 v11, v10, v3
	v_max_u32_e32 v14, v11, v4
	v_max_u32_e32 v15, v14, v5
	s_waitcnt lgkmcnt(0)
	v_max_u32_e32 v18, v15, v20
	v_max_u32_e32 v19, v18, v21
	v_add_u32_e32 v12, v22, v12
	v_cmp_gt_u32_e64 s[20:21], 64, v0
	s_barrier
	ds_write_b32 v12, v19
	s_waitcnt lgkmcnt(0)
	s_barrier
	s_and_saveexec_b64 s[22:23], s[20:21]
	s_cbranch_execz .LBB2303_22
; %bb.21:
	v_lshlrev_b32_e32 v12, 1, v0
	v_lshrrev_b32_e32 v23, 4, v0
	v_add_lshl_u32 v12, v23, v12, 2
	ds_read2_b32 v[24:25], v12 offset1:1
	v_mbcnt_lo_u32_b32 v23, -1, 0
	v_mbcnt_hi_u32_b32 v23, -1, v23
	v_and_b32_e32 v26, 15, v23
	v_cmp_eq_u32_e64 s[20:21], 0, v26
	s_waitcnt lgkmcnt(0)
	v_max_u32_e32 v25, v24, v25
	; wave barrier
	s_nop 1
	v_mov_b32_dpp v27, v25 row_shr:1 row_mask:0xf bank_mask:0xf
	v_max_u32_e32 v27, v27, v25
	v_cndmask_b32_e64 v25, v27, v25, s[20:21]
	v_cmp_lt_u32_e64 s[20:21], 1, v26
	s_nop 0
	v_mov_b32_dpp v27, v25 row_shr:2 row_mask:0xf bank_mask:0xf
	v_max_u32_e32 v27, v27, v25
	v_cndmask_b32_e64 v25, v25, v27, s[20:21]
	v_cmp_lt_u32_e64 s[20:21], 3, v26
	;; [unrolled: 5-line block ×3, first 2 shown]
	s_nop 0
	v_mov_b32_dpp v27, v25 row_shr:8 row_mask:0xf bank_mask:0xf
	v_max_u32_e32 v27, v27, v25
	v_cndmask_b32_e64 v25, v25, v27, s[20:21]
	v_and_b32_e32 v27, 16, v23
	v_cmp_eq_u32_e64 s[20:21], 0, v27
	v_mov_b32_dpp v26, v25 row_bcast:15 row_mask:0xf bank_mask:0xf
	v_max_u32_e32 v26, v26, v25
	v_cndmask_b32_e64 v25, v26, v25, s[20:21]
	v_cmp_lt_u32_e64 s[20:21], 31, v23
	v_and_b32_e32 v27, 64, v23
	v_mov_b32_dpp v26, v25 row_bcast:31 row_mask:0xf bank_mask:0xf
	v_max_u32_e32 v26, v26, v25
	v_cndmask_b32_e64 v25, v25, v26, s[20:21]
	v_add_u32_e32 v26, -1, v23
	v_cmp_lt_i32_e64 s[20:21], v26, v27
	v_cndmask_b32_e64 v23, v26, v23, s[20:21]
	v_lshlrev_b32_e32 v23, 2, v23
	ds_bpermute_b32 v23, v23, v25
	v_cmp_eq_u32_e64 s[20:21], 0, v0
	s_waitcnt lgkmcnt(0)
	v_max_u32_e32 v23, v23, v24
	v_cndmask_b32_e64 v23, v23, v19, s[20:21]
	ds_write_b32 v12, v23
	; wave barrier
	ds_read_b32 v24, v12 offset:4
	s_waitcnt lgkmcnt(0)
	v_max_u32_e32 v23, v23, v24
	ds_write_b32 v12, v23 offset:4
.LBB2303_22:
	s_or_b64 exec, exec, s[22:23]
	s_load_dwordx2 s[20:21], s[4:5], 0x18
	v_cmp_ne_u32_e64 s[4:5], 0, v0
	v_mov_b32_e32 v23, v19
	s_waitcnt lgkmcnt(0)
	s_barrier
	s_and_saveexec_b64 s[22:23], s[4:5]
	s_cbranch_execz .LBB2303_24
; %bb.23:
	v_add_u32_e32 v12, -1, v0
	v_lshrrev_b32_e32 v23, 5, v12
	v_add_lshl_u32 v12, v23, v12, 2
	ds_read_b32 v23, v12
.LBB2303_24:
	s_or_b64 exec, exec, s[22:23]
	v_mov_b32_e32 v12, v6
	s_and_saveexec_b64 s[22:23], s[4:5]
	s_cbranch_execz .LBB2303_26
; %bb.25:
	s_waitcnt lgkmcnt(0)
	v_max_u32_e32 v12, v23, v6
	v_max_u32_e32 v13, v12, v7
	;; [unrolled: 1-line block ×10, first 2 shown]
	;;#ASMSTART
	;;#ASMEND
.LBB2303_26:
	s_or_b64 exec, exec, s[22:23]
	s_movk_i32 s4, 0xffdc
	v_mad_i32_i24 v0, v0, s4, v1
	s_waitcnt lgkmcnt(0)
	s_barrier
	ds_write2_b64 v1, v[12:13], v[16:17] offset1:1
	ds_write2_b64 v1, v[10:11], v[14:15] offset0:2 offset1:3
	ds_write_b64 v1, v[18:19] offset:32
	s_waitcnt lgkmcnt(0)
	s_barrier
	ds_read2st64_b32 v[8:9], v0 offset0:2 offset1:4
	ds_read2st64_b32 v[6:7], v0 offset0:6 offset1:8
	;; [unrolled: 1-line block ×4, first 2 shown]
	ds_read_b32 v10, v22 offset:4096
	v_mov_b32_e32 v3, s21
	v_add_co_u32_e64 v2, s[4:5], s20, v22
	v_addc_co_u32_e64 v3, s[4:5], 0, v3, s[4:5]
	s_and_saveexec_b64 s[4:5], vcc
	s_cbranch_execnz .LBB2303_37
; %bb.27:
	s_or_b64 exec, exec, s[4:5]
	s_and_saveexec_b64 s[4:5], s[0:1]
	s_cbranch_execnz .LBB2303_38
.LBB2303_28:
	s_or_b64 exec, exec, s[4:5]
	s_and_saveexec_b64 s[0:1], s[2:3]
	s_cbranch_execnz .LBB2303_39
.LBB2303_29:
	s_or_b64 exec, exec, s[0:1]
	s_and_saveexec_b64 s[0:1], s[18:19]
	s_cbranch_execnz .LBB2303_40
.LBB2303_30:
	s_or_b64 exec, exec, s[0:1]
	s_and_saveexec_b64 s[0:1], s[6:7]
	s_cbranch_execnz .LBB2303_41
.LBB2303_31:
	s_or_b64 exec, exec, s[0:1]
	s_and_saveexec_b64 s[0:1], s[8:9]
	s_cbranch_execnz .LBB2303_42
.LBB2303_32:
	s_or_b64 exec, exec, s[0:1]
	s_and_saveexec_b64 s[0:1], s[10:11]
	s_cbranch_execnz .LBB2303_43
.LBB2303_33:
	s_or_b64 exec, exec, s[0:1]
	s_and_saveexec_b64 s[0:1], s[12:13]
	s_cbranch_execnz .LBB2303_44
.LBB2303_34:
	s_or_b64 exec, exec, s[0:1]
	s_and_saveexec_b64 s[0:1], s[14:15]
	s_cbranch_execnz .LBB2303_45
.LBB2303_35:
	s_or_b64 exec, exec, s[0:1]
	s_and_saveexec_b64 s[0:1], s[16:17]
	s_cbranch_execnz .LBB2303_46
.LBB2303_36:
	s_endpgm
.LBB2303_37:
	ds_read_b32 v11, v22
	s_waitcnt lgkmcnt(0)
	global_store_dword v[2:3], v11, off
	s_or_b64 exec, exec, s[4:5]
	s_and_saveexec_b64 s[4:5], s[0:1]
	s_cbranch_execz .LBB2303_28
.LBB2303_38:
	s_waitcnt lgkmcnt(4)
	global_store_dword v[2:3], v8, off offset:512
	s_or_b64 exec, exec, s[4:5]
	s_and_saveexec_b64 s[0:1], s[2:3]
	s_cbranch_execz .LBB2303_29
.LBB2303_39:
	s_waitcnt lgkmcnt(4)
	global_store_dword v[2:3], v9, off offset:1024
	s_or_b64 exec, exec, s[0:1]
	s_and_saveexec_b64 s[0:1], s[18:19]
	s_cbranch_execz .LBB2303_30
.LBB2303_40:
	s_waitcnt lgkmcnt(3)
	global_store_dword v[2:3], v6, off offset:1536
	s_or_b64 exec, exec, s[0:1]
	s_and_saveexec_b64 s[0:1], s[6:7]
	s_cbranch_execz .LBB2303_31
.LBB2303_41:
	s_waitcnt lgkmcnt(3)
	global_store_dword v[2:3], v7, off offset:2048
	s_or_b64 exec, exec, s[0:1]
	s_and_saveexec_b64 s[0:1], s[8:9]
	s_cbranch_execz .LBB2303_32
.LBB2303_42:
	s_waitcnt lgkmcnt(2)
	global_store_dword v[2:3], v4, off offset:2560
	s_or_b64 exec, exec, s[0:1]
	s_and_saveexec_b64 s[0:1], s[10:11]
	s_cbranch_execz .LBB2303_33
.LBB2303_43:
	s_waitcnt lgkmcnt(2)
	global_store_dword v[2:3], v5, off offset:3072
	s_or_b64 exec, exec, s[0:1]
	s_and_saveexec_b64 s[0:1], s[12:13]
	s_cbranch_execz .LBB2303_34
.LBB2303_44:
	s_waitcnt lgkmcnt(1)
	global_store_dword v[2:3], v0, off offset:3584
	s_or_b64 exec, exec, s[0:1]
	s_and_saveexec_b64 s[0:1], s[14:15]
	s_cbranch_execz .LBB2303_35
.LBB2303_45:
	s_waitcnt lgkmcnt(2)
	v_add_co_u32_e32 v4, vcc, 0x1000, v2
	v_addc_co_u32_e32 v5, vcc, 0, v3, vcc
	s_waitcnt lgkmcnt(0)
	global_store_dword v[4:5], v10, off
	s_or_b64 exec, exec, s[0:1]
	s_and_saveexec_b64 s[0:1], s[16:17]
	s_cbranch_execz .LBB2303_36
.LBB2303_46:
	v_add_co_u32_e32 v2, vcc, 0x1000, v2
	v_addc_co_u32_e32 v3, vcc, 0, v3, vcc
	s_waitcnt lgkmcnt(1)
	global_store_dword v[2:3], v1, off offset:512
	s_endpgm
	.section	.rodata,"a",@progbits
	.p2align	6, 0x0
	.amdhsa_kernel _ZN7rocprim17ROCPRIM_400000_NS6detail17trampoline_kernelINS0_14default_configENS1_20scan_config_selectorIjEEZZNS1_9scan_implILNS1_25lookback_scan_determinismE0ELb0ELb0ES3_N6thrust23THRUST_200600_302600_NS6detail15normal_iteratorINS9_10device_ptrIjEEEESE_j11max_functorIjEjEEDaPvRmT3_T4_T5_mT6_P12ihipStream_tbENKUlT_T0_E_clISt17integral_constantIbLb1EEST_IbLb0EEEEDaSP_SQ_EUlSP_E0_NS1_11comp_targetILNS1_3genE4ELNS1_11target_archE910ELNS1_3gpuE8ELNS1_3repE0EEENS1_30default_config_static_selectorELNS0_4arch9wavefront6targetE1EEEvT1_
		.amdhsa_group_segment_fixed_size 5120
		.amdhsa_private_segment_fixed_size 0
		.amdhsa_kernarg_size 32
		.amdhsa_user_sgpr_count 6
		.amdhsa_user_sgpr_private_segment_buffer 1
		.amdhsa_user_sgpr_dispatch_ptr 0
		.amdhsa_user_sgpr_queue_ptr 0
		.amdhsa_user_sgpr_kernarg_segment_ptr 1
		.amdhsa_user_sgpr_dispatch_id 0
		.amdhsa_user_sgpr_flat_scratch_init 0
		.amdhsa_user_sgpr_kernarg_preload_length 0
		.amdhsa_user_sgpr_kernarg_preload_offset 0
		.amdhsa_user_sgpr_private_segment_size 0
		.amdhsa_uses_dynamic_stack 0
		.amdhsa_system_sgpr_private_segment_wavefront_offset 0
		.amdhsa_system_sgpr_workgroup_id_x 1
		.amdhsa_system_sgpr_workgroup_id_y 0
		.amdhsa_system_sgpr_workgroup_id_z 0
		.amdhsa_system_sgpr_workgroup_info 0
		.amdhsa_system_vgpr_workitem_id 0
		.amdhsa_next_free_vgpr 28
		.amdhsa_next_free_sgpr 24
		.amdhsa_accum_offset 28
		.amdhsa_reserve_vcc 1
		.amdhsa_reserve_flat_scratch 0
		.amdhsa_float_round_mode_32 0
		.amdhsa_float_round_mode_16_64 0
		.amdhsa_float_denorm_mode_32 3
		.amdhsa_float_denorm_mode_16_64 3
		.amdhsa_dx10_clamp 1
		.amdhsa_ieee_mode 1
		.amdhsa_fp16_overflow 0
		.amdhsa_tg_split 0
		.amdhsa_exception_fp_ieee_invalid_op 0
		.amdhsa_exception_fp_denorm_src 0
		.amdhsa_exception_fp_ieee_div_zero 0
		.amdhsa_exception_fp_ieee_overflow 0
		.amdhsa_exception_fp_ieee_underflow 0
		.amdhsa_exception_fp_ieee_inexact 0
		.amdhsa_exception_int_div_zero 0
	.end_amdhsa_kernel
	.section	.text._ZN7rocprim17ROCPRIM_400000_NS6detail17trampoline_kernelINS0_14default_configENS1_20scan_config_selectorIjEEZZNS1_9scan_implILNS1_25lookback_scan_determinismE0ELb0ELb0ES3_N6thrust23THRUST_200600_302600_NS6detail15normal_iteratorINS9_10device_ptrIjEEEESE_j11max_functorIjEjEEDaPvRmT3_T4_T5_mT6_P12ihipStream_tbENKUlT_T0_E_clISt17integral_constantIbLb1EEST_IbLb0EEEEDaSP_SQ_EUlSP_E0_NS1_11comp_targetILNS1_3genE4ELNS1_11target_archE910ELNS1_3gpuE8ELNS1_3repE0EEENS1_30default_config_static_selectorELNS0_4arch9wavefront6targetE1EEEvT1_,"axG",@progbits,_ZN7rocprim17ROCPRIM_400000_NS6detail17trampoline_kernelINS0_14default_configENS1_20scan_config_selectorIjEEZZNS1_9scan_implILNS1_25lookback_scan_determinismE0ELb0ELb0ES3_N6thrust23THRUST_200600_302600_NS6detail15normal_iteratorINS9_10device_ptrIjEEEESE_j11max_functorIjEjEEDaPvRmT3_T4_T5_mT6_P12ihipStream_tbENKUlT_T0_E_clISt17integral_constantIbLb1EEST_IbLb0EEEEDaSP_SQ_EUlSP_E0_NS1_11comp_targetILNS1_3genE4ELNS1_11target_archE910ELNS1_3gpuE8ELNS1_3repE0EEENS1_30default_config_static_selectorELNS0_4arch9wavefront6targetE1EEEvT1_,comdat
.Lfunc_end2303:
	.size	_ZN7rocprim17ROCPRIM_400000_NS6detail17trampoline_kernelINS0_14default_configENS1_20scan_config_selectorIjEEZZNS1_9scan_implILNS1_25lookback_scan_determinismE0ELb0ELb0ES3_N6thrust23THRUST_200600_302600_NS6detail15normal_iteratorINS9_10device_ptrIjEEEESE_j11max_functorIjEjEEDaPvRmT3_T4_T5_mT6_P12ihipStream_tbENKUlT_T0_E_clISt17integral_constantIbLb1EEST_IbLb0EEEEDaSP_SQ_EUlSP_E0_NS1_11comp_targetILNS1_3genE4ELNS1_11target_archE910ELNS1_3gpuE8ELNS1_3repE0EEENS1_30default_config_static_selectorELNS0_4arch9wavefront6targetE1EEEvT1_, .Lfunc_end2303-_ZN7rocprim17ROCPRIM_400000_NS6detail17trampoline_kernelINS0_14default_configENS1_20scan_config_selectorIjEEZZNS1_9scan_implILNS1_25lookback_scan_determinismE0ELb0ELb0ES3_N6thrust23THRUST_200600_302600_NS6detail15normal_iteratorINS9_10device_ptrIjEEEESE_j11max_functorIjEjEEDaPvRmT3_T4_T5_mT6_P12ihipStream_tbENKUlT_T0_E_clISt17integral_constantIbLb1EEST_IbLb0EEEEDaSP_SQ_EUlSP_E0_NS1_11comp_targetILNS1_3genE4ELNS1_11target_archE910ELNS1_3gpuE8ELNS1_3repE0EEENS1_30default_config_static_selectorELNS0_4arch9wavefront6targetE1EEEvT1_
                                        ; -- End function
	.section	.AMDGPU.csdata,"",@progbits
; Kernel info:
; codeLenInByte = 1564
; NumSgprs: 28
; NumVgprs: 28
; NumAgprs: 0
; TotalNumVgprs: 28
; ScratchSize: 0
; MemoryBound: 0
; FloatMode: 240
; IeeeMode: 1
; LDSByteSize: 5120 bytes/workgroup (compile time only)
; SGPRBlocks: 3
; VGPRBlocks: 3
; NumSGPRsForWavesPerEU: 28
; NumVGPRsForWavesPerEU: 28
; AccumOffset: 28
; Occupancy: 6
; WaveLimiterHint : 0
; COMPUTE_PGM_RSRC2:SCRATCH_EN: 0
; COMPUTE_PGM_RSRC2:USER_SGPR: 6
; COMPUTE_PGM_RSRC2:TRAP_HANDLER: 0
; COMPUTE_PGM_RSRC2:TGID_X_EN: 1
; COMPUTE_PGM_RSRC2:TGID_Y_EN: 0
; COMPUTE_PGM_RSRC2:TGID_Z_EN: 0
; COMPUTE_PGM_RSRC2:TIDIG_COMP_CNT: 0
; COMPUTE_PGM_RSRC3_GFX90A:ACCUM_OFFSET: 6
; COMPUTE_PGM_RSRC3_GFX90A:TG_SPLIT: 0
	.section	.text._ZN7rocprim17ROCPRIM_400000_NS6detail17trampoline_kernelINS0_14default_configENS1_20scan_config_selectorIjEEZZNS1_9scan_implILNS1_25lookback_scan_determinismE0ELb0ELb0ES3_N6thrust23THRUST_200600_302600_NS6detail15normal_iteratorINS9_10device_ptrIjEEEESE_j11max_functorIjEjEEDaPvRmT3_T4_T5_mT6_P12ihipStream_tbENKUlT_T0_E_clISt17integral_constantIbLb1EEST_IbLb0EEEEDaSP_SQ_EUlSP_E0_NS1_11comp_targetILNS1_3genE3ELNS1_11target_archE908ELNS1_3gpuE7ELNS1_3repE0EEENS1_30default_config_static_selectorELNS0_4arch9wavefront6targetE1EEEvT1_,"axG",@progbits,_ZN7rocprim17ROCPRIM_400000_NS6detail17trampoline_kernelINS0_14default_configENS1_20scan_config_selectorIjEEZZNS1_9scan_implILNS1_25lookback_scan_determinismE0ELb0ELb0ES3_N6thrust23THRUST_200600_302600_NS6detail15normal_iteratorINS9_10device_ptrIjEEEESE_j11max_functorIjEjEEDaPvRmT3_T4_T5_mT6_P12ihipStream_tbENKUlT_T0_E_clISt17integral_constantIbLb1EEST_IbLb0EEEEDaSP_SQ_EUlSP_E0_NS1_11comp_targetILNS1_3genE3ELNS1_11target_archE908ELNS1_3gpuE7ELNS1_3repE0EEENS1_30default_config_static_selectorELNS0_4arch9wavefront6targetE1EEEvT1_,comdat
	.protected	_ZN7rocprim17ROCPRIM_400000_NS6detail17trampoline_kernelINS0_14default_configENS1_20scan_config_selectorIjEEZZNS1_9scan_implILNS1_25lookback_scan_determinismE0ELb0ELb0ES3_N6thrust23THRUST_200600_302600_NS6detail15normal_iteratorINS9_10device_ptrIjEEEESE_j11max_functorIjEjEEDaPvRmT3_T4_T5_mT6_P12ihipStream_tbENKUlT_T0_E_clISt17integral_constantIbLb1EEST_IbLb0EEEEDaSP_SQ_EUlSP_E0_NS1_11comp_targetILNS1_3genE3ELNS1_11target_archE908ELNS1_3gpuE7ELNS1_3repE0EEENS1_30default_config_static_selectorELNS0_4arch9wavefront6targetE1EEEvT1_ ; -- Begin function _ZN7rocprim17ROCPRIM_400000_NS6detail17trampoline_kernelINS0_14default_configENS1_20scan_config_selectorIjEEZZNS1_9scan_implILNS1_25lookback_scan_determinismE0ELb0ELb0ES3_N6thrust23THRUST_200600_302600_NS6detail15normal_iteratorINS9_10device_ptrIjEEEESE_j11max_functorIjEjEEDaPvRmT3_T4_T5_mT6_P12ihipStream_tbENKUlT_T0_E_clISt17integral_constantIbLb1EEST_IbLb0EEEEDaSP_SQ_EUlSP_E0_NS1_11comp_targetILNS1_3genE3ELNS1_11target_archE908ELNS1_3gpuE7ELNS1_3repE0EEENS1_30default_config_static_selectorELNS0_4arch9wavefront6targetE1EEEvT1_
	.globl	_ZN7rocprim17ROCPRIM_400000_NS6detail17trampoline_kernelINS0_14default_configENS1_20scan_config_selectorIjEEZZNS1_9scan_implILNS1_25lookback_scan_determinismE0ELb0ELb0ES3_N6thrust23THRUST_200600_302600_NS6detail15normal_iteratorINS9_10device_ptrIjEEEESE_j11max_functorIjEjEEDaPvRmT3_T4_T5_mT6_P12ihipStream_tbENKUlT_T0_E_clISt17integral_constantIbLb1EEST_IbLb0EEEEDaSP_SQ_EUlSP_E0_NS1_11comp_targetILNS1_3genE3ELNS1_11target_archE908ELNS1_3gpuE7ELNS1_3repE0EEENS1_30default_config_static_selectorELNS0_4arch9wavefront6targetE1EEEvT1_
	.p2align	8
	.type	_ZN7rocprim17ROCPRIM_400000_NS6detail17trampoline_kernelINS0_14default_configENS1_20scan_config_selectorIjEEZZNS1_9scan_implILNS1_25lookback_scan_determinismE0ELb0ELb0ES3_N6thrust23THRUST_200600_302600_NS6detail15normal_iteratorINS9_10device_ptrIjEEEESE_j11max_functorIjEjEEDaPvRmT3_T4_T5_mT6_P12ihipStream_tbENKUlT_T0_E_clISt17integral_constantIbLb1EEST_IbLb0EEEEDaSP_SQ_EUlSP_E0_NS1_11comp_targetILNS1_3genE3ELNS1_11target_archE908ELNS1_3gpuE7ELNS1_3repE0EEENS1_30default_config_static_selectorELNS0_4arch9wavefront6targetE1EEEvT1_,@function
_ZN7rocprim17ROCPRIM_400000_NS6detail17trampoline_kernelINS0_14default_configENS1_20scan_config_selectorIjEEZZNS1_9scan_implILNS1_25lookback_scan_determinismE0ELb0ELb0ES3_N6thrust23THRUST_200600_302600_NS6detail15normal_iteratorINS9_10device_ptrIjEEEESE_j11max_functorIjEjEEDaPvRmT3_T4_T5_mT6_P12ihipStream_tbENKUlT_T0_E_clISt17integral_constantIbLb1EEST_IbLb0EEEEDaSP_SQ_EUlSP_E0_NS1_11comp_targetILNS1_3genE3ELNS1_11target_archE908ELNS1_3gpuE7ELNS1_3repE0EEENS1_30default_config_static_selectorELNS0_4arch9wavefront6targetE1EEEvT1_: ; @_ZN7rocprim17ROCPRIM_400000_NS6detail17trampoline_kernelINS0_14default_configENS1_20scan_config_selectorIjEEZZNS1_9scan_implILNS1_25lookback_scan_determinismE0ELb0ELb0ES3_N6thrust23THRUST_200600_302600_NS6detail15normal_iteratorINS9_10device_ptrIjEEEESE_j11max_functorIjEjEEDaPvRmT3_T4_T5_mT6_P12ihipStream_tbENKUlT_T0_E_clISt17integral_constantIbLb1EEST_IbLb0EEEEDaSP_SQ_EUlSP_E0_NS1_11comp_targetILNS1_3genE3ELNS1_11target_archE908ELNS1_3gpuE7ELNS1_3repE0EEENS1_30default_config_static_selectorELNS0_4arch9wavefront6targetE1EEEvT1_
; %bb.0:
	.section	.rodata,"a",@progbits
	.p2align	6, 0x0
	.amdhsa_kernel _ZN7rocprim17ROCPRIM_400000_NS6detail17trampoline_kernelINS0_14default_configENS1_20scan_config_selectorIjEEZZNS1_9scan_implILNS1_25lookback_scan_determinismE0ELb0ELb0ES3_N6thrust23THRUST_200600_302600_NS6detail15normal_iteratorINS9_10device_ptrIjEEEESE_j11max_functorIjEjEEDaPvRmT3_T4_T5_mT6_P12ihipStream_tbENKUlT_T0_E_clISt17integral_constantIbLb1EEST_IbLb0EEEEDaSP_SQ_EUlSP_E0_NS1_11comp_targetILNS1_3genE3ELNS1_11target_archE908ELNS1_3gpuE7ELNS1_3repE0EEENS1_30default_config_static_selectorELNS0_4arch9wavefront6targetE1EEEvT1_
		.amdhsa_group_segment_fixed_size 0
		.amdhsa_private_segment_fixed_size 0
		.amdhsa_kernarg_size 32
		.amdhsa_user_sgpr_count 6
		.amdhsa_user_sgpr_private_segment_buffer 1
		.amdhsa_user_sgpr_dispatch_ptr 0
		.amdhsa_user_sgpr_queue_ptr 0
		.amdhsa_user_sgpr_kernarg_segment_ptr 1
		.amdhsa_user_sgpr_dispatch_id 0
		.amdhsa_user_sgpr_flat_scratch_init 0
		.amdhsa_user_sgpr_kernarg_preload_length 0
		.amdhsa_user_sgpr_kernarg_preload_offset 0
		.amdhsa_user_sgpr_private_segment_size 0
		.amdhsa_uses_dynamic_stack 0
		.amdhsa_system_sgpr_private_segment_wavefront_offset 0
		.amdhsa_system_sgpr_workgroup_id_x 1
		.amdhsa_system_sgpr_workgroup_id_y 0
		.amdhsa_system_sgpr_workgroup_id_z 0
		.amdhsa_system_sgpr_workgroup_info 0
		.amdhsa_system_vgpr_workitem_id 0
		.amdhsa_next_free_vgpr 1
		.amdhsa_next_free_sgpr 0
		.amdhsa_accum_offset 4
		.amdhsa_reserve_vcc 0
		.amdhsa_reserve_flat_scratch 0
		.amdhsa_float_round_mode_32 0
		.amdhsa_float_round_mode_16_64 0
		.amdhsa_float_denorm_mode_32 3
		.amdhsa_float_denorm_mode_16_64 3
		.amdhsa_dx10_clamp 1
		.amdhsa_ieee_mode 1
		.amdhsa_fp16_overflow 0
		.amdhsa_tg_split 0
		.amdhsa_exception_fp_ieee_invalid_op 0
		.amdhsa_exception_fp_denorm_src 0
		.amdhsa_exception_fp_ieee_div_zero 0
		.amdhsa_exception_fp_ieee_overflow 0
		.amdhsa_exception_fp_ieee_underflow 0
		.amdhsa_exception_fp_ieee_inexact 0
		.amdhsa_exception_int_div_zero 0
	.end_amdhsa_kernel
	.section	.text._ZN7rocprim17ROCPRIM_400000_NS6detail17trampoline_kernelINS0_14default_configENS1_20scan_config_selectorIjEEZZNS1_9scan_implILNS1_25lookback_scan_determinismE0ELb0ELb0ES3_N6thrust23THRUST_200600_302600_NS6detail15normal_iteratorINS9_10device_ptrIjEEEESE_j11max_functorIjEjEEDaPvRmT3_T4_T5_mT6_P12ihipStream_tbENKUlT_T0_E_clISt17integral_constantIbLb1EEST_IbLb0EEEEDaSP_SQ_EUlSP_E0_NS1_11comp_targetILNS1_3genE3ELNS1_11target_archE908ELNS1_3gpuE7ELNS1_3repE0EEENS1_30default_config_static_selectorELNS0_4arch9wavefront6targetE1EEEvT1_,"axG",@progbits,_ZN7rocprim17ROCPRIM_400000_NS6detail17trampoline_kernelINS0_14default_configENS1_20scan_config_selectorIjEEZZNS1_9scan_implILNS1_25lookback_scan_determinismE0ELb0ELb0ES3_N6thrust23THRUST_200600_302600_NS6detail15normal_iteratorINS9_10device_ptrIjEEEESE_j11max_functorIjEjEEDaPvRmT3_T4_T5_mT6_P12ihipStream_tbENKUlT_T0_E_clISt17integral_constantIbLb1EEST_IbLb0EEEEDaSP_SQ_EUlSP_E0_NS1_11comp_targetILNS1_3genE3ELNS1_11target_archE908ELNS1_3gpuE7ELNS1_3repE0EEENS1_30default_config_static_selectorELNS0_4arch9wavefront6targetE1EEEvT1_,comdat
.Lfunc_end2304:
	.size	_ZN7rocprim17ROCPRIM_400000_NS6detail17trampoline_kernelINS0_14default_configENS1_20scan_config_selectorIjEEZZNS1_9scan_implILNS1_25lookback_scan_determinismE0ELb0ELb0ES3_N6thrust23THRUST_200600_302600_NS6detail15normal_iteratorINS9_10device_ptrIjEEEESE_j11max_functorIjEjEEDaPvRmT3_T4_T5_mT6_P12ihipStream_tbENKUlT_T0_E_clISt17integral_constantIbLb1EEST_IbLb0EEEEDaSP_SQ_EUlSP_E0_NS1_11comp_targetILNS1_3genE3ELNS1_11target_archE908ELNS1_3gpuE7ELNS1_3repE0EEENS1_30default_config_static_selectorELNS0_4arch9wavefront6targetE1EEEvT1_, .Lfunc_end2304-_ZN7rocprim17ROCPRIM_400000_NS6detail17trampoline_kernelINS0_14default_configENS1_20scan_config_selectorIjEEZZNS1_9scan_implILNS1_25lookback_scan_determinismE0ELb0ELb0ES3_N6thrust23THRUST_200600_302600_NS6detail15normal_iteratorINS9_10device_ptrIjEEEESE_j11max_functorIjEjEEDaPvRmT3_T4_T5_mT6_P12ihipStream_tbENKUlT_T0_E_clISt17integral_constantIbLb1EEST_IbLb0EEEEDaSP_SQ_EUlSP_E0_NS1_11comp_targetILNS1_3genE3ELNS1_11target_archE908ELNS1_3gpuE7ELNS1_3repE0EEENS1_30default_config_static_selectorELNS0_4arch9wavefront6targetE1EEEvT1_
                                        ; -- End function
	.section	.AMDGPU.csdata,"",@progbits
; Kernel info:
; codeLenInByte = 0
; NumSgprs: 4
; NumVgprs: 0
; NumAgprs: 0
; TotalNumVgprs: 0
; ScratchSize: 0
; MemoryBound: 0
; FloatMode: 240
; IeeeMode: 1
; LDSByteSize: 0 bytes/workgroup (compile time only)
; SGPRBlocks: 0
; VGPRBlocks: 0
; NumSGPRsForWavesPerEU: 4
; NumVGPRsForWavesPerEU: 1
; AccumOffset: 4
; Occupancy: 8
; WaveLimiterHint : 0
; COMPUTE_PGM_RSRC2:SCRATCH_EN: 0
; COMPUTE_PGM_RSRC2:USER_SGPR: 6
; COMPUTE_PGM_RSRC2:TRAP_HANDLER: 0
; COMPUTE_PGM_RSRC2:TGID_X_EN: 1
; COMPUTE_PGM_RSRC2:TGID_Y_EN: 0
; COMPUTE_PGM_RSRC2:TGID_Z_EN: 0
; COMPUTE_PGM_RSRC2:TIDIG_COMP_CNT: 0
; COMPUTE_PGM_RSRC3_GFX90A:ACCUM_OFFSET: 0
; COMPUTE_PGM_RSRC3_GFX90A:TG_SPLIT: 0
	.section	.text._ZN7rocprim17ROCPRIM_400000_NS6detail17trampoline_kernelINS0_14default_configENS1_20scan_config_selectorIjEEZZNS1_9scan_implILNS1_25lookback_scan_determinismE0ELb0ELb0ES3_N6thrust23THRUST_200600_302600_NS6detail15normal_iteratorINS9_10device_ptrIjEEEESE_j11max_functorIjEjEEDaPvRmT3_T4_T5_mT6_P12ihipStream_tbENKUlT_T0_E_clISt17integral_constantIbLb1EEST_IbLb0EEEEDaSP_SQ_EUlSP_E0_NS1_11comp_targetILNS1_3genE2ELNS1_11target_archE906ELNS1_3gpuE6ELNS1_3repE0EEENS1_30default_config_static_selectorELNS0_4arch9wavefront6targetE1EEEvT1_,"axG",@progbits,_ZN7rocprim17ROCPRIM_400000_NS6detail17trampoline_kernelINS0_14default_configENS1_20scan_config_selectorIjEEZZNS1_9scan_implILNS1_25lookback_scan_determinismE0ELb0ELb0ES3_N6thrust23THRUST_200600_302600_NS6detail15normal_iteratorINS9_10device_ptrIjEEEESE_j11max_functorIjEjEEDaPvRmT3_T4_T5_mT6_P12ihipStream_tbENKUlT_T0_E_clISt17integral_constantIbLb1EEST_IbLb0EEEEDaSP_SQ_EUlSP_E0_NS1_11comp_targetILNS1_3genE2ELNS1_11target_archE906ELNS1_3gpuE6ELNS1_3repE0EEENS1_30default_config_static_selectorELNS0_4arch9wavefront6targetE1EEEvT1_,comdat
	.protected	_ZN7rocprim17ROCPRIM_400000_NS6detail17trampoline_kernelINS0_14default_configENS1_20scan_config_selectorIjEEZZNS1_9scan_implILNS1_25lookback_scan_determinismE0ELb0ELb0ES3_N6thrust23THRUST_200600_302600_NS6detail15normal_iteratorINS9_10device_ptrIjEEEESE_j11max_functorIjEjEEDaPvRmT3_T4_T5_mT6_P12ihipStream_tbENKUlT_T0_E_clISt17integral_constantIbLb1EEST_IbLb0EEEEDaSP_SQ_EUlSP_E0_NS1_11comp_targetILNS1_3genE2ELNS1_11target_archE906ELNS1_3gpuE6ELNS1_3repE0EEENS1_30default_config_static_selectorELNS0_4arch9wavefront6targetE1EEEvT1_ ; -- Begin function _ZN7rocprim17ROCPRIM_400000_NS6detail17trampoline_kernelINS0_14default_configENS1_20scan_config_selectorIjEEZZNS1_9scan_implILNS1_25lookback_scan_determinismE0ELb0ELb0ES3_N6thrust23THRUST_200600_302600_NS6detail15normal_iteratorINS9_10device_ptrIjEEEESE_j11max_functorIjEjEEDaPvRmT3_T4_T5_mT6_P12ihipStream_tbENKUlT_T0_E_clISt17integral_constantIbLb1EEST_IbLb0EEEEDaSP_SQ_EUlSP_E0_NS1_11comp_targetILNS1_3genE2ELNS1_11target_archE906ELNS1_3gpuE6ELNS1_3repE0EEENS1_30default_config_static_selectorELNS0_4arch9wavefront6targetE1EEEvT1_
	.globl	_ZN7rocprim17ROCPRIM_400000_NS6detail17trampoline_kernelINS0_14default_configENS1_20scan_config_selectorIjEEZZNS1_9scan_implILNS1_25lookback_scan_determinismE0ELb0ELb0ES3_N6thrust23THRUST_200600_302600_NS6detail15normal_iteratorINS9_10device_ptrIjEEEESE_j11max_functorIjEjEEDaPvRmT3_T4_T5_mT6_P12ihipStream_tbENKUlT_T0_E_clISt17integral_constantIbLb1EEST_IbLb0EEEEDaSP_SQ_EUlSP_E0_NS1_11comp_targetILNS1_3genE2ELNS1_11target_archE906ELNS1_3gpuE6ELNS1_3repE0EEENS1_30default_config_static_selectorELNS0_4arch9wavefront6targetE1EEEvT1_
	.p2align	8
	.type	_ZN7rocprim17ROCPRIM_400000_NS6detail17trampoline_kernelINS0_14default_configENS1_20scan_config_selectorIjEEZZNS1_9scan_implILNS1_25lookback_scan_determinismE0ELb0ELb0ES3_N6thrust23THRUST_200600_302600_NS6detail15normal_iteratorINS9_10device_ptrIjEEEESE_j11max_functorIjEjEEDaPvRmT3_T4_T5_mT6_P12ihipStream_tbENKUlT_T0_E_clISt17integral_constantIbLb1EEST_IbLb0EEEEDaSP_SQ_EUlSP_E0_NS1_11comp_targetILNS1_3genE2ELNS1_11target_archE906ELNS1_3gpuE6ELNS1_3repE0EEENS1_30default_config_static_selectorELNS0_4arch9wavefront6targetE1EEEvT1_,@function
_ZN7rocprim17ROCPRIM_400000_NS6detail17trampoline_kernelINS0_14default_configENS1_20scan_config_selectorIjEEZZNS1_9scan_implILNS1_25lookback_scan_determinismE0ELb0ELb0ES3_N6thrust23THRUST_200600_302600_NS6detail15normal_iteratorINS9_10device_ptrIjEEEESE_j11max_functorIjEjEEDaPvRmT3_T4_T5_mT6_P12ihipStream_tbENKUlT_T0_E_clISt17integral_constantIbLb1EEST_IbLb0EEEEDaSP_SQ_EUlSP_E0_NS1_11comp_targetILNS1_3genE2ELNS1_11target_archE906ELNS1_3gpuE6ELNS1_3repE0EEENS1_30default_config_static_selectorELNS0_4arch9wavefront6targetE1EEEvT1_: ; @_ZN7rocprim17ROCPRIM_400000_NS6detail17trampoline_kernelINS0_14default_configENS1_20scan_config_selectorIjEEZZNS1_9scan_implILNS1_25lookback_scan_determinismE0ELb0ELb0ES3_N6thrust23THRUST_200600_302600_NS6detail15normal_iteratorINS9_10device_ptrIjEEEESE_j11max_functorIjEjEEDaPvRmT3_T4_T5_mT6_P12ihipStream_tbENKUlT_T0_E_clISt17integral_constantIbLb1EEST_IbLb0EEEEDaSP_SQ_EUlSP_E0_NS1_11comp_targetILNS1_3genE2ELNS1_11target_archE906ELNS1_3gpuE6ELNS1_3repE0EEENS1_30default_config_static_selectorELNS0_4arch9wavefront6targetE1EEEvT1_
; %bb.0:
	.section	.rodata,"a",@progbits
	.p2align	6, 0x0
	.amdhsa_kernel _ZN7rocprim17ROCPRIM_400000_NS6detail17trampoline_kernelINS0_14default_configENS1_20scan_config_selectorIjEEZZNS1_9scan_implILNS1_25lookback_scan_determinismE0ELb0ELb0ES3_N6thrust23THRUST_200600_302600_NS6detail15normal_iteratorINS9_10device_ptrIjEEEESE_j11max_functorIjEjEEDaPvRmT3_T4_T5_mT6_P12ihipStream_tbENKUlT_T0_E_clISt17integral_constantIbLb1EEST_IbLb0EEEEDaSP_SQ_EUlSP_E0_NS1_11comp_targetILNS1_3genE2ELNS1_11target_archE906ELNS1_3gpuE6ELNS1_3repE0EEENS1_30default_config_static_selectorELNS0_4arch9wavefront6targetE1EEEvT1_
		.amdhsa_group_segment_fixed_size 0
		.amdhsa_private_segment_fixed_size 0
		.amdhsa_kernarg_size 32
		.amdhsa_user_sgpr_count 6
		.amdhsa_user_sgpr_private_segment_buffer 1
		.amdhsa_user_sgpr_dispatch_ptr 0
		.amdhsa_user_sgpr_queue_ptr 0
		.amdhsa_user_sgpr_kernarg_segment_ptr 1
		.amdhsa_user_sgpr_dispatch_id 0
		.amdhsa_user_sgpr_flat_scratch_init 0
		.amdhsa_user_sgpr_kernarg_preload_length 0
		.amdhsa_user_sgpr_kernarg_preload_offset 0
		.amdhsa_user_sgpr_private_segment_size 0
		.amdhsa_uses_dynamic_stack 0
		.amdhsa_system_sgpr_private_segment_wavefront_offset 0
		.amdhsa_system_sgpr_workgroup_id_x 1
		.amdhsa_system_sgpr_workgroup_id_y 0
		.amdhsa_system_sgpr_workgroup_id_z 0
		.amdhsa_system_sgpr_workgroup_info 0
		.amdhsa_system_vgpr_workitem_id 0
		.amdhsa_next_free_vgpr 1
		.amdhsa_next_free_sgpr 0
		.amdhsa_accum_offset 4
		.amdhsa_reserve_vcc 0
		.amdhsa_reserve_flat_scratch 0
		.amdhsa_float_round_mode_32 0
		.amdhsa_float_round_mode_16_64 0
		.amdhsa_float_denorm_mode_32 3
		.amdhsa_float_denorm_mode_16_64 3
		.amdhsa_dx10_clamp 1
		.amdhsa_ieee_mode 1
		.amdhsa_fp16_overflow 0
		.amdhsa_tg_split 0
		.amdhsa_exception_fp_ieee_invalid_op 0
		.amdhsa_exception_fp_denorm_src 0
		.amdhsa_exception_fp_ieee_div_zero 0
		.amdhsa_exception_fp_ieee_overflow 0
		.amdhsa_exception_fp_ieee_underflow 0
		.amdhsa_exception_fp_ieee_inexact 0
		.amdhsa_exception_int_div_zero 0
	.end_amdhsa_kernel
	.section	.text._ZN7rocprim17ROCPRIM_400000_NS6detail17trampoline_kernelINS0_14default_configENS1_20scan_config_selectorIjEEZZNS1_9scan_implILNS1_25lookback_scan_determinismE0ELb0ELb0ES3_N6thrust23THRUST_200600_302600_NS6detail15normal_iteratorINS9_10device_ptrIjEEEESE_j11max_functorIjEjEEDaPvRmT3_T4_T5_mT6_P12ihipStream_tbENKUlT_T0_E_clISt17integral_constantIbLb1EEST_IbLb0EEEEDaSP_SQ_EUlSP_E0_NS1_11comp_targetILNS1_3genE2ELNS1_11target_archE906ELNS1_3gpuE6ELNS1_3repE0EEENS1_30default_config_static_selectorELNS0_4arch9wavefront6targetE1EEEvT1_,"axG",@progbits,_ZN7rocprim17ROCPRIM_400000_NS6detail17trampoline_kernelINS0_14default_configENS1_20scan_config_selectorIjEEZZNS1_9scan_implILNS1_25lookback_scan_determinismE0ELb0ELb0ES3_N6thrust23THRUST_200600_302600_NS6detail15normal_iteratorINS9_10device_ptrIjEEEESE_j11max_functorIjEjEEDaPvRmT3_T4_T5_mT6_P12ihipStream_tbENKUlT_T0_E_clISt17integral_constantIbLb1EEST_IbLb0EEEEDaSP_SQ_EUlSP_E0_NS1_11comp_targetILNS1_3genE2ELNS1_11target_archE906ELNS1_3gpuE6ELNS1_3repE0EEENS1_30default_config_static_selectorELNS0_4arch9wavefront6targetE1EEEvT1_,comdat
.Lfunc_end2305:
	.size	_ZN7rocprim17ROCPRIM_400000_NS6detail17trampoline_kernelINS0_14default_configENS1_20scan_config_selectorIjEEZZNS1_9scan_implILNS1_25lookback_scan_determinismE0ELb0ELb0ES3_N6thrust23THRUST_200600_302600_NS6detail15normal_iteratorINS9_10device_ptrIjEEEESE_j11max_functorIjEjEEDaPvRmT3_T4_T5_mT6_P12ihipStream_tbENKUlT_T0_E_clISt17integral_constantIbLb1EEST_IbLb0EEEEDaSP_SQ_EUlSP_E0_NS1_11comp_targetILNS1_3genE2ELNS1_11target_archE906ELNS1_3gpuE6ELNS1_3repE0EEENS1_30default_config_static_selectorELNS0_4arch9wavefront6targetE1EEEvT1_, .Lfunc_end2305-_ZN7rocprim17ROCPRIM_400000_NS6detail17trampoline_kernelINS0_14default_configENS1_20scan_config_selectorIjEEZZNS1_9scan_implILNS1_25lookback_scan_determinismE0ELb0ELb0ES3_N6thrust23THRUST_200600_302600_NS6detail15normal_iteratorINS9_10device_ptrIjEEEESE_j11max_functorIjEjEEDaPvRmT3_T4_T5_mT6_P12ihipStream_tbENKUlT_T0_E_clISt17integral_constantIbLb1EEST_IbLb0EEEEDaSP_SQ_EUlSP_E0_NS1_11comp_targetILNS1_3genE2ELNS1_11target_archE906ELNS1_3gpuE6ELNS1_3repE0EEENS1_30default_config_static_selectorELNS0_4arch9wavefront6targetE1EEEvT1_
                                        ; -- End function
	.section	.AMDGPU.csdata,"",@progbits
; Kernel info:
; codeLenInByte = 0
; NumSgprs: 4
; NumVgprs: 0
; NumAgprs: 0
; TotalNumVgprs: 0
; ScratchSize: 0
; MemoryBound: 0
; FloatMode: 240
; IeeeMode: 1
; LDSByteSize: 0 bytes/workgroup (compile time only)
; SGPRBlocks: 0
; VGPRBlocks: 0
; NumSGPRsForWavesPerEU: 4
; NumVGPRsForWavesPerEU: 1
; AccumOffset: 4
; Occupancy: 8
; WaveLimiterHint : 0
; COMPUTE_PGM_RSRC2:SCRATCH_EN: 0
; COMPUTE_PGM_RSRC2:USER_SGPR: 6
; COMPUTE_PGM_RSRC2:TRAP_HANDLER: 0
; COMPUTE_PGM_RSRC2:TGID_X_EN: 1
; COMPUTE_PGM_RSRC2:TGID_Y_EN: 0
; COMPUTE_PGM_RSRC2:TGID_Z_EN: 0
; COMPUTE_PGM_RSRC2:TIDIG_COMP_CNT: 0
; COMPUTE_PGM_RSRC3_GFX90A:ACCUM_OFFSET: 0
; COMPUTE_PGM_RSRC3_GFX90A:TG_SPLIT: 0
	.section	.text._ZN7rocprim17ROCPRIM_400000_NS6detail17trampoline_kernelINS0_14default_configENS1_20scan_config_selectorIjEEZZNS1_9scan_implILNS1_25lookback_scan_determinismE0ELb0ELb0ES3_N6thrust23THRUST_200600_302600_NS6detail15normal_iteratorINS9_10device_ptrIjEEEESE_j11max_functorIjEjEEDaPvRmT3_T4_T5_mT6_P12ihipStream_tbENKUlT_T0_E_clISt17integral_constantIbLb1EEST_IbLb0EEEEDaSP_SQ_EUlSP_E0_NS1_11comp_targetILNS1_3genE10ELNS1_11target_archE1201ELNS1_3gpuE5ELNS1_3repE0EEENS1_30default_config_static_selectorELNS0_4arch9wavefront6targetE1EEEvT1_,"axG",@progbits,_ZN7rocprim17ROCPRIM_400000_NS6detail17trampoline_kernelINS0_14default_configENS1_20scan_config_selectorIjEEZZNS1_9scan_implILNS1_25lookback_scan_determinismE0ELb0ELb0ES3_N6thrust23THRUST_200600_302600_NS6detail15normal_iteratorINS9_10device_ptrIjEEEESE_j11max_functorIjEjEEDaPvRmT3_T4_T5_mT6_P12ihipStream_tbENKUlT_T0_E_clISt17integral_constantIbLb1EEST_IbLb0EEEEDaSP_SQ_EUlSP_E0_NS1_11comp_targetILNS1_3genE10ELNS1_11target_archE1201ELNS1_3gpuE5ELNS1_3repE0EEENS1_30default_config_static_selectorELNS0_4arch9wavefront6targetE1EEEvT1_,comdat
	.protected	_ZN7rocprim17ROCPRIM_400000_NS6detail17trampoline_kernelINS0_14default_configENS1_20scan_config_selectorIjEEZZNS1_9scan_implILNS1_25lookback_scan_determinismE0ELb0ELb0ES3_N6thrust23THRUST_200600_302600_NS6detail15normal_iteratorINS9_10device_ptrIjEEEESE_j11max_functorIjEjEEDaPvRmT3_T4_T5_mT6_P12ihipStream_tbENKUlT_T0_E_clISt17integral_constantIbLb1EEST_IbLb0EEEEDaSP_SQ_EUlSP_E0_NS1_11comp_targetILNS1_3genE10ELNS1_11target_archE1201ELNS1_3gpuE5ELNS1_3repE0EEENS1_30default_config_static_selectorELNS0_4arch9wavefront6targetE1EEEvT1_ ; -- Begin function _ZN7rocprim17ROCPRIM_400000_NS6detail17trampoline_kernelINS0_14default_configENS1_20scan_config_selectorIjEEZZNS1_9scan_implILNS1_25lookback_scan_determinismE0ELb0ELb0ES3_N6thrust23THRUST_200600_302600_NS6detail15normal_iteratorINS9_10device_ptrIjEEEESE_j11max_functorIjEjEEDaPvRmT3_T4_T5_mT6_P12ihipStream_tbENKUlT_T0_E_clISt17integral_constantIbLb1EEST_IbLb0EEEEDaSP_SQ_EUlSP_E0_NS1_11comp_targetILNS1_3genE10ELNS1_11target_archE1201ELNS1_3gpuE5ELNS1_3repE0EEENS1_30default_config_static_selectorELNS0_4arch9wavefront6targetE1EEEvT1_
	.globl	_ZN7rocprim17ROCPRIM_400000_NS6detail17trampoline_kernelINS0_14default_configENS1_20scan_config_selectorIjEEZZNS1_9scan_implILNS1_25lookback_scan_determinismE0ELb0ELb0ES3_N6thrust23THRUST_200600_302600_NS6detail15normal_iteratorINS9_10device_ptrIjEEEESE_j11max_functorIjEjEEDaPvRmT3_T4_T5_mT6_P12ihipStream_tbENKUlT_T0_E_clISt17integral_constantIbLb1EEST_IbLb0EEEEDaSP_SQ_EUlSP_E0_NS1_11comp_targetILNS1_3genE10ELNS1_11target_archE1201ELNS1_3gpuE5ELNS1_3repE0EEENS1_30default_config_static_selectorELNS0_4arch9wavefront6targetE1EEEvT1_
	.p2align	8
	.type	_ZN7rocprim17ROCPRIM_400000_NS6detail17trampoline_kernelINS0_14default_configENS1_20scan_config_selectorIjEEZZNS1_9scan_implILNS1_25lookback_scan_determinismE0ELb0ELb0ES3_N6thrust23THRUST_200600_302600_NS6detail15normal_iteratorINS9_10device_ptrIjEEEESE_j11max_functorIjEjEEDaPvRmT3_T4_T5_mT6_P12ihipStream_tbENKUlT_T0_E_clISt17integral_constantIbLb1EEST_IbLb0EEEEDaSP_SQ_EUlSP_E0_NS1_11comp_targetILNS1_3genE10ELNS1_11target_archE1201ELNS1_3gpuE5ELNS1_3repE0EEENS1_30default_config_static_selectorELNS0_4arch9wavefront6targetE1EEEvT1_,@function
_ZN7rocprim17ROCPRIM_400000_NS6detail17trampoline_kernelINS0_14default_configENS1_20scan_config_selectorIjEEZZNS1_9scan_implILNS1_25lookback_scan_determinismE0ELb0ELb0ES3_N6thrust23THRUST_200600_302600_NS6detail15normal_iteratorINS9_10device_ptrIjEEEESE_j11max_functorIjEjEEDaPvRmT3_T4_T5_mT6_P12ihipStream_tbENKUlT_T0_E_clISt17integral_constantIbLb1EEST_IbLb0EEEEDaSP_SQ_EUlSP_E0_NS1_11comp_targetILNS1_3genE10ELNS1_11target_archE1201ELNS1_3gpuE5ELNS1_3repE0EEENS1_30default_config_static_selectorELNS0_4arch9wavefront6targetE1EEEvT1_: ; @_ZN7rocprim17ROCPRIM_400000_NS6detail17trampoline_kernelINS0_14default_configENS1_20scan_config_selectorIjEEZZNS1_9scan_implILNS1_25lookback_scan_determinismE0ELb0ELb0ES3_N6thrust23THRUST_200600_302600_NS6detail15normal_iteratorINS9_10device_ptrIjEEEESE_j11max_functorIjEjEEDaPvRmT3_T4_T5_mT6_P12ihipStream_tbENKUlT_T0_E_clISt17integral_constantIbLb1EEST_IbLb0EEEEDaSP_SQ_EUlSP_E0_NS1_11comp_targetILNS1_3genE10ELNS1_11target_archE1201ELNS1_3gpuE5ELNS1_3repE0EEENS1_30default_config_static_selectorELNS0_4arch9wavefront6targetE1EEEvT1_
; %bb.0:
	.section	.rodata,"a",@progbits
	.p2align	6, 0x0
	.amdhsa_kernel _ZN7rocprim17ROCPRIM_400000_NS6detail17trampoline_kernelINS0_14default_configENS1_20scan_config_selectorIjEEZZNS1_9scan_implILNS1_25lookback_scan_determinismE0ELb0ELb0ES3_N6thrust23THRUST_200600_302600_NS6detail15normal_iteratorINS9_10device_ptrIjEEEESE_j11max_functorIjEjEEDaPvRmT3_T4_T5_mT6_P12ihipStream_tbENKUlT_T0_E_clISt17integral_constantIbLb1EEST_IbLb0EEEEDaSP_SQ_EUlSP_E0_NS1_11comp_targetILNS1_3genE10ELNS1_11target_archE1201ELNS1_3gpuE5ELNS1_3repE0EEENS1_30default_config_static_selectorELNS0_4arch9wavefront6targetE1EEEvT1_
		.amdhsa_group_segment_fixed_size 0
		.amdhsa_private_segment_fixed_size 0
		.amdhsa_kernarg_size 32
		.amdhsa_user_sgpr_count 6
		.amdhsa_user_sgpr_private_segment_buffer 1
		.amdhsa_user_sgpr_dispatch_ptr 0
		.amdhsa_user_sgpr_queue_ptr 0
		.amdhsa_user_sgpr_kernarg_segment_ptr 1
		.amdhsa_user_sgpr_dispatch_id 0
		.amdhsa_user_sgpr_flat_scratch_init 0
		.amdhsa_user_sgpr_kernarg_preload_length 0
		.amdhsa_user_sgpr_kernarg_preload_offset 0
		.amdhsa_user_sgpr_private_segment_size 0
		.amdhsa_uses_dynamic_stack 0
		.amdhsa_system_sgpr_private_segment_wavefront_offset 0
		.amdhsa_system_sgpr_workgroup_id_x 1
		.amdhsa_system_sgpr_workgroup_id_y 0
		.amdhsa_system_sgpr_workgroup_id_z 0
		.amdhsa_system_sgpr_workgroup_info 0
		.amdhsa_system_vgpr_workitem_id 0
		.amdhsa_next_free_vgpr 1
		.amdhsa_next_free_sgpr 0
		.amdhsa_accum_offset 4
		.amdhsa_reserve_vcc 0
		.amdhsa_reserve_flat_scratch 0
		.amdhsa_float_round_mode_32 0
		.amdhsa_float_round_mode_16_64 0
		.amdhsa_float_denorm_mode_32 3
		.amdhsa_float_denorm_mode_16_64 3
		.amdhsa_dx10_clamp 1
		.amdhsa_ieee_mode 1
		.amdhsa_fp16_overflow 0
		.amdhsa_tg_split 0
		.amdhsa_exception_fp_ieee_invalid_op 0
		.amdhsa_exception_fp_denorm_src 0
		.amdhsa_exception_fp_ieee_div_zero 0
		.amdhsa_exception_fp_ieee_overflow 0
		.amdhsa_exception_fp_ieee_underflow 0
		.amdhsa_exception_fp_ieee_inexact 0
		.amdhsa_exception_int_div_zero 0
	.end_amdhsa_kernel
	.section	.text._ZN7rocprim17ROCPRIM_400000_NS6detail17trampoline_kernelINS0_14default_configENS1_20scan_config_selectorIjEEZZNS1_9scan_implILNS1_25lookback_scan_determinismE0ELb0ELb0ES3_N6thrust23THRUST_200600_302600_NS6detail15normal_iteratorINS9_10device_ptrIjEEEESE_j11max_functorIjEjEEDaPvRmT3_T4_T5_mT6_P12ihipStream_tbENKUlT_T0_E_clISt17integral_constantIbLb1EEST_IbLb0EEEEDaSP_SQ_EUlSP_E0_NS1_11comp_targetILNS1_3genE10ELNS1_11target_archE1201ELNS1_3gpuE5ELNS1_3repE0EEENS1_30default_config_static_selectorELNS0_4arch9wavefront6targetE1EEEvT1_,"axG",@progbits,_ZN7rocprim17ROCPRIM_400000_NS6detail17trampoline_kernelINS0_14default_configENS1_20scan_config_selectorIjEEZZNS1_9scan_implILNS1_25lookback_scan_determinismE0ELb0ELb0ES3_N6thrust23THRUST_200600_302600_NS6detail15normal_iteratorINS9_10device_ptrIjEEEESE_j11max_functorIjEjEEDaPvRmT3_T4_T5_mT6_P12ihipStream_tbENKUlT_T0_E_clISt17integral_constantIbLb1EEST_IbLb0EEEEDaSP_SQ_EUlSP_E0_NS1_11comp_targetILNS1_3genE10ELNS1_11target_archE1201ELNS1_3gpuE5ELNS1_3repE0EEENS1_30default_config_static_selectorELNS0_4arch9wavefront6targetE1EEEvT1_,comdat
.Lfunc_end2306:
	.size	_ZN7rocprim17ROCPRIM_400000_NS6detail17trampoline_kernelINS0_14default_configENS1_20scan_config_selectorIjEEZZNS1_9scan_implILNS1_25lookback_scan_determinismE0ELb0ELb0ES3_N6thrust23THRUST_200600_302600_NS6detail15normal_iteratorINS9_10device_ptrIjEEEESE_j11max_functorIjEjEEDaPvRmT3_T4_T5_mT6_P12ihipStream_tbENKUlT_T0_E_clISt17integral_constantIbLb1EEST_IbLb0EEEEDaSP_SQ_EUlSP_E0_NS1_11comp_targetILNS1_3genE10ELNS1_11target_archE1201ELNS1_3gpuE5ELNS1_3repE0EEENS1_30default_config_static_selectorELNS0_4arch9wavefront6targetE1EEEvT1_, .Lfunc_end2306-_ZN7rocprim17ROCPRIM_400000_NS6detail17trampoline_kernelINS0_14default_configENS1_20scan_config_selectorIjEEZZNS1_9scan_implILNS1_25lookback_scan_determinismE0ELb0ELb0ES3_N6thrust23THRUST_200600_302600_NS6detail15normal_iteratorINS9_10device_ptrIjEEEESE_j11max_functorIjEjEEDaPvRmT3_T4_T5_mT6_P12ihipStream_tbENKUlT_T0_E_clISt17integral_constantIbLb1EEST_IbLb0EEEEDaSP_SQ_EUlSP_E0_NS1_11comp_targetILNS1_3genE10ELNS1_11target_archE1201ELNS1_3gpuE5ELNS1_3repE0EEENS1_30default_config_static_selectorELNS0_4arch9wavefront6targetE1EEEvT1_
                                        ; -- End function
	.section	.AMDGPU.csdata,"",@progbits
; Kernel info:
; codeLenInByte = 0
; NumSgprs: 4
; NumVgprs: 0
; NumAgprs: 0
; TotalNumVgprs: 0
; ScratchSize: 0
; MemoryBound: 0
; FloatMode: 240
; IeeeMode: 1
; LDSByteSize: 0 bytes/workgroup (compile time only)
; SGPRBlocks: 0
; VGPRBlocks: 0
; NumSGPRsForWavesPerEU: 4
; NumVGPRsForWavesPerEU: 1
; AccumOffset: 4
; Occupancy: 8
; WaveLimiterHint : 0
; COMPUTE_PGM_RSRC2:SCRATCH_EN: 0
; COMPUTE_PGM_RSRC2:USER_SGPR: 6
; COMPUTE_PGM_RSRC2:TRAP_HANDLER: 0
; COMPUTE_PGM_RSRC2:TGID_X_EN: 1
; COMPUTE_PGM_RSRC2:TGID_Y_EN: 0
; COMPUTE_PGM_RSRC2:TGID_Z_EN: 0
; COMPUTE_PGM_RSRC2:TIDIG_COMP_CNT: 0
; COMPUTE_PGM_RSRC3_GFX90A:ACCUM_OFFSET: 0
; COMPUTE_PGM_RSRC3_GFX90A:TG_SPLIT: 0
	.section	.text._ZN7rocprim17ROCPRIM_400000_NS6detail17trampoline_kernelINS0_14default_configENS1_20scan_config_selectorIjEEZZNS1_9scan_implILNS1_25lookback_scan_determinismE0ELb0ELb0ES3_N6thrust23THRUST_200600_302600_NS6detail15normal_iteratorINS9_10device_ptrIjEEEESE_j11max_functorIjEjEEDaPvRmT3_T4_T5_mT6_P12ihipStream_tbENKUlT_T0_E_clISt17integral_constantIbLb1EEST_IbLb0EEEEDaSP_SQ_EUlSP_E0_NS1_11comp_targetILNS1_3genE10ELNS1_11target_archE1200ELNS1_3gpuE4ELNS1_3repE0EEENS1_30default_config_static_selectorELNS0_4arch9wavefront6targetE1EEEvT1_,"axG",@progbits,_ZN7rocprim17ROCPRIM_400000_NS6detail17trampoline_kernelINS0_14default_configENS1_20scan_config_selectorIjEEZZNS1_9scan_implILNS1_25lookback_scan_determinismE0ELb0ELb0ES3_N6thrust23THRUST_200600_302600_NS6detail15normal_iteratorINS9_10device_ptrIjEEEESE_j11max_functorIjEjEEDaPvRmT3_T4_T5_mT6_P12ihipStream_tbENKUlT_T0_E_clISt17integral_constantIbLb1EEST_IbLb0EEEEDaSP_SQ_EUlSP_E0_NS1_11comp_targetILNS1_3genE10ELNS1_11target_archE1200ELNS1_3gpuE4ELNS1_3repE0EEENS1_30default_config_static_selectorELNS0_4arch9wavefront6targetE1EEEvT1_,comdat
	.protected	_ZN7rocprim17ROCPRIM_400000_NS6detail17trampoline_kernelINS0_14default_configENS1_20scan_config_selectorIjEEZZNS1_9scan_implILNS1_25lookback_scan_determinismE0ELb0ELb0ES3_N6thrust23THRUST_200600_302600_NS6detail15normal_iteratorINS9_10device_ptrIjEEEESE_j11max_functorIjEjEEDaPvRmT3_T4_T5_mT6_P12ihipStream_tbENKUlT_T0_E_clISt17integral_constantIbLb1EEST_IbLb0EEEEDaSP_SQ_EUlSP_E0_NS1_11comp_targetILNS1_3genE10ELNS1_11target_archE1200ELNS1_3gpuE4ELNS1_3repE0EEENS1_30default_config_static_selectorELNS0_4arch9wavefront6targetE1EEEvT1_ ; -- Begin function _ZN7rocprim17ROCPRIM_400000_NS6detail17trampoline_kernelINS0_14default_configENS1_20scan_config_selectorIjEEZZNS1_9scan_implILNS1_25lookback_scan_determinismE0ELb0ELb0ES3_N6thrust23THRUST_200600_302600_NS6detail15normal_iteratorINS9_10device_ptrIjEEEESE_j11max_functorIjEjEEDaPvRmT3_T4_T5_mT6_P12ihipStream_tbENKUlT_T0_E_clISt17integral_constantIbLb1EEST_IbLb0EEEEDaSP_SQ_EUlSP_E0_NS1_11comp_targetILNS1_3genE10ELNS1_11target_archE1200ELNS1_3gpuE4ELNS1_3repE0EEENS1_30default_config_static_selectorELNS0_4arch9wavefront6targetE1EEEvT1_
	.globl	_ZN7rocprim17ROCPRIM_400000_NS6detail17trampoline_kernelINS0_14default_configENS1_20scan_config_selectorIjEEZZNS1_9scan_implILNS1_25lookback_scan_determinismE0ELb0ELb0ES3_N6thrust23THRUST_200600_302600_NS6detail15normal_iteratorINS9_10device_ptrIjEEEESE_j11max_functorIjEjEEDaPvRmT3_T4_T5_mT6_P12ihipStream_tbENKUlT_T0_E_clISt17integral_constantIbLb1EEST_IbLb0EEEEDaSP_SQ_EUlSP_E0_NS1_11comp_targetILNS1_3genE10ELNS1_11target_archE1200ELNS1_3gpuE4ELNS1_3repE0EEENS1_30default_config_static_selectorELNS0_4arch9wavefront6targetE1EEEvT1_
	.p2align	8
	.type	_ZN7rocprim17ROCPRIM_400000_NS6detail17trampoline_kernelINS0_14default_configENS1_20scan_config_selectorIjEEZZNS1_9scan_implILNS1_25lookback_scan_determinismE0ELb0ELb0ES3_N6thrust23THRUST_200600_302600_NS6detail15normal_iteratorINS9_10device_ptrIjEEEESE_j11max_functorIjEjEEDaPvRmT3_T4_T5_mT6_P12ihipStream_tbENKUlT_T0_E_clISt17integral_constantIbLb1EEST_IbLb0EEEEDaSP_SQ_EUlSP_E0_NS1_11comp_targetILNS1_3genE10ELNS1_11target_archE1200ELNS1_3gpuE4ELNS1_3repE0EEENS1_30default_config_static_selectorELNS0_4arch9wavefront6targetE1EEEvT1_,@function
_ZN7rocprim17ROCPRIM_400000_NS6detail17trampoline_kernelINS0_14default_configENS1_20scan_config_selectorIjEEZZNS1_9scan_implILNS1_25lookback_scan_determinismE0ELb0ELb0ES3_N6thrust23THRUST_200600_302600_NS6detail15normal_iteratorINS9_10device_ptrIjEEEESE_j11max_functorIjEjEEDaPvRmT3_T4_T5_mT6_P12ihipStream_tbENKUlT_T0_E_clISt17integral_constantIbLb1EEST_IbLb0EEEEDaSP_SQ_EUlSP_E0_NS1_11comp_targetILNS1_3genE10ELNS1_11target_archE1200ELNS1_3gpuE4ELNS1_3repE0EEENS1_30default_config_static_selectorELNS0_4arch9wavefront6targetE1EEEvT1_: ; @_ZN7rocprim17ROCPRIM_400000_NS6detail17trampoline_kernelINS0_14default_configENS1_20scan_config_selectorIjEEZZNS1_9scan_implILNS1_25lookback_scan_determinismE0ELb0ELb0ES3_N6thrust23THRUST_200600_302600_NS6detail15normal_iteratorINS9_10device_ptrIjEEEESE_j11max_functorIjEjEEDaPvRmT3_T4_T5_mT6_P12ihipStream_tbENKUlT_T0_E_clISt17integral_constantIbLb1EEST_IbLb0EEEEDaSP_SQ_EUlSP_E0_NS1_11comp_targetILNS1_3genE10ELNS1_11target_archE1200ELNS1_3gpuE4ELNS1_3repE0EEENS1_30default_config_static_selectorELNS0_4arch9wavefront6targetE1EEEvT1_
; %bb.0:
	.section	.rodata,"a",@progbits
	.p2align	6, 0x0
	.amdhsa_kernel _ZN7rocprim17ROCPRIM_400000_NS6detail17trampoline_kernelINS0_14default_configENS1_20scan_config_selectorIjEEZZNS1_9scan_implILNS1_25lookback_scan_determinismE0ELb0ELb0ES3_N6thrust23THRUST_200600_302600_NS6detail15normal_iteratorINS9_10device_ptrIjEEEESE_j11max_functorIjEjEEDaPvRmT3_T4_T5_mT6_P12ihipStream_tbENKUlT_T0_E_clISt17integral_constantIbLb1EEST_IbLb0EEEEDaSP_SQ_EUlSP_E0_NS1_11comp_targetILNS1_3genE10ELNS1_11target_archE1200ELNS1_3gpuE4ELNS1_3repE0EEENS1_30default_config_static_selectorELNS0_4arch9wavefront6targetE1EEEvT1_
		.amdhsa_group_segment_fixed_size 0
		.amdhsa_private_segment_fixed_size 0
		.amdhsa_kernarg_size 32
		.amdhsa_user_sgpr_count 6
		.amdhsa_user_sgpr_private_segment_buffer 1
		.amdhsa_user_sgpr_dispatch_ptr 0
		.amdhsa_user_sgpr_queue_ptr 0
		.amdhsa_user_sgpr_kernarg_segment_ptr 1
		.amdhsa_user_sgpr_dispatch_id 0
		.amdhsa_user_sgpr_flat_scratch_init 0
		.amdhsa_user_sgpr_kernarg_preload_length 0
		.amdhsa_user_sgpr_kernarg_preload_offset 0
		.amdhsa_user_sgpr_private_segment_size 0
		.amdhsa_uses_dynamic_stack 0
		.amdhsa_system_sgpr_private_segment_wavefront_offset 0
		.amdhsa_system_sgpr_workgroup_id_x 1
		.amdhsa_system_sgpr_workgroup_id_y 0
		.amdhsa_system_sgpr_workgroup_id_z 0
		.amdhsa_system_sgpr_workgroup_info 0
		.amdhsa_system_vgpr_workitem_id 0
		.amdhsa_next_free_vgpr 1
		.amdhsa_next_free_sgpr 0
		.amdhsa_accum_offset 4
		.amdhsa_reserve_vcc 0
		.amdhsa_reserve_flat_scratch 0
		.amdhsa_float_round_mode_32 0
		.amdhsa_float_round_mode_16_64 0
		.amdhsa_float_denorm_mode_32 3
		.amdhsa_float_denorm_mode_16_64 3
		.amdhsa_dx10_clamp 1
		.amdhsa_ieee_mode 1
		.amdhsa_fp16_overflow 0
		.amdhsa_tg_split 0
		.amdhsa_exception_fp_ieee_invalid_op 0
		.amdhsa_exception_fp_denorm_src 0
		.amdhsa_exception_fp_ieee_div_zero 0
		.amdhsa_exception_fp_ieee_overflow 0
		.amdhsa_exception_fp_ieee_underflow 0
		.amdhsa_exception_fp_ieee_inexact 0
		.amdhsa_exception_int_div_zero 0
	.end_amdhsa_kernel
	.section	.text._ZN7rocprim17ROCPRIM_400000_NS6detail17trampoline_kernelINS0_14default_configENS1_20scan_config_selectorIjEEZZNS1_9scan_implILNS1_25lookback_scan_determinismE0ELb0ELb0ES3_N6thrust23THRUST_200600_302600_NS6detail15normal_iteratorINS9_10device_ptrIjEEEESE_j11max_functorIjEjEEDaPvRmT3_T4_T5_mT6_P12ihipStream_tbENKUlT_T0_E_clISt17integral_constantIbLb1EEST_IbLb0EEEEDaSP_SQ_EUlSP_E0_NS1_11comp_targetILNS1_3genE10ELNS1_11target_archE1200ELNS1_3gpuE4ELNS1_3repE0EEENS1_30default_config_static_selectorELNS0_4arch9wavefront6targetE1EEEvT1_,"axG",@progbits,_ZN7rocprim17ROCPRIM_400000_NS6detail17trampoline_kernelINS0_14default_configENS1_20scan_config_selectorIjEEZZNS1_9scan_implILNS1_25lookback_scan_determinismE0ELb0ELb0ES3_N6thrust23THRUST_200600_302600_NS6detail15normal_iteratorINS9_10device_ptrIjEEEESE_j11max_functorIjEjEEDaPvRmT3_T4_T5_mT6_P12ihipStream_tbENKUlT_T0_E_clISt17integral_constantIbLb1EEST_IbLb0EEEEDaSP_SQ_EUlSP_E0_NS1_11comp_targetILNS1_3genE10ELNS1_11target_archE1200ELNS1_3gpuE4ELNS1_3repE0EEENS1_30default_config_static_selectorELNS0_4arch9wavefront6targetE1EEEvT1_,comdat
.Lfunc_end2307:
	.size	_ZN7rocprim17ROCPRIM_400000_NS6detail17trampoline_kernelINS0_14default_configENS1_20scan_config_selectorIjEEZZNS1_9scan_implILNS1_25lookback_scan_determinismE0ELb0ELb0ES3_N6thrust23THRUST_200600_302600_NS6detail15normal_iteratorINS9_10device_ptrIjEEEESE_j11max_functorIjEjEEDaPvRmT3_T4_T5_mT6_P12ihipStream_tbENKUlT_T0_E_clISt17integral_constantIbLb1EEST_IbLb0EEEEDaSP_SQ_EUlSP_E0_NS1_11comp_targetILNS1_3genE10ELNS1_11target_archE1200ELNS1_3gpuE4ELNS1_3repE0EEENS1_30default_config_static_selectorELNS0_4arch9wavefront6targetE1EEEvT1_, .Lfunc_end2307-_ZN7rocprim17ROCPRIM_400000_NS6detail17trampoline_kernelINS0_14default_configENS1_20scan_config_selectorIjEEZZNS1_9scan_implILNS1_25lookback_scan_determinismE0ELb0ELb0ES3_N6thrust23THRUST_200600_302600_NS6detail15normal_iteratorINS9_10device_ptrIjEEEESE_j11max_functorIjEjEEDaPvRmT3_T4_T5_mT6_P12ihipStream_tbENKUlT_T0_E_clISt17integral_constantIbLb1EEST_IbLb0EEEEDaSP_SQ_EUlSP_E0_NS1_11comp_targetILNS1_3genE10ELNS1_11target_archE1200ELNS1_3gpuE4ELNS1_3repE0EEENS1_30default_config_static_selectorELNS0_4arch9wavefront6targetE1EEEvT1_
                                        ; -- End function
	.section	.AMDGPU.csdata,"",@progbits
; Kernel info:
; codeLenInByte = 0
; NumSgprs: 4
; NumVgprs: 0
; NumAgprs: 0
; TotalNumVgprs: 0
; ScratchSize: 0
; MemoryBound: 0
; FloatMode: 240
; IeeeMode: 1
; LDSByteSize: 0 bytes/workgroup (compile time only)
; SGPRBlocks: 0
; VGPRBlocks: 0
; NumSGPRsForWavesPerEU: 4
; NumVGPRsForWavesPerEU: 1
; AccumOffset: 4
; Occupancy: 8
; WaveLimiterHint : 0
; COMPUTE_PGM_RSRC2:SCRATCH_EN: 0
; COMPUTE_PGM_RSRC2:USER_SGPR: 6
; COMPUTE_PGM_RSRC2:TRAP_HANDLER: 0
; COMPUTE_PGM_RSRC2:TGID_X_EN: 1
; COMPUTE_PGM_RSRC2:TGID_Y_EN: 0
; COMPUTE_PGM_RSRC2:TGID_Z_EN: 0
; COMPUTE_PGM_RSRC2:TIDIG_COMP_CNT: 0
; COMPUTE_PGM_RSRC3_GFX90A:ACCUM_OFFSET: 0
; COMPUTE_PGM_RSRC3_GFX90A:TG_SPLIT: 0
	.section	.text._ZN7rocprim17ROCPRIM_400000_NS6detail17trampoline_kernelINS0_14default_configENS1_20scan_config_selectorIjEEZZNS1_9scan_implILNS1_25lookback_scan_determinismE0ELb0ELb0ES3_N6thrust23THRUST_200600_302600_NS6detail15normal_iteratorINS9_10device_ptrIjEEEESE_j11max_functorIjEjEEDaPvRmT3_T4_T5_mT6_P12ihipStream_tbENKUlT_T0_E_clISt17integral_constantIbLb1EEST_IbLb0EEEEDaSP_SQ_EUlSP_E0_NS1_11comp_targetILNS1_3genE9ELNS1_11target_archE1100ELNS1_3gpuE3ELNS1_3repE0EEENS1_30default_config_static_selectorELNS0_4arch9wavefront6targetE1EEEvT1_,"axG",@progbits,_ZN7rocprim17ROCPRIM_400000_NS6detail17trampoline_kernelINS0_14default_configENS1_20scan_config_selectorIjEEZZNS1_9scan_implILNS1_25lookback_scan_determinismE0ELb0ELb0ES3_N6thrust23THRUST_200600_302600_NS6detail15normal_iteratorINS9_10device_ptrIjEEEESE_j11max_functorIjEjEEDaPvRmT3_T4_T5_mT6_P12ihipStream_tbENKUlT_T0_E_clISt17integral_constantIbLb1EEST_IbLb0EEEEDaSP_SQ_EUlSP_E0_NS1_11comp_targetILNS1_3genE9ELNS1_11target_archE1100ELNS1_3gpuE3ELNS1_3repE0EEENS1_30default_config_static_selectorELNS0_4arch9wavefront6targetE1EEEvT1_,comdat
	.protected	_ZN7rocprim17ROCPRIM_400000_NS6detail17trampoline_kernelINS0_14default_configENS1_20scan_config_selectorIjEEZZNS1_9scan_implILNS1_25lookback_scan_determinismE0ELb0ELb0ES3_N6thrust23THRUST_200600_302600_NS6detail15normal_iteratorINS9_10device_ptrIjEEEESE_j11max_functorIjEjEEDaPvRmT3_T4_T5_mT6_P12ihipStream_tbENKUlT_T0_E_clISt17integral_constantIbLb1EEST_IbLb0EEEEDaSP_SQ_EUlSP_E0_NS1_11comp_targetILNS1_3genE9ELNS1_11target_archE1100ELNS1_3gpuE3ELNS1_3repE0EEENS1_30default_config_static_selectorELNS0_4arch9wavefront6targetE1EEEvT1_ ; -- Begin function _ZN7rocprim17ROCPRIM_400000_NS6detail17trampoline_kernelINS0_14default_configENS1_20scan_config_selectorIjEEZZNS1_9scan_implILNS1_25lookback_scan_determinismE0ELb0ELb0ES3_N6thrust23THRUST_200600_302600_NS6detail15normal_iteratorINS9_10device_ptrIjEEEESE_j11max_functorIjEjEEDaPvRmT3_T4_T5_mT6_P12ihipStream_tbENKUlT_T0_E_clISt17integral_constantIbLb1EEST_IbLb0EEEEDaSP_SQ_EUlSP_E0_NS1_11comp_targetILNS1_3genE9ELNS1_11target_archE1100ELNS1_3gpuE3ELNS1_3repE0EEENS1_30default_config_static_selectorELNS0_4arch9wavefront6targetE1EEEvT1_
	.globl	_ZN7rocprim17ROCPRIM_400000_NS6detail17trampoline_kernelINS0_14default_configENS1_20scan_config_selectorIjEEZZNS1_9scan_implILNS1_25lookback_scan_determinismE0ELb0ELb0ES3_N6thrust23THRUST_200600_302600_NS6detail15normal_iteratorINS9_10device_ptrIjEEEESE_j11max_functorIjEjEEDaPvRmT3_T4_T5_mT6_P12ihipStream_tbENKUlT_T0_E_clISt17integral_constantIbLb1EEST_IbLb0EEEEDaSP_SQ_EUlSP_E0_NS1_11comp_targetILNS1_3genE9ELNS1_11target_archE1100ELNS1_3gpuE3ELNS1_3repE0EEENS1_30default_config_static_selectorELNS0_4arch9wavefront6targetE1EEEvT1_
	.p2align	8
	.type	_ZN7rocprim17ROCPRIM_400000_NS6detail17trampoline_kernelINS0_14default_configENS1_20scan_config_selectorIjEEZZNS1_9scan_implILNS1_25lookback_scan_determinismE0ELb0ELb0ES3_N6thrust23THRUST_200600_302600_NS6detail15normal_iteratorINS9_10device_ptrIjEEEESE_j11max_functorIjEjEEDaPvRmT3_T4_T5_mT6_P12ihipStream_tbENKUlT_T0_E_clISt17integral_constantIbLb1EEST_IbLb0EEEEDaSP_SQ_EUlSP_E0_NS1_11comp_targetILNS1_3genE9ELNS1_11target_archE1100ELNS1_3gpuE3ELNS1_3repE0EEENS1_30default_config_static_selectorELNS0_4arch9wavefront6targetE1EEEvT1_,@function
_ZN7rocprim17ROCPRIM_400000_NS6detail17trampoline_kernelINS0_14default_configENS1_20scan_config_selectorIjEEZZNS1_9scan_implILNS1_25lookback_scan_determinismE0ELb0ELb0ES3_N6thrust23THRUST_200600_302600_NS6detail15normal_iteratorINS9_10device_ptrIjEEEESE_j11max_functorIjEjEEDaPvRmT3_T4_T5_mT6_P12ihipStream_tbENKUlT_T0_E_clISt17integral_constantIbLb1EEST_IbLb0EEEEDaSP_SQ_EUlSP_E0_NS1_11comp_targetILNS1_3genE9ELNS1_11target_archE1100ELNS1_3gpuE3ELNS1_3repE0EEENS1_30default_config_static_selectorELNS0_4arch9wavefront6targetE1EEEvT1_: ; @_ZN7rocprim17ROCPRIM_400000_NS6detail17trampoline_kernelINS0_14default_configENS1_20scan_config_selectorIjEEZZNS1_9scan_implILNS1_25lookback_scan_determinismE0ELb0ELb0ES3_N6thrust23THRUST_200600_302600_NS6detail15normal_iteratorINS9_10device_ptrIjEEEESE_j11max_functorIjEjEEDaPvRmT3_T4_T5_mT6_P12ihipStream_tbENKUlT_T0_E_clISt17integral_constantIbLb1EEST_IbLb0EEEEDaSP_SQ_EUlSP_E0_NS1_11comp_targetILNS1_3genE9ELNS1_11target_archE1100ELNS1_3gpuE3ELNS1_3repE0EEENS1_30default_config_static_selectorELNS0_4arch9wavefront6targetE1EEEvT1_
; %bb.0:
	.section	.rodata,"a",@progbits
	.p2align	6, 0x0
	.amdhsa_kernel _ZN7rocprim17ROCPRIM_400000_NS6detail17trampoline_kernelINS0_14default_configENS1_20scan_config_selectorIjEEZZNS1_9scan_implILNS1_25lookback_scan_determinismE0ELb0ELb0ES3_N6thrust23THRUST_200600_302600_NS6detail15normal_iteratorINS9_10device_ptrIjEEEESE_j11max_functorIjEjEEDaPvRmT3_T4_T5_mT6_P12ihipStream_tbENKUlT_T0_E_clISt17integral_constantIbLb1EEST_IbLb0EEEEDaSP_SQ_EUlSP_E0_NS1_11comp_targetILNS1_3genE9ELNS1_11target_archE1100ELNS1_3gpuE3ELNS1_3repE0EEENS1_30default_config_static_selectorELNS0_4arch9wavefront6targetE1EEEvT1_
		.amdhsa_group_segment_fixed_size 0
		.amdhsa_private_segment_fixed_size 0
		.amdhsa_kernarg_size 32
		.amdhsa_user_sgpr_count 6
		.amdhsa_user_sgpr_private_segment_buffer 1
		.amdhsa_user_sgpr_dispatch_ptr 0
		.amdhsa_user_sgpr_queue_ptr 0
		.amdhsa_user_sgpr_kernarg_segment_ptr 1
		.amdhsa_user_sgpr_dispatch_id 0
		.amdhsa_user_sgpr_flat_scratch_init 0
		.amdhsa_user_sgpr_kernarg_preload_length 0
		.amdhsa_user_sgpr_kernarg_preload_offset 0
		.amdhsa_user_sgpr_private_segment_size 0
		.amdhsa_uses_dynamic_stack 0
		.amdhsa_system_sgpr_private_segment_wavefront_offset 0
		.amdhsa_system_sgpr_workgroup_id_x 1
		.amdhsa_system_sgpr_workgroup_id_y 0
		.amdhsa_system_sgpr_workgroup_id_z 0
		.amdhsa_system_sgpr_workgroup_info 0
		.amdhsa_system_vgpr_workitem_id 0
		.amdhsa_next_free_vgpr 1
		.amdhsa_next_free_sgpr 0
		.amdhsa_accum_offset 4
		.amdhsa_reserve_vcc 0
		.amdhsa_reserve_flat_scratch 0
		.amdhsa_float_round_mode_32 0
		.amdhsa_float_round_mode_16_64 0
		.amdhsa_float_denorm_mode_32 3
		.amdhsa_float_denorm_mode_16_64 3
		.amdhsa_dx10_clamp 1
		.amdhsa_ieee_mode 1
		.amdhsa_fp16_overflow 0
		.amdhsa_tg_split 0
		.amdhsa_exception_fp_ieee_invalid_op 0
		.amdhsa_exception_fp_denorm_src 0
		.amdhsa_exception_fp_ieee_div_zero 0
		.amdhsa_exception_fp_ieee_overflow 0
		.amdhsa_exception_fp_ieee_underflow 0
		.amdhsa_exception_fp_ieee_inexact 0
		.amdhsa_exception_int_div_zero 0
	.end_amdhsa_kernel
	.section	.text._ZN7rocprim17ROCPRIM_400000_NS6detail17trampoline_kernelINS0_14default_configENS1_20scan_config_selectorIjEEZZNS1_9scan_implILNS1_25lookback_scan_determinismE0ELb0ELb0ES3_N6thrust23THRUST_200600_302600_NS6detail15normal_iteratorINS9_10device_ptrIjEEEESE_j11max_functorIjEjEEDaPvRmT3_T4_T5_mT6_P12ihipStream_tbENKUlT_T0_E_clISt17integral_constantIbLb1EEST_IbLb0EEEEDaSP_SQ_EUlSP_E0_NS1_11comp_targetILNS1_3genE9ELNS1_11target_archE1100ELNS1_3gpuE3ELNS1_3repE0EEENS1_30default_config_static_selectorELNS0_4arch9wavefront6targetE1EEEvT1_,"axG",@progbits,_ZN7rocprim17ROCPRIM_400000_NS6detail17trampoline_kernelINS0_14default_configENS1_20scan_config_selectorIjEEZZNS1_9scan_implILNS1_25lookback_scan_determinismE0ELb0ELb0ES3_N6thrust23THRUST_200600_302600_NS6detail15normal_iteratorINS9_10device_ptrIjEEEESE_j11max_functorIjEjEEDaPvRmT3_T4_T5_mT6_P12ihipStream_tbENKUlT_T0_E_clISt17integral_constantIbLb1EEST_IbLb0EEEEDaSP_SQ_EUlSP_E0_NS1_11comp_targetILNS1_3genE9ELNS1_11target_archE1100ELNS1_3gpuE3ELNS1_3repE0EEENS1_30default_config_static_selectorELNS0_4arch9wavefront6targetE1EEEvT1_,comdat
.Lfunc_end2308:
	.size	_ZN7rocprim17ROCPRIM_400000_NS6detail17trampoline_kernelINS0_14default_configENS1_20scan_config_selectorIjEEZZNS1_9scan_implILNS1_25lookback_scan_determinismE0ELb0ELb0ES3_N6thrust23THRUST_200600_302600_NS6detail15normal_iteratorINS9_10device_ptrIjEEEESE_j11max_functorIjEjEEDaPvRmT3_T4_T5_mT6_P12ihipStream_tbENKUlT_T0_E_clISt17integral_constantIbLb1EEST_IbLb0EEEEDaSP_SQ_EUlSP_E0_NS1_11comp_targetILNS1_3genE9ELNS1_11target_archE1100ELNS1_3gpuE3ELNS1_3repE0EEENS1_30default_config_static_selectorELNS0_4arch9wavefront6targetE1EEEvT1_, .Lfunc_end2308-_ZN7rocprim17ROCPRIM_400000_NS6detail17trampoline_kernelINS0_14default_configENS1_20scan_config_selectorIjEEZZNS1_9scan_implILNS1_25lookback_scan_determinismE0ELb0ELb0ES3_N6thrust23THRUST_200600_302600_NS6detail15normal_iteratorINS9_10device_ptrIjEEEESE_j11max_functorIjEjEEDaPvRmT3_T4_T5_mT6_P12ihipStream_tbENKUlT_T0_E_clISt17integral_constantIbLb1EEST_IbLb0EEEEDaSP_SQ_EUlSP_E0_NS1_11comp_targetILNS1_3genE9ELNS1_11target_archE1100ELNS1_3gpuE3ELNS1_3repE0EEENS1_30default_config_static_selectorELNS0_4arch9wavefront6targetE1EEEvT1_
                                        ; -- End function
	.section	.AMDGPU.csdata,"",@progbits
; Kernel info:
; codeLenInByte = 0
; NumSgprs: 4
; NumVgprs: 0
; NumAgprs: 0
; TotalNumVgprs: 0
; ScratchSize: 0
; MemoryBound: 0
; FloatMode: 240
; IeeeMode: 1
; LDSByteSize: 0 bytes/workgroup (compile time only)
; SGPRBlocks: 0
; VGPRBlocks: 0
; NumSGPRsForWavesPerEU: 4
; NumVGPRsForWavesPerEU: 1
; AccumOffset: 4
; Occupancy: 8
; WaveLimiterHint : 0
; COMPUTE_PGM_RSRC2:SCRATCH_EN: 0
; COMPUTE_PGM_RSRC2:USER_SGPR: 6
; COMPUTE_PGM_RSRC2:TRAP_HANDLER: 0
; COMPUTE_PGM_RSRC2:TGID_X_EN: 1
; COMPUTE_PGM_RSRC2:TGID_Y_EN: 0
; COMPUTE_PGM_RSRC2:TGID_Z_EN: 0
; COMPUTE_PGM_RSRC2:TIDIG_COMP_CNT: 0
; COMPUTE_PGM_RSRC3_GFX90A:ACCUM_OFFSET: 0
; COMPUTE_PGM_RSRC3_GFX90A:TG_SPLIT: 0
	.section	.text._ZN7rocprim17ROCPRIM_400000_NS6detail17trampoline_kernelINS0_14default_configENS1_20scan_config_selectorIjEEZZNS1_9scan_implILNS1_25lookback_scan_determinismE0ELb0ELb0ES3_N6thrust23THRUST_200600_302600_NS6detail15normal_iteratorINS9_10device_ptrIjEEEESE_j11max_functorIjEjEEDaPvRmT3_T4_T5_mT6_P12ihipStream_tbENKUlT_T0_E_clISt17integral_constantIbLb1EEST_IbLb0EEEEDaSP_SQ_EUlSP_E0_NS1_11comp_targetILNS1_3genE8ELNS1_11target_archE1030ELNS1_3gpuE2ELNS1_3repE0EEENS1_30default_config_static_selectorELNS0_4arch9wavefront6targetE1EEEvT1_,"axG",@progbits,_ZN7rocprim17ROCPRIM_400000_NS6detail17trampoline_kernelINS0_14default_configENS1_20scan_config_selectorIjEEZZNS1_9scan_implILNS1_25lookback_scan_determinismE0ELb0ELb0ES3_N6thrust23THRUST_200600_302600_NS6detail15normal_iteratorINS9_10device_ptrIjEEEESE_j11max_functorIjEjEEDaPvRmT3_T4_T5_mT6_P12ihipStream_tbENKUlT_T0_E_clISt17integral_constantIbLb1EEST_IbLb0EEEEDaSP_SQ_EUlSP_E0_NS1_11comp_targetILNS1_3genE8ELNS1_11target_archE1030ELNS1_3gpuE2ELNS1_3repE0EEENS1_30default_config_static_selectorELNS0_4arch9wavefront6targetE1EEEvT1_,comdat
	.protected	_ZN7rocprim17ROCPRIM_400000_NS6detail17trampoline_kernelINS0_14default_configENS1_20scan_config_selectorIjEEZZNS1_9scan_implILNS1_25lookback_scan_determinismE0ELb0ELb0ES3_N6thrust23THRUST_200600_302600_NS6detail15normal_iteratorINS9_10device_ptrIjEEEESE_j11max_functorIjEjEEDaPvRmT3_T4_T5_mT6_P12ihipStream_tbENKUlT_T0_E_clISt17integral_constantIbLb1EEST_IbLb0EEEEDaSP_SQ_EUlSP_E0_NS1_11comp_targetILNS1_3genE8ELNS1_11target_archE1030ELNS1_3gpuE2ELNS1_3repE0EEENS1_30default_config_static_selectorELNS0_4arch9wavefront6targetE1EEEvT1_ ; -- Begin function _ZN7rocprim17ROCPRIM_400000_NS6detail17trampoline_kernelINS0_14default_configENS1_20scan_config_selectorIjEEZZNS1_9scan_implILNS1_25lookback_scan_determinismE0ELb0ELb0ES3_N6thrust23THRUST_200600_302600_NS6detail15normal_iteratorINS9_10device_ptrIjEEEESE_j11max_functorIjEjEEDaPvRmT3_T4_T5_mT6_P12ihipStream_tbENKUlT_T0_E_clISt17integral_constantIbLb1EEST_IbLb0EEEEDaSP_SQ_EUlSP_E0_NS1_11comp_targetILNS1_3genE8ELNS1_11target_archE1030ELNS1_3gpuE2ELNS1_3repE0EEENS1_30default_config_static_selectorELNS0_4arch9wavefront6targetE1EEEvT1_
	.globl	_ZN7rocprim17ROCPRIM_400000_NS6detail17trampoline_kernelINS0_14default_configENS1_20scan_config_selectorIjEEZZNS1_9scan_implILNS1_25lookback_scan_determinismE0ELb0ELb0ES3_N6thrust23THRUST_200600_302600_NS6detail15normal_iteratorINS9_10device_ptrIjEEEESE_j11max_functorIjEjEEDaPvRmT3_T4_T5_mT6_P12ihipStream_tbENKUlT_T0_E_clISt17integral_constantIbLb1EEST_IbLb0EEEEDaSP_SQ_EUlSP_E0_NS1_11comp_targetILNS1_3genE8ELNS1_11target_archE1030ELNS1_3gpuE2ELNS1_3repE0EEENS1_30default_config_static_selectorELNS0_4arch9wavefront6targetE1EEEvT1_
	.p2align	8
	.type	_ZN7rocprim17ROCPRIM_400000_NS6detail17trampoline_kernelINS0_14default_configENS1_20scan_config_selectorIjEEZZNS1_9scan_implILNS1_25lookback_scan_determinismE0ELb0ELb0ES3_N6thrust23THRUST_200600_302600_NS6detail15normal_iteratorINS9_10device_ptrIjEEEESE_j11max_functorIjEjEEDaPvRmT3_T4_T5_mT6_P12ihipStream_tbENKUlT_T0_E_clISt17integral_constantIbLb1EEST_IbLb0EEEEDaSP_SQ_EUlSP_E0_NS1_11comp_targetILNS1_3genE8ELNS1_11target_archE1030ELNS1_3gpuE2ELNS1_3repE0EEENS1_30default_config_static_selectorELNS0_4arch9wavefront6targetE1EEEvT1_,@function
_ZN7rocprim17ROCPRIM_400000_NS6detail17trampoline_kernelINS0_14default_configENS1_20scan_config_selectorIjEEZZNS1_9scan_implILNS1_25lookback_scan_determinismE0ELb0ELb0ES3_N6thrust23THRUST_200600_302600_NS6detail15normal_iteratorINS9_10device_ptrIjEEEESE_j11max_functorIjEjEEDaPvRmT3_T4_T5_mT6_P12ihipStream_tbENKUlT_T0_E_clISt17integral_constantIbLb1EEST_IbLb0EEEEDaSP_SQ_EUlSP_E0_NS1_11comp_targetILNS1_3genE8ELNS1_11target_archE1030ELNS1_3gpuE2ELNS1_3repE0EEENS1_30default_config_static_selectorELNS0_4arch9wavefront6targetE1EEEvT1_: ; @_ZN7rocprim17ROCPRIM_400000_NS6detail17trampoline_kernelINS0_14default_configENS1_20scan_config_selectorIjEEZZNS1_9scan_implILNS1_25lookback_scan_determinismE0ELb0ELb0ES3_N6thrust23THRUST_200600_302600_NS6detail15normal_iteratorINS9_10device_ptrIjEEEESE_j11max_functorIjEjEEDaPvRmT3_T4_T5_mT6_P12ihipStream_tbENKUlT_T0_E_clISt17integral_constantIbLb1EEST_IbLb0EEEEDaSP_SQ_EUlSP_E0_NS1_11comp_targetILNS1_3genE8ELNS1_11target_archE1030ELNS1_3gpuE2ELNS1_3repE0EEENS1_30default_config_static_selectorELNS0_4arch9wavefront6targetE1EEEvT1_
; %bb.0:
	.section	.rodata,"a",@progbits
	.p2align	6, 0x0
	.amdhsa_kernel _ZN7rocprim17ROCPRIM_400000_NS6detail17trampoline_kernelINS0_14default_configENS1_20scan_config_selectorIjEEZZNS1_9scan_implILNS1_25lookback_scan_determinismE0ELb0ELb0ES3_N6thrust23THRUST_200600_302600_NS6detail15normal_iteratorINS9_10device_ptrIjEEEESE_j11max_functorIjEjEEDaPvRmT3_T4_T5_mT6_P12ihipStream_tbENKUlT_T0_E_clISt17integral_constantIbLb1EEST_IbLb0EEEEDaSP_SQ_EUlSP_E0_NS1_11comp_targetILNS1_3genE8ELNS1_11target_archE1030ELNS1_3gpuE2ELNS1_3repE0EEENS1_30default_config_static_selectorELNS0_4arch9wavefront6targetE1EEEvT1_
		.amdhsa_group_segment_fixed_size 0
		.amdhsa_private_segment_fixed_size 0
		.amdhsa_kernarg_size 32
		.amdhsa_user_sgpr_count 6
		.amdhsa_user_sgpr_private_segment_buffer 1
		.amdhsa_user_sgpr_dispatch_ptr 0
		.amdhsa_user_sgpr_queue_ptr 0
		.amdhsa_user_sgpr_kernarg_segment_ptr 1
		.amdhsa_user_sgpr_dispatch_id 0
		.amdhsa_user_sgpr_flat_scratch_init 0
		.amdhsa_user_sgpr_kernarg_preload_length 0
		.amdhsa_user_sgpr_kernarg_preload_offset 0
		.amdhsa_user_sgpr_private_segment_size 0
		.amdhsa_uses_dynamic_stack 0
		.amdhsa_system_sgpr_private_segment_wavefront_offset 0
		.amdhsa_system_sgpr_workgroup_id_x 1
		.amdhsa_system_sgpr_workgroup_id_y 0
		.amdhsa_system_sgpr_workgroup_id_z 0
		.amdhsa_system_sgpr_workgroup_info 0
		.amdhsa_system_vgpr_workitem_id 0
		.amdhsa_next_free_vgpr 1
		.amdhsa_next_free_sgpr 0
		.amdhsa_accum_offset 4
		.amdhsa_reserve_vcc 0
		.amdhsa_reserve_flat_scratch 0
		.amdhsa_float_round_mode_32 0
		.amdhsa_float_round_mode_16_64 0
		.amdhsa_float_denorm_mode_32 3
		.amdhsa_float_denorm_mode_16_64 3
		.amdhsa_dx10_clamp 1
		.amdhsa_ieee_mode 1
		.amdhsa_fp16_overflow 0
		.amdhsa_tg_split 0
		.amdhsa_exception_fp_ieee_invalid_op 0
		.amdhsa_exception_fp_denorm_src 0
		.amdhsa_exception_fp_ieee_div_zero 0
		.amdhsa_exception_fp_ieee_overflow 0
		.amdhsa_exception_fp_ieee_underflow 0
		.amdhsa_exception_fp_ieee_inexact 0
		.amdhsa_exception_int_div_zero 0
	.end_amdhsa_kernel
	.section	.text._ZN7rocprim17ROCPRIM_400000_NS6detail17trampoline_kernelINS0_14default_configENS1_20scan_config_selectorIjEEZZNS1_9scan_implILNS1_25lookback_scan_determinismE0ELb0ELb0ES3_N6thrust23THRUST_200600_302600_NS6detail15normal_iteratorINS9_10device_ptrIjEEEESE_j11max_functorIjEjEEDaPvRmT3_T4_T5_mT6_P12ihipStream_tbENKUlT_T0_E_clISt17integral_constantIbLb1EEST_IbLb0EEEEDaSP_SQ_EUlSP_E0_NS1_11comp_targetILNS1_3genE8ELNS1_11target_archE1030ELNS1_3gpuE2ELNS1_3repE0EEENS1_30default_config_static_selectorELNS0_4arch9wavefront6targetE1EEEvT1_,"axG",@progbits,_ZN7rocprim17ROCPRIM_400000_NS6detail17trampoline_kernelINS0_14default_configENS1_20scan_config_selectorIjEEZZNS1_9scan_implILNS1_25lookback_scan_determinismE0ELb0ELb0ES3_N6thrust23THRUST_200600_302600_NS6detail15normal_iteratorINS9_10device_ptrIjEEEESE_j11max_functorIjEjEEDaPvRmT3_T4_T5_mT6_P12ihipStream_tbENKUlT_T0_E_clISt17integral_constantIbLb1EEST_IbLb0EEEEDaSP_SQ_EUlSP_E0_NS1_11comp_targetILNS1_3genE8ELNS1_11target_archE1030ELNS1_3gpuE2ELNS1_3repE0EEENS1_30default_config_static_selectorELNS0_4arch9wavefront6targetE1EEEvT1_,comdat
.Lfunc_end2309:
	.size	_ZN7rocprim17ROCPRIM_400000_NS6detail17trampoline_kernelINS0_14default_configENS1_20scan_config_selectorIjEEZZNS1_9scan_implILNS1_25lookback_scan_determinismE0ELb0ELb0ES3_N6thrust23THRUST_200600_302600_NS6detail15normal_iteratorINS9_10device_ptrIjEEEESE_j11max_functorIjEjEEDaPvRmT3_T4_T5_mT6_P12ihipStream_tbENKUlT_T0_E_clISt17integral_constantIbLb1EEST_IbLb0EEEEDaSP_SQ_EUlSP_E0_NS1_11comp_targetILNS1_3genE8ELNS1_11target_archE1030ELNS1_3gpuE2ELNS1_3repE0EEENS1_30default_config_static_selectorELNS0_4arch9wavefront6targetE1EEEvT1_, .Lfunc_end2309-_ZN7rocprim17ROCPRIM_400000_NS6detail17trampoline_kernelINS0_14default_configENS1_20scan_config_selectorIjEEZZNS1_9scan_implILNS1_25lookback_scan_determinismE0ELb0ELb0ES3_N6thrust23THRUST_200600_302600_NS6detail15normal_iteratorINS9_10device_ptrIjEEEESE_j11max_functorIjEjEEDaPvRmT3_T4_T5_mT6_P12ihipStream_tbENKUlT_T0_E_clISt17integral_constantIbLb1EEST_IbLb0EEEEDaSP_SQ_EUlSP_E0_NS1_11comp_targetILNS1_3genE8ELNS1_11target_archE1030ELNS1_3gpuE2ELNS1_3repE0EEENS1_30default_config_static_selectorELNS0_4arch9wavefront6targetE1EEEvT1_
                                        ; -- End function
	.section	.AMDGPU.csdata,"",@progbits
; Kernel info:
; codeLenInByte = 0
; NumSgprs: 4
; NumVgprs: 0
; NumAgprs: 0
; TotalNumVgprs: 0
; ScratchSize: 0
; MemoryBound: 0
; FloatMode: 240
; IeeeMode: 1
; LDSByteSize: 0 bytes/workgroup (compile time only)
; SGPRBlocks: 0
; VGPRBlocks: 0
; NumSGPRsForWavesPerEU: 4
; NumVGPRsForWavesPerEU: 1
; AccumOffset: 4
; Occupancy: 8
; WaveLimiterHint : 0
; COMPUTE_PGM_RSRC2:SCRATCH_EN: 0
; COMPUTE_PGM_RSRC2:USER_SGPR: 6
; COMPUTE_PGM_RSRC2:TRAP_HANDLER: 0
; COMPUTE_PGM_RSRC2:TGID_X_EN: 1
; COMPUTE_PGM_RSRC2:TGID_Y_EN: 0
; COMPUTE_PGM_RSRC2:TGID_Z_EN: 0
; COMPUTE_PGM_RSRC2:TIDIG_COMP_CNT: 0
; COMPUTE_PGM_RSRC3_GFX90A:ACCUM_OFFSET: 0
; COMPUTE_PGM_RSRC3_GFX90A:TG_SPLIT: 0
	.section	.text._ZN7rocprim17ROCPRIM_400000_NS6detail31init_lookback_scan_state_kernelINS1_19lookback_scan_stateIjLb0ELb1EEENS1_16block_id_wrapperIjLb1EEEEEvT_jT0_jPNS7_10value_typeE,"axG",@progbits,_ZN7rocprim17ROCPRIM_400000_NS6detail31init_lookback_scan_state_kernelINS1_19lookback_scan_stateIjLb0ELb1EEENS1_16block_id_wrapperIjLb1EEEEEvT_jT0_jPNS7_10value_typeE,comdat
	.protected	_ZN7rocprim17ROCPRIM_400000_NS6detail31init_lookback_scan_state_kernelINS1_19lookback_scan_stateIjLb0ELb1EEENS1_16block_id_wrapperIjLb1EEEEEvT_jT0_jPNS7_10value_typeE ; -- Begin function _ZN7rocprim17ROCPRIM_400000_NS6detail31init_lookback_scan_state_kernelINS1_19lookback_scan_stateIjLb0ELb1EEENS1_16block_id_wrapperIjLb1EEEEEvT_jT0_jPNS7_10value_typeE
	.globl	_ZN7rocprim17ROCPRIM_400000_NS6detail31init_lookback_scan_state_kernelINS1_19lookback_scan_stateIjLb0ELb1EEENS1_16block_id_wrapperIjLb1EEEEEvT_jT0_jPNS7_10value_typeE
	.p2align	8
	.type	_ZN7rocprim17ROCPRIM_400000_NS6detail31init_lookback_scan_state_kernelINS1_19lookback_scan_stateIjLb0ELb1EEENS1_16block_id_wrapperIjLb1EEEEEvT_jT0_jPNS7_10value_typeE,@function
_ZN7rocprim17ROCPRIM_400000_NS6detail31init_lookback_scan_state_kernelINS1_19lookback_scan_stateIjLb0ELb1EEENS1_16block_id_wrapperIjLb1EEEEEvT_jT0_jPNS7_10value_typeE: ; @_ZN7rocprim17ROCPRIM_400000_NS6detail31init_lookback_scan_state_kernelINS1_19lookback_scan_stateIjLb0ELb1EEENS1_16block_id_wrapperIjLb1EEEEEvT_jT0_jPNS7_10value_typeE
; %bb.0:
	s_load_dword s7, s[4:5], 0x34
	s_load_dwordx2 s[2:3], s[4:5], 0x20
	s_load_dwordx2 s[0:1], s[4:5], 0x0
	s_load_dword s10, s[4:5], 0x8
	s_waitcnt lgkmcnt(0)
	s_and_b32 s7, s7, 0xffff
	s_mul_i32 s6, s6, s7
	s_cmp_eq_u64 s[2:3], 0
	v_add_u32_e32 v0, s6, v0
	s_cbranch_scc1 .LBB2310_6
; %bb.1:
	s_load_dword s8, s[4:5], 0x18
	s_mov_b32 s9, 0
	s_waitcnt lgkmcnt(0)
	s_cmp_lt_u32 s8, s10
	s_cselect_b32 s6, s8, 0
	v_cmp_eq_u32_e32 vcc, s6, v0
	s_and_saveexec_b64 s[6:7], vcc
	s_cbranch_execz .LBB2310_5
; %bb.2:
	s_add_i32 s8, s8, 64
	s_lshl_b64 s[8:9], s[8:9], 3
	s_add_u32 s8, s0, s8
	s_addc_u32 s9, s1, s9
	v_mov_b32_e32 v4, 0
	global_load_dwordx2 v[2:3], v4, s[8:9] glc
	s_waitcnt vmcnt(0)
	v_and_b32_e32 v5, 0xff, v3
	v_cmp_ne_u64_e32 vcc, 0, v[4:5]
	s_cbranch_vccnz .LBB2310_4
.LBB2310_3:                             ; =>This Inner Loop Header: Depth=1
	global_load_dwordx2 v[2:3], v4, s[8:9] glc
	s_waitcnt vmcnt(0)
	v_and_b32_e32 v5, 0xff, v3
	v_cmp_eq_u64_e32 vcc, 0, v[4:5]
	s_cbranch_vccnz .LBB2310_3
.LBB2310_4:
	v_mov_b32_e32 v1, 0
	global_store_dword v1, v2, s[2:3]
.LBB2310_5:
	s_or_b64 exec, exec, s[6:7]
.LBB2310_6:
	v_cmp_eq_u32_e32 vcc, 0, v0
	s_and_saveexec_b64 s[2:3], vcc
	s_cbranch_execnz .LBB2310_10
; %bb.7:
	s_or_b64 exec, exec, s[2:3]
	v_cmp_gt_u32_e32 vcc, s10, v0
	s_and_saveexec_b64 s[2:3], vcc
	s_cbranch_execnz .LBB2310_11
.LBB2310_8:
	s_or_b64 exec, exec, s[2:3]
	v_cmp_gt_u32_e32 vcc, 64, v0
	s_and_saveexec_b64 s[2:3], vcc
	s_cbranch_execnz .LBB2310_12
.LBB2310_9:
	s_endpgm
.LBB2310_10:
	s_load_dwordx2 s[4:5], s[4:5], 0x10
	v_mov_b32_e32 v1, 0
	s_waitcnt lgkmcnt(0)
	global_store_dword v1, v1, s[4:5]
	s_or_b64 exec, exec, s[2:3]
	v_cmp_gt_u32_e32 vcc, s10, v0
	s_and_saveexec_b64 s[2:3], vcc
	s_cbranch_execz .LBB2310_8
.LBB2310_11:
	v_add_u32_e32 v2, 64, v0
	v_mov_b32_e32 v3, 0
	v_lshlrev_b64 v[4:5], 3, v[2:3]
	v_mov_b32_e32 v1, s1
	v_add_co_u32_e32 v4, vcc, s0, v4
	v_addc_co_u32_e32 v5, vcc, v1, v5, vcc
	v_mov_b32_e32 v2, v3
	global_store_dwordx2 v[4:5], v[2:3], off
	s_or_b64 exec, exec, s[2:3]
	v_cmp_gt_u32_e32 vcc, 64, v0
	s_and_saveexec_b64 s[2:3], vcc
	s_cbranch_execz .LBB2310_9
.LBB2310_12:
	v_mov_b32_e32 v1, 0
	v_lshlrev_b64 v[2:3], 3, v[0:1]
	v_mov_b32_e32 v0, s1
	v_add_co_u32_e32 v2, vcc, s0, v2
	v_addc_co_u32_e32 v3, vcc, v0, v3, vcc
	v_mov_b32_e32 v5, 0xff
	v_mov_b32_e32 v4, v1
	global_store_dwordx2 v[2:3], v[4:5], off
	s_endpgm
	.section	.rodata,"a",@progbits
	.p2align	6, 0x0
	.amdhsa_kernel _ZN7rocprim17ROCPRIM_400000_NS6detail31init_lookback_scan_state_kernelINS1_19lookback_scan_stateIjLb0ELb1EEENS1_16block_id_wrapperIjLb1EEEEEvT_jT0_jPNS7_10value_typeE
		.amdhsa_group_segment_fixed_size 0
		.amdhsa_private_segment_fixed_size 0
		.amdhsa_kernarg_size 296
		.amdhsa_user_sgpr_count 6
		.amdhsa_user_sgpr_private_segment_buffer 1
		.amdhsa_user_sgpr_dispatch_ptr 0
		.amdhsa_user_sgpr_queue_ptr 0
		.amdhsa_user_sgpr_kernarg_segment_ptr 1
		.amdhsa_user_sgpr_dispatch_id 0
		.amdhsa_user_sgpr_flat_scratch_init 0
		.amdhsa_user_sgpr_kernarg_preload_length 0
		.amdhsa_user_sgpr_kernarg_preload_offset 0
		.amdhsa_user_sgpr_private_segment_size 0
		.amdhsa_uses_dynamic_stack 0
		.amdhsa_system_sgpr_private_segment_wavefront_offset 0
		.amdhsa_system_sgpr_workgroup_id_x 1
		.amdhsa_system_sgpr_workgroup_id_y 0
		.amdhsa_system_sgpr_workgroup_id_z 0
		.amdhsa_system_sgpr_workgroup_info 0
		.amdhsa_system_vgpr_workitem_id 0
		.amdhsa_next_free_vgpr 6
		.amdhsa_next_free_sgpr 11
		.amdhsa_accum_offset 8
		.amdhsa_reserve_vcc 1
		.amdhsa_reserve_flat_scratch 0
		.amdhsa_float_round_mode_32 0
		.amdhsa_float_round_mode_16_64 0
		.amdhsa_float_denorm_mode_32 3
		.amdhsa_float_denorm_mode_16_64 3
		.amdhsa_dx10_clamp 1
		.amdhsa_ieee_mode 1
		.amdhsa_fp16_overflow 0
		.amdhsa_tg_split 0
		.amdhsa_exception_fp_ieee_invalid_op 0
		.amdhsa_exception_fp_denorm_src 0
		.amdhsa_exception_fp_ieee_div_zero 0
		.amdhsa_exception_fp_ieee_overflow 0
		.amdhsa_exception_fp_ieee_underflow 0
		.amdhsa_exception_fp_ieee_inexact 0
		.amdhsa_exception_int_div_zero 0
	.end_amdhsa_kernel
	.section	.text._ZN7rocprim17ROCPRIM_400000_NS6detail31init_lookback_scan_state_kernelINS1_19lookback_scan_stateIjLb0ELb1EEENS1_16block_id_wrapperIjLb1EEEEEvT_jT0_jPNS7_10value_typeE,"axG",@progbits,_ZN7rocprim17ROCPRIM_400000_NS6detail31init_lookback_scan_state_kernelINS1_19lookback_scan_stateIjLb0ELb1EEENS1_16block_id_wrapperIjLb1EEEEEvT_jT0_jPNS7_10value_typeE,comdat
.Lfunc_end2310:
	.size	_ZN7rocprim17ROCPRIM_400000_NS6detail31init_lookback_scan_state_kernelINS1_19lookback_scan_stateIjLb0ELb1EEENS1_16block_id_wrapperIjLb1EEEEEvT_jT0_jPNS7_10value_typeE, .Lfunc_end2310-_ZN7rocprim17ROCPRIM_400000_NS6detail31init_lookback_scan_state_kernelINS1_19lookback_scan_stateIjLb0ELb1EEENS1_16block_id_wrapperIjLb1EEEEEvT_jT0_jPNS7_10value_typeE
                                        ; -- End function
	.section	.AMDGPU.csdata,"",@progbits
; Kernel info:
; codeLenInByte = 380
; NumSgprs: 15
; NumVgprs: 6
; NumAgprs: 0
; TotalNumVgprs: 6
; ScratchSize: 0
; MemoryBound: 0
; FloatMode: 240
; IeeeMode: 1
; LDSByteSize: 0 bytes/workgroup (compile time only)
; SGPRBlocks: 1
; VGPRBlocks: 0
; NumSGPRsForWavesPerEU: 15
; NumVGPRsForWavesPerEU: 6
; AccumOffset: 8
; Occupancy: 8
; WaveLimiterHint : 0
; COMPUTE_PGM_RSRC2:SCRATCH_EN: 0
; COMPUTE_PGM_RSRC2:USER_SGPR: 6
; COMPUTE_PGM_RSRC2:TRAP_HANDLER: 0
; COMPUTE_PGM_RSRC2:TGID_X_EN: 1
; COMPUTE_PGM_RSRC2:TGID_Y_EN: 0
; COMPUTE_PGM_RSRC2:TGID_Z_EN: 0
; COMPUTE_PGM_RSRC2:TIDIG_COMP_CNT: 0
; COMPUTE_PGM_RSRC3_GFX90A:ACCUM_OFFSET: 1
; COMPUTE_PGM_RSRC3_GFX90A:TG_SPLIT: 0
	.section	.text._ZN7rocprim17ROCPRIM_400000_NS6detail17trampoline_kernelINS0_14default_configENS1_20scan_config_selectorIjEEZZNS1_9scan_implILNS1_25lookback_scan_determinismE0ELb0ELb0ES3_N6thrust23THRUST_200600_302600_NS6detail15normal_iteratorINS9_10device_ptrIjEEEESE_j11max_functorIjEjEEDaPvRmT3_T4_T5_mT6_P12ihipStream_tbENKUlT_T0_E_clISt17integral_constantIbLb0EEST_IbLb1EEEEDaSP_SQ_EUlSP_E_NS1_11comp_targetILNS1_3genE0ELNS1_11target_archE4294967295ELNS1_3gpuE0ELNS1_3repE0EEENS1_30default_config_static_selectorELNS0_4arch9wavefront6targetE1EEEvT1_,"axG",@progbits,_ZN7rocprim17ROCPRIM_400000_NS6detail17trampoline_kernelINS0_14default_configENS1_20scan_config_selectorIjEEZZNS1_9scan_implILNS1_25lookback_scan_determinismE0ELb0ELb0ES3_N6thrust23THRUST_200600_302600_NS6detail15normal_iteratorINS9_10device_ptrIjEEEESE_j11max_functorIjEjEEDaPvRmT3_T4_T5_mT6_P12ihipStream_tbENKUlT_T0_E_clISt17integral_constantIbLb0EEST_IbLb1EEEEDaSP_SQ_EUlSP_E_NS1_11comp_targetILNS1_3genE0ELNS1_11target_archE4294967295ELNS1_3gpuE0ELNS1_3repE0EEENS1_30default_config_static_selectorELNS0_4arch9wavefront6targetE1EEEvT1_,comdat
	.protected	_ZN7rocprim17ROCPRIM_400000_NS6detail17trampoline_kernelINS0_14default_configENS1_20scan_config_selectorIjEEZZNS1_9scan_implILNS1_25lookback_scan_determinismE0ELb0ELb0ES3_N6thrust23THRUST_200600_302600_NS6detail15normal_iteratorINS9_10device_ptrIjEEEESE_j11max_functorIjEjEEDaPvRmT3_T4_T5_mT6_P12ihipStream_tbENKUlT_T0_E_clISt17integral_constantIbLb0EEST_IbLb1EEEEDaSP_SQ_EUlSP_E_NS1_11comp_targetILNS1_3genE0ELNS1_11target_archE4294967295ELNS1_3gpuE0ELNS1_3repE0EEENS1_30default_config_static_selectorELNS0_4arch9wavefront6targetE1EEEvT1_ ; -- Begin function _ZN7rocprim17ROCPRIM_400000_NS6detail17trampoline_kernelINS0_14default_configENS1_20scan_config_selectorIjEEZZNS1_9scan_implILNS1_25lookback_scan_determinismE0ELb0ELb0ES3_N6thrust23THRUST_200600_302600_NS6detail15normal_iteratorINS9_10device_ptrIjEEEESE_j11max_functorIjEjEEDaPvRmT3_T4_T5_mT6_P12ihipStream_tbENKUlT_T0_E_clISt17integral_constantIbLb0EEST_IbLb1EEEEDaSP_SQ_EUlSP_E_NS1_11comp_targetILNS1_3genE0ELNS1_11target_archE4294967295ELNS1_3gpuE0ELNS1_3repE0EEENS1_30default_config_static_selectorELNS0_4arch9wavefront6targetE1EEEvT1_
	.globl	_ZN7rocprim17ROCPRIM_400000_NS6detail17trampoline_kernelINS0_14default_configENS1_20scan_config_selectorIjEEZZNS1_9scan_implILNS1_25lookback_scan_determinismE0ELb0ELb0ES3_N6thrust23THRUST_200600_302600_NS6detail15normal_iteratorINS9_10device_ptrIjEEEESE_j11max_functorIjEjEEDaPvRmT3_T4_T5_mT6_P12ihipStream_tbENKUlT_T0_E_clISt17integral_constantIbLb0EEST_IbLb1EEEEDaSP_SQ_EUlSP_E_NS1_11comp_targetILNS1_3genE0ELNS1_11target_archE4294967295ELNS1_3gpuE0ELNS1_3repE0EEENS1_30default_config_static_selectorELNS0_4arch9wavefront6targetE1EEEvT1_
	.p2align	8
	.type	_ZN7rocprim17ROCPRIM_400000_NS6detail17trampoline_kernelINS0_14default_configENS1_20scan_config_selectorIjEEZZNS1_9scan_implILNS1_25lookback_scan_determinismE0ELb0ELb0ES3_N6thrust23THRUST_200600_302600_NS6detail15normal_iteratorINS9_10device_ptrIjEEEESE_j11max_functorIjEjEEDaPvRmT3_T4_T5_mT6_P12ihipStream_tbENKUlT_T0_E_clISt17integral_constantIbLb0EEST_IbLb1EEEEDaSP_SQ_EUlSP_E_NS1_11comp_targetILNS1_3genE0ELNS1_11target_archE4294967295ELNS1_3gpuE0ELNS1_3repE0EEENS1_30default_config_static_selectorELNS0_4arch9wavefront6targetE1EEEvT1_,@function
_ZN7rocprim17ROCPRIM_400000_NS6detail17trampoline_kernelINS0_14default_configENS1_20scan_config_selectorIjEEZZNS1_9scan_implILNS1_25lookback_scan_determinismE0ELb0ELb0ES3_N6thrust23THRUST_200600_302600_NS6detail15normal_iteratorINS9_10device_ptrIjEEEESE_j11max_functorIjEjEEDaPvRmT3_T4_T5_mT6_P12ihipStream_tbENKUlT_T0_E_clISt17integral_constantIbLb0EEST_IbLb1EEEEDaSP_SQ_EUlSP_E_NS1_11comp_targetILNS1_3genE0ELNS1_11target_archE4294967295ELNS1_3gpuE0ELNS1_3repE0EEENS1_30default_config_static_selectorELNS0_4arch9wavefront6targetE1EEEvT1_: ; @_ZN7rocprim17ROCPRIM_400000_NS6detail17trampoline_kernelINS0_14default_configENS1_20scan_config_selectorIjEEZZNS1_9scan_implILNS1_25lookback_scan_determinismE0ELb0ELb0ES3_N6thrust23THRUST_200600_302600_NS6detail15normal_iteratorINS9_10device_ptrIjEEEESE_j11max_functorIjEjEEDaPvRmT3_T4_T5_mT6_P12ihipStream_tbENKUlT_T0_E_clISt17integral_constantIbLb0EEST_IbLb1EEEEDaSP_SQ_EUlSP_E_NS1_11comp_targetILNS1_3genE0ELNS1_11target_archE4294967295ELNS1_3gpuE0ELNS1_3repE0EEENS1_30default_config_static_selectorELNS0_4arch9wavefront6targetE1EEEvT1_
; %bb.0:
	.section	.rodata,"a",@progbits
	.p2align	6, 0x0
	.amdhsa_kernel _ZN7rocprim17ROCPRIM_400000_NS6detail17trampoline_kernelINS0_14default_configENS1_20scan_config_selectorIjEEZZNS1_9scan_implILNS1_25lookback_scan_determinismE0ELb0ELb0ES3_N6thrust23THRUST_200600_302600_NS6detail15normal_iteratorINS9_10device_ptrIjEEEESE_j11max_functorIjEjEEDaPvRmT3_T4_T5_mT6_P12ihipStream_tbENKUlT_T0_E_clISt17integral_constantIbLb0EEST_IbLb1EEEEDaSP_SQ_EUlSP_E_NS1_11comp_targetILNS1_3genE0ELNS1_11target_archE4294967295ELNS1_3gpuE0ELNS1_3repE0EEENS1_30default_config_static_selectorELNS0_4arch9wavefront6targetE1EEEvT1_
		.amdhsa_group_segment_fixed_size 0
		.amdhsa_private_segment_fixed_size 0
		.amdhsa_kernarg_size 96
		.amdhsa_user_sgpr_count 6
		.amdhsa_user_sgpr_private_segment_buffer 1
		.amdhsa_user_sgpr_dispatch_ptr 0
		.amdhsa_user_sgpr_queue_ptr 0
		.amdhsa_user_sgpr_kernarg_segment_ptr 1
		.amdhsa_user_sgpr_dispatch_id 0
		.amdhsa_user_sgpr_flat_scratch_init 0
		.amdhsa_user_sgpr_kernarg_preload_length 0
		.amdhsa_user_sgpr_kernarg_preload_offset 0
		.amdhsa_user_sgpr_private_segment_size 0
		.amdhsa_uses_dynamic_stack 0
		.amdhsa_system_sgpr_private_segment_wavefront_offset 0
		.amdhsa_system_sgpr_workgroup_id_x 1
		.amdhsa_system_sgpr_workgroup_id_y 0
		.amdhsa_system_sgpr_workgroup_id_z 0
		.amdhsa_system_sgpr_workgroup_info 0
		.amdhsa_system_vgpr_workitem_id 0
		.amdhsa_next_free_vgpr 1
		.amdhsa_next_free_sgpr 0
		.amdhsa_accum_offset 4
		.amdhsa_reserve_vcc 0
		.amdhsa_reserve_flat_scratch 0
		.amdhsa_float_round_mode_32 0
		.amdhsa_float_round_mode_16_64 0
		.amdhsa_float_denorm_mode_32 3
		.amdhsa_float_denorm_mode_16_64 3
		.amdhsa_dx10_clamp 1
		.amdhsa_ieee_mode 1
		.amdhsa_fp16_overflow 0
		.amdhsa_tg_split 0
		.amdhsa_exception_fp_ieee_invalid_op 0
		.amdhsa_exception_fp_denorm_src 0
		.amdhsa_exception_fp_ieee_div_zero 0
		.amdhsa_exception_fp_ieee_overflow 0
		.amdhsa_exception_fp_ieee_underflow 0
		.amdhsa_exception_fp_ieee_inexact 0
		.amdhsa_exception_int_div_zero 0
	.end_amdhsa_kernel
	.section	.text._ZN7rocprim17ROCPRIM_400000_NS6detail17trampoline_kernelINS0_14default_configENS1_20scan_config_selectorIjEEZZNS1_9scan_implILNS1_25lookback_scan_determinismE0ELb0ELb0ES3_N6thrust23THRUST_200600_302600_NS6detail15normal_iteratorINS9_10device_ptrIjEEEESE_j11max_functorIjEjEEDaPvRmT3_T4_T5_mT6_P12ihipStream_tbENKUlT_T0_E_clISt17integral_constantIbLb0EEST_IbLb1EEEEDaSP_SQ_EUlSP_E_NS1_11comp_targetILNS1_3genE0ELNS1_11target_archE4294967295ELNS1_3gpuE0ELNS1_3repE0EEENS1_30default_config_static_selectorELNS0_4arch9wavefront6targetE1EEEvT1_,"axG",@progbits,_ZN7rocprim17ROCPRIM_400000_NS6detail17trampoline_kernelINS0_14default_configENS1_20scan_config_selectorIjEEZZNS1_9scan_implILNS1_25lookback_scan_determinismE0ELb0ELb0ES3_N6thrust23THRUST_200600_302600_NS6detail15normal_iteratorINS9_10device_ptrIjEEEESE_j11max_functorIjEjEEDaPvRmT3_T4_T5_mT6_P12ihipStream_tbENKUlT_T0_E_clISt17integral_constantIbLb0EEST_IbLb1EEEEDaSP_SQ_EUlSP_E_NS1_11comp_targetILNS1_3genE0ELNS1_11target_archE4294967295ELNS1_3gpuE0ELNS1_3repE0EEENS1_30default_config_static_selectorELNS0_4arch9wavefront6targetE1EEEvT1_,comdat
.Lfunc_end2311:
	.size	_ZN7rocprim17ROCPRIM_400000_NS6detail17trampoline_kernelINS0_14default_configENS1_20scan_config_selectorIjEEZZNS1_9scan_implILNS1_25lookback_scan_determinismE0ELb0ELb0ES3_N6thrust23THRUST_200600_302600_NS6detail15normal_iteratorINS9_10device_ptrIjEEEESE_j11max_functorIjEjEEDaPvRmT3_T4_T5_mT6_P12ihipStream_tbENKUlT_T0_E_clISt17integral_constantIbLb0EEST_IbLb1EEEEDaSP_SQ_EUlSP_E_NS1_11comp_targetILNS1_3genE0ELNS1_11target_archE4294967295ELNS1_3gpuE0ELNS1_3repE0EEENS1_30default_config_static_selectorELNS0_4arch9wavefront6targetE1EEEvT1_, .Lfunc_end2311-_ZN7rocprim17ROCPRIM_400000_NS6detail17trampoline_kernelINS0_14default_configENS1_20scan_config_selectorIjEEZZNS1_9scan_implILNS1_25lookback_scan_determinismE0ELb0ELb0ES3_N6thrust23THRUST_200600_302600_NS6detail15normal_iteratorINS9_10device_ptrIjEEEESE_j11max_functorIjEjEEDaPvRmT3_T4_T5_mT6_P12ihipStream_tbENKUlT_T0_E_clISt17integral_constantIbLb0EEST_IbLb1EEEEDaSP_SQ_EUlSP_E_NS1_11comp_targetILNS1_3genE0ELNS1_11target_archE4294967295ELNS1_3gpuE0ELNS1_3repE0EEENS1_30default_config_static_selectorELNS0_4arch9wavefront6targetE1EEEvT1_
                                        ; -- End function
	.section	.AMDGPU.csdata,"",@progbits
; Kernel info:
; codeLenInByte = 0
; NumSgprs: 4
; NumVgprs: 0
; NumAgprs: 0
; TotalNumVgprs: 0
; ScratchSize: 0
; MemoryBound: 0
; FloatMode: 240
; IeeeMode: 1
; LDSByteSize: 0 bytes/workgroup (compile time only)
; SGPRBlocks: 0
; VGPRBlocks: 0
; NumSGPRsForWavesPerEU: 4
; NumVGPRsForWavesPerEU: 1
; AccumOffset: 4
; Occupancy: 8
; WaveLimiterHint : 0
; COMPUTE_PGM_RSRC2:SCRATCH_EN: 0
; COMPUTE_PGM_RSRC2:USER_SGPR: 6
; COMPUTE_PGM_RSRC2:TRAP_HANDLER: 0
; COMPUTE_PGM_RSRC2:TGID_X_EN: 1
; COMPUTE_PGM_RSRC2:TGID_Y_EN: 0
; COMPUTE_PGM_RSRC2:TGID_Z_EN: 0
; COMPUTE_PGM_RSRC2:TIDIG_COMP_CNT: 0
; COMPUTE_PGM_RSRC3_GFX90A:ACCUM_OFFSET: 0
; COMPUTE_PGM_RSRC3_GFX90A:TG_SPLIT: 0
	.section	.text._ZN7rocprim17ROCPRIM_400000_NS6detail17trampoline_kernelINS0_14default_configENS1_20scan_config_selectorIjEEZZNS1_9scan_implILNS1_25lookback_scan_determinismE0ELb0ELb0ES3_N6thrust23THRUST_200600_302600_NS6detail15normal_iteratorINS9_10device_ptrIjEEEESE_j11max_functorIjEjEEDaPvRmT3_T4_T5_mT6_P12ihipStream_tbENKUlT_T0_E_clISt17integral_constantIbLb0EEST_IbLb1EEEEDaSP_SQ_EUlSP_E_NS1_11comp_targetILNS1_3genE5ELNS1_11target_archE942ELNS1_3gpuE9ELNS1_3repE0EEENS1_30default_config_static_selectorELNS0_4arch9wavefront6targetE1EEEvT1_,"axG",@progbits,_ZN7rocprim17ROCPRIM_400000_NS6detail17trampoline_kernelINS0_14default_configENS1_20scan_config_selectorIjEEZZNS1_9scan_implILNS1_25lookback_scan_determinismE0ELb0ELb0ES3_N6thrust23THRUST_200600_302600_NS6detail15normal_iteratorINS9_10device_ptrIjEEEESE_j11max_functorIjEjEEDaPvRmT3_T4_T5_mT6_P12ihipStream_tbENKUlT_T0_E_clISt17integral_constantIbLb0EEST_IbLb1EEEEDaSP_SQ_EUlSP_E_NS1_11comp_targetILNS1_3genE5ELNS1_11target_archE942ELNS1_3gpuE9ELNS1_3repE0EEENS1_30default_config_static_selectorELNS0_4arch9wavefront6targetE1EEEvT1_,comdat
	.protected	_ZN7rocprim17ROCPRIM_400000_NS6detail17trampoline_kernelINS0_14default_configENS1_20scan_config_selectorIjEEZZNS1_9scan_implILNS1_25lookback_scan_determinismE0ELb0ELb0ES3_N6thrust23THRUST_200600_302600_NS6detail15normal_iteratorINS9_10device_ptrIjEEEESE_j11max_functorIjEjEEDaPvRmT3_T4_T5_mT6_P12ihipStream_tbENKUlT_T0_E_clISt17integral_constantIbLb0EEST_IbLb1EEEEDaSP_SQ_EUlSP_E_NS1_11comp_targetILNS1_3genE5ELNS1_11target_archE942ELNS1_3gpuE9ELNS1_3repE0EEENS1_30default_config_static_selectorELNS0_4arch9wavefront6targetE1EEEvT1_ ; -- Begin function _ZN7rocprim17ROCPRIM_400000_NS6detail17trampoline_kernelINS0_14default_configENS1_20scan_config_selectorIjEEZZNS1_9scan_implILNS1_25lookback_scan_determinismE0ELb0ELb0ES3_N6thrust23THRUST_200600_302600_NS6detail15normal_iteratorINS9_10device_ptrIjEEEESE_j11max_functorIjEjEEDaPvRmT3_T4_T5_mT6_P12ihipStream_tbENKUlT_T0_E_clISt17integral_constantIbLb0EEST_IbLb1EEEEDaSP_SQ_EUlSP_E_NS1_11comp_targetILNS1_3genE5ELNS1_11target_archE942ELNS1_3gpuE9ELNS1_3repE0EEENS1_30default_config_static_selectorELNS0_4arch9wavefront6targetE1EEEvT1_
	.globl	_ZN7rocprim17ROCPRIM_400000_NS6detail17trampoline_kernelINS0_14default_configENS1_20scan_config_selectorIjEEZZNS1_9scan_implILNS1_25lookback_scan_determinismE0ELb0ELb0ES3_N6thrust23THRUST_200600_302600_NS6detail15normal_iteratorINS9_10device_ptrIjEEEESE_j11max_functorIjEjEEDaPvRmT3_T4_T5_mT6_P12ihipStream_tbENKUlT_T0_E_clISt17integral_constantIbLb0EEST_IbLb1EEEEDaSP_SQ_EUlSP_E_NS1_11comp_targetILNS1_3genE5ELNS1_11target_archE942ELNS1_3gpuE9ELNS1_3repE0EEENS1_30default_config_static_selectorELNS0_4arch9wavefront6targetE1EEEvT1_
	.p2align	8
	.type	_ZN7rocprim17ROCPRIM_400000_NS6detail17trampoline_kernelINS0_14default_configENS1_20scan_config_selectorIjEEZZNS1_9scan_implILNS1_25lookback_scan_determinismE0ELb0ELb0ES3_N6thrust23THRUST_200600_302600_NS6detail15normal_iteratorINS9_10device_ptrIjEEEESE_j11max_functorIjEjEEDaPvRmT3_T4_T5_mT6_P12ihipStream_tbENKUlT_T0_E_clISt17integral_constantIbLb0EEST_IbLb1EEEEDaSP_SQ_EUlSP_E_NS1_11comp_targetILNS1_3genE5ELNS1_11target_archE942ELNS1_3gpuE9ELNS1_3repE0EEENS1_30default_config_static_selectorELNS0_4arch9wavefront6targetE1EEEvT1_,@function
_ZN7rocprim17ROCPRIM_400000_NS6detail17trampoline_kernelINS0_14default_configENS1_20scan_config_selectorIjEEZZNS1_9scan_implILNS1_25lookback_scan_determinismE0ELb0ELb0ES3_N6thrust23THRUST_200600_302600_NS6detail15normal_iteratorINS9_10device_ptrIjEEEESE_j11max_functorIjEjEEDaPvRmT3_T4_T5_mT6_P12ihipStream_tbENKUlT_T0_E_clISt17integral_constantIbLb0EEST_IbLb1EEEEDaSP_SQ_EUlSP_E_NS1_11comp_targetILNS1_3genE5ELNS1_11target_archE942ELNS1_3gpuE9ELNS1_3repE0EEENS1_30default_config_static_selectorELNS0_4arch9wavefront6targetE1EEEvT1_: ; @_ZN7rocprim17ROCPRIM_400000_NS6detail17trampoline_kernelINS0_14default_configENS1_20scan_config_selectorIjEEZZNS1_9scan_implILNS1_25lookback_scan_determinismE0ELb0ELb0ES3_N6thrust23THRUST_200600_302600_NS6detail15normal_iteratorINS9_10device_ptrIjEEEESE_j11max_functorIjEjEEDaPvRmT3_T4_T5_mT6_P12ihipStream_tbENKUlT_T0_E_clISt17integral_constantIbLb0EEST_IbLb1EEEEDaSP_SQ_EUlSP_E_NS1_11comp_targetILNS1_3genE5ELNS1_11target_archE942ELNS1_3gpuE9ELNS1_3repE0EEENS1_30default_config_static_selectorELNS0_4arch9wavefront6targetE1EEEvT1_
; %bb.0:
	.section	.rodata,"a",@progbits
	.p2align	6, 0x0
	.amdhsa_kernel _ZN7rocprim17ROCPRIM_400000_NS6detail17trampoline_kernelINS0_14default_configENS1_20scan_config_selectorIjEEZZNS1_9scan_implILNS1_25lookback_scan_determinismE0ELb0ELb0ES3_N6thrust23THRUST_200600_302600_NS6detail15normal_iteratorINS9_10device_ptrIjEEEESE_j11max_functorIjEjEEDaPvRmT3_T4_T5_mT6_P12ihipStream_tbENKUlT_T0_E_clISt17integral_constantIbLb0EEST_IbLb1EEEEDaSP_SQ_EUlSP_E_NS1_11comp_targetILNS1_3genE5ELNS1_11target_archE942ELNS1_3gpuE9ELNS1_3repE0EEENS1_30default_config_static_selectorELNS0_4arch9wavefront6targetE1EEEvT1_
		.amdhsa_group_segment_fixed_size 0
		.amdhsa_private_segment_fixed_size 0
		.amdhsa_kernarg_size 96
		.amdhsa_user_sgpr_count 6
		.amdhsa_user_sgpr_private_segment_buffer 1
		.amdhsa_user_sgpr_dispatch_ptr 0
		.amdhsa_user_sgpr_queue_ptr 0
		.amdhsa_user_sgpr_kernarg_segment_ptr 1
		.amdhsa_user_sgpr_dispatch_id 0
		.amdhsa_user_sgpr_flat_scratch_init 0
		.amdhsa_user_sgpr_kernarg_preload_length 0
		.amdhsa_user_sgpr_kernarg_preload_offset 0
		.amdhsa_user_sgpr_private_segment_size 0
		.amdhsa_uses_dynamic_stack 0
		.amdhsa_system_sgpr_private_segment_wavefront_offset 0
		.amdhsa_system_sgpr_workgroup_id_x 1
		.amdhsa_system_sgpr_workgroup_id_y 0
		.amdhsa_system_sgpr_workgroup_id_z 0
		.amdhsa_system_sgpr_workgroup_info 0
		.amdhsa_system_vgpr_workitem_id 0
		.amdhsa_next_free_vgpr 1
		.amdhsa_next_free_sgpr 0
		.amdhsa_accum_offset 4
		.amdhsa_reserve_vcc 0
		.amdhsa_reserve_flat_scratch 0
		.amdhsa_float_round_mode_32 0
		.amdhsa_float_round_mode_16_64 0
		.amdhsa_float_denorm_mode_32 3
		.amdhsa_float_denorm_mode_16_64 3
		.amdhsa_dx10_clamp 1
		.amdhsa_ieee_mode 1
		.amdhsa_fp16_overflow 0
		.amdhsa_tg_split 0
		.amdhsa_exception_fp_ieee_invalid_op 0
		.amdhsa_exception_fp_denorm_src 0
		.amdhsa_exception_fp_ieee_div_zero 0
		.amdhsa_exception_fp_ieee_overflow 0
		.amdhsa_exception_fp_ieee_underflow 0
		.amdhsa_exception_fp_ieee_inexact 0
		.amdhsa_exception_int_div_zero 0
	.end_amdhsa_kernel
	.section	.text._ZN7rocprim17ROCPRIM_400000_NS6detail17trampoline_kernelINS0_14default_configENS1_20scan_config_selectorIjEEZZNS1_9scan_implILNS1_25lookback_scan_determinismE0ELb0ELb0ES3_N6thrust23THRUST_200600_302600_NS6detail15normal_iteratorINS9_10device_ptrIjEEEESE_j11max_functorIjEjEEDaPvRmT3_T4_T5_mT6_P12ihipStream_tbENKUlT_T0_E_clISt17integral_constantIbLb0EEST_IbLb1EEEEDaSP_SQ_EUlSP_E_NS1_11comp_targetILNS1_3genE5ELNS1_11target_archE942ELNS1_3gpuE9ELNS1_3repE0EEENS1_30default_config_static_selectorELNS0_4arch9wavefront6targetE1EEEvT1_,"axG",@progbits,_ZN7rocprim17ROCPRIM_400000_NS6detail17trampoline_kernelINS0_14default_configENS1_20scan_config_selectorIjEEZZNS1_9scan_implILNS1_25lookback_scan_determinismE0ELb0ELb0ES3_N6thrust23THRUST_200600_302600_NS6detail15normal_iteratorINS9_10device_ptrIjEEEESE_j11max_functorIjEjEEDaPvRmT3_T4_T5_mT6_P12ihipStream_tbENKUlT_T0_E_clISt17integral_constantIbLb0EEST_IbLb1EEEEDaSP_SQ_EUlSP_E_NS1_11comp_targetILNS1_3genE5ELNS1_11target_archE942ELNS1_3gpuE9ELNS1_3repE0EEENS1_30default_config_static_selectorELNS0_4arch9wavefront6targetE1EEEvT1_,comdat
.Lfunc_end2312:
	.size	_ZN7rocprim17ROCPRIM_400000_NS6detail17trampoline_kernelINS0_14default_configENS1_20scan_config_selectorIjEEZZNS1_9scan_implILNS1_25lookback_scan_determinismE0ELb0ELb0ES3_N6thrust23THRUST_200600_302600_NS6detail15normal_iteratorINS9_10device_ptrIjEEEESE_j11max_functorIjEjEEDaPvRmT3_T4_T5_mT6_P12ihipStream_tbENKUlT_T0_E_clISt17integral_constantIbLb0EEST_IbLb1EEEEDaSP_SQ_EUlSP_E_NS1_11comp_targetILNS1_3genE5ELNS1_11target_archE942ELNS1_3gpuE9ELNS1_3repE0EEENS1_30default_config_static_selectorELNS0_4arch9wavefront6targetE1EEEvT1_, .Lfunc_end2312-_ZN7rocprim17ROCPRIM_400000_NS6detail17trampoline_kernelINS0_14default_configENS1_20scan_config_selectorIjEEZZNS1_9scan_implILNS1_25lookback_scan_determinismE0ELb0ELb0ES3_N6thrust23THRUST_200600_302600_NS6detail15normal_iteratorINS9_10device_ptrIjEEEESE_j11max_functorIjEjEEDaPvRmT3_T4_T5_mT6_P12ihipStream_tbENKUlT_T0_E_clISt17integral_constantIbLb0EEST_IbLb1EEEEDaSP_SQ_EUlSP_E_NS1_11comp_targetILNS1_3genE5ELNS1_11target_archE942ELNS1_3gpuE9ELNS1_3repE0EEENS1_30default_config_static_selectorELNS0_4arch9wavefront6targetE1EEEvT1_
                                        ; -- End function
	.section	.AMDGPU.csdata,"",@progbits
; Kernel info:
; codeLenInByte = 0
; NumSgprs: 4
; NumVgprs: 0
; NumAgprs: 0
; TotalNumVgprs: 0
; ScratchSize: 0
; MemoryBound: 0
; FloatMode: 240
; IeeeMode: 1
; LDSByteSize: 0 bytes/workgroup (compile time only)
; SGPRBlocks: 0
; VGPRBlocks: 0
; NumSGPRsForWavesPerEU: 4
; NumVGPRsForWavesPerEU: 1
; AccumOffset: 4
; Occupancy: 8
; WaveLimiterHint : 0
; COMPUTE_PGM_RSRC2:SCRATCH_EN: 0
; COMPUTE_PGM_RSRC2:USER_SGPR: 6
; COMPUTE_PGM_RSRC2:TRAP_HANDLER: 0
; COMPUTE_PGM_RSRC2:TGID_X_EN: 1
; COMPUTE_PGM_RSRC2:TGID_Y_EN: 0
; COMPUTE_PGM_RSRC2:TGID_Z_EN: 0
; COMPUTE_PGM_RSRC2:TIDIG_COMP_CNT: 0
; COMPUTE_PGM_RSRC3_GFX90A:ACCUM_OFFSET: 0
; COMPUTE_PGM_RSRC3_GFX90A:TG_SPLIT: 0
	.section	.text._ZN7rocprim17ROCPRIM_400000_NS6detail17trampoline_kernelINS0_14default_configENS1_20scan_config_selectorIjEEZZNS1_9scan_implILNS1_25lookback_scan_determinismE0ELb0ELb0ES3_N6thrust23THRUST_200600_302600_NS6detail15normal_iteratorINS9_10device_ptrIjEEEESE_j11max_functorIjEjEEDaPvRmT3_T4_T5_mT6_P12ihipStream_tbENKUlT_T0_E_clISt17integral_constantIbLb0EEST_IbLb1EEEEDaSP_SQ_EUlSP_E_NS1_11comp_targetILNS1_3genE4ELNS1_11target_archE910ELNS1_3gpuE8ELNS1_3repE0EEENS1_30default_config_static_selectorELNS0_4arch9wavefront6targetE1EEEvT1_,"axG",@progbits,_ZN7rocprim17ROCPRIM_400000_NS6detail17trampoline_kernelINS0_14default_configENS1_20scan_config_selectorIjEEZZNS1_9scan_implILNS1_25lookback_scan_determinismE0ELb0ELb0ES3_N6thrust23THRUST_200600_302600_NS6detail15normal_iteratorINS9_10device_ptrIjEEEESE_j11max_functorIjEjEEDaPvRmT3_T4_T5_mT6_P12ihipStream_tbENKUlT_T0_E_clISt17integral_constantIbLb0EEST_IbLb1EEEEDaSP_SQ_EUlSP_E_NS1_11comp_targetILNS1_3genE4ELNS1_11target_archE910ELNS1_3gpuE8ELNS1_3repE0EEENS1_30default_config_static_selectorELNS0_4arch9wavefront6targetE1EEEvT1_,comdat
	.protected	_ZN7rocprim17ROCPRIM_400000_NS6detail17trampoline_kernelINS0_14default_configENS1_20scan_config_selectorIjEEZZNS1_9scan_implILNS1_25lookback_scan_determinismE0ELb0ELb0ES3_N6thrust23THRUST_200600_302600_NS6detail15normal_iteratorINS9_10device_ptrIjEEEESE_j11max_functorIjEjEEDaPvRmT3_T4_T5_mT6_P12ihipStream_tbENKUlT_T0_E_clISt17integral_constantIbLb0EEST_IbLb1EEEEDaSP_SQ_EUlSP_E_NS1_11comp_targetILNS1_3genE4ELNS1_11target_archE910ELNS1_3gpuE8ELNS1_3repE0EEENS1_30default_config_static_selectorELNS0_4arch9wavefront6targetE1EEEvT1_ ; -- Begin function _ZN7rocprim17ROCPRIM_400000_NS6detail17trampoline_kernelINS0_14default_configENS1_20scan_config_selectorIjEEZZNS1_9scan_implILNS1_25lookback_scan_determinismE0ELb0ELb0ES3_N6thrust23THRUST_200600_302600_NS6detail15normal_iteratorINS9_10device_ptrIjEEEESE_j11max_functorIjEjEEDaPvRmT3_T4_T5_mT6_P12ihipStream_tbENKUlT_T0_E_clISt17integral_constantIbLb0EEST_IbLb1EEEEDaSP_SQ_EUlSP_E_NS1_11comp_targetILNS1_3genE4ELNS1_11target_archE910ELNS1_3gpuE8ELNS1_3repE0EEENS1_30default_config_static_selectorELNS0_4arch9wavefront6targetE1EEEvT1_
	.globl	_ZN7rocprim17ROCPRIM_400000_NS6detail17trampoline_kernelINS0_14default_configENS1_20scan_config_selectorIjEEZZNS1_9scan_implILNS1_25lookback_scan_determinismE0ELb0ELb0ES3_N6thrust23THRUST_200600_302600_NS6detail15normal_iteratorINS9_10device_ptrIjEEEESE_j11max_functorIjEjEEDaPvRmT3_T4_T5_mT6_P12ihipStream_tbENKUlT_T0_E_clISt17integral_constantIbLb0EEST_IbLb1EEEEDaSP_SQ_EUlSP_E_NS1_11comp_targetILNS1_3genE4ELNS1_11target_archE910ELNS1_3gpuE8ELNS1_3repE0EEENS1_30default_config_static_selectorELNS0_4arch9wavefront6targetE1EEEvT1_
	.p2align	8
	.type	_ZN7rocprim17ROCPRIM_400000_NS6detail17trampoline_kernelINS0_14default_configENS1_20scan_config_selectorIjEEZZNS1_9scan_implILNS1_25lookback_scan_determinismE0ELb0ELb0ES3_N6thrust23THRUST_200600_302600_NS6detail15normal_iteratorINS9_10device_ptrIjEEEESE_j11max_functorIjEjEEDaPvRmT3_T4_T5_mT6_P12ihipStream_tbENKUlT_T0_E_clISt17integral_constantIbLb0EEST_IbLb1EEEEDaSP_SQ_EUlSP_E_NS1_11comp_targetILNS1_3genE4ELNS1_11target_archE910ELNS1_3gpuE8ELNS1_3repE0EEENS1_30default_config_static_selectorELNS0_4arch9wavefront6targetE1EEEvT1_,@function
_ZN7rocprim17ROCPRIM_400000_NS6detail17trampoline_kernelINS0_14default_configENS1_20scan_config_selectorIjEEZZNS1_9scan_implILNS1_25lookback_scan_determinismE0ELb0ELb0ES3_N6thrust23THRUST_200600_302600_NS6detail15normal_iteratorINS9_10device_ptrIjEEEESE_j11max_functorIjEjEEDaPvRmT3_T4_T5_mT6_P12ihipStream_tbENKUlT_T0_E_clISt17integral_constantIbLb0EEST_IbLb1EEEEDaSP_SQ_EUlSP_E_NS1_11comp_targetILNS1_3genE4ELNS1_11target_archE910ELNS1_3gpuE8ELNS1_3repE0EEENS1_30default_config_static_selectorELNS0_4arch9wavefront6targetE1EEEvT1_: ; @_ZN7rocprim17ROCPRIM_400000_NS6detail17trampoline_kernelINS0_14default_configENS1_20scan_config_selectorIjEEZZNS1_9scan_implILNS1_25lookback_scan_determinismE0ELb0ELb0ES3_N6thrust23THRUST_200600_302600_NS6detail15normal_iteratorINS9_10device_ptrIjEEEESE_j11max_functorIjEjEEDaPvRmT3_T4_T5_mT6_P12ihipStream_tbENKUlT_T0_E_clISt17integral_constantIbLb0EEST_IbLb1EEEEDaSP_SQ_EUlSP_E_NS1_11comp_targetILNS1_3genE4ELNS1_11target_archE910ELNS1_3gpuE8ELNS1_3repE0EEENS1_30default_config_static_selectorELNS0_4arch9wavefront6targetE1EEEvT1_
; %bb.0:
	s_load_dwordx2 s[6:7], s[4:5], 0x28
	v_cmp_ne_u32_e64 s[0:1], 0, v0
	v_cmp_eq_u32_e64 s[2:3], 0, v0
	s_and_saveexec_b64 s[8:9], s[2:3]
	s_cbranch_execz .LBB2313_4
; %bb.1:
	s_mov_b64 s[12:13], exec
	v_mbcnt_lo_u32_b32 v1, s12, 0
	v_mbcnt_hi_u32_b32 v1, s13, v1
	v_cmp_eq_u32_e32 vcc, 0, v1
                                        ; implicit-def: $vgpr2
	s_and_saveexec_b64 s[10:11], vcc
	s_cbranch_execz .LBB2313_3
; %bb.2:
	s_load_dwordx2 s[14:15], s[4:5], 0x58
	s_bcnt1_i32_b64 s12, s[12:13]
	v_mov_b32_e32 v2, 0
	v_mov_b32_e32 v3, s12
	s_waitcnt lgkmcnt(0)
	global_atomic_add v2, v2, v3, s[14:15] glc
.LBB2313_3:
	s_or_b64 exec, exec, s[10:11]
	s_waitcnt vmcnt(0)
	v_readfirstlane_b32 s10, v2
	v_add_u32_e32 v1, s10, v1
	v_mov_b32_e32 v2, 0
	ds_write_b32 v2, v1
.LBB2313_4:
	s_or_b64 exec, exec, s[8:9]
	s_load_dwordx8 s[16:23], s[4:5], 0x0
	s_load_dword s24, s[4:5], 0x30
	s_load_dwordx8 s[8:15], s[4:5], 0x38
	v_mov_b32_e32 v1, 0
	s_waitcnt lgkmcnt(0)
	s_barrier
	ds_read_b32 v1, v1
	s_lshl_b64 s[18:19], s[18:19], 2
	s_add_u32 s25, s16, s18
	s_addc_u32 s26, s17, s19
	s_add_i32 s16, s24, -1
	s_mul_i32 s17, s16, 0x500
	s_sub_u32 s30, s22, s17
	s_waitcnt lgkmcnt(0)
	v_readfirstlane_b32 s33, v1
	s_subb_u32 s31, s23, 0
	s_mul_i32 s4, s33, 0x500
	s_mov_b32 s5, 0
	s_cmp_lg_u32 s33, s16
	s_cselect_b64 s[16:17], -1, 0
	s_lshl_b64 s[22:23], s[4:5], 2
	s_add_u32 s24, s25, s22
	s_addc_u32 s25, s26, s23
	s_mov_b64 s[4:5], -1
	s_and_b64 vcc, exec, s[16:17]
	v_lshlrev_b32_e32 v22, 2, v0
	s_barrier
	s_cbranch_vccz .LBB2313_6
; %bb.5:
	v_mov_b32_e32 v1, s25
	v_add_co_u32_e32 v2, vcc, s24, v22
	v_addc_co_u32_e32 v3, vcc, 0, v1, vcc
	flat_load_dword v1, v[2:3]
	flat_load_dword v4, v[2:3] offset:512
	flat_load_dword v5, v[2:3] offset:1024
	;; [unrolled: 1-line block ×7, first 2 shown]
	v_add_co_u32_e32 v2, vcc, 0x1000, v2
	v_addc_co_u32_e32 v3, vcc, 0, v3, vcc
	flat_load_dword v11, v[2:3]
	flat_load_dword v12, v[2:3] offset:512
	s_mov_b64 s[4:5], 0
	s_waitcnt vmcnt(0) lgkmcnt(0)
	ds_write2st64_b32 v22, v1, v4 offset1:2
	ds_write2st64_b32 v22, v5, v6 offset0:4 offset1:6
	ds_write2st64_b32 v22, v7, v8 offset0:8 offset1:10
	;; [unrolled: 1-line block ×4, first 2 shown]
	s_waitcnt lgkmcnt(0)
	s_barrier
.LBB2313_6:
	s_andn2_b64 vcc, exec, s[4:5]
	v_cmp_gt_u32_e64 s[4:5], s30, v0
	s_cbranch_vccnz .LBB2313_28
; %bb.7:
	v_pk_mov_b32 v[2:3], s[24:25], s[24:25] op_sel:[0,1]
	flat_load_dword v1, v[2:3]
	s_waitcnt vmcnt(0) lgkmcnt(0)
	v_mov_b32_e32 v2, v1
	v_mov_b32_e32 v3, v1
	;; [unrolled: 1-line block ×9, first 2 shown]
	s_and_saveexec_b64 s[26:27], s[4:5]
	s_cbranch_execz .LBB2313_9
; %bb.8:
	v_mov_b32_e32 v11, s25
	v_add_co_u32_e32 v10, vcc, s24, v22
	v_addc_co_u32_e32 v11, vcc, 0, v11, vcc
	flat_load_dword v10, v[10:11]
.LBB2313_9:
	s_or_b64 exec, exec, s[26:27]
	v_or_b32_e32 v11, 0x80, v0
	v_cmp_gt_u32_e32 vcc, s30, v11
	s_and_saveexec_b64 s[4:5], vcc
	s_cbranch_execz .LBB2313_11
; %bb.10:
	v_mov_b32_e32 v1, s25
	v_add_co_u32_e32 v12, vcc, s24, v22
	v_addc_co_u32_e32 v13, vcc, 0, v1, vcc
	flat_load_dword v1, v[12:13] offset:512
.LBB2313_11:
	s_or_b64 exec, exec, s[4:5]
	v_or_b32_e32 v11, 0x100, v0
	v_cmp_gt_u32_e32 vcc, s30, v11
	s_and_saveexec_b64 s[4:5], vcc
	s_cbranch_execz .LBB2313_13
; %bb.12:
	v_mov_b32_e32 v2, s25
	v_add_co_u32_e32 v12, vcc, s24, v22
	v_addc_co_u32_e32 v13, vcc, 0, v2, vcc
	flat_load_dword v2, v[12:13] offset:1024
.LBB2313_13:
	;; [unrolled: 11-line block ×7, first 2 shown]
	s_or_b64 exec, exec, s[4:5]
	v_or_b32_e32 v11, 0x400, v0
	v_cmp_gt_u32_e32 vcc, s30, v11
	s_and_saveexec_b64 s[4:5], vcc
	s_cbranch_execz .LBB2313_25
; %bb.24:
	v_lshlrev_b32_e32 v8, 2, v11
	v_mov_b32_e32 v11, s25
	v_add_co_u32_e32 v12, vcc, s24, v8
	v_addc_co_u32_e32 v13, vcc, 0, v11, vcc
	flat_load_dword v8, v[12:13]
.LBB2313_25:
	s_or_b64 exec, exec, s[4:5]
	v_or_b32_e32 v11, 0x480, v0
	v_cmp_gt_u32_e32 vcc, s30, v11
	s_and_saveexec_b64 s[4:5], vcc
	s_cbranch_execz .LBB2313_27
; %bb.26:
	v_lshlrev_b32_e32 v9, 2, v11
	v_mov_b32_e32 v11, s25
	v_add_co_u32_e32 v12, vcc, s24, v9
	v_addc_co_u32_e32 v13, vcc, 0, v11, vcc
	flat_load_dword v9, v[12:13]
.LBB2313_27:
	s_or_b64 exec, exec, s[4:5]
	s_waitcnt vmcnt(0) lgkmcnt(0)
	ds_write2st64_b32 v22, v10, v1 offset1:2
	ds_write2st64_b32 v22, v2, v3 offset0:4 offset1:6
	ds_write2st64_b32 v22, v4, v5 offset0:8 offset1:10
	;; [unrolled: 1-line block ×4, first 2 shown]
	s_waitcnt lgkmcnt(0)
	s_barrier
.LBB2313_28:
	v_mul_u32_u24_e32 v23, 10, v0
	v_lshlrev_b32_e32 v24, 2, v23
	ds_read2_b64 v[2:5], v24 offset1:1
	ds_read2_b64 v[16:19], v24 offset0:2 offset1:3
	ds_read_b64 v[20:21], v24 offset:32
	s_cmp_lg_u32 s33, 0
	v_lshrrev_b32_e32 v1, 5, v0
	v_cmp_gt_u32_e32 vcc, 64, v0
	s_waitcnt lgkmcnt(0)
	s_barrier
	s_cbranch_scc0 .LBB2313_53
; %bb.29:
	v_max_u32_e32 v6, v2, v3
	v_max3_u32 v6, v6, v4, v5
	v_max3_u32 v6, v6, v16, v17
	;; [unrolled: 1-line block ×4, first 2 shown]
	v_add_lshl_u32 v6, v1, v0, 2
	ds_write_b32 v6, v25
	s_waitcnt lgkmcnt(0)
	s_barrier
	s_and_saveexec_b64 s[24:25], vcc
	s_cbranch_execz .LBB2313_31
; %bb.30:
	v_lshlrev_b32_e32 v6, 1, v0
	v_lshrrev_b32_e32 v7, 4, v0
	v_add_lshl_u32 v8, v7, v6, 2
	ds_read2_b32 v[6:7], v8 offset1:1
	v_mbcnt_lo_u32_b32 v9, -1, 0
	v_mbcnt_hi_u32_b32 v9, -1, v9
	v_and_b32_e32 v10, 15, v9
	v_cmp_eq_u32_e64 s[4:5], 0, v10
	s_waitcnt lgkmcnt(0)
	v_max_u32_e32 v7, v6, v7
	; wave barrier
	s_nop 1
	v_mov_b32_dpp v11, v7 row_shr:1 row_mask:0xf bank_mask:0xf
	v_max_u32_e32 v11, v11, v7
	v_cndmask_b32_e64 v7, v11, v7, s[4:5]
	v_cmp_lt_u32_e64 s[4:5], 1, v10
	s_nop 0
	v_mov_b32_dpp v11, v7 row_shr:2 row_mask:0xf bank_mask:0xf
	v_max_u32_e32 v11, v11, v7
	v_cndmask_b32_e64 v7, v7, v11, s[4:5]
	v_cmp_lt_u32_e64 s[4:5], 3, v10
	s_nop 0
	v_mov_b32_dpp v11, v7 row_shr:4 row_mask:0xf bank_mask:0xf
	v_max_u32_e32 v11, v11, v7
	v_cndmask_b32_e64 v7, v7, v11, s[4:5]
	v_cmp_lt_u32_e64 s[4:5], 7, v10
	s_nop 0
	v_mov_b32_dpp v11, v7 row_shr:8 row_mask:0xf bank_mask:0xf
	v_max_u32_e32 v11, v11, v7
	v_cndmask_b32_e64 v7, v7, v11, s[4:5]
	v_and_b32_e32 v11, 16, v9
	v_cmp_eq_u32_e64 s[4:5], 0, v11
	v_mov_b32_dpp v10, v7 row_bcast:15 row_mask:0xf bank_mask:0xf
	v_max_u32_e32 v10, v10, v7
	v_cndmask_b32_e64 v7, v10, v7, s[4:5]
	v_cmp_lt_u32_e64 s[4:5], 31, v9
	v_and_b32_e32 v11, 64, v9
	v_mov_b32_dpp v10, v7 row_bcast:31 row_mask:0xf bank_mask:0xf
	v_max_u32_e32 v10, v10, v7
	v_cndmask_b32_e64 v7, v7, v10, s[4:5]
	v_add_u32_e32 v10, -1, v9
	v_cmp_lt_i32_e64 s[4:5], v10, v11
	v_cndmask_b32_e64 v9, v10, v9, s[4:5]
	v_lshlrev_b32_e32 v9, 2, v9
	ds_bpermute_b32 v7, v9, v7
	s_waitcnt lgkmcnt(0)
	v_max_u32_e32 v6, v7, v6
	v_cndmask_b32_e64 v6, v6, v25, s[2:3]
	ds_write_b32 v8, v6
	; wave barrier
	ds_read_b32 v7, v8 offset:4
	s_waitcnt lgkmcnt(0)
	v_max_u32_e32 v6, v6, v7
	ds_write_b32 v8, v6 offset:4
.LBB2313_31:
	s_or_b64 exec, exec, s[24:25]
	s_waitcnt lgkmcnt(0)
	s_barrier
	s_and_saveexec_b64 s[4:5], s[0:1]
	s_cbranch_execz .LBB2313_33
; %bb.32:
	v_add_u32_e32 v6, -1, v0
	v_lshrrev_b32_e32 v7, 5, v6
	v_add_lshl_u32 v6, v7, v6, 2
	ds_read_b32 v25, v6
.LBB2313_33:
	s_or_b64 exec, exec, s[4:5]
	s_and_saveexec_b64 s[24:25], vcc
	s_cbranch_execz .LBB2313_52
; %bb.34:
	v_mov_b32_e32 v13, 0
	ds_read_b32 v6, v13 offset:520
	v_mbcnt_lo_u32_b32 v7, -1, 0
	v_mbcnt_hi_u32_b32 v9, -1, v7
	s_mov_b32 s29, 0
	v_cmp_eq_u32_e64 s[4:5], 0, v9
	s_and_saveexec_b64 s[26:27], s[4:5]
	s_cbranch_execz .LBB2313_36
; %bb.35:
	s_add_i32 s28, s33, 64
	s_lshl_b64 s[28:29], s[28:29], 3
	s_add_u32 s28, s6, s28
	v_mov_b32_e32 v7, 1
	s_addc_u32 s29, s7, s29
	s_waitcnt lgkmcnt(0)
	global_store_dwordx2 v13, v[6:7], s[28:29]
.LBB2313_36:
	s_or_b64 exec, exec, s[26:27]
	v_xad_u32 v8, v9, -1, s33
	v_add_u32_e32 v12, 64, v8
	v_lshlrev_b64 v[10:11], 3, v[12:13]
	v_mov_b32_e32 v7, s7
	v_add_co_u32_e32 v14, vcc, s6, v10
	v_addc_co_u32_e32 v15, vcc, v7, v11, vcc
	global_load_dwordx2 v[10:11], v[14:15], off glc
	s_waitcnt vmcnt(0)
	v_cmp_eq_u16_sdwa s[28:29], v11, v13 src0_sel:BYTE_0 src1_sel:DWORD
	s_and_saveexec_b64 s[26:27], s[28:29]
	s_cbranch_execz .LBB2313_40
; %bb.37:
	s_mov_b64 s[28:29], 0
	v_mov_b32_e32 v7, 0
.LBB2313_38:                            ; =>This Inner Loop Header: Depth=1
	global_load_dwordx2 v[10:11], v[14:15], off glc
	s_waitcnt vmcnt(0)
	v_cmp_ne_u16_sdwa s[34:35], v11, v7 src0_sel:BYTE_0 src1_sel:DWORD
	s_or_b64 s[28:29], s[34:35], s[28:29]
	s_andn2_b64 exec, exec, s[28:29]
	s_cbranch_execnz .LBB2313_38
; %bb.39:
	s_or_b64 exec, exec, s[28:29]
.LBB2313_40:
	s_or_b64 exec, exec, s[26:27]
	v_and_b32_e32 v26, 63, v9
	v_cmp_ne_u32_e32 vcc, 63, v26
	v_mov_b32_e32 v7, 2
	v_addc_co_u32_e32 v27, vcc, 0, v9, vcc
	v_cmp_eq_u16_sdwa s[26:27], v11, v7 src0_sel:BYTE_0 src1_sel:DWORD
	v_lshlrev_b64 v[12:13], v9, -1
	v_lshlrev_b32_e32 v27, 2, v27
	v_and_b32_e32 v14, s27, v13
	ds_bpermute_b32 v28, v27, v10
	v_or_b32_e32 v14, 0x80000000, v14
	v_and_b32_e32 v15, s26, v12
	v_ffbl_b32_e32 v14, v14
	v_add_u32_e32 v14, 32, v14
	v_ffbl_b32_e32 v15, v15
	v_min_u32_e32 v14, v15, v14
	s_waitcnt lgkmcnt(0)
	v_max_u32_e32 v15, v28, v10
	v_cmp_lt_u32_e32 vcc, v26, v14
	v_cndmask_b32_e32 v10, v10, v15, vcc
	v_cmp_gt_u32_e32 vcc, 62, v26
	v_cndmask_b32_e64 v15, 0, 1, vcc
	v_lshlrev_b32_e32 v15, 1, v15
	v_add_lshl_u32 v28, v15, v9, 2
	ds_bpermute_b32 v15, v28, v10
	v_add_u32_e32 v29, 2, v26
	v_cmp_gt_u32_e32 vcc, v29, v14
	v_add_u32_e32 v31, 4, v26
	v_add_u32_e32 v33, 8, v26
	s_waitcnt lgkmcnt(0)
	v_max_u32_e32 v15, v15, v10
	v_cndmask_b32_e32 v10, v15, v10, vcc
	v_cmp_gt_u32_e32 vcc, 60, v26
	v_cndmask_b32_e64 v15, 0, 1, vcc
	v_lshlrev_b32_e32 v15, 2, v15
	v_add_lshl_u32 v30, v15, v9, 2
	ds_bpermute_b32 v15, v30, v10
	v_cmp_gt_u32_e32 vcc, v31, v14
	v_add_u32_e32 v36, 16, v26
	v_add_u32_e32 v38, 32, v26
	s_waitcnt lgkmcnt(0)
	v_max_u32_e32 v15, v15, v10
	v_cndmask_b32_e32 v10, v15, v10, vcc
	v_cmp_gt_u32_e32 vcc, 56, v26
	v_cndmask_b32_e64 v15, 0, 1, vcc
	v_lshlrev_b32_e32 v15, 3, v15
	v_add_lshl_u32 v32, v15, v9, 2
	ds_bpermute_b32 v15, v32, v10
	v_cmp_gt_u32_e32 vcc, v33, v14
	s_waitcnt lgkmcnt(0)
	v_max_u32_e32 v15, v15, v10
	v_cndmask_b32_e32 v10, v15, v10, vcc
	v_cmp_gt_u32_e32 vcc, 48, v26
	v_cndmask_b32_e64 v15, 0, 1, vcc
	v_lshlrev_b32_e32 v15, 4, v15
	v_add_lshl_u32 v34, v15, v9, 2
	ds_bpermute_b32 v15, v34, v10
	v_cmp_gt_u32_e32 vcc, v36, v14
	;; [unrolled: 9-line block ×3, first 2 shown]
	s_waitcnt lgkmcnt(0)
	v_max_u32_e32 v9, v9, v10
	v_cndmask_b32_e32 v10, v9, v10, vcc
	v_mov_b32_e32 v9, 0
	s_branch .LBB2313_42
.LBB2313_41:                            ;   in Loop: Header=BB2313_42 Depth=1
	s_or_b64 exec, exec, s[26:27]
	v_cmp_eq_u16_sdwa s[26:27], v11, v7 src0_sel:BYTE_0 src1_sel:DWORD
	v_and_b32_e32 v14, s27, v13
	ds_bpermute_b32 v39, v27, v10
	v_or_b32_e32 v14, 0x80000000, v14
	v_and_b32_e32 v15, s26, v12
	v_ffbl_b32_e32 v14, v14
	v_add_u32_e32 v14, 32, v14
	v_ffbl_b32_e32 v15, v15
	v_min_u32_e32 v14, v15, v14
	s_waitcnt lgkmcnt(0)
	v_max_u32_e32 v15, v39, v10
	v_cmp_lt_u32_e32 vcc, v26, v14
	v_cndmask_b32_e32 v10, v10, v15, vcc
	ds_bpermute_b32 v15, v28, v10
	v_cmp_gt_u32_e32 vcc, v29, v14
	v_subrev_u32_e32 v8, 64, v8
	s_waitcnt lgkmcnt(0)
	v_max_u32_e32 v15, v15, v10
	v_cndmask_b32_e32 v10, v15, v10, vcc
	ds_bpermute_b32 v15, v30, v10
	v_cmp_gt_u32_e32 vcc, v31, v14
	s_waitcnt lgkmcnt(0)
	v_max_u32_e32 v15, v15, v10
	v_cndmask_b32_e32 v10, v15, v10, vcc
	ds_bpermute_b32 v15, v32, v10
	v_cmp_gt_u32_e32 vcc, v33, v14
	;; [unrolled: 5-line block ×4, first 2 shown]
	s_waitcnt lgkmcnt(0)
	v_max_u32_e32 v15, v15, v10
	v_cndmask_b32_e32 v10, v15, v10, vcc
	v_max_u32_e32 v10, v10, v35
.LBB2313_42:                            ; =>This Loop Header: Depth=1
                                        ;     Child Loop BB2313_45 Depth 2
	v_cmp_ne_u16_sdwa s[26:27], v11, v7 src0_sel:BYTE_0 src1_sel:DWORD
	v_cndmask_b32_e64 v11, 0, 1, s[26:27]
	;;#ASMSTART
	;;#ASMEND
	v_cmp_ne_u32_e32 vcc, 0, v11
	s_cmp_lg_u64 vcc, exec
	v_mov_b32_e32 v35, v10
	s_cbranch_scc1 .LBB2313_47
; %bb.43:                               ;   in Loop: Header=BB2313_42 Depth=1
	v_lshlrev_b64 v[10:11], 3, v[8:9]
	v_mov_b32_e32 v15, s7
	v_add_co_u32_e32 v14, vcc, s6, v10
	v_addc_co_u32_e32 v15, vcc, v15, v11, vcc
	global_load_dwordx2 v[10:11], v[14:15], off glc
	s_waitcnt vmcnt(0)
	v_cmp_eq_u16_sdwa s[28:29], v11, v9 src0_sel:BYTE_0 src1_sel:DWORD
	s_and_saveexec_b64 s[26:27], s[28:29]
	s_cbranch_execz .LBB2313_41
; %bb.44:                               ;   in Loop: Header=BB2313_42 Depth=1
	s_mov_b64 s[28:29], 0
.LBB2313_45:                            ;   Parent Loop BB2313_42 Depth=1
                                        ; =>  This Inner Loop Header: Depth=2
	global_load_dwordx2 v[10:11], v[14:15], off glc
	s_waitcnt vmcnt(0)
	v_cmp_ne_u16_sdwa s[34:35], v11, v9 src0_sel:BYTE_0 src1_sel:DWORD
	s_or_b64 s[28:29], s[34:35], s[28:29]
	s_andn2_b64 exec, exec, s[28:29]
	s_cbranch_execnz .LBB2313_45
; %bb.46:                               ;   in Loop: Header=BB2313_42 Depth=1
	s_or_b64 exec, exec, s[28:29]
	s_branch .LBB2313_41
.LBB2313_47:                            ;   in Loop: Header=BB2313_42 Depth=1
                                        ; implicit-def: $vgpr10
                                        ; implicit-def: $vgpr11
	s_cbranch_execz .LBB2313_42
; %bb.48:
	s_and_saveexec_b64 s[26:27], s[4:5]
	s_cbranch_execz .LBB2313_50
; %bb.49:
	s_add_i32 s4, s33, 64
	s_mov_b32 s5, 0
	s_lshl_b64 s[4:5], s[4:5], 3
	s_add_u32 s4, s6, s4
	v_max_u32_e32 v6, v35, v6
	v_mov_b32_e32 v7, 2
	s_addc_u32 s5, s7, s5
	v_mov_b32_e32 v8, 0
	global_store_dwordx2 v8, v[6:7], s[4:5]
.LBB2313_50:
	s_or_b64 exec, exec, s[26:27]
	s_and_b64 exec, exec, s[2:3]
	s_cbranch_execz .LBB2313_52
; %bb.51:
	v_mov_b32_e32 v6, 0
	ds_write_b32 v6, v35
.LBB2313_52:
	s_or_b64 exec, exec, s[24:25]
	v_mov_b32_e32 v6, 0
	s_waitcnt lgkmcnt(0)
	s_barrier
	ds_read_b32 v6, v6
	v_max_u32_e32 v7, v25, v2
	v_cndmask_b32_e64 v7, v7, v2, s[2:3]
	s_waitcnt lgkmcnt(0)
	v_max_u32_e32 v6, v6, v7
	v_max_u32_e32 v7, v6, v3
	;; [unrolled: 1-line block ×10, first 2 shown]
	s_branch .LBB2313_65
.LBB2313_53:
                                        ; implicit-def: $vgpr6_vgpr7_vgpr8_vgpr9_vgpr10_vgpr11_vgpr12_vgpr13_vgpr14_vgpr15
	s_cbranch_execz .LBB2313_65
; %bb.54:
	s_cmp_lg_u64 s[12:13], 0
	s_cselect_b64 s[4:5], -1, 0
	s_and_b64 s[12:13], s[2:3], s[4:5]
	v_mov_b32_e32 v12, v3
	v_mov_b32_e32 v13, v4
	;; [unrolled: 1-line block ×3, first 2 shown]
	s_and_saveexec_b64 s[4:5], s[12:13]
	s_cbranch_execz .LBB2313_56
; %bb.55:
	v_mov_b32_e32 v6, 0
	global_load_dword v6, v6, s[8:9]
	v_mov_b32_e32 v12, v3
	v_mov_b32_e32 v13, v4
	;; [unrolled: 1-line block ×3, first 2 shown]
	s_waitcnt vmcnt(0)
	v_max_u32_e32 v2, v6, v2
.LBB2313_56:
	s_or_b64 exec, exec, s[4:5]
	v_max_u32_e32 v3, v2, v12
	v_max_u32_e32 v4, v3, v13
	;; [unrolled: 1-line block ×9, first 2 shown]
	v_add_lshl_u32 v1, v1, v0, 2
	v_cmp_gt_u32_e32 vcc, 64, v0
	ds_write_b32 v1, v11
	s_waitcnt lgkmcnt(0)
	s_barrier
	s_and_saveexec_b64 s[4:5], vcc
	s_cbranch_execz .LBB2313_58
; %bb.57:
	v_lshlrev_b32_e32 v1, 1, v0
	v_lshrrev_b32_e32 v15, 4, v0
	v_add_lshl_u32 v1, v15, v1, 2
	ds_read2_b32 v[26:27], v1 offset1:1
	v_mbcnt_lo_u32_b32 v15, -1, 0
	v_mbcnt_hi_u32_b32 v15, -1, v15
	v_and_b32_e32 v25, 15, v15
	v_cmp_eq_u32_e32 vcc, 0, v25
	s_waitcnt lgkmcnt(0)
	v_max_u32_e32 v27, v26, v27
	; wave barrier
	s_nop 1
	v_mov_b32_dpp v28, v27 row_shr:1 row_mask:0xf bank_mask:0xf
	v_max_u32_e32 v28, v28, v27
	v_cndmask_b32_e32 v27, v28, v27, vcc
	v_cmp_lt_u32_e32 vcc, 1, v25
	s_nop 0
	v_mov_b32_dpp v28, v27 row_shr:2 row_mask:0xf bank_mask:0xf
	v_max_u32_e32 v28, v28, v27
	v_cndmask_b32_e32 v27, v27, v28, vcc
	v_cmp_lt_u32_e32 vcc, 3, v25
	;; [unrolled: 5-line block ×3, first 2 shown]
	s_nop 0
	v_mov_b32_dpp v28, v27 row_shr:8 row_mask:0xf bank_mask:0xf
	v_max_u32_e32 v28, v28, v27
	v_cndmask_b32_e32 v25, v27, v28, vcc
	v_and_b32_e32 v28, 16, v15
	v_cmp_eq_u32_e32 vcc, 0, v28
	v_mov_b32_dpp v27, v25 row_bcast:15 row_mask:0xf bank_mask:0xf
	v_max_u32_e32 v27, v27, v25
	v_cndmask_b32_e32 v25, v27, v25, vcc
	v_cmp_lt_u32_e32 vcc, 31, v15
	v_and_b32_e32 v28, 64, v15
	v_mov_b32_dpp v27, v25 row_bcast:31 row_mask:0xf bank_mask:0xf
	v_max_u32_e32 v27, v27, v25
	v_cndmask_b32_e32 v25, v25, v27, vcc
	v_add_u32_e32 v27, -1, v15
	v_cmp_lt_i32_e32 vcc, v27, v28
	v_cndmask_b32_e32 v15, v27, v15, vcc
	v_lshlrev_b32_e32 v15, 2, v15
	ds_bpermute_b32 v15, v15, v25
	s_waitcnt lgkmcnt(0)
	v_max_u32_e32 v15, v15, v26
	v_cndmask_b32_e64 v15, v15, v11, s[2:3]
	ds_write_b32 v1, v15
	; wave barrier
	ds_read_b32 v25, v1 offset:4
	s_waitcnt lgkmcnt(0)
	v_max_u32_e32 v15, v15, v25
	ds_write_b32 v1, v15 offset:4
.LBB2313_58:
	s_or_b64 exec, exec, s[4:5]
	v_mov_b32_e32 v1, v11
	s_waitcnt lgkmcnt(0)
	s_barrier
	s_and_saveexec_b64 s[2:3], s[0:1]
	s_cbranch_execz .LBB2313_60
; %bb.59:
	v_add_u32_e32 v1, -1, v0
	v_lshrrev_b32_e32 v15, 5, v1
	v_add_lshl_u32 v1, v15, v1, 2
	ds_read_b32 v1, v1
.LBB2313_60:
	s_or_b64 exec, exec, s[2:3]
	s_and_saveexec_b64 s[2:3], s[0:1]
	s_cbranch_execz .LBB2313_62
; %bb.61:
	s_waitcnt lgkmcnt(0)
	v_max_u32_e32 v2, v1, v2
	v_max_u32_e32 v3, v2, v12
	;; [unrolled: 1-line block ×10, first 2 shown]
	;;#ASMSTART
	;;#ASMEND
.LBB2313_62:
	s_or_b64 exec, exec, s[2:3]
	s_movk_i32 s0, 0x7f
	v_cmp_eq_u32_e32 vcc, s0, v0
	s_and_saveexec_b64 s[0:1], vcc
	s_cbranch_execz .LBB2313_64
; %bb.63:
	s_waitcnt lgkmcnt(0)
	v_mov_b32_e32 v1, 0
	v_mov_b32_e32 v13, 2
	;; [unrolled: 1-line block ×3, first 2 shown]
	global_store_dwordx2 v1, v[12:13], s[6:7] offset:512
.LBB2313_64:
	s_or_b64 exec, exec, s[0:1]
	v_pk_mov_b32 v[14:15], v[10:11], v[10:11] op_sel:[0,1]
	v_pk_mov_b32 v[12:13], v[8:9], v[8:9] op_sel:[0,1]
	;; [unrolled: 1-line block ×5, first 2 shown]
.LBB2313_65:
	s_add_u32 s0, s20, s18
	s_addc_u32 s1, s21, s19
	s_add_u32 s2, s0, s22
	s_addc_u32 s3, s1, s23
	s_mov_b64 s[0:1], -1
	s_and_b64 vcc, exec, s[16:17]
	s_waitcnt lgkmcnt(0)
	s_barrier
	s_cbranch_vccz .LBB2313_67
; %bb.66:
	ds_write2_b64 v24, v[6:7], v[8:9] offset1:1
	ds_write2_b64 v24, v[10:11], v[12:13] offset0:2 offset1:3
	ds_write_b64 v24, v[14:15] offset:32
	s_waitcnt lgkmcnt(0)
	s_barrier
	ds_read2st64_b32 v[2:3], v22 offset1:2
	ds_read2st64_b32 v[4:5], v22 offset0:4 offset1:6
	ds_read2st64_b32 v[16:17], v22 offset0:8 offset1:10
	;; [unrolled: 1-line block ×4, first 2 shown]
	v_mov_b32_e32 v1, s3
	v_add_co_u32_e32 v26, vcc, s2, v22
	v_addc_co_u32_e32 v27, vcc, 0, v1, vcc
	s_waitcnt lgkmcnt(4)
	flat_store_dword v[26:27], v2
	flat_store_dword v[26:27], v3 offset:512
	s_waitcnt lgkmcnt(0)
	flat_store_dword v[26:27], v4 offset:1024
	flat_store_dword v[26:27], v5 offset:1536
	;; [unrolled: 1-line block ×6, first 2 shown]
	v_add_co_u32_e32 v2, vcc, 0x1000, v26
	v_addc_co_u32_e32 v3, vcc, 0, v27, vcc
	flat_store_dword v[2:3], v20
	flat_store_dword v[2:3], v21 offset:512
	s_mov_b64 s[0:1], 0
.LBB2313_67:
	s_andn2_b64 vcc, exec, s[0:1]
	s_cbranch_vccnz .LBB2313_123
; %bb.68:
	s_movk_i32 s0, 0xffdc
	ds_write2_b64 v24, v[6:7], v[8:9] offset1:1
	ds_write2_b64 v24, v[10:11], v[12:13] offset0:2 offset1:3
	ds_write_b64 v24, v[14:15] offset:32
	v_mad_i32_i24 v10, v0, s0, v24
	s_waitcnt lgkmcnt(0)
	s_barrier
	ds_read2st64_b32 v[2:3], v10 offset1:2
	ds_read2st64_b32 v[6:7], v10 offset0:4 offset1:6
	ds_read2st64_b32 v[4:5], v10 offset0:8 offset1:10
	;; [unrolled: 1-line block ×4, first 2 shown]
	v_mov_b32_e32 v13, s3
	v_add_co_u32_e32 v12, vcc, s2, v22
	v_addc_co_u32_e32 v13, vcc, 0, v13, vcc
	v_mov_b32_e32 v1, 0
	v_cmp_gt_u32_e32 vcc, s30, v0
	s_and_saveexec_b64 s[0:1], vcc
	s_cbranch_execz .LBB2313_70
; %bb.69:
	s_waitcnt lgkmcnt(0)
	flat_store_dword v[12:13], v2
.LBB2313_70:
	s_or_b64 exec, exec, s[0:1]
	v_or_b32_e32 v14, 0x80, v0
	v_cmp_gt_u32_e32 vcc, s30, v14
	s_and_saveexec_b64 s[0:1], vcc
	s_cbranch_execz .LBB2313_72
; %bb.71:
	s_waitcnt lgkmcnt(0)
	flat_store_dword v[12:13], v3 offset:512
.LBB2313_72:
	s_or_b64 exec, exec, s[0:1]
	v_or_b32_e32 v14, 0x100, v0
	v_cmp_gt_u32_e32 vcc, s30, v14
	s_and_saveexec_b64 s[0:1], vcc
	s_cbranch_execz .LBB2313_74
; %bb.73:
	s_waitcnt lgkmcnt(0)
	flat_store_dword v[12:13], v6 offset:1024
.LBB2313_74:
	;; [unrolled: 9-line block ×7, first 2 shown]
	s_or_b64 exec, exec, s[0:1]
	v_or_b32_e32 v14, 0x400, v0
	v_cmp_gt_u32_e32 vcc, s30, v14
	s_and_saveexec_b64 s[0:1], vcc
	s_cbranch_execz .LBB2313_86
; %bb.85:
	v_add_co_u32_e32 v14, vcc, 0x1000, v12
	v_addc_co_u32_e32 v15, vcc, 0, v13, vcc
	s_waitcnt lgkmcnt(0)
	flat_store_dword v[14:15], v10
.LBB2313_86:
	s_or_b64 exec, exec, s[0:1]
	v_or_b32_e32 v14, 0x480, v0
	v_cmp_gt_u32_e32 vcc, s30, v14
	s_and_saveexec_b64 s[0:1], vcc
	s_cbranch_execz .LBB2313_88
; %bb.87:
	v_add_co_u32_e32 v12, vcc, 0x1000, v12
	v_addc_co_u32_e32 v13, vcc, 0, v13, vcc
	s_waitcnt lgkmcnt(0)
	flat_store_dword v[12:13], v11 offset:512
.LBB2313_88:
	s_or_b64 exec, exec, s[0:1]
	v_cmp_lt_u64_e64 s[0:1], s[14:15], 2
	s_and_b64 vcc, exec, s[0:1]
	s_cbranch_vccnz .LBB2313_123
; %bb.89:
	s_add_u32 s0, s30, -1
	s_addc_u32 s1, s31, -1
	s_add_u32 s2, 0, 0x99986000
	s_addc_u32 s3, 0, 0x59
	s_add_i32 s3, s3, 0x19999940
	s_mul_hi_u32 s7, s2, -10
	s_sub_i32 s7, s7, s2
	s_mul_i32 s8, s3, -10
	s_mul_i32 s4, s2, -10
	s_add_i32 s7, s7, s8
	s_mul_hi_u32 s5, s3, s4
	s_mul_i32 s6, s3, s4
	s_mul_i32 s9, s2, s7
	s_mul_hi_u32 s4, s2, s4
	s_mul_hi_u32 s8, s2, s7
	s_add_u32 s4, s4, s9
	s_addc_u32 s8, 0, s8
	s_add_u32 s4, s4, s6
	s_mul_hi_u32 s9, s3, s7
	s_addc_u32 s4, s8, s5
	s_addc_u32 s5, s9, 0
	s_mul_i32 s6, s3, s7
	s_add_u32 s4, s4, s6
	v_mov_b32_e32 v12, s4
	s_addc_u32 s5, 0, s5
	v_add_co_u32_e32 v12, vcc, s2, v12
	s_cmp_lg_u64 vcc, 0
	s_addc_u32 s2, s3, s5
	v_readfirstlane_b32 s5, v12
	s_mul_i32 s4, s0, s2
	s_mul_hi_u32 s6, s0, s5
	s_mul_hi_u32 s3, s0, s2
	s_add_u32 s4, s6, s4
	s_addc_u32 s3, 0, s3
	s_mul_hi_u32 s7, s1, s5
	s_mul_i32 s5, s1, s5
	s_add_u32 s4, s4, s5
	s_mul_hi_u32 s6, s1, s2
	s_addc_u32 s3, s3, s7
	s_addc_u32 s4, s6, 0
	s_mul_i32 s2, s1, s2
	s_add_u32 s2, s3, s2
	s_addc_u32 s3, 0, s4
	s_add_u32 s4, s2, 1
	s_addc_u32 s5, s3, 0
	s_add_u32 s6, s2, 2
	s_mul_i32 s8, s3, 10
	s_mul_hi_u32 s9, s2, 10
	s_addc_u32 s7, s3, 0
	s_add_i32 s9, s9, s8
	s_mul_i32 s8, s2, 10
	v_mov_b32_e32 v12, s8
	v_sub_co_u32_e32 v12, vcc, s0, v12
	s_cmp_lg_u64 vcc, 0
	s_subb_u32 s8, s1, s9
	v_subrev_co_u32_e32 v13, vcc, 10, v12
	s_cmp_lg_u64 vcc, 0
	s_subb_u32 s9, s8, 0
	v_readfirstlane_b32 s12, v13
	s_cmp_gt_u32 s12, 9
	s_cselect_b32 s12, -1, 0
	s_cmp_eq_u32 s9, 0
	s_cselect_b32 s9, s12, -1
	s_cmp_lg_u32 s9, 0
	s_cselect_b32 s4, s6, s4
	v_readfirstlane_b32 s6, v12
	s_cselect_b32 s5, s7, s5
	s_cmp_gt_u32 s6, 9
	s_cselect_b32 s6, -1, 0
	s_cmp_eq_u32 s8, 0
	s_cselect_b32 s6, s6, -1
	s_cmp_lg_u32 s6, 0
	s_cselect_b32 s3, s5, s3
	s_cselect_b32 s2, s4, s2
	v_cmp_eq_u64_e32 vcc, s[2:3], v[0:1]
	s_and_saveexec_b64 s[2:3], vcc
	s_cbranch_execz .LBB2313_123
; %bb.90:
	v_mul_hi_u32_u24_e32 v1, 10, v0
	v_mov_b32_e32 v12, s1
	v_sub_co_u32_e32 v0, vcc, s0, v23
	v_subb_co_u32_e32 v1, vcc, v12, v1, vcc
	v_cmp_lt_i64_e32 vcc, 4, v[0:1]
	s_and_saveexec_b64 s[0:1], vcc
	s_xor_b64 s[0:1], exec, s[0:1]
	s_cbranch_execz .LBB2313_108
; %bb.91:
	v_cmp_lt_i64_e32 vcc, 6, v[0:1]
	s_and_saveexec_b64 s[2:3], vcc
	s_xor_b64 s[2:3], exec, s[2:3]
	s_cbranch_execz .LBB2313_101
; %bb.92:
	;; [unrolled: 5-line block ×4, first 2 shown]
	v_mov_b32_e32 v0, 0
	s_waitcnt lgkmcnt(0)
	global_store_dword v0, v11, s[10:11]
                                        ; implicit-def: $vgpr10_vgpr11
.LBB2313_95:
	s_andn2_saveexec_b64 s[6:7], s[6:7]
	s_cbranch_execz .LBB2313_97
; %bb.96:
	v_mov_b32_e32 v0, 0
	s_waitcnt lgkmcnt(0)
	global_store_dword v0, v10, s[10:11]
.LBB2313_97:
	s_or_b64 exec, exec, s[6:7]
                                        ; implicit-def: $vgpr8_vgpr9
.LBB2313_98:
	s_andn2_saveexec_b64 s[4:5], s[4:5]
	s_cbranch_execz .LBB2313_100
; %bb.99:
	v_mov_b32_e32 v0, 0
	s_waitcnt lgkmcnt(0)
	global_store_dword v0, v9, s[10:11]
.LBB2313_100:
	s_or_b64 exec, exec, s[4:5]
                                        ; implicit-def: $vgpr4_vgpr5
                                        ; implicit-def: $vgpr0_vgpr1
                                        ; implicit-def: $vgpr8_vgpr9
.LBB2313_101:
	s_andn2_saveexec_b64 s[2:3], s[2:3]
	s_cbranch_execz .LBB2313_107
; %bb.102:
	v_cmp_lt_i64_e32 vcc, 5, v[0:1]
	s_and_saveexec_b64 s[4:5], vcc
	s_xor_b64 s[4:5], exec, s[4:5]
	s_cbranch_execz .LBB2313_104
; %bb.103:
	v_mov_b32_e32 v0, 0
	s_waitcnt lgkmcnt(0)
	global_store_dword v0, v8, s[10:11]
                                        ; implicit-def: $vgpr4_vgpr5
.LBB2313_104:
	s_andn2_saveexec_b64 s[4:5], s[4:5]
	s_cbranch_execz .LBB2313_106
; %bb.105:
	v_mov_b32_e32 v0, 0
	s_waitcnt lgkmcnt(0)
	global_store_dword v0, v5, s[10:11]
.LBB2313_106:
	s_or_b64 exec, exec, s[4:5]
.LBB2313_107:
	s_or_b64 exec, exec, s[2:3]
                                        ; implicit-def: $vgpr0_vgpr1
                                        ; implicit-def: $vgpr6_vgpr7
                                        ; implicit-def: $vgpr2_vgpr3
                                        ; implicit-def: $vgpr4_vgpr5
.LBB2313_108:
	s_andn2_saveexec_b64 s[0:1], s[0:1]
	s_cbranch_execz .LBB2313_123
; %bb.109:
	v_cmp_lt_i64_e32 vcc, 2, v[0:1]
	s_and_saveexec_b64 s[0:1], vcc
	s_xor_b64 s[0:1], exec, s[0:1]
	s_cbranch_execz .LBB2313_115
; %bb.110:
	v_cmp_lt_i64_e32 vcc, 3, v[0:1]
	s_and_saveexec_b64 s[2:3], vcc
	s_xor_b64 s[2:3], exec, s[2:3]
	s_cbranch_execz .LBB2313_112
; %bb.111:
	v_mov_b32_e32 v0, 0
	s_waitcnt lgkmcnt(0)
	global_store_dword v0, v4, s[10:11]
                                        ; implicit-def: $vgpr6_vgpr7
.LBB2313_112:
	s_andn2_saveexec_b64 s[2:3], s[2:3]
	s_cbranch_execz .LBB2313_114
; %bb.113:
	v_mov_b32_e32 v0, 0
	s_waitcnt lgkmcnt(0)
	global_store_dword v0, v7, s[10:11]
.LBB2313_114:
	s_or_b64 exec, exec, s[2:3]
                                        ; implicit-def: $vgpr0_vgpr1
                                        ; implicit-def: $vgpr6_vgpr7
                                        ; implicit-def: $vgpr2_vgpr3
.LBB2313_115:
	s_andn2_saveexec_b64 s[0:1], s[0:1]
	s_cbranch_execz .LBB2313_123
; %bb.116:
	v_cmp_lt_i64_e32 vcc, 1, v[0:1]
	s_and_saveexec_b64 s[0:1], vcc
	s_xor_b64 s[0:1], exec, s[0:1]
	s_cbranch_execz .LBB2313_118
; %bb.117:
	v_mov_b32_e32 v0, 0
	s_waitcnt lgkmcnt(0)
	global_store_dword v0, v6, s[10:11]
                                        ; implicit-def: $vgpr2_vgpr3
                                        ; implicit-def: $vgpr0_vgpr1
.LBB2313_118:
	s_andn2_saveexec_b64 s[0:1], s[0:1]
	s_cbranch_execz .LBB2313_123
; %bb.119:
	v_cmp_ne_u64_e32 vcc, 1, v[0:1]
	s_and_saveexec_b64 s[0:1], vcc
	s_xor_b64 s[0:1], exec, s[0:1]
	s_cbranch_execz .LBB2313_121
; %bb.120:
	v_mov_b32_e32 v0, 0
	s_waitcnt lgkmcnt(0)
	global_store_dword v0, v2, s[10:11]
                                        ; implicit-def: $vgpr2_vgpr3
.LBB2313_121:
	s_andn2_saveexec_b64 s[0:1], s[0:1]
	s_cbranch_execz .LBB2313_123
; %bb.122:
	v_mov_b32_e32 v0, 0
	s_waitcnt lgkmcnt(0)
	global_store_dword v0, v3, s[10:11]
.LBB2313_123:
	s_endpgm
	.section	.rodata,"a",@progbits
	.p2align	6, 0x0
	.amdhsa_kernel _ZN7rocprim17ROCPRIM_400000_NS6detail17trampoline_kernelINS0_14default_configENS1_20scan_config_selectorIjEEZZNS1_9scan_implILNS1_25lookback_scan_determinismE0ELb0ELb0ES3_N6thrust23THRUST_200600_302600_NS6detail15normal_iteratorINS9_10device_ptrIjEEEESE_j11max_functorIjEjEEDaPvRmT3_T4_T5_mT6_P12ihipStream_tbENKUlT_T0_E_clISt17integral_constantIbLb0EEST_IbLb1EEEEDaSP_SQ_EUlSP_E_NS1_11comp_targetILNS1_3genE4ELNS1_11target_archE910ELNS1_3gpuE8ELNS1_3repE0EEENS1_30default_config_static_selectorELNS0_4arch9wavefront6targetE1EEEvT1_
		.amdhsa_group_segment_fixed_size 5120
		.amdhsa_private_segment_fixed_size 0
		.amdhsa_kernarg_size 96
		.amdhsa_user_sgpr_count 6
		.amdhsa_user_sgpr_private_segment_buffer 1
		.amdhsa_user_sgpr_dispatch_ptr 0
		.amdhsa_user_sgpr_queue_ptr 0
		.amdhsa_user_sgpr_kernarg_segment_ptr 1
		.amdhsa_user_sgpr_dispatch_id 0
		.amdhsa_user_sgpr_flat_scratch_init 0
		.amdhsa_user_sgpr_kernarg_preload_length 0
		.amdhsa_user_sgpr_kernarg_preload_offset 0
		.amdhsa_user_sgpr_private_segment_size 0
		.amdhsa_uses_dynamic_stack 0
		.amdhsa_system_sgpr_private_segment_wavefront_offset 0
		.amdhsa_system_sgpr_workgroup_id_x 1
		.amdhsa_system_sgpr_workgroup_id_y 0
		.amdhsa_system_sgpr_workgroup_id_z 0
		.amdhsa_system_sgpr_workgroup_info 0
		.amdhsa_system_vgpr_workitem_id 0
		.amdhsa_next_free_vgpr 40
		.amdhsa_next_free_sgpr 36
		.amdhsa_accum_offset 40
		.amdhsa_reserve_vcc 1
		.amdhsa_reserve_flat_scratch 0
		.amdhsa_float_round_mode_32 0
		.amdhsa_float_round_mode_16_64 0
		.amdhsa_float_denorm_mode_32 3
		.amdhsa_float_denorm_mode_16_64 3
		.amdhsa_dx10_clamp 1
		.amdhsa_ieee_mode 1
		.amdhsa_fp16_overflow 0
		.amdhsa_tg_split 0
		.amdhsa_exception_fp_ieee_invalid_op 0
		.amdhsa_exception_fp_denorm_src 0
		.amdhsa_exception_fp_ieee_div_zero 0
		.amdhsa_exception_fp_ieee_overflow 0
		.amdhsa_exception_fp_ieee_underflow 0
		.amdhsa_exception_fp_ieee_inexact 0
		.amdhsa_exception_int_div_zero 0
	.end_amdhsa_kernel
	.section	.text._ZN7rocprim17ROCPRIM_400000_NS6detail17trampoline_kernelINS0_14default_configENS1_20scan_config_selectorIjEEZZNS1_9scan_implILNS1_25lookback_scan_determinismE0ELb0ELb0ES3_N6thrust23THRUST_200600_302600_NS6detail15normal_iteratorINS9_10device_ptrIjEEEESE_j11max_functorIjEjEEDaPvRmT3_T4_T5_mT6_P12ihipStream_tbENKUlT_T0_E_clISt17integral_constantIbLb0EEST_IbLb1EEEEDaSP_SQ_EUlSP_E_NS1_11comp_targetILNS1_3genE4ELNS1_11target_archE910ELNS1_3gpuE8ELNS1_3repE0EEENS1_30default_config_static_selectorELNS0_4arch9wavefront6targetE1EEEvT1_,"axG",@progbits,_ZN7rocprim17ROCPRIM_400000_NS6detail17trampoline_kernelINS0_14default_configENS1_20scan_config_selectorIjEEZZNS1_9scan_implILNS1_25lookback_scan_determinismE0ELb0ELb0ES3_N6thrust23THRUST_200600_302600_NS6detail15normal_iteratorINS9_10device_ptrIjEEEESE_j11max_functorIjEjEEDaPvRmT3_T4_T5_mT6_P12ihipStream_tbENKUlT_T0_E_clISt17integral_constantIbLb0EEST_IbLb1EEEEDaSP_SQ_EUlSP_E_NS1_11comp_targetILNS1_3genE4ELNS1_11target_archE910ELNS1_3gpuE8ELNS1_3repE0EEENS1_30default_config_static_selectorELNS0_4arch9wavefront6targetE1EEEvT1_,comdat
.Lfunc_end2313:
	.size	_ZN7rocprim17ROCPRIM_400000_NS6detail17trampoline_kernelINS0_14default_configENS1_20scan_config_selectorIjEEZZNS1_9scan_implILNS1_25lookback_scan_determinismE0ELb0ELb0ES3_N6thrust23THRUST_200600_302600_NS6detail15normal_iteratorINS9_10device_ptrIjEEEESE_j11max_functorIjEjEEDaPvRmT3_T4_T5_mT6_P12ihipStream_tbENKUlT_T0_E_clISt17integral_constantIbLb0EEST_IbLb1EEEEDaSP_SQ_EUlSP_E_NS1_11comp_targetILNS1_3genE4ELNS1_11target_archE910ELNS1_3gpuE8ELNS1_3repE0EEENS1_30default_config_static_selectorELNS0_4arch9wavefront6targetE1EEEvT1_, .Lfunc_end2313-_ZN7rocprim17ROCPRIM_400000_NS6detail17trampoline_kernelINS0_14default_configENS1_20scan_config_selectorIjEEZZNS1_9scan_implILNS1_25lookback_scan_determinismE0ELb0ELb0ES3_N6thrust23THRUST_200600_302600_NS6detail15normal_iteratorINS9_10device_ptrIjEEEESE_j11max_functorIjEjEEDaPvRmT3_T4_T5_mT6_P12ihipStream_tbENKUlT_T0_E_clISt17integral_constantIbLb0EEST_IbLb1EEEEDaSP_SQ_EUlSP_E_NS1_11comp_targetILNS1_3genE4ELNS1_11target_archE910ELNS1_3gpuE8ELNS1_3repE0EEENS1_30default_config_static_selectorELNS0_4arch9wavefront6targetE1EEEvT1_
                                        ; -- End function
	.section	.AMDGPU.csdata,"",@progbits
; Kernel info:
; codeLenInByte = 4584
; NumSgprs: 40
; NumVgprs: 40
; NumAgprs: 0
; TotalNumVgprs: 40
; ScratchSize: 0
; MemoryBound: 0
; FloatMode: 240
; IeeeMode: 1
; LDSByteSize: 5120 bytes/workgroup (compile time only)
; SGPRBlocks: 4
; VGPRBlocks: 4
; NumSGPRsForWavesPerEU: 40
; NumVGPRsForWavesPerEU: 40
; AccumOffset: 40
; Occupancy: 6
; WaveLimiterHint : 1
; COMPUTE_PGM_RSRC2:SCRATCH_EN: 0
; COMPUTE_PGM_RSRC2:USER_SGPR: 6
; COMPUTE_PGM_RSRC2:TRAP_HANDLER: 0
; COMPUTE_PGM_RSRC2:TGID_X_EN: 1
; COMPUTE_PGM_RSRC2:TGID_Y_EN: 0
; COMPUTE_PGM_RSRC2:TGID_Z_EN: 0
; COMPUTE_PGM_RSRC2:TIDIG_COMP_CNT: 0
; COMPUTE_PGM_RSRC3_GFX90A:ACCUM_OFFSET: 9
; COMPUTE_PGM_RSRC3_GFX90A:TG_SPLIT: 0
	.section	.text._ZN7rocprim17ROCPRIM_400000_NS6detail17trampoline_kernelINS0_14default_configENS1_20scan_config_selectorIjEEZZNS1_9scan_implILNS1_25lookback_scan_determinismE0ELb0ELb0ES3_N6thrust23THRUST_200600_302600_NS6detail15normal_iteratorINS9_10device_ptrIjEEEESE_j11max_functorIjEjEEDaPvRmT3_T4_T5_mT6_P12ihipStream_tbENKUlT_T0_E_clISt17integral_constantIbLb0EEST_IbLb1EEEEDaSP_SQ_EUlSP_E_NS1_11comp_targetILNS1_3genE3ELNS1_11target_archE908ELNS1_3gpuE7ELNS1_3repE0EEENS1_30default_config_static_selectorELNS0_4arch9wavefront6targetE1EEEvT1_,"axG",@progbits,_ZN7rocprim17ROCPRIM_400000_NS6detail17trampoline_kernelINS0_14default_configENS1_20scan_config_selectorIjEEZZNS1_9scan_implILNS1_25lookback_scan_determinismE0ELb0ELb0ES3_N6thrust23THRUST_200600_302600_NS6detail15normal_iteratorINS9_10device_ptrIjEEEESE_j11max_functorIjEjEEDaPvRmT3_T4_T5_mT6_P12ihipStream_tbENKUlT_T0_E_clISt17integral_constantIbLb0EEST_IbLb1EEEEDaSP_SQ_EUlSP_E_NS1_11comp_targetILNS1_3genE3ELNS1_11target_archE908ELNS1_3gpuE7ELNS1_3repE0EEENS1_30default_config_static_selectorELNS0_4arch9wavefront6targetE1EEEvT1_,comdat
	.protected	_ZN7rocprim17ROCPRIM_400000_NS6detail17trampoline_kernelINS0_14default_configENS1_20scan_config_selectorIjEEZZNS1_9scan_implILNS1_25lookback_scan_determinismE0ELb0ELb0ES3_N6thrust23THRUST_200600_302600_NS6detail15normal_iteratorINS9_10device_ptrIjEEEESE_j11max_functorIjEjEEDaPvRmT3_T4_T5_mT6_P12ihipStream_tbENKUlT_T0_E_clISt17integral_constantIbLb0EEST_IbLb1EEEEDaSP_SQ_EUlSP_E_NS1_11comp_targetILNS1_3genE3ELNS1_11target_archE908ELNS1_3gpuE7ELNS1_3repE0EEENS1_30default_config_static_selectorELNS0_4arch9wavefront6targetE1EEEvT1_ ; -- Begin function _ZN7rocprim17ROCPRIM_400000_NS6detail17trampoline_kernelINS0_14default_configENS1_20scan_config_selectorIjEEZZNS1_9scan_implILNS1_25lookback_scan_determinismE0ELb0ELb0ES3_N6thrust23THRUST_200600_302600_NS6detail15normal_iteratorINS9_10device_ptrIjEEEESE_j11max_functorIjEjEEDaPvRmT3_T4_T5_mT6_P12ihipStream_tbENKUlT_T0_E_clISt17integral_constantIbLb0EEST_IbLb1EEEEDaSP_SQ_EUlSP_E_NS1_11comp_targetILNS1_3genE3ELNS1_11target_archE908ELNS1_3gpuE7ELNS1_3repE0EEENS1_30default_config_static_selectorELNS0_4arch9wavefront6targetE1EEEvT1_
	.globl	_ZN7rocprim17ROCPRIM_400000_NS6detail17trampoline_kernelINS0_14default_configENS1_20scan_config_selectorIjEEZZNS1_9scan_implILNS1_25lookback_scan_determinismE0ELb0ELb0ES3_N6thrust23THRUST_200600_302600_NS6detail15normal_iteratorINS9_10device_ptrIjEEEESE_j11max_functorIjEjEEDaPvRmT3_T4_T5_mT6_P12ihipStream_tbENKUlT_T0_E_clISt17integral_constantIbLb0EEST_IbLb1EEEEDaSP_SQ_EUlSP_E_NS1_11comp_targetILNS1_3genE3ELNS1_11target_archE908ELNS1_3gpuE7ELNS1_3repE0EEENS1_30default_config_static_selectorELNS0_4arch9wavefront6targetE1EEEvT1_
	.p2align	8
	.type	_ZN7rocprim17ROCPRIM_400000_NS6detail17trampoline_kernelINS0_14default_configENS1_20scan_config_selectorIjEEZZNS1_9scan_implILNS1_25lookback_scan_determinismE0ELb0ELb0ES3_N6thrust23THRUST_200600_302600_NS6detail15normal_iteratorINS9_10device_ptrIjEEEESE_j11max_functorIjEjEEDaPvRmT3_T4_T5_mT6_P12ihipStream_tbENKUlT_T0_E_clISt17integral_constantIbLb0EEST_IbLb1EEEEDaSP_SQ_EUlSP_E_NS1_11comp_targetILNS1_3genE3ELNS1_11target_archE908ELNS1_3gpuE7ELNS1_3repE0EEENS1_30default_config_static_selectorELNS0_4arch9wavefront6targetE1EEEvT1_,@function
_ZN7rocprim17ROCPRIM_400000_NS6detail17trampoline_kernelINS0_14default_configENS1_20scan_config_selectorIjEEZZNS1_9scan_implILNS1_25lookback_scan_determinismE0ELb0ELb0ES3_N6thrust23THRUST_200600_302600_NS6detail15normal_iteratorINS9_10device_ptrIjEEEESE_j11max_functorIjEjEEDaPvRmT3_T4_T5_mT6_P12ihipStream_tbENKUlT_T0_E_clISt17integral_constantIbLb0EEST_IbLb1EEEEDaSP_SQ_EUlSP_E_NS1_11comp_targetILNS1_3genE3ELNS1_11target_archE908ELNS1_3gpuE7ELNS1_3repE0EEENS1_30default_config_static_selectorELNS0_4arch9wavefront6targetE1EEEvT1_: ; @_ZN7rocprim17ROCPRIM_400000_NS6detail17trampoline_kernelINS0_14default_configENS1_20scan_config_selectorIjEEZZNS1_9scan_implILNS1_25lookback_scan_determinismE0ELb0ELb0ES3_N6thrust23THRUST_200600_302600_NS6detail15normal_iteratorINS9_10device_ptrIjEEEESE_j11max_functorIjEjEEDaPvRmT3_T4_T5_mT6_P12ihipStream_tbENKUlT_T0_E_clISt17integral_constantIbLb0EEST_IbLb1EEEEDaSP_SQ_EUlSP_E_NS1_11comp_targetILNS1_3genE3ELNS1_11target_archE908ELNS1_3gpuE7ELNS1_3repE0EEENS1_30default_config_static_selectorELNS0_4arch9wavefront6targetE1EEEvT1_
; %bb.0:
	.section	.rodata,"a",@progbits
	.p2align	6, 0x0
	.amdhsa_kernel _ZN7rocprim17ROCPRIM_400000_NS6detail17trampoline_kernelINS0_14default_configENS1_20scan_config_selectorIjEEZZNS1_9scan_implILNS1_25lookback_scan_determinismE0ELb0ELb0ES3_N6thrust23THRUST_200600_302600_NS6detail15normal_iteratorINS9_10device_ptrIjEEEESE_j11max_functorIjEjEEDaPvRmT3_T4_T5_mT6_P12ihipStream_tbENKUlT_T0_E_clISt17integral_constantIbLb0EEST_IbLb1EEEEDaSP_SQ_EUlSP_E_NS1_11comp_targetILNS1_3genE3ELNS1_11target_archE908ELNS1_3gpuE7ELNS1_3repE0EEENS1_30default_config_static_selectorELNS0_4arch9wavefront6targetE1EEEvT1_
		.amdhsa_group_segment_fixed_size 0
		.amdhsa_private_segment_fixed_size 0
		.amdhsa_kernarg_size 96
		.amdhsa_user_sgpr_count 6
		.amdhsa_user_sgpr_private_segment_buffer 1
		.amdhsa_user_sgpr_dispatch_ptr 0
		.amdhsa_user_sgpr_queue_ptr 0
		.amdhsa_user_sgpr_kernarg_segment_ptr 1
		.amdhsa_user_sgpr_dispatch_id 0
		.amdhsa_user_sgpr_flat_scratch_init 0
		.amdhsa_user_sgpr_kernarg_preload_length 0
		.amdhsa_user_sgpr_kernarg_preload_offset 0
		.amdhsa_user_sgpr_private_segment_size 0
		.amdhsa_uses_dynamic_stack 0
		.amdhsa_system_sgpr_private_segment_wavefront_offset 0
		.amdhsa_system_sgpr_workgroup_id_x 1
		.amdhsa_system_sgpr_workgroup_id_y 0
		.amdhsa_system_sgpr_workgroup_id_z 0
		.amdhsa_system_sgpr_workgroup_info 0
		.amdhsa_system_vgpr_workitem_id 0
		.amdhsa_next_free_vgpr 1
		.amdhsa_next_free_sgpr 0
		.amdhsa_accum_offset 4
		.amdhsa_reserve_vcc 0
		.amdhsa_reserve_flat_scratch 0
		.amdhsa_float_round_mode_32 0
		.amdhsa_float_round_mode_16_64 0
		.amdhsa_float_denorm_mode_32 3
		.amdhsa_float_denorm_mode_16_64 3
		.amdhsa_dx10_clamp 1
		.amdhsa_ieee_mode 1
		.amdhsa_fp16_overflow 0
		.amdhsa_tg_split 0
		.amdhsa_exception_fp_ieee_invalid_op 0
		.amdhsa_exception_fp_denorm_src 0
		.amdhsa_exception_fp_ieee_div_zero 0
		.amdhsa_exception_fp_ieee_overflow 0
		.amdhsa_exception_fp_ieee_underflow 0
		.amdhsa_exception_fp_ieee_inexact 0
		.amdhsa_exception_int_div_zero 0
	.end_amdhsa_kernel
	.section	.text._ZN7rocprim17ROCPRIM_400000_NS6detail17trampoline_kernelINS0_14default_configENS1_20scan_config_selectorIjEEZZNS1_9scan_implILNS1_25lookback_scan_determinismE0ELb0ELb0ES3_N6thrust23THRUST_200600_302600_NS6detail15normal_iteratorINS9_10device_ptrIjEEEESE_j11max_functorIjEjEEDaPvRmT3_T4_T5_mT6_P12ihipStream_tbENKUlT_T0_E_clISt17integral_constantIbLb0EEST_IbLb1EEEEDaSP_SQ_EUlSP_E_NS1_11comp_targetILNS1_3genE3ELNS1_11target_archE908ELNS1_3gpuE7ELNS1_3repE0EEENS1_30default_config_static_selectorELNS0_4arch9wavefront6targetE1EEEvT1_,"axG",@progbits,_ZN7rocprim17ROCPRIM_400000_NS6detail17trampoline_kernelINS0_14default_configENS1_20scan_config_selectorIjEEZZNS1_9scan_implILNS1_25lookback_scan_determinismE0ELb0ELb0ES3_N6thrust23THRUST_200600_302600_NS6detail15normal_iteratorINS9_10device_ptrIjEEEESE_j11max_functorIjEjEEDaPvRmT3_T4_T5_mT6_P12ihipStream_tbENKUlT_T0_E_clISt17integral_constantIbLb0EEST_IbLb1EEEEDaSP_SQ_EUlSP_E_NS1_11comp_targetILNS1_3genE3ELNS1_11target_archE908ELNS1_3gpuE7ELNS1_3repE0EEENS1_30default_config_static_selectorELNS0_4arch9wavefront6targetE1EEEvT1_,comdat
.Lfunc_end2314:
	.size	_ZN7rocprim17ROCPRIM_400000_NS6detail17trampoline_kernelINS0_14default_configENS1_20scan_config_selectorIjEEZZNS1_9scan_implILNS1_25lookback_scan_determinismE0ELb0ELb0ES3_N6thrust23THRUST_200600_302600_NS6detail15normal_iteratorINS9_10device_ptrIjEEEESE_j11max_functorIjEjEEDaPvRmT3_T4_T5_mT6_P12ihipStream_tbENKUlT_T0_E_clISt17integral_constantIbLb0EEST_IbLb1EEEEDaSP_SQ_EUlSP_E_NS1_11comp_targetILNS1_3genE3ELNS1_11target_archE908ELNS1_3gpuE7ELNS1_3repE0EEENS1_30default_config_static_selectorELNS0_4arch9wavefront6targetE1EEEvT1_, .Lfunc_end2314-_ZN7rocprim17ROCPRIM_400000_NS6detail17trampoline_kernelINS0_14default_configENS1_20scan_config_selectorIjEEZZNS1_9scan_implILNS1_25lookback_scan_determinismE0ELb0ELb0ES3_N6thrust23THRUST_200600_302600_NS6detail15normal_iteratorINS9_10device_ptrIjEEEESE_j11max_functorIjEjEEDaPvRmT3_T4_T5_mT6_P12ihipStream_tbENKUlT_T0_E_clISt17integral_constantIbLb0EEST_IbLb1EEEEDaSP_SQ_EUlSP_E_NS1_11comp_targetILNS1_3genE3ELNS1_11target_archE908ELNS1_3gpuE7ELNS1_3repE0EEENS1_30default_config_static_selectorELNS0_4arch9wavefront6targetE1EEEvT1_
                                        ; -- End function
	.section	.AMDGPU.csdata,"",@progbits
; Kernel info:
; codeLenInByte = 0
; NumSgprs: 4
; NumVgprs: 0
; NumAgprs: 0
; TotalNumVgprs: 0
; ScratchSize: 0
; MemoryBound: 0
; FloatMode: 240
; IeeeMode: 1
; LDSByteSize: 0 bytes/workgroup (compile time only)
; SGPRBlocks: 0
; VGPRBlocks: 0
; NumSGPRsForWavesPerEU: 4
; NumVGPRsForWavesPerEU: 1
; AccumOffset: 4
; Occupancy: 8
; WaveLimiterHint : 0
; COMPUTE_PGM_RSRC2:SCRATCH_EN: 0
; COMPUTE_PGM_RSRC2:USER_SGPR: 6
; COMPUTE_PGM_RSRC2:TRAP_HANDLER: 0
; COMPUTE_PGM_RSRC2:TGID_X_EN: 1
; COMPUTE_PGM_RSRC2:TGID_Y_EN: 0
; COMPUTE_PGM_RSRC2:TGID_Z_EN: 0
; COMPUTE_PGM_RSRC2:TIDIG_COMP_CNT: 0
; COMPUTE_PGM_RSRC3_GFX90A:ACCUM_OFFSET: 0
; COMPUTE_PGM_RSRC3_GFX90A:TG_SPLIT: 0
	.section	.text._ZN7rocprim17ROCPRIM_400000_NS6detail17trampoline_kernelINS0_14default_configENS1_20scan_config_selectorIjEEZZNS1_9scan_implILNS1_25lookback_scan_determinismE0ELb0ELb0ES3_N6thrust23THRUST_200600_302600_NS6detail15normal_iteratorINS9_10device_ptrIjEEEESE_j11max_functorIjEjEEDaPvRmT3_T4_T5_mT6_P12ihipStream_tbENKUlT_T0_E_clISt17integral_constantIbLb0EEST_IbLb1EEEEDaSP_SQ_EUlSP_E_NS1_11comp_targetILNS1_3genE2ELNS1_11target_archE906ELNS1_3gpuE6ELNS1_3repE0EEENS1_30default_config_static_selectorELNS0_4arch9wavefront6targetE1EEEvT1_,"axG",@progbits,_ZN7rocprim17ROCPRIM_400000_NS6detail17trampoline_kernelINS0_14default_configENS1_20scan_config_selectorIjEEZZNS1_9scan_implILNS1_25lookback_scan_determinismE0ELb0ELb0ES3_N6thrust23THRUST_200600_302600_NS6detail15normal_iteratorINS9_10device_ptrIjEEEESE_j11max_functorIjEjEEDaPvRmT3_T4_T5_mT6_P12ihipStream_tbENKUlT_T0_E_clISt17integral_constantIbLb0EEST_IbLb1EEEEDaSP_SQ_EUlSP_E_NS1_11comp_targetILNS1_3genE2ELNS1_11target_archE906ELNS1_3gpuE6ELNS1_3repE0EEENS1_30default_config_static_selectorELNS0_4arch9wavefront6targetE1EEEvT1_,comdat
	.protected	_ZN7rocprim17ROCPRIM_400000_NS6detail17trampoline_kernelINS0_14default_configENS1_20scan_config_selectorIjEEZZNS1_9scan_implILNS1_25lookback_scan_determinismE0ELb0ELb0ES3_N6thrust23THRUST_200600_302600_NS6detail15normal_iteratorINS9_10device_ptrIjEEEESE_j11max_functorIjEjEEDaPvRmT3_T4_T5_mT6_P12ihipStream_tbENKUlT_T0_E_clISt17integral_constantIbLb0EEST_IbLb1EEEEDaSP_SQ_EUlSP_E_NS1_11comp_targetILNS1_3genE2ELNS1_11target_archE906ELNS1_3gpuE6ELNS1_3repE0EEENS1_30default_config_static_selectorELNS0_4arch9wavefront6targetE1EEEvT1_ ; -- Begin function _ZN7rocprim17ROCPRIM_400000_NS6detail17trampoline_kernelINS0_14default_configENS1_20scan_config_selectorIjEEZZNS1_9scan_implILNS1_25lookback_scan_determinismE0ELb0ELb0ES3_N6thrust23THRUST_200600_302600_NS6detail15normal_iteratorINS9_10device_ptrIjEEEESE_j11max_functorIjEjEEDaPvRmT3_T4_T5_mT6_P12ihipStream_tbENKUlT_T0_E_clISt17integral_constantIbLb0EEST_IbLb1EEEEDaSP_SQ_EUlSP_E_NS1_11comp_targetILNS1_3genE2ELNS1_11target_archE906ELNS1_3gpuE6ELNS1_3repE0EEENS1_30default_config_static_selectorELNS0_4arch9wavefront6targetE1EEEvT1_
	.globl	_ZN7rocprim17ROCPRIM_400000_NS6detail17trampoline_kernelINS0_14default_configENS1_20scan_config_selectorIjEEZZNS1_9scan_implILNS1_25lookback_scan_determinismE0ELb0ELb0ES3_N6thrust23THRUST_200600_302600_NS6detail15normal_iteratorINS9_10device_ptrIjEEEESE_j11max_functorIjEjEEDaPvRmT3_T4_T5_mT6_P12ihipStream_tbENKUlT_T0_E_clISt17integral_constantIbLb0EEST_IbLb1EEEEDaSP_SQ_EUlSP_E_NS1_11comp_targetILNS1_3genE2ELNS1_11target_archE906ELNS1_3gpuE6ELNS1_3repE0EEENS1_30default_config_static_selectorELNS0_4arch9wavefront6targetE1EEEvT1_
	.p2align	8
	.type	_ZN7rocprim17ROCPRIM_400000_NS6detail17trampoline_kernelINS0_14default_configENS1_20scan_config_selectorIjEEZZNS1_9scan_implILNS1_25lookback_scan_determinismE0ELb0ELb0ES3_N6thrust23THRUST_200600_302600_NS6detail15normal_iteratorINS9_10device_ptrIjEEEESE_j11max_functorIjEjEEDaPvRmT3_T4_T5_mT6_P12ihipStream_tbENKUlT_T0_E_clISt17integral_constantIbLb0EEST_IbLb1EEEEDaSP_SQ_EUlSP_E_NS1_11comp_targetILNS1_3genE2ELNS1_11target_archE906ELNS1_3gpuE6ELNS1_3repE0EEENS1_30default_config_static_selectorELNS0_4arch9wavefront6targetE1EEEvT1_,@function
_ZN7rocprim17ROCPRIM_400000_NS6detail17trampoline_kernelINS0_14default_configENS1_20scan_config_selectorIjEEZZNS1_9scan_implILNS1_25lookback_scan_determinismE0ELb0ELb0ES3_N6thrust23THRUST_200600_302600_NS6detail15normal_iteratorINS9_10device_ptrIjEEEESE_j11max_functorIjEjEEDaPvRmT3_T4_T5_mT6_P12ihipStream_tbENKUlT_T0_E_clISt17integral_constantIbLb0EEST_IbLb1EEEEDaSP_SQ_EUlSP_E_NS1_11comp_targetILNS1_3genE2ELNS1_11target_archE906ELNS1_3gpuE6ELNS1_3repE0EEENS1_30default_config_static_selectorELNS0_4arch9wavefront6targetE1EEEvT1_: ; @_ZN7rocprim17ROCPRIM_400000_NS6detail17trampoline_kernelINS0_14default_configENS1_20scan_config_selectorIjEEZZNS1_9scan_implILNS1_25lookback_scan_determinismE0ELb0ELb0ES3_N6thrust23THRUST_200600_302600_NS6detail15normal_iteratorINS9_10device_ptrIjEEEESE_j11max_functorIjEjEEDaPvRmT3_T4_T5_mT6_P12ihipStream_tbENKUlT_T0_E_clISt17integral_constantIbLb0EEST_IbLb1EEEEDaSP_SQ_EUlSP_E_NS1_11comp_targetILNS1_3genE2ELNS1_11target_archE906ELNS1_3gpuE6ELNS1_3repE0EEENS1_30default_config_static_selectorELNS0_4arch9wavefront6targetE1EEEvT1_
; %bb.0:
	.section	.rodata,"a",@progbits
	.p2align	6, 0x0
	.amdhsa_kernel _ZN7rocprim17ROCPRIM_400000_NS6detail17trampoline_kernelINS0_14default_configENS1_20scan_config_selectorIjEEZZNS1_9scan_implILNS1_25lookback_scan_determinismE0ELb0ELb0ES3_N6thrust23THRUST_200600_302600_NS6detail15normal_iteratorINS9_10device_ptrIjEEEESE_j11max_functorIjEjEEDaPvRmT3_T4_T5_mT6_P12ihipStream_tbENKUlT_T0_E_clISt17integral_constantIbLb0EEST_IbLb1EEEEDaSP_SQ_EUlSP_E_NS1_11comp_targetILNS1_3genE2ELNS1_11target_archE906ELNS1_3gpuE6ELNS1_3repE0EEENS1_30default_config_static_selectorELNS0_4arch9wavefront6targetE1EEEvT1_
		.amdhsa_group_segment_fixed_size 0
		.amdhsa_private_segment_fixed_size 0
		.amdhsa_kernarg_size 96
		.amdhsa_user_sgpr_count 6
		.amdhsa_user_sgpr_private_segment_buffer 1
		.amdhsa_user_sgpr_dispatch_ptr 0
		.amdhsa_user_sgpr_queue_ptr 0
		.amdhsa_user_sgpr_kernarg_segment_ptr 1
		.amdhsa_user_sgpr_dispatch_id 0
		.amdhsa_user_sgpr_flat_scratch_init 0
		.amdhsa_user_sgpr_kernarg_preload_length 0
		.amdhsa_user_sgpr_kernarg_preload_offset 0
		.amdhsa_user_sgpr_private_segment_size 0
		.amdhsa_uses_dynamic_stack 0
		.amdhsa_system_sgpr_private_segment_wavefront_offset 0
		.amdhsa_system_sgpr_workgroup_id_x 1
		.amdhsa_system_sgpr_workgroup_id_y 0
		.amdhsa_system_sgpr_workgroup_id_z 0
		.amdhsa_system_sgpr_workgroup_info 0
		.amdhsa_system_vgpr_workitem_id 0
		.amdhsa_next_free_vgpr 1
		.amdhsa_next_free_sgpr 0
		.amdhsa_accum_offset 4
		.amdhsa_reserve_vcc 0
		.amdhsa_reserve_flat_scratch 0
		.amdhsa_float_round_mode_32 0
		.amdhsa_float_round_mode_16_64 0
		.amdhsa_float_denorm_mode_32 3
		.amdhsa_float_denorm_mode_16_64 3
		.amdhsa_dx10_clamp 1
		.amdhsa_ieee_mode 1
		.amdhsa_fp16_overflow 0
		.amdhsa_tg_split 0
		.amdhsa_exception_fp_ieee_invalid_op 0
		.amdhsa_exception_fp_denorm_src 0
		.amdhsa_exception_fp_ieee_div_zero 0
		.amdhsa_exception_fp_ieee_overflow 0
		.amdhsa_exception_fp_ieee_underflow 0
		.amdhsa_exception_fp_ieee_inexact 0
		.amdhsa_exception_int_div_zero 0
	.end_amdhsa_kernel
	.section	.text._ZN7rocprim17ROCPRIM_400000_NS6detail17trampoline_kernelINS0_14default_configENS1_20scan_config_selectorIjEEZZNS1_9scan_implILNS1_25lookback_scan_determinismE0ELb0ELb0ES3_N6thrust23THRUST_200600_302600_NS6detail15normal_iteratorINS9_10device_ptrIjEEEESE_j11max_functorIjEjEEDaPvRmT3_T4_T5_mT6_P12ihipStream_tbENKUlT_T0_E_clISt17integral_constantIbLb0EEST_IbLb1EEEEDaSP_SQ_EUlSP_E_NS1_11comp_targetILNS1_3genE2ELNS1_11target_archE906ELNS1_3gpuE6ELNS1_3repE0EEENS1_30default_config_static_selectorELNS0_4arch9wavefront6targetE1EEEvT1_,"axG",@progbits,_ZN7rocprim17ROCPRIM_400000_NS6detail17trampoline_kernelINS0_14default_configENS1_20scan_config_selectorIjEEZZNS1_9scan_implILNS1_25lookback_scan_determinismE0ELb0ELb0ES3_N6thrust23THRUST_200600_302600_NS6detail15normal_iteratorINS9_10device_ptrIjEEEESE_j11max_functorIjEjEEDaPvRmT3_T4_T5_mT6_P12ihipStream_tbENKUlT_T0_E_clISt17integral_constantIbLb0EEST_IbLb1EEEEDaSP_SQ_EUlSP_E_NS1_11comp_targetILNS1_3genE2ELNS1_11target_archE906ELNS1_3gpuE6ELNS1_3repE0EEENS1_30default_config_static_selectorELNS0_4arch9wavefront6targetE1EEEvT1_,comdat
.Lfunc_end2315:
	.size	_ZN7rocprim17ROCPRIM_400000_NS6detail17trampoline_kernelINS0_14default_configENS1_20scan_config_selectorIjEEZZNS1_9scan_implILNS1_25lookback_scan_determinismE0ELb0ELb0ES3_N6thrust23THRUST_200600_302600_NS6detail15normal_iteratorINS9_10device_ptrIjEEEESE_j11max_functorIjEjEEDaPvRmT3_T4_T5_mT6_P12ihipStream_tbENKUlT_T0_E_clISt17integral_constantIbLb0EEST_IbLb1EEEEDaSP_SQ_EUlSP_E_NS1_11comp_targetILNS1_3genE2ELNS1_11target_archE906ELNS1_3gpuE6ELNS1_3repE0EEENS1_30default_config_static_selectorELNS0_4arch9wavefront6targetE1EEEvT1_, .Lfunc_end2315-_ZN7rocprim17ROCPRIM_400000_NS6detail17trampoline_kernelINS0_14default_configENS1_20scan_config_selectorIjEEZZNS1_9scan_implILNS1_25lookback_scan_determinismE0ELb0ELb0ES3_N6thrust23THRUST_200600_302600_NS6detail15normal_iteratorINS9_10device_ptrIjEEEESE_j11max_functorIjEjEEDaPvRmT3_T4_T5_mT6_P12ihipStream_tbENKUlT_T0_E_clISt17integral_constantIbLb0EEST_IbLb1EEEEDaSP_SQ_EUlSP_E_NS1_11comp_targetILNS1_3genE2ELNS1_11target_archE906ELNS1_3gpuE6ELNS1_3repE0EEENS1_30default_config_static_selectorELNS0_4arch9wavefront6targetE1EEEvT1_
                                        ; -- End function
	.section	.AMDGPU.csdata,"",@progbits
; Kernel info:
; codeLenInByte = 0
; NumSgprs: 4
; NumVgprs: 0
; NumAgprs: 0
; TotalNumVgprs: 0
; ScratchSize: 0
; MemoryBound: 0
; FloatMode: 240
; IeeeMode: 1
; LDSByteSize: 0 bytes/workgroup (compile time only)
; SGPRBlocks: 0
; VGPRBlocks: 0
; NumSGPRsForWavesPerEU: 4
; NumVGPRsForWavesPerEU: 1
; AccumOffset: 4
; Occupancy: 8
; WaveLimiterHint : 0
; COMPUTE_PGM_RSRC2:SCRATCH_EN: 0
; COMPUTE_PGM_RSRC2:USER_SGPR: 6
; COMPUTE_PGM_RSRC2:TRAP_HANDLER: 0
; COMPUTE_PGM_RSRC2:TGID_X_EN: 1
; COMPUTE_PGM_RSRC2:TGID_Y_EN: 0
; COMPUTE_PGM_RSRC2:TGID_Z_EN: 0
; COMPUTE_PGM_RSRC2:TIDIG_COMP_CNT: 0
; COMPUTE_PGM_RSRC3_GFX90A:ACCUM_OFFSET: 0
; COMPUTE_PGM_RSRC3_GFX90A:TG_SPLIT: 0
	.section	.text._ZN7rocprim17ROCPRIM_400000_NS6detail17trampoline_kernelINS0_14default_configENS1_20scan_config_selectorIjEEZZNS1_9scan_implILNS1_25lookback_scan_determinismE0ELb0ELb0ES3_N6thrust23THRUST_200600_302600_NS6detail15normal_iteratorINS9_10device_ptrIjEEEESE_j11max_functorIjEjEEDaPvRmT3_T4_T5_mT6_P12ihipStream_tbENKUlT_T0_E_clISt17integral_constantIbLb0EEST_IbLb1EEEEDaSP_SQ_EUlSP_E_NS1_11comp_targetILNS1_3genE10ELNS1_11target_archE1201ELNS1_3gpuE5ELNS1_3repE0EEENS1_30default_config_static_selectorELNS0_4arch9wavefront6targetE1EEEvT1_,"axG",@progbits,_ZN7rocprim17ROCPRIM_400000_NS6detail17trampoline_kernelINS0_14default_configENS1_20scan_config_selectorIjEEZZNS1_9scan_implILNS1_25lookback_scan_determinismE0ELb0ELb0ES3_N6thrust23THRUST_200600_302600_NS6detail15normal_iteratorINS9_10device_ptrIjEEEESE_j11max_functorIjEjEEDaPvRmT3_T4_T5_mT6_P12ihipStream_tbENKUlT_T0_E_clISt17integral_constantIbLb0EEST_IbLb1EEEEDaSP_SQ_EUlSP_E_NS1_11comp_targetILNS1_3genE10ELNS1_11target_archE1201ELNS1_3gpuE5ELNS1_3repE0EEENS1_30default_config_static_selectorELNS0_4arch9wavefront6targetE1EEEvT1_,comdat
	.protected	_ZN7rocprim17ROCPRIM_400000_NS6detail17trampoline_kernelINS0_14default_configENS1_20scan_config_selectorIjEEZZNS1_9scan_implILNS1_25lookback_scan_determinismE0ELb0ELb0ES3_N6thrust23THRUST_200600_302600_NS6detail15normal_iteratorINS9_10device_ptrIjEEEESE_j11max_functorIjEjEEDaPvRmT3_T4_T5_mT6_P12ihipStream_tbENKUlT_T0_E_clISt17integral_constantIbLb0EEST_IbLb1EEEEDaSP_SQ_EUlSP_E_NS1_11comp_targetILNS1_3genE10ELNS1_11target_archE1201ELNS1_3gpuE5ELNS1_3repE0EEENS1_30default_config_static_selectorELNS0_4arch9wavefront6targetE1EEEvT1_ ; -- Begin function _ZN7rocprim17ROCPRIM_400000_NS6detail17trampoline_kernelINS0_14default_configENS1_20scan_config_selectorIjEEZZNS1_9scan_implILNS1_25lookback_scan_determinismE0ELb0ELb0ES3_N6thrust23THRUST_200600_302600_NS6detail15normal_iteratorINS9_10device_ptrIjEEEESE_j11max_functorIjEjEEDaPvRmT3_T4_T5_mT6_P12ihipStream_tbENKUlT_T0_E_clISt17integral_constantIbLb0EEST_IbLb1EEEEDaSP_SQ_EUlSP_E_NS1_11comp_targetILNS1_3genE10ELNS1_11target_archE1201ELNS1_3gpuE5ELNS1_3repE0EEENS1_30default_config_static_selectorELNS0_4arch9wavefront6targetE1EEEvT1_
	.globl	_ZN7rocprim17ROCPRIM_400000_NS6detail17trampoline_kernelINS0_14default_configENS1_20scan_config_selectorIjEEZZNS1_9scan_implILNS1_25lookback_scan_determinismE0ELb0ELb0ES3_N6thrust23THRUST_200600_302600_NS6detail15normal_iteratorINS9_10device_ptrIjEEEESE_j11max_functorIjEjEEDaPvRmT3_T4_T5_mT6_P12ihipStream_tbENKUlT_T0_E_clISt17integral_constantIbLb0EEST_IbLb1EEEEDaSP_SQ_EUlSP_E_NS1_11comp_targetILNS1_3genE10ELNS1_11target_archE1201ELNS1_3gpuE5ELNS1_3repE0EEENS1_30default_config_static_selectorELNS0_4arch9wavefront6targetE1EEEvT1_
	.p2align	8
	.type	_ZN7rocprim17ROCPRIM_400000_NS6detail17trampoline_kernelINS0_14default_configENS1_20scan_config_selectorIjEEZZNS1_9scan_implILNS1_25lookback_scan_determinismE0ELb0ELb0ES3_N6thrust23THRUST_200600_302600_NS6detail15normal_iteratorINS9_10device_ptrIjEEEESE_j11max_functorIjEjEEDaPvRmT3_T4_T5_mT6_P12ihipStream_tbENKUlT_T0_E_clISt17integral_constantIbLb0EEST_IbLb1EEEEDaSP_SQ_EUlSP_E_NS1_11comp_targetILNS1_3genE10ELNS1_11target_archE1201ELNS1_3gpuE5ELNS1_3repE0EEENS1_30default_config_static_selectorELNS0_4arch9wavefront6targetE1EEEvT1_,@function
_ZN7rocprim17ROCPRIM_400000_NS6detail17trampoline_kernelINS0_14default_configENS1_20scan_config_selectorIjEEZZNS1_9scan_implILNS1_25lookback_scan_determinismE0ELb0ELb0ES3_N6thrust23THRUST_200600_302600_NS6detail15normal_iteratorINS9_10device_ptrIjEEEESE_j11max_functorIjEjEEDaPvRmT3_T4_T5_mT6_P12ihipStream_tbENKUlT_T0_E_clISt17integral_constantIbLb0EEST_IbLb1EEEEDaSP_SQ_EUlSP_E_NS1_11comp_targetILNS1_3genE10ELNS1_11target_archE1201ELNS1_3gpuE5ELNS1_3repE0EEENS1_30default_config_static_selectorELNS0_4arch9wavefront6targetE1EEEvT1_: ; @_ZN7rocprim17ROCPRIM_400000_NS6detail17trampoline_kernelINS0_14default_configENS1_20scan_config_selectorIjEEZZNS1_9scan_implILNS1_25lookback_scan_determinismE0ELb0ELb0ES3_N6thrust23THRUST_200600_302600_NS6detail15normal_iteratorINS9_10device_ptrIjEEEESE_j11max_functorIjEjEEDaPvRmT3_T4_T5_mT6_P12ihipStream_tbENKUlT_T0_E_clISt17integral_constantIbLb0EEST_IbLb1EEEEDaSP_SQ_EUlSP_E_NS1_11comp_targetILNS1_3genE10ELNS1_11target_archE1201ELNS1_3gpuE5ELNS1_3repE0EEENS1_30default_config_static_selectorELNS0_4arch9wavefront6targetE1EEEvT1_
; %bb.0:
	.section	.rodata,"a",@progbits
	.p2align	6, 0x0
	.amdhsa_kernel _ZN7rocprim17ROCPRIM_400000_NS6detail17trampoline_kernelINS0_14default_configENS1_20scan_config_selectorIjEEZZNS1_9scan_implILNS1_25lookback_scan_determinismE0ELb0ELb0ES3_N6thrust23THRUST_200600_302600_NS6detail15normal_iteratorINS9_10device_ptrIjEEEESE_j11max_functorIjEjEEDaPvRmT3_T4_T5_mT6_P12ihipStream_tbENKUlT_T0_E_clISt17integral_constantIbLb0EEST_IbLb1EEEEDaSP_SQ_EUlSP_E_NS1_11comp_targetILNS1_3genE10ELNS1_11target_archE1201ELNS1_3gpuE5ELNS1_3repE0EEENS1_30default_config_static_selectorELNS0_4arch9wavefront6targetE1EEEvT1_
		.amdhsa_group_segment_fixed_size 0
		.amdhsa_private_segment_fixed_size 0
		.amdhsa_kernarg_size 96
		.amdhsa_user_sgpr_count 6
		.amdhsa_user_sgpr_private_segment_buffer 1
		.amdhsa_user_sgpr_dispatch_ptr 0
		.amdhsa_user_sgpr_queue_ptr 0
		.amdhsa_user_sgpr_kernarg_segment_ptr 1
		.amdhsa_user_sgpr_dispatch_id 0
		.amdhsa_user_sgpr_flat_scratch_init 0
		.amdhsa_user_sgpr_kernarg_preload_length 0
		.amdhsa_user_sgpr_kernarg_preload_offset 0
		.amdhsa_user_sgpr_private_segment_size 0
		.amdhsa_uses_dynamic_stack 0
		.amdhsa_system_sgpr_private_segment_wavefront_offset 0
		.amdhsa_system_sgpr_workgroup_id_x 1
		.amdhsa_system_sgpr_workgroup_id_y 0
		.amdhsa_system_sgpr_workgroup_id_z 0
		.amdhsa_system_sgpr_workgroup_info 0
		.amdhsa_system_vgpr_workitem_id 0
		.amdhsa_next_free_vgpr 1
		.amdhsa_next_free_sgpr 0
		.amdhsa_accum_offset 4
		.amdhsa_reserve_vcc 0
		.amdhsa_reserve_flat_scratch 0
		.amdhsa_float_round_mode_32 0
		.amdhsa_float_round_mode_16_64 0
		.amdhsa_float_denorm_mode_32 3
		.amdhsa_float_denorm_mode_16_64 3
		.amdhsa_dx10_clamp 1
		.amdhsa_ieee_mode 1
		.amdhsa_fp16_overflow 0
		.amdhsa_tg_split 0
		.amdhsa_exception_fp_ieee_invalid_op 0
		.amdhsa_exception_fp_denorm_src 0
		.amdhsa_exception_fp_ieee_div_zero 0
		.amdhsa_exception_fp_ieee_overflow 0
		.amdhsa_exception_fp_ieee_underflow 0
		.amdhsa_exception_fp_ieee_inexact 0
		.amdhsa_exception_int_div_zero 0
	.end_amdhsa_kernel
	.section	.text._ZN7rocprim17ROCPRIM_400000_NS6detail17trampoline_kernelINS0_14default_configENS1_20scan_config_selectorIjEEZZNS1_9scan_implILNS1_25lookback_scan_determinismE0ELb0ELb0ES3_N6thrust23THRUST_200600_302600_NS6detail15normal_iteratorINS9_10device_ptrIjEEEESE_j11max_functorIjEjEEDaPvRmT3_T4_T5_mT6_P12ihipStream_tbENKUlT_T0_E_clISt17integral_constantIbLb0EEST_IbLb1EEEEDaSP_SQ_EUlSP_E_NS1_11comp_targetILNS1_3genE10ELNS1_11target_archE1201ELNS1_3gpuE5ELNS1_3repE0EEENS1_30default_config_static_selectorELNS0_4arch9wavefront6targetE1EEEvT1_,"axG",@progbits,_ZN7rocprim17ROCPRIM_400000_NS6detail17trampoline_kernelINS0_14default_configENS1_20scan_config_selectorIjEEZZNS1_9scan_implILNS1_25lookback_scan_determinismE0ELb0ELb0ES3_N6thrust23THRUST_200600_302600_NS6detail15normal_iteratorINS9_10device_ptrIjEEEESE_j11max_functorIjEjEEDaPvRmT3_T4_T5_mT6_P12ihipStream_tbENKUlT_T0_E_clISt17integral_constantIbLb0EEST_IbLb1EEEEDaSP_SQ_EUlSP_E_NS1_11comp_targetILNS1_3genE10ELNS1_11target_archE1201ELNS1_3gpuE5ELNS1_3repE0EEENS1_30default_config_static_selectorELNS0_4arch9wavefront6targetE1EEEvT1_,comdat
.Lfunc_end2316:
	.size	_ZN7rocprim17ROCPRIM_400000_NS6detail17trampoline_kernelINS0_14default_configENS1_20scan_config_selectorIjEEZZNS1_9scan_implILNS1_25lookback_scan_determinismE0ELb0ELb0ES3_N6thrust23THRUST_200600_302600_NS6detail15normal_iteratorINS9_10device_ptrIjEEEESE_j11max_functorIjEjEEDaPvRmT3_T4_T5_mT6_P12ihipStream_tbENKUlT_T0_E_clISt17integral_constantIbLb0EEST_IbLb1EEEEDaSP_SQ_EUlSP_E_NS1_11comp_targetILNS1_3genE10ELNS1_11target_archE1201ELNS1_3gpuE5ELNS1_3repE0EEENS1_30default_config_static_selectorELNS0_4arch9wavefront6targetE1EEEvT1_, .Lfunc_end2316-_ZN7rocprim17ROCPRIM_400000_NS6detail17trampoline_kernelINS0_14default_configENS1_20scan_config_selectorIjEEZZNS1_9scan_implILNS1_25lookback_scan_determinismE0ELb0ELb0ES3_N6thrust23THRUST_200600_302600_NS6detail15normal_iteratorINS9_10device_ptrIjEEEESE_j11max_functorIjEjEEDaPvRmT3_T4_T5_mT6_P12ihipStream_tbENKUlT_T0_E_clISt17integral_constantIbLb0EEST_IbLb1EEEEDaSP_SQ_EUlSP_E_NS1_11comp_targetILNS1_3genE10ELNS1_11target_archE1201ELNS1_3gpuE5ELNS1_3repE0EEENS1_30default_config_static_selectorELNS0_4arch9wavefront6targetE1EEEvT1_
                                        ; -- End function
	.section	.AMDGPU.csdata,"",@progbits
; Kernel info:
; codeLenInByte = 0
; NumSgprs: 4
; NumVgprs: 0
; NumAgprs: 0
; TotalNumVgprs: 0
; ScratchSize: 0
; MemoryBound: 0
; FloatMode: 240
; IeeeMode: 1
; LDSByteSize: 0 bytes/workgroup (compile time only)
; SGPRBlocks: 0
; VGPRBlocks: 0
; NumSGPRsForWavesPerEU: 4
; NumVGPRsForWavesPerEU: 1
; AccumOffset: 4
; Occupancy: 8
; WaveLimiterHint : 0
; COMPUTE_PGM_RSRC2:SCRATCH_EN: 0
; COMPUTE_PGM_RSRC2:USER_SGPR: 6
; COMPUTE_PGM_RSRC2:TRAP_HANDLER: 0
; COMPUTE_PGM_RSRC2:TGID_X_EN: 1
; COMPUTE_PGM_RSRC2:TGID_Y_EN: 0
; COMPUTE_PGM_RSRC2:TGID_Z_EN: 0
; COMPUTE_PGM_RSRC2:TIDIG_COMP_CNT: 0
; COMPUTE_PGM_RSRC3_GFX90A:ACCUM_OFFSET: 0
; COMPUTE_PGM_RSRC3_GFX90A:TG_SPLIT: 0
	.section	.text._ZN7rocprim17ROCPRIM_400000_NS6detail17trampoline_kernelINS0_14default_configENS1_20scan_config_selectorIjEEZZNS1_9scan_implILNS1_25lookback_scan_determinismE0ELb0ELb0ES3_N6thrust23THRUST_200600_302600_NS6detail15normal_iteratorINS9_10device_ptrIjEEEESE_j11max_functorIjEjEEDaPvRmT3_T4_T5_mT6_P12ihipStream_tbENKUlT_T0_E_clISt17integral_constantIbLb0EEST_IbLb1EEEEDaSP_SQ_EUlSP_E_NS1_11comp_targetILNS1_3genE10ELNS1_11target_archE1200ELNS1_3gpuE4ELNS1_3repE0EEENS1_30default_config_static_selectorELNS0_4arch9wavefront6targetE1EEEvT1_,"axG",@progbits,_ZN7rocprim17ROCPRIM_400000_NS6detail17trampoline_kernelINS0_14default_configENS1_20scan_config_selectorIjEEZZNS1_9scan_implILNS1_25lookback_scan_determinismE0ELb0ELb0ES3_N6thrust23THRUST_200600_302600_NS6detail15normal_iteratorINS9_10device_ptrIjEEEESE_j11max_functorIjEjEEDaPvRmT3_T4_T5_mT6_P12ihipStream_tbENKUlT_T0_E_clISt17integral_constantIbLb0EEST_IbLb1EEEEDaSP_SQ_EUlSP_E_NS1_11comp_targetILNS1_3genE10ELNS1_11target_archE1200ELNS1_3gpuE4ELNS1_3repE0EEENS1_30default_config_static_selectorELNS0_4arch9wavefront6targetE1EEEvT1_,comdat
	.protected	_ZN7rocprim17ROCPRIM_400000_NS6detail17trampoline_kernelINS0_14default_configENS1_20scan_config_selectorIjEEZZNS1_9scan_implILNS1_25lookback_scan_determinismE0ELb0ELb0ES3_N6thrust23THRUST_200600_302600_NS6detail15normal_iteratorINS9_10device_ptrIjEEEESE_j11max_functorIjEjEEDaPvRmT3_T4_T5_mT6_P12ihipStream_tbENKUlT_T0_E_clISt17integral_constantIbLb0EEST_IbLb1EEEEDaSP_SQ_EUlSP_E_NS1_11comp_targetILNS1_3genE10ELNS1_11target_archE1200ELNS1_3gpuE4ELNS1_3repE0EEENS1_30default_config_static_selectorELNS0_4arch9wavefront6targetE1EEEvT1_ ; -- Begin function _ZN7rocprim17ROCPRIM_400000_NS6detail17trampoline_kernelINS0_14default_configENS1_20scan_config_selectorIjEEZZNS1_9scan_implILNS1_25lookback_scan_determinismE0ELb0ELb0ES3_N6thrust23THRUST_200600_302600_NS6detail15normal_iteratorINS9_10device_ptrIjEEEESE_j11max_functorIjEjEEDaPvRmT3_T4_T5_mT6_P12ihipStream_tbENKUlT_T0_E_clISt17integral_constantIbLb0EEST_IbLb1EEEEDaSP_SQ_EUlSP_E_NS1_11comp_targetILNS1_3genE10ELNS1_11target_archE1200ELNS1_3gpuE4ELNS1_3repE0EEENS1_30default_config_static_selectorELNS0_4arch9wavefront6targetE1EEEvT1_
	.globl	_ZN7rocprim17ROCPRIM_400000_NS6detail17trampoline_kernelINS0_14default_configENS1_20scan_config_selectorIjEEZZNS1_9scan_implILNS1_25lookback_scan_determinismE0ELb0ELb0ES3_N6thrust23THRUST_200600_302600_NS6detail15normal_iteratorINS9_10device_ptrIjEEEESE_j11max_functorIjEjEEDaPvRmT3_T4_T5_mT6_P12ihipStream_tbENKUlT_T0_E_clISt17integral_constantIbLb0EEST_IbLb1EEEEDaSP_SQ_EUlSP_E_NS1_11comp_targetILNS1_3genE10ELNS1_11target_archE1200ELNS1_3gpuE4ELNS1_3repE0EEENS1_30default_config_static_selectorELNS0_4arch9wavefront6targetE1EEEvT1_
	.p2align	8
	.type	_ZN7rocprim17ROCPRIM_400000_NS6detail17trampoline_kernelINS0_14default_configENS1_20scan_config_selectorIjEEZZNS1_9scan_implILNS1_25lookback_scan_determinismE0ELb0ELb0ES3_N6thrust23THRUST_200600_302600_NS6detail15normal_iteratorINS9_10device_ptrIjEEEESE_j11max_functorIjEjEEDaPvRmT3_T4_T5_mT6_P12ihipStream_tbENKUlT_T0_E_clISt17integral_constantIbLb0EEST_IbLb1EEEEDaSP_SQ_EUlSP_E_NS1_11comp_targetILNS1_3genE10ELNS1_11target_archE1200ELNS1_3gpuE4ELNS1_3repE0EEENS1_30default_config_static_selectorELNS0_4arch9wavefront6targetE1EEEvT1_,@function
_ZN7rocprim17ROCPRIM_400000_NS6detail17trampoline_kernelINS0_14default_configENS1_20scan_config_selectorIjEEZZNS1_9scan_implILNS1_25lookback_scan_determinismE0ELb0ELb0ES3_N6thrust23THRUST_200600_302600_NS6detail15normal_iteratorINS9_10device_ptrIjEEEESE_j11max_functorIjEjEEDaPvRmT3_T4_T5_mT6_P12ihipStream_tbENKUlT_T0_E_clISt17integral_constantIbLb0EEST_IbLb1EEEEDaSP_SQ_EUlSP_E_NS1_11comp_targetILNS1_3genE10ELNS1_11target_archE1200ELNS1_3gpuE4ELNS1_3repE0EEENS1_30default_config_static_selectorELNS0_4arch9wavefront6targetE1EEEvT1_: ; @_ZN7rocprim17ROCPRIM_400000_NS6detail17trampoline_kernelINS0_14default_configENS1_20scan_config_selectorIjEEZZNS1_9scan_implILNS1_25lookback_scan_determinismE0ELb0ELb0ES3_N6thrust23THRUST_200600_302600_NS6detail15normal_iteratorINS9_10device_ptrIjEEEESE_j11max_functorIjEjEEDaPvRmT3_T4_T5_mT6_P12ihipStream_tbENKUlT_T0_E_clISt17integral_constantIbLb0EEST_IbLb1EEEEDaSP_SQ_EUlSP_E_NS1_11comp_targetILNS1_3genE10ELNS1_11target_archE1200ELNS1_3gpuE4ELNS1_3repE0EEENS1_30default_config_static_selectorELNS0_4arch9wavefront6targetE1EEEvT1_
; %bb.0:
	.section	.rodata,"a",@progbits
	.p2align	6, 0x0
	.amdhsa_kernel _ZN7rocprim17ROCPRIM_400000_NS6detail17trampoline_kernelINS0_14default_configENS1_20scan_config_selectorIjEEZZNS1_9scan_implILNS1_25lookback_scan_determinismE0ELb0ELb0ES3_N6thrust23THRUST_200600_302600_NS6detail15normal_iteratorINS9_10device_ptrIjEEEESE_j11max_functorIjEjEEDaPvRmT3_T4_T5_mT6_P12ihipStream_tbENKUlT_T0_E_clISt17integral_constantIbLb0EEST_IbLb1EEEEDaSP_SQ_EUlSP_E_NS1_11comp_targetILNS1_3genE10ELNS1_11target_archE1200ELNS1_3gpuE4ELNS1_3repE0EEENS1_30default_config_static_selectorELNS0_4arch9wavefront6targetE1EEEvT1_
		.amdhsa_group_segment_fixed_size 0
		.amdhsa_private_segment_fixed_size 0
		.amdhsa_kernarg_size 96
		.amdhsa_user_sgpr_count 6
		.amdhsa_user_sgpr_private_segment_buffer 1
		.amdhsa_user_sgpr_dispatch_ptr 0
		.amdhsa_user_sgpr_queue_ptr 0
		.amdhsa_user_sgpr_kernarg_segment_ptr 1
		.amdhsa_user_sgpr_dispatch_id 0
		.amdhsa_user_sgpr_flat_scratch_init 0
		.amdhsa_user_sgpr_kernarg_preload_length 0
		.amdhsa_user_sgpr_kernarg_preload_offset 0
		.amdhsa_user_sgpr_private_segment_size 0
		.amdhsa_uses_dynamic_stack 0
		.amdhsa_system_sgpr_private_segment_wavefront_offset 0
		.amdhsa_system_sgpr_workgroup_id_x 1
		.amdhsa_system_sgpr_workgroup_id_y 0
		.amdhsa_system_sgpr_workgroup_id_z 0
		.amdhsa_system_sgpr_workgroup_info 0
		.amdhsa_system_vgpr_workitem_id 0
		.amdhsa_next_free_vgpr 1
		.amdhsa_next_free_sgpr 0
		.amdhsa_accum_offset 4
		.amdhsa_reserve_vcc 0
		.amdhsa_reserve_flat_scratch 0
		.amdhsa_float_round_mode_32 0
		.amdhsa_float_round_mode_16_64 0
		.amdhsa_float_denorm_mode_32 3
		.amdhsa_float_denorm_mode_16_64 3
		.amdhsa_dx10_clamp 1
		.amdhsa_ieee_mode 1
		.amdhsa_fp16_overflow 0
		.amdhsa_tg_split 0
		.amdhsa_exception_fp_ieee_invalid_op 0
		.amdhsa_exception_fp_denorm_src 0
		.amdhsa_exception_fp_ieee_div_zero 0
		.amdhsa_exception_fp_ieee_overflow 0
		.amdhsa_exception_fp_ieee_underflow 0
		.amdhsa_exception_fp_ieee_inexact 0
		.amdhsa_exception_int_div_zero 0
	.end_amdhsa_kernel
	.section	.text._ZN7rocprim17ROCPRIM_400000_NS6detail17trampoline_kernelINS0_14default_configENS1_20scan_config_selectorIjEEZZNS1_9scan_implILNS1_25lookback_scan_determinismE0ELb0ELb0ES3_N6thrust23THRUST_200600_302600_NS6detail15normal_iteratorINS9_10device_ptrIjEEEESE_j11max_functorIjEjEEDaPvRmT3_T4_T5_mT6_P12ihipStream_tbENKUlT_T0_E_clISt17integral_constantIbLb0EEST_IbLb1EEEEDaSP_SQ_EUlSP_E_NS1_11comp_targetILNS1_3genE10ELNS1_11target_archE1200ELNS1_3gpuE4ELNS1_3repE0EEENS1_30default_config_static_selectorELNS0_4arch9wavefront6targetE1EEEvT1_,"axG",@progbits,_ZN7rocprim17ROCPRIM_400000_NS6detail17trampoline_kernelINS0_14default_configENS1_20scan_config_selectorIjEEZZNS1_9scan_implILNS1_25lookback_scan_determinismE0ELb0ELb0ES3_N6thrust23THRUST_200600_302600_NS6detail15normal_iteratorINS9_10device_ptrIjEEEESE_j11max_functorIjEjEEDaPvRmT3_T4_T5_mT6_P12ihipStream_tbENKUlT_T0_E_clISt17integral_constantIbLb0EEST_IbLb1EEEEDaSP_SQ_EUlSP_E_NS1_11comp_targetILNS1_3genE10ELNS1_11target_archE1200ELNS1_3gpuE4ELNS1_3repE0EEENS1_30default_config_static_selectorELNS0_4arch9wavefront6targetE1EEEvT1_,comdat
.Lfunc_end2317:
	.size	_ZN7rocprim17ROCPRIM_400000_NS6detail17trampoline_kernelINS0_14default_configENS1_20scan_config_selectorIjEEZZNS1_9scan_implILNS1_25lookback_scan_determinismE0ELb0ELb0ES3_N6thrust23THRUST_200600_302600_NS6detail15normal_iteratorINS9_10device_ptrIjEEEESE_j11max_functorIjEjEEDaPvRmT3_T4_T5_mT6_P12ihipStream_tbENKUlT_T0_E_clISt17integral_constantIbLb0EEST_IbLb1EEEEDaSP_SQ_EUlSP_E_NS1_11comp_targetILNS1_3genE10ELNS1_11target_archE1200ELNS1_3gpuE4ELNS1_3repE0EEENS1_30default_config_static_selectorELNS0_4arch9wavefront6targetE1EEEvT1_, .Lfunc_end2317-_ZN7rocprim17ROCPRIM_400000_NS6detail17trampoline_kernelINS0_14default_configENS1_20scan_config_selectorIjEEZZNS1_9scan_implILNS1_25lookback_scan_determinismE0ELb0ELb0ES3_N6thrust23THRUST_200600_302600_NS6detail15normal_iteratorINS9_10device_ptrIjEEEESE_j11max_functorIjEjEEDaPvRmT3_T4_T5_mT6_P12ihipStream_tbENKUlT_T0_E_clISt17integral_constantIbLb0EEST_IbLb1EEEEDaSP_SQ_EUlSP_E_NS1_11comp_targetILNS1_3genE10ELNS1_11target_archE1200ELNS1_3gpuE4ELNS1_3repE0EEENS1_30default_config_static_selectorELNS0_4arch9wavefront6targetE1EEEvT1_
                                        ; -- End function
	.section	.AMDGPU.csdata,"",@progbits
; Kernel info:
; codeLenInByte = 0
; NumSgprs: 4
; NumVgprs: 0
; NumAgprs: 0
; TotalNumVgprs: 0
; ScratchSize: 0
; MemoryBound: 0
; FloatMode: 240
; IeeeMode: 1
; LDSByteSize: 0 bytes/workgroup (compile time only)
; SGPRBlocks: 0
; VGPRBlocks: 0
; NumSGPRsForWavesPerEU: 4
; NumVGPRsForWavesPerEU: 1
; AccumOffset: 4
; Occupancy: 8
; WaveLimiterHint : 0
; COMPUTE_PGM_RSRC2:SCRATCH_EN: 0
; COMPUTE_PGM_RSRC2:USER_SGPR: 6
; COMPUTE_PGM_RSRC2:TRAP_HANDLER: 0
; COMPUTE_PGM_RSRC2:TGID_X_EN: 1
; COMPUTE_PGM_RSRC2:TGID_Y_EN: 0
; COMPUTE_PGM_RSRC2:TGID_Z_EN: 0
; COMPUTE_PGM_RSRC2:TIDIG_COMP_CNT: 0
; COMPUTE_PGM_RSRC3_GFX90A:ACCUM_OFFSET: 0
; COMPUTE_PGM_RSRC3_GFX90A:TG_SPLIT: 0
	.section	.text._ZN7rocprim17ROCPRIM_400000_NS6detail17trampoline_kernelINS0_14default_configENS1_20scan_config_selectorIjEEZZNS1_9scan_implILNS1_25lookback_scan_determinismE0ELb0ELb0ES3_N6thrust23THRUST_200600_302600_NS6detail15normal_iteratorINS9_10device_ptrIjEEEESE_j11max_functorIjEjEEDaPvRmT3_T4_T5_mT6_P12ihipStream_tbENKUlT_T0_E_clISt17integral_constantIbLb0EEST_IbLb1EEEEDaSP_SQ_EUlSP_E_NS1_11comp_targetILNS1_3genE9ELNS1_11target_archE1100ELNS1_3gpuE3ELNS1_3repE0EEENS1_30default_config_static_selectorELNS0_4arch9wavefront6targetE1EEEvT1_,"axG",@progbits,_ZN7rocprim17ROCPRIM_400000_NS6detail17trampoline_kernelINS0_14default_configENS1_20scan_config_selectorIjEEZZNS1_9scan_implILNS1_25lookback_scan_determinismE0ELb0ELb0ES3_N6thrust23THRUST_200600_302600_NS6detail15normal_iteratorINS9_10device_ptrIjEEEESE_j11max_functorIjEjEEDaPvRmT3_T4_T5_mT6_P12ihipStream_tbENKUlT_T0_E_clISt17integral_constantIbLb0EEST_IbLb1EEEEDaSP_SQ_EUlSP_E_NS1_11comp_targetILNS1_3genE9ELNS1_11target_archE1100ELNS1_3gpuE3ELNS1_3repE0EEENS1_30default_config_static_selectorELNS0_4arch9wavefront6targetE1EEEvT1_,comdat
	.protected	_ZN7rocprim17ROCPRIM_400000_NS6detail17trampoline_kernelINS0_14default_configENS1_20scan_config_selectorIjEEZZNS1_9scan_implILNS1_25lookback_scan_determinismE0ELb0ELb0ES3_N6thrust23THRUST_200600_302600_NS6detail15normal_iteratorINS9_10device_ptrIjEEEESE_j11max_functorIjEjEEDaPvRmT3_T4_T5_mT6_P12ihipStream_tbENKUlT_T0_E_clISt17integral_constantIbLb0EEST_IbLb1EEEEDaSP_SQ_EUlSP_E_NS1_11comp_targetILNS1_3genE9ELNS1_11target_archE1100ELNS1_3gpuE3ELNS1_3repE0EEENS1_30default_config_static_selectorELNS0_4arch9wavefront6targetE1EEEvT1_ ; -- Begin function _ZN7rocprim17ROCPRIM_400000_NS6detail17trampoline_kernelINS0_14default_configENS1_20scan_config_selectorIjEEZZNS1_9scan_implILNS1_25lookback_scan_determinismE0ELb0ELb0ES3_N6thrust23THRUST_200600_302600_NS6detail15normal_iteratorINS9_10device_ptrIjEEEESE_j11max_functorIjEjEEDaPvRmT3_T4_T5_mT6_P12ihipStream_tbENKUlT_T0_E_clISt17integral_constantIbLb0EEST_IbLb1EEEEDaSP_SQ_EUlSP_E_NS1_11comp_targetILNS1_3genE9ELNS1_11target_archE1100ELNS1_3gpuE3ELNS1_3repE0EEENS1_30default_config_static_selectorELNS0_4arch9wavefront6targetE1EEEvT1_
	.globl	_ZN7rocprim17ROCPRIM_400000_NS6detail17trampoline_kernelINS0_14default_configENS1_20scan_config_selectorIjEEZZNS1_9scan_implILNS1_25lookback_scan_determinismE0ELb0ELb0ES3_N6thrust23THRUST_200600_302600_NS6detail15normal_iteratorINS9_10device_ptrIjEEEESE_j11max_functorIjEjEEDaPvRmT3_T4_T5_mT6_P12ihipStream_tbENKUlT_T0_E_clISt17integral_constantIbLb0EEST_IbLb1EEEEDaSP_SQ_EUlSP_E_NS1_11comp_targetILNS1_3genE9ELNS1_11target_archE1100ELNS1_3gpuE3ELNS1_3repE0EEENS1_30default_config_static_selectorELNS0_4arch9wavefront6targetE1EEEvT1_
	.p2align	8
	.type	_ZN7rocprim17ROCPRIM_400000_NS6detail17trampoline_kernelINS0_14default_configENS1_20scan_config_selectorIjEEZZNS1_9scan_implILNS1_25lookback_scan_determinismE0ELb0ELb0ES3_N6thrust23THRUST_200600_302600_NS6detail15normal_iteratorINS9_10device_ptrIjEEEESE_j11max_functorIjEjEEDaPvRmT3_T4_T5_mT6_P12ihipStream_tbENKUlT_T0_E_clISt17integral_constantIbLb0EEST_IbLb1EEEEDaSP_SQ_EUlSP_E_NS1_11comp_targetILNS1_3genE9ELNS1_11target_archE1100ELNS1_3gpuE3ELNS1_3repE0EEENS1_30default_config_static_selectorELNS0_4arch9wavefront6targetE1EEEvT1_,@function
_ZN7rocprim17ROCPRIM_400000_NS6detail17trampoline_kernelINS0_14default_configENS1_20scan_config_selectorIjEEZZNS1_9scan_implILNS1_25lookback_scan_determinismE0ELb0ELb0ES3_N6thrust23THRUST_200600_302600_NS6detail15normal_iteratorINS9_10device_ptrIjEEEESE_j11max_functorIjEjEEDaPvRmT3_T4_T5_mT6_P12ihipStream_tbENKUlT_T0_E_clISt17integral_constantIbLb0EEST_IbLb1EEEEDaSP_SQ_EUlSP_E_NS1_11comp_targetILNS1_3genE9ELNS1_11target_archE1100ELNS1_3gpuE3ELNS1_3repE0EEENS1_30default_config_static_selectorELNS0_4arch9wavefront6targetE1EEEvT1_: ; @_ZN7rocprim17ROCPRIM_400000_NS6detail17trampoline_kernelINS0_14default_configENS1_20scan_config_selectorIjEEZZNS1_9scan_implILNS1_25lookback_scan_determinismE0ELb0ELb0ES3_N6thrust23THRUST_200600_302600_NS6detail15normal_iteratorINS9_10device_ptrIjEEEESE_j11max_functorIjEjEEDaPvRmT3_T4_T5_mT6_P12ihipStream_tbENKUlT_T0_E_clISt17integral_constantIbLb0EEST_IbLb1EEEEDaSP_SQ_EUlSP_E_NS1_11comp_targetILNS1_3genE9ELNS1_11target_archE1100ELNS1_3gpuE3ELNS1_3repE0EEENS1_30default_config_static_selectorELNS0_4arch9wavefront6targetE1EEEvT1_
; %bb.0:
	.section	.rodata,"a",@progbits
	.p2align	6, 0x0
	.amdhsa_kernel _ZN7rocprim17ROCPRIM_400000_NS6detail17trampoline_kernelINS0_14default_configENS1_20scan_config_selectorIjEEZZNS1_9scan_implILNS1_25lookback_scan_determinismE0ELb0ELb0ES3_N6thrust23THRUST_200600_302600_NS6detail15normal_iteratorINS9_10device_ptrIjEEEESE_j11max_functorIjEjEEDaPvRmT3_T4_T5_mT6_P12ihipStream_tbENKUlT_T0_E_clISt17integral_constantIbLb0EEST_IbLb1EEEEDaSP_SQ_EUlSP_E_NS1_11comp_targetILNS1_3genE9ELNS1_11target_archE1100ELNS1_3gpuE3ELNS1_3repE0EEENS1_30default_config_static_selectorELNS0_4arch9wavefront6targetE1EEEvT1_
		.amdhsa_group_segment_fixed_size 0
		.amdhsa_private_segment_fixed_size 0
		.amdhsa_kernarg_size 96
		.amdhsa_user_sgpr_count 6
		.amdhsa_user_sgpr_private_segment_buffer 1
		.amdhsa_user_sgpr_dispatch_ptr 0
		.amdhsa_user_sgpr_queue_ptr 0
		.amdhsa_user_sgpr_kernarg_segment_ptr 1
		.amdhsa_user_sgpr_dispatch_id 0
		.amdhsa_user_sgpr_flat_scratch_init 0
		.amdhsa_user_sgpr_kernarg_preload_length 0
		.amdhsa_user_sgpr_kernarg_preload_offset 0
		.amdhsa_user_sgpr_private_segment_size 0
		.amdhsa_uses_dynamic_stack 0
		.amdhsa_system_sgpr_private_segment_wavefront_offset 0
		.amdhsa_system_sgpr_workgroup_id_x 1
		.amdhsa_system_sgpr_workgroup_id_y 0
		.amdhsa_system_sgpr_workgroup_id_z 0
		.amdhsa_system_sgpr_workgroup_info 0
		.amdhsa_system_vgpr_workitem_id 0
		.amdhsa_next_free_vgpr 1
		.amdhsa_next_free_sgpr 0
		.amdhsa_accum_offset 4
		.amdhsa_reserve_vcc 0
		.amdhsa_reserve_flat_scratch 0
		.amdhsa_float_round_mode_32 0
		.amdhsa_float_round_mode_16_64 0
		.amdhsa_float_denorm_mode_32 3
		.amdhsa_float_denorm_mode_16_64 3
		.amdhsa_dx10_clamp 1
		.amdhsa_ieee_mode 1
		.amdhsa_fp16_overflow 0
		.amdhsa_tg_split 0
		.amdhsa_exception_fp_ieee_invalid_op 0
		.amdhsa_exception_fp_denorm_src 0
		.amdhsa_exception_fp_ieee_div_zero 0
		.amdhsa_exception_fp_ieee_overflow 0
		.amdhsa_exception_fp_ieee_underflow 0
		.amdhsa_exception_fp_ieee_inexact 0
		.amdhsa_exception_int_div_zero 0
	.end_amdhsa_kernel
	.section	.text._ZN7rocprim17ROCPRIM_400000_NS6detail17trampoline_kernelINS0_14default_configENS1_20scan_config_selectorIjEEZZNS1_9scan_implILNS1_25lookback_scan_determinismE0ELb0ELb0ES3_N6thrust23THRUST_200600_302600_NS6detail15normal_iteratorINS9_10device_ptrIjEEEESE_j11max_functorIjEjEEDaPvRmT3_T4_T5_mT6_P12ihipStream_tbENKUlT_T0_E_clISt17integral_constantIbLb0EEST_IbLb1EEEEDaSP_SQ_EUlSP_E_NS1_11comp_targetILNS1_3genE9ELNS1_11target_archE1100ELNS1_3gpuE3ELNS1_3repE0EEENS1_30default_config_static_selectorELNS0_4arch9wavefront6targetE1EEEvT1_,"axG",@progbits,_ZN7rocprim17ROCPRIM_400000_NS6detail17trampoline_kernelINS0_14default_configENS1_20scan_config_selectorIjEEZZNS1_9scan_implILNS1_25lookback_scan_determinismE0ELb0ELb0ES3_N6thrust23THRUST_200600_302600_NS6detail15normal_iteratorINS9_10device_ptrIjEEEESE_j11max_functorIjEjEEDaPvRmT3_T4_T5_mT6_P12ihipStream_tbENKUlT_T0_E_clISt17integral_constantIbLb0EEST_IbLb1EEEEDaSP_SQ_EUlSP_E_NS1_11comp_targetILNS1_3genE9ELNS1_11target_archE1100ELNS1_3gpuE3ELNS1_3repE0EEENS1_30default_config_static_selectorELNS0_4arch9wavefront6targetE1EEEvT1_,comdat
.Lfunc_end2318:
	.size	_ZN7rocprim17ROCPRIM_400000_NS6detail17trampoline_kernelINS0_14default_configENS1_20scan_config_selectorIjEEZZNS1_9scan_implILNS1_25lookback_scan_determinismE0ELb0ELb0ES3_N6thrust23THRUST_200600_302600_NS6detail15normal_iteratorINS9_10device_ptrIjEEEESE_j11max_functorIjEjEEDaPvRmT3_T4_T5_mT6_P12ihipStream_tbENKUlT_T0_E_clISt17integral_constantIbLb0EEST_IbLb1EEEEDaSP_SQ_EUlSP_E_NS1_11comp_targetILNS1_3genE9ELNS1_11target_archE1100ELNS1_3gpuE3ELNS1_3repE0EEENS1_30default_config_static_selectorELNS0_4arch9wavefront6targetE1EEEvT1_, .Lfunc_end2318-_ZN7rocprim17ROCPRIM_400000_NS6detail17trampoline_kernelINS0_14default_configENS1_20scan_config_selectorIjEEZZNS1_9scan_implILNS1_25lookback_scan_determinismE0ELb0ELb0ES3_N6thrust23THRUST_200600_302600_NS6detail15normal_iteratorINS9_10device_ptrIjEEEESE_j11max_functorIjEjEEDaPvRmT3_T4_T5_mT6_P12ihipStream_tbENKUlT_T0_E_clISt17integral_constantIbLb0EEST_IbLb1EEEEDaSP_SQ_EUlSP_E_NS1_11comp_targetILNS1_3genE9ELNS1_11target_archE1100ELNS1_3gpuE3ELNS1_3repE0EEENS1_30default_config_static_selectorELNS0_4arch9wavefront6targetE1EEEvT1_
                                        ; -- End function
	.section	.AMDGPU.csdata,"",@progbits
; Kernel info:
; codeLenInByte = 0
; NumSgprs: 4
; NumVgprs: 0
; NumAgprs: 0
; TotalNumVgprs: 0
; ScratchSize: 0
; MemoryBound: 0
; FloatMode: 240
; IeeeMode: 1
; LDSByteSize: 0 bytes/workgroup (compile time only)
; SGPRBlocks: 0
; VGPRBlocks: 0
; NumSGPRsForWavesPerEU: 4
; NumVGPRsForWavesPerEU: 1
; AccumOffset: 4
; Occupancy: 8
; WaveLimiterHint : 0
; COMPUTE_PGM_RSRC2:SCRATCH_EN: 0
; COMPUTE_PGM_RSRC2:USER_SGPR: 6
; COMPUTE_PGM_RSRC2:TRAP_HANDLER: 0
; COMPUTE_PGM_RSRC2:TGID_X_EN: 1
; COMPUTE_PGM_RSRC2:TGID_Y_EN: 0
; COMPUTE_PGM_RSRC2:TGID_Z_EN: 0
; COMPUTE_PGM_RSRC2:TIDIG_COMP_CNT: 0
; COMPUTE_PGM_RSRC3_GFX90A:ACCUM_OFFSET: 0
; COMPUTE_PGM_RSRC3_GFX90A:TG_SPLIT: 0
	.section	.text._ZN7rocprim17ROCPRIM_400000_NS6detail17trampoline_kernelINS0_14default_configENS1_20scan_config_selectorIjEEZZNS1_9scan_implILNS1_25lookback_scan_determinismE0ELb0ELb0ES3_N6thrust23THRUST_200600_302600_NS6detail15normal_iteratorINS9_10device_ptrIjEEEESE_j11max_functorIjEjEEDaPvRmT3_T4_T5_mT6_P12ihipStream_tbENKUlT_T0_E_clISt17integral_constantIbLb0EEST_IbLb1EEEEDaSP_SQ_EUlSP_E_NS1_11comp_targetILNS1_3genE8ELNS1_11target_archE1030ELNS1_3gpuE2ELNS1_3repE0EEENS1_30default_config_static_selectorELNS0_4arch9wavefront6targetE1EEEvT1_,"axG",@progbits,_ZN7rocprim17ROCPRIM_400000_NS6detail17trampoline_kernelINS0_14default_configENS1_20scan_config_selectorIjEEZZNS1_9scan_implILNS1_25lookback_scan_determinismE0ELb0ELb0ES3_N6thrust23THRUST_200600_302600_NS6detail15normal_iteratorINS9_10device_ptrIjEEEESE_j11max_functorIjEjEEDaPvRmT3_T4_T5_mT6_P12ihipStream_tbENKUlT_T0_E_clISt17integral_constantIbLb0EEST_IbLb1EEEEDaSP_SQ_EUlSP_E_NS1_11comp_targetILNS1_3genE8ELNS1_11target_archE1030ELNS1_3gpuE2ELNS1_3repE0EEENS1_30default_config_static_selectorELNS0_4arch9wavefront6targetE1EEEvT1_,comdat
	.protected	_ZN7rocprim17ROCPRIM_400000_NS6detail17trampoline_kernelINS0_14default_configENS1_20scan_config_selectorIjEEZZNS1_9scan_implILNS1_25lookback_scan_determinismE0ELb0ELb0ES3_N6thrust23THRUST_200600_302600_NS6detail15normal_iteratorINS9_10device_ptrIjEEEESE_j11max_functorIjEjEEDaPvRmT3_T4_T5_mT6_P12ihipStream_tbENKUlT_T0_E_clISt17integral_constantIbLb0EEST_IbLb1EEEEDaSP_SQ_EUlSP_E_NS1_11comp_targetILNS1_3genE8ELNS1_11target_archE1030ELNS1_3gpuE2ELNS1_3repE0EEENS1_30default_config_static_selectorELNS0_4arch9wavefront6targetE1EEEvT1_ ; -- Begin function _ZN7rocprim17ROCPRIM_400000_NS6detail17trampoline_kernelINS0_14default_configENS1_20scan_config_selectorIjEEZZNS1_9scan_implILNS1_25lookback_scan_determinismE0ELb0ELb0ES3_N6thrust23THRUST_200600_302600_NS6detail15normal_iteratorINS9_10device_ptrIjEEEESE_j11max_functorIjEjEEDaPvRmT3_T4_T5_mT6_P12ihipStream_tbENKUlT_T0_E_clISt17integral_constantIbLb0EEST_IbLb1EEEEDaSP_SQ_EUlSP_E_NS1_11comp_targetILNS1_3genE8ELNS1_11target_archE1030ELNS1_3gpuE2ELNS1_3repE0EEENS1_30default_config_static_selectorELNS0_4arch9wavefront6targetE1EEEvT1_
	.globl	_ZN7rocprim17ROCPRIM_400000_NS6detail17trampoline_kernelINS0_14default_configENS1_20scan_config_selectorIjEEZZNS1_9scan_implILNS1_25lookback_scan_determinismE0ELb0ELb0ES3_N6thrust23THRUST_200600_302600_NS6detail15normal_iteratorINS9_10device_ptrIjEEEESE_j11max_functorIjEjEEDaPvRmT3_T4_T5_mT6_P12ihipStream_tbENKUlT_T0_E_clISt17integral_constantIbLb0EEST_IbLb1EEEEDaSP_SQ_EUlSP_E_NS1_11comp_targetILNS1_3genE8ELNS1_11target_archE1030ELNS1_3gpuE2ELNS1_3repE0EEENS1_30default_config_static_selectorELNS0_4arch9wavefront6targetE1EEEvT1_
	.p2align	8
	.type	_ZN7rocprim17ROCPRIM_400000_NS6detail17trampoline_kernelINS0_14default_configENS1_20scan_config_selectorIjEEZZNS1_9scan_implILNS1_25lookback_scan_determinismE0ELb0ELb0ES3_N6thrust23THRUST_200600_302600_NS6detail15normal_iteratorINS9_10device_ptrIjEEEESE_j11max_functorIjEjEEDaPvRmT3_T4_T5_mT6_P12ihipStream_tbENKUlT_T0_E_clISt17integral_constantIbLb0EEST_IbLb1EEEEDaSP_SQ_EUlSP_E_NS1_11comp_targetILNS1_3genE8ELNS1_11target_archE1030ELNS1_3gpuE2ELNS1_3repE0EEENS1_30default_config_static_selectorELNS0_4arch9wavefront6targetE1EEEvT1_,@function
_ZN7rocprim17ROCPRIM_400000_NS6detail17trampoline_kernelINS0_14default_configENS1_20scan_config_selectorIjEEZZNS1_9scan_implILNS1_25lookback_scan_determinismE0ELb0ELb0ES3_N6thrust23THRUST_200600_302600_NS6detail15normal_iteratorINS9_10device_ptrIjEEEESE_j11max_functorIjEjEEDaPvRmT3_T4_T5_mT6_P12ihipStream_tbENKUlT_T0_E_clISt17integral_constantIbLb0EEST_IbLb1EEEEDaSP_SQ_EUlSP_E_NS1_11comp_targetILNS1_3genE8ELNS1_11target_archE1030ELNS1_3gpuE2ELNS1_3repE0EEENS1_30default_config_static_selectorELNS0_4arch9wavefront6targetE1EEEvT1_: ; @_ZN7rocprim17ROCPRIM_400000_NS6detail17trampoline_kernelINS0_14default_configENS1_20scan_config_selectorIjEEZZNS1_9scan_implILNS1_25lookback_scan_determinismE0ELb0ELb0ES3_N6thrust23THRUST_200600_302600_NS6detail15normal_iteratorINS9_10device_ptrIjEEEESE_j11max_functorIjEjEEDaPvRmT3_T4_T5_mT6_P12ihipStream_tbENKUlT_T0_E_clISt17integral_constantIbLb0EEST_IbLb1EEEEDaSP_SQ_EUlSP_E_NS1_11comp_targetILNS1_3genE8ELNS1_11target_archE1030ELNS1_3gpuE2ELNS1_3repE0EEENS1_30default_config_static_selectorELNS0_4arch9wavefront6targetE1EEEvT1_
; %bb.0:
	.section	.rodata,"a",@progbits
	.p2align	6, 0x0
	.amdhsa_kernel _ZN7rocprim17ROCPRIM_400000_NS6detail17trampoline_kernelINS0_14default_configENS1_20scan_config_selectorIjEEZZNS1_9scan_implILNS1_25lookback_scan_determinismE0ELb0ELb0ES3_N6thrust23THRUST_200600_302600_NS6detail15normal_iteratorINS9_10device_ptrIjEEEESE_j11max_functorIjEjEEDaPvRmT3_T4_T5_mT6_P12ihipStream_tbENKUlT_T0_E_clISt17integral_constantIbLb0EEST_IbLb1EEEEDaSP_SQ_EUlSP_E_NS1_11comp_targetILNS1_3genE8ELNS1_11target_archE1030ELNS1_3gpuE2ELNS1_3repE0EEENS1_30default_config_static_selectorELNS0_4arch9wavefront6targetE1EEEvT1_
		.amdhsa_group_segment_fixed_size 0
		.amdhsa_private_segment_fixed_size 0
		.amdhsa_kernarg_size 96
		.amdhsa_user_sgpr_count 6
		.amdhsa_user_sgpr_private_segment_buffer 1
		.amdhsa_user_sgpr_dispatch_ptr 0
		.amdhsa_user_sgpr_queue_ptr 0
		.amdhsa_user_sgpr_kernarg_segment_ptr 1
		.amdhsa_user_sgpr_dispatch_id 0
		.amdhsa_user_sgpr_flat_scratch_init 0
		.amdhsa_user_sgpr_kernarg_preload_length 0
		.amdhsa_user_sgpr_kernarg_preload_offset 0
		.amdhsa_user_sgpr_private_segment_size 0
		.amdhsa_uses_dynamic_stack 0
		.amdhsa_system_sgpr_private_segment_wavefront_offset 0
		.amdhsa_system_sgpr_workgroup_id_x 1
		.amdhsa_system_sgpr_workgroup_id_y 0
		.amdhsa_system_sgpr_workgroup_id_z 0
		.amdhsa_system_sgpr_workgroup_info 0
		.amdhsa_system_vgpr_workitem_id 0
		.amdhsa_next_free_vgpr 1
		.amdhsa_next_free_sgpr 0
		.amdhsa_accum_offset 4
		.amdhsa_reserve_vcc 0
		.amdhsa_reserve_flat_scratch 0
		.amdhsa_float_round_mode_32 0
		.amdhsa_float_round_mode_16_64 0
		.amdhsa_float_denorm_mode_32 3
		.amdhsa_float_denorm_mode_16_64 3
		.amdhsa_dx10_clamp 1
		.amdhsa_ieee_mode 1
		.amdhsa_fp16_overflow 0
		.amdhsa_tg_split 0
		.amdhsa_exception_fp_ieee_invalid_op 0
		.amdhsa_exception_fp_denorm_src 0
		.amdhsa_exception_fp_ieee_div_zero 0
		.amdhsa_exception_fp_ieee_overflow 0
		.amdhsa_exception_fp_ieee_underflow 0
		.amdhsa_exception_fp_ieee_inexact 0
		.amdhsa_exception_int_div_zero 0
	.end_amdhsa_kernel
	.section	.text._ZN7rocprim17ROCPRIM_400000_NS6detail17trampoline_kernelINS0_14default_configENS1_20scan_config_selectorIjEEZZNS1_9scan_implILNS1_25lookback_scan_determinismE0ELb0ELb0ES3_N6thrust23THRUST_200600_302600_NS6detail15normal_iteratorINS9_10device_ptrIjEEEESE_j11max_functorIjEjEEDaPvRmT3_T4_T5_mT6_P12ihipStream_tbENKUlT_T0_E_clISt17integral_constantIbLb0EEST_IbLb1EEEEDaSP_SQ_EUlSP_E_NS1_11comp_targetILNS1_3genE8ELNS1_11target_archE1030ELNS1_3gpuE2ELNS1_3repE0EEENS1_30default_config_static_selectorELNS0_4arch9wavefront6targetE1EEEvT1_,"axG",@progbits,_ZN7rocprim17ROCPRIM_400000_NS6detail17trampoline_kernelINS0_14default_configENS1_20scan_config_selectorIjEEZZNS1_9scan_implILNS1_25lookback_scan_determinismE0ELb0ELb0ES3_N6thrust23THRUST_200600_302600_NS6detail15normal_iteratorINS9_10device_ptrIjEEEESE_j11max_functorIjEjEEDaPvRmT3_T4_T5_mT6_P12ihipStream_tbENKUlT_T0_E_clISt17integral_constantIbLb0EEST_IbLb1EEEEDaSP_SQ_EUlSP_E_NS1_11comp_targetILNS1_3genE8ELNS1_11target_archE1030ELNS1_3gpuE2ELNS1_3repE0EEENS1_30default_config_static_selectorELNS0_4arch9wavefront6targetE1EEEvT1_,comdat
.Lfunc_end2319:
	.size	_ZN7rocprim17ROCPRIM_400000_NS6detail17trampoline_kernelINS0_14default_configENS1_20scan_config_selectorIjEEZZNS1_9scan_implILNS1_25lookback_scan_determinismE0ELb0ELb0ES3_N6thrust23THRUST_200600_302600_NS6detail15normal_iteratorINS9_10device_ptrIjEEEESE_j11max_functorIjEjEEDaPvRmT3_T4_T5_mT6_P12ihipStream_tbENKUlT_T0_E_clISt17integral_constantIbLb0EEST_IbLb1EEEEDaSP_SQ_EUlSP_E_NS1_11comp_targetILNS1_3genE8ELNS1_11target_archE1030ELNS1_3gpuE2ELNS1_3repE0EEENS1_30default_config_static_selectorELNS0_4arch9wavefront6targetE1EEEvT1_, .Lfunc_end2319-_ZN7rocprim17ROCPRIM_400000_NS6detail17trampoline_kernelINS0_14default_configENS1_20scan_config_selectorIjEEZZNS1_9scan_implILNS1_25lookback_scan_determinismE0ELb0ELb0ES3_N6thrust23THRUST_200600_302600_NS6detail15normal_iteratorINS9_10device_ptrIjEEEESE_j11max_functorIjEjEEDaPvRmT3_T4_T5_mT6_P12ihipStream_tbENKUlT_T0_E_clISt17integral_constantIbLb0EEST_IbLb1EEEEDaSP_SQ_EUlSP_E_NS1_11comp_targetILNS1_3genE8ELNS1_11target_archE1030ELNS1_3gpuE2ELNS1_3repE0EEENS1_30default_config_static_selectorELNS0_4arch9wavefront6targetE1EEEvT1_
                                        ; -- End function
	.section	.AMDGPU.csdata,"",@progbits
; Kernel info:
; codeLenInByte = 0
; NumSgprs: 4
; NumVgprs: 0
; NumAgprs: 0
; TotalNumVgprs: 0
; ScratchSize: 0
; MemoryBound: 0
; FloatMode: 240
; IeeeMode: 1
; LDSByteSize: 0 bytes/workgroup (compile time only)
; SGPRBlocks: 0
; VGPRBlocks: 0
; NumSGPRsForWavesPerEU: 4
; NumVGPRsForWavesPerEU: 1
; AccumOffset: 4
; Occupancy: 8
; WaveLimiterHint : 0
; COMPUTE_PGM_RSRC2:SCRATCH_EN: 0
; COMPUTE_PGM_RSRC2:USER_SGPR: 6
; COMPUTE_PGM_RSRC2:TRAP_HANDLER: 0
; COMPUTE_PGM_RSRC2:TGID_X_EN: 1
; COMPUTE_PGM_RSRC2:TGID_Y_EN: 0
; COMPUTE_PGM_RSRC2:TGID_Z_EN: 0
; COMPUTE_PGM_RSRC2:TIDIG_COMP_CNT: 0
; COMPUTE_PGM_RSRC3_GFX90A:ACCUM_OFFSET: 0
; COMPUTE_PGM_RSRC3_GFX90A:TG_SPLIT: 0
	.section	.text._ZN7rocprim17ROCPRIM_400000_NS6detail17trampoline_kernelINS0_14default_configENS1_20scan_config_selectorIjEEZZNS1_9scan_implILNS1_25lookback_scan_determinismE0ELb0ELb0ES3_N6thrust23THRUST_200600_302600_NS6detail15normal_iteratorINS9_10device_ptrIjEEEESE_j11max_functorIjEjEEDaPvRmT3_T4_T5_mT6_P12ihipStream_tbENKUlT_T0_E_clISt17integral_constantIbLb0EEST_IbLb1EEEEDaSP_SQ_EUlSP_E0_NS1_11comp_targetILNS1_3genE0ELNS1_11target_archE4294967295ELNS1_3gpuE0ELNS1_3repE0EEENS1_30default_config_static_selectorELNS0_4arch9wavefront6targetE1EEEvT1_,"axG",@progbits,_ZN7rocprim17ROCPRIM_400000_NS6detail17trampoline_kernelINS0_14default_configENS1_20scan_config_selectorIjEEZZNS1_9scan_implILNS1_25lookback_scan_determinismE0ELb0ELb0ES3_N6thrust23THRUST_200600_302600_NS6detail15normal_iteratorINS9_10device_ptrIjEEEESE_j11max_functorIjEjEEDaPvRmT3_T4_T5_mT6_P12ihipStream_tbENKUlT_T0_E_clISt17integral_constantIbLb0EEST_IbLb1EEEEDaSP_SQ_EUlSP_E0_NS1_11comp_targetILNS1_3genE0ELNS1_11target_archE4294967295ELNS1_3gpuE0ELNS1_3repE0EEENS1_30default_config_static_selectorELNS0_4arch9wavefront6targetE1EEEvT1_,comdat
	.protected	_ZN7rocprim17ROCPRIM_400000_NS6detail17trampoline_kernelINS0_14default_configENS1_20scan_config_selectorIjEEZZNS1_9scan_implILNS1_25lookback_scan_determinismE0ELb0ELb0ES3_N6thrust23THRUST_200600_302600_NS6detail15normal_iteratorINS9_10device_ptrIjEEEESE_j11max_functorIjEjEEDaPvRmT3_T4_T5_mT6_P12ihipStream_tbENKUlT_T0_E_clISt17integral_constantIbLb0EEST_IbLb1EEEEDaSP_SQ_EUlSP_E0_NS1_11comp_targetILNS1_3genE0ELNS1_11target_archE4294967295ELNS1_3gpuE0ELNS1_3repE0EEENS1_30default_config_static_selectorELNS0_4arch9wavefront6targetE1EEEvT1_ ; -- Begin function _ZN7rocprim17ROCPRIM_400000_NS6detail17trampoline_kernelINS0_14default_configENS1_20scan_config_selectorIjEEZZNS1_9scan_implILNS1_25lookback_scan_determinismE0ELb0ELb0ES3_N6thrust23THRUST_200600_302600_NS6detail15normal_iteratorINS9_10device_ptrIjEEEESE_j11max_functorIjEjEEDaPvRmT3_T4_T5_mT6_P12ihipStream_tbENKUlT_T0_E_clISt17integral_constantIbLb0EEST_IbLb1EEEEDaSP_SQ_EUlSP_E0_NS1_11comp_targetILNS1_3genE0ELNS1_11target_archE4294967295ELNS1_3gpuE0ELNS1_3repE0EEENS1_30default_config_static_selectorELNS0_4arch9wavefront6targetE1EEEvT1_
	.globl	_ZN7rocprim17ROCPRIM_400000_NS6detail17trampoline_kernelINS0_14default_configENS1_20scan_config_selectorIjEEZZNS1_9scan_implILNS1_25lookback_scan_determinismE0ELb0ELb0ES3_N6thrust23THRUST_200600_302600_NS6detail15normal_iteratorINS9_10device_ptrIjEEEESE_j11max_functorIjEjEEDaPvRmT3_T4_T5_mT6_P12ihipStream_tbENKUlT_T0_E_clISt17integral_constantIbLb0EEST_IbLb1EEEEDaSP_SQ_EUlSP_E0_NS1_11comp_targetILNS1_3genE0ELNS1_11target_archE4294967295ELNS1_3gpuE0ELNS1_3repE0EEENS1_30default_config_static_selectorELNS0_4arch9wavefront6targetE1EEEvT1_
	.p2align	8
	.type	_ZN7rocprim17ROCPRIM_400000_NS6detail17trampoline_kernelINS0_14default_configENS1_20scan_config_selectorIjEEZZNS1_9scan_implILNS1_25lookback_scan_determinismE0ELb0ELb0ES3_N6thrust23THRUST_200600_302600_NS6detail15normal_iteratorINS9_10device_ptrIjEEEESE_j11max_functorIjEjEEDaPvRmT3_T4_T5_mT6_P12ihipStream_tbENKUlT_T0_E_clISt17integral_constantIbLb0EEST_IbLb1EEEEDaSP_SQ_EUlSP_E0_NS1_11comp_targetILNS1_3genE0ELNS1_11target_archE4294967295ELNS1_3gpuE0ELNS1_3repE0EEENS1_30default_config_static_selectorELNS0_4arch9wavefront6targetE1EEEvT1_,@function
_ZN7rocprim17ROCPRIM_400000_NS6detail17trampoline_kernelINS0_14default_configENS1_20scan_config_selectorIjEEZZNS1_9scan_implILNS1_25lookback_scan_determinismE0ELb0ELb0ES3_N6thrust23THRUST_200600_302600_NS6detail15normal_iteratorINS9_10device_ptrIjEEEESE_j11max_functorIjEjEEDaPvRmT3_T4_T5_mT6_P12ihipStream_tbENKUlT_T0_E_clISt17integral_constantIbLb0EEST_IbLb1EEEEDaSP_SQ_EUlSP_E0_NS1_11comp_targetILNS1_3genE0ELNS1_11target_archE4294967295ELNS1_3gpuE0ELNS1_3repE0EEENS1_30default_config_static_selectorELNS0_4arch9wavefront6targetE1EEEvT1_: ; @_ZN7rocprim17ROCPRIM_400000_NS6detail17trampoline_kernelINS0_14default_configENS1_20scan_config_selectorIjEEZZNS1_9scan_implILNS1_25lookback_scan_determinismE0ELb0ELb0ES3_N6thrust23THRUST_200600_302600_NS6detail15normal_iteratorINS9_10device_ptrIjEEEESE_j11max_functorIjEjEEDaPvRmT3_T4_T5_mT6_P12ihipStream_tbENKUlT_T0_E_clISt17integral_constantIbLb0EEST_IbLb1EEEEDaSP_SQ_EUlSP_E0_NS1_11comp_targetILNS1_3genE0ELNS1_11target_archE4294967295ELNS1_3gpuE0ELNS1_3repE0EEENS1_30default_config_static_selectorELNS0_4arch9wavefront6targetE1EEEvT1_
; %bb.0:
	.section	.rodata,"a",@progbits
	.p2align	6, 0x0
	.amdhsa_kernel _ZN7rocprim17ROCPRIM_400000_NS6detail17trampoline_kernelINS0_14default_configENS1_20scan_config_selectorIjEEZZNS1_9scan_implILNS1_25lookback_scan_determinismE0ELb0ELb0ES3_N6thrust23THRUST_200600_302600_NS6detail15normal_iteratorINS9_10device_ptrIjEEEESE_j11max_functorIjEjEEDaPvRmT3_T4_T5_mT6_P12ihipStream_tbENKUlT_T0_E_clISt17integral_constantIbLb0EEST_IbLb1EEEEDaSP_SQ_EUlSP_E0_NS1_11comp_targetILNS1_3genE0ELNS1_11target_archE4294967295ELNS1_3gpuE0ELNS1_3repE0EEENS1_30default_config_static_selectorELNS0_4arch9wavefront6targetE1EEEvT1_
		.amdhsa_group_segment_fixed_size 0
		.amdhsa_private_segment_fixed_size 0
		.amdhsa_kernarg_size 32
		.amdhsa_user_sgpr_count 6
		.amdhsa_user_sgpr_private_segment_buffer 1
		.amdhsa_user_sgpr_dispatch_ptr 0
		.amdhsa_user_sgpr_queue_ptr 0
		.amdhsa_user_sgpr_kernarg_segment_ptr 1
		.amdhsa_user_sgpr_dispatch_id 0
		.amdhsa_user_sgpr_flat_scratch_init 0
		.amdhsa_user_sgpr_kernarg_preload_length 0
		.amdhsa_user_sgpr_kernarg_preload_offset 0
		.amdhsa_user_sgpr_private_segment_size 0
		.amdhsa_uses_dynamic_stack 0
		.amdhsa_system_sgpr_private_segment_wavefront_offset 0
		.amdhsa_system_sgpr_workgroup_id_x 1
		.amdhsa_system_sgpr_workgroup_id_y 0
		.amdhsa_system_sgpr_workgroup_id_z 0
		.amdhsa_system_sgpr_workgroup_info 0
		.amdhsa_system_vgpr_workitem_id 0
		.amdhsa_next_free_vgpr 1
		.amdhsa_next_free_sgpr 0
		.amdhsa_accum_offset 4
		.amdhsa_reserve_vcc 0
		.amdhsa_reserve_flat_scratch 0
		.amdhsa_float_round_mode_32 0
		.amdhsa_float_round_mode_16_64 0
		.amdhsa_float_denorm_mode_32 3
		.amdhsa_float_denorm_mode_16_64 3
		.amdhsa_dx10_clamp 1
		.amdhsa_ieee_mode 1
		.amdhsa_fp16_overflow 0
		.amdhsa_tg_split 0
		.amdhsa_exception_fp_ieee_invalid_op 0
		.amdhsa_exception_fp_denorm_src 0
		.amdhsa_exception_fp_ieee_div_zero 0
		.amdhsa_exception_fp_ieee_overflow 0
		.amdhsa_exception_fp_ieee_underflow 0
		.amdhsa_exception_fp_ieee_inexact 0
		.amdhsa_exception_int_div_zero 0
	.end_amdhsa_kernel
	.section	.text._ZN7rocprim17ROCPRIM_400000_NS6detail17trampoline_kernelINS0_14default_configENS1_20scan_config_selectorIjEEZZNS1_9scan_implILNS1_25lookback_scan_determinismE0ELb0ELb0ES3_N6thrust23THRUST_200600_302600_NS6detail15normal_iteratorINS9_10device_ptrIjEEEESE_j11max_functorIjEjEEDaPvRmT3_T4_T5_mT6_P12ihipStream_tbENKUlT_T0_E_clISt17integral_constantIbLb0EEST_IbLb1EEEEDaSP_SQ_EUlSP_E0_NS1_11comp_targetILNS1_3genE0ELNS1_11target_archE4294967295ELNS1_3gpuE0ELNS1_3repE0EEENS1_30default_config_static_selectorELNS0_4arch9wavefront6targetE1EEEvT1_,"axG",@progbits,_ZN7rocprim17ROCPRIM_400000_NS6detail17trampoline_kernelINS0_14default_configENS1_20scan_config_selectorIjEEZZNS1_9scan_implILNS1_25lookback_scan_determinismE0ELb0ELb0ES3_N6thrust23THRUST_200600_302600_NS6detail15normal_iteratorINS9_10device_ptrIjEEEESE_j11max_functorIjEjEEDaPvRmT3_T4_T5_mT6_P12ihipStream_tbENKUlT_T0_E_clISt17integral_constantIbLb0EEST_IbLb1EEEEDaSP_SQ_EUlSP_E0_NS1_11comp_targetILNS1_3genE0ELNS1_11target_archE4294967295ELNS1_3gpuE0ELNS1_3repE0EEENS1_30default_config_static_selectorELNS0_4arch9wavefront6targetE1EEEvT1_,comdat
.Lfunc_end2320:
	.size	_ZN7rocprim17ROCPRIM_400000_NS6detail17trampoline_kernelINS0_14default_configENS1_20scan_config_selectorIjEEZZNS1_9scan_implILNS1_25lookback_scan_determinismE0ELb0ELb0ES3_N6thrust23THRUST_200600_302600_NS6detail15normal_iteratorINS9_10device_ptrIjEEEESE_j11max_functorIjEjEEDaPvRmT3_T4_T5_mT6_P12ihipStream_tbENKUlT_T0_E_clISt17integral_constantIbLb0EEST_IbLb1EEEEDaSP_SQ_EUlSP_E0_NS1_11comp_targetILNS1_3genE0ELNS1_11target_archE4294967295ELNS1_3gpuE0ELNS1_3repE0EEENS1_30default_config_static_selectorELNS0_4arch9wavefront6targetE1EEEvT1_, .Lfunc_end2320-_ZN7rocprim17ROCPRIM_400000_NS6detail17trampoline_kernelINS0_14default_configENS1_20scan_config_selectorIjEEZZNS1_9scan_implILNS1_25lookback_scan_determinismE0ELb0ELb0ES3_N6thrust23THRUST_200600_302600_NS6detail15normal_iteratorINS9_10device_ptrIjEEEESE_j11max_functorIjEjEEDaPvRmT3_T4_T5_mT6_P12ihipStream_tbENKUlT_T0_E_clISt17integral_constantIbLb0EEST_IbLb1EEEEDaSP_SQ_EUlSP_E0_NS1_11comp_targetILNS1_3genE0ELNS1_11target_archE4294967295ELNS1_3gpuE0ELNS1_3repE0EEENS1_30default_config_static_selectorELNS0_4arch9wavefront6targetE1EEEvT1_
                                        ; -- End function
	.section	.AMDGPU.csdata,"",@progbits
; Kernel info:
; codeLenInByte = 0
; NumSgprs: 4
; NumVgprs: 0
; NumAgprs: 0
; TotalNumVgprs: 0
; ScratchSize: 0
; MemoryBound: 0
; FloatMode: 240
; IeeeMode: 1
; LDSByteSize: 0 bytes/workgroup (compile time only)
; SGPRBlocks: 0
; VGPRBlocks: 0
; NumSGPRsForWavesPerEU: 4
; NumVGPRsForWavesPerEU: 1
; AccumOffset: 4
; Occupancy: 8
; WaveLimiterHint : 0
; COMPUTE_PGM_RSRC2:SCRATCH_EN: 0
; COMPUTE_PGM_RSRC2:USER_SGPR: 6
; COMPUTE_PGM_RSRC2:TRAP_HANDLER: 0
; COMPUTE_PGM_RSRC2:TGID_X_EN: 1
; COMPUTE_PGM_RSRC2:TGID_Y_EN: 0
; COMPUTE_PGM_RSRC2:TGID_Z_EN: 0
; COMPUTE_PGM_RSRC2:TIDIG_COMP_CNT: 0
; COMPUTE_PGM_RSRC3_GFX90A:ACCUM_OFFSET: 0
; COMPUTE_PGM_RSRC3_GFX90A:TG_SPLIT: 0
	.section	.text._ZN7rocprim17ROCPRIM_400000_NS6detail17trampoline_kernelINS0_14default_configENS1_20scan_config_selectorIjEEZZNS1_9scan_implILNS1_25lookback_scan_determinismE0ELb0ELb0ES3_N6thrust23THRUST_200600_302600_NS6detail15normal_iteratorINS9_10device_ptrIjEEEESE_j11max_functorIjEjEEDaPvRmT3_T4_T5_mT6_P12ihipStream_tbENKUlT_T0_E_clISt17integral_constantIbLb0EEST_IbLb1EEEEDaSP_SQ_EUlSP_E0_NS1_11comp_targetILNS1_3genE5ELNS1_11target_archE942ELNS1_3gpuE9ELNS1_3repE0EEENS1_30default_config_static_selectorELNS0_4arch9wavefront6targetE1EEEvT1_,"axG",@progbits,_ZN7rocprim17ROCPRIM_400000_NS6detail17trampoline_kernelINS0_14default_configENS1_20scan_config_selectorIjEEZZNS1_9scan_implILNS1_25lookback_scan_determinismE0ELb0ELb0ES3_N6thrust23THRUST_200600_302600_NS6detail15normal_iteratorINS9_10device_ptrIjEEEESE_j11max_functorIjEjEEDaPvRmT3_T4_T5_mT6_P12ihipStream_tbENKUlT_T0_E_clISt17integral_constantIbLb0EEST_IbLb1EEEEDaSP_SQ_EUlSP_E0_NS1_11comp_targetILNS1_3genE5ELNS1_11target_archE942ELNS1_3gpuE9ELNS1_3repE0EEENS1_30default_config_static_selectorELNS0_4arch9wavefront6targetE1EEEvT1_,comdat
	.protected	_ZN7rocprim17ROCPRIM_400000_NS6detail17trampoline_kernelINS0_14default_configENS1_20scan_config_selectorIjEEZZNS1_9scan_implILNS1_25lookback_scan_determinismE0ELb0ELb0ES3_N6thrust23THRUST_200600_302600_NS6detail15normal_iteratorINS9_10device_ptrIjEEEESE_j11max_functorIjEjEEDaPvRmT3_T4_T5_mT6_P12ihipStream_tbENKUlT_T0_E_clISt17integral_constantIbLb0EEST_IbLb1EEEEDaSP_SQ_EUlSP_E0_NS1_11comp_targetILNS1_3genE5ELNS1_11target_archE942ELNS1_3gpuE9ELNS1_3repE0EEENS1_30default_config_static_selectorELNS0_4arch9wavefront6targetE1EEEvT1_ ; -- Begin function _ZN7rocprim17ROCPRIM_400000_NS6detail17trampoline_kernelINS0_14default_configENS1_20scan_config_selectorIjEEZZNS1_9scan_implILNS1_25lookback_scan_determinismE0ELb0ELb0ES3_N6thrust23THRUST_200600_302600_NS6detail15normal_iteratorINS9_10device_ptrIjEEEESE_j11max_functorIjEjEEDaPvRmT3_T4_T5_mT6_P12ihipStream_tbENKUlT_T0_E_clISt17integral_constantIbLb0EEST_IbLb1EEEEDaSP_SQ_EUlSP_E0_NS1_11comp_targetILNS1_3genE5ELNS1_11target_archE942ELNS1_3gpuE9ELNS1_3repE0EEENS1_30default_config_static_selectorELNS0_4arch9wavefront6targetE1EEEvT1_
	.globl	_ZN7rocprim17ROCPRIM_400000_NS6detail17trampoline_kernelINS0_14default_configENS1_20scan_config_selectorIjEEZZNS1_9scan_implILNS1_25lookback_scan_determinismE0ELb0ELb0ES3_N6thrust23THRUST_200600_302600_NS6detail15normal_iteratorINS9_10device_ptrIjEEEESE_j11max_functorIjEjEEDaPvRmT3_T4_T5_mT6_P12ihipStream_tbENKUlT_T0_E_clISt17integral_constantIbLb0EEST_IbLb1EEEEDaSP_SQ_EUlSP_E0_NS1_11comp_targetILNS1_3genE5ELNS1_11target_archE942ELNS1_3gpuE9ELNS1_3repE0EEENS1_30default_config_static_selectorELNS0_4arch9wavefront6targetE1EEEvT1_
	.p2align	8
	.type	_ZN7rocprim17ROCPRIM_400000_NS6detail17trampoline_kernelINS0_14default_configENS1_20scan_config_selectorIjEEZZNS1_9scan_implILNS1_25lookback_scan_determinismE0ELb0ELb0ES3_N6thrust23THRUST_200600_302600_NS6detail15normal_iteratorINS9_10device_ptrIjEEEESE_j11max_functorIjEjEEDaPvRmT3_T4_T5_mT6_P12ihipStream_tbENKUlT_T0_E_clISt17integral_constantIbLb0EEST_IbLb1EEEEDaSP_SQ_EUlSP_E0_NS1_11comp_targetILNS1_3genE5ELNS1_11target_archE942ELNS1_3gpuE9ELNS1_3repE0EEENS1_30default_config_static_selectorELNS0_4arch9wavefront6targetE1EEEvT1_,@function
_ZN7rocprim17ROCPRIM_400000_NS6detail17trampoline_kernelINS0_14default_configENS1_20scan_config_selectorIjEEZZNS1_9scan_implILNS1_25lookback_scan_determinismE0ELb0ELb0ES3_N6thrust23THRUST_200600_302600_NS6detail15normal_iteratorINS9_10device_ptrIjEEEESE_j11max_functorIjEjEEDaPvRmT3_T4_T5_mT6_P12ihipStream_tbENKUlT_T0_E_clISt17integral_constantIbLb0EEST_IbLb1EEEEDaSP_SQ_EUlSP_E0_NS1_11comp_targetILNS1_3genE5ELNS1_11target_archE942ELNS1_3gpuE9ELNS1_3repE0EEENS1_30default_config_static_selectorELNS0_4arch9wavefront6targetE1EEEvT1_: ; @_ZN7rocprim17ROCPRIM_400000_NS6detail17trampoline_kernelINS0_14default_configENS1_20scan_config_selectorIjEEZZNS1_9scan_implILNS1_25lookback_scan_determinismE0ELb0ELb0ES3_N6thrust23THRUST_200600_302600_NS6detail15normal_iteratorINS9_10device_ptrIjEEEESE_j11max_functorIjEjEEDaPvRmT3_T4_T5_mT6_P12ihipStream_tbENKUlT_T0_E_clISt17integral_constantIbLb0EEST_IbLb1EEEEDaSP_SQ_EUlSP_E0_NS1_11comp_targetILNS1_3genE5ELNS1_11target_archE942ELNS1_3gpuE9ELNS1_3repE0EEENS1_30default_config_static_selectorELNS0_4arch9wavefront6targetE1EEEvT1_
; %bb.0:
	.section	.rodata,"a",@progbits
	.p2align	6, 0x0
	.amdhsa_kernel _ZN7rocprim17ROCPRIM_400000_NS6detail17trampoline_kernelINS0_14default_configENS1_20scan_config_selectorIjEEZZNS1_9scan_implILNS1_25lookback_scan_determinismE0ELb0ELb0ES3_N6thrust23THRUST_200600_302600_NS6detail15normal_iteratorINS9_10device_ptrIjEEEESE_j11max_functorIjEjEEDaPvRmT3_T4_T5_mT6_P12ihipStream_tbENKUlT_T0_E_clISt17integral_constantIbLb0EEST_IbLb1EEEEDaSP_SQ_EUlSP_E0_NS1_11comp_targetILNS1_3genE5ELNS1_11target_archE942ELNS1_3gpuE9ELNS1_3repE0EEENS1_30default_config_static_selectorELNS0_4arch9wavefront6targetE1EEEvT1_
		.amdhsa_group_segment_fixed_size 0
		.amdhsa_private_segment_fixed_size 0
		.amdhsa_kernarg_size 32
		.amdhsa_user_sgpr_count 6
		.amdhsa_user_sgpr_private_segment_buffer 1
		.amdhsa_user_sgpr_dispatch_ptr 0
		.amdhsa_user_sgpr_queue_ptr 0
		.amdhsa_user_sgpr_kernarg_segment_ptr 1
		.amdhsa_user_sgpr_dispatch_id 0
		.amdhsa_user_sgpr_flat_scratch_init 0
		.amdhsa_user_sgpr_kernarg_preload_length 0
		.amdhsa_user_sgpr_kernarg_preload_offset 0
		.amdhsa_user_sgpr_private_segment_size 0
		.amdhsa_uses_dynamic_stack 0
		.amdhsa_system_sgpr_private_segment_wavefront_offset 0
		.amdhsa_system_sgpr_workgroup_id_x 1
		.amdhsa_system_sgpr_workgroup_id_y 0
		.amdhsa_system_sgpr_workgroup_id_z 0
		.amdhsa_system_sgpr_workgroup_info 0
		.amdhsa_system_vgpr_workitem_id 0
		.amdhsa_next_free_vgpr 1
		.amdhsa_next_free_sgpr 0
		.amdhsa_accum_offset 4
		.amdhsa_reserve_vcc 0
		.amdhsa_reserve_flat_scratch 0
		.amdhsa_float_round_mode_32 0
		.amdhsa_float_round_mode_16_64 0
		.amdhsa_float_denorm_mode_32 3
		.amdhsa_float_denorm_mode_16_64 3
		.amdhsa_dx10_clamp 1
		.amdhsa_ieee_mode 1
		.amdhsa_fp16_overflow 0
		.amdhsa_tg_split 0
		.amdhsa_exception_fp_ieee_invalid_op 0
		.amdhsa_exception_fp_denorm_src 0
		.amdhsa_exception_fp_ieee_div_zero 0
		.amdhsa_exception_fp_ieee_overflow 0
		.amdhsa_exception_fp_ieee_underflow 0
		.amdhsa_exception_fp_ieee_inexact 0
		.amdhsa_exception_int_div_zero 0
	.end_amdhsa_kernel
	.section	.text._ZN7rocprim17ROCPRIM_400000_NS6detail17trampoline_kernelINS0_14default_configENS1_20scan_config_selectorIjEEZZNS1_9scan_implILNS1_25lookback_scan_determinismE0ELb0ELb0ES3_N6thrust23THRUST_200600_302600_NS6detail15normal_iteratorINS9_10device_ptrIjEEEESE_j11max_functorIjEjEEDaPvRmT3_T4_T5_mT6_P12ihipStream_tbENKUlT_T0_E_clISt17integral_constantIbLb0EEST_IbLb1EEEEDaSP_SQ_EUlSP_E0_NS1_11comp_targetILNS1_3genE5ELNS1_11target_archE942ELNS1_3gpuE9ELNS1_3repE0EEENS1_30default_config_static_selectorELNS0_4arch9wavefront6targetE1EEEvT1_,"axG",@progbits,_ZN7rocprim17ROCPRIM_400000_NS6detail17trampoline_kernelINS0_14default_configENS1_20scan_config_selectorIjEEZZNS1_9scan_implILNS1_25lookback_scan_determinismE0ELb0ELb0ES3_N6thrust23THRUST_200600_302600_NS6detail15normal_iteratorINS9_10device_ptrIjEEEESE_j11max_functorIjEjEEDaPvRmT3_T4_T5_mT6_P12ihipStream_tbENKUlT_T0_E_clISt17integral_constantIbLb0EEST_IbLb1EEEEDaSP_SQ_EUlSP_E0_NS1_11comp_targetILNS1_3genE5ELNS1_11target_archE942ELNS1_3gpuE9ELNS1_3repE0EEENS1_30default_config_static_selectorELNS0_4arch9wavefront6targetE1EEEvT1_,comdat
.Lfunc_end2321:
	.size	_ZN7rocprim17ROCPRIM_400000_NS6detail17trampoline_kernelINS0_14default_configENS1_20scan_config_selectorIjEEZZNS1_9scan_implILNS1_25lookback_scan_determinismE0ELb0ELb0ES3_N6thrust23THRUST_200600_302600_NS6detail15normal_iteratorINS9_10device_ptrIjEEEESE_j11max_functorIjEjEEDaPvRmT3_T4_T5_mT6_P12ihipStream_tbENKUlT_T0_E_clISt17integral_constantIbLb0EEST_IbLb1EEEEDaSP_SQ_EUlSP_E0_NS1_11comp_targetILNS1_3genE5ELNS1_11target_archE942ELNS1_3gpuE9ELNS1_3repE0EEENS1_30default_config_static_selectorELNS0_4arch9wavefront6targetE1EEEvT1_, .Lfunc_end2321-_ZN7rocprim17ROCPRIM_400000_NS6detail17trampoline_kernelINS0_14default_configENS1_20scan_config_selectorIjEEZZNS1_9scan_implILNS1_25lookback_scan_determinismE0ELb0ELb0ES3_N6thrust23THRUST_200600_302600_NS6detail15normal_iteratorINS9_10device_ptrIjEEEESE_j11max_functorIjEjEEDaPvRmT3_T4_T5_mT6_P12ihipStream_tbENKUlT_T0_E_clISt17integral_constantIbLb0EEST_IbLb1EEEEDaSP_SQ_EUlSP_E0_NS1_11comp_targetILNS1_3genE5ELNS1_11target_archE942ELNS1_3gpuE9ELNS1_3repE0EEENS1_30default_config_static_selectorELNS0_4arch9wavefront6targetE1EEEvT1_
                                        ; -- End function
	.section	.AMDGPU.csdata,"",@progbits
; Kernel info:
; codeLenInByte = 0
; NumSgprs: 4
; NumVgprs: 0
; NumAgprs: 0
; TotalNumVgprs: 0
; ScratchSize: 0
; MemoryBound: 0
; FloatMode: 240
; IeeeMode: 1
; LDSByteSize: 0 bytes/workgroup (compile time only)
; SGPRBlocks: 0
; VGPRBlocks: 0
; NumSGPRsForWavesPerEU: 4
; NumVGPRsForWavesPerEU: 1
; AccumOffset: 4
; Occupancy: 8
; WaveLimiterHint : 0
; COMPUTE_PGM_RSRC2:SCRATCH_EN: 0
; COMPUTE_PGM_RSRC2:USER_SGPR: 6
; COMPUTE_PGM_RSRC2:TRAP_HANDLER: 0
; COMPUTE_PGM_RSRC2:TGID_X_EN: 1
; COMPUTE_PGM_RSRC2:TGID_Y_EN: 0
; COMPUTE_PGM_RSRC2:TGID_Z_EN: 0
; COMPUTE_PGM_RSRC2:TIDIG_COMP_CNT: 0
; COMPUTE_PGM_RSRC3_GFX90A:ACCUM_OFFSET: 0
; COMPUTE_PGM_RSRC3_GFX90A:TG_SPLIT: 0
	.section	.text._ZN7rocprim17ROCPRIM_400000_NS6detail17trampoline_kernelINS0_14default_configENS1_20scan_config_selectorIjEEZZNS1_9scan_implILNS1_25lookback_scan_determinismE0ELb0ELb0ES3_N6thrust23THRUST_200600_302600_NS6detail15normal_iteratorINS9_10device_ptrIjEEEESE_j11max_functorIjEjEEDaPvRmT3_T4_T5_mT6_P12ihipStream_tbENKUlT_T0_E_clISt17integral_constantIbLb0EEST_IbLb1EEEEDaSP_SQ_EUlSP_E0_NS1_11comp_targetILNS1_3genE4ELNS1_11target_archE910ELNS1_3gpuE8ELNS1_3repE0EEENS1_30default_config_static_selectorELNS0_4arch9wavefront6targetE1EEEvT1_,"axG",@progbits,_ZN7rocprim17ROCPRIM_400000_NS6detail17trampoline_kernelINS0_14default_configENS1_20scan_config_selectorIjEEZZNS1_9scan_implILNS1_25lookback_scan_determinismE0ELb0ELb0ES3_N6thrust23THRUST_200600_302600_NS6detail15normal_iteratorINS9_10device_ptrIjEEEESE_j11max_functorIjEjEEDaPvRmT3_T4_T5_mT6_P12ihipStream_tbENKUlT_T0_E_clISt17integral_constantIbLb0EEST_IbLb1EEEEDaSP_SQ_EUlSP_E0_NS1_11comp_targetILNS1_3genE4ELNS1_11target_archE910ELNS1_3gpuE8ELNS1_3repE0EEENS1_30default_config_static_selectorELNS0_4arch9wavefront6targetE1EEEvT1_,comdat
	.protected	_ZN7rocprim17ROCPRIM_400000_NS6detail17trampoline_kernelINS0_14default_configENS1_20scan_config_selectorIjEEZZNS1_9scan_implILNS1_25lookback_scan_determinismE0ELb0ELb0ES3_N6thrust23THRUST_200600_302600_NS6detail15normal_iteratorINS9_10device_ptrIjEEEESE_j11max_functorIjEjEEDaPvRmT3_T4_T5_mT6_P12ihipStream_tbENKUlT_T0_E_clISt17integral_constantIbLb0EEST_IbLb1EEEEDaSP_SQ_EUlSP_E0_NS1_11comp_targetILNS1_3genE4ELNS1_11target_archE910ELNS1_3gpuE8ELNS1_3repE0EEENS1_30default_config_static_selectorELNS0_4arch9wavefront6targetE1EEEvT1_ ; -- Begin function _ZN7rocprim17ROCPRIM_400000_NS6detail17trampoline_kernelINS0_14default_configENS1_20scan_config_selectorIjEEZZNS1_9scan_implILNS1_25lookback_scan_determinismE0ELb0ELb0ES3_N6thrust23THRUST_200600_302600_NS6detail15normal_iteratorINS9_10device_ptrIjEEEESE_j11max_functorIjEjEEDaPvRmT3_T4_T5_mT6_P12ihipStream_tbENKUlT_T0_E_clISt17integral_constantIbLb0EEST_IbLb1EEEEDaSP_SQ_EUlSP_E0_NS1_11comp_targetILNS1_3genE4ELNS1_11target_archE910ELNS1_3gpuE8ELNS1_3repE0EEENS1_30default_config_static_selectorELNS0_4arch9wavefront6targetE1EEEvT1_
	.globl	_ZN7rocprim17ROCPRIM_400000_NS6detail17trampoline_kernelINS0_14default_configENS1_20scan_config_selectorIjEEZZNS1_9scan_implILNS1_25lookback_scan_determinismE0ELb0ELb0ES3_N6thrust23THRUST_200600_302600_NS6detail15normal_iteratorINS9_10device_ptrIjEEEESE_j11max_functorIjEjEEDaPvRmT3_T4_T5_mT6_P12ihipStream_tbENKUlT_T0_E_clISt17integral_constantIbLb0EEST_IbLb1EEEEDaSP_SQ_EUlSP_E0_NS1_11comp_targetILNS1_3genE4ELNS1_11target_archE910ELNS1_3gpuE8ELNS1_3repE0EEENS1_30default_config_static_selectorELNS0_4arch9wavefront6targetE1EEEvT1_
	.p2align	8
	.type	_ZN7rocprim17ROCPRIM_400000_NS6detail17trampoline_kernelINS0_14default_configENS1_20scan_config_selectorIjEEZZNS1_9scan_implILNS1_25lookback_scan_determinismE0ELb0ELb0ES3_N6thrust23THRUST_200600_302600_NS6detail15normal_iteratorINS9_10device_ptrIjEEEESE_j11max_functorIjEjEEDaPvRmT3_T4_T5_mT6_P12ihipStream_tbENKUlT_T0_E_clISt17integral_constantIbLb0EEST_IbLb1EEEEDaSP_SQ_EUlSP_E0_NS1_11comp_targetILNS1_3genE4ELNS1_11target_archE910ELNS1_3gpuE8ELNS1_3repE0EEENS1_30default_config_static_selectorELNS0_4arch9wavefront6targetE1EEEvT1_,@function
_ZN7rocprim17ROCPRIM_400000_NS6detail17trampoline_kernelINS0_14default_configENS1_20scan_config_selectorIjEEZZNS1_9scan_implILNS1_25lookback_scan_determinismE0ELb0ELb0ES3_N6thrust23THRUST_200600_302600_NS6detail15normal_iteratorINS9_10device_ptrIjEEEESE_j11max_functorIjEjEEDaPvRmT3_T4_T5_mT6_P12ihipStream_tbENKUlT_T0_E_clISt17integral_constantIbLb0EEST_IbLb1EEEEDaSP_SQ_EUlSP_E0_NS1_11comp_targetILNS1_3genE4ELNS1_11target_archE910ELNS1_3gpuE8ELNS1_3repE0EEENS1_30default_config_static_selectorELNS0_4arch9wavefront6targetE1EEEvT1_: ; @_ZN7rocprim17ROCPRIM_400000_NS6detail17trampoline_kernelINS0_14default_configENS1_20scan_config_selectorIjEEZZNS1_9scan_implILNS1_25lookback_scan_determinismE0ELb0ELb0ES3_N6thrust23THRUST_200600_302600_NS6detail15normal_iteratorINS9_10device_ptrIjEEEESE_j11max_functorIjEjEEDaPvRmT3_T4_T5_mT6_P12ihipStream_tbENKUlT_T0_E_clISt17integral_constantIbLb0EEST_IbLb1EEEEDaSP_SQ_EUlSP_E0_NS1_11comp_targetILNS1_3genE4ELNS1_11target_archE910ELNS1_3gpuE8ELNS1_3repE0EEENS1_30default_config_static_selectorELNS0_4arch9wavefront6targetE1EEEvT1_
; %bb.0:
	s_load_dwordx4 s[20:23], s[4:5], 0x0
	v_lshlrev_b32_e32 v22, 2, v0
	s_waitcnt lgkmcnt(0)
	s_load_dword s23, s[20:21], 0x0
	v_cmp_gt_u32_e32 vcc, s22, v0
	s_waitcnt lgkmcnt(0)
	v_mov_b32_e32 v1, s23
	s_and_saveexec_b64 s[0:1], vcc
	s_cbranch_execz .LBB2322_2
; %bb.1:
	global_load_dword v1, v22, s[20:21]
.LBB2322_2:
	s_or_b64 exec, exec, s[0:1]
	v_or_b32_e32 v2, 0x80, v0
	v_cmp_gt_u32_e64 s[0:1], s22, v2
	v_mov_b32_e32 v2, s23
	s_and_saveexec_b64 s[2:3], s[0:1]
	s_cbranch_execz .LBB2322_4
; %bb.3:
	global_load_dword v2, v22, s[20:21] offset:512
.LBB2322_4:
	s_or_b64 exec, exec, s[2:3]
	v_or_b32_e32 v3, 0x100, v0
	v_cmp_gt_u32_e64 s[2:3], s22, v3
	v_mov_b32_e32 v3, s23
	s_and_saveexec_b64 s[6:7], s[2:3]
	s_cbranch_execz .LBB2322_6
; %bb.5:
	global_load_dword v3, v22, s[20:21] offset:1024
.LBB2322_6:
	s_or_b64 exec, exec, s[6:7]
	v_or_b32_e32 v4, 0x180, v0
	v_cmp_gt_u32_e64 s[18:19], s22, v4
	v_mov_b32_e32 v4, s23
	s_and_saveexec_b64 s[6:7], s[18:19]
	s_cbranch_execz .LBB2322_8
; %bb.7:
	global_load_dword v4, v22, s[20:21] offset:1536
.LBB2322_8:
	s_or_b64 exec, exec, s[6:7]
	v_or_b32_e32 v5, 0x200, v0
	v_cmp_gt_u32_e64 s[6:7], s22, v5
	v_mov_b32_e32 v5, s23
	s_and_saveexec_b64 s[8:9], s[6:7]
	s_cbranch_execz .LBB2322_10
; %bb.9:
	global_load_dword v5, v22, s[20:21] offset:2048
.LBB2322_10:
	s_or_b64 exec, exec, s[8:9]
	v_or_b32_e32 v6, 0x280, v0
	v_cmp_gt_u32_e64 s[8:9], s22, v6
	v_mov_b32_e32 v6, s23
	s_and_saveexec_b64 s[10:11], s[8:9]
	s_cbranch_execz .LBB2322_12
; %bb.11:
	global_load_dword v6, v22, s[20:21] offset:2560
.LBB2322_12:
	s_or_b64 exec, exec, s[10:11]
	v_or_b32_e32 v7, 0x300, v0
	v_cmp_gt_u32_e64 s[10:11], s22, v7
	v_mov_b32_e32 v7, s23
	s_and_saveexec_b64 s[12:13], s[10:11]
	s_cbranch_execz .LBB2322_14
; %bb.13:
	global_load_dword v7, v22, s[20:21] offset:3072
.LBB2322_14:
	s_or_b64 exec, exec, s[12:13]
	v_or_b32_e32 v8, 0x380, v0
	v_cmp_gt_u32_e64 s[12:13], s22, v8
	v_mov_b32_e32 v8, s23
	s_and_saveexec_b64 s[14:15], s[12:13]
	s_cbranch_execz .LBB2322_16
; %bb.15:
	global_load_dword v8, v22, s[20:21] offset:3584
.LBB2322_16:
	s_or_b64 exec, exec, s[14:15]
	v_or_b32_e32 v10, 0x400, v0
	v_cmp_gt_u32_e64 s[14:15], s22, v10
	v_mov_b32_e32 v9, s23
	s_and_saveexec_b64 s[16:17], s[14:15]
	s_cbranch_execz .LBB2322_18
; %bb.17:
	v_lshlrev_b32_e32 v9, 2, v10
	global_load_dword v9, v9, s[20:21]
.LBB2322_18:
	s_or_b64 exec, exec, s[16:17]
	v_or_b32_e32 v11, 0x480, v0
	v_cmp_gt_u32_e64 s[16:17], s22, v11
	v_mov_b32_e32 v10, s23
	s_and_saveexec_b64 s[22:23], s[16:17]
	s_cbranch_execz .LBB2322_20
; %bb.19:
	v_lshlrev_b32_e32 v10, 2, v11
	global_load_dword v10, v10, s[20:21]
.LBB2322_20:
	s_or_b64 exec, exec, s[22:23]
	s_waitcnt vmcnt(0)
	ds_write2st64_b32 v22, v1, v2 offset1:2
	ds_write2st64_b32 v22, v3, v4 offset0:4 offset1:6
	ds_write2st64_b32 v22, v5, v6 offset0:8 offset1:10
	;; [unrolled: 1-line block ×4, first 2 shown]
	v_mad_u32_u24 v1, v0, 36, v22
	s_waitcnt lgkmcnt(0)
	s_barrier
	ds_read2_b64 v[6:9], v1 offset1:1
	ds_read2_b64 v[2:5], v1 offset0:2 offset1:3
	ds_read_b64 v[20:21], v1 offset:32
	v_lshrrev_b32_e32 v12, 3, v0
	v_and_b32_e32 v12, 12, v12
	s_waitcnt lgkmcnt(2)
	v_max_u32_e32 v13, v6, v7
	v_max_u32_e32 v16, v13, v8
	;; [unrolled: 1-line block ×3, first 2 shown]
	s_waitcnt lgkmcnt(1)
	v_max_u32_e32 v10, v17, v2
	v_max_u32_e32 v11, v10, v3
	;; [unrolled: 1-line block ×4, first 2 shown]
	s_waitcnt lgkmcnt(0)
	v_max_u32_e32 v18, v15, v20
	v_max_u32_e32 v19, v18, v21
	v_add_u32_e32 v12, v22, v12
	v_cmp_gt_u32_e64 s[20:21], 64, v0
	s_barrier
	ds_write_b32 v12, v19
	s_waitcnt lgkmcnt(0)
	s_barrier
	s_and_saveexec_b64 s[22:23], s[20:21]
	s_cbranch_execz .LBB2322_22
; %bb.21:
	v_lshlrev_b32_e32 v12, 1, v0
	v_lshrrev_b32_e32 v23, 4, v0
	v_add_lshl_u32 v12, v23, v12, 2
	ds_read2_b32 v[24:25], v12 offset1:1
	v_mbcnt_lo_u32_b32 v23, -1, 0
	v_mbcnt_hi_u32_b32 v23, -1, v23
	v_and_b32_e32 v26, 15, v23
	v_cmp_eq_u32_e64 s[20:21], 0, v26
	s_waitcnt lgkmcnt(0)
	v_max_u32_e32 v25, v24, v25
	; wave barrier
	s_nop 1
	v_mov_b32_dpp v27, v25 row_shr:1 row_mask:0xf bank_mask:0xf
	v_max_u32_e32 v27, v27, v25
	v_cndmask_b32_e64 v25, v27, v25, s[20:21]
	v_cmp_lt_u32_e64 s[20:21], 1, v26
	s_nop 0
	v_mov_b32_dpp v27, v25 row_shr:2 row_mask:0xf bank_mask:0xf
	v_max_u32_e32 v27, v27, v25
	v_cndmask_b32_e64 v25, v25, v27, s[20:21]
	v_cmp_lt_u32_e64 s[20:21], 3, v26
	;; [unrolled: 5-line block ×3, first 2 shown]
	s_nop 0
	v_mov_b32_dpp v27, v25 row_shr:8 row_mask:0xf bank_mask:0xf
	v_max_u32_e32 v27, v27, v25
	v_cndmask_b32_e64 v25, v25, v27, s[20:21]
	v_and_b32_e32 v27, 16, v23
	v_cmp_eq_u32_e64 s[20:21], 0, v27
	v_mov_b32_dpp v26, v25 row_bcast:15 row_mask:0xf bank_mask:0xf
	v_max_u32_e32 v26, v26, v25
	v_cndmask_b32_e64 v25, v26, v25, s[20:21]
	v_cmp_lt_u32_e64 s[20:21], 31, v23
	v_and_b32_e32 v27, 64, v23
	v_mov_b32_dpp v26, v25 row_bcast:31 row_mask:0xf bank_mask:0xf
	v_max_u32_e32 v26, v26, v25
	v_cndmask_b32_e64 v25, v25, v26, s[20:21]
	v_add_u32_e32 v26, -1, v23
	v_cmp_lt_i32_e64 s[20:21], v26, v27
	v_cndmask_b32_e64 v23, v26, v23, s[20:21]
	v_lshlrev_b32_e32 v23, 2, v23
	ds_bpermute_b32 v23, v23, v25
	v_cmp_eq_u32_e64 s[20:21], 0, v0
	s_waitcnt lgkmcnt(0)
	v_max_u32_e32 v23, v23, v24
	v_cndmask_b32_e64 v23, v23, v19, s[20:21]
	ds_write_b32 v12, v23
	; wave barrier
	ds_read_b32 v24, v12 offset:4
	s_waitcnt lgkmcnt(0)
	v_max_u32_e32 v23, v23, v24
	ds_write_b32 v12, v23 offset:4
.LBB2322_22:
	s_or_b64 exec, exec, s[22:23]
	s_load_dwordx2 s[20:21], s[4:5], 0x18
	v_cmp_ne_u32_e64 s[4:5], 0, v0
	v_mov_b32_e32 v23, v19
	s_waitcnt lgkmcnt(0)
	s_barrier
	s_and_saveexec_b64 s[22:23], s[4:5]
	s_cbranch_execz .LBB2322_24
; %bb.23:
	v_add_u32_e32 v12, -1, v0
	v_lshrrev_b32_e32 v23, 5, v12
	v_add_lshl_u32 v12, v23, v12, 2
	ds_read_b32 v23, v12
.LBB2322_24:
	s_or_b64 exec, exec, s[22:23]
	v_mov_b32_e32 v12, v6
	s_and_saveexec_b64 s[22:23], s[4:5]
	s_cbranch_execz .LBB2322_26
; %bb.25:
	s_waitcnt lgkmcnt(0)
	v_max_u32_e32 v12, v23, v6
	v_max_u32_e32 v13, v12, v7
	;; [unrolled: 1-line block ×10, first 2 shown]
	;;#ASMSTART
	;;#ASMEND
.LBB2322_26:
	s_or_b64 exec, exec, s[22:23]
	s_movk_i32 s4, 0xffdc
	v_mad_i32_i24 v0, v0, s4, v1
	s_waitcnt lgkmcnt(0)
	s_barrier
	ds_write2_b64 v1, v[12:13], v[16:17] offset1:1
	ds_write2_b64 v1, v[10:11], v[14:15] offset0:2 offset1:3
	ds_write_b64 v1, v[18:19] offset:32
	s_waitcnt lgkmcnt(0)
	s_barrier
	ds_read2st64_b32 v[8:9], v0 offset0:2 offset1:4
	ds_read2st64_b32 v[6:7], v0 offset0:6 offset1:8
	;; [unrolled: 1-line block ×4, first 2 shown]
	ds_read_b32 v10, v22 offset:4096
	v_mov_b32_e32 v3, s21
	v_add_co_u32_e64 v2, s[4:5], s20, v22
	v_addc_co_u32_e64 v3, s[4:5], 0, v3, s[4:5]
	s_and_saveexec_b64 s[4:5], vcc
	s_cbranch_execnz .LBB2322_37
; %bb.27:
	s_or_b64 exec, exec, s[4:5]
	s_and_saveexec_b64 s[4:5], s[0:1]
	s_cbranch_execnz .LBB2322_38
.LBB2322_28:
	s_or_b64 exec, exec, s[4:5]
	s_and_saveexec_b64 s[0:1], s[2:3]
	s_cbranch_execnz .LBB2322_39
.LBB2322_29:
	s_or_b64 exec, exec, s[0:1]
	s_and_saveexec_b64 s[0:1], s[18:19]
	s_cbranch_execnz .LBB2322_40
.LBB2322_30:
	s_or_b64 exec, exec, s[0:1]
	s_and_saveexec_b64 s[0:1], s[6:7]
	s_cbranch_execnz .LBB2322_41
.LBB2322_31:
	s_or_b64 exec, exec, s[0:1]
	s_and_saveexec_b64 s[0:1], s[8:9]
	s_cbranch_execnz .LBB2322_42
.LBB2322_32:
	s_or_b64 exec, exec, s[0:1]
	s_and_saveexec_b64 s[0:1], s[10:11]
	s_cbranch_execnz .LBB2322_43
.LBB2322_33:
	s_or_b64 exec, exec, s[0:1]
	s_and_saveexec_b64 s[0:1], s[12:13]
	s_cbranch_execnz .LBB2322_44
.LBB2322_34:
	s_or_b64 exec, exec, s[0:1]
	s_and_saveexec_b64 s[0:1], s[14:15]
	s_cbranch_execnz .LBB2322_45
.LBB2322_35:
	s_or_b64 exec, exec, s[0:1]
	s_and_saveexec_b64 s[0:1], s[16:17]
	s_cbranch_execnz .LBB2322_46
.LBB2322_36:
	s_endpgm
.LBB2322_37:
	ds_read_b32 v11, v22
	s_waitcnt lgkmcnt(0)
	global_store_dword v[2:3], v11, off
	s_or_b64 exec, exec, s[4:5]
	s_and_saveexec_b64 s[4:5], s[0:1]
	s_cbranch_execz .LBB2322_28
.LBB2322_38:
	s_waitcnt lgkmcnt(4)
	global_store_dword v[2:3], v8, off offset:512
	s_or_b64 exec, exec, s[4:5]
	s_and_saveexec_b64 s[0:1], s[2:3]
	s_cbranch_execz .LBB2322_29
.LBB2322_39:
	s_waitcnt lgkmcnt(4)
	global_store_dword v[2:3], v9, off offset:1024
	s_or_b64 exec, exec, s[0:1]
	s_and_saveexec_b64 s[0:1], s[18:19]
	s_cbranch_execz .LBB2322_30
.LBB2322_40:
	s_waitcnt lgkmcnt(3)
	global_store_dword v[2:3], v6, off offset:1536
	s_or_b64 exec, exec, s[0:1]
	s_and_saveexec_b64 s[0:1], s[6:7]
	s_cbranch_execz .LBB2322_31
.LBB2322_41:
	s_waitcnt lgkmcnt(3)
	global_store_dword v[2:3], v7, off offset:2048
	s_or_b64 exec, exec, s[0:1]
	s_and_saveexec_b64 s[0:1], s[8:9]
	s_cbranch_execz .LBB2322_32
.LBB2322_42:
	s_waitcnt lgkmcnt(2)
	global_store_dword v[2:3], v4, off offset:2560
	s_or_b64 exec, exec, s[0:1]
	s_and_saveexec_b64 s[0:1], s[10:11]
	s_cbranch_execz .LBB2322_33
.LBB2322_43:
	s_waitcnt lgkmcnt(2)
	global_store_dword v[2:3], v5, off offset:3072
	s_or_b64 exec, exec, s[0:1]
	s_and_saveexec_b64 s[0:1], s[12:13]
	s_cbranch_execz .LBB2322_34
.LBB2322_44:
	s_waitcnt lgkmcnt(1)
	global_store_dword v[2:3], v0, off offset:3584
	s_or_b64 exec, exec, s[0:1]
	s_and_saveexec_b64 s[0:1], s[14:15]
	s_cbranch_execz .LBB2322_35
.LBB2322_45:
	s_waitcnt lgkmcnt(2)
	v_add_co_u32_e32 v4, vcc, 0x1000, v2
	v_addc_co_u32_e32 v5, vcc, 0, v3, vcc
	s_waitcnt lgkmcnt(0)
	global_store_dword v[4:5], v10, off
	s_or_b64 exec, exec, s[0:1]
	s_and_saveexec_b64 s[0:1], s[16:17]
	s_cbranch_execz .LBB2322_36
.LBB2322_46:
	v_add_co_u32_e32 v2, vcc, 0x1000, v2
	v_addc_co_u32_e32 v3, vcc, 0, v3, vcc
	s_waitcnt lgkmcnt(1)
	global_store_dword v[2:3], v1, off offset:512
	s_endpgm
	.section	.rodata,"a",@progbits
	.p2align	6, 0x0
	.amdhsa_kernel _ZN7rocprim17ROCPRIM_400000_NS6detail17trampoline_kernelINS0_14default_configENS1_20scan_config_selectorIjEEZZNS1_9scan_implILNS1_25lookback_scan_determinismE0ELb0ELb0ES3_N6thrust23THRUST_200600_302600_NS6detail15normal_iteratorINS9_10device_ptrIjEEEESE_j11max_functorIjEjEEDaPvRmT3_T4_T5_mT6_P12ihipStream_tbENKUlT_T0_E_clISt17integral_constantIbLb0EEST_IbLb1EEEEDaSP_SQ_EUlSP_E0_NS1_11comp_targetILNS1_3genE4ELNS1_11target_archE910ELNS1_3gpuE8ELNS1_3repE0EEENS1_30default_config_static_selectorELNS0_4arch9wavefront6targetE1EEEvT1_
		.amdhsa_group_segment_fixed_size 5120
		.amdhsa_private_segment_fixed_size 0
		.amdhsa_kernarg_size 32
		.amdhsa_user_sgpr_count 6
		.amdhsa_user_sgpr_private_segment_buffer 1
		.amdhsa_user_sgpr_dispatch_ptr 0
		.amdhsa_user_sgpr_queue_ptr 0
		.amdhsa_user_sgpr_kernarg_segment_ptr 1
		.amdhsa_user_sgpr_dispatch_id 0
		.amdhsa_user_sgpr_flat_scratch_init 0
		.amdhsa_user_sgpr_kernarg_preload_length 0
		.amdhsa_user_sgpr_kernarg_preload_offset 0
		.amdhsa_user_sgpr_private_segment_size 0
		.amdhsa_uses_dynamic_stack 0
		.amdhsa_system_sgpr_private_segment_wavefront_offset 0
		.amdhsa_system_sgpr_workgroup_id_x 1
		.amdhsa_system_sgpr_workgroup_id_y 0
		.amdhsa_system_sgpr_workgroup_id_z 0
		.amdhsa_system_sgpr_workgroup_info 0
		.amdhsa_system_vgpr_workitem_id 0
		.amdhsa_next_free_vgpr 28
		.amdhsa_next_free_sgpr 24
		.amdhsa_accum_offset 28
		.amdhsa_reserve_vcc 1
		.amdhsa_reserve_flat_scratch 0
		.amdhsa_float_round_mode_32 0
		.amdhsa_float_round_mode_16_64 0
		.amdhsa_float_denorm_mode_32 3
		.amdhsa_float_denorm_mode_16_64 3
		.amdhsa_dx10_clamp 1
		.amdhsa_ieee_mode 1
		.amdhsa_fp16_overflow 0
		.amdhsa_tg_split 0
		.amdhsa_exception_fp_ieee_invalid_op 0
		.amdhsa_exception_fp_denorm_src 0
		.amdhsa_exception_fp_ieee_div_zero 0
		.amdhsa_exception_fp_ieee_overflow 0
		.amdhsa_exception_fp_ieee_underflow 0
		.amdhsa_exception_fp_ieee_inexact 0
		.amdhsa_exception_int_div_zero 0
	.end_amdhsa_kernel
	.section	.text._ZN7rocprim17ROCPRIM_400000_NS6detail17trampoline_kernelINS0_14default_configENS1_20scan_config_selectorIjEEZZNS1_9scan_implILNS1_25lookback_scan_determinismE0ELb0ELb0ES3_N6thrust23THRUST_200600_302600_NS6detail15normal_iteratorINS9_10device_ptrIjEEEESE_j11max_functorIjEjEEDaPvRmT3_T4_T5_mT6_P12ihipStream_tbENKUlT_T0_E_clISt17integral_constantIbLb0EEST_IbLb1EEEEDaSP_SQ_EUlSP_E0_NS1_11comp_targetILNS1_3genE4ELNS1_11target_archE910ELNS1_3gpuE8ELNS1_3repE0EEENS1_30default_config_static_selectorELNS0_4arch9wavefront6targetE1EEEvT1_,"axG",@progbits,_ZN7rocprim17ROCPRIM_400000_NS6detail17trampoline_kernelINS0_14default_configENS1_20scan_config_selectorIjEEZZNS1_9scan_implILNS1_25lookback_scan_determinismE0ELb0ELb0ES3_N6thrust23THRUST_200600_302600_NS6detail15normal_iteratorINS9_10device_ptrIjEEEESE_j11max_functorIjEjEEDaPvRmT3_T4_T5_mT6_P12ihipStream_tbENKUlT_T0_E_clISt17integral_constantIbLb0EEST_IbLb1EEEEDaSP_SQ_EUlSP_E0_NS1_11comp_targetILNS1_3genE4ELNS1_11target_archE910ELNS1_3gpuE8ELNS1_3repE0EEENS1_30default_config_static_selectorELNS0_4arch9wavefront6targetE1EEEvT1_,comdat
.Lfunc_end2322:
	.size	_ZN7rocprim17ROCPRIM_400000_NS6detail17trampoline_kernelINS0_14default_configENS1_20scan_config_selectorIjEEZZNS1_9scan_implILNS1_25lookback_scan_determinismE0ELb0ELb0ES3_N6thrust23THRUST_200600_302600_NS6detail15normal_iteratorINS9_10device_ptrIjEEEESE_j11max_functorIjEjEEDaPvRmT3_T4_T5_mT6_P12ihipStream_tbENKUlT_T0_E_clISt17integral_constantIbLb0EEST_IbLb1EEEEDaSP_SQ_EUlSP_E0_NS1_11comp_targetILNS1_3genE4ELNS1_11target_archE910ELNS1_3gpuE8ELNS1_3repE0EEENS1_30default_config_static_selectorELNS0_4arch9wavefront6targetE1EEEvT1_, .Lfunc_end2322-_ZN7rocprim17ROCPRIM_400000_NS6detail17trampoline_kernelINS0_14default_configENS1_20scan_config_selectorIjEEZZNS1_9scan_implILNS1_25lookback_scan_determinismE0ELb0ELb0ES3_N6thrust23THRUST_200600_302600_NS6detail15normal_iteratorINS9_10device_ptrIjEEEESE_j11max_functorIjEjEEDaPvRmT3_T4_T5_mT6_P12ihipStream_tbENKUlT_T0_E_clISt17integral_constantIbLb0EEST_IbLb1EEEEDaSP_SQ_EUlSP_E0_NS1_11comp_targetILNS1_3genE4ELNS1_11target_archE910ELNS1_3gpuE8ELNS1_3repE0EEENS1_30default_config_static_selectorELNS0_4arch9wavefront6targetE1EEEvT1_
                                        ; -- End function
	.section	.AMDGPU.csdata,"",@progbits
; Kernel info:
; codeLenInByte = 1564
; NumSgprs: 28
; NumVgprs: 28
; NumAgprs: 0
; TotalNumVgprs: 28
; ScratchSize: 0
; MemoryBound: 0
; FloatMode: 240
; IeeeMode: 1
; LDSByteSize: 5120 bytes/workgroup (compile time only)
; SGPRBlocks: 3
; VGPRBlocks: 3
; NumSGPRsForWavesPerEU: 28
; NumVGPRsForWavesPerEU: 28
; AccumOffset: 28
; Occupancy: 6
; WaveLimiterHint : 0
; COMPUTE_PGM_RSRC2:SCRATCH_EN: 0
; COMPUTE_PGM_RSRC2:USER_SGPR: 6
; COMPUTE_PGM_RSRC2:TRAP_HANDLER: 0
; COMPUTE_PGM_RSRC2:TGID_X_EN: 1
; COMPUTE_PGM_RSRC2:TGID_Y_EN: 0
; COMPUTE_PGM_RSRC2:TGID_Z_EN: 0
; COMPUTE_PGM_RSRC2:TIDIG_COMP_CNT: 0
; COMPUTE_PGM_RSRC3_GFX90A:ACCUM_OFFSET: 6
; COMPUTE_PGM_RSRC3_GFX90A:TG_SPLIT: 0
	.section	.text._ZN7rocprim17ROCPRIM_400000_NS6detail17trampoline_kernelINS0_14default_configENS1_20scan_config_selectorIjEEZZNS1_9scan_implILNS1_25lookback_scan_determinismE0ELb0ELb0ES3_N6thrust23THRUST_200600_302600_NS6detail15normal_iteratorINS9_10device_ptrIjEEEESE_j11max_functorIjEjEEDaPvRmT3_T4_T5_mT6_P12ihipStream_tbENKUlT_T0_E_clISt17integral_constantIbLb0EEST_IbLb1EEEEDaSP_SQ_EUlSP_E0_NS1_11comp_targetILNS1_3genE3ELNS1_11target_archE908ELNS1_3gpuE7ELNS1_3repE0EEENS1_30default_config_static_selectorELNS0_4arch9wavefront6targetE1EEEvT1_,"axG",@progbits,_ZN7rocprim17ROCPRIM_400000_NS6detail17trampoline_kernelINS0_14default_configENS1_20scan_config_selectorIjEEZZNS1_9scan_implILNS1_25lookback_scan_determinismE0ELb0ELb0ES3_N6thrust23THRUST_200600_302600_NS6detail15normal_iteratorINS9_10device_ptrIjEEEESE_j11max_functorIjEjEEDaPvRmT3_T4_T5_mT6_P12ihipStream_tbENKUlT_T0_E_clISt17integral_constantIbLb0EEST_IbLb1EEEEDaSP_SQ_EUlSP_E0_NS1_11comp_targetILNS1_3genE3ELNS1_11target_archE908ELNS1_3gpuE7ELNS1_3repE0EEENS1_30default_config_static_selectorELNS0_4arch9wavefront6targetE1EEEvT1_,comdat
	.protected	_ZN7rocprim17ROCPRIM_400000_NS6detail17trampoline_kernelINS0_14default_configENS1_20scan_config_selectorIjEEZZNS1_9scan_implILNS1_25lookback_scan_determinismE0ELb0ELb0ES3_N6thrust23THRUST_200600_302600_NS6detail15normal_iteratorINS9_10device_ptrIjEEEESE_j11max_functorIjEjEEDaPvRmT3_T4_T5_mT6_P12ihipStream_tbENKUlT_T0_E_clISt17integral_constantIbLb0EEST_IbLb1EEEEDaSP_SQ_EUlSP_E0_NS1_11comp_targetILNS1_3genE3ELNS1_11target_archE908ELNS1_3gpuE7ELNS1_3repE0EEENS1_30default_config_static_selectorELNS0_4arch9wavefront6targetE1EEEvT1_ ; -- Begin function _ZN7rocprim17ROCPRIM_400000_NS6detail17trampoline_kernelINS0_14default_configENS1_20scan_config_selectorIjEEZZNS1_9scan_implILNS1_25lookback_scan_determinismE0ELb0ELb0ES3_N6thrust23THRUST_200600_302600_NS6detail15normal_iteratorINS9_10device_ptrIjEEEESE_j11max_functorIjEjEEDaPvRmT3_T4_T5_mT6_P12ihipStream_tbENKUlT_T0_E_clISt17integral_constantIbLb0EEST_IbLb1EEEEDaSP_SQ_EUlSP_E0_NS1_11comp_targetILNS1_3genE3ELNS1_11target_archE908ELNS1_3gpuE7ELNS1_3repE0EEENS1_30default_config_static_selectorELNS0_4arch9wavefront6targetE1EEEvT1_
	.globl	_ZN7rocprim17ROCPRIM_400000_NS6detail17trampoline_kernelINS0_14default_configENS1_20scan_config_selectorIjEEZZNS1_9scan_implILNS1_25lookback_scan_determinismE0ELb0ELb0ES3_N6thrust23THRUST_200600_302600_NS6detail15normal_iteratorINS9_10device_ptrIjEEEESE_j11max_functorIjEjEEDaPvRmT3_T4_T5_mT6_P12ihipStream_tbENKUlT_T0_E_clISt17integral_constantIbLb0EEST_IbLb1EEEEDaSP_SQ_EUlSP_E0_NS1_11comp_targetILNS1_3genE3ELNS1_11target_archE908ELNS1_3gpuE7ELNS1_3repE0EEENS1_30default_config_static_selectorELNS0_4arch9wavefront6targetE1EEEvT1_
	.p2align	8
	.type	_ZN7rocprim17ROCPRIM_400000_NS6detail17trampoline_kernelINS0_14default_configENS1_20scan_config_selectorIjEEZZNS1_9scan_implILNS1_25lookback_scan_determinismE0ELb0ELb0ES3_N6thrust23THRUST_200600_302600_NS6detail15normal_iteratorINS9_10device_ptrIjEEEESE_j11max_functorIjEjEEDaPvRmT3_T4_T5_mT6_P12ihipStream_tbENKUlT_T0_E_clISt17integral_constantIbLb0EEST_IbLb1EEEEDaSP_SQ_EUlSP_E0_NS1_11comp_targetILNS1_3genE3ELNS1_11target_archE908ELNS1_3gpuE7ELNS1_3repE0EEENS1_30default_config_static_selectorELNS0_4arch9wavefront6targetE1EEEvT1_,@function
_ZN7rocprim17ROCPRIM_400000_NS6detail17trampoline_kernelINS0_14default_configENS1_20scan_config_selectorIjEEZZNS1_9scan_implILNS1_25lookback_scan_determinismE0ELb0ELb0ES3_N6thrust23THRUST_200600_302600_NS6detail15normal_iteratorINS9_10device_ptrIjEEEESE_j11max_functorIjEjEEDaPvRmT3_T4_T5_mT6_P12ihipStream_tbENKUlT_T0_E_clISt17integral_constantIbLb0EEST_IbLb1EEEEDaSP_SQ_EUlSP_E0_NS1_11comp_targetILNS1_3genE3ELNS1_11target_archE908ELNS1_3gpuE7ELNS1_3repE0EEENS1_30default_config_static_selectorELNS0_4arch9wavefront6targetE1EEEvT1_: ; @_ZN7rocprim17ROCPRIM_400000_NS6detail17trampoline_kernelINS0_14default_configENS1_20scan_config_selectorIjEEZZNS1_9scan_implILNS1_25lookback_scan_determinismE0ELb0ELb0ES3_N6thrust23THRUST_200600_302600_NS6detail15normal_iteratorINS9_10device_ptrIjEEEESE_j11max_functorIjEjEEDaPvRmT3_T4_T5_mT6_P12ihipStream_tbENKUlT_T0_E_clISt17integral_constantIbLb0EEST_IbLb1EEEEDaSP_SQ_EUlSP_E0_NS1_11comp_targetILNS1_3genE3ELNS1_11target_archE908ELNS1_3gpuE7ELNS1_3repE0EEENS1_30default_config_static_selectorELNS0_4arch9wavefront6targetE1EEEvT1_
; %bb.0:
	.section	.rodata,"a",@progbits
	.p2align	6, 0x0
	.amdhsa_kernel _ZN7rocprim17ROCPRIM_400000_NS6detail17trampoline_kernelINS0_14default_configENS1_20scan_config_selectorIjEEZZNS1_9scan_implILNS1_25lookback_scan_determinismE0ELb0ELb0ES3_N6thrust23THRUST_200600_302600_NS6detail15normal_iteratorINS9_10device_ptrIjEEEESE_j11max_functorIjEjEEDaPvRmT3_T4_T5_mT6_P12ihipStream_tbENKUlT_T0_E_clISt17integral_constantIbLb0EEST_IbLb1EEEEDaSP_SQ_EUlSP_E0_NS1_11comp_targetILNS1_3genE3ELNS1_11target_archE908ELNS1_3gpuE7ELNS1_3repE0EEENS1_30default_config_static_selectorELNS0_4arch9wavefront6targetE1EEEvT1_
		.amdhsa_group_segment_fixed_size 0
		.amdhsa_private_segment_fixed_size 0
		.amdhsa_kernarg_size 32
		.amdhsa_user_sgpr_count 6
		.amdhsa_user_sgpr_private_segment_buffer 1
		.amdhsa_user_sgpr_dispatch_ptr 0
		.amdhsa_user_sgpr_queue_ptr 0
		.amdhsa_user_sgpr_kernarg_segment_ptr 1
		.amdhsa_user_sgpr_dispatch_id 0
		.amdhsa_user_sgpr_flat_scratch_init 0
		.amdhsa_user_sgpr_kernarg_preload_length 0
		.amdhsa_user_sgpr_kernarg_preload_offset 0
		.amdhsa_user_sgpr_private_segment_size 0
		.amdhsa_uses_dynamic_stack 0
		.amdhsa_system_sgpr_private_segment_wavefront_offset 0
		.amdhsa_system_sgpr_workgroup_id_x 1
		.amdhsa_system_sgpr_workgroup_id_y 0
		.amdhsa_system_sgpr_workgroup_id_z 0
		.amdhsa_system_sgpr_workgroup_info 0
		.amdhsa_system_vgpr_workitem_id 0
		.amdhsa_next_free_vgpr 1
		.amdhsa_next_free_sgpr 0
		.amdhsa_accum_offset 4
		.amdhsa_reserve_vcc 0
		.amdhsa_reserve_flat_scratch 0
		.amdhsa_float_round_mode_32 0
		.amdhsa_float_round_mode_16_64 0
		.amdhsa_float_denorm_mode_32 3
		.amdhsa_float_denorm_mode_16_64 3
		.amdhsa_dx10_clamp 1
		.amdhsa_ieee_mode 1
		.amdhsa_fp16_overflow 0
		.amdhsa_tg_split 0
		.amdhsa_exception_fp_ieee_invalid_op 0
		.amdhsa_exception_fp_denorm_src 0
		.amdhsa_exception_fp_ieee_div_zero 0
		.amdhsa_exception_fp_ieee_overflow 0
		.amdhsa_exception_fp_ieee_underflow 0
		.amdhsa_exception_fp_ieee_inexact 0
		.amdhsa_exception_int_div_zero 0
	.end_amdhsa_kernel
	.section	.text._ZN7rocprim17ROCPRIM_400000_NS6detail17trampoline_kernelINS0_14default_configENS1_20scan_config_selectorIjEEZZNS1_9scan_implILNS1_25lookback_scan_determinismE0ELb0ELb0ES3_N6thrust23THRUST_200600_302600_NS6detail15normal_iteratorINS9_10device_ptrIjEEEESE_j11max_functorIjEjEEDaPvRmT3_T4_T5_mT6_P12ihipStream_tbENKUlT_T0_E_clISt17integral_constantIbLb0EEST_IbLb1EEEEDaSP_SQ_EUlSP_E0_NS1_11comp_targetILNS1_3genE3ELNS1_11target_archE908ELNS1_3gpuE7ELNS1_3repE0EEENS1_30default_config_static_selectorELNS0_4arch9wavefront6targetE1EEEvT1_,"axG",@progbits,_ZN7rocprim17ROCPRIM_400000_NS6detail17trampoline_kernelINS0_14default_configENS1_20scan_config_selectorIjEEZZNS1_9scan_implILNS1_25lookback_scan_determinismE0ELb0ELb0ES3_N6thrust23THRUST_200600_302600_NS6detail15normal_iteratorINS9_10device_ptrIjEEEESE_j11max_functorIjEjEEDaPvRmT3_T4_T5_mT6_P12ihipStream_tbENKUlT_T0_E_clISt17integral_constantIbLb0EEST_IbLb1EEEEDaSP_SQ_EUlSP_E0_NS1_11comp_targetILNS1_3genE3ELNS1_11target_archE908ELNS1_3gpuE7ELNS1_3repE0EEENS1_30default_config_static_selectorELNS0_4arch9wavefront6targetE1EEEvT1_,comdat
.Lfunc_end2323:
	.size	_ZN7rocprim17ROCPRIM_400000_NS6detail17trampoline_kernelINS0_14default_configENS1_20scan_config_selectorIjEEZZNS1_9scan_implILNS1_25lookback_scan_determinismE0ELb0ELb0ES3_N6thrust23THRUST_200600_302600_NS6detail15normal_iteratorINS9_10device_ptrIjEEEESE_j11max_functorIjEjEEDaPvRmT3_T4_T5_mT6_P12ihipStream_tbENKUlT_T0_E_clISt17integral_constantIbLb0EEST_IbLb1EEEEDaSP_SQ_EUlSP_E0_NS1_11comp_targetILNS1_3genE3ELNS1_11target_archE908ELNS1_3gpuE7ELNS1_3repE0EEENS1_30default_config_static_selectorELNS0_4arch9wavefront6targetE1EEEvT1_, .Lfunc_end2323-_ZN7rocprim17ROCPRIM_400000_NS6detail17trampoline_kernelINS0_14default_configENS1_20scan_config_selectorIjEEZZNS1_9scan_implILNS1_25lookback_scan_determinismE0ELb0ELb0ES3_N6thrust23THRUST_200600_302600_NS6detail15normal_iteratorINS9_10device_ptrIjEEEESE_j11max_functorIjEjEEDaPvRmT3_T4_T5_mT6_P12ihipStream_tbENKUlT_T0_E_clISt17integral_constantIbLb0EEST_IbLb1EEEEDaSP_SQ_EUlSP_E0_NS1_11comp_targetILNS1_3genE3ELNS1_11target_archE908ELNS1_3gpuE7ELNS1_3repE0EEENS1_30default_config_static_selectorELNS0_4arch9wavefront6targetE1EEEvT1_
                                        ; -- End function
	.section	.AMDGPU.csdata,"",@progbits
; Kernel info:
; codeLenInByte = 0
; NumSgprs: 4
; NumVgprs: 0
; NumAgprs: 0
; TotalNumVgprs: 0
; ScratchSize: 0
; MemoryBound: 0
; FloatMode: 240
; IeeeMode: 1
; LDSByteSize: 0 bytes/workgroup (compile time only)
; SGPRBlocks: 0
; VGPRBlocks: 0
; NumSGPRsForWavesPerEU: 4
; NumVGPRsForWavesPerEU: 1
; AccumOffset: 4
; Occupancy: 8
; WaveLimiterHint : 0
; COMPUTE_PGM_RSRC2:SCRATCH_EN: 0
; COMPUTE_PGM_RSRC2:USER_SGPR: 6
; COMPUTE_PGM_RSRC2:TRAP_HANDLER: 0
; COMPUTE_PGM_RSRC2:TGID_X_EN: 1
; COMPUTE_PGM_RSRC2:TGID_Y_EN: 0
; COMPUTE_PGM_RSRC2:TGID_Z_EN: 0
; COMPUTE_PGM_RSRC2:TIDIG_COMP_CNT: 0
; COMPUTE_PGM_RSRC3_GFX90A:ACCUM_OFFSET: 0
; COMPUTE_PGM_RSRC3_GFX90A:TG_SPLIT: 0
	.section	.text._ZN7rocprim17ROCPRIM_400000_NS6detail17trampoline_kernelINS0_14default_configENS1_20scan_config_selectorIjEEZZNS1_9scan_implILNS1_25lookback_scan_determinismE0ELb0ELb0ES3_N6thrust23THRUST_200600_302600_NS6detail15normal_iteratorINS9_10device_ptrIjEEEESE_j11max_functorIjEjEEDaPvRmT3_T4_T5_mT6_P12ihipStream_tbENKUlT_T0_E_clISt17integral_constantIbLb0EEST_IbLb1EEEEDaSP_SQ_EUlSP_E0_NS1_11comp_targetILNS1_3genE2ELNS1_11target_archE906ELNS1_3gpuE6ELNS1_3repE0EEENS1_30default_config_static_selectorELNS0_4arch9wavefront6targetE1EEEvT1_,"axG",@progbits,_ZN7rocprim17ROCPRIM_400000_NS6detail17trampoline_kernelINS0_14default_configENS1_20scan_config_selectorIjEEZZNS1_9scan_implILNS1_25lookback_scan_determinismE0ELb0ELb0ES3_N6thrust23THRUST_200600_302600_NS6detail15normal_iteratorINS9_10device_ptrIjEEEESE_j11max_functorIjEjEEDaPvRmT3_T4_T5_mT6_P12ihipStream_tbENKUlT_T0_E_clISt17integral_constantIbLb0EEST_IbLb1EEEEDaSP_SQ_EUlSP_E0_NS1_11comp_targetILNS1_3genE2ELNS1_11target_archE906ELNS1_3gpuE6ELNS1_3repE0EEENS1_30default_config_static_selectorELNS0_4arch9wavefront6targetE1EEEvT1_,comdat
	.protected	_ZN7rocprim17ROCPRIM_400000_NS6detail17trampoline_kernelINS0_14default_configENS1_20scan_config_selectorIjEEZZNS1_9scan_implILNS1_25lookback_scan_determinismE0ELb0ELb0ES3_N6thrust23THRUST_200600_302600_NS6detail15normal_iteratorINS9_10device_ptrIjEEEESE_j11max_functorIjEjEEDaPvRmT3_T4_T5_mT6_P12ihipStream_tbENKUlT_T0_E_clISt17integral_constantIbLb0EEST_IbLb1EEEEDaSP_SQ_EUlSP_E0_NS1_11comp_targetILNS1_3genE2ELNS1_11target_archE906ELNS1_3gpuE6ELNS1_3repE0EEENS1_30default_config_static_selectorELNS0_4arch9wavefront6targetE1EEEvT1_ ; -- Begin function _ZN7rocprim17ROCPRIM_400000_NS6detail17trampoline_kernelINS0_14default_configENS1_20scan_config_selectorIjEEZZNS1_9scan_implILNS1_25lookback_scan_determinismE0ELb0ELb0ES3_N6thrust23THRUST_200600_302600_NS6detail15normal_iteratorINS9_10device_ptrIjEEEESE_j11max_functorIjEjEEDaPvRmT3_T4_T5_mT6_P12ihipStream_tbENKUlT_T0_E_clISt17integral_constantIbLb0EEST_IbLb1EEEEDaSP_SQ_EUlSP_E0_NS1_11comp_targetILNS1_3genE2ELNS1_11target_archE906ELNS1_3gpuE6ELNS1_3repE0EEENS1_30default_config_static_selectorELNS0_4arch9wavefront6targetE1EEEvT1_
	.globl	_ZN7rocprim17ROCPRIM_400000_NS6detail17trampoline_kernelINS0_14default_configENS1_20scan_config_selectorIjEEZZNS1_9scan_implILNS1_25lookback_scan_determinismE0ELb0ELb0ES3_N6thrust23THRUST_200600_302600_NS6detail15normal_iteratorINS9_10device_ptrIjEEEESE_j11max_functorIjEjEEDaPvRmT3_T4_T5_mT6_P12ihipStream_tbENKUlT_T0_E_clISt17integral_constantIbLb0EEST_IbLb1EEEEDaSP_SQ_EUlSP_E0_NS1_11comp_targetILNS1_3genE2ELNS1_11target_archE906ELNS1_3gpuE6ELNS1_3repE0EEENS1_30default_config_static_selectorELNS0_4arch9wavefront6targetE1EEEvT1_
	.p2align	8
	.type	_ZN7rocprim17ROCPRIM_400000_NS6detail17trampoline_kernelINS0_14default_configENS1_20scan_config_selectorIjEEZZNS1_9scan_implILNS1_25lookback_scan_determinismE0ELb0ELb0ES3_N6thrust23THRUST_200600_302600_NS6detail15normal_iteratorINS9_10device_ptrIjEEEESE_j11max_functorIjEjEEDaPvRmT3_T4_T5_mT6_P12ihipStream_tbENKUlT_T0_E_clISt17integral_constantIbLb0EEST_IbLb1EEEEDaSP_SQ_EUlSP_E0_NS1_11comp_targetILNS1_3genE2ELNS1_11target_archE906ELNS1_3gpuE6ELNS1_3repE0EEENS1_30default_config_static_selectorELNS0_4arch9wavefront6targetE1EEEvT1_,@function
_ZN7rocprim17ROCPRIM_400000_NS6detail17trampoline_kernelINS0_14default_configENS1_20scan_config_selectorIjEEZZNS1_9scan_implILNS1_25lookback_scan_determinismE0ELb0ELb0ES3_N6thrust23THRUST_200600_302600_NS6detail15normal_iteratorINS9_10device_ptrIjEEEESE_j11max_functorIjEjEEDaPvRmT3_T4_T5_mT6_P12ihipStream_tbENKUlT_T0_E_clISt17integral_constantIbLb0EEST_IbLb1EEEEDaSP_SQ_EUlSP_E0_NS1_11comp_targetILNS1_3genE2ELNS1_11target_archE906ELNS1_3gpuE6ELNS1_3repE0EEENS1_30default_config_static_selectorELNS0_4arch9wavefront6targetE1EEEvT1_: ; @_ZN7rocprim17ROCPRIM_400000_NS6detail17trampoline_kernelINS0_14default_configENS1_20scan_config_selectorIjEEZZNS1_9scan_implILNS1_25lookback_scan_determinismE0ELb0ELb0ES3_N6thrust23THRUST_200600_302600_NS6detail15normal_iteratorINS9_10device_ptrIjEEEESE_j11max_functorIjEjEEDaPvRmT3_T4_T5_mT6_P12ihipStream_tbENKUlT_T0_E_clISt17integral_constantIbLb0EEST_IbLb1EEEEDaSP_SQ_EUlSP_E0_NS1_11comp_targetILNS1_3genE2ELNS1_11target_archE906ELNS1_3gpuE6ELNS1_3repE0EEENS1_30default_config_static_selectorELNS0_4arch9wavefront6targetE1EEEvT1_
; %bb.0:
	.section	.rodata,"a",@progbits
	.p2align	6, 0x0
	.amdhsa_kernel _ZN7rocprim17ROCPRIM_400000_NS6detail17trampoline_kernelINS0_14default_configENS1_20scan_config_selectorIjEEZZNS1_9scan_implILNS1_25lookback_scan_determinismE0ELb0ELb0ES3_N6thrust23THRUST_200600_302600_NS6detail15normal_iteratorINS9_10device_ptrIjEEEESE_j11max_functorIjEjEEDaPvRmT3_T4_T5_mT6_P12ihipStream_tbENKUlT_T0_E_clISt17integral_constantIbLb0EEST_IbLb1EEEEDaSP_SQ_EUlSP_E0_NS1_11comp_targetILNS1_3genE2ELNS1_11target_archE906ELNS1_3gpuE6ELNS1_3repE0EEENS1_30default_config_static_selectorELNS0_4arch9wavefront6targetE1EEEvT1_
		.amdhsa_group_segment_fixed_size 0
		.amdhsa_private_segment_fixed_size 0
		.amdhsa_kernarg_size 32
		.amdhsa_user_sgpr_count 6
		.amdhsa_user_sgpr_private_segment_buffer 1
		.amdhsa_user_sgpr_dispatch_ptr 0
		.amdhsa_user_sgpr_queue_ptr 0
		.amdhsa_user_sgpr_kernarg_segment_ptr 1
		.amdhsa_user_sgpr_dispatch_id 0
		.amdhsa_user_sgpr_flat_scratch_init 0
		.amdhsa_user_sgpr_kernarg_preload_length 0
		.amdhsa_user_sgpr_kernarg_preload_offset 0
		.amdhsa_user_sgpr_private_segment_size 0
		.amdhsa_uses_dynamic_stack 0
		.amdhsa_system_sgpr_private_segment_wavefront_offset 0
		.amdhsa_system_sgpr_workgroup_id_x 1
		.amdhsa_system_sgpr_workgroup_id_y 0
		.amdhsa_system_sgpr_workgroup_id_z 0
		.amdhsa_system_sgpr_workgroup_info 0
		.amdhsa_system_vgpr_workitem_id 0
		.amdhsa_next_free_vgpr 1
		.amdhsa_next_free_sgpr 0
		.amdhsa_accum_offset 4
		.amdhsa_reserve_vcc 0
		.amdhsa_reserve_flat_scratch 0
		.amdhsa_float_round_mode_32 0
		.amdhsa_float_round_mode_16_64 0
		.amdhsa_float_denorm_mode_32 3
		.amdhsa_float_denorm_mode_16_64 3
		.amdhsa_dx10_clamp 1
		.amdhsa_ieee_mode 1
		.amdhsa_fp16_overflow 0
		.amdhsa_tg_split 0
		.amdhsa_exception_fp_ieee_invalid_op 0
		.amdhsa_exception_fp_denorm_src 0
		.amdhsa_exception_fp_ieee_div_zero 0
		.amdhsa_exception_fp_ieee_overflow 0
		.amdhsa_exception_fp_ieee_underflow 0
		.amdhsa_exception_fp_ieee_inexact 0
		.amdhsa_exception_int_div_zero 0
	.end_amdhsa_kernel
	.section	.text._ZN7rocprim17ROCPRIM_400000_NS6detail17trampoline_kernelINS0_14default_configENS1_20scan_config_selectorIjEEZZNS1_9scan_implILNS1_25lookback_scan_determinismE0ELb0ELb0ES3_N6thrust23THRUST_200600_302600_NS6detail15normal_iteratorINS9_10device_ptrIjEEEESE_j11max_functorIjEjEEDaPvRmT3_T4_T5_mT6_P12ihipStream_tbENKUlT_T0_E_clISt17integral_constantIbLb0EEST_IbLb1EEEEDaSP_SQ_EUlSP_E0_NS1_11comp_targetILNS1_3genE2ELNS1_11target_archE906ELNS1_3gpuE6ELNS1_3repE0EEENS1_30default_config_static_selectorELNS0_4arch9wavefront6targetE1EEEvT1_,"axG",@progbits,_ZN7rocprim17ROCPRIM_400000_NS6detail17trampoline_kernelINS0_14default_configENS1_20scan_config_selectorIjEEZZNS1_9scan_implILNS1_25lookback_scan_determinismE0ELb0ELb0ES3_N6thrust23THRUST_200600_302600_NS6detail15normal_iteratorINS9_10device_ptrIjEEEESE_j11max_functorIjEjEEDaPvRmT3_T4_T5_mT6_P12ihipStream_tbENKUlT_T0_E_clISt17integral_constantIbLb0EEST_IbLb1EEEEDaSP_SQ_EUlSP_E0_NS1_11comp_targetILNS1_3genE2ELNS1_11target_archE906ELNS1_3gpuE6ELNS1_3repE0EEENS1_30default_config_static_selectorELNS0_4arch9wavefront6targetE1EEEvT1_,comdat
.Lfunc_end2324:
	.size	_ZN7rocprim17ROCPRIM_400000_NS6detail17trampoline_kernelINS0_14default_configENS1_20scan_config_selectorIjEEZZNS1_9scan_implILNS1_25lookback_scan_determinismE0ELb0ELb0ES3_N6thrust23THRUST_200600_302600_NS6detail15normal_iteratorINS9_10device_ptrIjEEEESE_j11max_functorIjEjEEDaPvRmT3_T4_T5_mT6_P12ihipStream_tbENKUlT_T0_E_clISt17integral_constantIbLb0EEST_IbLb1EEEEDaSP_SQ_EUlSP_E0_NS1_11comp_targetILNS1_3genE2ELNS1_11target_archE906ELNS1_3gpuE6ELNS1_3repE0EEENS1_30default_config_static_selectorELNS0_4arch9wavefront6targetE1EEEvT1_, .Lfunc_end2324-_ZN7rocprim17ROCPRIM_400000_NS6detail17trampoline_kernelINS0_14default_configENS1_20scan_config_selectorIjEEZZNS1_9scan_implILNS1_25lookback_scan_determinismE0ELb0ELb0ES3_N6thrust23THRUST_200600_302600_NS6detail15normal_iteratorINS9_10device_ptrIjEEEESE_j11max_functorIjEjEEDaPvRmT3_T4_T5_mT6_P12ihipStream_tbENKUlT_T0_E_clISt17integral_constantIbLb0EEST_IbLb1EEEEDaSP_SQ_EUlSP_E0_NS1_11comp_targetILNS1_3genE2ELNS1_11target_archE906ELNS1_3gpuE6ELNS1_3repE0EEENS1_30default_config_static_selectorELNS0_4arch9wavefront6targetE1EEEvT1_
                                        ; -- End function
	.section	.AMDGPU.csdata,"",@progbits
; Kernel info:
; codeLenInByte = 0
; NumSgprs: 4
; NumVgprs: 0
; NumAgprs: 0
; TotalNumVgprs: 0
; ScratchSize: 0
; MemoryBound: 0
; FloatMode: 240
; IeeeMode: 1
; LDSByteSize: 0 bytes/workgroup (compile time only)
; SGPRBlocks: 0
; VGPRBlocks: 0
; NumSGPRsForWavesPerEU: 4
; NumVGPRsForWavesPerEU: 1
; AccumOffset: 4
; Occupancy: 8
; WaveLimiterHint : 0
; COMPUTE_PGM_RSRC2:SCRATCH_EN: 0
; COMPUTE_PGM_RSRC2:USER_SGPR: 6
; COMPUTE_PGM_RSRC2:TRAP_HANDLER: 0
; COMPUTE_PGM_RSRC2:TGID_X_EN: 1
; COMPUTE_PGM_RSRC2:TGID_Y_EN: 0
; COMPUTE_PGM_RSRC2:TGID_Z_EN: 0
; COMPUTE_PGM_RSRC2:TIDIG_COMP_CNT: 0
; COMPUTE_PGM_RSRC3_GFX90A:ACCUM_OFFSET: 0
; COMPUTE_PGM_RSRC3_GFX90A:TG_SPLIT: 0
	.section	.text._ZN7rocprim17ROCPRIM_400000_NS6detail17trampoline_kernelINS0_14default_configENS1_20scan_config_selectorIjEEZZNS1_9scan_implILNS1_25lookback_scan_determinismE0ELb0ELb0ES3_N6thrust23THRUST_200600_302600_NS6detail15normal_iteratorINS9_10device_ptrIjEEEESE_j11max_functorIjEjEEDaPvRmT3_T4_T5_mT6_P12ihipStream_tbENKUlT_T0_E_clISt17integral_constantIbLb0EEST_IbLb1EEEEDaSP_SQ_EUlSP_E0_NS1_11comp_targetILNS1_3genE10ELNS1_11target_archE1201ELNS1_3gpuE5ELNS1_3repE0EEENS1_30default_config_static_selectorELNS0_4arch9wavefront6targetE1EEEvT1_,"axG",@progbits,_ZN7rocprim17ROCPRIM_400000_NS6detail17trampoline_kernelINS0_14default_configENS1_20scan_config_selectorIjEEZZNS1_9scan_implILNS1_25lookback_scan_determinismE0ELb0ELb0ES3_N6thrust23THRUST_200600_302600_NS6detail15normal_iteratorINS9_10device_ptrIjEEEESE_j11max_functorIjEjEEDaPvRmT3_T4_T5_mT6_P12ihipStream_tbENKUlT_T0_E_clISt17integral_constantIbLb0EEST_IbLb1EEEEDaSP_SQ_EUlSP_E0_NS1_11comp_targetILNS1_3genE10ELNS1_11target_archE1201ELNS1_3gpuE5ELNS1_3repE0EEENS1_30default_config_static_selectorELNS0_4arch9wavefront6targetE1EEEvT1_,comdat
	.protected	_ZN7rocprim17ROCPRIM_400000_NS6detail17trampoline_kernelINS0_14default_configENS1_20scan_config_selectorIjEEZZNS1_9scan_implILNS1_25lookback_scan_determinismE0ELb0ELb0ES3_N6thrust23THRUST_200600_302600_NS6detail15normal_iteratorINS9_10device_ptrIjEEEESE_j11max_functorIjEjEEDaPvRmT3_T4_T5_mT6_P12ihipStream_tbENKUlT_T0_E_clISt17integral_constantIbLb0EEST_IbLb1EEEEDaSP_SQ_EUlSP_E0_NS1_11comp_targetILNS1_3genE10ELNS1_11target_archE1201ELNS1_3gpuE5ELNS1_3repE0EEENS1_30default_config_static_selectorELNS0_4arch9wavefront6targetE1EEEvT1_ ; -- Begin function _ZN7rocprim17ROCPRIM_400000_NS6detail17trampoline_kernelINS0_14default_configENS1_20scan_config_selectorIjEEZZNS1_9scan_implILNS1_25lookback_scan_determinismE0ELb0ELb0ES3_N6thrust23THRUST_200600_302600_NS6detail15normal_iteratorINS9_10device_ptrIjEEEESE_j11max_functorIjEjEEDaPvRmT3_T4_T5_mT6_P12ihipStream_tbENKUlT_T0_E_clISt17integral_constantIbLb0EEST_IbLb1EEEEDaSP_SQ_EUlSP_E0_NS1_11comp_targetILNS1_3genE10ELNS1_11target_archE1201ELNS1_3gpuE5ELNS1_3repE0EEENS1_30default_config_static_selectorELNS0_4arch9wavefront6targetE1EEEvT1_
	.globl	_ZN7rocprim17ROCPRIM_400000_NS6detail17trampoline_kernelINS0_14default_configENS1_20scan_config_selectorIjEEZZNS1_9scan_implILNS1_25lookback_scan_determinismE0ELb0ELb0ES3_N6thrust23THRUST_200600_302600_NS6detail15normal_iteratorINS9_10device_ptrIjEEEESE_j11max_functorIjEjEEDaPvRmT3_T4_T5_mT6_P12ihipStream_tbENKUlT_T0_E_clISt17integral_constantIbLb0EEST_IbLb1EEEEDaSP_SQ_EUlSP_E0_NS1_11comp_targetILNS1_3genE10ELNS1_11target_archE1201ELNS1_3gpuE5ELNS1_3repE0EEENS1_30default_config_static_selectorELNS0_4arch9wavefront6targetE1EEEvT1_
	.p2align	8
	.type	_ZN7rocprim17ROCPRIM_400000_NS6detail17trampoline_kernelINS0_14default_configENS1_20scan_config_selectorIjEEZZNS1_9scan_implILNS1_25lookback_scan_determinismE0ELb0ELb0ES3_N6thrust23THRUST_200600_302600_NS6detail15normal_iteratorINS9_10device_ptrIjEEEESE_j11max_functorIjEjEEDaPvRmT3_T4_T5_mT6_P12ihipStream_tbENKUlT_T0_E_clISt17integral_constantIbLb0EEST_IbLb1EEEEDaSP_SQ_EUlSP_E0_NS1_11comp_targetILNS1_3genE10ELNS1_11target_archE1201ELNS1_3gpuE5ELNS1_3repE0EEENS1_30default_config_static_selectorELNS0_4arch9wavefront6targetE1EEEvT1_,@function
_ZN7rocprim17ROCPRIM_400000_NS6detail17trampoline_kernelINS0_14default_configENS1_20scan_config_selectorIjEEZZNS1_9scan_implILNS1_25lookback_scan_determinismE0ELb0ELb0ES3_N6thrust23THRUST_200600_302600_NS6detail15normal_iteratorINS9_10device_ptrIjEEEESE_j11max_functorIjEjEEDaPvRmT3_T4_T5_mT6_P12ihipStream_tbENKUlT_T0_E_clISt17integral_constantIbLb0EEST_IbLb1EEEEDaSP_SQ_EUlSP_E0_NS1_11comp_targetILNS1_3genE10ELNS1_11target_archE1201ELNS1_3gpuE5ELNS1_3repE0EEENS1_30default_config_static_selectorELNS0_4arch9wavefront6targetE1EEEvT1_: ; @_ZN7rocprim17ROCPRIM_400000_NS6detail17trampoline_kernelINS0_14default_configENS1_20scan_config_selectorIjEEZZNS1_9scan_implILNS1_25lookback_scan_determinismE0ELb0ELb0ES3_N6thrust23THRUST_200600_302600_NS6detail15normal_iteratorINS9_10device_ptrIjEEEESE_j11max_functorIjEjEEDaPvRmT3_T4_T5_mT6_P12ihipStream_tbENKUlT_T0_E_clISt17integral_constantIbLb0EEST_IbLb1EEEEDaSP_SQ_EUlSP_E0_NS1_11comp_targetILNS1_3genE10ELNS1_11target_archE1201ELNS1_3gpuE5ELNS1_3repE0EEENS1_30default_config_static_selectorELNS0_4arch9wavefront6targetE1EEEvT1_
; %bb.0:
	.section	.rodata,"a",@progbits
	.p2align	6, 0x0
	.amdhsa_kernel _ZN7rocprim17ROCPRIM_400000_NS6detail17trampoline_kernelINS0_14default_configENS1_20scan_config_selectorIjEEZZNS1_9scan_implILNS1_25lookback_scan_determinismE0ELb0ELb0ES3_N6thrust23THRUST_200600_302600_NS6detail15normal_iteratorINS9_10device_ptrIjEEEESE_j11max_functorIjEjEEDaPvRmT3_T4_T5_mT6_P12ihipStream_tbENKUlT_T0_E_clISt17integral_constantIbLb0EEST_IbLb1EEEEDaSP_SQ_EUlSP_E0_NS1_11comp_targetILNS1_3genE10ELNS1_11target_archE1201ELNS1_3gpuE5ELNS1_3repE0EEENS1_30default_config_static_selectorELNS0_4arch9wavefront6targetE1EEEvT1_
		.amdhsa_group_segment_fixed_size 0
		.amdhsa_private_segment_fixed_size 0
		.amdhsa_kernarg_size 32
		.amdhsa_user_sgpr_count 6
		.amdhsa_user_sgpr_private_segment_buffer 1
		.amdhsa_user_sgpr_dispatch_ptr 0
		.amdhsa_user_sgpr_queue_ptr 0
		.amdhsa_user_sgpr_kernarg_segment_ptr 1
		.amdhsa_user_sgpr_dispatch_id 0
		.amdhsa_user_sgpr_flat_scratch_init 0
		.amdhsa_user_sgpr_kernarg_preload_length 0
		.amdhsa_user_sgpr_kernarg_preload_offset 0
		.amdhsa_user_sgpr_private_segment_size 0
		.amdhsa_uses_dynamic_stack 0
		.amdhsa_system_sgpr_private_segment_wavefront_offset 0
		.amdhsa_system_sgpr_workgroup_id_x 1
		.amdhsa_system_sgpr_workgroup_id_y 0
		.amdhsa_system_sgpr_workgroup_id_z 0
		.amdhsa_system_sgpr_workgroup_info 0
		.amdhsa_system_vgpr_workitem_id 0
		.amdhsa_next_free_vgpr 1
		.amdhsa_next_free_sgpr 0
		.amdhsa_accum_offset 4
		.amdhsa_reserve_vcc 0
		.amdhsa_reserve_flat_scratch 0
		.amdhsa_float_round_mode_32 0
		.amdhsa_float_round_mode_16_64 0
		.amdhsa_float_denorm_mode_32 3
		.amdhsa_float_denorm_mode_16_64 3
		.amdhsa_dx10_clamp 1
		.amdhsa_ieee_mode 1
		.amdhsa_fp16_overflow 0
		.amdhsa_tg_split 0
		.amdhsa_exception_fp_ieee_invalid_op 0
		.amdhsa_exception_fp_denorm_src 0
		.amdhsa_exception_fp_ieee_div_zero 0
		.amdhsa_exception_fp_ieee_overflow 0
		.amdhsa_exception_fp_ieee_underflow 0
		.amdhsa_exception_fp_ieee_inexact 0
		.amdhsa_exception_int_div_zero 0
	.end_amdhsa_kernel
	.section	.text._ZN7rocprim17ROCPRIM_400000_NS6detail17trampoline_kernelINS0_14default_configENS1_20scan_config_selectorIjEEZZNS1_9scan_implILNS1_25lookback_scan_determinismE0ELb0ELb0ES3_N6thrust23THRUST_200600_302600_NS6detail15normal_iteratorINS9_10device_ptrIjEEEESE_j11max_functorIjEjEEDaPvRmT3_T4_T5_mT6_P12ihipStream_tbENKUlT_T0_E_clISt17integral_constantIbLb0EEST_IbLb1EEEEDaSP_SQ_EUlSP_E0_NS1_11comp_targetILNS1_3genE10ELNS1_11target_archE1201ELNS1_3gpuE5ELNS1_3repE0EEENS1_30default_config_static_selectorELNS0_4arch9wavefront6targetE1EEEvT1_,"axG",@progbits,_ZN7rocprim17ROCPRIM_400000_NS6detail17trampoline_kernelINS0_14default_configENS1_20scan_config_selectorIjEEZZNS1_9scan_implILNS1_25lookback_scan_determinismE0ELb0ELb0ES3_N6thrust23THRUST_200600_302600_NS6detail15normal_iteratorINS9_10device_ptrIjEEEESE_j11max_functorIjEjEEDaPvRmT3_T4_T5_mT6_P12ihipStream_tbENKUlT_T0_E_clISt17integral_constantIbLb0EEST_IbLb1EEEEDaSP_SQ_EUlSP_E0_NS1_11comp_targetILNS1_3genE10ELNS1_11target_archE1201ELNS1_3gpuE5ELNS1_3repE0EEENS1_30default_config_static_selectorELNS0_4arch9wavefront6targetE1EEEvT1_,comdat
.Lfunc_end2325:
	.size	_ZN7rocprim17ROCPRIM_400000_NS6detail17trampoline_kernelINS0_14default_configENS1_20scan_config_selectorIjEEZZNS1_9scan_implILNS1_25lookback_scan_determinismE0ELb0ELb0ES3_N6thrust23THRUST_200600_302600_NS6detail15normal_iteratorINS9_10device_ptrIjEEEESE_j11max_functorIjEjEEDaPvRmT3_T4_T5_mT6_P12ihipStream_tbENKUlT_T0_E_clISt17integral_constantIbLb0EEST_IbLb1EEEEDaSP_SQ_EUlSP_E0_NS1_11comp_targetILNS1_3genE10ELNS1_11target_archE1201ELNS1_3gpuE5ELNS1_3repE0EEENS1_30default_config_static_selectorELNS0_4arch9wavefront6targetE1EEEvT1_, .Lfunc_end2325-_ZN7rocprim17ROCPRIM_400000_NS6detail17trampoline_kernelINS0_14default_configENS1_20scan_config_selectorIjEEZZNS1_9scan_implILNS1_25lookback_scan_determinismE0ELb0ELb0ES3_N6thrust23THRUST_200600_302600_NS6detail15normal_iteratorINS9_10device_ptrIjEEEESE_j11max_functorIjEjEEDaPvRmT3_T4_T5_mT6_P12ihipStream_tbENKUlT_T0_E_clISt17integral_constantIbLb0EEST_IbLb1EEEEDaSP_SQ_EUlSP_E0_NS1_11comp_targetILNS1_3genE10ELNS1_11target_archE1201ELNS1_3gpuE5ELNS1_3repE0EEENS1_30default_config_static_selectorELNS0_4arch9wavefront6targetE1EEEvT1_
                                        ; -- End function
	.section	.AMDGPU.csdata,"",@progbits
; Kernel info:
; codeLenInByte = 0
; NumSgprs: 4
; NumVgprs: 0
; NumAgprs: 0
; TotalNumVgprs: 0
; ScratchSize: 0
; MemoryBound: 0
; FloatMode: 240
; IeeeMode: 1
; LDSByteSize: 0 bytes/workgroup (compile time only)
; SGPRBlocks: 0
; VGPRBlocks: 0
; NumSGPRsForWavesPerEU: 4
; NumVGPRsForWavesPerEU: 1
; AccumOffset: 4
; Occupancy: 8
; WaveLimiterHint : 0
; COMPUTE_PGM_RSRC2:SCRATCH_EN: 0
; COMPUTE_PGM_RSRC2:USER_SGPR: 6
; COMPUTE_PGM_RSRC2:TRAP_HANDLER: 0
; COMPUTE_PGM_RSRC2:TGID_X_EN: 1
; COMPUTE_PGM_RSRC2:TGID_Y_EN: 0
; COMPUTE_PGM_RSRC2:TGID_Z_EN: 0
; COMPUTE_PGM_RSRC2:TIDIG_COMP_CNT: 0
; COMPUTE_PGM_RSRC3_GFX90A:ACCUM_OFFSET: 0
; COMPUTE_PGM_RSRC3_GFX90A:TG_SPLIT: 0
	.section	.text._ZN7rocprim17ROCPRIM_400000_NS6detail17trampoline_kernelINS0_14default_configENS1_20scan_config_selectorIjEEZZNS1_9scan_implILNS1_25lookback_scan_determinismE0ELb0ELb0ES3_N6thrust23THRUST_200600_302600_NS6detail15normal_iteratorINS9_10device_ptrIjEEEESE_j11max_functorIjEjEEDaPvRmT3_T4_T5_mT6_P12ihipStream_tbENKUlT_T0_E_clISt17integral_constantIbLb0EEST_IbLb1EEEEDaSP_SQ_EUlSP_E0_NS1_11comp_targetILNS1_3genE10ELNS1_11target_archE1200ELNS1_3gpuE4ELNS1_3repE0EEENS1_30default_config_static_selectorELNS0_4arch9wavefront6targetE1EEEvT1_,"axG",@progbits,_ZN7rocprim17ROCPRIM_400000_NS6detail17trampoline_kernelINS0_14default_configENS1_20scan_config_selectorIjEEZZNS1_9scan_implILNS1_25lookback_scan_determinismE0ELb0ELb0ES3_N6thrust23THRUST_200600_302600_NS6detail15normal_iteratorINS9_10device_ptrIjEEEESE_j11max_functorIjEjEEDaPvRmT3_T4_T5_mT6_P12ihipStream_tbENKUlT_T0_E_clISt17integral_constantIbLb0EEST_IbLb1EEEEDaSP_SQ_EUlSP_E0_NS1_11comp_targetILNS1_3genE10ELNS1_11target_archE1200ELNS1_3gpuE4ELNS1_3repE0EEENS1_30default_config_static_selectorELNS0_4arch9wavefront6targetE1EEEvT1_,comdat
	.protected	_ZN7rocprim17ROCPRIM_400000_NS6detail17trampoline_kernelINS0_14default_configENS1_20scan_config_selectorIjEEZZNS1_9scan_implILNS1_25lookback_scan_determinismE0ELb0ELb0ES3_N6thrust23THRUST_200600_302600_NS6detail15normal_iteratorINS9_10device_ptrIjEEEESE_j11max_functorIjEjEEDaPvRmT3_T4_T5_mT6_P12ihipStream_tbENKUlT_T0_E_clISt17integral_constantIbLb0EEST_IbLb1EEEEDaSP_SQ_EUlSP_E0_NS1_11comp_targetILNS1_3genE10ELNS1_11target_archE1200ELNS1_3gpuE4ELNS1_3repE0EEENS1_30default_config_static_selectorELNS0_4arch9wavefront6targetE1EEEvT1_ ; -- Begin function _ZN7rocprim17ROCPRIM_400000_NS6detail17trampoline_kernelINS0_14default_configENS1_20scan_config_selectorIjEEZZNS1_9scan_implILNS1_25lookback_scan_determinismE0ELb0ELb0ES3_N6thrust23THRUST_200600_302600_NS6detail15normal_iteratorINS9_10device_ptrIjEEEESE_j11max_functorIjEjEEDaPvRmT3_T4_T5_mT6_P12ihipStream_tbENKUlT_T0_E_clISt17integral_constantIbLb0EEST_IbLb1EEEEDaSP_SQ_EUlSP_E0_NS1_11comp_targetILNS1_3genE10ELNS1_11target_archE1200ELNS1_3gpuE4ELNS1_3repE0EEENS1_30default_config_static_selectorELNS0_4arch9wavefront6targetE1EEEvT1_
	.globl	_ZN7rocprim17ROCPRIM_400000_NS6detail17trampoline_kernelINS0_14default_configENS1_20scan_config_selectorIjEEZZNS1_9scan_implILNS1_25lookback_scan_determinismE0ELb0ELb0ES3_N6thrust23THRUST_200600_302600_NS6detail15normal_iteratorINS9_10device_ptrIjEEEESE_j11max_functorIjEjEEDaPvRmT3_T4_T5_mT6_P12ihipStream_tbENKUlT_T0_E_clISt17integral_constantIbLb0EEST_IbLb1EEEEDaSP_SQ_EUlSP_E0_NS1_11comp_targetILNS1_3genE10ELNS1_11target_archE1200ELNS1_3gpuE4ELNS1_3repE0EEENS1_30default_config_static_selectorELNS0_4arch9wavefront6targetE1EEEvT1_
	.p2align	8
	.type	_ZN7rocprim17ROCPRIM_400000_NS6detail17trampoline_kernelINS0_14default_configENS1_20scan_config_selectorIjEEZZNS1_9scan_implILNS1_25lookback_scan_determinismE0ELb0ELb0ES3_N6thrust23THRUST_200600_302600_NS6detail15normal_iteratorINS9_10device_ptrIjEEEESE_j11max_functorIjEjEEDaPvRmT3_T4_T5_mT6_P12ihipStream_tbENKUlT_T0_E_clISt17integral_constantIbLb0EEST_IbLb1EEEEDaSP_SQ_EUlSP_E0_NS1_11comp_targetILNS1_3genE10ELNS1_11target_archE1200ELNS1_3gpuE4ELNS1_3repE0EEENS1_30default_config_static_selectorELNS0_4arch9wavefront6targetE1EEEvT1_,@function
_ZN7rocprim17ROCPRIM_400000_NS6detail17trampoline_kernelINS0_14default_configENS1_20scan_config_selectorIjEEZZNS1_9scan_implILNS1_25lookback_scan_determinismE0ELb0ELb0ES3_N6thrust23THRUST_200600_302600_NS6detail15normal_iteratorINS9_10device_ptrIjEEEESE_j11max_functorIjEjEEDaPvRmT3_T4_T5_mT6_P12ihipStream_tbENKUlT_T0_E_clISt17integral_constantIbLb0EEST_IbLb1EEEEDaSP_SQ_EUlSP_E0_NS1_11comp_targetILNS1_3genE10ELNS1_11target_archE1200ELNS1_3gpuE4ELNS1_3repE0EEENS1_30default_config_static_selectorELNS0_4arch9wavefront6targetE1EEEvT1_: ; @_ZN7rocprim17ROCPRIM_400000_NS6detail17trampoline_kernelINS0_14default_configENS1_20scan_config_selectorIjEEZZNS1_9scan_implILNS1_25lookback_scan_determinismE0ELb0ELb0ES3_N6thrust23THRUST_200600_302600_NS6detail15normal_iteratorINS9_10device_ptrIjEEEESE_j11max_functorIjEjEEDaPvRmT3_T4_T5_mT6_P12ihipStream_tbENKUlT_T0_E_clISt17integral_constantIbLb0EEST_IbLb1EEEEDaSP_SQ_EUlSP_E0_NS1_11comp_targetILNS1_3genE10ELNS1_11target_archE1200ELNS1_3gpuE4ELNS1_3repE0EEENS1_30default_config_static_selectorELNS0_4arch9wavefront6targetE1EEEvT1_
; %bb.0:
	.section	.rodata,"a",@progbits
	.p2align	6, 0x0
	.amdhsa_kernel _ZN7rocprim17ROCPRIM_400000_NS6detail17trampoline_kernelINS0_14default_configENS1_20scan_config_selectorIjEEZZNS1_9scan_implILNS1_25lookback_scan_determinismE0ELb0ELb0ES3_N6thrust23THRUST_200600_302600_NS6detail15normal_iteratorINS9_10device_ptrIjEEEESE_j11max_functorIjEjEEDaPvRmT3_T4_T5_mT6_P12ihipStream_tbENKUlT_T0_E_clISt17integral_constantIbLb0EEST_IbLb1EEEEDaSP_SQ_EUlSP_E0_NS1_11comp_targetILNS1_3genE10ELNS1_11target_archE1200ELNS1_3gpuE4ELNS1_3repE0EEENS1_30default_config_static_selectorELNS0_4arch9wavefront6targetE1EEEvT1_
		.amdhsa_group_segment_fixed_size 0
		.amdhsa_private_segment_fixed_size 0
		.amdhsa_kernarg_size 32
		.amdhsa_user_sgpr_count 6
		.amdhsa_user_sgpr_private_segment_buffer 1
		.amdhsa_user_sgpr_dispatch_ptr 0
		.amdhsa_user_sgpr_queue_ptr 0
		.amdhsa_user_sgpr_kernarg_segment_ptr 1
		.amdhsa_user_sgpr_dispatch_id 0
		.amdhsa_user_sgpr_flat_scratch_init 0
		.amdhsa_user_sgpr_kernarg_preload_length 0
		.amdhsa_user_sgpr_kernarg_preload_offset 0
		.amdhsa_user_sgpr_private_segment_size 0
		.amdhsa_uses_dynamic_stack 0
		.amdhsa_system_sgpr_private_segment_wavefront_offset 0
		.amdhsa_system_sgpr_workgroup_id_x 1
		.amdhsa_system_sgpr_workgroup_id_y 0
		.amdhsa_system_sgpr_workgroup_id_z 0
		.amdhsa_system_sgpr_workgroup_info 0
		.amdhsa_system_vgpr_workitem_id 0
		.amdhsa_next_free_vgpr 1
		.amdhsa_next_free_sgpr 0
		.amdhsa_accum_offset 4
		.amdhsa_reserve_vcc 0
		.amdhsa_reserve_flat_scratch 0
		.amdhsa_float_round_mode_32 0
		.amdhsa_float_round_mode_16_64 0
		.amdhsa_float_denorm_mode_32 3
		.amdhsa_float_denorm_mode_16_64 3
		.amdhsa_dx10_clamp 1
		.amdhsa_ieee_mode 1
		.amdhsa_fp16_overflow 0
		.amdhsa_tg_split 0
		.amdhsa_exception_fp_ieee_invalid_op 0
		.amdhsa_exception_fp_denorm_src 0
		.amdhsa_exception_fp_ieee_div_zero 0
		.amdhsa_exception_fp_ieee_overflow 0
		.amdhsa_exception_fp_ieee_underflow 0
		.amdhsa_exception_fp_ieee_inexact 0
		.amdhsa_exception_int_div_zero 0
	.end_amdhsa_kernel
	.section	.text._ZN7rocprim17ROCPRIM_400000_NS6detail17trampoline_kernelINS0_14default_configENS1_20scan_config_selectorIjEEZZNS1_9scan_implILNS1_25lookback_scan_determinismE0ELb0ELb0ES3_N6thrust23THRUST_200600_302600_NS6detail15normal_iteratorINS9_10device_ptrIjEEEESE_j11max_functorIjEjEEDaPvRmT3_T4_T5_mT6_P12ihipStream_tbENKUlT_T0_E_clISt17integral_constantIbLb0EEST_IbLb1EEEEDaSP_SQ_EUlSP_E0_NS1_11comp_targetILNS1_3genE10ELNS1_11target_archE1200ELNS1_3gpuE4ELNS1_3repE0EEENS1_30default_config_static_selectorELNS0_4arch9wavefront6targetE1EEEvT1_,"axG",@progbits,_ZN7rocprim17ROCPRIM_400000_NS6detail17trampoline_kernelINS0_14default_configENS1_20scan_config_selectorIjEEZZNS1_9scan_implILNS1_25lookback_scan_determinismE0ELb0ELb0ES3_N6thrust23THRUST_200600_302600_NS6detail15normal_iteratorINS9_10device_ptrIjEEEESE_j11max_functorIjEjEEDaPvRmT3_T4_T5_mT6_P12ihipStream_tbENKUlT_T0_E_clISt17integral_constantIbLb0EEST_IbLb1EEEEDaSP_SQ_EUlSP_E0_NS1_11comp_targetILNS1_3genE10ELNS1_11target_archE1200ELNS1_3gpuE4ELNS1_3repE0EEENS1_30default_config_static_selectorELNS0_4arch9wavefront6targetE1EEEvT1_,comdat
.Lfunc_end2326:
	.size	_ZN7rocprim17ROCPRIM_400000_NS6detail17trampoline_kernelINS0_14default_configENS1_20scan_config_selectorIjEEZZNS1_9scan_implILNS1_25lookback_scan_determinismE0ELb0ELb0ES3_N6thrust23THRUST_200600_302600_NS6detail15normal_iteratorINS9_10device_ptrIjEEEESE_j11max_functorIjEjEEDaPvRmT3_T4_T5_mT6_P12ihipStream_tbENKUlT_T0_E_clISt17integral_constantIbLb0EEST_IbLb1EEEEDaSP_SQ_EUlSP_E0_NS1_11comp_targetILNS1_3genE10ELNS1_11target_archE1200ELNS1_3gpuE4ELNS1_3repE0EEENS1_30default_config_static_selectorELNS0_4arch9wavefront6targetE1EEEvT1_, .Lfunc_end2326-_ZN7rocprim17ROCPRIM_400000_NS6detail17trampoline_kernelINS0_14default_configENS1_20scan_config_selectorIjEEZZNS1_9scan_implILNS1_25lookback_scan_determinismE0ELb0ELb0ES3_N6thrust23THRUST_200600_302600_NS6detail15normal_iteratorINS9_10device_ptrIjEEEESE_j11max_functorIjEjEEDaPvRmT3_T4_T5_mT6_P12ihipStream_tbENKUlT_T0_E_clISt17integral_constantIbLb0EEST_IbLb1EEEEDaSP_SQ_EUlSP_E0_NS1_11comp_targetILNS1_3genE10ELNS1_11target_archE1200ELNS1_3gpuE4ELNS1_3repE0EEENS1_30default_config_static_selectorELNS0_4arch9wavefront6targetE1EEEvT1_
                                        ; -- End function
	.section	.AMDGPU.csdata,"",@progbits
; Kernel info:
; codeLenInByte = 0
; NumSgprs: 4
; NumVgprs: 0
; NumAgprs: 0
; TotalNumVgprs: 0
; ScratchSize: 0
; MemoryBound: 0
; FloatMode: 240
; IeeeMode: 1
; LDSByteSize: 0 bytes/workgroup (compile time only)
; SGPRBlocks: 0
; VGPRBlocks: 0
; NumSGPRsForWavesPerEU: 4
; NumVGPRsForWavesPerEU: 1
; AccumOffset: 4
; Occupancy: 8
; WaveLimiterHint : 0
; COMPUTE_PGM_RSRC2:SCRATCH_EN: 0
; COMPUTE_PGM_RSRC2:USER_SGPR: 6
; COMPUTE_PGM_RSRC2:TRAP_HANDLER: 0
; COMPUTE_PGM_RSRC2:TGID_X_EN: 1
; COMPUTE_PGM_RSRC2:TGID_Y_EN: 0
; COMPUTE_PGM_RSRC2:TGID_Z_EN: 0
; COMPUTE_PGM_RSRC2:TIDIG_COMP_CNT: 0
; COMPUTE_PGM_RSRC3_GFX90A:ACCUM_OFFSET: 0
; COMPUTE_PGM_RSRC3_GFX90A:TG_SPLIT: 0
	.section	.text._ZN7rocprim17ROCPRIM_400000_NS6detail17trampoline_kernelINS0_14default_configENS1_20scan_config_selectorIjEEZZNS1_9scan_implILNS1_25lookback_scan_determinismE0ELb0ELb0ES3_N6thrust23THRUST_200600_302600_NS6detail15normal_iteratorINS9_10device_ptrIjEEEESE_j11max_functorIjEjEEDaPvRmT3_T4_T5_mT6_P12ihipStream_tbENKUlT_T0_E_clISt17integral_constantIbLb0EEST_IbLb1EEEEDaSP_SQ_EUlSP_E0_NS1_11comp_targetILNS1_3genE9ELNS1_11target_archE1100ELNS1_3gpuE3ELNS1_3repE0EEENS1_30default_config_static_selectorELNS0_4arch9wavefront6targetE1EEEvT1_,"axG",@progbits,_ZN7rocprim17ROCPRIM_400000_NS6detail17trampoline_kernelINS0_14default_configENS1_20scan_config_selectorIjEEZZNS1_9scan_implILNS1_25lookback_scan_determinismE0ELb0ELb0ES3_N6thrust23THRUST_200600_302600_NS6detail15normal_iteratorINS9_10device_ptrIjEEEESE_j11max_functorIjEjEEDaPvRmT3_T4_T5_mT6_P12ihipStream_tbENKUlT_T0_E_clISt17integral_constantIbLb0EEST_IbLb1EEEEDaSP_SQ_EUlSP_E0_NS1_11comp_targetILNS1_3genE9ELNS1_11target_archE1100ELNS1_3gpuE3ELNS1_3repE0EEENS1_30default_config_static_selectorELNS0_4arch9wavefront6targetE1EEEvT1_,comdat
	.protected	_ZN7rocprim17ROCPRIM_400000_NS6detail17trampoline_kernelINS0_14default_configENS1_20scan_config_selectorIjEEZZNS1_9scan_implILNS1_25lookback_scan_determinismE0ELb0ELb0ES3_N6thrust23THRUST_200600_302600_NS6detail15normal_iteratorINS9_10device_ptrIjEEEESE_j11max_functorIjEjEEDaPvRmT3_T4_T5_mT6_P12ihipStream_tbENKUlT_T0_E_clISt17integral_constantIbLb0EEST_IbLb1EEEEDaSP_SQ_EUlSP_E0_NS1_11comp_targetILNS1_3genE9ELNS1_11target_archE1100ELNS1_3gpuE3ELNS1_3repE0EEENS1_30default_config_static_selectorELNS0_4arch9wavefront6targetE1EEEvT1_ ; -- Begin function _ZN7rocprim17ROCPRIM_400000_NS6detail17trampoline_kernelINS0_14default_configENS1_20scan_config_selectorIjEEZZNS1_9scan_implILNS1_25lookback_scan_determinismE0ELb0ELb0ES3_N6thrust23THRUST_200600_302600_NS6detail15normal_iteratorINS9_10device_ptrIjEEEESE_j11max_functorIjEjEEDaPvRmT3_T4_T5_mT6_P12ihipStream_tbENKUlT_T0_E_clISt17integral_constantIbLb0EEST_IbLb1EEEEDaSP_SQ_EUlSP_E0_NS1_11comp_targetILNS1_3genE9ELNS1_11target_archE1100ELNS1_3gpuE3ELNS1_3repE0EEENS1_30default_config_static_selectorELNS0_4arch9wavefront6targetE1EEEvT1_
	.globl	_ZN7rocprim17ROCPRIM_400000_NS6detail17trampoline_kernelINS0_14default_configENS1_20scan_config_selectorIjEEZZNS1_9scan_implILNS1_25lookback_scan_determinismE0ELb0ELb0ES3_N6thrust23THRUST_200600_302600_NS6detail15normal_iteratorINS9_10device_ptrIjEEEESE_j11max_functorIjEjEEDaPvRmT3_T4_T5_mT6_P12ihipStream_tbENKUlT_T0_E_clISt17integral_constantIbLb0EEST_IbLb1EEEEDaSP_SQ_EUlSP_E0_NS1_11comp_targetILNS1_3genE9ELNS1_11target_archE1100ELNS1_3gpuE3ELNS1_3repE0EEENS1_30default_config_static_selectorELNS0_4arch9wavefront6targetE1EEEvT1_
	.p2align	8
	.type	_ZN7rocprim17ROCPRIM_400000_NS6detail17trampoline_kernelINS0_14default_configENS1_20scan_config_selectorIjEEZZNS1_9scan_implILNS1_25lookback_scan_determinismE0ELb0ELb0ES3_N6thrust23THRUST_200600_302600_NS6detail15normal_iteratorINS9_10device_ptrIjEEEESE_j11max_functorIjEjEEDaPvRmT3_T4_T5_mT6_P12ihipStream_tbENKUlT_T0_E_clISt17integral_constantIbLb0EEST_IbLb1EEEEDaSP_SQ_EUlSP_E0_NS1_11comp_targetILNS1_3genE9ELNS1_11target_archE1100ELNS1_3gpuE3ELNS1_3repE0EEENS1_30default_config_static_selectorELNS0_4arch9wavefront6targetE1EEEvT1_,@function
_ZN7rocprim17ROCPRIM_400000_NS6detail17trampoline_kernelINS0_14default_configENS1_20scan_config_selectorIjEEZZNS1_9scan_implILNS1_25lookback_scan_determinismE0ELb0ELb0ES3_N6thrust23THRUST_200600_302600_NS6detail15normal_iteratorINS9_10device_ptrIjEEEESE_j11max_functorIjEjEEDaPvRmT3_T4_T5_mT6_P12ihipStream_tbENKUlT_T0_E_clISt17integral_constantIbLb0EEST_IbLb1EEEEDaSP_SQ_EUlSP_E0_NS1_11comp_targetILNS1_3genE9ELNS1_11target_archE1100ELNS1_3gpuE3ELNS1_3repE0EEENS1_30default_config_static_selectorELNS0_4arch9wavefront6targetE1EEEvT1_: ; @_ZN7rocprim17ROCPRIM_400000_NS6detail17trampoline_kernelINS0_14default_configENS1_20scan_config_selectorIjEEZZNS1_9scan_implILNS1_25lookback_scan_determinismE0ELb0ELb0ES3_N6thrust23THRUST_200600_302600_NS6detail15normal_iteratorINS9_10device_ptrIjEEEESE_j11max_functorIjEjEEDaPvRmT3_T4_T5_mT6_P12ihipStream_tbENKUlT_T0_E_clISt17integral_constantIbLb0EEST_IbLb1EEEEDaSP_SQ_EUlSP_E0_NS1_11comp_targetILNS1_3genE9ELNS1_11target_archE1100ELNS1_3gpuE3ELNS1_3repE0EEENS1_30default_config_static_selectorELNS0_4arch9wavefront6targetE1EEEvT1_
; %bb.0:
	.section	.rodata,"a",@progbits
	.p2align	6, 0x0
	.amdhsa_kernel _ZN7rocprim17ROCPRIM_400000_NS6detail17trampoline_kernelINS0_14default_configENS1_20scan_config_selectorIjEEZZNS1_9scan_implILNS1_25lookback_scan_determinismE0ELb0ELb0ES3_N6thrust23THRUST_200600_302600_NS6detail15normal_iteratorINS9_10device_ptrIjEEEESE_j11max_functorIjEjEEDaPvRmT3_T4_T5_mT6_P12ihipStream_tbENKUlT_T0_E_clISt17integral_constantIbLb0EEST_IbLb1EEEEDaSP_SQ_EUlSP_E0_NS1_11comp_targetILNS1_3genE9ELNS1_11target_archE1100ELNS1_3gpuE3ELNS1_3repE0EEENS1_30default_config_static_selectorELNS0_4arch9wavefront6targetE1EEEvT1_
		.amdhsa_group_segment_fixed_size 0
		.amdhsa_private_segment_fixed_size 0
		.amdhsa_kernarg_size 32
		.amdhsa_user_sgpr_count 6
		.amdhsa_user_sgpr_private_segment_buffer 1
		.amdhsa_user_sgpr_dispatch_ptr 0
		.amdhsa_user_sgpr_queue_ptr 0
		.amdhsa_user_sgpr_kernarg_segment_ptr 1
		.amdhsa_user_sgpr_dispatch_id 0
		.amdhsa_user_sgpr_flat_scratch_init 0
		.amdhsa_user_sgpr_kernarg_preload_length 0
		.amdhsa_user_sgpr_kernarg_preload_offset 0
		.amdhsa_user_sgpr_private_segment_size 0
		.amdhsa_uses_dynamic_stack 0
		.amdhsa_system_sgpr_private_segment_wavefront_offset 0
		.amdhsa_system_sgpr_workgroup_id_x 1
		.amdhsa_system_sgpr_workgroup_id_y 0
		.amdhsa_system_sgpr_workgroup_id_z 0
		.amdhsa_system_sgpr_workgroup_info 0
		.amdhsa_system_vgpr_workitem_id 0
		.amdhsa_next_free_vgpr 1
		.amdhsa_next_free_sgpr 0
		.amdhsa_accum_offset 4
		.amdhsa_reserve_vcc 0
		.amdhsa_reserve_flat_scratch 0
		.amdhsa_float_round_mode_32 0
		.amdhsa_float_round_mode_16_64 0
		.amdhsa_float_denorm_mode_32 3
		.amdhsa_float_denorm_mode_16_64 3
		.amdhsa_dx10_clamp 1
		.amdhsa_ieee_mode 1
		.amdhsa_fp16_overflow 0
		.amdhsa_tg_split 0
		.amdhsa_exception_fp_ieee_invalid_op 0
		.amdhsa_exception_fp_denorm_src 0
		.amdhsa_exception_fp_ieee_div_zero 0
		.amdhsa_exception_fp_ieee_overflow 0
		.amdhsa_exception_fp_ieee_underflow 0
		.amdhsa_exception_fp_ieee_inexact 0
		.amdhsa_exception_int_div_zero 0
	.end_amdhsa_kernel
	.section	.text._ZN7rocprim17ROCPRIM_400000_NS6detail17trampoline_kernelINS0_14default_configENS1_20scan_config_selectorIjEEZZNS1_9scan_implILNS1_25lookback_scan_determinismE0ELb0ELb0ES3_N6thrust23THRUST_200600_302600_NS6detail15normal_iteratorINS9_10device_ptrIjEEEESE_j11max_functorIjEjEEDaPvRmT3_T4_T5_mT6_P12ihipStream_tbENKUlT_T0_E_clISt17integral_constantIbLb0EEST_IbLb1EEEEDaSP_SQ_EUlSP_E0_NS1_11comp_targetILNS1_3genE9ELNS1_11target_archE1100ELNS1_3gpuE3ELNS1_3repE0EEENS1_30default_config_static_selectorELNS0_4arch9wavefront6targetE1EEEvT1_,"axG",@progbits,_ZN7rocprim17ROCPRIM_400000_NS6detail17trampoline_kernelINS0_14default_configENS1_20scan_config_selectorIjEEZZNS1_9scan_implILNS1_25lookback_scan_determinismE0ELb0ELb0ES3_N6thrust23THRUST_200600_302600_NS6detail15normal_iteratorINS9_10device_ptrIjEEEESE_j11max_functorIjEjEEDaPvRmT3_T4_T5_mT6_P12ihipStream_tbENKUlT_T0_E_clISt17integral_constantIbLb0EEST_IbLb1EEEEDaSP_SQ_EUlSP_E0_NS1_11comp_targetILNS1_3genE9ELNS1_11target_archE1100ELNS1_3gpuE3ELNS1_3repE0EEENS1_30default_config_static_selectorELNS0_4arch9wavefront6targetE1EEEvT1_,comdat
.Lfunc_end2327:
	.size	_ZN7rocprim17ROCPRIM_400000_NS6detail17trampoline_kernelINS0_14default_configENS1_20scan_config_selectorIjEEZZNS1_9scan_implILNS1_25lookback_scan_determinismE0ELb0ELb0ES3_N6thrust23THRUST_200600_302600_NS6detail15normal_iteratorINS9_10device_ptrIjEEEESE_j11max_functorIjEjEEDaPvRmT3_T4_T5_mT6_P12ihipStream_tbENKUlT_T0_E_clISt17integral_constantIbLb0EEST_IbLb1EEEEDaSP_SQ_EUlSP_E0_NS1_11comp_targetILNS1_3genE9ELNS1_11target_archE1100ELNS1_3gpuE3ELNS1_3repE0EEENS1_30default_config_static_selectorELNS0_4arch9wavefront6targetE1EEEvT1_, .Lfunc_end2327-_ZN7rocprim17ROCPRIM_400000_NS6detail17trampoline_kernelINS0_14default_configENS1_20scan_config_selectorIjEEZZNS1_9scan_implILNS1_25lookback_scan_determinismE0ELb0ELb0ES3_N6thrust23THRUST_200600_302600_NS6detail15normal_iteratorINS9_10device_ptrIjEEEESE_j11max_functorIjEjEEDaPvRmT3_T4_T5_mT6_P12ihipStream_tbENKUlT_T0_E_clISt17integral_constantIbLb0EEST_IbLb1EEEEDaSP_SQ_EUlSP_E0_NS1_11comp_targetILNS1_3genE9ELNS1_11target_archE1100ELNS1_3gpuE3ELNS1_3repE0EEENS1_30default_config_static_selectorELNS0_4arch9wavefront6targetE1EEEvT1_
                                        ; -- End function
	.section	.AMDGPU.csdata,"",@progbits
; Kernel info:
; codeLenInByte = 0
; NumSgprs: 4
; NumVgprs: 0
; NumAgprs: 0
; TotalNumVgprs: 0
; ScratchSize: 0
; MemoryBound: 0
; FloatMode: 240
; IeeeMode: 1
; LDSByteSize: 0 bytes/workgroup (compile time only)
; SGPRBlocks: 0
; VGPRBlocks: 0
; NumSGPRsForWavesPerEU: 4
; NumVGPRsForWavesPerEU: 1
; AccumOffset: 4
; Occupancy: 8
; WaveLimiterHint : 0
; COMPUTE_PGM_RSRC2:SCRATCH_EN: 0
; COMPUTE_PGM_RSRC2:USER_SGPR: 6
; COMPUTE_PGM_RSRC2:TRAP_HANDLER: 0
; COMPUTE_PGM_RSRC2:TGID_X_EN: 1
; COMPUTE_PGM_RSRC2:TGID_Y_EN: 0
; COMPUTE_PGM_RSRC2:TGID_Z_EN: 0
; COMPUTE_PGM_RSRC2:TIDIG_COMP_CNT: 0
; COMPUTE_PGM_RSRC3_GFX90A:ACCUM_OFFSET: 0
; COMPUTE_PGM_RSRC3_GFX90A:TG_SPLIT: 0
	.section	.text._ZN7rocprim17ROCPRIM_400000_NS6detail17trampoline_kernelINS0_14default_configENS1_20scan_config_selectorIjEEZZNS1_9scan_implILNS1_25lookback_scan_determinismE0ELb0ELb0ES3_N6thrust23THRUST_200600_302600_NS6detail15normal_iteratorINS9_10device_ptrIjEEEESE_j11max_functorIjEjEEDaPvRmT3_T4_T5_mT6_P12ihipStream_tbENKUlT_T0_E_clISt17integral_constantIbLb0EEST_IbLb1EEEEDaSP_SQ_EUlSP_E0_NS1_11comp_targetILNS1_3genE8ELNS1_11target_archE1030ELNS1_3gpuE2ELNS1_3repE0EEENS1_30default_config_static_selectorELNS0_4arch9wavefront6targetE1EEEvT1_,"axG",@progbits,_ZN7rocprim17ROCPRIM_400000_NS6detail17trampoline_kernelINS0_14default_configENS1_20scan_config_selectorIjEEZZNS1_9scan_implILNS1_25lookback_scan_determinismE0ELb0ELb0ES3_N6thrust23THRUST_200600_302600_NS6detail15normal_iteratorINS9_10device_ptrIjEEEESE_j11max_functorIjEjEEDaPvRmT3_T4_T5_mT6_P12ihipStream_tbENKUlT_T0_E_clISt17integral_constantIbLb0EEST_IbLb1EEEEDaSP_SQ_EUlSP_E0_NS1_11comp_targetILNS1_3genE8ELNS1_11target_archE1030ELNS1_3gpuE2ELNS1_3repE0EEENS1_30default_config_static_selectorELNS0_4arch9wavefront6targetE1EEEvT1_,comdat
	.protected	_ZN7rocprim17ROCPRIM_400000_NS6detail17trampoline_kernelINS0_14default_configENS1_20scan_config_selectorIjEEZZNS1_9scan_implILNS1_25lookback_scan_determinismE0ELb0ELb0ES3_N6thrust23THRUST_200600_302600_NS6detail15normal_iteratorINS9_10device_ptrIjEEEESE_j11max_functorIjEjEEDaPvRmT3_T4_T5_mT6_P12ihipStream_tbENKUlT_T0_E_clISt17integral_constantIbLb0EEST_IbLb1EEEEDaSP_SQ_EUlSP_E0_NS1_11comp_targetILNS1_3genE8ELNS1_11target_archE1030ELNS1_3gpuE2ELNS1_3repE0EEENS1_30default_config_static_selectorELNS0_4arch9wavefront6targetE1EEEvT1_ ; -- Begin function _ZN7rocprim17ROCPRIM_400000_NS6detail17trampoline_kernelINS0_14default_configENS1_20scan_config_selectorIjEEZZNS1_9scan_implILNS1_25lookback_scan_determinismE0ELb0ELb0ES3_N6thrust23THRUST_200600_302600_NS6detail15normal_iteratorINS9_10device_ptrIjEEEESE_j11max_functorIjEjEEDaPvRmT3_T4_T5_mT6_P12ihipStream_tbENKUlT_T0_E_clISt17integral_constantIbLb0EEST_IbLb1EEEEDaSP_SQ_EUlSP_E0_NS1_11comp_targetILNS1_3genE8ELNS1_11target_archE1030ELNS1_3gpuE2ELNS1_3repE0EEENS1_30default_config_static_selectorELNS0_4arch9wavefront6targetE1EEEvT1_
	.globl	_ZN7rocprim17ROCPRIM_400000_NS6detail17trampoline_kernelINS0_14default_configENS1_20scan_config_selectorIjEEZZNS1_9scan_implILNS1_25lookback_scan_determinismE0ELb0ELb0ES3_N6thrust23THRUST_200600_302600_NS6detail15normal_iteratorINS9_10device_ptrIjEEEESE_j11max_functorIjEjEEDaPvRmT3_T4_T5_mT6_P12ihipStream_tbENKUlT_T0_E_clISt17integral_constantIbLb0EEST_IbLb1EEEEDaSP_SQ_EUlSP_E0_NS1_11comp_targetILNS1_3genE8ELNS1_11target_archE1030ELNS1_3gpuE2ELNS1_3repE0EEENS1_30default_config_static_selectorELNS0_4arch9wavefront6targetE1EEEvT1_
	.p2align	8
	.type	_ZN7rocprim17ROCPRIM_400000_NS6detail17trampoline_kernelINS0_14default_configENS1_20scan_config_selectorIjEEZZNS1_9scan_implILNS1_25lookback_scan_determinismE0ELb0ELb0ES3_N6thrust23THRUST_200600_302600_NS6detail15normal_iteratorINS9_10device_ptrIjEEEESE_j11max_functorIjEjEEDaPvRmT3_T4_T5_mT6_P12ihipStream_tbENKUlT_T0_E_clISt17integral_constantIbLb0EEST_IbLb1EEEEDaSP_SQ_EUlSP_E0_NS1_11comp_targetILNS1_3genE8ELNS1_11target_archE1030ELNS1_3gpuE2ELNS1_3repE0EEENS1_30default_config_static_selectorELNS0_4arch9wavefront6targetE1EEEvT1_,@function
_ZN7rocprim17ROCPRIM_400000_NS6detail17trampoline_kernelINS0_14default_configENS1_20scan_config_selectorIjEEZZNS1_9scan_implILNS1_25lookback_scan_determinismE0ELb0ELb0ES3_N6thrust23THRUST_200600_302600_NS6detail15normal_iteratorINS9_10device_ptrIjEEEESE_j11max_functorIjEjEEDaPvRmT3_T4_T5_mT6_P12ihipStream_tbENKUlT_T0_E_clISt17integral_constantIbLb0EEST_IbLb1EEEEDaSP_SQ_EUlSP_E0_NS1_11comp_targetILNS1_3genE8ELNS1_11target_archE1030ELNS1_3gpuE2ELNS1_3repE0EEENS1_30default_config_static_selectorELNS0_4arch9wavefront6targetE1EEEvT1_: ; @_ZN7rocprim17ROCPRIM_400000_NS6detail17trampoline_kernelINS0_14default_configENS1_20scan_config_selectorIjEEZZNS1_9scan_implILNS1_25lookback_scan_determinismE0ELb0ELb0ES3_N6thrust23THRUST_200600_302600_NS6detail15normal_iteratorINS9_10device_ptrIjEEEESE_j11max_functorIjEjEEDaPvRmT3_T4_T5_mT6_P12ihipStream_tbENKUlT_T0_E_clISt17integral_constantIbLb0EEST_IbLb1EEEEDaSP_SQ_EUlSP_E0_NS1_11comp_targetILNS1_3genE8ELNS1_11target_archE1030ELNS1_3gpuE2ELNS1_3repE0EEENS1_30default_config_static_selectorELNS0_4arch9wavefront6targetE1EEEvT1_
; %bb.0:
	.section	.rodata,"a",@progbits
	.p2align	6, 0x0
	.amdhsa_kernel _ZN7rocprim17ROCPRIM_400000_NS6detail17trampoline_kernelINS0_14default_configENS1_20scan_config_selectorIjEEZZNS1_9scan_implILNS1_25lookback_scan_determinismE0ELb0ELb0ES3_N6thrust23THRUST_200600_302600_NS6detail15normal_iteratorINS9_10device_ptrIjEEEESE_j11max_functorIjEjEEDaPvRmT3_T4_T5_mT6_P12ihipStream_tbENKUlT_T0_E_clISt17integral_constantIbLb0EEST_IbLb1EEEEDaSP_SQ_EUlSP_E0_NS1_11comp_targetILNS1_3genE8ELNS1_11target_archE1030ELNS1_3gpuE2ELNS1_3repE0EEENS1_30default_config_static_selectorELNS0_4arch9wavefront6targetE1EEEvT1_
		.amdhsa_group_segment_fixed_size 0
		.amdhsa_private_segment_fixed_size 0
		.amdhsa_kernarg_size 32
		.amdhsa_user_sgpr_count 6
		.amdhsa_user_sgpr_private_segment_buffer 1
		.amdhsa_user_sgpr_dispatch_ptr 0
		.amdhsa_user_sgpr_queue_ptr 0
		.amdhsa_user_sgpr_kernarg_segment_ptr 1
		.amdhsa_user_sgpr_dispatch_id 0
		.amdhsa_user_sgpr_flat_scratch_init 0
		.amdhsa_user_sgpr_kernarg_preload_length 0
		.amdhsa_user_sgpr_kernarg_preload_offset 0
		.amdhsa_user_sgpr_private_segment_size 0
		.amdhsa_uses_dynamic_stack 0
		.amdhsa_system_sgpr_private_segment_wavefront_offset 0
		.amdhsa_system_sgpr_workgroup_id_x 1
		.amdhsa_system_sgpr_workgroup_id_y 0
		.amdhsa_system_sgpr_workgroup_id_z 0
		.amdhsa_system_sgpr_workgroup_info 0
		.amdhsa_system_vgpr_workitem_id 0
		.amdhsa_next_free_vgpr 1
		.amdhsa_next_free_sgpr 0
		.amdhsa_accum_offset 4
		.amdhsa_reserve_vcc 0
		.amdhsa_reserve_flat_scratch 0
		.amdhsa_float_round_mode_32 0
		.amdhsa_float_round_mode_16_64 0
		.amdhsa_float_denorm_mode_32 3
		.amdhsa_float_denorm_mode_16_64 3
		.amdhsa_dx10_clamp 1
		.amdhsa_ieee_mode 1
		.amdhsa_fp16_overflow 0
		.amdhsa_tg_split 0
		.amdhsa_exception_fp_ieee_invalid_op 0
		.amdhsa_exception_fp_denorm_src 0
		.amdhsa_exception_fp_ieee_div_zero 0
		.amdhsa_exception_fp_ieee_overflow 0
		.amdhsa_exception_fp_ieee_underflow 0
		.amdhsa_exception_fp_ieee_inexact 0
		.amdhsa_exception_int_div_zero 0
	.end_amdhsa_kernel
	.section	.text._ZN7rocprim17ROCPRIM_400000_NS6detail17trampoline_kernelINS0_14default_configENS1_20scan_config_selectorIjEEZZNS1_9scan_implILNS1_25lookback_scan_determinismE0ELb0ELb0ES3_N6thrust23THRUST_200600_302600_NS6detail15normal_iteratorINS9_10device_ptrIjEEEESE_j11max_functorIjEjEEDaPvRmT3_T4_T5_mT6_P12ihipStream_tbENKUlT_T0_E_clISt17integral_constantIbLb0EEST_IbLb1EEEEDaSP_SQ_EUlSP_E0_NS1_11comp_targetILNS1_3genE8ELNS1_11target_archE1030ELNS1_3gpuE2ELNS1_3repE0EEENS1_30default_config_static_selectorELNS0_4arch9wavefront6targetE1EEEvT1_,"axG",@progbits,_ZN7rocprim17ROCPRIM_400000_NS6detail17trampoline_kernelINS0_14default_configENS1_20scan_config_selectorIjEEZZNS1_9scan_implILNS1_25lookback_scan_determinismE0ELb0ELb0ES3_N6thrust23THRUST_200600_302600_NS6detail15normal_iteratorINS9_10device_ptrIjEEEESE_j11max_functorIjEjEEDaPvRmT3_T4_T5_mT6_P12ihipStream_tbENKUlT_T0_E_clISt17integral_constantIbLb0EEST_IbLb1EEEEDaSP_SQ_EUlSP_E0_NS1_11comp_targetILNS1_3genE8ELNS1_11target_archE1030ELNS1_3gpuE2ELNS1_3repE0EEENS1_30default_config_static_selectorELNS0_4arch9wavefront6targetE1EEEvT1_,comdat
.Lfunc_end2328:
	.size	_ZN7rocprim17ROCPRIM_400000_NS6detail17trampoline_kernelINS0_14default_configENS1_20scan_config_selectorIjEEZZNS1_9scan_implILNS1_25lookback_scan_determinismE0ELb0ELb0ES3_N6thrust23THRUST_200600_302600_NS6detail15normal_iteratorINS9_10device_ptrIjEEEESE_j11max_functorIjEjEEDaPvRmT3_T4_T5_mT6_P12ihipStream_tbENKUlT_T0_E_clISt17integral_constantIbLb0EEST_IbLb1EEEEDaSP_SQ_EUlSP_E0_NS1_11comp_targetILNS1_3genE8ELNS1_11target_archE1030ELNS1_3gpuE2ELNS1_3repE0EEENS1_30default_config_static_selectorELNS0_4arch9wavefront6targetE1EEEvT1_, .Lfunc_end2328-_ZN7rocprim17ROCPRIM_400000_NS6detail17trampoline_kernelINS0_14default_configENS1_20scan_config_selectorIjEEZZNS1_9scan_implILNS1_25lookback_scan_determinismE0ELb0ELb0ES3_N6thrust23THRUST_200600_302600_NS6detail15normal_iteratorINS9_10device_ptrIjEEEESE_j11max_functorIjEjEEDaPvRmT3_T4_T5_mT6_P12ihipStream_tbENKUlT_T0_E_clISt17integral_constantIbLb0EEST_IbLb1EEEEDaSP_SQ_EUlSP_E0_NS1_11comp_targetILNS1_3genE8ELNS1_11target_archE1030ELNS1_3gpuE2ELNS1_3repE0EEENS1_30default_config_static_selectorELNS0_4arch9wavefront6targetE1EEEvT1_
                                        ; -- End function
	.section	.AMDGPU.csdata,"",@progbits
; Kernel info:
; codeLenInByte = 0
; NumSgprs: 4
; NumVgprs: 0
; NumAgprs: 0
; TotalNumVgprs: 0
; ScratchSize: 0
; MemoryBound: 0
; FloatMode: 240
; IeeeMode: 1
; LDSByteSize: 0 bytes/workgroup (compile time only)
; SGPRBlocks: 0
; VGPRBlocks: 0
; NumSGPRsForWavesPerEU: 4
; NumVGPRsForWavesPerEU: 1
; AccumOffset: 4
; Occupancy: 8
; WaveLimiterHint : 0
; COMPUTE_PGM_RSRC2:SCRATCH_EN: 0
; COMPUTE_PGM_RSRC2:USER_SGPR: 6
; COMPUTE_PGM_RSRC2:TRAP_HANDLER: 0
; COMPUTE_PGM_RSRC2:TGID_X_EN: 1
; COMPUTE_PGM_RSRC2:TGID_Y_EN: 0
; COMPUTE_PGM_RSRC2:TGID_Z_EN: 0
; COMPUTE_PGM_RSRC2:TIDIG_COMP_CNT: 0
; COMPUTE_PGM_RSRC3_GFX90A:ACCUM_OFFSET: 0
; COMPUTE_PGM_RSRC3_GFX90A:TG_SPLIT: 0
	.section	.text._ZN7rocprim17ROCPRIM_400000_NS6detail17trampoline_kernelINS0_14default_configENS1_20scan_config_selectorIjEEZZNS1_9scan_implILNS1_25lookback_scan_determinismE0ELb1ELb1ES3_N6thrust23THRUST_200600_302600_NS6detail15normal_iteratorINS9_10device_ptrIjEEEESE_j11max_functorIjEjEEDaPvRmT3_T4_T5_mT6_P12ihipStream_tbENKUlT_T0_E_clISt17integral_constantIbLb0EESU_EEDaSP_SQ_EUlSP_E_NS1_11comp_targetILNS1_3genE0ELNS1_11target_archE4294967295ELNS1_3gpuE0ELNS1_3repE0EEENS1_30default_config_static_selectorELNS0_4arch9wavefront6targetE1EEEvT1_,"axG",@progbits,_ZN7rocprim17ROCPRIM_400000_NS6detail17trampoline_kernelINS0_14default_configENS1_20scan_config_selectorIjEEZZNS1_9scan_implILNS1_25lookback_scan_determinismE0ELb1ELb1ES3_N6thrust23THRUST_200600_302600_NS6detail15normal_iteratorINS9_10device_ptrIjEEEESE_j11max_functorIjEjEEDaPvRmT3_T4_T5_mT6_P12ihipStream_tbENKUlT_T0_E_clISt17integral_constantIbLb0EESU_EEDaSP_SQ_EUlSP_E_NS1_11comp_targetILNS1_3genE0ELNS1_11target_archE4294967295ELNS1_3gpuE0ELNS1_3repE0EEENS1_30default_config_static_selectorELNS0_4arch9wavefront6targetE1EEEvT1_,comdat
	.protected	_ZN7rocprim17ROCPRIM_400000_NS6detail17trampoline_kernelINS0_14default_configENS1_20scan_config_selectorIjEEZZNS1_9scan_implILNS1_25lookback_scan_determinismE0ELb1ELb1ES3_N6thrust23THRUST_200600_302600_NS6detail15normal_iteratorINS9_10device_ptrIjEEEESE_j11max_functorIjEjEEDaPvRmT3_T4_T5_mT6_P12ihipStream_tbENKUlT_T0_E_clISt17integral_constantIbLb0EESU_EEDaSP_SQ_EUlSP_E_NS1_11comp_targetILNS1_3genE0ELNS1_11target_archE4294967295ELNS1_3gpuE0ELNS1_3repE0EEENS1_30default_config_static_selectorELNS0_4arch9wavefront6targetE1EEEvT1_ ; -- Begin function _ZN7rocprim17ROCPRIM_400000_NS6detail17trampoline_kernelINS0_14default_configENS1_20scan_config_selectorIjEEZZNS1_9scan_implILNS1_25lookback_scan_determinismE0ELb1ELb1ES3_N6thrust23THRUST_200600_302600_NS6detail15normal_iteratorINS9_10device_ptrIjEEEESE_j11max_functorIjEjEEDaPvRmT3_T4_T5_mT6_P12ihipStream_tbENKUlT_T0_E_clISt17integral_constantIbLb0EESU_EEDaSP_SQ_EUlSP_E_NS1_11comp_targetILNS1_3genE0ELNS1_11target_archE4294967295ELNS1_3gpuE0ELNS1_3repE0EEENS1_30default_config_static_selectorELNS0_4arch9wavefront6targetE1EEEvT1_
	.globl	_ZN7rocprim17ROCPRIM_400000_NS6detail17trampoline_kernelINS0_14default_configENS1_20scan_config_selectorIjEEZZNS1_9scan_implILNS1_25lookback_scan_determinismE0ELb1ELb1ES3_N6thrust23THRUST_200600_302600_NS6detail15normal_iteratorINS9_10device_ptrIjEEEESE_j11max_functorIjEjEEDaPvRmT3_T4_T5_mT6_P12ihipStream_tbENKUlT_T0_E_clISt17integral_constantIbLb0EESU_EEDaSP_SQ_EUlSP_E_NS1_11comp_targetILNS1_3genE0ELNS1_11target_archE4294967295ELNS1_3gpuE0ELNS1_3repE0EEENS1_30default_config_static_selectorELNS0_4arch9wavefront6targetE1EEEvT1_
	.p2align	8
	.type	_ZN7rocprim17ROCPRIM_400000_NS6detail17trampoline_kernelINS0_14default_configENS1_20scan_config_selectorIjEEZZNS1_9scan_implILNS1_25lookback_scan_determinismE0ELb1ELb1ES3_N6thrust23THRUST_200600_302600_NS6detail15normal_iteratorINS9_10device_ptrIjEEEESE_j11max_functorIjEjEEDaPvRmT3_T4_T5_mT6_P12ihipStream_tbENKUlT_T0_E_clISt17integral_constantIbLb0EESU_EEDaSP_SQ_EUlSP_E_NS1_11comp_targetILNS1_3genE0ELNS1_11target_archE4294967295ELNS1_3gpuE0ELNS1_3repE0EEENS1_30default_config_static_selectorELNS0_4arch9wavefront6targetE1EEEvT1_,@function
_ZN7rocprim17ROCPRIM_400000_NS6detail17trampoline_kernelINS0_14default_configENS1_20scan_config_selectorIjEEZZNS1_9scan_implILNS1_25lookback_scan_determinismE0ELb1ELb1ES3_N6thrust23THRUST_200600_302600_NS6detail15normal_iteratorINS9_10device_ptrIjEEEESE_j11max_functorIjEjEEDaPvRmT3_T4_T5_mT6_P12ihipStream_tbENKUlT_T0_E_clISt17integral_constantIbLb0EESU_EEDaSP_SQ_EUlSP_E_NS1_11comp_targetILNS1_3genE0ELNS1_11target_archE4294967295ELNS1_3gpuE0ELNS1_3repE0EEENS1_30default_config_static_selectorELNS0_4arch9wavefront6targetE1EEEvT1_: ; @_ZN7rocprim17ROCPRIM_400000_NS6detail17trampoline_kernelINS0_14default_configENS1_20scan_config_selectorIjEEZZNS1_9scan_implILNS1_25lookback_scan_determinismE0ELb1ELb1ES3_N6thrust23THRUST_200600_302600_NS6detail15normal_iteratorINS9_10device_ptrIjEEEESE_j11max_functorIjEjEEDaPvRmT3_T4_T5_mT6_P12ihipStream_tbENKUlT_T0_E_clISt17integral_constantIbLb0EESU_EEDaSP_SQ_EUlSP_E_NS1_11comp_targetILNS1_3genE0ELNS1_11target_archE4294967295ELNS1_3gpuE0ELNS1_3repE0EEENS1_30default_config_static_selectorELNS0_4arch9wavefront6targetE1EEEvT1_
; %bb.0:
	.section	.rodata,"a",@progbits
	.p2align	6, 0x0
	.amdhsa_kernel _ZN7rocprim17ROCPRIM_400000_NS6detail17trampoline_kernelINS0_14default_configENS1_20scan_config_selectorIjEEZZNS1_9scan_implILNS1_25lookback_scan_determinismE0ELb1ELb1ES3_N6thrust23THRUST_200600_302600_NS6detail15normal_iteratorINS9_10device_ptrIjEEEESE_j11max_functorIjEjEEDaPvRmT3_T4_T5_mT6_P12ihipStream_tbENKUlT_T0_E_clISt17integral_constantIbLb0EESU_EEDaSP_SQ_EUlSP_E_NS1_11comp_targetILNS1_3genE0ELNS1_11target_archE4294967295ELNS1_3gpuE0ELNS1_3repE0EEENS1_30default_config_static_selectorELNS0_4arch9wavefront6targetE1EEEvT1_
		.amdhsa_group_segment_fixed_size 0
		.amdhsa_private_segment_fixed_size 0
		.amdhsa_kernarg_size 96
		.amdhsa_user_sgpr_count 6
		.amdhsa_user_sgpr_private_segment_buffer 1
		.amdhsa_user_sgpr_dispatch_ptr 0
		.amdhsa_user_sgpr_queue_ptr 0
		.amdhsa_user_sgpr_kernarg_segment_ptr 1
		.amdhsa_user_sgpr_dispatch_id 0
		.amdhsa_user_sgpr_flat_scratch_init 0
		.amdhsa_user_sgpr_kernarg_preload_length 0
		.amdhsa_user_sgpr_kernarg_preload_offset 0
		.amdhsa_user_sgpr_private_segment_size 0
		.amdhsa_uses_dynamic_stack 0
		.amdhsa_system_sgpr_private_segment_wavefront_offset 0
		.amdhsa_system_sgpr_workgroup_id_x 1
		.amdhsa_system_sgpr_workgroup_id_y 0
		.amdhsa_system_sgpr_workgroup_id_z 0
		.amdhsa_system_sgpr_workgroup_info 0
		.amdhsa_system_vgpr_workitem_id 0
		.amdhsa_next_free_vgpr 1
		.amdhsa_next_free_sgpr 0
		.amdhsa_accum_offset 4
		.amdhsa_reserve_vcc 0
		.amdhsa_reserve_flat_scratch 0
		.amdhsa_float_round_mode_32 0
		.amdhsa_float_round_mode_16_64 0
		.amdhsa_float_denorm_mode_32 3
		.amdhsa_float_denorm_mode_16_64 3
		.amdhsa_dx10_clamp 1
		.amdhsa_ieee_mode 1
		.amdhsa_fp16_overflow 0
		.amdhsa_tg_split 0
		.amdhsa_exception_fp_ieee_invalid_op 0
		.amdhsa_exception_fp_denorm_src 0
		.amdhsa_exception_fp_ieee_div_zero 0
		.amdhsa_exception_fp_ieee_overflow 0
		.amdhsa_exception_fp_ieee_underflow 0
		.amdhsa_exception_fp_ieee_inexact 0
		.amdhsa_exception_int_div_zero 0
	.end_amdhsa_kernel
	.section	.text._ZN7rocprim17ROCPRIM_400000_NS6detail17trampoline_kernelINS0_14default_configENS1_20scan_config_selectorIjEEZZNS1_9scan_implILNS1_25lookback_scan_determinismE0ELb1ELb1ES3_N6thrust23THRUST_200600_302600_NS6detail15normal_iteratorINS9_10device_ptrIjEEEESE_j11max_functorIjEjEEDaPvRmT3_T4_T5_mT6_P12ihipStream_tbENKUlT_T0_E_clISt17integral_constantIbLb0EESU_EEDaSP_SQ_EUlSP_E_NS1_11comp_targetILNS1_3genE0ELNS1_11target_archE4294967295ELNS1_3gpuE0ELNS1_3repE0EEENS1_30default_config_static_selectorELNS0_4arch9wavefront6targetE1EEEvT1_,"axG",@progbits,_ZN7rocprim17ROCPRIM_400000_NS6detail17trampoline_kernelINS0_14default_configENS1_20scan_config_selectorIjEEZZNS1_9scan_implILNS1_25lookback_scan_determinismE0ELb1ELb1ES3_N6thrust23THRUST_200600_302600_NS6detail15normal_iteratorINS9_10device_ptrIjEEEESE_j11max_functorIjEjEEDaPvRmT3_T4_T5_mT6_P12ihipStream_tbENKUlT_T0_E_clISt17integral_constantIbLb0EESU_EEDaSP_SQ_EUlSP_E_NS1_11comp_targetILNS1_3genE0ELNS1_11target_archE4294967295ELNS1_3gpuE0ELNS1_3repE0EEENS1_30default_config_static_selectorELNS0_4arch9wavefront6targetE1EEEvT1_,comdat
.Lfunc_end2329:
	.size	_ZN7rocprim17ROCPRIM_400000_NS6detail17trampoline_kernelINS0_14default_configENS1_20scan_config_selectorIjEEZZNS1_9scan_implILNS1_25lookback_scan_determinismE0ELb1ELb1ES3_N6thrust23THRUST_200600_302600_NS6detail15normal_iteratorINS9_10device_ptrIjEEEESE_j11max_functorIjEjEEDaPvRmT3_T4_T5_mT6_P12ihipStream_tbENKUlT_T0_E_clISt17integral_constantIbLb0EESU_EEDaSP_SQ_EUlSP_E_NS1_11comp_targetILNS1_3genE0ELNS1_11target_archE4294967295ELNS1_3gpuE0ELNS1_3repE0EEENS1_30default_config_static_selectorELNS0_4arch9wavefront6targetE1EEEvT1_, .Lfunc_end2329-_ZN7rocprim17ROCPRIM_400000_NS6detail17trampoline_kernelINS0_14default_configENS1_20scan_config_selectorIjEEZZNS1_9scan_implILNS1_25lookback_scan_determinismE0ELb1ELb1ES3_N6thrust23THRUST_200600_302600_NS6detail15normal_iteratorINS9_10device_ptrIjEEEESE_j11max_functorIjEjEEDaPvRmT3_T4_T5_mT6_P12ihipStream_tbENKUlT_T0_E_clISt17integral_constantIbLb0EESU_EEDaSP_SQ_EUlSP_E_NS1_11comp_targetILNS1_3genE0ELNS1_11target_archE4294967295ELNS1_3gpuE0ELNS1_3repE0EEENS1_30default_config_static_selectorELNS0_4arch9wavefront6targetE1EEEvT1_
                                        ; -- End function
	.section	.AMDGPU.csdata,"",@progbits
; Kernel info:
; codeLenInByte = 0
; NumSgprs: 4
; NumVgprs: 0
; NumAgprs: 0
; TotalNumVgprs: 0
; ScratchSize: 0
; MemoryBound: 0
; FloatMode: 240
; IeeeMode: 1
; LDSByteSize: 0 bytes/workgroup (compile time only)
; SGPRBlocks: 0
; VGPRBlocks: 0
; NumSGPRsForWavesPerEU: 4
; NumVGPRsForWavesPerEU: 1
; AccumOffset: 4
; Occupancy: 8
; WaveLimiterHint : 0
; COMPUTE_PGM_RSRC2:SCRATCH_EN: 0
; COMPUTE_PGM_RSRC2:USER_SGPR: 6
; COMPUTE_PGM_RSRC2:TRAP_HANDLER: 0
; COMPUTE_PGM_RSRC2:TGID_X_EN: 1
; COMPUTE_PGM_RSRC2:TGID_Y_EN: 0
; COMPUTE_PGM_RSRC2:TGID_Z_EN: 0
; COMPUTE_PGM_RSRC2:TIDIG_COMP_CNT: 0
; COMPUTE_PGM_RSRC3_GFX90A:ACCUM_OFFSET: 0
; COMPUTE_PGM_RSRC3_GFX90A:TG_SPLIT: 0
	.section	.text._ZN7rocprim17ROCPRIM_400000_NS6detail17trampoline_kernelINS0_14default_configENS1_20scan_config_selectorIjEEZZNS1_9scan_implILNS1_25lookback_scan_determinismE0ELb1ELb1ES3_N6thrust23THRUST_200600_302600_NS6detail15normal_iteratorINS9_10device_ptrIjEEEESE_j11max_functorIjEjEEDaPvRmT3_T4_T5_mT6_P12ihipStream_tbENKUlT_T0_E_clISt17integral_constantIbLb0EESU_EEDaSP_SQ_EUlSP_E_NS1_11comp_targetILNS1_3genE5ELNS1_11target_archE942ELNS1_3gpuE9ELNS1_3repE0EEENS1_30default_config_static_selectorELNS0_4arch9wavefront6targetE1EEEvT1_,"axG",@progbits,_ZN7rocprim17ROCPRIM_400000_NS6detail17trampoline_kernelINS0_14default_configENS1_20scan_config_selectorIjEEZZNS1_9scan_implILNS1_25lookback_scan_determinismE0ELb1ELb1ES3_N6thrust23THRUST_200600_302600_NS6detail15normal_iteratorINS9_10device_ptrIjEEEESE_j11max_functorIjEjEEDaPvRmT3_T4_T5_mT6_P12ihipStream_tbENKUlT_T0_E_clISt17integral_constantIbLb0EESU_EEDaSP_SQ_EUlSP_E_NS1_11comp_targetILNS1_3genE5ELNS1_11target_archE942ELNS1_3gpuE9ELNS1_3repE0EEENS1_30default_config_static_selectorELNS0_4arch9wavefront6targetE1EEEvT1_,comdat
	.protected	_ZN7rocprim17ROCPRIM_400000_NS6detail17trampoline_kernelINS0_14default_configENS1_20scan_config_selectorIjEEZZNS1_9scan_implILNS1_25lookback_scan_determinismE0ELb1ELb1ES3_N6thrust23THRUST_200600_302600_NS6detail15normal_iteratorINS9_10device_ptrIjEEEESE_j11max_functorIjEjEEDaPvRmT3_T4_T5_mT6_P12ihipStream_tbENKUlT_T0_E_clISt17integral_constantIbLb0EESU_EEDaSP_SQ_EUlSP_E_NS1_11comp_targetILNS1_3genE5ELNS1_11target_archE942ELNS1_3gpuE9ELNS1_3repE0EEENS1_30default_config_static_selectorELNS0_4arch9wavefront6targetE1EEEvT1_ ; -- Begin function _ZN7rocprim17ROCPRIM_400000_NS6detail17trampoline_kernelINS0_14default_configENS1_20scan_config_selectorIjEEZZNS1_9scan_implILNS1_25lookback_scan_determinismE0ELb1ELb1ES3_N6thrust23THRUST_200600_302600_NS6detail15normal_iteratorINS9_10device_ptrIjEEEESE_j11max_functorIjEjEEDaPvRmT3_T4_T5_mT6_P12ihipStream_tbENKUlT_T0_E_clISt17integral_constantIbLb0EESU_EEDaSP_SQ_EUlSP_E_NS1_11comp_targetILNS1_3genE5ELNS1_11target_archE942ELNS1_3gpuE9ELNS1_3repE0EEENS1_30default_config_static_selectorELNS0_4arch9wavefront6targetE1EEEvT1_
	.globl	_ZN7rocprim17ROCPRIM_400000_NS6detail17trampoline_kernelINS0_14default_configENS1_20scan_config_selectorIjEEZZNS1_9scan_implILNS1_25lookback_scan_determinismE0ELb1ELb1ES3_N6thrust23THRUST_200600_302600_NS6detail15normal_iteratorINS9_10device_ptrIjEEEESE_j11max_functorIjEjEEDaPvRmT3_T4_T5_mT6_P12ihipStream_tbENKUlT_T0_E_clISt17integral_constantIbLb0EESU_EEDaSP_SQ_EUlSP_E_NS1_11comp_targetILNS1_3genE5ELNS1_11target_archE942ELNS1_3gpuE9ELNS1_3repE0EEENS1_30default_config_static_selectorELNS0_4arch9wavefront6targetE1EEEvT1_
	.p2align	8
	.type	_ZN7rocprim17ROCPRIM_400000_NS6detail17trampoline_kernelINS0_14default_configENS1_20scan_config_selectorIjEEZZNS1_9scan_implILNS1_25lookback_scan_determinismE0ELb1ELb1ES3_N6thrust23THRUST_200600_302600_NS6detail15normal_iteratorINS9_10device_ptrIjEEEESE_j11max_functorIjEjEEDaPvRmT3_T4_T5_mT6_P12ihipStream_tbENKUlT_T0_E_clISt17integral_constantIbLb0EESU_EEDaSP_SQ_EUlSP_E_NS1_11comp_targetILNS1_3genE5ELNS1_11target_archE942ELNS1_3gpuE9ELNS1_3repE0EEENS1_30default_config_static_selectorELNS0_4arch9wavefront6targetE1EEEvT1_,@function
_ZN7rocprim17ROCPRIM_400000_NS6detail17trampoline_kernelINS0_14default_configENS1_20scan_config_selectorIjEEZZNS1_9scan_implILNS1_25lookback_scan_determinismE0ELb1ELb1ES3_N6thrust23THRUST_200600_302600_NS6detail15normal_iteratorINS9_10device_ptrIjEEEESE_j11max_functorIjEjEEDaPvRmT3_T4_T5_mT6_P12ihipStream_tbENKUlT_T0_E_clISt17integral_constantIbLb0EESU_EEDaSP_SQ_EUlSP_E_NS1_11comp_targetILNS1_3genE5ELNS1_11target_archE942ELNS1_3gpuE9ELNS1_3repE0EEENS1_30default_config_static_selectorELNS0_4arch9wavefront6targetE1EEEvT1_: ; @_ZN7rocprim17ROCPRIM_400000_NS6detail17trampoline_kernelINS0_14default_configENS1_20scan_config_selectorIjEEZZNS1_9scan_implILNS1_25lookback_scan_determinismE0ELb1ELb1ES3_N6thrust23THRUST_200600_302600_NS6detail15normal_iteratorINS9_10device_ptrIjEEEESE_j11max_functorIjEjEEDaPvRmT3_T4_T5_mT6_P12ihipStream_tbENKUlT_T0_E_clISt17integral_constantIbLb0EESU_EEDaSP_SQ_EUlSP_E_NS1_11comp_targetILNS1_3genE5ELNS1_11target_archE942ELNS1_3gpuE9ELNS1_3repE0EEENS1_30default_config_static_selectorELNS0_4arch9wavefront6targetE1EEEvT1_
; %bb.0:
	.section	.rodata,"a",@progbits
	.p2align	6, 0x0
	.amdhsa_kernel _ZN7rocprim17ROCPRIM_400000_NS6detail17trampoline_kernelINS0_14default_configENS1_20scan_config_selectorIjEEZZNS1_9scan_implILNS1_25lookback_scan_determinismE0ELb1ELb1ES3_N6thrust23THRUST_200600_302600_NS6detail15normal_iteratorINS9_10device_ptrIjEEEESE_j11max_functorIjEjEEDaPvRmT3_T4_T5_mT6_P12ihipStream_tbENKUlT_T0_E_clISt17integral_constantIbLb0EESU_EEDaSP_SQ_EUlSP_E_NS1_11comp_targetILNS1_3genE5ELNS1_11target_archE942ELNS1_3gpuE9ELNS1_3repE0EEENS1_30default_config_static_selectorELNS0_4arch9wavefront6targetE1EEEvT1_
		.amdhsa_group_segment_fixed_size 0
		.amdhsa_private_segment_fixed_size 0
		.amdhsa_kernarg_size 96
		.amdhsa_user_sgpr_count 6
		.amdhsa_user_sgpr_private_segment_buffer 1
		.amdhsa_user_sgpr_dispatch_ptr 0
		.amdhsa_user_sgpr_queue_ptr 0
		.amdhsa_user_sgpr_kernarg_segment_ptr 1
		.amdhsa_user_sgpr_dispatch_id 0
		.amdhsa_user_sgpr_flat_scratch_init 0
		.amdhsa_user_sgpr_kernarg_preload_length 0
		.amdhsa_user_sgpr_kernarg_preload_offset 0
		.amdhsa_user_sgpr_private_segment_size 0
		.amdhsa_uses_dynamic_stack 0
		.amdhsa_system_sgpr_private_segment_wavefront_offset 0
		.amdhsa_system_sgpr_workgroup_id_x 1
		.amdhsa_system_sgpr_workgroup_id_y 0
		.amdhsa_system_sgpr_workgroup_id_z 0
		.amdhsa_system_sgpr_workgroup_info 0
		.amdhsa_system_vgpr_workitem_id 0
		.amdhsa_next_free_vgpr 1
		.amdhsa_next_free_sgpr 0
		.amdhsa_accum_offset 4
		.amdhsa_reserve_vcc 0
		.amdhsa_reserve_flat_scratch 0
		.amdhsa_float_round_mode_32 0
		.amdhsa_float_round_mode_16_64 0
		.amdhsa_float_denorm_mode_32 3
		.amdhsa_float_denorm_mode_16_64 3
		.amdhsa_dx10_clamp 1
		.amdhsa_ieee_mode 1
		.amdhsa_fp16_overflow 0
		.amdhsa_tg_split 0
		.amdhsa_exception_fp_ieee_invalid_op 0
		.amdhsa_exception_fp_denorm_src 0
		.amdhsa_exception_fp_ieee_div_zero 0
		.amdhsa_exception_fp_ieee_overflow 0
		.amdhsa_exception_fp_ieee_underflow 0
		.amdhsa_exception_fp_ieee_inexact 0
		.amdhsa_exception_int_div_zero 0
	.end_amdhsa_kernel
	.section	.text._ZN7rocprim17ROCPRIM_400000_NS6detail17trampoline_kernelINS0_14default_configENS1_20scan_config_selectorIjEEZZNS1_9scan_implILNS1_25lookback_scan_determinismE0ELb1ELb1ES3_N6thrust23THRUST_200600_302600_NS6detail15normal_iteratorINS9_10device_ptrIjEEEESE_j11max_functorIjEjEEDaPvRmT3_T4_T5_mT6_P12ihipStream_tbENKUlT_T0_E_clISt17integral_constantIbLb0EESU_EEDaSP_SQ_EUlSP_E_NS1_11comp_targetILNS1_3genE5ELNS1_11target_archE942ELNS1_3gpuE9ELNS1_3repE0EEENS1_30default_config_static_selectorELNS0_4arch9wavefront6targetE1EEEvT1_,"axG",@progbits,_ZN7rocprim17ROCPRIM_400000_NS6detail17trampoline_kernelINS0_14default_configENS1_20scan_config_selectorIjEEZZNS1_9scan_implILNS1_25lookback_scan_determinismE0ELb1ELb1ES3_N6thrust23THRUST_200600_302600_NS6detail15normal_iteratorINS9_10device_ptrIjEEEESE_j11max_functorIjEjEEDaPvRmT3_T4_T5_mT6_P12ihipStream_tbENKUlT_T0_E_clISt17integral_constantIbLb0EESU_EEDaSP_SQ_EUlSP_E_NS1_11comp_targetILNS1_3genE5ELNS1_11target_archE942ELNS1_3gpuE9ELNS1_3repE0EEENS1_30default_config_static_selectorELNS0_4arch9wavefront6targetE1EEEvT1_,comdat
.Lfunc_end2330:
	.size	_ZN7rocprim17ROCPRIM_400000_NS6detail17trampoline_kernelINS0_14default_configENS1_20scan_config_selectorIjEEZZNS1_9scan_implILNS1_25lookback_scan_determinismE0ELb1ELb1ES3_N6thrust23THRUST_200600_302600_NS6detail15normal_iteratorINS9_10device_ptrIjEEEESE_j11max_functorIjEjEEDaPvRmT3_T4_T5_mT6_P12ihipStream_tbENKUlT_T0_E_clISt17integral_constantIbLb0EESU_EEDaSP_SQ_EUlSP_E_NS1_11comp_targetILNS1_3genE5ELNS1_11target_archE942ELNS1_3gpuE9ELNS1_3repE0EEENS1_30default_config_static_selectorELNS0_4arch9wavefront6targetE1EEEvT1_, .Lfunc_end2330-_ZN7rocprim17ROCPRIM_400000_NS6detail17trampoline_kernelINS0_14default_configENS1_20scan_config_selectorIjEEZZNS1_9scan_implILNS1_25lookback_scan_determinismE0ELb1ELb1ES3_N6thrust23THRUST_200600_302600_NS6detail15normal_iteratorINS9_10device_ptrIjEEEESE_j11max_functorIjEjEEDaPvRmT3_T4_T5_mT6_P12ihipStream_tbENKUlT_T0_E_clISt17integral_constantIbLb0EESU_EEDaSP_SQ_EUlSP_E_NS1_11comp_targetILNS1_3genE5ELNS1_11target_archE942ELNS1_3gpuE9ELNS1_3repE0EEENS1_30default_config_static_selectorELNS0_4arch9wavefront6targetE1EEEvT1_
                                        ; -- End function
	.section	.AMDGPU.csdata,"",@progbits
; Kernel info:
; codeLenInByte = 0
; NumSgprs: 4
; NumVgprs: 0
; NumAgprs: 0
; TotalNumVgprs: 0
; ScratchSize: 0
; MemoryBound: 0
; FloatMode: 240
; IeeeMode: 1
; LDSByteSize: 0 bytes/workgroup (compile time only)
; SGPRBlocks: 0
; VGPRBlocks: 0
; NumSGPRsForWavesPerEU: 4
; NumVGPRsForWavesPerEU: 1
; AccumOffset: 4
; Occupancy: 8
; WaveLimiterHint : 0
; COMPUTE_PGM_RSRC2:SCRATCH_EN: 0
; COMPUTE_PGM_RSRC2:USER_SGPR: 6
; COMPUTE_PGM_RSRC2:TRAP_HANDLER: 0
; COMPUTE_PGM_RSRC2:TGID_X_EN: 1
; COMPUTE_PGM_RSRC2:TGID_Y_EN: 0
; COMPUTE_PGM_RSRC2:TGID_Z_EN: 0
; COMPUTE_PGM_RSRC2:TIDIG_COMP_CNT: 0
; COMPUTE_PGM_RSRC3_GFX90A:ACCUM_OFFSET: 0
; COMPUTE_PGM_RSRC3_GFX90A:TG_SPLIT: 0
	.section	.text._ZN7rocprim17ROCPRIM_400000_NS6detail17trampoline_kernelINS0_14default_configENS1_20scan_config_selectorIjEEZZNS1_9scan_implILNS1_25lookback_scan_determinismE0ELb1ELb1ES3_N6thrust23THRUST_200600_302600_NS6detail15normal_iteratorINS9_10device_ptrIjEEEESE_j11max_functorIjEjEEDaPvRmT3_T4_T5_mT6_P12ihipStream_tbENKUlT_T0_E_clISt17integral_constantIbLb0EESU_EEDaSP_SQ_EUlSP_E_NS1_11comp_targetILNS1_3genE4ELNS1_11target_archE910ELNS1_3gpuE8ELNS1_3repE0EEENS1_30default_config_static_selectorELNS0_4arch9wavefront6targetE1EEEvT1_,"axG",@progbits,_ZN7rocprim17ROCPRIM_400000_NS6detail17trampoline_kernelINS0_14default_configENS1_20scan_config_selectorIjEEZZNS1_9scan_implILNS1_25lookback_scan_determinismE0ELb1ELb1ES3_N6thrust23THRUST_200600_302600_NS6detail15normal_iteratorINS9_10device_ptrIjEEEESE_j11max_functorIjEjEEDaPvRmT3_T4_T5_mT6_P12ihipStream_tbENKUlT_T0_E_clISt17integral_constantIbLb0EESU_EEDaSP_SQ_EUlSP_E_NS1_11comp_targetILNS1_3genE4ELNS1_11target_archE910ELNS1_3gpuE8ELNS1_3repE0EEENS1_30default_config_static_selectorELNS0_4arch9wavefront6targetE1EEEvT1_,comdat
	.protected	_ZN7rocprim17ROCPRIM_400000_NS6detail17trampoline_kernelINS0_14default_configENS1_20scan_config_selectorIjEEZZNS1_9scan_implILNS1_25lookback_scan_determinismE0ELb1ELb1ES3_N6thrust23THRUST_200600_302600_NS6detail15normal_iteratorINS9_10device_ptrIjEEEESE_j11max_functorIjEjEEDaPvRmT3_T4_T5_mT6_P12ihipStream_tbENKUlT_T0_E_clISt17integral_constantIbLb0EESU_EEDaSP_SQ_EUlSP_E_NS1_11comp_targetILNS1_3genE4ELNS1_11target_archE910ELNS1_3gpuE8ELNS1_3repE0EEENS1_30default_config_static_selectorELNS0_4arch9wavefront6targetE1EEEvT1_ ; -- Begin function _ZN7rocprim17ROCPRIM_400000_NS6detail17trampoline_kernelINS0_14default_configENS1_20scan_config_selectorIjEEZZNS1_9scan_implILNS1_25lookback_scan_determinismE0ELb1ELb1ES3_N6thrust23THRUST_200600_302600_NS6detail15normal_iteratorINS9_10device_ptrIjEEEESE_j11max_functorIjEjEEDaPvRmT3_T4_T5_mT6_P12ihipStream_tbENKUlT_T0_E_clISt17integral_constantIbLb0EESU_EEDaSP_SQ_EUlSP_E_NS1_11comp_targetILNS1_3genE4ELNS1_11target_archE910ELNS1_3gpuE8ELNS1_3repE0EEENS1_30default_config_static_selectorELNS0_4arch9wavefront6targetE1EEEvT1_
	.globl	_ZN7rocprim17ROCPRIM_400000_NS6detail17trampoline_kernelINS0_14default_configENS1_20scan_config_selectorIjEEZZNS1_9scan_implILNS1_25lookback_scan_determinismE0ELb1ELb1ES3_N6thrust23THRUST_200600_302600_NS6detail15normal_iteratorINS9_10device_ptrIjEEEESE_j11max_functorIjEjEEDaPvRmT3_T4_T5_mT6_P12ihipStream_tbENKUlT_T0_E_clISt17integral_constantIbLb0EESU_EEDaSP_SQ_EUlSP_E_NS1_11comp_targetILNS1_3genE4ELNS1_11target_archE910ELNS1_3gpuE8ELNS1_3repE0EEENS1_30default_config_static_selectorELNS0_4arch9wavefront6targetE1EEEvT1_
	.p2align	8
	.type	_ZN7rocprim17ROCPRIM_400000_NS6detail17trampoline_kernelINS0_14default_configENS1_20scan_config_selectorIjEEZZNS1_9scan_implILNS1_25lookback_scan_determinismE0ELb1ELb1ES3_N6thrust23THRUST_200600_302600_NS6detail15normal_iteratorINS9_10device_ptrIjEEEESE_j11max_functorIjEjEEDaPvRmT3_T4_T5_mT6_P12ihipStream_tbENKUlT_T0_E_clISt17integral_constantIbLb0EESU_EEDaSP_SQ_EUlSP_E_NS1_11comp_targetILNS1_3genE4ELNS1_11target_archE910ELNS1_3gpuE8ELNS1_3repE0EEENS1_30default_config_static_selectorELNS0_4arch9wavefront6targetE1EEEvT1_,@function
_ZN7rocprim17ROCPRIM_400000_NS6detail17trampoline_kernelINS0_14default_configENS1_20scan_config_selectorIjEEZZNS1_9scan_implILNS1_25lookback_scan_determinismE0ELb1ELb1ES3_N6thrust23THRUST_200600_302600_NS6detail15normal_iteratorINS9_10device_ptrIjEEEESE_j11max_functorIjEjEEDaPvRmT3_T4_T5_mT6_P12ihipStream_tbENKUlT_T0_E_clISt17integral_constantIbLb0EESU_EEDaSP_SQ_EUlSP_E_NS1_11comp_targetILNS1_3genE4ELNS1_11target_archE910ELNS1_3gpuE8ELNS1_3repE0EEENS1_30default_config_static_selectorELNS0_4arch9wavefront6targetE1EEEvT1_: ; @_ZN7rocprim17ROCPRIM_400000_NS6detail17trampoline_kernelINS0_14default_configENS1_20scan_config_selectorIjEEZZNS1_9scan_implILNS1_25lookback_scan_determinismE0ELb1ELb1ES3_N6thrust23THRUST_200600_302600_NS6detail15normal_iteratorINS9_10device_ptrIjEEEESE_j11max_functorIjEjEEDaPvRmT3_T4_T5_mT6_P12ihipStream_tbENKUlT_T0_E_clISt17integral_constantIbLb0EESU_EEDaSP_SQ_EUlSP_E_NS1_11comp_targetILNS1_3genE4ELNS1_11target_archE910ELNS1_3gpuE8ELNS1_3repE0EEENS1_30default_config_static_selectorELNS0_4arch9wavefront6targetE1EEEvT1_
; %bb.0:
	s_load_dwordx8 s[8:15], s[4:5], 0x0
	s_load_dword s1, s[4:5], 0x30
	s_mul_i32 s0, s6, 0x500
	v_lshlrev_b32_e32 v22, 2, v0
	s_waitcnt lgkmcnt(0)
	s_lshl_b64 s[10:11], s[10:11], 2
	s_add_u32 s27, s8, s10
	s_addc_u32 s28, s9, s11
	s_add_i32 s2, s1, -1
	s_mul_i32 s3, s2, 0x500
	s_sub_u32 s7, s14, s3
	s_subb_u32 s26, s15, 0
	s_mov_b32 s1, 0
	s_cmp_lg_u32 s6, s2
	s_cselect_b64 s[8:9], -1, 0
	s_lshl_b64 s[14:15], s[0:1], 2
	s_add_u32 s2, s27, s14
	s_addc_u32 s3, s28, s15
	s_mov_b64 s[0:1], -1
	s_and_b64 vcc, exec, s[8:9]
	s_cbranch_vccz .LBB2331_2
; %bb.1:
	v_mov_b32_e32 v1, s3
	v_add_co_u32_e32 v2, vcc, s2, v22
	v_addc_co_u32_e32 v3, vcc, 0, v1, vcc
	flat_load_dword v1, v[2:3]
	flat_load_dword v4, v[2:3] offset:512
	flat_load_dword v5, v[2:3] offset:1024
	;; [unrolled: 1-line block ×7, first 2 shown]
	v_add_co_u32_e32 v2, vcc, 0x1000, v2
	v_addc_co_u32_e32 v3, vcc, 0, v3, vcc
	flat_load_dword v11, v[2:3]
	flat_load_dword v12, v[2:3] offset:512
	s_mov_b64 s[0:1], 0
	s_waitcnt vmcnt(0) lgkmcnt(0)
	ds_write2st64_b32 v22, v1, v4 offset1:2
	ds_write2st64_b32 v22, v5, v6 offset0:4 offset1:6
	ds_write2st64_b32 v22, v7, v8 offset0:8 offset1:10
	;; [unrolled: 1-line block ×4, first 2 shown]
	s_waitcnt lgkmcnt(0)
	s_barrier
.LBB2331_2:
	s_load_dwordx2 s[24:25], s[4:5], 0x28
	s_andn2_b64 vcc, exec, s[0:1]
	v_cmp_gt_u32_e64 s[0:1], s7, v0
	s_cbranch_vccnz .LBB2331_24
; %bb.3:
	v_pk_mov_b32 v[2:3], s[2:3], s[2:3] op_sel:[0,1]
	flat_load_dword v1, v[2:3]
	s_waitcnt vmcnt(0) lgkmcnt(0)
	v_mov_b32_e32 v2, v1
	v_mov_b32_e32 v3, v1
	;; [unrolled: 1-line block ×9, first 2 shown]
	s_and_saveexec_b64 s[16:17], s[0:1]
	s_cbranch_execz .LBB2331_5
; %bb.4:
	v_mov_b32_e32 v11, s3
	v_add_co_u32_e32 v10, vcc, s2, v22
	v_addc_co_u32_e32 v11, vcc, 0, v11, vcc
	flat_load_dword v10, v[10:11]
.LBB2331_5:
	s_or_b64 exec, exec, s[16:17]
	v_or_b32_e32 v11, 0x80, v0
	v_cmp_gt_u32_e32 vcc, s7, v11
	s_and_saveexec_b64 s[0:1], vcc
	s_cbranch_execz .LBB2331_7
; %bb.6:
	v_mov_b32_e32 v1, s3
	v_add_co_u32_e32 v12, vcc, s2, v22
	v_addc_co_u32_e32 v13, vcc, 0, v1, vcc
	flat_load_dword v1, v[12:13] offset:512
.LBB2331_7:
	s_or_b64 exec, exec, s[0:1]
	v_or_b32_e32 v11, 0x100, v0
	v_cmp_gt_u32_e32 vcc, s7, v11
	s_and_saveexec_b64 s[0:1], vcc
	s_cbranch_execz .LBB2331_9
; %bb.8:
	v_mov_b32_e32 v2, s3
	v_add_co_u32_e32 v12, vcc, s2, v22
	v_addc_co_u32_e32 v13, vcc, 0, v2, vcc
	flat_load_dword v2, v[12:13] offset:1024
.LBB2331_9:
	;; [unrolled: 11-line block ×7, first 2 shown]
	s_or_b64 exec, exec, s[0:1]
	v_or_b32_e32 v11, 0x400, v0
	v_cmp_gt_u32_e32 vcc, s7, v11
	s_and_saveexec_b64 s[0:1], vcc
	s_cbranch_execz .LBB2331_21
; %bb.20:
	v_lshlrev_b32_e32 v8, 2, v11
	v_mov_b32_e32 v11, s3
	v_add_co_u32_e32 v12, vcc, s2, v8
	v_addc_co_u32_e32 v13, vcc, 0, v11, vcc
	flat_load_dword v8, v[12:13]
.LBB2331_21:
	s_or_b64 exec, exec, s[0:1]
	v_or_b32_e32 v11, 0x480, v0
	v_cmp_gt_u32_e32 vcc, s7, v11
	s_and_saveexec_b64 s[0:1], vcc
	s_cbranch_execz .LBB2331_23
; %bb.22:
	v_lshlrev_b32_e32 v9, 2, v11
	v_mov_b32_e32 v11, s3
	v_add_co_u32_e32 v12, vcc, s2, v9
	v_addc_co_u32_e32 v13, vcc, 0, v11, vcc
	flat_load_dword v9, v[12:13]
.LBB2331_23:
	s_or_b64 exec, exec, s[0:1]
	s_waitcnt vmcnt(0) lgkmcnt(0)
	ds_write2st64_b32 v22, v10, v1 offset1:2
	ds_write2st64_b32 v22, v2, v3 offset0:4 offset1:6
	ds_write2st64_b32 v22, v4, v5 offset0:8 offset1:10
	ds_write2st64_b32 v22, v6, v7 offset0:12 offset1:14
	ds_write2st64_b32 v22, v8, v9 offset0:16 offset1:18
	s_waitcnt lgkmcnt(0)
	s_barrier
.LBB2331_24:
	v_mul_u32_u24_e32 v23, 10, v0
	v_lshlrev_b32_e32 v24, 2, v23
	s_waitcnt lgkmcnt(0)
	ds_read2_b64 v[16:19], v24 offset1:1
	ds_read2_b64 v[12:15], v24 offset0:2 offset1:3
	ds_read_b64 v[20:21], v24 offset:32
	s_cmp_lg_u32 s6, 0
	v_cmp_gt_u32_e32 vcc, 64, v0
	s_waitcnt lgkmcnt(2)
	v_max_u32_e32 v1, v16, v17
	v_max3_u32 v25, v1, v18, v19
	v_lshrrev_b32_e32 v1, 5, v0
	s_waitcnt lgkmcnt(0)
	s_barrier
	s_cbranch_scc0 .LBB2331_49
; %bb.25:
	v_max3_u32 v2, v25, v12, v13
	v_max3_u32 v2, v2, v14, v15
	;; [unrolled: 1-line block ×3, first 2 shown]
	v_add_lshl_u32 v2, v1, v0, 2
	ds_write_b32 v2, v26
	s_waitcnt lgkmcnt(0)
	s_barrier
	s_and_saveexec_b64 s[2:3], vcc
	s_cbranch_execz .LBB2331_27
; %bb.26:
	v_lshlrev_b32_e32 v2, 1, v0
	v_lshrrev_b32_e32 v3, 4, v0
	v_add_lshl_u32 v4, v3, v2, 2
	ds_read2_b32 v[2:3], v4 offset1:1
	v_mbcnt_lo_u32_b32 v5, -1, 0
	v_mbcnt_hi_u32_b32 v5, -1, v5
	v_and_b32_e32 v6, 15, v5
	v_cmp_eq_u32_e64 s[0:1], 0, v6
	s_waitcnt lgkmcnt(0)
	v_max_u32_e32 v3, v2, v3
	; wave barrier
	s_nop 1
	v_mov_b32_dpp v7, v3 row_shr:1 row_mask:0xf bank_mask:0xf
	v_max_u32_e32 v7, v7, v3
	v_cndmask_b32_e64 v3, v7, v3, s[0:1]
	v_cmp_lt_u32_e64 s[0:1], 1, v6
	s_nop 0
	v_mov_b32_dpp v7, v3 row_shr:2 row_mask:0xf bank_mask:0xf
	v_max_u32_e32 v7, v7, v3
	v_cndmask_b32_e64 v3, v3, v7, s[0:1]
	v_cmp_lt_u32_e64 s[0:1], 3, v6
	;; [unrolled: 5-line block ×3, first 2 shown]
	s_nop 0
	v_mov_b32_dpp v7, v3 row_shr:8 row_mask:0xf bank_mask:0xf
	v_max_u32_e32 v7, v7, v3
	v_cndmask_b32_e64 v3, v3, v7, s[0:1]
	v_and_b32_e32 v7, 16, v5
	v_cmp_eq_u32_e64 s[0:1], 0, v7
	v_mov_b32_dpp v6, v3 row_bcast:15 row_mask:0xf bank_mask:0xf
	v_max_u32_e32 v6, v6, v3
	v_cndmask_b32_e64 v3, v6, v3, s[0:1]
	v_cmp_lt_u32_e64 s[0:1], 31, v5
	v_and_b32_e32 v7, 64, v5
	v_mov_b32_dpp v6, v3 row_bcast:31 row_mask:0xf bank_mask:0xf
	v_max_u32_e32 v6, v6, v3
	v_cndmask_b32_e64 v3, v3, v6, s[0:1]
	v_add_u32_e32 v6, -1, v5
	v_cmp_lt_i32_e64 s[0:1], v6, v7
	v_cndmask_b32_e64 v5, v6, v5, s[0:1]
	v_lshlrev_b32_e32 v5, 2, v5
	ds_bpermute_b32 v3, v5, v3
	v_cmp_eq_u32_e64 s[0:1], 0, v0
	s_waitcnt lgkmcnt(0)
	v_max_u32_e32 v2, v3, v2
	v_cndmask_b32_e64 v2, v2, v26, s[0:1]
	ds_write_b32 v4, v2
	; wave barrier
	ds_read_b32 v3, v4 offset:4
	s_waitcnt lgkmcnt(0)
	v_max_u32_e32 v2, v2, v3
	ds_write_b32 v4, v2 offset:4
.LBB2331_27:
	s_or_b64 exec, exec, s[2:3]
	v_cmp_eq_u32_e64 s[0:1], 0, v0
	v_cmp_ne_u32_e64 s[2:3], 0, v0
	s_waitcnt lgkmcnt(0)
	s_barrier
	s_and_saveexec_b64 s[16:17], s[2:3]
	s_cbranch_execz .LBB2331_29
; %bb.28:
	v_add_u32_e32 v2, -1, v0
	v_lshrrev_b32_e32 v3, 5, v2
	v_add_lshl_u32 v2, v3, v2, 2
	ds_read_b32 v26, v2
.LBB2331_29:
	s_or_b64 exec, exec, s[16:17]
	s_and_saveexec_b64 s[16:17], vcc
	s_cbranch_execz .LBB2331_48
; %bb.30:
	v_mov_b32_e32 v9, 0
	ds_read_b32 v2, v9 offset:520
	v_mbcnt_lo_u32_b32 v3, -1, 0
	v_mbcnt_hi_u32_b32 v5, -1, v3
	s_mov_b32 s21, 0
	v_cmp_eq_u32_e64 s[2:3], 0, v5
	s_and_saveexec_b64 s[18:19], s[2:3]
	s_cbranch_execz .LBB2331_32
; %bb.31:
	s_add_i32 s20, s6, 64
	s_lshl_b64 s[20:21], s[20:21], 3
	s_add_u32 s20, s24, s20
	v_mov_b32_e32 v3, 1
	s_addc_u32 s21, s25, s21
	s_waitcnt lgkmcnt(0)
	global_store_dwordx2 v9, v[2:3], s[20:21]
.LBB2331_32:
	s_or_b64 exec, exec, s[18:19]
	v_xad_u32 v4, v5, -1, s6
	v_add_u32_e32 v8, 64, v4
	v_lshlrev_b64 v[6:7], 3, v[8:9]
	v_mov_b32_e32 v3, s25
	v_add_co_u32_e32 v10, vcc, s24, v6
	v_addc_co_u32_e32 v11, vcc, v3, v7, vcc
	global_load_dwordx2 v[6:7], v[10:11], off glc
	s_waitcnt vmcnt(0)
	v_cmp_eq_u16_sdwa s[20:21], v7, v9 src0_sel:BYTE_0 src1_sel:DWORD
	s_and_saveexec_b64 s[18:19], s[20:21]
	s_cbranch_execz .LBB2331_36
; %bb.33:
	s_mov_b64 s[20:21], 0
	v_mov_b32_e32 v3, 0
.LBB2331_34:                            ; =>This Inner Loop Header: Depth=1
	global_load_dwordx2 v[6:7], v[10:11], off glc
	s_waitcnt vmcnt(0)
	v_cmp_ne_u16_sdwa s[22:23], v7, v3 src0_sel:BYTE_0 src1_sel:DWORD
	s_or_b64 s[20:21], s[22:23], s[20:21]
	s_andn2_b64 exec, exec, s[20:21]
	s_cbranch_execnz .LBB2331_34
; %bb.35:
	s_or_b64 exec, exec, s[20:21]
.LBB2331_36:
	s_or_b64 exec, exec, s[18:19]
	v_and_b32_e32 v27, 63, v5
	v_cmp_ne_u32_e32 vcc, 63, v27
	v_mov_b32_e32 v3, 2
	v_addc_co_u32_e32 v28, vcc, 0, v5, vcc
	v_cmp_eq_u16_sdwa s[18:19], v7, v3 src0_sel:BYTE_0 src1_sel:DWORD
	v_lshlrev_b64 v[8:9], v5, -1
	v_lshlrev_b32_e32 v28, 2, v28
	v_and_b32_e32 v10, s19, v9
	ds_bpermute_b32 v29, v28, v6
	v_or_b32_e32 v10, 0x80000000, v10
	v_and_b32_e32 v11, s18, v8
	v_ffbl_b32_e32 v10, v10
	v_add_u32_e32 v10, 32, v10
	v_ffbl_b32_e32 v11, v11
	v_min_u32_e32 v10, v11, v10
	s_waitcnt lgkmcnt(0)
	v_max_u32_e32 v11, v29, v6
	v_cmp_lt_u32_e32 vcc, v27, v10
	v_cndmask_b32_e32 v6, v6, v11, vcc
	v_cmp_gt_u32_e32 vcc, 62, v27
	v_cndmask_b32_e64 v11, 0, 1, vcc
	v_lshlrev_b32_e32 v11, 1, v11
	v_add_lshl_u32 v29, v11, v5, 2
	ds_bpermute_b32 v11, v29, v6
	v_add_u32_e32 v30, 2, v27
	v_cmp_gt_u32_e32 vcc, v30, v10
	v_add_u32_e32 v32, 4, v27
	v_add_u32_e32 v34, 8, v27
	s_waitcnt lgkmcnt(0)
	v_max_u32_e32 v11, v11, v6
	v_cndmask_b32_e32 v6, v11, v6, vcc
	v_cmp_gt_u32_e32 vcc, 60, v27
	v_cndmask_b32_e64 v11, 0, 1, vcc
	v_lshlrev_b32_e32 v11, 2, v11
	v_add_lshl_u32 v31, v11, v5, 2
	ds_bpermute_b32 v11, v31, v6
	v_cmp_gt_u32_e32 vcc, v32, v10
	v_add_u32_e32 v37, 16, v27
	v_add_u32_e32 v39, 32, v27
	s_waitcnt lgkmcnt(0)
	v_max_u32_e32 v11, v11, v6
	v_cndmask_b32_e32 v6, v11, v6, vcc
	v_cmp_gt_u32_e32 vcc, 56, v27
	v_cndmask_b32_e64 v11, 0, 1, vcc
	v_lshlrev_b32_e32 v11, 3, v11
	v_add_lshl_u32 v33, v11, v5, 2
	ds_bpermute_b32 v11, v33, v6
	v_cmp_gt_u32_e32 vcc, v34, v10
	s_waitcnt lgkmcnt(0)
	v_max_u32_e32 v11, v11, v6
	v_cndmask_b32_e32 v6, v11, v6, vcc
	v_cmp_gt_u32_e32 vcc, 48, v27
	v_cndmask_b32_e64 v11, 0, 1, vcc
	v_lshlrev_b32_e32 v11, 4, v11
	v_add_lshl_u32 v35, v11, v5, 2
	ds_bpermute_b32 v11, v35, v6
	v_cmp_gt_u32_e32 vcc, v37, v10
	s_waitcnt lgkmcnt(0)
	v_max_u32_e32 v11, v11, v6
	v_cndmask_b32_e32 v6, v11, v6, vcc
	v_cmp_gt_u32_e32 vcc, 32, v27
	v_cndmask_b32_e64 v11, 0, 1, vcc
	v_lshlrev_b32_e32 v11, 5, v11
	v_add_lshl_u32 v38, v11, v5, 2
	ds_bpermute_b32 v5, v38, v6
	v_cmp_gt_u32_e32 vcc, v39, v10
	s_waitcnt lgkmcnt(0)
	v_max_u32_e32 v5, v5, v6
	v_cndmask_b32_e32 v6, v5, v6, vcc
	v_mov_b32_e32 v5, 0
	s_branch .LBB2331_38
.LBB2331_37:                            ;   in Loop: Header=BB2331_38 Depth=1
	s_or_b64 exec, exec, s[18:19]
	v_cmp_eq_u16_sdwa s[18:19], v7, v3 src0_sel:BYTE_0 src1_sel:DWORD
	v_and_b32_e32 v10, s19, v9
	ds_bpermute_b32 v40, v28, v6
	v_or_b32_e32 v10, 0x80000000, v10
	v_and_b32_e32 v11, s18, v8
	v_ffbl_b32_e32 v10, v10
	v_add_u32_e32 v10, 32, v10
	v_ffbl_b32_e32 v11, v11
	v_min_u32_e32 v10, v11, v10
	s_waitcnt lgkmcnt(0)
	v_max_u32_e32 v11, v40, v6
	v_cmp_lt_u32_e32 vcc, v27, v10
	v_cndmask_b32_e32 v6, v6, v11, vcc
	ds_bpermute_b32 v11, v29, v6
	v_cmp_gt_u32_e32 vcc, v30, v10
	v_subrev_u32_e32 v4, 64, v4
	s_waitcnt lgkmcnt(0)
	v_max_u32_e32 v11, v11, v6
	v_cndmask_b32_e32 v6, v11, v6, vcc
	ds_bpermute_b32 v11, v31, v6
	v_cmp_gt_u32_e32 vcc, v32, v10
	s_waitcnt lgkmcnt(0)
	v_max_u32_e32 v11, v11, v6
	v_cndmask_b32_e32 v6, v11, v6, vcc
	ds_bpermute_b32 v11, v33, v6
	v_cmp_gt_u32_e32 vcc, v34, v10
	;; [unrolled: 5-line block ×4, first 2 shown]
	s_waitcnt lgkmcnt(0)
	v_max_u32_e32 v11, v11, v6
	v_cndmask_b32_e32 v6, v11, v6, vcc
	v_max_u32_e32 v6, v6, v36
.LBB2331_38:                            ; =>This Loop Header: Depth=1
                                        ;     Child Loop BB2331_41 Depth 2
	v_cmp_ne_u16_sdwa s[18:19], v7, v3 src0_sel:BYTE_0 src1_sel:DWORD
	v_cndmask_b32_e64 v7, 0, 1, s[18:19]
	;;#ASMSTART
	;;#ASMEND
	v_cmp_ne_u32_e32 vcc, 0, v7
	s_cmp_lg_u64 vcc, exec
	v_mov_b32_e32 v36, v6
	s_cbranch_scc1 .LBB2331_43
; %bb.39:                               ;   in Loop: Header=BB2331_38 Depth=1
	v_lshlrev_b64 v[6:7], 3, v[4:5]
	v_mov_b32_e32 v11, s25
	v_add_co_u32_e32 v10, vcc, s24, v6
	v_addc_co_u32_e32 v11, vcc, v11, v7, vcc
	global_load_dwordx2 v[6:7], v[10:11], off glc
	s_waitcnt vmcnt(0)
	v_cmp_eq_u16_sdwa s[20:21], v7, v5 src0_sel:BYTE_0 src1_sel:DWORD
	s_and_saveexec_b64 s[18:19], s[20:21]
	s_cbranch_execz .LBB2331_37
; %bb.40:                               ;   in Loop: Header=BB2331_38 Depth=1
	s_mov_b64 s[20:21], 0
.LBB2331_41:                            ;   Parent Loop BB2331_38 Depth=1
                                        ; =>  This Inner Loop Header: Depth=2
	global_load_dwordx2 v[6:7], v[10:11], off glc
	s_waitcnt vmcnt(0)
	v_cmp_ne_u16_sdwa s[22:23], v7, v5 src0_sel:BYTE_0 src1_sel:DWORD
	s_or_b64 s[20:21], s[22:23], s[20:21]
	s_andn2_b64 exec, exec, s[20:21]
	s_cbranch_execnz .LBB2331_41
; %bb.42:                               ;   in Loop: Header=BB2331_38 Depth=1
	s_or_b64 exec, exec, s[20:21]
	s_branch .LBB2331_37
.LBB2331_43:                            ;   in Loop: Header=BB2331_38 Depth=1
                                        ; implicit-def: $vgpr6
                                        ; implicit-def: $vgpr7
	s_cbranch_execz .LBB2331_38
; %bb.44:
	s_and_saveexec_b64 s[18:19], s[2:3]
	s_cbranch_execz .LBB2331_46
; %bb.45:
	s_add_i32 s2, s6, 64
	s_mov_b32 s3, 0
	s_lshl_b64 s[2:3], s[2:3], 3
	s_add_u32 s2, s24, s2
	v_max_u32_e32 v2, v36, v2
	v_mov_b32_e32 v3, 2
	s_addc_u32 s3, s25, s3
	v_mov_b32_e32 v4, 0
	global_store_dwordx2 v4, v[2:3], s[2:3]
.LBB2331_46:
	s_or_b64 exec, exec, s[18:19]
	s_and_b64 exec, exec, s[0:1]
	s_cbranch_execz .LBB2331_48
; %bb.47:
	v_mov_b32_e32 v2, 0
	ds_write_b32 v2, v36
.LBB2331_48:
	s_or_b64 exec, exec, s[16:17]
	v_mov_b32_e32 v2, 0
	s_waitcnt lgkmcnt(0)
	s_barrier
	ds_read_b32 v2, v2
	s_waitcnt lgkmcnt(0)
	v_max_u32_e32 v3, v2, v26
	v_cndmask_b32_e64 v2, v3, v2, s[0:1]
	v_max_u32_e32 v3, v2, v16
	v_max_u32_e32 v4, v3, v17
	;; [unrolled: 1-line block ×9, first 2 shown]
	s_load_dwordx8 s[16:23], s[4:5], 0x38
	s_branch .LBB2331_59
.LBB2331_49:
                                        ; implicit-def: $vgpr2_vgpr3_vgpr4_vgpr5_vgpr6_vgpr7_vgpr8_vgpr9_vgpr10_vgpr11
	s_load_dwordx8 s[16:23], s[4:5], 0x38
	s_cbranch_execz .LBB2331_59
; %bb.50:
	s_load_dword s0, s[4:5], 0x20
	s_waitcnt lgkmcnt(0)
	s_cmp_eq_u64 s[20:21], 0
	v_mov_b32_e32 v26, s0
	s_cbranch_scc1 .LBB2331_52
; %bb.51:
	v_mov_b32_e32 v2, 0
	global_load_dword v4, v2, s[16:17]
	v_mov_b32_e32 v3, s28
	v_add_co_u32_e64 v2, vcc, -4, s27
	v_addc_co_u32_e32 v3, vcc, -1, v3, vcc
	flat_load_dword v2, v[2:3]
	s_waitcnt vmcnt(0) lgkmcnt(0)
	v_max_u32_e32 v26, v4, v2
.LBB2331_52:
	v_max3_u32 v2, v25, v12, v13
	v_max3_u32 v2, v2, v14, v15
	;; [unrolled: 1-line block ×3, first 2 shown]
	v_add_lshl_u32 v1, v1, v0, 2
	v_cmp_gt_u32_e32 vcc, 64, v0
	ds_write_b32 v1, v2
	s_waitcnt lgkmcnt(0)
	s_barrier
	s_and_saveexec_b64 s[0:1], vcc
	s_cbranch_execz .LBB2331_54
; %bb.53:
	v_lshlrev_b32_e32 v1, 1, v0
	v_lshrrev_b32_e32 v3, 4, v0
	v_add_lshl_u32 v1, v3, v1, 2
	ds_read2_b32 v[4:5], v1 offset1:1
	v_mbcnt_lo_u32_b32 v3, -1, 0
	v_mbcnt_hi_u32_b32 v3, -1, v3
	v_and_b32_e32 v6, 15, v3
	v_cmp_eq_u32_e32 vcc, 0, v6
	s_waitcnt lgkmcnt(0)
	v_max_u32_e32 v5, v4, v5
	; wave barrier
	s_nop 1
	v_mov_b32_dpp v7, v5 row_shr:1 row_mask:0xf bank_mask:0xf
	v_max_u32_e32 v7, v7, v5
	v_cndmask_b32_e32 v5, v7, v5, vcc
	v_cmp_lt_u32_e32 vcc, 1, v6
	s_nop 0
	v_mov_b32_dpp v7, v5 row_shr:2 row_mask:0xf bank_mask:0xf
	v_max_u32_e32 v7, v7, v5
	v_cndmask_b32_e32 v5, v5, v7, vcc
	v_cmp_lt_u32_e32 vcc, 3, v6
	;; [unrolled: 5-line block ×3, first 2 shown]
	s_nop 0
	v_mov_b32_dpp v7, v5 row_shr:8 row_mask:0xf bank_mask:0xf
	v_max_u32_e32 v7, v7, v5
	v_cndmask_b32_e32 v5, v5, v7, vcc
	v_and_b32_e32 v7, 16, v3
	v_cmp_eq_u32_e32 vcc, 0, v7
	v_mov_b32_dpp v6, v5 row_bcast:15 row_mask:0xf bank_mask:0xf
	v_max_u32_e32 v6, v6, v5
	v_cndmask_b32_e32 v5, v6, v5, vcc
	v_cmp_lt_u32_e32 vcc, 31, v3
	v_and_b32_e32 v7, 64, v3
	v_mov_b32_dpp v6, v5 row_bcast:31 row_mask:0xf bank_mask:0xf
	v_max_u32_e32 v6, v6, v5
	v_cndmask_b32_e32 v5, v5, v6, vcc
	v_add_u32_e32 v6, -1, v3
	v_cmp_lt_i32_e32 vcc, v6, v7
	v_cndmask_b32_e32 v3, v6, v3, vcc
	v_lshlrev_b32_e32 v3, 2, v3
	ds_bpermute_b32 v3, v3, v5
	v_cmp_eq_u32_e32 vcc, 0, v0
	s_waitcnt lgkmcnt(0)
	v_max_u32_e32 v3, v3, v4
	v_cndmask_b32_e32 v2, v3, v2, vcc
	ds_write_b32 v1, v2
	; wave barrier
	ds_read_b32 v3, v1 offset:4
	s_waitcnt lgkmcnt(0)
	v_max_u32_e32 v2, v2, v3
	ds_write_b32 v1, v2 offset:4
.LBB2331_54:
	s_or_b64 exec, exec, s[0:1]
	v_cmp_eq_u32_e32 vcc, 0, v0
	v_cmp_ne_u32_e64 s[0:1], 0, v0
	v_mov_b32_e32 v2, v26
	s_waitcnt lgkmcnt(0)
	s_barrier
	s_and_saveexec_b64 s[2:3], s[0:1]
	s_cbranch_execz .LBB2331_56
; %bb.55:
	v_add_u32_e32 v1, -1, v0
	v_lshrrev_b32_e32 v2, 5, v1
	v_add_lshl_u32 v1, v2, v1, 2
	ds_read_b32 v1, v1
	s_waitcnt lgkmcnt(0)
	v_max_u32_e32 v2, v26, v1
.LBB2331_56:
	s_or_b64 exec, exec, s[2:3]
	v_max_u32_e32 v3, v2, v16
	v_max_u32_e32 v4, v3, v17
	;; [unrolled: 1-line block ×9, first 2 shown]
	s_and_saveexec_b64 s[0:1], vcc
	s_cbranch_execz .LBB2331_58
; %bb.57:
	v_mov_b32_e32 v1, 0
	ds_read_b32 v12, v1 offset:520
	v_mov_b32_e32 v13, 2
	s_waitcnt lgkmcnt(0)
	v_max_u32_e32 v12, v26, v12
	global_store_dwordx2 v1, v[12:13], s[24:25] offset:512
.LBB2331_58:
	s_or_b64 exec, exec, s[0:1]
.LBB2331_59:
	s_add_u32 s0, s12, s10
	s_addc_u32 s1, s13, s11
	s_add_u32 s2, s0, s14
	s_addc_u32 s3, s1, s15
	s_mov_b64 s[0:1], -1
	s_and_b64 vcc, exec, s[8:9]
	s_waitcnt lgkmcnt(0)
	s_barrier
	s_cbranch_vccz .LBB2331_61
; %bb.60:
	ds_write2_b64 v24, v[2:3], v[4:5] offset1:1
	ds_write2_b64 v24, v[6:7], v[8:9] offset0:2 offset1:3
	ds_write_b64 v24, v[10:11] offset:32
	s_waitcnt lgkmcnt(0)
	s_barrier
	ds_read2st64_b32 v[12:13], v22 offset1:2
	ds_read2st64_b32 v[14:15], v22 offset0:4 offset1:6
	ds_read2st64_b32 v[16:17], v22 offset0:8 offset1:10
	;; [unrolled: 1-line block ×4, first 2 shown]
	v_mov_b32_e32 v1, s3
	v_add_co_u32_e32 v26, vcc, s2, v22
	v_addc_co_u32_e32 v27, vcc, 0, v1, vcc
	s_waitcnt lgkmcnt(4)
	flat_store_dword v[26:27], v12
	flat_store_dword v[26:27], v13 offset:512
	s_waitcnt lgkmcnt(0)
	flat_store_dword v[26:27], v14 offset:1024
	flat_store_dword v[26:27], v15 offset:1536
	flat_store_dword v[26:27], v16 offset:2048
	flat_store_dword v[26:27], v17 offset:2560
	flat_store_dword v[26:27], v18 offset:3072
	flat_store_dword v[26:27], v19 offset:3584
	v_add_co_u32_e32 v12, vcc, 0x1000, v26
	v_addc_co_u32_e32 v13, vcc, 0, v27, vcc
	flat_store_dword v[12:13], v20
	flat_store_dword v[12:13], v21 offset:512
	s_mov_b64 s[0:1], 0
.LBB2331_61:
	s_andn2_b64 vcc, exec, s[0:1]
	s_cbranch_vccnz .LBB2331_117
; %bb.62:
	s_movk_i32 s0, 0xffdc
	ds_write2_b64 v24, v[2:3], v[4:5] offset1:1
	ds_write2_b64 v24, v[6:7], v[8:9] offset0:2 offset1:3
	ds_write_b64 v24, v[10:11] offset:32
	v_mad_i32_i24 v10, v0, s0, v24
	s_waitcnt lgkmcnt(0)
	s_barrier
	ds_read2st64_b32 v[2:3], v10 offset1:2
	ds_read2st64_b32 v[6:7], v10 offset0:4 offset1:6
	ds_read2st64_b32 v[4:5], v10 offset0:8 offset1:10
	;; [unrolled: 1-line block ×4, first 2 shown]
	v_mov_b32_e32 v13, s3
	v_add_co_u32_e32 v12, vcc, s2, v22
	v_addc_co_u32_e32 v13, vcc, 0, v13, vcc
	v_mov_b32_e32 v1, 0
	v_cmp_gt_u32_e32 vcc, s7, v0
	s_and_saveexec_b64 s[0:1], vcc
	s_cbranch_execz .LBB2331_64
; %bb.63:
	s_waitcnt lgkmcnt(0)
	flat_store_dword v[12:13], v2
.LBB2331_64:
	s_or_b64 exec, exec, s[0:1]
	v_or_b32_e32 v14, 0x80, v0
	v_cmp_gt_u32_e32 vcc, s7, v14
	s_and_saveexec_b64 s[0:1], vcc
	s_cbranch_execz .LBB2331_66
; %bb.65:
	s_waitcnt lgkmcnt(0)
	flat_store_dword v[12:13], v3 offset:512
.LBB2331_66:
	s_or_b64 exec, exec, s[0:1]
	v_or_b32_e32 v14, 0x100, v0
	v_cmp_gt_u32_e32 vcc, s7, v14
	s_and_saveexec_b64 s[0:1], vcc
	s_cbranch_execz .LBB2331_68
; %bb.67:
	s_waitcnt lgkmcnt(0)
	flat_store_dword v[12:13], v6 offset:1024
.LBB2331_68:
	;; [unrolled: 9-line block ×7, first 2 shown]
	s_or_b64 exec, exec, s[0:1]
	v_or_b32_e32 v14, 0x400, v0
	v_cmp_gt_u32_e32 vcc, s7, v14
	s_and_saveexec_b64 s[0:1], vcc
	s_cbranch_execz .LBB2331_80
; %bb.79:
	v_add_co_u32_e32 v14, vcc, 0x1000, v12
	v_addc_co_u32_e32 v15, vcc, 0, v13, vcc
	s_waitcnt lgkmcnt(0)
	flat_store_dword v[14:15], v10
.LBB2331_80:
	s_or_b64 exec, exec, s[0:1]
	v_or_b32_e32 v14, 0x480, v0
	v_cmp_gt_u32_e32 vcc, s7, v14
	s_and_saveexec_b64 s[0:1], vcc
	s_cbranch_execz .LBB2331_82
; %bb.81:
	v_add_co_u32_e32 v12, vcc, 0x1000, v12
	v_addc_co_u32_e32 v13, vcc, 0, v13, vcc
	s_waitcnt lgkmcnt(0)
	flat_store_dword v[12:13], v11 offset:512
.LBB2331_82:
	s_or_b64 exec, exec, s[0:1]
	v_cmp_lt_u64_e64 s[0:1], s[22:23], 2
	s_and_b64 vcc, exec, s[0:1]
	s_cbranch_vccnz .LBB2331_117
; %bb.83:
	s_add_u32 s0, s7, -1
	s_addc_u32 s1, s26, -1
	s_add_u32 s2, 0, 0x99986000
	s_addc_u32 s3, 0, 0x59
	s_add_i32 s3, s3, 0x19999940
	s_mul_hi_u32 s7, s2, -10
	s_sub_i32 s7, s7, s2
	s_mul_i32 s8, s3, -10
	s_mul_i32 s4, s2, -10
	s_add_i32 s7, s7, s8
	s_mul_hi_u32 s5, s3, s4
	s_mul_i32 s6, s3, s4
	s_mul_i32 s9, s2, s7
	s_mul_hi_u32 s4, s2, s4
	s_mul_hi_u32 s8, s2, s7
	s_add_u32 s4, s4, s9
	s_addc_u32 s8, 0, s8
	s_add_u32 s4, s4, s6
	s_mul_hi_u32 s9, s3, s7
	s_addc_u32 s4, s8, s5
	s_addc_u32 s5, s9, 0
	s_mul_i32 s6, s3, s7
	s_add_u32 s4, s4, s6
	v_mov_b32_e32 v12, s4
	s_addc_u32 s5, 0, s5
	v_add_co_u32_e32 v12, vcc, s2, v12
	s_cmp_lg_u64 vcc, 0
	s_addc_u32 s2, s3, s5
	v_readfirstlane_b32 s5, v12
	s_mul_i32 s4, s0, s2
	s_mul_hi_u32 s6, s0, s5
	s_mul_hi_u32 s3, s0, s2
	s_add_u32 s4, s6, s4
	s_addc_u32 s3, 0, s3
	s_mul_hi_u32 s7, s1, s5
	s_mul_i32 s5, s1, s5
	s_add_u32 s4, s4, s5
	s_mul_hi_u32 s6, s1, s2
	s_addc_u32 s3, s3, s7
	s_addc_u32 s4, s6, 0
	s_mul_i32 s2, s1, s2
	s_add_u32 s2, s3, s2
	s_addc_u32 s3, 0, s4
	s_add_u32 s4, s2, 1
	s_addc_u32 s5, s3, 0
	s_add_u32 s6, s2, 2
	s_mul_i32 s8, s3, 10
	s_mul_hi_u32 s9, s2, 10
	s_addc_u32 s7, s3, 0
	s_add_i32 s9, s9, s8
	s_mul_i32 s8, s2, 10
	v_mov_b32_e32 v12, s8
	v_sub_co_u32_e32 v12, vcc, s0, v12
	s_cmp_lg_u64 vcc, 0
	s_subb_u32 s8, s1, s9
	v_subrev_co_u32_e32 v13, vcc, 10, v12
	s_cmp_lg_u64 vcc, 0
	s_subb_u32 s9, s8, 0
	v_readfirstlane_b32 s10, v13
	s_cmp_gt_u32 s10, 9
	s_cselect_b32 s10, -1, 0
	s_cmp_eq_u32 s9, 0
	s_cselect_b32 s9, s10, -1
	s_cmp_lg_u32 s9, 0
	s_cselect_b32 s4, s6, s4
	v_readfirstlane_b32 s6, v12
	s_cselect_b32 s5, s7, s5
	s_cmp_gt_u32 s6, 9
	s_cselect_b32 s6, -1, 0
	s_cmp_eq_u32 s8, 0
	s_cselect_b32 s6, s6, -1
	s_cmp_lg_u32 s6, 0
	s_cselect_b32 s3, s5, s3
	s_cselect_b32 s2, s4, s2
	v_cmp_eq_u64_e32 vcc, s[2:3], v[0:1]
	s_and_saveexec_b64 s[2:3], vcc
	s_cbranch_execz .LBB2331_117
; %bb.84:
	v_mul_hi_u32_u24_e32 v1, 10, v0
	v_mov_b32_e32 v12, s1
	v_sub_co_u32_e32 v0, vcc, s0, v23
	v_subb_co_u32_e32 v1, vcc, v12, v1, vcc
	v_cmp_lt_i64_e32 vcc, 4, v[0:1]
	s_and_saveexec_b64 s[0:1], vcc
	s_xor_b64 s[0:1], exec, s[0:1]
	s_cbranch_execz .LBB2331_102
; %bb.85:
	v_cmp_lt_i64_e32 vcc, 6, v[0:1]
	s_and_saveexec_b64 s[2:3], vcc
	s_xor_b64 s[2:3], exec, s[2:3]
	s_cbranch_execz .LBB2331_95
; %bb.86:
	;; [unrolled: 5-line block ×4, first 2 shown]
	v_mov_b32_e32 v0, 0
	s_waitcnt lgkmcnt(0)
	global_store_dword v0, v11, s[18:19]
                                        ; implicit-def: $vgpr10_vgpr11
.LBB2331_89:
	s_andn2_saveexec_b64 s[6:7], s[6:7]
	s_cbranch_execz .LBB2331_91
; %bb.90:
	v_mov_b32_e32 v0, 0
	s_waitcnt lgkmcnt(0)
	global_store_dword v0, v10, s[18:19]
.LBB2331_91:
	s_or_b64 exec, exec, s[6:7]
                                        ; implicit-def: $vgpr8_vgpr9
.LBB2331_92:
	s_andn2_saveexec_b64 s[4:5], s[4:5]
	s_cbranch_execz .LBB2331_94
; %bb.93:
	v_mov_b32_e32 v0, 0
	s_waitcnt lgkmcnt(0)
	global_store_dword v0, v9, s[18:19]
.LBB2331_94:
	s_or_b64 exec, exec, s[4:5]
                                        ; implicit-def: $vgpr4_vgpr5
                                        ; implicit-def: $vgpr0_vgpr1
                                        ; implicit-def: $vgpr8_vgpr9
.LBB2331_95:
	s_andn2_saveexec_b64 s[2:3], s[2:3]
	s_cbranch_execz .LBB2331_101
; %bb.96:
	v_cmp_lt_i64_e32 vcc, 5, v[0:1]
	s_and_saveexec_b64 s[4:5], vcc
	s_xor_b64 s[4:5], exec, s[4:5]
	s_cbranch_execz .LBB2331_98
; %bb.97:
	v_mov_b32_e32 v0, 0
	s_waitcnt lgkmcnt(0)
	global_store_dword v0, v8, s[18:19]
                                        ; implicit-def: $vgpr4_vgpr5
.LBB2331_98:
	s_andn2_saveexec_b64 s[4:5], s[4:5]
	s_cbranch_execz .LBB2331_100
; %bb.99:
	v_mov_b32_e32 v0, 0
	s_waitcnt lgkmcnt(0)
	global_store_dword v0, v5, s[18:19]
.LBB2331_100:
	s_or_b64 exec, exec, s[4:5]
.LBB2331_101:
	s_or_b64 exec, exec, s[2:3]
                                        ; implicit-def: $vgpr0_vgpr1
                                        ; implicit-def: $vgpr6_vgpr7
                                        ; implicit-def: $vgpr2_vgpr3
                                        ; implicit-def: $vgpr4_vgpr5
.LBB2331_102:
	s_andn2_saveexec_b64 s[0:1], s[0:1]
	s_cbranch_execz .LBB2331_117
; %bb.103:
	v_cmp_lt_i64_e32 vcc, 2, v[0:1]
	s_and_saveexec_b64 s[0:1], vcc
	s_xor_b64 s[0:1], exec, s[0:1]
	s_cbranch_execz .LBB2331_109
; %bb.104:
	v_cmp_lt_i64_e32 vcc, 3, v[0:1]
	s_and_saveexec_b64 s[2:3], vcc
	s_xor_b64 s[2:3], exec, s[2:3]
	s_cbranch_execz .LBB2331_106
; %bb.105:
	v_mov_b32_e32 v0, 0
	s_waitcnt lgkmcnt(0)
	global_store_dword v0, v4, s[18:19]
                                        ; implicit-def: $vgpr6_vgpr7
.LBB2331_106:
	s_andn2_saveexec_b64 s[2:3], s[2:3]
	s_cbranch_execz .LBB2331_108
; %bb.107:
	v_mov_b32_e32 v0, 0
	s_waitcnt lgkmcnt(0)
	global_store_dword v0, v7, s[18:19]
.LBB2331_108:
	s_or_b64 exec, exec, s[2:3]
                                        ; implicit-def: $vgpr0_vgpr1
                                        ; implicit-def: $vgpr6_vgpr7
                                        ; implicit-def: $vgpr2_vgpr3
.LBB2331_109:
	s_andn2_saveexec_b64 s[0:1], s[0:1]
	s_cbranch_execz .LBB2331_117
; %bb.110:
	v_cmp_lt_i64_e32 vcc, 1, v[0:1]
	s_and_saveexec_b64 s[0:1], vcc
	s_xor_b64 s[0:1], exec, s[0:1]
	s_cbranch_execz .LBB2331_112
; %bb.111:
	v_mov_b32_e32 v0, 0
	s_waitcnt lgkmcnt(0)
	global_store_dword v0, v6, s[18:19]
                                        ; implicit-def: $vgpr2_vgpr3
                                        ; implicit-def: $vgpr0_vgpr1
.LBB2331_112:
	s_andn2_saveexec_b64 s[0:1], s[0:1]
	s_cbranch_execz .LBB2331_117
; %bb.113:
	v_cmp_ne_u64_e32 vcc, 1, v[0:1]
	s_and_saveexec_b64 s[0:1], vcc
	s_xor_b64 s[0:1], exec, s[0:1]
	s_cbranch_execz .LBB2331_115
; %bb.114:
	v_mov_b32_e32 v0, 0
	s_waitcnt lgkmcnt(0)
	global_store_dword v0, v2, s[18:19]
                                        ; implicit-def: $vgpr2_vgpr3
.LBB2331_115:
	s_andn2_saveexec_b64 s[0:1], s[0:1]
	s_cbranch_execz .LBB2331_117
; %bb.116:
	v_mov_b32_e32 v0, 0
	s_waitcnt lgkmcnt(0)
	global_store_dword v0, v3, s[18:19]
.LBB2331_117:
	s_endpgm
	.section	.rodata,"a",@progbits
	.p2align	6, 0x0
	.amdhsa_kernel _ZN7rocprim17ROCPRIM_400000_NS6detail17trampoline_kernelINS0_14default_configENS1_20scan_config_selectorIjEEZZNS1_9scan_implILNS1_25lookback_scan_determinismE0ELb1ELb1ES3_N6thrust23THRUST_200600_302600_NS6detail15normal_iteratorINS9_10device_ptrIjEEEESE_j11max_functorIjEjEEDaPvRmT3_T4_T5_mT6_P12ihipStream_tbENKUlT_T0_E_clISt17integral_constantIbLb0EESU_EEDaSP_SQ_EUlSP_E_NS1_11comp_targetILNS1_3genE4ELNS1_11target_archE910ELNS1_3gpuE8ELNS1_3repE0EEENS1_30default_config_static_selectorELNS0_4arch9wavefront6targetE1EEEvT1_
		.amdhsa_group_segment_fixed_size 5120
		.amdhsa_private_segment_fixed_size 0
		.amdhsa_kernarg_size 96
		.amdhsa_user_sgpr_count 6
		.amdhsa_user_sgpr_private_segment_buffer 1
		.amdhsa_user_sgpr_dispatch_ptr 0
		.amdhsa_user_sgpr_queue_ptr 0
		.amdhsa_user_sgpr_kernarg_segment_ptr 1
		.amdhsa_user_sgpr_dispatch_id 0
		.amdhsa_user_sgpr_flat_scratch_init 0
		.amdhsa_user_sgpr_kernarg_preload_length 0
		.amdhsa_user_sgpr_kernarg_preload_offset 0
		.amdhsa_user_sgpr_private_segment_size 0
		.amdhsa_uses_dynamic_stack 0
		.amdhsa_system_sgpr_private_segment_wavefront_offset 0
		.amdhsa_system_sgpr_workgroup_id_x 1
		.amdhsa_system_sgpr_workgroup_id_y 0
		.amdhsa_system_sgpr_workgroup_id_z 0
		.amdhsa_system_sgpr_workgroup_info 0
		.amdhsa_system_vgpr_workitem_id 0
		.amdhsa_next_free_vgpr 41
		.amdhsa_next_free_sgpr 29
		.amdhsa_accum_offset 44
		.amdhsa_reserve_vcc 1
		.amdhsa_reserve_flat_scratch 0
		.amdhsa_float_round_mode_32 0
		.amdhsa_float_round_mode_16_64 0
		.amdhsa_float_denorm_mode_32 3
		.amdhsa_float_denorm_mode_16_64 3
		.amdhsa_dx10_clamp 1
		.amdhsa_ieee_mode 1
		.amdhsa_fp16_overflow 0
		.amdhsa_tg_split 0
		.amdhsa_exception_fp_ieee_invalid_op 0
		.amdhsa_exception_fp_denorm_src 0
		.amdhsa_exception_fp_ieee_div_zero 0
		.amdhsa_exception_fp_ieee_overflow 0
		.amdhsa_exception_fp_ieee_underflow 0
		.amdhsa_exception_fp_ieee_inexact 0
		.amdhsa_exception_int_div_zero 0
	.end_amdhsa_kernel
	.section	.text._ZN7rocprim17ROCPRIM_400000_NS6detail17trampoline_kernelINS0_14default_configENS1_20scan_config_selectorIjEEZZNS1_9scan_implILNS1_25lookback_scan_determinismE0ELb1ELb1ES3_N6thrust23THRUST_200600_302600_NS6detail15normal_iteratorINS9_10device_ptrIjEEEESE_j11max_functorIjEjEEDaPvRmT3_T4_T5_mT6_P12ihipStream_tbENKUlT_T0_E_clISt17integral_constantIbLb0EESU_EEDaSP_SQ_EUlSP_E_NS1_11comp_targetILNS1_3genE4ELNS1_11target_archE910ELNS1_3gpuE8ELNS1_3repE0EEENS1_30default_config_static_selectorELNS0_4arch9wavefront6targetE1EEEvT1_,"axG",@progbits,_ZN7rocprim17ROCPRIM_400000_NS6detail17trampoline_kernelINS0_14default_configENS1_20scan_config_selectorIjEEZZNS1_9scan_implILNS1_25lookback_scan_determinismE0ELb1ELb1ES3_N6thrust23THRUST_200600_302600_NS6detail15normal_iteratorINS9_10device_ptrIjEEEESE_j11max_functorIjEjEEDaPvRmT3_T4_T5_mT6_P12ihipStream_tbENKUlT_T0_E_clISt17integral_constantIbLb0EESU_EEDaSP_SQ_EUlSP_E_NS1_11comp_targetILNS1_3genE4ELNS1_11target_archE910ELNS1_3gpuE8ELNS1_3repE0EEENS1_30default_config_static_selectorELNS0_4arch9wavefront6targetE1EEEvT1_,comdat
.Lfunc_end2331:
	.size	_ZN7rocprim17ROCPRIM_400000_NS6detail17trampoline_kernelINS0_14default_configENS1_20scan_config_selectorIjEEZZNS1_9scan_implILNS1_25lookback_scan_determinismE0ELb1ELb1ES3_N6thrust23THRUST_200600_302600_NS6detail15normal_iteratorINS9_10device_ptrIjEEEESE_j11max_functorIjEjEEDaPvRmT3_T4_T5_mT6_P12ihipStream_tbENKUlT_T0_E_clISt17integral_constantIbLb0EESU_EEDaSP_SQ_EUlSP_E_NS1_11comp_targetILNS1_3genE4ELNS1_11target_archE910ELNS1_3gpuE8ELNS1_3repE0EEENS1_30default_config_static_selectorELNS0_4arch9wavefront6targetE1EEEvT1_, .Lfunc_end2331-_ZN7rocprim17ROCPRIM_400000_NS6detail17trampoline_kernelINS0_14default_configENS1_20scan_config_selectorIjEEZZNS1_9scan_implILNS1_25lookback_scan_determinismE0ELb1ELb1ES3_N6thrust23THRUST_200600_302600_NS6detail15normal_iteratorINS9_10device_ptrIjEEEESE_j11max_functorIjEjEEDaPvRmT3_T4_T5_mT6_P12ihipStream_tbENKUlT_T0_E_clISt17integral_constantIbLb0EESU_EEDaSP_SQ_EUlSP_E_NS1_11comp_targetILNS1_3genE4ELNS1_11target_archE910ELNS1_3gpuE8ELNS1_3repE0EEENS1_30default_config_static_selectorELNS0_4arch9wavefront6targetE1EEEvT1_
                                        ; -- End function
	.section	.AMDGPU.csdata,"",@progbits
; Kernel info:
; codeLenInByte = 4420
; NumSgprs: 33
; NumVgprs: 41
; NumAgprs: 0
; TotalNumVgprs: 41
; ScratchSize: 0
; MemoryBound: 0
; FloatMode: 240
; IeeeMode: 1
; LDSByteSize: 5120 bytes/workgroup (compile time only)
; SGPRBlocks: 4
; VGPRBlocks: 5
; NumSGPRsForWavesPerEU: 33
; NumVGPRsForWavesPerEU: 41
; AccumOffset: 44
; Occupancy: 6
; WaveLimiterHint : 1
; COMPUTE_PGM_RSRC2:SCRATCH_EN: 0
; COMPUTE_PGM_RSRC2:USER_SGPR: 6
; COMPUTE_PGM_RSRC2:TRAP_HANDLER: 0
; COMPUTE_PGM_RSRC2:TGID_X_EN: 1
; COMPUTE_PGM_RSRC2:TGID_Y_EN: 0
; COMPUTE_PGM_RSRC2:TGID_Z_EN: 0
; COMPUTE_PGM_RSRC2:TIDIG_COMP_CNT: 0
; COMPUTE_PGM_RSRC3_GFX90A:ACCUM_OFFSET: 10
; COMPUTE_PGM_RSRC3_GFX90A:TG_SPLIT: 0
	.section	.text._ZN7rocprim17ROCPRIM_400000_NS6detail17trampoline_kernelINS0_14default_configENS1_20scan_config_selectorIjEEZZNS1_9scan_implILNS1_25lookback_scan_determinismE0ELb1ELb1ES3_N6thrust23THRUST_200600_302600_NS6detail15normal_iteratorINS9_10device_ptrIjEEEESE_j11max_functorIjEjEEDaPvRmT3_T4_T5_mT6_P12ihipStream_tbENKUlT_T0_E_clISt17integral_constantIbLb0EESU_EEDaSP_SQ_EUlSP_E_NS1_11comp_targetILNS1_3genE3ELNS1_11target_archE908ELNS1_3gpuE7ELNS1_3repE0EEENS1_30default_config_static_selectorELNS0_4arch9wavefront6targetE1EEEvT1_,"axG",@progbits,_ZN7rocprim17ROCPRIM_400000_NS6detail17trampoline_kernelINS0_14default_configENS1_20scan_config_selectorIjEEZZNS1_9scan_implILNS1_25lookback_scan_determinismE0ELb1ELb1ES3_N6thrust23THRUST_200600_302600_NS6detail15normal_iteratorINS9_10device_ptrIjEEEESE_j11max_functorIjEjEEDaPvRmT3_T4_T5_mT6_P12ihipStream_tbENKUlT_T0_E_clISt17integral_constantIbLb0EESU_EEDaSP_SQ_EUlSP_E_NS1_11comp_targetILNS1_3genE3ELNS1_11target_archE908ELNS1_3gpuE7ELNS1_3repE0EEENS1_30default_config_static_selectorELNS0_4arch9wavefront6targetE1EEEvT1_,comdat
	.protected	_ZN7rocprim17ROCPRIM_400000_NS6detail17trampoline_kernelINS0_14default_configENS1_20scan_config_selectorIjEEZZNS1_9scan_implILNS1_25lookback_scan_determinismE0ELb1ELb1ES3_N6thrust23THRUST_200600_302600_NS6detail15normal_iteratorINS9_10device_ptrIjEEEESE_j11max_functorIjEjEEDaPvRmT3_T4_T5_mT6_P12ihipStream_tbENKUlT_T0_E_clISt17integral_constantIbLb0EESU_EEDaSP_SQ_EUlSP_E_NS1_11comp_targetILNS1_3genE3ELNS1_11target_archE908ELNS1_3gpuE7ELNS1_3repE0EEENS1_30default_config_static_selectorELNS0_4arch9wavefront6targetE1EEEvT1_ ; -- Begin function _ZN7rocprim17ROCPRIM_400000_NS6detail17trampoline_kernelINS0_14default_configENS1_20scan_config_selectorIjEEZZNS1_9scan_implILNS1_25lookback_scan_determinismE0ELb1ELb1ES3_N6thrust23THRUST_200600_302600_NS6detail15normal_iteratorINS9_10device_ptrIjEEEESE_j11max_functorIjEjEEDaPvRmT3_T4_T5_mT6_P12ihipStream_tbENKUlT_T0_E_clISt17integral_constantIbLb0EESU_EEDaSP_SQ_EUlSP_E_NS1_11comp_targetILNS1_3genE3ELNS1_11target_archE908ELNS1_3gpuE7ELNS1_3repE0EEENS1_30default_config_static_selectorELNS0_4arch9wavefront6targetE1EEEvT1_
	.globl	_ZN7rocprim17ROCPRIM_400000_NS6detail17trampoline_kernelINS0_14default_configENS1_20scan_config_selectorIjEEZZNS1_9scan_implILNS1_25lookback_scan_determinismE0ELb1ELb1ES3_N6thrust23THRUST_200600_302600_NS6detail15normal_iteratorINS9_10device_ptrIjEEEESE_j11max_functorIjEjEEDaPvRmT3_T4_T5_mT6_P12ihipStream_tbENKUlT_T0_E_clISt17integral_constantIbLb0EESU_EEDaSP_SQ_EUlSP_E_NS1_11comp_targetILNS1_3genE3ELNS1_11target_archE908ELNS1_3gpuE7ELNS1_3repE0EEENS1_30default_config_static_selectorELNS0_4arch9wavefront6targetE1EEEvT1_
	.p2align	8
	.type	_ZN7rocprim17ROCPRIM_400000_NS6detail17trampoline_kernelINS0_14default_configENS1_20scan_config_selectorIjEEZZNS1_9scan_implILNS1_25lookback_scan_determinismE0ELb1ELb1ES3_N6thrust23THRUST_200600_302600_NS6detail15normal_iteratorINS9_10device_ptrIjEEEESE_j11max_functorIjEjEEDaPvRmT3_T4_T5_mT6_P12ihipStream_tbENKUlT_T0_E_clISt17integral_constantIbLb0EESU_EEDaSP_SQ_EUlSP_E_NS1_11comp_targetILNS1_3genE3ELNS1_11target_archE908ELNS1_3gpuE7ELNS1_3repE0EEENS1_30default_config_static_selectorELNS0_4arch9wavefront6targetE1EEEvT1_,@function
_ZN7rocprim17ROCPRIM_400000_NS6detail17trampoline_kernelINS0_14default_configENS1_20scan_config_selectorIjEEZZNS1_9scan_implILNS1_25lookback_scan_determinismE0ELb1ELb1ES3_N6thrust23THRUST_200600_302600_NS6detail15normal_iteratorINS9_10device_ptrIjEEEESE_j11max_functorIjEjEEDaPvRmT3_T4_T5_mT6_P12ihipStream_tbENKUlT_T0_E_clISt17integral_constantIbLb0EESU_EEDaSP_SQ_EUlSP_E_NS1_11comp_targetILNS1_3genE3ELNS1_11target_archE908ELNS1_3gpuE7ELNS1_3repE0EEENS1_30default_config_static_selectorELNS0_4arch9wavefront6targetE1EEEvT1_: ; @_ZN7rocprim17ROCPRIM_400000_NS6detail17trampoline_kernelINS0_14default_configENS1_20scan_config_selectorIjEEZZNS1_9scan_implILNS1_25lookback_scan_determinismE0ELb1ELb1ES3_N6thrust23THRUST_200600_302600_NS6detail15normal_iteratorINS9_10device_ptrIjEEEESE_j11max_functorIjEjEEDaPvRmT3_T4_T5_mT6_P12ihipStream_tbENKUlT_T0_E_clISt17integral_constantIbLb0EESU_EEDaSP_SQ_EUlSP_E_NS1_11comp_targetILNS1_3genE3ELNS1_11target_archE908ELNS1_3gpuE7ELNS1_3repE0EEENS1_30default_config_static_selectorELNS0_4arch9wavefront6targetE1EEEvT1_
; %bb.0:
	.section	.rodata,"a",@progbits
	.p2align	6, 0x0
	.amdhsa_kernel _ZN7rocprim17ROCPRIM_400000_NS6detail17trampoline_kernelINS0_14default_configENS1_20scan_config_selectorIjEEZZNS1_9scan_implILNS1_25lookback_scan_determinismE0ELb1ELb1ES3_N6thrust23THRUST_200600_302600_NS6detail15normal_iteratorINS9_10device_ptrIjEEEESE_j11max_functorIjEjEEDaPvRmT3_T4_T5_mT6_P12ihipStream_tbENKUlT_T0_E_clISt17integral_constantIbLb0EESU_EEDaSP_SQ_EUlSP_E_NS1_11comp_targetILNS1_3genE3ELNS1_11target_archE908ELNS1_3gpuE7ELNS1_3repE0EEENS1_30default_config_static_selectorELNS0_4arch9wavefront6targetE1EEEvT1_
		.amdhsa_group_segment_fixed_size 0
		.amdhsa_private_segment_fixed_size 0
		.amdhsa_kernarg_size 96
		.amdhsa_user_sgpr_count 6
		.amdhsa_user_sgpr_private_segment_buffer 1
		.amdhsa_user_sgpr_dispatch_ptr 0
		.amdhsa_user_sgpr_queue_ptr 0
		.amdhsa_user_sgpr_kernarg_segment_ptr 1
		.amdhsa_user_sgpr_dispatch_id 0
		.amdhsa_user_sgpr_flat_scratch_init 0
		.amdhsa_user_sgpr_kernarg_preload_length 0
		.amdhsa_user_sgpr_kernarg_preload_offset 0
		.amdhsa_user_sgpr_private_segment_size 0
		.amdhsa_uses_dynamic_stack 0
		.amdhsa_system_sgpr_private_segment_wavefront_offset 0
		.amdhsa_system_sgpr_workgroup_id_x 1
		.amdhsa_system_sgpr_workgroup_id_y 0
		.amdhsa_system_sgpr_workgroup_id_z 0
		.amdhsa_system_sgpr_workgroup_info 0
		.amdhsa_system_vgpr_workitem_id 0
		.amdhsa_next_free_vgpr 1
		.amdhsa_next_free_sgpr 0
		.amdhsa_accum_offset 4
		.amdhsa_reserve_vcc 0
		.amdhsa_reserve_flat_scratch 0
		.amdhsa_float_round_mode_32 0
		.amdhsa_float_round_mode_16_64 0
		.amdhsa_float_denorm_mode_32 3
		.amdhsa_float_denorm_mode_16_64 3
		.amdhsa_dx10_clamp 1
		.amdhsa_ieee_mode 1
		.amdhsa_fp16_overflow 0
		.amdhsa_tg_split 0
		.amdhsa_exception_fp_ieee_invalid_op 0
		.amdhsa_exception_fp_denorm_src 0
		.amdhsa_exception_fp_ieee_div_zero 0
		.amdhsa_exception_fp_ieee_overflow 0
		.amdhsa_exception_fp_ieee_underflow 0
		.amdhsa_exception_fp_ieee_inexact 0
		.amdhsa_exception_int_div_zero 0
	.end_amdhsa_kernel
	.section	.text._ZN7rocprim17ROCPRIM_400000_NS6detail17trampoline_kernelINS0_14default_configENS1_20scan_config_selectorIjEEZZNS1_9scan_implILNS1_25lookback_scan_determinismE0ELb1ELb1ES3_N6thrust23THRUST_200600_302600_NS6detail15normal_iteratorINS9_10device_ptrIjEEEESE_j11max_functorIjEjEEDaPvRmT3_T4_T5_mT6_P12ihipStream_tbENKUlT_T0_E_clISt17integral_constantIbLb0EESU_EEDaSP_SQ_EUlSP_E_NS1_11comp_targetILNS1_3genE3ELNS1_11target_archE908ELNS1_3gpuE7ELNS1_3repE0EEENS1_30default_config_static_selectorELNS0_4arch9wavefront6targetE1EEEvT1_,"axG",@progbits,_ZN7rocprim17ROCPRIM_400000_NS6detail17trampoline_kernelINS0_14default_configENS1_20scan_config_selectorIjEEZZNS1_9scan_implILNS1_25lookback_scan_determinismE0ELb1ELb1ES3_N6thrust23THRUST_200600_302600_NS6detail15normal_iteratorINS9_10device_ptrIjEEEESE_j11max_functorIjEjEEDaPvRmT3_T4_T5_mT6_P12ihipStream_tbENKUlT_T0_E_clISt17integral_constantIbLb0EESU_EEDaSP_SQ_EUlSP_E_NS1_11comp_targetILNS1_3genE3ELNS1_11target_archE908ELNS1_3gpuE7ELNS1_3repE0EEENS1_30default_config_static_selectorELNS0_4arch9wavefront6targetE1EEEvT1_,comdat
.Lfunc_end2332:
	.size	_ZN7rocprim17ROCPRIM_400000_NS6detail17trampoline_kernelINS0_14default_configENS1_20scan_config_selectorIjEEZZNS1_9scan_implILNS1_25lookback_scan_determinismE0ELb1ELb1ES3_N6thrust23THRUST_200600_302600_NS6detail15normal_iteratorINS9_10device_ptrIjEEEESE_j11max_functorIjEjEEDaPvRmT3_T4_T5_mT6_P12ihipStream_tbENKUlT_T0_E_clISt17integral_constantIbLb0EESU_EEDaSP_SQ_EUlSP_E_NS1_11comp_targetILNS1_3genE3ELNS1_11target_archE908ELNS1_3gpuE7ELNS1_3repE0EEENS1_30default_config_static_selectorELNS0_4arch9wavefront6targetE1EEEvT1_, .Lfunc_end2332-_ZN7rocprim17ROCPRIM_400000_NS6detail17trampoline_kernelINS0_14default_configENS1_20scan_config_selectorIjEEZZNS1_9scan_implILNS1_25lookback_scan_determinismE0ELb1ELb1ES3_N6thrust23THRUST_200600_302600_NS6detail15normal_iteratorINS9_10device_ptrIjEEEESE_j11max_functorIjEjEEDaPvRmT3_T4_T5_mT6_P12ihipStream_tbENKUlT_T0_E_clISt17integral_constantIbLb0EESU_EEDaSP_SQ_EUlSP_E_NS1_11comp_targetILNS1_3genE3ELNS1_11target_archE908ELNS1_3gpuE7ELNS1_3repE0EEENS1_30default_config_static_selectorELNS0_4arch9wavefront6targetE1EEEvT1_
                                        ; -- End function
	.section	.AMDGPU.csdata,"",@progbits
; Kernel info:
; codeLenInByte = 0
; NumSgprs: 4
; NumVgprs: 0
; NumAgprs: 0
; TotalNumVgprs: 0
; ScratchSize: 0
; MemoryBound: 0
; FloatMode: 240
; IeeeMode: 1
; LDSByteSize: 0 bytes/workgroup (compile time only)
; SGPRBlocks: 0
; VGPRBlocks: 0
; NumSGPRsForWavesPerEU: 4
; NumVGPRsForWavesPerEU: 1
; AccumOffset: 4
; Occupancy: 8
; WaveLimiterHint : 0
; COMPUTE_PGM_RSRC2:SCRATCH_EN: 0
; COMPUTE_PGM_RSRC2:USER_SGPR: 6
; COMPUTE_PGM_RSRC2:TRAP_HANDLER: 0
; COMPUTE_PGM_RSRC2:TGID_X_EN: 1
; COMPUTE_PGM_RSRC2:TGID_Y_EN: 0
; COMPUTE_PGM_RSRC2:TGID_Z_EN: 0
; COMPUTE_PGM_RSRC2:TIDIG_COMP_CNT: 0
; COMPUTE_PGM_RSRC3_GFX90A:ACCUM_OFFSET: 0
; COMPUTE_PGM_RSRC3_GFX90A:TG_SPLIT: 0
	.section	.text._ZN7rocprim17ROCPRIM_400000_NS6detail17trampoline_kernelINS0_14default_configENS1_20scan_config_selectorIjEEZZNS1_9scan_implILNS1_25lookback_scan_determinismE0ELb1ELb1ES3_N6thrust23THRUST_200600_302600_NS6detail15normal_iteratorINS9_10device_ptrIjEEEESE_j11max_functorIjEjEEDaPvRmT3_T4_T5_mT6_P12ihipStream_tbENKUlT_T0_E_clISt17integral_constantIbLb0EESU_EEDaSP_SQ_EUlSP_E_NS1_11comp_targetILNS1_3genE2ELNS1_11target_archE906ELNS1_3gpuE6ELNS1_3repE0EEENS1_30default_config_static_selectorELNS0_4arch9wavefront6targetE1EEEvT1_,"axG",@progbits,_ZN7rocprim17ROCPRIM_400000_NS6detail17trampoline_kernelINS0_14default_configENS1_20scan_config_selectorIjEEZZNS1_9scan_implILNS1_25lookback_scan_determinismE0ELb1ELb1ES3_N6thrust23THRUST_200600_302600_NS6detail15normal_iteratorINS9_10device_ptrIjEEEESE_j11max_functorIjEjEEDaPvRmT3_T4_T5_mT6_P12ihipStream_tbENKUlT_T0_E_clISt17integral_constantIbLb0EESU_EEDaSP_SQ_EUlSP_E_NS1_11comp_targetILNS1_3genE2ELNS1_11target_archE906ELNS1_3gpuE6ELNS1_3repE0EEENS1_30default_config_static_selectorELNS0_4arch9wavefront6targetE1EEEvT1_,comdat
	.protected	_ZN7rocprim17ROCPRIM_400000_NS6detail17trampoline_kernelINS0_14default_configENS1_20scan_config_selectorIjEEZZNS1_9scan_implILNS1_25lookback_scan_determinismE0ELb1ELb1ES3_N6thrust23THRUST_200600_302600_NS6detail15normal_iteratorINS9_10device_ptrIjEEEESE_j11max_functorIjEjEEDaPvRmT3_T4_T5_mT6_P12ihipStream_tbENKUlT_T0_E_clISt17integral_constantIbLb0EESU_EEDaSP_SQ_EUlSP_E_NS1_11comp_targetILNS1_3genE2ELNS1_11target_archE906ELNS1_3gpuE6ELNS1_3repE0EEENS1_30default_config_static_selectorELNS0_4arch9wavefront6targetE1EEEvT1_ ; -- Begin function _ZN7rocprim17ROCPRIM_400000_NS6detail17trampoline_kernelINS0_14default_configENS1_20scan_config_selectorIjEEZZNS1_9scan_implILNS1_25lookback_scan_determinismE0ELb1ELb1ES3_N6thrust23THRUST_200600_302600_NS6detail15normal_iteratorINS9_10device_ptrIjEEEESE_j11max_functorIjEjEEDaPvRmT3_T4_T5_mT6_P12ihipStream_tbENKUlT_T0_E_clISt17integral_constantIbLb0EESU_EEDaSP_SQ_EUlSP_E_NS1_11comp_targetILNS1_3genE2ELNS1_11target_archE906ELNS1_3gpuE6ELNS1_3repE0EEENS1_30default_config_static_selectorELNS0_4arch9wavefront6targetE1EEEvT1_
	.globl	_ZN7rocprim17ROCPRIM_400000_NS6detail17trampoline_kernelINS0_14default_configENS1_20scan_config_selectorIjEEZZNS1_9scan_implILNS1_25lookback_scan_determinismE0ELb1ELb1ES3_N6thrust23THRUST_200600_302600_NS6detail15normal_iteratorINS9_10device_ptrIjEEEESE_j11max_functorIjEjEEDaPvRmT3_T4_T5_mT6_P12ihipStream_tbENKUlT_T0_E_clISt17integral_constantIbLb0EESU_EEDaSP_SQ_EUlSP_E_NS1_11comp_targetILNS1_3genE2ELNS1_11target_archE906ELNS1_3gpuE6ELNS1_3repE0EEENS1_30default_config_static_selectorELNS0_4arch9wavefront6targetE1EEEvT1_
	.p2align	8
	.type	_ZN7rocprim17ROCPRIM_400000_NS6detail17trampoline_kernelINS0_14default_configENS1_20scan_config_selectorIjEEZZNS1_9scan_implILNS1_25lookback_scan_determinismE0ELb1ELb1ES3_N6thrust23THRUST_200600_302600_NS6detail15normal_iteratorINS9_10device_ptrIjEEEESE_j11max_functorIjEjEEDaPvRmT3_T4_T5_mT6_P12ihipStream_tbENKUlT_T0_E_clISt17integral_constantIbLb0EESU_EEDaSP_SQ_EUlSP_E_NS1_11comp_targetILNS1_3genE2ELNS1_11target_archE906ELNS1_3gpuE6ELNS1_3repE0EEENS1_30default_config_static_selectorELNS0_4arch9wavefront6targetE1EEEvT1_,@function
_ZN7rocprim17ROCPRIM_400000_NS6detail17trampoline_kernelINS0_14default_configENS1_20scan_config_selectorIjEEZZNS1_9scan_implILNS1_25lookback_scan_determinismE0ELb1ELb1ES3_N6thrust23THRUST_200600_302600_NS6detail15normal_iteratorINS9_10device_ptrIjEEEESE_j11max_functorIjEjEEDaPvRmT3_T4_T5_mT6_P12ihipStream_tbENKUlT_T0_E_clISt17integral_constantIbLb0EESU_EEDaSP_SQ_EUlSP_E_NS1_11comp_targetILNS1_3genE2ELNS1_11target_archE906ELNS1_3gpuE6ELNS1_3repE0EEENS1_30default_config_static_selectorELNS0_4arch9wavefront6targetE1EEEvT1_: ; @_ZN7rocprim17ROCPRIM_400000_NS6detail17trampoline_kernelINS0_14default_configENS1_20scan_config_selectorIjEEZZNS1_9scan_implILNS1_25lookback_scan_determinismE0ELb1ELb1ES3_N6thrust23THRUST_200600_302600_NS6detail15normal_iteratorINS9_10device_ptrIjEEEESE_j11max_functorIjEjEEDaPvRmT3_T4_T5_mT6_P12ihipStream_tbENKUlT_T0_E_clISt17integral_constantIbLb0EESU_EEDaSP_SQ_EUlSP_E_NS1_11comp_targetILNS1_3genE2ELNS1_11target_archE906ELNS1_3gpuE6ELNS1_3repE0EEENS1_30default_config_static_selectorELNS0_4arch9wavefront6targetE1EEEvT1_
; %bb.0:
	.section	.rodata,"a",@progbits
	.p2align	6, 0x0
	.amdhsa_kernel _ZN7rocprim17ROCPRIM_400000_NS6detail17trampoline_kernelINS0_14default_configENS1_20scan_config_selectorIjEEZZNS1_9scan_implILNS1_25lookback_scan_determinismE0ELb1ELb1ES3_N6thrust23THRUST_200600_302600_NS6detail15normal_iteratorINS9_10device_ptrIjEEEESE_j11max_functorIjEjEEDaPvRmT3_T4_T5_mT6_P12ihipStream_tbENKUlT_T0_E_clISt17integral_constantIbLb0EESU_EEDaSP_SQ_EUlSP_E_NS1_11comp_targetILNS1_3genE2ELNS1_11target_archE906ELNS1_3gpuE6ELNS1_3repE0EEENS1_30default_config_static_selectorELNS0_4arch9wavefront6targetE1EEEvT1_
		.amdhsa_group_segment_fixed_size 0
		.amdhsa_private_segment_fixed_size 0
		.amdhsa_kernarg_size 96
		.amdhsa_user_sgpr_count 6
		.amdhsa_user_sgpr_private_segment_buffer 1
		.amdhsa_user_sgpr_dispatch_ptr 0
		.amdhsa_user_sgpr_queue_ptr 0
		.amdhsa_user_sgpr_kernarg_segment_ptr 1
		.amdhsa_user_sgpr_dispatch_id 0
		.amdhsa_user_sgpr_flat_scratch_init 0
		.amdhsa_user_sgpr_kernarg_preload_length 0
		.amdhsa_user_sgpr_kernarg_preload_offset 0
		.amdhsa_user_sgpr_private_segment_size 0
		.amdhsa_uses_dynamic_stack 0
		.amdhsa_system_sgpr_private_segment_wavefront_offset 0
		.amdhsa_system_sgpr_workgroup_id_x 1
		.amdhsa_system_sgpr_workgroup_id_y 0
		.amdhsa_system_sgpr_workgroup_id_z 0
		.amdhsa_system_sgpr_workgroup_info 0
		.amdhsa_system_vgpr_workitem_id 0
		.amdhsa_next_free_vgpr 1
		.amdhsa_next_free_sgpr 0
		.amdhsa_accum_offset 4
		.amdhsa_reserve_vcc 0
		.amdhsa_reserve_flat_scratch 0
		.amdhsa_float_round_mode_32 0
		.amdhsa_float_round_mode_16_64 0
		.amdhsa_float_denorm_mode_32 3
		.amdhsa_float_denorm_mode_16_64 3
		.amdhsa_dx10_clamp 1
		.amdhsa_ieee_mode 1
		.amdhsa_fp16_overflow 0
		.amdhsa_tg_split 0
		.amdhsa_exception_fp_ieee_invalid_op 0
		.amdhsa_exception_fp_denorm_src 0
		.amdhsa_exception_fp_ieee_div_zero 0
		.amdhsa_exception_fp_ieee_overflow 0
		.amdhsa_exception_fp_ieee_underflow 0
		.amdhsa_exception_fp_ieee_inexact 0
		.amdhsa_exception_int_div_zero 0
	.end_amdhsa_kernel
	.section	.text._ZN7rocprim17ROCPRIM_400000_NS6detail17trampoline_kernelINS0_14default_configENS1_20scan_config_selectorIjEEZZNS1_9scan_implILNS1_25lookback_scan_determinismE0ELb1ELb1ES3_N6thrust23THRUST_200600_302600_NS6detail15normal_iteratorINS9_10device_ptrIjEEEESE_j11max_functorIjEjEEDaPvRmT3_T4_T5_mT6_P12ihipStream_tbENKUlT_T0_E_clISt17integral_constantIbLb0EESU_EEDaSP_SQ_EUlSP_E_NS1_11comp_targetILNS1_3genE2ELNS1_11target_archE906ELNS1_3gpuE6ELNS1_3repE0EEENS1_30default_config_static_selectorELNS0_4arch9wavefront6targetE1EEEvT1_,"axG",@progbits,_ZN7rocprim17ROCPRIM_400000_NS6detail17trampoline_kernelINS0_14default_configENS1_20scan_config_selectorIjEEZZNS1_9scan_implILNS1_25lookback_scan_determinismE0ELb1ELb1ES3_N6thrust23THRUST_200600_302600_NS6detail15normal_iteratorINS9_10device_ptrIjEEEESE_j11max_functorIjEjEEDaPvRmT3_T4_T5_mT6_P12ihipStream_tbENKUlT_T0_E_clISt17integral_constantIbLb0EESU_EEDaSP_SQ_EUlSP_E_NS1_11comp_targetILNS1_3genE2ELNS1_11target_archE906ELNS1_3gpuE6ELNS1_3repE0EEENS1_30default_config_static_selectorELNS0_4arch9wavefront6targetE1EEEvT1_,comdat
.Lfunc_end2333:
	.size	_ZN7rocprim17ROCPRIM_400000_NS6detail17trampoline_kernelINS0_14default_configENS1_20scan_config_selectorIjEEZZNS1_9scan_implILNS1_25lookback_scan_determinismE0ELb1ELb1ES3_N6thrust23THRUST_200600_302600_NS6detail15normal_iteratorINS9_10device_ptrIjEEEESE_j11max_functorIjEjEEDaPvRmT3_T4_T5_mT6_P12ihipStream_tbENKUlT_T0_E_clISt17integral_constantIbLb0EESU_EEDaSP_SQ_EUlSP_E_NS1_11comp_targetILNS1_3genE2ELNS1_11target_archE906ELNS1_3gpuE6ELNS1_3repE0EEENS1_30default_config_static_selectorELNS0_4arch9wavefront6targetE1EEEvT1_, .Lfunc_end2333-_ZN7rocprim17ROCPRIM_400000_NS6detail17trampoline_kernelINS0_14default_configENS1_20scan_config_selectorIjEEZZNS1_9scan_implILNS1_25lookback_scan_determinismE0ELb1ELb1ES3_N6thrust23THRUST_200600_302600_NS6detail15normal_iteratorINS9_10device_ptrIjEEEESE_j11max_functorIjEjEEDaPvRmT3_T4_T5_mT6_P12ihipStream_tbENKUlT_T0_E_clISt17integral_constantIbLb0EESU_EEDaSP_SQ_EUlSP_E_NS1_11comp_targetILNS1_3genE2ELNS1_11target_archE906ELNS1_3gpuE6ELNS1_3repE0EEENS1_30default_config_static_selectorELNS0_4arch9wavefront6targetE1EEEvT1_
                                        ; -- End function
	.section	.AMDGPU.csdata,"",@progbits
; Kernel info:
; codeLenInByte = 0
; NumSgprs: 4
; NumVgprs: 0
; NumAgprs: 0
; TotalNumVgprs: 0
; ScratchSize: 0
; MemoryBound: 0
; FloatMode: 240
; IeeeMode: 1
; LDSByteSize: 0 bytes/workgroup (compile time only)
; SGPRBlocks: 0
; VGPRBlocks: 0
; NumSGPRsForWavesPerEU: 4
; NumVGPRsForWavesPerEU: 1
; AccumOffset: 4
; Occupancy: 8
; WaveLimiterHint : 0
; COMPUTE_PGM_RSRC2:SCRATCH_EN: 0
; COMPUTE_PGM_RSRC2:USER_SGPR: 6
; COMPUTE_PGM_RSRC2:TRAP_HANDLER: 0
; COMPUTE_PGM_RSRC2:TGID_X_EN: 1
; COMPUTE_PGM_RSRC2:TGID_Y_EN: 0
; COMPUTE_PGM_RSRC2:TGID_Z_EN: 0
; COMPUTE_PGM_RSRC2:TIDIG_COMP_CNT: 0
; COMPUTE_PGM_RSRC3_GFX90A:ACCUM_OFFSET: 0
; COMPUTE_PGM_RSRC3_GFX90A:TG_SPLIT: 0
	.section	.text._ZN7rocprim17ROCPRIM_400000_NS6detail17trampoline_kernelINS0_14default_configENS1_20scan_config_selectorIjEEZZNS1_9scan_implILNS1_25lookback_scan_determinismE0ELb1ELb1ES3_N6thrust23THRUST_200600_302600_NS6detail15normal_iteratorINS9_10device_ptrIjEEEESE_j11max_functorIjEjEEDaPvRmT3_T4_T5_mT6_P12ihipStream_tbENKUlT_T0_E_clISt17integral_constantIbLb0EESU_EEDaSP_SQ_EUlSP_E_NS1_11comp_targetILNS1_3genE10ELNS1_11target_archE1201ELNS1_3gpuE5ELNS1_3repE0EEENS1_30default_config_static_selectorELNS0_4arch9wavefront6targetE1EEEvT1_,"axG",@progbits,_ZN7rocprim17ROCPRIM_400000_NS6detail17trampoline_kernelINS0_14default_configENS1_20scan_config_selectorIjEEZZNS1_9scan_implILNS1_25lookback_scan_determinismE0ELb1ELb1ES3_N6thrust23THRUST_200600_302600_NS6detail15normal_iteratorINS9_10device_ptrIjEEEESE_j11max_functorIjEjEEDaPvRmT3_T4_T5_mT6_P12ihipStream_tbENKUlT_T0_E_clISt17integral_constantIbLb0EESU_EEDaSP_SQ_EUlSP_E_NS1_11comp_targetILNS1_3genE10ELNS1_11target_archE1201ELNS1_3gpuE5ELNS1_3repE0EEENS1_30default_config_static_selectorELNS0_4arch9wavefront6targetE1EEEvT1_,comdat
	.protected	_ZN7rocprim17ROCPRIM_400000_NS6detail17trampoline_kernelINS0_14default_configENS1_20scan_config_selectorIjEEZZNS1_9scan_implILNS1_25lookback_scan_determinismE0ELb1ELb1ES3_N6thrust23THRUST_200600_302600_NS6detail15normal_iteratorINS9_10device_ptrIjEEEESE_j11max_functorIjEjEEDaPvRmT3_T4_T5_mT6_P12ihipStream_tbENKUlT_T0_E_clISt17integral_constantIbLb0EESU_EEDaSP_SQ_EUlSP_E_NS1_11comp_targetILNS1_3genE10ELNS1_11target_archE1201ELNS1_3gpuE5ELNS1_3repE0EEENS1_30default_config_static_selectorELNS0_4arch9wavefront6targetE1EEEvT1_ ; -- Begin function _ZN7rocprim17ROCPRIM_400000_NS6detail17trampoline_kernelINS0_14default_configENS1_20scan_config_selectorIjEEZZNS1_9scan_implILNS1_25lookback_scan_determinismE0ELb1ELb1ES3_N6thrust23THRUST_200600_302600_NS6detail15normal_iteratorINS9_10device_ptrIjEEEESE_j11max_functorIjEjEEDaPvRmT3_T4_T5_mT6_P12ihipStream_tbENKUlT_T0_E_clISt17integral_constantIbLb0EESU_EEDaSP_SQ_EUlSP_E_NS1_11comp_targetILNS1_3genE10ELNS1_11target_archE1201ELNS1_3gpuE5ELNS1_3repE0EEENS1_30default_config_static_selectorELNS0_4arch9wavefront6targetE1EEEvT1_
	.globl	_ZN7rocprim17ROCPRIM_400000_NS6detail17trampoline_kernelINS0_14default_configENS1_20scan_config_selectorIjEEZZNS1_9scan_implILNS1_25lookback_scan_determinismE0ELb1ELb1ES3_N6thrust23THRUST_200600_302600_NS6detail15normal_iteratorINS9_10device_ptrIjEEEESE_j11max_functorIjEjEEDaPvRmT3_T4_T5_mT6_P12ihipStream_tbENKUlT_T0_E_clISt17integral_constantIbLb0EESU_EEDaSP_SQ_EUlSP_E_NS1_11comp_targetILNS1_3genE10ELNS1_11target_archE1201ELNS1_3gpuE5ELNS1_3repE0EEENS1_30default_config_static_selectorELNS0_4arch9wavefront6targetE1EEEvT1_
	.p2align	8
	.type	_ZN7rocprim17ROCPRIM_400000_NS6detail17trampoline_kernelINS0_14default_configENS1_20scan_config_selectorIjEEZZNS1_9scan_implILNS1_25lookback_scan_determinismE0ELb1ELb1ES3_N6thrust23THRUST_200600_302600_NS6detail15normal_iteratorINS9_10device_ptrIjEEEESE_j11max_functorIjEjEEDaPvRmT3_T4_T5_mT6_P12ihipStream_tbENKUlT_T0_E_clISt17integral_constantIbLb0EESU_EEDaSP_SQ_EUlSP_E_NS1_11comp_targetILNS1_3genE10ELNS1_11target_archE1201ELNS1_3gpuE5ELNS1_3repE0EEENS1_30default_config_static_selectorELNS0_4arch9wavefront6targetE1EEEvT1_,@function
_ZN7rocprim17ROCPRIM_400000_NS6detail17trampoline_kernelINS0_14default_configENS1_20scan_config_selectorIjEEZZNS1_9scan_implILNS1_25lookback_scan_determinismE0ELb1ELb1ES3_N6thrust23THRUST_200600_302600_NS6detail15normal_iteratorINS9_10device_ptrIjEEEESE_j11max_functorIjEjEEDaPvRmT3_T4_T5_mT6_P12ihipStream_tbENKUlT_T0_E_clISt17integral_constantIbLb0EESU_EEDaSP_SQ_EUlSP_E_NS1_11comp_targetILNS1_3genE10ELNS1_11target_archE1201ELNS1_3gpuE5ELNS1_3repE0EEENS1_30default_config_static_selectorELNS0_4arch9wavefront6targetE1EEEvT1_: ; @_ZN7rocprim17ROCPRIM_400000_NS6detail17trampoline_kernelINS0_14default_configENS1_20scan_config_selectorIjEEZZNS1_9scan_implILNS1_25lookback_scan_determinismE0ELb1ELb1ES3_N6thrust23THRUST_200600_302600_NS6detail15normal_iteratorINS9_10device_ptrIjEEEESE_j11max_functorIjEjEEDaPvRmT3_T4_T5_mT6_P12ihipStream_tbENKUlT_T0_E_clISt17integral_constantIbLb0EESU_EEDaSP_SQ_EUlSP_E_NS1_11comp_targetILNS1_3genE10ELNS1_11target_archE1201ELNS1_3gpuE5ELNS1_3repE0EEENS1_30default_config_static_selectorELNS0_4arch9wavefront6targetE1EEEvT1_
; %bb.0:
	.section	.rodata,"a",@progbits
	.p2align	6, 0x0
	.amdhsa_kernel _ZN7rocprim17ROCPRIM_400000_NS6detail17trampoline_kernelINS0_14default_configENS1_20scan_config_selectorIjEEZZNS1_9scan_implILNS1_25lookback_scan_determinismE0ELb1ELb1ES3_N6thrust23THRUST_200600_302600_NS6detail15normal_iteratorINS9_10device_ptrIjEEEESE_j11max_functorIjEjEEDaPvRmT3_T4_T5_mT6_P12ihipStream_tbENKUlT_T0_E_clISt17integral_constantIbLb0EESU_EEDaSP_SQ_EUlSP_E_NS1_11comp_targetILNS1_3genE10ELNS1_11target_archE1201ELNS1_3gpuE5ELNS1_3repE0EEENS1_30default_config_static_selectorELNS0_4arch9wavefront6targetE1EEEvT1_
		.amdhsa_group_segment_fixed_size 0
		.amdhsa_private_segment_fixed_size 0
		.amdhsa_kernarg_size 96
		.amdhsa_user_sgpr_count 6
		.amdhsa_user_sgpr_private_segment_buffer 1
		.amdhsa_user_sgpr_dispatch_ptr 0
		.amdhsa_user_sgpr_queue_ptr 0
		.amdhsa_user_sgpr_kernarg_segment_ptr 1
		.amdhsa_user_sgpr_dispatch_id 0
		.amdhsa_user_sgpr_flat_scratch_init 0
		.amdhsa_user_sgpr_kernarg_preload_length 0
		.amdhsa_user_sgpr_kernarg_preload_offset 0
		.amdhsa_user_sgpr_private_segment_size 0
		.amdhsa_uses_dynamic_stack 0
		.amdhsa_system_sgpr_private_segment_wavefront_offset 0
		.amdhsa_system_sgpr_workgroup_id_x 1
		.amdhsa_system_sgpr_workgroup_id_y 0
		.amdhsa_system_sgpr_workgroup_id_z 0
		.amdhsa_system_sgpr_workgroup_info 0
		.amdhsa_system_vgpr_workitem_id 0
		.amdhsa_next_free_vgpr 1
		.amdhsa_next_free_sgpr 0
		.amdhsa_accum_offset 4
		.amdhsa_reserve_vcc 0
		.amdhsa_reserve_flat_scratch 0
		.amdhsa_float_round_mode_32 0
		.amdhsa_float_round_mode_16_64 0
		.amdhsa_float_denorm_mode_32 3
		.amdhsa_float_denorm_mode_16_64 3
		.amdhsa_dx10_clamp 1
		.amdhsa_ieee_mode 1
		.amdhsa_fp16_overflow 0
		.amdhsa_tg_split 0
		.amdhsa_exception_fp_ieee_invalid_op 0
		.amdhsa_exception_fp_denorm_src 0
		.amdhsa_exception_fp_ieee_div_zero 0
		.amdhsa_exception_fp_ieee_overflow 0
		.amdhsa_exception_fp_ieee_underflow 0
		.amdhsa_exception_fp_ieee_inexact 0
		.amdhsa_exception_int_div_zero 0
	.end_amdhsa_kernel
	.section	.text._ZN7rocprim17ROCPRIM_400000_NS6detail17trampoline_kernelINS0_14default_configENS1_20scan_config_selectorIjEEZZNS1_9scan_implILNS1_25lookback_scan_determinismE0ELb1ELb1ES3_N6thrust23THRUST_200600_302600_NS6detail15normal_iteratorINS9_10device_ptrIjEEEESE_j11max_functorIjEjEEDaPvRmT3_T4_T5_mT6_P12ihipStream_tbENKUlT_T0_E_clISt17integral_constantIbLb0EESU_EEDaSP_SQ_EUlSP_E_NS1_11comp_targetILNS1_3genE10ELNS1_11target_archE1201ELNS1_3gpuE5ELNS1_3repE0EEENS1_30default_config_static_selectorELNS0_4arch9wavefront6targetE1EEEvT1_,"axG",@progbits,_ZN7rocprim17ROCPRIM_400000_NS6detail17trampoline_kernelINS0_14default_configENS1_20scan_config_selectorIjEEZZNS1_9scan_implILNS1_25lookback_scan_determinismE0ELb1ELb1ES3_N6thrust23THRUST_200600_302600_NS6detail15normal_iteratorINS9_10device_ptrIjEEEESE_j11max_functorIjEjEEDaPvRmT3_T4_T5_mT6_P12ihipStream_tbENKUlT_T0_E_clISt17integral_constantIbLb0EESU_EEDaSP_SQ_EUlSP_E_NS1_11comp_targetILNS1_3genE10ELNS1_11target_archE1201ELNS1_3gpuE5ELNS1_3repE0EEENS1_30default_config_static_selectorELNS0_4arch9wavefront6targetE1EEEvT1_,comdat
.Lfunc_end2334:
	.size	_ZN7rocprim17ROCPRIM_400000_NS6detail17trampoline_kernelINS0_14default_configENS1_20scan_config_selectorIjEEZZNS1_9scan_implILNS1_25lookback_scan_determinismE0ELb1ELb1ES3_N6thrust23THRUST_200600_302600_NS6detail15normal_iteratorINS9_10device_ptrIjEEEESE_j11max_functorIjEjEEDaPvRmT3_T4_T5_mT6_P12ihipStream_tbENKUlT_T0_E_clISt17integral_constantIbLb0EESU_EEDaSP_SQ_EUlSP_E_NS1_11comp_targetILNS1_3genE10ELNS1_11target_archE1201ELNS1_3gpuE5ELNS1_3repE0EEENS1_30default_config_static_selectorELNS0_4arch9wavefront6targetE1EEEvT1_, .Lfunc_end2334-_ZN7rocprim17ROCPRIM_400000_NS6detail17trampoline_kernelINS0_14default_configENS1_20scan_config_selectorIjEEZZNS1_9scan_implILNS1_25lookback_scan_determinismE0ELb1ELb1ES3_N6thrust23THRUST_200600_302600_NS6detail15normal_iteratorINS9_10device_ptrIjEEEESE_j11max_functorIjEjEEDaPvRmT3_T4_T5_mT6_P12ihipStream_tbENKUlT_T0_E_clISt17integral_constantIbLb0EESU_EEDaSP_SQ_EUlSP_E_NS1_11comp_targetILNS1_3genE10ELNS1_11target_archE1201ELNS1_3gpuE5ELNS1_3repE0EEENS1_30default_config_static_selectorELNS0_4arch9wavefront6targetE1EEEvT1_
                                        ; -- End function
	.section	.AMDGPU.csdata,"",@progbits
; Kernel info:
; codeLenInByte = 0
; NumSgprs: 4
; NumVgprs: 0
; NumAgprs: 0
; TotalNumVgprs: 0
; ScratchSize: 0
; MemoryBound: 0
; FloatMode: 240
; IeeeMode: 1
; LDSByteSize: 0 bytes/workgroup (compile time only)
; SGPRBlocks: 0
; VGPRBlocks: 0
; NumSGPRsForWavesPerEU: 4
; NumVGPRsForWavesPerEU: 1
; AccumOffset: 4
; Occupancy: 8
; WaveLimiterHint : 0
; COMPUTE_PGM_RSRC2:SCRATCH_EN: 0
; COMPUTE_PGM_RSRC2:USER_SGPR: 6
; COMPUTE_PGM_RSRC2:TRAP_HANDLER: 0
; COMPUTE_PGM_RSRC2:TGID_X_EN: 1
; COMPUTE_PGM_RSRC2:TGID_Y_EN: 0
; COMPUTE_PGM_RSRC2:TGID_Z_EN: 0
; COMPUTE_PGM_RSRC2:TIDIG_COMP_CNT: 0
; COMPUTE_PGM_RSRC3_GFX90A:ACCUM_OFFSET: 0
; COMPUTE_PGM_RSRC3_GFX90A:TG_SPLIT: 0
	.section	.text._ZN7rocprim17ROCPRIM_400000_NS6detail17trampoline_kernelINS0_14default_configENS1_20scan_config_selectorIjEEZZNS1_9scan_implILNS1_25lookback_scan_determinismE0ELb1ELb1ES3_N6thrust23THRUST_200600_302600_NS6detail15normal_iteratorINS9_10device_ptrIjEEEESE_j11max_functorIjEjEEDaPvRmT3_T4_T5_mT6_P12ihipStream_tbENKUlT_T0_E_clISt17integral_constantIbLb0EESU_EEDaSP_SQ_EUlSP_E_NS1_11comp_targetILNS1_3genE10ELNS1_11target_archE1200ELNS1_3gpuE4ELNS1_3repE0EEENS1_30default_config_static_selectorELNS0_4arch9wavefront6targetE1EEEvT1_,"axG",@progbits,_ZN7rocprim17ROCPRIM_400000_NS6detail17trampoline_kernelINS0_14default_configENS1_20scan_config_selectorIjEEZZNS1_9scan_implILNS1_25lookback_scan_determinismE0ELb1ELb1ES3_N6thrust23THRUST_200600_302600_NS6detail15normal_iteratorINS9_10device_ptrIjEEEESE_j11max_functorIjEjEEDaPvRmT3_T4_T5_mT6_P12ihipStream_tbENKUlT_T0_E_clISt17integral_constantIbLb0EESU_EEDaSP_SQ_EUlSP_E_NS1_11comp_targetILNS1_3genE10ELNS1_11target_archE1200ELNS1_3gpuE4ELNS1_3repE0EEENS1_30default_config_static_selectorELNS0_4arch9wavefront6targetE1EEEvT1_,comdat
	.protected	_ZN7rocprim17ROCPRIM_400000_NS6detail17trampoline_kernelINS0_14default_configENS1_20scan_config_selectorIjEEZZNS1_9scan_implILNS1_25lookback_scan_determinismE0ELb1ELb1ES3_N6thrust23THRUST_200600_302600_NS6detail15normal_iteratorINS9_10device_ptrIjEEEESE_j11max_functorIjEjEEDaPvRmT3_T4_T5_mT6_P12ihipStream_tbENKUlT_T0_E_clISt17integral_constantIbLb0EESU_EEDaSP_SQ_EUlSP_E_NS1_11comp_targetILNS1_3genE10ELNS1_11target_archE1200ELNS1_3gpuE4ELNS1_3repE0EEENS1_30default_config_static_selectorELNS0_4arch9wavefront6targetE1EEEvT1_ ; -- Begin function _ZN7rocprim17ROCPRIM_400000_NS6detail17trampoline_kernelINS0_14default_configENS1_20scan_config_selectorIjEEZZNS1_9scan_implILNS1_25lookback_scan_determinismE0ELb1ELb1ES3_N6thrust23THRUST_200600_302600_NS6detail15normal_iteratorINS9_10device_ptrIjEEEESE_j11max_functorIjEjEEDaPvRmT3_T4_T5_mT6_P12ihipStream_tbENKUlT_T0_E_clISt17integral_constantIbLb0EESU_EEDaSP_SQ_EUlSP_E_NS1_11comp_targetILNS1_3genE10ELNS1_11target_archE1200ELNS1_3gpuE4ELNS1_3repE0EEENS1_30default_config_static_selectorELNS0_4arch9wavefront6targetE1EEEvT1_
	.globl	_ZN7rocprim17ROCPRIM_400000_NS6detail17trampoline_kernelINS0_14default_configENS1_20scan_config_selectorIjEEZZNS1_9scan_implILNS1_25lookback_scan_determinismE0ELb1ELb1ES3_N6thrust23THRUST_200600_302600_NS6detail15normal_iteratorINS9_10device_ptrIjEEEESE_j11max_functorIjEjEEDaPvRmT3_T4_T5_mT6_P12ihipStream_tbENKUlT_T0_E_clISt17integral_constantIbLb0EESU_EEDaSP_SQ_EUlSP_E_NS1_11comp_targetILNS1_3genE10ELNS1_11target_archE1200ELNS1_3gpuE4ELNS1_3repE0EEENS1_30default_config_static_selectorELNS0_4arch9wavefront6targetE1EEEvT1_
	.p2align	8
	.type	_ZN7rocprim17ROCPRIM_400000_NS6detail17trampoline_kernelINS0_14default_configENS1_20scan_config_selectorIjEEZZNS1_9scan_implILNS1_25lookback_scan_determinismE0ELb1ELb1ES3_N6thrust23THRUST_200600_302600_NS6detail15normal_iteratorINS9_10device_ptrIjEEEESE_j11max_functorIjEjEEDaPvRmT3_T4_T5_mT6_P12ihipStream_tbENKUlT_T0_E_clISt17integral_constantIbLb0EESU_EEDaSP_SQ_EUlSP_E_NS1_11comp_targetILNS1_3genE10ELNS1_11target_archE1200ELNS1_3gpuE4ELNS1_3repE0EEENS1_30default_config_static_selectorELNS0_4arch9wavefront6targetE1EEEvT1_,@function
_ZN7rocprim17ROCPRIM_400000_NS6detail17trampoline_kernelINS0_14default_configENS1_20scan_config_selectorIjEEZZNS1_9scan_implILNS1_25lookback_scan_determinismE0ELb1ELb1ES3_N6thrust23THRUST_200600_302600_NS6detail15normal_iteratorINS9_10device_ptrIjEEEESE_j11max_functorIjEjEEDaPvRmT3_T4_T5_mT6_P12ihipStream_tbENKUlT_T0_E_clISt17integral_constantIbLb0EESU_EEDaSP_SQ_EUlSP_E_NS1_11comp_targetILNS1_3genE10ELNS1_11target_archE1200ELNS1_3gpuE4ELNS1_3repE0EEENS1_30default_config_static_selectorELNS0_4arch9wavefront6targetE1EEEvT1_: ; @_ZN7rocprim17ROCPRIM_400000_NS6detail17trampoline_kernelINS0_14default_configENS1_20scan_config_selectorIjEEZZNS1_9scan_implILNS1_25lookback_scan_determinismE0ELb1ELb1ES3_N6thrust23THRUST_200600_302600_NS6detail15normal_iteratorINS9_10device_ptrIjEEEESE_j11max_functorIjEjEEDaPvRmT3_T4_T5_mT6_P12ihipStream_tbENKUlT_T0_E_clISt17integral_constantIbLb0EESU_EEDaSP_SQ_EUlSP_E_NS1_11comp_targetILNS1_3genE10ELNS1_11target_archE1200ELNS1_3gpuE4ELNS1_3repE0EEENS1_30default_config_static_selectorELNS0_4arch9wavefront6targetE1EEEvT1_
; %bb.0:
	.section	.rodata,"a",@progbits
	.p2align	6, 0x0
	.amdhsa_kernel _ZN7rocprim17ROCPRIM_400000_NS6detail17trampoline_kernelINS0_14default_configENS1_20scan_config_selectorIjEEZZNS1_9scan_implILNS1_25lookback_scan_determinismE0ELb1ELb1ES3_N6thrust23THRUST_200600_302600_NS6detail15normal_iteratorINS9_10device_ptrIjEEEESE_j11max_functorIjEjEEDaPvRmT3_T4_T5_mT6_P12ihipStream_tbENKUlT_T0_E_clISt17integral_constantIbLb0EESU_EEDaSP_SQ_EUlSP_E_NS1_11comp_targetILNS1_3genE10ELNS1_11target_archE1200ELNS1_3gpuE4ELNS1_3repE0EEENS1_30default_config_static_selectorELNS0_4arch9wavefront6targetE1EEEvT1_
		.amdhsa_group_segment_fixed_size 0
		.amdhsa_private_segment_fixed_size 0
		.amdhsa_kernarg_size 96
		.amdhsa_user_sgpr_count 6
		.amdhsa_user_sgpr_private_segment_buffer 1
		.amdhsa_user_sgpr_dispatch_ptr 0
		.amdhsa_user_sgpr_queue_ptr 0
		.amdhsa_user_sgpr_kernarg_segment_ptr 1
		.amdhsa_user_sgpr_dispatch_id 0
		.amdhsa_user_sgpr_flat_scratch_init 0
		.amdhsa_user_sgpr_kernarg_preload_length 0
		.amdhsa_user_sgpr_kernarg_preload_offset 0
		.amdhsa_user_sgpr_private_segment_size 0
		.amdhsa_uses_dynamic_stack 0
		.amdhsa_system_sgpr_private_segment_wavefront_offset 0
		.amdhsa_system_sgpr_workgroup_id_x 1
		.amdhsa_system_sgpr_workgroup_id_y 0
		.amdhsa_system_sgpr_workgroup_id_z 0
		.amdhsa_system_sgpr_workgroup_info 0
		.amdhsa_system_vgpr_workitem_id 0
		.amdhsa_next_free_vgpr 1
		.amdhsa_next_free_sgpr 0
		.amdhsa_accum_offset 4
		.amdhsa_reserve_vcc 0
		.amdhsa_reserve_flat_scratch 0
		.amdhsa_float_round_mode_32 0
		.amdhsa_float_round_mode_16_64 0
		.amdhsa_float_denorm_mode_32 3
		.amdhsa_float_denorm_mode_16_64 3
		.amdhsa_dx10_clamp 1
		.amdhsa_ieee_mode 1
		.amdhsa_fp16_overflow 0
		.amdhsa_tg_split 0
		.amdhsa_exception_fp_ieee_invalid_op 0
		.amdhsa_exception_fp_denorm_src 0
		.amdhsa_exception_fp_ieee_div_zero 0
		.amdhsa_exception_fp_ieee_overflow 0
		.amdhsa_exception_fp_ieee_underflow 0
		.amdhsa_exception_fp_ieee_inexact 0
		.amdhsa_exception_int_div_zero 0
	.end_amdhsa_kernel
	.section	.text._ZN7rocprim17ROCPRIM_400000_NS6detail17trampoline_kernelINS0_14default_configENS1_20scan_config_selectorIjEEZZNS1_9scan_implILNS1_25lookback_scan_determinismE0ELb1ELb1ES3_N6thrust23THRUST_200600_302600_NS6detail15normal_iteratorINS9_10device_ptrIjEEEESE_j11max_functorIjEjEEDaPvRmT3_T4_T5_mT6_P12ihipStream_tbENKUlT_T0_E_clISt17integral_constantIbLb0EESU_EEDaSP_SQ_EUlSP_E_NS1_11comp_targetILNS1_3genE10ELNS1_11target_archE1200ELNS1_3gpuE4ELNS1_3repE0EEENS1_30default_config_static_selectorELNS0_4arch9wavefront6targetE1EEEvT1_,"axG",@progbits,_ZN7rocprim17ROCPRIM_400000_NS6detail17trampoline_kernelINS0_14default_configENS1_20scan_config_selectorIjEEZZNS1_9scan_implILNS1_25lookback_scan_determinismE0ELb1ELb1ES3_N6thrust23THRUST_200600_302600_NS6detail15normal_iteratorINS9_10device_ptrIjEEEESE_j11max_functorIjEjEEDaPvRmT3_T4_T5_mT6_P12ihipStream_tbENKUlT_T0_E_clISt17integral_constantIbLb0EESU_EEDaSP_SQ_EUlSP_E_NS1_11comp_targetILNS1_3genE10ELNS1_11target_archE1200ELNS1_3gpuE4ELNS1_3repE0EEENS1_30default_config_static_selectorELNS0_4arch9wavefront6targetE1EEEvT1_,comdat
.Lfunc_end2335:
	.size	_ZN7rocprim17ROCPRIM_400000_NS6detail17trampoline_kernelINS0_14default_configENS1_20scan_config_selectorIjEEZZNS1_9scan_implILNS1_25lookback_scan_determinismE0ELb1ELb1ES3_N6thrust23THRUST_200600_302600_NS6detail15normal_iteratorINS9_10device_ptrIjEEEESE_j11max_functorIjEjEEDaPvRmT3_T4_T5_mT6_P12ihipStream_tbENKUlT_T0_E_clISt17integral_constantIbLb0EESU_EEDaSP_SQ_EUlSP_E_NS1_11comp_targetILNS1_3genE10ELNS1_11target_archE1200ELNS1_3gpuE4ELNS1_3repE0EEENS1_30default_config_static_selectorELNS0_4arch9wavefront6targetE1EEEvT1_, .Lfunc_end2335-_ZN7rocprim17ROCPRIM_400000_NS6detail17trampoline_kernelINS0_14default_configENS1_20scan_config_selectorIjEEZZNS1_9scan_implILNS1_25lookback_scan_determinismE0ELb1ELb1ES3_N6thrust23THRUST_200600_302600_NS6detail15normal_iteratorINS9_10device_ptrIjEEEESE_j11max_functorIjEjEEDaPvRmT3_T4_T5_mT6_P12ihipStream_tbENKUlT_T0_E_clISt17integral_constantIbLb0EESU_EEDaSP_SQ_EUlSP_E_NS1_11comp_targetILNS1_3genE10ELNS1_11target_archE1200ELNS1_3gpuE4ELNS1_3repE0EEENS1_30default_config_static_selectorELNS0_4arch9wavefront6targetE1EEEvT1_
                                        ; -- End function
	.section	.AMDGPU.csdata,"",@progbits
; Kernel info:
; codeLenInByte = 0
; NumSgprs: 4
; NumVgprs: 0
; NumAgprs: 0
; TotalNumVgprs: 0
; ScratchSize: 0
; MemoryBound: 0
; FloatMode: 240
; IeeeMode: 1
; LDSByteSize: 0 bytes/workgroup (compile time only)
; SGPRBlocks: 0
; VGPRBlocks: 0
; NumSGPRsForWavesPerEU: 4
; NumVGPRsForWavesPerEU: 1
; AccumOffset: 4
; Occupancy: 8
; WaveLimiterHint : 0
; COMPUTE_PGM_RSRC2:SCRATCH_EN: 0
; COMPUTE_PGM_RSRC2:USER_SGPR: 6
; COMPUTE_PGM_RSRC2:TRAP_HANDLER: 0
; COMPUTE_PGM_RSRC2:TGID_X_EN: 1
; COMPUTE_PGM_RSRC2:TGID_Y_EN: 0
; COMPUTE_PGM_RSRC2:TGID_Z_EN: 0
; COMPUTE_PGM_RSRC2:TIDIG_COMP_CNT: 0
; COMPUTE_PGM_RSRC3_GFX90A:ACCUM_OFFSET: 0
; COMPUTE_PGM_RSRC3_GFX90A:TG_SPLIT: 0
	.section	.text._ZN7rocprim17ROCPRIM_400000_NS6detail17trampoline_kernelINS0_14default_configENS1_20scan_config_selectorIjEEZZNS1_9scan_implILNS1_25lookback_scan_determinismE0ELb1ELb1ES3_N6thrust23THRUST_200600_302600_NS6detail15normal_iteratorINS9_10device_ptrIjEEEESE_j11max_functorIjEjEEDaPvRmT3_T4_T5_mT6_P12ihipStream_tbENKUlT_T0_E_clISt17integral_constantIbLb0EESU_EEDaSP_SQ_EUlSP_E_NS1_11comp_targetILNS1_3genE9ELNS1_11target_archE1100ELNS1_3gpuE3ELNS1_3repE0EEENS1_30default_config_static_selectorELNS0_4arch9wavefront6targetE1EEEvT1_,"axG",@progbits,_ZN7rocprim17ROCPRIM_400000_NS6detail17trampoline_kernelINS0_14default_configENS1_20scan_config_selectorIjEEZZNS1_9scan_implILNS1_25lookback_scan_determinismE0ELb1ELb1ES3_N6thrust23THRUST_200600_302600_NS6detail15normal_iteratorINS9_10device_ptrIjEEEESE_j11max_functorIjEjEEDaPvRmT3_T4_T5_mT6_P12ihipStream_tbENKUlT_T0_E_clISt17integral_constantIbLb0EESU_EEDaSP_SQ_EUlSP_E_NS1_11comp_targetILNS1_3genE9ELNS1_11target_archE1100ELNS1_3gpuE3ELNS1_3repE0EEENS1_30default_config_static_selectorELNS0_4arch9wavefront6targetE1EEEvT1_,comdat
	.protected	_ZN7rocprim17ROCPRIM_400000_NS6detail17trampoline_kernelINS0_14default_configENS1_20scan_config_selectorIjEEZZNS1_9scan_implILNS1_25lookback_scan_determinismE0ELb1ELb1ES3_N6thrust23THRUST_200600_302600_NS6detail15normal_iteratorINS9_10device_ptrIjEEEESE_j11max_functorIjEjEEDaPvRmT3_T4_T5_mT6_P12ihipStream_tbENKUlT_T0_E_clISt17integral_constantIbLb0EESU_EEDaSP_SQ_EUlSP_E_NS1_11comp_targetILNS1_3genE9ELNS1_11target_archE1100ELNS1_3gpuE3ELNS1_3repE0EEENS1_30default_config_static_selectorELNS0_4arch9wavefront6targetE1EEEvT1_ ; -- Begin function _ZN7rocprim17ROCPRIM_400000_NS6detail17trampoline_kernelINS0_14default_configENS1_20scan_config_selectorIjEEZZNS1_9scan_implILNS1_25lookback_scan_determinismE0ELb1ELb1ES3_N6thrust23THRUST_200600_302600_NS6detail15normal_iteratorINS9_10device_ptrIjEEEESE_j11max_functorIjEjEEDaPvRmT3_T4_T5_mT6_P12ihipStream_tbENKUlT_T0_E_clISt17integral_constantIbLb0EESU_EEDaSP_SQ_EUlSP_E_NS1_11comp_targetILNS1_3genE9ELNS1_11target_archE1100ELNS1_3gpuE3ELNS1_3repE0EEENS1_30default_config_static_selectorELNS0_4arch9wavefront6targetE1EEEvT1_
	.globl	_ZN7rocprim17ROCPRIM_400000_NS6detail17trampoline_kernelINS0_14default_configENS1_20scan_config_selectorIjEEZZNS1_9scan_implILNS1_25lookback_scan_determinismE0ELb1ELb1ES3_N6thrust23THRUST_200600_302600_NS6detail15normal_iteratorINS9_10device_ptrIjEEEESE_j11max_functorIjEjEEDaPvRmT3_T4_T5_mT6_P12ihipStream_tbENKUlT_T0_E_clISt17integral_constantIbLb0EESU_EEDaSP_SQ_EUlSP_E_NS1_11comp_targetILNS1_3genE9ELNS1_11target_archE1100ELNS1_3gpuE3ELNS1_3repE0EEENS1_30default_config_static_selectorELNS0_4arch9wavefront6targetE1EEEvT1_
	.p2align	8
	.type	_ZN7rocprim17ROCPRIM_400000_NS6detail17trampoline_kernelINS0_14default_configENS1_20scan_config_selectorIjEEZZNS1_9scan_implILNS1_25lookback_scan_determinismE0ELb1ELb1ES3_N6thrust23THRUST_200600_302600_NS6detail15normal_iteratorINS9_10device_ptrIjEEEESE_j11max_functorIjEjEEDaPvRmT3_T4_T5_mT6_P12ihipStream_tbENKUlT_T0_E_clISt17integral_constantIbLb0EESU_EEDaSP_SQ_EUlSP_E_NS1_11comp_targetILNS1_3genE9ELNS1_11target_archE1100ELNS1_3gpuE3ELNS1_3repE0EEENS1_30default_config_static_selectorELNS0_4arch9wavefront6targetE1EEEvT1_,@function
_ZN7rocprim17ROCPRIM_400000_NS6detail17trampoline_kernelINS0_14default_configENS1_20scan_config_selectorIjEEZZNS1_9scan_implILNS1_25lookback_scan_determinismE0ELb1ELb1ES3_N6thrust23THRUST_200600_302600_NS6detail15normal_iteratorINS9_10device_ptrIjEEEESE_j11max_functorIjEjEEDaPvRmT3_T4_T5_mT6_P12ihipStream_tbENKUlT_T0_E_clISt17integral_constantIbLb0EESU_EEDaSP_SQ_EUlSP_E_NS1_11comp_targetILNS1_3genE9ELNS1_11target_archE1100ELNS1_3gpuE3ELNS1_3repE0EEENS1_30default_config_static_selectorELNS0_4arch9wavefront6targetE1EEEvT1_: ; @_ZN7rocprim17ROCPRIM_400000_NS6detail17trampoline_kernelINS0_14default_configENS1_20scan_config_selectorIjEEZZNS1_9scan_implILNS1_25lookback_scan_determinismE0ELb1ELb1ES3_N6thrust23THRUST_200600_302600_NS6detail15normal_iteratorINS9_10device_ptrIjEEEESE_j11max_functorIjEjEEDaPvRmT3_T4_T5_mT6_P12ihipStream_tbENKUlT_T0_E_clISt17integral_constantIbLb0EESU_EEDaSP_SQ_EUlSP_E_NS1_11comp_targetILNS1_3genE9ELNS1_11target_archE1100ELNS1_3gpuE3ELNS1_3repE0EEENS1_30default_config_static_selectorELNS0_4arch9wavefront6targetE1EEEvT1_
; %bb.0:
	.section	.rodata,"a",@progbits
	.p2align	6, 0x0
	.amdhsa_kernel _ZN7rocprim17ROCPRIM_400000_NS6detail17trampoline_kernelINS0_14default_configENS1_20scan_config_selectorIjEEZZNS1_9scan_implILNS1_25lookback_scan_determinismE0ELb1ELb1ES3_N6thrust23THRUST_200600_302600_NS6detail15normal_iteratorINS9_10device_ptrIjEEEESE_j11max_functorIjEjEEDaPvRmT3_T4_T5_mT6_P12ihipStream_tbENKUlT_T0_E_clISt17integral_constantIbLb0EESU_EEDaSP_SQ_EUlSP_E_NS1_11comp_targetILNS1_3genE9ELNS1_11target_archE1100ELNS1_3gpuE3ELNS1_3repE0EEENS1_30default_config_static_selectorELNS0_4arch9wavefront6targetE1EEEvT1_
		.amdhsa_group_segment_fixed_size 0
		.amdhsa_private_segment_fixed_size 0
		.amdhsa_kernarg_size 96
		.amdhsa_user_sgpr_count 6
		.amdhsa_user_sgpr_private_segment_buffer 1
		.amdhsa_user_sgpr_dispatch_ptr 0
		.amdhsa_user_sgpr_queue_ptr 0
		.amdhsa_user_sgpr_kernarg_segment_ptr 1
		.amdhsa_user_sgpr_dispatch_id 0
		.amdhsa_user_sgpr_flat_scratch_init 0
		.amdhsa_user_sgpr_kernarg_preload_length 0
		.amdhsa_user_sgpr_kernarg_preload_offset 0
		.amdhsa_user_sgpr_private_segment_size 0
		.amdhsa_uses_dynamic_stack 0
		.amdhsa_system_sgpr_private_segment_wavefront_offset 0
		.amdhsa_system_sgpr_workgroup_id_x 1
		.amdhsa_system_sgpr_workgroup_id_y 0
		.amdhsa_system_sgpr_workgroup_id_z 0
		.amdhsa_system_sgpr_workgroup_info 0
		.amdhsa_system_vgpr_workitem_id 0
		.amdhsa_next_free_vgpr 1
		.amdhsa_next_free_sgpr 0
		.amdhsa_accum_offset 4
		.amdhsa_reserve_vcc 0
		.amdhsa_reserve_flat_scratch 0
		.amdhsa_float_round_mode_32 0
		.amdhsa_float_round_mode_16_64 0
		.amdhsa_float_denorm_mode_32 3
		.amdhsa_float_denorm_mode_16_64 3
		.amdhsa_dx10_clamp 1
		.amdhsa_ieee_mode 1
		.amdhsa_fp16_overflow 0
		.amdhsa_tg_split 0
		.amdhsa_exception_fp_ieee_invalid_op 0
		.amdhsa_exception_fp_denorm_src 0
		.amdhsa_exception_fp_ieee_div_zero 0
		.amdhsa_exception_fp_ieee_overflow 0
		.amdhsa_exception_fp_ieee_underflow 0
		.amdhsa_exception_fp_ieee_inexact 0
		.amdhsa_exception_int_div_zero 0
	.end_amdhsa_kernel
	.section	.text._ZN7rocprim17ROCPRIM_400000_NS6detail17trampoline_kernelINS0_14default_configENS1_20scan_config_selectorIjEEZZNS1_9scan_implILNS1_25lookback_scan_determinismE0ELb1ELb1ES3_N6thrust23THRUST_200600_302600_NS6detail15normal_iteratorINS9_10device_ptrIjEEEESE_j11max_functorIjEjEEDaPvRmT3_T4_T5_mT6_P12ihipStream_tbENKUlT_T0_E_clISt17integral_constantIbLb0EESU_EEDaSP_SQ_EUlSP_E_NS1_11comp_targetILNS1_3genE9ELNS1_11target_archE1100ELNS1_3gpuE3ELNS1_3repE0EEENS1_30default_config_static_selectorELNS0_4arch9wavefront6targetE1EEEvT1_,"axG",@progbits,_ZN7rocprim17ROCPRIM_400000_NS6detail17trampoline_kernelINS0_14default_configENS1_20scan_config_selectorIjEEZZNS1_9scan_implILNS1_25lookback_scan_determinismE0ELb1ELb1ES3_N6thrust23THRUST_200600_302600_NS6detail15normal_iteratorINS9_10device_ptrIjEEEESE_j11max_functorIjEjEEDaPvRmT3_T4_T5_mT6_P12ihipStream_tbENKUlT_T0_E_clISt17integral_constantIbLb0EESU_EEDaSP_SQ_EUlSP_E_NS1_11comp_targetILNS1_3genE9ELNS1_11target_archE1100ELNS1_3gpuE3ELNS1_3repE0EEENS1_30default_config_static_selectorELNS0_4arch9wavefront6targetE1EEEvT1_,comdat
.Lfunc_end2336:
	.size	_ZN7rocprim17ROCPRIM_400000_NS6detail17trampoline_kernelINS0_14default_configENS1_20scan_config_selectorIjEEZZNS1_9scan_implILNS1_25lookback_scan_determinismE0ELb1ELb1ES3_N6thrust23THRUST_200600_302600_NS6detail15normal_iteratorINS9_10device_ptrIjEEEESE_j11max_functorIjEjEEDaPvRmT3_T4_T5_mT6_P12ihipStream_tbENKUlT_T0_E_clISt17integral_constantIbLb0EESU_EEDaSP_SQ_EUlSP_E_NS1_11comp_targetILNS1_3genE9ELNS1_11target_archE1100ELNS1_3gpuE3ELNS1_3repE0EEENS1_30default_config_static_selectorELNS0_4arch9wavefront6targetE1EEEvT1_, .Lfunc_end2336-_ZN7rocprim17ROCPRIM_400000_NS6detail17trampoline_kernelINS0_14default_configENS1_20scan_config_selectorIjEEZZNS1_9scan_implILNS1_25lookback_scan_determinismE0ELb1ELb1ES3_N6thrust23THRUST_200600_302600_NS6detail15normal_iteratorINS9_10device_ptrIjEEEESE_j11max_functorIjEjEEDaPvRmT3_T4_T5_mT6_P12ihipStream_tbENKUlT_T0_E_clISt17integral_constantIbLb0EESU_EEDaSP_SQ_EUlSP_E_NS1_11comp_targetILNS1_3genE9ELNS1_11target_archE1100ELNS1_3gpuE3ELNS1_3repE0EEENS1_30default_config_static_selectorELNS0_4arch9wavefront6targetE1EEEvT1_
                                        ; -- End function
	.section	.AMDGPU.csdata,"",@progbits
; Kernel info:
; codeLenInByte = 0
; NumSgprs: 4
; NumVgprs: 0
; NumAgprs: 0
; TotalNumVgprs: 0
; ScratchSize: 0
; MemoryBound: 0
; FloatMode: 240
; IeeeMode: 1
; LDSByteSize: 0 bytes/workgroup (compile time only)
; SGPRBlocks: 0
; VGPRBlocks: 0
; NumSGPRsForWavesPerEU: 4
; NumVGPRsForWavesPerEU: 1
; AccumOffset: 4
; Occupancy: 8
; WaveLimiterHint : 0
; COMPUTE_PGM_RSRC2:SCRATCH_EN: 0
; COMPUTE_PGM_RSRC2:USER_SGPR: 6
; COMPUTE_PGM_RSRC2:TRAP_HANDLER: 0
; COMPUTE_PGM_RSRC2:TGID_X_EN: 1
; COMPUTE_PGM_RSRC2:TGID_Y_EN: 0
; COMPUTE_PGM_RSRC2:TGID_Z_EN: 0
; COMPUTE_PGM_RSRC2:TIDIG_COMP_CNT: 0
; COMPUTE_PGM_RSRC3_GFX90A:ACCUM_OFFSET: 0
; COMPUTE_PGM_RSRC3_GFX90A:TG_SPLIT: 0
	.section	.text._ZN7rocprim17ROCPRIM_400000_NS6detail17trampoline_kernelINS0_14default_configENS1_20scan_config_selectorIjEEZZNS1_9scan_implILNS1_25lookback_scan_determinismE0ELb1ELb1ES3_N6thrust23THRUST_200600_302600_NS6detail15normal_iteratorINS9_10device_ptrIjEEEESE_j11max_functorIjEjEEDaPvRmT3_T4_T5_mT6_P12ihipStream_tbENKUlT_T0_E_clISt17integral_constantIbLb0EESU_EEDaSP_SQ_EUlSP_E_NS1_11comp_targetILNS1_3genE8ELNS1_11target_archE1030ELNS1_3gpuE2ELNS1_3repE0EEENS1_30default_config_static_selectorELNS0_4arch9wavefront6targetE1EEEvT1_,"axG",@progbits,_ZN7rocprim17ROCPRIM_400000_NS6detail17trampoline_kernelINS0_14default_configENS1_20scan_config_selectorIjEEZZNS1_9scan_implILNS1_25lookback_scan_determinismE0ELb1ELb1ES3_N6thrust23THRUST_200600_302600_NS6detail15normal_iteratorINS9_10device_ptrIjEEEESE_j11max_functorIjEjEEDaPvRmT3_T4_T5_mT6_P12ihipStream_tbENKUlT_T0_E_clISt17integral_constantIbLb0EESU_EEDaSP_SQ_EUlSP_E_NS1_11comp_targetILNS1_3genE8ELNS1_11target_archE1030ELNS1_3gpuE2ELNS1_3repE0EEENS1_30default_config_static_selectorELNS0_4arch9wavefront6targetE1EEEvT1_,comdat
	.protected	_ZN7rocprim17ROCPRIM_400000_NS6detail17trampoline_kernelINS0_14default_configENS1_20scan_config_selectorIjEEZZNS1_9scan_implILNS1_25lookback_scan_determinismE0ELb1ELb1ES3_N6thrust23THRUST_200600_302600_NS6detail15normal_iteratorINS9_10device_ptrIjEEEESE_j11max_functorIjEjEEDaPvRmT3_T4_T5_mT6_P12ihipStream_tbENKUlT_T0_E_clISt17integral_constantIbLb0EESU_EEDaSP_SQ_EUlSP_E_NS1_11comp_targetILNS1_3genE8ELNS1_11target_archE1030ELNS1_3gpuE2ELNS1_3repE0EEENS1_30default_config_static_selectorELNS0_4arch9wavefront6targetE1EEEvT1_ ; -- Begin function _ZN7rocprim17ROCPRIM_400000_NS6detail17trampoline_kernelINS0_14default_configENS1_20scan_config_selectorIjEEZZNS1_9scan_implILNS1_25lookback_scan_determinismE0ELb1ELb1ES3_N6thrust23THRUST_200600_302600_NS6detail15normal_iteratorINS9_10device_ptrIjEEEESE_j11max_functorIjEjEEDaPvRmT3_T4_T5_mT6_P12ihipStream_tbENKUlT_T0_E_clISt17integral_constantIbLb0EESU_EEDaSP_SQ_EUlSP_E_NS1_11comp_targetILNS1_3genE8ELNS1_11target_archE1030ELNS1_3gpuE2ELNS1_3repE0EEENS1_30default_config_static_selectorELNS0_4arch9wavefront6targetE1EEEvT1_
	.globl	_ZN7rocprim17ROCPRIM_400000_NS6detail17trampoline_kernelINS0_14default_configENS1_20scan_config_selectorIjEEZZNS1_9scan_implILNS1_25lookback_scan_determinismE0ELb1ELb1ES3_N6thrust23THRUST_200600_302600_NS6detail15normal_iteratorINS9_10device_ptrIjEEEESE_j11max_functorIjEjEEDaPvRmT3_T4_T5_mT6_P12ihipStream_tbENKUlT_T0_E_clISt17integral_constantIbLb0EESU_EEDaSP_SQ_EUlSP_E_NS1_11comp_targetILNS1_3genE8ELNS1_11target_archE1030ELNS1_3gpuE2ELNS1_3repE0EEENS1_30default_config_static_selectorELNS0_4arch9wavefront6targetE1EEEvT1_
	.p2align	8
	.type	_ZN7rocprim17ROCPRIM_400000_NS6detail17trampoline_kernelINS0_14default_configENS1_20scan_config_selectorIjEEZZNS1_9scan_implILNS1_25lookback_scan_determinismE0ELb1ELb1ES3_N6thrust23THRUST_200600_302600_NS6detail15normal_iteratorINS9_10device_ptrIjEEEESE_j11max_functorIjEjEEDaPvRmT3_T4_T5_mT6_P12ihipStream_tbENKUlT_T0_E_clISt17integral_constantIbLb0EESU_EEDaSP_SQ_EUlSP_E_NS1_11comp_targetILNS1_3genE8ELNS1_11target_archE1030ELNS1_3gpuE2ELNS1_3repE0EEENS1_30default_config_static_selectorELNS0_4arch9wavefront6targetE1EEEvT1_,@function
_ZN7rocprim17ROCPRIM_400000_NS6detail17trampoline_kernelINS0_14default_configENS1_20scan_config_selectorIjEEZZNS1_9scan_implILNS1_25lookback_scan_determinismE0ELb1ELb1ES3_N6thrust23THRUST_200600_302600_NS6detail15normal_iteratorINS9_10device_ptrIjEEEESE_j11max_functorIjEjEEDaPvRmT3_T4_T5_mT6_P12ihipStream_tbENKUlT_T0_E_clISt17integral_constantIbLb0EESU_EEDaSP_SQ_EUlSP_E_NS1_11comp_targetILNS1_3genE8ELNS1_11target_archE1030ELNS1_3gpuE2ELNS1_3repE0EEENS1_30default_config_static_selectorELNS0_4arch9wavefront6targetE1EEEvT1_: ; @_ZN7rocprim17ROCPRIM_400000_NS6detail17trampoline_kernelINS0_14default_configENS1_20scan_config_selectorIjEEZZNS1_9scan_implILNS1_25lookback_scan_determinismE0ELb1ELb1ES3_N6thrust23THRUST_200600_302600_NS6detail15normal_iteratorINS9_10device_ptrIjEEEESE_j11max_functorIjEjEEDaPvRmT3_T4_T5_mT6_P12ihipStream_tbENKUlT_T0_E_clISt17integral_constantIbLb0EESU_EEDaSP_SQ_EUlSP_E_NS1_11comp_targetILNS1_3genE8ELNS1_11target_archE1030ELNS1_3gpuE2ELNS1_3repE0EEENS1_30default_config_static_selectorELNS0_4arch9wavefront6targetE1EEEvT1_
; %bb.0:
	.section	.rodata,"a",@progbits
	.p2align	6, 0x0
	.amdhsa_kernel _ZN7rocprim17ROCPRIM_400000_NS6detail17trampoline_kernelINS0_14default_configENS1_20scan_config_selectorIjEEZZNS1_9scan_implILNS1_25lookback_scan_determinismE0ELb1ELb1ES3_N6thrust23THRUST_200600_302600_NS6detail15normal_iteratorINS9_10device_ptrIjEEEESE_j11max_functorIjEjEEDaPvRmT3_T4_T5_mT6_P12ihipStream_tbENKUlT_T0_E_clISt17integral_constantIbLb0EESU_EEDaSP_SQ_EUlSP_E_NS1_11comp_targetILNS1_3genE8ELNS1_11target_archE1030ELNS1_3gpuE2ELNS1_3repE0EEENS1_30default_config_static_selectorELNS0_4arch9wavefront6targetE1EEEvT1_
		.amdhsa_group_segment_fixed_size 0
		.amdhsa_private_segment_fixed_size 0
		.amdhsa_kernarg_size 96
		.amdhsa_user_sgpr_count 6
		.amdhsa_user_sgpr_private_segment_buffer 1
		.amdhsa_user_sgpr_dispatch_ptr 0
		.amdhsa_user_sgpr_queue_ptr 0
		.amdhsa_user_sgpr_kernarg_segment_ptr 1
		.amdhsa_user_sgpr_dispatch_id 0
		.amdhsa_user_sgpr_flat_scratch_init 0
		.amdhsa_user_sgpr_kernarg_preload_length 0
		.amdhsa_user_sgpr_kernarg_preload_offset 0
		.amdhsa_user_sgpr_private_segment_size 0
		.amdhsa_uses_dynamic_stack 0
		.amdhsa_system_sgpr_private_segment_wavefront_offset 0
		.amdhsa_system_sgpr_workgroup_id_x 1
		.amdhsa_system_sgpr_workgroup_id_y 0
		.amdhsa_system_sgpr_workgroup_id_z 0
		.amdhsa_system_sgpr_workgroup_info 0
		.amdhsa_system_vgpr_workitem_id 0
		.amdhsa_next_free_vgpr 1
		.amdhsa_next_free_sgpr 0
		.amdhsa_accum_offset 4
		.amdhsa_reserve_vcc 0
		.amdhsa_reserve_flat_scratch 0
		.amdhsa_float_round_mode_32 0
		.amdhsa_float_round_mode_16_64 0
		.amdhsa_float_denorm_mode_32 3
		.amdhsa_float_denorm_mode_16_64 3
		.amdhsa_dx10_clamp 1
		.amdhsa_ieee_mode 1
		.amdhsa_fp16_overflow 0
		.amdhsa_tg_split 0
		.amdhsa_exception_fp_ieee_invalid_op 0
		.amdhsa_exception_fp_denorm_src 0
		.amdhsa_exception_fp_ieee_div_zero 0
		.amdhsa_exception_fp_ieee_overflow 0
		.amdhsa_exception_fp_ieee_underflow 0
		.amdhsa_exception_fp_ieee_inexact 0
		.amdhsa_exception_int_div_zero 0
	.end_amdhsa_kernel
	.section	.text._ZN7rocprim17ROCPRIM_400000_NS6detail17trampoline_kernelINS0_14default_configENS1_20scan_config_selectorIjEEZZNS1_9scan_implILNS1_25lookback_scan_determinismE0ELb1ELb1ES3_N6thrust23THRUST_200600_302600_NS6detail15normal_iteratorINS9_10device_ptrIjEEEESE_j11max_functorIjEjEEDaPvRmT3_T4_T5_mT6_P12ihipStream_tbENKUlT_T0_E_clISt17integral_constantIbLb0EESU_EEDaSP_SQ_EUlSP_E_NS1_11comp_targetILNS1_3genE8ELNS1_11target_archE1030ELNS1_3gpuE2ELNS1_3repE0EEENS1_30default_config_static_selectorELNS0_4arch9wavefront6targetE1EEEvT1_,"axG",@progbits,_ZN7rocprim17ROCPRIM_400000_NS6detail17trampoline_kernelINS0_14default_configENS1_20scan_config_selectorIjEEZZNS1_9scan_implILNS1_25lookback_scan_determinismE0ELb1ELb1ES3_N6thrust23THRUST_200600_302600_NS6detail15normal_iteratorINS9_10device_ptrIjEEEESE_j11max_functorIjEjEEDaPvRmT3_T4_T5_mT6_P12ihipStream_tbENKUlT_T0_E_clISt17integral_constantIbLb0EESU_EEDaSP_SQ_EUlSP_E_NS1_11comp_targetILNS1_3genE8ELNS1_11target_archE1030ELNS1_3gpuE2ELNS1_3repE0EEENS1_30default_config_static_selectorELNS0_4arch9wavefront6targetE1EEEvT1_,comdat
.Lfunc_end2337:
	.size	_ZN7rocprim17ROCPRIM_400000_NS6detail17trampoline_kernelINS0_14default_configENS1_20scan_config_selectorIjEEZZNS1_9scan_implILNS1_25lookback_scan_determinismE0ELb1ELb1ES3_N6thrust23THRUST_200600_302600_NS6detail15normal_iteratorINS9_10device_ptrIjEEEESE_j11max_functorIjEjEEDaPvRmT3_T4_T5_mT6_P12ihipStream_tbENKUlT_T0_E_clISt17integral_constantIbLb0EESU_EEDaSP_SQ_EUlSP_E_NS1_11comp_targetILNS1_3genE8ELNS1_11target_archE1030ELNS1_3gpuE2ELNS1_3repE0EEENS1_30default_config_static_selectorELNS0_4arch9wavefront6targetE1EEEvT1_, .Lfunc_end2337-_ZN7rocprim17ROCPRIM_400000_NS6detail17trampoline_kernelINS0_14default_configENS1_20scan_config_selectorIjEEZZNS1_9scan_implILNS1_25lookback_scan_determinismE0ELb1ELb1ES3_N6thrust23THRUST_200600_302600_NS6detail15normal_iteratorINS9_10device_ptrIjEEEESE_j11max_functorIjEjEEDaPvRmT3_T4_T5_mT6_P12ihipStream_tbENKUlT_T0_E_clISt17integral_constantIbLb0EESU_EEDaSP_SQ_EUlSP_E_NS1_11comp_targetILNS1_3genE8ELNS1_11target_archE1030ELNS1_3gpuE2ELNS1_3repE0EEENS1_30default_config_static_selectorELNS0_4arch9wavefront6targetE1EEEvT1_
                                        ; -- End function
	.section	.AMDGPU.csdata,"",@progbits
; Kernel info:
; codeLenInByte = 0
; NumSgprs: 4
; NumVgprs: 0
; NumAgprs: 0
; TotalNumVgprs: 0
; ScratchSize: 0
; MemoryBound: 0
; FloatMode: 240
; IeeeMode: 1
; LDSByteSize: 0 bytes/workgroup (compile time only)
; SGPRBlocks: 0
; VGPRBlocks: 0
; NumSGPRsForWavesPerEU: 4
; NumVGPRsForWavesPerEU: 1
; AccumOffset: 4
; Occupancy: 8
; WaveLimiterHint : 0
; COMPUTE_PGM_RSRC2:SCRATCH_EN: 0
; COMPUTE_PGM_RSRC2:USER_SGPR: 6
; COMPUTE_PGM_RSRC2:TRAP_HANDLER: 0
; COMPUTE_PGM_RSRC2:TGID_X_EN: 1
; COMPUTE_PGM_RSRC2:TGID_Y_EN: 0
; COMPUTE_PGM_RSRC2:TGID_Z_EN: 0
; COMPUTE_PGM_RSRC2:TIDIG_COMP_CNT: 0
; COMPUTE_PGM_RSRC3_GFX90A:ACCUM_OFFSET: 0
; COMPUTE_PGM_RSRC3_GFX90A:TG_SPLIT: 0
	.section	.text._ZN7rocprim17ROCPRIM_400000_NS6detail17trampoline_kernelINS0_14default_configENS1_20scan_config_selectorIjEEZZNS1_9scan_implILNS1_25lookback_scan_determinismE0ELb1ELb1ES3_N6thrust23THRUST_200600_302600_NS6detail15normal_iteratorINS9_10device_ptrIjEEEESE_j11max_functorIjEjEEDaPvRmT3_T4_T5_mT6_P12ihipStream_tbENKUlT_T0_E_clISt17integral_constantIbLb0EESU_EEDaSP_SQ_EUlSP_E0_NS1_11comp_targetILNS1_3genE0ELNS1_11target_archE4294967295ELNS1_3gpuE0ELNS1_3repE0EEENS1_30default_config_static_selectorELNS0_4arch9wavefront6targetE1EEEvT1_,"axG",@progbits,_ZN7rocprim17ROCPRIM_400000_NS6detail17trampoline_kernelINS0_14default_configENS1_20scan_config_selectorIjEEZZNS1_9scan_implILNS1_25lookback_scan_determinismE0ELb1ELb1ES3_N6thrust23THRUST_200600_302600_NS6detail15normal_iteratorINS9_10device_ptrIjEEEESE_j11max_functorIjEjEEDaPvRmT3_T4_T5_mT6_P12ihipStream_tbENKUlT_T0_E_clISt17integral_constantIbLb0EESU_EEDaSP_SQ_EUlSP_E0_NS1_11comp_targetILNS1_3genE0ELNS1_11target_archE4294967295ELNS1_3gpuE0ELNS1_3repE0EEENS1_30default_config_static_selectorELNS0_4arch9wavefront6targetE1EEEvT1_,comdat
	.protected	_ZN7rocprim17ROCPRIM_400000_NS6detail17trampoline_kernelINS0_14default_configENS1_20scan_config_selectorIjEEZZNS1_9scan_implILNS1_25lookback_scan_determinismE0ELb1ELb1ES3_N6thrust23THRUST_200600_302600_NS6detail15normal_iteratorINS9_10device_ptrIjEEEESE_j11max_functorIjEjEEDaPvRmT3_T4_T5_mT6_P12ihipStream_tbENKUlT_T0_E_clISt17integral_constantIbLb0EESU_EEDaSP_SQ_EUlSP_E0_NS1_11comp_targetILNS1_3genE0ELNS1_11target_archE4294967295ELNS1_3gpuE0ELNS1_3repE0EEENS1_30default_config_static_selectorELNS0_4arch9wavefront6targetE1EEEvT1_ ; -- Begin function _ZN7rocprim17ROCPRIM_400000_NS6detail17trampoline_kernelINS0_14default_configENS1_20scan_config_selectorIjEEZZNS1_9scan_implILNS1_25lookback_scan_determinismE0ELb1ELb1ES3_N6thrust23THRUST_200600_302600_NS6detail15normal_iteratorINS9_10device_ptrIjEEEESE_j11max_functorIjEjEEDaPvRmT3_T4_T5_mT6_P12ihipStream_tbENKUlT_T0_E_clISt17integral_constantIbLb0EESU_EEDaSP_SQ_EUlSP_E0_NS1_11comp_targetILNS1_3genE0ELNS1_11target_archE4294967295ELNS1_3gpuE0ELNS1_3repE0EEENS1_30default_config_static_selectorELNS0_4arch9wavefront6targetE1EEEvT1_
	.globl	_ZN7rocprim17ROCPRIM_400000_NS6detail17trampoline_kernelINS0_14default_configENS1_20scan_config_selectorIjEEZZNS1_9scan_implILNS1_25lookback_scan_determinismE0ELb1ELb1ES3_N6thrust23THRUST_200600_302600_NS6detail15normal_iteratorINS9_10device_ptrIjEEEESE_j11max_functorIjEjEEDaPvRmT3_T4_T5_mT6_P12ihipStream_tbENKUlT_T0_E_clISt17integral_constantIbLb0EESU_EEDaSP_SQ_EUlSP_E0_NS1_11comp_targetILNS1_3genE0ELNS1_11target_archE4294967295ELNS1_3gpuE0ELNS1_3repE0EEENS1_30default_config_static_selectorELNS0_4arch9wavefront6targetE1EEEvT1_
	.p2align	8
	.type	_ZN7rocprim17ROCPRIM_400000_NS6detail17trampoline_kernelINS0_14default_configENS1_20scan_config_selectorIjEEZZNS1_9scan_implILNS1_25lookback_scan_determinismE0ELb1ELb1ES3_N6thrust23THRUST_200600_302600_NS6detail15normal_iteratorINS9_10device_ptrIjEEEESE_j11max_functorIjEjEEDaPvRmT3_T4_T5_mT6_P12ihipStream_tbENKUlT_T0_E_clISt17integral_constantIbLb0EESU_EEDaSP_SQ_EUlSP_E0_NS1_11comp_targetILNS1_3genE0ELNS1_11target_archE4294967295ELNS1_3gpuE0ELNS1_3repE0EEENS1_30default_config_static_selectorELNS0_4arch9wavefront6targetE1EEEvT1_,@function
_ZN7rocprim17ROCPRIM_400000_NS6detail17trampoline_kernelINS0_14default_configENS1_20scan_config_selectorIjEEZZNS1_9scan_implILNS1_25lookback_scan_determinismE0ELb1ELb1ES3_N6thrust23THRUST_200600_302600_NS6detail15normal_iteratorINS9_10device_ptrIjEEEESE_j11max_functorIjEjEEDaPvRmT3_T4_T5_mT6_P12ihipStream_tbENKUlT_T0_E_clISt17integral_constantIbLb0EESU_EEDaSP_SQ_EUlSP_E0_NS1_11comp_targetILNS1_3genE0ELNS1_11target_archE4294967295ELNS1_3gpuE0ELNS1_3repE0EEENS1_30default_config_static_selectorELNS0_4arch9wavefront6targetE1EEEvT1_: ; @_ZN7rocprim17ROCPRIM_400000_NS6detail17trampoline_kernelINS0_14default_configENS1_20scan_config_selectorIjEEZZNS1_9scan_implILNS1_25lookback_scan_determinismE0ELb1ELb1ES3_N6thrust23THRUST_200600_302600_NS6detail15normal_iteratorINS9_10device_ptrIjEEEESE_j11max_functorIjEjEEDaPvRmT3_T4_T5_mT6_P12ihipStream_tbENKUlT_T0_E_clISt17integral_constantIbLb0EESU_EEDaSP_SQ_EUlSP_E0_NS1_11comp_targetILNS1_3genE0ELNS1_11target_archE4294967295ELNS1_3gpuE0ELNS1_3repE0EEENS1_30default_config_static_selectorELNS0_4arch9wavefront6targetE1EEEvT1_
; %bb.0:
	.section	.rodata,"a",@progbits
	.p2align	6, 0x0
	.amdhsa_kernel _ZN7rocprim17ROCPRIM_400000_NS6detail17trampoline_kernelINS0_14default_configENS1_20scan_config_selectorIjEEZZNS1_9scan_implILNS1_25lookback_scan_determinismE0ELb1ELb1ES3_N6thrust23THRUST_200600_302600_NS6detail15normal_iteratorINS9_10device_ptrIjEEEESE_j11max_functorIjEjEEDaPvRmT3_T4_T5_mT6_P12ihipStream_tbENKUlT_T0_E_clISt17integral_constantIbLb0EESU_EEDaSP_SQ_EUlSP_E0_NS1_11comp_targetILNS1_3genE0ELNS1_11target_archE4294967295ELNS1_3gpuE0ELNS1_3repE0EEENS1_30default_config_static_selectorELNS0_4arch9wavefront6targetE1EEEvT1_
		.amdhsa_group_segment_fixed_size 0
		.amdhsa_private_segment_fixed_size 0
		.amdhsa_kernarg_size 32
		.amdhsa_user_sgpr_count 6
		.amdhsa_user_sgpr_private_segment_buffer 1
		.amdhsa_user_sgpr_dispatch_ptr 0
		.amdhsa_user_sgpr_queue_ptr 0
		.amdhsa_user_sgpr_kernarg_segment_ptr 1
		.amdhsa_user_sgpr_dispatch_id 0
		.amdhsa_user_sgpr_flat_scratch_init 0
		.amdhsa_user_sgpr_kernarg_preload_length 0
		.amdhsa_user_sgpr_kernarg_preload_offset 0
		.amdhsa_user_sgpr_private_segment_size 0
		.amdhsa_uses_dynamic_stack 0
		.amdhsa_system_sgpr_private_segment_wavefront_offset 0
		.amdhsa_system_sgpr_workgroup_id_x 1
		.amdhsa_system_sgpr_workgroup_id_y 0
		.amdhsa_system_sgpr_workgroup_id_z 0
		.amdhsa_system_sgpr_workgroup_info 0
		.amdhsa_system_vgpr_workitem_id 0
		.amdhsa_next_free_vgpr 1
		.amdhsa_next_free_sgpr 0
		.amdhsa_accum_offset 4
		.amdhsa_reserve_vcc 0
		.amdhsa_reserve_flat_scratch 0
		.amdhsa_float_round_mode_32 0
		.amdhsa_float_round_mode_16_64 0
		.amdhsa_float_denorm_mode_32 3
		.amdhsa_float_denorm_mode_16_64 3
		.amdhsa_dx10_clamp 1
		.amdhsa_ieee_mode 1
		.amdhsa_fp16_overflow 0
		.amdhsa_tg_split 0
		.amdhsa_exception_fp_ieee_invalid_op 0
		.amdhsa_exception_fp_denorm_src 0
		.amdhsa_exception_fp_ieee_div_zero 0
		.amdhsa_exception_fp_ieee_overflow 0
		.amdhsa_exception_fp_ieee_underflow 0
		.amdhsa_exception_fp_ieee_inexact 0
		.amdhsa_exception_int_div_zero 0
	.end_amdhsa_kernel
	.section	.text._ZN7rocprim17ROCPRIM_400000_NS6detail17trampoline_kernelINS0_14default_configENS1_20scan_config_selectorIjEEZZNS1_9scan_implILNS1_25lookback_scan_determinismE0ELb1ELb1ES3_N6thrust23THRUST_200600_302600_NS6detail15normal_iteratorINS9_10device_ptrIjEEEESE_j11max_functorIjEjEEDaPvRmT3_T4_T5_mT6_P12ihipStream_tbENKUlT_T0_E_clISt17integral_constantIbLb0EESU_EEDaSP_SQ_EUlSP_E0_NS1_11comp_targetILNS1_3genE0ELNS1_11target_archE4294967295ELNS1_3gpuE0ELNS1_3repE0EEENS1_30default_config_static_selectorELNS0_4arch9wavefront6targetE1EEEvT1_,"axG",@progbits,_ZN7rocprim17ROCPRIM_400000_NS6detail17trampoline_kernelINS0_14default_configENS1_20scan_config_selectorIjEEZZNS1_9scan_implILNS1_25lookback_scan_determinismE0ELb1ELb1ES3_N6thrust23THRUST_200600_302600_NS6detail15normal_iteratorINS9_10device_ptrIjEEEESE_j11max_functorIjEjEEDaPvRmT3_T4_T5_mT6_P12ihipStream_tbENKUlT_T0_E_clISt17integral_constantIbLb0EESU_EEDaSP_SQ_EUlSP_E0_NS1_11comp_targetILNS1_3genE0ELNS1_11target_archE4294967295ELNS1_3gpuE0ELNS1_3repE0EEENS1_30default_config_static_selectorELNS0_4arch9wavefront6targetE1EEEvT1_,comdat
.Lfunc_end2338:
	.size	_ZN7rocprim17ROCPRIM_400000_NS6detail17trampoline_kernelINS0_14default_configENS1_20scan_config_selectorIjEEZZNS1_9scan_implILNS1_25lookback_scan_determinismE0ELb1ELb1ES3_N6thrust23THRUST_200600_302600_NS6detail15normal_iteratorINS9_10device_ptrIjEEEESE_j11max_functorIjEjEEDaPvRmT3_T4_T5_mT6_P12ihipStream_tbENKUlT_T0_E_clISt17integral_constantIbLb0EESU_EEDaSP_SQ_EUlSP_E0_NS1_11comp_targetILNS1_3genE0ELNS1_11target_archE4294967295ELNS1_3gpuE0ELNS1_3repE0EEENS1_30default_config_static_selectorELNS0_4arch9wavefront6targetE1EEEvT1_, .Lfunc_end2338-_ZN7rocprim17ROCPRIM_400000_NS6detail17trampoline_kernelINS0_14default_configENS1_20scan_config_selectorIjEEZZNS1_9scan_implILNS1_25lookback_scan_determinismE0ELb1ELb1ES3_N6thrust23THRUST_200600_302600_NS6detail15normal_iteratorINS9_10device_ptrIjEEEESE_j11max_functorIjEjEEDaPvRmT3_T4_T5_mT6_P12ihipStream_tbENKUlT_T0_E_clISt17integral_constantIbLb0EESU_EEDaSP_SQ_EUlSP_E0_NS1_11comp_targetILNS1_3genE0ELNS1_11target_archE4294967295ELNS1_3gpuE0ELNS1_3repE0EEENS1_30default_config_static_selectorELNS0_4arch9wavefront6targetE1EEEvT1_
                                        ; -- End function
	.section	.AMDGPU.csdata,"",@progbits
; Kernel info:
; codeLenInByte = 0
; NumSgprs: 4
; NumVgprs: 0
; NumAgprs: 0
; TotalNumVgprs: 0
; ScratchSize: 0
; MemoryBound: 0
; FloatMode: 240
; IeeeMode: 1
; LDSByteSize: 0 bytes/workgroup (compile time only)
; SGPRBlocks: 0
; VGPRBlocks: 0
; NumSGPRsForWavesPerEU: 4
; NumVGPRsForWavesPerEU: 1
; AccumOffset: 4
; Occupancy: 8
; WaveLimiterHint : 0
; COMPUTE_PGM_RSRC2:SCRATCH_EN: 0
; COMPUTE_PGM_RSRC2:USER_SGPR: 6
; COMPUTE_PGM_RSRC2:TRAP_HANDLER: 0
; COMPUTE_PGM_RSRC2:TGID_X_EN: 1
; COMPUTE_PGM_RSRC2:TGID_Y_EN: 0
; COMPUTE_PGM_RSRC2:TGID_Z_EN: 0
; COMPUTE_PGM_RSRC2:TIDIG_COMP_CNT: 0
; COMPUTE_PGM_RSRC3_GFX90A:ACCUM_OFFSET: 0
; COMPUTE_PGM_RSRC3_GFX90A:TG_SPLIT: 0
	.section	.text._ZN7rocprim17ROCPRIM_400000_NS6detail17trampoline_kernelINS0_14default_configENS1_20scan_config_selectorIjEEZZNS1_9scan_implILNS1_25lookback_scan_determinismE0ELb1ELb1ES3_N6thrust23THRUST_200600_302600_NS6detail15normal_iteratorINS9_10device_ptrIjEEEESE_j11max_functorIjEjEEDaPvRmT3_T4_T5_mT6_P12ihipStream_tbENKUlT_T0_E_clISt17integral_constantIbLb0EESU_EEDaSP_SQ_EUlSP_E0_NS1_11comp_targetILNS1_3genE5ELNS1_11target_archE942ELNS1_3gpuE9ELNS1_3repE0EEENS1_30default_config_static_selectorELNS0_4arch9wavefront6targetE1EEEvT1_,"axG",@progbits,_ZN7rocprim17ROCPRIM_400000_NS6detail17trampoline_kernelINS0_14default_configENS1_20scan_config_selectorIjEEZZNS1_9scan_implILNS1_25lookback_scan_determinismE0ELb1ELb1ES3_N6thrust23THRUST_200600_302600_NS6detail15normal_iteratorINS9_10device_ptrIjEEEESE_j11max_functorIjEjEEDaPvRmT3_T4_T5_mT6_P12ihipStream_tbENKUlT_T0_E_clISt17integral_constantIbLb0EESU_EEDaSP_SQ_EUlSP_E0_NS1_11comp_targetILNS1_3genE5ELNS1_11target_archE942ELNS1_3gpuE9ELNS1_3repE0EEENS1_30default_config_static_selectorELNS0_4arch9wavefront6targetE1EEEvT1_,comdat
	.protected	_ZN7rocprim17ROCPRIM_400000_NS6detail17trampoline_kernelINS0_14default_configENS1_20scan_config_selectorIjEEZZNS1_9scan_implILNS1_25lookback_scan_determinismE0ELb1ELb1ES3_N6thrust23THRUST_200600_302600_NS6detail15normal_iteratorINS9_10device_ptrIjEEEESE_j11max_functorIjEjEEDaPvRmT3_T4_T5_mT6_P12ihipStream_tbENKUlT_T0_E_clISt17integral_constantIbLb0EESU_EEDaSP_SQ_EUlSP_E0_NS1_11comp_targetILNS1_3genE5ELNS1_11target_archE942ELNS1_3gpuE9ELNS1_3repE0EEENS1_30default_config_static_selectorELNS0_4arch9wavefront6targetE1EEEvT1_ ; -- Begin function _ZN7rocprim17ROCPRIM_400000_NS6detail17trampoline_kernelINS0_14default_configENS1_20scan_config_selectorIjEEZZNS1_9scan_implILNS1_25lookback_scan_determinismE0ELb1ELb1ES3_N6thrust23THRUST_200600_302600_NS6detail15normal_iteratorINS9_10device_ptrIjEEEESE_j11max_functorIjEjEEDaPvRmT3_T4_T5_mT6_P12ihipStream_tbENKUlT_T0_E_clISt17integral_constantIbLb0EESU_EEDaSP_SQ_EUlSP_E0_NS1_11comp_targetILNS1_3genE5ELNS1_11target_archE942ELNS1_3gpuE9ELNS1_3repE0EEENS1_30default_config_static_selectorELNS0_4arch9wavefront6targetE1EEEvT1_
	.globl	_ZN7rocprim17ROCPRIM_400000_NS6detail17trampoline_kernelINS0_14default_configENS1_20scan_config_selectorIjEEZZNS1_9scan_implILNS1_25lookback_scan_determinismE0ELb1ELb1ES3_N6thrust23THRUST_200600_302600_NS6detail15normal_iteratorINS9_10device_ptrIjEEEESE_j11max_functorIjEjEEDaPvRmT3_T4_T5_mT6_P12ihipStream_tbENKUlT_T0_E_clISt17integral_constantIbLb0EESU_EEDaSP_SQ_EUlSP_E0_NS1_11comp_targetILNS1_3genE5ELNS1_11target_archE942ELNS1_3gpuE9ELNS1_3repE0EEENS1_30default_config_static_selectorELNS0_4arch9wavefront6targetE1EEEvT1_
	.p2align	8
	.type	_ZN7rocprim17ROCPRIM_400000_NS6detail17trampoline_kernelINS0_14default_configENS1_20scan_config_selectorIjEEZZNS1_9scan_implILNS1_25lookback_scan_determinismE0ELb1ELb1ES3_N6thrust23THRUST_200600_302600_NS6detail15normal_iteratorINS9_10device_ptrIjEEEESE_j11max_functorIjEjEEDaPvRmT3_T4_T5_mT6_P12ihipStream_tbENKUlT_T0_E_clISt17integral_constantIbLb0EESU_EEDaSP_SQ_EUlSP_E0_NS1_11comp_targetILNS1_3genE5ELNS1_11target_archE942ELNS1_3gpuE9ELNS1_3repE0EEENS1_30default_config_static_selectorELNS0_4arch9wavefront6targetE1EEEvT1_,@function
_ZN7rocprim17ROCPRIM_400000_NS6detail17trampoline_kernelINS0_14default_configENS1_20scan_config_selectorIjEEZZNS1_9scan_implILNS1_25lookback_scan_determinismE0ELb1ELb1ES3_N6thrust23THRUST_200600_302600_NS6detail15normal_iteratorINS9_10device_ptrIjEEEESE_j11max_functorIjEjEEDaPvRmT3_T4_T5_mT6_P12ihipStream_tbENKUlT_T0_E_clISt17integral_constantIbLb0EESU_EEDaSP_SQ_EUlSP_E0_NS1_11comp_targetILNS1_3genE5ELNS1_11target_archE942ELNS1_3gpuE9ELNS1_3repE0EEENS1_30default_config_static_selectorELNS0_4arch9wavefront6targetE1EEEvT1_: ; @_ZN7rocprim17ROCPRIM_400000_NS6detail17trampoline_kernelINS0_14default_configENS1_20scan_config_selectorIjEEZZNS1_9scan_implILNS1_25lookback_scan_determinismE0ELb1ELb1ES3_N6thrust23THRUST_200600_302600_NS6detail15normal_iteratorINS9_10device_ptrIjEEEESE_j11max_functorIjEjEEDaPvRmT3_T4_T5_mT6_P12ihipStream_tbENKUlT_T0_E_clISt17integral_constantIbLb0EESU_EEDaSP_SQ_EUlSP_E0_NS1_11comp_targetILNS1_3genE5ELNS1_11target_archE942ELNS1_3gpuE9ELNS1_3repE0EEENS1_30default_config_static_selectorELNS0_4arch9wavefront6targetE1EEEvT1_
; %bb.0:
	.section	.rodata,"a",@progbits
	.p2align	6, 0x0
	.amdhsa_kernel _ZN7rocprim17ROCPRIM_400000_NS6detail17trampoline_kernelINS0_14default_configENS1_20scan_config_selectorIjEEZZNS1_9scan_implILNS1_25lookback_scan_determinismE0ELb1ELb1ES3_N6thrust23THRUST_200600_302600_NS6detail15normal_iteratorINS9_10device_ptrIjEEEESE_j11max_functorIjEjEEDaPvRmT3_T4_T5_mT6_P12ihipStream_tbENKUlT_T0_E_clISt17integral_constantIbLb0EESU_EEDaSP_SQ_EUlSP_E0_NS1_11comp_targetILNS1_3genE5ELNS1_11target_archE942ELNS1_3gpuE9ELNS1_3repE0EEENS1_30default_config_static_selectorELNS0_4arch9wavefront6targetE1EEEvT1_
		.amdhsa_group_segment_fixed_size 0
		.amdhsa_private_segment_fixed_size 0
		.amdhsa_kernarg_size 32
		.amdhsa_user_sgpr_count 6
		.amdhsa_user_sgpr_private_segment_buffer 1
		.amdhsa_user_sgpr_dispatch_ptr 0
		.amdhsa_user_sgpr_queue_ptr 0
		.amdhsa_user_sgpr_kernarg_segment_ptr 1
		.amdhsa_user_sgpr_dispatch_id 0
		.amdhsa_user_sgpr_flat_scratch_init 0
		.amdhsa_user_sgpr_kernarg_preload_length 0
		.amdhsa_user_sgpr_kernarg_preload_offset 0
		.amdhsa_user_sgpr_private_segment_size 0
		.amdhsa_uses_dynamic_stack 0
		.amdhsa_system_sgpr_private_segment_wavefront_offset 0
		.amdhsa_system_sgpr_workgroup_id_x 1
		.amdhsa_system_sgpr_workgroup_id_y 0
		.amdhsa_system_sgpr_workgroup_id_z 0
		.amdhsa_system_sgpr_workgroup_info 0
		.amdhsa_system_vgpr_workitem_id 0
		.amdhsa_next_free_vgpr 1
		.amdhsa_next_free_sgpr 0
		.amdhsa_accum_offset 4
		.amdhsa_reserve_vcc 0
		.amdhsa_reserve_flat_scratch 0
		.amdhsa_float_round_mode_32 0
		.amdhsa_float_round_mode_16_64 0
		.amdhsa_float_denorm_mode_32 3
		.amdhsa_float_denorm_mode_16_64 3
		.amdhsa_dx10_clamp 1
		.amdhsa_ieee_mode 1
		.amdhsa_fp16_overflow 0
		.amdhsa_tg_split 0
		.amdhsa_exception_fp_ieee_invalid_op 0
		.amdhsa_exception_fp_denorm_src 0
		.amdhsa_exception_fp_ieee_div_zero 0
		.amdhsa_exception_fp_ieee_overflow 0
		.amdhsa_exception_fp_ieee_underflow 0
		.amdhsa_exception_fp_ieee_inexact 0
		.amdhsa_exception_int_div_zero 0
	.end_amdhsa_kernel
	.section	.text._ZN7rocprim17ROCPRIM_400000_NS6detail17trampoline_kernelINS0_14default_configENS1_20scan_config_selectorIjEEZZNS1_9scan_implILNS1_25lookback_scan_determinismE0ELb1ELb1ES3_N6thrust23THRUST_200600_302600_NS6detail15normal_iteratorINS9_10device_ptrIjEEEESE_j11max_functorIjEjEEDaPvRmT3_T4_T5_mT6_P12ihipStream_tbENKUlT_T0_E_clISt17integral_constantIbLb0EESU_EEDaSP_SQ_EUlSP_E0_NS1_11comp_targetILNS1_3genE5ELNS1_11target_archE942ELNS1_3gpuE9ELNS1_3repE0EEENS1_30default_config_static_selectorELNS0_4arch9wavefront6targetE1EEEvT1_,"axG",@progbits,_ZN7rocprim17ROCPRIM_400000_NS6detail17trampoline_kernelINS0_14default_configENS1_20scan_config_selectorIjEEZZNS1_9scan_implILNS1_25lookback_scan_determinismE0ELb1ELb1ES3_N6thrust23THRUST_200600_302600_NS6detail15normal_iteratorINS9_10device_ptrIjEEEESE_j11max_functorIjEjEEDaPvRmT3_T4_T5_mT6_P12ihipStream_tbENKUlT_T0_E_clISt17integral_constantIbLb0EESU_EEDaSP_SQ_EUlSP_E0_NS1_11comp_targetILNS1_3genE5ELNS1_11target_archE942ELNS1_3gpuE9ELNS1_3repE0EEENS1_30default_config_static_selectorELNS0_4arch9wavefront6targetE1EEEvT1_,comdat
.Lfunc_end2339:
	.size	_ZN7rocprim17ROCPRIM_400000_NS6detail17trampoline_kernelINS0_14default_configENS1_20scan_config_selectorIjEEZZNS1_9scan_implILNS1_25lookback_scan_determinismE0ELb1ELb1ES3_N6thrust23THRUST_200600_302600_NS6detail15normal_iteratorINS9_10device_ptrIjEEEESE_j11max_functorIjEjEEDaPvRmT3_T4_T5_mT6_P12ihipStream_tbENKUlT_T0_E_clISt17integral_constantIbLb0EESU_EEDaSP_SQ_EUlSP_E0_NS1_11comp_targetILNS1_3genE5ELNS1_11target_archE942ELNS1_3gpuE9ELNS1_3repE0EEENS1_30default_config_static_selectorELNS0_4arch9wavefront6targetE1EEEvT1_, .Lfunc_end2339-_ZN7rocprim17ROCPRIM_400000_NS6detail17trampoline_kernelINS0_14default_configENS1_20scan_config_selectorIjEEZZNS1_9scan_implILNS1_25lookback_scan_determinismE0ELb1ELb1ES3_N6thrust23THRUST_200600_302600_NS6detail15normal_iteratorINS9_10device_ptrIjEEEESE_j11max_functorIjEjEEDaPvRmT3_T4_T5_mT6_P12ihipStream_tbENKUlT_T0_E_clISt17integral_constantIbLb0EESU_EEDaSP_SQ_EUlSP_E0_NS1_11comp_targetILNS1_3genE5ELNS1_11target_archE942ELNS1_3gpuE9ELNS1_3repE0EEENS1_30default_config_static_selectorELNS0_4arch9wavefront6targetE1EEEvT1_
                                        ; -- End function
	.section	.AMDGPU.csdata,"",@progbits
; Kernel info:
; codeLenInByte = 0
; NumSgprs: 4
; NumVgprs: 0
; NumAgprs: 0
; TotalNumVgprs: 0
; ScratchSize: 0
; MemoryBound: 0
; FloatMode: 240
; IeeeMode: 1
; LDSByteSize: 0 bytes/workgroup (compile time only)
; SGPRBlocks: 0
; VGPRBlocks: 0
; NumSGPRsForWavesPerEU: 4
; NumVGPRsForWavesPerEU: 1
; AccumOffset: 4
; Occupancy: 8
; WaveLimiterHint : 0
; COMPUTE_PGM_RSRC2:SCRATCH_EN: 0
; COMPUTE_PGM_RSRC2:USER_SGPR: 6
; COMPUTE_PGM_RSRC2:TRAP_HANDLER: 0
; COMPUTE_PGM_RSRC2:TGID_X_EN: 1
; COMPUTE_PGM_RSRC2:TGID_Y_EN: 0
; COMPUTE_PGM_RSRC2:TGID_Z_EN: 0
; COMPUTE_PGM_RSRC2:TIDIG_COMP_CNT: 0
; COMPUTE_PGM_RSRC3_GFX90A:ACCUM_OFFSET: 0
; COMPUTE_PGM_RSRC3_GFX90A:TG_SPLIT: 0
	.section	.text._ZN7rocprim17ROCPRIM_400000_NS6detail17trampoline_kernelINS0_14default_configENS1_20scan_config_selectorIjEEZZNS1_9scan_implILNS1_25lookback_scan_determinismE0ELb1ELb1ES3_N6thrust23THRUST_200600_302600_NS6detail15normal_iteratorINS9_10device_ptrIjEEEESE_j11max_functorIjEjEEDaPvRmT3_T4_T5_mT6_P12ihipStream_tbENKUlT_T0_E_clISt17integral_constantIbLb0EESU_EEDaSP_SQ_EUlSP_E0_NS1_11comp_targetILNS1_3genE4ELNS1_11target_archE910ELNS1_3gpuE8ELNS1_3repE0EEENS1_30default_config_static_selectorELNS0_4arch9wavefront6targetE1EEEvT1_,"axG",@progbits,_ZN7rocprim17ROCPRIM_400000_NS6detail17trampoline_kernelINS0_14default_configENS1_20scan_config_selectorIjEEZZNS1_9scan_implILNS1_25lookback_scan_determinismE0ELb1ELb1ES3_N6thrust23THRUST_200600_302600_NS6detail15normal_iteratorINS9_10device_ptrIjEEEESE_j11max_functorIjEjEEDaPvRmT3_T4_T5_mT6_P12ihipStream_tbENKUlT_T0_E_clISt17integral_constantIbLb0EESU_EEDaSP_SQ_EUlSP_E0_NS1_11comp_targetILNS1_3genE4ELNS1_11target_archE910ELNS1_3gpuE8ELNS1_3repE0EEENS1_30default_config_static_selectorELNS0_4arch9wavefront6targetE1EEEvT1_,comdat
	.protected	_ZN7rocprim17ROCPRIM_400000_NS6detail17trampoline_kernelINS0_14default_configENS1_20scan_config_selectorIjEEZZNS1_9scan_implILNS1_25lookback_scan_determinismE0ELb1ELb1ES3_N6thrust23THRUST_200600_302600_NS6detail15normal_iteratorINS9_10device_ptrIjEEEESE_j11max_functorIjEjEEDaPvRmT3_T4_T5_mT6_P12ihipStream_tbENKUlT_T0_E_clISt17integral_constantIbLb0EESU_EEDaSP_SQ_EUlSP_E0_NS1_11comp_targetILNS1_3genE4ELNS1_11target_archE910ELNS1_3gpuE8ELNS1_3repE0EEENS1_30default_config_static_selectorELNS0_4arch9wavefront6targetE1EEEvT1_ ; -- Begin function _ZN7rocprim17ROCPRIM_400000_NS6detail17trampoline_kernelINS0_14default_configENS1_20scan_config_selectorIjEEZZNS1_9scan_implILNS1_25lookback_scan_determinismE0ELb1ELb1ES3_N6thrust23THRUST_200600_302600_NS6detail15normal_iteratorINS9_10device_ptrIjEEEESE_j11max_functorIjEjEEDaPvRmT3_T4_T5_mT6_P12ihipStream_tbENKUlT_T0_E_clISt17integral_constantIbLb0EESU_EEDaSP_SQ_EUlSP_E0_NS1_11comp_targetILNS1_3genE4ELNS1_11target_archE910ELNS1_3gpuE8ELNS1_3repE0EEENS1_30default_config_static_selectorELNS0_4arch9wavefront6targetE1EEEvT1_
	.globl	_ZN7rocprim17ROCPRIM_400000_NS6detail17trampoline_kernelINS0_14default_configENS1_20scan_config_selectorIjEEZZNS1_9scan_implILNS1_25lookback_scan_determinismE0ELb1ELb1ES3_N6thrust23THRUST_200600_302600_NS6detail15normal_iteratorINS9_10device_ptrIjEEEESE_j11max_functorIjEjEEDaPvRmT3_T4_T5_mT6_P12ihipStream_tbENKUlT_T0_E_clISt17integral_constantIbLb0EESU_EEDaSP_SQ_EUlSP_E0_NS1_11comp_targetILNS1_3genE4ELNS1_11target_archE910ELNS1_3gpuE8ELNS1_3repE0EEENS1_30default_config_static_selectorELNS0_4arch9wavefront6targetE1EEEvT1_
	.p2align	8
	.type	_ZN7rocprim17ROCPRIM_400000_NS6detail17trampoline_kernelINS0_14default_configENS1_20scan_config_selectorIjEEZZNS1_9scan_implILNS1_25lookback_scan_determinismE0ELb1ELb1ES3_N6thrust23THRUST_200600_302600_NS6detail15normal_iteratorINS9_10device_ptrIjEEEESE_j11max_functorIjEjEEDaPvRmT3_T4_T5_mT6_P12ihipStream_tbENKUlT_T0_E_clISt17integral_constantIbLb0EESU_EEDaSP_SQ_EUlSP_E0_NS1_11comp_targetILNS1_3genE4ELNS1_11target_archE910ELNS1_3gpuE8ELNS1_3repE0EEENS1_30default_config_static_selectorELNS0_4arch9wavefront6targetE1EEEvT1_,@function
_ZN7rocprim17ROCPRIM_400000_NS6detail17trampoline_kernelINS0_14default_configENS1_20scan_config_selectorIjEEZZNS1_9scan_implILNS1_25lookback_scan_determinismE0ELb1ELb1ES3_N6thrust23THRUST_200600_302600_NS6detail15normal_iteratorINS9_10device_ptrIjEEEESE_j11max_functorIjEjEEDaPvRmT3_T4_T5_mT6_P12ihipStream_tbENKUlT_T0_E_clISt17integral_constantIbLb0EESU_EEDaSP_SQ_EUlSP_E0_NS1_11comp_targetILNS1_3genE4ELNS1_11target_archE910ELNS1_3gpuE8ELNS1_3repE0EEENS1_30default_config_static_selectorELNS0_4arch9wavefront6targetE1EEEvT1_: ; @_ZN7rocprim17ROCPRIM_400000_NS6detail17trampoline_kernelINS0_14default_configENS1_20scan_config_selectorIjEEZZNS1_9scan_implILNS1_25lookback_scan_determinismE0ELb1ELb1ES3_N6thrust23THRUST_200600_302600_NS6detail15normal_iteratorINS9_10device_ptrIjEEEESE_j11max_functorIjEjEEDaPvRmT3_T4_T5_mT6_P12ihipStream_tbENKUlT_T0_E_clISt17integral_constantIbLb0EESU_EEDaSP_SQ_EUlSP_E0_NS1_11comp_targetILNS1_3genE4ELNS1_11target_archE910ELNS1_3gpuE8ELNS1_3repE0EEENS1_30default_config_static_selectorELNS0_4arch9wavefront6targetE1EEEvT1_
; %bb.0:
	s_load_dwordx4 s[20:23], s[4:5], 0x0
	v_lshlrev_b32_e32 v14, 2, v0
	s_waitcnt lgkmcnt(0)
	s_load_dword s23, s[20:21], 0x0
	v_cmp_gt_u32_e32 vcc, s22, v0
	s_waitcnt lgkmcnt(0)
	v_mov_b32_e32 v1, s23
	s_and_saveexec_b64 s[0:1], vcc
	s_cbranch_execz .LBB2340_2
; %bb.1:
	global_load_dword v1, v14, s[20:21]
.LBB2340_2:
	s_or_b64 exec, exec, s[0:1]
	v_or_b32_e32 v2, 0x80, v0
	v_cmp_gt_u32_e64 s[0:1], s22, v2
	v_mov_b32_e32 v2, s23
	s_and_saveexec_b64 s[2:3], s[0:1]
	s_cbranch_execz .LBB2340_4
; %bb.3:
	global_load_dword v2, v14, s[20:21] offset:512
.LBB2340_4:
	s_or_b64 exec, exec, s[2:3]
	v_or_b32_e32 v3, 0x100, v0
	v_cmp_gt_u32_e64 s[2:3], s22, v3
	v_mov_b32_e32 v3, s23
	s_and_saveexec_b64 s[6:7], s[2:3]
	s_cbranch_execz .LBB2340_6
; %bb.5:
	global_load_dword v3, v14, s[20:21] offset:1024
.LBB2340_6:
	;; [unrolled: 9-line block ×7, first 2 shown]
	s_or_b64 exec, exec, s[14:15]
	v_or_b32_e32 v10, 0x400, v0
	v_cmp_gt_u32_e64 s[14:15], s22, v10
	v_mov_b32_e32 v9, s23
	s_and_saveexec_b64 s[16:17], s[14:15]
	s_cbranch_execz .LBB2340_18
; %bb.17:
	v_lshlrev_b32_e32 v9, 2, v10
	global_load_dword v9, v9, s[20:21]
.LBB2340_18:
	s_or_b64 exec, exec, s[16:17]
	s_load_dword s24, s[4:5], 0x10
	v_or_b32_e32 v11, 0x480, v0
	v_cmp_gt_u32_e64 s[16:17], s22, v11
	v_mov_b32_e32 v10, s23
	s_and_saveexec_b64 s[22:23], s[16:17]
	s_cbranch_execz .LBB2340_20
; %bb.19:
	v_lshlrev_b32_e32 v10, 2, v11
	global_load_dword v10, v10, s[20:21]
.LBB2340_20:
	s_or_b64 exec, exec, s[22:23]
	s_waitcnt vmcnt(0)
	ds_write2st64_b32 v14, v1, v2 offset1:2
	ds_write2st64_b32 v14, v3, v4 offset0:4 offset1:6
	ds_write2st64_b32 v14, v5, v6 offset0:8 offset1:10
	;; [unrolled: 1-line block ×4, first 2 shown]
	v_mad_u32_u24 v1, v0, 36, v14
	s_waitcnt lgkmcnt(0)
	s_barrier
	ds_read2_b64 v[6:9], v1 offset1:1
	ds_read2_b64 v[2:5], v1 offset0:2 offset1:3
	ds_read_b64 v[10:11], v1 offset:32
	s_load_dwordx2 s[20:21], s[4:5], 0x18
	v_cmp_gt_u32_e64 s[4:5], 64, v0
	s_waitcnt lgkmcnt(0)
	v_max_u32_e32 v12, v6, v7
	v_max3_u32 v12, v12, v8, v9
	v_max3_u32 v12, v12, v2, v3
	;; [unrolled: 1-line block ×4, first 2 shown]
	v_lshrrev_b32_e32 v12, 3, v0
	v_and_b32_e32 v12, 12, v12
	v_add_u32_e32 v12, v14, v12
	s_barrier
	ds_write_b32 v12, v11
	s_waitcnt lgkmcnt(0)
	s_barrier
	s_and_saveexec_b64 s[22:23], s[4:5]
	s_cbranch_execz .LBB2340_22
; %bb.21:
	v_lshlrev_b32_e32 v12, 1, v0
	v_lshrrev_b32_e32 v13, 4, v0
	v_add_lshl_u32 v15, v13, v12, 2
	ds_read2_b32 v[12:13], v15 offset1:1
	v_mbcnt_lo_u32_b32 v16, -1, 0
	v_mbcnt_hi_u32_b32 v16, -1, v16
	v_and_b32_e32 v17, 15, v16
	v_cmp_eq_u32_e64 s[4:5], 0, v17
	s_waitcnt lgkmcnt(0)
	v_max_u32_e32 v13, v12, v13
	; wave barrier
	s_nop 1
	v_mov_b32_dpp v18, v13 row_shr:1 row_mask:0xf bank_mask:0xf
	v_max_u32_e32 v18, v18, v13
	v_cndmask_b32_e64 v13, v18, v13, s[4:5]
	v_cmp_lt_u32_e64 s[4:5], 1, v17
	s_nop 0
	v_mov_b32_dpp v18, v13 row_shr:2 row_mask:0xf bank_mask:0xf
	v_max_u32_e32 v18, v18, v13
	v_cndmask_b32_e64 v13, v13, v18, s[4:5]
	v_cmp_lt_u32_e64 s[4:5], 3, v17
	s_nop 0
	v_mov_b32_dpp v18, v13 row_shr:4 row_mask:0xf bank_mask:0xf
	v_max_u32_e32 v18, v18, v13
	v_cndmask_b32_e64 v13, v13, v18, s[4:5]
	v_cmp_lt_u32_e64 s[4:5], 7, v17
	s_nop 0
	v_mov_b32_dpp v18, v13 row_shr:8 row_mask:0xf bank_mask:0xf
	v_max_u32_e32 v18, v18, v13
	v_cndmask_b32_e64 v13, v13, v18, s[4:5]
	v_and_b32_e32 v18, 16, v16
	v_cmp_eq_u32_e64 s[4:5], 0, v18
	v_mov_b32_dpp v17, v13 row_bcast:15 row_mask:0xf bank_mask:0xf
	v_max_u32_e32 v17, v17, v13
	v_cndmask_b32_e64 v13, v17, v13, s[4:5]
	v_cmp_lt_u32_e64 s[4:5], 31, v16
	v_and_b32_e32 v18, 64, v16
	v_mov_b32_dpp v17, v13 row_bcast:31 row_mask:0xf bank_mask:0xf
	v_max_u32_e32 v17, v17, v13
	v_cndmask_b32_e64 v13, v13, v17, s[4:5]
	v_add_u32_e32 v17, -1, v16
	v_cmp_lt_i32_e64 s[4:5], v17, v18
	v_cndmask_b32_e64 v16, v17, v16, s[4:5]
	v_lshlrev_b32_e32 v16, 2, v16
	ds_bpermute_b32 v13, v16, v13
	v_cmp_eq_u32_e64 s[4:5], 0, v0
	s_waitcnt lgkmcnt(0)
	v_max_u32_e32 v12, v13, v12
	v_cndmask_b32_e64 v11, v12, v11, s[4:5]
	ds_write_b32 v15, v11
	; wave barrier
	ds_read_b32 v12, v15 offset:4
	s_waitcnt lgkmcnt(0)
	v_max_u32_e32 v11, v11, v12
	ds_write_b32 v15, v11 offset:4
.LBB2340_22:
	s_or_b64 exec, exec, s[22:23]
	v_cmp_ne_u32_e64 s[4:5], 0, v0
	v_mov_b32_e32 v12, s24
	s_waitcnt lgkmcnt(0)
	s_barrier
	s_and_saveexec_b64 s[22:23], s[4:5]
	s_cbranch_execz .LBB2340_24
; %bb.23:
	v_add_u32_e32 v11, -1, v0
	v_lshrrev_b32_e32 v12, 5, v11
	v_add_lshl_u32 v11, v12, v11, 2
	ds_read_b32 v11, v11
	s_waitcnt lgkmcnt(0)
	v_max_u32_e32 v12, s24, v11
.LBB2340_24:
	s_or_b64 exec, exec, s[22:23]
	v_max_u32_e32 v13, v12, v6
	v_max_u32_e32 v6, v13, v7
	;; [unrolled: 1-line block ×8, first 2 shown]
	s_movk_i32 s4, 0xffdc
	v_max_u32_e32 v5, v4, v10
	v_mad_i32_i24 v0, v0, s4, v1
	s_barrier
	ds_write2_b64 v1, v[12:13], v[6:7] offset1:1
	ds_write2_b64 v1, v[8:9], v[2:3] offset0:2 offset1:3
	ds_write_b64 v1, v[4:5] offset:32
	s_waitcnt lgkmcnt(0)
	s_barrier
	ds_read2st64_b32 v[8:9], v0 offset0:2 offset1:4
	ds_read2st64_b32 v[6:7], v0 offset0:6 offset1:8
	;; [unrolled: 1-line block ×4, first 2 shown]
	ds_read_b32 v10, v14 offset:4096
	v_mov_b32_e32 v3, s21
	v_add_co_u32_e64 v2, s[4:5], s20, v14
	v_addc_co_u32_e64 v3, s[4:5], 0, v3, s[4:5]
	s_and_saveexec_b64 s[4:5], vcc
	s_cbranch_execnz .LBB2340_35
; %bb.25:
	s_or_b64 exec, exec, s[4:5]
	s_and_saveexec_b64 s[4:5], s[0:1]
	s_cbranch_execnz .LBB2340_36
.LBB2340_26:
	s_or_b64 exec, exec, s[4:5]
	s_and_saveexec_b64 s[0:1], s[2:3]
	s_cbranch_execnz .LBB2340_37
.LBB2340_27:
	s_or_b64 exec, exec, s[0:1]
	s_and_saveexec_b64 s[0:1], s[18:19]
	s_cbranch_execnz .LBB2340_38
.LBB2340_28:
	s_or_b64 exec, exec, s[0:1]
	s_and_saveexec_b64 s[0:1], s[6:7]
	s_cbranch_execnz .LBB2340_39
.LBB2340_29:
	s_or_b64 exec, exec, s[0:1]
	s_and_saveexec_b64 s[0:1], s[8:9]
	s_cbranch_execnz .LBB2340_40
.LBB2340_30:
	s_or_b64 exec, exec, s[0:1]
	s_and_saveexec_b64 s[0:1], s[10:11]
	s_cbranch_execnz .LBB2340_41
.LBB2340_31:
	s_or_b64 exec, exec, s[0:1]
	s_and_saveexec_b64 s[0:1], s[12:13]
	s_cbranch_execnz .LBB2340_42
.LBB2340_32:
	s_or_b64 exec, exec, s[0:1]
	s_and_saveexec_b64 s[0:1], s[14:15]
	s_cbranch_execnz .LBB2340_43
.LBB2340_33:
	s_or_b64 exec, exec, s[0:1]
	s_and_saveexec_b64 s[0:1], s[16:17]
	s_cbranch_execnz .LBB2340_44
.LBB2340_34:
	s_endpgm
.LBB2340_35:
	ds_read_b32 v11, v14
	s_waitcnt lgkmcnt(0)
	global_store_dword v[2:3], v11, off
	s_or_b64 exec, exec, s[4:5]
	s_and_saveexec_b64 s[4:5], s[0:1]
	s_cbranch_execz .LBB2340_26
.LBB2340_36:
	s_waitcnt lgkmcnt(4)
	global_store_dword v[2:3], v8, off offset:512
	s_or_b64 exec, exec, s[4:5]
	s_and_saveexec_b64 s[0:1], s[2:3]
	s_cbranch_execz .LBB2340_27
.LBB2340_37:
	s_waitcnt lgkmcnt(4)
	global_store_dword v[2:3], v9, off offset:1024
	s_or_b64 exec, exec, s[0:1]
	s_and_saveexec_b64 s[0:1], s[18:19]
	s_cbranch_execz .LBB2340_28
.LBB2340_38:
	s_waitcnt lgkmcnt(3)
	global_store_dword v[2:3], v6, off offset:1536
	s_or_b64 exec, exec, s[0:1]
	s_and_saveexec_b64 s[0:1], s[6:7]
	s_cbranch_execz .LBB2340_29
.LBB2340_39:
	s_waitcnt lgkmcnt(3)
	global_store_dword v[2:3], v7, off offset:2048
	s_or_b64 exec, exec, s[0:1]
	s_and_saveexec_b64 s[0:1], s[8:9]
	s_cbranch_execz .LBB2340_30
.LBB2340_40:
	s_waitcnt lgkmcnt(2)
	global_store_dword v[2:3], v4, off offset:2560
	s_or_b64 exec, exec, s[0:1]
	s_and_saveexec_b64 s[0:1], s[10:11]
	s_cbranch_execz .LBB2340_31
.LBB2340_41:
	s_waitcnt lgkmcnt(2)
	global_store_dword v[2:3], v5, off offset:3072
	s_or_b64 exec, exec, s[0:1]
	s_and_saveexec_b64 s[0:1], s[12:13]
	s_cbranch_execz .LBB2340_32
.LBB2340_42:
	s_waitcnt lgkmcnt(1)
	global_store_dword v[2:3], v0, off offset:3584
	s_or_b64 exec, exec, s[0:1]
	s_and_saveexec_b64 s[0:1], s[14:15]
	s_cbranch_execz .LBB2340_33
.LBB2340_43:
	s_waitcnt lgkmcnt(2)
	v_add_co_u32_e32 v4, vcc, 0x1000, v2
	v_addc_co_u32_e32 v5, vcc, 0, v3, vcc
	s_waitcnt lgkmcnt(0)
	global_store_dword v[4:5], v10, off
	s_or_b64 exec, exec, s[0:1]
	s_and_saveexec_b64 s[0:1], s[16:17]
	s_cbranch_execz .LBB2340_34
.LBB2340_44:
	v_add_co_u32_e32 v2, vcc, 0x1000, v2
	v_addc_co_u32_e32 v3, vcc, 0, v3, vcc
	s_waitcnt lgkmcnt(1)
	global_store_dword v[2:3], v1, off offset:512
	s_endpgm
	.section	.rodata,"a",@progbits
	.p2align	6, 0x0
	.amdhsa_kernel _ZN7rocprim17ROCPRIM_400000_NS6detail17trampoline_kernelINS0_14default_configENS1_20scan_config_selectorIjEEZZNS1_9scan_implILNS1_25lookback_scan_determinismE0ELb1ELb1ES3_N6thrust23THRUST_200600_302600_NS6detail15normal_iteratorINS9_10device_ptrIjEEEESE_j11max_functorIjEjEEDaPvRmT3_T4_T5_mT6_P12ihipStream_tbENKUlT_T0_E_clISt17integral_constantIbLb0EESU_EEDaSP_SQ_EUlSP_E0_NS1_11comp_targetILNS1_3genE4ELNS1_11target_archE910ELNS1_3gpuE8ELNS1_3repE0EEENS1_30default_config_static_selectorELNS0_4arch9wavefront6targetE1EEEvT1_
		.amdhsa_group_segment_fixed_size 5120
		.amdhsa_private_segment_fixed_size 0
		.amdhsa_kernarg_size 32
		.amdhsa_user_sgpr_count 6
		.amdhsa_user_sgpr_private_segment_buffer 1
		.amdhsa_user_sgpr_dispatch_ptr 0
		.amdhsa_user_sgpr_queue_ptr 0
		.amdhsa_user_sgpr_kernarg_segment_ptr 1
		.amdhsa_user_sgpr_dispatch_id 0
		.amdhsa_user_sgpr_flat_scratch_init 0
		.amdhsa_user_sgpr_kernarg_preload_length 0
		.amdhsa_user_sgpr_kernarg_preload_offset 0
		.amdhsa_user_sgpr_private_segment_size 0
		.amdhsa_uses_dynamic_stack 0
		.amdhsa_system_sgpr_private_segment_wavefront_offset 0
		.amdhsa_system_sgpr_workgroup_id_x 1
		.amdhsa_system_sgpr_workgroup_id_y 0
		.amdhsa_system_sgpr_workgroup_id_z 0
		.amdhsa_system_sgpr_workgroup_info 0
		.amdhsa_system_vgpr_workitem_id 0
		.amdhsa_next_free_vgpr 19
		.amdhsa_next_free_sgpr 25
		.amdhsa_accum_offset 20
		.amdhsa_reserve_vcc 1
		.amdhsa_reserve_flat_scratch 0
		.amdhsa_float_round_mode_32 0
		.amdhsa_float_round_mode_16_64 0
		.amdhsa_float_denorm_mode_32 3
		.amdhsa_float_denorm_mode_16_64 3
		.amdhsa_dx10_clamp 1
		.amdhsa_ieee_mode 1
		.amdhsa_fp16_overflow 0
		.amdhsa_tg_split 0
		.amdhsa_exception_fp_ieee_invalid_op 0
		.amdhsa_exception_fp_denorm_src 0
		.amdhsa_exception_fp_ieee_div_zero 0
		.amdhsa_exception_fp_ieee_overflow 0
		.amdhsa_exception_fp_ieee_underflow 0
		.amdhsa_exception_fp_ieee_inexact 0
		.amdhsa_exception_int_div_zero 0
	.end_amdhsa_kernel
	.section	.text._ZN7rocprim17ROCPRIM_400000_NS6detail17trampoline_kernelINS0_14default_configENS1_20scan_config_selectorIjEEZZNS1_9scan_implILNS1_25lookback_scan_determinismE0ELb1ELb1ES3_N6thrust23THRUST_200600_302600_NS6detail15normal_iteratorINS9_10device_ptrIjEEEESE_j11max_functorIjEjEEDaPvRmT3_T4_T5_mT6_P12ihipStream_tbENKUlT_T0_E_clISt17integral_constantIbLb0EESU_EEDaSP_SQ_EUlSP_E0_NS1_11comp_targetILNS1_3genE4ELNS1_11target_archE910ELNS1_3gpuE8ELNS1_3repE0EEENS1_30default_config_static_selectorELNS0_4arch9wavefront6targetE1EEEvT1_,"axG",@progbits,_ZN7rocprim17ROCPRIM_400000_NS6detail17trampoline_kernelINS0_14default_configENS1_20scan_config_selectorIjEEZZNS1_9scan_implILNS1_25lookback_scan_determinismE0ELb1ELb1ES3_N6thrust23THRUST_200600_302600_NS6detail15normal_iteratorINS9_10device_ptrIjEEEESE_j11max_functorIjEjEEDaPvRmT3_T4_T5_mT6_P12ihipStream_tbENKUlT_T0_E_clISt17integral_constantIbLb0EESU_EEDaSP_SQ_EUlSP_E0_NS1_11comp_targetILNS1_3genE4ELNS1_11target_archE910ELNS1_3gpuE8ELNS1_3repE0EEENS1_30default_config_static_selectorELNS0_4arch9wavefront6targetE1EEEvT1_,comdat
.Lfunc_end2340:
	.size	_ZN7rocprim17ROCPRIM_400000_NS6detail17trampoline_kernelINS0_14default_configENS1_20scan_config_selectorIjEEZZNS1_9scan_implILNS1_25lookback_scan_determinismE0ELb1ELb1ES3_N6thrust23THRUST_200600_302600_NS6detail15normal_iteratorINS9_10device_ptrIjEEEESE_j11max_functorIjEjEEDaPvRmT3_T4_T5_mT6_P12ihipStream_tbENKUlT_T0_E_clISt17integral_constantIbLb0EESU_EEDaSP_SQ_EUlSP_E0_NS1_11comp_targetILNS1_3genE4ELNS1_11target_archE910ELNS1_3gpuE8ELNS1_3repE0EEENS1_30default_config_static_selectorELNS0_4arch9wavefront6targetE1EEEvT1_, .Lfunc_end2340-_ZN7rocprim17ROCPRIM_400000_NS6detail17trampoline_kernelINS0_14default_configENS1_20scan_config_selectorIjEEZZNS1_9scan_implILNS1_25lookback_scan_determinismE0ELb1ELb1ES3_N6thrust23THRUST_200600_302600_NS6detail15normal_iteratorINS9_10device_ptrIjEEEESE_j11max_functorIjEjEEDaPvRmT3_T4_T5_mT6_P12ihipStream_tbENKUlT_T0_E_clISt17integral_constantIbLb0EESU_EEDaSP_SQ_EUlSP_E0_NS1_11comp_targetILNS1_3genE4ELNS1_11target_archE910ELNS1_3gpuE8ELNS1_3repE0EEENS1_30default_config_static_selectorELNS0_4arch9wavefront6targetE1EEEvT1_
                                        ; -- End function
	.section	.AMDGPU.csdata,"",@progbits
; Kernel info:
; codeLenInByte = 1544
; NumSgprs: 29
; NumVgprs: 19
; NumAgprs: 0
; TotalNumVgprs: 19
; ScratchSize: 0
; MemoryBound: 0
; FloatMode: 240
; IeeeMode: 1
; LDSByteSize: 5120 bytes/workgroup (compile time only)
; SGPRBlocks: 3
; VGPRBlocks: 2
; NumSGPRsForWavesPerEU: 29
; NumVGPRsForWavesPerEU: 19
; AccumOffset: 20
; Occupancy: 6
; WaveLimiterHint : 0
; COMPUTE_PGM_RSRC2:SCRATCH_EN: 0
; COMPUTE_PGM_RSRC2:USER_SGPR: 6
; COMPUTE_PGM_RSRC2:TRAP_HANDLER: 0
; COMPUTE_PGM_RSRC2:TGID_X_EN: 1
; COMPUTE_PGM_RSRC2:TGID_Y_EN: 0
; COMPUTE_PGM_RSRC2:TGID_Z_EN: 0
; COMPUTE_PGM_RSRC2:TIDIG_COMP_CNT: 0
; COMPUTE_PGM_RSRC3_GFX90A:ACCUM_OFFSET: 4
; COMPUTE_PGM_RSRC3_GFX90A:TG_SPLIT: 0
	.section	.text._ZN7rocprim17ROCPRIM_400000_NS6detail17trampoline_kernelINS0_14default_configENS1_20scan_config_selectorIjEEZZNS1_9scan_implILNS1_25lookback_scan_determinismE0ELb1ELb1ES3_N6thrust23THRUST_200600_302600_NS6detail15normal_iteratorINS9_10device_ptrIjEEEESE_j11max_functorIjEjEEDaPvRmT3_T4_T5_mT6_P12ihipStream_tbENKUlT_T0_E_clISt17integral_constantIbLb0EESU_EEDaSP_SQ_EUlSP_E0_NS1_11comp_targetILNS1_3genE3ELNS1_11target_archE908ELNS1_3gpuE7ELNS1_3repE0EEENS1_30default_config_static_selectorELNS0_4arch9wavefront6targetE1EEEvT1_,"axG",@progbits,_ZN7rocprim17ROCPRIM_400000_NS6detail17trampoline_kernelINS0_14default_configENS1_20scan_config_selectorIjEEZZNS1_9scan_implILNS1_25lookback_scan_determinismE0ELb1ELb1ES3_N6thrust23THRUST_200600_302600_NS6detail15normal_iteratorINS9_10device_ptrIjEEEESE_j11max_functorIjEjEEDaPvRmT3_T4_T5_mT6_P12ihipStream_tbENKUlT_T0_E_clISt17integral_constantIbLb0EESU_EEDaSP_SQ_EUlSP_E0_NS1_11comp_targetILNS1_3genE3ELNS1_11target_archE908ELNS1_3gpuE7ELNS1_3repE0EEENS1_30default_config_static_selectorELNS0_4arch9wavefront6targetE1EEEvT1_,comdat
	.protected	_ZN7rocprim17ROCPRIM_400000_NS6detail17trampoline_kernelINS0_14default_configENS1_20scan_config_selectorIjEEZZNS1_9scan_implILNS1_25lookback_scan_determinismE0ELb1ELb1ES3_N6thrust23THRUST_200600_302600_NS6detail15normal_iteratorINS9_10device_ptrIjEEEESE_j11max_functorIjEjEEDaPvRmT3_T4_T5_mT6_P12ihipStream_tbENKUlT_T0_E_clISt17integral_constantIbLb0EESU_EEDaSP_SQ_EUlSP_E0_NS1_11comp_targetILNS1_3genE3ELNS1_11target_archE908ELNS1_3gpuE7ELNS1_3repE0EEENS1_30default_config_static_selectorELNS0_4arch9wavefront6targetE1EEEvT1_ ; -- Begin function _ZN7rocprim17ROCPRIM_400000_NS6detail17trampoline_kernelINS0_14default_configENS1_20scan_config_selectorIjEEZZNS1_9scan_implILNS1_25lookback_scan_determinismE0ELb1ELb1ES3_N6thrust23THRUST_200600_302600_NS6detail15normal_iteratorINS9_10device_ptrIjEEEESE_j11max_functorIjEjEEDaPvRmT3_T4_T5_mT6_P12ihipStream_tbENKUlT_T0_E_clISt17integral_constantIbLb0EESU_EEDaSP_SQ_EUlSP_E0_NS1_11comp_targetILNS1_3genE3ELNS1_11target_archE908ELNS1_3gpuE7ELNS1_3repE0EEENS1_30default_config_static_selectorELNS0_4arch9wavefront6targetE1EEEvT1_
	.globl	_ZN7rocprim17ROCPRIM_400000_NS6detail17trampoline_kernelINS0_14default_configENS1_20scan_config_selectorIjEEZZNS1_9scan_implILNS1_25lookback_scan_determinismE0ELb1ELb1ES3_N6thrust23THRUST_200600_302600_NS6detail15normal_iteratorINS9_10device_ptrIjEEEESE_j11max_functorIjEjEEDaPvRmT3_T4_T5_mT6_P12ihipStream_tbENKUlT_T0_E_clISt17integral_constantIbLb0EESU_EEDaSP_SQ_EUlSP_E0_NS1_11comp_targetILNS1_3genE3ELNS1_11target_archE908ELNS1_3gpuE7ELNS1_3repE0EEENS1_30default_config_static_selectorELNS0_4arch9wavefront6targetE1EEEvT1_
	.p2align	8
	.type	_ZN7rocprim17ROCPRIM_400000_NS6detail17trampoline_kernelINS0_14default_configENS1_20scan_config_selectorIjEEZZNS1_9scan_implILNS1_25lookback_scan_determinismE0ELb1ELb1ES3_N6thrust23THRUST_200600_302600_NS6detail15normal_iteratorINS9_10device_ptrIjEEEESE_j11max_functorIjEjEEDaPvRmT3_T4_T5_mT6_P12ihipStream_tbENKUlT_T0_E_clISt17integral_constantIbLb0EESU_EEDaSP_SQ_EUlSP_E0_NS1_11comp_targetILNS1_3genE3ELNS1_11target_archE908ELNS1_3gpuE7ELNS1_3repE0EEENS1_30default_config_static_selectorELNS0_4arch9wavefront6targetE1EEEvT1_,@function
_ZN7rocprim17ROCPRIM_400000_NS6detail17trampoline_kernelINS0_14default_configENS1_20scan_config_selectorIjEEZZNS1_9scan_implILNS1_25lookback_scan_determinismE0ELb1ELb1ES3_N6thrust23THRUST_200600_302600_NS6detail15normal_iteratorINS9_10device_ptrIjEEEESE_j11max_functorIjEjEEDaPvRmT3_T4_T5_mT6_P12ihipStream_tbENKUlT_T0_E_clISt17integral_constantIbLb0EESU_EEDaSP_SQ_EUlSP_E0_NS1_11comp_targetILNS1_3genE3ELNS1_11target_archE908ELNS1_3gpuE7ELNS1_3repE0EEENS1_30default_config_static_selectorELNS0_4arch9wavefront6targetE1EEEvT1_: ; @_ZN7rocprim17ROCPRIM_400000_NS6detail17trampoline_kernelINS0_14default_configENS1_20scan_config_selectorIjEEZZNS1_9scan_implILNS1_25lookback_scan_determinismE0ELb1ELb1ES3_N6thrust23THRUST_200600_302600_NS6detail15normal_iteratorINS9_10device_ptrIjEEEESE_j11max_functorIjEjEEDaPvRmT3_T4_T5_mT6_P12ihipStream_tbENKUlT_T0_E_clISt17integral_constantIbLb0EESU_EEDaSP_SQ_EUlSP_E0_NS1_11comp_targetILNS1_3genE3ELNS1_11target_archE908ELNS1_3gpuE7ELNS1_3repE0EEENS1_30default_config_static_selectorELNS0_4arch9wavefront6targetE1EEEvT1_
; %bb.0:
	.section	.rodata,"a",@progbits
	.p2align	6, 0x0
	.amdhsa_kernel _ZN7rocprim17ROCPRIM_400000_NS6detail17trampoline_kernelINS0_14default_configENS1_20scan_config_selectorIjEEZZNS1_9scan_implILNS1_25lookback_scan_determinismE0ELb1ELb1ES3_N6thrust23THRUST_200600_302600_NS6detail15normal_iteratorINS9_10device_ptrIjEEEESE_j11max_functorIjEjEEDaPvRmT3_T4_T5_mT6_P12ihipStream_tbENKUlT_T0_E_clISt17integral_constantIbLb0EESU_EEDaSP_SQ_EUlSP_E0_NS1_11comp_targetILNS1_3genE3ELNS1_11target_archE908ELNS1_3gpuE7ELNS1_3repE0EEENS1_30default_config_static_selectorELNS0_4arch9wavefront6targetE1EEEvT1_
		.amdhsa_group_segment_fixed_size 0
		.amdhsa_private_segment_fixed_size 0
		.amdhsa_kernarg_size 32
		.amdhsa_user_sgpr_count 6
		.amdhsa_user_sgpr_private_segment_buffer 1
		.amdhsa_user_sgpr_dispatch_ptr 0
		.amdhsa_user_sgpr_queue_ptr 0
		.amdhsa_user_sgpr_kernarg_segment_ptr 1
		.amdhsa_user_sgpr_dispatch_id 0
		.amdhsa_user_sgpr_flat_scratch_init 0
		.amdhsa_user_sgpr_kernarg_preload_length 0
		.amdhsa_user_sgpr_kernarg_preload_offset 0
		.amdhsa_user_sgpr_private_segment_size 0
		.amdhsa_uses_dynamic_stack 0
		.amdhsa_system_sgpr_private_segment_wavefront_offset 0
		.amdhsa_system_sgpr_workgroup_id_x 1
		.amdhsa_system_sgpr_workgroup_id_y 0
		.amdhsa_system_sgpr_workgroup_id_z 0
		.amdhsa_system_sgpr_workgroup_info 0
		.amdhsa_system_vgpr_workitem_id 0
		.amdhsa_next_free_vgpr 1
		.amdhsa_next_free_sgpr 0
		.amdhsa_accum_offset 4
		.amdhsa_reserve_vcc 0
		.amdhsa_reserve_flat_scratch 0
		.amdhsa_float_round_mode_32 0
		.amdhsa_float_round_mode_16_64 0
		.amdhsa_float_denorm_mode_32 3
		.amdhsa_float_denorm_mode_16_64 3
		.amdhsa_dx10_clamp 1
		.amdhsa_ieee_mode 1
		.amdhsa_fp16_overflow 0
		.amdhsa_tg_split 0
		.amdhsa_exception_fp_ieee_invalid_op 0
		.amdhsa_exception_fp_denorm_src 0
		.amdhsa_exception_fp_ieee_div_zero 0
		.amdhsa_exception_fp_ieee_overflow 0
		.amdhsa_exception_fp_ieee_underflow 0
		.amdhsa_exception_fp_ieee_inexact 0
		.amdhsa_exception_int_div_zero 0
	.end_amdhsa_kernel
	.section	.text._ZN7rocprim17ROCPRIM_400000_NS6detail17trampoline_kernelINS0_14default_configENS1_20scan_config_selectorIjEEZZNS1_9scan_implILNS1_25lookback_scan_determinismE0ELb1ELb1ES3_N6thrust23THRUST_200600_302600_NS6detail15normal_iteratorINS9_10device_ptrIjEEEESE_j11max_functorIjEjEEDaPvRmT3_T4_T5_mT6_P12ihipStream_tbENKUlT_T0_E_clISt17integral_constantIbLb0EESU_EEDaSP_SQ_EUlSP_E0_NS1_11comp_targetILNS1_3genE3ELNS1_11target_archE908ELNS1_3gpuE7ELNS1_3repE0EEENS1_30default_config_static_selectorELNS0_4arch9wavefront6targetE1EEEvT1_,"axG",@progbits,_ZN7rocprim17ROCPRIM_400000_NS6detail17trampoline_kernelINS0_14default_configENS1_20scan_config_selectorIjEEZZNS1_9scan_implILNS1_25lookback_scan_determinismE0ELb1ELb1ES3_N6thrust23THRUST_200600_302600_NS6detail15normal_iteratorINS9_10device_ptrIjEEEESE_j11max_functorIjEjEEDaPvRmT3_T4_T5_mT6_P12ihipStream_tbENKUlT_T0_E_clISt17integral_constantIbLb0EESU_EEDaSP_SQ_EUlSP_E0_NS1_11comp_targetILNS1_3genE3ELNS1_11target_archE908ELNS1_3gpuE7ELNS1_3repE0EEENS1_30default_config_static_selectorELNS0_4arch9wavefront6targetE1EEEvT1_,comdat
.Lfunc_end2341:
	.size	_ZN7rocprim17ROCPRIM_400000_NS6detail17trampoline_kernelINS0_14default_configENS1_20scan_config_selectorIjEEZZNS1_9scan_implILNS1_25lookback_scan_determinismE0ELb1ELb1ES3_N6thrust23THRUST_200600_302600_NS6detail15normal_iteratorINS9_10device_ptrIjEEEESE_j11max_functorIjEjEEDaPvRmT3_T4_T5_mT6_P12ihipStream_tbENKUlT_T0_E_clISt17integral_constantIbLb0EESU_EEDaSP_SQ_EUlSP_E0_NS1_11comp_targetILNS1_3genE3ELNS1_11target_archE908ELNS1_3gpuE7ELNS1_3repE0EEENS1_30default_config_static_selectorELNS0_4arch9wavefront6targetE1EEEvT1_, .Lfunc_end2341-_ZN7rocprim17ROCPRIM_400000_NS6detail17trampoline_kernelINS0_14default_configENS1_20scan_config_selectorIjEEZZNS1_9scan_implILNS1_25lookback_scan_determinismE0ELb1ELb1ES3_N6thrust23THRUST_200600_302600_NS6detail15normal_iteratorINS9_10device_ptrIjEEEESE_j11max_functorIjEjEEDaPvRmT3_T4_T5_mT6_P12ihipStream_tbENKUlT_T0_E_clISt17integral_constantIbLb0EESU_EEDaSP_SQ_EUlSP_E0_NS1_11comp_targetILNS1_3genE3ELNS1_11target_archE908ELNS1_3gpuE7ELNS1_3repE0EEENS1_30default_config_static_selectorELNS0_4arch9wavefront6targetE1EEEvT1_
                                        ; -- End function
	.section	.AMDGPU.csdata,"",@progbits
; Kernel info:
; codeLenInByte = 0
; NumSgprs: 4
; NumVgprs: 0
; NumAgprs: 0
; TotalNumVgprs: 0
; ScratchSize: 0
; MemoryBound: 0
; FloatMode: 240
; IeeeMode: 1
; LDSByteSize: 0 bytes/workgroup (compile time only)
; SGPRBlocks: 0
; VGPRBlocks: 0
; NumSGPRsForWavesPerEU: 4
; NumVGPRsForWavesPerEU: 1
; AccumOffset: 4
; Occupancy: 8
; WaveLimiterHint : 0
; COMPUTE_PGM_RSRC2:SCRATCH_EN: 0
; COMPUTE_PGM_RSRC2:USER_SGPR: 6
; COMPUTE_PGM_RSRC2:TRAP_HANDLER: 0
; COMPUTE_PGM_RSRC2:TGID_X_EN: 1
; COMPUTE_PGM_RSRC2:TGID_Y_EN: 0
; COMPUTE_PGM_RSRC2:TGID_Z_EN: 0
; COMPUTE_PGM_RSRC2:TIDIG_COMP_CNT: 0
; COMPUTE_PGM_RSRC3_GFX90A:ACCUM_OFFSET: 0
; COMPUTE_PGM_RSRC3_GFX90A:TG_SPLIT: 0
	.section	.text._ZN7rocprim17ROCPRIM_400000_NS6detail17trampoline_kernelINS0_14default_configENS1_20scan_config_selectorIjEEZZNS1_9scan_implILNS1_25lookback_scan_determinismE0ELb1ELb1ES3_N6thrust23THRUST_200600_302600_NS6detail15normal_iteratorINS9_10device_ptrIjEEEESE_j11max_functorIjEjEEDaPvRmT3_T4_T5_mT6_P12ihipStream_tbENKUlT_T0_E_clISt17integral_constantIbLb0EESU_EEDaSP_SQ_EUlSP_E0_NS1_11comp_targetILNS1_3genE2ELNS1_11target_archE906ELNS1_3gpuE6ELNS1_3repE0EEENS1_30default_config_static_selectorELNS0_4arch9wavefront6targetE1EEEvT1_,"axG",@progbits,_ZN7rocprim17ROCPRIM_400000_NS6detail17trampoline_kernelINS0_14default_configENS1_20scan_config_selectorIjEEZZNS1_9scan_implILNS1_25lookback_scan_determinismE0ELb1ELb1ES3_N6thrust23THRUST_200600_302600_NS6detail15normal_iteratorINS9_10device_ptrIjEEEESE_j11max_functorIjEjEEDaPvRmT3_T4_T5_mT6_P12ihipStream_tbENKUlT_T0_E_clISt17integral_constantIbLb0EESU_EEDaSP_SQ_EUlSP_E0_NS1_11comp_targetILNS1_3genE2ELNS1_11target_archE906ELNS1_3gpuE6ELNS1_3repE0EEENS1_30default_config_static_selectorELNS0_4arch9wavefront6targetE1EEEvT1_,comdat
	.protected	_ZN7rocprim17ROCPRIM_400000_NS6detail17trampoline_kernelINS0_14default_configENS1_20scan_config_selectorIjEEZZNS1_9scan_implILNS1_25lookback_scan_determinismE0ELb1ELb1ES3_N6thrust23THRUST_200600_302600_NS6detail15normal_iteratorINS9_10device_ptrIjEEEESE_j11max_functorIjEjEEDaPvRmT3_T4_T5_mT6_P12ihipStream_tbENKUlT_T0_E_clISt17integral_constantIbLb0EESU_EEDaSP_SQ_EUlSP_E0_NS1_11comp_targetILNS1_3genE2ELNS1_11target_archE906ELNS1_3gpuE6ELNS1_3repE0EEENS1_30default_config_static_selectorELNS0_4arch9wavefront6targetE1EEEvT1_ ; -- Begin function _ZN7rocprim17ROCPRIM_400000_NS6detail17trampoline_kernelINS0_14default_configENS1_20scan_config_selectorIjEEZZNS1_9scan_implILNS1_25lookback_scan_determinismE0ELb1ELb1ES3_N6thrust23THRUST_200600_302600_NS6detail15normal_iteratorINS9_10device_ptrIjEEEESE_j11max_functorIjEjEEDaPvRmT3_T4_T5_mT6_P12ihipStream_tbENKUlT_T0_E_clISt17integral_constantIbLb0EESU_EEDaSP_SQ_EUlSP_E0_NS1_11comp_targetILNS1_3genE2ELNS1_11target_archE906ELNS1_3gpuE6ELNS1_3repE0EEENS1_30default_config_static_selectorELNS0_4arch9wavefront6targetE1EEEvT1_
	.globl	_ZN7rocprim17ROCPRIM_400000_NS6detail17trampoline_kernelINS0_14default_configENS1_20scan_config_selectorIjEEZZNS1_9scan_implILNS1_25lookback_scan_determinismE0ELb1ELb1ES3_N6thrust23THRUST_200600_302600_NS6detail15normal_iteratorINS9_10device_ptrIjEEEESE_j11max_functorIjEjEEDaPvRmT3_T4_T5_mT6_P12ihipStream_tbENKUlT_T0_E_clISt17integral_constantIbLb0EESU_EEDaSP_SQ_EUlSP_E0_NS1_11comp_targetILNS1_3genE2ELNS1_11target_archE906ELNS1_3gpuE6ELNS1_3repE0EEENS1_30default_config_static_selectorELNS0_4arch9wavefront6targetE1EEEvT1_
	.p2align	8
	.type	_ZN7rocprim17ROCPRIM_400000_NS6detail17trampoline_kernelINS0_14default_configENS1_20scan_config_selectorIjEEZZNS1_9scan_implILNS1_25lookback_scan_determinismE0ELb1ELb1ES3_N6thrust23THRUST_200600_302600_NS6detail15normal_iteratorINS9_10device_ptrIjEEEESE_j11max_functorIjEjEEDaPvRmT3_T4_T5_mT6_P12ihipStream_tbENKUlT_T0_E_clISt17integral_constantIbLb0EESU_EEDaSP_SQ_EUlSP_E0_NS1_11comp_targetILNS1_3genE2ELNS1_11target_archE906ELNS1_3gpuE6ELNS1_3repE0EEENS1_30default_config_static_selectorELNS0_4arch9wavefront6targetE1EEEvT1_,@function
_ZN7rocprim17ROCPRIM_400000_NS6detail17trampoline_kernelINS0_14default_configENS1_20scan_config_selectorIjEEZZNS1_9scan_implILNS1_25lookback_scan_determinismE0ELb1ELb1ES3_N6thrust23THRUST_200600_302600_NS6detail15normal_iteratorINS9_10device_ptrIjEEEESE_j11max_functorIjEjEEDaPvRmT3_T4_T5_mT6_P12ihipStream_tbENKUlT_T0_E_clISt17integral_constantIbLb0EESU_EEDaSP_SQ_EUlSP_E0_NS1_11comp_targetILNS1_3genE2ELNS1_11target_archE906ELNS1_3gpuE6ELNS1_3repE0EEENS1_30default_config_static_selectorELNS0_4arch9wavefront6targetE1EEEvT1_: ; @_ZN7rocprim17ROCPRIM_400000_NS6detail17trampoline_kernelINS0_14default_configENS1_20scan_config_selectorIjEEZZNS1_9scan_implILNS1_25lookback_scan_determinismE0ELb1ELb1ES3_N6thrust23THRUST_200600_302600_NS6detail15normal_iteratorINS9_10device_ptrIjEEEESE_j11max_functorIjEjEEDaPvRmT3_T4_T5_mT6_P12ihipStream_tbENKUlT_T0_E_clISt17integral_constantIbLb0EESU_EEDaSP_SQ_EUlSP_E0_NS1_11comp_targetILNS1_3genE2ELNS1_11target_archE906ELNS1_3gpuE6ELNS1_3repE0EEENS1_30default_config_static_selectorELNS0_4arch9wavefront6targetE1EEEvT1_
; %bb.0:
	.section	.rodata,"a",@progbits
	.p2align	6, 0x0
	.amdhsa_kernel _ZN7rocprim17ROCPRIM_400000_NS6detail17trampoline_kernelINS0_14default_configENS1_20scan_config_selectorIjEEZZNS1_9scan_implILNS1_25lookback_scan_determinismE0ELb1ELb1ES3_N6thrust23THRUST_200600_302600_NS6detail15normal_iteratorINS9_10device_ptrIjEEEESE_j11max_functorIjEjEEDaPvRmT3_T4_T5_mT6_P12ihipStream_tbENKUlT_T0_E_clISt17integral_constantIbLb0EESU_EEDaSP_SQ_EUlSP_E0_NS1_11comp_targetILNS1_3genE2ELNS1_11target_archE906ELNS1_3gpuE6ELNS1_3repE0EEENS1_30default_config_static_selectorELNS0_4arch9wavefront6targetE1EEEvT1_
		.amdhsa_group_segment_fixed_size 0
		.amdhsa_private_segment_fixed_size 0
		.amdhsa_kernarg_size 32
		.amdhsa_user_sgpr_count 6
		.amdhsa_user_sgpr_private_segment_buffer 1
		.amdhsa_user_sgpr_dispatch_ptr 0
		.amdhsa_user_sgpr_queue_ptr 0
		.amdhsa_user_sgpr_kernarg_segment_ptr 1
		.amdhsa_user_sgpr_dispatch_id 0
		.amdhsa_user_sgpr_flat_scratch_init 0
		.amdhsa_user_sgpr_kernarg_preload_length 0
		.amdhsa_user_sgpr_kernarg_preload_offset 0
		.amdhsa_user_sgpr_private_segment_size 0
		.amdhsa_uses_dynamic_stack 0
		.amdhsa_system_sgpr_private_segment_wavefront_offset 0
		.amdhsa_system_sgpr_workgroup_id_x 1
		.amdhsa_system_sgpr_workgroup_id_y 0
		.amdhsa_system_sgpr_workgroup_id_z 0
		.amdhsa_system_sgpr_workgroup_info 0
		.amdhsa_system_vgpr_workitem_id 0
		.amdhsa_next_free_vgpr 1
		.amdhsa_next_free_sgpr 0
		.amdhsa_accum_offset 4
		.amdhsa_reserve_vcc 0
		.amdhsa_reserve_flat_scratch 0
		.amdhsa_float_round_mode_32 0
		.amdhsa_float_round_mode_16_64 0
		.amdhsa_float_denorm_mode_32 3
		.amdhsa_float_denorm_mode_16_64 3
		.amdhsa_dx10_clamp 1
		.amdhsa_ieee_mode 1
		.amdhsa_fp16_overflow 0
		.amdhsa_tg_split 0
		.amdhsa_exception_fp_ieee_invalid_op 0
		.amdhsa_exception_fp_denorm_src 0
		.amdhsa_exception_fp_ieee_div_zero 0
		.amdhsa_exception_fp_ieee_overflow 0
		.amdhsa_exception_fp_ieee_underflow 0
		.amdhsa_exception_fp_ieee_inexact 0
		.amdhsa_exception_int_div_zero 0
	.end_amdhsa_kernel
	.section	.text._ZN7rocprim17ROCPRIM_400000_NS6detail17trampoline_kernelINS0_14default_configENS1_20scan_config_selectorIjEEZZNS1_9scan_implILNS1_25lookback_scan_determinismE0ELb1ELb1ES3_N6thrust23THRUST_200600_302600_NS6detail15normal_iteratorINS9_10device_ptrIjEEEESE_j11max_functorIjEjEEDaPvRmT3_T4_T5_mT6_P12ihipStream_tbENKUlT_T0_E_clISt17integral_constantIbLb0EESU_EEDaSP_SQ_EUlSP_E0_NS1_11comp_targetILNS1_3genE2ELNS1_11target_archE906ELNS1_3gpuE6ELNS1_3repE0EEENS1_30default_config_static_selectorELNS0_4arch9wavefront6targetE1EEEvT1_,"axG",@progbits,_ZN7rocprim17ROCPRIM_400000_NS6detail17trampoline_kernelINS0_14default_configENS1_20scan_config_selectorIjEEZZNS1_9scan_implILNS1_25lookback_scan_determinismE0ELb1ELb1ES3_N6thrust23THRUST_200600_302600_NS6detail15normal_iteratorINS9_10device_ptrIjEEEESE_j11max_functorIjEjEEDaPvRmT3_T4_T5_mT6_P12ihipStream_tbENKUlT_T0_E_clISt17integral_constantIbLb0EESU_EEDaSP_SQ_EUlSP_E0_NS1_11comp_targetILNS1_3genE2ELNS1_11target_archE906ELNS1_3gpuE6ELNS1_3repE0EEENS1_30default_config_static_selectorELNS0_4arch9wavefront6targetE1EEEvT1_,comdat
.Lfunc_end2342:
	.size	_ZN7rocprim17ROCPRIM_400000_NS6detail17trampoline_kernelINS0_14default_configENS1_20scan_config_selectorIjEEZZNS1_9scan_implILNS1_25lookback_scan_determinismE0ELb1ELb1ES3_N6thrust23THRUST_200600_302600_NS6detail15normal_iteratorINS9_10device_ptrIjEEEESE_j11max_functorIjEjEEDaPvRmT3_T4_T5_mT6_P12ihipStream_tbENKUlT_T0_E_clISt17integral_constantIbLb0EESU_EEDaSP_SQ_EUlSP_E0_NS1_11comp_targetILNS1_3genE2ELNS1_11target_archE906ELNS1_3gpuE6ELNS1_3repE0EEENS1_30default_config_static_selectorELNS0_4arch9wavefront6targetE1EEEvT1_, .Lfunc_end2342-_ZN7rocprim17ROCPRIM_400000_NS6detail17trampoline_kernelINS0_14default_configENS1_20scan_config_selectorIjEEZZNS1_9scan_implILNS1_25lookback_scan_determinismE0ELb1ELb1ES3_N6thrust23THRUST_200600_302600_NS6detail15normal_iteratorINS9_10device_ptrIjEEEESE_j11max_functorIjEjEEDaPvRmT3_T4_T5_mT6_P12ihipStream_tbENKUlT_T0_E_clISt17integral_constantIbLb0EESU_EEDaSP_SQ_EUlSP_E0_NS1_11comp_targetILNS1_3genE2ELNS1_11target_archE906ELNS1_3gpuE6ELNS1_3repE0EEENS1_30default_config_static_selectorELNS0_4arch9wavefront6targetE1EEEvT1_
                                        ; -- End function
	.section	.AMDGPU.csdata,"",@progbits
; Kernel info:
; codeLenInByte = 0
; NumSgprs: 4
; NumVgprs: 0
; NumAgprs: 0
; TotalNumVgprs: 0
; ScratchSize: 0
; MemoryBound: 0
; FloatMode: 240
; IeeeMode: 1
; LDSByteSize: 0 bytes/workgroup (compile time only)
; SGPRBlocks: 0
; VGPRBlocks: 0
; NumSGPRsForWavesPerEU: 4
; NumVGPRsForWavesPerEU: 1
; AccumOffset: 4
; Occupancy: 8
; WaveLimiterHint : 0
; COMPUTE_PGM_RSRC2:SCRATCH_EN: 0
; COMPUTE_PGM_RSRC2:USER_SGPR: 6
; COMPUTE_PGM_RSRC2:TRAP_HANDLER: 0
; COMPUTE_PGM_RSRC2:TGID_X_EN: 1
; COMPUTE_PGM_RSRC2:TGID_Y_EN: 0
; COMPUTE_PGM_RSRC2:TGID_Z_EN: 0
; COMPUTE_PGM_RSRC2:TIDIG_COMP_CNT: 0
; COMPUTE_PGM_RSRC3_GFX90A:ACCUM_OFFSET: 0
; COMPUTE_PGM_RSRC3_GFX90A:TG_SPLIT: 0
	.section	.text._ZN7rocprim17ROCPRIM_400000_NS6detail17trampoline_kernelINS0_14default_configENS1_20scan_config_selectorIjEEZZNS1_9scan_implILNS1_25lookback_scan_determinismE0ELb1ELb1ES3_N6thrust23THRUST_200600_302600_NS6detail15normal_iteratorINS9_10device_ptrIjEEEESE_j11max_functorIjEjEEDaPvRmT3_T4_T5_mT6_P12ihipStream_tbENKUlT_T0_E_clISt17integral_constantIbLb0EESU_EEDaSP_SQ_EUlSP_E0_NS1_11comp_targetILNS1_3genE10ELNS1_11target_archE1201ELNS1_3gpuE5ELNS1_3repE0EEENS1_30default_config_static_selectorELNS0_4arch9wavefront6targetE1EEEvT1_,"axG",@progbits,_ZN7rocprim17ROCPRIM_400000_NS6detail17trampoline_kernelINS0_14default_configENS1_20scan_config_selectorIjEEZZNS1_9scan_implILNS1_25lookback_scan_determinismE0ELb1ELb1ES3_N6thrust23THRUST_200600_302600_NS6detail15normal_iteratorINS9_10device_ptrIjEEEESE_j11max_functorIjEjEEDaPvRmT3_T4_T5_mT6_P12ihipStream_tbENKUlT_T0_E_clISt17integral_constantIbLb0EESU_EEDaSP_SQ_EUlSP_E0_NS1_11comp_targetILNS1_3genE10ELNS1_11target_archE1201ELNS1_3gpuE5ELNS1_3repE0EEENS1_30default_config_static_selectorELNS0_4arch9wavefront6targetE1EEEvT1_,comdat
	.protected	_ZN7rocprim17ROCPRIM_400000_NS6detail17trampoline_kernelINS0_14default_configENS1_20scan_config_selectorIjEEZZNS1_9scan_implILNS1_25lookback_scan_determinismE0ELb1ELb1ES3_N6thrust23THRUST_200600_302600_NS6detail15normal_iteratorINS9_10device_ptrIjEEEESE_j11max_functorIjEjEEDaPvRmT3_T4_T5_mT6_P12ihipStream_tbENKUlT_T0_E_clISt17integral_constantIbLb0EESU_EEDaSP_SQ_EUlSP_E0_NS1_11comp_targetILNS1_3genE10ELNS1_11target_archE1201ELNS1_3gpuE5ELNS1_3repE0EEENS1_30default_config_static_selectorELNS0_4arch9wavefront6targetE1EEEvT1_ ; -- Begin function _ZN7rocprim17ROCPRIM_400000_NS6detail17trampoline_kernelINS0_14default_configENS1_20scan_config_selectorIjEEZZNS1_9scan_implILNS1_25lookback_scan_determinismE0ELb1ELb1ES3_N6thrust23THRUST_200600_302600_NS6detail15normal_iteratorINS9_10device_ptrIjEEEESE_j11max_functorIjEjEEDaPvRmT3_T4_T5_mT6_P12ihipStream_tbENKUlT_T0_E_clISt17integral_constantIbLb0EESU_EEDaSP_SQ_EUlSP_E0_NS1_11comp_targetILNS1_3genE10ELNS1_11target_archE1201ELNS1_3gpuE5ELNS1_3repE0EEENS1_30default_config_static_selectorELNS0_4arch9wavefront6targetE1EEEvT1_
	.globl	_ZN7rocprim17ROCPRIM_400000_NS6detail17trampoline_kernelINS0_14default_configENS1_20scan_config_selectorIjEEZZNS1_9scan_implILNS1_25lookback_scan_determinismE0ELb1ELb1ES3_N6thrust23THRUST_200600_302600_NS6detail15normal_iteratorINS9_10device_ptrIjEEEESE_j11max_functorIjEjEEDaPvRmT3_T4_T5_mT6_P12ihipStream_tbENKUlT_T0_E_clISt17integral_constantIbLb0EESU_EEDaSP_SQ_EUlSP_E0_NS1_11comp_targetILNS1_3genE10ELNS1_11target_archE1201ELNS1_3gpuE5ELNS1_3repE0EEENS1_30default_config_static_selectorELNS0_4arch9wavefront6targetE1EEEvT1_
	.p2align	8
	.type	_ZN7rocprim17ROCPRIM_400000_NS6detail17trampoline_kernelINS0_14default_configENS1_20scan_config_selectorIjEEZZNS1_9scan_implILNS1_25lookback_scan_determinismE0ELb1ELb1ES3_N6thrust23THRUST_200600_302600_NS6detail15normal_iteratorINS9_10device_ptrIjEEEESE_j11max_functorIjEjEEDaPvRmT3_T4_T5_mT6_P12ihipStream_tbENKUlT_T0_E_clISt17integral_constantIbLb0EESU_EEDaSP_SQ_EUlSP_E0_NS1_11comp_targetILNS1_3genE10ELNS1_11target_archE1201ELNS1_3gpuE5ELNS1_3repE0EEENS1_30default_config_static_selectorELNS0_4arch9wavefront6targetE1EEEvT1_,@function
_ZN7rocprim17ROCPRIM_400000_NS6detail17trampoline_kernelINS0_14default_configENS1_20scan_config_selectorIjEEZZNS1_9scan_implILNS1_25lookback_scan_determinismE0ELb1ELb1ES3_N6thrust23THRUST_200600_302600_NS6detail15normal_iteratorINS9_10device_ptrIjEEEESE_j11max_functorIjEjEEDaPvRmT3_T4_T5_mT6_P12ihipStream_tbENKUlT_T0_E_clISt17integral_constantIbLb0EESU_EEDaSP_SQ_EUlSP_E0_NS1_11comp_targetILNS1_3genE10ELNS1_11target_archE1201ELNS1_3gpuE5ELNS1_3repE0EEENS1_30default_config_static_selectorELNS0_4arch9wavefront6targetE1EEEvT1_: ; @_ZN7rocprim17ROCPRIM_400000_NS6detail17trampoline_kernelINS0_14default_configENS1_20scan_config_selectorIjEEZZNS1_9scan_implILNS1_25lookback_scan_determinismE0ELb1ELb1ES3_N6thrust23THRUST_200600_302600_NS6detail15normal_iteratorINS9_10device_ptrIjEEEESE_j11max_functorIjEjEEDaPvRmT3_T4_T5_mT6_P12ihipStream_tbENKUlT_T0_E_clISt17integral_constantIbLb0EESU_EEDaSP_SQ_EUlSP_E0_NS1_11comp_targetILNS1_3genE10ELNS1_11target_archE1201ELNS1_3gpuE5ELNS1_3repE0EEENS1_30default_config_static_selectorELNS0_4arch9wavefront6targetE1EEEvT1_
; %bb.0:
	.section	.rodata,"a",@progbits
	.p2align	6, 0x0
	.amdhsa_kernel _ZN7rocprim17ROCPRIM_400000_NS6detail17trampoline_kernelINS0_14default_configENS1_20scan_config_selectorIjEEZZNS1_9scan_implILNS1_25lookback_scan_determinismE0ELb1ELb1ES3_N6thrust23THRUST_200600_302600_NS6detail15normal_iteratorINS9_10device_ptrIjEEEESE_j11max_functorIjEjEEDaPvRmT3_T4_T5_mT6_P12ihipStream_tbENKUlT_T0_E_clISt17integral_constantIbLb0EESU_EEDaSP_SQ_EUlSP_E0_NS1_11comp_targetILNS1_3genE10ELNS1_11target_archE1201ELNS1_3gpuE5ELNS1_3repE0EEENS1_30default_config_static_selectorELNS0_4arch9wavefront6targetE1EEEvT1_
		.amdhsa_group_segment_fixed_size 0
		.amdhsa_private_segment_fixed_size 0
		.amdhsa_kernarg_size 32
		.amdhsa_user_sgpr_count 6
		.amdhsa_user_sgpr_private_segment_buffer 1
		.amdhsa_user_sgpr_dispatch_ptr 0
		.amdhsa_user_sgpr_queue_ptr 0
		.amdhsa_user_sgpr_kernarg_segment_ptr 1
		.amdhsa_user_sgpr_dispatch_id 0
		.amdhsa_user_sgpr_flat_scratch_init 0
		.amdhsa_user_sgpr_kernarg_preload_length 0
		.amdhsa_user_sgpr_kernarg_preload_offset 0
		.amdhsa_user_sgpr_private_segment_size 0
		.amdhsa_uses_dynamic_stack 0
		.amdhsa_system_sgpr_private_segment_wavefront_offset 0
		.amdhsa_system_sgpr_workgroup_id_x 1
		.amdhsa_system_sgpr_workgroup_id_y 0
		.amdhsa_system_sgpr_workgroup_id_z 0
		.amdhsa_system_sgpr_workgroup_info 0
		.amdhsa_system_vgpr_workitem_id 0
		.amdhsa_next_free_vgpr 1
		.amdhsa_next_free_sgpr 0
		.amdhsa_accum_offset 4
		.amdhsa_reserve_vcc 0
		.amdhsa_reserve_flat_scratch 0
		.amdhsa_float_round_mode_32 0
		.amdhsa_float_round_mode_16_64 0
		.amdhsa_float_denorm_mode_32 3
		.amdhsa_float_denorm_mode_16_64 3
		.amdhsa_dx10_clamp 1
		.amdhsa_ieee_mode 1
		.amdhsa_fp16_overflow 0
		.amdhsa_tg_split 0
		.amdhsa_exception_fp_ieee_invalid_op 0
		.amdhsa_exception_fp_denorm_src 0
		.amdhsa_exception_fp_ieee_div_zero 0
		.amdhsa_exception_fp_ieee_overflow 0
		.amdhsa_exception_fp_ieee_underflow 0
		.amdhsa_exception_fp_ieee_inexact 0
		.amdhsa_exception_int_div_zero 0
	.end_amdhsa_kernel
	.section	.text._ZN7rocprim17ROCPRIM_400000_NS6detail17trampoline_kernelINS0_14default_configENS1_20scan_config_selectorIjEEZZNS1_9scan_implILNS1_25lookback_scan_determinismE0ELb1ELb1ES3_N6thrust23THRUST_200600_302600_NS6detail15normal_iteratorINS9_10device_ptrIjEEEESE_j11max_functorIjEjEEDaPvRmT3_T4_T5_mT6_P12ihipStream_tbENKUlT_T0_E_clISt17integral_constantIbLb0EESU_EEDaSP_SQ_EUlSP_E0_NS1_11comp_targetILNS1_3genE10ELNS1_11target_archE1201ELNS1_3gpuE5ELNS1_3repE0EEENS1_30default_config_static_selectorELNS0_4arch9wavefront6targetE1EEEvT1_,"axG",@progbits,_ZN7rocprim17ROCPRIM_400000_NS6detail17trampoline_kernelINS0_14default_configENS1_20scan_config_selectorIjEEZZNS1_9scan_implILNS1_25lookback_scan_determinismE0ELb1ELb1ES3_N6thrust23THRUST_200600_302600_NS6detail15normal_iteratorINS9_10device_ptrIjEEEESE_j11max_functorIjEjEEDaPvRmT3_T4_T5_mT6_P12ihipStream_tbENKUlT_T0_E_clISt17integral_constantIbLb0EESU_EEDaSP_SQ_EUlSP_E0_NS1_11comp_targetILNS1_3genE10ELNS1_11target_archE1201ELNS1_3gpuE5ELNS1_3repE0EEENS1_30default_config_static_selectorELNS0_4arch9wavefront6targetE1EEEvT1_,comdat
.Lfunc_end2343:
	.size	_ZN7rocprim17ROCPRIM_400000_NS6detail17trampoline_kernelINS0_14default_configENS1_20scan_config_selectorIjEEZZNS1_9scan_implILNS1_25lookback_scan_determinismE0ELb1ELb1ES3_N6thrust23THRUST_200600_302600_NS6detail15normal_iteratorINS9_10device_ptrIjEEEESE_j11max_functorIjEjEEDaPvRmT3_T4_T5_mT6_P12ihipStream_tbENKUlT_T0_E_clISt17integral_constantIbLb0EESU_EEDaSP_SQ_EUlSP_E0_NS1_11comp_targetILNS1_3genE10ELNS1_11target_archE1201ELNS1_3gpuE5ELNS1_3repE0EEENS1_30default_config_static_selectorELNS0_4arch9wavefront6targetE1EEEvT1_, .Lfunc_end2343-_ZN7rocprim17ROCPRIM_400000_NS6detail17trampoline_kernelINS0_14default_configENS1_20scan_config_selectorIjEEZZNS1_9scan_implILNS1_25lookback_scan_determinismE0ELb1ELb1ES3_N6thrust23THRUST_200600_302600_NS6detail15normal_iteratorINS9_10device_ptrIjEEEESE_j11max_functorIjEjEEDaPvRmT3_T4_T5_mT6_P12ihipStream_tbENKUlT_T0_E_clISt17integral_constantIbLb0EESU_EEDaSP_SQ_EUlSP_E0_NS1_11comp_targetILNS1_3genE10ELNS1_11target_archE1201ELNS1_3gpuE5ELNS1_3repE0EEENS1_30default_config_static_selectorELNS0_4arch9wavefront6targetE1EEEvT1_
                                        ; -- End function
	.section	.AMDGPU.csdata,"",@progbits
; Kernel info:
; codeLenInByte = 0
; NumSgprs: 4
; NumVgprs: 0
; NumAgprs: 0
; TotalNumVgprs: 0
; ScratchSize: 0
; MemoryBound: 0
; FloatMode: 240
; IeeeMode: 1
; LDSByteSize: 0 bytes/workgroup (compile time only)
; SGPRBlocks: 0
; VGPRBlocks: 0
; NumSGPRsForWavesPerEU: 4
; NumVGPRsForWavesPerEU: 1
; AccumOffset: 4
; Occupancy: 8
; WaveLimiterHint : 0
; COMPUTE_PGM_RSRC2:SCRATCH_EN: 0
; COMPUTE_PGM_RSRC2:USER_SGPR: 6
; COMPUTE_PGM_RSRC2:TRAP_HANDLER: 0
; COMPUTE_PGM_RSRC2:TGID_X_EN: 1
; COMPUTE_PGM_RSRC2:TGID_Y_EN: 0
; COMPUTE_PGM_RSRC2:TGID_Z_EN: 0
; COMPUTE_PGM_RSRC2:TIDIG_COMP_CNT: 0
; COMPUTE_PGM_RSRC3_GFX90A:ACCUM_OFFSET: 0
; COMPUTE_PGM_RSRC3_GFX90A:TG_SPLIT: 0
	.section	.text._ZN7rocprim17ROCPRIM_400000_NS6detail17trampoline_kernelINS0_14default_configENS1_20scan_config_selectorIjEEZZNS1_9scan_implILNS1_25lookback_scan_determinismE0ELb1ELb1ES3_N6thrust23THRUST_200600_302600_NS6detail15normal_iteratorINS9_10device_ptrIjEEEESE_j11max_functorIjEjEEDaPvRmT3_T4_T5_mT6_P12ihipStream_tbENKUlT_T0_E_clISt17integral_constantIbLb0EESU_EEDaSP_SQ_EUlSP_E0_NS1_11comp_targetILNS1_3genE10ELNS1_11target_archE1200ELNS1_3gpuE4ELNS1_3repE0EEENS1_30default_config_static_selectorELNS0_4arch9wavefront6targetE1EEEvT1_,"axG",@progbits,_ZN7rocprim17ROCPRIM_400000_NS6detail17trampoline_kernelINS0_14default_configENS1_20scan_config_selectorIjEEZZNS1_9scan_implILNS1_25lookback_scan_determinismE0ELb1ELb1ES3_N6thrust23THRUST_200600_302600_NS6detail15normal_iteratorINS9_10device_ptrIjEEEESE_j11max_functorIjEjEEDaPvRmT3_T4_T5_mT6_P12ihipStream_tbENKUlT_T0_E_clISt17integral_constantIbLb0EESU_EEDaSP_SQ_EUlSP_E0_NS1_11comp_targetILNS1_3genE10ELNS1_11target_archE1200ELNS1_3gpuE4ELNS1_3repE0EEENS1_30default_config_static_selectorELNS0_4arch9wavefront6targetE1EEEvT1_,comdat
	.protected	_ZN7rocprim17ROCPRIM_400000_NS6detail17trampoline_kernelINS0_14default_configENS1_20scan_config_selectorIjEEZZNS1_9scan_implILNS1_25lookback_scan_determinismE0ELb1ELb1ES3_N6thrust23THRUST_200600_302600_NS6detail15normal_iteratorINS9_10device_ptrIjEEEESE_j11max_functorIjEjEEDaPvRmT3_T4_T5_mT6_P12ihipStream_tbENKUlT_T0_E_clISt17integral_constantIbLb0EESU_EEDaSP_SQ_EUlSP_E0_NS1_11comp_targetILNS1_3genE10ELNS1_11target_archE1200ELNS1_3gpuE4ELNS1_3repE0EEENS1_30default_config_static_selectorELNS0_4arch9wavefront6targetE1EEEvT1_ ; -- Begin function _ZN7rocprim17ROCPRIM_400000_NS6detail17trampoline_kernelINS0_14default_configENS1_20scan_config_selectorIjEEZZNS1_9scan_implILNS1_25lookback_scan_determinismE0ELb1ELb1ES3_N6thrust23THRUST_200600_302600_NS6detail15normal_iteratorINS9_10device_ptrIjEEEESE_j11max_functorIjEjEEDaPvRmT3_T4_T5_mT6_P12ihipStream_tbENKUlT_T0_E_clISt17integral_constantIbLb0EESU_EEDaSP_SQ_EUlSP_E0_NS1_11comp_targetILNS1_3genE10ELNS1_11target_archE1200ELNS1_3gpuE4ELNS1_3repE0EEENS1_30default_config_static_selectorELNS0_4arch9wavefront6targetE1EEEvT1_
	.globl	_ZN7rocprim17ROCPRIM_400000_NS6detail17trampoline_kernelINS0_14default_configENS1_20scan_config_selectorIjEEZZNS1_9scan_implILNS1_25lookback_scan_determinismE0ELb1ELb1ES3_N6thrust23THRUST_200600_302600_NS6detail15normal_iteratorINS9_10device_ptrIjEEEESE_j11max_functorIjEjEEDaPvRmT3_T4_T5_mT6_P12ihipStream_tbENKUlT_T0_E_clISt17integral_constantIbLb0EESU_EEDaSP_SQ_EUlSP_E0_NS1_11comp_targetILNS1_3genE10ELNS1_11target_archE1200ELNS1_3gpuE4ELNS1_3repE0EEENS1_30default_config_static_selectorELNS0_4arch9wavefront6targetE1EEEvT1_
	.p2align	8
	.type	_ZN7rocprim17ROCPRIM_400000_NS6detail17trampoline_kernelINS0_14default_configENS1_20scan_config_selectorIjEEZZNS1_9scan_implILNS1_25lookback_scan_determinismE0ELb1ELb1ES3_N6thrust23THRUST_200600_302600_NS6detail15normal_iteratorINS9_10device_ptrIjEEEESE_j11max_functorIjEjEEDaPvRmT3_T4_T5_mT6_P12ihipStream_tbENKUlT_T0_E_clISt17integral_constantIbLb0EESU_EEDaSP_SQ_EUlSP_E0_NS1_11comp_targetILNS1_3genE10ELNS1_11target_archE1200ELNS1_3gpuE4ELNS1_3repE0EEENS1_30default_config_static_selectorELNS0_4arch9wavefront6targetE1EEEvT1_,@function
_ZN7rocprim17ROCPRIM_400000_NS6detail17trampoline_kernelINS0_14default_configENS1_20scan_config_selectorIjEEZZNS1_9scan_implILNS1_25lookback_scan_determinismE0ELb1ELb1ES3_N6thrust23THRUST_200600_302600_NS6detail15normal_iteratorINS9_10device_ptrIjEEEESE_j11max_functorIjEjEEDaPvRmT3_T4_T5_mT6_P12ihipStream_tbENKUlT_T0_E_clISt17integral_constantIbLb0EESU_EEDaSP_SQ_EUlSP_E0_NS1_11comp_targetILNS1_3genE10ELNS1_11target_archE1200ELNS1_3gpuE4ELNS1_3repE0EEENS1_30default_config_static_selectorELNS0_4arch9wavefront6targetE1EEEvT1_: ; @_ZN7rocprim17ROCPRIM_400000_NS6detail17trampoline_kernelINS0_14default_configENS1_20scan_config_selectorIjEEZZNS1_9scan_implILNS1_25lookback_scan_determinismE0ELb1ELb1ES3_N6thrust23THRUST_200600_302600_NS6detail15normal_iteratorINS9_10device_ptrIjEEEESE_j11max_functorIjEjEEDaPvRmT3_T4_T5_mT6_P12ihipStream_tbENKUlT_T0_E_clISt17integral_constantIbLb0EESU_EEDaSP_SQ_EUlSP_E0_NS1_11comp_targetILNS1_3genE10ELNS1_11target_archE1200ELNS1_3gpuE4ELNS1_3repE0EEENS1_30default_config_static_selectorELNS0_4arch9wavefront6targetE1EEEvT1_
; %bb.0:
	.section	.rodata,"a",@progbits
	.p2align	6, 0x0
	.amdhsa_kernel _ZN7rocprim17ROCPRIM_400000_NS6detail17trampoline_kernelINS0_14default_configENS1_20scan_config_selectorIjEEZZNS1_9scan_implILNS1_25lookback_scan_determinismE0ELb1ELb1ES3_N6thrust23THRUST_200600_302600_NS6detail15normal_iteratorINS9_10device_ptrIjEEEESE_j11max_functorIjEjEEDaPvRmT3_T4_T5_mT6_P12ihipStream_tbENKUlT_T0_E_clISt17integral_constantIbLb0EESU_EEDaSP_SQ_EUlSP_E0_NS1_11comp_targetILNS1_3genE10ELNS1_11target_archE1200ELNS1_3gpuE4ELNS1_3repE0EEENS1_30default_config_static_selectorELNS0_4arch9wavefront6targetE1EEEvT1_
		.amdhsa_group_segment_fixed_size 0
		.amdhsa_private_segment_fixed_size 0
		.amdhsa_kernarg_size 32
		.amdhsa_user_sgpr_count 6
		.amdhsa_user_sgpr_private_segment_buffer 1
		.amdhsa_user_sgpr_dispatch_ptr 0
		.amdhsa_user_sgpr_queue_ptr 0
		.amdhsa_user_sgpr_kernarg_segment_ptr 1
		.amdhsa_user_sgpr_dispatch_id 0
		.amdhsa_user_sgpr_flat_scratch_init 0
		.amdhsa_user_sgpr_kernarg_preload_length 0
		.amdhsa_user_sgpr_kernarg_preload_offset 0
		.amdhsa_user_sgpr_private_segment_size 0
		.amdhsa_uses_dynamic_stack 0
		.amdhsa_system_sgpr_private_segment_wavefront_offset 0
		.amdhsa_system_sgpr_workgroup_id_x 1
		.amdhsa_system_sgpr_workgroup_id_y 0
		.amdhsa_system_sgpr_workgroup_id_z 0
		.amdhsa_system_sgpr_workgroup_info 0
		.amdhsa_system_vgpr_workitem_id 0
		.amdhsa_next_free_vgpr 1
		.amdhsa_next_free_sgpr 0
		.amdhsa_accum_offset 4
		.amdhsa_reserve_vcc 0
		.amdhsa_reserve_flat_scratch 0
		.amdhsa_float_round_mode_32 0
		.amdhsa_float_round_mode_16_64 0
		.amdhsa_float_denorm_mode_32 3
		.amdhsa_float_denorm_mode_16_64 3
		.amdhsa_dx10_clamp 1
		.amdhsa_ieee_mode 1
		.amdhsa_fp16_overflow 0
		.amdhsa_tg_split 0
		.amdhsa_exception_fp_ieee_invalid_op 0
		.amdhsa_exception_fp_denorm_src 0
		.amdhsa_exception_fp_ieee_div_zero 0
		.amdhsa_exception_fp_ieee_overflow 0
		.amdhsa_exception_fp_ieee_underflow 0
		.amdhsa_exception_fp_ieee_inexact 0
		.amdhsa_exception_int_div_zero 0
	.end_amdhsa_kernel
	.section	.text._ZN7rocprim17ROCPRIM_400000_NS6detail17trampoline_kernelINS0_14default_configENS1_20scan_config_selectorIjEEZZNS1_9scan_implILNS1_25lookback_scan_determinismE0ELb1ELb1ES3_N6thrust23THRUST_200600_302600_NS6detail15normal_iteratorINS9_10device_ptrIjEEEESE_j11max_functorIjEjEEDaPvRmT3_T4_T5_mT6_P12ihipStream_tbENKUlT_T0_E_clISt17integral_constantIbLb0EESU_EEDaSP_SQ_EUlSP_E0_NS1_11comp_targetILNS1_3genE10ELNS1_11target_archE1200ELNS1_3gpuE4ELNS1_3repE0EEENS1_30default_config_static_selectorELNS0_4arch9wavefront6targetE1EEEvT1_,"axG",@progbits,_ZN7rocprim17ROCPRIM_400000_NS6detail17trampoline_kernelINS0_14default_configENS1_20scan_config_selectorIjEEZZNS1_9scan_implILNS1_25lookback_scan_determinismE0ELb1ELb1ES3_N6thrust23THRUST_200600_302600_NS6detail15normal_iteratorINS9_10device_ptrIjEEEESE_j11max_functorIjEjEEDaPvRmT3_T4_T5_mT6_P12ihipStream_tbENKUlT_T0_E_clISt17integral_constantIbLb0EESU_EEDaSP_SQ_EUlSP_E0_NS1_11comp_targetILNS1_3genE10ELNS1_11target_archE1200ELNS1_3gpuE4ELNS1_3repE0EEENS1_30default_config_static_selectorELNS0_4arch9wavefront6targetE1EEEvT1_,comdat
.Lfunc_end2344:
	.size	_ZN7rocprim17ROCPRIM_400000_NS6detail17trampoline_kernelINS0_14default_configENS1_20scan_config_selectorIjEEZZNS1_9scan_implILNS1_25lookback_scan_determinismE0ELb1ELb1ES3_N6thrust23THRUST_200600_302600_NS6detail15normal_iteratorINS9_10device_ptrIjEEEESE_j11max_functorIjEjEEDaPvRmT3_T4_T5_mT6_P12ihipStream_tbENKUlT_T0_E_clISt17integral_constantIbLb0EESU_EEDaSP_SQ_EUlSP_E0_NS1_11comp_targetILNS1_3genE10ELNS1_11target_archE1200ELNS1_3gpuE4ELNS1_3repE0EEENS1_30default_config_static_selectorELNS0_4arch9wavefront6targetE1EEEvT1_, .Lfunc_end2344-_ZN7rocprim17ROCPRIM_400000_NS6detail17trampoline_kernelINS0_14default_configENS1_20scan_config_selectorIjEEZZNS1_9scan_implILNS1_25lookback_scan_determinismE0ELb1ELb1ES3_N6thrust23THRUST_200600_302600_NS6detail15normal_iteratorINS9_10device_ptrIjEEEESE_j11max_functorIjEjEEDaPvRmT3_T4_T5_mT6_P12ihipStream_tbENKUlT_T0_E_clISt17integral_constantIbLb0EESU_EEDaSP_SQ_EUlSP_E0_NS1_11comp_targetILNS1_3genE10ELNS1_11target_archE1200ELNS1_3gpuE4ELNS1_3repE0EEENS1_30default_config_static_selectorELNS0_4arch9wavefront6targetE1EEEvT1_
                                        ; -- End function
	.section	.AMDGPU.csdata,"",@progbits
; Kernel info:
; codeLenInByte = 0
; NumSgprs: 4
; NumVgprs: 0
; NumAgprs: 0
; TotalNumVgprs: 0
; ScratchSize: 0
; MemoryBound: 0
; FloatMode: 240
; IeeeMode: 1
; LDSByteSize: 0 bytes/workgroup (compile time only)
; SGPRBlocks: 0
; VGPRBlocks: 0
; NumSGPRsForWavesPerEU: 4
; NumVGPRsForWavesPerEU: 1
; AccumOffset: 4
; Occupancy: 8
; WaveLimiterHint : 0
; COMPUTE_PGM_RSRC2:SCRATCH_EN: 0
; COMPUTE_PGM_RSRC2:USER_SGPR: 6
; COMPUTE_PGM_RSRC2:TRAP_HANDLER: 0
; COMPUTE_PGM_RSRC2:TGID_X_EN: 1
; COMPUTE_PGM_RSRC2:TGID_Y_EN: 0
; COMPUTE_PGM_RSRC2:TGID_Z_EN: 0
; COMPUTE_PGM_RSRC2:TIDIG_COMP_CNT: 0
; COMPUTE_PGM_RSRC3_GFX90A:ACCUM_OFFSET: 0
; COMPUTE_PGM_RSRC3_GFX90A:TG_SPLIT: 0
	.section	.text._ZN7rocprim17ROCPRIM_400000_NS6detail17trampoline_kernelINS0_14default_configENS1_20scan_config_selectorIjEEZZNS1_9scan_implILNS1_25lookback_scan_determinismE0ELb1ELb1ES3_N6thrust23THRUST_200600_302600_NS6detail15normal_iteratorINS9_10device_ptrIjEEEESE_j11max_functorIjEjEEDaPvRmT3_T4_T5_mT6_P12ihipStream_tbENKUlT_T0_E_clISt17integral_constantIbLb0EESU_EEDaSP_SQ_EUlSP_E0_NS1_11comp_targetILNS1_3genE9ELNS1_11target_archE1100ELNS1_3gpuE3ELNS1_3repE0EEENS1_30default_config_static_selectorELNS0_4arch9wavefront6targetE1EEEvT1_,"axG",@progbits,_ZN7rocprim17ROCPRIM_400000_NS6detail17trampoline_kernelINS0_14default_configENS1_20scan_config_selectorIjEEZZNS1_9scan_implILNS1_25lookback_scan_determinismE0ELb1ELb1ES3_N6thrust23THRUST_200600_302600_NS6detail15normal_iteratorINS9_10device_ptrIjEEEESE_j11max_functorIjEjEEDaPvRmT3_T4_T5_mT6_P12ihipStream_tbENKUlT_T0_E_clISt17integral_constantIbLb0EESU_EEDaSP_SQ_EUlSP_E0_NS1_11comp_targetILNS1_3genE9ELNS1_11target_archE1100ELNS1_3gpuE3ELNS1_3repE0EEENS1_30default_config_static_selectorELNS0_4arch9wavefront6targetE1EEEvT1_,comdat
	.protected	_ZN7rocprim17ROCPRIM_400000_NS6detail17trampoline_kernelINS0_14default_configENS1_20scan_config_selectorIjEEZZNS1_9scan_implILNS1_25lookback_scan_determinismE0ELb1ELb1ES3_N6thrust23THRUST_200600_302600_NS6detail15normal_iteratorINS9_10device_ptrIjEEEESE_j11max_functorIjEjEEDaPvRmT3_T4_T5_mT6_P12ihipStream_tbENKUlT_T0_E_clISt17integral_constantIbLb0EESU_EEDaSP_SQ_EUlSP_E0_NS1_11comp_targetILNS1_3genE9ELNS1_11target_archE1100ELNS1_3gpuE3ELNS1_3repE0EEENS1_30default_config_static_selectorELNS0_4arch9wavefront6targetE1EEEvT1_ ; -- Begin function _ZN7rocprim17ROCPRIM_400000_NS6detail17trampoline_kernelINS0_14default_configENS1_20scan_config_selectorIjEEZZNS1_9scan_implILNS1_25lookback_scan_determinismE0ELb1ELb1ES3_N6thrust23THRUST_200600_302600_NS6detail15normal_iteratorINS9_10device_ptrIjEEEESE_j11max_functorIjEjEEDaPvRmT3_T4_T5_mT6_P12ihipStream_tbENKUlT_T0_E_clISt17integral_constantIbLb0EESU_EEDaSP_SQ_EUlSP_E0_NS1_11comp_targetILNS1_3genE9ELNS1_11target_archE1100ELNS1_3gpuE3ELNS1_3repE0EEENS1_30default_config_static_selectorELNS0_4arch9wavefront6targetE1EEEvT1_
	.globl	_ZN7rocprim17ROCPRIM_400000_NS6detail17trampoline_kernelINS0_14default_configENS1_20scan_config_selectorIjEEZZNS1_9scan_implILNS1_25lookback_scan_determinismE0ELb1ELb1ES3_N6thrust23THRUST_200600_302600_NS6detail15normal_iteratorINS9_10device_ptrIjEEEESE_j11max_functorIjEjEEDaPvRmT3_T4_T5_mT6_P12ihipStream_tbENKUlT_T0_E_clISt17integral_constantIbLb0EESU_EEDaSP_SQ_EUlSP_E0_NS1_11comp_targetILNS1_3genE9ELNS1_11target_archE1100ELNS1_3gpuE3ELNS1_3repE0EEENS1_30default_config_static_selectorELNS0_4arch9wavefront6targetE1EEEvT1_
	.p2align	8
	.type	_ZN7rocprim17ROCPRIM_400000_NS6detail17trampoline_kernelINS0_14default_configENS1_20scan_config_selectorIjEEZZNS1_9scan_implILNS1_25lookback_scan_determinismE0ELb1ELb1ES3_N6thrust23THRUST_200600_302600_NS6detail15normal_iteratorINS9_10device_ptrIjEEEESE_j11max_functorIjEjEEDaPvRmT3_T4_T5_mT6_P12ihipStream_tbENKUlT_T0_E_clISt17integral_constantIbLb0EESU_EEDaSP_SQ_EUlSP_E0_NS1_11comp_targetILNS1_3genE9ELNS1_11target_archE1100ELNS1_3gpuE3ELNS1_3repE0EEENS1_30default_config_static_selectorELNS0_4arch9wavefront6targetE1EEEvT1_,@function
_ZN7rocprim17ROCPRIM_400000_NS6detail17trampoline_kernelINS0_14default_configENS1_20scan_config_selectorIjEEZZNS1_9scan_implILNS1_25lookback_scan_determinismE0ELb1ELb1ES3_N6thrust23THRUST_200600_302600_NS6detail15normal_iteratorINS9_10device_ptrIjEEEESE_j11max_functorIjEjEEDaPvRmT3_T4_T5_mT6_P12ihipStream_tbENKUlT_T0_E_clISt17integral_constantIbLb0EESU_EEDaSP_SQ_EUlSP_E0_NS1_11comp_targetILNS1_3genE9ELNS1_11target_archE1100ELNS1_3gpuE3ELNS1_3repE0EEENS1_30default_config_static_selectorELNS0_4arch9wavefront6targetE1EEEvT1_: ; @_ZN7rocprim17ROCPRIM_400000_NS6detail17trampoline_kernelINS0_14default_configENS1_20scan_config_selectorIjEEZZNS1_9scan_implILNS1_25lookback_scan_determinismE0ELb1ELb1ES3_N6thrust23THRUST_200600_302600_NS6detail15normal_iteratorINS9_10device_ptrIjEEEESE_j11max_functorIjEjEEDaPvRmT3_T4_T5_mT6_P12ihipStream_tbENKUlT_T0_E_clISt17integral_constantIbLb0EESU_EEDaSP_SQ_EUlSP_E0_NS1_11comp_targetILNS1_3genE9ELNS1_11target_archE1100ELNS1_3gpuE3ELNS1_3repE0EEENS1_30default_config_static_selectorELNS0_4arch9wavefront6targetE1EEEvT1_
; %bb.0:
	.section	.rodata,"a",@progbits
	.p2align	6, 0x0
	.amdhsa_kernel _ZN7rocprim17ROCPRIM_400000_NS6detail17trampoline_kernelINS0_14default_configENS1_20scan_config_selectorIjEEZZNS1_9scan_implILNS1_25lookback_scan_determinismE0ELb1ELb1ES3_N6thrust23THRUST_200600_302600_NS6detail15normal_iteratorINS9_10device_ptrIjEEEESE_j11max_functorIjEjEEDaPvRmT3_T4_T5_mT6_P12ihipStream_tbENKUlT_T0_E_clISt17integral_constantIbLb0EESU_EEDaSP_SQ_EUlSP_E0_NS1_11comp_targetILNS1_3genE9ELNS1_11target_archE1100ELNS1_3gpuE3ELNS1_3repE0EEENS1_30default_config_static_selectorELNS0_4arch9wavefront6targetE1EEEvT1_
		.amdhsa_group_segment_fixed_size 0
		.amdhsa_private_segment_fixed_size 0
		.amdhsa_kernarg_size 32
		.amdhsa_user_sgpr_count 6
		.amdhsa_user_sgpr_private_segment_buffer 1
		.amdhsa_user_sgpr_dispatch_ptr 0
		.amdhsa_user_sgpr_queue_ptr 0
		.amdhsa_user_sgpr_kernarg_segment_ptr 1
		.amdhsa_user_sgpr_dispatch_id 0
		.amdhsa_user_sgpr_flat_scratch_init 0
		.amdhsa_user_sgpr_kernarg_preload_length 0
		.amdhsa_user_sgpr_kernarg_preload_offset 0
		.amdhsa_user_sgpr_private_segment_size 0
		.amdhsa_uses_dynamic_stack 0
		.amdhsa_system_sgpr_private_segment_wavefront_offset 0
		.amdhsa_system_sgpr_workgroup_id_x 1
		.amdhsa_system_sgpr_workgroup_id_y 0
		.amdhsa_system_sgpr_workgroup_id_z 0
		.amdhsa_system_sgpr_workgroup_info 0
		.amdhsa_system_vgpr_workitem_id 0
		.amdhsa_next_free_vgpr 1
		.amdhsa_next_free_sgpr 0
		.amdhsa_accum_offset 4
		.amdhsa_reserve_vcc 0
		.amdhsa_reserve_flat_scratch 0
		.amdhsa_float_round_mode_32 0
		.amdhsa_float_round_mode_16_64 0
		.amdhsa_float_denorm_mode_32 3
		.amdhsa_float_denorm_mode_16_64 3
		.amdhsa_dx10_clamp 1
		.amdhsa_ieee_mode 1
		.amdhsa_fp16_overflow 0
		.amdhsa_tg_split 0
		.amdhsa_exception_fp_ieee_invalid_op 0
		.amdhsa_exception_fp_denorm_src 0
		.amdhsa_exception_fp_ieee_div_zero 0
		.amdhsa_exception_fp_ieee_overflow 0
		.amdhsa_exception_fp_ieee_underflow 0
		.amdhsa_exception_fp_ieee_inexact 0
		.amdhsa_exception_int_div_zero 0
	.end_amdhsa_kernel
	.section	.text._ZN7rocprim17ROCPRIM_400000_NS6detail17trampoline_kernelINS0_14default_configENS1_20scan_config_selectorIjEEZZNS1_9scan_implILNS1_25lookback_scan_determinismE0ELb1ELb1ES3_N6thrust23THRUST_200600_302600_NS6detail15normal_iteratorINS9_10device_ptrIjEEEESE_j11max_functorIjEjEEDaPvRmT3_T4_T5_mT6_P12ihipStream_tbENKUlT_T0_E_clISt17integral_constantIbLb0EESU_EEDaSP_SQ_EUlSP_E0_NS1_11comp_targetILNS1_3genE9ELNS1_11target_archE1100ELNS1_3gpuE3ELNS1_3repE0EEENS1_30default_config_static_selectorELNS0_4arch9wavefront6targetE1EEEvT1_,"axG",@progbits,_ZN7rocprim17ROCPRIM_400000_NS6detail17trampoline_kernelINS0_14default_configENS1_20scan_config_selectorIjEEZZNS1_9scan_implILNS1_25lookback_scan_determinismE0ELb1ELb1ES3_N6thrust23THRUST_200600_302600_NS6detail15normal_iteratorINS9_10device_ptrIjEEEESE_j11max_functorIjEjEEDaPvRmT3_T4_T5_mT6_P12ihipStream_tbENKUlT_T0_E_clISt17integral_constantIbLb0EESU_EEDaSP_SQ_EUlSP_E0_NS1_11comp_targetILNS1_3genE9ELNS1_11target_archE1100ELNS1_3gpuE3ELNS1_3repE0EEENS1_30default_config_static_selectorELNS0_4arch9wavefront6targetE1EEEvT1_,comdat
.Lfunc_end2345:
	.size	_ZN7rocprim17ROCPRIM_400000_NS6detail17trampoline_kernelINS0_14default_configENS1_20scan_config_selectorIjEEZZNS1_9scan_implILNS1_25lookback_scan_determinismE0ELb1ELb1ES3_N6thrust23THRUST_200600_302600_NS6detail15normal_iteratorINS9_10device_ptrIjEEEESE_j11max_functorIjEjEEDaPvRmT3_T4_T5_mT6_P12ihipStream_tbENKUlT_T0_E_clISt17integral_constantIbLb0EESU_EEDaSP_SQ_EUlSP_E0_NS1_11comp_targetILNS1_3genE9ELNS1_11target_archE1100ELNS1_3gpuE3ELNS1_3repE0EEENS1_30default_config_static_selectorELNS0_4arch9wavefront6targetE1EEEvT1_, .Lfunc_end2345-_ZN7rocprim17ROCPRIM_400000_NS6detail17trampoline_kernelINS0_14default_configENS1_20scan_config_selectorIjEEZZNS1_9scan_implILNS1_25lookback_scan_determinismE0ELb1ELb1ES3_N6thrust23THRUST_200600_302600_NS6detail15normal_iteratorINS9_10device_ptrIjEEEESE_j11max_functorIjEjEEDaPvRmT3_T4_T5_mT6_P12ihipStream_tbENKUlT_T0_E_clISt17integral_constantIbLb0EESU_EEDaSP_SQ_EUlSP_E0_NS1_11comp_targetILNS1_3genE9ELNS1_11target_archE1100ELNS1_3gpuE3ELNS1_3repE0EEENS1_30default_config_static_selectorELNS0_4arch9wavefront6targetE1EEEvT1_
                                        ; -- End function
	.section	.AMDGPU.csdata,"",@progbits
; Kernel info:
; codeLenInByte = 0
; NumSgprs: 4
; NumVgprs: 0
; NumAgprs: 0
; TotalNumVgprs: 0
; ScratchSize: 0
; MemoryBound: 0
; FloatMode: 240
; IeeeMode: 1
; LDSByteSize: 0 bytes/workgroup (compile time only)
; SGPRBlocks: 0
; VGPRBlocks: 0
; NumSGPRsForWavesPerEU: 4
; NumVGPRsForWavesPerEU: 1
; AccumOffset: 4
; Occupancy: 8
; WaveLimiterHint : 0
; COMPUTE_PGM_RSRC2:SCRATCH_EN: 0
; COMPUTE_PGM_RSRC2:USER_SGPR: 6
; COMPUTE_PGM_RSRC2:TRAP_HANDLER: 0
; COMPUTE_PGM_RSRC2:TGID_X_EN: 1
; COMPUTE_PGM_RSRC2:TGID_Y_EN: 0
; COMPUTE_PGM_RSRC2:TGID_Z_EN: 0
; COMPUTE_PGM_RSRC2:TIDIG_COMP_CNT: 0
; COMPUTE_PGM_RSRC3_GFX90A:ACCUM_OFFSET: 0
; COMPUTE_PGM_RSRC3_GFX90A:TG_SPLIT: 0
	.section	.text._ZN7rocprim17ROCPRIM_400000_NS6detail17trampoline_kernelINS0_14default_configENS1_20scan_config_selectorIjEEZZNS1_9scan_implILNS1_25lookback_scan_determinismE0ELb1ELb1ES3_N6thrust23THRUST_200600_302600_NS6detail15normal_iteratorINS9_10device_ptrIjEEEESE_j11max_functorIjEjEEDaPvRmT3_T4_T5_mT6_P12ihipStream_tbENKUlT_T0_E_clISt17integral_constantIbLb0EESU_EEDaSP_SQ_EUlSP_E0_NS1_11comp_targetILNS1_3genE8ELNS1_11target_archE1030ELNS1_3gpuE2ELNS1_3repE0EEENS1_30default_config_static_selectorELNS0_4arch9wavefront6targetE1EEEvT1_,"axG",@progbits,_ZN7rocprim17ROCPRIM_400000_NS6detail17trampoline_kernelINS0_14default_configENS1_20scan_config_selectorIjEEZZNS1_9scan_implILNS1_25lookback_scan_determinismE0ELb1ELb1ES3_N6thrust23THRUST_200600_302600_NS6detail15normal_iteratorINS9_10device_ptrIjEEEESE_j11max_functorIjEjEEDaPvRmT3_T4_T5_mT6_P12ihipStream_tbENKUlT_T0_E_clISt17integral_constantIbLb0EESU_EEDaSP_SQ_EUlSP_E0_NS1_11comp_targetILNS1_3genE8ELNS1_11target_archE1030ELNS1_3gpuE2ELNS1_3repE0EEENS1_30default_config_static_selectorELNS0_4arch9wavefront6targetE1EEEvT1_,comdat
	.protected	_ZN7rocprim17ROCPRIM_400000_NS6detail17trampoline_kernelINS0_14default_configENS1_20scan_config_selectorIjEEZZNS1_9scan_implILNS1_25lookback_scan_determinismE0ELb1ELb1ES3_N6thrust23THRUST_200600_302600_NS6detail15normal_iteratorINS9_10device_ptrIjEEEESE_j11max_functorIjEjEEDaPvRmT3_T4_T5_mT6_P12ihipStream_tbENKUlT_T0_E_clISt17integral_constantIbLb0EESU_EEDaSP_SQ_EUlSP_E0_NS1_11comp_targetILNS1_3genE8ELNS1_11target_archE1030ELNS1_3gpuE2ELNS1_3repE0EEENS1_30default_config_static_selectorELNS0_4arch9wavefront6targetE1EEEvT1_ ; -- Begin function _ZN7rocprim17ROCPRIM_400000_NS6detail17trampoline_kernelINS0_14default_configENS1_20scan_config_selectorIjEEZZNS1_9scan_implILNS1_25lookback_scan_determinismE0ELb1ELb1ES3_N6thrust23THRUST_200600_302600_NS6detail15normal_iteratorINS9_10device_ptrIjEEEESE_j11max_functorIjEjEEDaPvRmT3_T4_T5_mT6_P12ihipStream_tbENKUlT_T0_E_clISt17integral_constantIbLb0EESU_EEDaSP_SQ_EUlSP_E0_NS1_11comp_targetILNS1_3genE8ELNS1_11target_archE1030ELNS1_3gpuE2ELNS1_3repE0EEENS1_30default_config_static_selectorELNS0_4arch9wavefront6targetE1EEEvT1_
	.globl	_ZN7rocprim17ROCPRIM_400000_NS6detail17trampoline_kernelINS0_14default_configENS1_20scan_config_selectorIjEEZZNS1_9scan_implILNS1_25lookback_scan_determinismE0ELb1ELb1ES3_N6thrust23THRUST_200600_302600_NS6detail15normal_iteratorINS9_10device_ptrIjEEEESE_j11max_functorIjEjEEDaPvRmT3_T4_T5_mT6_P12ihipStream_tbENKUlT_T0_E_clISt17integral_constantIbLb0EESU_EEDaSP_SQ_EUlSP_E0_NS1_11comp_targetILNS1_3genE8ELNS1_11target_archE1030ELNS1_3gpuE2ELNS1_3repE0EEENS1_30default_config_static_selectorELNS0_4arch9wavefront6targetE1EEEvT1_
	.p2align	8
	.type	_ZN7rocprim17ROCPRIM_400000_NS6detail17trampoline_kernelINS0_14default_configENS1_20scan_config_selectorIjEEZZNS1_9scan_implILNS1_25lookback_scan_determinismE0ELb1ELb1ES3_N6thrust23THRUST_200600_302600_NS6detail15normal_iteratorINS9_10device_ptrIjEEEESE_j11max_functorIjEjEEDaPvRmT3_T4_T5_mT6_P12ihipStream_tbENKUlT_T0_E_clISt17integral_constantIbLb0EESU_EEDaSP_SQ_EUlSP_E0_NS1_11comp_targetILNS1_3genE8ELNS1_11target_archE1030ELNS1_3gpuE2ELNS1_3repE0EEENS1_30default_config_static_selectorELNS0_4arch9wavefront6targetE1EEEvT1_,@function
_ZN7rocprim17ROCPRIM_400000_NS6detail17trampoline_kernelINS0_14default_configENS1_20scan_config_selectorIjEEZZNS1_9scan_implILNS1_25lookback_scan_determinismE0ELb1ELb1ES3_N6thrust23THRUST_200600_302600_NS6detail15normal_iteratorINS9_10device_ptrIjEEEESE_j11max_functorIjEjEEDaPvRmT3_T4_T5_mT6_P12ihipStream_tbENKUlT_T0_E_clISt17integral_constantIbLb0EESU_EEDaSP_SQ_EUlSP_E0_NS1_11comp_targetILNS1_3genE8ELNS1_11target_archE1030ELNS1_3gpuE2ELNS1_3repE0EEENS1_30default_config_static_selectorELNS0_4arch9wavefront6targetE1EEEvT1_: ; @_ZN7rocprim17ROCPRIM_400000_NS6detail17trampoline_kernelINS0_14default_configENS1_20scan_config_selectorIjEEZZNS1_9scan_implILNS1_25lookback_scan_determinismE0ELb1ELb1ES3_N6thrust23THRUST_200600_302600_NS6detail15normal_iteratorINS9_10device_ptrIjEEEESE_j11max_functorIjEjEEDaPvRmT3_T4_T5_mT6_P12ihipStream_tbENKUlT_T0_E_clISt17integral_constantIbLb0EESU_EEDaSP_SQ_EUlSP_E0_NS1_11comp_targetILNS1_3genE8ELNS1_11target_archE1030ELNS1_3gpuE2ELNS1_3repE0EEENS1_30default_config_static_selectorELNS0_4arch9wavefront6targetE1EEEvT1_
; %bb.0:
	.section	.rodata,"a",@progbits
	.p2align	6, 0x0
	.amdhsa_kernel _ZN7rocprim17ROCPRIM_400000_NS6detail17trampoline_kernelINS0_14default_configENS1_20scan_config_selectorIjEEZZNS1_9scan_implILNS1_25lookback_scan_determinismE0ELb1ELb1ES3_N6thrust23THRUST_200600_302600_NS6detail15normal_iteratorINS9_10device_ptrIjEEEESE_j11max_functorIjEjEEDaPvRmT3_T4_T5_mT6_P12ihipStream_tbENKUlT_T0_E_clISt17integral_constantIbLb0EESU_EEDaSP_SQ_EUlSP_E0_NS1_11comp_targetILNS1_3genE8ELNS1_11target_archE1030ELNS1_3gpuE2ELNS1_3repE0EEENS1_30default_config_static_selectorELNS0_4arch9wavefront6targetE1EEEvT1_
		.amdhsa_group_segment_fixed_size 0
		.amdhsa_private_segment_fixed_size 0
		.amdhsa_kernarg_size 32
		.amdhsa_user_sgpr_count 6
		.amdhsa_user_sgpr_private_segment_buffer 1
		.amdhsa_user_sgpr_dispatch_ptr 0
		.amdhsa_user_sgpr_queue_ptr 0
		.amdhsa_user_sgpr_kernarg_segment_ptr 1
		.amdhsa_user_sgpr_dispatch_id 0
		.amdhsa_user_sgpr_flat_scratch_init 0
		.amdhsa_user_sgpr_kernarg_preload_length 0
		.amdhsa_user_sgpr_kernarg_preload_offset 0
		.amdhsa_user_sgpr_private_segment_size 0
		.amdhsa_uses_dynamic_stack 0
		.amdhsa_system_sgpr_private_segment_wavefront_offset 0
		.amdhsa_system_sgpr_workgroup_id_x 1
		.amdhsa_system_sgpr_workgroup_id_y 0
		.amdhsa_system_sgpr_workgroup_id_z 0
		.amdhsa_system_sgpr_workgroup_info 0
		.amdhsa_system_vgpr_workitem_id 0
		.amdhsa_next_free_vgpr 1
		.amdhsa_next_free_sgpr 0
		.amdhsa_accum_offset 4
		.amdhsa_reserve_vcc 0
		.amdhsa_reserve_flat_scratch 0
		.amdhsa_float_round_mode_32 0
		.amdhsa_float_round_mode_16_64 0
		.amdhsa_float_denorm_mode_32 3
		.amdhsa_float_denorm_mode_16_64 3
		.amdhsa_dx10_clamp 1
		.amdhsa_ieee_mode 1
		.amdhsa_fp16_overflow 0
		.amdhsa_tg_split 0
		.amdhsa_exception_fp_ieee_invalid_op 0
		.amdhsa_exception_fp_denorm_src 0
		.amdhsa_exception_fp_ieee_div_zero 0
		.amdhsa_exception_fp_ieee_overflow 0
		.amdhsa_exception_fp_ieee_underflow 0
		.amdhsa_exception_fp_ieee_inexact 0
		.amdhsa_exception_int_div_zero 0
	.end_amdhsa_kernel
	.section	.text._ZN7rocprim17ROCPRIM_400000_NS6detail17trampoline_kernelINS0_14default_configENS1_20scan_config_selectorIjEEZZNS1_9scan_implILNS1_25lookback_scan_determinismE0ELb1ELb1ES3_N6thrust23THRUST_200600_302600_NS6detail15normal_iteratorINS9_10device_ptrIjEEEESE_j11max_functorIjEjEEDaPvRmT3_T4_T5_mT6_P12ihipStream_tbENKUlT_T0_E_clISt17integral_constantIbLb0EESU_EEDaSP_SQ_EUlSP_E0_NS1_11comp_targetILNS1_3genE8ELNS1_11target_archE1030ELNS1_3gpuE2ELNS1_3repE0EEENS1_30default_config_static_selectorELNS0_4arch9wavefront6targetE1EEEvT1_,"axG",@progbits,_ZN7rocprim17ROCPRIM_400000_NS6detail17trampoline_kernelINS0_14default_configENS1_20scan_config_selectorIjEEZZNS1_9scan_implILNS1_25lookback_scan_determinismE0ELb1ELb1ES3_N6thrust23THRUST_200600_302600_NS6detail15normal_iteratorINS9_10device_ptrIjEEEESE_j11max_functorIjEjEEDaPvRmT3_T4_T5_mT6_P12ihipStream_tbENKUlT_T0_E_clISt17integral_constantIbLb0EESU_EEDaSP_SQ_EUlSP_E0_NS1_11comp_targetILNS1_3genE8ELNS1_11target_archE1030ELNS1_3gpuE2ELNS1_3repE0EEENS1_30default_config_static_selectorELNS0_4arch9wavefront6targetE1EEEvT1_,comdat
.Lfunc_end2346:
	.size	_ZN7rocprim17ROCPRIM_400000_NS6detail17trampoline_kernelINS0_14default_configENS1_20scan_config_selectorIjEEZZNS1_9scan_implILNS1_25lookback_scan_determinismE0ELb1ELb1ES3_N6thrust23THRUST_200600_302600_NS6detail15normal_iteratorINS9_10device_ptrIjEEEESE_j11max_functorIjEjEEDaPvRmT3_T4_T5_mT6_P12ihipStream_tbENKUlT_T0_E_clISt17integral_constantIbLb0EESU_EEDaSP_SQ_EUlSP_E0_NS1_11comp_targetILNS1_3genE8ELNS1_11target_archE1030ELNS1_3gpuE2ELNS1_3repE0EEENS1_30default_config_static_selectorELNS0_4arch9wavefront6targetE1EEEvT1_, .Lfunc_end2346-_ZN7rocprim17ROCPRIM_400000_NS6detail17trampoline_kernelINS0_14default_configENS1_20scan_config_selectorIjEEZZNS1_9scan_implILNS1_25lookback_scan_determinismE0ELb1ELb1ES3_N6thrust23THRUST_200600_302600_NS6detail15normal_iteratorINS9_10device_ptrIjEEEESE_j11max_functorIjEjEEDaPvRmT3_T4_T5_mT6_P12ihipStream_tbENKUlT_T0_E_clISt17integral_constantIbLb0EESU_EEDaSP_SQ_EUlSP_E0_NS1_11comp_targetILNS1_3genE8ELNS1_11target_archE1030ELNS1_3gpuE2ELNS1_3repE0EEENS1_30default_config_static_selectorELNS0_4arch9wavefront6targetE1EEEvT1_
                                        ; -- End function
	.section	.AMDGPU.csdata,"",@progbits
; Kernel info:
; codeLenInByte = 0
; NumSgprs: 4
; NumVgprs: 0
; NumAgprs: 0
; TotalNumVgprs: 0
; ScratchSize: 0
; MemoryBound: 0
; FloatMode: 240
; IeeeMode: 1
; LDSByteSize: 0 bytes/workgroup (compile time only)
; SGPRBlocks: 0
; VGPRBlocks: 0
; NumSGPRsForWavesPerEU: 4
; NumVGPRsForWavesPerEU: 1
; AccumOffset: 4
; Occupancy: 8
; WaveLimiterHint : 0
; COMPUTE_PGM_RSRC2:SCRATCH_EN: 0
; COMPUTE_PGM_RSRC2:USER_SGPR: 6
; COMPUTE_PGM_RSRC2:TRAP_HANDLER: 0
; COMPUTE_PGM_RSRC2:TGID_X_EN: 1
; COMPUTE_PGM_RSRC2:TGID_Y_EN: 0
; COMPUTE_PGM_RSRC2:TGID_Z_EN: 0
; COMPUTE_PGM_RSRC2:TIDIG_COMP_CNT: 0
; COMPUTE_PGM_RSRC3_GFX90A:ACCUM_OFFSET: 0
; COMPUTE_PGM_RSRC3_GFX90A:TG_SPLIT: 0
	.section	.text._ZN7rocprim17ROCPRIM_400000_NS6detail17trampoline_kernelINS0_14default_configENS1_20scan_config_selectorIjEEZZNS1_9scan_implILNS1_25lookback_scan_determinismE0ELb1ELb1ES3_N6thrust23THRUST_200600_302600_NS6detail15normal_iteratorINS9_10device_ptrIjEEEESE_j11max_functorIjEjEEDaPvRmT3_T4_T5_mT6_P12ihipStream_tbENKUlT_T0_E_clISt17integral_constantIbLb1EESU_EEDaSP_SQ_EUlSP_E_NS1_11comp_targetILNS1_3genE0ELNS1_11target_archE4294967295ELNS1_3gpuE0ELNS1_3repE0EEENS1_30default_config_static_selectorELNS0_4arch9wavefront6targetE1EEEvT1_,"axG",@progbits,_ZN7rocprim17ROCPRIM_400000_NS6detail17trampoline_kernelINS0_14default_configENS1_20scan_config_selectorIjEEZZNS1_9scan_implILNS1_25lookback_scan_determinismE0ELb1ELb1ES3_N6thrust23THRUST_200600_302600_NS6detail15normal_iteratorINS9_10device_ptrIjEEEESE_j11max_functorIjEjEEDaPvRmT3_T4_T5_mT6_P12ihipStream_tbENKUlT_T0_E_clISt17integral_constantIbLb1EESU_EEDaSP_SQ_EUlSP_E_NS1_11comp_targetILNS1_3genE0ELNS1_11target_archE4294967295ELNS1_3gpuE0ELNS1_3repE0EEENS1_30default_config_static_selectorELNS0_4arch9wavefront6targetE1EEEvT1_,comdat
	.protected	_ZN7rocprim17ROCPRIM_400000_NS6detail17trampoline_kernelINS0_14default_configENS1_20scan_config_selectorIjEEZZNS1_9scan_implILNS1_25lookback_scan_determinismE0ELb1ELb1ES3_N6thrust23THRUST_200600_302600_NS6detail15normal_iteratorINS9_10device_ptrIjEEEESE_j11max_functorIjEjEEDaPvRmT3_T4_T5_mT6_P12ihipStream_tbENKUlT_T0_E_clISt17integral_constantIbLb1EESU_EEDaSP_SQ_EUlSP_E_NS1_11comp_targetILNS1_3genE0ELNS1_11target_archE4294967295ELNS1_3gpuE0ELNS1_3repE0EEENS1_30default_config_static_selectorELNS0_4arch9wavefront6targetE1EEEvT1_ ; -- Begin function _ZN7rocprim17ROCPRIM_400000_NS6detail17trampoline_kernelINS0_14default_configENS1_20scan_config_selectorIjEEZZNS1_9scan_implILNS1_25lookback_scan_determinismE0ELb1ELb1ES3_N6thrust23THRUST_200600_302600_NS6detail15normal_iteratorINS9_10device_ptrIjEEEESE_j11max_functorIjEjEEDaPvRmT3_T4_T5_mT6_P12ihipStream_tbENKUlT_T0_E_clISt17integral_constantIbLb1EESU_EEDaSP_SQ_EUlSP_E_NS1_11comp_targetILNS1_3genE0ELNS1_11target_archE4294967295ELNS1_3gpuE0ELNS1_3repE0EEENS1_30default_config_static_selectorELNS0_4arch9wavefront6targetE1EEEvT1_
	.globl	_ZN7rocprim17ROCPRIM_400000_NS6detail17trampoline_kernelINS0_14default_configENS1_20scan_config_selectorIjEEZZNS1_9scan_implILNS1_25lookback_scan_determinismE0ELb1ELb1ES3_N6thrust23THRUST_200600_302600_NS6detail15normal_iteratorINS9_10device_ptrIjEEEESE_j11max_functorIjEjEEDaPvRmT3_T4_T5_mT6_P12ihipStream_tbENKUlT_T0_E_clISt17integral_constantIbLb1EESU_EEDaSP_SQ_EUlSP_E_NS1_11comp_targetILNS1_3genE0ELNS1_11target_archE4294967295ELNS1_3gpuE0ELNS1_3repE0EEENS1_30default_config_static_selectorELNS0_4arch9wavefront6targetE1EEEvT1_
	.p2align	8
	.type	_ZN7rocprim17ROCPRIM_400000_NS6detail17trampoline_kernelINS0_14default_configENS1_20scan_config_selectorIjEEZZNS1_9scan_implILNS1_25lookback_scan_determinismE0ELb1ELb1ES3_N6thrust23THRUST_200600_302600_NS6detail15normal_iteratorINS9_10device_ptrIjEEEESE_j11max_functorIjEjEEDaPvRmT3_T4_T5_mT6_P12ihipStream_tbENKUlT_T0_E_clISt17integral_constantIbLb1EESU_EEDaSP_SQ_EUlSP_E_NS1_11comp_targetILNS1_3genE0ELNS1_11target_archE4294967295ELNS1_3gpuE0ELNS1_3repE0EEENS1_30default_config_static_selectorELNS0_4arch9wavefront6targetE1EEEvT1_,@function
_ZN7rocprim17ROCPRIM_400000_NS6detail17trampoline_kernelINS0_14default_configENS1_20scan_config_selectorIjEEZZNS1_9scan_implILNS1_25lookback_scan_determinismE0ELb1ELb1ES3_N6thrust23THRUST_200600_302600_NS6detail15normal_iteratorINS9_10device_ptrIjEEEESE_j11max_functorIjEjEEDaPvRmT3_T4_T5_mT6_P12ihipStream_tbENKUlT_T0_E_clISt17integral_constantIbLb1EESU_EEDaSP_SQ_EUlSP_E_NS1_11comp_targetILNS1_3genE0ELNS1_11target_archE4294967295ELNS1_3gpuE0ELNS1_3repE0EEENS1_30default_config_static_selectorELNS0_4arch9wavefront6targetE1EEEvT1_: ; @_ZN7rocprim17ROCPRIM_400000_NS6detail17trampoline_kernelINS0_14default_configENS1_20scan_config_selectorIjEEZZNS1_9scan_implILNS1_25lookback_scan_determinismE0ELb1ELb1ES3_N6thrust23THRUST_200600_302600_NS6detail15normal_iteratorINS9_10device_ptrIjEEEESE_j11max_functorIjEjEEDaPvRmT3_T4_T5_mT6_P12ihipStream_tbENKUlT_T0_E_clISt17integral_constantIbLb1EESU_EEDaSP_SQ_EUlSP_E_NS1_11comp_targetILNS1_3genE0ELNS1_11target_archE4294967295ELNS1_3gpuE0ELNS1_3repE0EEENS1_30default_config_static_selectorELNS0_4arch9wavefront6targetE1EEEvT1_
; %bb.0:
	.section	.rodata,"a",@progbits
	.p2align	6, 0x0
	.amdhsa_kernel _ZN7rocprim17ROCPRIM_400000_NS6detail17trampoline_kernelINS0_14default_configENS1_20scan_config_selectorIjEEZZNS1_9scan_implILNS1_25lookback_scan_determinismE0ELb1ELb1ES3_N6thrust23THRUST_200600_302600_NS6detail15normal_iteratorINS9_10device_ptrIjEEEESE_j11max_functorIjEjEEDaPvRmT3_T4_T5_mT6_P12ihipStream_tbENKUlT_T0_E_clISt17integral_constantIbLb1EESU_EEDaSP_SQ_EUlSP_E_NS1_11comp_targetILNS1_3genE0ELNS1_11target_archE4294967295ELNS1_3gpuE0ELNS1_3repE0EEENS1_30default_config_static_selectorELNS0_4arch9wavefront6targetE1EEEvT1_
		.amdhsa_group_segment_fixed_size 0
		.amdhsa_private_segment_fixed_size 0
		.amdhsa_kernarg_size 96
		.amdhsa_user_sgpr_count 6
		.amdhsa_user_sgpr_private_segment_buffer 1
		.amdhsa_user_sgpr_dispatch_ptr 0
		.amdhsa_user_sgpr_queue_ptr 0
		.amdhsa_user_sgpr_kernarg_segment_ptr 1
		.amdhsa_user_sgpr_dispatch_id 0
		.amdhsa_user_sgpr_flat_scratch_init 0
		.amdhsa_user_sgpr_kernarg_preload_length 0
		.amdhsa_user_sgpr_kernarg_preload_offset 0
		.amdhsa_user_sgpr_private_segment_size 0
		.amdhsa_uses_dynamic_stack 0
		.amdhsa_system_sgpr_private_segment_wavefront_offset 0
		.amdhsa_system_sgpr_workgroup_id_x 1
		.amdhsa_system_sgpr_workgroup_id_y 0
		.amdhsa_system_sgpr_workgroup_id_z 0
		.amdhsa_system_sgpr_workgroup_info 0
		.amdhsa_system_vgpr_workitem_id 0
		.amdhsa_next_free_vgpr 1
		.amdhsa_next_free_sgpr 0
		.amdhsa_accum_offset 4
		.amdhsa_reserve_vcc 0
		.amdhsa_reserve_flat_scratch 0
		.amdhsa_float_round_mode_32 0
		.amdhsa_float_round_mode_16_64 0
		.amdhsa_float_denorm_mode_32 3
		.amdhsa_float_denorm_mode_16_64 3
		.amdhsa_dx10_clamp 1
		.amdhsa_ieee_mode 1
		.amdhsa_fp16_overflow 0
		.amdhsa_tg_split 0
		.amdhsa_exception_fp_ieee_invalid_op 0
		.amdhsa_exception_fp_denorm_src 0
		.amdhsa_exception_fp_ieee_div_zero 0
		.amdhsa_exception_fp_ieee_overflow 0
		.amdhsa_exception_fp_ieee_underflow 0
		.amdhsa_exception_fp_ieee_inexact 0
		.amdhsa_exception_int_div_zero 0
	.end_amdhsa_kernel
	.section	.text._ZN7rocprim17ROCPRIM_400000_NS6detail17trampoline_kernelINS0_14default_configENS1_20scan_config_selectorIjEEZZNS1_9scan_implILNS1_25lookback_scan_determinismE0ELb1ELb1ES3_N6thrust23THRUST_200600_302600_NS6detail15normal_iteratorINS9_10device_ptrIjEEEESE_j11max_functorIjEjEEDaPvRmT3_T4_T5_mT6_P12ihipStream_tbENKUlT_T0_E_clISt17integral_constantIbLb1EESU_EEDaSP_SQ_EUlSP_E_NS1_11comp_targetILNS1_3genE0ELNS1_11target_archE4294967295ELNS1_3gpuE0ELNS1_3repE0EEENS1_30default_config_static_selectorELNS0_4arch9wavefront6targetE1EEEvT1_,"axG",@progbits,_ZN7rocprim17ROCPRIM_400000_NS6detail17trampoline_kernelINS0_14default_configENS1_20scan_config_selectorIjEEZZNS1_9scan_implILNS1_25lookback_scan_determinismE0ELb1ELb1ES3_N6thrust23THRUST_200600_302600_NS6detail15normal_iteratorINS9_10device_ptrIjEEEESE_j11max_functorIjEjEEDaPvRmT3_T4_T5_mT6_P12ihipStream_tbENKUlT_T0_E_clISt17integral_constantIbLb1EESU_EEDaSP_SQ_EUlSP_E_NS1_11comp_targetILNS1_3genE0ELNS1_11target_archE4294967295ELNS1_3gpuE0ELNS1_3repE0EEENS1_30default_config_static_selectorELNS0_4arch9wavefront6targetE1EEEvT1_,comdat
.Lfunc_end2347:
	.size	_ZN7rocprim17ROCPRIM_400000_NS6detail17trampoline_kernelINS0_14default_configENS1_20scan_config_selectorIjEEZZNS1_9scan_implILNS1_25lookback_scan_determinismE0ELb1ELb1ES3_N6thrust23THRUST_200600_302600_NS6detail15normal_iteratorINS9_10device_ptrIjEEEESE_j11max_functorIjEjEEDaPvRmT3_T4_T5_mT6_P12ihipStream_tbENKUlT_T0_E_clISt17integral_constantIbLb1EESU_EEDaSP_SQ_EUlSP_E_NS1_11comp_targetILNS1_3genE0ELNS1_11target_archE4294967295ELNS1_3gpuE0ELNS1_3repE0EEENS1_30default_config_static_selectorELNS0_4arch9wavefront6targetE1EEEvT1_, .Lfunc_end2347-_ZN7rocprim17ROCPRIM_400000_NS6detail17trampoline_kernelINS0_14default_configENS1_20scan_config_selectorIjEEZZNS1_9scan_implILNS1_25lookback_scan_determinismE0ELb1ELb1ES3_N6thrust23THRUST_200600_302600_NS6detail15normal_iteratorINS9_10device_ptrIjEEEESE_j11max_functorIjEjEEDaPvRmT3_T4_T5_mT6_P12ihipStream_tbENKUlT_T0_E_clISt17integral_constantIbLb1EESU_EEDaSP_SQ_EUlSP_E_NS1_11comp_targetILNS1_3genE0ELNS1_11target_archE4294967295ELNS1_3gpuE0ELNS1_3repE0EEENS1_30default_config_static_selectorELNS0_4arch9wavefront6targetE1EEEvT1_
                                        ; -- End function
	.section	.AMDGPU.csdata,"",@progbits
; Kernel info:
; codeLenInByte = 0
; NumSgprs: 4
; NumVgprs: 0
; NumAgprs: 0
; TotalNumVgprs: 0
; ScratchSize: 0
; MemoryBound: 0
; FloatMode: 240
; IeeeMode: 1
; LDSByteSize: 0 bytes/workgroup (compile time only)
; SGPRBlocks: 0
; VGPRBlocks: 0
; NumSGPRsForWavesPerEU: 4
; NumVGPRsForWavesPerEU: 1
; AccumOffset: 4
; Occupancy: 8
; WaveLimiterHint : 0
; COMPUTE_PGM_RSRC2:SCRATCH_EN: 0
; COMPUTE_PGM_RSRC2:USER_SGPR: 6
; COMPUTE_PGM_RSRC2:TRAP_HANDLER: 0
; COMPUTE_PGM_RSRC2:TGID_X_EN: 1
; COMPUTE_PGM_RSRC2:TGID_Y_EN: 0
; COMPUTE_PGM_RSRC2:TGID_Z_EN: 0
; COMPUTE_PGM_RSRC2:TIDIG_COMP_CNT: 0
; COMPUTE_PGM_RSRC3_GFX90A:ACCUM_OFFSET: 0
; COMPUTE_PGM_RSRC3_GFX90A:TG_SPLIT: 0
	.section	.text._ZN7rocprim17ROCPRIM_400000_NS6detail17trampoline_kernelINS0_14default_configENS1_20scan_config_selectorIjEEZZNS1_9scan_implILNS1_25lookback_scan_determinismE0ELb1ELb1ES3_N6thrust23THRUST_200600_302600_NS6detail15normal_iteratorINS9_10device_ptrIjEEEESE_j11max_functorIjEjEEDaPvRmT3_T4_T5_mT6_P12ihipStream_tbENKUlT_T0_E_clISt17integral_constantIbLb1EESU_EEDaSP_SQ_EUlSP_E_NS1_11comp_targetILNS1_3genE5ELNS1_11target_archE942ELNS1_3gpuE9ELNS1_3repE0EEENS1_30default_config_static_selectorELNS0_4arch9wavefront6targetE1EEEvT1_,"axG",@progbits,_ZN7rocprim17ROCPRIM_400000_NS6detail17trampoline_kernelINS0_14default_configENS1_20scan_config_selectorIjEEZZNS1_9scan_implILNS1_25lookback_scan_determinismE0ELb1ELb1ES3_N6thrust23THRUST_200600_302600_NS6detail15normal_iteratorINS9_10device_ptrIjEEEESE_j11max_functorIjEjEEDaPvRmT3_T4_T5_mT6_P12ihipStream_tbENKUlT_T0_E_clISt17integral_constantIbLb1EESU_EEDaSP_SQ_EUlSP_E_NS1_11comp_targetILNS1_3genE5ELNS1_11target_archE942ELNS1_3gpuE9ELNS1_3repE0EEENS1_30default_config_static_selectorELNS0_4arch9wavefront6targetE1EEEvT1_,comdat
	.protected	_ZN7rocprim17ROCPRIM_400000_NS6detail17trampoline_kernelINS0_14default_configENS1_20scan_config_selectorIjEEZZNS1_9scan_implILNS1_25lookback_scan_determinismE0ELb1ELb1ES3_N6thrust23THRUST_200600_302600_NS6detail15normal_iteratorINS9_10device_ptrIjEEEESE_j11max_functorIjEjEEDaPvRmT3_T4_T5_mT6_P12ihipStream_tbENKUlT_T0_E_clISt17integral_constantIbLb1EESU_EEDaSP_SQ_EUlSP_E_NS1_11comp_targetILNS1_3genE5ELNS1_11target_archE942ELNS1_3gpuE9ELNS1_3repE0EEENS1_30default_config_static_selectorELNS0_4arch9wavefront6targetE1EEEvT1_ ; -- Begin function _ZN7rocprim17ROCPRIM_400000_NS6detail17trampoline_kernelINS0_14default_configENS1_20scan_config_selectorIjEEZZNS1_9scan_implILNS1_25lookback_scan_determinismE0ELb1ELb1ES3_N6thrust23THRUST_200600_302600_NS6detail15normal_iteratorINS9_10device_ptrIjEEEESE_j11max_functorIjEjEEDaPvRmT3_T4_T5_mT6_P12ihipStream_tbENKUlT_T0_E_clISt17integral_constantIbLb1EESU_EEDaSP_SQ_EUlSP_E_NS1_11comp_targetILNS1_3genE5ELNS1_11target_archE942ELNS1_3gpuE9ELNS1_3repE0EEENS1_30default_config_static_selectorELNS0_4arch9wavefront6targetE1EEEvT1_
	.globl	_ZN7rocprim17ROCPRIM_400000_NS6detail17trampoline_kernelINS0_14default_configENS1_20scan_config_selectorIjEEZZNS1_9scan_implILNS1_25lookback_scan_determinismE0ELb1ELb1ES3_N6thrust23THRUST_200600_302600_NS6detail15normal_iteratorINS9_10device_ptrIjEEEESE_j11max_functorIjEjEEDaPvRmT3_T4_T5_mT6_P12ihipStream_tbENKUlT_T0_E_clISt17integral_constantIbLb1EESU_EEDaSP_SQ_EUlSP_E_NS1_11comp_targetILNS1_3genE5ELNS1_11target_archE942ELNS1_3gpuE9ELNS1_3repE0EEENS1_30default_config_static_selectorELNS0_4arch9wavefront6targetE1EEEvT1_
	.p2align	8
	.type	_ZN7rocprim17ROCPRIM_400000_NS6detail17trampoline_kernelINS0_14default_configENS1_20scan_config_selectorIjEEZZNS1_9scan_implILNS1_25lookback_scan_determinismE0ELb1ELb1ES3_N6thrust23THRUST_200600_302600_NS6detail15normal_iteratorINS9_10device_ptrIjEEEESE_j11max_functorIjEjEEDaPvRmT3_T4_T5_mT6_P12ihipStream_tbENKUlT_T0_E_clISt17integral_constantIbLb1EESU_EEDaSP_SQ_EUlSP_E_NS1_11comp_targetILNS1_3genE5ELNS1_11target_archE942ELNS1_3gpuE9ELNS1_3repE0EEENS1_30default_config_static_selectorELNS0_4arch9wavefront6targetE1EEEvT1_,@function
_ZN7rocprim17ROCPRIM_400000_NS6detail17trampoline_kernelINS0_14default_configENS1_20scan_config_selectorIjEEZZNS1_9scan_implILNS1_25lookback_scan_determinismE0ELb1ELb1ES3_N6thrust23THRUST_200600_302600_NS6detail15normal_iteratorINS9_10device_ptrIjEEEESE_j11max_functorIjEjEEDaPvRmT3_T4_T5_mT6_P12ihipStream_tbENKUlT_T0_E_clISt17integral_constantIbLb1EESU_EEDaSP_SQ_EUlSP_E_NS1_11comp_targetILNS1_3genE5ELNS1_11target_archE942ELNS1_3gpuE9ELNS1_3repE0EEENS1_30default_config_static_selectorELNS0_4arch9wavefront6targetE1EEEvT1_: ; @_ZN7rocprim17ROCPRIM_400000_NS6detail17trampoline_kernelINS0_14default_configENS1_20scan_config_selectorIjEEZZNS1_9scan_implILNS1_25lookback_scan_determinismE0ELb1ELb1ES3_N6thrust23THRUST_200600_302600_NS6detail15normal_iteratorINS9_10device_ptrIjEEEESE_j11max_functorIjEjEEDaPvRmT3_T4_T5_mT6_P12ihipStream_tbENKUlT_T0_E_clISt17integral_constantIbLb1EESU_EEDaSP_SQ_EUlSP_E_NS1_11comp_targetILNS1_3genE5ELNS1_11target_archE942ELNS1_3gpuE9ELNS1_3repE0EEENS1_30default_config_static_selectorELNS0_4arch9wavefront6targetE1EEEvT1_
; %bb.0:
	.section	.rodata,"a",@progbits
	.p2align	6, 0x0
	.amdhsa_kernel _ZN7rocprim17ROCPRIM_400000_NS6detail17trampoline_kernelINS0_14default_configENS1_20scan_config_selectorIjEEZZNS1_9scan_implILNS1_25lookback_scan_determinismE0ELb1ELb1ES3_N6thrust23THRUST_200600_302600_NS6detail15normal_iteratorINS9_10device_ptrIjEEEESE_j11max_functorIjEjEEDaPvRmT3_T4_T5_mT6_P12ihipStream_tbENKUlT_T0_E_clISt17integral_constantIbLb1EESU_EEDaSP_SQ_EUlSP_E_NS1_11comp_targetILNS1_3genE5ELNS1_11target_archE942ELNS1_3gpuE9ELNS1_3repE0EEENS1_30default_config_static_selectorELNS0_4arch9wavefront6targetE1EEEvT1_
		.amdhsa_group_segment_fixed_size 0
		.amdhsa_private_segment_fixed_size 0
		.amdhsa_kernarg_size 96
		.amdhsa_user_sgpr_count 6
		.amdhsa_user_sgpr_private_segment_buffer 1
		.amdhsa_user_sgpr_dispatch_ptr 0
		.amdhsa_user_sgpr_queue_ptr 0
		.amdhsa_user_sgpr_kernarg_segment_ptr 1
		.amdhsa_user_sgpr_dispatch_id 0
		.amdhsa_user_sgpr_flat_scratch_init 0
		.amdhsa_user_sgpr_kernarg_preload_length 0
		.amdhsa_user_sgpr_kernarg_preload_offset 0
		.amdhsa_user_sgpr_private_segment_size 0
		.amdhsa_uses_dynamic_stack 0
		.amdhsa_system_sgpr_private_segment_wavefront_offset 0
		.amdhsa_system_sgpr_workgroup_id_x 1
		.amdhsa_system_sgpr_workgroup_id_y 0
		.amdhsa_system_sgpr_workgroup_id_z 0
		.amdhsa_system_sgpr_workgroup_info 0
		.amdhsa_system_vgpr_workitem_id 0
		.amdhsa_next_free_vgpr 1
		.amdhsa_next_free_sgpr 0
		.amdhsa_accum_offset 4
		.amdhsa_reserve_vcc 0
		.amdhsa_reserve_flat_scratch 0
		.amdhsa_float_round_mode_32 0
		.amdhsa_float_round_mode_16_64 0
		.amdhsa_float_denorm_mode_32 3
		.amdhsa_float_denorm_mode_16_64 3
		.amdhsa_dx10_clamp 1
		.amdhsa_ieee_mode 1
		.amdhsa_fp16_overflow 0
		.amdhsa_tg_split 0
		.amdhsa_exception_fp_ieee_invalid_op 0
		.amdhsa_exception_fp_denorm_src 0
		.amdhsa_exception_fp_ieee_div_zero 0
		.amdhsa_exception_fp_ieee_overflow 0
		.amdhsa_exception_fp_ieee_underflow 0
		.amdhsa_exception_fp_ieee_inexact 0
		.amdhsa_exception_int_div_zero 0
	.end_amdhsa_kernel
	.section	.text._ZN7rocprim17ROCPRIM_400000_NS6detail17trampoline_kernelINS0_14default_configENS1_20scan_config_selectorIjEEZZNS1_9scan_implILNS1_25lookback_scan_determinismE0ELb1ELb1ES3_N6thrust23THRUST_200600_302600_NS6detail15normal_iteratorINS9_10device_ptrIjEEEESE_j11max_functorIjEjEEDaPvRmT3_T4_T5_mT6_P12ihipStream_tbENKUlT_T0_E_clISt17integral_constantIbLb1EESU_EEDaSP_SQ_EUlSP_E_NS1_11comp_targetILNS1_3genE5ELNS1_11target_archE942ELNS1_3gpuE9ELNS1_3repE0EEENS1_30default_config_static_selectorELNS0_4arch9wavefront6targetE1EEEvT1_,"axG",@progbits,_ZN7rocprim17ROCPRIM_400000_NS6detail17trampoline_kernelINS0_14default_configENS1_20scan_config_selectorIjEEZZNS1_9scan_implILNS1_25lookback_scan_determinismE0ELb1ELb1ES3_N6thrust23THRUST_200600_302600_NS6detail15normal_iteratorINS9_10device_ptrIjEEEESE_j11max_functorIjEjEEDaPvRmT3_T4_T5_mT6_P12ihipStream_tbENKUlT_T0_E_clISt17integral_constantIbLb1EESU_EEDaSP_SQ_EUlSP_E_NS1_11comp_targetILNS1_3genE5ELNS1_11target_archE942ELNS1_3gpuE9ELNS1_3repE0EEENS1_30default_config_static_selectorELNS0_4arch9wavefront6targetE1EEEvT1_,comdat
.Lfunc_end2348:
	.size	_ZN7rocprim17ROCPRIM_400000_NS6detail17trampoline_kernelINS0_14default_configENS1_20scan_config_selectorIjEEZZNS1_9scan_implILNS1_25lookback_scan_determinismE0ELb1ELb1ES3_N6thrust23THRUST_200600_302600_NS6detail15normal_iteratorINS9_10device_ptrIjEEEESE_j11max_functorIjEjEEDaPvRmT3_T4_T5_mT6_P12ihipStream_tbENKUlT_T0_E_clISt17integral_constantIbLb1EESU_EEDaSP_SQ_EUlSP_E_NS1_11comp_targetILNS1_3genE5ELNS1_11target_archE942ELNS1_3gpuE9ELNS1_3repE0EEENS1_30default_config_static_selectorELNS0_4arch9wavefront6targetE1EEEvT1_, .Lfunc_end2348-_ZN7rocprim17ROCPRIM_400000_NS6detail17trampoline_kernelINS0_14default_configENS1_20scan_config_selectorIjEEZZNS1_9scan_implILNS1_25lookback_scan_determinismE0ELb1ELb1ES3_N6thrust23THRUST_200600_302600_NS6detail15normal_iteratorINS9_10device_ptrIjEEEESE_j11max_functorIjEjEEDaPvRmT3_T4_T5_mT6_P12ihipStream_tbENKUlT_T0_E_clISt17integral_constantIbLb1EESU_EEDaSP_SQ_EUlSP_E_NS1_11comp_targetILNS1_3genE5ELNS1_11target_archE942ELNS1_3gpuE9ELNS1_3repE0EEENS1_30default_config_static_selectorELNS0_4arch9wavefront6targetE1EEEvT1_
                                        ; -- End function
	.section	.AMDGPU.csdata,"",@progbits
; Kernel info:
; codeLenInByte = 0
; NumSgprs: 4
; NumVgprs: 0
; NumAgprs: 0
; TotalNumVgprs: 0
; ScratchSize: 0
; MemoryBound: 0
; FloatMode: 240
; IeeeMode: 1
; LDSByteSize: 0 bytes/workgroup (compile time only)
; SGPRBlocks: 0
; VGPRBlocks: 0
; NumSGPRsForWavesPerEU: 4
; NumVGPRsForWavesPerEU: 1
; AccumOffset: 4
; Occupancy: 8
; WaveLimiterHint : 0
; COMPUTE_PGM_RSRC2:SCRATCH_EN: 0
; COMPUTE_PGM_RSRC2:USER_SGPR: 6
; COMPUTE_PGM_RSRC2:TRAP_HANDLER: 0
; COMPUTE_PGM_RSRC2:TGID_X_EN: 1
; COMPUTE_PGM_RSRC2:TGID_Y_EN: 0
; COMPUTE_PGM_RSRC2:TGID_Z_EN: 0
; COMPUTE_PGM_RSRC2:TIDIG_COMP_CNT: 0
; COMPUTE_PGM_RSRC3_GFX90A:ACCUM_OFFSET: 0
; COMPUTE_PGM_RSRC3_GFX90A:TG_SPLIT: 0
	.section	.text._ZN7rocprim17ROCPRIM_400000_NS6detail17trampoline_kernelINS0_14default_configENS1_20scan_config_selectorIjEEZZNS1_9scan_implILNS1_25lookback_scan_determinismE0ELb1ELb1ES3_N6thrust23THRUST_200600_302600_NS6detail15normal_iteratorINS9_10device_ptrIjEEEESE_j11max_functorIjEjEEDaPvRmT3_T4_T5_mT6_P12ihipStream_tbENKUlT_T0_E_clISt17integral_constantIbLb1EESU_EEDaSP_SQ_EUlSP_E_NS1_11comp_targetILNS1_3genE4ELNS1_11target_archE910ELNS1_3gpuE8ELNS1_3repE0EEENS1_30default_config_static_selectorELNS0_4arch9wavefront6targetE1EEEvT1_,"axG",@progbits,_ZN7rocprim17ROCPRIM_400000_NS6detail17trampoline_kernelINS0_14default_configENS1_20scan_config_selectorIjEEZZNS1_9scan_implILNS1_25lookback_scan_determinismE0ELb1ELb1ES3_N6thrust23THRUST_200600_302600_NS6detail15normal_iteratorINS9_10device_ptrIjEEEESE_j11max_functorIjEjEEDaPvRmT3_T4_T5_mT6_P12ihipStream_tbENKUlT_T0_E_clISt17integral_constantIbLb1EESU_EEDaSP_SQ_EUlSP_E_NS1_11comp_targetILNS1_3genE4ELNS1_11target_archE910ELNS1_3gpuE8ELNS1_3repE0EEENS1_30default_config_static_selectorELNS0_4arch9wavefront6targetE1EEEvT1_,comdat
	.protected	_ZN7rocprim17ROCPRIM_400000_NS6detail17trampoline_kernelINS0_14default_configENS1_20scan_config_selectorIjEEZZNS1_9scan_implILNS1_25lookback_scan_determinismE0ELb1ELb1ES3_N6thrust23THRUST_200600_302600_NS6detail15normal_iteratorINS9_10device_ptrIjEEEESE_j11max_functorIjEjEEDaPvRmT3_T4_T5_mT6_P12ihipStream_tbENKUlT_T0_E_clISt17integral_constantIbLb1EESU_EEDaSP_SQ_EUlSP_E_NS1_11comp_targetILNS1_3genE4ELNS1_11target_archE910ELNS1_3gpuE8ELNS1_3repE0EEENS1_30default_config_static_selectorELNS0_4arch9wavefront6targetE1EEEvT1_ ; -- Begin function _ZN7rocprim17ROCPRIM_400000_NS6detail17trampoline_kernelINS0_14default_configENS1_20scan_config_selectorIjEEZZNS1_9scan_implILNS1_25lookback_scan_determinismE0ELb1ELb1ES3_N6thrust23THRUST_200600_302600_NS6detail15normal_iteratorINS9_10device_ptrIjEEEESE_j11max_functorIjEjEEDaPvRmT3_T4_T5_mT6_P12ihipStream_tbENKUlT_T0_E_clISt17integral_constantIbLb1EESU_EEDaSP_SQ_EUlSP_E_NS1_11comp_targetILNS1_3genE4ELNS1_11target_archE910ELNS1_3gpuE8ELNS1_3repE0EEENS1_30default_config_static_selectorELNS0_4arch9wavefront6targetE1EEEvT1_
	.globl	_ZN7rocprim17ROCPRIM_400000_NS6detail17trampoline_kernelINS0_14default_configENS1_20scan_config_selectorIjEEZZNS1_9scan_implILNS1_25lookback_scan_determinismE0ELb1ELb1ES3_N6thrust23THRUST_200600_302600_NS6detail15normal_iteratorINS9_10device_ptrIjEEEESE_j11max_functorIjEjEEDaPvRmT3_T4_T5_mT6_P12ihipStream_tbENKUlT_T0_E_clISt17integral_constantIbLb1EESU_EEDaSP_SQ_EUlSP_E_NS1_11comp_targetILNS1_3genE4ELNS1_11target_archE910ELNS1_3gpuE8ELNS1_3repE0EEENS1_30default_config_static_selectorELNS0_4arch9wavefront6targetE1EEEvT1_
	.p2align	8
	.type	_ZN7rocprim17ROCPRIM_400000_NS6detail17trampoline_kernelINS0_14default_configENS1_20scan_config_selectorIjEEZZNS1_9scan_implILNS1_25lookback_scan_determinismE0ELb1ELb1ES3_N6thrust23THRUST_200600_302600_NS6detail15normal_iteratorINS9_10device_ptrIjEEEESE_j11max_functorIjEjEEDaPvRmT3_T4_T5_mT6_P12ihipStream_tbENKUlT_T0_E_clISt17integral_constantIbLb1EESU_EEDaSP_SQ_EUlSP_E_NS1_11comp_targetILNS1_3genE4ELNS1_11target_archE910ELNS1_3gpuE8ELNS1_3repE0EEENS1_30default_config_static_selectorELNS0_4arch9wavefront6targetE1EEEvT1_,@function
_ZN7rocprim17ROCPRIM_400000_NS6detail17trampoline_kernelINS0_14default_configENS1_20scan_config_selectorIjEEZZNS1_9scan_implILNS1_25lookback_scan_determinismE0ELb1ELb1ES3_N6thrust23THRUST_200600_302600_NS6detail15normal_iteratorINS9_10device_ptrIjEEEESE_j11max_functorIjEjEEDaPvRmT3_T4_T5_mT6_P12ihipStream_tbENKUlT_T0_E_clISt17integral_constantIbLb1EESU_EEDaSP_SQ_EUlSP_E_NS1_11comp_targetILNS1_3genE4ELNS1_11target_archE910ELNS1_3gpuE8ELNS1_3repE0EEENS1_30default_config_static_selectorELNS0_4arch9wavefront6targetE1EEEvT1_: ; @_ZN7rocprim17ROCPRIM_400000_NS6detail17trampoline_kernelINS0_14default_configENS1_20scan_config_selectorIjEEZZNS1_9scan_implILNS1_25lookback_scan_determinismE0ELb1ELb1ES3_N6thrust23THRUST_200600_302600_NS6detail15normal_iteratorINS9_10device_ptrIjEEEESE_j11max_functorIjEjEEDaPvRmT3_T4_T5_mT6_P12ihipStream_tbENKUlT_T0_E_clISt17integral_constantIbLb1EESU_EEDaSP_SQ_EUlSP_E_NS1_11comp_targetILNS1_3genE4ELNS1_11target_archE910ELNS1_3gpuE8ELNS1_3repE0EEENS1_30default_config_static_selectorELNS0_4arch9wavefront6targetE1EEEvT1_
; %bb.0:
	s_load_dword s33, s[4:5], 0x20
	s_load_dwordx2 s[6:7], s[4:5], 0x28
	v_cmp_ne_u32_e64 s[2:3], 0, v0
	v_cmp_eq_u32_e64 s[0:1], 0, v0
	s_and_saveexec_b64 s[8:9], s[0:1]
	s_cbranch_execz .LBB2349_4
; %bb.1:
	s_mov_b64 s[12:13], exec
	v_mbcnt_lo_u32_b32 v1, s12, 0
	v_mbcnt_hi_u32_b32 v1, s13, v1
	v_cmp_eq_u32_e32 vcc, 0, v1
                                        ; implicit-def: $vgpr2
	s_and_saveexec_b64 s[10:11], vcc
	s_cbranch_execz .LBB2349_3
; %bb.2:
	s_load_dwordx2 s[14:15], s[4:5], 0x58
	s_bcnt1_i32_b64 s12, s[12:13]
	v_mov_b32_e32 v2, 0
	v_mov_b32_e32 v3, s12
	s_waitcnt lgkmcnt(0)
	global_atomic_add v2, v2, v3, s[14:15] glc
.LBB2349_3:
	s_or_b64 exec, exec, s[10:11]
	s_waitcnt vmcnt(0)
	v_readfirstlane_b32 s10, v2
	v_add_u32_e32 v1, s10, v1
	v_mov_b32_e32 v2, 0
	ds_write_b32 v2, v1
.LBB2349_4:
	s_or_b64 exec, exec, s[8:9]
	s_load_dwordx8 s[16:23], s[4:5], 0x0
	s_load_dword s24, s[4:5], 0x30
	s_load_dwordx8 s[8:15], s[4:5], 0x38
	v_mov_b32_e32 v1, 0
	s_waitcnt lgkmcnt(0)
	s_barrier
	ds_read_b32 v1, v1
	s_lshl_b64 s[18:19], s[18:19], 2
	s_add_u32 s34, s16, s18
	s_addc_u32 s35, s17, s19
	s_add_i32 s16, s24, -1
	s_mul_i32 s17, s16, 0x500
	s_sub_u32 s30, s22, s17
	s_waitcnt lgkmcnt(0)
	v_readfirstlane_b32 s36, v1
	s_subb_u32 s31, s23, 0
	s_mul_i32 s4, s36, 0x500
	s_mov_b32 s5, 0
	s_cmp_lg_u32 s36, s16
	s_cselect_b64 s[16:17], -1, 0
	s_lshl_b64 s[22:23], s[4:5], 2
	s_add_u32 s24, s34, s22
	s_addc_u32 s25, s35, s23
	s_mov_b64 s[4:5], -1
	s_and_b64 vcc, exec, s[16:17]
	v_lshlrev_b32_e32 v22, 2, v0
	s_barrier
	s_cbranch_vccz .LBB2349_6
; %bb.5:
	v_mov_b32_e32 v1, s25
	v_add_co_u32_e32 v2, vcc, s24, v22
	v_addc_co_u32_e32 v3, vcc, 0, v1, vcc
	flat_load_dword v1, v[2:3]
	flat_load_dword v4, v[2:3] offset:512
	flat_load_dword v5, v[2:3] offset:1024
	;; [unrolled: 1-line block ×7, first 2 shown]
	v_add_co_u32_e32 v2, vcc, 0x1000, v2
	v_addc_co_u32_e32 v3, vcc, 0, v3, vcc
	flat_load_dword v11, v[2:3]
	flat_load_dword v12, v[2:3] offset:512
	s_mov_b64 s[4:5], 0
	s_waitcnt vmcnt(0) lgkmcnt(0)
	ds_write2st64_b32 v22, v1, v4 offset1:2
	ds_write2st64_b32 v22, v5, v6 offset0:4 offset1:6
	ds_write2st64_b32 v22, v7, v8 offset0:8 offset1:10
	;; [unrolled: 1-line block ×4, first 2 shown]
	s_waitcnt lgkmcnt(0)
	s_barrier
.LBB2349_6:
	s_andn2_b64 vcc, exec, s[4:5]
	v_cmp_gt_u32_e64 s[4:5], s30, v0
	s_cbranch_vccnz .LBB2349_28
; %bb.7:
	v_pk_mov_b32 v[2:3], s[24:25], s[24:25] op_sel:[0,1]
	flat_load_dword v1, v[2:3]
	s_waitcnt vmcnt(0) lgkmcnt(0)
	v_mov_b32_e32 v2, v1
	v_mov_b32_e32 v3, v1
	;; [unrolled: 1-line block ×9, first 2 shown]
	s_and_saveexec_b64 s[26:27], s[4:5]
	s_cbranch_execz .LBB2349_9
; %bb.8:
	v_mov_b32_e32 v11, s25
	v_add_co_u32_e32 v10, vcc, s24, v22
	v_addc_co_u32_e32 v11, vcc, 0, v11, vcc
	flat_load_dword v10, v[10:11]
.LBB2349_9:
	s_or_b64 exec, exec, s[26:27]
	v_or_b32_e32 v11, 0x80, v0
	v_cmp_gt_u32_e32 vcc, s30, v11
	s_and_saveexec_b64 s[4:5], vcc
	s_cbranch_execz .LBB2349_11
; %bb.10:
	v_mov_b32_e32 v1, s25
	v_add_co_u32_e32 v12, vcc, s24, v22
	v_addc_co_u32_e32 v13, vcc, 0, v1, vcc
	flat_load_dword v1, v[12:13] offset:512
.LBB2349_11:
	s_or_b64 exec, exec, s[4:5]
	v_or_b32_e32 v11, 0x100, v0
	v_cmp_gt_u32_e32 vcc, s30, v11
	s_and_saveexec_b64 s[4:5], vcc
	s_cbranch_execz .LBB2349_13
; %bb.12:
	v_mov_b32_e32 v2, s25
	v_add_co_u32_e32 v12, vcc, s24, v22
	v_addc_co_u32_e32 v13, vcc, 0, v2, vcc
	flat_load_dword v2, v[12:13] offset:1024
.LBB2349_13:
	;; [unrolled: 11-line block ×7, first 2 shown]
	s_or_b64 exec, exec, s[4:5]
	v_or_b32_e32 v11, 0x400, v0
	v_cmp_gt_u32_e32 vcc, s30, v11
	s_and_saveexec_b64 s[4:5], vcc
	s_cbranch_execz .LBB2349_25
; %bb.24:
	v_lshlrev_b32_e32 v8, 2, v11
	v_mov_b32_e32 v11, s25
	v_add_co_u32_e32 v12, vcc, s24, v8
	v_addc_co_u32_e32 v13, vcc, 0, v11, vcc
	flat_load_dword v8, v[12:13]
.LBB2349_25:
	s_or_b64 exec, exec, s[4:5]
	v_or_b32_e32 v11, 0x480, v0
	v_cmp_gt_u32_e32 vcc, s30, v11
	s_and_saveexec_b64 s[4:5], vcc
	s_cbranch_execz .LBB2349_27
; %bb.26:
	v_lshlrev_b32_e32 v9, 2, v11
	v_mov_b32_e32 v11, s25
	v_add_co_u32_e32 v12, vcc, s24, v9
	v_addc_co_u32_e32 v13, vcc, 0, v11, vcc
	flat_load_dword v9, v[12:13]
.LBB2349_27:
	s_or_b64 exec, exec, s[4:5]
	s_waitcnt vmcnt(0) lgkmcnt(0)
	ds_write2st64_b32 v22, v10, v1 offset1:2
	ds_write2st64_b32 v22, v2, v3 offset0:4 offset1:6
	ds_write2st64_b32 v22, v4, v5 offset0:8 offset1:10
	;; [unrolled: 1-line block ×4, first 2 shown]
	s_waitcnt lgkmcnt(0)
	s_barrier
.LBB2349_28:
	v_mul_u32_u24_e32 v23, 10, v0
	v_lshlrev_b32_e32 v24, 2, v23
	ds_read2_b64 v[16:19], v24 offset1:1
	ds_read2_b64 v[12:15], v24 offset0:2 offset1:3
	ds_read_b64 v[20:21], v24 offset:32
	s_cmp_lg_u32 s36, 0
	v_cmp_gt_u32_e32 vcc, 64, v0
	s_waitcnt lgkmcnt(2)
	v_max_u32_e32 v1, v16, v17
	v_max3_u32 v25, v1, v18, v19
	v_lshrrev_b32_e32 v1, 5, v0
	s_waitcnt lgkmcnt(0)
	s_barrier
	s_cbranch_scc0 .LBB2349_57
; %bb.29:
	v_max3_u32 v2, v25, v12, v13
	v_max3_u32 v2, v2, v14, v15
	;; [unrolled: 1-line block ×3, first 2 shown]
	v_add_lshl_u32 v2, v1, v0, 2
	ds_write_b32 v2, v26
	s_waitcnt lgkmcnt(0)
	s_barrier
	s_and_saveexec_b64 s[24:25], vcc
	s_cbranch_execz .LBB2349_31
; %bb.30:
	v_lshlrev_b32_e32 v2, 1, v0
	v_lshrrev_b32_e32 v3, 4, v0
	v_add_lshl_u32 v4, v3, v2, 2
	ds_read2_b32 v[2:3], v4 offset1:1
	v_mbcnt_lo_u32_b32 v5, -1, 0
	v_mbcnt_hi_u32_b32 v5, -1, v5
	v_and_b32_e32 v6, 15, v5
	v_cmp_eq_u32_e64 s[4:5], 0, v6
	s_waitcnt lgkmcnt(0)
	v_max_u32_e32 v3, v2, v3
	; wave barrier
	s_nop 1
	v_mov_b32_dpp v7, v3 row_shr:1 row_mask:0xf bank_mask:0xf
	v_max_u32_e32 v7, v7, v3
	v_cndmask_b32_e64 v3, v7, v3, s[4:5]
	v_cmp_lt_u32_e64 s[4:5], 1, v6
	s_nop 0
	v_mov_b32_dpp v7, v3 row_shr:2 row_mask:0xf bank_mask:0xf
	v_max_u32_e32 v7, v7, v3
	v_cndmask_b32_e64 v3, v3, v7, s[4:5]
	v_cmp_lt_u32_e64 s[4:5], 3, v6
	;; [unrolled: 5-line block ×3, first 2 shown]
	s_nop 0
	v_mov_b32_dpp v7, v3 row_shr:8 row_mask:0xf bank_mask:0xf
	v_max_u32_e32 v7, v7, v3
	v_cndmask_b32_e64 v3, v3, v7, s[4:5]
	v_and_b32_e32 v7, 16, v5
	v_cmp_eq_u32_e64 s[4:5], 0, v7
	v_mov_b32_dpp v6, v3 row_bcast:15 row_mask:0xf bank_mask:0xf
	v_max_u32_e32 v6, v6, v3
	v_cndmask_b32_e64 v3, v6, v3, s[4:5]
	v_cmp_lt_u32_e64 s[4:5], 31, v5
	v_and_b32_e32 v7, 64, v5
	v_mov_b32_dpp v6, v3 row_bcast:31 row_mask:0xf bank_mask:0xf
	v_max_u32_e32 v6, v6, v3
	v_cndmask_b32_e64 v3, v3, v6, s[4:5]
	v_add_u32_e32 v6, -1, v5
	v_cmp_lt_i32_e64 s[4:5], v6, v7
	v_cndmask_b32_e64 v5, v6, v5, s[4:5]
	v_lshlrev_b32_e32 v5, 2, v5
	ds_bpermute_b32 v3, v5, v3
	s_waitcnt lgkmcnt(0)
	v_max_u32_e32 v2, v3, v2
	v_cndmask_b32_e64 v2, v2, v26, s[0:1]
	ds_write_b32 v4, v2
	; wave barrier
	ds_read_b32 v3, v4 offset:4
	s_waitcnt lgkmcnt(0)
	v_max_u32_e32 v2, v2, v3
	ds_write_b32 v4, v2 offset:4
.LBB2349_31:
	s_or_b64 exec, exec, s[24:25]
	s_waitcnt lgkmcnt(0)
	s_barrier
	s_and_saveexec_b64 s[4:5], s[2:3]
	s_cbranch_execz .LBB2349_33
; %bb.32:
	v_add_u32_e32 v2, -1, v0
	v_lshrrev_b32_e32 v3, 5, v2
	v_add_lshl_u32 v2, v3, v2, 2
	ds_read_b32 v26, v2
.LBB2349_33:
	s_or_b64 exec, exec, s[4:5]
	s_and_saveexec_b64 s[24:25], vcc
	s_cbranch_execz .LBB2349_56
; %bb.34:
	v_mov_b32_e32 v11, 0
	ds_read_b32 v2, v11 offset:520
	v_mbcnt_lo_u32_b32 v3, -1, 0
	v_mbcnt_hi_u32_b32 v5, -1, v3
	s_mov_b32 s29, 0
	v_cmp_eq_u32_e64 s[4:5], 0, v5
	s_and_saveexec_b64 s[26:27], s[4:5]
	s_cbranch_execz .LBB2349_36
; %bb.35:
	s_add_i32 s28, s36, 64
	s_lshl_b64 s[28:29], s[28:29], 3
	s_add_u32 s28, s6, s28
	v_mov_b32_e32 v3, 1
	s_addc_u32 s29, s7, s29
	s_waitcnt lgkmcnt(0)
	global_store_dwordx2 v11, v[2:3], s[28:29]
.LBB2349_36:
	s_or_b64 exec, exec, s[26:27]
	v_xad_u32 v4, v5, -1, s36
	v_add_u32_e32 v10, 64, v4
	v_lshlrev_b64 v[6:7], 3, v[10:11]
	v_mov_b32_e32 v3, s7
	v_add_co_u32_e32 v6, vcc, s6, v6
	v_addc_co_u32_e32 v7, vcc, v3, v7, vcc
	global_load_dwordx2 v[8:9], v[6:7], off glc
	s_waitcnt vmcnt(0)
	v_cmp_eq_u16_sdwa s[28:29], v9, v11 src0_sel:BYTE_0 src1_sel:DWORD
	s_and_saveexec_b64 s[26:27], s[28:29]
	s_cbranch_execz .LBB2349_42
; %bb.37:
	s_mov_b32 s37, 1
	s_mov_b64 s[28:29], 0
	v_mov_b32_e32 v3, 0
.LBB2349_38:                            ; =>This Loop Header: Depth=1
                                        ;     Child Loop BB2349_39 Depth 2
	s_max_u32 s38, s37, 1
.LBB2349_39:                            ;   Parent Loop BB2349_38 Depth=1
                                        ; =>  This Inner Loop Header: Depth=2
	s_add_i32 s38, s38, -1
	s_cmp_eq_u32 s38, 0
	s_sleep 1
	s_cbranch_scc0 .LBB2349_39
; %bb.40:                               ;   in Loop: Header=BB2349_38 Depth=1
	global_load_dwordx2 v[8:9], v[6:7], off glc
	s_cmp_lt_u32 s37, 32
	s_cselect_b64 s[38:39], -1, 0
	s_cmp_lg_u64 s[38:39], 0
	s_addc_u32 s37, s37, 0
	s_waitcnt vmcnt(0)
	v_cmp_ne_u16_sdwa s[38:39], v9, v3 src0_sel:BYTE_0 src1_sel:DWORD
	s_or_b64 s[28:29], s[38:39], s[28:29]
	s_andn2_b64 exec, exec, s[28:29]
	s_cbranch_execnz .LBB2349_38
; %bb.41:
	s_or_b64 exec, exec, s[28:29]
.LBB2349_42:
	s_or_b64 exec, exec, s[26:27]
	v_and_b32_e32 v27, 63, v5
	v_cmp_ne_u32_e32 vcc, 63, v27
	v_mov_b32_e32 v3, 2
	v_addc_co_u32_e32 v28, vcc, 0, v5, vcc
	v_cmp_eq_u16_sdwa s[26:27], v9, v3 src0_sel:BYTE_0 src1_sel:DWORD
	v_lshlrev_b64 v[6:7], v5, -1
	v_lshlrev_b32_e32 v28, 2, v28
	v_and_b32_e32 v10, s27, v7
	ds_bpermute_b32 v29, v28, v8
	v_or_b32_e32 v10, 0x80000000, v10
	v_and_b32_e32 v11, s26, v6
	v_ffbl_b32_e32 v10, v10
	v_add_u32_e32 v10, 32, v10
	v_ffbl_b32_e32 v11, v11
	v_min_u32_e32 v10, v11, v10
	s_waitcnt lgkmcnt(0)
	v_max_u32_e32 v11, v29, v8
	v_cmp_lt_u32_e32 vcc, v27, v10
	v_cndmask_b32_e32 v8, v8, v11, vcc
	v_cmp_gt_u32_e32 vcc, 62, v27
	v_cndmask_b32_e64 v11, 0, 1, vcc
	v_lshlrev_b32_e32 v11, 1, v11
	v_add_lshl_u32 v29, v11, v5, 2
	ds_bpermute_b32 v11, v29, v8
	v_add_u32_e32 v30, 2, v27
	v_cmp_gt_u32_e32 vcc, v30, v10
	v_add_u32_e32 v32, 4, v27
	v_add_u32_e32 v34, 8, v27
	s_waitcnt lgkmcnt(0)
	v_max_u32_e32 v11, v11, v8
	v_cndmask_b32_e32 v8, v11, v8, vcc
	v_cmp_gt_u32_e32 vcc, 60, v27
	v_cndmask_b32_e64 v11, 0, 1, vcc
	v_lshlrev_b32_e32 v11, 2, v11
	v_add_lshl_u32 v31, v11, v5, 2
	ds_bpermute_b32 v11, v31, v8
	v_cmp_gt_u32_e32 vcc, v32, v10
	v_add_u32_e32 v37, 16, v27
	v_add_u32_e32 v39, 32, v27
	s_waitcnt lgkmcnt(0)
	v_max_u32_e32 v11, v11, v8
	v_cndmask_b32_e32 v8, v11, v8, vcc
	v_cmp_gt_u32_e32 vcc, 56, v27
	v_cndmask_b32_e64 v11, 0, 1, vcc
	v_lshlrev_b32_e32 v11, 3, v11
	v_add_lshl_u32 v33, v11, v5, 2
	ds_bpermute_b32 v11, v33, v8
	v_cmp_gt_u32_e32 vcc, v34, v10
	s_waitcnt lgkmcnt(0)
	v_max_u32_e32 v11, v11, v8
	v_cndmask_b32_e32 v8, v11, v8, vcc
	v_cmp_gt_u32_e32 vcc, 48, v27
	v_cndmask_b32_e64 v11, 0, 1, vcc
	v_lshlrev_b32_e32 v11, 4, v11
	v_add_lshl_u32 v35, v11, v5, 2
	ds_bpermute_b32 v11, v35, v8
	v_cmp_gt_u32_e32 vcc, v37, v10
	;; [unrolled: 9-line block ×3, first 2 shown]
	s_waitcnt lgkmcnt(0)
	v_max_u32_e32 v5, v5, v8
	v_cndmask_b32_e32 v8, v5, v8, vcc
	v_mov_b32_e32 v5, 0
	s_branch .LBB2349_44
.LBB2349_43:                            ;   in Loop: Header=BB2349_44 Depth=1
	s_or_b64 exec, exec, s[26:27]
	v_cmp_eq_u16_sdwa s[26:27], v9, v3 src0_sel:BYTE_0 src1_sel:DWORD
	v_and_b32_e32 v10, s27, v7
	ds_bpermute_b32 v40, v28, v8
	v_or_b32_e32 v10, 0x80000000, v10
	v_and_b32_e32 v11, s26, v6
	v_ffbl_b32_e32 v10, v10
	v_add_u32_e32 v10, 32, v10
	v_ffbl_b32_e32 v11, v11
	v_min_u32_e32 v10, v11, v10
	s_waitcnt lgkmcnt(0)
	v_max_u32_e32 v11, v40, v8
	v_cmp_lt_u32_e32 vcc, v27, v10
	v_cndmask_b32_e32 v8, v8, v11, vcc
	ds_bpermute_b32 v11, v29, v8
	v_cmp_gt_u32_e32 vcc, v30, v10
	v_subrev_u32_e32 v4, 64, v4
	s_waitcnt lgkmcnt(0)
	v_max_u32_e32 v11, v11, v8
	v_cndmask_b32_e32 v8, v11, v8, vcc
	ds_bpermute_b32 v11, v31, v8
	v_cmp_gt_u32_e32 vcc, v32, v10
	s_waitcnt lgkmcnt(0)
	v_max_u32_e32 v11, v11, v8
	v_cndmask_b32_e32 v8, v11, v8, vcc
	ds_bpermute_b32 v11, v33, v8
	v_cmp_gt_u32_e32 vcc, v34, v10
	;; [unrolled: 5-line block ×4, first 2 shown]
	s_waitcnt lgkmcnt(0)
	v_max_u32_e32 v11, v11, v8
	v_cndmask_b32_e32 v8, v11, v8, vcc
	v_max_u32_e32 v8, v8, v36
.LBB2349_44:                            ; =>This Loop Header: Depth=1
                                        ;     Child Loop BB2349_47 Depth 2
                                        ;       Child Loop BB2349_48 Depth 3
	v_cmp_ne_u16_sdwa s[26:27], v9, v3 src0_sel:BYTE_0 src1_sel:DWORD
	v_cndmask_b32_e64 v9, 0, 1, s[26:27]
	;;#ASMSTART
	;;#ASMEND
	v_cmp_ne_u32_e32 vcc, 0, v9
	s_cmp_lg_u64 vcc, exec
	v_mov_b32_e32 v36, v8
	s_cbranch_scc1 .LBB2349_51
; %bb.45:                               ;   in Loop: Header=BB2349_44 Depth=1
	v_lshlrev_b64 v[8:9], 3, v[4:5]
	v_mov_b32_e32 v11, s7
	v_add_co_u32_e32 v10, vcc, s6, v8
	v_addc_co_u32_e32 v11, vcc, v11, v9, vcc
	global_load_dwordx2 v[8:9], v[10:11], off glc
	s_waitcnt vmcnt(0)
	v_cmp_eq_u16_sdwa s[28:29], v9, v5 src0_sel:BYTE_0 src1_sel:DWORD
	s_and_saveexec_b64 s[26:27], s[28:29]
	s_cbranch_execz .LBB2349_43
; %bb.46:                               ;   in Loop: Header=BB2349_44 Depth=1
	s_mov_b32 s37, 1
	s_mov_b64 s[28:29], 0
.LBB2349_47:                            ;   Parent Loop BB2349_44 Depth=1
                                        ; =>  This Loop Header: Depth=2
                                        ;       Child Loop BB2349_48 Depth 3
	s_max_u32 s38, s37, 1
.LBB2349_48:                            ;   Parent Loop BB2349_44 Depth=1
                                        ;     Parent Loop BB2349_47 Depth=2
                                        ; =>    This Inner Loop Header: Depth=3
	s_add_i32 s38, s38, -1
	s_cmp_eq_u32 s38, 0
	s_sleep 1
	s_cbranch_scc0 .LBB2349_48
; %bb.49:                               ;   in Loop: Header=BB2349_47 Depth=2
	global_load_dwordx2 v[8:9], v[10:11], off glc
	s_cmp_lt_u32 s37, 32
	s_cselect_b64 s[38:39], -1, 0
	s_cmp_lg_u64 s[38:39], 0
	s_addc_u32 s37, s37, 0
	s_waitcnt vmcnt(0)
	v_cmp_ne_u16_sdwa s[38:39], v9, v5 src0_sel:BYTE_0 src1_sel:DWORD
	s_or_b64 s[28:29], s[38:39], s[28:29]
	s_andn2_b64 exec, exec, s[28:29]
	s_cbranch_execnz .LBB2349_47
; %bb.50:                               ;   in Loop: Header=BB2349_44 Depth=1
	s_or_b64 exec, exec, s[28:29]
	s_branch .LBB2349_43
.LBB2349_51:                            ;   in Loop: Header=BB2349_44 Depth=1
                                        ; implicit-def: $vgpr8
                                        ; implicit-def: $vgpr9
	s_cbranch_execz .LBB2349_44
; %bb.52:
	s_and_saveexec_b64 s[26:27], s[4:5]
	s_cbranch_execz .LBB2349_54
; %bb.53:
	s_add_i32 s4, s36, 64
	s_mov_b32 s5, 0
	s_lshl_b64 s[4:5], s[4:5], 3
	s_add_u32 s4, s6, s4
	v_max_u32_e32 v2, v36, v2
	v_mov_b32_e32 v3, 2
	s_addc_u32 s5, s7, s5
	v_mov_b32_e32 v4, 0
	global_store_dwordx2 v4, v[2:3], s[4:5]
.LBB2349_54:
	s_or_b64 exec, exec, s[26:27]
	s_and_b64 exec, exec, s[0:1]
	s_cbranch_execz .LBB2349_56
; %bb.55:
	v_mov_b32_e32 v2, 0
	ds_write_b32 v2, v36
.LBB2349_56:
	s_or_b64 exec, exec, s[24:25]
	v_mov_b32_e32 v2, 0
	s_waitcnt lgkmcnt(0)
	s_barrier
	ds_read_b32 v2, v2
	s_waitcnt lgkmcnt(0)
	v_max_u32_e32 v3, v2, v26
	v_cndmask_b32_e64 v2, v3, v2, s[0:1]
	v_max_u32_e32 v3, v2, v16
	v_max_u32_e32 v4, v3, v17
	;; [unrolled: 1-line block ×9, first 2 shown]
	s_branch .LBB2349_67
.LBB2349_57:
                                        ; implicit-def: $vgpr2_vgpr3_vgpr4_vgpr5_vgpr6_vgpr7_vgpr8_vgpr9_vgpr10_vgpr11
	s_cbranch_execz .LBB2349_67
; %bb.58:
	s_cmp_eq_u64 s[12:13], 0
	v_mov_b32_e32 v26, s33
	s_cbranch_scc1 .LBB2349_60
; %bb.59:
	v_mov_b32_e32 v2, 0
	global_load_dword v4, v2, s[8:9]
	v_mov_b32_e32 v3, s35
	v_add_co_u32_e64 v2, vcc, -4, s34
	v_addc_co_u32_e32 v3, vcc, -1, v3, vcc
	flat_load_dword v2, v[2:3]
	s_waitcnt vmcnt(0) lgkmcnt(0)
	v_max_u32_e32 v26, v4, v2
.LBB2349_60:
	v_max3_u32 v2, v25, v12, v13
	v_max3_u32 v2, v2, v14, v15
	;; [unrolled: 1-line block ×3, first 2 shown]
	v_add_lshl_u32 v1, v1, v0, 2
	v_cmp_gt_u32_e32 vcc, 64, v0
	ds_write_b32 v1, v2
	s_waitcnt lgkmcnt(0)
	s_barrier
	s_and_saveexec_b64 s[4:5], vcc
	s_cbranch_execz .LBB2349_62
; %bb.61:
	v_lshlrev_b32_e32 v1, 1, v0
	v_lshrrev_b32_e32 v3, 4, v0
	v_add_lshl_u32 v1, v3, v1, 2
	ds_read2_b32 v[4:5], v1 offset1:1
	v_mbcnt_lo_u32_b32 v3, -1, 0
	v_mbcnt_hi_u32_b32 v3, -1, v3
	v_and_b32_e32 v6, 15, v3
	v_cmp_eq_u32_e32 vcc, 0, v6
	s_waitcnt lgkmcnt(0)
	v_max_u32_e32 v5, v4, v5
	; wave barrier
	s_nop 1
	v_mov_b32_dpp v7, v5 row_shr:1 row_mask:0xf bank_mask:0xf
	v_max_u32_e32 v7, v7, v5
	v_cndmask_b32_e32 v5, v7, v5, vcc
	v_cmp_lt_u32_e32 vcc, 1, v6
	s_nop 0
	v_mov_b32_dpp v7, v5 row_shr:2 row_mask:0xf bank_mask:0xf
	v_max_u32_e32 v7, v7, v5
	v_cndmask_b32_e32 v5, v5, v7, vcc
	v_cmp_lt_u32_e32 vcc, 3, v6
	;; [unrolled: 5-line block ×3, first 2 shown]
	s_nop 0
	v_mov_b32_dpp v7, v5 row_shr:8 row_mask:0xf bank_mask:0xf
	v_max_u32_e32 v7, v7, v5
	v_cndmask_b32_e32 v5, v5, v7, vcc
	v_and_b32_e32 v7, 16, v3
	v_cmp_eq_u32_e32 vcc, 0, v7
	v_mov_b32_dpp v6, v5 row_bcast:15 row_mask:0xf bank_mask:0xf
	v_max_u32_e32 v6, v6, v5
	v_cndmask_b32_e32 v5, v6, v5, vcc
	v_cmp_lt_u32_e32 vcc, 31, v3
	v_and_b32_e32 v7, 64, v3
	v_mov_b32_dpp v6, v5 row_bcast:31 row_mask:0xf bank_mask:0xf
	v_max_u32_e32 v6, v6, v5
	v_cndmask_b32_e32 v5, v5, v6, vcc
	v_add_u32_e32 v6, -1, v3
	v_cmp_lt_i32_e32 vcc, v6, v7
	v_cndmask_b32_e32 v3, v6, v3, vcc
	v_lshlrev_b32_e32 v3, 2, v3
	ds_bpermute_b32 v3, v3, v5
	s_waitcnt lgkmcnt(0)
	v_max_u32_e32 v3, v3, v4
	v_cndmask_b32_e64 v2, v3, v2, s[0:1]
	ds_write_b32 v1, v2
	; wave barrier
	ds_read_b32 v3, v1 offset:4
	s_waitcnt lgkmcnt(0)
	v_max_u32_e32 v2, v2, v3
	ds_write_b32 v1, v2 offset:4
.LBB2349_62:
	s_or_b64 exec, exec, s[4:5]
	v_mov_b32_e32 v2, v26
	s_waitcnt lgkmcnt(0)
	s_barrier
	s_and_saveexec_b64 s[4:5], s[2:3]
	s_cbranch_execz .LBB2349_64
; %bb.63:
	v_add_u32_e32 v1, -1, v0
	v_lshrrev_b32_e32 v2, 5, v1
	v_add_lshl_u32 v1, v2, v1, 2
	ds_read_b32 v1, v1
	s_waitcnt lgkmcnt(0)
	v_max_u32_e32 v2, v26, v1
.LBB2349_64:
	s_or_b64 exec, exec, s[4:5]
	v_max_u32_e32 v3, v2, v16
	v_max_u32_e32 v4, v3, v17
	;; [unrolled: 1-line block ×9, first 2 shown]
	s_and_saveexec_b64 s[2:3], s[0:1]
	s_cbranch_execz .LBB2349_66
; %bb.65:
	v_mov_b32_e32 v1, 0
	ds_read_b32 v12, v1 offset:520
	v_mov_b32_e32 v13, 2
	s_waitcnt lgkmcnt(0)
	v_max_u32_e32 v12, v26, v12
	global_store_dwordx2 v1, v[12:13], s[6:7] offset:512
.LBB2349_66:
	s_or_b64 exec, exec, s[2:3]
.LBB2349_67:
	s_add_u32 s0, s20, s18
	s_addc_u32 s1, s21, s19
	s_add_u32 s2, s0, s22
	s_addc_u32 s3, s1, s23
	s_mov_b64 s[0:1], -1
	s_and_b64 vcc, exec, s[16:17]
	s_barrier
	s_cbranch_vccz .LBB2349_69
; %bb.68:
	ds_write2_b64 v24, v[2:3], v[4:5] offset1:1
	ds_write2_b64 v24, v[6:7], v[8:9] offset0:2 offset1:3
	ds_write_b64 v24, v[10:11] offset:32
	s_waitcnt lgkmcnt(0)
	s_barrier
	ds_read2st64_b32 v[12:13], v22 offset1:2
	ds_read2st64_b32 v[14:15], v22 offset0:4 offset1:6
	ds_read2st64_b32 v[16:17], v22 offset0:8 offset1:10
	;; [unrolled: 1-line block ×4, first 2 shown]
	v_mov_b32_e32 v1, s3
	v_add_co_u32_e32 v26, vcc, s2, v22
	v_addc_co_u32_e32 v27, vcc, 0, v1, vcc
	s_waitcnt lgkmcnt(4)
	flat_store_dword v[26:27], v12
	flat_store_dword v[26:27], v13 offset:512
	s_waitcnt lgkmcnt(0)
	flat_store_dword v[26:27], v14 offset:1024
	flat_store_dword v[26:27], v15 offset:1536
	;; [unrolled: 1-line block ×6, first 2 shown]
	v_add_co_u32_e32 v12, vcc, 0x1000, v26
	v_addc_co_u32_e32 v13, vcc, 0, v27, vcc
	flat_store_dword v[12:13], v20
	flat_store_dword v[12:13], v21 offset:512
	s_mov_b64 s[0:1], 0
.LBB2349_69:
	s_andn2_b64 vcc, exec, s[0:1]
	s_cbranch_vccnz .LBB2349_125
; %bb.70:
	s_movk_i32 s0, 0xffdc
	ds_write2_b64 v24, v[2:3], v[4:5] offset1:1
	ds_write2_b64 v24, v[6:7], v[8:9] offset0:2 offset1:3
	ds_write_b64 v24, v[10:11] offset:32
	v_mad_i32_i24 v10, v0, s0, v24
	s_waitcnt lgkmcnt(0)
	s_barrier
	ds_read2st64_b32 v[2:3], v10 offset1:2
	ds_read2st64_b32 v[6:7], v10 offset0:4 offset1:6
	ds_read2st64_b32 v[4:5], v10 offset0:8 offset1:10
	;; [unrolled: 1-line block ×4, first 2 shown]
	v_mov_b32_e32 v13, s3
	v_add_co_u32_e32 v12, vcc, s2, v22
	v_addc_co_u32_e32 v13, vcc, 0, v13, vcc
	v_mov_b32_e32 v1, 0
	v_cmp_gt_u32_e32 vcc, s30, v0
	s_and_saveexec_b64 s[0:1], vcc
	s_cbranch_execz .LBB2349_72
; %bb.71:
	s_waitcnt lgkmcnt(0)
	flat_store_dword v[12:13], v2
.LBB2349_72:
	s_or_b64 exec, exec, s[0:1]
	v_or_b32_e32 v14, 0x80, v0
	v_cmp_gt_u32_e32 vcc, s30, v14
	s_and_saveexec_b64 s[0:1], vcc
	s_cbranch_execz .LBB2349_74
; %bb.73:
	s_waitcnt lgkmcnt(0)
	flat_store_dword v[12:13], v3 offset:512
.LBB2349_74:
	s_or_b64 exec, exec, s[0:1]
	v_or_b32_e32 v14, 0x100, v0
	v_cmp_gt_u32_e32 vcc, s30, v14
	s_and_saveexec_b64 s[0:1], vcc
	s_cbranch_execz .LBB2349_76
; %bb.75:
	s_waitcnt lgkmcnt(0)
	flat_store_dword v[12:13], v6 offset:1024
.LBB2349_76:
	;; [unrolled: 9-line block ×7, first 2 shown]
	s_or_b64 exec, exec, s[0:1]
	v_or_b32_e32 v14, 0x400, v0
	v_cmp_gt_u32_e32 vcc, s30, v14
	s_and_saveexec_b64 s[0:1], vcc
	s_cbranch_execz .LBB2349_88
; %bb.87:
	v_add_co_u32_e32 v14, vcc, 0x1000, v12
	v_addc_co_u32_e32 v15, vcc, 0, v13, vcc
	s_waitcnt lgkmcnt(0)
	flat_store_dword v[14:15], v10
.LBB2349_88:
	s_or_b64 exec, exec, s[0:1]
	v_or_b32_e32 v14, 0x480, v0
	v_cmp_gt_u32_e32 vcc, s30, v14
	s_and_saveexec_b64 s[0:1], vcc
	s_cbranch_execz .LBB2349_90
; %bb.89:
	v_add_co_u32_e32 v12, vcc, 0x1000, v12
	v_addc_co_u32_e32 v13, vcc, 0, v13, vcc
	s_waitcnt lgkmcnt(0)
	flat_store_dword v[12:13], v11 offset:512
.LBB2349_90:
	s_or_b64 exec, exec, s[0:1]
	v_cmp_lt_u64_e64 s[0:1], s[14:15], 2
	s_and_b64 vcc, exec, s[0:1]
	s_cbranch_vccnz .LBB2349_125
; %bb.91:
	s_add_u32 s0, s30, -1
	s_addc_u32 s1, s31, -1
	s_add_u32 s2, 0, 0x99986000
	s_addc_u32 s3, 0, 0x59
	s_add_i32 s3, s3, 0x19999940
	s_mul_hi_u32 s7, s2, -10
	s_sub_i32 s7, s7, s2
	s_mul_i32 s8, s3, -10
	s_mul_i32 s4, s2, -10
	s_add_i32 s7, s7, s8
	s_mul_hi_u32 s5, s3, s4
	s_mul_i32 s6, s3, s4
	s_mul_i32 s9, s2, s7
	s_mul_hi_u32 s4, s2, s4
	s_mul_hi_u32 s8, s2, s7
	s_add_u32 s4, s4, s9
	s_addc_u32 s8, 0, s8
	s_add_u32 s4, s4, s6
	s_mul_hi_u32 s9, s3, s7
	s_addc_u32 s4, s8, s5
	s_addc_u32 s5, s9, 0
	s_mul_i32 s6, s3, s7
	s_add_u32 s4, s4, s6
	v_mov_b32_e32 v12, s4
	s_addc_u32 s5, 0, s5
	v_add_co_u32_e32 v12, vcc, s2, v12
	s_cmp_lg_u64 vcc, 0
	s_addc_u32 s2, s3, s5
	v_readfirstlane_b32 s5, v12
	s_mul_i32 s4, s0, s2
	s_mul_hi_u32 s6, s0, s5
	s_mul_hi_u32 s3, s0, s2
	s_add_u32 s4, s6, s4
	s_addc_u32 s3, 0, s3
	s_mul_hi_u32 s7, s1, s5
	s_mul_i32 s5, s1, s5
	s_add_u32 s4, s4, s5
	s_mul_hi_u32 s6, s1, s2
	s_addc_u32 s3, s3, s7
	s_addc_u32 s4, s6, 0
	s_mul_i32 s2, s1, s2
	s_add_u32 s2, s3, s2
	s_addc_u32 s3, 0, s4
	s_add_u32 s4, s2, 1
	s_addc_u32 s5, s3, 0
	s_add_u32 s6, s2, 2
	s_mul_i32 s8, s3, 10
	s_mul_hi_u32 s9, s2, 10
	s_addc_u32 s7, s3, 0
	s_add_i32 s9, s9, s8
	s_mul_i32 s8, s2, 10
	v_mov_b32_e32 v12, s8
	v_sub_co_u32_e32 v12, vcc, s0, v12
	s_cmp_lg_u64 vcc, 0
	s_subb_u32 s8, s1, s9
	v_subrev_co_u32_e32 v13, vcc, 10, v12
	s_cmp_lg_u64 vcc, 0
	s_subb_u32 s9, s8, 0
	v_readfirstlane_b32 s12, v13
	s_cmp_gt_u32 s12, 9
	s_cselect_b32 s12, -1, 0
	s_cmp_eq_u32 s9, 0
	s_cselect_b32 s9, s12, -1
	s_cmp_lg_u32 s9, 0
	s_cselect_b32 s4, s6, s4
	v_readfirstlane_b32 s6, v12
	s_cselect_b32 s5, s7, s5
	s_cmp_gt_u32 s6, 9
	s_cselect_b32 s6, -1, 0
	s_cmp_eq_u32 s8, 0
	s_cselect_b32 s6, s6, -1
	s_cmp_lg_u32 s6, 0
	s_cselect_b32 s3, s5, s3
	s_cselect_b32 s2, s4, s2
	v_cmp_eq_u64_e32 vcc, s[2:3], v[0:1]
	s_and_saveexec_b64 s[2:3], vcc
	s_cbranch_execz .LBB2349_125
; %bb.92:
	v_mul_hi_u32_u24_e32 v1, 10, v0
	v_mov_b32_e32 v12, s1
	v_sub_co_u32_e32 v0, vcc, s0, v23
	v_subb_co_u32_e32 v1, vcc, v12, v1, vcc
	v_cmp_lt_i64_e32 vcc, 4, v[0:1]
	s_and_saveexec_b64 s[0:1], vcc
	s_xor_b64 s[0:1], exec, s[0:1]
	s_cbranch_execz .LBB2349_110
; %bb.93:
	v_cmp_lt_i64_e32 vcc, 6, v[0:1]
	s_and_saveexec_b64 s[2:3], vcc
	s_xor_b64 s[2:3], exec, s[2:3]
	s_cbranch_execz .LBB2349_103
; %bb.94:
	;; [unrolled: 5-line block ×4, first 2 shown]
	v_mov_b32_e32 v0, 0
	s_waitcnt lgkmcnt(0)
	global_store_dword v0, v11, s[10:11]
                                        ; implicit-def: $vgpr10_vgpr11
.LBB2349_97:
	s_andn2_saveexec_b64 s[6:7], s[6:7]
	s_cbranch_execz .LBB2349_99
; %bb.98:
	v_mov_b32_e32 v0, 0
	s_waitcnt lgkmcnt(0)
	global_store_dword v0, v10, s[10:11]
.LBB2349_99:
	s_or_b64 exec, exec, s[6:7]
                                        ; implicit-def: $vgpr8_vgpr9
.LBB2349_100:
	s_andn2_saveexec_b64 s[4:5], s[4:5]
	s_cbranch_execz .LBB2349_102
; %bb.101:
	v_mov_b32_e32 v0, 0
	s_waitcnt lgkmcnt(0)
	global_store_dword v0, v9, s[10:11]
.LBB2349_102:
	s_or_b64 exec, exec, s[4:5]
                                        ; implicit-def: $vgpr4_vgpr5
                                        ; implicit-def: $vgpr0_vgpr1
                                        ; implicit-def: $vgpr8_vgpr9
.LBB2349_103:
	s_andn2_saveexec_b64 s[2:3], s[2:3]
	s_cbranch_execz .LBB2349_109
; %bb.104:
	v_cmp_lt_i64_e32 vcc, 5, v[0:1]
	s_and_saveexec_b64 s[4:5], vcc
	s_xor_b64 s[4:5], exec, s[4:5]
	s_cbranch_execz .LBB2349_106
; %bb.105:
	v_mov_b32_e32 v0, 0
	s_waitcnt lgkmcnt(0)
	global_store_dword v0, v8, s[10:11]
                                        ; implicit-def: $vgpr4_vgpr5
.LBB2349_106:
	s_andn2_saveexec_b64 s[4:5], s[4:5]
	s_cbranch_execz .LBB2349_108
; %bb.107:
	v_mov_b32_e32 v0, 0
	s_waitcnt lgkmcnt(0)
	global_store_dword v0, v5, s[10:11]
.LBB2349_108:
	s_or_b64 exec, exec, s[4:5]
.LBB2349_109:
	s_or_b64 exec, exec, s[2:3]
                                        ; implicit-def: $vgpr0_vgpr1
                                        ; implicit-def: $vgpr6_vgpr7
                                        ; implicit-def: $vgpr2_vgpr3
                                        ; implicit-def: $vgpr4_vgpr5
.LBB2349_110:
	s_andn2_saveexec_b64 s[0:1], s[0:1]
	s_cbranch_execz .LBB2349_125
; %bb.111:
	v_cmp_lt_i64_e32 vcc, 2, v[0:1]
	s_and_saveexec_b64 s[0:1], vcc
	s_xor_b64 s[0:1], exec, s[0:1]
	s_cbranch_execz .LBB2349_117
; %bb.112:
	v_cmp_lt_i64_e32 vcc, 3, v[0:1]
	s_and_saveexec_b64 s[2:3], vcc
	s_xor_b64 s[2:3], exec, s[2:3]
	s_cbranch_execz .LBB2349_114
; %bb.113:
	v_mov_b32_e32 v0, 0
	s_waitcnt lgkmcnt(0)
	global_store_dword v0, v4, s[10:11]
                                        ; implicit-def: $vgpr6_vgpr7
.LBB2349_114:
	s_andn2_saveexec_b64 s[2:3], s[2:3]
	s_cbranch_execz .LBB2349_116
; %bb.115:
	v_mov_b32_e32 v0, 0
	s_waitcnt lgkmcnt(0)
	global_store_dword v0, v7, s[10:11]
.LBB2349_116:
	s_or_b64 exec, exec, s[2:3]
                                        ; implicit-def: $vgpr0_vgpr1
                                        ; implicit-def: $vgpr6_vgpr7
                                        ; implicit-def: $vgpr2_vgpr3
.LBB2349_117:
	s_andn2_saveexec_b64 s[0:1], s[0:1]
	s_cbranch_execz .LBB2349_125
; %bb.118:
	v_cmp_lt_i64_e32 vcc, 1, v[0:1]
	s_and_saveexec_b64 s[0:1], vcc
	s_xor_b64 s[0:1], exec, s[0:1]
	s_cbranch_execz .LBB2349_120
; %bb.119:
	v_mov_b32_e32 v0, 0
	s_waitcnt lgkmcnt(0)
	global_store_dword v0, v6, s[10:11]
                                        ; implicit-def: $vgpr2_vgpr3
                                        ; implicit-def: $vgpr0_vgpr1
.LBB2349_120:
	s_andn2_saveexec_b64 s[0:1], s[0:1]
	s_cbranch_execz .LBB2349_125
; %bb.121:
	v_cmp_ne_u64_e32 vcc, 1, v[0:1]
	s_and_saveexec_b64 s[0:1], vcc
	s_xor_b64 s[0:1], exec, s[0:1]
	s_cbranch_execz .LBB2349_123
; %bb.122:
	v_mov_b32_e32 v0, 0
	s_waitcnt lgkmcnt(0)
	global_store_dword v0, v2, s[10:11]
                                        ; implicit-def: $vgpr2_vgpr3
.LBB2349_123:
	s_andn2_saveexec_b64 s[0:1], s[0:1]
	s_cbranch_execz .LBB2349_125
; %bb.124:
	v_mov_b32_e32 v0, 0
	s_waitcnt lgkmcnt(0)
	global_store_dword v0, v3, s[10:11]
.LBB2349_125:
	s_endpgm
	.section	.rodata,"a",@progbits
	.p2align	6, 0x0
	.amdhsa_kernel _ZN7rocprim17ROCPRIM_400000_NS6detail17trampoline_kernelINS0_14default_configENS1_20scan_config_selectorIjEEZZNS1_9scan_implILNS1_25lookback_scan_determinismE0ELb1ELb1ES3_N6thrust23THRUST_200600_302600_NS6detail15normal_iteratorINS9_10device_ptrIjEEEESE_j11max_functorIjEjEEDaPvRmT3_T4_T5_mT6_P12ihipStream_tbENKUlT_T0_E_clISt17integral_constantIbLb1EESU_EEDaSP_SQ_EUlSP_E_NS1_11comp_targetILNS1_3genE4ELNS1_11target_archE910ELNS1_3gpuE8ELNS1_3repE0EEENS1_30default_config_static_selectorELNS0_4arch9wavefront6targetE1EEEvT1_
		.amdhsa_group_segment_fixed_size 5120
		.amdhsa_private_segment_fixed_size 0
		.amdhsa_kernarg_size 96
		.amdhsa_user_sgpr_count 6
		.amdhsa_user_sgpr_private_segment_buffer 1
		.amdhsa_user_sgpr_dispatch_ptr 0
		.amdhsa_user_sgpr_queue_ptr 0
		.amdhsa_user_sgpr_kernarg_segment_ptr 1
		.amdhsa_user_sgpr_dispatch_id 0
		.amdhsa_user_sgpr_flat_scratch_init 0
		.amdhsa_user_sgpr_kernarg_preload_length 0
		.amdhsa_user_sgpr_kernarg_preload_offset 0
		.amdhsa_user_sgpr_private_segment_size 0
		.amdhsa_uses_dynamic_stack 0
		.amdhsa_system_sgpr_private_segment_wavefront_offset 0
		.amdhsa_system_sgpr_workgroup_id_x 1
		.amdhsa_system_sgpr_workgroup_id_y 0
		.amdhsa_system_sgpr_workgroup_id_z 0
		.amdhsa_system_sgpr_workgroup_info 0
		.amdhsa_system_vgpr_workitem_id 0
		.amdhsa_next_free_vgpr 41
		.amdhsa_next_free_sgpr 40
		.amdhsa_accum_offset 44
		.amdhsa_reserve_vcc 1
		.amdhsa_reserve_flat_scratch 0
		.amdhsa_float_round_mode_32 0
		.amdhsa_float_round_mode_16_64 0
		.amdhsa_float_denorm_mode_32 3
		.amdhsa_float_denorm_mode_16_64 3
		.amdhsa_dx10_clamp 1
		.amdhsa_ieee_mode 1
		.amdhsa_fp16_overflow 0
		.amdhsa_tg_split 0
		.amdhsa_exception_fp_ieee_invalid_op 0
		.amdhsa_exception_fp_denorm_src 0
		.amdhsa_exception_fp_ieee_div_zero 0
		.amdhsa_exception_fp_ieee_overflow 0
		.amdhsa_exception_fp_ieee_underflow 0
		.amdhsa_exception_fp_ieee_inexact 0
		.amdhsa_exception_int_div_zero 0
	.end_amdhsa_kernel
	.section	.text._ZN7rocprim17ROCPRIM_400000_NS6detail17trampoline_kernelINS0_14default_configENS1_20scan_config_selectorIjEEZZNS1_9scan_implILNS1_25lookback_scan_determinismE0ELb1ELb1ES3_N6thrust23THRUST_200600_302600_NS6detail15normal_iteratorINS9_10device_ptrIjEEEESE_j11max_functorIjEjEEDaPvRmT3_T4_T5_mT6_P12ihipStream_tbENKUlT_T0_E_clISt17integral_constantIbLb1EESU_EEDaSP_SQ_EUlSP_E_NS1_11comp_targetILNS1_3genE4ELNS1_11target_archE910ELNS1_3gpuE8ELNS1_3repE0EEENS1_30default_config_static_selectorELNS0_4arch9wavefront6targetE1EEEvT1_,"axG",@progbits,_ZN7rocprim17ROCPRIM_400000_NS6detail17trampoline_kernelINS0_14default_configENS1_20scan_config_selectorIjEEZZNS1_9scan_implILNS1_25lookback_scan_determinismE0ELb1ELb1ES3_N6thrust23THRUST_200600_302600_NS6detail15normal_iteratorINS9_10device_ptrIjEEEESE_j11max_functorIjEjEEDaPvRmT3_T4_T5_mT6_P12ihipStream_tbENKUlT_T0_E_clISt17integral_constantIbLb1EESU_EEDaSP_SQ_EUlSP_E_NS1_11comp_targetILNS1_3genE4ELNS1_11target_archE910ELNS1_3gpuE8ELNS1_3repE0EEENS1_30default_config_static_selectorELNS0_4arch9wavefront6targetE1EEEvT1_,comdat
.Lfunc_end2349:
	.size	_ZN7rocprim17ROCPRIM_400000_NS6detail17trampoline_kernelINS0_14default_configENS1_20scan_config_selectorIjEEZZNS1_9scan_implILNS1_25lookback_scan_determinismE0ELb1ELb1ES3_N6thrust23THRUST_200600_302600_NS6detail15normal_iteratorINS9_10device_ptrIjEEEESE_j11max_functorIjEjEEDaPvRmT3_T4_T5_mT6_P12ihipStream_tbENKUlT_T0_E_clISt17integral_constantIbLb1EESU_EEDaSP_SQ_EUlSP_E_NS1_11comp_targetILNS1_3genE4ELNS1_11target_archE910ELNS1_3gpuE8ELNS1_3repE0EEENS1_30default_config_static_selectorELNS0_4arch9wavefront6targetE1EEEvT1_, .Lfunc_end2349-_ZN7rocprim17ROCPRIM_400000_NS6detail17trampoline_kernelINS0_14default_configENS1_20scan_config_selectorIjEEZZNS1_9scan_implILNS1_25lookback_scan_determinismE0ELb1ELb1ES3_N6thrust23THRUST_200600_302600_NS6detail15normal_iteratorINS9_10device_ptrIjEEEESE_j11max_functorIjEjEEDaPvRmT3_T4_T5_mT6_P12ihipStream_tbENKUlT_T0_E_clISt17integral_constantIbLb1EESU_EEDaSP_SQ_EUlSP_E_NS1_11comp_targetILNS1_3genE4ELNS1_11target_archE910ELNS1_3gpuE8ELNS1_3repE0EEENS1_30default_config_static_selectorELNS0_4arch9wavefront6targetE1EEEvT1_
                                        ; -- End function
	.section	.AMDGPU.csdata,"",@progbits
; Kernel info:
; codeLenInByte = 4592
; NumSgprs: 44
; NumVgprs: 41
; NumAgprs: 0
; TotalNumVgprs: 41
; ScratchSize: 0
; MemoryBound: 0
; FloatMode: 240
; IeeeMode: 1
; LDSByteSize: 5120 bytes/workgroup (compile time only)
; SGPRBlocks: 5
; VGPRBlocks: 5
; NumSGPRsForWavesPerEU: 44
; NumVGPRsForWavesPerEU: 41
; AccumOffset: 44
; Occupancy: 6
; WaveLimiterHint : 1
; COMPUTE_PGM_RSRC2:SCRATCH_EN: 0
; COMPUTE_PGM_RSRC2:USER_SGPR: 6
; COMPUTE_PGM_RSRC2:TRAP_HANDLER: 0
; COMPUTE_PGM_RSRC2:TGID_X_EN: 1
; COMPUTE_PGM_RSRC2:TGID_Y_EN: 0
; COMPUTE_PGM_RSRC2:TGID_Z_EN: 0
; COMPUTE_PGM_RSRC2:TIDIG_COMP_CNT: 0
; COMPUTE_PGM_RSRC3_GFX90A:ACCUM_OFFSET: 10
; COMPUTE_PGM_RSRC3_GFX90A:TG_SPLIT: 0
	.section	.text._ZN7rocprim17ROCPRIM_400000_NS6detail17trampoline_kernelINS0_14default_configENS1_20scan_config_selectorIjEEZZNS1_9scan_implILNS1_25lookback_scan_determinismE0ELb1ELb1ES3_N6thrust23THRUST_200600_302600_NS6detail15normal_iteratorINS9_10device_ptrIjEEEESE_j11max_functorIjEjEEDaPvRmT3_T4_T5_mT6_P12ihipStream_tbENKUlT_T0_E_clISt17integral_constantIbLb1EESU_EEDaSP_SQ_EUlSP_E_NS1_11comp_targetILNS1_3genE3ELNS1_11target_archE908ELNS1_3gpuE7ELNS1_3repE0EEENS1_30default_config_static_selectorELNS0_4arch9wavefront6targetE1EEEvT1_,"axG",@progbits,_ZN7rocprim17ROCPRIM_400000_NS6detail17trampoline_kernelINS0_14default_configENS1_20scan_config_selectorIjEEZZNS1_9scan_implILNS1_25lookback_scan_determinismE0ELb1ELb1ES3_N6thrust23THRUST_200600_302600_NS6detail15normal_iteratorINS9_10device_ptrIjEEEESE_j11max_functorIjEjEEDaPvRmT3_T4_T5_mT6_P12ihipStream_tbENKUlT_T0_E_clISt17integral_constantIbLb1EESU_EEDaSP_SQ_EUlSP_E_NS1_11comp_targetILNS1_3genE3ELNS1_11target_archE908ELNS1_3gpuE7ELNS1_3repE0EEENS1_30default_config_static_selectorELNS0_4arch9wavefront6targetE1EEEvT1_,comdat
	.protected	_ZN7rocprim17ROCPRIM_400000_NS6detail17trampoline_kernelINS0_14default_configENS1_20scan_config_selectorIjEEZZNS1_9scan_implILNS1_25lookback_scan_determinismE0ELb1ELb1ES3_N6thrust23THRUST_200600_302600_NS6detail15normal_iteratorINS9_10device_ptrIjEEEESE_j11max_functorIjEjEEDaPvRmT3_T4_T5_mT6_P12ihipStream_tbENKUlT_T0_E_clISt17integral_constantIbLb1EESU_EEDaSP_SQ_EUlSP_E_NS1_11comp_targetILNS1_3genE3ELNS1_11target_archE908ELNS1_3gpuE7ELNS1_3repE0EEENS1_30default_config_static_selectorELNS0_4arch9wavefront6targetE1EEEvT1_ ; -- Begin function _ZN7rocprim17ROCPRIM_400000_NS6detail17trampoline_kernelINS0_14default_configENS1_20scan_config_selectorIjEEZZNS1_9scan_implILNS1_25lookback_scan_determinismE0ELb1ELb1ES3_N6thrust23THRUST_200600_302600_NS6detail15normal_iteratorINS9_10device_ptrIjEEEESE_j11max_functorIjEjEEDaPvRmT3_T4_T5_mT6_P12ihipStream_tbENKUlT_T0_E_clISt17integral_constantIbLb1EESU_EEDaSP_SQ_EUlSP_E_NS1_11comp_targetILNS1_3genE3ELNS1_11target_archE908ELNS1_3gpuE7ELNS1_3repE0EEENS1_30default_config_static_selectorELNS0_4arch9wavefront6targetE1EEEvT1_
	.globl	_ZN7rocprim17ROCPRIM_400000_NS6detail17trampoline_kernelINS0_14default_configENS1_20scan_config_selectorIjEEZZNS1_9scan_implILNS1_25lookback_scan_determinismE0ELb1ELb1ES3_N6thrust23THRUST_200600_302600_NS6detail15normal_iteratorINS9_10device_ptrIjEEEESE_j11max_functorIjEjEEDaPvRmT3_T4_T5_mT6_P12ihipStream_tbENKUlT_T0_E_clISt17integral_constantIbLb1EESU_EEDaSP_SQ_EUlSP_E_NS1_11comp_targetILNS1_3genE3ELNS1_11target_archE908ELNS1_3gpuE7ELNS1_3repE0EEENS1_30default_config_static_selectorELNS0_4arch9wavefront6targetE1EEEvT1_
	.p2align	8
	.type	_ZN7rocprim17ROCPRIM_400000_NS6detail17trampoline_kernelINS0_14default_configENS1_20scan_config_selectorIjEEZZNS1_9scan_implILNS1_25lookback_scan_determinismE0ELb1ELb1ES3_N6thrust23THRUST_200600_302600_NS6detail15normal_iteratorINS9_10device_ptrIjEEEESE_j11max_functorIjEjEEDaPvRmT3_T4_T5_mT6_P12ihipStream_tbENKUlT_T0_E_clISt17integral_constantIbLb1EESU_EEDaSP_SQ_EUlSP_E_NS1_11comp_targetILNS1_3genE3ELNS1_11target_archE908ELNS1_3gpuE7ELNS1_3repE0EEENS1_30default_config_static_selectorELNS0_4arch9wavefront6targetE1EEEvT1_,@function
_ZN7rocprim17ROCPRIM_400000_NS6detail17trampoline_kernelINS0_14default_configENS1_20scan_config_selectorIjEEZZNS1_9scan_implILNS1_25lookback_scan_determinismE0ELb1ELb1ES3_N6thrust23THRUST_200600_302600_NS6detail15normal_iteratorINS9_10device_ptrIjEEEESE_j11max_functorIjEjEEDaPvRmT3_T4_T5_mT6_P12ihipStream_tbENKUlT_T0_E_clISt17integral_constantIbLb1EESU_EEDaSP_SQ_EUlSP_E_NS1_11comp_targetILNS1_3genE3ELNS1_11target_archE908ELNS1_3gpuE7ELNS1_3repE0EEENS1_30default_config_static_selectorELNS0_4arch9wavefront6targetE1EEEvT1_: ; @_ZN7rocprim17ROCPRIM_400000_NS6detail17trampoline_kernelINS0_14default_configENS1_20scan_config_selectorIjEEZZNS1_9scan_implILNS1_25lookback_scan_determinismE0ELb1ELb1ES3_N6thrust23THRUST_200600_302600_NS6detail15normal_iteratorINS9_10device_ptrIjEEEESE_j11max_functorIjEjEEDaPvRmT3_T4_T5_mT6_P12ihipStream_tbENKUlT_T0_E_clISt17integral_constantIbLb1EESU_EEDaSP_SQ_EUlSP_E_NS1_11comp_targetILNS1_3genE3ELNS1_11target_archE908ELNS1_3gpuE7ELNS1_3repE0EEENS1_30default_config_static_selectorELNS0_4arch9wavefront6targetE1EEEvT1_
; %bb.0:
	.section	.rodata,"a",@progbits
	.p2align	6, 0x0
	.amdhsa_kernel _ZN7rocprim17ROCPRIM_400000_NS6detail17trampoline_kernelINS0_14default_configENS1_20scan_config_selectorIjEEZZNS1_9scan_implILNS1_25lookback_scan_determinismE0ELb1ELb1ES3_N6thrust23THRUST_200600_302600_NS6detail15normal_iteratorINS9_10device_ptrIjEEEESE_j11max_functorIjEjEEDaPvRmT3_T4_T5_mT6_P12ihipStream_tbENKUlT_T0_E_clISt17integral_constantIbLb1EESU_EEDaSP_SQ_EUlSP_E_NS1_11comp_targetILNS1_3genE3ELNS1_11target_archE908ELNS1_3gpuE7ELNS1_3repE0EEENS1_30default_config_static_selectorELNS0_4arch9wavefront6targetE1EEEvT1_
		.amdhsa_group_segment_fixed_size 0
		.amdhsa_private_segment_fixed_size 0
		.amdhsa_kernarg_size 96
		.amdhsa_user_sgpr_count 6
		.amdhsa_user_sgpr_private_segment_buffer 1
		.amdhsa_user_sgpr_dispatch_ptr 0
		.amdhsa_user_sgpr_queue_ptr 0
		.amdhsa_user_sgpr_kernarg_segment_ptr 1
		.amdhsa_user_sgpr_dispatch_id 0
		.amdhsa_user_sgpr_flat_scratch_init 0
		.amdhsa_user_sgpr_kernarg_preload_length 0
		.amdhsa_user_sgpr_kernarg_preload_offset 0
		.amdhsa_user_sgpr_private_segment_size 0
		.amdhsa_uses_dynamic_stack 0
		.amdhsa_system_sgpr_private_segment_wavefront_offset 0
		.amdhsa_system_sgpr_workgroup_id_x 1
		.amdhsa_system_sgpr_workgroup_id_y 0
		.amdhsa_system_sgpr_workgroup_id_z 0
		.amdhsa_system_sgpr_workgroup_info 0
		.amdhsa_system_vgpr_workitem_id 0
		.amdhsa_next_free_vgpr 1
		.amdhsa_next_free_sgpr 0
		.amdhsa_accum_offset 4
		.amdhsa_reserve_vcc 0
		.amdhsa_reserve_flat_scratch 0
		.amdhsa_float_round_mode_32 0
		.amdhsa_float_round_mode_16_64 0
		.amdhsa_float_denorm_mode_32 3
		.amdhsa_float_denorm_mode_16_64 3
		.amdhsa_dx10_clamp 1
		.amdhsa_ieee_mode 1
		.amdhsa_fp16_overflow 0
		.amdhsa_tg_split 0
		.amdhsa_exception_fp_ieee_invalid_op 0
		.amdhsa_exception_fp_denorm_src 0
		.amdhsa_exception_fp_ieee_div_zero 0
		.amdhsa_exception_fp_ieee_overflow 0
		.amdhsa_exception_fp_ieee_underflow 0
		.amdhsa_exception_fp_ieee_inexact 0
		.amdhsa_exception_int_div_zero 0
	.end_amdhsa_kernel
	.section	.text._ZN7rocprim17ROCPRIM_400000_NS6detail17trampoline_kernelINS0_14default_configENS1_20scan_config_selectorIjEEZZNS1_9scan_implILNS1_25lookback_scan_determinismE0ELb1ELb1ES3_N6thrust23THRUST_200600_302600_NS6detail15normal_iteratorINS9_10device_ptrIjEEEESE_j11max_functorIjEjEEDaPvRmT3_T4_T5_mT6_P12ihipStream_tbENKUlT_T0_E_clISt17integral_constantIbLb1EESU_EEDaSP_SQ_EUlSP_E_NS1_11comp_targetILNS1_3genE3ELNS1_11target_archE908ELNS1_3gpuE7ELNS1_3repE0EEENS1_30default_config_static_selectorELNS0_4arch9wavefront6targetE1EEEvT1_,"axG",@progbits,_ZN7rocprim17ROCPRIM_400000_NS6detail17trampoline_kernelINS0_14default_configENS1_20scan_config_selectorIjEEZZNS1_9scan_implILNS1_25lookback_scan_determinismE0ELb1ELb1ES3_N6thrust23THRUST_200600_302600_NS6detail15normal_iteratorINS9_10device_ptrIjEEEESE_j11max_functorIjEjEEDaPvRmT3_T4_T5_mT6_P12ihipStream_tbENKUlT_T0_E_clISt17integral_constantIbLb1EESU_EEDaSP_SQ_EUlSP_E_NS1_11comp_targetILNS1_3genE3ELNS1_11target_archE908ELNS1_3gpuE7ELNS1_3repE0EEENS1_30default_config_static_selectorELNS0_4arch9wavefront6targetE1EEEvT1_,comdat
.Lfunc_end2350:
	.size	_ZN7rocprim17ROCPRIM_400000_NS6detail17trampoline_kernelINS0_14default_configENS1_20scan_config_selectorIjEEZZNS1_9scan_implILNS1_25lookback_scan_determinismE0ELb1ELb1ES3_N6thrust23THRUST_200600_302600_NS6detail15normal_iteratorINS9_10device_ptrIjEEEESE_j11max_functorIjEjEEDaPvRmT3_T4_T5_mT6_P12ihipStream_tbENKUlT_T0_E_clISt17integral_constantIbLb1EESU_EEDaSP_SQ_EUlSP_E_NS1_11comp_targetILNS1_3genE3ELNS1_11target_archE908ELNS1_3gpuE7ELNS1_3repE0EEENS1_30default_config_static_selectorELNS0_4arch9wavefront6targetE1EEEvT1_, .Lfunc_end2350-_ZN7rocprim17ROCPRIM_400000_NS6detail17trampoline_kernelINS0_14default_configENS1_20scan_config_selectorIjEEZZNS1_9scan_implILNS1_25lookback_scan_determinismE0ELb1ELb1ES3_N6thrust23THRUST_200600_302600_NS6detail15normal_iteratorINS9_10device_ptrIjEEEESE_j11max_functorIjEjEEDaPvRmT3_T4_T5_mT6_P12ihipStream_tbENKUlT_T0_E_clISt17integral_constantIbLb1EESU_EEDaSP_SQ_EUlSP_E_NS1_11comp_targetILNS1_3genE3ELNS1_11target_archE908ELNS1_3gpuE7ELNS1_3repE0EEENS1_30default_config_static_selectorELNS0_4arch9wavefront6targetE1EEEvT1_
                                        ; -- End function
	.section	.AMDGPU.csdata,"",@progbits
; Kernel info:
; codeLenInByte = 0
; NumSgprs: 4
; NumVgprs: 0
; NumAgprs: 0
; TotalNumVgprs: 0
; ScratchSize: 0
; MemoryBound: 0
; FloatMode: 240
; IeeeMode: 1
; LDSByteSize: 0 bytes/workgroup (compile time only)
; SGPRBlocks: 0
; VGPRBlocks: 0
; NumSGPRsForWavesPerEU: 4
; NumVGPRsForWavesPerEU: 1
; AccumOffset: 4
; Occupancy: 8
; WaveLimiterHint : 0
; COMPUTE_PGM_RSRC2:SCRATCH_EN: 0
; COMPUTE_PGM_RSRC2:USER_SGPR: 6
; COMPUTE_PGM_RSRC2:TRAP_HANDLER: 0
; COMPUTE_PGM_RSRC2:TGID_X_EN: 1
; COMPUTE_PGM_RSRC2:TGID_Y_EN: 0
; COMPUTE_PGM_RSRC2:TGID_Z_EN: 0
; COMPUTE_PGM_RSRC2:TIDIG_COMP_CNT: 0
; COMPUTE_PGM_RSRC3_GFX90A:ACCUM_OFFSET: 0
; COMPUTE_PGM_RSRC3_GFX90A:TG_SPLIT: 0
	.section	.text._ZN7rocprim17ROCPRIM_400000_NS6detail17trampoline_kernelINS0_14default_configENS1_20scan_config_selectorIjEEZZNS1_9scan_implILNS1_25lookback_scan_determinismE0ELb1ELb1ES3_N6thrust23THRUST_200600_302600_NS6detail15normal_iteratorINS9_10device_ptrIjEEEESE_j11max_functorIjEjEEDaPvRmT3_T4_T5_mT6_P12ihipStream_tbENKUlT_T0_E_clISt17integral_constantIbLb1EESU_EEDaSP_SQ_EUlSP_E_NS1_11comp_targetILNS1_3genE2ELNS1_11target_archE906ELNS1_3gpuE6ELNS1_3repE0EEENS1_30default_config_static_selectorELNS0_4arch9wavefront6targetE1EEEvT1_,"axG",@progbits,_ZN7rocprim17ROCPRIM_400000_NS6detail17trampoline_kernelINS0_14default_configENS1_20scan_config_selectorIjEEZZNS1_9scan_implILNS1_25lookback_scan_determinismE0ELb1ELb1ES3_N6thrust23THRUST_200600_302600_NS6detail15normal_iteratorINS9_10device_ptrIjEEEESE_j11max_functorIjEjEEDaPvRmT3_T4_T5_mT6_P12ihipStream_tbENKUlT_T0_E_clISt17integral_constantIbLb1EESU_EEDaSP_SQ_EUlSP_E_NS1_11comp_targetILNS1_3genE2ELNS1_11target_archE906ELNS1_3gpuE6ELNS1_3repE0EEENS1_30default_config_static_selectorELNS0_4arch9wavefront6targetE1EEEvT1_,comdat
	.protected	_ZN7rocprim17ROCPRIM_400000_NS6detail17trampoline_kernelINS0_14default_configENS1_20scan_config_selectorIjEEZZNS1_9scan_implILNS1_25lookback_scan_determinismE0ELb1ELb1ES3_N6thrust23THRUST_200600_302600_NS6detail15normal_iteratorINS9_10device_ptrIjEEEESE_j11max_functorIjEjEEDaPvRmT3_T4_T5_mT6_P12ihipStream_tbENKUlT_T0_E_clISt17integral_constantIbLb1EESU_EEDaSP_SQ_EUlSP_E_NS1_11comp_targetILNS1_3genE2ELNS1_11target_archE906ELNS1_3gpuE6ELNS1_3repE0EEENS1_30default_config_static_selectorELNS0_4arch9wavefront6targetE1EEEvT1_ ; -- Begin function _ZN7rocprim17ROCPRIM_400000_NS6detail17trampoline_kernelINS0_14default_configENS1_20scan_config_selectorIjEEZZNS1_9scan_implILNS1_25lookback_scan_determinismE0ELb1ELb1ES3_N6thrust23THRUST_200600_302600_NS6detail15normal_iteratorINS9_10device_ptrIjEEEESE_j11max_functorIjEjEEDaPvRmT3_T4_T5_mT6_P12ihipStream_tbENKUlT_T0_E_clISt17integral_constantIbLb1EESU_EEDaSP_SQ_EUlSP_E_NS1_11comp_targetILNS1_3genE2ELNS1_11target_archE906ELNS1_3gpuE6ELNS1_3repE0EEENS1_30default_config_static_selectorELNS0_4arch9wavefront6targetE1EEEvT1_
	.globl	_ZN7rocprim17ROCPRIM_400000_NS6detail17trampoline_kernelINS0_14default_configENS1_20scan_config_selectorIjEEZZNS1_9scan_implILNS1_25lookback_scan_determinismE0ELb1ELb1ES3_N6thrust23THRUST_200600_302600_NS6detail15normal_iteratorINS9_10device_ptrIjEEEESE_j11max_functorIjEjEEDaPvRmT3_T4_T5_mT6_P12ihipStream_tbENKUlT_T0_E_clISt17integral_constantIbLb1EESU_EEDaSP_SQ_EUlSP_E_NS1_11comp_targetILNS1_3genE2ELNS1_11target_archE906ELNS1_3gpuE6ELNS1_3repE0EEENS1_30default_config_static_selectorELNS0_4arch9wavefront6targetE1EEEvT1_
	.p2align	8
	.type	_ZN7rocprim17ROCPRIM_400000_NS6detail17trampoline_kernelINS0_14default_configENS1_20scan_config_selectorIjEEZZNS1_9scan_implILNS1_25lookback_scan_determinismE0ELb1ELb1ES3_N6thrust23THRUST_200600_302600_NS6detail15normal_iteratorINS9_10device_ptrIjEEEESE_j11max_functorIjEjEEDaPvRmT3_T4_T5_mT6_P12ihipStream_tbENKUlT_T0_E_clISt17integral_constantIbLb1EESU_EEDaSP_SQ_EUlSP_E_NS1_11comp_targetILNS1_3genE2ELNS1_11target_archE906ELNS1_3gpuE6ELNS1_3repE0EEENS1_30default_config_static_selectorELNS0_4arch9wavefront6targetE1EEEvT1_,@function
_ZN7rocprim17ROCPRIM_400000_NS6detail17trampoline_kernelINS0_14default_configENS1_20scan_config_selectorIjEEZZNS1_9scan_implILNS1_25lookback_scan_determinismE0ELb1ELb1ES3_N6thrust23THRUST_200600_302600_NS6detail15normal_iteratorINS9_10device_ptrIjEEEESE_j11max_functorIjEjEEDaPvRmT3_T4_T5_mT6_P12ihipStream_tbENKUlT_T0_E_clISt17integral_constantIbLb1EESU_EEDaSP_SQ_EUlSP_E_NS1_11comp_targetILNS1_3genE2ELNS1_11target_archE906ELNS1_3gpuE6ELNS1_3repE0EEENS1_30default_config_static_selectorELNS0_4arch9wavefront6targetE1EEEvT1_: ; @_ZN7rocprim17ROCPRIM_400000_NS6detail17trampoline_kernelINS0_14default_configENS1_20scan_config_selectorIjEEZZNS1_9scan_implILNS1_25lookback_scan_determinismE0ELb1ELb1ES3_N6thrust23THRUST_200600_302600_NS6detail15normal_iteratorINS9_10device_ptrIjEEEESE_j11max_functorIjEjEEDaPvRmT3_T4_T5_mT6_P12ihipStream_tbENKUlT_T0_E_clISt17integral_constantIbLb1EESU_EEDaSP_SQ_EUlSP_E_NS1_11comp_targetILNS1_3genE2ELNS1_11target_archE906ELNS1_3gpuE6ELNS1_3repE0EEENS1_30default_config_static_selectorELNS0_4arch9wavefront6targetE1EEEvT1_
; %bb.0:
	.section	.rodata,"a",@progbits
	.p2align	6, 0x0
	.amdhsa_kernel _ZN7rocprim17ROCPRIM_400000_NS6detail17trampoline_kernelINS0_14default_configENS1_20scan_config_selectorIjEEZZNS1_9scan_implILNS1_25lookback_scan_determinismE0ELb1ELb1ES3_N6thrust23THRUST_200600_302600_NS6detail15normal_iteratorINS9_10device_ptrIjEEEESE_j11max_functorIjEjEEDaPvRmT3_T4_T5_mT6_P12ihipStream_tbENKUlT_T0_E_clISt17integral_constantIbLb1EESU_EEDaSP_SQ_EUlSP_E_NS1_11comp_targetILNS1_3genE2ELNS1_11target_archE906ELNS1_3gpuE6ELNS1_3repE0EEENS1_30default_config_static_selectorELNS0_4arch9wavefront6targetE1EEEvT1_
		.amdhsa_group_segment_fixed_size 0
		.amdhsa_private_segment_fixed_size 0
		.amdhsa_kernarg_size 96
		.amdhsa_user_sgpr_count 6
		.amdhsa_user_sgpr_private_segment_buffer 1
		.amdhsa_user_sgpr_dispatch_ptr 0
		.amdhsa_user_sgpr_queue_ptr 0
		.amdhsa_user_sgpr_kernarg_segment_ptr 1
		.amdhsa_user_sgpr_dispatch_id 0
		.amdhsa_user_sgpr_flat_scratch_init 0
		.amdhsa_user_sgpr_kernarg_preload_length 0
		.amdhsa_user_sgpr_kernarg_preload_offset 0
		.amdhsa_user_sgpr_private_segment_size 0
		.amdhsa_uses_dynamic_stack 0
		.amdhsa_system_sgpr_private_segment_wavefront_offset 0
		.amdhsa_system_sgpr_workgroup_id_x 1
		.amdhsa_system_sgpr_workgroup_id_y 0
		.amdhsa_system_sgpr_workgroup_id_z 0
		.amdhsa_system_sgpr_workgroup_info 0
		.amdhsa_system_vgpr_workitem_id 0
		.amdhsa_next_free_vgpr 1
		.amdhsa_next_free_sgpr 0
		.amdhsa_accum_offset 4
		.amdhsa_reserve_vcc 0
		.amdhsa_reserve_flat_scratch 0
		.amdhsa_float_round_mode_32 0
		.amdhsa_float_round_mode_16_64 0
		.amdhsa_float_denorm_mode_32 3
		.amdhsa_float_denorm_mode_16_64 3
		.amdhsa_dx10_clamp 1
		.amdhsa_ieee_mode 1
		.amdhsa_fp16_overflow 0
		.amdhsa_tg_split 0
		.amdhsa_exception_fp_ieee_invalid_op 0
		.amdhsa_exception_fp_denorm_src 0
		.amdhsa_exception_fp_ieee_div_zero 0
		.amdhsa_exception_fp_ieee_overflow 0
		.amdhsa_exception_fp_ieee_underflow 0
		.amdhsa_exception_fp_ieee_inexact 0
		.amdhsa_exception_int_div_zero 0
	.end_amdhsa_kernel
	.section	.text._ZN7rocprim17ROCPRIM_400000_NS6detail17trampoline_kernelINS0_14default_configENS1_20scan_config_selectorIjEEZZNS1_9scan_implILNS1_25lookback_scan_determinismE0ELb1ELb1ES3_N6thrust23THRUST_200600_302600_NS6detail15normal_iteratorINS9_10device_ptrIjEEEESE_j11max_functorIjEjEEDaPvRmT3_T4_T5_mT6_P12ihipStream_tbENKUlT_T0_E_clISt17integral_constantIbLb1EESU_EEDaSP_SQ_EUlSP_E_NS1_11comp_targetILNS1_3genE2ELNS1_11target_archE906ELNS1_3gpuE6ELNS1_3repE0EEENS1_30default_config_static_selectorELNS0_4arch9wavefront6targetE1EEEvT1_,"axG",@progbits,_ZN7rocprim17ROCPRIM_400000_NS6detail17trampoline_kernelINS0_14default_configENS1_20scan_config_selectorIjEEZZNS1_9scan_implILNS1_25lookback_scan_determinismE0ELb1ELb1ES3_N6thrust23THRUST_200600_302600_NS6detail15normal_iteratorINS9_10device_ptrIjEEEESE_j11max_functorIjEjEEDaPvRmT3_T4_T5_mT6_P12ihipStream_tbENKUlT_T0_E_clISt17integral_constantIbLb1EESU_EEDaSP_SQ_EUlSP_E_NS1_11comp_targetILNS1_3genE2ELNS1_11target_archE906ELNS1_3gpuE6ELNS1_3repE0EEENS1_30default_config_static_selectorELNS0_4arch9wavefront6targetE1EEEvT1_,comdat
.Lfunc_end2351:
	.size	_ZN7rocprim17ROCPRIM_400000_NS6detail17trampoline_kernelINS0_14default_configENS1_20scan_config_selectorIjEEZZNS1_9scan_implILNS1_25lookback_scan_determinismE0ELb1ELb1ES3_N6thrust23THRUST_200600_302600_NS6detail15normal_iteratorINS9_10device_ptrIjEEEESE_j11max_functorIjEjEEDaPvRmT3_T4_T5_mT6_P12ihipStream_tbENKUlT_T0_E_clISt17integral_constantIbLb1EESU_EEDaSP_SQ_EUlSP_E_NS1_11comp_targetILNS1_3genE2ELNS1_11target_archE906ELNS1_3gpuE6ELNS1_3repE0EEENS1_30default_config_static_selectorELNS0_4arch9wavefront6targetE1EEEvT1_, .Lfunc_end2351-_ZN7rocprim17ROCPRIM_400000_NS6detail17trampoline_kernelINS0_14default_configENS1_20scan_config_selectorIjEEZZNS1_9scan_implILNS1_25lookback_scan_determinismE0ELb1ELb1ES3_N6thrust23THRUST_200600_302600_NS6detail15normal_iteratorINS9_10device_ptrIjEEEESE_j11max_functorIjEjEEDaPvRmT3_T4_T5_mT6_P12ihipStream_tbENKUlT_T0_E_clISt17integral_constantIbLb1EESU_EEDaSP_SQ_EUlSP_E_NS1_11comp_targetILNS1_3genE2ELNS1_11target_archE906ELNS1_3gpuE6ELNS1_3repE0EEENS1_30default_config_static_selectorELNS0_4arch9wavefront6targetE1EEEvT1_
                                        ; -- End function
	.section	.AMDGPU.csdata,"",@progbits
; Kernel info:
; codeLenInByte = 0
; NumSgprs: 4
; NumVgprs: 0
; NumAgprs: 0
; TotalNumVgprs: 0
; ScratchSize: 0
; MemoryBound: 0
; FloatMode: 240
; IeeeMode: 1
; LDSByteSize: 0 bytes/workgroup (compile time only)
; SGPRBlocks: 0
; VGPRBlocks: 0
; NumSGPRsForWavesPerEU: 4
; NumVGPRsForWavesPerEU: 1
; AccumOffset: 4
; Occupancy: 8
; WaveLimiterHint : 0
; COMPUTE_PGM_RSRC2:SCRATCH_EN: 0
; COMPUTE_PGM_RSRC2:USER_SGPR: 6
; COMPUTE_PGM_RSRC2:TRAP_HANDLER: 0
; COMPUTE_PGM_RSRC2:TGID_X_EN: 1
; COMPUTE_PGM_RSRC2:TGID_Y_EN: 0
; COMPUTE_PGM_RSRC2:TGID_Z_EN: 0
; COMPUTE_PGM_RSRC2:TIDIG_COMP_CNT: 0
; COMPUTE_PGM_RSRC3_GFX90A:ACCUM_OFFSET: 0
; COMPUTE_PGM_RSRC3_GFX90A:TG_SPLIT: 0
	.section	.text._ZN7rocprim17ROCPRIM_400000_NS6detail17trampoline_kernelINS0_14default_configENS1_20scan_config_selectorIjEEZZNS1_9scan_implILNS1_25lookback_scan_determinismE0ELb1ELb1ES3_N6thrust23THRUST_200600_302600_NS6detail15normal_iteratorINS9_10device_ptrIjEEEESE_j11max_functorIjEjEEDaPvRmT3_T4_T5_mT6_P12ihipStream_tbENKUlT_T0_E_clISt17integral_constantIbLb1EESU_EEDaSP_SQ_EUlSP_E_NS1_11comp_targetILNS1_3genE10ELNS1_11target_archE1201ELNS1_3gpuE5ELNS1_3repE0EEENS1_30default_config_static_selectorELNS0_4arch9wavefront6targetE1EEEvT1_,"axG",@progbits,_ZN7rocprim17ROCPRIM_400000_NS6detail17trampoline_kernelINS0_14default_configENS1_20scan_config_selectorIjEEZZNS1_9scan_implILNS1_25lookback_scan_determinismE0ELb1ELb1ES3_N6thrust23THRUST_200600_302600_NS6detail15normal_iteratorINS9_10device_ptrIjEEEESE_j11max_functorIjEjEEDaPvRmT3_T4_T5_mT6_P12ihipStream_tbENKUlT_T0_E_clISt17integral_constantIbLb1EESU_EEDaSP_SQ_EUlSP_E_NS1_11comp_targetILNS1_3genE10ELNS1_11target_archE1201ELNS1_3gpuE5ELNS1_3repE0EEENS1_30default_config_static_selectorELNS0_4arch9wavefront6targetE1EEEvT1_,comdat
	.protected	_ZN7rocprim17ROCPRIM_400000_NS6detail17trampoline_kernelINS0_14default_configENS1_20scan_config_selectorIjEEZZNS1_9scan_implILNS1_25lookback_scan_determinismE0ELb1ELb1ES3_N6thrust23THRUST_200600_302600_NS6detail15normal_iteratorINS9_10device_ptrIjEEEESE_j11max_functorIjEjEEDaPvRmT3_T4_T5_mT6_P12ihipStream_tbENKUlT_T0_E_clISt17integral_constantIbLb1EESU_EEDaSP_SQ_EUlSP_E_NS1_11comp_targetILNS1_3genE10ELNS1_11target_archE1201ELNS1_3gpuE5ELNS1_3repE0EEENS1_30default_config_static_selectorELNS0_4arch9wavefront6targetE1EEEvT1_ ; -- Begin function _ZN7rocprim17ROCPRIM_400000_NS6detail17trampoline_kernelINS0_14default_configENS1_20scan_config_selectorIjEEZZNS1_9scan_implILNS1_25lookback_scan_determinismE0ELb1ELb1ES3_N6thrust23THRUST_200600_302600_NS6detail15normal_iteratorINS9_10device_ptrIjEEEESE_j11max_functorIjEjEEDaPvRmT3_T4_T5_mT6_P12ihipStream_tbENKUlT_T0_E_clISt17integral_constantIbLb1EESU_EEDaSP_SQ_EUlSP_E_NS1_11comp_targetILNS1_3genE10ELNS1_11target_archE1201ELNS1_3gpuE5ELNS1_3repE0EEENS1_30default_config_static_selectorELNS0_4arch9wavefront6targetE1EEEvT1_
	.globl	_ZN7rocprim17ROCPRIM_400000_NS6detail17trampoline_kernelINS0_14default_configENS1_20scan_config_selectorIjEEZZNS1_9scan_implILNS1_25lookback_scan_determinismE0ELb1ELb1ES3_N6thrust23THRUST_200600_302600_NS6detail15normal_iteratorINS9_10device_ptrIjEEEESE_j11max_functorIjEjEEDaPvRmT3_T4_T5_mT6_P12ihipStream_tbENKUlT_T0_E_clISt17integral_constantIbLb1EESU_EEDaSP_SQ_EUlSP_E_NS1_11comp_targetILNS1_3genE10ELNS1_11target_archE1201ELNS1_3gpuE5ELNS1_3repE0EEENS1_30default_config_static_selectorELNS0_4arch9wavefront6targetE1EEEvT1_
	.p2align	8
	.type	_ZN7rocprim17ROCPRIM_400000_NS6detail17trampoline_kernelINS0_14default_configENS1_20scan_config_selectorIjEEZZNS1_9scan_implILNS1_25lookback_scan_determinismE0ELb1ELb1ES3_N6thrust23THRUST_200600_302600_NS6detail15normal_iteratorINS9_10device_ptrIjEEEESE_j11max_functorIjEjEEDaPvRmT3_T4_T5_mT6_P12ihipStream_tbENKUlT_T0_E_clISt17integral_constantIbLb1EESU_EEDaSP_SQ_EUlSP_E_NS1_11comp_targetILNS1_3genE10ELNS1_11target_archE1201ELNS1_3gpuE5ELNS1_3repE0EEENS1_30default_config_static_selectorELNS0_4arch9wavefront6targetE1EEEvT1_,@function
_ZN7rocprim17ROCPRIM_400000_NS6detail17trampoline_kernelINS0_14default_configENS1_20scan_config_selectorIjEEZZNS1_9scan_implILNS1_25lookback_scan_determinismE0ELb1ELb1ES3_N6thrust23THRUST_200600_302600_NS6detail15normal_iteratorINS9_10device_ptrIjEEEESE_j11max_functorIjEjEEDaPvRmT3_T4_T5_mT6_P12ihipStream_tbENKUlT_T0_E_clISt17integral_constantIbLb1EESU_EEDaSP_SQ_EUlSP_E_NS1_11comp_targetILNS1_3genE10ELNS1_11target_archE1201ELNS1_3gpuE5ELNS1_3repE0EEENS1_30default_config_static_selectorELNS0_4arch9wavefront6targetE1EEEvT1_: ; @_ZN7rocprim17ROCPRIM_400000_NS6detail17trampoline_kernelINS0_14default_configENS1_20scan_config_selectorIjEEZZNS1_9scan_implILNS1_25lookback_scan_determinismE0ELb1ELb1ES3_N6thrust23THRUST_200600_302600_NS6detail15normal_iteratorINS9_10device_ptrIjEEEESE_j11max_functorIjEjEEDaPvRmT3_T4_T5_mT6_P12ihipStream_tbENKUlT_T0_E_clISt17integral_constantIbLb1EESU_EEDaSP_SQ_EUlSP_E_NS1_11comp_targetILNS1_3genE10ELNS1_11target_archE1201ELNS1_3gpuE5ELNS1_3repE0EEENS1_30default_config_static_selectorELNS0_4arch9wavefront6targetE1EEEvT1_
; %bb.0:
	.section	.rodata,"a",@progbits
	.p2align	6, 0x0
	.amdhsa_kernel _ZN7rocprim17ROCPRIM_400000_NS6detail17trampoline_kernelINS0_14default_configENS1_20scan_config_selectorIjEEZZNS1_9scan_implILNS1_25lookback_scan_determinismE0ELb1ELb1ES3_N6thrust23THRUST_200600_302600_NS6detail15normal_iteratorINS9_10device_ptrIjEEEESE_j11max_functorIjEjEEDaPvRmT3_T4_T5_mT6_P12ihipStream_tbENKUlT_T0_E_clISt17integral_constantIbLb1EESU_EEDaSP_SQ_EUlSP_E_NS1_11comp_targetILNS1_3genE10ELNS1_11target_archE1201ELNS1_3gpuE5ELNS1_3repE0EEENS1_30default_config_static_selectorELNS0_4arch9wavefront6targetE1EEEvT1_
		.amdhsa_group_segment_fixed_size 0
		.amdhsa_private_segment_fixed_size 0
		.amdhsa_kernarg_size 96
		.amdhsa_user_sgpr_count 6
		.amdhsa_user_sgpr_private_segment_buffer 1
		.amdhsa_user_sgpr_dispatch_ptr 0
		.amdhsa_user_sgpr_queue_ptr 0
		.amdhsa_user_sgpr_kernarg_segment_ptr 1
		.amdhsa_user_sgpr_dispatch_id 0
		.amdhsa_user_sgpr_flat_scratch_init 0
		.amdhsa_user_sgpr_kernarg_preload_length 0
		.amdhsa_user_sgpr_kernarg_preload_offset 0
		.amdhsa_user_sgpr_private_segment_size 0
		.amdhsa_uses_dynamic_stack 0
		.amdhsa_system_sgpr_private_segment_wavefront_offset 0
		.amdhsa_system_sgpr_workgroup_id_x 1
		.amdhsa_system_sgpr_workgroup_id_y 0
		.amdhsa_system_sgpr_workgroup_id_z 0
		.amdhsa_system_sgpr_workgroup_info 0
		.amdhsa_system_vgpr_workitem_id 0
		.amdhsa_next_free_vgpr 1
		.amdhsa_next_free_sgpr 0
		.amdhsa_accum_offset 4
		.amdhsa_reserve_vcc 0
		.amdhsa_reserve_flat_scratch 0
		.amdhsa_float_round_mode_32 0
		.amdhsa_float_round_mode_16_64 0
		.amdhsa_float_denorm_mode_32 3
		.amdhsa_float_denorm_mode_16_64 3
		.amdhsa_dx10_clamp 1
		.amdhsa_ieee_mode 1
		.amdhsa_fp16_overflow 0
		.amdhsa_tg_split 0
		.amdhsa_exception_fp_ieee_invalid_op 0
		.amdhsa_exception_fp_denorm_src 0
		.amdhsa_exception_fp_ieee_div_zero 0
		.amdhsa_exception_fp_ieee_overflow 0
		.amdhsa_exception_fp_ieee_underflow 0
		.amdhsa_exception_fp_ieee_inexact 0
		.amdhsa_exception_int_div_zero 0
	.end_amdhsa_kernel
	.section	.text._ZN7rocprim17ROCPRIM_400000_NS6detail17trampoline_kernelINS0_14default_configENS1_20scan_config_selectorIjEEZZNS1_9scan_implILNS1_25lookback_scan_determinismE0ELb1ELb1ES3_N6thrust23THRUST_200600_302600_NS6detail15normal_iteratorINS9_10device_ptrIjEEEESE_j11max_functorIjEjEEDaPvRmT3_T4_T5_mT6_P12ihipStream_tbENKUlT_T0_E_clISt17integral_constantIbLb1EESU_EEDaSP_SQ_EUlSP_E_NS1_11comp_targetILNS1_3genE10ELNS1_11target_archE1201ELNS1_3gpuE5ELNS1_3repE0EEENS1_30default_config_static_selectorELNS0_4arch9wavefront6targetE1EEEvT1_,"axG",@progbits,_ZN7rocprim17ROCPRIM_400000_NS6detail17trampoline_kernelINS0_14default_configENS1_20scan_config_selectorIjEEZZNS1_9scan_implILNS1_25lookback_scan_determinismE0ELb1ELb1ES3_N6thrust23THRUST_200600_302600_NS6detail15normal_iteratorINS9_10device_ptrIjEEEESE_j11max_functorIjEjEEDaPvRmT3_T4_T5_mT6_P12ihipStream_tbENKUlT_T0_E_clISt17integral_constantIbLb1EESU_EEDaSP_SQ_EUlSP_E_NS1_11comp_targetILNS1_3genE10ELNS1_11target_archE1201ELNS1_3gpuE5ELNS1_3repE0EEENS1_30default_config_static_selectorELNS0_4arch9wavefront6targetE1EEEvT1_,comdat
.Lfunc_end2352:
	.size	_ZN7rocprim17ROCPRIM_400000_NS6detail17trampoline_kernelINS0_14default_configENS1_20scan_config_selectorIjEEZZNS1_9scan_implILNS1_25lookback_scan_determinismE0ELb1ELb1ES3_N6thrust23THRUST_200600_302600_NS6detail15normal_iteratorINS9_10device_ptrIjEEEESE_j11max_functorIjEjEEDaPvRmT3_T4_T5_mT6_P12ihipStream_tbENKUlT_T0_E_clISt17integral_constantIbLb1EESU_EEDaSP_SQ_EUlSP_E_NS1_11comp_targetILNS1_3genE10ELNS1_11target_archE1201ELNS1_3gpuE5ELNS1_3repE0EEENS1_30default_config_static_selectorELNS0_4arch9wavefront6targetE1EEEvT1_, .Lfunc_end2352-_ZN7rocprim17ROCPRIM_400000_NS6detail17trampoline_kernelINS0_14default_configENS1_20scan_config_selectorIjEEZZNS1_9scan_implILNS1_25lookback_scan_determinismE0ELb1ELb1ES3_N6thrust23THRUST_200600_302600_NS6detail15normal_iteratorINS9_10device_ptrIjEEEESE_j11max_functorIjEjEEDaPvRmT3_T4_T5_mT6_P12ihipStream_tbENKUlT_T0_E_clISt17integral_constantIbLb1EESU_EEDaSP_SQ_EUlSP_E_NS1_11comp_targetILNS1_3genE10ELNS1_11target_archE1201ELNS1_3gpuE5ELNS1_3repE0EEENS1_30default_config_static_selectorELNS0_4arch9wavefront6targetE1EEEvT1_
                                        ; -- End function
	.section	.AMDGPU.csdata,"",@progbits
; Kernel info:
; codeLenInByte = 0
; NumSgprs: 4
; NumVgprs: 0
; NumAgprs: 0
; TotalNumVgprs: 0
; ScratchSize: 0
; MemoryBound: 0
; FloatMode: 240
; IeeeMode: 1
; LDSByteSize: 0 bytes/workgroup (compile time only)
; SGPRBlocks: 0
; VGPRBlocks: 0
; NumSGPRsForWavesPerEU: 4
; NumVGPRsForWavesPerEU: 1
; AccumOffset: 4
; Occupancy: 8
; WaveLimiterHint : 0
; COMPUTE_PGM_RSRC2:SCRATCH_EN: 0
; COMPUTE_PGM_RSRC2:USER_SGPR: 6
; COMPUTE_PGM_RSRC2:TRAP_HANDLER: 0
; COMPUTE_PGM_RSRC2:TGID_X_EN: 1
; COMPUTE_PGM_RSRC2:TGID_Y_EN: 0
; COMPUTE_PGM_RSRC2:TGID_Z_EN: 0
; COMPUTE_PGM_RSRC2:TIDIG_COMP_CNT: 0
; COMPUTE_PGM_RSRC3_GFX90A:ACCUM_OFFSET: 0
; COMPUTE_PGM_RSRC3_GFX90A:TG_SPLIT: 0
	.section	.text._ZN7rocprim17ROCPRIM_400000_NS6detail17trampoline_kernelINS0_14default_configENS1_20scan_config_selectorIjEEZZNS1_9scan_implILNS1_25lookback_scan_determinismE0ELb1ELb1ES3_N6thrust23THRUST_200600_302600_NS6detail15normal_iteratorINS9_10device_ptrIjEEEESE_j11max_functorIjEjEEDaPvRmT3_T4_T5_mT6_P12ihipStream_tbENKUlT_T0_E_clISt17integral_constantIbLb1EESU_EEDaSP_SQ_EUlSP_E_NS1_11comp_targetILNS1_3genE10ELNS1_11target_archE1200ELNS1_3gpuE4ELNS1_3repE0EEENS1_30default_config_static_selectorELNS0_4arch9wavefront6targetE1EEEvT1_,"axG",@progbits,_ZN7rocprim17ROCPRIM_400000_NS6detail17trampoline_kernelINS0_14default_configENS1_20scan_config_selectorIjEEZZNS1_9scan_implILNS1_25lookback_scan_determinismE0ELb1ELb1ES3_N6thrust23THRUST_200600_302600_NS6detail15normal_iteratorINS9_10device_ptrIjEEEESE_j11max_functorIjEjEEDaPvRmT3_T4_T5_mT6_P12ihipStream_tbENKUlT_T0_E_clISt17integral_constantIbLb1EESU_EEDaSP_SQ_EUlSP_E_NS1_11comp_targetILNS1_3genE10ELNS1_11target_archE1200ELNS1_3gpuE4ELNS1_3repE0EEENS1_30default_config_static_selectorELNS0_4arch9wavefront6targetE1EEEvT1_,comdat
	.protected	_ZN7rocprim17ROCPRIM_400000_NS6detail17trampoline_kernelINS0_14default_configENS1_20scan_config_selectorIjEEZZNS1_9scan_implILNS1_25lookback_scan_determinismE0ELb1ELb1ES3_N6thrust23THRUST_200600_302600_NS6detail15normal_iteratorINS9_10device_ptrIjEEEESE_j11max_functorIjEjEEDaPvRmT3_T4_T5_mT6_P12ihipStream_tbENKUlT_T0_E_clISt17integral_constantIbLb1EESU_EEDaSP_SQ_EUlSP_E_NS1_11comp_targetILNS1_3genE10ELNS1_11target_archE1200ELNS1_3gpuE4ELNS1_3repE0EEENS1_30default_config_static_selectorELNS0_4arch9wavefront6targetE1EEEvT1_ ; -- Begin function _ZN7rocprim17ROCPRIM_400000_NS6detail17trampoline_kernelINS0_14default_configENS1_20scan_config_selectorIjEEZZNS1_9scan_implILNS1_25lookback_scan_determinismE0ELb1ELb1ES3_N6thrust23THRUST_200600_302600_NS6detail15normal_iteratorINS9_10device_ptrIjEEEESE_j11max_functorIjEjEEDaPvRmT3_T4_T5_mT6_P12ihipStream_tbENKUlT_T0_E_clISt17integral_constantIbLb1EESU_EEDaSP_SQ_EUlSP_E_NS1_11comp_targetILNS1_3genE10ELNS1_11target_archE1200ELNS1_3gpuE4ELNS1_3repE0EEENS1_30default_config_static_selectorELNS0_4arch9wavefront6targetE1EEEvT1_
	.globl	_ZN7rocprim17ROCPRIM_400000_NS6detail17trampoline_kernelINS0_14default_configENS1_20scan_config_selectorIjEEZZNS1_9scan_implILNS1_25lookback_scan_determinismE0ELb1ELb1ES3_N6thrust23THRUST_200600_302600_NS6detail15normal_iteratorINS9_10device_ptrIjEEEESE_j11max_functorIjEjEEDaPvRmT3_T4_T5_mT6_P12ihipStream_tbENKUlT_T0_E_clISt17integral_constantIbLb1EESU_EEDaSP_SQ_EUlSP_E_NS1_11comp_targetILNS1_3genE10ELNS1_11target_archE1200ELNS1_3gpuE4ELNS1_3repE0EEENS1_30default_config_static_selectorELNS0_4arch9wavefront6targetE1EEEvT1_
	.p2align	8
	.type	_ZN7rocprim17ROCPRIM_400000_NS6detail17trampoline_kernelINS0_14default_configENS1_20scan_config_selectorIjEEZZNS1_9scan_implILNS1_25lookback_scan_determinismE0ELb1ELb1ES3_N6thrust23THRUST_200600_302600_NS6detail15normal_iteratorINS9_10device_ptrIjEEEESE_j11max_functorIjEjEEDaPvRmT3_T4_T5_mT6_P12ihipStream_tbENKUlT_T0_E_clISt17integral_constantIbLb1EESU_EEDaSP_SQ_EUlSP_E_NS1_11comp_targetILNS1_3genE10ELNS1_11target_archE1200ELNS1_3gpuE4ELNS1_3repE0EEENS1_30default_config_static_selectorELNS0_4arch9wavefront6targetE1EEEvT1_,@function
_ZN7rocprim17ROCPRIM_400000_NS6detail17trampoline_kernelINS0_14default_configENS1_20scan_config_selectorIjEEZZNS1_9scan_implILNS1_25lookback_scan_determinismE0ELb1ELb1ES3_N6thrust23THRUST_200600_302600_NS6detail15normal_iteratorINS9_10device_ptrIjEEEESE_j11max_functorIjEjEEDaPvRmT3_T4_T5_mT6_P12ihipStream_tbENKUlT_T0_E_clISt17integral_constantIbLb1EESU_EEDaSP_SQ_EUlSP_E_NS1_11comp_targetILNS1_3genE10ELNS1_11target_archE1200ELNS1_3gpuE4ELNS1_3repE0EEENS1_30default_config_static_selectorELNS0_4arch9wavefront6targetE1EEEvT1_: ; @_ZN7rocprim17ROCPRIM_400000_NS6detail17trampoline_kernelINS0_14default_configENS1_20scan_config_selectorIjEEZZNS1_9scan_implILNS1_25lookback_scan_determinismE0ELb1ELb1ES3_N6thrust23THRUST_200600_302600_NS6detail15normal_iteratorINS9_10device_ptrIjEEEESE_j11max_functorIjEjEEDaPvRmT3_T4_T5_mT6_P12ihipStream_tbENKUlT_T0_E_clISt17integral_constantIbLb1EESU_EEDaSP_SQ_EUlSP_E_NS1_11comp_targetILNS1_3genE10ELNS1_11target_archE1200ELNS1_3gpuE4ELNS1_3repE0EEENS1_30default_config_static_selectorELNS0_4arch9wavefront6targetE1EEEvT1_
; %bb.0:
	.section	.rodata,"a",@progbits
	.p2align	6, 0x0
	.amdhsa_kernel _ZN7rocprim17ROCPRIM_400000_NS6detail17trampoline_kernelINS0_14default_configENS1_20scan_config_selectorIjEEZZNS1_9scan_implILNS1_25lookback_scan_determinismE0ELb1ELb1ES3_N6thrust23THRUST_200600_302600_NS6detail15normal_iteratorINS9_10device_ptrIjEEEESE_j11max_functorIjEjEEDaPvRmT3_T4_T5_mT6_P12ihipStream_tbENKUlT_T0_E_clISt17integral_constantIbLb1EESU_EEDaSP_SQ_EUlSP_E_NS1_11comp_targetILNS1_3genE10ELNS1_11target_archE1200ELNS1_3gpuE4ELNS1_3repE0EEENS1_30default_config_static_selectorELNS0_4arch9wavefront6targetE1EEEvT1_
		.amdhsa_group_segment_fixed_size 0
		.amdhsa_private_segment_fixed_size 0
		.amdhsa_kernarg_size 96
		.amdhsa_user_sgpr_count 6
		.amdhsa_user_sgpr_private_segment_buffer 1
		.amdhsa_user_sgpr_dispatch_ptr 0
		.amdhsa_user_sgpr_queue_ptr 0
		.amdhsa_user_sgpr_kernarg_segment_ptr 1
		.amdhsa_user_sgpr_dispatch_id 0
		.amdhsa_user_sgpr_flat_scratch_init 0
		.amdhsa_user_sgpr_kernarg_preload_length 0
		.amdhsa_user_sgpr_kernarg_preload_offset 0
		.amdhsa_user_sgpr_private_segment_size 0
		.amdhsa_uses_dynamic_stack 0
		.amdhsa_system_sgpr_private_segment_wavefront_offset 0
		.amdhsa_system_sgpr_workgroup_id_x 1
		.amdhsa_system_sgpr_workgroup_id_y 0
		.amdhsa_system_sgpr_workgroup_id_z 0
		.amdhsa_system_sgpr_workgroup_info 0
		.amdhsa_system_vgpr_workitem_id 0
		.amdhsa_next_free_vgpr 1
		.amdhsa_next_free_sgpr 0
		.amdhsa_accum_offset 4
		.amdhsa_reserve_vcc 0
		.amdhsa_reserve_flat_scratch 0
		.amdhsa_float_round_mode_32 0
		.amdhsa_float_round_mode_16_64 0
		.amdhsa_float_denorm_mode_32 3
		.amdhsa_float_denorm_mode_16_64 3
		.amdhsa_dx10_clamp 1
		.amdhsa_ieee_mode 1
		.amdhsa_fp16_overflow 0
		.amdhsa_tg_split 0
		.amdhsa_exception_fp_ieee_invalid_op 0
		.amdhsa_exception_fp_denorm_src 0
		.amdhsa_exception_fp_ieee_div_zero 0
		.amdhsa_exception_fp_ieee_overflow 0
		.amdhsa_exception_fp_ieee_underflow 0
		.amdhsa_exception_fp_ieee_inexact 0
		.amdhsa_exception_int_div_zero 0
	.end_amdhsa_kernel
	.section	.text._ZN7rocprim17ROCPRIM_400000_NS6detail17trampoline_kernelINS0_14default_configENS1_20scan_config_selectorIjEEZZNS1_9scan_implILNS1_25lookback_scan_determinismE0ELb1ELb1ES3_N6thrust23THRUST_200600_302600_NS6detail15normal_iteratorINS9_10device_ptrIjEEEESE_j11max_functorIjEjEEDaPvRmT3_T4_T5_mT6_P12ihipStream_tbENKUlT_T0_E_clISt17integral_constantIbLb1EESU_EEDaSP_SQ_EUlSP_E_NS1_11comp_targetILNS1_3genE10ELNS1_11target_archE1200ELNS1_3gpuE4ELNS1_3repE0EEENS1_30default_config_static_selectorELNS0_4arch9wavefront6targetE1EEEvT1_,"axG",@progbits,_ZN7rocprim17ROCPRIM_400000_NS6detail17trampoline_kernelINS0_14default_configENS1_20scan_config_selectorIjEEZZNS1_9scan_implILNS1_25lookback_scan_determinismE0ELb1ELb1ES3_N6thrust23THRUST_200600_302600_NS6detail15normal_iteratorINS9_10device_ptrIjEEEESE_j11max_functorIjEjEEDaPvRmT3_T4_T5_mT6_P12ihipStream_tbENKUlT_T0_E_clISt17integral_constantIbLb1EESU_EEDaSP_SQ_EUlSP_E_NS1_11comp_targetILNS1_3genE10ELNS1_11target_archE1200ELNS1_3gpuE4ELNS1_3repE0EEENS1_30default_config_static_selectorELNS0_4arch9wavefront6targetE1EEEvT1_,comdat
.Lfunc_end2353:
	.size	_ZN7rocprim17ROCPRIM_400000_NS6detail17trampoline_kernelINS0_14default_configENS1_20scan_config_selectorIjEEZZNS1_9scan_implILNS1_25lookback_scan_determinismE0ELb1ELb1ES3_N6thrust23THRUST_200600_302600_NS6detail15normal_iteratorINS9_10device_ptrIjEEEESE_j11max_functorIjEjEEDaPvRmT3_T4_T5_mT6_P12ihipStream_tbENKUlT_T0_E_clISt17integral_constantIbLb1EESU_EEDaSP_SQ_EUlSP_E_NS1_11comp_targetILNS1_3genE10ELNS1_11target_archE1200ELNS1_3gpuE4ELNS1_3repE0EEENS1_30default_config_static_selectorELNS0_4arch9wavefront6targetE1EEEvT1_, .Lfunc_end2353-_ZN7rocprim17ROCPRIM_400000_NS6detail17trampoline_kernelINS0_14default_configENS1_20scan_config_selectorIjEEZZNS1_9scan_implILNS1_25lookback_scan_determinismE0ELb1ELb1ES3_N6thrust23THRUST_200600_302600_NS6detail15normal_iteratorINS9_10device_ptrIjEEEESE_j11max_functorIjEjEEDaPvRmT3_T4_T5_mT6_P12ihipStream_tbENKUlT_T0_E_clISt17integral_constantIbLb1EESU_EEDaSP_SQ_EUlSP_E_NS1_11comp_targetILNS1_3genE10ELNS1_11target_archE1200ELNS1_3gpuE4ELNS1_3repE0EEENS1_30default_config_static_selectorELNS0_4arch9wavefront6targetE1EEEvT1_
                                        ; -- End function
	.section	.AMDGPU.csdata,"",@progbits
; Kernel info:
; codeLenInByte = 0
; NumSgprs: 4
; NumVgprs: 0
; NumAgprs: 0
; TotalNumVgprs: 0
; ScratchSize: 0
; MemoryBound: 0
; FloatMode: 240
; IeeeMode: 1
; LDSByteSize: 0 bytes/workgroup (compile time only)
; SGPRBlocks: 0
; VGPRBlocks: 0
; NumSGPRsForWavesPerEU: 4
; NumVGPRsForWavesPerEU: 1
; AccumOffset: 4
; Occupancy: 8
; WaveLimiterHint : 0
; COMPUTE_PGM_RSRC2:SCRATCH_EN: 0
; COMPUTE_PGM_RSRC2:USER_SGPR: 6
; COMPUTE_PGM_RSRC2:TRAP_HANDLER: 0
; COMPUTE_PGM_RSRC2:TGID_X_EN: 1
; COMPUTE_PGM_RSRC2:TGID_Y_EN: 0
; COMPUTE_PGM_RSRC2:TGID_Z_EN: 0
; COMPUTE_PGM_RSRC2:TIDIG_COMP_CNT: 0
; COMPUTE_PGM_RSRC3_GFX90A:ACCUM_OFFSET: 0
; COMPUTE_PGM_RSRC3_GFX90A:TG_SPLIT: 0
	.section	.text._ZN7rocprim17ROCPRIM_400000_NS6detail17trampoline_kernelINS0_14default_configENS1_20scan_config_selectorIjEEZZNS1_9scan_implILNS1_25lookback_scan_determinismE0ELb1ELb1ES3_N6thrust23THRUST_200600_302600_NS6detail15normal_iteratorINS9_10device_ptrIjEEEESE_j11max_functorIjEjEEDaPvRmT3_T4_T5_mT6_P12ihipStream_tbENKUlT_T0_E_clISt17integral_constantIbLb1EESU_EEDaSP_SQ_EUlSP_E_NS1_11comp_targetILNS1_3genE9ELNS1_11target_archE1100ELNS1_3gpuE3ELNS1_3repE0EEENS1_30default_config_static_selectorELNS0_4arch9wavefront6targetE1EEEvT1_,"axG",@progbits,_ZN7rocprim17ROCPRIM_400000_NS6detail17trampoline_kernelINS0_14default_configENS1_20scan_config_selectorIjEEZZNS1_9scan_implILNS1_25lookback_scan_determinismE0ELb1ELb1ES3_N6thrust23THRUST_200600_302600_NS6detail15normal_iteratorINS9_10device_ptrIjEEEESE_j11max_functorIjEjEEDaPvRmT3_T4_T5_mT6_P12ihipStream_tbENKUlT_T0_E_clISt17integral_constantIbLb1EESU_EEDaSP_SQ_EUlSP_E_NS1_11comp_targetILNS1_3genE9ELNS1_11target_archE1100ELNS1_3gpuE3ELNS1_3repE0EEENS1_30default_config_static_selectorELNS0_4arch9wavefront6targetE1EEEvT1_,comdat
	.protected	_ZN7rocprim17ROCPRIM_400000_NS6detail17trampoline_kernelINS0_14default_configENS1_20scan_config_selectorIjEEZZNS1_9scan_implILNS1_25lookback_scan_determinismE0ELb1ELb1ES3_N6thrust23THRUST_200600_302600_NS6detail15normal_iteratorINS9_10device_ptrIjEEEESE_j11max_functorIjEjEEDaPvRmT3_T4_T5_mT6_P12ihipStream_tbENKUlT_T0_E_clISt17integral_constantIbLb1EESU_EEDaSP_SQ_EUlSP_E_NS1_11comp_targetILNS1_3genE9ELNS1_11target_archE1100ELNS1_3gpuE3ELNS1_3repE0EEENS1_30default_config_static_selectorELNS0_4arch9wavefront6targetE1EEEvT1_ ; -- Begin function _ZN7rocprim17ROCPRIM_400000_NS6detail17trampoline_kernelINS0_14default_configENS1_20scan_config_selectorIjEEZZNS1_9scan_implILNS1_25lookback_scan_determinismE0ELb1ELb1ES3_N6thrust23THRUST_200600_302600_NS6detail15normal_iteratorINS9_10device_ptrIjEEEESE_j11max_functorIjEjEEDaPvRmT3_T4_T5_mT6_P12ihipStream_tbENKUlT_T0_E_clISt17integral_constantIbLb1EESU_EEDaSP_SQ_EUlSP_E_NS1_11comp_targetILNS1_3genE9ELNS1_11target_archE1100ELNS1_3gpuE3ELNS1_3repE0EEENS1_30default_config_static_selectorELNS0_4arch9wavefront6targetE1EEEvT1_
	.globl	_ZN7rocprim17ROCPRIM_400000_NS6detail17trampoline_kernelINS0_14default_configENS1_20scan_config_selectorIjEEZZNS1_9scan_implILNS1_25lookback_scan_determinismE0ELb1ELb1ES3_N6thrust23THRUST_200600_302600_NS6detail15normal_iteratorINS9_10device_ptrIjEEEESE_j11max_functorIjEjEEDaPvRmT3_T4_T5_mT6_P12ihipStream_tbENKUlT_T0_E_clISt17integral_constantIbLb1EESU_EEDaSP_SQ_EUlSP_E_NS1_11comp_targetILNS1_3genE9ELNS1_11target_archE1100ELNS1_3gpuE3ELNS1_3repE0EEENS1_30default_config_static_selectorELNS0_4arch9wavefront6targetE1EEEvT1_
	.p2align	8
	.type	_ZN7rocprim17ROCPRIM_400000_NS6detail17trampoline_kernelINS0_14default_configENS1_20scan_config_selectorIjEEZZNS1_9scan_implILNS1_25lookback_scan_determinismE0ELb1ELb1ES3_N6thrust23THRUST_200600_302600_NS6detail15normal_iteratorINS9_10device_ptrIjEEEESE_j11max_functorIjEjEEDaPvRmT3_T4_T5_mT6_P12ihipStream_tbENKUlT_T0_E_clISt17integral_constantIbLb1EESU_EEDaSP_SQ_EUlSP_E_NS1_11comp_targetILNS1_3genE9ELNS1_11target_archE1100ELNS1_3gpuE3ELNS1_3repE0EEENS1_30default_config_static_selectorELNS0_4arch9wavefront6targetE1EEEvT1_,@function
_ZN7rocprim17ROCPRIM_400000_NS6detail17trampoline_kernelINS0_14default_configENS1_20scan_config_selectorIjEEZZNS1_9scan_implILNS1_25lookback_scan_determinismE0ELb1ELb1ES3_N6thrust23THRUST_200600_302600_NS6detail15normal_iteratorINS9_10device_ptrIjEEEESE_j11max_functorIjEjEEDaPvRmT3_T4_T5_mT6_P12ihipStream_tbENKUlT_T0_E_clISt17integral_constantIbLb1EESU_EEDaSP_SQ_EUlSP_E_NS1_11comp_targetILNS1_3genE9ELNS1_11target_archE1100ELNS1_3gpuE3ELNS1_3repE0EEENS1_30default_config_static_selectorELNS0_4arch9wavefront6targetE1EEEvT1_: ; @_ZN7rocprim17ROCPRIM_400000_NS6detail17trampoline_kernelINS0_14default_configENS1_20scan_config_selectorIjEEZZNS1_9scan_implILNS1_25lookback_scan_determinismE0ELb1ELb1ES3_N6thrust23THRUST_200600_302600_NS6detail15normal_iteratorINS9_10device_ptrIjEEEESE_j11max_functorIjEjEEDaPvRmT3_T4_T5_mT6_P12ihipStream_tbENKUlT_T0_E_clISt17integral_constantIbLb1EESU_EEDaSP_SQ_EUlSP_E_NS1_11comp_targetILNS1_3genE9ELNS1_11target_archE1100ELNS1_3gpuE3ELNS1_3repE0EEENS1_30default_config_static_selectorELNS0_4arch9wavefront6targetE1EEEvT1_
; %bb.0:
	.section	.rodata,"a",@progbits
	.p2align	6, 0x0
	.amdhsa_kernel _ZN7rocprim17ROCPRIM_400000_NS6detail17trampoline_kernelINS0_14default_configENS1_20scan_config_selectorIjEEZZNS1_9scan_implILNS1_25lookback_scan_determinismE0ELb1ELb1ES3_N6thrust23THRUST_200600_302600_NS6detail15normal_iteratorINS9_10device_ptrIjEEEESE_j11max_functorIjEjEEDaPvRmT3_T4_T5_mT6_P12ihipStream_tbENKUlT_T0_E_clISt17integral_constantIbLb1EESU_EEDaSP_SQ_EUlSP_E_NS1_11comp_targetILNS1_3genE9ELNS1_11target_archE1100ELNS1_3gpuE3ELNS1_3repE0EEENS1_30default_config_static_selectorELNS0_4arch9wavefront6targetE1EEEvT1_
		.amdhsa_group_segment_fixed_size 0
		.amdhsa_private_segment_fixed_size 0
		.amdhsa_kernarg_size 96
		.amdhsa_user_sgpr_count 6
		.amdhsa_user_sgpr_private_segment_buffer 1
		.amdhsa_user_sgpr_dispatch_ptr 0
		.amdhsa_user_sgpr_queue_ptr 0
		.amdhsa_user_sgpr_kernarg_segment_ptr 1
		.amdhsa_user_sgpr_dispatch_id 0
		.amdhsa_user_sgpr_flat_scratch_init 0
		.amdhsa_user_sgpr_kernarg_preload_length 0
		.amdhsa_user_sgpr_kernarg_preload_offset 0
		.amdhsa_user_sgpr_private_segment_size 0
		.amdhsa_uses_dynamic_stack 0
		.amdhsa_system_sgpr_private_segment_wavefront_offset 0
		.amdhsa_system_sgpr_workgroup_id_x 1
		.amdhsa_system_sgpr_workgroup_id_y 0
		.amdhsa_system_sgpr_workgroup_id_z 0
		.amdhsa_system_sgpr_workgroup_info 0
		.amdhsa_system_vgpr_workitem_id 0
		.amdhsa_next_free_vgpr 1
		.amdhsa_next_free_sgpr 0
		.amdhsa_accum_offset 4
		.amdhsa_reserve_vcc 0
		.amdhsa_reserve_flat_scratch 0
		.amdhsa_float_round_mode_32 0
		.amdhsa_float_round_mode_16_64 0
		.amdhsa_float_denorm_mode_32 3
		.amdhsa_float_denorm_mode_16_64 3
		.amdhsa_dx10_clamp 1
		.amdhsa_ieee_mode 1
		.amdhsa_fp16_overflow 0
		.amdhsa_tg_split 0
		.amdhsa_exception_fp_ieee_invalid_op 0
		.amdhsa_exception_fp_denorm_src 0
		.amdhsa_exception_fp_ieee_div_zero 0
		.amdhsa_exception_fp_ieee_overflow 0
		.amdhsa_exception_fp_ieee_underflow 0
		.amdhsa_exception_fp_ieee_inexact 0
		.amdhsa_exception_int_div_zero 0
	.end_amdhsa_kernel
	.section	.text._ZN7rocprim17ROCPRIM_400000_NS6detail17trampoline_kernelINS0_14default_configENS1_20scan_config_selectorIjEEZZNS1_9scan_implILNS1_25lookback_scan_determinismE0ELb1ELb1ES3_N6thrust23THRUST_200600_302600_NS6detail15normal_iteratorINS9_10device_ptrIjEEEESE_j11max_functorIjEjEEDaPvRmT3_T4_T5_mT6_P12ihipStream_tbENKUlT_T0_E_clISt17integral_constantIbLb1EESU_EEDaSP_SQ_EUlSP_E_NS1_11comp_targetILNS1_3genE9ELNS1_11target_archE1100ELNS1_3gpuE3ELNS1_3repE0EEENS1_30default_config_static_selectorELNS0_4arch9wavefront6targetE1EEEvT1_,"axG",@progbits,_ZN7rocprim17ROCPRIM_400000_NS6detail17trampoline_kernelINS0_14default_configENS1_20scan_config_selectorIjEEZZNS1_9scan_implILNS1_25lookback_scan_determinismE0ELb1ELb1ES3_N6thrust23THRUST_200600_302600_NS6detail15normal_iteratorINS9_10device_ptrIjEEEESE_j11max_functorIjEjEEDaPvRmT3_T4_T5_mT6_P12ihipStream_tbENKUlT_T0_E_clISt17integral_constantIbLb1EESU_EEDaSP_SQ_EUlSP_E_NS1_11comp_targetILNS1_3genE9ELNS1_11target_archE1100ELNS1_3gpuE3ELNS1_3repE0EEENS1_30default_config_static_selectorELNS0_4arch9wavefront6targetE1EEEvT1_,comdat
.Lfunc_end2354:
	.size	_ZN7rocprim17ROCPRIM_400000_NS6detail17trampoline_kernelINS0_14default_configENS1_20scan_config_selectorIjEEZZNS1_9scan_implILNS1_25lookback_scan_determinismE0ELb1ELb1ES3_N6thrust23THRUST_200600_302600_NS6detail15normal_iteratorINS9_10device_ptrIjEEEESE_j11max_functorIjEjEEDaPvRmT3_T4_T5_mT6_P12ihipStream_tbENKUlT_T0_E_clISt17integral_constantIbLb1EESU_EEDaSP_SQ_EUlSP_E_NS1_11comp_targetILNS1_3genE9ELNS1_11target_archE1100ELNS1_3gpuE3ELNS1_3repE0EEENS1_30default_config_static_selectorELNS0_4arch9wavefront6targetE1EEEvT1_, .Lfunc_end2354-_ZN7rocprim17ROCPRIM_400000_NS6detail17trampoline_kernelINS0_14default_configENS1_20scan_config_selectorIjEEZZNS1_9scan_implILNS1_25lookback_scan_determinismE0ELb1ELb1ES3_N6thrust23THRUST_200600_302600_NS6detail15normal_iteratorINS9_10device_ptrIjEEEESE_j11max_functorIjEjEEDaPvRmT3_T4_T5_mT6_P12ihipStream_tbENKUlT_T0_E_clISt17integral_constantIbLb1EESU_EEDaSP_SQ_EUlSP_E_NS1_11comp_targetILNS1_3genE9ELNS1_11target_archE1100ELNS1_3gpuE3ELNS1_3repE0EEENS1_30default_config_static_selectorELNS0_4arch9wavefront6targetE1EEEvT1_
                                        ; -- End function
	.section	.AMDGPU.csdata,"",@progbits
; Kernel info:
; codeLenInByte = 0
; NumSgprs: 4
; NumVgprs: 0
; NumAgprs: 0
; TotalNumVgprs: 0
; ScratchSize: 0
; MemoryBound: 0
; FloatMode: 240
; IeeeMode: 1
; LDSByteSize: 0 bytes/workgroup (compile time only)
; SGPRBlocks: 0
; VGPRBlocks: 0
; NumSGPRsForWavesPerEU: 4
; NumVGPRsForWavesPerEU: 1
; AccumOffset: 4
; Occupancy: 8
; WaveLimiterHint : 0
; COMPUTE_PGM_RSRC2:SCRATCH_EN: 0
; COMPUTE_PGM_RSRC2:USER_SGPR: 6
; COMPUTE_PGM_RSRC2:TRAP_HANDLER: 0
; COMPUTE_PGM_RSRC2:TGID_X_EN: 1
; COMPUTE_PGM_RSRC2:TGID_Y_EN: 0
; COMPUTE_PGM_RSRC2:TGID_Z_EN: 0
; COMPUTE_PGM_RSRC2:TIDIG_COMP_CNT: 0
; COMPUTE_PGM_RSRC3_GFX90A:ACCUM_OFFSET: 0
; COMPUTE_PGM_RSRC3_GFX90A:TG_SPLIT: 0
	.section	.text._ZN7rocprim17ROCPRIM_400000_NS6detail17trampoline_kernelINS0_14default_configENS1_20scan_config_selectorIjEEZZNS1_9scan_implILNS1_25lookback_scan_determinismE0ELb1ELb1ES3_N6thrust23THRUST_200600_302600_NS6detail15normal_iteratorINS9_10device_ptrIjEEEESE_j11max_functorIjEjEEDaPvRmT3_T4_T5_mT6_P12ihipStream_tbENKUlT_T0_E_clISt17integral_constantIbLb1EESU_EEDaSP_SQ_EUlSP_E_NS1_11comp_targetILNS1_3genE8ELNS1_11target_archE1030ELNS1_3gpuE2ELNS1_3repE0EEENS1_30default_config_static_selectorELNS0_4arch9wavefront6targetE1EEEvT1_,"axG",@progbits,_ZN7rocprim17ROCPRIM_400000_NS6detail17trampoline_kernelINS0_14default_configENS1_20scan_config_selectorIjEEZZNS1_9scan_implILNS1_25lookback_scan_determinismE0ELb1ELb1ES3_N6thrust23THRUST_200600_302600_NS6detail15normal_iteratorINS9_10device_ptrIjEEEESE_j11max_functorIjEjEEDaPvRmT3_T4_T5_mT6_P12ihipStream_tbENKUlT_T0_E_clISt17integral_constantIbLb1EESU_EEDaSP_SQ_EUlSP_E_NS1_11comp_targetILNS1_3genE8ELNS1_11target_archE1030ELNS1_3gpuE2ELNS1_3repE0EEENS1_30default_config_static_selectorELNS0_4arch9wavefront6targetE1EEEvT1_,comdat
	.protected	_ZN7rocprim17ROCPRIM_400000_NS6detail17trampoline_kernelINS0_14default_configENS1_20scan_config_selectorIjEEZZNS1_9scan_implILNS1_25lookback_scan_determinismE0ELb1ELb1ES3_N6thrust23THRUST_200600_302600_NS6detail15normal_iteratorINS9_10device_ptrIjEEEESE_j11max_functorIjEjEEDaPvRmT3_T4_T5_mT6_P12ihipStream_tbENKUlT_T0_E_clISt17integral_constantIbLb1EESU_EEDaSP_SQ_EUlSP_E_NS1_11comp_targetILNS1_3genE8ELNS1_11target_archE1030ELNS1_3gpuE2ELNS1_3repE0EEENS1_30default_config_static_selectorELNS0_4arch9wavefront6targetE1EEEvT1_ ; -- Begin function _ZN7rocprim17ROCPRIM_400000_NS6detail17trampoline_kernelINS0_14default_configENS1_20scan_config_selectorIjEEZZNS1_9scan_implILNS1_25lookback_scan_determinismE0ELb1ELb1ES3_N6thrust23THRUST_200600_302600_NS6detail15normal_iteratorINS9_10device_ptrIjEEEESE_j11max_functorIjEjEEDaPvRmT3_T4_T5_mT6_P12ihipStream_tbENKUlT_T0_E_clISt17integral_constantIbLb1EESU_EEDaSP_SQ_EUlSP_E_NS1_11comp_targetILNS1_3genE8ELNS1_11target_archE1030ELNS1_3gpuE2ELNS1_3repE0EEENS1_30default_config_static_selectorELNS0_4arch9wavefront6targetE1EEEvT1_
	.globl	_ZN7rocprim17ROCPRIM_400000_NS6detail17trampoline_kernelINS0_14default_configENS1_20scan_config_selectorIjEEZZNS1_9scan_implILNS1_25lookback_scan_determinismE0ELb1ELb1ES3_N6thrust23THRUST_200600_302600_NS6detail15normal_iteratorINS9_10device_ptrIjEEEESE_j11max_functorIjEjEEDaPvRmT3_T4_T5_mT6_P12ihipStream_tbENKUlT_T0_E_clISt17integral_constantIbLb1EESU_EEDaSP_SQ_EUlSP_E_NS1_11comp_targetILNS1_3genE8ELNS1_11target_archE1030ELNS1_3gpuE2ELNS1_3repE0EEENS1_30default_config_static_selectorELNS0_4arch9wavefront6targetE1EEEvT1_
	.p2align	8
	.type	_ZN7rocprim17ROCPRIM_400000_NS6detail17trampoline_kernelINS0_14default_configENS1_20scan_config_selectorIjEEZZNS1_9scan_implILNS1_25lookback_scan_determinismE0ELb1ELb1ES3_N6thrust23THRUST_200600_302600_NS6detail15normal_iteratorINS9_10device_ptrIjEEEESE_j11max_functorIjEjEEDaPvRmT3_T4_T5_mT6_P12ihipStream_tbENKUlT_T0_E_clISt17integral_constantIbLb1EESU_EEDaSP_SQ_EUlSP_E_NS1_11comp_targetILNS1_3genE8ELNS1_11target_archE1030ELNS1_3gpuE2ELNS1_3repE0EEENS1_30default_config_static_selectorELNS0_4arch9wavefront6targetE1EEEvT1_,@function
_ZN7rocprim17ROCPRIM_400000_NS6detail17trampoline_kernelINS0_14default_configENS1_20scan_config_selectorIjEEZZNS1_9scan_implILNS1_25lookback_scan_determinismE0ELb1ELb1ES3_N6thrust23THRUST_200600_302600_NS6detail15normal_iteratorINS9_10device_ptrIjEEEESE_j11max_functorIjEjEEDaPvRmT3_T4_T5_mT6_P12ihipStream_tbENKUlT_T0_E_clISt17integral_constantIbLb1EESU_EEDaSP_SQ_EUlSP_E_NS1_11comp_targetILNS1_3genE8ELNS1_11target_archE1030ELNS1_3gpuE2ELNS1_3repE0EEENS1_30default_config_static_selectorELNS0_4arch9wavefront6targetE1EEEvT1_: ; @_ZN7rocprim17ROCPRIM_400000_NS6detail17trampoline_kernelINS0_14default_configENS1_20scan_config_selectorIjEEZZNS1_9scan_implILNS1_25lookback_scan_determinismE0ELb1ELb1ES3_N6thrust23THRUST_200600_302600_NS6detail15normal_iteratorINS9_10device_ptrIjEEEESE_j11max_functorIjEjEEDaPvRmT3_T4_T5_mT6_P12ihipStream_tbENKUlT_T0_E_clISt17integral_constantIbLb1EESU_EEDaSP_SQ_EUlSP_E_NS1_11comp_targetILNS1_3genE8ELNS1_11target_archE1030ELNS1_3gpuE2ELNS1_3repE0EEENS1_30default_config_static_selectorELNS0_4arch9wavefront6targetE1EEEvT1_
; %bb.0:
	.section	.rodata,"a",@progbits
	.p2align	6, 0x0
	.amdhsa_kernel _ZN7rocprim17ROCPRIM_400000_NS6detail17trampoline_kernelINS0_14default_configENS1_20scan_config_selectorIjEEZZNS1_9scan_implILNS1_25lookback_scan_determinismE0ELb1ELb1ES3_N6thrust23THRUST_200600_302600_NS6detail15normal_iteratorINS9_10device_ptrIjEEEESE_j11max_functorIjEjEEDaPvRmT3_T4_T5_mT6_P12ihipStream_tbENKUlT_T0_E_clISt17integral_constantIbLb1EESU_EEDaSP_SQ_EUlSP_E_NS1_11comp_targetILNS1_3genE8ELNS1_11target_archE1030ELNS1_3gpuE2ELNS1_3repE0EEENS1_30default_config_static_selectorELNS0_4arch9wavefront6targetE1EEEvT1_
		.amdhsa_group_segment_fixed_size 0
		.amdhsa_private_segment_fixed_size 0
		.amdhsa_kernarg_size 96
		.amdhsa_user_sgpr_count 6
		.amdhsa_user_sgpr_private_segment_buffer 1
		.amdhsa_user_sgpr_dispatch_ptr 0
		.amdhsa_user_sgpr_queue_ptr 0
		.amdhsa_user_sgpr_kernarg_segment_ptr 1
		.amdhsa_user_sgpr_dispatch_id 0
		.amdhsa_user_sgpr_flat_scratch_init 0
		.amdhsa_user_sgpr_kernarg_preload_length 0
		.amdhsa_user_sgpr_kernarg_preload_offset 0
		.amdhsa_user_sgpr_private_segment_size 0
		.amdhsa_uses_dynamic_stack 0
		.amdhsa_system_sgpr_private_segment_wavefront_offset 0
		.amdhsa_system_sgpr_workgroup_id_x 1
		.amdhsa_system_sgpr_workgroup_id_y 0
		.amdhsa_system_sgpr_workgroup_id_z 0
		.amdhsa_system_sgpr_workgroup_info 0
		.amdhsa_system_vgpr_workitem_id 0
		.amdhsa_next_free_vgpr 1
		.amdhsa_next_free_sgpr 0
		.amdhsa_accum_offset 4
		.amdhsa_reserve_vcc 0
		.amdhsa_reserve_flat_scratch 0
		.amdhsa_float_round_mode_32 0
		.amdhsa_float_round_mode_16_64 0
		.amdhsa_float_denorm_mode_32 3
		.amdhsa_float_denorm_mode_16_64 3
		.amdhsa_dx10_clamp 1
		.amdhsa_ieee_mode 1
		.amdhsa_fp16_overflow 0
		.amdhsa_tg_split 0
		.amdhsa_exception_fp_ieee_invalid_op 0
		.amdhsa_exception_fp_denorm_src 0
		.amdhsa_exception_fp_ieee_div_zero 0
		.amdhsa_exception_fp_ieee_overflow 0
		.amdhsa_exception_fp_ieee_underflow 0
		.amdhsa_exception_fp_ieee_inexact 0
		.amdhsa_exception_int_div_zero 0
	.end_amdhsa_kernel
	.section	.text._ZN7rocprim17ROCPRIM_400000_NS6detail17trampoline_kernelINS0_14default_configENS1_20scan_config_selectorIjEEZZNS1_9scan_implILNS1_25lookback_scan_determinismE0ELb1ELb1ES3_N6thrust23THRUST_200600_302600_NS6detail15normal_iteratorINS9_10device_ptrIjEEEESE_j11max_functorIjEjEEDaPvRmT3_T4_T5_mT6_P12ihipStream_tbENKUlT_T0_E_clISt17integral_constantIbLb1EESU_EEDaSP_SQ_EUlSP_E_NS1_11comp_targetILNS1_3genE8ELNS1_11target_archE1030ELNS1_3gpuE2ELNS1_3repE0EEENS1_30default_config_static_selectorELNS0_4arch9wavefront6targetE1EEEvT1_,"axG",@progbits,_ZN7rocprim17ROCPRIM_400000_NS6detail17trampoline_kernelINS0_14default_configENS1_20scan_config_selectorIjEEZZNS1_9scan_implILNS1_25lookback_scan_determinismE0ELb1ELb1ES3_N6thrust23THRUST_200600_302600_NS6detail15normal_iteratorINS9_10device_ptrIjEEEESE_j11max_functorIjEjEEDaPvRmT3_T4_T5_mT6_P12ihipStream_tbENKUlT_T0_E_clISt17integral_constantIbLb1EESU_EEDaSP_SQ_EUlSP_E_NS1_11comp_targetILNS1_3genE8ELNS1_11target_archE1030ELNS1_3gpuE2ELNS1_3repE0EEENS1_30default_config_static_selectorELNS0_4arch9wavefront6targetE1EEEvT1_,comdat
.Lfunc_end2355:
	.size	_ZN7rocprim17ROCPRIM_400000_NS6detail17trampoline_kernelINS0_14default_configENS1_20scan_config_selectorIjEEZZNS1_9scan_implILNS1_25lookback_scan_determinismE0ELb1ELb1ES3_N6thrust23THRUST_200600_302600_NS6detail15normal_iteratorINS9_10device_ptrIjEEEESE_j11max_functorIjEjEEDaPvRmT3_T4_T5_mT6_P12ihipStream_tbENKUlT_T0_E_clISt17integral_constantIbLb1EESU_EEDaSP_SQ_EUlSP_E_NS1_11comp_targetILNS1_3genE8ELNS1_11target_archE1030ELNS1_3gpuE2ELNS1_3repE0EEENS1_30default_config_static_selectorELNS0_4arch9wavefront6targetE1EEEvT1_, .Lfunc_end2355-_ZN7rocprim17ROCPRIM_400000_NS6detail17trampoline_kernelINS0_14default_configENS1_20scan_config_selectorIjEEZZNS1_9scan_implILNS1_25lookback_scan_determinismE0ELb1ELb1ES3_N6thrust23THRUST_200600_302600_NS6detail15normal_iteratorINS9_10device_ptrIjEEEESE_j11max_functorIjEjEEDaPvRmT3_T4_T5_mT6_P12ihipStream_tbENKUlT_T0_E_clISt17integral_constantIbLb1EESU_EEDaSP_SQ_EUlSP_E_NS1_11comp_targetILNS1_3genE8ELNS1_11target_archE1030ELNS1_3gpuE2ELNS1_3repE0EEENS1_30default_config_static_selectorELNS0_4arch9wavefront6targetE1EEEvT1_
                                        ; -- End function
	.section	.AMDGPU.csdata,"",@progbits
; Kernel info:
; codeLenInByte = 0
; NumSgprs: 4
; NumVgprs: 0
; NumAgprs: 0
; TotalNumVgprs: 0
; ScratchSize: 0
; MemoryBound: 0
; FloatMode: 240
; IeeeMode: 1
; LDSByteSize: 0 bytes/workgroup (compile time only)
; SGPRBlocks: 0
; VGPRBlocks: 0
; NumSGPRsForWavesPerEU: 4
; NumVGPRsForWavesPerEU: 1
; AccumOffset: 4
; Occupancy: 8
; WaveLimiterHint : 0
; COMPUTE_PGM_RSRC2:SCRATCH_EN: 0
; COMPUTE_PGM_RSRC2:USER_SGPR: 6
; COMPUTE_PGM_RSRC2:TRAP_HANDLER: 0
; COMPUTE_PGM_RSRC2:TGID_X_EN: 1
; COMPUTE_PGM_RSRC2:TGID_Y_EN: 0
; COMPUTE_PGM_RSRC2:TGID_Z_EN: 0
; COMPUTE_PGM_RSRC2:TIDIG_COMP_CNT: 0
; COMPUTE_PGM_RSRC3_GFX90A:ACCUM_OFFSET: 0
; COMPUTE_PGM_RSRC3_GFX90A:TG_SPLIT: 0
	.section	.text._ZN7rocprim17ROCPRIM_400000_NS6detail17trampoline_kernelINS0_14default_configENS1_20scan_config_selectorIjEEZZNS1_9scan_implILNS1_25lookback_scan_determinismE0ELb1ELb1ES3_N6thrust23THRUST_200600_302600_NS6detail15normal_iteratorINS9_10device_ptrIjEEEESE_j11max_functorIjEjEEDaPvRmT3_T4_T5_mT6_P12ihipStream_tbENKUlT_T0_E_clISt17integral_constantIbLb1EESU_EEDaSP_SQ_EUlSP_E0_NS1_11comp_targetILNS1_3genE0ELNS1_11target_archE4294967295ELNS1_3gpuE0ELNS1_3repE0EEENS1_30default_config_static_selectorELNS0_4arch9wavefront6targetE1EEEvT1_,"axG",@progbits,_ZN7rocprim17ROCPRIM_400000_NS6detail17trampoline_kernelINS0_14default_configENS1_20scan_config_selectorIjEEZZNS1_9scan_implILNS1_25lookback_scan_determinismE0ELb1ELb1ES3_N6thrust23THRUST_200600_302600_NS6detail15normal_iteratorINS9_10device_ptrIjEEEESE_j11max_functorIjEjEEDaPvRmT3_T4_T5_mT6_P12ihipStream_tbENKUlT_T0_E_clISt17integral_constantIbLb1EESU_EEDaSP_SQ_EUlSP_E0_NS1_11comp_targetILNS1_3genE0ELNS1_11target_archE4294967295ELNS1_3gpuE0ELNS1_3repE0EEENS1_30default_config_static_selectorELNS0_4arch9wavefront6targetE1EEEvT1_,comdat
	.protected	_ZN7rocprim17ROCPRIM_400000_NS6detail17trampoline_kernelINS0_14default_configENS1_20scan_config_selectorIjEEZZNS1_9scan_implILNS1_25lookback_scan_determinismE0ELb1ELb1ES3_N6thrust23THRUST_200600_302600_NS6detail15normal_iteratorINS9_10device_ptrIjEEEESE_j11max_functorIjEjEEDaPvRmT3_T4_T5_mT6_P12ihipStream_tbENKUlT_T0_E_clISt17integral_constantIbLb1EESU_EEDaSP_SQ_EUlSP_E0_NS1_11comp_targetILNS1_3genE0ELNS1_11target_archE4294967295ELNS1_3gpuE0ELNS1_3repE0EEENS1_30default_config_static_selectorELNS0_4arch9wavefront6targetE1EEEvT1_ ; -- Begin function _ZN7rocprim17ROCPRIM_400000_NS6detail17trampoline_kernelINS0_14default_configENS1_20scan_config_selectorIjEEZZNS1_9scan_implILNS1_25lookback_scan_determinismE0ELb1ELb1ES3_N6thrust23THRUST_200600_302600_NS6detail15normal_iteratorINS9_10device_ptrIjEEEESE_j11max_functorIjEjEEDaPvRmT3_T4_T5_mT6_P12ihipStream_tbENKUlT_T0_E_clISt17integral_constantIbLb1EESU_EEDaSP_SQ_EUlSP_E0_NS1_11comp_targetILNS1_3genE0ELNS1_11target_archE4294967295ELNS1_3gpuE0ELNS1_3repE0EEENS1_30default_config_static_selectorELNS0_4arch9wavefront6targetE1EEEvT1_
	.globl	_ZN7rocprim17ROCPRIM_400000_NS6detail17trampoline_kernelINS0_14default_configENS1_20scan_config_selectorIjEEZZNS1_9scan_implILNS1_25lookback_scan_determinismE0ELb1ELb1ES3_N6thrust23THRUST_200600_302600_NS6detail15normal_iteratorINS9_10device_ptrIjEEEESE_j11max_functorIjEjEEDaPvRmT3_T4_T5_mT6_P12ihipStream_tbENKUlT_T0_E_clISt17integral_constantIbLb1EESU_EEDaSP_SQ_EUlSP_E0_NS1_11comp_targetILNS1_3genE0ELNS1_11target_archE4294967295ELNS1_3gpuE0ELNS1_3repE0EEENS1_30default_config_static_selectorELNS0_4arch9wavefront6targetE1EEEvT1_
	.p2align	8
	.type	_ZN7rocprim17ROCPRIM_400000_NS6detail17trampoline_kernelINS0_14default_configENS1_20scan_config_selectorIjEEZZNS1_9scan_implILNS1_25lookback_scan_determinismE0ELb1ELb1ES3_N6thrust23THRUST_200600_302600_NS6detail15normal_iteratorINS9_10device_ptrIjEEEESE_j11max_functorIjEjEEDaPvRmT3_T4_T5_mT6_P12ihipStream_tbENKUlT_T0_E_clISt17integral_constantIbLb1EESU_EEDaSP_SQ_EUlSP_E0_NS1_11comp_targetILNS1_3genE0ELNS1_11target_archE4294967295ELNS1_3gpuE0ELNS1_3repE0EEENS1_30default_config_static_selectorELNS0_4arch9wavefront6targetE1EEEvT1_,@function
_ZN7rocprim17ROCPRIM_400000_NS6detail17trampoline_kernelINS0_14default_configENS1_20scan_config_selectorIjEEZZNS1_9scan_implILNS1_25lookback_scan_determinismE0ELb1ELb1ES3_N6thrust23THRUST_200600_302600_NS6detail15normal_iteratorINS9_10device_ptrIjEEEESE_j11max_functorIjEjEEDaPvRmT3_T4_T5_mT6_P12ihipStream_tbENKUlT_T0_E_clISt17integral_constantIbLb1EESU_EEDaSP_SQ_EUlSP_E0_NS1_11comp_targetILNS1_3genE0ELNS1_11target_archE4294967295ELNS1_3gpuE0ELNS1_3repE0EEENS1_30default_config_static_selectorELNS0_4arch9wavefront6targetE1EEEvT1_: ; @_ZN7rocprim17ROCPRIM_400000_NS6detail17trampoline_kernelINS0_14default_configENS1_20scan_config_selectorIjEEZZNS1_9scan_implILNS1_25lookback_scan_determinismE0ELb1ELb1ES3_N6thrust23THRUST_200600_302600_NS6detail15normal_iteratorINS9_10device_ptrIjEEEESE_j11max_functorIjEjEEDaPvRmT3_T4_T5_mT6_P12ihipStream_tbENKUlT_T0_E_clISt17integral_constantIbLb1EESU_EEDaSP_SQ_EUlSP_E0_NS1_11comp_targetILNS1_3genE0ELNS1_11target_archE4294967295ELNS1_3gpuE0ELNS1_3repE0EEENS1_30default_config_static_selectorELNS0_4arch9wavefront6targetE1EEEvT1_
; %bb.0:
	.section	.rodata,"a",@progbits
	.p2align	6, 0x0
	.amdhsa_kernel _ZN7rocprim17ROCPRIM_400000_NS6detail17trampoline_kernelINS0_14default_configENS1_20scan_config_selectorIjEEZZNS1_9scan_implILNS1_25lookback_scan_determinismE0ELb1ELb1ES3_N6thrust23THRUST_200600_302600_NS6detail15normal_iteratorINS9_10device_ptrIjEEEESE_j11max_functorIjEjEEDaPvRmT3_T4_T5_mT6_P12ihipStream_tbENKUlT_T0_E_clISt17integral_constantIbLb1EESU_EEDaSP_SQ_EUlSP_E0_NS1_11comp_targetILNS1_3genE0ELNS1_11target_archE4294967295ELNS1_3gpuE0ELNS1_3repE0EEENS1_30default_config_static_selectorELNS0_4arch9wavefront6targetE1EEEvT1_
		.amdhsa_group_segment_fixed_size 0
		.amdhsa_private_segment_fixed_size 0
		.amdhsa_kernarg_size 32
		.amdhsa_user_sgpr_count 6
		.amdhsa_user_sgpr_private_segment_buffer 1
		.amdhsa_user_sgpr_dispatch_ptr 0
		.amdhsa_user_sgpr_queue_ptr 0
		.amdhsa_user_sgpr_kernarg_segment_ptr 1
		.amdhsa_user_sgpr_dispatch_id 0
		.amdhsa_user_sgpr_flat_scratch_init 0
		.amdhsa_user_sgpr_kernarg_preload_length 0
		.amdhsa_user_sgpr_kernarg_preload_offset 0
		.amdhsa_user_sgpr_private_segment_size 0
		.amdhsa_uses_dynamic_stack 0
		.amdhsa_system_sgpr_private_segment_wavefront_offset 0
		.amdhsa_system_sgpr_workgroup_id_x 1
		.amdhsa_system_sgpr_workgroup_id_y 0
		.amdhsa_system_sgpr_workgroup_id_z 0
		.amdhsa_system_sgpr_workgroup_info 0
		.amdhsa_system_vgpr_workitem_id 0
		.amdhsa_next_free_vgpr 1
		.amdhsa_next_free_sgpr 0
		.amdhsa_accum_offset 4
		.amdhsa_reserve_vcc 0
		.amdhsa_reserve_flat_scratch 0
		.amdhsa_float_round_mode_32 0
		.amdhsa_float_round_mode_16_64 0
		.amdhsa_float_denorm_mode_32 3
		.amdhsa_float_denorm_mode_16_64 3
		.amdhsa_dx10_clamp 1
		.amdhsa_ieee_mode 1
		.amdhsa_fp16_overflow 0
		.amdhsa_tg_split 0
		.amdhsa_exception_fp_ieee_invalid_op 0
		.amdhsa_exception_fp_denorm_src 0
		.amdhsa_exception_fp_ieee_div_zero 0
		.amdhsa_exception_fp_ieee_overflow 0
		.amdhsa_exception_fp_ieee_underflow 0
		.amdhsa_exception_fp_ieee_inexact 0
		.amdhsa_exception_int_div_zero 0
	.end_amdhsa_kernel
	.section	.text._ZN7rocprim17ROCPRIM_400000_NS6detail17trampoline_kernelINS0_14default_configENS1_20scan_config_selectorIjEEZZNS1_9scan_implILNS1_25lookback_scan_determinismE0ELb1ELb1ES3_N6thrust23THRUST_200600_302600_NS6detail15normal_iteratorINS9_10device_ptrIjEEEESE_j11max_functorIjEjEEDaPvRmT3_T4_T5_mT6_P12ihipStream_tbENKUlT_T0_E_clISt17integral_constantIbLb1EESU_EEDaSP_SQ_EUlSP_E0_NS1_11comp_targetILNS1_3genE0ELNS1_11target_archE4294967295ELNS1_3gpuE0ELNS1_3repE0EEENS1_30default_config_static_selectorELNS0_4arch9wavefront6targetE1EEEvT1_,"axG",@progbits,_ZN7rocprim17ROCPRIM_400000_NS6detail17trampoline_kernelINS0_14default_configENS1_20scan_config_selectorIjEEZZNS1_9scan_implILNS1_25lookback_scan_determinismE0ELb1ELb1ES3_N6thrust23THRUST_200600_302600_NS6detail15normal_iteratorINS9_10device_ptrIjEEEESE_j11max_functorIjEjEEDaPvRmT3_T4_T5_mT6_P12ihipStream_tbENKUlT_T0_E_clISt17integral_constantIbLb1EESU_EEDaSP_SQ_EUlSP_E0_NS1_11comp_targetILNS1_3genE0ELNS1_11target_archE4294967295ELNS1_3gpuE0ELNS1_3repE0EEENS1_30default_config_static_selectorELNS0_4arch9wavefront6targetE1EEEvT1_,comdat
.Lfunc_end2356:
	.size	_ZN7rocprim17ROCPRIM_400000_NS6detail17trampoline_kernelINS0_14default_configENS1_20scan_config_selectorIjEEZZNS1_9scan_implILNS1_25lookback_scan_determinismE0ELb1ELb1ES3_N6thrust23THRUST_200600_302600_NS6detail15normal_iteratorINS9_10device_ptrIjEEEESE_j11max_functorIjEjEEDaPvRmT3_T4_T5_mT6_P12ihipStream_tbENKUlT_T0_E_clISt17integral_constantIbLb1EESU_EEDaSP_SQ_EUlSP_E0_NS1_11comp_targetILNS1_3genE0ELNS1_11target_archE4294967295ELNS1_3gpuE0ELNS1_3repE0EEENS1_30default_config_static_selectorELNS0_4arch9wavefront6targetE1EEEvT1_, .Lfunc_end2356-_ZN7rocprim17ROCPRIM_400000_NS6detail17trampoline_kernelINS0_14default_configENS1_20scan_config_selectorIjEEZZNS1_9scan_implILNS1_25lookback_scan_determinismE0ELb1ELb1ES3_N6thrust23THRUST_200600_302600_NS6detail15normal_iteratorINS9_10device_ptrIjEEEESE_j11max_functorIjEjEEDaPvRmT3_T4_T5_mT6_P12ihipStream_tbENKUlT_T0_E_clISt17integral_constantIbLb1EESU_EEDaSP_SQ_EUlSP_E0_NS1_11comp_targetILNS1_3genE0ELNS1_11target_archE4294967295ELNS1_3gpuE0ELNS1_3repE0EEENS1_30default_config_static_selectorELNS0_4arch9wavefront6targetE1EEEvT1_
                                        ; -- End function
	.section	.AMDGPU.csdata,"",@progbits
; Kernel info:
; codeLenInByte = 0
; NumSgprs: 4
; NumVgprs: 0
; NumAgprs: 0
; TotalNumVgprs: 0
; ScratchSize: 0
; MemoryBound: 0
; FloatMode: 240
; IeeeMode: 1
; LDSByteSize: 0 bytes/workgroup (compile time only)
; SGPRBlocks: 0
; VGPRBlocks: 0
; NumSGPRsForWavesPerEU: 4
; NumVGPRsForWavesPerEU: 1
; AccumOffset: 4
; Occupancy: 8
; WaveLimiterHint : 0
; COMPUTE_PGM_RSRC2:SCRATCH_EN: 0
; COMPUTE_PGM_RSRC2:USER_SGPR: 6
; COMPUTE_PGM_RSRC2:TRAP_HANDLER: 0
; COMPUTE_PGM_RSRC2:TGID_X_EN: 1
; COMPUTE_PGM_RSRC2:TGID_Y_EN: 0
; COMPUTE_PGM_RSRC2:TGID_Z_EN: 0
; COMPUTE_PGM_RSRC2:TIDIG_COMP_CNT: 0
; COMPUTE_PGM_RSRC3_GFX90A:ACCUM_OFFSET: 0
; COMPUTE_PGM_RSRC3_GFX90A:TG_SPLIT: 0
	.section	.text._ZN7rocprim17ROCPRIM_400000_NS6detail17trampoline_kernelINS0_14default_configENS1_20scan_config_selectorIjEEZZNS1_9scan_implILNS1_25lookback_scan_determinismE0ELb1ELb1ES3_N6thrust23THRUST_200600_302600_NS6detail15normal_iteratorINS9_10device_ptrIjEEEESE_j11max_functorIjEjEEDaPvRmT3_T4_T5_mT6_P12ihipStream_tbENKUlT_T0_E_clISt17integral_constantIbLb1EESU_EEDaSP_SQ_EUlSP_E0_NS1_11comp_targetILNS1_3genE5ELNS1_11target_archE942ELNS1_3gpuE9ELNS1_3repE0EEENS1_30default_config_static_selectorELNS0_4arch9wavefront6targetE1EEEvT1_,"axG",@progbits,_ZN7rocprim17ROCPRIM_400000_NS6detail17trampoline_kernelINS0_14default_configENS1_20scan_config_selectorIjEEZZNS1_9scan_implILNS1_25lookback_scan_determinismE0ELb1ELb1ES3_N6thrust23THRUST_200600_302600_NS6detail15normal_iteratorINS9_10device_ptrIjEEEESE_j11max_functorIjEjEEDaPvRmT3_T4_T5_mT6_P12ihipStream_tbENKUlT_T0_E_clISt17integral_constantIbLb1EESU_EEDaSP_SQ_EUlSP_E0_NS1_11comp_targetILNS1_3genE5ELNS1_11target_archE942ELNS1_3gpuE9ELNS1_3repE0EEENS1_30default_config_static_selectorELNS0_4arch9wavefront6targetE1EEEvT1_,comdat
	.protected	_ZN7rocprim17ROCPRIM_400000_NS6detail17trampoline_kernelINS0_14default_configENS1_20scan_config_selectorIjEEZZNS1_9scan_implILNS1_25lookback_scan_determinismE0ELb1ELb1ES3_N6thrust23THRUST_200600_302600_NS6detail15normal_iteratorINS9_10device_ptrIjEEEESE_j11max_functorIjEjEEDaPvRmT3_T4_T5_mT6_P12ihipStream_tbENKUlT_T0_E_clISt17integral_constantIbLb1EESU_EEDaSP_SQ_EUlSP_E0_NS1_11comp_targetILNS1_3genE5ELNS1_11target_archE942ELNS1_3gpuE9ELNS1_3repE0EEENS1_30default_config_static_selectorELNS0_4arch9wavefront6targetE1EEEvT1_ ; -- Begin function _ZN7rocprim17ROCPRIM_400000_NS6detail17trampoline_kernelINS0_14default_configENS1_20scan_config_selectorIjEEZZNS1_9scan_implILNS1_25lookback_scan_determinismE0ELb1ELb1ES3_N6thrust23THRUST_200600_302600_NS6detail15normal_iteratorINS9_10device_ptrIjEEEESE_j11max_functorIjEjEEDaPvRmT3_T4_T5_mT6_P12ihipStream_tbENKUlT_T0_E_clISt17integral_constantIbLb1EESU_EEDaSP_SQ_EUlSP_E0_NS1_11comp_targetILNS1_3genE5ELNS1_11target_archE942ELNS1_3gpuE9ELNS1_3repE0EEENS1_30default_config_static_selectorELNS0_4arch9wavefront6targetE1EEEvT1_
	.globl	_ZN7rocprim17ROCPRIM_400000_NS6detail17trampoline_kernelINS0_14default_configENS1_20scan_config_selectorIjEEZZNS1_9scan_implILNS1_25lookback_scan_determinismE0ELb1ELb1ES3_N6thrust23THRUST_200600_302600_NS6detail15normal_iteratorINS9_10device_ptrIjEEEESE_j11max_functorIjEjEEDaPvRmT3_T4_T5_mT6_P12ihipStream_tbENKUlT_T0_E_clISt17integral_constantIbLb1EESU_EEDaSP_SQ_EUlSP_E0_NS1_11comp_targetILNS1_3genE5ELNS1_11target_archE942ELNS1_3gpuE9ELNS1_3repE0EEENS1_30default_config_static_selectorELNS0_4arch9wavefront6targetE1EEEvT1_
	.p2align	8
	.type	_ZN7rocprim17ROCPRIM_400000_NS6detail17trampoline_kernelINS0_14default_configENS1_20scan_config_selectorIjEEZZNS1_9scan_implILNS1_25lookback_scan_determinismE0ELb1ELb1ES3_N6thrust23THRUST_200600_302600_NS6detail15normal_iteratorINS9_10device_ptrIjEEEESE_j11max_functorIjEjEEDaPvRmT3_T4_T5_mT6_P12ihipStream_tbENKUlT_T0_E_clISt17integral_constantIbLb1EESU_EEDaSP_SQ_EUlSP_E0_NS1_11comp_targetILNS1_3genE5ELNS1_11target_archE942ELNS1_3gpuE9ELNS1_3repE0EEENS1_30default_config_static_selectorELNS0_4arch9wavefront6targetE1EEEvT1_,@function
_ZN7rocprim17ROCPRIM_400000_NS6detail17trampoline_kernelINS0_14default_configENS1_20scan_config_selectorIjEEZZNS1_9scan_implILNS1_25lookback_scan_determinismE0ELb1ELb1ES3_N6thrust23THRUST_200600_302600_NS6detail15normal_iteratorINS9_10device_ptrIjEEEESE_j11max_functorIjEjEEDaPvRmT3_T4_T5_mT6_P12ihipStream_tbENKUlT_T0_E_clISt17integral_constantIbLb1EESU_EEDaSP_SQ_EUlSP_E0_NS1_11comp_targetILNS1_3genE5ELNS1_11target_archE942ELNS1_3gpuE9ELNS1_3repE0EEENS1_30default_config_static_selectorELNS0_4arch9wavefront6targetE1EEEvT1_: ; @_ZN7rocprim17ROCPRIM_400000_NS6detail17trampoline_kernelINS0_14default_configENS1_20scan_config_selectorIjEEZZNS1_9scan_implILNS1_25lookback_scan_determinismE0ELb1ELb1ES3_N6thrust23THRUST_200600_302600_NS6detail15normal_iteratorINS9_10device_ptrIjEEEESE_j11max_functorIjEjEEDaPvRmT3_T4_T5_mT6_P12ihipStream_tbENKUlT_T0_E_clISt17integral_constantIbLb1EESU_EEDaSP_SQ_EUlSP_E0_NS1_11comp_targetILNS1_3genE5ELNS1_11target_archE942ELNS1_3gpuE9ELNS1_3repE0EEENS1_30default_config_static_selectorELNS0_4arch9wavefront6targetE1EEEvT1_
; %bb.0:
	.section	.rodata,"a",@progbits
	.p2align	6, 0x0
	.amdhsa_kernel _ZN7rocprim17ROCPRIM_400000_NS6detail17trampoline_kernelINS0_14default_configENS1_20scan_config_selectorIjEEZZNS1_9scan_implILNS1_25lookback_scan_determinismE0ELb1ELb1ES3_N6thrust23THRUST_200600_302600_NS6detail15normal_iteratorINS9_10device_ptrIjEEEESE_j11max_functorIjEjEEDaPvRmT3_T4_T5_mT6_P12ihipStream_tbENKUlT_T0_E_clISt17integral_constantIbLb1EESU_EEDaSP_SQ_EUlSP_E0_NS1_11comp_targetILNS1_3genE5ELNS1_11target_archE942ELNS1_3gpuE9ELNS1_3repE0EEENS1_30default_config_static_selectorELNS0_4arch9wavefront6targetE1EEEvT1_
		.amdhsa_group_segment_fixed_size 0
		.amdhsa_private_segment_fixed_size 0
		.amdhsa_kernarg_size 32
		.amdhsa_user_sgpr_count 6
		.amdhsa_user_sgpr_private_segment_buffer 1
		.amdhsa_user_sgpr_dispatch_ptr 0
		.amdhsa_user_sgpr_queue_ptr 0
		.amdhsa_user_sgpr_kernarg_segment_ptr 1
		.amdhsa_user_sgpr_dispatch_id 0
		.amdhsa_user_sgpr_flat_scratch_init 0
		.amdhsa_user_sgpr_kernarg_preload_length 0
		.amdhsa_user_sgpr_kernarg_preload_offset 0
		.amdhsa_user_sgpr_private_segment_size 0
		.amdhsa_uses_dynamic_stack 0
		.amdhsa_system_sgpr_private_segment_wavefront_offset 0
		.amdhsa_system_sgpr_workgroup_id_x 1
		.amdhsa_system_sgpr_workgroup_id_y 0
		.amdhsa_system_sgpr_workgroup_id_z 0
		.amdhsa_system_sgpr_workgroup_info 0
		.amdhsa_system_vgpr_workitem_id 0
		.amdhsa_next_free_vgpr 1
		.amdhsa_next_free_sgpr 0
		.amdhsa_accum_offset 4
		.amdhsa_reserve_vcc 0
		.amdhsa_reserve_flat_scratch 0
		.amdhsa_float_round_mode_32 0
		.amdhsa_float_round_mode_16_64 0
		.amdhsa_float_denorm_mode_32 3
		.amdhsa_float_denorm_mode_16_64 3
		.amdhsa_dx10_clamp 1
		.amdhsa_ieee_mode 1
		.amdhsa_fp16_overflow 0
		.amdhsa_tg_split 0
		.amdhsa_exception_fp_ieee_invalid_op 0
		.amdhsa_exception_fp_denorm_src 0
		.amdhsa_exception_fp_ieee_div_zero 0
		.amdhsa_exception_fp_ieee_overflow 0
		.amdhsa_exception_fp_ieee_underflow 0
		.amdhsa_exception_fp_ieee_inexact 0
		.amdhsa_exception_int_div_zero 0
	.end_amdhsa_kernel
	.section	.text._ZN7rocprim17ROCPRIM_400000_NS6detail17trampoline_kernelINS0_14default_configENS1_20scan_config_selectorIjEEZZNS1_9scan_implILNS1_25lookback_scan_determinismE0ELb1ELb1ES3_N6thrust23THRUST_200600_302600_NS6detail15normal_iteratorINS9_10device_ptrIjEEEESE_j11max_functorIjEjEEDaPvRmT3_T4_T5_mT6_P12ihipStream_tbENKUlT_T0_E_clISt17integral_constantIbLb1EESU_EEDaSP_SQ_EUlSP_E0_NS1_11comp_targetILNS1_3genE5ELNS1_11target_archE942ELNS1_3gpuE9ELNS1_3repE0EEENS1_30default_config_static_selectorELNS0_4arch9wavefront6targetE1EEEvT1_,"axG",@progbits,_ZN7rocprim17ROCPRIM_400000_NS6detail17trampoline_kernelINS0_14default_configENS1_20scan_config_selectorIjEEZZNS1_9scan_implILNS1_25lookback_scan_determinismE0ELb1ELb1ES3_N6thrust23THRUST_200600_302600_NS6detail15normal_iteratorINS9_10device_ptrIjEEEESE_j11max_functorIjEjEEDaPvRmT3_T4_T5_mT6_P12ihipStream_tbENKUlT_T0_E_clISt17integral_constantIbLb1EESU_EEDaSP_SQ_EUlSP_E0_NS1_11comp_targetILNS1_3genE5ELNS1_11target_archE942ELNS1_3gpuE9ELNS1_3repE0EEENS1_30default_config_static_selectorELNS0_4arch9wavefront6targetE1EEEvT1_,comdat
.Lfunc_end2357:
	.size	_ZN7rocprim17ROCPRIM_400000_NS6detail17trampoline_kernelINS0_14default_configENS1_20scan_config_selectorIjEEZZNS1_9scan_implILNS1_25lookback_scan_determinismE0ELb1ELb1ES3_N6thrust23THRUST_200600_302600_NS6detail15normal_iteratorINS9_10device_ptrIjEEEESE_j11max_functorIjEjEEDaPvRmT3_T4_T5_mT6_P12ihipStream_tbENKUlT_T0_E_clISt17integral_constantIbLb1EESU_EEDaSP_SQ_EUlSP_E0_NS1_11comp_targetILNS1_3genE5ELNS1_11target_archE942ELNS1_3gpuE9ELNS1_3repE0EEENS1_30default_config_static_selectorELNS0_4arch9wavefront6targetE1EEEvT1_, .Lfunc_end2357-_ZN7rocprim17ROCPRIM_400000_NS6detail17trampoline_kernelINS0_14default_configENS1_20scan_config_selectorIjEEZZNS1_9scan_implILNS1_25lookback_scan_determinismE0ELb1ELb1ES3_N6thrust23THRUST_200600_302600_NS6detail15normal_iteratorINS9_10device_ptrIjEEEESE_j11max_functorIjEjEEDaPvRmT3_T4_T5_mT6_P12ihipStream_tbENKUlT_T0_E_clISt17integral_constantIbLb1EESU_EEDaSP_SQ_EUlSP_E0_NS1_11comp_targetILNS1_3genE5ELNS1_11target_archE942ELNS1_3gpuE9ELNS1_3repE0EEENS1_30default_config_static_selectorELNS0_4arch9wavefront6targetE1EEEvT1_
                                        ; -- End function
	.section	.AMDGPU.csdata,"",@progbits
; Kernel info:
; codeLenInByte = 0
; NumSgprs: 4
; NumVgprs: 0
; NumAgprs: 0
; TotalNumVgprs: 0
; ScratchSize: 0
; MemoryBound: 0
; FloatMode: 240
; IeeeMode: 1
; LDSByteSize: 0 bytes/workgroup (compile time only)
; SGPRBlocks: 0
; VGPRBlocks: 0
; NumSGPRsForWavesPerEU: 4
; NumVGPRsForWavesPerEU: 1
; AccumOffset: 4
; Occupancy: 8
; WaveLimiterHint : 0
; COMPUTE_PGM_RSRC2:SCRATCH_EN: 0
; COMPUTE_PGM_RSRC2:USER_SGPR: 6
; COMPUTE_PGM_RSRC2:TRAP_HANDLER: 0
; COMPUTE_PGM_RSRC2:TGID_X_EN: 1
; COMPUTE_PGM_RSRC2:TGID_Y_EN: 0
; COMPUTE_PGM_RSRC2:TGID_Z_EN: 0
; COMPUTE_PGM_RSRC2:TIDIG_COMP_CNT: 0
; COMPUTE_PGM_RSRC3_GFX90A:ACCUM_OFFSET: 0
; COMPUTE_PGM_RSRC3_GFX90A:TG_SPLIT: 0
	.section	.text._ZN7rocprim17ROCPRIM_400000_NS6detail17trampoline_kernelINS0_14default_configENS1_20scan_config_selectorIjEEZZNS1_9scan_implILNS1_25lookback_scan_determinismE0ELb1ELb1ES3_N6thrust23THRUST_200600_302600_NS6detail15normal_iteratorINS9_10device_ptrIjEEEESE_j11max_functorIjEjEEDaPvRmT3_T4_T5_mT6_P12ihipStream_tbENKUlT_T0_E_clISt17integral_constantIbLb1EESU_EEDaSP_SQ_EUlSP_E0_NS1_11comp_targetILNS1_3genE4ELNS1_11target_archE910ELNS1_3gpuE8ELNS1_3repE0EEENS1_30default_config_static_selectorELNS0_4arch9wavefront6targetE1EEEvT1_,"axG",@progbits,_ZN7rocprim17ROCPRIM_400000_NS6detail17trampoline_kernelINS0_14default_configENS1_20scan_config_selectorIjEEZZNS1_9scan_implILNS1_25lookback_scan_determinismE0ELb1ELb1ES3_N6thrust23THRUST_200600_302600_NS6detail15normal_iteratorINS9_10device_ptrIjEEEESE_j11max_functorIjEjEEDaPvRmT3_T4_T5_mT6_P12ihipStream_tbENKUlT_T0_E_clISt17integral_constantIbLb1EESU_EEDaSP_SQ_EUlSP_E0_NS1_11comp_targetILNS1_3genE4ELNS1_11target_archE910ELNS1_3gpuE8ELNS1_3repE0EEENS1_30default_config_static_selectorELNS0_4arch9wavefront6targetE1EEEvT1_,comdat
	.protected	_ZN7rocprim17ROCPRIM_400000_NS6detail17trampoline_kernelINS0_14default_configENS1_20scan_config_selectorIjEEZZNS1_9scan_implILNS1_25lookback_scan_determinismE0ELb1ELb1ES3_N6thrust23THRUST_200600_302600_NS6detail15normal_iteratorINS9_10device_ptrIjEEEESE_j11max_functorIjEjEEDaPvRmT3_T4_T5_mT6_P12ihipStream_tbENKUlT_T0_E_clISt17integral_constantIbLb1EESU_EEDaSP_SQ_EUlSP_E0_NS1_11comp_targetILNS1_3genE4ELNS1_11target_archE910ELNS1_3gpuE8ELNS1_3repE0EEENS1_30default_config_static_selectorELNS0_4arch9wavefront6targetE1EEEvT1_ ; -- Begin function _ZN7rocprim17ROCPRIM_400000_NS6detail17trampoline_kernelINS0_14default_configENS1_20scan_config_selectorIjEEZZNS1_9scan_implILNS1_25lookback_scan_determinismE0ELb1ELb1ES3_N6thrust23THRUST_200600_302600_NS6detail15normal_iteratorINS9_10device_ptrIjEEEESE_j11max_functorIjEjEEDaPvRmT3_T4_T5_mT6_P12ihipStream_tbENKUlT_T0_E_clISt17integral_constantIbLb1EESU_EEDaSP_SQ_EUlSP_E0_NS1_11comp_targetILNS1_3genE4ELNS1_11target_archE910ELNS1_3gpuE8ELNS1_3repE0EEENS1_30default_config_static_selectorELNS0_4arch9wavefront6targetE1EEEvT1_
	.globl	_ZN7rocprim17ROCPRIM_400000_NS6detail17trampoline_kernelINS0_14default_configENS1_20scan_config_selectorIjEEZZNS1_9scan_implILNS1_25lookback_scan_determinismE0ELb1ELb1ES3_N6thrust23THRUST_200600_302600_NS6detail15normal_iteratorINS9_10device_ptrIjEEEESE_j11max_functorIjEjEEDaPvRmT3_T4_T5_mT6_P12ihipStream_tbENKUlT_T0_E_clISt17integral_constantIbLb1EESU_EEDaSP_SQ_EUlSP_E0_NS1_11comp_targetILNS1_3genE4ELNS1_11target_archE910ELNS1_3gpuE8ELNS1_3repE0EEENS1_30default_config_static_selectorELNS0_4arch9wavefront6targetE1EEEvT1_
	.p2align	8
	.type	_ZN7rocprim17ROCPRIM_400000_NS6detail17trampoline_kernelINS0_14default_configENS1_20scan_config_selectorIjEEZZNS1_9scan_implILNS1_25lookback_scan_determinismE0ELb1ELb1ES3_N6thrust23THRUST_200600_302600_NS6detail15normal_iteratorINS9_10device_ptrIjEEEESE_j11max_functorIjEjEEDaPvRmT3_T4_T5_mT6_P12ihipStream_tbENKUlT_T0_E_clISt17integral_constantIbLb1EESU_EEDaSP_SQ_EUlSP_E0_NS1_11comp_targetILNS1_3genE4ELNS1_11target_archE910ELNS1_3gpuE8ELNS1_3repE0EEENS1_30default_config_static_selectorELNS0_4arch9wavefront6targetE1EEEvT1_,@function
_ZN7rocprim17ROCPRIM_400000_NS6detail17trampoline_kernelINS0_14default_configENS1_20scan_config_selectorIjEEZZNS1_9scan_implILNS1_25lookback_scan_determinismE0ELb1ELb1ES3_N6thrust23THRUST_200600_302600_NS6detail15normal_iteratorINS9_10device_ptrIjEEEESE_j11max_functorIjEjEEDaPvRmT3_T4_T5_mT6_P12ihipStream_tbENKUlT_T0_E_clISt17integral_constantIbLb1EESU_EEDaSP_SQ_EUlSP_E0_NS1_11comp_targetILNS1_3genE4ELNS1_11target_archE910ELNS1_3gpuE8ELNS1_3repE0EEENS1_30default_config_static_selectorELNS0_4arch9wavefront6targetE1EEEvT1_: ; @_ZN7rocprim17ROCPRIM_400000_NS6detail17trampoline_kernelINS0_14default_configENS1_20scan_config_selectorIjEEZZNS1_9scan_implILNS1_25lookback_scan_determinismE0ELb1ELb1ES3_N6thrust23THRUST_200600_302600_NS6detail15normal_iteratorINS9_10device_ptrIjEEEESE_j11max_functorIjEjEEDaPvRmT3_T4_T5_mT6_P12ihipStream_tbENKUlT_T0_E_clISt17integral_constantIbLb1EESU_EEDaSP_SQ_EUlSP_E0_NS1_11comp_targetILNS1_3genE4ELNS1_11target_archE910ELNS1_3gpuE8ELNS1_3repE0EEENS1_30default_config_static_selectorELNS0_4arch9wavefront6targetE1EEEvT1_
; %bb.0:
	s_load_dwordx4 s[20:23], s[4:5], 0x0
	v_lshlrev_b32_e32 v14, 2, v0
	s_waitcnt lgkmcnt(0)
	s_load_dword s23, s[20:21], 0x0
	v_cmp_gt_u32_e32 vcc, s22, v0
	s_waitcnt lgkmcnt(0)
	v_mov_b32_e32 v1, s23
	s_and_saveexec_b64 s[0:1], vcc
	s_cbranch_execz .LBB2358_2
; %bb.1:
	global_load_dword v1, v14, s[20:21]
.LBB2358_2:
	s_or_b64 exec, exec, s[0:1]
	v_or_b32_e32 v2, 0x80, v0
	v_cmp_gt_u32_e64 s[0:1], s22, v2
	v_mov_b32_e32 v2, s23
	s_and_saveexec_b64 s[2:3], s[0:1]
	s_cbranch_execz .LBB2358_4
; %bb.3:
	global_load_dword v2, v14, s[20:21] offset:512
.LBB2358_4:
	s_or_b64 exec, exec, s[2:3]
	v_or_b32_e32 v3, 0x100, v0
	v_cmp_gt_u32_e64 s[2:3], s22, v3
	v_mov_b32_e32 v3, s23
	s_and_saveexec_b64 s[6:7], s[2:3]
	s_cbranch_execz .LBB2358_6
; %bb.5:
	global_load_dword v3, v14, s[20:21] offset:1024
.LBB2358_6:
	;; [unrolled: 9-line block ×7, first 2 shown]
	s_or_b64 exec, exec, s[14:15]
	v_or_b32_e32 v10, 0x400, v0
	v_cmp_gt_u32_e64 s[14:15], s22, v10
	v_mov_b32_e32 v9, s23
	s_and_saveexec_b64 s[16:17], s[14:15]
	s_cbranch_execz .LBB2358_18
; %bb.17:
	v_lshlrev_b32_e32 v9, 2, v10
	global_load_dword v9, v9, s[20:21]
.LBB2358_18:
	s_or_b64 exec, exec, s[16:17]
	s_load_dword s24, s[4:5], 0x10
	v_or_b32_e32 v11, 0x480, v0
	v_cmp_gt_u32_e64 s[16:17], s22, v11
	v_mov_b32_e32 v10, s23
	s_and_saveexec_b64 s[22:23], s[16:17]
	s_cbranch_execz .LBB2358_20
; %bb.19:
	v_lshlrev_b32_e32 v10, 2, v11
	global_load_dword v10, v10, s[20:21]
.LBB2358_20:
	s_or_b64 exec, exec, s[22:23]
	s_waitcnt vmcnt(0)
	ds_write2st64_b32 v14, v1, v2 offset1:2
	ds_write2st64_b32 v14, v3, v4 offset0:4 offset1:6
	ds_write2st64_b32 v14, v5, v6 offset0:8 offset1:10
	ds_write2st64_b32 v14, v7, v8 offset0:12 offset1:14
	ds_write2st64_b32 v14, v9, v10 offset0:16 offset1:18
	v_mad_u32_u24 v1, v0, 36, v14
	s_waitcnt lgkmcnt(0)
	s_barrier
	ds_read2_b64 v[6:9], v1 offset1:1
	ds_read2_b64 v[2:5], v1 offset0:2 offset1:3
	ds_read_b64 v[10:11], v1 offset:32
	s_load_dwordx2 s[20:21], s[4:5], 0x18
	v_cmp_gt_u32_e64 s[4:5], 64, v0
	s_waitcnt lgkmcnt(0)
	v_max_u32_e32 v12, v6, v7
	v_max3_u32 v12, v12, v8, v9
	v_max3_u32 v12, v12, v2, v3
	;; [unrolled: 1-line block ×4, first 2 shown]
	v_lshrrev_b32_e32 v12, 3, v0
	v_and_b32_e32 v12, 12, v12
	v_add_u32_e32 v12, v14, v12
	s_barrier
	ds_write_b32 v12, v11
	s_waitcnt lgkmcnt(0)
	s_barrier
	s_and_saveexec_b64 s[22:23], s[4:5]
	s_cbranch_execz .LBB2358_22
; %bb.21:
	v_lshlrev_b32_e32 v12, 1, v0
	v_lshrrev_b32_e32 v13, 4, v0
	v_add_lshl_u32 v15, v13, v12, 2
	ds_read2_b32 v[12:13], v15 offset1:1
	v_mbcnt_lo_u32_b32 v16, -1, 0
	v_mbcnt_hi_u32_b32 v16, -1, v16
	v_and_b32_e32 v17, 15, v16
	v_cmp_eq_u32_e64 s[4:5], 0, v17
	s_waitcnt lgkmcnt(0)
	v_max_u32_e32 v13, v12, v13
	; wave barrier
	s_nop 1
	v_mov_b32_dpp v18, v13 row_shr:1 row_mask:0xf bank_mask:0xf
	v_max_u32_e32 v18, v18, v13
	v_cndmask_b32_e64 v13, v18, v13, s[4:5]
	v_cmp_lt_u32_e64 s[4:5], 1, v17
	s_nop 0
	v_mov_b32_dpp v18, v13 row_shr:2 row_mask:0xf bank_mask:0xf
	v_max_u32_e32 v18, v18, v13
	v_cndmask_b32_e64 v13, v13, v18, s[4:5]
	v_cmp_lt_u32_e64 s[4:5], 3, v17
	;; [unrolled: 5-line block ×3, first 2 shown]
	s_nop 0
	v_mov_b32_dpp v18, v13 row_shr:8 row_mask:0xf bank_mask:0xf
	v_max_u32_e32 v18, v18, v13
	v_cndmask_b32_e64 v13, v13, v18, s[4:5]
	v_and_b32_e32 v18, 16, v16
	v_cmp_eq_u32_e64 s[4:5], 0, v18
	v_mov_b32_dpp v17, v13 row_bcast:15 row_mask:0xf bank_mask:0xf
	v_max_u32_e32 v17, v17, v13
	v_cndmask_b32_e64 v13, v17, v13, s[4:5]
	v_cmp_lt_u32_e64 s[4:5], 31, v16
	v_and_b32_e32 v18, 64, v16
	v_mov_b32_dpp v17, v13 row_bcast:31 row_mask:0xf bank_mask:0xf
	v_max_u32_e32 v17, v17, v13
	v_cndmask_b32_e64 v13, v13, v17, s[4:5]
	v_add_u32_e32 v17, -1, v16
	v_cmp_lt_i32_e64 s[4:5], v17, v18
	v_cndmask_b32_e64 v16, v17, v16, s[4:5]
	v_lshlrev_b32_e32 v16, 2, v16
	ds_bpermute_b32 v13, v16, v13
	v_cmp_eq_u32_e64 s[4:5], 0, v0
	s_waitcnt lgkmcnt(0)
	v_max_u32_e32 v12, v13, v12
	v_cndmask_b32_e64 v11, v12, v11, s[4:5]
	ds_write_b32 v15, v11
	; wave barrier
	ds_read_b32 v12, v15 offset:4
	s_waitcnt lgkmcnt(0)
	v_max_u32_e32 v11, v11, v12
	ds_write_b32 v15, v11 offset:4
.LBB2358_22:
	s_or_b64 exec, exec, s[22:23]
	v_cmp_ne_u32_e64 s[4:5], 0, v0
	v_mov_b32_e32 v12, s24
	s_waitcnt lgkmcnt(0)
	s_barrier
	s_and_saveexec_b64 s[22:23], s[4:5]
	s_cbranch_execz .LBB2358_24
; %bb.23:
	v_add_u32_e32 v11, -1, v0
	v_lshrrev_b32_e32 v12, 5, v11
	v_add_lshl_u32 v11, v12, v11, 2
	ds_read_b32 v11, v11
	s_waitcnt lgkmcnt(0)
	v_max_u32_e32 v12, s24, v11
.LBB2358_24:
	s_or_b64 exec, exec, s[22:23]
	v_max_u32_e32 v13, v12, v6
	v_max_u32_e32 v6, v13, v7
	;; [unrolled: 1-line block ×8, first 2 shown]
	s_movk_i32 s4, 0xffdc
	v_max_u32_e32 v5, v4, v10
	v_mad_i32_i24 v0, v0, s4, v1
	s_barrier
	ds_write2_b64 v1, v[12:13], v[6:7] offset1:1
	ds_write2_b64 v1, v[8:9], v[2:3] offset0:2 offset1:3
	ds_write_b64 v1, v[4:5] offset:32
	s_waitcnt lgkmcnt(0)
	s_barrier
	ds_read2st64_b32 v[8:9], v0 offset0:2 offset1:4
	ds_read2st64_b32 v[6:7], v0 offset0:6 offset1:8
	;; [unrolled: 1-line block ×4, first 2 shown]
	ds_read_b32 v10, v14 offset:4096
	v_mov_b32_e32 v3, s21
	v_add_co_u32_e64 v2, s[4:5], s20, v14
	v_addc_co_u32_e64 v3, s[4:5], 0, v3, s[4:5]
	s_and_saveexec_b64 s[4:5], vcc
	s_cbranch_execnz .LBB2358_35
; %bb.25:
	s_or_b64 exec, exec, s[4:5]
	s_and_saveexec_b64 s[4:5], s[0:1]
	s_cbranch_execnz .LBB2358_36
.LBB2358_26:
	s_or_b64 exec, exec, s[4:5]
	s_and_saveexec_b64 s[0:1], s[2:3]
	s_cbranch_execnz .LBB2358_37
.LBB2358_27:
	s_or_b64 exec, exec, s[0:1]
	s_and_saveexec_b64 s[0:1], s[18:19]
	s_cbranch_execnz .LBB2358_38
.LBB2358_28:
	s_or_b64 exec, exec, s[0:1]
	s_and_saveexec_b64 s[0:1], s[6:7]
	s_cbranch_execnz .LBB2358_39
.LBB2358_29:
	s_or_b64 exec, exec, s[0:1]
	s_and_saveexec_b64 s[0:1], s[8:9]
	s_cbranch_execnz .LBB2358_40
.LBB2358_30:
	s_or_b64 exec, exec, s[0:1]
	s_and_saveexec_b64 s[0:1], s[10:11]
	s_cbranch_execnz .LBB2358_41
.LBB2358_31:
	s_or_b64 exec, exec, s[0:1]
	s_and_saveexec_b64 s[0:1], s[12:13]
	s_cbranch_execnz .LBB2358_42
.LBB2358_32:
	s_or_b64 exec, exec, s[0:1]
	s_and_saveexec_b64 s[0:1], s[14:15]
	s_cbranch_execnz .LBB2358_43
.LBB2358_33:
	s_or_b64 exec, exec, s[0:1]
	s_and_saveexec_b64 s[0:1], s[16:17]
	s_cbranch_execnz .LBB2358_44
.LBB2358_34:
	s_endpgm
.LBB2358_35:
	ds_read_b32 v11, v14
	s_waitcnt lgkmcnt(0)
	global_store_dword v[2:3], v11, off
	s_or_b64 exec, exec, s[4:5]
	s_and_saveexec_b64 s[4:5], s[0:1]
	s_cbranch_execz .LBB2358_26
.LBB2358_36:
	s_waitcnt lgkmcnt(4)
	global_store_dword v[2:3], v8, off offset:512
	s_or_b64 exec, exec, s[4:5]
	s_and_saveexec_b64 s[0:1], s[2:3]
	s_cbranch_execz .LBB2358_27
.LBB2358_37:
	s_waitcnt lgkmcnt(4)
	global_store_dword v[2:3], v9, off offset:1024
	s_or_b64 exec, exec, s[0:1]
	s_and_saveexec_b64 s[0:1], s[18:19]
	s_cbranch_execz .LBB2358_28
.LBB2358_38:
	s_waitcnt lgkmcnt(3)
	global_store_dword v[2:3], v6, off offset:1536
	s_or_b64 exec, exec, s[0:1]
	s_and_saveexec_b64 s[0:1], s[6:7]
	s_cbranch_execz .LBB2358_29
.LBB2358_39:
	s_waitcnt lgkmcnt(3)
	global_store_dword v[2:3], v7, off offset:2048
	s_or_b64 exec, exec, s[0:1]
	s_and_saveexec_b64 s[0:1], s[8:9]
	s_cbranch_execz .LBB2358_30
.LBB2358_40:
	s_waitcnt lgkmcnt(2)
	global_store_dword v[2:3], v4, off offset:2560
	s_or_b64 exec, exec, s[0:1]
	s_and_saveexec_b64 s[0:1], s[10:11]
	s_cbranch_execz .LBB2358_31
.LBB2358_41:
	s_waitcnt lgkmcnt(2)
	global_store_dword v[2:3], v5, off offset:3072
	s_or_b64 exec, exec, s[0:1]
	s_and_saveexec_b64 s[0:1], s[12:13]
	s_cbranch_execz .LBB2358_32
.LBB2358_42:
	s_waitcnt lgkmcnt(1)
	global_store_dword v[2:3], v0, off offset:3584
	s_or_b64 exec, exec, s[0:1]
	s_and_saveexec_b64 s[0:1], s[14:15]
	s_cbranch_execz .LBB2358_33
.LBB2358_43:
	s_waitcnt lgkmcnt(2)
	v_add_co_u32_e32 v4, vcc, 0x1000, v2
	v_addc_co_u32_e32 v5, vcc, 0, v3, vcc
	s_waitcnt lgkmcnt(0)
	global_store_dword v[4:5], v10, off
	s_or_b64 exec, exec, s[0:1]
	s_and_saveexec_b64 s[0:1], s[16:17]
	s_cbranch_execz .LBB2358_34
.LBB2358_44:
	v_add_co_u32_e32 v2, vcc, 0x1000, v2
	v_addc_co_u32_e32 v3, vcc, 0, v3, vcc
	s_waitcnt lgkmcnt(1)
	global_store_dword v[2:3], v1, off offset:512
	s_endpgm
	.section	.rodata,"a",@progbits
	.p2align	6, 0x0
	.amdhsa_kernel _ZN7rocprim17ROCPRIM_400000_NS6detail17trampoline_kernelINS0_14default_configENS1_20scan_config_selectorIjEEZZNS1_9scan_implILNS1_25lookback_scan_determinismE0ELb1ELb1ES3_N6thrust23THRUST_200600_302600_NS6detail15normal_iteratorINS9_10device_ptrIjEEEESE_j11max_functorIjEjEEDaPvRmT3_T4_T5_mT6_P12ihipStream_tbENKUlT_T0_E_clISt17integral_constantIbLb1EESU_EEDaSP_SQ_EUlSP_E0_NS1_11comp_targetILNS1_3genE4ELNS1_11target_archE910ELNS1_3gpuE8ELNS1_3repE0EEENS1_30default_config_static_selectorELNS0_4arch9wavefront6targetE1EEEvT1_
		.amdhsa_group_segment_fixed_size 5120
		.amdhsa_private_segment_fixed_size 0
		.amdhsa_kernarg_size 32
		.amdhsa_user_sgpr_count 6
		.amdhsa_user_sgpr_private_segment_buffer 1
		.amdhsa_user_sgpr_dispatch_ptr 0
		.amdhsa_user_sgpr_queue_ptr 0
		.amdhsa_user_sgpr_kernarg_segment_ptr 1
		.amdhsa_user_sgpr_dispatch_id 0
		.amdhsa_user_sgpr_flat_scratch_init 0
		.amdhsa_user_sgpr_kernarg_preload_length 0
		.amdhsa_user_sgpr_kernarg_preload_offset 0
		.amdhsa_user_sgpr_private_segment_size 0
		.amdhsa_uses_dynamic_stack 0
		.amdhsa_system_sgpr_private_segment_wavefront_offset 0
		.amdhsa_system_sgpr_workgroup_id_x 1
		.amdhsa_system_sgpr_workgroup_id_y 0
		.amdhsa_system_sgpr_workgroup_id_z 0
		.amdhsa_system_sgpr_workgroup_info 0
		.amdhsa_system_vgpr_workitem_id 0
		.amdhsa_next_free_vgpr 19
		.amdhsa_next_free_sgpr 25
		.amdhsa_accum_offset 20
		.amdhsa_reserve_vcc 1
		.amdhsa_reserve_flat_scratch 0
		.amdhsa_float_round_mode_32 0
		.amdhsa_float_round_mode_16_64 0
		.amdhsa_float_denorm_mode_32 3
		.amdhsa_float_denorm_mode_16_64 3
		.amdhsa_dx10_clamp 1
		.amdhsa_ieee_mode 1
		.amdhsa_fp16_overflow 0
		.amdhsa_tg_split 0
		.amdhsa_exception_fp_ieee_invalid_op 0
		.amdhsa_exception_fp_denorm_src 0
		.amdhsa_exception_fp_ieee_div_zero 0
		.amdhsa_exception_fp_ieee_overflow 0
		.amdhsa_exception_fp_ieee_underflow 0
		.amdhsa_exception_fp_ieee_inexact 0
		.amdhsa_exception_int_div_zero 0
	.end_amdhsa_kernel
	.section	.text._ZN7rocprim17ROCPRIM_400000_NS6detail17trampoline_kernelINS0_14default_configENS1_20scan_config_selectorIjEEZZNS1_9scan_implILNS1_25lookback_scan_determinismE0ELb1ELb1ES3_N6thrust23THRUST_200600_302600_NS6detail15normal_iteratorINS9_10device_ptrIjEEEESE_j11max_functorIjEjEEDaPvRmT3_T4_T5_mT6_P12ihipStream_tbENKUlT_T0_E_clISt17integral_constantIbLb1EESU_EEDaSP_SQ_EUlSP_E0_NS1_11comp_targetILNS1_3genE4ELNS1_11target_archE910ELNS1_3gpuE8ELNS1_3repE0EEENS1_30default_config_static_selectorELNS0_4arch9wavefront6targetE1EEEvT1_,"axG",@progbits,_ZN7rocprim17ROCPRIM_400000_NS6detail17trampoline_kernelINS0_14default_configENS1_20scan_config_selectorIjEEZZNS1_9scan_implILNS1_25lookback_scan_determinismE0ELb1ELb1ES3_N6thrust23THRUST_200600_302600_NS6detail15normal_iteratorINS9_10device_ptrIjEEEESE_j11max_functorIjEjEEDaPvRmT3_T4_T5_mT6_P12ihipStream_tbENKUlT_T0_E_clISt17integral_constantIbLb1EESU_EEDaSP_SQ_EUlSP_E0_NS1_11comp_targetILNS1_3genE4ELNS1_11target_archE910ELNS1_3gpuE8ELNS1_3repE0EEENS1_30default_config_static_selectorELNS0_4arch9wavefront6targetE1EEEvT1_,comdat
.Lfunc_end2358:
	.size	_ZN7rocprim17ROCPRIM_400000_NS6detail17trampoline_kernelINS0_14default_configENS1_20scan_config_selectorIjEEZZNS1_9scan_implILNS1_25lookback_scan_determinismE0ELb1ELb1ES3_N6thrust23THRUST_200600_302600_NS6detail15normal_iteratorINS9_10device_ptrIjEEEESE_j11max_functorIjEjEEDaPvRmT3_T4_T5_mT6_P12ihipStream_tbENKUlT_T0_E_clISt17integral_constantIbLb1EESU_EEDaSP_SQ_EUlSP_E0_NS1_11comp_targetILNS1_3genE4ELNS1_11target_archE910ELNS1_3gpuE8ELNS1_3repE0EEENS1_30default_config_static_selectorELNS0_4arch9wavefront6targetE1EEEvT1_, .Lfunc_end2358-_ZN7rocprim17ROCPRIM_400000_NS6detail17trampoline_kernelINS0_14default_configENS1_20scan_config_selectorIjEEZZNS1_9scan_implILNS1_25lookback_scan_determinismE0ELb1ELb1ES3_N6thrust23THRUST_200600_302600_NS6detail15normal_iteratorINS9_10device_ptrIjEEEESE_j11max_functorIjEjEEDaPvRmT3_T4_T5_mT6_P12ihipStream_tbENKUlT_T0_E_clISt17integral_constantIbLb1EESU_EEDaSP_SQ_EUlSP_E0_NS1_11comp_targetILNS1_3genE4ELNS1_11target_archE910ELNS1_3gpuE8ELNS1_3repE0EEENS1_30default_config_static_selectorELNS0_4arch9wavefront6targetE1EEEvT1_
                                        ; -- End function
	.section	.AMDGPU.csdata,"",@progbits
; Kernel info:
; codeLenInByte = 1544
; NumSgprs: 29
; NumVgprs: 19
; NumAgprs: 0
; TotalNumVgprs: 19
; ScratchSize: 0
; MemoryBound: 0
; FloatMode: 240
; IeeeMode: 1
; LDSByteSize: 5120 bytes/workgroup (compile time only)
; SGPRBlocks: 3
; VGPRBlocks: 2
; NumSGPRsForWavesPerEU: 29
; NumVGPRsForWavesPerEU: 19
; AccumOffset: 20
; Occupancy: 6
; WaveLimiterHint : 0
; COMPUTE_PGM_RSRC2:SCRATCH_EN: 0
; COMPUTE_PGM_RSRC2:USER_SGPR: 6
; COMPUTE_PGM_RSRC2:TRAP_HANDLER: 0
; COMPUTE_PGM_RSRC2:TGID_X_EN: 1
; COMPUTE_PGM_RSRC2:TGID_Y_EN: 0
; COMPUTE_PGM_RSRC2:TGID_Z_EN: 0
; COMPUTE_PGM_RSRC2:TIDIG_COMP_CNT: 0
; COMPUTE_PGM_RSRC3_GFX90A:ACCUM_OFFSET: 4
; COMPUTE_PGM_RSRC3_GFX90A:TG_SPLIT: 0
	.section	.text._ZN7rocprim17ROCPRIM_400000_NS6detail17trampoline_kernelINS0_14default_configENS1_20scan_config_selectorIjEEZZNS1_9scan_implILNS1_25lookback_scan_determinismE0ELb1ELb1ES3_N6thrust23THRUST_200600_302600_NS6detail15normal_iteratorINS9_10device_ptrIjEEEESE_j11max_functorIjEjEEDaPvRmT3_T4_T5_mT6_P12ihipStream_tbENKUlT_T0_E_clISt17integral_constantIbLb1EESU_EEDaSP_SQ_EUlSP_E0_NS1_11comp_targetILNS1_3genE3ELNS1_11target_archE908ELNS1_3gpuE7ELNS1_3repE0EEENS1_30default_config_static_selectorELNS0_4arch9wavefront6targetE1EEEvT1_,"axG",@progbits,_ZN7rocprim17ROCPRIM_400000_NS6detail17trampoline_kernelINS0_14default_configENS1_20scan_config_selectorIjEEZZNS1_9scan_implILNS1_25lookback_scan_determinismE0ELb1ELb1ES3_N6thrust23THRUST_200600_302600_NS6detail15normal_iteratorINS9_10device_ptrIjEEEESE_j11max_functorIjEjEEDaPvRmT3_T4_T5_mT6_P12ihipStream_tbENKUlT_T0_E_clISt17integral_constantIbLb1EESU_EEDaSP_SQ_EUlSP_E0_NS1_11comp_targetILNS1_3genE3ELNS1_11target_archE908ELNS1_3gpuE7ELNS1_3repE0EEENS1_30default_config_static_selectorELNS0_4arch9wavefront6targetE1EEEvT1_,comdat
	.protected	_ZN7rocprim17ROCPRIM_400000_NS6detail17trampoline_kernelINS0_14default_configENS1_20scan_config_selectorIjEEZZNS1_9scan_implILNS1_25lookback_scan_determinismE0ELb1ELb1ES3_N6thrust23THRUST_200600_302600_NS6detail15normal_iteratorINS9_10device_ptrIjEEEESE_j11max_functorIjEjEEDaPvRmT3_T4_T5_mT6_P12ihipStream_tbENKUlT_T0_E_clISt17integral_constantIbLb1EESU_EEDaSP_SQ_EUlSP_E0_NS1_11comp_targetILNS1_3genE3ELNS1_11target_archE908ELNS1_3gpuE7ELNS1_3repE0EEENS1_30default_config_static_selectorELNS0_4arch9wavefront6targetE1EEEvT1_ ; -- Begin function _ZN7rocprim17ROCPRIM_400000_NS6detail17trampoline_kernelINS0_14default_configENS1_20scan_config_selectorIjEEZZNS1_9scan_implILNS1_25lookback_scan_determinismE0ELb1ELb1ES3_N6thrust23THRUST_200600_302600_NS6detail15normal_iteratorINS9_10device_ptrIjEEEESE_j11max_functorIjEjEEDaPvRmT3_T4_T5_mT6_P12ihipStream_tbENKUlT_T0_E_clISt17integral_constantIbLb1EESU_EEDaSP_SQ_EUlSP_E0_NS1_11comp_targetILNS1_3genE3ELNS1_11target_archE908ELNS1_3gpuE7ELNS1_3repE0EEENS1_30default_config_static_selectorELNS0_4arch9wavefront6targetE1EEEvT1_
	.globl	_ZN7rocprim17ROCPRIM_400000_NS6detail17trampoline_kernelINS0_14default_configENS1_20scan_config_selectorIjEEZZNS1_9scan_implILNS1_25lookback_scan_determinismE0ELb1ELb1ES3_N6thrust23THRUST_200600_302600_NS6detail15normal_iteratorINS9_10device_ptrIjEEEESE_j11max_functorIjEjEEDaPvRmT3_T4_T5_mT6_P12ihipStream_tbENKUlT_T0_E_clISt17integral_constantIbLb1EESU_EEDaSP_SQ_EUlSP_E0_NS1_11comp_targetILNS1_3genE3ELNS1_11target_archE908ELNS1_3gpuE7ELNS1_3repE0EEENS1_30default_config_static_selectorELNS0_4arch9wavefront6targetE1EEEvT1_
	.p2align	8
	.type	_ZN7rocprim17ROCPRIM_400000_NS6detail17trampoline_kernelINS0_14default_configENS1_20scan_config_selectorIjEEZZNS1_9scan_implILNS1_25lookback_scan_determinismE0ELb1ELb1ES3_N6thrust23THRUST_200600_302600_NS6detail15normal_iteratorINS9_10device_ptrIjEEEESE_j11max_functorIjEjEEDaPvRmT3_T4_T5_mT6_P12ihipStream_tbENKUlT_T0_E_clISt17integral_constantIbLb1EESU_EEDaSP_SQ_EUlSP_E0_NS1_11comp_targetILNS1_3genE3ELNS1_11target_archE908ELNS1_3gpuE7ELNS1_3repE0EEENS1_30default_config_static_selectorELNS0_4arch9wavefront6targetE1EEEvT1_,@function
_ZN7rocprim17ROCPRIM_400000_NS6detail17trampoline_kernelINS0_14default_configENS1_20scan_config_selectorIjEEZZNS1_9scan_implILNS1_25lookback_scan_determinismE0ELb1ELb1ES3_N6thrust23THRUST_200600_302600_NS6detail15normal_iteratorINS9_10device_ptrIjEEEESE_j11max_functorIjEjEEDaPvRmT3_T4_T5_mT6_P12ihipStream_tbENKUlT_T0_E_clISt17integral_constantIbLb1EESU_EEDaSP_SQ_EUlSP_E0_NS1_11comp_targetILNS1_3genE3ELNS1_11target_archE908ELNS1_3gpuE7ELNS1_3repE0EEENS1_30default_config_static_selectorELNS0_4arch9wavefront6targetE1EEEvT1_: ; @_ZN7rocprim17ROCPRIM_400000_NS6detail17trampoline_kernelINS0_14default_configENS1_20scan_config_selectorIjEEZZNS1_9scan_implILNS1_25lookback_scan_determinismE0ELb1ELb1ES3_N6thrust23THRUST_200600_302600_NS6detail15normal_iteratorINS9_10device_ptrIjEEEESE_j11max_functorIjEjEEDaPvRmT3_T4_T5_mT6_P12ihipStream_tbENKUlT_T0_E_clISt17integral_constantIbLb1EESU_EEDaSP_SQ_EUlSP_E0_NS1_11comp_targetILNS1_3genE3ELNS1_11target_archE908ELNS1_3gpuE7ELNS1_3repE0EEENS1_30default_config_static_selectorELNS0_4arch9wavefront6targetE1EEEvT1_
; %bb.0:
	.section	.rodata,"a",@progbits
	.p2align	6, 0x0
	.amdhsa_kernel _ZN7rocprim17ROCPRIM_400000_NS6detail17trampoline_kernelINS0_14default_configENS1_20scan_config_selectorIjEEZZNS1_9scan_implILNS1_25lookback_scan_determinismE0ELb1ELb1ES3_N6thrust23THRUST_200600_302600_NS6detail15normal_iteratorINS9_10device_ptrIjEEEESE_j11max_functorIjEjEEDaPvRmT3_T4_T5_mT6_P12ihipStream_tbENKUlT_T0_E_clISt17integral_constantIbLb1EESU_EEDaSP_SQ_EUlSP_E0_NS1_11comp_targetILNS1_3genE3ELNS1_11target_archE908ELNS1_3gpuE7ELNS1_3repE0EEENS1_30default_config_static_selectorELNS0_4arch9wavefront6targetE1EEEvT1_
		.amdhsa_group_segment_fixed_size 0
		.amdhsa_private_segment_fixed_size 0
		.amdhsa_kernarg_size 32
		.amdhsa_user_sgpr_count 6
		.amdhsa_user_sgpr_private_segment_buffer 1
		.amdhsa_user_sgpr_dispatch_ptr 0
		.amdhsa_user_sgpr_queue_ptr 0
		.amdhsa_user_sgpr_kernarg_segment_ptr 1
		.amdhsa_user_sgpr_dispatch_id 0
		.amdhsa_user_sgpr_flat_scratch_init 0
		.amdhsa_user_sgpr_kernarg_preload_length 0
		.amdhsa_user_sgpr_kernarg_preload_offset 0
		.amdhsa_user_sgpr_private_segment_size 0
		.amdhsa_uses_dynamic_stack 0
		.amdhsa_system_sgpr_private_segment_wavefront_offset 0
		.amdhsa_system_sgpr_workgroup_id_x 1
		.amdhsa_system_sgpr_workgroup_id_y 0
		.amdhsa_system_sgpr_workgroup_id_z 0
		.amdhsa_system_sgpr_workgroup_info 0
		.amdhsa_system_vgpr_workitem_id 0
		.amdhsa_next_free_vgpr 1
		.amdhsa_next_free_sgpr 0
		.amdhsa_accum_offset 4
		.amdhsa_reserve_vcc 0
		.amdhsa_reserve_flat_scratch 0
		.amdhsa_float_round_mode_32 0
		.amdhsa_float_round_mode_16_64 0
		.amdhsa_float_denorm_mode_32 3
		.amdhsa_float_denorm_mode_16_64 3
		.amdhsa_dx10_clamp 1
		.amdhsa_ieee_mode 1
		.amdhsa_fp16_overflow 0
		.amdhsa_tg_split 0
		.amdhsa_exception_fp_ieee_invalid_op 0
		.amdhsa_exception_fp_denorm_src 0
		.amdhsa_exception_fp_ieee_div_zero 0
		.amdhsa_exception_fp_ieee_overflow 0
		.amdhsa_exception_fp_ieee_underflow 0
		.amdhsa_exception_fp_ieee_inexact 0
		.amdhsa_exception_int_div_zero 0
	.end_amdhsa_kernel
	.section	.text._ZN7rocprim17ROCPRIM_400000_NS6detail17trampoline_kernelINS0_14default_configENS1_20scan_config_selectorIjEEZZNS1_9scan_implILNS1_25lookback_scan_determinismE0ELb1ELb1ES3_N6thrust23THRUST_200600_302600_NS6detail15normal_iteratorINS9_10device_ptrIjEEEESE_j11max_functorIjEjEEDaPvRmT3_T4_T5_mT6_P12ihipStream_tbENKUlT_T0_E_clISt17integral_constantIbLb1EESU_EEDaSP_SQ_EUlSP_E0_NS1_11comp_targetILNS1_3genE3ELNS1_11target_archE908ELNS1_3gpuE7ELNS1_3repE0EEENS1_30default_config_static_selectorELNS0_4arch9wavefront6targetE1EEEvT1_,"axG",@progbits,_ZN7rocprim17ROCPRIM_400000_NS6detail17trampoline_kernelINS0_14default_configENS1_20scan_config_selectorIjEEZZNS1_9scan_implILNS1_25lookback_scan_determinismE0ELb1ELb1ES3_N6thrust23THRUST_200600_302600_NS6detail15normal_iteratorINS9_10device_ptrIjEEEESE_j11max_functorIjEjEEDaPvRmT3_T4_T5_mT6_P12ihipStream_tbENKUlT_T0_E_clISt17integral_constantIbLb1EESU_EEDaSP_SQ_EUlSP_E0_NS1_11comp_targetILNS1_3genE3ELNS1_11target_archE908ELNS1_3gpuE7ELNS1_3repE0EEENS1_30default_config_static_selectorELNS0_4arch9wavefront6targetE1EEEvT1_,comdat
.Lfunc_end2359:
	.size	_ZN7rocprim17ROCPRIM_400000_NS6detail17trampoline_kernelINS0_14default_configENS1_20scan_config_selectorIjEEZZNS1_9scan_implILNS1_25lookback_scan_determinismE0ELb1ELb1ES3_N6thrust23THRUST_200600_302600_NS6detail15normal_iteratorINS9_10device_ptrIjEEEESE_j11max_functorIjEjEEDaPvRmT3_T4_T5_mT6_P12ihipStream_tbENKUlT_T0_E_clISt17integral_constantIbLb1EESU_EEDaSP_SQ_EUlSP_E0_NS1_11comp_targetILNS1_3genE3ELNS1_11target_archE908ELNS1_3gpuE7ELNS1_3repE0EEENS1_30default_config_static_selectorELNS0_4arch9wavefront6targetE1EEEvT1_, .Lfunc_end2359-_ZN7rocprim17ROCPRIM_400000_NS6detail17trampoline_kernelINS0_14default_configENS1_20scan_config_selectorIjEEZZNS1_9scan_implILNS1_25lookback_scan_determinismE0ELb1ELb1ES3_N6thrust23THRUST_200600_302600_NS6detail15normal_iteratorINS9_10device_ptrIjEEEESE_j11max_functorIjEjEEDaPvRmT3_T4_T5_mT6_P12ihipStream_tbENKUlT_T0_E_clISt17integral_constantIbLb1EESU_EEDaSP_SQ_EUlSP_E0_NS1_11comp_targetILNS1_3genE3ELNS1_11target_archE908ELNS1_3gpuE7ELNS1_3repE0EEENS1_30default_config_static_selectorELNS0_4arch9wavefront6targetE1EEEvT1_
                                        ; -- End function
	.section	.AMDGPU.csdata,"",@progbits
; Kernel info:
; codeLenInByte = 0
; NumSgprs: 4
; NumVgprs: 0
; NumAgprs: 0
; TotalNumVgprs: 0
; ScratchSize: 0
; MemoryBound: 0
; FloatMode: 240
; IeeeMode: 1
; LDSByteSize: 0 bytes/workgroup (compile time only)
; SGPRBlocks: 0
; VGPRBlocks: 0
; NumSGPRsForWavesPerEU: 4
; NumVGPRsForWavesPerEU: 1
; AccumOffset: 4
; Occupancy: 8
; WaveLimiterHint : 0
; COMPUTE_PGM_RSRC2:SCRATCH_EN: 0
; COMPUTE_PGM_RSRC2:USER_SGPR: 6
; COMPUTE_PGM_RSRC2:TRAP_HANDLER: 0
; COMPUTE_PGM_RSRC2:TGID_X_EN: 1
; COMPUTE_PGM_RSRC2:TGID_Y_EN: 0
; COMPUTE_PGM_RSRC2:TGID_Z_EN: 0
; COMPUTE_PGM_RSRC2:TIDIG_COMP_CNT: 0
; COMPUTE_PGM_RSRC3_GFX90A:ACCUM_OFFSET: 0
; COMPUTE_PGM_RSRC3_GFX90A:TG_SPLIT: 0
	.section	.text._ZN7rocprim17ROCPRIM_400000_NS6detail17trampoline_kernelINS0_14default_configENS1_20scan_config_selectorIjEEZZNS1_9scan_implILNS1_25lookback_scan_determinismE0ELb1ELb1ES3_N6thrust23THRUST_200600_302600_NS6detail15normal_iteratorINS9_10device_ptrIjEEEESE_j11max_functorIjEjEEDaPvRmT3_T4_T5_mT6_P12ihipStream_tbENKUlT_T0_E_clISt17integral_constantIbLb1EESU_EEDaSP_SQ_EUlSP_E0_NS1_11comp_targetILNS1_3genE2ELNS1_11target_archE906ELNS1_3gpuE6ELNS1_3repE0EEENS1_30default_config_static_selectorELNS0_4arch9wavefront6targetE1EEEvT1_,"axG",@progbits,_ZN7rocprim17ROCPRIM_400000_NS6detail17trampoline_kernelINS0_14default_configENS1_20scan_config_selectorIjEEZZNS1_9scan_implILNS1_25lookback_scan_determinismE0ELb1ELb1ES3_N6thrust23THRUST_200600_302600_NS6detail15normal_iteratorINS9_10device_ptrIjEEEESE_j11max_functorIjEjEEDaPvRmT3_T4_T5_mT6_P12ihipStream_tbENKUlT_T0_E_clISt17integral_constantIbLb1EESU_EEDaSP_SQ_EUlSP_E0_NS1_11comp_targetILNS1_3genE2ELNS1_11target_archE906ELNS1_3gpuE6ELNS1_3repE0EEENS1_30default_config_static_selectorELNS0_4arch9wavefront6targetE1EEEvT1_,comdat
	.protected	_ZN7rocprim17ROCPRIM_400000_NS6detail17trampoline_kernelINS0_14default_configENS1_20scan_config_selectorIjEEZZNS1_9scan_implILNS1_25lookback_scan_determinismE0ELb1ELb1ES3_N6thrust23THRUST_200600_302600_NS6detail15normal_iteratorINS9_10device_ptrIjEEEESE_j11max_functorIjEjEEDaPvRmT3_T4_T5_mT6_P12ihipStream_tbENKUlT_T0_E_clISt17integral_constantIbLb1EESU_EEDaSP_SQ_EUlSP_E0_NS1_11comp_targetILNS1_3genE2ELNS1_11target_archE906ELNS1_3gpuE6ELNS1_3repE0EEENS1_30default_config_static_selectorELNS0_4arch9wavefront6targetE1EEEvT1_ ; -- Begin function _ZN7rocprim17ROCPRIM_400000_NS6detail17trampoline_kernelINS0_14default_configENS1_20scan_config_selectorIjEEZZNS1_9scan_implILNS1_25lookback_scan_determinismE0ELb1ELb1ES3_N6thrust23THRUST_200600_302600_NS6detail15normal_iteratorINS9_10device_ptrIjEEEESE_j11max_functorIjEjEEDaPvRmT3_T4_T5_mT6_P12ihipStream_tbENKUlT_T0_E_clISt17integral_constantIbLb1EESU_EEDaSP_SQ_EUlSP_E0_NS1_11comp_targetILNS1_3genE2ELNS1_11target_archE906ELNS1_3gpuE6ELNS1_3repE0EEENS1_30default_config_static_selectorELNS0_4arch9wavefront6targetE1EEEvT1_
	.globl	_ZN7rocprim17ROCPRIM_400000_NS6detail17trampoline_kernelINS0_14default_configENS1_20scan_config_selectorIjEEZZNS1_9scan_implILNS1_25lookback_scan_determinismE0ELb1ELb1ES3_N6thrust23THRUST_200600_302600_NS6detail15normal_iteratorINS9_10device_ptrIjEEEESE_j11max_functorIjEjEEDaPvRmT3_T4_T5_mT6_P12ihipStream_tbENKUlT_T0_E_clISt17integral_constantIbLb1EESU_EEDaSP_SQ_EUlSP_E0_NS1_11comp_targetILNS1_3genE2ELNS1_11target_archE906ELNS1_3gpuE6ELNS1_3repE0EEENS1_30default_config_static_selectorELNS0_4arch9wavefront6targetE1EEEvT1_
	.p2align	8
	.type	_ZN7rocprim17ROCPRIM_400000_NS6detail17trampoline_kernelINS0_14default_configENS1_20scan_config_selectorIjEEZZNS1_9scan_implILNS1_25lookback_scan_determinismE0ELb1ELb1ES3_N6thrust23THRUST_200600_302600_NS6detail15normal_iteratorINS9_10device_ptrIjEEEESE_j11max_functorIjEjEEDaPvRmT3_T4_T5_mT6_P12ihipStream_tbENKUlT_T0_E_clISt17integral_constantIbLb1EESU_EEDaSP_SQ_EUlSP_E0_NS1_11comp_targetILNS1_3genE2ELNS1_11target_archE906ELNS1_3gpuE6ELNS1_3repE0EEENS1_30default_config_static_selectorELNS0_4arch9wavefront6targetE1EEEvT1_,@function
_ZN7rocprim17ROCPRIM_400000_NS6detail17trampoline_kernelINS0_14default_configENS1_20scan_config_selectorIjEEZZNS1_9scan_implILNS1_25lookback_scan_determinismE0ELb1ELb1ES3_N6thrust23THRUST_200600_302600_NS6detail15normal_iteratorINS9_10device_ptrIjEEEESE_j11max_functorIjEjEEDaPvRmT3_T4_T5_mT6_P12ihipStream_tbENKUlT_T0_E_clISt17integral_constantIbLb1EESU_EEDaSP_SQ_EUlSP_E0_NS1_11comp_targetILNS1_3genE2ELNS1_11target_archE906ELNS1_3gpuE6ELNS1_3repE0EEENS1_30default_config_static_selectorELNS0_4arch9wavefront6targetE1EEEvT1_: ; @_ZN7rocprim17ROCPRIM_400000_NS6detail17trampoline_kernelINS0_14default_configENS1_20scan_config_selectorIjEEZZNS1_9scan_implILNS1_25lookback_scan_determinismE0ELb1ELb1ES3_N6thrust23THRUST_200600_302600_NS6detail15normal_iteratorINS9_10device_ptrIjEEEESE_j11max_functorIjEjEEDaPvRmT3_T4_T5_mT6_P12ihipStream_tbENKUlT_T0_E_clISt17integral_constantIbLb1EESU_EEDaSP_SQ_EUlSP_E0_NS1_11comp_targetILNS1_3genE2ELNS1_11target_archE906ELNS1_3gpuE6ELNS1_3repE0EEENS1_30default_config_static_selectorELNS0_4arch9wavefront6targetE1EEEvT1_
; %bb.0:
	.section	.rodata,"a",@progbits
	.p2align	6, 0x0
	.amdhsa_kernel _ZN7rocprim17ROCPRIM_400000_NS6detail17trampoline_kernelINS0_14default_configENS1_20scan_config_selectorIjEEZZNS1_9scan_implILNS1_25lookback_scan_determinismE0ELb1ELb1ES3_N6thrust23THRUST_200600_302600_NS6detail15normal_iteratorINS9_10device_ptrIjEEEESE_j11max_functorIjEjEEDaPvRmT3_T4_T5_mT6_P12ihipStream_tbENKUlT_T0_E_clISt17integral_constantIbLb1EESU_EEDaSP_SQ_EUlSP_E0_NS1_11comp_targetILNS1_3genE2ELNS1_11target_archE906ELNS1_3gpuE6ELNS1_3repE0EEENS1_30default_config_static_selectorELNS0_4arch9wavefront6targetE1EEEvT1_
		.amdhsa_group_segment_fixed_size 0
		.amdhsa_private_segment_fixed_size 0
		.amdhsa_kernarg_size 32
		.amdhsa_user_sgpr_count 6
		.amdhsa_user_sgpr_private_segment_buffer 1
		.amdhsa_user_sgpr_dispatch_ptr 0
		.amdhsa_user_sgpr_queue_ptr 0
		.amdhsa_user_sgpr_kernarg_segment_ptr 1
		.amdhsa_user_sgpr_dispatch_id 0
		.amdhsa_user_sgpr_flat_scratch_init 0
		.amdhsa_user_sgpr_kernarg_preload_length 0
		.amdhsa_user_sgpr_kernarg_preload_offset 0
		.amdhsa_user_sgpr_private_segment_size 0
		.amdhsa_uses_dynamic_stack 0
		.amdhsa_system_sgpr_private_segment_wavefront_offset 0
		.amdhsa_system_sgpr_workgroup_id_x 1
		.amdhsa_system_sgpr_workgroup_id_y 0
		.amdhsa_system_sgpr_workgroup_id_z 0
		.amdhsa_system_sgpr_workgroup_info 0
		.amdhsa_system_vgpr_workitem_id 0
		.amdhsa_next_free_vgpr 1
		.amdhsa_next_free_sgpr 0
		.amdhsa_accum_offset 4
		.amdhsa_reserve_vcc 0
		.amdhsa_reserve_flat_scratch 0
		.amdhsa_float_round_mode_32 0
		.amdhsa_float_round_mode_16_64 0
		.amdhsa_float_denorm_mode_32 3
		.amdhsa_float_denorm_mode_16_64 3
		.amdhsa_dx10_clamp 1
		.amdhsa_ieee_mode 1
		.amdhsa_fp16_overflow 0
		.amdhsa_tg_split 0
		.amdhsa_exception_fp_ieee_invalid_op 0
		.amdhsa_exception_fp_denorm_src 0
		.amdhsa_exception_fp_ieee_div_zero 0
		.amdhsa_exception_fp_ieee_overflow 0
		.amdhsa_exception_fp_ieee_underflow 0
		.amdhsa_exception_fp_ieee_inexact 0
		.amdhsa_exception_int_div_zero 0
	.end_amdhsa_kernel
	.section	.text._ZN7rocprim17ROCPRIM_400000_NS6detail17trampoline_kernelINS0_14default_configENS1_20scan_config_selectorIjEEZZNS1_9scan_implILNS1_25lookback_scan_determinismE0ELb1ELb1ES3_N6thrust23THRUST_200600_302600_NS6detail15normal_iteratorINS9_10device_ptrIjEEEESE_j11max_functorIjEjEEDaPvRmT3_T4_T5_mT6_P12ihipStream_tbENKUlT_T0_E_clISt17integral_constantIbLb1EESU_EEDaSP_SQ_EUlSP_E0_NS1_11comp_targetILNS1_3genE2ELNS1_11target_archE906ELNS1_3gpuE6ELNS1_3repE0EEENS1_30default_config_static_selectorELNS0_4arch9wavefront6targetE1EEEvT1_,"axG",@progbits,_ZN7rocprim17ROCPRIM_400000_NS6detail17trampoline_kernelINS0_14default_configENS1_20scan_config_selectorIjEEZZNS1_9scan_implILNS1_25lookback_scan_determinismE0ELb1ELb1ES3_N6thrust23THRUST_200600_302600_NS6detail15normal_iteratorINS9_10device_ptrIjEEEESE_j11max_functorIjEjEEDaPvRmT3_T4_T5_mT6_P12ihipStream_tbENKUlT_T0_E_clISt17integral_constantIbLb1EESU_EEDaSP_SQ_EUlSP_E0_NS1_11comp_targetILNS1_3genE2ELNS1_11target_archE906ELNS1_3gpuE6ELNS1_3repE0EEENS1_30default_config_static_selectorELNS0_4arch9wavefront6targetE1EEEvT1_,comdat
.Lfunc_end2360:
	.size	_ZN7rocprim17ROCPRIM_400000_NS6detail17trampoline_kernelINS0_14default_configENS1_20scan_config_selectorIjEEZZNS1_9scan_implILNS1_25lookback_scan_determinismE0ELb1ELb1ES3_N6thrust23THRUST_200600_302600_NS6detail15normal_iteratorINS9_10device_ptrIjEEEESE_j11max_functorIjEjEEDaPvRmT3_T4_T5_mT6_P12ihipStream_tbENKUlT_T0_E_clISt17integral_constantIbLb1EESU_EEDaSP_SQ_EUlSP_E0_NS1_11comp_targetILNS1_3genE2ELNS1_11target_archE906ELNS1_3gpuE6ELNS1_3repE0EEENS1_30default_config_static_selectorELNS0_4arch9wavefront6targetE1EEEvT1_, .Lfunc_end2360-_ZN7rocprim17ROCPRIM_400000_NS6detail17trampoline_kernelINS0_14default_configENS1_20scan_config_selectorIjEEZZNS1_9scan_implILNS1_25lookback_scan_determinismE0ELb1ELb1ES3_N6thrust23THRUST_200600_302600_NS6detail15normal_iteratorINS9_10device_ptrIjEEEESE_j11max_functorIjEjEEDaPvRmT3_T4_T5_mT6_P12ihipStream_tbENKUlT_T0_E_clISt17integral_constantIbLb1EESU_EEDaSP_SQ_EUlSP_E0_NS1_11comp_targetILNS1_3genE2ELNS1_11target_archE906ELNS1_3gpuE6ELNS1_3repE0EEENS1_30default_config_static_selectorELNS0_4arch9wavefront6targetE1EEEvT1_
                                        ; -- End function
	.section	.AMDGPU.csdata,"",@progbits
; Kernel info:
; codeLenInByte = 0
; NumSgprs: 4
; NumVgprs: 0
; NumAgprs: 0
; TotalNumVgprs: 0
; ScratchSize: 0
; MemoryBound: 0
; FloatMode: 240
; IeeeMode: 1
; LDSByteSize: 0 bytes/workgroup (compile time only)
; SGPRBlocks: 0
; VGPRBlocks: 0
; NumSGPRsForWavesPerEU: 4
; NumVGPRsForWavesPerEU: 1
; AccumOffset: 4
; Occupancy: 8
; WaveLimiterHint : 0
; COMPUTE_PGM_RSRC2:SCRATCH_EN: 0
; COMPUTE_PGM_RSRC2:USER_SGPR: 6
; COMPUTE_PGM_RSRC2:TRAP_HANDLER: 0
; COMPUTE_PGM_RSRC2:TGID_X_EN: 1
; COMPUTE_PGM_RSRC2:TGID_Y_EN: 0
; COMPUTE_PGM_RSRC2:TGID_Z_EN: 0
; COMPUTE_PGM_RSRC2:TIDIG_COMP_CNT: 0
; COMPUTE_PGM_RSRC3_GFX90A:ACCUM_OFFSET: 0
; COMPUTE_PGM_RSRC3_GFX90A:TG_SPLIT: 0
	.section	.text._ZN7rocprim17ROCPRIM_400000_NS6detail17trampoline_kernelINS0_14default_configENS1_20scan_config_selectorIjEEZZNS1_9scan_implILNS1_25lookback_scan_determinismE0ELb1ELb1ES3_N6thrust23THRUST_200600_302600_NS6detail15normal_iteratorINS9_10device_ptrIjEEEESE_j11max_functorIjEjEEDaPvRmT3_T4_T5_mT6_P12ihipStream_tbENKUlT_T0_E_clISt17integral_constantIbLb1EESU_EEDaSP_SQ_EUlSP_E0_NS1_11comp_targetILNS1_3genE10ELNS1_11target_archE1201ELNS1_3gpuE5ELNS1_3repE0EEENS1_30default_config_static_selectorELNS0_4arch9wavefront6targetE1EEEvT1_,"axG",@progbits,_ZN7rocprim17ROCPRIM_400000_NS6detail17trampoline_kernelINS0_14default_configENS1_20scan_config_selectorIjEEZZNS1_9scan_implILNS1_25lookback_scan_determinismE0ELb1ELb1ES3_N6thrust23THRUST_200600_302600_NS6detail15normal_iteratorINS9_10device_ptrIjEEEESE_j11max_functorIjEjEEDaPvRmT3_T4_T5_mT6_P12ihipStream_tbENKUlT_T0_E_clISt17integral_constantIbLb1EESU_EEDaSP_SQ_EUlSP_E0_NS1_11comp_targetILNS1_3genE10ELNS1_11target_archE1201ELNS1_3gpuE5ELNS1_3repE0EEENS1_30default_config_static_selectorELNS0_4arch9wavefront6targetE1EEEvT1_,comdat
	.protected	_ZN7rocprim17ROCPRIM_400000_NS6detail17trampoline_kernelINS0_14default_configENS1_20scan_config_selectorIjEEZZNS1_9scan_implILNS1_25lookback_scan_determinismE0ELb1ELb1ES3_N6thrust23THRUST_200600_302600_NS6detail15normal_iteratorINS9_10device_ptrIjEEEESE_j11max_functorIjEjEEDaPvRmT3_T4_T5_mT6_P12ihipStream_tbENKUlT_T0_E_clISt17integral_constantIbLb1EESU_EEDaSP_SQ_EUlSP_E0_NS1_11comp_targetILNS1_3genE10ELNS1_11target_archE1201ELNS1_3gpuE5ELNS1_3repE0EEENS1_30default_config_static_selectorELNS0_4arch9wavefront6targetE1EEEvT1_ ; -- Begin function _ZN7rocprim17ROCPRIM_400000_NS6detail17trampoline_kernelINS0_14default_configENS1_20scan_config_selectorIjEEZZNS1_9scan_implILNS1_25lookback_scan_determinismE0ELb1ELb1ES3_N6thrust23THRUST_200600_302600_NS6detail15normal_iteratorINS9_10device_ptrIjEEEESE_j11max_functorIjEjEEDaPvRmT3_T4_T5_mT6_P12ihipStream_tbENKUlT_T0_E_clISt17integral_constantIbLb1EESU_EEDaSP_SQ_EUlSP_E0_NS1_11comp_targetILNS1_3genE10ELNS1_11target_archE1201ELNS1_3gpuE5ELNS1_3repE0EEENS1_30default_config_static_selectorELNS0_4arch9wavefront6targetE1EEEvT1_
	.globl	_ZN7rocprim17ROCPRIM_400000_NS6detail17trampoline_kernelINS0_14default_configENS1_20scan_config_selectorIjEEZZNS1_9scan_implILNS1_25lookback_scan_determinismE0ELb1ELb1ES3_N6thrust23THRUST_200600_302600_NS6detail15normal_iteratorINS9_10device_ptrIjEEEESE_j11max_functorIjEjEEDaPvRmT3_T4_T5_mT6_P12ihipStream_tbENKUlT_T0_E_clISt17integral_constantIbLb1EESU_EEDaSP_SQ_EUlSP_E0_NS1_11comp_targetILNS1_3genE10ELNS1_11target_archE1201ELNS1_3gpuE5ELNS1_3repE0EEENS1_30default_config_static_selectorELNS0_4arch9wavefront6targetE1EEEvT1_
	.p2align	8
	.type	_ZN7rocprim17ROCPRIM_400000_NS6detail17trampoline_kernelINS0_14default_configENS1_20scan_config_selectorIjEEZZNS1_9scan_implILNS1_25lookback_scan_determinismE0ELb1ELb1ES3_N6thrust23THRUST_200600_302600_NS6detail15normal_iteratorINS9_10device_ptrIjEEEESE_j11max_functorIjEjEEDaPvRmT3_T4_T5_mT6_P12ihipStream_tbENKUlT_T0_E_clISt17integral_constantIbLb1EESU_EEDaSP_SQ_EUlSP_E0_NS1_11comp_targetILNS1_3genE10ELNS1_11target_archE1201ELNS1_3gpuE5ELNS1_3repE0EEENS1_30default_config_static_selectorELNS0_4arch9wavefront6targetE1EEEvT1_,@function
_ZN7rocprim17ROCPRIM_400000_NS6detail17trampoline_kernelINS0_14default_configENS1_20scan_config_selectorIjEEZZNS1_9scan_implILNS1_25lookback_scan_determinismE0ELb1ELb1ES3_N6thrust23THRUST_200600_302600_NS6detail15normal_iteratorINS9_10device_ptrIjEEEESE_j11max_functorIjEjEEDaPvRmT3_T4_T5_mT6_P12ihipStream_tbENKUlT_T0_E_clISt17integral_constantIbLb1EESU_EEDaSP_SQ_EUlSP_E0_NS1_11comp_targetILNS1_3genE10ELNS1_11target_archE1201ELNS1_3gpuE5ELNS1_3repE0EEENS1_30default_config_static_selectorELNS0_4arch9wavefront6targetE1EEEvT1_: ; @_ZN7rocprim17ROCPRIM_400000_NS6detail17trampoline_kernelINS0_14default_configENS1_20scan_config_selectorIjEEZZNS1_9scan_implILNS1_25lookback_scan_determinismE0ELb1ELb1ES3_N6thrust23THRUST_200600_302600_NS6detail15normal_iteratorINS9_10device_ptrIjEEEESE_j11max_functorIjEjEEDaPvRmT3_T4_T5_mT6_P12ihipStream_tbENKUlT_T0_E_clISt17integral_constantIbLb1EESU_EEDaSP_SQ_EUlSP_E0_NS1_11comp_targetILNS1_3genE10ELNS1_11target_archE1201ELNS1_3gpuE5ELNS1_3repE0EEENS1_30default_config_static_selectorELNS0_4arch9wavefront6targetE1EEEvT1_
; %bb.0:
	.section	.rodata,"a",@progbits
	.p2align	6, 0x0
	.amdhsa_kernel _ZN7rocprim17ROCPRIM_400000_NS6detail17trampoline_kernelINS0_14default_configENS1_20scan_config_selectorIjEEZZNS1_9scan_implILNS1_25lookback_scan_determinismE0ELb1ELb1ES3_N6thrust23THRUST_200600_302600_NS6detail15normal_iteratorINS9_10device_ptrIjEEEESE_j11max_functorIjEjEEDaPvRmT3_T4_T5_mT6_P12ihipStream_tbENKUlT_T0_E_clISt17integral_constantIbLb1EESU_EEDaSP_SQ_EUlSP_E0_NS1_11comp_targetILNS1_3genE10ELNS1_11target_archE1201ELNS1_3gpuE5ELNS1_3repE0EEENS1_30default_config_static_selectorELNS0_4arch9wavefront6targetE1EEEvT1_
		.amdhsa_group_segment_fixed_size 0
		.amdhsa_private_segment_fixed_size 0
		.amdhsa_kernarg_size 32
		.amdhsa_user_sgpr_count 6
		.amdhsa_user_sgpr_private_segment_buffer 1
		.amdhsa_user_sgpr_dispatch_ptr 0
		.amdhsa_user_sgpr_queue_ptr 0
		.amdhsa_user_sgpr_kernarg_segment_ptr 1
		.amdhsa_user_sgpr_dispatch_id 0
		.amdhsa_user_sgpr_flat_scratch_init 0
		.amdhsa_user_sgpr_kernarg_preload_length 0
		.amdhsa_user_sgpr_kernarg_preload_offset 0
		.amdhsa_user_sgpr_private_segment_size 0
		.amdhsa_uses_dynamic_stack 0
		.amdhsa_system_sgpr_private_segment_wavefront_offset 0
		.amdhsa_system_sgpr_workgroup_id_x 1
		.amdhsa_system_sgpr_workgroup_id_y 0
		.amdhsa_system_sgpr_workgroup_id_z 0
		.amdhsa_system_sgpr_workgroup_info 0
		.amdhsa_system_vgpr_workitem_id 0
		.amdhsa_next_free_vgpr 1
		.amdhsa_next_free_sgpr 0
		.amdhsa_accum_offset 4
		.amdhsa_reserve_vcc 0
		.amdhsa_reserve_flat_scratch 0
		.amdhsa_float_round_mode_32 0
		.amdhsa_float_round_mode_16_64 0
		.amdhsa_float_denorm_mode_32 3
		.amdhsa_float_denorm_mode_16_64 3
		.amdhsa_dx10_clamp 1
		.amdhsa_ieee_mode 1
		.amdhsa_fp16_overflow 0
		.amdhsa_tg_split 0
		.amdhsa_exception_fp_ieee_invalid_op 0
		.amdhsa_exception_fp_denorm_src 0
		.amdhsa_exception_fp_ieee_div_zero 0
		.amdhsa_exception_fp_ieee_overflow 0
		.amdhsa_exception_fp_ieee_underflow 0
		.amdhsa_exception_fp_ieee_inexact 0
		.amdhsa_exception_int_div_zero 0
	.end_amdhsa_kernel
	.section	.text._ZN7rocprim17ROCPRIM_400000_NS6detail17trampoline_kernelINS0_14default_configENS1_20scan_config_selectorIjEEZZNS1_9scan_implILNS1_25lookback_scan_determinismE0ELb1ELb1ES3_N6thrust23THRUST_200600_302600_NS6detail15normal_iteratorINS9_10device_ptrIjEEEESE_j11max_functorIjEjEEDaPvRmT3_T4_T5_mT6_P12ihipStream_tbENKUlT_T0_E_clISt17integral_constantIbLb1EESU_EEDaSP_SQ_EUlSP_E0_NS1_11comp_targetILNS1_3genE10ELNS1_11target_archE1201ELNS1_3gpuE5ELNS1_3repE0EEENS1_30default_config_static_selectorELNS0_4arch9wavefront6targetE1EEEvT1_,"axG",@progbits,_ZN7rocprim17ROCPRIM_400000_NS6detail17trampoline_kernelINS0_14default_configENS1_20scan_config_selectorIjEEZZNS1_9scan_implILNS1_25lookback_scan_determinismE0ELb1ELb1ES3_N6thrust23THRUST_200600_302600_NS6detail15normal_iteratorINS9_10device_ptrIjEEEESE_j11max_functorIjEjEEDaPvRmT3_T4_T5_mT6_P12ihipStream_tbENKUlT_T0_E_clISt17integral_constantIbLb1EESU_EEDaSP_SQ_EUlSP_E0_NS1_11comp_targetILNS1_3genE10ELNS1_11target_archE1201ELNS1_3gpuE5ELNS1_3repE0EEENS1_30default_config_static_selectorELNS0_4arch9wavefront6targetE1EEEvT1_,comdat
.Lfunc_end2361:
	.size	_ZN7rocprim17ROCPRIM_400000_NS6detail17trampoline_kernelINS0_14default_configENS1_20scan_config_selectorIjEEZZNS1_9scan_implILNS1_25lookback_scan_determinismE0ELb1ELb1ES3_N6thrust23THRUST_200600_302600_NS6detail15normal_iteratorINS9_10device_ptrIjEEEESE_j11max_functorIjEjEEDaPvRmT3_T4_T5_mT6_P12ihipStream_tbENKUlT_T0_E_clISt17integral_constantIbLb1EESU_EEDaSP_SQ_EUlSP_E0_NS1_11comp_targetILNS1_3genE10ELNS1_11target_archE1201ELNS1_3gpuE5ELNS1_3repE0EEENS1_30default_config_static_selectorELNS0_4arch9wavefront6targetE1EEEvT1_, .Lfunc_end2361-_ZN7rocprim17ROCPRIM_400000_NS6detail17trampoline_kernelINS0_14default_configENS1_20scan_config_selectorIjEEZZNS1_9scan_implILNS1_25lookback_scan_determinismE0ELb1ELb1ES3_N6thrust23THRUST_200600_302600_NS6detail15normal_iteratorINS9_10device_ptrIjEEEESE_j11max_functorIjEjEEDaPvRmT3_T4_T5_mT6_P12ihipStream_tbENKUlT_T0_E_clISt17integral_constantIbLb1EESU_EEDaSP_SQ_EUlSP_E0_NS1_11comp_targetILNS1_3genE10ELNS1_11target_archE1201ELNS1_3gpuE5ELNS1_3repE0EEENS1_30default_config_static_selectorELNS0_4arch9wavefront6targetE1EEEvT1_
                                        ; -- End function
	.section	.AMDGPU.csdata,"",@progbits
; Kernel info:
; codeLenInByte = 0
; NumSgprs: 4
; NumVgprs: 0
; NumAgprs: 0
; TotalNumVgprs: 0
; ScratchSize: 0
; MemoryBound: 0
; FloatMode: 240
; IeeeMode: 1
; LDSByteSize: 0 bytes/workgroup (compile time only)
; SGPRBlocks: 0
; VGPRBlocks: 0
; NumSGPRsForWavesPerEU: 4
; NumVGPRsForWavesPerEU: 1
; AccumOffset: 4
; Occupancy: 8
; WaveLimiterHint : 0
; COMPUTE_PGM_RSRC2:SCRATCH_EN: 0
; COMPUTE_PGM_RSRC2:USER_SGPR: 6
; COMPUTE_PGM_RSRC2:TRAP_HANDLER: 0
; COMPUTE_PGM_RSRC2:TGID_X_EN: 1
; COMPUTE_PGM_RSRC2:TGID_Y_EN: 0
; COMPUTE_PGM_RSRC2:TGID_Z_EN: 0
; COMPUTE_PGM_RSRC2:TIDIG_COMP_CNT: 0
; COMPUTE_PGM_RSRC3_GFX90A:ACCUM_OFFSET: 0
; COMPUTE_PGM_RSRC3_GFX90A:TG_SPLIT: 0
	.section	.text._ZN7rocprim17ROCPRIM_400000_NS6detail17trampoline_kernelINS0_14default_configENS1_20scan_config_selectorIjEEZZNS1_9scan_implILNS1_25lookback_scan_determinismE0ELb1ELb1ES3_N6thrust23THRUST_200600_302600_NS6detail15normal_iteratorINS9_10device_ptrIjEEEESE_j11max_functorIjEjEEDaPvRmT3_T4_T5_mT6_P12ihipStream_tbENKUlT_T0_E_clISt17integral_constantIbLb1EESU_EEDaSP_SQ_EUlSP_E0_NS1_11comp_targetILNS1_3genE10ELNS1_11target_archE1200ELNS1_3gpuE4ELNS1_3repE0EEENS1_30default_config_static_selectorELNS0_4arch9wavefront6targetE1EEEvT1_,"axG",@progbits,_ZN7rocprim17ROCPRIM_400000_NS6detail17trampoline_kernelINS0_14default_configENS1_20scan_config_selectorIjEEZZNS1_9scan_implILNS1_25lookback_scan_determinismE0ELb1ELb1ES3_N6thrust23THRUST_200600_302600_NS6detail15normal_iteratorINS9_10device_ptrIjEEEESE_j11max_functorIjEjEEDaPvRmT3_T4_T5_mT6_P12ihipStream_tbENKUlT_T0_E_clISt17integral_constantIbLb1EESU_EEDaSP_SQ_EUlSP_E0_NS1_11comp_targetILNS1_3genE10ELNS1_11target_archE1200ELNS1_3gpuE4ELNS1_3repE0EEENS1_30default_config_static_selectorELNS0_4arch9wavefront6targetE1EEEvT1_,comdat
	.protected	_ZN7rocprim17ROCPRIM_400000_NS6detail17trampoline_kernelINS0_14default_configENS1_20scan_config_selectorIjEEZZNS1_9scan_implILNS1_25lookback_scan_determinismE0ELb1ELb1ES3_N6thrust23THRUST_200600_302600_NS6detail15normal_iteratorINS9_10device_ptrIjEEEESE_j11max_functorIjEjEEDaPvRmT3_T4_T5_mT6_P12ihipStream_tbENKUlT_T0_E_clISt17integral_constantIbLb1EESU_EEDaSP_SQ_EUlSP_E0_NS1_11comp_targetILNS1_3genE10ELNS1_11target_archE1200ELNS1_3gpuE4ELNS1_3repE0EEENS1_30default_config_static_selectorELNS0_4arch9wavefront6targetE1EEEvT1_ ; -- Begin function _ZN7rocprim17ROCPRIM_400000_NS6detail17trampoline_kernelINS0_14default_configENS1_20scan_config_selectorIjEEZZNS1_9scan_implILNS1_25lookback_scan_determinismE0ELb1ELb1ES3_N6thrust23THRUST_200600_302600_NS6detail15normal_iteratorINS9_10device_ptrIjEEEESE_j11max_functorIjEjEEDaPvRmT3_T4_T5_mT6_P12ihipStream_tbENKUlT_T0_E_clISt17integral_constantIbLb1EESU_EEDaSP_SQ_EUlSP_E0_NS1_11comp_targetILNS1_3genE10ELNS1_11target_archE1200ELNS1_3gpuE4ELNS1_3repE0EEENS1_30default_config_static_selectorELNS0_4arch9wavefront6targetE1EEEvT1_
	.globl	_ZN7rocprim17ROCPRIM_400000_NS6detail17trampoline_kernelINS0_14default_configENS1_20scan_config_selectorIjEEZZNS1_9scan_implILNS1_25lookback_scan_determinismE0ELb1ELb1ES3_N6thrust23THRUST_200600_302600_NS6detail15normal_iteratorINS9_10device_ptrIjEEEESE_j11max_functorIjEjEEDaPvRmT3_T4_T5_mT6_P12ihipStream_tbENKUlT_T0_E_clISt17integral_constantIbLb1EESU_EEDaSP_SQ_EUlSP_E0_NS1_11comp_targetILNS1_3genE10ELNS1_11target_archE1200ELNS1_3gpuE4ELNS1_3repE0EEENS1_30default_config_static_selectorELNS0_4arch9wavefront6targetE1EEEvT1_
	.p2align	8
	.type	_ZN7rocprim17ROCPRIM_400000_NS6detail17trampoline_kernelINS0_14default_configENS1_20scan_config_selectorIjEEZZNS1_9scan_implILNS1_25lookback_scan_determinismE0ELb1ELb1ES3_N6thrust23THRUST_200600_302600_NS6detail15normal_iteratorINS9_10device_ptrIjEEEESE_j11max_functorIjEjEEDaPvRmT3_T4_T5_mT6_P12ihipStream_tbENKUlT_T0_E_clISt17integral_constantIbLb1EESU_EEDaSP_SQ_EUlSP_E0_NS1_11comp_targetILNS1_3genE10ELNS1_11target_archE1200ELNS1_3gpuE4ELNS1_3repE0EEENS1_30default_config_static_selectorELNS0_4arch9wavefront6targetE1EEEvT1_,@function
_ZN7rocprim17ROCPRIM_400000_NS6detail17trampoline_kernelINS0_14default_configENS1_20scan_config_selectorIjEEZZNS1_9scan_implILNS1_25lookback_scan_determinismE0ELb1ELb1ES3_N6thrust23THRUST_200600_302600_NS6detail15normal_iteratorINS9_10device_ptrIjEEEESE_j11max_functorIjEjEEDaPvRmT3_T4_T5_mT6_P12ihipStream_tbENKUlT_T0_E_clISt17integral_constantIbLb1EESU_EEDaSP_SQ_EUlSP_E0_NS1_11comp_targetILNS1_3genE10ELNS1_11target_archE1200ELNS1_3gpuE4ELNS1_3repE0EEENS1_30default_config_static_selectorELNS0_4arch9wavefront6targetE1EEEvT1_: ; @_ZN7rocprim17ROCPRIM_400000_NS6detail17trampoline_kernelINS0_14default_configENS1_20scan_config_selectorIjEEZZNS1_9scan_implILNS1_25lookback_scan_determinismE0ELb1ELb1ES3_N6thrust23THRUST_200600_302600_NS6detail15normal_iteratorINS9_10device_ptrIjEEEESE_j11max_functorIjEjEEDaPvRmT3_T4_T5_mT6_P12ihipStream_tbENKUlT_T0_E_clISt17integral_constantIbLb1EESU_EEDaSP_SQ_EUlSP_E0_NS1_11comp_targetILNS1_3genE10ELNS1_11target_archE1200ELNS1_3gpuE4ELNS1_3repE0EEENS1_30default_config_static_selectorELNS0_4arch9wavefront6targetE1EEEvT1_
; %bb.0:
	.section	.rodata,"a",@progbits
	.p2align	6, 0x0
	.amdhsa_kernel _ZN7rocprim17ROCPRIM_400000_NS6detail17trampoline_kernelINS0_14default_configENS1_20scan_config_selectorIjEEZZNS1_9scan_implILNS1_25lookback_scan_determinismE0ELb1ELb1ES3_N6thrust23THRUST_200600_302600_NS6detail15normal_iteratorINS9_10device_ptrIjEEEESE_j11max_functorIjEjEEDaPvRmT3_T4_T5_mT6_P12ihipStream_tbENKUlT_T0_E_clISt17integral_constantIbLb1EESU_EEDaSP_SQ_EUlSP_E0_NS1_11comp_targetILNS1_3genE10ELNS1_11target_archE1200ELNS1_3gpuE4ELNS1_3repE0EEENS1_30default_config_static_selectorELNS0_4arch9wavefront6targetE1EEEvT1_
		.amdhsa_group_segment_fixed_size 0
		.amdhsa_private_segment_fixed_size 0
		.amdhsa_kernarg_size 32
		.amdhsa_user_sgpr_count 6
		.amdhsa_user_sgpr_private_segment_buffer 1
		.amdhsa_user_sgpr_dispatch_ptr 0
		.amdhsa_user_sgpr_queue_ptr 0
		.amdhsa_user_sgpr_kernarg_segment_ptr 1
		.amdhsa_user_sgpr_dispatch_id 0
		.amdhsa_user_sgpr_flat_scratch_init 0
		.amdhsa_user_sgpr_kernarg_preload_length 0
		.amdhsa_user_sgpr_kernarg_preload_offset 0
		.amdhsa_user_sgpr_private_segment_size 0
		.amdhsa_uses_dynamic_stack 0
		.amdhsa_system_sgpr_private_segment_wavefront_offset 0
		.amdhsa_system_sgpr_workgroup_id_x 1
		.amdhsa_system_sgpr_workgroup_id_y 0
		.amdhsa_system_sgpr_workgroup_id_z 0
		.amdhsa_system_sgpr_workgroup_info 0
		.amdhsa_system_vgpr_workitem_id 0
		.amdhsa_next_free_vgpr 1
		.amdhsa_next_free_sgpr 0
		.amdhsa_accum_offset 4
		.amdhsa_reserve_vcc 0
		.amdhsa_reserve_flat_scratch 0
		.amdhsa_float_round_mode_32 0
		.amdhsa_float_round_mode_16_64 0
		.amdhsa_float_denorm_mode_32 3
		.amdhsa_float_denorm_mode_16_64 3
		.amdhsa_dx10_clamp 1
		.amdhsa_ieee_mode 1
		.amdhsa_fp16_overflow 0
		.amdhsa_tg_split 0
		.amdhsa_exception_fp_ieee_invalid_op 0
		.amdhsa_exception_fp_denorm_src 0
		.amdhsa_exception_fp_ieee_div_zero 0
		.amdhsa_exception_fp_ieee_overflow 0
		.amdhsa_exception_fp_ieee_underflow 0
		.amdhsa_exception_fp_ieee_inexact 0
		.amdhsa_exception_int_div_zero 0
	.end_amdhsa_kernel
	.section	.text._ZN7rocprim17ROCPRIM_400000_NS6detail17trampoline_kernelINS0_14default_configENS1_20scan_config_selectorIjEEZZNS1_9scan_implILNS1_25lookback_scan_determinismE0ELb1ELb1ES3_N6thrust23THRUST_200600_302600_NS6detail15normal_iteratorINS9_10device_ptrIjEEEESE_j11max_functorIjEjEEDaPvRmT3_T4_T5_mT6_P12ihipStream_tbENKUlT_T0_E_clISt17integral_constantIbLb1EESU_EEDaSP_SQ_EUlSP_E0_NS1_11comp_targetILNS1_3genE10ELNS1_11target_archE1200ELNS1_3gpuE4ELNS1_3repE0EEENS1_30default_config_static_selectorELNS0_4arch9wavefront6targetE1EEEvT1_,"axG",@progbits,_ZN7rocprim17ROCPRIM_400000_NS6detail17trampoline_kernelINS0_14default_configENS1_20scan_config_selectorIjEEZZNS1_9scan_implILNS1_25lookback_scan_determinismE0ELb1ELb1ES3_N6thrust23THRUST_200600_302600_NS6detail15normal_iteratorINS9_10device_ptrIjEEEESE_j11max_functorIjEjEEDaPvRmT3_T4_T5_mT6_P12ihipStream_tbENKUlT_T0_E_clISt17integral_constantIbLb1EESU_EEDaSP_SQ_EUlSP_E0_NS1_11comp_targetILNS1_3genE10ELNS1_11target_archE1200ELNS1_3gpuE4ELNS1_3repE0EEENS1_30default_config_static_selectorELNS0_4arch9wavefront6targetE1EEEvT1_,comdat
.Lfunc_end2362:
	.size	_ZN7rocprim17ROCPRIM_400000_NS6detail17trampoline_kernelINS0_14default_configENS1_20scan_config_selectorIjEEZZNS1_9scan_implILNS1_25lookback_scan_determinismE0ELb1ELb1ES3_N6thrust23THRUST_200600_302600_NS6detail15normal_iteratorINS9_10device_ptrIjEEEESE_j11max_functorIjEjEEDaPvRmT3_T4_T5_mT6_P12ihipStream_tbENKUlT_T0_E_clISt17integral_constantIbLb1EESU_EEDaSP_SQ_EUlSP_E0_NS1_11comp_targetILNS1_3genE10ELNS1_11target_archE1200ELNS1_3gpuE4ELNS1_3repE0EEENS1_30default_config_static_selectorELNS0_4arch9wavefront6targetE1EEEvT1_, .Lfunc_end2362-_ZN7rocprim17ROCPRIM_400000_NS6detail17trampoline_kernelINS0_14default_configENS1_20scan_config_selectorIjEEZZNS1_9scan_implILNS1_25lookback_scan_determinismE0ELb1ELb1ES3_N6thrust23THRUST_200600_302600_NS6detail15normal_iteratorINS9_10device_ptrIjEEEESE_j11max_functorIjEjEEDaPvRmT3_T4_T5_mT6_P12ihipStream_tbENKUlT_T0_E_clISt17integral_constantIbLb1EESU_EEDaSP_SQ_EUlSP_E0_NS1_11comp_targetILNS1_3genE10ELNS1_11target_archE1200ELNS1_3gpuE4ELNS1_3repE0EEENS1_30default_config_static_selectorELNS0_4arch9wavefront6targetE1EEEvT1_
                                        ; -- End function
	.section	.AMDGPU.csdata,"",@progbits
; Kernel info:
; codeLenInByte = 0
; NumSgprs: 4
; NumVgprs: 0
; NumAgprs: 0
; TotalNumVgprs: 0
; ScratchSize: 0
; MemoryBound: 0
; FloatMode: 240
; IeeeMode: 1
; LDSByteSize: 0 bytes/workgroup (compile time only)
; SGPRBlocks: 0
; VGPRBlocks: 0
; NumSGPRsForWavesPerEU: 4
; NumVGPRsForWavesPerEU: 1
; AccumOffset: 4
; Occupancy: 8
; WaveLimiterHint : 0
; COMPUTE_PGM_RSRC2:SCRATCH_EN: 0
; COMPUTE_PGM_RSRC2:USER_SGPR: 6
; COMPUTE_PGM_RSRC2:TRAP_HANDLER: 0
; COMPUTE_PGM_RSRC2:TGID_X_EN: 1
; COMPUTE_PGM_RSRC2:TGID_Y_EN: 0
; COMPUTE_PGM_RSRC2:TGID_Z_EN: 0
; COMPUTE_PGM_RSRC2:TIDIG_COMP_CNT: 0
; COMPUTE_PGM_RSRC3_GFX90A:ACCUM_OFFSET: 0
; COMPUTE_PGM_RSRC3_GFX90A:TG_SPLIT: 0
	.section	.text._ZN7rocprim17ROCPRIM_400000_NS6detail17trampoline_kernelINS0_14default_configENS1_20scan_config_selectorIjEEZZNS1_9scan_implILNS1_25lookback_scan_determinismE0ELb1ELb1ES3_N6thrust23THRUST_200600_302600_NS6detail15normal_iteratorINS9_10device_ptrIjEEEESE_j11max_functorIjEjEEDaPvRmT3_T4_T5_mT6_P12ihipStream_tbENKUlT_T0_E_clISt17integral_constantIbLb1EESU_EEDaSP_SQ_EUlSP_E0_NS1_11comp_targetILNS1_3genE9ELNS1_11target_archE1100ELNS1_3gpuE3ELNS1_3repE0EEENS1_30default_config_static_selectorELNS0_4arch9wavefront6targetE1EEEvT1_,"axG",@progbits,_ZN7rocprim17ROCPRIM_400000_NS6detail17trampoline_kernelINS0_14default_configENS1_20scan_config_selectorIjEEZZNS1_9scan_implILNS1_25lookback_scan_determinismE0ELb1ELb1ES3_N6thrust23THRUST_200600_302600_NS6detail15normal_iteratorINS9_10device_ptrIjEEEESE_j11max_functorIjEjEEDaPvRmT3_T4_T5_mT6_P12ihipStream_tbENKUlT_T0_E_clISt17integral_constantIbLb1EESU_EEDaSP_SQ_EUlSP_E0_NS1_11comp_targetILNS1_3genE9ELNS1_11target_archE1100ELNS1_3gpuE3ELNS1_3repE0EEENS1_30default_config_static_selectorELNS0_4arch9wavefront6targetE1EEEvT1_,comdat
	.protected	_ZN7rocprim17ROCPRIM_400000_NS6detail17trampoline_kernelINS0_14default_configENS1_20scan_config_selectorIjEEZZNS1_9scan_implILNS1_25lookback_scan_determinismE0ELb1ELb1ES3_N6thrust23THRUST_200600_302600_NS6detail15normal_iteratorINS9_10device_ptrIjEEEESE_j11max_functorIjEjEEDaPvRmT3_T4_T5_mT6_P12ihipStream_tbENKUlT_T0_E_clISt17integral_constantIbLb1EESU_EEDaSP_SQ_EUlSP_E0_NS1_11comp_targetILNS1_3genE9ELNS1_11target_archE1100ELNS1_3gpuE3ELNS1_3repE0EEENS1_30default_config_static_selectorELNS0_4arch9wavefront6targetE1EEEvT1_ ; -- Begin function _ZN7rocprim17ROCPRIM_400000_NS6detail17trampoline_kernelINS0_14default_configENS1_20scan_config_selectorIjEEZZNS1_9scan_implILNS1_25lookback_scan_determinismE0ELb1ELb1ES3_N6thrust23THRUST_200600_302600_NS6detail15normal_iteratorINS9_10device_ptrIjEEEESE_j11max_functorIjEjEEDaPvRmT3_T4_T5_mT6_P12ihipStream_tbENKUlT_T0_E_clISt17integral_constantIbLb1EESU_EEDaSP_SQ_EUlSP_E0_NS1_11comp_targetILNS1_3genE9ELNS1_11target_archE1100ELNS1_3gpuE3ELNS1_3repE0EEENS1_30default_config_static_selectorELNS0_4arch9wavefront6targetE1EEEvT1_
	.globl	_ZN7rocprim17ROCPRIM_400000_NS6detail17trampoline_kernelINS0_14default_configENS1_20scan_config_selectorIjEEZZNS1_9scan_implILNS1_25lookback_scan_determinismE0ELb1ELb1ES3_N6thrust23THRUST_200600_302600_NS6detail15normal_iteratorINS9_10device_ptrIjEEEESE_j11max_functorIjEjEEDaPvRmT3_T4_T5_mT6_P12ihipStream_tbENKUlT_T0_E_clISt17integral_constantIbLb1EESU_EEDaSP_SQ_EUlSP_E0_NS1_11comp_targetILNS1_3genE9ELNS1_11target_archE1100ELNS1_3gpuE3ELNS1_3repE0EEENS1_30default_config_static_selectorELNS0_4arch9wavefront6targetE1EEEvT1_
	.p2align	8
	.type	_ZN7rocprim17ROCPRIM_400000_NS6detail17trampoline_kernelINS0_14default_configENS1_20scan_config_selectorIjEEZZNS1_9scan_implILNS1_25lookback_scan_determinismE0ELb1ELb1ES3_N6thrust23THRUST_200600_302600_NS6detail15normal_iteratorINS9_10device_ptrIjEEEESE_j11max_functorIjEjEEDaPvRmT3_T4_T5_mT6_P12ihipStream_tbENKUlT_T0_E_clISt17integral_constantIbLb1EESU_EEDaSP_SQ_EUlSP_E0_NS1_11comp_targetILNS1_3genE9ELNS1_11target_archE1100ELNS1_3gpuE3ELNS1_3repE0EEENS1_30default_config_static_selectorELNS0_4arch9wavefront6targetE1EEEvT1_,@function
_ZN7rocprim17ROCPRIM_400000_NS6detail17trampoline_kernelINS0_14default_configENS1_20scan_config_selectorIjEEZZNS1_9scan_implILNS1_25lookback_scan_determinismE0ELb1ELb1ES3_N6thrust23THRUST_200600_302600_NS6detail15normal_iteratorINS9_10device_ptrIjEEEESE_j11max_functorIjEjEEDaPvRmT3_T4_T5_mT6_P12ihipStream_tbENKUlT_T0_E_clISt17integral_constantIbLb1EESU_EEDaSP_SQ_EUlSP_E0_NS1_11comp_targetILNS1_3genE9ELNS1_11target_archE1100ELNS1_3gpuE3ELNS1_3repE0EEENS1_30default_config_static_selectorELNS0_4arch9wavefront6targetE1EEEvT1_: ; @_ZN7rocprim17ROCPRIM_400000_NS6detail17trampoline_kernelINS0_14default_configENS1_20scan_config_selectorIjEEZZNS1_9scan_implILNS1_25lookback_scan_determinismE0ELb1ELb1ES3_N6thrust23THRUST_200600_302600_NS6detail15normal_iteratorINS9_10device_ptrIjEEEESE_j11max_functorIjEjEEDaPvRmT3_T4_T5_mT6_P12ihipStream_tbENKUlT_T0_E_clISt17integral_constantIbLb1EESU_EEDaSP_SQ_EUlSP_E0_NS1_11comp_targetILNS1_3genE9ELNS1_11target_archE1100ELNS1_3gpuE3ELNS1_3repE0EEENS1_30default_config_static_selectorELNS0_4arch9wavefront6targetE1EEEvT1_
; %bb.0:
	.section	.rodata,"a",@progbits
	.p2align	6, 0x0
	.amdhsa_kernel _ZN7rocprim17ROCPRIM_400000_NS6detail17trampoline_kernelINS0_14default_configENS1_20scan_config_selectorIjEEZZNS1_9scan_implILNS1_25lookback_scan_determinismE0ELb1ELb1ES3_N6thrust23THRUST_200600_302600_NS6detail15normal_iteratorINS9_10device_ptrIjEEEESE_j11max_functorIjEjEEDaPvRmT3_T4_T5_mT6_P12ihipStream_tbENKUlT_T0_E_clISt17integral_constantIbLb1EESU_EEDaSP_SQ_EUlSP_E0_NS1_11comp_targetILNS1_3genE9ELNS1_11target_archE1100ELNS1_3gpuE3ELNS1_3repE0EEENS1_30default_config_static_selectorELNS0_4arch9wavefront6targetE1EEEvT1_
		.amdhsa_group_segment_fixed_size 0
		.amdhsa_private_segment_fixed_size 0
		.amdhsa_kernarg_size 32
		.amdhsa_user_sgpr_count 6
		.amdhsa_user_sgpr_private_segment_buffer 1
		.amdhsa_user_sgpr_dispatch_ptr 0
		.amdhsa_user_sgpr_queue_ptr 0
		.amdhsa_user_sgpr_kernarg_segment_ptr 1
		.amdhsa_user_sgpr_dispatch_id 0
		.amdhsa_user_sgpr_flat_scratch_init 0
		.amdhsa_user_sgpr_kernarg_preload_length 0
		.amdhsa_user_sgpr_kernarg_preload_offset 0
		.amdhsa_user_sgpr_private_segment_size 0
		.amdhsa_uses_dynamic_stack 0
		.amdhsa_system_sgpr_private_segment_wavefront_offset 0
		.amdhsa_system_sgpr_workgroup_id_x 1
		.amdhsa_system_sgpr_workgroup_id_y 0
		.amdhsa_system_sgpr_workgroup_id_z 0
		.amdhsa_system_sgpr_workgroup_info 0
		.amdhsa_system_vgpr_workitem_id 0
		.amdhsa_next_free_vgpr 1
		.amdhsa_next_free_sgpr 0
		.amdhsa_accum_offset 4
		.amdhsa_reserve_vcc 0
		.amdhsa_reserve_flat_scratch 0
		.amdhsa_float_round_mode_32 0
		.amdhsa_float_round_mode_16_64 0
		.amdhsa_float_denorm_mode_32 3
		.amdhsa_float_denorm_mode_16_64 3
		.amdhsa_dx10_clamp 1
		.amdhsa_ieee_mode 1
		.amdhsa_fp16_overflow 0
		.amdhsa_tg_split 0
		.amdhsa_exception_fp_ieee_invalid_op 0
		.amdhsa_exception_fp_denorm_src 0
		.amdhsa_exception_fp_ieee_div_zero 0
		.amdhsa_exception_fp_ieee_overflow 0
		.amdhsa_exception_fp_ieee_underflow 0
		.amdhsa_exception_fp_ieee_inexact 0
		.amdhsa_exception_int_div_zero 0
	.end_amdhsa_kernel
	.section	.text._ZN7rocprim17ROCPRIM_400000_NS6detail17trampoline_kernelINS0_14default_configENS1_20scan_config_selectorIjEEZZNS1_9scan_implILNS1_25lookback_scan_determinismE0ELb1ELb1ES3_N6thrust23THRUST_200600_302600_NS6detail15normal_iteratorINS9_10device_ptrIjEEEESE_j11max_functorIjEjEEDaPvRmT3_T4_T5_mT6_P12ihipStream_tbENKUlT_T0_E_clISt17integral_constantIbLb1EESU_EEDaSP_SQ_EUlSP_E0_NS1_11comp_targetILNS1_3genE9ELNS1_11target_archE1100ELNS1_3gpuE3ELNS1_3repE0EEENS1_30default_config_static_selectorELNS0_4arch9wavefront6targetE1EEEvT1_,"axG",@progbits,_ZN7rocprim17ROCPRIM_400000_NS6detail17trampoline_kernelINS0_14default_configENS1_20scan_config_selectorIjEEZZNS1_9scan_implILNS1_25lookback_scan_determinismE0ELb1ELb1ES3_N6thrust23THRUST_200600_302600_NS6detail15normal_iteratorINS9_10device_ptrIjEEEESE_j11max_functorIjEjEEDaPvRmT3_T4_T5_mT6_P12ihipStream_tbENKUlT_T0_E_clISt17integral_constantIbLb1EESU_EEDaSP_SQ_EUlSP_E0_NS1_11comp_targetILNS1_3genE9ELNS1_11target_archE1100ELNS1_3gpuE3ELNS1_3repE0EEENS1_30default_config_static_selectorELNS0_4arch9wavefront6targetE1EEEvT1_,comdat
.Lfunc_end2363:
	.size	_ZN7rocprim17ROCPRIM_400000_NS6detail17trampoline_kernelINS0_14default_configENS1_20scan_config_selectorIjEEZZNS1_9scan_implILNS1_25lookback_scan_determinismE0ELb1ELb1ES3_N6thrust23THRUST_200600_302600_NS6detail15normal_iteratorINS9_10device_ptrIjEEEESE_j11max_functorIjEjEEDaPvRmT3_T4_T5_mT6_P12ihipStream_tbENKUlT_T0_E_clISt17integral_constantIbLb1EESU_EEDaSP_SQ_EUlSP_E0_NS1_11comp_targetILNS1_3genE9ELNS1_11target_archE1100ELNS1_3gpuE3ELNS1_3repE0EEENS1_30default_config_static_selectorELNS0_4arch9wavefront6targetE1EEEvT1_, .Lfunc_end2363-_ZN7rocprim17ROCPRIM_400000_NS6detail17trampoline_kernelINS0_14default_configENS1_20scan_config_selectorIjEEZZNS1_9scan_implILNS1_25lookback_scan_determinismE0ELb1ELb1ES3_N6thrust23THRUST_200600_302600_NS6detail15normal_iteratorINS9_10device_ptrIjEEEESE_j11max_functorIjEjEEDaPvRmT3_T4_T5_mT6_P12ihipStream_tbENKUlT_T0_E_clISt17integral_constantIbLb1EESU_EEDaSP_SQ_EUlSP_E0_NS1_11comp_targetILNS1_3genE9ELNS1_11target_archE1100ELNS1_3gpuE3ELNS1_3repE0EEENS1_30default_config_static_selectorELNS0_4arch9wavefront6targetE1EEEvT1_
                                        ; -- End function
	.section	.AMDGPU.csdata,"",@progbits
; Kernel info:
; codeLenInByte = 0
; NumSgprs: 4
; NumVgprs: 0
; NumAgprs: 0
; TotalNumVgprs: 0
; ScratchSize: 0
; MemoryBound: 0
; FloatMode: 240
; IeeeMode: 1
; LDSByteSize: 0 bytes/workgroup (compile time only)
; SGPRBlocks: 0
; VGPRBlocks: 0
; NumSGPRsForWavesPerEU: 4
; NumVGPRsForWavesPerEU: 1
; AccumOffset: 4
; Occupancy: 8
; WaveLimiterHint : 0
; COMPUTE_PGM_RSRC2:SCRATCH_EN: 0
; COMPUTE_PGM_RSRC2:USER_SGPR: 6
; COMPUTE_PGM_RSRC2:TRAP_HANDLER: 0
; COMPUTE_PGM_RSRC2:TGID_X_EN: 1
; COMPUTE_PGM_RSRC2:TGID_Y_EN: 0
; COMPUTE_PGM_RSRC2:TGID_Z_EN: 0
; COMPUTE_PGM_RSRC2:TIDIG_COMP_CNT: 0
; COMPUTE_PGM_RSRC3_GFX90A:ACCUM_OFFSET: 0
; COMPUTE_PGM_RSRC3_GFX90A:TG_SPLIT: 0
	.section	.text._ZN7rocprim17ROCPRIM_400000_NS6detail17trampoline_kernelINS0_14default_configENS1_20scan_config_selectorIjEEZZNS1_9scan_implILNS1_25lookback_scan_determinismE0ELb1ELb1ES3_N6thrust23THRUST_200600_302600_NS6detail15normal_iteratorINS9_10device_ptrIjEEEESE_j11max_functorIjEjEEDaPvRmT3_T4_T5_mT6_P12ihipStream_tbENKUlT_T0_E_clISt17integral_constantIbLb1EESU_EEDaSP_SQ_EUlSP_E0_NS1_11comp_targetILNS1_3genE8ELNS1_11target_archE1030ELNS1_3gpuE2ELNS1_3repE0EEENS1_30default_config_static_selectorELNS0_4arch9wavefront6targetE1EEEvT1_,"axG",@progbits,_ZN7rocprim17ROCPRIM_400000_NS6detail17trampoline_kernelINS0_14default_configENS1_20scan_config_selectorIjEEZZNS1_9scan_implILNS1_25lookback_scan_determinismE0ELb1ELb1ES3_N6thrust23THRUST_200600_302600_NS6detail15normal_iteratorINS9_10device_ptrIjEEEESE_j11max_functorIjEjEEDaPvRmT3_T4_T5_mT6_P12ihipStream_tbENKUlT_T0_E_clISt17integral_constantIbLb1EESU_EEDaSP_SQ_EUlSP_E0_NS1_11comp_targetILNS1_3genE8ELNS1_11target_archE1030ELNS1_3gpuE2ELNS1_3repE0EEENS1_30default_config_static_selectorELNS0_4arch9wavefront6targetE1EEEvT1_,comdat
	.protected	_ZN7rocprim17ROCPRIM_400000_NS6detail17trampoline_kernelINS0_14default_configENS1_20scan_config_selectorIjEEZZNS1_9scan_implILNS1_25lookback_scan_determinismE0ELb1ELb1ES3_N6thrust23THRUST_200600_302600_NS6detail15normal_iteratorINS9_10device_ptrIjEEEESE_j11max_functorIjEjEEDaPvRmT3_T4_T5_mT6_P12ihipStream_tbENKUlT_T0_E_clISt17integral_constantIbLb1EESU_EEDaSP_SQ_EUlSP_E0_NS1_11comp_targetILNS1_3genE8ELNS1_11target_archE1030ELNS1_3gpuE2ELNS1_3repE0EEENS1_30default_config_static_selectorELNS0_4arch9wavefront6targetE1EEEvT1_ ; -- Begin function _ZN7rocprim17ROCPRIM_400000_NS6detail17trampoline_kernelINS0_14default_configENS1_20scan_config_selectorIjEEZZNS1_9scan_implILNS1_25lookback_scan_determinismE0ELb1ELb1ES3_N6thrust23THRUST_200600_302600_NS6detail15normal_iteratorINS9_10device_ptrIjEEEESE_j11max_functorIjEjEEDaPvRmT3_T4_T5_mT6_P12ihipStream_tbENKUlT_T0_E_clISt17integral_constantIbLb1EESU_EEDaSP_SQ_EUlSP_E0_NS1_11comp_targetILNS1_3genE8ELNS1_11target_archE1030ELNS1_3gpuE2ELNS1_3repE0EEENS1_30default_config_static_selectorELNS0_4arch9wavefront6targetE1EEEvT1_
	.globl	_ZN7rocprim17ROCPRIM_400000_NS6detail17trampoline_kernelINS0_14default_configENS1_20scan_config_selectorIjEEZZNS1_9scan_implILNS1_25lookback_scan_determinismE0ELb1ELb1ES3_N6thrust23THRUST_200600_302600_NS6detail15normal_iteratorINS9_10device_ptrIjEEEESE_j11max_functorIjEjEEDaPvRmT3_T4_T5_mT6_P12ihipStream_tbENKUlT_T0_E_clISt17integral_constantIbLb1EESU_EEDaSP_SQ_EUlSP_E0_NS1_11comp_targetILNS1_3genE8ELNS1_11target_archE1030ELNS1_3gpuE2ELNS1_3repE0EEENS1_30default_config_static_selectorELNS0_4arch9wavefront6targetE1EEEvT1_
	.p2align	8
	.type	_ZN7rocprim17ROCPRIM_400000_NS6detail17trampoline_kernelINS0_14default_configENS1_20scan_config_selectorIjEEZZNS1_9scan_implILNS1_25lookback_scan_determinismE0ELb1ELb1ES3_N6thrust23THRUST_200600_302600_NS6detail15normal_iteratorINS9_10device_ptrIjEEEESE_j11max_functorIjEjEEDaPvRmT3_T4_T5_mT6_P12ihipStream_tbENKUlT_T0_E_clISt17integral_constantIbLb1EESU_EEDaSP_SQ_EUlSP_E0_NS1_11comp_targetILNS1_3genE8ELNS1_11target_archE1030ELNS1_3gpuE2ELNS1_3repE0EEENS1_30default_config_static_selectorELNS0_4arch9wavefront6targetE1EEEvT1_,@function
_ZN7rocprim17ROCPRIM_400000_NS6detail17trampoline_kernelINS0_14default_configENS1_20scan_config_selectorIjEEZZNS1_9scan_implILNS1_25lookback_scan_determinismE0ELb1ELb1ES3_N6thrust23THRUST_200600_302600_NS6detail15normal_iteratorINS9_10device_ptrIjEEEESE_j11max_functorIjEjEEDaPvRmT3_T4_T5_mT6_P12ihipStream_tbENKUlT_T0_E_clISt17integral_constantIbLb1EESU_EEDaSP_SQ_EUlSP_E0_NS1_11comp_targetILNS1_3genE8ELNS1_11target_archE1030ELNS1_3gpuE2ELNS1_3repE0EEENS1_30default_config_static_selectorELNS0_4arch9wavefront6targetE1EEEvT1_: ; @_ZN7rocprim17ROCPRIM_400000_NS6detail17trampoline_kernelINS0_14default_configENS1_20scan_config_selectorIjEEZZNS1_9scan_implILNS1_25lookback_scan_determinismE0ELb1ELb1ES3_N6thrust23THRUST_200600_302600_NS6detail15normal_iteratorINS9_10device_ptrIjEEEESE_j11max_functorIjEjEEDaPvRmT3_T4_T5_mT6_P12ihipStream_tbENKUlT_T0_E_clISt17integral_constantIbLb1EESU_EEDaSP_SQ_EUlSP_E0_NS1_11comp_targetILNS1_3genE8ELNS1_11target_archE1030ELNS1_3gpuE2ELNS1_3repE0EEENS1_30default_config_static_selectorELNS0_4arch9wavefront6targetE1EEEvT1_
; %bb.0:
	.section	.rodata,"a",@progbits
	.p2align	6, 0x0
	.amdhsa_kernel _ZN7rocprim17ROCPRIM_400000_NS6detail17trampoline_kernelINS0_14default_configENS1_20scan_config_selectorIjEEZZNS1_9scan_implILNS1_25lookback_scan_determinismE0ELb1ELb1ES3_N6thrust23THRUST_200600_302600_NS6detail15normal_iteratorINS9_10device_ptrIjEEEESE_j11max_functorIjEjEEDaPvRmT3_T4_T5_mT6_P12ihipStream_tbENKUlT_T0_E_clISt17integral_constantIbLb1EESU_EEDaSP_SQ_EUlSP_E0_NS1_11comp_targetILNS1_3genE8ELNS1_11target_archE1030ELNS1_3gpuE2ELNS1_3repE0EEENS1_30default_config_static_selectorELNS0_4arch9wavefront6targetE1EEEvT1_
		.amdhsa_group_segment_fixed_size 0
		.amdhsa_private_segment_fixed_size 0
		.amdhsa_kernarg_size 32
		.amdhsa_user_sgpr_count 6
		.amdhsa_user_sgpr_private_segment_buffer 1
		.amdhsa_user_sgpr_dispatch_ptr 0
		.amdhsa_user_sgpr_queue_ptr 0
		.amdhsa_user_sgpr_kernarg_segment_ptr 1
		.amdhsa_user_sgpr_dispatch_id 0
		.amdhsa_user_sgpr_flat_scratch_init 0
		.amdhsa_user_sgpr_kernarg_preload_length 0
		.amdhsa_user_sgpr_kernarg_preload_offset 0
		.amdhsa_user_sgpr_private_segment_size 0
		.amdhsa_uses_dynamic_stack 0
		.amdhsa_system_sgpr_private_segment_wavefront_offset 0
		.amdhsa_system_sgpr_workgroup_id_x 1
		.amdhsa_system_sgpr_workgroup_id_y 0
		.amdhsa_system_sgpr_workgroup_id_z 0
		.amdhsa_system_sgpr_workgroup_info 0
		.amdhsa_system_vgpr_workitem_id 0
		.amdhsa_next_free_vgpr 1
		.amdhsa_next_free_sgpr 0
		.amdhsa_accum_offset 4
		.amdhsa_reserve_vcc 0
		.amdhsa_reserve_flat_scratch 0
		.amdhsa_float_round_mode_32 0
		.amdhsa_float_round_mode_16_64 0
		.amdhsa_float_denorm_mode_32 3
		.amdhsa_float_denorm_mode_16_64 3
		.amdhsa_dx10_clamp 1
		.amdhsa_ieee_mode 1
		.amdhsa_fp16_overflow 0
		.amdhsa_tg_split 0
		.amdhsa_exception_fp_ieee_invalid_op 0
		.amdhsa_exception_fp_denorm_src 0
		.amdhsa_exception_fp_ieee_div_zero 0
		.amdhsa_exception_fp_ieee_overflow 0
		.amdhsa_exception_fp_ieee_underflow 0
		.amdhsa_exception_fp_ieee_inexact 0
		.amdhsa_exception_int_div_zero 0
	.end_amdhsa_kernel
	.section	.text._ZN7rocprim17ROCPRIM_400000_NS6detail17trampoline_kernelINS0_14default_configENS1_20scan_config_selectorIjEEZZNS1_9scan_implILNS1_25lookback_scan_determinismE0ELb1ELb1ES3_N6thrust23THRUST_200600_302600_NS6detail15normal_iteratorINS9_10device_ptrIjEEEESE_j11max_functorIjEjEEDaPvRmT3_T4_T5_mT6_P12ihipStream_tbENKUlT_T0_E_clISt17integral_constantIbLb1EESU_EEDaSP_SQ_EUlSP_E0_NS1_11comp_targetILNS1_3genE8ELNS1_11target_archE1030ELNS1_3gpuE2ELNS1_3repE0EEENS1_30default_config_static_selectorELNS0_4arch9wavefront6targetE1EEEvT1_,"axG",@progbits,_ZN7rocprim17ROCPRIM_400000_NS6detail17trampoline_kernelINS0_14default_configENS1_20scan_config_selectorIjEEZZNS1_9scan_implILNS1_25lookback_scan_determinismE0ELb1ELb1ES3_N6thrust23THRUST_200600_302600_NS6detail15normal_iteratorINS9_10device_ptrIjEEEESE_j11max_functorIjEjEEDaPvRmT3_T4_T5_mT6_P12ihipStream_tbENKUlT_T0_E_clISt17integral_constantIbLb1EESU_EEDaSP_SQ_EUlSP_E0_NS1_11comp_targetILNS1_3genE8ELNS1_11target_archE1030ELNS1_3gpuE2ELNS1_3repE0EEENS1_30default_config_static_selectorELNS0_4arch9wavefront6targetE1EEEvT1_,comdat
.Lfunc_end2364:
	.size	_ZN7rocprim17ROCPRIM_400000_NS6detail17trampoline_kernelINS0_14default_configENS1_20scan_config_selectorIjEEZZNS1_9scan_implILNS1_25lookback_scan_determinismE0ELb1ELb1ES3_N6thrust23THRUST_200600_302600_NS6detail15normal_iteratorINS9_10device_ptrIjEEEESE_j11max_functorIjEjEEDaPvRmT3_T4_T5_mT6_P12ihipStream_tbENKUlT_T0_E_clISt17integral_constantIbLb1EESU_EEDaSP_SQ_EUlSP_E0_NS1_11comp_targetILNS1_3genE8ELNS1_11target_archE1030ELNS1_3gpuE2ELNS1_3repE0EEENS1_30default_config_static_selectorELNS0_4arch9wavefront6targetE1EEEvT1_, .Lfunc_end2364-_ZN7rocprim17ROCPRIM_400000_NS6detail17trampoline_kernelINS0_14default_configENS1_20scan_config_selectorIjEEZZNS1_9scan_implILNS1_25lookback_scan_determinismE0ELb1ELb1ES3_N6thrust23THRUST_200600_302600_NS6detail15normal_iteratorINS9_10device_ptrIjEEEESE_j11max_functorIjEjEEDaPvRmT3_T4_T5_mT6_P12ihipStream_tbENKUlT_T0_E_clISt17integral_constantIbLb1EESU_EEDaSP_SQ_EUlSP_E0_NS1_11comp_targetILNS1_3genE8ELNS1_11target_archE1030ELNS1_3gpuE2ELNS1_3repE0EEENS1_30default_config_static_selectorELNS0_4arch9wavefront6targetE1EEEvT1_
                                        ; -- End function
	.section	.AMDGPU.csdata,"",@progbits
; Kernel info:
; codeLenInByte = 0
; NumSgprs: 4
; NumVgprs: 0
; NumAgprs: 0
; TotalNumVgprs: 0
; ScratchSize: 0
; MemoryBound: 0
; FloatMode: 240
; IeeeMode: 1
; LDSByteSize: 0 bytes/workgroup (compile time only)
; SGPRBlocks: 0
; VGPRBlocks: 0
; NumSGPRsForWavesPerEU: 4
; NumVGPRsForWavesPerEU: 1
; AccumOffset: 4
; Occupancy: 8
; WaveLimiterHint : 0
; COMPUTE_PGM_RSRC2:SCRATCH_EN: 0
; COMPUTE_PGM_RSRC2:USER_SGPR: 6
; COMPUTE_PGM_RSRC2:TRAP_HANDLER: 0
; COMPUTE_PGM_RSRC2:TGID_X_EN: 1
; COMPUTE_PGM_RSRC2:TGID_Y_EN: 0
; COMPUTE_PGM_RSRC2:TGID_Z_EN: 0
; COMPUTE_PGM_RSRC2:TIDIG_COMP_CNT: 0
; COMPUTE_PGM_RSRC3_GFX90A:ACCUM_OFFSET: 0
; COMPUTE_PGM_RSRC3_GFX90A:TG_SPLIT: 0
	.section	.text._ZN7rocprim17ROCPRIM_400000_NS6detail17trampoline_kernelINS0_14default_configENS1_20scan_config_selectorIjEEZZNS1_9scan_implILNS1_25lookback_scan_determinismE0ELb1ELb1ES3_N6thrust23THRUST_200600_302600_NS6detail15normal_iteratorINS9_10device_ptrIjEEEESE_j11max_functorIjEjEEDaPvRmT3_T4_T5_mT6_P12ihipStream_tbENKUlT_T0_E_clISt17integral_constantIbLb1EEST_IbLb0EEEEDaSP_SQ_EUlSP_E_NS1_11comp_targetILNS1_3genE0ELNS1_11target_archE4294967295ELNS1_3gpuE0ELNS1_3repE0EEENS1_30default_config_static_selectorELNS0_4arch9wavefront6targetE1EEEvT1_,"axG",@progbits,_ZN7rocprim17ROCPRIM_400000_NS6detail17trampoline_kernelINS0_14default_configENS1_20scan_config_selectorIjEEZZNS1_9scan_implILNS1_25lookback_scan_determinismE0ELb1ELb1ES3_N6thrust23THRUST_200600_302600_NS6detail15normal_iteratorINS9_10device_ptrIjEEEESE_j11max_functorIjEjEEDaPvRmT3_T4_T5_mT6_P12ihipStream_tbENKUlT_T0_E_clISt17integral_constantIbLb1EEST_IbLb0EEEEDaSP_SQ_EUlSP_E_NS1_11comp_targetILNS1_3genE0ELNS1_11target_archE4294967295ELNS1_3gpuE0ELNS1_3repE0EEENS1_30default_config_static_selectorELNS0_4arch9wavefront6targetE1EEEvT1_,comdat
	.protected	_ZN7rocprim17ROCPRIM_400000_NS6detail17trampoline_kernelINS0_14default_configENS1_20scan_config_selectorIjEEZZNS1_9scan_implILNS1_25lookback_scan_determinismE0ELb1ELb1ES3_N6thrust23THRUST_200600_302600_NS6detail15normal_iteratorINS9_10device_ptrIjEEEESE_j11max_functorIjEjEEDaPvRmT3_T4_T5_mT6_P12ihipStream_tbENKUlT_T0_E_clISt17integral_constantIbLb1EEST_IbLb0EEEEDaSP_SQ_EUlSP_E_NS1_11comp_targetILNS1_3genE0ELNS1_11target_archE4294967295ELNS1_3gpuE0ELNS1_3repE0EEENS1_30default_config_static_selectorELNS0_4arch9wavefront6targetE1EEEvT1_ ; -- Begin function _ZN7rocprim17ROCPRIM_400000_NS6detail17trampoline_kernelINS0_14default_configENS1_20scan_config_selectorIjEEZZNS1_9scan_implILNS1_25lookback_scan_determinismE0ELb1ELb1ES3_N6thrust23THRUST_200600_302600_NS6detail15normal_iteratorINS9_10device_ptrIjEEEESE_j11max_functorIjEjEEDaPvRmT3_T4_T5_mT6_P12ihipStream_tbENKUlT_T0_E_clISt17integral_constantIbLb1EEST_IbLb0EEEEDaSP_SQ_EUlSP_E_NS1_11comp_targetILNS1_3genE0ELNS1_11target_archE4294967295ELNS1_3gpuE0ELNS1_3repE0EEENS1_30default_config_static_selectorELNS0_4arch9wavefront6targetE1EEEvT1_
	.globl	_ZN7rocprim17ROCPRIM_400000_NS6detail17trampoline_kernelINS0_14default_configENS1_20scan_config_selectorIjEEZZNS1_9scan_implILNS1_25lookback_scan_determinismE0ELb1ELb1ES3_N6thrust23THRUST_200600_302600_NS6detail15normal_iteratorINS9_10device_ptrIjEEEESE_j11max_functorIjEjEEDaPvRmT3_T4_T5_mT6_P12ihipStream_tbENKUlT_T0_E_clISt17integral_constantIbLb1EEST_IbLb0EEEEDaSP_SQ_EUlSP_E_NS1_11comp_targetILNS1_3genE0ELNS1_11target_archE4294967295ELNS1_3gpuE0ELNS1_3repE0EEENS1_30default_config_static_selectorELNS0_4arch9wavefront6targetE1EEEvT1_
	.p2align	8
	.type	_ZN7rocprim17ROCPRIM_400000_NS6detail17trampoline_kernelINS0_14default_configENS1_20scan_config_selectorIjEEZZNS1_9scan_implILNS1_25lookback_scan_determinismE0ELb1ELb1ES3_N6thrust23THRUST_200600_302600_NS6detail15normal_iteratorINS9_10device_ptrIjEEEESE_j11max_functorIjEjEEDaPvRmT3_T4_T5_mT6_P12ihipStream_tbENKUlT_T0_E_clISt17integral_constantIbLb1EEST_IbLb0EEEEDaSP_SQ_EUlSP_E_NS1_11comp_targetILNS1_3genE0ELNS1_11target_archE4294967295ELNS1_3gpuE0ELNS1_3repE0EEENS1_30default_config_static_selectorELNS0_4arch9wavefront6targetE1EEEvT1_,@function
_ZN7rocprim17ROCPRIM_400000_NS6detail17trampoline_kernelINS0_14default_configENS1_20scan_config_selectorIjEEZZNS1_9scan_implILNS1_25lookback_scan_determinismE0ELb1ELb1ES3_N6thrust23THRUST_200600_302600_NS6detail15normal_iteratorINS9_10device_ptrIjEEEESE_j11max_functorIjEjEEDaPvRmT3_T4_T5_mT6_P12ihipStream_tbENKUlT_T0_E_clISt17integral_constantIbLb1EEST_IbLb0EEEEDaSP_SQ_EUlSP_E_NS1_11comp_targetILNS1_3genE0ELNS1_11target_archE4294967295ELNS1_3gpuE0ELNS1_3repE0EEENS1_30default_config_static_selectorELNS0_4arch9wavefront6targetE1EEEvT1_: ; @_ZN7rocprim17ROCPRIM_400000_NS6detail17trampoline_kernelINS0_14default_configENS1_20scan_config_selectorIjEEZZNS1_9scan_implILNS1_25lookback_scan_determinismE0ELb1ELb1ES3_N6thrust23THRUST_200600_302600_NS6detail15normal_iteratorINS9_10device_ptrIjEEEESE_j11max_functorIjEjEEDaPvRmT3_T4_T5_mT6_P12ihipStream_tbENKUlT_T0_E_clISt17integral_constantIbLb1EEST_IbLb0EEEEDaSP_SQ_EUlSP_E_NS1_11comp_targetILNS1_3genE0ELNS1_11target_archE4294967295ELNS1_3gpuE0ELNS1_3repE0EEENS1_30default_config_static_selectorELNS0_4arch9wavefront6targetE1EEEvT1_
; %bb.0:
	.section	.rodata,"a",@progbits
	.p2align	6, 0x0
	.amdhsa_kernel _ZN7rocprim17ROCPRIM_400000_NS6detail17trampoline_kernelINS0_14default_configENS1_20scan_config_selectorIjEEZZNS1_9scan_implILNS1_25lookback_scan_determinismE0ELb1ELb1ES3_N6thrust23THRUST_200600_302600_NS6detail15normal_iteratorINS9_10device_ptrIjEEEESE_j11max_functorIjEjEEDaPvRmT3_T4_T5_mT6_P12ihipStream_tbENKUlT_T0_E_clISt17integral_constantIbLb1EEST_IbLb0EEEEDaSP_SQ_EUlSP_E_NS1_11comp_targetILNS1_3genE0ELNS1_11target_archE4294967295ELNS1_3gpuE0ELNS1_3repE0EEENS1_30default_config_static_selectorELNS0_4arch9wavefront6targetE1EEEvT1_
		.amdhsa_group_segment_fixed_size 0
		.amdhsa_private_segment_fixed_size 0
		.amdhsa_kernarg_size 96
		.amdhsa_user_sgpr_count 6
		.amdhsa_user_sgpr_private_segment_buffer 1
		.amdhsa_user_sgpr_dispatch_ptr 0
		.amdhsa_user_sgpr_queue_ptr 0
		.amdhsa_user_sgpr_kernarg_segment_ptr 1
		.amdhsa_user_sgpr_dispatch_id 0
		.amdhsa_user_sgpr_flat_scratch_init 0
		.amdhsa_user_sgpr_kernarg_preload_length 0
		.amdhsa_user_sgpr_kernarg_preload_offset 0
		.amdhsa_user_sgpr_private_segment_size 0
		.amdhsa_uses_dynamic_stack 0
		.amdhsa_system_sgpr_private_segment_wavefront_offset 0
		.amdhsa_system_sgpr_workgroup_id_x 1
		.amdhsa_system_sgpr_workgroup_id_y 0
		.amdhsa_system_sgpr_workgroup_id_z 0
		.amdhsa_system_sgpr_workgroup_info 0
		.amdhsa_system_vgpr_workitem_id 0
		.amdhsa_next_free_vgpr 1
		.amdhsa_next_free_sgpr 0
		.amdhsa_accum_offset 4
		.amdhsa_reserve_vcc 0
		.amdhsa_reserve_flat_scratch 0
		.amdhsa_float_round_mode_32 0
		.amdhsa_float_round_mode_16_64 0
		.amdhsa_float_denorm_mode_32 3
		.amdhsa_float_denorm_mode_16_64 3
		.amdhsa_dx10_clamp 1
		.amdhsa_ieee_mode 1
		.amdhsa_fp16_overflow 0
		.amdhsa_tg_split 0
		.amdhsa_exception_fp_ieee_invalid_op 0
		.amdhsa_exception_fp_denorm_src 0
		.amdhsa_exception_fp_ieee_div_zero 0
		.amdhsa_exception_fp_ieee_overflow 0
		.amdhsa_exception_fp_ieee_underflow 0
		.amdhsa_exception_fp_ieee_inexact 0
		.amdhsa_exception_int_div_zero 0
	.end_amdhsa_kernel
	.section	.text._ZN7rocprim17ROCPRIM_400000_NS6detail17trampoline_kernelINS0_14default_configENS1_20scan_config_selectorIjEEZZNS1_9scan_implILNS1_25lookback_scan_determinismE0ELb1ELb1ES3_N6thrust23THRUST_200600_302600_NS6detail15normal_iteratorINS9_10device_ptrIjEEEESE_j11max_functorIjEjEEDaPvRmT3_T4_T5_mT6_P12ihipStream_tbENKUlT_T0_E_clISt17integral_constantIbLb1EEST_IbLb0EEEEDaSP_SQ_EUlSP_E_NS1_11comp_targetILNS1_3genE0ELNS1_11target_archE4294967295ELNS1_3gpuE0ELNS1_3repE0EEENS1_30default_config_static_selectorELNS0_4arch9wavefront6targetE1EEEvT1_,"axG",@progbits,_ZN7rocprim17ROCPRIM_400000_NS6detail17trampoline_kernelINS0_14default_configENS1_20scan_config_selectorIjEEZZNS1_9scan_implILNS1_25lookback_scan_determinismE0ELb1ELb1ES3_N6thrust23THRUST_200600_302600_NS6detail15normal_iteratorINS9_10device_ptrIjEEEESE_j11max_functorIjEjEEDaPvRmT3_T4_T5_mT6_P12ihipStream_tbENKUlT_T0_E_clISt17integral_constantIbLb1EEST_IbLb0EEEEDaSP_SQ_EUlSP_E_NS1_11comp_targetILNS1_3genE0ELNS1_11target_archE4294967295ELNS1_3gpuE0ELNS1_3repE0EEENS1_30default_config_static_selectorELNS0_4arch9wavefront6targetE1EEEvT1_,comdat
.Lfunc_end2365:
	.size	_ZN7rocprim17ROCPRIM_400000_NS6detail17trampoline_kernelINS0_14default_configENS1_20scan_config_selectorIjEEZZNS1_9scan_implILNS1_25lookback_scan_determinismE0ELb1ELb1ES3_N6thrust23THRUST_200600_302600_NS6detail15normal_iteratorINS9_10device_ptrIjEEEESE_j11max_functorIjEjEEDaPvRmT3_T4_T5_mT6_P12ihipStream_tbENKUlT_T0_E_clISt17integral_constantIbLb1EEST_IbLb0EEEEDaSP_SQ_EUlSP_E_NS1_11comp_targetILNS1_3genE0ELNS1_11target_archE4294967295ELNS1_3gpuE0ELNS1_3repE0EEENS1_30default_config_static_selectorELNS0_4arch9wavefront6targetE1EEEvT1_, .Lfunc_end2365-_ZN7rocprim17ROCPRIM_400000_NS6detail17trampoline_kernelINS0_14default_configENS1_20scan_config_selectorIjEEZZNS1_9scan_implILNS1_25lookback_scan_determinismE0ELb1ELb1ES3_N6thrust23THRUST_200600_302600_NS6detail15normal_iteratorINS9_10device_ptrIjEEEESE_j11max_functorIjEjEEDaPvRmT3_T4_T5_mT6_P12ihipStream_tbENKUlT_T0_E_clISt17integral_constantIbLb1EEST_IbLb0EEEEDaSP_SQ_EUlSP_E_NS1_11comp_targetILNS1_3genE0ELNS1_11target_archE4294967295ELNS1_3gpuE0ELNS1_3repE0EEENS1_30default_config_static_selectorELNS0_4arch9wavefront6targetE1EEEvT1_
                                        ; -- End function
	.section	.AMDGPU.csdata,"",@progbits
; Kernel info:
; codeLenInByte = 0
; NumSgprs: 4
; NumVgprs: 0
; NumAgprs: 0
; TotalNumVgprs: 0
; ScratchSize: 0
; MemoryBound: 0
; FloatMode: 240
; IeeeMode: 1
; LDSByteSize: 0 bytes/workgroup (compile time only)
; SGPRBlocks: 0
; VGPRBlocks: 0
; NumSGPRsForWavesPerEU: 4
; NumVGPRsForWavesPerEU: 1
; AccumOffset: 4
; Occupancy: 8
; WaveLimiterHint : 0
; COMPUTE_PGM_RSRC2:SCRATCH_EN: 0
; COMPUTE_PGM_RSRC2:USER_SGPR: 6
; COMPUTE_PGM_RSRC2:TRAP_HANDLER: 0
; COMPUTE_PGM_RSRC2:TGID_X_EN: 1
; COMPUTE_PGM_RSRC2:TGID_Y_EN: 0
; COMPUTE_PGM_RSRC2:TGID_Z_EN: 0
; COMPUTE_PGM_RSRC2:TIDIG_COMP_CNT: 0
; COMPUTE_PGM_RSRC3_GFX90A:ACCUM_OFFSET: 0
; COMPUTE_PGM_RSRC3_GFX90A:TG_SPLIT: 0
	.section	.text._ZN7rocprim17ROCPRIM_400000_NS6detail17trampoline_kernelINS0_14default_configENS1_20scan_config_selectorIjEEZZNS1_9scan_implILNS1_25lookback_scan_determinismE0ELb1ELb1ES3_N6thrust23THRUST_200600_302600_NS6detail15normal_iteratorINS9_10device_ptrIjEEEESE_j11max_functorIjEjEEDaPvRmT3_T4_T5_mT6_P12ihipStream_tbENKUlT_T0_E_clISt17integral_constantIbLb1EEST_IbLb0EEEEDaSP_SQ_EUlSP_E_NS1_11comp_targetILNS1_3genE5ELNS1_11target_archE942ELNS1_3gpuE9ELNS1_3repE0EEENS1_30default_config_static_selectorELNS0_4arch9wavefront6targetE1EEEvT1_,"axG",@progbits,_ZN7rocprim17ROCPRIM_400000_NS6detail17trampoline_kernelINS0_14default_configENS1_20scan_config_selectorIjEEZZNS1_9scan_implILNS1_25lookback_scan_determinismE0ELb1ELb1ES3_N6thrust23THRUST_200600_302600_NS6detail15normal_iteratorINS9_10device_ptrIjEEEESE_j11max_functorIjEjEEDaPvRmT3_T4_T5_mT6_P12ihipStream_tbENKUlT_T0_E_clISt17integral_constantIbLb1EEST_IbLb0EEEEDaSP_SQ_EUlSP_E_NS1_11comp_targetILNS1_3genE5ELNS1_11target_archE942ELNS1_3gpuE9ELNS1_3repE0EEENS1_30default_config_static_selectorELNS0_4arch9wavefront6targetE1EEEvT1_,comdat
	.protected	_ZN7rocprim17ROCPRIM_400000_NS6detail17trampoline_kernelINS0_14default_configENS1_20scan_config_selectorIjEEZZNS1_9scan_implILNS1_25lookback_scan_determinismE0ELb1ELb1ES3_N6thrust23THRUST_200600_302600_NS6detail15normal_iteratorINS9_10device_ptrIjEEEESE_j11max_functorIjEjEEDaPvRmT3_T4_T5_mT6_P12ihipStream_tbENKUlT_T0_E_clISt17integral_constantIbLb1EEST_IbLb0EEEEDaSP_SQ_EUlSP_E_NS1_11comp_targetILNS1_3genE5ELNS1_11target_archE942ELNS1_3gpuE9ELNS1_3repE0EEENS1_30default_config_static_selectorELNS0_4arch9wavefront6targetE1EEEvT1_ ; -- Begin function _ZN7rocprim17ROCPRIM_400000_NS6detail17trampoline_kernelINS0_14default_configENS1_20scan_config_selectorIjEEZZNS1_9scan_implILNS1_25lookback_scan_determinismE0ELb1ELb1ES3_N6thrust23THRUST_200600_302600_NS6detail15normal_iteratorINS9_10device_ptrIjEEEESE_j11max_functorIjEjEEDaPvRmT3_T4_T5_mT6_P12ihipStream_tbENKUlT_T0_E_clISt17integral_constantIbLb1EEST_IbLb0EEEEDaSP_SQ_EUlSP_E_NS1_11comp_targetILNS1_3genE5ELNS1_11target_archE942ELNS1_3gpuE9ELNS1_3repE0EEENS1_30default_config_static_selectorELNS0_4arch9wavefront6targetE1EEEvT1_
	.globl	_ZN7rocprim17ROCPRIM_400000_NS6detail17trampoline_kernelINS0_14default_configENS1_20scan_config_selectorIjEEZZNS1_9scan_implILNS1_25lookback_scan_determinismE0ELb1ELb1ES3_N6thrust23THRUST_200600_302600_NS6detail15normal_iteratorINS9_10device_ptrIjEEEESE_j11max_functorIjEjEEDaPvRmT3_T4_T5_mT6_P12ihipStream_tbENKUlT_T0_E_clISt17integral_constantIbLb1EEST_IbLb0EEEEDaSP_SQ_EUlSP_E_NS1_11comp_targetILNS1_3genE5ELNS1_11target_archE942ELNS1_3gpuE9ELNS1_3repE0EEENS1_30default_config_static_selectorELNS0_4arch9wavefront6targetE1EEEvT1_
	.p2align	8
	.type	_ZN7rocprim17ROCPRIM_400000_NS6detail17trampoline_kernelINS0_14default_configENS1_20scan_config_selectorIjEEZZNS1_9scan_implILNS1_25lookback_scan_determinismE0ELb1ELb1ES3_N6thrust23THRUST_200600_302600_NS6detail15normal_iteratorINS9_10device_ptrIjEEEESE_j11max_functorIjEjEEDaPvRmT3_T4_T5_mT6_P12ihipStream_tbENKUlT_T0_E_clISt17integral_constantIbLb1EEST_IbLb0EEEEDaSP_SQ_EUlSP_E_NS1_11comp_targetILNS1_3genE5ELNS1_11target_archE942ELNS1_3gpuE9ELNS1_3repE0EEENS1_30default_config_static_selectorELNS0_4arch9wavefront6targetE1EEEvT1_,@function
_ZN7rocprim17ROCPRIM_400000_NS6detail17trampoline_kernelINS0_14default_configENS1_20scan_config_selectorIjEEZZNS1_9scan_implILNS1_25lookback_scan_determinismE0ELb1ELb1ES3_N6thrust23THRUST_200600_302600_NS6detail15normal_iteratorINS9_10device_ptrIjEEEESE_j11max_functorIjEjEEDaPvRmT3_T4_T5_mT6_P12ihipStream_tbENKUlT_T0_E_clISt17integral_constantIbLb1EEST_IbLb0EEEEDaSP_SQ_EUlSP_E_NS1_11comp_targetILNS1_3genE5ELNS1_11target_archE942ELNS1_3gpuE9ELNS1_3repE0EEENS1_30default_config_static_selectorELNS0_4arch9wavefront6targetE1EEEvT1_: ; @_ZN7rocprim17ROCPRIM_400000_NS6detail17trampoline_kernelINS0_14default_configENS1_20scan_config_selectorIjEEZZNS1_9scan_implILNS1_25lookback_scan_determinismE0ELb1ELb1ES3_N6thrust23THRUST_200600_302600_NS6detail15normal_iteratorINS9_10device_ptrIjEEEESE_j11max_functorIjEjEEDaPvRmT3_T4_T5_mT6_P12ihipStream_tbENKUlT_T0_E_clISt17integral_constantIbLb1EEST_IbLb0EEEEDaSP_SQ_EUlSP_E_NS1_11comp_targetILNS1_3genE5ELNS1_11target_archE942ELNS1_3gpuE9ELNS1_3repE0EEENS1_30default_config_static_selectorELNS0_4arch9wavefront6targetE1EEEvT1_
; %bb.0:
	.section	.rodata,"a",@progbits
	.p2align	6, 0x0
	.amdhsa_kernel _ZN7rocprim17ROCPRIM_400000_NS6detail17trampoline_kernelINS0_14default_configENS1_20scan_config_selectorIjEEZZNS1_9scan_implILNS1_25lookback_scan_determinismE0ELb1ELb1ES3_N6thrust23THRUST_200600_302600_NS6detail15normal_iteratorINS9_10device_ptrIjEEEESE_j11max_functorIjEjEEDaPvRmT3_T4_T5_mT6_P12ihipStream_tbENKUlT_T0_E_clISt17integral_constantIbLb1EEST_IbLb0EEEEDaSP_SQ_EUlSP_E_NS1_11comp_targetILNS1_3genE5ELNS1_11target_archE942ELNS1_3gpuE9ELNS1_3repE0EEENS1_30default_config_static_selectorELNS0_4arch9wavefront6targetE1EEEvT1_
		.amdhsa_group_segment_fixed_size 0
		.amdhsa_private_segment_fixed_size 0
		.amdhsa_kernarg_size 96
		.amdhsa_user_sgpr_count 6
		.amdhsa_user_sgpr_private_segment_buffer 1
		.amdhsa_user_sgpr_dispatch_ptr 0
		.amdhsa_user_sgpr_queue_ptr 0
		.amdhsa_user_sgpr_kernarg_segment_ptr 1
		.amdhsa_user_sgpr_dispatch_id 0
		.amdhsa_user_sgpr_flat_scratch_init 0
		.amdhsa_user_sgpr_kernarg_preload_length 0
		.amdhsa_user_sgpr_kernarg_preload_offset 0
		.amdhsa_user_sgpr_private_segment_size 0
		.amdhsa_uses_dynamic_stack 0
		.amdhsa_system_sgpr_private_segment_wavefront_offset 0
		.amdhsa_system_sgpr_workgroup_id_x 1
		.amdhsa_system_sgpr_workgroup_id_y 0
		.amdhsa_system_sgpr_workgroup_id_z 0
		.amdhsa_system_sgpr_workgroup_info 0
		.amdhsa_system_vgpr_workitem_id 0
		.amdhsa_next_free_vgpr 1
		.amdhsa_next_free_sgpr 0
		.amdhsa_accum_offset 4
		.amdhsa_reserve_vcc 0
		.amdhsa_reserve_flat_scratch 0
		.amdhsa_float_round_mode_32 0
		.amdhsa_float_round_mode_16_64 0
		.amdhsa_float_denorm_mode_32 3
		.amdhsa_float_denorm_mode_16_64 3
		.amdhsa_dx10_clamp 1
		.amdhsa_ieee_mode 1
		.amdhsa_fp16_overflow 0
		.amdhsa_tg_split 0
		.amdhsa_exception_fp_ieee_invalid_op 0
		.amdhsa_exception_fp_denorm_src 0
		.amdhsa_exception_fp_ieee_div_zero 0
		.amdhsa_exception_fp_ieee_overflow 0
		.amdhsa_exception_fp_ieee_underflow 0
		.amdhsa_exception_fp_ieee_inexact 0
		.amdhsa_exception_int_div_zero 0
	.end_amdhsa_kernel
	.section	.text._ZN7rocprim17ROCPRIM_400000_NS6detail17trampoline_kernelINS0_14default_configENS1_20scan_config_selectorIjEEZZNS1_9scan_implILNS1_25lookback_scan_determinismE0ELb1ELb1ES3_N6thrust23THRUST_200600_302600_NS6detail15normal_iteratorINS9_10device_ptrIjEEEESE_j11max_functorIjEjEEDaPvRmT3_T4_T5_mT6_P12ihipStream_tbENKUlT_T0_E_clISt17integral_constantIbLb1EEST_IbLb0EEEEDaSP_SQ_EUlSP_E_NS1_11comp_targetILNS1_3genE5ELNS1_11target_archE942ELNS1_3gpuE9ELNS1_3repE0EEENS1_30default_config_static_selectorELNS0_4arch9wavefront6targetE1EEEvT1_,"axG",@progbits,_ZN7rocprim17ROCPRIM_400000_NS6detail17trampoline_kernelINS0_14default_configENS1_20scan_config_selectorIjEEZZNS1_9scan_implILNS1_25lookback_scan_determinismE0ELb1ELb1ES3_N6thrust23THRUST_200600_302600_NS6detail15normal_iteratorINS9_10device_ptrIjEEEESE_j11max_functorIjEjEEDaPvRmT3_T4_T5_mT6_P12ihipStream_tbENKUlT_T0_E_clISt17integral_constantIbLb1EEST_IbLb0EEEEDaSP_SQ_EUlSP_E_NS1_11comp_targetILNS1_3genE5ELNS1_11target_archE942ELNS1_3gpuE9ELNS1_3repE0EEENS1_30default_config_static_selectorELNS0_4arch9wavefront6targetE1EEEvT1_,comdat
.Lfunc_end2366:
	.size	_ZN7rocprim17ROCPRIM_400000_NS6detail17trampoline_kernelINS0_14default_configENS1_20scan_config_selectorIjEEZZNS1_9scan_implILNS1_25lookback_scan_determinismE0ELb1ELb1ES3_N6thrust23THRUST_200600_302600_NS6detail15normal_iteratorINS9_10device_ptrIjEEEESE_j11max_functorIjEjEEDaPvRmT3_T4_T5_mT6_P12ihipStream_tbENKUlT_T0_E_clISt17integral_constantIbLb1EEST_IbLb0EEEEDaSP_SQ_EUlSP_E_NS1_11comp_targetILNS1_3genE5ELNS1_11target_archE942ELNS1_3gpuE9ELNS1_3repE0EEENS1_30default_config_static_selectorELNS0_4arch9wavefront6targetE1EEEvT1_, .Lfunc_end2366-_ZN7rocprim17ROCPRIM_400000_NS6detail17trampoline_kernelINS0_14default_configENS1_20scan_config_selectorIjEEZZNS1_9scan_implILNS1_25lookback_scan_determinismE0ELb1ELb1ES3_N6thrust23THRUST_200600_302600_NS6detail15normal_iteratorINS9_10device_ptrIjEEEESE_j11max_functorIjEjEEDaPvRmT3_T4_T5_mT6_P12ihipStream_tbENKUlT_T0_E_clISt17integral_constantIbLb1EEST_IbLb0EEEEDaSP_SQ_EUlSP_E_NS1_11comp_targetILNS1_3genE5ELNS1_11target_archE942ELNS1_3gpuE9ELNS1_3repE0EEENS1_30default_config_static_selectorELNS0_4arch9wavefront6targetE1EEEvT1_
                                        ; -- End function
	.section	.AMDGPU.csdata,"",@progbits
; Kernel info:
; codeLenInByte = 0
; NumSgprs: 4
; NumVgprs: 0
; NumAgprs: 0
; TotalNumVgprs: 0
; ScratchSize: 0
; MemoryBound: 0
; FloatMode: 240
; IeeeMode: 1
; LDSByteSize: 0 bytes/workgroup (compile time only)
; SGPRBlocks: 0
; VGPRBlocks: 0
; NumSGPRsForWavesPerEU: 4
; NumVGPRsForWavesPerEU: 1
; AccumOffset: 4
; Occupancy: 8
; WaveLimiterHint : 0
; COMPUTE_PGM_RSRC2:SCRATCH_EN: 0
; COMPUTE_PGM_RSRC2:USER_SGPR: 6
; COMPUTE_PGM_RSRC2:TRAP_HANDLER: 0
; COMPUTE_PGM_RSRC2:TGID_X_EN: 1
; COMPUTE_PGM_RSRC2:TGID_Y_EN: 0
; COMPUTE_PGM_RSRC2:TGID_Z_EN: 0
; COMPUTE_PGM_RSRC2:TIDIG_COMP_CNT: 0
; COMPUTE_PGM_RSRC3_GFX90A:ACCUM_OFFSET: 0
; COMPUTE_PGM_RSRC3_GFX90A:TG_SPLIT: 0
	.section	.text._ZN7rocprim17ROCPRIM_400000_NS6detail17trampoline_kernelINS0_14default_configENS1_20scan_config_selectorIjEEZZNS1_9scan_implILNS1_25lookback_scan_determinismE0ELb1ELb1ES3_N6thrust23THRUST_200600_302600_NS6detail15normal_iteratorINS9_10device_ptrIjEEEESE_j11max_functorIjEjEEDaPvRmT3_T4_T5_mT6_P12ihipStream_tbENKUlT_T0_E_clISt17integral_constantIbLb1EEST_IbLb0EEEEDaSP_SQ_EUlSP_E_NS1_11comp_targetILNS1_3genE4ELNS1_11target_archE910ELNS1_3gpuE8ELNS1_3repE0EEENS1_30default_config_static_selectorELNS0_4arch9wavefront6targetE1EEEvT1_,"axG",@progbits,_ZN7rocprim17ROCPRIM_400000_NS6detail17trampoline_kernelINS0_14default_configENS1_20scan_config_selectorIjEEZZNS1_9scan_implILNS1_25lookback_scan_determinismE0ELb1ELb1ES3_N6thrust23THRUST_200600_302600_NS6detail15normal_iteratorINS9_10device_ptrIjEEEESE_j11max_functorIjEjEEDaPvRmT3_T4_T5_mT6_P12ihipStream_tbENKUlT_T0_E_clISt17integral_constantIbLb1EEST_IbLb0EEEEDaSP_SQ_EUlSP_E_NS1_11comp_targetILNS1_3genE4ELNS1_11target_archE910ELNS1_3gpuE8ELNS1_3repE0EEENS1_30default_config_static_selectorELNS0_4arch9wavefront6targetE1EEEvT1_,comdat
	.protected	_ZN7rocprim17ROCPRIM_400000_NS6detail17trampoline_kernelINS0_14default_configENS1_20scan_config_selectorIjEEZZNS1_9scan_implILNS1_25lookback_scan_determinismE0ELb1ELb1ES3_N6thrust23THRUST_200600_302600_NS6detail15normal_iteratorINS9_10device_ptrIjEEEESE_j11max_functorIjEjEEDaPvRmT3_T4_T5_mT6_P12ihipStream_tbENKUlT_T0_E_clISt17integral_constantIbLb1EEST_IbLb0EEEEDaSP_SQ_EUlSP_E_NS1_11comp_targetILNS1_3genE4ELNS1_11target_archE910ELNS1_3gpuE8ELNS1_3repE0EEENS1_30default_config_static_selectorELNS0_4arch9wavefront6targetE1EEEvT1_ ; -- Begin function _ZN7rocprim17ROCPRIM_400000_NS6detail17trampoline_kernelINS0_14default_configENS1_20scan_config_selectorIjEEZZNS1_9scan_implILNS1_25lookback_scan_determinismE0ELb1ELb1ES3_N6thrust23THRUST_200600_302600_NS6detail15normal_iteratorINS9_10device_ptrIjEEEESE_j11max_functorIjEjEEDaPvRmT3_T4_T5_mT6_P12ihipStream_tbENKUlT_T0_E_clISt17integral_constantIbLb1EEST_IbLb0EEEEDaSP_SQ_EUlSP_E_NS1_11comp_targetILNS1_3genE4ELNS1_11target_archE910ELNS1_3gpuE8ELNS1_3repE0EEENS1_30default_config_static_selectorELNS0_4arch9wavefront6targetE1EEEvT1_
	.globl	_ZN7rocprim17ROCPRIM_400000_NS6detail17trampoline_kernelINS0_14default_configENS1_20scan_config_selectorIjEEZZNS1_9scan_implILNS1_25lookback_scan_determinismE0ELb1ELb1ES3_N6thrust23THRUST_200600_302600_NS6detail15normal_iteratorINS9_10device_ptrIjEEEESE_j11max_functorIjEjEEDaPvRmT3_T4_T5_mT6_P12ihipStream_tbENKUlT_T0_E_clISt17integral_constantIbLb1EEST_IbLb0EEEEDaSP_SQ_EUlSP_E_NS1_11comp_targetILNS1_3genE4ELNS1_11target_archE910ELNS1_3gpuE8ELNS1_3repE0EEENS1_30default_config_static_selectorELNS0_4arch9wavefront6targetE1EEEvT1_
	.p2align	8
	.type	_ZN7rocprim17ROCPRIM_400000_NS6detail17trampoline_kernelINS0_14default_configENS1_20scan_config_selectorIjEEZZNS1_9scan_implILNS1_25lookback_scan_determinismE0ELb1ELb1ES3_N6thrust23THRUST_200600_302600_NS6detail15normal_iteratorINS9_10device_ptrIjEEEESE_j11max_functorIjEjEEDaPvRmT3_T4_T5_mT6_P12ihipStream_tbENKUlT_T0_E_clISt17integral_constantIbLb1EEST_IbLb0EEEEDaSP_SQ_EUlSP_E_NS1_11comp_targetILNS1_3genE4ELNS1_11target_archE910ELNS1_3gpuE8ELNS1_3repE0EEENS1_30default_config_static_selectorELNS0_4arch9wavefront6targetE1EEEvT1_,@function
_ZN7rocprim17ROCPRIM_400000_NS6detail17trampoline_kernelINS0_14default_configENS1_20scan_config_selectorIjEEZZNS1_9scan_implILNS1_25lookback_scan_determinismE0ELb1ELb1ES3_N6thrust23THRUST_200600_302600_NS6detail15normal_iteratorINS9_10device_ptrIjEEEESE_j11max_functorIjEjEEDaPvRmT3_T4_T5_mT6_P12ihipStream_tbENKUlT_T0_E_clISt17integral_constantIbLb1EEST_IbLb0EEEEDaSP_SQ_EUlSP_E_NS1_11comp_targetILNS1_3genE4ELNS1_11target_archE910ELNS1_3gpuE8ELNS1_3repE0EEENS1_30default_config_static_selectorELNS0_4arch9wavefront6targetE1EEEvT1_: ; @_ZN7rocprim17ROCPRIM_400000_NS6detail17trampoline_kernelINS0_14default_configENS1_20scan_config_selectorIjEEZZNS1_9scan_implILNS1_25lookback_scan_determinismE0ELb1ELb1ES3_N6thrust23THRUST_200600_302600_NS6detail15normal_iteratorINS9_10device_ptrIjEEEESE_j11max_functorIjEjEEDaPvRmT3_T4_T5_mT6_P12ihipStream_tbENKUlT_T0_E_clISt17integral_constantIbLb1EEST_IbLb0EEEEDaSP_SQ_EUlSP_E_NS1_11comp_targetILNS1_3genE4ELNS1_11target_archE910ELNS1_3gpuE8ELNS1_3repE0EEENS1_30default_config_static_selectorELNS0_4arch9wavefront6targetE1EEEvT1_
; %bb.0:
	s_load_dwordx8 s[8:15], s[4:5], 0x0
	s_load_dword s1, s[4:5], 0x30
	s_mul_i32 s0, s6, 0x500
	v_lshlrev_b32_e32 v22, 2, v0
	s_waitcnt lgkmcnt(0)
	s_lshl_b64 s[10:11], s[10:11], 2
	s_add_u32 s27, s8, s10
	s_addc_u32 s28, s9, s11
	s_add_i32 s2, s1, -1
	s_mul_i32 s3, s2, 0x500
	s_sub_u32 s7, s14, s3
	s_subb_u32 s26, s15, 0
	s_mov_b32 s1, 0
	s_cmp_lg_u32 s6, s2
	s_cselect_b64 s[8:9], -1, 0
	s_lshl_b64 s[14:15], s[0:1], 2
	s_add_u32 s2, s27, s14
	s_addc_u32 s3, s28, s15
	s_mov_b64 s[0:1], -1
	s_and_b64 vcc, exec, s[8:9]
	s_cbranch_vccz .LBB2367_2
; %bb.1:
	v_mov_b32_e32 v1, s3
	v_add_co_u32_e32 v2, vcc, s2, v22
	v_addc_co_u32_e32 v3, vcc, 0, v1, vcc
	flat_load_dword v1, v[2:3]
	flat_load_dword v4, v[2:3] offset:512
	flat_load_dword v5, v[2:3] offset:1024
	;; [unrolled: 1-line block ×7, first 2 shown]
	v_add_co_u32_e32 v2, vcc, 0x1000, v2
	v_addc_co_u32_e32 v3, vcc, 0, v3, vcc
	flat_load_dword v11, v[2:3]
	flat_load_dword v12, v[2:3] offset:512
	s_mov_b64 s[0:1], 0
	s_waitcnt vmcnt(0) lgkmcnt(0)
	ds_write2st64_b32 v22, v1, v4 offset1:2
	ds_write2st64_b32 v22, v5, v6 offset0:4 offset1:6
	ds_write2st64_b32 v22, v7, v8 offset0:8 offset1:10
	;; [unrolled: 1-line block ×4, first 2 shown]
	s_waitcnt lgkmcnt(0)
	s_barrier
.LBB2367_2:
	s_load_dwordx2 s[24:25], s[4:5], 0x28
	s_andn2_b64 vcc, exec, s[0:1]
	v_cmp_gt_u32_e64 s[0:1], s7, v0
	s_cbranch_vccnz .LBB2367_24
; %bb.3:
	v_pk_mov_b32 v[2:3], s[2:3], s[2:3] op_sel:[0,1]
	flat_load_dword v1, v[2:3]
	s_waitcnt vmcnt(0) lgkmcnt(0)
	v_mov_b32_e32 v2, v1
	v_mov_b32_e32 v3, v1
	;; [unrolled: 1-line block ×9, first 2 shown]
	s_and_saveexec_b64 s[16:17], s[0:1]
	s_cbranch_execz .LBB2367_5
; %bb.4:
	v_mov_b32_e32 v11, s3
	v_add_co_u32_e32 v10, vcc, s2, v22
	v_addc_co_u32_e32 v11, vcc, 0, v11, vcc
	flat_load_dword v10, v[10:11]
.LBB2367_5:
	s_or_b64 exec, exec, s[16:17]
	v_or_b32_e32 v11, 0x80, v0
	v_cmp_gt_u32_e32 vcc, s7, v11
	s_and_saveexec_b64 s[0:1], vcc
	s_cbranch_execz .LBB2367_7
; %bb.6:
	v_mov_b32_e32 v1, s3
	v_add_co_u32_e32 v12, vcc, s2, v22
	v_addc_co_u32_e32 v13, vcc, 0, v1, vcc
	flat_load_dword v1, v[12:13] offset:512
.LBB2367_7:
	s_or_b64 exec, exec, s[0:1]
	v_or_b32_e32 v11, 0x100, v0
	v_cmp_gt_u32_e32 vcc, s7, v11
	s_and_saveexec_b64 s[0:1], vcc
	s_cbranch_execz .LBB2367_9
; %bb.8:
	v_mov_b32_e32 v2, s3
	v_add_co_u32_e32 v12, vcc, s2, v22
	v_addc_co_u32_e32 v13, vcc, 0, v2, vcc
	flat_load_dword v2, v[12:13] offset:1024
.LBB2367_9:
	;; [unrolled: 11-line block ×7, first 2 shown]
	s_or_b64 exec, exec, s[0:1]
	v_or_b32_e32 v11, 0x400, v0
	v_cmp_gt_u32_e32 vcc, s7, v11
	s_and_saveexec_b64 s[0:1], vcc
	s_cbranch_execz .LBB2367_21
; %bb.20:
	v_lshlrev_b32_e32 v8, 2, v11
	v_mov_b32_e32 v11, s3
	v_add_co_u32_e32 v12, vcc, s2, v8
	v_addc_co_u32_e32 v13, vcc, 0, v11, vcc
	flat_load_dword v8, v[12:13]
.LBB2367_21:
	s_or_b64 exec, exec, s[0:1]
	v_or_b32_e32 v11, 0x480, v0
	v_cmp_gt_u32_e32 vcc, s7, v11
	s_and_saveexec_b64 s[0:1], vcc
	s_cbranch_execz .LBB2367_23
; %bb.22:
	v_lshlrev_b32_e32 v9, 2, v11
	v_mov_b32_e32 v11, s3
	v_add_co_u32_e32 v12, vcc, s2, v9
	v_addc_co_u32_e32 v13, vcc, 0, v11, vcc
	flat_load_dword v9, v[12:13]
.LBB2367_23:
	s_or_b64 exec, exec, s[0:1]
	s_waitcnt vmcnt(0) lgkmcnt(0)
	ds_write2st64_b32 v22, v10, v1 offset1:2
	ds_write2st64_b32 v22, v2, v3 offset0:4 offset1:6
	ds_write2st64_b32 v22, v4, v5 offset0:8 offset1:10
	;; [unrolled: 1-line block ×4, first 2 shown]
	s_waitcnt lgkmcnt(0)
	s_barrier
.LBB2367_24:
	v_mul_u32_u24_e32 v23, 10, v0
	v_lshlrev_b32_e32 v24, 2, v23
	s_waitcnt lgkmcnt(0)
	ds_read2_b64 v[16:19], v24 offset1:1
	ds_read2_b64 v[12:15], v24 offset0:2 offset1:3
	ds_read_b64 v[20:21], v24 offset:32
	s_cmp_lg_u32 s6, 0
	v_cmp_gt_u32_e32 vcc, 64, v0
	s_waitcnt lgkmcnt(2)
	v_max_u32_e32 v1, v16, v17
	v_max3_u32 v25, v1, v18, v19
	v_lshrrev_b32_e32 v1, 5, v0
	s_waitcnt lgkmcnt(0)
	s_barrier
	s_cbranch_scc0 .LBB2367_53
; %bb.25:
	v_max3_u32 v2, v25, v12, v13
	v_max3_u32 v2, v2, v14, v15
	;; [unrolled: 1-line block ×3, first 2 shown]
	v_add_lshl_u32 v2, v1, v0, 2
	ds_write_b32 v2, v26
	s_waitcnt lgkmcnt(0)
	s_barrier
	s_and_saveexec_b64 s[2:3], vcc
	s_cbranch_execz .LBB2367_27
; %bb.26:
	v_lshlrev_b32_e32 v2, 1, v0
	v_lshrrev_b32_e32 v3, 4, v0
	v_add_lshl_u32 v4, v3, v2, 2
	ds_read2_b32 v[2:3], v4 offset1:1
	v_mbcnt_lo_u32_b32 v5, -1, 0
	v_mbcnt_hi_u32_b32 v5, -1, v5
	v_and_b32_e32 v6, 15, v5
	v_cmp_eq_u32_e64 s[0:1], 0, v6
	s_waitcnt lgkmcnt(0)
	v_max_u32_e32 v3, v2, v3
	; wave barrier
	s_nop 1
	v_mov_b32_dpp v7, v3 row_shr:1 row_mask:0xf bank_mask:0xf
	v_max_u32_e32 v7, v7, v3
	v_cndmask_b32_e64 v3, v7, v3, s[0:1]
	v_cmp_lt_u32_e64 s[0:1], 1, v6
	s_nop 0
	v_mov_b32_dpp v7, v3 row_shr:2 row_mask:0xf bank_mask:0xf
	v_max_u32_e32 v7, v7, v3
	v_cndmask_b32_e64 v3, v3, v7, s[0:1]
	v_cmp_lt_u32_e64 s[0:1], 3, v6
	;; [unrolled: 5-line block ×3, first 2 shown]
	s_nop 0
	v_mov_b32_dpp v7, v3 row_shr:8 row_mask:0xf bank_mask:0xf
	v_max_u32_e32 v7, v7, v3
	v_cndmask_b32_e64 v3, v3, v7, s[0:1]
	v_and_b32_e32 v7, 16, v5
	v_cmp_eq_u32_e64 s[0:1], 0, v7
	v_mov_b32_dpp v6, v3 row_bcast:15 row_mask:0xf bank_mask:0xf
	v_max_u32_e32 v6, v6, v3
	v_cndmask_b32_e64 v3, v6, v3, s[0:1]
	v_cmp_lt_u32_e64 s[0:1], 31, v5
	v_and_b32_e32 v7, 64, v5
	v_mov_b32_dpp v6, v3 row_bcast:31 row_mask:0xf bank_mask:0xf
	v_max_u32_e32 v6, v6, v3
	v_cndmask_b32_e64 v3, v3, v6, s[0:1]
	v_add_u32_e32 v6, -1, v5
	v_cmp_lt_i32_e64 s[0:1], v6, v7
	v_cndmask_b32_e64 v5, v6, v5, s[0:1]
	v_lshlrev_b32_e32 v5, 2, v5
	ds_bpermute_b32 v3, v5, v3
	v_cmp_eq_u32_e64 s[0:1], 0, v0
	s_waitcnt lgkmcnt(0)
	v_max_u32_e32 v2, v3, v2
	v_cndmask_b32_e64 v2, v2, v26, s[0:1]
	ds_write_b32 v4, v2
	; wave barrier
	ds_read_b32 v3, v4 offset:4
	s_waitcnt lgkmcnt(0)
	v_max_u32_e32 v2, v2, v3
	ds_write_b32 v4, v2 offset:4
.LBB2367_27:
	s_or_b64 exec, exec, s[2:3]
	v_cmp_eq_u32_e64 s[0:1], 0, v0
	v_cmp_ne_u32_e64 s[2:3], 0, v0
	s_waitcnt lgkmcnt(0)
	s_barrier
	s_and_saveexec_b64 s[16:17], s[2:3]
	s_cbranch_execz .LBB2367_29
; %bb.28:
	v_add_u32_e32 v2, -1, v0
	v_lshrrev_b32_e32 v3, 5, v2
	v_add_lshl_u32 v2, v3, v2, 2
	ds_read_b32 v26, v2
.LBB2367_29:
	s_or_b64 exec, exec, s[16:17]
	s_and_saveexec_b64 s[16:17], vcc
	s_cbranch_execz .LBB2367_52
; %bb.30:
	v_mov_b32_e32 v11, 0
	ds_read_b32 v2, v11 offset:520
	v_mbcnt_lo_u32_b32 v3, -1, 0
	v_mbcnt_hi_u32_b32 v5, -1, v3
	s_mov_b32 s21, 0
	v_cmp_eq_u32_e64 s[2:3], 0, v5
	s_and_saveexec_b64 s[18:19], s[2:3]
	s_cbranch_execz .LBB2367_32
; %bb.31:
	s_add_i32 s20, s6, 64
	s_lshl_b64 s[20:21], s[20:21], 3
	s_add_u32 s20, s24, s20
	v_mov_b32_e32 v3, 1
	s_addc_u32 s21, s25, s21
	s_waitcnt lgkmcnt(0)
	global_store_dwordx2 v11, v[2:3], s[20:21]
.LBB2367_32:
	s_or_b64 exec, exec, s[18:19]
	v_xad_u32 v4, v5, -1, s6
	v_add_u32_e32 v10, 64, v4
	v_lshlrev_b64 v[6:7], 3, v[10:11]
	v_mov_b32_e32 v3, s25
	v_add_co_u32_e32 v6, vcc, s24, v6
	v_addc_co_u32_e32 v7, vcc, v3, v7, vcc
	global_load_dwordx2 v[8:9], v[6:7], off glc
	s_waitcnt vmcnt(0)
	v_cmp_eq_u16_sdwa s[20:21], v9, v11 src0_sel:BYTE_0 src1_sel:DWORD
	s_and_saveexec_b64 s[18:19], s[20:21]
	s_cbranch_execz .LBB2367_38
; %bb.33:
	s_mov_b32 s22, 1
	s_mov_b64 s[20:21], 0
	v_mov_b32_e32 v3, 0
.LBB2367_34:                            ; =>This Loop Header: Depth=1
                                        ;     Child Loop BB2367_35 Depth 2
	s_max_u32 s23, s22, 1
.LBB2367_35:                            ;   Parent Loop BB2367_34 Depth=1
                                        ; =>  This Inner Loop Header: Depth=2
	s_add_i32 s23, s23, -1
	s_cmp_eq_u32 s23, 0
	s_sleep 1
	s_cbranch_scc0 .LBB2367_35
; %bb.36:                               ;   in Loop: Header=BB2367_34 Depth=1
	global_load_dwordx2 v[8:9], v[6:7], off glc
	s_cmp_lt_u32 s22, 32
	s_cselect_b64 s[30:31], -1, 0
	s_cmp_lg_u64 s[30:31], 0
	s_addc_u32 s22, s22, 0
	s_waitcnt vmcnt(0)
	v_cmp_ne_u16_sdwa s[30:31], v9, v3 src0_sel:BYTE_0 src1_sel:DWORD
	s_or_b64 s[20:21], s[30:31], s[20:21]
	s_andn2_b64 exec, exec, s[20:21]
	s_cbranch_execnz .LBB2367_34
; %bb.37:
	s_or_b64 exec, exec, s[20:21]
.LBB2367_38:
	s_or_b64 exec, exec, s[18:19]
	v_and_b32_e32 v27, 63, v5
	v_cmp_ne_u32_e32 vcc, 63, v27
	v_mov_b32_e32 v3, 2
	v_addc_co_u32_e32 v28, vcc, 0, v5, vcc
	v_cmp_eq_u16_sdwa s[18:19], v9, v3 src0_sel:BYTE_0 src1_sel:DWORD
	v_lshlrev_b64 v[6:7], v5, -1
	v_lshlrev_b32_e32 v28, 2, v28
	v_and_b32_e32 v10, s19, v7
	ds_bpermute_b32 v29, v28, v8
	v_or_b32_e32 v10, 0x80000000, v10
	v_and_b32_e32 v11, s18, v6
	v_ffbl_b32_e32 v10, v10
	v_add_u32_e32 v10, 32, v10
	v_ffbl_b32_e32 v11, v11
	v_min_u32_e32 v10, v11, v10
	s_waitcnt lgkmcnt(0)
	v_max_u32_e32 v11, v29, v8
	v_cmp_lt_u32_e32 vcc, v27, v10
	v_cndmask_b32_e32 v8, v8, v11, vcc
	v_cmp_gt_u32_e32 vcc, 62, v27
	v_cndmask_b32_e64 v11, 0, 1, vcc
	v_lshlrev_b32_e32 v11, 1, v11
	v_add_lshl_u32 v29, v11, v5, 2
	ds_bpermute_b32 v11, v29, v8
	v_add_u32_e32 v30, 2, v27
	v_cmp_gt_u32_e32 vcc, v30, v10
	v_add_u32_e32 v32, 4, v27
	v_add_u32_e32 v34, 8, v27
	s_waitcnt lgkmcnt(0)
	v_max_u32_e32 v11, v11, v8
	v_cndmask_b32_e32 v8, v11, v8, vcc
	v_cmp_gt_u32_e32 vcc, 60, v27
	v_cndmask_b32_e64 v11, 0, 1, vcc
	v_lshlrev_b32_e32 v11, 2, v11
	v_add_lshl_u32 v31, v11, v5, 2
	ds_bpermute_b32 v11, v31, v8
	v_cmp_gt_u32_e32 vcc, v32, v10
	v_add_u32_e32 v37, 16, v27
	v_add_u32_e32 v39, 32, v27
	s_waitcnt lgkmcnt(0)
	v_max_u32_e32 v11, v11, v8
	v_cndmask_b32_e32 v8, v11, v8, vcc
	v_cmp_gt_u32_e32 vcc, 56, v27
	v_cndmask_b32_e64 v11, 0, 1, vcc
	v_lshlrev_b32_e32 v11, 3, v11
	v_add_lshl_u32 v33, v11, v5, 2
	ds_bpermute_b32 v11, v33, v8
	v_cmp_gt_u32_e32 vcc, v34, v10
	s_waitcnt lgkmcnt(0)
	v_max_u32_e32 v11, v11, v8
	v_cndmask_b32_e32 v8, v11, v8, vcc
	v_cmp_gt_u32_e32 vcc, 48, v27
	v_cndmask_b32_e64 v11, 0, 1, vcc
	v_lshlrev_b32_e32 v11, 4, v11
	v_add_lshl_u32 v35, v11, v5, 2
	ds_bpermute_b32 v11, v35, v8
	v_cmp_gt_u32_e32 vcc, v37, v10
	;; [unrolled: 9-line block ×3, first 2 shown]
	s_waitcnt lgkmcnt(0)
	v_max_u32_e32 v5, v5, v8
	v_cndmask_b32_e32 v8, v5, v8, vcc
	v_mov_b32_e32 v5, 0
	s_branch .LBB2367_40
.LBB2367_39:                            ;   in Loop: Header=BB2367_40 Depth=1
	s_or_b64 exec, exec, s[18:19]
	v_cmp_eq_u16_sdwa s[18:19], v9, v3 src0_sel:BYTE_0 src1_sel:DWORD
	v_and_b32_e32 v10, s19, v7
	ds_bpermute_b32 v40, v28, v8
	v_or_b32_e32 v10, 0x80000000, v10
	v_and_b32_e32 v11, s18, v6
	v_ffbl_b32_e32 v10, v10
	v_add_u32_e32 v10, 32, v10
	v_ffbl_b32_e32 v11, v11
	v_min_u32_e32 v10, v11, v10
	s_waitcnt lgkmcnt(0)
	v_max_u32_e32 v11, v40, v8
	v_cmp_lt_u32_e32 vcc, v27, v10
	v_cndmask_b32_e32 v8, v8, v11, vcc
	ds_bpermute_b32 v11, v29, v8
	v_cmp_gt_u32_e32 vcc, v30, v10
	v_subrev_u32_e32 v4, 64, v4
	s_waitcnt lgkmcnt(0)
	v_max_u32_e32 v11, v11, v8
	v_cndmask_b32_e32 v8, v11, v8, vcc
	ds_bpermute_b32 v11, v31, v8
	v_cmp_gt_u32_e32 vcc, v32, v10
	s_waitcnt lgkmcnt(0)
	v_max_u32_e32 v11, v11, v8
	v_cndmask_b32_e32 v8, v11, v8, vcc
	ds_bpermute_b32 v11, v33, v8
	v_cmp_gt_u32_e32 vcc, v34, v10
	;; [unrolled: 5-line block ×4, first 2 shown]
	s_waitcnt lgkmcnt(0)
	v_max_u32_e32 v11, v11, v8
	v_cndmask_b32_e32 v8, v11, v8, vcc
	v_max_u32_e32 v8, v8, v36
.LBB2367_40:                            ; =>This Loop Header: Depth=1
                                        ;     Child Loop BB2367_43 Depth 2
                                        ;       Child Loop BB2367_44 Depth 3
	v_cmp_ne_u16_sdwa s[18:19], v9, v3 src0_sel:BYTE_0 src1_sel:DWORD
	v_cndmask_b32_e64 v9, 0, 1, s[18:19]
	;;#ASMSTART
	;;#ASMEND
	v_cmp_ne_u32_e32 vcc, 0, v9
	s_cmp_lg_u64 vcc, exec
	v_mov_b32_e32 v36, v8
	s_cbranch_scc1 .LBB2367_47
; %bb.41:                               ;   in Loop: Header=BB2367_40 Depth=1
	v_lshlrev_b64 v[8:9], 3, v[4:5]
	v_mov_b32_e32 v11, s25
	v_add_co_u32_e32 v10, vcc, s24, v8
	v_addc_co_u32_e32 v11, vcc, v11, v9, vcc
	global_load_dwordx2 v[8:9], v[10:11], off glc
	s_waitcnt vmcnt(0)
	v_cmp_eq_u16_sdwa s[20:21], v9, v5 src0_sel:BYTE_0 src1_sel:DWORD
	s_and_saveexec_b64 s[18:19], s[20:21]
	s_cbranch_execz .LBB2367_39
; %bb.42:                               ;   in Loop: Header=BB2367_40 Depth=1
	s_mov_b32 s22, 1
	s_mov_b64 s[20:21], 0
.LBB2367_43:                            ;   Parent Loop BB2367_40 Depth=1
                                        ; =>  This Loop Header: Depth=2
                                        ;       Child Loop BB2367_44 Depth 3
	s_max_u32 s23, s22, 1
.LBB2367_44:                            ;   Parent Loop BB2367_40 Depth=1
                                        ;     Parent Loop BB2367_43 Depth=2
                                        ; =>    This Inner Loop Header: Depth=3
	s_add_i32 s23, s23, -1
	s_cmp_eq_u32 s23, 0
	s_sleep 1
	s_cbranch_scc0 .LBB2367_44
; %bb.45:                               ;   in Loop: Header=BB2367_43 Depth=2
	global_load_dwordx2 v[8:9], v[10:11], off glc
	s_cmp_lt_u32 s22, 32
	s_cselect_b64 s[30:31], -1, 0
	s_cmp_lg_u64 s[30:31], 0
	s_addc_u32 s22, s22, 0
	s_waitcnt vmcnt(0)
	v_cmp_ne_u16_sdwa s[30:31], v9, v5 src0_sel:BYTE_0 src1_sel:DWORD
	s_or_b64 s[20:21], s[30:31], s[20:21]
	s_andn2_b64 exec, exec, s[20:21]
	s_cbranch_execnz .LBB2367_43
; %bb.46:                               ;   in Loop: Header=BB2367_40 Depth=1
	s_or_b64 exec, exec, s[20:21]
	s_branch .LBB2367_39
.LBB2367_47:                            ;   in Loop: Header=BB2367_40 Depth=1
                                        ; implicit-def: $vgpr8
                                        ; implicit-def: $vgpr9
	s_cbranch_execz .LBB2367_40
; %bb.48:
	s_and_saveexec_b64 s[18:19], s[2:3]
	s_cbranch_execz .LBB2367_50
; %bb.49:
	s_add_i32 s2, s6, 64
	s_mov_b32 s3, 0
	s_lshl_b64 s[2:3], s[2:3], 3
	s_add_u32 s2, s24, s2
	v_max_u32_e32 v2, v36, v2
	v_mov_b32_e32 v3, 2
	s_addc_u32 s3, s25, s3
	v_mov_b32_e32 v4, 0
	global_store_dwordx2 v4, v[2:3], s[2:3]
.LBB2367_50:
	s_or_b64 exec, exec, s[18:19]
	s_and_b64 exec, exec, s[0:1]
	s_cbranch_execz .LBB2367_52
; %bb.51:
	v_mov_b32_e32 v2, 0
	ds_write_b32 v2, v36
.LBB2367_52:
	s_or_b64 exec, exec, s[16:17]
	v_mov_b32_e32 v2, 0
	s_waitcnt lgkmcnt(0)
	s_barrier
	ds_read_b32 v2, v2
	s_waitcnt lgkmcnt(0)
	v_max_u32_e32 v3, v2, v26
	v_cndmask_b32_e64 v2, v3, v2, s[0:1]
	v_max_u32_e32 v3, v2, v16
	v_max_u32_e32 v4, v3, v17
	;; [unrolled: 1-line block ×9, first 2 shown]
	s_load_dwordx8 s[16:23], s[4:5], 0x38
	s_branch .LBB2367_63
.LBB2367_53:
                                        ; implicit-def: $vgpr2_vgpr3_vgpr4_vgpr5_vgpr6_vgpr7_vgpr8_vgpr9_vgpr10_vgpr11
	s_load_dwordx8 s[16:23], s[4:5], 0x38
	s_cbranch_execz .LBB2367_63
; %bb.54:
	s_load_dword s0, s[4:5], 0x20
	s_waitcnt lgkmcnt(0)
	s_cmp_eq_u64 s[20:21], 0
	v_mov_b32_e32 v26, s0
	s_cbranch_scc1 .LBB2367_56
; %bb.55:
	v_mov_b32_e32 v2, 0
	global_load_dword v4, v2, s[16:17]
	v_mov_b32_e32 v3, s28
	v_add_co_u32_e64 v2, vcc, -4, s27
	v_addc_co_u32_e32 v3, vcc, -1, v3, vcc
	flat_load_dword v2, v[2:3]
	s_waitcnt vmcnt(0) lgkmcnt(0)
	v_max_u32_e32 v26, v4, v2
.LBB2367_56:
	v_max3_u32 v2, v25, v12, v13
	v_max3_u32 v2, v2, v14, v15
	;; [unrolled: 1-line block ×3, first 2 shown]
	v_add_lshl_u32 v1, v1, v0, 2
	v_cmp_gt_u32_e32 vcc, 64, v0
	ds_write_b32 v1, v2
	s_waitcnt lgkmcnt(0)
	s_barrier
	s_and_saveexec_b64 s[0:1], vcc
	s_cbranch_execz .LBB2367_58
; %bb.57:
	v_lshlrev_b32_e32 v1, 1, v0
	v_lshrrev_b32_e32 v3, 4, v0
	v_add_lshl_u32 v1, v3, v1, 2
	ds_read2_b32 v[4:5], v1 offset1:1
	v_mbcnt_lo_u32_b32 v3, -1, 0
	v_mbcnt_hi_u32_b32 v3, -1, v3
	v_and_b32_e32 v6, 15, v3
	v_cmp_eq_u32_e32 vcc, 0, v6
	s_waitcnt lgkmcnt(0)
	v_max_u32_e32 v5, v4, v5
	; wave barrier
	s_nop 1
	v_mov_b32_dpp v7, v5 row_shr:1 row_mask:0xf bank_mask:0xf
	v_max_u32_e32 v7, v7, v5
	v_cndmask_b32_e32 v5, v7, v5, vcc
	v_cmp_lt_u32_e32 vcc, 1, v6
	s_nop 0
	v_mov_b32_dpp v7, v5 row_shr:2 row_mask:0xf bank_mask:0xf
	v_max_u32_e32 v7, v7, v5
	v_cndmask_b32_e32 v5, v5, v7, vcc
	v_cmp_lt_u32_e32 vcc, 3, v6
	;; [unrolled: 5-line block ×3, first 2 shown]
	s_nop 0
	v_mov_b32_dpp v7, v5 row_shr:8 row_mask:0xf bank_mask:0xf
	v_max_u32_e32 v7, v7, v5
	v_cndmask_b32_e32 v5, v5, v7, vcc
	v_and_b32_e32 v7, 16, v3
	v_cmp_eq_u32_e32 vcc, 0, v7
	v_mov_b32_dpp v6, v5 row_bcast:15 row_mask:0xf bank_mask:0xf
	v_max_u32_e32 v6, v6, v5
	v_cndmask_b32_e32 v5, v6, v5, vcc
	v_cmp_lt_u32_e32 vcc, 31, v3
	v_and_b32_e32 v7, 64, v3
	v_mov_b32_dpp v6, v5 row_bcast:31 row_mask:0xf bank_mask:0xf
	v_max_u32_e32 v6, v6, v5
	v_cndmask_b32_e32 v5, v5, v6, vcc
	v_add_u32_e32 v6, -1, v3
	v_cmp_lt_i32_e32 vcc, v6, v7
	v_cndmask_b32_e32 v3, v6, v3, vcc
	v_lshlrev_b32_e32 v3, 2, v3
	ds_bpermute_b32 v3, v3, v5
	v_cmp_eq_u32_e32 vcc, 0, v0
	s_waitcnt lgkmcnt(0)
	v_max_u32_e32 v3, v3, v4
	v_cndmask_b32_e32 v2, v3, v2, vcc
	ds_write_b32 v1, v2
	; wave barrier
	ds_read_b32 v3, v1 offset:4
	s_waitcnt lgkmcnt(0)
	v_max_u32_e32 v2, v2, v3
	ds_write_b32 v1, v2 offset:4
.LBB2367_58:
	s_or_b64 exec, exec, s[0:1]
	v_cmp_eq_u32_e32 vcc, 0, v0
	v_cmp_ne_u32_e64 s[0:1], 0, v0
	v_mov_b32_e32 v2, v26
	s_waitcnt lgkmcnt(0)
	s_barrier
	s_and_saveexec_b64 s[2:3], s[0:1]
	s_cbranch_execz .LBB2367_60
; %bb.59:
	v_add_u32_e32 v1, -1, v0
	v_lshrrev_b32_e32 v2, 5, v1
	v_add_lshl_u32 v1, v2, v1, 2
	ds_read_b32 v1, v1
	s_waitcnt lgkmcnt(0)
	v_max_u32_e32 v2, v26, v1
.LBB2367_60:
	s_or_b64 exec, exec, s[2:3]
	v_max_u32_e32 v3, v2, v16
	v_max_u32_e32 v4, v3, v17
	v_max_u32_e32 v5, v4, v18
	v_max_u32_e32 v6, v5, v19
	v_max_u32_e32 v7, v6, v12
	v_max_u32_e32 v8, v7, v13
	v_max_u32_e32 v9, v8, v14
	v_max_u32_e32 v10, v9, v15
	v_max_u32_e32 v11, v10, v20
	s_and_saveexec_b64 s[0:1], vcc
	s_cbranch_execz .LBB2367_62
; %bb.61:
	v_mov_b32_e32 v1, 0
	ds_read_b32 v12, v1 offset:520
	v_mov_b32_e32 v13, 2
	s_waitcnt lgkmcnt(0)
	v_max_u32_e32 v12, v26, v12
	global_store_dwordx2 v1, v[12:13], s[24:25] offset:512
.LBB2367_62:
	s_or_b64 exec, exec, s[0:1]
.LBB2367_63:
	s_add_u32 s0, s12, s10
	s_addc_u32 s1, s13, s11
	s_add_u32 s2, s0, s14
	s_addc_u32 s3, s1, s15
	s_mov_b64 s[0:1], -1
	s_and_b64 vcc, exec, s[8:9]
	s_waitcnt lgkmcnt(0)
	s_barrier
	s_cbranch_vccz .LBB2367_65
; %bb.64:
	ds_write2_b64 v24, v[2:3], v[4:5] offset1:1
	ds_write2_b64 v24, v[6:7], v[8:9] offset0:2 offset1:3
	ds_write_b64 v24, v[10:11] offset:32
	s_waitcnt lgkmcnt(0)
	s_barrier
	ds_read2st64_b32 v[12:13], v22 offset1:2
	ds_read2st64_b32 v[14:15], v22 offset0:4 offset1:6
	ds_read2st64_b32 v[16:17], v22 offset0:8 offset1:10
	;; [unrolled: 1-line block ×4, first 2 shown]
	v_mov_b32_e32 v1, s3
	v_add_co_u32_e32 v26, vcc, s2, v22
	v_addc_co_u32_e32 v27, vcc, 0, v1, vcc
	s_waitcnt lgkmcnt(4)
	flat_store_dword v[26:27], v12
	flat_store_dword v[26:27], v13 offset:512
	s_waitcnt lgkmcnt(0)
	flat_store_dword v[26:27], v14 offset:1024
	flat_store_dword v[26:27], v15 offset:1536
	flat_store_dword v[26:27], v16 offset:2048
	flat_store_dword v[26:27], v17 offset:2560
	flat_store_dword v[26:27], v18 offset:3072
	flat_store_dword v[26:27], v19 offset:3584
	v_add_co_u32_e32 v12, vcc, 0x1000, v26
	v_addc_co_u32_e32 v13, vcc, 0, v27, vcc
	flat_store_dword v[12:13], v20
	flat_store_dword v[12:13], v21 offset:512
	s_mov_b64 s[0:1], 0
.LBB2367_65:
	s_andn2_b64 vcc, exec, s[0:1]
	s_cbranch_vccnz .LBB2367_121
; %bb.66:
	s_movk_i32 s0, 0xffdc
	ds_write2_b64 v24, v[2:3], v[4:5] offset1:1
	ds_write2_b64 v24, v[6:7], v[8:9] offset0:2 offset1:3
	ds_write_b64 v24, v[10:11] offset:32
	v_mad_i32_i24 v10, v0, s0, v24
	s_waitcnt lgkmcnt(0)
	s_barrier
	ds_read2st64_b32 v[2:3], v10 offset1:2
	ds_read2st64_b32 v[6:7], v10 offset0:4 offset1:6
	ds_read2st64_b32 v[4:5], v10 offset0:8 offset1:10
	;; [unrolled: 1-line block ×4, first 2 shown]
	v_mov_b32_e32 v13, s3
	v_add_co_u32_e32 v12, vcc, s2, v22
	v_addc_co_u32_e32 v13, vcc, 0, v13, vcc
	v_mov_b32_e32 v1, 0
	v_cmp_gt_u32_e32 vcc, s7, v0
	s_and_saveexec_b64 s[0:1], vcc
	s_cbranch_execz .LBB2367_68
; %bb.67:
	s_waitcnt lgkmcnt(0)
	flat_store_dword v[12:13], v2
.LBB2367_68:
	s_or_b64 exec, exec, s[0:1]
	v_or_b32_e32 v14, 0x80, v0
	v_cmp_gt_u32_e32 vcc, s7, v14
	s_and_saveexec_b64 s[0:1], vcc
	s_cbranch_execz .LBB2367_70
; %bb.69:
	s_waitcnt lgkmcnt(0)
	flat_store_dword v[12:13], v3 offset:512
.LBB2367_70:
	s_or_b64 exec, exec, s[0:1]
	v_or_b32_e32 v14, 0x100, v0
	v_cmp_gt_u32_e32 vcc, s7, v14
	s_and_saveexec_b64 s[0:1], vcc
	s_cbranch_execz .LBB2367_72
; %bb.71:
	s_waitcnt lgkmcnt(0)
	flat_store_dword v[12:13], v6 offset:1024
.LBB2367_72:
	;; [unrolled: 9-line block ×7, first 2 shown]
	s_or_b64 exec, exec, s[0:1]
	v_or_b32_e32 v14, 0x400, v0
	v_cmp_gt_u32_e32 vcc, s7, v14
	s_and_saveexec_b64 s[0:1], vcc
	s_cbranch_execz .LBB2367_84
; %bb.83:
	v_add_co_u32_e32 v14, vcc, 0x1000, v12
	v_addc_co_u32_e32 v15, vcc, 0, v13, vcc
	s_waitcnt lgkmcnt(0)
	flat_store_dword v[14:15], v10
.LBB2367_84:
	s_or_b64 exec, exec, s[0:1]
	v_or_b32_e32 v14, 0x480, v0
	v_cmp_gt_u32_e32 vcc, s7, v14
	s_and_saveexec_b64 s[0:1], vcc
	s_cbranch_execz .LBB2367_86
; %bb.85:
	v_add_co_u32_e32 v12, vcc, 0x1000, v12
	v_addc_co_u32_e32 v13, vcc, 0, v13, vcc
	s_waitcnt lgkmcnt(0)
	flat_store_dword v[12:13], v11 offset:512
.LBB2367_86:
	s_or_b64 exec, exec, s[0:1]
	v_cmp_lt_u64_e64 s[0:1], s[22:23], 2
	s_and_b64 vcc, exec, s[0:1]
	s_cbranch_vccnz .LBB2367_121
; %bb.87:
	s_add_u32 s0, s7, -1
	s_addc_u32 s1, s26, -1
	s_add_u32 s2, 0, 0x99986000
	s_addc_u32 s3, 0, 0x59
	s_add_i32 s3, s3, 0x19999940
	s_mul_hi_u32 s7, s2, -10
	s_sub_i32 s7, s7, s2
	s_mul_i32 s8, s3, -10
	s_mul_i32 s4, s2, -10
	s_add_i32 s7, s7, s8
	s_mul_hi_u32 s5, s3, s4
	s_mul_i32 s6, s3, s4
	s_mul_i32 s9, s2, s7
	s_mul_hi_u32 s4, s2, s4
	s_mul_hi_u32 s8, s2, s7
	s_add_u32 s4, s4, s9
	s_addc_u32 s8, 0, s8
	s_add_u32 s4, s4, s6
	s_mul_hi_u32 s9, s3, s7
	s_addc_u32 s4, s8, s5
	s_addc_u32 s5, s9, 0
	s_mul_i32 s6, s3, s7
	s_add_u32 s4, s4, s6
	v_mov_b32_e32 v12, s4
	s_addc_u32 s5, 0, s5
	v_add_co_u32_e32 v12, vcc, s2, v12
	s_cmp_lg_u64 vcc, 0
	s_addc_u32 s2, s3, s5
	v_readfirstlane_b32 s5, v12
	s_mul_i32 s4, s0, s2
	s_mul_hi_u32 s6, s0, s5
	s_mul_hi_u32 s3, s0, s2
	s_add_u32 s4, s6, s4
	s_addc_u32 s3, 0, s3
	s_mul_hi_u32 s7, s1, s5
	s_mul_i32 s5, s1, s5
	s_add_u32 s4, s4, s5
	s_mul_hi_u32 s6, s1, s2
	s_addc_u32 s3, s3, s7
	s_addc_u32 s4, s6, 0
	s_mul_i32 s2, s1, s2
	s_add_u32 s2, s3, s2
	s_addc_u32 s3, 0, s4
	s_add_u32 s4, s2, 1
	s_addc_u32 s5, s3, 0
	s_add_u32 s6, s2, 2
	s_mul_i32 s8, s3, 10
	s_mul_hi_u32 s9, s2, 10
	s_addc_u32 s7, s3, 0
	s_add_i32 s9, s9, s8
	s_mul_i32 s8, s2, 10
	v_mov_b32_e32 v12, s8
	v_sub_co_u32_e32 v12, vcc, s0, v12
	s_cmp_lg_u64 vcc, 0
	s_subb_u32 s8, s1, s9
	v_subrev_co_u32_e32 v13, vcc, 10, v12
	s_cmp_lg_u64 vcc, 0
	s_subb_u32 s9, s8, 0
	v_readfirstlane_b32 s10, v13
	s_cmp_gt_u32 s10, 9
	s_cselect_b32 s10, -1, 0
	s_cmp_eq_u32 s9, 0
	s_cselect_b32 s9, s10, -1
	s_cmp_lg_u32 s9, 0
	s_cselect_b32 s4, s6, s4
	v_readfirstlane_b32 s6, v12
	s_cselect_b32 s5, s7, s5
	s_cmp_gt_u32 s6, 9
	s_cselect_b32 s6, -1, 0
	s_cmp_eq_u32 s8, 0
	s_cselect_b32 s6, s6, -1
	s_cmp_lg_u32 s6, 0
	s_cselect_b32 s3, s5, s3
	s_cselect_b32 s2, s4, s2
	v_cmp_eq_u64_e32 vcc, s[2:3], v[0:1]
	s_and_saveexec_b64 s[2:3], vcc
	s_cbranch_execz .LBB2367_121
; %bb.88:
	v_mul_hi_u32_u24_e32 v1, 10, v0
	v_mov_b32_e32 v12, s1
	v_sub_co_u32_e32 v0, vcc, s0, v23
	v_subb_co_u32_e32 v1, vcc, v12, v1, vcc
	v_cmp_lt_i64_e32 vcc, 4, v[0:1]
	s_and_saveexec_b64 s[0:1], vcc
	s_xor_b64 s[0:1], exec, s[0:1]
	s_cbranch_execz .LBB2367_106
; %bb.89:
	v_cmp_lt_i64_e32 vcc, 6, v[0:1]
	s_and_saveexec_b64 s[2:3], vcc
	s_xor_b64 s[2:3], exec, s[2:3]
	s_cbranch_execz .LBB2367_99
; %bb.90:
	;; [unrolled: 5-line block ×4, first 2 shown]
	v_mov_b32_e32 v0, 0
	s_waitcnt lgkmcnt(0)
	global_store_dword v0, v11, s[18:19]
                                        ; implicit-def: $vgpr10_vgpr11
.LBB2367_93:
	s_andn2_saveexec_b64 s[6:7], s[6:7]
	s_cbranch_execz .LBB2367_95
; %bb.94:
	v_mov_b32_e32 v0, 0
	s_waitcnt lgkmcnt(0)
	global_store_dword v0, v10, s[18:19]
.LBB2367_95:
	s_or_b64 exec, exec, s[6:7]
                                        ; implicit-def: $vgpr8_vgpr9
.LBB2367_96:
	s_andn2_saveexec_b64 s[4:5], s[4:5]
	s_cbranch_execz .LBB2367_98
; %bb.97:
	v_mov_b32_e32 v0, 0
	s_waitcnt lgkmcnt(0)
	global_store_dword v0, v9, s[18:19]
.LBB2367_98:
	s_or_b64 exec, exec, s[4:5]
                                        ; implicit-def: $vgpr4_vgpr5
                                        ; implicit-def: $vgpr0_vgpr1
                                        ; implicit-def: $vgpr8_vgpr9
.LBB2367_99:
	s_andn2_saveexec_b64 s[2:3], s[2:3]
	s_cbranch_execz .LBB2367_105
; %bb.100:
	v_cmp_lt_i64_e32 vcc, 5, v[0:1]
	s_and_saveexec_b64 s[4:5], vcc
	s_xor_b64 s[4:5], exec, s[4:5]
	s_cbranch_execz .LBB2367_102
; %bb.101:
	v_mov_b32_e32 v0, 0
	s_waitcnt lgkmcnt(0)
	global_store_dword v0, v8, s[18:19]
                                        ; implicit-def: $vgpr4_vgpr5
.LBB2367_102:
	s_andn2_saveexec_b64 s[4:5], s[4:5]
	s_cbranch_execz .LBB2367_104
; %bb.103:
	v_mov_b32_e32 v0, 0
	s_waitcnt lgkmcnt(0)
	global_store_dword v0, v5, s[18:19]
.LBB2367_104:
	s_or_b64 exec, exec, s[4:5]
.LBB2367_105:
	s_or_b64 exec, exec, s[2:3]
                                        ; implicit-def: $vgpr0_vgpr1
                                        ; implicit-def: $vgpr6_vgpr7
                                        ; implicit-def: $vgpr2_vgpr3
                                        ; implicit-def: $vgpr4_vgpr5
.LBB2367_106:
	s_andn2_saveexec_b64 s[0:1], s[0:1]
	s_cbranch_execz .LBB2367_121
; %bb.107:
	v_cmp_lt_i64_e32 vcc, 2, v[0:1]
	s_and_saveexec_b64 s[0:1], vcc
	s_xor_b64 s[0:1], exec, s[0:1]
	s_cbranch_execz .LBB2367_113
; %bb.108:
	v_cmp_lt_i64_e32 vcc, 3, v[0:1]
	s_and_saveexec_b64 s[2:3], vcc
	s_xor_b64 s[2:3], exec, s[2:3]
	s_cbranch_execz .LBB2367_110
; %bb.109:
	v_mov_b32_e32 v0, 0
	s_waitcnt lgkmcnt(0)
	global_store_dword v0, v4, s[18:19]
                                        ; implicit-def: $vgpr6_vgpr7
.LBB2367_110:
	s_andn2_saveexec_b64 s[2:3], s[2:3]
	s_cbranch_execz .LBB2367_112
; %bb.111:
	v_mov_b32_e32 v0, 0
	s_waitcnt lgkmcnt(0)
	global_store_dword v0, v7, s[18:19]
.LBB2367_112:
	s_or_b64 exec, exec, s[2:3]
                                        ; implicit-def: $vgpr0_vgpr1
                                        ; implicit-def: $vgpr6_vgpr7
                                        ; implicit-def: $vgpr2_vgpr3
.LBB2367_113:
	s_andn2_saveexec_b64 s[0:1], s[0:1]
	s_cbranch_execz .LBB2367_121
; %bb.114:
	v_cmp_lt_i64_e32 vcc, 1, v[0:1]
	s_and_saveexec_b64 s[0:1], vcc
	s_xor_b64 s[0:1], exec, s[0:1]
	s_cbranch_execz .LBB2367_116
; %bb.115:
	v_mov_b32_e32 v0, 0
	s_waitcnt lgkmcnt(0)
	global_store_dword v0, v6, s[18:19]
                                        ; implicit-def: $vgpr2_vgpr3
                                        ; implicit-def: $vgpr0_vgpr1
.LBB2367_116:
	s_andn2_saveexec_b64 s[0:1], s[0:1]
	s_cbranch_execz .LBB2367_121
; %bb.117:
	v_cmp_ne_u64_e32 vcc, 1, v[0:1]
	s_and_saveexec_b64 s[0:1], vcc
	s_xor_b64 s[0:1], exec, s[0:1]
	s_cbranch_execz .LBB2367_119
; %bb.118:
	v_mov_b32_e32 v0, 0
	s_waitcnt lgkmcnt(0)
	global_store_dword v0, v2, s[18:19]
                                        ; implicit-def: $vgpr2_vgpr3
.LBB2367_119:
	s_andn2_saveexec_b64 s[0:1], s[0:1]
	s_cbranch_execz .LBB2367_121
; %bb.120:
	v_mov_b32_e32 v0, 0
	s_waitcnt lgkmcnt(0)
	global_store_dword v0, v3, s[18:19]
.LBB2367_121:
	s_endpgm
	.section	.rodata,"a",@progbits
	.p2align	6, 0x0
	.amdhsa_kernel _ZN7rocprim17ROCPRIM_400000_NS6detail17trampoline_kernelINS0_14default_configENS1_20scan_config_selectorIjEEZZNS1_9scan_implILNS1_25lookback_scan_determinismE0ELb1ELb1ES3_N6thrust23THRUST_200600_302600_NS6detail15normal_iteratorINS9_10device_ptrIjEEEESE_j11max_functorIjEjEEDaPvRmT3_T4_T5_mT6_P12ihipStream_tbENKUlT_T0_E_clISt17integral_constantIbLb1EEST_IbLb0EEEEDaSP_SQ_EUlSP_E_NS1_11comp_targetILNS1_3genE4ELNS1_11target_archE910ELNS1_3gpuE8ELNS1_3repE0EEENS1_30default_config_static_selectorELNS0_4arch9wavefront6targetE1EEEvT1_
		.amdhsa_group_segment_fixed_size 5120
		.amdhsa_private_segment_fixed_size 0
		.amdhsa_kernarg_size 96
		.amdhsa_user_sgpr_count 6
		.amdhsa_user_sgpr_private_segment_buffer 1
		.amdhsa_user_sgpr_dispatch_ptr 0
		.amdhsa_user_sgpr_queue_ptr 0
		.amdhsa_user_sgpr_kernarg_segment_ptr 1
		.amdhsa_user_sgpr_dispatch_id 0
		.amdhsa_user_sgpr_flat_scratch_init 0
		.amdhsa_user_sgpr_kernarg_preload_length 0
		.amdhsa_user_sgpr_kernarg_preload_offset 0
		.amdhsa_user_sgpr_private_segment_size 0
		.amdhsa_uses_dynamic_stack 0
		.amdhsa_system_sgpr_private_segment_wavefront_offset 0
		.amdhsa_system_sgpr_workgroup_id_x 1
		.amdhsa_system_sgpr_workgroup_id_y 0
		.amdhsa_system_sgpr_workgroup_id_z 0
		.amdhsa_system_sgpr_workgroup_info 0
		.amdhsa_system_vgpr_workitem_id 0
		.amdhsa_next_free_vgpr 41
		.amdhsa_next_free_sgpr 32
		.amdhsa_accum_offset 44
		.amdhsa_reserve_vcc 1
		.amdhsa_reserve_flat_scratch 0
		.amdhsa_float_round_mode_32 0
		.amdhsa_float_round_mode_16_64 0
		.amdhsa_float_denorm_mode_32 3
		.amdhsa_float_denorm_mode_16_64 3
		.amdhsa_dx10_clamp 1
		.amdhsa_ieee_mode 1
		.amdhsa_fp16_overflow 0
		.amdhsa_tg_split 0
		.amdhsa_exception_fp_ieee_invalid_op 0
		.amdhsa_exception_fp_denorm_src 0
		.amdhsa_exception_fp_ieee_div_zero 0
		.amdhsa_exception_fp_ieee_overflow 0
		.amdhsa_exception_fp_ieee_underflow 0
		.amdhsa_exception_fp_ieee_inexact 0
		.amdhsa_exception_int_div_zero 0
	.end_amdhsa_kernel
	.section	.text._ZN7rocprim17ROCPRIM_400000_NS6detail17trampoline_kernelINS0_14default_configENS1_20scan_config_selectorIjEEZZNS1_9scan_implILNS1_25lookback_scan_determinismE0ELb1ELb1ES3_N6thrust23THRUST_200600_302600_NS6detail15normal_iteratorINS9_10device_ptrIjEEEESE_j11max_functorIjEjEEDaPvRmT3_T4_T5_mT6_P12ihipStream_tbENKUlT_T0_E_clISt17integral_constantIbLb1EEST_IbLb0EEEEDaSP_SQ_EUlSP_E_NS1_11comp_targetILNS1_3genE4ELNS1_11target_archE910ELNS1_3gpuE8ELNS1_3repE0EEENS1_30default_config_static_selectorELNS0_4arch9wavefront6targetE1EEEvT1_,"axG",@progbits,_ZN7rocprim17ROCPRIM_400000_NS6detail17trampoline_kernelINS0_14default_configENS1_20scan_config_selectorIjEEZZNS1_9scan_implILNS1_25lookback_scan_determinismE0ELb1ELb1ES3_N6thrust23THRUST_200600_302600_NS6detail15normal_iteratorINS9_10device_ptrIjEEEESE_j11max_functorIjEjEEDaPvRmT3_T4_T5_mT6_P12ihipStream_tbENKUlT_T0_E_clISt17integral_constantIbLb1EEST_IbLb0EEEEDaSP_SQ_EUlSP_E_NS1_11comp_targetILNS1_3genE4ELNS1_11target_archE910ELNS1_3gpuE8ELNS1_3repE0EEENS1_30default_config_static_selectorELNS0_4arch9wavefront6targetE1EEEvT1_,comdat
.Lfunc_end2367:
	.size	_ZN7rocprim17ROCPRIM_400000_NS6detail17trampoline_kernelINS0_14default_configENS1_20scan_config_selectorIjEEZZNS1_9scan_implILNS1_25lookback_scan_determinismE0ELb1ELb1ES3_N6thrust23THRUST_200600_302600_NS6detail15normal_iteratorINS9_10device_ptrIjEEEESE_j11max_functorIjEjEEDaPvRmT3_T4_T5_mT6_P12ihipStream_tbENKUlT_T0_E_clISt17integral_constantIbLb1EEST_IbLb0EEEEDaSP_SQ_EUlSP_E_NS1_11comp_targetILNS1_3genE4ELNS1_11target_archE910ELNS1_3gpuE8ELNS1_3repE0EEENS1_30default_config_static_selectorELNS0_4arch9wavefront6targetE1EEEvT1_, .Lfunc_end2367-_ZN7rocprim17ROCPRIM_400000_NS6detail17trampoline_kernelINS0_14default_configENS1_20scan_config_selectorIjEEZZNS1_9scan_implILNS1_25lookback_scan_determinismE0ELb1ELb1ES3_N6thrust23THRUST_200600_302600_NS6detail15normal_iteratorINS9_10device_ptrIjEEEESE_j11max_functorIjEjEEDaPvRmT3_T4_T5_mT6_P12ihipStream_tbENKUlT_T0_E_clISt17integral_constantIbLb1EEST_IbLb0EEEEDaSP_SQ_EUlSP_E_NS1_11comp_targetILNS1_3genE4ELNS1_11target_archE910ELNS1_3gpuE8ELNS1_3repE0EEENS1_30default_config_static_selectorELNS0_4arch9wavefront6targetE1EEEvT1_
                                        ; -- End function
	.section	.AMDGPU.csdata,"",@progbits
; Kernel info:
; codeLenInByte = 4500
; NumSgprs: 36
; NumVgprs: 41
; NumAgprs: 0
; TotalNumVgprs: 41
; ScratchSize: 0
; MemoryBound: 0
; FloatMode: 240
; IeeeMode: 1
; LDSByteSize: 5120 bytes/workgroup (compile time only)
; SGPRBlocks: 4
; VGPRBlocks: 5
; NumSGPRsForWavesPerEU: 36
; NumVGPRsForWavesPerEU: 41
; AccumOffset: 44
; Occupancy: 6
; WaveLimiterHint : 1
; COMPUTE_PGM_RSRC2:SCRATCH_EN: 0
; COMPUTE_PGM_RSRC2:USER_SGPR: 6
; COMPUTE_PGM_RSRC2:TRAP_HANDLER: 0
; COMPUTE_PGM_RSRC2:TGID_X_EN: 1
; COMPUTE_PGM_RSRC2:TGID_Y_EN: 0
; COMPUTE_PGM_RSRC2:TGID_Z_EN: 0
; COMPUTE_PGM_RSRC2:TIDIG_COMP_CNT: 0
; COMPUTE_PGM_RSRC3_GFX90A:ACCUM_OFFSET: 10
; COMPUTE_PGM_RSRC3_GFX90A:TG_SPLIT: 0
	.section	.text._ZN7rocprim17ROCPRIM_400000_NS6detail17trampoline_kernelINS0_14default_configENS1_20scan_config_selectorIjEEZZNS1_9scan_implILNS1_25lookback_scan_determinismE0ELb1ELb1ES3_N6thrust23THRUST_200600_302600_NS6detail15normal_iteratorINS9_10device_ptrIjEEEESE_j11max_functorIjEjEEDaPvRmT3_T4_T5_mT6_P12ihipStream_tbENKUlT_T0_E_clISt17integral_constantIbLb1EEST_IbLb0EEEEDaSP_SQ_EUlSP_E_NS1_11comp_targetILNS1_3genE3ELNS1_11target_archE908ELNS1_3gpuE7ELNS1_3repE0EEENS1_30default_config_static_selectorELNS0_4arch9wavefront6targetE1EEEvT1_,"axG",@progbits,_ZN7rocprim17ROCPRIM_400000_NS6detail17trampoline_kernelINS0_14default_configENS1_20scan_config_selectorIjEEZZNS1_9scan_implILNS1_25lookback_scan_determinismE0ELb1ELb1ES3_N6thrust23THRUST_200600_302600_NS6detail15normal_iteratorINS9_10device_ptrIjEEEESE_j11max_functorIjEjEEDaPvRmT3_T4_T5_mT6_P12ihipStream_tbENKUlT_T0_E_clISt17integral_constantIbLb1EEST_IbLb0EEEEDaSP_SQ_EUlSP_E_NS1_11comp_targetILNS1_3genE3ELNS1_11target_archE908ELNS1_3gpuE7ELNS1_3repE0EEENS1_30default_config_static_selectorELNS0_4arch9wavefront6targetE1EEEvT1_,comdat
	.protected	_ZN7rocprim17ROCPRIM_400000_NS6detail17trampoline_kernelINS0_14default_configENS1_20scan_config_selectorIjEEZZNS1_9scan_implILNS1_25lookback_scan_determinismE0ELb1ELb1ES3_N6thrust23THRUST_200600_302600_NS6detail15normal_iteratorINS9_10device_ptrIjEEEESE_j11max_functorIjEjEEDaPvRmT3_T4_T5_mT6_P12ihipStream_tbENKUlT_T0_E_clISt17integral_constantIbLb1EEST_IbLb0EEEEDaSP_SQ_EUlSP_E_NS1_11comp_targetILNS1_3genE3ELNS1_11target_archE908ELNS1_3gpuE7ELNS1_3repE0EEENS1_30default_config_static_selectorELNS0_4arch9wavefront6targetE1EEEvT1_ ; -- Begin function _ZN7rocprim17ROCPRIM_400000_NS6detail17trampoline_kernelINS0_14default_configENS1_20scan_config_selectorIjEEZZNS1_9scan_implILNS1_25lookback_scan_determinismE0ELb1ELb1ES3_N6thrust23THRUST_200600_302600_NS6detail15normal_iteratorINS9_10device_ptrIjEEEESE_j11max_functorIjEjEEDaPvRmT3_T4_T5_mT6_P12ihipStream_tbENKUlT_T0_E_clISt17integral_constantIbLb1EEST_IbLb0EEEEDaSP_SQ_EUlSP_E_NS1_11comp_targetILNS1_3genE3ELNS1_11target_archE908ELNS1_3gpuE7ELNS1_3repE0EEENS1_30default_config_static_selectorELNS0_4arch9wavefront6targetE1EEEvT1_
	.globl	_ZN7rocprim17ROCPRIM_400000_NS6detail17trampoline_kernelINS0_14default_configENS1_20scan_config_selectorIjEEZZNS1_9scan_implILNS1_25lookback_scan_determinismE0ELb1ELb1ES3_N6thrust23THRUST_200600_302600_NS6detail15normal_iteratorINS9_10device_ptrIjEEEESE_j11max_functorIjEjEEDaPvRmT3_T4_T5_mT6_P12ihipStream_tbENKUlT_T0_E_clISt17integral_constantIbLb1EEST_IbLb0EEEEDaSP_SQ_EUlSP_E_NS1_11comp_targetILNS1_3genE3ELNS1_11target_archE908ELNS1_3gpuE7ELNS1_3repE0EEENS1_30default_config_static_selectorELNS0_4arch9wavefront6targetE1EEEvT1_
	.p2align	8
	.type	_ZN7rocprim17ROCPRIM_400000_NS6detail17trampoline_kernelINS0_14default_configENS1_20scan_config_selectorIjEEZZNS1_9scan_implILNS1_25lookback_scan_determinismE0ELb1ELb1ES3_N6thrust23THRUST_200600_302600_NS6detail15normal_iteratorINS9_10device_ptrIjEEEESE_j11max_functorIjEjEEDaPvRmT3_T4_T5_mT6_P12ihipStream_tbENKUlT_T0_E_clISt17integral_constantIbLb1EEST_IbLb0EEEEDaSP_SQ_EUlSP_E_NS1_11comp_targetILNS1_3genE3ELNS1_11target_archE908ELNS1_3gpuE7ELNS1_3repE0EEENS1_30default_config_static_selectorELNS0_4arch9wavefront6targetE1EEEvT1_,@function
_ZN7rocprim17ROCPRIM_400000_NS6detail17trampoline_kernelINS0_14default_configENS1_20scan_config_selectorIjEEZZNS1_9scan_implILNS1_25lookback_scan_determinismE0ELb1ELb1ES3_N6thrust23THRUST_200600_302600_NS6detail15normal_iteratorINS9_10device_ptrIjEEEESE_j11max_functorIjEjEEDaPvRmT3_T4_T5_mT6_P12ihipStream_tbENKUlT_T0_E_clISt17integral_constantIbLb1EEST_IbLb0EEEEDaSP_SQ_EUlSP_E_NS1_11comp_targetILNS1_3genE3ELNS1_11target_archE908ELNS1_3gpuE7ELNS1_3repE0EEENS1_30default_config_static_selectorELNS0_4arch9wavefront6targetE1EEEvT1_: ; @_ZN7rocprim17ROCPRIM_400000_NS6detail17trampoline_kernelINS0_14default_configENS1_20scan_config_selectorIjEEZZNS1_9scan_implILNS1_25lookback_scan_determinismE0ELb1ELb1ES3_N6thrust23THRUST_200600_302600_NS6detail15normal_iteratorINS9_10device_ptrIjEEEESE_j11max_functorIjEjEEDaPvRmT3_T4_T5_mT6_P12ihipStream_tbENKUlT_T0_E_clISt17integral_constantIbLb1EEST_IbLb0EEEEDaSP_SQ_EUlSP_E_NS1_11comp_targetILNS1_3genE3ELNS1_11target_archE908ELNS1_3gpuE7ELNS1_3repE0EEENS1_30default_config_static_selectorELNS0_4arch9wavefront6targetE1EEEvT1_
; %bb.0:
	.section	.rodata,"a",@progbits
	.p2align	6, 0x0
	.amdhsa_kernel _ZN7rocprim17ROCPRIM_400000_NS6detail17trampoline_kernelINS0_14default_configENS1_20scan_config_selectorIjEEZZNS1_9scan_implILNS1_25lookback_scan_determinismE0ELb1ELb1ES3_N6thrust23THRUST_200600_302600_NS6detail15normal_iteratorINS9_10device_ptrIjEEEESE_j11max_functorIjEjEEDaPvRmT3_T4_T5_mT6_P12ihipStream_tbENKUlT_T0_E_clISt17integral_constantIbLb1EEST_IbLb0EEEEDaSP_SQ_EUlSP_E_NS1_11comp_targetILNS1_3genE3ELNS1_11target_archE908ELNS1_3gpuE7ELNS1_3repE0EEENS1_30default_config_static_selectorELNS0_4arch9wavefront6targetE1EEEvT1_
		.amdhsa_group_segment_fixed_size 0
		.amdhsa_private_segment_fixed_size 0
		.amdhsa_kernarg_size 96
		.amdhsa_user_sgpr_count 6
		.amdhsa_user_sgpr_private_segment_buffer 1
		.amdhsa_user_sgpr_dispatch_ptr 0
		.amdhsa_user_sgpr_queue_ptr 0
		.amdhsa_user_sgpr_kernarg_segment_ptr 1
		.amdhsa_user_sgpr_dispatch_id 0
		.amdhsa_user_sgpr_flat_scratch_init 0
		.amdhsa_user_sgpr_kernarg_preload_length 0
		.amdhsa_user_sgpr_kernarg_preload_offset 0
		.amdhsa_user_sgpr_private_segment_size 0
		.amdhsa_uses_dynamic_stack 0
		.amdhsa_system_sgpr_private_segment_wavefront_offset 0
		.amdhsa_system_sgpr_workgroup_id_x 1
		.amdhsa_system_sgpr_workgroup_id_y 0
		.amdhsa_system_sgpr_workgroup_id_z 0
		.amdhsa_system_sgpr_workgroup_info 0
		.amdhsa_system_vgpr_workitem_id 0
		.amdhsa_next_free_vgpr 1
		.amdhsa_next_free_sgpr 0
		.amdhsa_accum_offset 4
		.amdhsa_reserve_vcc 0
		.amdhsa_reserve_flat_scratch 0
		.amdhsa_float_round_mode_32 0
		.amdhsa_float_round_mode_16_64 0
		.amdhsa_float_denorm_mode_32 3
		.amdhsa_float_denorm_mode_16_64 3
		.amdhsa_dx10_clamp 1
		.amdhsa_ieee_mode 1
		.amdhsa_fp16_overflow 0
		.amdhsa_tg_split 0
		.amdhsa_exception_fp_ieee_invalid_op 0
		.amdhsa_exception_fp_denorm_src 0
		.amdhsa_exception_fp_ieee_div_zero 0
		.amdhsa_exception_fp_ieee_overflow 0
		.amdhsa_exception_fp_ieee_underflow 0
		.amdhsa_exception_fp_ieee_inexact 0
		.amdhsa_exception_int_div_zero 0
	.end_amdhsa_kernel
	.section	.text._ZN7rocprim17ROCPRIM_400000_NS6detail17trampoline_kernelINS0_14default_configENS1_20scan_config_selectorIjEEZZNS1_9scan_implILNS1_25lookback_scan_determinismE0ELb1ELb1ES3_N6thrust23THRUST_200600_302600_NS6detail15normal_iteratorINS9_10device_ptrIjEEEESE_j11max_functorIjEjEEDaPvRmT3_T4_T5_mT6_P12ihipStream_tbENKUlT_T0_E_clISt17integral_constantIbLb1EEST_IbLb0EEEEDaSP_SQ_EUlSP_E_NS1_11comp_targetILNS1_3genE3ELNS1_11target_archE908ELNS1_3gpuE7ELNS1_3repE0EEENS1_30default_config_static_selectorELNS0_4arch9wavefront6targetE1EEEvT1_,"axG",@progbits,_ZN7rocprim17ROCPRIM_400000_NS6detail17trampoline_kernelINS0_14default_configENS1_20scan_config_selectorIjEEZZNS1_9scan_implILNS1_25lookback_scan_determinismE0ELb1ELb1ES3_N6thrust23THRUST_200600_302600_NS6detail15normal_iteratorINS9_10device_ptrIjEEEESE_j11max_functorIjEjEEDaPvRmT3_T4_T5_mT6_P12ihipStream_tbENKUlT_T0_E_clISt17integral_constantIbLb1EEST_IbLb0EEEEDaSP_SQ_EUlSP_E_NS1_11comp_targetILNS1_3genE3ELNS1_11target_archE908ELNS1_3gpuE7ELNS1_3repE0EEENS1_30default_config_static_selectorELNS0_4arch9wavefront6targetE1EEEvT1_,comdat
.Lfunc_end2368:
	.size	_ZN7rocprim17ROCPRIM_400000_NS6detail17trampoline_kernelINS0_14default_configENS1_20scan_config_selectorIjEEZZNS1_9scan_implILNS1_25lookback_scan_determinismE0ELb1ELb1ES3_N6thrust23THRUST_200600_302600_NS6detail15normal_iteratorINS9_10device_ptrIjEEEESE_j11max_functorIjEjEEDaPvRmT3_T4_T5_mT6_P12ihipStream_tbENKUlT_T0_E_clISt17integral_constantIbLb1EEST_IbLb0EEEEDaSP_SQ_EUlSP_E_NS1_11comp_targetILNS1_3genE3ELNS1_11target_archE908ELNS1_3gpuE7ELNS1_3repE0EEENS1_30default_config_static_selectorELNS0_4arch9wavefront6targetE1EEEvT1_, .Lfunc_end2368-_ZN7rocprim17ROCPRIM_400000_NS6detail17trampoline_kernelINS0_14default_configENS1_20scan_config_selectorIjEEZZNS1_9scan_implILNS1_25lookback_scan_determinismE0ELb1ELb1ES3_N6thrust23THRUST_200600_302600_NS6detail15normal_iteratorINS9_10device_ptrIjEEEESE_j11max_functorIjEjEEDaPvRmT3_T4_T5_mT6_P12ihipStream_tbENKUlT_T0_E_clISt17integral_constantIbLb1EEST_IbLb0EEEEDaSP_SQ_EUlSP_E_NS1_11comp_targetILNS1_3genE3ELNS1_11target_archE908ELNS1_3gpuE7ELNS1_3repE0EEENS1_30default_config_static_selectorELNS0_4arch9wavefront6targetE1EEEvT1_
                                        ; -- End function
	.section	.AMDGPU.csdata,"",@progbits
; Kernel info:
; codeLenInByte = 0
; NumSgprs: 4
; NumVgprs: 0
; NumAgprs: 0
; TotalNumVgprs: 0
; ScratchSize: 0
; MemoryBound: 0
; FloatMode: 240
; IeeeMode: 1
; LDSByteSize: 0 bytes/workgroup (compile time only)
; SGPRBlocks: 0
; VGPRBlocks: 0
; NumSGPRsForWavesPerEU: 4
; NumVGPRsForWavesPerEU: 1
; AccumOffset: 4
; Occupancy: 8
; WaveLimiterHint : 0
; COMPUTE_PGM_RSRC2:SCRATCH_EN: 0
; COMPUTE_PGM_RSRC2:USER_SGPR: 6
; COMPUTE_PGM_RSRC2:TRAP_HANDLER: 0
; COMPUTE_PGM_RSRC2:TGID_X_EN: 1
; COMPUTE_PGM_RSRC2:TGID_Y_EN: 0
; COMPUTE_PGM_RSRC2:TGID_Z_EN: 0
; COMPUTE_PGM_RSRC2:TIDIG_COMP_CNT: 0
; COMPUTE_PGM_RSRC3_GFX90A:ACCUM_OFFSET: 0
; COMPUTE_PGM_RSRC3_GFX90A:TG_SPLIT: 0
	.section	.text._ZN7rocprim17ROCPRIM_400000_NS6detail17trampoline_kernelINS0_14default_configENS1_20scan_config_selectorIjEEZZNS1_9scan_implILNS1_25lookback_scan_determinismE0ELb1ELb1ES3_N6thrust23THRUST_200600_302600_NS6detail15normal_iteratorINS9_10device_ptrIjEEEESE_j11max_functorIjEjEEDaPvRmT3_T4_T5_mT6_P12ihipStream_tbENKUlT_T0_E_clISt17integral_constantIbLb1EEST_IbLb0EEEEDaSP_SQ_EUlSP_E_NS1_11comp_targetILNS1_3genE2ELNS1_11target_archE906ELNS1_3gpuE6ELNS1_3repE0EEENS1_30default_config_static_selectorELNS0_4arch9wavefront6targetE1EEEvT1_,"axG",@progbits,_ZN7rocprim17ROCPRIM_400000_NS6detail17trampoline_kernelINS0_14default_configENS1_20scan_config_selectorIjEEZZNS1_9scan_implILNS1_25lookback_scan_determinismE0ELb1ELb1ES3_N6thrust23THRUST_200600_302600_NS6detail15normal_iteratorINS9_10device_ptrIjEEEESE_j11max_functorIjEjEEDaPvRmT3_T4_T5_mT6_P12ihipStream_tbENKUlT_T0_E_clISt17integral_constantIbLb1EEST_IbLb0EEEEDaSP_SQ_EUlSP_E_NS1_11comp_targetILNS1_3genE2ELNS1_11target_archE906ELNS1_3gpuE6ELNS1_3repE0EEENS1_30default_config_static_selectorELNS0_4arch9wavefront6targetE1EEEvT1_,comdat
	.protected	_ZN7rocprim17ROCPRIM_400000_NS6detail17trampoline_kernelINS0_14default_configENS1_20scan_config_selectorIjEEZZNS1_9scan_implILNS1_25lookback_scan_determinismE0ELb1ELb1ES3_N6thrust23THRUST_200600_302600_NS6detail15normal_iteratorINS9_10device_ptrIjEEEESE_j11max_functorIjEjEEDaPvRmT3_T4_T5_mT6_P12ihipStream_tbENKUlT_T0_E_clISt17integral_constantIbLb1EEST_IbLb0EEEEDaSP_SQ_EUlSP_E_NS1_11comp_targetILNS1_3genE2ELNS1_11target_archE906ELNS1_3gpuE6ELNS1_3repE0EEENS1_30default_config_static_selectorELNS0_4arch9wavefront6targetE1EEEvT1_ ; -- Begin function _ZN7rocprim17ROCPRIM_400000_NS6detail17trampoline_kernelINS0_14default_configENS1_20scan_config_selectorIjEEZZNS1_9scan_implILNS1_25lookback_scan_determinismE0ELb1ELb1ES3_N6thrust23THRUST_200600_302600_NS6detail15normal_iteratorINS9_10device_ptrIjEEEESE_j11max_functorIjEjEEDaPvRmT3_T4_T5_mT6_P12ihipStream_tbENKUlT_T0_E_clISt17integral_constantIbLb1EEST_IbLb0EEEEDaSP_SQ_EUlSP_E_NS1_11comp_targetILNS1_3genE2ELNS1_11target_archE906ELNS1_3gpuE6ELNS1_3repE0EEENS1_30default_config_static_selectorELNS0_4arch9wavefront6targetE1EEEvT1_
	.globl	_ZN7rocprim17ROCPRIM_400000_NS6detail17trampoline_kernelINS0_14default_configENS1_20scan_config_selectorIjEEZZNS1_9scan_implILNS1_25lookback_scan_determinismE0ELb1ELb1ES3_N6thrust23THRUST_200600_302600_NS6detail15normal_iteratorINS9_10device_ptrIjEEEESE_j11max_functorIjEjEEDaPvRmT3_T4_T5_mT6_P12ihipStream_tbENKUlT_T0_E_clISt17integral_constantIbLb1EEST_IbLb0EEEEDaSP_SQ_EUlSP_E_NS1_11comp_targetILNS1_3genE2ELNS1_11target_archE906ELNS1_3gpuE6ELNS1_3repE0EEENS1_30default_config_static_selectorELNS0_4arch9wavefront6targetE1EEEvT1_
	.p2align	8
	.type	_ZN7rocprim17ROCPRIM_400000_NS6detail17trampoline_kernelINS0_14default_configENS1_20scan_config_selectorIjEEZZNS1_9scan_implILNS1_25lookback_scan_determinismE0ELb1ELb1ES3_N6thrust23THRUST_200600_302600_NS6detail15normal_iteratorINS9_10device_ptrIjEEEESE_j11max_functorIjEjEEDaPvRmT3_T4_T5_mT6_P12ihipStream_tbENKUlT_T0_E_clISt17integral_constantIbLb1EEST_IbLb0EEEEDaSP_SQ_EUlSP_E_NS1_11comp_targetILNS1_3genE2ELNS1_11target_archE906ELNS1_3gpuE6ELNS1_3repE0EEENS1_30default_config_static_selectorELNS0_4arch9wavefront6targetE1EEEvT1_,@function
_ZN7rocprim17ROCPRIM_400000_NS6detail17trampoline_kernelINS0_14default_configENS1_20scan_config_selectorIjEEZZNS1_9scan_implILNS1_25lookback_scan_determinismE0ELb1ELb1ES3_N6thrust23THRUST_200600_302600_NS6detail15normal_iteratorINS9_10device_ptrIjEEEESE_j11max_functorIjEjEEDaPvRmT3_T4_T5_mT6_P12ihipStream_tbENKUlT_T0_E_clISt17integral_constantIbLb1EEST_IbLb0EEEEDaSP_SQ_EUlSP_E_NS1_11comp_targetILNS1_3genE2ELNS1_11target_archE906ELNS1_3gpuE6ELNS1_3repE0EEENS1_30default_config_static_selectorELNS0_4arch9wavefront6targetE1EEEvT1_: ; @_ZN7rocprim17ROCPRIM_400000_NS6detail17trampoline_kernelINS0_14default_configENS1_20scan_config_selectorIjEEZZNS1_9scan_implILNS1_25lookback_scan_determinismE0ELb1ELb1ES3_N6thrust23THRUST_200600_302600_NS6detail15normal_iteratorINS9_10device_ptrIjEEEESE_j11max_functorIjEjEEDaPvRmT3_T4_T5_mT6_P12ihipStream_tbENKUlT_T0_E_clISt17integral_constantIbLb1EEST_IbLb0EEEEDaSP_SQ_EUlSP_E_NS1_11comp_targetILNS1_3genE2ELNS1_11target_archE906ELNS1_3gpuE6ELNS1_3repE0EEENS1_30default_config_static_selectorELNS0_4arch9wavefront6targetE1EEEvT1_
; %bb.0:
	.section	.rodata,"a",@progbits
	.p2align	6, 0x0
	.amdhsa_kernel _ZN7rocprim17ROCPRIM_400000_NS6detail17trampoline_kernelINS0_14default_configENS1_20scan_config_selectorIjEEZZNS1_9scan_implILNS1_25lookback_scan_determinismE0ELb1ELb1ES3_N6thrust23THRUST_200600_302600_NS6detail15normal_iteratorINS9_10device_ptrIjEEEESE_j11max_functorIjEjEEDaPvRmT3_T4_T5_mT6_P12ihipStream_tbENKUlT_T0_E_clISt17integral_constantIbLb1EEST_IbLb0EEEEDaSP_SQ_EUlSP_E_NS1_11comp_targetILNS1_3genE2ELNS1_11target_archE906ELNS1_3gpuE6ELNS1_3repE0EEENS1_30default_config_static_selectorELNS0_4arch9wavefront6targetE1EEEvT1_
		.amdhsa_group_segment_fixed_size 0
		.amdhsa_private_segment_fixed_size 0
		.amdhsa_kernarg_size 96
		.amdhsa_user_sgpr_count 6
		.amdhsa_user_sgpr_private_segment_buffer 1
		.amdhsa_user_sgpr_dispatch_ptr 0
		.amdhsa_user_sgpr_queue_ptr 0
		.amdhsa_user_sgpr_kernarg_segment_ptr 1
		.amdhsa_user_sgpr_dispatch_id 0
		.amdhsa_user_sgpr_flat_scratch_init 0
		.amdhsa_user_sgpr_kernarg_preload_length 0
		.amdhsa_user_sgpr_kernarg_preload_offset 0
		.amdhsa_user_sgpr_private_segment_size 0
		.amdhsa_uses_dynamic_stack 0
		.amdhsa_system_sgpr_private_segment_wavefront_offset 0
		.amdhsa_system_sgpr_workgroup_id_x 1
		.amdhsa_system_sgpr_workgroup_id_y 0
		.amdhsa_system_sgpr_workgroup_id_z 0
		.amdhsa_system_sgpr_workgroup_info 0
		.amdhsa_system_vgpr_workitem_id 0
		.amdhsa_next_free_vgpr 1
		.amdhsa_next_free_sgpr 0
		.amdhsa_accum_offset 4
		.amdhsa_reserve_vcc 0
		.amdhsa_reserve_flat_scratch 0
		.amdhsa_float_round_mode_32 0
		.amdhsa_float_round_mode_16_64 0
		.amdhsa_float_denorm_mode_32 3
		.amdhsa_float_denorm_mode_16_64 3
		.amdhsa_dx10_clamp 1
		.amdhsa_ieee_mode 1
		.amdhsa_fp16_overflow 0
		.amdhsa_tg_split 0
		.amdhsa_exception_fp_ieee_invalid_op 0
		.amdhsa_exception_fp_denorm_src 0
		.amdhsa_exception_fp_ieee_div_zero 0
		.amdhsa_exception_fp_ieee_overflow 0
		.amdhsa_exception_fp_ieee_underflow 0
		.amdhsa_exception_fp_ieee_inexact 0
		.amdhsa_exception_int_div_zero 0
	.end_amdhsa_kernel
	.section	.text._ZN7rocprim17ROCPRIM_400000_NS6detail17trampoline_kernelINS0_14default_configENS1_20scan_config_selectorIjEEZZNS1_9scan_implILNS1_25lookback_scan_determinismE0ELb1ELb1ES3_N6thrust23THRUST_200600_302600_NS6detail15normal_iteratorINS9_10device_ptrIjEEEESE_j11max_functorIjEjEEDaPvRmT3_T4_T5_mT6_P12ihipStream_tbENKUlT_T0_E_clISt17integral_constantIbLb1EEST_IbLb0EEEEDaSP_SQ_EUlSP_E_NS1_11comp_targetILNS1_3genE2ELNS1_11target_archE906ELNS1_3gpuE6ELNS1_3repE0EEENS1_30default_config_static_selectorELNS0_4arch9wavefront6targetE1EEEvT1_,"axG",@progbits,_ZN7rocprim17ROCPRIM_400000_NS6detail17trampoline_kernelINS0_14default_configENS1_20scan_config_selectorIjEEZZNS1_9scan_implILNS1_25lookback_scan_determinismE0ELb1ELb1ES3_N6thrust23THRUST_200600_302600_NS6detail15normal_iteratorINS9_10device_ptrIjEEEESE_j11max_functorIjEjEEDaPvRmT3_T4_T5_mT6_P12ihipStream_tbENKUlT_T0_E_clISt17integral_constantIbLb1EEST_IbLb0EEEEDaSP_SQ_EUlSP_E_NS1_11comp_targetILNS1_3genE2ELNS1_11target_archE906ELNS1_3gpuE6ELNS1_3repE0EEENS1_30default_config_static_selectorELNS0_4arch9wavefront6targetE1EEEvT1_,comdat
.Lfunc_end2369:
	.size	_ZN7rocprim17ROCPRIM_400000_NS6detail17trampoline_kernelINS0_14default_configENS1_20scan_config_selectorIjEEZZNS1_9scan_implILNS1_25lookback_scan_determinismE0ELb1ELb1ES3_N6thrust23THRUST_200600_302600_NS6detail15normal_iteratorINS9_10device_ptrIjEEEESE_j11max_functorIjEjEEDaPvRmT3_T4_T5_mT6_P12ihipStream_tbENKUlT_T0_E_clISt17integral_constantIbLb1EEST_IbLb0EEEEDaSP_SQ_EUlSP_E_NS1_11comp_targetILNS1_3genE2ELNS1_11target_archE906ELNS1_3gpuE6ELNS1_3repE0EEENS1_30default_config_static_selectorELNS0_4arch9wavefront6targetE1EEEvT1_, .Lfunc_end2369-_ZN7rocprim17ROCPRIM_400000_NS6detail17trampoline_kernelINS0_14default_configENS1_20scan_config_selectorIjEEZZNS1_9scan_implILNS1_25lookback_scan_determinismE0ELb1ELb1ES3_N6thrust23THRUST_200600_302600_NS6detail15normal_iteratorINS9_10device_ptrIjEEEESE_j11max_functorIjEjEEDaPvRmT3_T4_T5_mT6_P12ihipStream_tbENKUlT_T0_E_clISt17integral_constantIbLb1EEST_IbLb0EEEEDaSP_SQ_EUlSP_E_NS1_11comp_targetILNS1_3genE2ELNS1_11target_archE906ELNS1_3gpuE6ELNS1_3repE0EEENS1_30default_config_static_selectorELNS0_4arch9wavefront6targetE1EEEvT1_
                                        ; -- End function
	.section	.AMDGPU.csdata,"",@progbits
; Kernel info:
; codeLenInByte = 0
; NumSgprs: 4
; NumVgprs: 0
; NumAgprs: 0
; TotalNumVgprs: 0
; ScratchSize: 0
; MemoryBound: 0
; FloatMode: 240
; IeeeMode: 1
; LDSByteSize: 0 bytes/workgroup (compile time only)
; SGPRBlocks: 0
; VGPRBlocks: 0
; NumSGPRsForWavesPerEU: 4
; NumVGPRsForWavesPerEU: 1
; AccumOffset: 4
; Occupancy: 8
; WaveLimiterHint : 0
; COMPUTE_PGM_RSRC2:SCRATCH_EN: 0
; COMPUTE_PGM_RSRC2:USER_SGPR: 6
; COMPUTE_PGM_RSRC2:TRAP_HANDLER: 0
; COMPUTE_PGM_RSRC2:TGID_X_EN: 1
; COMPUTE_PGM_RSRC2:TGID_Y_EN: 0
; COMPUTE_PGM_RSRC2:TGID_Z_EN: 0
; COMPUTE_PGM_RSRC2:TIDIG_COMP_CNT: 0
; COMPUTE_PGM_RSRC3_GFX90A:ACCUM_OFFSET: 0
; COMPUTE_PGM_RSRC3_GFX90A:TG_SPLIT: 0
	.section	.text._ZN7rocprim17ROCPRIM_400000_NS6detail17trampoline_kernelINS0_14default_configENS1_20scan_config_selectorIjEEZZNS1_9scan_implILNS1_25lookback_scan_determinismE0ELb1ELb1ES3_N6thrust23THRUST_200600_302600_NS6detail15normal_iteratorINS9_10device_ptrIjEEEESE_j11max_functorIjEjEEDaPvRmT3_T4_T5_mT6_P12ihipStream_tbENKUlT_T0_E_clISt17integral_constantIbLb1EEST_IbLb0EEEEDaSP_SQ_EUlSP_E_NS1_11comp_targetILNS1_3genE10ELNS1_11target_archE1201ELNS1_3gpuE5ELNS1_3repE0EEENS1_30default_config_static_selectorELNS0_4arch9wavefront6targetE1EEEvT1_,"axG",@progbits,_ZN7rocprim17ROCPRIM_400000_NS6detail17trampoline_kernelINS0_14default_configENS1_20scan_config_selectorIjEEZZNS1_9scan_implILNS1_25lookback_scan_determinismE0ELb1ELb1ES3_N6thrust23THRUST_200600_302600_NS6detail15normal_iteratorINS9_10device_ptrIjEEEESE_j11max_functorIjEjEEDaPvRmT3_T4_T5_mT6_P12ihipStream_tbENKUlT_T0_E_clISt17integral_constantIbLb1EEST_IbLb0EEEEDaSP_SQ_EUlSP_E_NS1_11comp_targetILNS1_3genE10ELNS1_11target_archE1201ELNS1_3gpuE5ELNS1_3repE0EEENS1_30default_config_static_selectorELNS0_4arch9wavefront6targetE1EEEvT1_,comdat
	.protected	_ZN7rocprim17ROCPRIM_400000_NS6detail17trampoline_kernelINS0_14default_configENS1_20scan_config_selectorIjEEZZNS1_9scan_implILNS1_25lookback_scan_determinismE0ELb1ELb1ES3_N6thrust23THRUST_200600_302600_NS6detail15normal_iteratorINS9_10device_ptrIjEEEESE_j11max_functorIjEjEEDaPvRmT3_T4_T5_mT6_P12ihipStream_tbENKUlT_T0_E_clISt17integral_constantIbLb1EEST_IbLb0EEEEDaSP_SQ_EUlSP_E_NS1_11comp_targetILNS1_3genE10ELNS1_11target_archE1201ELNS1_3gpuE5ELNS1_3repE0EEENS1_30default_config_static_selectorELNS0_4arch9wavefront6targetE1EEEvT1_ ; -- Begin function _ZN7rocprim17ROCPRIM_400000_NS6detail17trampoline_kernelINS0_14default_configENS1_20scan_config_selectorIjEEZZNS1_9scan_implILNS1_25lookback_scan_determinismE0ELb1ELb1ES3_N6thrust23THRUST_200600_302600_NS6detail15normal_iteratorINS9_10device_ptrIjEEEESE_j11max_functorIjEjEEDaPvRmT3_T4_T5_mT6_P12ihipStream_tbENKUlT_T0_E_clISt17integral_constantIbLb1EEST_IbLb0EEEEDaSP_SQ_EUlSP_E_NS1_11comp_targetILNS1_3genE10ELNS1_11target_archE1201ELNS1_3gpuE5ELNS1_3repE0EEENS1_30default_config_static_selectorELNS0_4arch9wavefront6targetE1EEEvT1_
	.globl	_ZN7rocprim17ROCPRIM_400000_NS6detail17trampoline_kernelINS0_14default_configENS1_20scan_config_selectorIjEEZZNS1_9scan_implILNS1_25lookback_scan_determinismE0ELb1ELb1ES3_N6thrust23THRUST_200600_302600_NS6detail15normal_iteratorINS9_10device_ptrIjEEEESE_j11max_functorIjEjEEDaPvRmT3_T4_T5_mT6_P12ihipStream_tbENKUlT_T0_E_clISt17integral_constantIbLb1EEST_IbLb0EEEEDaSP_SQ_EUlSP_E_NS1_11comp_targetILNS1_3genE10ELNS1_11target_archE1201ELNS1_3gpuE5ELNS1_3repE0EEENS1_30default_config_static_selectorELNS0_4arch9wavefront6targetE1EEEvT1_
	.p2align	8
	.type	_ZN7rocprim17ROCPRIM_400000_NS6detail17trampoline_kernelINS0_14default_configENS1_20scan_config_selectorIjEEZZNS1_9scan_implILNS1_25lookback_scan_determinismE0ELb1ELb1ES3_N6thrust23THRUST_200600_302600_NS6detail15normal_iteratorINS9_10device_ptrIjEEEESE_j11max_functorIjEjEEDaPvRmT3_T4_T5_mT6_P12ihipStream_tbENKUlT_T0_E_clISt17integral_constantIbLb1EEST_IbLb0EEEEDaSP_SQ_EUlSP_E_NS1_11comp_targetILNS1_3genE10ELNS1_11target_archE1201ELNS1_3gpuE5ELNS1_3repE0EEENS1_30default_config_static_selectorELNS0_4arch9wavefront6targetE1EEEvT1_,@function
_ZN7rocprim17ROCPRIM_400000_NS6detail17trampoline_kernelINS0_14default_configENS1_20scan_config_selectorIjEEZZNS1_9scan_implILNS1_25lookback_scan_determinismE0ELb1ELb1ES3_N6thrust23THRUST_200600_302600_NS6detail15normal_iteratorINS9_10device_ptrIjEEEESE_j11max_functorIjEjEEDaPvRmT3_T4_T5_mT6_P12ihipStream_tbENKUlT_T0_E_clISt17integral_constantIbLb1EEST_IbLb0EEEEDaSP_SQ_EUlSP_E_NS1_11comp_targetILNS1_3genE10ELNS1_11target_archE1201ELNS1_3gpuE5ELNS1_3repE0EEENS1_30default_config_static_selectorELNS0_4arch9wavefront6targetE1EEEvT1_: ; @_ZN7rocprim17ROCPRIM_400000_NS6detail17trampoline_kernelINS0_14default_configENS1_20scan_config_selectorIjEEZZNS1_9scan_implILNS1_25lookback_scan_determinismE0ELb1ELb1ES3_N6thrust23THRUST_200600_302600_NS6detail15normal_iteratorINS9_10device_ptrIjEEEESE_j11max_functorIjEjEEDaPvRmT3_T4_T5_mT6_P12ihipStream_tbENKUlT_T0_E_clISt17integral_constantIbLb1EEST_IbLb0EEEEDaSP_SQ_EUlSP_E_NS1_11comp_targetILNS1_3genE10ELNS1_11target_archE1201ELNS1_3gpuE5ELNS1_3repE0EEENS1_30default_config_static_selectorELNS0_4arch9wavefront6targetE1EEEvT1_
; %bb.0:
	.section	.rodata,"a",@progbits
	.p2align	6, 0x0
	.amdhsa_kernel _ZN7rocprim17ROCPRIM_400000_NS6detail17trampoline_kernelINS0_14default_configENS1_20scan_config_selectorIjEEZZNS1_9scan_implILNS1_25lookback_scan_determinismE0ELb1ELb1ES3_N6thrust23THRUST_200600_302600_NS6detail15normal_iteratorINS9_10device_ptrIjEEEESE_j11max_functorIjEjEEDaPvRmT3_T4_T5_mT6_P12ihipStream_tbENKUlT_T0_E_clISt17integral_constantIbLb1EEST_IbLb0EEEEDaSP_SQ_EUlSP_E_NS1_11comp_targetILNS1_3genE10ELNS1_11target_archE1201ELNS1_3gpuE5ELNS1_3repE0EEENS1_30default_config_static_selectorELNS0_4arch9wavefront6targetE1EEEvT1_
		.amdhsa_group_segment_fixed_size 0
		.amdhsa_private_segment_fixed_size 0
		.amdhsa_kernarg_size 96
		.amdhsa_user_sgpr_count 6
		.amdhsa_user_sgpr_private_segment_buffer 1
		.amdhsa_user_sgpr_dispatch_ptr 0
		.amdhsa_user_sgpr_queue_ptr 0
		.amdhsa_user_sgpr_kernarg_segment_ptr 1
		.amdhsa_user_sgpr_dispatch_id 0
		.amdhsa_user_sgpr_flat_scratch_init 0
		.amdhsa_user_sgpr_kernarg_preload_length 0
		.amdhsa_user_sgpr_kernarg_preload_offset 0
		.amdhsa_user_sgpr_private_segment_size 0
		.amdhsa_uses_dynamic_stack 0
		.amdhsa_system_sgpr_private_segment_wavefront_offset 0
		.amdhsa_system_sgpr_workgroup_id_x 1
		.amdhsa_system_sgpr_workgroup_id_y 0
		.amdhsa_system_sgpr_workgroup_id_z 0
		.amdhsa_system_sgpr_workgroup_info 0
		.amdhsa_system_vgpr_workitem_id 0
		.amdhsa_next_free_vgpr 1
		.amdhsa_next_free_sgpr 0
		.amdhsa_accum_offset 4
		.amdhsa_reserve_vcc 0
		.amdhsa_reserve_flat_scratch 0
		.amdhsa_float_round_mode_32 0
		.amdhsa_float_round_mode_16_64 0
		.amdhsa_float_denorm_mode_32 3
		.amdhsa_float_denorm_mode_16_64 3
		.amdhsa_dx10_clamp 1
		.amdhsa_ieee_mode 1
		.amdhsa_fp16_overflow 0
		.amdhsa_tg_split 0
		.amdhsa_exception_fp_ieee_invalid_op 0
		.amdhsa_exception_fp_denorm_src 0
		.amdhsa_exception_fp_ieee_div_zero 0
		.amdhsa_exception_fp_ieee_overflow 0
		.amdhsa_exception_fp_ieee_underflow 0
		.amdhsa_exception_fp_ieee_inexact 0
		.amdhsa_exception_int_div_zero 0
	.end_amdhsa_kernel
	.section	.text._ZN7rocprim17ROCPRIM_400000_NS6detail17trampoline_kernelINS0_14default_configENS1_20scan_config_selectorIjEEZZNS1_9scan_implILNS1_25lookback_scan_determinismE0ELb1ELb1ES3_N6thrust23THRUST_200600_302600_NS6detail15normal_iteratorINS9_10device_ptrIjEEEESE_j11max_functorIjEjEEDaPvRmT3_T4_T5_mT6_P12ihipStream_tbENKUlT_T0_E_clISt17integral_constantIbLb1EEST_IbLb0EEEEDaSP_SQ_EUlSP_E_NS1_11comp_targetILNS1_3genE10ELNS1_11target_archE1201ELNS1_3gpuE5ELNS1_3repE0EEENS1_30default_config_static_selectorELNS0_4arch9wavefront6targetE1EEEvT1_,"axG",@progbits,_ZN7rocprim17ROCPRIM_400000_NS6detail17trampoline_kernelINS0_14default_configENS1_20scan_config_selectorIjEEZZNS1_9scan_implILNS1_25lookback_scan_determinismE0ELb1ELb1ES3_N6thrust23THRUST_200600_302600_NS6detail15normal_iteratorINS9_10device_ptrIjEEEESE_j11max_functorIjEjEEDaPvRmT3_T4_T5_mT6_P12ihipStream_tbENKUlT_T0_E_clISt17integral_constantIbLb1EEST_IbLb0EEEEDaSP_SQ_EUlSP_E_NS1_11comp_targetILNS1_3genE10ELNS1_11target_archE1201ELNS1_3gpuE5ELNS1_3repE0EEENS1_30default_config_static_selectorELNS0_4arch9wavefront6targetE1EEEvT1_,comdat
.Lfunc_end2370:
	.size	_ZN7rocprim17ROCPRIM_400000_NS6detail17trampoline_kernelINS0_14default_configENS1_20scan_config_selectorIjEEZZNS1_9scan_implILNS1_25lookback_scan_determinismE0ELb1ELb1ES3_N6thrust23THRUST_200600_302600_NS6detail15normal_iteratorINS9_10device_ptrIjEEEESE_j11max_functorIjEjEEDaPvRmT3_T4_T5_mT6_P12ihipStream_tbENKUlT_T0_E_clISt17integral_constantIbLb1EEST_IbLb0EEEEDaSP_SQ_EUlSP_E_NS1_11comp_targetILNS1_3genE10ELNS1_11target_archE1201ELNS1_3gpuE5ELNS1_3repE0EEENS1_30default_config_static_selectorELNS0_4arch9wavefront6targetE1EEEvT1_, .Lfunc_end2370-_ZN7rocprim17ROCPRIM_400000_NS6detail17trampoline_kernelINS0_14default_configENS1_20scan_config_selectorIjEEZZNS1_9scan_implILNS1_25lookback_scan_determinismE0ELb1ELb1ES3_N6thrust23THRUST_200600_302600_NS6detail15normal_iteratorINS9_10device_ptrIjEEEESE_j11max_functorIjEjEEDaPvRmT3_T4_T5_mT6_P12ihipStream_tbENKUlT_T0_E_clISt17integral_constantIbLb1EEST_IbLb0EEEEDaSP_SQ_EUlSP_E_NS1_11comp_targetILNS1_3genE10ELNS1_11target_archE1201ELNS1_3gpuE5ELNS1_3repE0EEENS1_30default_config_static_selectorELNS0_4arch9wavefront6targetE1EEEvT1_
                                        ; -- End function
	.section	.AMDGPU.csdata,"",@progbits
; Kernel info:
; codeLenInByte = 0
; NumSgprs: 4
; NumVgprs: 0
; NumAgprs: 0
; TotalNumVgprs: 0
; ScratchSize: 0
; MemoryBound: 0
; FloatMode: 240
; IeeeMode: 1
; LDSByteSize: 0 bytes/workgroup (compile time only)
; SGPRBlocks: 0
; VGPRBlocks: 0
; NumSGPRsForWavesPerEU: 4
; NumVGPRsForWavesPerEU: 1
; AccumOffset: 4
; Occupancy: 8
; WaveLimiterHint : 0
; COMPUTE_PGM_RSRC2:SCRATCH_EN: 0
; COMPUTE_PGM_RSRC2:USER_SGPR: 6
; COMPUTE_PGM_RSRC2:TRAP_HANDLER: 0
; COMPUTE_PGM_RSRC2:TGID_X_EN: 1
; COMPUTE_PGM_RSRC2:TGID_Y_EN: 0
; COMPUTE_PGM_RSRC2:TGID_Z_EN: 0
; COMPUTE_PGM_RSRC2:TIDIG_COMP_CNT: 0
; COMPUTE_PGM_RSRC3_GFX90A:ACCUM_OFFSET: 0
; COMPUTE_PGM_RSRC3_GFX90A:TG_SPLIT: 0
	.section	.text._ZN7rocprim17ROCPRIM_400000_NS6detail17trampoline_kernelINS0_14default_configENS1_20scan_config_selectorIjEEZZNS1_9scan_implILNS1_25lookback_scan_determinismE0ELb1ELb1ES3_N6thrust23THRUST_200600_302600_NS6detail15normal_iteratorINS9_10device_ptrIjEEEESE_j11max_functorIjEjEEDaPvRmT3_T4_T5_mT6_P12ihipStream_tbENKUlT_T0_E_clISt17integral_constantIbLb1EEST_IbLb0EEEEDaSP_SQ_EUlSP_E_NS1_11comp_targetILNS1_3genE10ELNS1_11target_archE1200ELNS1_3gpuE4ELNS1_3repE0EEENS1_30default_config_static_selectorELNS0_4arch9wavefront6targetE1EEEvT1_,"axG",@progbits,_ZN7rocprim17ROCPRIM_400000_NS6detail17trampoline_kernelINS0_14default_configENS1_20scan_config_selectorIjEEZZNS1_9scan_implILNS1_25lookback_scan_determinismE0ELb1ELb1ES3_N6thrust23THRUST_200600_302600_NS6detail15normal_iteratorINS9_10device_ptrIjEEEESE_j11max_functorIjEjEEDaPvRmT3_T4_T5_mT6_P12ihipStream_tbENKUlT_T0_E_clISt17integral_constantIbLb1EEST_IbLb0EEEEDaSP_SQ_EUlSP_E_NS1_11comp_targetILNS1_3genE10ELNS1_11target_archE1200ELNS1_3gpuE4ELNS1_3repE0EEENS1_30default_config_static_selectorELNS0_4arch9wavefront6targetE1EEEvT1_,comdat
	.protected	_ZN7rocprim17ROCPRIM_400000_NS6detail17trampoline_kernelINS0_14default_configENS1_20scan_config_selectorIjEEZZNS1_9scan_implILNS1_25lookback_scan_determinismE0ELb1ELb1ES3_N6thrust23THRUST_200600_302600_NS6detail15normal_iteratorINS9_10device_ptrIjEEEESE_j11max_functorIjEjEEDaPvRmT3_T4_T5_mT6_P12ihipStream_tbENKUlT_T0_E_clISt17integral_constantIbLb1EEST_IbLb0EEEEDaSP_SQ_EUlSP_E_NS1_11comp_targetILNS1_3genE10ELNS1_11target_archE1200ELNS1_3gpuE4ELNS1_3repE0EEENS1_30default_config_static_selectorELNS0_4arch9wavefront6targetE1EEEvT1_ ; -- Begin function _ZN7rocprim17ROCPRIM_400000_NS6detail17trampoline_kernelINS0_14default_configENS1_20scan_config_selectorIjEEZZNS1_9scan_implILNS1_25lookback_scan_determinismE0ELb1ELb1ES3_N6thrust23THRUST_200600_302600_NS6detail15normal_iteratorINS9_10device_ptrIjEEEESE_j11max_functorIjEjEEDaPvRmT3_T4_T5_mT6_P12ihipStream_tbENKUlT_T0_E_clISt17integral_constantIbLb1EEST_IbLb0EEEEDaSP_SQ_EUlSP_E_NS1_11comp_targetILNS1_3genE10ELNS1_11target_archE1200ELNS1_3gpuE4ELNS1_3repE0EEENS1_30default_config_static_selectorELNS0_4arch9wavefront6targetE1EEEvT1_
	.globl	_ZN7rocprim17ROCPRIM_400000_NS6detail17trampoline_kernelINS0_14default_configENS1_20scan_config_selectorIjEEZZNS1_9scan_implILNS1_25lookback_scan_determinismE0ELb1ELb1ES3_N6thrust23THRUST_200600_302600_NS6detail15normal_iteratorINS9_10device_ptrIjEEEESE_j11max_functorIjEjEEDaPvRmT3_T4_T5_mT6_P12ihipStream_tbENKUlT_T0_E_clISt17integral_constantIbLb1EEST_IbLb0EEEEDaSP_SQ_EUlSP_E_NS1_11comp_targetILNS1_3genE10ELNS1_11target_archE1200ELNS1_3gpuE4ELNS1_3repE0EEENS1_30default_config_static_selectorELNS0_4arch9wavefront6targetE1EEEvT1_
	.p2align	8
	.type	_ZN7rocprim17ROCPRIM_400000_NS6detail17trampoline_kernelINS0_14default_configENS1_20scan_config_selectorIjEEZZNS1_9scan_implILNS1_25lookback_scan_determinismE0ELb1ELb1ES3_N6thrust23THRUST_200600_302600_NS6detail15normal_iteratorINS9_10device_ptrIjEEEESE_j11max_functorIjEjEEDaPvRmT3_T4_T5_mT6_P12ihipStream_tbENKUlT_T0_E_clISt17integral_constantIbLb1EEST_IbLb0EEEEDaSP_SQ_EUlSP_E_NS1_11comp_targetILNS1_3genE10ELNS1_11target_archE1200ELNS1_3gpuE4ELNS1_3repE0EEENS1_30default_config_static_selectorELNS0_4arch9wavefront6targetE1EEEvT1_,@function
_ZN7rocprim17ROCPRIM_400000_NS6detail17trampoline_kernelINS0_14default_configENS1_20scan_config_selectorIjEEZZNS1_9scan_implILNS1_25lookback_scan_determinismE0ELb1ELb1ES3_N6thrust23THRUST_200600_302600_NS6detail15normal_iteratorINS9_10device_ptrIjEEEESE_j11max_functorIjEjEEDaPvRmT3_T4_T5_mT6_P12ihipStream_tbENKUlT_T0_E_clISt17integral_constantIbLb1EEST_IbLb0EEEEDaSP_SQ_EUlSP_E_NS1_11comp_targetILNS1_3genE10ELNS1_11target_archE1200ELNS1_3gpuE4ELNS1_3repE0EEENS1_30default_config_static_selectorELNS0_4arch9wavefront6targetE1EEEvT1_: ; @_ZN7rocprim17ROCPRIM_400000_NS6detail17trampoline_kernelINS0_14default_configENS1_20scan_config_selectorIjEEZZNS1_9scan_implILNS1_25lookback_scan_determinismE0ELb1ELb1ES3_N6thrust23THRUST_200600_302600_NS6detail15normal_iteratorINS9_10device_ptrIjEEEESE_j11max_functorIjEjEEDaPvRmT3_T4_T5_mT6_P12ihipStream_tbENKUlT_T0_E_clISt17integral_constantIbLb1EEST_IbLb0EEEEDaSP_SQ_EUlSP_E_NS1_11comp_targetILNS1_3genE10ELNS1_11target_archE1200ELNS1_3gpuE4ELNS1_3repE0EEENS1_30default_config_static_selectorELNS0_4arch9wavefront6targetE1EEEvT1_
; %bb.0:
	.section	.rodata,"a",@progbits
	.p2align	6, 0x0
	.amdhsa_kernel _ZN7rocprim17ROCPRIM_400000_NS6detail17trampoline_kernelINS0_14default_configENS1_20scan_config_selectorIjEEZZNS1_9scan_implILNS1_25lookback_scan_determinismE0ELb1ELb1ES3_N6thrust23THRUST_200600_302600_NS6detail15normal_iteratorINS9_10device_ptrIjEEEESE_j11max_functorIjEjEEDaPvRmT3_T4_T5_mT6_P12ihipStream_tbENKUlT_T0_E_clISt17integral_constantIbLb1EEST_IbLb0EEEEDaSP_SQ_EUlSP_E_NS1_11comp_targetILNS1_3genE10ELNS1_11target_archE1200ELNS1_3gpuE4ELNS1_3repE0EEENS1_30default_config_static_selectorELNS0_4arch9wavefront6targetE1EEEvT1_
		.amdhsa_group_segment_fixed_size 0
		.amdhsa_private_segment_fixed_size 0
		.amdhsa_kernarg_size 96
		.amdhsa_user_sgpr_count 6
		.amdhsa_user_sgpr_private_segment_buffer 1
		.amdhsa_user_sgpr_dispatch_ptr 0
		.amdhsa_user_sgpr_queue_ptr 0
		.amdhsa_user_sgpr_kernarg_segment_ptr 1
		.amdhsa_user_sgpr_dispatch_id 0
		.amdhsa_user_sgpr_flat_scratch_init 0
		.amdhsa_user_sgpr_kernarg_preload_length 0
		.amdhsa_user_sgpr_kernarg_preload_offset 0
		.amdhsa_user_sgpr_private_segment_size 0
		.amdhsa_uses_dynamic_stack 0
		.amdhsa_system_sgpr_private_segment_wavefront_offset 0
		.amdhsa_system_sgpr_workgroup_id_x 1
		.amdhsa_system_sgpr_workgroup_id_y 0
		.amdhsa_system_sgpr_workgroup_id_z 0
		.amdhsa_system_sgpr_workgroup_info 0
		.amdhsa_system_vgpr_workitem_id 0
		.amdhsa_next_free_vgpr 1
		.amdhsa_next_free_sgpr 0
		.amdhsa_accum_offset 4
		.amdhsa_reserve_vcc 0
		.amdhsa_reserve_flat_scratch 0
		.amdhsa_float_round_mode_32 0
		.amdhsa_float_round_mode_16_64 0
		.amdhsa_float_denorm_mode_32 3
		.amdhsa_float_denorm_mode_16_64 3
		.amdhsa_dx10_clamp 1
		.amdhsa_ieee_mode 1
		.amdhsa_fp16_overflow 0
		.amdhsa_tg_split 0
		.amdhsa_exception_fp_ieee_invalid_op 0
		.amdhsa_exception_fp_denorm_src 0
		.amdhsa_exception_fp_ieee_div_zero 0
		.amdhsa_exception_fp_ieee_overflow 0
		.amdhsa_exception_fp_ieee_underflow 0
		.amdhsa_exception_fp_ieee_inexact 0
		.amdhsa_exception_int_div_zero 0
	.end_amdhsa_kernel
	.section	.text._ZN7rocprim17ROCPRIM_400000_NS6detail17trampoline_kernelINS0_14default_configENS1_20scan_config_selectorIjEEZZNS1_9scan_implILNS1_25lookback_scan_determinismE0ELb1ELb1ES3_N6thrust23THRUST_200600_302600_NS6detail15normal_iteratorINS9_10device_ptrIjEEEESE_j11max_functorIjEjEEDaPvRmT3_T4_T5_mT6_P12ihipStream_tbENKUlT_T0_E_clISt17integral_constantIbLb1EEST_IbLb0EEEEDaSP_SQ_EUlSP_E_NS1_11comp_targetILNS1_3genE10ELNS1_11target_archE1200ELNS1_3gpuE4ELNS1_3repE0EEENS1_30default_config_static_selectorELNS0_4arch9wavefront6targetE1EEEvT1_,"axG",@progbits,_ZN7rocprim17ROCPRIM_400000_NS6detail17trampoline_kernelINS0_14default_configENS1_20scan_config_selectorIjEEZZNS1_9scan_implILNS1_25lookback_scan_determinismE0ELb1ELb1ES3_N6thrust23THRUST_200600_302600_NS6detail15normal_iteratorINS9_10device_ptrIjEEEESE_j11max_functorIjEjEEDaPvRmT3_T4_T5_mT6_P12ihipStream_tbENKUlT_T0_E_clISt17integral_constantIbLb1EEST_IbLb0EEEEDaSP_SQ_EUlSP_E_NS1_11comp_targetILNS1_3genE10ELNS1_11target_archE1200ELNS1_3gpuE4ELNS1_3repE0EEENS1_30default_config_static_selectorELNS0_4arch9wavefront6targetE1EEEvT1_,comdat
.Lfunc_end2371:
	.size	_ZN7rocprim17ROCPRIM_400000_NS6detail17trampoline_kernelINS0_14default_configENS1_20scan_config_selectorIjEEZZNS1_9scan_implILNS1_25lookback_scan_determinismE0ELb1ELb1ES3_N6thrust23THRUST_200600_302600_NS6detail15normal_iteratorINS9_10device_ptrIjEEEESE_j11max_functorIjEjEEDaPvRmT3_T4_T5_mT6_P12ihipStream_tbENKUlT_T0_E_clISt17integral_constantIbLb1EEST_IbLb0EEEEDaSP_SQ_EUlSP_E_NS1_11comp_targetILNS1_3genE10ELNS1_11target_archE1200ELNS1_3gpuE4ELNS1_3repE0EEENS1_30default_config_static_selectorELNS0_4arch9wavefront6targetE1EEEvT1_, .Lfunc_end2371-_ZN7rocprim17ROCPRIM_400000_NS6detail17trampoline_kernelINS0_14default_configENS1_20scan_config_selectorIjEEZZNS1_9scan_implILNS1_25lookback_scan_determinismE0ELb1ELb1ES3_N6thrust23THRUST_200600_302600_NS6detail15normal_iteratorINS9_10device_ptrIjEEEESE_j11max_functorIjEjEEDaPvRmT3_T4_T5_mT6_P12ihipStream_tbENKUlT_T0_E_clISt17integral_constantIbLb1EEST_IbLb0EEEEDaSP_SQ_EUlSP_E_NS1_11comp_targetILNS1_3genE10ELNS1_11target_archE1200ELNS1_3gpuE4ELNS1_3repE0EEENS1_30default_config_static_selectorELNS0_4arch9wavefront6targetE1EEEvT1_
                                        ; -- End function
	.section	.AMDGPU.csdata,"",@progbits
; Kernel info:
; codeLenInByte = 0
; NumSgprs: 4
; NumVgprs: 0
; NumAgprs: 0
; TotalNumVgprs: 0
; ScratchSize: 0
; MemoryBound: 0
; FloatMode: 240
; IeeeMode: 1
; LDSByteSize: 0 bytes/workgroup (compile time only)
; SGPRBlocks: 0
; VGPRBlocks: 0
; NumSGPRsForWavesPerEU: 4
; NumVGPRsForWavesPerEU: 1
; AccumOffset: 4
; Occupancy: 8
; WaveLimiterHint : 0
; COMPUTE_PGM_RSRC2:SCRATCH_EN: 0
; COMPUTE_PGM_RSRC2:USER_SGPR: 6
; COMPUTE_PGM_RSRC2:TRAP_HANDLER: 0
; COMPUTE_PGM_RSRC2:TGID_X_EN: 1
; COMPUTE_PGM_RSRC2:TGID_Y_EN: 0
; COMPUTE_PGM_RSRC2:TGID_Z_EN: 0
; COMPUTE_PGM_RSRC2:TIDIG_COMP_CNT: 0
; COMPUTE_PGM_RSRC3_GFX90A:ACCUM_OFFSET: 0
; COMPUTE_PGM_RSRC3_GFX90A:TG_SPLIT: 0
	.section	.text._ZN7rocprim17ROCPRIM_400000_NS6detail17trampoline_kernelINS0_14default_configENS1_20scan_config_selectorIjEEZZNS1_9scan_implILNS1_25lookback_scan_determinismE0ELb1ELb1ES3_N6thrust23THRUST_200600_302600_NS6detail15normal_iteratorINS9_10device_ptrIjEEEESE_j11max_functorIjEjEEDaPvRmT3_T4_T5_mT6_P12ihipStream_tbENKUlT_T0_E_clISt17integral_constantIbLb1EEST_IbLb0EEEEDaSP_SQ_EUlSP_E_NS1_11comp_targetILNS1_3genE9ELNS1_11target_archE1100ELNS1_3gpuE3ELNS1_3repE0EEENS1_30default_config_static_selectorELNS0_4arch9wavefront6targetE1EEEvT1_,"axG",@progbits,_ZN7rocprim17ROCPRIM_400000_NS6detail17trampoline_kernelINS0_14default_configENS1_20scan_config_selectorIjEEZZNS1_9scan_implILNS1_25lookback_scan_determinismE0ELb1ELb1ES3_N6thrust23THRUST_200600_302600_NS6detail15normal_iteratorINS9_10device_ptrIjEEEESE_j11max_functorIjEjEEDaPvRmT3_T4_T5_mT6_P12ihipStream_tbENKUlT_T0_E_clISt17integral_constantIbLb1EEST_IbLb0EEEEDaSP_SQ_EUlSP_E_NS1_11comp_targetILNS1_3genE9ELNS1_11target_archE1100ELNS1_3gpuE3ELNS1_3repE0EEENS1_30default_config_static_selectorELNS0_4arch9wavefront6targetE1EEEvT1_,comdat
	.protected	_ZN7rocprim17ROCPRIM_400000_NS6detail17trampoline_kernelINS0_14default_configENS1_20scan_config_selectorIjEEZZNS1_9scan_implILNS1_25lookback_scan_determinismE0ELb1ELb1ES3_N6thrust23THRUST_200600_302600_NS6detail15normal_iteratorINS9_10device_ptrIjEEEESE_j11max_functorIjEjEEDaPvRmT3_T4_T5_mT6_P12ihipStream_tbENKUlT_T0_E_clISt17integral_constantIbLb1EEST_IbLb0EEEEDaSP_SQ_EUlSP_E_NS1_11comp_targetILNS1_3genE9ELNS1_11target_archE1100ELNS1_3gpuE3ELNS1_3repE0EEENS1_30default_config_static_selectorELNS0_4arch9wavefront6targetE1EEEvT1_ ; -- Begin function _ZN7rocprim17ROCPRIM_400000_NS6detail17trampoline_kernelINS0_14default_configENS1_20scan_config_selectorIjEEZZNS1_9scan_implILNS1_25lookback_scan_determinismE0ELb1ELb1ES3_N6thrust23THRUST_200600_302600_NS6detail15normal_iteratorINS9_10device_ptrIjEEEESE_j11max_functorIjEjEEDaPvRmT3_T4_T5_mT6_P12ihipStream_tbENKUlT_T0_E_clISt17integral_constantIbLb1EEST_IbLb0EEEEDaSP_SQ_EUlSP_E_NS1_11comp_targetILNS1_3genE9ELNS1_11target_archE1100ELNS1_3gpuE3ELNS1_3repE0EEENS1_30default_config_static_selectorELNS0_4arch9wavefront6targetE1EEEvT1_
	.globl	_ZN7rocprim17ROCPRIM_400000_NS6detail17trampoline_kernelINS0_14default_configENS1_20scan_config_selectorIjEEZZNS1_9scan_implILNS1_25lookback_scan_determinismE0ELb1ELb1ES3_N6thrust23THRUST_200600_302600_NS6detail15normal_iteratorINS9_10device_ptrIjEEEESE_j11max_functorIjEjEEDaPvRmT3_T4_T5_mT6_P12ihipStream_tbENKUlT_T0_E_clISt17integral_constantIbLb1EEST_IbLb0EEEEDaSP_SQ_EUlSP_E_NS1_11comp_targetILNS1_3genE9ELNS1_11target_archE1100ELNS1_3gpuE3ELNS1_3repE0EEENS1_30default_config_static_selectorELNS0_4arch9wavefront6targetE1EEEvT1_
	.p2align	8
	.type	_ZN7rocprim17ROCPRIM_400000_NS6detail17trampoline_kernelINS0_14default_configENS1_20scan_config_selectorIjEEZZNS1_9scan_implILNS1_25lookback_scan_determinismE0ELb1ELb1ES3_N6thrust23THRUST_200600_302600_NS6detail15normal_iteratorINS9_10device_ptrIjEEEESE_j11max_functorIjEjEEDaPvRmT3_T4_T5_mT6_P12ihipStream_tbENKUlT_T0_E_clISt17integral_constantIbLb1EEST_IbLb0EEEEDaSP_SQ_EUlSP_E_NS1_11comp_targetILNS1_3genE9ELNS1_11target_archE1100ELNS1_3gpuE3ELNS1_3repE0EEENS1_30default_config_static_selectorELNS0_4arch9wavefront6targetE1EEEvT1_,@function
_ZN7rocprim17ROCPRIM_400000_NS6detail17trampoline_kernelINS0_14default_configENS1_20scan_config_selectorIjEEZZNS1_9scan_implILNS1_25lookback_scan_determinismE0ELb1ELb1ES3_N6thrust23THRUST_200600_302600_NS6detail15normal_iteratorINS9_10device_ptrIjEEEESE_j11max_functorIjEjEEDaPvRmT3_T4_T5_mT6_P12ihipStream_tbENKUlT_T0_E_clISt17integral_constantIbLb1EEST_IbLb0EEEEDaSP_SQ_EUlSP_E_NS1_11comp_targetILNS1_3genE9ELNS1_11target_archE1100ELNS1_3gpuE3ELNS1_3repE0EEENS1_30default_config_static_selectorELNS0_4arch9wavefront6targetE1EEEvT1_: ; @_ZN7rocprim17ROCPRIM_400000_NS6detail17trampoline_kernelINS0_14default_configENS1_20scan_config_selectorIjEEZZNS1_9scan_implILNS1_25lookback_scan_determinismE0ELb1ELb1ES3_N6thrust23THRUST_200600_302600_NS6detail15normal_iteratorINS9_10device_ptrIjEEEESE_j11max_functorIjEjEEDaPvRmT3_T4_T5_mT6_P12ihipStream_tbENKUlT_T0_E_clISt17integral_constantIbLb1EEST_IbLb0EEEEDaSP_SQ_EUlSP_E_NS1_11comp_targetILNS1_3genE9ELNS1_11target_archE1100ELNS1_3gpuE3ELNS1_3repE0EEENS1_30default_config_static_selectorELNS0_4arch9wavefront6targetE1EEEvT1_
; %bb.0:
	.section	.rodata,"a",@progbits
	.p2align	6, 0x0
	.amdhsa_kernel _ZN7rocprim17ROCPRIM_400000_NS6detail17trampoline_kernelINS0_14default_configENS1_20scan_config_selectorIjEEZZNS1_9scan_implILNS1_25lookback_scan_determinismE0ELb1ELb1ES3_N6thrust23THRUST_200600_302600_NS6detail15normal_iteratorINS9_10device_ptrIjEEEESE_j11max_functorIjEjEEDaPvRmT3_T4_T5_mT6_P12ihipStream_tbENKUlT_T0_E_clISt17integral_constantIbLb1EEST_IbLb0EEEEDaSP_SQ_EUlSP_E_NS1_11comp_targetILNS1_3genE9ELNS1_11target_archE1100ELNS1_3gpuE3ELNS1_3repE0EEENS1_30default_config_static_selectorELNS0_4arch9wavefront6targetE1EEEvT1_
		.amdhsa_group_segment_fixed_size 0
		.amdhsa_private_segment_fixed_size 0
		.amdhsa_kernarg_size 96
		.amdhsa_user_sgpr_count 6
		.amdhsa_user_sgpr_private_segment_buffer 1
		.amdhsa_user_sgpr_dispatch_ptr 0
		.amdhsa_user_sgpr_queue_ptr 0
		.amdhsa_user_sgpr_kernarg_segment_ptr 1
		.amdhsa_user_sgpr_dispatch_id 0
		.amdhsa_user_sgpr_flat_scratch_init 0
		.amdhsa_user_sgpr_kernarg_preload_length 0
		.amdhsa_user_sgpr_kernarg_preload_offset 0
		.amdhsa_user_sgpr_private_segment_size 0
		.amdhsa_uses_dynamic_stack 0
		.amdhsa_system_sgpr_private_segment_wavefront_offset 0
		.amdhsa_system_sgpr_workgroup_id_x 1
		.amdhsa_system_sgpr_workgroup_id_y 0
		.amdhsa_system_sgpr_workgroup_id_z 0
		.amdhsa_system_sgpr_workgroup_info 0
		.amdhsa_system_vgpr_workitem_id 0
		.amdhsa_next_free_vgpr 1
		.amdhsa_next_free_sgpr 0
		.amdhsa_accum_offset 4
		.amdhsa_reserve_vcc 0
		.amdhsa_reserve_flat_scratch 0
		.amdhsa_float_round_mode_32 0
		.amdhsa_float_round_mode_16_64 0
		.amdhsa_float_denorm_mode_32 3
		.amdhsa_float_denorm_mode_16_64 3
		.amdhsa_dx10_clamp 1
		.amdhsa_ieee_mode 1
		.amdhsa_fp16_overflow 0
		.amdhsa_tg_split 0
		.amdhsa_exception_fp_ieee_invalid_op 0
		.amdhsa_exception_fp_denorm_src 0
		.amdhsa_exception_fp_ieee_div_zero 0
		.amdhsa_exception_fp_ieee_overflow 0
		.amdhsa_exception_fp_ieee_underflow 0
		.amdhsa_exception_fp_ieee_inexact 0
		.amdhsa_exception_int_div_zero 0
	.end_amdhsa_kernel
	.section	.text._ZN7rocprim17ROCPRIM_400000_NS6detail17trampoline_kernelINS0_14default_configENS1_20scan_config_selectorIjEEZZNS1_9scan_implILNS1_25lookback_scan_determinismE0ELb1ELb1ES3_N6thrust23THRUST_200600_302600_NS6detail15normal_iteratorINS9_10device_ptrIjEEEESE_j11max_functorIjEjEEDaPvRmT3_T4_T5_mT6_P12ihipStream_tbENKUlT_T0_E_clISt17integral_constantIbLb1EEST_IbLb0EEEEDaSP_SQ_EUlSP_E_NS1_11comp_targetILNS1_3genE9ELNS1_11target_archE1100ELNS1_3gpuE3ELNS1_3repE0EEENS1_30default_config_static_selectorELNS0_4arch9wavefront6targetE1EEEvT1_,"axG",@progbits,_ZN7rocprim17ROCPRIM_400000_NS6detail17trampoline_kernelINS0_14default_configENS1_20scan_config_selectorIjEEZZNS1_9scan_implILNS1_25lookback_scan_determinismE0ELb1ELb1ES3_N6thrust23THRUST_200600_302600_NS6detail15normal_iteratorINS9_10device_ptrIjEEEESE_j11max_functorIjEjEEDaPvRmT3_T4_T5_mT6_P12ihipStream_tbENKUlT_T0_E_clISt17integral_constantIbLb1EEST_IbLb0EEEEDaSP_SQ_EUlSP_E_NS1_11comp_targetILNS1_3genE9ELNS1_11target_archE1100ELNS1_3gpuE3ELNS1_3repE0EEENS1_30default_config_static_selectorELNS0_4arch9wavefront6targetE1EEEvT1_,comdat
.Lfunc_end2372:
	.size	_ZN7rocprim17ROCPRIM_400000_NS6detail17trampoline_kernelINS0_14default_configENS1_20scan_config_selectorIjEEZZNS1_9scan_implILNS1_25lookback_scan_determinismE0ELb1ELb1ES3_N6thrust23THRUST_200600_302600_NS6detail15normal_iteratorINS9_10device_ptrIjEEEESE_j11max_functorIjEjEEDaPvRmT3_T4_T5_mT6_P12ihipStream_tbENKUlT_T0_E_clISt17integral_constantIbLb1EEST_IbLb0EEEEDaSP_SQ_EUlSP_E_NS1_11comp_targetILNS1_3genE9ELNS1_11target_archE1100ELNS1_3gpuE3ELNS1_3repE0EEENS1_30default_config_static_selectorELNS0_4arch9wavefront6targetE1EEEvT1_, .Lfunc_end2372-_ZN7rocprim17ROCPRIM_400000_NS6detail17trampoline_kernelINS0_14default_configENS1_20scan_config_selectorIjEEZZNS1_9scan_implILNS1_25lookback_scan_determinismE0ELb1ELb1ES3_N6thrust23THRUST_200600_302600_NS6detail15normal_iteratorINS9_10device_ptrIjEEEESE_j11max_functorIjEjEEDaPvRmT3_T4_T5_mT6_P12ihipStream_tbENKUlT_T0_E_clISt17integral_constantIbLb1EEST_IbLb0EEEEDaSP_SQ_EUlSP_E_NS1_11comp_targetILNS1_3genE9ELNS1_11target_archE1100ELNS1_3gpuE3ELNS1_3repE0EEENS1_30default_config_static_selectorELNS0_4arch9wavefront6targetE1EEEvT1_
                                        ; -- End function
	.section	.AMDGPU.csdata,"",@progbits
; Kernel info:
; codeLenInByte = 0
; NumSgprs: 4
; NumVgprs: 0
; NumAgprs: 0
; TotalNumVgprs: 0
; ScratchSize: 0
; MemoryBound: 0
; FloatMode: 240
; IeeeMode: 1
; LDSByteSize: 0 bytes/workgroup (compile time only)
; SGPRBlocks: 0
; VGPRBlocks: 0
; NumSGPRsForWavesPerEU: 4
; NumVGPRsForWavesPerEU: 1
; AccumOffset: 4
; Occupancy: 8
; WaveLimiterHint : 0
; COMPUTE_PGM_RSRC2:SCRATCH_EN: 0
; COMPUTE_PGM_RSRC2:USER_SGPR: 6
; COMPUTE_PGM_RSRC2:TRAP_HANDLER: 0
; COMPUTE_PGM_RSRC2:TGID_X_EN: 1
; COMPUTE_PGM_RSRC2:TGID_Y_EN: 0
; COMPUTE_PGM_RSRC2:TGID_Z_EN: 0
; COMPUTE_PGM_RSRC2:TIDIG_COMP_CNT: 0
; COMPUTE_PGM_RSRC3_GFX90A:ACCUM_OFFSET: 0
; COMPUTE_PGM_RSRC3_GFX90A:TG_SPLIT: 0
	.section	.text._ZN7rocprim17ROCPRIM_400000_NS6detail17trampoline_kernelINS0_14default_configENS1_20scan_config_selectorIjEEZZNS1_9scan_implILNS1_25lookback_scan_determinismE0ELb1ELb1ES3_N6thrust23THRUST_200600_302600_NS6detail15normal_iteratorINS9_10device_ptrIjEEEESE_j11max_functorIjEjEEDaPvRmT3_T4_T5_mT6_P12ihipStream_tbENKUlT_T0_E_clISt17integral_constantIbLb1EEST_IbLb0EEEEDaSP_SQ_EUlSP_E_NS1_11comp_targetILNS1_3genE8ELNS1_11target_archE1030ELNS1_3gpuE2ELNS1_3repE0EEENS1_30default_config_static_selectorELNS0_4arch9wavefront6targetE1EEEvT1_,"axG",@progbits,_ZN7rocprim17ROCPRIM_400000_NS6detail17trampoline_kernelINS0_14default_configENS1_20scan_config_selectorIjEEZZNS1_9scan_implILNS1_25lookback_scan_determinismE0ELb1ELb1ES3_N6thrust23THRUST_200600_302600_NS6detail15normal_iteratorINS9_10device_ptrIjEEEESE_j11max_functorIjEjEEDaPvRmT3_T4_T5_mT6_P12ihipStream_tbENKUlT_T0_E_clISt17integral_constantIbLb1EEST_IbLb0EEEEDaSP_SQ_EUlSP_E_NS1_11comp_targetILNS1_3genE8ELNS1_11target_archE1030ELNS1_3gpuE2ELNS1_3repE0EEENS1_30default_config_static_selectorELNS0_4arch9wavefront6targetE1EEEvT1_,comdat
	.protected	_ZN7rocprim17ROCPRIM_400000_NS6detail17trampoline_kernelINS0_14default_configENS1_20scan_config_selectorIjEEZZNS1_9scan_implILNS1_25lookback_scan_determinismE0ELb1ELb1ES3_N6thrust23THRUST_200600_302600_NS6detail15normal_iteratorINS9_10device_ptrIjEEEESE_j11max_functorIjEjEEDaPvRmT3_T4_T5_mT6_P12ihipStream_tbENKUlT_T0_E_clISt17integral_constantIbLb1EEST_IbLb0EEEEDaSP_SQ_EUlSP_E_NS1_11comp_targetILNS1_3genE8ELNS1_11target_archE1030ELNS1_3gpuE2ELNS1_3repE0EEENS1_30default_config_static_selectorELNS0_4arch9wavefront6targetE1EEEvT1_ ; -- Begin function _ZN7rocprim17ROCPRIM_400000_NS6detail17trampoline_kernelINS0_14default_configENS1_20scan_config_selectorIjEEZZNS1_9scan_implILNS1_25lookback_scan_determinismE0ELb1ELb1ES3_N6thrust23THRUST_200600_302600_NS6detail15normal_iteratorINS9_10device_ptrIjEEEESE_j11max_functorIjEjEEDaPvRmT3_T4_T5_mT6_P12ihipStream_tbENKUlT_T0_E_clISt17integral_constantIbLb1EEST_IbLb0EEEEDaSP_SQ_EUlSP_E_NS1_11comp_targetILNS1_3genE8ELNS1_11target_archE1030ELNS1_3gpuE2ELNS1_3repE0EEENS1_30default_config_static_selectorELNS0_4arch9wavefront6targetE1EEEvT1_
	.globl	_ZN7rocprim17ROCPRIM_400000_NS6detail17trampoline_kernelINS0_14default_configENS1_20scan_config_selectorIjEEZZNS1_9scan_implILNS1_25lookback_scan_determinismE0ELb1ELb1ES3_N6thrust23THRUST_200600_302600_NS6detail15normal_iteratorINS9_10device_ptrIjEEEESE_j11max_functorIjEjEEDaPvRmT3_T4_T5_mT6_P12ihipStream_tbENKUlT_T0_E_clISt17integral_constantIbLb1EEST_IbLb0EEEEDaSP_SQ_EUlSP_E_NS1_11comp_targetILNS1_3genE8ELNS1_11target_archE1030ELNS1_3gpuE2ELNS1_3repE0EEENS1_30default_config_static_selectorELNS0_4arch9wavefront6targetE1EEEvT1_
	.p2align	8
	.type	_ZN7rocprim17ROCPRIM_400000_NS6detail17trampoline_kernelINS0_14default_configENS1_20scan_config_selectorIjEEZZNS1_9scan_implILNS1_25lookback_scan_determinismE0ELb1ELb1ES3_N6thrust23THRUST_200600_302600_NS6detail15normal_iteratorINS9_10device_ptrIjEEEESE_j11max_functorIjEjEEDaPvRmT3_T4_T5_mT6_P12ihipStream_tbENKUlT_T0_E_clISt17integral_constantIbLb1EEST_IbLb0EEEEDaSP_SQ_EUlSP_E_NS1_11comp_targetILNS1_3genE8ELNS1_11target_archE1030ELNS1_3gpuE2ELNS1_3repE0EEENS1_30default_config_static_selectorELNS0_4arch9wavefront6targetE1EEEvT1_,@function
_ZN7rocprim17ROCPRIM_400000_NS6detail17trampoline_kernelINS0_14default_configENS1_20scan_config_selectorIjEEZZNS1_9scan_implILNS1_25lookback_scan_determinismE0ELb1ELb1ES3_N6thrust23THRUST_200600_302600_NS6detail15normal_iteratorINS9_10device_ptrIjEEEESE_j11max_functorIjEjEEDaPvRmT3_T4_T5_mT6_P12ihipStream_tbENKUlT_T0_E_clISt17integral_constantIbLb1EEST_IbLb0EEEEDaSP_SQ_EUlSP_E_NS1_11comp_targetILNS1_3genE8ELNS1_11target_archE1030ELNS1_3gpuE2ELNS1_3repE0EEENS1_30default_config_static_selectorELNS0_4arch9wavefront6targetE1EEEvT1_: ; @_ZN7rocprim17ROCPRIM_400000_NS6detail17trampoline_kernelINS0_14default_configENS1_20scan_config_selectorIjEEZZNS1_9scan_implILNS1_25lookback_scan_determinismE0ELb1ELb1ES3_N6thrust23THRUST_200600_302600_NS6detail15normal_iteratorINS9_10device_ptrIjEEEESE_j11max_functorIjEjEEDaPvRmT3_T4_T5_mT6_P12ihipStream_tbENKUlT_T0_E_clISt17integral_constantIbLb1EEST_IbLb0EEEEDaSP_SQ_EUlSP_E_NS1_11comp_targetILNS1_3genE8ELNS1_11target_archE1030ELNS1_3gpuE2ELNS1_3repE0EEENS1_30default_config_static_selectorELNS0_4arch9wavefront6targetE1EEEvT1_
; %bb.0:
	.section	.rodata,"a",@progbits
	.p2align	6, 0x0
	.amdhsa_kernel _ZN7rocprim17ROCPRIM_400000_NS6detail17trampoline_kernelINS0_14default_configENS1_20scan_config_selectorIjEEZZNS1_9scan_implILNS1_25lookback_scan_determinismE0ELb1ELb1ES3_N6thrust23THRUST_200600_302600_NS6detail15normal_iteratorINS9_10device_ptrIjEEEESE_j11max_functorIjEjEEDaPvRmT3_T4_T5_mT6_P12ihipStream_tbENKUlT_T0_E_clISt17integral_constantIbLb1EEST_IbLb0EEEEDaSP_SQ_EUlSP_E_NS1_11comp_targetILNS1_3genE8ELNS1_11target_archE1030ELNS1_3gpuE2ELNS1_3repE0EEENS1_30default_config_static_selectorELNS0_4arch9wavefront6targetE1EEEvT1_
		.amdhsa_group_segment_fixed_size 0
		.amdhsa_private_segment_fixed_size 0
		.amdhsa_kernarg_size 96
		.amdhsa_user_sgpr_count 6
		.amdhsa_user_sgpr_private_segment_buffer 1
		.amdhsa_user_sgpr_dispatch_ptr 0
		.amdhsa_user_sgpr_queue_ptr 0
		.amdhsa_user_sgpr_kernarg_segment_ptr 1
		.amdhsa_user_sgpr_dispatch_id 0
		.amdhsa_user_sgpr_flat_scratch_init 0
		.amdhsa_user_sgpr_kernarg_preload_length 0
		.amdhsa_user_sgpr_kernarg_preload_offset 0
		.amdhsa_user_sgpr_private_segment_size 0
		.amdhsa_uses_dynamic_stack 0
		.amdhsa_system_sgpr_private_segment_wavefront_offset 0
		.amdhsa_system_sgpr_workgroup_id_x 1
		.amdhsa_system_sgpr_workgroup_id_y 0
		.amdhsa_system_sgpr_workgroup_id_z 0
		.amdhsa_system_sgpr_workgroup_info 0
		.amdhsa_system_vgpr_workitem_id 0
		.amdhsa_next_free_vgpr 1
		.amdhsa_next_free_sgpr 0
		.amdhsa_accum_offset 4
		.amdhsa_reserve_vcc 0
		.amdhsa_reserve_flat_scratch 0
		.amdhsa_float_round_mode_32 0
		.amdhsa_float_round_mode_16_64 0
		.amdhsa_float_denorm_mode_32 3
		.amdhsa_float_denorm_mode_16_64 3
		.amdhsa_dx10_clamp 1
		.amdhsa_ieee_mode 1
		.amdhsa_fp16_overflow 0
		.amdhsa_tg_split 0
		.amdhsa_exception_fp_ieee_invalid_op 0
		.amdhsa_exception_fp_denorm_src 0
		.amdhsa_exception_fp_ieee_div_zero 0
		.amdhsa_exception_fp_ieee_overflow 0
		.amdhsa_exception_fp_ieee_underflow 0
		.amdhsa_exception_fp_ieee_inexact 0
		.amdhsa_exception_int_div_zero 0
	.end_amdhsa_kernel
	.section	.text._ZN7rocprim17ROCPRIM_400000_NS6detail17trampoline_kernelINS0_14default_configENS1_20scan_config_selectorIjEEZZNS1_9scan_implILNS1_25lookback_scan_determinismE0ELb1ELb1ES3_N6thrust23THRUST_200600_302600_NS6detail15normal_iteratorINS9_10device_ptrIjEEEESE_j11max_functorIjEjEEDaPvRmT3_T4_T5_mT6_P12ihipStream_tbENKUlT_T0_E_clISt17integral_constantIbLb1EEST_IbLb0EEEEDaSP_SQ_EUlSP_E_NS1_11comp_targetILNS1_3genE8ELNS1_11target_archE1030ELNS1_3gpuE2ELNS1_3repE0EEENS1_30default_config_static_selectorELNS0_4arch9wavefront6targetE1EEEvT1_,"axG",@progbits,_ZN7rocprim17ROCPRIM_400000_NS6detail17trampoline_kernelINS0_14default_configENS1_20scan_config_selectorIjEEZZNS1_9scan_implILNS1_25lookback_scan_determinismE0ELb1ELb1ES3_N6thrust23THRUST_200600_302600_NS6detail15normal_iteratorINS9_10device_ptrIjEEEESE_j11max_functorIjEjEEDaPvRmT3_T4_T5_mT6_P12ihipStream_tbENKUlT_T0_E_clISt17integral_constantIbLb1EEST_IbLb0EEEEDaSP_SQ_EUlSP_E_NS1_11comp_targetILNS1_3genE8ELNS1_11target_archE1030ELNS1_3gpuE2ELNS1_3repE0EEENS1_30default_config_static_selectorELNS0_4arch9wavefront6targetE1EEEvT1_,comdat
.Lfunc_end2373:
	.size	_ZN7rocprim17ROCPRIM_400000_NS6detail17trampoline_kernelINS0_14default_configENS1_20scan_config_selectorIjEEZZNS1_9scan_implILNS1_25lookback_scan_determinismE0ELb1ELb1ES3_N6thrust23THRUST_200600_302600_NS6detail15normal_iteratorINS9_10device_ptrIjEEEESE_j11max_functorIjEjEEDaPvRmT3_T4_T5_mT6_P12ihipStream_tbENKUlT_T0_E_clISt17integral_constantIbLb1EEST_IbLb0EEEEDaSP_SQ_EUlSP_E_NS1_11comp_targetILNS1_3genE8ELNS1_11target_archE1030ELNS1_3gpuE2ELNS1_3repE0EEENS1_30default_config_static_selectorELNS0_4arch9wavefront6targetE1EEEvT1_, .Lfunc_end2373-_ZN7rocprim17ROCPRIM_400000_NS6detail17trampoline_kernelINS0_14default_configENS1_20scan_config_selectorIjEEZZNS1_9scan_implILNS1_25lookback_scan_determinismE0ELb1ELb1ES3_N6thrust23THRUST_200600_302600_NS6detail15normal_iteratorINS9_10device_ptrIjEEEESE_j11max_functorIjEjEEDaPvRmT3_T4_T5_mT6_P12ihipStream_tbENKUlT_T0_E_clISt17integral_constantIbLb1EEST_IbLb0EEEEDaSP_SQ_EUlSP_E_NS1_11comp_targetILNS1_3genE8ELNS1_11target_archE1030ELNS1_3gpuE2ELNS1_3repE0EEENS1_30default_config_static_selectorELNS0_4arch9wavefront6targetE1EEEvT1_
                                        ; -- End function
	.section	.AMDGPU.csdata,"",@progbits
; Kernel info:
; codeLenInByte = 0
; NumSgprs: 4
; NumVgprs: 0
; NumAgprs: 0
; TotalNumVgprs: 0
; ScratchSize: 0
; MemoryBound: 0
; FloatMode: 240
; IeeeMode: 1
; LDSByteSize: 0 bytes/workgroup (compile time only)
; SGPRBlocks: 0
; VGPRBlocks: 0
; NumSGPRsForWavesPerEU: 4
; NumVGPRsForWavesPerEU: 1
; AccumOffset: 4
; Occupancy: 8
; WaveLimiterHint : 0
; COMPUTE_PGM_RSRC2:SCRATCH_EN: 0
; COMPUTE_PGM_RSRC2:USER_SGPR: 6
; COMPUTE_PGM_RSRC2:TRAP_HANDLER: 0
; COMPUTE_PGM_RSRC2:TGID_X_EN: 1
; COMPUTE_PGM_RSRC2:TGID_Y_EN: 0
; COMPUTE_PGM_RSRC2:TGID_Z_EN: 0
; COMPUTE_PGM_RSRC2:TIDIG_COMP_CNT: 0
; COMPUTE_PGM_RSRC3_GFX90A:ACCUM_OFFSET: 0
; COMPUTE_PGM_RSRC3_GFX90A:TG_SPLIT: 0
	.section	.text._ZN7rocprim17ROCPRIM_400000_NS6detail17trampoline_kernelINS0_14default_configENS1_20scan_config_selectorIjEEZZNS1_9scan_implILNS1_25lookback_scan_determinismE0ELb1ELb1ES3_N6thrust23THRUST_200600_302600_NS6detail15normal_iteratorINS9_10device_ptrIjEEEESE_j11max_functorIjEjEEDaPvRmT3_T4_T5_mT6_P12ihipStream_tbENKUlT_T0_E_clISt17integral_constantIbLb1EEST_IbLb0EEEEDaSP_SQ_EUlSP_E0_NS1_11comp_targetILNS1_3genE0ELNS1_11target_archE4294967295ELNS1_3gpuE0ELNS1_3repE0EEENS1_30default_config_static_selectorELNS0_4arch9wavefront6targetE1EEEvT1_,"axG",@progbits,_ZN7rocprim17ROCPRIM_400000_NS6detail17trampoline_kernelINS0_14default_configENS1_20scan_config_selectorIjEEZZNS1_9scan_implILNS1_25lookback_scan_determinismE0ELb1ELb1ES3_N6thrust23THRUST_200600_302600_NS6detail15normal_iteratorINS9_10device_ptrIjEEEESE_j11max_functorIjEjEEDaPvRmT3_T4_T5_mT6_P12ihipStream_tbENKUlT_T0_E_clISt17integral_constantIbLb1EEST_IbLb0EEEEDaSP_SQ_EUlSP_E0_NS1_11comp_targetILNS1_3genE0ELNS1_11target_archE4294967295ELNS1_3gpuE0ELNS1_3repE0EEENS1_30default_config_static_selectorELNS0_4arch9wavefront6targetE1EEEvT1_,comdat
	.protected	_ZN7rocprim17ROCPRIM_400000_NS6detail17trampoline_kernelINS0_14default_configENS1_20scan_config_selectorIjEEZZNS1_9scan_implILNS1_25lookback_scan_determinismE0ELb1ELb1ES3_N6thrust23THRUST_200600_302600_NS6detail15normal_iteratorINS9_10device_ptrIjEEEESE_j11max_functorIjEjEEDaPvRmT3_T4_T5_mT6_P12ihipStream_tbENKUlT_T0_E_clISt17integral_constantIbLb1EEST_IbLb0EEEEDaSP_SQ_EUlSP_E0_NS1_11comp_targetILNS1_3genE0ELNS1_11target_archE4294967295ELNS1_3gpuE0ELNS1_3repE0EEENS1_30default_config_static_selectorELNS0_4arch9wavefront6targetE1EEEvT1_ ; -- Begin function _ZN7rocprim17ROCPRIM_400000_NS6detail17trampoline_kernelINS0_14default_configENS1_20scan_config_selectorIjEEZZNS1_9scan_implILNS1_25lookback_scan_determinismE0ELb1ELb1ES3_N6thrust23THRUST_200600_302600_NS6detail15normal_iteratorINS9_10device_ptrIjEEEESE_j11max_functorIjEjEEDaPvRmT3_T4_T5_mT6_P12ihipStream_tbENKUlT_T0_E_clISt17integral_constantIbLb1EEST_IbLb0EEEEDaSP_SQ_EUlSP_E0_NS1_11comp_targetILNS1_3genE0ELNS1_11target_archE4294967295ELNS1_3gpuE0ELNS1_3repE0EEENS1_30default_config_static_selectorELNS0_4arch9wavefront6targetE1EEEvT1_
	.globl	_ZN7rocprim17ROCPRIM_400000_NS6detail17trampoline_kernelINS0_14default_configENS1_20scan_config_selectorIjEEZZNS1_9scan_implILNS1_25lookback_scan_determinismE0ELb1ELb1ES3_N6thrust23THRUST_200600_302600_NS6detail15normal_iteratorINS9_10device_ptrIjEEEESE_j11max_functorIjEjEEDaPvRmT3_T4_T5_mT6_P12ihipStream_tbENKUlT_T0_E_clISt17integral_constantIbLb1EEST_IbLb0EEEEDaSP_SQ_EUlSP_E0_NS1_11comp_targetILNS1_3genE0ELNS1_11target_archE4294967295ELNS1_3gpuE0ELNS1_3repE0EEENS1_30default_config_static_selectorELNS0_4arch9wavefront6targetE1EEEvT1_
	.p2align	8
	.type	_ZN7rocprim17ROCPRIM_400000_NS6detail17trampoline_kernelINS0_14default_configENS1_20scan_config_selectorIjEEZZNS1_9scan_implILNS1_25lookback_scan_determinismE0ELb1ELb1ES3_N6thrust23THRUST_200600_302600_NS6detail15normal_iteratorINS9_10device_ptrIjEEEESE_j11max_functorIjEjEEDaPvRmT3_T4_T5_mT6_P12ihipStream_tbENKUlT_T0_E_clISt17integral_constantIbLb1EEST_IbLb0EEEEDaSP_SQ_EUlSP_E0_NS1_11comp_targetILNS1_3genE0ELNS1_11target_archE4294967295ELNS1_3gpuE0ELNS1_3repE0EEENS1_30default_config_static_selectorELNS0_4arch9wavefront6targetE1EEEvT1_,@function
_ZN7rocprim17ROCPRIM_400000_NS6detail17trampoline_kernelINS0_14default_configENS1_20scan_config_selectorIjEEZZNS1_9scan_implILNS1_25lookback_scan_determinismE0ELb1ELb1ES3_N6thrust23THRUST_200600_302600_NS6detail15normal_iteratorINS9_10device_ptrIjEEEESE_j11max_functorIjEjEEDaPvRmT3_T4_T5_mT6_P12ihipStream_tbENKUlT_T0_E_clISt17integral_constantIbLb1EEST_IbLb0EEEEDaSP_SQ_EUlSP_E0_NS1_11comp_targetILNS1_3genE0ELNS1_11target_archE4294967295ELNS1_3gpuE0ELNS1_3repE0EEENS1_30default_config_static_selectorELNS0_4arch9wavefront6targetE1EEEvT1_: ; @_ZN7rocprim17ROCPRIM_400000_NS6detail17trampoline_kernelINS0_14default_configENS1_20scan_config_selectorIjEEZZNS1_9scan_implILNS1_25lookback_scan_determinismE0ELb1ELb1ES3_N6thrust23THRUST_200600_302600_NS6detail15normal_iteratorINS9_10device_ptrIjEEEESE_j11max_functorIjEjEEDaPvRmT3_T4_T5_mT6_P12ihipStream_tbENKUlT_T0_E_clISt17integral_constantIbLb1EEST_IbLb0EEEEDaSP_SQ_EUlSP_E0_NS1_11comp_targetILNS1_3genE0ELNS1_11target_archE4294967295ELNS1_3gpuE0ELNS1_3repE0EEENS1_30default_config_static_selectorELNS0_4arch9wavefront6targetE1EEEvT1_
; %bb.0:
	.section	.rodata,"a",@progbits
	.p2align	6, 0x0
	.amdhsa_kernel _ZN7rocprim17ROCPRIM_400000_NS6detail17trampoline_kernelINS0_14default_configENS1_20scan_config_selectorIjEEZZNS1_9scan_implILNS1_25lookback_scan_determinismE0ELb1ELb1ES3_N6thrust23THRUST_200600_302600_NS6detail15normal_iteratorINS9_10device_ptrIjEEEESE_j11max_functorIjEjEEDaPvRmT3_T4_T5_mT6_P12ihipStream_tbENKUlT_T0_E_clISt17integral_constantIbLb1EEST_IbLb0EEEEDaSP_SQ_EUlSP_E0_NS1_11comp_targetILNS1_3genE0ELNS1_11target_archE4294967295ELNS1_3gpuE0ELNS1_3repE0EEENS1_30default_config_static_selectorELNS0_4arch9wavefront6targetE1EEEvT1_
		.amdhsa_group_segment_fixed_size 0
		.amdhsa_private_segment_fixed_size 0
		.amdhsa_kernarg_size 32
		.amdhsa_user_sgpr_count 6
		.amdhsa_user_sgpr_private_segment_buffer 1
		.amdhsa_user_sgpr_dispatch_ptr 0
		.amdhsa_user_sgpr_queue_ptr 0
		.amdhsa_user_sgpr_kernarg_segment_ptr 1
		.amdhsa_user_sgpr_dispatch_id 0
		.amdhsa_user_sgpr_flat_scratch_init 0
		.amdhsa_user_sgpr_kernarg_preload_length 0
		.amdhsa_user_sgpr_kernarg_preload_offset 0
		.amdhsa_user_sgpr_private_segment_size 0
		.amdhsa_uses_dynamic_stack 0
		.amdhsa_system_sgpr_private_segment_wavefront_offset 0
		.amdhsa_system_sgpr_workgroup_id_x 1
		.amdhsa_system_sgpr_workgroup_id_y 0
		.amdhsa_system_sgpr_workgroup_id_z 0
		.amdhsa_system_sgpr_workgroup_info 0
		.amdhsa_system_vgpr_workitem_id 0
		.amdhsa_next_free_vgpr 1
		.amdhsa_next_free_sgpr 0
		.amdhsa_accum_offset 4
		.amdhsa_reserve_vcc 0
		.amdhsa_reserve_flat_scratch 0
		.amdhsa_float_round_mode_32 0
		.amdhsa_float_round_mode_16_64 0
		.amdhsa_float_denorm_mode_32 3
		.amdhsa_float_denorm_mode_16_64 3
		.amdhsa_dx10_clamp 1
		.amdhsa_ieee_mode 1
		.amdhsa_fp16_overflow 0
		.amdhsa_tg_split 0
		.amdhsa_exception_fp_ieee_invalid_op 0
		.amdhsa_exception_fp_denorm_src 0
		.amdhsa_exception_fp_ieee_div_zero 0
		.amdhsa_exception_fp_ieee_overflow 0
		.amdhsa_exception_fp_ieee_underflow 0
		.amdhsa_exception_fp_ieee_inexact 0
		.amdhsa_exception_int_div_zero 0
	.end_amdhsa_kernel
	.section	.text._ZN7rocprim17ROCPRIM_400000_NS6detail17trampoline_kernelINS0_14default_configENS1_20scan_config_selectorIjEEZZNS1_9scan_implILNS1_25lookback_scan_determinismE0ELb1ELb1ES3_N6thrust23THRUST_200600_302600_NS6detail15normal_iteratorINS9_10device_ptrIjEEEESE_j11max_functorIjEjEEDaPvRmT3_T4_T5_mT6_P12ihipStream_tbENKUlT_T0_E_clISt17integral_constantIbLb1EEST_IbLb0EEEEDaSP_SQ_EUlSP_E0_NS1_11comp_targetILNS1_3genE0ELNS1_11target_archE4294967295ELNS1_3gpuE0ELNS1_3repE0EEENS1_30default_config_static_selectorELNS0_4arch9wavefront6targetE1EEEvT1_,"axG",@progbits,_ZN7rocprim17ROCPRIM_400000_NS6detail17trampoline_kernelINS0_14default_configENS1_20scan_config_selectorIjEEZZNS1_9scan_implILNS1_25lookback_scan_determinismE0ELb1ELb1ES3_N6thrust23THRUST_200600_302600_NS6detail15normal_iteratorINS9_10device_ptrIjEEEESE_j11max_functorIjEjEEDaPvRmT3_T4_T5_mT6_P12ihipStream_tbENKUlT_T0_E_clISt17integral_constantIbLb1EEST_IbLb0EEEEDaSP_SQ_EUlSP_E0_NS1_11comp_targetILNS1_3genE0ELNS1_11target_archE4294967295ELNS1_3gpuE0ELNS1_3repE0EEENS1_30default_config_static_selectorELNS0_4arch9wavefront6targetE1EEEvT1_,comdat
.Lfunc_end2374:
	.size	_ZN7rocprim17ROCPRIM_400000_NS6detail17trampoline_kernelINS0_14default_configENS1_20scan_config_selectorIjEEZZNS1_9scan_implILNS1_25lookback_scan_determinismE0ELb1ELb1ES3_N6thrust23THRUST_200600_302600_NS6detail15normal_iteratorINS9_10device_ptrIjEEEESE_j11max_functorIjEjEEDaPvRmT3_T4_T5_mT6_P12ihipStream_tbENKUlT_T0_E_clISt17integral_constantIbLb1EEST_IbLb0EEEEDaSP_SQ_EUlSP_E0_NS1_11comp_targetILNS1_3genE0ELNS1_11target_archE4294967295ELNS1_3gpuE0ELNS1_3repE0EEENS1_30default_config_static_selectorELNS0_4arch9wavefront6targetE1EEEvT1_, .Lfunc_end2374-_ZN7rocprim17ROCPRIM_400000_NS6detail17trampoline_kernelINS0_14default_configENS1_20scan_config_selectorIjEEZZNS1_9scan_implILNS1_25lookback_scan_determinismE0ELb1ELb1ES3_N6thrust23THRUST_200600_302600_NS6detail15normal_iteratorINS9_10device_ptrIjEEEESE_j11max_functorIjEjEEDaPvRmT3_T4_T5_mT6_P12ihipStream_tbENKUlT_T0_E_clISt17integral_constantIbLb1EEST_IbLb0EEEEDaSP_SQ_EUlSP_E0_NS1_11comp_targetILNS1_3genE0ELNS1_11target_archE4294967295ELNS1_3gpuE0ELNS1_3repE0EEENS1_30default_config_static_selectorELNS0_4arch9wavefront6targetE1EEEvT1_
                                        ; -- End function
	.section	.AMDGPU.csdata,"",@progbits
; Kernel info:
; codeLenInByte = 0
; NumSgprs: 4
; NumVgprs: 0
; NumAgprs: 0
; TotalNumVgprs: 0
; ScratchSize: 0
; MemoryBound: 0
; FloatMode: 240
; IeeeMode: 1
; LDSByteSize: 0 bytes/workgroup (compile time only)
; SGPRBlocks: 0
; VGPRBlocks: 0
; NumSGPRsForWavesPerEU: 4
; NumVGPRsForWavesPerEU: 1
; AccumOffset: 4
; Occupancy: 8
; WaveLimiterHint : 0
; COMPUTE_PGM_RSRC2:SCRATCH_EN: 0
; COMPUTE_PGM_RSRC2:USER_SGPR: 6
; COMPUTE_PGM_RSRC2:TRAP_HANDLER: 0
; COMPUTE_PGM_RSRC2:TGID_X_EN: 1
; COMPUTE_PGM_RSRC2:TGID_Y_EN: 0
; COMPUTE_PGM_RSRC2:TGID_Z_EN: 0
; COMPUTE_PGM_RSRC2:TIDIG_COMP_CNT: 0
; COMPUTE_PGM_RSRC3_GFX90A:ACCUM_OFFSET: 0
; COMPUTE_PGM_RSRC3_GFX90A:TG_SPLIT: 0
	.section	.text._ZN7rocprim17ROCPRIM_400000_NS6detail17trampoline_kernelINS0_14default_configENS1_20scan_config_selectorIjEEZZNS1_9scan_implILNS1_25lookback_scan_determinismE0ELb1ELb1ES3_N6thrust23THRUST_200600_302600_NS6detail15normal_iteratorINS9_10device_ptrIjEEEESE_j11max_functorIjEjEEDaPvRmT3_T4_T5_mT6_P12ihipStream_tbENKUlT_T0_E_clISt17integral_constantIbLb1EEST_IbLb0EEEEDaSP_SQ_EUlSP_E0_NS1_11comp_targetILNS1_3genE5ELNS1_11target_archE942ELNS1_3gpuE9ELNS1_3repE0EEENS1_30default_config_static_selectorELNS0_4arch9wavefront6targetE1EEEvT1_,"axG",@progbits,_ZN7rocprim17ROCPRIM_400000_NS6detail17trampoline_kernelINS0_14default_configENS1_20scan_config_selectorIjEEZZNS1_9scan_implILNS1_25lookback_scan_determinismE0ELb1ELb1ES3_N6thrust23THRUST_200600_302600_NS6detail15normal_iteratorINS9_10device_ptrIjEEEESE_j11max_functorIjEjEEDaPvRmT3_T4_T5_mT6_P12ihipStream_tbENKUlT_T0_E_clISt17integral_constantIbLb1EEST_IbLb0EEEEDaSP_SQ_EUlSP_E0_NS1_11comp_targetILNS1_3genE5ELNS1_11target_archE942ELNS1_3gpuE9ELNS1_3repE0EEENS1_30default_config_static_selectorELNS0_4arch9wavefront6targetE1EEEvT1_,comdat
	.protected	_ZN7rocprim17ROCPRIM_400000_NS6detail17trampoline_kernelINS0_14default_configENS1_20scan_config_selectorIjEEZZNS1_9scan_implILNS1_25lookback_scan_determinismE0ELb1ELb1ES3_N6thrust23THRUST_200600_302600_NS6detail15normal_iteratorINS9_10device_ptrIjEEEESE_j11max_functorIjEjEEDaPvRmT3_T4_T5_mT6_P12ihipStream_tbENKUlT_T0_E_clISt17integral_constantIbLb1EEST_IbLb0EEEEDaSP_SQ_EUlSP_E0_NS1_11comp_targetILNS1_3genE5ELNS1_11target_archE942ELNS1_3gpuE9ELNS1_3repE0EEENS1_30default_config_static_selectorELNS0_4arch9wavefront6targetE1EEEvT1_ ; -- Begin function _ZN7rocprim17ROCPRIM_400000_NS6detail17trampoline_kernelINS0_14default_configENS1_20scan_config_selectorIjEEZZNS1_9scan_implILNS1_25lookback_scan_determinismE0ELb1ELb1ES3_N6thrust23THRUST_200600_302600_NS6detail15normal_iteratorINS9_10device_ptrIjEEEESE_j11max_functorIjEjEEDaPvRmT3_T4_T5_mT6_P12ihipStream_tbENKUlT_T0_E_clISt17integral_constantIbLb1EEST_IbLb0EEEEDaSP_SQ_EUlSP_E0_NS1_11comp_targetILNS1_3genE5ELNS1_11target_archE942ELNS1_3gpuE9ELNS1_3repE0EEENS1_30default_config_static_selectorELNS0_4arch9wavefront6targetE1EEEvT1_
	.globl	_ZN7rocprim17ROCPRIM_400000_NS6detail17trampoline_kernelINS0_14default_configENS1_20scan_config_selectorIjEEZZNS1_9scan_implILNS1_25lookback_scan_determinismE0ELb1ELb1ES3_N6thrust23THRUST_200600_302600_NS6detail15normal_iteratorINS9_10device_ptrIjEEEESE_j11max_functorIjEjEEDaPvRmT3_T4_T5_mT6_P12ihipStream_tbENKUlT_T0_E_clISt17integral_constantIbLb1EEST_IbLb0EEEEDaSP_SQ_EUlSP_E0_NS1_11comp_targetILNS1_3genE5ELNS1_11target_archE942ELNS1_3gpuE9ELNS1_3repE0EEENS1_30default_config_static_selectorELNS0_4arch9wavefront6targetE1EEEvT1_
	.p2align	8
	.type	_ZN7rocprim17ROCPRIM_400000_NS6detail17trampoline_kernelINS0_14default_configENS1_20scan_config_selectorIjEEZZNS1_9scan_implILNS1_25lookback_scan_determinismE0ELb1ELb1ES3_N6thrust23THRUST_200600_302600_NS6detail15normal_iteratorINS9_10device_ptrIjEEEESE_j11max_functorIjEjEEDaPvRmT3_T4_T5_mT6_P12ihipStream_tbENKUlT_T0_E_clISt17integral_constantIbLb1EEST_IbLb0EEEEDaSP_SQ_EUlSP_E0_NS1_11comp_targetILNS1_3genE5ELNS1_11target_archE942ELNS1_3gpuE9ELNS1_3repE0EEENS1_30default_config_static_selectorELNS0_4arch9wavefront6targetE1EEEvT1_,@function
_ZN7rocprim17ROCPRIM_400000_NS6detail17trampoline_kernelINS0_14default_configENS1_20scan_config_selectorIjEEZZNS1_9scan_implILNS1_25lookback_scan_determinismE0ELb1ELb1ES3_N6thrust23THRUST_200600_302600_NS6detail15normal_iteratorINS9_10device_ptrIjEEEESE_j11max_functorIjEjEEDaPvRmT3_T4_T5_mT6_P12ihipStream_tbENKUlT_T0_E_clISt17integral_constantIbLb1EEST_IbLb0EEEEDaSP_SQ_EUlSP_E0_NS1_11comp_targetILNS1_3genE5ELNS1_11target_archE942ELNS1_3gpuE9ELNS1_3repE0EEENS1_30default_config_static_selectorELNS0_4arch9wavefront6targetE1EEEvT1_: ; @_ZN7rocprim17ROCPRIM_400000_NS6detail17trampoline_kernelINS0_14default_configENS1_20scan_config_selectorIjEEZZNS1_9scan_implILNS1_25lookback_scan_determinismE0ELb1ELb1ES3_N6thrust23THRUST_200600_302600_NS6detail15normal_iteratorINS9_10device_ptrIjEEEESE_j11max_functorIjEjEEDaPvRmT3_T4_T5_mT6_P12ihipStream_tbENKUlT_T0_E_clISt17integral_constantIbLb1EEST_IbLb0EEEEDaSP_SQ_EUlSP_E0_NS1_11comp_targetILNS1_3genE5ELNS1_11target_archE942ELNS1_3gpuE9ELNS1_3repE0EEENS1_30default_config_static_selectorELNS0_4arch9wavefront6targetE1EEEvT1_
; %bb.0:
	.section	.rodata,"a",@progbits
	.p2align	6, 0x0
	.amdhsa_kernel _ZN7rocprim17ROCPRIM_400000_NS6detail17trampoline_kernelINS0_14default_configENS1_20scan_config_selectorIjEEZZNS1_9scan_implILNS1_25lookback_scan_determinismE0ELb1ELb1ES3_N6thrust23THRUST_200600_302600_NS6detail15normal_iteratorINS9_10device_ptrIjEEEESE_j11max_functorIjEjEEDaPvRmT3_T4_T5_mT6_P12ihipStream_tbENKUlT_T0_E_clISt17integral_constantIbLb1EEST_IbLb0EEEEDaSP_SQ_EUlSP_E0_NS1_11comp_targetILNS1_3genE5ELNS1_11target_archE942ELNS1_3gpuE9ELNS1_3repE0EEENS1_30default_config_static_selectorELNS0_4arch9wavefront6targetE1EEEvT1_
		.amdhsa_group_segment_fixed_size 0
		.amdhsa_private_segment_fixed_size 0
		.amdhsa_kernarg_size 32
		.amdhsa_user_sgpr_count 6
		.amdhsa_user_sgpr_private_segment_buffer 1
		.amdhsa_user_sgpr_dispatch_ptr 0
		.amdhsa_user_sgpr_queue_ptr 0
		.amdhsa_user_sgpr_kernarg_segment_ptr 1
		.amdhsa_user_sgpr_dispatch_id 0
		.amdhsa_user_sgpr_flat_scratch_init 0
		.amdhsa_user_sgpr_kernarg_preload_length 0
		.amdhsa_user_sgpr_kernarg_preload_offset 0
		.amdhsa_user_sgpr_private_segment_size 0
		.amdhsa_uses_dynamic_stack 0
		.amdhsa_system_sgpr_private_segment_wavefront_offset 0
		.amdhsa_system_sgpr_workgroup_id_x 1
		.amdhsa_system_sgpr_workgroup_id_y 0
		.amdhsa_system_sgpr_workgroup_id_z 0
		.amdhsa_system_sgpr_workgroup_info 0
		.amdhsa_system_vgpr_workitem_id 0
		.amdhsa_next_free_vgpr 1
		.amdhsa_next_free_sgpr 0
		.amdhsa_accum_offset 4
		.amdhsa_reserve_vcc 0
		.amdhsa_reserve_flat_scratch 0
		.amdhsa_float_round_mode_32 0
		.amdhsa_float_round_mode_16_64 0
		.amdhsa_float_denorm_mode_32 3
		.amdhsa_float_denorm_mode_16_64 3
		.amdhsa_dx10_clamp 1
		.amdhsa_ieee_mode 1
		.amdhsa_fp16_overflow 0
		.amdhsa_tg_split 0
		.amdhsa_exception_fp_ieee_invalid_op 0
		.amdhsa_exception_fp_denorm_src 0
		.amdhsa_exception_fp_ieee_div_zero 0
		.amdhsa_exception_fp_ieee_overflow 0
		.amdhsa_exception_fp_ieee_underflow 0
		.amdhsa_exception_fp_ieee_inexact 0
		.amdhsa_exception_int_div_zero 0
	.end_amdhsa_kernel
	.section	.text._ZN7rocprim17ROCPRIM_400000_NS6detail17trampoline_kernelINS0_14default_configENS1_20scan_config_selectorIjEEZZNS1_9scan_implILNS1_25lookback_scan_determinismE0ELb1ELb1ES3_N6thrust23THRUST_200600_302600_NS6detail15normal_iteratorINS9_10device_ptrIjEEEESE_j11max_functorIjEjEEDaPvRmT3_T4_T5_mT6_P12ihipStream_tbENKUlT_T0_E_clISt17integral_constantIbLb1EEST_IbLb0EEEEDaSP_SQ_EUlSP_E0_NS1_11comp_targetILNS1_3genE5ELNS1_11target_archE942ELNS1_3gpuE9ELNS1_3repE0EEENS1_30default_config_static_selectorELNS0_4arch9wavefront6targetE1EEEvT1_,"axG",@progbits,_ZN7rocprim17ROCPRIM_400000_NS6detail17trampoline_kernelINS0_14default_configENS1_20scan_config_selectorIjEEZZNS1_9scan_implILNS1_25lookback_scan_determinismE0ELb1ELb1ES3_N6thrust23THRUST_200600_302600_NS6detail15normal_iteratorINS9_10device_ptrIjEEEESE_j11max_functorIjEjEEDaPvRmT3_T4_T5_mT6_P12ihipStream_tbENKUlT_T0_E_clISt17integral_constantIbLb1EEST_IbLb0EEEEDaSP_SQ_EUlSP_E0_NS1_11comp_targetILNS1_3genE5ELNS1_11target_archE942ELNS1_3gpuE9ELNS1_3repE0EEENS1_30default_config_static_selectorELNS0_4arch9wavefront6targetE1EEEvT1_,comdat
.Lfunc_end2375:
	.size	_ZN7rocprim17ROCPRIM_400000_NS6detail17trampoline_kernelINS0_14default_configENS1_20scan_config_selectorIjEEZZNS1_9scan_implILNS1_25lookback_scan_determinismE0ELb1ELb1ES3_N6thrust23THRUST_200600_302600_NS6detail15normal_iteratorINS9_10device_ptrIjEEEESE_j11max_functorIjEjEEDaPvRmT3_T4_T5_mT6_P12ihipStream_tbENKUlT_T0_E_clISt17integral_constantIbLb1EEST_IbLb0EEEEDaSP_SQ_EUlSP_E0_NS1_11comp_targetILNS1_3genE5ELNS1_11target_archE942ELNS1_3gpuE9ELNS1_3repE0EEENS1_30default_config_static_selectorELNS0_4arch9wavefront6targetE1EEEvT1_, .Lfunc_end2375-_ZN7rocprim17ROCPRIM_400000_NS6detail17trampoline_kernelINS0_14default_configENS1_20scan_config_selectorIjEEZZNS1_9scan_implILNS1_25lookback_scan_determinismE0ELb1ELb1ES3_N6thrust23THRUST_200600_302600_NS6detail15normal_iteratorINS9_10device_ptrIjEEEESE_j11max_functorIjEjEEDaPvRmT3_T4_T5_mT6_P12ihipStream_tbENKUlT_T0_E_clISt17integral_constantIbLb1EEST_IbLb0EEEEDaSP_SQ_EUlSP_E0_NS1_11comp_targetILNS1_3genE5ELNS1_11target_archE942ELNS1_3gpuE9ELNS1_3repE0EEENS1_30default_config_static_selectorELNS0_4arch9wavefront6targetE1EEEvT1_
                                        ; -- End function
	.section	.AMDGPU.csdata,"",@progbits
; Kernel info:
; codeLenInByte = 0
; NumSgprs: 4
; NumVgprs: 0
; NumAgprs: 0
; TotalNumVgprs: 0
; ScratchSize: 0
; MemoryBound: 0
; FloatMode: 240
; IeeeMode: 1
; LDSByteSize: 0 bytes/workgroup (compile time only)
; SGPRBlocks: 0
; VGPRBlocks: 0
; NumSGPRsForWavesPerEU: 4
; NumVGPRsForWavesPerEU: 1
; AccumOffset: 4
; Occupancy: 8
; WaveLimiterHint : 0
; COMPUTE_PGM_RSRC2:SCRATCH_EN: 0
; COMPUTE_PGM_RSRC2:USER_SGPR: 6
; COMPUTE_PGM_RSRC2:TRAP_HANDLER: 0
; COMPUTE_PGM_RSRC2:TGID_X_EN: 1
; COMPUTE_PGM_RSRC2:TGID_Y_EN: 0
; COMPUTE_PGM_RSRC2:TGID_Z_EN: 0
; COMPUTE_PGM_RSRC2:TIDIG_COMP_CNT: 0
; COMPUTE_PGM_RSRC3_GFX90A:ACCUM_OFFSET: 0
; COMPUTE_PGM_RSRC3_GFX90A:TG_SPLIT: 0
	.section	.text._ZN7rocprim17ROCPRIM_400000_NS6detail17trampoline_kernelINS0_14default_configENS1_20scan_config_selectorIjEEZZNS1_9scan_implILNS1_25lookback_scan_determinismE0ELb1ELb1ES3_N6thrust23THRUST_200600_302600_NS6detail15normal_iteratorINS9_10device_ptrIjEEEESE_j11max_functorIjEjEEDaPvRmT3_T4_T5_mT6_P12ihipStream_tbENKUlT_T0_E_clISt17integral_constantIbLb1EEST_IbLb0EEEEDaSP_SQ_EUlSP_E0_NS1_11comp_targetILNS1_3genE4ELNS1_11target_archE910ELNS1_3gpuE8ELNS1_3repE0EEENS1_30default_config_static_selectorELNS0_4arch9wavefront6targetE1EEEvT1_,"axG",@progbits,_ZN7rocprim17ROCPRIM_400000_NS6detail17trampoline_kernelINS0_14default_configENS1_20scan_config_selectorIjEEZZNS1_9scan_implILNS1_25lookback_scan_determinismE0ELb1ELb1ES3_N6thrust23THRUST_200600_302600_NS6detail15normal_iteratorINS9_10device_ptrIjEEEESE_j11max_functorIjEjEEDaPvRmT3_T4_T5_mT6_P12ihipStream_tbENKUlT_T0_E_clISt17integral_constantIbLb1EEST_IbLb0EEEEDaSP_SQ_EUlSP_E0_NS1_11comp_targetILNS1_3genE4ELNS1_11target_archE910ELNS1_3gpuE8ELNS1_3repE0EEENS1_30default_config_static_selectorELNS0_4arch9wavefront6targetE1EEEvT1_,comdat
	.protected	_ZN7rocprim17ROCPRIM_400000_NS6detail17trampoline_kernelINS0_14default_configENS1_20scan_config_selectorIjEEZZNS1_9scan_implILNS1_25lookback_scan_determinismE0ELb1ELb1ES3_N6thrust23THRUST_200600_302600_NS6detail15normal_iteratorINS9_10device_ptrIjEEEESE_j11max_functorIjEjEEDaPvRmT3_T4_T5_mT6_P12ihipStream_tbENKUlT_T0_E_clISt17integral_constantIbLb1EEST_IbLb0EEEEDaSP_SQ_EUlSP_E0_NS1_11comp_targetILNS1_3genE4ELNS1_11target_archE910ELNS1_3gpuE8ELNS1_3repE0EEENS1_30default_config_static_selectorELNS0_4arch9wavefront6targetE1EEEvT1_ ; -- Begin function _ZN7rocprim17ROCPRIM_400000_NS6detail17trampoline_kernelINS0_14default_configENS1_20scan_config_selectorIjEEZZNS1_9scan_implILNS1_25lookback_scan_determinismE0ELb1ELb1ES3_N6thrust23THRUST_200600_302600_NS6detail15normal_iteratorINS9_10device_ptrIjEEEESE_j11max_functorIjEjEEDaPvRmT3_T4_T5_mT6_P12ihipStream_tbENKUlT_T0_E_clISt17integral_constantIbLb1EEST_IbLb0EEEEDaSP_SQ_EUlSP_E0_NS1_11comp_targetILNS1_3genE4ELNS1_11target_archE910ELNS1_3gpuE8ELNS1_3repE0EEENS1_30default_config_static_selectorELNS0_4arch9wavefront6targetE1EEEvT1_
	.globl	_ZN7rocprim17ROCPRIM_400000_NS6detail17trampoline_kernelINS0_14default_configENS1_20scan_config_selectorIjEEZZNS1_9scan_implILNS1_25lookback_scan_determinismE0ELb1ELb1ES3_N6thrust23THRUST_200600_302600_NS6detail15normal_iteratorINS9_10device_ptrIjEEEESE_j11max_functorIjEjEEDaPvRmT3_T4_T5_mT6_P12ihipStream_tbENKUlT_T0_E_clISt17integral_constantIbLb1EEST_IbLb0EEEEDaSP_SQ_EUlSP_E0_NS1_11comp_targetILNS1_3genE4ELNS1_11target_archE910ELNS1_3gpuE8ELNS1_3repE0EEENS1_30default_config_static_selectorELNS0_4arch9wavefront6targetE1EEEvT1_
	.p2align	8
	.type	_ZN7rocprim17ROCPRIM_400000_NS6detail17trampoline_kernelINS0_14default_configENS1_20scan_config_selectorIjEEZZNS1_9scan_implILNS1_25lookback_scan_determinismE0ELb1ELb1ES3_N6thrust23THRUST_200600_302600_NS6detail15normal_iteratorINS9_10device_ptrIjEEEESE_j11max_functorIjEjEEDaPvRmT3_T4_T5_mT6_P12ihipStream_tbENKUlT_T0_E_clISt17integral_constantIbLb1EEST_IbLb0EEEEDaSP_SQ_EUlSP_E0_NS1_11comp_targetILNS1_3genE4ELNS1_11target_archE910ELNS1_3gpuE8ELNS1_3repE0EEENS1_30default_config_static_selectorELNS0_4arch9wavefront6targetE1EEEvT1_,@function
_ZN7rocprim17ROCPRIM_400000_NS6detail17trampoline_kernelINS0_14default_configENS1_20scan_config_selectorIjEEZZNS1_9scan_implILNS1_25lookback_scan_determinismE0ELb1ELb1ES3_N6thrust23THRUST_200600_302600_NS6detail15normal_iteratorINS9_10device_ptrIjEEEESE_j11max_functorIjEjEEDaPvRmT3_T4_T5_mT6_P12ihipStream_tbENKUlT_T0_E_clISt17integral_constantIbLb1EEST_IbLb0EEEEDaSP_SQ_EUlSP_E0_NS1_11comp_targetILNS1_3genE4ELNS1_11target_archE910ELNS1_3gpuE8ELNS1_3repE0EEENS1_30default_config_static_selectorELNS0_4arch9wavefront6targetE1EEEvT1_: ; @_ZN7rocprim17ROCPRIM_400000_NS6detail17trampoline_kernelINS0_14default_configENS1_20scan_config_selectorIjEEZZNS1_9scan_implILNS1_25lookback_scan_determinismE0ELb1ELb1ES3_N6thrust23THRUST_200600_302600_NS6detail15normal_iteratorINS9_10device_ptrIjEEEESE_j11max_functorIjEjEEDaPvRmT3_T4_T5_mT6_P12ihipStream_tbENKUlT_T0_E_clISt17integral_constantIbLb1EEST_IbLb0EEEEDaSP_SQ_EUlSP_E0_NS1_11comp_targetILNS1_3genE4ELNS1_11target_archE910ELNS1_3gpuE8ELNS1_3repE0EEENS1_30default_config_static_selectorELNS0_4arch9wavefront6targetE1EEEvT1_
; %bb.0:
	s_load_dwordx4 s[20:23], s[4:5], 0x0
	v_lshlrev_b32_e32 v14, 2, v0
	s_waitcnt lgkmcnt(0)
	s_load_dword s23, s[20:21], 0x0
	v_cmp_gt_u32_e32 vcc, s22, v0
	s_waitcnt lgkmcnt(0)
	v_mov_b32_e32 v1, s23
	s_and_saveexec_b64 s[0:1], vcc
	s_cbranch_execz .LBB2376_2
; %bb.1:
	global_load_dword v1, v14, s[20:21]
.LBB2376_2:
	s_or_b64 exec, exec, s[0:1]
	v_or_b32_e32 v2, 0x80, v0
	v_cmp_gt_u32_e64 s[0:1], s22, v2
	v_mov_b32_e32 v2, s23
	s_and_saveexec_b64 s[2:3], s[0:1]
	s_cbranch_execz .LBB2376_4
; %bb.3:
	global_load_dword v2, v14, s[20:21] offset:512
.LBB2376_4:
	s_or_b64 exec, exec, s[2:3]
	v_or_b32_e32 v3, 0x100, v0
	v_cmp_gt_u32_e64 s[2:3], s22, v3
	v_mov_b32_e32 v3, s23
	s_and_saveexec_b64 s[6:7], s[2:3]
	s_cbranch_execz .LBB2376_6
; %bb.5:
	global_load_dword v3, v14, s[20:21] offset:1024
.LBB2376_6:
	;; [unrolled: 9-line block ×7, first 2 shown]
	s_or_b64 exec, exec, s[14:15]
	v_or_b32_e32 v10, 0x400, v0
	v_cmp_gt_u32_e64 s[14:15], s22, v10
	v_mov_b32_e32 v9, s23
	s_and_saveexec_b64 s[16:17], s[14:15]
	s_cbranch_execz .LBB2376_18
; %bb.17:
	v_lshlrev_b32_e32 v9, 2, v10
	global_load_dword v9, v9, s[20:21]
.LBB2376_18:
	s_or_b64 exec, exec, s[16:17]
	s_load_dword s24, s[4:5], 0x10
	v_or_b32_e32 v11, 0x480, v0
	v_cmp_gt_u32_e64 s[16:17], s22, v11
	v_mov_b32_e32 v10, s23
	s_and_saveexec_b64 s[22:23], s[16:17]
	s_cbranch_execz .LBB2376_20
; %bb.19:
	v_lshlrev_b32_e32 v10, 2, v11
	global_load_dword v10, v10, s[20:21]
.LBB2376_20:
	s_or_b64 exec, exec, s[22:23]
	s_waitcnt vmcnt(0)
	ds_write2st64_b32 v14, v1, v2 offset1:2
	ds_write2st64_b32 v14, v3, v4 offset0:4 offset1:6
	ds_write2st64_b32 v14, v5, v6 offset0:8 offset1:10
	ds_write2st64_b32 v14, v7, v8 offset0:12 offset1:14
	ds_write2st64_b32 v14, v9, v10 offset0:16 offset1:18
	v_mad_u32_u24 v1, v0, 36, v14
	s_waitcnt lgkmcnt(0)
	s_barrier
	ds_read2_b64 v[6:9], v1 offset1:1
	ds_read2_b64 v[2:5], v1 offset0:2 offset1:3
	ds_read_b64 v[10:11], v1 offset:32
	s_load_dwordx2 s[20:21], s[4:5], 0x18
	v_cmp_gt_u32_e64 s[4:5], 64, v0
	s_waitcnt lgkmcnt(0)
	v_max_u32_e32 v12, v6, v7
	v_max3_u32 v12, v12, v8, v9
	v_max3_u32 v12, v12, v2, v3
	;; [unrolled: 1-line block ×4, first 2 shown]
	v_lshrrev_b32_e32 v12, 3, v0
	v_and_b32_e32 v12, 12, v12
	v_add_u32_e32 v12, v14, v12
	s_barrier
	ds_write_b32 v12, v11
	s_waitcnt lgkmcnt(0)
	s_barrier
	s_and_saveexec_b64 s[22:23], s[4:5]
	s_cbranch_execz .LBB2376_22
; %bb.21:
	v_lshlrev_b32_e32 v12, 1, v0
	v_lshrrev_b32_e32 v13, 4, v0
	v_add_lshl_u32 v15, v13, v12, 2
	ds_read2_b32 v[12:13], v15 offset1:1
	v_mbcnt_lo_u32_b32 v16, -1, 0
	v_mbcnt_hi_u32_b32 v16, -1, v16
	v_and_b32_e32 v17, 15, v16
	v_cmp_eq_u32_e64 s[4:5], 0, v17
	s_waitcnt lgkmcnt(0)
	v_max_u32_e32 v13, v12, v13
	; wave barrier
	s_nop 1
	v_mov_b32_dpp v18, v13 row_shr:1 row_mask:0xf bank_mask:0xf
	v_max_u32_e32 v18, v18, v13
	v_cndmask_b32_e64 v13, v18, v13, s[4:5]
	v_cmp_lt_u32_e64 s[4:5], 1, v17
	s_nop 0
	v_mov_b32_dpp v18, v13 row_shr:2 row_mask:0xf bank_mask:0xf
	v_max_u32_e32 v18, v18, v13
	v_cndmask_b32_e64 v13, v13, v18, s[4:5]
	v_cmp_lt_u32_e64 s[4:5], 3, v17
	;; [unrolled: 5-line block ×3, first 2 shown]
	s_nop 0
	v_mov_b32_dpp v18, v13 row_shr:8 row_mask:0xf bank_mask:0xf
	v_max_u32_e32 v18, v18, v13
	v_cndmask_b32_e64 v13, v13, v18, s[4:5]
	v_and_b32_e32 v18, 16, v16
	v_cmp_eq_u32_e64 s[4:5], 0, v18
	v_mov_b32_dpp v17, v13 row_bcast:15 row_mask:0xf bank_mask:0xf
	v_max_u32_e32 v17, v17, v13
	v_cndmask_b32_e64 v13, v17, v13, s[4:5]
	v_cmp_lt_u32_e64 s[4:5], 31, v16
	v_and_b32_e32 v18, 64, v16
	v_mov_b32_dpp v17, v13 row_bcast:31 row_mask:0xf bank_mask:0xf
	v_max_u32_e32 v17, v17, v13
	v_cndmask_b32_e64 v13, v13, v17, s[4:5]
	v_add_u32_e32 v17, -1, v16
	v_cmp_lt_i32_e64 s[4:5], v17, v18
	v_cndmask_b32_e64 v16, v17, v16, s[4:5]
	v_lshlrev_b32_e32 v16, 2, v16
	ds_bpermute_b32 v13, v16, v13
	v_cmp_eq_u32_e64 s[4:5], 0, v0
	s_waitcnt lgkmcnt(0)
	v_max_u32_e32 v12, v13, v12
	v_cndmask_b32_e64 v11, v12, v11, s[4:5]
	ds_write_b32 v15, v11
	; wave barrier
	ds_read_b32 v12, v15 offset:4
	s_waitcnt lgkmcnt(0)
	v_max_u32_e32 v11, v11, v12
	ds_write_b32 v15, v11 offset:4
.LBB2376_22:
	s_or_b64 exec, exec, s[22:23]
	v_cmp_ne_u32_e64 s[4:5], 0, v0
	v_mov_b32_e32 v12, s24
	s_waitcnt lgkmcnt(0)
	s_barrier
	s_and_saveexec_b64 s[22:23], s[4:5]
	s_cbranch_execz .LBB2376_24
; %bb.23:
	v_add_u32_e32 v11, -1, v0
	v_lshrrev_b32_e32 v12, 5, v11
	v_add_lshl_u32 v11, v12, v11, 2
	ds_read_b32 v11, v11
	s_waitcnt lgkmcnt(0)
	v_max_u32_e32 v12, s24, v11
.LBB2376_24:
	s_or_b64 exec, exec, s[22:23]
	v_max_u32_e32 v13, v12, v6
	v_max_u32_e32 v6, v13, v7
	;; [unrolled: 1-line block ×8, first 2 shown]
	s_movk_i32 s4, 0xffdc
	v_max_u32_e32 v5, v4, v10
	v_mad_i32_i24 v0, v0, s4, v1
	s_barrier
	ds_write2_b64 v1, v[12:13], v[6:7] offset1:1
	ds_write2_b64 v1, v[8:9], v[2:3] offset0:2 offset1:3
	ds_write_b64 v1, v[4:5] offset:32
	s_waitcnt lgkmcnt(0)
	s_barrier
	ds_read2st64_b32 v[8:9], v0 offset0:2 offset1:4
	ds_read2st64_b32 v[6:7], v0 offset0:6 offset1:8
	;; [unrolled: 1-line block ×4, first 2 shown]
	ds_read_b32 v10, v14 offset:4096
	v_mov_b32_e32 v3, s21
	v_add_co_u32_e64 v2, s[4:5], s20, v14
	v_addc_co_u32_e64 v3, s[4:5], 0, v3, s[4:5]
	s_and_saveexec_b64 s[4:5], vcc
	s_cbranch_execnz .LBB2376_35
; %bb.25:
	s_or_b64 exec, exec, s[4:5]
	s_and_saveexec_b64 s[4:5], s[0:1]
	s_cbranch_execnz .LBB2376_36
.LBB2376_26:
	s_or_b64 exec, exec, s[4:5]
	s_and_saveexec_b64 s[0:1], s[2:3]
	s_cbranch_execnz .LBB2376_37
.LBB2376_27:
	s_or_b64 exec, exec, s[0:1]
	s_and_saveexec_b64 s[0:1], s[18:19]
	s_cbranch_execnz .LBB2376_38
.LBB2376_28:
	s_or_b64 exec, exec, s[0:1]
	s_and_saveexec_b64 s[0:1], s[6:7]
	s_cbranch_execnz .LBB2376_39
.LBB2376_29:
	s_or_b64 exec, exec, s[0:1]
	s_and_saveexec_b64 s[0:1], s[8:9]
	s_cbranch_execnz .LBB2376_40
.LBB2376_30:
	s_or_b64 exec, exec, s[0:1]
	s_and_saveexec_b64 s[0:1], s[10:11]
	s_cbranch_execnz .LBB2376_41
.LBB2376_31:
	s_or_b64 exec, exec, s[0:1]
	s_and_saveexec_b64 s[0:1], s[12:13]
	s_cbranch_execnz .LBB2376_42
.LBB2376_32:
	s_or_b64 exec, exec, s[0:1]
	s_and_saveexec_b64 s[0:1], s[14:15]
	s_cbranch_execnz .LBB2376_43
.LBB2376_33:
	s_or_b64 exec, exec, s[0:1]
	s_and_saveexec_b64 s[0:1], s[16:17]
	s_cbranch_execnz .LBB2376_44
.LBB2376_34:
	s_endpgm
.LBB2376_35:
	ds_read_b32 v11, v14
	s_waitcnt lgkmcnt(0)
	global_store_dword v[2:3], v11, off
	s_or_b64 exec, exec, s[4:5]
	s_and_saveexec_b64 s[4:5], s[0:1]
	s_cbranch_execz .LBB2376_26
.LBB2376_36:
	s_waitcnt lgkmcnt(4)
	global_store_dword v[2:3], v8, off offset:512
	s_or_b64 exec, exec, s[4:5]
	s_and_saveexec_b64 s[0:1], s[2:3]
	s_cbranch_execz .LBB2376_27
.LBB2376_37:
	s_waitcnt lgkmcnt(4)
	global_store_dword v[2:3], v9, off offset:1024
	s_or_b64 exec, exec, s[0:1]
	s_and_saveexec_b64 s[0:1], s[18:19]
	s_cbranch_execz .LBB2376_28
.LBB2376_38:
	s_waitcnt lgkmcnt(3)
	global_store_dword v[2:3], v6, off offset:1536
	s_or_b64 exec, exec, s[0:1]
	s_and_saveexec_b64 s[0:1], s[6:7]
	s_cbranch_execz .LBB2376_29
.LBB2376_39:
	s_waitcnt lgkmcnt(3)
	global_store_dword v[2:3], v7, off offset:2048
	s_or_b64 exec, exec, s[0:1]
	s_and_saveexec_b64 s[0:1], s[8:9]
	s_cbranch_execz .LBB2376_30
.LBB2376_40:
	s_waitcnt lgkmcnt(2)
	global_store_dword v[2:3], v4, off offset:2560
	s_or_b64 exec, exec, s[0:1]
	s_and_saveexec_b64 s[0:1], s[10:11]
	s_cbranch_execz .LBB2376_31
.LBB2376_41:
	s_waitcnt lgkmcnt(2)
	global_store_dword v[2:3], v5, off offset:3072
	s_or_b64 exec, exec, s[0:1]
	s_and_saveexec_b64 s[0:1], s[12:13]
	s_cbranch_execz .LBB2376_32
.LBB2376_42:
	s_waitcnt lgkmcnt(1)
	global_store_dword v[2:3], v0, off offset:3584
	s_or_b64 exec, exec, s[0:1]
	s_and_saveexec_b64 s[0:1], s[14:15]
	s_cbranch_execz .LBB2376_33
.LBB2376_43:
	s_waitcnt lgkmcnt(2)
	v_add_co_u32_e32 v4, vcc, 0x1000, v2
	v_addc_co_u32_e32 v5, vcc, 0, v3, vcc
	s_waitcnt lgkmcnt(0)
	global_store_dword v[4:5], v10, off
	s_or_b64 exec, exec, s[0:1]
	s_and_saveexec_b64 s[0:1], s[16:17]
	s_cbranch_execz .LBB2376_34
.LBB2376_44:
	v_add_co_u32_e32 v2, vcc, 0x1000, v2
	v_addc_co_u32_e32 v3, vcc, 0, v3, vcc
	s_waitcnt lgkmcnt(1)
	global_store_dword v[2:3], v1, off offset:512
	s_endpgm
	.section	.rodata,"a",@progbits
	.p2align	6, 0x0
	.amdhsa_kernel _ZN7rocprim17ROCPRIM_400000_NS6detail17trampoline_kernelINS0_14default_configENS1_20scan_config_selectorIjEEZZNS1_9scan_implILNS1_25lookback_scan_determinismE0ELb1ELb1ES3_N6thrust23THRUST_200600_302600_NS6detail15normal_iteratorINS9_10device_ptrIjEEEESE_j11max_functorIjEjEEDaPvRmT3_T4_T5_mT6_P12ihipStream_tbENKUlT_T0_E_clISt17integral_constantIbLb1EEST_IbLb0EEEEDaSP_SQ_EUlSP_E0_NS1_11comp_targetILNS1_3genE4ELNS1_11target_archE910ELNS1_3gpuE8ELNS1_3repE0EEENS1_30default_config_static_selectorELNS0_4arch9wavefront6targetE1EEEvT1_
		.amdhsa_group_segment_fixed_size 5120
		.amdhsa_private_segment_fixed_size 0
		.amdhsa_kernarg_size 32
		.amdhsa_user_sgpr_count 6
		.amdhsa_user_sgpr_private_segment_buffer 1
		.amdhsa_user_sgpr_dispatch_ptr 0
		.amdhsa_user_sgpr_queue_ptr 0
		.amdhsa_user_sgpr_kernarg_segment_ptr 1
		.amdhsa_user_sgpr_dispatch_id 0
		.amdhsa_user_sgpr_flat_scratch_init 0
		.amdhsa_user_sgpr_kernarg_preload_length 0
		.amdhsa_user_sgpr_kernarg_preload_offset 0
		.amdhsa_user_sgpr_private_segment_size 0
		.amdhsa_uses_dynamic_stack 0
		.amdhsa_system_sgpr_private_segment_wavefront_offset 0
		.amdhsa_system_sgpr_workgroup_id_x 1
		.amdhsa_system_sgpr_workgroup_id_y 0
		.amdhsa_system_sgpr_workgroup_id_z 0
		.amdhsa_system_sgpr_workgroup_info 0
		.amdhsa_system_vgpr_workitem_id 0
		.amdhsa_next_free_vgpr 19
		.amdhsa_next_free_sgpr 25
		.amdhsa_accum_offset 20
		.amdhsa_reserve_vcc 1
		.amdhsa_reserve_flat_scratch 0
		.amdhsa_float_round_mode_32 0
		.amdhsa_float_round_mode_16_64 0
		.amdhsa_float_denorm_mode_32 3
		.amdhsa_float_denorm_mode_16_64 3
		.amdhsa_dx10_clamp 1
		.amdhsa_ieee_mode 1
		.amdhsa_fp16_overflow 0
		.amdhsa_tg_split 0
		.amdhsa_exception_fp_ieee_invalid_op 0
		.amdhsa_exception_fp_denorm_src 0
		.amdhsa_exception_fp_ieee_div_zero 0
		.amdhsa_exception_fp_ieee_overflow 0
		.amdhsa_exception_fp_ieee_underflow 0
		.amdhsa_exception_fp_ieee_inexact 0
		.amdhsa_exception_int_div_zero 0
	.end_amdhsa_kernel
	.section	.text._ZN7rocprim17ROCPRIM_400000_NS6detail17trampoline_kernelINS0_14default_configENS1_20scan_config_selectorIjEEZZNS1_9scan_implILNS1_25lookback_scan_determinismE0ELb1ELb1ES3_N6thrust23THRUST_200600_302600_NS6detail15normal_iteratorINS9_10device_ptrIjEEEESE_j11max_functorIjEjEEDaPvRmT3_T4_T5_mT6_P12ihipStream_tbENKUlT_T0_E_clISt17integral_constantIbLb1EEST_IbLb0EEEEDaSP_SQ_EUlSP_E0_NS1_11comp_targetILNS1_3genE4ELNS1_11target_archE910ELNS1_3gpuE8ELNS1_3repE0EEENS1_30default_config_static_selectorELNS0_4arch9wavefront6targetE1EEEvT1_,"axG",@progbits,_ZN7rocprim17ROCPRIM_400000_NS6detail17trampoline_kernelINS0_14default_configENS1_20scan_config_selectorIjEEZZNS1_9scan_implILNS1_25lookback_scan_determinismE0ELb1ELb1ES3_N6thrust23THRUST_200600_302600_NS6detail15normal_iteratorINS9_10device_ptrIjEEEESE_j11max_functorIjEjEEDaPvRmT3_T4_T5_mT6_P12ihipStream_tbENKUlT_T0_E_clISt17integral_constantIbLb1EEST_IbLb0EEEEDaSP_SQ_EUlSP_E0_NS1_11comp_targetILNS1_3genE4ELNS1_11target_archE910ELNS1_3gpuE8ELNS1_3repE0EEENS1_30default_config_static_selectorELNS0_4arch9wavefront6targetE1EEEvT1_,comdat
.Lfunc_end2376:
	.size	_ZN7rocprim17ROCPRIM_400000_NS6detail17trampoline_kernelINS0_14default_configENS1_20scan_config_selectorIjEEZZNS1_9scan_implILNS1_25lookback_scan_determinismE0ELb1ELb1ES3_N6thrust23THRUST_200600_302600_NS6detail15normal_iteratorINS9_10device_ptrIjEEEESE_j11max_functorIjEjEEDaPvRmT3_T4_T5_mT6_P12ihipStream_tbENKUlT_T0_E_clISt17integral_constantIbLb1EEST_IbLb0EEEEDaSP_SQ_EUlSP_E0_NS1_11comp_targetILNS1_3genE4ELNS1_11target_archE910ELNS1_3gpuE8ELNS1_3repE0EEENS1_30default_config_static_selectorELNS0_4arch9wavefront6targetE1EEEvT1_, .Lfunc_end2376-_ZN7rocprim17ROCPRIM_400000_NS6detail17trampoline_kernelINS0_14default_configENS1_20scan_config_selectorIjEEZZNS1_9scan_implILNS1_25lookback_scan_determinismE0ELb1ELb1ES3_N6thrust23THRUST_200600_302600_NS6detail15normal_iteratorINS9_10device_ptrIjEEEESE_j11max_functorIjEjEEDaPvRmT3_T4_T5_mT6_P12ihipStream_tbENKUlT_T0_E_clISt17integral_constantIbLb1EEST_IbLb0EEEEDaSP_SQ_EUlSP_E0_NS1_11comp_targetILNS1_3genE4ELNS1_11target_archE910ELNS1_3gpuE8ELNS1_3repE0EEENS1_30default_config_static_selectorELNS0_4arch9wavefront6targetE1EEEvT1_
                                        ; -- End function
	.section	.AMDGPU.csdata,"",@progbits
; Kernel info:
; codeLenInByte = 1544
; NumSgprs: 29
; NumVgprs: 19
; NumAgprs: 0
; TotalNumVgprs: 19
; ScratchSize: 0
; MemoryBound: 0
; FloatMode: 240
; IeeeMode: 1
; LDSByteSize: 5120 bytes/workgroup (compile time only)
; SGPRBlocks: 3
; VGPRBlocks: 2
; NumSGPRsForWavesPerEU: 29
; NumVGPRsForWavesPerEU: 19
; AccumOffset: 20
; Occupancy: 6
; WaveLimiterHint : 0
; COMPUTE_PGM_RSRC2:SCRATCH_EN: 0
; COMPUTE_PGM_RSRC2:USER_SGPR: 6
; COMPUTE_PGM_RSRC2:TRAP_HANDLER: 0
; COMPUTE_PGM_RSRC2:TGID_X_EN: 1
; COMPUTE_PGM_RSRC2:TGID_Y_EN: 0
; COMPUTE_PGM_RSRC2:TGID_Z_EN: 0
; COMPUTE_PGM_RSRC2:TIDIG_COMP_CNT: 0
; COMPUTE_PGM_RSRC3_GFX90A:ACCUM_OFFSET: 4
; COMPUTE_PGM_RSRC3_GFX90A:TG_SPLIT: 0
	.section	.text._ZN7rocprim17ROCPRIM_400000_NS6detail17trampoline_kernelINS0_14default_configENS1_20scan_config_selectorIjEEZZNS1_9scan_implILNS1_25lookback_scan_determinismE0ELb1ELb1ES3_N6thrust23THRUST_200600_302600_NS6detail15normal_iteratorINS9_10device_ptrIjEEEESE_j11max_functorIjEjEEDaPvRmT3_T4_T5_mT6_P12ihipStream_tbENKUlT_T0_E_clISt17integral_constantIbLb1EEST_IbLb0EEEEDaSP_SQ_EUlSP_E0_NS1_11comp_targetILNS1_3genE3ELNS1_11target_archE908ELNS1_3gpuE7ELNS1_3repE0EEENS1_30default_config_static_selectorELNS0_4arch9wavefront6targetE1EEEvT1_,"axG",@progbits,_ZN7rocprim17ROCPRIM_400000_NS6detail17trampoline_kernelINS0_14default_configENS1_20scan_config_selectorIjEEZZNS1_9scan_implILNS1_25lookback_scan_determinismE0ELb1ELb1ES3_N6thrust23THRUST_200600_302600_NS6detail15normal_iteratorINS9_10device_ptrIjEEEESE_j11max_functorIjEjEEDaPvRmT3_T4_T5_mT6_P12ihipStream_tbENKUlT_T0_E_clISt17integral_constantIbLb1EEST_IbLb0EEEEDaSP_SQ_EUlSP_E0_NS1_11comp_targetILNS1_3genE3ELNS1_11target_archE908ELNS1_3gpuE7ELNS1_3repE0EEENS1_30default_config_static_selectorELNS0_4arch9wavefront6targetE1EEEvT1_,comdat
	.protected	_ZN7rocprim17ROCPRIM_400000_NS6detail17trampoline_kernelINS0_14default_configENS1_20scan_config_selectorIjEEZZNS1_9scan_implILNS1_25lookback_scan_determinismE0ELb1ELb1ES3_N6thrust23THRUST_200600_302600_NS6detail15normal_iteratorINS9_10device_ptrIjEEEESE_j11max_functorIjEjEEDaPvRmT3_T4_T5_mT6_P12ihipStream_tbENKUlT_T0_E_clISt17integral_constantIbLb1EEST_IbLb0EEEEDaSP_SQ_EUlSP_E0_NS1_11comp_targetILNS1_3genE3ELNS1_11target_archE908ELNS1_3gpuE7ELNS1_3repE0EEENS1_30default_config_static_selectorELNS0_4arch9wavefront6targetE1EEEvT1_ ; -- Begin function _ZN7rocprim17ROCPRIM_400000_NS6detail17trampoline_kernelINS0_14default_configENS1_20scan_config_selectorIjEEZZNS1_9scan_implILNS1_25lookback_scan_determinismE0ELb1ELb1ES3_N6thrust23THRUST_200600_302600_NS6detail15normal_iteratorINS9_10device_ptrIjEEEESE_j11max_functorIjEjEEDaPvRmT3_T4_T5_mT6_P12ihipStream_tbENKUlT_T0_E_clISt17integral_constantIbLb1EEST_IbLb0EEEEDaSP_SQ_EUlSP_E0_NS1_11comp_targetILNS1_3genE3ELNS1_11target_archE908ELNS1_3gpuE7ELNS1_3repE0EEENS1_30default_config_static_selectorELNS0_4arch9wavefront6targetE1EEEvT1_
	.globl	_ZN7rocprim17ROCPRIM_400000_NS6detail17trampoline_kernelINS0_14default_configENS1_20scan_config_selectorIjEEZZNS1_9scan_implILNS1_25lookback_scan_determinismE0ELb1ELb1ES3_N6thrust23THRUST_200600_302600_NS6detail15normal_iteratorINS9_10device_ptrIjEEEESE_j11max_functorIjEjEEDaPvRmT3_T4_T5_mT6_P12ihipStream_tbENKUlT_T0_E_clISt17integral_constantIbLb1EEST_IbLb0EEEEDaSP_SQ_EUlSP_E0_NS1_11comp_targetILNS1_3genE3ELNS1_11target_archE908ELNS1_3gpuE7ELNS1_3repE0EEENS1_30default_config_static_selectorELNS0_4arch9wavefront6targetE1EEEvT1_
	.p2align	8
	.type	_ZN7rocprim17ROCPRIM_400000_NS6detail17trampoline_kernelINS0_14default_configENS1_20scan_config_selectorIjEEZZNS1_9scan_implILNS1_25lookback_scan_determinismE0ELb1ELb1ES3_N6thrust23THRUST_200600_302600_NS6detail15normal_iteratorINS9_10device_ptrIjEEEESE_j11max_functorIjEjEEDaPvRmT3_T4_T5_mT6_P12ihipStream_tbENKUlT_T0_E_clISt17integral_constantIbLb1EEST_IbLb0EEEEDaSP_SQ_EUlSP_E0_NS1_11comp_targetILNS1_3genE3ELNS1_11target_archE908ELNS1_3gpuE7ELNS1_3repE0EEENS1_30default_config_static_selectorELNS0_4arch9wavefront6targetE1EEEvT1_,@function
_ZN7rocprim17ROCPRIM_400000_NS6detail17trampoline_kernelINS0_14default_configENS1_20scan_config_selectorIjEEZZNS1_9scan_implILNS1_25lookback_scan_determinismE0ELb1ELb1ES3_N6thrust23THRUST_200600_302600_NS6detail15normal_iteratorINS9_10device_ptrIjEEEESE_j11max_functorIjEjEEDaPvRmT3_T4_T5_mT6_P12ihipStream_tbENKUlT_T0_E_clISt17integral_constantIbLb1EEST_IbLb0EEEEDaSP_SQ_EUlSP_E0_NS1_11comp_targetILNS1_3genE3ELNS1_11target_archE908ELNS1_3gpuE7ELNS1_3repE0EEENS1_30default_config_static_selectorELNS0_4arch9wavefront6targetE1EEEvT1_: ; @_ZN7rocprim17ROCPRIM_400000_NS6detail17trampoline_kernelINS0_14default_configENS1_20scan_config_selectorIjEEZZNS1_9scan_implILNS1_25lookback_scan_determinismE0ELb1ELb1ES3_N6thrust23THRUST_200600_302600_NS6detail15normal_iteratorINS9_10device_ptrIjEEEESE_j11max_functorIjEjEEDaPvRmT3_T4_T5_mT6_P12ihipStream_tbENKUlT_T0_E_clISt17integral_constantIbLb1EEST_IbLb0EEEEDaSP_SQ_EUlSP_E0_NS1_11comp_targetILNS1_3genE3ELNS1_11target_archE908ELNS1_3gpuE7ELNS1_3repE0EEENS1_30default_config_static_selectorELNS0_4arch9wavefront6targetE1EEEvT1_
; %bb.0:
	.section	.rodata,"a",@progbits
	.p2align	6, 0x0
	.amdhsa_kernel _ZN7rocprim17ROCPRIM_400000_NS6detail17trampoline_kernelINS0_14default_configENS1_20scan_config_selectorIjEEZZNS1_9scan_implILNS1_25lookback_scan_determinismE0ELb1ELb1ES3_N6thrust23THRUST_200600_302600_NS6detail15normal_iteratorINS9_10device_ptrIjEEEESE_j11max_functorIjEjEEDaPvRmT3_T4_T5_mT6_P12ihipStream_tbENKUlT_T0_E_clISt17integral_constantIbLb1EEST_IbLb0EEEEDaSP_SQ_EUlSP_E0_NS1_11comp_targetILNS1_3genE3ELNS1_11target_archE908ELNS1_3gpuE7ELNS1_3repE0EEENS1_30default_config_static_selectorELNS0_4arch9wavefront6targetE1EEEvT1_
		.amdhsa_group_segment_fixed_size 0
		.amdhsa_private_segment_fixed_size 0
		.amdhsa_kernarg_size 32
		.amdhsa_user_sgpr_count 6
		.amdhsa_user_sgpr_private_segment_buffer 1
		.amdhsa_user_sgpr_dispatch_ptr 0
		.amdhsa_user_sgpr_queue_ptr 0
		.amdhsa_user_sgpr_kernarg_segment_ptr 1
		.amdhsa_user_sgpr_dispatch_id 0
		.amdhsa_user_sgpr_flat_scratch_init 0
		.amdhsa_user_sgpr_kernarg_preload_length 0
		.amdhsa_user_sgpr_kernarg_preload_offset 0
		.amdhsa_user_sgpr_private_segment_size 0
		.amdhsa_uses_dynamic_stack 0
		.amdhsa_system_sgpr_private_segment_wavefront_offset 0
		.amdhsa_system_sgpr_workgroup_id_x 1
		.amdhsa_system_sgpr_workgroup_id_y 0
		.amdhsa_system_sgpr_workgroup_id_z 0
		.amdhsa_system_sgpr_workgroup_info 0
		.amdhsa_system_vgpr_workitem_id 0
		.amdhsa_next_free_vgpr 1
		.amdhsa_next_free_sgpr 0
		.amdhsa_accum_offset 4
		.amdhsa_reserve_vcc 0
		.amdhsa_reserve_flat_scratch 0
		.amdhsa_float_round_mode_32 0
		.amdhsa_float_round_mode_16_64 0
		.amdhsa_float_denorm_mode_32 3
		.amdhsa_float_denorm_mode_16_64 3
		.amdhsa_dx10_clamp 1
		.amdhsa_ieee_mode 1
		.amdhsa_fp16_overflow 0
		.amdhsa_tg_split 0
		.amdhsa_exception_fp_ieee_invalid_op 0
		.amdhsa_exception_fp_denorm_src 0
		.amdhsa_exception_fp_ieee_div_zero 0
		.amdhsa_exception_fp_ieee_overflow 0
		.amdhsa_exception_fp_ieee_underflow 0
		.amdhsa_exception_fp_ieee_inexact 0
		.amdhsa_exception_int_div_zero 0
	.end_amdhsa_kernel
	.section	.text._ZN7rocprim17ROCPRIM_400000_NS6detail17trampoline_kernelINS0_14default_configENS1_20scan_config_selectorIjEEZZNS1_9scan_implILNS1_25lookback_scan_determinismE0ELb1ELb1ES3_N6thrust23THRUST_200600_302600_NS6detail15normal_iteratorINS9_10device_ptrIjEEEESE_j11max_functorIjEjEEDaPvRmT3_T4_T5_mT6_P12ihipStream_tbENKUlT_T0_E_clISt17integral_constantIbLb1EEST_IbLb0EEEEDaSP_SQ_EUlSP_E0_NS1_11comp_targetILNS1_3genE3ELNS1_11target_archE908ELNS1_3gpuE7ELNS1_3repE0EEENS1_30default_config_static_selectorELNS0_4arch9wavefront6targetE1EEEvT1_,"axG",@progbits,_ZN7rocprim17ROCPRIM_400000_NS6detail17trampoline_kernelINS0_14default_configENS1_20scan_config_selectorIjEEZZNS1_9scan_implILNS1_25lookback_scan_determinismE0ELb1ELb1ES3_N6thrust23THRUST_200600_302600_NS6detail15normal_iteratorINS9_10device_ptrIjEEEESE_j11max_functorIjEjEEDaPvRmT3_T4_T5_mT6_P12ihipStream_tbENKUlT_T0_E_clISt17integral_constantIbLb1EEST_IbLb0EEEEDaSP_SQ_EUlSP_E0_NS1_11comp_targetILNS1_3genE3ELNS1_11target_archE908ELNS1_3gpuE7ELNS1_3repE0EEENS1_30default_config_static_selectorELNS0_4arch9wavefront6targetE1EEEvT1_,comdat
.Lfunc_end2377:
	.size	_ZN7rocprim17ROCPRIM_400000_NS6detail17trampoline_kernelINS0_14default_configENS1_20scan_config_selectorIjEEZZNS1_9scan_implILNS1_25lookback_scan_determinismE0ELb1ELb1ES3_N6thrust23THRUST_200600_302600_NS6detail15normal_iteratorINS9_10device_ptrIjEEEESE_j11max_functorIjEjEEDaPvRmT3_T4_T5_mT6_P12ihipStream_tbENKUlT_T0_E_clISt17integral_constantIbLb1EEST_IbLb0EEEEDaSP_SQ_EUlSP_E0_NS1_11comp_targetILNS1_3genE3ELNS1_11target_archE908ELNS1_3gpuE7ELNS1_3repE0EEENS1_30default_config_static_selectorELNS0_4arch9wavefront6targetE1EEEvT1_, .Lfunc_end2377-_ZN7rocprim17ROCPRIM_400000_NS6detail17trampoline_kernelINS0_14default_configENS1_20scan_config_selectorIjEEZZNS1_9scan_implILNS1_25lookback_scan_determinismE0ELb1ELb1ES3_N6thrust23THRUST_200600_302600_NS6detail15normal_iteratorINS9_10device_ptrIjEEEESE_j11max_functorIjEjEEDaPvRmT3_T4_T5_mT6_P12ihipStream_tbENKUlT_T0_E_clISt17integral_constantIbLb1EEST_IbLb0EEEEDaSP_SQ_EUlSP_E0_NS1_11comp_targetILNS1_3genE3ELNS1_11target_archE908ELNS1_3gpuE7ELNS1_3repE0EEENS1_30default_config_static_selectorELNS0_4arch9wavefront6targetE1EEEvT1_
                                        ; -- End function
	.section	.AMDGPU.csdata,"",@progbits
; Kernel info:
; codeLenInByte = 0
; NumSgprs: 4
; NumVgprs: 0
; NumAgprs: 0
; TotalNumVgprs: 0
; ScratchSize: 0
; MemoryBound: 0
; FloatMode: 240
; IeeeMode: 1
; LDSByteSize: 0 bytes/workgroup (compile time only)
; SGPRBlocks: 0
; VGPRBlocks: 0
; NumSGPRsForWavesPerEU: 4
; NumVGPRsForWavesPerEU: 1
; AccumOffset: 4
; Occupancy: 8
; WaveLimiterHint : 0
; COMPUTE_PGM_RSRC2:SCRATCH_EN: 0
; COMPUTE_PGM_RSRC2:USER_SGPR: 6
; COMPUTE_PGM_RSRC2:TRAP_HANDLER: 0
; COMPUTE_PGM_RSRC2:TGID_X_EN: 1
; COMPUTE_PGM_RSRC2:TGID_Y_EN: 0
; COMPUTE_PGM_RSRC2:TGID_Z_EN: 0
; COMPUTE_PGM_RSRC2:TIDIG_COMP_CNT: 0
; COMPUTE_PGM_RSRC3_GFX90A:ACCUM_OFFSET: 0
; COMPUTE_PGM_RSRC3_GFX90A:TG_SPLIT: 0
	.section	.text._ZN7rocprim17ROCPRIM_400000_NS6detail17trampoline_kernelINS0_14default_configENS1_20scan_config_selectorIjEEZZNS1_9scan_implILNS1_25lookback_scan_determinismE0ELb1ELb1ES3_N6thrust23THRUST_200600_302600_NS6detail15normal_iteratorINS9_10device_ptrIjEEEESE_j11max_functorIjEjEEDaPvRmT3_T4_T5_mT6_P12ihipStream_tbENKUlT_T0_E_clISt17integral_constantIbLb1EEST_IbLb0EEEEDaSP_SQ_EUlSP_E0_NS1_11comp_targetILNS1_3genE2ELNS1_11target_archE906ELNS1_3gpuE6ELNS1_3repE0EEENS1_30default_config_static_selectorELNS0_4arch9wavefront6targetE1EEEvT1_,"axG",@progbits,_ZN7rocprim17ROCPRIM_400000_NS6detail17trampoline_kernelINS0_14default_configENS1_20scan_config_selectorIjEEZZNS1_9scan_implILNS1_25lookback_scan_determinismE0ELb1ELb1ES3_N6thrust23THRUST_200600_302600_NS6detail15normal_iteratorINS9_10device_ptrIjEEEESE_j11max_functorIjEjEEDaPvRmT3_T4_T5_mT6_P12ihipStream_tbENKUlT_T0_E_clISt17integral_constantIbLb1EEST_IbLb0EEEEDaSP_SQ_EUlSP_E0_NS1_11comp_targetILNS1_3genE2ELNS1_11target_archE906ELNS1_3gpuE6ELNS1_3repE0EEENS1_30default_config_static_selectorELNS0_4arch9wavefront6targetE1EEEvT1_,comdat
	.protected	_ZN7rocprim17ROCPRIM_400000_NS6detail17trampoline_kernelINS0_14default_configENS1_20scan_config_selectorIjEEZZNS1_9scan_implILNS1_25lookback_scan_determinismE0ELb1ELb1ES3_N6thrust23THRUST_200600_302600_NS6detail15normal_iteratorINS9_10device_ptrIjEEEESE_j11max_functorIjEjEEDaPvRmT3_T4_T5_mT6_P12ihipStream_tbENKUlT_T0_E_clISt17integral_constantIbLb1EEST_IbLb0EEEEDaSP_SQ_EUlSP_E0_NS1_11comp_targetILNS1_3genE2ELNS1_11target_archE906ELNS1_3gpuE6ELNS1_3repE0EEENS1_30default_config_static_selectorELNS0_4arch9wavefront6targetE1EEEvT1_ ; -- Begin function _ZN7rocprim17ROCPRIM_400000_NS6detail17trampoline_kernelINS0_14default_configENS1_20scan_config_selectorIjEEZZNS1_9scan_implILNS1_25lookback_scan_determinismE0ELb1ELb1ES3_N6thrust23THRUST_200600_302600_NS6detail15normal_iteratorINS9_10device_ptrIjEEEESE_j11max_functorIjEjEEDaPvRmT3_T4_T5_mT6_P12ihipStream_tbENKUlT_T0_E_clISt17integral_constantIbLb1EEST_IbLb0EEEEDaSP_SQ_EUlSP_E0_NS1_11comp_targetILNS1_3genE2ELNS1_11target_archE906ELNS1_3gpuE6ELNS1_3repE0EEENS1_30default_config_static_selectorELNS0_4arch9wavefront6targetE1EEEvT1_
	.globl	_ZN7rocprim17ROCPRIM_400000_NS6detail17trampoline_kernelINS0_14default_configENS1_20scan_config_selectorIjEEZZNS1_9scan_implILNS1_25lookback_scan_determinismE0ELb1ELb1ES3_N6thrust23THRUST_200600_302600_NS6detail15normal_iteratorINS9_10device_ptrIjEEEESE_j11max_functorIjEjEEDaPvRmT3_T4_T5_mT6_P12ihipStream_tbENKUlT_T0_E_clISt17integral_constantIbLb1EEST_IbLb0EEEEDaSP_SQ_EUlSP_E0_NS1_11comp_targetILNS1_3genE2ELNS1_11target_archE906ELNS1_3gpuE6ELNS1_3repE0EEENS1_30default_config_static_selectorELNS0_4arch9wavefront6targetE1EEEvT1_
	.p2align	8
	.type	_ZN7rocprim17ROCPRIM_400000_NS6detail17trampoline_kernelINS0_14default_configENS1_20scan_config_selectorIjEEZZNS1_9scan_implILNS1_25lookback_scan_determinismE0ELb1ELb1ES3_N6thrust23THRUST_200600_302600_NS6detail15normal_iteratorINS9_10device_ptrIjEEEESE_j11max_functorIjEjEEDaPvRmT3_T4_T5_mT6_P12ihipStream_tbENKUlT_T0_E_clISt17integral_constantIbLb1EEST_IbLb0EEEEDaSP_SQ_EUlSP_E0_NS1_11comp_targetILNS1_3genE2ELNS1_11target_archE906ELNS1_3gpuE6ELNS1_3repE0EEENS1_30default_config_static_selectorELNS0_4arch9wavefront6targetE1EEEvT1_,@function
_ZN7rocprim17ROCPRIM_400000_NS6detail17trampoline_kernelINS0_14default_configENS1_20scan_config_selectorIjEEZZNS1_9scan_implILNS1_25lookback_scan_determinismE0ELb1ELb1ES3_N6thrust23THRUST_200600_302600_NS6detail15normal_iteratorINS9_10device_ptrIjEEEESE_j11max_functorIjEjEEDaPvRmT3_T4_T5_mT6_P12ihipStream_tbENKUlT_T0_E_clISt17integral_constantIbLb1EEST_IbLb0EEEEDaSP_SQ_EUlSP_E0_NS1_11comp_targetILNS1_3genE2ELNS1_11target_archE906ELNS1_3gpuE6ELNS1_3repE0EEENS1_30default_config_static_selectorELNS0_4arch9wavefront6targetE1EEEvT1_: ; @_ZN7rocprim17ROCPRIM_400000_NS6detail17trampoline_kernelINS0_14default_configENS1_20scan_config_selectorIjEEZZNS1_9scan_implILNS1_25lookback_scan_determinismE0ELb1ELb1ES3_N6thrust23THRUST_200600_302600_NS6detail15normal_iteratorINS9_10device_ptrIjEEEESE_j11max_functorIjEjEEDaPvRmT3_T4_T5_mT6_P12ihipStream_tbENKUlT_T0_E_clISt17integral_constantIbLb1EEST_IbLb0EEEEDaSP_SQ_EUlSP_E0_NS1_11comp_targetILNS1_3genE2ELNS1_11target_archE906ELNS1_3gpuE6ELNS1_3repE0EEENS1_30default_config_static_selectorELNS0_4arch9wavefront6targetE1EEEvT1_
; %bb.0:
	.section	.rodata,"a",@progbits
	.p2align	6, 0x0
	.amdhsa_kernel _ZN7rocprim17ROCPRIM_400000_NS6detail17trampoline_kernelINS0_14default_configENS1_20scan_config_selectorIjEEZZNS1_9scan_implILNS1_25lookback_scan_determinismE0ELb1ELb1ES3_N6thrust23THRUST_200600_302600_NS6detail15normal_iteratorINS9_10device_ptrIjEEEESE_j11max_functorIjEjEEDaPvRmT3_T4_T5_mT6_P12ihipStream_tbENKUlT_T0_E_clISt17integral_constantIbLb1EEST_IbLb0EEEEDaSP_SQ_EUlSP_E0_NS1_11comp_targetILNS1_3genE2ELNS1_11target_archE906ELNS1_3gpuE6ELNS1_3repE0EEENS1_30default_config_static_selectorELNS0_4arch9wavefront6targetE1EEEvT1_
		.amdhsa_group_segment_fixed_size 0
		.amdhsa_private_segment_fixed_size 0
		.amdhsa_kernarg_size 32
		.amdhsa_user_sgpr_count 6
		.amdhsa_user_sgpr_private_segment_buffer 1
		.amdhsa_user_sgpr_dispatch_ptr 0
		.amdhsa_user_sgpr_queue_ptr 0
		.amdhsa_user_sgpr_kernarg_segment_ptr 1
		.amdhsa_user_sgpr_dispatch_id 0
		.amdhsa_user_sgpr_flat_scratch_init 0
		.amdhsa_user_sgpr_kernarg_preload_length 0
		.amdhsa_user_sgpr_kernarg_preload_offset 0
		.amdhsa_user_sgpr_private_segment_size 0
		.amdhsa_uses_dynamic_stack 0
		.amdhsa_system_sgpr_private_segment_wavefront_offset 0
		.amdhsa_system_sgpr_workgroup_id_x 1
		.amdhsa_system_sgpr_workgroup_id_y 0
		.amdhsa_system_sgpr_workgroup_id_z 0
		.amdhsa_system_sgpr_workgroup_info 0
		.amdhsa_system_vgpr_workitem_id 0
		.amdhsa_next_free_vgpr 1
		.amdhsa_next_free_sgpr 0
		.amdhsa_accum_offset 4
		.amdhsa_reserve_vcc 0
		.amdhsa_reserve_flat_scratch 0
		.amdhsa_float_round_mode_32 0
		.amdhsa_float_round_mode_16_64 0
		.amdhsa_float_denorm_mode_32 3
		.amdhsa_float_denorm_mode_16_64 3
		.amdhsa_dx10_clamp 1
		.amdhsa_ieee_mode 1
		.amdhsa_fp16_overflow 0
		.amdhsa_tg_split 0
		.amdhsa_exception_fp_ieee_invalid_op 0
		.amdhsa_exception_fp_denorm_src 0
		.amdhsa_exception_fp_ieee_div_zero 0
		.amdhsa_exception_fp_ieee_overflow 0
		.amdhsa_exception_fp_ieee_underflow 0
		.amdhsa_exception_fp_ieee_inexact 0
		.amdhsa_exception_int_div_zero 0
	.end_amdhsa_kernel
	.section	.text._ZN7rocprim17ROCPRIM_400000_NS6detail17trampoline_kernelINS0_14default_configENS1_20scan_config_selectorIjEEZZNS1_9scan_implILNS1_25lookback_scan_determinismE0ELb1ELb1ES3_N6thrust23THRUST_200600_302600_NS6detail15normal_iteratorINS9_10device_ptrIjEEEESE_j11max_functorIjEjEEDaPvRmT3_T4_T5_mT6_P12ihipStream_tbENKUlT_T0_E_clISt17integral_constantIbLb1EEST_IbLb0EEEEDaSP_SQ_EUlSP_E0_NS1_11comp_targetILNS1_3genE2ELNS1_11target_archE906ELNS1_3gpuE6ELNS1_3repE0EEENS1_30default_config_static_selectorELNS0_4arch9wavefront6targetE1EEEvT1_,"axG",@progbits,_ZN7rocprim17ROCPRIM_400000_NS6detail17trampoline_kernelINS0_14default_configENS1_20scan_config_selectorIjEEZZNS1_9scan_implILNS1_25lookback_scan_determinismE0ELb1ELb1ES3_N6thrust23THRUST_200600_302600_NS6detail15normal_iteratorINS9_10device_ptrIjEEEESE_j11max_functorIjEjEEDaPvRmT3_T4_T5_mT6_P12ihipStream_tbENKUlT_T0_E_clISt17integral_constantIbLb1EEST_IbLb0EEEEDaSP_SQ_EUlSP_E0_NS1_11comp_targetILNS1_3genE2ELNS1_11target_archE906ELNS1_3gpuE6ELNS1_3repE0EEENS1_30default_config_static_selectorELNS0_4arch9wavefront6targetE1EEEvT1_,comdat
.Lfunc_end2378:
	.size	_ZN7rocprim17ROCPRIM_400000_NS6detail17trampoline_kernelINS0_14default_configENS1_20scan_config_selectorIjEEZZNS1_9scan_implILNS1_25lookback_scan_determinismE0ELb1ELb1ES3_N6thrust23THRUST_200600_302600_NS6detail15normal_iteratorINS9_10device_ptrIjEEEESE_j11max_functorIjEjEEDaPvRmT3_T4_T5_mT6_P12ihipStream_tbENKUlT_T0_E_clISt17integral_constantIbLb1EEST_IbLb0EEEEDaSP_SQ_EUlSP_E0_NS1_11comp_targetILNS1_3genE2ELNS1_11target_archE906ELNS1_3gpuE6ELNS1_3repE0EEENS1_30default_config_static_selectorELNS0_4arch9wavefront6targetE1EEEvT1_, .Lfunc_end2378-_ZN7rocprim17ROCPRIM_400000_NS6detail17trampoline_kernelINS0_14default_configENS1_20scan_config_selectorIjEEZZNS1_9scan_implILNS1_25lookback_scan_determinismE0ELb1ELb1ES3_N6thrust23THRUST_200600_302600_NS6detail15normal_iteratorINS9_10device_ptrIjEEEESE_j11max_functorIjEjEEDaPvRmT3_T4_T5_mT6_P12ihipStream_tbENKUlT_T0_E_clISt17integral_constantIbLb1EEST_IbLb0EEEEDaSP_SQ_EUlSP_E0_NS1_11comp_targetILNS1_3genE2ELNS1_11target_archE906ELNS1_3gpuE6ELNS1_3repE0EEENS1_30default_config_static_selectorELNS0_4arch9wavefront6targetE1EEEvT1_
                                        ; -- End function
	.section	.AMDGPU.csdata,"",@progbits
; Kernel info:
; codeLenInByte = 0
; NumSgprs: 4
; NumVgprs: 0
; NumAgprs: 0
; TotalNumVgprs: 0
; ScratchSize: 0
; MemoryBound: 0
; FloatMode: 240
; IeeeMode: 1
; LDSByteSize: 0 bytes/workgroup (compile time only)
; SGPRBlocks: 0
; VGPRBlocks: 0
; NumSGPRsForWavesPerEU: 4
; NumVGPRsForWavesPerEU: 1
; AccumOffset: 4
; Occupancy: 8
; WaveLimiterHint : 0
; COMPUTE_PGM_RSRC2:SCRATCH_EN: 0
; COMPUTE_PGM_RSRC2:USER_SGPR: 6
; COMPUTE_PGM_RSRC2:TRAP_HANDLER: 0
; COMPUTE_PGM_RSRC2:TGID_X_EN: 1
; COMPUTE_PGM_RSRC2:TGID_Y_EN: 0
; COMPUTE_PGM_RSRC2:TGID_Z_EN: 0
; COMPUTE_PGM_RSRC2:TIDIG_COMP_CNT: 0
; COMPUTE_PGM_RSRC3_GFX90A:ACCUM_OFFSET: 0
; COMPUTE_PGM_RSRC3_GFX90A:TG_SPLIT: 0
	.section	.text._ZN7rocprim17ROCPRIM_400000_NS6detail17trampoline_kernelINS0_14default_configENS1_20scan_config_selectorIjEEZZNS1_9scan_implILNS1_25lookback_scan_determinismE0ELb1ELb1ES3_N6thrust23THRUST_200600_302600_NS6detail15normal_iteratorINS9_10device_ptrIjEEEESE_j11max_functorIjEjEEDaPvRmT3_T4_T5_mT6_P12ihipStream_tbENKUlT_T0_E_clISt17integral_constantIbLb1EEST_IbLb0EEEEDaSP_SQ_EUlSP_E0_NS1_11comp_targetILNS1_3genE10ELNS1_11target_archE1201ELNS1_3gpuE5ELNS1_3repE0EEENS1_30default_config_static_selectorELNS0_4arch9wavefront6targetE1EEEvT1_,"axG",@progbits,_ZN7rocprim17ROCPRIM_400000_NS6detail17trampoline_kernelINS0_14default_configENS1_20scan_config_selectorIjEEZZNS1_9scan_implILNS1_25lookback_scan_determinismE0ELb1ELb1ES3_N6thrust23THRUST_200600_302600_NS6detail15normal_iteratorINS9_10device_ptrIjEEEESE_j11max_functorIjEjEEDaPvRmT3_T4_T5_mT6_P12ihipStream_tbENKUlT_T0_E_clISt17integral_constantIbLb1EEST_IbLb0EEEEDaSP_SQ_EUlSP_E0_NS1_11comp_targetILNS1_3genE10ELNS1_11target_archE1201ELNS1_3gpuE5ELNS1_3repE0EEENS1_30default_config_static_selectorELNS0_4arch9wavefront6targetE1EEEvT1_,comdat
	.protected	_ZN7rocprim17ROCPRIM_400000_NS6detail17trampoline_kernelINS0_14default_configENS1_20scan_config_selectorIjEEZZNS1_9scan_implILNS1_25lookback_scan_determinismE0ELb1ELb1ES3_N6thrust23THRUST_200600_302600_NS6detail15normal_iteratorINS9_10device_ptrIjEEEESE_j11max_functorIjEjEEDaPvRmT3_T4_T5_mT6_P12ihipStream_tbENKUlT_T0_E_clISt17integral_constantIbLb1EEST_IbLb0EEEEDaSP_SQ_EUlSP_E0_NS1_11comp_targetILNS1_3genE10ELNS1_11target_archE1201ELNS1_3gpuE5ELNS1_3repE0EEENS1_30default_config_static_selectorELNS0_4arch9wavefront6targetE1EEEvT1_ ; -- Begin function _ZN7rocprim17ROCPRIM_400000_NS6detail17trampoline_kernelINS0_14default_configENS1_20scan_config_selectorIjEEZZNS1_9scan_implILNS1_25lookback_scan_determinismE0ELb1ELb1ES3_N6thrust23THRUST_200600_302600_NS6detail15normal_iteratorINS9_10device_ptrIjEEEESE_j11max_functorIjEjEEDaPvRmT3_T4_T5_mT6_P12ihipStream_tbENKUlT_T0_E_clISt17integral_constantIbLb1EEST_IbLb0EEEEDaSP_SQ_EUlSP_E0_NS1_11comp_targetILNS1_3genE10ELNS1_11target_archE1201ELNS1_3gpuE5ELNS1_3repE0EEENS1_30default_config_static_selectorELNS0_4arch9wavefront6targetE1EEEvT1_
	.globl	_ZN7rocprim17ROCPRIM_400000_NS6detail17trampoline_kernelINS0_14default_configENS1_20scan_config_selectorIjEEZZNS1_9scan_implILNS1_25lookback_scan_determinismE0ELb1ELb1ES3_N6thrust23THRUST_200600_302600_NS6detail15normal_iteratorINS9_10device_ptrIjEEEESE_j11max_functorIjEjEEDaPvRmT3_T4_T5_mT6_P12ihipStream_tbENKUlT_T0_E_clISt17integral_constantIbLb1EEST_IbLb0EEEEDaSP_SQ_EUlSP_E0_NS1_11comp_targetILNS1_3genE10ELNS1_11target_archE1201ELNS1_3gpuE5ELNS1_3repE0EEENS1_30default_config_static_selectorELNS0_4arch9wavefront6targetE1EEEvT1_
	.p2align	8
	.type	_ZN7rocprim17ROCPRIM_400000_NS6detail17trampoline_kernelINS0_14default_configENS1_20scan_config_selectorIjEEZZNS1_9scan_implILNS1_25lookback_scan_determinismE0ELb1ELb1ES3_N6thrust23THRUST_200600_302600_NS6detail15normal_iteratorINS9_10device_ptrIjEEEESE_j11max_functorIjEjEEDaPvRmT3_T4_T5_mT6_P12ihipStream_tbENKUlT_T0_E_clISt17integral_constantIbLb1EEST_IbLb0EEEEDaSP_SQ_EUlSP_E0_NS1_11comp_targetILNS1_3genE10ELNS1_11target_archE1201ELNS1_3gpuE5ELNS1_3repE0EEENS1_30default_config_static_selectorELNS0_4arch9wavefront6targetE1EEEvT1_,@function
_ZN7rocprim17ROCPRIM_400000_NS6detail17trampoline_kernelINS0_14default_configENS1_20scan_config_selectorIjEEZZNS1_9scan_implILNS1_25lookback_scan_determinismE0ELb1ELb1ES3_N6thrust23THRUST_200600_302600_NS6detail15normal_iteratorINS9_10device_ptrIjEEEESE_j11max_functorIjEjEEDaPvRmT3_T4_T5_mT6_P12ihipStream_tbENKUlT_T0_E_clISt17integral_constantIbLb1EEST_IbLb0EEEEDaSP_SQ_EUlSP_E0_NS1_11comp_targetILNS1_3genE10ELNS1_11target_archE1201ELNS1_3gpuE5ELNS1_3repE0EEENS1_30default_config_static_selectorELNS0_4arch9wavefront6targetE1EEEvT1_: ; @_ZN7rocprim17ROCPRIM_400000_NS6detail17trampoline_kernelINS0_14default_configENS1_20scan_config_selectorIjEEZZNS1_9scan_implILNS1_25lookback_scan_determinismE0ELb1ELb1ES3_N6thrust23THRUST_200600_302600_NS6detail15normal_iteratorINS9_10device_ptrIjEEEESE_j11max_functorIjEjEEDaPvRmT3_T4_T5_mT6_P12ihipStream_tbENKUlT_T0_E_clISt17integral_constantIbLb1EEST_IbLb0EEEEDaSP_SQ_EUlSP_E0_NS1_11comp_targetILNS1_3genE10ELNS1_11target_archE1201ELNS1_3gpuE5ELNS1_3repE0EEENS1_30default_config_static_selectorELNS0_4arch9wavefront6targetE1EEEvT1_
; %bb.0:
	.section	.rodata,"a",@progbits
	.p2align	6, 0x0
	.amdhsa_kernel _ZN7rocprim17ROCPRIM_400000_NS6detail17trampoline_kernelINS0_14default_configENS1_20scan_config_selectorIjEEZZNS1_9scan_implILNS1_25lookback_scan_determinismE0ELb1ELb1ES3_N6thrust23THRUST_200600_302600_NS6detail15normal_iteratorINS9_10device_ptrIjEEEESE_j11max_functorIjEjEEDaPvRmT3_T4_T5_mT6_P12ihipStream_tbENKUlT_T0_E_clISt17integral_constantIbLb1EEST_IbLb0EEEEDaSP_SQ_EUlSP_E0_NS1_11comp_targetILNS1_3genE10ELNS1_11target_archE1201ELNS1_3gpuE5ELNS1_3repE0EEENS1_30default_config_static_selectorELNS0_4arch9wavefront6targetE1EEEvT1_
		.amdhsa_group_segment_fixed_size 0
		.amdhsa_private_segment_fixed_size 0
		.amdhsa_kernarg_size 32
		.amdhsa_user_sgpr_count 6
		.amdhsa_user_sgpr_private_segment_buffer 1
		.amdhsa_user_sgpr_dispatch_ptr 0
		.amdhsa_user_sgpr_queue_ptr 0
		.amdhsa_user_sgpr_kernarg_segment_ptr 1
		.amdhsa_user_sgpr_dispatch_id 0
		.amdhsa_user_sgpr_flat_scratch_init 0
		.amdhsa_user_sgpr_kernarg_preload_length 0
		.amdhsa_user_sgpr_kernarg_preload_offset 0
		.amdhsa_user_sgpr_private_segment_size 0
		.amdhsa_uses_dynamic_stack 0
		.amdhsa_system_sgpr_private_segment_wavefront_offset 0
		.amdhsa_system_sgpr_workgroup_id_x 1
		.amdhsa_system_sgpr_workgroup_id_y 0
		.amdhsa_system_sgpr_workgroup_id_z 0
		.amdhsa_system_sgpr_workgroup_info 0
		.amdhsa_system_vgpr_workitem_id 0
		.amdhsa_next_free_vgpr 1
		.amdhsa_next_free_sgpr 0
		.amdhsa_accum_offset 4
		.amdhsa_reserve_vcc 0
		.amdhsa_reserve_flat_scratch 0
		.amdhsa_float_round_mode_32 0
		.amdhsa_float_round_mode_16_64 0
		.amdhsa_float_denorm_mode_32 3
		.amdhsa_float_denorm_mode_16_64 3
		.amdhsa_dx10_clamp 1
		.amdhsa_ieee_mode 1
		.amdhsa_fp16_overflow 0
		.amdhsa_tg_split 0
		.amdhsa_exception_fp_ieee_invalid_op 0
		.amdhsa_exception_fp_denorm_src 0
		.amdhsa_exception_fp_ieee_div_zero 0
		.amdhsa_exception_fp_ieee_overflow 0
		.amdhsa_exception_fp_ieee_underflow 0
		.amdhsa_exception_fp_ieee_inexact 0
		.amdhsa_exception_int_div_zero 0
	.end_amdhsa_kernel
	.section	.text._ZN7rocprim17ROCPRIM_400000_NS6detail17trampoline_kernelINS0_14default_configENS1_20scan_config_selectorIjEEZZNS1_9scan_implILNS1_25lookback_scan_determinismE0ELb1ELb1ES3_N6thrust23THRUST_200600_302600_NS6detail15normal_iteratorINS9_10device_ptrIjEEEESE_j11max_functorIjEjEEDaPvRmT3_T4_T5_mT6_P12ihipStream_tbENKUlT_T0_E_clISt17integral_constantIbLb1EEST_IbLb0EEEEDaSP_SQ_EUlSP_E0_NS1_11comp_targetILNS1_3genE10ELNS1_11target_archE1201ELNS1_3gpuE5ELNS1_3repE0EEENS1_30default_config_static_selectorELNS0_4arch9wavefront6targetE1EEEvT1_,"axG",@progbits,_ZN7rocprim17ROCPRIM_400000_NS6detail17trampoline_kernelINS0_14default_configENS1_20scan_config_selectorIjEEZZNS1_9scan_implILNS1_25lookback_scan_determinismE0ELb1ELb1ES3_N6thrust23THRUST_200600_302600_NS6detail15normal_iteratorINS9_10device_ptrIjEEEESE_j11max_functorIjEjEEDaPvRmT3_T4_T5_mT6_P12ihipStream_tbENKUlT_T0_E_clISt17integral_constantIbLb1EEST_IbLb0EEEEDaSP_SQ_EUlSP_E0_NS1_11comp_targetILNS1_3genE10ELNS1_11target_archE1201ELNS1_3gpuE5ELNS1_3repE0EEENS1_30default_config_static_selectorELNS0_4arch9wavefront6targetE1EEEvT1_,comdat
.Lfunc_end2379:
	.size	_ZN7rocprim17ROCPRIM_400000_NS6detail17trampoline_kernelINS0_14default_configENS1_20scan_config_selectorIjEEZZNS1_9scan_implILNS1_25lookback_scan_determinismE0ELb1ELb1ES3_N6thrust23THRUST_200600_302600_NS6detail15normal_iteratorINS9_10device_ptrIjEEEESE_j11max_functorIjEjEEDaPvRmT3_T4_T5_mT6_P12ihipStream_tbENKUlT_T0_E_clISt17integral_constantIbLb1EEST_IbLb0EEEEDaSP_SQ_EUlSP_E0_NS1_11comp_targetILNS1_3genE10ELNS1_11target_archE1201ELNS1_3gpuE5ELNS1_3repE0EEENS1_30default_config_static_selectorELNS0_4arch9wavefront6targetE1EEEvT1_, .Lfunc_end2379-_ZN7rocprim17ROCPRIM_400000_NS6detail17trampoline_kernelINS0_14default_configENS1_20scan_config_selectorIjEEZZNS1_9scan_implILNS1_25lookback_scan_determinismE0ELb1ELb1ES3_N6thrust23THRUST_200600_302600_NS6detail15normal_iteratorINS9_10device_ptrIjEEEESE_j11max_functorIjEjEEDaPvRmT3_T4_T5_mT6_P12ihipStream_tbENKUlT_T0_E_clISt17integral_constantIbLb1EEST_IbLb0EEEEDaSP_SQ_EUlSP_E0_NS1_11comp_targetILNS1_3genE10ELNS1_11target_archE1201ELNS1_3gpuE5ELNS1_3repE0EEENS1_30default_config_static_selectorELNS0_4arch9wavefront6targetE1EEEvT1_
                                        ; -- End function
	.section	.AMDGPU.csdata,"",@progbits
; Kernel info:
; codeLenInByte = 0
; NumSgprs: 4
; NumVgprs: 0
; NumAgprs: 0
; TotalNumVgprs: 0
; ScratchSize: 0
; MemoryBound: 0
; FloatMode: 240
; IeeeMode: 1
; LDSByteSize: 0 bytes/workgroup (compile time only)
; SGPRBlocks: 0
; VGPRBlocks: 0
; NumSGPRsForWavesPerEU: 4
; NumVGPRsForWavesPerEU: 1
; AccumOffset: 4
; Occupancy: 8
; WaveLimiterHint : 0
; COMPUTE_PGM_RSRC2:SCRATCH_EN: 0
; COMPUTE_PGM_RSRC2:USER_SGPR: 6
; COMPUTE_PGM_RSRC2:TRAP_HANDLER: 0
; COMPUTE_PGM_RSRC2:TGID_X_EN: 1
; COMPUTE_PGM_RSRC2:TGID_Y_EN: 0
; COMPUTE_PGM_RSRC2:TGID_Z_EN: 0
; COMPUTE_PGM_RSRC2:TIDIG_COMP_CNT: 0
; COMPUTE_PGM_RSRC3_GFX90A:ACCUM_OFFSET: 0
; COMPUTE_PGM_RSRC3_GFX90A:TG_SPLIT: 0
	.section	.text._ZN7rocprim17ROCPRIM_400000_NS6detail17trampoline_kernelINS0_14default_configENS1_20scan_config_selectorIjEEZZNS1_9scan_implILNS1_25lookback_scan_determinismE0ELb1ELb1ES3_N6thrust23THRUST_200600_302600_NS6detail15normal_iteratorINS9_10device_ptrIjEEEESE_j11max_functorIjEjEEDaPvRmT3_T4_T5_mT6_P12ihipStream_tbENKUlT_T0_E_clISt17integral_constantIbLb1EEST_IbLb0EEEEDaSP_SQ_EUlSP_E0_NS1_11comp_targetILNS1_3genE10ELNS1_11target_archE1200ELNS1_3gpuE4ELNS1_3repE0EEENS1_30default_config_static_selectorELNS0_4arch9wavefront6targetE1EEEvT1_,"axG",@progbits,_ZN7rocprim17ROCPRIM_400000_NS6detail17trampoline_kernelINS0_14default_configENS1_20scan_config_selectorIjEEZZNS1_9scan_implILNS1_25lookback_scan_determinismE0ELb1ELb1ES3_N6thrust23THRUST_200600_302600_NS6detail15normal_iteratorINS9_10device_ptrIjEEEESE_j11max_functorIjEjEEDaPvRmT3_T4_T5_mT6_P12ihipStream_tbENKUlT_T0_E_clISt17integral_constantIbLb1EEST_IbLb0EEEEDaSP_SQ_EUlSP_E0_NS1_11comp_targetILNS1_3genE10ELNS1_11target_archE1200ELNS1_3gpuE4ELNS1_3repE0EEENS1_30default_config_static_selectorELNS0_4arch9wavefront6targetE1EEEvT1_,comdat
	.protected	_ZN7rocprim17ROCPRIM_400000_NS6detail17trampoline_kernelINS0_14default_configENS1_20scan_config_selectorIjEEZZNS1_9scan_implILNS1_25lookback_scan_determinismE0ELb1ELb1ES3_N6thrust23THRUST_200600_302600_NS6detail15normal_iteratorINS9_10device_ptrIjEEEESE_j11max_functorIjEjEEDaPvRmT3_T4_T5_mT6_P12ihipStream_tbENKUlT_T0_E_clISt17integral_constantIbLb1EEST_IbLb0EEEEDaSP_SQ_EUlSP_E0_NS1_11comp_targetILNS1_3genE10ELNS1_11target_archE1200ELNS1_3gpuE4ELNS1_3repE0EEENS1_30default_config_static_selectorELNS0_4arch9wavefront6targetE1EEEvT1_ ; -- Begin function _ZN7rocprim17ROCPRIM_400000_NS6detail17trampoline_kernelINS0_14default_configENS1_20scan_config_selectorIjEEZZNS1_9scan_implILNS1_25lookback_scan_determinismE0ELb1ELb1ES3_N6thrust23THRUST_200600_302600_NS6detail15normal_iteratorINS9_10device_ptrIjEEEESE_j11max_functorIjEjEEDaPvRmT3_T4_T5_mT6_P12ihipStream_tbENKUlT_T0_E_clISt17integral_constantIbLb1EEST_IbLb0EEEEDaSP_SQ_EUlSP_E0_NS1_11comp_targetILNS1_3genE10ELNS1_11target_archE1200ELNS1_3gpuE4ELNS1_3repE0EEENS1_30default_config_static_selectorELNS0_4arch9wavefront6targetE1EEEvT1_
	.globl	_ZN7rocprim17ROCPRIM_400000_NS6detail17trampoline_kernelINS0_14default_configENS1_20scan_config_selectorIjEEZZNS1_9scan_implILNS1_25lookback_scan_determinismE0ELb1ELb1ES3_N6thrust23THRUST_200600_302600_NS6detail15normal_iteratorINS9_10device_ptrIjEEEESE_j11max_functorIjEjEEDaPvRmT3_T4_T5_mT6_P12ihipStream_tbENKUlT_T0_E_clISt17integral_constantIbLb1EEST_IbLb0EEEEDaSP_SQ_EUlSP_E0_NS1_11comp_targetILNS1_3genE10ELNS1_11target_archE1200ELNS1_3gpuE4ELNS1_3repE0EEENS1_30default_config_static_selectorELNS0_4arch9wavefront6targetE1EEEvT1_
	.p2align	8
	.type	_ZN7rocprim17ROCPRIM_400000_NS6detail17trampoline_kernelINS0_14default_configENS1_20scan_config_selectorIjEEZZNS1_9scan_implILNS1_25lookback_scan_determinismE0ELb1ELb1ES3_N6thrust23THRUST_200600_302600_NS6detail15normal_iteratorINS9_10device_ptrIjEEEESE_j11max_functorIjEjEEDaPvRmT3_T4_T5_mT6_P12ihipStream_tbENKUlT_T0_E_clISt17integral_constantIbLb1EEST_IbLb0EEEEDaSP_SQ_EUlSP_E0_NS1_11comp_targetILNS1_3genE10ELNS1_11target_archE1200ELNS1_3gpuE4ELNS1_3repE0EEENS1_30default_config_static_selectorELNS0_4arch9wavefront6targetE1EEEvT1_,@function
_ZN7rocprim17ROCPRIM_400000_NS6detail17trampoline_kernelINS0_14default_configENS1_20scan_config_selectorIjEEZZNS1_9scan_implILNS1_25lookback_scan_determinismE0ELb1ELb1ES3_N6thrust23THRUST_200600_302600_NS6detail15normal_iteratorINS9_10device_ptrIjEEEESE_j11max_functorIjEjEEDaPvRmT3_T4_T5_mT6_P12ihipStream_tbENKUlT_T0_E_clISt17integral_constantIbLb1EEST_IbLb0EEEEDaSP_SQ_EUlSP_E0_NS1_11comp_targetILNS1_3genE10ELNS1_11target_archE1200ELNS1_3gpuE4ELNS1_3repE0EEENS1_30default_config_static_selectorELNS0_4arch9wavefront6targetE1EEEvT1_: ; @_ZN7rocprim17ROCPRIM_400000_NS6detail17trampoline_kernelINS0_14default_configENS1_20scan_config_selectorIjEEZZNS1_9scan_implILNS1_25lookback_scan_determinismE0ELb1ELb1ES3_N6thrust23THRUST_200600_302600_NS6detail15normal_iteratorINS9_10device_ptrIjEEEESE_j11max_functorIjEjEEDaPvRmT3_T4_T5_mT6_P12ihipStream_tbENKUlT_T0_E_clISt17integral_constantIbLb1EEST_IbLb0EEEEDaSP_SQ_EUlSP_E0_NS1_11comp_targetILNS1_3genE10ELNS1_11target_archE1200ELNS1_3gpuE4ELNS1_3repE0EEENS1_30default_config_static_selectorELNS0_4arch9wavefront6targetE1EEEvT1_
; %bb.0:
	.section	.rodata,"a",@progbits
	.p2align	6, 0x0
	.amdhsa_kernel _ZN7rocprim17ROCPRIM_400000_NS6detail17trampoline_kernelINS0_14default_configENS1_20scan_config_selectorIjEEZZNS1_9scan_implILNS1_25lookback_scan_determinismE0ELb1ELb1ES3_N6thrust23THRUST_200600_302600_NS6detail15normal_iteratorINS9_10device_ptrIjEEEESE_j11max_functorIjEjEEDaPvRmT3_T4_T5_mT6_P12ihipStream_tbENKUlT_T0_E_clISt17integral_constantIbLb1EEST_IbLb0EEEEDaSP_SQ_EUlSP_E0_NS1_11comp_targetILNS1_3genE10ELNS1_11target_archE1200ELNS1_3gpuE4ELNS1_3repE0EEENS1_30default_config_static_selectorELNS0_4arch9wavefront6targetE1EEEvT1_
		.amdhsa_group_segment_fixed_size 0
		.amdhsa_private_segment_fixed_size 0
		.amdhsa_kernarg_size 32
		.amdhsa_user_sgpr_count 6
		.amdhsa_user_sgpr_private_segment_buffer 1
		.amdhsa_user_sgpr_dispatch_ptr 0
		.amdhsa_user_sgpr_queue_ptr 0
		.amdhsa_user_sgpr_kernarg_segment_ptr 1
		.amdhsa_user_sgpr_dispatch_id 0
		.amdhsa_user_sgpr_flat_scratch_init 0
		.amdhsa_user_sgpr_kernarg_preload_length 0
		.amdhsa_user_sgpr_kernarg_preload_offset 0
		.amdhsa_user_sgpr_private_segment_size 0
		.amdhsa_uses_dynamic_stack 0
		.amdhsa_system_sgpr_private_segment_wavefront_offset 0
		.amdhsa_system_sgpr_workgroup_id_x 1
		.amdhsa_system_sgpr_workgroup_id_y 0
		.amdhsa_system_sgpr_workgroup_id_z 0
		.amdhsa_system_sgpr_workgroup_info 0
		.amdhsa_system_vgpr_workitem_id 0
		.amdhsa_next_free_vgpr 1
		.amdhsa_next_free_sgpr 0
		.amdhsa_accum_offset 4
		.amdhsa_reserve_vcc 0
		.amdhsa_reserve_flat_scratch 0
		.amdhsa_float_round_mode_32 0
		.amdhsa_float_round_mode_16_64 0
		.amdhsa_float_denorm_mode_32 3
		.amdhsa_float_denorm_mode_16_64 3
		.amdhsa_dx10_clamp 1
		.amdhsa_ieee_mode 1
		.amdhsa_fp16_overflow 0
		.amdhsa_tg_split 0
		.amdhsa_exception_fp_ieee_invalid_op 0
		.amdhsa_exception_fp_denorm_src 0
		.amdhsa_exception_fp_ieee_div_zero 0
		.amdhsa_exception_fp_ieee_overflow 0
		.amdhsa_exception_fp_ieee_underflow 0
		.amdhsa_exception_fp_ieee_inexact 0
		.amdhsa_exception_int_div_zero 0
	.end_amdhsa_kernel
	.section	.text._ZN7rocprim17ROCPRIM_400000_NS6detail17trampoline_kernelINS0_14default_configENS1_20scan_config_selectorIjEEZZNS1_9scan_implILNS1_25lookback_scan_determinismE0ELb1ELb1ES3_N6thrust23THRUST_200600_302600_NS6detail15normal_iteratorINS9_10device_ptrIjEEEESE_j11max_functorIjEjEEDaPvRmT3_T4_T5_mT6_P12ihipStream_tbENKUlT_T0_E_clISt17integral_constantIbLb1EEST_IbLb0EEEEDaSP_SQ_EUlSP_E0_NS1_11comp_targetILNS1_3genE10ELNS1_11target_archE1200ELNS1_3gpuE4ELNS1_3repE0EEENS1_30default_config_static_selectorELNS0_4arch9wavefront6targetE1EEEvT1_,"axG",@progbits,_ZN7rocprim17ROCPRIM_400000_NS6detail17trampoline_kernelINS0_14default_configENS1_20scan_config_selectorIjEEZZNS1_9scan_implILNS1_25lookback_scan_determinismE0ELb1ELb1ES3_N6thrust23THRUST_200600_302600_NS6detail15normal_iteratorINS9_10device_ptrIjEEEESE_j11max_functorIjEjEEDaPvRmT3_T4_T5_mT6_P12ihipStream_tbENKUlT_T0_E_clISt17integral_constantIbLb1EEST_IbLb0EEEEDaSP_SQ_EUlSP_E0_NS1_11comp_targetILNS1_3genE10ELNS1_11target_archE1200ELNS1_3gpuE4ELNS1_3repE0EEENS1_30default_config_static_selectorELNS0_4arch9wavefront6targetE1EEEvT1_,comdat
.Lfunc_end2380:
	.size	_ZN7rocprim17ROCPRIM_400000_NS6detail17trampoline_kernelINS0_14default_configENS1_20scan_config_selectorIjEEZZNS1_9scan_implILNS1_25lookback_scan_determinismE0ELb1ELb1ES3_N6thrust23THRUST_200600_302600_NS6detail15normal_iteratorINS9_10device_ptrIjEEEESE_j11max_functorIjEjEEDaPvRmT3_T4_T5_mT6_P12ihipStream_tbENKUlT_T0_E_clISt17integral_constantIbLb1EEST_IbLb0EEEEDaSP_SQ_EUlSP_E0_NS1_11comp_targetILNS1_3genE10ELNS1_11target_archE1200ELNS1_3gpuE4ELNS1_3repE0EEENS1_30default_config_static_selectorELNS0_4arch9wavefront6targetE1EEEvT1_, .Lfunc_end2380-_ZN7rocprim17ROCPRIM_400000_NS6detail17trampoline_kernelINS0_14default_configENS1_20scan_config_selectorIjEEZZNS1_9scan_implILNS1_25lookback_scan_determinismE0ELb1ELb1ES3_N6thrust23THRUST_200600_302600_NS6detail15normal_iteratorINS9_10device_ptrIjEEEESE_j11max_functorIjEjEEDaPvRmT3_T4_T5_mT6_P12ihipStream_tbENKUlT_T0_E_clISt17integral_constantIbLb1EEST_IbLb0EEEEDaSP_SQ_EUlSP_E0_NS1_11comp_targetILNS1_3genE10ELNS1_11target_archE1200ELNS1_3gpuE4ELNS1_3repE0EEENS1_30default_config_static_selectorELNS0_4arch9wavefront6targetE1EEEvT1_
                                        ; -- End function
	.section	.AMDGPU.csdata,"",@progbits
; Kernel info:
; codeLenInByte = 0
; NumSgprs: 4
; NumVgprs: 0
; NumAgprs: 0
; TotalNumVgprs: 0
; ScratchSize: 0
; MemoryBound: 0
; FloatMode: 240
; IeeeMode: 1
; LDSByteSize: 0 bytes/workgroup (compile time only)
; SGPRBlocks: 0
; VGPRBlocks: 0
; NumSGPRsForWavesPerEU: 4
; NumVGPRsForWavesPerEU: 1
; AccumOffset: 4
; Occupancy: 8
; WaveLimiterHint : 0
; COMPUTE_PGM_RSRC2:SCRATCH_EN: 0
; COMPUTE_PGM_RSRC2:USER_SGPR: 6
; COMPUTE_PGM_RSRC2:TRAP_HANDLER: 0
; COMPUTE_PGM_RSRC2:TGID_X_EN: 1
; COMPUTE_PGM_RSRC2:TGID_Y_EN: 0
; COMPUTE_PGM_RSRC2:TGID_Z_EN: 0
; COMPUTE_PGM_RSRC2:TIDIG_COMP_CNT: 0
; COMPUTE_PGM_RSRC3_GFX90A:ACCUM_OFFSET: 0
; COMPUTE_PGM_RSRC3_GFX90A:TG_SPLIT: 0
	.section	.text._ZN7rocprim17ROCPRIM_400000_NS6detail17trampoline_kernelINS0_14default_configENS1_20scan_config_selectorIjEEZZNS1_9scan_implILNS1_25lookback_scan_determinismE0ELb1ELb1ES3_N6thrust23THRUST_200600_302600_NS6detail15normal_iteratorINS9_10device_ptrIjEEEESE_j11max_functorIjEjEEDaPvRmT3_T4_T5_mT6_P12ihipStream_tbENKUlT_T0_E_clISt17integral_constantIbLb1EEST_IbLb0EEEEDaSP_SQ_EUlSP_E0_NS1_11comp_targetILNS1_3genE9ELNS1_11target_archE1100ELNS1_3gpuE3ELNS1_3repE0EEENS1_30default_config_static_selectorELNS0_4arch9wavefront6targetE1EEEvT1_,"axG",@progbits,_ZN7rocprim17ROCPRIM_400000_NS6detail17trampoline_kernelINS0_14default_configENS1_20scan_config_selectorIjEEZZNS1_9scan_implILNS1_25lookback_scan_determinismE0ELb1ELb1ES3_N6thrust23THRUST_200600_302600_NS6detail15normal_iteratorINS9_10device_ptrIjEEEESE_j11max_functorIjEjEEDaPvRmT3_T4_T5_mT6_P12ihipStream_tbENKUlT_T0_E_clISt17integral_constantIbLb1EEST_IbLb0EEEEDaSP_SQ_EUlSP_E0_NS1_11comp_targetILNS1_3genE9ELNS1_11target_archE1100ELNS1_3gpuE3ELNS1_3repE0EEENS1_30default_config_static_selectorELNS0_4arch9wavefront6targetE1EEEvT1_,comdat
	.protected	_ZN7rocprim17ROCPRIM_400000_NS6detail17trampoline_kernelINS0_14default_configENS1_20scan_config_selectorIjEEZZNS1_9scan_implILNS1_25lookback_scan_determinismE0ELb1ELb1ES3_N6thrust23THRUST_200600_302600_NS6detail15normal_iteratorINS9_10device_ptrIjEEEESE_j11max_functorIjEjEEDaPvRmT3_T4_T5_mT6_P12ihipStream_tbENKUlT_T0_E_clISt17integral_constantIbLb1EEST_IbLb0EEEEDaSP_SQ_EUlSP_E0_NS1_11comp_targetILNS1_3genE9ELNS1_11target_archE1100ELNS1_3gpuE3ELNS1_3repE0EEENS1_30default_config_static_selectorELNS0_4arch9wavefront6targetE1EEEvT1_ ; -- Begin function _ZN7rocprim17ROCPRIM_400000_NS6detail17trampoline_kernelINS0_14default_configENS1_20scan_config_selectorIjEEZZNS1_9scan_implILNS1_25lookback_scan_determinismE0ELb1ELb1ES3_N6thrust23THRUST_200600_302600_NS6detail15normal_iteratorINS9_10device_ptrIjEEEESE_j11max_functorIjEjEEDaPvRmT3_T4_T5_mT6_P12ihipStream_tbENKUlT_T0_E_clISt17integral_constantIbLb1EEST_IbLb0EEEEDaSP_SQ_EUlSP_E0_NS1_11comp_targetILNS1_3genE9ELNS1_11target_archE1100ELNS1_3gpuE3ELNS1_3repE0EEENS1_30default_config_static_selectorELNS0_4arch9wavefront6targetE1EEEvT1_
	.globl	_ZN7rocprim17ROCPRIM_400000_NS6detail17trampoline_kernelINS0_14default_configENS1_20scan_config_selectorIjEEZZNS1_9scan_implILNS1_25lookback_scan_determinismE0ELb1ELb1ES3_N6thrust23THRUST_200600_302600_NS6detail15normal_iteratorINS9_10device_ptrIjEEEESE_j11max_functorIjEjEEDaPvRmT3_T4_T5_mT6_P12ihipStream_tbENKUlT_T0_E_clISt17integral_constantIbLb1EEST_IbLb0EEEEDaSP_SQ_EUlSP_E0_NS1_11comp_targetILNS1_3genE9ELNS1_11target_archE1100ELNS1_3gpuE3ELNS1_3repE0EEENS1_30default_config_static_selectorELNS0_4arch9wavefront6targetE1EEEvT1_
	.p2align	8
	.type	_ZN7rocprim17ROCPRIM_400000_NS6detail17trampoline_kernelINS0_14default_configENS1_20scan_config_selectorIjEEZZNS1_9scan_implILNS1_25lookback_scan_determinismE0ELb1ELb1ES3_N6thrust23THRUST_200600_302600_NS6detail15normal_iteratorINS9_10device_ptrIjEEEESE_j11max_functorIjEjEEDaPvRmT3_T4_T5_mT6_P12ihipStream_tbENKUlT_T0_E_clISt17integral_constantIbLb1EEST_IbLb0EEEEDaSP_SQ_EUlSP_E0_NS1_11comp_targetILNS1_3genE9ELNS1_11target_archE1100ELNS1_3gpuE3ELNS1_3repE0EEENS1_30default_config_static_selectorELNS0_4arch9wavefront6targetE1EEEvT1_,@function
_ZN7rocprim17ROCPRIM_400000_NS6detail17trampoline_kernelINS0_14default_configENS1_20scan_config_selectorIjEEZZNS1_9scan_implILNS1_25lookback_scan_determinismE0ELb1ELb1ES3_N6thrust23THRUST_200600_302600_NS6detail15normal_iteratorINS9_10device_ptrIjEEEESE_j11max_functorIjEjEEDaPvRmT3_T4_T5_mT6_P12ihipStream_tbENKUlT_T0_E_clISt17integral_constantIbLb1EEST_IbLb0EEEEDaSP_SQ_EUlSP_E0_NS1_11comp_targetILNS1_3genE9ELNS1_11target_archE1100ELNS1_3gpuE3ELNS1_3repE0EEENS1_30default_config_static_selectorELNS0_4arch9wavefront6targetE1EEEvT1_: ; @_ZN7rocprim17ROCPRIM_400000_NS6detail17trampoline_kernelINS0_14default_configENS1_20scan_config_selectorIjEEZZNS1_9scan_implILNS1_25lookback_scan_determinismE0ELb1ELb1ES3_N6thrust23THRUST_200600_302600_NS6detail15normal_iteratorINS9_10device_ptrIjEEEESE_j11max_functorIjEjEEDaPvRmT3_T4_T5_mT6_P12ihipStream_tbENKUlT_T0_E_clISt17integral_constantIbLb1EEST_IbLb0EEEEDaSP_SQ_EUlSP_E0_NS1_11comp_targetILNS1_3genE9ELNS1_11target_archE1100ELNS1_3gpuE3ELNS1_3repE0EEENS1_30default_config_static_selectorELNS0_4arch9wavefront6targetE1EEEvT1_
; %bb.0:
	.section	.rodata,"a",@progbits
	.p2align	6, 0x0
	.amdhsa_kernel _ZN7rocprim17ROCPRIM_400000_NS6detail17trampoline_kernelINS0_14default_configENS1_20scan_config_selectorIjEEZZNS1_9scan_implILNS1_25lookback_scan_determinismE0ELb1ELb1ES3_N6thrust23THRUST_200600_302600_NS6detail15normal_iteratorINS9_10device_ptrIjEEEESE_j11max_functorIjEjEEDaPvRmT3_T4_T5_mT6_P12ihipStream_tbENKUlT_T0_E_clISt17integral_constantIbLb1EEST_IbLb0EEEEDaSP_SQ_EUlSP_E0_NS1_11comp_targetILNS1_3genE9ELNS1_11target_archE1100ELNS1_3gpuE3ELNS1_3repE0EEENS1_30default_config_static_selectorELNS0_4arch9wavefront6targetE1EEEvT1_
		.amdhsa_group_segment_fixed_size 0
		.amdhsa_private_segment_fixed_size 0
		.amdhsa_kernarg_size 32
		.amdhsa_user_sgpr_count 6
		.amdhsa_user_sgpr_private_segment_buffer 1
		.amdhsa_user_sgpr_dispatch_ptr 0
		.amdhsa_user_sgpr_queue_ptr 0
		.amdhsa_user_sgpr_kernarg_segment_ptr 1
		.amdhsa_user_sgpr_dispatch_id 0
		.amdhsa_user_sgpr_flat_scratch_init 0
		.amdhsa_user_sgpr_kernarg_preload_length 0
		.amdhsa_user_sgpr_kernarg_preload_offset 0
		.amdhsa_user_sgpr_private_segment_size 0
		.amdhsa_uses_dynamic_stack 0
		.amdhsa_system_sgpr_private_segment_wavefront_offset 0
		.amdhsa_system_sgpr_workgroup_id_x 1
		.amdhsa_system_sgpr_workgroup_id_y 0
		.amdhsa_system_sgpr_workgroup_id_z 0
		.amdhsa_system_sgpr_workgroup_info 0
		.amdhsa_system_vgpr_workitem_id 0
		.amdhsa_next_free_vgpr 1
		.amdhsa_next_free_sgpr 0
		.amdhsa_accum_offset 4
		.amdhsa_reserve_vcc 0
		.amdhsa_reserve_flat_scratch 0
		.amdhsa_float_round_mode_32 0
		.amdhsa_float_round_mode_16_64 0
		.amdhsa_float_denorm_mode_32 3
		.amdhsa_float_denorm_mode_16_64 3
		.amdhsa_dx10_clamp 1
		.amdhsa_ieee_mode 1
		.amdhsa_fp16_overflow 0
		.amdhsa_tg_split 0
		.amdhsa_exception_fp_ieee_invalid_op 0
		.amdhsa_exception_fp_denorm_src 0
		.amdhsa_exception_fp_ieee_div_zero 0
		.amdhsa_exception_fp_ieee_overflow 0
		.amdhsa_exception_fp_ieee_underflow 0
		.amdhsa_exception_fp_ieee_inexact 0
		.amdhsa_exception_int_div_zero 0
	.end_amdhsa_kernel
	.section	.text._ZN7rocprim17ROCPRIM_400000_NS6detail17trampoline_kernelINS0_14default_configENS1_20scan_config_selectorIjEEZZNS1_9scan_implILNS1_25lookback_scan_determinismE0ELb1ELb1ES3_N6thrust23THRUST_200600_302600_NS6detail15normal_iteratorINS9_10device_ptrIjEEEESE_j11max_functorIjEjEEDaPvRmT3_T4_T5_mT6_P12ihipStream_tbENKUlT_T0_E_clISt17integral_constantIbLb1EEST_IbLb0EEEEDaSP_SQ_EUlSP_E0_NS1_11comp_targetILNS1_3genE9ELNS1_11target_archE1100ELNS1_3gpuE3ELNS1_3repE0EEENS1_30default_config_static_selectorELNS0_4arch9wavefront6targetE1EEEvT1_,"axG",@progbits,_ZN7rocprim17ROCPRIM_400000_NS6detail17trampoline_kernelINS0_14default_configENS1_20scan_config_selectorIjEEZZNS1_9scan_implILNS1_25lookback_scan_determinismE0ELb1ELb1ES3_N6thrust23THRUST_200600_302600_NS6detail15normal_iteratorINS9_10device_ptrIjEEEESE_j11max_functorIjEjEEDaPvRmT3_T4_T5_mT6_P12ihipStream_tbENKUlT_T0_E_clISt17integral_constantIbLb1EEST_IbLb0EEEEDaSP_SQ_EUlSP_E0_NS1_11comp_targetILNS1_3genE9ELNS1_11target_archE1100ELNS1_3gpuE3ELNS1_3repE0EEENS1_30default_config_static_selectorELNS0_4arch9wavefront6targetE1EEEvT1_,comdat
.Lfunc_end2381:
	.size	_ZN7rocprim17ROCPRIM_400000_NS6detail17trampoline_kernelINS0_14default_configENS1_20scan_config_selectorIjEEZZNS1_9scan_implILNS1_25lookback_scan_determinismE0ELb1ELb1ES3_N6thrust23THRUST_200600_302600_NS6detail15normal_iteratorINS9_10device_ptrIjEEEESE_j11max_functorIjEjEEDaPvRmT3_T4_T5_mT6_P12ihipStream_tbENKUlT_T0_E_clISt17integral_constantIbLb1EEST_IbLb0EEEEDaSP_SQ_EUlSP_E0_NS1_11comp_targetILNS1_3genE9ELNS1_11target_archE1100ELNS1_3gpuE3ELNS1_3repE0EEENS1_30default_config_static_selectorELNS0_4arch9wavefront6targetE1EEEvT1_, .Lfunc_end2381-_ZN7rocprim17ROCPRIM_400000_NS6detail17trampoline_kernelINS0_14default_configENS1_20scan_config_selectorIjEEZZNS1_9scan_implILNS1_25lookback_scan_determinismE0ELb1ELb1ES3_N6thrust23THRUST_200600_302600_NS6detail15normal_iteratorINS9_10device_ptrIjEEEESE_j11max_functorIjEjEEDaPvRmT3_T4_T5_mT6_P12ihipStream_tbENKUlT_T0_E_clISt17integral_constantIbLb1EEST_IbLb0EEEEDaSP_SQ_EUlSP_E0_NS1_11comp_targetILNS1_3genE9ELNS1_11target_archE1100ELNS1_3gpuE3ELNS1_3repE0EEENS1_30default_config_static_selectorELNS0_4arch9wavefront6targetE1EEEvT1_
                                        ; -- End function
	.section	.AMDGPU.csdata,"",@progbits
; Kernel info:
; codeLenInByte = 0
; NumSgprs: 4
; NumVgprs: 0
; NumAgprs: 0
; TotalNumVgprs: 0
; ScratchSize: 0
; MemoryBound: 0
; FloatMode: 240
; IeeeMode: 1
; LDSByteSize: 0 bytes/workgroup (compile time only)
; SGPRBlocks: 0
; VGPRBlocks: 0
; NumSGPRsForWavesPerEU: 4
; NumVGPRsForWavesPerEU: 1
; AccumOffset: 4
; Occupancy: 8
; WaveLimiterHint : 0
; COMPUTE_PGM_RSRC2:SCRATCH_EN: 0
; COMPUTE_PGM_RSRC2:USER_SGPR: 6
; COMPUTE_PGM_RSRC2:TRAP_HANDLER: 0
; COMPUTE_PGM_RSRC2:TGID_X_EN: 1
; COMPUTE_PGM_RSRC2:TGID_Y_EN: 0
; COMPUTE_PGM_RSRC2:TGID_Z_EN: 0
; COMPUTE_PGM_RSRC2:TIDIG_COMP_CNT: 0
; COMPUTE_PGM_RSRC3_GFX90A:ACCUM_OFFSET: 0
; COMPUTE_PGM_RSRC3_GFX90A:TG_SPLIT: 0
	.section	.text._ZN7rocprim17ROCPRIM_400000_NS6detail17trampoline_kernelINS0_14default_configENS1_20scan_config_selectorIjEEZZNS1_9scan_implILNS1_25lookback_scan_determinismE0ELb1ELb1ES3_N6thrust23THRUST_200600_302600_NS6detail15normal_iteratorINS9_10device_ptrIjEEEESE_j11max_functorIjEjEEDaPvRmT3_T4_T5_mT6_P12ihipStream_tbENKUlT_T0_E_clISt17integral_constantIbLb1EEST_IbLb0EEEEDaSP_SQ_EUlSP_E0_NS1_11comp_targetILNS1_3genE8ELNS1_11target_archE1030ELNS1_3gpuE2ELNS1_3repE0EEENS1_30default_config_static_selectorELNS0_4arch9wavefront6targetE1EEEvT1_,"axG",@progbits,_ZN7rocprim17ROCPRIM_400000_NS6detail17trampoline_kernelINS0_14default_configENS1_20scan_config_selectorIjEEZZNS1_9scan_implILNS1_25lookback_scan_determinismE0ELb1ELb1ES3_N6thrust23THRUST_200600_302600_NS6detail15normal_iteratorINS9_10device_ptrIjEEEESE_j11max_functorIjEjEEDaPvRmT3_T4_T5_mT6_P12ihipStream_tbENKUlT_T0_E_clISt17integral_constantIbLb1EEST_IbLb0EEEEDaSP_SQ_EUlSP_E0_NS1_11comp_targetILNS1_3genE8ELNS1_11target_archE1030ELNS1_3gpuE2ELNS1_3repE0EEENS1_30default_config_static_selectorELNS0_4arch9wavefront6targetE1EEEvT1_,comdat
	.protected	_ZN7rocprim17ROCPRIM_400000_NS6detail17trampoline_kernelINS0_14default_configENS1_20scan_config_selectorIjEEZZNS1_9scan_implILNS1_25lookback_scan_determinismE0ELb1ELb1ES3_N6thrust23THRUST_200600_302600_NS6detail15normal_iteratorINS9_10device_ptrIjEEEESE_j11max_functorIjEjEEDaPvRmT3_T4_T5_mT6_P12ihipStream_tbENKUlT_T0_E_clISt17integral_constantIbLb1EEST_IbLb0EEEEDaSP_SQ_EUlSP_E0_NS1_11comp_targetILNS1_3genE8ELNS1_11target_archE1030ELNS1_3gpuE2ELNS1_3repE0EEENS1_30default_config_static_selectorELNS0_4arch9wavefront6targetE1EEEvT1_ ; -- Begin function _ZN7rocprim17ROCPRIM_400000_NS6detail17trampoline_kernelINS0_14default_configENS1_20scan_config_selectorIjEEZZNS1_9scan_implILNS1_25lookback_scan_determinismE0ELb1ELb1ES3_N6thrust23THRUST_200600_302600_NS6detail15normal_iteratorINS9_10device_ptrIjEEEESE_j11max_functorIjEjEEDaPvRmT3_T4_T5_mT6_P12ihipStream_tbENKUlT_T0_E_clISt17integral_constantIbLb1EEST_IbLb0EEEEDaSP_SQ_EUlSP_E0_NS1_11comp_targetILNS1_3genE8ELNS1_11target_archE1030ELNS1_3gpuE2ELNS1_3repE0EEENS1_30default_config_static_selectorELNS0_4arch9wavefront6targetE1EEEvT1_
	.globl	_ZN7rocprim17ROCPRIM_400000_NS6detail17trampoline_kernelINS0_14default_configENS1_20scan_config_selectorIjEEZZNS1_9scan_implILNS1_25lookback_scan_determinismE0ELb1ELb1ES3_N6thrust23THRUST_200600_302600_NS6detail15normal_iteratorINS9_10device_ptrIjEEEESE_j11max_functorIjEjEEDaPvRmT3_T4_T5_mT6_P12ihipStream_tbENKUlT_T0_E_clISt17integral_constantIbLb1EEST_IbLb0EEEEDaSP_SQ_EUlSP_E0_NS1_11comp_targetILNS1_3genE8ELNS1_11target_archE1030ELNS1_3gpuE2ELNS1_3repE0EEENS1_30default_config_static_selectorELNS0_4arch9wavefront6targetE1EEEvT1_
	.p2align	8
	.type	_ZN7rocprim17ROCPRIM_400000_NS6detail17trampoline_kernelINS0_14default_configENS1_20scan_config_selectorIjEEZZNS1_9scan_implILNS1_25lookback_scan_determinismE0ELb1ELb1ES3_N6thrust23THRUST_200600_302600_NS6detail15normal_iteratorINS9_10device_ptrIjEEEESE_j11max_functorIjEjEEDaPvRmT3_T4_T5_mT6_P12ihipStream_tbENKUlT_T0_E_clISt17integral_constantIbLb1EEST_IbLb0EEEEDaSP_SQ_EUlSP_E0_NS1_11comp_targetILNS1_3genE8ELNS1_11target_archE1030ELNS1_3gpuE2ELNS1_3repE0EEENS1_30default_config_static_selectorELNS0_4arch9wavefront6targetE1EEEvT1_,@function
_ZN7rocprim17ROCPRIM_400000_NS6detail17trampoline_kernelINS0_14default_configENS1_20scan_config_selectorIjEEZZNS1_9scan_implILNS1_25lookback_scan_determinismE0ELb1ELb1ES3_N6thrust23THRUST_200600_302600_NS6detail15normal_iteratorINS9_10device_ptrIjEEEESE_j11max_functorIjEjEEDaPvRmT3_T4_T5_mT6_P12ihipStream_tbENKUlT_T0_E_clISt17integral_constantIbLb1EEST_IbLb0EEEEDaSP_SQ_EUlSP_E0_NS1_11comp_targetILNS1_3genE8ELNS1_11target_archE1030ELNS1_3gpuE2ELNS1_3repE0EEENS1_30default_config_static_selectorELNS0_4arch9wavefront6targetE1EEEvT1_: ; @_ZN7rocprim17ROCPRIM_400000_NS6detail17trampoline_kernelINS0_14default_configENS1_20scan_config_selectorIjEEZZNS1_9scan_implILNS1_25lookback_scan_determinismE0ELb1ELb1ES3_N6thrust23THRUST_200600_302600_NS6detail15normal_iteratorINS9_10device_ptrIjEEEESE_j11max_functorIjEjEEDaPvRmT3_T4_T5_mT6_P12ihipStream_tbENKUlT_T0_E_clISt17integral_constantIbLb1EEST_IbLb0EEEEDaSP_SQ_EUlSP_E0_NS1_11comp_targetILNS1_3genE8ELNS1_11target_archE1030ELNS1_3gpuE2ELNS1_3repE0EEENS1_30default_config_static_selectorELNS0_4arch9wavefront6targetE1EEEvT1_
; %bb.0:
	.section	.rodata,"a",@progbits
	.p2align	6, 0x0
	.amdhsa_kernel _ZN7rocprim17ROCPRIM_400000_NS6detail17trampoline_kernelINS0_14default_configENS1_20scan_config_selectorIjEEZZNS1_9scan_implILNS1_25lookback_scan_determinismE0ELb1ELb1ES3_N6thrust23THRUST_200600_302600_NS6detail15normal_iteratorINS9_10device_ptrIjEEEESE_j11max_functorIjEjEEDaPvRmT3_T4_T5_mT6_P12ihipStream_tbENKUlT_T0_E_clISt17integral_constantIbLb1EEST_IbLb0EEEEDaSP_SQ_EUlSP_E0_NS1_11comp_targetILNS1_3genE8ELNS1_11target_archE1030ELNS1_3gpuE2ELNS1_3repE0EEENS1_30default_config_static_selectorELNS0_4arch9wavefront6targetE1EEEvT1_
		.amdhsa_group_segment_fixed_size 0
		.amdhsa_private_segment_fixed_size 0
		.amdhsa_kernarg_size 32
		.amdhsa_user_sgpr_count 6
		.amdhsa_user_sgpr_private_segment_buffer 1
		.amdhsa_user_sgpr_dispatch_ptr 0
		.amdhsa_user_sgpr_queue_ptr 0
		.amdhsa_user_sgpr_kernarg_segment_ptr 1
		.amdhsa_user_sgpr_dispatch_id 0
		.amdhsa_user_sgpr_flat_scratch_init 0
		.amdhsa_user_sgpr_kernarg_preload_length 0
		.amdhsa_user_sgpr_kernarg_preload_offset 0
		.amdhsa_user_sgpr_private_segment_size 0
		.amdhsa_uses_dynamic_stack 0
		.amdhsa_system_sgpr_private_segment_wavefront_offset 0
		.amdhsa_system_sgpr_workgroup_id_x 1
		.amdhsa_system_sgpr_workgroup_id_y 0
		.amdhsa_system_sgpr_workgroup_id_z 0
		.amdhsa_system_sgpr_workgroup_info 0
		.amdhsa_system_vgpr_workitem_id 0
		.amdhsa_next_free_vgpr 1
		.amdhsa_next_free_sgpr 0
		.amdhsa_accum_offset 4
		.amdhsa_reserve_vcc 0
		.amdhsa_reserve_flat_scratch 0
		.amdhsa_float_round_mode_32 0
		.amdhsa_float_round_mode_16_64 0
		.amdhsa_float_denorm_mode_32 3
		.amdhsa_float_denorm_mode_16_64 3
		.amdhsa_dx10_clamp 1
		.amdhsa_ieee_mode 1
		.amdhsa_fp16_overflow 0
		.amdhsa_tg_split 0
		.amdhsa_exception_fp_ieee_invalid_op 0
		.amdhsa_exception_fp_denorm_src 0
		.amdhsa_exception_fp_ieee_div_zero 0
		.amdhsa_exception_fp_ieee_overflow 0
		.amdhsa_exception_fp_ieee_underflow 0
		.amdhsa_exception_fp_ieee_inexact 0
		.amdhsa_exception_int_div_zero 0
	.end_amdhsa_kernel
	.section	.text._ZN7rocprim17ROCPRIM_400000_NS6detail17trampoline_kernelINS0_14default_configENS1_20scan_config_selectorIjEEZZNS1_9scan_implILNS1_25lookback_scan_determinismE0ELb1ELb1ES3_N6thrust23THRUST_200600_302600_NS6detail15normal_iteratorINS9_10device_ptrIjEEEESE_j11max_functorIjEjEEDaPvRmT3_T4_T5_mT6_P12ihipStream_tbENKUlT_T0_E_clISt17integral_constantIbLb1EEST_IbLb0EEEEDaSP_SQ_EUlSP_E0_NS1_11comp_targetILNS1_3genE8ELNS1_11target_archE1030ELNS1_3gpuE2ELNS1_3repE0EEENS1_30default_config_static_selectorELNS0_4arch9wavefront6targetE1EEEvT1_,"axG",@progbits,_ZN7rocprim17ROCPRIM_400000_NS6detail17trampoline_kernelINS0_14default_configENS1_20scan_config_selectorIjEEZZNS1_9scan_implILNS1_25lookback_scan_determinismE0ELb1ELb1ES3_N6thrust23THRUST_200600_302600_NS6detail15normal_iteratorINS9_10device_ptrIjEEEESE_j11max_functorIjEjEEDaPvRmT3_T4_T5_mT6_P12ihipStream_tbENKUlT_T0_E_clISt17integral_constantIbLb1EEST_IbLb0EEEEDaSP_SQ_EUlSP_E0_NS1_11comp_targetILNS1_3genE8ELNS1_11target_archE1030ELNS1_3gpuE2ELNS1_3repE0EEENS1_30default_config_static_selectorELNS0_4arch9wavefront6targetE1EEEvT1_,comdat
.Lfunc_end2382:
	.size	_ZN7rocprim17ROCPRIM_400000_NS6detail17trampoline_kernelINS0_14default_configENS1_20scan_config_selectorIjEEZZNS1_9scan_implILNS1_25lookback_scan_determinismE0ELb1ELb1ES3_N6thrust23THRUST_200600_302600_NS6detail15normal_iteratorINS9_10device_ptrIjEEEESE_j11max_functorIjEjEEDaPvRmT3_T4_T5_mT6_P12ihipStream_tbENKUlT_T0_E_clISt17integral_constantIbLb1EEST_IbLb0EEEEDaSP_SQ_EUlSP_E0_NS1_11comp_targetILNS1_3genE8ELNS1_11target_archE1030ELNS1_3gpuE2ELNS1_3repE0EEENS1_30default_config_static_selectorELNS0_4arch9wavefront6targetE1EEEvT1_, .Lfunc_end2382-_ZN7rocprim17ROCPRIM_400000_NS6detail17trampoline_kernelINS0_14default_configENS1_20scan_config_selectorIjEEZZNS1_9scan_implILNS1_25lookback_scan_determinismE0ELb1ELb1ES3_N6thrust23THRUST_200600_302600_NS6detail15normal_iteratorINS9_10device_ptrIjEEEESE_j11max_functorIjEjEEDaPvRmT3_T4_T5_mT6_P12ihipStream_tbENKUlT_T0_E_clISt17integral_constantIbLb1EEST_IbLb0EEEEDaSP_SQ_EUlSP_E0_NS1_11comp_targetILNS1_3genE8ELNS1_11target_archE1030ELNS1_3gpuE2ELNS1_3repE0EEENS1_30default_config_static_selectorELNS0_4arch9wavefront6targetE1EEEvT1_
                                        ; -- End function
	.section	.AMDGPU.csdata,"",@progbits
; Kernel info:
; codeLenInByte = 0
; NumSgprs: 4
; NumVgprs: 0
; NumAgprs: 0
; TotalNumVgprs: 0
; ScratchSize: 0
; MemoryBound: 0
; FloatMode: 240
; IeeeMode: 1
; LDSByteSize: 0 bytes/workgroup (compile time only)
; SGPRBlocks: 0
; VGPRBlocks: 0
; NumSGPRsForWavesPerEU: 4
; NumVGPRsForWavesPerEU: 1
; AccumOffset: 4
; Occupancy: 8
; WaveLimiterHint : 0
; COMPUTE_PGM_RSRC2:SCRATCH_EN: 0
; COMPUTE_PGM_RSRC2:USER_SGPR: 6
; COMPUTE_PGM_RSRC2:TRAP_HANDLER: 0
; COMPUTE_PGM_RSRC2:TGID_X_EN: 1
; COMPUTE_PGM_RSRC2:TGID_Y_EN: 0
; COMPUTE_PGM_RSRC2:TGID_Z_EN: 0
; COMPUTE_PGM_RSRC2:TIDIG_COMP_CNT: 0
; COMPUTE_PGM_RSRC3_GFX90A:ACCUM_OFFSET: 0
; COMPUTE_PGM_RSRC3_GFX90A:TG_SPLIT: 0
	.section	.text._ZN7rocprim17ROCPRIM_400000_NS6detail17trampoline_kernelINS0_14default_configENS1_20scan_config_selectorIjEEZZNS1_9scan_implILNS1_25lookback_scan_determinismE0ELb1ELb1ES3_N6thrust23THRUST_200600_302600_NS6detail15normal_iteratorINS9_10device_ptrIjEEEESE_j11max_functorIjEjEEDaPvRmT3_T4_T5_mT6_P12ihipStream_tbENKUlT_T0_E_clISt17integral_constantIbLb0EEST_IbLb1EEEEDaSP_SQ_EUlSP_E_NS1_11comp_targetILNS1_3genE0ELNS1_11target_archE4294967295ELNS1_3gpuE0ELNS1_3repE0EEENS1_30default_config_static_selectorELNS0_4arch9wavefront6targetE1EEEvT1_,"axG",@progbits,_ZN7rocprim17ROCPRIM_400000_NS6detail17trampoline_kernelINS0_14default_configENS1_20scan_config_selectorIjEEZZNS1_9scan_implILNS1_25lookback_scan_determinismE0ELb1ELb1ES3_N6thrust23THRUST_200600_302600_NS6detail15normal_iteratorINS9_10device_ptrIjEEEESE_j11max_functorIjEjEEDaPvRmT3_T4_T5_mT6_P12ihipStream_tbENKUlT_T0_E_clISt17integral_constantIbLb0EEST_IbLb1EEEEDaSP_SQ_EUlSP_E_NS1_11comp_targetILNS1_3genE0ELNS1_11target_archE4294967295ELNS1_3gpuE0ELNS1_3repE0EEENS1_30default_config_static_selectorELNS0_4arch9wavefront6targetE1EEEvT1_,comdat
	.protected	_ZN7rocprim17ROCPRIM_400000_NS6detail17trampoline_kernelINS0_14default_configENS1_20scan_config_selectorIjEEZZNS1_9scan_implILNS1_25lookback_scan_determinismE0ELb1ELb1ES3_N6thrust23THRUST_200600_302600_NS6detail15normal_iteratorINS9_10device_ptrIjEEEESE_j11max_functorIjEjEEDaPvRmT3_T4_T5_mT6_P12ihipStream_tbENKUlT_T0_E_clISt17integral_constantIbLb0EEST_IbLb1EEEEDaSP_SQ_EUlSP_E_NS1_11comp_targetILNS1_3genE0ELNS1_11target_archE4294967295ELNS1_3gpuE0ELNS1_3repE0EEENS1_30default_config_static_selectorELNS0_4arch9wavefront6targetE1EEEvT1_ ; -- Begin function _ZN7rocprim17ROCPRIM_400000_NS6detail17trampoline_kernelINS0_14default_configENS1_20scan_config_selectorIjEEZZNS1_9scan_implILNS1_25lookback_scan_determinismE0ELb1ELb1ES3_N6thrust23THRUST_200600_302600_NS6detail15normal_iteratorINS9_10device_ptrIjEEEESE_j11max_functorIjEjEEDaPvRmT3_T4_T5_mT6_P12ihipStream_tbENKUlT_T0_E_clISt17integral_constantIbLb0EEST_IbLb1EEEEDaSP_SQ_EUlSP_E_NS1_11comp_targetILNS1_3genE0ELNS1_11target_archE4294967295ELNS1_3gpuE0ELNS1_3repE0EEENS1_30default_config_static_selectorELNS0_4arch9wavefront6targetE1EEEvT1_
	.globl	_ZN7rocprim17ROCPRIM_400000_NS6detail17trampoline_kernelINS0_14default_configENS1_20scan_config_selectorIjEEZZNS1_9scan_implILNS1_25lookback_scan_determinismE0ELb1ELb1ES3_N6thrust23THRUST_200600_302600_NS6detail15normal_iteratorINS9_10device_ptrIjEEEESE_j11max_functorIjEjEEDaPvRmT3_T4_T5_mT6_P12ihipStream_tbENKUlT_T0_E_clISt17integral_constantIbLb0EEST_IbLb1EEEEDaSP_SQ_EUlSP_E_NS1_11comp_targetILNS1_3genE0ELNS1_11target_archE4294967295ELNS1_3gpuE0ELNS1_3repE0EEENS1_30default_config_static_selectorELNS0_4arch9wavefront6targetE1EEEvT1_
	.p2align	8
	.type	_ZN7rocprim17ROCPRIM_400000_NS6detail17trampoline_kernelINS0_14default_configENS1_20scan_config_selectorIjEEZZNS1_9scan_implILNS1_25lookback_scan_determinismE0ELb1ELb1ES3_N6thrust23THRUST_200600_302600_NS6detail15normal_iteratorINS9_10device_ptrIjEEEESE_j11max_functorIjEjEEDaPvRmT3_T4_T5_mT6_P12ihipStream_tbENKUlT_T0_E_clISt17integral_constantIbLb0EEST_IbLb1EEEEDaSP_SQ_EUlSP_E_NS1_11comp_targetILNS1_3genE0ELNS1_11target_archE4294967295ELNS1_3gpuE0ELNS1_3repE0EEENS1_30default_config_static_selectorELNS0_4arch9wavefront6targetE1EEEvT1_,@function
_ZN7rocprim17ROCPRIM_400000_NS6detail17trampoline_kernelINS0_14default_configENS1_20scan_config_selectorIjEEZZNS1_9scan_implILNS1_25lookback_scan_determinismE0ELb1ELb1ES3_N6thrust23THRUST_200600_302600_NS6detail15normal_iteratorINS9_10device_ptrIjEEEESE_j11max_functorIjEjEEDaPvRmT3_T4_T5_mT6_P12ihipStream_tbENKUlT_T0_E_clISt17integral_constantIbLb0EEST_IbLb1EEEEDaSP_SQ_EUlSP_E_NS1_11comp_targetILNS1_3genE0ELNS1_11target_archE4294967295ELNS1_3gpuE0ELNS1_3repE0EEENS1_30default_config_static_selectorELNS0_4arch9wavefront6targetE1EEEvT1_: ; @_ZN7rocprim17ROCPRIM_400000_NS6detail17trampoline_kernelINS0_14default_configENS1_20scan_config_selectorIjEEZZNS1_9scan_implILNS1_25lookback_scan_determinismE0ELb1ELb1ES3_N6thrust23THRUST_200600_302600_NS6detail15normal_iteratorINS9_10device_ptrIjEEEESE_j11max_functorIjEjEEDaPvRmT3_T4_T5_mT6_P12ihipStream_tbENKUlT_T0_E_clISt17integral_constantIbLb0EEST_IbLb1EEEEDaSP_SQ_EUlSP_E_NS1_11comp_targetILNS1_3genE0ELNS1_11target_archE4294967295ELNS1_3gpuE0ELNS1_3repE0EEENS1_30default_config_static_selectorELNS0_4arch9wavefront6targetE1EEEvT1_
; %bb.0:
	.section	.rodata,"a",@progbits
	.p2align	6, 0x0
	.amdhsa_kernel _ZN7rocprim17ROCPRIM_400000_NS6detail17trampoline_kernelINS0_14default_configENS1_20scan_config_selectorIjEEZZNS1_9scan_implILNS1_25lookback_scan_determinismE0ELb1ELb1ES3_N6thrust23THRUST_200600_302600_NS6detail15normal_iteratorINS9_10device_ptrIjEEEESE_j11max_functorIjEjEEDaPvRmT3_T4_T5_mT6_P12ihipStream_tbENKUlT_T0_E_clISt17integral_constantIbLb0EEST_IbLb1EEEEDaSP_SQ_EUlSP_E_NS1_11comp_targetILNS1_3genE0ELNS1_11target_archE4294967295ELNS1_3gpuE0ELNS1_3repE0EEENS1_30default_config_static_selectorELNS0_4arch9wavefront6targetE1EEEvT1_
		.amdhsa_group_segment_fixed_size 0
		.amdhsa_private_segment_fixed_size 0
		.amdhsa_kernarg_size 96
		.amdhsa_user_sgpr_count 6
		.amdhsa_user_sgpr_private_segment_buffer 1
		.amdhsa_user_sgpr_dispatch_ptr 0
		.amdhsa_user_sgpr_queue_ptr 0
		.amdhsa_user_sgpr_kernarg_segment_ptr 1
		.amdhsa_user_sgpr_dispatch_id 0
		.amdhsa_user_sgpr_flat_scratch_init 0
		.amdhsa_user_sgpr_kernarg_preload_length 0
		.amdhsa_user_sgpr_kernarg_preload_offset 0
		.amdhsa_user_sgpr_private_segment_size 0
		.amdhsa_uses_dynamic_stack 0
		.amdhsa_system_sgpr_private_segment_wavefront_offset 0
		.amdhsa_system_sgpr_workgroup_id_x 1
		.amdhsa_system_sgpr_workgroup_id_y 0
		.amdhsa_system_sgpr_workgroup_id_z 0
		.amdhsa_system_sgpr_workgroup_info 0
		.amdhsa_system_vgpr_workitem_id 0
		.amdhsa_next_free_vgpr 1
		.amdhsa_next_free_sgpr 0
		.amdhsa_accum_offset 4
		.amdhsa_reserve_vcc 0
		.amdhsa_reserve_flat_scratch 0
		.amdhsa_float_round_mode_32 0
		.amdhsa_float_round_mode_16_64 0
		.amdhsa_float_denorm_mode_32 3
		.amdhsa_float_denorm_mode_16_64 3
		.amdhsa_dx10_clamp 1
		.amdhsa_ieee_mode 1
		.amdhsa_fp16_overflow 0
		.amdhsa_tg_split 0
		.amdhsa_exception_fp_ieee_invalid_op 0
		.amdhsa_exception_fp_denorm_src 0
		.amdhsa_exception_fp_ieee_div_zero 0
		.amdhsa_exception_fp_ieee_overflow 0
		.amdhsa_exception_fp_ieee_underflow 0
		.amdhsa_exception_fp_ieee_inexact 0
		.amdhsa_exception_int_div_zero 0
	.end_amdhsa_kernel
	.section	.text._ZN7rocprim17ROCPRIM_400000_NS6detail17trampoline_kernelINS0_14default_configENS1_20scan_config_selectorIjEEZZNS1_9scan_implILNS1_25lookback_scan_determinismE0ELb1ELb1ES3_N6thrust23THRUST_200600_302600_NS6detail15normal_iteratorINS9_10device_ptrIjEEEESE_j11max_functorIjEjEEDaPvRmT3_T4_T5_mT6_P12ihipStream_tbENKUlT_T0_E_clISt17integral_constantIbLb0EEST_IbLb1EEEEDaSP_SQ_EUlSP_E_NS1_11comp_targetILNS1_3genE0ELNS1_11target_archE4294967295ELNS1_3gpuE0ELNS1_3repE0EEENS1_30default_config_static_selectorELNS0_4arch9wavefront6targetE1EEEvT1_,"axG",@progbits,_ZN7rocprim17ROCPRIM_400000_NS6detail17trampoline_kernelINS0_14default_configENS1_20scan_config_selectorIjEEZZNS1_9scan_implILNS1_25lookback_scan_determinismE0ELb1ELb1ES3_N6thrust23THRUST_200600_302600_NS6detail15normal_iteratorINS9_10device_ptrIjEEEESE_j11max_functorIjEjEEDaPvRmT3_T4_T5_mT6_P12ihipStream_tbENKUlT_T0_E_clISt17integral_constantIbLb0EEST_IbLb1EEEEDaSP_SQ_EUlSP_E_NS1_11comp_targetILNS1_3genE0ELNS1_11target_archE4294967295ELNS1_3gpuE0ELNS1_3repE0EEENS1_30default_config_static_selectorELNS0_4arch9wavefront6targetE1EEEvT1_,comdat
.Lfunc_end2383:
	.size	_ZN7rocprim17ROCPRIM_400000_NS6detail17trampoline_kernelINS0_14default_configENS1_20scan_config_selectorIjEEZZNS1_9scan_implILNS1_25lookback_scan_determinismE0ELb1ELb1ES3_N6thrust23THRUST_200600_302600_NS6detail15normal_iteratorINS9_10device_ptrIjEEEESE_j11max_functorIjEjEEDaPvRmT3_T4_T5_mT6_P12ihipStream_tbENKUlT_T0_E_clISt17integral_constantIbLb0EEST_IbLb1EEEEDaSP_SQ_EUlSP_E_NS1_11comp_targetILNS1_3genE0ELNS1_11target_archE4294967295ELNS1_3gpuE0ELNS1_3repE0EEENS1_30default_config_static_selectorELNS0_4arch9wavefront6targetE1EEEvT1_, .Lfunc_end2383-_ZN7rocprim17ROCPRIM_400000_NS6detail17trampoline_kernelINS0_14default_configENS1_20scan_config_selectorIjEEZZNS1_9scan_implILNS1_25lookback_scan_determinismE0ELb1ELb1ES3_N6thrust23THRUST_200600_302600_NS6detail15normal_iteratorINS9_10device_ptrIjEEEESE_j11max_functorIjEjEEDaPvRmT3_T4_T5_mT6_P12ihipStream_tbENKUlT_T0_E_clISt17integral_constantIbLb0EEST_IbLb1EEEEDaSP_SQ_EUlSP_E_NS1_11comp_targetILNS1_3genE0ELNS1_11target_archE4294967295ELNS1_3gpuE0ELNS1_3repE0EEENS1_30default_config_static_selectorELNS0_4arch9wavefront6targetE1EEEvT1_
                                        ; -- End function
	.section	.AMDGPU.csdata,"",@progbits
; Kernel info:
; codeLenInByte = 0
; NumSgprs: 4
; NumVgprs: 0
; NumAgprs: 0
; TotalNumVgprs: 0
; ScratchSize: 0
; MemoryBound: 0
; FloatMode: 240
; IeeeMode: 1
; LDSByteSize: 0 bytes/workgroup (compile time only)
; SGPRBlocks: 0
; VGPRBlocks: 0
; NumSGPRsForWavesPerEU: 4
; NumVGPRsForWavesPerEU: 1
; AccumOffset: 4
; Occupancy: 8
; WaveLimiterHint : 0
; COMPUTE_PGM_RSRC2:SCRATCH_EN: 0
; COMPUTE_PGM_RSRC2:USER_SGPR: 6
; COMPUTE_PGM_RSRC2:TRAP_HANDLER: 0
; COMPUTE_PGM_RSRC2:TGID_X_EN: 1
; COMPUTE_PGM_RSRC2:TGID_Y_EN: 0
; COMPUTE_PGM_RSRC2:TGID_Z_EN: 0
; COMPUTE_PGM_RSRC2:TIDIG_COMP_CNT: 0
; COMPUTE_PGM_RSRC3_GFX90A:ACCUM_OFFSET: 0
; COMPUTE_PGM_RSRC3_GFX90A:TG_SPLIT: 0
	.section	.text._ZN7rocprim17ROCPRIM_400000_NS6detail17trampoline_kernelINS0_14default_configENS1_20scan_config_selectorIjEEZZNS1_9scan_implILNS1_25lookback_scan_determinismE0ELb1ELb1ES3_N6thrust23THRUST_200600_302600_NS6detail15normal_iteratorINS9_10device_ptrIjEEEESE_j11max_functorIjEjEEDaPvRmT3_T4_T5_mT6_P12ihipStream_tbENKUlT_T0_E_clISt17integral_constantIbLb0EEST_IbLb1EEEEDaSP_SQ_EUlSP_E_NS1_11comp_targetILNS1_3genE5ELNS1_11target_archE942ELNS1_3gpuE9ELNS1_3repE0EEENS1_30default_config_static_selectorELNS0_4arch9wavefront6targetE1EEEvT1_,"axG",@progbits,_ZN7rocprim17ROCPRIM_400000_NS6detail17trampoline_kernelINS0_14default_configENS1_20scan_config_selectorIjEEZZNS1_9scan_implILNS1_25lookback_scan_determinismE0ELb1ELb1ES3_N6thrust23THRUST_200600_302600_NS6detail15normal_iteratorINS9_10device_ptrIjEEEESE_j11max_functorIjEjEEDaPvRmT3_T4_T5_mT6_P12ihipStream_tbENKUlT_T0_E_clISt17integral_constantIbLb0EEST_IbLb1EEEEDaSP_SQ_EUlSP_E_NS1_11comp_targetILNS1_3genE5ELNS1_11target_archE942ELNS1_3gpuE9ELNS1_3repE0EEENS1_30default_config_static_selectorELNS0_4arch9wavefront6targetE1EEEvT1_,comdat
	.protected	_ZN7rocprim17ROCPRIM_400000_NS6detail17trampoline_kernelINS0_14default_configENS1_20scan_config_selectorIjEEZZNS1_9scan_implILNS1_25lookback_scan_determinismE0ELb1ELb1ES3_N6thrust23THRUST_200600_302600_NS6detail15normal_iteratorINS9_10device_ptrIjEEEESE_j11max_functorIjEjEEDaPvRmT3_T4_T5_mT6_P12ihipStream_tbENKUlT_T0_E_clISt17integral_constantIbLb0EEST_IbLb1EEEEDaSP_SQ_EUlSP_E_NS1_11comp_targetILNS1_3genE5ELNS1_11target_archE942ELNS1_3gpuE9ELNS1_3repE0EEENS1_30default_config_static_selectorELNS0_4arch9wavefront6targetE1EEEvT1_ ; -- Begin function _ZN7rocprim17ROCPRIM_400000_NS6detail17trampoline_kernelINS0_14default_configENS1_20scan_config_selectorIjEEZZNS1_9scan_implILNS1_25lookback_scan_determinismE0ELb1ELb1ES3_N6thrust23THRUST_200600_302600_NS6detail15normal_iteratorINS9_10device_ptrIjEEEESE_j11max_functorIjEjEEDaPvRmT3_T4_T5_mT6_P12ihipStream_tbENKUlT_T0_E_clISt17integral_constantIbLb0EEST_IbLb1EEEEDaSP_SQ_EUlSP_E_NS1_11comp_targetILNS1_3genE5ELNS1_11target_archE942ELNS1_3gpuE9ELNS1_3repE0EEENS1_30default_config_static_selectorELNS0_4arch9wavefront6targetE1EEEvT1_
	.globl	_ZN7rocprim17ROCPRIM_400000_NS6detail17trampoline_kernelINS0_14default_configENS1_20scan_config_selectorIjEEZZNS1_9scan_implILNS1_25lookback_scan_determinismE0ELb1ELb1ES3_N6thrust23THRUST_200600_302600_NS6detail15normal_iteratorINS9_10device_ptrIjEEEESE_j11max_functorIjEjEEDaPvRmT3_T4_T5_mT6_P12ihipStream_tbENKUlT_T0_E_clISt17integral_constantIbLb0EEST_IbLb1EEEEDaSP_SQ_EUlSP_E_NS1_11comp_targetILNS1_3genE5ELNS1_11target_archE942ELNS1_3gpuE9ELNS1_3repE0EEENS1_30default_config_static_selectorELNS0_4arch9wavefront6targetE1EEEvT1_
	.p2align	8
	.type	_ZN7rocprim17ROCPRIM_400000_NS6detail17trampoline_kernelINS0_14default_configENS1_20scan_config_selectorIjEEZZNS1_9scan_implILNS1_25lookback_scan_determinismE0ELb1ELb1ES3_N6thrust23THRUST_200600_302600_NS6detail15normal_iteratorINS9_10device_ptrIjEEEESE_j11max_functorIjEjEEDaPvRmT3_T4_T5_mT6_P12ihipStream_tbENKUlT_T0_E_clISt17integral_constantIbLb0EEST_IbLb1EEEEDaSP_SQ_EUlSP_E_NS1_11comp_targetILNS1_3genE5ELNS1_11target_archE942ELNS1_3gpuE9ELNS1_3repE0EEENS1_30default_config_static_selectorELNS0_4arch9wavefront6targetE1EEEvT1_,@function
_ZN7rocprim17ROCPRIM_400000_NS6detail17trampoline_kernelINS0_14default_configENS1_20scan_config_selectorIjEEZZNS1_9scan_implILNS1_25lookback_scan_determinismE0ELb1ELb1ES3_N6thrust23THRUST_200600_302600_NS6detail15normal_iteratorINS9_10device_ptrIjEEEESE_j11max_functorIjEjEEDaPvRmT3_T4_T5_mT6_P12ihipStream_tbENKUlT_T0_E_clISt17integral_constantIbLb0EEST_IbLb1EEEEDaSP_SQ_EUlSP_E_NS1_11comp_targetILNS1_3genE5ELNS1_11target_archE942ELNS1_3gpuE9ELNS1_3repE0EEENS1_30default_config_static_selectorELNS0_4arch9wavefront6targetE1EEEvT1_: ; @_ZN7rocprim17ROCPRIM_400000_NS6detail17trampoline_kernelINS0_14default_configENS1_20scan_config_selectorIjEEZZNS1_9scan_implILNS1_25lookback_scan_determinismE0ELb1ELb1ES3_N6thrust23THRUST_200600_302600_NS6detail15normal_iteratorINS9_10device_ptrIjEEEESE_j11max_functorIjEjEEDaPvRmT3_T4_T5_mT6_P12ihipStream_tbENKUlT_T0_E_clISt17integral_constantIbLb0EEST_IbLb1EEEEDaSP_SQ_EUlSP_E_NS1_11comp_targetILNS1_3genE5ELNS1_11target_archE942ELNS1_3gpuE9ELNS1_3repE0EEENS1_30default_config_static_selectorELNS0_4arch9wavefront6targetE1EEEvT1_
; %bb.0:
	.section	.rodata,"a",@progbits
	.p2align	6, 0x0
	.amdhsa_kernel _ZN7rocprim17ROCPRIM_400000_NS6detail17trampoline_kernelINS0_14default_configENS1_20scan_config_selectorIjEEZZNS1_9scan_implILNS1_25lookback_scan_determinismE0ELb1ELb1ES3_N6thrust23THRUST_200600_302600_NS6detail15normal_iteratorINS9_10device_ptrIjEEEESE_j11max_functorIjEjEEDaPvRmT3_T4_T5_mT6_P12ihipStream_tbENKUlT_T0_E_clISt17integral_constantIbLb0EEST_IbLb1EEEEDaSP_SQ_EUlSP_E_NS1_11comp_targetILNS1_3genE5ELNS1_11target_archE942ELNS1_3gpuE9ELNS1_3repE0EEENS1_30default_config_static_selectorELNS0_4arch9wavefront6targetE1EEEvT1_
		.amdhsa_group_segment_fixed_size 0
		.amdhsa_private_segment_fixed_size 0
		.amdhsa_kernarg_size 96
		.amdhsa_user_sgpr_count 6
		.amdhsa_user_sgpr_private_segment_buffer 1
		.amdhsa_user_sgpr_dispatch_ptr 0
		.amdhsa_user_sgpr_queue_ptr 0
		.amdhsa_user_sgpr_kernarg_segment_ptr 1
		.amdhsa_user_sgpr_dispatch_id 0
		.amdhsa_user_sgpr_flat_scratch_init 0
		.amdhsa_user_sgpr_kernarg_preload_length 0
		.amdhsa_user_sgpr_kernarg_preload_offset 0
		.amdhsa_user_sgpr_private_segment_size 0
		.amdhsa_uses_dynamic_stack 0
		.amdhsa_system_sgpr_private_segment_wavefront_offset 0
		.amdhsa_system_sgpr_workgroup_id_x 1
		.amdhsa_system_sgpr_workgroup_id_y 0
		.amdhsa_system_sgpr_workgroup_id_z 0
		.amdhsa_system_sgpr_workgroup_info 0
		.amdhsa_system_vgpr_workitem_id 0
		.amdhsa_next_free_vgpr 1
		.amdhsa_next_free_sgpr 0
		.amdhsa_accum_offset 4
		.amdhsa_reserve_vcc 0
		.amdhsa_reserve_flat_scratch 0
		.amdhsa_float_round_mode_32 0
		.amdhsa_float_round_mode_16_64 0
		.amdhsa_float_denorm_mode_32 3
		.amdhsa_float_denorm_mode_16_64 3
		.amdhsa_dx10_clamp 1
		.amdhsa_ieee_mode 1
		.amdhsa_fp16_overflow 0
		.amdhsa_tg_split 0
		.amdhsa_exception_fp_ieee_invalid_op 0
		.amdhsa_exception_fp_denorm_src 0
		.amdhsa_exception_fp_ieee_div_zero 0
		.amdhsa_exception_fp_ieee_overflow 0
		.amdhsa_exception_fp_ieee_underflow 0
		.amdhsa_exception_fp_ieee_inexact 0
		.amdhsa_exception_int_div_zero 0
	.end_amdhsa_kernel
	.section	.text._ZN7rocprim17ROCPRIM_400000_NS6detail17trampoline_kernelINS0_14default_configENS1_20scan_config_selectorIjEEZZNS1_9scan_implILNS1_25lookback_scan_determinismE0ELb1ELb1ES3_N6thrust23THRUST_200600_302600_NS6detail15normal_iteratorINS9_10device_ptrIjEEEESE_j11max_functorIjEjEEDaPvRmT3_T4_T5_mT6_P12ihipStream_tbENKUlT_T0_E_clISt17integral_constantIbLb0EEST_IbLb1EEEEDaSP_SQ_EUlSP_E_NS1_11comp_targetILNS1_3genE5ELNS1_11target_archE942ELNS1_3gpuE9ELNS1_3repE0EEENS1_30default_config_static_selectorELNS0_4arch9wavefront6targetE1EEEvT1_,"axG",@progbits,_ZN7rocprim17ROCPRIM_400000_NS6detail17trampoline_kernelINS0_14default_configENS1_20scan_config_selectorIjEEZZNS1_9scan_implILNS1_25lookback_scan_determinismE0ELb1ELb1ES3_N6thrust23THRUST_200600_302600_NS6detail15normal_iteratorINS9_10device_ptrIjEEEESE_j11max_functorIjEjEEDaPvRmT3_T4_T5_mT6_P12ihipStream_tbENKUlT_T0_E_clISt17integral_constantIbLb0EEST_IbLb1EEEEDaSP_SQ_EUlSP_E_NS1_11comp_targetILNS1_3genE5ELNS1_11target_archE942ELNS1_3gpuE9ELNS1_3repE0EEENS1_30default_config_static_selectorELNS0_4arch9wavefront6targetE1EEEvT1_,comdat
.Lfunc_end2384:
	.size	_ZN7rocprim17ROCPRIM_400000_NS6detail17trampoline_kernelINS0_14default_configENS1_20scan_config_selectorIjEEZZNS1_9scan_implILNS1_25lookback_scan_determinismE0ELb1ELb1ES3_N6thrust23THRUST_200600_302600_NS6detail15normal_iteratorINS9_10device_ptrIjEEEESE_j11max_functorIjEjEEDaPvRmT3_T4_T5_mT6_P12ihipStream_tbENKUlT_T0_E_clISt17integral_constantIbLb0EEST_IbLb1EEEEDaSP_SQ_EUlSP_E_NS1_11comp_targetILNS1_3genE5ELNS1_11target_archE942ELNS1_3gpuE9ELNS1_3repE0EEENS1_30default_config_static_selectorELNS0_4arch9wavefront6targetE1EEEvT1_, .Lfunc_end2384-_ZN7rocprim17ROCPRIM_400000_NS6detail17trampoline_kernelINS0_14default_configENS1_20scan_config_selectorIjEEZZNS1_9scan_implILNS1_25lookback_scan_determinismE0ELb1ELb1ES3_N6thrust23THRUST_200600_302600_NS6detail15normal_iteratorINS9_10device_ptrIjEEEESE_j11max_functorIjEjEEDaPvRmT3_T4_T5_mT6_P12ihipStream_tbENKUlT_T0_E_clISt17integral_constantIbLb0EEST_IbLb1EEEEDaSP_SQ_EUlSP_E_NS1_11comp_targetILNS1_3genE5ELNS1_11target_archE942ELNS1_3gpuE9ELNS1_3repE0EEENS1_30default_config_static_selectorELNS0_4arch9wavefront6targetE1EEEvT1_
                                        ; -- End function
	.section	.AMDGPU.csdata,"",@progbits
; Kernel info:
; codeLenInByte = 0
; NumSgprs: 4
; NumVgprs: 0
; NumAgprs: 0
; TotalNumVgprs: 0
; ScratchSize: 0
; MemoryBound: 0
; FloatMode: 240
; IeeeMode: 1
; LDSByteSize: 0 bytes/workgroup (compile time only)
; SGPRBlocks: 0
; VGPRBlocks: 0
; NumSGPRsForWavesPerEU: 4
; NumVGPRsForWavesPerEU: 1
; AccumOffset: 4
; Occupancy: 8
; WaveLimiterHint : 0
; COMPUTE_PGM_RSRC2:SCRATCH_EN: 0
; COMPUTE_PGM_RSRC2:USER_SGPR: 6
; COMPUTE_PGM_RSRC2:TRAP_HANDLER: 0
; COMPUTE_PGM_RSRC2:TGID_X_EN: 1
; COMPUTE_PGM_RSRC2:TGID_Y_EN: 0
; COMPUTE_PGM_RSRC2:TGID_Z_EN: 0
; COMPUTE_PGM_RSRC2:TIDIG_COMP_CNT: 0
; COMPUTE_PGM_RSRC3_GFX90A:ACCUM_OFFSET: 0
; COMPUTE_PGM_RSRC3_GFX90A:TG_SPLIT: 0
	.section	.text._ZN7rocprim17ROCPRIM_400000_NS6detail17trampoline_kernelINS0_14default_configENS1_20scan_config_selectorIjEEZZNS1_9scan_implILNS1_25lookback_scan_determinismE0ELb1ELb1ES3_N6thrust23THRUST_200600_302600_NS6detail15normal_iteratorINS9_10device_ptrIjEEEESE_j11max_functorIjEjEEDaPvRmT3_T4_T5_mT6_P12ihipStream_tbENKUlT_T0_E_clISt17integral_constantIbLb0EEST_IbLb1EEEEDaSP_SQ_EUlSP_E_NS1_11comp_targetILNS1_3genE4ELNS1_11target_archE910ELNS1_3gpuE8ELNS1_3repE0EEENS1_30default_config_static_selectorELNS0_4arch9wavefront6targetE1EEEvT1_,"axG",@progbits,_ZN7rocprim17ROCPRIM_400000_NS6detail17trampoline_kernelINS0_14default_configENS1_20scan_config_selectorIjEEZZNS1_9scan_implILNS1_25lookback_scan_determinismE0ELb1ELb1ES3_N6thrust23THRUST_200600_302600_NS6detail15normal_iteratorINS9_10device_ptrIjEEEESE_j11max_functorIjEjEEDaPvRmT3_T4_T5_mT6_P12ihipStream_tbENKUlT_T0_E_clISt17integral_constantIbLb0EEST_IbLb1EEEEDaSP_SQ_EUlSP_E_NS1_11comp_targetILNS1_3genE4ELNS1_11target_archE910ELNS1_3gpuE8ELNS1_3repE0EEENS1_30default_config_static_selectorELNS0_4arch9wavefront6targetE1EEEvT1_,comdat
	.protected	_ZN7rocprim17ROCPRIM_400000_NS6detail17trampoline_kernelINS0_14default_configENS1_20scan_config_selectorIjEEZZNS1_9scan_implILNS1_25lookback_scan_determinismE0ELb1ELb1ES3_N6thrust23THRUST_200600_302600_NS6detail15normal_iteratorINS9_10device_ptrIjEEEESE_j11max_functorIjEjEEDaPvRmT3_T4_T5_mT6_P12ihipStream_tbENKUlT_T0_E_clISt17integral_constantIbLb0EEST_IbLb1EEEEDaSP_SQ_EUlSP_E_NS1_11comp_targetILNS1_3genE4ELNS1_11target_archE910ELNS1_3gpuE8ELNS1_3repE0EEENS1_30default_config_static_selectorELNS0_4arch9wavefront6targetE1EEEvT1_ ; -- Begin function _ZN7rocprim17ROCPRIM_400000_NS6detail17trampoline_kernelINS0_14default_configENS1_20scan_config_selectorIjEEZZNS1_9scan_implILNS1_25lookback_scan_determinismE0ELb1ELb1ES3_N6thrust23THRUST_200600_302600_NS6detail15normal_iteratorINS9_10device_ptrIjEEEESE_j11max_functorIjEjEEDaPvRmT3_T4_T5_mT6_P12ihipStream_tbENKUlT_T0_E_clISt17integral_constantIbLb0EEST_IbLb1EEEEDaSP_SQ_EUlSP_E_NS1_11comp_targetILNS1_3genE4ELNS1_11target_archE910ELNS1_3gpuE8ELNS1_3repE0EEENS1_30default_config_static_selectorELNS0_4arch9wavefront6targetE1EEEvT1_
	.globl	_ZN7rocprim17ROCPRIM_400000_NS6detail17trampoline_kernelINS0_14default_configENS1_20scan_config_selectorIjEEZZNS1_9scan_implILNS1_25lookback_scan_determinismE0ELb1ELb1ES3_N6thrust23THRUST_200600_302600_NS6detail15normal_iteratorINS9_10device_ptrIjEEEESE_j11max_functorIjEjEEDaPvRmT3_T4_T5_mT6_P12ihipStream_tbENKUlT_T0_E_clISt17integral_constantIbLb0EEST_IbLb1EEEEDaSP_SQ_EUlSP_E_NS1_11comp_targetILNS1_3genE4ELNS1_11target_archE910ELNS1_3gpuE8ELNS1_3repE0EEENS1_30default_config_static_selectorELNS0_4arch9wavefront6targetE1EEEvT1_
	.p2align	8
	.type	_ZN7rocprim17ROCPRIM_400000_NS6detail17trampoline_kernelINS0_14default_configENS1_20scan_config_selectorIjEEZZNS1_9scan_implILNS1_25lookback_scan_determinismE0ELb1ELb1ES3_N6thrust23THRUST_200600_302600_NS6detail15normal_iteratorINS9_10device_ptrIjEEEESE_j11max_functorIjEjEEDaPvRmT3_T4_T5_mT6_P12ihipStream_tbENKUlT_T0_E_clISt17integral_constantIbLb0EEST_IbLb1EEEEDaSP_SQ_EUlSP_E_NS1_11comp_targetILNS1_3genE4ELNS1_11target_archE910ELNS1_3gpuE8ELNS1_3repE0EEENS1_30default_config_static_selectorELNS0_4arch9wavefront6targetE1EEEvT1_,@function
_ZN7rocprim17ROCPRIM_400000_NS6detail17trampoline_kernelINS0_14default_configENS1_20scan_config_selectorIjEEZZNS1_9scan_implILNS1_25lookback_scan_determinismE0ELb1ELb1ES3_N6thrust23THRUST_200600_302600_NS6detail15normal_iteratorINS9_10device_ptrIjEEEESE_j11max_functorIjEjEEDaPvRmT3_T4_T5_mT6_P12ihipStream_tbENKUlT_T0_E_clISt17integral_constantIbLb0EEST_IbLb1EEEEDaSP_SQ_EUlSP_E_NS1_11comp_targetILNS1_3genE4ELNS1_11target_archE910ELNS1_3gpuE8ELNS1_3repE0EEENS1_30default_config_static_selectorELNS0_4arch9wavefront6targetE1EEEvT1_: ; @_ZN7rocprim17ROCPRIM_400000_NS6detail17trampoline_kernelINS0_14default_configENS1_20scan_config_selectorIjEEZZNS1_9scan_implILNS1_25lookback_scan_determinismE0ELb1ELb1ES3_N6thrust23THRUST_200600_302600_NS6detail15normal_iteratorINS9_10device_ptrIjEEEESE_j11max_functorIjEjEEDaPvRmT3_T4_T5_mT6_P12ihipStream_tbENKUlT_T0_E_clISt17integral_constantIbLb0EEST_IbLb1EEEEDaSP_SQ_EUlSP_E_NS1_11comp_targetILNS1_3genE4ELNS1_11target_archE910ELNS1_3gpuE8ELNS1_3repE0EEENS1_30default_config_static_selectorELNS0_4arch9wavefront6targetE1EEEvT1_
; %bb.0:
	s_load_dword s33, s[4:5], 0x20
	s_load_dwordx2 s[6:7], s[4:5], 0x28
	v_cmp_ne_u32_e64 s[2:3], 0, v0
	v_cmp_eq_u32_e64 s[0:1], 0, v0
	s_and_saveexec_b64 s[8:9], s[0:1]
	s_cbranch_execz .LBB2385_4
; %bb.1:
	s_mov_b64 s[12:13], exec
	v_mbcnt_lo_u32_b32 v1, s12, 0
	v_mbcnt_hi_u32_b32 v1, s13, v1
	v_cmp_eq_u32_e32 vcc, 0, v1
                                        ; implicit-def: $vgpr2
	s_and_saveexec_b64 s[10:11], vcc
	s_cbranch_execz .LBB2385_3
; %bb.2:
	s_load_dwordx2 s[14:15], s[4:5], 0x58
	s_bcnt1_i32_b64 s12, s[12:13]
	v_mov_b32_e32 v2, 0
	v_mov_b32_e32 v3, s12
	s_waitcnt lgkmcnt(0)
	global_atomic_add v2, v2, v3, s[14:15] glc
.LBB2385_3:
	s_or_b64 exec, exec, s[10:11]
	s_waitcnt vmcnt(0)
	v_readfirstlane_b32 s10, v2
	v_add_u32_e32 v1, s10, v1
	v_mov_b32_e32 v2, 0
	ds_write_b32 v2, v1
.LBB2385_4:
	s_or_b64 exec, exec, s[8:9]
	s_load_dwordx8 s[16:23], s[4:5], 0x0
	s_load_dword s24, s[4:5], 0x30
	s_load_dwordx8 s[8:15], s[4:5], 0x38
	v_mov_b32_e32 v1, 0
	s_waitcnt lgkmcnt(0)
	s_barrier
	ds_read_b32 v1, v1
	s_lshl_b64 s[18:19], s[18:19], 2
	s_add_u32 s34, s16, s18
	s_addc_u32 s35, s17, s19
	s_add_i32 s16, s24, -1
	s_mul_i32 s17, s16, 0x500
	s_sub_u32 s30, s22, s17
	s_waitcnt lgkmcnt(0)
	v_readfirstlane_b32 s36, v1
	s_subb_u32 s31, s23, 0
	s_mul_i32 s4, s36, 0x500
	s_mov_b32 s5, 0
	s_cmp_lg_u32 s36, s16
	s_cselect_b64 s[16:17], -1, 0
	s_lshl_b64 s[22:23], s[4:5], 2
	s_add_u32 s24, s34, s22
	s_addc_u32 s25, s35, s23
	s_mov_b64 s[4:5], -1
	s_and_b64 vcc, exec, s[16:17]
	v_lshlrev_b32_e32 v22, 2, v0
	s_barrier
	s_cbranch_vccz .LBB2385_6
; %bb.5:
	v_mov_b32_e32 v1, s25
	v_add_co_u32_e32 v2, vcc, s24, v22
	v_addc_co_u32_e32 v3, vcc, 0, v1, vcc
	flat_load_dword v1, v[2:3]
	flat_load_dword v4, v[2:3] offset:512
	flat_load_dword v5, v[2:3] offset:1024
	;; [unrolled: 1-line block ×7, first 2 shown]
	v_add_co_u32_e32 v2, vcc, 0x1000, v2
	v_addc_co_u32_e32 v3, vcc, 0, v3, vcc
	flat_load_dword v11, v[2:3]
	flat_load_dword v12, v[2:3] offset:512
	s_mov_b64 s[4:5], 0
	s_waitcnt vmcnt(0) lgkmcnt(0)
	ds_write2st64_b32 v22, v1, v4 offset1:2
	ds_write2st64_b32 v22, v5, v6 offset0:4 offset1:6
	ds_write2st64_b32 v22, v7, v8 offset0:8 offset1:10
	;; [unrolled: 1-line block ×4, first 2 shown]
	s_waitcnt lgkmcnt(0)
	s_barrier
.LBB2385_6:
	s_andn2_b64 vcc, exec, s[4:5]
	v_cmp_gt_u32_e64 s[4:5], s30, v0
	s_cbranch_vccnz .LBB2385_28
; %bb.7:
	v_pk_mov_b32 v[2:3], s[24:25], s[24:25] op_sel:[0,1]
	flat_load_dword v1, v[2:3]
	s_waitcnt vmcnt(0) lgkmcnt(0)
	v_mov_b32_e32 v2, v1
	v_mov_b32_e32 v3, v1
	;; [unrolled: 1-line block ×9, first 2 shown]
	s_and_saveexec_b64 s[26:27], s[4:5]
	s_cbranch_execz .LBB2385_9
; %bb.8:
	v_mov_b32_e32 v11, s25
	v_add_co_u32_e32 v10, vcc, s24, v22
	v_addc_co_u32_e32 v11, vcc, 0, v11, vcc
	flat_load_dword v10, v[10:11]
.LBB2385_9:
	s_or_b64 exec, exec, s[26:27]
	v_or_b32_e32 v11, 0x80, v0
	v_cmp_gt_u32_e32 vcc, s30, v11
	s_and_saveexec_b64 s[4:5], vcc
	s_cbranch_execz .LBB2385_11
; %bb.10:
	v_mov_b32_e32 v1, s25
	v_add_co_u32_e32 v12, vcc, s24, v22
	v_addc_co_u32_e32 v13, vcc, 0, v1, vcc
	flat_load_dword v1, v[12:13] offset:512
.LBB2385_11:
	s_or_b64 exec, exec, s[4:5]
	v_or_b32_e32 v11, 0x100, v0
	v_cmp_gt_u32_e32 vcc, s30, v11
	s_and_saveexec_b64 s[4:5], vcc
	s_cbranch_execz .LBB2385_13
; %bb.12:
	v_mov_b32_e32 v2, s25
	v_add_co_u32_e32 v12, vcc, s24, v22
	v_addc_co_u32_e32 v13, vcc, 0, v2, vcc
	flat_load_dword v2, v[12:13] offset:1024
.LBB2385_13:
	;; [unrolled: 11-line block ×7, first 2 shown]
	s_or_b64 exec, exec, s[4:5]
	v_or_b32_e32 v11, 0x400, v0
	v_cmp_gt_u32_e32 vcc, s30, v11
	s_and_saveexec_b64 s[4:5], vcc
	s_cbranch_execz .LBB2385_25
; %bb.24:
	v_lshlrev_b32_e32 v8, 2, v11
	v_mov_b32_e32 v11, s25
	v_add_co_u32_e32 v12, vcc, s24, v8
	v_addc_co_u32_e32 v13, vcc, 0, v11, vcc
	flat_load_dword v8, v[12:13]
.LBB2385_25:
	s_or_b64 exec, exec, s[4:5]
	v_or_b32_e32 v11, 0x480, v0
	v_cmp_gt_u32_e32 vcc, s30, v11
	s_and_saveexec_b64 s[4:5], vcc
	s_cbranch_execz .LBB2385_27
; %bb.26:
	v_lshlrev_b32_e32 v9, 2, v11
	v_mov_b32_e32 v11, s25
	v_add_co_u32_e32 v12, vcc, s24, v9
	v_addc_co_u32_e32 v13, vcc, 0, v11, vcc
	flat_load_dword v9, v[12:13]
.LBB2385_27:
	s_or_b64 exec, exec, s[4:5]
	s_waitcnt vmcnt(0) lgkmcnt(0)
	ds_write2st64_b32 v22, v10, v1 offset1:2
	ds_write2st64_b32 v22, v2, v3 offset0:4 offset1:6
	ds_write2st64_b32 v22, v4, v5 offset0:8 offset1:10
	ds_write2st64_b32 v22, v6, v7 offset0:12 offset1:14
	ds_write2st64_b32 v22, v8, v9 offset0:16 offset1:18
	s_waitcnt lgkmcnt(0)
	s_barrier
.LBB2385_28:
	v_mul_u32_u24_e32 v23, 10, v0
	v_lshlrev_b32_e32 v24, 2, v23
	ds_read2_b64 v[16:19], v24 offset1:1
	ds_read2_b64 v[12:15], v24 offset0:2 offset1:3
	ds_read_b64 v[20:21], v24 offset:32
	s_cmp_lg_u32 s36, 0
	v_cmp_gt_u32_e32 vcc, 64, v0
	s_waitcnt lgkmcnt(2)
	v_max_u32_e32 v1, v16, v17
	v_max3_u32 v25, v1, v18, v19
	v_lshrrev_b32_e32 v1, 5, v0
	s_waitcnt lgkmcnt(0)
	s_barrier
	s_cbranch_scc0 .LBB2385_53
; %bb.29:
	v_max3_u32 v2, v25, v12, v13
	v_max3_u32 v2, v2, v14, v15
	;; [unrolled: 1-line block ×3, first 2 shown]
	v_add_lshl_u32 v2, v1, v0, 2
	ds_write_b32 v2, v26
	s_waitcnt lgkmcnt(0)
	s_barrier
	s_and_saveexec_b64 s[24:25], vcc
	s_cbranch_execz .LBB2385_31
; %bb.30:
	v_lshlrev_b32_e32 v2, 1, v0
	v_lshrrev_b32_e32 v3, 4, v0
	v_add_lshl_u32 v4, v3, v2, 2
	ds_read2_b32 v[2:3], v4 offset1:1
	v_mbcnt_lo_u32_b32 v5, -1, 0
	v_mbcnt_hi_u32_b32 v5, -1, v5
	v_and_b32_e32 v6, 15, v5
	v_cmp_eq_u32_e64 s[4:5], 0, v6
	s_waitcnt lgkmcnt(0)
	v_max_u32_e32 v3, v2, v3
	; wave barrier
	s_nop 1
	v_mov_b32_dpp v7, v3 row_shr:1 row_mask:0xf bank_mask:0xf
	v_max_u32_e32 v7, v7, v3
	v_cndmask_b32_e64 v3, v7, v3, s[4:5]
	v_cmp_lt_u32_e64 s[4:5], 1, v6
	s_nop 0
	v_mov_b32_dpp v7, v3 row_shr:2 row_mask:0xf bank_mask:0xf
	v_max_u32_e32 v7, v7, v3
	v_cndmask_b32_e64 v3, v3, v7, s[4:5]
	v_cmp_lt_u32_e64 s[4:5], 3, v6
	;; [unrolled: 5-line block ×3, first 2 shown]
	s_nop 0
	v_mov_b32_dpp v7, v3 row_shr:8 row_mask:0xf bank_mask:0xf
	v_max_u32_e32 v7, v7, v3
	v_cndmask_b32_e64 v3, v3, v7, s[4:5]
	v_and_b32_e32 v7, 16, v5
	v_cmp_eq_u32_e64 s[4:5], 0, v7
	v_mov_b32_dpp v6, v3 row_bcast:15 row_mask:0xf bank_mask:0xf
	v_max_u32_e32 v6, v6, v3
	v_cndmask_b32_e64 v3, v6, v3, s[4:5]
	v_cmp_lt_u32_e64 s[4:5], 31, v5
	v_and_b32_e32 v7, 64, v5
	v_mov_b32_dpp v6, v3 row_bcast:31 row_mask:0xf bank_mask:0xf
	v_max_u32_e32 v6, v6, v3
	v_cndmask_b32_e64 v3, v3, v6, s[4:5]
	v_add_u32_e32 v6, -1, v5
	v_cmp_lt_i32_e64 s[4:5], v6, v7
	v_cndmask_b32_e64 v5, v6, v5, s[4:5]
	v_lshlrev_b32_e32 v5, 2, v5
	ds_bpermute_b32 v3, v5, v3
	s_waitcnt lgkmcnt(0)
	v_max_u32_e32 v2, v3, v2
	v_cndmask_b32_e64 v2, v2, v26, s[0:1]
	ds_write_b32 v4, v2
	; wave barrier
	ds_read_b32 v3, v4 offset:4
	s_waitcnt lgkmcnt(0)
	v_max_u32_e32 v2, v2, v3
	ds_write_b32 v4, v2 offset:4
.LBB2385_31:
	s_or_b64 exec, exec, s[24:25]
	s_waitcnt lgkmcnt(0)
	s_barrier
	s_and_saveexec_b64 s[4:5], s[2:3]
	s_cbranch_execz .LBB2385_33
; %bb.32:
	v_add_u32_e32 v2, -1, v0
	v_lshrrev_b32_e32 v3, 5, v2
	v_add_lshl_u32 v2, v3, v2, 2
	ds_read_b32 v26, v2
.LBB2385_33:
	s_or_b64 exec, exec, s[4:5]
	s_and_saveexec_b64 s[24:25], vcc
	s_cbranch_execz .LBB2385_52
; %bb.34:
	v_mov_b32_e32 v9, 0
	ds_read_b32 v2, v9 offset:520
	v_mbcnt_lo_u32_b32 v3, -1, 0
	v_mbcnt_hi_u32_b32 v5, -1, v3
	s_mov_b32 s29, 0
	v_cmp_eq_u32_e64 s[4:5], 0, v5
	s_and_saveexec_b64 s[26:27], s[4:5]
	s_cbranch_execz .LBB2385_36
; %bb.35:
	s_add_i32 s28, s36, 64
	s_lshl_b64 s[28:29], s[28:29], 3
	s_add_u32 s28, s6, s28
	v_mov_b32_e32 v3, 1
	s_addc_u32 s29, s7, s29
	s_waitcnt lgkmcnt(0)
	global_store_dwordx2 v9, v[2:3], s[28:29]
.LBB2385_36:
	s_or_b64 exec, exec, s[26:27]
	v_xad_u32 v4, v5, -1, s36
	v_add_u32_e32 v8, 64, v4
	v_lshlrev_b64 v[6:7], 3, v[8:9]
	v_mov_b32_e32 v3, s7
	v_add_co_u32_e32 v10, vcc, s6, v6
	v_addc_co_u32_e32 v11, vcc, v3, v7, vcc
	global_load_dwordx2 v[6:7], v[10:11], off glc
	s_waitcnt vmcnt(0)
	v_cmp_eq_u16_sdwa s[28:29], v7, v9 src0_sel:BYTE_0 src1_sel:DWORD
	s_and_saveexec_b64 s[26:27], s[28:29]
	s_cbranch_execz .LBB2385_40
; %bb.37:
	s_mov_b64 s[28:29], 0
	v_mov_b32_e32 v3, 0
.LBB2385_38:                            ; =>This Inner Loop Header: Depth=1
	global_load_dwordx2 v[6:7], v[10:11], off glc
	s_waitcnt vmcnt(0)
	v_cmp_ne_u16_sdwa s[38:39], v7, v3 src0_sel:BYTE_0 src1_sel:DWORD
	s_or_b64 s[28:29], s[38:39], s[28:29]
	s_andn2_b64 exec, exec, s[28:29]
	s_cbranch_execnz .LBB2385_38
; %bb.39:
	s_or_b64 exec, exec, s[28:29]
.LBB2385_40:
	s_or_b64 exec, exec, s[26:27]
	v_and_b32_e32 v27, 63, v5
	v_cmp_ne_u32_e32 vcc, 63, v27
	v_mov_b32_e32 v3, 2
	v_addc_co_u32_e32 v28, vcc, 0, v5, vcc
	v_cmp_eq_u16_sdwa s[26:27], v7, v3 src0_sel:BYTE_0 src1_sel:DWORD
	v_lshlrev_b64 v[8:9], v5, -1
	v_lshlrev_b32_e32 v28, 2, v28
	v_and_b32_e32 v10, s27, v9
	ds_bpermute_b32 v29, v28, v6
	v_or_b32_e32 v10, 0x80000000, v10
	v_and_b32_e32 v11, s26, v8
	v_ffbl_b32_e32 v10, v10
	v_add_u32_e32 v10, 32, v10
	v_ffbl_b32_e32 v11, v11
	v_min_u32_e32 v10, v11, v10
	s_waitcnt lgkmcnt(0)
	v_max_u32_e32 v11, v29, v6
	v_cmp_lt_u32_e32 vcc, v27, v10
	v_cndmask_b32_e32 v6, v6, v11, vcc
	v_cmp_gt_u32_e32 vcc, 62, v27
	v_cndmask_b32_e64 v11, 0, 1, vcc
	v_lshlrev_b32_e32 v11, 1, v11
	v_add_lshl_u32 v29, v11, v5, 2
	ds_bpermute_b32 v11, v29, v6
	v_add_u32_e32 v30, 2, v27
	v_cmp_gt_u32_e32 vcc, v30, v10
	v_add_u32_e32 v32, 4, v27
	v_add_u32_e32 v34, 8, v27
	s_waitcnt lgkmcnt(0)
	v_max_u32_e32 v11, v11, v6
	v_cndmask_b32_e32 v6, v11, v6, vcc
	v_cmp_gt_u32_e32 vcc, 60, v27
	v_cndmask_b32_e64 v11, 0, 1, vcc
	v_lshlrev_b32_e32 v11, 2, v11
	v_add_lshl_u32 v31, v11, v5, 2
	ds_bpermute_b32 v11, v31, v6
	v_cmp_gt_u32_e32 vcc, v32, v10
	v_add_u32_e32 v37, 16, v27
	v_add_u32_e32 v39, 32, v27
	s_waitcnt lgkmcnt(0)
	v_max_u32_e32 v11, v11, v6
	v_cndmask_b32_e32 v6, v11, v6, vcc
	v_cmp_gt_u32_e32 vcc, 56, v27
	v_cndmask_b32_e64 v11, 0, 1, vcc
	v_lshlrev_b32_e32 v11, 3, v11
	v_add_lshl_u32 v33, v11, v5, 2
	ds_bpermute_b32 v11, v33, v6
	v_cmp_gt_u32_e32 vcc, v34, v10
	s_waitcnt lgkmcnt(0)
	v_max_u32_e32 v11, v11, v6
	v_cndmask_b32_e32 v6, v11, v6, vcc
	v_cmp_gt_u32_e32 vcc, 48, v27
	v_cndmask_b32_e64 v11, 0, 1, vcc
	v_lshlrev_b32_e32 v11, 4, v11
	v_add_lshl_u32 v35, v11, v5, 2
	ds_bpermute_b32 v11, v35, v6
	v_cmp_gt_u32_e32 vcc, v37, v10
	;; [unrolled: 9-line block ×3, first 2 shown]
	s_waitcnt lgkmcnt(0)
	v_max_u32_e32 v5, v5, v6
	v_cndmask_b32_e32 v6, v5, v6, vcc
	v_mov_b32_e32 v5, 0
	s_branch .LBB2385_42
.LBB2385_41:                            ;   in Loop: Header=BB2385_42 Depth=1
	s_or_b64 exec, exec, s[26:27]
	v_cmp_eq_u16_sdwa s[26:27], v7, v3 src0_sel:BYTE_0 src1_sel:DWORD
	v_and_b32_e32 v10, s27, v9
	ds_bpermute_b32 v40, v28, v6
	v_or_b32_e32 v10, 0x80000000, v10
	v_and_b32_e32 v11, s26, v8
	v_ffbl_b32_e32 v10, v10
	v_add_u32_e32 v10, 32, v10
	v_ffbl_b32_e32 v11, v11
	v_min_u32_e32 v10, v11, v10
	s_waitcnt lgkmcnt(0)
	v_max_u32_e32 v11, v40, v6
	v_cmp_lt_u32_e32 vcc, v27, v10
	v_cndmask_b32_e32 v6, v6, v11, vcc
	ds_bpermute_b32 v11, v29, v6
	v_cmp_gt_u32_e32 vcc, v30, v10
	v_subrev_u32_e32 v4, 64, v4
	s_waitcnt lgkmcnt(0)
	v_max_u32_e32 v11, v11, v6
	v_cndmask_b32_e32 v6, v11, v6, vcc
	ds_bpermute_b32 v11, v31, v6
	v_cmp_gt_u32_e32 vcc, v32, v10
	s_waitcnt lgkmcnt(0)
	v_max_u32_e32 v11, v11, v6
	v_cndmask_b32_e32 v6, v11, v6, vcc
	ds_bpermute_b32 v11, v33, v6
	v_cmp_gt_u32_e32 vcc, v34, v10
	;; [unrolled: 5-line block ×4, first 2 shown]
	s_waitcnt lgkmcnt(0)
	v_max_u32_e32 v11, v11, v6
	v_cndmask_b32_e32 v6, v11, v6, vcc
	v_max_u32_e32 v6, v6, v36
.LBB2385_42:                            ; =>This Loop Header: Depth=1
                                        ;     Child Loop BB2385_45 Depth 2
	v_cmp_ne_u16_sdwa s[26:27], v7, v3 src0_sel:BYTE_0 src1_sel:DWORD
	v_cndmask_b32_e64 v7, 0, 1, s[26:27]
	;;#ASMSTART
	;;#ASMEND
	v_cmp_ne_u32_e32 vcc, 0, v7
	s_cmp_lg_u64 vcc, exec
	v_mov_b32_e32 v36, v6
	s_cbranch_scc1 .LBB2385_47
; %bb.43:                               ;   in Loop: Header=BB2385_42 Depth=1
	v_lshlrev_b64 v[6:7], 3, v[4:5]
	v_mov_b32_e32 v11, s7
	v_add_co_u32_e32 v10, vcc, s6, v6
	v_addc_co_u32_e32 v11, vcc, v11, v7, vcc
	global_load_dwordx2 v[6:7], v[10:11], off glc
	s_waitcnt vmcnt(0)
	v_cmp_eq_u16_sdwa s[28:29], v7, v5 src0_sel:BYTE_0 src1_sel:DWORD
	s_and_saveexec_b64 s[26:27], s[28:29]
	s_cbranch_execz .LBB2385_41
; %bb.44:                               ;   in Loop: Header=BB2385_42 Depth=1
	s_mov_b64 s[28:29], 0
.LBB2385_45:                            ;   Parent Loop BB2385_42 Depth=1
                                        ; =>  This Inner Loop Header: Depth=2
	global_load_dwordx2 v[6:7], v[10:11], off glc
	s_waitcnt vmcnt(0)
	v_cmp_ne_u16_sdwa s[38:39], v7, v5 src0_sel:BYTE_0 src1_sel:DWORD
	s_or_b64 s[28:29], s[38:39], s[28:29]
	s_andn2_b64 exec, exec, s[28:29]
	s_cbranch_execnz .LBB2385_45
; %bb.46:                               ;   in Loop: Header=BB2385_42 Depth=1
	s_or_b64 exec, exec, s[28:29]
	s_branch .LBB2385_41
.LBB2385_47:                            ;   in Loop: Header=BB2385_42 Depth=1
                                        ; implicit-def: $vgpr6
                                        ; implicit-def: $vgpr7
	s_cbranch_execz .LBB2385_42
; %bb.48:
	s_and_saveexec_b64 s[26:27], s[4:5]
	s_cbranch_execz .LBB2385_50
; %bb.49:
	s_add_i32 s4, s36, 64
	s_mov_b32 s5, 0
	s_lshl_b64 s[4:5], s[4:5], 3
	s_add_u32 s4, s6, s4
	v_max_u32_e32 v2, v36, v2
	v_mov_b32_e32 v3, 2
	s_addc_u32 s5, s7, s5
	v_mov_b32_e32 v4, 0
	global_store_dwordx2 v4, v[2:3], s[4:5]
.LBB2385_50:
	s_or_b64 exec, exec, s[26:27]
	s_and_b64 exec, exec, s[0:1]
	s_cbranch_execz .LBB2385_52
; %bb.51:
	v_mov_b32_e32 v2, 0
	ds_write_b32 v2, v36
.LBB2385_52:
	s_or_b64 exec, exec, s[24:25]
	v_mov_b32_e32 v2, 0
	s_waitcnt lgkmcnt(0)
	s_barrier
	ds_read_b32 v2, v2
	s_waitcnt lgkmcnt(0)
	v_max_u32_e32 v3, v2, v26
	v_cndmask_b32_e64 v2, v3, v2, s[0:1]
	v_max_u32_e32 v3, v2, v16
	v_max_u32_e32 v4, v3, v17
	;; [unrolled: 1-line block ×9, first 2 shown]
	s_branch .LBB2385_63
.LBB2385_53:
                                        ; implicit-def: $vgpr2_vgpr3_vgpr4_vgpr5_vgpr6_vgpr7_vgpr8_vgpr9_vgpr10_vgpr11
	s_cbranch_execz .LBB2385_63
; %bb.54:
	s_cmp_eq_u64 s[12:13], 0
	v_mov_b32_e32 v26, s33
	s_cbranch_scc1 .LBB2385_56
; %bb.55:
	v_mov_b32_e32 v2, 0
	global_load_dword v4, v2, s[8:9]
	v_mov_b32_e32 v3, s35
	v_add_co_u32_e64 v2, vcc, -4, s34
	v_addc_co_u32_e32 v3, vcc, -1, v3, vcc
	flat_load_dword v2, v[2:3]
	s_waitcnt vmcnt(0) lgkmcnt(0)
	v_max_u32_e32 v26, v4, v2
.LBB2385_56:
	v_max3_u32 v2, v25, v12, v13
	v_max3_u32 v2, v2, v14, v15
	;; [unrolled: 1-line block ×3, first 2 shown]
	v_add_lshl_u32 v1, v1, v0, 2
	v_cmp_gt_u32_e32 vcc, 64, v0
	ds_write_b32 v1, v2
	s_waitcnt lgkmcnt(0)
	s_barrier
	s_and_saveexec_b64 s[4:5], vcc
	s_cbranch_execz .LBB2385_58
; %bb.57:
	v_lshlrev_b32_e32 v1, 1, v0
	v_lshrrev_b32_e32 v3, 4, v0
	v_add_lshl_u32 v1, v3, v1, 2
	ds_read2_b32 v[4:5], v1 offset1:1
	v_mbcnt_lo_u32_b32 v3, -1, 0
	v_mbcnt_hi_u32_b32 v3, -1, v3
	v_and_b32_e32 v6, 15, v3
	v_cmp_eq_u32_e32 vcc, 0, v6
	s_waitcnt lgkmcnt(0)
	v_max_u32_e32 v5, v4, v5
	; wave barrier
	s_nop 1
	v_mov_b32_dpp v7, v5 row_shr:1 row_mask:0xf bank_mask:0xf
	v_max_u32_e32 v7, v7, v5
	v_cndmask_b32_e32 v5, v7, v5, vcc
	v_cmp_lt_u32_e32 vcc, 1, v6
	s_nop 0
	v_mov_b32_dpp v7, v5 row_shr:2 row_mask:0xf bank_mask:0xf
	v_max_u32_e32 v7, v7, v5
	v_cndmask_b32_e32 v5, v5, v7, vcc
	v_cmp_lt_u32_e32 vcc, 3, v6
	;; [unrolled: 5-line block ×3, first 2 shown]
	s_nop 0
	v_mov_b32_dpp v7, v5 row_shr:8 row_mask:0xf bank_mask:0xf
	v_max_u32_e32 v7, v7, v5
	v_cndmask_b32_e32 v5, v5, v7, vcc
	v_and_b32_e32 v7, 16, v3
	v_cmp_eq_u32_e32 vcc, 0, v7
	v_mov_b32_dpp v6, v5 row_bcast:15 row_mask:0xf bank_mask:0xf
	v_max_u32_e32 v6, v6, v5
	v_cndmask_b32_e32 v5, v6, v5, vcc
	v_cmp_lt_u32_e32 vcc, 31, v3
	v_and_b32_e32 v7, 64, v3
	v_mov_b32_dpp v6, v5 row_bcast:31 row_mask:0xf bank_mask:0xf
	v_max_u32_e32 v6, v6, v5
	v_cndmask_b32_e32 v5, v5, v6, vcc
	v_add_u32_e32 v6, -1, v3
	v_cmp_lt_i32_e32 vcc, v6, v7
	v_cndmask_b32_e32 v3, v6, v3, vcc
	v_lshlrev_b32_e32 v3, 2, v3
	ds_bpermute_b32 v3, v3, v5
	s_waitcnt lgkmcnt(0)
	v_max_u32_e32 v3, v3, v4
	v_cndmask_b32_e64 v2, v3, v2, s[0:1]
	ds_write_b32 v1, v2
	; wave barrier
	ds_read_b32 v3, v1 offset:4
	s_waitcnt lgkmcnt(0)
	v_max_u32_e32 v2, v2, v3
	ds_write_b32 v1, v2 offset:4
.LBB2385_58:
	s_or_b64 exec, exec, s[4:5]
	v_mov_b32_e32 v2, v26
	s_waitcnt lgkmcnt(0)
	s_barrier
	s_and_saveexec_b64 s[4:5], s[2:3]
	s_cbranch_execz .LBB2385_60
; %bb.59:
	v_add_u32_e32 v1, -1, v0
	v_lshrrev_b32_e32 v2, 5, v1
	v_add_lshl_u32 v1, v2, v1, 2
	ds_read_b32 v1, v1
	s_waitcnt lgkmcnt(0)
	v_max_u32_e32 v2, v26, v1
.LBB2385_60:
	s_or_b64 exec, exec, s[4:5]
	v_max_u32_e32 v3, v2, v16
	v_max_u32_e32 v4, v3, v17
	v_max_u32_e32 v5, v4, v18
	v_max_u32_e32 v6, v5, v19
	v_max_u32_e32 v7, v6, v12
	v_max_u32_e32 v8, v7, v13
	v_max_u32_e32 v9, v8, v14
	v_max_u32_e32 v10, v9, v15
	v_max_u32_e32 v11, v10, v20
	s_and_saveexec_b64 s[2:3], s[0:1]
	s_cbranch_execz .LBB2385_62
; %bb.61:
	v_mov_b32_e32 v1, 0
	ds_read_b32 v12, v1 offset:520
	v_mov_b32_e32 v13, 2
	s_waitcnt lgkmcnt(0)
	v_max_u32_e32 v12, v26, v12
	global_store_dwordx2 v1, v[12:13], s[6:7] offset:512
.LBB2385_62:
	s_or_b64 exec, exec, s[2:3]
.LBB2385_63:
	s_add_u32 s0, s20, s18
	s_addc_u32 s1, s21, s19
	s_add_u32 s2, s0, s22
	s_addc_u32 s3, s1, s23
	s_mov_b64 s[0:1], -1
	s_and_b64 vcc, exec, s[16:17]
	s_barrier
	s_cbranch_vccz .LBB2385_65
; %bb.64:
	ds_write2_b64 v24, v[2:3], v[4:5] offset1:1
	ds_write2_b64 v24, v[6:7], v[8:9] offset0:2 offset1:3
	ds_write_b64 v24, v[10:11] offset:32
	s_waitcnt lgkmcnt(0)
	s_barrier
	ds_read2st64_b32 v[12:13], v22 offset1:2
	ds_read2st64_b32 v[14:15], v22 offset0:4 offset1:6
	ds_read2st64_b32 v[16:17], v22 offset0:8 offset1:10
	;; [unrolled: 1-line block ×4, first 2 shown]
	v_mov_b32_e32 v1, s3
	v_add_co_u32_e32 v26, vcc, s2, v22
	v_addc_co_u32_e32 v27, vcc, 0, v1, vcc
	s_waitcnt lgkmcnt(4)
	flat_store_dword v[26:27], v12
	flat_store_dword v[26:27], v13 offset:512
	s_waitcnt lgkmcnt(0)
	flat_store_dword v[26:27], v14 offset:1024
	flat_store_dword v[26:27], v15 offset:1536
	;; [unrolled: 1-line block ×6, first 2 shown]
	v_add_co_u32_e32 v12, vcc, 0x1000, v26
	v_addc_co_u32_e32 v13, vcc, 0, v27, vcc
	flat_store_dword v[12:13], v20
	flat_store_dword v[12:13], v21 offset:512
	s_mov_b64 s[0:1], 0
.LBB2385_65:
	s_andn2_b64 vcc, exec, s[0:1]
	s_cbranch_vccnz .LBB2385_121
; %bb.66:
	s_movk_i32 s0, 0xffdc
	ds_write2_b64 v24, v[2:3], v[4:5] offset1:1
	ds_write2_b64 v24, v[6:7], v[8:9] offset0:2 offset1:3
	ds_write_b64 v24, v[10:11] offset:32
	v_mad_i32_i24 v10, v0, s0, v24
	s_waitcnt lgkmcnt(0)
	s_barrier
	ds_read2st64_b32 v[2:3], v10 offset1:2
	ds_read2st64_b32 v[6:7], v10 offset0:4 offset1:6
	ds_read2st64_b32 v[4:5], v10 offset0:8 offset1:10
	;; [unrolled: 1-line block ×4, first 2 shown]
	v_mov_b32_e32 v13, s3
	v_add_co_u32_e32 v12, vcc, s2, v22
	v_addc_co_u32_e32 v13, vcc, 0, v13, vcc
	v_mov_b32_e32 v1, 0
	v_cmp_gt_u32_e32 vcc, s30, v0
	s_and_saveexec_b64 s[0:1], vcc
	s_cbranch_execz .LBB2385_68
; %bb.67:
	s_waitcnt lgkmcnt(0)
	flat_store_dword v[12:13], v2
.LBB2385_68:
	s_or_b64 exec, exec, s[0:1]
	v_or_b32_e32 v14, 0x80, v0
	v_cmp_gt_u32_e32 vcc, s30, v14
	s_and_saveexec_b64 s[0:1], vcc
	s_cbranch_execz .LBB2385_70
; %bb.69:
	s_waitcnt lgkmcnt(0)
	flat_store_dword v[12:13], v3 offset:512
.LBB2385_70:
	s_or_b64 exec, exec, s[0:1]
	v_or_b32_e32 v14, 0x100, v0
	v_cmp_gt_u32_e32 vcc, s30, v14
	s_and_saveexec_b64 s[0:1], vcc
	s_cbranch_execz .LBB2385_72
; %bb.71:
	s_waitcnt lgkmcnt(0)
	flat_store_dword v[12:13], v6 offset:1024
.LBB2385_72:
	;; [unrolled: 9-line block ×7, first 2 shown]
	s_or_b64 exec, exec, s[0:1]
	v_or_b32_e32 v14, 0x400, v0
	v_cmp_gt_u32_e32 vcc, s30, v14
	s_and_saveexec_b64 s[0:1], vcc
	s_cbranch_execz .LBB2385_84
; %bb.83:
	v_add_co_u32_e32 v14, vcc, 0x1000, v12
	v_addc_co_u32_e32 v15, vcc, 0, v13, vcc
	s_waitcnt lgkmcnt(0)
	flat_store_dword v[14:15], v10
.LBB2385_84:
	s_or_b64 exec, exec, s[0:1]
	v_or_b32_e32 v14, 0x480, v0
	v_cmp_gt_u32_e32 vcc, s30, v14
	s_and_saveexec_b64 s[0:1], vcc
	s_cbranch_execz .LBB2385_86
; %bb.85:
	v_add_co_u32_e32 v12, vcc, 0x1000, v12
	v_addc_co_u32_e32 v13, vcc, 0, v13, vcc
	s_waitcnt lgkmcnt(0)
	flat_store_dword v[12:13], v11 offset:512
.LBB2385_86:
	s_or_b64 exec, exec, s[0:1]
	v_cmp_lt_u64_e64 s[0:1], s[14:15], 2
	s_and_b64 vcc, exec, s[0:1]
	s_cbranch_vccnz .LBB2385_121
; %bb.87:
	s_add_u32 s0, s30, -1
	s_addc_u32 s1, s31, -1
	s_add_u32 s2, 0, 0x99986000
	s_addc_u32 s3, 0, 0x59
	s_add_i32 s3, s3, 0x19999940
	s_mul_hi_u32 s7, s2, -10
	s_sub_i32 s7, s7, s2
	s_mul_i32 s8, s3, -10
	s_mul_i32 s4, s2, -10
	s_add_i32 s7, s7, s8
	s_mul_hi_u32 s5, s3, s4
	s_mul_i32 s6, s3, s4
	s_mul_i32 s9, s2, s7
	s_mul_hi_u32 s4, s2, s4
	s_mul_hi_u32 s8, s2, s7
	s_add_u32 s4, s4, s9
	s_addc_u32 s8, 0, s8
	s_add_u32 s4, s4, s6
	s_mul_hi_u32 s9, s3, s7
	s_addc_u32 s4, s8, s5
	s_addc_u32 s5, s9, 0
	s_mul_i32 s6, s3, s7
	s_add_u32 s4, s4, s6
	v_mov_b32_e32 v12, s4
	s_addc_u32 s5, 0, s5
	v_add_co_u32_e32 v12, vcc, s2, v12
	s_cmp_lg_u64 vcc, 0
	s_addc_u32 s2, s3, s5
	v_readfirstlane_b32 s5, v12
	s_mul_i32 s4, s0, s2
	s_mul_hi_u32 s6, s0, s5
	s_mul_hi_u32 s3, s0, s2
	s_add_u32 s4, s6, s4
	s_addc_u32 s3, 0, s3
	s_mul_hi_u32 s7, s1, s5
	s_mul_i32 s5, s1, s5
	s_add_u32 s4, s4, s5
	s_mul_hi_u32 s6, s1, s2
	s_addc_u32 s3, s3, s7
	s_addc_u32 s4, s6, 0
	s_mul_i32 s2, s1, s2
	s_add_u32 s2, s3, s2
	s_addc_u32 s3, 0, s4
	s_add_u32 s4, s2, 1
	s_addc_u32 s5, s3, 0
	s_add_u32 s6, s2, 2
	s_mul_i32 s8, s3, 10
	s_mul_hi_u32 s9, s2, 10
	s_addc_u32 s7, s3, 0
	s_add_i32 s9, s9, s8
	s_mul_i32 s8, s2, 10
	v_mov_b32_e32 v12, s8
	v_sub_co_u32_e32 v12, vcc, s0, v12
	s_cmp_lg_u64 vcc, 0
	s_subb_u32 s8, s1, s9
	v_subrev_co_u32_e32 v13, vcc, 10, v12
	s_cmp_lg_u64 vcc, 0
	s_subb_u32 s9, s8, 0
	v_readfirstlane_b32 s12, v13
	s_cmp_gt_u32 s12, 9
	s_cselect_b32 s12, -1, 0
	s_cmp_eq_u32 s9, 0
	s_cselect_b32 s9, s12, -1
	s_cmp_lg_u32 s9, 0
	s_cselect_b32 s4, s6, s4
	v_readfirstlane_b32 s6, v12
	s_cselect_b32 s5, s7, s5
	s_cmp_gt_u32 s6, 9
	s_cselect_b32 s6, -1, 0
	s_cmp_eq_u32 s8, 0
	s_cselect_b32 s6, s6, -1
	s_cmp_lg_u32 s6, 0
	s_cselect_b32 s3, s5, s3
	s_cselect_b32 s2, s4, s2
	v_cmp_eq_u64_e32 vcc, s[2:3], v[0:1]
	s_and_saveexec_b64 s[2:3], vcc
	s_cbranch_execz .LBB2385_121
; %bb.88:
	v_mul_hi_u32_u24_e32 v1, 10, v0
	v_mov_b32_e32 v12, s1
	v_sub_co_u32_e32 v0, vcc, s0, v23
	v_subb_co_u32_e32 v1, vcc, v12, v1, vcc
	v_cmp_lt_i64_e32 vcc, 4, v[0:1]
	s_and_saveexec_b64 s[0:1], vcc
	s_xor_b64 s[0:1], exec, s[0:1]
	s_cbranch_execz .LBB2385_106
; %bb.89:
	v_cmp_lt_i64_e32 vcc, 6, v[0:1]
	s_and_saveexec_b64 s[2:3], vcc
	s_xor_b64 s[2:3], exec, s[2:3]
	s_cbranch_execz .LBB2385_99
; %bb.90:
	;; [unrolled: 5-line block ×4, first 2 shown]
	v_mov_b32_e32 v0, 0
	s_waitcnt lgkmcnt(0)
	global_store_dword v0, v11, s[10:11]
                                        ; implicit-def: $vgpr10_vgpr11
.LBB2385_93:
	s_andn2_saveexec_b64 s[6:7], s[6:7]
	s_cbranch_execz .LBB2385_95
; %bb.94:
	v_mov_b32_e32 v0, 0
	s_waitcnt lgkmcnt(0)
	global_store_dword v0, v10, s[10:11]
.LBB2385_95:
	s_or_b64 exec, exec, s[6:7]
                                        ; implicit-def: $vgpr8_vgpr9
.LBB2385_96:
	s_andn2_saveexec_b64 s[4:5], s[4:5]
	s_cbranch_execz .LBB2385_98
; %bb.97:
	v_mov_b32_e32 v0, 0
	s_waitcnt lgkmcnt(0)
	global_store_dword v0, v9, s[10:11]
.LBB2385_98:
	s_or_b64 exec, exec, s[4:5]
                                        ; implicit-def: $vgpr4_vgpr5
                                        ; implicit-def: $vgpr0_vgpr1
                                        ; implicit-def: $vgpr8_vgpr9
.LBB2385_99:
	s_andn2_saveexec_b64 s[2:3], s[2:3]
	s_cbranch_execz .LBB2385_105
; %bb.100:
	v_cmp_lt_i64_e32 vcc, 5, v[0:1]
	s_and_saveexec_b64 s[4:5], vcc
	s_xor_b64 s[4:5], exec, s[4:5]
	s_cbranch_execz .LBB2385_102
; %bb.101:
	v_mov_b32_e32 v0, 0
	s_waitcnt lgkmcnt(0)
	global_store_dword v0, v8, s[10:11]
                                        ; implicit-def: $vgpr4_vgpr5
.LBB2385_102:
	s_andn2_saveexec_b64 s[4:5], s[4:5]
	s_cbranch_execz .LBB2385_104
; %bb.103:
	v_mov_b32_e32 v0, 0
	s_waitcnt lgkmcnt(0)
	global_store_dword v0, v5, s[10:11]
.LBB2385_104:
	s_or_b64 exec, exec, s[4:5]
.LBB2385_105:
	s_or_b64 exec, exec, s[2:3]
                                        ; implicit-def: $vgpr0_vgpr1
                                        ; implicit-def: $vgpr6_vgpr7
                                        ; implicit-def: $vgpr2_vgpr3
                                        ; implicit-def: $vgpr4_vgpr5
.LBB2385_106:
	s_andn2_saveexec_b64 s[0:1], s[0:1]
	s_cbranch_execz .LBB2385_121
; %bb.107:
	v_cmp_lt_i64_e32 vcc, 2, v[0:1]
	s_and_saveexec_b64 s[0:1], vcc
	s_xor_b64 s[0:1], exec, s[0:1]
	s_cbranch_execz .LBB2385_113
; %bb.108:
	v_cmp_lt_i64_e32 vcc, 3, v[0:1]
	s_and_saveexec_b64 s[2:3], vcc
	s_xor_b64 s[2:3], exec, s[2:3]
	s_cbranch_execz .LBB2385_110
; %bb.109:
	v_mov_b32_e32 v0, 0
	s_waitcnt lgkmcnt(0)
	global_store_dword v0, v4, s[10:11]
                                        ; implicit-def: $vgpr6_vgpr7
.LBB2385_110:
	s_andn2_saveexec_b64 s[2:3], s[2:3]
	s_cbranch_execz .LBB2385_112
; %bb.111:
	v_mov_b32_e32 v0, 0
	s_waitcnt lgkmcnt(0)
	global_store_dword v0, v7, s[10:11]
.LBB2385_112:
	s_or_b64 exec, exec, s[2:3]
                                        ; implicit-def: $vgpr0_vgpr1
                                        ; implicit-def: $vgpr6_vgpr7
                                        ; implicit-def: $vgpr2_vgpr3
.LBB2385_113:
	s_andn2_saveexec_b64 s[0:1], s[0:1]
	s_cbranch_execz .LBB2385_121
; %bb.114:
	v_cmp_lt_i64_e32 vcc, 1, v[0:1]
	s_and_saveexec_b64 s[0:1], vcc
	s_xor_b64 s[0:1], exec, s[0:1]
	s_cbranch_execz .LBB2385_116
; %bb.115:
	v_mov_b32_e32 v0, 0
	s_waitcnt lgkmcnt(0)
	global_store_dword v0, v6, s[10:11]
                                        ; implicit-def: $vgpr2_vgpr3
                                        ; implicit-def: $vgpr0_vgpr1
.LBB2385_116:
	s_andn2_saveexec_b64 s[0:1], s[0:1]
	s_cbranch_execz .LBB2385_121
; %bb.117:
	v_cmp_ne_u64_e32 vcc, 1, v[0:1]
	s_and_saveexec_b64 s[0:1], vcc
	s_xor_b64 s[0:1], exec, s[0:1]
	s_cbranch_execz .LBB2385_119
; %bb.118:
	v_mov_b32_e32 v0, 0
	s_waitcnt lgkmcnt(0)
	global_store_dword v0, v2, s[10:11]
                                        ; implicit-def: $vgpr2_vgpr3
.LBB2385_119:
	s_andn2_saveexec_b64 s[0:1], s[0:1]
	s_cbranch_execz .LBB2385_121
; %bb.120:
	v_mov_b32_e32 v0, 0
	s_waitcnt lgkmcnt(0)
	global_store_dword v0, v3, s[10:11]
.LBB2385_121:
	s_endpgm
	.section	.rodata,"a",@progbits
	.p2align	6, 0x0
	.amdhsa_kernel _ZN7rocprim17ROCPRIM_400000_NS6detail17trampoline_kernelINS0_14default_configENS1_20scan_config_selectorIjEEZZNS1_9scan_implILNS1_25lookback_scan_determinismE0ELb1ELb1ES3_N6thrust23THRUST_200600_302600_NS6detail15normal_iteratorINS9_10device_ptrIjEEEESE_j11max_functorIjEjEEDaPvRmT3_T4_T5_mT6_P12ihipStream_tbENKUlT_T0_E_clISt17integral_constantIbLb0EEST_IbLb1EEEEDaSP_SQ_EUlSP_E_NS1_11comp_targetILNS1_3genE4ELNS1_11target_archE910ELNS1_3gpuE8ELNS1_3repE0EEENS1_30default_config_static_selectorELNS0_4arch9wavefront6targetE1EEEvT1_
		.amdhsa_group_segment_fixed_size 5120
		.amdhsa_private_segment_fixed_size 0
		.amdhsa_kernarg_size 96
		.amdhsa_user_sgpr_count 6
		.amdhsa_user_sgpr_private_segment_buffer 1
		.amdhsa_user_sgpr_dispatch_ptr 0
		.amdhsa_user_sgpr_queue_ptr 0
		.amdhsa_user_sgpr_kernarg_segment_ptr 1
		.amdhsa_user_sgpr_dispatch_id 0
		.amdhsa_user_sgpr_flat_scratch_init 0
		.amdhsa_user_sgpr_kernarg_preload_length 0
		.amdhsa_user_sgpr_kernarg_preload_offset 0
		.amdhsa_user_sgpr_private_segment_size 0
		.amdhsa_uses_dynamic_stack 0
		.amdhsa_system_sgpr_private_segment_wavefront_offset 0
		.amdhsa_system_sgpr_workgroup_id_x 1
		.amdhsa_system_sgpr_workgroup_id_y 0
		.amdhsa_system_sgpr_workgroup_id_z 0
		.amdhsa_system_sgpr_workgroup_info 0
		.amdhsa_system_vgpr_workitem_id 0
		.amdhsa_next_free_vgpr 41
		.amdhsa_next_free_sgpr 40
		.amdhsa_accum_offset 44
		.amdhsa_reserve_vcc 1
		.amdhsa_reserve_flat_scratch 0
		.amdhsa_float_round_mode_32 0
		.amdhsa_float_round_mode_16_64 0
		.amdhsa_float_denorm_mode_32 3
		.amdhsa_float_denorm_mode_16_64 3
		.amdhsa_dx10_clamp 1
		.amdhsa_ieee_mode 1
		.amdhsa_fp16_overflow 0
		.amdhsa_tg_split 0
		.amdhsa_exception_fp_ieee_invalid_op 0
		.amdhsa_exception_fp_denorm_src 0
		.amdhsa_exception_fp_ieee_div_zero 0
		.amdhsa_exception_fp_ieee_overflow 0
		.amdhsa_exception_fp_ieee_underflow 0
		.amdhsa_exception_fp_ieee_inexact 0
		.amdhsa_exception_int_div_zero 0
	.end_amdhsa_kernel
	.section	.text._ZN7rocprim17ROCPRIM_400000_NS6detail17trampoline_kernelINS0_14default_configENS1_20scan_config_selectorIjEEZZNS1_9scan_implILNS1_25lookback_scan_determinismE0ELb1ELb1ES3_N6thrust23THRUST_200600_302600_NS6detail15normal_iteratorINS9_10device_ptrIjEEEESE_j11max_functorIjEjEEDaPvRmT3_T4_T5_mT6_P12ihipStream_tbENKUlT_T0_E_clISt17integral_constantIbLb0EEST_IbLb1EEEEDaSP_SQ_EUlSP_E_NS1_11comp_targetILNS1_3genE4ELNS1_11target_archE910ELNS1_3gpuE8ELNS1_3repE0EEENS1_30default_config_static_selectorELNS0_4arch9wavefront6targetE1EEEvT1_,"axG",@progbits,_ZN7rocprim17ROCPRIM_400000_NS6detail17trampoline_kernelINS0_14default_configENS1_20scan_config_selectorIjEEZZNS1_9scan_implILNS1_25lookback_scan_determinismE0ELb1ELb1ES3_N6thrust23THRUST_200600_302600_NS6detail15normal_iteratorINS9_10device_ptrIjEEEESE_j11max_functorIjEjEEDaPvRmT3_T4_T5_mT6_P12ihipStream_tbENKUlT_T0_E_clISt17integral_constantIbLb0EEST_IbLb1EEEEDaSP_SQ_EUlSP_E_NS1_11comp_targetILNS1_3genE4ELNS1_11target_archE910ELNS1_3gpuE8ELNS1_3repE0EEENS1_30default_config_static_selectorELNS0_4arch9wavefront6targetE1EEEvT1_,comdat
.Lfunc_end2385:
	.size	_ZN7rocprim17ROCPRIM_400000_NS6detail17trampoline_kernelINS0_14default_configENS1_20scan_config_selectorIjEEZZNS1_9scan_implILNS1_25lookback_scan_determinismE0ELb1ELb1ES3_N6thrust23THRUST_200600_302600_NS6detail15normal_iteratorINS9_10device_ptrIjEEEESE_j11max_functorIjEjEEDaPvRmT3_T4_T5_mT6_P12ihipStream_tbENKUlT_T0_E_clISt17integral_constantIbLb0EEST_IbLb1EEEEDaSP_SQ_EUlSP_E_NS1_11comp_targetILNS1_3genE4ELNS1_11target_archE910ELNS1_3gpuE8ELNS1_3repE0EEENS1_30default_config_static_selectorELNS0_4arch9wavefront6targetE1EEEvT1_, .Lfunc_end2385-_ZN7rocprim17ROCPRIM_400000_NS6detail17trampoline_kernelINS0_14default_configENS1_20scan_config_selectorIjEEZZNS1_9scan_implILNS1_25lookback_scan_determinismE0ELb1ELb1ES3_N6thrust23THRUST_200600_302600_NS6detail15normal_iteratorINS9_10device_ptrIjEEEESE_j11max_functorIjEjEEDaPvRmT3_T4_T5_mT6_P12ihipStream_tbENKUlT_T0_E_clISt17integral_constantIbLb0EEST_IbLb1EEEEDaSP_SQ_EUlSP_E_NS1_11comp_targetILNS1_3genE4ELNS1_11target_archE910ELNS1_3gpuE8ELNS1_3repE0EEENS1_30default_config_static_selectorELNS0_4arch9wavefront6targetE1EEEvT1_
                                        ; -- End function
	.section	.AMDGPU.csdata,"",@progbits
; Kernel info:
; codeLenInByte = 4512
; NumSgprs: 44
; NumVgprs: 41
; NumAgprs: 0
; TotalNumVgprs: 41
; ScratchSize: 0
; MemoryBound: 0
; FloatMode: 240
; IeeeMode: 1
; LDSByteSize: 5120 bytes/workgroup (compile time only)
; SGPRBlocks: 5
; VGPRBlocks: 5
; NumSGPRsForWavesPerEU: 44
; NumVGPRsForWavesPerEU: 41
; AccumOffset: 44
; Occupancy: 6
; WaveLimiterHint : 1
; COMPUTE_PGM_RSRC2:SCRATCH_EN: 0
; COMPUTE_PGM_RSRC2:USER_SGPR: 6
; COMPUTE_PGM_RSRC2:TRAP_HANDLER: 0
; COMPUTE_PGM_RSRC2:TGID_X_EN: 1
; COMPUTE_PGM_RSRC2:TGID_Y_EN: 0
; COMPUTE_PGM_RSRC2:TGID_Z_EN: 0
; COMPUTE_PGM_RSRC2:TIDIG_COMP_CNT: 0
; COMPUTE_PGM_RSRC3_GFX90A:ACCUM_OFFSET: 10
; COMPUTE_PGM_RSRC3_GFX90A:TG_SPLIT: 0
	.section	.text._ZN7rocprim17ROCPRIM_400000_NS6detail17trampoline_kernelINS0_14default_configENS1_20scan_config_selectorIjEEZZNS1_9scan_implILNS1_25lookback_scan_determinismE0ELb1ELb1ES3_N6thrust23THRUST_200600_302600_NS6detail15normal_iteratorINS9_10device_ptrIjEEEESE_j11max_functorIjEjEEDaPvRmT3_T4_T5_mT6_P12ihipStream_tbENKUlT_T0_E_clISt17integral_constantIbLb0EEST_IbLb1EEEEDaSP_SQ_EUlSP_E_NS1_11comp_targetILNS1_3genE3ELNS1_11target_archE908ELNS1_3gpuE7ELNS1_3repE0EEENS1_30default_config_static_selectorELNS0_4arch9wavefront6targetE1EEEvT1_,"axG",@progbits,_ZN7rocprim17ROCPRIM_400000_NS6detail17trampoline_kernelINS0_14default_configENS1_20scan_config_selectorIjEEZZNS1_9scan_implILNS1_25lookback_scan_determinismE0ELb1ELb1ES3_N6thrust23THRUST_200600_302600_NS6detail15normal_iteratorINS9_10device_ptrIjEEEESE_j11max_functorIjEjEEDaPvRmT3_T4_T5_mT6_P12ihipStream_tbENKUlT_T0_E_clISt17integral_constantIbLb0EEST_IbLb1EEEEDaSP_SQ_EUlSP_E_NS1_11comp_targetILNS1_3genE3ELNS1_11target_archE908ELNS1_3gpuE7ELNS1_3repE0EEENS1_30default_config_static_selectorELNS0_4arch9wavefront6targetE1EEEvT1_,comdat
	.protected	_ZN7rocprim17ROCPRIM_400000_NS6detail17trampoline_kernelINS0_14default_configENS1_20scan_config_selectorIjEEZZNS1_9scan_implILNS1_25lookback_scan_determinismE0ELb1ELb1ES3_N6thrust23THRUST_200600_302600_NS6detail15normal_iteratorINS9_10device_ptrIjEEEESE_j11max_functorIjEjEEDaPvRmT3_T4_T5_mT6_P12ihipStream_tbENKUlT_T0_E_clISt17integral_constantIbLb0EEST_IbLb1EEEEDaSP_SQ_EUlSP_E_NS1_11comp_targetILNS1_3genE3ELNS1_11target_archE908ELNS1_3gpuE7ELNS1_3repE0EEENS1_30default_config_static_selectorELNS0_4arch9wavefront6targetE1EEEvT1_ ; -- Begin function _ZN7rocprim17ROCPRIM_400000_NS6detail17trampoline_kernelINS0_14default_configENS1_20scan_config_selectorIjEEZZNS1_9scan_implILNS1_25lookback_scan_determinismE0ELb1ELb1ES3_N6thrust23THRUST_200600_302600_NS6detail15normal_iteratorINS9_10device_ptrIjEEEESE_j11max_functorIjEjEEDaPvRmT3_T4_T5_mT6_P12ihipStream_tbENKUlT_T0_E_clISt17integral_constantIbLb0EEST_IbLb1EEEEDaSP_SQ_EUlSP_E_NS1_11comp_targetILNS1_3genE3ELNS1_11target_archE908ELNS1_3gpuE7ELNS1_3repE0EEENS1_30default_config_static_selectorELNS0_4arch9wavefront6targetE1EEEvT1_
	.globl	_ZN7rocprim17ROCPRIM_400000_NS6detail17trampoline_kernelINS0_14default_configENS1_20scan_config_selectorIjEEZZNS1_9scan_implILNS1_25lookback_scan_determinismE0ELb1ELb1ES3_N6thrust23THRUST_200600_302600_NS6detail15normal_iteratorINS9_10device_ptrIjEEEESE_j11max_functorIjEjEEDaPvRmT3_T4_T5_mT6_P12ihipStream_tbENKUlT_T0_E_clISt17integral_constantIbLb0EEST_IbLb1EEEEDaSP_SQ_EUlSP_E_NS1_11comp_targetILNS1_3genE3ELNS1_11target_archE908ELNS1_3gpuE7ELNS1_3repE0EEENS1_30default_config_static_selectorELNS0_4arch9wavefront6targetE1EEEvT1_
	.p2align	8
	.type	_ZN7rocprim17ROCPRIM_400000_NS6detail17trampoline_kernelINS0_14default_configENS1_20scan_config_selectorIjEEZZNS1_9scan_implILNS1_25lookback_scan_determinismE0ELb1ELb1ES3_N6thrust23THRUST_200600_302600_NS6detail15normal_iteratorINS9_10device_ptrIjEEEESE_j11max_functorIjEjEEDaPvRmT3_T4_T5_mT6_P12ihipStream_tbENKUlT_T0_E_clISt17integral_constantIbLb0EEST_IbLb1EEEEDaSP_SQ_EUlSP_E_NS1_11comp_targetILNS1_3genE3ELNS1_11target_archE908ELNS1_3gpuE7ELNS1_3repE0EEENS1_30default_config_static_selectorELNS0_4arch9wavefront6targetE1EEEvT1_,@function
_ZN7rocprim17ROCPRIM_400000_NS6detail17trampoline_kernelINS0_14default_configENS1_20scan_config_selectorIjEEZZNS1_9scan_implILNS1_25lookback_scan_determinismE0ELb1ELb1ES3_N6thrust23THRUST_200600_302600_NS6detail15normal_iteratorINS9_10device_ptrIjEEEESE_j11max_functorIjEjEEDaPvRmT3_T4_T5_mT6_P12ihipStream_tbENKUlT_T0_E_clISt17integral_constantIbLb0EEST_IbLb1EEEEDaSP_SQ_EUlSP_E_NS1_11comp_targetILNS1_3genE3ELNS1_11target_archE908ELNS1_3gpuE7ELNS1_3repE0EEENS1_30default_config_static_selectorELNS0_4arch9wavefront6targetE1EEEvT1_: ; @_ZN7rocprim17ROCPRIM_400000_NS6detail17trampoline_kernelINS0_14default_configENS1_20scan_config_selectorIjEEZZNS1_9scan_implILNS1_25lookback_scan_determinismE0ELb1ELb1ES3_N6thrust23THRUST_200600_302600_NS6detail15normal_iteratorINS9_10device_ptrIjEEEESE_j11max_functorIjEjEEDaPvRmT3_T4_T5_mT6_P12ihipStream_tbENKUlT_T0_E_clISt17integral_constantIbLb0EEST_IbLb1EEEEDaSP_SQ_EUlSP_E_NS1_11comp_targetILNS1_3genE3ELNS1_11target_archE908ELNS1_3gpuE7ELNS1_3repE0EEENS1_30default_config_static_selectorELNS0_4arch9wavefront6targetE1EEEvT1_
; %bb.0:
	.section	.rodata,"a",@progbits
	.p2align	6, 0x0
	.amdhsa_kernel _ZN7rocprim17ROCPRIM_400000_NS6detail17trampoline_kernelINS0_14default_configENS1_20scan_config_selectorIjEEZZNS1_9scan_implILNS1_25lookback_scan_determinismE0ELb1ELb1ES3_N6thrust23THRUST_200600_302600_NS6detail15normal_iteratorINS9_10device_ptrIjEEEESE_j11max_functorIjEjEEDaPvRmT3_T4_T5_mT6_P12ihipStream_tbENKUlT_T0_E_clISt17integral_constantIbLb0EEST_IbLb1EEEEDaSP_SQ_EUlSP_E_NS1_11comp_targetILNS1_3genE3ELNS1_11target_archE908ELNS1_3gpuE7ELNS1_3repE0EEENS1_30default_config_static_selectorELNS0_4arch9wavefront6targetE1EEEvT1_
		.amdhsa_group_segment_fixed_size 0
		.amdhsa_private_segment_fixed_size 0
		.amdhsa_kernarg_size 96
		.amdhsa_user_sgpr_count 6
		.amdhsa_user_sgpr_private_segment_buffer 1
		.amdhsa_user_sgpr_dispatch_ptr 0
		.amdhsa_user_sgpr_queue_ptr 0
		.amdhsa_user_sgpr_kernarg_segment_ptr 1
		.amdhsa_user_sgpr_dispatch_id 0
		.amdhsa_user_sgpr_flat_scratch_init 0
		.amdhsa_user_sgpr_kernarg_preload_length 0
		.amdhsa_user_sgpr_kernarg_preload_offset 0
		.amdhsa_user_sgpr_private_segment_size 0
		.amdhsa_uses_dynamic_stack 0
		.amdhsa_system_sgpr_private_segment_wavefront_offset 0
		.amdhsa_system_sgpr_workgroup_id_x 1
		.amdhsa_system_sgpr_workgroup_id_y 0
		.amdhsa_system_sgpr_workgroup_id_z 0
		.amdhsa_system_sgpr_workgroup_info 0
		.amdhsa_system_vgpr_workitem_id 0
		.amdhsa_next_free_vgpr 1
		.amdhsa_next_free_sgpr 0
		.amdhsa_accum_offset 4
		.amdhsa_reserve_vcc 0
		.amdhsa_reserve_flat_scratch 0
		.amdhsa_float_round_mode_32 0
		.amdhsa_float_round_mode_16_64 0
		.amdhsa_float_denorm_mode_32 3
		.amdhsa_float_denorm_mode_16_64 3
		.amdhsa_dx10_clamp 1
		.amdhsa_ieee_mode 1
		.amdhsa_fp16_overflow 0
		.amdhsa_tg_split 0
		.amdhsa_exception_fp_ieee_invalid_op 0
		.amdhsa_exception_fp_denorm_src 0
		.amdhsa_exception_fp_ieee_div_zero 0
		.amdhsa_exception_fp_ieee_overflow 0
		.amdhsa_exception_fp_ieee_underflow 0
		.amdhsa_exception_fp_ieee_inexact 0
		.amdhsa_exception_int_div_zero 0
	.end_amdhsa_kernel
	.section	.text._ZN7rocprim17ROCPRIM_400000_NS6detail17trampoline_kernelINS0_14default_configENS1_20scan_config_selectorIjEEZZNS1_9scan_implILNS1_25lookback_scan_determinismE0ELb1ELb1ES3_N6thrust23THRUST_200600_302600_NS6detail15normal_iteratorINS9_10device_ptrIjEEEESE_j11max_functorIjEjEEDaPvRmT3_T4_T5_mT6_P12ihipStream_tbENKUlT_T0_E_clISt17integral_constantIbLb0EEST_IbLb1EEEEDaSP_SQ_EUlSP_E_NS1_11comp_targetILNS1_3genE3ELNS1_11target_archE908ELNS1_3gpuE7ELNS1_3repE0EEENS1_30default_config_static_selectorELNS0_4arch9wavefront6targetE1EEEvT1_,"axG",@progbits,_ZN7rocprim17ROCPRIM_400000_NS6detail17trampoline_kernelINS0_14default_configENS1_20scan_config_selectorIjEEZZNS1_9scan_implILNS1_25lookback_scan_determinismE0ELb1ELb1ES3_N6thrust23THRUST_200600_302600_NS6detail15normal_iteratorINS9_10device_ptrIjEEEESE_j11max_functorIjEjEEDaPvRmT3_T4_T5_mT6_P12ihipStream_tbENKUlT_T0_E_clISt17integral_constantIbLb0EEST_IbLb1EEEEDaSP_SQ_EUlSP_E_NS1_11comp_targetILNS1_3genE3ELNS1_11target_archE908ELNS1_3gpuE7ELNS1_3repE0EEENS1_30default_config_static_selectorELNS0_4arch9wavefront6targetE1EEEvT1_,comdat
.Lfunc_end2386:
	.size	_ZN7rocprim17ROCPRIM_400000_NS6detail17trampoline_kernelINS0_14default_configENS1_20scan_config_selectorIjEEZZNS1_9scan_implILNS1_25lookback_scan_determinismE0ELb1ELb1ES3_N6thrust23THRUST_200600_302600_NS6detail15normal_iteratorINS9_10device_ptrIjEEEESE_j11max_functorIjEjEEDaPvRmT3_T4_T5_mT6_P12ihipStream_tbENKUlT_T0_E_clISt17integral_constantIbLb0EEST_IbLb1EEEEDaSP_SQ_EUlSP_E_NS1_11comp_targetILNS1_3genE3ELNS1_11target_archE908ELNS1_3gpuE7ELNS1_3repE0EEENS1_30default_config_static_selectorELNS0_4arch9wavefront6targetE1EEEvT1_, .Lfunc_end2386-_ZN7rocprim17ROCPRIM_400000_NS6detail17trampoline_kernelINS0_14default_configENS1_20scan_config_selectorIjEEZZNS1_9scan_implILNS1_25lookback_scan_determinismE0ELb1ELb1ES3_N6thrust23THRUST_200600_302600_NS6detail15normal_iteratorINS9_10device_ptrIjEEEESE_j11max_functorIjEjEEDaPvRmT3_T4_T5_mT6_P12ihipStream_tbENKUlT_T0_E_clISt17integral_constantIbLb0EEST_IbLb1EEEEDaSP_SQ_EUlSP_E_NS1_11comp_targetILNS1_3genE3ELNS1_11target_archE908ELNS1_3gpuE7ELNS1_3repE0EEENS1_30default_config_static_selectorELNS0_4arch9wavefront6targetE1EEEvT1_
                                        ; -- End function
	.section	.AMDGPU.csdata,"",@progbits
; Kernel info:
; codeLenInByte = 0
; NumSgprs: 4
; NumVgprs: 0
; NumAgprs: 0
; TotalNumVgprs: 0
; ScratchSize: 0
; MemoryBound: 0
; FloatMode: 240
; IeeeMode: 1
; LDSByteSize: 0 bytes/workgroup (compile time only)
; SGPRBlocks: 0
; VGPRBlocks: 0
; NumSGPRsForWavesPerEU: 4
; NumVGPRsForWavesPerEU: 1
; AccumOffset: 4
; Occupancy: 8
; WaveLimiterHint : 0
; COMPUTE_PGM_RSRC2:SCRATCH_EN: 0
; COMPUTE_PGM_RSRC2:USER_SGPR: 6
; COMPUTE_PGM_RSRC2:TRAP_HANDLER: 0
; COMPUTE_PGM_RSRC2:TGID_X_EN: 1
; COMPUTE_PGM_RSRC2:TGID_Y_EN: 0
; COMPUTE_PGM_RSRC2:TGID_Z_EN: 0
; COMPUTE_PGM_RSRC2:TIDIG_COMP_CNT: 0
; COMPUTE_PGM_RSRC3_GFX90A:ACCUM_OFFSET: 0
; COMPUTE_PGM_RSRC3_GFX90A:TG_SPLIT: 0
	.section	.text._ZN7rocprim17ROCPRIM_400000_NS6detail17trampoline_kernelINS0_14default_configENS1_20scan_config_selectorIjEEZZNS1_9scan_implILNS1_25lookback_scan_determinismE0ELb1ELb1ES3_N6thrust23THRUST_200600_302600_NS6detail15normal_iteratorINS9_10device_ptrIjEEEESE_j11max_functorIjEjEEDaPvRmT3_T4_T5_mT6_P12ihipStream_tbENKUlT_T0_E_clISt17integral_constantIbLb0EEST_IbLb1EEEEDaSP_SQ_EUlSP_E_NS1_11comp_targetILNS1_3genE2ELNS1_11target_archE906ELNS1_3gpuE6ELNS1_3repE0EEENS1_30default_config_static_selectorELNS0_4arch9wavefront6targetE1EEEvT1_,"axG",@progbits,_ZN7rocprim17ROCPRIM_400000_NS6detail17trampoline_kernelINS0_14default_configENS1_20scan_config_selectorIjEEZZNS1_9scan_implILNS1_25lookback_scan_determinismE0ELb1ELb1ES3_N6thrust23THRUST_200600_302600_NS6detail15normal_iteratorINS9_10device_ptrIjEEEESE_j11max_functorIjEjEEDaPvRmT3_T4_T5_mT6_P12ihipStream_tbENKUlT_T0_E_clISt17integral_constantIbLb0EEST_IbLb1EEEEDaSP_SQ_EUlSP_E_NS1_11comp_targetILNS1_3genE2ELNS1_11target_archE906ELNS1_3gpuE6ELNS1_3repE0EEENS1_30default_config_static_selectorELNS0_4arch9wavefront6targetE1EEEvT1_,comdat
	.protected	_ZN7rocprim17ROCPRIM_400000_NS6detail17trampoline_kernelINS0_14default_configENS1_20scan_config_selectorIjEEZZNS1_9scan_implILNS1_25lookback_scan_determinismE0ELb1ELb1ES3_N6thrust23THRUST_200600_302600_NS6detail15normal_iteratorINS9_10device_ptrIjEEEESE_j11max_functorIjEjEEDaPvRmT3_T4_T5_mT6_P12ihipStream_tbENKUlT_T0_E_clISt17integral_constantIbLb0EEST_IbLb1EEEEDaSP_SQ_EUlSP_E_NS1_11comp_targetILNS1_3genE2ELNS1_11target_archE906ELNS1_3gpuE6ELNS1_3repE0EEENS1_30default_config_static_selectorELNS0_4arch9wavefront6targetE1EEEvT1_ ; -- Begin function _ZN7rocprim17ROCPRIM_400000_NS6detail17trampoline_kernelINS0_14default_configENS1_20scan_config_selectorIjEEZZNS1_9scan_implILNS1_25lookback_scan_determinismE0ELb1ELb1ES3_N6thrust23THRUST_200600_302600_NS6detail15normal_iteratorINS9_10device_ptrIjEEEESE_j11max_functorIjEjEEDaPvRmT3_T4_T5_mT6_P12ihipStream_tbENKUlT_T0_E_clISt17integral_constantIbLb0EEST_IbLb1EEEEDaSP_SQ_EUlSP_E_NS1_11comp_targetILNS1_3genE2ELNS1_11target_archE906ELNS1_3gpuE6ELNS1_3repE0EEENS1_30default_config_static_selectorELNS0_4arch9wavefront6targetE1EEEvT1_
	.globl	_ZN7rocprim17ROCPRIM_400000_NS6detail17trampoline_kernelINS0_14default_configENS1_20scan_config_selectorIjEEZZNS1_9scan_implILNS1_25lookback_scan_determinismE0ELb1ELb1ES3_N6thrust23THRUST_200600_302600_NS6detail15normal_iteratorINS9_10device_ptrIjEEEESE_j11max_functorIjEjEEDaPvRmT3_T4_T5_mT6_P12ihipStream_tbENKUlT_T0_E_clISt17integral_constantIbLb0EEST_IbLb1EEEEDaSP_SQ_EUlSP_E_NS1_11comp_targetILNS1_3genE2ELNS1_11target_archE906ELNS1_3gpuE6ELNS1_3repE0EEENS1_30default_config_static_selectorELNS0_4arch9wavefront6targetE1EEEvT1_
	.p2align	8
	.type	_ZN7rocprim17ROCPRIM_400000_NS6detail17trampoline_kernelINS0_14default_configENS1_20scan_config_selectorIjEEZZNS1_9scan_implILNS1_25lookback_scan_determinismE0ELb1ELb1ES3_N6thrust23THRUST_200600_302600_NS6detail15normal_iteratorINS9_10device_ptrIjEEEESE_j11max_functorIjEjEEDaPvRmT3_T4_T5_mT6_P12ihipStream_tbENKUlT_T0_E_clISt17integral_constantIbLb0EEST_IbLb1EEEEDaSP_SQ_EUlSP_E_NS1_11comp_targetILNS1_3genE2ELNS1_11target_archE906ELNS1_3gpuE6ELNS1_3repE0EEENS1_30default_config_static_selectorELNS0_4arch9wavefront6targetE1EEEvT1_,@function
_ZN7rocprim17ROCPRIM_400000_NS6detail17trampoline_kernelINS0_14default_configENS1_20scan_config_selectorIjEEZZNS1_9scan_implILNS1_25lookback_scan_determinismE0ELb1ELb1ES3_N6thrust23THRUST_200600_302600_NS6detail15normal_iteratorINS9_10device_ptrIjEEEESE_j11max_functorIjEjEEDaPvRmT3_T4_T5_mT6_P12ihipStream_tbENKUlT_T0_E_clISt17integral_constantIbLb0EEST_IbLb1EEEEDaSP_SQ_EUlSP_E_NS1_11comp_targetILNS1_3genE2ELNS1_11target_archE906ELNS1_3gpuE6ELNS1_3repE0EEENS1_30default_config_static_selectorELNS0_4arch9wavefront6targetE1EEEvT1_: ; @_ZN7rocprim17ROCPRIM_400000_NS6detail17trampoline_kernelINS0_14default_configENS1_20scan_config_selectorIjEEZZNS1_9scan_implILNS1_25lookback_scan_determinismE0ELb1ELb1ES3_N6thrust23THRUST_200600_302600_NS6detail15normal_iteratorINS9_10device_ptrIjEEEESE_j11max_functorIjEjEEDaPvRmT3_T4_T5_mT6_P12ihipStream_tbENKUlT_T0_E_clISt17integral_constantIbLb0EEST_IbLb1EEEEDaSP_SQ_EUlSP_E_NS1_11comp_targetILNS1_3genE2ELNS1_11target_archE906ELNS1_3gpuE6ELNS1_3repE0EEENS1_30default_config_static_selectorELNS0_4arch9wavefront6targetE1EEEvT1_
; %bb.0:
	.section	.rodata,"a",@progbits
	.p2align	6, 0x0
	.amdhsa_kernel _ZN7rocprim17ROCPRIM_400000_NS6detail17trampoline_kernelINS0_14default_configENS1_20scan_config_selectorIjEEZZNS1_9scan_implILNS1_25lookback_scan_determinismE0ELb1ELb1ES3_N6thrust23THRUST_200600_302600_NS6detail15normal_iteratorINS9_10device_ptrIjEEEESE_j11max_functorIjEjEEDaPvRmT3_T4_T5_mT6_P12ihipStream_tbENKUlT_T0_E_clISt17integral_constantIbLb0EEST_IbLb1EEEEDaSP_SQ_EUlSP_E_NS1_11comp_targetILNS1_3genE2ELNS1_11target_archE906ELNS1_3gpuE6ELNS1_3repE0EEENS1_30default_config_static_selectorELNS0_4arch9wavefront6targetE1EEEvT1_
		.amdhsa_group_segment_fixed_size 0
		.amdhsa_private_segment_fixed_size 0
		.amdhsa_kernarg_size 96
		.amdhsa_user_sgpr_count 6
		.amdhsa_user_sgpr_private_segment_buffer 1
		.amdhsa_user_sgpr_dispatch_ptr 0
		.amdhsa_user_sgpr_queue_ptr 0
		.amdhsa_user_sgpr_kernarg_segment_ptr 1
		.amdhsa_user_sgpr_dispatch_id 0
		.amdhsa_user_sgpr_flat_scratch_init 0
		.amdhsa_user_sgpr_kernarg_preload_length 0
		.amdhsa_user_sgpr_kernarg_preload_offset 0
		.amdhsa_user_sgpr_private_segment_size 0
		.amdhsa_uses_dynamic_stack 0
		.amdhsa_system_sgpr_private_segment_wavefront_offset 0
		.amdhsa_system_sgpr_workgroup_id_x 1
		.amdhsa_system_sgpr_workgroup_id_y 0
		.amdhsa_system_sgpr_workgroup_id_z 0
		.amdhsa_system_sgpr_workgroup_info 0
		.amdhsa_system_vgpr_workitem_id 0
		.amdhsa_next_free_vgpr 1
		.amdhsa_next_free_sgpr 0
		.amdhsa_accum_offset 4
		.amdhsa_reserve_vcc 0
		.amdhsa_reserve_flat_scratch 0
		.amdhsa_float_round_mode_32 0
		.amdhsa_float_round_mode_16_64 0
		.amdhsa_float_denorm_mode_32 3
		.amdhsa_float_denorm_mode_16_64 3
		.amdhsa_dx10_clamp 1
		.amdhsa_ieee_mode 1
		.amdhsa_fp16_overflow 0
		.amdhsa_tg_split 0
		.amdhsa_exception_fp_ieee_invalid_op 0
		.amdhsa_exception_fp_denorm_src 0
		.amdhsa_exception_fp_ieee_div_zero 0
		.amdhsa_exception_fp_ieee_overflow 0
		.amdhsa_exception_fp_ieee_underflow 0
		.amdhsa_exception_fp_ieee_inexact 0
		.amdhsa_exception_int_div_zero 0
	.end_amdhsa_kernel
	.section	.text._ZN7rocprim17ROCPRIM_400000_NS6detail17trampoline_kernelINS0_14default_configENS1_20scan_config_selectorIjEEZZNS1_9scan_implILNS1_25lookback_scan_determinismE0ELb1ELb1ES3_N6thrust23THRUST_200600_302600_NS6detail15normal_iteratorINS9_10device_ptrIjEEEESE_j11max_functorIjEjEEDaPvRmT3_T4_T5_mT6_P12ihipStream_tbENKUlT_T0_E_clISt17integral_constantIbLb0EEST_IbLb1EEEEDaSP_SQ_EUlSP_E_NS1_11comp_targetILNS1_3genE2ELNS1_11target_archE906ELNS1_3gpuE6ELNS1_3repE0EEENS1_30default_config_static_selectorELNS0_4arch9wavefront6targetE1EEEvT1_,"axG",@progbits,_ZN7rocprim17ROCPRIM_400000_NS6detail17trampoline_kernelINS0_14default_configENS1_20scan_config_selectorIjEEZZNS1_9scan_implILNS1_25lookback_scan_determinismE0ELb1ELb1ES3_N6thrust23THRUST_200600_302600_NS6detail15normal_iteratorINS9_10device_ptrIjEEEESE_j11max_functorIjEjEEDaPvRmT3_T4_T5_mT6_P12ihipStream_tbENKUlT_T0_E_clISt17integral_constantIbLb0EEST_IbLb1EEEEDaSP_SQ_EUlSP_E_NS1_11comp_targetILNS1_3genE2ELNS1_11target_archE906ELNS1_3gpuE6ELNS1_3repE0EEENS1_30default_config_static_selectorELNS0_4arch9wavefront6targetE1EEEvT1_,comdat
.Lfunc_end2387:
	.size	_ZN7rocprim17ROCPRIM_400000_NS6detail17trampoline_kernelINS0_14default_configENS1_20scan_config_selectorIjEEZZNS1_9scan_implILNS1_25lookback_scan_determinismE0ELb1ELb1ES3_N6thrust23THRUST_200600_302600_NS6detail15normal_iteratorINS9_10device_ptrIjEEEESE_j11max_functorIjEjEEDaPvRmT3_T4_T5_mT6_P12ihipStream_tbENKUlT_T0_E_clISt17integral_constantIbLb0EEST_IbLb1EEEEDaSP_SQ_EUlSP_E_NS1_11comp_targetILNS1_3genE2ELNS1_11target_archE906ELNS1_3gpuE6ELNS1_3repE0EEENS1_30default_config_static_selectorELNS0_4arch9wavefront6targetE1EEEvT1_, .Lfunc_end2387-_ZN7rocprim17ROCPRIM_400000_NS6detail17trampoline_kernelINS0_14default_configENS1_20scan_config_selectorIjEEZZNS1_9scan_implILNS1_25lookback_scan_determinismE0ELb1ELb1ES3_N6thrust23THRUST_200600_302600_NS6detail15normal_iteratorINS9_10device_ptrIjEEEESE_j11max_functorIjEjEEDaPvRmT3_T4_T5_mT6_P12ihipStream_tbENKUlT_T0_E_clISt17integral_constantIbLb0EEST_IbLb1EEEEDaSP_SQ_EUlSP_E_NS1_11comp_targetILNS1_3genE2ELNS1_11target_archE906ELNS1_3gpuE6ELNS1_3repE0EEENS1_30default_config_static_selectorELNS0_4arch9wavefront6targetE1EEEvT1_
                                        ; -- End function
	.section	.AMDGPU.csdata,"",@progbits
; Kernel info:
; codeLenInByte = 0
; NumSgprs: 4
; NumVgprs: 0
; NumAgprs: 0
; TotalNumVgprs: 0
; ScratchSize: 0
; MemoryBound: 0
; FloatMode: 240
; IeeeMode: 1
; LDSByteSize: 0 bytes/workgroup (compile time only)
; SGPRBlocks: 0
; VGPRBlocks: 0
; NumSGPRsForWavesPerEU: 4
; NumVGPRsForWavesPerEU: 1
; AccumOffset: 4
; Occupancy: 8
; WaveLimiterHint : 0
; COMPUTE_PGM_RSRC2:SCRATCH_EN: 0
; COMPUTE_PGM_RSRC2:USER_SGPR: 6
; COMPUTE_PGM_RSRC2:TRAP_HANDLER: 0
; COMPUTE_PGM_RSRC2:TGID_X_EN: 1
; COMPUTE_PGM_RSRC2:TGID_Y_EN: 0
; COMPUTE_PGM_RSRC2:TGID_Z_EN: 0
; COMPUTE_PGM_RSRC2:TIDIG_COMP_CNT: 0
; COMPUTE_PGM_RSRC3_GFX90A:ACCUM_OFFSET: 0
; COMPUTE_PGM_RSRC3_GFX90A:TG_SPLIT: 0
	.section	.text._ZN7rocprim17ROCPRIM_400000_NS6detail17trampoline_kernelINS0_14default_configENS1_20scan_config_selectorIjEEZZNS1_9scan_implILNS1_25lookback_scan_determinismE0ELb1ELb1ES3_N6thrust23THRUST_200600_302600_NS6detail15normal_iteratorINS9_10device_ptrIjEEEESE_j11max_functorIjEjEEDaPvRmT3_T4_T5_mT6_P12ihipStream_tbENKUlT_T0_E_clISt17integral_constantIbLb0EEST_IbLb1EEEEDaSP_SQ_EUlSP_E_NS1_11comp_targetILNS1_3genE10ELNS1_11target_archE1201ELNS1_3gpuE5ELNS1_3repE0EEENS1_30default_config_static_selectorELNS0_4arch9wavefront6targetE1EEEvT1_,"axG",@progbits,_ZN7rocprim17ROCPRIM_400000_NS6detail17trampoline_kernelINS0_14default_configENS1_20scan_config_selectorIjEEZZNS1_9scan_implILNS1_25lookback_scan_determinismE0ELb1ELb1ES3_N6thrust23THRUST_200600_302600_NS6detail15normal_iteratorINS9_10device_ptrIjEEEESE_j11max_functorIjEjEEDaPvRmT3_T4_T5_mT6_P12ihipStream_tbENKUlT_T0_E_clISt17integral_constantIbLb0EEST_IbLb1EEEEDaSP_SQ_EUlSP_E_NS1_11comp_targetILNS1_3genE10ELNS1_11target_archE1201ELNS1_3gpuE5ELNS1_3repE0EEENS1_30default_config_static_selectorELNS0_4arch9wavefront6targetE1EEEvT1_,comdat
	.protected	_ZN7rocprim17ROCPRIM_400000_NS6detail17trampoline_kernelINS0_14default_configENS1_20scan_config_selectorIjEEZZNS1_9scan_implILNS1_25lookback_scan_determinismE0ELb1ELb1ES3_N6thrust23THRUST_200600_302600_NS6detail15normal_iteratorINS9_10device_ptrIjEEEESE_j11max_functorIjEjEEDaPvRmT3_T4_T5_mT6_P12ihipStream_tbENKUlT_T0_E_clISt17integral_constantIbLb0EEST_IbLb1EEEEDaSP_SQ_EUlSP_E_NS1_11comp_targetILNS1_3genE10ELNS1_11target_archE1201ELNS1_3gpuE5ELNS1_3repE0EEENS1_30default_config_static_selectorELNS0_4arch9wavefront6targetE1EEEvT1_ ; -- Begin function _ZN7rocprim17ROCPRIM_400000_NS6detail17trampoline_kernelINS0_14default_configENS1_20scan_config_selectorIjEEZZNS1_9scan_implILNS1_25lookback_scan_determinismE0ELb1ELb1ES3_N6thrust23THRUST_200600_302600_NS6detail15normal_iteratorINS9_10device_ptrIjEEEESE_j11max_functorIjEjEEDaPvRmT3_T4_T5_mT6_P12ihipStream_tbENKUlT_T0_E_clISt17integral_constantIbLb0EEST_IbLb1EEEEDaSP_SQ_EUlSP_E_NS1_11comp_targetILNS1_3genE10ELNS1_11target_archE1201ELNS1_3gpuE5ELNS1_3repE0EEENS1_30default_config_static_selectorELNS0_4arch9wavefront6targetE1EEEvT1_
	.globl	_ZN7rocprim17ROCPRIM_400000_NS6detail17trampoline_kernelINS0_14default_configENS1_20scan_config_selectorIjEEZZNS1_9scan_implILNS1_25lookback_scan_determinismE0ELb1ELb1ES3_N6thrust23THRUST_200600_302600_NS6detail15normal_iteratorINS9_10device_ptrIjEEEESE_j11max_functorIjEjEEDaPvRmT3_T4_T5_mT6_P12ihipStream_tbENKUlT_T0_E_clISt17integral_constantIbLb0EEST_IbLb1EEEEDaSP_SQ_EUlSP_E_NS1_11comp_targetILNS1_3genE10ELNS1_11target_archE1201ELNS1_3gpuE5ELNS1_3repE0EEENS1_30default_config_static_selectorELNS0_4arch9wavefront6targetE1EEEvT1_
	.p2align	8
	.type	_ZN7rocprim17ROCPRIM_400000_NS6detail17trampoline_kernelINS0_14default_configENS1_20scan_config_selectorIjEEZZNS1_9scan_implILNS1_25lookback_scan_determinismE0ELb1ELb1ES3_N6thrust23THRUST_200600_302600_NS6detail15normal_iteratorINS9_10device_ptrIjEEEESE_j11max_functorIjEjEEDaPvRmT3_T4_T5_mT6_P12ihipStream_tbENKUlT_T0_E_clISt17integral_constantIbLb0EEST_IbLb1EEEEDaSP_SQ_EUlSP_E_NS1_11comp_targetILNS1_3genE10ELNS1_11target_archE1201ELNS1_3gpuE5ELNS1_3repE0EEENS1_30default_config_static_selectorELNS0_4arch9wavefront6targetE1EEEvT1_,@function
_ZN7rocprim17ROCPRIM_400000_NS6detail17trampoline_kernelINS0_14default_configENS1_20scan_config_selectorIjEEZZNS1_9scan_implILNS1_25lookback_scan_determinismE0ELb1ELb1ES3_N6thrust23THRUST_200600_302600_NS6detail15normal_iteratorINS9_10device_ptrIjEEEESE_j11max_functorIjEjEEDaPvRmT3_T4_T5_mT6_P12ihipStream_tbENKUlT_T0_E_clISt17integral_constantIbLb0EEST_IbLb1EEEEDaSP_SQ_EUlSP_E_NS1_11comp_targetILNS1_3genE10ELNS1_11target_archE1201ELNS1_3gpuE5ELNS1_3repE0EEENS1_30default_config_static_selectorELNS0_4arch9wavefront6targetE1EEEvT1_: ; @_ZN7rocprim17ROCPRIM_400000_NS6detail17trampoline_kernelINS0_14default_configENS1_20scan_config_selectorIjEEZZNS1_9scan_implILNS1_25lookback_scan_determinismE0ELb1ELb1ES3_N6thrust23THRUST_200600_302600_NS6detail15normal_iteratorINS9_10device_ptrIjEEEESE_j11max_functorIjEjEEDaPvRmT3_T4_T5_mT6_P12ihipStream_tbENKUlT_T0_E_clISt17integral_constantIbLb0EEST_IbLb1EEEEDaSP_SQ_EUlSP_E_NS1_11comp_targetILNS1_3genE10ELNS1_11target_archE1201ELNS1_3gpuE5ELNS1_3repE0EEENS1_30default_config_static_selectorELNS0_4arch9wavefront6targetE1EEEvT1_
; %bb.0:
	.section	.rodata,"a",@progbits
	.p2align	6, 0x0
	.amdhsa_kernel _ZN7rocprim17ROCPRIM_400000_NS6detail17trampoline_kernelINS0_14default_configENS1_20scan_config_selectorIjEEZZNS1_9scan_implILNS1_25lookback_scan_determinismE0ELb1ELb1ES3_N6thrust23THRUST_200600_302600_NS6detail15normal_iteratorINS9_10device_ptrIjEEEESE_j11max_functorIjEjEEDaPvRmT3_T4_T5_mT6_P12ihipStream_tbENKUlT_T0_E_clISt17integral_constantIbLb0EEST_IbLb1EEEEDaSP_SQ_EUlSP_E_NS1_11comp_targetILNS1_3genE10ELNS1_11target_archE1201ELNS1_3gpuE5ELNS1_3repE0EEENS1_30default_config_static_selectorELNS0_4arch9wavefront6targetE1EEEvT1_
		.amdhsa_group_segment_fixed_size 0
		.amdhsa_private_segment_fixed_size 0
		.amdhsa_kernarg_size 96
		.amdhsa_user_sgpr_count 6
		.amdhsa_user_sgpr_private_segment_buffer 1
		.amdhsa_user_sgpr_dispatch_ptr 0
		.amdhsa_user_sgpr_queue_ptr 0
		.amdhsa_user_sgpr_kernarg_segment_ptr 1
		.amdhsa_user_sgpr_dispatch_id 0
		.amdhsa_user_sgpr_flat_scratch_init 0
		.amdhsa_user_sgpr_kernarg_preload_length 0
		.amdhsa_user_sgpr_kernarg_preload_offset 0
		.amdhsa_user_sgpr_private_segment_size 0
		.amdhsa_uses_dynamic_stack 0
		.amdhsa_system_sgpr_private_segment_wavefront_offset 0
		.amdhsa_system_sgpr_workgroup_id_x 1
		.amdhsa_system_sgpr_workgroup_id_y 0
		.amdhsa_system_sgpr_workgroup_id_z 0
		.amdhsa_system_sgpr_workgroup_info 0
		.amdhsa_system_vgpr_workitem_id 0
		.amdhsa_next_free_vgpr 1
		.amdhsa_next_free_sgpr 0
		.amdhsa_accum_offset 4
		.amdhsa_reserve_vcc 0
		.amdhsa_reserve_flat_scratch 0
		.amdhsa_float_round_mode_32 0
		.amdhsa_float_round_mode_16_64 0
		.amdhsa_float_denorm_mode_32 3
		.amdhsa_float_denorm_mode_16_64 3
		.amdhsa_dx10_clamp 1
		.amdhsa_ieee_mode 1
		.amdhsa_fp16_overflow 0
		.amdhsa_tg_split 0
		.amdhsa_exception_fp_ieee_invalid_op 0
		.amdhsa_exception_fp_denorm_src 0
		.amdhsa_exception_fp_ieee_div_zero 0
		.amdhsa_exception_fp_ieee_overflow 0
		.amdhsa_exception_fp_ieee_underflow 0
		.amdhsa_exception_fp_ieee_inexact 0
		.amdhsa_exception_int_div_zero 0
	.end_amdhsa_kernel
	.section	.text._ZN7rocprim17ROCPRIM_400000_NS6detail17trampoline_kernelINS0_14default_configENS1_20scan_config_selectorIjEEZZNS1_9scan_implILNS1_25lookback_scan_determinismE0ELb1ELb1ES3_N6thrust23THRUST_200600_302600_NS6detail15normal_iteratorINS9_10device_ptrIjEEEESE_j11max_functorIjEjEEDaPvRmT3_T4_T5_mT6_P12ihipStream_tbENKUlT_T0_E_clISt17integral_constantIbLb0EEST_IbLb1EEEEDaSP_SQ_EUlSP_E_NS1_11comp_targetILNS1_3genE10ELNS1_11target_archE1201ELNS1_3gpuE5ELNS1_3repE0EEENS1_30default_config_static_selectorELNS0_4arch9wavefront6targetE1EEEvT1_,"axG",@progbits,_ZN7rocprim17ROCPRIM_400000_NS6detail17trampoline_kernelINS0_14default_configENS1_20scan_config_selectorIjEEZZNS1_9scan_implILNS1_25lookback_scan_determinismE0ELb1ELb1ES3_N6thrust23THRUST_200600_302600_NS6detail15normal_iteratorINS9_10device_ptrIjEEEESE_j11max_functorIjEjEEDaPvRmT3_T4_T5_mT6_P12ihipStream_tbENKUlT_T0_E_clISt17integral_constantIbLb0EEST_IbLb1EEEEDaSP_SQ_EUlSP_E_NS1_11comp_targetILNS1_3genE10ELNS1_11target_archE1201ELNS1_3gpuE5ELNS1_3repE0EEENS1_30default_config_static_selectorELNS0_4arch9wavefront6targetE1EEEvT1_,comdat
.Lfunc_end2388:
	.size	_ZN7rocprim17ROCPRIM_400000_NS6detail17trampoline_kernelINS0_14default_configENS1_20scan_config_selectorIjEEZZNS1_9scan_implILNS1_25lookback_scan_determinismE0ELb1ELb1ES3_N6thrust23THRUST_200600_302600_NS6detail15normal_iteratorINS9_10device_ptrIjEEEESE_j11max_functorIjEjEEDaPvRmT3_T4_T5_mT6_P12ihipStream_tbENKUlT_T0_E_clISt17integral_constantIbLb0EEST_IbLb1EEEEDaSP_SQ_EUlSP_E_NS1_11comp_targetILNS1_3genE10ELNS1_11target_archE1201ELNS1_3gpuE5ELNS1_3repE0EEENS1_30default_config_static_selectorELNS0_4arch9wavefront6targetE1EEEvT1_, .Lfunc_end2388-_ZN7rocprim17ROCPRIM_400000_NS6detail17trampoline_kernelINS0_14default_configENS1_20scan_config_selectorIjEEZZNS1_9scan_implILNS1_25lookback_scan_determinismE0ELb1ELb1ES3_N6thrust23THRUST_200600_302600_NS6detail15normal_iteratorINS9_10device_ptrIjEEEESE_j11max_functorIjEjEEDaPvRmT3_T4_T5_mT6_P12ihipStream_tbENKUlT_T0_E_clISt17integral_constantIbLb0EEST_IbLb1EEEEDaSP_SQ_EUlSP_E_NS1_11comp_targetILNS1_3genE10ELNS1_11target_archE1201ELNS1_3gpuE5ELNS1_3repE0EEENS1_30default_config_static_selectorELNS0_4arch9wavefront6targetE1EEEvT1_
                                        ; -- End function
	.section	.AMDGPU.csdata,"",@progbits
; Kernel info:
; codeLenInByte = 0
; NumSgprs: 4
; NumVgprs: 0
; NumAgprs: 0
; TotalNumVgprs: 0
; ScratchSize: 0
; MemoryBound: 0
; FloatMode: 240
; IeeeMode: 1
; LDSByteSize: 0 bytes/workgroup (compile time only)
; SGPRBlocks: 0
; VGPRBlocks: 0
; NumSGPRsForWavesPerEU: 4
; NumVGPRsForWavesPerEU: 1
; AccumOffset: 4
; Occupancy: 8
; WaveLimiterHint : 0
; COMPUTE_PGM_RSRC2:SCRATCH_EN: 0
; COMPUTE_PGM_RSRC2:USER_SGPR: 6
; COMPUTE_PGM_RSRC2:TRAP_HANDLER: 0
; COMPUTE_PGM_RSRC2:TGID_X_EN: 1
; COMPUTE_PGM_RSRC2:TGID_Y_EN: 0
; COMPUTE_PGM_RSRC2:TGID_Z_EN: 0
; COMPUTE_PGM_RSRC2:TIDIG_COMP_CNT: 0
; COMPUTE_PGM_RSRC3_GFX90A:ACCUM_OFFSET: 0
; COMPUTE_PGM_RSRC3_GFX90A:TG_SPLIT: 0
	.section	.text._ZN7rocprim17ROCPRIM_400000_NS6detail17trampoline_kernelINS0_14default_configENS1_20scan_config_selectorIjEEZZNS1_9scan_implILNS1_25lookback_scan_determinismE0ELb1ELb1ES3_N6thrust23THRUST_200600_302600_NS6detail15normal_iteratorINS9_10device_ptrIjEEEESE_j11max_functorIjEjEEDaPvRmT3_T4_T5_mT6_P12ihipStream_tbENKUlT_T0_E_clISt17integral_constantIbLb0EEST_IbLb1EEEEDaSP_SQ_EUlSP_E_NS1_11comp_targetILNS1_3genE10ELNS1_11target_archE1200ELNS1_3gpuE4ELNS1_3repE0EEENS1_30default_config_static_selectorELNS0_4arch9wavefront6targetE1EEEvT1_,"axG",@progbits,_ZN7rocprim17ROCPRIM_400000_NS6detail17trampoline_kernelINS0_14default_configENS1_20scan_config_selectorIjEEZZNS1_9scan_implILNS1_25lookback_scan_determinismE0ELb1ELb1ES3_N6thrust23THRUST_200600_302600_NS6detail15normal_iteratorINS9_10device_ptrIjEEEESE_j11max_functorIjEjEEDaPvRmT3_T4_T5_mT6_P12ihipStream_tbENKUlT_T0_E_clISt17integral_constantIbLb0EEST_IbLb1EEEEDaSP_SQ_EUlSP_E_NS1_11comp_targetILNS1_3genE10ELNS1_11target_archE1200ELNS1_3gpuE4ELNS1_3repE0EEENS1_30default_config_static_selectorELNS0_4arch9wavefront6targetE1EEEvT1_,comdat
	.protected	_ZN7rocprim17ROCPRIM_400000_NS6detail17trampoline_kernelINS0_14default_configENS1_20scan_config_selectorIjEEZZNS1_9scan_implILNS1_25lookback_scan_determinismE0ELb1ELb1ES3_N6thrust23THRUST_200600_302600_NS6detail15normal_iteratorINS9_10device_ptrIjEEEESE_j11max_functorIjEjEEDaPvRmT3_T4_T5_mT6_P12ihipStream_tbENKUlT_T0_E_clISt17integral_constantIbLb0EEST_IbLb1EEEEDaSP_SQ_EUlSP_E_NS1_11comp_targetILNS1_3genE10ELNS1_11target_archE1200ELNS1_3gpuE4ELNS1_3repE0EEENS1_30default_config_static_selectorELNS0_4arch9wavefront6targetE1EEEvT1_ ; -- Begin function _ZN7rocprim17ROCPRIM_400000_NS6detail17trampoline_kernelINS0_14default_configENS1_20scan_config_selectorIjEEZZNS1_9scan_implILNS1_25lookback_scan_determinismE0ELb1ELb1ES3_N6thrust23THRUST_200600_302600_NS6detail15normal_iteratorINS9_10device_ptrIjEEEESE_j11max_functorIjEjEEDaPvRmT3_T4_T5_mT6_P12ihipStream_tbENKUlT_T0_E_clISt17integral_constantIbLb0EEST_IbLb1EEEEDaSP_SQ_EUlSP_E_NS1_11comp_targetILNS1_3genE10ELNS1_11target_archE1200ELNS1_3gpuE4ELNS1_3repE0EEENS1_30default_config_static_selectorELNS0_4arch9wavefront6targetE1EEEvT1_
	.globl	_ZN7rocprim17ROCPRIM_400000_NS6detail17trampoline_kernelINS0_14default_configENS1_20scan_config_selectorIjEEZZNS1_9scan_implILNS1_25lookback_scan_determinismE0ELb1ELb1ES3_N6thrust23THRUST_200600_302600_NS6detail15normal_iteratorINS9_10device_ptrIjEEEESE_j11max_functorIjEjEEDaPvRmT3_T4_T5_mT6_P12ihipStream_tbENKUlT_T0_E_clISt17integral_constantIbLb0EEST_IbLb1EEEEDaSP_SQ_EUlSP_E_NS1_11comp_targetILNS1_3genE10ELNS1_11target_archE1200ELNS1_3gpuE4ELNS1_3repE0EEENS1_30default_config_static_selectorELNS0_4arch9wavefront6targetE1EEEvT1_
	.p2align	8
	.type	_ZN7rocprim17ROCPRIM_400000_NS6detail17trampoline_kernelINS0_14default_configENS1_20scan_config_selectorIjEEZZNS1_9scan_implILNS1_25lookback_scan_determinismE0ELb1ELb1ES3_N6thrust23THRUST_200600_302600_NS6detail15normal_iteratorINS9_10device_ptrIjEEEESE_j11max_functorIjEjEEDaPvRmT3_T4_T5_mT6_P12ihipStream_tbENKUlT_T0_E_clISt17integral_constantIbLb0EEST_IbLb1EEEEDaSP_SQ_EUlSP_E_NS1_11comp_targetILNS1_3genE10ELNS1_11target_archE1200ELNS1_3gpuE4ELNS1_3repE0EEENS1_30default_config_static_selectorELNS0_4arch9wavefront6targetE1EEEvT1_,@function
_ZN7rocprim17ROCPRIM_400000_NS6detail17trampoline_kernelINS0_14default_configENS1_20scan_config_selectorIjEEZZNS1_9scan_implILNS1_25lookback_scan_determinismE0ELb1ELb1ES3_N6thrust23THRUST_200600_302600_NS6detail15normal_iteratorINS9_10device_ptrIjEEEESE_j11max_functorIjEjEEDaPvRmT3_T4_T5_mT6_P12ihipStream_tbENKUlT_T0_E_clISt17integral_constantIbLb0EEST_IbLb1EEEEDaSP_SQ_EUlSP_E_NS1_11comp_targetILNS1_3genE10ELNS1_11target_archE1200ELNS1_3gpuE4ELNS1_3repE0EEENS1_30default_config_static_selectorELNS0_4arch9wavefront6targetE1EEEvT1_: ; @_ZN7rocprim17ROCPRIM_400000_NS6detail17trampoline_kernelINS0_14default_configENS1_20scan_config_selectorIjEEZZNS1_9scan_implILNS1_25lookback_scan_determinismE0ELb1ELb1ES3_N6thrust23THRUST_200600_302600_NS6detail15normal_iteratorINS9_10device_ptrIjEEEESE_j11max_functorIjEjEEDaPvRmT3_T4_T5_mT6_P12ihipStream_tbENKUlT_T0_E_clISt17integral_constantIbLb0EEST_IbLb1EEEEDaSP_SQ_EUlSP_E_NS1_11comp_targetILNS1_3genE10ELNS1_11target_archE1200ELNS1_3gpuE4ELNS1_3repE0EEENS1_30default_config_static_selectorELNS0_4arch9wavefront6targetE1EEEvT1_
; %bb.0:
	.section	.rodata,"a",@progbits
	.p2align	6, 0x0
	.amdhsa_kernel _ZN7rocprim17ROCPRIM_400000_NS6detail17trampoline_kernelINS0_14default_configENS1_20scan_config_selectorIjEEZZNS1_9scan_implILNS1_25lookback_scan_determinismE0ELb1ELb1ES3_N6thrust23THRUST_200600_302600_NS6detail15normal_iteratorINS9_10device_ptrIjEEEESE_j11max_functorIjEjEEDaPvRmT3_T4_T5_mT6_P12ihipStream_tbENKUlT_T0_E_clISt17integral_constantIbLb0EEST_IbLb1EEEEDaSP_SQ_EUlSP_E_NS1_11comp_targetILNS1_3genE10ELNS1_11target_archE1200ELNS1_3gpuE4ELNS1_3repE0EEENS1_30default_config_static_selectorELNS0_4arch9wavefront6targetE1EEEvT1_
		.amdhsa_group_segment_fixed_size 0
		.amdhsa_private_segment_fixed_size 0
		.amdhsa_kernarg_size 96
		.amdhsa_user_sgpr_count 6
		.amdhsa_user_sgpr_private_segment_buffer 1
		.amdhsa_user_sgpr_dispatch_ptr 0
		.amdhsa_user_sgpr_queue_ptr 0
		.amdhsa_user_sgpr_kernarg_segment_ptr 1
		.amdhsa_user_sgpr_dispatch_id 0
		.amdhsa_user_sgpr_flat_scratch_init 0
		.amdhsa_user_sgpr_kernarg_preload_length 0
		.amdhsa_user_sgpr_kernarg_preload_offset 0
		.amdhsa_user_sgpr_private_segment_size 0
		.amdhsa_uses_dynamic_stack 0
		.amdhsa_system_sgpr_private_segment_wavefront_offset 0
		.amdhsa_system_sgpr_workgroup_id_x 1
		.amdhsa_system_sgpr_workgroup_id_y 0
		.amdhsa_system_sgpr_workgroup_id_z 0
		.amdhsa_system_sgpr_workgroup_info 0
		.amdhsa_system_vgpr_workitem_id 0
		.amdhsa_next_free_vgpr 1
		.amdhsa_next_free_sgpr 0
		.amdhsa_accum_offset 4
		.amdhsa_reserve_vcc 0
		.amdhsa_reserve_flat_scratch 0
		.amdhsa_float_round_mode_32 0
		.amdhsa_float_round_mode_16_64 0
		.amdhsa_float_denorm_mode_32 3
		.amdhsa_float_denorm_mode_16_64 3
		.amdhsa_dx10_clamp 1
		.amdhsa_ieee_mode 1
		.amdhsa_fp16_overflow 0
		.amdhsa_tg_split 0
		.amdhsa_exception_fp_ieee_invalid_op 0
		.amdhsa_exception_fp_denorm_src 0
		.amdhsa_exception_fp_ieee_div_zero 0
		.amdhsa_exception_fp_ieee_overflow 0
		.amdhsa_exception_fp_ieee_underflow 0
		.amdhsa_exception_fp_ieee_inexact 0
		.amdhsa_exception_int_div_zero 0
	.end_amdhsa_kernel
	.section	.text._ZN7rocprim17ROCPRIM_400000_NS6detail17trampoline_kernelINS0_14default_configENS1_20scan_config_selectorIjEEZZNS1_9scan_implILNS1_25lookback_scan_determinismE0ELb1ELb1ES3_N6thrust23THRUST_200600_302600_NS6detail15normal_iteratorINS9_10device_ptrIjEEEESE_j11max_functorIjEjEEDaPvRmT3_T4_T5_mT6_P12ihipStream_tbENKUlT_T0_E_clISt17integral_constantIbLb0EEST_IbLb1EEEEDaSP_SQ_EUlSP_E_NS1_11comp_targetILNS1_3genE10ELNS1_11target_archE1200ELNS1_3gpuE4ELNS1_3repE0EEENS1_30default_config_static_selectorELNS0_4arch9wavefront6targetE1EEEvT1_,"axG",@progbits,_ZN7rocprim17ROCPRIM_400000_NS6detail17trampoline_kernelINS0_14default_configENS1_20scan_config_selectorIjEEZZNS1_9scan_implILNS1_25lookback_scan_determinismE0ELb1ELb1ES3_N6thrust23THRUST_200600_302600_NS6detail15normal_iteratorINS9_10device_ptrIjEEEESE_j11max_functorIjEjEEDaPvRmT3_T4_T5_mT6_P12ihipStream_tbENKUlT_T0_E_clISt17integral_constantIbLb0EEST_IbLb1EEEEDaSP_SQ_EUlSP_E_NS1_11comp_targetILNS1_3genE10ELNS1_11target_archE1200ELNS1_3gpuE4ELNS1_3repE0EEENS1_30default_config_static_selectorELNS0_4arch9wavefront6targetE1EEEvT1_,comdat
.Lfunc_end2389:
	.size	_ZN7rocprim17ROCPRIM_400000_NS6detail17trampoline_kernelINS0_14default_configENS1_20scan_config_selectorIjEEZZNS1_9scan_implILNS1_25lookback_scan_determinismE0ELb1ELb1ES3_N6thrust23THRUST_200600_302600_NS6detail15normal_iteratorINS9_10device_ptrIjEEEESE_j11max_functorIjEjEEDaPvRmT3_T4_T5_mT6_P12ihipStream_tbENKUlT_T0_E_clISt17integral_constantIbLb0EEST_IbLb1EEEEDaSP_SQ_EUlSP_E_NS1_11comp_targetILNS1_3genE10ELNS1_11target_archE1200ELNS1_3gpuE4ELNS1_3repE0EEENS1_30default_config_static_selectorELNS0_4arch9wavefront6targetE1EEEvT1_, .Lfunc_end2389-_ZN7rocprim17ROCPRIM_400000_NS6detail17trampoline_kernelINS0_14default_configENS1_20scan_config_selectorIjEEZZNS1_9scan_implILNS1_25lookback_scan_determinismE0ELb1ELb1ES3_N6thrust23THRUST_200600_302600_NS6detail15normal_iteratorINS9_10device_ptrIjEEEESE_j11max_functorIjEjEEDaPvRmT3_T4_T5_mT6_P12ihipStream_tbENKUlT_T0_E_clISt17integral_constantIbLb0EEST_IbLb1EEEEDaSP_SQ_EUlSP_E_NS1_11comp_targetILNS1_3genE10ELNS1_11target_archE1200ELNS1_3gpuE4ELNS1_3repE0EEENS1_30default_config_static_selectorELNS0_4arch9wavefront6targetE1EEEvT1_
                                        ; -- End function
	.section	.AMDGPU.csdata,"",@progbits
; Kernel info:
; codeLenInByte = 0
; NumSgprs: 4
; NumVgprs: 0
; NumAgprs: 0
; TotalNumVgprs: 0
; ScratchSize: 0
; MemoryBound: 0
; FloatMode: 240
; IeeeMode: 1
; LDSByteSize: 0 bytes/workgroup (compile time only)
; SGPRBlocks: 0
; VGPRBlocks: 0
; NumSGPRsForWavesPerEU: 4
; NumVGPRsForWavesPerEU: 1
; AccumOffset: 4
; Occupancy: 8
; WaveLimiterHint : 0
; COMPUTE_PGM_RSRC2:SCRATCH_EN: 0
; COMPUTE_PGM_RSRC2:USER_SGPR: 6
; COMPUTE_PGM_RSRC2:TRAP_HANDLER: 0
; COMPUTE_PGM_RSRC2:TGID_X_EN: 1
; COMPUTE_PGM_RSRC2:TGID_Y_EN: 0
; COMPUTE_PGM_RSRC2:TGID_Z_EN: 0
; COMPUTE_PGM_RSRC2:TIDIG_COMP_CNT: 0
; COMPUTE_PGM_RSRC3_GFX90A:ACCUM_OFFSET: 0
; COMPUTE_PGM_RSRC3_GFX90A:TG_SPLIT: 0
	.section	.text._ZN7rocprim17ROCPRIM_400000_NS6detail17trampoline_kernelINS0_14default_configENS1_20scan_config_selectorIjEEZZNS1_9scan_implILNS1_25lookback_scan_determinismE0ELb1ELb1ES3_N6thrust23THRUST_200600_302600_NS6detail15normal_iteratorINS9_10device_ptrIjEEEESE_j11max_functorIjEjEEDaPvRmT3_T4_T5_mT6_P12ihipStream_tbENKUlT_T0_E_clISt17integral_constantIbLb0EEST_IbLb1EEEEDaSP_SQ_EUlSP_E_NS1_11comp_targetILNS1_3genE9ELNS1_11target_archE1100ELNS1_3gpuE3ELNS1_3repE0EEENS1_30default_config_static_selectorELNS0_4arch9wavefront6targetE1EEEvT1_,"axG",@progbits,_ZN7rocprim17ROCPRIM_400000_NS6detail17trampoline_kernelINS0_14default_configENS1_20scan_config_selectorIjEEZZNS1_9scan_implILNS1_25lookback_scan_determinismE0ELb1ELb1ES3_N6thrust23THRUST_200600_302600_NS6detail15normal_iteratorINS9_10device_ptrIjEEEESE_j11max_functorIjEjEEDaPvRmT3_T4_T5_mT6_P12ihipStream_tbENKUlT_T0_E_clISt17integral_constantIbLb0EEST_IbLb1EEEEDaSP_SQ_EUlSP_E_NS1_11comp_targetILNS1_3genE9ELNS1_11target_archE1100ELNS1_3gpuE3ELNS1_3repE0EEENS1_30default_config_static_selectorELNS0_4arch9wavefront6targetE1EEEvT1_,comdat
	.protected	_ZN7rocprim17ROCPRIM_400000_NS6detail17trampoline_kernelINS0_14default_configENS1_20scan_config_selectorIjEEZZNS1_9scan_implILNS1_25lookback_scan_determinismE0ELb1ELb1ES3_N6thrust23THRUST_200600_302600_NS6detail15normal_iteratorINS9_10device_ptrIjEEEESE_j11max_functorIjEjEEDaPvRmT3_T4_T5_mT6_P12ihipStream_tbENKUlT_T0_E_clISt17integral_constantIbLb0EEST_IbLb1EEEEDaSP_SQ_EUlSP_E_NS1_11comp_targetILNS1_3genE9ELNS1_11target_archE1100ELNS1_3gpuE3ELNS1_3repE0EEENS1_30default_config_static_selectorELNS0_4arch9wavefront6targetE1EEEvT1_ ; -- Begin function _ZN7rocprim17ROCPRIM_400000_NS6detail17trampoline_kernelINS0_14default_configENS1_20scan_config_selectorIjEEZZNS1_9scan_implILNS1_25lookback_scan_determinismE0ELb1ELb1ES3_N6thrust23THRUST_200600_302600_NS6detail15normal_iteratorINS9_10device_ptrIjEEEESE_j11max_functorIjEjEEDaPvRmT3_T4_T5_mT6_P12ihipStream_tbENKUlT_T0_E_clISt17integral_constantIbLb0EEST_IbLb1EEEEDaSP_SQ_EUlSP_E_NS1_11comp_targetILNS1_3genE9ELNS1_11target_archE1100ELNS1_3gpuE3ELNS1_3repE0EEENS1_30default_config_static_selectorELNS0_4arch9wavefront6targetE1EEEvT1_
	.globl	_ZN7rocprim17ROCPRIM_400000_NS6detail17trampoline_kernelINS0_14default_configENS1_20scan_config_selectorIjEEZZNS1_9scan_implILNS1_25lookback_scan_determinismE0ELb1ELb1ES3_N6thrust23THRUST_200600_302600_NS6detail15normal_iteratorINS9_10device_ptrIjEEEESE_j11max_functorIjEjEEDaPvRmT3_T4_T5_mT6_P12ihipStream_tbENKUlT_T0_E_clISt17integral_constantIbLb0EEST_IbLb1EEEEDaSP_SQ_EUlSP_E_NS1_11comp_targetILNS1_3genE9ELNS1_11target_archE1100ELNS1_3gpuE3ELNS1_3repE0EEENS1_30default_config_static_selectorELNS0_4arch9wavefront6targetE1EEEvT1_
	.p2align	8
	.type	_ZN7rocprim17ROCPRIM_400000_NS6detail17trampoline_kernelINS0_14default_configENS1_20scan_config_selectorIjEEZZNS1_9scan_implILNS1_25lookback_scan_determinismE0ELb1ELb1ES3_N6thrust23THRUST_200600_302600_NS6detail15normal_iteratorINS9_10device_ptrIjEEEESE_j11max_functorIjEjEEDaPvRmT3_T4_T5_mT6_P12ihipStream_tbENKUlT_T0_E_clISt17integral_constantIbLb0EEST_IbLb1EEEEDaSP_SQ_EUlSP_E_NS1_11comp_targetILNS1_3genE9ELNS1_11target_archE1100ELNS1_3gpuE3ELNS1_3repE0EEENS1_30default_config_static_selectorELNS0_4arch9wavefront6targetE1EEEvT1_,@function
_ZN7rocprim17ROCPRIM_400000_NS6detail17trampoline_kernelINS0_14default_configENS1_20scan_config_selectorIjEEZZNS1_9scan_implILNS1_25lookback_scan_determinismE0ELb1ELb1ES3_N6thrust23THRUST_200600_302600_NS6detail15normal_iteratorINS9_10device_ptrIjEEEESE_j11max_functorIjEjEEDaPvRmT3_T4_T5_mT6_P12ihipStream_tbENKUlT_T0_E_clISt17integral_constantIbLb0EEST_IbLb1EEEEDaSP_SQ_EUlSP_E_NS1_11comp_targetILNS1_3genE9ELNS1_11target_archE1100ELNS1_3gpuE3ELNS1_3repE0EEENS1_30default_config_static_selectorELNS0_4arch9wavefront6targetE1EEEvT1_: ; @_ZN7rocprim17ROCPRIM_400000_NS6detail17trampoline_kernelINS0_14default_configENS1_20scan_config_selectorIjEEZZNS1_9scan_implILNS1_25lookback_scan_determinismE0ELb1ELb1ES3_N6thrust23THRUST_200600_302600_NS6detail15normal_iteratorINS9_10device_ptrIjEEEESE_j11max_functorIjEjEEDaPvRmT3_T4_T5_mT6_P12ihipStream_tbENKUlT_T0_E_clISt17integral_constantIbLb0EEST_IbLb1EEEEDaSP_SQ_EUlSP_E_NS1_11comp_targetILNS1_3genE9ELNS1_11target_archE1100ELNS1_3gpuE3ELNS1_3repE0EEENS1_30default_config_static_selectorELNS0_4arch9wavefront6targetE1EEEvT1_
; %bb.0:
	.section	.rodata,"a",@progbits
	.p2align	6, 0x0
	.amdhsa_kernel _ZN7rocprim17ROCPRIM_400000_NS6detail17trampoline_kernelINS0_14default_configENS1_20scan_config_selectorIjEEZZNS1_9scan_implILNS1_25lookback_scan_determinismE0ELb1ELb1ES3_N6thrust23THRUST_200600_302600_NS6detail15normal_iteratorINS9_10device_ptrIjEEEESE_j11max_functorIjEjEEDaPvRmT3_T4_T5_mT6_P12ihipStream_tbENKUlT_T0_E_clISt17integral_constantIbLb0EEST_IbLb1EEEEDaSP_SQ_EUlSP_E_NS1_11comp_targetILNS1_3genE9ELNS1_11target_archE1100ELNS1_3gpuE3ELNS1_3repE0EEENS1_30default_config_static_selectorELNS0_4arch9wavefront6targetE1EEEvT1_
		.amdhsa_group_segment_fixed_size 0
		.amdhsa_private_segment_fixed_size 0
		.amdhsa_kernarg_size 96
		.amdhsa_user_sgpr_count 6
		.amdhsa_user_sgpr_private_segment_buffer 1
		.amdhsa_user_sgpr_dispatch_ptr 0
		.amdhsa_user_sgpr_queue_ptr 0
		.amdhsa_user_sgpr_kernarg_segment_ptr 1
		.amdhsa_user_sgpr_dispatch_id 0
		.amdhsa_user_sgpr_flat_scratch_init 0
		.amdhsa_user_sgpr_kernarg_preload_length 0
		.amdhsa_user_sgpr_kernarg_preload_offset 0
		.amdhsa_user_sgpr_private_segment_size 0
		.amdhsa_uses_dynamic_stack 0
		.amdhsa_system_sgpr_private_segment_wavefront_offset 0
		.amdhsa_system_sgpr_workgroup_id_x 1
		.amdhsa_system_sgpr_workgroup_id_y 0
		.amdhsa_system_sgpr_workgroup_id_z 0
		.amdhsa_system_sgpr_workgroup_info 0
		.amdhsa_system_vgpr_workitem_id 0
		.amdhsa_next_free_vgpr 1
		.amdhsa_next_free_sgpr 0
		.amdhsa_accum_offset 4
		.amdhsa_reserve_vcc 0
		.amdhsa_reserve_flat_scratch 0
		.amdhsa_float_round_mode_32 0
		.amdhsa_float_round_mode_16_64 0
		.amdhsa_float_denorm_mode_32 3
		.amdhsa_float_denorm_mode_16_64 3
		.amdhsa_dx10_clamp 1
		.amdhsa_ieee_mode 1
		.amdhsa_fp16_overflow 0
		.amdhsa_tg_split 0
		.amdhsa_exception_fp_ieee_invalid_op 0
		.amdhsa_exception_fp_denorm_src 0
		.amdhsa_exception_fp_ieee_div_zero 0
		.amdhsa_exception_fp_ieee_overflow 0
		.amdhsa_exception_fp_ieee_underflow 0
		.amdhsa_exception_fp_ieee_inexact 0
		.amdhsa_exception_int_div_zero 0
	.end_amdhsa_kernel
	.section	.text._ZN7rocprim17ROCPRIM_400000_NS6detail17trampoline_kernelINS0_14default_configENS1_20scan_config_selectorIjEEZZNS1_9scan_implILNS1_25lookback_scan_determinismE0ELb1ELb1ES3_N6thrust23THRUST_200600_302600_NS6detail15normal_iteratorINS9_10device_ptrIjEEEESE_j11max_functorIjEjEEDaPvRmT3_T4_T5_mT6_P12ihipStream_tbENKUlT_T0_E_clISt17integral_constantIbLb0EEST_IbLb1EEEEDaSP_SQ_EUlSP_E_NS1_11comp_targetILNS1_3genE9ELNS1_11target_archE1100ELNS1_3gpuE3ELNS1_3repE0EEENS1_30default_config_static_selectorELNS0_4arch9wavefront6targetE1EEEvT1_,"axG",@progbits,_ZN7rocprim17ROCPRIM_400000_NS6detail17trampoline_kernelINS0_14default_configENS1_20scan_config_selectorIjEEZZNS1_9scan_implILNS1_25lookback_scan_determinismE0ELb1ELb1ES3_N6thrust23THRUST_200600_302600_NS6detail15normal_iteratorINS9_10device_ptrIjEEEESE_j11max_functorIjEjEEDaPvRmT3_T4_T5_mT6_P12ihipStream_tbENKUlT_T0_E_clISt17integral_constantIbLb0EEST_IbLb1EEEEDaSP_SQ_EUlSP_E_NS1_11comp_targetILNS1_3genE9ELNS1_11target_archE1100ELNS1_3gpuE3ELNS1_3repE0EEENS1_30default_config_static_selectorELNS0_4arch9wavefront6targetE1EEEvT1_,comdat
.Lfunc_end2390:
	.size	_ZN7rocprim17ROCPRIM_400000_NS6detail17trampoline_kernelINS0_14default_configENS1_20scan_config_selectorIjEEZZNS1_9scan_implILNS1_25lookback_scan_determinismE0ELb1ELb1ES3_N6thrust23THRUST_200600_302600_NS6detail15normal_iteratorINS9_10device_ptrIjEEEESE_j11max_functorIjEjEEDaPvRmT3_T4_T5_mT6_P12ihipStream_tbENKUlT_T0_E_clISt17integral_constantIbLb0EEST_IbLb1EEEEDaSP_SQ_EUlSP_E_NS1_11comp_targetILNS1_3genE9ELNS1_11target_archE1100ELNS1_3gpuE3ELNS1_3repE0EEENS1_30default_config_static_selectorELNS0_4arch9wavefront6targetE1EEEvT1_, .Lfunc_end2390-_ZN7rocprim17ROCPRIM_400000_NS6detail17trampoline_kernelINS0_14default_configENS1_20scan_config_selectorIjEEZZNS1_9scan_implILNS1_25lookback_scan_determinismE0ELb1ELb1ES3_N6thrust23THRUST_200600_302600_NS6detail15normal_iteratorINS9_10device_ptrIjEEEESE_j11max_functorIjEjEEDaPvRmT3_T4_T5_mT6_P12ihipStream_tbENKUlT_T0_E_clISt17integral_constantIbLb0EEST_IbLb1EEEEDaSP_SQ_EUlSP_E_NS1_11comp_targetILNS1_3genE9ELNS1_11target_archE1100ELNS1_3gpuE3ELNS1_3repE0EEENS1_30default_config_static_selectorELNS0_4arch9wavefront6targetE1EEEvT1_
                                        ; -- End function
	.section	.AMDGPU.csdata,"",@progbits
; Kernel info:
; codeLenInByte = 0
; NumSgprs: 4
; NumVgprs: 0
; NumAgprs: 0
; TotalNumVgprs: 0
; ScratchSize: 0
; MemoryBound: 0
; FloatMode: 240
; IeeeMode: 1
; LDSByteSize: 0 bytes/workgroup (compile time only)
; SGPRBlocks: 0
; VGPRBlocks: 0
; NumSGPRsForWavesPerEU: 4
; NumVGPRsForWavesPerEU: 1
; AccumOffset: 4
; Occupancy: 8
; WaveLimiterHint : 0
; COMPUTE_PGM_RSRC2:SCRATCH_EN: 0
; COMPUTE_PGM_RSRC2:USER_SGPR: 6
; COMPUTE_PGM_RSRC2:TRAP_HANDLER: 0
; COMPUTE_PGM_RSRC2:TGID_X_EN: 1
; COMPUTE_PGM_RSRC2:TGID_Y_EN: 0
; COMPUTE_PGM_RSRC2:TGID_Z_EN: 0
; COMPUTE_PGM_RSRC2:TIDIG_COMP_CNT: 0
; COMPUTE_PGM_RSRC3_GFX90A:ACCUM_OFFSET: 0
; COMPUTE_PGM_RSRC3_GFX90A:TG_SPLIT: 0
	.section	.text._ZN7rocprim17ROCPRIM_400000_NS6detail17trampoline_kernelINS0_14default_configENS1_20scan_config_selectorIjEEZZNS1_9scan_implILNS1_25lookback_scan_determinismE0ELb1ELb1ES3_N6thrust23THRUST_200600_302600_NS6detail15normal_iteratorINS9_10device_ptrIjEEEESE_j11max_functorIjEjEEDaPvRmT3_T4_T5_mT6_P12ihipStream_tbENKUlT_T0_E_clISt17integral_constantIbLb0EEST_IbLb1EEEEDaSP_SQ_EUlSP_E_NS1_11comp_targetILNS1_3genE8ELNS1_11target_archE1030ELNS1_3gpuE2ELNS1_3repE0EEENS1_30default_config_static_selectorELNS0_4arch9wavefront6targetE1EEEvT1_,"axG",@progbits,_ZN7rocprim17ROCPRIM_400000_NS6detail17trampoline_kernelINS0_14default_configENS1_20scan_config_selectorIjEEZZNS1_9scan_implILNS1_25lookback_scan_determinismE0ELb1ELb1ES3_N6thrust23THRUST_200600_302600_NS6detail15normal_iteratorINS9_10device_ptrIjEEEESE_j11max_functorIjEjEEDaPvRmT3_T4_T5_mT6_P12ihipStream_tbENKUlT_T0_E_clISt17integral_constantIbLb0EEST_IbLb1EEEEDaSP_SQ_EUlSP_E_NS1_11comp_targetILNS1_3genE8ELNS1_11target_archE1030ELNS1_3gpuE2ELNS1_3repE0EEENS1_30default_config_static_selectorELNS0_4arch9wavefront6targetE1EEEvT1_,comdat
	.protected	_ZN7rocprim17ROCPRIM_400000_NS6detail17trampoline_kernelINS0_14default_configENS1_20scan_config_selectorIjEEZZNS1_9scan_implILNS1_25lookback_scan_determinismE0ELb1ELb1ES3_N6thrust23THRUST_200600_302600_NS6detail15normal_iteratorINS9_10device_ptrIjEEEESE_j11max_functorIjEjEEDaPvRmT3_T4_T5_mT6_P12ihipStream_tbENKUlT_T0_E_clISt17integral_constantIbLb0EEST_IbLb1EEEEDaSP_SQ_EUlSP_E_NS1_11comp_targetILNS1_3genE8ELNS1_11target_archE1030ELNS1_3gpuE2ELNS1_3repE0EEENS1_30default_config_static_selectorELNS0_4arch9wavefront6targetE1EEEvT1_ ; -- Begin function _ZN7rocprim17ROCPRIM_400000_NS6detail17trampoline_kernelINS0_14default_configENS1_20scan_config_selectorIjEEZZNS1_9scan_implILNS1_25lookback_scan_determinismE0ELb1ELb1ES3_N6thrust23THRUST_200600_302600_NS6detail15normal_iteratorINS9_10device_ptrIjEEEESE_j11max_functorIjEjEEDaPvRmT3_T4_T5_mT6_P12ihipStream_tbENKUlT_T0_E_clISt17integral_constantIbLb0EEST_IbLb1EEEEDaSP_SQ_EUlSP_E_NS1_11comp_targetILNS1_3genE8ELNS1_11target_archE1030ELNS1_3gpuE2ELNS1_3repE0EEENS1_30default_config_static_selectorELNS0_4arch9wavefront6targetE1EEEvT1_
	.globl	_ZN7rocprim17ROCPRIM_400000_NS6detail17trampoline_kernelINS0_14default_configENS1_20scan_config_selectorIjEEZZNS1_9scan_implILNS1_25lookback_scan_determinismE0ELb1ELb1ES3_N6thrust23THRUST_200600_302600_NS6detail15normal_iteratorINS9_10device_ptrIjEEEESE_j11max_functorIjEjEEDaPvRmT3_T4_T5_mT6_P12ihipStream_tbENKUlT_T0_E_clISt17integral_constantIbLb0EEST_IbLb1EEEEDaSP_SQ_EUlSP_E_NS1_11comp_targetILNS1_3genE8ELNS1_11target_archE1030ELNS1_3gpuE2ELNS1_3repE0EEENS1_30default_config_static_selectorELNS0_4arch9wavefront6targetE1EEEvT1_
	.p2align	8
	.type	_ZN7rocprim17ROCPRIM_400000_NS6detail17trampoline_kernelINS0_14default_configENS1_20scan_config_selectorIjEEZZNS1_9scan_implILNS1_25lookback_scan_determinismE0ELb1ELb1ES3_N6thrust23THRUST_200600_302600_NS6detail15normal_iteratorINS9_10device_ptrIjEEEESE_j11max_functorIjEjEEDaPvRmT3_T4_T5_mT6_P12ihipStream_tbENKUlT_T0_E_clISt17integral_constantIbLb0EEST_IbLb1EEEEDaSP_SQ_EUlSP_E_NS1_11comp_targetILNS1_3genE8ELNS1_11target_archE1030ELNS1_3gpuE2ELNS1_3repE0EEENS1_30default_config_static_selectorELNS0_4arch9wavefront6targetE1EEEvT1_,@function
_ZN7rocprim17ROCPRIM_400000_NS6detail17trampoline_kernelINS0_14default_configENS1_20scan_config_selectorIjEEZZNS1_9scan_implILNS1_25lookback_scan_determinismE0ELb1ELb1ES3_N6thrust23THRUST_200600_302600_NS6detail15normal_iteratorINS9_10device_ptrIjEEEESE_j11max_functorIjEjEEDaPvRmT3_T4_T5_mT6_P12ihipStream_tbENKUlT_T0_E_clISt17integral_constantIbLb0EEST_IbLb1EEEEDaSP_SQ_EUlSP_E_NS1_11comp_targetILNS1_3genE8ELNS1_11target_archE1030ELNS1_3gpuE2ELNS1_3repE0EEENS1_30default_config_static_selectorELNS0_4arch9wavefront6targetE1EEEvT1_: ; @_ZN7rocprim17ROCPRIM_400000_NS6detail17trampoline_kernelINS0_14default_configENS1_20scan_config_selectorIjEEZZNS1_9scan_implILNS1_25lookback_scan_determinismE0ELb1ELb1ES3_N6thrust23THRUST_200600_302600_NS6detail15normal_iteratorINS9_10device_ptrIjEEEESE_j11max_functorIjEjEEDaPvRmT3_T4_T5_mT6_P12ihipStream_tbENKUlT_T0_E_clISt17integral_constantIbLb0EEST_IbLb1EEEEDaSP_SQ_EUlSP_E_NS1_11comp_targetILNS1_3genE8ELNS1_11target_archE1030ELNS1_3gpuE2ELNS1_3repE0EEENS1_30default_config_static_selectorELNS0_4arch9wavefront6targetE1EEEvT1_
; %bb.0:
	.section	.rodata,"a",@progbits
	.p2align	6, 0x0
	.amdhsa_kernel _ZN7rocprim17ROCPRIM_400000_NS6detail17trampoline_kernelINS0_14default_configENS1_20scan_config_selectorIjEEZZNS1_9scan_implILNS1_25lookback_scan_determinismE0ELb1ELb1ES3_N6thrust23THRUST_200600_302600_NS6detail15normal_iteratorINS9_10device_ptrIjEEEESE_j11max_functorIjEjEEDaPvRmT3_T4_T5_mT6_P12ihipStream_tbENKUlT_T0_E_clISt17integral_constantIbLb0EEST_IbLb1EEEEDaSP_SQ_EUlSP_E_NS1_11comp_targetILNS1_3genE8ELNS1_11target_archE1030ELNS1_3gpuE2ELNS1_3repE0EEENS1_30default_config_static_selectorELNS0_4arch9wavefront6targetE1EEEvT1_
		.amdhsa_group_segment_fixed_size 0
		.amdhsa_private_segment_fixed_size 0
		.amdhsa_kernarg_size 96
		.amdhsa_user_sgpr_count 6
		.amdhsa_user_sgpr_private_segment_buffer 1
		.amdhsa_user_sgpr_dispatch_ptr 0
		.amdhsa_user_sgpr_queue_ptr 0
		.amdhsa_user_sgpr_kernarg_segment_ptr 1
		.amdhsa_user_sgpr_dispatch_id 0
		.amdhsa_user_sgpr_flat_scratch_init 0
		.amdhsa_user_sgpr_kernarg_preload_length 0
		.amdhsa_user_sgpr_kernarg_preload_offset 0
		.amdhsa_user_sgpr_private_segment_size 0
		.amdhsa_uses_dynamic_stack 0
		.amdhsa_system_sgpr_private_segment_wavefront_offset 0
		.amdhsa_system_sgpr_workgroup_id_x 1
		.amdhsa_system_sgpr_workgroup_id_y 0
		.amdhsa_system_sgpr_workgroup_id_z 0
		.amdhsa_system_sgpr_workgroup_info 0
		.amdhsa_system_vgpr_workitem_id 0
		.amdhsa_next_free_vgpr 1
		.amdhsa_next_free_sgpr 0
		.amdhsa_accum_offset 4
		.amdhsa_reserve_vcc 0
		.amdhsa_reserve_flat_scratch 0
		.amdhsa_float_round_mode_32 0
		.amdhsa_float_round_mode_16_64 0
		.amdhsa_float_denorm_mode_32 3
		.amdhsa_float_denorm_mode_16_64 3
		.amdhsa_dx10_clamp 1
		.amdhsa_ieee_mode 1
		.amdhsa_fp16_overflow 0
		.amdhsa_tg_split 0
		.amdhsa_exception_fp_ieee_invalid_op 0
		.amdhsa_exception_fp_denorm_src 0
		.amdhsa_exception_fp_ieee_div_zero 0
		.amdhsa_exception_fp_ieee_overflow 0
		.amdhsa_exception_fp_ieee_underflow 0
		.amdhsa_exception_fp_ieee_inexact 0
		.amdhsa_exception_int_div_zero 0
	.end_amdhsa_kernel
	.section	.text._ZN7rocprim17ROCPRIM_400000_NS6detail17trampoline_kernelINS0_14default_configENS1_20scan_config_selectorIjEEZZNS1_9scan_implILNS1_25lookback_scan_determinismE0ELb1ELb1ES3_N6thrust23THRUST_200600_302600_NS6detail15normal_iteratorINS9_10device_ptrIjEEEESE_j11max_functorIjEjEEDaPvRmT3_T4_T5_mT6_P12ihipStream_tbENKUlT_T0_E_clISt17integral_constantIbLb0EEST_IbLb1EEEEDaSP_SQ_EUlSP_E_NS1_11comp_targetILNS1_3genE8ELNS1_11target_archE1030ELNS1_3gpuE2ELNS1_3repE0EEENS1_30default_config_static_selectorELNS0_4arch9wavefront6targetE1EEEvT1_,"axG",@progbits,_ZN7rocprim17ROCPRIM_400000_NS6detail17trampoline_kernelINS0_14default_configENS1_20scan_config_selectorIjEEZZNS1_9scan_implILNS1_25lookback_scan_determinismE0ELb1ELb1ES3_N6thrust23THRUST_200600_302600_NS6detail15normal_iteratorINS9_10device_ptrIjEEEESE_j11max_functorIjEjEEDaPvRmT3_T4_T5_mT6_P12ihipStream_tbENKUlT_T0_E_clISt17integral_constantIbLb0EEST_IbLb1EEEEDaSP_SQ_EUlSP_E_NS1_11comp_targetILNS1_3genE8ELNS1_11target_archE1030ELNS1_3gpuE2ELNS1_3repE0EEENS1_30default_config_static_selectorELNS0_4arch9wavefront6targetE1EEEvT1_,comdat
.Lfunc_end2391:
	.size	_ZN7rocprim17ROCPRIM_400000_NS6detail17trampoline_kernelINS0_14default_configENS1_20scan_config_selectorIjEEZZNS1_9scan_implILNS1_25lookback_scan_determinismE0ELb1ELb1ES3_N6thrust23THRUST_200600_302600_NS6detail15normal_iteratorINS9_10device_ptrIjEEEESE_j11max_functorIjEjEEDaPvRmT3_T4_T5_mT6_P12ihipStream_tbENKUlT_T0_E_clISt17integral_constantIbLb0EEST_IbLb1EEEEDaSP_SQ_EUlSP_E_NS1_11comp_targetILNS1_3genE8ELNS1_11target_archE1030ELNS1_3gpuE2ELNS1_3repE0EEENS1_30default_config_static_selectorELNS0_4arch9wavefront6targetE1EEEvT1_, .Lfunc_end2391-_ZN7rocprim17ROCPRIM_400000_NS6detail17trampoline_kernelINS0_14default_configENS1_20scan_config_selectorIjEEZZNS1_9scan_implILNS1_25lookback_scan_determinismE0ELb1ELb1ES3_N6thrust23THRUST_200600_302600_NS6detail15normal_iteratorINS9_10device_ptrIjEEEESE_j11max_functorIjEjEEDaPvRmT3_T4_T5_mT6_P12ihipStream_tbENKUlT_T0_E_clISt17integral_constantIbLb0EEST_IbLb1EEEEDaSP_SQ_EUlSP_E_NS1_11comp_targetILNS1_3genE8ELNS1_11target_archE1030ELNS1_3gpuE2ELNS1_3repE0EEENS1_30default_config_static_selectorELNS0_4arch9wavefront6targetE1EEEvT1_
                                        ; -- End function
	.section	.AMDGPU.csdata,"",@progbits
; Kernel info:
; codeLenInByte = 0
; NumSgprs: 4
; NumVgprs: 0
; NumAgprs: 0
; TotalNumVgprs: 0
; ScratchSize: 0
; MemoryBound: 0
; FloatMode: 240
; IeeeMode: 1
; LDSByteSize: 0 bytes/workgroup (compile time only)
; SGPRBlocks: 0
; VGPRBlocks: 0
; NumSGPRsForWavesPerEU: 4
; NumVGPRsForWavesPerEU: 1
; AccumOffset: 4
; Occupancy: 8
; WaveLimiterHint : 0
; COMPUTE_PGM_RSRC2:SCRATCH_EN: 0
; COMPUTE_PGM_RSRC2:USER_SGPR: 6
; COMPUTE_PGM_RSRC2:TRAP_HANDLER: 0
; COMPUTE_PGM_RSRC2:TGID_X_EN: 1
; COMPUTE_PGM_RSRC2:TGID_Y_EN: 0
; COMPUTE_PGM_RSRC2:TGID_Z_EN: 0
; COMPUTE_PGM_RSRC2:TIDIG_COMP_CNT: 0
; COMPUTE_PGM_RSRC3_GFX90A:ACCUM_OFFSET: 0
; COMPUTE_PGM_RSRC3_GFX90A:TG_SPLIT: 0
	.section	.text._ZN7rocprim17ROCPRIM_400000_NS6detail17trampoline_kernelINS0_14default_configENS1_20scan_config_selectorIjEEZZNS1_9scan_implILNS1_25lookback_scan_determinismE0ELb1ELb1ES3_N6thrust23THRUST_200600_302600_NS6detail15normal_iteratorINS9_10device_ptrIjEEEESE_j11max_functorIjEjEEDaPvRmT3_T4_T5_mT6_P12ihipStream_tbENKUlT_T0_E_clISt17integral_constantIbLb0EEST_IbLb1EEEEDaSP_SQ_EUlSP_E0_NS1_11comp_targetILNS1_3genE0ELNS1_11target_archE4294967295ELNS1_3gpuE0ELNS1_3repE0EEENS1_30default_config_static_selectorELNS0_4arch9wavefront6targetE1EEEvT1_,"axG",@progbits,_ZN7rocprim17ROCPRIM_400000_NS6detail17trampoline_kernelINS0_14default_configENS1_20scan_config_selectorIjEEZZNS1_9scan_implILNS1_25lookback_scan_determinismE0ELb1ELb1ES3_N6thrust23THRUST_200600_302600_NS6detail15normal_iteratorINS9_10device_ptrIjEEEESE_j11max_functorIjEjEEDaPvRmT3_T4_T5_mT6_P12ihipStream_tbENKUlT_T0_E_clISt17integral_constantIbLb0EEST_IbLb1EEEEDaSP_SQ_EUlSP_E0_NS1_11comp_targetILNS1_3genE0ELNS1_11target_archE4294967295ELNS1_3gpuE0ELNS1_3repE0EEENS1_30default_config_static_selectorELNS0_4arch9wavefront6targetE1EEEvT1_,comdat
	.protected	_ZN7rocprim17ROCPRIM_400000_NS6detail17trampoline_kernelINS0_14default_configENS1_20scan_config_selectorIjEEZZNS1_9scan_implILNS1_25lookback_scan_determinismE0ELb1ELb1ES3_N6thrust23THRUST_200600_302600_NS6detail15normal_iteratorINS9_10device_ptrIjEEEESE_j11max_functorIjEjEEDaPvRmT3_T4_T5_mT6_P12ihipStream_tbENKUlT_T0_E_clISt17integral_constantIbLb0EEST_IbLb1EEEEDaSP_SQ_EUlSP_E0_NS1_11comp_targetILNS1_3genE0ELNS1_11target_archE4294967295ELNS1_3gpuE0ELNS1_3repE0EEENS1_30default_config_static_selectorELNS0_4arch9wavefront6targetE1EEEvT1_ ; -- Begin function _ZN7rocprim17ROCPRIM_400000_NS6detail17trampoline_kernelINS0_14default_configENS1_20scan_config_selectorIjEEZZNS1_9scan_implILNS1_25lookback_scan_determinismE0ELb1ELb1ES3_N6thrust23THRUST_200600_302600_NS6detail15normal_iteratorINS9_10device_ptrIjEEEESE_j11max_functorIjEjEEDaPvRmT3_T4_T5_mT6_P12ihipStream_tbENKUlT_T0_E_clISt17integral_constantIbLb0EEST_IbLb1EEEEDaSP_SQ_EUlSP_E0_NS1_11comp_targetILNS1_3genE0ELNS1_11target_archE4294967295ELNS1_3gpuE0ELNS1_3repE0EEENS1_30default_config_static_selectorELNS0_4arch9wavefront6targetE1EEEvT1_
	.globl	_ZN7rocprim17ROCPRIM_400000_NS6detail17trampoline_kernelINS0_14default_configENS1_20scan_config_selectorIjEEZZNS1_9scan_implILNS1_25lookback_scan_determinismE0ELb1ELb1ES3_N6thrust23THRUST_200600_302600_NS6detail15normal_iteratorINS9_10device_ptrIjEEEESE_j11max_functorIjEjEEDaPvRmT3_T4_T5_mT6_P12ihipStream_tbENKUlT_T0_E_clISt17integral_constantIbLb0EEST_IbLb1EEEEDaSP_SQ_EUlSP_E0_NS1_11comp_targetILNS1_3genE0ELNS1_11target_archE4294967295ELNS1_3gpuE0ELNS1_3repE0EEENS1_30default_config_static_selectorELNS0_4arch9wavefront6targetE1EEEvT1_
	.p2align	8
	.type	_ZN7rocprim17ROCPRIM_400000_NS6detail17trampoline_kernelINS0_14default_configENS1_20scan_config_selectorIjEEZZNS1_9scan_implILNS1_25lookback_scan_determinismE0ELb1ELb1ES3_N6thrust23THRUST_200600_302600_NS6detail15normal_iteratorINS9_10device_ptrIjEEEESE_j11max_functorIjEjEEDaPvRmT3_T4_T5_mT6_P12ihipStream_tbENKUlT_T0_E_clISt17integral_constantIbLb0EEST_IbLb1EEEEDaSP_SQ_EUlSP_E0_NS1_11comp_targetILNS1_3genE0ELNS1_11target_archE4294967295ELNS1_3gpuE0ELNS1_3repE0EEENS1_30default_config_static_selectorELNS0_4arch9wavefront6targetE1EEEvT1_,@function
_ZN7rocprim17ROCPRIM_400000_NS6detail17trampoline_kernelINS0_14default_configENS1_20scan_config_selectorIjEEZZNS1_9scan_implILNS1_25lookback_scan_determinismE0ELb1ELb1ES3_N6thrust23THRUST_200600_302600_NS6detail15normal_iteratorINS9_10device_ptrIjEEEESE_j11max_functorIjEjEEDaPvRmT3_T4_T5_mT6_P12ihipStream_tbENKUlT_T0_E_clISt17integral_constantIbLb0EEST_IbLb1EEEEDaSP_SQ_EUlSP_E0_NS1_11comp_targetILNS1_3genE0ELNS1_11target_archE4294967295ELNS1_3gpuE0ELNS1_3repE0EEENS1_30default_config_static_selectorELNS0_4arch9wavefront6targetE1EEEvT1_: ; @_ZN7rocprim17ROCPRIM_400000_NS6detail17trampoline_kernelINS0_14default_configENS1_20scan_config_selectorIjEEZZNS1_9scan_implILNS1_25lookback_scan_determinismE0ELb1ELb1ES3_N6thrust23THRUST_200600_302600_NS6detail15normal_iteratorINS9_10device_ptrIjEEEESE_j11max_functorIjEjEEDaPvRmT3_T4_T5_mT6_P12ihipStream_tbENKUlT_T0_E_clISt17integral_constantIbLb0EEST_IbLb1EEEEDaSP_SQ_EUlSP_E0_NS1_11comp_targetILNS1_3genE0ELNS1_11target_archE4294967295ELNS1_3gpuE0ELNS1_3repE0EEENS1_30default_config_static_selectorELNS0_4arch9wavefront6targetE1EEEvT1_
; %bb.0:
	.section	.rodata,"a",@progbits
	.p2align	6, 0x0
	.amdhsa_kernel _ZN7rocprim17ROCPRIM_400000_NS6detail17trampoline_kernelINS0_14default_configENS1_20scan_config_selectorIjEEZZNS1_9scan_implILNS1_25lookback_scan_determinismE0ELb1ELb1ES3_N6thrust23THRUST_200600_302600_NS6detail15normal_iteratorINS9_10device_ptrIjEEEESE_j11max_functorIjEjEEDaPvRmT3_T4_T5_mT6_P12ihipStream_tbENKUlT_T0_E_clISt17integral_constantIbLb0EEST_IbLb1EEEEDaSP_SQ_EUlSP_E0_NS1_11comp_targetILNS1_3genE0ELNS1_11target_archE4294967295ELNS1_3gpuE0ELNS1_3repE0EEENS1_30default_config_static_selectorELNS0_4arch9wavefront6targetE1EEEvT1_
		.amdhsa_group_segment_fixed_size 0
		.amdhsa_private_segment_fixed_size 0
		.amdhsa_kernarg_size 32
		.amdhsa_user_sgpr_count 6
		.amdhsa_user_sgpr_private_segment_buffer 1
		.amdhsa_user_sgpr_dispatch_ptr 0
		.amdhsa_user_sgpr_queue_ptr 0
		.amdhsa_user_sgpr_kernarg_segment_ptr 1
		.amdhsa_user_sgpr_dispatch_id 0
		.amdhsa_user_sgpr_flat_scratch_init 0
		.amdhsa_user_sgpr_kernarg_preload_length 0
		.amdhsa_user_sgpr_kernarg_preload_offset 0
		.amdhsa_user_sgpr_private_segment_size 0
		.amdhsa_uses_dynamic_stack 0
		.amdhsa_system_sgpr_private_segment_wavefront_offset 0
		.amdhsa_system_sgpr_workgroup_id_x 1
		.amdhsa_system_sgpr_workgroup_id_y 0
		.amdhsa_system_sgpr_workgroup_id_z 0
		.amdhsa_system_sgpr_workgroup_info 0
		.amdhsa_system_vgpr_workitem_id 0
		.amdhsa_next_free_vgpr 1
		.amdhsa_next_free_sgpr 0
		.amdhsa_accum_offset 4
		.amdhsa_reserve_vcc 0
		.amdhsa_reserve_flat_scratch 0
		.amdhsa_float_round_mode_32 0
		.amdhsa_float_round_mode_16_64 0
		.amdhsa_float_denorm_mode_32 3
		.amdhsa_float_denorm_mode_16_64 3
		.amdhsa_dx10_clamp 1
		.amdhsa_ieee_mode 1
		.amdhsa_fp16_overflow 0
		.amdhsa_tg_split 0
		.amdhsa_exception_fp_ieee_invalid_op 0
		.amdhsa_exception_fp_denorm_src 0
		.amdhsa_exception_fp_ieee_div_zero 0
		.amdhsa_exception_fp_ieee_overflow 0
		.amdhsa_exception_fp_ieee_underflow 0
		.amdhsa_exception_fp_ieee_inexact 0
		.amdhsa_exception_int_div_zero 0
	.end_amdhsa_kernel
	.section	.text._ZN7rocprim17ROCPRIM_400000_NS6detail17trampoline_kernelINS0_14default_configENS1_20scan_config_selectorIjEEZZNS1_9scan_implILNS1_25lookback_scan_determinismE0ELb1ELb1ES3_N6thrust23THRUST_200600_302600_NS6detail15normal_iteratorINS9_10device_ptrIjEEEESE_j11max_functorIjEjEEDaPvRmT3_T4_T5_mT6_P12ihipStream_tbENKUlT_T0_E_clISt17integral_constantIbLb0EEST_IbLb1EEEEDaSP_SQ_EUlSP_E0_NS1_11comp_targetILNS1_3genE0ELNS1_11target_archE4294967295ELNS1_3gpuE0ELNS1_3repE0EEENS1_30default_config_static_selectorELNS0_4arch9wavefront6targetE1EEEvT1_,"axG",@progbits,_ZN7rocprim17ROCPRIM_400000_NS6detail17trampoline_kernelINS0_14default_configENS1_20scan_config_selectorIjEEZZNS1_9scan_implILNS1_25lookback_scan_determinismE0ELb1ELb1ES3_N6thrust23THRUST_200600_302600_NS6detail15normal_iteratorINS9_10device_ptrIjEEEESE_j11max_functorIjEjEEDaPvRmT3_T4_T5_mT6_P12ihipStream_tbENKUlT_T0_E_clISt17integral_constantIbLb0EEST_IbLb1EEEEDaSP_SQ_EUlSP_E0_NS1_11comp_targetILNS1_3genE0ELNS1_11target_archE4294967295ELNS1_3gpuE0ELNS1_3repE0EEENS1_30default_config_static_selectorELNS0_4arch9wavefront6targetE1EEEvT1_,comdat
.Lfunc_end2392:
	.size	_ZN7rocprim17ROCPRIM_400000_NS6detail17trampoline_kernelINS0_14default_configENS1_20scan_config_selectorIjEEZZNS1_9scan_implILNS1_25lookback_scan_determinismE0ELb1ELb1ES3_N6thrust23THRUST_200600_302600_NS6detail15normal_iteratorINS9_10device_ptrIjEEEESE_j11max_functorIjEjEEDaPvRmT3_T4_T5_mT6_P12ihipStream_tbENKUlT_T0_E_clISt17integral_constantIbLb0EEST_IbLb1EEEEDaSP_SQ_EUlSP_E0_NS1_11comp_targetILNS1_3genE0ELNS1_11target_archE4294967295ELNS1_3gpuE0ELNS1_3repE0EEENS1_30default_config_static_selectorELNS0_4arch9wavefront6targetE1EEEvT1_, .Lfunc_end2392-_ZN7rocprim17ROCPRIM_400000_NS6detail17trampoline_kernelINS0_14default_configENS1_20scan_config_selectorIjEEZZNS1_9scan_implILNS1_25lookback_scan_determinismE0ELb1ELb1ES3_N6thrust23THRUST_200600_302600_NS6detail15normal_iteratorINS9_10device_ptrIjEEEESE_j11max_functorIjEjEEDaPvRmT3_T4_T5_mT6_P12ihipStream_tbENKUlT_T0_E_clISt17integral_constantIbLb0EEST_IbLb1EEEEDaSP_SQ_EUlSP_E0_NS1_11comp_targetILNS1_3genE0ELNS1_11target_archE4294967295ELNS1_3gpuE0ELNS1_3repE0EEENS1_30default_config_static_selectorELNS0_4arch9wavefront6targetE1EEEvT1_
                                        ; -- End function
	.section	.AMDGPU.csdata,"",@progbits
; Kernel info:
; codeLenInByte = 0
; NumSgprs: 4
; NumVgprs: 0
; NumAgprs: 0
; TotalNumVgprs: 0
; ScratchSize: 0
; MemoryBound: 0
; FloatMode: 240
; IeeeMode: 1
; LDSByteSize: 0 bytes/workgroup (compile time only)
; SGPRBlocks: 0
; VGPRBlocks: 0
; NumSGPRsForWavesPerEU: 4
; NumVGPRsForWavesPerEU: 1
; AccumOffset: 4
; Occupancy: 8
; WaveLimiterHint : 0
; COMPUTE_PGM_RSRC2:SCRATCH_EN: 0
; COMPUTE_PGM_RSRC2:USER_SGPR: 6
; COMPUTE_PGM_RSRC2:TRAP_HANDLER: 0
; COMPUTE_PGM_RSRC2:TGID_X_EN: 1
; COMPUTE_PGM_RSRC2:TGID_Y_EN: 0
; COMPUTE_PGM_RSRC2:TGID_Z_EN: 0
; COMPUTE_PGM_RSRC2:TIDIG_COMP_CNT: 0
; COMPUTE_PGM_RSRC3_GFX90A:ACCUM_OFFSET: 0
; COMPUTE_PGM_RSRC3_GFX90A:TG_SPLIT: 0
	.section	.text._ZN7rocprim17ROCPRIM_400000_NS6detail17trampoline_kernelINS0_14default_configENS1_20scan_config_selectorIjEEZZNS1_9scan_implILNS1_25lookback_scan_determinismE0ELb1ELb1ES3_N6thrust23THRUST_200600_302600_NS6detail15normal_iteratorINS9_10device_ptrIjEEEESE_j11max_functorIjEjEEDaPvRmT3_T4_T5_mT6_P12ihipStream_tbENKUlT_T0_E_clISt17integral_constantIbLb0EEST_IbLb1EEEEDaSP_SQ_EUlSP_E0_NS1_11comp_targetILNS1_3genE5ELNS1_11target_archE942ELNS1_3gpuE9ELNS1_3repE0EEENS1_30default_config_static_selectorELNS0_4arch9wavefront6targetE1EEEvT1_,"axG",@progbits,_ZN7rocprim17ROCPRIM_400000_NS6detail17trampoline_kernelINS0_14default_configENS1_20scan_config_selectorIjEEZZNS1_9scan_implILNS1_25lookback_scan_determinismE0ELb1ELb1ES3_N6thrust23THRUST_200600_302600_NS6detail15normal_iteratorINS9_10device_ptrIjEEEESE_j11max_functorIjEjEEDaPvRmT3_T4_T5_mT6_P12ihipStream_tbENKUlT_T0_E_clISt17integral_constantIbLb0EEST_IbLb1EEEEDaSP_SQ_EUlSP_E0_NS1_11comp_targetILNS1_3genE5ELNS1_11target_archE942ELNS1_3gpuE9ELNS1_3repE0EEENS1_30default_config_static_selectorELNS0_4arch9wavefront6targetE1EEEvT1_,comdat
	.protected	_ZN7rocprim17ROCPRIM_400000_NS6detail17trampoline_kernelINS0_14default_configENS1_20scan_config_selectorIjEEZZNS1_9scan_implILNS1_25lookback_scan_determinismE0ELb1ELb1ES3_N6thrust23THRUST_200600_302600_NS6detail15normal_iteratorINS9_10device_ptrIjEEEESE_j11max_functorIjEjEEDaPvRmT3_T4_T5_mT6_P12ihipStream_tbENKUlT_T0_E_clISt17integral_constantIbLb0EEST_IbLb1EEEEDaSP_SQ_EUlSP_E0_NS1_11comp_targetILNS1_3genE5ELNS1_11target_archE942ELNS1_3gpuE9ELNS1_3repE0EEENS1_30default_config_static_selectorELNS0_4arch9wavefront6targetE1EEEvT1_ ; -- Begin function _ZN7rocprim17ROCPRIM_400000_NS6detail17trampoline_kernelINS0_14default_configENS1_20scan_config_selectorIjEEZZNS1_9scan_implILNS1_25lookback_scan_determinismE0ELb1ELb1ES3_N6thrust23THRUST_200600_302600_NS6detail15normal_iteratorINS9_10device_ptrIjEEEESE_j11max_functorIjEjEEDaPvRmT3_T4_T5_mT6_P12ihipStream_tbENKUlT_T0_E_clISt17integral_constantIbLb0EEST_IbLb1EEEEDaSP_SQ_EUlSP_E0_NS1_11comp_targetILNS1_3genE5ELNS1_11target_archE942ELNS1_3gpuE9ELNS1_3repE0EEENS1_30default_config_static_selectorELNS0_4arch9wavefront6targetE1EEEvT1_
	.globl	_ZN7rocprim17ROCPRIM_400000_NS6detail17trampoline_kernelINS0_14default_configENS1_20scan_config_selectorIjEEZZNS1_9scan_implILNS1_25lookback_scan_determinismE0ELb1ELb1ES3_N6thrust23THRUST_200600_302600_NS6detail15normal_iteratorINS9_10device_ptrIjEEEESE_j11max_functorIjEjEEDaPvRmT3_T4_T5_mT6_P12ihipStream_tbENKUlT_T0_E_clISt17integral_constantIbLb0EEST_IbLb1EEEEDaSP_SQ_EUlSP_E0_NS1_11comp_targetILNS1_3genE5ELNS1_11target_archE942ELNS1_3gpuE9ELNS1_3repE0EEENS1_30default_config_static_selectorELNS0_4arch9wavefront6targetE1EEEvT1_
	.p2align	8
	.type	_ZN7rocprim17ROCPRIM_400000_NS6detail17trampoline_kernelINS0_14default_configENS1_20scan_config_selectorIjEEZZNS1_9scan_implILNS1_25lookback_scan_determinismE0ELb1ELb1ES3_N6thrust23THRUST_200600_302600_NS6detail15normal_iteratorINS9_10device_ptrIjEEEESE_j11max_functorIjEjEEDaPvRmT3_T4_T5_mT6_P12ihipStream_tbENKUlT_T0_E_clISt17integral_constantIbLb0EEST_IbLb1EEEEDaSP_SQ_EUlSP_E0_NS1_11comp_targetILNS1_3genE5ELNS1_11target_archE942ELNS1_3gpuE9ELNS1_3repE0EEENS1_30default_config_static_selectorELNS0_4arch9wavefront6targetE1EEEvT1_,@function
_ZN7rocprim17ROCPRIM_400000_NS6detail17trampoline_kernelINS0_14default_configENS1_20scan_config_selectorIjEEZZNS1_9scan_implILNS1_25lookback_scan_determinismE0ELb1ELb1ES3_N6thrust23THRUST_200600_302600_NS6detail15normal_iteratorINS9_10device_ptrIjEEEESE_j11max_functorIjEjEEDaPvRmT3_T4_T5_mT6_P12ihipStream_tbENKUlT_T0_E_clISt17integral_constantIbLb0EEST_IbLb1EEEEDaSP_SQ_EUlSP_E0_NS1_11comp_targetILNS1_3genE5ELNS1_11target_archE942ELNS1_3gpuE9ELNS1_3repE0EEENS1_30default_config_static_selectorELNS0_4arch9wavefront6targetE1EEEvT1_: ; @_ZN7rocprim17ROCPRIM_400000_NS6detail17trampoline_kernelINS0_14default_configENS1_20scan_config_selectorIjEEZZNS1_9scan_implILNS1_25lookback_scan_determinismE0ELb1ELb1ES3_N6thrust23THRUST_200600_302600_NS6detail15normal_iteratorINS9_10device_ptrIjEEEESE_j11max_functorIjEjEEDaPvRmT3_T4_T5_mT6_P12ihipStream_tbENKUlT_T0_E_clISt17integral_constantIbLb0EEST_IbLb1EEEEDaSP_SQ_EUlSP_E0_NS1_11comp_targetILNS1_3genE5ELNS1_11target_archE942ELNS1_3gpuE9ELNS1_3repE0EEENS1_30default_config_static_selectorELNS0_4arch9wavefront6targetE1EEEvT1_
; %bb.0:
	.section	.rodata,"a",@progbits
	.p2align	6, 0x0
	.amdhsa_kernel _ZN7rocprim17ROCPRIM_400000_NS6detail17trampoline_kernelINS0_14default_configENS1_20scan_config_selectorIjEEZZNS1_9scan_implILNS1_25lookback_scan_determinismE0ELb1ELb1ES3_N6thrust23THRUST_200600_302600_NS6detail15normal_iteratorINS9_10device_ptrIjEEEESE_j11max_functorIjEjEEDaPvRmT3_T4_T5_mT6_P12ihipStream_tbENKUlT_T0_E_clISt17integral_constantIbLb0EEST_IbLb1EEEEDaSP_SQ_EUlSP_E0_NS1_11comp_targetILNS1_3genE5ELNS1_11target_archE942ELNS1_3gpuE9ELNS1_3repE0EEENS1_30default_config_static_selectorELNS0_4arch9wavefront6targetE1EEEvT1_
		.amdhsa_group_segment_fixed_size 0
		.amdhsa_private_segment_fixed_size 0
		.amdhsa_kernarg_size 32
		.amdhsa_user_sgpr_count 6
		.amdhsa_user_sgpr_private_segment_buffer 1
		.amdhsa_user_sgpr_dispatch_ptr 0
		.amdhsa_user_sgpr_queue_ptr 0
		.amdhsa_user_sgpr_kernarg_segment_ptr 1
		.amdhsa_user_sgpr_dispatch_id 0
		.amdhsa_user_sgpr_flat_scratch_init 0
		.amdhsa_user_sgpr_kernarg_preload_length 0
		.amdhsa_user_sgpr_kernarg_preload_offset 0
		.amdhsa_user_sgpr_private_segment_size 0
		.amdhsa_uses_dynamic_stack 0
		.amdhsa_system_sgpr_private_segment_wavefront_offset 0
		.amdhsa_system_sgpr_workgroup_id_x 1
		.amdhsa_system_sgpr_workgroup_id_y 0
		.amdhsa_system_sgpr_workgroup_id_z 0
		.amdhsa_system_sgpr_workgroup_info 0
		.amdhsa_system_vgpr_workitem_id 0
		.amdhsa_next_free_vgpr 1
		.amdhsa_next_free_sgpr 0
		.amdhsa_accum_offset 4
		.amdhsa_reserve_vcc 0
		.amdhsa_reserve_flat_scratch 0
		.amdhsa_float_round_mode_32 0
		.amdhsa_float_round_mode_16_64 0
		.amdhsa_float_denorm_mode_32 3
		.amdhsa_float_denorm_mode_16_64 3
		.amdhsa_dx10_clamp 1
		.amdhsa_ieee_mode 1
		.amdhsa_fp16_overflow 0
		.amdhsa_tg_split 0
		.amdhsa_exception_fp_ieee_invalid_op 0
		.amdhsa_exception_fp_denorm_src 0
		.amdhsa_exception_fp_ieee_div_zero 0
		.amdhsa_exception_fp_ieee_overflow 0
		.amdhsa_exception_fp_ieee_underflow 0
		.amdhsa_exception_fp_ieee_inexact 0
		.amdhsa_exception_int_div_zero 0
	.end_amdhsa_kernel
	.section	.text._ZN7rocprim17ROCPRIM_400000_NS6detail17trampoline_kernelINS0_14default_configENS1_20scan_config_selectorIjEEZZNS1_9scan_implILNS1_25lookback_scan_determinismE0ELb1ELb1ES3_N6thrust23THRUST_200600_302600_NS6detail15normal_iteratorINS9_10device_ptrIjEEEESE_j11max_functorIjEjEEDaPvRmT3_T4_T5_mT6_P12ihipStream_tbENKUlT_T0_E_clISt17integral_constantIbLb0EEST_IbLb1EEEEDaSP_SQ_EUlSP_E0_NS1_11comp_targetILNS1_3genE5ELNS1_11target_archE942ELNS1_3gpuE9ELNS1_3repE0EEENS1_30default_config_static_selectorELNS0_4arch9wavefront6targetE1EEEvT1_,"axG",@progbits,_ZN7rocprim17ROCPRIM_400000_NS6detail17trampoline_kernelINS0_14default_configENS1_20scan_config_selectorIjEEZZNS1_9scan_implILNS1_25lookback_scan_determinismE0ELb1ELb1ES3_N6thrust23THRUST_200600_302600_NS6detail15normal_iteratorINS9_10device_ptrIjEEEESE_j11max_functorIjEjEEDaPvRmT3_T4_T5_mT6_P12ihipStream_tbENKUlT_T0_E_clISt17integral_constantIbLb0EEST_IbLb1EEEEDaSP_SQ_EUlSP_E0_NS1_11comp_targetILNS1_3genE5ELNS1_11target_archE942ELNS1_3gpuE9ELNS1_3repE0EEENS1_30default_config_static_selectorELNS0_4arch9wavefront6targetE1EEEvT1_,comdat
.Lfunc_end2393:
	.size	_ZN7rocprim17ROCPRIM_400000_NS6detail17trampoline_kernelINS0_14default_configENS1_20scan_config_selectorIjEEZZNS1_9scan_implILNS1_25lookback_scan_determinismE0ELb1ELb1ES3_N6thrust23THRUST_200600_302600_NS6detail15normal_iteratorINS9_10device_ptrIjEEEESE_j11max_functorIjEjEEDaPvRmT3_T4_T5_mT6_P12ihipStream_tbENKUlT_T0_E_clISt17integral_constantIbLb0EEST_IbLb1EEEEDaSP_SQ_EUlSP_E0_NS1_11comp_targetILNS1_3genE5ELNS1_11target_archE942ELNS1_3gpuE9ELNS1_3repE0EEENS1_30default_config_static_selectorELNS0_4arch9wavefront6targetE1EEEvT1_, .Lfunc_end2393-_ZN7rocprim17ROCPRIM_400000_NS6detail17trampoline_kernelINS0_14default_configENS1_20scan_config_selectorIjEEZZNS1_9scan_implILNS1_25lookback_scan_determinismE0ELb1ELb1ES3_N6thrust23THRUST_200600_302600_NS6detail15normal_iteratorINS9_10device_ptrIjEEEESE_j11max_functorIjEjEEDaPvRmT3_T4_T5_mT6_P12ihipStream_tbENKUlT_T0_E_clISt17integral_constantIbLb0EEST_IbLb1EEEEDaSP_SQ_EUlSP_E0_NS1_11comp_targetILNS1_3genE5ELNS1_11target_archE942ELNS1_3gpuE9ELNS1_3repE0EEENS1_30default_config_static_selectorELNS0_4arch9wavefront6targetE1EEEvT1_
                                        ; -- End function
	.section	.AMDGPU.csdata,"",@progbits
; Kernel info:
; codeLenInByte = 0
; NumSgprs: 4
; NumVgprs: 0
; NumAgprs: 0
; TotalNumVgprs: 0
; ScratchSize: 0
; MemoryBound: 0
; FloatMode: 240
; IeeeMode: 1
; LDSByteSize: 0 bytes/workgroup (compile time only)
; SGPRBlocks: 0
; VGPRBlocks: 0
; NumSGPRsForWavesPerEU: 4
; NumVGPRsForWavesPerEU: 1
; AccumOffset: 4
; Occupancy: 8
; WaveLimiterHint : 0
; COMPUTE_PGM_RSRC2:SCRATCH_EN: 0
; COMPUTE_PGM_RSRC2:USER_SGPR: 6
; COMPUTE_PGM_RSRC2:TRAP_HANDLER: 0
; COMPUTE_PGM_RSRC2:TGID_X_EN: 1
; COMPUTE_PGM_RSRC2:TGID_Y_EN: 0
; COMPUTE_PGM_RSRC2:TGID_Z_EN: 0
; COMPUTE_PGM_RSRC2:TIDIG_COMP_CNT: 0
; COMPUTE_PGM_RSRC3_GFX90A:ACCUM_OFFSET: 0
; COMPUTE_PGM_RSRC3_GFX90A:TG_SPLIT: 0
	.section	.text._ZN7rocprim17ROCPRIM_400000_NS6detail17trampoline_kernelINS0_14default_configENS1_20scan_config_selectorIjEEZZNS1_9scan_implILNS1_25lookback_scan_determinismE0ELb1ELb1ES3_N6thrust23THRUST_200600_302600_NS6detail15normal_iteratorINS9_10device_ptrIjEEEESE_j11max_functorIjEjEEDaPvRmT3_T4_T5_mT6_P12ihipStream_tbENKUlT_T0_E_clISt17integral_constantIbLb0EEST_IbLb1EEEEDaSP_SQ_EUlSP_E0_NS1_11comp_targetILNS1_3genE4ELNS1_11target_archE910ELNS1_3gpuE8ELNS1_3repE0EEENS1_30default_config_static_selectorELNS0_4arch9wavefront6targetE1EEEvT1_,"axG",@progbits,_ZN7rocprim17ROCPRIM_400000_NS6detail17trampoline_kernelINS0_14default_configENS1_20scan_config_selectorIjEEZZNS1_9scan_implILNS1_25lookback_scan_determinismE0ELb1ELb1ES3_N6thrust23THRUST_200600_302600_NS6detail15normal_iteratorINS9_10device_ptrIjEEEESE_j11max_functorIjEjEEDaPvRmT3_T4_T5_mT6_P12ihipStream_tbENKUlT_T0_E_clISt17integral_constantIbLb0EEST_IbLb1EEEEDaSP_SQ_EUlSP_E0_NS1_11comp_targetILNS1_3genE4ELNS1_11target_archE910ELNS1_3gpuE8ELNS1_3repE0EEENS1_30default_config_static_selectorELNS0_4arch9wavefront6targetE1EEEvT1_,comdat
	.protected	_ZN7rocprim17ROCPRIM_400000_NS6detail17trampoline_kernelINS0_14default_configENS1_20scan_config_selectorIjEEZZNS1_9scan_implILNS1_25lookback_scan_determinismE0ELb1ELb1ES3_N6thrust23THRUST_200600_302600_NS6detail15normal_iteratorINS9_10device_ptrIjEEEESE_j11max_functorIjEjEEDaPvRmT3_T4_T5_mT6_P12ihipStream_tbENKUlT_T0_E_clISt17integral_constantIbLb0EEST_IbLb1EEEEDaSP_SQ_EUlSP_E0_NS1_11comp_targetILNS1_3genE4ELNS1_11target_archE910ELNS1_3gpuE8ELNS1_3repE0EEENS1_30default_config_static_selectorELNS0_4arch9wavefront6targetE1EEEvT1_ ; -- Begin function _ZN7rocprim17ROCPRIM_400000_NS6detail17trampoline_kernelINS0_14default_configENS1_20scan_config_selectorIjEEZZNS1_9scan_implILNS1_25lookback_scan_determinismE0ELb1ELb1ES3_N6thrust23THRUST_200600_302600_NS6detail15normal_iteratorINS9_10device_ptrIjEEEESE_j11max_functorIjEjEEDaPvRmT3_T4_T5_mT6_P12ihipStream_tbENKUlT_T0_E_clISt17integral_constantIbLb0EEST_IbLb1EEEEDaSP_SQ_EUlSP_E0_NS1_11comp_targetILNS1_3genE4ELNS1_11target_archE910ELNS1_3gpuE8ELNS1_3repE0EEENS1_30default_config_static_selectorELNS0_4arch9wavefront6targetE1EEEvT1_
	.globl	_ZN7rocprim17ROCPRIM_400000_NS6detail17trampoline_kernelINS0_14default_configENS1_20scan_config_selectorIjEEZZNS1_9scan_implILNS1_25lookback_scan_determinismE0ELb1ELb1ES3_N6thrust23THRUST_200600_302600_NS6detail15normal_iteratorINS9_10device_ptrIjEEEESE_j11max_functorIjEjEEDaPvRmT3_T4_T5_mT6_P12ihipStream_tbENKUlT_T0_E_clISt17integral_constantIbLb0EEST_IbLb1EEEEDaSP_SQ_EUlSP_E0_NS1_11comp_targetILNS1_3genE4ELNS1_11target_archE910ELNS1_3gpuE8ELNS1_3repE0EEENS1_30default_config_static_selectorELNS0_4arch9wavefront6targetE1EEEvT1_
	.p2align	8
	.type	_ZN7rocprim17ROCPRIM_400000_NS6detail17trampoline_kernelINS0_14default_configENS1_20scan_config_selectorIjEEZZNS1_9scan_implILNS1_25lookback_scan_determinismE0ELb1ELb1ES3_N6thrust23THRUST_200600_302600_NS6detail15normal_iteratorINS9_10device_ptrIjEEEESE_j11max_functorIjEjEEDaPvRmT3_T4_T5_mT6_P12ihipStream_tbENKUlT_T0_E_clISt17integral_constantIbLb0EEST_IbLb1EEEEDaSP_SQ_EUlSP_E0_NS1_11comp_targetILNS1_3genE4ELNS1_11target_archE910ELNS1_3gpuE8ELNS1_3repE0EEENS1_30default_config_static_selectorELNS0_4arch9wavefront6targetE1EEEvT1_,@function
_ZN7rocprim17ROCPRIM_400000_NS6detail17trampoline_kernelINS0_14default_configENS1_20scan_config_selectorIjEEZZNS1_9scan_implILNS1_25lookback_scan_determinismE0ELb1ELb1ES3_N6thrust23THRUST_200600_302600_NS6detail15normal_iteratorINS9_10device_ptrIjEEEESE_j11max_functorIjEjEEDaPvRmT3_T4_T5_mT6_P12ihipStream_tbENKUlT_T0_E_clISt17integral_constantIbLb0EEST_IbLb1EEEEDaSP_SQ_EUlSP_E0_NS1_11comp_targetILNS1_3genE4ELNS1_11target_archE910ELNS1_3gpuE8ELNS1_3repE0EEENS1_30default_config_static_selectorELNS0_4arch9wavefront6targetE1EEEvT1_: ; @_ZN7rocprim17ROCPRIM_400000_NS6detail17trampoline_kernelINS0_14default_configENS1_20scan_config_selectorIjEEZZNS1_9scan_implILNS1_25lookback_scan_determinismE0ELb1ELb1ES3_N6thrust23THRUST_200600_302600_NS6detail15normal_iteratorINS9_10device_ptrIjEEEESE_j11max_functorIjEjEEDaPvRmT3_T4_T5_mT6_P12ihipStream_tbENKUlT_T0_E_clISt17integral_constantIbLb0EEST_IbLb1EEEEDaSP_SQ_EUlSP_E0_NS1_11comp_targetILNS1_3genE4ELNS1_11target_archE910ELNS1_3gpuE8ELNS1_3repE0EEENS1_30default_config_static_selectorELNS0_4arch9wavefront6targetE1EEEvT1_
; %bb.0:
	s_load_dwordx4 s[20:23], s[4:5], 0x0
	v_lshlrev_b32_e32 v14, 2, v0
	s_waitcnt lgkmcnt(0)
	s_load_dword s23, s[20:21], 0x0
	v_cmp_gt_u32_e32 vcc, s22, v0
	s_waitcnt lgkmcnt(0)
	v_mov_b32_e32 v1, s23
	s_and_saveexec_b64 s[0:1], vcc
	s_cbranch_execz .LBB2394_2
; %bb.1:
	global_load_dword v1, v14, s[20:21]
.LBB2394_2:
	s_or_b64 exec, exec, s[0:1]
	v_or_b32_e32 v2, 0x80, v0
	v_cmp_gt_u32_e64 s[0:1], s22, v2
	v_mov_b32_e32 v2, s23
	s_and_saveexec_b64 s[2:3], s[0:1]
	s_cbranch_execz .LBB2394_4
; %bb.3:
	global_load_dword v2, v14, s[20:21] offset:512
.LBB2394_4:
	s_or_b64 exec, exec, s[2:3]
	v_or_b32_e32 v3, 0x100, v0
	v_cmp_gt_u32_e64 s[2:3], s22, v3
	v_mov_b32_e32 v3, s23
	s_and_saveexec_b64 s[6:7], s[2:3]
	s_cbranch_execz .LBB2394_6
; %bb.5:
	global_load_dword v3, v14, s[20:21] offset:1024
.LBB2394_6:
	;; [unrolled: 9-line block ×7, first 2 shown]
	s_or_b64 exec, exec, s[14:15]
	v_or_b32_e32 v10, 0x400, v0
	v_cmp_gt_u32_e64 s[14:15], s22, v10
	v_mov_b32_e32 v9, s23
	s_and_saveexec_b64 s[16:17], s[14:15]
	s_cbranch_execz .LBB2394_18
; %bb.17:
	v_lshlrev_b32_e32 v9, 2, v10
	global_load_dword v9, v9, s[20:21]
.LBB2394_18:
	s_or_b64 exec, exec, s[16:17]
	s_load_dword s24, s[4:5], 0x10
	v_or_b32_e32 v11, 0x480, v0
	v_cmp_gt_u32_e64 s[16:17], s22, v11
	v_mov_b32_e32 v10, s23
	s_and_saveexec_b64 s[22:23], s[16:17]
	s_cbranch_execz .LBB2394_20
; %bb.19:
	v_lshlrev_b32_e32 v10, 2, v11
	global_load_dword v10, v10, s[20:21]
.LBB2394_20:
	s_or_b64 exec, exec, s[22:23]
	s_waitcnt vmcnt(0)
	ds_write2st64_b32 v14, v1, v2 offset1:2
	ds_write2st64_b32 v14, v3, v4 offset0:4 offset1:6
	ds_write2st64_b32 v14, v5, v6 offset0:8 offset1:10
	;; [unrolled: 1-line block ×4, first 2 shown]
	v_mad_u32_u24 v1, v0, 36, v14
	s_waitcnt lgkmcnt(0)
	s_barrier
	ds_read2_b64 v[6:9], v1 offset1:1
	ds_read2_b64 v[2:5], v1 offset0:2 offset1:3
	ds_read_b64 v[10:11], v1 offset:32
	s_load_dwordx2 s[20:21], s[4:5], 0x18
	v_cmp_gt_u32_e64 s[4:5], 64, v0
	s_waitcnt lgkmcnt(0)
	v_max_u32_e32 v12, v6, v7
	v_max3_u32 v12, v12, v8, v9
	v_max3_u32 v12, v12, v2, v3
	;; [unrolled: 1-line block ×4, first 2 shown]
	v_lshrrev_b32_e32 v12, 3, v0
	v_and_b32_e32 v12, 12, v12
	v_add_u32_e32 v12, v14, v12
	s_barrier
	ds_write_b32 v12, v11
	s_waitcnt lgkmcnt(0)
	s_barrier
	s_and_saveexec_b64 s[22:23], s[4:5]
	s_cbranch_execz .LBB2394_22
; %bb.21:
	v_lshlrev_b32_e32 v12, 1, v0
	v_lshrrev_b32_e32 v13, 4, v0
	v_add_lshl_u32 v15, v13, v12, 2
	ds_read2_b32 v[12:13], v15 offset1:1
	v_mbcnt_lo_u32_b32 v16, -1, 0
	v_mbcnt_hi_u32_b32 v16, -1, v16
	v_and_b32_e32 v17, 15, v16
	v_cmp_eq_u32_e64 s[4:5], 0, v17
	s_waitcnt lgkmcnt(0)
	v_max_u32_e32 v13, v12, v13
	; wave barrier
	s_nop 1
	v_mov_b32_dpp v18, v13 row_shr:1 row_mask:0xf bank_mask:0xf
	v_max_u32_e32 v18, v18, v13
	v_cndmask_b32_e64 v13, v18, v13, s[4:5]
	v_cmp_lt_u32_e64 s[4:5], 1, v17
	s_nop 0
	v_mov_b32_dpp v18, v13 row_shr:2 row_mask:0xf bank_mask:0xf
	v_max_u32_e32 v18, v18, v13
	v_cndmask_b32_e64 v13, v13, v18, s[4:5]
	v_cmp_lt_u32_e64 s[4:5], 3, v17
	;; [unrolled: 5-line block ×3, first 2 shown]
	s_nop 0
	v_mov_b32_dpp v18, v13 row_shr:8 row_mask:0xf bank_mask:0xf
	v_max_u32_e32 v18, v18, v13
	v_cndmask_b32_e64 v13, v13, v18, s[4:5]
	v_and_b32_e32 v18, 16, v16
	v_cmp_eq_u32_e64 s[4:5], 0, v18
	v_mov_b32_dpp v17, v13 row_bcast:15 row_mask:0xf bank_mask:0xf
	v_max_u32_e32 v17, v17, v13
	v_cndmask_b32_e64 v13, v17, v13, s[4:5]
	v_cmp_lt_u32_e64 s[4:5], 31, v16
	v_and_b32_e32 v18, 64, v16
	v_mov_b32_dpp v17, v13 row_bcast:31 row_mask:0xf bank_mask:0xf
	v_max_u32_e32 v17, v17, v13
	v_cndmask_b32_e64 v13, v13, v17, s[4:5]
	v_add_u32_e32 v17, -1, v16
	v_cmp_lt_i32_e64 s[4:5], v17, v18
	v_cndmask_b32_e64 v16, v17, v16, s[4:5]
	v_lshlrev_b32_e32 v16, 2, v16
	ds_bpermute_b32 v13, v16, v13
	v_cmp_eq_u32_e64 s[4:5], 0, v0
	s_waitcnt lgkmcnt(0)
	v_max_u32_e32 v12, v13, v12
	v_cndmask_b32_e64 v11, v12, v11, s[4:5]
	ds_write_b32 v15, v11
	; wave barrier
	ds_read_b32 v12, v15 offset:4
	s_waitcnt lgkmcnt(0)
	v_max_u32_e32 v11, v11, v12
	ds_write_b32 v15, v11 offset:4
.LBB2394_22:
	s_or_b64 exec, exec, s[22:23]
	v_cmp_ne_u32_e64 s[4:5], 0, v0
	v_mov_b32_e32 v12, s24
	s_waitcnt lgkmcnt(0)
	s_barrier
	s_and_saveexec_b64 s[22:23], s[4:5]
	s_cbranch_execz .LBB2394_24
; %bb.23:
	v_add_u32_e32 v11, -1, v0
	v_lshrrev_b32_e32 v12, 5, v11
	v_add_lshl_u32 v11, v12, v11, 2
	ds_read_b32 v11, v11
	s_waitcnt lgkmcnt(0)
	v_max_u32_e32 v12, s24, v11
.LBB2394_24:
	s_or_b64 exec, exec, s[22:23]
	v_max_u32_e32 v13, v12, v6
	v_max_u32_e32 v6, v13, v7
	;; [unrolled: 1-line block ×8, first 2 shown]
	s_movk_i32 s4, 0xffdc
	v_max_u32_e32 v5, v4, v10
	v_mad_i32_i24 v0, v0, s4, v1
	s_barrier
	ds_write2_b64 v1, v[12:13], v[6:7] offset1:1
	ds_write2_b64 v1, v[8:9], v[2:3] offset0:2 offset1:3
	ds_write_b64 v1, v[4:5] offset:32
	s_waitcnt lgkmcnt(0)
	s_barrier
	ds_read2st64_b32 v[8:9], v0 offset0:2 offset1:4
	ds_read2st64_b32 v[6:7], v0 offset0:6 offset1:8
	;; [unrolled: 1-line block ×4, first 2 shown]
	ds_read_b32 v10, v14 offset:4096
	v_mov_b32_e32 v3, s21
	v_add_co_u32_e64 v2, s[4:5], s20, v14
	v_addc_co_u32_e64 v3, s[4:5], 0, v3, s[4:5]
	s_and_saveexec_b64 s[4:5], vcc
	s_cbranch_execnz .LBB2394_35
; %bb.25:
	s_or_b64 exec, exec, s[4:5]
	s_and_saveexec_b64 s[4:5], s[0:1]
	s_cbranch_execnz .LBB2394_36
.LBB2394_26:
	s_or_b64 exec, exec, s[4:5]
	s_and_saveexec_b64 s[0:1], s[2:3]
	s_cbranch_execnz .LBB2394_37
.LBB2394_27:
	s_or_b64 exec, exec, s[0:1]
	s_and_saveexec_b64 s[0:1], s[18:19]
	s_cbranch_execnz .LBB2394_38
.LBB2394_28:
	s_or_b64 exec, exec, s[0:1]
	s_and_saveexec_b64 s[0:1], s[6:7]
	s_cbranch_execnz .LBB2394_39
.LBB2394_29:
	s_or_b64 exec, exec, s[0:1]
	s_and_saveexec_b64 s[0:1], s[8:9]
	s_cbranch_execnz .LBB2394_40
.LBB2394_30:
	s_or_b64 exec, exec, s[0:1]
	s_and_saveexec_b64 s[0:1], s[10:11]
	s_cbranch_execnz .LBB2394_41
.LBB2394_31:
	s_or_b64 exec, exec, s[0:1]
	s_and_saveexec_b64 s[0:1], s[12:13]
	s_cbranch_execnz .LBB2394_42
.LBB2394_32:
	s_or_b64 exec, exec, s[0:1]
	s_and_saveexec_b64 s[0:1], s[14:15]
	s_cbranch_execnz .LBB2394_43
.LBB2394_33:
	s_or_b64 exec, exec, s[0:1]
	s_and_saveexec_b64 s[0:1], s[16:17]
	s_cbranch_execnz .LBB2394_44
.LBB2394_34:
	s_endpgm
.LBB2394_35:
	ds_read_b32 v11, v14
	s_waitcnt lgkmcnt(0)
	global_store_dword v[2:3], v11, off
	s_or_b64 exec, exec, s[4:5]
	s_and_saveexec_b64 s[4:5], s[0:1]
	s_cbranch_execz .LBB2394_26
.LBB2394_36:
	s_waitcnt lgkmcnt(4)
	global_store_dword v[2:3], v8, off offset:512
	s_or_b64 exec, exec, s[4:5]
	s_and_saveexec_b64 s[0:1], s[2:3]
	s_cbranch_execz .LBB2394_27
.LBB2394_37:
	s_waitcnt lgkmcnt(4)
	global_store_dword v[2:3], v9, off offset:1024
	s_or_b64 exec, exec, s[0:1]
	s_and_saveexec_b64 s[0:1], s[18:19]
	s_cbranch_execz .LBB2394_28
.LBB2394_38:
	s_waitcnt lgkmcnt(3)
	global_store_dword v[2:3], v6, off offset:1536
	s_or_b64 exec, exec, s[0:1]
	s_and_saveexec_b64 s[0:1], s[6:7]
	s_cbranch_execz .LBB2394_29
.LBB2394_39:
	s_waitcnt lgkmcnt(3)
	global_store_dword v[2:3], v7, off offset:2048
	s_or_b64 exec, exec, s[0:1]
	s_and_saveexec_b64 s[0:1], s[8:9]
	s_cbranch_execz .LBB2394_30
.LBB2394_40:
	s_waitcnt lgkmcnt(2)
	global_store_dword v[2:3], v4, off offset:2560
	s_or_b64 exec, exec, s[0:1]
	s_and_saveexec_b64 s[0:1], s[10:11]
	s_cbranch_execz .LBB2394_31
.LBB2394_41:
	s_waitcnt lgkmcnt(2)
	global_store_dword v[2:3], v5, off offset:3072
	s_or_b64 exec, exec, s[0:1]
	s_and_saveexec_b64 s[0:1], s[12:13]
	s_cbranch_execz .LBB2394_32
.LBB2394_42:
	s_waitcnt lgkmcnt(1)
	global_store_dword v[2:3], v0, off offset:3584
	s_or_b64 exec, exec, s[0:1]
	s_and_saveexec_b64 s[0:1], s[14:15]
	s_cbranch_execz .LBB2394_33
.LBB2394_43:
	s_waitcnt lgkmcnt(2)
	v_add_co_u32_e32 v4, vcc, 0x1000, v2
	v_addc_co_u32_e32 v5, vcc, 0, v3, vcc
	s_waitcnt lgkmcnt(0)
	global_store_dword v[4:5], v10, off
	s_or_b64 exec, exec, s[0:1]
	s_and_saveexec_b64 s[0:1], s[16:17]
	s_cbranch_execz .LBB2394_34
.LBB2394_44:
	v_add_co_u32_e32 v2, vcc, 0x1000, v2
	v_addc_co_u32_e32 v3, vcc, 0, v3, vcc
	s_waitcnt lgkmcnt(1)
	global_store_dword v[2:3], v1, off offset:512
	s_endpgm
	.section	.rodata,"a",@progbits
	.p2align	6, 0x0
	.amdhsa_kernel _ZN7rocprim17ROCPRIM_400000_NS6detail17trampoline_kernelINS0_14default_configENS1_20scan_config_selectorIjEEZZNS1_9scan_implILNS1_25lookback_scan_determinismE0ELb1ELb1ES3_N6thrust23THRUST_200600_302600_NS6detail15normal_iteratorINS9_10device_ptrIjEEEESE_j11max_functorIjEjEEDaPvRmT3_T4_T5_mT6_P12ihipStream_tbENKUlT_T0_E_clISt17integral_constantIbLb0EEST_IbLb1EEEEDaSP_SQ_EUlSP_E0_NS1_11comp_targetILNS1_3genE4ELNS1_11target_archE910ELNS1_3gpuE8ELNS1_3repE0EEENS1_30default_config_static_selectorELNS0_4arch9wavefront6targetE1EEEvT1_
		.amdhsa_group_segment_fixed_size 5120
		.amdhsa_private_segment_fixed_size 0
		.amdhsa_kernarg_size 32
		.amdhsa_user_sgpr_count 6
		.amdhsa_user_sgpr_private_segment_buffer 1
		.amdhsa_user_sgpr_dispatch_ptr 0
		.amdhsa_user_sgpr_queue_ptr 0
		.amdhsa_user_sgpr_kernarg_segment_ptr 1
		.amdhsa_user_sgpr_dispatch_id 0
		.amdhsa_user_sgpr_flat_scratch_init 0
		.amdhsa_user_sgpr_kernarg_preload_length 0
		.amdhsa_user_sgpr_kernarg_preload_offset 0
		.amdhsa_user_sgpr_private_segment_size 0
		.amdhsa_uses_dynamic_stack 0
		.amdhsa_system_sgpr_private_segment_wavefront_offset 0
		.amdhsa_system_sgpr_workgroup_id_x 1
		.amdhsa_system_sgpr_workgroup_id_y 0
		.amdhsa_system_sgpr_workgroup_id_z 0
		.amdhsa_system_sgpr_workgroup_info 0
		.amdhsa_system_vgpr_workitem_id 0
		.amdhsa_next_free_vgpr 19
		.amdhsa_next_free_sgpr 25
		.amdhsa_accum_offset 20
		.amdhsa_reserve_vcc 1
		.amdhsa_reserve_flat_scratch 0
		.amdhsa_float_round_mode_32 0
		.amdhsa_float_round_mode_16_64 0
		.amdhsa_float_denorm_mode_32 3
		.amdhsa_float_denorm_mode_16_64 3
		.amdhsa_dx10_clamp 1
		.amdhsa_ieee_mode 1
		.amdhsa_fp16_overflow 0
		.amdhsa_tg_split 0
		.amdhsa_exception_fp_ieee_invalid_op 0
		.amdhsa_exception_fp_denorm_src 0
		.amdhsa_exception_fp_ieee_div_zero 0
		.amdhsa_exception_fp_ieee_overflow 0
		.amdhsa_exception_fp_ieee_underflow 0
		.amdhsa_exception_fp_ieee_inexact 0
		.amdhsa_exception_int_div_zero 0
	.end_amdhsa_kernel
	.section	.text._ZN7rocprim17ROCPRIM_400000_NS6detail17trampoline_kernelINS0_14default_configENS1_20scan_config_selectorIjEEZZNS1_9scan_implILNS1_25lookback_scan_determinismE0ELb1ELb1ES3_N6thrust23THRUST_200600_302600_NS6detail15normal_iteratorINS9_10device_ptrIjEEEESE_j11max_functorIjEjEEDaPvRmT3_T4_T5_mT6_P12ihipStream_tbENKUlT_T0_E_clISt17integral_constantIbLb0EEST_IbLb1EEEEDaSP_SQ_EUlSP_E0_NS1_11comp_targetILNS1_3genE4ELNS1_11target_archE910ELNS1_3gpuE8ELNS1_3repE0EEENS1_30default_config_static_selectorELNS0_4arch9wavefront6targetE1EEEvT1_,"axG",@progbits,_ZN7rocprim17ROCPRIM_400000_NS6detail17trampoline_kernelINS0_14default_configENS1_20scan_config_selectorIjEEZZNS1_9scan_implILNS1_25lookback_scan_determinismE0ELb1ELb1ES3_N6thrust23THRUST_200600_302600_NS6detail15normal_iteratorINS9_10device_ptrIjEEEESE_j11max_functorIjEjEEDaPvRmT3_T4_T5_mT6_P12ihipStream_tbENKUlT_T0_E_clISt17integral_constantIbLb0EEST_IbLb1EEEEDaSP_SQ_EUlSP_E0_NS1_11comp_targetILNS1_3genE4ELNS1_11target_archE910ELNS1_3gpuE8ELNS1_3repE0EEENS1_30default_config_static_selectorELNS0_4arch9wavefront6targetE1EEEvT1_,comdat
.Lfunc_end2394:
	.size	_ZN7rocprim17ROCPRIM_400000_NS6detail17trampoline_kernelINS0_14default_configENS1_20scan_config_selectorIjEEZZNS1_9scan_implILNS1_25lookback_scan_determinismE0ELb1ELb1ES3_N6thrust23THRUST_200600_302600_NS6detail15normal_iteratorINS9_10device_ptrIjEEEESE_j11max_functorIjEjEEDaPvRmT3_T4_T5_mT6_P12ihipStream_tbENKUlT_T0_E_clISt17integral_constantIbLb0EEST_IbLb1EEEEDaSP_SQ_EUlSP_E0_NS1_11comp_targetILNS1_3genE4ELNS1_11target_archE910ELNS1_3gpuE8ELNS1_3repE0EEENS1_30default_config_static_selectorELNS0_4arch9wavefront6targetE1EEEvT1_, .Lfunc_end2394-_ZN7rocprim17ROCPRIM_400000_NS6detail17trampoline_kernelINS0_14default_configENS1_20scan_config_selectorIjEEZZNS1_9scan_implILNS1_25lookback_scan_determinismE0ELb1ELb1ES3_N6thrust23THRUST_200600_302600_NS6detail15normal_iteratorINS9_10device_ptrIjEEEESE_j11max_functorIjEjEEDaPvRmT3_T4_T5_mT6_P12ihipStream_tbENKUlT_T0_E_clISt17integral_constantIbLb0EEST_IbLb1EEEEDaSP_SQ_EUlSP_E0_NS1_11comp_targetILNS1_3genE4ELNS1_11target_archE910ELNS1_3gpuE8ELNS1_3repE0EEENS1_30default_config_static_selectorELNS0_4arch9wavefront6targetE1EEEvT1_
                                        ; -- End function
	.section	.AMDGPU.csdata,"",@progbits
; Kernel info:
; codeLenInByte = 1544
; NumSgprs: 29
; NumVgprs: 19
; NumAgprs: 0
; TotalNumVgprs: 19
; ScratchSize: 0
; MemoryBound: 0
; FloatMode: 240
; IeeeMode: 1
; LDSByteSize: 5120 bytes/workgroup (compile time only)
; SGPRBlocks: 3
; VGPRBlocks: 2
; NumSGPRsForWavesPerEU: 29
; NumVGPRsForWavesPerEU: 19
; AccumOffset: 20
; Occupancy: 6
; WaveLimiterHint : 0
; COMPUTE_PGM_RSRC2:SCRATCH_EN: 0
; COMPUTE_PGM_RSRC2:USER_SGPR: 6
; COMPUTE_PGM_RSRC2:TRAP_HANDLER: 0
; COMPUTE_PGM_RSRC2:TGID_X_EN: 1
; COMPUTE_PGM_RSRC2:TGID_Y_EN: 0
; COMPUTE_PGM_RSRC2:TGID_Z_EN: 0
; COMPUTE_PGM_RSRC2:TIDIG_COMP_CNT: 0
; COMPUTE_PGM_RSRC3_GFX90A:ACCUM_OFFSET: 4
; COMPUTE_PGM_RSRC3_GFX90A:TG_SPLIT: 0
	.section	.text._ZN7rocprim17ROCPRIM_400000_NS6detail17trampoline_kernelINS0_14default_configENS1_20scan_config_selectorIjEEZZNS1_9scan_implILNS1_25lookback_scan_determinismE0ELb1ELb1ES3_N6thrust23THRUST_200600_302600_NS6detail15normal_iteratorINS9_10device_ptrIjEEEESE_j11max_functorIjEjEEDaPvRmT3_T4_T5_mT6_P12ihipStream_tbENKUlT_T0_E_clISt17integral_constantIbLb0EEST_IbLb1EEEEDaSP_SQ_EUlSP_E0_NS1_11comp_targetILNS1_3genE3ELNS1_11target_archE908ELNS1_3gpuE7ELNS1_3repE0EEENS1_30default_config_static_selectorELNS0_4arch9wavefront6targetE1EEEvT1_,"axG",@progbits,_ZN7rocprim17ROCPRIM_400000_NS6detail17trampoline_kernelINS0_14default_configENS1_20scan_config_selectorIjEEZZNS1_9scan_implILNS1_25lookback_scan_determinismE0ELb1ELb1ES3_N6thrust23THRUST_200600_302600_NS6detail15normal_iteratorINS9_10device_ptrIjEEEESE_j11max_functorIjEjEEDaPvRmT3_T4_T5_mT6_P12ihipStream_tbENKUlT_T0_E_clISt17integral_constantIbLb0EEST_IbLb1EEEEDaSP_SQ_EUlSP_E0_NS1_11comp_targetILNS1_3genE3ELNS1_11target_archE908ELNS1_3gpuE7ELNS1_3repE0EEENS1_30default_config_static_selectorELNS0_4arch9wavefront6targetE1EEEvT1_,comdat
	.protected	_ZN7rocprim17ROCPRIM_400000_NS6detail17trampoline_kernelINS0_14default_configENS1_20scan_config_selectorIjEEZZNS1_9scan_implILNS1_25lookback_scan_determinismE0ELb1ELb1ES3_N6thrust23THRUST_200600_302600_NS6detail15normal_iteratorINS9_10device_ptrIjEEEESE_j11max_functorIjEjEEDaPvRmT3_T4_T5_mT6_P12ihipStream_tbENKUlT_T0_E_clISt17integral_constantIbLb0EEST_IbLb1EEEEDaSP_SQ_EUlSP_E0_NS1_11comp_targetILNS1_3genE3ELNS1_11target_archE908ELNS1_3gpuE7ELNS1_3repE0EEENS1_30default_config_static_selectorELNS0_4arch9wavefront6targetE1EEEvT1_ ; -- Begin function _ZN7rocprim17ROCPRIM_400000_NS6detail17trampoline_kernelINS0_14default_configENS1_20scan_config_selectorIjEEZZNS1_9scan_implILNS1_25lookback_scan_determinismE0ELb1ELb1ES3_N6thrust23THRUST_200600_302600_NS6detail15normal_iteratorINS9_10device_ptrIjEEEESE_j11max_functorIjEjEEDaPvRmT3_T4_T5_mT6_P12ihipStream_tbENKUlT_T0_E_clISt17integral_constantIbLb0EEST_IbLb1EEEEDaSP_SQ_EUlSP_E0_NS1_11comp_targetILNS1_3genE3ELNS1_11target_archE908ELNS1_3gpuE7ELNS1_3repE0EEENS1_30default_config_static_selectorELNS0_4arch9wavefront6targetE1EEEvT1_
	.globl	_ZN7rocprim17ROCPRIM_400000_NS6detail17trampoline_kernelINS0_14default_configENS1_20scan_config_selectorIjEEZZNS1_9scan_implILNS1_25lookback_scan_determinismE0ELb1ELb1ES3_N6thrust23THRUST_200600_302600_NS6detail15normal_iteratorINS9_10device_ptrIjEEEESE_j11max_functorIjEjEEDaPvRmT3_T4_T5_mT6_P12ihipStream_tbENKUlT_T0_E_clISt17integral_constantIbLb0EEST_IbLb1EEEEDaSP_SQ_EUlSP_E0_NS1_11comp_targetILNS1_3genE3ELNS1_11target_archE908ELNS1_3gpuE7ELNS1_3repE0EEENS1_30default_config_static_selectorELNS0_4arch9wavefront6targetE1EEEvT1_
	.p2align	8
	.type	_ZN7rocprim17ROCPRIM_400000_NS6detail17trampoline_kernelINS0_14default_configENS1_20scan_config_selectorIjEEZZNS1_9scan_implILNS1_25lookback_scan_determinismE0ELb1ELb1ES3_N6thrust23THRUST_200600_302600_NS6detail15normal_iteratorINS9_10device_ptrIjEEEESE_j11max_functorIjEjEEDaPvRmT3_T4_T5_mT6_P12ihipStream_tbENKUlT_T0_E_clISt17integral_constantIbLb0EEST_IbLb1EEEEDaSP_SQ_EUlSP_E0_NS1_11comp_targetILNS1_3genE3ELNS1_11target_archE908ELNS1_3gpuE7ELNS1_3repE0EEENS1_30default_config_static_selectorELNS0_4arch9wavefront6targetE1EEEvT1_,@function
_ZN7rocprim17ROCPRIM_400000_NS6detail17trampoline_kernelINS0_14default_configENS1_20scan_config_selectorIjEEZZNS1_9scan_implILNS1_25lookback_scan_determinismE0ELb1ELb1ES3_N6thrust23THRUST_200600_302600_NS6detail15normal_iteratorINS9_10device_ptrIjEEEESE_j11max_functorIjEjEEDaPvRmT3_T4_T5_mT6_P12ihipStream_tbENKUlT_T0_E_clISt17integral_constantIbLb0EEST_IbLb1EEEEDaSP_SQ_EUlSP_E0_NS1_11comp_targetILNS1_3genE3ELNS1_11target_archE908ELNS1_3gpuE7ELNS1_3repE0EEENS1_30default_config_static_selectorELNS0_4arch9wavefront6targetE1EEEvT1_: ; @_ZN7rocprim17ROCPRIM_400000_NS6detail17trampoline_kernelINS0_14default_configENS1_20scan_config_selectorIjEEZZNS1_9scan_implILNS1_25lookback_scan_determinismE0ELb1ELb1ES3_N6thrust23THRUST_200600_302600_NS6detail15normal_iteratorINS9_10device_ptrIjEEEESE_j11max_functorIjEjEEDaPvRmT3_T4_T5_mT6_P12ihipStream_tbENKUlT_T0_E_clISt17integral_constantIbLb0EEST_IbLb1EEEEDaSP_SQ_EUlSP_E0_NS1_11comp_targetILNS1_3genE3ELNS1_11target_archE908ELNS1_3gpuE7ELNS1_3repE0EEENS1_30default_config_static_selectorELNS0_4arch9wavefront6targetE1EEEvT1_
; %bb.0:
	.section	.rodata,"a",@progbits
	.p2align	6, 0x0
	.amdhsa_kernel _ZN7rocprim17ROCPRIM_400000_NS6detail17trampoline_kernelINS0_14default_configENS1_20scan_config_selectorIjEEZZNS1_9scan_implILNS1_25lookback_scan_determinismE0ELb1ELb1ES3_N6thrust23THRUST_200600_302600_NS6detail15normal_iteratorINS9_10device_ptrIjEEEESE_j11max_functorIjEjEEDaPvRmT3_T4_T5_mT6_P12ihipStream_tbENKUlT_T0_E_clISt17integral_constantIbLb0EEST_IbLb1EEEEDaSP_SQ_EUlSP_E0_NS1_11comp_targetILNS1_3genE3ELNS1_11target_archE908ELNS1_3gpuE7ELNS1_3repE0EEENS1_30default_config_static_selectorELNS0_4arch9wavefront6targetE1EEEvT1_
		.amdhsa_group_segment_fixed_size 0
		.amdhsa_private_segment_fixed_size 0
		.amdhsa_kernarg_size 32
		.amdhsa_user_sgpr_count 6
		.amdhsa_user_sgpr_private_segment_buffer 1
		.amdhsa_user_sgpr_dispatch_ptr 0
		.amdhsa_user_sgpr_queue_ptr 0
		.amdhsa_user_sgpr_kernarg_segment_ptr 1
		.amdhsa_user_sgpr_dispatch_id 0
		.amdhsa_user_sgpr_flat_scratch_init 0
		.amdhsa_user_sgpr_kernarg_preload_length 0
		.amdhsa_user_sgpr_kernarg_preload_offset 0
		.amdhsa_user_sgpr_private_segment_size 0
		.amdhsa_uses_dynamic_stack 0
		.amdhsa_system_sgpr_private_segment_wavefront_offset 0
		.amdhsa_system_sgpr_workgroup_id_x 1
		.amdhsa_system_sgpr_workgroup_id_y 0
		.amdhsa_system_sgpr_workgroup_id_z 0
		.amdhsa_system_sgpr_workgroup_info 0
		.amdhsa_system_vgpr_workitem_id 0
		.amdhsa_next_free_vgpr 1
		.amdhsa_next_free_sgpr 0
		.amdhsa_accum_offset 4
		.amdhsa_reserve_vcc 0
		.amdhsa_reserve_flat_scratch 0
		.amdhsa_float_round_mode_32 0
		.amdhsa_float_round_mode_16_64 0
		.amdhsa_float_denorm_mode_32 3
		.amdhsa_float_denorm_mode_16_64 3
		.amdhsa_dx10_clamp 1
		.amdhsa_ieee_mode 1
		.amdhsa_fp16_overflow 0
		.amdhsa_tg_split 0
		.amdhsa_exception_fp_ieee_invalid_op 0
		.amdhsa_exception_fp_denorm_src 0
		.amdhsa_exception_fp_ieee_div_zero 0
		.amdhsa_exception_fp_ieee_overflow 0
		.amdhsa_exception_fp_ieee_underflow 0
		.amdhsa_exception_fp_ieee_inexact 0
		.amdhsa_exception_int_div_zero 0
	.end_amdhsa_kernel
	.section	.text._ZN7rocprim17ROCPRIM_400000_NS6detail17trampoline_kernelINS0_14default_configENS1_20scan_config_selectorIjEEZZNS1_9scan_implILNS1_25lookback_scan_determinismE0ELb1ELb1ES3_N6thrust23THRUST_200600_302600_NS6detail15normal_iteratorINS9_10device_ptrIjEEEESE_j11max_functorIjEjEEDaPvRmT3_T4_T5_mT6_P12ihipStream_tbENKUlT_T0_E_clISt17integral_constantIbLb0EEST_IbLb1EEEEDaSP_SQ_EUlSP_E0_NS1_11comp_targetILNS1_3genE3ELNS1_11target_archE908ELNS1_3gpuE7ELNS1_3repE0EEENS1_30default_config_static_selectorELNS0_4arch9wavefront6targetE1EEEvT1_,"axG",@progbits,_ZN7rocprim17ROCPRIM_400000_NS6detail17trampoline_kernelINS0_14default_configENS1_20scan_config_selectorIjEEZZNS1_9scan_implILNS1_25lookback_scan_determinismE0ELb1ELb1ES3_N6thrust23THRUST_200600_302600_NS6detail15normal_iteratorINS9_10device_ptrIjEEEESE_j11max_functorIjEjEEDaPvRmT3_T4_T5_mT6_P12ihipStream_tbENKUlT_T0_E_clISt17integral_constantIbLb0EEST_IbLb1EEEEDaSP_SQ_EUlSP_E0_NS1_11comp_targetILNS1_3genE3ELNS1_11target_archE908ELNS1_3gpuE7ELNS1_3repE0EEENS1_30default_config_static_selectorELNS0_4arch9wavefront6targetE1EEEvT1_,comdat
.Lfunc_end2395:
	.size	_ZN7rocprim17ROCPRIM_400000_NS6detail17trampoline_kernelINS0_14default_configENS1_20scan_config_selectorIjEEZZNS1_9scan_implILNS1_25lookback_scan_determinismE0ELb1ELb1ES3_N6thrust23THRUST_200600_302600_NS6detail15normal_iteratorINS9_10device_ptrIjEEEESE_j11max_functorIjEjEEDaPvRmT3_T4_T5_mT6_P12ihipStream_tbENKUlT_T0_E_clISt17integral_constantIbLb0EEST_IbLb1EEEEDaSP_SQ_EUlSP_E0_NS1_11comp_targetILNS1_3genE3ELNS1_11target_archE908ELNS1_3gpuE7ELNS1_3repE0EEENS1_30default_config_static_selectorELNS0_4arch9wavefront6targetE1EEEvT1_, .Lfunc_end2395-_ZN7rocprim17ROCPRIM_400000_NS6detail17trampoline_kernelINS0_14default_configENS1_20scan_config_selectorIjEEZZNS1_9scan_implILNS1_25lookback_scan_determinismE0ELb1ELb1ES3_N6thrust23THRUST_200600_302600_NS6detail15normal_iteratorINS9_10device_ptrIjEEEESE_j11max_functorIjEjEEDaPvRmT3_T4_T5_mT6_P12ihipStream_tbENKUlT_T0_E_clISt17integral_constantIbLb0EEST_IbLb1EEEEDaSP_SQ_EUlSP_E0_NS1_11comp_targetILNS1_3genE3ELNS1_11target_archE908ELNS1_3gpuE7ELNS1_3repE0EEENS1_30default_config_static_selectorELNS0_4arch9wavefront6targetE1EEEvT1_
                                        ; -- End function
	.section	.AMDGPU.csdata,"",@progbits
; Kernel info:
; codeLenInByte = 0
; NumSgprs: 4
; NumVgprs: 0
; NumAgprs: 0
; TotalNumVgprs: 0
; ScratchSize: 0
; MemoryBound: 0
; FloatMode: 240
; IeeeMode: 1
; LDSByteSize: 0 bytes/workgroup (compile time only)
; SGPRBlocks: 0
; VGPRBlocks: 0
; NumSGPRsForWavesPerEU: 4
; NumVGPRsForWavesPerEU: 1
; AccumOffset: 4
; Occupancy: 8
; WaveLimiterHint : 0
; COMPUTE_PGM_RSRC2:SCRATCH_EN: 0
; COMPUTE_PGM_RSRC2:USER_SGPR: 6
; COMPUTE_PGM_RSRC2:TRAP_HANDLER: 0
; COMPUTE_PGM_RSRC2:TGID_X_EN: 1
; COMPUTE_PGM_RSRC2:TGID_Y_EN: 0
; COMPUTE_PGM_RSRC2:TGID_Z_EN: 0
; COMPUTE_PGM_RSRC2:TIDIG_COMP_CNT: 0
; COMPUTE_PGM_RSRC3_GFX90A:ACCUM_OFFSET: 0
; COMPUTE_PGM_RSRC3_GFX90A:TG_SPLIT: 0
	.section	.text._ZN7rocprim17ROCPRIM_400000_NS6detail17trampoline_kernelINS0_14default_configENS1_20scan_config_selectorIjEEZZNS1_9scan_implILNS1_25lookback_scan_determinismE0ELb1ELb1ES3_N6thrust23THRUST_200600_302600_NS6detail15normal_iteratorINS9_10device_ptrIjEEEESE_j11max_functorIjEjEEDaPvRmT3_T4_T5_mT6_P12ihipStream_tbENKUlT_T0_E_clISt17integral_constantIbLb0EEST_IbLb1EEEEDaSP_SQ_EUlSP_E0_NS1_11comp_targetILNS1_3genE2ELNS1_11target_archE906ELNS1_3gpuE6ELNS1_3repE0EEENS1_30default_config_static_selectorELNS0_4arch9wavefront6targetE1EEEvT1_,"axG",@progbits,_ZN7rocprim17ROCPRIM_400000_NS6detail17trampoline_kernelINS0_14default_configENS1_20scan_config_selectorIjEEZZNS1_9scan_implILNS1_25lookback_scan_determinismE0ELb1ELb1ES3_N6thrust23THRUST_200600_302600_NS6detail15normal_iteratorINS9_10device_ptrIjEEEESE_j11max_functorIjEjEEDaPvRmT3_T4_T5_mT6_P12ihipStream_tbENKUlT_T0_E_clISt17integral_constantIbLb0EEST_IbLb1EEEEDaSP_SQ_EUlSP_E0_NS1_11comp_targetILNS1_3genE2ELNS1_11target_archE906ELNS1_3gpuE6ELNS1_3repE0EEENS1_30default_config_static_selectorELNS0_4arch9wavefront6targetE1EEEvT1_,comdat
	.protected	_ZN7rocprim17ROCPRIM_400000_NS6detail17trampoline_kernelINS0_14default_configENS1_20scan_config_selectorIjEEZZNS1_9scan_implILNS1_25lookback_scan_determinismE0ELb1ELb1ES3_N6thrust23THRUST_200600_302600_NS6detail15normal_iteratorINS9_10device_ptrIjEEEESE_j11max_functorIjEjEEDaPvRmT3_T4_T5_mT6_P12ihipStream_tbENKUlT_T0_E_clISt17integral_constantIbLb0EEST_IbLb1EEEEDaSP_SQ_EUlSP_E0_NS1_11comp_targetILNS1_3genE2ELNS1_11target_archE906ELNS1_3gpuE6ELNS1_3repE0EEENS1_30default_config_static_selectorELNS0_4arch9wavefront6targetE1EEEvT1_ ; -- Begin function _ZN7rocprim17ROCPRIM_400000_NS6detail17trampoline_kernelINS0_14default_configENS1_20scan_config_selectorIjEEZZNS1_9scan_implILNS1_25lookback_scan_determinismE0ELb1ELb1ES3_N6thrust23THRUST_200600_302600_NS6detail15normal_iteratorINS9_10device_ptrIjEEEESE_j11max_functorIjEjEEDaPvRmT3_T4_T5_mT6_P12ihipStream_tbENKUlT_T0_E_clISt17integral_constantIbLb0EEST_IbLb1EEEEDaSP_SQ_EUlSP_E0_NS1_11comp_targetILNS1_3genE2ELNS1_11target_archE906ELNS1_3gpuE6ELNS1_3repE0EEENS1_30default_config_static_selectorELNS0_4arch9wavefront6targetE1EEEvT1_
	.globl	_ZN7rocprim17ROCPRIM_400000_NS6detail17trampoline_kernelINS0_14default_configENS1_20scan_config_selectorIjEEZZNS1_9scan_implILNS1_25lookback_scan_determinismE0ELb1ELb1ES3_N6thrust23THRUST_200600_302600_NS6detail15normal_iteratorINS9_10device_ptrIjEEEESE_j11max_functorIjEjEEDaPvRmT3_T4_T5_mT6_P12ihipStream_tbENKUlT_T0_E_clISt17integral_constantIbLb0EEST_IbLb1EEEEDaSP_SQ_EUlSP_E0_NS1_11comp_targetILNS1_3genE2ELNS1_11target_archE906ELNS1_3gpuE6ELNS1_3repE0EEENS1_30default_config_static_selectorELNS0_4arch9wavefront6targetE1EEEvT1_
	.p2align	8
	.type	_ZN7rocprim17ROCPRIM_400000_NS6detail17trampoline_kernelINS0_14default_configENS1_20scan_config_selectorIjEEZZNS1_9scan_implILNS1_25lookback_scan_determinismE0ELb1ELb1ES3_N6thrust23THRUST_200600_302600_NS6detail15normal_iteratorINS9_10device_ptrIjEEEESE_j11max_functorIjEjEEDaPvRmT3_T4_T5_mT6_P12ihipStream_tbENKUlT_T0_E_clISt17integral_constantIbLb0EEST_IbLb1EEEEDaSP_SQ_EUlSP_E0_NS1_11comp_targetILNS1_3genE2ELNS1_11target_archE906ELNS1_3gpuE6ELNS1_3repE0EEENS1_30default_config_static_selectorELNS0_4arch9wavefront6targetE1EEEvT1_,@function
_ZN7rocprim17ROCPRIM_400000_NS6detail17trampoline_kernelINS0_14default_configENS1_20scan_config_selectorIjEEZZNS1_9scan_implILNS1_25lookback_scan_determinismE0ELb1ELb1ES3_N6thrust23THRUST_200600_302600_NS6detail15normal_iteratorINS9_10device_ptrIjEEEESE_j11max_functorIjEjEEDaPvRmT3_T4_T5_mT6_P12ihipStream_tbENKUlT_T0_E_clISt17integral_constantIbLb0EEST_IbLb1EEEEDaSP_SQ_EUlSP_E0_NS1_11comp_targetILNS1_3genE2ELNS1_11target_archE906ELNS1_3gpuE6ELNS1_3repE0EEENS1_30default_config_static_selectorELNS0_4arch9wavefront6targetE1EEEvT1_: ; @_ZN7rocprim17ROCPRIM_400000_NS6detail17trampoline_kernelINS0_14default_configENS1_20scan_config_selectorIjEEZZNS1_9scan_implILNS1_25lookback_scan_determinismE0ELb1ELb1ES3_N6thrust23THRUST_200600_302600_NS6detail15normal_iteratorINS9_10device_ptrIjEEEESE_j11max_functorIjEjEEDaPvRmT3_T4_T5_mT6_P12ihipStream_tbENKUlT_T0_E_clISt17integral_constantIbLb0EEST_IbLb1EEEEDaSP_SQ_EUlSP_E0_NS1_11comp_targetILNS1_3genE2ELNS1_11target_archE906ELNS1_3gpuE6ELNS1_3repE0EEENS1_30default_config_static_selectorELNS0_4arch9wavefront6targetE1EEEvT1_
; %bb.0:
	.section	.rodata,"a",@progbits
	.p2align	6, 0x0
	.amdhsa_kernel _ZN7rocprim17ROCPRIM_400000_NS6detail17trampoline_kernelINS0_14default_configENS1_20scan_config_selectorIjEEZZNS1_9scan_implILNS1_25lookback_scan_determinismE0ELb1ELb1ES3_N6thrust23THRUST_200600_302600_NS6detail15normal_iteratorINS9_10device_ptrIjEEEESE_j11max_functorIjEjEEDaPvRmT3_T4_T5_mT6_P12ihipStream_tbENKUlT_T0_E_clISt17integral_constantIbLb0EEST_IbLb1EEEEDaSP_SQ_EUlSP_E0_NS1_11comp_targetILNS1_3genE2ELNS1_11target_archE906ELNS1_3gpuE6ELNS1_3repE0EEENS1_30default_config_static_selectorELNS0_4arch9wavefront6targetE1EEEvT1_
		.amdhsa_group_segment_fixed_size 0
		.amdhsa_private_segment_fixed_size 0
		.amdhsa_kernarg_size 32
		.amdhsa_user_sgpr_count 6
		.amdhsa_user_sgpr_private_segment_buffer 1
		.amdhsa_user_sgpr_dispatch_ptr 0
		.amdhsa_user_sgpr_queue_ptr 0
		.amdhsa_user_sgpr_kernarg_segment_ptr 1
		.amdhsa_user_sgpr_dispatch_id 0
		.amdhsa_user_sgpr_flat_scratch_init 0
		.amdhsa_user_sgpr_kernarg_preload_length 0
		.amdhsa_user_sgpr_kernarg_preload_offset 0
		.amdhsa_user_sgpr_private_segment_size 0
		.amdhsa_uses_dynamic_stack 0
		.amdhsa_system_sgpr_private_segment_wavefront_offset 0
		.amdhsa_system_sgpr_workgroup_id_x 1
		.amdhsa_system_sgpr_workgroup_id_y 0
		.amdhsa_system_sgpr_workgroup_id_z 0
		.amdhsa_system_sgpr_workgroup_info 0
		.amdhsa_system_vgpr_workitem_id 0
		.amdhsa_next_free_vgpr 1
		.amdhsa_next_free_sgpr 0
		.amdhsa_accum_offset 4
		.amdhsa_reserve_vcc 0
		.amdhsa_reserve_flat_scratch 0
		.amdhsa_float_round_mode_32 0
		.amdhsa_float_round_mode_16_64 0
		.amdhsa_float_denorm_mode_32 3
		.amdhsa_float_denorm_mode_16_64 3
		.amdhsa_dx10_clamp 1
		.amdhsa_ieee_mode 1
		.amdhsa_fp16_overflow 0
		.amdhsa_tg_split 0
		.amdhsa_exception_fp_ieee_invalid_op 0
		.amdhsa_exception_fp_denorm_src 0
		.amdhsa_exception_fp_ieee_div_zero 0
		.amdhsa_exception_fp_ieee_overflow 0
		.amdhsa_exception_fp_ieee_underflow 0
		.amdhsa_exception_fp_ieee_inexact 0
		.amdhsa_exception_int_div_zero 0
	.end_amdhsa_kernel
	.section	.text._ZN7rocprim17ROCPRIM_400000_NS6detail17trampoline_kernelINS0_14default_configENS1_20scan_config_selectorIjEEZZNS1_9scan_implILNS1_25lookback_scan_determinismE0ELb1ELb1ES3_N6thrust23THRUST_200600_302600_NS6detail15normal_iteratorINS9_10device_ptrIjEEEESE_j11max_functorIjEjEEDaPvRmT3_T4_T5_mT6_P12ihipStream_tbENKUlT_T0_E_clISt17integral_constantIbLb0EEST_IbLb1EEEEDaSP_SQ_EUlSP_E0_NS1_11comp_targetILNS1_3genE2ELNS1_11target_archE906ELNS1_3gpuE6ELNS1_3repE0EEENS1_30default_config_static_selectorELNS0_4arch9wavefront6targetE1EEEvT1_,"axG",@progbits,_ZN7rocprim17ROCPRIM_400000_NS6detail17trampoline_kernelINS0_14default_configENS1_20scan_config_selectorIjEEZZNS1_9scan_implILNS1_25lookback_scan_determinismE0ELb1ELb1ES3_N6thrust23THRUST_200600_302600_NS6detail15normal_iteratorINS9_10device_ptrIjEEEESE_j11max_functorIjEjEEDaPvRmT3_T4_T5_mT6_P12ihipStream_tbENKUlT_T0_E_clISt17integral_constantIbLb0EEST_IbLb1EEEEDaSP_SQ_EUlSP_E0_NS1_11comp_targetILNS1_3genE2ELNS1_11target_archE906ELNS1_3gpuE6ELNS1_3repE0EEENS1_30default_config_static_selectorELNS0_4arch9wavefront6targetE1EEEvT1_,comdat
.Lfunc_end2396:
	.size	_ZN7rocprim17ROCPRIM_400000_NS6detail17trampoline_kernelINS0_14default_configENS1_20scan_config_selectorIjEEZZNS1_9scan_implILNS1_25lookback_scan_determinismE0ELb1ELb1ES3_N6thrust23THRUST_200600_302600_NS6detail15normal_iteratorINS9_10device_ptrIjEEEESE_j11max_functorIjEjEEDaPvRmT3_T4_T5_mT6_P12ihipStream_tbENKUlT_T0_E_clISt17integral_constantIbLb0EEST_IbLb1EEEEDaSP_SQ_EUlSP_E0_NS1_11comp_targetILNS1_3genE2ELNS1_11target_archE906ELNS1_3gpuE6ELNS1_3repE0EEENS1_30default_config_static_selectorELNS0_4arch9wavefront6targetE1EEEvT1_, .Lfunc_end2396-_ZN7rocprim17ROCPRIM_400000_NS6detail17trampoline_kernelINS0_14default_configENS1_20scan_config_selectorIjEEZZNS1_9scan_implILNS1_25lookback_scan_determinismE0ELb1ELb1ES3_N6thrust23THRUST_200600_302600_NS6detail15normal_iteratorINS9_10device_ptrIjEEEESE_j11max_functorIjEjEEDaPvRmT3_T4_T5_mT6_P12ihipStream_tbENKUlT_T0_E_clISt17integral_constantIbLb0EEST_IbLb1EEEEDaSP_SQ_EUlSP_E0_NS1_11comp_targetILNS1_3genE2ELNS1_11target_archE906ELNS1_3gpuE6ELNS1_3repE0EEENS1_30default_config_static_selectorELNS0_4arch9wavefront6targetE1EEEvT1_
                                        ; -- End function
	.section	.AMDGPU.csdata,"",@progbits
; Kernel info:
; codeLenInByte = 0
; NumSgprs: 4
; NumVgprs: 0
; NumAgprs: 0
; TotalNumVgprs: 0
; ScratchSize: 0
; MemoryBound: 0
; FloatMode: 240
; IeeeMode: 1
; LDSByteSize: 0 bytes/workgroup (compile time only)
; SGPRBlocks: 0
; VGPRBlocks: 0
; NumSGPRsForWavesPerEU: 4
; NumVGPRsForWavesPerEU: 1
; AccumOffset: 4
; Occupancy: 8
; WaveLimiterHint : 0
; COMPUTE_PGM_RSRC2:SCRATCH_EN: 0
; COMPUTE_PGM_RSRC2:USER_SGPR: 6
; COMPUTE_PGM_RSRC2:TRAP_HANDLER: 0
; COMPUTE_PGM_RSRC2:TGID_X_EN: 1
; COMPUTE_PGM_RSRC2:TGID_Y_EN: 0
; COMPUTE_PGM_RSRC2:TGID_Z_EN: 0
; COMPUTE_PGM_RSRC2:TIDIG_COMP_CNT: 0
; COMPUTE_PGM_RSRC3_GFX90A:ACCUM_OFFSET: 0
; COMPUTE_PGM_RSRC3_GFX90A:TG_SPLIT: 0
	.section	.text._ZN7rocprim17ROCPRIM_400000_NS6detail17trampoline_kernelINS0_14default_configENS1_20scan_config_selectorIjEEZZNS1_9scan_implILNS1_25lookback_scan_determinismE0ELb1ELb1ES3_N6thrust23THRUST_200600_302600_NS6detail15normal_iteratorINS9_10device_ptrIjEEEESE_j11max_functorIjEjEEDaPvRmT3_T4_T5_mT6_P12ihipStream_tbENKUlT_T0_E_clISt17integral_constantIbLb0EEST_IbLb1EEEEDaSP_SQ_EUlSP_E0_NS1_11comp_targetILNS1_3genE10ELNS1_11target_archE1201ELNS1_3gpuE5ELNS1_3repE0EEENS1_30default_config_static_selectorELNS0_4arch9wavefront6targetE1EEEvT1_,"axG",@progbits,_ZN7rocprim17ROCPRIM_400000_NS6detail17trampoline_kernelINS0_14default_configENS1_20scan_config_selectorIjEEZZNS1_9scan_implILNS1_25lookback_scan_determinismE0ELb1ELb1ES3_N6thrust23THRUST_200600_302600_NS6detail15normal_iteratorINS9_10device_ptrIjEEEESE_j11max_functorIjEjEEDaPvRmT3_T4_T5_mT6_P12ihipStream_tbENKUlT_T0_E_clISt17integral_constantIbLb0EEST_IbLb1EEEEDaSP_SQ_EUlSP_E0_NS1_11comp_targetILNS1_3genE10ELNS1_11target_archE1201ELNS1_3gpuE5ELNS1_3repE0EEENS1_30default_config_static_selectorELNS0_4arch9wavefront6targetE1EEEvT1_,comdat
	.protected	_ZN7rocprim17ROCPRIM_400000_NS6detail17trampoline_kernelINS0_14default_configENS1_20scan_config_selectorIjEEZZNS1_9scan_implILNS1_25lookback_scan_determinismE0ELb1ELb1ES3_N6thrust23THRUST_200600_302600_NS6detail15normal_iteratorINS9_10device_ptrIjEEEESE_j11max_functorIjEjEEDaPvRmT3_T4_T5_mT6_P12ihipStream_tbENKUlT_T0_E_clISt17integral_constantIbLb0EEST_IbLb1EEEEDaSP_SQ_EUlSP_E0_NS1_11comp_targetILNS1_3genE10ELNS1_11target_archE1201ELNS1_3gpuE5ELNS1_3repE0EEENS1_30default_config_static_selectorELNS0_4arch9wavefront6targetE1EEEvT1_ ; -- Begin function _ZN7rocprim17ROCPRIM_400000_NS6detail17trampoline_kernelINS0_14default_configENS1_20scan_config_selectorIjEEZZNS1_9scan_implILNS1_25lookback_scan_determinismE0ELb1ELb1ES3_N6thrust23THRUST_200600_302600_NS6detail15normal_iteratorINS9_10device_ptrIjEEEESE_j11max_functorIjEjEEDaPvRmT3_T4_T5_mT6_P12ihipStream_tbENKUlT_T0_E_clISt17integral_constantIbLb0EEST_IbLb1EEEEDaSP_SQ_EUlSP_E0_NS1_11comp_targetILNS1_3genE10ELNS1_11target_archE1201ELNS1_3gpuE5ELNS1_3repE0EEENS1_30default_config_static_selectorELNS0_4arch9wavefront6targetE1EEEvT1_
	.globl	_ZN7rocprim17ROCPRIM_400000_NS6detail17trampoline_kernelINS0_14default_configENS1_20scan_config_selectorIjEEZZNS1_9scan_implILNS1_25lookback_scan_determinismE0ELb1ELb1ES3_N6thrust23THRUST_200600_302600_NS6detail15normal_iteratorINS9_10device_ptrIjEEEESE_j11max_functorIjEjEEDaPvRmT3_T4_T5_mT6_P12ihipStream_tbENKUlT_T0_E_clISt17integral_constantIbLb0EEST_IbLb1EEEEDaSP_SQ_EUlSP_E0_NS1_11comp_targetILNS1_3genE10ELNS1_11target_archE1201ELNS1_3gpuE5ELNS1_3repE0EEENS1_30default_config_static_selectorELNS0_4arch9wavefront6targetE1EEEvT1_
	.p2align	8
	.type	_ZN7rocprim17ROCPRIM_400000_NS6detail17trampoline_kernelINS0_14default_configENS1_20scan_config_selectorIjEEZZNS1_9scan_implILNS1_25lookback_scan_determinismE0ELb1ELb1ES3_N6thrust23THRUST_200600_302600_NS6detail15normal_iteratorINS9_10device_ptrIjEEEESE_j11max_functorIjEjEEDaPvRmT3_T4_T5_mT6_P12ihipStream_tbENKUlT_T0_E_clISt17integral_constantIbLb0EEST_IbLb1EEEEDaSP_SQ_EUlSP_E0_NS1_11comp_targetILNS1_3genE10ELNS1_11target_archE1201ELNS1_3gpuE5ELNS1_3repE0EEENS1_30default_config_static_selectorELNS0_4arch9wavefront6targetE1EEEvT1_,@function
_ZN7rocprim17ROCPRIM_400000_NS6detail17trampoline_kernelINS0_14default_configENS1_20scan_config_selectorIjEEZZNS1_9scan_implILNS1_25lookback_scan_determinismE0ELb1ELb1ES3_N6thrust23THRUST_200600_302600_NS6detail15normal_iteratorINS9_10device_ptrIjEEEESE_j11max_functorIjEjEEDaPvRmT3_T4_T5_mT6_P12ihipStream_tbENKUlT_T0_E_clISt17integral_constantIbLb0EEST_IbLb1EEEEDaSP_SQ_EUlSP_E0_NS1_11comp_targetILNS1_3genE10ELNS1_11target_archE1201ELNS1_3gpuE5ELNS1_3repE0EEENS1_30default_config_static_selectorELNS0_4arch9wavefront6targetE1EEEvT1_: ; @_ZN7rocprim17ROCPRIM_400000_NS6detail17trampoline_kernelINS0_14default_configENS1_20scan_config_selectorIjEEZZNS1_9scan_implILNS1_25lookback_scan_determinismE0ELb1ELb1ES3_N6thrust23THRUST_200600_302600_NS6detail15normal_iteratorINS9_10device_ptrIjEEEESE_j11max_functorIjEjEEDaPvRmT3_T4_T5_mT6_P12ihipStream_tbENKUlT_T0_E_clISt17integral_constantIbLb0EEST_IbLb1EEEEDaSP_SQ_EUlSP_E0_NS1_11comp_targetILNS1_3genE10ELNS1_11target_archE1201ELNS1_3gpuE5ELNS1_3repE0EEENS1_30default_config_static_selectorELNS0_4arch9wavefront6targetE1EEEvT1_
; %bb.0:
	.section	.rodata,"a",@progbits
	.p2align	6, 0x0
	.amdhsa_kernel _ZN7rocprim17ROCPRIM_400000_NS6detail17trampoline_kernelINS0_14default_configENS1_20scan_config_selectorIjEEZZNS1_9scan_implILNS1_25lookback_scan_determinismE0ELb1ELb1ES3_N6thrust23THRUST_200600_302600_NS6detail15normal_iteratorINS9_10device_ptrIjEEEESE_j11max_functorIjEjEEDaPvRmT3_T4_T5_mT6_P12ihipStream_tbENKUlT_T0_E_clISt17integral_constantIbLb0EEST_IbLb1EEEEDaSP_SQ_EUlSP_E0_NS1_11comp_targetILNS1_3genE10ELNS1_11target_archE1201ELNS1_3gpuE5ELNS1_3repE0EEENS1_30default_config_static_selectorELNS0_4arch9wavefront6targetE1EEEvT1_
		.amdhsa_group_segment_fixed_size 0
		.amdhsa_private_segment_fixed_size 0
		.amdhsa_kernarg_size 32
		.amdhsa_user_sgpr_count 6
		.amdhsa_user_sgpr_private_segment_buffer 1
		.amdhsa_user_sgpr_dispatch_ptr 0
		.amdhsa_user_sgpr_queue_ptr 0
		.amdhsa_user_sgpr_kernarg_segment_ptr 1
		.amdhsa_user_sgpr_dispatch_id 0
		.amdhsa_user_sgpr_flat_scratch_init 0
		.amdhsa_user_sgpr_kernarg_preload_length 0
		.amdhsa_user_sgpr_kernarg_preload_offset 0
		.amdhsa_user_sgpr_private_segment_size 0
		.amdhsa_uses_dynamic_stack 0
		.amdhsa_system_sgpr_private_segment_wavefront_offset 0
		.amdhsa_system_sgpr_workgroup_id_x 1
		.amdhsa_system_sgpr_workgroup_id_y 0
		.amdhsa_system_sgpr_workgroup_id_z 0
		.amdhsa_system_sgpr_workgroup_info 0
		.amdhsa_system_vgpr_workitem_id 0
		.amdhsa_next_free_vgpr 1
		.amdhsa_next_free_sgpr 0
		.amdhsa_accum_offset 4
		.amdhsa_reserve_vcc 0
		.amdhsa_reserve_flat_scratch 0
		.amdhsa_float_round_mode_32 0
		.amdhsa_float_round_mode_16_64 0
		.amdhsa_float_denorm_mode_32 3
		.amdhsa_float_denorm_mode_16_64 3
		.amdhsa_dx10_clamp 1
		.amdhsa_ieee_mode 1
		.amdhsa_fp16_overflow 0
		.amdhsa_tg_split 0
		.amdhsa_exception_fp_ieee_invalid_op 0
		.amdhsa_exception_fp_denorm_src 0
		.amdhsa_exception_fp_ieee_div_zero 0
		.amdhsa_exception_fp_ieee_overflow 0
		.amdhsa_exception_fp_ieee_underflow 0
		.amdhsa_exception_fp_ieee_inexact 0
		.amdhsa_exception_int_div_zero 0
	.end_amdhsa_kernel
	.section	.text._ZN7rocprim17ROCPRIM_400000_NS6detail17trampoline_kernelINS0_14default_configENS1_20scan_config_selectorIjEEZZNS1_9scan_implILNS1_25lookback_scan_determinismE0ELb1ELb1ES3_N6thrust23THRUST_200600_302600_NS6detail15normal_iteratorINS9_10device_ptrIjEEEESE_j11max_functorIjEjEEDaPvRmT3_T4_T5_mT6_P12ihipStream_tbENKUlT_T0_E_clISt17integral_constantIbLb0EEST_IbLb1EEEEDaSP_SQ_EUlSP_E0_NS1_11comp_targetILNS1_3genE10ELNS1_11target_archE1201ELNS1_3gpuE5ELNS1_3repE0EEENS1_30default_config_static_selectorELNS0_4arch9wavefront6targetE1EEEvT1_,"axG",@progbits,_ZN7rocprim17ROCPRIM_400000_NS6detail17trampoline_kernelINS0_14default_configENS1_20scan_config_selectorIjEEZZNS1_9scan_implILNS1_25lookback_scan_determinismE0ELb1ELb1ES3_N6thrust23THRUST_200600_302600_NS6detail15normal_iteratorINS9_10device_ptrIjEEEESE_j11max_functorIjEjEEDaPvRmT3_T4_T5_mT6_P12ihipStream_tbENKUlT_T0_E_clISt17integral_constantIbLb0EEST_IbLb1EEEEDaSP_SQ_EUlSP_E0_NS1_11comp_targetILNS1_3genE10ELNS1_11target_archE1201ELNS1_3gpuE5ELNS1_3repE0EEENS1_30default_config_static_selectorELNS0_4arch9wavefront6targetE1EEEvT1_,comdat
.Lfunc_end2397:
	.size	_ZN7rocprim17ROCPRIM_400000_NS6detail17trampoline_kernelINS0_14default_configENS1_20scan_config_selectorIjEEZZNS1_9scan_implILNS1_25lookback_scan_determinismE0ELb1ELb1ES3_N6thrust23THRUST_200600_302600_NS6detail15normal_iteratorINS9_10device_ptrIjEEEESE_j11max_functorIjEjEEDaPvRmT3_T4_T5_mT6_P12ihipStream_tbENKUlT_T0_E_clISt17integral_constantIbLb0EEST_IbLb1EEEEDaSP_SQ_EUlSP_E0_NS1_11comp_targetILNS1_3genE10ELNS1_11target_archE1201ELNS1_3gpuE5ELNS1_3repE0EEENS1_30default_config_static_selectorELNS0_4arch9wavefront6targetE1EEEvT1_, .Lfunc_end2397-_ZN7rocprim17ROCPRIM_400000_NS6detail17trampoline_kernelINS0_14default_configENS1_20scan_config_selectorIjEEZZNS1_9scan_implILNS1_25lookback_scan_determinismE0ELb1ELb1ES3_N6thrust23THRUST_200600_302600_NS6detail15normal_iteratorINS9_10device_ptrIjEEEESE_j11max_functorIjEjEEDaPvRmT3_T4_T5_mT6_P12ihipStream_tbENKUlT_T0_E_clISt17integral_constantIbLb0EEST_IbLb1EEEEDaSP_SQ_EUlSP_E0_NS1_11comp_targetILNS1_3genE10ELNS1_11target_archE1201ELNS1_3gpuE5ELNS1_3repE0EEENS1_30default_config_static_selectorELNS0_4arch9wavefront6targetE1EEEvT1_
                                        ; -- End function
	.section	.AMDGPU.csdata,"",@progbits
; Kernel info:
; codeLenInByte = 0
; NumSgprs: 4
; NumVgprs: 0
; NumAgprs: 0
; TotalNumVgprs: 0
; ScratchSize: 0
; MemoryBound: 0
; FloatMode: 240
; IeeeMode: 1
; LDSByteSize: 0 bytes/workgroup (compile time only)
; SGPRBlocks: 0
; VGPRBlocks: 0
; NumSGPRsForWavesPerEU: 4
; NumVGPRsForWavesPerEU: 1
; AccumOffset: 4
; Occupancy: 8
; WaveLimiterHint : 0
; COMPUTE_PGM_RSRC2:SCRATCH_EN: 0
; COMPUTE_PGM_RSRC2:USER_SGPR: 6
; COMPUTE_PGM_RSRC2:TRAP_HANDLER: 0
; COMPUTE_PGM_RSRC2:TGID_X_EN: 1
; COMPUTE_PGM_RSRC2:TGID_Y_EN: 0
; COMPUTE_PGM_RSRC2:TGID_Z_EN: 0
; COMPUTE_PGM_RSRC2:TIDIG_COMP_CNT: 0
; COMPUTE_PGM_RSRC3_GFX90A:ACCUM_OFFSET: 0
; COMPUTE_PGM_RSRC3_GFX90A:TG_SPLIT: 0
	.section	.text._ZN7rocprim17ROCPRIM_400000_NS6detail17trampoline_kernelINS0_14default_configENS1_20scan_config_selectorIjEEZZNS1_9scan_implILNS1_25lookback_scan_determinismE0ELb1ELb1ES3_N6thrust23THRUST_200600_302600_NS6detail15normal_iteratorINS9_10device_ptrIjEEEESE_j11max_functorIjEjEEDaPvRmT3_T4_T5_mT6_P12ihipStream_tbENKUlT_T0_E_clISt17integral_constantIbLb0EEST_IbLb1EEEEDaSP_SQ_EUlSP_E0_NS1_11comp_targetILNS1_3genE10ELNS1_11target_archE1200ELNS1_3gpuE4ELNS1_3repE0EEENS1_30default_config_static_selectorELNS0_4arch9wavefront6targetE1EEEvT1_,"axG",@progbits,_ZN7rocprim17ROCPRIM_400000_NS6detail17trampoline_kernelINS0_14default_configENS1_20scan_config_selectorIjEEZZNS1_9scan_implILNS1_25lookback_scan_determinismE0ELb1ELb1ES3_N6thrust23THRUST_200600_302600_NS6detail15normal_iteratorINS9_10device_ptrIjEEEESE_j11max_functorIjEjEEDaPvRmT3_T4_T5_mT6_P12ihipStream_tbENKUlT_T0_E_clISt17integral_constantIbLb0EEST_IbLb1EEEEDaSP_SQ_EUlSP_E0_NS1_11comp_targetILNS1_3genE10ELNS1_11target_archE1200ELNS1_3gpuE4ELNS1_3repE0EEENS1_30default_config_static_selectorELNS0_4arch9wavefront6targetE1EEEvT1_,comdat
	.protected	_ZN7rocprim17ROCPRIM_400000_NS6detail17trampoline_kernelINS0_14default_configENS1_20scan_config_selectorIjEEZZNS1_9scan_implILNS1_25lookback_scan_determinismE0ELb1ELb1ES3_N6thrust23THRUST_200600_302600_NS6detail15normal_iteratorINS9_10device_ptrIjEEEESE_j11max_functorIjEjEEDaPvRmT3_T4_T5_mT6_P12ihipStream_tbENKUlT_T0_E_clISt17integral_constantIbLb0EEST_IbLb1EEEEDaSP_SQ_EUlSP_E0_NS1_11comp_targetILNS1_3genE10ELNS1_11target_archE1200ELNS1_3gpuE4ELNS1_3repE0EEENS1_30default_config_static_selectorELNS0_4arch9wavefront6targetE1EEEvT1_ ; -- Begin function _ZN7rocprim17ROCPRIM_400000_NS6detail17trampoline_kernelINS0_14default_configENS1_20scan_config_selectorIjEEZZNS1_9scan_implILNS1_25lookback_scan_determinismE0ELb1ELb1ES3_N6thrust23THRUST_200600_302600_NS6detail15normal_iteratorINS9_10device_ptrIjEEEESE_j11max_functorIjEjEEDaPvRmT3_T4_T5_mT6_P12ihipStream_tbENKUlT_T0_E_clISt17integral_constantIbLb0EEST_IbLb1EEEEDaSP_SQ_EUlSP_E0_NS1_11comp_targetILNS1_3genE10ELNS1_11target_archE1200ELNS1_3gpuE4ELNS1_3repE0EEENS1_30default_config_static_selectorELNS0_4arch9wavefront6targetE1EEEvT1_
	.globl	_ZN7rocprim17ROCPRIM_400000_NS6detail17trampoline_kernelINS0_14default_configENS1_20scan_config_selectorIjEEZZNS1_9scan_implILNS1_25lookback_scan_determinismE0ELb1ELb1ES3_N6thrust23THRUST_200600_302600_NS6detail15normal_iteratorINS9_10device_ptrIjEEEESE_j11max_functorIjEjEEDaPvRmT3_T4_T5_mT6_P12ihipStream_tbENKUlT_T0_E_clISt17integral_constantIbLb0EEST_IbLb1EEEEDaSP_SQ_EUlSP_E0_NS1_11comp_targetILNS1_3genE10ELNS1_11target_archE1200ELNS1_3gpuE4ELNS1_3repE0EEENS1_30default_config_static_selectorELNS0_4arch9wavefront6targetE1EEEvT1_
	.p2align	8
	.type	_ZN7rocprim17ROCPRIM_400000_NS6detail17trampoline_kernelINS0_14default_configENS1_20scan_config_selectorIjEEZZNS1_9scan_implILNS1_25lookback_scan_determinismE0ELb1ELb1ES3_N6thrust23THRUST_200600_302600_NS6detail15normal_iteratorINS9_10device_ptrIjEEEESE_j11max_functorIjEjEEDaPvRmT3_T4_T5_mT6_P12ihipStream_tbENKUlT_T0_E_clISt17integral_constantIbLb0EEST_IbLb1EEEEDaSP_SQ_EUlSP_E0_NS1_11comp_targetILNS1_3genE10ELNS1_11target_archE1200ELNS1_3gpuE4ELNS1_3repE0EEENS1_30default_config_static_selectorELNS0_4arch9wavefront6targetE1EEEvT1_,@function
_ZN7rocprim17ROCPRIM_400000_NS6detail17trampoline_kernelINS0_14default_configENS1_20scan_config_selectorIjEEZZNS1_9scan_implILNS1_25lookback_scan_determinismE0ELb1ELb1ES3_N6thrust23THRUST_200600_302600_NS6detail15normal_iteratorINS9_10device_ptrIjEEEESE_j11max_functorIjEjEEDaPvRmT3_T4_T5_mT6_P12ihipStream_tbENKUlT_T0_E_clISt17integral_constantIbLb0EEST_IbLb1EEEEDaSP_SQ_EUlSP_E0_NS1_11comp_targetILNS1_3genE10ELNS1_11target_archE1200ELNS1_3gpuE4ELNS1_3repE0EEENS1_30default_config_static_selectorELNS0_4arch9wavefront6targetE1EEEvT1_: ; @_ZN7rocprim17ROCPRIM_400000_NS6detail17trampoline_kernelINS0_14default_configENS1_20scan_config_selectorIjEEZZNS1_9scan_implILNS1_25lookback_scan_determinismE0ELb1ELb1ES3_N6thrust23THRUST_200600_302600_NS6detail15normal_iteratorINS9_10device_ptrIjEEEESE_j11max_functorIjEjEEDaPvRmT3_T4_T5_mT6_P12ihipStream_tbENKUlT_T0_E_clISt17integral_constantIbLb0EEST_IbLb1EEEEDaSP_SQ_EUlSP_E0_NS1_11comp_targetILNS1_3genE10ELNS1_11target_archE1200ELNS1_3gpuE4ELNS1_3repE0EEENS1_30default_config_static_selectorELNS0_4arch9wavefront6targetE1EEEvT1_
; %bb.0:
	.section	.rodata,"a",@progbits
	.p2align	6, 0x0
	.amdhsa_kernel _ZN7rocprim17ROCPRIM_400000_NS6detail17trampoline_kernelINS0_14default_configENS1_20scan_config_selectorIjEEZZNS1_9scan_implILNS1_25lookback_scan_determinismE0ELb1ELb1ES3_N6thrust23THRUST_200600_302600_NS6detail15normal_iteratorINS9_10device_ptrIjEEEESE_j11max_functorIjEjEEDaPvRmT3_T4_T5_mT6_P12ihipStream_tbENKUlT_T0_E_clISt17integral_constantIbLb0EEST_IbLb1EEEEDaSP_SQ_EUlSP_E0_NS1_11comp_targetILNS1_3genE10ELNS1_11target_archE1200ELNS1_3gpuE4ELNS1_3repE0EEENS1_30default_config_static_selectorELNS0_4arch9wavefront6targetE1EEEvT1_
		.amdhsa_group_segment_fixed_size 0
		.amdhsa_private_segment_fixed_size 0
		.amdhsa_kernarg_size 32
		.amdhsa_user_sgpr_count 6
		.amdhsa_user_sgpr_private_segment_buffer 1
		.amdhsa_user_sgpr_dispatch_ptr 0
		.amdhsa_user_sgpr_queue_ptr 0
		.amdhsa_user_sgpr_kernarg_segment_ptr 1
		.amdhsa_user_sgpr_dispatch_id 0
		.amdhsa_user_sgpr_flat_scratch_init 0
		.amdhsa_user_sgpr_kernarg_preload_length 0
		.amdhsa_user_sgpr_kernarg_preload_offset 0
		.amdhsa_user_sgpr_private_segment_size 0
		.amdhsa_uses_dynamic_stack 0
		.amdhsa_system_sgpr_private_segment_wavefront_offset 0
		.amdhsa_system_sgpr_workgroup_id_x 1
		.amdhsa_system_sgpr_workgroup_id_y 0
		.amdhsa_system_sgpr_workgroup_id_z 0
		.amdhsa_system_sgpr_workgroup_info 0
		.amdhsa_system_vgpr_workitem_id 0
		.amdhsa_next_free_vgpr 1
		.amdhsa_next_free_sgpr 0
		.amdhsa_accum_offset 4
		.amdhsa_reserve_vcc 0
		.amdhsa_reserve_flat_scratch 0
		.amdhsa_float_round_mode_32 0
		.amdhsa_float_round_mode_16_64 0
		.amdhsa_float_denorm_mode_32 3
		.amdhsa_float_denorm_mode_16_64 3
		.amdhsa_dx10_clamp 1
		.amdhsa_ieee_mode 1
		.amdhsa_fp16_overflow 0
		.amdhsa_tg_split 0
		.amdhsa_exception_fp_ieee_invalid_op 0
		.amdhsa_exception_fp_denorm_src 0
		.amdhsa_exception_fp_ieee_div_zero 0
		.amdhsa_exception_fp_ieee_overflow 0
		.amdhsa_exception_fp_ieee_underflow 0
		.amdhsa_exception_fp_ieee_inexact 0
		.amdhsa_exception_int_div_zero 0
	.end_amdhsa_kernel
	.section	.text._ZN7rocprim17ROCPRIM_400000_NS6detail17trampoline_kernelINS0_14default_configENS1_20scan_config_selectorIjEEZZNS1_9scan_implILNS1_25lookback_scan_determinismE0ELb1ELb1ES3_N6thrust23THRUST_200600_302600_NS6detail15normal_iteratorINS9_10device_ptrIjEEEESE_j11max_functorIjEjEEDaPvRmT3_T4_T5_mT6_P12ihipStream_tbENKUlT_T0_E_clISt17integral_constantIbLb0EEST_IbLb1EEEEDaSP_SQ_EUlSP_E0_NS1_11comp_targetILNS1_3genE10ELNS1_11target_archE1200ELNS1_3gpuE4ELNS1_3repE0EEENS1_30default_config_static_selectorELNS0_4arch9wavefront6targetE1EEEvT1_,"axG",@progbits,_ZN7rocprim17ROCPRIM_400000_NS6detail17trampoline_kernelINS0_14default_configENS1_20scan_config_selectorIjEEZZNS1_9scan_implILNS1_25lookback_scan_determinismE0ELb1ELb1ES3_N6thrust23THRUST_200600_302600_NS6detail15normal_iteratorINS9_10device_ptrIjEEEESE_j11max_functorIjEjEEDaPvRmT3_T4_T5_mT6_P12ihipStream_tbENKUlT_T0_E_clISt17integral_constantIbLb0EEST_IbLb1EEEEDaSP_SQ_EUlSP_E0_NS1_11comp_targetILNS1_3genE10ELNS1_11target_archE1200ELNS1_3gpuE4ELNS1_3repE0EEENS1_30default_config_static_selectorELNS0_4arch9wavefront6targetE1EEEvT1_,comdat
.Lfunc_end2398:
	.size	_ZN7rocprim17ROCPRIM_400000_NS6detail17trampoline_kernelINS0_14default_configENS1_20scan_config_selectorIjEEZZNS1_9scan_implILNS1_25lookback_scan_determinismE0ELb1ELb1ES3_N6thrust23THRUST_200600_302600_NS6detail15normal_iteratorINS9_10device_ptrIjEEEESE_j11max_functorIjEjEEDaPvRmT3_T4_T5_mT6_P12ihipStream_tbENKUlT_T0_E_clISt17integral_constantIbLb0EEST_IbLb1EEEEDaSP_SQ_EUlSP_E0_NS1_11comp_targetILNS1_3genE10ELNS1_11target_archE1200ELNS1_3gpuE4ELNS1_3repE0EEENS1_30default_config_static_selectorELNS0_4arch9wavefront6targetE1EEEvT1_, .Lfunc_end2398-_ZN7rocprim17ROCPRIM_400000_NS6detail17trampoline_kernelINS0_14default_configENS1_20scan_config_selectorIjEEZZNS1_9scan_implILNS1_25lookback_scan_determinismE0ELb1ELb1ES3_N6thrust23THRUST_200600_302600_NS6detail15normal_iteratorINS9_10device_ptrIjEEEESE_j11max_functorIjEjEEDaPvRmT3_T4_T5_mT6_P12ihipStream_tbENKUlT_T0_E_clISt17integral_constantIbLb0EEST_IbLb1EEEEDaSP_SQ_EUlSP_E0_NS1_11comp_targetILNS1_3genE10ELNS1_11target_archE1200ELNS1_3gpuE4ELNS1_3repE0EEENS1_30default_config_static_selectorELNS0_4arch9wavefront6targetE1EEEvT1_
                                        ; -- End function
	.section	.AMDGPU.csdata,"",@progbits
; Kernel info:
; codeLenInByte = 0
; NumSgprs: 4
; NumVgprs: 0
; NumAgprs: 0
; TotalNumVgprs: 0
; ScratchSize: 0
; MemoryBound: 0
; FloatMode: 240
; IeeeMode: 1
; LDSByteSize: 0 bytes/workgroup (compile time only)
; SGPRBlocks: 0
; VGPRBlocks: 0
; NumSGPRsForWavesPerEU: 4
; NumVGPRsForWavesPerEU: 1
; AccumOffset: 4
; Occupancy: 8
; WaveLimiterHint : 0
; COMPUTE_PGM_RSRC2:SCRATCH_EN: 0
; COMPUTE_PGM_RSRC2:USER_SGPR: 6
; COMPUTE_PGM_RSRC2:TRAP_HANDLER: 0
; COMPUTE_PGM_RSRC2:TGID_X_EN: 1
; COMPUTE_PGM_RSRC2:TGID_Y_EN: 0
; COMPUTE_PGM_RSRC2:TGID_Z_EN: 0
; COMPUTE_PGM_RSRC2:TIDIG_COMP_CNT: 0
; COMPUTE_PGM_RSRC3_GFX90A:ACCUM_OFFSET: 0
; COMPUTE_PGM_RSRC3_GFX90A:TG_SPLIT: 0
	.section	.text._ZN7rocprim17ROCPRIM_400000_NS6detail17trampoline_kernelINS0_14default_configENS1_20scan_config_selectorIjEEZZNS1_9scan_implILNS1_25lookback_scan_determinismE0ELb1ELb1ES3_N6thrust23THRUST_200600_302600_NS6detail15normal_iteratorINS9_10device_ptrIjEEEESE_j11max_functorIjEjEEDaPvRmT3_T4_T5_mT6_P12ihipStream_tbENKUlT_T0_E_clISt17integral_constantIbLb0EEST_IbLb1EEEEDaSP_SQ_EUlSP_E0_NS1_11comp_targetILNS1_3genE9ELNS1_11target_archE1100ELNS1_3gpuE3ELNS1_3repE0EEENS1_30default_config_static_selectorELNS0_4arch9wavefront6targetE1EEEvT1_,"axG",@progbits,_ZN7rocprim17ROCPRIM_400000_NS6detail17trampoline_kernelINS0_14default_configENS1_20scan_config_selectorIjEEZZNS1_9scan_implILNS1_25lookback_scan_determinismE0ELb1ELb1ES3_N6thrust23THRUST_200600_302600_NS6detail15normal_iteratorINS9_10device_ptrIjEEEESE_j11max_functorIjEjEEDaPvRmT3_T4_T5_mT6_P12ihipStream_tbENKUlT_T0_E_clISt17integral_constantIbLb0EEST_IbLb1EEEEDaSP_SQ_EUlSP_E0_NS1_11comp_targetILNS1_3genE9ELNS1_11target_archE1100ELNS1_3gpuE3ELNS1_3repE0EEENS1_30default_config_static_selectorELNS0_4arch9wavefront6targetE1EEEvT1_,comdat
	.protected	_ZN7rocprim17ROCPRIM_400000_NS6detail17trampoline_kernelINS0_14default_configENS1_20scan_config_selectorIjEEZZNS1_9scan_implILNS1_25lookback_scan_determinismE0ELb1ELb1ES3_N6thrust23THRUST_200600_302600_NS6detail15normal_iteratorINS9_10device_ptrIjEEEESE_j11max_functorIjEjEEDaPvRmT3_T4_T5_mT6_P12ihipStream_tbENKUlT_T0_E_clISt17integral_constantIbLb0EEST_IbLb1EEEEDaSP_SQ_EUlSP_E0_NS1_11comp_targetILNS1_3genE9ELNS1_11target_archE1100ELNS1_3gpuE3ELNS1_3repE0EEENS1_30default_config_static_selectorELNS0_4arch9wavefront6targetE1EEEvT1_ ; -- Begin function _ZN7rocprim17ROCPRIM_400000_NS6detail17trampoline_kernelINS0_14default_configENS1_20scan_config_selectorIjEEZZNS1_9scan_implILNS1_25lookback_scan_determinismE0ELb1ELb1ES3_N6thrust23THRUST_200600_302600_NS6detail15normal_iteratorINS9_10device_ptrIjEEEESE_j11max_functorIjEjEEDaPvRmT3_T4_T5_mT6_P12ihipStream_tbENKUlT_T0_E_clISt17integral_constantIbLb0EEST_IbLb1EEEEDaSP_SQ_EUlSP_E0_NS1_11comp_targetILNS1_3genE9ELNS1_11target_archE1100ELNS1_3gpuE3ELNS1_3repE0EEENS1_30default_config_static_selectorELNS0_4arch9wavefront6targetE1EEEvT1_
	.globl	_ZN7rocprim17ROCPRIM_400000_NS6detail17trampoline_kernelINS0_14default_configENS1_20scan_config_selectorIjEEZZNS1_9scan_implILNS1_25lookback_scan_determinismE0ELb1ELb1ES3_N6thrust23THRUST_200600_302600_NS6detail15normal_iteratorINS9_10device_ptrIjEEEESE_j11max_functorIjEjEEDaPvRmT3_T4_T5_mT6_P12ihipStream_tbENKUlT_T0_E_clISt17integral_constantIbLb0EEST_IbLb1EEEEDaSP_SQ_EUlSP_E0_NS1_11comp_targetILNS1_3genE9ELNS1_11target_archE1100ELNS1_3gpuE3ELNS1_3repE0EEENS1_30default_config_static_selectorELNS0_4arch9wavefront6targetE1EEEvT1_
	.p2align	8
	.type	_ZN7rocprim17ROCPRIM_400000_NS6detail17trampoline_kernelINS0_14default_configENS1_20scan_config_selectorIjEEZZNS1_9scan_implILNS1_25lookback_scan_determinismE0ELb1ELb1ES3_N6thrust23THRUST_200600_302600_NS6detail15normal_iteratorINS9_10device_ptrIjEEEESE_j11max_functorIjEjEEDaPvRmT3_T4_T5_mT6_P12ihipStream_tbENKUlT_T0_E_clISt17integral_constantIbLb0EEST_IbLb1EEEEDaSP_SQ_EUlSP_E0_NS1_11comp_targetILNS1_3genE9ELNS1_11target_archE1100ELNS1_3gpuE3ELNS1_3repE0EEENS1_30default_config_static_selectorELNS0_4arch9wavefront6targetE1EEEvT1_,@function
_ZN7rocprim17ROCPRIM_400000_NS6detail17trampoline_kernelINS0_14default_configENS1_20scan_config_selectorIjEEZZNS1_9scan_implILNS1_25lookback_scan_determinismE0ELb1ELb1ES3_N6thrust23THRUST_200600_302600_NS6detail15normal_iteratorINS9_10device_ptrIjEEEESE_j11max_functorIjEjEEDaPvRmT3_T4_T5_mT6_P12ihipStream_tbENKUlT_T0_E_clISt17integral_constantIbLb0EEST_IbLb1EEEEDaSP_SQ_EUlSP_E0_NS1_11comp_targetILNS1_3genE9ELNS1_11target_archE1100ELNS1_3gpuE3ELNS1_3repE0EEENS1_30default_config_static_selectorELNS0_4arch9wavefront6targetE1EEEvT1_: ; @_ZN7rocprim17ROCPRIM_400000_NS6detail17trampoline_kernelINS0_14default_configENS1_20scan_config_selectorIjEEZZNS1_9scan_implILNS1_25lookback_scan_determinismE0ELb1ELb1ES3_N6thrust23THRUST_200600_302600_NS6detail15normal_iteratorINS9_10device_ptrIjEEEESE_j11max_functorIjEjEEDaPvRmT3_T4_T5_mT6_P12ihipStream_tbENKUlT_T0_E_clISt17integral_constantIbLb0EEST_IbLb1EEEEDaSP_SQ_EUlSP_E0_NS1_11comp_targetILNS1_3genE9ELNS1_11target_archE1100ELNS1_3gpuE3ELNS1_3repE0EEENS1_30default_config_static_selectorELNS0_4arch9wavefront6targetE1EEEvT1_
; %bb.0:
	.section	.rodata,"a",@progbits
	.p2align	6, 0x0
	.amdhsa_kernel _ZN7rocprim17ROCPRIM_400000_NS6detail17trampoline_kernelINS0_14default_configENS1_20scan_config_selectorIjEEZZNS1_9scan_implILNS1_25lookback_scan_determinismE0ELb1ELb1ES3_N6thrust23THRUST_200600_302600_NS6detail15normal_iteratorINS9_10device_ptrIjEEEESE_j11max_functorIjEjEEDaPvRmT3_T4_T5_mT6_P12ihipStream_tbENKUlT_T0_E_clISt17integral_constantIbLb0EEST_IbLb1EEEEDaSP_SQ_EUlSP_E0_NS1_11comp_targetILNS1_3genE9ELNS1_11target_archE1100ELNS1_3gpuE3ELNS1_3repE0EEENS1_30default_config_static_selectorELNS0_4arch9wavefront6targetE1EEEvT1_
		.amdhsa_group_segment_fixed_size 0
		.amdhsa_private_segment_fixed_size 0
		.amdhsa_kernarg_size 32
		.amdhsa_user_sgpr_count 6
		.amdhsa_user_sgpr_private_segment_buffer 1
		.amdhsa_user_sgpr_dispatch_ptr 0
		.amdhsa_user_sgpr_queue_ptr 0
		.amdhsa_user_sgpr_kernarg_segment_ptr 1
		.amdhsa_user_sgpr_dispatch_id 0
		.amdhsa_user_sgpr_flat_scratch_init 0
		.amdhsa_user_sgpr_kernarg_preload_length 0
		.amdhsa_user_sgpr_kernarg_preload_offset 0
		.amdhsa_user_sgpr_private_segment_size 0
		.amdhsa_uses_dynamic_stack 0
		.amdhsa_system_sgpr_private_segment_wavefront_offset 0
		.amdhsa_system_sgpr_workgroup_id_x 1
		.amdhsa_system_sgpr_workgroup_id_y 0
		.amdhsa_system_sgpr_workgroup_id_z 0
		.amdhsa_system_sgpr_workgroup_info 0
		.amdhsa_system_vgpr_workitem_id 0
		.amdhsa_next_free_vgpr 1
		.amdhsa_next_free_sgpr 0
		.amdhsa_accum_offset 4
		.amdhsa_reserve_vcc 0
		.amdhsa_reserve_flat_scratch 0
		.amdhsa_float_round_mode_32 0
		.amdhsa_float_round_mode_16_64 0
		.amdhsa_float_denorm_mode_32 3
		.amdhsa_float_denorm_mode_16_64 3
		.amdhsa_dx10_clamp 1
		.amdhsa_ieee_mode 1
		.amdhsa_fp16_overflow 0
		.amdhsa_tg_split 0
		.amdhsa_exception_fp_ieee_invalid_op 0
		.amdhsa_exception_fp_denorm_src 0
		.amdhsa_exception_fp_ieee_div_zero 0
		.amdhsa_exception_fp_ieee_overflow 0
		.amdhsa_exception_fp_ieee_underflow 0
		.amdhsa_exception_fp_ieee_inexact 0
		.amdhsa_exception_int_div_zero 0
	.end_amdhsa_kernel
	.section	.text._ZN7rocprim17ROCPRIM_400000_NS6detail17trampoline_kernelINS0_14default_configENS1_20scan_config_selectorIjEEZZNS1_9scan_implILNS1_25lookback_scan_determinismE0ELb1ELb1ES3_N6thrust23THRUST_200600_302600_NS6detail15normal_iteratorINS9_10device_ptrIjEEEESE_j11max_functorIjEjEEDaPvRmT3_T4_T5_mT6_P12ihipStream_tbENKUlT_T0_E_clISt17integral_constantIbLb0EEST_IbLb1EEEEDaSP_SQ_EUlSP_E0_NS1_11comp_targetILNS1_3genE9ELNS1_11target_archE1100ELNS1_3gpuE3ELNS1_3repE0EEENS1_30default_config_static_selectorELNS0_4arch9wavefront6targetE1EEEvT1_,"axG",@progbits,_ZN7rocprim17ROCPRIM_400000_NS6detail17trampoline_kernelINS0_14default_configENS1_20scan_config_selectorIjEEZZNS1_9scan_implILNS1_25lookback_scan_determinismE0ELb1ELb1ES3_N6thrust23THRUST_200600_302600_NS6detail15normal_iteratorINS9_10device_ptrIjEEEESE_j11max_functorIjEjEEDaPvRmT3_T4_T5_mT6_P12ihipStream_tbENKUlT_T0_E_clISt17integral_constantIbLb0EEST_IbLb1EEEEDaSP_SQ_EUlSP_E0_NS1_11comp_targetILNS1_3genE9ELNS1_11target_archE1100ELNS1_3gpuE3ELNS1_3repE0EEENS1_30default_config_static_selectorELNS0_4arch9wavefront6targetE1EEEvT1_,comdat
.Lfunc_end2399:
	.size	_ZN7rocprim17ROCPRIM_400000_NS6detail17trampoline_kernelINS0_14default_configENS1_20scan_config_selectorIjEEZZNS1_9scan_implILNS1_25lookback_scan_determinismE0ELb1ELb1ES3_N6thrust23THRUST_200600_302600_NS6detail15normal_iteratorINS9_10device_ptrIjEEEESE_j11max_functorIjEjEEDaPvRmT3_T4_T5_mT6_P12ihipStream_tbENKUlT_T0_E_clISt17integral_constantIbLb0EEST_IbLb1EEEEDaSP_SQ_EUlSP_E0_NS1_11comp_targetILNS1_3genE9ELNS1_11target_archE1100ELNS1_3gpuE3ELNS1_3repE0EEENS1_30default_config_static_selectorELNS0_4arch9wavefront6targetE1EEEvT1_, .Lfunc_end2399-_ZN7rocprim17ROCPRIM_400000_NS6detail17trampoline_kernelINS0_14default_configENS1_20scan_config_selectorIjEEZZNS1_9scan_implILNS1_25lookback_scan_determinismE0ELb1ELb1ES3_N6thrust23THRUST_200600_302600_NS6detail15normal_iteratorINS9_10device_ptrIjEEEESE_j11max_functorIjEjEEDaPvRmT3_T4_T5_mT6_P12ihipStream_tbENKUlT_T0_E_clISt17integral_constantIbLb0EEST_IbLb1EEEEDaSP_SQ_EUlSP_E0_NS1_11comp_targetILNS1_3genE9ELNS1_11target_archE1100ELNS1_3gpuE3ELNS1_3repE0EEENS1_30default_config_static_selectorELNS0_4arch9wavefront6targetE1EEEvT1_
                                        ; -- End function
	.section	.AMDGPU.csdata,"",@progbits
; Kernel info:
; codeLenInByte = 0
; NumSgprs: 4
; NumVgprs: 0
; NumAgprs: 0
; TotalNumVgprs: 0
; ScratchSize: 0
; MemoryBound: 0
; FloatMode: 240
; IeeeMode: 1
; LDSByteSize: 0 bytes/workgroup (compile time only)
; SGPRBlocks: 0
; VGPRBlocks: 0
; NumSGPRsForWavesPerEU: 4
; NumVGPRsForWavesPerEU: 1
; AccumOffset: 4
; Occupancy: 8
; WaveLimiterHint : 0
; COMPUTE_PGM_RSRC2:SCRATCH_EN: 0
; COMPUTE_PGM_RSRC2:USER_SGPR: 6
; COMPUTE_PGM_RSRC2:TRAP_HANDLER: 0
; COMPUTE_PGM_RSRC2:TGID_X_EN: 1
; COMPUTE_PGM_RSRC2:TGID_Y_EN: 0
; COMPUTE_PGM_RSRC2:TGID_Z_EN: 0
; COMPUTE_PGM_RSRC2:TIDIG_COMP_CNT: 0
; COMPUTE_PGM_RSRC3_GFX90A:ACCUM_OFFSET: 0
; COMPUTE_PGM_RSRC3_GFX90A:TG_SPLIT: 0
	.section	.text._ZN7rocprim17ROCPRIM_400000_NS6detail17trampoline_kernelINS0_14default_configENS1_20scan_config_selectorIjEEZZNS1_9scan_implILNS1_25lookback_scan_determinismE0ELb1ELb1ES3_N6thrust23THRUST_200600_302600_NS6detail15normal_iteratorINS9_10device_ptrIjEEEESE_j11max_functorIjEjEEDaPvRmT3_T4_T5_mT6_P12ihipStream_tbENKUlT_T0_E_clISt17integral_constantIbLb0EEST_IbLb1EEEEDaSP_SQ_EUlSP_E0_NS1_11comp_targetILNS1_3genE8ELNS1_11target_archE1030ELNS1_3gpuE2ELNS1_3repE0EEENS1_30default_config_static_selectorELNS0_4arch9wavefront6targetE1EEEvT1_,"axG",@progbits,_ZN7rocprim17ROCPRIM_400000_NS6detail17trampoline_kernelINS0_14default_configENS1_20scan_config_selectorIjEEZZNS1_9scan_implILNS1_25lookback_scan_determinismE0ELb1ELb1ES3_N6thrust23THRUST_200600_302600_NS6detail15normal_iteratorINS9_10device_ptrIjEEEESE_j11max_functorIjEjEEDaPvRmT3_T4_T5_mT6_P12ihipStream_tbENKUlT_T0_E_clISt17integral_constantIbLb0EEST_IbLb1EEEEDaSP_SQ_EUlSP_E0_NS1_11comp_targetILNS1_3genE8ELNS1_11target_archE1030ELNS1_3gpuE2ELNS1_3repE0EEENS1_30default_config_static_selectorELNS0_4arch9wavefront6targetE1EEEvT1_,comdat
	.protected	_ZN7rocprim17ROCPRIM_400000_NS6detail17trampoline_kernelINS0_14default_configENS1_20scan_config_selectorIjEEZZNS1_9scan_implILNS1_25lookback_scan_determinismE0ELb1ELb1ES3_N6thrust23THRUST_200600_302600_NS6detail15normal_iteratorINS9_10device_ptrIjEEEESE_j11max_functorIjEjEEDaPvRmT3_T4_T5_mT6_P12ihipStream_tbENKUlT_T0_E_clISt17integral_constantIbLb0EEST_IbLb1EEEEDaSP_SQ_EUlSP_E0_NS1_11comp_targetILNS1_3genE8ELNS1_11target_archE1030ELNS1_3gpuE2ELNS1_3repE0EEENS1_30default_config_static_selectorELNS0_4arch9wavefront6targetE1EEEvT1_ ; -- Begin function _ZN7rocprim17ROCPRIM_400000_NS6detail17trampoline_kernelINS0_14default_configENS1_20scan_config_selectorIjEEZZNS1_9scan_implILNS1_25lookback_scan_determinismE0ELb1ELb1ES3_N6thrust23THRUST_200600_302600_NS6detail15normal_iteratorINS9_10device_ptrIjEEEESE_j11max_functorIjEjEEDaPvRmT3_T4_T5_mT6_P12ihipStream_tbENKUlT_T0_E_clISt17integral_constantIbLb0EEST_IbLb1EEEEDaSP_SQ_EUlSP_E0_NS1_11comp_targetILNS1_3genE8ELNS1_11target_archE1030ELNS1_3gpuE2ELNS1_3repE0EEENS1_30default_config_static_selectorELNS0_4arch9wavefront6targetE1EEEvT1_
	.globl	_ZN7rocprim17ROCPRIM_400000_NS6detail17trampoline_kernelINS0_14default_configENS1_20scan_config_selectorIjEEZZNS1_9scan_implILNS1_25lookback_scan_determinismE0ELb1ELb1ES3_N6thrust23THRUST_200600_302600_NS6detail15normal_iteratorINS9_10device_ptrIjEEEESE_j11max_functorIjEjEEDaPvRmT3_T4_T5_mT6_P12ihipStream_tbENKUlT_T0_E_clISt17integral_constantIbLb0EEST_IbLb1EEEEDaSP_SQ_EUlSP_E0_NS1_11comp_targetILNS1_3genE8ELNS1_11target_archE1030ELNS1_3gpuE2ELNS1_3repE0EEENS1_30default_config_static_selectorELNS0_4arch9wavefront6targetE1EEEvT1_
	.p2align	8
	.type	_ZN7rocprim17ROCPRIM_400000_NS6detail17trampoline_kernelINS0_14default_configENS1_20scan_config_selectorIjEEZZNS1_9scan_implILNS1_25lookback_scan_determinismE0ELb1ELb1ES3_N6thrust23THRUST_200600_302600_NS6detail15normal_iteratorINS9_10device_ptrIjEEEESE_j11max_functorIjEjEEDaPvRmT3_T4_T5_mT6_P12ihipStream_tbENKUlT_T0_E_clISt17integral_constantIbLb0EEST_IbLb1EEEEDaSP_SQ_EUlSP_E0_NS1_11comp_targetILNS1_3genE8ELNS1_11target_archE1030ELNS1_3gpuE2ELNS1_3repE0EEENS1_30default_config_static_selectorELNS0_4arch9wavefront6targetE1EEEvT1_,@function
_ZN7rocprim17ROCPRIM_400000_NS6detail17trampoline_kernelINS0_14default_configENS1_20scan_config_selectorIjEEZZNS1_9scan_implILNS1_25lookback_scan_determinismE0ELb1ELb1ES3_N6thrust23THRUST_200600_302600_NS6detail15normal_iteratorINS9_10device_ptrIjEEEESE_j11max_functorIjEjEEDaPvRmT3_T4_T5_mT6_P12ihipStream_tbENKUlT_T0_E_clISt17integral_constantIbLb0EEST_IbLb1EEEEDaSP_SQ_EUlSP_E0_NS1_11comp_targetILNS1_3genE8ELNS1_11target_archE1030ELNS1_3gpuE2ELNS1_3repE0EEENS1_30default_config_static_selectorELNS0_4arch9wavefront6targetE1EEEvT1_: ; @_ZN7rocprim17ROCPRIM_400000_NS6detail17trampoline_kernelINS0_14default_configENS1_20scan_config_selectorIjEEZZNS1_9scan_implILNS1_25lookback_scan_determinismE0ELb1ELb1ES3_N6thrust23THRUST_200600_302600_NS6detail15normal_iteratorINS9_10device_ptrIjEEEESE_j11max_functorIjEjEEDaPvRmT3_T4_T5_mT6_P12ihipStream_tbENKUlT_T0_E_clISt17integral_constantIbLb0EEST_IbLb1EEEEDaSP_SQ_EUlSP_E0_NS1_11comp_targetILNS1_3genE8ELNS1_11target_archE1030ELNS1_3gpuE2ELNS1_3repE0EEENS1_30default_config_static_selectorELNS0_4arch9wavefront6targetE1EEEvT1_
; %bb.0:
	.section	.rodata,"a",@progbits
	.p2align	6, 0x0
	.amdhsa_kernel _ZN7rocprim17ROCPRIM_400000_NS6detail17trampoline_kernelINS0_14default_configENS1_20scan_config_selectorIjEEZZNS1_9scan_implILNS1_25lookback_scan_determinismE0ELb1ELb1ES3_N6thrust23THRUST_200600_302600_NS6detail15normal_iteratorINS9_10device_ptrIjEEEESE_j11max_functorIjEjEEDaPvRmT3_T4_T5_mT6_P12ihipStream_tbENKUlT_T0_E_clISt17integral_constantIbLb0EEST_IbLb1EEEEDaSP_SQ_EUlSP_E0_NS1_11comp_targetILNS1_3genE8ELNS1_11target_archE1030ELNS1_3gpuE2ELNS1_3repE0EEENS1_30default_config_static_selectorELNS0_4arch9wavefront6targetE1EEEvT1_
		.amdhsa_group_segment_fixed_size 0
		.amdhsa_private_segment_fixed_size 0
		.amdhsa_kernarg_size 32
		.amdhsa_user_sgpr_count 6
		.amdhsa_user_sgpr_private_segment_buffer 1
		.amdhsa_user_sgpr_dispatch_ptr 0
		.amdhsa_user_sgpr_queue_ptr 0
		.amdhsa_user_sgpr_kernarg_segment_ptr 1
		.amdhsa_user_sgpr_dispatch_id 0
		.amdhsa_user_sgpr_flat_scratch_init 0
		.amdhsa_user_sgpr_kernarg_preload_length 0
		.amdhsa_user_sgpr_kernarg_preload_offset 0
		.amdhsa_user_sgpr_private_segment_size 0
		.amdhsa_uses_dynamic_stack 0
		.amdhsa_system_sgpr_private_segment_wavefront_offset 0
		.amdhsa_system_sgpr_workgroup_id_x 1
		.amdhsa_system_sgpr_workgroup_id_y 0
		.amdhsa_system_sgpr_workgroup_id_z 0
		.amdhsa_system_sgpr_workgroup_info 0
		.amdhsa_system_vgpr_workitem_id 0
		.amdhsa_next_free_vgpr 1
		.amdhsa_next_free_sgpr 0
		.amdhsa_accum_offset 4
		.amdhsa_reserve_vcc 0
		.amdhsa_reserve_flat_scratch 0
		.amdhsa_float_round_mode_32 0
		.amdhsa_float_round_mode_16_64 0
		.amdhsa_float_denorm_mode_32 3
		.amdhsa_float_denorm_mode_16_64 3
		.amdhsa_dx10_clamp 1
		.amdhsa_ieee_mode 1
		.amdhsa_fp16_overflow 0
		.amdhsa_tg_split 0
		.amdhsa_exception_fp_ieee_invalid_op 0
		.amdhsa_exception_fp_denorm_src 0
		.amdhsa_exception_fp_ieee_div_zero 0
		.amdhsa_exception_fp_ieee_overflow 0
		.amdhsa_exception_fp_ieee_underflow 0
		.amdhsa_exception_fp_ieee_inexact 0
		.amdhsa_exception_int_div_zero 0
	.end_amdhsa_kernel
	.section	.text._ZN7rocprim17ROCPRIM_400000_NS6detail17trampoline_kernelINS0_14default_configENS1_20scan_config_selectorIjEEZZNS1_9scan_implILNS1_25lookback_scan_determinismE0ELb1ELb1ES3_N6thrust23THRUST_200600_302600_NS6detail15normal_iteratorINS9_10device_ptrIjEEEESE_j11max_functorIjEjEEDaPvRmT3_T4_T5_mT6_P12ihipStream_tbENKUlT_T0_E_clISt17integral_constantIbLb0EEST_IbLb1EEEEDaSP_SQ_EUlSP_E0_NS1_11comp_targetILNS1_3genE8ELNS1_11target_archE1030ELNS1_3gpuE2ELNS1_3repE0EEENS1_30default_config_static_selectorELNS0_4arch9wavefront6targetE1EEEvT1_,"axG",@progbits,_ZN7rocprim17ROCPRIM_400000_NS6detail17trampoline_kernelINS0_14default_configENS1_20scan_config_selectorIjEEZZNS1_9scan_implILNS1_25lookback_scan_determinismE0ELb1ELb1ES3_N6thrust23THRUST_200600_302600_NS6detail15normal_iteratorINS9_10device_ptrIjEEEESE_j11max_functorIjEjEEDaPvRmT3_T4_T5_mT6_P12ihipStream_tbENKUlT_T0_E_clISt17integral_constantIbLb0EEST_IbLb1EEEEDaSP_SQ_EUlSP_E0_NS1_11comp_targetILNS1_3genE8ELNS1_11target_archE1030ELNS1_3gpuE2ELNS1_3repE0EEENS1_30default_config_static_selectorELNS0_4arch9wavefront6targetE1EEEvT1_,comdat
.Lfunc_end2400:
	.size	_ZN7rocprim17ROCPRIM_400000_NS6detail17trampoline_kernelINS0_14default_configENS1_20scan_config_selectorIjEEZZNS1_9scan_implILNS1_25lookback_scan_determinismE0ELb1ELb1ES3_N6thrust23THRUST_200600_302600_NS6detail15normal_iteratorINS9_10device_ptrIjEEEESE_j11max_functorIjEjEEDaPvRmT3_T4_T5_mT6_P12ihipStream_tbENKUlT_T0_E_clISt17integral_constantIbLb0EEST_IbLb1EEEEDaSP_SQ_EUlSP_E0_NS1_11comp_targetILNS1_3genE8ELNS1_11target_archE1030ELNS1_3gpuE2ELNS1_3repE0EEENS1_30default_config_static_selectorELNS0_4arch9wavefront6targetE1EEEvT1_, .Lfunc_end2400-_ZN7rocprim17ROCPRIM_400000_NS6detail17trampoline_kernelINS0_14default_configENS1_20scan_config_selectorIjEEZZNS1_9scan_implILNS1_25lookback_scan_determinismE0ELb1ELb1ES3_N6thrust23THRUST_200600_302600_NS6detail15normal_iteratorINS9_10device_ptrIjEEEESE_j11max_functorIjEjEEDaPvRmT3_T4_T5_mT6_P12ihipStream_tbENKUlT_T0_E_clISt17integral_constantIbLb0EEST_IbLb1EEEEDaSP_SQ_EUlSP_E0_NS1_11comp_targetILNS1_3genE8ELNS1_11target_archE1030ELNS1_3gpuE2ELNS1_3repE0EEENS1_30default_config_static_selectorELNS0_4arch9wavefront6targetE1EEEvT1_
                                        ; -- End function
	.section	.AMDGPU.csdata,"",@progbits
; Kernel info:
; codeLenInByte = 0
; NumSgprs: 4
; NumVgprs: 0
; NumAgprs: 0
; TotalNumVgprs: 0
; ScratchSize: 0
; MemoryBound: 0
; FloatMode: 240
; IeeeMode: 1
; LDSByteSize: 0 bytes/workgroup (compile time only)
; SGPRBlocks: 0
; VGPRBlocks: 0
; NumSGPRsForWavesPerEU: 4
; NumVGPRsForWavesPerEU: 1
; AccumOffset: 4
; Occupancy: 8
; WaveLimiterHint : 0
; COMPUTE_PGM_RSRC2:SCRATCH_EN: 0
; COMPUTE_PGM_RSRC2:USER_SGPR: 6
; COMPUTE_PGM_RSRC2:TRAP_HANDLER: 0
; COMPUTE_PGM_RSRC2:TGID_X_EN: 1
; COMPUTE_PGM_RSRC2:TGID_Y_EN: 0
; COMPUTE_PGM_RSRC2:TGID_Z_EN: 0
; COMPUTE_PGM_RSRC2:TIDIG_COMP_CNT: 0
; COMPUTE_PGM_RSRC3_GFX90A:ACCUM_OFFSET: 0
; COMPUTE_PGM_RSRC3_GFX90A:TG_SPLIT: 0
	.section	.text._ZN6thrust23THRUST_200600_302600_NS11hip_rocprim14__parallel_for6kernelILj256ENS1_20__uninitialized_fill7functorINS0_10device_ptrItEEtEEmLj1EEEvT0_T1_SA_,"axG",@progbits,_ZN6thrust23THRUST_200600_302600_NS11hip_rocprim14__parallel_for6kernelILj256ENS1_20__uninitialized_fill7functorINS0_10device_ptrItEEtEEmLj1EEEvT0_T1_SA_,comdat
	.protected	_ZN6thrust23THRUST_200600_302600_NS11hip_rocprim14__parallel_for6kernelILj256ENS1_20__uninitialized_fill7functorINS0_10device_ptrItEEtEEmLj1EEEvT0_T1_SA_ ; -- Begin function _ZN6thrust23THRUST_200600_302600_NS11hip_rocprim14__parallel_for6kernelILj256ENS1_20__uninitialized_fill7functorINS0_10device_ptrItEEtEEmLj1EEEvT0_T1_SA_
	.globl	_ZN6thrust23THRUST_200600_302600_NS11hip_rocprim14__parallel_for6kernelILj256ENS1_20__uninitialized_fill7functorINS0_10device_ptrItEEtEEmLj1EEEvT0_T1_SA_
	.p2align	8
	.type	_ZN6thrust23THRUST_200600_302600_NS11hip_rocprim14__parallel_for6kernelILj256ENS1_20__uninitialized_fill7functorINS0_10device_ptrItEEtEEmLj1EEEvT0_T1_SA_,@function
_ZN6thrust23THRUST_200600_302600_NS11hip_rocprim14__parallel_for6kernelILj256ENS1_20__uninitialized_fill7functorINS0_10device_ptrItEEtEEmLj1EEEvT0_T1_SA_: ; @_ZN6thrust23THRUST_200600_302600_NS11hip_rocprim14__parallel_for6kernelILj256ENS1_20__uninitialized_fill7functorINS0_10device_ptrItEEtEEmLj1EEEvT0_T1_SA_
; %bb.0:
	s_load_dwordx4 s[8:11], s[4:5], 0x10
	s_lshl_b32 s0, s6, 8
	v_mov_b32_e32 v2, 0x100
	v_mov_b32_e32 v3, 0
	s_waitcnt lgkmcnt(0)
	s_add_u32 s0, s0, s10
	s_addc_u32 s1, 0, s11
	s_sub_u32 s2, s8, s0
	s_subb_u32 s3, s9, s1
	v_cmp_lt_u64_e32 vcc, s[2:3], v[2:3]
	s_cbranch_vccz .LBB2401_2
; %bb.1:
	v_cmp_gt_u32_e32 vcc, s2, v0
	s_and_b64 s[2:3], vcc, exec
	s_cbranch_execz .LBB2401_3
	s_branch .LBB2401_4
.LBB2401_2:
	s_mov_b64 s[2:3], 0
.LBB2401_3:
	s_or_b64 s[2:3], s[2:3], exec
.LBB2401_4:
	s_and_saveexec_b64 s[6:7], s[2:3]
	s_cbranch_execnz .LBB2401_6
; %bb.5:
	s_endpgm
.LBB2401_6:
	s_load_dwordx2 s[2:3], s[4:5], 0x0
	s_load_dword s6, s[4:5], 0x8
	s_lshl_b64 s[0:1], s[0:1], 1
	v_mov_b32_e32 v1, 0
	v_lshlrev_b64 v[0:1], 1, v[0:1]
	s_waitcnt lgkmcnt(0)
	s_add_u32 s0, s2, s0
	s_addc_u32 s1, s3, s1
	v_mov_b32_e32 v2, s1
	v_add_co_u32_e32 v0, vcc, s0, v0
	v_addc_co_u32_e32 v1, vcc, v2, v1, vcc
	v_mov_b32_e32 v2, s6
	flat_store_short v[0:1], v2
	s_endpgm
	.section	.rodata,"a",@progbits
	.p2align	6, 0x0
	.amdhsa_kernel _ZN6thrust23THRUST_200600_302600_NS11hip_rocprim14__parallel_for6kernelILj256ENS1_20__uninitialized_fill7functorINS0_10device_ptrItEEtEEmLj1EEEvT0_T1_SA_
		.amdhsa_group_segment_fixed_size 0
		.amdhsa_private_segment_fixed_size 0
		.amdhsa_kernarg_size 32
		.amdhsa_user_sgpr_count 6
		.amdhsa_user_sgpr_private_segment_buffer 1
		.amdhsa_user_sgpr_dispatch_ptr 0
		.amdhsa_user_sgpr_queue_ptr 0
		.amdhsa_user_sgpr_kernarg_segment_ptr 1
		.amdhsa_user_sgpr_dispatch_id 0
		.amdhsa_user_sgpr_flat_scratch_init 0
		.amdhsa_user_sgpr_kernarg_preload_length 0
		.amdhsa_user_sgpr_kernarg_preload_offset 0
		.amdhsa_user_sgpr_private_segment_size 0
		.amdhsa_uses_dynamic_stack 0
		.amdhsa_system_sgpr_private_segment_wavefront_offset 0
		.amdhsa_system_sgpr_workgroup_id_x 1
		.amdhsa_system_sgpr_workgroup_id_y 0
		.amdhsa_system_sgpr_workgroup_id_z 0
		.amdhsa_system_sgpr_workgroup_info 0
		.amdhsa_system_vgpr_workitem_id 0
		.amdhsa_next_free_vgpr 4
		.amdhsa_next_free_sgpr 12
		.amdhsa_accum_offset 4
		.amdhsa_reserve_vcc 1
		.amdhsa_reserve_flat_scratch 0
		.amdhsa_float_round_mode_32 0
		.amdhsa_float_round_mode_16_64 0
		.amdhsa_float_denorm_mode_32 3
		.amdhsa_float_denorm_mode_16_64 3
		.amdhsa_dx10_clamp 1
		.amdhsa_ieee_mode 1
		.amdhsa_fp16_overflow 0
		.amdhsa_tg_split 0
		.amdhsa_exception_fp_ieee_invalid_op 0
		.amdhsa_exception_fp_denorm_src 0
		.amdhsa_exception_fp_ieee_div_zero 0
		.amdhsa_exception_fp_ieee_overflow 0
		.amdhsa_exception_fp_ieee_underflow 0
		.amdhsa_exception_fp_ieee_inexact 0
		.amdhsa_exception_int_div_zero 0
	.end_amdhsa_kernel
	.section	.text._ZN6thrust23THRUST_200600_302600_NS11hip_rocprim14__parallel_for6kernelILj256ENS1_20__uninitialized_fill7functorINS0_10device_ptrItEEtEEmLj1EEEvT0_T1_SA_,"axG",@progbits,_ZN6thrust23THRUST_200600_302600_NS11hip_rocprim14__parallel_for6kernelILj256ENS1_20__uninitialized_fill7functorINS0_10device_ptrItEEtEEmLj1EEEvT0_T1_SA_,comdat
.Lfunc_end2401:
	.size	_ZN6thrust23THRUST_200600_302600_NS11hip_rocprim14__parallel_for6kernelILj256ENS1_20__uninitialized_fill7functorINS0_10device_ptrItEEtEEmLj1EEEvT0_T1_SA_, .Lfunc_end2401-_ZN6thrust23THRUST_200600_302600_NS11hip_rocprim14__parallel_for6kernelILj256ENS1_20__uninitialized_fill7functorINS0_10device_ptrItEEtEEmLj1EEEvT0_T1_SA_
                                        ; -- End function
	.section	.AMDGPU.csdata,"",@progbits
; Kernel info:
; codeLenInByte = 160
; NumSgprs: 16
; NumVgprs: 4
; NumAgprs: 0
; TotalNumVgprs: 4
; ScratchSize: 0
; MemoryBound: 0
; FloatMode: 240
; IeeeMode: 1
; LDSByteSize: 0 bytes/workgroup (compile time only)
; SGPRBlocks: 1
; VGPRBlocks: 0
; NumSGPRsForWavesPerEU: 16
; NumVGPRsForWavesPerEU: 4
; AccumOffset: 4
; Occupancy: 8
; WaveLimiterHint : 0
; COMPUTE_PGM_RSRC2:SCRATCH_EN: 0
; COMPUTE_PGM_RSRC2:USER_SGPR: 6
; COMPUTE_PGM_RSRC2:TRAP_HANDLER: 0
; COMPUTE_PGM_RSRC2:TGID_X_EN: 1
; COMPUTE_PGM_RSRC2:TGID_Y_EN: 0
; COMPUTE_PGM_RSRC2:TGID_Z_EN: 0
; COMPUTE_PGM_RSRC2:TIDIG_COMP_CNT: 0
; COMPUTE_PGM_RSRC3_GFX90A:ACCUM_OFFSET: 0
; COMPUTE_PGM_RSRC3_GFX90A:TG_SPLIT: 0
	.section	.text._ZN7rocprim17ROCPRIM_400000_NS6detail31init_lookback_scan_state_kernelINS1_19lookback_scan_stateItLb0ELb1EEENS1_16block_id_wrapperIjLb0EEEEEvT_jT0_jPNS7_10value_typeE,"axG",@progbits,_ZN7rocprim17ROCPRIM_400000_NS6detail31init_lookback_scan_state_kernelINS1_19lookback_scan_stateItLb0ELb1EEENS1_16block_id_wrapperIjLb0EEEEEvT_jT0_jPNS7_10value_typeE,comdat
	.protected	_ZN7rocprim17ROCPRIM_400000_NS6detail31init_lookback_scan_state_kernelINS1_19lookback_scan_stateItLb0ELb1EEENS1_16block_id_wrapperIjLb0EEEEEvT_jT0_jPNS7_10value_typeE ; -- Begin function _ZN7rocprim17ROCPRIM_400000_NS6detail31init_lookback_scan_state_kernelINS1_19lookback_scan_stateItLb0ELb1EEENS1_16block_id_wrapperIjLb0EEEEEvT_jT0_jPNS7_10value_typeE
	.globl	_ZN7rocprim17ROCPRIM_400000_NS6detail31init_lookback_scan_state_kernelINS1_19lookback_scan_stateItLb0ELb1EEENS1_16block_id_wrapperIjLb0EEEEEvT_jT0_jPNS7_10value_typeE
	.p2align	8
	.type	_ZN7rocprim17ROCPRIM_400000_NS6detail31init_lookback_scan_state_kernelINS1_19lookback_scan_stateItLb0ELb1EEENS1_16block_id_wrapperIjLb0EEEEEvT_jT0_jPNS7_10value_typeE,@function
_ZN7rocprim17ROCPRIM_400000_NS6detail31init_lookback_scan_state_kernelINS1_19lookback_scan_stateItLb0ELb1EEENS1_16block_id_wrapperIjLb0EEEEEvT_jT0_jPNS7_10value_typeE: ; @_ZN7rocprim17ROCPRIM_400000_NS6detail31init_lookback_scan_state_kernelINS1_19lookback_scan_stateItLb0ELb1EEENS1_16block_id_wrapperIjLb0EEEEEvT_jT0_jPNS7_10value_typeE
; %bb.0:
	s_load_dword s7, s[4:5], 0x2c
	s_load_dwordx2 s[2:3], s[4:5], 0x18
	s_load_dwordx2 s[0:1], s[4:5], 0x0
	s_load_dword s8, s[4:5], 0x8
	s_waitcnt lgkmcnt(0)
	s_and_b32 s7, s7, 0xffff
	s_mul_i32 s6, s6, s7
	s_cmp_eq_u64 s[2:3], 0
	v_add_u32_e32 v0, s6, v0
	s_cbranch_scc1 .LBB2402_6
; %bb.1:
	s_load_dword s6, s[4:5], 0x10
	s_mov_b32 s7, 0
	s_waitcnt lgkmcnt(0)
	s_cmp_lt_u32 s6, s8
	s_cselect_b32 s4, s6, 0
	v_cmp_eq_u32_e32 vcc, s4, v0
	s_and_saveexec_b64 s[4:5], vcc
	s_cbranch_execz .LBB2402_5
; %bb.2:
	s_add_i32 s6, s6, 64
	s_lshl_b64 s[6:7], s[6:7], 2
	s_add_u32 s6, s0, s6
	s_addc_u32 s7, s1, s7
	v_mov_b32_e32 v2, 0
	global_load_dword v1, v2, s[6:7] glc
	s_waitcnt vmcnt(0)
	v_and_b32_e32 v3, 0xff0000, v1
	v_cmp_ne_u32_e32 vcc, 0, v3
	s_cbranch_vccnz .LBB2402_4
.LBB2402_3:                             ; =>This Inner Loop Header: Depth=1
	global_load_dword v1, v2, s[6:7] glc
	s_waitcnt vmcnt(0)
	v_and_b32_e32 v3, 0xff0000, v1
	v_cmp_eq_u32_e32 vcc, 0, v3
	s_cbranch_vccnz .LBB2402_3
.LBB2402_4:
	v_mov_b32_e32 v2, 0
	global_store_short v2, v1, s[2:3]
.LBB2402_5:
	s_or_b64 exec, exec, s[4:5]
.LBB2402_6:
	v_cmp_gt_u32_e32 vcc, s8, v0
	s_and_saveexec_b64 s[2:3], vcc
	s_cbranch_execnz .LBB2402_9
; %bb.7:
	s_or_b64 exec, exec, s[2:3]
	v_cmp_gt_u32_e32 vcc, 64, v0
	s_and_saveexec_b64 s[2:3], vcc
	s_cbranch_execnz .LBB2402_10
.LBB2402_8:
	s_endpgm
.LBB2402_9:
	v_add_u32_e32 v2, 64, v0
	v_mov_b32_e32 v3, 0
	v_lshlrev_b64 v[4:5], 2, v[2:3]
	v_mov_b32_e32 v1, s1
	v_add_co_u32_e32 v4, vcc, s0, v4
	v_addc_co_u32_e32 v5, vcc, v1, v5, vcc
	global_store_dword v[4:5], v3, off
	s_or_b64 exec, exec, s[2:3]
	v_cmp_gt_u32_e32 vcc, 64, v0
	s_and_saveexec_b64 s[2:3], vcc
	s_cbranch_execz .LBB2402_8
.LBB2402_10:
	v_mov_b32_e32 v1, 0
	v_lshlrev_b64 v[0:1], 2, v[0:1]
	v_mov_b32_e32 v2, s1
	v_add_co_u32_e32 v0, vcc, s0, v0
	v_addc_co_u32_e32 v1, vcc, v2, v1, vcc
	v_mov_b32_e32 v2, 0xff0000
	global_store_dword v[0:1], v2, off
	s_endpgm
	.section	.rodata,"a",@progbits
	.p2align	6, 0x0
	.amdhsa_kernel _ZN7rocprim17ROCPRIM_400000_NS6detail31init_lookback_scan_state_kernelINS1_19lookback_scan_stateItLb0ELb1EEENS1_16block_id_wrapperIjLb0EEEEEvT_jT0_jPNS7_10value_typeE
		.amdhsa_group_segment_fixed_size 0
		.amdhsa_private_segment_fixed_size 0
		.amdhsa_kernarg_size 288
		.amdhsa_user_sgpr_count 6
		.amdhsa_user_sgpr_private_segment_buffer 1
		.amdhsa_user_sgpr_dispatch_ptr 0
		.amdhsa_user_sgpr_queue_ptr 0
		.amdhsa_user_sgpr_kernarg_segment_ptr 1
		.amdhsa_user_sgpr_dispatch_id 0
		.amdhsa_user_sgpr_flat_scratch_init 0
		.amdhsa_user_sgpr_kernarg_preload_length 0
		.amdhsa_user_sgpr_kernarg_preload_offset 0
		.amdhsa_user_sgpr_private_segment_size 0
		.amdhsa_uses_dynamic_stack 0
		.amdhsa_system_sgpr_private_segment_wavefront_offset 0
		.amdhsa_system_sgpr_workgroup_id_x 1
		.amdhsa_system_sgpr_workgroup_id_y 0
		.amdhsa_system_sgpr_workgroup_id_z 0
		.amdhsa_system_sgpr_workgroup_info 0
		.amdhsa_system_vgpr_workitem_id 0
		.amdhsa_next_free_vgpr 6
		.amdhsa_next_free_sgpr 9
		.amdhsa_accum_offset 8
		.amdhsa_reserve_vcc 1
		.amdhsa_reserve_flat_scratch 0
		.amdhsa_float_round_mode_32 0
		.amdhsa_float_round_mode_16_64 0
		.amdhsa_float_denorm_mode_32 3
		.amdhsa_float_denorm_mode_16_64 3
		.amdhsa_dx10_clamp 1
		.amdhsa_ieee_mode 1
		.amdhsa_fp16_overflow 0
		.amdhsa_tg_split 0
		.amdhsa_exception_fp_ieee_invalid_op 0
		.amdhsa_exception_fp_denorm_src 0
		.amdhsa_exception_fp_ieee_div_zero 0
		.amdhsa_exception_fp_ieee_overflow 0
		.amdhsa_exception_fp_ieee_underflow 0
		.amdhsa_exception_fp_ieee_inexact 0
		.amdhsa_exception_int_div_zero 0
	.end_amdhsa_kernel
	.section	.text._ZN7rocprim17ROCPRIM_400000_NS6detail31init_lookback_scan_state_kernelINS1_19lookback_scan_stateItLb0ELb1EEENS1_16block_id_wrapperIjLb0EEEEEvT_jT0_jPNS7_10value_typeE,"axG",@progbits,_ZN7rocprim17ROCPRIM_400000_NS6detail31init_lookback_scan_state_kernelINS1_19lookback_scan_stateItLb0ELb1EEENS1_16block_id_wrapperIjLb0EEEEEvT_jT0_jPNS7_10value_typeE,comdat
.Lfunc_end2402:
	.size	_ZN7rocprim17ROCPRIM_400000_NS6detail31init_lookback_scan_state_kernelINS1_19lookback_scan_stateItLb0ELb1EEENS1_16block_id_wrapperIjLb0EEEEEvT_jT0_jPNS7_10value_typeE, .Lfunc_end2402-_ZN7rocprim17ROCPRIM_400000_NS6detail31init_lookback_scan_state_kernelINS1_19lookback_scan_stateItLb0ELb1EEENS1_16block_id_wrapperIjLb0EEEEEvT_jT0_jPNS7_10value_typeE
                                        ; -- End function
	.section	.AMDGPU.csdata,"",@progbits
; Kernel info:
; codeLenInByte = 316
; NumSgprs: 13
; NumVgprs: 6
; NumAgprs: 0
; TotalNumVgprs: 6
; ScratchSize: 0
; MemoryBound: 0
; FloatMode: 240
; IeeeMode: 1
; LDSByteSize: 0 bytes/workgroup (compile time only)
; SGPRBlocks: 1
; VGPRBlocks: 0
; NumSGPRsForWavesPerEU: 13
; NumVGPRsForWavesPerEU: 6
; AccumOffset: 8
; Occupancy: 8
; WaveLimiterHint : 0
; COMPUTE_PGM_RSRC2:SCRATCH_EN: 0
; COMPUTE_PGM_RSRC2:USER_SGPR: 6
; COMPUTE_PGM_RSRC2:TRAP_HANDLER: 0
; COMPUTE_PGM_RSRC2:TGID_X_EN: 1
; COMPUTE_PGM_RSRC2:TGID_Y_EN: 0
; COMPUTE_PGM_RSRC2:TGID_Z_EN: 0
; COMPUTE_PGM_RSRC2:TIDIG_COMP_CNT: 0
; COMPUTE_PGM_RSRC3_GFX90A:ACCUM_OFFSET: 1
; COMPUTE_PGM_RSRC3_GFX90A:TG_SPLIT: 0
	.section	.text._ZN7rocprim17ROCPRIM_400000_NS6detail17trampoline_kernelINS0_14default_configENS1_20scan_config_selectorItEEZZNS1_9scan_implILNS1_25lookback_scan_determinismE0ELb0ELb0ES3_N6thrust23THRUST_200600_302600_NS6detail15normal_iteratorINS9_10device_ptrItEEEESE_t11max_functorItEtEEDaPvRmT3_T4_T5_mT6_P12ihipStream_tbENKUlT_T0_E_clISt17integral_constantIbLb0EESU_EEDaSP_SQ_EUlSP_E_NS1_11comp_targetILNS1_3genE0ELNS1_11target_archE4294967295ELNS1_3gpuE0ELNS1_3repE0EEENS1_30default_config_static_selectorELNS0_4arch9wavefront6targetE1EEEvT1_,"axG",@progbits,_ZN7rocprim17ROCPRIM_400000_NS6detail17trampoline_kernelINS0_14default_configENS1_20scan_config_selectorItEEZZNS1_9scan_implILNS1_25lookback_scan_determinismE0ELb0ELb0ES3_N6thrust23THRUST_200600_302600_NS6detail15normal_iteratorINS9_10device_ptrItEEEESE_t11max_functorItEtEEDaPvRmT3_T4_T5_mT6_P12ihipStream_tbENKUlT_T0_E_clISt17integral_constantIbLb0EESU_EEDaSP_SQ_EUlSP_E_NS1_11comp_targetILNS1_3genE0ELNS1_11target_archE4294967295ELNS1_3gpuE0ELNS1_3repE0EEENS1_30default_config_static_selectorELNS0_4arch9wavefront6targetE1EEEvT1_,comdat
	.protected	_ZN7rocprim17ROCPRIM_400000_NS6detail17trampoline_kernelINS0_14default_configENS1_20scan_config_selectorItEEZZNS1_9scan_implILNS1_25lookback_scan_determinismE0ELb0ELb0ES3_N6thrust23THRUST_200600_302600_NS6detail15normal_iteratorINS9_10device_ptrItEEEESE_t11max_functorItEtEEDaPvRmT3_T4_T5_mT6_P12ihipStream_tbENKUlT_T0_E_clISt17integral_constantIbLb0EESU_EEDaSP_SQ_EUlSP_E_NS1_11comp_targetILNS1_3genE0ELNS1_11target_archE4294967295ELNS1_3gpuE0ELNS1_3repE0EEENS1_30default_config_static_selectorELNS0_4arch9wavefront6targetE1EEEvT1_ ; -- Begin function _ZN7rocprim17ROCPRIM_400000_NS6detail17trampoline_kernelINS0_14default_configENS1_20scan_config_selectorItEEZZNS1_9scan_implILNS1_25lookback_scan_determinismE0ELb0ELb0ES3_N6thrust23THRUST_200600_302600_NS6detail15normal_iteratorINS9_10device_ptrItEEEESE_t11max_functorItEtEEDaPvRmT3_T4_T5_mT6_P12ihipStream_tbENKUlT_T0_E_clISt17integral_constantIbLb0EESU_EEDaSP_SQ_EUlSP_E_NS1_11comp_targetILNS1_3genE0ELNS1_11target_archE4294967295ELNS1_3gpuE0ELNS1_3repE0EEENS1_30default_config_static_selectorELNS0_4arch9wavefront6targetE1EEEvT1_
	.globl	_ZN7rocprim17ROCPRIM_400000_NS6detail17trampoline_kernelINS0_14default_configENS1_20scan_config_selectorItEEZZNS1_9scan_implILNS1_25lookback_scan_determinismE0ELb0ELb0ES3_N6thrust23THRUST_200600_302600_NS6detail15normal_iteratorINS9_10device_ptrItEEEESE_t11max_functorItEtEEDaPvRmT3_T4_T5_mT6_P12ihipStream_tbENKUlT_T0_E_clISt17integral_constantIbLb0EESU_EEDaSP_SQ_EUlSP_E_NS1_11comp_targetILNS1_3genE0ELNS1_11target_archE4294967295ELNS1_3gpuE0ELNS1_3repE0EEENS1_30default_config_static_selectorELNS0_4arch9wavefront6targetE1EEEvT1_
	.p2align	8
	.type	_ZN7rocprim17ROCPRIM_400000_NS6detail17trampoline_kernelINS0_14default_configENS1_20scan_config_selectorItEEZZNS1_9scan_implILNS1_25lookback_scan_determinismE0ELb0ELb0ES3_N6thrust23THRUST_200600_302600_NS6detail15normal_iteratorINS9_10device_ptrItEEEESE_t11max_functorItEtEEDaPvRmT3_T4_T5_mT6_P12ihipStream_tbENKUlT_T0_E_clISt17integral_constantIbLb0EESU_EEDaSP_SQ_EUlSP_E_NS1_11comp_targetILNS1_3genE0ELNS1_11target_archE4294967295ELNS1_3gpuE0ELNS1_3repE0EEENS1_30default_config_static_selectorELNS0_4arch9wavefront6targetE1EEEvT1_,@function
_ZN7rocprim17ROCPRIM_400000_NS6detail17trampoline_kernelINS0_14default_configENS1_20scan_config_selectorItEEZZNS1_9scan_implILNS1_25lookback_scan_determinismE0ELb0ELb0ES3_N6thrust23THRUST_200600_302600_NS6detail15normal_iteratorINS9_10device_ptrItEEEESE_t11max_functorItEtEEDaPvRmT3_T4_T5_mT6_P12ihipStream_tbENKUlT_T0_E_clISt17integral_constantIbLb0EESU_EEDaSP_SQ_EUlSP_E_NS1_11comp_targetILNS1_3genE0ELNS1_11target_archE4294967295ELNS1_3gpuE0ELNS1_3repE0EEENS1_30default_config_static_selectorELNS0_4arch9wavefront6targetE1EEEvT1_: ; @_ZN7rocprim17ROCPRIM_400000_NS6detail17trampoline_kernelINS0_14default_configENS1_20scan_config_selectorItEEZZNS1_9scan_implILNS1_25lookback_scan_determinismE0ELb0ELb0ES3_N6thrust23THRUST_200600_302600_NS6detail15normal_iteratorINS9_10device_ptrItEEEESE_t11max_functorItEtEEDaPvRmT3_T4_T5_mT6_P12ihipStream_tbENKUlT_T0_E_clISt17integral_constantIbLb0EESU_EEDaSP_SQ_EUlSP_E_NS1_11comp_targetILNS1_3genE0ELNS1_11target_archE4294967295ELNS1_3gpuE0ELNS1_3repE0EEENS1_30default_config_static_selectorELNS0_4arch9wavefront6targetE1EEEvT1_
; %bb.0:
	.section	.rodata,"a",@progbits
	.p2align	6, 0x0
	.amdhsa_kernel _ZN7rocprim17ROCPRIM_400000_NS6detail17trampoline_kernelINS0_14default_configENS1_20scan_config_selectorItEEZZNS1_9scan_implILNS1_25lookback_scan_determinismE0ELb0ELb0ES3_N6thrust23THRUST_200600_302600_NS6detail15normal_iteratorINS9_10device_ptrItEEEESE_t11max_functorItEtEEDaPvRmT3_T4_T5_mT6_P12ihipStream_tbENKUlT_T0_E_clISt17integral_constantIbLb0EESU_EEDaSP_SQ_EUlSP_E_NS1_11comp_targetILNS1_3genE0ELNS1_11target_archE4294967295ELNS1_3gpuE0ELNS1_3repE0EEENS1_30default_config_static_selectorELNS0_4arch9wavefront6targetE1EEEvT1_
		.amdhsa_group_segment_fixed_size 0
		.amdhsa_private_segment_fixed_size 0
		.amdhsa_kernarg_size 96
		.amdhsa_user_sgpr_count 6
		.amdhsa_user_sgpr_private_segment_buffer 1
		.amdhsa_user_sgpr_dispatch_ptr 0
		.amdhsa_user_sgpr_queue_ptr 0
		.amdhsa_user_sgpr_kernarg_segment_ptr 1
		.amdhsa_user_sgpr_dispatch_id 0
		.amdhsa_user_sgpr_flat_scratch_init 0
		.amdhsa_user_sgpr_kernarg_preload_length 0
		.amdhsa_user_sgpr_kernarg_preload_offset 0
		.amdhsa_user_sgpr_private_segment_size 0
		.amdhsa_uses_dynamic_stack 0
		.amdhsa_system_sgpr_private_segment_wavefront_offset 0
		.amdhsa_system_sgpr_workgroup_id_x 1
		.amdhsa_system_sgpr_workgroup_id_y 0
		.amdhsa_system_sgpr_workgroup_id_z 0
		.amdhsa_system_sgpr_workgroup_info 0
		.amdhsa_system_vgpr_workitem_id 0
		.amdhsa_next_free_vgpr 1
		.amdhsa_next_free_sgpr 0
		.amdhsa_accum_offset 4
		.amdhsa_reserve_vcc 0
		.amdhsa_reserve_flat_scratch 0
		.amdhsa_float_round_mode_32 0
		.amdhsa_float_round_mode_16_64 0
		.amdhsa_float_denorm_mode_32 3
		.amdhsa_float_denorm_mode_16_64 3
		.amdhsa_dx10_clamp 1
		.amdhsa_ieee_mode 1
		.amdhsa_fp16_overflow 0
		.amdhsa_tg_split 0
		.amdhsa_exception_fp_ieee_invalid_op 0
		.amdhsa_exception_fp_denorm_src 0
		.amdhsa_exception_fp_ieee_div_zero 0
		.amdhsa_exception_fp_ieee_overflow 0
		.amdhsa_exception_fp_ieee_underflow 0
		.amdhsa_exception_fp_ieee_inexact 0
		.amdhsa_exception_int_div_zero 0
	.end_amdhsa_kernel
	.section	.text._ZN7rocprim17ROCPRIM_400000_NS6detail17trampoline_kernelINS0_14default_configENS1_20scan_config_selectorItEEZZNS1_9scan_implILNS1_25lookback_scan_determinismE0ELb0ELb0ES3_N6thrust23THRUST_200600_302600_NS6detail15normal_iteratorINS9_10device_ptrItEEEESE_t11max_functorItEtEEDaPvRmT3_T4_T5_mT6_P12ihipStream_tbENKUlT_T0_E_clISt17integral_constantIbLb0EESU_EEDaSP_SQ_EUlSP_E_NS1_11comp_targetILNS1_3genE0ELNS1_11target_archE4294967295ELNS1_3gpuE0ELNS1_3repE0EEENS1_30default_config_static_selectorELNS0_4arch9wavefront6targetE1EEEvT1_,"axG",@progbits,_ZN7rocprim17ROCPRIM_400000_NS6detail17trampoline_kernelINS0_14default_configENS1_20scan_config_selectorItEEZZNS1_9scan_implILNS1_25lookback_scan_determinismE0ELb0ELb0ES3_N6thrust23THRUST_200600_302600_NS6detail15normal_iteratorINS9_10device_ptrItEEEESE_t11max_functorItEtEEDaPvRmT3_T4_T5_mT6_P12ihipStream_tbENKUlT_T0_E_clISt17integral_constantIbLb0EESU_EEDaSP_SQ_EUlSP_E_NS1_11comp_targetILNS1_3genE0ELNS1_11target_archE4294967295ELNS1_3gpuE0ELNS1_3repE0EEENS1_30default_config_static_selectorELNS0_4arch9wavefront6targetE1EEEvT1_,comdat
.Lfunc_end2403:
	.size	_ZN7rocprim17ROCPRIM_400000_NS6detail17trampoline_kernelINS0_14default_configENS1_20scan_config_selectorItEEZZNS1_9scan_implILNS1_25lookback_scan_determinismE0ELb0ELb0ES3_N6thrust23THRUST_200600_302600_NS6detail15normal_iteratorINS9_10device_ptrItEEEESE_t11max_functorItEtEEDaPvRmT3_T4_T5_mT6_P12ihipStream_tbENKUlT_T0_E_clISt17integral_constantIbLb0EESU_EEDaSP_SQ_EUlSP_E_NS1_11comp_targetILNS1_3genE0ELNS1_11target_archE4294967295ELNS1_3gpuE0ELNS1_3repE0EEENS1_30default_config_static_selectorELNS0_4arch9wavefront6targetE1EEEvT1_, .Lfunc_end2403-_ZN7rocprim17ROCPRIM_400000_NS6detail17trampoline_kernelINS0_14default_configENS1_20scan_config_selectorItEEZZNS1_9scan_implILNS1_25lookback_scan_determinismE0ELb0ELb0ES3_N6thrust23THRUST_200600_302600_NS6detail15normal_iteratorINS9_10device_ptrItEEEESE_t11max_functorItEtEEDaPvRmT3_T4_T5_mT6_P12ihipStream_tbENKUlT_T0_E_clISt17integral_constantIbLb0EESU_EEDaSP_SQ_EUlSP_E_NS1_11comp_targetILNS1_3genE0ELNS1_11target_archE4294967295ELNS1_3gpuE0ELNS1_3repE0EEENS1_30default_config_static_selectorELNS0_4arch9wavefront6targetE1EEEvT1_
                                        ; -- End function
	.section	.AMDGPU.csdata,"",@progbits
; Kernel info:
; codeLenInByte = 0
; NumSgprs: 4
; NumVgprs: 0
; NumAgprs: 0
; TotalNumVgprs: 0
; ScratchSize: 0
; MemoryBound: 0
; FloatMode: 240
; IeeeMode: 1
; LDSByteSize: 0 bytes/workgroup (compile time only)
; SGPRBlocks: 0
; VGPRBlocks: 0
; NumSGPRsForWavesPerEU: 4
; NumVGPRsForWavesPerEU: 1
; AccumOffset: 4
; Occupancy: 8
; WaveLimiterHint : 0
; COMPUTE_PGM_RSRC2:SCRATCH_EN: 0
; COMPUTE_PGM_RSRC2:USER_SGPR: 6
; COMPUTE_PGM_RSRC2:TRAP_HANDLER: 0
; COMPUTE_PGM_RSRC2:TGID_X_EN: 1
; COMPUTE_PGM_RSRC2:TGID_Y_EN: 0
; COMPUTE_PGM_RSRC2:TGID_Z_EN: 0
; COMPUTE_PGM_RSRC2:TIDIG_COMP_CNT: 0
; COMPUTE_PGM_RSRC3_GFX90A:ACCUM_OFFSET: 0
; COMPUTE_PGM_RSRC3_GFX90A:TG_SPLIT: 0
	.section	.text._ZN7rocprim17ROCPRIM_400000_NS6detail17trampoline_kernelINS0_14default_configENS1_20scan_config_selectorItEEZZNS1_9scan_implILNS1_25lookback_scan_determinismE0ELb0ELb0ES3_N6thrust23THRUST_200600_302600_NS6detail15normal_iteratorINS9_10device_ptrItEEEESE_t11max_functorItEtEEDaPvRmT3_T4_T5_mT6_P12ihipStream_tbENKUlT_T0_E_clISt17integral_constantIbLb0EESU_EEDaSP_SQ_EUlSP_E_NS1_11comp_targetILNS1_3genE5ELNS1_11target_archE942ELNS1_3gpuE9ELNS1_3repE0EEENS1_30default_config_static_selectorELNS0_4arch9wavefront6targetE1EEEvT1_,"axG",@progbits,_ZN7rocprim17ROCPRIM_400000_NS6detail17trampoline_kernelINS0_14default_configENS1_20scan_config_selectorItEEZZNS1_9scan_implILNS1_25lookback_scan_determinismE0ELb0ELb0ES3_N6thrust23THRUST_200600_302600_NS6detail15normal_iteratorINS9_10device_ptrItEEEESE_t11max_functorItEtEEDaPvRmT3_T4_T5_mT6_P12ihipStream_tbENKUlT_T0_E_clISt17integral_constantIbLb0EESU_EEDaSP_SQ_EUlSP_E_NS1_11comp_targetILNS1_3genE5ELNS1_11target_archE942ELNS1_3gpuE9ELNS1_3repE0EEENS1_30default_config_static_selectorELNS0_4arch9wavefront6targetE1EEEvT1_,comdat
	.protected	_ZN7rocprim17ROCPRIM_400000_NS6detail17trampoline_kernelINS0_14default_configENS1_20scan_config_selectorItEEZZNS1_9scan_implILNS1_25lookback_scan_determinismE0ELb0ELb0ES3_N6thrust23THRUST_200600_302600_NS6detail15normal_iteratorINS9_10device_ptrItEEEESE_t11max_functorItEtEEDaPvRmT3_T4_T5_mT6_P12ihipStream_tbENKUlT_T0_E_clISt17integral_constantIbLb0EESU_EEDaSP_SQ_EUlSP_E_NS1_11comp_targetILNS1_3genE5ELNS1_11target_archE942ELNS1_3gpuE9ELNS1_3repE0EEENS1_30default_config_static_selectorELNS0_4arch9wavefront6targetE1EEEvT1_ ; -- Begin function _ZN7rocprim17ROCPRIM_400000_NS6detail17trampoline_kernelINS0_14default_configENS1_20scan_config_selectorItEEZZNS1_9scan_implILNS1_25lookback_scan_determinismE0ELb0ELb0ES3_N6thrust23THRUST_200600_302600_NS6detail15normal_iteratorINS9_10device_ptrItEEEESE_t11max_functorItEtEEDaPvRmT3_T4_T5_mT6_P12ihipStream_tbENKUlT_T0_E_clISt17integral_constantIbLb0EESU_EEDaSP_SQ_EUlSP_E_NS1_11comp_targetILNS1_3genE5ELNS1_11target_archE942ELNS1_3gpuE9ELNS1_3repE0EEENS1_30default_config_static_selectorELNS0_4arch9wavefront6targetE1EEEvT1_
	.globl	_ZN7rocprim17ROCPRIM_400000_NS6detail17trampoline_kernelINS0_14default_configENS1_20scan_config_selectorItEEZZNS1_9scan_implILNS1_25lookback_scan_determinismE0ELb0ELb0ES3_N6thrust23THRUST_200600_302600_NS6detail15normal_iteratorINS9_10device_ptrItEEEESE_t11max_functorItEtEEDaPvRmT3_T4_T5_mT6_P12ihipStream_tbENKUlT_T0_E_clISt17integral_constantIbLb0EESU_EEDaSP_SQ_EUlSP_E_NS1_11comp_targetILNS1_3genE5ELNS1_11target_archE942ELNS1_3gpuE9ELNS1_3repE0EEENS1_30default_config_static_selectorELNS0_4arch9wavefront6targetE1EEEvT1_
	.p2align	8
	.type	_ZN7rocprim17ROCPRIM_400000_NS6detail17trampoline_kernelINS0_14default_configENS1_20scan_config_selectorItEEZZNS1_9scan_implILNS1_25lookback_scan_determinismE0ELb0ELb0ES3_N6thrust23THRUST_200600_302600_NS6detail15normal_iteratorINS9_10device_ptrItEEEESE_t11max_functorItEtEEDaPvRmT3_T4_T5_mT6_P12ihipStream_tbENKUlT_T0_E_clISt17integral_constantIbLb0EESU_EEDaSP_SQ_EUlSP_E_NS1_11comp_targetILNS1_3genE5ELNS1_11target_archE942ELNS1_3gpuE9ELNS1_3repE0EEENS1_30default_config_static_selectorELNS0_4arch9wavefront6targetE1EEEvT1_,@function
_ZN7rocprim17ROCPRIM_400000_NS6detail17trampoline_kernelINS0_14default_configENS1_20scan_config_selectorItEEZZNS1_9scan_implILNS1_25lookback_scan_determinismE0ELb0ELb0ES3_N6thrust23THRUST_200600_302600_NS6detail15normal_iteratorINS9_10device_ptrItEEEESE_t11max_functorItEtEEDaPvRmT3_T4_T5_mT6_P12ihipStream_tbENKUlT_T0_E_clISt17integral_constantIbLb0EESU_EEDaSP_SQ_EUlSP_E_NS1_11comp_targetILNS1_3genE5ELNS1_11target_archE942ELNS1_3gpuE9ELNS1_3repE0EEENS1_30default_config_static_selectorELNS0_4arch9wavefront6targetE1EEEvT1_: ; @_ZN7rocprim17ROCPRIM_400000_NS6detail17trampoline_kernelINS0_14default_configENS1_20scan_config_selectorItEEZZNS1_9scan_implILNS1_25lookback_scan_determinismE0ELb0ELb0ES3_N6thrust23THRUST_200600_302600_NS6detail15normal_iteratorINS9_10device_ptrItEEEESE_t11max_functorItEtEEDaPvRmT3_T4_T5_mT6_P12ihipStream_tbENKUlT_T0_E_clISt17integral_constantIbLb0EESU_EEDaSP_SQ_EUlSP_E_NS1_11comp_targetILNS1_3genE5ELNS1_11target_archE942ELNS1_3gpuE9ELNS1_3repE0EEENS1_30default_config_static_selectorELNS0_4arch9wavefront6targetE1EEEvT1_
; %bb.0:
	.section	.rodata,"a",@progbits
	.p2align	6, 0x0
	.amdhsa_kernel _ZN7rocprim17ROCPRIM_400000_NS6detail17trampoline_kernelINS0_14default_configENS1_20scan_config_selectorItEEZZNS1_9scan_implILNS1_25lookback_scan_determinismE0ELb0ELb0ES3_N6thrust23THRUST_200600_302600_NS6detail15normal_iteratorINS9_10device_ptrItEEEESE_t11max_functorItEtEEDaPvRmT3_T4_T5_mT6_P12ihipStream_tbENKUlT_T0_E_clISt17integral_constantIbLb0EESU_EEDaSP_SQ_EUlSP_E_NS1_11comp_targetILNS1_3genE5ELNS1_11target_archE942ELNS1_3gpuE9ELNS1_3repE0EEENS1_30default_config_static_selectorELNS0_4arch9wavefront6targetE1EEEvT1_
		.amdhsa_group_segment_fixed_size 0
		.amdhsa_private_segment_fixed_size 0
		.amdhsa_kernarg_size 96
		.amdhsa_user_sgpr_count 6
		.amdhsa_user_sgpr_private_segment_buffer 1
		.amdhsa_user_sgpr_dispatch_ptr 0
		.amdhsa_user_sgpr_queue_ptr 0
		.amdhsa_user_sgpr_kernarg_segment_ptr 1
		.amdhsa_user_sgpr_dispatch_id 0
		.amdhsa_user_sgpr_flat_scratch_init 0
		.amdhsa_user_sgpr_kernarg_preload_length 0
		.amdhsa_user_sgpr_kernarg_preload_offset 0
		.amdhsa_user_sgpr_private_segment_size 0
		.amdhsa_uses_dynamic_stack 0
		.amdhsa_system_sgpr_private_segment_wavefront_offset 0
		.amdhsa_system_sgpr_workgroup_id_x 1
		.amdhsa_system_sgpr_workgroup_id_y 0
		.amdhsa_system_sgpr_workgroup_id_z 0
		.amdhsa_system_sgpr_workgroup_info 0
		.amdhsa_system_vgpr_workitem_id 0
		.amdhsa_next_free_vgpr 1
		.amdhsa_next_free_sgpr 0
		.amdhsa_accum_offset 4
		.amdhsa_reserve_vcc 0
		.amdhsa_reserve_flat_scratch 0
		.amdhsa_float_round_mode_32 0
		.amdhsa_float_round_mode_16_64 0
		.amdhsa_float_denorm_mode_32 3
		.amdhsa_float_denorm_mode_16_64 3
		.amdhsa_dx10_clamp 1
		.amdhsa_ieee_mode 1
		.amdhsa_fp16_overflow 0
		.amdhsa_tg_split 0
		.amdhsa_exception_fp_ieee_invalid_op 0
		.amdhsa_exception_fp_denorm_src 0
		.amdhsa_exception_fp_ieee_div_zero 0
		.amdhsa_exception_fp_ieee_overflow 0
		.amdhsa_exception_fp_ieee_underflow 0
		.amdhsa_exception_fp_ieee_inexact 0
		.amdhsa_exception_int_div_zero 0
	.end_amdhsa_kernel
	.section	.text._ZN7rocprim17ROCPRIM_400000_NS6detail17trampoline_kernelINS0_14default_configENS1_20scan_config_selectorItEEZZNS1_9scan_implILNS1_25lookback_scan_determinismE0ELb0ELb0ES3_N6thrust23THRUST_200600_302600_NS6detail15normal_iteratorINS9_10device_ptrItEEEESE_t11max_functorItEtEEDaPvRmT3_T4_T5_mT6_P12ihipStream_tbENKUlT_T0_E_clISt17integral_constantIbLb0EESU_EEDaSP_SQ_EUlSP_E_NS1_11comp_targetILNS1_3genE5ELNS1_11target_archE942ELNS1_3gpuE9ELNS1_3repE0EEENS1_30default_config_static_selectorELNS0_4arch9wavefront6targetE1EEEvT1_,"axG",@progbits,_ZN7rocprim17ROCPRIM_400000_NS6detail17trampoline_kernelINS0_14default_configENS1_20scan_config_selectorItEEZZNS1_9scan_implILNS1_25lookback_scan_determinismE0ELb0ELb0ES3_N6thrust23THRUST_200600_302600_NS6detail15normal_iteratorINS9_10device_ptrItEEEESE_t11max_functorItEtEEDaPvRmT3_T4_T5_mT6_P12ihipStream_tbENKUlT_T0_E_clISt17integral_constantIbLb0EESU_EEDaSP_SQ_EUlSP_E_NS1_11comp_targetILNS1_3genE5ELNS1_11target_archE942ELNS1_3gpuE9ELNS1_3repE0EEENS1_30default_config_static_selectorELNS0_4arch9wavefront6targetE1EEEvT1_,comdat
.Lfunc_end2404:
	.size	_ZN7rocprim17ROCPRIM_400000_NS6detail17trampoline_kernelINS0_14default_configENS1_20scan_config_selectorItEEZZNS1_9scan_implILNS1_25lookback_scan_determinismE0ELb0ELb0ES3_N6thrust23THRUST_200600_302600_NS6detail15normal_iteratorINS9_10device_ptrItEEEESE_t11max_functorItEtEEDaPvRmT3_T4_T5_mT6_P12ihipStream_tbENKUlT_T0_E_clISt17integral_constantIbLb0EESU_EEDaSP_SQ_EUlSP_E_NS1_11comp_targetILNS1_3genE5ELNS1_11target_archE942ELNS1_3gpuE9ELNS1_3repE0EEENS1_30default_config_static_selectorELNS0_4arch9wavefront6targetE1EEEvT1_, .Lfunc_end2404-_ZN7rocprim17ROCPRIM_400000_NS6detail17trampoline_kernelINS0_14default_configENS1_20scan_config_selectorItEEZZNS1_9scan_implILNS1_25lookback_scan_determinismE0ELb0ELb0ES3_N6thrust23THRUST_200600_302600_NS6detail15normal_iteratorINS9_10device_ptrItEEEESE_t11max_functorItEtEEDaPvRmT3_T4_T5_mT6_P12ihipStream_tbENKUlT_T0_E_clISt17integral_constantIbLb0EESU_EEDaSP_SQ_EUlSP_E_NS1_11comp_targetILNS1_3genE5ELNS1_11target_archE942ELNS1_3gpuE9ELNS1_3repE0EEENS1_30default_config_static_selectorELNS0_4arch9wavefront6targetE1EEEvT1_
                                        ; -- End function
	.section	.AMDGPU.csdata,"",@progbits
; Kernel info:
; codeLenInByte = 0
; NumSgprs: 4
; NumVgprs: 0
; NumAgprs: 0
; TotalNumVgprs: 0
; ScratchSize: 0
; MemoryBound: 0
; FloatMode: 240
; IeeeMode: 1
; LDSByteSize: 0 bytes/workgroup (compile time only)
; SGPRBlocks: 0
; VGPRBlocks: 0
; NumSGPRsForWavesPerEU: 4
; NumVGPRsForWavesPerEU: 1
; AccumOffset: 4
; Occupancy: 8
; WaveLimiterHint : 0
; COMPUTE_PGM_RSRC2:SCRATCH_EN: 0
; COMPUTE_PGM_RSRC2:USER_SGPR: 6
; COMPUTE_PGM_RSRC2:TRAP_HANDLER: 0
; COMPUTE_PGM_RSRC2:TGID_X_EN: 1
; COMPUTE_PGM_RSRC2:TGID_Y_EN: 0
; COMPUTE_PGM_RSRC2:TGID_Z_EN: 0
; COMPUTE_PGM_RSRC2:TIDIG_COMP_CNT: 0
; COMPUTE_PGM_RSRC3_GFX90A:ACCUM_OFFSET: 0
; COMPUTE_PGM_RSRC3_GFX90A:TG_SPLIT: 0
	.section	.text._ZN7rocprim17ROCPRIM_400000_NS6detail17trampoline_kernelINS0_14default_configENS1_20scan_config_selectorItEEZZNS1_9scan_implILNS1_25lookback_scan_determinismE0ELb0ELb0ES3_N6thrust23THRUST_200600_302600_NS6detail15normal_iteratorINS9_10device_ptrItEEEESE_t11max_functorItEtEEDaPvRmT3_T4_T5_mT6_P12ihipStream_tbENKUlT_T0_E_clISt17integral_constantIbLb0EESU_EEDaSP_SQ_EUlSP_E_NS1_11comp_targetILNS1_3genE4ELNS1_11target_archE910ELNS1_3gpuE8ELNS1_3repE0EEENS1_30default_config_static_selectorELNS0_4arch9wavefront6targetE1EEEvT1_,"axG",@progbits,_ZN7rocprim17ROCPRIM_400000_NS6detail17trampoline_kernelINS0_14default_configENS1_20scan_config_selectorItEEZZNS1_9scan_implILNS1_25lookback_scan_determinismE0ELb0ELb0ES3_N6thrust23THRUST_200600_302600_NS6detail15normal_iteratorINS9_10device_ptrItEEEESE_t11max_functorItEtEEDaPvRmT3_T4_T5_mT6_P12ihipStream_tbENKUlT_T0_E_clISt17integral_constantIbLb0EESU_EEDaSP_SQ_EUlSP_E_NS1_11comp_targetILNS1_3genE4ELNS1_11target_archE910ELNS1_3gpuE8ELNS1_3repE0EEENS1_30default_config_static_selectorELNS0_4arch9wavefront6targetE1EEEvT1_,comdat
	.protected	_ZN7rocprim17ROCPRIM_400000_NS6detail17trampoline_kernelINS0_14default_configENS1_20scan_config_selectorItEEZZNS1_9scan_implILNS1_25lookback_scan_determinismE0ELb0ELb0ES3_N6thrust23THRUST_200600_302600_NS6detail15normal_iteratorINS9_10device_ptrItEEEESE_t11max_functorItEtEEDaPvRmT3_T4_T5_mT6_P12ihipStream_tbENKUlT_T0_E_clISt17integral_constantIbLb0EESU_EEDaSP_SQ_EUlSP_E_NS1_11comp_targetILNS1_3genE4ELNS1_11target_archE910ELNS1_3gpuE8ELNS1_3repE0EEENS1_30default_config_static_selectorELNS0_4arch9wavefront6targetE1EEEvT1_ ; -- Begin function _ZN7rocprim17ROCPRIM_400000_NS6detail17trampoline_kernelINS0_14default_configENS1_20scan_config_selectorItEEZZNS1_9scan_implILNS1_25lookback_scan_determinismE0ELb0ELb0ES3_N6thrust23THRUST_200600_302600_NS6detail15normal_iteratorINS9_10device_ptrItEEEESE_t11max_functorItEtEEDaPvRmT3_T4_T5_mT6_P12ihipStream_tbENKUlT_T0_E_clISt17integral_constantIbLb0EESU_EEDaSP_SQ_EUlSP_E_NS1_11comp_targetILNS1_3genE4ELNS1_11target_archE910ELNS1_3gpuE8ELNS1_3repE0EEENS1_30default_config_static_selectorELNS0_4arch9wavefront6targetE1EEEvT1_
	.globl	_ZN7rocprim17ROCPRIM_400000_NS6detail17trampoline_kernelINS0_14default_configENS1_20scan_config_selectorItEEZZNS1_9scan_implILNS1_25lookback_scan_determinismE0ELb0ELb0ES3_N6thrust23THRUST_200600_302600_NS6detail15normal_iteratorINS9_10device_ptrItEEEESE_t11max_functorItEtEEDaPvRmT3_T4_T5_mT6_P12ihipStream_tbENKUlT_T0_E_clISt17integral_constantIbLb0EESU_EEDaSP_SQ_EUlSP_E_NS1_11comp_targetILNS1_3genE4ELNS1_11target_archE910ELNS1_3gpuE8ELNS1_3repE0EEENS1_30default_config_static_selectorELNS0_4arch9wavefront6targetE1EEEvT1_
	.p2align	8
	.type	_ZN7rocprim17ROCPRIM_400000_NS6detail17trampoline_kernelINS0_14default_configENS1_20scan_config_selectorItEEZZNS1_9scan_implILNS1_25lookback_scan_determinismE0ELb0ELb0ES3_N6thrust23THRUST_200600_302600_NS6detail15normal_iteratorINS9_10device_ptrItEEEESE_t11max_functorItEtEEDaPvRmT3_T4_T5_mT6_P12ihipStream_tbENKUlT_T0_E_clISt17integral_constantIbLb0EESU_EEDaSP_SQ_EUlSP_E_NS1_11comp_targetILNS1_3genE4ELNS1_11target_archE910ELNS1_3gpuE8ELNS1_3repE0EEENS1_30default_config_static_selectorELNS0_4arch9wavefront6targetE1EEEvT1_,@function
_ZN7rocprim17ROCPRIM_400000_NS6detail17trampoline_kernelINS0_14default_configENS1_20scan_config_selectorItEEZZNS1_9scan_implILNS1_25lookback_scan_determinismE0ELb0ELb0ES3_N6thrust23THRUST_200600_302600_NS6detail15normal_iteratorINS9_10device_ptrItEEEESE_t11max_functorItEtEEDaPvRmT3_T4_T5_mT6_P12ihipStream_tbENKUlT_T0_E_clISt17integral_constantIbLb0EESU_EEDaSP_SQ_EUlSP_E_NS1_11comp_targetILNS1_3genE4ELNS1_11target_archE910ELNS1_3gpuE8ELNS1_3repE0EEENS1_30default_config_static_selectorELNS0_4arch9wavefront6targetE1EEEvT1_: ; @_ZN7rocprim17ROCPRIM_400000_NS6detail17trampoline_kernelINS0_14default_configENS1_20scan_config_selectorItEEZZNS1_9scan_implILNS1_25lookback_scan_determinismE0ELb0ELb0ES3_N6thrust23THRUST_200600_302600_NS6detail15normal_iteratorINS9_10device_ptrItEEEESE_t11max_functorItEtEEDaPvRmT3_T4_T5_mT6_P12ihipStream_tbENKUlT_T0_E_clISt17integral_constantIbLb0EESU_EEDaSP_SQ_EUlSP_E_NS1_11comp_targetILNS1_3genE4ELNS1_11target_archE910ELNS1_3gpuE8ELNS1_3repE0EEENS1_30default_config_static_selectorELNS0_4arch9wavefront6targetE1EEEvT1_
; %bb.0:
	s_load_dwordx8 s[12:19], s[4:5], 0x0
	s_load_dword s1, s[4:5], 0x30
	s_mul_i32 s0, s6, 0x600
	v_lshlrev_b32_e32 v20, 1, v0
	s_waitcnt lgkmcnt(0)
	s_lshl_b64 s[14:15], s[14:15], 1
	s_add_u32 s2, s12, s14
	s_addc_u32 s3, s13, s15
	s_add_i32 s7, s1, -1
	s_mul_i32 s8, s7, 0x600
	s_sub_u32 s26, s18, s8
	s_subb_u32 s27, s19, 0
	s_mov_b32 s1, 0
	s_cmp_lg_u32 s6, s7
	s_cselect_b64 s[18:19], -1, 0
	s_lshl_b64 s[20:21], s[0:1], 1
	s_add_u32 s2, s2, s20
	s_addc_u32 s3, s3, s21
	s_mov_b64 s[0:1], -1
	s_and_b64 vcc, exec, s[18:19]
	s_cbranch_vccz .LBB2405_2
; %bb.1:
	v_mov_b32_e32 v1, s3
	v_add_co_u32_e32 v2, vcc, s2, v20
	v_addc_co_u32_e32 v3, vcc, 0, v1, vcc
	flat_load_ushort v1, v[2:3]
	flat_load_ushort v4, v[2:3] offset:128
	flat_load_ushort v5, v[2:3] offset:256
	;; [unrolled: 1-line block ×23, first 2 shown]
	s_mov_b64 s[0:1], 0
	s_waitcnt vmcnt(0) lgkmcnt(0)
	ds_write_b16 v20, v1
	ds_write_b16 v20, v4 offset:128
	ds_write_b16 v20, v5 offset:256
	;; [unrolled: 1-line block ×23, first 2 shown]
	s_waitcnt lgkmcnt(0)
	; wave barrier
.LBB2405_2:
	s_load_dwordx2 s[22:23], s[4:5], 0x28
	s_andn2_b64 vcc, exec, s[0:1]
	v_cmp_gt_u32_e64 s[0:1], s26, v0
	s_cbranch_vccnz .LBB2405_52
; %bb.3:
	v_pk_mov_b32 v[2:3], s[2:3], s[2:3] op_sel:[0,1]
	flat_load_ushort v1, v[2:3]
	s_waitcnt vmcnt(0) lgkmcnt(0)
	v_mov_b32_e32 v2, v1
	s_and_saveexec_b64 s[8:9], s[0:1]
	s_cbranch_execz .LBB2405_5
; %bb.4:
	v_mov_b32_e32 v3, s3
	v_add_co_u32_e32 v2, vcc, s2, v20
	v_addc_co_u32_e32 v3, vcc, 0, v3, vcc
	flat_load_ushort v2, v[2:3]
.LBB2405_5:
	s_or_b64 exec, exec, s[8:9]
	v_or_b32_e32 v3, 64, v0
	v_cmp_gt_u32_e32 vcc, s26, v3
	v_mov_b32_e32 v3, v1
	s_and_saveexec_b64 s[0:1], vcc
	s_cbranch_execz .LBB2405_7
; %bb.6:
	v_mov_b32_e32 v3, s3
	v_add_co_u32_e32 v4, vcc, s2, v20
	v_addc_co_u32_e32 v5, vcc, 0, v3, vcc
	flat_load_ushort v3, v[4:5] offset:128
.LBB2405_7:
	s_or_b64 exec, exec, s[0:1]
	v_or_b32_e32 v4, 0x80, v0
	v_cmp_gt_u32_e32 vcc, s26, v4
	v_mov_b32_e32 v4, v1
	s_and_saveexec_b64 s[0:1], vcc
	s_cbranch_execz .LBB2405_9
; %bb.8:
	v_mov_b32_e32 v5, s3
	v_add_co_u32_e32 v4, vcc, s2, v20
	v_addc_co_u32_e32 v5, vcc, 0, v5, vcc
	flat_load_ushort v4, v[4:5] offset:256
.LBB2405_9:
	;; [unrolled: 12-line block ×22, first 2 shown]
	s_or_b64 exec, exec, s[0:1]
	v_or_b32_e32 v26, 0x5c0, v0
	v_cmp_gt_u32_e32 vcc, s26, v26
	s_and_saveexec_b64 s[0:1], vcc
	s_cbranch_execz .LBB2405_51
; %bb.50:
	v_mov_b32_e32 v1, s3
	v_add_co_u32_e32 v26, vcc, s2, v20
	v_addc_co_u32_e32 v27, vcc, 0, v1, vcc
	flat_load_ushort v1, v[26:27] offset:2944
.LBB2405_51:
	s_or_b64 exec, exec, s[0:1]
	s_waitcnt vmcnt(0) lgkmcnt(0)
	ds_write_b16 v20, v2
	ds_write_b16 v20, v3 offset:128
	ds_write_b16 v20, v4 offset:256
	;; [unrolled: 1-line block ×23, first 2 shown]
	s_waitcnt lgkmcnt(0)
	; wave barrier
.LBB2405_52:
	v_mul_u32_u24_e32 v21, 24, v0
	v_lshlrev_b32_e32 v22, 1, v21
	s_waitcnt lgkmcnt(0)
	ds_read_b128 v[10:13], v22
	ds_read_b128 v[6:9], v22 offset:16
	ds_read_b128 v[2:5], v22 offset:32
	s_cmp_lg_u32 s6, 0
	v_mbcnt_lo_u32_b32 v33, -1, 0
	s_waitcnt lgkmcnt(2)
	v_lshrrev_b32_e32 v32, 16, v11
	v_lshrrev_b32_e32 v31, 16, v12
	;; [unrolled: 1-line block ×3, first 2 shown]
	s_waitcnt lgkmcnt(1)
	v_lshrrev_b32_e32 v29, 16, v6
	v_lshrrev_b32_e32 v28, 16, v7
	;; [unrolled: 1-line block ×4, first 2 shown]
	s_waitcnt lgkmcnt(0)
	v_lshrrev_b32_e32 v25, 16, v2
	v_lshrrev_b32_e32 v24, 16, v3
	;; [unrolled: 1-line block ×4, first 2 shown]
	v_cmp_eq_u32_e32 vcc, 63, v0
	s_waitcnt lgkmcnt(0)
	; wave barrier
	s_cbranch_scc0 .LBB2405_75
; %bb.53:
	v_max_u16_sdwa v14, v10, v10 dst_sel:DWORD dst_unused:UNUSED_PAD src0_sel:DWORD src1_sel:WORD_1
	v_max3_u16 v14, v14, v11, v32
	v_max3_u16 v14, v14, v12, v31
	;; [unrolled: 1-line block ×11, first 2 shown]
	v_mbcnt_hi_u32_b32 v15, -1, v33
	v_and_b32_e32 v17, 0xffff, v14
	v_and_b32_e32 v16, 15, v15
	v_cmp_eq_u32_e64 s[0:1], 0, v16
	v_mov_b32_dpp v17, v17 row_shr:1 row_mask:0xf bank_mask:0xf
	v_max_u16_e32 v17, v17, v14
	v_cndmask_b32_e64 v14, v17, v14, s[0:1]
	v_and_b32_e32 v17, 0xffff, v14
	v_cmp_lt_u32_e64 s[0:1], 1, v16
	s_nop 0
	v_mov_b32_dpp v17, v17 row_shr:2 row_mask:0xf bank_mask:0xf
	v_max_u16_e32 v17, v17, v14
	v_cndmask_b32_e64 v14, v14, v17, s[0:1]
	v_and_b32_e32 v17, 0xffff, v14
	v_cmp_lt_u32_e64 s[0:1], 3, v16
	s_nop 0
	;; [unrolled: 6-line block ×3, first 2 shown]
	v_mov_b32_dpp v17, v17 row_shr:8 row_mask:0xf bank_mask:0xf
	v_max_u16_e32 v17, v17, v14
	v_cndmask_b32_e64 v14, v14, v17, s[0:1]
	v_and_b32_e32 v16, 0xffff, v14
	v_and_b32_e32 v17, 16, v15
	v_cmp_eq_u32_e64 s[0:1], 0, v17
	v_mov_b32_dpp v16, v16 row_bcast:15 row_mask:0xf bank_mask:0xf
	v_max_u16_e32 v16, v16, v14
	v_cndmask_b32_e64 v14, v16, v14, s[0:1]
	v_and_b32_e32 v16, 0xffff, v14
	v_cmp_lt_u32_e64 s[0:1], 31, v15
	s_nop 0
	v_mov_b32_dpp v16, v16 row_bcast:31 row_mask:0xf bank_mask:0xf
	v_max_u16_e32 v16, v16, v14
	v_cndmask_b32_e64 v14, v14, v16, s[0:1]
	s_and_saveexec_b64 s[0:1], vcc
	s_cbranch_execz .LBB2405_55
; %bb.54:
	v_mov_b32_e32 v16, 0
	ds_write_b16 v16, v14
.LBB2405_55:
	s_or_b64 exec, exec, s[0:1]
	v_add_u32_e32 v16, -1, v15
	v_and_b32_e32 v17, 64, v15
	v_cmp_lt_i32_e32 vcc, v16, v17
	v_cndmask_b32_e32 v16, v16, v15, vcc
	v_and_b32_e32 v14, 0xffff, v14
	v_lshlrev_b32_e32 v16, 2, v16
	ds_bpermute_b32 v34, v16, v14
	v_cmp_gt_u32_e32 vcc, 64, v0
	s_waitcnt lgkmcnt(0)
	; wave barrier
	s_waitcnt lgkmcnt(0)
	s_and_saveexec_b64 s[24:25], vcc
	s_cbranch_execz .LBB2405_74
; %bb.56:
	v_mov_b32_e32 v17, 0
	ds_read_u16 v35, v17
	s_mov_b32 s9, 0
	v_cmp_eq_u32_e64 s[0:1], 0, v15
	s_and_saveexec_b64 s[2:3], s[0:1]
	s_cbranch_execz .LBB2405_58
; %bb.57:
	s_add_i32 s8, s6, 64
	s_lshl_b64 s[8:9], s[8:9], 2
	s_add_u32 s8, s22, s8
	s_waitcnt lgkmcnt(0)
	v_or_b32_e32 v14, 0x10000, v35
	s_addc_u32 s9, s23, s9
	global_store_dword v17, v14, s[8:9]
.LBB2405_58:
	s_or_b64 exec, exec, s[2:3]
	v_xad_u32 v14, v15, -1, s6
	v_add_u32_e32 v16, 64, v14
	v_lshlrev_b64 v[18:19], 2, v[16:17]
	v_mov_b32_e32 v16, s23
	v_add_co_u32_e32 v18, vcc, s22, v18
	v_addc_co_u32_e32 v19, vcc, v16, v19, vcc
	global_load_dword v48, v[18:19], off glc
	s_waitcnt vmcnt(0)
	v_lshrrev_b32_e32 v37, 16, v48
	v_cmp_eq_u16_sdwa s[8:9], v37, v17 src0_sel:BYTE_0 src1_sel:DWORD
	s_and_saveexec_b64 s[2:3], s[8:9]
	s_cbranch_execz .LBB2405_62
; %bb.59:
	s_mov_b64 s[8:9], 0
	v_mov_b32_e32 v16, 0
.LBB2405_60:                            ; =>This Inner Loop Header: Depth=1
	global_load_dword v48, v[18:19], off glc
	s_waitcnt vmcnt(0)
	v_lshrrev_b32_e32 v37, 16, v48
	v_cmp_ne_u16_sdwa s[10:11], v37, v16 src0_sel:BYTE_0 src1_sel:DWORD
	s_or_b64 s[8:9], s[10:11], s[8:9]
	s_andn2_b64 exec, exec, s[8:9]
	s_cbranch_execnz .LBB2405_60
; %bb.61:
	s_or_b64 exec, exec, s[8:9]
.LBB2405_62:
	s_or_b64 exec, exec, s[2:3]
	v_and_b32_e32 v38, 63, v15
	v_cmp_ne_u32_e32 vcc, 63, v38
	v_mov_b32_e32 v36, 2
	v_addc_co_u32_e32 v39, vcc, 0, v15, vcc
	v_cmp_eq_u16_sdwa s[2:3], v37, v36 src0_sel:BYTE_0 src1_sel:DWORD
	v_lshlrev_b64 v[16:17], v15, -1
	v_and_b32_e32 v40, 0xffff, v48
	v_lshlrev_b32_e32 v39, 2, v39
	v_and_b32_e32 v18, s3, v17
	ds_bpermute_b32 v41, v39, v40
	v_or_b32_e32 v18, 0x80000000, v18
	v_and_b32_e32 v19, s2, v16
	v_ffbl_b32_e32 v18, v18
	v_add_u32_e32 v18, 32, v18
	v_ffbl_b32_e32 v19, v19
	v_min_u32_e32 v18, v19, v18
	s_waitcnt lgkmcnt(0)
	v_max_u16_e32 v19, v41, v48
	v_cmp_lt_u32_e32 vcc, v38, v18
	v_cmp_gt_u32_e64 s[2:3], 62, v38
	v_cndmask_b32_e32 v42, v40, v19, vcc
	v_cndmask_b32_e64 v40, 0, 1, s[2:3]
	v_lshlrev_b32_e32 v40, 1, v40
	v_add_lshl_u32 v40, v40, v15, 2
	ds_bpermute_b32 v43, v40, v42
	v_cndmask_b32_e32 v19, v48, v19, vcc
	v_add_u32_e32 v41, 2, v38
	v_cmp_gt_u32_e64 s[2:3], v41, v18
	v_cmp_gt_u32_e64 s[8:9], 60, v38
	s_waitcnt lgkmcnt(0)
	v_max_u16_e32 v43, v43, v19
	v_cndmask_b32_e64 v44, v43, v42, s[2:3]
	v_cndmask_b32_e64 v42, 0, 1, s[8:9]
	v_lshlrev_b32_e32 v42, 2, v42
	v_add_lshl_u32 v42, v42, v15, 2
	ds_bpermute_b32 v45, v42, v44
	v_cndmask_b32_e64 v19, v43, v19, s[2:3]
	v_add_u32_e32 v43, 4, v38
	v_cmp_gt_u32_e64 s[2:3], v43, v18
	v_cmp_gt_u32_e64 s[8:9], 56, v38
	s_waitcnt lgkmcnt(0)
	v_max_u16_e32 v51, v45, v19
	v_cndmask_b32_e64 v46, v51, v44, s[2:3]
	v_cndmask_b32_e64 v44, 0, 1, s[8:9]
	v_lshlrev_b32_e32 v44, 3, v44
	v_add_lshl_u32 v44, v44, v15, 2
	ds_bpermute_b32 v47, v44, v46
	v_cndmask_b32_e64 v49, v51, v19, s[2:3]
	v_add_u32_e32 v45, 8, v38
	v_cmp_gt_u32_e64 s[8:9], v45, v18
	v_cmp_gt_u32_e64 s[10:11], 48, v38
	s_waitcnt lgkmcnt(0)
	v_max_u16_e32 v52, v47, v49
	v_cndmask_b32_e64 v50, v52, v46, s[8:9]
	v_cndmask_b32_e64 v46, 0, 1, s[10:11]
	v_lshlrev_b32_e32 v46, 4, v46
	v_add_lshl_u32 v46, v46, v15, 2
	ds_bpermute_b32 v53, v46, v50
	v_cmp_gt_u32_e64 s[12:13], 32, v38
	v_cndmask_b32_e64 v54, v52, v49, s[8:9]
	v_add_u32_e32 v47, 16, v38
	v_cndmask_b32_e64 v49, 0, 1, s[12:13]
	s_waitcnt lgkmcnt(0)
	v_max_u16_e32 v53, v53, v54
	v_cmp_gt_u32_e64 s[10:11], v47, v18
	v_lshlrev_b32_e32 v49, 5, v49
	v_cndmask_b32_e64 v50, v53, v50, s[10:11]
	v_add_lshl_u32 v49, v49, v15, 2
	ds_bpermute_b32 v15, v49, v50
	v_cndmask_b32_e32 v19, v48, v19, vcc
	v_cndmask_b32_e64 v19, v51, v19, s[2:3]
	v_add_u32_e32 v50, 32, v38
	v_cndmask_b32_e64 v54, v53, v54, s[10:11]
	v_cndmask_b32_e64 v19, v52, v19, s[8:9]
	s_waitcnt lgkmcnt(0)
	v_max_u16_e32 v15, v15, v54
	v_cndmask_b32_e64 v19, v53, v19, s[10:11]
	v_cmp_gt_u32_e32 vcc, v50, v18
	v_cndmask_b32_e32 v18, v15, v19, vcc
	v_mov_b32_e32 v15, 0
	s_branch .LBB2405_64
.LBB2405_63:                            ;   in Loop: Header=BB2405_64 Depth=1
	s_or_b64 exec, exec, s[2:3]
	v_cmp_eq_u16_sdwa s[2:3], v37, v36 src0_sel:BYTE_0 src1_sel:DWORD
	v_and_b32_e32 v52, 0xffff, v51
	v_and_b32_e32 v18, s3, v17
	ds_bpermute_b32 v53, v39, v52
	v_or_b32_e32 v18, 0x80000000, v18
	v_and_b32_e32 v19, s2, v16
	v_ffbl_b32_e32 v18, v18
	v_add_u32_e32 v18, 32, v18
	v_ffbl_b32_e32 v19, v19
	v_min_u32_e32 v18, v19, v18
	s_waitcnt lgkmcnt(0)
	v_max_u16_e32 v19, v53, v51
	v_cmp_lt_u32_e32 vcc, v38, v18
	v_cndmask_b32_e32 v52, v52, v19, vcc
	ds_bpermute_b32 v53, v40, v52
	v_cndmask_b32_e32 v19, v51, v19, vcc
	v_cmp_gt_u32_e64 s[2:3], v41, v18
	v_cmp_gt_u32_e64 s[8:9], v45, v18
	v_subrev_u32_e32 v14, 64, v14
	s_waitcnt lgkmcnt(0)
	v_max_u16_e32 v53, v53, v19
	v_cndmask_b32_e64 v52, v53, v52, s[2:3]
	ds_bpermute_b32 v54, v42, v52
	v_cndmask_b32_e64 v19, v53, v19, s[2:3]
	v_cmp_gt_u32_e64 s[2:3], v43, v18
	s_waitcnt lgkmcnt(0)
	v_max_u16_e32 v53, v54, v19
	v_cndmask_b32_e64 v52, v53, v52, s[2:3]
	ds_bpermute_b32 v54, v44, v52
	v_cndmask_b32_e64 v55, v53, v19, s[2:3]
	v_cndmask_b32_e32 v19, v51, v19, vcc
	v_cmp_gt_u32_e32 vcc, v47, v18
	v_cndmask_b32_e64 v19, v53, v19, s[2:3]
	s_waitcnt lgkmcnt(0)
	v_max_u16_e32 v54, v54, v55
	v_cndmask_b32_e64 v52, v54, v52, s[8:9]
	ds_bpermute_b32 v56, v46, v52
	v_cndmask_b32_e64 v51, v54, v55, s[8:9]
	v_cndmask_b32_e64 v19, v54, v19, s[8:9]
	s_waitcnt lgkmcnt(0)
	v_max_u16_e32 v55, v56, v51
	v_cndmask_b32_e32 v52, v55, v52, vcc
	ds_bpermute_b32 v52, v49, v52
	v_cndmask_b32_e32 v51, v55, v51, vcc
	v_cndmask_b32_e32 v19, v55, v19, vcc
	v_cmp_gt_u32_e32 vcc, v50, v18
	s_waitcnt lgkmcnt(0)
	v_max_u16_e32 v51, v52, v51
	v_cndmask_b32_e32 v18, v51, v19, vcc
	v_max_u16_e32 v18, v18, v48
.LBB2405_64:                            ; =>This Loop Header: Depth=1
                                        ;     Child Loop BB2405_67 Depth 2
	v_cmp_ne_u16_sdwa s[2:3], v37, v36 src0_sel:BYTE_0 src1_sel:DWORD
	v_cndmask_b32_e64 v19, 0, 1, s[2:3]
	;;#ASMSTART
	;;#ASMEND
	v_cmp_ne_u32_e32 vcc, 0, v19
	s_cmp_lg_u64 vcc, exec
	v_mov_b32_e32 v48, v18
	s_cbranch_scc1 .LBB2405_69
; %bb.65:                               ;   in Loop: Header=BB2405_64 Depth=1
	v_lshlrev_b64 v[18:19], 2, v[14:15]
	v_mov_b32_e32 v37, s23
	v_add_co_u32_e32 v18, vcc, s22, v18
	v_addc_co_u32_e32 v19, vcc, v37, v19, vcc
	global_load_dword v51, v[18:19], off glc
	s_waitcnt vmcnt(0)
	v_lshrrev_b32_e32 v37, 16, v51
	v_cmp_eq_u16_sdwa s[8:9], v37, v15 src0_sel:BYTE_0 src1_sel:DWORD
	s_and_saveexec_b64 s[2:3], s[8:9]
	s_cbranch_execz .LBB2405_63
; %bb.66:                               ;   in Loop: Header=BB2405_64 Depth=1
	s_mov_b64 s[8:9], 0
.LBB2405_67:                            ;   Parent Loop BB2405_64 Depth=1
                                        ; =>  This Inner Loop Header: Depth=2
	global_load_dword v51, v[18:19], off glc
	s_waitcnt vmcnt(0)
	v_lshrrev_b32_e32 v37, 16, v51
	v_cmp_ne_u16_sdwa s[10:11], v37, v15 src0_sel:BYTE_0 src1_sel:DWORD
	s_or_b64 s[8:9], s[10:11], s[8:9]
	s_andn2_b64 exec, exec, s[8:9]
	s_cbranch_execnz .LBB2405_67
; %bb.68:                               ;   in Loop: Header=BB2405_64 Depth=1
	s_or_b64 exec, exec, s[8:9]
	s_branch .LBB2405_63
.LBB2405_69:                            ;   in Loop: Header=BB2405_64 Depth=1
                                        ; implicit-def: $vgpr18
                                        ; implicit-def: $vgpr37
	s_cbranch_execz .LBB2405_64
; %bb.70:
	s_and_saveexec_b64 s[2:3], s[0:1]
	s_cbranch_execz .LBB2405_72
; %bb.71:
	s_add_i32 s0, s6, 64
	s_mov_b32 s1, 0
	s_lshl_b64 s[0:1], s[0:1], 2
	v_max_u16_e32 v14, v48, v35
	s_add_u32 s0, s22, s0
	v_or_b32_e32 v14, 0x20000, v14
	s_addc_u32 s1, s23, s1
	v_mov_b32_e32 v15, 0
	global_store_dword v15, v14, s[0:1]
.LBB2405_72:
	s_or_b64 exec, exec, s[2:3]
	v_cmp_eq_u32_e32 vcc, 0, v0
	s_and_b64 exec, exec, vcc
	s_cbranch_execz .LBB2405_74
; %bb.73:
	v_mov_b32_e32 v14, 0
	ds_write_b16 v14, v48
.LBB2405_74:
	s_or_b64 exec, exec, s[24:25]
	v_mov_b32_e32 v14, 0
	s_waitcnt lgkmcnt(0)
	; wave barrier
	s_waitcnt lgkmcnt(0)
	ds_read_u16 v14, v14
	v_max_u16_e32 v15, v34, v10
	v_cmp_eq_u32_e32 vcc, 0, v0
	v_cndmask_b32_e32 v15, v15, v10, vcc
	s_waitcnt lgkmcnt(0)
	v_max_u16_e32 v14, v14, v15
	v_max_u16_sdwa v15, v14, v10 dst_sel:DWORD dst_unused:UNUSED_PAD src0_sel:DWORD src1_sel:WORD_1
	v_max_u16_e32 v16, v15, v11
	v_max_u16_e32 v17, v16, v32
	;; [unrolled: 1-line block ×22, first 2 shown]
	s_load_dwordx8 s[4:11], s[4:5], 0x38
	s_branch .LBB2405_85
.LBB2405_75:
                                        ; implicit-def: $vgpr14
                                        ; implicit-def: $vgpr15
                                        ; implicit-def: $vgpr16
                                        ; implicit-def: $vgpr17
                                        ; implicit-def: $vgpr18
                                        ; implicit-def: $vgpr19
                                        ; implicit-def: $vgpr35
                                        ; implicit-def: $vgpr37
                                        ; implicit-def: $vgpr34
                                        ; implicit-def: $vgpr36
                                        ; implicit-def: $vgpr38
                                        ; implicit-def: $vgpr39
                                        ; implicit-def: $vgpr40
                                        ; implicit-def: $vgpr41
                                        ; implicit-def: $vgpr43
                                        ; implicit-def: $vgpr45
                                        ; implicit-def: $vgpr42
                                        ; implicit-def: $vgpr44
                                        ; implicit-def: $vgpr46
                                        ; implicit-def: $vgpr47
                                        ; implicit-def: $vgpr48
                                        ; implicit-def: $vgpr49
                                        ; implicit-def: $vgpr50
                                        ; implicit-def: $vgpr51
	s_load_dwordx8 s[4:11], s[4:5], 0x38
	s_cbranch_execz .LBB2405_85
; %bb.76:
	s_waitcnt lgkmcnt(0)
	s_cmp_lg_u64 s[8:9], 0
	s_cselect_b64 s[2:3], -1, 0
	v_cmp_eq_u32_e64 s[0:1], 0, v0
	v_cmp_ne_u32_e32 vcc, 0, v0
	s_and_b64 s[2:3], s[0:1], s[2:3]
	v_mov_b32_e32 v14, v10
	s_and_saveexec_b64 s[0:1], s[2:3]
	s_cbranch_execz .LBB2405_78
; %bb.77:
	v_mov_b32_e32 v14, 0
	global_load_ushort v14, v14, s[4:5]
	s_waitcnt vmcnt(0)
	v_max_u16_e32 v14, v14, v10
.LBB2405_78:
	s_or_b64 exec, exec, s[0:1]
	v_max_u16_sdwa v15, v14, v10 dst_sel:DWORD dst_unused:UNUSED_PAD src0_sel:DWORD src1_sel:WORD_1
	v_max_u16_e32 v16, v15, v11
	v_max_u16_e32 v17, v16, v32
	;; [unrolled: 1-line block ×22, first 2 shown]
	v_mbcnt_hi_u32_b32 v33, -1, v33
	v_and_b32_e32 v52, 15, v33
	v_mov_b32_dpp v53, v51 row_shr:1 row_mask:0xf bank_mask:0xf
	v_max_u16_e32 v53, v53, v51
	v_cmp_eq_u32_e64 s[0:1], 0, v52
	v_cndmask_b32_e64 v53, v53, v51, s[0:1]
	v_and_b32_e32 v54, 0xffff, v53
	v_cmp_lt_u32_e64 s[0:1], 1, v52
	s_nop 0
	v_mov_b32_dpp v54, v54 row_shr:2 row_mask:0xf bank_mask:0xf
	v_max_u16_e32 v54, v54, v53
	v_cndmask_b32_e64 v53, v53, v54, s[0:1]
	v_and_b32_e32 v54, 0xffff, v53
	v_cmp_lt_u32_e64 s[0:1], 3, v52
	s_nop 0
	v_mov_b32_dpp v54, v54 row_shr:4 row_mask:0xf bank_mask:0xf
	v_max_u16_e32 v54, v54, v53
	;; [unrolled: 6-line block ×3, first 2 shown]
	v_cndmask_b32_e64 v52, v53, v54, s[0:1]
	v_and_b32_e32 v53, 0xffff, v52
	v_and_b32_e32 v54, 16, v33
	v_cmp_eq_u32_e64 s[0:1], 0, v54
	v_mov_b32_dpp v53, v53 row_bcast:15 row_mask:0xf bank_mask:0xf
	v_max_u16_e32 v53, v53, v52
	v_cndmask_b32_e64 v52, v53, v52, s[0:1]
	v_and_b32_e32 v53, 0xffff, v52
	v_cmp_lt_u32_e64 s[0:1], 31, v33
	s_nop 0
	v_mov_b32_dpp v53, v53 row_bcast:31 row_mask:0xf bank_mask:0xf
	v_max_u16_e32 v53, v53, v52
	v_cndmask_b32_e64 v52, v52, v53, s[0:1]
	v_cmp_eq_u32_e64 s[0:1], 63, v0
	s_and_saveexec_b64 s[2:3], s[0:1]
	s_cbranch_execz .LBB2405_80
; %bb.79:
	v_mov_b32_e32 v53, 0
	ds_write_b16 v53, v52
.LBB2405_80:
	s_or_b64 exec, exec, s[2:3]
	v_add_u32_e32 v53, -1, v33
	v_and_b32_e32 v54, 64, v33
	v_cmp_lt_i32_e64 s[2:3], v53, v54
	v_cndmask_b32_e64 v33, v53, v33, s[2:3]
	v_and_b32_e32 v52, 0xffff, v52
	v_lshlrev_b32_e32 v33, 2, v33
	ds_bpermute_b32 v33, v33, v52
	s_waitcnt lgkmcnt(0)
	; wave barrier
	s_waitcnt lgkmcnt(0)
	s_and_saveexec_b64 s[2:3], vcc
	s_cbranch_execz .LBB2405_82
; %bb.81:
	v_max_u16_e32 v14, v33, v14
	v_max_u16_sdwa v15, v14, v10 dst_sel:DWORD dst_unused:UNUSED_PAD src0_sel:DWORD src1_sel:WORD_1
	v_max_u16_e32 v16, v15, v11
	v_max_u16_e32 v17, v16, v32
	;; [unrolled: 1-line block ×22, first 2 shown]
	;;#ASMSTART
	;;#ASMEND
.LBB2405_82:
	s_or_b64 exec, exec, s[2:3]
	s_and_saveexec_b64 s[2:3], s[0:1]
	s_cbranch_execz .LBB2405_84
; %bb.83:
	s_mov_b32 s0, 0x20000
	v_mov_b32_e32 v1, 0
	v_or_b32_sdwa v2, v51, s0 dst_sel:DWORD dst_unused:UNUSED_PAD src0_sel:WORD_0 src1_sel:DWORD
	global_store_dword v1, v2, s[22:23] offset:256
.LBB2405_84:
	s_or_b64 exec, exec, s[2:3]
.LBB2405_85:
	s_add_u32 s0, s16, s14
	s_addc_u32 s1, s17, s15
	s_add_u32 s2, s0, s20
	s_addc_u32 s3, s1, s21
	s_mov_b64 s[0:1], -1
	s_and_b64 vcc, exec, s[18:19]
	s_waitcnt lgkmcnt(0)
	; wave barrier
	s_waitcnt lgkmcnt(0)
	s_cbranch_vccz .LBB2405_87
; %bb.86:
	s_mov_b32 s0, 0x5040100
	v_perm_b32 v5, v37, v35, s0
	v_perm_b32 v4, v19, v18, s0
	;; [unrolled: 1-line block ×4, first 2 shown]
	ds_write_b128 v22, v[2:5]
	v_perm_b32 v5, v45, v43, s0
	v_perm_b32 v4, v41, v40, s0
	;; [unrolled: 1-line block ×4, first 2 shown]
	ds_write_b128 v22, v[2:5] offset:16
	v_perm_b32 v5, v51, v50, s0
	v_perm_b32 v4, v49, v48, s0
	;; [unrolled: 1-line block ×4, first 2 shown]
	ds_write_b128 v22, v[2:5] offset:32
	s_waitcnt lgkmcnt(0)
	; wave barrier
	s_waitcnt lgkmcnt(0)
	ds_read_u16 v1, v20
	ds_read_u16 v4, v20 offset:128
	ds_read_u16 v5, v20 offset:256
	;; [unrolled: 1-line block ×23, first 2 shown]
	v_mov_b32_e32 v3, s3
	v_add_co_u32_e32 v2, vcc, s2, v20
	v_addc_co_u32_e32 v3, vcc, 0, v3, vcc
	s_waitcnt lgkmcnt(14)
	flat_store_short v[2:3], v1
	flat_store_short v[2:3], v4 offset:128
	flat_store_short v[2:3], v5 offset:256
	;; [unrolled: 1-line block ×9, first 2 shown]
	s_waitcnt lgkmcnt(0)
	flat_store_short v[2:3], v13 offset:1280
	flat_store_short v[2:3], v23 offset:1408
	;; [unrolled: 1-line block ×14, first 2 shown]
	s_mov_b64 s[0:1], 0
.LBB2405_87:
	s_andn2_b64 vcc, exec, s[0:1]
	s_cbranch_vccnz .LBB2405_144
; %bb.88:
	s_mov_b32 s0, 0x5040100
	v_perm_b32 v5, v37, v35, s0
	v_perm_b32 v4, v19, v18, s0
	;; [unrolled: 1-line block ×4, first 2 shown]
	ds_write_b128 v22, v[2:5]
	v_perm_b32 v5, v45, v43, s0
	v_perm_b32 v4, v41, v40, s0
	;; [unrolled: 1-line block ×4, first 2 shown]
	ds_write_b128 v22, v[2:5] offset:16
	v_perm_b32 v5, v51, v50, s0
	v_perm_b32 v4, v49, v48, s0
	;; [unrolled: 1-line block ×4, first 2 shown]
	s_movk_i32 s0, 0xffd2
	ds_write_b128 v22, v[2:5] offset:32
	v_mad_i32_i24 v2, v0, s0, v22
	s_waitcnt lgkmcnt(0)
	; wave barrier
	s_waitcnt lgkmcnt(0)
	ds_read_u16 v5, v2
	ds_read_u16 v4, v2 offset:128
	ds_read_u16 v7, v2 offset:256
	;; [unrolled: 1-line block ×23, first 2 shown]
	v_mov_b32_e32 v3, s3
	v_add_co_u32_e32 v2, vcc, s2, v20
	v_addc_co_u32_e32 v3, vcc, 0, v3, vcc
	v_mov_b32_e32 v1, 0
	v_cmp_gt_u32_e32 vcc, s26, v0
	s_and_saveexec_b64 s[0:1], vcc
	s_cbranch_execz .LBB2405_90
; %bb.89:
	s_waitcnt lgkmcnt(0)
	flat_store_short v[2:3], v5
.LBB2405_90:
	s_or_b64 exec, exec, s[0:1]
	v_or_b32_e32 v20, 64, v0
	v_cmp_gt_u32_e32 vcc, s26, v20
	s_and_saveexec_b64 s[0:1], vcc
	s_cbranch_execz .LBB2405_92
; %bb.91:
	s_waitcnt lgkmcnt(0)
	flat_store_short v[2:3], v4 offset:128
.LBB2405_92:
	s_or_b64 exec, exec, s[0:1]
	v_or_b32_e32 v20, 0x80, v0
	v_cmp_gt_u32_e32 vcc, s26, v20
	s_and_saveexec_b64 s[0:1], vcc
	s_cbranch_execz .LBB2405_94
; %bb.93:
	s_waitcnt lgkmcnt(0)
	flat_store_short v[2:3], v7 offset:256
.LBB2405_94:
	;; [unrolled: 9-line block ×23, first 2 shown]
	s_or_b64 exec, exec, s[0:1]
	v_cmp_lt_u64_e64 s[0:1], s[10:11], 2
	s_and_b64 vcc, exec, s[0:1]
	s_cbranch_vccnz .LBB2405_144
; %bb.137:
	s_add_u32 s0, s26, -1
	s_addc_u32 s1, s27, -1
	s_add_u32 s2, 0, 0xaaaa0000
	s_addc_u32 s3, 0, 42
	s_add_i32 s3, s3, 0xaaaaa80
	s_mul_hi_u32 s9, s2, 0xffffffe8
	s_sub_i32 s9, s9, s2
	s_mul_i32 s10, s3, 0xffffffe8
	s_mul_i32 s4, s2, 0xffffffe8
	s_add_i32 s9, s9, s10
	s_mul_hi_u32 s5, s3, s4
	s_mul_i32 s8, s3, s4
	s_mul_i32 s11, s2, s9
	s_mul_hi_u32 s4, s2, s4
	s_mul_hi_u32 s10, s2, s9
	s_add_u32 s4, s4, s11
	s_addc_u32 s10, 0, s10
	s_add_u32 s4, s4, s8
	s_mul_hi_u32 s11, s3, s9
	s_addc_u32 s4, s10, s5
	s_addc_u32 s5, s11, 0
	s_mul_i32 s8, s3, s9
	s_add_u32 s4, s4, s8
	v_mov_b32_e32 v2, s4
	s_addc_u32 s5, 0, s5
	v_add_co_u32_e32 v2, vcc, s2, v2
	s_cmp_lg_u64 vcc, 0
	s_addc_u32 s2, s3, s5
	v_readfirstlane_b32 s5, v2
	s_mul_i32 s4, s0, s2
	s_mul_hi_u32 s8, s0, s5
	s_mul_hi_u32 s3, s0, s2
	s_add_u32 s4, s8, s4
	s_addc_u32 s3, 0, s3
	s_mul_hi_u32 s9, s1, s5
	s_mul_i32 s5, s1, s5
	s_add_u32 s4, s4, s5
	s_mul_hi_u32 s8, s1, s2
	s_addc_u32 s3, s3, s9
	s_addc_u32 s4, s8, 0
	s_mul_i32 s2, s1, s2
	s_add_u32 s2, s3, s2
	s_addc_u32 s3, 0, s4
	s_add_u32 s4, s2, 1
	s_addc_u32 s5, s3, 0
	s_add_u32 s8, s2, 2
	s_mul_i32 s10, s3, 24
	s_mul_hi_u32 s11, s2, 24
	s_addc_u32 s9, s3, 0
	s_add_i32 s11, s11, s10
	s_mul_i32 s10, s2, 24
	v_mov_b32_e32 v2, s10
	v_sub_co_u32_e32 v2, vcc, s0, v2
	s_cmp_lg_u64 vcc, 0
	s_subb_u32 s10, s1, s11
	v_subrev_co_u32_e32 v3, vcc, 24, v2
	s_cmp_lg_u64 vcc, 0
	s_subb_u32 s11, s10, 0
	v_readfirstlane_b32 s12, v3
	s_cmp_gt_u32 s12, 23
	s_cselect_b32 s12, -1, 0
	s_cmp_eq_u32 s11, 0
	s_cselect_b32 s11, s12, -1
	s_cmp_lg_u32 s11, 0
	s_cselect_b32 s4, s8, s4
	v_readfirstlane_b32 s8, v2
	s_cselect_b32 s5, s9, s5
	s_cmp_gt_u32 s8, 23
	s_cselect_b32 s8, -1, 0
	s_cmp_eq_u32 s10, 0
	s_cselect_b32 s8, s8, -1
	s_cmp_lg_u32 s8, 0
	s_cselect_b32 s3, s5, s3
	s_cselect_b32 s2, s4, s2
	v_cmp_eq_u64_e32 vcc, s[2:3], v[0:1]
	s_and_saveexec_b64 s[2:3], vcc
	s_cbranch_execz .LBB2405_144
; %bb.138:
	v_mul_hi_u32_u24_e32 v1, 24, v0
	v_mov_b32_e32 v2, s1
	v_sub_co_u32_e32 v0, vcc, s0, v21
	v_subb_co_u32_e32 v1, vcc, v2, v1, vcc
	v_cmp_lt_i64_e32 vcc, 11, v[0:1]
	s_mov_b64 s[0:1], 0
	s_mov_b64 s[10:11], 0
	;; [unrolled: 1-line block ×4, first 2 shown]
	s_and_saveexec_b64 s[2:3], vcc
	s_xor_b64 s[2:3], exec, s[2:3]
	s_cbranch_execnz .LBB2405_145
; %bb.139:
	s_andn2_saveexec_b64 s[2:3], s[2:3]
	s_cbranch_execnz .LBB2405_190
.LBB2405_140:
	s_or_b64 exec, exec, s[2:3]
	s_and_saveexec_b64 s[2:3], s[10:11]
	s_cbranch_execnz .LBB2405_207
.LBB2405_141:
	s_or_b64 exec, exec, s[2:3]
	s_and_saveexec_b64 s[2:3], s[8:9]
	s_cbranch_execnz .LBB2405_208
.LBB2405_142:
	s_or_b64 exec, exec, s[2:3]
	s_and_saveexec_b64 s[2:3], s[4:5]
	s_xor_b64 s[2:3], exec, s[2:3]
	s_cbranch_execnz .LBB2405_209
.LBB2405_143:
	s_or_b64 exec, exec, s[2:3]
	s_and_b64 exec, exec, s[0:1]
	s_cbranch_execnz .LBB2405_210
.LBB2405_144:
	s_endpgm
.LBB2405_145:
	v_cmp_lt_i64_e32 vcc, 17, v[0:1]
	s_and_saveexec_b64 s[12:13], vcc
	s_xor_b64 s[12:13], exec, s[12:13]
	s_cbranch_execz .LBB2405_167
; %bb.146:
	v_cmp_lt_i64_e32 vcc, 20, v[0:1]
                                        ; implicit-def: $vgpr10
	s_and_saveexec_b64 s[14:15], vcc
	s_xor_b64 s[14:15], exec, s[14:15]
	s_cbranch_execz .LBB2405_156
; %bb.147:
	v_cmp_lt_i64_e32 vcc, 21, v[0:1]
	s_mov_b64 s[16:17], 0
                                        ; implicit-def: $vgpr10
	s_and_saveexec_b64 s[4:5], vcc
	s_xor_b64 s[4:5], exec, s[4:5]
	s_cbranch_execz .LBB2405_153
; %bb.148:
	v_cmp_lt_i64_e32 vcc, 22, v[0:1]
	s_and_saveexec_b64 s[16:17], vcc
	s_xor_b64 s[16:17], exec, s[16:17]
	s_cbranch_execz .LBB2405_150
; %bb.149:
	v_mov_b32_e32 v2, 0
	s_waitcnt lgkmcnt(0)
	global_store_short v2, v29, s[6:7]
                                        ; implicit-def: $vgpr28
.LBB2405_150:
	s_or_saveexec_b64 s[16:17], s[16:17]
	s_mov_b64 s[18:19], 0
	s_xor_b64 exec, exec, s[16:17]
; %bb.151:
	s_mov_b64 s[18:19], exec
; %bb.152:
	s_or_b64 exec, exec, s[16:17]
	s_and_b64 s[16:17], s[18:19], exec
	s_waitcnt lgkmcnt(0)
	v_mov_b32_e32 v10, v28
                                        ; implicit-def: $vgpr11
.LBB2405_153:
	s_andn2_saveexec_b64 s[4:5], s[4:5]
; %bb.154:
	s_mov_b64 s[8:9], exec
                                        ; implicit-def: $vgpr10
; %bb.155:
	s_or_b64 exec, exec, s[4:5]
	s_and_b64 s[4:5], s[16:17], exec
	s_and_b64 s[8:9], s[8:9], exec
                                        ; implicit-def: $vgpr26
                                        ; implicit-def: $vgpr12
                                        ; implicit-def: $vgpr23
.LBB2405_156:
	s_andn2_saveexec_b64 s[14:15], s[14:15]
	s_cbranch_execz .LBB2405_166
; %bb.157:
	v_cmp_lt_i64_e32 vcc, 18, v[0:1]
	s_mov_b64 s[16:17], 0
	s_and_saveexec_b64 s[10:11], vcc
	s_xor_b64 s[10:11], exec, s[10:11]
	s_cbranch_execz .LBB2405_163
; %bb.158:
	v_cmp_lt_i64_e32 vcc, 19, v[0:1]
	s_and_saveexec_b64 s[18:19], vcc
	s_xor_b64 s[18:19], exec, s[18:19]
; %bb.159:
	s_mov_b64 s[16:17], exec
                                        ; implicit-def: $vgpr23
; %bb.160:
	s_andn2_saveexec_b64 s[18:19], s[18:19]
	s_cbranch_execz .LBB2405_162
; %bb.161:
	v_mov_b32_e32 v2, 0
	s_waitcnt lgkmcnt(0)
	global_store_short v2, v23, s[6:7]
                                        ; implicit-def: $vgpr12
.LBB2405_162:
	s_or_b64 exec, exec, s[18:19]
	s_and_b64 s[16:17], s[16:17], exec
                                        ; implicit-def: $vgpr26
.LBB2405_163:
	s_andn2_saveexec_b64 s[10:11], s[10:11]
	s_cbranch_execz .LBB2405_165
; %bb.164:
	v_mov_b32_e32 v2, 0
	s_waitcnt lgkmcnt(0)
	global_store_short v2, v26, s[6:7]
                                        ; implicit-def: $vgpr12
.LBB2405_165:
	s_or_b64 exec, exec, s[10:11]
	s_and_b64 s[10:11], s[16:17], exec
                                        ; implicit-def: $vgpr10
                                        ; implicit-def: $vgpr11
.LBB2405_166:
	s_or_b64 exec, exec, s[14:15]
	s_and_b64 s[4:5], s[4:5], exec
	s_and_b64 s[8:9], s[8:9], exec
	;; [unrolled: 1-line block ×3, first 2 shown]
                                        ; implicit-def: $vgpr18
                                        ; implicit-def: $vgpr13
                                        ; implicit-def: $vgpr14
                                        ; implicit-def: $vgpr24
                                        ; implicit-def: $vgpr27
.LBB2405_167:
	s_andn2_saveexec_b64 s[12:13], s[12:13]
	s_cbranch_execz .LBB2405_189
; %bb.168:
	v_cmp_lt_i64_e32 vcc, 14, v[0:1]
	s_mov_b64 s[14:15], s[4:5]
	s_and_saveexec_b64 s[16:17], vcc
	s_xor_b64 s[16:17], exec, s[16:17]
	s_cbranch_execz .LBB2405_178
; %bb.169:
	v_cmp_lt_i64_e32 vcc, 15, v[0:1]
	s_and_saveexec_b64 s[14:15], vcc
	s_xor_b64 s[14:15], exec, s[14:15]
	s_cbranch_execz .LBB2405_175
; %bb.170:
	v_cmp_lt_i64_e32 vcc, 16, v[0:1]
	s_and_saveexec_b64 s[18:19], vcc
	s_xor_b64 s[18:19], exec, s[18:19]
	s_cbranch_execz .LBB2405_172
; %bb.171:
	v_mov_b32_e32 v2, 0
	s_waitcnt lgkmcnt(0)
	global_store_short v2, v27, s[6:7]
                                        ; implicit-def: $vgpr24
.LBB2405_172:
	s_andn2_saveexec_b64 s[18:19], s[18:19]
	s_cbranch_execz .LBB2405_174
; %bb.173:
	v_mov_b32_e32 v2, 0
	s_waitcnt lgkmcnt(0)
	global_store_short v2, v24, s[6:7]
.LBB2405_174:
	s_or_b64 exec, exec, s[18:19]
                                        ; implicit-def: $vgpr10
.LBB2405_175:
	s_or_saveexec_b64 s[14:15], s[14:15]
	s_mov_b64 s[18:19], s[4:5]
	s_xor_b64 exec, exec, s[14:15]
; %bb.176:
	s_or_b64 s[18:19], s[4:5], exec
; %bb.177:
	s_or_b64 exec, exec, s[14:15]
	s_andn2_b64 s[14:15], s[4:5], exec
	s_and_b64 s[18:19], s[18:19], exec
	s_or_b64 s[14:15], s[14:15], s[18:19]
                                        ; implicit-def: $vgpr18
                                        ; implicit-def: $vgpr13
                                        ; implicit-def: $vgpr14
.LBB2405_178:
	s_or_saveexec_b64 s[16:17], s[16:17]
	s_mov_b64 s[18:19], s[8:9]
                                        ; implicit-def: $vgpr11
	s_xor_b64 exec, exec, s[16:17]
	s_cbranch_execz .LBB2405_188
; %bb.179:
	v_cmp_lt_i64_e32 vcc, 12, v[0:1]
	s_mov_b64 s[20:21], s[8:9]
	s_mov_b64 s[22:23], s[14:15]
                                        ; implicit-def: $vgpr10
                                        ; implicit-def: $vgpr11
	s_and_saveexec_b64 s[18:19], vcc
	s_xor_b64 s[18:19], exec, s[18:19]
	s_cbranch_execz .LBB2405_185
; %bb.180:
	v_cmp_lt_i64_e32 vcc, 13, v[0:1]
	s_mov_b64 s[20:21], s[14:15]
	s_and_saveexec_b64 s[22:23], vcc
	s_xor_b64 s[22:23], exec, s[22:23]
; %bb.181:
	s_or_b64 s[20:21], s[14:15], exec
                                        ; implicit-def: $vgpr13
; %bb.182:
	s_or_saveexec_b64 s[22:23], s[22:23]
	s_mov_b64 s[24:25], s[8:9]
	s_xor_b64 exec, exec, s[22:23]
; %bb.183:
	s_or_b64 s[24:25], s[8:9], exec
                                        ; implicit-def: $vgpr14
; %bb.184:
	s_or_b64 exec, exec, s[22:23]
	s_andn2_b64 s[22:23], s[14:15], exec
	s_and_b64 s[20:21], s[20:21], exec
	s_or_b64 s[22:23], s[22:23], s[20:21]
	s_andn2_b64 s[20:21], s[8:9], exec
	s_and_b64 s[24:25], s[24:25], exec
	s_or_b64 s[20:21], s[20:21], s[24:25]
	s_waitcnt lgkmcnt(0)
	v_mov_b32_e32 v10, v14
	v_mov_b32_e32 v11, v13
                                        ; implicit-def: $vgpr18
.LBB2405_185:
	s_andn2_saveexec_b64 s[18:19], s[18:19]
	s_cbranch_execz .LBB2405_187
; %bb.186:
	s_or_b64 s[20:21], s[20:21], exec
                                        ; implicit-def: $vgpr10
	s_waitcnt lgkmcnt(0)
	v_mov_b32_e32 v11, v18
.LBB2405_187:
	s_or_b64 exec, exec, s[18:19]
	s_andn2_b64 s[14:15], s[14:15], exec
	s_and_b64 s[18:19], s[22:23], exec
	s_or_b64 s[14:15], s[14:15], s[18:19]
	s_andn2_b64 s[18:19], s[8:9], exec
	s_and_b64 s[20:21], s[20:21], exec
	s_or_b64 s[18:19], s[18:19], s[20:21]
.LBB2405_188:
	s_or_b64 exec, exec, s[16:17]
	s_andn2_b64 s[4:5], s[4:5], exec
	s_and_b64 s[14:15], s[14:15], exec
	s_or_b64 s[4:5], s[4:5], s[14:15]
	s_andn2_b64 s[8:9], s[8:9], exec
	s_and_b64 s[14:15], s[18:19], exec
	s_or_b64 s[8:9], s[8:9], s[14:15]
                                        ; implicit-def: $vgpr12
.LBB2405_189:
	s_or_b64 exec, exec, s[12:13]
	s_and_b64 s[4:5], s[4:5], exec
	s_and_b64 s[8:9], s[8:9], exec
	;; [unrolled: 1-line block ×3, first 2 shown]
                                        ; implicit-def: $vgpr17
                                        ; implicit-def: $vgpr15
                                        ; implicit-def: $vgpr16
                                        ; implicit-def: $vgpr25
                                        ; implicit-def: $vgpr22
                                        ; implicit-def: $vgpr19
	s_andn2_saveexec_b64 s[2:3], s[2:3]
	s_cbranch_execz .LBB2405_140
.LBB2405_190:
	v_cmp_lt_i64_e32 vcc, 5, v[0:1]
	s_mov_b64 s[14:15], -1
	s_mov_b64 s[12:13], s[10:11]
	s_mov_b64 s[16:17], s[8:9]
	;; [unrolled: 1-line block ×3, first 2 shown]
                                        ; implicit-def: $vgpr10
                                        ; implicit-def: $vgpr11
                                        ; implicit-def: $vgpr12
	s_and_saveexec_b64 s[0:1], vcc
	s_cbranch_execz .LBB2405_206
; %bb.191:
	v_cmp_lt_i64_e32 vcc, 8, v[0:1]
	s_mov_b64 s[12:13], s[10:11]
                                        ; implicit-def: $vgpr12
	s_and_saveexec_b64 s[14:15], vcc
	s_xor_b64 s[14:15], exec, s[14:15]
	s_cbranch_execz .LBB2405_201
; %bb.192:
	v_cmp_lt_i64_e32 vcc, 9, v[0:1]
	s_and_saveexec_b64 s[12:13], vcc
	s_xor_b64 s[12:13], exec, s[12:13]
	s_cbranch_execz .LBB2405_198
; %bb.193:
	v_cmp_lt_i64_e32 vcc, 10, v[0:1]
	s_and_saveexec_b64 s[16:17], vcc
	s_xor_b64 s[16:17], exec, s[16:17]
; %bb.194:
                                        ; implicit-def: $vgpr22
; %bb.195:
	s_andn2_saveexec_b64 s[16:17], s[16:17]
	s_cbranch_execz .LBB2405_197
; %bb.196:
	s_waitcnt lgkmcnt(0)
	v_mov_b32_e32 v19, v22
.LBB2405_197:
	s_or_b64 exec, exec, s[16:17]
                                        ; implicit-def: $vgpr25
.LBB2405_198:
	s_andn2_saveexec_b64 s[12:13], s[12:13]
	s_cbranch_execz .LBB2405_200
; %bb.199:
	s_waitcnt lgkmcnt(0)
	v_mov_b32_e32 v19, v25
.LBB2405_200:
	s_or_b64 exec, exec, s[12:13]
	s_or_b64 s[12:13], s[10:11], exec
	s_waitcnt lgkmcnt(0)
	v_mov_b32_e32 v12, v19
                                        ; implicit-def: $vgpr17
                                        ; implicit-def: $vgpr15
                                        ; implicit-def: $vgpr16
.LBB2405_201:
	s_or_saveexec_b64 s[14:15], s[14:15]
	s_mov_b64 s[16:17], s[8:9]
	s_mov_b64 s[20:21], s[4:5]
                                        ; implicit-def: $vgpr10
                                        ; implicit-def: $vgpr11
	s_xor_b64 exec, exec, s[14:15]
	s_cbranch_execz .LBB2405_205
; %bb.202:
	v_cmp_lt_i64_e32 vcc, 6, v[0:1]
	s_mov_b64 s[20:21], -1
	s_mov_b64 s[18:19], s[12:13]
	s_mov_b64 s[16:17], s[8:9]
	s_and_saveexec_b64 s[22:23], vcc
; %bb.203:
	v_cmp_lt_i64_e32 vcc, 7, v[0:1]
	s_andn2_b64 s[18:19], s[12:13], exec
	s_and_b64 s[24:25], vcc, exec
	s_xor_b64 s[20:21], exec, -1
	s_or_b64 s[16:17], s[8:9], exec
	s_or_b64 s[18:19], s[18:19], s[24:25]
                                        ; implicit-def: $vgpr17
; %bb.204:
	s_or_b64 exec, exec, s[22:23]
	s_andn2_b64 s[22:23], s[4:5], exec
	s_and_b64 s[20:21], s[20:21], exec
	s_or_b64 s[20:21], s[22:23], s[20:21]
	s_andn2_b64 s[22:23], s[8:9], exec
	s_and_b64 s[16:17], s[16:17], exec
	s_andn2_b64 s[12:13], s[12:13], exec
	s_and_b64 s[18:19], s[18:19], exec
	s_or_b64 s[16:17], s[22:23], s[16:17]
	s_or_b64 s[12:13], s[12:13], s[18:19]
	s_waitcnt lgkmcnt(0)
	v_mov_b32_e32 v10, v17
	v_mov_b32_e32 v11, v15
	;; [unrolled: 1-line block ×3, first 2 shown]
.LBB2405_205:
	s_or_b64 exec, exec, s[14:15]
	s_andn2_b64 s[18:19], s[4:5], exec
	s_and_b64 s[20:21], s[20:21], exec
	s_or_b64 s[18:19], s[18:19], s[20:21]
	s_andn2_b64 s[20:21], s[8:9], exec
	s_and_b64 s[16:17], s[16:17], exec
	s_or_b64 s[16:17], s[20:21], s[16:17]
	s_andn2_b64 s[20:21], s[10:11], exec
	s_and_b64 s[12:13], s[12:13], exec
	s_xor_b64 s[14:15], exec, -1
	s_or_b64 s[12:13], s[20:21], s[12:13]
.LBB2405_206:
	s_or_b64 exec, exec, s[0:1]
	s_and_b64 s[0:1], s[14:15], exec
	s_andn2_b64 s[4:5], s[4:5], exec
	s_and_b64 s[14:15], s[18:19], exec
	s_or_b64 s[4:5], s[4:5], s[14:15]
	s_andn2_b64 s[8:9], s[8:9], exec
	s_and_b64 s[14:15], s[16:17], exec
	s_andn2_b64 s[10:11], s[10:11], exec
	s_and_b64 s[12:13], s[12:13], exec
	s_or_b64 s[8:9], s[8:9], s[14:15]
	s_or_b64 s[10:11], s[10:11], s[12:13]
	s_or_b64 exec, exec, s[2:3]
	s_and_saveexec_b64 s[2:3], s[10:11]
	s_cbranch_execz .LBB2405_141
.LBB2405_207:
	v_mov_b32_e32 v2, 0
	s_andn2_b64 s[8:9], s[8:9], exec
	s_waitcnt lgkmcnt(0)
	global_store_short v2, v12, s[6:7]
                                        ; implicit-def: $vgpr10
                                        ; implicit-def: $vgpr11
	s_or_b64 exec, exec, s[2:3]
	s_and_saveexec_b64 s[2:3], s[8:9]
	s_cbranch_execz .LBB2405_142
.LBB2405_208:
	v_mov_b32_e32 v2, 0
	s_waitcnt lgkmcnt(0)
	global_store_short v2, v11, s[6:7]
                                        ; implicit-def: $vgpr10
	s_or_b64 exec, exec, s[2:3]
	s_and_saveexec_b64 s[2:3], s[4:5]
	s_xor_b64 s[2:3], exec, s[2:3]
	s_cbranch_execz .LBB2405_143
.LBB2405_209:
	v_mov_b32_e32 v2, 0
	s_waitcnt lgkmcnt(0)
	global_store_short v2, v10, s[6:7]
	s_or_b64 exec, exec, s[2:3]
	s_and_b64 exec, exec, s[0:1]
	s_cbranch_execz .LBB2405_144
.LBB2405_210:
	v_cmp_lt_i64_e32 vcc, 2, v[0:1]
	s_and_saveexec_b64 s[0:1], vcc
	s_xor_b64 s[0:1], exec, s[0:1]
	s_cbranch_execz .LBB2405_220
; %bb.211:
	v_cmp_lt_i64_e32 vcc, 3, v[0:1]
	s_and_saveexec_b64 s[2:3], vcc
	s_xor_b64 s[2:3], exec, s[2:3]
	s_cbranch_execz .LBB2405_217
; %bb.212:
	;; [unrolled: 5-line block ×3, first 2 shown]
	v_mov_b32_e32 v0, 0
	s_waitcnt lgkmcnt(0)
	global_store_short v0, v9, s[6:7]
                                        ; implicit-def: $vgpr6
.LBB2405_214:
	s_andn2_saveexec_b64 s[4:5], s[4:5]
	s_cbranch_execz .LBB2405_216
; %bb.215:
	v_mov_b32_e32 v0, 0
	s_waitcnt lgkmcnt(0)
	global_store_short v0, v6, s[6:7]
.LBB2405_216:
	s_or_b64 exec, exec, s[4:5]
                                        ; implicit-def: $vgpr8
.LBB2405_217:
	s_andn2_saveexec_b64 s[2:3], s[2:3]
	s_cbranch_execz .LBB2405_219
; %bb.218:
	v_mov_b32_e32 v0, 0
	s_waitcnt lgkmcnt(0)
	global_store_short v0, v8, s[6:7]
.LBB2405_219:
	s_or_b64 exec, exec, s[2:3]
                                        ; implicit-def: $vgpr0_vgpr1
                                        ; implicit-def: $vgpr7
                                        ; implicit-def: $vgpr4
                                        ; implicit-def: $vgpr5
.LBB2405_220:
	s_andn2_saveexec_b64 s[0:1], s[0:1]
	s_cbranch_execz .LBB2405_144
; %bb.221:
	v_cmp_lt_i64_e32 vcc, 1, v[0:1]
	s_and_saveexec_b64 s[0:1], vcc
	s_xor_b64 s[0:1], exec, s[0:1]
	s_cbranch_execz .LBB2405_223
; %bb.222:
	v_mov_b32_e32 v0, 0
	s_waitcnt lgkmcnt(0)
	global_store_short v0, v7, s[6:7]
                                        ; implicit-def: $vgpr4
                                        ; implicit-def: $vgpr0_vgpr1
                                        ; implicit-def: $vgpr5
.LBB2405_223:
	s_andn2_saveexec_b64 s[0:1], s[0:1]
	s_cbranch_execz .LBB2405_144
; %bb.224:
	v_cmp_ne_u64_e32 vcc, 1, v[0:1]
	s_and_saveexec_b64 s[0:1], vcc
	s_xor_b64 s[0:1], exec, s[0:1]
	s_cbranch_execz .LBB2405_226
; %bb.225:
	v_mov_b32_e32 v0, 0
	s_waitcnt lgkmcnt(0)
	global_store_short v0, v5, s[6:7]
                                        ; implicit-def: $vgpr4
.LBB2405_226:
	s_andn2_saveexec_b64 s[0:1], s[0:1]
	s_cbranch_execz .LBB2405_144
; %bb.227:
	v_mov_b32_e32 v0, 0
	s_waitcnt lgkmcnt(0)
	global_store_short v0, v4, s[6:7]
	s_endpgm
	.section	.rodata,"a",@progbits
	.p2align	6, 0x0
	.amdhsa_kernel _ZN7rocprim17ROCPRIM_400000_NS6detail17trampoline_kernelINS0_14default_configENS1_20scan_config_selectorItEEZZNS1_9scan_implILNS1_25lookback_scan_determinismE0ELb0ELb0ES3_N6thrust23THRUST_200600_302600_NS6detail15normal_iteratorINS9_10device_ptrItEEEESE_t11max_functorItEtEEDaPvRmT3_T4_T5_mT6_P12ihipStream_tbENKUlT_T0_E_clISt17integral_constantIbLb0EESU_EEDaSP_SQ_EUlSP_E_NS1_11comp_targetILNS1_3genE4ELNS1_11target_archE910ELNS1_3gpuE8ELNS1_3repE0EEENS1_30default_config_static_selectorELNS0_4arch9wavefront6targetE1EEEvT1_
		.amdhsa_group_segment_fixed_size 3072
		.amdhsa_private_segment_fixed_size 0
		.amdhsa_kernarg_size 96
		.amdhsa_user_sgpr_count 6
		.amdhsa_user_sgpr_private_segment_buffer 1
		.amdhsa_user_sgpr_dispatch_ptr 0
		.amdhsa_user_sgpr_queue_ptr 0
		.amdhsa_user_sgpr_kernarg_segment_ptr 1
		.amdhsa_user_sgpr_dispatch_id 0
		.amdhsa_user_sgpr_flat_scratch_init 0
		.amdhsa_user_sgpr_kernarg_preload_length 0
		.amdhsa_user_sgpr_kernarg_preload_offset 0
		.amdhsa_user_sgpr_private_segment_size 0
		.amdhsa_uses_dynamic_stack 0
		.amdhsa_system_sgpr_private_segment_wavefront_offset 0
		.amdhsa_system_sgpr_workgroup_id_x 1
		.amdhsa_system_sgpr_workgroup_id_y 0
		.amdhsa_system_sgpr_workgroup_id_z 0
		.amdhsa_system_sgpr_workgroup_info 0
		.amdhsa_system_vgpr_workitem_id 0
		.amdhsa_next_free_vgpr 57
		.amdhsa_next_free_sgpr 28
		.amdhsa_accum_offset 60
		.amdhsa_reserve_vcc 1
		.amdhsa_reserve_flat_scratch 0
		.amdhsa_float_round_mode_32 0
		.amdhsa_float_round_mode_16_64 0
		.amdhsa_float_denorm_mode_32 3
		.amdhsa_float_denorm_mode_16_64 3
		.amdhsa_dx10_clamp 1
		.amdhsa_ieee_mode 1
		.amdhsa_fp16_overflow 0
		.amdhsa_tg_split 0
		.amdhsa_exception_fp_ieee_invalid_op 0
		.amdhsa_exception_fp_denorm_src 0
		.amdhsa_exception_fp_ieee_div_zero 0
		.amdhsa_exception_fp_ieee_overflow 0
		.amdhsa_exception_fp_ieee_underflow 0
		.amdhsa_exception_fp_ieee_inexact 0
		.amdhsa_exception_int_div_zero 0
	.end_amdhsa_kernel
	.section	.text._ZN7rocprim17ROCPRIM_400000_NS6detail17trampoline_kernelINS0_14default_configENS1_20scan_config_selectorItEEZZNS1_9scan_implILNS1_25lookback_scan_determinismE0ELb0ELb0ES3_N6thrust23THRUST_200600_302600_NS6detail15normal_iteratorINS9_10device_ptrItEEEESE_t11max_functorItEtEEDaPvRmT3_T4_T5_mT6_P12ihipStream_tbENKUlT_T0_E_clISt17integral_constantIbLb0EESU_EEDaSP_SQ_EUlSP_E_NS1_11comp_targetILNS1_3genE4ELNS1_11target_archE910ELNS1_3gpuE8ELNS1_3repE0EEENS1_30default_config_static_selectorELNS0_4arch9wavefront6targetE1EEEvT1_,"axG",@progbits,_ZN7rocprim17ROCPRIM_400000_NS6detail17trampoline_kernelINS0_14default_configENS1_20scan_config_selectorItEEZZNS1_9scan_implILNS1_25lookback_scan_determinismE0ELb0ELb0ES3_N6thrust23THRUST_200600_302600_NS6detail15normal_iteratorINS9_10device_ptrItEEEESE_t11max_functorItEtEEDaPvRmT3_T4_T5_mT6_P12ihipStream_tbENKUlT_T0_E_clISt17integral_constantIbLb0EESU_EEDaSP_SQ_EUlSP_E_NS1_11comp_targetILNS1_3genE4ELNS1_11target_archE910ELNS1_3gpuE8ELNS1_3repE0EEENS1_30default_config_static_selectorELNS0_4arch9wavefront6targetE1EEEvT1_,comdat
.Lfunc_end2405:
	.size	_ZN7rocprim17ROCPRIM_400000_NS6detail17trampoline_kernelINS0_14default_configENS1_20scan_config_selectorItEEZZNS1_9scan_implILNS1_25lookback_scan_determinismE0ELb0ELb0ES3_N6thrust23THRUST_200600_302600_NS6detail15normal_iteratorINS9_10device_ptrItEEEESE_t11max_functorItEtEEDaPvRmT3_T4_T5_mT6_P12ihipStream_tbENKUlT_T0_E_clISt17integral_constantIbLb0EESU_EEDaSP_SQ_EUlSP_E_NS1_11comp_targetILNS1_3genE4ELNS1_11target_archE910ELNS1_3gpuE8ELNS1_3repE0EEENS1_30default_config_static_selectorELNS0_4arch9wavefront6targetE1EEEvT1_, .Lfunc_end2405-_ZN7rocprim17ROCPRIM_400000_NS6detail17trampoline_kernelINS0_14default_configENS1_20scan_config_selectorItEEZZNS1_9scan_implILNS1_25lookback_scan_determinismE0ELb0ELb0ES3_N6thrust23THRUST_200600_302600_NS6detail15normal_iteratorINS9_10device_ptrItEEEESE_t11max_functorItEtEEDaPvRmT3_T4_T5_mT6_P12ihipStream_tbENKUlT_T0_E_clISt17integral_constantIbLb0EESU_EEDaSP_SQ_EUlSP_E_NS1_11comp_targetILNS1_3genE4ELNS1_11target_archE910ELNS1_3gpuE8ELNS1_3repE0EEENS1_30default_config_static_selectorELNS0_4arch9wavefront6targetE1EEEvT1_
                                        ; -- End function
	.section	.AMDGPU.csdata,"",@progbits
; Kernel info:
; codeLenInByte = 7928
; NumSgprs: 32
; NumVgprs: 57
; NumAgprs: 0
; TotalNumVgprs: 57
; ScratchSize: 0
; MemoryBound: 0
; FloatMode: 240
; IeeeMode: 1
; LDSByteSize: 3072 bytes/workgroup (compile time only)
; SGPRBlocks: 3
; VGPRBlocks: 7
; NumSGPRsForWavesPerEU: 32
; NumVGPRsForWavesPerEU: 57
; AccumOffset: 60
; Occupancy: 6
; WaveLimiterHint : 1
; COMPUTE_PGM_RSRC2:SCRATCH_EN: 0
; COMPUTE_PGM_RSRC2:USER_SGPR: 6
; COMPUTE_PGM_RSRC2:TRAP_HANDLER: 0
; COMPUTE_PGM_RSRC2:TGID_X_EN: 1
; COMPUTE_PGM_RSRC2:TGID_Y_EN: 0
; COMPUTE_PGM_RSRC2:TGID_Z_EN: 0
; COMPUTE_PGM_RSRC2:TIDIG_COMP_CNT: 0
; COMPUTE_PGM_RSRC3_GFX90A:ACCUM_OFFSET: 14
; COMPUTE_PGM_RSRC3_GFX90A:TG_SPLIT: 0
	.section	.text._ZN7rocprim17ROCPRIM_400000_NS6detail17trampoline_kernelINS0_14default_configENS1_20scan_config_selectorItEEZZNS1_9scan_implILNS1_25lookback_scan_determinismE0ELb0ELb0ES3_N6thrust23THRUST_200600_302600_NS6detail15normal_iteratorINS9_10device_ptrItEEEESE_t11max_functorItEtEEDaPvRmT3_T4_T5_mT6_P12ihipStream_tbENKUlT_T0_E_clISt17integral_constantIbLb0EESU_EEDaSP_SQ_EUlSP_E_NS1_11comp_targetILNS1_3genE3ELNS1_11target_archE908ELNS1_3gpuE7ELNS1_3repE0EEENS1_30default_config_static_selectorELNS0_4arch9wavefront6targetE1EEEvT1_,"axG",@progbits,_ZN7rocprim17ROCPRIM_400000_NS6detail17trampoline_kernelINS0_14default_configENS1_20scan_config_selectorItEEZZNS1_9scan_implILNS1_25lookback_scan_determinismE0ELb0ELb0ES3_N6thrust23THRUST_200600_302600_NS6detail15normal_iteratorINS9_10device_ptrItEEEESE_t11max_functorItEtEEDaPvRmT3_T4_T5_mT6_P12ihipStream_tbENKUlT_T0_E_clISt17integral_constantIbLb0EESU_EEDaSP_SQ_EUlSP_E_NS1_11comp_targetILNS1_3genE3ELNS1_11target_archE908ELNS1_3gpuE7ELNS1_3repE0EEENS1_30default_config_static_selectorELNS0_4arch9wavefront6targetE1EEEvT1_,comdat
	.protected	_ZN7rocprim17ROCPRIM_400000_NS6detail17trampoline_kernelINS0_14default_configENS1_20scan_config_selectorItEEZZNS1_9scan_implILNS1_25lookback_scan_determinismE0ELb0ELb0ES3_N6thrust23THRUST_200600_302600_NS6detail15normal_iteratorINS9_10device_ptrItEEEESE_t11max_functorItEtEEDaPvRmT3_T4_T5_mT6_P12ihipStream_tbENKUlT_T0_E_clISt17integral_constantIbLb0EESU_EEDaSP_SQ_EUlSP_E_NS1_11comp_targetILNS1_3genE3ELNS1_11target_archE908ELNS1_3gpuE7ELNS1_3repE0EEENS1_30default_config_static_selectorELNS0_4arch9wavefront6targetE1EEEvT1_ ; -- Begin function _ZN7rocprim17ROCPRIM_400000_NS6detail17trampoline_kernelINS0_14default_configENS1_20scan_config_selectorItEEZZNS1_9scan_implILNS1_25lookback_scan_determinismE0ELb0ELb0ES3_N6thrust23THRUST_200600_302600_NS6detail15normal_iteratorINS9_10device_ptrItEEEESE_t11max_functorItEtEEDaPvRmT3_T4_T5_mT6_P12ihipStream_tbENKUlT_T0_E_clISt17integral_constantIbLb0EESU_EEDaSP_SQ_EUlSP_E_NS1_11comp_targetILNS1_3genE3ELNS1_11target_archE908ELNS1_3gpuE7ELNS1_3repE0EEENS1_30default_config_static_selectorELNS0_4arch9wavefront6targetE1EEEvT1_
	.globl	_ZN7rocprim17ROCPRIM_400000_NS6detail17trampoline_kernelINS0_14default_configENS1_20scan_config_selectorItEEZZNS1_9scan_implILNS1_25lookback_scan_determinismE0ELb0ELb0ES3_N6thrust23THRUST_200600_302600_NS6detail15normal_iteratorINS9_10device_ptrItEEEESE_t11max_functorItEtEEDaPvRmT3_T4_T5_mT6_P12ihipStream_tbENKUlT_T0_E_clISt17integral_constantIbLb0EESU_EEDaSP_SQ_EUlSP_E_NS1_11comp_targetILNS1_3genE3ELNS1_11target_archE908ELNS1_3gpuE7ELNS1_3repE0EEENS1_30default_config_static_selectorELNS0_4arch9wavefront6targetE1EEEvT1_
	.p2align	8
	.type	_ZN7rocprim17ROCPRIM_400000_NS6detail17trampoline_kernelINS0_14default_configENS1_20scan_config_selectorItEEZZNS1_9scan_implILNS1_25lookback_scan_determinismE0ELb0ELb0ES3_N6thrust23THRUST_200600_302600_NS6detail15normal_iteratorINS9_10device_ptrItEEEESE_t11max_functorItEtEEDaPvRmT3_T4_T5_mT6_P12ihipStream_tbENKUlT_T0_E_clISt17integral_constantIbLb0EESU_EEDaSP_SQ_EUlSP_E_NS1_11comp_targetILNS1_3genE3ELNS1_11target_archE908ELNS1_3gpuE7ELNS1_3repE0EEENS1_30default_config_static_selectorELNS0_4arch9wavefront6targetE1EEEvT1_,@function
_ZN7rocprim17ROCPRIM_400000_NS6detail17trampoline_kernelINS0_14default_configENS1_20scan_config_selectorItEEZZNS1_9scan_implILNS1_25lookback_scan_determinismE0ELb0ELb0ES3_N6thrust23THRUST_200600_302600_NS6detail15normal_iteratorINS9_10device_ptrItEEEESE_t11max_functorItEtEEDaPvRmT3_T4_T5_mT6_P12ihipStream_tbENKUlT_T0_E_clISt17integral_constantIbLb0EESU_EEDaSP_SQ_EUlSP_E_NS1_11comp_targetILNS1_3genE3ELNS1_11target_archE908ELNS1_3gpuE7ELNS1_3repE0EEENS1_30default_config_static_selectorELNS0_4arch9wavefront6targetE1EEEvT1_: ; @_ZN7rocprim17ROCPRIM_400000_NS6detail17trampoline_kernelINS0_14default_configENS1_20scan_config_selectorItEEZZNS1_9scan_implILNS1_25lookback_scan_determinismE0ELb0ELb0ES3_N6thrust23THRUST_200600_302600_NS6detail15normal_iteratorINS9_10device_ptrItEEEESE_t11max_functorItEtEEDaPvRmT3_T4_T5_mT6_P12ihipStream_tbENKUlT_T0_E_clISt17integral_constantIbLb0EESU_EEDaSP_SQ_EUlSP_E_NS1_11comp_targetILNS1_3genE3ELNS1_11target_archE908ELNS1_3gpuE7ELNS1_3repE0EEENS1_30default_config_static_selectorELNS0_4arch9wavefront6targetE1EEEvT1_
; %bb.0:
	.section	.rodata,"a",@progbits
	.p2align	6, 0x0
	.amdhsa_kernel _ZN7rocprim17ROCPRIM_400000_NS6detail17trampoline_kernelINS0_14default_configENS1_20scan_config_selectorItEEZZNS1_9scan_implILNS1_25lookback_scan_determinismE0ELb0ELb0ES3_N6thrust23THRUST_200600_302600_NS6detail15normal_iteratorINS9_10device_ptrItEEEESE_t11max_functorItEtEEDaPvRmT3_T4_T5_mT6_P12ihipStream_tbENKUlT_T0_E_clISt17integral_constantIbLb0EESU_EEDaSP_SQ_EUlSP_E_NS1_11comp_targetILNS1_3genE3ELNS1_11target_archE908ELNS1_3gpuE7ELNS1_3repE0EEENS1_30default_config_static_selectorELNS0_4arch9wavefront6targetE1EEEvT1_
		.amdhsa_group_segment_fixed_size 0
		.amdhsa_private_segment_fixed_size 0
		.amdhsa_kernarg_size 96
		.amdhsa_user_sgpr_count 6
		.amdhsa_user_sgpr_private_segment_buffer 1
		.amdhsa_user_sgpr_dispatch_ptr 0
		.amdhsa_user_sgpr_queue_ptr 0
		.amdhsa_user_sgpr_kernarg_segment_ptr 1
		.amdhsa_user_sgpr_dispatch_id 0
		.amdhsa_user_sgpr_flat_scratch_init 0
		.amdhsa_user_sgpr_kernarg_preload_length 0
		.amdhsa_user_sgpr_kernarg_preload_offset 0
		.amdhsa_user_sgpr_private_segment_size 0
		.amdhsa_uses_dynamic_stack 0
		.amdhsa_system_sgpr_private_segment_wavefront_offset 0
		.amdhsa_system_sgpr_workgroup_id_x 1
		.amdhsa_system_sgpr_workgroup_id_y 0
		.amdhsa_system_sgpr_workgroup_id_z 0
		.amdhsa_system_sgpr_workgroup_info 0
		.amdhsa_system_vgpr_workitem_id 0
		.amdhsa_next_free_vgpr 1
		.amdhsa_next_free_sgpr 0
		.amdhsa_accum_offset 4
		.amdhsa_reserve_vcc 0
		.amdhsa_reserve_flat_scratch 0
		.amdhsa_float_round_mode_32 0
		.amdhsa_float_round_mode_16_64 0
		.amdhsa_float_denorm_mode_32 3
		.amdhsa_float_denorm_mode_16_64 3
		.amdhsa_dx10_clamp 1
		.amdhsa_ieee_mode 1
		.amdhsa_fp16_overflow 0
		.amdhsa_tg_split 0
		.amdhsa_exception_fp_ieee_invalid_op 0
		.amdhsa_exception_fp_denorm_src 0
		.amdhsa_exception_fp_ieee_div_zero 0
		.amdhsa_exception_fp_ieee_overflow 0
		.amdhsa_exception_fp_ieee_underflow 0
		.amdhsa_exception_fp_ieee_inexact 0
		.amdhsa_exception_int_div_zero 0
	.end_amdhsa_kernel
	.section	.text._ZN7rocprim17ROCPRIM_400000_NS6detail17trampoline_kernelINS0_14default_configENS1_20scan_config_selectorItEEZZNS1_9scan_implILNS1_25lookback_scan_determinismE0ELb0ELb0ES3_N6thrust23THRUST_200600_302600_NS6detail15normal_iteratorINS9_10device_ptrItEEEESE_t11max_functorItEtEEDaPvRmT3_T4_T5_mT6_P12ihipStream_tbENKUlT_T0_E_clISt17integral_constantIbLb0EESU_EEDaSP_SQ_EUlSP_E_NS1_11comp_targetILNS1_3genE3ELNS1_11target_archE908ELNS1_3gpuE7ELNS1_3repE0EEENS1_30default_config_static_selectorELNS0_4arch9wavefront6targetE1EEEvT1_,"axG",@progbits,_ZN7rocprim17ROCPRIM_400000_NS6detail17trampoline_kernelINS0_14default_configENS1_20scan_config_selectorItEEZZNS1_9scan_implILNS1_25lookback_scan_determinismE0ELb0ELb0ES3_N6thrust23THRUST_200600_302600_NS6detail15normal_iteratorINS9_10device_ptrItEEEESE_t11max_functorItEtEEDaPvRmT3_T4_T5_mT6_P12ihipStream_tbENKUlT_T0_E_clISt17integral_constantIbLb0EESU_EEDaSP_SQ_EUlSP_E_NS1_11comp_targetILNS1_3genE3ELNS1_11target_archE908ELNS1_3gpuE7ELNS1_3repE0EEENS1_30default_config_static_selectorELNS0_4arch9wavefront6targetE1EEEvT1_,comdat
.Lfunc_end2406:
	.size	_ZN7rocprim17ROCPRIM_400000_NS6detail17trampoline_kernelINS0_14default_configENS1_20scan_config_selectorItEEZZNS1_9scan_implILNS1_25lookback_scan_determinismE0ELb0ELb0ES3_N6thrust23THRUST_200600_302600_NS6detail15normal_iteratorINS9_10device_ptrItEEEESE_t11max_functorItEtEEDaPvRmT3_T4_T5_mT6_P12ihipStream_tbENKUlT_T0_E_clISt17integral_constantIbLb0EESU_EEDaSP_SQ_EUlSP_E_NS1_11comp_targetILNS1_3genE3ELNS1_11target_archE908ELNS1_3gpuE7ELNS1_3repE0EEENS1_30default_config_static_selectorELNS0_4arch9wavefront6targetE1EEEvT1_, .Lfunc_end2406-_ZN7rocprim17ROCPRIM_400000_NS6detail17trampoline_kernelINS0_14default_configENS1_20scan_config_selectorItEEZZNS1_9scan_implILNS1_25lookback_scan_determinismE0ELb0ELb0ES3_N6thrust23THRUST_200600_302600_NS6detail15normal_iteratorINS9_10device_ptrItEEEESE_t11max_functorItEtEEDaPvRmT3_T4_T5_mT6_P12ihipStream_tbENKUlT_T0_E_clISt17integral_constantIbLb0EESU_EEDaSP_SQ_EUlSP_E_NS1_11comp_targetILNS1_3genE3ELNS1_11target_archE908ELNS1_3gpuE7ELNS1_3repE0EEENS1_30default_config_static_selectorELNS0_4arch9wavefront6targetE1EEEvT1_
                                        ; -- End function
	.section	.AMDGPU.csdata,"",@progbits
; Kernel info:
; codeLenInByte = 0
; NumSgprs: 4
; NumVgprs: 0
; NumAgprs: 0
; TotalNumVgprs: 0
; ScratchSize: 0
; MemoryBound: 0
; FloatMode: 240
; IeeeMode: 1
; LDSByteSize: 0 bytes/workgroup (compile time only)
; SGPRBlocks: 0
; VGPRBlocks: 0
; NumSGPRsForWavesPerEU: 4
; NumVGPRsForWavesPerEU: 1
; AccumOffset: 4
; Occupancy: 8
; WaveLimiterHint : 0
; COMPUTE_PGM_RSRC2:SCRATCH_EN: 0
; COMPUTE_PGM_RSRC2:USER_SGPR: 6
; COMPUTE_PGM_RSRC2:TRAP_HANDLER: 0
; COMPUTE_PGM_RSRC2:TGID_X_EN: 1
; COMPUTE_PGM_RSRC2:TGID_Y_EN: 0
; COMPUTE_PGM_RSRC2:TGID_Z_EN: 0
; COMPUTE_PGM_RSRC2:TIDIG_COMP_CNT: 0
; COMPUTE_PGM_RSRC3_GFX90A:ACCUM_OFFSET: 0
; COMPUTE_PGM_RSRC3_GFX90A:TG_SPLIT: 0
	.section	.text._ZN7rocprim17ROCPRIM_400000_NS6detail17trampoline_kernelINS0_14default_configENS1_20scan_config_selectorItEEZZNS1_9scan_implILNS1_25lookback_scan_determinismE0ELb0ELb0ES3_N6thrust23THRUST_200600_302600_NS6detail15normal_iteratorINS9_10device_ptrItEEEESE_t11max_functorItEtEEDaPvRmT3_T4_T5_mT6_P12ihipStream_tbENKUlT_T0_E_clISt17integral_constantIbLb0EESU_EEDaSP_SQ_EUlSP_E_NS1_11comp_targetILNS1_3genE2ELNS1_11target_archE906ELNS1_3gpuE6ELNS1_3repE0EEENS1_30default_config_static_selectorELNS0_4arch9wavefront6targetE1EEEvT1_,"axG",@progbits,_ZN7rocprim17ROCPRIM_400000_NS6detail17trampoline_kernelINS0_14default_configENS1_20scan_config_selectorItEEZZNS1_9scan_implILNS1_25lookback_scan_determinismE0ELb0ELb0ES3_N6thrust23THRUST_200600_302600_NS6detail15normal_iteratorINS9_10device_ptrItEEEESE_t11max_functorItEtEEDaPvRmT3_T4_T5_mT6_P12ihipStream_tbENKUlT_T0_E_clISt17integral_constantIbLb0EESU_EEDaSP_SQ_EUlSP_E_NS1_11comp_targetILNS1_3genE2ELNS1_11target_archE906ELNS1_3gpuE6ELNS1_3repE0EEENS1_30default_config_static_selectorELNS0_4arch9wavefront6targetE1EEEvT1_,comdat
	.protected	_ZN7rocprim17ROCPRIM_400000_NS6detail17trampoline_kernelINS0_14default_configENS1_20scan_config_selectorItEEZZNS1_9scan_implILNS1_25lookback_scan_determinismE0ELb0ELb0ES3_N6thrust23THRUST_200600_302600_NS6detail15normal_iteratorINS9_10device_ptrItEEEESE_t11max_functorItEtEEDaPvRmT3_T4_T5_mT6_P12ihipStream_tbENKUlT_T0_E_clISt17integral_constantIbLb0EESU_EEDaSP_SQ_EUlSP_E_NS1_11comp_targetILNS1_3genE2ELNS1_11target_archE906ELNS1_3gpuE6ELNS1_3repE0EEENS1_30default_config_static_selectorELNS0_4arch9wavefront6targetE1EEEvT1_ ; -- Begin function _ZN7rocprim17ROCPRIM_400000_NS6detail17trampoline_kernelINS0_14default_configENS1_20scan_config_selectorItEEZZNS1_9scan_implILNS1_25lookback_scan_determinismE0ELb0ELb0ES3_N6thrust23THRUST_200600_302600_NS6detail15normal_iteratorINS9_10device_ptrItEEEESE_t11max_functorItEtEEDaPvRmT3_T4_T5_mT6_P12ihipStream_tbENKUlT_T0_E_clISt17integral_constantIbLb0EESU_EEDaSP_SQ_EUlSP_E_NS1_11comp_targetILNS1_3genE2ELNS1_11target_archE906ELNS1_3gpuE6ELNS1_3repE0EEENS1_30default_config_static_selectorELNS0_4arch9wavefront6targetE1EEEvT1_
	.globl	_ZN7rocprim17ROCPRIM_400000_NS6detail17trampoline_kernelINS0_14default_configENS1_20scan_config_selectorItEEZZNS1_9scan_implILNS1_25lookback_scan_determinismE0ELb0ELb0ES3_N6thrust23THRUST_200600_302600_NS6detail15normal_iteratorINS9_10device_ptrItEEEESE_t11max_functorItEtEEDaPvRmT3_T4_T5_mT6_P12ihipStream_tbENKUlT_T0_E_clISt17integral_constantIbLb0EESU_EEDaSP_SQ_EUlSP_E_NS1_11comp_targetILNS1_3genE2ELNS1_11target_archE906ELNS1_3gpuE6ELNS1_3repE0EEENS1_30default_config_static_selectorELNS0_4arch9wavefront6targetE1EEEvT1_
	.p2align	8
	.type	_ZN7rocprim17ROCPRIM_400000_NS6detail17trampoline_kernelINS0_14default_configENS1_20scan_config_selectorItEEZZNS1_9scan_implILNS1_25lookback_scan_determinismE0ELb0ELb0ES3_N6thrust23THRUST_200600_302600_NS6detail15normal_iteratorINS9_10device_ptrItEEEESE_t11max_functorItEtEEDaPvRmT3_T4_T5_mT6_P12ihipStream_tbENKUlT_T0_E_clISt17integral_constantIbLb0EESU_EEDaSP_SQ_EUlSP_E_NS1_11comp_targetILNS1_3genE2ELNS1_11target_archE906ELNS1_3gpuE6ELNS1_3repE0EEENS1_30default_config_static_selectorELNS0_4arch9wavefront6targetE1EEEvT1_,@function
_ZN7rocprim17ROCPRIM_400000_NS6detail17trampoline_kernelINS0_14default_configENS1_20scan_config_selectorItEEZZNS1_9scan_implILNS1_25lookback_scan_determinismE0ELb0ELb0ES3_N6thrust23THRUST_200600_302600_NS6detail15normal_iteratorINS9_10device_ptrItEEEESE_t11max_functorItEtEEDaPvRmT3_T4_T5_mT6_P12ihipStream_tbENKUlT_T0_E_clISt17integral_constantIbLb0EESU_EEDaSP_SQ_EUlSP_E_NS1_11comp_targetILNS1_3genE2ELNS1_11target_archE906ELNS1_3gpuE6ELNS1_3repE0EEENS1_30default_config_static_selectorELNS0_4arch9wavefront6targetE1EEEvT1_: ; @_ZN7rocprim17ROCPRIM_400000_NS6detail17trampoline_kernelINS0_14default_configENS1_20scan_config_selectorItEEZZNS1_9scan_implILNS1_25lookback_scan_determinismE0ELb0ELb0ES3_N6thrust23THRUST_200600_302600_NS6detail15normal_iteratorINS9_10device_ptrItEEEESE_t11max_functorItEtEEDaPvRmT3_T4_T5_mT6_P12ihipStream_tbENKUlT_T0_E_clISt17integral_constantIbLb0EESU_EEDaSP_SQ_EUlSP_E_NS1_11comp_targetILNS1_3genE2ELNS1_11target_archE906ELNS1_3gpuE6ELNS1_3repE0EEENS1_30default_config_static_selectorELNS0_4arch9wavefront6targetE1EEEvT1_
; %bb.0:
	.section	.rodata,"a",@progbits
	.p2align	6, 0x0
	.amdhsa_kernel _ZN7rocprim17ROCPRIM_400000_NS6detail17trampoline_kernelINS0_14default_configENS1_20scan_config_selectorItEEZZNS1_9scan_implILNS1_25lookback_scan_determinismE0ELb0ELb0ES3_N6thrust23THRUST_200600_302600_NS6detail15normal_iteratorINS9_10device_ptrItEEEESE_t11max_functorItEtEEDaPvRmT3_T4_T5_mT6_P12ihipStream_tbENKUlT_T0_E_clISt17integral_constantIbLb0EESU_EEDaSP_SQ_EUlSP_E_NS1_11comp_targetILNS1_3genE2ELNS1_11target_archE906ELNS1_3gpuE6ELNS1_3repE0EEENS1_30default_config_static_selectorELNS0_4arch9wavefront6targetE1EEEvT1_
		.amdhsa_group_segment_fixed_size 0
		.amdhsa_private_segment_fixed_size 0
		.amdhsa_kernarg_size 96
		.amdhsa_user_sgpr_count 6
		.amdhsa_user_sgpr_private_segment_buffer 1
		.amdhsa_user_sgpr_dispatch_ptr 0
		.amdhsa_user_sgpr_queue_ptr 0
		.amdhsa_user_sgpr_kernarg_segment_ptr 1
		.amdhsa_user_sgpr_dispatch_id 0
		.amdhsa_user_sgpr_flat_scratch_init 0
		.amdhsa_user_sgpr_kernarg_preload_length 0
		.amdhsa_user_sgpr_kernarg_preload_offset 0
		.amdhsa_user_sgpr_private_segment_size 0
		.amdhsa_uses_dynamic_stack 0
		.amdhsa_system_sgpr_private_segment_wavefront_offset 0
		.amdhsa_system_sgpr_workgroup_id_x 1
		.amdhsa_system_sgpr_workgroup_id_y 0
		.amdhsa_system_sgpr_workgroup_id_z 0
		.amdhsa_system_sgpr_workgroup_info 0
		.amdhsa_system_vgpr_workitem_id 0
		.amdhsa_next_free_vgpr 1
		.amdhsa_next_free_sgpr 0
		.amdhsa_accum_offset 4
		.amdhsa_reserve_vcc 0
		.amdhsa_reserve_flat_scratch 0
		.amdhsa_float_round_mode_32 0
		.amdhsa_float_round_mode_16_64 0
		.amdhsa_float_denorm_mode_32 3
		.amdhsa_float_denorm_mode_16_64 3
		.amdhsa_dx10_clamp 1
		.amdhsa_ieee_mode 1
		.amdhsa_fp16_overflow 0
		.amdhsa_tg_split 0
		.amdhsa_exception_fp_ieee_invalid_op 0
		.amdhsa_exception_fp_denorm_src 0
		.amdhsa_exception_fp_ieee_div_zero 0
		.amdhsa_exception_fp_ieee_overflow 0
		.amdhsa_exception_fp_ieee_underflow 0
		.amdhsa_exception_fp_ieee_inexact 0
		.amdhsa_exception_int_div_zero 0
	.end_amdhsa_kernel
	.section	.text._ZN7rocprim17ROCPRIM_400000_NS6detail17trampoline_kernelINS0_14default_configENS1_20scan_config_selectorItEEZZNS1_9scan_implILNS1_25lookback_scan_determinismE0ELb0ELb0ES3_N6thrust23THRUST_200600_302600_NS6detail15normal_iteratorINS9_10device_ptrItEEEESE_t11max_functorItEtEEDaPvRmT3_T4_T5_mT6_P12ihipStream_tbENKUlT_T0_E_clISt17integral_constantIbLb0EESU_EEDaSP_SQ_EUlSP_E_NS1_11comp_targetILNS1_3genE2ELNS1_11target_archE906ELNS1_3gpuE6ELNS1_3repE0EEENS1_30default_config_static_selectorELNS0_4arch9wavefront6targetE1EEEvT1_,"axG",@progbits,_ZN7rocprim17ROCPRIM_400000_NS6detail17trampoline_kernelINS0_14default_configENS1_20scan_config_selectorItEEZZNS1_9scan_implILNS1_25lookback_scan_determinismE0ELb0ELb0ES3_N6thrust23THRUST_200600_302600_NS6detail15normal_iteratorINS9_10device_ptrItEEEESE_t11max_functorItEtEEDaPvRmT3_T4_T5_mT6_P12ihipStream_tbENKUlT_T0_E_clISt17integral_constantIbLb0EESU_EEDaSP_SQ_EUlSP_E_NS1_11comp_targetILNS1_3genE2ELNS1_11target_archE906ELNS1_3gpuE6ELNS1_3repE0EEENS1_30default_config_static_selectorELNS0_4arch9wavefront6targetE1EEEvT1_,comdat
.Lfunc_end2407:
	.size	_ZN7rocprim17ROCPRIM_400000_NS6detail17trampoline_kernelINS0_14default_configENS1_20scan_config_selectorItEEZZNS1_9scan_implILNS1_25lookback_scan_determinismE0ELb0ELb0ES3_N6thrust23THRUST_200600_302600_NS6detail15normal_iteratorINS9_10device_ptrItEEEESE_t11max_functorItEtEEDaPvRmT3_T4_T5_mT6_P12ihipStream_tbENKUlT_T0_E_clISt17integral_constantIbLb0EESU_EEDaSP_SQ_EUlSP_E_NS1_11comp_targetILNS1_3genE2ELNS1_11target_archE906ELNS1_3gpuE6ELNS1_3repE0EEENS1_30default_config_static_selectorELNS0_4arch9wavefront6targetE1EEEvT1_, .Lfunc_end2407-_ZN7rocprim17ROCPRIM_400000_NS6detail17trampoline_kernelINS0_14default_configENS1_20scan_config_selectorItEEZZNS1_9scan_implILNS1_25lookback_scan_determinismE0ELb0ELb0ES3_N6thrust23THRUST_200600_302600_NS6detail15normal_iteratorINS9_10device_ptrItEEEESE_t11max_functorItEtEEDaPvRmT3_T4_T5_mT6_P12ihipStream_tbENKUlT_T0_E_clISt17integral_constantIbLb0EESU_EEDaSP_SQ_EUlSP_E_NS1_11comp_targetILNS1_3genE2ELNS1_11target_archE906ELNS1_3gpuE6ELNS1_3repE0EEENS1_30default_config_static_selectorELNS0_4arch9wavefront6targetE1EEEvT1_
                                        ; -- End function
	.section	.AMDGPU.csdata,"",@progbits
; Kernel info:
; codeLenInByte = 0
; NumSgprs: 4
; NumVgprs: 0
; NumAgprs: 0
; TotalNumVgprs: 0
; ScratchSize: 0
; MemoryBound: 0
; FloatMode: 240
; IeeeMode: 1
; LDSByteSize: 0 bytes/workgroup (compile time only)
; SGPRBlocks: 0
; VGPRBlocks: 0
; NumSGPRsForWavesPerEU: 4
; NumVGPRsForWavesPerEU: 1
; AccumOffset: 4
; Occupancy: 8
; WaveLimiterHint : 0
; COMPUTE_PGM_RSRC2:SCRATCH_EN: 0
; COMPUTE_PGM_RSRC2:USER_SGPR: 6
; COMPUTE_PGM_RSRC2:TRAP_HANDLER: 0
; COMPUTE_PGM_RSRC2:TGID_X_EN: 1
; COMPUTE_PGM_RSRC2:TGID_Y_EN: 0
; COMPUTE_PGM_RSRC2:TGID_Z_EN: 0
; COMPUTE_PGM_RSRC2:TIDIG_COMP_CNT: 0
; COMPUTE_PGM_RSRC3_GFX90A:ACCUM_OFFSET: 0
; COMPUTE_PGM_RSRC3_GFX90A:TG_SPLIT: 0
	.section	.text._ZN7rocprim17ROCPRIM_400000_NS6detail17trampoline_kernelINS0_14default_configENS1_20scan_config_selectorItEEZZNS1_9scan_implILNS1_25lookback_scan_determinismE0ELb0ELb0ES3_N6thrust23THRUST_200600_302600_NS6detail15normal_iteratorINS9_10device_ptrItEEEESE_t11max_functorItEtEEDaPvRmT3_T4_T5_mT6_P12ihipStream_tbENKUlT_T0_E_clISt17integral_constantIbLb0EESU_EEDaSP_SQ_EUlSP_E_NS1_11comp_targetILNS1_3genE10ELNS1_11target_archE1201ELNS1_3gpuE5ELNS1_3repE0EEENS1_30default_config_static_selectorELNS0_4arch9wavefront6targetE1EEEvT1_,"axG",@progbits,_ZN7rocprim17ROCPRIM_400000_NS6detail17trampoline_kernelINS0_14default_configENS1_20scan_config_selectorItEEZZNS1_9scan_implILNS1_25lookback_scan_determinismE0ELb0ELb0ES3_N6thrust23THRUST_200600_302600_NS6detail15normal_iteratorINS9_10device_ptrItEEEESE_t11max_functorItEtEEDaPvRmT3_T4_T5_mT6_P12ihipStream_tbENKUlT_T0_E_clISt17integral_constantIbLb0EESU_EEDaSP_SQ_EUlSP_E_NS1_11comp_targetILNS1_3genE10ELNS1_11target_archE1201ELNS1_3gpuE5ELNS1_3repE0EEENS1_30default_config_static_selectorELNS0_4arch9wavefront6targetE1EEEvT1_,comdat
	.protected	_ZN7rocprim17ROCPRIM_400000_NS6detail17trampoline_kernelINS0_14default_configENS1_20scan_config_selectorItEEZZNS1_9scan_implILNS1_25lookback_scan_determinismE0ELb0ELb0ES3_N6thrust23THRUST_200600_302600_NS6detail15normal_iteratorINS9_10device_ptrItEEEESE_t11max_functorItEtEEDaPvRmT3_T4_T5_mT6_P12ihipStream_tbENKUlT_T0_E_clISt17integral_constantIbLb0EESU_EEDaSP_SQ_EUlSP_E_NS1_11comp_targetILNS1_3genE10ELNS1_11target_archE1201ELNS1_3gpuE5ELNS1_3repE0EEENS1_30default_config_static_selectorELNS0_4arch9wavefront6targetE1EEEvT1_ ; -- Begin function _ZN7rocprim17ROCPRIM_400000_NS6detail17trampoline_kernelINS0_14default_configENS1_20scan_config_selectorItEEZZNS1_9scan_implILNS1_25lookback_scan_determinismE0ELb0ELb0ES3_N6thrust23THRUST_200600_302600_NS6detail15normal_iteratorINS9_10device_ptrItEEEESE_t11max_functorItEtEEDaPvRmT3_T4_T5_mT6_P12ihipStream_tbENKUlT_T0_E_clISt17integral_constantIbLb0EESU_EEDaSP_SQ_EUlSP_E_NS1_11comp_targetILNS1_3genE10ELNS1_11target_archE1201ELNS1_3gpuE5ELNS1_3repE0EEENS1_30default_config_static_selectorELNS0_4arch9wavefront6targetE1EEEvT1_
	.globl	_ZN7rocprim17ROCPRIM_400000_NS6detail17trampoline_kernelINS0_14default_configENS1_20scan_config_selectorItEEZZNS1_9scan_implILNS1_25lookback_scan_determinismE0ELb0ELb0ES3_N6thrust23THRUST_200600_302600_NS6detail15normal_iteratorINS9_10device_ptrItEEEESE_t11max_functorItEtEEDaPvRmT3_T4_T5_mT6_P12ihipStream_tbENKUlT_T0_E_clISt17integral_constantIbLb0EESU_EEDaSP_SQ_EUlSP_E_NS1_11comp_targetILNS1_3genE10ELNS1_11target_archE1201ELNS1_3gpuE5ELNS1_3repE0EEENS1_30default_config_static_selectorELNS0_4arch9wavefront6targetE1EEEvT1_
	.p2align	8
	.type	_ZN7rocprim17ROCPRIM_400000_NS6detail17trampoline_kernelINS0_14default_configENS1_20scan_config_selectorItEEZZNS1_9scan_implILNS1_25lookback_scan_determinismE0ELb0ELb0ES3_N6thrust23THRUST_200600_302600_NS6detail15normal_iteratorINS9_10device_ptrItEEEESE_t11max_functorItEtEEDaPvRmT3_T4_T5_mT6_P12ihipStream_tbENKUlT_T0_E_clISt17integral_constantIbLb0EESU_EEDaSP_SQ_EUlSP_E_NS1_11comp_targetILNS1_3genE10ELNS1_11target_archE1201ELNS1_3gpuE5ELNS1_3repE0EEENS1_30default_config_static_selectorELNS0_4arch9wavefront6targetE1EEEvT1_,@function
_ZN7rocprim17ROCPRIM_400000_NS6detail17trampoline_kernelINS0_14default_configENS1_20scan_config_selectorItEEZZNS1_9scan_implILNS1_25lookback_scan_determinismE0ELb0ELb0ES3_N6thrust23THRUST_200600_302600_NS6detail15normal_iteratorINS9_10device_ptrItEEEESE_t11max_functorItEtEEDaPvRmT3_T4_T5_mT6_P12ihipStream_tbENKUlT_T0_E_clISt17integral_constantIbLb0EESU_EEDaSP_SQ_EUlSP_E_NS1_11comp_targetILNS1_3genE10ELNS1_11target_archE1201ELNS1_3gpuE5ELNS1_3repE0EEENS1_30default_config_static_selectorELNS0_4arch9wavefront6targetE1EEEvT1_: ; @_ZN7rocprim17ROCPRIM_400000_NS6detail17trampoline_kernelINS0_14default_configENS1_20scan_config_selectorItEEZZNS1_9scan_implILNS1_25lookback_scan_determinismE0ELb0ELb0ES3_N6thrust23THRUST_200600_302600_NS6detail15normal_iteratorINS9_10device_ptrItEEEESE_t11max_functorItEtEEDaPvRmT3_T4_T5_mT6_P12ihipStream_tbENKUlT_T0_E_clISt17integral_constantIbLb0EESU_EEDaSP_SQ_EUlSP_E_NS1_11comp_targetILNS1_3genE10ELNS1_11target_archE1201ELNS1_3gpuE5ELNS1_3repE0EEENS1_30default_config_static_selectorELNS0_4arch9wavefront6targetE1EEEvT1_
; %bb.0:
	.section	.rodata,"a",@progbits
	.p2align	6, 0x0
	.amdhsa_kernel _ZN7rocprim17ROCPRIM_400000_NS6detail17trampoline_kernelINS0_14default_configENS1_20scan_config_selectorItEEZZNS1_9scan_implILNS1_25lookback_scan_determinismE0ELb0ELb0ES3_N6thrust23THRUST_200600_302600_NS6detail15normal_iteratorINS9_10device_ptrItEEEESE_t11max_functorItEtEEDaPvRmT3_T4_T5_mT6_P12ihipStream_tbENKUlT_T0_E_clISt17integral_constantIbLb0EESU_EEDaSP_SQ_EUlSP_E_NS1_11comp_targetILNS1_3genE10ELNS1_11target_archE1201ELNS1_3gpuE5ELNS1_3repE0EEENS1_30default_config_static_selectorELNS0_4arch9wavefront6targetE1EEEvT1_
		.amdhsa_group_segment_fixed_size 0
		.amdhsa_private_segment_fixed_size 0
		.amdhsa_kernarg_size 96
		.amdhsa_user_sgpr_count 6
		.amdhsa_user_sgpr_private_segment_buffer 1
		.amdhsa_user_sgpr_dispatch_ptr 0
		.amdhsa_user_sgpr_queue_ptr 0
		.amdhsa_user_sgpr_kernarg_segment_ptr 1
		.amdhsa_user_sgpr_dispatch_id 0
		.amdhsa_user_sgpr_flat_scratch_init 0
		.amdhsa_user_sgpr_kernarg_preload_length 0
		.amdhsa_user_sgpr_kernarg_preload_offset 0
		.amdhsa_user_sgpr_private_segment_size 0
		.amdhsa_uses_dynamic_stack 0
		.amdhsa_system_sgpr_private_segment_wavefront_offset 0
		.amdhsa_system_sgpr_workgroup_id_x 1
		.amdhsa_system_sgpr_workgroup_id_y 0
		.amdhsa_system_sgpr_workgroup_id_z 0
		.amdhsa_system_sgpr_workgroup_info 0
		.amdhsa_system_vgpr_workitem_id 0
		.amdhsa_next_free_vgpr 1
		.amdhsa_next_free_sgpr 0
		.amdhsa_accum_offset 4
		.amdhsa_reserve_vcc 0
		.amdhsa_reserve_flat_scratch 0
		.amdhsa_float_round_mode_32 0
		.amdhsa_float_round_mode_16_64 0
		.amdhsa_float_denorm_mode_32 3
		.amdhsa_float_denorm_mode_16_64 3
		.amdhsa_dx10_clamp 1
		.amdhsa_ieee_mode 1
		.amdhsa_fp16_overflow 0
		.amdhsa_tg_split 0
		.amdhsa_exception_fp_ieee_invalid_op 0
		.amdhsa_exception_fp_denorm_src 0
		.amdhsa_exception_fp_ieee_div_zero 0
		.amdhsa_exception_fp_ieee_overflow 0
		.amdhsa_exception_fp_ieee_underflow 0
		.amdhsa_exception_fp_ieee_inexact 0
		.amdhsa_exception_int_div_zero 0
	.end_amdhsa_kernel
	.section	.text._ZN7rocprim17ROCPRIM_400000_NS6detail17trampoline_kernelINS0_14default_configENS1_20scan_config_selectorItEEZZNS1_9scan_implILNS1_25lookback_scan_determinismE0ELb0ELb0ES3_N6thrust23THRUST_200600_302600_NS6detail15normal_iteratorINS9_10device_ptrItEEEESE_t11max_functorItEtEEDaPvRmT3_T4_T5_mT6_P12ihipStream_tbENKUlT_T0_E_clISt17integral_constantIbLb0EESU_EEDaSP_SQ_EUlSP_E_NS1_11comp_targetILNS1_3genE10ELNS1_11target_archE1201ELNS1_3gpuE5ELNS1_3repE0EEENS1_30default_config_static_selectorELNS0_4arch9wavefront6targetE1EEEvT1_,"axG",@progbits,_ZN7rocprim17ROCPRIM_400000_NS6detail17trampoline_kernelINS0_14default_configENS1_20scan_config_selectorItEEZZNS1_9scan_implILNS1_25lookback_scan_determinismE0ELb0ELb0ES3_N6thrust23THRUST_200600_302600_NS6detail15normal_iteratorINS9_10device_ptrItEEEESE_t11max_functorItEtEEDaPvRmT3_T4_T5_mT6_P12ihipStream_tbENKUlT_T0_E_clISt17integral_constantIbLb0EESU_EEDaSP_SQ_EUlSP_E_NS1_11comp_targetILNS1_3genE10ELNS1_11target_archE1201ELNS1_3gpuE5ELNS1_3repE0EEENS1_30default_config_static_selectorELNS0_4arch9wavefront6targetE1EEEvT1_,comdat
.Lfunc_end2408:
	.size	_ZN7rocprim17ROCPRIM_400000_NS6detail17trampoline_kernelINS0_14default_configENS1_20scan_config_selectorItEEZZNS1_9scan_implILNS1_25lookback_scan_determinismE0ELb0ELb0ES3_N6thrust23THRUST_200600_302600_NS6detail15normal_iteratorINS9_10device_ptrItEEEESE_t11max_functorItEtEEDaPvRmT3_T4_T5_mT6_P12ihipStream_tbENKUlT_T0_E_clISt17integral_constantIbLb0EESU_EEDaSP_SQ_EUlSP_E_NS1_11comp_targetILNS1_3genE10ELNS1_11target_archE1201ELNS1_3gpuE5ELNS1_3repE0EEENS1_30default_config_static_selectorELNS0_4arch9wavefront6targetE1EEEvT1_, .Lfunc_end2408-_ZN7rocprim17ROCPRIM_400000_NS6detail17trampoline_kernelINS0_14default_configENS1_20scan_config_selectorItEEZZNS1_9scan_implILNS1_25lookback_scan_determinismE0ELb0ELb0ES3_N6thrust23THRUST_200600_302600_NS6detail15normal_iteratorINS9_10device_ptrItEEEESE_t11max_functorItEtEEDaPvRmT3_T4_T5_mT6_P12ihipStream_tbENKUlT_T0_E_clISt17integral_constantIbLb0EESU_EEDaSP_SQ_EUlSP_E_NS1_11comp_targetILNS1_3genE10ELNS1_11target_archE1201ELNS1_3gpuE5ELNS1_3repE0EEENS1_30default_config_static_selectorELNS0_4arch9wavefront6targetE1EEEvT1_
                                        ; -- End function
	.section	.AMDGPU.csdata,"",@progbits
; Kernel info:
; codeLenInByte = 0
; NumSgprs: 4
; NumVgprs: 0
; NumAgprs: 0
; TotalNumVgprs: 0
; ScratchSize: 0
; MemoryBound: 0
; FloatMode: 240
; IeeeMode: 1
; LDSByteSize: 0 bytes/workgroup (compile time only)
; SGPRBlocks: 0
; VGPRBlocks: 0
; NumSGPRsForWavesPerEU: 4
; NumVGPRsForWavesPerEU: 1
; AccumOffset: 4
; Occupancy: 8
; WaveLimiterHint : 0
; COMPUTE_PGM_RSRC2:SCRATCH_EN: 0
; COMPUTE_PGM_RSRC2:USER_SGPR: 6
; COMPUTE_PGM_RSRC2:TRAP_HANDLER: 0
; COMPUTE_PGM_RSRC2:TGID_X_EN: 1
; COMPUTE_PGM_RSRC2:TGID_Y_EN: 0
; COMPUTE_PGM_RSRC2:TGID_Z_EN: 0
; COMPUTE_PGM_RSRC2:TIDIG_COMP_CNT: 0
; COMPUTE_PGM_RSRC3_GFX90A:ACCUM_OFFSET: 0
; COMPUTE_PGM_RSRC3_GFX90A:TG_SPLIT: 0
	.section	.text._ZN7rocprim17ROCPRIM_400000_NS6detail17trampoline_kernelINS0_14default_configENS1_20scan_config_selectorItEEZZNS1_9scan_implILNS1_25lookback_scan_determinismE0ELb0ELb0ES3_N6thrust23THRUST_200600_302600_NS6detail15normal_iteratorINS9_10device_ptrItEEEESE_t11max_functorItEtEEDaPvRmT3_T4_T5_mT6_P12ihipStream_tbENKUlT_T0_E_clISt17integral_constantIbLb0EESU_EEDaSP_SQ_EUlSP_E_NS1_11comp_targetILNS1_3genE10ELNS1_11target_archE1200ELNS1_3gpuE4ELNS1_3repE0EEENS1_30default_config_static_selectorELNS0_4arch9wavefront6targetE1EEEvT1_,"axG",@progbits,_ZN7rocprim17ROCPRIM_400000_NS6detail17trampoline_kernelINS0_14default_configENS1_20scan_config_selectorItEEZZNS1_9scan_implILNS1_25lookback_scan_determinismE0ELb0ELb0ES3_N6thrust23THRUST_200600_302600_NS6detail15normal_iteratorINS9_10device_ptrItEEEESE_t11max_functorItEtEEDaPvRmT3_T4_T5_mT6_P12ihipStream_tbENKUlT_T0_E_clISt17integral_constantIbLb0EESU_EEDaSP_SQ_EUlSP_E_NS1_11comp_targetILNS1_3genE10ELNS1_11target_archE1200ELNS1_3gpuE4ELNS1_3repE0EEENS1_30default_config_static_selectorELNS0_4arch9wavefront6targetE1EEEvT1_,comdat
	.protected	_ZN7rocprim17ROCPRIM_400000_NS6detail17trampoline_kernelINS0_14default_configENS1_20scan_config_selectorItEEZZNS1_9scan_implILNS1_25lookback_scan_determinismE0ELb0ELb0ES3_N6thrust23THRUST_200600_302600_NS6detail15normal_iteratorINS9_10device_ptrItEEEESE_t11max_functorItEtEEDaPvRmT3_T4_T5_mT6_P12ihipStream_tbENKUlT_T0_E_clISt17integral_constantIbLb0EESU_EEDaSP_SQ_EUlSP_E_NS1_11comp_targetILNS1_3genE10ELNS1_11target_archE1200ELNS1_3gpuE4ELNS1_3repE0EEENS1_30default_config_static_selectorELNS0_4arch9wavefront6targetE1EEEvT1_ ; -- Begin function _ZN7rocprim17ROCPRIM_400000_NS6detail17trampoline_kernelINS0_14default_configENS1_20scan_config_selectorItEEZZNS1_9scan_implILNS1_25lookback_scan_determinismE0ELb0ELb0ES3_N6thrust23THRUST_200600_302600_NS6detail15normal_iteratorINS9_10device_ptrItEEEESE_t11max_functorItEtEEDaPvRmT3_T4_T5_mT6_P12ihipStream_tbENKUlT_T0_E_clISt17integral_constantIbLb0EESU_EEDaSP_SQ_EUlSP_E_NS1_11comp_targetILNS1_3genE10ELNS1_11target_archE1200ELNS1_3gpuE4ELNS1_3repE0EEENS1_30default_config_static_selectorELNS0_4arch9wavefront6targetE1EEEvT1_
	.globl	_ZN7rocprim17ROCPRIM_400000_NS6detail17trampoline_kernelINS0_14default_configENS1_20scan_config_selectorItEEZZNS1_9scan_implILNS1_25lookback_scan_determinismE0ELb0ELb0ES3_N6thrust23THRUST_200600_302600_NS6detail15normal_iteratorINS9_10device_ptrItEEEESE_t11max_functorItEtEEDaPvRmT3_T4_T5_mT6_P12ihipStream_tbENKUlT_T0_E_clISt17integral_constantIbLb0EESU_EEDaSP_SQ_EUlSP_E_NS1_11comp_targetILNS1_3genE10ELNS1_11target_archE1200ELNS1_3gpuE4ELNS1_3repE0EEENS1_30default_config_static_selectorELNS0_4arch9wavefront6targetE1EEEvT1_
	.p2align	8
	.type	_ZN7rocprim17ROCPRIM_400000_NS6detail17trampoline_kernelINS0_14default_configENS1_20scan_config_selectorItEEZZNS1_9scan_implILNS1_25lookback_scan_determinismE0ELb0ELb0ES3_N6thrust23THRUST_200600_302600_NS6detail15normal_iteratorINS9_10device_ptrItEEEESE_t11max_functorItEtEEDaPvRmT3_T4_T5_mT6_P12ihipStream_tbENKUlT_T0_E_clISt17integral_constantIbLb0EESU_EEDaSP_SQ_EUlSP_E_NS1_11comp_targetILNS1_3genE10ELNS1_11target_archE1200ELNS1_3gpuE4ELNS1_3repE0EEENS1_30default_config_static_selectorELNS0_4arch9wavefront6targetE1EEEvT1_,@function
_ZN7rocprim17ROCPRIM_400000_NS6detail17trampoline_kernelINS0_14default_configENS1_20scan_config_selectorItEEZZNS1_9scan_implILNS1_25lookback_scan_determinismE0ELb0ELb0ES3_N6thrust23THRUST_200600_302600_NS6detail15normal_iteratorINS9_10device_ptrItEEEESE_t11max_functorItEtEEDaPvRmT3_T4_T5_mT6_P12ihipStream_tbENKUlT_T0_E_clISt17integral_constantIbLb0EESU_EEDaSP_SQ_EUlSP_E_NS1_11comp_targetILNS1_3genE10ELNS1_11target_archE1200ELNS1_3gpuE4ELNS1_3repE0EEENS1_30default_config_static_selectorELNS0_4arch9wavefront6targetE1EEEvT1_: ; @_ZN7rocprim17ROCPRIM_400000_NS6detail17trampoline_kernelINS0_14default_configENS1_20scan_config_selectorItEEZZNS1_9scan_implILNS1_25lookback_scan_determinismE0ELb0ELb0ES3_N6thrust23THRUST_200600_302600_NS6detail15normal_iteratorINS9_10device_ptrItEEEESE_t11max_functorItEtEEDaPvRmT3_T4_T5_mT6_P12ihipStream_tbENKUlT_T0_E_clISt17integral_constantIbLb0EESU_EEDaSP_SQ_EUlSP_E_NS1_11comp_targetILNS1_3genE10ELNS1_11target_archE1200ELNS1_3gpuE4ELNS1_3repE0EEENS1_30default_config_static_selectorELNS0_4arch9wavefront6targetE1EEEvT1_
; %bb.0:
	.section	.rodata,"a",@progbits
	.p2align	6, 0x0
	.amdhsa_kernel _ZN7rocprim17ROCPRIM_400000_NS6detail17trampoline_kernelINS0_14default_configENS1_20scan_config_selectorItEEZZNS1_9scan_implILNS1_25lookback_scan_determinismE0ELb0ELb0ES3_N6thrust23THRUST_200600_302600_NS6detail15normal_iteratorINS9_10device_ptrItEEEESE_t11max_functorItEtEEDaPvRmT3_T4_T5_mT6_P12ihipStream_tbENKUlT_T0_E_clISt17integral_constantIbLb0EESU_EEDaSP_SQ_EUlSP_E_NS1_11comp_targetILNS1_3genE10ELNS1_11target_archE1200ELNS1_3gpuE4ELNS1_3repE0EEENS1_30default_config_static_selectorELNS0_4arch9wavefront6targetE1EEEvT1_
		.amdhsa_group_segment_fixed_size 0
		.amdhsa_private_segment_fixed_size 0
		.amdhsa_kernarg_size 96
		.amdhsa_user_sgpr_count 6
		.amdhsa_user_sgpr_private_segment_buffer 1
		.amdhsa_user_sgpr_dispatch_ptr 0
		.amdhsa_user_sgpr_queue_ptr 0
		.amdhsa_user_sgpr_kernarg_segment_ptr 1
		.amdhsa_user_sgpr_dispatch_id 0
		.amdhsa_user_sgpr_flat_scratch_init 0
		.amdhsa_user_sgpr_kernarg_preload_length 0
		.amdhsa_user_sgpr_kernarg_preload_offset 0
		.amdhsa_user_sgpr_private_segment_size 0
		.amdhsa_uses_dynamic_stack 0
		.amdhsa_system_sgpr_private_segment_wavefront_offset 0
		.amdhsa_system_sgpr_workgroup_id_x 1
		.amdhsa_system_sgpr_workgroup_id_y 0
		.amdhsa_system_sgpr_workgroup_id_z 0
		.amdhsa_system_sgpr_workgroup_info 0
		.amdhsa_system_vgpr_workitem_id 0
		.amdhsa_next_free_vgpr 1
		.amdhsa_next_free_sgpr 0
		.amdhsa_accum_offset 4
		.amdhsa_reserve_vcc 0
		.amdhsa_reserve_flat_scratch 0
		.amdhsa_float_round_mode_32 0
		.amdhsa_float_round_mode_16_64 0
		.amdhsa_float_denorm_mode_32 3
		.amdhsa_float_denorm_mode_16_64 3
		.amdhsa_dx10_clamp 1
		.amdhsa_ieee_mode 1
		.amdhsa_fp16_overflow 0
		.amdhsa_tg_split 0
		.amdhsa_exception_fp_ieee_invalid_op 0
		.amdhsa_exception_fp_denorm_src 0
		.amdhsa_exception_fp_ieee_div_zero 0
		.amdhsa_exception_fp_ieee_overflow 0
		.amdhsa_exception_fp_ieee_underflow 0
		.amdhsa_exception_fp_ieee_inexact 0
		.amdhsa_exception_int_div_zero 0
	.end_amdhsa_kernel
	.section	.text._ZN7rocprim17ROCPRIM_400000_NS6detail17trampoline_kernelINS0_14default_configENS1_20scan_config_selectorItEEZZNS1_9scan_implILNS1_25lookback_scan_determinismE0ELb0ELb0ES3_N6thrust23THRUST_200600_302600_NS6detail15normal_iteratorINS9_10device_ptrItEEEESE_t11max_functorItEtEEDaPvRmT3_T4_T5_mT6_P12ihipStream_tbENKUlT_T0_E_clISt17integral_constantIbLb0EESU_EEDaSP_SQ_EUlSP_E_NS1_11comp_targetILNS1_3genE10ELNS1_11target_archE1200ELNS1_3gpuE4ELNS1_3repE0EEENS1_30default_config_static_selectorELNS0_4arch9wavefront6targetE1EEEvT1_,"axG",@progbits,_ZN7rocprim17ROCPRIM_400000_NS6detail17trampoline_kernelINS0_14default_configENS1_20scan_config_selectorItEEZZNS1_9scan_implILNS1_25lookback_scan_determinismE0ELb0ELb0ES3_N6thrust23THRUST_200600_302600_NS6detail15normal_iteratorINS9_10device_ptrItEEEESE_t11max_functorItEtEEDaPvRmT3_T4_T5_mT6_P12ihipStream_tbENKUlT_T0_E_clISt17integral_constantIbLb0EESU_EEDaSP_SQ_EUlSP_E_NS1_11comp_targetILNS1_3genE10ELNS1_11target_archE1200ELNS1_3gpuE4ELNS1_3repE0EEENS1_30default_config_static_selectorELNS0_4arch9wavefront6targetE1EEEvT1_,comdat
.Lfunc_end2409:
	.size	_ZN7rocprim17ROCPRIM_400000_NS6detail17trampoline_kernelINS0_14default_configENS1_20scan_config_selectorItEEZZNS1_9scan_implILNS1_25lookback_scan_determinismE0ELb0ELb0ES3_N6thrust23THRUST_200600_302600_NS6detail15normal_iteratorINS9_10device_ptrItEEEESE_t11max_functorItEtEEDaPvRmT3_T4_T5_mT6_P12ihipStream_tbENKUlT_T0_E_clISt17integral_constantIbLb0EESU_EEDaSP_SQ_EUlSP_E_NS1_11comp_targetILNS1_3genE10ELNS1_11target_archE1200ELNS1_3gpuE4ELNS1_3repE0EEENS1_30default_config_static_selectorELNS0_4arch9wavefront6targetE1EEEvT1_, .Lfunc_end2409-_ZN7rocprim17ROCPRIM_400000_NS6detail17trampoline_kernelINS0_14default_configENS1_20scan_config_selectorItEEZZNS1_9scan_implILNS1_25lookback_scan_determinismE0ELb0ELb0ES3_N6thrust23THRUST_200600_302600_NS6detail15normal_iteratorINS9_10device_ptrItEEEESE_t11max_functorItEtEEDaPvRmT3_T4_T5_mT6_P12ihipStream_tbENKUlT_T0_E_clISt17integral_constantIbLb0EESU_EEDaSP_SQ_EUlSP_E_NS1_11comp_targetILNS1_3genE10ELNS1_11target_archE1200ELNS1_3gpuE4ELNS1_3repE0EEENS1_30default_config_static_selectorELNS0_4arch9wavefront6targetE1EEEvT1_
                                        ; -- End function
	.section	.AMDGPU.csdata,"",@progbits
; Kernel info:
; codeLenInByte = 0
; NumSgprs: 4
; NumVgprs: 0
; NumAgprs: 0
; TotalNumVgprs: 0
; ScratchSize: 0
; MemoryBound: 0
; FloatMode: 240
; IeeeMode: 1
; LDSByteSize: 0 bytes/workgroup (compile time only)
; SGPRBlocks: 0
; VGPRBlocks: 0
; NumSGPRsForWavesPerEU: 4
; NumVGPRsForWavesPerEU: 1
; AccumOffset: 4
; Occupancy: 8
; WaveLimiterHint : 0
; COMPUTE_PGM_RSRC2:SCRATCH_EN: 0
; COMPUTE_PGM_RSRC2:USER_SGPR: 6
; COMPUTE_PGM_RSRC2:TRAP_HANDLER: 0
; COMPUTE_PGM_RSRC2:TGID_X_EN: 1
; COMPUTE_PGM_RSRC2:TGID_Y_EN: 0
; COMPUTE_PGM_RSRC2:TGID_Z_EN: 0
; COMPUTE_PGM_RSRC2:TIDIG_COMP_CNT: 0
; COMPUTE_PGM_RSRC3_GFX90A:ACCUM_OFFSET: 0
; COMPUTE_PGM_RSRC3_GFX90A:TG_SPLIT: 0
	.section	.text._ZN7rocprim17ROCPRIM_400000_NS6detail17trampoline_kernelINS0_14default_configENS1_20scan_config_selectorItEEZZNS1_9scan_implILNS1_25lookback_scan_determinismE0ELb0ELb0ES3_N6thrust23THRUST_200600_302600_NS6detail15normal_iteratorINS9_10device_ptrItEEEESE_t11max_functorItEtEEDaPvRmT3_T4_T5_mT6_P12ihipStream_tbENKUlT_T0_E_clISt17integral_constantIbLb0EESU_EEDaSP_SQ_EUlSP_E_NS1_11comp_targetILNS1_3genE9ELNS1_11target_archE1100ELNS1_3gpuE3ELNS1_3repE0EEENS1_30default_config_static_selectorELNS0_4arch9wavefront6targetE1EEEvT1_,"axG",@progbits,_ZN7rocprim17ROCPRIM_400000_NS6detail17trampoline_kernelINS0_14default_configENS1_20scan_config_selectorItEEZZNS1_9scan_implILNS1_25lookback_scan_determinismE0ELb0ELb0ES3_N6thrust23THRUST_200600_302600_NS6detail15normal_iteratorINS9_10device_ptrItEEEESE_t11max_functorItEtEEDaPvRmT3_T4_T5_mT6_P12ihipStream_tbENKUlT_T0_E_clISt17integral_constantIbLb0EESU_EEDaSP_SQ_EUlSP_E_NS1_11comp_targetILNS1_3genE9ELNS1_11target_archE1100ELNS1_3gpuE3ELNS1_3repE0EEENS1_30default_config_static_selectorELNS0_4arch9wavefront6targetE1EEEvT1_,comdat
	.protected	_ZN7rocprim17ROCPRIM_400000_NS6detail17trampoline_kernelINS0_14default_configENS1_20scan_config_selectorItEEZZNS1_9scan_implILNS1_25lookback_scan_determinismE0ELb0ELb0ES3_N6thrust23THRUST_200600_302600_NS6detail15normal_iteratorINS9_10device_ptrItEEEESE_t11max_functorItEtEEDaPvRmT3_T4_T5_mT6_P12ihipStream_tbENKUlT_T0_E_clISt17integral_constantIbLb0EESU_EEDaSP_SQ_EUlSP_E_NS1_11comp_targetILNS1_3genE9ELNS1_11target_archE1100ELNS1_3gpuE3ELNS1_3repE0EEENS1_30default_config_static_selectorELNS0_4arch9wavefront6targetE1EEEvT1_ ; -- Begin function _ZN7rocprim17ROCPRIM_400000_NS6detail17trampoline_kernelINS0_14default_configENS1_20scan_config_selectorItEEZZNS1_9scan_implILNS1_25lookback_scan_determinismE0ELb0ELb0ES3_N6thrust23THRUST_200600_302600_NS6detail15normal_iteratorINS9_10device_ptrItEEEESE_t11max_functorItEtEEDaPvRmT3_T4_T5_mT6_P12ihipStream_tbENKUlT_T0_E_clISt17integral_constantIbLb0EESU_EEDaSP_SQ_EUlSP_E_NS1_11comp_targetILNS1_3genE9ELNS1_11target_archE1100ELNS1_3gpuE3ELNS1_3repE0EEENS1_30default_config_static_selectorELNS0_4arch9wavefront6targetE1EEEvT1_
	.globl	_ZN7rocprim17ROCPRIM_400000_NS6detail17trampoline_kernelINS0_14default_configENS1_20scan_config_selectorItEEZZNS1_9scan_implILNS1_25lookback_scan_determinismE0ELb0ELb0ES3_N6thrust23THRUST_200600_302600_NS6detail15normal_iteratorINS9_10device_ptrItEEEESE_t11max_functorItEtEEDaPvRmT3_T4_T5_mT6_P12ihipStream_tbENKUlT_T0_E_clISt17integral_constantIbLb0EESU_EEDaSP_SQ_EUlSP_E_NS1_11comp_targetILNS1_3genE9ELNS1_11target_archE1100ELNS1_3gpuE3ELNS1_3repE0EEENS1_30default_config_static_selectorELNS0_4arch9wavefront6targetE1EEEvT1_
	.p2align	8
	.type	_ZN7rocprim17ROCPRIM_400000_NS6detail17trampoline_kernelINS0_14default_configENS1_20scan_config_selectorItEEZZNS1_9scan_implILNS1_25lookback_scan_determinismE0ELb0ELb0ES3_N6thrust23THRUST_200600_302600_NS6detail15normal_iteratorINS9_10device_ptrItEEEESE_t11max_functorItEtEEDaPvRmT3_T4_T5_mT6_P12ihipStream_tbENKUlT_T0_E_clISt17integral_constantIbLb0EESU_EEDaSP_SQ_EUlSP_E_NS1_11comp_targetILNS1_3genE9ELNS1_11target_archE1100ELNS1_3gpuE3ELNS1_3repE0EEENS1_30default_config_static_selectorELNS0_4arch9wavefront6targetE1EEEvT1_,@function
_ZN7rocprim17ROCPRIM_400000_NS6detail17trampoline_kernelINS0_14default_configENS1_20scan_config_selectorItEEZZNS1_9scan_implILNS1_25lookback_scan_determinismE0ELb0ELb0ES3_N6thrust23THRUST_200600_302600_NS6detail15normal_iteratorINS9_10device_ptrItEEEESE_t11max_functorItEtEEDaPvRmT3_T4_T5_mT6_P12ihipStream_tbENKUlT_T0_E_clISt17integral_constantIbLb0EESU_EEDaSP_SQ_EUlSP_E_NS1_11comp_targetILNS1_3genE9ELNS1_11target_archE1100ELNS1_3gpuE3ELNS1_3repE0EEENS1_30default_config_static_selectorELNS0_4arch9wavefront6targetE1EEEvT1_: ; @_ZN7rocprim17ROCPRIM_400000_NS6detail17trampoline_kernelINS0_14default_configENS1_20scan_config_selectorItEEZZNS1_9scan_implILNS1_25lookback_scan_determinismE0ELb0ELb0ES3_N6thrust23THRUST_200600_302600_NS6detail15normal_iteratorINS9_10device_ptrItEEEESE_t11max_functorItEtEEDaPvRmT3_T4_T5_mT6_P12ihipStream_tbENKUlT_T0_E_clISt17integral_constantIbLb0EESU_EEDaSP_SQ_EUlSP_E_NS1_11comp_targetILNS1_3genE9ELNS1_11target_archE1100ELNS1_3gpuE3ELNS1_3repE0EEENS1_30default_config_static_selectorELNS0_4arch9wavefront6targetE1EEEvT1_
; %bb.0:
	.section	.rodata,"a",@progbits
	.p2align	6, 0x0
	.amdhsa_kernel _ZN7rocprim17ROCPRIM_400000_NS6detail17trampoline_kernelINS0_14default_configENS1_20scan_config_selectorItEEZZNS1_9scan_implILNS1_25lookback_scan_determinismE0ELb0ELb0ES3_N6thrust23THRUST_200600_302600_NS6detail15normal_iteratorINS9_10device_ptrItEEEESE_t11max_functorItEtEEDaPvRmT3_T4_T5_mT6_P12ihipStream_tbENKUlT_T0_E_clISt17integral_constantIbLb0EESU_EEDaSP_SQ_EUlSP_E_NS1_11comp_targetILNS1_3genE9ELNS1_11target_archE1100ELNS1_3gpuE3ELNS1_3repE0EEENS1_30default_config_static_selectorELNS0_4arch9wavefront6targetE1EEEvT1_
		.amdhsa_group_segment_fixed_size 0
		.amdhsa_private_segment_fixed_size 0
		.amdhsa_kernarg_size 96
		.amdhsa_user_sgpr_count 6
		.amdhsa_user_sgpr_private_segment_buffer 1
		.amdhsa_user_sgpr_dispatch_ptr 0
		.amdhsa_user_sgpr_queue_ptr 0
		.amdhsa_user_sgpr_kernarg_segment_ptr 1
		.amdhsa_user_sgpr_dispatch_id 0
		.amdhsa_user_sgpr_flat_scratch_init 0
		.amdhsa_user_sgpr_kernarg_preload_length 0
		.amdhsa_user_sgpr_kernarg_preload_offset 0
		.amdhsa_user_sgpr_private_segment_size 0
		.amdhsa_uses_dynamic_stack 0
		.amdhsa_system_sgpr_private_segment_wavefront_offset 0
		.amdhsa_system_sgpr_workgroup_id_x 1
		.amdhsa_system_sgpr_workgroup_id_y 0
		.amdhsa_system_sgpr_workgroup_id_z 0
		.amdhsa_system_sgpr_workgroup_info 0
		.amdhsa_system_vgpr_workitem_id 0
		.amdhsa_next_free_vgpr 1
		.amdhsa_next_free_sgpr 0
		.amdhsa_accum_offset 4
		.amdhsa_reserve_vcc 0
		.amdhsa_reserve_flat_scratch 0
		.amdhsa_float_round_mode_32 0
		.amdhsa_float_round_mode_16_64 0
		.amdhsa_float_denorm_mode_32 3
		.amdhsa_float_denorm_mode_16_64 3
		.amdhsa_dx10_clamp 1
		.amdhsa_ieee_mode 1
		.amdhsa_fp16_overflow 0
		.amdhsa_tg_split 0
		.amdhsa_exception_fp_ieee_invalid_op 0
		.amdhsa_exception_fp_denorm_src 0
		.amdhsa_exception_fp_ieee_div_zero 0
		.amdhsa_exception_fp_ieee_overflow 0
		.amdhsa_exception_fp_ieee_underflow 0
		.amdhsa_exception_fp_ieee_inexact 0
		.amdhsa_exception_int_div_zero 0
	.end_amdhsa_kernel
	.section	.text._ZN7rocprim17ROCPRIM_400000_NS6detail17trampoline_kernelINS0_14default_configENS1_20scan_config_selectorItEEZZNS1_9scan_implILNS1_25lookback_scan_determinismE0ELb0ELb0ES3_N6thrust23THRUST_200600_302600_NS6detail15normal_iteratorINS9_10device_ptrItEEEESE_t11max_functorItEtEEDaPvRmT3_T4_T5_mT6_P12ihipStream_tbENKUlT_T0_E_clISt17integral_constantIbLb0EESU_EEDaSP_SQ_EUlSP_E_NS1_11comp_targetILNS1_3genE9ELNS1_11target_archE1100ELNS1_3gpuE3ELNS1_3repE0EEENS1_30default_config_static_selectorELNS0_4arch9wavefront6targetE1EEEvT1_,"axG",@progbits,_ZN7rocprim17ROCPRIM_400000_NS6detail17trampoline_kernelINS0_14default_configENS1_20scan_config_selectorItEEZZNS1_9scan_implILNS1_25lookback_scan_determinismE0ELb0ELb0ES3_N6thrust23THRUST_200600_302600_NS6detail15normal_iteratorINS9_10device_ptrItEEEESE_t11max_functorItEtEEDaPvRmT3_T4_T5_mT6_P12ihipStream_tbENKUlT_T0_E_clISt17integral_constantIbLb0EESU_EEDaSP_SQ_EUlSP_E_NS1_11comp_targetILNS1_3genE9ELNS1_11target_archE1100ELNS1_3gpuE3ELNS1_3repE0EEENS1_30default_config_static_selectorELNS0_4arch9wavefront6targetE1EEEvT1_,comdat
.Lfunc_end2410:
	.size	_ZN7rocprim17ROCPRIM_400000_NS6detail17trampoline_kernelINS0_14default_configENS1_20scan_config_selectorItEEZZNS1_9scan_implILNS1_25lookback_scan_determinismE0ELb0ELb0ES3_N6thrust23THRUST_200600_302600_NS6detail15normal_iteratorINS9_10device_ptrItEEEESE_t11max_functorItEtEEDaPvRmT3_T4_T5_mT6_P12ihipStream_tbENKUlT_T0_E_clISt17integral_constantIbLb0EESU_EEDaSP_SQ_EUlSP_E_NS1_11comp_targetILNS1_3genE9ELNS1_11target_archE1100ELNS1_3gpuE3ELNS1_3repE0EEENS1_30default_config_static_selectorELNS0_4arch9wavefront6targetE1EEEvT1_, .Lfunc_end2410-_ZN7rocprim17ROCPRIM_400000_NS6detail17trampoline_kernelINS0_14default_configENS1_20scan_config_selectorItEEZZNS1_9scan_implILNS1_25lookback_scan_determinismE0ELb0ELb0ES3_N6thrust23THRUST_200600_302600_NS6detail15normal_iteratorINS9_10device_ptrItEEEESE_t11max_functorItEtEEDaPvRmT3_T4_T5_mT6_P12ihipStream_tbENKUlT_T0_E_clISt17integral_constantIbLb0EESU_EEDaSP_SQ_EUlSP_E_NS1_11comp_targetILNS1_3genE9ELNS1_11target_archE1100ELNS1_3gpuE3ELNS1_3repE0EEENS1_30default_config_static_selectorELNS0_4arch9wavefront6targetE1EEEvT1_
                                        ; -- End function
	.section	.AMDGPU.csdata,"",@progbits
; Kernel info:
; codeLenInByte = 0
; NumSgprs: 4
; NumVgprs: 0
; NumAgprs: 0
; TotalNumVgprs: 0
; ScratchSize: 0
; MemoryBound: 0
; FloatMode: 240
; IeeeMode: 1
; LDSByteSize: 0 bytes/workgroup (compile time only)
; SGPRBlocks: 0
; VGPRBlocks: 0
; NumSGPRsForWavesPerEU: 4
; NumVGPRsForWavesPerEU: 1
; AccumOffset: 4
; Occupancy: 8
; WaveLimiterHint : 0
; COMPUTE_PGM_RSRC2:SCRATCH_EN: 0
; COMPUTE_PGM_RSRC2:USER_SGPR: 6
; COMPUTE_PGM_RSRC2:TRAP_HANDLER: 0
; COMPUTE_PGM_RSRC2:TGID_X_EN: 1
; COMPUTE_PGM_RSRC2:TGID_Y_EN: 0
; COMPUTE_PGM_RSRC2:TGID_Z_EN: 0
; COMPUTE_PGM_RSRC2:TIDIG_COMP_CNT: 0
; COMPUTE_PGM_RSRC3_GFX90A:ACCUM_OFFSET: 0
; COMPUTE_PGM_RSRC3_GFX90A:TG_SPLIT: 0
	.section	.text._ZN7rocprim17ROCPRIM_400000_NS6detail17trampoline_kernelINS0_14default_configENS1_20scan_config_selectorItEEZZNS1_9scan_implILNS1_25lookback_scan_determinismE0ELb0ELb0ES3_N6thrust23THRUST_200600_302600_NS6detail15normal_iteratorINS9_10device_ptrItEEEESE_t11max_functorItEtEEDaPvRmT3_T4_T5_mT6_P12ihipStream_tbENKUlT_T0_E_clISt17integral_constantIbLb0EESU_EEDaSP_SQ_EUlSP_E_NS1_11comp_targetILNS1_3genE8ELNS1_11target_archE1030ELNS1_3gpuE2ELNS1_3repE0EEENS1_30default_config_static_selectorELNS0_4arch9wavefront6targetE1EEEvT1_,"axG",@progbits,_ZN7rocprim17ROCPRIM_400000_NS6detail17trampoline_kernelINS0_14default_configENS1_20scan_config_selectorItEEZZNS1_9scan_implILNS1_25lookback_scan_determinismE0ELb0ELb0ES3_N6thrust23THRUST_200600_302600_NS6detail15normal_iteratorINS9_10device_ptrItEEEESE_t11max_functorItEtEEDaPvRmT3_T4_T5_mT6_P12ihipStream_tbENKUlT_T0_E_clISt17integral_constantIbLb0EESU_EEDaSP_SQ_EUlSP_E_NS1_11comp_targetILNS1_3genE8ELNS1_11target_archE1030ELNS1_3gpuE2ELNS1_3repE0EEENS1_30default_config_static_selectorELNS0_4arch9wavefront6targetE1EEEvT1_,comdat
	.protected	_ZN7rocprim17ROCPRIM_400000_NS6detail17trampoline_kernelINS0_14default_configENS1_20scan_config_selectorItEEZZNS1_9scan_implILNS1_25lookback_scan_determinismE0ELb0ELb0ES3_N6thrust23THRUST_200600_302600_NS6detail15normal_iteratorINS9_10device_ptrItEEEESE_t11max_functorItEtEEDaPvRmT3_T4_T5_mT6_P12ihipStream_tbENKUlT_T0_E_clISt17integral_constantIbLb0EESU_EEDaSP_SQ_EUlSP_E_NS1_11comp_targetILNS1_3genE8ELNS1_11target_archE1030ELNS1_3gpuE2ELNS1_3repE0EEENS1_30default_config_static_selectorELNS0_4arch9wavefront6targetE1EEEvT1_ ; -- Begin function _ZN7rocprim17ROCPRIM_400000_NS6detail17trampoline_kernelINS0_14default_configENS1_20scan_config_selectorItEEZZNS1_9scan_implILNS1_25lookback_scan_determinismE0ELb0ELb0ES3_N6thrust23THRUST_200600_302600_NS6detail15normal_iteratorINS9_10device_ptrItEEEESE_t11max_functorItEtEEDaPvRmT3_T4_T5_mT6_P12ihipStream_tbENKUlT_T0_E_clISt17integral_constantIbLb0EESU_EEDaSP_SQ_EUlSP_E_NS1_11comp_targetILNS1_3genE8ELNS1_11target_archE1030ELNS1_3gpuE2ELNS1_3repE0EEENS1_30default_config_static_selectorELNS0_4arch9wavefront6targetE1EEEvT1_
	.globl	_ZN7rocprim17ROCPRIM_400000_NS6detail17trampoline_kernelINS0_14default_configENS1_20scan_config_selectorItEEZZNS1_9scan_implILNS1_25lookback_scan_determinismE0ELb0ELb0ES3_N6thrust23THRUST_200600_302600_NS6detail15normal_iteratorINS9_10device_ptrItEEEESE_t11max_functorItEtEEDaPvRmT3_T4_T5_mT6_P12ihipStream_tbENKUlT_T0_E_clISt17integral_constantIbLb0EESU_EEDaSP_SQ_EUlSP_E_NS1_11comp_targetILNS1_3genE8ELNS1_11target_archE1030ELNS1_3gpuE2ELNS1_3repE0EEENS1_30default_config_static_selectorELNS0_4arch9wavefront6targetE1EEEvT1_
	.p2align	8
	.type	_ZN7rocprim17ROCPRIM_400000_NS6detail17trampoline_kernelINS0_14default_configENS1_20scan_config_selectorItEEZZNS1_9scan_implILNS1_25lookback_scan_determinismE0ELb0ELb0ES3_N6thrust23THRUST_200600_302600_NS6detail15normal_iteratorINS9_10device_ptrItEEEESE_t11max_functorItEtEEDaPvRmT3_T4_T5_mT6_P12ihipStream_tbENKUlT_T0_E_clISt17integral_constantIbLb0EESU_EEDaSP_SQ_EUlSP_E_NS1_11comp_targetILNS1_3genE8ELNS1_11target_archE1030ELNS1_3gpuE2ELNS1_3repE0EEENS1_30default_config_static_selectorELNS0_4arch9wavefront6targetE1EEEvT1_,@function
_ZN7rocprim17ROCPRIM_400000_NS6detail17trampoline_kernelINS0_14default_configENS1_20scan_config_selectorItEEZZNS1_9scan_implILNS1_25lookback_scan_determinismE0ELb0ELb0ES3_N6thrust23THRUST_200600_302600_NS6detail15normal_iteratorINS9_10device_ptrItEEEESE_t11max_functorItEtEEDaPvRmT3_T4_T5_mT6_P12ihipStream_tbENKUlT_T0_E_clISt17integral_constantIbLb0EESU_EEDaSP_SQ_EUlSP_E_NS1_11comp_targetILNS1_3genE8ELNS1_11target_archE1030ELNS1_3gpuE2ELNS1_3repE0EEENS1_30default_config_static_selectorELNS0_4arch9wavefront6targetE1EEEvT1_: ; @_ZN7rocprim17ROCPRIM_400000_NS6detail17trampoline_kernelINS0_14default_configENS1_20scan_config_selectorItEEZZNS1_9scan_implILNS1_25lookback_scan_determinismE0ELb0ELb0ES3_N6thrust23THRUST_200600_302600_NS6detail15normal_iteratorINS9_10device_ptrItEEEESE_t11max_functorItEtEEDaPvRmT3_T4_T5_mT6_P12ihipStream_tbENKUlT_T0_E_clISt17integral_constantIbLb0EESU_EEDaSP_SQ_EUlSP_E_NS1_11comp_targetILNS1_3genE8ELNS1_11target_archE1030ELNS1_3gpuE2ELNS1_3repE0EEENS1_30default_config_static_selectorELNS0_4arch9wavefront6targetE1EEEvT1_
; %bb.0:
	.section	.rodata,"a",@progbits
	.p2align	6, 0x0
	.amdhsa_kernel _ZN7rocprim17ROCPRIM_400000_NS6detail17trampoline_kernelINS0_14default_configENS1_20scan_config_selectorItEEZZNS1_9scan_implILNS1_25lookback_scan_determinismE0ELb0ELb0ES3_N6thrust23THRUST_200600_302600_NS6detail15normal_iteratorINS9_10device_ptrItEEEESE_t11max_functorItEtEEDaPvRmT3_T4_T5_mT6_P12ihipStream_tbENKUlT_T0_E_clISt17integral_constantIbLb0EESU_EEDaSP_SQ_EUlSP_E_NS1_11comp_targetILNS1_3genE8ELNS1_11target_archE1030ELNS1_3gpuE2ELNS1_3repE0EEENS1_30default_config_static_selectorELNS0_4arch9wavefront6targetE1EEEvT1_
		.amdhsa_group_segment_fixed_size 0
		.amdhsa_private_segment_fixed_size 0
		.amdhsa_kernarg_size 96
		.amdhsa_user_sgpr_count 6
		.amdhsa_user_sgpr_private_segment_buffer 1
		.amdhsa_user_sgpr_dispatch_ptr 0
		.amdhsa_user_sgpr_queue_ptr 0
		.amdhsa_user_sgpr_kernarg_segment_ptr 1
		.amdhsa_user_sgpr_dispatch_id 0
		.amdhsa_user_sgpr_flat_scratch_init 0
		.amdhsa_user_sgpr_kernarg_preload_length 0
		.amdhsa_user_sgpr_kernarg_preload_offset 0
		.amdhsa_user_sgpr_private_segment_size 0
		.amdhsa_uses_dynamic_stack 0
		.amdhsa_system_sgpr_private_segment_wavefront_offset 0
		.amdhsa_system_sgpr_workgroup_id_x 1
		.amdhsa_system_sgpr_workgroup_id_y 0
		.amdhsa_system_sgpr_workgroup_id_z 0
		.amdhsa_system_sgpr_workgroup_info 0
		.amdhsa_system_vgpr_workitem_id 0
		.amdhsa_next_free_vgpr 1
		.amdhsa_next_free_sgpr 0
		.amdhsa_accum_offset 4
		.amdhsa_reserve_vcc 0
		.amdhsa_reserve_flat_scratch 0
		.amdhsa_float_round_mode_32 0
		.amdhsa_float_round_mode_16_64 0
		.amdhsa_float_denorm_mode_32 3
		.amdhsa_float_denorm_mode_16_64 3
		.amdhsa_dx10_clamp 1
		.amdhsa_ieee_mode 1
		.amdhsa_fp16_overflow 0
		.amdhsa_tg_split 0
		.amdhsa_exception_fp_ieee_invalid_op 0
		.amdhsa_exception_fp_denorm_src 0
		.amdhsa_exception_fp_ieee_div_zero 0
		.amdhsa_exception_fp_ieee_overflow 0
		.amdhsa_exception_fp_ieee_underflow 0
		.amdhsa_exception_fp_ieee_inexact 0
		.amdhsa_exception_int_div_zero 0
	.end_amdhsa_kernel
	.section	.text._ZN7rocprim17ROCPRIM_400000_NS6detail17trampoline_kernelINS0_14default_configENS1_20scan_config_selectorItEEZZNS1_9scan_implILNS1_25lookback_scan_determinismE0ELb0ELb0ES3_N6thrust23THRUST_200600_302600_NS6detail15normal_iteratorINS9_10device_ptrItEEEESE_t11max_functorItEtEEDaPvRmT3_T4_T5_mT6_P12ihipStream_tbENKUlT_T0_E_clISt17integral_constantIbLb0EESU_EEDaSP_SQ_EUlSP_E_NS1_11comp_targetILNS1_3genE8ELNS1_11target_archE1030ELNS1_3gpuE2ELNS1_3repE0EEENS1_30default_config_static_selectorELNS0_4arch9wavefront6targetE1EEEvT1_,"axG",@progbits,_ZN7rocprim17ROCPRIM_400000_NS6detail17trampoline_kernelINS0_14default_configENS1_20scan_config_selectorItEEZZNS1_9scan_implILNS1_25lookback_scan_determinismE0ELb0ELb0ES3_N6thrust23THRUST_200600_302600_NS6detail15normal_iteratorINS9_10device_ptrItEEEESE_t11max_functorItEtEEDaPvRmT3_T4_T5_mT6_P12ihipStream_tbENKUlT_T0_E_clISt17integral_constantIbLb0EESU_EEDaSP_SQ_EUlSP_E_NS1_11comp_targetILNS1_3genE8ELNS1_11target_archE1030ELNS1_3gpuE2ELNS1_3repE0EEENS1_30default_config_static_selectorELNS0_4arch9wavefront6targetE1EEEvT1_,comdat
.Lfunc_end2411:
	.size	_ZN7rocprim17ROCPRIM_400000_NS6detail17trampoline_kernelINS0_14default_configENS1_20scan_config_selectorItEEZZNS1_9scan_implILNS1_25lookback_scan_determinismE0ELb0ELb0ES3_N6thrust23THRUST_200600_302600_NS6detail15normal_iteratorINS9_10device_ptrItEEEESE_t11max_functorItEtEEDaPvRmT3_T4_T5_mT6_P12ihipStream_tbENKUlT_T0_E_clISt17integral_constantIbLb0EESU_EEDaSP_SQ_EUlSP_E_NS1_11comp_targetILNS1_3genE8ELNS1_11target_archE1030ELNS1_3gpuE2ELNS1_3repE0EEENS1_30default_config_static_selectorELNS0_4arch9wavefront6targetE1EEEvT1_, .Lfunc_end2411-_ZN7rocprim17ROCPRIM_400000_NS6detail17trampoline_kernelINS0_14default_configENS1_20scan_config_selectorItEEZZNS1_9scan_implILNS1_25lookback_scan_determinismE0ELb0ELb0ES3_N6thrust23THRUST_200600_302600_NS6detail15normal_iteratorINS9_10device_ptrItEEEESE_t11max_functorItEtEEDaPvRmT3_T4_T5_mT6_P12ihipStream_tbENKUlT_T0_E_clISt17integral_constantIbLb0EESU_EEDaSP_SQ_EUlSP_E_NS1_11comp_targetILNS1_3genE8ELNS1_11target_archE1030ELNS1_3gpuE2ELNS1_3repE0EEENS1_30default_config_static_selectorELNS0_4arch9wavefront6targetE1EEEvT1_
                                        ; -- End function
	.section	.AMDGPU.csdata,"",@progbits
; Kernel info:
; codeLenInByte = 0
; NumSgprs: 4
; NumVgprs: 0
; NumAgprs: 0
; TotalNumVgprs: 0
; ScratchSize: 0
; MemoryBound: 0
; FloatMode: 240
; IeeeMode: 1
; LDSByteSize: 0 bytes/workgroup (compile time only)
; SGPRBlocks: 0
; VGPRBlocks: 0
; NumSGPRsForWavesPerEU: 4
; NumVGPRsForWavesPerEU: 1
; AccumOffset: 4
; Occupancy: 8
; WaveLimiterHint : 0
; COMPUTE_PGM_RSRC2:SCRATCH_EN: 0
; COMPUTE_PGM_RSRC2:USER_SGPR: 6
; COMPUTE_PGM_RSRC2:TRAP_HANDLER: 0
; COMPUTE_PGM_RSRC2:TGID_X_EN: 1
; COMPUTE_PGM_RSRC2:TGID_Y_EN: 0
; COMPUTE_PGM_RSRC2:TGID_Z_EN: 0
; COMPUTE_PGM_RSRC2:TIDIG_COMP_CNT: 0
; COMPUTE_PGM_RSRC3_GFX90A:ACCUM_OFFSET: 0
; COMPUTE_PGM_RSRC3_GFX90A:TG_SPLIT: 0
	.section	.text._ZN7rocprim17ROCPRIM_400000_NS6detail17trampoline_kernelINS0_14default_configENS1_25transform_config_selectorItLb1EEEZNS1_14transform_implILb1ES3_S5_PtS7_NS0_8identityItEEEE10hipError_tT2_T3_mT4_P12ihipStream_tbEUlT_E_NS1_11comp_targetILNS1_3genE0ELNS1_11target_archE4294967295ELNS1_3gpuE0ELNS1_3repE0EEENS1_30default_config_static_selectorELNS0_4arch9wavefront6targetE1EEEvT1_,"axG",@progbits,_ZN7rocprim17ROCPRIM_400000_NS6detail17trampoline_kernelINS0_14default_configENS1_25transform_config_selectorItLb1EEEZNS1_14transform_implILb1ES3_S5_PtS7_NS0_8identityItEEEE10hipError_tT2_T3_mT4_P12ihipStream_tbEUlT_E_NS1_11comp_targetILNS1_3genE0ELNS1_11target_archE4294967295ELNS1_3gpuE0ELNS1_3repE0EEENS1_30default_config_static_selectorELNS0_4arch9wavefront6targetE1EEEvT1_,comdat
	.protected	_ZN7rocprim17ROCPRIM_400000_NS6detail17trampoline_kernelINS0_14default_configENS1_25transform_config_selectorItLb1EEEZNS1_14transform_implILb1ES3_S5_PtS7_NS0_8identityItEEEE10hipError_tT2_T3_mT4_P12ihipStream_tbEUlT_E_NS1_11comp_targetILNS1_3genE0ELNS1_11target_archE4294967295ELNS1_3gpuE0ELNS1_3repE0EEENS1_30default_config_static_selectorELNS0_4arch9wavefront6targetE1EEEvT1_ ; -- Begin function _ZN7rocprim17ROCPRIM_400000_NS6detail17trampoline_kernelINS0_14default_configENS1_25transform_config_selectorItLb1EEEZNS1_14transform_implILb1ES3_S5_PtS7_NS0_8identityItEEEE10hipError_tT2_T3_mT4_P12ihipStream_tbEUlT_E_NS1_11comp_targetILNS1_3genE0ELNS1_11target_archE4294967295ELNS1_3gpuE0ELNS1_3repE0EEENS1_30default_config_static_selectorELNS0_4arch9wavefront6targetE1EEEvT1_
	.globl	_ZN7rocprim17ROCPRIM_400000_NS6detail17trampoline_kernelINS0_14default_configENS1_25transform_config_selectorItLb1EEEZNS1_14transform_implILb1ES3_S5_PtS7_NS0_8identityItEEEE10hipError_tT2_T3_mT4_P12ihipStream_tbEUlT_E_NS1_11comp_targetILNS1_3genE0ELNS1_11target_archE4294967295ELNS1_3gpuE0ELNS1_3repE0EEENS1_30default_config_static_selectorELNS0_4arch9wavefront6targetE1EEEvT1_
	.p2align	8
	.type	_ZN7rocprim17ROCPRIM_400000_NS6detail17trampoline_kernelINS0_14default_configENS1_25transform_config_selectorItLb1EEEZNS1_14transform_implILb1ES3_S5_PtS7_NS0_8identityItEEEE10hipError_tT2_T3_mT4_P12ihipStream_tbEUlT_E_NS1_11comp_targetILNS1_3genE0ELNS1_11target_archE4294967295ELNS1_3gpuE0ELNS1_3repE0EEENS1_30default_config_static_selectorELNS0_4arch9wavefront6targetE1EEEvT1_,@function
_ZN7rocprim17ROCPRIM_400000_NS6detail17trampoline_kernelINS0_14default_configENS1_25transform_config_selectorItLb1EEEZNS1_14transform_implILb1ES3_S5_PtS7_NS0_8identityItEEEE10hipError_tT2_T3_mT4_P12ihipStream_tbEUlT_E_NS1_11comp_targetILNS1_3genE0ELNS1_11target_archE4294967295ELNS1_3gpuE0ELNS1_3repE0EEENS1_30default_config_static_selectorELNS0_4arch9wavefront6targetE1EEEvT1_: ; @_ZN7rocprim17ROCPRIM_400000_NS6detail17trampoline_kernelINS0_14default_configENS1_25transform_config_selectorItLb1EEEZNS1_14transform_implILb1ES3_S5_PtS7_NS0_8identityItEEEE10hipError_tT2_T3_mT4_P12ihipStream_tbEUlT_E_NS1_11comp_targetILNS1_3genE0ELNS1_11target_archE4294967295ELNS1_3gpuE0ELNS1_3repE0EEENS1_30default_config_static_selectorELNS0_4arch9wavefront6targetE1EEEvT1_
; %bb.0:
	.section	.rodata,"a",@progbits
	.p2align	6, 0x0
	.amdhsa_kernel _ZN7rocprim17ROCPRIM_400000_NS6detail17trampoline_kernelINS0_14default_configENS1_25transform_config_selectorItLb1EEEZNS1_14transform_implILb1ES3_S5_PtS7_NS0_8identityItEEEE10hipError_tT2_T3_mT4_P12ihipStream_tbEUlT_E_NS1_11comp_targetILNS1_3genE0ELNS1_11target_archE4294967295ELNS1_3gpuE0ELNS1_3repE0EEENS1_30default_config_static_selectorELNS0_4arch9wavefront6targetE1EEEvT1_
		.amdhsa_group_segment_fixed_size 0
		.amdhsa_private_segment_fixed_size 0
		.amdhsa_kernarg_size 40
		.amdhsa_user_sgpr_count 6
		.amdhsa_user_sgpr_private_segment_buffer 1
		.amdhsa_user_sgpr_dispatch_ptr 0
		.amdhsa_user_sgpr_queue_ptr 0
		.amdhsa_user_sgpr_kernarg_segment_ptr 1
		.amdhsa_user_sgpr_dispatch_id 0
		.amdhsa_user_sgpr_flat_scratch_init 0
		.amdhsa_user_sgpr_kernarg_preload_length 0
		.amdhsa_user_sgpr_kernarg_preload_offset 0
		.amdhsa_user_sgpr_private_segment_size 0
		.amdhsa_uses_dynamic_stack 0
		.amdhsa_system_sgpr_private_segment_wavefront_offset 0
		.amdhsa_system_sgpr_workgroup_id_x 1
		.amdhsa_system_sgpr_workgroup_id_y 0
		.amdhsa_system_sgpr_workgroup_id_z 0
		.amdhsa_system_sgpr_workgroup_info 0
		.amdhsa_system_vgpr_workitem_id 0
		.amdhsa_next_free_vgpr 1
		.amdhsa_next_free_sgpr 0
		.amdhsa_accum_offset 4
		.amdhsa_reserve_vcc 0
		.amdhsa_reserve_flat_scratch 0
		.amdhsa_float_round_mode_32 0
		.amdhsa_float_round_mode_16_64 0
		.amdhsa_float_denorm_mode_32 3
		.amdhsa_float_denorm_mode_16_64 3
		.amdhsa_dx10_clamp 1
		.amdhsa_ieee_mode 1
		.amdhsa_fp16_overflow 0
		.amdhsa_tg_split 0
		.amdhsa_exception_fp_ieee_invalid_op 0
		.amdhsa_exception_fp_denorm_src 0
		.amdhsa_exception_fp_ieee_div_zero 0
		.amdhsa_exception_fp_ieee_overflow 0
		.amdhsa_exception_fp_ieee_underflow 0
		.amdhsa_exception_fp_ieee_inexact 0
		.amdhsa_exception_int_div_zero 0
	.end_amdhsa_kernel
	.section	.text._ZN7rocprim17ROCPRIM_400000_NS6detail17trampoline_kernelINS0_14default_configENS1_25transform_config_selectorItLb1EEEZNS1_14transform_implILb1ES3_S5_PtS7_NS0_8identityItEEEE10hipError_tT2_T3_mT4_P12ihipStream_tbEUlT_E_NS1_11comp_targetILNS1_3genE0ELNS1_11target_archE4294967295ELNS1_3gpuE0ELNS1_3repE0EEENS1_30default_config_static_selectorELNS0_4arch9wavefront6targetE1EEEvT1_,"axG",@progbits,_ZN7rocprim17ROCPRIM_400000_NS6detail17trampoline_kernelINS0_14default_configENS1_25transform_config_selectorItLb1EEEZNS1_14transform_implILb1ES3_S5_PtS7_NS0_8identityItEEEE10hipError_tT2_T3_mT4_P12ihipStream_tbEUlT_E_NS1_11comp_targetILNS1_3genE0ELNS1_11target_archE4294967295ELNS1_3gpuE0ELNS1_3repE0EEENS1_30default_config_static_selectorELNS0_4arch9wavefront6targetE1EEEvT1_,comdat
.Lfunc_end2412:
	.size	_ZN7rocprim17ROCPRIM_400000_NS6detail17trampoline_kernelINS0_14default_configENS1_25transform_config_selectorItLb1EEEZNS1_14transform_implILb1ES3_S5_PtS7_NS0_8identityItEEEE10hipError_tT2_T3_mT4_P12ihipStream_tbEUlT_E_NS1_11comp_targetILNS1_3genE0ELNS1_11target_archE4294967295ELNS1_3gpuE0ELNS1_3repE0EEENS1_30default_config_static_selectorELNS0_4arch9wavefront6targetE1EEEvT1_, .Lfunc_end2412-_ZN7rocprim17ROCPRIM_400000_NS6detail17trampoline_kernelINS0_14default_configENS1_25transform_config_selectorItLb1EEEZNS1_14transform_implILb1ES3_S5_PtS7_NS0_8identityItEEEE10hipError_tT2_T3_mT4_P12ihipStream_tbEUlT_E_NS1_11comp_targetILNS1_3genE0ELNS1_11target_archE4294967295ELNS1_3gpuE0ELNS1_3repE0EEENS1_30default_config_static_selectorELNS0_4arch9wavefront6targetE1EEEvT1_
                                        ; -- End function
	.section	.AMDGPU.csdata,"",@progbits
; Kernel info:
; codeLenInByte = 0
; NumSgprs: 4
; NumVgprs: 0
; NumAgprs: 0
; TotalNumVgprs: 0
; ScratchSize: 0
; MemoryBound: 0
; FloatMode: 240
; IeeeMode: 1
; LDSByteSize: 0 bytes/workgroup (compile time only)
; SGPRBlocks: 0
; VGPRBlocks: 0
; NumSGPRsForWavesPerEU: 4
; NumVGPRsForWavesPerEU: 1
; AccumOffset: 4
; Occupancy: 8
; WaveLimiterHint : 0
; COMPUTE_PGM_RSRC2:SCRATCH_EN: 0
; COMPUTE_PGM_RSRC2:USER_SGPR: 6
; COMPUTE_PGM_RSRC2:TRAP_HANDLER: 0
; COMPUTE_PGM_RSRC2:TGID_X_EN: 1
; COMPUTE_PGM_RSRC2:TGID_Y_EN: 0
; COMPUTE_PGM_RSRC2:TGID_Z_EN: 0
; COMPUTE_PGM_RSRC2:TIDIG_COMP_CNT: 0
; COMPUTE_PGM_RSRC3_GFX90A:ACCUM_OFFSET: 0
; COMPUTE_PGM_RSRC3_GFX90A:TG_SPLIT: 0
	.section	.text._ZN7rocprim17ROCPRIM_400000_NS6detail17trampoline_kernelINS0_14default_configENS1_25transform_config_selectorItLb1EEEZNS1_14transform_implILb1ES3_S5_PtS7_NS0_8identityItEEEE10hipError_tT2_T3_mT4_P12ihipStream_tbEUlT_E_NS1_11comp_targetILNS1_3genE10ELNS1_11target_archE1201ELNS1_3gpuE5ELNS1_3repE0EEENS1_30default_config_static_selectorELNS0_4arch9wavefront6targetE1EEEvT1_,"axG",@progbits,_ZN7rocprim17ROCPRIM_400000_NS6detail17trampoline_kernelINS0_14default_configENS1_25transform_config_selectorItLb1EEEZNS1_14transform_implILb1ES3_S5_PtS7_NS0_8identityItEEEE10hipError_tT2_T3_mT4_P12ihipStream_tbEUlT_E_NS1_11comp_targetILNS1_3genE10ELNS1_11target_archE1201ELNS1_3gpuE5ELNS1_3repE0EEENS1_30default_config_static_selectorELNS0_4arch9wavefront6targetE1EEEvT1_,comdat
	.protected	_ZN7rocprim17ROCPRIM_400000_NS6detail17trampoline_kernelINS0_14default_configENS1_25transform_config_selectorItLb1EEEZNS1_14transform_implILb1ES3_S5_PtS7_NS0_8identityItEEEE10hipError_tT2_T3_mT4_P12ihipStream_tbEUlT_E_NS1_11comp_targetILNS1_3genE10ELNS1_11target_archE1201ELNS1_3gpuE5ELNS1_3repE0EEENS1_30default_config_static_selectorELNS0_4arch9wavefront6targetE1EEEvT1_ ; -- Begin function _ZN7rocprim17ROCPRIM_400000_NS6detail17trampoline_kernelINS0_14default_configENS1_25transform_config_selectorItLb1EEEZNS1_14transform_implILb1ES3_S5_PtS7_NS0_8identityItEEEE10hipError_tT2_T3_mT4_P12ihipStream_tbEUlT_E_NS1_11comp_targetILNS1_3genE10ELNS1_11target_archE1201ELNS1_3gpuE5ELNS1_3repE0EEENS1_30default_config_static_selectorELNS0_4arch9wavefront6targetE1EEEvT1_
	.globl	_ZN7rocprim17ROCPRIM_400000_NS6detail17trampoline_kernelINS0_14default_configENS1_25transform_config_selectorItLb1EEEZNS1_14transform_implILb1ES3_S5_PtS7_NS0_8identityItEEEE10hipError_tT2_T3_mT4_P12ihipStream_tbEUlT_E_NS1_11comp_targetILNS1_3genE10ELNS1_11target_archE1201ELNS1_3gpuE5ELNS1_3repE0EEENS1_30default_config_static_selectorELNS0_4arch9wavefront6targetE1EEEvT1_
	.p2align	8
	.type	_ZN7rocprim17ROCPRIM_400000_NS6detail17trampoline_kernelINS0_14default_configENS1_25transform_config_selectorItLb1EEEZNS1_14transform_implILb1ES3_S5_PtS7_NS0_8identityItEEEE10hipError_tT2_T3_mT4_P12ihipStream_tbEUlT_E_NS1_11comp_targetILNS1_3genE10ELNS1_11target_archE1201ELNS1_3gpuE5ELNS1_3repE0EEENS1_30default_config_static_selectorELNS0_4arch9wavefront6targetE1EEEvT1_,@function
_ZN7rocprim17ROCPRIM_400000_NS6detail17trampoline_kernelINS0_14default_configENS1_25transform_config_selectorItLb1EEEZNS1_14transform_implILb1ES3_S5_PtS7_NS0_8identityItEEEE10hipError_tT2_T3_mT4_P12ihipStream_tbEUlT_E_NS1_11comp_targetILNS1_3genE10ELNS1_11target_archE1201ELNS1_3gpuE5ELNS1_3repE0EEENS1_30default_config_static_selectorELNS0_4arch9wavefront6targetE1EEEvT1_: ; @_ZN7rocprim17ROCPRIM_400000_NS6detail17trampoline_kernelINS0_14default_configENS1_25transform_config_selectorItLb1EEEZNS1_14transform_implILb1ES3_S5_PtS7_NS0_8identityItEEEE10hipError_tT2_T3_mT4_P12ihipStream_tbEUlT_E_NS1_11comp_targetILNS1_3genE10ELNS1_11target_archE1201ELNS1_3gpuE5ELNS1_3repE0EEENS1_30default_config_static_selectorELNS0_4arch9wavefront6targetE1EEEvT1_
; %bb.0:
	.section	.rodata,"a",@progbits
	.p2align	6, 0x0
	.amdhsa_kernel _ZN7rocprim17ROCPRIM_400000_NS6detail17trampoline_kernelINS0_14default_configENS1_25transform_config_selectorItLb1EEEZNS1_14transform_implILb1ES3_S5_PtS7_NS0_8identityItEEEE10hipError_tT2_T3_mT4_P12ihipStream_tbEUlT_E_NS1_11comp_targetILNS1_3genE10ELNS1_11target_archE1201ELNS1_3gpuE5ELNS1_3repE0EEENS1_30default_config_static_selectorELNS0_4arch9wavefront6targetE1EEEvT1_
		.amdhsa_group_segment_fixed_size 0
		.amdhsa_private_segment_fixed_size 0
		.amdhsa_kernarg_size 40
		.amdhsa_user_sgpr_count 6
		.amdhsa_user_sgpr_private_segment_buffer 1
		.amdhsa_user_sgpr_dispatch_ptr 0
		.amdhsa_user_sgpr_queue_ptr 0
		.amdhsa_user_sgpr_kernarg_segment_ptr 1
		.amdhsa_user_sgpr_dispatch_id 0
		.amdhsa_user_sgpr_flat_scratch_init 0
		.amdhsa_user_sgpr_kernarg_preload_length 0
		.amdhsa_user_sgpr_kernarg_preload_offset 0
		.amdhsa_user_sgpr_private_segment_size 0
		.amdhsa_uses_dynamic_stack 0
		.amdhsa_system_sgpr_private_segment_wavefront_offset 0
		.amdhsa_system_sgpr_workgroup_id_x 1
		.amdhsa_system_sgpr_workgroup_id_y 0
		.amdhsa_system_sgpr_workgroup_id_z 0
		.amdhsa_system_sgpr_workgroup_info 0
		.amdhsa_system_vgpr_workitem_id 0
		.amdhsa_next_free_vgpr 1
		.amdhsa_next_free_sgpr 0
		.amdhsa_accum_offset 4
		.amdhsa_reserve_vcc 0
		.amdhsa_reserve_flat_scratch 0
		.amdhsa_float_round_mode_32 0
		.amdhsa_float_round_mode_16_64 0
		.amdhsa_float_denorm_mode_32 3
		.amdhsa_float_denorm_mode_16_64 3
		.amdhsa_dx10_clamp 1
		.amdhsa_ieee_mode 1
		.amdhsa_fp16_overflow 0
		.amdhsa_tg_split 0
		.amdhsa_exception_fp_ieee_invalid_op 0
		.amdhsa_exception_fp_denorm_src 0
		.amdhsa_exception_fp_ieee_div_zero 0
		.amdhsa_exception_fp_ieee_overflow 0
		.amdhsa_exception_fp_ieee_underflow 0
		.amdhsa_exception_fp_ieee_inexact 0
		.amdhsa_exception_int_div_zero 0
	.end_amdhsa_kernel
	.section	.text._ZN7rocprim17ROCPRIM_400000_NS6detail17trampoline_kernelINS0_14default_configENS1_25transform_config_selectorItLb1EEEZNS1_14transform_implILb1ES3_S5_PtS7_NS0_8identityItEEEE10hipError_tT2_T3_mT4_P12ihipStream_tbEUlT_E_NS1_11comp_targetILNS1_3genE10ELNS1_11target_archE1201ELNS1_3gpuE5ELNS1_3repE0EEENS1_30default_config_static_selectorELNS0_4arch9wavefront6targetE1EEEvT1_,"axG",@progbits,_ZN7rocprim17ROCPRIM_400000_NS6detail17trampoline_kernelINS0_14default_configENS1_25transform_config_selectorItLb1EEEZNS1_14transform_implILb1ES3_S5_PtS7_NS0_8identityItEEEE10hipError_tT2_T3_mT4_P12ihipStream_tbEUlT_E_NS1_11comp_targetILNS1_3genE10ELNS1_11target_archE1201ELNS1_3gpuE5ELNS1_3repE0EEENS1_30default_config_static_selectorELNS0_4arch9wavefront6targetE1EEEvT1_,comdat
.Lfunc_end2413:
	.size	_ZN7rocprim17ROCPRIM_400000_NS6detail17trampoline_kernelINS0_14default_configENS1_25transform_config_selectorItLb1EEEZNS1_14transform_implILb1ES3_S5_PtS7_NS0_8identityItEEEE10hipError_tT2_T3_mT4_P12ihipStream_tbEUlT_E_NS1_11comp_targetILNS1_3genE10ELNS1_11target_archE1201ELNS1_3gpuE5ELNS1_3repE0EEENS1_30default_config_static_selectorELNS0_4arch9wavefront6targetE1EEEvT1_, .Lfunc_end2413-_ZN7rocprim17ROCPRIM_400000_NS6detail17trampoline_kernelINS0_14default_configENS1_25transform_config_selectorItLb1EEEZNS1_14transform_implILb1ES3_S5_PtS7_NS0_8identityItEEEE10hipError_tT2_T3_mT4_P12ihipStream_tbEUlT_E_NS1_11comp_targetILNS1_3genE10ELNS1_11target_archE1201ELNS1_3gpuE5ELNS1_3repE0EEENS1_30default_config_static_selectorELNS0_4arch9wavefront6targetE1EEEvT1_
                                        ; -- End function
	.section	.AMDGPU.csdata,"",@progbits
; Kernel info:
; codeLenInByte = 0
; NumSgprs: 4
; NumVgprs: 0
; NumAgprs: 0
; TotalNumVgprs: 0
; ScratchSize: 0
; MemoryBound: 0
; FloatMode: 240
; IeeeMode: 1
; LDSByteSize: 0 bytes/workgroup (compile time only)
; SGPRBlocks: 0
; VGPRBlocks: 0
; NumSGPRsForWavesPerEU: 4
; NumVGPRsForWavesPerEU: 1
; AccumOffset: 4
; Occupancy: 8
; WaveLimiterHint : 0
; COMPUTE_PGM_RSRC2:SCRATCH_EN: 0
; COMPUTE_PGM_RSRC2:USER_SGPR: 6
; COMPUTE_PGM_RSRC2:TRAP_HANDLER: 0
; COMPUTE_PGM_RSRC2:TGID_X_EN: 1
; COMPUTE_PGM_RSRC2:TGID_Y_EN: 0
; COMPUTE_PGM_RSRC2:TGID_Z_EN: 0
; COMPUTE_PGM_RSRC2:TIDIG_COMP_CNT: 0
; COMPUTE_PGM_RSRC3_GFX90A:ACCUM_OFFSET: 0
; COMPUTE_PGM_RSRC3_GFX90A:TG_SPLIT: 0
	.section	.text._ZN7rocprim17ROCPRIM_400000_NS6detail17trampoline_kernelINS0_14default_configENS1_25transform_config_selectorItLb1EEEZNS1_14transform_implILb1ES3_S5_PtS7_NS0_8identityItEEEE10hipError_tT2_T3_mT4_P12ihipStream_tbEUlT_E_NS1_11comp_targetILNS1_3genE5ELNS1_11target_archE942ELNS1_3gpuE9ELNS1_3repE0EEENS1_30default_config_static_selectorELNS0_4arch9wavefront6targetE1EEEvT1_,"axG",@progbits,_ZN7rocprim17ROCPRIM_400000_NS6detail17trampoline_kernelINS0_14default_configENS1_25transform_config_selectorItLb1EEEZNS1_14transform_implILb1ES3_S5_PtS7_NS0_8identityItEEEE10hipError_tT2_T3_mT4_P12ihipStream_tbEUlT_E_NS1_11comp_targetILNS1_3genE5ELNS1_11target_archE942ELNS1_3gpuE9ELNS1_3repE0EEENS1_30default_config_static_selectorELNS0_4arch9wavefront6targetE1EEEvT1_,comdat
	.protected	_ZN7rocprim17ROCPRIM_400000_NS6detail17trampoline_kernelINS0_14default_configENS1_25transform_config_selectorItLb1EEEZNS1_14transform_implILb1ES3_S5_PtS7_NS0_8identityItEEEE10hipError_tT2_T3_mT4_P12ihipStream_tbEUlT_E_NS1_11comp_targetILNS1_3genE5ELNS1_11target_archE942ELNS1_3gpuE9ELNS1_3repE0EEENS1_30default_config_static_selectorELNS0_4arch9wavefront6targetE1EEEvT1_ ; -- Begin function _ZN7rocprim17ROCPRIM_400000_NS6detail17trampoline_kernelINS0_14default_configENS1_25transform_config_selectorItLb1EEEZNS1_14transform_implILb1ES3_S5_PtS7_NS0_8identityItEEEE10hipError_tT2_T3_mT4_P12ihipStream_tbEUlT_E_NS1_11comp_targetILNS1_3genE5ELNS1_11target_archE942ELNS1_3gpuE9ELNS1_3repE0EEENS1_30default_config_static_selectorELNS0_4arch9wavefront6targetE1EEEvT1_
	.globl	_ZN7rocprim17ROCPRIM_400000_NS6detail17trampoline_kernelINS0_14default_configENS1_25transform_config_selectorItLb1EEEZNS1_14transform_implILb1ES3_S5_PtS7_NS0_8identityItEEEE10hipError_tT2_T3_mT4_P12ihipStream_tbEUlT_E_NS1_11comp_targetILNS1_3genE5ELNS1_11target_archE942ELNS1_3gpuE9ELNS1_3repE0EEENS1_30default_config_static_selectorELNS0_4arch9wavefront6targetE1EEEvT1_
	.p2align	8
	.type	_ZN7rocprim17ROCPRIM_400000_NS6detail17trampoline_kernelINS0_14default_configENS1_25transform_config_selectorItLb1EEEZNS1_14transform_implILb1ES3_S5_PtS7_NS0_8identityItEEEE10hipError_tT2_T3_mT4_P12ihipStream_tbEUlT_E_NS1_11comp_targetILNS1_3genE5ELNS1_11target_archE942ELNS1_3gpuE9ELNS1_3repE0EEENS1_30default_config_static_selectorELNS0_4arch9wavefront6targetE1EEEvT1_,@function
_ZN7rocprim17ROCPRIM_400000_NS6detail17trampoline_kernelINS0_14default_configENS1_25transform_config_selectorItLb1EEEZNS1_14transform_implILb1ES3_S5_PtS7_NS0_8identityItEEEE10hipError_tT2_T3_mT4_P12ihipStream_tbEUlT_E_NS1_11comp_targetILNS1_3genE5ELNS1_11target_archE942ELNS1_3gpuE9ELNS1_3repE0EEENS1_30default_config_static_selectorELNS0_4arch9wavefront6targetE1EEEvT1_: ; @_ZN7rocprim17ROCPRIM_400000_NS6detail17trampoline_kernelINS0_14default_configENS1_25transform_config_selectorItLb1EEEZNS1_14transform_implILb1ES3_S5_PtS7_NS0_8identityItEEEE10hipError_tT2_T3_mT4_P12ihipStream_tbEUlT_E_NS1_11comp_targetILNS1_3genE5ELNS1_11target_archE942ELNS1_3gpuE9ELNS1_3repE0EEENS1_30default_config_static_selectorELNS0_4arch9wavefront6targetE1EEEvT1_
; %bb.0:
	.section	.rodata,"a",@progbits
	.p2align	6, 0x0
	.amdhsa_kernel _ZN7rocprim17ROCPRIM_400000_NS6detail17trampoline_kernelINS0_14default_configENS1_25transform_config_selectorItLb1EEEZNS1_14transform_implILb1ES3_S5_PtS7_NS0_8identityItEEEE10hipError_tT2_T3_mT4_P12ihipStream_tbEUlT_E_NS1_11comp_targetILNS1_3genE5ELNS1_11target_archE942ELNS1_3gpuE9ELNS1_3repE0EEENS1_30default_config_static_selectorELNS0_4arch9wavefront6targetE1EEEvT1_
		.amdhsa_group_segment_fixed_size 0
		.amdhsa_private_segment_fixed_size 0
		.amdhsa_kernarg_size 40
		.amdhsa_user_sgpr_count 6
		.amdhsa_user_sgpr_private_segment_buffer 1
		.amdhsa_user_sgpr_dispatch_ptr 0
		.amdhsa_user_sgpr_queue_ptr 0
		.amdhsa_user_sgpr_kernarg_segment_ptr 1
		.amdhsa_user_sgpr_dispatch_id 0
		.amdhsa_user_sgpr_flat_scratch_init 0
		.amdhsa_user_sgpr_kernarg_preload_length 0
		.amdhsa_user_sgpr_kernarg_preload_offset 0
		.amdhsa_user_sgpr_private_segment_size 0
		.amdhsa_uses_dynamic_stack 0
		.amdhsa_system_sgpr_private_segment_wavefront_offset 0
		.amdhsa_system_sgpr_workgroup_id_x 1
		.amdhsa_system_sgpr_workgroup_id_y 0
		.amdhsa_system_sgpr_workgroup_id_z 0
		.amdhsa_system_sgpr_workgroup_info 0
		.amdhsa_system_vgpr_workitem_id 0
		.amdhsa_next_free_vgpr 1
		.amdhsa_next_free_sgpr 0
		.amdhsa_accum_offset 4
		.amdhsa_reserve_vcc 0
		.amdhsa_reserve_flat_scratch 0
		.amdhsa_float_round_mode_32 0
		.amdhsa_float_round_mode_16_64 0
		.amdhsa_float_denorm_mode_32 3
		.amdhsa_float_denorm_mode_16_64 3
		.amdhsa_dx10_clamp 1
		.amdhsa_ieee_mode 1
		.amdhsa_fp16_overflow 0
		.amdhsa_tg_split 0
		.amdhsa_exception_fp_ieee_invalid_op 0
		.amdhsa_exception_fp_denorm_src 0
		.amdhsa_exception_fp_ieee_div_zero 0
		.amdhsa_exception_fp_ieee_overflow 0
		.amdhsa_exception_fp_ieee_underflow 0
		.amdhsa_exception_fp_ieee_inexact 0
		.amdhsa_exception_int_div_zero 0
	.end_amdhsa_kernel
	.section	.text._ZN7rocprim17ROCPRIM_400000_NS6detail17trampoline_kernelINS0_14default_configENS1_25transform_config_selectorItLb1EEEZNS1_14transform_implILb1ES3_S5_PtS7_NS0_8identityItEEEE10hipError_tT2_T3_mT4_P12ihipStream_tbEUlT_E_NS1_11comp_targetILNS1_3genE5ELNS1_11target_archE942ELNS1_3gpuE9ELNS1_3repE0EEENS1_30default_config_static_selectorELNS0_4arch9wavefront6targetE1EEEvT1_,"axG",@progbits,_ZN7rocprim17ROCPRIM_400000_NS6detail17trampoline_kernelINS0_14default_configENS1_25transform_config_selectorItLb1EEEZNS1_14transform_implILb1ES3_S5_PtS7_NS0_8identityItEEEE10hipError_tT2_T3_mT4_P12ihipStream_tbEUlT_E_NS1_11comp_targetILNS1_3genE5ELNS1_11target_archE942ELNS1_3gpuE9ELNS1_3repE0EEENS1_30default_config_static_selectorELNS0_4arch9wavefront6targetE1EEEvT1_,comdat
.Lfunc_end2414:
	.size	_ZN7rocprim17ROCPRIM_400000_NS6detail17trampoline_kernelINS0_14default_configENS1_25transform_config_selectorItLb1EEEZNS1_14transform_implILb1ES3_S5_PtS7_NS0_8identityItEEEE10hipError_tT2_T3_mT4_P12ihipStream_tbEUlT_E_NS1_11comp_targetILNS1_3genE5ELNS1_11target_archE942ELNS1_3gpuE9ELNS1_3repE0EEENS1_30default_config_static_selectorELNS0_4arch9wavefront6targetE1EEEvT1_, .Lfunc_end2414-_ZN7rocprim17ROCPRIM_400000_NS6detail17trampoline_kernelINS0_14default_configENS1_25transform_config_selectorItLb1EEEZNS1_14transform_implILb1ES3_S5_PtS7_NS0_8identityItEEEE10hipError_tT2_T3_mT4_P12ihipStream_tbEUlT_E_NS1_11comp_targetILNS1_3genE5ELNS1_11target_archE942ELNS1_3gpuE9ELNS1_3repE0EEENS1_30default_config_static_selectorELNS0_4arch9wavefront6targetE1EEEvT1_
                                        ; -- End function
	.section	.AMDGPU.csdata,"",@progbits
; Kernel info:
; codeLenInByte = 0
; NumSgprs: 4
; NumVgprs: 0
; NumAgprs: 0
; TotalNumVgprs: 0
; ScratchSize: 0
; MemoryBound: 0
; FloatMode: 240
; IeeeMode: 1
; LDSByteSize: 0 bytes/workgroup (compile time only)
; SGPRBlocks: 0
; VGPRBlocks: 0
; NumSGPRsForWavesPerEU: 4
; NumVGPRsForWavesPerEU: 1
; AccumOffset: 4
; Occupancy: 8
; WaveLimiterHint : 0
; COMPUTE_PGM_RSRC2:SCRATCH_EN: 0
; COMPUTE_PGM_RSRC2:USER_SGPR: 6
; COMPUTE_PGM_RSRC2:TRAP_HANDLER: 0
; COMPUTE_PGM_RSRC2:TGID_X_EN: 1
; COMPUTE_PGM_RSRC2:TGID_Y_EN: 0
; COMPUTE_PGM_RSRC2:TGID_Z_EN: 0
; COMPUTE_PGM_RSRC2:TIDIG_COMP_CNT: 0
; COMPUTE_PGM_RSRC3_GFX90A:ACCUM_OFFSET: 0
; COMPUTE_PGM_RSRC3_GFX90A:TG_SPLIT: 0
	.section	.text._ZN7rocprim17ROCPRIM_400000_NS6detail17trampoline_kernelINS0_14default_configENS1_25transform_config_selectorItLb1EEEZNS1_14transform_implILb1ES3_S5_PtS7_NS0_8identityItEEEE10hipError_tT2_T3_mT4_P12ihipStream_tbEUlT_E_NS1_11comp_targetILNS1_3genE4ELNS1_11target_archE910ELNS1_3gpuE8ELNS1_3repE0EEENS1_30default_config_static_selectorELNS0_4arch9wavefront6targetE1EEEvT1_,"axG",@progbits,_ZN7rocprim17ROCPRIM_400000_NS6detail17trampoline_kernelINS0_14default_configENS1_25transform_config_selectorItLb1EEEZNS1_14transform_implILb1ES3_S5_PtS7_NS0_8identityItEEEE10hipError_tT2_T3_mT4_P12ihipStream_tbEUlT_E_NS1_11comp_targetILNS1_3genE4ELNS1_11target_archE910ELNS1_3gpuE8ELNS1_3repE0EEENS1_30default_config_static_selectorELNS0_4arch9wavefront6targetE1EEEvT1_,comdat
	.protected	_ZN7rocprim17ROCPRIM_400000_NS6detail17trampoline_kernelINS0_14default_configENS1_25transform_config_selectorItLb1EEEZNS1_14transform_implILb1ES3_S5_PtS7_NS0_8identityItEEEE10hipError_tT2_T3_mT4_P12ihipStream_tbEUlT_E_NS1_11comp_targetILNS1_3genE4ELNS1_11target_archE910ELNS1_3gpuE8ELNS1_3repE0EEENS1_30default_config_static_selectorELNS0_4arch9wavefront6targetE1EEEvT1_ ; -- Begin function _ZN7rocprim17ROCPRIM_400000_NS6detail17trampoline_kernelINS0_14default_configENS1_25transform_config_selectorItLb1EEEZNS1_14transform_implILb1ES3_S5_PtS7_NS0_8identityItEEEE10hipError_tT2_T3_mT4_P12ihipStream_tbEUlT_E_NS1_11comp_targetILNS1_3genE4ELNS1_11target_archE910ELNS1_3gpuE8ELNS1_3repE0EEENS1_30default_config_static_selectorELNS0_4arch9wavefront6targetE1EEEvT1_
	.globl	_ZN7rocprim17ROCPRIM_400000_NS6detail17trampoline_kernelINS0_14default_configENS1_25transform_config_selectorItLb1EEEZNS1_14transform_implILb1ES3_S5_PtS7_NS0_8identityItEEEE10hipError_tT2_T3_mT4_P12ihipStream_tbEUlT_E_NS1_11comp_targetILNS1_3genE4ELNS1_11target_archE910ELNS1_3gpuE8ELNS1_3repE0EEENS1_30default_config_static_selectorELNS0_4arch9wavefront6targetE1EEEvT1_
	.p2align	8
	.type	_ZN7rocprim17ROCPRIM_400000_NS6detail17trampoline_kernelINS0_14default_configENS1_25transform_config_selectorItLb1EEEZNS1_14transform_implILb1ES3_S5_PtS7_NS0_8identityItEEEE10hipError_tT2_T3_mT4_P12ihipStream_tbEUlT_E_NS1_11comp_targetILNS1_3genE4ELNS1_11target_archE910ELNS1_3gpuE8ELNS1_3repE0EEENS1_30default_config_static_selectorELNS0_4arch9wavefront6targetE1EEEvT1_,@function
_ZN7rocprim17ROCPRIM_400000_NS6detail17trampoline_kernelINS0_14default_configENS1_25transform_config_selectorItLb1EEEZNS1_14transform_implILb1ES3_S5_PtS7_NS0_8identityItEEEE10hipError_tT2_T3_mT4_P12ihipStream_tbEUlT_E_NS1_11comp_targetILNS1_3genE4ELNS1_11target_archE910ELNS1_3gpuE8ELNS1_3repE0EEENS1_30default_config_static_selectorELNS0_4arch9wavefront6targetE1EEEvT1_: ; @_ZN7rocprim17ROCPRIM_400000_NS6detail17trampoline_kernelINS0_14default_configENS1_25transform_config_selectorItLb1EEEZNS1_14transform_implILb1ES3_S5_PtS7_NS0_8identityItEEEE10hipError_tT2_T3_mT4_P12ihipStream_tbEUlT_E_NS1_11comp_targetILNS1_3genE4ELNS1_11target_archE910ELNS1_3gpuE8ELNS1_3repE0EEENS1_30default_config_static_selectorELNS0_4arch9wavefront6targetE1EEEvT1_
; %bb.0:
	s_load_dwordx8 s[8:15], s[4:5], 0x0
	s_load_dword s2, s[4:5], 0x28
	s_waitcnt lgkmcnt(0)
	s_lshl_b64 s[0:1], s[10:11], 1
	s_add_u32 s3, s8, s0
	s_addc_u32 s4, s9, s1
	s_add_u32 s20, s14, s0
	s_addc_u32 s21, s15, s1
	s_lshl_b32 s0, s6, 13
	s_mov_b32 s1, 0
	s_add_i32 s2, s2, -1
	s_lshl_b64 s[14:15], s[0:1], 1
	s_add_u32 s16, s3, s14
	s_addc_u32 s17, s4, s15
	s_cmp_lg_u32 s6, s2
	s_mov_b64 s[2:3], -1
	s_cbranch_scc0 .LBB2415_2
; %bb.1:
	v_lshlrev_b32_e32 v1, 4, v0
	global_load_dwordx4 v[2:5], v1, s[16:17]
	s_add_u32 s2, s20, s14
	s_addc_u32 s3, s21, s15
	s_waitcnt vmcnt(0)
	global_store_dwordx4 v1, v[2:5], s[2:3]
	s_mov_b64 s[2:3], 0
.LBB2415_2:
	s_andn2_b64 vcc, exec, s[2:3]
	s_cbranch_vccnz .LBB2415_31
; %bb.3:
	s_sub_i32 s18, s12, s0
	v_cmp_gt_u32_e32 vcc, s18, v0
	v_lshlrev_b32_e32 v1, 1, v0
                                        ; implicit-def: $vgpr2_vgpr3_vgpr4_vgpr5
	s_and_saveexec_b64 s[0:1], vcc
	s_cbranch_execz .LBB2415_5
; %bb.4:
	global_load_ushort v2, v1, s[16:17]
.LBB2415_5:
	s_or_b64 exec, exec, s[0:1]
	v_or_b32_e32 v6, 0x400, v0
	v_cmp_gt_u32_e64 s[0:1], s18, v6
	s_and_saveexec_b64 s[2:3], s[0:1]
	s_cbranch_execz .LBB2415_7
; %bb.6:
	global_load_ushort v6, v1, s[16:17] offset:2048
	s_mov_b32 s4, 0x5040100
	s_waitcnt vmcnt(0)
	v_perm_b32 v2, v6, v2, s4
.LBB2415_7:
	s_or_b64 exec, exec, s[2:3]
	v_or_b32_e32 v6, 0x800, v0
	v_cmp_gt_u32_e64 s[2:3], s18, v6
	s_and_saveexec_b64 s[4:5], s[2:3]
	s_cbranch_execz .LBB2415_9
; %bb.8:
	v_lshlrev_b32_e32 v6, 1, v6
	global_load_ushort v6, v6, s[16:17]
	s_mov_b32 s6, 0xffff
	s_waitcnt vmcnt(0)
	v_bfi_b32 v3, s6, v6, v3
.LBB2415_9:
	s_or_b64 exec, exec, s[4:5]
	v_or_b32_e32 v6, 0xc00, v0
	v_cmp_gt_u32_e64 s[4:5], s18, v6
	s_and_saveexec_b64 s[6:7], s[4:5]
	s_cbranch_execz .LBB2415_11
; %bb.10:
	v_lshlrev_b32_e32 v6, 1, v6
	global_load_ushort v6, v6, s[16:17]
	s_mov_b32 s8, 0x5040100
	s_waitcnt vmcnt(0)
	v_perm_b32 v3, v6, v3, s8
.LBB2415_11:
	s_or_b64 exec, exec, s[6:7]
	v_or_b32_e32 v6, 0x1000, v0
	v_cmp_gt_u32_e64 s[6:7], s18, v6
	s_and_saveexec_b64 s[8:9], s[6:7]
	s_cbranch_execz .LBB2415_13
; %bb.12:
	v_lshlrev_b32_e32 v6, 1, v6
	global_load_ushort v6, v6, s[16:17]
	s_mov_b32 s10, 0xffff
	s_waitcnt vmcnt(0)
	v_bfi_b32 v4, s10, v6, v4
.LBB2415_13:
	s_or_b64 exec, exec, s[8:9]
	v_or_b32_e32 v6, 0x1400, v0
	v_cmp_gt_u32_e64 s[8:9], s18, v6
	s_and_saveexec_b64 s[10:11], s[8:9]
	s_cbranch_execz .LBB2415_15
; %bb.14:
	v_lshlrev_b32_e32 v6, 1, v6
	global_load_ushort v6, v6, s[16:17]
	s_mov_b32 s12, 0x5040100
	s_waitcnt vmcnt(0)
	v_perm_b32 v4, v6, v4, s12
.LBB2415_15:
	;; [unrolled: 24-line block ×3, first 2 shown]
	s_or_b64 exec, exec, s[18:19]
	s_add_u32 s14, s20, s14
	s_addc_u32 s15, s21, s15
	v_mov_b32_e32 v6, s15
	v_add_co_u32_e64 v0, s[14:15], s14, v1
	v_addc_co_u32_e64 v1, s[14:15], 0, v6, s[14:15]
	s_and_saveexec_b64 s[14:15], vcc
	s_cbranch_execnz .LBB2415_32
; %bb.20:
	s_or_b64 exec, exec, s[14:15]
	s_and_saveexec_b64 s[14:15], s[0:1]
	s_cbranch_execnz .LBB2415_33
.LBB2415_21:
	s_or_b64 exec, exec, s[14:15]
	s_mov_b32 s14, 0xffff
	s_and_saveexec_b64 s[0:1], s[2:3]
	s_cbranch_execz .LBB2415_23
.LBB2415_22:
	v_add_co_u32_e32 v6, vcc, 0x1000, v0
	v_addc_co_u32_e32 v7, vcc, 0, v1, vcc
	global_store_short v[6:7], v3, off
.LBB2415_23:
	s_or_b64 exec, exec, s[0:1]
	s_waitcnt vmcnt(0)
	v_bfi_b32 v2, s14, v3, v3
	v_cndmask_b32_e64 v2, v2, v3, s[4:5]
	s_and_saveexec_b64 s[0:1], s[4:5]
	s_cbranch_execz .LBB2415_25
; %bb.24:
	v_add_co_u32_e32 v6, vcc, 0x1000, v0
	v_addc_co_u32_e32 v7, vcc, 0, v1, vcc
	global_store_short_d16_hi v[6:7], v2, off offset:2048
.LBB2415_25:
	s_or_b64 exec, exec, s[0:1]
	s_mov_b32 s2, 0xffff
	v_cndmask_b32_e64 v2, v4, v4, s[6:7]
	s_and_saveexec_b64 s[0:1], s[6:7]
	s_cbranch_execz .LBB2415_27
; %bb.26:
	v_add_co_u32_e32 v6, vcc, 0x2000, v0
	v_addc_co_u32_e32 v7, vcc, 0, v1, vcc
	global_store_short v[6:7], v2, off
.LBB2415_27:
	s_or_b64 exec, exec, s[0:1]
	v_bfi_b32 v2, s2, v2, v4
	v_cndmask_b32_e64 v2, v2, v4, s[8:9]
	s_and_saveexec_b64 s[0:1], s[8:9]
	s_cbranch_execnz .LBB2415_34
; %bb.28:
	s_or_b64 exec, exec, s[0:1]
	s_and_saveexec_b64 s[0:1], s[10:11]
	s_cbranch_execnz .LBB2415_35
.LBB2415_29:
	s_or_b64 exec, exec, s[0:1]
	s_and_saveexec_b64 s[0:1], s[12:13]
	s_cbranch_execz .LBB2415_31
.LBB2415_30:
	v_add_co_u32_e32 v0, vcc, 0x3000, v0
	v_cndmask_b32_e64 v2, v5, v5, s[12:13]
	v_addc_co_u32_e32 v1, vcc, 0, v1, vcc
	global_store_short_d16_hi v[0:1], v2, off offset:2048
.LBB2415_31:
	s_endpgm
.LBB2415_32:
	s_waitcnt vmcnt(0)
	global_store_short v[0:1], v2, off
	s_or_b64 exec, exec, s[14:15]
	s_and_saveexec_b64 s[14:15], s[0:1]
	s_cbranch_execz .LBB2415_21
.LBB2415_33:
	s_waitcnt vmcnt(0)
	global_store_short_d16_hi v[0:1], v2, off offset:2048
	s_or_b64 exec, exec, s[14:15]
	s_mov_b32 s14, 0xffff
	s_and_saveexec_b64 s[0:1], s[2:3]
	s_cbranch_execnz .LBB2415_22
	s_branch .LBB2415_23
.LBB2415_34:
	v_add_co_u32_e32 v6, vcc, 0x2000, v0
	v_addc_co_u32_e32 v7, vcc, 0, v1, vcc
	global_store_short_d16_hi v[6:7], v2, off offset:2048
	s_or_b64 exec, exec, s[0:1]
	s_and_saveexec_b64 s[0:1], s[10:11]
	s_cbranch_execz .LBB2415_29
.LBB2415_35:
	v_add_co_u32_e32 v2, vcc, 0x3000, v0
	v_cndmask_b32_e64 v4, v5, v5, s[10:11]
	v_addc_co_u32_e32 v3, vcc, 0, v1, vcc
	global_store_short v[2:3], v4, off
	s_or_b64 exec, exec, s[0:1]
	s_and_saveexec_b64 s[0:1], s[12:13]
	s_cbranch_execnz .LBB2415_30
	s_branch .LBB2415_31
	.section	.rodata,"a",@progbits
	.p2align	6, 0x0
	.amdhsa_kernel _ZN7rocprim17ROCPRIM_400000_NS6detail17trampoline_kernelINS0_14default_configENS1_25transform_config_selectorItLb1EEEZNS1_14transform_implILb1ES3_S5_PtS7_NS0_8identityItEEEE10hipError_tT2_T3_mT4_P12ihipStream_tbEUlT_E_NS1_11comp_targetILNS1_3genE4ELNS1_11target_archE910ELNS1_3gpuE8ELNS1_3repE0EEENS1_30default_config_static_selectorELNS0_4arch9wavefront6targetE1EEEvT1_
		.amdhsa_group_segment_fixed_size 0
		.amdhsa_private_segment_fixed_size 0
		.amdhsa_kernarg_size 296
		.amdhsa_user_sgpr_count 6
		.amdhsa_user_sgpr_private_segment_buffer 1
		.amdhsa_user_sgpr_dispatch_ptr 0
		.amdhsa_user_sgpr_queue_ptr 0
		.amdhsa_user_sgpr_kernarg_segment_ptr 1
		.amdhsa_user_sgpr_dispatch_id 0
		.amdhsa_user_sgpr_flat_scratch_init 0
		.amdhsa_user_sgpr_kernarg_preload_length 0
		.amdhsa_user_sgpr_kernarg_preload_offset 0
		.amdhsa_user_sgpr_private_segment_size 0
		.amdhsa_uses_dynamic_stack 0
		.amdhsa_system_sgpr_private_segment_wavefront_offset 0
		.amdhsa_system_sgpr_workgroup_id_x 1
		.amdhsa_system_sgpr_workgroup_id_y 0
		.amdhsa_system_sgpr_workgroup_id_z 0
		.amdhsa_system_sgpr_workgroup_info 0
		.amdhsa_system_vgpr_workitem_id 0
		.amdhsa_next_free_vgpr 8
		.amdhsa_next_free_sgpr 22
		.amdhsa_accum_offset 8
		.amdhsa_reserve_vcc 1
		.amdhsa_reserve_flat_scratch 0
		.amdhsa_float_round_mode_32 0
		.amdhsa_float_round_mode_16_64 0
		.amdhsa_float_denorm_mode_32 3
		.amdhsa_float_denorm_mode_16_64 3
		.amdhsa_dx10_clamp 1
		.amdhsa_ieee_mode 1
		.amdhsa_fp16_overflow 0
		.amdhsa_tg_split 0
		.amdhsa_exception_fp_ieee_invalid_op 0
		.amdhsa_exception_fp_denorm_src 0
		.amdhsa_exception_fp_ieee_div_zero 0
		.amdhsa_exception_fp_ieee_overflow 0
		.amdhsa_exception_fp_ieee_underflow 0
		.amdhsa_exception_fp_ieee_inexact 0
		.amdhsa_exception_int_div_zero 0
	.end_amdhsa_kernel
	.section	.text._ZN7rocprim17ROCPRIM_400000_NS6detail17trampoline_kernelINS0_14default_configENS1_25transform_config_selectorItLb1EEEZNS1_14transform_implILb1ES3_S5_PtS7_NS0_8identityItEEEE10hipError_tT2_T3_mT4_P12ihipStream_tbEUlT_E_NS1_11comp_targetILNS1_3genE4ELNS1_11target_archE910ELNS1_3gpuE8ELNS1_3repE0EEENS1_30default_config_static_selectorELNS0_4arch9wavefront6targetE1EEEvT1_,"axG",@progbits,_ZN7rocprim17ROCPRIM_400000_NS6detail17trampoline_kernelINS0_14default_configENS1_25transform_config_selectorItLb1EEEZNS1_14transform_implILb1ES3_S5_PtS7_NS0_8identityItEEEE10hipError_tT2_T3_mT4_P12ihipStream_tbEUlT_E_NS1_11comp_targetILNS1_3genE4ELNS1_11target_archE910ELNS1_3gpuE8ELNS1_3repE0EEENS1_30default_config_static_selectorELNS0_4arch9wavefront6targetE1EEEvT1_,comdat
.Lfunc_end2415:
	.size	_ZN7rocprim17ROCPRIM_400000_NS6detail17trampoline_kernelINS0_14default_configENS1_25transform_config_selectorItLb1EEEZNS1_14transform_implILb1ES3_S5_PtS7_NS0_8identityItEEEE10hipError_tT2_T3_mT4_P12ihipStream_tbEUlT_E_NS1_11comp_targetILNS1_3genE4ELNS1_11target_archE910ELNS1_3gpuE8ELNS1_3repE0EEENS1_30default_config_static_selectorELNS0_4arch9wavefront6targetE1EEEvT1_, .Lfunc_end2415-_ZN7rocprim17ROCPRIM_400000_NS6detail17trampoline_kernelINS0_14default_configENS1_25transform_config_selectorItLb1EEEZNS1_14transform_implILb1ES3_S5_PtS7_NS0_8identityItEEEE10hipError_tT2_T3_mT4_P12ihipStream_tbEUlT_E_NS1_11comp_targetILNS1_3genE4ELNS1_11target_archE910ELNS1_3gpuE8ELNS1_3repE0EEENS1_30default_config_static_selectorELNS0_4arch9wavefront6targetE1EEEvT1_
                                        ; -- End function
	.section	.AMDGPU.csdata,"",@progbits
; Kernel info:
; codeLenInByte = 976
; NumSgprs: 26
; NumVgprs: 8
; NumAgprs: 0
; TotalNumVgprs: 8
; ScratchSize: 0
; MemoryBound: 1
; FloatMode: 240
; IeeeMode: 1
; LDSByteSize: 0 bytes/workgroup (compile time only)
; SGPRBlocks: 3
; VGPRBlocks: 0
; NumSGPRsForWavesPerEU: 26
; NumVGPRsForWavesPerEU: 8
; AccumOffset: 8
; Occupancy: 8
; WaveLimiterHint : 0
; COMPUTE_PGM_RSRC2:SCRATCH_EN: 0
; COMPUTE_PGM_RSRC2:USER_SGPR: 6
; COMPUTE_PGM_RSRC2:TRAP_HANDLER: 0
; COMPUTE_PGM_RSRC2:TGID_X_EN: 1
; COMPUTE_PGM_RSRC2:TGID_Y_EN: 0
; COMPUTE_PGM_RSRC2:TGID_Z_EN: 0
; COMPUTE_PGM_RSRC2:TIDIG_COMP_CNT: 0
; COMPUTE_PGM_RSRC3_GFX90A:ACCUM_OFFSET: 1
; COMPUTE_PGM_RSRC3_GFX90A:TG_SPLIT: 0
	.section	.text._ZN7rocprim17ROCPRIM_400000_NS6detail17trampoline_kernelINS0_14default_configENS1_25transform_config_selectorItLb1EEEZNS1_14transform_implILb1ES3_S5_PtS7_NS0_8identityItEEEE10hipError_tT2_T3_mT4_P12ihipStream_tbEUlT_E_NS1_11comp_targetILNS1_3genE3ELNS1_11target_archE908ELNS1_3gpuE7ELNS1_3repE0EEENS1_30default_config_static_selectorELNS0_4arch9wavefront6targetE1EEEvT1_,"axG",@progbits,_ZN7rocprim17ROCPRIM_400000_NS6detail17trampoline_kernelINS0_14default_configENS1_25transform_config_selectorItLb1EEEZNS1_14transform_implILb1ES3_S5_PtS7_NS0_8identityItEEEE10hipError_tT2_T3_mT4_P12ihipStream_tbEUlT_E_NS1_11comp_targetILNS1_3genE3ELNS1_11target_archE908ELNS1_3gpuE7ELNS1_3repE0EEENS1_30default_config_static_selectorELNS0_4arch9wavefront6targetE1EEEvT1_,comdat
	.protected	_ZN7rocprim17ROCPRIM_400000_NS6detail17trampoline_kernelINS0_14default_configENS1_25transform_config_selectorItLb1EEEZNS1_14transform_implILb1ES3_S5_PtS7_NS0_8identityItEEEE10hipError_tT2_T3_mT4_P12ihipStream_tbEUlT_E_NS1_11comp_targetILNS1_3genE3ELNS1_11target_archE908ELNS1_3gpuE7ELNS1_3repE0EEENS1_30default_config_static_selectorELNS0_4arch9wavefront6targetE1EEEvT1_ ; -- Begin function _ZN7rocprim17ROCPRIM_400000_NS6detail17trampoline_kernelINS0_14default_configENS1_25transform_config_selectorItLb1EEEZNS1_14transform_implILb1ES3_S5_PtS7_NS0_8identityItEEEE10hipError_tT2_T3_mT4_P12ihipStream_tbEUlT_E_NS1_11comp_targetILNS1_3genE3ELNS1_11target_archE908ELNS1_3gpuE7ELNS1_3repE0EEENS1_30default_config_static_selectorELNS0_4arch9wavefront6targetE1EEEvT1_
	.globl	_ZN7rocprim17ROCPRIM_400000_NS6detail17trampoline_kernelINS0_14default_configENS1_25transform_config_selectorItLb1EEEZNS1_14transform_implILb1ES3_S5_PtS7_NS0_8identityItEEEE10hipError_tT2_T3_mT4_P12ihipStream_tbEUlT_E_NS1_11comp_targetILNS1_3genE3ELNS1_11target_archE908ELNS1_3gpuE7ELNS1_3repE0EEENS1_30default_config_static_selectorELNS0_4arch9wavefront6targetE1EEEvT1_
	.p2align	8
	.type	_ZN7rocprim17ROCPRIM_400000_NS6detail17trampoline_kernelINS0_14default_configENS1_25transform_config_selectorItLb1EEEZNS1_14transform_implILb1ES3_S5_PtS7_NS0_8identityItEEEE10hipError_tT2_T3_mT4_P12ihipStream_tbEUlT_E_NS1_11comp_targetILNS1_3genE3ELNS1_11target_archE908ELNS1_3gpuE7ELNS1_3repE0EEENS1_30default_config_static_selectorELNS0_4arch9wavefront6targetE1EEEvT1_,@function
_ZN7rocprim17ROCPRIM_400000_NS6detail17trampoline_kernelINS0_14default_configENS1_25transform_config_selectorItLb1EEEZNS1_14transform_implILb1ES3_S5_PtS7_NS0_8identityItEEEE10hipError_tT2_T3_mT4_P12ihipStream_tbEUlT_E_NS1_11comp_targetILNS1_3genE3ELNS1_11target_archE908ELNS1_3gpuE7ELNS1_3repE0EEENS1_30default_config_static_selectorELNS0_4arch9wavefront6targetE1EEEvT1_: ; @_ZN7rocprim17ROCPRIM_400000_NS6detail17trampoline_kernelINS0_14default_configENS1_25transform_config_selectorItLb1EEEZNS1_14transform_implILb1ES3_S5_PtS7_NS0_8identityItEEEE10hipError_tT2_T3_mT4_P12ihipStream_tbEUlT_E_NS1_11comp_targetILNS1_3genE3ELNS1_11target_archE908ELNS1_3gpuE7ELNS1_3repE0EEENS1_30default_config_static_selectorELNS0_4arch9wavefront6targetE1EEEvT1_
; %bb.0:
	.section	.rodata,"a",@progbits
	.p2align	6, 0x0
	.amdhsa_kernel _ZN7rocprim17ROCPRIM_400000_NS6detail17trampoline_kernelINS0_14default_configENS1_25transform_config_selectorItLb1EEEZNS1_14transform_implILb1ES3_S5_PtS7_NS0_8identityItEEEE10hipError_tT2_T3_mT4_P12ihipStream_tbEUlT_E_NS1_11comp_targetILNS1_3genE3ELNS1_11target_archE908ELNS1_3gpuE7ELNS1_3repE0EEENS1_30default_config_static_selectorELNS0_4arch9wavefront6targetE1EEEvT1_
		.amdhsa_group_segment_fixed_size 0
		.amdhsa_private_segment_fixed_size 0
		.amdhsa_kernarg_size 40
		.amdhsa_user_sgpr_count 6
		.amdhsa_user_sgpr_private_segment_buffer 1
		.amdhsa_user_sgpr_dispatch_ptr 0
		.amdhsa_user_sgpr_queue_ptr 0
		.amdhsa_user_sgpr_kernarg_segment_ptr 1
		.amdhsa_user_sgpr_dispatch_id 0
		.amdhsa_user_sgpr_flat_scratch_init 0
		.amdhsa_user_sgpr_kernarg_preload_length 0
		.amdhsa_user_sgpr_kernarg_preload_offset 0
		.amdhsa_user_sgpr_private_segment_size 0
		.amdhsa_uses_dynamic_stack 0
		.amdhsa_system_sgpr_private_segment_wavefront_offset 0
		.amdhsa_system_sgpr_workgroup_id_x 1
		.amdhsa_system_sgpr_workgroup_id_y 0
		.amdhsa_system_sgpr_workgroup_id_z 0
		.amdhsa_system_sgpr_workgroup_info 0
		.amdhsa_system_vgpr_workitem_id 0
		.amdhsa_next_free_vgpr 1
		.amdhsa_next_free_sgpr 0
		.amdhsa_accum_offset 4
		.amdhsa_reserve_vcc 0
		.amdhsa_reserve_flat_scratch 0
		.amdhsa_float_round_mode_32 0
		.amdhsa_float_round_mode_16_64 0
		.amdhsa_float_denorm_mode_32 3
		.amdhsa_float_denorm_mode_16_64 3
		.amdhsa_dx10_clamp 1
		.amdhsa_ieee_mode 1
		.amdhsa_fp16_overflow 0
		.amdhsa_tg_split 0
		.amdhsa_exception_fp_ieee_invalid_op 0
		.amdhsa_exception_fp_denorm_src 0
		.amdhsa_exception_fp_ieee_div_zero 0
		.amdhsa_exception_fp_ieee_overflow 0
		.amdhsa_exception_fp_ieee_underflow 0
		.amdhsa_exception_fp_ieee_inexact 0
		.amdhsa_exception_int_div_zero 0
	.end_amdhsa_kernel
	.section	.text._ZN7rocprim17ROCPRIM_400000_NS6detail17trampoline_kernelINS0_14default_configENS1_25transform_config_selectorItLb1EEEZNS1_14transform_implILb1ES3_S5_PtS7_NS0_8identityItEEEE10hipError_tT2_T3_mT4_P12ihipStream_tbEUlT_E_NS1_11comp_targetILNS1_3genE3ELNS1_11target_archE908ELNS1_3gpuE7ELNS1_3repE0EEENS1_30default_config_static_selectorELNS0_4arch9wavefront6targetE1EEEvT1_,"axG",@progbits,_ZN7rocprim17ROCPRIM_400000_NS6detail17trampoline_kernelINS0_14default_configENS1_25transform_config_selectorItLb1EEEZNS1_14transform_implILb1ES3_S5_PtS7_NS0_8identityItEEEE10hipError_tT2_T3_mT4_P12ihipStream_tbEUlT_E_NS1_11comp_targetILNS1_3genE3ELNS1_11target_archE908ELNS1_3gpuE7ELNS1_3repE0EEENS1_30default_config_static_selectorELNS0_4arch9wavefront6targetE1EEEvT1_,comdat
.Lfunc_end2416:
	.size	_ZN7rocprim17ROCPRIM_400000_NS6detail17trampoline_kernelINS0_14default_configENS1_25transform_config_selectorItLb1EEEZNS1_14transform_implILb1ES3_S5_PtS7_NS0_8identityItEEEE10hipError_tT2_T3_mT4_P12ihipStream_tbEUlT_E_NS1_11comp_targetILNS1_3genE3ELNS1_11target_archE908ELNS1_3gpuE7ELNS1_3repE0EEENS1_30default_config_static_selectorELNS0_4arch9wavefront6targetE1EEEvT1_, .Lfunc_end2416-_ZN7rocprim17ROCPRIM_400000_NS6detail17trampoline_kernelINS0_14default_configENS1_25transform_config_selectorItLb1EEEZNS1_14transform_implILb1ES3_S5_PtS7_NS0_8identityItEEEE10hipError_tT2_T3_mT4_P12ihipStream_tbEUlT_E_NS1_11comp_targetILNS1_3genE3ELNS1_11target_archE908ELNS1_3gpuE7ELNS1_3repE0EEENS1_30default_config_static_selectorELNS0_4arch9wavefront6targetE1EEEvT1_
                                        ; -- End function
	.section	.AMDGPU.csdata,"",@progbits
; Kernel info:
; codeLenInByte = 0
; NumSgprs: 4
; NumVgprs: 0
; NumAgprs: 0
; TotalNumVgprs: 0
; ScratchSize: 0
; MemoryBound: 0
; FloatMode: 240
; IeeeMode: 1
; LDSByteSize: 0 bytes/workgroup (compile time only)
; SGPRBlocks: 0
; VGPRBlocks: 0
; NumSGPRsForWavesPerEU: 4
; NumVGPRsForWavesPerEU: 1
; AccumOffset: 4
; Occupancy: 8
; WaveLimiterHint : 0
; COMPUTE_PGM_RSRC2:SCRATCH_EN: 0
; COMPUTE_PGM_RSRC2:USER_SGPR: 6
; COMPUTE_PGM_RSRC2:TRAP_HANDLER: 0
; COMPUTE_PGM_RSRC2:TGID_X_EN: 1
; COMPUTE_PGM_RSRC2:TGID_Y_EN: 0
; COMPUTE_PGM_RSRC2:TGID_Z_EN: 0
; COMPUTE_PGM_RSRC2:TIDIG_COMP_CNT: 0
; COMPUTE_PGM_RSRC3_GFX90A:ACCUM_OFFSET: 0
; COMPUTE_PGM_RSRC3_GFX90A:TG_SPLIT: 0
	.section	.text._ZN7rocprim17ROCPRIM_400000_NS6detail17trampoline_kernelINS0_14default_configENS1_25transform_config_selectorItLb1EEEZNS1_14transform_implILb1ES3_S5_PtS7_NS0_8identityItEEEE10hipError_tT2_T3_mT4_P12ihipStream_tbEUlT_E_NS1_11comp_targetILNS1_3genE2ELNS1_11target_archE906ELNS1_3gpuE6ELNS1_3repE0EEENS1_30default_config_static_selectorELNS0_4arch9wavefront6targetE1EEEvT1_,"axG",@progbits,_ZN7rocprim17ROCPRIM_400000_NS6detail17trampoline_kernelINS0_14default_configENS1_25transform_config_selectorItLb1EEEZNS1_14transform_implILb1ES3_S5_PtS7_NS0_8identityItEEEE10hipError_tT2_T3_mT4_P12ihipStream_tbEUlT_E_NS1_11comp_targetILNS1_3genE2ELNS1_11target_archE906ELNS1_3gpuE6ELNS1_3repE0EEENS1_30default_config_static_selectorELNS0_4arch9wavefront6targetE1EEEvT1_,comdat
	.protected	_ZN7rocprim17ROCPRIM_400000_NS6detail17trampoline_kernelINS0_14default_configENS1_25transform_config_selectorItLb1EEEZNS1_14transform_implILb1ES3_S5_PtS7_NS0_8identityItEEEE10hipError_tT2_T3_mT4_P12ihipStream_tbEUlT_E_NS1_11comp_targetILNS1_3genE2ELNS1_11target_archE906ELNS1_3gpuE6ELNS1_3repE0EEENS1_30default_config_static_selectorELNS0_4arch9wavefront6targetE1EEEvT1_ ; -- Begin function _ZN7rocprim17ROCPRIM_400000_NS6detail17trampoline_kernelINS0_14default_configENS1_25transform_config_selectorItLb1EEEZNS1_14transform_implILb1ES3_S5_PtS7_NS0_8identityItEEEE10hipError_tT2_T3_mT4_P12ihipStream_tbEUlT_E_NS1_11comp_targetILNS1_3genE2ELNS1_11target_archE906ELNS1_3gpuE6ELNS1_3repE0EEENS1_30default_config_static_selectorELNS0_4arch9wavefront6targetE1EEEvT1_
	.globl	_ZN7rocprim17ROCPRIM_400000_NS6detail17trampoline_kernelINS0_14default_configENS1_25transform_config_selectorItLb1EEEZNS1_14transform_implILb1ES3_S5_PtS7_NS0_8identityItEEEE10hipError_tT2_T3_mT4_P12ihipStream_tbEUlT_E_NS1_11comp_targetILNS1_3genE2ELNS1_11target_archE906ELNS1_3gpuE6ELNS1_3repE0EEENS1_30default_config_static_selectorELNS0_4arch9wavefront6targetE1EEEvT1_
	.p2align	8
	.type	_ZN7rocprim17ROCPRIM_400000_NS6detail17trampoline_kernelINS0_14default_configENS1_25transform_config_selectorItLb1EEEZNS1_14transform_implILb1ES3_S5_PtS7_NS0_8identityItEEEE10hipError_tT2_T3_mT4_P12ihipStream_tbEUlT_E_NS1_11comp_targetILNS1_3genE2ELNS1_11target_archE906ELNS1_3gpuE6ELNS1_3repE0EEENS1_30default_config_static_selectorELNS0_4arch9wavefront6targetE1EEEvT1_,@function
_ZN7rocprim17ROCPRIM_400000_NS6detail17trampoline_kernelINS0_14default_configENS1_25transform_config_selectorItLb1EEEZNS1_14transform_implILb1ES3_S5_PtS7_NS0_8identityItEEEE10hipError_tT2_T3_mT4_P12ihipStream_tbEUlT_E_NS1_11comp_targetILNS1_3genE2ELNS1_11target_archE906ELNS1_3gpuE6ELNS1_3repE0EEENS1_30default_config_static_selectorELNS0_4arch9wavefront6targetE1EEEvT1_: ; @_ZN7rocprim17ROCPRIM_400000_NS6detail17trampoline_kernelINS0_14default_configENS1_25transform_config_selectorItLb1EEEZNS1_14transform_implILb1ES3_S5_PtS7_NS0_8identityItEEEE10hipError_tT2_T3_mT4_P12ihipStream_tbEUlT_E_NS1_11comp_targetILNS1_3genE2ELNS1_11target_archE906ELNS1_3gpuE6ELNS1_3repE0EEENS1_30default_config_static_selectorELNS0_4arch9wavefront6targetE1EEEvT1_
; %bb.0:
	.section	.rodata,"a",@progbits
	.p2align	6, 0x0
	.amdhsa_kernel _ZN7rocprim17ROCPRIM_400000_NS6detail17trampoline_kernelINS0_14default_configENS1_25transform_config_selectorItLb1EEEZNS1_14transform_implILb1ES3_S5_PtS7_NS0_8identityItEEEE10hipError_tT2_T3_mT4_P12ihipStream_tbEUlT_E_NS1_11comp_targetILNS1_3genE2ELNS1_11target_archE906ELNS1_3gpuE6ELNS1_3repE0EEENS1_30default_config_static_selectorELNS0_4arch9wavefront6targetE1EEEvT1_
		.amdhsa_group_segment_fixed_size 0
		.amdhsa_private_segment_fixed_size 0
		.amdhsa_kernarg_size 40
		.amdhsa_user_sgpr_count 6
		.amdhsa_user_sgpr_private_segment_buffer 1
		.amdhsa_user_sgpr_dispatch_ptr 0
		.amdhsa_user_sgpr_queue_ptr 0
		.amdhsa_user_sgpr_kernarg_segment_ptr 1
		.amdhsa_user_sgpr_dispatch_id 0
		.amdhsa_user_sgpr_flat_scratch_init 0
		.amdhsa_user_sgpr_kernarg_preload_length 0
		.amdhsa_user_sgpr_kernarg_preload_offset 0
		.amdhsa_user_sgpr_private_segment_size 0
		.amdhsa_uses_dynamic_stack 0
		.amdhsa_system_sgpr_private_segment_wavefront_offset 0
		.amdhsa_system_sgpr_workgroup_id_x 1
		.amdhsa_system_sgpr_workgroup_id_y 0
		.amdhsa_system_sgpr_workgroup_id_z 0
		.amdhsa_system_sgpr_workgroup_info 0
		.amdhsa_system_vgpr_workitem_id 0
		.amdhsa_next_free_vgpr 1
		.amdhsa_next_free_sgpr 0
		.amdhsa_accum_offset 4
		.amdhsa_reserve_vcc 0
		.amdhsa_reserve_flat_scratch 0
		.amdhsa_float_round_mode_32 0
		.amdhsa_float_round_mode_16_64 0
		.amdhsa_float_denorm_mode_32 3
		.amdhsa_float_denorm_mode_16_64 3
		.amdhsa_dx10_clamp 1
		.amdhsa_ieee_mode 1
		.amdhsa_fp16_overflow 0
		.amdhsa_tg_split 0
		.amdhsa_exception_fp_ieee_invalid_op 0
		.amdhsa_exception_fp_denorm_src 0
		.amdhsa_exception_fp_ieee_div_zero 0
		.amdhsa_exception_fp_ieee_overflow 0
		.amdhsa_exception_fp_ieee_underflow 0
		.amdhsa_exception_fp_ieee_inexact 0
		.amdhsa_exception_int_div_zero 0
	.end_amdhsa_kernel
	.section	.text._ZN7rocprim17ROCPRIM_400000_NS6detail17trampoline_kernelINS0_14default_configENS1_25transform_config_selectorItLb1EEEZNS1_14transform_implILb1ES3_S5_PtS7_NS0_8identityItEEEE10hipError_tT2_T3_mT4_P12ihipStream_tbEUlT_E_NS1_11comp_targetILNS1_3genE2ELNS1_11target_archE906ELNS1_3gpuE6ELNS1_3repE0EEENS1_30default_config_static_selectorELNS0_4arch9wavefront6targetE1EEEvT1_,"axG",@progbits,_ZN7rocprim17ROCPRIM_400000_NS6detail17trampoline_kernelINS0_14default_configENS1_25transform_config_selectorItLb1EEEZNS1_14transform_implILb1ES3_S5_PtS7_NS0_8identityItEEEE10hipError_tT2_T3_mT4_P12ihipStream_tbEUlT_E_NS1_11comp_targetILNS1_3genE2ELNS1_11target_archE906ELNS1_3gpuE6ELNS1_3repE0EEENS1_30default_config_static_selectorELNS0_4arch9wavefront6targetE1EEEvT1_,comdat
.Lfunc_end2417:
	.size	_ZN7rocprim17ROCPRIM_400000_NS6detail17trampoline_kernelINS0_14default_configENS1_25transform_config_selectorItLb1EEEZNS1_14transform_implILb1ES3_S5_PtS7_NS0_8identityItEEEE10hipError_tT2_T3_mT4_P12ihipStream_tbEUlT_E_NS1_11comp_targetILNS1_3genE2ELNS1_11target_archE906ELNS1_3gpuE6ELNS1_3repE0EEENS1_30default_config_static_selectorELNS0_4arch9wavefront6targetE1EEEvT1_, .Lfunc_end2417-_ZN7rocprim17ROCPRIM_400000_NS6detail17trampoline_kernelINS0_14default_configENS1_25transform_config_selectorItLb1EEEZNS1_14transform_implILb1ES3_S5_PtS7_NS0_8identityItEEEE10hipError_tT2_T3_mT4_P12ihipStream_tbEUlT_E_NS1_11comp_targetILNS1_3genE2ELNS1_11target_archE906ELNS1_3gpuE6ELNS1_3repE0EEENS1_30default_config_static_selectorELNS0_4arch9wavefront6targetE1EEEvT1_
                                        ; -- End function
	.section	.AMDGPU.csdata,"",@progbits
; Kernel info:
; codeLenInByte = 0
; NumSgprs: 4
; NumVgprs: 0
; NumAgprs: 0
; TotalNumVgprs: 0
; ScratchSize: 0
; MemoryBound: 0
; FloatMode: 240
; IeeeMode: 1
; LDSByteSize: 0 bytes/workgroup (compile time only)
; SGPRBlocks: 0
; VGPRBlocks: 0
; NumSGPRsForWavesPerEU: 4
; NumVGPRsForWavesPerEU: 1
; AccumOffset: 4
; Occupancy: 8
; WaveLimiterHint : 0
; COMPUTE_PGM_RSRC2:SCRATCH_EN: 0
; COMPUTE_PGM_RSRC2:USER_SGPR: 6
; COMPUTE_PGM_RSRC2:TRAP_HANDLER: 0
; COMPUTE_PGM_RSRC2:TGID_X_EN: 1
; COMPUTE_PGM_RSRC2:TGID_Y_EN: 0
; COMPUTE_PGM_RSRC2:TGID_Z_EN: 0
; COMPUTE_PGM_RSRC2:TIDIG_COMP_CNT: 0
; COMPUTE_PGM_RSRC3_GFX90A:ACCUM_OFFSET: 0
; COMPUTE_PGM_RSRC3_GFX90A:TG_SPLIT: 0
	.section	.text._ZN7rocprim17ROCPRIM_400000_NS6detail17trampoline_kernelINS0_14default_configENS1_25transform_config_selectorItLb1EEEZNS1_14transform_implILb1ES3_S5_PtS7_NS0_8identityItEEEE10hipError_tT2_T3_mT4_P12ihipStream_tbEUlT_E_NS1_11comp_targetILNS1_3genE9ELNS1_11target_archE1100ELNS1_3gpuE3ELNS1_3repE0EEENS1_30default_config_static_selectorELNS0_4arch9wavefront6targetE1EEEvT1_,"axG",@progbits,_ZN7rocprim17ROCPRIM_400000_NS6detail17trampoline_kernelINS0_14default_configENS1_25transform_config_selectorItLb1EEEZNS1_14transform_implILb1ES3_S5_PtS7_NS0_8identityItEEEE10hipError_tT2_T3_mT4_P12ihipStream_tbEUlT_E_NS1_11comp_targetILNS1_3genE9ELNS1_11target_archE1100ELNS1_3gpuE3ELNS1_3repE0EEENS1_30default_config_static_selectorELNS0_4arch9wavefront6targetE1EEEvT1_,comdat
	.protected	_ZN7rocprim17ROCPRIM_400000_NS6detail17trampoline_kernelINS0_14default_configENS1_25transform_config_selectorItLb1EEEZNS1_14transform_implILb1ES3_S5_PtS7_NS0_8identityItEEEE10hipError_tT2_T3_mT4_P12ihipStream_tbEUlT_E_NS1_11comp_targetILNS1_3genE9ELNS1_11target_archE1100ELNS1_3gpuE3ELNS1_3repE0EEENS1_30default_config_static_selectorELNS0_4arch9wavefront6targetE1EEEvT1_ ; -- Begin function _ZN7rocprim17ROCPRIM_400000_NS6detail17trampoline_kernelINS0_14default_configENS1_25transform_config_selectorItLb1EEEZNS1_14transform_implILb1ES3_S5_PtS7_NS0_8identityItEEEE10hipError_tT2_T3_mT4_P12ihipStream_tbEUlT_E_NS1_11comp_targetILNS1_3genE9ELNS1_11target_archE1100ELNS1_3gpuE3ELNS1_3repE0EEENS1_30default_config_static_selectorELNS0_4arch9wavefront6targetE1EEEvT1_
	.globl	_ZN7rocprim17ROCPRIM_400000_NS6detail17trampoline_kernelINS0_14default_configENS1_25transform_config_selectorItLb1EEEZNS1_14transform_implILb1ES3_S5_PtS7_NS0_8identityItEEEE10hipError_tT2_T3_mT4_P12ihipStream_tbEUlT_E_NS1_11comp_targetILNS1_3genE9ELNS1_11target_archE1100ELNS1_3gpuE3ELNS1_3repE0EEENS1_30default_config_static_selectorELNS0_4arch9wavefront6targetE1EEEvT1_
	.p2align	8
	.type	_ZN7rocprim17ROCPRIM_400000_NS6detail17trampoline_kernelINS0_14default_configENS1_25transform_config_selectorItLb1EEEZNS1_14transform_implILb1ES3_S5_PtS7_NS0_8identityItEEEE10hipError_tT2_T3_mT4_P12ihipStream_tbEUlT_E_NS1_11comp_targetILNS1_3genE9ELNS1_11target_archE1100ELNS1_3gpuE3ELNS1_3repE0EEENS1_30default_config_static_selectorELNS0_4arch9wavefront6targetE1EEEvT1_,@function
_ZN7rocprim17ROCPRIM_400000_NS6detail17trampoline_kernelINS0_14default_configENS1_25transform_config_selectorItLb1EEEZNS1_14transform_implILb1ES3_S5_PtS7_NS0_8identityItEEEE10hipError_tT2_T3_mT4_P12ihipStream_tbEUlT_E_NS1_11comp_targetILNS1_3genE9ELNS1_11target_archE1100ELNS1_3gpuE3ELNS1_3repE0EEENS1_30default_config_static_selectorELNS0_4arch9wavefront6targetE1EEEvT1_: ; @_ZN7rocprim17ROCPRIM_400000_NS6detail17trampoline_kernelINS0_14default_configENS1_25transform_config_selectorItLb1EEEZNS1_14transform_implILb1ES3_S5_PtS7_NS0_8identityItEEEE10hipError_tT2_T3_mT4_P12ihipStream_tbEUlT_E_NS1_11comp_targetILNS1_3genE9ELNS1_11target_archE1100ELNS1_3gpuE3ELNS1_3repE0EEENS1_30default_config_static_selectorELNS0_4arch9wavefront6targetE1EEEvT1_
; %bb.0:
	.section	.rodata,"a",@progbits
	.p2align	6, 0x0
	.amdhsa_kernel _ZN7rocprim17ROCPRIM_400000_NS6detail17trampoline_kernelINS0_14default_configENS1_25transform_config_selectorItLb1EEEZNS1_14transform_implILb1ES3_S5_PtS7_NS0_8identityItEEEE10hipError_tT2_T3_mT4_P12ihipStream_tbEUlT_E_NS1_11comp_targetILNS1_3genE9ELNS1_11target_archE1100ELNS1_3gpuE3ELNS1_3repE0EEENS1_30default_config_static_selectorELNS0_4arch9wavefront6targetE1EEEvT1_
		.amdhsa_group_segment_fixed_size 0
		.amdhsa_private_segment_fixed_size 0
		.amdhsa_kernarg_size 40
		.amdhsa_user_sgpr_count 6
		.amdhsa_user_sgpr_private_segment_buffer 1
		.amdhsa_user_sgpr_dispatch_ptr 0
		.amdhsa_user_sgpr_queue_ptr 0
		.amdhsa_user_sgpr_kernarg_segment_ptr 1
		.amdhsa_user_sgpr_dispatch_id 0
		.amdhsa_user_sgpr_flat_scratch_init 0
		.amdhsa_user_sgpr_kernarg_preload_length 0
		.amdhsa_user_sgpr_kernarg_preload_offset 0
		.amdhsa_user_sgpr_private_segment_size 0
		.amdhsa_uses_dynamic_stack 0
		.amdhsa_system_sgpr_private_segment_wavefront_offset 0
		.amdhsa_system_sgpr_workgroup_id_x 1
		.amdhsa_system_sgpr_workgroup_id_y 0
		.amdhsa_system_sgpr_workgroup_id_z 0
		.amdhsa_system_sgpr_workgroup_info 0
		.amdhsa_system_vgpr_workitem_id 0
		.amdhsa_next_free_vgpr 1
		.amdhsa_next_free_sgpr 0
		.amdhsa_accum_offset 4
		.amdhsa_reserve_vcc 0
		.amdhsa_reserve_flat_scratch 0
		.amdhsa_float_round_mode_32 0
		.amdhsa_float_round_mode_16_64 0
		.amdhsa_float_denorm_mode_32 3
		.amdhsa_float_denorm_mode_16_64 3
		.amdhsa_dx10_clamp 1
		.amdhsa_ieee_mode 1
		.amdhsa_fp16_overflow 0
		.amdhsa_tg_split 0
		.amdhsa_exception_fp_ieee_invalid_op 0
		.amdhsa_exception_fp_denorm_src 0
		.amdhsa_exception_fp_ieee_div_zero 0
		.amdhsa_exception_fp_ieee_overflow 0
		.amdhsa_exception_fp_ieee_underflow 0
		.amdhsa_exception_fp_ieee_inexact 0
		.amdhsa_exception_int_div_zero 0
	.end_amdhsa_kernel
	.section	.text._ZN7rocprim17ROCPRIM_400000_NS6detail17trampoline_kernelINS0_14default_configENS1_25transform_config_selectorItLb1EEEZNS1_14transform_implILb1ES3_S5_PtS7_NS0_8identityItEEEE10hipError_tT2_T3_mT4_P12ihipStream_tbEUlT_E_NS1_11comp_targetILNS1_3genE9ELNS1_11target_archE1100ELNS1_3gpuE3ELNS1_3repE0EEENS1_30default_config_static_selectorELNS0_4arch9wavefront6targetE1EEEvT1_,"axG",@progbits,_ZN7rocprim17ROCPRIM_400000_NS6detail17trampoline_kernelINS0_14default_configENS1_25transform_config_selectorItLb1EEEZNS1_14transform_implILb1ES3_S5_PtS7_NS0_8identityItEEEE10hipError_tT2_T3_mT4_P12ihipStream_tbEUlT_E_NS1_11comp_targetILNS1_3genE9ELNS1_11target_archE1100ELNS1_3gpuE3ELNS1_3repE0EEENS1_30default_config_static_selectorELNS0_4arch9wavefront6targetE1EEEvT1_,comdat
.Lfunc_end2418:
	.size	_ZN7rocprim17ROCPRIM_400000_NS6detail17trampoline_kernelINS0_14default_configENS1_25transform_config_selectorItLb1EEEZNS1_14transform_implILb1ES3_S5_PtS7_NS0_8identityItEEEE10hipError_tT2_T3_mT4_P12ihipStream_tbEUlT_E_NS1_11comp_targetILNS1_3genE9ELNS1_11target_archE1100ELNS1_3gpuE3ELNS1_3repE0EEENS1_30default_config_static_selectorELNS0_4arch9wavefront6targetE1EEEvT1_, .Lfunc_end2418-_ZN7rocprim17ROCPRIM_400000_NS6detail17trampoline_kernelINS0_14default_configENS1_25transform_config_selectorItLb1EEEZNS1_14transform_implILb1ES3_S5_PtS7_NS0_8identityItEEEE10hipError_tT2_T3_mT4_P12ihipStream_tbEUlT_E_NS1_11comp_targetILNS1_3genE9ELNS1_11target_archE1100ELNS1_3gpuE3ELNS1_3repE0EEENS1_30default_config_static_selectorELNS0_4arch9wavefront6targetE1EEEvT1_
                                        ; -- End function
	.section	.AMDGPU.csdata,"",@progbits
; Kernel info:
; codeLenInByte = 0
; NumSgprs: 4
; NumVgprs: 0
; NumAgprs: 0
; TotalNumVgprs: 0
; ScratchSize: 0
; MemoryBound: 0
; FloatMode: 240
; IeeeMode: 1
; LDSByteSize: 0 bytes/workgroup (compile time only)
; SGPRBlocks: 0
; VGPRBlocks: 0
; NumSGPRsForWavesPerEU: 4
; NumVGPRsForWavesPerEU: 1
; AccumOffset: 4
; Occupancy: 8
; WaveLimiterHint : 0
; COMPUTE_PGM_RSRC2:SCRATCH_EN: 0
; COMPUTE_PGM_RSRC2:USER_SGPR: 6
; COMPUTE_PGM_RSRC2:TRAP_HANDLER: 0
; COMPUTE_PGM_RSRC2:TGID_X_EN: 1
; COMPUTE_PGM_RSRC2:TGID_Y_EN: 0
; COMPUTE_PGM_RSRC2:TGID_Z_EN: 0
; COMPUTE_PGM_RSRC2:TIDIG_COMP_CNT: 0
; COMPUTE_PGM_RSRC3_GFX90A:ACCUM_OFFSET: 0
; COMPUTE_PGM_RSRC3_GFX90A:TG_SPLIT: 0
	.section	.text._ZN7rocprim17ROCPRIM_400000_NS6detail17trampoline_kernelINS0_14default_configENS1_25transform_config_selectorItLb1EEEZNS1_14transform_implILb1ES3_S5_PtS7_NS0_8identityItEEEE10hipError_tT2_T3_mT4_P12ihipStream_tbEUlT_E_NS1_11comp_targetILNS1_3genE8ELNS1_11target_archE1030ELNS1_3gpuE2ELNS1_3repE0EEENS1_30default_config_static_selectorELNS0_4arch9wavefront6targetE1EEEvT1_,"axG",@progbits,_ZN7rocprim17ROCPRIM_400000_NS6detail17trampoline_kernelINS0_14default_configENS1_25transform_config_selectorItLb1EEEZNS1_14transform_implILb1ES3_S5_PtS7_NS0_8identityItEEEE10hipError_tT2_T3_mT4_P12ihipStream_tbEUlT_E_NS1_11comp_targetILNS1_3genE8ELNS1_11target_archE1030ELNS1_3gpuE2ELNS1_3repE0EEENS1_30default_config_static_selectorELNS0_4arch9wavefront6targetE1EEEvT1_,comdat
	.protected	_ZN7rocprim17ROCPRIM_400000_NS6detail17trampoline_kernelINS0_14default_configENS1_25transform_config_selectorItLb1EEEZNS1_14transform_implILb1ES3_S5_PtS7_NS0_8identityItEEEE10hipError_tT2_T3_mT4_P12ihipStream_tbEUlT_E_NS1_11comp_targetILNS1_3genE8ELNS1_11target_archE1030ELNS1_3gpuE2ELNS1_3repE0EEENS1_30default_config_static_selectorELNS0_4arch9wavefront6targetE1EEEvT1_ ; -- Begin function _ZN7rocprim17ROCPRIM_400000_NS6detail17trampoline_kernelINS0_14default_configENS1_25transform_config_selectorItLb1EEEZNS1_14transform_implILb1ES3_S5_PtS7_NS0_8identityItEEEE10hipError_tT2_T3_mT4_P12ihipStream_tbEUlT_E_NS1_11comp_targetILNS1_3genE8ELNS1_11target_archE1030ELNS1_3gpuE2ELNS1_3repE0EEENS1_30default_config_static_selectorELNS0_4arch9wavefront6targetE1EEEvT1_
	.globl	_ZN7rocprim17ROCPRIM_400000_NS6detail17trampoline_kernelINS0_14default_configENS1_25transform_config_selectorItLb1EEEZNS1_14transform_implILb1ES3_S5_PtS7_NS0_8identityItEEEE10hipError_tT2_T3_mT4_P12ihipStream_tbEUlT_E_NS1_11comp_targetILNS1_3genE8ELNS1_11target_archE1030ELNS1_3gpuE2ELNS1_3repE0EEENS1_30default_config_static_selectorELNS0_4arch9wavefront6targetE1EEEvT1_
	.p2align	8
	.type	_ZN7rocprim17ROCPRIM_400000_NS6detail17trampoline_kernelINS0_14default_configENS1_25transform_config_selectorItLb1EEEZNS1_14transform_implILb1ES3_S5_PtS7_NS0_8identityItEEEE10hipError_tT2_T3_mT4_P12ihipStream_tbEUlT_E_NS1_11comp_targetILNS1_3genE8ELNS1_11target_archE1030ELNS1_3gpuE2ELNS1_3repE0EEENS1_30default_config_static_selectorELNS0_4arch9wavefront6targetE1EEEvT1_,@function
_ZN7rocprim17ROCPRIM_400000_NS6detail17trampoline_kernelINS0_14default_configENS1_25transform_config_selectorItLb1EEEZNS1_14transform_implILb1ES3_S5_PtS7_NS0_8identityItEEEE10hipError_tT2_T3_mT4_P12ihipStream_tbEUlT_E_NS1_11comp_targetILNS1_3genE8ELNS1_11target_archE1030ELNS1_3gpuE2ELNS1_3repE0EEENS1_30default_config_static_selectorELNS0_4arch9wavefront6targetE1EEEvT1_: ; @_ZN7rocprim17ROCPRIM_400000_NS6detail17trampoline_kernelINS0_14default_configENS1_25transform_config_selectorItLb1EEEZNS1_14transform_implILb1ES3_S5_PtS7_NS0_8identityItEEEE10hipError_tT2_T3_mT4_P12ihipStream_tbEUlT_E_NS1_11comp_targetILNS1_3genE8ELNS1_11target_archE1030ELNS1_3gpuE2ELNS1_3repE0EEENS1_30default_config_static_selectorELNS0_4arch9wavefront6targetE1EEEvT1_
; %bb.0:
	.section	.rodata,"a",@progbits
	.p2align	6, 0x0
	.amdhsa_kernel _ZN7rocprim17ROCPRIM_400000_NS6detail17trampoline_kernelINS0_14default_configENS1_25transform_config_selectorItLb1EEEZNS1_14transform_implILb1ES3_S5_PtS7_NS0_8identityItEEEE10hipError_tT2_T3_mT4_P12ihipStream_tbEUlT_E_NS1_11comp_targetILNS1_3genE8ELNS1_11target_archE1030ELNS1_3gpuE2ELNS1_3repE0EEENS1_30default_config_static_selectorELNS0_4arch9wavefront6targetE1EEEvT1_
		.amdhsa_group_segment_fixed_size 0
		.amdhsa_private_segment_fixed_size 0
		.amdhsa_kernarg_size 40
		.amdhsa_user_sgpr_count 6
		.amdhsa_user_sgpr_private_segment_buffer 1
		.amdhsa_user_sgpr_dispatch_ptr 0
		.amdhsa_user_sgpr_queue_ptr 0
		.amdhsa_user_sgpr_kernarg_segment_ptr 1
		.amdhsa_user_sgpr_dispatch_id 0
		.amdhsa_user_sgpr_flat_scratch_init 0
		.amdhsa_user_sgpr_kernarg_preload_length 0
		.amdhsa_user_sgpr_kernarg_preload_offset 0
		.amdhsa_user_sgpr_private_segment_size 0
		.amdhsa_uses_dynamic_stack 0
		.amdhsa_system_sgpr_private_segment_wavefront_offset 0
		.amdhsa_system_sgpr_workgroup_id_x 1
		.amdhsa_system_sgpr_workgroup_id_y 0
		.amdhsa_system_sgpr_workgroup_id_z 0
		.amdhsa_system_sgpr_workgroup_info 0
		.amdhsa_system_vgpr_workitem_id 0
		.amdhsa_next_free_vgpr 1
		.amdhsa_next_free_sgpr 0
		.amdhsa_accum_offset 4
		.amdhsa_reserve_vcc 0
		.amdhsa_reserve_flat_scratch 0
		.amdhsa_float_round_mode_32 0
		.amdhsa_float_round_mode_16_64 0
		.amdhsa_float_denorm_mode_32 3
		.amdhsa_float_denorm_mode_16_64 3
		.amdhsa_dx10_clamp 1
		.amdhsa_ieee_mode 1
		.amdhsa_fp16_overflow 0
		.amdhsa_tg_split 0
		.amdhsa_exception_fp_ieee_invalid_op 0
		.amdhsa_exception_fp_denorm_src 0
		.amdhsa_exception_fp_ieee_div_zero 0
		.amdhsa_exception_fp_ieee_overflow 0
		.amdhsa_exception_fp_ieee_underflow 0
		.amdhsa_exception_fp_ieee_inexact 0
		.amdhsa_exception_int_div_zero 0
	.end_amdhsa_kernel
	.section	.text._ZN7rocprim17ROCPRIM_400000_NS6detail17trampoline_kernelINS0_14default_configENS1_25transform_config_selectorItLb1EEEZNS1_14transform_implILb1ES3_S5_PtS7_NS0_8identityItEEEE10hipError_tT2_T3_mT4_P12ihipStream_tbEUlT_E_NS1_11comp_targetILNS1_3genE8ELNS1_11target_archE1030ELNS1_3gpuE2ELNS1_3repE0EEENS1_30default_config_static_selectorELNS0_4arch9wavefront6targetE1EEEvT1_,"axG",@progbits,_ZN7rocprim17ROCPRIM_400000_NS6detail17trampoline_kernelINS0_14default_configENS1_25transform_config_selectorItLb1EEEZNS1_14transform_implILb1ES3_S5_PtS7_NS0_8identityItEEEE10hipError_tT2_T3_mT4_P12ihipStream_tbEUlT_E_NS1_11comp_targetILNS1_3genE8ELNS1_11target_archE1030ELNS1_3gpuE2ELNS1_3repE0EEENS1_30default_config_static_selectorELNS0_4arch9wavefront6targetE1EEEvT1_,comdat
.Lfunc_end2419:
	.size	_ZN7rocprim17ROCPRIM_400000_NS6detail17trampoline_kernelINS0_14default_configENS1_25transform_config_selectorItLb1EEEZNS1_14transform_implILb1ES3_S5_PtS7_NS0_8identityItEEEE10hipError_tT2_T3_mT4_P12ihipStream_tbEUlT_E_NS1_11comp_targetILNS1_3genE8ELNS1_11target_archE1030ELNS1_3gpuE2ELNS1_3repE0EEENS1_30default_config_static_selectorELNS0_4arch9wavefront6targetE1EEEvT1_, .Lfunc_end2419-_ZN7rocprim17ROCPRIM_400000_NS6detail17trampoline_kernelINS0_14default_configENS1_25transform_config_selectorItLb1EEEZNS1_14transform_implILb1ES3_S5_PtS7_NS0_8identityItEEEE10hipError_tT2_T3_mT4_P12ihipStream_tbEUlT_E_NS1_11comp_targetILNS1_3genE8ELNS1_11target_archE1030ELNS1_3gpuE2ELNS1_3repE0EEENS1_30default_config_static_selectorELNS0_4arch9wavefront6targetE1EEEvT1_
                                        ; -- End function
	.section	.AMDGPU.csdata,"",@progbits
; Kernel info:
; codeLenInByte = 0
; NumSgprs: 4
; NumVgprs: 0
; NumAgprs: 0
; TotalNumVgprs: 0
; ScratchSize: 0
; MemoryBound: 0
; FloatMode: 240
; IeeeMode: 1
; LDSByteSize: 0 bytes/workgroup (compile time only)
; SGPRBlocks: 0
; VGPRBlocks: 0
; NumSGPRsForWavesPerEU: 4
; NumVGPRsForWavesPerEU: 1
; AccumOffset: 4
; Occupancy: 8
; WaveLimiterHint : 0
; COMPUTE_PGM_RSRC2:SCRATCH_EN: 0
; COMPUTE_PGM_RSRC2:USER_SGPR: 6
; COMPUTE_PGM_RSRC2:TRAP_HANDLER: 0
; COMPUTE_PGM_RSRC2:TGID_X_EN: 1
; COMPUTE_PGM_RSRC2:TGID_Y_EN: 0
; COMPUTE_PGM_RSRC2:TGID_Z_EN: 0
; COMPUTE_PGM_RSRC2:TIDIG_COMP_CNT: 0
; COMPUTE_PGM_RSRC3_GFX90A:ACCUM_OFFSET: 0
; COMPUTE_PGM_RSRC3_GFX90A:TG_SPLIT: 0
	.section	.text._ZN7rocprim17ROCPRIM_400000_NS6detail17trampoline_kernelINS0_14default_configENS1_20scan_config_selectorItEEZZNS1_9scan_implILNS1_25lookback_scan_determinismE0ELb0ELb0ES3_N6thrust23THRUST_200600_302600_NS6detail15normal_iteratorINS9_10device_ptrItEEEESE_t11max_functorItEtEEDaPvRmT3_T4_T5_mT6_P12ihipStream_tbENKUlT_T0_E_clISt17integral_constantIbLb0EESU_EEDaSP_SQ_EUlSP_E0_NS1_11comp_targetILNS1_3genE0ELNS1_11target_archE4294967295ELNS1_3gpuE0ELNS1_3repE0EEENS1_30default_config_static_selectorELNS0_4arch9wavefront6targetE1EEEvT1_,"axG",@progbits,_ZN7rocprim17ROCPRIM_400000_NS6detail17trampoline_kernelINS0_14default_configENS1_20scan_config_selectorItEEZZNS1_9scan_implILNS1_25lookback_scan_determinismE0ELb0ELb0ES3_N6thrust23THRUST_200600_302600_NS6detail15normal_iteratorINS9_10device_ptrItEEEESE_t11max_functorItEtEEDaPvRmT3_T4_T5_mT6_P12ihipStream_tbENKUlT_T0_E_clISt17integral_constantIbLb0EESU_EEDaSP_SQ_EUlSP_E0_NS1_11comp_targetILNS1_3genE0ELNS1_11target_archE4294967295ELNS1_3gpuE0ELNS1_3repE0EEENS1_30default_config_static_selectorELNS0_4arch9wavefront6targetE1EEEvT1_,comdat
	.protected	_ZN7rocprim17ROCPRIM_400000_NS6detail17trampoline_kernelINS0_14default_configENS1_20scan_config_selectorItEEZZNS1_9scan_implILNS1_25lookback_scan_determinismE0ELb0ELb0ES3_N6thrust23THRUST_200600_302600_NS6detail15normal_iteratorINS9_10device_ptrItEEEESE_t11max_functorItEtEEDaPvRmT3_T4_T5_mT6_P12ihipStream_tbENKUlT_T0_E_clISt17integral_constantIbLb0EESU_EEDaSP_SQ_EUlSP_E0_NS1_11comp_targetILNS1_3genE0ELNS1_11target_archE4294967295ELNS1_3gpuE0ELNS1_3repE0EEENS1_30default_config_static_selectorELNS0_4arch9wavefront6targetE1EEEvT1_ ; -- Begin function _ZN7rocprim17ROCPRIM_400000_NS6detail17trampoline_kernelINS0_14default_configENS1_20scan_config_selectorItEEZZNS1_9scan_implILNS1_25lookback_scan_determinismE0ELb0ELb0ES3_N6thrust23THRUST_200600_302600_NS6detail15normal_iteratorINS9_10device_ptrItEEEESE_t11max_functorItEtEEDaPvRmT3_T4_T5_mT6_P12ihipStream_tbENKUlT_T0_E_clISt17integral_constantIbLb0EESU_EEDaSP_SQ_EUlSP_E0_NS1_11comp_targetILNS1_3genE0ELNS1_11target_archE4294967295ELNS1_3gpuE0ELNS1_3repE0EEENS1_30default_config_static_selectorELNS0_4arch9wavefront6targetE1EEEvT1_
	.globl	_ZN7rocprim17ROCPRIM_400000_NS6detail17trampoline_kernelINS0_14default_configENS1_20scan_config_selectorItEEZZNS1_9scan_implILNS1_25lookback_scan_determinismE0ELb0ELb0ES3_N6thrust23THRUST_200600_302600_NS6detail15normal_iteratorINS9_10device_ptrItEEEESE_t11max_functorItEtEEDaPvRmT3_T4_T5_mT6_P12ihipStream_tbENKUlT_T0_E_clISt17integral_constantIbLb0EESU_EEDaSP_SQ_EUlSP_E0_NS1_11comp_targetILNS1_3genE0ELNS1_11target_archE4294967295ELNS1_3gpuE0ELNS1_3repE0EEENS1_30default_config_static_selectorELNS0_4arch9wavefront6targetE1EEEvT1_
	.p2align	8
	.type	_ZN7rocprim17ROCPRIM_400000_NS6detail17trampoline_kernelINS0_14default_configENS1_20scan_config_selectorItEEZZNS1_9scan_implILNS1_25lookback_scan_determinismE0ELb0ELb0ES3_N6thrust23THRUST_200600_302600_NS6detail15normal_iteratorINS9_10device_ptrItEEEESE_t11max_functorItEtEEDaPvRmT3_T4_T5_mT6_P12ihipStream_tbENKUlT_T0_E_clISt17integral_constantIbLb0EESU_EEDaSP_SQ_EUlSP_E0_NS1_11comp_targetILNS1_3genE0ELNS1_11target_archE4294967295ELNS1_3gpuE0ELNS1_3repE0EEENS1_30default_config_static_selectorELNS0_4arch9wavefront6targetE1EEEvT1_,@function
_ZN7rocprim17ROCPRIM_400000_NS6detail17trampoline_kernelINS0_14default_configENS1_20scan_config_selectorItEEZZNS1_9scan_implILNS1_25lookback_scan_determinismE0ELb0ELb0ES3_N6thrust23THRUST_200600_302600_NS6detail15normal_iteratorINS9_10device_ptrItEEEESE_t11max_functorItEtEEDaPvRmT3_T4_T5_mT6_P12ihipStream_tbENKUlT_T0_E_clISt17integral_constantIbLb0EESU_EEDaSP_SQ_EUlSP_E0_NS1_11comp_targetILNS1_3genE0ELNS1_11target_archE4294967295ELNS1_3gpuE0ELNS1_3repE0EEENS1_30default_config_static_selectorELNS0_4arch9wavefront6targetE1EEEvT1_: ; @_ZN7rocprim17ROCPRIM_400000_NS6detail17trampoline_kernelINS0_14default_configENS1_20scan_config_selectorItEEZZNS1_9scan_implILNS1_25lookback_scan_determinismE0ELb0ELb0ES3_N6thrust23THRUST_200600_302600_NS6detail15normal_iteratorINS9_10device_ptrItEEEESE_t11max_functorItEtEEDaPvRmT3_T4_T5_mT6_P12ihipStream_tbENKUlT_T0_E_clISt17integral_constantIbLb0EESU_EEDaSP_SQ_EUlSP_E0_NS1_11comp_targetILNS1_3genE0ELNS1_11target_archE4294967295ELNS1_3gpuE0ELNS1_3repE0EEENS1_30default_config_static_selectorELNS0_4arch9wavefront6targetE1EEEvT1_
; %bb.0:
	.section	.rodata,"a",@progbits
	.p2align	6, 0x0
	.amdhsa_kernel _ZN7rocprim17ROCPRIM_400000_NS6detail17trampoline_kernelINS0_14default_configENS1_20scan_config_selectorItEEZZNS1_9scan_implILNS1_25lookback_scan_determinismE0ELb0ELb0ES3_N6thrust23THRUST_200600_302600_NS6detail15normal_iteratorINS9_10device_ptrItEEEESE_t11max_functorItEtEEDaPvRmT3_T4_T5_mT6_P12ihipStream_tbENKUlT_T0_E_clISt17integral_constantIbLb0EESU_EEDaSP_SQ_EUlSP_E0_NS1_11comp_targetILNS1_3genE0ELNS1_11target_archE4294967295ELNS1_3gpuE0ELNS1_3repE0EEENS1_30default_config_static_selectorELNS0_4arch9wavefront6targetE1EEEvT1_
		.amdhsa_group_segment_fixed_size 0
		.amdhsa_private_segment_fixed_size 0
		.amdhsa_kernarg_size 32
		.amdhsa_user_sgpr_count 6
		.amdhsa_user_sgpr_private_segment_buffer 1
		.amdhsa_user_sgpr_dispatch_ptr 0
		.amdhsa_user_sgpr_queue_ptr 0
		.amdhsa_user_sgpr_kernarg_segment_ptr 1
		.amdhsa_user_sgpr_dispatch_id 0
		.amdhsa_user_sgpr_flat_scratch_init 0
		.amdhsa_user_sgpr_kernarg_preload_length 0
		.amdhsa_user_sgpr_kernarg_preload_offset 0
		.amdhsa_user_sgpr_private_segment_size 0
		.amdhsa_uses_dynamic_stack 0
		.amdhsa_system_sgpr_private_segment_wavefront_offset 0
		.amdhsa_system_sgpr_workgroup_id_x 1
		.amdhsa_system_sgpr_workgroup_id_y 0
		.amdhsa_system_sgpr_workgroup_id_z 0
		.amdhsa_system_sgpr_workgroup_info 0
		.amdhsa_system_vgpr_workitem_id 0
		.amdhsa_next_free_vgpr 1
		.amdhsa_next_free_sgpr 0
		.amdhsa_accum_offset 4
		.amdhsa_reserve_vcc 0
		.amdhsa_reserve_flat_scratch 0
		.amdhsa_float_round_mode_32 0
		.amdhsa_float_round_mode_16_64 0
		.amdhsa_float_denorm_mode_32 3
		.amdhsa_float_denorm_mode_16_64 3
		.amdhsa_dx10_clamp 1
		.amdhsa_ieee_mode 1
		.amdhsa_fp16_overflow 0
		.amdhsa_tg_split 0
		.amdhsa_exception_fp_ieee_invalid_op 0
		.amdhsa_exception_fp_denorm_src 0
		.amdhsa_exception_fp_ieee_div_zero 0
		.amdhsa_exception_fp_ieee_overflow 0
		.amdhsa_exception_fp_ieee_underflow 0
		.amdhsa_exception_fp_ieee_inexact 0
		.amdhsa_exception_int_div_zero 0
	.end_amdhsa_kernel
	.section	.text._ZN7rocprim17ROCPRIM_400000_NS6detail17trampoline_kernelINS0_14default_configENS1_20scan_config_selectorItEEZZNS1_9scan_implILNS1_25lookback_scan_determinismE0ELb0ELb0ES3_N6thrust23THRUST_200600_302600_NS6detail15normal_iteratorINS9_10device_ptrItEEEESE_t11max_functorItEtEEDaPvRmT3_T4_T5_mT6_P12ihipStream_tbENKUlT_T0_E_clISt17integral_constantIbLb0EESU_EEDaSP_SQ_EUlSP_E0_NS1_11comp_targetILNS1_3genE0ELNS1_11target_archE4294967295ELNS1_3gpuE0ELNS1_3repE0EEENS1_30default_config_static_selectorELNS0_4arch9wavefront6targetE1EEEvT1_,"axG",@progbits,_ZN7rocprim17ROCPRIM_400000_NS6detail17trampoline_kernelINS0_14default_configENS1_20scan_config_selectorItEEZZNS1_9scan_implILNS1_25lookback_scan_determinismE0ELb0ELb0ES3_N6thrust23THRUST_200600_302600_NS6detail15normal_iteratorINS9_10device_ptrItEEEESE_t11max_functorItEtEEDaPvRmT3_T4_T5_mT6_P12ihipStream_tbENKUlT_T0_E_clISt17integral_constantIbLb0EESU_EEDaSP_SQ_EUlSP_E0_NS1_11comp_targetILNS1_3genE0ELNS1_11target_archE4294967295ELNS1_3gpuE0ELNS1_3repE0EEENS1_30default_config_static_selectorELNS0_4arch9wavefront6targetE1EEEvT1_,comdat
.Lfunc_end2420:
	.size	_ZN7rocprim17ROCPRIM_400000_NS6detail17trampoline_kernelINS0_14default_configENS1_20scan_config_selectorItEEZZNS1_9scan_implILNS1_25lookback_scan_determinismE0ELb0ELb0ES3_N6thrust23THRUST_200600_302600_NS6detail15normal_iteratorINS9_10device_ptrItEEEESE_t11max_functorItEtEEDaPvRmT3_T4_T5_mT6_P12ihipStream_tbENKUlT_T0_E_clISt17integral_constantIbLb0EESU_EEDaSP_SQ_EUlSP_E0_NS1_11comp_targetILNS1_3genE0ELNS1_11target_archE4294967295ELNS1_3gpuE0ELNS1_3repE0EEENS1_30default_config_static_selectorELNS0_4arch9wavefront6targetE1EEEvT1_, .Lfunc_end2420-_ZN7rocprim17ROCPRIM_400000_NS6detail17trampoline_kernelINS0_14default_configENS1_20scan_config_selectorItEEZZNS1_9scan_implILNS1_25lookback_scan_determinismE0ELb0ELb0ES3_N6thrust23THRUST_200600_302600_NS6detail15normal_iteratorINS9_10device_ptrItEEEESE_t11max_functorItEtEEDaPvRmT3_T4_T5_mT6_P12ihipStream_tbENKUlT_T0_E_clISt17integral_constantIbLb0EESU_EEDaSP_SQ_EUlSP_E0_NS1_11comp_targetILNS1_3genE0ELNS1_11target_archE4294967295ELNS1_3gpuE0ELNS1_3repE0EEENS1_30default_config_static_selectorELNS0_4arch9wavefront6targetE1EEEvT1_
                                        ; -- End function
	.section	.AMDGPU.csdata,"",@progbits
; Kernel info:
; codeLenInByte = 0
; NumSgprs: 4
; NumVgprs: 0
; NumAgprs: 0
; TotalNumVgprs: 0
; ScratchSize: 0
; MemoryBound: 0
; FloatMode: 240
; IeeeMode: 1
; LDSByteSize: 0 bytes/workgroup (compile time only)
; SGPRBlocks: 0
; VGPRBlocks: 0
; NumSGPRsForWavesPerEU: 4
; NumVGPRsForWavesPerEU: 1
; AccumOffset: 4
; Occupancy: 8
; WaveLimiterHint : 0
; COMPUTE_PGM_RSRC2:SCRATCH_EN: 0
; COMPUTE_PGM_RSRC2:USER_SGPR: 6
; COMPUTE_PGM_RSRC2:TRAP_HANDLER: 0
; COMPUTE_PGM_RSRC2:TGID_X_EN: 1
; COMPUTE_PGM_RSRC2:TGID_Y_EN: 0
; COMPUTE_PGM_RSRC2:TGID_Z_EN: 0
; COMPUTE_PGM_RSRC2:TIDIG_COMP_CNT: 0
; COMPUTE_PGM_RSRC3_GFX90A:ACCUM_OFFSET: 0
; COMPUTE_PGM_RSRC3_GFX90A:TG_SPLIT: 0
	.section	.text._ZN7rocprim17ROCPRIM_400000_NS6detail17trampoline_kernelINS0_14default_configENS1_20scan_config_selectorItEEZZNS1_9scan_implILNS1_25lookback_scan_determinismE0ELb0ELb0ES3_N6thrust23THRUST_200600_302600_NS6detail15normal_iteratorINS9_10device_ptrItEEEESE_t11max_functorItEtEEDaPvRmT3_T4_T5_mT6_P12ihipStream_tbENKUlT_T0_E_clISt17integral_constantIbLb0EESU_EEDaSP_SQ_EUlSP_E0_NS1_11comp_targetILNS1_3genE5ELNS1_11target_archE942ELNS1_3gpuE9ELNS1_3repE0EEENS1_30default_config_static_selectorELNS0_4arch9wavefront6targetE1EEEvT1_,"axG",@progbits,_ZN7rocprim17ROCPRIM_400000_NS6detail17trampoline_kernelINS0_14default_configENS1_20scan_config_selectorItEEZZNS1_9scan_implILNS1_25lookback_scan_determinismE0ELb0ELb0ES3_N6thrust23THRUST_200600_302600_NS6detail15normal_iteratorINS9_10device_ptrItEEEESE_t11max_functorItEtEEDaPvRmT3_T4_T5_mT6_P12ihipStream_tbENKUlT_T0_E_clISt17integral_constantIbLb0EESU_EEDaSP_SQ_EUlSP_E0_NS1_11comp_targetILNS1_3genE5ELNS1_11target_archE942ELNS1_3gpuE9ELNS1_3repE0EEENS1_30default_config_static_selectorELNS0_4arch9wavefront6targetE1EEEvT1_,comdat
	.protected	_ZN7rocprim17ROCPRIM_400000_NS6detail17trampoline_kernelINS0_14default_configENS1_20scan_config_selectorItEEZZNS1_9scan_implILNS1_25lookback_scan_determinismE0ELb0ELb0ES3_N6thrust23THRUST_200600_302600_NS6detail15normal_iteratorINS9_10device_ptrItEEEESE_t11max_functorItEtEEDaPvRmT3_T4_T5_mT6_P12ihipStream_tbENKUlT_T0_E_clISt17integral_constantIbLb0EESU_EEDaSP_SQ_EUlSP_E0_NS1_11comp_targetILNS1_3genE5ELNS1_11target_archE942ELNS1_3gpuE9ELNS1_3repE0EEENS1_30default_config_static_selectorELNS0_4arch9wavefront6targetE1EEEvT1_ ; -- Begin function _ZN7rocprim17ROCPRIM_400000_NS6detail17trampoline_kernelINS0_14default_configENS1_20scan_config_selectorItEEZZNS1_9scan_implILNS1_25lookback_scan_determinismE0ELb0ELb0ES3_N6thrust23THRUST_200600_302600_NS6detail15normal_iteratorINS9_10device_ptrItEEEESE_t11max_functorItEtEEDaPvRmT3_T4_T5_mT6_P12ihipStream_tbENKUlT_T0_E_clISt17integral_constantIbLb0EESU_EEDaSP_SQ_EUlSP_E0_NS1_11comp_targetILNS1_3genE5ELNS1_11target_archE942ELNS1_3gpuE9ELNS1_3repE0EEENS1_30default_config_static_selectorELNS0_4arch9wavefront6targetE1EEEvT1_
	.globl	_ZN7rocprim17ROCPRIM_400000_NS6detail17trampoline_kernelINS0_14default_configENS1_20scan_config_selectorItEEZZNS1_9scan_implILNS1_25lookback_scan_determinismE0ELb0ELb0ES3_N6thrust23THRUST_200600_302600_NS6detail15normal_iteratorINS9_10device_ptrItEEEESE_t11max_functorItEtEEDaPvRmT3_T4_T5_mT6_P12ihipStream_tbENKUlT_T0_E_clISt17integral_constantIbLb0EESU_EEDaSP_SQ_EUlSP_E0_NS1_11comp_targetILNS1_3genE5ELNS1_11target_archE942ELNS1_3gpuE9ELNS1_3repE0EEENS1_30default_config_static_selectorELNS0_4arch9wavefront6targetE1EEEvT1_
	.p2align	8
	.type	_ZN7rocprim17ROCPRIM_400000_NS6detail17trampoline_kernelINS0_14default_configENS1_20scan_config_selectorItEEZZNS1_9scan_implILNS1_25lookback_scan_determinismE0ELb0ELb0ES3_N6thrust23THRUST_200600_302600_NS6detail15normal_iteratorINS9_10device_ptrItEEEESE_t11max_functorItEtEEDaPvRmT3_T4_T5_mT6_P12ihipStream_tbENKUlT_T0_E_clISt17integral_constantIbLb0EESU_EEDaSP_SQ_EUlSP_E0_NS1_11comp_targetILNS1_3genE5ELNS1_11target_archE942ELNS1_3gpuE9ELNS1_3repE0EEENS1_30default_config_static_selectorELNS0_4arch9wavefront6targetE1EEEvT1_,@function
_ZN7rocprim17ROCPRIM_400000_NS6detail17trampoline_kernelINS0_14default_configENS1_20scan_config_selectorItEEZZNS1_9scan_implILNS1_25lookback_scan_determinismE0ELb0ELb0ES3_N6thrust23THRUST_200600_302600_NS6detail15normal_iteratorINS9_10device_ptrItEEEESE_t11max_functorItEtEEDaPvRmT3_T4_T5_mT6_P12ihipStream_tbENKUlT_T0_E_clISt17integral_constantIbLb0EESU_EEDaSP_SQ_EUlSP_E0_NS1_11comp_targetILNS1_3genE5ELNS1_11target_archE942ELNS1_3gpuE9ELNS1_3repE0EEENS1_30default_config_static_selectorELNS0_4arch9wavefront6targetE1EEEvT1_: ; @_ZN7rocprim17ROCPRIM_400000_NS6detail17trampoline_kernelINS0_14default_configENS1_20scan_config_selectorItEEZZNS1_9scan_implILNS1_25lookback_scan_determinismE0ELb0ELb0ES3_N6thrust23THRUST_200600_302600_NS6detail15normal_iteratorINS9_10device_ptrItEEEESE_t11max_functorItEtEEDaPvRmT3_T4_T5_mT6_P12ihipStream_tbENKUlT_T0_E_clISt17integral_constantIbLb0EESU_EEDaSP_SQ_EUlSP_E0_NS1_11comp_targetILNS1_3genE5ELNS1_11target_archE942ELNS1_3gpuE9ELNS1_3repE0EEENS1_30default_config_static_selectorELNS0_4arch9wavefront6targetE1EEEvT1_
; %bb.0:
	.section	.rodata,"a",@progbits
	.p2align	6, 0x0
	.amdhsa_kernel _ZN7rocprim17ROCPRIM_400000_NS6detail17trampoline_kernelINS0_14default_configENS1_20scan_config_selectorItEEZZNS1_9scan_implILNS1_25lookback_scan_determinismE0ELb0ELb0ES3_N6thrust23THRUST_200600_302600_NS6detail15normal_iteratorINS9_10device_ptrItEEEESE_t11max_functorItEtEEDaPvRmT3_T4_T5_mT6_P12ihipStream_tbENKUlT_T0_E_clISt17integral_constantIbLb0EESU_EEDaSP_SQ_EUlSP_E0_NS1_11comp_targetILNS1_3genE5ELNS1_11target_archE942ELNS1_3gpuE9ELNS1_3repE0EEENS1_30default_config_static_selectorELNS0_4arch9wavefront6targetE1EEEvT1_
		.amdhsa_group_segment_fixed_size 0
		.amdhsa_private_segment_fixed_size 0
		.amdhsa_kernarg_size 32
		.amdhsa_user_sgpr_count 6
		.amdhsa_user_sgpr_private_segment_buffer 1
		.amdhsa_user_sgpr_dispatch_ptr 0
		.amdhsa_user_sgpr_queue_ptr 0
		.amdhsa_user_sgpr_kernarg_segment_ptr 1
		.amdhsa_user_sgpr_dispatch_id 0
		.amdhsa_user_sgpr_flat_scratch_init 0
		.amdhsa_user_sgpr_kernarg_preload_length 0
		.amdhsa_user_sgpr_kernarg_preload_offset 0
		.amdhsa_user_sgpr_private_segment_size 0
		.amdhsa_uses_dynamic_stack 0
		.amdhsa_system_sgpr_private_segment_wavefront_offset 0
		.amdhsa_system_sgpr_workgroup_id_x 1
		.amdhsa_system_sgpr_workgroup_id_y 0
		.amdhsa_system_sgpr_workgroup_id_z 0
		.amdhsa_system_sgpr_workgroup_info 0
		.amdhsa_system_vgpr_workitem_id 0
		.amdhsa_next_free_vgpr 1
		.amdhsa_next_free_sgpr 0
		.amdhsa_accum_offset 4
		.amdhsa_reserve_vcc 0
		.amdhsa_reserve_flat_scratch 0
		.amdhsa_float_round_mode_32 0
		.amdhsa_float_round_mode_16_64 0
		.amdhsa_float_denorm_mode_32 3
		.amdhsa_float_denorm_mode_16_64 3
		.amdhsa_dx10_clamp 1
		.amdhsa_ieee_mode 1
		.amdhsa_fp16_overflow 0
		.amdhsa_tg_split 0
		.amdhsa_exception_fp_ieee_invalid_op 0
		.amdhsa_exception_fp_denorm_src 0
		.amdhsa_exception_fp_ieee_div_zero 0
		.amdhsa_exception_fp_ieee_overflow 0
		.amdhsa_exception_fp_ieee_underflow 0
		.amdhsa_exception_fp_ieee_inexact 0
		.amdhsa_exception_int_div_zero 0
	.end_amdhsa_kernel
	.section	.text._ZN7rocprim17ROCPRIM_400000_NS6detail17trampoline_kernelINS0_14default_configENS1_20scan_config_selectorItEEZZNS1_9scan_implILNS1_25lookback_scan_determinismE0ELb0ELb0ES3_N6thrust23THRUST_200600_302600_NS6detail15normal_iteratorINS9_10device_ptrItEEEESE_t11max_functorItEtEEDaPvRmT3_T4_T5_mT6_P12ihipStream_tbENKUlT_T0_E_clISt17integral_constantIbLb0EESU_EEDaSP_SQ_EUlSP_E0_NS1_11comp_targetILNS1_3genE5ELNS1_11target_archE942ELNS1_3gpuE9ELNS1_3repE0EEENS1_30default_config_static_selectorELNS0_4arch9wavefront6targetE1EEEvT1_,"axG",@progbits,_ZN7rocprim17ROCPRIM_400000_NS6detail17trampoline_kernelINS0_14default_configENS1_20scan_config_selectorItEEZZNS1_9scan_implILNS1_25lookback_scan_determinismE0ELb0ELb0ES3_N6thrust23THRUST_200600_302600_NS6detail15normal_iteratorINS9_10device_ptrItEEEESE_t11max_functorItEtEEDaPvRmT3_T4_T5_mT6_P12ihipStream_tbENKUlT_T0_E_clISt17integral_constantIbLb0EESU_EEDaSP_SQ_EUlSP_E0_NS1_11comp_targetILNS1_3genE5ELNS1_11target_archE942ELNS1_3gpuE9ELNS1_3repE0EEENS1_30default_config_static_selectorELNS0_4arch9wavefront6targetE1EEEvT1_,comdat
.Lfunc_end2421:
	.size	_ZN7rocprim17ROCPRIM_400000_NS6detail17trampoline_kernelINS0_14default_configENS1_20scan_config_selectorItEEZZNS1_9scan_implILNS1_25lookback_scan_determinismE0ELb0ELb0ES3_N6thrust23THRUST_200600_302600_NS6detail15normal_iteratorINS9_10device_ptrItEEEESE_t11max_functorItEtEEDaPvRmT3_T4_T5_mT6_P12ihipStream_tbENKUlT_T0_E_clISt17integral_constantIbLb0EESU_EEDaSP_SQ_EUlSP_E0_NS1_11comp_targetILNS1_3genE5ELNS1_11target_archE942ELNS1_3gpuE9ELNS1_3repE0EEENS1_30default_config_static_selectorELNS0_4arch9wavefront6targetE1EEEvT1_, .Lfunc_end2421-_ZN7rocprim17ROCPRIM_400000_NS6detail17trampoline_kernelINS0_14default_configENS1_20scan_config_selectorItEEZZNS1_9scan_implILNS1_25lookback_scan_determinismE0ELb0ELb0ES3_N6thrust23THRUST_200600_302600_NS6detail15normal_iteratorINS9_10device_ptrItEEEESE_t11max_functorItEtEEDaPvRmT3_T4_T5_mT6_P12ihipStream_tbENKUlT_T0_E_clISt17integral_constantIbLb0EESU_EEDaSP_SQ_EUlSP_E0_NS1_11comp_targetILNS1_3genE5ELNS1_11target_archE942ELNS1_3gpuE9ELNS1_3repE0EEENS1_30default_config_static_selectorELNS0_4arch9wavefront6targetE1EEEvT1_
                                        ; -- End function
	.section	.AMDGPU.csdata,"",@progbits
; Kernel info:
; codeLenInByte = 0
; NumSgprs: 4
; NumVgprs: 0
; NumAgprs: 0
; TotalNumVgprs: 0
; ScratchSize: 0
; MemoryBound: 0
; FloatMode: 240
; IeeeMode: 1
; LDSByteSize: 0 bytes/workgroup (compile time only)
; SGPRBlocks: 0
; VGPRBlocks: 0
; NumSGPRsForWavesPerEU: 4
; NumVGPRsForWavesPerEU: 1
; AccumOffset: 4
; Occupancy: 8
; WaveLimiterHint : 0
; COMPUTE_PGM_RSRC2:SCRATCH_EN: 0
; COMPUTE_PGM_RSRC2:USER_SGPR: 6
; COMPUTE_PGM_RSRC2:TRAP_HANDLER: 0
; COMPUTE_PGM_RSRC2:TGID_X_EN: 1
; COMPUTE_PGM_RSRC2:TGID_Y_EN: 0
; COMPUTE_PGM_RSRC2:TGID_Z_EN: 0
; COMPUTE_PGM_RSRC2:TIDIG_COMP_CNT: 0
; COMPUTE_PGM_RSRC3_GFX90A:ACCUM_OFFSET: 0
; COMPUTE_PGM_RSRC3_GFX90A:TG_SPLIT: 0
	.section	.text._ZN7rocprim17ROCPRIM_400000_NS6detail17trampoline_kernelINS0_14default_configENS1_20scan_config_selectorItEEZZNS1_9scan_implILNS1_25lookback_scan_determinismE0ELb0ELb0ES3_N6thrust23THRUST_200600_302600_NS6detail15normal_iteratorINS9_10device_ptrItEEEESE_t11max_functorItEtEEDaPvRmT3_T4_T5_mT6_P12ihipStream_tbENKUlT_T0_E_clISt17integral_constantIbLb0EESU_EEDaSP_SQ_EUlSP_E0_NS1_11comp_targetILNS1_3genE4ELNS1_11target_archE910ELNS1_3gpuE8ELNS1_3repE0EEENS1_30default_config_static_selectorELNS0_4arch9wavefront6targetE1EEEvT1_,"axG",@progbits,_ZN7rocprim17ROCPRIM_400000_NS6detail17trampoline_kernelINS0_14default_configENS1_20scan_config_selectorItEEZZNS1_9scan_implILNS1_25lookback_scan_determinismE0ELb0ELb0ES3_N6thrust23THRUST_200600_302600_NS6detail15normal_iteratorINS9_10device_ptrItEEEESE_t11max_functorItEtEEDaPvRmT3_T4_T5_mT6_P12ihipStream_tbENKUlT_T0_E_clISt17integral_constantIbLb0EESU_EEDaSP_SQ_EUlSP_E0_NS1_11comp_targetILNS1_3genE4ELNS1_11target_archE910ELNS1_3gpuE8ELNS1_3repE0EEENS1_30default_config_static_selectorELNS0_4arch9wavefront6targetE1EEEvT1_,comdat
	.protected	_ZN7rocprim17ROCPRIM_400000_NS6detail17trampoline_kernelINS0_14default_configENS1_20scan_config_selectorItEEZZNS1_9scan_implILNS1_25lookback_scan_determinismE0ELb0ELb0ES3_N6thrust23THRUST_200600_302600_NS6detail15normal_iteratorINS9_10device_ptrItEEEESE_t11max_functorItEtEEDaPvRmT3_T4_T5_mT6_P12ihipStream_tbENKUlT_T0_E_clISt17integral_constantIbLb0EESU_EEDaSP_SQ_EUlSP_E0_NS1_11comp_targetILNS1_3genE4ELNS1_11target_archE910ELNS1_3gpuE8ELNS1_3repE0EEENS1_30default_config_static_selectorELNS0_4arch9wavefront6targetE1EEEvT1_ ; -- Begin function _ZN7rocprim17ROCPRIM_400000_NS6detail17trampoline_kernelINS0_14default_configENS1_20scan_config_selectorItEEZZNS1_9scan_implILNS1_25lookback_scan_determinismE0ELb0ELb0ES3_N6thrust23THRUST_200600_302600_NS6detail15normal_iteratorINS9_10device_ptrItEEEESE_t11max_functorItEtEEDaPvRmT3_T4_T5_mT6_P12ihipStream_tbENKUlT_T0_E_clISt17integral_constantIbLb0EESU_EEDaSP_SQ_EUlSP_E0_NS1_11comp_targetILNS1_3genE4ELNS1_11target_archE910ELNS1_3gpuE8ELNS1_3repE0EEENS1_30default_config_static_selectorELNS0_4arch9wavefront6targetE1EEEvT1_
	.globl	_ZN7rocprim17ROCPRIM_400000_NS6detail17trampoline_kernelINS0_14default_configENS1_20scan_config_selectorItEEZZNS1_9scan_implILNS1_25lookback_scan_determinismE0ELb0ELb0ES3_N6thrust23THRUST_200600_302600_NS6detail15normal_iteratorINS9_10device_ptrItEEEESE_t11max_functorItEtEEDaPvRmT3_T4_T5_mT6_P12ihipStream_tbENKUlT_T0_E_clISt17integral_constantIbLb0EESU_EEDaSP_SQ_EUlSP_E0_NS1_11comp_targetILNS1_3genE4ELNS1_11target_archE910ELNS1_3gpuE8ELNS1_3repE0EEENS1_30default_config_static_selectorELNS0_4arch9wavefront6targetE1EEEvT1_
	.p2align	8
	.type	_ZN7rocprim17ROCPRIM_400000_NS6detail17trampoline_kernelINS0_14default_configENS1_20scan_config_selectorItEEZZNS1_9scan_implILNS1_25lookback_scan_determinismE0ELb0ELb0ES3_N6thrust23THRUST_200600_302600_NS6detail15normal_iteratorINS9_10device_ptrItEEEESE_t11max_functorItEtEEDaPvRmT3_T4_T5_mT6_P12ihipStream_tbENKUlT_T0_E_clISt17integral_constantIbLb0EESU_EEDaSP_SQ_EUlSP_E0_NS1_11comp_targetILNS1_3genE4ELNS1_11target_archE910ELNS1_3gpuE8ELNS1_3repE0EEENS1_30default_config_static_selectorELNS0_4arch9wavefront6targetE1EEEvT1_,@function
_ZN7rocprim17ROCPRIM_400000_NS6detail17trampoline_kernelINS0_14default_configENS1_20scan_config_selectorItEEZZNS1_9scan_implILNS1_25lookback_scan_determinismE0ELb0ELb0ES3_N6thrust23THRUST_200600_302600_NS6detail15normal_iteratorINS9_10device_ptrItEEEESE_t11max_functorItEtEEDaPvRmT3_T4_T5_mT6_P12ihipStream_tbENKUlT_T0_E_clISt17integral_constantIbLb0EESU_EEDaSP_SQ_EUlSP_E0_NS1_11comp_targetILNS1_3genE4ELNS1_11target_archE910ELNS1_3gpuE8ELNS1_3repE0EEENS1_30default_config_static_selectorELNS0_4arch9wavefront6targetE1EEEvT1_: ; @_ZN7rocprim17ROCPRIM_400000_NS6detail17trampoline_kernelINS0_14default_configENS1_20scan_config_selectorItEEZZNS1_9scan_implILNS1_25lookback_scan_determinismE0ELb0ELb0ES3_N6thrust23THRUST_200600_302600_NS6detail15normal_iteratorINS9_10device_ptrItEEEESE_t11max_functorItEtEEDaPvRmT3_T4_T5_mT6_P12ihipStream_tbENKUlT_T0_E_clISt17integral_constantIbLb0EESU_EEDaSP_SQ_EUlSP_E0_NS1_11comp_targetILNS1_3genE4ELNS1_11target_archE910ELNS1_3gpuE8ELNS1_3repE0EEENS1_30default_config_static_selectorELNS0_4arch9wavefront6targetE1EEEvT1_
; %bb.0:
	s_load_dwordx4 s[52:55], s[4:5], 0x0
	v_mov_b32_e32 v1, 0
	v_lshlrev_b32_e32 v14, 1, v0
	s_waitcnt lgkmcnt(0)
	global_load_ushort v2, v1, s[52:53]
	v_cmp_gt_u32_e32 vcc, s54, v0
	s_waitcnt vmcnt(0)
	v_mov_b32_e32 v3, v2
	s_and_saveexec_b64 s[0:1], vcc
	s_cbranch_execz .LBB2422_2
; %bb.1:
	global_load_ushort v3, v14, s[52:53]
.LBB2422_2:
	s_or_b64 exec, exec, s[0:1]
	v_or_b32_e32 v1, 64, v0
	v_cmp_gt_u32_e64 s[0:1], s54, v1
	v_mov_b32_e32 v4, v2
	s_and_saveexec_b64 s[2:3], s[0:1]
	s_cbranch_execz .LBB2422_4
; %bb.3:
	global_load_ushort v4, v14, s[52:53] offset:128
.LBB2422_4:
	s_or_b64 exec, exec, s[2:3]
	v_or_b32_e32 v1, 0x80, v0
	v_cmp_gt_u32_e64 s[2:3], s54, v1
	v_mov_b32_e32 v5, v2
	s_and_saveexec_b64 s[6:7], s[2:3]
	s_cbranch_execz .LBB2422_6
; %bb.5:
	global_load_ushort v5, v14, s[52:53] offset:256
.LBB2422_6:
	s_or_b64 exec, exec, s[6:7]
	v_or_b32_e32 v1, 0xc0, v0
	v_cmp_gt_u32_e64 s[48:49], s54, v1
	v_mov_b32_e32 v6, v2
	s_and_saveexec_b64 s[6:7], s[48:49]
	s_cbranch_execz .LBB2422_8
; %bb.7:
	global_load_ushort v6, v14, s[52:53] offset:384
.LBB2422_8:
	s_or_b64 exec, exec, s[6:7]
	v_or_b32_e32 v1, 0x100, v0
	v_cmp_gt_u32_e64 s[6:7], s54, v1
	v_mov_b32_e32 v7, v2
	s_and_saveexec_b64 s[8:9], s[6:7]
	s_cbranch_execz .LBB2422_10
; %bb.9:
	global_load_ushort v7, v14, s[52:53] offset:512
.LBB2422_10:
	s_or_b64 exec, exec, s[8:9]
	v_or_b32_e32 v1, 0x140, v0
	v_cmp_gt_u32_e64 s[8:9], s54, v1
	v_mov_b32_e32 v8, v2
	s_and_saveexec_b64 s[10:11], s[8:9]
	s_cbranch_execz .LBB2422_12
; %bb.11:
	global_load_ushort v8, v14, s[52:53] offset:640
.LBB2422_12:
	s_or_b64 exec, exec, s[10:11]
	v_or_b32_e32 v1, 0x180, v0
	v_cmp_gt_u32_e64 s[10:11], s54, v1
	v_mov_b32_e32 v9, v2
	s_and_saveexec_b64 s[12:13], s[10:11]
	s_cbranch_execz .LBB2422_14
; %bb.13:
	global_load_ushort v9, v14, s[52:53] offset:768
.LBB2422_14:
	s_or_b64 exec, exec, s[12:13]
	v_or_b32_e32 v1, 0x1c0, v0
	v_cmp_gt_u32_e64 s[12:13], s54, v1
	v_mov_b32_e32 v10, v2
	s_and_saveexec_b64 s[14:15], s[12:13]
	s_cbranch_execz .LBB2422_16
; %bb.15:
	global_load_ushort v10, v14, s[52:53] offset:896
.LBB2422_16:
	s_or_b64 exec, exec, s[14:15]
	v_or_b32_e32 v1, 0x200, v0
	v_cmp_gt_u32_e64 s[14:15], s54, v1
	v_mov_b32_e32 v11, v2
	s_and_saveexec_b64 s[16:17], s[14:15]
	s_cbranch_execz .LBB2422_18
; %bb.17:
	global_load_ushort v11, v14, s[52:53] offset:1024
.LBB2422_18:
	s_or_b64 exec, exec, s[16:17]
	v_or_b32_e32 v1, 0x240, v0
	v_cmp_gt_u32_e64 s[16:17], s54, v1
	v_mov_b32_e32 v12, v2
	s_and_saveexec_b64 s[18:19], s[16:17]
	s_cbranch_execz .LBB2422_20
; %bb.19:
	global_load_ushort v12, v14, s[52:53] offset:1152
.LBB2422_20:
	s_or_b64 exec, exec, s[18:19]
	v_or_b32_e32 v1, 0x280, v0
	v_cmp_gt_u32_e64 s[18:19], s54, v1
	v_mov_b32_e32 v13, v2
	s_and_saveexec_b64 s[20:21], s[18:19]
	s_cbranch_execz .LBB2422_22
; %bb.21:
	global_load_ushort v13, v14, s[52:53] offset:1280
.LBB2422_22:
	s_or_b64 exec, exec, s[20:21]
	v_or_b32_e32 v1, 0x2c0, v0
	v_cmp_gt_u32_e64 s[20:21], s54, v1
	v_mov_b32_e32 v15, v2
	s_and_saveexec_b64 s[22:23], s[20:21]
	s_cbranch_execz .LBB2422_24
; %bb.23:
	global_load_ushort v15, v14, s[52:53] offset:1408
.LBB2422_24:
	s_or_b64 exec, exec, s[22:23]
	v_or_b32_e32 v1, 0x300, v0
	v_cmp_gt_u32_e64 s[22:23], s54, v1
	v_mov_b32_e32 v16, v2
	s_and_saveexec_b64 s[24:25], s[22:23]
	s_cbranch_execz .LBB2422_26
; %bb.25:
	global_load_ushort v16, v14, s[52:53] offset:1536
.LBB2422_26:
	s_or_b64 exec, exec, s[24:25]
	v_or_b32_e32 v1, 0x340, v0
	v_cmp_gt_u32_e64 s[24:25], s54, v1
	v_mov_b32_e32 v17, v2
	s_and_saveexec_b64 s[26:27], s[24:25]
	s_cbranch_execz .LBB2422_28
; %bb.27:
	global_load_ushort v17, v14, s[52:53] offset:1664
.LBB2422_28:
	s_or_b64 exec, exec, s[26:27]
	v_or_b32_e32 v1, 0x380, v0
	v_cmp_gt_u32_e64 s[26:27], s54, v1
	v_mov_b32_e32 v18, v2
	s_and_saveexec_b64 s[28:29], s[26:27]
	s_cbranch_execz .LBB2422_30
; %bb.29:
	global_load_ushort v18, v14, s[52:53] offset:1792
.LBB2422_30:
	s_or_b64 exec, exec, s[28:29]
	v_or_b32_e32 v1, 0x3c0, v0
	v_cmp_gt_u32_e64 s[28:29], s54, v1
	v_mov_b32_e32 v19, v2
	s_and_saveexec_b64 s[30:31], s[28:29]
	s_cbranch_execz .LBB2422_32
; %bb.31:
	global_load_ushort v19, v14, s[52:53] offset:1920
.LBB2422_32:
	s_or_b64 exec, exec, s[30:31]
	v_or_b32_e32 v1, 0x400, v0
	v_cmp_gt_u32_e64 s[30:31], s54, v1
	v_mov_b32_e32 v20, v2
	s_and_saveexec_b64 s[34:35], s[30:31]
	s_cbranch_execz .LBB2422_34
; %bb.33:
	global_load_ushort v20, v14, s[52:53] offset:2048
.LBB2422_34:
	s_or_b64 exec, exec, s[34:35]
	v_or_b32_e32 v1, 0x440, v0
	v_cmp_gt_u32_e64 s[34:35], s54, v1
	v_mov_b32_e32 v21, v2
	s_and_saveexec_b64 s[36:37], s[34:35]
	s_cbranch_execz .LBB2422_36
; %bb.35:
	global_load_ushort v21, v14, s[52:53] offset:2176
.LBB2422_36:
	s_or_b64 exec, exec, s[36:37]
	v_or_b32_e32 v1, 0x480, v0
	v_cmp_gt_u32_e64 s[36:37], s54, v1
	v_mov_b32_e32 v22, v2
	s_and_saveexec_b64 s[38:39], s[36:37]
	s_cbranch_execz .LBB2422_38
; %bb.37:
	global_load_ushort v22, v14, s[52:53] offset:2304
.LBB2422_38:
	s_or_b64 exec, exec, s[38:39]
	v_or_b32_e32 v1, 0x4c0, v0
	v_cmp_gt_u32_e64 s[38:39], s54, v1
	v_mov_b32_e32 v23, v2
	s_and_saveexec_b64 s[40:41], s[38:39]
	s_cbranch_execz .LBB2422_40
; %bb.39:
	global_load_ushort v23, v14, s[52:53] offset:2432
.LBB2422_40:
	s_or_b64 exec, exec, s[40:41]
	v_or_b32_e32 v1, 0x500, v0
	v_cmp_gt_u32_e64 s[40:41], s54, v1
	v_mov_b32_e32 v24, v2
	s_and_saveexec_b64 s[42:43], s[40:41]
	s_cbranch_execz .LBB2422_42
; %bb.41:
	global_load_ushort v24, v14, s[52:53] offset:2560
.LBB2422_42:
	s_or_b64 exec, exec, s[42:43]
	v_or_b32_e32 v1, 0x540, v0
	v_cmp_gt_u32_e64 s[42:43], s54, v1
	v_mov_b32_e32 v25, v2
	s_and_saveexec_b64 s[44:45], s[42:43]
	s_cbranch_execz .LBB2422_44
; %bb.43:
	global_load_ushort v25, v14, s[52:53] offset:2688
.LBB2422_44:
	s_or_b64 exec, exec, s[44:45]
	v_or_b32_e32 v1, 0x580, v0
	v_cmp_gt_u32_e64 s[44:45], s54, v1
	v_mov_b32_e32 v26, v2
	s_and_saveexec_b64 s[46:47], s[44:45]
	s_cbranch_execz .LBB2422_46
; %bb.45:
	global_load_ushort v26, v14, s[52:53] offset:2816
.LBB2422_46:
	s_or_b64 exec, exec, s[46:47]
	v_or_b32_e32 v1, 0x5c0, v0
	v_cmp_gt_u32_e64 s[46:47], s54, v1
	v_cmp_le_u32_e64 s[50:51], s54, v1
	s_and_saveexec_b64 s[54:55], s[50:51]
	s_xor_b64 s[50:51], exec, s[54:55]
; %bb.47:
	v_mov_b32_e32 v1, 0
; %bb.48:
	s_andn2_saveexec_b64 s[50:51], s[50:51]
	s_cbranch_execz .LBB2422_50
; %bb.49:
	global_load_ushort v2, v14, s[52:53] offset:2944
	v_mov_b32_e32 v1, 0
.LBB2422_50:
	s_or_b64 exec, exec, s[50:51]
	s_waitcnt vmcnt(0)
	ds_write_b16 v14, v3
	ds_write_b16 v14, v4 offset:128
	ds_write_b16 v14, v5 offset:256
	;; [unrolled: 1-line block ×23, first 2 shown]
	v_mad_u32_u24 v15, v0, 46, v14
	s_waitcnt lgkmcnt(0)
	; wave barrier
	s_waitcnt lgkmcnt(0)
	ds_read_b128 v[2:5], v15
	ds_read_b128 v[10:13], v15 offset:16
	ds_read_b128 v[6:9], v15 offset:32
	v_mbcnt_lo_u32_b32 v39, -1, 0
	v_mbcnt_hi_u32_b32 v39, -1, v39
	s_waitcnt lgkmcnt(2)
	v_max_u16_sdwa v16, v2, v2 dst_sel:DWORD dst_unused:UNUSED_PAD src0_sel:DWORD src1_sel:WORD_1
	v_max_u16_e32 v17, v16, v3
	v_max_u16_sdwa v19, v17, v3 dst_sel:DWORD dst_unused:UNUSED_PAD src0_sel:DWORD src1_sel:WORD_1
	v_max_u16_e32 v21, v19, v4
	;; [unrolled: 2-line block ×3, first 2 shown]
	v_max_u16_sdwa v29, v26, v5 dst_sel:DWORD dst_unused:UNUSED_PAD src0_sel:DWORD src1_sel:WORD_1
	s_waitcnt lgkmcnt(1)
	v_max_u16_e32 v18, v29, v10
	v_max_u16_sdwa v20, v18, v10 dst_sel:DWORD dst_unused:UNUSED_PAD src0_sel:DWORD src1_sel:WORD_1
	v_max_u16_e32 v22, v20, v11
	v_max_u16_sdwa v25, v22, v11 dst_sel:DWORD dst_unused:UNUSED_PAD src0_sel:DWORD src1_sel:WORD_1
	;; [unrolled: 2-line block ×4, first 2 shown]
	s_waitcnt lgkmcnt(0)
	v_max_u16_e32 v24, v35, v6
	v_max_u16_sdwa v27, v24, v6 dst_sel:DWORD dst_unused:UNUSED_PAD src0_sel:DWORD src1_sel:WORD_1
	v_max_u16_e32 v30, v27, v7
	v_max_u16_sdwa v32, v30, v7 dst_sel:DWORD dst_unused:UNUSED_PAD src0_sel:DWORD src1_sel:WORD_1
	;; [unrolled: 2-line block ×4, first 2 shown]
	v_and_b32_e32 v40, 15, v39
	s_load_dwordx2 s[50:51], s[4:5], 0x18
	v_mov_b32_dpp v41, v38 row_shr:1 row_mask:0xf bank_mask:0xf
	v_max_u16_e32 v41, v41, v38
	v_cmp_eq_u32_e64 s[4:5], 0, v40
	v_cndmask_b32_e64 v41, v41, v38, s[4:5]
	v_and_b32_e32 v42, 0xffff, v41
	v_cmp_lt_u32_e64 s[4:5], 1, v40
	s_waitcnt lgkmcnt(0)
	v_mov_b32_dpp v42, v42 row_shr:2 row_mask:0xf bank_mask:0xf
	v_max_u16_e32 v42, v42, v41
	v_cndmask_b32_e64 v41, v41, v42, s[4:5]
	v_and_b32_e32 v42, 0xffff, v41
	v_cmp_lt_u32_e64 s[4:5], 3, v40
	; wave barrier
	s_nop 0
	v_mov_b32_dpp v42, v42 row_shr:4 row_mask:0xf bank_mask:0xf
	v_max_u16_e32 v42, v42, v41
	v_cndmask_b32_e64 v41, v41, v42, s[4:5]
	v_and_b32_e32 v42, 0xffff, v41
	v_cmp_lt_u32_e64 s[4:5], 7, v40
	s_nop 0
	v_mov_b32_dpp v42, v42 row_shr:8 row_mask:0xf bank_mask:0xf
	v_max_u16_e32 v42, v42, v41
	v_cndmask_b32_e64 v40, v41, v42, s[4:5]
	v_and_b32_e32 v41, 0xffff, v40
	v_and_b32_e32 v42, 16, v39
	v_cmp_eq_u32_e64 s[4:5], 0, v42
	v_mov_b32_dpp v41, v41 row_bcast:15 row_mask:0xf bank_mask:0xf
	v_max_u16_e32 v41, v41, v40
	v_cndmask_b32_e64 v40, v41, v40, s[4:5]
	v_and_b32_e32 v41, 0xffff, v40
	v_cmp_lt_u32_e64 s[4:5], 31, v39
	s_nop 0
	v_mov_b32_dpp v41, v41 row_bcast:31 row_mask:0xf bank_mask:0xf
	v_max_u16_e32 v41, v41, v40
	v_cndmask_b32_e64 v40, v40, v41, s[4:5]
	v_cmp_eq_u32_e64 s[4:5], 63, v0
	s_and_saveexec_b64 s[52:53], s[4:5]
	s_cbranch_execz .LBB2422_52
; %bb.51:
	v_mov_b32_e32 v41, 0
	ds_write_b16 v41, v40
.LBB2422_52:
	s_or_b64 exec, exec, s[52:53]
	v_add_u32_e32 v41, -1, v39
	v_and_b32_e32 v42, 64, v39
	v_cmp_lt_i32_e64 s[4:5], v41, v42
	v_cndmask_b32_e64 v39, v41, v39, s[4:5]
	v_and_b32_e32 v40, 0xffff, v40
	v_lshlrev_b32_e32 v39, 2, v39
	ds_bpermute_b32 v39, v39, v40
	v_cmp_ne_u32_e64 s[4:5], 0, v0
	s_waitcnt lgkmcnt(0)
	; wave barrier
	s_waitcnt lgkmcnt(0)
	s_and_saveexec_b64 s[52:53], s[4:5]
	s_cbranch_execz .LBB2422_54
; %bb.53:
	v_max_u16_e32 v39, v39, v2
	v_max_u16_sdwa v16, v39, v2 dst_sel:DWORD dst_unused:UNUSED_PAD src0_sel:DWORD src1_sel:WORD_1
	v_max_u16_e32 v17, v16, v3
	v_max_u16_sdwa v19, v17, v3 dst_sel:DWORD dst_unused:UNUSED_PAD src0_sel:DWORD src1_sel:WORD_1
	;; [unrolled: 2-line block ×12, first 2 shown]
	v_mov_b32_e32 v2, v39
	;;#ASMSTART
	;;#ASMEND
.LBB2422_54:
	s_or_b64 exec, exec, s[52:53]
	s_mov_b32 s4, 0x5040100
	v_perm_b32 v5, v29, v26, s4
	v_perm_b32 v4, v23, v21, s4
	;; [unrolled: 1-line block ×4, first 2 shown]
	s_waitcnt lgkmcnt(0)
	; wave barrier
	ds_write_b128 v15, v[2:5]
	v_perm_b32 v5, v35, v33, s4
	v_perm_b32 v4, v31, v28, s4
	;; [unrolled: 1-line block ×4, first 2 shown]
	ds_write_b128 v15, v[2:5] offset:16
	v_perm_b32 v5, v38, v37, s4
	v_perm_b32 v4, v36, v34, s4
	v_perm_b32 v3, v32, v30, s4
	v_perm_b32 v2, v27, v24, s4
	s_movk_i32 s4, 0xffd2
	ds_write_b128 v15, v[2:5] offset:32
	v_mad_i32_i24 v2, v0, s4, v15
	s_waitcnt lgkmcnt(0)
	; wave barrier
	s_waitcnt lgkmcnt(0)
	ds_read_u16 v25, v2 offset:128
	ds_read_u16 v24, v2 offset:256
	;; [unrolled: 1-line block ×23, first 2 shown]
	v_lshlrev_b64 v[0:1], 1, v[0:1]
	v_mov_b32_e32 v26, s51
	v_add_co_u32_e64 v0, s[4:5], s50, v0
	v_addc_co_u32_e64 v1, s[4:5], v26, v1, s[4:5]
	s_and_saveexec_b64 s[4:5], vcc
	s_cbranch_execnz .LBB2422_79
; %bb.55:
	s_or_b64 exec, exec, s[4:5]
	s_and_saveexec_b64 s[4:5], s[0:1]
	s_cbranch_execnz .LBB2422_80
.LBB2422_56:
	s_or_b64 exec, exec, s[4:5]
	s_and_saveexec_b64 s[0:1], s[2:3]
	s_cbranch_execnz .LBB2422_81
.LBB2422_57:
	s_or_b64 exec, exec, s[0:1]
	s_and_saveexec_b64 s[0:1], s[48:49]
	s_cbranch_execnz .LBB2422_82
.LBB2422_58:
	s_or_b64 exec, exec, s[0:1]
	s_and_saveexec_b64 s[0:1], s[6:7]
	s_cbranch_execnz .LBB2422_83
.LBB2422_59:
	s_or_b64 exec, exec, s[0:1]
	s_and_saveexec_b64 s[0:1], s[8:9]
	s_cbranch_execnz .LBB2422_84
.LBB2422_60:
	s_or_b64 exec, exec, s[0:1]
	s_and_saveexec_b64 s[0:1], s[10:11]
	s_cbranch_execnz .LBB2422_85
.LBB2422_61:
	s_or_b64 exec, exec, s[0:1]
	s_and_saveexec_b64 s[0:1], s[12:13]
	s_cbranch_execnz .LBB2422_86
.LBB2422_62:
	s_or_b64 exec, exec, s[0:1]
	s_and_saveexec_b64 s[0:1], s[14:15]
	s_cbranch_execnz .LBB2422_87
.LBB2422_63:
	s_or_b64 exec, exec, s[0:1]
	s_and_saveexec_b64 s[0:1], s[16:17]
	s_cbranch_execnz .LBB2422_88
.LBB2422_64:
	s_or_b64 exec, exec, s[0:1]
	s_and_saveexec_b64 s[0:1], s[18:19]
	s_cbranch_execnz .LBB2422_89
.LBB2422_65:
	s_or_b64 exec, exec, s[0:1]
	s_and_saveexec_b64 s[0:1], s[20:21]
	s_cbranch_execnz .LBB2422_90
.LBB2422_66:
	s_or_b64 exec, exec, s[0:1]
	s_and_saveexec_b64 s[0:1], s[22:23]
	s_cbranch_execnz .LBB2422_91
.LBB2422_67:
	s_or_b64 exec, exec, s[0:1]
	s_and_saveexec_b64 s[0:1], s[24:25]
	s_cbranch_execnz .LBB2422_92
.LBB2422_68:
	s_or_b64 exec, exec, s[0:1]
	s_and_saveexec_b64 s[0:1], s[26:27]
	s_cbranch_execnz .LBB2422_93
.LBB2422_69:
	s_or_b64 exec, exec, s[0:1]
	s_and_saveexec_b64 s[0:1], s[28:29]
	s_cbranch_execnz .LBB2422_94
.LBB2422_70:
	s_or_b64 exec, exec, s[0:1]
	s_and_saveexec_b64 s[0:1], s[30:31]
	s_cbranch_execnz .LBB2422_95
.LBB2422_71:
	s_or_b64 exec, exec, s[0:1]
	s_and_saveexec_b64 s[0:1], s[34:35]
	s_cbranch_execnz .LBB2422_96
.LBB2422_72:
	s_or_b64 exec, exec, s[0:1]
	s_and_saveexec_b64 s[0:1], s[36:37]
	s_cbranch_execnz .LBB2422_97
.LBB2422_73:
	s_or_b64 exec, exec, s[0:1]
	s_and_saveexec_b64 s[0:1], s[38:39]
	s_cbranch_execnz .LBB2422_98
.LBB2422_74:
	s_or_b64 exec, exec, s[0:1]
	s_and_saveexec_b64 s[0:1], s[40:41]
	s_cbranch_execnz .LBB2422_99
.LBB2422_75:
	s_or_b64 exec, exec, s[0:1]
	s_and_saveexec_b64 s[0:1], s[42:43]
	s_cbranch_execnz .LBB2422_100
.LBB2422_76:
	s_or_b64 exec, exec, s[0:1]
	s_and_saveexec_b64 s[0:1], s[44:45]
	s_cbranch_execnz .LBB2422_101
.LBB2422_77:
	s_or_b64 exec, exec, s[0:1]
	s_and_saveexec_b64 s[0:1], s[46:47]
	s_cbranch_execnz .LBB2422_102
.LBB2422_78:
	s_endpgm
.LBB2422_79:
	ds_read_u16 v14, v14
	s_waitcnt lgkmcnt(0)
	global_store_short v[0:1], v14, off
	s_or_b64 exec, exec, s[4:5]
	s_and_saveexec_b64 s[4:5], s[0:1]
	s_cbranch_execz .LBB2422_56
.LBB2422_80:
	s_waitcnt lgkmcnt(14)
	global_store_short v[0:1], v25, off offset:128
	s_or_b64 exec, exec, s[4:5]
	s_and_saveexec_b64 s[0:1], s[2:3]
	s_cbranch_execz .LBB2422_57
.LBB2422_81:
	s_waitcnt lgkmcnt(14)
	global_store_short v[0:1], v24, off offset:256
	s_or_b64 exec, exec, s[0:1]
	s_and_saveexec_b64 s[0:1], s[48:49]
	s_cbranch_execz .LBB2422_58
.LBB2422_82:
	s_waitcnt lgkmcnt(14)
	global_store_short v[0:1], v23, off offset:384
	s_or_b64 exec, exec, s[0:1]
	s_and_saveexec_b64 s[0:1], s[6:7]
	s_cbranch_execz .LBB2422_59
.LBB2422_83:
	s_waitcnt lgkmcnt(14)
	global_store_short v[0:1], v22, off offset:512
	s_or_b64 exec, exec, s[0:1]
	s_and_saveexec_b64 s[0:1], s[8:9]
	s_cbranch_execz .LBB2422_60
.LBB2422_84:
	s_waitcnt lgkmcnt(14)
	global_store_short v[0:1], v21, off offset:640
	s_or_b64 exec, exec, s[0:1]
	s_and_saveexec_b64 s[0:1], s[10:11]
	s_cbranch_execz .LBB2422_61
.LBB2422_85:
	s_waitcnt lgkmcnt(14)
	global_store_short v[0:1], v20, off offset:768
	s_or_b64 exec, exec, s[0:1]
	s_and_saveexec_b64 s[0:1], s[12:13]
	s_cbranch_execz .LBB2422_62
.LBB2422_86:
	s_waitcnt lgkmcnt(14)
	global_store_short v[0:1], v19, off offset:896
	s_or_b64 exec, exec, s[0:1]
	s_and_saveexec_b64 s[0:1], s[14:15]
	s_cbranch_execz .LBB2422_63
.LBB2422_87:
	s_waitcnt lgkmcnt(14)
	global_store_short v[0:1], v18, off offset:1024
	s_or_b64 exec, exec, s[0:1]
	s_and_saveexec_b64 s[0:1], s[16:17]
	s_cbranch_execz .LBB2422_64
.LBB2422_88:
	s_waitcnt lgkmcnt(14)
	global_store_short v[0:1], v17, off offset:1152
	s_or_b64 exec, exec, s[0:1]
	s_and_saveexec_b64 s[0:1], s[18:19]
	s_cbranch_execz .LBB2422_65
.LBB2422_89:
	s_waitcnt lgkmcnt(13)
	global_store_short v[0:1], v16, off offset:1280
	s_or_b64 exec, exec, s[0:1]
	s_and_saveexec_b64 s[0:1], s[20:21]
	s_cbranch_execz .LBB2422_66
.LBB2422_90:
	s_waitcnt lgkmcnt(12)
	global_store_short v[0:1], v15, off offset:1408
	s_or_b64 exec, exec, s[0:1]
	s_and_saveexec_b64 s[0:1], s[22:23]
	s_cbranch_execz .LBB2422_67
.LBB2422_91:
	s_waitcnt lgkmcnt(11)
	global_store_short v[0:1], v13, off offset:1536
	s_or_b64 exec, exec, s[0:1]
	s_and_saveexec_b64 s[0:1], s[24:25]
	s_cbranch_execz .LBB2422_68
.LBB2422_92:
	s_waitcnt lgkmcnt(10)
	global_store_short v[0:1], v12, off offset:1664
	s_or_b64 exec, exec, s[0:1]
	s_and_saveexec_b64 s[0:1], s[26:27]
	s_cbranch_execz .LBB2422_69
.LBB2422_93:
	s_waitcnt lgkmcnt(9)
	global_store_short v[0:1], v11, off offset:1792
	s_or_b64 exec, exec, s[0:1]
	s_and_saveexec_b64 s[0:1], s[28:29]
	s_cbranch_execz .LBB2422_70
.LBB2422_94:
	s_waitcnt lgkmcnt(8)
	global_store_short v[0:1], v10, off offset:1920
	s_or_b64 exec, exec, s[0:1]
	s_and_saveexec_b64 s[0:1], s[30:31]
	s_cbranch_execz .LBB2422_71
.LBB2422_95:
	s_waitcnt lgkmcnt(1)
	global_store_short v[0:1], v9, off offset:2048
	s_or_b64 exec, exec, s[0:1]
	s_and_saveexec_b64 s[0:1], s[34:35]
	s_cbranch_execz .LBB2422_72
.LBB2422_96:
	s_waitcnt lgkmcnt(7)
	global_store_short v[0:1], v8, off offset:2176
	s_or_b64 exec, exec, s[0:1]
	s_and_saveexec_b64 s[0:1], s[36:37]
	s_cbranch_execz .LBB2422_73
.LBB2422_97:
	s_waitcnt lgkmcnt(6)
	global_store_short v[0:1], v7, off offset:2304
	s_or_b64 exec, exec, s[0:1]
	s_and_saveexec_b64 s[0:1], s[38:39]
	s_cbranch_execz .LBB2422_74
.LBB2422_98:
	s_waitcnt lgkmcnt(5)
	global_store_short v[0:1], v6, off offset:2432
	s_or_b64 exec, exec, s[0:1]
	s_and_saveexec_b64 s[0:1], s[40:41]
	s_cbranch_execz .LBB2422_75
.LBB2422_99:
	s_waitcnt lgkmcnt(4)
	global_store_short v[0:1], v5, off offset:2560
	s_or_b64 exec, exec, s[0:1]
	s_and_saveexec_b64 s[0:1], s[42:43]
	s_cbranch_execz .LBB2422_76
.LBB2422_100:
	s_waitcnt lgkmcnt(3)
	global_store_short v[0:1], v4, off offset:2688
	s_or_b64 exec, exec, s[0:1]
	s_and_saveexec_b64 s[0:1], s[44:45]
	s_cbranch_execz .LBB2422_77
.LBB2422_101:
	s_waitcnt lgkmcnt(2)
	global_store_short v[0:1], v3, off offset:2816
	s_or_b64 exec, exec, s[0:1]
	s_and_saveexec_b64 s[0:1], s[46:47]
	s_cbranch_execz .LBB2422_78
.LBB2422_102:
	s_waitcnt lgkmcnt(0)
	global_store_short v[0:1], v2, off offset:2944
	s_endpgm
	.section	.rodata,"a",@progbits
	.p2align	6, 0x0
	.amdhsa_kernel _ZN7rocprim17ROCPRIM_400000_NS6detail17trampoline_kernelINS0_14default_configENS1_20scan_config_selectorItEEZZNS1_9scan_implILNS1_25lookback_scan_determinismE0ELb0ELb0ES3_N6thrust23THRUST_200600_302600_NS6detail15normal_iteratorINS9_10device_ptrItEEEESE_t11max_functorItEtEEDaPvRmT3_T4_T5_mT6_P12ihipStream_tbENKUlT_T0_E_clISt17integral_constantIbLb0EESU_EEDaSP_SQ_EUlSP_E0_NS1_11comp_targetILNS1_3genE4ELNS1_11target_archE910ELNS1_3gpuE8ELNS1_3repE0EEENS1_30default_config_static_selectorELNS0_4arch9wavefront6targetE1EEEvT1_
		.amdhsa_group_segment_fixed_size 3072
		.amdhsa_private_segment_fixed_size 0
		.amdhsa_kernarg_size 32
		.amdhsa_user_sgpr_count 6
		.amdhsa_user_sgpr_private_segment_buffer 1
		.amdhsa_user_sgpr_dispatch_ptr 0
		.amdhsa_user_sgpr_queue_ptr 0
		.amdhsa_user_sgpr_kernarg_segment_ptr 1
		.amdhsa_user_sgpr_dispatch_id 0
		.amdhsa_user_sgpr_flat_scratch_init 0
		.amdhsa_user_sgpr_kernarg_preload_length 0
		.amdhsa_user_sgpr_kernarg_preload_offset 0
		.amdhsa_user_sgpr_private_segment_size 0
		.amdhsa_uses_dynamic_stack 0
		.amdhsa_system_sgpr_private_segment_wavefront_offset 0
		.amdhsa_system_sgpr_workgroup_id_x 1
		.amdhsa_system_sgpr_workgroup_id_y 0
		.amdhsa_system_sgpr_workgroup_id_z 0
		.amdhsa_system_sgpr_workgroup_info 0
		.amdhsa_system_vgpr_workitem_id 0
		.amdhsa_next_free_vgpr 43
		.amdhsa_next_free_sgpr 56
		.amdhsa_accum_offset 44
		.amdhsa_reserve_vcc 1
		.amdhsa_reserve_flat_scratch 0
		.amdhsa_float_round_mode_32 0
		.amdhsa_float_round_mode_16_64 0
		.amdhsa_float_denorm_mode_32 3
		.amdhsa_float_denorm_mode_16_64 3
		.amdhsa_dx10_clamp 1
		.amdhsa_ieee_mode 1
		.amdhsa_fp16_overflow 0
		.amdhsa_tg_split 0
		.amdhsa_exception_fp_ieee_invalid_op 0
		.amdhsa_exception_fp_denorm_src 0
		.amdhsa_exception_fp_ieee_div_zero 0
		.amdhsa_exception_fp_ieee_overflow 0
		.amdhsa_exception_fp_ieee_underflow 0
		.amdhsa_exception_fp_ieee_inexact 0
		.amdhsa_exception_int_div_zero 0
	.end_amdhsa_kernel
	.section	.text._ZN7rocprim17ROCPRIM_400000_NS6detail17trampoline_kernelINS0_14default_configENS1_20scan_config_selectorItEEZZNS1_9scan_implILNS1_25lookback_scan_determinismE0ELb0ELb0ES3_N6thrust23THRUST_200600_302600_NS6detail15normal_iteratorINS9_10device_ptrItEEEESE_t11max_functorItEtEEDaPvRmT3_T4_T5_mT6_P12ihipStream_tbENKUlT_T0_E_clISt17integral_constantIbLb0EESU_EEDaSP_SQ_EUlSP_E0_NS1_11comp_targetILNS1_3genE4ELNS1_11target_archE910ELNS1_3gpuE8ELNS1_3repE0EEENS1_30default_config_static_selectorELNS0_4arch9wavefront6targetE1EEEvT1_,"axG",@progbits,_ZN7rocprim17ROCPRIM_400000_NS6detail17trampoline_kernelINS0_14default_configENS1_20scan_config_selectorItEEZZNS1_9scan_implILNS1_25lookback_scan_determinismE0ELb0ELb0ES3_N6thrust23THRUST_200600_302600_NS6detail15normal_iteratorINS9_10device_ptrItEEEESE_t11max_functorItEtEEDaPvRmT3_T4_T5_mT6_P12ihipStream_tbENKUlT_T0_E_clISt17integral_constantIbLb0EESU_EEDaSP_SQ_EUlSP_E0_NS1_11comp_targetILNS1_3genE4ELNS1_11target_archE910ELNS1_3gpuE8ELNS1_3repE0EEENS1_30default_config_static_selectorELNS0_4arch9wavefront6targetE1EEEvT1_,comdat
.Lfunc_end2422:
	.size	_ZN7rocprim17ROCPRIM_400000_NS6detail17trampoline_kernelINS0_14default_configENS1_20scan_config_selectorItEEZZNS1_9scan_implILNS1_25lookback_scan_determinismE0ELb0ELb0ES3_N6thrust23THRUST_200600_302600_NS6detail15normal_iteratorINS9_10device_ptrItEEEESE_t11max_functorItEtEEDaPvRmT3_T4_T5_mT6_P12ihipStream_tbENKUlT_T0_E_clISt17integral_constantIbLb0EESU_EEDaSP_SQ_EUlSP_E0_NS1_11comp_targetILNS1_3genE4ELNS1_11target_archE910ELNS1_3gpuE8ELNS1_3repE0EEENS1_30default_config_static_selectorELNS0_4arch9wavefront6targetE1EEEvT1_, .Lfunc_end2422-_ZN7rocprim17ROCPRIM_400000_NS6detail17trampoline_kernelINS0_14default_configENS1_20scan_config_selectorItEEZZNS1_9scan_implILNS1_25lookback_scan_determinismE0ELb0ELb0ES3_N6thrust23THRUST_200600_302600_NS6detail15normal_iteratorINS9_10device_ptrItEEEESE_t11max_functorItEtEEDaPvRmT3_T4_T5_mT6_P12ihipStream_tbENKUlT_T0_E_clISt17integral_constantIbLb0EESU_EEDaSP_SQ_EUlSP_E0_NS1_11comp_targetILNS1_3genE4ELNS1_11target_archE910ELNS1_3gpuE8ELNS1_3repE0EEENS1_30default_config_static_selectorELNS0_4arch9wavefront6targetE1EEEvT1_
                                        ; -- End function
	.section	.AMDGPU.csdata,"",@progbits
; Kernel info:
; codeLenInByte = 3120
; NumSgprs: 60
; NumVgprs: 43
; NumAgprs: 0
; TotalNumVgprs: 43
; ScratchSize: 0
; MemoryBound: 0
; FloatMode: 240
; IeeeMode: 1
; LDSByteSize: 3072 bytes/workgroup (compile time only)
; SGPRBlocks: 7
; VGPRBlocks: 5
; NumSGPRsForWavesPerEU: 60
; NumVGPRsForWavesPerEU: 43
; AccumOffset: 44
; Occupancy: 6
; WaveLimiterHint : 0
; COMPUTE_PGM_RSRC2:SCRATCH_EN: 0
; COMPUTE_PGM_RSRC2:USER_SGPR: 6
; COMPUTE_PGM_RSRC2:TRAP_HANDLER: 0
; COMPUTE_PGM_RSRC2:TGID_X_EN: 1
; COMPUTE_PGM_RSRC2:TGID_Y_EN: 0
; COMPUTE_PGM_RSRC2:TGID_Z_EN: 0
; COMPUTE_PGM_RSRC2:TIDIG_COMP_CNT: 0
; COMPUTE_PGM_RSRC3_GFX90A:ACCUM_OFFSET: 10
; COMPUTE_PGM_RSRC3_GFX90A:TG_SPLIT: 0
	.section	.text._ZN7rocprim17ROCPRIM_400000_NS6detail17trampoline_kernelINS0_14default_configENS1_20scan_config_selectorItEEZZNS1_9scan_implILNS1_25lookback_scan_determinismE0ELb0ELb0ES3_N6thrust23THRUST_200600_302600_NS6detail15normal_iteratorINS9_10device_ptrItEEEESE_t11max_functorItEtEEDaPvRmT3_T4_T5_mT6_P12ihipStream_tbENKUlT_T0_E_clISt17integral_constantIbLb0EESU_EEDaSP_SQ_EUlSP_E0_NS1_11comp_targetILNS1_3genE3ELNS1_11target_archE908ELNS1_3gpuE7ELNS1_3repE0EEENS1_30default_config_static_selectorELNS0_4arch9wavefront6targetE1EEEvT1_,"axG",@progbits,_ZN7rocprim17ROCPRIM_400000_NS6detail17trampoline_kernelINS0_14default_configENS1_20scan_config_selectorItEEZZNS1_9scan_implILNS1_25lookback_scan_determinismE0ELb0ELb0ES3_N6thrust23THRUST_200600_302600_NS6detail15normal_iteratorINS9_10device_ptrItEEEESE_t11max_functorItEtEEDaPvRmT3_T4_T5_mT6_P12ihipStream_tbENKUlT_T0_E_clISt17integral_constantIbLb0EESU_EEDaSP_SQ_EUlSP_E0_NS1_11comp_targetILNS1_3genE3ELNS1_11target_archE908ELNS1_3gpuE7ELNS1_3repE0EEENS1_30default_config_static_selectorELNS0_4arch9wavefront6targetE1EEEvT1_,comdat
	.protected	_ZN7rocprim17ROCPRIM_400000_NS6detail17trampoline_kernelINS0_14default_configENS1_20scan_config_selectorItEEZZNS1_9scan_implILNS1_25lookback_scan_determinismE0ELb0ELb0ES3_N6thrust23THRUST_200600_302600_NS6detail15normal_iteratorINS9_10device_ptrItEEEESE_t11max_functorItEtEEDaPvRmT3_T4_T5_mT6_P12ihipStream_tbENKUlT_T0_E_clISt17integral_constantIbLb0EESU_EEDaSP_SQ_EUlSP_E0_NS1_11comp_targetILNS1_3genE3ELNS1_11target_archE908ELNS1_3gpuE7ELNS1_3repE0EEENS1_30default_config_static_selectorELNS0_4arch9wavefront6targetE1EEEvT1_ ; -- Begin function _ZN7rocprim17ROCPRIM_400000_NS6detail17trampoline_kernelINS0_14default_configENS1_20scan_config_selectorItEEZZNS1_9scan_implILNS1_25lookback_scan_determinismE0ELb0ELb0ES3_N6thrust23THRUST_200600_302600_NS6detail15normal_iteratorINS9_10device_ptrItEEEESE_t11max_functorItEtEEDaPvRmT3_T4_T5_mT6_P12ihipStream_tbENKUlT_T0_E_clISt17integral_constantIbLb0EESU_EEDaSP_SQ_EUlSP_E0_NS1_11comp_targetILNS1_3genE3ELNS1_11target_archE908ELNS1_3gpuE7ELNS1_3repE0EEENS1_30default_config_static_selectorELNS0_4arch9wavefront6targetE1EEEvT1_
	.globl	_ZN7rocprim17ROCPRIM_400000_NS6detail17trampoline_kernelINS0_14default_configENS1_20scan_config_selectorItEEZZNS1_9scan_implILNS1_25lookback_scan_determinismE0ELb0ELb0ES3_N6thrust23THRUST_200600_302600_NS6detail15normal_iteratorINS9_10device_ptrItEEEESE_t11max_functorItEtEEDaPvRmT3_T4_T5_mT6_P12ihipStream_tbENKUlT_T0_E_clISt17integral_constantIbLb0EESU_EEDaSP_SQ_EUlSP_E0_NS1_11comp_targetILNS1_3genE3ELNS1_11target_archE908ELNS1_3gpuE7ELNS1_3repE0EEENS1_30default_config_static_selectorELNS0_4arch9wavefront6targetE1EEEvT1_
	.p2align	8
	.type	_ZN7rocprim17ROCPRIM_400000_NS6detail17trampoline_kernelINS0_14default_configENS1_20scan_config_selectorItEEZZNS1_9scan_implILNS1_25lookback_scan_determinismE0ELb0ELb0ES3_N6thrust23THRUST_200600_302600_NS6detail15normal_iteratorINS9_10device_ptrItEEEESE_t11max_functorItEtEEDaPvRmT3_T4_T5_mT6_P12ihipStream_tbENKUlT_T0_E_clISt17integral_constantIbLb0EESU_EEDaSP_SQ_EUlSP_E0_NS1_11comp_targetILNS1_3genE3ELNS1_11target_archE908ELNS1_3gpuE7ELNS1_3repE0EEENS1_30default_config_static_selectorELNS0_4arch9wavefront6targetE1EEEvT1_,@function
_ZN7rocprim17ROCPRIM_400000_NS6detail17trampoline_kernelINS0_14default_configENS1_20scan_config_selectorItEEZZNS1_9scan_implILNS1_25lookback_scan_determinismE0ELb0ELb0ES3_N6thrust23THRUST_200600_302600_NS6detail15normal_iteratorINS9_10device_ptrItEEEESE_t11max_functorItEtEEDaPvRmT3_T4_T5_mT6_P12ihipStream_tbENKUlT_T0_E_clISt17integral_constantIbLb0EESU_EEDaSP_SQ_EUlSP_E0_NS1_11comp_targetILNS1_3genE3ELNS1_11target_archE908ELNS1_3gpuE7ELNS1_3repE0EEENS1_30default_config_static_selectorELNS0_4arch9wavefront6targetE1EEEvT1_: ; @_ZN7rocprim17ROCPRIM_400000_NS6detail17trampoline_kernelINS0_14default_configENS1_20scan_config_selectorItEEZZNS1_9scan_implILNS1_25lookback_scan_determinismE0ELb0ELb0ES3_N6thrust23THRUST_200600_302600_NS6detail15normal_iteratorINS9_10device_ptrItEEEESE_t11max_functorItEtEEDaPvRmT3_T4_T5_mT6_P12ihipStream_tbENKUlT_T0_E_clISt17integral_constantIbLb0EESU_EEDaSP_SQ_EUlSP_E0_NS1_11comp_targetILNS1_3genE3ELNS1_11target_archE908ELNS1_3gpuE7ELNS1_3repE0EEENS1_30default_config_static_selectorELNS0_4arch9wavefront6targetE1EEEvT1_
; %bb.0:
	.section	.rodata,"a",@progbits
	.p2align	6, 0x0
	.amdhsa_kernel _ZN7rocprim17ROCPRIM_400000_NS6detail17trampoline_kernelINS0_14default_configENS1_20scan_config_selectorItEEZZNS1_9scan_implILNS1_25lookback_scan_determinismE0ELb0ELb0ES3_N6thrust23THRUST_200600_302600_NS6detail15normal_iteratorINS9_10device_ptrItEEEESE_t11max_functorItEtEEDaPvRmT3_T4_T5_mT6_P12ihipStream_tbENKUlT_T0_E_clISt17integral_constantIbLb0EESU_EEDaSP_SQ_EUlSP_E0_NS1_11comp_targetILNS1_3genE3ELNS1_11target_archE908ELNS1_3gpuE7ELNS1_3repE0EEENS1_30default_config_static_selectorELNS0_4arch9wavefront6targetE1EEEvT1_
		.amdhsa_group_segment_fixed_size 0
		.amdhsa_private_segment_fixed_size 0
		.amdhsa_kernarg_size 32
		.amdhsa_user_sgpr_count 6
		.amdhsa_user_sgpr_private_segment_buffer 1
		.amdhsa_user_sgpr_dispatch_ptr 0
		.amdhsa_user_sgpr_queue_ptr 0
		.amdhsa_user_sgpr_kernarg_segment_ptr 1
		.amdhsa_user_sgpr_dispatch_id 0
		.amdhsa_user_sgpr_flat_scratch_init 0
		.amdhsa_user_sgpr_kernarg_preload_length 0
		.amdhsa_user_sgpr_kernarg_preload_offset 0
		.amdhsa_user_sgpr_private_segment_size 0
		.amdhsa_uses_dynamic_stack 0
		.amdhsa_system_sgpr_private_segment_wavefront_offset 0
		.amdhsa_system_sgpr_workgroup_id_x 1
		.amdhsa_system_sgpr_workgroup_id_y 0
		.amdhsa_system_sgpr_workgroup_id_z 0
		.amdhsa_system_sgpr_workgroup_info 0
		.amdhsa_system_vgpr_workitem_id 0
		.amdhsa_next_free_vgpr 1
		.amdhsa_next_free_sgpr 0
		.amdhsa_accum_offset 4
		.amdhsa_reserve_vcc 0
		.amdhsa_reserve_flat_scratch 0
		.amdhsa_float_round_mode_32 0
		.amdhsa_float_round_mode_16_64 0
		.amdhsa_float_denorm_mode_32 3
		.amdhsa_float_denorm_mode_16_64 3
		.amdhsa_dx10_clamp 1
		.amdhsa_ieee_mode 1
		.amdhsa_fp16_overflow 0
		.amdhsa_tg_split 0
		.amdhsa_exception_fp_ieee_invalid_op 0
		.amdhsa_exception_fp_denorm_src 0
		.amdhsa_exception_fp_ieee_div_zero 0
		.amdhsa_exception_fp_ieee_overflow 0
		.amdhsa_exception_fp_ieee_underflow 0
		.amdhsa_exception_fp_ieee_inexact 0
		.amdhsa_exception_int_div_zero 0
	.end_amdhsa_kernel
	.section	.text._ZN7rocprim17ROCPRIM_400000_NS6detail17trampoline_kernelINS0_14default_configENS1_20scan_config_selectorItEEZZNS1_9scan_implILNS1_25lookback_scan_determinismE0ELb0ELb0ES3_N6thrust23THRUST_200600_302600_NS6detail15normal_iteratorINS9_10device_ptrItEEEESE_t11max_functorItEtEEDaPvRmT3_T4_T5_mT6_P12ihipStream_tbENKUlT_T0_E_clISt17integral_constantIbLb0EESU_EEDaSP_SQ_EUlSP_E0_NS1_11comp_targetILNS1_3genE3ELNS1_11target_archE908ELNS1_3gpuE7ELNS1_3repE0EEENS1_30default_config_static_selectorELNS0_4arch9wavefront6targetE1EEEvT1_,"axG",@progbits,_ZN7rocprim17ROCPRIM_400000_NS6detail17trampoline_kernelINS0_14default_configENS1_20scan_config_selectorItEEZZNS1_9scan_implILNS1_25lookback_scan_determinismE0ELb0ELb0ES3_N6thrust23THRUST_200600_302600_NS6detail15normal_iteratorINS9_10device_ptrItEEEESE_t11max_functorItEtEEDaPvRmT3_T4_T5_mT6_P12ihipStream_tbENKUlT_T0_E_clISt17integral_constantIbLb0EESU_EEDaSP_SQ_EUlSP_E0_NS1_11comp_targetILNS1_3genE3ELNS1_11target_archE908ELNS1_3gpuE7ELNS1_3repE0EEENS1_30default_config_static_selectorELNS0_4arch9wavefront6targetE1EEEvT1_,comdat
.Lfunc_end2423:
	.size	_ZN7rocprim17ROCPRIM_400000_NS6detail17trampoline_kernelINS0_14default_configENS1_20scan_config_selectorItEEZZNS1_9scan_implILNS1_25lookback_scan_determinismE0ELb0ELb0ES3_N6thrust23THRUST_200600_302600_NS6detail15normal_iteratorINS9_10device_ptrItEEEESE_t11max_functorItEtEEDaPvRmT3_T4_T5_mT6_P12ihipStream_tbENKUlT_T0_E_clISt17integral_constantIbLb0EESU_EEDaSP_SQ_EUlSP_E0_NS1_11comp_targetILNS1_3genE3ELNS1_11target_archE908ELNS1_3gpuE7ELNS1_3repE0EEENS1_30default_config_static_selectorELNS0_4arch9wavefront6targetE1EEEvT1_, .Lfunc_end2423-_ZN7rocprim17ROCPRIM_400000_NS6detail17trampoline_kernelINS0_14default_configENS1_20scan_config_selectorItEEZZNS1_9scan_implILNS1_25lookback_scan_determinismE0ELb0ELb0ES3_N6thrust23THRUST_200600_302600_NS6detail15normal_iteratorINS9_10device_ptrItEEEESE_t11max_functorItEtEEDaPvRmT3_T4_T5_mT6_P12ihipStream_tbENKUlT_T0_E_clISt17integral_constantIbLb0EESU_EEDaSP_SQ_EUlSP_E0_NS1_11comp_targetILNS1_3genE3ELNS1_11target_archE908ELNS1_3gpuE7ELNS1_3repE0EEENS1_30default_config_static_selectorELNS0_4arch9wavefront6targetE1EEEvT1_
                                        ; -- End function
	.section	.AMDGPU.csdata,"",@progbits
; Kernel info:
; codeLenInByte = 0
; NumSgprs: 4
; NumVgprs: 0
; NumAgprs: 0
; TotalNumVgprs: 0
; ScratchSize: 0
; MemoryBound: 0
; FloatMode: 240
; IeeeMode: 1
; LDSByteSize: 0 bytes/workgroup (compile time only)
; SGPRBlocks: 0
; VGPRBlocks: 0
; NumSGPRsForWavesPerEU: 4
; NumVGPRsForWavesPerEU: 1
; AccumOffset: 4
; Occupancy: 8
; WaveLimiterHint : 0
; COMPUTE_PGM_RSRC2:SCRATCH_EN: 0
; COMPUTE_PGM_RSRC2:USER_SGPR: 6
; COMPUTE_PGM_RSRC2:TRAP_HANDLER: 0
; COMPUTE_PGM_RSRC2:TGID_X_EN: 1
; COMPUTE_PGM_RSRC2:TGID_Y_EN: 0
; COMPUTE_PGM_RSRC2:TGID_Z_EN: 0
; COMPUTE_PGM_RSRC2:TIDIG_COMP_CNT: 0
; COMPUTE_PGM_RSRC3_GFX90A:ACCUM_OFFSET: 0
; COMPUTE_PGM_RSRC3_GFX90A:TG_SPLIT: 0
	.section	.text._ZN7rocprim17ROCPRIM_400000_NS6detail17trampoline_kernelINS0_14default_configENS1_20scan_config_selectorItEEZZNS1_9scan_implILNS1_25lookback_scan_determinismE0ELb0ELb0ES3_N6thrust23THRUST_200600_302600_NS6detail15normal_iteratorINS9_10device_ptrItEEEESE_t11max_functorItEtEEDaPvRmT3_T4_T5_mT6_P12ihipStream_tbENKUlT_T0_E_clISt17integral_constantIbLb0EESU_EEDaSP_SQ_EUlSP_E0_NS1_11comp_targetILNS1_3genE2ELNS1_11target_archE906ELNS1_3gpuE6ELNS1_3repE0EEENS1_30default_config_static_selectorELNS0_4arch9wavefront6targetE1EEEvT1_,"axG",@progbits,_ZN7rocprim17ROCPRIM_400000_NS6detail17trampoline_kernelINS0_14default_configENS1_20scan_config_selectorItEEZZNS1_9scan_implILNS1_25lookback_scan_determinismE0ELb0ELb0ES3_N6thrust23THRUST_200600_302600_NS6detail15normal_iteratorINS9_10device_ptrItEEEESE_t11max_functorItEtEEDaPvRmT3_T4_T5_mT6_P12ihipStream_tbENKUlT_T0_E_clISt17integral_constantIbLb0EESU_EEDaSP_SQ_EUlSP_E0_NS1_11comp_targetILNS1_3genE2ELNS1_11target_archE906ELNS1_3gpuE6ELNS1_3repE0EEENS1_30default_config_static_selectorELNS0_4arch9wavefront6targetE1EEEvT1_,comdat
	.protected	_ZN7rocprim17ROCPRIM_400000_NS6detail17trampoline_kernelINS0_14default_configENS1_20scan_config_selectorItEEZZNS1_9scan_implILNS1_25lookback_scan_determinismE0ELb0ELb0ES3_N6thrust23THRUST_200600_302600_NS6detail15normal_iteratorINS9_10device_ptrItEEEESE_t11max_functorItEtEEDaPvRmT3_T4_T5_mT6_P12ihipStream_tbENKUlT_T0_E_clISt17integral_constantIbLb0EESU_EEDaSP_SQ_EUlSP_E0_NS1_11comp_targetILNS1_3genE2ELNS1_11target_archE906ELNS1_3gpuE6ELNS1_3repE0EEENS1_30default_config_static_selectorELNS0_4arch9wavefront6targetE1EEEvT1_ ; -- Begin function _ZN7rocprim17ROCPRIM_400000_NS6detail17trampoline_kernelINS0_14default_configENS1_20scan_config_selectorItEEZZNS1_9scan_implILNS1_25lookback_scan_determinismE0ELb0ELb0ES3_N6thrust23THRUST_200600_302600_NS6detail15normal_iteratorINS9_10device_ptrItEEEESE_t11max_functorItEtEEDaPvRmT3_T4_T5_mT6_P12ihipStream_tbENKUlT_T0_E_clISt17integral_constantIbLb0EESU_EEDaSP_SQ_EUlSP_E0_NS1_11comp_targetILNS1_3genE2ELNS1_11target_archE906ELNS1_3gpuE6ELNS1_3repE0EEENS1_30default_config_static_selectorELNS0_4arch9wavefront6targetE1EEEvT1_
	.globl	_ZN7rocprim17ROCPRIM_400000_NS6detail17trampoline_kernelINS0_14default_configENS1_20scan_config_selectorItEEZZNS1_9scan_implILNS1_25lookback_scan_determinismE0ELb0ELb0ES3_N6thrust23THRUST_200600_302600_NS6detail15normal_iteratorINS9_10device_ptrItEEEESE_t11max_functorItEtEEDaPvRmT3_T4_T5_mT6_P12ihipStream_tbENKUlT_T0_E_clISt17integral_constantIbLb0EESU_EEDaSP_SQ_EUlSP_E0_NS1_11comp_targetILNS1_3genE2ELNS1_11target_archE906ELNS1_3gpuE6ELNS1_3repE0EEENS1_30default_config_static_selectorELNS0_4arch9wavefront6targetE1EEEvT1_
	.p2align	8
	.type	_ZN7rocprim17ROCPRIM_400000_NS6detail17trampoline_kernelINS0_14default_configENS1_20scan_config_selectorItEEZZNS1_9scan_implILNS1_25lookback_scan_determinismE0ELb0ELb0ES3_N6thrust23THRUST_200600_302600_NS6detail15normal_iteratorINS9_10device_ptrItEEEESE_t11max_functorItEtEEDaPvRmT3_T4_T5_mT6_P12ihipStream_tbENKUlT_T0_E_clISt17integral_constantIbLb0EESU_EEDaSP_SQ_EUlSP_E0_NS1_11comp_targetILNS1_3genE2ELNS1_11target_archE906ELNS1_3gpuE6ELNS1_3repE0EEENS1_30default_config_static_selectorELNS0_4arch9wavefront6targetE1EEEvT1_,@function
_ZN7rocprim17ROCPRIM_400000_NS6detail17trampoline_kernelINS0_14default_configENS1_20scan_config_selectorItEEZZNS1_9scan_implILNS1_25lookback_scan_determinismE0ELb0ELb0ES3_N6thrust23THRUST_200600_302600_NS6detail15normal_iteratorINS9_10device_ptrItEEEESE_t11max_functorItEtEEDaPvRmT3_T4_T5_mT6_P12ihipStream_tbENKUlT_T0_E_clISt17integral_constantIbLb0EESU_EEDaSP_SQ_EUlSP_E0_NS1_11comp_targetILNS1_3genE2ELNS1_11target_archE906ELNS1_3gpuE6ELNS1_3repE0EEENS1_30default_config_static_selectorELNS0_4arch9wavefront6targetE1EEEvT1_: ; @_ZN7rocprim17ROCPRIM_400000_NS6detail17trampoline_kernelINS0_14default_configENS1_20scan_config_selectorItEEZZNS1_9scan_implILNS1_25lookback_scan_determinismE0ELb0ELb0ES3_N6thrust23THRUST_200600_302600_NS6detail15normal_iteratorINS9_10device_ptrItEEEESE_t11max_functorItEtEEDaPvRmT3_T4_T5_mT6_P12ihipStream_tbENKUlT_T0_E_clISt17integral_constantIbLb0EESU_EEDaSP_SQ_EUlSP_E0_NS1_11comp_targetILNS1_3genE2ELNS1_11target_archE906ELNS1_3gpuE6ELNS1_3repE0EEENS1_30default_config_static_selectorELNS0_4arch9wavefront6targetE1EEEvT1_
; %bb.0:
	.section	.rodata,"a",@progbits
	.p2align	6, 0x0
	.amdhsa_kernel _ZN7rocprim17ROCPRIM_400000_NS6detail17trampoline_kernelINS0_14default_configENS1_20scan_config_selectorItEEZZNS1_9scan_implILNS1_25lookback_scan_determinismE0ELb0ELb0ES3_N6thrust23THRUST_200600_302600_NS6detail15normal_iteratorINS9_10device_ptrItEEEESE_t11max_functorItEtEEDaPvRmT3_T4_T5_mT6_P12ihipStream_tbENKUlT_T0_E_clISt17integral_constantIbLb0EESU_EEDaSP_SQ_EUlSP_E0_NS1_11comp_targetILNS1_3genE2ELNS1_11target_archE906ELNS1_3gpuE6ELNS1_3repE0EEENS1_30default_config_static_selectorELNS0_4arch9wavefront6targetE1EEEvT1_
		.amdhsa_group_segment_fixed_size 0
		.amdhsa_private_segment_fixed_size 0
		.amdhsa_kernarg_size 32
		.amdhsa_user_sgpr_count 6
		.amdhsa_user_sgpr_private_segment_buffer 1
		.amdhsa_user_sgpr_dispatch_ptr 0
		.amdhsa_user_sgpr_queue_ptr 0
		.amdhsa_user_sgpr_kernarg_segment_ptr 1
		.amdhsa_user_sgpr_dispatch_id 0
		.amdhsa_user_sgpr_flat_scratch_init 0
		.amdhsa_user_sgpr_kernarg_preload_length 0
		.amdhsa_user_sgpr_kernarg_preload_offset 0
		.amdhsa_user_sgpr_private_segment_size 0
		.amdhsa_uses_dynamic_stack 0
		.amdhsa_system_sgpr_private_segment_wavefront_offset 0
		.amdhsa_system_sgpr_workgroup_id_x 1
		.amdhsa_system_sgpr_workgroup_id_y 0
		.amdhsa_system_sgpr_workgroup_id_z 0
		.amdhsa_system_sgpr_workgroup_info 0
		.amdhsa_system_vgpr_workitem_id 0
		.amdhsa_next_free_vgpr 1
		.amdhsa_next_free_sgpr 0
		.amdhsa_accum_offset 4
		.amdhsa_reserve_vcc 0
		.amdhsa_reserve_flat_scratch 0
		.amdhsa_float_round_mode_32 0
		.amdhsa_float_round_mode_16_64 0
		.amdhsa_float_denorm_mode_32 3
		.amdhsa_float_denorm_mode_16_64 3
		.amdhsa_dx10_clamp 1
		.amdhsa_ieee_mode 1
		.amdhsa_fp16_overflow 0
		.amdhsa_tg_split 0
		.amdhsa_exception_fp_ieee_invalid_op 0
		.amdhsa_exception_fp_denorm_src 0
		.amdhsa_exception_fp_ieee_div_zero 0
		.amdhsa_exception_fp_ieee_overflow 0
		.amdhsa_exception_fp_ieee_underflow 0
		.amdhsa_exception_fp_ieee_inexact 0
		.amdhsa_exception_int_div_zero 0
	.end_amdhsa_kernel
	.section	.text._ZN7rocprim17ROCPRIM_400000_NS6detail17trampoline_kernelINS0_14default_configENS1_20scan_config_selectorItEEZZNS1_9scan_implILNS1_25lookback_scan_determinismE0ELb0ELb0ES3_N6thrust23THRUST_200600_302600_NS6detail15normal_iteratorINS9_10device_ptrItEEEESE_t11max_functorItEtEEDaPvRmT3_T4_T5_mT6_P12ihipStream_tbENKUlT_T0_E_clISt17integral_constantIbLb0EESU_EEDaSP_SQ_EUlSP_E0_NS1_11comp_targetILNS1_3genE2ELNS1_11target_archE906ELNS1_3gpuE6ELNS1_3repE0EEENS1_30default_config_static_selectorELNS0_4arch9wavefront6targetE1EEEvT1_,"axG",@progbits,_ZN7rocprim17ROCPRIM_400000_NS6detail17trampoline_kernelINS0_14default_configENS1_20scan_config_selectorItEEZZNS1_9scan_implILNS1_25lookback_scan_determinismE0ELb0ELb0ES3_N6thrust23THRUST_200600_302600_NS6detail15normal_iteratorINS9_10device_ptrItEEEESE_t11max_functorItEtEEDaPvRmT3_T4_T5_mT6_P12ihipStream_tbENKUlT_T0_E_clISt17integral_constantIbLb0EESU_EEDaSP_SQ_EUlSP_E0_NS1_11comp_targetILNS1_3genE2ELNS1_11target_archE906ELNS1_3gpuE6ELNS1_3repE0EEENS1_30default_config_static_selectorELNS0_4arch9wavefront6targetE1EEEvT1_,comdat
.Lfunc_end2424:
	.size	_ZN7rocprim17ROCPRIM_400000_NS6detail17trampoline_kernelINS0_14default_configENS1_20scan_config_selectorItEEZZNS1_9scan_implILNS1_25lookback_scan_determinismE0ELb0ELb0ES3_N6thrust23THRUST_200600_302600_NS6detail15normal_iteratorINS9_10device_ptrItEEEESE_t11max_functorItEtEEDaPvRmT3_T4_T5_mT6_P12ihipStream_tbENKUlT_T0_E_clISt17integral_constantIbLb0EESU_EEDaSP_SQ_EUlSP_E0_NS1_11comp_targetILNS1_3genE2ELNS1_11target_archE906ELNS1_3gpuE6ELNS1_3repE0EEENS1_30default_config_static_selectorELNS0_4arch9wavefront6targetE1EEEvT1_, .Lfunc_end2424-_ZN7rocprim17ROCPRIM_400000_NS6detail17trampoline_kernelINS0_14default_configENS1_20scan_config_selectorItEEZZNS1_9scan_implILNS1_25lookback_scan_determinismE0ELb0ELb0ES3_N6thrust23THRUST_200600_302600_NS6detail15normal_iteratorINS9_10device_ptrItEEEESE_t11max_functorItEtEEDaPvRmT3_T4_T5_mT6_P12ihipStream_tbENKUlT_T0_E_clISt17integral_constantIbLb0EESU_EEDaSP_SQ_EUlSP_E0_NS1_11comp_targetILNS1_3genE2ELNS1_11target_archE906ELNS1_3gpuE6ELNS1_3repE0EEENS1_30default_config_static_selectorELNS0_4arch9wavefront6targetE1EEEvT1_
                                        ; -- End function
	.section	.AMDGPU.csdata,"",@progbits
; Kernel info:
; codeLenInByte = 0
; NumSgprs: 4
; NumVgprs: 0
; NumAgprs: 0
; TotalNumVgprs: 0
; ScratchSize: 0
; MemoryBound: 0
; FloatMode: 240
; IeeeMode: 1
; LDSByteSize: 0 bytes/workgroup (compile time only)
; SGPRBlocks: 0
; VGPRBlocks: 0
; NumSGPRsForWavesPerEU: 4
; NumVGPRsForWavesPerEU: 1
; AccumOffset: 4
; Occupancy: 8
; WaveLimiterHint : 0
; COMPUTE_PGM_RSRC2:SCRATCH_EN: 0
; COMPUTE_PGM_RSRC2:USER_SGPR: 6
; COMPUTE_PGM_RSRC2:TRAP_HANDLER: 0
; COMPUTE_PGM_RSRC2:TGID_X_EN: 1
; COMPUTE_PGM_RSRC2:TGID_Y_EN: 0
; COMPUTE_PGM_RSRC2:TGID_Z_EN: 0
; COMPUTE_PGM_RSRC2:TIDIG_COMP_CNT: 0
; COMPUTE_PGM_RSRC3_GFX90A:ACCUM_OFFSET: 0
; COMPUTE_PGM_RSRC3_GFX90A:TG_SPLIT: 0
	.section	.text._ZN7rocprim17ROCPRIM_400000_NS6detail17trampoline_kernelINS0_14default_configENS1_20scan_config_selectorItEEZZNS1_9scan_implILNS1_25lookback_scan_determinismE0ELb0ELb0ES3_N6thrust23THRUST_200600_302600_NS6detail15normal_iteratorINS9_10device_ptrItEEEESE_t11max_functorItEtEEDaPvRmT3_T4_T5_mT6_P12ihipStream_tbENKUlT_T0_E_clISt17integral_constantIbLb0EESU_EEDaSP_SQ_EUlSP_E0_NS1_11comp_targetILNS1_3genE10ELNS1_11target_archE1201ELNS1_3gpuE5ELNS1_3repE0EEENS1_30default_config_static_selectorELNS0_4arch9wavefront6targetE1EEEvT1_,"axG",@progbits,_ZN7rocprim17ROCPRIM_400000_NS6detail17trampoline_kernelINS0_14default_configENS1_20scan_config_selectorItEEZZNS1_9scan_implILNS1_25lookback_scan_determinismE0ELb0ELb0ES3_N6thrust23THRUST_200600_302600_NS6detail15normal_iteratorINS9_10device_ptrItEEEESE_t11max_functorItEtEEDaPvRmT3_T4_T5_mT6_P12ihipStream_tbENKUlT_T0_E_clISt17integral_constantIbLb0EESU_EEDaSP_SQ_EUlSP_E0_NS1_11comp_targetILNS1_3genE10ELNS1_11target_archE1201ELNS1_3gpuE5ELNS1_3repE0EEENS1_30default_config_static_selectorELNS0_4arch9wavefront6targetE1EEEvT1_,comdat
	.protected	_ZN7rocprim17ROCPRIM_400000_NS6detail17trampoline_kernelINS0_14default_configENS1_20scan_config_selectorItEEZZNS1_9scan_implILNS1_25lookback_scan_determinismE0ELb0ELb0ES3_N6thrust23THRUST_200600_302600_NS6detail15normal_iteratorINS9_10device_ptrItEEEESE_t11max_functorItEtEEDaPvRmT3_T4_T5_mT6_P12ihipStream_tbENKUlT_T0_E_clISt17integral_constantIbLb0EESU_EEDaSP_SQ_EUlSP_E0_NS1_11comp_targetILNS1_3genE10ELNS1_11target_archE1201ELNS1_3gpuE5ELNS1_3repE0EEENS1_30default_config_static_selectorELNS0_4arch9wavefront6targetE1EEEvT1_ ; -- Begin function _ZN7rocprim17ROCPRIM_400000_NS6detail17trampoline_kernelINS0_14default_configENS1_20scan_config_selectorItEEZZNS1_9scan_implILNS1_25lookback_scan_determinismE0ELb0ELb0ES3_N6thrust23THRUST_200600_302600_NS6detail15normal_iteratorINS9_10device_ptrItEEEESE_t11max_functorItEtEEDaPvRmT3_T4_T5_mT6_P12ihipStream_tbENKUlT_T0_E_clISt17integral_constantIbLb0EESU_EEDaSP_SQ_EUlSP_E0_NS1_11comp_targetILNS1_3genE10ELNS1_11target_archE1201ELNS1_3gpuE5ELNS1_3repE0EEENS1_30default_config_static_selectorELNS0_4arch9wavefront6targetE1EEEvT1_
	.globl	_ZN7rocprim17ROCPRIM_400000_NS6detail17trampoline_kernelINS0_14default_configENS1_20scan_config_selectorItEEZZNS1_9scan_implILNS1_25lookback_scan_determinismE0ELb0ELb0ES3_N6thrust23THRUST_200600_302600_NS6detail15normal_iteratorINS9_10device_ptrItEEEESE_t11max_functorItEtEEDaPvRmT3_T4_T5_mT6_P12ihipStream_tbENKUlT_T0_E_clISt17integral_constantIbLb0EESU_EEDaSP_SQ_EUlSP_E0_NS1_11comp_targetILNS1_3genE10ELNS1_11target_archE1201ELNS1_3gpuE5ELNS1_3repE0EEENS1_30default_config_static_selectorELNS0_4arch9wavefront6targetE1EEEvT1_
	.p2align	8
	.type	_ZN7rocprim17ROCPRIM_400000_NS6detail17trampoline_kernelINS0_14default_configENS1_20scan_config_selectorItEEZZNS1_9scan_implILNS1_25lookback_scan_determinismE0ELb0ELb0ES3_N6thrust23THRUST_200600_302600_NS6detail15normal_iteratorINS9_10device_ptrItEEEESE_t11max_functorItEtEEDaPvRmT3_T4_T5_mT6_P12ihipStream_tbENKUlT_T0_E_clISt17integral_constantIbLb0EESU_EEDaSP_SQ_EUlSP_E0_NS1_11comp_targetILNS1_3genE10ELNS1_11target_archE1201ELNS1_3gpuE5ELNS1_3repE0EEENS1_30default_config_static_selectorELNS0_4arch9wavefront6targetE1EEEvT1_,@function
_ZN7rocprim17ROCPRIM_400000_NS6detail17trampoline_kernelINS0_14default_configENS1_20scan_config_selectorItEEZZNS1_9scan_implILNS1_25lookback_scan_determinismE0ELb0ELb0ES3_N6thrust23THRUST_200600_302600_NS6detail15normal_iteratorINS9_10device_ptrItEEEESE_t11max_functorItEtEEDaPvRmT3_T4_T5_mT6_P12ihipStream_tbENKUlT_T0_E_clISt17integral_constantIbLb0EESU_EEDaSP_SQ_EUlSP_E0_NS1_11comp_targetILNS1_3genE10ELNS1_11target_archE1201ELNS1_3gpuE5ELNS1_3repE0EEENS1_30default_config_static_selectorELNS0_4arch9wavefront6targetE1EEEvT1_: ; @_ZN7rocprim17ROCPRIM_400000_NS6detail17trampoline_kernelINS0_14default_configENS1_20scan_config_selectorItEEZZNS1_9scan_implILNS1_25lookback_scan_determinismE0ELb0ELb0ES3_N6thrust23THRUST_200600_302600_NS6detail15normal_iteratorINS9_10device_ptrItEEEESE_t11max_functorItEtEEDaPvRmT3_T4_T5_mT6_P12ihipStream_tbENKUlT_T0_E_clISt17integral_constantIbLb0EESU_EEDaSP_SQ_EUlSP_E0_NS1_11comp_targetILNS1_3genE10ELNS1_11target_archE1201ELNS1_3gpuE5ELNS1_3repE0EEENS1_30default_config_static_selectorELNS0_4arch9wavefront6targetE1EEEvT1_
; %bb.0:
	.section	.rodata,"a",@progbits
	.p2align	6, 0x0
	.amdhsa_kernel _ZN7rocprim17ROCPRIM_400000_NS6detail17trampoline_kernelINS0_14default_configENS1_20scan_config_selectorItEEZZNS1_9scan_implILNS1_25lookback_scan_determinismE0ELb0ELb0ES3_N6thrust23THRUST_200600_302600_NS6detail15normal_iteratorINS9_10device_ptrItEEEESE_t11max_functorItEtEEDaPvRmT3_T4_T5_mT6_P12ihipStream_tbENKUlT_T0_E_clISt17integral_constantIbLb0EESU_EEDaSP_SQ_EUlSP_E0_NS1_11comp_targetILNS1_3genE10ELNS1_11target_archE1201ELNS1_3gpuE5ELNS1_3repE0EEENS1_30default_config_static_selectorELNS0_4arch9wavefront6targetE1EEEvT1_
		.amdhsa_group_segment_fixed_size 0
		.amdhsa_private_segment_fixed_size 0
		.amdhsa_kernarg_size 32
		.amdhsa_user_sgpr_count 6
		.amdhsa_user_sgpr_private_segment_buffer 1
		.amdhsa_user_sgpr_dispatch_ptr 0
		.amdhsa_user_sgpr_queue_ptr 0
		.amdhsa_user_sgpr_kernarg_segment_ptr 1
		.amdhsa_user_sgpr_dispatch_id 0
		.amdhsa_user_sgpr_flat_scratch_init 0
		.amdhsa_user_sgpr_kernarg_preload_length 0
		.amdhsa_user_sgpr_kernarg_preload_offset 0
		.amdhsa_user_sgpr_private_segment_size 0
		.amdhsa_uses_dynamic_stack 0
		.amdhsa_system_sgpr_private_segment_wavefront_offset 0
		.amdhsa_system_sgpr_workgroup_id_x 1
		.amdhsa_system_sgpr_workgroup_id_y 0
		.amdhsa_system_sgpr_workgroup_id_z 0
		.amdhsa_system_sgpr_workgroup_info 0
		.amdhsa_system_vgpr_workitem_id 0
		.amdhsa_next_free_vgpr 1
		.amdhsa_next_free_sgpr 0
		.amdhsa_accum_offset 4
		.amdhsa_reserve_vcc 0
		.amdhsa_reserve_flat_scratch 0
		.amdhsa_float_round_mode_32 0
		.amdhsa_float_round_mode_16_64 0
		.amdhsa_float_denorm_mode_32 3
		.amdhsa_float_denorm_mode_16_64 3
		.amdhsa_dx10_clamp 1
		.amdhsa_ieee_mode 1
		.amdhsa_fp16_overflow 0
		.amdhsa_tg_split 0
		.amdhsa_exception_fp_ieee_invalid_op 0
		.amdhsa_exception_fp_denorm_src 0
		.amdhsa_exception_fp_ieee_div_zero 0
		.amdhsa_exception_fp_ieee_overflow 0
		.amdhsa_exception_fp_ieee_underflow 0
		.amdhsa_exception_fp_ieee_inexact 0
		.amdhsa_exception_int_div_zero 0
	.end_amdhsa_kernel
	.section	.text._ZN7rocprim17ROCPRIM_400000_NS6detail17trampoline_kernelINS0_14default_configENS1_20scan_config_selectorItEEZZNS1_9scan_implILNS1_25lookback_scan_determinismE0ELb0ELb0ES3_N6thrust23THRUST_200600_302600_NS6detail15normal_iteratorINS9_10device_ptrItEEEESE_t11max_functorItEtEEDaPvRmT3_T4_T5_mT6_P12ihipStream_tbENKUlT_T0_E_clISt17integral_constantIbLb0EESU_EEDaSP_SQ_EUlSP_E0_NS1_11comp_targetILNS1_3genE10ELNS1_11target_archE1201ELNS1_3gpuE5ELNS1_3repE0EEENS1_30default_config_static_selectorELNS0_4arch9wavefront6targetE1EEEvT1_,"axG",@progbits,_ZN7rocprim17ROCPRIM_400000_NS6detail17trampoline_kernelINS0_14default_configENS1_20scan_config_selectorItEEZZNS1_9scan_implILNS1_25lookback_scan_determinismE0ELb0ELb0ES3_N6thrust23THRUST_200600_302600_NS6detail15normal_iteratorINS9_10device_ptrItEEEESE_t11max_functorItEtEEDaPvRmT3_T4_T5_mT6_P12ihipStream_tbENKUlT_T0_E_clISt17integral_constantIbLb0EESU_EEDaSP_SQ_EUlSP_E0_NS1_11comp_targetILNS1_3genE10ELNS1_11target_archE1201ELNS1_3gpuE5ELNS1_3repE0EEENS1_30default_config_static_selectorELNS0_4arch9wavefront6targetE1EEEvT1_,comdat
.Lfunc_end2425:
	.size	_ZN7rocprim17ROCPRIM_400000_NS6detail17trampoline_kernelINS0_14default_configENS1_20scan_config_selectorItEEZZNS1_9scan_implILNS1_25lookback_scan_determinismE0ELb0ELb0ES3_N6thrust23THRUST_200600_302600_NS6detail15normal_iteratorINS9_10device_ptrItEEEESE_t11max_functorItEtEEDaPvRmT3_T4_T5_mT6_P12ihipStream_tbENKUlT_T0_E_clISt17integral_constantIbLb0EESU_EEDaSP_SQ_EUlSP_E0_NS1_11comp_targetILNS1_3genE10ELNS1_11target_archE1201ELNS1_3gpuE5ELNS1_3repE0EEENS1_30default_config_static_selectorELNS0_4arch9wavefront6targetE1EEEvT1_, .Lfunc_end2425-_ZN7rocprim17ROCPRIM_400000_NS6detail17trampoline_kernelINS0_14default_configENS1_20scan_config_selectorItEEZZNS1_9scan_implILNS1_25lookback_scan_determinismE0ELb0ELb0ES3_N6thrust23THRUST_200600_302600_NS6detail15normal_iteratorINS9_10device_ptrItEEEESE_t11max_functorItEtEEDaPvRmT3_T4_T5_mT6_P12ihipStream_tbENKUlT_T0_E_clISt17integral_constantIbLb0EESU_EEDaSP_SQ_EUlSP_E0_NS1_11comp_targetILNS1_3genE10ELNS1_11target_archE1201ELNS1_3gpuE5ELNS1_3repE0EEENS1_30default_config_static_selectorELNS0_4arch9wavefront6targetE1EEEvT1_
                                        ; -- End function
	.section	.AMDGPU.csdata,"",@progbits
; Kernel info:
; codeLenInByte = 0
; NumSgprs: 4
; NumVgprs: 0
; NumAgprs: 0
; TotalNumVgprs: 0
; ScratchSize: 0
; MemoryBound: 0
; FloatMode: 240
; IeeeMode: 1
; LDSByteSize: 0 bytes/workgroup (compile time only)
; SGPRBlocks: 0
; VGPRBlocks: 0
; NumSGPRsForWavesPerEU: 4
; NumVGPRsForWavesPerEU: 1
; AccumOffset: 4
; Occupancy: 8
; WaveLimiterHint : 0
; COMPUTE_PGM_RSRC2:SCRATCH_EN: 0
; COMPUTE_PGM_RSRC2:USER_SGPR: 6
; COMPUTE_PGM_RSRC2:TRAP_HANDLER: 0
; COMPUTE_PGM_RSRC2:TGID_X_EN: 1
; COMPUTE_PGM_RSRC2:TGID_Y_EN: 0
; COMPUTE_PGM_RSRC2:TGID_Z_EN: 0
; COMPUTE_PGM_RSRC2:TIDIG_COMP_CNT: 0
; COMPUTE_PGM_RSRC3_GFX90A:ACCUM_OFFSET: 0
; COMPUTE_PGM_RSRC3_GFX90A:TG_SPLIT: 0
	.section	.text._ZN7rocprim17ROCPRIM_400000_NS6detail17trampoline_kernelINS0_14default_configENS1_20scan_config_selectorItEEZZNS1_9scan_implILNS1_25lookback_scan_determinismE0ELb0ELb0ES3_N6thrust23THRUST_200600_302600_NS6detail15normal_iteratorINS9_10device_ptrItEEEESE_t11max_functorItEtEEDaPvRmT3_T4_T5_mT6_P12ihipStream_tbENKUlT_T0_E_clISt17integral_constantIbLb0EESU_EEDaSP_SQ_EUlSP_E0_NS1_11comp_targetILNS1_3genE10ELNS1_11target_archE1200ELNS1_3gpuE4ELNS1_3repE0EEENS1_30default_config_static_selectorELNS0_4arch9wavefront6targetE1EEEvT1_,"axG",@progbits,_ZN7rocprim17ROCPRIM_400000_NS6detail17trampoline_kernelINS0_14default_configENS1_20scan_config_selectorItEEZZNS1_9scan_implILNS1_25lookback_scan_determinismE0ELb0ELb0ES3_N6thrust23THRUST_200600_302600_NS6detail15normal_iteratorINS9_10device_ptrItEEEESE_t11max_functorItEtEEDaPvRmT3_T4_T5_mT6_P12ihipStream_tbENKUlT_T0_E_clISt17integral_constantIbLb0EESU_EEDaSP_SQ_EUlSP_E0_NS1_11comp_targetILNS1_3genE10ELNS1_11target_archE1200ELNS1_3gpuE4ELNS1_3repE0EEENS1_30default_config_static_selectorELNS0_4arch9wavefront6targetE1EEEvT1_,comdat
	.protected	_ZN7rocprim17ROCPRIM_400000_NS6detail17trampoline_kernelINS0_14default_configENS1_20scan_config_selectorItEEZZNS1_9scan_implILNS1_25lookback_scan_determinismE0ELb0ELb0ES3_N6thrust23THRUST_200600_302600_NS6detail15normal_iteratorINS9_10device_ptrItEEEESE_t11max_functorItEtEEDaPvRmT3_T4_T5_mT6_P12ihipStream_tbENKUlT_T0_E_clISt17integral_constantIbLb0EESU_EEDaSP_SQ_EUlSP_E0_NS1_11comp_targetILNS1_3genE10ELNS1_11target_archE1200ELNS1_3gpuE4ELNS1_3repE0EEENS1_30default_config_static_selectorELNS0_4arch9wavefront6targetE1EEEvT1_ ; -- Begin function _ZN7rocprim17ROCPRIM_400000_NS6detail17trampoline_kernelINS0_14default_configENS1_20scan_config_selectorItEEZZNS1_9scan_implILNS1_25lookback_scan_determinismE0ELb0ELb0ES3_N6thrust23THRUST_200600_302600_NS6detail15normal_iteratorINS9_10device_ptrItEEEESE_t11max_functorItEtEEDaPvRmT3_T4_T5_mT6_P12ihipStream_tbENKUlT_T0_E_clISt17integral_constantIbLb0EESU_EEDaSP_SQ_EUlSP_E0_NS1_11comp_targetILNS1_3genE10ELNS1_11target_archE1200ELNS1_3gpuE4ELNS1_3repE0EEENS1_30default_config_static_selectorELNS0_4arch9wavefront6targetE1EEEvT1_
	.globl	_ZN7rocprim17ROCPRIM_400000_NS6detail17trampoline_kernelINS0_14default_configENS1_20scan_config_selectorItEEZZNS1_9scan_implILNS1_25lookback_scan_determinismE0ELb0ELb0ES3_N6thrust23THRUST_200600_302600_NS6detail15normal_iteratorINS9_10device_ptrItEEEESE_t11max_functorItEtEEDaPvRmT3_T4_T5_mT6_P12ihipStream_tbENKUlT_T0_E_clISt17integral_constantIbLb0EESU_EEDaSP_SQ_EUlSP_E0_NS1_11comp_targetILNS1_3genE10ELNS1_11target_archE1200ELNS1_3gpuE4ELNS1_3repE0EEENS1_30default_config_static_selectorELNS0_4arch9wavefront6targetE1EEEvT1_
	.p2align	8
	.type	_ZN7rocprim17ROCPRIM_400000_NS6detail17trampoline_kernelINS0_14default_configENS1_20scan_config_selectorItEEZZNS1_9scan_implILNS1_25lookback_scan_determinismE0ELb0ELb0ES3_N6thrust23THRUST_200600_302600_NS6detail15normal_iteratorINS9_10device_ptrItEEEESE_t11max_functorItEtEEDaPvRmT3_T4_T5_mT6_P12ihipStream_tbENKUlT_T0_E_clISt17integral_constantIbLb0EESU_EEDaSP_SQ_EUlSP_E0_NS1_11comp_targetILNS1_3genE10ELNS1_11target_archE1200ELNS1_3gpuE4ELNS1_3repE0EEENS1_30default_config_static_selectorELNS0_4arch9wavefront6targetE1EEEvT1_,@function
_ZN7rocprim17ROCPRIM_400000_NS6detail17trampoline_kernelINS0_14default_configENS1_20scan_config_selectorItEEZZNS1_9scan_implILNS1_25lookback_scan_determinismE0ELb0ELb0ES3_N6thrust23THRUST_200600_302600_NS6detail15normal_iteratorINS9_10device_ptrItEEEESE_t11max_functorItEtEEDaPvRmT3_T4_T5_mT6_P12ihipStream_tbENKUlT_T0_E_clISt17integral_constantIbLb0EESU_EEDaSP_SQ_EUlSP_E0_NS1_11comp_targetILNS1_3genE10ELNS1_11target_archE1200ELNS1_3gpuE4ELNS1_3repE0EEENS1_30default_config_static_selectorELNS0_4arch9wavefront6targetE1EEEvT1_: ; @_ZN7rocprim17ROCPRIM_400000_NS6detail17trampoline_kernelINS0_14default_configENS1_20scan_config_selectorItEEZZNS1_9scan_implILNS1_25lookback_scan_determinismE0ELb0ELb0ES3_N6thrust23THRUST_200600_302600_NS6detail15normal_iteratorINS9_10device_ptrItEEEESE_t11max_functorItEtEEDaPvRmT3_T4_T5_mT6_P12ihipStream_tbENKUlT_T0_E_clISt17integral_constantIbLb0EESU_EEDaSP_SQ_EUlSP_E0_NS1_11comp_targetILNS1_3genE10ELNS1_11target_archE1200ELNS1_3gpuE4ELNS1_3repE0EEENS1_30default_config_static_selectorELNS0_4arch9wavefront6targetE1EEEvT1_
; %bb.0:
	.section	.rodata,"a",@progbits
	.p2align	6, 0x0
	.amdhsa_kernel _ZN7rocprim17ROCPRIM_400000_NS6detail17trampoline_kernelINS0_14default_configENS1_20scan_config_selectorItEEZZNS1_9scan_implILNS1_25lookback_scan_determinismE0ELb0ELb0ES3_N6thrust23THRUST_200600_302600_NS6detail15normal_iteratorINS9_10device_ptrItEEEESE_t11max_functorItEtEEDaPvRmT3_T4_T5_mT6_P12ihipStream_tbENKUlT_T0_E_clISt17integral_constantIbLb0EESU_EEDaSP_SQ_EUlSP_E0_NS1_11comp_targetILNS1_3genE10ELNS1_11target_archE1200ELNS1_3gpuE4ELNS1_3repE0EEENS1_30default_config_static_selectorELNS0_4arch9wavefront6targetE1EEEvT1_
		.amdhsa_group_segment_fixed_size 0
		.amdhsa_private_segment_fixed_size 0
		.amdhsa_kernarg_size 32
		.amdhsa_user_sgpr_count 6
		.amdhsa_user_sgpr_private_segment_buffer 1
		.amdhsa_user_sgpr_dispatch_ptr 0
		.amdhsa_user_sgpr_queue_ptr 0
		.amdhsa_user_sgpr_kernarg_segment_ptr 1
		.amdhsa_user_sgpr_dispatch_id 0
		.amdhsa_user_sgpr_flat_scratch_init 0
		.amdhsa_user_sgpr_kernarg_preload_length 0
		.amdhsa_user_sgpr_kernarg_preload_offset 0
		.amdhsa_user_sgpr_private_segment_size 0
		.amdhsa_uses_dynamic_stack 0
		.amdhsa_system_sgpr_private_segment_wavefront_offset 0
		.amdhsa_system_sgpr_workgroup_id_x 1
		.amdhsa_system_sgpr_workgroup_id_y 0
		.amdhsa_system_sgpr_workgroup_id_z 0
		.amdhsa_system_sgpr_workgroup_info 0
		.amdhsa_system_vgpr_workitem_id 0
		.amdhsa_next_free_vgpr 1
		.amdhsa_next_free_sgpr 0
		.amdhsa_accum_offset 4
		.amdhsa_reserve_vcc 0
		.amdhsa_reserve_flat_scratch 0
		.amdhsa_float_round_mode_32 0
		.amdhsa_float_round_mode_16_64 0
		.amdhsa_float_denorm_mode_32 3
		.amdhsa_float_denorm_mode_16_64 3
		.amdhsa_dx10_clamp 1
		.amdhsa_ieee_mode 1
		.amdhsa_fp16_overflow 0
		.amdhsa_tg_split 0
		.amdhsa_exception_fp_ieee_invalid_op 0
		.amdhsa_exception_fp_denorm_src 0
		.amdhsa_exception_fp_ieee_div_zero 0
		.amdhsa_exception_fp_ieee_overflow 0
		.amdhsa_exception_fp_ieee_underflow 0
		.amdhsa_exception_fp_ieee_inexact 0
		.amdhsa_exception_int_div_zero 0
	.end_amdhsa_kernel
	.section	.text._ZN7rocprim17ROCPRIM_400000_NS6detail17trampoline_kernelINS0_14default_configENS1_20scan_config_selectorItEEZZNS1_9scan_implILNS1_25lookback_scan_determinismE0ELb0ELb0ES3_N6thrust23THRUST_200600_302600_NS6detail15normal_iteratorINS9_10device_ptrItEEEESE_t11max_functorItEtEEDaPvRmT3_T4_T5_mT6_P12ihipStream_tbENKUlT_T0_E_clISt17integral_constantIbLb0EESU_EEDaSP_SQ_EUlSP_E0_NS1_11comp_targetILNS1_3genE10ELNS1_11target_archE1200ELNS1_3gpuE4ELNS1_3repE0EEENS1_30default_config_static_selectorELNS0_4arch9wavefront6targetE1EEEvT1_,"axG",@progbits,_ZN7rocprim17ROCPRIM_400000_NS6detail17trampoline_kernelINS0_14default_configENS1_20scan_config_selectorItEEZZNS1_9scan_implILNS1_25lookback_scan_determinismE0ELb0ELb0ES3_N6thrust23THRUST_200600_302600_NS6detail15normal_iteratorINS9_10device_ptrItEEEESE_t11max_functorItEtEEDaPvRmT3_T4_T5_mT6_P12ihipStream_tbENKUlT_T0_E_clISt17integral_constantIbLb0EESU_EEDaSP_SQ_EUlSP_E0_NS1_11comp_targetILNS1_3genE10ELNS1_11target_archE1200ELNS1_3gpuE4ELNS1_3repE0EEENS1_30default_config_static_selectorELNS0_4arch9wavefront6targetE1EEEvT1_,comdat
.Lfunc_end2426:
	.size	_ZN7rocprim17ROCPRIM_400000_NS6detail17trampoline_kernelINS0_14default_configENS1_20scan_config_selectorItEEZZNS1_9scan_implILNS1_25lookback_scan_determinismE0ELb0ELb0ES3_N6thrust23THRUST_200600_302600_NS6detail15normal_iteratorINS9_10device_ptrItEEEESE_t11max_functorItEtEEDaPvRmT3_T4_T5_mT6_P12ihipStream_tbENKUlT_T0_E_clISt17integral_constantIbLb0EESU_EEDaSP_SQ_EUlSP_E0_NS1_11comp_targetILNS1_3genE10ELNS1_11target_archE1200ELNS1_3gpuE4ELNS1_3repE0EEENS1_30default_config_static_selectorELNS0_4arch9wavefront6targetE1EEEvT1_, .Lfunc_end2426-_ZN7rocprim17ROCPRIM_400000_NS6detail17trampoline_kernelINS0_14default_configENS1_20scan_config_selectorItEEZZNS1_9scan_implILNS1_25lookback_scan_determinismE0ELb0ELb0ES3_N6thrust23THRUST_200600_302600_NS6detail15normal_iteratorINS9_10device_ptrItEEEESE_t11max_functorItEtEEDaPvRmT3_T4_T5_mT6_P12ihipStream_tbENKUlT_T0_E_clISt17integral_constantIbLb0EESU_EEDaSP_SQ_EUlSP_E0_NS1_11comp_targetILNS1_3genE10ELNS1_11target_archE1200ELNS1_3gpuE4ELNS1_3repE0EEENS1_30default_config_static_selectorELNS0_4arch9wavefront6targetE1EEEvT1_
                                        ; -- End function
	.section	.AMDGPU.csdata,"",@progbits
; Kernel info:
; codeLenInByte = 0
; NumSgprs: 4
; NumVgprs: 0
; NumAgprs: 0
; TotalNumVgprs: 0
; ScratchSize: 0
; MemoryBound: 0
; FloatMode: 240
; IeeeMode: 1
; LDSByteSize: 0 bytes/workgroup (compile time only)
; SGPRBlocks: 0
; VGPRBlocks: 0
; NumSGPRsForWavesPerEU: 4
; NumVGPRsForWavesPerEU: 1
; AccumOffset: 4
; Occupancy: 8
; WaveLimiterHint : 0
; COMPUTE_PGM_RSRC2:SCRATCH_EN: 0
; COMPUTE_PGM_RSRC2:USER_SGPR: 6
; COMPUTE_PGM_RSRC2:TRAP_HANDLER: 0
; COMPUTE_PGM_RSRC2:TGID_X_EN: 1
; COMPUTE_PGM_RSRC2:TGID_Y_EN: 0
; COMPUTE_PGM_RSRC2:TGID_Z_EN: 0
; COMPUTE_PGM_RSRC2:TIDIG_COMP_CNT: 0
; COMPUTE_PGM_RSRC3_GFX90A:ACCUM_OFFSET: 0
; COMPUTE_PGM_RSRC3_GFX90A:TG_SPLIT: 0
	.section	.text._ZN7rocprim17ROCPRIM_400000_NS6detail17trampoline_kernelINS0_14default_configENS1_20scan_config_selectorItEEZZNS1_9scan_implILNS1_25lookback_scan_determinismE0ELb0ELb0ES3_N6thrust23THRUST_200600_302600_NS6detail15normal_iteratorINS9_10device_ptrItEEEESE_t11max_functorItEtEEDaPvRmT3_T4_T5_mT6_P12ihipStream_tbENKUlT_T0_E_clISt17integral_constantIbLb0EESU_EEDaSP_SQ_EUlSP_E0_NS1_11comp_targetILNS1_3genE9ELNS1_11target_archE1100ELNS1_3gpuE3ELNS1_3repE0EEENS1_30default_config_static_selectorELNS0_4arch9wavefront6targetE1EEEvT1_,"axG",@progbits,_ZN7rocprim17ROCPRIM_400000_NS6detail17trampoline_kernelINS0_14default_configENS1_20scan_config_selectorItEEZZNS1_9scan_implILNS1_25lookback_scan_determinismE0ELb0ELb0ES3_N6thrust23THRUST_200600_302600_NS6detail15normal_iteratorINS9_10device_ptrItEEEESE_t11max_functorItEtEEDaPvRmT3_T4_T5_mT6_P12ihipStream_tbENKUlT_T0_E_clISt17integral_constantIbLb0EESU_EEDaSP_SQ_EUlSP_E0_NS1_11comp_targetILNS1_3genE9ELNS1_11target_archE1100ELNS1_3gpuE3ELNS1_3repE0EEENS1_30default_config_static_selectorELNS0_4arch9wavefront6targetE1EEEvT1_,comdat
	.protected	_ZN7rocprim17ROCPRIM_400000_NS6detail17trampoline_kernelINS0_14default_configENS1_20scan_config_selectorItEEZZNS1_9scan_implILNS1_25lookback_scan_determinismE0ELb0ELb0ES3_N6thrust23THRUST_200600_302600_NS6detail15normal_iteratorINS9_10device_ptrItEEEESE_t11max_functorItEtEEDaPvRmT3_T4_T5_mT6_P12ihipStream_tbENKUlT_T0_E_clISt17integral_constantIbLb0EESU_EEDaSP_SQ_EUlSP_E0_NS1_11comp_targetILNS1_3genE9ELNS1_11target_archE1100ELNS1_3gpuE3ELNS1_3repE0EEENS1_30default_config_static_selectorELNS0_4arch9wavefront6targetE1EEEvT1_ ; -- Begin function _ZN7rocprim17ROCPRIM_400000_NS6detail17trampoline_kernelINS0_14default_configENS1_20scan_config_selectorItEEZZNS1_9scan_implILNS1_25lookback_scan_determinismE0ELb0ELb0ES3_N6thrust23THRUST_200600_302600_NS6detail15normal_iteratorINS9_10device_ptrItEEEESE_t11max_functorItEtEEDaPvRmT3_T4_T5_mT6_P12ihipStream_tbENKUlT_T0_E_clISt17integral_constantIbLb0EESU_EEDaSP_SQ_EUlSP_E0_NS1_11comp_targetILNS1_3genE9ELNS1_11target_archE1100ELNS1_3gpuE3ELNS1_3repE0EEENS1_30default_config_static_selectorELNS0_4arch9wavefront6targetE1EEEvT1_
	.globl	_ZN7rocprim17ROCPRIM_400000_NS6detail17trampoline_kernelINS0_14default_configENS1_20scan_config_selectorItEEZZNS1_9scan_implILNS1_25lookback_scan_determinismE0ELb0ELb0ES3_N6thrust23THRUST_200600_302600_NS6detail15normal_iteratorINS9_10device_ptrItEEEESE_t11max_functorItEtEEDaPvRmT3_T4_T5_mT6_P12ihipStream_tbENKUlT_T0_E_clISt17integral_constantIbLb0EESU_EEDaSP_SQ_EUlSP_E0_NS1_11comp_targetILNS1_3genE9ELNS1_11target_archE1100ELNS1_3gpuE3ELNS1_3repE0EEENS1_30default_config_static_selectorELNS0_4arch9wavefront6targetE1EEEvT1_
	.p2align	8
	.type	_ZN7rocprim17ROCPRIM_400000_NS6detail17trampoline_kernelINS0_14default_configENS1_20scan_config_selectorItEEZZNS1_9scan_implILNS1_25lookback_scan_determinismE0ELb0ELb0ES3_N6thrust23THRUST_200600_302600_NS6detail15normal_iteratorINS9_10device_ptrItEEEESE_t11max_functorItEtEEDaPvRmT3_T4_T5_mT6_P12ihipStream_tbENKUlT_T0_E_clISt17integral_constantIbLb0EESU_EEDaSP_SQ_EUlSP_E0_NS1_11comp_targetILNS1_3genE9ELNS1_11target_archE1100ELNS1_3gpuE3ELNS1_3repE0EEENS1_30default_config_static_selectorELNS0_4arch9wavefront6targetE1EEEvT1_,@function
_ZN7rocprim17ROCPRIM_400000_NS6detail17trampoline_kernelINS0_14default_configENS1_20scan_config_selectorItEEZZNS1_9scan_implILNS1_25lookback_scan_determinismE0ELb0ELb0ES3_N6thrust23THRUST_200600_302600_NS6detail15normal_iteratorINS9_10device_ptrItEEEESE_t11max_functorItEtEEDaPvRmT3_T4_T5_mT6_P12ihipStream_tbENKUlT_T0_E_clISt17integral_constantIbLb0EESU_EEDaSP_SQ_EUlSP_E0_NS1_11comp_targetILNS1_3genE9ELNS1_11target_archE1100ELNS1_3gpuE3ELNS1_3repE0EEENS1_30default_config_static_selectorELNS0_4arch9wavefront6targetE1EEEvT1_: ; @_ZN7rocprim17ROCPRIM_400000_NS6detail17trampoline_kernelINS0_14default_configENS1_20scan_config_selectorItEEZZNS1_9scan_implILNS1_25lookback_scan_determinismE0ELb0ELb0ES3_N6thrust23THRUST_200600_302600_NS6detail15normal_iteratorINS9_10device_ptrItEEEESE_t11max_functorItEtEEDaPvRmT3_T4_T5_mT6_P12ihipStream_tbENKUlT_T0_E_clISt17integral_constantIbLb0EESU_EEDaSP_SQ_EUlSP_E0_NS1_11comp_targetILNS1_3genE9ELNS1_11target_archE1100ELNS1_3gpuE3ELNS1_3repE0EEENS1_30default_config_static_selectorELNS0_4arch9wavefront6targetE1EEEvT1_
; %bb.0:
	.section	.rodata,"a",@progbits
	.p2align	6, 0x0
	.amdhsa_kernel _ZN7rocprim17ROCPRIM_400000_NS6detail17trampoline_kernelINS0_14default_configENS1_20scan_config_selectorItEEZZNS1_9scan_implILNS1_25lookback_scan_determinismE0ELb0ELb0ES3_N6thrust23THRUST_200600_302600_NS6detail15normal_iteratorINS9_10device_ptrItEEEESE_t11max_functorItEtEEDaPvRmT3_T4_T5_mT6_P12ihipStream_tbENKUlT_T0_E_clISt17integral_constantIbLb0EESU_EEDaSP_SQ_EUlSP_E0_NS1_11comp_targetILNS1_3genE9ELNS1_11target_archE1100ELNS1_3gpuE3ELNS1_3repE0EEENS1_30default_config_static_selectorELNS0_4arch9wavefront6targetE1EEEvT1_
		.amdhsa_group_segment_fixed_size 0
		.amdhsa_private_segment_fixed_size 0
		.amdhsa_kernarg_size 32
		.amdhsa_user_sgpr_count 6
		.amdhsa_user_sgpr_private_segment_buffer 1
		.amdhsa_user_sgpr_dispatch_ptr 0
		.amdhsa_user_sgpr_queue_ptr 0
		.amdhsa_user_sgpr_kernarg_segment_ptr 1
		.amdhsa_user_sgpr_dispatch_id 0
		.amdhsa_user_sgpr_flat_scratch_init 0
		.amdhsa_user_sgpr_kernarg_preload_length 0
		.amdhsa_user_sgpr_kernarg_preload_offset 0
		.amdhsa_user_sgpr_private_segment_size 0
		.amdhsa_uses_dynamic_stack 0
		.amdhsa_system_sgpr_private_segment_wavefront_offset 0
		.amdhsa_system_sgpr_workgroup_id_x 1
		.amdhsa_system_sgpr_workgroup_id_y 0
		.amdhsa_system_sgpr_workgroup_id_z 0
		.amdhsa_system_sgpr_workgroup_info 0
		.amdhsa_system_vgpr_workitem_id 0
		.amdhsa_next_free_vgpr 1
		.amdhsa_next_free_sgpr 0
		.amdhsa_accum_offset 4
		.amdhsa_reserve_vcc 0
		.amdhsa_reserve_flat_scratch 0
		.amdhsa_float_round_mode_32 0
		.amdhsa_float_round_mode_16_64 0
		.amdhsa_float_denorm_mode_32 3
		.amdhsa_float_denorm_mode_16_64 3
		.amdhsa_dx10_clamp 1
		.amdhsa_ieee_mode 1
		.amdhsa_fp16_overflow 0
		.amdhsa_tg_split 0
		.amdhsa_exception_fp_ieee_invalid_op 0
		.amdhsa_exception_fp_denorm_src 0
		.amdhsa_exception_fp_ieee_div_zero 0
		.amdhsa_exception_fp_ieee_overflow 0
		.amdhsa_exception_fp_ieee_underflow 0
		.amdhsa_exception_fp_ieee_inexact 0
		.amdhsa_exception_int_div_zero 0
	.end_amdhsa_kernel
	.section	.text._ZN7rocprim17ROCPRIM_400000_NS6detail17trampoline_kernelINS0_14default_configENS1_20scan_config_selectorItEEZZNS1_9scan_implILNS1_25lookback_scan_determinismE0ELb0ELb0ES3_N6thrust23THRUST_200600_302600_NS6detail15normal_iteratorINS9_10device_ptrItEEEESE_t11max_functorItEtEEDaPvRmT3_T4_T5_mT6_P12ihipStream_tbENKUlT_T0_E_clISt17integral_constantIbLb0EESU_EEDaSP_SQ_EUlSP_E0_NS1_11comp_targetILNS1_3genE9ELNS1_11target_archE1100ELNS1_3gpuE3ELNS1_3repE0EEENS1_30default_config_static_selectorELNS0_4arch9wavefront6targetE1EEEvT1_,"axG",@progbits,_ZN7rocprim17ROCPRIM_400000_NS6detail17trampoline_kernelINS0_14default_configENS1_20scan_config_selectorItEEZZNS1_9scan_implILNS1_25lookback_scan_determinismE0ELb0ELb0ES3_N6thrust23THRUST_200600_302600_NS6detail15normal_iteratorINS9_10device_ptrItEEEESE_t11max_functorItEtEEDaPvRmT3_T4_T5_mT6_P12ihipStream_tbENKUlT_T0_E_clISt17integral_constantIbLb0EESU_EEDaSP_SQ_EUlSP_E0_NS1_11comp_targetILNS1_3genE9ELNS1_11target_archE1100ELNS1_3gpuE3ELNS1_3repE0EEENS1_30default_config_static_selectorELNS0_4arch9wavefront6targetE1EEEvT1_,comdat
.Lfunc_end2427:
	.size	_ZN7rocprim17ROCPRIM_400000_NS6detail17trampoline_kernelINS0_14default_configENS1_20scan_config_selectorItEEZZNS1_9scan_implILNS1_25lookback_scan_determinismE0ELb0ELb0ES3_N6thrust23THRUST_200600_302600_NS6detail15normal_iteratorINS9_10device_ptrItEEEESE_t11max_functorItEtEEDaPvRmT3_T4_T5_mT6_P12ihipStream_tbENKUlT_T0_E_clISt17integral_constantIbLb0EESU_EEDaSP_SQ_EUlSP_E0_NS1_11comp_targetILNS1_3genE9ELNS1_11target_archE1100ELNS1_3gpuE3ELNS1_3repE0EEENS1_30default_config_static_selectorELNS0_4arch9wavefront6targetE1EEEvT1_, .Lfunc_end2427-_ZN7rocprim17ROCPRIM_400000_NS6detail17trampoline_kernelINS0_14default_configENS1_20scan_config_selectorItEEZZNS1_9scan_implILNS1_25lookback_scan_determinismE0ELb0ELb0ES3_N6thrust23THRUST_200600_302600_NS6detail15normal_iteratorINS9_10device_ptrItEEEESE_t11max_functorItEtEEDaPvRmT3_T4_T5_mT6_P12ihipStream_tbENKUlT_T0_E_clISt17integral_constantIbLb0EESU_EEDaSP_SQ_EUlSP_E0_NS1_11comp_targetILNS1_3genE9ELNS1_11target_archE1100ELNS1_3gpuE3ELNS1_3repE0EEENS1_30default_config_static_selectorELNS0_4arch9wavefront6targetE1EEEvT1_
                                        ; -- End function
	.section	.AMDGPU.csdata,"",@progbits
; Kernel info:
; codeLenInByte = 0
; NumSgprs: 4
; NumVgprs: 0
; NumAgprs: 0
; TotalNumVgprs: 0
; ScratchSize: 0
; MemoryBound: 0
; FloatMode: 240
; IeeeMode: 1
; LDSByteSize: 0 bytes/workgroup (compile time only)
; SGPRBlocks: 0
; VGPRBlocks: 0
; NumSGPRsForWavesPerEU: 4
; NumVGPRsForWavesPerEU: 1
; AccumOffset: 4
; Occupancy: 8
; WaveLimiterHint : 0
; COMPUTE_PGM_RSRC2:SCRATCH_EN: 0
; COMPUTE_PGM_RSRC2:USER_SGPR: 6
; COMPUTE_PGM_RSRC2:TRAP_HANDLER: 0
; COMPUTE_PGM_RSRC2:TGID_X_EN: 1
; COMPUTE_PGM_RSRC2:TGID_Y_EN: 0
; COMPUTE_PGM_RSRC2:TGID_Z_EN: 0
; COMPUTE_PGM_RSRC2:TIDIG_COMP_CNT: 0
; COMPUTE_PGM_RSRC3_GFX90A:ACCUM_OFFSET: 0
; COMPUTE_PGM_RSRC3_GFX90A:TG_SPLIT: 0
	.section	.text._ZN7rocprim17ROCPRIM_400000_NS6detail17trampoline_kernelINS0_14default_configENS1_20scan_config_selectorItEEZZNS1_9scan_implILNS1_25lookback_scan_determinismE0ELb0ELb0ES3_N6thrust23THRUST_200600_302600_NS6detail15normal_iteratorINS9_10device_ptrItEEEESE_t11max_functorItEtEEDaPvRmT3_T4_T5_mT6_P12ihipStream_tbENKUlT_T0_E_clISt17integral_constantIbLb0EESU_EEDaSP_SQ_EUlSP_E0_NS1_11comp_targetILNS1_3genE8ELNS1_11target_archE1030ELNS1_3gpuE2ELNS1_3repE0EEENS1_30default_config_static_selectorELNS0_4arch9wavefront6targetE1EEEvT1_,"axG",@progbits,_ZN7rocprim17ROCPRIM_400000_NS6detail17trampoline_kernelINS0_14default_configENS1_20scan_config_selectorItEEZZNS1_9scan_implILNS1_25lookback_scan_determinismE0ELb0ELb0ES3_N6thrust23THRUST_200600_302600_NS6detail15normal_iteratorINS9_10device_ptrItEEEESE_t11max_functorItEtEEDaPvRmT3_T4_T5_mT6_P12ihipStream_tbENKUlT_T0_E_clISt17integral_constantIbLb0EESU_EEDaSP_SQ_EUlSP_E0_NS1_11comp_targetILNS1_3genE8ELNS1_11target_archE1030ELNS1_3gpuE2ELNS1_3repE0EEENS1_30default_config_static_selectorELNS0_4arch9wavefront6targetE1EEEvT1_,comdat
	.protected	_ZN7rocprim17ROCPRIM_400000_NS6detail17trampoline_kernelINS0_14default_configENS1_20scan_config_selectorItEEZZNS1_9scan_implILNS1_25lookback_scan_determinismE0ELb0ELb0ES3_N6thrust23THRUST_200600_302600_NS6detail15normal_iteratorINS9_10device_ptrItEEEESE_t11max_functorItEtEEDaPvRmT3_T4_T5_mT6_P12ihipStream_tbENKUlT_T0_E_clISt17integral_constantIbLb0EESU_EEDaSP_SQ_EUlSP_E0_NS1_11comp_targetILNS1_3genE8ELNS1_11target_archE1030ELNS1_3gpuE2ELNS1_3repE0EEENS1_30default_config_static_selectorELNS0_4arch9wavefront6targetE1EEEvT1_ ; -- Begin function _ZN7rocprim17ROCPRIM_400000_NS6detail17trampoline_kernelINS0_14default_configENS1_20scan_config_selectorItEEZZNS1_9scan_implILNS1_25lookback_scan_determinismE0ELb0ELb0ES3_N6thrust23THRUST_200600_302600_NS6detail15normal_iteratorINS9_10device_ptrItEEEESE_t11max_functorItEtEEDaPvRmT3_T4_T5_mT6_P12ihipStream_tbENKUlT_T0_E_clISt17integral_constantIbLb0EESU_EEDaSP_SQ_EUlSP_E0_NS1_11comp_targetILNS1_3genE8ELNS1_11target_archE1030ELNS1_3gpuE2ELNS1_3repE0EEENS1_30default_config_static_selectorELNS0_4arch9wavefront6targetE1EEEvT1_
	.globl	_ZN7rocprim17ROCPRIM_400000_NS6detail17trampoline_kernelINS0_14default_configENS1_20scan_config_selectorItEEZZNS1_9scan_implILNS1_25lookback_scan_determinismE0ELb0ELb0ES3_N6thrust23THRUST_200600_302600_NS6detail15normal_iteratorINS9_10device_ptrItEEEESE_t11max_functorItEtEEDaPvRmT3_T4_T5_mT6_P12ihipStream_tbENKUlT_T0_E_clISt17integral_constantIbLb0EESU_EEDaSP_SQ_EUlSP_E0_NS1_11comp_targetILNS1_3genE8ELNS1_11target_archE1030ELNS1_3gpuE2ELNS1_3repE0EEENS1_30default_config_static_selectorELNS0_4arch9wavefront6targetE1EEEvT1_
	.p2align	8
	.type	_ZN7rocprim17ROCPRIM_400000_NS6detail17trampoline_kernelINS0_14default_configENS1_20scan_config_selectorItEEZZNS1_9scan_implILNS1_25lookback_scan_determinismE0ELb0ELb0ES3_N6thrust23THRUST_200600_302600_NS6detail15normal_iteratorINS9_10device_ptrItEEEESE_t11max_functorItEtEEDaPvRmT3_T4_T5_mT6_P12ihipStream_tbENKUlT_T0_E_clISt17integral_constantIbLb0EESU_EEDaSP_SQ_EUlSP_E0_NS1_11comp_targetILNS1_3genE8ELNS1_11target_archE1030ELNS1_3gpuE2ELNS1_3repE0EEENS1_30default_config_static_selectorELNS0_4arch9wavefront6targetE1EEEvT1_,@function
_ZN7rocprim17ROCPRIM_400000_NS6detail17trampoline_kernelINS0_14default_configENS1_20scan_config_selectorItEEZZNS1_9scan_implILNS1_25lookback_scan_determinismE0ELb0ELb0ES3_N6thrust23THRUST_200600_302600_NS6detail15normal_iteratorINS9_10device_ptrItEEEESE_t11max_functorItEtEEDaPvRmT3_T4_T5_mT6_P12ihipStream_tbENKUlT_T0_E_clISt17integral_constantIbLb0EESU_EEDaSP_SQ_EUlSP_E0_NS1_11comp_targetILNS1_3genE8ELNS1_11target_archE1030ELNS1_3gpuE2ELNS1_3repE0EEENS1_30default_config_static_selectorELNS0_4arch9wavefront6targetE1EEEvT1_: ; @_ZN7rocprim17ROCPRIM_400000_NS6detail17trampoline_kernelINS0_14default_configENS1_20scan_config_selectorItEEZZNS1_9scan_implILNS1_25lookback_scan_determinismE0ELb0ELb0ES3_N6thrust23THRUST_200600_302600_NS6detail15normal_iteratorINS9_10device_ptrItEEEESE_t11max_functorItEtEEDaPvRmT3_T4_T5_mT6_P12ihipStream_tbENKUlT_T0_E_clISt17integral_constantIbLb0EESU_EEDaSP_SQ_EUlSP_E0_NS1_11comp_targetILNS1_3genE8ELNS1_11target_archE1030ELNS1_3gpuE2ELNS1_3repE0EEENS1_30default_config_static_selectorELNS0_4arch9wavefront6targetE1EEEvT1_
; %bb.0:
	.section	.rodata,"a",@progbits
	.p2align	6, 0x0
	.amdhsa_kernel _ZN7rocprim17ROCPRIM_400000_NS6detail17trampoline_kernelINS0_14default_configENS1_20scan_config_selectorItEEZZNS1_9scan_implILNS1_25lookback_scan_determinismE0ELb0ELb0ES3_N6thrust23THRUST_200600_302600_NS6detail15normal_iteratorINS9_10device_ptrItEEEESE_t11max_functorItEtEEDaPvRmT3_T4_T5_mT6_P12ihipStream_tbENKUlT_T0_E_clISt17integral_constantIbLb0EESU_EEDaSP_SQ_EUlSP_E0_NS1_11comp_targetILNS1_3genE8ELNS1_11target_archE1030ELNS1_3gpuE2ELNS1_3repE0EEENS1_30default_config_static_selectorELNS0_4arch9wavefront6targetE1EEEvT1_
		.amdhsa_group_segment_fixed_size 0
		.amdhsa_private_segment_fixed_size 0
		.amdhsa_kernarg_size 32
		.amdhsa_user_sgpr_count 6
		.amdhsa_user_sgpr_private_segment_buffer 1
		.amdhsa_user_sgpr_dispatch_ptr 0
		.amdhsa_user_sgpr_queue_ptr 0
		.amdhsa_user_sgpr_kernarg_segment_ptr 1
		.amdhsa_user_sgpr_dispatch_id 0
		.amdhsa_user_sgpr_flat_scratch_init 0
		.amdhsa_user_sgpr_kernarg_preload_length 0
		.amdhsa_user_sgpr_kernarg_preload_offset 0
		.amdhsa_user_sgpr_private_segment_size 0
		.amdhsa_uses_dynamic_stack 0
		.amdhsa_system_sgpr_private_segment_wavefront_offset 0
		.amdhsa_system_sgpr_workgroup_id_x 1
		.amdhsa_system_sgpr_workgroup_id_y 0
		.amdhsa_system_sgpr_workgroup_id_z 0
		.amdhsa_system_sgpr_workgroup_info 0
		.amdhsa_system_vgpr_workitem_id 0
		.amdhsa_next_free_vgpr 1
		.amdhsa_next_free_sgpr 0
		.amdhsa_accum_offset 4
		.amdhsa_reserve_vcc 0
		.amdhsa_reserve_flat_scratch 0
		.amdhsa_float_round_mode_32 0
		.amdhsa_float_round_mode_16_64 0
		.amdhsa_float_denorm_mode_32 3
		.amdhsa_float_denorm_mode_16_64 3
		.amdhsa_dx10_clamp 1
		.amdhsa_ieee_mode 1
		.amdhsa_fp16_overflow 0
		.amdhsa_tg_split 0
		.amdhsa_exception_fp_ieee_invalid_op 0
		.amdhsa_exception_fp_denorm_src 0
		.amdhsa_exception_fp_ieee_div_zero 0
		.amdhsa_exception_fp_ieee_overflow 0
		.amdhsa_exception_fp_ieee_underflow 0
		.amdhsa_exception_fp_ieee_inexact 0
		.amdhsa_exception_int_div_zero 0
	.end_amdhsa_kernel
	.section	.text._ZN7rocprim17ROCPRIM_400000_NS6detail17trampoline_kernelINS0_14default_configENS1_20scan_config_selectorItEEZZNS1_9scan_implILNS1_25lookback_scan_determinismE0ELb0ELb0ES3_N6thrust23THRUST_200600_302600_NS6detail15normal_iteratorINS9_10device_ptrItEEEESE_t11max_functorItEtEEDaPvRmT3_T4_T5_mT6_P12ihipStream_tbENKUlT_T0_E_clISt17integral_constantIbLb0EESU_EEDaSP_SQ_EUlSP_E0_NS1_11comp_targetILNS1_3genE8ELNS1_11target_archE1030ELNS1_3gpuE2ELNS1_3repE0EEENS1_30default_config_static_selectorELNS0_4arch9wavefront6targetE1EEEvT1_,"axG",@progbits,_ZN7rocprim17ROCPRIM_400000_NS6detail17trampoline_kernelINS0_14default_configENS1_20scan_config_selectorItEEZZNS1_9scan_implILNS1_25lookback_scan_determinismE0ELb0ELb0ES3_N6thrust23THRUST_200600_302600_NS6detail15normal_iteratorINS9_10device_ptrItEEEESE_t11max_functorItEtEEDaPvRmT3_T4_T5_mT6_P12ihipStream_tbENKUlT_T0_E_clISt17integral_constantIbLb0EESU_EEDaSP_SQ_EUlSP_E0_NS1_11comp_targetILNS1_3genE8ELNS1_11target_archE1030ELNS1_3gpuE2ELNS1_3repE0EEENS1_30default_config_static_selectorELNS0_4arch9wavefront6targetE1EEEvT1_,comdat
.Lfunc_end2428:
	.size	_ZN7rocprim17ROCPRIM_400000_NS6detail17trampoline_kernelINS0_14default_configENS1_20scan_config_selectorItEEZZNS1_9scan_implILNS1_25lookback_scan_determinismE0ELb0ELb0ES3_N6thrust23THRUST_200600_302600_NS6detail15normal_iteratorINS9_10device_ptrItEEEESE_t11max_functorItEtEEDaPvRmT3_T4_T5_mT6_P12ihipStream_tbENKUlT_T0_E_clISt17integral_constantIbLb0EESU_EEDaSP_SQ_EUlSP_E0_NS1_11comp_targetILNS1_3genE8ELNS1_11target_archE1030ELNS1_3gpuE2ELNS1_3repE0EEENS1_30default_config_static_selectorELNS0_4arch9wavefront6targetE1EEEvT1_, .Lfunc_end2428-_ZN7rocprim17ROCPRIM_400000_NS6detail17trampoline_kernelINS0_14default_configENS1_20scan_config_selectorItEEZZNS1_9scan_implILNS1_25lookback_scan_determinismE0ELb0ELb0ES3_N6thrust23THRUST_200600_302600_NS6detail15normal_iteratorINS9_10device_ptrItEEEESE_t11max_functorItEtEEDaPvRmT3_T4_T5_mT6_P12ihipStream_tbENKUlT_T0_E_clISt17integral_constantIbLb0EESU_EEDaSP_SQ_EUlSP_E0_NS1_11comp_targetILNS1_3genE8ELNS1_11target_archE1030ELNS1_3gpuE2ELNS1_3repE0EEENS1_30default_config_static_selectorELNS0_4arch9wavefront6targetE1EEEvT1_
                                        ; -- End function
	.section	.AMDGPU.csdata,"",@progbits
; Kernel info:
; codeLenInByte = 0
; NumSgprs: 4
; NumVgprs: 0
; NumAgprs: 0
; TotalNumVgprs: 0
; ScratchSize: 0
; MemoryBound: 0
; FloatMode: 240
; IeeeMode: 1
; LDSByteSize: 0 bytes/workgroup (compile time only)
; SGPRBlocks: 0
; VGPRBlocks: 0
; NumSGPRsForWavesPerEU: 4
; NumVGPRsForWavesPerEU: 1
; AccumOffset: 4
; Occupancy: 8
; WaveLimiterHint : 0
; COMPUTE_PGM_RSRC2:SCRATCH_EN: 0
; COMPUTE_PGM_RSRC2:USER_SGPR: 6
; COMPUTE_PGM_RSRC2:TRAP_HANDLER: 0
; COMPUTE_PGM_RSRC2:TGID_X_EN: 1
; COMPUTE_PGM_RSRC2:TGID_Y_EN: 0
; COMPUTE_PGM_RSRC2:TGID_Z_EN: 0
; COMPUTE_PGM_RSRC2:TIDIG_COMP_CNT: 0
; COMPUTE_PGM_RSRC3_GFX90A:ACCUM_OFFSET: 0
; COMPUTE_PGM_RSRC3_GFX90A:TG_SPLIT: 0
	.section	.text._ZN7rocprim17ROCPRIM_400000_NS6detail31init_lookback_scan_state_kernelINS1_19lookback_scan_stateItLb1ELb1EEENS1_16block_id_wrapperIjLb1EEEEEvT_jT0_jPNS7_10value_typeE,"axG",@progbits,_ZN7rocprim17ROCPRIM_400000_NS6detail31init_lookback_scan_state_kernelINS1_19lookback_scan_stateItLb1ELb1EEENS1_16block_id_wrapperIjLb1EEEEEvT_jT0_jPNS7_10value_typeE,comdat
	.protected	_ZN7rocprim17ROCPRIM_400000_NS6detail31init_lookback_scan_state_kernelINS1_19lookback_scan_stateItLb1ELb1EEENS1_16block_id_wrapperIjLb1EEEEEvT_jT0_jPNS7_10value_typeE ; -- Begin function _ZN7rocprim17ROCPRIM_400000_NS6detail31init_lookback_scan_state_kernelINS1_19lookback_scan_stateItLb1ELb1EEENS1_16block_id_wrapperIjLb1EEEEEvT_jT0_jPNS7_10value_typeE
	.globl	_ZN7rocprim17ROCPRIM_400000_NS6detail31init_lookback_scan_state_kernelINS1_19lookback_scan_stateItLb1ELb1EEENS1_16block_id_wrapperIjLb1EEEEEvT_jT0_jPNS7_10value_typeE
	.p2align	8
	.type	_ZN7rocprim17ROCPRIM_400000_NS6detail31init_lookback_scan_state_kernelINS1_19lookback_scan_stateItLb1ELb1EEENS1_16block_id_wrapperIjLb1EEEEEvT_jT0_jPNS7_10value_typeE,@function
_ZN7rocprim17ROCPRIM_400000_NS6detail31init_lookback_scan_state_kernelINS1_19lookback_scan_stateItLb1ELb1EEENS1_16block_id_wrapperIjLb1EEEEEvT_jT0_jPNS7_10value_typeE: ; @_ZN7rocprim17ROCPRIM_400000_NS6detail31init_lookback_scan_state_kernelINS1_19lookback_scan_stateItLb1ELb1EEENS1_16block_id_wrapperIjLb1EEEEEvT_jT0_jPNS7_10value_typeE
; %bb.0:
	s_load_dword s7, s[4:5], 0x34
	s_load_dwordx2 s[2:3], s[4:5], 0x20
	s_load_dwordx2 s[0:1], s[4:5], 0x0
	s_load_dword s10, s[4:5], 0x8
	s_waitcnt lgkmcnt(0)
	s_and_b32 s7, s7, 0xffff
	s_mul_i32 s6, s6, s7
	s_cmp_eq_u64 s[2:3], 0
	v_add_u32_e32 v0, s6, v0
	s_cbranch_scc1 .LBB2429_9
; %bb.1:
	s_load_dword s8, s[4:5], 0x18
	s_mov_b32 s9, 0
	s_waitcnt lgkmcnt(0)
	s_cmp_lt_u32 s8, s10
	s_cselect_b32 s6, s8, 0
	v_cmp_eq_u32_e32 vcc, s6, v0
	s_and_saveexec_b64 s[6:7], vcc
	s_cbranch_execz .LBB2429_8
; %bb.2:
	s_add_i32 s8, s8, 64
	s_lshl_b64 s[8:9], s[8:9], 2
	s_add_u32 s8, s0, s8
	s_addc_u32 s9, s1, s9
	v_mov_b32_e32 v1, 0
	global_load_dword v2, v1, s[8:9] glc
	s_waitcnt vmcnt(0)
	v_and_b32_e32 v3, 0xff0000, v2
	v_cmp_ne_u32_e32 vcc, 0, v3
	s_cbranch_vccnz .LBB2429_7
; %bb.3:
	s_mov_b32 s11, 1
.LBB2429_4:                             ; =>This Loop Header: Depth=1
                                        ;     Child Loop BB2429_5 Depth 2
	s_max_u32 s12, s11, 1
.LBB2429_5:                             ;   Parent Loop BB2429_4 Depth=1
                                        ; =>  This Inner Loop Header: Depth=2
	s_add_i32 s12, s12, -1
	s_cmp_eq_u32 s12, 0
	s_sleep 1
	s_cbranch_scc0 .LBB2429_5
; %bb.6:                                ;   in Loop: Header=BB2429_4 Depth=1
	global_load_dword v2, v1, s[8:9] glc
	s_cmp_lt_u32 s11, 32
	s_cselect_b64 s[12:13], -1, 0
	s_cmp_lg_u64 s[12:13], 0
	s_addc_u32 s11, s11, 0
	s_waitcnt vmcnt(0)
	v_and_b32_e32 v3, 0xff0000, v2
	v_cmp_ne_u32_e32 vcc, 0, v3
	s_cbranch_vccz .LBB2429_4
.LBB2429_7:
	v_mov_b32_e32 v1, 0
	global_store_short v1, v2, s[2:3]
.LBB2429_8:
	s_or_b64 exec, exec, s[6:7]
.LBB2429_9:
	v_cmp_eq_u32_e32 vcc, 0, v0
	s_and_saveexec_b64 s[2:3], vcc
	s_cbranch_execnz .LBB2429_13
; %bb.10:
	s_or_b64 exec, exec, s[2:3]
	v_cmp_gt_u32_e32 vcc, s10, v0
	s_and_saveexec_b64 s[2:3], vcc
	s_cbranch_execnz .LBB2429_14
.LBB2429_11:
	s_or_b64 exec, exec, s[2:3]
	v_cmp_gt_u32_e32 vcc, 64, v0
	s_and_saveexec_b64 s[2:3], vcc
	s_cbranch_execnz .LBB2429_15
.LBB2429_12:
	s_endpgm
.LBB2429_13:
	s_load_dwordx2 s[4:5], s[4:5], 0x10
	v_mov_b32_e32 v1, 0
	s_waitcnt lgkmcnt(0)
	global_store_dword v1, v1, s[4:5]
	s_or_b64 exec, exec, s[2:3]
	v_cmp_gt_u32_e32 vcc, s10, v0
	s_and_saveexec_b64 s[2:3], vcc
	s_cbranch_execz .LBB2429_11
.LBB2429_14:
	v_add_u32_e32 v2, 64, v0
	v_mov_b32_e32 v3, 0
	v_lshlrev_b64 v[4:5], 2, v[2:3]
	v_mov_b32_e32 v1, s1
	v_add_co_u32_e32 v4, vcc, s0, v4
	v_addc_co_u32_e32 v5, vcc, v1, v5, vcc
	global_store_dword v[4:5], v3, off
	s_or_b64 exec, exec, s[2:3]
	v_cmp_gt_u32_e32 vcc, 64, v0
	s_and_saveexec_b64 s[2:3], vcc
	s_cbranch_execz .LBB2429_12
.LBB2429_15:
	v_mov_b32_e32 v1, 0
	v_lshlrev_b64 v[0:1], 2, v[0:1]
	v_mov_b32_e32 v2, s1
	v_add_co_u32_e32 v0, vcc, s0, v0
	v_addc_co_u32_e32 v1, vcc, v2, v1, vcc
	v_mov_b32_e32 v2, 0xff0000
	global_store_dword v[0:1], v2, off
	s_endpgm
	.section	.rodata,"a",@progbits
	.p2align	6, 0x0
	.amdhsa_kernel _ZN7rocprim17ROCPRIM_400000_NS6detail31init_lookback_scan_state_kernelINS1_19lookback_scan_stateItLb1ELb1EEENS1_16block_id_wrapperIjLb1EEEEEvT_jT0_jPNS7_10value_typeE
		.amdhsa_group_segment_fixed_size 0
		.amdhsa_private_segment_fixed_size 0
		.amdhsa_kernarg_size 296
		.amdhsa_user_sgpr_count 6
		.amdhsa_user_sgpr_private_segment_buffer 1
		.amdhsa_user_sgpr_dispatch_ptr 0
		.amdhsa_user_sgpr_queue_ptr 0
		.amdhsa_user_sgpr_kernarg_segment_ptr 1
		.amdhsa_user_sgpr_dispatch_id 0
		.amdhsa_user_sgpr_flat_scratch_init 0
		.amdhsa_user_sgpr_kernarg_preload_length 0
		.amdhsa_user_sgpr_kernarg_preload_offset 0
		.amdhsa_user_sgpr_private_segment_size 0
		.amdhsa_uses_dynamic_stack 0
		.amdhsa_system_sgpr_private_segment_wavefront_offset 0
		.amdhsa_system_sgpr_workgroup_id_x 1
		.amdhsa_system_sgpr_workgroup_id_y 0
		.amdhsa_system_sgpr_workgroup_id_z 0
		.amdhsa_system_sgpr_workgroup_info 0
		.amdhsa_system_vgpr_workitem_id 0
		.amdhsa_next_free_vgpr 6
		.amdhsa_next_free_sgpr 14
		.amdhsa_accum_offset 8
		.amdhsa_reserve_vcc 1
		.amdhsa_reserve_flat_scratch 0
		.amdhsa_float_round_mode_32 0
		.amdhsa_float_round_mode_16_64 0
		.amdhsa_float_denorm_mode_32 3
		.amdhsa_float_denorm_mode_16_64 3
		.amdhsa_dx10_clamp 1
		.amdhsa_ieee_mode 1
		.amdhsa_fp16_overflow 0
		.amdhsa_tg_split 0
		.amdhsa_exception_fp_ieee_invalid_op 0
		.amdhsa_exception_fp_denorm_src 0
		.amdhsa_exception_fp_ieee_div_zero 0
		.amdhsa_exception_fp_ieee_overflow 0
		.amdhsa_exception_fp_ieee_underflow 0
		.amdhsa_exception_fp_ieee_inexact 0
		.amdhsa_exception_int_div_zero 0
	.end_amdhsa_kernel
	.section	.text._ZN7rocprim17ROCPRIM_400000_NS6detail31init_lookback_scan_state_kernelINS1_19lookback_scan_stateItLb1ELb1EEENS1_16block_id_wrapperIjLb1EEEEEvT_jT0_jPNS7_10value_typeE,"axG",@progbits,_ZN7rocprim17ROCPRIM_400000_NS6detail31init_lookback_scan_state_kernelINS1_19lookback_scan_stateItLb1ELb1EEENS1_16block_id_wrapperIjLb1EEEEEvT_jT0_jPNS7_10value_typeE,comdat
.Lfunc_end2429:
	.size	_ZN7rocprim17ROCPRIM_400000_NS6detail31init_lookback_scan_state_kernelINS1_19lookback_scan_stateItLb1ELb1EEENS1_16block_id_wrapperIjLb1EEEEEvT_jT0_jPNS7_10value_typeE, .Lfunc_end2429-_ZN7rocprim17ROCPRIM_400000_NS6detail31init_lookback_scan_state_kernelINS1_19lookback_scan_stateItLb1ELb1EEENS1_16block_id_wrapperIjLb1EEEEEvT_jT0_jPNS7_10value_typeE
                                        ; -- End function
	.section	.AMDGPU.csdata,"",@progbits
; Kernel info:
; codeLenInByte = 412
; NumSgprs: 18
; NumVgprs: 6
; NumAgprs: 0
; TotalNumVgprs: 6
; ScratchSize: 0
; MemoryBound: 0
; FloatMode: 240
; IeeeMode: 1
; LDSByteSize: 0 bytes/workgroup (compile time only)
; SGPRBlocks: 2
; VGPRBlocks: 0
; NumSGPRsForWavesPerEU: 18
; NumVGPRsForWavesPerEU: 6
; AccumOffset: 8
; Occupancy: 8
; WaveLimiterHint : 0
; COMPUTE_PGM_RSRC2:SCRATCH_EN: 0
; COMPUTE_PGM_RSRC2:USER_SGPR: 6
; COMPUTE_PGM_RSRC2:TRAP_HANDLER: 0
; COMPUTE_PGM_RSRC2:TGID_X_EN: 1
; COMPUTE_PGM_RSRC2:TGID_Y_EN: 0
; COMPUTE_PGM_RSRC2:TGID_Z_EN: 0
; COMPUTE_PGM_RSRC2:TIDIG_COMP_CNT: 0
; COMPUTE_PGM_RSRC3_GFX90A:ACCUM_OFFSET: 1
; COMPUTE_PGM_RSRC3_GFX90A:TG_SPLIT: 0
	.section	.text._ZN7rocprim17ROCPRIM_400000_NS6detail17trampoline_kernelINS0_14default_configENS1_20scan_config_selectorItEEZZNS1_9scan_implILNS1_25lookback_scan_determinismE0ELb0ELb0ES3_N6thrust23THRUST_200600_302600_NS6detail15normal_iteratorINS9_10device_ptrItEEEESE_t11max_functorItEtEEDaPvRmT3_T4_T5_mT6_P12ihipStream_tbENKUlT_T0_E_clISt17integral_constantIbLb1EESU_EEDaSP_SQ_EUlSP_E_NS1_11comp_targetILNS1_3genE0ELNS1_11target_archE4294967295ELNS1_3gpuE0ELNS1_3repE0EEENS1_30default_config_static_selectorELNS0_4arch9wavefront6targetE1EEEvT1_,"axG",@progbits,_ZN7rocprim17ROCPRIM_400000_NS6detail17trampoline_kernelINS0_14default_configENS1_20scan_config_selectorItEEZZNS1_9scan_implILNS1_25lookback_scan_determinismE0ELb0ELb0ES3_N6thrust23THRUST_200600_302600_NS6detail15normal_iteratorINS9_10device_ptrItEEEESE_t11max_functorItEtEEDaPvRmT3_T4_T5_mT6_P12ihipStream_tbENKUlT_T0_E_clISt17integral_constantIbLb1EESU_EEDaSP_SQ_EUlSP_E_NS1_11comp_targetILNS1_3genE0ELNS1_11target_archE4294967295ELNS1_3gpuE0ELNS1_3repE0EEENS1_30default_config_static_selectorELNS0_4arch9wavefront6targetE1EEEvT1_,comdat
	.protected	_ZN7rocprim17ROCPRIM_400000_NS6detail17trampoline_kernelINS0_14default_configENS1_20scan_config_selectorItEEZZNS1_9scan_implILNS1_25lookback_scan_determinismE0ELb0ELb0ES3_N6thrust23THRUST_200600_302600_NS6detail15normal_iteratorINS9_10device_ptrItEEEESE_t11max_functorItEtEEDaPvRmT3_T4_T5_mT6_P12ihipStream_tbENKUlT_T0_E_clISt17integral_constantIbLb1EESU_EEDaSP_SQ_EUlSP_E_NS1_11comp_targetILNS1_3genE0ELNS1_11target_archE4294967295ELNS1_3gpuE0ELNS1_3repE0EEENS1_30default_config_static_selectorELNS0_4arch9wavefront6targetE1EEEvT1_ ; -- Begin function _ZN7rocprim17ROCPRIM_400000_NS6detail17trampoline_kernelINS0_14default_configENS1_20scan_config_selectorItEEZZNS1_9scan_implILNS1_25lookback_scan_determinismE0ELb0ELb0ES3_N6thrust23THRUST_200600_302600_NS6detail15normal_iteratorINS9_10device_ptrItEEEESE_t11max_functorItEtEEDaPvRmT3_T4_T5_mT6_P12ihipStream_tbENKUlT_T0_E_clISt17integral_constantIbLb1EESU_EEDaSP_SQ_EUlSP_E_NS1_11comp_targetILNS1_3genE0ELNS1_11target_archE4294967295ELNS1_3gpuE0ELNS1_3repE0EEENS1_30default_config_static_selectorELNS0_4arch9wavefront6targetE1EEEvT1_
	.globl	_ZN7rocprim17ROCPRIM_400000_NS6detail17trampoline_kernelINS0_14default_configENS1_20scan_config_selectorItEEZZNS1_9scan_implILNS1_25lookback_scan_determinismE0ELb0ELb0ES3_N6thrust23THRUST_200600_302600_NS6detail15normal_iteratorINS9_10device_ptrItEEEESE_t11max_functorItEtEEDaPvRmT3_T4_T5_mT6_P12ihipStream_tbENKUlT_T0_E_clISt17integral_constantIbLb1EESU_EEDaSP_SQ_EUlSP_E_NS1_11comp_targetILNS1_3genE0ELNS1_11target_archE4294967295ELNS1_3gpuE0ELNS1_3repE0EEENS1_30default_config_static_selectorELNS0_4arch9wavefront6targetE1EEEvT1_
	.p2align	8
	.type	_ZN7rocprim17ROCPRIM_400000_NS6detail17trampoline_kernelINS0_14default_configENS1_20scan_config_selectorItEEZZNS1_9scan_implILNS1_25lookback_scan_determinismE0ELb0ELb0ES3_N6thrust23THRUST_200600_302600_NS6detail15normal_iteratorINS9_10device_ptrItEEEESE_t11max_functorItEtEEDaPvRmT3_T4_T5_mT6_P12ihipStream_tbENKUlT_T0_E_clISt17integral_constantIbLb1EESU_EEDaSP_SQ_EUlSP_E_NS1_11comp_targetILNS1_3genE0ELNS1_11target_archE4294967295ELNS1_3gpuE0ELNS1_3repE0EEENS1_30default_config_static_selectorELNS0_4arch9wavefront6targetE1EEEvT1_,@function
_ZN7rocprim17ROCPRIM_400000_NS6detail17trampoline_kernelINS0_14default_configENS1_20scan_config_selectorItEEZZNS1_9scan_implILNS1_25lookback_scan_determinismE0ELb0ELb0ES3_N6thrust23THRUST_200600_302600_NS6detail15normal_iteratorINS9_10device_ptrItEEEESE_t11max_functorItEtEEDaPvRmT3_T4_T5_mT6_P12ihipStream_tbENKUlT_T0_E_clISt17integral_constantIbLb1EESU_EEDaSP_SQ_EUlSP_E_NS1_11comp_targetILNS1_3genE0ELNS1_11target_archE4294967295ELNS1_3gpuE0ELNS1_3repE0EEENS1_30default_config_static_selectorELNS0_4arch9wavefront6targetE1EEEvT1_: ; @_ZN7rocprim17ROCPRIM_400000_NS6detail17trampoline_kernelINS0_14default_configENS1_20scan_config_selectorItEEZZNS1_9scan_implILNS1_25lookback_scan_determinismE0ELb0ELb0ES3_N6thrust23THRUST_200600_302600_NS6detail15normal_iteratorINS9_10device_ptrItEEEESE_t11max_functorItEtEEDaPvRmT3_T4_T5_mT6_P12ihipStream_tbENKUlT_T0_E_clISt17integral_constantIbLb1EESU_EEDaSP_SQ_EUlSP_E_NS1_11comp_targetILNS1_3genE0ELNS1_11target_archE4294967295ELNS1_3gpuE0ELNS1_3repE0EEENS1_30default_config_static_selectorELNS0_4arch9wavefront6targetE1EEEvT1_
; %bb.0:
	.section	.rodata,"a",@progbits
	.p2align	6, 0x0
	.amdhsa_kernel _ZN7rocprim17ROCPRIM_400000_NS6detail17trampoline_kernelINS0_14default_configENS1_20scan_config_selectorItEEZZNS1_9scan_implILNS1_25lookback_scan_determinismE0ELb0ELb0ES3_N6thrust23THRUST_200600_302600_NS6detail15normal_iteratorINS9_10device_ptrItEEEESE_t11max_functorItEtEEDaPvRmT3_T4_T5_mT6_P12ihipStream_tbENKUlT_T0_E_clISt17integral_constantIbLb1EESU_EEDaSP_SQ_EUlSP_E_NS1_11comp_targetILNS1_3genE0ELNS1_11target_archE4294967295ELNS1_3gpuE0ELNS1_3repE0EEENS1_30default_config_static_selectorELNS0_4arch9wavefront6targetE1EEEvT1_
		.amdhsa_group_segment_fixed_size 0
		.amdhsa_private_segment_fixed_size 0
		.amdhsa_kernarg_size 96
		.amdhsa_user_sgpr_count 6
		.amdhsa_user_sgpr_private_segment_buffer 1
		.amdhsa_user_sgpr_dispatch_ptr 0
		.amdhsa_user_sgpr_queue_ptr 0
		.amdhsa_user_sgpr_kernarg_segment_ptr 1
		.amdhsa_user_sgpr_dispatch_id 0
		.amdhsa_user_sgpr_flat_scratch_init 0
		.amdhsa_user_sgpr_kernarg_preload_length 0
		.amdhsa_user_sgpr_kernarg_preload_offset 0
		.amdhsa_user_sgpr_private_segment_size 0
		.amdhsa_uses_dynamic_stack 0
		.amdhsa_system_sgpr_private_segment_wavefront_offset 0
		.amdhsa_system_sgpr_workgroup_id_x 1
		.amdhsa_system_sgpr_workgroup_id_y 0
		.amdhsa_system_sgpr_workgroup_id_z 0
		.amdhsa_system_sgpr_workgroup_info 0
		.amdhsa_system_vgpr_workitem_id 0
		.amdhsa_next_free_vgpr 1
		.amdhsa_next_free_sgpr 0
		.amdhsa_accum_offset 4
		.amdhsa_reserve_vcc 0
		.amdhsa_reserve_flat_scratch 0
		.amdhsa_float_round_mode_32 0
		.amdhsa_float_round_mode_16_64 0
		.amdhsa_float_denorm_mode_32 3
		.amdhsa_float_denorm_mode_16_64 3
		.amdhsa_dx10_clamp 1
		.amdhsa_ieee_mode 1
		.amdhsa_fp16_overflow 0
		.amdhsa_tg_split 0
		.amdhsa_exception_fp_ieee_invalid_op 0
		.amdhsa_exception_fp_denorm_src 0
		.amdhsa_exception_fp_ieee_div_zero 0
		.amdhsa_exception_fp_ieee_overflow 0
		.amdhsa_exception_fp_ieee_underflow 0
		.amdhsa_exception_fp_ieee_inexact 0
		.amdhsa_exception_int_div_zero 0
	.end_amdhsa_kernel
	.section	.text._ZN7rocprim17ROCPRIM_400000_NS6detail17trampoline_kernelINS0_14default_configENS1_20scan_config_selectorItEEZZNS1_9scan_implILNS1_25lookback_scan_determinismE0ELb0ELb0ES3_N6thrust23THRUST_200600_302600_NS6detail15normal_iteratorINS9_10device_ptrItEEEESE_t11max_functorItEtEEDaPvRmT3_T4_T5_mT6_P12ihipStream_tbENKUlT_T0_E_clISt17integral_constantIbLb1EESU_EEDaSP_SQ_EUlSP_E_NS1_11comp_targetILNS1_3genE0ELNS1_11target_archE4294967295ELNS1_3gpuE0ELNS1_3repE0EEENS1_30default_config_static_selectorELNS0_4arch9wavefront6targetE1EEEvT1_,"axG",@progbits,_ZN7rocprim17ROCPRIM_400000_NS6detail17trampoline_kernelINS0_14default_configENS1_20scan_config_selectorItEEZZNS1_9scan_implILNS1_25lookback_scan_determinismE0ELb0ELb0ES3_N6thrust23THRUST_200600_302600_NS6detail15normal_iteratorINS9_10device_ptrItEEEESE_t11max_functorItEtEEDaPvRmT3_T4_T5_mT6_P12ihipStream_tbENKUlT_T0_E_clISt17integral_constantIbLb1EESU_EEDaSP_SQ_EUlSP_E_NS1_11comp_targetILNS1_3genE0ELNS1_11target_archE4294967295ELNS1_3gpuE0ELNS1_3repE0EEENS1_30default_config_static_selectorELNS0_4arch9wavefront6targetE1EEEvT1_,comdat
.Lfunc_end2430:
	.size	_ZN7rocprim17ROCPRIM_400000_NS6detail17trampoline_kernelINS0_14default_configENS1_20scan_config_selectorItEEZZNS1_9scan_implILNS1_25lookback_scan_determinismE0ELb0ELb0ES3_N6thrust23THRUST_200600_302600_NS6detail15normal_iteratorINS9_10device_ptrItEEEESE_t11max_functorItEtEEDaPvRmT3_T4_T5_mT6_P12ihipStream_tbENKUlT_T0_E_clISt17integral_constantIbLb1EESU_EEDaSP_SQ_EUlSP_E_NS1_11comp_targetILNS1_3genE0ELNS1_11target_archE4294967295ELNS1_3gpuE0ELNS1_3repE0EEENS1_30default_config_static_selectorELNS0_4arch9wavefront6targetE1EEEvT1_, .Lfunc_end2430-_ZN7rocprim17ROCPRIM_400000_NS6detail17trampoline_kernelINS0_14default_configENS1_20scan_config_selectorItEEZZNS1_9scan_implILNS1_25lookback_scan_determinismE0ELb0ELb0ES3_N6thrust23THRUST_200600_302600_NS6detail15normal_iteratorINS9_10device_ptrItEEEESE_t11max_functorItEtEEDaPvRmT3_T4_T5_mT6_P12ihipStream_tbENKUlT_T0_E_clISt17integral_constantIbLb1EESU_EEDaSP_SQ_EUlSP_E_NS1_11comp_targetILNS1_3genE0ELNS1_11target_archE4294967295ELNS1_3gpuE0ELNS1_3repE0EEENS1_30default_config_static_selectorELNS0_4arch9wavefront6targetE1EEEvT1_
                                        ; -- End function
	.section	.AMDGPU.csdata,"",@progbits
; Kernel info:
; codeLenInByte = 0
; NumSgprs: 4
; NumVgprs: 0
; NumAgprs: 0
; TotalNumVgprs: 0
; ScratchSize: 0
; MemoryBound: 0
; FloatMode: 240
; IeeeMode: 1
; LDSByteSize: 0 bytes/workgroup (compile time only)
; SGPRBlocks: 0
; VGPRBlocks: 0
; NumSGPRsForWavesPerEU: 4
; NumVGPRsForWavesPerEU: 1
; AccumOffset: 4
; Occupancy: 8
; WaveLimiterHint : 0
; COMPUTE_PGM_RSRC2:SCRATCH_EN: 0
; COMPUTE_PGM_RSRC2:USER_SGPR: 6
; COMPUTE_PGM_RSRC2:TRAP_HANDLER: 0
; COMPUTE_PGM_RSRC2:TGID_X_EN: 1
; COMPUTE_PGM_RSRC2:TGID_Y_EN: 0
; COMPUTE_PGM_RSRC2:TGID_Z_EN: 0
; COMPUTE_PGM_RSRC2:TIDIG_COMP_CNT: 0
; COMPUTE_PGM_RSRC3_GFX90A:ACCUM_OFFSET: 0
; COMPUTE_PGM_RSRC3_GFX90A:TG_SPLIT: 0
	.section	.text._ZN7rocprim17ROCPRIM_400000_NS6detail17trampoline_kernelINS0_14default_configENS1_20scan_config_selectorItEEZZNS1_9scan_implILNS1_25lookback_scan_determinismE0ELb0ELb0ES3_N6thrust23THRUST_200600_302600_NS6detail15normal_iteratorINS9_10device_ptrItEEEESE_t11max_functorItEtEEDaPvRmT3_T4_T5_mT6_P12ihipStream_tbENKUlT_T0_E_clISt17integral_constantIbLb1EESU_EEDaSP_SQ_EUlSP_E_NS1_11comp_targetILNS1_3genE5ELNS1_11target_archE942ELNS1_3gpuE9ELNS1_3repE0EEENS1_30default_config_static_selectorELNS0_4arch9wavefront6targetE1EEEvT1_,"axG",@progbits,_ZN7rocprim17ROCPRIM_400000_NS6detail17trampoline_kernelINS0_14default_configENS1_20scan_config_selectorItEEZZNS1_9scan_implILNS1_25lookback_scan_determinismE0ELb0ELb0ES3_N6thrust23THRUST_200600_302600_NS6detail15normal_iteratorINS9_10device_ptrItEEEESE_t11max_functorItEtEEDaPvRmT3_T4_T5_mT6_P12ihipStream_tbENKUlT_T0_E_clISt17integral_constantIbLb1EESU_EEDaSP_SQ_EUlSP_E_NS1_11comp_targetILNS1_3genE5ELNS1_11target_archE942ELNS1_3gpuE9ELNS1_3repE0EEENS1_30default_config_static_selectorELNS0_4arch9wavefront6targetE1EEEvT1_,comdat
	.protected	_ZN7rocprim17ROCPRIM_400000_NS6detail17trampoline_kernelINS0_14default_configENS1_20scan_config_selectorItEEZZNS1_9scan_implILNS1_25lookback_scan_determinismE0ELb0ELb0ES3_N6thrust23THRUST_200600_302600_NS6detail15normal_iteratorINS9_10device_ptrItEEEESE_t11max_functorItEtEEDaPvRmT3_T4_T5_mT6_P12ihipStream_tbENKUlT_T0_E_clISt17integral_constantIbLb1EESU_EEDaSP_SQ_EUlSP_E_NS1_11comp_targetILNS1_3genE5ELNS1_11target_archE942ELNS1_3gpuE9ELNS1_3repE0EEENS1_30default_config_static_selectorELNS0_4arch9wavefront6targetE1EEEvT1_ ; -- Begin function _ZN7rocprim17ROCPRIM_400000_NS6detail17trampoline_kernelINS0_14default_configENS1_20scan_config_selectorItEEZZNS1_9scan_implILNS1_25lookback_scan_determinismE0ELb0ELb0ES3_N6thrust23THRUST_200600_302600_NS6detail15normal_iteratorINS9_10device_ptrItEEEESE_t11max_functorItEtEEDaPvRmT3_T4_T5_mT6_P12ihipStream_tbENKUlT_T0_E_clISt17integral_constantIbLb1EESU_EEDaSP_SQ_EUlSP_E_NS1_11comp_targetILNS1_3genE5ELNS1_11target_archE942ELNS1_3gpuE9ELNS1_3repE0EEENS1_30default_config_static_selectorELNS0_4arch9wavefront6targetE1EEEvT1_
	.globl	_ZN7rocprim17ROCPRIM_400000_NS6detail17trampoline_kernelINS0_14default_configENS1_20scan_config_selectorItEEZZNS1_9scan_implILNS1_25lookback_scan_determinismE0ELb0ELb0ES3_N6thrust23THRUST_200600_302600_NS6detail15normal_iteratorINS9_10device_ptrItEEEESE_t11max_functorItEtEEDaPvRmT3_T4_T5_mT6_P12ihipStream_tbENKUlT_T0_E_clISt17integral_constantIbLb1EESU_EEDaSP_SQ_EUlSP_E_NS1_11comp_targetILNS1_3genE5ELNS1_11target_archE942ELNS1_3gpuE9ELNS1_3repE0EEENS1_30default_config_static_selectorELNS0_4arch9wavefront6targetE1EEEvT1_
	.p2align	8
	.type	_ZN7rocprim17ROCPRIM_400000_NS6detail17trampoline_kernelINS0_14default_configENS1_20scan_config_selectorItEEZZNS1_9scan_implILNS1_25lookback_scan_determinismE0ELb0ELb0ES3_N6thrust23THRUST_200600_302600_NS6detail15normal_iteratorINS9_10device_ptrItEEEESE_t11max_functorItEtEEDaPvRmT3_T4_T5_mT6_P12ihipStream_tbENKUlT_T0_E_clISt17integral_constantIbLb1EESU_EEDaSP_SQ_EUlSP_E_NS1_11comp_targetILNS1_3genE5ELNS1_11target_archE942ELNS1_3gpuE9ELNS1_3repE0EEENS1_30default_config_static_selectorELNS0_4arch9wavefront6targetE1EEEvT1_,@function
_ZN7rocprim17ROCPRIM_400000_NS6detail17trampoline_kernelINS0_14default_configENS1_20scan_config_selectorItEEZZNS1_9scan_implILNS1_25lookback_scan_determinismE0ELb0ELb0ES3_N6thrust23THRUST_200600_302600_NS6detail15normal_iteratorINS9_10device_ptrItEEEESE_t11max_functorItEtEEDaPvRmT3_T4_T5_mT6_P12ihipStream_tbENKUlT_T0_E_clISt17integral_constantIbLb1EESU_EEDaSP_SQ_EUlSP_E_NS1_11comp_targetILNS1_3genE5ELNS1_11target_archE942ELNS1_3gpuE9ELNS1_3repE0EEENS1_30default_config_static_selectorELNS0_4arch9wavefront6targetE1EEEvT1_: ; @_ZN7rocprim17ROCPRIM_400000_NS6detail17trampoline_kernelINS0_14default_configENS1_20scan_config_selectorItEEZZNS1_9scan_implILNS1_25lookback_scan_determinismE0ELb0ELb0ES3_N6thrust23THRUST_200600_302600_NS6detail15normal_iteratorINS9_10device_ptrItEEEESE_t11max_functorItEtEEDaPvRmT3_T4_T5_mT6_P12ihipStream_tbENKUlT_T0_E_clISt17integral_constantIbLb1EESU_EEDaSP_SQ_EUlSP_E_NS1_11comp_targetILNS1_3genE5ELNS1_11target_archE942ELNS1_3gpuE9ELNS1_3repE0EEENS1_30default_config_static_selectorELNS0_4arch9wavefront6targetE1EEEvT1_
; %bb.0:
	.section	.rodata,"a",@progbits
	.p2align	6, 0x0
	.amdhsa_kernel _ZN7rocprim17ROCPRIM_400000_NS6detail17trampoline_kernelINS0_14default_configENS1_20scan_config_selectorItEEZZNS1_9scan_implILNS1_25lookback_scan_determinismE0ELb0ELb0ES3_N6thrust23THRUST_200600_302600_NS6detail15normal_iteratorINS9_10device_ptrItEEEESE_t11max_functorItEtEEDaPvRmT3_T4_T5_mT6_P12ihipStream_tbENKUlT_T0_E_clISt17integral_constantIbLb1EESU_EEDaSP_SQ_EUlSP_E_NS1_11comp_targetILNS1_3genE5ELNS1_11target_archE942ELNS1_3gpuE9ELNS1_3repE0EEENS1_30default_config_static_selectorELNS0_4arch9wavefront6targetE1EEEvT1_
		.amdhsa_group_segment_fixed_size 0
		.amdhsa_private_segment_fixed_size 0
		.amdhsa_kernarg_size 96
		.amdhsa_user_sgpr_count 6
		.amdhsa_user_sgpr_private_segment_buffer 1
		.amdhsa_user_sgpr_dispatch_ptr 0
		.amdhsa_user_sgpr_queue_ptr 0
		.amdhsa_user_sgpr_kernarg_segment_ptr 1
		.amdhsa_user_sgpr_dispatch_id 0
		.amdhsa_user_sgpr_flat_scratch_init 0
		.amdhsa_user_sgpr_kernarg_preload_length 0
		.amdhsa_user_sgpr_kernarg_preload_offset 0
		.amdhsa_user_sgpr_private_segment_size 0
		.amdhsa_uses_dynamic_stack 0
		.amdhsa_system_sgpr_private_segment_wavefront_offset 0
		.amdhsa_system_sgpr_workgroup_id_x 1
		.amdhsa_system_sgpr_workgroup_id_y 0
		.amdhsa_system_sgpr_workgroup_id_z 0
		.amdhsa_system_sgpr_workgroup_info 0
		.amdhsa_system_vgpr_workitem_id 0
		.amdhsa_next_free_vgpr 1
		.amdhsa_next_free_sgpr 0
		.amdhsa_accum_offset 4
		.amdhsa_reserve_vcc 0
		.amdhsa_reserve_flat_scratch 0
		.amdhsa_float_round_mode_32 0
		.amdhsa_float_round_mode_16_64 0
		.amdhsa_float_denorm_mode_32 3
		.amdhsa_float_denorm_mode_16_64 3
		.amdhsa_dx10_clamp 1
		.amdhsa_ieee_mode 1
		.amdhsa_fp16_overflow 0
		.amdhsa_tg_split 0
		.amdhsa_exception_fp_ieee_invalid_op 0
		.amdhsa_exception_fp_denorm_src 0
		.amdhsa_exception_fp_ieee_div_zero 0
		.amdhsa_exception_fp_ieee_overflow 0
		.amdhsa_exception_fp_ieee_underflow 0
		.amdhsa_exception_fp_ieee_inexact 0
		.amdhsa_exception_int_div_zero 0
	.end_amdhsa_kernel
	.section	.text._ZN7rocprim17ROCPRIM_400000_NS6detail17trampoline_kernelINS0_14default_configENS1_20scan_config_selectorItEEZZNS1_9scan_implILNS1_25lookback_scan_determinismE0ELb0ELb0ES3_N6thrust23THRUST_200600_302600_NS6detail15normal_iteratorINS9_10device_ptrItEEEESE_t11max_functorItEtEEDaPvRmT3_T4_T5_mT6_P12ihipStream_tbENKUlT_T0_E_clISt17integral_constantIbLb1EESU_EEDaSP_SQ_EUlSP_E_NS1_11comp_targetILNS1_3genE5ELNS1_11target_archE942ELNS1_3gpuE9ELNS1_3repE0EEENS1_30default_config_static_selectorELNS0_4arch9wavefront6targetE1EEEvT1_,"axG",@progbits,_ZN7rocprim17ROCPRIM_400000_NS6detail17trampoline_kernelINS0_14default_configENS1_20scan_config_selectorItEEZZNS1_9scan_implILNS1_25lookback_scan_determinismE0ELb0ELb0ES3_N6thrust23THRUST_200600_302600_NS6detail15normal_iteratorINS9_10device_ptrItEEEESE_t11max_functorItEtEEDaPvRmT3_T4_T5_mT6_P12ihipStream_tbENKUlT_T0_E_clISt17integral_constantIbLb1EESU_EEDaSP_SQ_EUlSP_E_NS1_11comp_targetILNS1_3genE5ELNS1_11target_archE942ELNS1_3gpuE9ELNS1_3repE0EEENS1_30default_config_static_selectorELNS0_4arch9wavefront6targetE1EEEvT1_,comdat
.Lfunc_end2431:
	.size	_ZN7rocprim17ROCPRIM_400000_NS6detail17trampoline_kernelINS0_14default_configENS1_20scan_config_selectorItEEZZNS1_9scan_implILNS1_25lookback_scan_determinismE0ELb0ELb0ES3_N6thrust23THRUST_200600_302600_NS6detail15normal_iteratorINS9_10device_ptrItEEEESE_t11max_functorItEtEEDaPvRmT3_T4_T5_mT6_P12ihipStream_tbENKUlT_T0_E_clISt17integral_constantIbLb1EESU_EEDaSP_SQ_EUlSP_E_NS1_11comp_targetILNS1_3genE5ELNS1_11target_archE942ELNS1_3gpuE9ELNS1_3repE0EEENS1_30default_config_static_selectorELNS0_4arch9wavefront6targetE1EEEvT1_, .Lfunc_end2431-_ZN7rocprim17ROCPRIM_400000_NS6detail17trampoline_kernelINS0_14default_configENS1_20scan_config_selectorItEEZZNS1_9scan_implILNS1_25lookback_scan_determinismE0ELb0ELb0ES3_N6thrust23THRUST_200600_302600_NS6detail15normal_iteratorINS9_10device_ptrItEEEESE_t11max_functorItEtEEDaPvRmT3_T4_T5_mT6_P12ihipStream_tbENKUlT_T0_E_clISt17integral_constantIbLb1EESU_EEDaSP_SQ_EUlSP_E_NS1_11comp_targetILNS1_3genE5ELNS1_11target_archE942ELNS1_3gpuE9ELNS1_3repE0EEENS1_30default_config_static_selectorELNS0_4arch9wavefront6targetE1EEEvT1_
                                        ; -- End function
	.section	.AMDGPU.csdata,"",@progbits
; Kernel info:
; codeLenInByte = 0
; NumSgprs: 4
; NumVgprs: 0
; NumAgprs: 0
; TotalNumVgprs: 0
; ScratchSize: 0
; MemoryBound: 0
; FloatMode: 240
; IeeeMode: 1
; LDSByteSize: 0 bytes/workgroup (compile time only)
; SGPRBlocks: 0
; VGPRBlocks: 0
; NumSGPRsForWavesPerEU: 4
; NumVGPRsForWavesPerEU: 1
; AccumOffset: 4
; Occupancy: 8
; WaveLimiterHint : 0
; COMPUTE_PGM_RSRC2:SCRATCH_EN: 0
; COMPUTE_PGM_RSRC2:USER_SGPR: 6
; COMPUTE_PGM_RSRC2:TRAP_HANDLER: 0
; COMPUTE_PGM_RSRC2:TGID_X_EN: 1
; COMPUTE_PGM_RSRC2:TGID_Y_EN: 0
; COMPUTE_PGM_RSRC2:TGID_Z_EN: 0
; COMPUTE_PGM_RSRC2:TIDIG_COMP_CNT: 0
; COMPUTE_PGM_RSRC3_GFX90A:ACCUM_OFFSET: 0
; COMPUTE_PGM_RSRC3_GFX90A:TG_SPLIT: 0
	.section	.text._ZN7rocprim17ROCPRIM_400000_NS6detail17trampoline_kernelINS0_14default_configENS1_20scan_config_selectorItEEZZNS1_9scan_implILNS1_25lookback_scan_determinismE0ELb0ELb0ES3_N6thrust23THRUST_200600_302600_NS6detail15normal_iteratorINS9_10device_ptrItEEEESE_t11max_functorItEtEEDaPvRmT3_T4_T5_mT6_P12ihipStream_tbENKUlT_T0_E_clISt17integral_constantIbLb1EESU_EEDaSP_SQ_EUlSP_E_NS1_11comp_targetILNS1_3genE4ELNS1_11target_archE910ELNS1_3gpuE8ELNS1_3repE0EEENS1_30default_config_static_selectorELNS0_4arch9wavefront6targetE1EEEvT1_,"axG",@progbits,_ZN7rocprim17ROCPRIM_400000_NS6detail17trampoline_kernelINS0_14default_configENS1_20scan_config_selectorItEEZZNS1_9scan_implILNS1_25lookback_scan_determinismE0ELb0ELb0ES3_N6thrust23THRUST_200600_302600_NS6detail15normal_iteratorINS9_10device_ptrItEEEESE_t11max_functorItEtEEDaPvRmT3_T4_T5_mT6_P12ihipStream_tbENKUlT_T0_E_clISt17integral_constantIbLb1EESU_EEDaSP_SQ_EUlSP_E_NS1_11comp_targetILNS1_3genE4ELNS1_11target_archE910ELNS1_3gpuE8ELNS1_3repE0EEENS1_30default_config_static_selectorELNS0_4arch9wavefront6targetE1EEEvT1_,comdat
	.protected	_ZN7rocprim17ROCPRIM_400000_NS6detail17trampoline_kernelINS0_14default_configENS1_20scan_config_selectorItEEZZNS1_9scan_implILNS1_25lookback_scan_determinismE0ELb0ELb0ES3_N6thrust23THRUST_200600_302600_NS6detail15normal_iteratorINS9_10device_ptrItEEEESE_t11max_functorItEtEEDaPvRmT3_T4_T5_mT6_P12ihipStream_tbENKUlT_T0_E_clISt17integral_constantIbLb1EESU_EEDaSP_SQ_EUlSP_E_NS1_11comp_targetILNS1_3genE4ELNS1_11target_archE910ELNS1_3gpuE8ELNS1_3repE0EEENS1_30default_config_static_selectorELNS0_4arch9wavefront6targetE1EEEvT1_ ; -- Begin function _ZN7rocprim17ROCPRIM_400000_NS6detail17trampoline_kernelINS0_14default_configENS1_20scan_config_selectorItEEZZNS1_9scan_implILNS1_25lookback_scan_determinismE0ELb0ELb0ES3_N6thrust23THRUST_200600_302600_NS6detail15normal_iteratorINS9_10device_ptrItEEEESE_t11max_functorItEtEEDaPvRmT3_T4_T5_mT6_P12ihipStream_tbENKUlT_T0_E_clISt17integral_constantIbLb1EESU_EEDaSP_SQ_EUlSP_E_NS1_11comp_targetILNS1_3genE4ELNS1_11target_archE910ELNS1_3gpuE8ELNS1_3repE0EEENS1_30default_config_static_selectorELNS0_4arch9wavefront6targetE1EEEvT1_
	.globl	_ZN7rocprim17ROCPRIM_400000_NS6detail17trampoline_kernelINS0_14default_configENS1_20scan_config_selectorItEEZZNS1_9scan_implILNS1_25lookback_scan_determinismE0ELb0ELb0ES3_N6thrust23THRUST_200600_302600_NS6detail15normal_iteratorINS9_10device_ptrItEEEESE_t11max_functorItEtEEDaPvRmT3_T4_T5_mT6_P12ihipStream_tbENKUlT_T0_E_clISt17integral_constantIbLb1EESU_EEDaSP_SQ_EUlSP_E_NS1_11comp_targetILNS1_3genE4ELNS1_11target_archE910ELNS1_3gpuE8ELNS1_3repE0EEENS1_30default_config_static_selectorELNS0_4arch9wavefront6targetE1EEEvT1_
	.p2align	8
	.type	_ZN7rocprim17ROCPRIM_400000_NS6detail17trampoline_kernelINS0_14default_configENS1_20scan_config_selectorItEEZZNS1_9scan_implILNS1_25lookback_scan_determinismE0ELb0ELb0ES3_N6thrust23THRUST_200600_302600_NS6detail15normal_iteratorINS9_10device_ptrItEEEESE_t11max_functorItEtEEDaPvRmT3_T4_T5_mT6_P12ihipStream_tbENKUlT_T0_E_clISt17integral_constantIbLb1EESU_EEDaSP_SQ_EUlSP_E_NS1_11comp_targetILNS1_3genE4ELNS1_11target_archE910ELNS1_3gpuE8ELNS1_3repE0EEENS1_30default_config_static_selectorELNS0_4arch9wavefront6targetE1EEEvT1_,@function
_ZN7rocprim17ROCPRIM_400000_NS6detail17trampoline_kernelINS0_14default_configENS1_20scan_config_selectorItEEZZNS1_9scan_implILNS1_25lookback_scan_determinismE0ELb0ELb0ES3_N6thrust23THRUST_200600_302600_NS6detail15normal_iteratorINS9_10device_ptrItEEEESE_t11max_functorItEtEEDaPvRmT3_T4_T5_mT6_P12ihipStream_tbENKUlT_T0_E_clISt17integral_constantIbLb1EESU_EEDaSP_SQ_EUlSP_E_NS1_11comp_targetILNS1_3genE4ELNS1_11target_archE910ELNS1_3gpuE8ELNS1_3repE0EEENS1_30default_config_static_selectorELNS0_4arch9wavefront6targetE1EEEvT1_: ; @_ZN7rocprim17ROCPRIM_400000_NS6detail17trampoline_kernelINS0_14default_configENS1_20scan_config_selectorItEEZZNS1_9scan_implILNS1_25lookback_scan_determinismE0ELb0ELb0ES3_N6thrust23THRUST_200600_302600_NS6detail15normal_iteratorINS9_10device_ptrItEEEESE_t11max_functorItEtEEDaPvRmT3_T4_T5_mT6_P12ihipStream_tbENKUlT_T0_E_clISt17integral_constantIbLb1EESU_EEDaSP_SQ_EUlSP_E_NS1_11comp_targetILNS1_3genE4ELNS1_11target_archE910ELNS1_3gpuE8ELNS1_3repE0EEENS1_30default_config_static_selectorELNS0_4arch9wavefront6targetE1EEEvT1_
; %bb.0:
	s_load_dwordx2 s[34:35], s[4:5], 0x28
	v_cmp_ne_u32_e64 s[0:1], 0, v0
	v_cmp_eq_u32_e64 s[2:3], 0, v0
	s_and_saveexec_b64 s[6:7], s[2:3]
	s_cbranch_execz .LBB2432_4
; %bb.1:
	s_mov_b64 s[10:11], exec
	v_mbcnt_lo_u32_b32 v1, s10, 0
	v_mbcnt_hi_u32_b32 v1, s11, v1
	v_cmp_eq_u32_e32 vcc, 0, v1
                                        ; implicit-def: $vgpr2
	s_and_saveexec_b64 s[8:9], vcc
	s_cbranch_execz .LBB2432_3
; %bb.2:
	s_load_dwordx2 s[12:13], s[4:5], 0x58
	s_bcnt1_i32_b64 s10, s[10:11]
	v_mov_b32_e32 v2, 0
	v_mov_b32_e32 v3, s10
	s_waitcnt lgkmcnt(0)
	global_atomic_add v2, v2, v3, s[12:13] glc
.LBB2432_3:
	s_or_b64 exec, exec, s[8:9]
	s_waitcnt vmcnt(0)
	v_readfirstlane_b32 s8, v2
	v_add_u32_e32 v1, s8, v1
	v_mov_b32_e32 v2, 0
	ds_write_b32 v2, v1
.LBB2432_4:
	s_or_b64 exec, exec, s[6:7]
	s_load_dwordx8 s[24:31], s[4:5], 0x0
	s_load_dword s6, s[4:5], 0x30
	s_load_dwordx8 s[16:23], s[4:5], 0x38
	v_mov_b32_e32 v1, 0
	s_waitcnt lgkmcnt(0)
	; wave barrier
	s_waitcnt lgkmcnt(0)
	ds_read_b32 v1, v1
	s_lshl_b64 s[14:15], s[26:27], 1
	s_add_u32 s7, s24, s14
	s_addc_u32 s8, s25, s15
	s_add_i32 s6, s6, -1
	s_mul_i32 s9, s6, 0x600
	s_sub_u32 s33, s30, s9
	s_waitcnt lgkmcnt(0)
	v_readfirstlane_b32 s37, v1
	s_subb_u32 s36, s31, 0
	s_mul_i32 s4, s37, 0x600
	s_mov_b32 s5, 0
	s_cmp_lg_u32 s37, s6
	s_cselect_b64 s[24:25], -1, 0
	s_lshl_b64 s[26:27], s[4:5], 1
	s_add_u32 s6, s7, s26
	s_addc_u32 s7, s8, s27
	s_mov_b64 s[4:5], -1
	s_and_b64 vcc, exec, s[24:25]
	v_lshlrev_b32_e32 v20, 1, v0
	s_waitcnt lgkmcnt(0)
	; wave barrier
	s_cbranch_vccz .LBB2432_6
; %bb.5:
	v_mov_b32_e32 v1, s7
	v_add_co_u32_e32 v2, vcc, s6, v20
	v_addc_co_u32_e32 v3, vcc, 0, v1, vcc
	flat_load_ushort v1, v[2:3]
	flat_load_ushort v4, v[2:3] offset:128
	flat_load_ushort v5, v[2:3] offset:256
	;; [unrolled: 1-line block ×23, first 2 shown]
	s_mov_b64 s[4:5], 0
	s_waitcnt vmcnt(0) lgkmcnt(0)
	ds_write_b16 v20, v1
	ds_write_b16 v20, v4 offset:128
	ds_write_b16 v20, v5 offset:256
	;; [unrolled: 1-line block ×23, first 2 shown]
	s_waitcnt lgkmcnt(0)
	; wave barrier
.LBB2432_6:
	s_andn2_b64 vcc, exec, s[4:5]
	v_cmp_gt_u32_e64 s[4:5], s33, v0
	s_cbranch_vccnz .LBB2432_56
; %bb.7:
	v_pk_mov_b32 v[2:3], s[6:7], s[6:7] op_sel:[0,1]
	flat_load_ushort v1, v[2:3]
	s_waitcnt vmcnt(0) lgkmcnt(0)
	v_mov_b32_e32 v2, v1
	s_and_saveexec_b64 s[8:9], s[4:5]
	s_cbranch_execz .LBB2432_9
; %bb.8:
	v_mov_b32_e32 v3, s7
	v_add_co_u32_e32 v2, vcc, s6, v20
	v_addc_co_u32_e32 v3, vcc, 0, v3, vcc
	flat_load_ushort v2, v[2:3]
.LBB2432_9:
	s_or_b64 exec, exec, s[8:9]
	v_or_b32_e32 v3, 64, v0
	v_cmp_gt_u32_e32 vcc, s33, v3
	v_mov_b32_e32 v3, v1
	s_and_saveexec_b64 s[4:5], vcc
	s_cbranch_execz .LBB2432_11
; %bb.10:
	v_mov_b32_e32 v3, s7
	v_add_co_u32_e32 v4, vcc, s6, v20
	v_addc_co_u32_e32 v5, vcc, 0, v3, vcc
	flat_load_ushort v3, v[4:5] offset:128
.LBB2432_11:
	s_or_b64 exec, exec, s[4:5]
	v_or_b32_e32 v4, 0x80, v0
	v_cmp_gt_u32_e32 vcc, s33, v4
	v_mov_b32_e32 v4, v1
	s_and_saveexec_b64 s[4:5], vcc
	s_cbranch_execz .LBB2432_13
; %bb.12:
	v_mov_b32_e32 v5, s7
	v_add_co_u32_e32 v4, vcc, s6, v20
	v_addc_co_u32_e32 v5, vcc, 0, v5, vcc
	flat_load_ushort v4, v[4:5] offset:256
.LBB2432_13:
	;; [unrolled: 12-line block ×22, first 2 shown]
	s_or_b64 exec, exec, s[4:5]
	v_or_b32_e32 v26, 0x5c0, v0
	v_cmp_gt_u32_e32 vcc, s33, v26
	s_and_saveexec_b64 s[4:5], vcc
	s_cbranch_execz .LBB2432_55
; %bb.54:
	v_mov_b32_e32 v1, s7
	v_add_co_u32_e32 v26, vcc, s6, v20
	v_addc_co_u32_e32 v27, vcc, 0, v1, vcc
	flat_load_ushort v1, v[26:27] offset:2944
.LBB2432_55:
	s_or_b64 exec, exec, s[4:5]
	s_waitcnt vmcnt(0) lgkmcnt(0)
	ds_write_b16 v20, v2
	ds_write_b16 v20, v3 offset:128
	ds_write_b16 v20, v4 offset:256
	;; [unrolled: 1-line block ×23, first 2 shown]
	s_waitcnt lgkmcnt(0)
	; wave barrier
.LBB2432_56:
	v_mul_u32_u24_e32 v21, 24, v0
	v_lshlrev_b32_e32 v22, 1, v21
	s_waitcnt lgkmcnt(0)
	ds_read_b128 v[10:13], v22
	ds_read_b128 v[6:9], v22 offset:16
	ds_read_b128 v[2:5], v22 offset:32
	s_cmp_lg_u32 s37, 0
	v_mbcnt_lo_u32_b32 v33, -1, 0
	s_waitcnt lgkmcnt(2)
	v_lshrrev_b32_e32 v32, 16, v11
	v_lshrrev_b32_e32 v31, 16, v12
	;; [unrolled: 1-line block ×3, first 2 shown]
	s_waitcnt lgkmcnt(1)
	v_lshrrev_b32_e32 v29, 16, v6
	v_lshrrev_b32_e32 v28, 16, v7
	;; [unrolled: 1-line block ×4, first 2 shown]
	s_waitcnt lgkmcnt(0)
	v_lshrrev_b32_e32 v25, 16, v2
	v_lshrrev_b32_e32 v24, 16, v3
	;; [unrolled: 1-line block ×4, first 2 shown]
	v_cmp_eq_u32_e32 vcc, 63, v0
	s_waitcnt lgkmcnt(0)
	; wave barrier
	s_cbranch_scc0 .LBB2432_83
; %bb.57:
	v_max_u16_sdwa v14, v10, v10 dst_sel:DWORD dst_unused:UNUSED_PAD src0_sel:DWORD src1_sel:WORD_1
	v_max3_u16 v14, v14, v11, v32
	v_max3_u16 v14, v14, v12, v31
	;; [unrolled: 1-line block ×11, first 2 shown]
	v_mbcnt_hi_u32_b32 v15, -1, v33
	v_and_b32_e32 v17, 0xffff, v14
	v_and_b32_e32 v16, 15, v15
	v_cmp_eq_u32_e64 s[4:5], 0, v16
	v_mov_b32_dpp v17, v17 row_shr:1 row_mask:0xf bank_mask:0xf
	v_max_u16_e32 v17, v17, v14
	v_cndmask_b32_e64 v14, v17, v14, s[4:5]
	v_and_b32_e32 v17, 0xffff, v14
	v_cmp_lt_u32_e64 s[4:5], 1, v16
	s_nop 0
	v_mov_b32_dpp v17, v17 row_shr:2 row_mask:0xf bank_mask:0xf
	v_max_u16_e32 v17, v17, v14
	v_cndmask_b32_e64 v14, v14, v17, s[4:5]
	v_and_b32_e32 v17, 0xffff, v14
	v_cmp_lt_u32_e64 s[4:5], 3, v16
	s_nop 0
	;; [unrolled: 6-line block ×3, first 2 shown]
	v_mov_b32_dpp v17, v17 row_shr:8 row_mask:0xf bank_mask:0xf
	v_max_u16_e32 v17, v17, v14
	v_cndmask_b32_e64 v14, v14, v17, s[4:5]
	v_and_b32_e32 v16, 0xffff, v14
	v_and_b32_e32 v17, 16, v15
	v_cmp_eq_u32_e64 s[4:5], 0, v17
	v_mov_b32_dpp v16, v16 row_bcast:15 row_mask:0xf bank_mask:0xf
	v_max_u16_e32 v16, v16, v14
	v_cndmask_b32_e64 v14, v16, v14, s[4:5]
	v_and_b32_e32 v16, 0xffff, v14
	v_cmp_lt_u32_e64 s[4:5], 31, v15
	s_nop 0
	v_mov_b32_dpp v16, v16 row_bcast:31 row_mask:0xf bank_mask:0xf
	v_max_u16_e32 v16, v16, v14
	v_cndmask_b32_e64 v14, v14, v16, s[4:5]
	s_and_saveexec_b64 s[4:5], vcc
	s_cbranch_execz .LBB2432_59
; %bb.58:
	v_mov_b32_e32 v16, 0
	ds_write_b16 v16, v14
.LBB2432_59:
	s_or_b64 exec, exec, s[4:5]
	v_add_u32_e32 v16, -1, v15
	v_and_b32_e32 v17, 64, v15
	v_cmp_lt_i32_e32 vcc, v16, v17
	v_cndmask_b32_e32 v16, v16, v15, vcc
	v_and_b32_e32 v14, 0xffff, v14
	v_lshlrev_b32_e32 v16, 2, v16
	ds_bpermute_b32 v34, v16, v14
	v_cmp_gt_u32_e32 vcc, 64, v0
	s_waitcnt lgkmcnt(0)
	; wave barrier
	s_waitcnt lgkmcnt(0)
	s_and_saveexec_b64 s[30:31], vcc
	s_cbranch_execz .LBB2432_82
; %bb.60:
	v_mov_b32_e32 v19, 0
	ds_read_u16 v35, v19
	s_mov_b32 s9, 0
	v_cmp_eq_u32_e64 s[4:5], 0, v15
	s_and_saveexec_b64 s[6:7], s[4:5]
	s_cbranch_execz .LBB2432_62
; %bb.61:
	s_add_i32 s8, s37, 64
	s_lshl_b64 s[8:9], s[8:9], 2
	s_add_u32 s8, s34, s8
	s_waitcnt lgkmcnt(0)
	v_or_b32_e32 v14, 0x10000, v35
	s_addc_u32 s9, s35, s9
	global_store_dword v19, v14, s[8:9]
.LBB2432_62:
	s_or_b64 exec, exec, s[6:7]
	v_xad_u32 v14, v15, -1, s37
	v_add_u32_e32 v18, 64, v14
	v_lshlrev_b64 v[16:17], 2, v[18:19]
	v_mov_b32_e32 v18, s35
	v_add_co_u32_e32 v16, vcc, s34, v16
	v_addc_co_u32_e32 v17, vcc, v18, v17, vcc
	global_load_dword v18, v[16:17], off glc
	s_waitcnt vmcnt(0)
	v_lshrrev_b32_e32 v39, 16, v18
	v_cmp_eq_u16_sdwa s[8:9], v39, v19 src0_sel:BYTE_0 src1_sel:DWORD
	s_and_saveexec_b64 s[6:7], s[8:9]
	s_cbranch_execz .LBB2432_68
; %bb.63:
	s_mov_b32 s10, 1
	s_mov_b64 s[8:9], 0
	v_mov_b32_e32 v19, 0
.LBB2432_64:                            ; =>This Loop Header: Depth=1
                                        ;     Child Loop BB2432_65 Depth 2
	s_max_u32 s11, s10, 1
.LBB2432_65:                            ;   Parent Loop BB2432_64 Depth=1
                                        ; =>  This Inner Loop Header: Depth=2
	s_add_i32 s11, s11, -1
	s_cmp_eq_u32 s11, 0
	s_sleep 1
	s_cbranch_scc0 .LBB2432_65
; %bb.66:                               ;   in Loop: Header=BB2432_64 Depth=1
	global_load_dword v18, v[16:17], off glc
	s_cmp_lt_u32 s10, 32
	s_cselect_b64 s[12:13], -1, 0
	s_cmp_lg_u64 s[12:13], 0
	s_addc_u32 s10, s10, 0
	s_waitcnt vmcnt(0)
	v_lshrrev_b32_e32 v39, 16, v18
	v_cmp_ne_u16_sdwa s[12:13], v39, v19 src0_sel:BYTE_0 src1_sel:DWORD
	s_or_b64 s[8:9], s[12:13], s[8:9]
	s_andn2_b64 exec, exec, s[8:9]
	s_cbranch_execnz .LBB2432_64
; %bb.67:
	s_or_b64 exec, exec, s[8:9]
.LBB2432_68:
	s_or_b64 exec, exec, s[6:7]
	v_and_b32_e32 v37, 63, v15
	v_cmp_ne_u32_e32 vcc, 63, v37
	v_mov_b32_e32 v36, 2
	v_addc_co_u32_e32 v38, vcc, 0, v15, vcc
	v_cmp_eq_u16_sdwa s[6:7], v39, v36 src0_sel:BYTE_0 src1_sel:DWORD
	v_lshlrev_b64 v[16:17], v15, -1
	v_and_b32_e32 v41, 0xffff, v18
	v_lshlrev_b32_e32 v38, 2, v38
	v_and_b32_e32 v19, s7, v17
	ds_bpermute_b32 v42, v38, v41
	v_or_b32_e32 v19, 0x80000000, v19
	v_and_b32_e32 v40, s6, v16
	v_ffbl_b32_e32 v19, v19
	v_add_u32_e32 v19, 32, v19
	v_ffbl_b32_e32 v40, v40
	v_cmp_gt_u32_e64 s[6:7], 62, v37
	v_min_u32_e32 v19, v40, v19
	v_cndmask_b32_e64 v40, 0, 1, s[6:7]
	s_waitcnt lgkmcnt(0)
	v_max_u16_e32 v42, v42, v18
	v_cmp_lt_u32_e32 vcc, v37, v19
	v_lshlrev_b32_e32 v40, 1, v40
	v_cndmask_b32_e32 v43, v41, v42, vcc
	v_add_lshl_u32 v40, v40, v15, 2
	ds_bpermute_b32 v44, v40, v43
	v_cmp_gt_u32_e64 s[8:9], 60, v37
	v_cndmask_b32_e32 v45, v18, v42, vcc
	v_add_u32_e32 v41, 2, v37
	v_cndmask_b32_e64 v42, 0, 1, s[8:9]
	s_waitcnt lgkmcnt(0)
	v_max_u16_e32 v44, v44, v45
	v_cmp_gt_u32_e64 s[6:7], v41, v19
	v_lshlrev_b32_e32 v42, 2, v42
	v_cndmask_b32_e64 v46, v44, v43, s[6:7]
	v_add_lshl_u32 v42, v42, v15, 2
	ds_bpermute_b32 v47, v42, v46
	v_cmp_gt_u32_e64 s[8:9], 56, v37
	v_cndmask_b32_e64 v48, v44, v45, s[6:7]
	v_add_u32_e32 v43, 4, v37
	v_cndmask_b32_e64 v44, 0, 1, s[8:9]
	s_waitcnt lgkmcnt(0)
	v_max_u16_e32 v51, v47, v48
	v_cmp_gt_u32_e64 s[6:7], v43, v19
	v_lshlrev_b32_e32 v44, 3, v44
	v_cndmask_b32_e64 v46, v51, v46, s[6:7]
	v_add_lshl_u32 v44, v44, v15, 2
	ds_bpermute_b32 v47, v44, v46
	v_cndmask_b32_e64 v49, v51, v48, s[6:7]
	v_add_u32_e32 v45, 8, v37
	v_cmp_gt_u32_e64 s[8:9], v45, v19
	v_cmp_gt_u32_e64 s[10:11], 48, v37
	s_waitcnt lgkmcnt(0)
	v_max_u16_e32 v52, v47, v49
	v_cndmask_b32_e64 v50, v52, v46, s[8:9]
	v_cndmask_b32_e64 v46, 0, 1, s[10:11]
	v_lshlrev_b32_e32 v46, 4, v46
	v_add_lshl_u32 v46, v46, v15, 2
	ds_bpermute_b32 v53, v46, v50
	v_cmp_gt_u32_e64 s[12:13], 32, v37
	v_cndmask_b32_e64 v54, v52, v49, s[8:9]
	v_add_u32_e32 v47, 16, v37
	v_cndmask_b32_e64 v49, 0, 1, s[12:13]
	s_waitcnt lgkmcnt(0)
	v_max_u16_e32 v53, v53, v54
	v_cmp_gt_u32_e64 s[10:11], v47, v19
	v_lshlrev_b32_e32 v49, 5, v49
	v_cndmask_b32_e64 v50, v53, v50, s[10:11]
	v_add_lshl_u32 v49, v49, v15, 2
	ds_bpermute_b32 v15, v49, v50
	v_cndmask_b32_e32 v18, v18, v48, vcc
	v_cndmask_b32_e64 v18, v51, v18, s[6:7]
	v_add_u32_e32 v50, 32, v37
	v_cndmask_b32_e64 v54, v53, v54, s[10:11]
	v_cndmask_b32_e64 v18, v52, v18, s[8:9]
	s_waitcnt lgkmcnt(0)
	v_max_u16_e32 v15, v15, v54
	v_cndmask_b32_e64 v18, v53, v18, s[10:11]
	v_cmp_gt_u32_e32 vcc, v50, v19
	v_cndmask_b32_e32 v18, v15, v18, vcc
	v_mov_b32_e32 v15, 0
	s_branch .LBB2432_70
.LBB2432_69:                            ;   in Loop: Header=BB2432_70 Depth=1
	s_or_b64 exec, exec, s[6:7]
	v_cmp_eq_u16_sdwa s[6:7], v39, v36 src0_sel:BYTE_0 src1_sel:DWORD
	v_and_b32_e32 v52, 0xffff, v51
	v_and_b32_e32 v18, s7, v17
	ds_bpermute_b32 v53, v38, v52
	v_or_b32_e32 v18, 0x80000000, v18
	v_and_b32_e32 v19, s6, v16
	v_ffbl_b32_e32 v18, v18
	v_add_u32_e32 v18, 32, v18
	v_ffbl_b32_e32 v19, v19
	v_min_u32_e32 v18, v19, v18
	s_waitcnt lgkmcnt(0)
	v_max_u16_e32 v19, v53, v51
	v_cmp_lt_u32_e32 vcc, v37, v18
	v_cndmask_b32_e32 v52, v52, v19, vcc
	ds_bpermute_b32 v53, v40, v52
	v_cndmask_b32_e32 v19, v51, v19, vcc
	v_cmp_gt_u32_e64 s[6:7], v41, v18
	v_cmp_gt_u32_e64 s[8:9], v45, v18
	v_subrev_u32_e32 v14, 64, v14
	s_waitcnt lgkmcnt(0)
	v_max_u16_e32 v53, v53, v19
	v_cndmask_b32_e64 v52, v53, v52, s[6:7]
	ds_bpermute_b32 v54, v42, v52
	v_cndmask_b32_e64 v19, v53, v19, s[6:7]
	v_cmp_gt_u32_e64 s[6:7], v43, v18
	s_waitcnt lgkmcnt(0)
	v_max_u16_e32 v53, v54, v19
	v_cndmask_b32_e64 v52, v53, v52, s[6:7]
	ds_bpermute_b32 v54, v44, v52
	v_cndmask_b32_e64 v55, v53, v19, s[6:7]
	v_cndmask_b32_e32 v19, v51, v19, vcc
	v_cmp_gt_u32_e32 vcc, v47, v18
	v_cndmask_b32_e64 v19, v53, v19, s[6:7]
	s_waitcnt lgkmcnt(0)
	v_max_u16_e32 v54, v54, v55
	v_cndmask_b32_e64 v52, v54, v52, s[8:9]
	ds_bpermute_b32 v56, v46, v52
	v_cndmask_b32_e64 v51, v54, v55, s[8:9]
	v_cndmask_b32_e64 v19, v54, v19, s[8:9]
	s_waitcnt lgkmcnt(0)
	v_max_u16_e32 v55, v56, v51
	v_cndmask_b32_e32 v52, v55, v52, vcc
	ds_bpermute_b32 v52, v49, v52
	v_cndmask_b32_e32 v51, v55, v51, vcc
	v_cndmask_b32_e32 v19, v55, v19, vcc
	v_cmp_gt_u32_e32 vcc, v50, v18
	s_waitcnt lgkmcnt(0)
	v_max_u16_e32 v51, v52, v51
	v_cndmask_b32_e32 v18, v51, v19, vcc
	v_max_u16_e32 v18, v18, v48
.LBB2432_70:                            ; =>This Loop Header: Depth=1
                                        ;     Child Loop BB2432_73 Depth 2
                                        ;       Child Loop BB2432_74 Depth 3
	v_cmp_ne_u16_sdwa s[6:7], v39, v36 src0_sel:BYTE_0 src1_sel:DWORD
	v_cndmask_b32_e64 v19, 0, 1, s[6:7]
	;;#ASMSTART
	;;#ASMEND
	v_cmp_ne_u32_e32 vcc, 0, v19
	s_cmp_lg_u64 vcc, exec
	v_mov_b32_e32 v48, v18
	s_cbranch_scc1 .LBB2432_77
; %bb.71:                               ;   in Loop: Header=BB2432_70 Depth=1
	v_lshlrev_b64 v[18:19], 2, v[14:15]
	v_mov_b32_e32 v39, s35
	v_add_co_u32_e32 v18, vcc, s34, v18
	v_addc_co_u32_e32 v19, vcc, v39, v19, vcc
	global_load_dword v51, v[18:19], off glc
	s_waitcnt vmcnt(0)
	v_lshrrev_b32_e32 v39, 16, v51
	v_cmp_eq_u16_sdwa s[8:9], v39, v15 src0_sel:BYTE_0 src1_sel:DWORD
	s_and_saveexec_b64 s[6:7], s[8:9]
	s_cbranch_execz .LBB2432_69
; %bb.72:                               ;   in Loop: Header=BB2432_70 Depth=1
	s_mov_b32 s10, 1
	s_mov_b64 s[8:9], 0
.LBB2432_73:                            ;   Parent Loop BB2432_70 Depth=1
                                        ; =>  This Loop Header: Depth=2
                                        ;       Child Loop BB2432_74 Depth 3
	s_max_u32 s11, s10, 1
.LBB2432_74:                            ;   Parent Loop BB2432_70 Depth=1
                                        ;     Parent Loop BB2432_73 Depth=2
                                        ; =>    This Inner Loop Header: Depth=3
	s_add_i32 s11, s11, -1
	s_cmp_eq_u32 s11, 0
	s_sleep 1
	s_cbranch_scc0 .LBB2432_74
; %bb.75:                               ;   in Loop: Header=BB2432_73 Depth=2
	global_load_dword v51, v[18:19], off glc
	s_cmp_lt_u32 s10, 32
	s_cselect_b64 s[12:13], -1, 0
	s_cmp_lg_u64 s[12:13], 0
	s_addc_u32 s10, s10, 0
	s_waitcnt vmcnt(0)
	v_lshrrev_b32_e32 v39, 16, v51
	v_cmp_ne_u16_sdwa s[12:13], v39, v15 src0_sel:BYTE_0 src1_sel:DWORD
	s_or_b64 s[8:9], s[12:13], s[8:9]
	s_andn2_b64 exec, exec, s[8:9]
	s_cbranch_execnz .LBB2432_73
; %bb.76:                               ;   in Loop: Header=BB2432_70 Depth=1
	s_or_b64 exec, exec, s[8:9]
	s_branch .LBB2432_69
.LBB2432_77:                            ;   in Loop: Header=BB2432_70 Depth=1
                                        ; implicit-def: $vgpr18
                                        ; implicit-def: $vgpr39
	s_cbranch_execz .LBB2432_70
; %bb.78:
	s_and_saveexec_b64 s[6:7], s[4:5]
	s_cbranch_execz .LBB2432_80
; %bb.79:
	s_add_i32 s4, s37, 64
	s_mov_b32 s5, 0
	s_lshl_b64 s[4:5], s[4:5], 2
	v_max_u16_e32 v14, v48, v35
	s_add_u32 s4, s34, s4
	v_or_b32_e32 v14, 0x20000, v14
	s_addc_u32 s5, s35, s5
	v_mov_b32_e32 v15, 0
	global_store_dword v15, v14, s[4:5]
.LBB2432_80:
	s_or_b64 exec, exec, s[6:7]
	s_and_b64 exec, exec, s[2:3]
	s_cbranch_execz .LBB2432_82
; %bb.81:
	v_mov_b32_e32 v14, 0
	ds_write_b16 v14, v48
.LBB2432_82:
	s_or_b64 exec, exec, s[30:31]
	v_mov_b32_e32 v14, 0
	s_waitcnt lgkmcnt(0)
	; wave barrier
	s_waitcnt lgkmcnt(0)
	ds_read_u16 v14, v14
	v_max_u16_e32 v15, v34, v10
	v_cndmask_b32_e64 v15, v15, v10, s[2:3]
	s_waitcnt lgkmcnt(0)
	v_max_u16_e32 v14, v14, v15
	v_max_u16_sdwa v15, v14, v10 dst_sel:DWORD dst_unused:UNUSED_PAD src0_sel:DWORD src1_sel:WORD_1
	v_max_u16_e32 v16, v15, v11
	v_max_u16_e32 v17, v16, v32
	v_max_u16_e32 v18, v17, v12
	v_max_u16_e32 v19, v18, v31
	v_max_u16_e32 v35, v19, v13
	v_max_u16_e32 v37, v35, v30
	v_max_u16_e32 v34, v37, v6
	v_max_u16_e32 v36, v34, v29
	v_max_u16_e32 v38, v36, v7
	v_max_u16_e32 v39, v38, v28
	v_max_u16_e32 v40, v39, v8
	v_max_u16_e32 v41, v40, v27
	v_max_u16_e32 v43, v41, v9
	v_max_u16_e32 v45, v43, v26
	v_max_u16_e32 v42, v45, v2
	v_max_u16_e32 v44, v42, v25
	v_max_u16_e32 v46, v44, v3
	v_max_u16_e32 v47, v46, v24
	v_max_u16_e32 v48, v47, v4
	v_max_u16_e32 v49, v48, v23
	v_max_u16_e32 v50, v49, v5
	v_max_u16_e32 v51, v50, v1
	s_branch .LBB2432_93
.LBB2432_83:
                                        ; implicit-def: $vgpr14
                                        ; implicit-def: $vgpr15
                                        ; implicit-def: $vgpr16
                                        ; implicit-def: $vgpr17
                                        ; implicit-def: $vgpr18
                                        ; implicit-def: $vgpr19
                                        ; implicit-def: $vgpr35
                                        ; implicit-def: $vgpr37
                                        ; implicit-def: $vgpr34
                                        ; implicit-def: $vgpr36
                                        ; implicit-def: $vgpr38
                                        ; implicit-def: $vgpr39
                                        ; implicit-def: $vgpr40
                                        ; implicit-def: $vgpr41
                                        ; implicit-def: $vgpr43
                                        ; implicit-def: $vgpr45
                                        ; implicit-def: $vgpr42
                                        ; implicit-def: $vgpr44
                                        ; implicit-def: $vgpr46
                                        ; implicit-def: $vgpr47
                                        ; implicit-def: $vgpr48
                                        ; implicit-def: $vgpr49
                                        ; implicit-def: $vgpr50
                                        ; implicit-def: $vgpr51
	s_cbranch_execz .LBB2432_93
; %bb.84:
	s_cmp_lg_u64 s[20:21], 0
	s_cselect_b64 s[4:5], -1, 0
	s_and_b64 s[4:5], s[2:3], s[4:5]
	v_mov_b32_e32 v14, v10
	s_and_saveexec_b64 s[2:3], s[4:5]
	s_cbranch_execz .LBB2432_86
; %bb.85:
	v_mov_b32_e32 v14, 0
	global_load_ushort v14, v14, s[16:17]
	s_waitcnt vmcnt(0)
	v_max_u16_e32 v14, v14, v10
.LBB2432_86:
	s_or_b64 exec, exec, s[2:3]
	v_max_u16_sdwa v15, v14, v10 dst_sel:DWORD dst_unused:UNUSED_PAD src0_sel:DWORD src1_sel:WORD_1
	v_max_u16_e32 v16, v15, v11
	v_max_u16_e32 v17, v16, v32
	;; [unrolled: 1-line block ×22, first 2 shown]
	v_mbcnt_hi_u32_b32 v33, -1, v33
	v_and_b32_e32 v52, 15, v33
	v_mov_b32_dpp v53, v51 row_shr:1 row_mask:0xf bank_mask:0xf
	v_max_u16_e32 v53, v53, v51
	v_cmp_eq_u32_e32 vcc, 0, v52
	v_cndmask_b32_e32 v53, v53, v51, vcc
	v_and_b32_e32 v54, 0xffff, v53
	v_cmp_lt_u32_e32 vcc, 1, v52
	s_nop 0
	v_mov_b32_dpp v54, v54 row_shr:2 row_mask:0xf bank_mask:0xf
	v_max_u16_e32 v54, v54, v53
	v_cndmask_b32_e32 v53, v53, v54, vcc
	v_and_b32_e32 v54, 0xffff, v53
	v_cmp_lt_u32_e32 vcc, 3, v52
	s_nop 0
	v_mov_b32_dpp v54, v54 row_shr:4 row_mask:0xf bank_mask:0xf
	v_max_u16_e32 v54, v54, v53
	;; [unrolled: 6-line block ×3, first 2 shown]
	v_cndmask_b32_e32 v52, v53, v54, vcc
	v_and_b32_e32 v53, 0xffff, v52
	v_and_b32_e32 v54, 16, v33
	v_cmp_eq_u32_e32 vcc, 0, v54
	v_mov_b32_dpp v53, v53 row_bcast:15 row_mask:0xf bank_mask:0xf
	v_max_u16_e32 v53, v53, v52
	v_cndmask_b32_e32 v52, v53, v52, vcc
	v_and_b32_e32 v53, 0xffff, v52
	v_cmp_lt_u32_e32 vcc, 31, v33
	s_nop 0
	v_mov_b32_dpp v53, v53 row_bcast:31 row_mask:0xf bank_mask:0xf
	v_max_u16_e32 v53, v53, v52
	v_cndmask_b32_e32 v52, v52, v53, vcc
	v_cmp_eq_u32_e32 vcc, 63, v0
	s_and_saveexec_b64 s[2:3], vcc
	s_cbranch_execz .LBB2432_88
; %bb.87:
	v_mov_b32_e32 v53, 0
	ds_write_b16 v53, v52
.LBB2432_88:
	s_or_b64 exec, exec, s[2:3]
	v_add_u32_e32 v53, -1, v33
	v_and_b32_e32 v54, 64, v33
	v_cmp_lt_i32_e64 s[2:3], v53, v54
	v_cndmask_b32_e64 v33, v53, v33, s[2:3]
	v_and_b32_e32 v52, 0xffff, v52
	v_lshlrev_b32_e32 v33, 2, v33
	ds_bpermute_b32 v33, v33, v52
	s_waitcnt lgkmcnt(0)
	; wave barrier
	s_waitcnt lgkmcnt(0)
	s_and_saveexec_b64 s[2:3], s[0:1]
	s_cbranch_execz .LBB2432_90
; %bb.89:
	v_max_u16_e32 v14, v33, v14
	v_max_u16_sdwa v15, v14, v10 dst_sel:DWORD dst_unused:UNUSED_PAD src0_sel:DWORD src1_sel:WORD_1
	v_max_u16_e32 v16, v15, v11
	v_max_u16_e32 v17, v16, v32
	;; [unrolled: 1-line block ×22, first 2 shown]
	;;#ASMSTART
	;;#ASMEND
.LBB2432_90:
	s_or_b64 exec, exec, s[2:3]
	s_and_saveexec_b64 s[0:1], vcc
	s_cbranch_execz .LBB2432_92
; %bb.91:
	s_mov_b32 s2, 0x20000
	v_mov_b32_e32 v1, 0
	v_or_b32_sdwa v2, v51, s2 dst_sel:DWORD dst_unused:UNUSED_PAD src0_sel:WORD_0 src1_sel:DWORD
	global_store_dword v1, v2, s[34:35] offset:256
.LBB2432_92:
	s_or_b64 exec, exec, s[0:1]
.LBB2432_93:
	s_add_u32 s0, s28, s14
	s_addc_u32 s1, s29, s15
	s_add_u32 s2, s0, s26
	s_addc_u32 s3, s1, s27
	s_mov_b64 s[0:1], -1
	s_and_b64 vcc, exec, s[24:25]
	s_waitcnt lgkmcnt(0)
	; wave barrier
	s_cbranch_vccz .LBB2432_95
; %bb.94:
	s_mov_b32 s0, 0x5040100
	v_perm_b32 v5, v37, v35, s0
	v_perm_b32 v4, v19, v18, s0
	;; [unrolled: 1-line block ×4, first 2 shown]
	ds_write_b128 v22, v[2:5]
	v_perm_b32 v5, v45, v43, s0
	v_perm_b32 v4, v41, v40, s0
	;; [unrolled: 1-line block ×4, first 2 shown]
	ds_write_b128 v22, v[2:5] offset:16
	v_perm_b32 v5, v51, v50, s0
	v_perm_b32 v4, v49, v48, s0
	v_perm_b32 v3, v47, v46, s0
	v_perm_b32 v2, v44, v42, s0
	ds_write_b128 v22, v[2:5] offset:32
	s_waitcnt lgkmcnt(0)
	; wave barrier
	s_waitcnt lgkmcnt(0)
	ds_read_u16 v1, v20
	ds_read_u16 v4, v20 offset:128
	ds_read_u16 v5, v20 offset:256
	;; [unrolled: 1-line block ×23, first 2 shown]
	v_mov_b32_e32 v3, s3
	v_add_co_u32_e32 v2, vcc, s2, v20
	v_addc_co_u32_e32 v3, vcc, 0, v3, vcc
	s_waitcnt lgkmcnt(14)
	flat_store_short v[2:3], v1
	flat_store_short v[2:3], v4 offset:128
	flat_store_short v[2:3], v5 offset:256
	;; [unrolled: 1-line block ×9, first 2 shown]
	s_waitcnt lgkmcnt(0)
	flat_store_short v[2:3], v13 offset:1280
	flat_store_short v[2:3], v23 offset:1408
	;; [unrolled: 1-line block ×14, first 2 shown]
	s_mov_b64 s[0:1], 0
.LBB2432_95:
	s_andn2_b64 vcc, exec, s[0:1]
	s_cbranch_vccnz .LBB2432_152
; %bb.96:
	s_mov_b32 s0, 0x5040100
	v_perm_b32 v5, v37, v35, s0
	v_perm_b32 v4, v19, v18, s0
	;; [unrolled: 1-line block ×4, first 2 shown]
	ds_write_b128 v22, v[2:5]
	v_perm_b32 v5, v45, v43, s0
	v_perm_b32 v4, v41, v40, s0
	v_perm_b32 v3, v39, v38, s0
	v_perm_b32 v2, v36, v34, s0
	ds_write_b128 v22, v[2:5] offset:16
	v_perm_b32 v5, v51, v50, s0
	v_perm_b32 v4, v49, v48, s0
	;; [unrolled: 1-line block ×4, first 2 shown]
	s_movk_i32 s0, 0xffd2
	ds_write_b128 v22, v[2:5] offset:32
	v_mad_i32_i24 v2, v0, s0, v22
	s_waitcnt lgkmcnt(0)
	; wave barrier
	s_waitcnt lgkmcnt(0)
	ds_read_u16 v5, v2
	ds_read_u16 v4, v2 offset:128
	ds_read_u16 v7, v2 offset:256
	;; [unrolled: 1-line block ×23, first 2 shown]
	v_mov_b32_e32 v3, s3
	v_add_co_u32_e32 v2, vcc, s2, v20
	v_addc_co_u32_e32 v3, vcc, 0, v3, vcc
	v_mov_b32_e32 v1, 0
	v_cmp_gt_u32_e32 vcc, s33, v0
	s_and_saveexec_b64 s[0:1], vcc
	s_cbranch_execz .LBB2432_98
; %bb.97:
	s_waitcnt lgkmcnt(0)
	flat_store_short v[2:3], v5
.LBB2432_98:
	s_or_b64 exec, exec, s[0:1]
	v_or_b32_e32 v20, 64, v0
	v_cmp_gt_u32_e32 vcc, s33, v20
	s_and_saveexec_b64 s[0:1], vcc
	s_cbranch_execz .LBB2432_100
; %bb.99:
	s_waitcnt lgkmcnt(0)
	flat_store_short v[2:3], v4 offset:128
.LBB2432_100:
	s_or_b64 exec, exec, s[0:1]
	v_or_b32_e32 v20, 0x80, v0
	v_cmp_gt_u32_e32 vcc, s33, v20
	s_and_saveexec_b64 s[0:1], vcc
	s_cbranch_execz .LBB2432_102
; %bb.101:
	s_waitcnt lgkmcnt(0)
	flat_store_short v[2:3], v7 offset:256
.LBB2432_102:
	;; [unrolled: 9-line block ×23, first 2 shown]
	s_or_b64 exec, exec, s[0:1]
	v_cmp_lt_u64_e64 s[0:1], s[22:23], 2
	s_and_b64 vcc, exec, s[0:1]
	s_cbranch_vccnz .LBB2432_152
; %bb.145:
	s_add_u32 s0, s33, -1
	s_addc_u32 s1, s36, -1
	s_add_u32 s2, 0, 0xaaaa0000
	s_addc_u32 s3, 0, 42
	s_add_i32 s3, s3, 0xaaaaa80
	s_mul_hi_u32 s7, s2, 0xffffffe8
	s_sub_i32 s7, s7, s2
	s_mul_i32 s8, s3, 0xffffffe8
	s_mul_i32 s4, s2, 0xffffffe8
	s_add_i32 s7, s7, s8
	s_mul_hi_u32 s5, s3, s4
	s_mul_i32 s6, s3, s4
	s_mul_i32 s9, s2, s7
	s_mul_hi_u32 s4, s2, s4
	s_mul_hi_u32 s8, s2, s7
	s_add_u32 s4, s4, s9
	s_addc_u32 s8, 0, s8
	s_add_u32 s4, s4, s6
	s_mul_hi_u32 s9, s3, s7
	s_addc_u32 s4, s8, s5
	s_addc_u32 s5, s9, 0
	s_mul_i32 s6, s3, s7
	s_add_u32 s4, s4, s6
	v_mov_b32_e32 v2, s4
	s_addc_u32 s5, 0, s5
	v_add_co_u32_e32 v2, vcc, s2, v2
	s_cmp_lg_u64 vcc, 0
	s_addc_u32 s2, s3, s5
	v_readfirstlane_b32 s5, v2
	s_mul_i32 s4, s0, s2
	s_mul_hi_u32 s6, s0, s5
	s_mul_hi_u32 s3, s0, s2
	s_add_u32 s4, s6, s4
	s_addc_u32 s3, 0, s3
	s_mul_hi_u32 s7, s1, s5
	s_mul_i32 s5, s1, s5
	s_add_u32 s4, s4, s5
	s_mul_hi_u32 s6, s1, s2
	s_addc_u32 s3, s3, s7
	s_addc_u32 s4, s6, 0
	s_mul_i32 s2, s1, s2
	s_add_u32 s2, s3, s2
	s_addc_u32 s3, 0, s4
	s_add_u32 s4, s2, 1
	s_addc_u32 s5, s3, 0
	s_add_u32 s6, s2, 2
	s_mul_i32 s8, s3, 24
	s_mul_hi_u32 s9, s2, 24
	s_addc_u32 s7, s3, 0
	s_add_i32 s9, s9, s8
	s_mul_i32 s8, s2, 24
	v_mov_b32_e32 v2, s8
	v_sub_co_u32_e32 v2, vcc, s0, v2
	s_cmp_lg_u64 vcc, 0
	s_subb_u32 s8, s1, s9
	v_subrev_co_u32_e32 v3, vcc, 24, v2
	s_cmp_lg_u64 vcc, 0
	s_subb_u32 s9, s8, 0
	v_readfirstlane_b32 s10, v3
	s_cmp_gt_u32 s10, 23
	s_cselect_b32 s10, -1, 0
	s_cmp_eq_u32 s9, 0
	s_cselect_b32 s9, s10, -1
	s_cmp_lg_u32 s9, 0
	s_cselect_b32 s4, s6, s4
	v_readfirstlane_b32 s6, v2
	s_cselect_b32 s5, s7, s5
	s_cmp_gt_u32 s6, 23
	s_cselect_b32 s6, -1, 0
	s_cmp_eq_u32 s8, 0
	s_cselect_b32 s6, s6, -1
	s_cmp_lg_u32 s6, 0
	s_cselect_b32 s3, s5, s3
	s_cselect_b32 s2, s4, s2
	v_cmp_eq_u64_e32 vcc, s[2:3], v[0:1]
	s_and_saveexec_b64 s[2:3], vcc
	s_cbranch_execz .LBB2432_152
; %bb.146:
	v_mul_hi_u32_u24_e32 v1, 24, v0
	v_mov_b32_e32 v2, s1
	v_sub_co_u32_e32 v0, vcc, s0, v21
	v_subb_co_u32_e32 v1, vcc, v2, v1, vcc
	v_cmp_lt_i64_e32 vcc, 11, v[0:1]
	s_mov_b64 s[0:1], 0
	s_mov_b64 s[8:9], 0
	;; [unrolled: 1-line block ×4, first 2 shown]
	s_and_saveexec_b64 s[2:3], vcc
	s_xor_b64 s[2:3], exec, s[2:3]
	s_cbranch_execnz .LBB2432_153
; %bb.147:
	s_andn2_saveexec_b64 s[2:3], s[2:3]
	s_cbranch_execnz .LBB2432_198
.LBB2432_148:
	s_or_b64 exec, exec, s[2:3]
	s_and_saveexec_b64 s[2:3], s[8:9]
	s_cbranch_execnz .LBB2432_215
.LBB2432_149:
	s_or_b64 exec, exec, s[2:3]
	s_and_saveexec_b64 s[2:3], s[6:7]
	s_cbranch_execnz .LBB2432_216
.LBB2432_150:
	s_or_b64 exec, exec, s[2:3]
	s_and_saveexec_b64 s[2:3], s[4:5]
	s_xor_b64 s[2:3], exec, s[2:3]
	s_cbranch_execnz .LBB2432_217
.LBB2432_151:
	s_or_b64 exec, exec, s[2:3]
	s_and_b64 exec, exec, s[0:1]
	s_cbranch_execnz .LBB2432_218
.LBB2432_152:
	s_endpgm
.LBB2432_153:
	v_cmp_lt_i64_e32 vcc, 17, v[0:1]
	s_and_saveexec_b64 s[10:11], vcc
	s_xor_b64 s[10:11], exec, s[10:11]
	s_cbranch_execz .LBB2432_175
; %bb.154:
	v_cmp_lt_i64_e32 vcc, 20, v[0:1]
                                        ; implicit-def: $vgpr10
	s_and_saveexec_b64 s[12:13], vcc
	s_xor_b64 s[12:13], exec, s[12:13]
	s_cbranch_execz .LBB2432_164
; %bb.155:
	v_cmp_lt_i64_e32 vcc, 21, v[0:1]
	s_mov_b64 s[14:15], 0
                                        ; implicit-def: $vgpr10
	s_and_saveexec_b64 s[4:5], vcc
	s_xor_b64 s[4:5], exec, s[4:5]
	s_cbranch_execz .LBB2432_161
; %bb.156:
	v_cmp_lt_i64_e32 vcc, 22, v[0:1]
	s_and_saveexec_b64 s[14:15], vcc
	s_xor_b64 s[14:15], exec, s[14:15]
	s_cbranch_execz .LBB2432_158
; %bb.157:
	v_mov_b32_e32 v2, 0
	s_waitcnt lgkmcnt(0)
	global_store_short v2, v29, s[18:19]
                                        ; implicit-def: $vgpr28
.LBB2432_158:
	s_or_saveexec_b64 s[14:15], s[14:15]
	s_mov_b64 s[16:17], 0
	s_xor_b64 exec, exec, s[14:15]
; %bb.159:
	s_mov_b64 s[16:17], exec
; %bb.160:
	s_or_b64 exec, exec, s[14:15]
	s_and_b64 s[14:15], s[16:17], exec
	s_waitcnt lgkmcnt(0)
	v_mov_b32_e32 v10, v28
                                        ; implicit-def: $vgpr11
.LBB2432_161:
	s_andn2_saveexec_b64 s[4:5], s[4:5]
; %bb.162:
	s_mov_b64 s[6:7], exec
                                        ; implicit-def: $vgpr10
; %bb.163:
	s_or_b64 exec, exec, s[4:5]
	s_and_b64 s[4:5], s[14:15], exec
	s_and_b64 s[6:7], s[6:7], exec
                                        ; implicit-def: $vgpr26
                                        ; implicit-def: $vgpr12
                                        ; implicit-def: $vgpr23
.LBB2432_164:
	s_andn2_saveexec_b64 s[12:13], s[12:13]
	s_cbranch_execz .LBB2432_174
; %bb.165:
	v_cmp_lt_i64_e32 vcc, 18, v[0:1]
	s_mov_b64 s[14:15], 0
	s_and_saveexec_b64 s[8:9], vcc
	s_xor_b64 s[8:9], exec, s[8:9]
	s_cbranch_execz .LBB2432_171
; %bb.166:
	v_cmp_lt_i64_e32 vcc, 19, v[0:1]
	s_and_saveexec_b64 s[16:17], vcc
	s_xor_b64 s[16:17], exec, s[16:17]
; %bb.167:
	s_mov_b64 s[14:15], exec
                                        ; implicit-def: $vgpr23
; %bb.168:
	s_andn2_saveexec_b64 s[16:17], s[16:17]
	s_cbranch_execz .LBB2432_170
; %bb.169:
	v_mov_b32_e32 v2, 0
	s_waitcnt lgkmcnt(0)
	global_store_short v2, v23, s[18:19]
                                        ; implicit-def: $vgpr12
.LBB2432_170:
	s_or_b64 exec, exec, s[16:17]
	s_and_b64 s[14:15], s[14:15], exec
                                        ; implicit-def: $vgpr26
.LBB2432_171:
	s_andn2_saveexec_b64 s[8:9], s[8:9]
	s_cbranch_execz .LBB2432_173
; %bb.172:
	v_mov_b32_e32 v2, 0
	s_waitcnt lgkmcnt(0)
	global_store_short v2, v26, s[18:19]
                                        ; implicit-def: $vgpr12
.LBB2432_173:
	s_or_b64 exec, exec, s[8:9]
	s_and_b64 s[8:9], s[14:15], exec
                                        ; implicit-def: $vgpr10
                                        ; implicit-def: $vgpr11
.LBB2432_174:
	s_or_b64 exec, exec, s[12:13]
	s_and_b64 s[4:5], s[4:5], exec
	s_and_b64 s[6:7], s[6:7], exec
	;; [unrolled: 1-line block ×3, first 2 shown]
                                        ; implicit-def: $vgpr18
                                        ; implicit-def: $vgpr13
                                        ; implicit-def: $vgpr14
                                        ; implicit-def: $vgpr24
                                        ; implicit-def: $vgpr27
.LBB2432_175:
	s_andn2_saveexec_b64 s[10:11], s[10:11]
	s_cbranch_execz .LBB2432_197
; %bb.176:
	v_cmp_lt_i64_e32 vcc, 14, v[0:1]
	s_mov_b64 s[12:13], s[4:5]
	s_and_saveexec_b64 s[14:15], vcc
	s_xor_b64 s[14:15], exec, s[14:15]
	s_cbranch_execz .LBB2432_186
; %bb.177:
	v_cmp_lt_i64_e32 vcc, 15, v[0:1]
	s_and_saveexec_b64 s[12:13], vcc
	s_xor_b64 s[12:13], exec, s[12:13]
	s_cbranch_execz .LBB2432_183
; %bb.178:
	v_cmp_lt_i64_e32 vcc, 16, v[0:1]
	s_and_saveexec_b64 s[16:17], vcc
	s_xor_b64 s[16:17], exec, s[16:17]
	s_cbranch_execz .LBB2432_180
; %bb.179:
	v_mov_b32_e32 v2, 0
	s_waitcnt lgkmcnt(0)
	global_store_short v2, v27, s[18:19]
                                        ; implicit-def: $vgpr24
.LBB2432_180:
	s_andn2_saveexec_b64 s[16:17], s[16:17]
	s_cbranch_execz .LBB2432_182
; %bb.181:
	v_mov_b32_e32 v2, 0
	s_waitcnt lgkmcnt(0)
	global_store_short v2, v24, s[18:19]
.LBB2432_182:
	s_or_b64 exec, exec, s[16:17]
                                        ; implicit-def: $vgpr10
.LBB2432_183:
	s_or_saveexec_b64 s[12:13], s[12:13]
	s_mov_b64 s[16:17], s[4:5]
	s_xor_b64 exec, exec, s[12:13]
; %bb.184:
	s_or_b64 s[16:17], s[4:5], exec
; %bb.185:
	s_or_b64 exec, exec, s[12:13]
	s_andn2_b64 s[12:13], s[4:5], exec
	s_and_b64 s[16:17], s[16:17], exec
	s_or_b64 s[12:13], s[12:13], s[16:17]
                                        ; implicit-def: $vgpr18
                                        ; implicit-def: $vgpr13
                                        ; implicit-def: $vgpr14
.LBB2432_186:
	s_or_saveexec_b64 s[14:15], s[14:15]
	s_mov_b64 s[16:17], s[6:7]
                                        ; implicit-def: $vgpr11
	s_xor_b64 exec, exec, s[14:15]
	s_cbranch_execz .LBB2432_196
; %bb.187:
	v_cmp_lt_i64_e32 vcc, 12, v[0:1]
	s_mov_b64 s[20:21], s[6:7]
	s_mov_b64 s[22:23], s[12:13]
                                        ; implicit-def: $vgpr10
                                        ; implicit-def: $vgpr11
	s_and_saveexec_b64 s[16:17], vcc
	s_xor_b64 s[16:17], exec, s[16:17]
	s_cbranch_execz .LBB2432_193
; %bb.188:
	v_cmp_lt_i64_e32 vcc, 13, v[0:1]
	s_mov_b64 s[20:21], s[12:13]
	s_and_saveexec_b64 s[22:23], vcc
	s_xor_b64 s[22:23], exec, s[22:23]
; %bb.189:
	s_or_b64 s[20:21], s[12:13], exec
                                        ; implicit-def: $vgpr13
; %bb.190:
	s_or_saveexec_b64 s[22:23], s[22:23]
	s_mov_b64 s[24:25], s[6:7]
	s_xor_b64 exec, exec, s[22:23]
; %bb.191:
	s_or_b64 s[24:25], s[6:7], exec
                                        ; implicit-def: $vgpr14
; %bb.192:
	s_or_b64 exec, exec, s[22:23]
	s_andn2_b64 s[22:23], s[12:13], exec
	s_and_b64 s[20:21], s[20:21], exec
	s_or_b64 s[22:23], s[22:23], s[20:21]
	s_andn2_b64 s[20:21], s[6:7], exec
	s_and_b64 s[24:25], s[24:25], exec
	s_or_b64 s[20:21], s[20:21], s[24:25]
	s_waitcnt lgkmcnt(0)
	v_mov_b32_e32 v10, v14
	v_mov_b32_e32 v11, v13
                                        ; implicit-def: $vgpr18
.LBB2432_193:
	s_andn2_saveexec_b64 s[16:17], s[16:17]
	s_cbranch_execz .LBB2432_195
; %bb.194:
	s_or_b64 s[20:21], s[20:21], exec
                                        ; implicit-def: $vgpr10
	s_waitcnt lgkmcnt(0)
	v_mov_b32_e32 v11, v18
.LBB2432_195:
	s_or_b64 exec, exec, s[16:17]
	s_andn2_b64 s[12:13], s[12:13], exec
	s_and_b64 s[16:17], s[22:23], exec
	s_or_b64 s[12:13], s[12:13], s[16:17]
	s_andn2_b64 s[16:17], s[6:7], exec
	s_and_b64 s[20:21], s[20:21], exec
	s_or_b64 s[16:17], s[16:17], s[20:21]
.LBB2432_196:
	s_or_b64 exec, exec, s[14:15]
	s_andn2_b64 s[4:5], s[4:5], exec
	s_and_b64 s[12:13], s[12:13], exec
	s_or_b64 s[4:5], s[4:5], s[12:13]
	s_andn2_b64 s[6:7], s[6:7], exec
	s_and_b64 s[12:13], s[16:17], exec
	s_or_b64 s[6:7], s[6:7], s[12:13]
                                        ; implicit-def: $vgpr12
.LBB2432_197:
	s_or_b64 exec, exec, s[10:11]
	s_and_b64 s[4:5], s[4:5], exec
	s_and_b64 s[6:7], s[6:7], exec
	;; [unrolled: 1-line block ×3, first 2 shown]
                                        ; implicit-def: $vgpr17
                                        ; implicit-def: $vgpr15
                                        ; implicit-def: $vgpr16
                                        ; implicit-def: $vgpr25
                                        ; implicit-def: $vgpr22
                                        ; implicit-def: $vgpr19
	s_andn2_saveexec_b64 s[2:3], s[2:3]
	s_cbranch_execz .LBB2432_148
.LBB2432_198:
	v_cmp_lt_i64_e32 vcc, 5, v[0:1]
	s_mov_b64 s[12:13], -1
	s_mov_b64 s[10:11], s[8:9]
	s_mov_b64 s[14:15], s[6:7]
	;; [unrolled: 1-line block ×3, first 2 shown]
                                        ; implicit-def: $vgpr10
                                        ; implicit-def: $vgpr11
                                        ; implicit-def: $vgpr12
	s_and_saveexec_b64 s[0:1], vcc
	s_cbranch_execz .LBB2432_214
; %bb.199:
	v_cmp_lt_i64_e32 vcc, 8, v[0:1]
	s_mov_b64 s[10:11], s[8:9]
                                        ; implicit-def: $vgpr12
	s_and_saveexec_b64 s[12:13], vcc
	s_xor_b64 s[12:13], exec, s[12:13]
	s_cbranch_execz .LBB2432_209
; %bb.200:
	v_cmp_lt_i64_e32 vcc, 9, v[0:1]
	s_and_saveexec_b64 s[10:11], vcc
	s_xor_b64 s[10:11], exec, s[10:11]
	s_cbranch_execz .LBB2432_206
; %bb.201:
	v_cmp_lt_i64_e32 vcc, 10, v[0:1]
	s_and_saveexec_b64 s[14:15], vcc
	s_xor_b64 s[14:15], exec, s[14:15]
; %bb.202:
                                        ; implicit-def: $vgpr22
; %bb.203:
	s_andn2_saveexec_b64 s[14:15], s[14:15]
	s_cbranch_execz .LBB2432_205
; %bb.204:
	s_waitcnt lgkmcnt(0)
	v_mov_b32_e32 v19, v22
.LBB2432_205:
	s_or_b64 exec, exec, s[14:15]
                                        ; implicit-def: $vgpr25
.LBB2432_206:
	s_andn2_saveexec_b64 s[10:11], s[10:11]
	s_cbranch_execz .LBB2432_208
; %bb.207:
	s_waitcnt lgkmcnt(0)
	v_mov_b32_e32 v19, v25
.LBB2432_208:
	s_or_b64 exec, exec, s[10:11]
	s_or_b64 s[10:11], s[8:9], exec
	s_waitcnt lgkmcnt(0)
	v_mov_b32_e32 v12, v19
                                        ; implicit-def: $vgpr17
                                        ; implicit-def: $vgpr15
                                        ; implicit-def: $vgpr16
.LBB2432_209:
	s_or_saveexec_b64 s[12:13], s[12:13]
	s_mov_b64 s[14:15], s[6:7]
	s_mov_b64 s[20:21], s[4:5]
                                        ; implicit-def: $vgpr10
                                        ; implicit-def: $vgpr11
	s_xor_b64 exec, exec, s[12:13]
	s_cbranch_execz .LBB2432_213
; %bb.210:
	v_cmp_lt_i64_e32 vcc, 6, v[0:1]
	s_mov_b64 s[20:21], -1
	s_mov_b64 s[16:17], s[10:11]
	s_mov_b64 s[14:15], s[6:7]
	s_and_saveexec_b64 s[22:23], vcc
; %bb.211:
	v_cmp_lt_i64_e32 vcc, 7, v[0:1]
	s_andn2_b64 s[16:17], s[10:11], exec
	s_and_b64 s[24:25], vcc, exec
	s_xor_b64 s[20:21], exec, -1
	s_or_b64 s[14:15], s[6:7], exec
	s_or_b64 s[16:17], s[16:17], s[24:25]
                                        ; implicit-def: $vgpr17
; %bb.212:
	s_or_b64 exec, exec, s[22:23]
	s_andn2_b64 s[22:23], s[4:5], exec
	s_and_b64 s[20:21], s[20:21], exec
	s_or_b64 s[20:21], s[22:23], s[20:21]
	s_andn2_b64 s[22:23], s[6:7], exec
	s_and_b64 s[14:15], s[14:15], exec
	s_andn2_b64 s[10:11], s[10:11], exec
	s_and_b64 s[16:17], s[16:17], exec
	s_or_b64 s[14:15], s[22:23], s[14:15]
	s_or_b64 s[10:11], s[10:11], s[16:17]
	s_waitcnt lgkmcnt(0)
	v_mov_b32_e32 v10, v17
	v_mov_b32_e32 v11, v15
	;; [unrolled: 1-line block ×3, first 2 shown]
.LBB2432_213:
	s_or_b64 exec, exec, s[12:13]
	s_andn2_b64 s[16:17], s[4:5], exec
	s_and_b64 s[20:21], s[20:21], exec
	s_or_b64 s[16:17], s[16:17], s[20:21]
	s_andn2_b64 s[20:21], s[6:7], exec
	s_and_b64 s[14:15], s[14:15], exec
	s_or_b64 s[14:15], s[20:21], s[14:15]
	s_andn2_b64 s[20:21], s[8:9], exec
	s_and_b64 s[10:11], s[10:11], exec
	s_xor_b64 s[12:13], exec, -1
	s_or_b64 s[10:11], s[20:21], s[10:11]
.LBB2432_214:
	s_or_b64 exec, exec, s[0:1]
	s_and_b64 s[0:1], s[12:13], exec
	s_andn2_b64 s[4:5], s[4:5], exec
	s_and_b64 s[12:13], s[16:17], exec
	s_or_b64 s[4:5], s[4:5], s[12:13]
	s_andn2_b64 s[6:7], s[6:7], exec
	s_and_b64 s[12:13], s[14:15], exec
	s_andn2_b64 s[8:9], s[8:9], exec
	s_and_b64 s[10:11], s[10:11], exec
	s_or_b64 s[6:7], s[6:7], s[12:13]
	s_or_b64 s[8:9], s[8:9], s[10:11]
	s_or_b64 exec, exec, s[2:3]
	s_and_saveexec_b64 s[2:3], s[8:9]
	s_cbranch_execz .LBB2432_149
.LBB2432_215:
	v_mov_b32_e32 v2, 0
	s_andn2_b64 s[6:7], s[6:7], exec
	s_waitcnt lgkmcnt(0)
	global_store_short v2, v12, s[18:19]
                                        ; implicit-def: $vgpr10
                                        ; implicit-def: $vgpr11
	s_or_b64 exec, exec, s[2:3]
	s_and_saveexec_b64 s[2:3], s[6:7]
	s_cbranch_execz .LBB2432_150
.LBB2432_216:
	v_mov_b32_e32 v2, 0
	s_waitcnt lgkmcnt(0)
	global_store_short v2, v11, s[18:19]
                                        ; implicit-def: $vgpr10
	s_or_b64 exec, exec, s[2:3]
	s_and_saveexec_b64 s[2:3], s[4:5]
	s_xor_b64 s[2:3], exec, s[2:3]
	s_cbranch_execz .LBB2432_151
.LBB2432_217:
	v_mov_b32_e32 v2, 0
	s_waitcnt lgkmcnt(0)
	global_store_short v2, v10, s[18:19]
	s_or_b64 exec, exec, s[2:3]
	s_and_b64 exec, exec, s[0:1]
	s_cbranch_execz .LBB2432_152
.LBB2432_218:
	v_cmp_lt_i64_e32 vcc, 2, v[0:1]
	s_and_saveexec_b64 s[0:1], vcc
	s_xor_b64 s[0:1], exec, s[0:1]
	s_cbranch_execz .LBB2432_228
; %bb.219:
	v_cmp_lt_i64_e32 vcc, 3, v[0:1]
	s_and_saveexec_b64 s[2:3], vcc
	s_xor_b64 s[2:3], exec, s[2:3]
	s_cbranch_execz .LBB2432_225
; %bb.220:
	v_cmp_lt_i64_e32 vcc, 4, v[0:1]
	s_and_saveexec_b64 s[4:5], vcc
	s_xor_b64 s[4:5], exec, s[4:5]
	s_cbranch_execz .LBB2432_222
; %bb.221:
	v_mov_b32_e32 v0, 0
	s_waitcnt lgkmcnt(0)
	global_store_short v0, v9, s[18:19]
                                        ; implicit-def: $vgpr6
.LBB2432_222:
	s_andn2_saveexec_b64 s[4:5], s[4:5]
	s_cbranch_execz .LBB2432_224
; %bb.223:
	v_mov_b32_e32 v0, 0
	s_waitcnt lgkmcnt(0)
	global_store_short v0, v6, s[18:19]
.LBB2432_224:
	s_or_b64 exec, exec, s[4:5]
                                        ; implicit-def: $vgpr8
.LBB2432_225:
	s_andn2_saveexec_b64 s[2:3], s[2:3]
	s_cbranch_execz .LBB2432_227
; %bb.226:
	v_mov_b32_e32 v0, 0
	s_waitcnt lgkmcnt(0)
	global_store_short v0, v8, s[18:19]
.LBB2432_227:
	s_or_b64 exec, exec, s[2:3]
                                        ; implicit-def: $vgpr0_vgpr1
                                        ; implicit-def: $vgpr7
                                        ; implicit-def: $vgpr4
                                        ; implicit-def: $vgpr5
.LBB2432_228:
	s_andn2_saveexec_b64 s[0:1], s[0:1]
	s_cbranch_execz .LBB2432_152
; %bb.229:
	v_cmp_lt_i64_e32 vcc, 1, v[0:1]
	s_and_saveexec_b64 s[0:1], vcc
	s_xor_b64 s[0:1], exec, s[0:1]
	s_cbranch_execz .LBB2432_231
; %bb.230:
	v_mov_b32_e32 v0, 0
	s_waitcnt lgkmcnt(0)
	global_store_short v0, v7, s[18:19]
                                        ; implicit-def: $vgpr4
                                        ; implicit-def: $vgpr0_vgpr1
                                        ; implicit-def: $vgpr5
.LBB2432_231:
	s_andn2_saveexec_b64 s[0:1], s[0:1]
	s_cbranch_execz .LBB2432_152
; %bb.232:
	v_cmp_ne_u64_e32 vcc, 1, v[0:1]
	s_and_saveexec_b64 s[0:1], vcc
	s_xor_b64 s[0:1], exec, s[0:1]
	s_cbranch_execz .LBB2432_234
; %bb.233:
	v_mov_b32_e32 v0, 0
	s_waitcnt lgkmcnt(0)
	global_store_short v0, v5, s[18:19]
                                        ; implicit-def: $vgpr4
.LBB2432_234:
	s_andn2_saveexec_b64 s[0:1], s[0:1]
	s_cbranch_execz .LBB2432_152
; %bb.235:
	v_mov_b32_e32 v0, 0
	s_waitcnt lgkmcnt(0)
	global_store_short v0, v4, s[18:19]
	s_endpgm
	.section	.rodata,"a",@progbits
	.p2align	6, 0x0
	.amdhsa_kernel _ZN7rocprim17ROCPRIM_400000_NS6detail17trampoline_kernelINS0_14default_configENS1_20scan_config_selectorItEEZZNS1_9scan_implILNS1_25lookback_scan_determinismE0ELb0ELb0ES3_N6thrust23THRUST_200600_302600_NS6detail15normal_iteratorINS9_10device_ptrItEEEESE_t11max_functorItEtEEDaPvRmT3_T4_T5_mT6_P12ihipStream_tbENKUlT_T0_E_clISt17integral_constantIbLb1EESU_EEDaSP_SQ_EUlSP_E_NS1_11comp_targetILNS1_3genE4ELNS1_11target_archE910ELNS1_3gpuE8ELNS1_3repE0EEENS1_30default_config_static_selectorELNS0_4arch9wavefront6targetE1EEEvT1_
		.amdhsa_group_segment_fixed_size 3072
		.amdhsa_private_segment_fixed_size 0
		.amdhsa_kernarg_size 96
		.amdhsa_user_sgpr_count 6
		.amdhsa_user_sgpr_private_segment_buffer 1
		.amdhsa_user_sgpr_dispatch_ptr 0
		.amdhsa_user_sgpr_queue_ptr 0
		.amdhsa_user_sgpr_kernarg_segment_ptr 1
		.amdhsa_user_sgpr_dispatch_id 0
		.amdhsa_user_sgpr_flat_scratch_init 0
		.amdhsa_user_sgpr_kernarg_preload_length 0
		.amdhsa_user_sgpr_kernarg_preload_offset 0
		.amdhsa_user_sgpr_private_segment_size 0
		.amdhsa_uses_dynamic_stack 0
		.amdhsa_system_sgpr_private_segment_wavefront_offset 0
		.amdhsa_system_sgpr_workgroup_id_x 1
		.amdhsa_system_sgpr_workgroup_id_y 0
		.amdhsa_system_sgpr_workgroup_id_z 0
		.amdhsa_system_sgpr_workgroup_info 0
		.amdhsa_system_vgpr_workitem_id 0
		.amdhsa_next_free_vgpr 57
		.amdhsa_next_free_sgpr 38
		.amdhsa_accum_offset 60
		.amdhsa_reserve_vcc 1
		.amdhsa_reserve_flat_scratch 0
		.amdhsa_float_round_mode_32 0
		.amdhsa_float_round_mode_16_64 0
		.amdhsa_float_denorm_mode_32 3
		.amdhsa_float_denorm_mode_16_64 3
		.amdhsa_dx10_clamp 1
		.amdhsa_ieee_mode 1
		.amdhsa_fp16_overflow 0
		.amdhsa_tg_split 0
		.amdhsa_exception_fp_ieee_invalid_op 0
		.amdhsa_exception_fp_denorm_src 0
		.amdhsa_exception_fp_ieee_div_zero 0
		.amdhsa_exception_fp_ieee_overflow 0
		.amdhsa_exception_fp_ieee_underflow 0
		.amdhsa_exception_fp_ieee_inexact 0
		.amdhsa_exception_int_div_zero 0
	.end_amdhsa_kernel
	.section	.text._ZN7rocprim17ROCPRIM_400000_NS6detail17trampoline_kernelINS0_14default_configENS1_20scan_config_selectorItEEZZNS1_9scan_implILNS1_25lookback_scan_determinismE0ELb0ELb0ES3_N6thrust23THRUST_200600_302600_NS6detail15normal_iteratorINS9_10device_ptrItEEEESE_t11max_functorItEtEEDaPvRmT3_T4_T5_mT6_P12ihipStream_tbENKUlT_T0_E_clISt17integral_constantIbLb1EESU_EEDaSP_SQ_EUlSP_E_NS1_11comp_targetILNS1_3genE4ELNS1_11target_archE910ELNS1_3gpuE8ELNS1_3repE0EEENS1_30default_config_static_selectorELNS0_4arch9wavefront6targetE1EEEvT1_,"axG",@progbits,_ZN7rocprim17ROCPRIM_400000_NS6detail17trampoline_kernelINS0_14default_configENS1_20scan_config_selectorItEEZZNS1_9scan_implILNS1_25lookback_scan_determinismE0ELb0ELb0ES3_N6thrust23THRUST_200600_302600_NS6detail15normal_iteratorINS9_10device_ptrItEEEESE_t11max_functorItEtEEDaPvRmT3_T4_T5_mT6_P12ihipStream_tbENKUlT_T0_E_clISt17integral_constantIbLb1EESU_EEDaSP_SQ_EUlSP_E_NS1_11comp_targetILNS1_3genE4ELNS1_11target_archE910ELNS1_3gpuE8ELNS1_3repE0EEENS1_30default_config_static_selectorELNS0_4arch9wavefront6targetE1EEEvT1_,comdat
.Lfunc_end2432:
	.size	_ZN7rocprim17ROCPRIM_400000_NS6detail17trampoline_kernelINS0_14default_configENS1_20scan_config_selectorItEEZZNS1_9scan_implILNS1_25lookback_scan_determinismE0ELb0ELb0ES3_N6thrust23THRUST_200600_302600_NS6detail15normal_iteratorINS9_10device_ptrItEEEESE_t11max_functorItEtEEDaPvRmT3_T4_T5_mT6_P12ihipStream_tbENKUlT_T0_E_clISt17integral_constantIbLb1EESU_EEDaSP_SQ_EUlSP_E_NS1_11comp_targetILNS1_3genE4ELNS1_11target_archE910ELNS1_3gpuE8ELNS1_3repE0EEENS1_30default_config_static_selectorELNS0_4arch9wavefront6targetE1EEEvT1_, .Lfunc_end2432-_ZN7rocprim17ROCPRIM_400000_NS6detail17trampoline_kernelINS0_14default_configENS1_20scan_config_selectorItEEZZNS1_9scan_implILNS1_25lookback_scan_determinismE0ELb0ELb0ES3_N6thrust23THRUST_200600_302600_NS6detail15normal_iteratorINS9_10device_ptrItEEEESE_t11max_functorItEtEEDaPvRmT3_T4_T5_mT6_P12ihipStream_tbENKUlT_T0_E_clISt17integral_constantIbLb1EESU_EEDaSP_SQ_EUlSP_E_NS1_11comp_targetILNS1_3genE4ELNS1_11target_archE910ELNS1_3gpuE8ELNS1_3repE0EEENS1_30default_config_static_selectorELNS0_4arch9wavefront6targetE1EEEvT1_
                                        ; -- End function
	.section	.AMDGPU.csdata,"",@progbits
; Kernel info:
; codeLenInByte = 8072
; NumSgprs: 42
; NumVgprs: 57
; NumAgprs: 0
; TotalNumVgprs: 57
; ScratchSize: 0
; MemoryBound: 0
; FloatMode: 240
; IeeeMode: 1
; LDSByteSize: 3072 bytes/workgroup (compile time only)
; SGPRBlocks: 5
; VGPRBlocks: 7
; NumSGPRsForWavesPerEU: 42
; NumVGPRsForWavesPerEU: 57
; AccumOffset: 60
; Occupancy: 6
; WaveLimiterHint : 1
; COMPUTE_PGM_RSRC2:SCRATCH_EN: 0
; COMPUTE_PGM_RSRC2:USER_SGPR: 6
; COMPUTE_PGM_RSRC2:TRAP_HANDLER: 0
; COMPUTE_PGM_RSRC2:TGID_X_EN: 1
; COMPUTE_PGM_RSRC2:TGID_Y_EN: 0
; COMPUTE_PGM_RSRC2:TGID_Z_EN: 0
; COMPUTE_PGM_RSRC2:TIDIG_COMP_CNT: 0
; COMPUTE_PGM_RSRC3_GFX90A:ACCUM_OFFSET: 14
; COMPUTE_PGM_RSRC3_GFX90A:TG_SPLIT: 0
	.section	.text._ZN7rocprim17ROCPRIM_400000_NS6detail17trampoline_kernelINS0_14default_configENS1_20scan_config_selectorItEEZZNS1_9scan_implILNS1_25lookback_scan_determinismE0ELb0ELb0ES3_N6thrust23THRUST_200600_302600_NS6detail15normal_iteratorINS9_10device_ptrItEEEESE_t11max_functorItEtEEDaPvRmT3_T4_T5_mT6_P12ihipStream_tbENKUlT_T0_E_clISt17integral_constantIbLb1EESU_EEDaSP_SQ_EUlSP_E_NS1_11comp_targetILNS1_3genE3ELNS1_11target_archE908ELNS1_3gpuE7ELNS1_3repE0EEENS1_30default_config_static_selectorELNS0_4arch9wavefront6targetE1EEEvT1_,"axG",@progbits,_ZN7rocprim17ROCPRIM_400000_NS6detail17trampoline_kernelINS0_14default_configENS1_20scan_config_selectorItEEZZNS1_9scan_implILNS1_25lookback_scan_determinismE0ELb0ELb0ES3_N6thrust23THRUST_200600_302600_NS6detail15normal_iteratorINS9_10device_ptrItEEEESE_t11max_functorItEtEEDaPvRmT3_T4_T5_mT6_P12ihipStream_tbENKUlT_T0_E_clISt17integral_constantIbLb1EESU_EEDaSP_SQ_EUlSP_E_NS1_11comp_targetILNS1_3genE3ELNS1_11target_archE908ELNS1_3gpuE7ELNS1_3repE0EEENS1_30default_config_static_selectorELNS0_4arch9wavefront6targetE1EEEvT1_,comdat
	.protected	_ZN7rocprim17ROCPRIM_400000_NS6detail17trampoline_kernelINS0_14default_configENS1_20scan_config_selectorItEEZZNS1_9scan_implILNS1_25lookback_scan_determinismE0ELb0ELb0ES3_N6thrust23THRUST_200600_302600_NS6detail15normal_iteratorINS9_10device_ptrItEEEESE_t11max_functorItEtEEDaPvRmT3_T4_T5_mT6_P12ihipStream_tbENKUlT_T0_E_clISt17integral_constantIbLb1EESU_EEDaSP_SQ_EUlSP_E_NS1_11comp_targetILNS1_3genE3ELNS1_11target_archE908ELNS1_3gpuE7ELNS1_3repE0EEENS1_30default_config_static_selectorELNS0_4arch9wavefront6targetE1EEEvT1_ ; -- Begin function _ZN7rocprim17ROCPRIM_400000_NS6detail17trampoline_kernelINS0_14default_configENS1_20scan_config_selectorItEEZZNS1_9scan_implILNS1_25lookback_scan_determinismE0ELb0ELb0ES3_N6thrust23THRUST_200600_302600_NS6detail15normal_iteratorINS9_10device_ptrItEEEESE_t11max_functorItEtEEDaPvRmT3_T4_T5_mT6_P12ihipStream_tbENKUlT_T0_E_clISt17integral_constantIbLb1EESU_EEDaSP_SQ_EUlSP_E_NS1_11comp_targetILNS1_3genE3ELNS1_11target_archE908ELNS1_3gpuE7ELNS1_3repE0EEENS1_30default_config_static_selectorELNS0_4arch9wavefront6targetE1EEEvT1_
	.globl	_ZN7rocprim17ROCPRIM_400000_NS6detail17trampoline_kernelINS0_14default_configENS1_20scan_config_selectorItEEZZNS1_9scan_implILNS1_25lookback_scan_determinismE0ELb0ELb0ES3_N6thrust23THRUST_200600_302600_NS6detail15normal_iteratorINS9_10device_ptrItEEEESE_t11max_functorItEtEEDaPvRmT3_T4_T5_mT6_P12ihipStream_tbENKUlT_T0_E_clISt17integral_constantIbLb1EESU_EEDaSP_SQ_EUlSP_E_NS1_11comp_targetILNS1_3genE3ELNS1_11target_archE908ELNS1_3gpuE7ELNS1_3repE0EEENS1_30default_config_static_selectorELNS0_4arch9wavefront6targetE1EEEvT1_
	.p2align	8
	.type	_ZN7rocprim17ROCPRIM_400000_NS6detail17trampoline_kernelINS0_14default_configENS1_20scan_config_selectorItEEZZNS1_9scan_implILNS1_25lookback_scan_determinismE0ELb0ELb0ES3_N6thrust23THRUST_200600_302600_NS6detail15normal_iteratorINS9_10device_ptrItEEEESE_t11max_functorItEtEEDaPvRmT3_T4_T5_mT6_P12ihipStream_tbENKUlT_T0_E_clISt17integral_constantIbLb1EESU_EEDaSP_SQ_EUlSP_E_NS1_11comp_targetILNS1_3genE3ELNS1_11target_archE908ELNS1_3gpuE7ELNS1_3repE0EEENS1_30default_config_static_selectorELNS0_4arch9wavefront6targetE1EEEvT1_,@function
_ZN7rocprim17ROCPRIM_400000_NS6detail17trampoline_kernelINS0_14default_configENS1_20scan_config_selectorItEEZZNS1_9scan_implILNS1_25lookback_scan_determinismE0ELb0ELb0ES3_N6thrust23THRUST_200600_302600_NS6detail15normal_iteratorINS9_10device_ptrItEEEESE_t11max_functorItEtEEDaPvRmT3_T4_T5_mT6_P12ihipStream_tbENKUlT_T0_E_clISt17integral_constantIbLb1EESU_EEDaSP_SQ_EUlSP_E_NS1_11comp_targetILNS1_3genE3ELNS1_11target_archE908ELNS1_3gpuE7ELNS1_3repE0EEENS1_30default_config_static_selectorELNS0_4arch9wavefront6targetE1EEEvT1_: ; @_ZN7rocprim17ROCPRIM_400000_NS6detail17trampoline_kernelINS0_14default_configENS1_20scan_config_selectorItEEZZNS1_9scan_implILNS1_25lookback_scan_determinismE0ELb0ELb0ES3_N6thrust23THRUST_200600_302600_NS6detail15normal_iteratorINS9_10device_ptrItEEEESE_t11max_functorItEtEEDaPvRmT3_T4_T5_mT6_P12ihipStream_tbENKUlT_T0_E_clISt17integral_constantIbLb1EESU_EEDaSP_SQ_EUlSP_E_NS1_11comp_targetILNS1_3genE3ELNS1_11target_archE908ELNS1_3gpuE7ELNS1_3repE0EEENS1_30default_config_static_selectorELNS0_4arch9wavefront6targetE1EEEvT1_
; %bb.0:
	.section	.rodata,"a",@progbits
	.p2align	6, 0x0
	.amdhsa_kernel _ZN7rocprim17ROCPRIM_400000_NS6detail17trampoline_kernelINS0_14default_configENS1_20scan_config_selectorItEEZZNS1_9scan_implILNS1_25lookback_scan_determinismE0ELb0ELb0ES3_N6thrust23THRUST_200600_302600_NS6detail15normal_iteratorINS9_10device_ptrItEEEESE_t11max_functorItEtEEDaPvRmT3_T4_T5_mT6_P12ihipStream_tbENKUlT_T0_E_clISt17integral_constantIbLb1EESU_EEDaSP_SQ_EUlSP_E_NS1_11comp_targetILNS1_3genE3ELNS1_11target_archE908ELNS1_3gpuE7ELNS1_3repE0EEENS1_30default_config_static_selectorELNS0_4arch9wavefront6targetE1EEEvT1_
		.amdhsa_group_segment_fixed_size 0
		.amdhsa_private_segment_fixed_size 0
		.amdhsa_kernarg_size 96
		.amdhsa_user_sgpr_count 6
		.amdhsa_user_sgpr_private_segment_buffer 1
		.amdhsa_user_sgpr_dispatch_ptr 0
		.amdhsa_user_sgpr_queue_ptr 0
		.amdhsa_user_sgpr_kernarg_segment_ptr 1
		.amdhsa_user_sgpr_dispatch_id 0
		.amdhsa_user_sgpr_flat_scratch_init 0
		.amdhsa_user_sgpr_kernarg_preload_length 0
		.amdhsa_user_sgpr_kernarg_preload_offset 0
		.amdhsa_user_sgpr_private_segment_size 0
		.amdhsa_uses_dynamic_stack 0
		.amdhsa_system_sgpr_private_segment_wavefront_offset 0
		.amdhsa_system_sgpr_workgroup_id_x 1
		.amdhsa_system_sgpr_workgroup_id_y 0
		.amdhsa_system_sgpr_workgroup_id_z 0
		.amdhsa_system_sgpr_workgroup_info 0
		.amdhsa_system_vgpr_workitem_id 0
		.amdhsa_next_free_vgpr 1
		.amdhsa_next_free_sgpr 0
		.amdhsa_accum_offset 4
		.amdhsa_reserve_vcc 0
		.amdhsa_reserve_flat_scratch 0
		.amdhsa_float_round_mode_32 0
		.amdhsa_float_round_mode_16_64 0
		.amdhsa_float_denorm_mode_32 3
		.amdhsa_float_denorm_mode_16_64 3
		.amdhsa_dx10_clamp 1
		.amdhsa_ieee_mode 1
		.amdhsa_fp16_overflow 0
		.amdhsa_tg_split 0
		.amdhsa_exception_fp_ieee_invalid_op 0
		.amdhsa_exception_fp_denorm_src 0
		.amdhsa_exception_fp_ieee_div_zero 0
		.amdhsa_exception_fp_ieee_overflow 0
		.amdhsa_exception_fp_ieee_underflow 0
		.amdhsa_exception_fp_ieee_inexact 0
		.amdhsa_exception_int_div_zero 0
	.end_amdhsa_kernel
	.section	.text._ZN7rocprim17ROCPRIM_400000_NS6detail17trampoline_kernelINS0_14default_configENS1_20scan_config_selectorItEEZZNS1_9scan_implILNS1_25lookback_scan_determinismE0ELb0ELb0ES3_N6thrust23THRUST_200600_302600_NS6detail15normal_iteratorINS9_10device_ptrItEEEESE_t11max_functorItEtEEDaPvRmT3_T4_T5_mT6_P12ihipStream_tbENKUlT_T0_E_clISt17integral_constantIbLb1EESU_EEDaSP_SQ_EUlSP_E_NS1_11comp_targetILNS1_3genE3ELNS1_11target_archE908ELNS1_3gpuE7ELNS1_3repE0EEENS1_30default_config_static_selectorELNS0_4arch9wavefront6targetE1EEEvT1_,"axG",@progbits,_ZN7rocprim17ROCPRIM_400000_NS6detail17trampoline_kernelINS0_14default_configENS1_20scan_config_selectorItEEZZNS1_9scan_implILNS1_25lookback_scan_determinismE0ELb0ELb0ES3_N6thrust23THRUST_200600_302600_NS6detail15normal_iteratorINS9_10device_ptrItEEEESE_t11max_functorItEtEEDaPvRmT3_T4_T5_mT6_P12ihipStream_tbENKUlT_T0_E_clISt17integral_constantIbLb1EESU_EEDaSP_SQ_EUlSP_E_NS1_11comp_targetILNS1_3genE3ELNS1_11target_archE908ELNS1_3gpuE7ELNS1_3repE0EEENS1_30default_config_static_selectorELNS0_4arch9wavefront6targetE1EEEvT1_,comdat
.Lfunc_end2433:
	.size	_ZN7rocprim17ROCPRIM_400000_NS6detail17trampoline_kernelINS0_14default_configENS1_20scan_config_selectorItEEZZNS1_9scan_implILNS1_25lookback_scan_determinismE0ELb0ELb0ES3_N6thrust23THRUST_200600_302600_NS6detail15normal_iteratorINS9_10device_ptrItEEEESE_t11max_functorItEtEEDaPvRmT3_T4_T5_mT6_P12ihipStream_tbENKUlT_T0_E_clISt17integral_constantIbLb1EESU_EEDaSP_SQ_EUlSP_E_NS1_11comp_targetILNS1_3genE3ELNS1_11target_archE908ELNS1_3gpuE7ELNS1_3repE0EEENS1_30default_config_static_selectorELNS0_4arch9wavefront6targetE1EEEvT1_, .Lfunc_end2433-_ZN7rocprim17ROCPRIM_400000_NS6detail17trampoline_kernelINS0_14default_configENS1_20scan_config_selectorItEEZZNS1_9scan_implILNS1_25lookback_scan_determinismE0ELb0ELb0ES3_N6thrust23THRUST_200600_302600_NS6detail15normal_iteratorINS9_10device_ptrItEEEESE_t11max_functorItEtEEDaPvRmT3_T4_T5_mT6_P12ihipStream_tbENKUlT_T0_E_clISt17integral_constantIbLb1EESU_EEDaSP_SQ_EUlSP_E_NS1_11comp_targetILNS1_3genE3ELNS1_11target_archE908ELNS1_3gpuE7ELNS1_3repE0EEENS1_30default_config_static_selectorELNS0_4arch9wavefront6targetE1EEEvT1_
                                        ; -- End function
	.section	.AMDGPU.csdata,"",@progbits
; Kernel info:
; codeLenInByte = 0
; NumSgprs: 4
; NumVgprs: 0
; NumAgprs: 0
; TotalNumVgprs: 0
; ScratchSize: 0
; MemoryBound: 0
; FloatMode: 240
; IeeeMode: 1
; LDSByteSize: 0 bytes/workgroup (compile time only)
; SGPRBlocks: 0
; VGPRBlocks: 0
; NumSGPRsForWavesPerEU: 4
; NumVGPRsForWavesPerEU: 1
; AccumOffset: 4
; Occupancy: 8
; WaveLimiterHint : 0
; COMPUTE_PGM_RSRC2:SCRATCH_EN: 0
; COMPUTE_PGM_RSRC2:USER_SGPR: 6
; COMPUTE_PGM_RSRC2:TRAP_HANDLER: 0
; COMPUTE_PGM_RSRC2:TGID_X_EN: 1
; COMPUTE_PGM_RSRC2:TGID_Y_EN: 0
; COMPUTE_PGM_RSRC2:TGID_Z_EN: 0
; COMPUTE_PGM_RSRC2:TIDIG_COMP_CNT: 0
; COMPUTE_PGM_RSRC3_GFX90A:ACCUM_OFFSET: 0
; COMPUTE_PGM_RSRC3_GFX90A:TG_SPLIT: 0
	.section	.text._ZN7rocprim17ROCPRIM_400000_NS6detail17trampoline_kernelINS0_14default_configENS1_20scan_config_selectorItEEZZNS1_9scan_implILNS1_25lookback_scan_determinismE0ELb0ELb0ES3_N6thrust23THRUST_200600_302600_NS6detail15normal_iteratorINS9_10device_ptrItEEEESE_t11max_functorItEtEEDaPvRmT3_T4_T5_mT6_P12ihipStream_tbENKUlT_T0_E_clISt17integral_constantIbLb1EESU_EEDaSP_SQ_EUlSP_E_NS1_11comp_targetILNS1_3genE2ELNS1_11target_archE906ELNS1_3gpuE6ELNS1_3repE0EEENS1_30default_config_static_selectorELNS0_4arch9wavefront6targetE1EEEvT1_,"axG",@progbits,_ZN7rocprim17ROCPRIM_400000_NS6detail17trampoline_kernelINS0_14default_configENS1_20scan_config_selectorItEEZZNS1_9scan_implILNS1_25lookback_scan_determinismE0ELb0ELb0ES3_N6thrust23THRUST_200600_302600_NS6detail15normal_iteratorINS9_10device_ptrItEEEESE_t11max_functorItEtEEDaPvRmT3_T4_T5_mT6_P12ihipStream_tbENKUlT_T0_E_clISt17integral_constantIbLb1EESU_EEDaSP_SQ_EUlSP_E_NS1_11comp_targetILNS1_3genE2ELNS1_11target_archE906ELNS1_3gpuE6ELNS1_3repE0EEENS1_30default_config_static_selectorELNS0_4arch9wavefront6targetE1EEEvT1_,comdat
	.protected	_ZN7rocprim17ROCPRIM_400000_NS6detail17trampoline_kernelINS0_14default_configENS1_20scan_config_selectorItEEZZNS1_9scan_implILNS1_25lookback_scan_determinismE0ELb0ELb0ES3_N6thrust23THRUST_200600_302600_NS6detail15normal_iteratorINS9_10device_ptrItEEEESE_t11max_functorItEtEEDaPvRmT3_T4_T5_mT6_P12ihipStream_tbENKUlT_T0_E_clISt17integral_constantIbLb1EESU_EEDaSP_SQ_EUlSP_E_NS1_11comp_targetILNS1_3genE2ELNS1_11target_archE906ELNS1_3gpuE6ELNS1_3repE0EEENS1_30default_config_static_selectorELNS0_4arch9wavefront6targetE1EEEvT1_ ; -- Begin function _ZN7rocprim17ROCPRIM_400000_NS6detail17trampoline_kernelINS0_14default_configENS1_20scan_config_selectorItEEZZNS1_9scan_implILNS1_25lookback_scan_determinismE0ELb0ELb0ES3_N6thrust23THRUST_200600_302600_NS6detail15normal_iteratorINS9_10device_ptrItEEEESE_t11max_functorItEtEEDaPvRmT3_T4_T5_mT6_P12ihipStream_tbENKUlT_T0_E_clISt17integral_constantIbLb1EESU_EEDaSP_SQ_EUlSP_E_NS1_11comp_targetILNS1_3genE2ELNS1_11target_archE906ELNS1_3gpuE6ELNS1_3repE0EEENS1_30default_config_static_selectorELNS0_4arch9wavefront6targetE1EEEvT1_
	.globl	_ZN7rocprim17ROCPRIM_400000_NS6detail17trampoline_kernelINS0_14default_configENS1_20scan_config_selectorItEEZZNS1_9scan_implILNS1_25lookback_scan_determinismE0ELb0ELb0ES3_N6thrust23THRUST_200600_302600_NS6detail15normal_iteratorINS9_10device_ptrItEEEESE_t11max_functorItEtEEDaPvRmT3_T4_T5_mT6_P12ihipStream_tbENKUlT_T0_E_clISt17integral_constantIbLb1EESU_EEDaSP_SQ_EUlSP_E_NS1_11comp_targetILNS1_3genE2ELNS1_11target_archE906ELNS1_3gpuE6ELNS1_3repE0EEENS1_30default_config_static_selectorELNS0_4arch9wavefront6targetE1EEEvT1_
	.p2align	8
	.type	_ZN7rocprim17ROCPRIM_400000_NS6detail17trampoline_kernelINS0_14default_configENS1_20scan_config_selectorItEEZZNS1_9scan_implILNS1_25lookback_scan_determinismE0ELb0ELb0ES3_N6thrust23THRUST_200600_302600_NS6detail15normal_iteratorINS9_10device_ptrItEEEESE_t11max_functorItEtEEDaPvRmT3_T4_T5_mT6_P12ihipStream_tbENKUlT_T0_E_clISt17integral_constantIbLb1EESU_EEDaSP_SQ_EUlSP_E_NS1_11comp_targetILNS1_3genE2ELNS1_11target_archE906ELNS1_3gpuE6ELNS1_3repE0EEENS1_30default_config_static_selectorELNS0_4arch9wavefront6targetE1EEEvT1_,@function
_ZN7rocprim17ROCPRIM_400000_NS6detail17trampoline_kernelINS0_14default_configENS1_20scan_config_selectorItEEZZNS1_9scan_implILNS1_25lookback_scan_determinismE0ELb0ELb0ES3_N6thrust23THRUST_200600_302600_NS6detail15normal_iteratorINS9_10device_ptrItEEEESE_t11max_functorItEtEEDaPvRmT3_T4_T5_mT6_P12ihipStream_tbENKUlT_T0_E_clISt17integral_constantIbLb1EESU_EEDaSP_SQ_EUlSP_E_NS1_11comp_targetILNS1_3genE2ELNS1_11target_archE906ELNS1_3gpuE6ELNS1_3repE0EEENS1_30default_config_static_selectorELNS0_4arch9wavefront6targetE1EEEvT1_: ; @_ZN7rocprim17ROCPRIM_400000_NS6detail17trampoline_kernelINS0_14default_configENS1_20scan_config_selectorItEEZZNS1_9scan_implILNS1_25lookback_scan_determinismE0ELb0ELb0ES3_N6thrust23THRUST_200600_302600_NS6detail15normal_iteratorINS9_10device_ptrItEEEESE_t11max_functorItEtEEDaPvRmT3_T4_T5_mT6_P12ihipStream_tbENKUlT_T0_E_clISt17integral_constantIbLb1EESU_EEDaSP_SQ_EUlSP_E_NS1_11comp_targetILNS1_3genE2ELNS1_11target_archE906ELNS1_3gpuE6ELNS1_3repE0EEENS1_30default_config_static_selectorELNS0_4arch9wavefront6targetE1EEEvT1_
; %bb.0:
	.section	.rodata,"a",@progbits
	.p2align	6, 0x0
	.amdhsa_kernel _ZN7rocprim17ROCPRIM_400000_NS6detail17trampoline_kernelINS0_14default_configENS1_20scan_config_selectorItEEZZNS1_9scan_implILNS1_25lookback_scan_determinismE0ELb0ELb0ES3_N6thrust23THRUST_200600_302600_NS6detail15normal_iteratorINS9_10device_ptrItEEEESE_t11max_functorItEtEEDaPvRmT3_T4_T5_mT6_P12ihipStream_tbENKUlT_T0_E_clISt17integral_constantIbLb1EESU_EEDaSP_SQ_EUlSP_E_NS1_11comp_targetILNS1_3genE2ELNS1_11target_archE906ELNS1_3gpuE6ELNS1_3repE0EEENS1_30default_config_static_selectorELNS0_4arch9wavefront6targetE1EEEvT1_
		.amdhsa_group_segment_fixed_size 0
		.amdhsa_private_segment_fixed_size 0
		.amdhsa_kernarg_size 96
		.amdhsa_user_sgpr_count 6
		.amdhsa_user_sgpr_private_segment_buffer 1
		.amdhsa_user_sgpr_dispatch_ptr 0
		.amdhsa_user_sgpr_queue_ptr 0
		.amdhsa_user_sgpr_kernarg_segment_ptr 1
		.amdhsa_user_sgpr_dispatch_id 0
		.amdhsa_user_sgpr_flat_scratch_init 0
		.amdhsa_user_sgpr_kernarg_preload_length 0
		.amdhsa_user_sgpr_kernarg_preload_offset 0
		.amdhsa_user_sgpr_private_segment_size 0
		.amdhsa_uses_dynamic_stack 0
		.amdhsa_system_sgpr_private_segment_wavefront_offset 0
		.amdhsa_system_sgpr_workgroup_id_x 1
		.amdhsa_system_sgpr_workgroup_id_y 0
		.amdhsa_system_sgpr_workgroup_id_z 0
		.amdhsa_system_sgpr_workgroup_info 0
		.amdhsa_system_vgpr_workitem_id 0
		.amdhsa_next_free_vgpr 1
		.amdhsa_next_free_sgpr 0
		.amdhsa_accum_offset 4
		.amdhsa_reserve_vcc 0
		.amdhsa_reserve_flat_scratch 0
		.amdhsa_float_round_mode_32 0
		.amdhsa_float_round_mode_16_64 0
		.amdhsa_float_denorm_mode_32 3
		.amdhsa_float_denorm_mode_16_64 3
		.amdhsa_dx10_clamp 1
		.amdhsa_ieee_mode 1
		.amdhsa_fp16_overflow 0
		.amdhsa_tg_split 0
		.amdhsa_exception_fp_ieee_invalid_op 0
		.amdhsa_exception_fp_denorm_src 0
		.amdhsa_exception_fp_ieee_div_zero 0
		.amdhsa_exception_fp_ieee_overflow 0
		.amdhsa_exception_fp_ieee_underflow 0
		.amdhsa_exception_fp_ieee_inexact 0
		.amdhsa_exception_int_div_zero 0
	.end_amdhsa_kernel
	.section	.text._ZN7rocprim17ROCPRIM_400000_NS6detail17trampoline_kernelINS0_14default_configENS1_20scan_config_selectorItEEZZNS1_9scan_implILNS1_25lookback_scan_determinismE0ELb0ELb0ES3_N6thrust23THRUST_200600_302600_NS6detail15normal_iteratorINS9_10device_ptrItEEEESE_t11max_functorItEtEEDaPvRmT3_T4_T5_mT6_P12ihipStream_tbENKUlT_T0_E_clISt17integral_constantIbLb1EESU_EEDaSP_SQ_EUlSP_E_NS1_11comp_targetILNS1_3genE2ELNS1_11target_archE906ELNS1_3gpuE6ELNS1_3repE0EEENS1_30default_config_static_selectorELNS0_4arch9wavefront6targetE1EEEvT1_,"axG",@progbits,_ZN7rocprim17ROCPRIM_400000_NS6detail17trampoline_kernelINS0_14default_configENS1_20scan_config_selectorItEEZZNS1_9scan_implILNS1_25lookback_scan_determinismE0ELb0ELb0ES3_N6thrust23THRUST_200600_302600_NS6detail15normal_iteratorINS9_10device_ptrItEEEESE_t11max_functorItEtEEDaPvRmT3_T4_T5_mT6_P12ihipStream_tbENKUlT_T0_E_clISt17integral_constantIbLb1EESU_EEDaSP_SQ_EUlSP_E_NS1_11comp_targetILNS1_3genE2ELNS1_11target_archE906ELNS1_3gpuE6ELNS1_3repE0EEENS1_30default_config_static_selectorELNS0_4arch9wavefront6targetE1EEEvT1_,comdat
.Lfunc_end2434:
	.size	_ZN7rocprim17ROCPRIM_400000_NS6detail17trampoline_kernelINS0_14default_configENS1_20scan_config_selectorItEEZZNS1_9scan_implILNS1_25lookback_scan_determinismE0ELb0ELb0ES3_N6thrust23THRUST_200600_302600_NS6detail15normal_iteratorINS9_10device_ptrItEEEESE_t11max_functorItEtEEDaPvRmT3_T4_T5_mT6_P12ihipStream_tbENKUlT_T0_E_clISt17integral_constantIbLb1EESU_EEDaSP_SQ_EUlSP_E_NS1_11comp_targetILNS1_3genE2ELNS1_11target_archE906ELNS1_3gpuE6ELNS1_3repE0EEENS1_30default_config_static_selectorELNS0_4arch9wavefront6targetE1EEEvT1_, .Lfunc_end2434-_ZN7rocprim17ROCPRIM_400000_NS6detail17trampoline_kernelINS0_14default_configENS1_20scan_config_selectorItEEZZNS1_9scan_implILNS1_25lookback_scan_determinismE0ELb0ELb0ES3_N6thrust23THRUST_200600_302600_NS6detail15normal_iteratorINS9_10device_ptrItEEEESE_t11max_functorItEtEEDaPvRmT3_T4_T5_mT6_P12ihipStream_tbENKUlT_T0_E_clISt17integral_constantIbLb1EESU_EEDaSP_SQ_EUlSP_E_NS1_11comp_targetILNS1_3genE2ELNS1_11target_archE906ELNS1_3gpuE6ELNS1_3repE0EEENS1_30default_config_static_selectorELNS0_4arch9wavefront6targetE1EEEvT1_
                                        ; -- End function
	.section	.AMDGPU.csdata,"",@progbits
; Kernel info:
; codeLenInByte = 0
; NumSgprs: 4
; NumVgprs: 0
; NumAgprs: 0
; TotalNumVgprs: 0
; ScratchSize: 0
; MemoryBound: 0
; FloatMode: 240
; IeeeMode: 1
; LDSByteSize: 0 bytes/workgroup (compile time only)
; SGPRBlocks: 0
; VGPRBlocks: 0
; NumSGPRsForWavesPerEU: 4
; NumVGPRsForWavesPerEU: 1
; AccumOffset: 4
; Occupancy: 8
; WaveLimiterHint : 0
; COMPUTE_PGM_RSRC2:SCRATCH_EN: 0
; COMPUTE_PGM_RSRC2:USER_SGPR: 6
; COMPUTE_PGM_RSRC2:TRAP_HANDLER: 0
; COMPUTE_PGM_RSRC2:TGID_X_EN: 1
; COMPUTE_PGM_RSRC2:TGID_Y_EN: 0
; COMPUTE_PGM_RSRC2:TGID_Z_EN: 0
; COMPUTE_PGM_RSRC2:TIDIG_COMP_CNT: 0
; COMPUTE_PGM_RSRC3_GFX90A:ACCUM_OFFSET: 0
; COMPUTE_PGM_RSRC3_GFX90A:TG_SPLIT: 0
	.section	.text._ZN7rocprim17ROCPRIM_400000_NS6detail17trampoline_kernelINS0_14default_configENS1_20scan_config_selectorItEEZZNS1_9scan_implILNS1_25lookback_scan_determinismE0ELb0ELb0ES3_N6thrust23THRUST_200600_302600_NS6detail15normal_iteratorINS9_10device_ptrItEEEESE_t11max_functorItEtEEDaPvRmT3_T4_T5_mT6_P12ihipStream_tbENKUlT_T0_E_clISt17integral_constantIbLb1EESU_EEDaSP_SQ_EUlSP_E_NS1_11comp_targetILNS1_3genE10ELNS1_11target_archE1201ELNS1_3gpuE5ELNS1_3repE0EEENS1_30default_config_static_selectorELNS0_4arch9wavefront6targetE1EEEvT1_,"axG",@progbits,_ZN7rocprim17ROCPRIM_400000_NS6detail17trampoline_kernelINS0_14default_configENS1_20scan_config_selectorItEEZZNS1_9scan_implILNS1_25lookback_scan_determinismE0ELb0ELb0ES3_N6thrust23THRUST_200600_302600_NS6detail15normal_iteratorINS9_10device_ptrItEEEESE_t11max_functorItEtEEDaPvRmT3_T4_T5_mT6_P12ihipStream_tbENKUlT_T0_E_clISt17integral_constantIbLb1EESU_EEDaSP_SQ_EUlSP_E_NS1_11comp_targetILNS1_3genE10ELNS1_11target_archE1201ELNS1_3gpuE5ELNS1_3repE0EEENS1_30default_config_static_selectorELNS0_4arch9wavefront6targetE1EEEvT1_,comdat
	.protected	_ZN7rocprim17ROCPRIM_400000_NS6detail17trampoline_kernelINS0_14default_configENS1_20scan_config_selectorItEEZZNS1_9scan_implILNS1_25lookback_scan_determinismE0ELb0ELb0ES3_N6thrust23THRUST_200600_302600_NS6detail15normal_iteratorINS9_10device_ptrItEEEESE_t11max_functorItEtEEDaPvRmT3_T4_T5_mT6_P12ihipStream_tbENKUlT_T0_E_clISt17integral_constantIbLb1EESU_EEDaSP_SQ_EUlSP_E_NS1_11comp_targetILNS1_3genE10ELNS1_11target_archE1201ELNS1_3gpuE5ELNS1_3repE0EEENS1_30default_config_static_selectorELNS0_4arch9wavefront6targetE1EEEvT1_ ; -- Begin function _ZN7rocprim17ROCPRIM_400000_NS6detail17trampoline_kernelINS0_14default_configENS1_20scan_config_selectorItEEZZNS1_9scan_implILNS1_25lookback_scan_determinismE0ELb0ELb0ES3_N6thrust23THRUST_200600_302600_NS6detail15normal_iteratorINS9_10device_ptrItEEEESE_t11max_functorItEtEEDaPvRmT3_T4_T5_mT6_P12ihipStream_tbENKUlT_T0_E_clISt17integral_constantIbLb1EESU_EEDaSP_SQ_EUlSP_E_NS1_11comp_targetILNS1_3genE10ELNS1_11target_archE1201ELNS1_3gpuE5ELNS1_3repE0EEENS1_30default_config_static_selectorELNS0_4arch9wavefront6targetE1EEEvT1_
	.globl	_ZN7rocprim17ROCPRIM_400000_NS6detail17trampoline_kernelINS0_14default_configENS1_20scan_config_selectorItEEZZNS1_9scan_implILNS1_25lookback_scan_determinismE0ELb0ELb0ES3_N6thrust23THRUST_200600_302600_NS6detail15normal_iteratorINS9_10device_ptrItEEEESE_t11max_functorItEtEEDaPvRmT3_T4_T5_mT6_P12ihipStream_tbENKUlT_T0_E_clISt17integral_constantIbLb1EESU_EEDaSP_SQ_EUlSP_E_NS1_11comp_targetILNS1_3genE10ELNS1_11target_archE1201ELNS1_3gpuE5ELNS1_3repE0EEENS1_30default_config_static_selectorELNS0_4arch9wavefront6targetE1EEEvT1_
	.p2align	8
	.type	_ZN7rocprim17ROCPRIM_400000_NS6detail17trampoline_kernelINS0_14default_configENS1_20scan_config_selectorItEEZZNS1_9scan_implILNS1_25lookback_scan_determinismE0ELb0ELb0ES3_N6thrust23THRUST_200600_302600_NS6detail15normal_iteratorINS9_10device_ptrItEEEESE_t11max_functorItEtEEDaPvRmT3_T4_T5_mT6_P12ihipStream_tbENKUlT_T0_E_clISt17integral_constantIbLb1EESU_EEDaSP_SQ_EUlSP_E_NS1_11comp_targetILNS1_3genE10ELNS1_11target_archE1201ELNS1_3gpuE5ELNS1_3repE0EEENS1_30default_config_static_selectorELNS0_4arch9wavefront6targetE1EEEvT1_,@function
_ZN7rocprim17ROCPRIM_400000_NS6detail17trampoline_kernelINS0_14default_configENS1_20scan_config_selectorItEEZZNS1_9scan_implILNS1_25lookback_scan_determinismE0ELb0ELb0ES3_N6thrust23THRUST_200600_302600_NS6detail15normal_iteratorINS9_10device_ptrItEEEESE_t11max_functorItEtEEDaPvRmT3_T4_T5_mT6_P12ihipStream_tbENKUlT_T0_E_clISt17integral_constantIbLb1EESU_EEDaSP_SQ_EUlSP_E_NS1_11comp_targetILNS1_3genE10ELNS1_11target_archE1201ELNS1_3gpuE5ELNS1_3repE0EEENS1_30default_config_static_selectorELNS0_4arch9wavefront6targetE1EEEvT1_: ; @_ZN7rocprim17ROCPRIM_400000_NS6detail17trampoline_kernelINS0_14default_configENS1_20scan_config_selectorItEEZZNS1_9scan_implILNS1_25lookback_scan_determinismE0ELb0ELb0ES3_N6thrust23THRUST_200600_302600_NS6detail15normal_iteratorINS9_10device_ptrItEEEESE_t11max_functorItEtEEDaPvRmT3_T4_T5_mT6_P12ihipStream_tbENKUlT_T0_E_clISt17integral_constantIbLb1EESU_EEDaSP_SQ_EUlSP_E_NS1_11comp_targetILNS1_3genE10ELNS1_11target_archE1201ELNS1_3gpuE5ELNS1_3repE0EEENS1_30default_config_static_selectorELNS0_4arch9wavefront6targetE1EEEvT1_
; %bb.0:
	.section	.rodata,"a",@progbits
	.p2align	6, 0x0
	.amdhsa_kernel _ZN7rocprim17ROCPRIM_400000_NS6detail17trampoline_kernelINS0_14default_configENS1_20scan_config_selectorItEEZZNS1_9scan_implILNS1_25lookback_scan_determinismE0ELb0ELb0ES3_N6thrust23THRUST_200600_302600_NS6detail15normal_iteratorINS9_10device_ptrItEEEESE_t11max_functorItEtEEDaPvRmT3_T4_T5_mT6_P12ihipStream_tbENKUlT_T0_E_clISt17integral_constantIbLb1EESU_EEDaSP_SQ_EUlSP_E_NS1_11comp_targetILNS1_3genE10ELNS1_11target_archE1201ELNS1_3gpuE5ELNS1_3repE0EEENS1_30default_config_static_selectorELNS0_4arch9wavefront6targetE1EEEvT1_
		.amdhsa_group_segment_fixed_size 0
		.amdhsa_private_segment_fixed_size 0
		.amdhsa_kernarg_size 96
		.amdhsa_user_sgpr_count 6
		.amdhsa_user_sgpr_private_segment_buffer 1
		.amdhsa_user_sgpr_dispatch_ptr 0
		.amdhsa_user_sgpr_queue_ptr 0
		.amdhsa_user_sgpr_kernarg_segment_ptr 1
		.amdhsa_user_sgpr_dispatch_id 0
		.amdhsa_user_sgpr_flat_scratch_init 0
		.amdhsa_user_sgpr_kernarg_preload_length 0
		.amdhsa_user_sgpr_kernarg_preload_offset 0
		.amdhsa_user_sgpr_private_segment_size 0
		.amdhsa_uses_dynamic_stack 0
		.amdhsa_system_sgpr_private_segment_wavefront_offset 0
		.amdhsa_system_sgpr_workgroup_id_x 1
		.amdhsa_system_sgpr_workgroup_id_y 0
		.amdhsa_system_sgpr_workgroup_id_z 0
		.amdhsa_system_sgpr_workgroup_info 0
		.amdhsa_system_vgpr_workitem_id 0
		.amdhsa_next_free_vgpr 1
		.amdhsa_next_free_sgpr 0
		.amdhsa_accum_offset 4
		.amdhsa_reserve_vcc 0
		.amdhsa_reserve_flat_scratch 0
		.amdhsa_float_round_mode_32 0
		.amdhsa_float_round_mode_16_64 0
		.amdhsa_float_denorm_mode_32 3
		.amdhsa_float_denorm_mode_16_64 3
		.amdhsa_dx10_clamp 1
		.amdhsa_ieee_mode 1
		.amdhsa_fp16_overflow 0
		.amdhsa_tg_split 0
		.amdhsa_exception_fp_ieee_invalid_op 0
		.amdhsa_exception_fp_denorm_src 0
		.amdhsa_exception_fp_ieee_div_zero 0
		.amdhsa_exception_fp_ieee_overflow 0
		.amdhsa_exception_fp_ieee_underflow 0
		.amdhsa_exception_fp_ieee_inexact 0
		.amdhsa_exception_int_div_zero 0
	.end_amdhsa_kernel
	.section	.text._ZN7rocprim17ROCPRIM_400000_NS6detail17trampoline_kernelINS0_14default_configENS1_20scan_config_selectorItEEZZNS1_9scan_implILNS1_25lookback_scan_determinismE0ELb0ELb0ES3_N6thrust23THRUST_200600_302600_NS6detail15normal_iteratorINS9_10device_ptrItEEEESE_t11max_functorItEtEEDaPvRmT3_T4_T5_mT6_P12ihipStream_tbENKUlT_T0_E_clISt17integral_constantIbLb1EESU_EEDaSP_SQ_EUlSP_E_NS1_11comp_targetILNS1_3genE10ELNS1_11target_archE1201ELNS1_3gpuE5ELNS1_3repE0EEENS1_30default_config_static_selectorELNS0_4arch9wavefront6targetE1EEEvT1_,"axG",@progbits,_ZN7rocprim17ROCPRIM_400000_NS6detail17trampoline_kernelINS0_14default_configENS1_20scan_config_selectorItEEZZNS1_9scan_implILNS1_25lookback_scan_determinismE0ELb0ELb0ES3_N6thrust23THRUST_200600_302600_NS6detail15normal_iteratorINS9_10device_ptrItEEEESE_t11max_functorItEtEEDaPvRmT3_T4_T5_mT6_P12ihipStream_tbENKUlT_T0_E_clISt17integral_constantIbLb1EESU_EEDaSP_SQ_EUlSP_E_NS1_11comp_targetILNS1_3genE10ELNS1_11target_archE1201ELNS1_3gpuE5ELNS1_3repE0EEENS1_30default_config_static_selectorELNS0_4arch9wavefront6targetE1EEEvT1_,comdat
.Lfunc_end2435:
	.size	_ZN7rocprim17ROCPRIM_400000_NS6detail17trampoline_kernelINS0_14default_configENS1_20scan_config_selectorItEEZZNS1_9scan_implILNS1_25lookback_scan_determinismE0ELb0ELb0ES3_N6thrust23THRUST_200600_302600_NS6detail15normal_iteratorINS9_10device_ptrItEEEESE_t11max_functorItEtEEDaPvRmT3_T4_T5_mT6_P12ihipStream_tbENKUlT_T0_E_clISt17integral_constantIbLb1EESU_EEDaSP_SQ_EUlSP_E_NS1_11comp_targetILNS1_3genE10ELNS1_11target_archE1201ELNS1_3gpuE5ELNS1_3repE0EEENS1_30default_config_static_selectorELNS0_4arch9wavefront6targetE1EEEvT1_, .Lfunc_end2435-_ZN7rocprim17ROCPRIM_400000_NS6detail17trampoline_kernelINS0_14default_configENS1_20scan_config_selectorItEEZZNS1_9scan_implILNS1_25lookback_scan_determinismE0ELb0ELb0ES3_N6thrust23THRUST_200600_302600_NS6detail15normal_iteratorINS9_10device_ptrItEEEESE_t11max_functorItEtEEDaPvRmT3_T4_T5_mT6_P12ihipStream_tbENKUlT_T0_E_clISt17integral_constantIbLb1EESU_EEDaSP_SQ_EUlSP_E_NS1_11comp_targetILNS1_3genE10ELNS1_11target_archE1201ELNS1_3gpuE5ELNS1_3repE0EEENS1_30default_config_static_selectorELNS0_4arch9wavefront6targetE1EEEvT1_
                                        ; -- End function
	.section	.AMDGPU.csdata,"",@progbits
; Kernel info:
; codeLenInByte = 0
; NumSgprs: 4
; NumVgprs: 0
; NumAgprs: 0
; TotalNumVgprs: 0
; ScratchSize: 0
; MemoryBound: 0
; FloatMode: 240
; IeeeMode: 1
; LDSByteSize: 0 bytes/workgroup (compile time only)
; SGPRBlocks: 0
; VGPRBlocks: 0
; NumSGPRsForWavesPerEU: 4
; NumVGPRsForWavesPerEU: 1
; AccumOffset: 4
; Occupancy: 8
; WaveLimiterHint : 0
; COMPUTE_PGM_RSRC2:SCRATCH_EN: 0
; COMPUTE_PGM_RSRC2:USER_SGPR: 6
; COMPUTE_PGM_RSRC2:TRAP_HANDLER: 0
; COMPUTE_PGM_RSRC2:TGID_X_EN: 1
; COMPUTE_PGM_RSRC2:TGID_Y_EN: 0
; COMPUTE_PGM_RSRC2:TGID_Z_EN: 0
; COMPUTE_PGM_RSRC2:TIDIG_COMP_CNT: 0
; COMPUTE_PGM_RSRC3_GFX90A:ACCUM_OFFSET: 0
; COMPUTE_PGM_RSRC3_GFX90A:TG_SPLIT: 0
	.section	.text._ZN7rocprim17ROCPRIM_400000_NS6detail17trampoline_kernelINS0_14default_configENS1_20scan_config_selectorItEEZZNS1_9scan_implILNS1_25lookback_scan_determinismE0ELb0ELb0ES3_N6thrust23THRUST_200600_302600_NS6detail15normal_iteratorINS9_10device_ptrItEEEESE_t11max_functorItEtEEDaPvRmT3_T4_T5_mT6_P12ihipStream_tbENKUlT_T0_E_clISt17integral_constantIbLb1EESU_EEDaSP_SQ_EUlSP_E_NS1_11comp_targetILNS1_3genE10ELNS1_11target_archE1200ELNS1_3gpuE4ELNS1_3repE0EEENS1_30default_config_static_selectorELNS0_4arch9wavefront6targetE1EEEvT1_,"axG",@progbits,_ZN7rocprim17ROCPRIM_400000_NS6detail17trampoline_kernelINS0_14default_configENS1_20scan_config_selectorItEEZZNS1_9scan_implILNS1_25lookback_scan_determinismE0ELb0ELb0ES3_N6thrust23THRUST_200600_302600_NS6detail15normal_iteratorINS9_10device_ptrItEEEESE_t11max_functorItEtEEDaPvRmT3_T4_T5_mT6_P12ihipStream_tbENKUlT_T0_E_clISt17integral_constantIbLb1EESU_EEDaSP_SQ_EUlSP_E_NS1_11comp_targetILNS1_3genE10ELNS1_11target_archE1200ELNS1_3gpuE4ELNS1_3repE0EEENS1_30default_config_static_selectorELNS0_4arch9wavefront6targetE1EEEvT1_,comdat
	.protected	_ZN7rocprim17ROCPRIM_400000_NS6detail17trampoline_kernelINS0_14default_configENS1_20scan_config_selectorItEEZZNS1_9scan_implILNS1_25lookback_scan_determinismE0ELb0ELb0ES3_N6thrust23THRUST_200600_302600_NS6detail15normal_iteratorINS9_10device_ptrItEEEESE_t11max_functorItEtEEDaPvRmT3_T4_T5_mT6_P12ihipStream_tbENKUlT_T0_E_clISt17integral_constantIbLb1EESU_EEDaSP_SQ_EUlSP_E_NS1_11comp_targetILNS1_3genE10ELNS1_11target_archE1200ELNS1_3gpuE4ELNS1_3repE0EEENS1_30default_config_static_selectorELNS0_4arch9wavefront6targetE1EEEvT1_ ; -- Begin function _ZN7rocprim17ROCPRIM_400000_NS6detail17trampoline_kernelINS0_14default_configENS1_20scan_config_selectorItEEZZNS1_9scan_implILNS1_25lookback_scan_determinismE0ELb0ELb0ES3_N6thrust23THRUST_200600_302600_NS6detail15normal_iteratorINS9_10device_ptrItEEEESE_t11max_functorItEtEEDaPvRmT3_T4_T5_mT6_P12ihipStream_tbENKUlT_T0_E_clISt17integral_constantIbLb1EESU_EEDaSP_SQ_EUlSP_E_NS1_11comp_targetILNS1_3genE10ELNS1_11target_archE1200ELNS1_3gpuE4ELNS1_3repE0EEENS1_30default_config_static_selectorELNS0_4arch9wavefront6targetE1EEEvT1_
	.globl	_ZN7rocprim17ROCPRIM_400000_NS6detail17trampoline_kernelINS0_14default_configENS1_20scan_config_selectorItEEZZNS1_9scan_implILNS1_25lookback_scan_determinismE0ELb0ELb0ES3_N6thrust23THRUST_200600_302600_NS6detail15normal_iteratorINS9_10device_ptrItEEEESE_t11max_functorItEtEEDaPvRmT3_T4_T5_mT6_P12ihipStream_tbENKUlT_T0_E_clISt17integral_constantIbLb1EESU_EEDaSP_SQ_EUlSP_E_NS1_11comp_targetILNS1_3genE10ELNS1_11target_archE1200ELNS1_3gpuE4ELNS1_3repE0EEENS1_30default_config_static_selectorELNS0_4arch9wavefront6targetE1EEEvT1_
	.p2align	8
	.type	_ZN7rocprim17ROCPRIM_400000_NS6detail17trampoline_kernelINS0_14default_configENS1_20scan_config_selectorItEEZZNS1_9scan_implILNS1_25lookback_scan_determinismE0ELb0ELb0ES3_N6thrust23THRUST_200600_302600_NS6detail15normal_iteratorINS9_10device_ptrItEEEESE_t11max_functorItEtEEDaPvRmT3_T4_T5_mT6_P12ihipStream_tbENKUlT_T0_E_clISt17integral_constantIbLb1EESU_EEDaSP_SQ_EUlSP_E_NS1_11comp_targetILNS1_3genE10ELNS1_11target_archE1200ELNS1_3gpuE4ELNS1_3repE0EEENS1_30default_config_static_selectorELNS0_4arch9wavefront6targetE1EEEvT1_,@function
_ZN7rocprim17ROCPRIM_400000_NS6detail17trampoline_kernelINS0_14default_configENS1_20scan_config_selectorItEEZZNS1_9scan_implILNS1_25lookback_scan_determinismE0ELb0ELb0ES3_N6thrust23THRUST_200600_302600_NS6detail15normal_iteratorINS9_10device_ptrItEEEESE_t11max_functorItEtEEDaPvRmT3_T4_T5_mT6_P12ihipStream_tbENKUlT_T0_E_clISt17integral_constantIbLb1EESU_EEDaSP_SQ_EUlSP_E_NS1_11comp_targetILNS1_3genE10ELNS1_11target_archE1200ELNS1_3gpuE4ELNS1_3repE0EEENS1_30default_config_static_selectorELNS0_4arch9wavefront6targetE1EEEvT1_: ; @_ZN7rocprim17ROCPRIM_400000_NS6detail17trampoline_kernelINS0_14default_configENS1_20scan_config_selectorItEEZZNS1_9scan_implILNS1_25lookback_scan_determinismE0ELb0ELb0ES3_N6thrust23THRUST_200600_302600_NS6detail15normal_iteratorINS9_10device_ptrItEEEESE_t11max_functorItEtEEDaPvRmT3_T4_T5_mT6_P12ihipStream_tbENKUlT_T0_E_clISt17integral_constantIbLb1EESU_EEDaSP_SQ_EUlSP_E_NS1_11comp_targetILNS1_3genE10ELNS1_11target_archE1200ELNS1_3gpuE4ELNS1_3repE0EEENS1_30default_config_static_selectorELNS0_4arch9wavefront6targetE1EEEvT1_
; %bb.0:
	.section	.rodata,"a",@progbits
	.p2align	6, 0x0
	.amdhsa_kernel _ZN7rocprim17ROCPRIM_400000_NS6detail17trampoline_kernelINS0_14default_configENS1_20scan_config_selectorItEEZZNS1_9scan_implILNS1_25lookback_scan_determinismE0ELb0ELb0ES3_N6thrust23THRUST_200600_302600_NS6detail15normal_iteratorINS9_10device_ptrItEEEESE_t11max_functorItEtEEDaPvRmT3_T4_T5_mT6_P12ihipStream_tbENKUlT_T0_E_clISt17integral_constantIbLb1EESU_EEDaSP_SQ_EUlSP_E_NS1_11comp_targetILNS1_3genE10ELNS1_11target_archE1200ELNS1_3gpuE4ELNS1_3repE0EEENS1_30default_config_static_selectorELNS0_4arch9wavefront6targetE1EEEvT1_
		.amdhsa_group_segment_fixed_size 0
		.amdhsa_private_segment_fixed_size 0
		.amdhsa_kernarg_size 96
		.amdhsa_user_sgpr_count 6
		.amdhsa_user_sgpr_private_segment_buffer 1
		.amdhsa_user_sgpr_dispatch_ptr 0
		.amdhsa_user_sgpr_queue_ptr 0
		.amdhsa_user_sgpr_kernarg_segment_ptr 1
		.amdhsa_user_sgpr_dispatch_id 0
		.amdhsa_user_sgpr_flat_scratch_init 0
		.amdhsa_user_sgpr_kernarg_preload_length 0
		.amdhsa_user_sgpr_kernarg_preload_offset 0
		.amdhsa_user_sgpr_private_segment_size 0
		.amdhsa_uses_dynamic_stack 0
		.amdhsa_system_sgpr_private_segment_wavefront_offset 0
		.amdhsa_system_sgpr_workgroup_id_x 1
		.amdhsa_system_sgpr_workgroup_id_y 0
		.amdhsa_system_sgpr_workgroup_id_z 0
		.amdhsa_system_sgpr_workgroup_info 0
		.amdhsa_system_vgpr_workitem_id 0
		.amdhsa_next_free_vgpr 1
		.amdhsa_next_free_sgpr 0
		.amdhsa_accum_offset 4
		.amdhsa_reserve_vcc 0
		.amdhsa_reserve_flat_scratch 0
		.amdhsa_float_round_mode_32 0
		.amdhsa_float_round_mode_16_64 0
		.amdhsa_float_denorm_mode_32 3
		.amdhsa_float_denorm_mode_16_64 3
		.amdhsa_dx10_clamp 1
		.amdhsa_ieee_mode 1
		.amdhsa_fp16_overflow 0
		.amdhsa_tg_split 0
		.amdhsa_exception_fp_ieee_invalid_op 0
		.amdhsa_exception_fp_denorm_src 0
		.amdhsa_exception_fp_ieee_div_zero 0
		.amdhsa_exception_fp_ieee_overflow 0
		.amdhsa_exception_fp_ieee_underflow 0
		.amdhsa_exception_fp_ieee_inexact 0
		.amdhsa_exception_int_div_zero 0
	.end_amdhsa_kernel
	.section	.text._ZN7rocprim17ROCPRIM_400000_NS6detail17trampoline_kernelINS0_14default_configENS1_20scan_config_selectorItEEZZNS1_9scan_implILNS1_25lookback_scan_determinismE0ELb0ELb0ES3_N6thrust23THRUST_200600_302600_NS6detail15normal_iteratorINS9_10device_ptrItEEEESE_t11max_functorItEtEEDaPvRmT3_T4_T5_mT6_P12ihipStream_tbENKUlT_T0_E_clISt17integral_constantIbLb1EESU_EEDaSP_SQ_EUlSP_E_NS1_11comp_targetILNS1_3genE10ELNS1_11target_archE1200ELNS1_3gpuE4ELNS1_3repE0EEENS1_30default_config_static_selectorELNS0_4arch9wavefront6targetE1EEEvT1_,"axG",@progbits,_ZN7rocprim17ROCPRIM_400000_NS6detail17trampoline_kernelINS0_14default_configENS1_20scan_config_selectorItEEZZNS1_9scan_implILNS1_25lookback_scan_determinismE0ELb0ELb0ES3_N6thrust23THRUST_200600_302600_NS6detail15normal_iteratorINS9_10device_ptrItEEEESE_t11max_functorItEtEEDaPvRmT3_T4_T5_mT6_P12ihipStream_tbENKUlT_T0_E_clISt17integral_constantIbLb1EESU_EEDaSP_SQ_EUlSP_E_NS1_11comp_targetILNS1_3genE10ELNS1_11target_archE1200ELNS1_3gpuE4ELNS1_3repE0EEENS1_30default_config_static_selectorELNS0_4arch9wavefront6targetE1EEEvT1_,comdat
.Lfunc_end2436:
	.size	_ZN7rocprim17ROCPRIM_400000_NS6detail17trampoline_kernelINS0_14default_configENS1_20scan_config_selectorItEEZZNS1_9scan_implILNS1_25lookback_scan_determinismE0ELb0ELb0ES3_N6thrust23THRUST_200600_302600_NS6detail15normal_iteratorINS9_10device_ptrItEEEESE_t11max_functorItEtEEDaPvRmT3_T4_T5_mT6_P12ihipStream_tbENKUlT_T0_E_clISt17integral_constantIbLb1EESU_EEDaSP_SQ_EUlSP_E_NS1_11comp_targetILNS1_3genE10ELNS1_11target_archE1200ELNS1_3gpuE4ELNS1_3repE0EEENS1_30default_config_static_selectorELNS0_4arch9wavefront6targetE1EEEvT1_, .Lfunc_end2436-_ZN7rocprim17ROCPRIM_400000_NS6detail17trampoline_kernelINS0_14default_configENS1_20scan_config_selectorItEEZZNS1_9scan_implILNS1_25lookback_scan_determinismE0ELb0ELb0ES3_N6thrust23THRUST_200600_302600_NS6detail15normal_iteratorINS9_10device_ptrItEEEESE_t11max_functorItEtEEDaPvRmT3_T4_T5_mT6_P12ihipStream_tbENKUlT_T0_E_clISt17integral_constantIbLb1EESU_EEDaSP_SQ_EUlSP_E_NS1_11comp_targetILNS1_3genE10ELNS1_11target_archE1200ELNS1_3gpuE4ELNS1_3repE0EEENS1_30default_config_static_selectorELNS0_4arch9wavefront6targetE1EEEvT1_
                                        ; -- End function
	.section	.AMDGPU.csdata,"",@progbits
; Kernel info:
; codeLenInByte = 0
; NumSgprs: 4
; NumVgprs: 0
; NumAgprs: 0
; TotalNumVgprs: 0
; ScratchSize: 0
; MemoryBound: 0
; FloatMode: 240
; IeeeMode: 1
; LDSByteSize: 0 bytes/workgroup (compile time only)
; SGPRBlocks: 0
; VGPRBlocks: 0
; NumSGPRsForWavesPerEU: 4
; NumVGPRsForWavesPerEU: 1
; AccumOffset: 4
; Occupancy: 8
; WaveLimiterHint : 0
; COMPUTE_PGM_RSRC2:SCRATCH_EN: 0
; COMPUTE_PGM_RSRC2:USER_SGPR: 6
; COMPUTE_PGM_RSRC2:TRAP_HANDLER: 0
; COMPUTE_PGM_RSRC2:TGID_X_EN: 1
; COMPUTE_PGM_RSRC2:TGID_Y_EN: 0
; COMPUTE_PGM_RSRC2:TGID_Z_EN: 0
; COMPUTE_PGM_RSRC2:TIDIG_COMP_CNT: 0
; COMPUTE_PGM_RSRC3_GFX90A:ACCUM_OFFSET: 0
; COMPUTE_PGM_RSRC3_GFX90A:TG_SPLIT: 0
	.section	.text._ZN7rocprim17ROCPRIM_400000_NS6detail17trampoline_kernelINS0_14default_configENS1_20scan_config_selectorItEEZZNS1_9scan_implILNS1_25lookback_scan_determinismE0ELb0ELb0ES3_N6thrust23THRUST_200600_302600_NS6detail15normal_iteratorINS9_10device_ptrItEEEESE_t11max_functorItEtEEDaPvRmT3_T4_T5_mT6_P12ihipStream_tbENKUlT_T0_E_clISt17integral_constantIbLb1EESU_EEDaSP_SQ_EUlSP_E_NS1_11comp_targetILNS1_3genE9ELNS1_11target_archE1100ELNS1_3gpuE3ELNS1_3repE0EEENS1_30default_config_static_selectorELNS0_4arch9wavefront6targetE1EEEvT1_,"axG",@progbits,_ZN7rocprim17ROCPRIM_400000_NS6detail17trampoline_kernelINS0_14default_configENS1_20scan_config_selectorItEEZZNS1_9scan_implILNS1_25lookback_scan_determinismE0ELb0ELb0ES3_N6thrust23THRUST_200600_302600_NS6detail15normal_iteratorINS9_10device_ptrItEEEESE_t11max_functorItEtEEDaPvRmT3_T4_T5_mT6_P12ihipStream_tbENKUlT_T0_E_clISt17integral_constantIbLb1EESU_EEDaSP_SQ_EUlSP_E_NS1_11comp_targetILNS1_3genE9ELNS1_11target_archE1100ELNS1_3gpuE3ELNS1_3repE0EEENS1_30default_config_static_selectorELNS0_4arch9wavefront6targetE1EEEvT1_,comdat
	.protected	_ZN7rocprim17ROCPRIM_400000_NS6detail17trampoline_kernelINS0_14default_configENS1_20scan_config_selectorItEEZZNS1_9scan_implILNS1_25lookback_scan_determinismE0ELb0ELb0ES3_N6thrust23THRUST_200600_302600_NS6detail15normal_iteratorINS9_10device_ptrItEEEESE_t11max_functorItEtEEDaPvRmT3_T4_T5_mT6_P12ihipStream_tbENKUlT_T0_E_clISt17integral_constantIbLb1EESU_EEDaSP_SQ_EUlSP_E_NS1_11comp_targetILNS1_3genE9ELNS1_11target_archE1100ELNS1_3gpuE3ELNS1_3repE0EEENS1_30default_config_static_selectorELNS0_4arch9wavefront6targetE1EEEvT1_ ; -- Begin function _ZN7rocprim17ROCPRIM_400000_NS6detail17trampoline_kernelINS0_14default_configENS1_20scan_config_selectorItEEZZNS1_9scan_implILNS1_25lookback_scan_determinismE0ELb0ELb0ES3_N6thrust23THRUST_200600_302600_NS6detail15normal_iteratorINS9_10device_ptrItEEEESE_t11max_functorItEtEEDaPvRmT3_T4_T5_mT6_P12ihipStream_tbENKUlT_T0_E_clISt17integral_constantIbLb1EESU_EEDaSP_SQ_EUlSP_E_NS1_11comp_targetILNS1_3genE9ELNS1_11target_archE1100ELNS1_3gpuE3ELNS1_3repE0EEENS1_30default_config_static_selectorELNS0_4arch9wavefront6targetE1EEEvT1_
	.globl	_ZN7rocprim17ROCPRIM_400000_NS6detail17trampoline_kernelINS0_14default_configENS1_20scan_config_selectorItEEZZNS1_9scan_implILNS1_25lookback_scan_determinismE0ELb0ELb0ES3_N6thrust23THRUST_200600_302600_NS6detail15normal_iteratorINS9_10device_ptrItEEEESE_t11max_functorItEtEEDaPvRmT3_T4_T5_mT6_P12ihipStream_tbENKUlT_T0_E_clISt17integral_constantIbLb1EESU_EEDaSP_SQ_EUlSP_E_NS1_11comp_targetILNS1_3genE9ELNS1_11target_archE1100ELNS1_3gpuE3ELNS1_3repE0EEENS1_30default_config_static_selectorELNS0_4arch9wavefront6targetE1EEEvT1_
	.p2align	8
	.type	_ZN7rocprim17ROCPRIM_400000_NS6detail17trampoline_kernelINS0_14default_configENS1_20scan_config_selectorItEEZZNS1_9scan_implILNS1_25lookback_scan_determinismE0ELb0ELb0ES3_N6thrust23THRUST_200600_302600_NS6detail15normal_iteratorINS9_10device_ptrItEEEESE_t11max_functorItEtEEDaPvRmT3_T4_T5_mT6_P12ihipStream_tbENKUlT_T0_E_clISt17integral_constantIbLb1EESU_EEDaSP_SQ_EUlSP_E_NS1_11comp_targetILNS1_3genE9ELNS1_11target_archE1100ELNS1_3gpuE3ELNS1_3repE0EEENS1_30default_config_static_selectorELNS0_4arch9wavefront6targetE1EEEvT1_,@function
_ZN7rocprim17ROCPRIM_400000_NS6detail17trampoline_kernelINS0_14default_configENS1_20scan_config_selectorItEEZZNS1_9scan_implILNS1_25lookback_scan_determinismE0ELb0ELb0ES3_N6thrust23THRUST_200600_302600_NS6detail15normal_iteratorINS9_10device_ptrItEEEESE_t11max_functorItEtEEDaPvRmT3_T4_T5_mT6_P12ihipStream_tbENKUlT_T0_E_clISt17integral_constantIbLb1EESU_EEDaSP_SQ_EUlSP_E_NS1_11comp_targetILNS1_3genE9ELNS1_11target_archE1100ELNS1_3gpuE3ELNS1_3repE0EEENS1_30default_config_static_selectorELNS0_4arch9wavefront6targetE1EEEvT1_: ; @_ZN7rocprim17ROCPRIM_400000_NS6detail17trampoline_kernelINS0_14default_configENS1_20scan_config_selectorItEEZZNS1_9scan_implILNS1_25lookback_scan_determinismE0ELb0ELb0ES3_N6thrust23THRUST_200600_302600_NS6detail15normal_iteratorINS9_10device_ptrItEEEESE_t11max_functorItEtEEDaPvRmT3_T4_T5_mT6_P12ihipStream_tbENKUlT_T0_E_clISt17integral_constantIbLb1EESU_EEDaSP_SQ_EUlSP_E_NS1_11comp_targetILNS1_3genE9ELNS1_11target_archE1100ELNS1_3gpuE3ELNS1_3repE0EEENS1_30default_config_static_selectorELNS0_4arch9wavefront6targetE1EEEvT1_
; %bb.0:
	.section	.rodata,"a",@progbits
	.p2align	6, 0x0
	.amdhsa_kernel _ZN7rocprim17ROCPRIM_400000_NS6detail17trampoline_kernelINS0_14default_configENS1_20scan_config_selectorItEEZZNS1_9scan_implILNS1_25lookback_scan_determinismE0ELb0ELb0ES3_N6thrust23THRUST_200600_302600_NS6detail15normal_iteratorINS9_10device_ptrItEEEESE_t11max_functorItEtEEDaPvRmT3_T4_T5_mT6_P12ihipStream_tbENKUlT_T0_E_clISt17integral_constantIbLb1EESU_EEDaSP_SQ_EUlSP_E_NS1_11comp_targetILNS1_3genE9ELNS1_11target_archE1100ELNS1_3gpuE3ELNS1_3repE0EEENS1_30default_config_static_selectorELNS0_4arch9wavefront6targetE1EEEvT1_
		.amdhsa_group_segment_fixed_size 0
		.amdhsa_private_segment_fixed_size 0
		.amdhsa_kernarg_size 96
		.amdhsa_user_sgpr_count 6
		.amdhsa_user_sgpr_private_segment_buffer 1
		.amdhsa_user_sgpr_dispatch_ptr 0
		.amdhsa_user_sgpr_queue_ptr 0
		.amdhsa_user_sgpr_kernarg_segment_ptr 1
		.amdhsa_user_sgpr_dispatch_id 0
		.amdhsa_user_sgpr_flat_scratch_init 0
		.amdhsa_user_sgpr_kernarg_preload_length 0
		.amdhsa_user_sgpr_kernarg_preload_offset 0
		.amdhsa_user_sgpr_private_segment_size 0
		.amdhsa_uses_dynamic_stack 0
		.amdhsa_system_sgpr_private_segment_wavefront_offset 0
		.amdhsa_system_sgpr_workgroup_id_x 1
		.amdhsa_system_sgpr_workgroup_id_y 0
		.amdhsa_system_sgpr_workgroup_id_z 0
		.amdhsa_system_sgpr_workgroup_info 0
		.amdhsa_system_vgpr_workitem_id 0
		.amdhsa_next_free_vgpr 1
		.amdhsa_next_free_sgpr 0
		.amdhsa_accum_offset 4
		.amdhsa_reserve_vcc 0
		.amdhsa_reserve_flat_scratch 0
		.amdhsa_float_round_mode_32 0
		.amdhsa_float_round_mode_16_64 0
		.amdhsa_float_denorm_mode_32 3
		.amdhsa_float_denorm_mode_16_64 3
		.amdhsa_dx10_clamp 1
		.amdhsa_ieee_mode 1
		.amdhsa_fp16_overflow 0
		.amdhsa_tg_split 0
		.amdhsa_exception_fp_ieee_invalid_op 0
		.amdhsa_exception_fp_denorm_src 0
		.amdhsa_exception_fp_ieee_div_zero 0
		.amdhsa_exception_fp_ieee_overflow 0
		.amdhsa_exception_fp_ieee_underflow 0
		.amdhsa_exception_fp_ieee_inexact 0
		.amdhsa_exception_int_div_zero 0
	.end_amdhsa_kernel
	.section	.text._ZN7rocprim17ROCPRIM_400000_NS6detail17trampoline_kernelINS0_14default_configENS1_20scan_config_selectorItEEZZNS1_9scan_implILNS1_25lookback_scan_determinismE0ELb0ELb0ES3_N6thrust23THRUST_200600_302600_NS6detail15normal_iteratorINS9_10device_ptrItEEEESE_t11max_functorItEtEEDaPvRmT3_T4_T5_mT6_P12ihipStream_tbENKUlT_T0_E_clISt17integral_constantIbLb1EESU_EEDaSP_SQ_EUlSP_E_NS1_11comp_targetILNS1_3genE9ELNS1_11target_archE1100ELNS1_3gpuE3ELNS1_3repE0EEENS1_30default_config_static_selectorELNS0_4arch9wavefront6targetE1EEEvT1_,"axG",@progbits,_ZN7rocprim17ROCPRIM_400000_NS6detail17trampoline_kernelINS0_14default_configENS1_20scan_config_selectorItEEZZNS1_9scan_implILNS1_25lookback_scan_determinismE0ELb0ELb0ES3_N6thrust23THRUST_200600_302600_NS6detail15normal_iteratorINS9_10device_ptrItEEEESE_t11max_functorItEtEEDaPvRmT3_T4_T5_mT6_P12ihipStream_tbENKUlT_T0_E_clISt17integral_constantIbLb1EESU_EEDaSP_SQ_EUlSP_E_NS1_11comp_targetILNS1_3genE9ELNS1_11target_archE1100ELNS1_3gpuE3ELNS1_3repE0EEENS1_30default_config_static_selectorELNS0_4arch9wavefront6targetE1EEEvT1_,comdat
.Lfunc_end2437:
	.size	_ZN7rocprim17ROCPRIM_400000_NS6detail17trampoline_kernelINS0_14default_configENS1_20scan_config_selectorItEEZZNS1_9scan_implILNS1_25lookback_scan_determinismE0ELb0ELb0ES3_N6thrust23THRUST_200600_302600_NS6detail15normal_iteratorINS9_10device_ptrItEEEESE_t11max_functorItEtEEDaPvRmT3_T4_T5_mT6_P12ihipStream_tbENKUlT_T0_E_clISt17integral_constantIbLb1EESU_EEDaSP_SQ_EUlSP_E_NS1_11comp_targetILNS1_3genE9ELNS1_11target_archE1100ELNS1_3gpuE3ELNS1_3repE0EEENS1_30default_config_static_selectorELNS0_4arch9wavefront6targetE1EEEvT1_, .Lfunc_end2437-_ZN7rocprim17ROCPRIM_400000_NS6detail17trampoline_kernelINS0_14default_configENS1_20scan_config_selectorItEEZZNS1_9scan_implILNS1_25lookback_scan_determinismE0ELb0ELb0ES3_N6thrust23THRUST_200600_302600_NS6detail15normal_iteratorINS9_10device_ptrItEEEESE_t11max_functorItEtEEDaPvRmT3_T4_T5_mT6_P12ihipStream_tbENKUlT_T0_E_clISt17integral_constantIbLb1EESU_EEDaSP_SQ_EUlSP_E_NS1_11comp_targetILNS1_3genE9ELNS1_11target_archE1100ELNS1_3gpuE3ELNS1_3repE0EEENS1_30default_config_static_selectorELNS0_4arch9wavefront6targetE1EEEvT1_
                                        ; -- End function
	.section	.AMDGPU.csdata,"",@progbits
; Kernel info:
; codeLenInByte = 0
; NumSgprs: 4
; NumVgprs: 0
; NumAgprs: 0
; TotalNumVgprs: 0
; ScratchSize: 0
; MemoryBound: 0
; FloatMode: 240
; IeeeMode: 1
; LDSByteSize: 0 bytes/workgroup (compile time only)
; SGPRBlocks: 0
; VGPRBlocks: 0
; NumSGPRsForWavesPerEU: 4
; NumVGPRsForWavesPerEU: 1
; AccumOffset: 4
; Occupancy: 8
; WaveLimiterHint : 0
; COMPUTE_PGM_RSRC2:SCRATCH_EN: 0
; COMPUTE_PGM_RSRC2:USER_SGPR: 6
; COMPUTE_PGM_RSRC2:TRAP_HANDLER: 0
; COMPUTE_PGM_RSRC2:TGID_X_EN: 1
; COMPUTE_PGM_RSRC2:TGID_Y_EN: 0
; COMPUTE_PGM_RSRC2:TGID_Z_EN: 0
; COMPUTE_PGM_RSRC2:TIDIG_COMP_CNT: 0
; COMPUTE_PGM_RSRC3_GFX90A:ACCUM_OFFSET: 0
; COMPUTE_PGM_RSRC3_GFX90A:TG_SPLIT: 0
	.section	.text._ZN7rocprim17ROCPRIM_400000_NS6detail17trampoline_kernelINS0_14default_configENS1_20scan_config_selectorItEEZZNS1_9scan_implILNS1_25lookback_scan_determinismE0ELb0ELb0ES3_N6thrust23THRUST_200600_302600_NS6detail15normal_iteratorINS9_10device_ptrItEEEESE_t11max_functorItEtEEDaPvRmT3_T4_T5_mT6_P12ihipStream_tbENKUlT_T0_E_clISt17integral_constantIbLb1EESU_EEDaSP_SQ_EUlSP_E_NS1_11comp_targetILNS1_3genE8ELNS1_11target_archE1030ELNS1_3gpuE2ELNS1_3repE0EEENS1_30default_config_static_selectorELNS0_4arch9wavefront6targetE1EEEvT1_,"axG",@progbits,_ZN7rocprim17ROCPRIM_400000_NS6detail17trampoline_kernelINS0_14default_configENS1_20scan_config_selectorItEEZZNS1_9scan_implILNS1_25lookback_scan_determinismE0ELb0ELb0ES3_N6thrust23THRUST_200600_302600_NS6detail15normal_iteratorINS9_10device_ptrItEEEESE_t11max_functorItEtEEDaPvRmT3_T4_T5_mT6_P12ihipStream_tbENKUlT_T0_E_clISt17integral_constantIbLb1EESU_EEDaSP_SQ_EUlSP_E_NS1_11comp_targetILNS1_3genE8ELNS1_11target_archE1030ELNS1_3gpuE2ELNS1_3repE0EEENS1_30default_config_static_selectorELNS0_4arch9wavefront6targetE1EEEvT1_,comdat
	.protected	_ZN7rocprim17ROCPRIM_400000_NS6detail17trampoline_kernelINS0_14default_configENS1_20scan_config_selectorItEEZZNS1_9scan_implILNS1_25lookback_scan_determinismE0ELb0ELb0ES3_N6thrust23THRUST_200600_302600_NS6detail15normal_iteratorINS9_10device_ptrItEEEESE_t11max_functorItEtEEDaPvRmT3_T4_T5_mT6_P12ihipStream_tbENKUlT_T0_E_clISt17integral_constantIbLb1EESU_EEDaSP_SQ_EUlSP_E_NS1_11comp_targetILNS1_3genE8ELNS1_11target_archE1030ELNS1_3gpuE2ELNS1_3repE0EEENS1_30default_config_static_selectorELNS0_4arch9wavefront6targetE1EEEvT1_ ; -- Begin function _ZN7rocprim17ROCPRIM_400000_NS6detail17trampoline_kernelINS0_14default_configENS1_20scan_config_selectorItEEZZNS1_9scan_implILNS1_25lookback_scan_determinismE0ELb0ELb0ES3_N6thrust23THRUST_200600_302600_NS6detail15normal_iteratorINS9_10device_ptrItEEEESE_t11max_functorItEtEEDaPvRmT3_T4_T5_mT6_P12ihipStream_tbENKUlT_T0_E_clISt17integral_constantIbLb1EESU_EEDaSP_SQ_EUlSP_E_NS1_11comp_targetILNS1_3genE8ELNS1_11target_archE1030ELNS1_3gpuE2ELNS1_3repE0EEENS1_30default_config_static_selectorELNS0_4arch9wavefront6targetE1EEEvT1_
	.globl	_ZN7rocprim17ROCPRIM_400000_NS6detail17trampoline_kernelINS0_14default_configENS1_20scan_config_selectorItEEZZNS1_9scan_implILNS1_25lookback_scan_determinismE0ELb0ELb0ES3_N6thrust23THRUST_200600_302600_NS6detail15normal_iteratorINS9_10device_ptrItEEEESE_t11max_functorItEtEEDaPvRmT3_T4_T5_mT6_P12ihipStream_tbENKUlT_T0_E_clISt17integral_constantIbLb1EESU_EEDaSP_SQ_EUlSP_E_NS1_11comp_targetILNS1_3genE8ELNS1_11target_archE1030ELNS1_3gpuE2ELNS1_3repE0EEENS1_30default_config_static_selectorELNS0_4arch9wavefront6targetE1EEEvT1_
	.p2align	8
	.type	_ZN7rocprim17ROCPRIM_400000_NS6detail17trampoline_kernelINS0_14default_configENS1_20scan_config_selectorItEEZZNS1_9scan_implILNS1_25lookback_scan_determinismE0ELb0ELb0ES3_N6thrust23THRUST_200600_302600_NS6detail15normal_iteratorINS9_10device_ptrItEEEESE_t11max_functorItEtEEDaPvRmT3_T4_T5_mT6_P12ihipStream_tbENKUlT_T0_E_clISt17integral_constantIbLb1EESU_EEDaSP_SQ_EUlSP_E_NS1_11comp_targetILNS1_3genE8ELNS1_11target_archE1030ELNS1_3gpuE2ELNS1_3repE0EEENS1_30default_config_static_selectorELNS0_4arch9wavefront6targetE1EEEvT1_,@function
_ZN7rocprim17ROCPRIM_400000_NS6detail17trampoline_kernelINS0_14default_configENS1_20scan_config_selectorItEEZZNS1_9scan_implILNS1_25lookback_scan_determinismE0ELb0ELb0ES3_N6thrust23THRUST_200600_302600_NS6detail15normal_iteratorINS9_10device_ptrItEEEESE_t11max_functorItEtEEDaPvRmT3_T4_T5_mT6_P12ihipStream_tbENKUlT_T0_E_clISt17integral_constantIbLb1EESU_EEDaSP_SQ_EUlSP_E_NS1_11comp_targetILNS1_3genE8ELNS1_11target_archE1030ELNS1_3gpuE2ELNS1_3repE0EEENS1_30default_config_static_selectorELNS0_4arch9wavefront6targetE1EEEvT1_: ; @_ZN7rocprim17ROCPRIM_400000_NS6detail17trampoline_kernelINS0_14default_configENS1_20scan_config_selectorItEEZZNS1_9scan_implILNS1_25lookback_scan_determinismE0ELb0ELb0ES3_N6thrust23THRUST_200600_302600_NS6detail15normal_iteratorINS9_10device_ptrItEEEESE_t11max_functorItEtEEDaPvRmT3_T4_T5_mT6_P12ihipStream_tbENKUlT_T0_E_clISt17integral_constantIbLb1EESU_EEDaSP_SQ_EUlSP_E_NS1_11comp_targetILNS1_3genE8ELNS1_11target_archE1030ELNS1_3gpuE2ELNS1_3repE0EEENS1_30default_config_static_selectorELNS0_4arch9wavefront6targetE1EEEvT1_
; %bb.0:
	.section	.rodata,"a",@progbits
	.p2align	6, 0x0
	.amdhsa_kernel _ZN7rocprim17ROCPRIM_400000_NS6detail17trampoline_kernelINS0_14default_configENS1_20scan_config_selectorItEEZZNS1_9scan_implILNS1_25lookback_scan_determinismE0ELb0ELb0ES3_N6thrust23THRUST_200600_302600_NS6detail15normal_iteratorINS9_10device_ptrItEEEESE_t11max_functorItEtEEDaPvRmT3_T4_T5_mT6_P12ihipStream_tbENKUlT_T0_E_clISt17integral_constantIbLb1EESU_EEDaSP_SQ_EUlSP_E_NS1_11comp_targetILNS1_3genE8ELNS1_11target_archE1030ELNS1_3gpuE2ELNS1_3repE0EEENS1_30default_config_static_selectorELNS0_4arch9wavefront6targetE1EEEvT1_
		.amdhsa_group_segment_fixed_size 0
		.amdhsa_private_segment_fixed_size 0
		.amdhsa_kernarg_size 96
		.amdhsa_user_sgpr_count 6
		.amdhsa_user_sgpr_private_segment_buffer 1
		.amdhsa_user_sgpr_dispatch_ptr 0
		.amdhsa_user_sgpr_queue_ptr 0
		.amdhsa_user_sgpr_kernarg_segment_ptr 1
		.amdhsa_user_sgpr_dispatch_id 0
		.amdhsa_user_sgpr_flat_scratch_init 0
		.amdhsa_user_sgpr_kernarg_preload_length 0
		.amdhsa_user_sgpr_kernarg_preload_offset 0
		.amdhsa_user_sgpr_private_segment_size 0
		.amdhsa_uses_dynamic_stack 0
		.amdhsa_system_sgpr_private_segment_wavefront_offset 0
		.amdhsa_system_sgpr_workgroup_id_x 1
		.amdhsa_system_sgpr_workgroup_id_y 0
		.amdhsa_system_sgpr_workgroup_id_z 0
		.amdhsa_system_sgpr_workgroup_info 0
		.amdhsa_system_vgpr_workitem_id 0
		.amdhsa_next_free_vgpr 1
		.amdhsa_next_free_sgpr 0
		.amdhsa_accum_offset 4
		.amdhsa_reserve_vcc 0
		.amdhsa_reserve_flat_scratch 0
		.amdhsa_float_round_mode_32 0
		.amdhsa_float_round_mode_16_64 0
		.amdhsa_float_denorm_mode_32 3
		.amdhsa_float_denorm_mode_16_64 3
		.amdhsa_dx10_clamp 1
		.amdhsa_ieee_mode 1
		.amdhsa_fp16_overflow 0
		.amdhsa_tg_split 0
		.amdhsa_exception_fp_ieee_invalid_op 0
		.amdhsa_exception_fp_denorm_src 0
		.amdhsa_exception_fp_ieee_div_zero 0
		.amdhsa_exception_fp_ieee_overflow 0
		.amdhsa_exception_fp_ieee_underflow 0
		.amdhsa_exception_fp_ieee_inexact 0
		.amdhsa_exception_int_div_zero 0
	.end_amdhsa_kernel
	.section	.text._ZN7rocprim17ROCPRIM_400000_NS6detail17trampoline_kernelINS0_14default_configENS1_20scan_config_selectorItEEZZNS1_9scan_implILNS1_25lookback_scan_determinismE0ELb0ELb0ES3_N6thrust23THRUST_200600_302600_NS6detail15normal_iteratorINS9_10device_ptrItEEEESE_t11max_functorItEtEEDaPvRmT3_T4_T5_mT6_P12ihipStream_tbENKUlT_T0_E_clISt17integral_constantIbLb1EESU_EEDaSP_SQ_EUlSP_E_NS1_11comp_targetILNS1_3genE8ELNS1_11target_archE1030ELNS1_3gpuE2ELNS1_3repE0EEENS1_30default_config_static_selectorELNS0_4arch9wavefront6targetE1EEEvT1_,"axG",@progbits,_ZN7rocprim17ROCPRIM_400000_NS6detail17trampoline_kernelINS0_14default_configENS1_20scan_config_selectorItEEZZNS1_9scan_implILNS1_25lookback_scan_determinismE0ELb0ELb0ES3_N6thrust23THRUST_200600_302600_NS6detail15normal_iteratorINS9_10device_ptrItEEEESE_t11max_functorItEtEEDaPvRmT3_T4_T5_mT6_P12ihipStream_tbENKUlT_T0_E_clISt17integral_constantIbLb1EESU_EEDaSP_SQ_EUlSP_E_NS1_11comp_targetILNS1_3genE8ELNS1_11target_archE1030ELNS1_3gpuE2ELNS1_3repE0EEENS1_30default_config_static_selectorELNS0_4arch9wavefront6targetE1EEEvT1_,comdat
.Lfunc_end2438:
	.size	_ZN7rocprim17ROCPRIM_400000_NS6detail17trampoline_kernelINS0_14default_configENS1_20scan_config_selectorItEEZZNS1_9scan_implILNS1_25lookback_scan_determinismE0ELb0ELb0ES3_N6thrust23THRUST_200600_302600_NS6detail15normal_iteratorINS9_10device_ptrItEEEESE_t11max_functorItEtEEDaPvRmT3_T4_T5_mT6_P12ihipStream_tbENKUlT_T0_E_clISt17integral_constantIbLb1EESU_EEDaSP_SQ_EUlSP_E_NS1_11comp_targetILNS1_3genE8ELNS1_11target_archE1030ELNS1_3gpuE2ELNS1_3repE0EEENS1_30default_config_static_selectorELNS0_4arch9wavefront6targetE1EEEvT1_, .Lfunc_end2438-_ZN7rocprim17ROCPRIM_400000_NS6detail17trampoline_kernelINS0_14default_configENS1_20scan_config_selectorItEEZZNS1_9scan_implILNS1_25lookback_scan_determinismE0ELb0ELb0ES3_N6thrust23THRUST_200600_302600_NS6detail15normal_iteratorINS9_10device_ptrItEEEESE_t11max_functorItEtEEDaPvRmT3_T4_T5_mT6_P12ihipStream_tbENKUlT_T0_E_clISt17integral_constantIbLb1EESU_EEDaSP_SQ_EUlSP_E_NS1_11comp_targetILNS1_3genE8ELNS1_11target_archE1030ELNS1_3gpuE2ELNS1_3repE0EEENS1_30default_config_static_selectorELNS0_4arch9wavefront6targetE1EEEvT1_
                                        ; -- End function
	.section	.AMDGPU.csdata,"",@progbits
; Kernel info:
; codeLenInByte = 0
; NumSgprs: 4
; NumVgprs: 0
; NumAgprs: 0
; TotalNumVgprs: 0
; ScratchSize: 0
; MemoryBound: 0
; FloatMode: 240
; IeeeMode: 1
; LDSByteSize: 0 bytes/workgroup (compile time only)
; SGPRBlocks: 0
; VGPRBlocks: 0
; NumSGPRsForWavesPerEU: 4
; NumVGPRsForWavesPerEU: 1
; AccumOffset: 4
; Occupancy: 8
; WaveLimiterHint : 0
; COMPUTE_PGM_RSRC2:SCRATCH_EN: 0
; COMPUTE_PGM_RSRC2:USER_SGPR: 6
; COMPUTE_PGM_RSRC2:TRAP_HANDLER: 0
; COMPUTE_PGM_RSRC2:TGID_X_EN: 1
; COMPUTE_PGM_RSRC2:TGID_Y_EN: 0
; COMPUTE_PGM_RSRC2:TGID_Z_EN: 0
; COMPUTE_PGM_RSRC2:TIDIG_COMP_CNT: 0
; COMPUTE_PGM_RSRC3_GFX90A:ACCUM_OFFSET: 0
; COMPUTE_PGM_RSRC3_GFX90A:TG_SPLIT: 0
	.section	.text._ZN7rocprim17ROCPRIM_400000_NS6detail17trampoline_kernelINS0_14default_configENS1_20scan_config_selectorItEEZZNS1_9scan_implILNS1_25lookback_scan_determinismE0ELb0ELb0ES3_N6thrust23THRUST_200600_302600_NS6detail15normal_iteratorINS9_10device_ptrItEEEESE_t11max_functorItEtEEDaPvRmT3_T4_T5_mT6_P12ihipStream_tbENKUlT_T0_E_clISt17integral_constantIbLb1EESU_EEDaSP_SQ_EUlSP_E0_NS1_11comp_targetILNS1_3genE0ELNS1_11target_archE4294967295ELNS1_3gpuE0ELNS1_3repE0EEENS1_30default_config_static_selectorELNS0_4arch9wavefront6targetE1EEEvT1_,"axG",@progbits,_ZN7rocprim17ROCPRIM_400000_NS6detail17trampoline_kernelINS0_14default_configENS1_20scan_config_selectorItEEZZNS1_9scan_implILNS1_25lookback_scan_determinismE0ELb0ELb0ES3_N6thrust23THRUST_200600_302600_NS6detail15normal_iteratorINS9_10device_ptrItEEEESE_t11max_functorItEtEEDaPvRmT3_T4_T5_mT6_P12ihipStream_tbENKUlT_T0_E_clISt17integral_constantIbLb1EESU_EEDaSP_SQ_EUlSP_E0_NS1_11comp_targetILNS1_3genE0ELNS1_11target_archE4294967295ELNS1_3gpuE0ELNS1_3repE0EEENS1_30default_config_static_selectorELNS0_4arch9wavefront6targetE1EEEvT1_,comdat
	.protected	_ZN7rocprim17ROCPRIM_400000_NS6detail17trampoline_kernelINS0_14default_configENS1_20scan_config_selectorItEEZZNS1_9scan_implILNS1_25lookback_scan_determinismE0ELb0ELb0ES3_N6thrust23THRUST_200600_302600_NS6detail15normal_iteratorINS9_10device_ptrItEEEESE_t11max_functorItEtEEDaPvRmT3_T4_T5_mT6_P12ihipStream_tbENKUlT_T0_E_clISt17integral_constantIbLb1EESU_EEDaSP_SQ_EUlSP_E0_NS1_11comp_targetILNS1_3genE0ELNS1_11target_archE4294967295ELNS1_3gpuE0ELNS1_3repE0EEENS1_30default_config_static_selectorELNS0_4arch9wavefront6targetE1EEEvT1_ ; -- Begin function _ZN7rocprim17ROCPRIM_400000_NS6detail17trampoline_kernelINS0_14default_configENS1_20scan_config_selectorItEEZZNS1_9scan_implILNS1_25lookback_scan_determinismE0ELb0ELb0ES3_N6thrust23THRUST_200600_302600_NS6detail15normal_iteratorINS9_10device_ptrItEEEESE_t11max_functorItEtEEDaPvRmT3_T4_T5_mT6_P12ihipStream_tbENKUlT_T0_E_clISt17integral_constantIbLb1EESU_EEDaSP_SQ_EUlSP_E0_NS1_11comp_targetILNS1_3genE0ELNS1_11target_archE4294967295ELNS1_3gpuE0ELNS1_3repE0EEENS1_30default_config_static_selectorELNS0_4arch9wavefront6targetE1EEEvT1_
	.globl	_ZN7rocprim17ROCPRIM_400000_NS6detail17trampoline_kernelINS0_14default_configENS1_20scan_config_selectorItEEZZNS1_9scan_implILNS1_25lookback_scan_determinismE0ELb0ELb0ES3_N6thrust23THRUST_200600_302600_NS6detail15normal_iteratorINS9_10device_ptrItEEEESE_t11max_functorItEtEEDaPvRmT3_T4_T5_mT6_P12ihipStream_tbENKUlT_T0_E_clISt17integral_constantIbLb1EESU_EEDaSP_SQ_EUlSP_E0_NS1_11comp_targetILNS1_3genE0ELNS1_11target_archE4294967295ELNS1_3gpuE0ELNS1_3repE0EEENS1_30default_config_static_selectorELNS0_4arch9wavefront6targetE1EEEvT1_
	.p2align	8
	.type	_ZN7rocprim17ROCPRIM_400000_NS6detail17trampoline_kernelINS0_14default_configENS1_20scan_config_selectorItEEZZNS1_9scan_implILNS1_25lookback_scan_determinismE0ELb0ELb0ES3_N6thrust23THRUST_200600_302600_NS6detail15normal_iteratorINS9_10device_ptrItEEEESE_t11max_functorItEtEEDaPvRmT3_T4_T5_mT6_P12ihipStream_tbENKUlT_T0_E_clISt17integral_constantIbLb1EESU_EEDaSP_SQ_EUlSP_E0_NS1_11comp_targetILNS1_3genE0ELNS1_11target_archE4294967295ELNS1_3gpuE0ELNS1_3repE0EEENS1_30default_config_static_selectorELNS0_4arch9wavefront6targetE1EEEvT1_,@function
_ZN7rocprim17ROCPRIM_400000_NS6detail17trampoline_kernelINS0_14default_configENS1_20scan_config_selectorItEEZZNS1_9scan_implILNS1_25lookback_scan_determinismE0ELb0ELb0ES3_N6thrust23THRUST_200600_302600_NS6detail15normal_iteratorINS9_10device_ptrItEEEESE_t11max_functorItEtEEDaPvRmT3_T4_T5_mT6_P12ihipStream_tbENKUlT_T0_E_clISt17integral_constantIbLb1EESU_EEDaSP_SQ_EUlSP_E0_NS1_11comp_targetILNS1_3genE0ELNS1_11target_archE4294967295ELNS1_3gpuE0ELNS1_3repE0EEENS1_30default_config_static_selectorELNS0_4arch9wavefront6targetE1EEEvT1_: ; @_ZN7rocprim17ROCPRIM_400000_NS6detail17trampoline_kernelINS0_14default_configENS1_20scan_config_selectorItEEZZNS1_9scan_implILNS1_25lookback_scan_determinismE0ELb0ELb0ES3_N6thrust23THRUST_200600_302600_NS6detail15normal_iteratorINS9_10device_ptrItEEEESE_t11max_functorItEtEEDaPvRmT3_T4_T5_mT6_P12ihipStream_tbENKUlT_T0_E_clISt17integral_constantIbLb1EESU_EEDaSP_SQ_EUlSP_E0_NS1_11comp_targetILNS1_3genE0ELNS1_11target_archE4294967295ELNS1_3gpuE0ELNS1_3repE0EEENS1_30default_config_static_selectorELNS0_4arch9wavefront6targetE1EEEvT1_
; %bb.0:
	.section	.rodata,"a",@progbits
	.p2align	6, 0x0
	.amdhsa_kernel _ZN7rocprim17ROCPRIM_400000_NS6detail17trampoline_kernelINS0_14default_configENS1_20scan_config_selectorItEEZZNS1_9scan_implILNS1_25lookback_scan_determinismE0ELb0ELb0ES3_N6thrust23THRUST_200600_302600_NS6detail15normal_iteratorINS9_10device_ptrItEEEESE_t11max_functorItEtEEDaPvRmT3_T4_T5_mT6_P12ihipStream_tbENKUlT_T0_E_clISt17integral_constantIbLb1EESU_EEDaSP_SQ_EUlSP_E0_NS1_11comp_targetILNS1_3genE0ELNS1_11target_archE4294967295ELNS1_3gpuE0ELNS1_3repE0EEENS1_30default_config_static_selectorELNS0_4arch9wavefront6targetE1EEEvT1_
		.amdhsa_group_segment_fixed_size 0
		.amdhsa_private_segment_fixed_size 0
		.amdhsa_kernarg_size 32
		.amdhsa_user_sgpr_count 6
		.amdhsa_user_sgpr_private_segment_buffer 1
		.amdhsa_user_sgpr_dispatch_ptr 0
		.amdhsa_user_sgpr_queue_ptr 0
		.amdhsa_user_sgpr_kernarg_segment_ptr 1
		.amdhsa_user_sgpr_dispatch_id 0
		.amdhsa_user_sgpr_flat_scratch_init 0
		.amdhsa_user_sgpr_kernarg_preload_length 0
		.amdhsa_user_sgpr_kernarg_preload_offset 0
		.amdhsa_user_sgpr_private_segment_size 0
		.amdhsa_uses_dynamic_stack 0
		.amdhsa_system_sgpr_private_segment_wavefront_offset 0
		.amdhsa_system_sgpr_workgroup_id_x 1
		.amdhsa_system_sgpr_workgroup_id_y 0
		.amdhsa_system_sgpr_workgroup_id_z 0
		.amdhsa_system_sgpr_workgroup_info 0
		.amdhsa_system_vgpr_workitem_id 0
		.amdhsa_next_free_vgpr 1
		.amdhsa_next_free_sgpr 0
		.amdhsa_accum_offset 4
		.amdhsa_reserve_vcc 0
		.amdhsa_reserve_flat_scratch 0
		.amdhsa_float_round_mode_32 0
		.amdhsa_float_round_mode_16_64 0
		.amdhsa_float_denorm_mode_32 3
		.amdhsa_float_denorm_mode_16_64 3
		.amdhsa_dx10_clamp 1
		.amdhsa_ieee_mode 1
		.amdhsa_fp16_overflow 0
		.amdhsa_tg_split 0
		.amdhsa_exception_fp_ieee_invalid_op 0
		.amdhsa_exception_fp_denorm_src 0
		.amdhsa_exception_fp_ieee_div_zero 0
		.amdhsa_exception_fp_ieee_overflow 0
		.amdhsa_exception_fp_ieee_underflow 0
		.amdhsa_exception_fp_ieee_inexact 0
		.amdhsa_exception_int_div_zero 0
	.end_amdhsa_kernel
	.section	.text._ZN7rocprim17ROCPRIM_400000_NS6detail17trampoline_kernelINS0_14default_configENS1_20scan_config_selectorItEEZZNS1_9scan_implILNS1_25lookback_scan_determinismE0ELb0ELb0ES3_N6thrust23THRUST_200600_302600_NS6detail15normal_iteratorINS9_10device_ptrItEEEESE_t11max_functorItEtEEDaPvRmT3_T4_T5_mT6_P12ihipStream_tbENKUlT_T0_E_clISt17integral_constantIbLb1EESU_EEDaSP_SQ_EUlSP_E0_NS1_11comp_targetILNS1_3genE0ELNS1_11target_archE4294967295ELNS1_3gpuE0ELNS1_3repE0EEENS1_30default_config_static_selectorELNS0_4arch9wavefront6targetE1EEEvT1_,"axG",@progbits,_ZN7rocprim17ROCPRIM_400000_NS6detail17trampoline_kernelINS0_14default_configENS1_20scan_config_selectorItEEZZNS1_9scan_implILNS1_25lookback_scan_determinismE0ELb0ELb0ES3_N6thrust23THRUST_200600_302600_NS6detail15normal_iteratorINS9_10device_ptrItEEEESE_t11max_functorItEtEEDaPvRmT3_T4_T5_mT6_P12ihipStream_tbENKUlT_T0_E_clISt17integral_constantIbLb1EESU_EEDaSP_SQ_EUlSP_E0_NS1_11comp_targetILNS1_3genE0ELNS1_11target_archE4294967295ELNS1_3gpuE0ELNS1_3repE0EEENS1_30default_config_static_selectorELNS0_4arch9wavefront6targetE1EEEvT1_,comdat
.Lfunc_end2439:
	.size	_ZN7rocprim17ROCPRIM_400000_NS6detail17trampoline_kernelINS0_14default_configENS1_20scan_config_selectorItEEZZNS1_9scan_implILNS1_25lookback_scan_determinismE0ELb0ELb0ES3_N6thrust23THRUST_200600_302600_NS6detail15normal_iteratorINS9_10device_ptrItEEEESE_t11max_functorItEtEEDaPvRmT3_T4_T5_mT6_P12ihipStream_tbENKUlT_T0_E_clISt17integral_constantIbLb1EESU_EEDaSP_SQ_EUlSP_E0_NS1_11comp_targetILNS1_3genE0ELNS1_11target_archE4294967295ELNS1_3gpuE0ELNS1_3repE0EEENS1_30default_config_static_selectorELNS0_4arch9wavefront6targetE1EEEvT1_, .Lfunc_end2439-_ZN7rocprim17ROCPRIM_400000_NS6detail17trampoline_kernelINS0_14default_configENS1_20scan_config_selectorItEEZZNS1_9scan_implILNS1_25lookback_scan_determinismE0ELb0ELb0ES3_N6thrust23THRUST_200600_302600_NS6detail15normal_iteratorINS9_10device_ptrItEEEESE_t11max_functorItEtEEDaPvRmT3_T4_T5_mT6_P12ihipStream_tbENKUlT_T0_E_clISt17integral_constantIbLb1EESU_EEDaSP_SQ_EUlSP_E0_NS1_11comp_targetILNS1_3genE0ELNS1_11target_archE4294967295ELNS1_3gpuE0ELNS1_3repE0EEENS1_30default_config_static_selectorELNS0_4arch9wavefront6targetE1EEEvT1_
                                        ; -- End function
	.section	.AMDGPU.csdata,"",@progbits
; Kernel info:
; codeLenInByte = 0
; NumSgprs: 4
; NumVgprs: 0
; NumAgprs: 0
; TotalNumVgprs: 0
; ScratchSize: 0
; MemoryBound: 0
; FloatMode: 240
; IeeeMode: 1
; LDSByteSize: 0 bytes/workgroup (compile time only)
; SGPRBlocks: 0
; VGPRBlocks: 0
; NumSGPRsForWavesPerEU: 4
; NumVGPRsForWavesPerEU: 1
; AccumOffset: 4
; Occupancy: 8
; WaveLimiterHint : 0
; COMPUTE_PGM_RSRC2:SCRATCH_EN: 0
; COMPUTE_PGM_RSRC2:USER_SGPR: 6
; COMPUTE_PGM_RSRC2:TRAP_HANDLER: 0
; COMPUTE_PGM_RSRC2:TGID_X_EN: 1
; COMPUTE_PGM_RSRC2:TGID_Y_EN: 0
; COMPUTE_PGM_RSRC2:TGID_Z_EN: 0
; COMPUTE_PGM_RSRC2:TIDIG_COMP_CNT: 0
; COMPUTE_PGM_RSRC3_GFX90A:ACCUM_OFFSET: 0
; COMPUTE_PGM_RSRC3_GFX90A:TG_SPLIT: 0
	.section	.text._ZN7rocprim17ROCPRIM_400000_NS6detail17trampoline_kernelINS0_14default_configENS1_20scan_config_selectorItEEZZNS1_9scan_implILNS1_25lookback_scan_determinismE0ELb0ELb0ES3_N6thrust23THRUST_200600_302600_NS6detail15normal_iteratorINS9_10device_ptrItEEEESE_t11max_functorItEtEEDaPvRmT3_T4_T5_mT6_P12ihipStream_tbENKUlT_T0_E_clISt17integral_constantIbLb1EESU_EEDaSP_SQ_EUlSP_E0_NS1_11comp_targetILNS1_3genE5ELNS1_11target_archE942ELNS1_3gpuE9ELNS1_3repE0EEENS1_30default_config_static_selectorELNS0_4arch9wavefront6targetE1EEEvT1_,"axG",@progbits,_ZN7rocprim17ROCPRIM_400000_NS6detail17trampoline_kernelINS0_14default_configENS1_20scan_config_selectorItEEZZNS1_9scan_implILNS1_25lookback_scan_determinismE0ELb0ELb0ES3_N6thrust23THRUST_200600_302600_NS6detail15normal_iteratorINS9_10device_ptrItEEEESE_t11max_functorItEtEEDaPvRmT3_T4_T5_mT6_P12ihipStream_tbENKUlT_T0_E_clISt17integral_constantIbLb1EESU_EEDaSP_SQ_EUlSP_E0_NS1_11comp_targetILNS1_3genE5ELNS1_11target_archE942ELNS1_3gpuE9ELNS1_3repE0EEENS1_30default_config_static_selectorELNS0_4arch9wavefront6targetE1EEEvT1_,comdat
	.protected	_ZN7rocprim17ROCPRIM_400000_NS6detail17trampoline_kernelINS0_14default_configENS1_20scan_config_selectorItEEZZNS1_9scan_implILNS1_25lookback_scan_determinismE0ELb0ELb0ES3_N6thrust23THRUST_200600_302600_NS6detail15normal_iteratorINS9_10device_ptrItEEEESE_t11max_functorItEtEEDaPvRmT3_T4_T5_mT6_P12ihipStream_tbENKUlT_T0_E_clISt17integral_constantIbLb1EESU_EEDaSP_SQ_EUlSP_E0_NS1_11comp_targetILNS1_3genE5ELNS1_11target_archE942ELNS1_3gpuE9ELNS1_3repE0EEENS1_30default_config_static_selectorELNS0_4arch9wavefront6targetE1EEEvT1_ ; -- Begin function _ZN7rocprim17ROCPRIM_400000_NS6detail17trampoline_kernelINS0_14default_configENS1_20scan_config_selectorItEEZZNS1_9scan_implILNS1_25lookback_scan_determinismE0ELb0ELb0ES3_N6thrust23THRUST_200600_302600_NS6detail15normal_iteratorINS9_10device_ptrItEEEESE_t11max_functorItEtEEDaPvRmT3_T4_T5_mT6_P12ihipStream_tbENKUlT_T0_E_clISt17integral_constantIbLb1EESU_EEDaSP_SQ_EUlSP_E0_NS1_11comp_targetILNS1_3genE5ELNS1_11target_archE942ELNS1_3gpuE9ELNS1_3repE0EEENS1_30default_config_static_selectorELNS0_4arch9wavefront6targetE1EEEvT1_
	.globl	_ZN7rocprim17ROCPRIM_400000_NS6detail17trampoline_kernelINS0_14default_configENS1_20scan_config_selectorItEEZZNS1_9scan_implILNS1_25lookback_scan_determinismE0ELb0ELb0ES3_N6thrust23THRUST_200600_302600_NS6detail15normal_iteratorINS9_10device_ptrItEEEESE_t11max_functorItEtEEDaPvRmT3_T4_T5_mT6_P12ihipStream_tbENKUlT_T0_E_clISt17integral_constantIbLb1EESU_EEDaSP_SQ_EUlSP_E0_NS1_11comp_targetILNS1_3genE5ELNS1_11target_archE942ELNS1_3gpuE9ELNS1_3repE0EEENS1_30default_config_static_selectorELNS0_4arch9wavefront6targetE1EEEvT1_
	.p2align	8
	.type	_ZN7rocprim17ROCPRIM_400000_NS6detail17trampoline_kernelINS0_14default_configENS1_20scan_config_selectorItEEZZNS1_9scan_implILNS1_25lookback_scan_determinismE0ELb0ELb0ES3_N6thrust23THRUST_200600_302600_NS6detail15normal_iteratorINS9_10device_ptrItEEEESE_t11max_functorItEtEEDaPvRmT3_T4_T5_mT6_P12ihipStream_tbENKUlT_T0_E_clISt17integral_constantIbLb1EESU_EEDaSP_SQ_EUlSP_E0_NS1_11comp_targetILNS1_3genE5ELNS1_11target_archE942ELNS1_3gpuE9ELNS1_3repE0EEENS1_30default_config_static_selectorELNS0_4arch9wavefront6targetE1EEEvT1_,@function
_ZN7rocprim17ROCPRIM_400000_NS6detail17trampoline_kernelINS0_14default_configENS1_20scan_config_selectorItEEZZNS1_9scan_implILNS1_25lookback_scan_determinismE0ELb0ELb0ES3_N6thrust23THRUST_200600_302600_NS6detail15normal_iteratorINS9_10device_ptrItEEEESE_t11max_functorItEtEEDaPvRmT3_T4_T5_mT6_P12ihipStream_tbENKUlT_T0_E_clISt17integral_constantIbLb1EESU_EEDaSP_SQ_EUlSP_E0_NS1_11comp_targetILNS1_3genE5ELNS1_11target_archE942ELNS1_3gpuE9ELNS1_3repE0EEENS1_30default_config_static_selectorELNS0_4arch9wavefront6targetE1EEEvT1_: ; @_ZN7rocprim17ROCPRIM_400000_NS6detail17trampoline_kernelINS0_14default_configENS1_20scan_config_selectorItEEZZNS1_9scan_implILNS1_25lookback_scan_determinismE0ELb0ELb0ES3_N6thrust23THRUST_200600_302600_NS6detail15normal_iteratorINS9_10device_ptrItEEEESE_t11max_functorItEtEEDaPvRmT3_T4_T5_mT6_P12ihipStream_tbENKUlT_T0_E_clISt17integral_constantIbLb1EESU_EEDaSP_SQ_EUlSP_E0_NS1_11comp_targetILNS1_3genE5ELNS1_11target_archE942ELNS1_3gpuE9ELNS1_3repE0EEENS1_30default_config_static_selectorELNS0_4arch9wavefront6targetE1EEEvT1_
; %bb.0:
	.section	.rodata,"a",@progbits
	.p2align	6, 0x0
	.amdhsa_kernel _ZN7rocprim17ROCPRIM_400000_NS6detail17trampoline_kernelINS0_14default_configENS1_20scan_config_selectorItEEZZNS1_9scan_implILNS1_25lookback_scan_determinismE0ELb0ELb0ES3_N6thrust23THRUST_200600_302600_NS6detail15normal_iteratorINS9_10device_ptrItEEEESE_t11max_functorItEtEEDaPvRmT3_T4_T5_mT6_P12ihipStream_tbENKUlT_T0_E_clISt17integral_constantIbLb1EESU_EEDaSP_SQ_EUlSP_E0_NS1_11comp_targetILNS1_3genE5ELNS1_11target_archE942ELNS1_3gpuE9ELNS1_3repE0EEENS1_30default_config_static_selectorELNS0_4arch9wavefront6targetE1EEEvT1_
		.amdhsa_group_segment_fixed_size 0
		.amdhsa_private_segment_fixed_size 0
		.amdhsa_kernarg_size 32
		.amdhsa_user_sgpr_count 6
		.amdhsa_user_sgpr_private_segment_buffer 1
		.amdhsa_user_sgpr_dispatch_ptr 0
		.amdhsa_user_sgpr_queue_ptr 0
		.amdhsa_user_sgpr_kernarg_segment_ptr 1
		.amdhsa_user_sgpr_dispatch_id 0
		.amdhsa_user_sgpr_flat_scratch_init 0
		.amdhsa_user_sgpr_kernarg_preload_length 0
		.amdhsa_user_sgpr_kernarg_preload_offset 0
		.amdhsa_user_sgpr_private_segment_size 0
		.amdhsa_uses_dynamic_stack 0
		.amdhsa_system_sgpr_private_segment_wavefront_offset 0
		.amdhsa_system_sgpr_workgroup_id_x 1
		.amdhsa_system_sgpr_workgroup_id_y 0
		.amdhsa_system_sgpr_workgroup_id_z 0
		.amdhsa_system_sgpr_workgroup_info 0
		.amdhsa_system_vgpr_workitem_id 0
		.amdhsa_next_free_vgpr 1
		.amdhsa_next_free_sgpr 0
		.amdhsa_accum_offset 4
		.amdhsa_reserve_vcc 0
		.amdhsa_reserve_flat_scratch 0
		.amdhsa_float_round_mode_32 0
		.amdhsa_float_round_mode_16_64 0
		.amdhsa_float_denorm_mode_32 3
		.amdhsa_float_denorm_mode_16_64 3
		.amdhsa_dx10_clamp 1
		.amdhsa_ieee_mode 1
		.amdhsa_fp16_overflow 0
		.amdhsa_tg_split 0
		.amdhsa_exception_fp_ieee_invalid_op 0
		.amdhsa_exception_fp_denorm_src 0
		.amdhsa_exception_fp_ieee_div_zero 0
		.amdhsa_exception_fp_ieee_overflow 0
		.amdhsa_exception_fp_ieee_underflow 0
		.amdhsa_exception_fp_ieee_inexact 0
		.amdhsa_exception_int_div_zero 0
	.end_amdhsa_kernel
	.section	.text._ZN7rocprim17ROCPRIM_400000_NS6detail17trampoline_kernelINS0_14default_configENS1_20scan_config_selectorItEEZZNS1_9scan_implILNS1_25lookback_scan_determinismE0ELb0ELb0ES3_N6thrust23THRUST_200600_302600_NS6detail15normal_iteratorINS9_10device_ptrItEEEESE_t11max_functorItEtEEDaPvRmT3_T4_T5_mT6_P12ihipStream_tbENKUlT_T0_E_clISt17integral_constantIbLb1EESU_EEDaSP_SQ_EUlSP_E0_NS1_11comp_targetILNS1_3genE5ELNS1_11target_archE942ELNS1_3gpuE9ELNS1_3repE0EEENS1_30default_config_static_selectorELNS0_4arch9wavefront6targetE1EEEvT1_,"axG",@progbits,_ZN7rocprim17ROCPRIM_400000_NS6detail17trampoline_kernelINS0_14default_configENS1_20scan_config_selectorItEEZZNS1_9scan_implILNS1_25lookback_scan_determinismE0ELb0ELb0ES3_N6thrust23THRUST_200600_302600_NS6detail15normal_iteratorINS9_10device_ptrItEEEESE_t11max_functorItEtEEDaPvRmT3_T4_T5_mT6_P12ihipStream_tbENKUlT_T0_E_clISt17integral_constantIbLb1EESU_EEDaSP_SQ_EUlSP_E0_NS1_11comp_targetILNS1_3genE5ELNS1_11target_archE942ELNS1_3gpuE9ELNS1_3repE0EEENS1_30default_config_static_selectorELNS0_4arch9wavefront6targetE1EEEvT1_,comdat
.Lfunc_end2440:
	.size	_ZN7rocprim17ROCPRIM_400000_NS6detail17trampoline_kernelINS0_14default_configENS1_20scan_config_selectorItEEZZNS1_9scan_implILNS1_25lookback_scan_determinismE0ELb0ELb0ES3_N6thrust23THRUST_200600_302600_NS6detail15normal_iteratorINS9_10device_ptrItEEEESE_t11max_functorItEtEEDaPvRmT3_T4_T5_mT6_P12ihipStream_tbENKUlT_T0_E_clISt17integral_constantIbLb1EESU_EEDaSP_SQ_EUlSP_E0_NS1_11comp_targetILNS1_3genE5ELNS1_11target_archE942ELNS1_3gpuE9ELNS1_3repE0EEENS1_30default_config_static_selectorELNS0_4arch9wavefront6targetE1EEEvT1_, .Lfunc_end2440-_ZN7rocprim17ROCPRIM_400000_NS6detail17trampoline_kernelINS0_14default_configENS1_20scan_config_selectorItEEZZNS1_9scan_implILNS1_25lookback_scan_determinismE0ELb0ELb0ES3_N6thrust23THRUST_200600_302600_NS6detail15normal_iteratorINS9_10device_ptrItEEEESE_t11max_functorItEtEEDaPvRmT3_T4_T5_mT6_P12ihipStream_tbENKUlT_T0_E_clISt17integral_constantIbLb1EESU_EEDaSP_SQ_EUlSP_E0_NS1_11comp_targetILNS1_3genE5ELNS1_11target_archE942ELNS1_3gpuE9ELNS1_3repE0EEENS1_30default_config_static_selectorELNS0_4arch9wavefront6targetE1EEEvT1_
                                        ; -- End function
	.section	.AMDGPU.csdata,"",@progbits
; Kernel info:
; codeLenInByte = 0
; NumSgprs: 4
; NumVgprs: 0
; NumAgprs: 0
; TotalNumVgprs: 0
; ScratchSize: 0
; MemoryBound: 0
; FloatMode: 240
; IeeeMode: 1
; LDSByteSize: 0 bytes/workgroup (compile time only)
; SGPRBlocks: 0
; VGPRBlocks: 0
; NumSGPRsForWavesPerEU: 4
; NumVGPRsForWavesPerEU: 1
; AccumOffset: 4
; Occupancy: 8
; WaveLimiterHint : 0
; COMPUTE_PGM_RSRC2:SCRATCH_EN: 0
; COMPUTE_PGM_RSRC2:USER_SGPR: 6
; COMPUTE_PGM_RSRC2:TRAP_HANDLER: 0
; COMPUTE_PGM_RSRC2:TGID_X_EN: 1
; COMPUTE_PGM_RSRC2:TGID_Y_EN: 0
; COMPUTE_PGM_RSRC2:TGID_Z_EN: 0
; COMPUTE_PGM_RSRC2:TIDIG_COMP_CNT: 0
; COMPUTE_PGM_RSRC3_GFX90A:ACCUM_OFFSET: 0
; COMPUTE_PGM_RSRC3_GFX90A:TG_SPLIT: 0
	.section	.text._ZN7rocprim17ROCPRIM_400000_NS6detail17trampoline_kernelINS0_14default_configENS1_20scan_config_selectorItEEZZNS1_9scan_implILNS1_25lookback_scan_determinismE0ELb0ELb0ES3_N6thrust23THRUST_200600_302600_NS6detail15normal_iteratorINS9_10device_ptrItEEEESE_t11max_functorItEtEEDaPvRmT3_T4_T5_mT6_P12ihipStream_tbENKUlT_T0_E_clISt17integral_constantIbLb1EESU_EEDaSP_SQ_EUlSP_E0_NS1_11comp_targetILNS1_3genE4ELNS1_11target_archE910ELNS1_3gpuE8ELNS1_3repE0EEENS1_30default_config_static_selectorELNS0_4arch9wavefront6targetE1EEEvT1_,"axG",@progbits,_ZN7rocprim17ROCPRIM_400000_NS6detail17trampoline_kernelINS0_14default_configENS1_20scan_config_selectorItEEZZNS1_9scan_implILNS1_25lookback_scan_determinismE0ELb0ELb0ES3_N6thrust23THRUST_200600_302600_NS6detail15normal_iteratorINS9_10device_ptrItEEEESE_t11max_functorItEtEEDaPvRmT3_T4_T5_mT6_P12ihipStream_tbENKUlT_T0_E_clISt17integral_constantIbLb1EESU_EEDaSP_SQ_EUlSP_E0_NS1_11comp_targetILNS1_3genE4ELNS1_11target_archE910ELNS1_3gpuE8ELNS1_3repE0EEENS1_30default_config_static_selectorELNS0_4arch9wavefront6targetE1EEEvT1_,comdat
	.protected	_ZN7rocprim17ROCPRIM_400000_NS6detail17trampoline_kernelINS0_14default_configENS1_20scan_config_selectorItEEZZNS1_9scan_implILNS1_25lookback_scan_determinismE0ELb0ELb0ES3_N6thrust23THRUST_200600_302600_NS6detail15normal_iteratorINS9_10device_ptrItEEEESE_t11max_functorItEtEEDaPvRmT3_T4_T5_mT6_P12ihipStream_tbENKUlT_T0_E_clISt17integral_constantIbLb1EESU_EEDaSP_SQ_EUlSP_E0_NS1_11comp_targetILNS1_3genE4ELNS1_11target_archE910ELNS1_3gpuE8ELNS1_3repE0EEENS1_30default_config_static_selectorELNS0_4arch9wavefront6targetE1EEEvT1_ ; -- Begin function _ZN7rocprim17ROCPRIM_400000_NS6detail17trampoline_kernelINS0_14default_configENS1_20scan_config_selectorItEEZZNS1_9scan_implILNS1_25lookback_scan_determinismE0ELb0ELb0ES3_N6thrust23THRUST_200600_302600_NS6detail15normal_iteratorINS9_10device_ptrItEEEESE_t11max_functorItEtEEDaPvRmT3_T4_T5_mT6_P12ihipStream_tbENKUlT_T0_E_clISt17integral_constantIbLb1EESU_EEDaSP_SQ_EUlSP_E0_NS1_11comp_targetILNS1_3genE4ELNS1_11target_archE910ELNS1_3gpuE8ELNS1_3repE0EEENS1_30default_config_static_selectorELNS0_4arch9wavefront6targetE1EEEvT1_
	.globl	_ZN7rocprim17ROCPRIM_400000_NS6detail17trampoline_kernelINS0_14default_configENS1_20scan_config_selectorItEEZZNS1_9scan_implILNS1_25lookback_scan_determinismE0ELb0ELb0ES3_N6thrust23THRUST_200600_302600_NS6detail15normal_iteratorINS9_10device_ptrItEEEESE_t11max_functorItEtEEDaPvRmT3_T4_T5_mT6_P12ihipStream_tbENKUlT_T0_E_clISt17integral_constantIbLb1EESU_EEDaSP_SQ_EUlSP_E0_NS1_11comp_targetILNS1_3genE4ELNS1_11target_archE910ELNS1_3gpuE8ELNS1_3repE0EEENS1_30default_config_static_selectorELNS0_4arch9wavefront6targetE1EEEvT1_
	.p2align	8
	.type	_ZN7rocprim17ROCPRIM_400000_NS6detail17trampoline_kernelINS0_14default_configENS1_20scan_config_selectorItEEZZNS1_9scan_implILNS1_25lookback_scan_determinismE0ELb0ELb0ES3_N6thrust23THRUST_200600_302600_NS6detail15normal_iteratorINS9_10device_ptrItEEEESE_t11max_functorItEtEEDaPvRmT3_T4_T5_mT6_P12ihipStream_tbENKUlT_T0_E_clISt17integral_constantIbLb1EESU_EEDaSP_SQ_EUlSP_E0_NS1_11comp_targetILNS1_3genE4ELNS1_11target_archE910ELNS1_3gpuE8ELNS1_3repE0EEENS1_30default_config_static_selectorELNS0_4arch9wavefront6targetE1EEEvT1_,@function
_ZN7rocprim17ROCPRIM_400000_NS6detail17trampoline_kernelINS0_14default_configENS1_20scan_config_selectorItEEZZNS1_9scan_implILNS1_25lookback_scan_determinismE0ELb0ELb0ES3_N6thrust23THRUST_200600_302600_NS6detail15normal_iteratorINS9_10device_ptrItEEEESE_t11max_functorItEtEEDaPvRmT3_T4_T5_mT6_P12ihipStream_tbENKUlT_T0_E_clISt17integral_constantIbLb1EESU_EEDaSP_SQ_EUlSP_E0_NS1_11comp_targetILNS1_3genE4ELNS1_11target_archE910ELNS1_3gpuE8ELNS1_3repE0EEENS1_30default_config_static_selectorELNS0_4arch9wavefront6targetE1EEEvT1_: ; @_ZN7rocprim17ROCPRIM_400000_NS6detail17trampoline_kernelINS0_14default_configENS1_20scan_config_selectorItEEZZNS1_9scan_implILNS1_25lookback_scan_determinismE0ELb0ELb0ES3_N6thrust23THRUST_200600_302600_NS6detail15normal_iteratorINS9_10device_ptrItEEEESE_t11max_functorItEtEEDaPvRmT3_T4_T5_mT6_P12ihipStream_tbENKUlT_T0_E_clISt17integral_constantIbLb1EESU_EEDaSP_SQ_EUlSP_E0_NS1_11comp_targetILNS1_3genE4ELNS1_11target_archE910ELNS1_3gpuE8ELNS1_3repE0EEENS1_30default_config_static_selectorELNS0_4arch9wavefront6targetE1EEEvT1_
; %bb.0:
	s_load_dwordx4 s[52:55], s[4:5], 0x0
	v_mov_b32_e32 v1, 0
	v_lshlrev_b32_e32 v14, 1, v0
	s_waitcnt lgkmcnt(0)
	global_load_ushort v2, v1, s[52:53]
	v_cmp_gt_u32_e32 vcc, s54, v0
	s_waitcnt vmcnt(0)
	v_mov_b32_e32 v3, v2
	s_and_saveexec_b64 s[0:1], vcc
	s_cbranch_execz .LBB2441_2
; %bb.1:
	global_load_ushort v3, v14, s[52:53]
.LBB2441_2:
	s_or_b64 exec, exec, s[0:1]
	v_or_b32_e32 v1, 64, v0
	v_cmp_gt_u32_e64 s[0:1], s54, v1
	v_mov_b32_e32 v4, v2
	s_and_saveexec_b64 s[2:3], s[0:1]
	s_cbranch_execz .LBB2441_4
; %bb.3:
	global_load_ushort v4, v14, s[52:53] offset:128
.LBB2441_4:
	s_or_b64 exec, exec, s[2:3]
	v_or_b32_e32 v1, 0x80, v0
	v_cmp_gt_u32_e64 s[2:3], s54, v1
	v_mov_b32_e32 v5, v2
	s_and_saveexec_b64 s[6:7], s[2:3]
	s_cbranch_execz .LBB2441_6
; %bb.5:
	global_load_ushort v5, v14, s[52:53] offset:256
.LBB2441_6:
	s_or_b64 exec, exec, s[6:7]
	v_or_b32_e32 v1, 0xc0, v0
	v_cmp_gt_u32_e64 s[48:49], s54, v1
	v_mov_b32_e32 v6, v2
	s_and_saveexec_b64 s[6:7], s[48:49]
	s_cbranch_execz .LBB2441_8
; %bb.7:
	global_load_ushort v6, v14, s[52:53] offset:384
.LBB2441_8:
	s_or_b64 exec, exec, s[6:7]
	v_or_b32_e32 v1, 0x100, v0
	v_cmp_gt_u32_e64 s[6:7], s54, v1
	v_mov_b32_e32 v7, v2
	s_and_saveexec_b64 s[8:9], s[6:7]
	s_cbranch_execz .LBB2441_10
; %bb.9:
	global_load_ushort v7, v14, s[52:53] offset:512
.LBB2441_10:
	s_or_b64 exec, exec, s[8:9]
	v_or_b32_e32 v1, 0x140, v0
	v_cmp_gt_u32_e64 s[8:9], s54, v1
	v_mov_b32_e32 v8, v2
	s_and_saveexec_b64 s[10:11], s[8:9]
	s_cbranch_execz .LBB2441_12
; %bb.11:
	global_load_ushort v8, v14, s[52:53] offset:640
.LBB2441_12:
	s_or_b64 exec, exec, s[10:11]
	v_or_b32_e32 v1, 0x180, v0
	v_cmp_gt_u32_e64 s[10:11], s54, v1
	v_mov_b32_e32 v9, v2
	s_and_saveexec_b64 s[12:13], s[10:11]
	s_cbranch_execz .LBB2441_14
; %bb.13:
	global_load_ushort v9, v14, s[52:53] offset:768
.LBB2441_14:
	s_or_b64 exec, exec, s[12:13]
	v_or_b32_e32 v1, 0x1c0, v0
	v_cmp_gt_u32_e64 s[12:13], s54, v1
	v_mov_b32_e32 v10, v2
	s_and_saveexec_b64 s[14:15], s[12:13]
	s_cbranch_execz .LBB2441_16
; %bb.15:
	global_load_ushort v10, v14, s[52:53] offset:896
.LBB2441_16:
	s_or_b64 exec, exec, s[14:15]
	v_or_b32_e32 v1, 0x200, v0
	v_cmp_gt_u32_e64 s[14:15], s54, v1
	v_mov_b32_e32 v11, v2
	s_and_saveexec_b64 s[16:17], s[14:15]
	s_cbranch_execz .LBB2441_18
; %bb.17:
	global_load_ushort v11, v14, s[52:53] offset:1024
.LBB2441_18:
	s_or_b64 exec, exec, s[16:17]
	v_or_b32_e32 v1, 0x240, v0
	v_cmp_gt_u32_e64 s[16:17], s54, v1
	v_mov_b32_e32 v12, v2
	s_and_saveexec_b64 s[18:19], s[16:17]
	s_cbranch_execz .LBB2441_20
; %bb.19:
	global_load_ushort v12, v14, s[52:53] offset:1152
.LBB2441_20:
	s_or_b64 exec, exec, s[18:19]
	v_or_b32_e32 v1, 0x280, v0
	v_cmp_gt_u32_e64 s[18:19], s54, v1
	v_mov_b32_e32 v13, v2
	s_and_saveexec_b64 s[20:21], s[18:19]
	s_cbranch_execz .LBB2441_22
; %bb.21:
	global_load_ushort v13, v14, s[52:53] offset:1280
.LBB2441_22:
	s_or_b64 exec, exec, s[20:21]
	v_or_b32_e32 v1, 0x2c0, v0
	v_cmp_gt_u32_e64 s[20:21], s54, v1
	v_mov_b32_e32 v15, v2
	s_and_saveexec_b64 s[22:23], s[20:21]
	s_cbranch_execz .LBB2441_24
; %bb.23:
	global_load_ushort v15, v14, s[52:53] offset:1408
.LBB2441_24:
	s_or_b64 exec, exec, s[22:23]
	v_or_b32_e32 v1, 0x300, v0
	v_cmp_gt_u32_e64 s[22:23], s54, v1
	v_mov_b32_e32 v16, v2
	s_and_saveexec_b64 s[24:25], s[22:23]
	s_cbranch_execz .LBB2441_26
; %bb.25:
	global_load_ushort v16, v14, s[52:53] offset:1536
.LBB2441_26:
	s_or_b64 exec, exec, s[24:25]
	v_or_b32_e32 v1, 0x340, v0
	v_cmp_gt_u32_e64 s[24:25], s54, v1
	v_mov_b32_e32 v17, v2
	s_and_saveexec_b64 s[26:27], s[24:25]
	s_cbranch_execz .LBB2441_28
; %bb.27:
	global_load_ushort v17, v14, s[52:53] offset:1664
.LBB2441_28:
	s_or_b64 exec, exec, s[26:27]
	v_or_b32_e32 v1, 0x380, v0
	v_cmp_gt_u32_e64 s[26:27], s54, v1
	v_mov_b32_e32 v18, v2
	s_and_saveexec_b64 s[28:29], s[26:27]
	s_cbranch_execz .LBB2441_30
; %bb.29:
	global_load_ushort v18, v14, s[52:53] offset:1792
.LBB2441_30:
	s_or_b64 exec, exec, s[28:29]
	v_or_b32_e32 v1, 0x3c0, v0
	v_cmp_gt_u32_e64 s[28:29], s54, v1
	v_mov_b32_e32 v19, v2
	s_and_saveexec_b64 s[30:31], s[28:29]
	s_cbranch_execz .LBB2441_32
; %bb.31:
	global_load_ushort v19, v14, s[52:53] offset:1920
.LBB2441_32:
	s_or_b64 exec, exec, s[30:31]
	v_or_b32_e32 v1, 0x400, v0
	v_cmp_gt_u32_e64 s[30:31], s54, v1
	v_mov_b32_e32 v20, v2
	s_and_saveexec_b64 s[34:35], s[30:31]
	s_cbranch_execz .LBB2441_34
; %bb.33:
	global_load_ushort v20, v14, s[52:53] offset:2048
.LBB2441_34:
	s_or_b64 exec, exec, s[34:35]
	v_or_b32_e32 v1, 0x440, v0
	v_cmp_gt_u32_e64 s[34:35], s54, v1
	v_mov_b32_e32 v21, v2
	s_and_saveexec_b64 s[36:37], s[34:35]
	s_cbranch_execz .LBB2441_36
; %bb.35:
	global_load_ushort v21, v14, s[52:53] offset:2176
.LBB2441_36:
	s_or_b64 exec, exec, s[36:37]
	v_or_b32_e32 v1, 0x480, v0
	v_cmp_gt_u32_e64 s[36:37], s54, v1
	v_mov_b32_e32 v22, v2
	s_and_saveexec_b64 s[38:39], s[36:37]
	s_cbranch_execz .LBB2441_38
; %bb.37:
	global_load_ushort v22, v14, s[52:53] offset:2304
.LBB2441_38:
	s_or_b64 exec, exec, s[38:39]
	v_or_b32_e32 v1, 0x4c0, v0
	v_cmp_gt_u32_e64 s[38:39], s54, v1
	v_mov_b32_e32 v23, v2
	s_and_saveexec_b64 s[40:41], s[38:39]
	s_cbranch_execz .LBB2441_40
; %bb.39:
	global_load_ushort v23, v14, s[52:53] offset:2432
.LBB2441_40:
	s_or_b64 exec, exec, s[40:41]
	v_or_b32_e32 v1, 0x500, v0
	v_cmp_gt_u32_e64 s[40:41], s54, v1
	v_mov_b32_e32 v24, v2
	s_and_saveexec_b64 s[42:43], s[40:41]
	s_cbranch_execz .LBB2441_42
; %bb.41:
	global_load_ushort v24, v14, s[52:53] offset:2560
.LBB2441_42:
	s_or_b64 exec, exec, s[42:43]
	v_or_b32_e32 v1, 0x540, v0
	v_cmp_gt_u32_e64 s[42:43], s54, v1
	v_mov_b32_e32 v25, v2
	s_and_saveexec_b64 s[44:45], s[42:43]
	s_cbranch_execz .LBB2441_44
; %bb.43:
	global_load_ushort v25, v14, s[52:53] offset:2688
.LBB2441_44:
	s_or_b64 exec, exec, s[44:45]
	v_or_b32_e32 v1, 0x580, v0
	v_cmp_gt_u32_e64 s[44:45], s54, v1
	v_mov_b32_e32 v26, v2
	s_and_saveexec_b64 s[46:47], s[44:45]
	s_cbranch_execz .LBB2441_46
; %bb.45:
	global_load_ushort v26, v14, s[52:53] offset:2816
.LBB2441_46:
	s_or_b64 exec, exec, s[46:47]
	v_or_b32_e32 v1, 0x5c0, v0
	v_cmp_gt_u32_e64 s[46:47], s54, v1
	v_cmp_le_u32_e64 s[50:51], s54, v1
	s_and_saveexec_b64 s[54:55], s[50:51]
	s_xor_b64 s[50:51], exec, s[54:55]
; %bb.47:
	v_mov_b32_e32 v1, 0
; %bb.48:
	s_andn2_saveexec_b64 s[50:51], s[50:51]
	s_cbranch_execz .LBB2441_50
; %bb.49:
	global_load_ushort v2, v14, s[52:53] offset:2944
	v_mov_b32_e32 v1, 0
.LBB2441_50:
	s_or_b64 exec, exec, s[50:51]
	s_waitcnt vmcnt(0)
	ds_write_b16 v14, v3
	ds_write_b16 v14, v4 offset:128
	ds_write_b16 v14, v5 offset:256
	;; [unrolled: 1-line block ×23, first 2 shown]
	v_mad_u32_u24 v15, v0, 46, v14
	s_waitcnt lgkmcnt(0)
	; wave barrier
	s_waitcnt lgkmcnt(0)
	ds_read_b128 v[2:5], v15
	ds_read_b128 v[10:13], v15 offset:16
	ds_read_b128 v[6:9], v15 offset:32
	v_mbcnt_lo_u32_b32 v39, -1, 0
	v_mbcnt_hi_u32_b32 v39, -1, v39
	s_waitcnt lgkmcnt(2)
	v_max_u16_sdwa v16, v2, v2 dst_sel:DWORD dst_unused:UNUSED_PAD src0_sel:DWORD src1_sel:WORD_1
	v_max_u16_e32 v17, v16, v3
	v_max_u16_sdwa v19, v17, v3 dst_sel:DWORD dst_unused:UNUSED_PAD src0_sel:DWORD src1_sel:WORD_1
	v_max_u16_e32 v21, v19, v4
	;; [unrolled: 2-line block ×3, first 2 shown]
	v_max_u16_sdwa v29, v26, v5 dst_sel:DWORD dst_unused:UNUSED_PAD src0_sel:DWORD src1_sel:WORD_1
	s_waitcnt lgkmcnt(1)
	v_max_u16_e32 v18, v29, v10
	v_max_u16_sdwa v20, v18, v10 dst_sel:DWORD dst_unused:UNUSED_PAD src0_sel:DWORD src1_sel:WORD_1
	v_max_u16_e32 v22, v20, v11
	v_max_u16_sdwa v25, v22, v11 dst_sel:DWORD dst_unused:UNUSED_PAD src0_sel:DWORD src1_sel:WORD_1
	;; [unrolled: 2-line block ×4, first 2 shown]
	s_waitcnt lgkmcnt(0)
	v_max_u16_e32 v24, v35, v6
	v_max_u16_sdwa v27, v24, v6 dst_sel:DWORD dst_unused:UNUSED_PAD src0_sel:DWORD src1_sel:WORD_1
	v_max_u16_e32 v30, v27, v7
	v_max_u16_sdwa v32, v30, v7 dst_sel:DWORD dst_unused:UNUSED_PAD src0_sel:DWORD src1_sel:WORD_1
	v_max_u16_e32 v34, v32, v8
	v_max_u16_sdwa v36, v34, v8 dst_sel:DWORD dst_unused:UNUSED_PAD src0_sel:DWORD src1_sel:WORD_1
	v_max_u16_e32 v37, v36, v9
	v_max_u16_sdwa v38, v37, v9 dst_sel:DWORD dst_unused:UNUSED_PAD src0_sel:DWORD src1_sel:WORD_1
	v_and_b32_e32 v40, 15, v39
	s_load_dwordx2 s[50:51], s[4:5], 0x18
	v_mov_b32_dpp v41, v38 row_shr:1 row_mask:0xf bank_mask:0xf
	v_max_u16_e32 v41, v41, v38
	v_cmp_eq_u32_e64 s[4:5], 0, v40
	v_cndmask_b32_e64 v41, v41, v38, s[4:5]
	v_and_b32_e32 v42, 0xffff, v41
	v_cmp_lt_u32_e64 s[4:5], 1, v40
	s_waitcnt lgkmcnt(0)
	v_mov_b32_dpp v42, v42 row_shr:2 row_mask:0xf bank_mask:0xf
	v_max_u16_e32 v42, v42, v41
	v_cndmask_b32_e64 v41, v41, v42, s[4:5]
	v_and_b32_e32 v42, 0xffff, v41
	v_cmp_lt_u32_e64 s[4:5], 3, v40
	; wave barrier
	s_nop 0
	v_mov_b32_dpp v42, v42 row_shr:4 row_mask:0xf bank_mask:0xf
	v_max_u16_e32 v42, v42, v41
	v_cndmask_b32_e64 v41, v41, v42, s[4:5]
	v_and_b32_e32 v42, 0xffff, v41
	v_cmp_lt_u32_e64 s[4:5], 7, v40
	s_nop 0
	v_mov_b32_dpp v42, v42 row_shr:8 row_mask:0xf bank_mask:0xf
	v_max_u16_e32 v42, v42, v41
	v_cndmask_b32_e64 v40, v41, v42, s[4:5]
	v_and_b32_e32 v41, 0xffff, v40
	v_and_b32_e32 v42, 16, v39
	v_cmp_eq_u32_e64 s[4:5], 0, v42
	v_mov_b32_dpp v41, v41 row_bcast:15 row_mask:0xf bank_mask:0xf
	v_max_u16_e32 v41, v41, v40
	v_cndmask_b32_e64 v40, v41, v40, s[4:5]
	v_and_b32_e32 v41, 0xffff, v40
	v_cmp_lt_u32_e64 s[4:5], 31, v39
	s_nop 0
	v_mov_b32_dpp v41, v41 row_bcast:31 row_mask:0xf bank_mask:0xf
	v_max_u16_e32 v41, v41, v40
	v_cndmask_b32_e64 v40, v40, v41, s[4:5]
	v_cmp_eq_u32_e64 s[4:5], 63, v0
	s_and_saveexec_b64 s[52:53], s[4:5]
	s_cbranch_execz .LBB2441_52
; %bb.51:
	v_mov_b32_e32 v41, 0
	ds_write_b16 v41, v40
.LBB2441_52:
	s_or_b64 exec, exec, s[52:53]
	v_add_u32_e32 v41, -1, v39
	v_and_b32_e32 v42, 64, v39
	v_cmp_lt_i32_e64 s[4:5], v41, v42
	v_cndmask_b32_e64 v39, v41, v39, s[4:5]
	v_and_b32_e32 v40, 0xffff, v40
	v_lshlrev_b32_e32 v39, 2, v39
	ds_bpermute_b32 v39, v39, v40
	v_cmp_ne_u32_e64 s[4:5], 0, v0
	s_waitcnt lgkmcnt(0)
	; wave barrier
	s_waitcnt lgkmcnt(0)
	s_and_saveexec_b64 s[52:53], s[4:5]
	s_cbranch_execz .LBB2441_54
; %bb.53:
	v_max_u16_e32 v39, v39, v2
	v_max_u16_sdwa v16, v39, v2 dst_sel:DWORD dst_unused:UNUSED_PAD src0_sel:DWORD src1_sel:WORD_1
	v_max_u16_e32 v17, v16, v3
	v_max_u16_sdwa v19, v17, v3 dst_sel:DWORD dst_unused:UNUSED_PAD src0_sel:DWORD src1_sel:WORD_1
	;; [unrolled: 2-line block ×12, first 2 shown]
	v_mov_b32_e32 v2, v39
	;;#ASMSTART
	;;#ASMEND
.LBB2441_54:
	s_or_b64 exec, exec, s[52:53]
	s_mov_b32 s4, 0x5040100
	v_perm_b32 v5, v29, v26, s4
	v_perm_b32 v4, v23, v21, s4
	;; [unrolled: 1-line block ×4, first 2 shown]
	s_waitcnt lgkmcnt(0)
	; wave barrier
	ds_write_b128 v15, v[2:5]
	v_perm_b32 v5, v35, v33, s4
	v_perm_b32 v4, v31, v28, s4
	;; [unrolled: 1-line block ×4, first 2 shown]
	ds_write_b128 v15, v[2:5] offset:16
	v_perm_b32 v5, v38, v37, s4
	v_perm_b32 v4, v36, v34, s4
	;; [unrolled: 1-line block ×4, first 2 shown]
	s_movk_i32 s4, 0xffd2
	ds_write_b128 v15, v[2:5] offset:32
	v_mad_i32_i24 v2, v0, s4, v15
	s_waitcnt lgkmcnt(0)
	; wave barrier
	s_waitcnt lgkmcnt(0)
	ds_read_u16 v25, v2 offset:128
	ds_read_u16 v24, v2 offset:256
	ds_read_u16 v23, v2 offset:384
	ds_read_u16 v22, v2 offset:512
	ds_read_u16 v21, v2 offset:640
	ds_read_u16 v20, v2 offset:768
	ds_read_u16 v19, v2 offset:896
	ds_read_u16 v18, v2 offset:1024
	ds_read_u16 v17, v2 offset:1152
	ds_read_u16 v16, v2 offset:1280
	ds_read_u16 v15, v2 offset:1408
	ds_read_u16 v13, v2 offset:1536
	ds_read_u16 v12, v2 offset:1664
	ds_read_u16 v11, v2 offset:1792
	ds_read_u16 v10, v2 offset:1920
	ds_read_u16 v8, v2 offset:2176
	ds_read_u16 v7, v2 offset:2304
	ds_read_u16 v6, v2 offset:2432
	ds_read_u16 v5, v2 offset:2560
	ds_read_u16 v4, v2 offset:2688
	ds_read_u16 v3, v2 offset:2816
	ds_read_u16 v9, v14 offset:2048
	ds_read_u16 v2, v2 offset:2944
	v_lshlrev_b64 v[0:1], 1, v[0:1]
	v_mov_b32_e32 v26, s51
	v_add_co_u32_e64 v0, s[4:5], s50, v0
	v_addc_co_u32_e64 v1, s[4:5], v26, v1, s[4:5]
	s_and_saveexec_b64 s[4:5], vcc
	s_cbranch_execnz .LBB2441_79
; %bb.55:
	s_or_b64 exec, exec, s[4:5]
	s_and_saveexec_b64 s[4:5], s[0:1]
	s_cbranch_execnz .LBB2441_80
.LBB2441_56:
	s_or_b64 exec, exec, s[4:5]
	s_and_saveexec_b64 s[0:1], s[2:3]
	s_cbranch_execnz .LBB2441_81
.LBB2441_57:
	s_or_b64 exec, exec, s[0:1]
	s_and_saveexec_b64 s[0:1], s[48:49]
	s_cbranch_execnz .LBB2441_82
.LBB2441_58:
	s_or_b64 exec, exec, s[0:1]
	s_and_saveexec_b64 s[0:1], s[6:7]
	s_cbranch_execnz .LBB2441_83
.LBB2441_59:
	s_or_b64 exec, exec, s[0:1]
	s_and_saveexec_b64 s[0:1], s[8:9]
	s_cbranch_execnz .LBB2441_84
.LBB2441_60:
	s_or_b64 exec, exec, s[0:1]
	s_and_saveexec_b64 s[0:1], s[10:11]
	s_cbranch_execnz .LBB2441_85
.LBB2441_61:
	s_or_b64 exec, exec, s[0:1]
	s_and_saveexec_b64 s[0:1], s[12:13]
	s_cbranch_execnz .LBB2441_86
.LBB2441_62:
	s_or_b64 exec, exec, s[0:1]
	s_and_saveexec_b64 s[0:1], s[14:15]
	s_cbranch_execnz .LBB2441_87
.LBB2441_63:
	s_or_b64 exec, exec, s[0:1]
	s_and_saveexec_b64 s[0:1], s[16:17]
	s_cbranch_execnz .LBB2441_88
.LBB2441_64:
	s_or_b64 exec, exec, s[0:1]
	s_and_saveexec_b64 s[0:1], s[18:19]
	s_cbranch_execnz .LBB2441_89
.LBB2441_65:
	s_or_b64 exec, exec, s[0:1]
	s_and_saveexec_b64 s[0:1], s[20:21]
	s_cbranch_execnz .LBB2441_90
.LBB2441_66:
	s_or_b64 exec, exec, s[0:1]
	s_and_saveexec_b64 s[0:1], s[22:23]
	s_cbranch_execnz .LBB2441_91
.LBB2441_67:
	s_or_b64 exec, exec, s[0:1]
	s_and_saveexec_b64 s[0:1], s[24:25]
	s_cbranch_execnz .LBB2441_92
.LBB2441_68:
	s_or_b64 exec, exec, s[0:1]
	s_and_saveexec_b64 s[0:1], s[26:27]
	s_cbranch_execnz .LBB2441_93
.LBB2441_69:
	s_or_b64 exec, exec, s[0:1]
	s_and_saveexec_b64 s[0:1], s[28:29]
	s_cbranch_execnz .LBB2441_94
.LBB2441_70:
	s_or_b64 exec, exec, s[0:1]
	s_and_saveexec_b64 s[0:1], s[30:31]
	s_cbranch_execnz .LBB2441_95
.LBB2441_71:
	s_or_b64 exec, exec, s[0:1]
	s_and_saveexec_b64 s[0:1], s[34:35]
	s_cbranch_execnz .LBB2441_96
.LBB2441_72:
	s_or_b64 exec, exec, s[0:1]
	s_and_saveexec_b64 s[0:1], s[36:37]
	s_cbranch_execnz .LBB2441_97
.LBB2441_73:
	s_or_b64 exec, exec, s[0:1]
	s_and_saveexec_b64 s[0:1], s[38:39]
	s_cbranch_execnz .LBB2441_98
.LBB2441_74:
	s_or_b64 exec, exec, s[0:1]
	s_and_saveexec_b64 s[0:1], s[40:41]
	s_cbranch_execnz .LBB2441_99
.LBB2441_75:
	s_or_b64 exec, exec, s[0:1]
	s_and_saveexec_b64 s[0:1], s[42:43]
	s_cbranch_execnz .LBB2441_100
.LBB2441_76:
	s_or_b64 exec, exec, s[0:1]
	s_and_saveexec_b64 s[0:1], s[44:45]
	s_cbranch_execnz .LBB2441_101
.LBB2441_77:
	s_or_b64 exec, exec, s[0:1]
	s_and_saveexec_b64 s[0:1], s[46:47]
	s_cbranch_execnz .LBB2441_102
.LBB2441_78:
	s_endpgm
.LBB2441_79:
	ds_read_u16 v14, v14
	s_waitcnt lgkmcnt(0)
	global_store_short v[0:1], v14, off
	s_or_b64 exec, exec, s[4:5]
	s_and_saveexec_b64 s[4:5], s[0:1]
	s_cbranch_execz .LBB2441_56
.LBB2441_80:
	s_waitcnt lgkmcnt(14)
	global_store_short v[0:1], v25, off offset:128
	s_or_b64 exec, exec, s[4:5]
	s_and_saveexec_b64 s[0:1], s[2:3]
	s_cbranch_execz .LBB2441_57
.LBB2441_81:
	s_waitcnt lgkmcnt(14)
	global_store_short v[0:1], v24, off offset:256
	s_or_b64 exec, exec, s[0:1]
	s_and_saveexec_b64 s[0:1], s[48:49]
	s_cbranch_execz .LBB2441_58
.LBB2441_82:
	s_waitcnt lgkmcnt(14)
	global_store_short v[0:1], v23, off offset:384
	s_or_b64 exec, exec, s[0:1]
	s_and_saveexec_b64 s[0:1], s[6:7]
	s_cbranch_execz .LBB2441_59
.LBB2441_83:
	s_waitcnt lgkmcnt(14)
	global_store_short v[0:1], v22, off offset:512
	s_or_b64 exec, exec, s[0:1]
	s_and_saveexec_b64 s[0:1], s[8:9]
	s_cbranch_execz .LBB2441_60
.LBB2441_84:
	s_waitcnt lgkmcnt(14)
	global_store_short v[0:1], v21, off offset:640
	s_or_b64 exec, exec, s[0:1]
	s_and_saveexec_b64 s[0:1], s[10:11]
	s_cbranch_execz .LBB2441_61
.LBB2441_85:
	s_waitcnt lgkmcnt(14)
	global_store_short v[0:1], v20, off offset:768
	s_or_b64 exec, exec, s[0:1]
	s_and_saveexec_b64 s[0:1], s[12:13]
	s_cbranch_execz .LBB2441_62
.LBB2441_86:
	s_waitcnt lgkmcnt(14)
	global_store_short v[0:1], v19, off offset:896
	s_or_b64 exec, exec, s[0:1]
	s_and_saveexec_b64 s[0:1], s[14:15]
	s_cbranch_execz .LBB2441_63
.LBB2441_87:
	s_waitcnt lgkmcnt(14)
	global_store_short v[0:1], v18, off offset:1024
	s_or_b64 exec, exec, s[0:1]
	s_and_saveexec_b64 s[0:1], s[16:17]
	s_cbranch_execz .LBB2441_64
.LBB2441_88:
	s_waitcnt lgkmcnt(14)
	global_store_short v[0:1], v17, off offset:1152
	s_or_b64 exec, exec, s[0:1]
	s_and_saveexec_b64 s[0:1], s[18:19]
	s_cbranch_execz .LBB2441_65
.LBB2441_89:
	s_waitcnt lgkmcnt(13)
	global_store_short v[0:1], v16, off offset:1280
	s_or_b64 exec, exec, s[0:1]
	s_and_saveexec_b64 s[0:1], s[20:21]
	s_cbranch_execz .LBB2441_66
.LBB2441_90:
	s_waitcnt lgkmcnt(12)
	global_store_short v[0:1], v15, off offset:1408
	s_or_b64 exec, exec, s[0:1]
	s_and_saveexec_b64 s[0:1], s[22:23]
	s_cbranch_execz .LBB2441_67
.LBB2441_91:
	s_waitcnt lgkmcnt(11)
	global_store_short v[0:1], v13, off offset:1536
	s_or_b64 exec, exec, s[0:1]
	s_and_saveexec_b64 s[0:1], s[24:25]
	s_cbranch_execz .LBB2441_68
.LBB2441_92:
	s_waitcnt lgkmcnt(10)
	global_store_short v[0:1], v12, off offset:1664
	s_or_b64 exec, exec, s[0:1]
	s_and_saveexec_b64 s[0:1], s[26:27]
	s_cbranch_execz .LBB2441_69
.LBB2441_93:
	s_waitcnt lgkmcnt(9)
	global_store_short v[0:1], v11, off offset:1792
	s_or_b64 exec, exec, s[0:1]
	s_and_saveexec_b64 s[0:1], s[28:29]
	s_cbranch_execz .LBB2441_70
.LBB2441_94:
	s_waitcnt lgkmcnt(8)
	global_store_short v[0:1], v10, off offset:1920
	s_or_b64 exec, exec, s[0:1]
	s_and_saveexec_b64 s[0:1], s[30:31]
	s_cbranch_execz .LBB2441_71
.LBB2441_95:
	s_waitcnt lgkmcnt(1)
	global_store_short v[0:1], v9, off offset:2048
	s_or_b64 exec, exec, s[0:1]
	s_and_saveexec_b64 s[0:1], s[34:35]
	s_cbranch_execz .LBB2441_72
.LBB2441_96:
	s_waitcnt lgkmcnt(7)
	global_store_short v[0:1], v8, off offset:2176
	s_or_b64 exec, exec, s[0:1]
	s_and_saveexec_b64 s[0:1], s[36:37]
	s_cbranch_execz .LBB2441_73
.LBB2441_97:
	s_waitcnt lgkmcnt(6)
	global_store_short v[0:1], v7, off offset:2304
	s_or_b64 exec, exec, s[0:1]
	s_and_saveexec_b64 s[0:1], s[38:39]
	s_cbranch_execz .LBB2441_74
.LBB2441_98:
	s_waitcnt lgkmcnt(5)
	global_store_short v[0:1], v6, off offset:2432
	s_or_b64 exec, exec, s[0:1]
	s_and_saveexec_b64 s[0:1], s[40:41]
	s_cbranch_execz .LBB2441_75
.LBB2441_99:
	s_waitcnt lgkmcnt(4)
	global_store_short v[0:1], v5, off offset:2560
	s_or_b64 exec, exec, s[0:1]
	s_and_saveexec_b64 s[0:1], s[42:43]
	s_cbranch_execz .LBB2441_76
.LBB2441_100:
	s_waitcnt lgkmcnt(3)
	global_store_short v[0:1], v4, off offset:2688
	s_or_b64 exec, exec, s[0:1]
	s_and_saveexec_b64 s[0:1], s[44:45]
	s_cbranch_execz .LBB2441_77
.LBB2441_101:
	s_waitcnt lgkmcnt(2)
	global_store_short v[0:1], v3, off offset:2816
	s_or_b64 exec, exec, s[0:1]
	s_and_saveexec_b64 s[0:1], s[46:47]
	s_cbranch_execz .LBB2441_78
.LBB2441_102:
	s_waitcnt lgkmcnt(0)
	global_store_short v[0:1], v2, off offset:2944
	s_endpgm
	.section	.rodata,"a",@progbits
	.p2align	6, 0x0
	.amdhsa_kernel _ZN7rocprim17ROCPRIM_400000_NS6detail17trampoline_kernelINS0_14default_configENS1_20scan_config_selectorItEEZZNS1_9scan_implILNS1_25lookback_scan_determinismE0ELb0ELb0ES3_N6thrust23THRUST_200600_302600_NS6detail15normal_iteratorINS9_10device_ptrItEEEESE_t11max_functorItEtEEDaPvRmT3_T4_T5_mT6_P12ihipStream_tbENKUlT_T0_E_clISt17integral_constantIbLb1EESU_EEDaSP_SQ_EUlSP_E0_NS1_11comp_targetILNS1_3genE4ELNS1_11target_archE910ELNS1_3gpuE8ELNS1_3repE0EEENS1_30default_config_static_selectorELNS0_4arch9wavefront6targetE1EEEvT1_
		.amdhsa_group_segment_fixed_size 3072
		.amdhsa_private_segment_fixed_size 0
		.amdhsa_kernarg_size 32
		.amdhsa_user_sgpr_count 6
		.amdhsa_user_sgpr_private_segment_buffer 1
		.amdhsa_user_sgpr_dispatch_ptr 0
		.amdhsa_user_sgpr_queue_ptr 0
		.amdhsa_user_sgpr_kernarg_segment_ptr 1
		.amdhsa_user_sgpr_dispatch_id 0
		.amdhsa_user_sgpr_flat_scratch_init 0
		.amdhsa_user_sgpr_kernarg_preload_length 0
		.amdhsa_user_sgpr_kernarg_preload_offset 0
		.amdhsa_user_sgpr_private_segment_size 0
		.amdhsa_uses_dynamic_stack 0
		.amdhsa_system_sgpr_private_segment_wavefront_offset 0
		.amdhsa_system_sgpr_workgroup_id_x 1
		.amdhsa_system_sgpr_workgroup_id_y 0
		.amdhsa_system_sgpr_workgroup_id_z 0
		.amdhsa_system_sgpr_workgroup_info 0
		.amdhsa_system_vgpr_workitem_id 0
		.amdhsa_next_free_vgpr 43
		.amdhsa_next_free_sgpr 56
		.amdhsa_accum_offset 44
		.amdhsa_reserve_vcc 1
		.amdhsa_reserve_flat_scratch 0
		.amdhsa_float_round_mode_32 0
		.amdhsa_float_round_mode_16_64 0
		.amdhsa_float_denorm_mode_32 3
		.amdhsa_float_denorm_mode_16_64 3
		.amdhsa_dx10_clamp 1
		.amdhsa_ieee_mode 1
		.amdhsa_fp16_overflow 0
		.amdhsa_tg_split 0
		.amdhsa_exception_fp_ieee_invalid_op 0
		.amdhsa_exception_fp_denorm_src 0
		.amdhsa_exception_fp_ieee_div_zero 0
		.amdhsa_exception_fp_ieee_overflow 0
		.amdhsa_exception_fp_ieee_underflow 0
		.amdhsa_exception_fp_ieee_inexact 0
		.amdhsa_exception_int_div_zero 0
	.end_amdhsa_kernel
	.section	.text._ZN7rocprim17ROCPRIM_400000_NS6detail17trampoline_kernelINS0_14default_configENS1_20scan_config_selectorItEEZZNS1_9scan_implILNS1_25lookback_scan_determinismE0ELb0ELb0ES3_N6thrust23THRUST_200600_302600_NS6detail15normal_iteratorINS9_10device_ptrItEEEESE_t11max_functorItEtEEDaPvRmT3_T4_T5_mT6_P12ihipStream_tbENKUlT_T0_E_clISt17integral_constantIbLb1EESU_EEDaSP_SQ_EUlSP_E0_NS1_11comp_targetILNS1_3genE4ELNS1_11target_archE910ELNS1_3gpuE8ELNS1_3repE0EEENS1_30default_config_static_selectorELNS0_4arch9wavefront6targetE1EEEvT1_,"axG",@progbits,_ZN7rocprim17ROCPRIM_400000_NS6detail17trampoline_kernelINS0_14default_configENS1_20scan_config_selectorItEEZZNS1_9scan_implILNS1_25lookback_scan_determinismE0ELb0ELb0ES3_N6thrust23THRUST_200600_302600_NS6detail15normal_iteratorINS9_10device_ptrItEEEESE_t11max_functorItEtEEDaPvRmT3_T4_T5_mT6_P12ihipStream_tbENKUlT_T0_E_clISt17integral_constantIbLb1EESU_EEDaSP_SQ_EUlSP_E0_NS1_11comp_targetILNS1_3genE4ELNS1_11target_archE910ELNS1_3gpuE8ELNS1_3repE0EEENS1_30default_config_static_selectorELNS0_4arch9wavefront6targetE1EEEvT1_,comdat
.Lfunc_end2441:
	.size	_ZN7rocprim17ROCPRIM_400000_NS6detail17trampoline_kernelINS0_14default_configENS1_20scan_config_selectorItEEZZNS1_9scan_implILNS1_25lookback_scan_determinismE0ELb0ELb0ES3_N6thrust23THRUST_200600_302600_NS6detail15normal_iteratorINS9_10device_ptrItEEEESE_t11max_functorItEtEEDaPvRmT3_T4_T5_mT6_P12ihipStream_tbENKUlT_T0_E_clISt17integral_constantIbLb1EESU_EEDaSP_SQ_EUlSP_E0_NS1_11comp_targetILNS1_3genE4ELNS1_11target_archE910ELNS1_3gpuE8ELNS1_3repE0EEENS1_30default_config_static_selectorELNS0_4arch9wavefront6targetE1EEEvT1_, .Lfunc_end2441-_ZN7rocprim17ROCPRIM_400000_NS6detail17trampoline_kernelINS0_14default_configENS1_20scan_config_selectorItEEZZNS1_9scan_implILNS1_25lookback_scan_determinismE0ELb0ELb0ES3_N6thrust23THRUST_200600_302600_NS6detail15normal_iteratorINS9_10device_ptrItEEEESE_t11max_functorItEtEEDaPvRmT3_T4_T5_mT6_P12ihipStream_tbENKUlT_T0_E_clISt17integral_constantIbLb1EESU_EEDaSP_SQ_EUlSP_E0_NS1_11comp_targetILNS1_3genE4ELNS1_11target_archE910ELNS1_3gpuE8ELNS1_3repE0EEENS1_30default_config_static_selectorELNS0_4arch9wavefront6targetE1EEEvT1_
                                        ; -- End function
	.section	.AMDGPU.csdata,"",@progbits
; Kernel info:
; codeLenInByte = 3120
; NumSgprs: 60
; NumVgprs: 43
; NumAgprs: 0
; TotalNumVgprs: 43
; ScratchSize: 0
; MemoryBound: 0
; FloatMode: 240
; IeeeMode: 1
; LDSByteSize: 3072 bytes/workgroup (compile time only)
; SGPRBlocks: 7
; VGPRBlocks: 5
; NumSGPRsForWavesPerEU: 60
; NumVGPRsForWavesPerEU: 43
; AccumOffset: 44
; Occupancy: 6
; WaveLimiterHint : 0
; COMPUTE_PGM_RSRC2:SCRATCH_EN: 0
; COMPUTE_PGM_RSRC2:USER_SGPR: 6
; COMPUTE_PGM_RSRC2:TRAP_HANDLER: 0
; COMPUTE_PGM_RSRC2:TGID_X_EN: 1
; COMPUTE_PGM_RSRC2:TGID_Y_EN: 0
; COMPUTE_PGM_RSRC2:TGID_Z_EN: 0
; COMPUTE_PGM_RSRC2:TIDIG_COMP_CNT: 0
; COMPUTE_PGM_RSRC3_GFX90A:ACCUM_OFFSET: 10
; COMPUTE_PGM_RSRC3_GFX90A:TG_SPLIT: 0
	.section	.text._ZN7rocprim17ROCPRIM_400000_NS6detail17trampoline_kernelINS0_14default_configENS1_20scan_config_selectorItEEZZNS1_9scan_implILNS1_25lookback_scan_determinismE0ELb0ELb0ES3_N6thrust23THRUST_200600_302600_NS6detail15normal_iteratorINS9_10device_ptrItEEEESE_t11max_functorItEtEEDaPvRmT3_T4_T5_mT6_P12ihipStream_tbENKUlT_T0_E_clISt17integral_constantIbLb1EESU_EEDaSP_SQ_EUlSP_E0_NS1_11comp_targetILNS1_3genE3ELNS1_11target_archE908ELNS1_3gpuE7ELNS1_3repE0EEENS1_30default_config_static_selectorELNS0_4arch9wavefront6targetE1EEEvT1_,"axG",@progbits,_ZN7rocprim17ROCPRIM_400000_NS6detail17trampoline_kernelINS0_14default_configENS1_20scan_config_selectorItEEZZNS1_9scan_implILNS1_25lookback_scan_determinismE0ELb0ELb0ES3_N6thrust23THRUST_200600_302600_NS6detail15normal_iteratorINS9_10device_ptrItEEEESE_t11max_functorItEtEEDaPvRmT3_T4_T5_mT6_P12ihipStream_tbENKUlT_T0_E_clISt17integral_constantIbLb1EESU_EEDaSP_SQ_EUlSP_E0_NS1_11comp_targetILNS1_3genE3ELNS1_11target_archE908ELNS1_3gpuE7ELNS1_3repE0EEENS1_30default_config_static_selectorELNS0_4arch9wavefront6targetE1EEEvT1_,comdat
	.protected	_ZN7rocprim17ROCPRIM_400000_NS6detail17trampoline_kernelINS0_14default_configENS1_20scan_config_selectorItEEZZNS1_9scan_implILNS1_25lookback_scan_determinismE0ELb0ELb0ES3_N6thrust23THRUST_200600_302600_NS6detail15normal_iteratorINS9_10device_ptrItEEEESE_t11max_functorItEtEEDaPvRmT3_T4_T5_mT6_P12ihipStream_tbENKUlT_T0_E_clISt17integral_constantIbLb1EESU_EEDaSP_SQ_EUlSP_E0_NS1_11comp_targetILNS1_3genE3ELNS1_11target_archE908ELNS1_3gpuE7ELNS1_3repE0EEENS1_30default_config_static_selectorELNS0_4arch9wavefront6targetE1EEEvT1_ ; -- Begin function _ZN7rocprim17ROCPRIM_400000_NS6detail17trampoline_kernelINS0_14default_configENS1_20scan_config_selectorItEEZZNS1_9scan_implILNS1_25lookback_scan_determinismE0ELb0ELb0ES3_N6thrust23THRUST_200600_302600_NS6detail15normal_iteratorINS9_10device_ptrItEEEESE_t11max_functorItEtEEDaPvRmT3_T4_T5_mT6_P12ihipStream_tbENKUlT_T0_E_clISt17integral_constantIbLb1EESU_EEDaSP_SQ_EUlSP_E0_NS1_11comp_targetILNS1_3genE3ELNS1_11target_archE908ELNS1_3gpuE7ELNS1_3repE0EEENS1_30default_config_static_selectorELNS0_4arch9wavefront6targetE1EEEvT1_
	.globl	_ZN7rocprim17ROCPRIM_400000_NS6detail17trampoline_kernelINS0_14default_configENS1_20scan_config_selectorItEEZZNS1_9scan_implILNS1_25lookback_scan_determinismE0ELb0ELb0ES3_N6thrust23THRUST_200600_302600_NS6detail15normal_iteratorINS9_10device_ptrItEEEESE_t11max_functorItEtEEDaPvRmT3_T4_T5_mT6_P12ihipStream_tbENKUlT_T0_E_clISt17integral_constantIbLb1EESU_EEDaSP_SQ_EUlSP_E0_NS1_11comp_targetILNS1_3genE3ELNS1_11target_archE908ELNS1_3gpuE7ELNS1_3repE0EEENS1_30default_config_static_selectorELNS0_4arch9wavefront6targetE1EEEvT1_
	.p2align	8
	.type	_ZN7rocprim17ROCPRIM_400000_NS6detail17trampoline_kernelINS0_14default_configENS1_20scan_config_selectorItEEZZNS1_9scan_implILNS1_25lookback_scan_determinismE0ELb0ELb0ES3_N6thrust23THRUST_200600_302600_NS6detail15normal_iteratorINS9_10device_ptrItEEEESE_t11max_functorItEtEEDaPvRmT3_T4_T5_mT6_P12ihipStream_tbENKUlT_T0_E_clISt17integral_constantIbLb1EESU_EEDaSP_SQ_EUlSP_E0_NS1_11comp_targetILNS1_3genE3ELNS1_11target_archE908ELNS1_3gpuE7ELNS1_3repE0EEENS1_30default_config_static_selectorELNS0_4arch9wavefront6targetE1EEEvT1_,@function
_ZN7rocprim17ROCPRIM_400000_NS6detail17trampoline_kernelINS0_14default_configENS1_20scan_config_selectorItEEZZNS1_9scan_implILNS1_25lookback_scan_determinismE0ELb0ELb0ES3_N6thrust23THRUST_200600_302600_NS6detail15normal_iteratorINS9_10device_ptrItEEEESE_t11max_functorItEtEEDaPvRmT3_T4_T5_mT6_P12ihipStream_tbENKUlT_T0_E_clISt17integral_constantIbLb1EESU_EEDaSP_SQ_EUlSP_E0_NS1_11comp_targetILNS1_3genE3ELNS1_11target_archE908ELNS1_3gpuE7ELNS1_3repE0EEENS1_30default_config_static_selectorELNS0_4arch9wavefront6targetE1EEEvT1_: ; @_ZN7rocprim17ROCPRIM_400000_NS6detail17trampoline_kernelINS0_14default_configENS1_20scan_config_selectorItEEZZNS1_9scan_implILNS1_25lookback_scan_determinismE0ELb0ELb0ES3_N6thrust23THRUST_200600_302600_NS6detail15normal_iteratorINS9_10device_ptrItEEEESE_t11max_functorItEtEEDaPvRmT3_T4_T5_mT6_P12ihipStream_tbENKUlT_T0_E_clISt17integral_constantIbLb1EESU_EEDaSP_SQ_EUlSP_E0_NS1_11comp_targetILNS1_3genE3ELNS1_11target_archE908ELNS1_3gpuE7ELNS1_3repE0EEENS1_30default_config_static_selectorELNS0_4arch9wavefront6targetE1EEEvT1_
; %bb.0:
	.section	.rodata,"a",@progbits
	.p2align	6, 0x0
	.amdhsa_kernel _ZN7rocprim17ROCPRIM_400000_NS6detail17trampoline_kernelINS0_14default_configENS1_20scan_config_selectorItEEZZNS1_9scan_implILNS1_25lookback_scan_determinismE0ELb0ELb0ES3_N6thrust23THRUST_200600_302600_NS6detail15normal_iteratorINS9_10device_ptrItEEEESE_t11max_functorItEtEEDaPvRmT3_T4_T5_mT6_P12ihipStream_tbENKUlT_T0_E_clISt17integral_constantIbLb1EESU_EEDaSP_SQ_EUlSP_E0_NS1_11comp_targetILNS1_3genE3ELNS1_11target_archE908ELNS1_3gpuE7ELNS1_3repE0EEENS1_30default_config_static_selectorELNS0_4arch9wavefront6targetE1EEEvT1_
		.amdhsa_group_segment_fixed_size 0
		.amdhsa_private_segment_fixed_size 0
		.amdhsa_kernarg_size 32
		.amdhsa_user_sgpr_count 6
		.amdhsa_user_sgpr_private_segment_buffer 1
		.amdhsa_user_sgpr_dispatch_ptr 0
		.amdhsa_user_sgpr_queue_ptr 0
		.amdhsa_user_sgpr_kernarg_segment_ptr 1
		.amdhsa_user_sgpr_dispatch_id 0
		.amdhsa_user_sgpr_flat_scratch_init 0
		.amdhsa_user_sgpr_kernarg_preload_length 0
		.amdhsa_user_sgpr_kernarg_preload_offset 0
		.amdhsa_user_sgpr_private_segment_size 0
		.amdhsa_uses_dynamic_stack 0
		.amdhsa_system_sgpr_private_segment_wavefront_offset 0
		.amdhsa_system_sgpr_workgroup_id_x 1
		.amdhsa_system_sgpr_workgroup_id_y 0
		.amdhsa_system_sgpr_workgroup_id_z 0
		.amdhsa_system_sgpr_workgroup_info 0
		.amdhsa_system_vgpr_workitem_id 0
		.amdhsa_next_free_vgpr 1
		.amdhsa_next_free_sgpr 0
		.amdhsa_accum_offset 4
		.amdhsa_reserve_vcc 0
		.amdhsa_reserve_flat_scratch 0
		.amdhsa_float_round_mode_32 0
		.amdhsa_float_round_mode_16_64 0
		.amdhsa_float_denorm_mode_32 3
		.amdhsa_float_denorm_mode_16_64 3
		.amdhsa_dx10_clamp 1
		.amdhsa_ieee_mode 1
		.amdhsa_fp16_overflow 0
		.amdhsa_tg_split 0
		.amdhsa_exception_fp_ieee_invalid_op 0
		.amdhsa_exception_fp_denorm_src 0
		.amdhsa_exception_fp_ieee_div_zero 0
		.amdhsa_exception_fp_ieee_overflow 0
		.amdhsa_exception_fp_ieee_underflow 0
		.amdhsa_exception_fp_ieee_inexact 0
		.amdhsa_exception_int_div_zero 0
	.end_amdhsa_kernel
	.section	.text._ZN7rocprim17ROCPRIM_400000_NS6detail17trampoline_kernelINS0_14default_configENS1_20scan_config_selectorItEEZZNS1_9scan_implILNS1_25lookback_scan_determinismE0ELb0ELb0ES3_N6thrust23THRUST_200600_302600_NS6detail15normal_iteratorINS9_10device_ptrItEEEESE_t11max_functorItEtEEDaPvRmT3_T4_T5_mT6_P12ihipStream_tbENKUlT_T0_E_clISt17integral_constantIbLb1EESU_EEDaSP_SQ_EUlSP_E0_NS1_11comp_targetILNS1_3genE3ELNS1_11target_archE908ELNS1_3gpuE7ELNS1_3repE0EEENS1_30default_config_static_selectorELNS0_4arch9wavefront6targetE1EEEvT1_,"axG",@progbits,_ZN7rocprim17ROCPRIM_400000_NS6detail17trampoline_kernelINS0_14default_configENS1_20scan_config_selectorItEEZZNS1_9scan_implILNS1_25lookback_scan_determinismE0ELb0ELb0ES3_N6thrust23THRUST_200600_302600_NS6detail15normal_iteratorINS9_10device_ptrItEEEESE_t11max_functorItEtEEDaPvRmT3_T4_T5_mT6_P12ihipStream_tbENKUlT_T0_E_clISt17integral_constantIbLb1EESU_EEDaSP_SQ_EUlSP_E0_NS1_11comp_targetILNS1_3genE3ELNS1_11target_archE908ELNS1_3gpuE7ELNS1_3repE0EEENS1_30default_config_static_selectorELNS0_4arch9wavefront6targetE1EEEvT1_,comdat
.Lfunc_end2442:
	.size	_ZN7rocprim17ROCPRIM_400000_NS6detail17trampoline_kernelINS0_14default_configENS1_20scan_config_selectorItEEZZNS1_9scan_implILNS1_25lookback_scan_determinismE0ELb0ELb0ES3_N6thrust23THRUST_200600_302600_NS6detail15normal_iteratorINS9_10device_ptrItEEEESE_t11max_functorItEtEEDaPvRmT3_T4_T5_mT6_P12ihipStream_tbENKUlT_T0_E_clISt17integral_constantIbLb1EESU_EEDaSP_SQ_EUlSP_E0_NS1_11comp_targetILNS1_3genE3ELNS1_11target_archE908ELNS1_3gpuE7ELNS1_3repE0EEENS1_30default_config_static_selectorELNS0_4arch9wavefront6targetE1EEEvT1_, .Lfunc_end2442-_ZN7rocprim17ROCPRIM_400000_NS6detail17trampoline_kernelINS0_14default_configENS1_20scan_config_selectorItEEZZNS1_9scan_implILNS1_25lookback_scan_determinismE0ELb0ELb0ES3_N6thrust23THRUST_200600_302600_NS6detail15normal_iteratorINS9_10device_ptrItEEEESE_t11max_functorItEtEEDaPvRmT3_T4_T5_mT6_P12ihipStream_tbENKUlT_T0_E_clISt17integral_constantIbLb1EESU_EEDaSP_SQ_EUlSP_E0_NS1_11comp_targetILNS1_3genE3ELNS1_11target_archE908ELNS1_3gpuE7ELNS1_3repE0EEENS1_30default_config_static_selectorELNS0_4arch9wavefront6targetE1EEEvT1_
                                        ; -- End function
	.section	.AMDGPU.csdata,"",@progbits
; Kernel info:
; codeLenInByte = 0
; NumSgprs: 4
; NumVgprs: 0
; NumAgprs: 0
; TotalNumVgprs: 0
; ScratchSize: 0
; MemoryBound: 0
; FloatMode: 240
; IeeeMode: 1
; LDSByteSize: 0 bytes/workgroup (compile time only)
; SGPRBlocks: 0
; VGPRBlocks: 0
; NumSGPRsForWavesPerEU: 4
; NumVGPRsForWavesPerEU: 1
; AccumOffset: 4
; Occupancy: 8
; WaveLimiterHint : 0
; COMPUTE_PGM_RSRC2:SCRATCH_EN: 0
; COMPUTE_PGM_RSRC2:USER_SGPR: 6
; COMPUTE_PGM_RSRC2:TRAP_HANDLER: 0
; COMPUTE_PGM_RSRC2:TGID_X_EN: 1
; COMPUTE_PGM_RSRC2:TGID_Y_EN: 0
; COMPUTE_PGM_RSRC2:TGID_Z_EN: 0
; COMPUTE_PGM_RSRC2:TIDIG_COMP_CNT: 0
; COMPUTE_PGM_RSRC3_GFX90A:ACCUM_OFFSET: 0
; COMPUTE_PGM_RSRC3_GFX90A:TG_SPLIT: 0
	.section	.text._ZN7rocprim17ROCPRIM_400000_NS6detail17trampoline_kernelINS0_14default_configENS1_20scan_config_selectorItEEZZNS1_9scan_implILNS1_25lookback_scan_determinismE0ELb0ELb0ES3_N6thrust23THRUST_200600_302600_NS6detail15normal_iteratorINS9_10device_ptrItEEEESE_t11max_functorItEtEEDaPvRmT3_T4_T5_mT6_P12ihipStream_tbENKUlT_T0_E_clISt17integral_constantIbLb1EESU_EEDaSP_SQ_EUlSP_E0_NS1_11comp_targetILNS1_3genE2ELNS1_11target_archE906ELNS1_3gpuE6ELNS1_3repE0EEENS1_30default_config_static_selectorELNS0_4arch9wavefront6targetE1EEEvT1_,"axG",@progbits,_ZN7rocprim17ROCPRIM_400000_NS6detail17trampoline_kernelINS0_14default_configENS1_20scan_config_selectorItEEZZNS1_9scan_implILNS1_25lookback_scan_determinismE0ELb0ELb0ES3_N6thrust23THRUST_200600_302600_NS6detail15normal_iteratorINS9_10device_ptrItEEEESE_t11max_functorItEtEEDaPvRmT3_T4_T5_mT6_P12ihipStream_tbENKUlT_T0_E_clISt17integral_constantIbLb1EESU_EEDaSP_SQ_EUlSP_E0_NS1_11comp_targetILNS1_3genE2ELNS1_11target_archE906ELNS1_3gpuE6ELNS1_3repE0EEENS1_30default_config_static_selectorELNS0_4arch9wavefront6targetE1EEEvT1_,comdat
	.protected	_ZN7rocprim17ROCPRIM_400000_NS6detail17trampoline_kernelINS0_14default_configENS1_20scan_config_selectorItEEZZNS1_9scan_implILNS1_25lookback_scan_determinismE0ELb0ELb0ES3_N6thrust23THRUST_200600_302600_NS6detail15normal_iteratorINS9_10device_ptrItEEEESE_t11max_functorItEtEEDaPvRmT3_T4_T5_mT6_P12ihipStream_tbENKUlT_T0_E_clISt17integral_constantIbLb1EESU_EEDaSP_SQ_EUlSP_E0_NS1_11comp_targetILNS1_3genE2ELNS1_11target_archE906ELNS1_3gpuE6ELNS1_3repE0EEENS1_30default_config_static_selectorELNS0_4arch9wavefront6targetE1EEEvT1_ ; -- Begin function _ZN7rocprim17ROCPRIM_400000_NS6detail17trampoline_kernelINS0_14default_configENS1_20scan_config_selectorItEEZZNS1_9scan_implILNS1_25lookback_scan_determinismE0ELb0ELb0ES3_N6thrust23THRUST_200600_302600_NS6detail15normal_iteratorINS9_10device_ptrItEEEESE_t11max_functorItEtEEDaPvRmT3_T4_T5_mT6_P12ihipStream_tbENKUlT_T0_E_clISt17integral_constantIbLb1EESU_EEDaSP_SQ_EUlSP_E0_NS1_11comp_targetILNS1_3genE2ELNS1_11target_archE906ELNS1_3gpuE6ELNS1_3repE0EEENS1_30default_config_static_selectorELNS0_4arch9wavefront6targetE1EEEvT1_
	.globl	_ZN7rocprim17ROCPRIM_400000_NS6detail17trampoline_kernelINS0_14default_configENS1_20scan_config_selectorItEEZZNS1_9scan_implILNS1_25lookback_scan_determinismE0ELb0ELb0ES3_N6thrust23THRUST_200600_302600_NS6detail15normal_iteratorINS9_10device_ptrItEEEESE_t11max_functorItEtEEDaPvRmT3_T4_T5_mT6_P12ihipStream_tbENKUlT_T0_E_clISt17integral_constantIbLb1EESU_EEDaSP_SQ_EUlSP_E0_NS1_11comp_targetILNS1_3genE2ELNS1_11target_archE906ELNS1_3gpuE6ELNS1_3repE0EEENS1_30default_config_static_selectorELNS0_4arch9wavefront6targetE1EEEvT1_
	.p2align	8
	.type	_ZN7rocprim17ROCPRIM_400000_NS6detail17trampoline_kernelINS0_14default_configENS1_20scan_config_selectorItEEZZNS1_9scan_implILNS1_25lookback_scan_determinismE0ELb0ELb0ES3_N6thrust23THRUST_200600_302600_NS6detail15normal_iteratorINS9_10device_ptrItEEEESE_t11max_functorItEtEEDaPvRmT3_T4_T5_mT6_P12ihipStream_tbENKUlT_T0_E_clISt17integral_constantIbLb1EESU_EEDaSP_SQ_EUlSP_E0_NS1_11comp_targetILNS1_3genE2ELNS1_11target_archE906ELNS1_3gpuE6ELNS1_3repE0EEENS1_30default_config_static_selectorELNS0_4arch9wavefront6targetE1EEEvT1_,@function
_ZN7rocprim17ROCPRIM_400000_NS6detail17trampoline_kernelINS0_14default_configENS1_20scan_config_selectorItEEZZNS1_9scan_implILNS1_25lookback_scan_determinismE0ELb0ELb0ES3_N6thrust23THRUST_200600_302600_NS6detail15normal_iteratorINS9_10device_ptrItEEEESE_t11max_functorItEtEEDaPvRmT3_T4_T5_mT6_P12ihipStream_tbENKUlT_T0_E_clISt17integral_constantIbLb1EESU_EEDaSP_SQ_EUlSP_E0_NS1_11comp_targetILNS1_3genE2ELNS1_11target_archE906ELNS1_3gpuE6ELNS1_3repE0EEENS1_30default_config_static_selectorELNS0_4arch9wavefront6targetE1EEEvT1_: ; @_ZN7rocprim17ROCPRIM_400000_NS6detail17trampoline_kernelINS0_14default_configENS1_20scan_config_selectorItEEZZNS1_9scan_implILNS1_25lookback_scan_determinismE0ELb0ELb0ES3_N6thrust23THRUST_200600_302600_NS6detail15normal_iteratorINS9_10device_ptrItEEEESE_t11max_functorItEtEEDaPvRmT3_T4_T5_mT6_P12ihipStream_tbENKUlT_T0_E_clISt17integral_constantIbLb1EESU_EEDaSP_SQ_EUlSP_E0_NS1_11comp_targetILNS1_3genE2ELNS1_11target_archE906ELNS1_3gpuE6ELNS1_3repE0EEENS1_30default_config_static_selectorELNS0_4arch9wavefront6targetE1EEEvT1_
; %bb.0:
	.section	.rodata,"a",@progbits
	.p2align	6, 0x0
	.amdhsa_kernel _ZN7rocprim17ROCPRIM_400000_NS6detail17trampoline_kernelINS0_14default_configENS1_20scan_config_selectorItEEZZNS1_9scan_implILNS1_25lookback_scan_determinismE0ELb0ELb0ES3_N6thrust23THRUST_200600_302600_NS6detail15normal_iteratorINS9_10device_ptrItEEEESE_t11max_functorItEtEEDaPvRmT3_T4_T5_mT6_P12ihipStream_tbENKUlT_T0_E_clISt17integral_constantIbLb1EESU_EEDaSP_SQ_EUlSP_E0_NS1_11comp_targetILNS1_3genE2ELNS1_11target_archE906ELNS1_3gpuE6ELNS1_3repE0EEENS1_30default_config_static_selectorELNS0_4arch9wavefront6targetE1EEEvT1_
		.amdhsa_group_segment_fixed_size 0
		.amdhsa_private_segment_fixed_size 0
		.amdhsa_kernarg_size 32
		.amdhsa_user_sgpr_count 6
		.amdhsa_user_sgpr_private_segment_buffer 1
		.amdhsa_user_sgpr_dispatch_ptr 0
		.amdhsa_user_sgpr_queue_ptr 0
		.amdhsa_user_sgpr_kernarg_segment_ptr 1
		.amdhsa_user_sgpr_dispatch_id 0
		.amdhsa_user_sgpr_flat_scratch_init 0
		.amdhsa_user_sgpr_kernarg_preload_length 0
		.amdhsa_user_sgpr_kernarg_preload_offset 0
		.amdhsa_user_sgpr_private_segment_size 0
		.amdhsa_uses_dynamic_stack 0
		.amdhsa_system_sgpr_private_segment_wavefront_offset 0
		.amdhsa_system_sgpr_workgroup_id_x 1
		.amdhsa_system_sgpr_workgroup_id_y 0
		.amdhsa_system_sgpr_workgroup_id_z 0
		.amdhsa_system_sgpr_workgroup_info 0
		.amdhsa_system_vgpr_workitem_id 0
		.amdhsa_next_free_vgpr 1
		.amdhsa_next_free_sgpr 0
		.amdhsa_accum_offset 4
		.amdhsa_reserve_vcc 0
		.amdhsa_reserve_flat_scratch 0
		.amdhsa_float_round_mode_32 0
		.amdhsa_float_round_mode_16_64 0
		.amdhsa_float_denorm_mode_32 3
		.amdhsa_float_denorm_mode_16_64 3
		.amdhsa_dx10_clamp 1
		.amdhsa_ieee_mode 1
		.amdhsa_fp16_overflow 0
		.amdhsa_tg_split 0
		.amdhsa_exception_fp_ieee_invalid_op 0
		.amdhsa_exception_fp_denorm_src 0
		.amdhsa_exception_fp_ieee_div_zero 0
		.amdhsa_exception_fp_ieee_overflow 0
		.amdhsa_exception_fp_ieee_underflow 0
		.amdhsa_exception_fp_ieee_inexact 0
		.amdhsa_exception_int_div_zero 0
	.end_amdhsa_kernel
	.section	.text._ZN7rocprim17ROCPRIM_400000_NS6detail17trampoline_kernelINS0_14default_configENS1_20scan_config_selectorItEEZZNS1_9scan_implILNS1_25lookback_scan_determinismE0ELb0ELb0ES3_N6thrust23THRUST_200600_302600_NS6detail15normal_iteratorINS9_10device_ptrItEEEESE_t11max_functorItEtEEDaPvRmT3_T4_T5_mT6_P12ihipStream_tbENKUlT_T0_E_clISt17integral_constantIbLb1EESU_EEDaSP_SQ_EUlSP_E0_NS1_11comp_targetILNS1_3genE2ELNS1_11target_archE906ELNS1_3gpuE6ELNS1_3repE0EEENS1_30default_config_static_selectorELNS0_4arch9wavefront6targetE1EEEvT1_,"axG",@progbits,_ZN7rocprim17ROCPRIM_400000_NS6detail17trampoline_kernelINS0_14default_configENS1_20scan_config_selectorItEEZZNS1_9scan_implILNS1_25lookback_scan_determinismE0ELb0ELb0ES3_N6thrust23THRUST_200600_302600_NS6detail15normal_iteratorINS9_10device_ptrItEEEESE_t11max_functorItEtEEDaPvRmT3_T4_T5_mT6_P12ihipStream_tbENKUlT_T0_E_clISt17integral_constantIbLb1EESU_EEDaSP_SQ_EUlSP_E0_NS1_11comp_targetILNS1_3genE2ELNS1_11target_archE906ELNS1_3gpuE6ELNS1_3repE0EEENS1_30default_config_static_selectorELNS0_4arch9wavefront6targetE1EEEvT1_,comdat
.Lfunc_end2443:
	.size	_ZN7rocprim17ROCPRIM_400000_NS6detail17trampoline_kernelINS0_14default_configENS1_20scan_config_selectorItEEZZNS1_9scan_implILNS1_25lookback_scan_determinismE0ELb0ELb0ES3_N6thrust23THRUST_200600_302600_NS6detail15normal_iteratorINS9_10device_ptrItEEEESE_t11max_functorItEtEEDaPvRmT3_T4_T5_mT6_P12ihipStream_tbENKUlT_T0_E_clISt17integral_constantIbLb1EESU_EEDaSP_SQ_EUlSP_E0_NS1_11comp_targetILNS1_3genE2ELNS1_11target_archE906ELNS1_3gpuE6ELNS1_3repE0EEENS1_30default_config_static_selectorELNS0_4arch9wavefront6targetE1EEEvT1_, .Lfunc_end2443-_ZN7rocprim17ROCPRIM_400000_NS6detail17trampoline_kernelINS0_14default_configENS1_20scan_config_selectorItEEZZNS1_9scan_implILNS1_25lookback_scan_determinismE0ELb0ELb0ES3_N6thrust23THRUST_200600_302600_NS6detail15normal_iteratorINS9_10device_ptrItEEEESE_t11max_functorItEtEEDaPvRmT3_T4_T5_mT6_P12ihipStream_tbENKUlT_T0_E_clISt17integral_constantIbLb1EESU_EEDaSP_SQ_EUlSP_E0_NS1_11comp_targetILNS1_3genE2ELNS1_11target_archE906ELNS1_3gpuE6ELNS1_3repE0EEENS1_30default_config_static_selectorELNS0_4arch9wavefront6targetE1EEEvT1_
                                        ; -- End function
	.section	.AMDGPU.csdata,"",@progbits
; Kernel info:
; codeLenInByte = 0
; NumSgprs: 4
; NumVgprs: 0
; NumAgprs: 0
; TotalNumVgprs: 0
; ScratchSize: 0
; MemoryBound: 0
; FloatMode: 240
; IeeeMode: 1
; LDSByteSize: 0 bytes/workgroup (compile time only)
; SGPRBlocks: 0
; VGPRBlocks: 0
; NumSGPRsForWavesPerEU: 4
; NumVGPRsForWavesPerEU: 1
; AccumOffset: 4
; Occupancy: 8
; WaveLimiterHint : 0
; COMPUTE_PGM_RSRC2:SCRATCH_EN: 0
; COMPUTE_PGM_RSRC2:USER_SGPR: 6
; COMPUTE_PGM_RSRC2:TRAP_HANDLER: 0
; COMPUTE_PGM_RSRC2:TGID_X_EN: 1
; COMPUTE_PGM_RSRC2:TGID_Y_EN: 0
; COMPUTE_PGM_RSRC2:TGID_Z_EN: 0
; COMPUTE_PGM_RSRC2:TIDIG_COMP_CNT: 0
; COMPUTE_PGM_RSRC3_GFX90A:ACCUM_OFFSET: 0
; COMPUTE_PGM_RSRC3_GFX90A:TG_SPLIT: 0
	.section	.text._ZN7rocprim17ROCPRIM_400000_NS6detail17trampoline_kernelINS0_14default_configENS1_20scan_config_selectorItEEZZNS1_9scan_implILNS1_25lookback_scan_determinismE0ELb0ELb0ES3_N6thrust23THRUST_200600_302600_NS6detail15normal_iteratorINS9_10device_ptrItEEEESE_t11max_functorItEtEEDaPvRmT3_T4_T5_mT6_P12ihipStream_tbENKUlT_T0_E_clISt17integral_constantIbLb1EESU_EEDaSP_SQ_EUlSP_E0_NS1_11comp_targetILNS1_3genE10ELNS1_11target_archE1201ELNS1_3gpuE5ELNS1_3repE0EEENS1_30default_config_static_selectorELNS0_4arch9wavefront6targetE1EEEvT1_,"axG",@progbits,_ZN7rocprim17ROCPRIM_400000_NS6detail17trampoline_kernelINS0_14default_configENS1_20scan_config_selectorItEEZZNS1_9scan_implILNS1_25lookback_scan_determinismE0ELb0ELb0ES3_N6thrust23THRUST_200600_302600_NS6detail15normal_iteratorINS9_10device_ptrItEEEESE_t11max_functorItEtEEDaPvRmT3_T4_T5_mT6_P12ihipStream_tbENKUlT_T0_E_clISt17integral_constantIbLb1EESU_EEDaSP_SQ_EUlSP_E0_NS1_11comp_targetILNS1_3genE10ELNS1_11target_archE1201ELNS1_3gpuE5ELNS1_3repE0EEENS1_30default_config_static_selectorELNS0_4arch9wavefront6targetE1EEEvT1_,comdat
	.protected	_ZN7rocprim17ROCPRIM_400000_NS6detail17trampoline_kernelINS0_14default_configENS1_20scan_config_selectorItEEZZNS1_9scan_implILNS1_25lookback_scan_determinismE0ELb0ELb0ES3_N6thrust23THRUST_200600_302600_NS6detail15normal_iteratorINS9_10device_ptrItEEEESE_t11max_functorItEtEEDaPvRmT3_T4_T5_mT6_P12ihipStream_tbENKUlT_T0_E_clISt17integral_constantIbLb1EESU_EEDaSP_SQ_EUlSP_E0_NS1_11comp_targetILNS1_3genE10ELNS1_11target_archE1201ELNS1_3gpuE5ELNS1_3repE0EEENS1_30default_config_static_selectorELNS0_4arch9wavefront6targetE1EEEvT1_ ; -- Begin function _ZN7rocprim17ROCPRIM_400000_NS6detail17trampoline_kernelINS0_14default_configENS1_20scan_config_selectorItEEZZNS1_9scan_implILNS1_25lookback_scan_determinismE0ELb0ELb0ES3_N6thrust23THRUST_200600_302600_NS6detail15normal_iteratorINS9_10device_ptrItEEEESE_t11max_functorItEtEEDaPvRmT3_T4_T5_mT6_P12ihipStream_tbENKUlT_T0_E_clISt17integral_constantIbLb1EESU_EEDaSP_SQ_EUlSP_E0_NS1_11comp_targetILNS1_3genE10ELNS1_11target_archE1201ELNS1_3gpuE5ELNS1_3repE0EEENS1_30default_config_static_selectorELNS0_4arch9wavefront6targetE1EEEvT1_
	.globl	_ZN7rocprim17ROCPRIM_400000_NS6detail17trampoline_kernelINS0_14default_configENS1_20scan_config_selectorItEEZZNS1_9scan_implILNS1_25lookback_scan_determinismE0ELb0ELb0ES3_N6thrust23THRUST_200600_302600_NS6detail15normal_iteratorINS9_10device_ptrItEEEESE_t11max_functorItEtEEDaPvRmT3_T4_T5_mT6_P12ihipStream_tbENKUlT_T0_E_clISt17integral_constantIbLb1EESU_EEDaSP_SQ_EUlSP_E0_NS1_11comp_targetILNS1_3genE10ELNS1_11target_archE1201ELNS1_3gpuE5ELNS1_3repE0EEENS1_30default_config_static_selectorELNS0_4arch9wavefront6targetE1EEEvT1_
	.p2align	8
	.type	_ZN7rocprim17ROCPRIM_400000_NS6detail17trampoline_kernelINS0_14default_configENS1_20scan_config_selectorItEEZZNS1_9scan_implILNS1_25lookback_scan_determinismE0ELb0ELb0ES3_N6thrust23THRUST_200600_302600_NS6detail15normal_iteratorINS9_10device_ptrItEEEESE_t11max_functorItEtEEDaPvRmT3_T4_T5_mT6_P12ihipStream_tbENKUlT_T0_E_clISt17integral_constantIbLb1EESU_EEDaSP_SQ_EUlSP_E0_NS1_11comp_targetILNS1_3genE10ELNS1_11target_archE1201ELNS1_3gpuE5ELNS1_3repE0EEENS1_30default_config_static_selectorELNS0_4arch9wavefront6targetE1EEEvT1_,@function
_ZN7rocprim17ROCPRIM_400000_NS6detail17trampoline_kernelINS0_14default_configENS1_20scan_config_selectorItEEZZNS1_9scan_implILNS1_25lookback_scan_determinismE0ELb0ELb0ES3_N6thrust23THRUST_200600_302600_NS6detail15normal_iteratorINS9_10device_ptrItEEEESE_t11max_functorItEtEEDaPvRmT3_T4_T5_mT6_P12ihipStream_tbENKUlT_T0_E_clISt17integral_constantIbLb1EESU_EEDaSP_SQ_EUlSP_E0_NS1_11comp_targetILNS1_3genE10ELNS1_11target_archE1201ELNS1_3gpuE5ELNS1_3repE0EEENS1_30default_config_static_selectorELNS0_4arch9wavefront6targetE1EEEvT1_: ; @_ZN7rocprim17ROCPRIM_400000_NS6detail17trampoline_kernelINS0_14default_configENS1_20scan_config_selectorItEEZZNS1_9scan_implILNS1_25lookback_scan_determinismE0ELb0ELb0ES3_N6thrust23THRUST_200600_302600_NS6detail15normal_iteratorINS9_10device_ptrItEEEESE_t11max_functorItEtEEDaPvRmT3_T4_T5_mT6_P12ihipStream_tbENKUlT_T0_E_clISt17integral_constantIbLb1EESU_EEDaSP_SQ_EUlSP_E0_NS1_11comp_targetILNS1_3genE10ELNS1_11target_archE1201ELNS1_3gpuE5ELNS1_3repE0EEENS1_30default_config_static_selectorELNS0_4arch9wavefront6targetE1EEEvT1_
; %bb.0:
	.section	.rodata,"a",@progbits
	.p2align	6, 0x0
	.amdhsa_kernel _ZN7rocprim17ROCPRIM_400000_NS6detail17trampoline_kernelINS0_14default_configENS1_20scan_config_selectorItEEZZNS1_9scan_implILNS1_25lookback_scan_determinismE0ELb0ELb0ES3_N6thrust23THRUST_200600_302600_NS6detail15normal_iteratorINS9_10device_ptrItEEEESE_t11max_functorItEtEEDaPvRmT3_T4_T5_mT6_P12ihipStream_tbENKUlT_T0_E_clISt17integral_constantIbLb1EESU_EEDaSP_SQ_EUlSP_E0_NS1_11comp_targetILNS1_3genE10ELNS1_11target_archE1201ELNS1_3gpuE5ELNS1_3repE0EEENS1_30default_config_static_selectorELNS0_4arch9wavefront6targetE1EEEvT1_
		.amdhsa_group_segment_fixed_size 0
		.amdhsa_private_segment_fixed_size 0
		.amdhsa_kernarg_size 32
		.amdhsa_user_sgpr_count 6
		.amdhsa_user_sgpr_private_segment_buffer 1
		.amdhsa_user_sgpr_dispatch_ptr 0
		.amdhsa_user_sgpr_queue_ptr 0
		.amdhsa_user_sgpr_kernarg_segment_ptr 1
		.amdhsa_user_sgpr_dispatch_id 0
		.amdhsa_user_sgpr_flat_scratch_init 0
		.amdhsa_user_sgpr_kernarg_preload_length 0
		.amdhsa_user_sgpr_kernarg_preload_offset 0
		.amdhsa_user_sgpr_private_segment_size 0
		.amdhsa_uses_dynamic_stack 0
		.amdhsa_system_sgpr_private_segment_wavefront_offset 0
		.amdhsa_system_sgpr_workgroup_id_x 1
		.amdhsa_system_sgpr_workgroup_id_y 0
		.amdhsa_system_sgpr_workgroup_id_z 0
		.amdhsa_system_sgpr_workgroup_info 0
		.amdhsa_system_vgpr_workitem_id 0
		.amdhsa_next_free_vgpr 1
		.amdhsa_next_free_sgpr 0
		.amdhsa_accum_offset 4
		.amdhsa_reserve_vcc 0
		.amdhsa_reserve_flat_scratch 0
		.amdhsa_float_round_mode_32 0
		.amdhsa_float_round_mode_16_64 0
		.amdhsa_float_denorm_mode_32 3
		.amdhsa_float_denorm_mode_16_64 3
		.amdhsa_dx10_clamp 1
		.amdhsa_ieee_mode 1
		.amdhsa_fp16_overflow 0
		.amdhsa_tg_split 0
		.amdhsa_exception_fp_ieee_invalid_op 0
		.amdhsa_exception_fp_denorm_src 0
		.amdhsa_exception_fp_ieee_div_zero 0
		.amdhsa_exception_fp_ieee_overflow 0
		.amdhsa_exception_fp_ieee_underflow 0
		.amdhsa_exception_fp_ieee_inexact 0
		.amdhsa_exception_int_div_zero 0
	.end_amdhsa_kernel
	.section	.text._ZN7rocprim17ROCPRIM_400000_NS6detail17trampoline_kernelINS0_14default_configENS1_20scan_config_selectorItEEZZNS1_9scan_implILNS1_25lookback_scan_determinismE0ELb0ELb0ES3_N6thrust23THRUST_200600_302600_NS6detail15normal_iteratorINS9_10device_ptrItEEEESE_t11max_functorItEtEEDaPvRmT3_T4_T5_mT6_P12ihipStream_tbENKUlT_T0_E_clISt17integral_constantIbLb1EESU_EEDaSP_SQ_EUlSP_E0_NS1_11comp_targetILNS1_3genE10ELNS1_11target_archE1201ELNS1_3gpuE5ELNS1_3repE0EEENS1_30default_config_static_selectorELNS0_4arch9wavefront6targetE1EEEvT1_,"axG",@progbits,_ZN7rocprim17ROCPRIM_400000_NS6detail17trampoline_kernelINS0_14default_configENS1_20scan_config_selectorItEEZZNS1_9scan_implILNS1_25lookback_scan_determinismE0ELb0ELb0ES3_N6thrust23THRUST_200600_302600_NS6detail15normal_iteratorINS9_10device_ptrItEEEESE_t11max_functorItEtEEDaPvRmT3_T4_T5_mT6_P12ihipStream_tbENKUlT_T0_E_clISt17integral_constantIbLb1EESU_EEDaSP_SQ_EUlSP_E0_NS1_11comp_targetILNS1_3genE10ELNS1_11target_archE1201ELNS1_3gpuE5ELNS1_3repE0EEENS1_30default_config_static_selectorELNS0_4arch9wavefront6targetE1EEEvT1_,comdat
.Lfunc_end2444:
	.size	_ZN7rocprim17ROCPRIM_400000_NS6detail17trampoline_kernelINS0_14default_configENS1_20scan_config_selectorItEEZZNS1_9scan_implILNS1_25lookback_scan_determinismE0ELb0ELb0ES3_N6thrust23THRUST_200600_302600_NS6detail15normal_iteratorINS9_10device_ptrItEEEESE_t11max_functorItEtEEDaPvRmT3_T4_T5_mT6_P12ihipStream_tbENKUlT_T0_E_clISt17integral_constantIbLb1EESU_EEDaSP_SQ_EUlSP_E0_NS1_11comp_targetILNS1_3genE10ELNS1_11target_archE1201ELNS1_3gpuE5ELNS1_3repE0EEENS1_30default_config_static_selectorELNS0_4arch9wavefront6targetE1EEEvT1_, .Lfunc_end2444-_ZN7rocprim17ROCPRIM_400000_NS6detail17trampoline_kernelINS0_14default_configENS1_20scan_config_selectorItEEZZNS1_9scan_implILNS1_25lookback_scan_determinismE0ELb0ELb0ES3_N6thrust23THRUST_200600_302600_NS6detail15normal_iteratorINS9_10device_ptrItEEEESE_t11max_functorItEtEEDaPvRmT3_T4_T5_mT6_P12ihipStream_tbENKUlT_T0_E_clISt17integral_constantIbLb1EESU_EEDaSP_SQ_EUlSP_E0_NS1_11comp_targetILNS1_3genE10ELNS1_11target_archE1201ELNS1_3gpuE5ELNS1_3repE0EEENS1_30default_config_static_selectorELNS0_4arch9wavefront6targetE1EEEvT1_
                                        ; -- End function
	.section	.AMDGPU.csdata,"",@progbits
; Kernel info:
; codeLenInByte = 0
; NumSgprs: 4
; NumVgprs: 0
; NumAgprs: 0
; TotalNumVgprs: 0
; ScratchSize: 0
; MemoryBound: 0
; FloatMode: 240
; IeeeMode: 1
; LDSByteSize: 0 bytes/workgroup (compile time only)
; SGPRBlocks: 0
; VGPRBlocks: 0
; NumSGPRsForWavesPerEU: 4
; NumVGPRsForWavesPerEU: 1
; AccumOffset: 4
; Occupancy: 8
; WaveLimiterHint : 0
; COMPUTE_PGM_RSRC2:SCRATCH_EN: 0
; COMPUTE_PGM_RSRC2:USER_SGPR: 6
; COMPUTE_PGM_RSRC2:TRAP_HANDLER: 0
; COMPUTE_PGM_RSRC2:TGID_X_EN: 1
; COMPUTE_PGM_RSRC2:TGID_Y_EN: 0
; COMPUTE_PGM_RSRC2:TGID_Z_EN: 0
; COMPUTE_PGM_RSRC2:TIDIG_COMP_CNT: 0
; COMPUTE_PGM_RSRC3_GFX90A:ACCUM_OFFSET: 0
; COMPUTE_PGM_RSRC3_GFX90A:TG_SPLIT: 0
	.section	.text._ZN7rocprim17ROCPRIM_400000_NS6detail17trampoline_kernelINS0_14default_configENS1_20scan_config_selectorItEEZZNS1_9scan_implILNS1_25lookback_scan_determinismE0ELb0ELb0ES3_N6thrust23THRUST_200600_302600_NS6detail15normal_iteratorINS9_10device_ptrItEEEESE_t11max_functorItEtEEDaPvRmT3_T4_T5_mT6_P12ihipStream_tbENKUlT_T0_E_clISt17integral_constantIbLb1EESU_EEDaSP_SQ_EUlSP_E0_NS1_11comp_targetILNS1_3genE10ELNS1_11target_archE1200ELNS1_3gpuE4ELNS1_3repE0EEENS1_30default_config_static_selectorELNS0_4arch9wavefront6targetE1EEEvT1_,"axG",@progbits,_ZN7rocprim17ROCPRIM_400000_NS6detail17trampoline_kernelINS0_14default_configENS1_20scan_config_selectorItEEZZNS1_9scan_implILNS1_25lookback_scan_determinismE0ELb0ELb0ES3_N6thrust23THRUST_200600_302600_NS6detail15normal_iteratorINS9_10device_ptrItEEEESE_t11max_functorItEtEEDaPvRmT3_T4_T5_mT6_P12ihipStream_tbENKUlT_T0_E_clISt17integral_constantIbLb1EESU_EEDaSP_SQ_EUlSP_E0_NS1_11comp_targetILNS1_3genE10ELNS1_11target_archE1200ELNS1_3gpuE4ELNS1_3repE0EEENS1_30default_config_static_selectorELNS0_4arch9wavefront6targetE1EEEvT1_,comdat
	.protected	_ZN7rocprim17ROCPRIM_400000_NS6detail17trampoline_kernelINS0_14default_configENS1_20scan_config_selectorItEEZZNS1_9scan_implILNS1_25lookback_scan_determinismE0ELb0ELb0ES3_N6thrust23THRUST_200600_302600_NS6detail15normal_iteratorINS9_10device_ptrItEEEESE_t11max_functorItEtEEDaPvRmT3_T4_T5_mT6_P12ihipStream_tbENKUlT_T0_E_clISt17integral_constantIbLb1EESU_EEDaSP_SQ_EUlSP_E0_NS1_11comp_targetILNS1_3genE10ELNS1_11target_archE1200ELNS1_3gpuE4ELNS1_3repE0EEENS1_30default_config_static_selectorELNS0_4arch9wavefront6targetE1EEEvT1_ ; -- Begin function _ZN7rocprim17ROCPRIM_400000_NS6detail17trampoline_kernelINS0_14default_configENS1_20scan_config_selectorItEEZZNS1_9scan_implILNS1_25lookback_scan_determinismE0ELb0ELb0ES3_N6thrust23THRUST_200600_302600_NS6detail15normal_iteratorINS9_10device_ptrItEEEESE_t11max_functorItEtEEDaPvRmT3_T4_T5_mT6_P12ihipStream_tbENKUlT_T0_E_clISt17integral_constantIbLb1EESU_EEDaSP_SQ_EUlSP_E0_NS1_11comp_targetILNS1_3genE10ELNS1_11target_archE1200ELNS1_3gpuE4ELNS1_3repE0EEENS1_30default_config_static_selectorELNS0_4arch9wavefront6targetE1EEEvT1_
	.globl	_ZN7rocprim17ROCPRIM_400000_NS6detail17trampoline_kernelINS0_14default_configENS1_20scan_config_selectorItEEZZNS1_9scan_implILNS1_25lookback_scan_determinismE0ELb0ELb0ES3_N6thrust23THRUST_200600_302600_NS6detail15normal_iteratorINS9_10device_ptrItEEEESE_t11max_functorItEtEEDaPvRmT3_T4_T5_mT6_P12ihipStream_tbENKUlT_T0_E_clISt17integral_constantIbLb1EESU_EEDaSP_SQ_EUlSP_E0_NS1_11comp_targetILNS1_3genE10ELNS1_11target_archE1200ELNS1_3gpuE4ELNS1_3repE0EEENS1_30default_config_static_selectorELNS0_4arch9wavefront6targetE1EEEvT1_
	.p2align	8
	.type	_ZN7rocprim17ROCPRIM_400000_NS6detail17trampoline_kernelINS0_14default_configENS1_20scan_config_selectorItEEZZNS1_9scan_implILNS1_25lookback_scan_determinismE0ELb0ELb0ES3_N6thrust23THRUST_200600_302600_NS6detail15normal_iteratorINS9_10device_ptrItEEEESE_t11max_functorItEtEEDaPvRmT3_T4_T5_mT6_P12ihipStream_tbENKUlT_T0_E_clISt17integral_constantIbLb1EESU_EEDaSP_SQ_EUlSP_E0_NS1_11comp_targetILNS1_3genE10ELNS1_11target_archE1200ELNS1_3gpuE4ELNS1_3repE0EEENS1_30default_config_static_selectorELNS0_4arch9wavefront6targetE1EEEvT1_,@function
_ZN7rocprim17ROCPRIM_400000_NS6detail17trampoline_kernelINS0_14default_configENS1_20scan_config_selectorItEEZZNS1_9scan_implILNS1_25lookback_scan_determinismE0ELb0ELb0ES3_N6thrust23THRUST_200600_302600_NS6detail15normal_iteratorINS9_10device_ptrItEEEESE_t11max_functorItEtEEDaPvRmT3_T4_T5_mT6_P12ihipStream_tbENKUlT_T0_E_clISt17integral_constantIbLb1EESU_EEDaSP_SQ_EUlSP_E0_NS1_11comp_targetILNS1_3genE10ELNS1_11target_archE1200ELNS1_3gpuE4ELNS1_3repE0EEENS1_30default_config_static_selectorELNS0_4arch9wavefront6targetE1EEEvT1_: ; @_ZN7rocprim17ROCPRIM_400000_NS6detail17trampoline_kernelINS0_14default_configENS1_20scan_config_selectorItEEZZNS1_9scan_implILNS1_25lookback_scan_determinismE0ELb0ELb0ES3_N6thrust23THRUST_200600_302600_NS6detail15normal_iteratorINS9_10device_ptrItEEEESE_t11max_functorItEtEEDaPvRmT3_T4_T5_mT6_P12ihipStream_tbENKUlT_T0_E_clISt17integral_constantIbLb1EESU_EEDaSP_SQ_EUlSP_E0_NS1_11comp_targetILNS1_3genE10ELNS1_11target_archE1200ELNS1_3gpuE4ELNS1_3repE0EEENS1_30default_config_static_selectorELNS0_4arch9wavefront6targetE1EEEvT1_
; %bb.0:
	.section	.rodata,"a",@progbits
	.p2align	6, 0x0
	.amdhsa_kernel _ZN7rocprim17ROCPRIM_400000_NS6detail17trampoline_kernelINS0_14default_configENS1_20scan_config_selectorItEEZZNS1_9scan_implILNS1_25lookback_scan_determinismE0ELb0ELb0ES3_N6thrust23THRUST_200600_302600_NS6detail15normal_iteratorINS9_10device_ptrItEEEESE_t11max_functorItEtEEDaPvRmT3_T4_T5_mT6_P12ihipStream_tbENKUlT_T0_E_clISt17integral_constantIbLb1EESU_EEDaSP_SQ_EUlSP_E0_NS1_11comp_targetILNS1_3genE10ELNS1_11target_archE1200ELNS1_3gpuE4ELNS1_3repE0EEENS1_30default_config_static_selectorELNS0_4arch9wavefront6targetE1EEEvT1_
		.amdhsa_group_segment_fixed_size 0
		.amdhsa_private_segment_fixed_size 0
		.amdhsa_kernarg_size 32
		.amdhsa_user_sgpr_count 6
		.amdhsa_user_sgpr_private_segment_buffer 1
		.amdhsa_user_sgpr_dispatch_ptr 0
		.amdhsa_user_sgpr_queue_ptr 0
		.amdhsa_user_sgpr_kernarg_segment_ptr 1
		.amdhsa_user_sgpr_dispatch_id 0
		.amdhsa_user_sgpr_flat_scratch_init 0
		.amdhsa_user_sgpr_kernarg_preload_length 0
		.amdhsa_user_sgpr_kernarg_preload_offset 0
		.amdhsa_user_sgpr_private_segment_size 0
		.amdhsa_uses_dynamic_stack 0
		.amdhsa_system_sgpr_private_segment_wavefront_offset 0
		.amdhsa_system_sgpr_workgroup_id_x 1
		.amdhsa_system_sgpr_workgroup_id_y 0
		.amdhsa_system_sgpr_workgroup_id_z 0
		.amdhsa_system_sgpr_workgroup_info 0
		.amdhsa_system_vgpr_workitem_id 0
		.amdhsa_next_free_vgpr 1
		.amdhsa_next_free_sgpr 0
		.amdhsa_accum_offset 4
		.amdhsa_reserve_vcc 0
		.amdhsa_reserve_flat_scratch 0
		.amdhsa_float_round_mode_32 0
		.amdhsa_float_round_mode_16_64 0
		.amdhsa_float_denorm_mode_32 3
		.amdhsa_float_denorm_mode_16_64 3
		.amdhsa_dx10_clamp 1
		.amdhsa_ieee_mode 1
		.amdhsa_fp16_overflow 0
		.amdhsa_tg_split 0
		.amdhsa_exception_fp_ieee_invalid_op 0
		.amdhsa_exception_fp_denorm_src 0
		.amdhsa_exception_fp_ieee_div_zero 0
		.amdhsa_exception_fp_ieee_overflow 0
		.amdhsa_exception_fp_ieee_underflow 0
		.amdhsa_exception_fp_ieee_inexact 0
		.amdhsa_exception_int_div_zero 0
	.end_amdhsa_kernel
	.section	.text._ZN7rocprim17ROCPRIM_400000_NS6detail17trampoline_kernelINS0_14default_configENS1_20scan_config_selectorItEEZZNS1_9scan_implILNS1_25lookback_scan_determinismE0ELb0ELb0ES3_N6thrust23THRUST_200600_302600_NS6detail15normal_iteratorINS9_10device_ptrItEEEESE_t11max_functorItEtEEDaPvRmT3_T4_T5_mT6_P12ihipStream_tbENKUlT_T0_E_clISt17integral_constantIbLb1EESU_EEDaSP_SQ_EUlSP_E0_NS1_11comp_targetILNS1_3genE10ELNS1_11target_archE1200ELNS1_3gpuE4ELNS1_3repE0EEENS1_30default_config_static_selectorELNS0_4arch9wavefront6targetE1EEEvT1_,"axG",@progbits,_ZN7rocprim17ROCPRIM_400000_NS6detail17trampoline_kernelINS0_14default_configENS1_20scan_config_selectorItEEZZNS1_9scan_implILNS1_25lookback_scan_determinismE0ELb0ELb0ES3_N6thrust23THRUST_200600_302600_NS6detail15normal_iteratorINS9_10device_ptrItEEEESE_t11max_functorItEtEEDaPvRmT3_T4_T5_mT6_P12ihipStream_tbENKUlT_T0_E_clISt17integral_constantIbLb1EESU_EEDaSP_SQ_EUlSP_E0_NS1_11comp_targetILNS1_3genE10ELNS1_11target_archE1200ELNS1_3gpuE4ELNS1_3repE0EEENS1_30default_config_static_selectorELNS0_4arch9wavefront6targetE1EEEvT1_,comdat
.Lfunc_end2445:
	.size	_ZN7rocprim17ROCPRIM_400000_NS6detail17trampoline_kernelINS0_14default_configENS1_20scan_config_selectorItEEZZNS1_9scan_implILNS1_25lookback_scan_determinismE0ELb0ELb0ES3_N6thrust23THRUST_200600_302600_NS6detail15normal_iteratorINS9_10device_ptrItEEEESE_t11max_functorItEtEEDaPvRmT3_T4_T5_mT6_P12ihipStream_tbENKUlT_T0_E_clISt17integral_constantIbLb1EESU_EEDaSP_SQ_EUlSP_E0_NS1_11comp_targetILNS1_3genE10ELNS1_11target_archE1200ELNS1_3gpuE4ELNS1_3repE0EEENS1_30default_config_static_selectorELNS0_4arch9wavefront6targetE1EEEvT1_, .Lfunc_end2445-_ZN7rocprim17ROCPRIM_400000_NS6detail17trampoline_kernelINS0_14default_configENS1_20scan_config_selectorItEEZZNS1_9scan_implILNS1_25lookback_scan_determinismE0ELb0ELb0ES3_N6thrust23THRUST_200600_302600_NS6detail15normal_iteratorINS9_10device_ptrItEEEESE_t11max_functorItEtEEDaPvRmT3_T4_T5_mT6_P12ihipStream_tbENKUlT_T0_E_clISt17integral_constantIbLb1EESU_EEDaSP_SQ_EUlSP_E0_NS1_11comp_targetILNS1_3genE10ELNS1_11target_archE1200ELNS1_3gpuE4ELNS1_3repE0EEENS1_30default_config_static_selectorELNS0_4arch9wavefront6targetE1EEEvT1_
                                        ; -- End function
	.section	.AMDGPU.csdata,"",@progbits
; Kernel info:
; codeLenInByte = 0
; NumSgprs: 4
; NumVgprs: 0
; NumAgprs: 0
; TotalNumVgprs: 0
; ScratchSize: 0
; MemoryBound: 0
; FloatMode: 240
; IeeeMode: 1
; LDSByteSize: 0 bytes/workgroup (compile time only)
; SGPRBlocks: 0
; VGPRBlocks: 0
; NumSGPRsForWavesPerEU: 4
; NumVGPRsForWavesPerEU: 1
; AccumOffset: 4
; Occupancy: 8
; WaveLimiterHint : 0
; COMPUTE_PGM_RSRC2:SCRATCH_EN: 0
; COMPUTE_PGM_RSRC2:USER_SGPR: 6
; COMPUTE_PGM_RSRC2:TRAP_HANDLER: 0
; COMPUTE_PGM_RSRC2:TGID_X_EN: 1
; COMPUTE_PGM_RSRC2:TGID_Y_EN: 0
; COMPUTE_PGM_RSRC2:TGID_Z_EN: 0
; COMPUTE_PGM_RSRC2:TIDIG_COMP_CNT: 0
; COMPUTE_PGM_RSRC3_GFX90A:ACCUM_OFFSET: 0
; COMPUTE_PGM_RSRC3_GFX90A:TG_SPLIT: 0
	.section	.text._ZN7rocprim17ROCPRIM_400000_NS6detail17trampoline_kernelINS0_14default_configENS1_20scan_config_selectorItEEZZNS1_9scan_implILNS1_25lookback_scan_determinismE0ELb0ELb0ES3_N6thrust23THRUST_200600_302600_NS6detail15normal_iteratorINS9_10device_ptrItEEEESE_t11max_functorItEtEEDaPvRmT3_T4_T5_mT6_P12ihipStream_tbENKUlT_T0_E_clISt17integral_constantIbLb1EESU_EEDaSP_SQ_EUlSP_E0_NS1_11comp_targetILNS1_3genE9ELNS1_11target_archE1100ELNS1_3gpuE3ELNS1_3repE0EEENS1_30default_config_static_selectorELNS0_4arch9wavefront6targetE1EEEvT1_,"axG",@progbits,_ZN7rocprim17ROCPRIM_400000_NS6detail17trampoline_kernelINS0_14default_configENS1_20scan_config_selectorItEEZZNS1_9scan_implILNS1_25lookback_scan_determinismE0ELb0ELb0ES3_N6thrust23THRUST_200600_302600_NS6detail15normal_iteratorINS9_10device_ptrItEEEESE_t11max_functorItEtEEDaPvRmT3_T4_T5_mT6_P12ihipStream_tbENKUlT_T0_E_clISt17integral_constantIbLb1EESU_EEDaSP_SQ_EUlSP_E0_NS1_11comp_targetILNS1_3genE9ELNS1_11target_archE1100ELNS1_3gpuE3ELNS1_3repE0EEENS1_30default_config_static_selectorELNS0_4arch9wavefront6targetE1EEEvT1_,comdat
	.protected	_ZN7rocprim17ROCPRIM_400000_NS6detail17trampoline_kernelINS0_14default_configENS1_20scan_config_selectorItEEZZNS1_9scan_implILNS1_25lookback_scan_determinismE0ELb0ELb0ES3_N6thrust23THRUST_200600_302600_NS6detail15normal_iteratorINS9_10device_ptrItEEEESE_t11max_functorItEtEEDaPvRmT3_T4_T5_mT6_P12ihipStream_tbENKUlT_T0_E_clISt17integral_constantIbLb1EESU_EEDaSP_SQ_EUlSP_E0_NS1_11comp_targetILNS1_3genE9ELNS1_11target_archE1100ELNS1_3gpuE3ELNS1_3repE0EEENS1_30default_config_static_selectorELNS0_4arch9wavefront6targetE1EEEvT1_ ; -- Begin function _ZN7rocprim17ROCPRIM_400000_NS6detail17trampoline_kernelINS0_14default_configENS1_20scan_config_selectorItEEZZNS1_9scan_implILNS1_25lookback_scan_determinismE0ELb0ELb0ES3_N6thrust23THRUST_200600_302600_NS6detail15normal_iteratorINS9_10device_ptrItEEEESE_t11max_functorItEtEEDaPvRmT3_T4_T5_mT6_P12ihipStream_tbENKUlT_T0_E_clISt17integral_constantIbLb1EESU_EEDaSP_SQ_EUlSP_E0_NS1_11comp_targetILNS1_3genE9ELNS1_11target_archE1100ELNS1_3gpuE3ELNS1_3repE0EEENS1_30default_config_static_selectorELNS0_4arch9wavefront6targetE1EEEvT1_
	.globl	_ZN7rocprim17ROCPRIM_400000_NS6detail17trampoline_kernelINS0_14default_configENS1_20scan_config_selectorItEEZZNS1_9scan_implILNS1_25lookback_scan_determinismE0ELb0ELb0ES3_N6thrust23THRUST_200600_302600_NS6detail15normal_iteratorINS9_10device_ptrItEEEESE_t11max_functorItEtEEDaPvRmT3_T4_T5_mT6_P12ihipStream_tbENKUlT_T0_E_clISt17integral_constantIbLb1EESU_EEDaSP_SQ_EUlSP_E0_NS1_11comp_targetILNS1_3genE9ELNS1_11target_archE1100ELNS1_3gpuE3ELNS1_3repE0EEENS1_30default_config_static_selectorELNS0_4arch9wavefront6targetE1EEEvT1_
	.p2align	8
	.type	_ZN7rocprim17ROCPRIM_400000_NS6detail17trampoline_kernelINS0_14default_configENS1_20scan_config_selectorItEEZZNS1_9scan_implILNS1_25lookback_scan_determinismE0ELb0ELb0ES3_N6thrust23THRUST_200600_302600_NS6detail15normal_iteratorINS9_10device_ptrItEEEESE_t11max_functorItEtEEDaPvRmT3_T4_T5_mT6_P12ihipStream_tbENKUlT_T0_E_clISt17integral_constantIbLb1EESU_EEDaSP_SQ_EUlSP_E0_NS1_11comp_targetILNS1_3genE9ELNS1_11target_archE1100ELNS1_3gpuE3ELNS1_3repE0EEENS1_30default_config_static_selectorELNS0_4arch9wavefront6targetE1EEEvT1_,@function
_ZN7rocprim17ROCPRIM_400000_NS6detail17trampoline_kernelINS0_14default_configENS1_20scan_config_selectorItEEZZNS1_9scan_implILNS1_25lookback_scan_determinismE0ELb0ELb0ES3_N6thrust23THRUST_200600_302600_NS6detail15normal_iteratorINS9_10device_ptrItEEEESE_t11max_functorItEtEEDaPvRmT3_T4_T5_mT6_P12ihipStream_tbENKUlT_T0_E_clISt17integral_constantIbLb1EESU_EEDaSP_SQ_EUlSP_E0_NS1_11comp_targetILNS1_3genE9ELNS1_11target_archE1100ELNS1_3gpuE3ELNS1_3repE0EEENS1_30default_config_static_selectorELNS0_4arch9wavefront6targetE1EEEvT1_: ; @_ZN7rocprim17ROCPRIM_400000_NS6detail17trampoline_kernelINS0_14default_configENS1_20scan_config_selectorItEEZZNS1_9scan_implILNS1_25lookback_scan_determinismE0ELb0ELb0ES3_N6thrust23THRUST_200600_302600_NS6detail15normal_iteratorINS9_10device_ptrItEEEESE_t11max_functorItEtEEDaPvRmT3_T4_T5_mT6_P12ihipStream_tbENKUlT_T0_E_clISt17integral_constantIbLb1EESU_EEDaSP_SQ_EUlSP_E0_NS1_11comp_targetILNS1_3genE9ELNS1_11target_archE1100ELNS1_3gpuE3ELNS1_3repE0EEENS1_30default_config_static_selectorELNS0_4arch9wavefront6targetE1EEEvT1_
; %bb.0:
	.section	.rodata,"a",@progbits
	.p2align	6, 0x0
	.amdhsa_kernel _ZN7rocprim17ROCPRIM_400000_NS6detail17trampoline_kernelINS0_14default_configENS1_20scan_config_selectorItEEZZNS1_9scan_implILNS1_25lookback_scan_determinismE0ELb0ELb0ES3_N6thrust23THRUST_200600_302600_NS6detail15normal_iteratorINS9_10device_ptrItEEEESE_t11max_functorItEtEEDaPvRmT3_T4_T5_mT6_P12ihipStream_tbENKUlT_T0_E_clISt17integral_constantIbLb1EESU_EEDaSP_SQ_EUlSP_E0_NS1_11comp_targetILNS1_3genE9ELNS1_11target_archE1100ELNS1_3gpuE3ELNS1_3repE0EEENS1_30default_config_static_selectorELNS0_4arch9wavefront6targetE1EEEvT1_
		.amdhsa_group_segment_fixed_size 0
		.amdhsa_private_segment_fixed_size 0
		.amdhsa_kernarg_size 32
		.amdhsa_user_sgpr_count 6
		.amdhsa_user_sgpr_private_segment_buffer 1
		.amdhsa_user_sgpr_dispatch_ptr 0
		.amdhsa_user_sgpr_queue_ptr 0
		.amdhsa_user_sgpr_kernarg_segment_ptr 1
		.amdhsa_user_sgpr_dispatch_id 0
		.amdhsa_user_sgpr_flat_scratch_init 0
		.amdhsa_user_sgpr_kernarg_preload_length 0
		.amdhsa_user_sgpr_kernarg_preload_offset 0
		.amdhsa_user_sgpr_private_segment_size 0
		.amdhsa_uses_dynamic_stack 0
		.amdhsa_system_sgpr_private_segment_wavefront_offset 0
		.amdhsa_system_sgpr_workgroup_id_x 1
		.amdhsa_system_sgpr_workgroup_id_y 0
		.amdhsa_system_sgpr_workgroup_id_z 0
		.amdhsa_system_sgpr_workgroup_info 0
		.amdhsa_system_vgpr_workitem_id 0
		.amdhsa_next_free_vgpr 1
		.amdhsa_next_free_sgpr 0
		.amdhsa_accum_offset 4
		.amdhsa_reserve_vcc 0
		.amdhsa_reserve_flat_scratch 0
		.amdhsa_float_round_mode_32 0
		.amdhsa_float_round_mode_16_64 0
		.amdhsa_float_denorm_mode_32 3
		.amdhsa_float_denorm_mode_16_64 3
		.amdhsa_dx10_clamp 1
		.amdhsa_ieee_mode 1
		.amdhsa_fp16_overflow 0
		.amdhsa_tg_split 0
		.amdhsa_exception_fp_ieee_invalid_op 0
		.amdhsa_exception_fp_denorm_src 0
		.amdhsa_exception_fp_ieee_div_zero 0
		.amdhsa_exception_fp_ieee_overflow 0
		.amdhsa_exception_fp_ieee_underflow 0
		.amdhsa_exception_fp_ieee_inexact 0
		.amdhsa_exception_int_div_zero 0
	.end_amdhsa_kernel
	.section	.text._ZN7rocprim17ROCPRIM_400000_NS6detail17trampoline_kernelINS0_14default_configENS1_20scan_config_selectorItEEZZNS1_9scan_implILNS1_25lookback_scan_determinismE0ELb0ELb0ES3_N6thrust23THRUST_200600_302600_NS6detail15normal_iteratorINS9_10device_ptrItEEEESE_t11max_functorItEtEEDaPvRmT3_T4_T5_mT6_P12ihipStream_tbENKUlT_T0_E_clISt17integral_constantIbLb1EESU_EEDaSP_SQ_EUlSP_E0_NS1_11comp_targetILNS1_3genE9ELNS1_11target_archE1100ELNS1_3gpuE3ELNS1_3repE0EEENS1_30default_config_static_selectorELNS0_4arch9wavefront6targetE1EEEvT1_,"axG",@progbits,_ZN7rocprim17ROCPRIM_400000_NS6detail17trampoline_kernelINS0_14default_configENS1_20scan_config_selectorItEEZZNS1_9scan_implILNS1_25lookback_scan_determinismE0ELb0ELb0ES3_N6thrust23THRUST_200600_302600_NS6detail15normal_iteratorINS9_10device_ptrItEEEESE_t11max_functorItEtEEDaPvRmT3_T4_T5_mT6_P12ihipStream_tbENKUlT_T0_E_clISt17integral_constantIbLb1EESU_EEDaSP_SQ_EUlSP_E0_NS1_11comp_targetILNS1_3genE9ELNS1_11target_archE1100ELNS1_3gpuE3ELNS1_3repE0EEENS1_30default_config_static_selectorELNS0_4arch9wavefront6targetE1EEEvT1_,comdat
.Lfunc_end2446:
	.size	_ZN7rocprim17ROCPRIM_400000_NS6detail17trampoline_kernelINS0_14default_configENS1_20scan_config_selectorItEEZZNS1_9scan_implILNS1_25lookback_scan_determinismE0ELb0ELb0ES3_N6thrust23THRUST_200600_302600_NS6detail15normal_iteratorINS9_10device_ptrItEEEESE_t11max_functorItEtEEDaPvRmT3_T4_T5_mT6_P12ihipStream_tbENKUlT_T0_E_clISt17integral_constantIbLb1EESU_EEDaSP_SQ_EUlSP_E0_NS1_11comp_targetILNS1_3genE9ELNS1_11target_archE1100ELNS1_3gpuE3ELNS1_3repE0EEENS1_30default_config_static_selectorELNS0_4arch9wavefront6targetE1EEEvT1_, .Lfunc_end2446-_ZN7rocprim17ROCPRIM_400000_NS6detail17trampoline_kernelINS0_14default_configENS1_20scan_config_selectorItEEZZNS1_9scan_implILNS1_25lookback_scan_determinismE0ELb0ELb0ES3_N6thrust23THRUST_200600_302600_NS6detail15normal_iteratorINS9_10device_ptrItEEEESE_t11max_functorItEtEEDaPvRmT3_T4_T5_mT6_P12ihipStream_tbENKUlT_T0_E_clISt17integral_constantIbLb1EESU_EEDaSP_SQ_EUlSP_E0_NS1_11comp_targetILNS1_3genE9ELNS1_11target_archE1100ELNS1_3gpuE3ELNS1_3repE0EEENS1_30default_config_static_selectorELNS0_4arch9wavefront6targetE1EEEvT1_
                                        ; -- End function
	.section	.AMDGPU.csdata,"",@progbits
; Kernel info:
; codeLenInByte = 0
; NumSgprs: 4
; NumVgprs: 0
; NumAgprs: 0
; TotalNumVgprs: 0
; ScratchSize: 0
; MemoryBound: 0
; FloatMode: 240
; IeeeMode: 1
; LDSByteSize: 0 bytes/workgroup (compile time only)
; SGPRBlocks: 0
; VGPRBlocks: 0
; NumSGPRsForWavesPerEU: 4
; NumVGPRsForWavesPerEU: 1
; AccumOffset: 4
; Occupancy: 8
; WaveLimiterHint : 0
; COMPUTE_PGM_RSRC2:SCRATCH_EN: 0
; COMPUTE_PGM_RSRC2:USER_SGPR: 6
; COMPUTE_PGM_RSRC2:TRAP_HANDLER: 0
; COMPUTE_PGM_RSRC2:TGID_X_EN: 1
; COMPUTE_PGM_RSRC2:TGID_Y_EN: 0
; COMPUTE_PGM_RSRC2:TGID_Z_EN: 0
; COMPUTE_PGM_RSRC2:TIDIG_COMP_CNT: 0
; COMPUTE_PGM_RSRC3_GFX90A:ACCUM_OFFSET: 0
; COMPUTE_PGM_RSRC3_GFX90A:TG_SPLIT: 0
	.section	.text._ZN7rocprim17ROCPRIM_400000_NS6detail17trampoline_kernelINS0_14default_configENS1_20scan_config_selectorItEEZZNS1_9scan_implILNS1_25lookback_scan_determinismE0ELb0ELb0ES3_N6thrust23THRUST_200600_302600_NS6detail15normal_iteratorINS9_10device_ptrItEEEESE_t11max_functorItEtEEDaPvRmT3_T4_T5_mT6_P12ihipStream_tbENKUlT_T0_E_clISt17integral_constantIbLb1EESU_EEDaSP_SQ_EUlSP_E0_NS1_11comp_targetILNS1_3genE8ELNS1_11target_archE1030ELNS1_3gpuE2ELNS1_3repE0EEENS1_30default_config_static_selectorELNS0_4arch9wavefront6targetE1EEEvT1_,"axG",@progbits,_ZN7rocprim17ROCPRIM_400000_NS6detail17trampoline_kernelINS0_14default_configENS1_20scan_config_selectorItEEZZNS1_9scan_implILNS1_25lookback_scan_determinismE0ELb0ELb0ES3_N6thrust23THRUST_200600_302600_NS6detail15normal_iteratorINS9_10device_ptrItEEEESE_t11max_functorItEtEEDaPvRmT3_T4_T5_mT6_P12ihipStream_tbENKUlT_T0_E_clISt17integral_constantIbLb1EESU_EEDaSP_SQ_EUlSP_E0_NS1_11comp_targetILNS1_3genE8ELNS1_11target_archE1030ELNS1_3gpuE2ELNS1_3repE0EEENS1_30default_config_static_selectorELNS0_4arch9wavefront6targetE1EEEvT1_,comdat
	.protected	_ZN7rocprim17ROCPRIM_400000_NS6detail17trampoline_kernelINS0_14default_configENS1_20scan_config_selectorItEEZZNS1_9scan_implILNS1_25lookback_scan_determinismE0ELb0ELb0ES3_N6thrust23THRUST_200600_302600_NS6detail15normal_iteratorINS9_10device_ptrItEEEESE_t11max_functorItEtEEDaPvRmT3_T4_T5_mT6_P12ihipStream_tbENKUlT_T0_E_clISt17integral_constantIbLb1EESU_EEDaSP_SQ_EUlSP_E0_NS1_11comp_targetILNS1_3genE8ELNS1_11target_archE1030ELNS1_3gpuE2ELNS1_3repE0EEENS1_30default_config_static_selectorELNS0_4arch9wavefront6targetE1EEEvT1_ ; -- Begin function _ZN7rocprim17ROCPRIM_400000_NS6detail17trampoline_kernelINS0_14default_configENS1_20scan_config_selectorItEEZZNS1_9scan_implILNS1_25lookback_scan_determinismE0ELb0ELb0ES3_N6thrust23THRUST_200600_302600_NS6detail15normal_iteratorINS9_10device_ptrItEEEESE_t11max_functorItEtEEDaPvRmT3_T4_T5_mT6_P12ihipStream_tbENKUlT_T0_E_clISt17integral_constantIbLb1EESU_EEDaSP_SQ_EUlSP_E0_NS1_11comp_targetILNS1_3genE8ELNS1_11target_archE1030ELNS1_3gpuE2ELNS1_3repE0EEENS1_30default_config_static_selectorELNS0_4arch9wavefront6targetE1EEEvT1_
	.globl	_ZN7rocprim17ROCPRIM_400000_NS6detail17trampoline_kernelINS0_14default_configENS1_20scan_config_selectorItEEZZNS1_9scan_implILNS1_25lookback_scan_determinismE0ELb0ELb0ES3_N6thrust23THRUST_200600_302600_NS6detail15normal_iteratorINS9_10device_ptrItEEEESE_t11max_functorItEtEEDaPvRmT3_T4_T5_mT6_P12ihipStream_tbENKUlT_T0_E_clISt17integral_constantIbLb1EESU_EEDaSP_SQ_EUlSP_E0_NS1_11comp_targetILNS1_3genE8ELNS1_11target_archE1030ELNS1_3gpuE2ELNS1_3repE0EEENS1_30default_config_static_selectorELNS0_4arch9wavefront6targetE1EEEvT1_
	.p2align	8
	.type	_ZN7rocprim17ROCPRIM_400000_NS6detail17trampoline_kernelINS0_14default_configENS1_20scan_config_selectorItEEZZNS1_9scan_implILNS1_25lookback_scan_determinismE0ELb0ELb0ES3_N6thrust23THRUST_200600_302600_NS6detail15normal_iteratorINS9_10device_ptrItEEEESE_t11max_functorItEtEEDaPvRmT3_T4_T5_mT6_P12ihipStream_tbENKUlT_T0_E_clISt17integral_constantIbLb1EESU_EEDaSP_SQ_EUlSP_E0_NS1_11comp_targetILNS1_3genE8ELNS1_11target_archE1030ELNS1_3gpuE2ELNS1_3repE0EEENS1_30default_config_static_selectorELNS0_4arch9wavefront6targetE1EEEvT1_,@function
_ZN7rocprim17ROCPRIM_400000_NS6detail17trampoline_kernelINS0_14default_configENS1_20scan_config_selectorItEEZZNS1_9scan_implILNS1_25lookback_scan_determinismE0ELb0ELb0ES3_N6thrust23THRUST_200600_302600_NS6detail15normal_iteratorINS9_10device_ptrItEEEESE_t11max_functorItEtEEDaPvRmT3_T4_T5_mT6_P12ihipStream_tbENKUlT_T0_E_clISt17integral_constantIbLb1EESU_EEDaSP_SQ_EUlSP_E0_NS1_11comp_targetILNS1_3genE8ELNS1_11target_archE1030ELNS1_3gpuE2ELNS1_3repE0EEENS1_30default_config_static_selectorELNS0_4arch9wavefront6targetE1EEEvT1_: ; @_ZN7rocprim17ROCPRIM_400000_NS6detail17trampoline_kernelINS0_14default_configENS1_20scan_config_selectorItEEZZNS1_9scan_implILNS1_25lookback_scan_determinismE0ELb0ELb0ES3_N6thrust23THRUST_200600_302600_NS6detail15normal_iteratorINS9_10device_ptrItEEEESE_t11max_functorItEtEEDaPvRmT3_T4_T5_mT6_P12ihipStream_tbENKUlT_T0_E_clISt17integral_constantIbLb1EESU_EEDaSP_SQ_EUlSP_E0_NS1_11comp_targetILNS1_3genE8ELNS1_11target_archE1030ELNS1_3gpuE2ELNS1_3repE0EEENS1_30default_config_static_selectorELNS0_4arch9wavefront6targetE1EEEvT1_
; %bb.0:
	.section	.rodata,"a",@progbits
	.p2align	6, 0x0
	.amdhsa_kernel _ZN7rocprim17ROCPRIM_400000_NS6detail17trampoline_kernelINS0_14default_configENS1_20scan_config_selectorItEEZZNS1_9scan_implILNS1_25lookback_scan_determinismE0ELb0ELb0ES3_N6thrust23THRUST_200600_302600_NS6detail15normal_iteratorINS9_10device_ptrItEEEESE_t11max_functorItEtEEDaPvRmT3_T4_T5_mT6_P12ihipStream_tbENKUlT_T0_E_clISt17integral_constantIbLb1EESU_EEDaSP_SQ_EUlSP_E0_NS1_11comp_targetILNS1_3genE8ELNS1_11target_archE1030ELNS1_3gpuE2ELNS1_3repE0EEENS1_30default_config_static_selectorELNS0_4arch9wavefront6targetE1EEEvT1_
		.amdhsa_group_segment_fixed_size 0
		.amdhsa_private_segment_fixed_size 0
		.amdhsa_kernarg_size 32
		.amdhsa_user_sgpr_count 6
		.amdhsa_user_sgpr_private_segment_buffer 1
		.amdhsa_user_sgpr_dispatch_ptr 0
		.amdhsa_user_sgpr_queue_ptr 0
		.amdhsa_user_sgpr_kernarg_segment_ptr 1
		.amdhsa_user_sgpr_dispatch_id 0
		.amdhsa_user_sgpr_flat_scratch_init 0
		.amdhsa_user_sgpr_kernarg_preload_length 0
		.amdhsa_user_sgpr_kernarg_preload_offset 0
		.amdhsa_user_sgpr_private_segment_size 0
		.amdhsa_uses_dynamic_stack 0
		.amdhsa_system_sgpr_private_segment_wavefront_offset 0
		.amdhsa_system_sgpr_workgroup_id_x 1
		.amdhsa_system_sgpr_workgroup_id_y 0
		.amdhsa_system_sgpr_workgroup_id_z 0
		.amdhsa_system_sgpr_workgroup_info 0
		.amdhsa_system_vgpr_workitem_id 0
		.amdhsa_next_free_vgpr 1
		.amdhsa_next_free_sgpr 0
		.amdhsa_accum_offset 4
		.amdhsa_reserve_vcc 0
		.amdhsa_reserve_flat_scratch 0
		.amdhsa_float_round_mode_32 0
		.amdhsa_float_round_mode_16_64 0
		.amdhsa_float_denorm_mode_32 3
		.amdhsa_float_denorm_mode_16_64 3
		.amdhsa_dx10_clamp 1
		.amdhsa_ieee_mode 1
		.amdhsa_fp16_overflow 0
		.amdhsa_tg_split 0
		.amdhsa_exception_fp_ieee_invalid_op 0
		.amdhsa_exception_fp_denorm_src 0
		.amdhsa_exception_fp_ieee_div_zero 0
		.amdhsa_exception_fp_ieee_overflow 0
		.amdhsa_exception_fp_ieee_underflow 0
		.amdhsa_exception_fp_ieee_inexact 0
		.amdhsa_exception_int_div_zero 0
	.end_amdhsa_kernel
	.section	.text._ZN7rocprim17ROCPRIM_400000_NS6detail17trampoline_kernelINS0_14default_configENS1_20scan_config_selectorItEEZZNS1_9scan_implILNS1_25lookback_scan_determinismE0ELb0ELb0ES3_N6thrust23THRUST_200600_302600_NS6detail15normal_iteratorINS9_10device_ptrItEEEESE_t11max_functorItEtEEDaPvRmT3_T4_T5_mT6_P12ihipStream_tbENKUlT_T0_E_clISt17integral_constantIbLb1EESU_EEDaSP_SQ_EUlSP_E0_NS1_11comp_targetILNS1_3genE8ELNS1_11target_archE1030ELNS1_3gpuE2ELNS1_3repE0EEENS1_30default_config_static_selectorELNS0_4arch9wavefront6targetE1EEEvT1_,"axG",@progbits,_ZN7rocprim17ROCPRIM_400000_NS6detail17trampoline_kernelINS0_14default_configENS1_20scan_config_selectorItEEZZNS1_9scan_implILNS1_25lookback_scan_determinismE0ELb0ELb0ES3_N6thrust23THRUST_200600_302600_NS6detail15normal_iteratorINS9_10device_ptrItEEEESE_t11max_functorItEtEEDaPvRmT3_T4_T5_mT6_P12ihipStream_tbENKUlT_T0_E_clISt17integral_constantIbLb1EESU_EEDaSP_SQ_EUlSP_E0_NS1_11comp_targetILNS1_3genE8ELNS1_11target_archE1030ELNS1_3gpuE2ELNS1_3repE0EEENS1_30default_config_static_selectorELNS0_4arch9wavefront6targetE1EEEvT1_,comdat
.Lfunc_end2447:
	.size	_ZN7rocprim17ROCPRIM_400000_NS6detail17trampoline_kernelINS0_14default_configENS1_20scan_config_selectorItEEZZNS1_9scan_implILNS1_25lookback_scan_determinismE0ELb0ELb0ES3_N6thrust23THRUST_200600_302600_NS6detail15normal_iteratorINS9_10device_ptrItEEEESE_t11max_functorItEtEEDaPvRmT3_T4_T5_mT6_P12ihipStream_tbENKUlT_T0_E_clISt17integral_constantIbLb1EESU_EEDaSP_SQ_EUlSP_E0_NS1_11comp_targetILNS1_3genE8ELNS1_11target_archE1030ELNS1_3gpuE2ELNS1_3repE0EEENS1_30default_config_static_selectorELNS0_4arch9wavefront6targetE1EEEvT1_, .Lfunc_end2447-_ZN7rocprim17ROCPRIM_400000_NS6detail17trampoline_kernelINS0_14default_configENS1_20scan_config_selectorItEEZZNS1_9scan_implILNS1_25lookback_scan_determinismE0ELb0ELb0ES3_N6thrust23THRUST_200600_302600_NS6detail15normal_iteratorINS9_10device_ptrItEEEESE_t11max_functorItEtEEDaPvRmT3_T4_T5_mT6_P12ihipStream_tbENKUlT_T0_E_clISt17integral_constantIbLb1EESU_EEDaSP_SQ_EUlSP_E0_NS1_11comp_targetILNS1_3genE8ELNS1_11target_archE1030ELNS1_3gpuE2ELNS1_3repE0EEENS1_30default_config_static_selectorELNS0_4arch9wavefront6targetE1EEEvT1_
                                        ; -- End function
	.section	.AMDGPU.csdata,"",@progbits
; Kernel info:
; codeLenInByte = 0
; NumSgprs: 4
; NumVgprs: 0
; NumAgprs: 0
; TotalNumVgprs: 0
; ScratchSize: 0
; MemoryBound: 0
; FloatMode: 240
; IeeeMode: 1
; LDSByteSize: 0 bytes/workgroup (compile time only)
; SGPRBlocks: 0
; VGPRBlocks: 0
; NumSGPRsForWavesPerEU: 4
; NumVGPRsForWavesPerEU: 1
; AccumOffset: 4
; Occupancy: 8
; WaveLimiterHint : 0
; COMPUTE_PGM_RSRC2:SCRATCH_EN: 0
; COMPUTE_PGM_RSRC2:USER_SGPR: 6
; COMPUTE_PGM_RSRC2:TRAP_HANDLER: 0
; COMPUTE_PGM_RSRC2:TGID_X_EN: 1
; COMPUTE_PGM_RSRC2:TGID_Y_EN: 0
; COMPUTE_PGM_RSRC2:TGID_Z_EN: 0
; COMPUTE_PGM_RSRC2:TIDIG_COMP_CNT: 0
; COMPUTE_PGM_RSRC3_GFX90A:ACCUM_OFFSET: 0
; COMPUTE_PGM_RSRC3_GFX90A:TG_SPLIT: 0
	.section	.text._ZN7rocprim17ROCPRIM_400000_NS6detail31init_lookback_scan_state_kernelINS1_19lookback_scan_stateItLb1ELb1EEENS1_16block_id_wrapperIjLb0EEEEEvT_jT0_jPNS7_10value_typeE,"axG",@progbits,_ZN7rocprim17ROCPRIM_400000_NS6detail31init_lookback_scan_state_kernelINS1_19lookback_scan_stateItLb1ELb1EEENS1_16block_id_wrapperIjLb0EEEEEvT_jT0_jPNS7_10value_typeE,comdat
	.protected	_ZN7rocprim17ROCPRIM_400000_NS6detail31init_lookback_scan_state_kernelINS1_19lookback_scan_stateItLb1ELb1EEENS1_16block_id_wrapperIjLb0EEEEEvT_jT0_jPNS7_10value_typeE ; -- Begin function _ZN7rocprim17ROCPRIM_400000_NS6detail31init_lookback_scan_state_kernelINS1_19lookback_scan_stateItLb1ELb1EEENS1_16block_id_wrapperIjLb0EEEEEvT_jT0_jPNS7_10value_typeE
	.globl	_ZN7rocprim17ROCPRIM_400000_NS6detail31init_lookback_scan_state_kernelINS1_19lookback_scan_stateItLb1ELb1EEENS1_16block_id_wrapperIjLb0EEEEEvT_jT0_jPNS7_10value_typeE
	.p2align	8
	.type	_ZN7rocprim17ROCPRIM_400000_NS6detail31init_lookback_scan_state_kernelINS1_19lookback_scan_stateItLb1ELb1EEENS1_16block_id_wrapperIjLb0EEEEEvT_jT0_jPNS7_10value_typeE,@function
_ZN7rocprim17ROCPRIM_400000_NS6detail31init_lookback_scan_state_kernelINS1_19lookback_scan_stateItLb1ELb1EEENS1_16block_id_wrapperIjLb0EEEEEvT_jT0_jPNS7_10value_typeE: ; @_ZN7rocprim17ROCPRIM_400000_NS6detail31init_lookback_scan_state_kernelINS1_19lookback_scan_stateItLb1ELb1EEENS1_16block_id_wrapperIjLb0EEEEEvT_jT0_jPNS7_10value_typeE
; %bb.0:
	s_load_dword s7, s[4:5], 0x2c
	s_load_dwordx2 s[2:3], s[4:5], 0x18
	s_load_dwordx2 s[0:1], s[4:5], 0x0
	s_load_dword s8, s[4:5], 0x8
	s_waitcnt lgkmcnt(0)
	s_and_b32 s7, s7, 0xffff
	s_mul_i32 s6, s6, s7
	s_cmp_eq_u64 s[2:3], 0
	v_add_u32_e32 v0, s6, v0
	s_cbranch_scc1 .LBB2448_9
; %bb.1:
	s_load_dword s6, s[4:5], 0x10
	s_mov_b32 s7, 0
	s_waitcnt lgkmcnt(0)
	s_cmp_lt_u32 s6, s8
	s_cselect_b32 s4, s6, 0
	v_cmp_eq_u32_e32 vcc, s4, v0
	s_and_saveexec_b64 s[4:5], vcc
	s_cbranch_execz .LBB2448_8
; %bb.2:
	s_add_i32 s6, s6, 64
	s_lshl_b64 s[6:7], s[6:7], 2
	s_add_u32 s6, s0, s6
	s_addc_u32 s7, s1, s7
	v_mov_b32_e32 v1, 0
	global_load_dword v2, v1, s[6:7] glc
	s_waitcnt vmcnt(0)
	v_and_b32_e32 v3, 0xff0000, v2
	v_cmp_ne_u32_e32 vcc, 0, v3
	s_cbranch_vccnz .LBB2448_7
; %bb.3:
	s_mov_b32 s9, 1
.LBB2448_4:                             ; =>This Loop Header: Depth=1
                                        ;     Child Loop BB2448_5 Depth 2
	s_max_u32 s10, s9, 1
.LBB2448_5:                             ;   Parent Loop BB2448_4 Depth=1
                                        ; =>  This Inner Loop Header: Depth=2
	s_add_i32 s10, s10, -1
	s_cmp_eq_u32 s10, 0
	s_sleep 1
	s_cbranch_scc0 .LBB2448_5
; %bb.6:                                ;   in Loop: Header=BB2448_4 Depth=1
	global_load_dword v2, v1, s[6:7] glc
	s_cmp_lt_u32 s9, 32
	s_cselect_b64 s[10:11], -1, 0
	s_cmp_lg_u64 s[10:11], 0
	s_addc_u32 s9, s9, 0
	s_waitcnt vmcnt(0)
	v_and_b32_e32 v3, 0xff0000, v2
	v_cmp_ne_u32_e32 vcc, 0, v3
	s_cbranch_vccz .LBB2448_4
.LBB2448_7:
	v_mov_b32_e32 v1, 0
	global_store_short v1, v2, s[2:3]
.LBB2448_8:
	s_or_b64 exec, exec, s[4:5]
.LBB2448_9:
	v_cmp_gt_u32_e32 vcc, s8, v0
	s_and_saveexec_b64 s[2:3], vcc
	s_cbranch_execnz .LBB2448_12
; %bb.10:
	s_or_b64 exec, exec, s[2:3]
	v_cmp_gt_u32_e32 vcc, 64, v0
	s_and_saveexec_b64 s[2:3], vcc
	s_cbranch_execnz .LBB2448_13
.LBB2448_11:
	s_endpgm
.LBB2448_12:
	v_add_u32_e32 v2, 64, v0
	v_mov_b32_e32 v3, 0
	v_lshlrev_b64 v[4:5], 2, v[2:3]
	v_mov_b32_e32 v1, s1
	v_add_co_u32_e32 v4, vcc, s0, v4
	v_addc_co_u32_e32 v5, vcc, v1, v5, vcc
	global_store_dword v[4:5], v3, off
	s_or_b64 exec, exec, s[2:3]
	v_cmp_gt_u32_e32 vcc, 64, v0
	s_and_saveexec_b64 s[2:3], vcc
	s_cbranch_execz .LBB2448_11
.LBB2448_13:
	v_mov_b32_e32 v1, 0
	v_lshlrev_b64 v[0:1], 2, v[0:1]
	v_mov_b32_e32 v2, s1
	v_add_co_u32_e32 v0, vcc, s0, v0
	v_addc_co_u32_e32 v1, vcc, v2, v1, vcc
	v_mov_b32_e32 v2, 0xff0000
	global_store_dword v[0:1], v2, off
	s_endpgm
	.section	.rodata,"a",@progbits
	.p2align	6, 0x0
	.amdhsa_kernel _ZN7rocprim17ROCPRIM_400000_NS6detail31init_lookback_scan_state_kernelINS1_19lookback_scan_stateItLb1ELb1EEENS1_16block_id_wrapperIjLb0EEEEEvT_jT0_jPNS7_10value_typeE
		.amdhsa_group_segment_fixed_size 0
		.amdhsa_private_segment_fixed_size 0
		.amdhsa_kernarg_size 288
		.amdhsa_user_sgpr_count 6
		.amdhsa_user_sgpr_private_segment_buffer 1
		.amdhsa_user_sgpr_dispatch_ptr 0
		.amdhsa_user_sgpr_queue_ptr 0
		.amdhsa_user_sgpr_kernarg_segment_ptr 1
		.amdhsa_user_sgpr_dispatch_id 0
		.amdhsa_user_sgpr_flat_scratch_init 0
		.amdhsa_user_sgpr_kernarg_preload_length 0
		.amdhsa_user_sgpr_kernarg_preload_offset 0
		.amdhsa_user_sgpr_private_segment_size 0
		.amdhsa_uses_dynamic_stack 0
		.amdhsa_system_sgpr_private_segment_wavefront_offset 0
		.amdhsa_system_sgpr_workgroup_id_x 1
		.amdhsa_system_sgpr_workgroup_id_y 0
		.amdhsa_system_sgpr_workgroup_id_z 0
		.amdhsa_system_sgpr_workgroup_info 0
		.amdhsa_system_vgpr_workitem_id 0
		.amdhsa_next_free_vgpr 6
		.amdhsa_next_free_sgpr 12
		.amdhsa_accum_offset 8
		.amdhsa_reserve_vcc 1
		.amdhsa_reserve_flat_scratch 0
		.amdhsa_float_round_mode_32 0
		.amdhsa_float_round_mode_16_64 0
		.amdhsa_float_denorm_mode_32 3
		.amdhsa_float_denorm_mode_16_64 3
		.amdhsa_dx10_clamp 1
		.amdhsa_ieee_mode 1
		.amdhsa_fp16_overflow 0
		.amdhsa_tg_split 0
		.amdhsa_exception_fp_ieee_invalid_op 0
		.amdhsa_exception_fp_denorm_src 0
		.amdhsa_exception_fp_ieee_div_zero 0
		.amdhsa_exception_fp_ieee_overflow 0
		.amdhsa_exception_fp_ieee_underflow 0
		.amdhsa_exception_fp_ieee_inexact 0
		.amdhsa_exception_int_div_zero 0
	.end_amdhsa_kernel
	.section	.text._ZN7rocprim17ROCPRIM_400000_NS6detail31init_lookback_scan_state_kernelINS1_19lookback_scan_stateItLb1ELb1EEENS1_16block_id_wrapperIjLb0EEEEEvT_jT0_jPNS7_10value_typeE,"axG",@progbits,_ZN7rocprim17ROCPRIM_400000_NS6detail31init_lookback_scan_state_kernelINS1_19lookback_scan_stateItLb1ELb1EEENS1_16block_id_wrapperIjLb0EEEEEvT_jT0_jPNS7_10value_typeE,comdat
.Lfunc_end2448:
	.size	_ZN7rocprim17ROCPRIM_400000_NS6detail31init_lookback_scan_state_kernelINS1_19lookback_scan_stateItLb1ELb1EEENS1_16block_id_wrapperIjLb0EEEEEvT_jT0_jPNS7_10value_typeE, .Lfunc_end2448-_ZN7rocprim17ROCPRIM_400000_NS6detail31init_lookback_scan_state_kernelINS1_19lookback_scan_stateItLb1ELb1EEENS1_16block_id_wrapperIjLb0EEEEEvT_jT0_jPNS7_10value_typeE
                                        ; -- End function
	.section	.AMDGPU.csdata,"",@progbits
; Kernel info:
; codeLenInByte = 356
; NumSgprs: 16
; NumVgprs: 6
; NumAgprs: 0
; TotalNumVgprs: 6
; ScratchSize: 0
; MemoryBound: 0
; FloatMode: 240
; IeeeMode: 1
; LDSByteSize: 0 bytes/workgroup (compile time only)
; SGPRBlocks: 1
; VGPRBlocks: 0
; NumSGPRsForWavesPerEU: 16
; NumVGPRsForWavesPerEU: 6
; AccumOffset: 8
; Occupancy: 8
; WaveLimiterHint : 0
; COMPUTE_PGM_RSRC2:SCRATCH_EN: 0
; COMPUTE_PGM_RSRC2:USER_SGPR: 6
; COMPUTE_PGM_RSRC2:TRAP_HANDLER: 0
; COMPUTE_PGM_RSRC2:TGID_X_EN: 1
; COMPUTE_PGM_RSRC2:TGID_Y_EN: 0
; COMPUTE_PGM_RSRC2:TGID_Z_EN: 0
; COMPUTE_PGM_RSRC2:TIDIG_COMP_CNT: 0
; COMPUTE_PGM_RSRC3_GFX90A:ACCUM_OFFSET: 1
; COMPUTE_PGM_RSRC3_GFX90A:TG_SPLIT: 0
	.section	.text._ZN7rocprim17ROCPRIM_400000_NS6detail17trampoline_kernelINS0_14default_configENS1_20scan_config_selectorItEEZZNS1_9scan_implILNS1_25lookback_scan_determinismE0ELb0ELb0ES3_N6thrust23THRUST_200600_302600_NS6detail15normal_iteratorINS9_10device_ptrItEEEESE_t11max_functorItEtEEDaPvRmT3_T4_T5_mT6_P12ihipStream_tbENKUlT_T0_E_clISt17integral_constantIbLb1EEST_IbLb0EEEEDaSP_SQ_EUlSP_E_NS1_11comp_targetILNS1_3genE0ELNS1_11target_archE4294967295ELNS1_3gpuE0ELNS1_3repE0EEENS1_30default_config_static_selectorELNS0_4arch9wavefront6targetE1EEEvT1_,"axG",@progbits,_ZN7rocprim17ROCPRIM_400000_NS6detail17trampoline_kernelINS0_14default_configENS1_20scan_config_selectorItEEZZNS1_9scan_implILNS1_25lookback_scan_determinismE0ELb0ELb0ES3_N6thrust23THRUST_200600_302600_NS6detail15normal_iteratorINS9_10device_ptrItEEEESE_t11max_functorItEtEEDaPvRmT3_T4_T5_mT6_P12ihipStream_tbENKUlT_T0_E_clISt17integral_constantIbLb1EEST_IbLb0EEEEDaSP_SQ_EUlSP_E_NS1_11comp_targetILNS1_3genE0ELNS1_11target_archE4294967295ELNS1_3gpuE0ELNS1_3repE0EEENS1_30default_config_static_selectorELNS0_4arch9wavefront6targetE1EEEvT1_,comdat
	.protected	_ZN7rocprim17ROCPRIM_400000_NS6detail17trampoline_kernelINS0_14default_configENS1_20scan_config_selectorItEEZZNS1_9scan_implILNS1_25lookback_scan_determinismE0ELb0ELb0ES3_N6thrust23THRUST_200600_302600_NS6detail15normal_iteratorINS9_10device_ptrItEEEESE_t11max_functorItEtEEDaPvRmT3_T4_T5_mT6_P12ihipStream_tbENKUlT_T0_E_clISt17integral_constantIbLb1EEST_IbLb0EEEEDaSP_SQ_EUlSP_E_NS1_11comp_targetILNS1_3genE0ELNS1_11target_archE4294967295ELNS1_3gpuE0ELNS1_3repE0EEENS1_30default_config_static_selectorELNS0_4arch9wavefront6targetE1EEEvT1_ ; -- Begin function _ZN7rocprim17ROCPRIM_400000_NS6detail17trampoline_kernelINS0_14default_configENS1_20scan_config_selectorItEEZZNS1_9scan_implILNS1_25lookback_scan_determinismE0ELb0ELb0ES3_N6thrust23THRUST_200600_302600_NS6detail15normal_iteratorINS9_10device_ptrItEEEESE_t11max_functorItEtEEDaPvRmT3_T4_T5_mT6_P12ihipStream_tbENKUlT_T0_E_clISt17integral_constantIbLb1EEST_IbLb0EEEEDaSP_SQ_EUlSP_E_NS1_11comp_targetILNS1_3genE0ELNS1_11target_archE4294967295ELNS1_3gpuE0ELNS1_3repE0EEENS1_30default_config_static_selectorELNS0_4arch9wavefront6targetE1EEEvT1_
	.globl	_ZN7rocprim17ROCPRIM_400000_NS6detail17trampoline_kernelINS0_14default_configENS1_20scan_config_selectorItEEZZNS1_9scan_implILNS1_25lookback_scan_determinismE0ELb0ELb0ES3_N6thrust23THRUST_200600_302600_NS6detail15normal_iteratorINS9_10device_ptrItEEEESE_t11max_functorItEtEEDaPvRmT3_T4_T5_mT6_P12ihipStream_tbENKUlT_T0_E_clISt17integral_constantIbLb1EEST_IbLb0EEEEDaSP_SQ_EUlSP_E_NS1_11comp_targetILNS1_3genE0ELNS1_11target_archE4294967295ELNS1_3gpuE0ELNS1_3repE0EEENS1_30default_config_static_selectorELNS0_4arch9wavefront6targetE1EEEvT1_
	.p2align	8
	.type	_ZN7rocprim17ROCPRIM_400000_NS6detail17trampoline_kernelINS0_14default_configENS1_20scan_config_selectorItEEZZNS1_9scan_implILNS1_25lookback_scan_determinismE0ELb0ELb0ES3_N6thrust23THRUST_200600_302600_NS6detail15normal_iteratorINS9_10device_ptrItEEEESE_t11max_functorItEtEEDaPvRmT3_T4_T5_mT6_P12ihipStream_tbENKUlT_T0_E_clISt17integral_constantIbLb1EEST_IbLb0EEEEDaSP_SQ_EUlSP_E_NS1_11comp_targetILNS1_3genE0ELNS1_11target_archE4294967295ELNS1_3gpuE0ELNS1_3repE0EEENS1_30default_config_static_selectorELNS0_4arch9wavefront6targetE1EEEvT1_,@function
_ZN7rocprim17ROCPRIM_400000_NS6detail17trampoline_kernelINS0_14default_configENS1_20scan_config_selectorItEEZZNS1_9scan_implILNS1_25lookback_scan_determinismE0ELb0ELb0ES3_N6thrust23THRUST_200600_302600_NS6detail15normal_iteratorINS9_10device_ptrItEEEESE_t11max_functorItEtEEDaPvRmT3_T4_T5_mT6_P12ihipStream_tbENKUlT_T0_E_clISt17integral_constantIbLb1EEST_IbLb0EEEEDaSP_SQ_EUlSP_E_NS1_11comp_targetILNS1_3genE0ELNS1_11target_archE4294967295ELNS1_3gpuE0ELNS1_3repE0EEENS1_30default_config_static_selectorELNS0_4arch9wavefront6targetE1EEEvT1_: ; @_ZN7rocprim17ROCPRIM_400000_NS6detail17trampoline_kernelINS0_14default_configENS1_20scan_config_selectorItEEZZNS1_9scan_implILNS1_25lookback_scan_determinismE0ELb0ELb0ES3_N6thrust23THRUST_200600_302600_NS6detail15normal_iteratorINS9_10device_ptrItEEEESE_t11max_functorItEtEEDaPvRmT3_T4_T5_mT6_P12ihipStream_tbENKUlT_T0_E_clISt17integral_constantIbLb1EEST_IbLb0EEEEDaSP_SQ_EUlSP_E_NS1_11comp_targetILNS1_3genE0ELNS1_11target_archE4294967295ELNS1_3gpuE0ELNS1_3repE0EEENS1_30default_config_static_selectorELNS0_4arch9wavefront6targetE1EEEvT1_
; %bb.0:
	.section	.rodata,"a",@progbits
	.p2align	6, 0x0
	.amdhsa_kernel _ZN7rocprim17ROCPRIM_400000_NS6detail17trampoline_kernelINS0_14default_configENS1_20scan_config_selectorItEEZZNS1_9scan_implILNS1_25lookback_scan_determinismE0ELb0ELb0ES3_N6thrust23THRUST_200600_302600_NS6detail15normal_iteratorINS9_10device_ptrItEEEESE_t11max_functorItEtEEDaPvRmT3_T4_T5_mT6_P12ihipStream_tbENKUlT_T0_E_clISt17integral_constantIbLb1EEST_IbLb0EEEEDaSP_SQ_EUlSP_E_NS1_11comp_targetILNS1_3genE0ELNS1_11target_archE4294967295ELNS1_3gpuE0ELNS1_3repE0EEENS1_30default_config_static_selectorELNS0_4arch9wavefront6targetE1EEEvT1_
		.amdhsa_group_segment_fixed_size 0
		.amdhsa_private_segment_fixed_size 0
		.amdhsa_kernarg_size 96
		.amdhsa_user_sgpr_count 6
		.amdhsa_user_sgpr_private_segment_buffer 1
		.amdhsa_user_sgpr_dispatch_ptr 0
		.amdhsa_user_sgpr_queue_ptr 0
		.amdhsa_user_sgpr_kernarg_segment_ptr 1
		.amdhsa_user_sgpr_dispatch_id 0
		.amdhsa_user_sgpr_flat_scratch_init 0
		.amdhsa_user_sgpr_kernarg_preload_length 0
		.amdhsa_user_sgpr_kernarg_preload_offset 0
		.amdhsa_user_sgpr_private_segment_size 0
		.amdhsa_uses_dynamic_stack 0
		.amdhsa_system_sgpr_private_segment_wavefront_offset 0
		.amdhsa_system_sgpr_workgroup_id_x 1
		.amdhsa_system_sgpr_workgroup_id_y 0
		.amdhsa_system_sgpr_workgroup_id_z 0
		.amdhsa_system_sgpr_workgroup_info 0
		.amdhsa_system_vgpr_workitem_id 0
		.amdhsa_next_free_vgpr 1
		.amdhsa_next_free_sgpr 0
		.amdhsa_accum_offset 4
		.amdhsa_reserve_vcc 0
		.amdhsa_reserve_flat_scratch 0
		.amdhsa_float_round_mode_32 0
		.amdhsa_float_round_mode_16_64 0
		.amdhsa_float_denorm_mode_32 3
		.amdhsa_float_denorm_mode_16_64 3
		.amdhsa_dx10_clamp 1
		.amdhsa_ieee_mode 1
		.amdhsa_fp16_overflow 0
		.amdhsa_tg_split 0
		.amdhsa_exception_fp_ieee_invalid_op 0
		.amdhsa_exception_fp_denorm_src 0
		.amdhsa_exception_fp_ieee_div_zero 0
		.amdhsa_exception_fp_ieee_overflow 0
		.amdhsa_exception_fp_ieee_underflow 0
		.amdhsa_exception_fp_ieee_inexact 0
		.amdhsa_exception_int_div_zero 0
	.end_amdhsa_kernel
	.section	.text._ZN7rocprim17ROCPRIM_400000_NS6detail17trampoline_kernelINS0_14default_configENS1_20scan_config_selectorItEEZZNS1_9scan_implILNS1_25lookback_scan_determinismE0ELb0ELb0ES3_N6thrust23THRUST_200600_302600_NS6detail15normal_iteratorINS9_10device_ptrItEEEESE_t11max_functorItEtEEDaPvRmT3_T4_T5_mT6_P12ihipStream_tbENKUlT_T0_E_clISt17integral_constantIbLb1EEST_IbLb0EEEEDaSP_SQ_EUlSP_E_NS1_11comp_targetILNS1_3genE0ELNS1_11target_archE4294967295ELNS1_3gpuE0ELNS1_3repE0EEENS1_30default_config_static_selectorELNS0_4arch9wavefront6targetE1EEEvT1_,"axG",@progbits,_ZN7rocprim17ROCPRIM_400000_NS6detail17trampoline_kernelINS0_14default_configENS1_20scan_config_selectorItEEZZNS1_9scan_implILNS1_25lookback_scan_determinismE0ELb0ELb0ES3_N6thrust23THRUST_200600_302600_NS6detail15normal_iteratorINS9_10device_ptrItEEEESE_t11max_functorItEtEEDaPvRmT3_T4_T5_mT6_P12ihipStream_tbENKUlT_T0_E_clISt17integral_constantIbLb1EEST_IbLb0EEEEDaSP_SQ_EUlSP_E_NS1_11comp_targetILNS1_3genE0ELNS1_11target_archE4294967295ELNS1_3gpuE0ELNS1_3repE0EEENS1_30default_config_static_selectorELNS0_4arch9wavefront6targetE1EEEvT1_,comdat
.Lfunc_end2449:
	.size	_ZN7rocprim17ROCPRIM_400000_NS6detail17trampoline_kernelINS0_14default_configENS1_20scan_config_selectorItEEZZNS1_9scan_implILNS1_25lookback_scan_determinismE0ELb0ELb0ES3_N6thrust23THRUST_200600_302600_NS6detail15normal_iteratorINS9_10device_ptrItEEEESE_t11max_functorItEtEEDaPvRmT3_T4_T5_mT6_P12ihipStream_tbENKUlT_T0_E_clISt17integral_constantIbLb1EEST_IbLb0EEEEDaSP_SQ_EUlSP_E_NS1_11comp_targetILNS1_3genE0ELNS1_11target_archE4294967295ELNS1_3gpuE0ELNS1_3repE0EEENS1_30default_config_static_selectorELNS0_4arch9wavefront6targetE1EEEvT1_, .Lfunc_end2449-_ZN7rocprim17ROCPRIM_400000_NS6detail17trampoline_kernelINS0_14default_configENS1_20scan_config_selectorItEEZZNS1_9scan_implILNS1_25lookback_scan_determinismE0ELb0ELb0ES3_N6thrust23THRUST_200600_302600_NS6detail15normal_iteratorINS9_10device_ptrItEEEESE_t11max_functorItEtEEDaPvRmT3_T4_T5_mT6_P12ihipStream_tbENKUlT_T0_E_clISt17integral_constantIbLb1EEST_IbLb0EEEEDaSP_SQ_EUlSP_E_NS1_11comp_targetILNS1_3genE0ELNS1_11target_archE4294967295ELNS1_3gpuE0ELNS1_3repE0EEENS1_30default_config_static_selectorELNS0_4arch9wavefront6targetE1EEEvT1_
                                        ; -- End function
	.section	.AMDGPU.csdata,"",@progbits
; Kernel info:
; codeLenInByte = 0
; NumSgprs: 4
; NumVgprs: 0
; NumAgprs: 0
; TotalNumVgprs: 0
; ScratchSize: 0
; MemoryBound: 0
; FloatMode: 240
; IeeeMode: 1
; LDSByteSize: 0 bytes/workgroup (compile time only)
; SGPRBlocks: 0
; VGPRBlocks: 0
; NumSGPRsForWavesPerEU: 4
; NumVGPRsForWavesPerEU: 1
; AccumOffset: 4
; Occupancy: 8
; WaveLimiterHint : 0
; COMPUTE_PGM_RSRC2:SCRATCH_EN: 0
; COMPUTE_PGM_RSRC2:USER_SGPR: 6
; COMPUTE_PGM_RSRC2:TRAP_HANDLER: 0
; COMPUTE_PGM_RSRC2:TGID_X_EN: 1
; COMPUTE_PGM_RSRC2:TGID_Y_EN: 0
; COMPUTE_PGM_RSRC2:TGID_Z_EN: 0
; COMPUTE_PGM_RSRC2:TIDIG_COMP_CNT: 0
; COMPUTE_PGM_RSRC3_GFX90A:ACCUM_OFFSET: 0
; COMPUTE_PGM_RSRC3_GFX90A:TG_SPLIT: 0
	.section	.text._ZN7rocprim17ROCPRIM_400000_NS6detail17trampoline_kernelINS0_14default_configENS1_20scan_config_selectorItEEZZNS1_9scan_implILNS1_25lookback_scan_determinismE0ELb0ELb0ES3_N6thrust23THRUST_200600_302600_NS6detail15normal_iteratorINS9_10device_ptrItEEEESE_t11max_functorItEtEEDaPvRmT3_T4_T5_mT6_P12ihipStream_tbENKUlT_T0_E_clISt17integral_constantIbLb1EEST_IbLb0EEEEDaSP_SQ_EUlSP_E_NS1_11comp_targetILNS1_3genE5ELNS1_11target_archE942ELNS1_3gpuE9ELNS1_3repE0EEENS1_30default_config_static_selectorELNS0_4arch9wavefront6targetE1EEEvT1_,"axG",@progbits,_ZN7rocprim17ROCPRIM_400000_NS6detail17trampoline_kernelINS0_14default_configENS1_20scan_config_selectorItEEZZNS1_9scan_implILNS1_25lookback_scan_determinismE0ELb0ELb0ES3_N6thrust23THRUST_200600_302600_NS6detail15normal_iteratorINS9_10device_ptrItEEEESE_t11max_functorItEtEEDaPvRmT3_T4_T5_mT6_P12ihipStream_tbENKUlT_T0_E_clISt17integral_constantIbLb1EEST_IbLb0EEEEDaSP_SQ_EUlSP_E_NS1_11comp_targetILNS1_3genE5ELNS1_11target_archE942ELNS1_3gpuE9ELNS1_3repE0EEENS1_30default_config_static_selectorELNS0_4arch9wavefront6targetE1EEEvT1_,comdat
	.protected	_ZN7rocprim17ROCPRIM_400000_NS6detail17trampoline_kernelINS0_14default_configENS1_20scan_config_selectorItEEZZNS1_9scan_implILNS1_25lookback_scan_determinismE0ELb0ELb0ES3_N6thrust23THRUST_200600_302600_NS6detail15normal_iteratorINS9_10device_ptrItEEEESE_t11max_functorItEtEEDaPvRmT3_T4_T5_mT6_P12ihipStream_tbENKUlT_T0_E_clISt17integral_constantIbLb1EEST_IbLb0EEEEDaSP_SQ_EUlSP_E_NS1_11comp_targetILNS1_3genE5ELNS1_11target_archE942ELNS1_3gpuE9ELNS1_3repE0EEENS1_30default_config_static_selectorELNS0_4arch9wavefront6targetE1EEEvT1_ ; -- Begin function _ZN7rocprim17ROCPRIM_400000_NS6detail17trampoline_kernelINS0_14default_configENS1_20scan_config_selectorItEEZZNS1_9scan_implILNS1_25lookback_scan_determinismE0ELb0ELb0ES3_N6thrust23THRUST_200600_302600_NS6detail15normal_iteratorINS9_10device_ptrItEEEESE_t11max_functorItEtEEDaPvRmT3_T4_T5_mT6_P12ihipStream_tbENKUlT_T0_E_clISt17integral_constantIbLb1EEST_IbLb0EEEEDaSP_SQ_EUlSP_E_NS1_11comp_targetILNS1_3genE5ELNS1_11target_archE942ELNS1_3gpuE9ELNS1_3repE0EEENS1_30default_config_static_selectorELNS0_4arch9wavefront6targetE1EEEvT1_
	.globl	_ZN7rocprim17ROCPRIM_400000_NS6detail17trampoline_kernelINS0_14default_configENS1_20scan_config_selectorItEEZZNS1_9scan_implILNS1_25lookback_scan_determinismE0ELb0ELb0ES3_N6thrust23THRUST_200600_302600_NS6detail15normal_iteratorINS9_10device_ptrItEEEESE_t11max_functorItEtEEDaPvRmT3_T4_T5_mT6_P12ihipStream_tbENKUlT_T0_E_clISt17integral_constantIbLb1EEST_IbLb0EEEEDaSP_SQ_EUlSP_E_NS1_11comp_targetILNS1_3genE5ELNS1_11target_archE942ELNS1_3gpuE9ELNS1_3repE0EEENS1_30default_config_static_selectorELNS0_4arch9wavefront6targetE1EEEvT1_
	.p2align	8
	.type	_ZN7rocprim17ROCPRIM_400000_NS6detail17trampoline_kernelINS0_14default_configENS1_20scan_config_selectorItEEZZNS1_9scan_implILNS1_25lookback_scan_determinismE0ELb0ELb0ES3_N6thrust23THRUST_200600_302600_NS6detail15normal_iteratorINS9_10device_ptrItEEEESE_t11max_functorItEtEEDaPvRmT3_T4_T5_mT6_P12ihipStream_tbENKUlT_T0_E_clISt17integral_constantIbLb1EEST_IbLb0EEEEDaSP_SQ_EUlSP_E_NS1_11comp_targetILNS1_3genE5ELNS1_11target_archE942ELNS1_3gpuE9ELNS1_3repE0EEENS1_30default_config_static_selectorELNS0_4arch9wavefront6targetE1EEEvT1_,@function
_ZN7rocprim17ROCPRIM_400000_NS6detail17trampoline_kernelINS0_14default_configENS1_20scan_config_selectorItEEZZNS1_9scan_implILNS1_25lookback_scan_determinismE0ELb0ELb0ES3_N6thrust23THRUST_200600_302600_NS6detail15normal_iteratorINS9_10device_ptrItEEEESE_t11max_functorItEtEEDaPvRmT3_T4_T5_mT6_P12ihipStream_tbENKUlT_T0_E_clISt17integral_constantIbLb1EEST_IbLb0EEEEDaSP_SQ_EUlSP_E_NS1_11comp_targetILNS1_3genE5ELNS1_11target_archE942ELNS1_3gpuE9ELNS1_3repE0EEENS1_30default_config_static_selectorELNS0_4arch9wavefront6targetE1EEEvT1_: ; @_ZN7rocprim17ROCPRIM_400000_NS6detail17trampoline_kernelINS0_14default_configENS1_20scan_config_selectorItEEZZNS1_9scan_implILNS1_25lookback_scan_determinismE0ELb0ELb0ES3_N6thrust23THRUST_200600_302600_NS6detail15normal_iteratorINS9_10device_ptrItEEEESE_t11max_functorItEtEEDaPvRmT3_T4_T5_mT6_P12ihipStream_tbENKUlT_T0_E_clISt17integral_constantIbLb1EEST_IbLb0EEEEDaSP_SQ_EUlSP_E_NS1_11comp_targetILNS1_3genE5ELNS1_11target_archE942ELNS1_3gpuE9ELNS1_3repE0EEENS1_30default_config_static_selectorELNS0_4arch9wavefront6targetE1EEEvT1_
; %bb.0:
	.section	.rodata,"a",@progbits
	.p2align	6, 0x0
	.amdhsa_kernel _ZN7rocprim17ROCPRIM_400000_NS6detail17trampoline_kernelINS0_14default_configENS1_20scan_config_selectorItEEZZNS1_9scan_implILNS1_25lookback_scan_determinismE0ELb0ELb0ES3_N6thrust23THRUST_200600_302600_NS6detail15normal_iteratorINS9_10device_ptrItEEEESE_t11max_functorItEtEEDaPvRmT3_T4_T5_mT6_P12ihipStream_tbENKUlT_T0_E_clISt17integral_constantIbLb1EEST_IbLb0EEEEDaSP_SQ_EUlSP_E_NS1_11comp_targetILNS1_3genE5ELNS1_11target_archE942ELNS1_3gpuE9ELNS1_3repE0EEENS1_30default_config_static_selectorELNS0_4arch9wavefront6targetE1EEEvT1_
		.amdhsa_group_segment_fixed_size 0
		.amdhsa_private_segment_fixed_size 0
		.amdhsa_kernarg_size 96
		.amdhsa_user_sgpr_count 6
		.amdhsa_user_sgpr_private_segment_buffer 1
		.amdhsa_user_sgpr_dispatch_ptr 0
		.amdhsa_user_sgpr_queue_ptr 0
		.amdhsa_user_sgpr_kernarg_segment_ptr 1
		.amdhsa_user_sgpr_dispatch_id 0
		.amdhsa_user_sgpr_flat_scratch_init 0
		.amdhsa_user_sgpr_kernarg_preload_length 0
		.amdhsa_user_sgpr_kernarg_preload_offset 0
		.amdhsa_user_sgpr_private_segment_size 0
		.amdhsa_uses_dynamic_stack 0
		.amdhsa_system_sgpr_private_segment_wavefront_offset 0
		.amdhsa_system_sgpr_workgroup_id_x 1
		.amdhsa_system_sgpr_workgroup_id_y 0
		.amdhsa_system_sgpr_workgroup_id_z 0
		.amdhsa_system_sgpr_workgroup_info 0
		.amdhsa_system_vgpr_workitem_id 0
		.amdhsa_next_free_vgpr 1
		.amdhsa_next_free_sgpr 0
		.amdhsa_accum_offset 4
		.amdhsa_reserve_vcc 0
		.amdhsa_reserve_flat_scratch 0
		.amdhsa_float_round_mode_32 0
		.amdhsa_float_round_mode_16_64 0
		.amdhsa_float_denorm_mode_32 3
		.amdhsa_float_denorm_mode_16_64 3
		.amdhsa_dx10_clamp 1
		.amdhsa_ieee_mode 1
		.amdhsa_fp16_overflow 0
		.amdhsa_tg_split 0
		.amdhsa_exception_fp_ieee_invalid_op 0
		.amdhsa_exception_fp_denorm_src 0
		.amdhsa_exception_fp_ieee_div_zero 0
		.amdhsa_exception_fp_ieee_overflow 0
		.amdhsa_exception_fp_ieee_underflow 0
		.amdhsa_exception_fp_ieee_inexact 0
		.amdhsa_exception_int_div_zero 0
	.end_amdhsa_kernel
	.section	.text._ZN7rocprim17ROCPRIM_400000_NS6detail17trampoline_kernelINS0_14default_configENS1_20scan_config_selectorItEEZZNS1_9scan_implILNS1_25lookback_scan_determinismE0ELb0ELb0ES3_N6thrust23THRUST_200600_302600_NS6detail15normal_iteratorINS9_10device_ptrItEEEESE_t11max_functorItEtEEDaPvRmT3_T4_T5_mT6_P12ihipStream_tbENKUlT_T0_E_clISt17integral_constantIbLb1EEST_IbLb0EEEEDaSP_SQ_EUlSP_E_NS1_11comp_targetILNS1_3genE5ELNS1_11target_archE942ELNS1_3gpuE9ELNS1_3repE0EEENS1_30default_config_static_selectorELNS0_4arch9wavefront6targetE1EEEvT1_,"axG",@progbits,_ZN7rocprim17ROCPRIM_400000_NS6detail17trampoline_kernelINS0_14default_configENS1_20scan_config_selectorItEEZZNS1_9scan_implILNS1_25lookback_scan_determinismE0ELb0ELb0ES3_N6thrust23THRUST_200600_302600_NS6detail15normal_iteratorINS9_10device_ptrItEEEESE_t11max_functorItEtEEDaPvRmT3_T4_T5_mT6_P12ihipStream_tbENKUlT_T0_E_clISt17integral_constantIbLb1EEST_IbLb0EEEEDaSP_SQ_EUlSP_E_NS1_11comp_targetILNS1_3genE5ELNS1_11target_archE942ELNS1_3gpuE9ELNS1_3repE0EEENS1_30default_config_static_selectorELNS0_4arch9wavefront6targetE1EEEvT1_,comdat
.Lfunc_end2450:
	.size	_ZN7rocprim17ROCPRIM_400000_NS6detail17trampoline_kernelINS0_14default_configENS1_20scan_config_selectorItEEZZNS1_9scan_implILNS1_25lookback_scan_determinismE0ELb0ELb0ES3_N6thrust23THRUST_200600_302600_NS6detail15normal_iteratorINS9_10device_ptrItEEEESE_t11max_functorItEtEEDaPvRmT3_T4_T5_mT6_P12ihipStream_tbENKUlT_T0_E_clISt17integral_constantIbLb1EEST_IbLb0EEEEDaSP_SQ_EUlSP_E_NS1_11comp_targetILNS1_3genE5ELNS1_11target_archE942ELNS1_3gpuE9ELNS1_3repE0EEENS1_30default_config_static_selectorELNS0_4arch9wavefront6targetE1EEEvT1_, .Lfunc_end2450-_ZN7rocprim17ROCPRIM_400000_NS6detail17trampoline_kernelINS0_14default_configENS1_20scan_config_selectorItEEZZNS1_9scan_implILNS1_25lookback_scan_determinismE0ELb0ELb0ES3_N6thrust23THRUST_200600_302600_NS6detail15normal_iteratorINS9_10device_ptrItEEEESE_t11max_functorItEtEEDaPvRmT3_T4_T5_mT6_P12ihipStream_tbENKUlT_T0_E_clISt17integral_constantIbLb1EEST_IbLb0EEEEDaSP_SQ_EUlSP_E_NS1_11comp_targetILNS1_3genE5ELNS1_11target_archE942ELNS1_3gpuE9ELNS1_3repE0EEENS1_30default_config_static_selectorELNS0_4arch9wavefront6targetE1EEEvT1_
                                        ; -- End function
	.section	.AMDGPU.csdata,"",@progbits
; Kernel info:
; codeLenInByte = 0
; NumSgprs: 4
; NumVgprs: 0
; NumAgprs: 0
; TotalNumVgprs: 0
; ScratchSize: 0
; MemoryBound: 0
; FloatMode: 240
; IeeeMode: 1
; LDSByteSize: 0 bytes/workgroup (compile time only)
; SGPRBlocks: 0
; VGPRBlocks: 0
; NumSGPRsForWavesPerEU: 4
; NumVGPRsForWavesPerEU: 1
; AccumOffset: 4
; Occupancy: 8
; WaveLimiterHint : 0
; COMPUTE_PGM_RSRC2:SCRATCH_EN: 0
; COMPUTE_PGM_RSRC2:USER_SGPR: 6
; COMPUTE_PGM_RSRC2:TRAP_HANDLER: 0
; COMPUTE_PGM_RSRC2:TGID_X_EN: 1
; COMPUTE_PGM_RSRC2:TGID_Y_EN: 0
; COMPUTE_PGM_RSRC2:TGID_Z_EN: 0
; COMPUTE_PGM_RSRC2:TIDIG_COMP_CNT: 0
; COMPUTE_PGM_RSRC3_GFX90A:ACCUM_OFFSET: 0
; COMPUTE_PGM_RSRC3_GFX90A:TG_SPLIT: 0
	.section	.text._ZN7rocprim17ROCPRIM_400000_NS6detail17trampoline_kernelINS0_14default_configENS1_20scan_config_selectorItEEZZNS1_9scan_implILNS1_25lookback_scan_determinismE0ELb0ELb0ES3_N6thrust23THRUST_200600_302600_NS6detail15normal_iteratorINS9_10device_ptrItEEEESE_t11max_functorItEtEEDaPvRmT3_T4_T5_mT6_P12ihipStream_tbENKUlT_T0_E_clISt17integral_constantIbLb1EEST_IbLb0EEEEDaSP_SQ_EUlSP_E_NS1_11comp_targetILNS1_3genE4ELNS1_11target_archE910ELNS1_3gpuE8ELNS1_3repE0EEENS1_30default_config_static_selectorELNS0_4arch9wavefront6targetE1EEEvT1_,"axG",@progbits,_ZN7rocprim17ROCPRIM_400000_NS6detail17trampoline_kernelINS0_14default_configENS1_20scan_config_selectorItEEZZNS1_9scan_implILNS1_25lookback_scan_determinismE0ELb0ELb0ES3_N6thrust23THRUST_200600_302600_NS6detail15normal_iteratorINS9_10device_ptrItEEEESE_t11max_functorItEtEEDaPvRmT3_T4_T5_mT6_P12ihipStream_tbENKUlT_T0_E_clISt17integral_constantIbLb1EEST_IbLb0EEEEDaSP_SQ_EUlSP_E_NS1_11comp_targetILNS1_3genE4ELNS1_11target_archE910ELNS1_3gpuE8ELNS1_3repE0EEENS1_30default_config_static_selectorELNS0_4arch9wavefront6targetE1EEEvT1_,comdat
	.protected	_ZN7rocprim17ROCPRIM_400000_NS6detail17trampoline_kernelINS0_14default_configENS1_20scan_config_selectorItEEZZNS1_9scan_implILNS1_25lookback_scan_determinismE0ELb0ELb0ES3_N6thrust23THRUST_200600_302600_NS6detail15normal_iteratorINS9_10device_ptrItEEEESE_t11max_functorItEtEEDaPvRmT3_T4_T5_mT6_P12ihipStream_tbENKUlT_T0_E_clISt17integral_constantIbLb1EEST_IbLb0EEEEDaSP_SQ_EUlSP_E_NS1_11comp_targetILNS1_3genE4ELNS1_11target_archE910ELNS1_3gpuE8ELNS1_3repE0EEENS1_30default_config_static_selectorELNS0_4arch9wavefront6targetE1EEEvT1_ ; -- Begin function _ZN7rocprim17ROCPRIM_400000_NS6detail17trampoline_kernelINS0_14default_configENS1_20scan_config_selectorItEEZZNS1_9scan_implILNS1_25lookback_scan_determinismE0ELb0ELb0ES3_N6thrust23THRUST_200600_302600_NS6detail15normal_iteratorINS9_10device_ptrItEEEESE_t11max_functorItEtEEDaPvRmT3_T4_T5_mT6_P12ihipStream_tbENKUlT_T0_E_clISt17integral_constantIbLb1EEST_IbLb0EEEEDaSP_SQ_EUlSP_E_NS1_11comp_targetILNS1_3genE4ELNS1_11target_archE910ELNS1_3gpuE8ELNS1_3repE0EEENS1_30default_config_static_selectorELNS0_4arch9wavefront6targetE1EEEvT1_
	.globl	_ZN7rocprim17ROCPRIM_400000_NS6detail17trampoline_kernelINS0_14default_configENS1_20scan_config_selectorItEEZZNS1_9scan_implILNS1_25lookback_scan_determinismE0ELb0ELb0ES3_N6thrust23THRUST_200600_302600_NS6detail15normal_iteratorINS9_10device_ptrItEEEESE_t11max_functorItEtEEDaPvRmT3_T4_T5_mT6_P12ihipStream_tbENKUlT_T0_E_clISt17integral_constantIbLb1EEST_IbLb0EEEEDaSP_SQ_EUlSP_E_NS1_11comp_targetILNS1_3genE4ELNS1_11target_archE910ELNS1_3gpuE8ELNS1_3repE0EEENS1_30default_config_static_selectorELNS0_4arch9wavefront6targetE1EEEvT1_
	.p2align	8
	.type	_ZN7rocprim17ROCPRIM_400000_NS6detail17trampoline_kernelINS0_14default_configENS1_20scan_config_selectorItEEZZNS1_9scan_implILNS1_25lookback_scan_determinismE0ELb0ELb0ES3_N6thrust23THRUST_200600_302600_NS6detail15normal_iteratorINS9_10device_ptrItEEEESE_t11max_functorItEtEEDaPvRmT3_T4_T5_mT6_P12ihipStream_tbENKUlT_T0_E_clISt17integral_constantIbLb1EEST_IbLb0EEEEDaSP_SQ_EUlSP_E_NS1_11comp_targetILNS1_3genE4ELNS1_11target_archE910ELNS1_3gpuE8ELNS1_3repE0EEENS1_30default_config_static_selectorELNS0_4arch9wavefront6targetE1EEEvT1_,@function
_ZN7rocprim17ROCPRIM_400000_NS6detail17trampoline_kernelINS0_14default_configENS1_20scan_config_selectorItEEZZNS1_9scan_implILNS1_25lookback_scan_determinismE0ELb0ELb0ES3_N6thrust23THRUST_200600_302600_NS6detail15normal_iteratorINS9_10device_ptrItEEEESE_t11max_functorItEtEEDaPvRmT3_T4_T5_mT6_P12ihipStream_tbENKUlT_T0_E_clISt17integral_constantIbLb1EEST_IbLb0EEEEDaSP_SQ_EUlSP_E_NS1_11comp_targetILNS1_3genE4ELNS1_11target_archE910ELNS1_3gpuE8ELNS1_3repE0EEENS1_30default_config_static_selectorELNS0_4arch9wavefront6targetE1EEEvT1_: ; @_ZN7rocprim17ROCPRIM_400000_NS6detail17trampoline_kernelINS0_14default_configENS1_20scan_config_selectorItEEZZNS1_9scan_implILNS1_25lookback_scan_determinismE0ELb0ELb0ES3_N6thrust23THRUST_200600_302600_NS6detail15normal_iteratorINS9_10device_ptrItEEEESE_t11max_functorItEtEEDaPvRmT3_T4_T5_mT6_P12ihipStream_tbENKUlT_T0_E_clISt17integral_constantIbLb1EEST_IbLb0EEEEDaSP_SQ_EUlSP_E_NS1_11comp_targetILNS1_3genE4ELNS1_11target_archE910ELNS1_3gpuE8ELNS1_3repE0EEENS1_30default_config_static_selectorELNS0_4arch9wavefront6targetE1EEEvT1_
; %bb.0:
	s_load_dwordx8 s[12:19], s[4:5], 0x0
	s_load_dword s1, s[4:5], 0x30
	s_mul_i32 s0, s6, 0x600
	v_lshlrev_b32_e32 v20, 1, v0
	s_waitcnt lgkmcnt(0)
	s_lshl_b64 s[14:15], s[14:15], 1
	s_add_u32 s2, s12, s14
	s_addc_u32 s3, s13, s15
	s_add_i32 s7, s1, -1
	s_mul_i32 s8, s7, 0x600
	s_sub_u32 s26, s18, s8
	s_subb_u32 s27, s19, 0
	s_mov_b32 s1, 0
	s_cmp_lg_u32 s6, s7
	s_cselect_b64 s[18:19], -1, 0
	s_lshl_b64 s[20:21], s[0:1], 1
	s_add_u32 s2, s2, s20
	s_addc_u32 s3, s3, s21
	s_mov_b64 s[0:1], -1
	s_and_b64 vcc, exec, s[18:19]
	s_cbranch_vccz .LBB2451_2
; %bb.1:
	v_mov_b32_e32 v1, s3
	v_add_co_u32_e32 v2, vcc, s2, v20
	v_addc_co_u32_e32 v3, vcc, 0, v1, vcc
	flat_load_ushort v1, v[2:3]
	flat_load_ushort v4, v[2:3] offset:128
	flat_load_ushort v5, v[2:3] offset:256
	;; [unrolled: 1-line block ×23, first 2 shown]
	s_mov_b64 s[0:1], 0
	s_waitcnt vmcnt(0) lgkmcnt(0)
	ds_write_b16 v20, v1
	ds_write_b16 v20, v4 offset:128
	ds_write_b16 v20, v5 offset:256
	;; [unrolled: 1-line block ×23, first 2 shown]
	s_waitcnt lgkmcnt(0)
	; wave barrier
.LBB2451_2:
	s_load_dwordx2 s[22:23], s[4:5], 0x28
	s_andn2_b64 vcc, exec, s[0:1]
	v_cmp_gt_u32_e64 s[0:1], s26, v0
	s_cbranch_vccnz .LBB2451_52
; %bb.3:
	v_pk_mov_b32 v[2:3], s[2:3], s[2:3] op_sel:[0,1]
	flat_load_ushort v1, v[2:3]
	s_waitcnt vmcnt(0) lgkmcnt(0)
	v_mov_b32_e32 v2, v1
	s_and_saveexec_b64 s[8:9], s[0:1]
	s_cbranch_execz .LBB2451_5
; %bb.4:
	v_mov_b32_e32 v3, s3
	v_add_co_u32_e32 v2, vcc, s2, v20
	v_addc_co_u32_e32 v3, vcc, 0, v3, vcc
	flat_load_ushort v2, v[2:3]
.LBB2451_5:
	s_or_b64 exec, exec, s[8:9]
	v_or_b32_e32 v3, 64, v0
	v_cmp_gt_u32_e32 vcc, s26, v3
	v_mov_b32_e32 v3, v1
	s_and_saveexec_b64 s[0:1], vcc
	s_cbranch_execz .LBB2451_7
; %bb.6:
	v_mov_b32_e32 v3, s3
	v_add_co_u32_e32 v4, vcc, s2, v20
	v_addc_co_u32_e32 v5, vcc, 0, v3, vcc
	flat_load_ushort v3, v[4:5] offset:128
.LBB2451_7:
	s_or_b64 exec, exec, s[0:1]
	v_or_b32_e32 v4, 0x80, v0
	v_cmp_gt_u32_e32 vcc, s26, v4
	v_mov_b32_e32 v4, v1
	s_and_saveexec_b64 s[0:1], vcc
	s_cbranch_execz .LBB2451_9
; %bb.8:
	v_mov_b32_e32 v5, s3
	v_add_co_u32_e32 v4, vcc, s2, v20
	v_addc_co_u32_e32 v5, vcc, 0, v5, vcc
	flat_load_ushort v4, v[4:5] offset:256
.LBB2451_9:
	;; [unrolled: 12-line block ×22, first 2 shown]
	s_or_b64 exec, exec, s[0:1]
	v_or_b32_e32 v26, 0x5c0, v0
	v_cmp_gt_u32_e32 vcc, s26, v26
	s_and_saveexec_b64 s[0:1], vcc
	s_cbranch_execz .LBB2451_51
; %bb.50:
	v_mov_b32_e32 v1, s3
	v_add_co_u32_e32 v26, vcc, s2, v20
	v_addc_co_u32_e32 v27, vcc, 0, v1, vcc
	flat_load_ushort v1, v[26:27] offset:2944
.LBB2451_51:
	s_or_b64 exec, exec, s[0:1]
	s_waitcnt vmcnt(0) lgkmcnt(0)
	ds_write_b16 v20, v2
	ds_write_b16 v20, v3 offset:128
	ds_write_b16 v20, v4 offset:256
	;; [unrolled: 1-line block ×23, first 2 shown]
	s_waitcnt lgkmcnt(0)
	; wave barrier
.LBB2451_52:
	v_mul_u32_u24_e32 v21, 24, v0
	v_lshlrev_b32_e32 v22, 1, v21
	s_waitcnt lgkmcnt(0)
	ds_read_b128 v[10:13], v22
	ds_read_b128 v[6:9], v22 offset:16
	ds_read_b128 v[2:5], v22 offset:32
	s_cmp_lg_u32 s6, 0
	v_mbcnt_lo_u32_b32 v33, -1, 0
	s_waitcnt lgkmcnt(2)
	v_lshrrev_b32_e32 v32, 16, v11
	v_lshrrev_b32_e32 v31, 16, v12
	;; [unrolled: 1-line block ×3, first 2 shown]
	s_waitcnt lgkmcnt(1)
	v_lshrrev_b32_e32 v29, 16, v6
	v_lshrrev_b32_e32 v28, 16, v7
	v_lshrrev_b32_e32 v27, 16, v8
	v_lshrrev_b32_e32 v26, 16, v9
	s_waitcnt lgkmcnt(0)
	v_lshrrev_b32_e32 v25, 16, v2
	v_lshrrev_b32_e32 v24, 16, v3
	;; [unrolled: 1-line block ×4, first 2 shown]
	v_cmp_eq_u32_e32 vcc, 63, v0
	s_waitcnt lgkmcnt(0)
	; wave barrier
	s_cbranch_scc0 .LBB2451_79
; %bb.53:
	v_max_u16_sdwa v14, v10, v10 dst_sel:DWORD dst_unused:UNUSED_PAD src0_sel:DWORD src1_sel:WORD_1
	v_max3_u16 v14, v14, v11, v32
	v_max3_u16 v14, v14, v12, v31
	;; [unrolled: 1-line block ×11, first 2 shown]
	v_mbcnt_hi_u32_b32 v15, -1, v33
	v_and_b32_e32 v17, 0xffff, v14
	v_and_b32_e32 v16, 15, v15
	v_cmp_eq_u32_e64 s[0:1], 0, v16
	v_mov_b32_dpp v17, v17 row_shr:1 row_mask:0xf bank_mask:0xf
	v_max_u16_e32 v17, v17, v14
	v_cndmask_b32_e64 v14, v17, v14, s[0:1]
	v_and_b32_e32 v17, 0xffff, v14
	v_cmp_lt_u32_e64 s[0:1], 1, v16
	s_nop 0
	v_mov_b32_dpp v17, v17 row_shr:2 row_mask:0xf bank_mask:0xf
	v_max_u16_e32 v17, v17, v14
	v_cndmask_b32_e64 v14, v14, v17, s[0:1]
	v_and_b32_e32 v17, 0xffff, v14
	v_cmp_lt_u32_e64 s[0:1], 3, v16
	s_nop 0
	;; [unrolled: 6-line block ×3, first 2 shown]
	v_mov_b32_dpp v17, v17 row_shr:8 row_mask:0xf bank_mask:0xf
	v_max_u16_e32 v17, v17, v14
	v_cndmask_b32_e64 v14, v14, v17, s[0:1]
	v_and_b32_e32 v16, 0xffff, v14
	v_and_b32_e32 v17, 16, v15
	v_cmp_eq_u32_e64 s[0:1], 0, v17
	v_mov_b32_dpp v16, v16 row_bcast:15 row_mask:0xf bank_mask:0xf
	v_max_u16_e32 v16, v16, v14
	v_cndmask_b32_e64 v14, v16, v14, s[0:1]
	v_and_b32_e32 v16, 0xffff, v14
	v_cmp_lt_u32_e64 s[0:1], 31, v15
	s_nop 0
	v_mov_b32_dpp v16, v16 row_bcast:31 row_mask:0xf bank_mask:0xf
	v_max_u16_e32 v16, v16, v14
	v_cndmask_b32_e64 v14, v14, v16, s[0:1]
	s_and_saveexec_b64 s[0:1], vcc
	s_cbranch_execz .LBB2451_55
; %bb.54:
	v_mov_b32_e32 v16, 0
	ds_write_b16 v16, v14
.LBB2451_55:
	s_or_b64 exec, exec, s[0:1]
	v_add_u32_e32 v16, -1, v15
	v_and_b32_e32 v17, 64, v15
	v_cmp_lt_i32_e32 vcc, v16, v17
	v_cndmask_b32_e32 v16, v16, v15, vcc
	v_and_b32_e32 v14, 0xffff, v14
	v_lshlrev_b32_e32 v16, 2, v16
	ds_bpermute_b32 v34, v16, v14
	v_cmp_gt_u32_e32 vcc, 64, v0
	s_waitcnt lgkmcnt(0)
	; wave barrier
	s_waitcnt lgkmcnt(0)
	s_and_saveexec_b64 s[24:25], vcc
	s_cbranch_execz .LBB2451_78
; %bb.56:
	v_mov_b32_e32 v19, 0
	ds_read_u16 v35, v19
	s_mov_b32 s9, 0
	v_cmp_eq_u32_e64 s[0:1], 0, v15
	s_and_saveexec_b64 s[2:3], s[0:1]
	s_cbranch_execz .LBB2451_58
; %bb.57:
	s_add_i32 s8, s6, 64
	s_lshl_b64 s[8:9], s[8:9], 2
	s_add_u32 s8, s22, s8
	s_waitcnt lgkmcnt(0)
	v_or_b32_e32 v14, 0x10000, v35
	s_addc_u32 s9, s23, s9
	global_store_dword v19, v14, s[8:9]
.LBB2451_58:
	s_or_b64 exec, exec, s[2:3]
	v_xad_u32 v14, v15, -1, s6
	v_add_u32_e32 v18, 64, v14
	v_lshlrev_b64 v[16:17], 2, v[18:19]
	v_mov_b32_e32 v18, s23
	v_add_co_u32_e32 v16, vcc, s22, v16
	v_addc_co_u32_e32 v17, vcc, v18, v17, vcc
	global_load_dword v18, v[16:17], off glc
	s_waitcnt vmcnt(0)
	v_lshrrev_b32_e32 v39, 16, v18
	v_cmp_eq_u16_sdwa s[8:9], v39, v19 src0_sel:BYTE_0 src1_sel:DWORD
	s_and_saveexec_b64 s[2:3], s[8:9]
	s_cbranch_execz .LBB2451_64
; %bb.59:
	s_mov_b32 s7, 1
	s_mov_b64 s[8:9], 0
	v_mov_b32_e32 v19, 0
.LBB2451_60:                            ; =>This Loop Header: Depth=1
                                        ;     Child Loop BB2451_61 Depth 2
	s_max_u32 s10, s7, 1
.LBB2451_61:                            ;   Parent Loop BB2451_60 Depth=1
                                        ; =>  This Inner Loop Header: Depth=2
	s_add_i32 s10, s10, -1
	s_cmp_eq_u32 s10, 0
	s_sleep 1
	s_cbranch_scc0 .LBB2451_61
; %bb.62:                               ;   in Loop: Header=BB2451_60 Depth=1
	global_load_dword v18, v[16:17], off glc
	s_cmp_lt_u32 s7, 32
	s_cselect_b64 s[10:11], -1, 0
	s_cmp_lg_u64 s[10:11], 0
	s_addc_u32 s7, s7, 0
	s_waitcnt vmcnt(0)
	v_lshrrev_b32_e32 v39, 16, v18
	v_cmp_ne_u16_sdwa s[10:11], v39, v19 src0_sel:BYTE_0 src1_sel:DWORD
	s_or_b64 s[8:9], s[10:11], s[8:9]
	s_andn2_b64 exec, exec, s[8:9]
	s_cbranch_execnz .LBB2451_60
; %bb.63:
	s_or_b64 exec, exec, s[8:9]
.LBB2451_64:
	s_or_b64 exec, exec, s[2:3]
	v_and_b32_e32 v37, 63, v15
	v_cmp_ne_u32_e32 vcc, 63, v37
	v_mov_b32_e32 v36, 2
	v_addc_co_u32_e32 v38, vcc, 0, v15, vcc
	v_cmp_eq_u16_sdwa s[2:3], v39, v36 src0_sel:BYTE_0 src1_sel:DWORD
	v_lshlrev_b64 v[16:17], v15, -1
	v_and_b32_e32 v41, 0xffff, v18
	v_lshlrev_b32_e32 v38, 2, v38
	v_and_b32_e32 v19, s3, v17
	ds_bpermute_b32 v42, v38, v41
	v_or_b32_e32 v19, 0x80000000, v19
	v_and_b32_e32 v40, s2, v16
	v_ffbl_b32_e32 v19, v19
	v_add_u32_e32 v19, 32, v19
	v_ffbl_b32_e32 v40, v40
	v_cmp_gt_u32_e64 s[2:3], 62, v37
	v_min_u32_e32 v19, v40, v19
	v_cndmask_b32_e64 v40, 0, 1, s[2:3]
	s_waitcnt lgkmcnt(0)
	v_max_u16_e32 v42, v42, v18
	v_cmp_lt_u32_e32 vcc, v37, v19
	v_lshlrev_b32_e32 v40, 1, v40
	v_cndmask_b32_e32 v43, v41, v42, vcc
	v_add_lshl_u32 v40, v40, v15, 2
	ds_bpermute_b32 v44, v40, v43
	v_cmp_gt_u32_e64 s[8:9], 60, v37
	v_cndmask_b32_e32 v45, v18, v42, vcc
	v_add_u32_e32 v41, 2, v37
	v_cndmask_b32_e64 v42, 0, 1, s[8:9]
	s_waitcnt lgkmcnt(0)
	v_max_u16_e32 v44, v44, v45
	v_cmp_gt_u32_e64 s[2:3], v41, v19
	v_lshlrev_b32_e32 v42, 2, v42
	v_cndmask_b32_e64 v46, v44, v43, s[2:3]
	v_add_lshl_u32 v42, v42, v15, 2
	ds_bpermute_b32 v47, v42, v46
	v_cmp_gt_u32_e64 s[8:9], 56, v37
	v_cndmask_b32_e64 v48, v44, v45, s[2:3]
	v_add_u32_e32 v43, 4, v37
	v_cndmask_b32_e64 v44, 0, 1, s[8:9]
	s_waitcnt lgkmcnt(0)
	v_max_u16_e32 v51, v47, v48
	v_cmp_gt_u32_e64 s[2:3], v43, v19
	v_lshlrev_b32_e32 v44, 3, v44
	v_cndmask_b32_e64 v46, v51, v46, s[2:3]
	v_add_lshl_u32 v44, v44, v15, 2
	ds_bpermute_b32 v47, v44, v46
	v_cndmask_b32_e64 v49, v51, v48, s[2:3]
	v_add_u32_e32 v45, 8, v37
	v_cmp_gt_u32_e64 s[8:9], v45, v19
	v_cmp_gt_u32_e64 s[10:11], 48, v37
	s_waitcnt lgkmcnt(0)
	v_max_u16_e32 v52, v47, v49
	v_cndmask_b32_e64 v50, v52, v46, s[8:9]
	v_cndmask_b32_e64 v46, 0, 1, s[10:11]
	v_lshlrev_b32_e32 v46, 4, v46
	v_add_lshl_u32 v46, v46, v15, 2
	ds_bpermute_b32 v53, v46, v50
	v_cmp_gt_u32_e64 s[12:13], 32, v37
	v_cndmask_b32_e64 v54, v52, v49, s[8:9]
	v_add_u32_e32 v47, 16, v37
	v_cndmask_b32_e64 v49, 0, 1, s[12:13]
	s_waitcnt lgkmcnt(0)
	v_max_u16_e32 v53, v53, v54
	v_cmp_gt_u32_e64 s[10:11], v47, v19
	v_lshlrev_b32_e32 v49, 5, v49
	v_cndmask_b32_e64 v50, v53, v50, s[10:11]
	v_add_lshl_u32 v49, v49, v15, 2
	ds_bpermute_b32 v15, v49, v50
	v_cndmask_b32_e32 v18, v18, v48, vcc
	v_cndmask_b32_e64 v18, v51, v18, s[2:3]
	v_add_u32_e32 v50, 32, v37
	v_cndmask_b32_e64 v54, v53, v54, s[10:11]
	v_cndmask_b32_e64 v18, v52, v18, s[8:9]
	s_waitcnt lgkmcnt(0)
	v_max_u16_e32 v15, v15, v54
	v_cndmask_b32_e64 v18, v53, v18, s[10:11]
	v_cmp_gt_u32_e32 vcc, v50, v19
	v_cndmask_b32_e32 v18, v15, v18, vcc
	v_mov_b32_e32 v15, 0
	s_branch .LBB2451_66
.LBB2451_65:                            ;   in Loop: Header=BB2451_66 Depth=1
	s_or_b64 exec, exec, s[2:3]
	v_cmp_eq_u16_sdwa s[2:3], v39, v36 src0_sel:BYTE_0 src1_sel:DWORD
	v_and_b32_e32 v52, 0xffff, v51
	v_and_b32_e32 v18, s3, v17
	ds_bpermute_b32 v53, v38, v52
	v_or_b32_e32 v18, 0x80000000, v18
	v_and_b32_e32 v19, s2, v16
	v_ffbl_b32_e32 v18, v18
	v_add_u32_e32 v18, 32, v18
	v_ffbl_b32_e32 v19, v19
	v_min_u32_e32 v18, v19, v18
	s_waitcnt lgkmcnt(0)
	v_max_u16_e32 v19, v53, v51
	v_cmp_lt_u32_e32 vcc, v37, v18
	v_cndmask_b32_e32 v52, v52, v19, vcc
	ds_bpermute_b32 v53, v40, v52
	v_cndmask_b32_e32 v19, v51, v19, vcc
	v_cmp_gt_u32_e64 s[2:3], v41, v18
	v_cmp_gt_u32_e64 s[8:9], v45, v18
	v_subrev_u32_e32 v14, 64, v14
	s_waitcnt lgkmcnt(0)
	v_max_u16_e32 v53, v53, v19
	v_cndmask_b32_e64 v52, v53, v52, s[2:3]
	ds_bpermute_b32 v54, v42, v52
	v_cndmask_b32_e64 v19, v53, v19, s[2:3]
	v_cmp_gt_u32_e64 s[2:3], v43, v18
	s_waitcnt lgkmcnt(0)
	v_max_u16_e32 v53, v54, v19
	v_cndmask_b32_e64 v52, v53, v52, s[2:3]
	ds_bpermute_b32 v54, v44, v52
	v_cndmask_b32_e64 v55, v53, v19, s[2:3]
	v_cndmask_b32_e32 v19, v51, v19, vcc
	v_cmp_gt_u32_e32 vcc, v47, v18
	v_cndmask_b32_e64 v19, v53, v19, s[2:3]
	s_waitcnt lgkmcnt(0)
	v_max_u16_e32 v54, v54, v55
	v_cndmask_b32_e64 v52, v54, v52, s[8:9]
	ds_bpermute_b32 v56, v46, v52
	v_cndmask_b32_e64 v51, v54, v55, s[8:9]
	v_cndmask_b32_e64 v19, v54, v19, s[8:9]
	s_waitcnt lgkmcnt(0)
	v_max_u16_e32 v55, v56, v51
	v_cndmask_b32_e32 v52, v55, v52, vcc
	ds_bpermute_b32 v52, v49, v52
	v_cndmask_b32_e32 v51, v55, v51, vcc
	v_cndmask_b32_e32 v19, v55, v19, vcc
	v_cmp_gt_u32_e32 vcc, v50, v18
	s_waitcnt lgkmcnt(0)
	v_max_u16_e32 v51, v52, v51
	v_cndmask_b32_e32 v18, v51, v19, vcc
	v_max_u16_e32 v18, v18, v48
.LBB2451_66:                            ; =>This Loop Header: Depth=1
                                        ;     Child Loop BB2451_69 Depth 2
                                        ;       Child Loop BB2451_70 Depth 3
	v_cmp_ne_u16_sdwa s[2:3], v39, v36 src0_sel:BYTE_0 src1_sel:DWORD
	v_cndmask_b32_e64 v19, 0, 1, s[2:3]
	;;#ASMSTART
	;;#ASMEND
	v_cmp_ne_u32_e32 vcc, 0, v19
	s_cmp_lg_u64 vcc, exec
	v_mov_b32_e32 v48, v18
	s_cbranch_scc1 .LBB2451_73
; %bb.67:                               ;   in Loop: Header=BB2451_66 Depth=1
	v_lshlrev_b64 v[18:19], 2, v[14:15]
	v_mov_b32_e32 v39, s23
	v_add_co_u32_e32 v18, vcc, s22, v18
	v_addc_co_u32_e32 v19, vcc, v39, v19, vcc
	global_load_dword v51, v[18:19], off glc
	s_waitcnt vmcnt(0)
	v_lshrrev_b32_e32 v39, 16, v51
	v_cmp_eq_u16_sdwa s[8:9], v39, v15 src0_sel:BYTE_0 src1_sel:DWORD
	s_and_saveexec_b64 s[2:3], s[8:9]
	s_cbranch_execz .LBB2451_65
; %bb.68:                               ;   in Loop: Header=BB2451_66 Depth=1
	s_mov_b32 s7, 1
	s_mov_b64 s[8:9], 0
.LBB2451_69:                            ;   Parent Loop BB2451_66 Depth=1
                                        ; =>  This Loop Header: Depth=2
                                        ;       Child Loop BB2451_70 Depth 3
	s_max_u32 s10, s7, 1
.LBB2451_70:                            ;   Parent Loop BB2451_66 Depth=1
                                        ;     Parent Loop BB2451_69 Depth=2
                                        ; =>    This Inner Loop Header: Depth=3
	s_add_i32 s10, s10, -1
	s_cmp_eq_u32 s10, 0
	s_sleep 1
	s_cbranch_scc0 .LBB2451_70
; %bb.71:                               ;   in Loop: Header=BB2451_69 Depth=2
	global_load_dword v51, v[18:19], off glc
	s_cmp_lt_u32 s7, 32
	s_cselect_b64 s[10:11], -1, 0
	s_cmp_lg_u64 s[10:11], 0
	s_addc_u32 s7, s7, 0
	s_waitcnt vmcnt(0)
	v_lshrrev_b32_e32 v39, 16, v51
	v_cmp_ne_u16_sdwa s[10:11], v39, v15 src0_sel:BYTE_0 src1_sel:DWORD
	s_or_b64 s[8:9], s[10:11], s[8:9]
	s_andn2_b64 exec, exec, s[8:9]
	s_cbranch_execnz .LBB2451_69
; %bb.72:                               ;   in Loop: Header=BB2451_66 Depth=1
	s_or_b64 exec, exec, s[8:9]
	s_branch .LBB2451_65
.LBB2451_73:                            ;   in Loop: Header=BB2451_66 Depth=1
                                        ; implicit-def: $vgpr18
                                        ; implicit-def: $vgpr39
	s_cbranch_execz .LBB2451_66
; %bb.74:
	s_and_saveexec_b64 s[2:3], s[0:1]
	s_cbranch_execz .LBB2451_76
; %bb.75:
	s_add_i32 s0, s6, 64
	s_mov_b32 s1, 0
	s_lshl_b64 s[0:1], s[0:1], 2
	v_max_u16_e32 v14, v48, v35
	s_add_u32 s0, s22, s0
	v_or_b32_e32 v14, 0x20000, v14
	s_addc_u32 s1, s23, s1
	v_mov_b32_e32 v15, 0
	global_store_dword v15, v14, s[0:1]
.LBB2451_76:
	s_or_b64 exec, exec, s[2:3]
	v_cmp_eq_u32_e32 vcc, 0, v0
	s_and_b64 exec, exec, vcc
	s_cbranch_execz .LBB2451_78
; %bb.77:
	v_mov_b32_e32 v14, 0
	ds_write_b16 v14, v48
.LBB2451_78:
	s_or_b64 exec, exec, s[24:25]
	v_mov_b32_e32 v14, 0
	s_waitcnt lgkmcnt(0)
	; wave barrier
	s_waitcnt lgkmcnt(0)
	ds_read_u16 v14, v14
	v_max_u16_e32 v15, v34, v10
	v_cmp_eq_u32_e32 vcc, 0, v0
	v_cndmask_b32_e32 v15, v15, v10, vcc
	s_waitcnt lgkmcnt(0)
	v_max_u16_e32 v14, v14, v15
	v_max_u16_sdwa v15, v14, v10 dst_sel:DWORD dst_unused:UNUSED_PAD src0_sel:DWORD src1_sel:WORD_1
	v_max_u16_e32 v16, v15, v11
	v_max_u16_e32 v17, v16, v32
	;; [unrolled: 1-line block ×22, first 2 shown]
	s_load_dwordx8 s[4:11], s[4:5], 0x38
	s_branch .LBB2451_89
.LBB2451_79:
                                        ; implicit-def: $vgpr14
                                        ; implicit-def: $vgpr15
                                        ; implicit-def: $vgpr16
                                        ; implicit-def: $vgpr17
                                        ; implicit-def: $vgpr18
                                        ; implicit-def: $vgpr19
                                        ; implicit-def: $vgpr35
                                        ; implicit-def: $vgpr37
                                        ; implicit-def: $vgpr34
                                        ; implicit-def: $vgpr36
                                        ; implicit-def: $vgpr38
                                        ; implicit-def: $vgpr39
                                        ; implicit-def: $vgpr40
                                        ; implicit-def: $vgpr41
                                        ; implicit-def: $vgpr43
                                        ; implicit-def: $vgpr45
                                        ; implicit-def: $vgpr42
                                        ; implicit-def: $vgpr44
                                        ; implicit-def: $vgpr46
                                        ; implicit-def: $vgpr47
                                        ; implicit-def: $vgpr48
                                        ; implicit-def: $vgpr49
                                        ; implicit-def: $vgpr50
                                        ; implicit-def: $vgpr51
	s_load_dwordx8 s[4:11], s[4:5], 0x38
	s_cbranch_execz .LBB2451_89
; %bb.80:
	s_waitcnt lgkmcnt(0)
	s_cmp_lg_u64 s[8:9], 0
	s_cselect_b64 s[2:3], -1, 0
	v_cmp_eq_u32_e64 s[0:1], 0, v0
	v_cmp_ne_u32_e32 vcc, 0, v0
	s_and_b64 s[2:3], s[0:1], s[2:3]
	v_mov_b32_e32 v14, v10
	s_and_saveexec_b64 s[0:1], s[2:3]
	s_cbranch_execz .LBB2451_82
; %bb.81:
	v_mov_b32_e32 v14, 0
	global_load_ushort v14, v14, s[4:5]
	s_waitcnt vmcnt(0)
	v_max_u16_e32 v14, v14, v10
.LBB2451_82:
	s_or_b64 exec, exec, s[0:1]
	v_max_u16_sdwa v15, v14, v10 dst_sel:DWORD dst_unused:UNUSED_PAD src0_sel:DWORD src1_sel:WORD_1
	v_max_u16_e32 v16, v15, v11
	v_max_u16_e32 v17, v16, v32
	;; [unrolled: 1-line block ×22, first 2 shown]
	v_mbcnt_hi_u32_b32 v33, -1, v33
	v_and_b32_e32 v52, 15, v33
	v_mov_b32_dpp v53, v51 row_shr:1 row_mask:0xf bank_mask:0xf
	v_max_u16_e32 v53, v53, v51
	v_cmp_eq_u32_e64 s[0:1], 0, v52
	v_cndmask_b32_e64 v53, v53, v51, s[0:1]
	v_and_b32_e32 v54, 0xffff, v53
	v_cmp_lt_u32_e64 s[0:1], 1, v52
	s_nop 0
	v_mov_b32_dpp v54, v54 row_shr:2 row_mask:0xf bank_mask:0xf
	v_max_u16_e32 v54, v54, v53
	v_cndmask_b32_e64 v53, v53, v54, s[0:1]
	v_and_b32_e32 v54, 0xffff, v53
	v_cmp_lt_u32_e64 s[0:1], 3, v52
	s_nop 0
	v_mov_b32_dpp v54, v54 row_shr:4 row_mask:0xf bank_mask:0xf
	v_max_u16_e32 v54, v54, v53
	v_cndmask_b32_e64 v53, v53, v54, s[0:1]
	v_and_b32_e32 v54, 0xffff, v53
	v_cmp_lt_u32_e64 s[0:1], 7, v52
	s_nop 0
	v_mov_b32_dpp v54, v54 row_shr:8 row_mask:0xf bank_mask:0xf
	v_max_u16_e32 v54, v54, v53
	v_cndmask_b32_e64 v52, v53, v54, s[0:1]
	v_and_b32_e32 v53, 0xffff, v52
	v_and_b32_e32 v54, 16, v33
	v_cmp_eq_u32_e64 s[0:1], 0, v54
	v_mov_b32_dpp v53, v53 row_bcast:15 row_mask:0xf bank_mask:0xf
	v_max_u16_e32 v53, v53, v52
	v_cndmask_b32_e64 v52, v53, v52, s[0:1]
	v_and_b32_e32 v53, 0xffff, v52
	v_cmp_lt_u32_e64 s[0:1], 31, v33
	s_nop 0
	v_mov_b32_dpp v53, v53 row_bcast:31 row_mask:0xf bank_mask:0xf
	v_max_u16_e32 v53, v53, v52
	v_cndmask_b32_e64 v52, v52, v53, s[0:1]
	v_cmp_eq_u32_e64 s[0:1], 63, v0
	s_and_saveexec_b64 s[2:3], s[0:1]
	s_cbranch_execz .LBB2451_84
; %bb.83:
	v_mov_b32_e32 v53, 0
	ds_write_b16 v53, v52
.LBB2451_84:
	s_or_b64 exec, exec, s[2:3]
	v_add_u32_e32 v53, -1, v33
	v_and_b32_e32 v54, 64, v33
	v_cmp_lt_i32_e64 s[2:3], v53, v54
	v_cndmask_b32_e64 v33, v53, v33, s[2:3]
	v_and_b32_e32 v52, 0xffff, v52
	v_lshlrev_b32_e32 v33, 2, v33
	ds_bpermute_b32 v33, v33, v52
	s_waitcnt lgkmcnt(0)
	; wave barrier
	s_waitcnt lgkmcnt(0)
	s_and_saveexec_b64 s[2:3], vcc
	s_cbranch_execz .LBB2451_86
; %bb.85:
	v_max_u16_e32 v14, v33, v14
	v_max_u16_sdwa v15, v14, v10 dst_sel:DWORD dst_unused:UNUSED_PAD src0_sel:DWORD src1_sel:WORD_1
	v_max_u16_e32 v16, v15, v11
	v_max_u16_e32 v17, v16, v32
	;; [unrolled: 1-line block ×22, first 2 shown]
	;;#ASMSTART
	;;#ASMEND
.LBB2451_86:
	s_or_b64 exec, exec, s[2:3]
	s_and_saveexec_b64 s[2:3], s[0:1]
	s_cbranch_execz .LBB2451_88
; %bb.87:
	s_mov_b32 s0, 0x20000
	v_mov_b32_e32 v1, 0
	v_or_b32_sdwa v2, v51, s0 dst_sel:DWORD dst_unused:UNUSED_PAD src0_sel:WORD_0 src1_sel:DWORD
	global_store_dword v1, v2, s[22:23] offset:256
.LBB2451_88:
	s_or_b64 exec, exec, s[2:3]
.LBB2451_89:
	s_add_u32 s0, s16, s14
	s_addc_u32 s1, s17, s15
	s_add_u32 s2, s0, s20
	s_addc_u32 s3, s1, s21
	s_mov_b64 s[0:1], -1
	s_and_b64 vcc, exec, s[18:19]
	s_waitcnt lgkmcnt(0)
	; wave barrier
	s_waitcnt lgkmcnt(0)
	s_cbranch_vccz .LBB2451_91
; %bb.90:
	s_mov_b32 s0, 0x5040100
	v_perm_b32 v5, v37, v35, s0
	v_perm_b32 v4, v19, v18, s0
	;; [unrolled: 1-line block ×4, first 2 shown]
	ds_write_b128 v22, v[2:5]
	v_perm_b32 v5, v45, v43, s0
	v_perm_b32 v4, v41, v40, s0
	;; [unrolled: 1-line block ×4, first 2 shown]
	ds_write_b128 v22, v[2:5] offset:16
	v_perm_b32 v5, v51, v50, s0
	v_perm_b32 v4, v49, v48, s0
	;; [unrolled: 1-line block ×4, first 2 shown]
	ds_write_b128 v22, v[2:5] offset:32
	s_waitcnt lgkmcnt(0)
	; wave barrier
	s_waitcnt lgkmcnt(0)
	ds_read_u16 v1, v20
	ds_read_u16 v4, v20 offset:128
	ds_read_u16 v5, v20 offset:256
	;; [unrolled: 1-line block ×23, first 2 shown]
	v_mov_b32_e32 v3, s3
	v_add_co_u32_e32 v2, vcc, s2, v20
	v_addc_co_u32_e32 v3, vcc, 0, v3, vcc
	s_waitcnt lgkmcnt(14)
	flat_store_short v[2:3], v1
	flat_store_short v[2:3], v4 offset:128
	flat_store_short v[2:3], v5 offset:256
	;; [unrolled: 1-line block ×9, first 2 shown]
	s_waitcnt lgkmcnt(0)
	flat_store_short v[2:3], v13 offset:1280
	flat_store_short v[2:3], v23 offset:1408
	flat_store_short v[2:3], v24 offset:1536
	flat_store_short v[2:3], v25 offset:1664
	flat_store_short v[2:3], v26 offset:1792
	flat_store_short v[2:3], v27 offset:1920
	flat_store_short v[2:3], v28 offset:2048
	flat_store_short v[2:3], v29 offset:2176
	flat_store_short v[2:3], v30 offset:2304
	flat_store_short v[2:3], v31 offset:2432
	flat_store_short v[2:3], v32 offset:2560
	flat_store_short v[2:3], v33 offset:2688
	flat_store_short v[2:3], v52 offset:2816
	flat_store_short v[2:3], v53 offset:2944
	s_mov_b64 s[0:1], 0
.LBB2451_91:
	s_andn2_b64 vcc, exec, s[0:1]
	s_cbranch_vccnz .LBB2451_148
; %bb.92:
	s_mov_b32 s0, 0x5040100
	v_perm_b32 v5, v37, v35, s0
	v_perm_b32 v4, v19, v18, s0
	;; [unrolled: 1-line block ×4, first 2 shown]
	ds_write_b128 v22, v[2:5]
	v_perm_b32 v5, v45, v43, s0
	v_perm_b32 v4, v41, v40, s0
	;; [unrolled: 1-line block ×4, first 2 shown]
	ds_write_b128 v22, v[2:5] offset:16
	v_perm_b32 v5, v51, v50, s0
	v_perm_b32 v4, v49, v48, s0
	;; [unrolled: 1-line block ×4, first 2 shown]
	s_movk_i32 s0, 0xffd2
	ds_write_b128 v22, v[2:5] offset:32
	v_mad_i32_i24 v2, v0, s0, v22
	s_waitcnt lgkmcnt(0)
	; wave barrier
	s_waitcnt lgkmcnt(0)
	ds_read_u16 v5, v2
	ds_read_u16 v4, v2 offset:128
	ds_read_u16 v7, v2 offset:256
	ds_read_u16 v8, v2 offset:384
	ds_read_u16 v6, v2 offset:512
	ds_read_u16 v9, v2 offset:640
	ds_read_u16 v17, v2 offset:768
	ds_read_u16 v15, v2 offset:896
	ds_read_u16 v16, v2 offset:1024
	ds_read_u16 v25, v2 offset:1152
	ds_read_u16 v22, v2 offset:1280
	ds_read_u16 v19, v2 offset:1408
	ds_read_u16 v18, v2 offset:1536
	ds_read_u16 v13, v2 offset:1664
	ds_read_u16 v14, v2 offset:1792
	ds_read_u16 v10, v2 offset:1920
	ds_read_u16 v24, v2 offset:2048
	ds_read_u16 v27, v2 offset:2176
	ds_read_u16 v26, v2 offset:2304
	ds_read_u16 v23, v2 offset:2432
	ds_read_u16 v12, v2 offset:2560
	ds_read_u16 v11, v2 offset:2688
	ds_read_u16 v28, v2 offset:2816
	ds_read_u16 v29, v2 offset:2944
	v_mov_b32_e32 v3, s3
	v_add_co_u32_e32 v2, vcc, s2, v20
	v_addc_co_u32_e32 v3, vcc, 0, v3, vcc
	v_mov_b32_e32 v1, 0
	v_cmp_gt_u32_e32 vcc, s26, v0
	s_and_saveexec_b64 s[0:1], vcc
	s_cbranch_execz .LBB2451_94
; %bb.93:
	s_waitcnt lgkmcnt(0)
	flat_store_short v[2:3], v5
.LBB2451_94:
	s_or_b64 exec, exec, s[0:1]
	v_or_b32_e32 v20, 64, v0
	v_cmp_gt_u32_e32 vcc, s26, v20
	s_and_saveexec_b64 s[0:1], vcc
	s_cbranch_execz .LBB2451_96
; %bb.95:
	s_waitcnt lgkmcnt(0)
	flat_store_short v[2:3], v4 offset:128
.LBB2451_96:
	s_or_b64 exec, exec, s[0:1]
	v_or_b32_e32 v20, 0x80, v0
	v_cmp_gt_u32_e32 vcc, s26, v20
	s_and_saveexec_b64 s[0:1], vcc
	s_cbranch_execz .LBB2451_98
; %bb.97:
	s_waitcnt lgkmcnt(0)
	flat_store_short v[2:3], v7 offset:256
.LBB2451_98:
	;; [unrolled: 9-line block ×23, first 2 shown]
	s_or_b64 exec, exec, s[0:1]
	v_cmp_lt_u64_e64 s[0:1], s[10:11], 2
	s_and_b64 vcc, exec, s[0:1]
	s_cbranch_vccnz .LBB2451_148
; %bb.141:
	s_add_u32 s0, s26, -1
	s_addc_u32 s1, s27, -1
	s_add_u32 s2, 0, 0xaaaa0000
	s_addc_u32 s3, 0, 42
	s_add_i32 s3, s3, 0xaaaaa80
	s_mul_hi_u32 s9, s2, 0xffffffe8
	s_sub_i32 s9, s9, s2
	s_mul_i32 s10, s3, 0xffffffe8
	s_mul_i32 s4, s2, 0xffffffe8
	s_add_i32 s9, s9, s10
	s_mul_hi_u32 s5, s3, s4
	s_mul_i32 s8, s3, s4
	s_mul_i32 s11, s2, s9
	s_mul_hi_u32 s4, s2, s4
	s_mul_hi_u32 s10, s2, s9
	s_add_u32 s4, s4, s11
	s_addc_u32 s10, 0, s10
	s_add_u32 s4, s4, s8
	s_mul_hi_u32 s11, s3, s9
	s_addc_u32 s4, s10, s5
	s_addc_u32 s5, s11, 0
	s_mul_i32 s8, s3, s9
	s_add_u32 s4, s4, s8
	v_mov_b32_e32 v2, s4
	s_addc_u32 s5, 0, s5
	v_add_co_u32_e32 v2, vcc, s2, v2
	s_cmp_lg_u64 vcc, 0
	s_addc_u32 s2, s3, s5
	v_readfirstlane_b32 s5, v2
	s_mul_i32 s4, s0, s2
	s_mul_hi_u32 s8, s0, s5
	s_mul_hi_u32 s3, s0, s2
	s_add_u32 s4, s8, s4
	s_addc_u32 s3, 0, s3
	s_mul_hi_u32 s9, s1, s5
	s_mul_i32 s5, s1, s5
	s_add_u32 s4, s4, s5
	s_mul_hi_u32 s8, s1, s2
	s_addc_u32 s3, s3, s9
	s_addc_u32 s4, s8, 0
	s_mul_i32 s2, s1, s2
	s_add_u32 s2, s3, s2
	s_addc_u32 s3, 0, s4
	s_add_u32 s4, s2, 1
	s_addc_u32 s5, s3, 0
	s_add_u32 s8, s2, 2
	s_mul_i32 s10, s3, 24
	s_mul_hi_u32 s11, s2, 24
	s_addc_u32 s9, s3, 0
	s_add_i32 s11, s11, s10
	s_mul_i32 s10, s2, 24
	v_mov_b32_e32 v2, s10
	v_sub_co_u32_e32 v2, vcc, s0, v2
	s_cmp_lg_u64 vcc, 0
	s_subb_u32 s10, s1, s11
	v_subrev_co_u32_e32 v3, vcc, 24, v2
	s_cmp_lg_u64 vcc, 0
	s_subb_u32 s11, s10, 0
	v_readfirstlane_b32 s12, v3
	s_cmp_gt_u32 s12, 23
	s_cselect_b32 s12, -1, 0
	s_cmp_eq_u32 s11, 0
	s_cselect_b32 s11, s12, -1
	s_cmp_lg_u32 s11, 0
	s_cselect_b32 s4, s8, s4
	v_readfirstlane_b32 s8, v2
	s_cselect_b32 s5, s9, s5
	s_cmp_gt_u32 s8, 23
	s_cselect_b32 s8, -1, 0
	s_cmp_eq_u32 s10, 0
	s_cselect_b32 s8, s8, -1
	s_cmp_lg_u32 s8, 0
	s_cselect_b32 s3, s5, s3
	s_cselect_b32 s2, s4, s2
	v_cmp_eq_u64_e32 vcc, s[2:3], v[0:1]
	s_and_saveexec_b64 s[2:3], vcc
	s_cbranch_execz .LBB2451_148
; %bb.142:
	v_mul_hi_u32_u24_e32 v1, 24, v0
	v_mov_b32_e32 v2, s1
	v_sub_co_u32_e32 v0, vcc, s0, v21
	v_subb_co_u32_e32 v1, vcc, v2, v1, vcc
	v_cmp_lt_i64_e32 vcc, 11, v[0:1]
	s_mov_b64 s[0:1], 0
	s_mov_b64 s[10:11], 0
	;; [unrolled: 1-line block ×4, first 2 shown]
	s_and_saveexec_b64 s[2:3], vcc
	s_xor_b64 s[2:3], exec, s[2:3]
	s_cbranch_execnz .LBB2451_149
; %bb.143:
	s_andn2_saveexec_b64 s[2:3], s[2:3]
	s_cbranch_execnz .LBB2451_194
.LBB2451_144:
	s_or_b64 exec, exec, s[2:3]
	s_and_saveexec_b64 s[2:3], s[10:11]
	s_cbranch_execnz .LBB2451_211
.LBB2451_145:
	s_or_b64 exec, exec, s[2:3]
	s_and_saveexec_b64 s[2:3], s[8:9]
	s_cbranch_execnz .LBB2451_212
.LBB2451_146:
	s_or_b64 exec, exec, s[2:3]
	s_and_saveexec_b64 s[2:3], s[4:5]
	s_xor_b64 s[2:3], exec, s[2:3]
	s_cbranch_execnz .LBB2451_213
.LBB2451_147:
	s_or_b64 exec, exec, s[2:3]
	s_and_b64 exec, exec, s[0:1]
	s_cbranch_execnz .LBB2451_214
.LBB2451_148:
	s_endpgm
.LBB2451_149:
	v_cmp_lt_i64_e32 vcc, 17, v[0:1]
	s_and_saveexec_b64 s[12:13], vcc
	s_xor_b64 s[12:13], exec, s[12:13]
	s_cbranch_execz .LBB2451_171
; %bb.150:
	v_cmp_lt_i64_e32 vcc, 20, v[0:1]
                                        ; implicit-def: $vgpr10
	s_and_saveexec_b64 s[14:15], vcc
	s_xor_b64 s[14:15], exec, s[14:15]
	s_cbranch_execz .LBB2451_160
; %bb.151:
	v_cmp_lt_i64_e32 vcc, 21, v[0:1]
	s_mov_b64 s[16:17], 0
                                        ; implicit-def: $vgpr10
	s_and_saveexec_b64 s[4:5], vcc
	s_xor_b64 s[4:5], exec, s[4:5]
	s_cbranch_execz .LBB2451_157
; %bb.152:
	v_cmp_lt_i64_e32 vcc, 22, v[0:1]
	s_and_saveexec_b64 s[16:17], vcc
	s_xor_b64 s[16:17], exec, s[16:17]
	s_cbranch_execz .LBB2451_154
; %bb.153:
	v_mov_b32_e32 v2, 0
	s_waitcnt lgkmcnt(0)
	global_store_short v2, v29, s[6:7]
                                        ; implicit-def: $vgpr28
.LBB2451_154:
	s_or_saveexec_b64 s[16:17], s[16:17]
	s_mov_b64 s[18:19], 0
	s_xor_b64 exec, exec, s[16:17]
; %bb.155:
	s_mov_b64 s[18:19], exec
; %bb.156:
	s_or_b64 exec, exec, s[16:17]
	s_and_b64 s[16:17], s[18:19], exec
	s_waitcnt lgkmcnt(0)
	v_mov_b32_e32 v10, v28
                                        ; implicit-def: $vgpr11
.LBB2451_157:
	s_andn2_saveexec_b64 s[4:5], s[4:5]
; %bb.158:
	s_mov_b64 s[8:9], exec
                                        ; implicit-def: $vgpr10
; %bb.159:
	s_or_b64 exec, exec, s[4:5]
	s_and_b64 s[4:5], s[16:17], exec
	s_and_b64 s[8:9], s[8:9], exec
                                        ; implicit-def: $vgpr26
                                        ; implicit-def: $vgpr12
                                        ; implicit-def: $vgpr23
.LBB2451_160:
	s_andn2_saveexec_b64 s[14:15], s[14:15]
	s_cbranch_execz .LBB2451_170
; %bb.161:
	v_cmp_lt_i64_e32 vcc, 18, v[0:1]
	s_mov_b64 s[16:17], 0
	s_and_saveexec_b64 s[10:11], vcc
	s_xor_b64 s[10:11], exec, s[10:11]
	s_cbranch_execz .LBB2451_167
; %bb.162:
	v_cmp_lt_i64_e32 vcc, 19, v[0:1]
	s_and_saveexec_b64 s[18:19], vcc
	s_xor_b64 s[18:19], exec, s[18:19]
; %bb.163:
	s_mov_b64 s[16:17], exec
                                        ; implicit-def: $vgpr23
; %bb.164:
	s_andn2_saveexec_b64 s[18:19], s[18:19]
	s_cbranch_execz .LBB2451_166
; %bb.165:
	v_mov_b32_e32 v2, 0
	s_waitcnt lgkmcnt(0)
	global_store_short v2, v23, s[6:7]
                                        ; implicit-def: $vgpr12
.LBB2451_166:
	s_or_b64 exec, exec, s[18:19]
	s_and_b64 s[16:17], s[16:17], exec
                                        ; implicit-def: $vgpr26
.LBB2451_167:
	s_andn2_saveexec_b64 s[10:11], s[10:11]
	s_cbranch_execz .LBB2451_169
; %bb.168:
	v_mov_b32_e32 v2, 0
	s_waitcnt lgkmcnt(0)
	global_store_short v2, v26, s[6:7]
                                        ; implicit-def: $vgpr12
.LBB2451_169:
	s_or_b64 exec, exec, s[10:11]
	s_and_b64 s[10:11], s[16:17], exec
                                        ; implicit-def: $vgpr10
                                        ; implicit-def: $vgpr11
.LBB2451_170:
	s_or_b64 exec, exec, s[14:15]
	s_and_b64 s[4:5], s[4:5], exec
	s_and_b64 s[8:9], s[8:9], exec
	;; [unrolled: 1-line block ×3, first 2 shown]
                                        ; implicit-def: $vgpr18
                                        ; implicit-def: $vgpr13
                                        ; implicit-def: $vgpr14
                                        ; implicit-def: $vgpr24
                                        ; implicit-def: $vgpr27
.LBB2451_171:
	s_andn2_saveexec_b64 s[12:13], s[12:13]
	s_cbranch_execz .LBB2451_193
; %bb.172:
	v_cmp_lt_i64_e32 vcc, 14, v[0:1]
	s_mov_b64 s[14:15], s[4:5]
	s_and_saveexec_b64 s[16:17], vcc
	s_xor_b64 s[16:17], exec, s[16:17]
	s_cbranch_execz .LBB2451_182
; %bb.173:
	v_cmp_lt_i64_e32 vcc, 15, v[0:1]
	s_and_saveexec_b64 s[14:15], vcc
	s_xor_b64 s[14:15], exec, s[14:15]
	s_cbranch_execz .LBB2451_179
; %bb.174:
	v_cmp_lt_i64_e32 vcc, 16, v[0:1]
	s_and_saveexec_b64 s[18:19], vcc
	s_xor_b64 s[18:19], exec, s[18:19]
	s_cbranch_execz .LBB2451_176
; %bb.175:
	v_mov_b32_e32 v2, 0
	s_waitcnt lgkmcnt(0)
	global_store_short v2, v27, s[6:7]
                                        ; implicit-def: $vgpr24
.LBB2451_176:
	s_andn2_saveexec_b64 s[18:19], s[18:19]
	s_cbranch_execz .LBB2451_178
; %bb.177:
	v_mov_b32_e32 v2, 0
	s_waitcnt lgkmcnt(0)
	global_store_short v2, v24, s[6:7]
.LBB2451_178:
	s_or_b64 exec, exec, s[18:19]
                                        ; implicit-def: $vgpr10
.LBB2451_179:
	s_or_saveexec_b64 s[14:15], s[14:15]
	s_mov_b64 s[18:19], s[4:5]
	s_xor_b64 exec, exec, s[14:15]
; %bb.180:
	s_or_b64 s[18:19], s[4:5], exec
; %bb.181:
	s_or_b64 exec, exec, s[14:15]
	s_andn2_b64 s[14:15], s[4:5], exec
	s_and_b64 s[18:19], s[18:19], exec
	s_or_b64 s[14:15], s[14:15], s[18:19]
                                        ; implicit-def: $vgpr18
                                        ; implicit-def: $vgpr13
                                        ; implicit-def: $vgpr14
.LBB2451_182:
	s_or_saveexec_b64 s[16:17], s[16:17]
	s_mov_b64 s[18:19], s[8:9]
                                        ; implicit-def: $vgpr11
	s_xor_b64 exec, exec, s[16:17]
	s_cbranch_execz .LBB2451_192
; %bb.183:
	v_cmp_lt_i64_e32 vcc, 12, v[0:1]
	s_mov_b64 s[20:21], s[8:9]
	s_mov_b64 s[22:23], s[14:15]
                                        ; implicit-def: $vgpr10
                                        ; implicit-def: $vgpr11
	s_and_saveexec_b64 s[18:19], vcc
	s_xor_b64 s[18:19], exec, s[18:19]
	s_cbranch_execz .LBB2451_189
; %bb.184:
	v_cmp_lt_i64_e32 vcc, 13, v[0:1]
	s_mov_b64 s[20:21], s[14:15]
	s_and_saveexec_b64 s[22:23], vcc
	s_xor_b64 s[22:23], exec, s[22:23]
; %bb.185:
	s_or_b64 s[20:21], s[14:15], exec
                                        ; implicit-def: $vgpr13
; %bb.186:
	s_or_saveexec_b64 s[22:23], s[22:23]
	s_mov_b64 s[24:25], s[8:9]
	s_xor_b64 exec, exec, s[22:23]
; %bb.187:
	s_or_b64 s[24:25], s[8:9], exec
                                        ; implicit-def: $vgpr14
; %bb.188:
	s_or_b64 exec, exec, s[22:23]
	s_andn2_b64 s[22:23], s[14:15], exec
	s_and_b64 s[20:21], s[20:21], exec
	s_or_b64 s[22:23], s[22:23], s[20:21]
	s_andn2_b64 s[20:21], s[8:9], exec
	s_and_b64 s[24:25], s[24:25], exec
	s_or_b64 s[20:21], s[20:21], s[24:25]
	s_waitcnt lgkmcnt(0)
	v_mov_b32_e32 v10, v14
	v_mov_b32_e32 v11, v13
                                        ; implicit-def: $vgpr18
.LBB2451_189:
	s_andn2_saveexec_b64 s[18:19], s[18:19]
	s_cbranch_execz .LBB2451_191
; %bb.190:
	s_or_b64 s[20:21], s[20:21], exec
                                        ; implicit-def: $vgpr10
	s_waitcnt lgkmcnt(0)
	v_mov_b32_e32 v11, v18
.LBB2451_191:
	s_or_b64 exec, exec, s[18:19]
	s_andn2_b64 s[14:15], s[14:15], exec
	s_and_b64 s[18:19], s[22:23], exec
	s_or_b64 s[14:15], s[14:15], s[18:19]
	s_andn2_b64 s[18:19], s[8:9], exec
	s_and_b64 s[20:21], s[20:21], exec
	s_or_b64 s[18:19], s[18:19], s[20:21]
.LBB2451_192:
	s_or_b64 exec, exec, s[16:17]
	s_andn2_b64 s[4:5], s[4:5], exec
	s_and_b64 s[14:15], s[14:15], exec
	s_or_b64 s[4:5], s[4:5], s[14:15]
	s_andn2_b64 s[8:9], s[8:9], exec
	s_and_b64 s[14:15], s[18:19], exec
	s_or_b64 s[8:9], s[8:9], s[14:15]
                                        ; implicit-def: $vgpr12
.LBB2451_193:
	s_or_b64 exec, exec, s[12:13]
	s_and_b64 s[4:5], s[4:5], exec
	s_and_b64 s[8:9], s[8:9], exec
	;; [unrolled: 1-line block ×3, first 2 shown]
                                        ; implicit-def: $vgpr17
                                        ; implicit-def: $vgpr15
                                        ; implicit-def: $vgpr16
                                        ; implicit-def: $vgpr25
                                        ; implicit-def: $vgpr22
                                        ; implicit-def: $vgpr19
	s_andn2_saveexec_b64 s[2:3], s[2:3]
	s_cbranch_execz .LBB2451_144
.LBB2451_194:
	v_cmp_lt_i64_e32 vcc, 5, v[0:1]
	s_mov_b64 s[14:15], -1
	s_mov_b64 s[12:13], s[10:11]
	s_mov_b64 s[16:17], s[8:9]
	;; [unrolled: 1-line block ×3, first 2 shown]
                                        ; implicit-def: $vgpr10
                                        ; implicit-def: $vgpr11
                                        ; implicit-def: $vgpr12
	s_and_saveexec_b64 s[0:1], vcc
	s_cbranch_execz .LBB2451_210
; %bb.195:
	v_cmp_lt_i64_e32 vcc, 8, v[0:1]
	s_mov_b64 s[12:13], s[10:11]
                                        ; implicit-def: $vgpr12
	s_and_saveexec_b64 s[14:15], vcc
	s_xor_b64 s[14:15], exec, s[14:15]
	s_cbranch_execz .LBB2451_205
; %bb.196:
	v_cmp_lt_i64_e32 vcc, 9, v[0:1]
	s_and_saveexec_b64 s[12:13], vcc
	s_xor_b64 s[12:13], exec, s[12:13]
	s_cbranch_execz .LBB2451_202
; %bb.197:
	v_cmp_lt_i64_e32 vcc, 10, v[0:1]
	s_and_saveexec_b64 s[16:17], vcc
	s_xor_b64 s[16:17], exec, s[16:17]
; %bb.198:
                                        ; implicit-def: $vgpr22
; %bb.199:
	s_andn2_saveexec_b64 s[16:17], s[16:17]
	s_cbranch_execz .LBB2451_201
; %bb.200:
	s_waitcnt lgkmcnt(0)
	v_mov_b32_e32 v19, v22
.LBB2451_201:
	s_or_b64 exec, exec, s[16:17]
                                        ; implicit-def: $vgpr25
.LBB2451_202:
	s_andn2_saveexec_b64 s[12:13], s[12:13]
	s_cbranch_execz .LBB2451_204
; %bb.203:
	s_waitcnt lgkmcnt(0)
	v_mov_b32_e32 v19, v25
.LBB2451_204:
	s_or_b64 exec, exec, s[12:13]
	s_or_b64 s[12:13], s[10:11], exec
	s_waitcnt lgkmcnt(0)
	v_mov_b32_e32 v12, v19
                                        ; implicit-def: $vgpr17
                                        ; implicit-def: $vgpr15
                                        ; implicit-def: $vgpr16
.LBB2451_205:
	s_or_saveexec_b64 s[14:15], s[14:15]
	s_mov_b64 s[16:17], s[8:9]
	s_mov_b64 s[20:21], s[4:5]
                                        ; implicit-def: $vgpr10
                                        ; implicit-def: $vgpr11
	s_xor_b64 exec, exec, s[14:15]
	s_cbranch_execz .LBB2451_209
; %bb.206:
	v_cmp_lt_i64_e32 vcc, 6, v[0:1]
	s_mov_b64 s[20:21], -1
	s_mov_b64 s[18:19], s[12:13]
	s_mov_b64 s[16:17], s[8:9]
	s_and_saveexec_b64 s[22:23], vcc
; %bb.207:
	v_cmp_lt_i64_e32 vcc, 7, v[0:1]
	s_andn2_b64 s[18:19], s[12:13], exec
	s_and_b64 s[24:25], vcc, exec
	s_xor_b64 s[20:21], exec, -1
	s_or_b64 s[16:17], s[8:9], exec
	s_or_b64 s[18:19], s[18:19], s[24:25]
                                        ; implicit-def: $vgpr17
; %bb.208:
	s_or_b64 exec, exec, s[22:23]
	s_andn2_b64 s[22:23], s[4:5], exec
	s_and_b64 s[20:21], s[20:21], exec
	s_or_b64 s[20:21], s[22:23], s[20:21]
	s_andn2_b64 s[22:23], s[8:9], exec
	s_and_b64 s[16:17], s[16:17], exec
	s_andn2_b64 s[12:13], s[12:13], exec
	s_and_b64 s[18:19], s[18:19], exec
	s_or_b64 s[16:17], s[22:23], s[16:17]
	s_or_b64 s[12:13], s[12:13], s[18:19]
	s_waitcnt lgkmcnt(0)
	v_mov_b32_e32 v10, v17
	v_mov_b32_e32 v11, v15
	;; [unrolled: 1-line block ×3, first 2 shown]
.LBB2451_209:
	s_or_b64 exec, exec, s[14:15]
	s_andn2_b64 s[18:19], s[4:5], exec
	s_and_b64 s[20:21], s[20:21], exec
	s_or_b64 s[18:19], s[18:19], s[20:21]
	s_andn2_b64 s[20:21], s[8:9], exec
	s_and_b64 s[16:17], s[16:17], exec
	s_or_b64 s[16:17], s[20:21], s[16:17]
	s_andn2_b64 s[20:21], s[10:11], exec
	s_and_b64 s[12:13], s[12:13], exec
	s_xor_b64 s[14:15], exec, -1
	s_or_b64 s[12:13], s[20:21], s[12:13]
.LBB2451_210:
	s_or_b64 exec, exec, s[0:1]
	s_and_b64 s[0:1], s[14:15], exec
	s_andn2_b64 s[4:5], s[4:5], exec
	s_and_b64 s[14:15], s[18:19], exec
	s_or_b64 s[4:5], s[4:5], s[14:15]
	s_andn2_b64 s[8:9], s[8:9], exec
	s_and_b64 s[14:15], s[16:17], exec
	s_andn2_b64 s[10:11], s[10:11], exec
	s_and_b64 s[12:13], s[12:13], exec
	s_or_b64 s[8:9], s[8:9], s[14:15]
	s_or_b64 s[10:11], s[10:11], s[12:13]
	s_or_b64 exec, exec, s[2:3]
	s_and_saveexec_b64 s[2:3], s[10:11]
	s_cbranch_execz .LBB2451_145
.LBB2451_211:
	v_mov_b32_e32 v2, 0
	s_andn2_b64 s[8:9], s[8:9], exec
	s_waitcnt lgkmcnt(0)
	global_store_short v2, v12, s[6:7]
                                        ; implicit-def: $vgpr10
                                        ; implicit-def: $vgpr11
	s_or_b64 exec, exec, s[2:3]
	s_and_saveexec_b64 s[2:3], s[8:9]
	s_cbranch_execz .LBB2451_146
.LBB2451_212:
	v_mov_b32_e32 v2, 0
	s_waitcnt lgkmcnt(0)
	global_store_short v2, v11, s[6:7]
                                        ; implicit-def: $vgpr10
	s_or_b64 exec, exec, s[2:3]
	s_and_saveexec_b64 s[2:3], s[4:5]
	s_xor_b64 s[2:3], exec, s[2:3]
	s_cbranch_execz .LBB2451_147
.LBB2451_213:
	v_mov_b32_e32 v2, 0
	s_waitcnt lgkmcnt(0)
	global_store_short v2, v10, s[6:7]
	s_or_b64 exec, exec, s[2:3]
	s_and_b64 exec, exec, s[0:1]
	s_cbranch_execz .LBB2451_148
.LBB2451_214:
	v_cmp_lt_i64_e32 vcc, 2, v[0:1]
	s_and_saveexec_b64 s[0:1], vcc
	s_xor_b64 s[0:1], exec, s[0:1]
	s_cbranch_execz .LBB2451_224
; %bb.215:
	v_cmp_lt_i64_e32 vcc, 3, v[0:1]
	s_and_saveexec_b64 s[2:3], vcc
	s_xor_b64 s[2:3], exec, s[2:3]
	s_cbranch_execz .LBB2451_221
; %bb.216:
	;; [unrolled: 5-line block ×3, first 2 shown]
	v_mov_b32_e32 v0, 0
	s_waitcnt lgkmcnt(0)
	global_store_short v0, v9, s[6:7]
                                        ; implicit-def: $vgpr6
.LBB2451_218:
	s_andn2_saveexec_b64 s[4:5], s[4:5]
	s_cbranch_execz .LBB2451_220
; %bb.219:
	v_mov_b32_e32 v0, 0
	s_waitcnt lgkmcnt(0)
	global_store_short v0, v6, s[6:7]
.LBB2451_220:
	s_or_b64 exec, exec, s[4:5]
                                        ; implicit-def: $vgpr8
.LBB2451_221:
	s_andn2_saveexec_b64 s[2:3], s[2:3]
	s_cbranch_execz .LBB2451_223
; %bb.222:
	v_mov_b32_e32 v0, 0
	s_waitcnt lgkmcnt(0)
	global_store_short v0, v8, s[6:7]
.LBB2451_223:
	s_or_b64 exec, exec, s[2:3]
                                        ; implicit-def: $vgpr0_vgpr1
                                        ; implicit-def: $vgpr7
                                        ; implicit-def: $vgpr4
                                        ; implicit-def: $vgpr5
.LBB2451_224:
	s_andn2_saveexec_b64 s[0:1], s[0:1]
	s_cbranch_execz .LBB2451_148
; %bb.225:
	v_cmp_lt_i64_e32 vcc, 1, v[0:1]
	s_and_saveexec_b64 s[0:1], vcc
	s_xor_b64 s[0:1], exec, s[0:1]
	s_cbranch_execz .LBB2451_227
; %bb.226:
	v_mov_b32_e32 v0, 0
	s_waitcnt lgkmcnt(0)
	global_store_short v0, v7, s[6:7]
                                        ; implicit-def: $vgpr4
                                        ; implicit-def: $vgpr0_vgpr1
                                        ; implicit-def: $vgpr5
.LBB2451_227:
	s_andn2_saveexec_b64 s[0:1], s[0:1]
	s_cbranch_execz .LBB2451_148
; %bb.228:
	v_cmp_ne_u64_e32 vcc, 1, v[0:1]
	s_and_saveexec_b64 s[0:1], vcc
	s_xor_b64 s[0:1], exec, s[0:1]
	s_cbranch_execz .LBB2451_230
; %bb.229:
	v_mov_b32_e32 v0, 0
	s_waitcnt lgkmcnt(0)
	global_store_short v0, v5, s[6:7]
                                        ; implicit-def: $vgpr4
.LBB2451_230:
	s_andn2_saveexec_b64 s[0:1], s[0:1]
	s_cbranch_execz .LBB2451_148
; %bb.231:
	v_mov_b32_e32 v0, 0
	s_waitcnt lgkmcnt(0)
	global_store_short v0, v4, s[6:7]
	s_endpgm
	.section	.rodata,"a",@progbits
	.p2align	6, 0x0
	.amdhsa_kernel _ZN7rocprim17ROCPRIM_400000_NS6detail17trampoline_kernelINS0_14default_configENS1_20scan_config_selectorItEEZZNS1_9scan_implILNS1_25lookback_scan_determinismE0ELb0ELb0ES3_N6thrust23THRUST_200600_302600_NS6detail15normal_iteratorINS9_10device_ptrItEEEESE_t11max_functorItEtEEDaPvRmT3_T4_T5_mT6_P12ihipStream_tbENKUlT_T0_E_clISt17integral_constantIbLb1EEST_IbLb0EEEEDaSP_SQ_EUlSP_E_NS1_11comp_targetILNS1_3genE4ELNS1_11target_archE910ELNS1_3gpuE8ELNS1_3repE0EEENS1_30default_config_static_selectorELNS0_4arch9wavefront6targetE1EEEvT1_
		.amdhsa_group_segment_fixed_size 3072
		.amdhsa_private_segment_fixed_size 0
		.amdhsa_kernarg_size 96
		.amdhsa_user_sgpr_count 6
		.amdhsa_user_sgpr_private_segment_buffer 1
		.amdhsa_user_sgpr_dispatch_ptr 0
		.amdhsa_user_sgpr_queue_ptr 0
		.amdhsa_user_sgpr_kernarg_segment_ptr 1
		.amdhsa_user_sgpr_dispatch_id 0
		.amdhsa_user_sgpr_flat_scratch_init 0
		.amdhsa_user_sgpr_kernarg_preload_length 0
		.amdhsa_user_sgpr_kernarg_preload_offset 0
		.amdhsa_user_sgpr_private_segment_size 0
		.amdhsa_uses_dynamic_stack 0
		.amdhsa_system_sgpr_private_segment_wavefront_offset 0
		.amdhsa_system_sgpr_workgroup_id_x 1
		.amdhsa_system_sgpr_workgroup_id_y 0
		.amdhsa_system_sgpr_workgroup_id_z 0
		.amdhsa_system_sgpr_workgroup_info 0
		.amdhsa_system_vgpr_workitem_id 0
		.amdhsa_next_free_vgpr 57
		.amdhsa_next_free_sgpr 28
		.amdhsa_accum_offset 60
		.amdhsa_reserve_vcc 1
		.amdhsa_reserve_flat_scratch 0
		.amdhsa_float_round_mode_32 0
		.amdhsa_float_round_mode_16_64 0
		.amdhsa_float_denorm_mode_32 3
		.amdhsa_float_denorm_mode_16_64 3
		.amdhsa_dx10_clamp 1
		.amdhsa_ieee_mode 1
		.amdhsa_fp16_overflow 0
		.amdhsa_tg_split 0
		.amdhsa_exception_fp_ieee_invalid_op 0
		.amdhsa_exception_fp_denorm_src 0
		.amdhsa_exception_fp_ieee_div_zero 0
		.amdhsa_exception_fp_ieee_overflow 0
		.amdhsa_exception_fp_ieee_underflow 0
		.amdhsa_exception_fp_ieee_inexact 0
		.amdhsa_exception_int_div_zero 0
	.end_amdhsa_kernel
	.section	.text._ZN7rocprim17ROCPRIM_400000_NS6detail17trampoline_kernelINS0_14default_configENS1_20scan_config_selectorItEEZZNS1_9scan_implILNS1_25lookback_scan_determinismE0ELb0ELb0ES3_N6thrust23THRUST_200600_302600_NS6detail15normal_iteratorINS9_10device_ptrItEEEESE_t11max_functorItEtEEDaPvRmT3_T4_T5_mT6_P12ihipStream_tbENKUlT_T0_E_clISt17integral_constantIbLb1EEST_IbLb0EEEEDaSP_SQ_EUlSP_E_NS1_11comp_targetILNS1_3genE4ELNS1_11target_archE910ELNS1_3gpuE8ELNS1_3repE0EEENS1_30default_config_static_selectorELNS0_4arch9wavefront6targetE1EEEvT1_,"axG",@progbits,_ZN7rocprim17ROCPRIM_400000_NS6detail17trampoline_kernelINS0_14default_configENS1_20scan_config_selectorItEEZZNS1_9scan_implILNS1_25lookback_scan_determinismE0ELb0ELb0ES3_N6thrust23THRUST_200600_302600_NS6detail15normal_iteratorINS9_10device_ptrItEEEESE_t11max_functorItEtEEDaPvRmT3_T4_T5_mT6_P12ihipStream_tbENKUlT_T0_E_clISt17integral_constantIbLb1EEST_IbLb0EEEEDaSP_SQ_EUlSP_E_NS1_11comp_targetILNS1_3genE4ELNS1_11target_archE910ELNS1_3gpuE8ELNS1_3repE0EEENS1_30default_config_static_selectorELNS0_4arch9wavefront6targetE1EEEvT1_,comdat
.Lfunc_end2451:
	.size	_ZN7rocprim17ROCPRIM_400000_NS6detail17trampoline_kernelINS0_14default_configENS1_20scan_config_selectorItEEZZNS1_9scan_implILNS1_25lookback_scan_determinismE0ELb0ELb0ES3_N6thrust23THRUST_200600_302600_NS6detail15normal_iteratorINS9_10device_ptrItEEEESE_t11max_functorItEtEEDaPvRmT3_T4_T5_mT6_P12ihipStream_tbENKUlT_T0_E_clISt17integral_constantIbLb1EEST_IbLb0EEEEDaSP_SQ_EUlSP_E_NS1_11comp_targetILNS1_3genE4ELNS1_11target_archE910ELNS1_3gpuE8ELNS1_3repE0EEENS1_30default_config_static_selectorELNS0_4arch9wavefront6targetE1EEEvT1_, .Lfunc_end2451-_ZN7rocprim17ROCPRIM_400000_NS6detail17trampoline_kernelINS0_14default_configENS1_20scan_config_selectorItEEZZNS1_9scan_implILNS1_25lookback_scan_determinismE0ELb0ELb0ES3_N6thrust23THRUST_200600_302600_NS6detail15normal_iteratorINS9_10device_ptrItEEEESE_t11max_functorItEtEEDaPvRmT3_T4_T5_mT6_P12ihipStream_tbENKUlT_T0_E_clISt17integral_constantIbLb1EEST_IbLb0EEEEDaSP_SQ_EUlSP_E_NS1_11comp_targetILNS1_3genE4ELNS1_11target_archE910ELNS1_3gpuE8ELNS1_3repE0EEENS1_30default_config_static_selectorELNS0_4arch9wavefront6targetE1EEEvT1_
                                        ; -- End function
	.section	.AMDGPU.csdata,"",@progbits
; Kernel info:
; codeLenInByte = 8008
; NumSgprs: 32
; NumVgprs: 57
; NumAgprs: 0
; TotalNumVgprs: 57
; ScratchSize: 0
; MemoryBound: 0
; FloatMode: 240
; IeeeMode: 1
; LDSByteSize: 3072 bytes/workgroup (compile time only)
; SGPRBlocks: 3
; VGPRBlocks: 7
; NumSGPRsForWavesPerEU: 32
; NumVGPRsForWavesPerEU: 57
; AccumOffset: 60
; Occupancy: 6
; WaveLimiterHint : 1
; COMPUTE_PGM_RSRC2:SCRATCH_EN: 0
; COMPUTE_PGM_RSRC2:USER_SGPR: 6
; COMPUTE_PGM_RSRC2:TRAP_HANDLER: 0
; COMPUTE_PGM_RSRC2:TGID_X_EN: 1
; COMPUTE_PGM_RSRC2:TGID_Y_EN: 0
; COMPUTE_PGM_RSRC2:TGID_Z_EN: 0
; COMPUTE_PGM_RSRC2:TIDIG_COMP_CNT: 0
; COMPUTE_PGM_RSRC3_GFX90A:ACCUM_OFFSET: 14
; COMPUTE_PGM_RSRC3_GFX90A:TG_SPLIT: 0
	.section	.text._ZN7rocprim17ROCPRIM_400000_NS6detail17trampoline_kernelINS0_14default_configENS1_20scan_config_selectorItEEZZNS1_9scan_implILNS1_25lookback_scan_determinismE0ELb0ELb0ES3_N6thrust23THRUST_200600_302600_NS6detail15normal_iteratorINS9_10device_ptrItEEEESE_t11max_functorItEtEEDaPvRmT3_T4_T5_mT6_P12ihipStream_tbENKUlT_T0_E_clISt17integral_constantIbLb1EEST_IbLb0EEEEDaSP_SQ_EUlSP_E_NS1_11comp_targetILNS1_3genE3ELNS1_11target_archE908ELNS1_3gpuE7ELNS1_3repE0EEENS1_30default_config_static_selectorELNS0_4arch9wavefront6targetE1EEEvT1_,"axG",@progbits,_ZN7rocprim17ROCPRIM_400000_NS6detail17trampoline_kernelINS0_14default_configENS1_20scan_config_selectorItEEZZNS1_9scan_implILNS1_25lookback_scan_determinismE0ELb0ELb0ES3_N6thrust23THRUST_200600_302600_NS6detail15normal_iteratorINS9_10device_ptrItEEEESE_t11max_functorItEtEEDaPvRmT3_T4_T5_mT6_P12ihipStream_tbENKUlT_T0_E_clISt17integral_constantIbLb1EEST_IbLb0EEEEDaSP_SQ_EUlSP_E_NS1_11comp_targetILNS1_3genE3ELNS1_11target_archE908ELNS1_3gpuE7ELNS1_3repE0EEENS1_30default_config_static_selectorELNS0_4arch9wavefront6targetE1EEEvT1_,comdat
	.protected	_ZN7rocprim17ROCPRIM_400000_NS6detail17trampoline_kernelINS0_14default_configENS1_20scan_config_selectorItEEZZNS1_9scan_implILNS1_25lookback_scan_determinismE0ELb0ELb0ES3_N6thrust23THRUST_200600_302600_NS6detail15normal_iteratorINS9_10device_ptrItEEEESE_t11max_functorItEtEEDaPvRmT3_T4_T5_mT6_P12ihipStream_tbENKUlT_T0_E_clISt17integral_constantIbLb1EEST_IbLb0EEEEDaSP_SQ_EUlSP_E_NS1_11comp_targetILNS1_3genE3ELNS1_11target_archE908ELNS1_3gpuE7ELNS1_3repE0EEENS1_30default_config_static_selectorELNS0_4arch9wavefront6targetE1EEEvT1_ ; -- Begin function _ZN7rocprim17ROCPRIM_400000_NS6detail17trampoline_kernelINS0_14default_configENS1_20scan_config_selectorItEEZZNS1_9scan_implILNS1_25lookback_scan_determinismE0ELb0ELb0ES3_N6thrust23THRUST_200600_302600_NS6detail15normal_iteratorINS9_10device_ptrItEEEESE_t11max_functorItEtEEDaPvRmT3_T4_T5_mT6_P12ihipStream_tbENKUlT_T0_E_clISt17integral_constantIbLb1EEST_IbLb0EEEEDaSP_SQ_EUlSP_E_NS1_11comp_targetILNS1_3genE3ELNS1_11target_archE908ELNS1_3gpuE7ELNS1_3repE0EEENS1_30default_config_static_selectorELNS0_4arch9wavefront6targetE1EEEvT1_
	.globl	_ZN7rocprim17ROCPRIM_400000_NS6detail17trampoline_kernelINS0_14default_configENS1_20scan_config_selectorItEEZZNS1_9scan_implILNS1_25lookback_scan_determinismE0ELb0ELb0ES3_N6thrust23THRUST_200600_302600_NS6detail15normal_iteratorINS9_10device_ptrItEEEESE_t11max_functorItEtEEDaPvRmT3_T4_T5_mT6_P12ihipStream_tbENKUlT_T0_E_clISt17integral_constantIbLb1EEST_IbLb0EEEEDaSP_SQ_EUlSP_E_NS1_11comp_targetILNS1_3genE3ELNS1_11target_archE908ELNS1_3gpuE7ELNS1_3repE0EEENS1_30default_config_static_selectorELNS0_4arch9wavefront6targetE1EEEvT1_
	.p2align	8
	.type	_ZN7rocprim17ROCPRIM_400000_NS6detail17trampoline_kernelINS0_14default_configENS1_20scan_config_selectorItEEZZNS1_9scan_implILNS1_25lookback_scan_determinismE0ELb0ELb0ES3_N6thrust23THRUST_200600_302600_NS6detail15normal_iteratorINS9_10device_ptrItEEEESE_t11max_functorItEtEEDaPvRmT3_T4_T5_mT6_P12ihipStream_tbENKUlT_T0_E_clISt17integral_constantIbLb1EEST_IbLb0EEEEDaSP_SQ_EUlSP_E_NS1_11comp_targetILNS1_3genE3ELNS1_11target_archE908ELNS1_3gpuE7ELNS1_3repE0EEENS1_30default_config_static_selectorELNS0_4arch9wavefront6targetE1EEEvT1_,@function
_ZN7rocprim17ROCPRIM_400000_NS6detail17trampoline_kernelINS0_14default_configENS1_20scan_config_selectorItEEZZNS1_9scan_implILNS1_25lookback_scan_determinismE0ELb0ELb0ES3_N6thrust23THRUST_200600_302600_NS6detail15normal_iteratorINS9_10device_ptrItEEEESE_t11max_functorItEtEEDaPvRmT3_T4_T5_mT6_P12ihipStream_tbENKUlT_T0_E_clISt17integral_constantIbLb1EEST_IbLb0EEEEDaSP_SQ_EUlSP_E_NS1_11comp_targetILNS1_3genE3ELNS1_11target_archE908ELNS1_3gpuE7ELNS1_3repE0EEENS1_30default_config_static_selectorELNS0_4arch9wavefront6targetE1EEEvT1_: ; @_ZN7rocprim17ROCPRIM_400000_NS6detail17trampoline_kernelINS0_14default_configENS1_20scan_config_selectorItEEZZNS1_9scan_implILNS1_25lookback_scan_determinismE0ELb0ELb0ES3_N6thrust23THRUST_200600_302600_NS6detail15normal_iteratorINS9_10device_ptrItEEEESE_t11max_functorItEtEEDaPvRmT3_T4_T5_mT6_P12ihipStream_tbENKUlT_T0_E_clISt17integral_constantIbLb1EEST_IbLb0EEEEDaSP_SQ_EUlSP_E_NS1_11comp_targetILNS1_3genE3ELNS1_11target_archE908ELNS1_3gpuE7ELNS1_3repE0EEENS1_30default_config_static_selectorELNS0_4arch9wavefront6targetE1EEEvT1_
; %bb.0:
	.section	.rodata,"a",@progbits
	.p2align	6, 0x0
	.amdhsa_kernel _ZN7rocprim17ROCPRIM_400000_NS6detail17trampoline_kernelINS0_14default_configENS1_20scan_config_selectorItEEZZNS1_9scan_implILNS1_25lookback_scan_determinismE0ELb0ELb0ES3_N6thrust23THRUST_200600_302600_NS6detail15normal_iteratorINS9_10device_ptrItEEEESE_t11max_functorItEtEEDaPvRmT3_T4_T5_mT6_P12ihipStream_tbENKUlT_T0_E_clISt17integral_constantIbLb1EEST_IbLb0EEEEDaSP_SQ_EUlSP_E_NS1_11comp_targetILNS1_3genE3ELNS1_11target_archE908ELNS1_3gpuE7ELNS1_3repE0EEENS1_30default_config_static_selectorELNS0_4arch9wavefront6targetE1EEEvT1_
		.amdhsa_group_segment_fixed_size 0
		.amdhsa_private_segment_fixed_size 0
		.amdhsa_kernarg_size 96
		.amdhsa_user_sgpr_count 6
		.amdhsa_user_sgpr_private_segment_buffer 1
		.amdhsa_user_sgpr_dispatch_ptr 0
		.amdhsa_user_sgpr_queue_ptr 0
		.amdhsa_user_sgpr_kernarg_segment_ptr 1
		.amdhsa_user_sgpr_dispatch_id 0
		.amdhsa_user_sgpr_flat_scratch_init 0
		.amdhsa_user_sgpr_kernarg_preload_length 0
		.amdhsa_user_sgpr_kernarg_preload_offset 0
		.amdhsa_user_sgpr_private_segment_size 0
		.amdhsa_uses_dynamic_stack 0
		.amdhsa_system_sgpr_private_segment_wavefront_offset 0
		.amdhsa_system_sgpr_workgroup_id_x 1
		.amdhsa_system_sgpr_workgroup_id_y 0
		.amdhsa_system_sgpr_workgroup_id_z 0
		.amdhsa_system_sgpr_workgroup_info 0
		.amdhsa_system_vgpr_workitem_id 0
		.amdhsa_next_free_vgpr 1
		.amdhsa_next_free_sgpr 0
		.amdhsa_accum_offset 4
		.amdhsa_reserve_vcc 0
		.amdhsa_reserve_flat_scratch 0
		.amdhsa_float_round_mode_32 0
		.amdhsa_float_round_mode_16_64 0
		.amdhsa_float_denorm_mode_32 3
		.amdhsa_float_denorm_mode_16_64 3
		.amdhsa_dx10_clamp 1
		.amdhsa_ieee_mode 1
		.amdhsa_fp16_overflow 0
		.amdhsa_tg_split 0
		.amdhsa_exception_fp_ieee_invalid_op 0
		.amdhsa_exception_fp_denorm_src 0
		.amdhsa_exception_fp_ieee_div_zero 0
		.amdhsa_exception_fp_ieee_overflow 0
		.amdhsa_exception_fp_ieee_underflow 0
		.amdhsa_exception_fp_ieee_inexact 0
		.amdhsa_exception_int_div_zero 0
	.end_amdhsa_kernel
	.section	.text._ZN7rocprim17ROCPRIM_400000_NS6detail17trampoline_kernelINS0_14default_configENS1_20scan_config_selectorItEEZZNS1_9scan_implILNS1_25lookback_scan_determinismE0ELb0ELb0ES3_N6thrust23THRUST_200600_302600_NS6detail15normal_iteratorINS9_10device_ptrItEEEESE_t11max_functorItEtEEDaPvRmT3_T4_T5_mT6_P12ihipStream_tbENKUlT_T0_E_clISt17integral_constantIbLb1EEST_IbLb0EEEEDaSP_SQ_EUlSP_E_NS1_11comp_targetILNS1_3genE3ELNS1_11target_archE908ELNS1_3gpuE7ELNS1_3repE0EEENS1_30default_config_static_selectorELNS0_4arch9wavefront6targetE1EEEvT1_,"axG",@progbits,_ZN7rocprim17ROCPRIM_400000_NS6detail17trampoline_kernelINS0_14default_configENS1_20scan_config_selectorItEEZZNS1_9scan_implILNS1_25lookback_scan_determinismE0ELb0ELb0ES3_N6thrust23THRUST_200600_302600_NS6detail15normal_iteratorINS9_10device_ptrItEEEESE_t11max_functorItEtEEDaPvRmT3_T4_T5_mT6_P12ihipStream_tbENKUlT_T0_E_clISt17integral_constantIbLb1EEST_IbLb0EEEEDaSP_SQ_EUlSP_E_NS1_11comp_targetILNS1_3genE3ELNS1_11target_archE908ELNS1_3gpuE7ELNS1_3repE0EEENS1_30default_config_static_selectorELNS0_4arch9wavefront6targetE1EEEvT1_,comdat
.Lfunc_end2452:
	.size	_ZN7rocprim17ROCPRIM_400000_NS6detail17trampoline_kernelINS0_14default_configENS1_20scan_config_selectorItEEZZNS1_9scan_implILNS1_25lookback_scan_determinismE0ELb0ELb0ES3_N6thrust23THRUST_200600_302600_NS6detail15normal_iteratorINS9_10device_ptrItEEEESE_t11max_functorItEtEEDaPvRmT3_T4_T5_mT6_P12ihipStream_tbENKUlT_T0_E_clISt17integral_constantIbLb1EEST_IbLb0EEEEDaSP_SQ_EUlSP_E_NS1_11comp_targetILNS1_3genE3ELNS1_11target_archE908ELNS1_3gpuE7ELNS1_3repE0EEENS1_30default_config_static_selectorELNS0_4arch9wavefront6targetE1EEEvT1_, .Lfunc_end2452-_ZN7rocprim17ROCPRIM_400000_NS6detail17trampoline_kernelINS0_14default_configENS1_20scan_config_selectorItEEZZNS1_9scan_implILNS1_25lookback_scan_determinismE0ELb0ELb0ES3_N6thrust23THRUST_200600_302600_NS6detail15normal_iteratorINS9_10device_ptrItEEEESE_t11max_functorItEtEEDaPvRmT3_T4_T5_mT6_P12ihipStream_tbENKUlT_T0_E_clISt17integral_constantIbLb1EEST_IbLb0EEEEDaSP_SQ_EUlSP_E_NS1_11comp_targetILNS1_3genE3ELNS1_11target_archE908ELNS1_3gpuE7ELNS1_3repE0EEENS1_30default_config_static_selectorELNS0_4arch9wavefront6targetE1EEEvT1_
                                        ; -- End function
	.section	.AMDGPU.csdata,"",@progbits
; Kernel info:
; codeLenInByte = 0
; NumSgprs: 4
; NumVgprs: 0
; NumAgprs: 0
; TotalNumVgprs: 0
; ScratchSize: 0
; MemoryBound: 0
; FloatMode: 240
; IeeeMode: 1
; LDSByteSize: 0 bytes/workgroup (compile time only)
; SGPRBlocks: 0
; VGPRBlocks: 0
; NumSGPRsForWavesPerEU: 4
; NumVGPRsForWavesPerEU: 1
; AccumOffset: 4
; Occupancy: 8
; WaveLimiterHint : 0
; COMPUTE_PGM_RSRC2:SCRATCH_EN: 0
; COMPUTE_PGM_RSRC2:USER_SGPR: 6
; COMPUTE_PGM_RSRC2:TRAP_HANDLER: 0
; COMPUTE_PGM_RSRC2:TGID_X_EN: 1
; COMPUTE_PGM_RSRC2:TGID_Y_EN: 0
; COMPUTE_PGM_RSRC2:TGID_Z_EN: 0
; COMPUTE_PGM_RSRC2:TIDIG_COMP_CNT: 0
; COMPUTE_PGM_RSRC3_GFX90A:ACCUM_OFFSET: 0
; COMPUTE_PGM_RSRC3_GFX90A:TG_SPLIT: 0
	.section	.text._ZN7rocprim17ROCPRIM_400000_NS6detail17trampoline_kernelINS0_14default_configENS1_20scan_config_selectorItEEZZNS1_9scan_implILNS1_25lookback_scan_determinismE0ELb0ELb0ES3_N6thrust23THRUST_200600_302600_NS6detail15normal_iteratorINS9_10device_ptrItEEEESE_t11max_functorItEtEEDaPvRmT3_T4_T5_mT6_P12ihipStream_tbENKUlT_T0_E_clISt17integral_constantIbLb1EEST_IbLb0EEEEDaSP_SQ_EUlSP_E_NS1_11comp_targetILNS1_3genE2ELNS1_11target_archE906ELNS1_3gpuE6ELNS1_3repE0EEENS1_30default_config_static_selectorELNS0_4arch9wavefront6targetE1EEEvT1_,"axG",@progbits,_ZN7rocprim17ROCPRIM_400000_NS6detail17trampoline_kernelINS0_14default_configENS1_20scan_config_selectorItEEZZNS1_9scan_implILNS1_25lookback_scan_determinismE0ELb0ELb0ES3_N6thrust23THRUST_200600_302600_NS6detail15normal_iteratorINS9_10device_ptrItEEEESE_t11max_functorItEtEEDaPvRmT3_T4_T5_mT6_P12ihipStream_tbENKUlT_T0_E_clISt17integral_constantIbLb1EEST_IbLb0EEEEDaSP_SQ_EUlSP_E_NS1_11comp_targetILNS1_3genE2ELNS1_11target_archE906ELNS1_3gpuE6ELNS1_3repE0EEENS1_30default_config_static_selectorELNS0_4arch9wavefront6targetE1EEEvT1_,comdat
	.protected	_ZN7rocprim17ROCPRIM_400000_NS6detail17trampoline_kernelINS0_14default_configENS1_20scan_config_selectorItEEZZNS1_9scan_implILNS1_25lookback_scan_determinismE0ELb0ELb0ES3_N6thrust23THRUST_200600_302600_NS6detail15normal_iteratorINS9_10device_ptrItEEEESE_t11max_functorItEtEEDaPvRmT3_T4_T5_mT6_P12ihipStream_tbENKUlT_T0_E_clISt17integral_constantIbLb1EEST_IbLb0EEEEDaSP_SQ_EUlSP_E_NS1_11comp_targetILNS1_3genE2ELNS1_11target_archE906ELNS1_3gpuE6ELNS1_3repE0EEENS1_30default_config_static_selectorELNS0_4arch9wavefront6targetE1EEEvT1_ ; -- Begin function _ZN7rocprim17ROCPRIM_400000_NS6detail17trampoline_kernelINS0_14default_configENS1_20scan_config_selectorItEEZZNS1_9scan_implILNS1_25lookback_scan_determinismE0ELb0ELb0ES3_N6thrust23THRUST_200600_302600_NS6detail15normal_iteratorINS9_10device_ptrItEEEESE_t11max_functorItEtEEDaPvRmT3_T4_T5_mT6_P12ihipStream_tbENKUlT_T0_E_clISt17integral_constantIbLb1EEST_IbLb0EEEEDaSP_SQ_EUlSP_E_NS1_11comp_targetILNS1_3genE2ELNS1_11target_archE906ELNS1_3gpuE6ELNS1_3repE0EEENS1_30default_config_static_selectorELNS0_4arch9wavefront6targetE1EEEvT1_
	.globl	_ZN7rocprim17ROCPRIM_400000_NS6detail17trampoline_kernelINS0_14default_configENS1_20scan_config_selectorItEEZZNS1_9scan_implILNS1_25lookback_scan_determinismE0ELb0ELb0ES3_N6thrust23THRUST_200600_302600_NS6detail15normal_iteratorINS9_10device_ptrItEEEESE_t11max_functorItEtEEDaPvRmT3_T4_T5_mT6_P12ihipStream_tbENKUlT_T0_E_clISt17integral_constantIbLb1EEST_IbLb0EEEEDaSP_SQ_EUlSP_E_NS1_11comp_targetILNS1_3genE2ELNS1_11target_archE906ELNS1_3gpuE6ELNS1_3repE0EEENS1_30default_config_static_selectorELNS0_4arch9wavefront6targetE1EEEvT1_
	.p2align	8
	.type	_ZN7rocprim17ROCPRIM_400000_NS6detail17trampoline_kernelINS0_14default_configENS1_20scan_config_selectorItEEZZNS1_9scan_implILNS1_25lookback_scan_determinismE0ELb0ELb0ES3_N6thrust23THRUST_200600_302600_NS6detail15normal_iteratorINS9_10device_ptrItEEEESE_t11max_functorItEtEEDaPvRmT3_T4_T5_mT6_P12ihipStream_tbENKUlT_T0_E_clISt17integral_constantIbLb1EEST_IbLb0EEEEDaSP_SQ_EUlSP_E_NS1_11comp_targetILNS1_3genE2ELNS1_11target_archE906ELNS1_3gpuE6ELNS1_3repE0EEENS1_30default_config_static_selectorELNS0_4arch9wavefront6targetE1EEEvT1_,@function
_ZN7rocprim17ROCPRIM_400000_NS6detail17trampoline_kernelINS0_14default_configENS1_20scan_config_selectorItEEZZNS1_9scan_implILNS1_25lookback_scan_determinismE0ELb0ELb0ES3_N6thrust23THRUST_200600_302600_NS6detail15normal_iteratorINS9_10device_ptrItEEEESE_t11max_functorItEtEEDaPvRmT3_T4_T5_mT6_P12ihipStream_tbENKUlT_T0_E_clISt17integral_constantIbLb1EEST_IbLb0EEEEDaSP_SQ_EUlSP_E_NS1_11comp_targetILNS1_3genE2ELNS1_11target_archE906ELNS1_3gpuE6ELNS1_3repE0EEENS1_30default_config_static_selectorELNS0_4arch9wavefront6targetE1EEEvT1_: ; @_ZN7rocprim17ROCPRIM_400000_NS6detail17trampoline_kernelINS0_14default_configENS1_20scan_config_selectorItEEZZNS1_9scan_implILNS1_25lookback_scan_determinismE0ELb0ELb0ES3_N6thrust23THRUST_200600_302600_NS6detail15normal_iteratorINS9_10device_ptrItEEEESE_t11max_functorItEtEEDaPvRmT3_T4_T5_mT6_P12ihipStream_tbENKUlT_T0_E_clISt17integral_constantIbLb1EEST_IbLb0EEEEDaSP_SQ_EUlSP_E_NS1_11comp_targetILNS1_3genE2ELNS1_11target_archE906ELNS1_3gpuE6ELNS1_3repE0EEENS1_30default_config_static_selectorELNS0_4arch9wavefront6targetE1EEEvT1_
; %bb.0:
	.section	.rodata,"a",@progbits
	.p2align	6, 0x0
	.amdhsa_kernel _ZN7rocprim17ROCPRIM_400000_NS6detail17trampoline_kernelINS0_14default_configENS1_20scan_config_selectorItEEZZNS1_9scan_implILNS1_25lookback_scan_determinismE0ELb0ELb0ES3_N6thrust23THRUST_200600_302600_NS6detail15normal_iteratorINS9_10device_ptrItEEEESE_t11max_functorItEtEEDaPvRmT3_T4_T5_mT6_P12ihipStream_tbENKUlT_T0_E_clISt17integral_constantIbLb1EEST_IbLb0EEEEDaSP_SQ_EUlSP_E_NS1_11comp_targetILNS1_3genE2ELNS1_11target_archE906ELNS1_3gpuE6ELNS1_3repE0EEENS1_30default_config_static_selectorELNS0_4arch9wavefront6targetE1EEEvT1_
		.amdhsa_group_segment_fixed_size 0
		.amdhsa_private_segment_fixed_size 0
		.amdhsa_kernarg_size 96
		.amdhsa_user_sgpr_count 6
		.amdhsa_user_sgpr_private_segment_buffer 1
		.amdhsa_user_sgpr_dispatch_ptr 0
		.amdhsa_user_sgpr_queue_ptr 0
		.amdhsa_user_sgpr_kernarg_segment_ptr 1
		.amdhsa_user_sgpr_dispatch_id 0
		.amdhsa_user_sgpr_flat_scratch_init 0
		.amdhsa_user_sgpr_kernarg_preload_length 0
		.amdhsa_user_sgpr_kernarg_preload_offset 0
		.amdhsa_user_sgpr_private_segment_size 0
		.amdhsa_uses_dynamic_stack 0
		.amdhsa_system_sgpr_private_segment_wavefront_offset 0
		.amdhsa_system_sgpr_workgroup_id_x 1
		.amdhsa_system_sgpr_workgroup_id_y 0
		.amdhsa_system_sgpr_workgroup_id_z 0
		.amdhsa_system_sgpr_workgroup_info 0
		.amdhsa_system_vgpr_workitem_id 0
		.amdhsa_next_free_vgpr 1
		.amdhsa_next_free_sgpr 0
		.amdhsa_accum_offset 4
		.amdhsa_reserve_vcc 0
		.amdhsa_reserve_flat_scratch 0
		.amdhsa_float_round_mode_32 0
		.amdhsa_float_round_mode_16_64 0
		.amdhsa_float_denorm_mode_32 3
		.amdhsa_float_denorm_mode_16_64 3
		.amdhsa_dx10_clamp 1
		.amdhsa_ieee_mode 1
		.amdhsa_fp16_overflow 0
		.amdhsa_tg_split 0
		.amdhsa_exception_fp_ieee_invalid_op 0
		.amdhsa_exception_fp_denorm_src 0
		.amdhsa_exception_fp_ieee_div_zero 0
		.amdhsa_exception_fp_ieee_overflow 0
		.amdhsa_exception_fp_ieee_underflow 0
		.amdhsa_exception_fp_ieee_inexact 0
		.amdhsa_exception_int_div_zero 0
	.end_amdhsa_kernel
	.section	.text._ZN7rocprim17ROCPRIM_400000_NS6detail17trampoline_kernelINS0_14default_configENS1_20scan_config_selectorItEEZZNS1_9scan_implILNS1_25lookback_scan_determinismE0ELb0ELb0ES3_N6thrust23THRUST_200600_302600_NS6detail15normal_iteratorINS9_10device_ptrItEEEESE_t11max_functorItEtEEDaPvRmT3_T4_T5_mT6_P12ihipStream_tbENKUlT_T0_E_clISt17integral_constantIbLb1EEST_IbLb0EEEEDaSP_SQ_EUlSP_E_NS1_11comp_targetILNS1_3genE2ELNS1_11target_archE906ELNS1_3gpuE6ELNS1_3repE0EEENS1_30default_config_static_selectorELNS0_4arch9wavefront6targetE1EEEvT1_,"axG",@progbits,_ZN7rocprim17ROCPRIM_400000_NS6detail17trampoline_kernelINS0_14default_configENS1_20scan_config_selectorItEEZZNS1_9scan_implILNS1_25lookback_scan_determinismE0ELb0ELb0ES3_N6thrust23THRUST_200600_302600_NS6detail15normal_iteratorINS9_10device_ptrItEEEESE_t11max_functorItEtEEDaPvRmT3_T4_T5_mT6_P12ihipStream_tbENKUlT_T0_E_clISt17integral_constantIbLb1EEST_IbLb0EEEEDaSP_SQ_EUlSP_E_NS1_11comp_targetILNS1_3genE2ELNS1_11target_archE906ELNS1_3gpuE6ELNS1_3repE0EEENS1_30default_config_static_selectorELNS0_4arch9wavefront6targetE1EEEvT1_,comdat
.Lfunc_end2453:
	.size	_ZN7rocprim17ROCPRIM_400000_NS6detail17trampoline_kernelINS0_14default_configENS1_20scan_config_selectorItEEZZNS1_9scan_implILNS1_25lookback_scan_determinismE0ELb0ELb0ES3_N6thrust23THRUST_200600_302600_NS6detail15normal_iteratorINS9_10device_ptrItEEEESE_t11max_functorItEtEEDaPvRmT3_T4_T5_mT6_P12ihipStream_tbENKUlT_T0_E_clISt17integral_constantIbLb1EEST_IbLb0EEEEDaSP_SQ_EUlSP_E_NS1_11comp_targetILNS1_3genE2ELNS1_11target_archE906ELNS1_3gpuE6ELNS1_3repE0EEENS1_30default_config_static_selectorELNS0_4arch9wavefront6targetE1EEEvT1_, .Lfunc_end2453-_ZN7rocprim17ROCPRIM_400000_NS6detail17trampoline_kernelINS0_14default_configENS1_20scan_config_selectorItEEZZNS1_9scan_implILNS1_25lookback_scan_determinismE0ELb0ELb0ES3_N6thrust23THRUST_200600_302600_NS6detail15normal_iteratorINS9_10device_ptrItEEEESE_t11max_functorItEtEEDaPvRmT3_T4_T5_mT6_P12ihipStream_tbENKUlT_T0_E_clISt17integral_constantIbLb1EEST_IbLb0EEEEDaSP_SQ_EUlSP_E_NS1_11comp_targetILNS1_3genE2ELNS1_11target_archE906ELNS1_3gpuE6ELNS1_3repE0EEENS1_30default_config_static_selectorELNS0_4arch9wavefront6targetE1EEEvT1_
                                        ; -- End function
	.section	.AMDGPU.csdata,"",@progbits
; Kernel info:
; codeLenInByte = 0
; NumSgprs: 4
; NumVgprs: 0
; NumAgprs: 0
; TotalNumVgprs: 0
; ScratchSize: 0
; MemoryBound: 0
; FloatMode: 240
; IeeeMode: 1
; LDSByteSize: 0 bytes/workgroup (compile time only)
; SGPRBlocks: 0
; VGPRBlocks: 0
; NumSGPRsForWavesPerEU: 4
; NumVGPRsForWavesPerEU: 1
; AccumOffset: 4
; Occupancy: 8
; WaveLimiterHint : 0
; COMPUTE_PGM_RSRC2:SCRATCH_EN: 0
; COMPUTE_PGM_RSRC2:USER_SGPR: 6
; COMPUTE_PGM_RSRC2:TRAP_HANDLER: 0
; COMPUTE_PGM_RSRC2:TGID_X_EN: 1
; COMPUTE_PGM_RSRC2:TGID_Y_EN: 0
; COMPUTE_PGM_RSRC2:TGID_Z_EN: 0
; COMPUTE_PGM_RSRC2:TIDIG_COMP_CNT: 0
; COMPUTE_PGM_RSRC3_GFX90A:ACCUM_OFFSET: 0
; COMPUTE_PGM_RSRC3_GFX90A:TG_SPLIT: 0
	.section	.text._ZN7rocprim17ROCPRIM_400000_NS6detail17trampoline_kernelINS0_14default_configENS1_20scan_config_selectorItEEZZNS1_9scan_implILNS1_25lookback_scan_determinismE0ELb0ELb0ES3_N6thrust23THRUST_200600_302600_NS6detail15normal_iteratorINS9_10device_ptrItEEEESE_t11max_functorItEtEEDaPvRmT3_T4_T5_mT6_P12ihipStream_tbENKUlT_T0_E_clISt17integral_constantIbLb1EEST_IbLb0EEEEDaSP_SQ_EUlSP_E_NS1_11comp_targetILNS1_3genE10ELNS1_11target_archE1201ELNS1_3gpuE5ELNS1_3repE0EEENS1_30default_config_static_selectorELNS0_4arch9wavefront6targetE1EEEvT1_,"axG",@progbits,_ZN7rocprim17ROCPRIM_400000_NS6detail17trampoline_kernelINS0_14default_configENS1_20scan_config_selectorItEEZZNS1_9scan_implILNS1_25lookback_scan_determinismE0ELb0ELb0ES3_N6thrust23THRUST_200600_302600_NS6detail15normal_iteratorINS9_10device_ptrItEEEESE_t11max_functorItEtEEDaPvRmT3_T4_T5_mT6_P12ihipStream_tbENKUlT_T0_E_clISt17integral_constantIbLb1EEST_IbLb0EEEEDaSP_SQ_EUlSP_E_NS1_11comp_targetILNS1_3genE10ELNS1_11target_archE1201ELNS1_3gpuE5ELNS1_3repE0EEENS1_30default_config_static_selectorELNS0_4arch9wavefront6targetE1EEEvT1_,comdat
	.protected	_ZN7rocprim17ROCPRIM_400000_NS6detail17trampoline_kernelINS0_14default_configENS1_20scan_config_selectorItEEZZNS1_9scan_implILNS1_25lookback_scan_determinismE0ELb0ELb0ES3_N6thrust23THRUST_200600_302600_NS6detail15normal_iteratorINS9_10device_ptrItEEEESE_t11max_functorItEtEEDaPvRmT3_T4_T5_mT6_P12ihipStream_tbENKUlT_T0_E_clISt17integral_constantIbLb1EEST_IbLb0EEEEDaSP_SQ_EUlSP_E_NS1_11comp_targetILNS1_3genE10ELNS1_11target_archE1201ELNS1_3gpuE5ELNS1_3repE0EEENS1_30default_config_static_selectorELNS0_4arch9wavefront6targetE1EEEvT1_ ; -- Begin function _ZN7rocprim17ROCPRIM_400000_NS6detail17trampoline_kernelINS0_14default_configENS1_20scan_config_selectorItEEZZNS1_9scan_implILNS1_25lookback_scan_determinismE0ELb0ELb0ES3_N6thrust23THRUST_200600_302600_NS6detail15normal_iteratorINS9_10device_ptrItEEEESE_t11max_functorItEtEEDaPvRmT3_T4_T5_mT6_P12ihipStream_tbENKUlT_T0_E_clISt17integral_constantIbLb1EEST_IbLb0EEEEDaSP_SQ_EUlSP_E_NS1_11comp_targetILNS1_3genE10ELNS1_11target_archE1201ELNS1_3gpuE5ELNS1_3repE0EEENS1_30default_config_static_selectorELNS0_4arch9wavefront6targetE1EEEvT1_
	.globl	_ZN7rocprim17ROCPRIM_400000_NS6detail17trampoline_kernelINS0_14default_configENS1_20scan_config_selectorItEEZZNS1_9scan_implILNS1_25lookback_scan_determinismE0ELb0ELb0ES3_N6thrust23THRUST_200600_302600_NS6detail15normal_iteratorINS9_10device_ptrItEEEESE_t11max_functorItEtEEDaPvRmT3_T4_T5_mT6_P12ihipStream_tbENKUlT_T0_E_clISt17integral_constantIbLb1EEST_IbLb0EEEEDaSP_SQ_EUlSP_E_NS1_11comp_targetILNS1_3genE10ELNS1_11target_archE1201ELNS1_3gpuE5ELNS1_3repE0EEENS1_30default_config_static_selectorELNS0_4arch9wavefront6targetE1EEEvT1_
	.p2align	8
	.type	_ZN7rocprim17ROCPRIM_400000_NS6detail17trampoline_kernelINS0_14default_configENS1_20scan_config_selectorItEEZZNS1_9scan_implILNS1_25lookback_scan_determinismE0ELb0ELb0ES3_N6thrust23THRUST_200600_302600_NS6detail15normal_iteratorINS9_10device_ptrItEEEESE_t11max_functorItEtEEDaPvRmT3_T4_T5_mT6_P12ihipStream_tbENKUlT_T0_E_clISt17integral_constantIbLb1EEST_IbLb0EEEEDaSP_SQ_EUlSP_E_NS1_11comp_targetILNS1_3genE10ELNS1_11target_archE1201ELNS1_3gpuE5ELNS1_3repE0EEENS1_30default_config_static_selectorELNS0_4arch9wavefront6targetE1EEEvT1_,@function
_ZN7rocprim17ROCPRIM_400000_NS6detail17trampoline_kernelINS0_14default_configENS1_20scan_config_selectorItEEZZNS1_9scan_implILNS1_25lookback_scan_determinismE0ELb0ELb0ES3_N6thrust23THRUST_200600_302600_NS6detail15normal_iteratorINS9_10device_ptrItEEEESE_t11max_functorItEtEEDaPvRmT3_T4_T5_mT6_P12ihipStream_tbENKUlT_T0_E_clISt17integral_constantIbLb1EEST_IbLb0EEEEDaSP_SQ_EUlSP_E_NS1_11comp_targetILNS1_3genE10ELNS1_11target_archE1201ELNS1_3gpuE5ELNS1_3repE0EEENS1_30default_config_static_selectorELNS0_4arch9wavefront6targetE1EEEvT1_: ; @_ZN7rocprim17ROCPRIM_400000_NS6detail17trampoline_kernelINS0_14default_configENS1_20scan_config_selectorItEEZZNS1_9scan_implILNS1_25lookback_scan_determinismE0ELb0ELb0ES3_N6thrust23THRUST_200600_302600_NS6detail15normal_iteratorINS9_10device_ptrItEEEESE_t11max_functorItEtEEDaPvRmT3_T4_T5_mT6_P12ihipStream_tbENKUlT_T0_E_clISt17integral_constantIbLb1EEST_IbLb0EEEEDaSP_SQ_EUlSP_E_NS1_11comp_targetILNS1_3genE10ELNS1_11target_archE1201ELNS1_3gpuE5ELNS1_3repE0EEENS1_30default_config_static_selectorELNS0_4arch9wavefront6targetE1EEEvT1_
; %bb.0:
	.section	.rodata,"a",@progbits
	.p2align	6, 0x0
	.amdhsa_kernel _ZN7rocprim17ROCPRIM_400000_NS6detail17trampoline_kernelINS0_14default_configENS1_20scan_config_selectorItEEZZNS1_9scan_implILNS1_25lookback_scan_determinismE0ELb0ELb0ES3_N6thrust23THRUST_200600_302600_NS6detail15normal_iteratorINS9_10device_ptrItEEEESE_t11max_functorItEtEEDaPvRmT3_T4_T5_mT6_P12ihipStream_tbENKUlT_T0_E_clISt17integral_constantIbLb1EEST_IbLb0EEEEDaSP_SQ_EUlSP_E_NS1_11comp_targetILNS1_3genE10ELNS1_11target_archE1201ELNS1_3gpuE5ELNS1_3repE0EEENS1_30default_config_static_selectorELNS0_4arch9wavefront6targetE1EEEvT1_
		.amdhsa_group_segment_fixed_size 0
		.amdhsa_private_segment_fixed_size 0
		.amdhsa_kernarg_size 96
		.amdhsa_user_sgpr_count 6
		.amdhsa_user_sgpr_private_segment_buffer 1
		.amdhsa_user_sgpr_dispatch_ptr 0
		.amdhsa_user_sgpr_queue_ptr 0
		.amdhsa_user_sgpr_kernarg_segment_ptr 1
		.amdhsa_user_sgpr_dispatch_id 0
		.amdhsa_user_sgpr_flat_scratch_init 0
		.amdhsa_user_sgpr_kernarg_preload_length 0
		.amdhsa_user_sgpr_kernarg_preload_offset 0
		.amdhsa_user_sgpr_private_segment_size 0
		.amdhsa_uses_dynamic_stack 0
		.amdhsa_system_sgpr_private_segment_wavefront_offset 0
		.amdhsa_system_sgpr_workgroup_id_x 1
		.amdhsa_system_sgpr_workgroup_id_y 0
		.amdhsa_system_sgpr_workgroup_id_z 0
		.amdhsa_system_sgpr_workgroup_info 0
		.amdhsa_system_vgpr_workitem_id 0
		.amdhsa_next_free_vgpr 1
		.amdhsa_next_free_sgpr 0
		.amdhsa_accum_offset 4
		.amdhsa_reserve_vcc 0
		.amdhsa_reserve_flat_scratch 0
		.amdhsa_float_round_mode_32 0
		.amdhsa_float_round_mode_16_64 0
		.amdhsa_float_denorm_mode_32 3
		.amdhsa_float_denorm_mode_16_64 3
		.amdhsa_dx10_clamp 1
		.amdhsa_ieee_mode 1
		.amdhsa_fp16_overflow 0
		.amdhsa_tg_split 0
		.amdhsa_exception_fp_ieee_invalid_op 0
		.amdhsa_exception_fp_denorm_src 0
		.amdhsa_exception_fp_ieee_div_zero 0
		.amdhsa_exception_fp_ieee_overflow 0
		.amdhsa_exception_fp_ieee_underflow 0
		.amdhsa_exception_fp_ieee_inexact 0
		.amdhsa_exception_int_div_zero 0
	.end_amdhsa_kernel
	.section	.text._ZN7rocprim17ROCPRIM_400000_NS6detail17trampoline_kernelINS0_14default_configENS1_20scan_config_selectorItEEZZNS1_9scan_implILNS1_25lookback_scan_determinismE0ELb0ELb0ES3_N6thrust23THRUST_200600_302600_NS6detail15normal_iteratorINS9_10device_ptrItEEEESE_t11max_functorItEtEEDaPvRmT3_T4_T5_mT6_P12ihipStream_tbENKUlT_T0_E_clISt17integral_constantIbLb1EEST_IbLb0EEEEDaSP_SQ_EUlSP_E_NS1_11comp_targetILNS1_3genE10ELNS1_11target_archE1201ELNS1_3gpuE5ELNS1_3repE0EEENS1_30default_config_static_selectorELNS0_4arch9wavefront6targetE1EEEvT1_,"axG",@progbits,_ZN7rocprim17ROCPRIM_400000_NS6detail17trampoline_kernelINS0_14default_configENS1_20scan_config_selectorItEEZZNS1_9scan_implILNS1_25lookback_scan_determinismE0ELb0ELb0ES3_N6thrust23THRUST_200600_302600_NS6detail15normal_iteratorINS9_10device_ptrItEEEESE_t11max_functorItEtEEDaPvRmT3_T4_T5_mT6_P12ihipStream_tbENKUlT_T0_E_clISt17integral_constantIbLb1EEST_IbLb0EEEEDaSP_SQ_EUlSP_E_NS1_11comp_targetILNS1_3genE10ELNS1_11target_archE1201ELNS1_3gpuE5ELNS1_3repE0EEENS1_30default_config_static_selectorELNS0_4arch9wavefront6targetE1EEEvT1_,comdat
.Lfunc_end2454:
	.size	_ZN7rocprim17ROCPRIM_400000_NS6detail17trampoline_kernelINS0_14default_configENS1_20scan_config_selectorItEEZZNS1_9scan_implILNS1_25lookback_scan_determinismE0ELb0ELb0ES3_N6thrust23THRUST_200600_302600_NS6detail15normal_iteratorINS9_10device_ptrItEEEESE_t11max_functorItEtEEDaPvRmT3_T4_T5_mT6_P12ihipStream_tbENKUlT_T0_E_clISt17integral_constantIbLb1EEST_IbLb0EEEEDaSP_SQ_EUlSP_E_NS1_11comp_targetILNS1_3genE10ELNS1_11target_archE1201ELNS1_3gpuE5ELNS1_3repE0EEENS1_30default_config_static_selectorELNS0_4arch9wavefront6targetE1EEEvT1_, .Lfunc_end2454-_ZN7rocprim17ROCPRIM_400000_NS6detail17trampoline_kernelINS0_14default_configENS1_20scan_config_selectorItEEZZNS1_9scan_implILNS1_25lookback_scan_determinismE0ELb0ELb0ES3_N6thrust23THRUST_200600_302600_NS6detail15normal_iteratorINS9_10device_ptrItEEEESE_t11max_functorItEtEEDaPvRmT3_T4_T5_mT6_P12ihipStream_tbENKUlT_T0_E_clISt17integral_constantIbLb1EEST_IbLb0EEEEDaSP_SQ_EUlSP_E_NS1_11comp_targetILNS1_3genE10ELNS1_11target_archE1201ELNS1_3gpuE5ELNS1_3repE0EEENS1_30default_config_static_selectorELNS0_4arch9wavefront6targetE1EEEvT1_
                                        ; -- End function
	.section	.AMDGPU.csdata,"",@progbits
; Kernel info:
; codeLenInByte = 0
; NumSgprs: 4
; NumVgprs: 0
; NumAgprs: 0
; TotalNumVgprs: 0
; ScratchSize: 0
; MemoryBound: 0
; FloatMode: 240
; IeeeMode: 1
; LDSByteSize: 0 bytes/workgroup (compile time only)
; SGPRBlocks: 0
; VGPRBlocks: 0
; NumSGPRsForWavesPerEU: 4
; NumVGPRsForWavesPerEU: 1
; AccumOffset: 4
; Occupancy: 8
; WaveLimiterHint : 0
; COMPUTE_PGM_RSRC2:SCRATCH_EN: 0
; COMPUTE_PGM_RSRC2:USER_SGPR: 6
; COMPUTE_PGM_RSRC2:TRAP_HANDLER: 0
; COMPUTE_PGM_RSRC2:TGID_X_EN: 1
; COMPUTE_PGM_RSRC2:TGID_Y_EN: 0
; COMPUTE_PGM_RSRC2:TGID_Z_EN: 0
; COMPUTE_PGM_RSRC2:TIDIG_COMP_CNT: 0
; COMPUTE_PGM_RSRC3_GFX90A:ACCUM_OFFSET: 0
; COMPUTE_PGM_RSRC3_GFX90A:TG_SPLIT: 0
	.section	.text._ZN7rocprim17ROCPRIM_400000_NS6detail17trampoline_kernelINS0_14default_configENS1_20scan_config_selectorItEEZZNS1_9scan_implILNS1_25lookback_scan_determinismE0ELb0ELb0ES3_N6thrust23THRUST_200600_302600_NS6detail15normal_iteratorINS9_10device_ptrItEEEESE_t11max_functorItEtEEDaPvRmT3_T4_T5_mT6_P12ihipStream_tbENKUlT_T0_E_clISt17integral_constantIbLb1EEST_IbLb0EEEEDaSP_SQ_EUlSP_E_NS1_11comp_targetILNS1_3genE10ELNS1_11target_archE1200ELNS1_3gpuE4ELNS1_3repE0EEENS1_30default_config_static_selectorELNS0_4arch9wavefront6targetE1EEEvT1_,"axG",@progbits,_ZN7rocprim17ROCPRIM_400000_NS6detail17trampoline_kernelINS0_14default_configENS1_20scan_config_selectorItEEZZNS1_9scan_implILNS1_25lookback_scan_determinismE0ELb0ELb0ES3_N6thrust23THRUST_200600_302600_NS6detail15normal_iteratorINS9_10device_ptrItEEEESE_t11max_functorItEtEEDaPvRmT3_T4_T5_mT6_P12ihipStream_tbENKUlT_T0_E_clISt17integral_constantIbLb1EEST_IbLb0EEEEDaSP_SQ_EUlSP_E_NS1_11comp_targetILNS1_3genE10ELNS1_11target_archE1200ELNS1_3gpuE4ELNS1_3repE0EEENS1_30default_config_static_selectorELNS0_4arch9wavefront6targetE1EEEvT1_,comdat
	.protected	_ZN7rocprim17ROCPRIM_400000_NS6detail17trampoline_kernelINS0_14default_configENS1_20scan_config_selectorItEEZZNS1_9scan_implILNS1_25lookback_scan_determinismE0ELb0ELb0ES3_N6thrust23THRUST_200600_302600_NS6detail15normal_iteratorINS9_10device_ptrItEEEESE_t11max_functorItEtEEDaPvRmT3_T4_T5_mT6_P12ihipStream_tbENKUlT_T0_E_clISt17integral_constantIbLb1EEST_IbLb0EEEEDaSP_SQ_EUlSP_E_NS1_11comp_targetILNS1_3genE10ELNS1_11target_archE1200ELNS1_3gpuE4ELNS1_3repE0EEENS1_30default_config_static_selectorELNS0_4arch9wavefront6targetE1EEEvT1_ ; -- Begin function _ZN7rocprim17ROCPRIM_400000_NS6detail17trampoline_kernelINS0_14default_configENS1_20scan_config_selectorItEEZZNS1_9scan_implILNS1_25lookback_scan_determinismE0ELb0ELb0ES3_N6thrust23THRUST_200600_302600_NS6detail15normal_iteratorINS9_10device_ptrItEEEESE_t11max_functorItEtEEDaPvRmT3_T4_T5_mT6_P12ihipStream_tbENKUlT_T0_E_clISt17integral_constantIbLb1EEST_IbLb0EEEEDaSP_SQ_EUlSP_E_NS1_11comp_targetILNS1_3genE10ELNS1_11target_archE1200ELNS1_3gpuE4ELNS1_3repE0EEENS1_30default_config_static_selectorELNS0_4arch9wavefront6targetE1EEEvT1_
	.globl	_ZN7rocprim17ROCPRIM_400000_NS6detail17trampoline_kernelINS0_14default_configENS1_20scan_config_selectorItEEZZNS1_9scan_implILNS1_25lookback_scan_determinismE0ELb0ELb0ES3_N6thrust23THRUST_200600_302600_NS6detail15normal_iteratorINS9_10device_ptrItEEEESE_t11max_functorItEtEEDaPvRmT3_T4_T5_mT6_P12ihipStream_tbENKUlT_T0_E_clISt17integral_constantIbLb1EEST_IbLb0EEEEDaSP_SQ_EUlSP_E_NS1_11comp_targetILNS1_3genE10ELNS1_11target_archE1200ELNS1_3gpuE4ELNS1_3repE0EEENS1_30default_config_static_selectorELNS0_4arch9wavefront6targetE1EEEvT1_
	.p2align	8
	.type	_ZN7rocprim17ROCPRIM_400000_NS6detail17trampoline_kernelINS0_14default_configENS1_20scan_config_selectorItEEZZNS1_9scan_implILNS1_25lookback_scan_determinismE0ELb0ELb0ES3_N6thrust23THRUST_200600_302600_NS6detail15normal_iteratorINS9_10device_ptrItEEEESE_t11max_functorItEtEEDaPvRmT3_T4_T5_mT6_P12ihipStream_tbENKUlT_T0_E_clISt17integral_constantIbLb1EEST_IbLb0EEEEDaSP_SQ_EUlSP_E_NS1_11comp_targetILNS1_3genE10ELNS1_11target_archE1200ELNS1_3gpuE4ELNS1_3repE0EEENS1_30default_config_static_selectorELNS0_4arch9wavefront6targetE1EEEvT1_,@function
_ZN7rocprim17ROCPRIM_400000_NS6detail17trampoline_kernelINS0_14default_configENS1_20scan_config_selectorItEEZZNS1_9scan_implILNS1_25lookback_scan_determinismE0ELb0ELb0ES3_N6thrust23THRUST_200600_302600_NS6detail15normal_iteratorINS9_10device_ptrItEEEESE_t11max_functorItEtEEDaPvRmT3_T4_T5_mT6_P12ihipStream_tbENKUlT_T0_E_clISt17integral_constantIbLb1EEST_IbLb0EEEEDaSP_SQ_EUlSP_E_NS1_11comp_targetILNS1_3genE10ELNS1_11target_archE1200ELNS1_3gpuE4ELNS1_3repE0EEENS1_30default_config_static_selectorELNS0_4arch9wavefront6targetE1EEEvT1_: ; @_ZN7rocprim17ROCPRIM_400000_NS6detail17trampoline_kernelINS0_14default_configENS1_20scan_config_selectorItEEZZNS1_9scan_implILNS1_25lookback_scan_determinismE0ELb0ELb0ES3_N6thrust23THRUST_200600_302600_NS6detail15normal_iteratorINS9_10device_ptrItEEEESE_t11max_functorItEtEEDaPvRmT3_T4_T5_mT6_P12ihipStream_tbENKUlT_T0_E_clISt17integral_constantIbLb1EEST_IbLb0EEEEDaSP_SQ_EUlSP_E_NS1_11comp_targetILNS1_3genE10ELNS1_11target_archE1200ELNS1_3gpuE4ELNS1_3repE0EEENS1_30default_config_static_selectorELNS0_4arch9wavefront6targetE1EEEvT1_
; %bb.0:
	.section	.rodata,"a",@progbits
	.p2align	6, 0x0
	.amdhsa_kernel _ZN7rocprim17ROCPRIM_400000_NS6detail17trampoline_kernelINS0_14default_configENS1_20scan_config_selectorItEEZZNS1_9scan_implILNS1_25lookback_scan_determinismE0ELb0ELb0ES3_N6thrust23THRUST_200600_302600_NS6detail15normal_iteratorINS9_10device_ptrItEEEESE_t11max_functorItEtEEDaPvRmT3_T4_T5_mT6_P12ihipStream_tbENKUlT_T0_E_clISt17integral_constantIbLb1EEST_IbLb0EEEEDaSP_SQ_EUlSP_E_NS1_11comp_targetILNS1_3genE10ELNS1_11target_archE1200ELNS1_3gpuE4ELNS1_3repE0EEENS1_30default_config_static_selectorELNS0_4arch9wavefront6targetE1EEEvT1_
		.amdhsa_group_segment_fixed_size 0
		.amdhsa_private_segment_fixed_size 0
		.amdhsa_kernarg_size 96
		.amdhsa_user_sgpr_count 6
		.amdhsa_user_sgpr_private_segment_buffer 1
		.amdhsa_user_sgpr_dispatch_ptr 0
		.amdhsa_user_sgpr_queue_ptr 0
		.amdhsa_user_sgpr_kernarg_segment_ptr 1
		.amdhsa_user_sgpr_dispatch_id 0
		.amdhsa_user_sgpr_flat_scratch_init 0
		.amdhsa_user_sgpr_kernarg_preload_length 0
		.amdhsa_user_sgpr_kernarg_preload_offset 0
		.amdhsa_user_sgpr_private_segment_size 0
		.amdhsa_uses_dynamic_stack 0
		.amdhsa_system_sgpr_private_segment_wavefront_offset 0
		.amdhsa_system_sgpr_workgroup_id_x 1
		.amdhsa_system_sgpr_workgroup_id_y 0
		.amdhsa_system_sgpr_workgroup_id_z 0
		.amdhsa_system_sgpr_workgroup_info 0
		.amdhsa_system_vgpr_workitem_id 0
		.amdhsa_next_free_vgpr 1
		.amdhsa_next_free_sgpr 0
		.amdhsa_accum_offset 4
		.amdhsa_reserve_vcc 0
		.amdhsa_reserve_flat_scratch 0
		.amdhsa_float_round_mode_32 0
		.amdhsa_float_round_mode_16_64 0
		.amdhsa_float_denorm_mode_32 3
		.amdhsa_float_denorm_mode_16_64 3
		.amdhsa_dx10_clamp 1
		.amdhsa_ieee_mode 1
		.amdhsa_fp16_overflow 0
		.amdhsa_tg_split 0
		.amdhsa_exception_fp_ieee_invalid_op 0
		.amdhsa_exception_fp_denorm_src 0
		.amdhsa_exception_fp_ieee_div_zero 0
		.amdhsa_exception_fp_ieee_overflow 0
		.amdhsa_exception_fp_ieee_underflow 0
		.amdhsa_exception_fp_ieee_inexact 0
		.amdhsa_exception_int_div_zero 0
	.end_amdhsa_kernel
	.section	.text._ZN7rocprim17ROCPRIM_400000_NS6detail17trampoline_kernelINS0_14default_configENS1_20scan_config_selectorItEEZZNS1_9scan_implILNS1_25lookback_scan_determinismE0ELb0ELb0ES3_N6thrust23THRUST_200600_302600_NS6detail15normal_iteratorINS9_10device_ptrItEEEESE_t11max_functorItEtEEDaPvRmT3_T4_T5_mT6_P12ihipStream_tbENKUlT_T0_E_clISt17integral_constantIbLb1EEST_IbLb0EEEEDaSP_SQ_EUlSP_E_NS1_11comp_targetILNS1_3genE10ELNS1_11target_archE1200ELNS1_3gpuE4ELNS1_3repE0EEENS1_30default_config_static_selectorELNS0_4arch9wavefront6targetE1EEEvT1_,"axG",@progbits,_ZN7rocprim17ROCPRIM_400000_NS6detail17trampoline_kernelINS0_14default_configENS1_20scan_config_selectorItEEZZNS1_9scan_implILNS1_25lookback_scan_determinismE0ELb0ELb0ES3_N6thrust23THRUST_200600_302600_NS6detail15normal_iteratorINS9_10device_ptrItEEEESE_t11max_functorItEtEEDaPvRmT3_T4_T5_mT6_P12ihipStream_tbENKUlT_T0_E_clISt17integral_constantIbLb1EEST_IbLb0EEEEDaSP_SQ_EUlSP_E_NS1_11comp_targetILNS1_3genE10ELNS1_11target_archE1200ELNS1_3gpuE4ELNS1_3repE0EEENS1_30default_config_static_selectorELNS0_4arch9wavefront6targetE1EEEvT1_,comdat
.Lfunc_end2455:
	.size	_ZN7rocprim17ROCPRIM_400000_NS6detail17trampoline_kernelINS0_14default_configENS1_20scan_config_selectorItEEZZNS1_9scan_implILNS1_25lookback_scan_determinismE0ELb0ELb0ES3_N6thrust23THRUST_200600_302600_NS6detail15normal_iteratorINS9_10device_ptrItEEEESE_t11max_functorItEtEEDaPvRmT3_T4_T5_mT6_P12ihipStream_tbENKUlT_T0_E_clISt17integral_constantIbLb1EEST_IbLb0EEEEDaSP_SQ_EUlSP_E_NS1_11comp_targetILNS1_3genE10ELNS1_11target_archE1200ELNS1_3gpuE4ELNS1_3repE0EEENS1_30default_config_static_selectorELNS0_4arch9wavefront6targetE1EEEvT1_, .Lfunc_end2455-_ZN7rocprim17ROCPRIM_400000_NS6detail17trampoline_kernelINS0_14default_configENS1_20scan_config_selectorItEEZZNS1_9scan_implILNS1_25lookback_scan_determinismE0ELb0ELb0ES3_N6thrust23THRUST_200600_302600_NS6detail15normal_iteratorINS9_10device_ptrItEEEESE_t11max_functorItEtEEDaPvRmT3_T4_T5_mT6_P12ihipStream_tbENKUlT_T0_E_clISt17integral_constantIbLb1EEST_IbLb0EEEEDaSP_SQ_EUlSP_E_NS1_11comp_targetILNS1_3genE10ELNS1_11target_archE1200ELNS1_3gpuE4ELNS1_3repE0EEENS1_30default_config_static_selectorELNS0_4arch9wavefront6targetE1EEEvT1_
                                        ; -- End function
	.section	.AMDGPU.csdata,"",@progbits
; Kernel info:
; codeLenInByte = 0
; NumSgprs: 4
; NumVgprs: 0
; NumAgprs: 0
; TotalNumVgprs: 0
; ScratchSize: 0
; MemoryBound: 0
; FloatMode: 240
; IeeeMode: 1
; LDSByteSize: 0 bytes/workgroup (compile time only)
; SGPRBlocks: 0
; VGPRBlocks: 0
; NumSGPRsForWavesPerEU: 4
; NumVGPRsForWavesPerEU: 1
; AccumOffset: 4
; Occupancy: 8
; WaveLimiterHint : 0
; COMPUTE_PGM_RSRC2:SCRATCH_EN: 0
; COMPUTE_PGM_RSRC2:USER_SGPR: 6
; COMPUTE_PGM_RSRC2:TRAP_HANDLER: 0
; COMPUTE_PGM_RSRC2:TGID_X_EN: 1
; COMPUTE_PGM_RSRC2:TGID_Y_EN: 0
; COMPUTE_PGM_RSRC2:TGID_Z_EN: 0
; COMPUTE_PGM_RSRC2:TIDIG_COMP_CNT: 0
; COMPUTE_PGM_RSRC3_GFX90A:ACCUM_OFFSET: 0
; COMPUTE_PGM_RSRC3_GFX90A:TG_SPLIT: 0
	.section	.text._ZN7rocprim17ROCPRIM_400000_NS6detail17trampoline_kernelINS0_14default_configENS1_20scan_config_selectorItEEZZNS1_9scan_implILNS1_25lookback_scan_determinismE0ELb0ELb0ES3_N6thrust23THRUST_200600_302600_NS6detail15normal_iteratorINS9_10device_ptrItEEEESE_t11max_functorItEtEEDaPvRmT3_T4_T5_mT6_P12ihipStream_tbENKUlT_T0_E_clISt17integral_constantIbLb1EEST_IbLb0EEEEDaSP_SQ_EUlSP_E_NS1_11comp_targetILNS1_3genE9ELNS1_11target_archE1100ELNS1_3gpuE3ELNS1_3repE0EEENS1_30default_config_static_selectorELNS0_4arch9wavefront6targetE1EEEvT1_,"axG",@progbits,_ZN7rocprim17ROCPRIM_400000_NS6detail17trampoline_kernelINS0_14default_configENS1_20scan_config_selectorItEEZZNS1_9scan_implILNS1_25lookback_scan_determinismE0ELb0ELb0ES3_N6thrust23THRUST_200600_302600_NS6detail15normal_iteratorINS9_10device_ptrItEEEESE_t11max_functorItEtEEDaPvRmT3_T4_T5_mT6_P12ihipStream_tbENKUlT_T0_E_clISt17integral_constantIbLb1EEST_IbLb0EEEEDaSP_SQ_EUlSP_E_NS1_11comp_targetILNS1_3genE9ELNS1_11target_archE1100ELNS1_3gpuE3ELNS1_3repE0EEENS1_30default_config_static_selectorELNS0_4arch9wavefront6targetE1EEEvT1_,comdat
	.protected	_ZN7rocprim17ROCPRIM_400000_NS6detail17trampoline_kernelINS0_14default_configENS1_20scan_config_selectorItEEZZNS1_9scan_implILNS1_25lookback_scan_determinismE0ELb0ELb0ES3_N6thrust23THRUST_200600_302600_NS6detail15normal_iteratorINS9_10device_ptrItEEEESE_t11max_functorItEtEEDaPvRmT3_T4_T5_mT6_P12ihipStream_tbENKUlT_T0_E_clISt17integral_constantIbLb1EEST_IbLb0EEEEDaSP_SQ_EUlSP_E_NS1_11comp_targetILNS1_3genE9ELNS1_11target_archE1100ELNS1_3gpuE3ELNS1_3repE0EEENS1_30default_config_static_selectorELNS0_4arch9wavefront6targetE1EEEvT1_ ; -- Begin function _ZN7rocprim17ROCPRIM_400000_NS6detail17trampoline_kernelINS0_14default_configENS1_20scan_config_selectorItEEZZNS1_9scan_implILNS1_25lookback_scan_determinismE0ELb0ELb0ES3_N6thrust23THRUST_200600_302600_NS6detail15normal_iteratorINS9_10device_ptrItEEEESE_t11max_functorItEtEEDaPvRmT3_T4_T5_mT6_P12ihipStream_tbENKUlT_T0_E_clISt17integral_constantIbLb1EEST_IbLb0EEEEDaSP_SQ_EUlSP_E_NS1_11comp_targetILNS1_3genE9ELNS1_11target_archE1100ELNS1_3gpuE3ELNS1_3repE0EEENS1_30default_config_static_selectorELNS0_4arch9wavefront6targetE1EEEvT1_
	.globl	_ZN7rocprim17ROCPRIM_400000_NS6detail17trampoline_kernelINS0_14default_configENS1_20scan_config_selectorItEEZZNS1_9scan_implILNS1_25lookback_scan_determinismE0ELb0ELb0ES3_N6thrust23THRUST_200600_302600_NS6detail15normal_iteratorINS9_10device_ptrItEEEESE_t11max_functorItEtEEDaPvRmT3_T4_T5_mT6_P12ihipStream_tbENKUlT_T0_E_clISt17integral_constantIbLb1EEST_IbLb0EEEEDaSP_SQ_EUlSP_E_NS1_11comp_targetILNS1_3genE9ELNS1_11target_archE1100ELNS1_3gpuE3ELNS1_3repE0EEENS1_30default_config_static_selectorELNS0_4arch9wavefront6targetE1EEEvT1_
	.p2align	8
	.type	_ZN7rocprim17ROCPRIM_400000_NS6detail17trampoline_kernelINS0_14default_configENS1_20scan_config_selectorItEEZZNS1_9scan_implILNS1_25lookback_scan_determinismE0ELb0ELb0ES3_N6thrust23THRUST_200600_302600_NS6detail15normal_iteratorINS9_10device_ptrItEEEESE_t11max_functorItEtEEDaPvRmT3_T4_T5_mT6_P12ihipStream_tbENKUlT_T0_E_clISt17integral_constantIbLb1EEST_IbLb0EEEEDaSP_SQ_EUlSP_E_NS1_11comp_targetILNS1_3genE9ELNS1_11target_archE1100ELNS1_3gpuE3ELNS1_3repE0EEENS1_30default_config_static_selectorELNS0_4arch9wavefront6targetE1EEEvT1_,@function
_ZN7rocprim17ROCPRIM_400000_NS6detail17trampoline_kernelINS0_14default_configENS1_20scan_config_selectorItEEZZNS1_9scan_implILNS1_25lookback_scan_determinismE0ELb0ELb0ES3_N6thrust23THRUST_200600_302600_NS6detail15normal_iteratorINS9_10device_ptrItEEEESE_t11max_functorItEtEEDaPvRmT3_T4_T5_mT6_P12ihipStream_tbENKUlT_T0_E_clISt17integral_constantIbLb1EEST_IbLb0EEEEDaSP_SQ_EUlSP_E_NS1_11comp_targetILNS1_3genE9ELNS1_11target_archE1100ELNS1_3gpuE3ELNS1_3repE0EEENS1_30default_config_static_selectorELNS0_4arch9wavefront6targetE1EEEvT1_: ; @_ZN7rocprim17ROCPRIM_400000_NS6detail17trampoline_kernelINS0_14default_configENS1_20scan_config_selectorItEEZZNS1_9scan_implILNS1_25lookback_scan_determinismE0ELb0ELb0ES3_N6thrust23THRUST_200600_302600_NS6detail15normal_iteratorINS9_10device_ptrItEEEESE_t11max_functorItEtEEDaPvRmT3_T4_T5_mT6_P12ihipStream_tbENKUlT_T0_E_clISt17integral_constantIbLb1EEST_IbLb0EEEEDaSP_SQ_EUlSP_E_NS1_11comp_targetILNS1_3genE9ELNS1_11target_archE1100ELNS1_3gpuE3ELNS1_3repE0EEENS1_30default_config_static_selectorELNS0_4arch9wavefront6targetE1EEEvT1_
; %bb.0:
	.section	.rodata,"a",@progbits
	.p2align	6, 0x0
	.amdhsa_kernel _ZN7rocprim17ROCPRIM_400000_NS6detail17trampoline_kernelINS0_14default_configENS1_20scan_config_selectorItEEZZNS1_9scan_implILNS1_25lookback_scan_determinismE0ELb0ELb0ES3_N6thrust23THRUST_200600_302600_NS6detail15normal_iteratorINS9_10device_ptrItEEEESE_t11max_functorItEtEEDaPvRmT3_T4_T5_mT6_P12ihipStream_tbENKUlT_T0_E_clISt17integral_constantIbLb1EEST_IbLb0EEEEDaSP_SQ_EUlSP_E_NS1_11comp_targetILNS1_3genE9ELNS1_11target_archE1100ELNS1_3gpuE3ELNS1_3repE0EEENS1_30default_config_static_selectorELNS0_4arch9wavefront6targetE1EEEvT1_
		.amdhsa_group_segment_fixed_size 0
		.amdhsa_private_segment_fixed_size 0
		.amdhsa_kernarg_size 96
		.amdhsa_user_sgpr_count 6
		.amdhsa_user_sgpr_private_segment_buffer 1
		.amdhsa_user_sgpr_dispatch_ptr 0
		.amdhsa_user_sgpr_queue_ptr 0
		.amdhsa_user_sgpr_kernarg_segment_ptr 1
		.amdhsa_user_sgpr_dispatch_id 0
		.amdhsa_user_sgpr_flat_scratch_init 0
		.amdhsa_user_sgpr_kernarg_preload_length 0
		.amdhsa_user_sgpr_kernarg_preload_offset 0
		.amdhsa_user_sgpr_private_segment_size 0
		.amdhsa_uses_dynamic_stack 0
		.amdhsa_system_sgpr_private_segment_wavefront_offset 0
		.amdhsa_system_sgpr_workgroup_id_x 1
		.amdhsa_system_sgpr_workgroup_id_y 0
		.amdhsa_system_sgpr_workgroup_id_z 0
		.amdhsa_system_sgpr_workgroup_info 0
		.amdhsa_system_vgpr_workitem_id 0
		.amdhsa_next_free_vgpr 1
		.amdhsa_next_free_sgpr 0
		.amdhsa_accum_offset 4
		.amdhsa_reserve_vcc 0
		.amdhsa_reserve_flat_scratch 0
		.amdhsa_float_round_mode_32 0
		.amdhsa_float_round_mode_16_64 0
		.amdhsa_float_denorm_mode_32 3
		.amdhsa_float_denorm_mode_16_64 3
		.amdhsa_dx10_clamp 1
		.amdhsa_ieee_mode 1
		.amdhsa_fp16_overflow 0
		.amdhsa_tg_split 0
		.amdhsa_exception_fp_ieee_invalid_op 0
		.amdhsa_exception_fp_denorm_src 0
		.amdhsa_exception_fp_ieee_div_zero 0
		.amdhsa_exception_fp_ieee_overflow 0
		.amdhsa_exception_fp_ieee_underflow 0
		.amdhsa_exception_fp_ieee_inexact 0
		.amdhsa_exception_int_div_zero 0
	.end_amdhsa_kernel
	.section	.text._ZN7rocprim17ROCPRIM_400000_NS6detail17trampoline_kernelINS0_14default_configENS1_20scan_config_selectorItEEZZNS1_9scan_implILNS1_25lookback_scan_determinismE0ELb0ELb0ES3_N6thrust23THRUST_200600_302600_NS6detail15normal_iteratorINS9_10device_ptrItEEEESE_t11max_functorItEtEEDaPvRmT3_T4_T5_mT6_P12ihipStream_tbENKUlT_T0_E_clISt17integral_constantIbLb1EEST_IbLb0EEEEDaSP_SQ_EUlSP_E_NS1_11comp_targetILNS1_3genE9ELNS1_11target_archE1100ELNS1_3gpuE3ELNS1_3repE0EEENS1_30default_config_static_selectorELNS0_4arch9wavefront6targetE1EEEvT1_,"axG",@progbits,_ZN7rocprim17ROCPRIM_400000_NS6detail17trampoline_kernelINS0_14default_configENS1_20scan_config_selectorItEEZZNS1_9scan_implILNS1_25lookback_scan_determinismE0ELb0ELb0ES3_N6thrust23THRUST_200600_302600_NS6detail15normal_iteratorINS9_10device_ptrItEEEESE_t11max_functorItEtEEDaPvRmT3_T4_T5_mT6_P12ihipStream_tbENKUlT_T0_E_clISt17integral_constantIbLb1EEST_IbLb0EEEEDaSP_SQ_EUlSP_E_NS1_11comp_targetILNS1_3genE9ELNS1_11target_archE1100ELNS1_3gpuE3ELNS1_3repE0EEENS1_30default_config_static_selectorELNS0_4arch9wavefront6targetE1EEEvT1_,comdat
.Lfunc_end2456:
	.size	_ZN7rocprim17ROCPRIM_400000_NS6detail17trampoline_kernelINS0_14default_configENS1_20scan_config_selectorItEEZZNS1_9scan_implILNS1_25lookback_scan_determinismE0ELb0ELb0ES3_N6thrust23THRUST_200600_302600_NS6detail15normal_iteratorINS9_10device_ptrItEEEESE_t11max_functorItEtEEDaPvRmT3_T4_T5_mT6_P12ihipStream_tbENKUlT_T0_E_clISt17integral_constantIbLb1EEST_IbLb0EEEEDaSP_SQ_EUlSP_E_NS1_11comp_targetILNS1_3genE9ELNS1_11target_archE1100ELNS1_3gpuE3ELNS1_3repE0EEENS1_30default_config_static_selectorELNS0_4arch9wavefront6targetE1EEEvT1_, .Lfunc_end2456-_ZN7rocprim17ROCPRIM_400000_NS6detail17trampoline_kernelINS0_14default_configENS1_20scan_config_selectorItEEZZNS1_9scan_implILNS1_25lookback_scan_determinismE0ELb0ELb0ES3_N6thrust23THRUST_200600_302600_NS6detail15normal_iteratorINS9_10device_ptrItEEEESE_t11max_functorItEtEEDaPvRmT3_T4_T5_mT6_P12ihipStream_tbENKUlT_T0_E_clISt17integral_constantIbLb1EEST_IbLb0EEEEDaSP_SQ_EUlSP_E_NS1_11comp_targetILNS1_3genE9ELNS1_11target_archE1100ELNS1_3gpuE3ELNS1_3repE0EEENS1_30default_config_static_selectorELNS0_4arch9wavefront6targetE1EEEvT1_
                                        ; -- End function
	.section	.AMDGPU.csdata,"",@progbits
; Kernel info:
; codeLenInByte = 0
; NumSgprs: 4
; NumVgprs: 0
; NumAgprs: 0
; TotalNumVgprs: 0
; ScratchSize: 0
; MemoryBound: 0
; FloatMode: 240
; IeeeMode: 1
; LDSByteSize: 0 bytes/workgroup (compile time only)
; SGPRBlocks: 0
; VGPRBlocks: 0
; NumSGPRsForWavesPerEU: 4
; NumVGPRsForWavesPerEU: 1
; AccumOffset: 4
; Occupancy: 8
; WaveLimiterHint : 0
; COMPUTE_PGM_RSRC2:SCRATCH_EN: 0
; COMPUTE_PGM_RSRC2:USER_SGPR: 6
; COMPUTE_PGM_RSRC2:TRAP_HANDLER: 0
; COMPUTE_PGM_RSRC2:TGID_X_EN: 1
; COMPUTE_PGM_RSRC2:TGID_Y_EN: 0
; COMPUTE_PGM_RSRC2:TGID_Z_EN: 0
; COMPUTE_PGM_RSRC2:TIDIG_COMP_CNT: 0
; COMPUTE_PGM_RSRC3_GFX90A:ACCUM_OFFSET: 0
; COMPUTE_PGM_RSRC3_GFX90A:TG_SPLIT: 0
	.section	.text._ZN7rocprim17ROCPRIM_400000_NS6detail17trampoline_kernelINS0_14default_configENS1_20scan_config_selectorItEEZZNS1_9scan_implILNS1_25lookback_scan_determinismE0ELb0ELb0ES3_N6thrust23THRUST_200600_302600_NS6detail15normal_iteratorINS9_10device_ptrItEEEESE_t11max_functorItEtEEDaPvRmT3_T4_T5_mT6_P12ihipStream_tbENKUlT_T0_E_clISt17integral_constantIbLb1EEST_IbLb0EEEEDaSP_SQ_EUlSP_E_NS1_11comp_targetILNS1_3genE8ELNS1_11target_archE1030ELNS1_3gpuE2ELNS1_3repE0EEENS1_30default_config_static_selectorELNS0_4arch9wavefront6targetE1EEEvT1_,"axG",@progbits,_ZN7rocprim17ROCPRIM_400000_NS6detail17trampoline_kernelINS0_14default_configENS1_20scan_config_selectorItEEZZNS1_9scan_implILNS1_25lookback_scan_determinismE0ELb0ELb0ES3_N6thrust23THRUST_200600_302600_NS6detail15normal_iteratorINS9_10device_ptrItEEEESE_t11max_functorItEtEEDaPvRmT3_T4_T5_mT6_P12ihipStream_tbENKUlT_T0_E_clISt17integral_constantIbLb1EEST_IbLb0EEEEDaSP_SQ_EUlSP_E_NS1_11comp_targetILNS1_3genE8ELNS1_11target_archE1030ELNS1_3gpuE2ELNS1_3repE0EEENS1_30default_config_static_selectorELNS0_4arch9wavefront6targetE1EEEvT1_,comdat
	.protected	_ZN7rocprim17ROCPRIM_400000_NS6detail17trampoline_kernelINS0_14default_configENS1_20scan_config_selectorItEEZZNS1_9scan_implILNS1_25lookback_scan_determinismE0ELb0ELb0ES3_N6thrust23THRUST_200600_302600_NS6detail15normal_iteratorINS9_10device_ptrItEEEESE_t11max_functorItEtEEDaPvRmT3_T4_T5_mT6_P12ihipStream_tbENKUlT_T0_E_clISt17integral_constantIbLb1EEST_IbLb0EEEEDaSP_SQ_EUlSP_E_NS1_11comp_targetILNS1_3genE8ELNS1_11target_archE1030ELNS1_3gpuE2ELNS1_3repE0EEENS1_30default_config_static_selectorELNS0_4arch9wavefront6targetE1EEEvT1_ ; -- Begin function _ZN7rocprim17ROCPRIM_400000_NS6detail17trampoline_kernelINS0_14default_configENS1_20scan_config_selectorItEEZZNS1_9scan_implILNS1_25lookback_scan_determinismE0ELb0ELb0ES3_N6thrust23THRUST_200600_302600_NS6detail15normal_iteratorINS9_10device_ptrItEEEESE_t11max_functorItEtEEDaPvRmT3_T4_T5_mT6_P12ihipStream_tbENKUlT_T0_E_clISt17integral_constantIbLb1EEST_IbLb0EEEEDaSP_SQ_EUlSP_E_NS1_11comp_targetILNS1_3genE8ELNS1_11target_archE1030ELNS1_3gpuE2ELNS1_3repE0EEENS1_30default_config_static_selectorELNS0_4arch9wavefront6targetE1EEEvT1_
	.globl	_ZN7rocprim17ROCPRIM_400000_NS6detail17trampoline_kernelINS0_14default_configENS1_20scan_config_selectorItEEZZNS1_9scan_implILNS1_25lookback_scan_determinismE0ELb0ELb0ES3_N6thrust23THRUST_200600_302600_NS6detail15normal_iteratorINS9_10device_ptrItEEEESE_t11max_functorItEtEEDaPvRmT3_T4_T5_mT6_P12ihipStream_tbENKUlT_T0_E_clISt17integral_constantIbLb1EEST_IbLb0EEEEDaSP_SQ_EUlSP_E_NS1_11comp_targetILNS1_3genE8ELNS1_11target_archE1030ELNS1_3gpuE2ELNS1_3repE0EEENS1_30default_config_static_selectorELNS0_4arch9wavefront6targetE1EEEvT1_
	.p2align	8
	.type	_ZN7rocprim17ROCPRIM_400000_NS6detail17trampoline_kernelINS0_14default_configENS1_20scan_config_selectorItEEZZNS1_9scan_implILNS1_25lookback_scan_determinismE0ELb0ELb0ES3_N6thrust23THRUST_200600_302600_NS6detail15normal_iteratorINS9_10device_ptrItEEEESE_t11max_functorItEtEEDaPvRmT3_T4_T5_mT6_P12ihipStream_tbENKUlT_T0_E_clISt17integral_constantIbLb1EEST_IbLb0EEEEDaSP_SQ_EUlSP_E_NS1_11comp_targetILNS1_3genE8ELNS1_11target_archE1030ELNS1_3gpuE2ELNS1_3repE0EEENS1_30default_config_static_selectorELNS0_4arch9wavefront6targetE1EEEvT1_,@function
_ZN7rocprim17ROCPRIM_400000_NS6detail17trampoline_kernelINS0_14default_configENS1_20scan_config_selectorItEEZZNS1_9scan_implILNS1_25lookback_scan_determinismE0ELb0ELb0ES3_N6thrust23THRUST_200600_302600_NS6detail15normal_iteratorINS9_10device_ptrItEEEESE_t11max_functorItEtEEDaPvRmT3_T4_T5_mT6_P12ihipStream_tbENKUlT_T0_E_clISt17integral_constantIbLb1EEST_IbLb0EEEEDaSP_SQ_EUlSP_E_NS1_11comp_targetILNS1_3genE8ELNS1_11target_archE1030ELNS1_3gpuE2ELNS1_3repE0EEENS1_30default_config_static_selectorELNS0_4arch9wavefront6targetE1EEEvT1_: ; @_ZN7rocprim17ROCPRIM_400000_NS6detail17trampoline_kernelINS0_14default_configENS1_20scan_config_selectorItEEZZNS1_9scan_implILNS1_25lookback_scan_determinismE0ELb0ELb0ES3_N6thrust23THRUST_200600_302600_NS6detail15normal_iteratorINS9_10device_ptrItEEEESE_t11max_functorItEtEEDaPvRmT3_T4_T5_mT6_P12ihipStream_tbENKUlT_T0_E_clISt17integral_constantIbLb1EEST_IbLb0EEEEDaSP_SQ_EUlSP_E_NS1_11comp_targetILNS1_3genE8ELNS1_11target_archE1030ELNS1_3gpuE2ELNS1_3repE0EEENS1_30default_config_static_selectorELNS0_4arch9wavefront6targetE1EEEvT1_
; %bb.0:
	.section	.rodata,"a",@progbits
	.p2align	6, 0x0
	.amdhsa_kernel _ZN7rocprim17ROCPRIM_400000_NS6detail17trampoline_kernelINS0_14default_configENS1_20scan_config_selectorItEEZZNS1_9scan_implILNS1_25lookback_scan_determinismE0ELb0ELb0ES3_N6thrust23THRUST_200600_302600_NS6detail15normal_iteratorINS9_10device_ptrItEEEESE_t11max_functorItEtEEDaPvRmT3_T4_T5_mT6_P12ihipStream_tbENKUlT_T0_E_clISt17integral_constantIbLb1EEST_IbLb0EEEEDaSP_SQ_EUlSP_E_NS1_11comp_targetILNS1_3genE8ELNS1_11target_archE1030ELNS1_3gpuE2ELNS1_3repE0EEENS1_30default_config_static_selectorELNS0_4arch9wavefront6targetE1EEEvT1_
		.amdhsa_group_segment_fixed_size 0
		.amdhsa_private_segment_fixed_size 0
		.amdhsa_kernarg_size 96
		.amdhsa_user_sgpr_count 6
		.amdhsa_user_sgpr_private_segment_buffer 1
		.amdhsa_user_sgpr_dispatch_ptr 0
		.amdhsa_user_sgpr_queue_ptr 0
		.amdhsa_user_sgpr_kernarg_segment_ptr 1
		.amdhsa_user_sgpr_dispatch_id 0
		.amdhsa_user_sgpr_flat_scratch_init 0
		.amdhsa_user_sgpr_kernarg_preload_length 0
		.amdhsa_user_sgpr_kernarg_preload_offset 0
		.amdhsa_user_sgpr_private_segment_size 0
		.amdhsa_uses_dynamic_stack 0
		.amdhsa_system_sgpr_private_segment_wavefront_offset 0
		.amdhsa_system_sgpr_workgroup_id_x 1
		.amdhsa_system_sgpr_workgroup_id_y 0
		.amdhsa_system_sgpr_workgroup_id_z 0
		.amdhsa_system_sgpr_workgroup_info 0
		.amdhsa_system_vgpr_workitem_id 0
		.amdhsa_next_free_vgpr 1
		.amdhsa_next_free_sgpr 0
		.amdhsa_accum_offset 4
		.amdhsa_reserve_vcc 0
		.amdhsa_reserve_flat_scratch 0
		.amdhsa_float_round_mode_32 0
		.amdhsa_float_round_mode_16_64 0
		.amdhsa_float_denorm_mode_32 3
		.amdhsa_float_denorm_mode_16_64 3
		.amdhsa_dx10_clamp 1
		.amdhsa_ieee_mode 1
		.amdhsa_fp16_overflow 0
		.amdhsa_tg_split 0
		.amdhsa_exception_fp_ieee_invalid_op 0
		.amdhsa_exception_fp_denorm_src 0
		.amdhsa_exception_fp_ieee_div_zero 0
		.amdhsa_exception_fp_ieee_overflow 0
		.amdhsa_exception_fp_ieee_underflow 0
		.amdhsa_exception_fp_ieee_inexact 0
		.amdhsa_exception_int_div_zero 0
	.end_amdhsa_kernel
	.section	.text._ZN7rocprim17ROCPRIM_400000_NS6detail17trampoline_kernelINS0_14default_configENS1_20scan_config_selectorItEEZZNS1_9scan_implILNS1_25lookback_scan_determinismE0ELb0ELb0ES3_N6thrust23THRUST_200600_302600_NS6detail15normal_iteratorINS9_10device_ptrItEEEESE_t11max_functorItEtEEDaPvRmT3_T4_T5_mT6_P12ihipStream_tbENKUlT_T0_E_clISt17integral_constantIbLb1EEST_IbLb0EEEEDaSP_SQ_EUlSP_E_NS1_11comp_targetILNS1_3genE8ELNS1_11target_archE1030ELNS1_3gpuE2ELNS1_3repE0EEENS1_30default_config_static_selectorELNS0_4arch9wavefront6targetE1EEEvT1_,"axG",@progbits,_ZN7rocprim17ROCPRIM_400000_NS6detail17trampoline_kernelINS0_14default_configENS1_20scan_config_selectorItEEZZNS1_9scan_implILNS1_25lookback_scan_determinismE0ELb0ELb0ES3_N6thrust23THRUST_200600_302600_NS6detail15normal_iteratorINS9_10device_ptrItEEEESE_t11max_functorItEtEEDaPvRmT3_T4_T5_mT6_P12ihipStream_tbENKUlT_T0_E_clISt17integral_constantIbLb1EEST_IbLb0EEEEDaSP_SQ_EUlSP_E_NS1_11comp_targetILNS1_3genE8ELNS1_11target_archE1030ELNS1_3gpuE2ELNS1_3repE0EEENS1_30default_config_static_selectorELNS0_4arch9wavefront6targetE1EEEvT1_,comdat
.Lfunc_end2457:
	.size	_ZN7rocprim17ROCPRIM_400000_NS6detail17trampoline_kernelINS0_14default_configENS1_20scan_config_selectorItEEZZNS1_9scan_implILNS1_25lookback_scan_determinismE0ELb0ELb0ES3_N6thrust23THRUST_200600_302600_NS6detail15normal_iteratorINS9_10device_ptrItEEEESE_t11max_functorItEtEEDaPvRmT3_T4_T5_mT6_P12ihipStream_tbENKUlT_T0_E_clISt17integral_constantIbLb1EEST_IbLb0EEEEDaSP_SQ_EUlSP_E_NS1_11comp_targetILNS1_3genE8ELNS1_11target_archE1030ELNS1_3gpuE2ELNS1_3repE0EEENS1_30default_config_static_selectorELNS0_4arch9wavefront6targetE1EEEvT1_, .Lfunc_end2457-_ZN7rocprim17ROCPRIM_400000_NS6detail17trampoline_kernelINS0_14default_configENS1_20scan_config_selectorItEEZZNS1_9scan_implILNS1_25lookback_scan_determinismE0ELb0ELb0ES3_N6thrust23THRUST_200600_302600_NS6detail15normal_iteratorINS9_10device_ptrItEEEESE_t11max_functorItEtEEDaPvRmT3_T4_T5_mT6_P12ihipStream_tbENKUlT_T0_E_clISt17integral_constantIbLb1EEST_IbLb0EEEEDaSP_SQ_EUlSP_E_NS1_11comp_targetILNS1_3genE8ELNS1_11target_archE1030ELNS1_3gpuE2ELNS1_3repE0EEENS1_30default_config_static_selectorELNS0_4arch9wavefront6targetE1EEEvT1_
                                        ; -- End function
	.section	.AMDGPU.csdata,"",@progbits
; Kernel info:
; codeLenInByte = 0
; NumSgprs: 4
; NumVgprs: 0
; NumAgprs: 0
; TotalNumVgprs: 0
; ScratchSize: 0
; MemoryBound: 0
; FloatMode: 240
; IeeeMode: 1
; LDSByteSize: 0 bytes/workgroup (compile time only)
; SGPRBlocks: 0
; VGPRBlocks: 0
; NumSGPRsForWavesPerEU: 4
; NumVGPRsForWavesPerEU: 1
; AccumOffset: 4
; Occupancy: 8
; WaveLimiterHint : 0
; COMPUTE_PGM_RSRC2:SCRATCH_EN: 0
; COMPUTE_PGM_RSRC2:USER_SGPR: 6
; COMPUTE_PGM_RSRC2:TRAP_HANDLER: 0
; COMPUTE_PGM_RSRC2:TGID_X_EN: 1
; COMPUTE_PGM_RSRC2:TGID_Y_EN: 0
; COMPUTE_PGM_RSRC2:TGID_Z_EN: 0
; COMPUTE_PGM_RSRC2:TIDIG_COMP_CNT: 0
; COMPUTE_PGM_RSRC3_GFX90A:ACCUM_OFFSET: 0
; COMPUTE_PGM_RSRC3_GFX90A:TG_SPLIT: 0
	.section	.text._ZN7rocprim17ROCPRIM_400000_NS6detail17trampoline_kernelINS0_14default_configENS1_20scan_config_selectorItEEZZNS1_9scan_implILNS1_25lookback_scan_determinismE0ELb0ELb0ES3_N6thrust23THRUST_200600_302600_NS6detail15normal_iteratorINS9_10device_ptrItEEEESE_t11max_functorItEtEEDaPvRmT3_T4_T5_mT6_P12ihipStream_tbENKUlT_T0_E_clISt17integral_constantIbLb1EEST_IbLb0EEEEDaSP_SQ_EUlSP_E0_NS1_11comp_targetILNS1_3genE0ELNS1_11target_archE4294967295ELNS1_3gpuE0ELNS1_3repE0EEENS1_30default_config_static_selectorELNS0_4arch9wavefront6targetE1EEEvT1_,"axG",@progbits,_ZN7rocprim17ROCPRIM_400000_NS6detail17trampoline_kernelINS0_14default_configENS1_20scan_config_selectorItEEZZNS1_9scan_implILNS1_25lookback_scan_determinismE0ELb0ELb0ES3_N6thrust23THRUST_200600_302600_NS6detail15normal_iteratorINS9_10device_ptrItEEEESE_t11max_functorItEtEEDaPvRmT3_T4_T5_mT6_P12ihipStream_tbENKUlT_T0_E_clISt17integral_constantIbLb1EEST_IbLb0EEEEDaSP_SQ_EUlSP_E0_NS1_11comp_targetILNS1_3genE0ELNS1_11target_archE4294967295ELNS1_3gpuE0ELNS1_3repE0EEENS1_30default_config_static_selectorELNS0_4arch9wavefront6targetE1EEEvT1_,comdat
	.protected	_ZN7rocprim17ROCPRIM_400000_NS6detail17trampoline_kernelINS0_14default_configENS1_20scan_config_selectorItEEZZNS1_9scan_implILNS1_25lookback_scan_determinismE0ELb0ELb0ES3_N6thrust23THRUST_200600_302600_NS6detail15normal_iteratorINS9_10device_ptrItEEEESE_t11max_functorItEtEEDaPvRmT3_T4_T5_mT6_P12ihipStream_tbENKUlT_T0_E_clISt17integral_constantIbLb1EEST_IbLb0EEEEDaSP_SQ_EUlSP_E0_NS1_11comp_targetILNS1_3genE0ELNS1_11target_archE4294967295ELNS1_3gpuE0ELNS1_3repE0EEENS1_30default_config_static_selectorELNS0_4arch9wavefront6targetE1EEEvT1_ ; -- Begin function _ZN7rocprim17ROCPRIM_400000_NS6detail17trampoline_kernelINS0_14default_configENS1_20scan_config_selectorItEEZZNS1_9scan_implILNS1_25lookback_scan_determinismE0ELb0ELb0ES3_N6thrust23THRUST_200600_302600_NS6detail15normal_iteratorINS9_10device_ptrItEEEESE_t11max_functorItEtEEDaPvRmT3_T4_T5_mT6_P12ihipStream_tbENKUlT_T0_E_clISt17integral_constantIbLb1EEST_IbLb0EEEEDaSP_SQ_EUlSP_E0_NS1_11comp_targetILNS1_3genE0ELNS1_11target_archE4294967295ELNS1_3gpuE0ELNS1_3repE0EEENS1_30default_config_static_selectorELNS0_4arch9wavefront6targetE1EEEvT1_
	.globl	_ZN7rocprim17ROCPRIM_400000_NS6detail17trampoline_kernelINS0_14default_configENS1_20scan_config_selectorItEEZZNS1_9scan_implILNS1_25lookback_scan_determinismE0ELb0ELb0ES3_N6thrust23THRUST_200600_302600_NS6detail15normal_iteratorINS9_10device_ptrItEEEESE_t11max_functorItEtEEDaPvRmT3_T4_T5_mT6_P12ihipStream_tbENKUlT_T0_E_clISt17integral_constantIbLb1EEST_IbLb0EEEEDaSP_SQ_EUlSP_E0_NS1_11comp_targetILNS1_3genE0ELNS1_11target_archE4294967295ELNS1_3gpuE0ELNS1_3repE0EEENS1_30default_config_static_selectorELNS0_4arch9wavefront6targetE1EEEvT1_
	.p2align	8
	.type	_ZN7rocprim17ROCPRIM_400000_NS6detail17trampoline_kernelINS0_14default_configENS1_20scan_config_selectorItEEZZNS1_9scan_implILNS1_25lookback_scan_determinismE0ELb0ELb0ES3_N6thrust23THRUST_200600_302600_NS6detail15normal_iteratorINS9_10device_ptrItEEEESE_t11max_functorItEtEEDaPvRmT3_T4_T5_mT6_P12ihipStream_tbENKUlT_T0_E_clISt17integral_constantIbLb1EEST_IbLb0EEEEDaSP_SQ_EUlSP_E0_NS1_11comp_targetILNS1_3genE0ELNS1_11target_archE4294967295ELNS1_3gpuE0ELNS1_3repE0EEENS1_30default_config_static_selectorELNS0_4arch9wavefront6targetE1EEEvT1_,@function
_ZN7rocprim17ROCPRIM_400000_NS6detail17trampoline_kernelINS0_14default_configENS1_20scan_config_selectorItEEZZNS1_9scan_implILNS1_25lookback_scan_determinismE0ELb0ELb0ES3_N6thrust23THRUST_200600_302600_NS6detail15normal_iteratorINS9_10device_ptrItEEEESE_t11max_functorItEtEEDaPvRmT3_T4_T5_mT6_P12ihipStream_tbENKUlT_T0_E_clISt17integral_constantIbLb1EEST_IbLb0EEEEDaSP_SQ_EUlSP_E0_NS1_11comp_targetILNS1_3genE0ELNS1_11target_archE4294967295ELNS1_3gpuE0ELNS1_3repE0EEENS1_30default_config_static_selectorELNS0_4arch9wavefront6targetE1EEEvT1_: ; @_ZN7rocprim17ROCPRIM_400000_NS6detail17trampoline_kernelINS0_14default_configENS1_20scan_config_selectorItEEZZNS1_9scan_implILNS1_25lookback_scan_determinismE0ELb0ELb0ES3_N6thrust23THRUST_200600_302600_NS6detail15normal_iteratorINS9_10device_ptrItEEEESE_t11max_functorItEtEEDaPvRmT3_T4_T5_mT6_P12ihipStream_tbENKUlT_T0_E_clISt17integral_constantIbLb1EEST_IbLb0EEEEDaSP_SQ_EUlSP_E0_NS1_11comp_targetILNS1_3genE0ELNS1_11target_archE4294967295ELNS1_3gpuE0ELNS1_3repE0EEENS1_30default_config_static_selectorELNS0_4arch9wavefront6targetE1EEEvT1_
; %bb.0:
	.section	.rodata,"a",@progbits
	.p2align	6, 0x0
	.amdhsa_kernel _ZN7rocprim17ROCPRIM_400000_NS6detail17trampoline_kernelINS0_14default_configENS1_20scan_config_selectorItEEZZNS1_9scan_implILNS1_25lookback_scan_determinismE0ELb0ELb0ES3_N6thrust23THRUST_200600_302600_NS6detail15normal_iteratorINS9_10device_ptrItEEEESE_t11max_functorItEtEEDaPvRmT3_T4_T5_mT6_P12ihipStream_tbENKUlT_T0_E_clISt17integral_constantIbLb1EEST_IbLb0EEEEDaSP_SQ_EUlSP_E0_NS1_11comp_targetILNS1_3genE0ELNS1_11target_archE4294967295ELNS1_3gpuE0ELNS1_3repE0EEENS1_30default_config_static_selectorELNS0_4arch9wavefront6targetE1EEEvT1_
		.amdhsa_group_segment_fixed_size 0
		.amdhsa_private_segment_fixed_size 0
		.amdhsa_kernarg_size 32
		.amdhsa_user_sgpr_count 6
		.amdhsa_user_sgpr_private_segment_buffer 1
		.amdhsa_user_sgpr_dispatch_ptr 0
		.amdhsa_user_sgpr_queue_ptr 0
		.amdhsa_user_sgpr_kernarg_segment_ptr 1
		.amdhsa_user_sgpr_dispatch_id 0
		.amdhsa_user_sgpr_flat_scratch_init 0
		.amdhsa_user_sgpr_kernarg_preload_length 0
		.amdhsa_user_sgpr_kernarg_preload_offset 0
		.amdhsa_user_sgpr_private_segment_size 0
		.amdhsa_uses_dynamic_stack 0
		.amdhsa_system_sgpr_private_segment_wavefront_offset 0
		.amdhsa_system_sgpr_workgroup_id_x 1
		.amdhsa_system_sgpr_workgroup_id_y 0
		.amdhsa_system_sgpr_workgroup_id_z 0
		.amdhsa_system_sgpr_workgroup_info 0
		.amdhsa_system_vgpr_workitem_id 0
		.amdhsa_next_free_vgpr 1
		.amdhsa_next_free_sgpr 0
		.amdhsa_accum_offset 4
		.amdhsa_reserve_vcc 0
		.amdhsa_reserve_flat_scratch 0
		.amdhsa_float_round_mode_32 0
		.amdhsa_float_round_mode_16_64 0
		.amdhsa_float_denorm_mode_32 3
		.amdhsa_float_denorm_mode_16_64 3
		.amdhsa_dx10_clamp 1
		.amdhsa_ieee_mode 1
		.amdhsa_fp16_overflow 0
		.amdhsa_tg_split 0
		.amdhsa_exception_fp_ieee_invalid_op 0
		.amdhsa_exception_fp_denorm_src 0
		.amdhsa_exception_fp_ieee_div_zero 0
		.amdhsa_exception_fp_ieee_overflow 0
		.amdhsa_exception_fp_ieee_underflow 0
		.amdhsa_exception_fp_ieee_inexact 0
		.amdhsa_exception_int_div_zero 0
	.end_amdhsa_kernel
	.section	.text._ZN7rocprim17ROCPRIM_400000_NS6detail17trampoline_kernelINS0_14default_configENS1_20scan_config_selectorItEEZZNS1_9scan_implILNS1_25lookback_scan_determinismE0ELb0ELb0ES3_N6thrust23THRUST_200600_302600_NS6detail15normal_iteratorINS9_10device_ptrItEEEESE_t11max_functorItEtEEDaPvRmT3_T4_T5_mT6_P12ihipStream_tbENKUlT_T0_E_clISt17integral_constantIbLb1EEST_IbLb0EEEEDaSP_SQ_EUlSP_E0_NS1_11comp_targetILNS1_3genE0ELNS1_11target_archE4294967295ELNS1_3gpuE0ELNS1_3repE0EEENS1_30default_config_static_selectorELNS0_4arch9wavefront6targetE1EEEvT1_,"axG",@progbits,_ZN7rocprim17ROCPRIM_400000_NS6detail17trampoline_kernelINS0_14default_configENS1_20scan_config_selectorItEEZZNS1_9scan_implILNS1_25lookback_scan_determinismE0ELb0ELb0ES3_N6thrust23THRUST_200600_302600_NS6detail15normal_iteratorINS9_10device_ptrItEEEESE_t11max_functorItEtEEDaPvRmT3_T4_T5_mT6_P12ihipStream_tbENKUlT_T0_E_clISt17integral_constantIbLb1EEST_IbLb0EEEEDaSP_SQ_EUlSP_E0_NS1_11comp_targetILNS1_3genE0ELNS1_11target_archE4294967295ELNS1_3gpuE0ELNS1_3repE0EEENS1_30default_config_static_selectorELNS0_4arch9wavefront6targetE1EEEvT1_,comdat
.Lfunc_end2458:
	.size	_ZN7rocprim17ROCPRIM_400000_NS6detail17trampoline_kernelINS0_14default_configENS1_20scan_config_selectorItEEZZNS1_9scan_implILNS1_25lookback_scan_determinismE0ELb0ELb0ES3_N6thrust23THRUST_200600_302600_NS6detail15normal_iteratorINS9_10device_ptrItEEEESE_t11max_functorItEtEEDaPvRmT3_T4_T5_mT6_P12ihipStream_tbENKUlT_T0_E_clISt17integral_constantIbLb1EEST_IbLb0EEEEDaSP_SQ_EUlSP_E0_NS1_11comp_targetILNS1_3genE0ELNS1_11target_archE4294967295ELNS1_3gpuE0ELNS1_3repE0EEENS1_30default_config_static_selectorELNS0_4arch9wavefront6targetE1EEEvT1_, .Lfunc_end2458-_ZN7rocprim17ROCPRIM_400000_NS6detail17trampoline_kernelINS0_14default_configENS1_20scan_config_selectorItEEZZNS1_9scan_implILNS1_25lookback_scan_determinismE0ELb0ELb0ES3_N6thrust23THRUST_200600_302600_NS6detail15normal_iteratorINS9_10device_ptrItEEEESE_t11max_functorItEtEEDaPvRmT3_T4_T5_mT6_P12ihipStream_tbENKUlT_T0_E_clISt17integral_constantIbLb1EEST_IbLb0EEEEDaSP_SQ_EUlSP_E0_NS1_11comp_targetILNS1_3genE0ELNS1_11target_archE4294967295ELNS1_3gpuE0ELNS1_3repE0EEENS1_30default_config_static_selectorELNS0_4arch9wavefront6targetE1EEEvT1_
                                        ; -- End function
	.section	.AMDGPU.csdata,"",@progbits
; Kernel info:
; codeLenInByte = 0
; NumSgprs: 4
; NumVgprs: 0
; NumAgprs: 0
; TotalNumVgprs: 0
; ScratchSize: 0
; MemoryBound: 0
; FloatMode: 240
; IeeeMode: 1
; LDSByteSize: 0 bytes/workgroup (compile time only)
; SGPRBlocks: 0
; VGPRBlocks: 0
; NumSGPRsForWavesPerEU: 4
; NumVGPRsForWavesPerEU: 1
; AccumOffset: 4
; Occupancy: 8
; WaveLimiterHint : 0
; COMPUTE_PGM_RSRC2:SCRATCH_EN: 0
; COMPUTE_PGM_RSRC2:USER_SGPR: 6
; COMPUTE_PGM_RSRC2:TRAP_HANDLER: 0
; COMPUTE_PGM_RSRC2:TGID_X_EN: 1
; COMPUTE_PGM_RSRC2:TGID_Y_EN: 0
; COMPUTE_PGM_RSRC2:TGID_Z_EN: 0
; COMPUTE_PGM_RSRC2:TIDIG_COMP_CNT: 0
; COMPUTE_PGM_RSRC3_GFX90A:ACCUM_OFFSET: 0
; COMPUTE_PGM_RSRC3_GFX90A:TG_SPLIT: 0
	.section	.text._ZN7rocprim17ROCPRIM_400000_NS6detail17trampoline_kernelINS0_14default_configENS1_20scan_config_selectorItEEZZNS1_9scan_implILNS1_25lookback_scan_determinismE0ELb0ELb0ES3_N6thrust23THRUST_200600_302600_NS6detail15normal_iteratorINS9_10device_ptrItEEEESE_t11max_functorItEtEEDaPvRmT3_T4_T5_mT6_P12ihipStream_tbENKUlT_T0_E_clISt17integral_constantIbLb1EEST_IbLb0EEEEDaSP_SQ_EUlSP_E0_NS1_11comp_targetILNS1_3genE5ELNS1_11target_archE942ELNS1_3gpuE9ELNS1_3repE0EEENS1_30default_config_static_selectorELNS0_4arch9wavefront6targetE1EEEvT1_,"axG",@progbits,_ZN7rocprim17ROCPRIM_400000_NS6detail17trampoline_kernelINS0_14default_configENS1_20scan_config_selectorItEEZZNS1_9scan_implILNS1_25lookback_scan_determinismE0ELb0ELb0ES3_N6thrust23THRUST_200600_302600_NS6detail15normal_iteratorINS9_10device_ptrItEEEESE_t11max_functorItEtEEDaPvRmT3_T4_T5_mT6_P12ihipStream_tbENKUlT_T0_E_clISt17integral_constantIbLb1EEST_IbLb0EEEEDaSP_SQ_EUlSP_E0_NS1_11comp_targetILNS1_3genE5ELNS1_11target_archE942ELNS1_3gpuE9ELNS1_3repE0EEENS1_30default_config_static_selectorELNS0_4arch9wavefront6targetE1EEEvT1_,comdat
	.protected	_ZN7rocprim17ROCPRIM_400000_NS6detail17trampoline_kernelINS0_14default_configENS1_20scan_config_selectorItEEZZNS1_9scan_implILNS1_25lookback_scan_determinismE0ELb0ELb0ES3_N6thrust23THRUST_200600_302600_NS6detail15normal_iteratorINS9_10device_ptrItEEEESE_t11max_functorItEtEEDaPvRmT3_T4_T5_mT6_P12ihipStream_tbENKUlT_T0_E_clISt17integral_constantIbLb1EEST_IbLb0EEEEDaSP_SQ_EUlSP_E0_NS1_11comp_targetILNS1_3genE5ELNS1_11target_archE942ELNS1_3gpuE9ELNS1_3repE0EEENS1_30default_config_static_selectorELNS0_4arch9wavefront6targetE1EEEvT1_ ; -- Begin function _ZN7rocprim17ROCPRIM_400000_NS6detail17trampoline_kernelINS0_14default_configENS1_20scan_config_selectorItEEZZNS1_9scan_implILNS1_25lookback_scan_determinismE0ELb0ELb0ES3_N6thrust23THRUST_200600_302600_NS6detail15normal_iteratorINS9_10device_ptrItEEEESE_t11max_functorItEtEEDaPvRmT3_T4_T5_mT6_P12ihipStream_tbENKUlT_T0_E_clISt17integral_constantIbLb1EEST_IbLb0EEEEDaSP_SQ_EUlSP_E0_NS1_11comp_targetILNS1_3genE5ELNS1_11target_archE942ELNS1_3gpuE9ELNS1_3repE0EEENS1_30default_config_static_selectorELNS0_4arch9wavefront6targetE1EEEvT1_
	.globl	_ZN7rocprim17ROCPRIM_400000_NS6detail17trampoline_kernelINS0_14default_configENS1_20scan_config_selectorItEEZZNS1_9scan_implILNS1_25lookback_scan_determinismE0ELb0ELb0ES3_N6thrust23THRUST_200600_302600_NS6detail15normal_iteratorINS9_10device_ptrItEEEESE_t11max_functorItEtEEDaPvRmT3_T4_T5_mT6_P12ihipStream_tbENKUlT_T0_E_clISt17integral_constantIbLb1EEST_IbLb0EEEEDaSP_SQ_EUlSP_E0_NS1_11comp_targetILNS1_3genE5ELNS1_11target_archE942ELNS1_3gpuE9ELNS1_3repE0EEENS1_30default_config_static_selectorELNS0_4arch9wavefront6targetE1EEEvT1_
	.p2align	8
	.type	_ZN7rocprim17ROCPRIM_400000_NS6detail17trampoline_kernelINS0_14default_configENS1_20scan_config_selectorItEEZZNS1_9scan_implILNS1_25lookback_scan_determinismE0ELb0ELb0ES3_N6thrust23THRUST_200600_302600_NS6detail15normal_iteratorINS9_10device_ptrItEEEESE_t11max_functorItEtEEDaPvRmT3_T4_T5_mT6_P12ihipStream_tbENKUlT_T0_E_clISt17integral_constantIbLb1EEST_IbLb0EEEEDaSP_SQ_EUlSP_E0_NS1_11comp_targetILNS1_3genE5ELNS1_11target_archE942ELNS1_3gpuE9ELNS1_3repE0EEENS1_30default_config_static_selectorELNS0_4arch9wavefront6targetE1EEEvT1_,@function
_ZN7rocprim17ROCPRIM_400000_NS6detail17trampoline_kernelINS0_14default_configENS1_20scan_config_selectorItEEZZNS1_9scan_implILNS1_25lookback_scan_determinismE0ELb0ELb0ES3_N6thrust23THRUST_200600_302600_NS6detail15normal_iteratorINS9_10device_ptrItEEEESE_t11max_functorItEtEEDaPvRmT3_T4_T5_mT6_P12ihipStream_tbENKUlT_T0_E_clISt17integral_constantIbLb1EEST_IbLb0EEEEDaSP_SQ_EUlSP_E0_NS1_11comp_targetILNS1_3genE5ELNS1_11target_archE942ELNS1_3gpuE9ELNS1_3repE0EEENS1_30default_config_static_selectorELNS0_4arch9wavefront6targetE1EEEvT1_: ; @_ZN7rocprim17ROCPRIM_400000_NS6detail17trampoline_kernelINS0_14default_configENS1_20scan_config_selectorItEEZZNS1_9scan_implILNS1_25lookback_scan_determinismE0ELb0ELb0ES3_N6thrust23THRUST_200600_302600_NS6detail15normal_iteratorINS9_10device_ptrItEEEESE_t11max_functorItEtEEDaPvRmT3_T4_T5_mT6_P12ihipStream_tbENKUlT_T0_E_clISt17integral_constantIbLb1EEST_IbLb0EEEEDaSP_SQ_EUlSP_E0_NS1_11comp_targetILNS1_3genE5ELNS1_11target_archE942ELNS1_3gpuE9ELNS1_3repE0EEENS1_30default_config_static_selectorELNS0_4arch9wavefront6targetE1EEEvT1_
; %bb.0:
	.section	.rodata,"a",@progbits
	.p2align	6, 0x0
	.amdhsa_kernel _ZN7rocprim17ROCPRIM_400000_NS6detail17trampoline_kernelINS0_14default_configENS1_20scan_config_selectorItEEZZNS1_9scan_implILNS1_25lookback_scan_determinismE0ELb0ELb0ES3_N6thrust23THRUST_200600_302600_NS6detail15normal_iteratorINS9_10device_ptrItEEEESE_t11max_functorItEtEEDaPvRmT3_T4_T5_mT6_P12ihipStream_tbENKUlT_T0_E_clISt17integral_constantIbLb1EEST_IbLb0EEEEDaSP_SQ_EUlSP_E0_NS1_11comp_targetILNS1_3genE5ELNS1_11target_archE942ELNS1_3gpuE9ELNS1_3repE0EEENS1_30default_config_static_selectorELNS0_4arch9wavefront6targetE1EEEvT1_
		.amdhsa_group_segment_fixed_size 0
		.amdhsa_private_segment_fixed_size 0
		.amdhsa_kernarg_size 32
		.amdhsa_user_sgpr_count 6
		.amdhsa_user_sgpr_private_segment_buffer 1
		.amdhsa_user_sgpr_dispatch_ptr 0
		.amdhsa_user_sgpr_queue_ptr 0
		.amdhsa_user_sgpr_kernarg_segment_ptr 1
		.amdhsa_user_sgpr_dispatch_id 0
		.amdhsa_user_sgpr_flat_scratch_init 0
		.amdhsa_user_sgpr_kernarg_preload_length 0
		.amdhsa_user_sgpr_kernarg_preload_offset 0
		.amdhsa_user_sgpr_private_segment_size 0
		.amdhsa_uses_dynamic_stack 0
		.amdhsa_system_sgpr_private_segment_wavefront_offset 0
		.amdhsa_system_sgpr_workgroup_id_x 1
		.amdhsa_system_sgpr_workgroup_id_y 0
		.amdhsa_system_sgpr_workgroup_id_z 0
		.amdhsa_system_sgpr_workgroup_info 0
		.amdhsa_system_vgpr_workitem_id 0
		.amdhsa_next_free_vgpr 1
		.amdhsa_next_free_sgpr 0
		.amdhsa_accum_offset 4
		.amdhsa_reserve_vcc 0
		.amdhsa_reserve_flat_scratch 0
		.amdhsa_float_round_mode_32 0
		.amdhsa_float_round_mode_16_64 0
		.amdhsa_float_denorm_mode_32 3
		.amdhsa_float_denorm_mode_16_64 3
		.amdhsa_dx10_clamp 1
		.amdhsa_ieee_mode 1
		.amdhsa_fp16_overflow 0
		.amdhsa_tg_split 0
		.amdhsa_exception_fp_ieee_invalid_op 0
		.amdhsa_exception_fp_denorm_src 0
		.amdhsa_exception_fp_ieee_div_zero 0
		.amdhsa_exception_fp_ieee_overflow 0
		.amdhsa_exception_fp_ieee_underflow 0
		.amdhsa_exception_fp_ieee_inexact 0
		.amdhsa_exception_int_div_zero 0
	.end_amdhsa_kernel
	.section	.text._ZN7rocprim17ROCPRIM_400000_NS6detail17trampoline_kernelINS0_14default_configENS1_20scan_config_selectorItEEZZNS1_9scan_implILNS1_25lookback_scan_determinismE0ELb0ELb0ES3_N6thrust23THRUST_200600_302600_NS6detail15normal_iteratorINS9_10device_ptrItEEEESE_t11max_functorItEtEEDaPvRmT3_T4_T5_mT6_P12ihipStream_tbENKUlT_T0_E_clISt17integral_constantIbLb1EEST_IbLb0EEEEDaSP_SQ_EUlSP_E0_NS1_11comp_targetILNS1_3genE5ELNS1_11target_archE942ELNS1_3gpuE9ELNS1_3repE0EEENS1_30default_config_static_selectorELNS0_4arch9wavefront6targetE1EEEvT1_,"axG",@progbits,_ZN7rocprim17ROCPRIM_400000_NS6detail17trampoline_kernelINS0_14default_configENS1_20scan_config_selectorItEEZZNS1_9scan_implILNS1_25lookback_scan_determinismE0ELb0ELb0ES3_N6thrust23THRUST_200600_302600_NS6detail15normal_iteratorINS9_10device_ptrItEEEESE_t11max_functorItEtEEDaPvRmT3_T4_T5_mT6_P12ihipStream_tbENKUlT_T0_E_clISt17integral_constantIbLb1EEST_IbLb0EEEEDaSP_SQ_EUlSP_E0_NS1_11comp_targetILNS1_3genE5ELNS1_11target_archE942ELNS1_3gpuE9ELNS1_3repE0EEENS1_30default_config_static_selectorELNS0_4arch9wavefront6targetE1EEEvT1_,comdat
.Lfunc_end2459:
	.size	_ZN7rocprim17ROCPRIM_400000_NS6detail17trampoline_kernelINS0_14default_configENS1_20scan_config_selectorItEEZZNS1_9scan_implILNS1_25lookback_scan_determinismE0ELb0ELb0ES3_N6thrust23THRUST_200600_302600_NS6detail15normal_iteratorINS9_10device_ptrItEEEESE_t11max_functorItEtEEDaPvRmT3_T4_T5_mT6_P12ihipStream_tbENKUlT_T0_E_clISt17integral_constantIbLb1EEST_IbLb0EEEEDaSP_SQ_EUlSP_E0_NS1_11comp_targetILNS1_3genE5ELNS1_11target_archE942ELNS1_3gpuE9ELNS1_3repE0EEENS1_30default_config_static_selectorELNS0_4arch9wavefront6targetE1EEEvT1_, .Lfunc_end2459-_ZN7rocprim17ROCPRIM_400000_NS6detail17trampoline_kernelINS0_14default_configENS1_20scan_config_selectorItEEZZNS1_9scan_implILNS1_25lookback_scan_determinismE0ELb0ELb0ES3_N6thrust23THRUST_200600_302600_NS6detail15normal_iteratorINS9_10device_ptrItEEEESE_t11max_functorItEtEEDaPvRmT3_T4_T5_mT6_P12ihipStream_tbENKUlT_T0_E_clISt17integral_constantIbLb1EEST_IbLb0EEEEDaSP_SQ_EUlSP_E0_NS1_11comp_targetILNS1_3genE5ELNS1_11target_archE942ELNS1_3gpuE9ELNS1_3repE0EEENS1_30default_config_static_selectorELNS0_4arch9wavefront6targetE1EEEvT1_
                                        ; -- End function
	.section	.AMDGPU.csdata,"",@progbits
; Kernel info:
; codeLenInByte = 0
; NumSgprs: 4
; NumVgprs: 0
; NumAgprs: 0
; TotalNumVgprs: 0
; ScratchSize: 0
; MemoryBound: 0
; FloatMode: 240
; IeeeMode: 1
; LDSByteSize: 0 bytes/workgroup (compile time only)
; SGPRBlocks: 0
; VGPRBlocks: 0
; NumSGPRsForWavesPerEU: 4
; NumVGPRsForWavesPerEU: 1
; AccumOffset: 4
; Occupancy: 8
; WaveLimiterHint : 0
; COMPUTE_PGM_RSRC2:SCRATCH_EN: 0
; COMPUTE_PGM_RSRC2:USER_SGPR: 6
; COMPUTE_PGM_RSRC2:TRAP_HANDLER: 0
; COMPUTE_PGM_RSRC2:TGID_X_EN: 1
; COMPUTE_PGM_RSRC2:TGID_Y_EN: 0
; COMPUTE_PGM_RSRC2:TGID_Z_EN: 0
; COMPUTE_PGM_RSRC2:TIDIG_COMP_CNT: 0
; COMPUTE_PGM_RSRC3_GFX90A:ACCUM_OFFSET: 0
; COMPUTE_PGM_RSRC3_GFX90A:TG_SPLIT: 0
	.section	.text._ZN7rocprim17ROCPRIM_400000_NS6detail17trampoline_kernelINS0_14default_configENS1_20scan_config_selectorItEEZZNS1_9scan_implILNS1_25lookback_scan_determinismE0ELb0ELb0ES3_N6thrust23THRUST_200600_302600_NS6detail15normal_iteratorINS9_10device_ptrItEEEESE_t11max_functorItEtEEDaPvRmT3_T4_T5_mT6_P12ihipStream_tbENKUlT_T0_E_clISt17integral_constantIbLb1EEST_IbLb0EEEEDaSP_SQ_EUlSP_E0_NS1_11comp_targetILNS1_3genE4ELNS1_11target_archE910ELNS1_3gpuE8ELNS1_3repE0EEENS1_30default_config_static_selectorELNS0_4arch9wavefront6targetE1EEEvT1_,"axG",@progbits,_ZN7rocprim17ROCPRIM_400000_NS6detail17trampoline_kernelINS0_14default_configENS1_20scan_config_selectorItEEZZNS1_9scan_implILNS1_25lookback_scan_determinismE0ELb0ELb0ES3_N6thrust23THRUST_200600_302600_NS6detail15normal_iteratorINS9_10device_ptrItEEEESE_t11max_functorItEtEEDaPvRmT3_T4_T5_mT6_P12ihipStream_tbENKUlT_T0_E_clISt17integral_constantIbLb1EEST_IbLb0EEEEDaSP_SQ_EUlSP_E0_NS1_11comp_targetILNS1_3genE4ELNS1_11target_archE910ELNS1_3gpuE8ELNS1_3repE0EEENS1_30default_config_static_selectorELNS0_4arch9wavefront6targetE1EEEvT1_,comdat
	.protected	_ZN7rocprim17ROCPRIM_400000_NS6detail17trampoline_kernelINS0_14default_configENS1_20scan_config_selectorItEEZZNS1_9scan_implILNS1_25lookback_scan_determinismE0ELb0ELb0ES3_N6thrust23THRUST_200600_302600_NS6detail15normal_iteratorINS9_10device_ptrItEEEESE_t11max_functorItEtEEDaPvRmT3_T4_T5_mT6_P12ihipStream_tbENKUlT_T0_E_clISt17integral_constantIbLb1EEST_IbLb0EEEEDaSP_SQ_EUlSP_E0_NS1_11comp_targetILNS1_3genE4ELNS1_11target_archE910ELNS1_3gpuE8ELNS1_3repE0EEENS1_30default_config_static_selectorELNS0_4arch9wavefront6targetE1EEEvT1_ ; -- Begin function _ZN7rocprim17ROCPRIM_400000_NS6detail17trampoline_kernelINS0_14default_configENS1_20scan_config_selectorItEEZZNS1_9scan_implILNS1_25lookback_scan_determinismE0ELb0ELb0ES3_N6thrust23THRUST_200600_302600_NS6detail15normal_iteratorINS9_10device_ptrItEEEESE_t11max_functorItEtEEDaPvRmT3_T4_T5_mT6_P12ihipStream_tbENKUlT_T0_E_clISt17integral_constantIbLb1EEST_IbLb0EEEEDaSP_SQ_EUlSP_E0_NS1_11comp_targetILNS1_3genE4ELNS1_11target_archE910ELNS1_3gpuE8ELNS1_3repE0EEENS1_30default_config_static_selectorELNS0_4arch9wavefront6targetE1EEEvT1_
	.globl	_ZN7rocprim17ROCPRIM_400000_NS6detail17trampoline_kernelINS0_14default_configENS1_20scan_config_selectorItEEZZNS1_9scan_implILNS1_25lookback_scan_determinismE0ELb0ELb0ES3_N6thrust23THRUST_200600_302600_NS6detail15normal_iteratorINS9_10device_ptrItEEEESE_t11max_functorItEtEEDaPvRmT3_T4_T5_mT6_P12ihipStream_tbENKUlT_T0_E_clISt17integral_constantIbLb1EEST_IbLb0EEEEDaSP_SQ_EUlSP_E0_NS1_11comp_targetILNS1_3genE4ELNS1_11target_archE910ELNS1_3gpuE8ELNS1_3repE0EEENS1_30default_config_static_selectorELNS0_4arch9wavefront6targetE1EEEvT1_
	.p2align	8
	.type	_ZN7rocprim17ROCPRIM_400000_NS6detail17trampoline_kernelINS0_14default_configENS1_20scan_config_selectorItEEZZNS1_9scan_implILNS1_25lookback_scan_determinismE0ELb0ELb0ES3_N6thrust23THRUST_200600_302600_NS6detail15normal_iteratorINS9_10device_ptrItEEEESE_t11max_functorItEtEEDaPvRmT3_T4_T5_mT6_P12ihipStream_tbENKUlT_T0_E_clISt17integral_constantIbLb1EEST_IbLb0EEEEDaSP_SQ_EUlSP_E0_NS1_11comp_targetILNS1_3genE4ELNS1_11target_archE910ELNS1_3gpuE8ELNS1_3repE0EEENS1_30default_config_static_selectorELNS0_4arch9wavefront6targetE1EEEvT1_,@function
_ZN7rocprim17ROCPRIM_400000_NS6detail17trampoline_kernelINS0_14default_configENS1_20scan_config_selectorItEEZZNS1_9scan_implILNS1_25lookback_scan_determinismE0ELb0ELb0ES3_N6thrust23THRUST_200600_302600_NS6detail15normal_iteratorINS9_10device_ptrItEEEESE_t11max_functorItEtEEDaPvRmT3_T4_T5_mT6_P12ihipStream_tbENKUlT_T0_E_clISt17integral_constantIbLb1EEST_IbLb0EEEEDaSP_SQ_EUlSP_E0_NS1_11comp_targetILNS1_3genE4ELNS1_11target_archE910ELNS1_3gpuE8ELNS1_3repE0EEENS1_30default_config_static_selectorELNS0_4arch9wavefront6targetE1EEEvT1_: ; @_ZN7rocprim17ROCPRIM_400000_NS6detail17trampoline_kernelINS0_14default_configENS1_20scan_config_selectorItEEZZNS1_9scan_implILNS1_25lookback_scan_determinismE0ELb0ELb0ES3_N6thrust23THRUST_200600_302600_NS6detail15normal_iteratorINS9_10device_ptrItEEEESE_t11max_functorItEtEEDaPvRmT3_T4_T5_mT6_P12ihipStream_tbENKUlT_T0_E_clISt17integral_constantIbLb1EEST_IbLb0EEEEDaSP_SQ_EUlSP_E0_NS1_11comp_targetILNS1_3genE4ELNS1_11target_archE910ELNS1_3gpuE8ELNS1_3repE0EEENS1_30default_config_static_selectorELNS0_4arch9wavefront6targetE1EEEvT1_
; %bb.0:
	s_load_dwordx4 s[52:55], s[4:5], 0x0
	v_mov_b32_e32 v1, 0
	v_lshlrev_b32_e32 v14, 1, v0
	s_waitcnt lgkmcnt(0)
	global_load_ushort v2, v1, s[52:53]
	v_cmp_gt_u32_e32 vcc, s54, v0
	s_waitcnt vmcnt(0)
	v_mov_b32_e32 v3, v2
	s_and_saveexec_b64 s[0:1], vcc
	s_cbranch_execz .LBB2460_2
; %bb.1:
	global_load_ushort v3, v14, s[52:53]
.LBB2460_2:
	s_or_b64 exec, exec, s[0:1]
	v_or_b32_e32 v1, 64, v0
	v_cmp_gt_u32_e64 s[0:1], s54, v1
	v_mov_b32_e32 v4, v2
	s_and_saveexec_b64 s[2:3], s[0:1]
	s_cbranch_execz .LBB2460_4
; %bb.3:
	global_load_ushort v4, v14, s[52:53] offset:128
.LBB2460_4:
	s_or_b64 exec, exec, s[2:3]
	v_or_b32_e32 v1, 0x80, v0
	v_cmp_gt_u32_e64 s[2:3], s54, v1
	v_mov_b32_e32 v5, v2
	s_and_saveexec_b64 s[6:7], s[2:3]
	s_cbranch_execz .LBB2460_6
; %bb.5:
	global_load_ushort v5, v14, s[52:53] offset:256
.LBB2460_6:
	;; [unrolled: 9-line block ×22, first 2 shown]
	s_or_b64 exec, exec, s[46:47]
	v_or_b32_e32 v1, 0x5c0, v0
	v_cmp_gt_u32_e64 s[46:47], s54, v1
	v_cmp_le_u32_e64 s[50:51], s54, v1
	s_and_saveexec_b64 s[54:55], s[50:51]
	s_xor_b64 s[50:51], exec, s[54:55]
; %bb.47:
	v_mov_b32_e32 v1, 0
; %bb.48:
	s_andn2_saveexec_b64 s[50:51], s[50:51]
	s_cbranch_execz .LBB2460_50
; %bb.49:
	global_load_ushort v2, v14, s[52:53] offset:2944
	v_mov_b32_e32 v1, 0
.LBB2460_50:
	s_or_b64 exec, exec, s[50:51]
	s_waitcnt vmcnt(0)
	ds_write_b16 v14, v3
	ds_write_b16 v14, v4 offset:128
	ds_write_b16 v14, v5 offset:256
	;; [unrolled: 1-line block ×23, first 2 shown]
	v_mad_u32_u24 v15, v0, 46, v14
	s_waitcnt lgkmcnt(0)
	; wave barrier
	s_waitcnt lgkmcnt(0)
	ds_read_b128 v[2:5], v15
	ds_read_b128 v[10:13], v15 offset:16
	ds_read_b128 v[6:9], v15 offset:32
	v_mbcnt_lo_u32_b32 v39, -1, 0
	v_mbcnt_hi_u32_b32 v39, -1, v39
	s_waitcnt lgkmcnt(2)
	v_max_u16_sdwa v16, v2, v2 dst_sel:DWORD dst_unused:UNUSED_PAD src0_sel:DWORD src1_sel:WORD_1
	v_max_u16_e32 v17, v16, v3
	v_max_u16_sdwa v19, v17, v3 dst_sel:DWORD dst_unused:UNUSED_PAD src0_sel:DWORD src1_sel:WORD_1
	v_max_u16_e32 v21, v19, v4
	;; [unrolled: 2-line block ×3, first 2 shown]
	v_max_u16_sdwa v29, v26, v5 dst_sel:DWORD dst_unused:UNUSED_PAD src0_sel:DWORD src1_sel:WORD_1
	s_waitcnt lgkmcnt(1)
	v_max_u16_e32 v18, v29, v10
	v_max_u16_sdwa v20, v18, v10 dst_sel:DWORD dst_unused:UNUSED_PAD src0_sel:DWORD src1_sel:WORD_1
	v_max_u16_e32 v22, v20, v11
	v_max_u16_sdwa v25, v22, v11 dst_sel:DWORD dst_unused:UNUSED_PAD src0_sel:DWORD src1_sel:WORD_1
	;; [unrolled: 2-line block ×4, first 2 shown]
	s_waitcnt lgkmcnt(0)
	v_max_u16_e32 v24, v35, v6
	v_max_u16_sdwa v27, v24, v6 dst_sel:DWORD dst_unused:UNUSED_PAD src0_sel:DWORD src1_sel:WORD_1
	v_max_u16_e32 v30, v27, v7
	v_max_u16_sdwa v32, v30, v7 dst_sel:DWORD dst_unused:UNUSED_PAD src0_sel:DWORD src1_sel:WORD_1
	;; [unrolled: 2-line block ×4, first 2 shown]
	v_and_b32_e32 v40, 15, v39
	s_load_dwordx2 s[50:51], s[4:5], 0x18
	v_mov_b32_dpp v41, v38 row_shr:1 row_mask:0xf bank_mask:0xf
	v_max_u16_e32 v41, v41, v38
	v_cmp_eq_u32_e64 s[4:5], 0, v40
	v_cndmask_b32_e64 v41, v41, v38, s[4:5]
	v_and_b32_e32 v42, 0xffff, v41
	v_cmp_lt_u32_e64 s[4:5], 1, v40
	s_waitcnt lgkmcnt(0)
	v_mov_b32_dpp v42, v42 row_shr:2 row_mask:0xf bank_mask:0xf
	v_max_u16_e32 v42, v42, v41
	v_cndmask_b32_e64 v41, v41, v42, s[4:5]
	v_and_b32_e32 v42, 0xffff, v41
	v_cmp_lt_u32_e64 s[4:5], 3, v40
	; wave barrier
	s_nop 0
	v_mov_b32_dpp v42, v42 row_shr:4 row_mask:0xf bank_mask:0xf
	v_max_u16_e32 v42, v42, v41
	v_cndmask_b32_e64 v41, v41, v42, s[4:5]
	v_and_b32_e32 v42, 0xffff, v41
	v_cmp_lt_u32_e64 s[4:5], 7, v40
	s_nop 0
	v_mov_b32_dpp v42, v42 row_shr:8 row_mask:0xf bank_mask:0xf
	v_max_u16_e32 v42, v42, v41
	v_cndmask_b32_e64 v40, v41, v42, s[4:5]
	v_and_b32_e32 v41, 0xffff, v40
	v_and_b32_e32 v42, 16, v39
	v_cmp_eq_u32_e64 s[4:5], 0, v42
	v_mov_b32_dpp v41, v41 row_bcast:15 row_mask:0xf bank_mask:0xf
	v_max_u16_e32 v41, v41, v40
	v_cndmask_b32_e64 v40, v41, v40, s[4:5]
	v_and_b32_e32 v41, 0xffff, v40
	v_cmp_lt_u32_e64 s[4:5], 31, v39
	s_nop 0
	v_mov_b32_dpp v41, v41 row_bcast:31 row_mask:0xf bank_mask:0xf
	v_max_u16_e32 v41, v41, v40
	v_cndmask_b32_e64 v40, v40, v41, s[4:5]
	v_cmp_eq_u32_e64 s[4:5], 63, v0
	s_and_saveexec_b64 s[52:53], s[4:5]
	s_cbranch_execz .LBB2460_52
; %bb.51:
	v_mov_b32_e32 v41, 0
	ds_write_b16 v41, v40
.LBB2460_52:
	s_or_b64 exec, exec, s[52:53]
	v_add_u32_e32 v41, -1, v39
	v_and_b32_e32 v42, 64, v39
	v_cmp_lt_i32_e64 s[4:5], v41, v42
	v_cndmask_b32_e64 v39, v41, v39, s[4:5]
	v_and_b32_e32 v40, 0xffff, v40
	v_lshlrev_b32_e32 v39, 2, v39
	ds_bpermute_b32 v39, v39, v40
	v_cmp_ne_u32_e64 s[4:5], 0, v0
	s_waitcnt lgkmcnt(0)
	; wave barrier
	s_waitcnt lgkmcnt(0)
	s_and_saveexec_b64 s[52:53], s[4:5]
	s_cbranch_execz .LBB2460_54
; %bb.53:
	v_max_u16_e32 v39, v39, v2
	v_max_u16_sdwa v16, v39, v2 dst_sel:DWORD dst_unused:UNUSED_PAD src0_sel:DWORD src1_sel:WORD_1
	v_max_u16_e32 v17, v16, v3
	v_max_u16_sdwa v19, v17, v3 dst_sel:DWORD dst_unused:UNUSED_PAD src0_sel:DWORD src1_sel:WORD_1
	;; [unrolled: 2-line block ×12, first 2 shown]
	v_mov_b32_e32 v2, v39
	;;#ASMSTART
	;;#ASMEND
.LBB2460_54:
	s_or_b64 exec, exec, s[52:53]
	s_mov_b32 s4, 0x5040100
	v_perm_b32 v5, v29, v26, s4
	v_perm_b32 v4, v23, v21, s4
	;; [unrolled: 1-line block ×4, first 2 shown]
	s_waitcnt lgkmcnt(0)
	; wave barrier
	ds_write_b128 v15, v[2:5]
	v_perm_b32 v5, v35, v33, s4
	v_perm_b32 v4, v31, v28, s4
	v_perm_b32 v3, v25, v22, s4
	v_perm_b32 v2, v20, v18, s4
	ds_write_b128 v15, v[2:5] offset:16
	v_perm_b32 v5, v38, v37, s4
	v_perm_b32 v4, v36, v34, s4
	;; [unrolled: 1-line block ×4, first 2 shown]
	s_movk_i32 s4, 0xffd2
	ds_write_b128 v15, v[2:5] offset:32
	v_mad_i32_i24 v2, v0, s4, v15
	s_waitcnt lgkmcnt(0)
	; wave barrier
	s_waitcnt lgkmcnt(0)
	ds_read_u16 v25, v2 offset:128
	ds_read_u16 v24, v2 offset:256
	;; [unrolled: 1-line block ×23, first 2 shown]
	v_lshlrev_b64 v[0:1], 1, v[0:1]
	v_mov_b32_e32 v26, s51
	v_add_co_u32_e64 v0, s[4:5], s50, v0
	v_addc_co_u32_e64 v1, s[4:5], v26, v1, s[4:5]
	s_and_saveexec_b64 s[4:5], vcc
	s_cbranch_execnz .LBB2460_79
; %bb.55:
	s_or_b64 exec, exec, s[4:5]
	s_and_saveexec_b64 s[4:5], s[0:1]
	s_cbranch_execnz .LBB2460_80
.LBB2460_56:
	s_or_b64 exec, exec, s[4:5]
	s_and_saveexec_b64 s[0:1], s[2:3]
	s_cbranch_execnz .LBB2460_81
.LBB2460_57:
	s_or_b64 exec, exec, s[0:1]
	s_and_saveexec_b64 s[0:1], s[48:49]
	s_cbranch_execnz .LBB2460_82
.LBB2460_58:
	s_or_b64 exec, exec, s[0:1]
	s_and_saveexec_b64 s[0:1], s[6:7]
	s_cbranch_execnz .LBB2460_83
.LBB2460_59:
	s_or_b64 exec, exec, s[0:1]
	s_and_saveexec_b64 s[0:1], s[8:9]
	s_cbranch_execnz .LBB2460_84
.LBB2460_60:
	s_or_b64 exec, exec, s[0:1]
	s_and_saveexec_b64 s[0:1], s[10:11]
	s_cbranch_execnz .LBB2460_85
.LBB2460_61:
	s_or_b64 exec, exec, s[0:1]
	s_and_saveexec_b64 s[0:1], s[12:13]
	s_cbranch_execnz .LBB2460_86
.LBB2460_62:
	s_or_b64 exec, exec, s[0:1]
	s_and_saveexec_b64 s[0:1], s[14:15]
	s_cbranch_execnz .LBB2460_87
.LBB2460_63:
	s_or_b64 exec, exec, s[0:1]
	s_and_saveexec_b64 s[0:1], s[16:17]
	s_cbranch_execnz .LBB2460_88
.LBB2460_64:
	s_or_b64 exec, exec, s[0:1]
	s_and_saveexec_b64 s[0:1], s[18:19]
	s_cbranch_execnz .LBB2460_89
.LBB2460_65:
	s_or_b64 exec, exec, s[0:1]
	s_and_saveexec_b64 s[0:1], s[20:21]
	s_cbranch_execnz .LBB2460_90
.LBB2460_66:
	s_or_b64 exec, exec, s[0:1]
	s_and_saveexec_b64 s[0:1], s[22:23]
	s_cbranch_execnz .LBB2460_91
.LBB2460_67:
	s_or_b64 exec, exec, s[0:1]
	s_and_saveexec_b64 s[0:1], s[24:25]
	s_cbranch_execnz .LBB2460_92
.LBB2460_68:
	s_or_b64 exec, exec, s[0:1]
	s_and_saveexec_b64 s[0:1], s[26:27]
	s_cbranch_execnz .LBB2460_93
.LBB2460_69:
	s_or_b64 exec, exec, s[0:1]
	s_and_saveexec_b64 s[0:1], s[28:29]
	s_cbranch_execnz .LBB2460_94
.LBB2460_70:
	s_or_b64 exec, exec, s[0:1]
	s_and_saveexec_b64 s[0:1], s[30:31]
	s_cbranch_execnz .LBB2460_95
.LBB2460_71:
	s_or_b64 exec, exec, s[0:1]
	s_and_saveexec_b64 s[0:1], s[34:35]
	s_cbranch_execnz .LBB2460_96
.LBB2460_72:
	s_or_b64 exec, exec, s[0:1]
	s_and_saveexec_b64 s[0:1], s[36:37]
	s_cbranch_execnz .LBB2460_97
.LBB2460_73:
	s_or_b64 exec, exec, s[0:1]
	s_and_saveexec_b64 s[0:1], s[38:39]
	s_cbranch_execnz .LBB2460_98
.LBB2460_74:
	s_or_b64 exec, exec, s[0:1]
	s_and_saveexec_b64 s[0:1], s[40:41]
	s_cbranch_execnz .LBB2460_99
.LBB2460_75:
	s_or_b64 exec, exec, s[0:1]
	s_and_saveexec_b64 s[0:1], s[42:43]
	s_cbranch_execnz .LBB2460_100
.LBB2460_76:
	s_or_b64 exec, exec, s[0:1]
	s_and_saveexec_b64 s[0:1], s[44:45]
	s_cbranch_execnz .LBB2460_101
.LBB2460_77:
	s_or_b64 exec, exec, s[0:1]
	s_and_saveexec_b64 s[0:1], s[46:47]
	s_cbranch_execnz .LBB2460_102
.LBB2460_78:
	s_endpgm
.LBB2460_79:
	ds_read_u16 v14, v14
	s_waitcnt lgkmcnt(0)
	global_store_short v[0:1], v14, off
	s_or_b64 exec, exec, s[4:5]
	s_and_saveexec_b64 s[4:5], s[0:1]
	s_cbranch_execz .LBB2460_56
.LBB2460_80:
	s_waitcnt lgkmcnt(14)
	global_store_short v[0:1], v25, off offset:128
	s_or_b64 exec, exec, s[4:5]
	s_and_saveexec_b64 s[0:1], s[2:3]
	s_cbranch_execz .LBB2460_57
.LBB2460_81:
	s_waitcnt lgkmcnt(14)
	global_store_short v[0:1], v24, off offset:256
	s_or_b64 exec, exec, s[0:1]
	s_and_saveexec_b64 s[0:1], s[48:49]
	s_cbranch_execz .LBB2460_58
.LBB2460_82:
	s_waitcnt lgkmcnt(14)
	global_store_short v[0:1], v23, off offset:384
	s_or_b64 exec, exec, s[0:1]
	s_and_saveexec_b64 s[0:1], s[6:7]
	s_cbranch_execz .LBB2460_59
.LBB2460_83:
	s_waitcnt lgkmcnt(14)
	global_store_short v[0:1], v22, off offset:512
	s_or_b64 exec, exec, s[0:1]
	s_and_saveexec_b64 s[0:1], s[8:9]
	s_cbranch_execz .LBB2460_60
.LBB2460_84:
	s_waitcnt lgkmcnt(14)
	global_store_short v[0:1], v21, off offset:640
	s_or_b64 exec, exec, s[0:1]
	s_and_saveexec_b64 s[0:1], s[10:11]
	s_cbranch_execz .LBB2460_61
.LBB2460_85:
	s_waitcnt lgkmcnt(14)
	global_store_short v[0:1], v20, off offset:768
	s_or_b64 exec, exec, s[0:1]
	s_and_saveexec_b64 s[0:1], s[12:13]
	s_cbranch_execz .LBB2460_62
.LBB2460_86:
	s_waitcnt lgkmcnt(14)
	global_store_short v[0:1], v19, off offset:896
	s_or_b64 exec, exec, s[0:1]
	s_and_saveexec_b64 s[0:1], s[14:15]
	s_cbranch_execz .LBB2460_63
.LBB2460_87:
	s_waitcnt lgkmcnt(14)
	global_store_short v[0:1], v18, off offset:1024
	s_or_b64 exec, exec, s[0:1]
	s_and_saveexec_b64 s[0:1], s[16:17]
	s_cbranch_execz .LBB2460_64
.LBB2460_88:
	s_waitcnt lgkmcnt(14)
	global_store_short v[0:1], v17, off offset:1152
	s_or_b64 exec, exec, s[0:1]
	s_and_saveexec_b64 s[0:1], s[18:19]
	s_cbranch_execz .LBB2460_65
.LBB2460_89:
	s_waitcnt lgkmcnt(13)
	global_store_short v[0:1], v16, off offset:1280
	s_or_b64 exec, exec, s[0:1]
	s_and_saveexec_b64 s[0:1], s[20:21]
	s_cbranch_execz .LBB2460_66
.LBB2460_90:
	s_waitcnt lgkmcnt(12)
	global_store_short v[0:1], v15, off offset:1408
	s_or_b64 exec, exec, s[0:1]
	s_and_saveexec_b64 s[0:1], s[22:23]
	s_cbranch_execz .LBB2460_67
.LBB2460_91:
	s_waitcnt lgkmcnt(11)
	global_store_short v[0:1], v13, off offset:1536
	s_or_b64 exec, exec, s[0:1]
	s_and_saveexec_b64 s[0:1], s[24:25]
	s_cbranch_execz .LBB2460_68
.LBB2460_92:
	s_waitcnt lgkmcnt(10)
	global_store_short v[0:1], v12, off offset:1664
	s_or_b64 exec, exec, s[0:1]
	s_and_saveexec_b64 s[0:1], s[26:27]
	s_cbranch_execz .LBB2460_69
.LBB2460_93:
	s_waitcnt lgkmcnt(9)
	global_store_short v[0:1], v11, off offset:1792
	s_or_b64 exec, exec, s[0:1]
	s_and_saveexec_b64 s[0:1], s[28:29]
	s_cbranch_execz .LBB2460_70
.LBB2460_94:
	s_waitcnt lgkmcnt(8)
	global_store_short v[0:1], v10, off offset:1920
	s_or_b64 exec, exec, s[0:1]
	s_and_saveexec_b64 s[0:1], s[30:31]
	s_cbranch_execz .LBB2460_71
.LBB2460_95:
	s_waitcnt lgkmcnt(1)
	global_store_short v[0:1], v9, off offset:2048
	s_or_b64 exec, exec, s[0:1]
	s_and_saveexec_b64 s[0:1], s[34:35]
	s_cbranch_execz .LBB2460_72
.LBB2460_96:
	s_waitcnt lgkmcnt(7)
	global_store_short v[0:1], v8, off offset:2176
	s_or_b64 exec, exec, s[0:1]
	s_and_saveexec_b64 s[0:1], s[36:37]
	s_cbranch_execz .LBB2460_73
.LBB2460_97:
	s_waitcnt lgkmcnt(6)
	global_store_short v[0:1], v7, off offset:2304
	s_or_b64 exec, exec, s[0:1]
	s_and_saveexec_b64 s[0:1], s[38:39]
	s_cbranch_execz .LBB2460_74
.LBB2460_98:
	s_waitcnt lgkmcnt(5)
	global_store_short v[0:1], v6, off offset:2432
	s_or_b64 exec, exec, s[0:1]
	s_and_saveexec_b64 s[0:1], s[40:41]
	s_cbranch_execz .LBB2460_75
.LBB2460_99:
	s_waitcnt lgkmcnt(4)
	global_store_short v[0:1], v5, off offset:2560
	s_or_b64 exec, exec, s[0:1]
	s_and_saveexec_b64 s[0:1], s[42:43]
	s_cbranch_execz .LBB2460_76
.LBB2460_100:
	s_waitcnt lgkmcnt(3)
	global_store_short v[0:1], v4, off offset:2688
	s_or_b64 exec, exec, s[0:1]
	s_and_saveexec_b64 s[0:1], s[44:45]
	s_cbranch_execz .LBB2460_77
.LBB2460_101:
	s_waitcnt lgkmcnt(2)
	global_store_short v[0:1], v3, off offset:2816
	s_or_b64 exec, exec, s[0:1]
	s_and_saveexec_b64 s[0:1], s[46:47]
	s_cbranch_execz .LBB2460_78
.LBB2460_102:
	s_waitcnt lgkmcnt(0)
	global_store_short v[0:1], v2, off offset:2944
	s_endpgm
	.section	.rodata,"a",@progbits
	.p2align	6, 0x0
	.amdhsa_kernel _ZN7rocprim17ROCPRIM_400000_NS6detail17trampoline_kernelINS0_14default_configENS1_20scan_config_selectorItEEZZNS1_9scan_implILNS1_25lookback_scan_determinismE0ELb0ELb0ES3_N6thrust23THRUST_200600_302600_NS6detail15normal_iteratorINS9_10device_ptrItEEEESE_t11max_functorItEtEEDaPvRmT3_T4_T5_mT6_P12ihipStream_tbENKUlT_T0_E_clISt17integral_constantIbLb1EEST_IbLb0EEEEDaSP_SQ_EUlSP_E0_NS1_11comp_targetILNS1_3genE4ELNS1_11target_archE910ELNS1_3gpuE8ELNS1_3repE0EEENS1_30default_config_static_selectorELNS0_4arch9wavefront6targetE1EEEvT1_
		.amdhsa_group_segment_fixed_size 3072
		.amdhsa_private_segment_fixed_size 0
		.amdhsa_kernarg_size 32
		.amdhsa_user_sgpr_count 6
		.amdhsa_user_sgpr_private_segment_buffer 1
		.amdhsa_user_sgpr_dispatch_ptr 0
		.amdhsa_user_sgpr_queue_ptr 0
		.amdhsa_user_sgpr_kernarg_segment_ptr 1
		.amdhsa_user_sgpr_dispatch_id 0
		.amdhsa_user_sgpr_flat_scratch_init 0
		.amdhsa_user_sgpr_kernarg_preload_length 0
		.amdhsa_user_sgpr_kernarg_preload_offset 0
		.amdhsa_user_sgpr_private_segment_size 0
		.amdhsa_uses_dynamic_stack 0
		.amdhsa_system_sgpr_private_segment_wavefront_offset 0
		.amdhsa_system_sgpr_workgroup_id_x 1
		.amdhsa_system_sgpr_workgroup_id_y 0
		.amdhsa_system_sgpr_workgroup_id_z 0
		.amdhsa_system_sgpr_workgroup_info 0
		.amdhsa_system_vgpr_workitem_id 0
		.amdhsa_next_free_vgpr 43
		.amdhsa_next_free_sgpr 56
		.amdhsa_accum_offset 44
		.amdhsa_reserve_vcc 1
		.amdhsa_reserve_flat_scratch 0
		.amdhsa_float_round_mode_32 0
		.amdhsa_float_round_mode_16_64 0
		.amdhsa_float_denorm_mode_32 3
		.amdhsa_float_denorm_mode_16_64 3
		.amdhsa_dx10_clamp 1
		.amdhsa_ieee_mode 1
		.amdhsa_fp16_overflow 0
		.amdhsa_tg_split 0
		.amdhsa_exception_fp_ieee_invalid_op 0
		.amdhsa_exception_fp_denorm_src 0
		.amdhsa_exception_fp_ieee_div_zero 0
		.amdhsa_exception_fp_ieee_overflow 0
		.amdhsa_exception_fp_ieee_underflow 0
		.amdhsa_exception_fp_ieee_inexact 0
		.amdhsa_exception_int_div_zero 0
	.end_amdhsa_kernel
	.section	.text._ZN7rocprim17ROCPRIM_400000_NS6detail17trampoline_kernelINS0_14default_configENS1_20scan_config_selectorItEEZZNS1_9scan_implILNS1_25lookback_scan_determinismE0ELb0ELb0ES3_N6thrust23THRUST_200600_302600_NS6detail15normal_iteratorINS9_10device_ptrItEEEESE_t11max_functorItEtEEDaPvRmT3_T4_T5_mT6_P12ihipStream_tbENKUlT_T0_E_clISt17integral_constantIbLb1EEST_IbLb0EEEEDaSP_SQ_EUlSP_E0_NS1_11comp_targetILNS1_3genE4ELNS1_11target_archE910ELNS1_3gpuE8ELNS1_3repE0EEENS1_30default_config_static_selectorELNS0_4arch9wavefront6targetE1EEEvT1_,"axG",@progbits,_ZN7rocprim17ROCPRIM_400000_NS6detail17trampoline_kernelINS0_14default_configENS1_20scan_config_selectorItEEZZNS1_9scan_implILNS1_25lookback_scan_determinismE0ELb0ELb0ES3_N6thrust23THRUST_200600_302600_NS6detail15normal_iteratorINS9_10device_ptrItEEEESE_t11max_functorItEtEEDaPvRmT3_T4_T5_mT6_P12ihipStream_tbENKUlT_T0_E_clISt17integral_constantIbLb1EEST_IbLb0EEEEDaSP_SQ_EUlSP_E0_NS1_11comp_targetILNS1_3genE4ELNS1_11target_archE910ELNS1_3gpuE8ELNS1_3repE0EEENS1_30default_config_static_selectorELNS0_4arch9wavefront6targetE1EEEvT1_,comdat
.Lfunc_end2460:
	.size	_ZN7rocprim17ROCPRIM_400000_NS6detail17trampoline_kernelINS0_14default_configENS1_20scan_config_selectorItEEZZNS1_9scan_implILNS1_25lookback_scan_determinismE0ELb0ELb0ES3_N6thrust23THRUST_200600_302600_NS6detail15normal_iteratorINS9_10device_ptrItEEEESE_t11max_functorItEtEEDaPvRmT3_T4_T5_mT6_P12ihipStream_tbENKUlT_T0_E_clISt17integral_constantIbLb1EEST_IbLb0EEEEDaSP_SQ_EUlSP_E0_NS1_11comp_targetILNS1_3genE4ELNS1_11target_archE910ELNS1_3gpuE8ELNS1_3repE0EEENS1_30default_config_static_selectorELNS0_4arch9wavefront6targetE1EEEvT1_, .Lfunc_end2460-_ZN7rocprim17ROCPRIM_400000_NS6detail17trampoline_kernelINS0_14default_configENS1_20scan_config_selectorItEEZZNS1_9scan_implILNS1_25lookback_scan_determinismE0ELb0ELb0ES3_N6thrust23THRUST_200600_302600_NS6detail15normal_iteratorINS9_10device_ptrItEEEESE_t11max_functorItEtEEDaPvRmT3_T4_T5_mT6_P12ihipStream_tbENKUlT_T0_E_clISt17integral_constantIbLb1EEST_IbLb0EEEEDaSP_SQ_EUlSP_E0_NS1_11comp_targetILNS1_3genE4ELNS1_11target_archE910ELNS1_3gpuE8ELNS1_3repE0EEENS1_30default_config_static_selectorELNS0_4arch9wavefront6targetE1EEEvT1_
                                        ; -- End function
	.section	.AMDGPU.csdata,"",@progbits
; Kernel info:
; codeLenInByte = 3120
; NumSgprs: 60
; NumVgprs: 43
; NumAgprs: 0
; TotalNumVgprs: 43
; ScratchSize: 0
; MemoryBound: 0
; FloatMode: 240
; IeeeMode: 1
; LDSByteSize: 3072 bytes/workgroup (compile time only)
; SGPRBlocks: 7
; VGPRBlocks: 5
; NumSGPRsForWavesPerEU: 60
; NumVGPRsForWavesPerEU: 43
; AccumOffset: 44
; Occupancy: 6
; WaveLimiterHint : 0
; COMPUTE_PGM_RSRC2:SCRATCH_EN: 0
; COMPUTE_PGM_RSRC2:USER_SGPR: 6
; COMPUTE_PGM_RSRC2:TRAP_HANDLER: 0
; COMPUTE_PGM_RSRC2:TGID_X_EN: 1
; COMPUTE_PGM_RSRC2:TGID_Y_EN: 0
; COMPUTE_PGM_RSRC2:TGID_Z_EN: 0
; COMPUTE_PGM_RSRC2:TIDIG_COMP_CNT: 0
; COMPUTE_PGM_RSRC3_GFX90A:ACCUM_OFFSET: 10
; COMPUTE_PGM_RSRC3_GFX90A:TG_SPLIT: 0
	.section	.text._ZN7rocprim17ROCPRIM_400000_NS6detail17trampoline_kernelINS0_14default_configENS1_20scan_config_selectorItEEZZNS1_9scan_implILNS1_25lookback_scan_determinismE0ELb0ELb0ES3_N6thrust23THRUST_200600_302600_NS6detail15normal_iteratorINS9_10device_ptrItEEEESE_t11max_functorItEtEEDaPvRmT3_T4_T5_mT6_P12ihipStream_tbENKUlT_T0_E_clISt17integral_constantIbLb1EEST_IbLb0EEEEDaSP_SQ_EUlSP_E0_NS1_11comp_targetILNS1_3genE3ELNS1_11target_archE908ELNS1_3gpuE7ELNS1_3repE0EEENS1_30default_config_static_selectorELNS0_4arch9wavefront6targetE1EEEvT1_,"axG",@progbits,_ZN7rocprim17ROCPRIM_400000_NS6detail17trampoline_kernelINS0_14default_configENS1_20scan_config_selectorItEEZZNS1_9scan_implILNS1_25lookback_scan_determinismE0ELb0ELb0ES3_N6thrust23THRUST_200600_302600_NS6detail15normal_iteratorINS9_10device_ptrItEEEESE_t11max_functorItEtEEDaPvRmT3_T4_T5_mT6_P12ihipStream_tbENKUlT_T0_E_clISt17integral_constantIbLb1EEST_IbLb0EEEEDaSP_SQ_EUlSP_E0_NS1_11comp_targetILNS1_3genE3ELNS1_11target_archE908ELNS1_3gpuE7ELNS1_3repE0EEENS1_30default_config_static_selectorELNS0_4arch9wavefront6targetE1EEEvT1_,comdat
	.protected	_ZN7rocprim17ROCPRIM_400000_NS6detail17trampoline_kernelINS0_14default_configENS1_20scan_config_selectorItEEZZNS1_9scan_implILNS1_25lookback_scan_determinismE0ELb0ELb0ES3_N6thrust23THRUST_200600_302600_NS6detail15normal_iteratorINS9_10device_ptrItEEEESE_t11max_functorItEtEEDaPvRmT3_T4_T5_mT6_P12ihipStream_tbENKUlT_T0_E_clISt17integral_constantIbLb1EEST_IbLb0EEEEDaSP_SQ_EUlSP_E0_NS1_11comp_targetILNS1_3genE3ELNS1_11target_archE908ELNS1_3gpuE7ELNS1_3repE0EEENS1_30default_config_static_selectorELNS0_4arch9wavefront6targetE1EEEvT1_ ; -- Begin function _ZN7rocprim17ROCPRIM_400000_NS6detail17trampoline_kernelINS0_14default_configENS1_20scan_config_selectorItEEZZNS1_9scan_implILNS1_25lookback_scan_determinismE0ELb0ELb0ES3_N6thrust23THRUST_200600_302600_NS6detail15normal_iteratorINS9_10device_ptrItEEEESE_t11max_functorItEtEEDaPvRmT3_T4_T5_mT6_P12ihipStream_tbENKUlT_T0_E_clISt17integral_constantIbLb1EEST_IbLb0EEEEDaSP_SQ_EUlSP_E0_NS1_11comp_targetILNS1_3genE3ELNS1_11target_archE908ELNS1_3gpuE7ELNS1_3repE0EEENS1_30default_config_static_selectorELNS0_4arch9wavefront6targetE1EEEvT1_
	.globl	_ZN7rocprim17ROCPRIM_400000_NS6detail17trampoline_kernelINS0_14default_configENS1_20scan_config_selectorItEEZZNS1_9scan_implILNS1_25lookback_scan_determinismE0ELb0ELb0ES3_N6thrust23THRUST_200600_302600_NS6detail15normal_iteratorINS9_10device_ptrItEEEESE_t11max_functorItEtEEDaPvRmT3_T4_T5_mT6_P12ihipStream_tbENKUlT_T0_E_clISt17integral_constantIbLb1EEST_IbLb0EEEEDaSP_SQ_EUlSP_E0_NS1_11comp_targetILNS1_3genE3ELNS1_11target_archE908ELNS1_3gpuE7ELNS1_3repE0EEENS1_30default_config_static_selectorELNS0_4arch9wavefront6targetE1EEEvT1_
	.p2align	8
	.type	_ZN7rocprim17ROCPRIM_400000_NS6detail17trampoline_kernelINS0_14default_configENS1_20scan_config_selectorItEEZZNS1_9scan_implILNS1_25lookback_scan_determinismE0ELb0ELb0ES3_N6thrust23THRUST_200600_302600_NS6detail15normal_iteratorINS9_10device_ptrItEEEESE_t11max_functorItEtEEDaPvRmT3_T4_T5_mT6_P12ihipStream_tbENKUlT_T0_E_clISt17integral_constantIbLb1EEST_IbLb0EEEEDaSP_SQ_EUlSP_E0_NS1_11comp_targetILNS1_3genE3ELNS1_11target_archE908ELNS1_3gpuE7ELNS1_3repE0EEENS1_30default_config_static_selectorELNS0_4arch9wavefront6targetE1EEEvT1_,@function
_ZN7rocprim17ROCPRIM_400000_NS6detail17trampoline_kernelINS0_14default_configENS1_20scan_config_selectorItEEZZNS1_9scan_implILNS1_25lookback_scan_determinismE0ELb0ELb0ES3_N6thrust23THRUST_200600_302600_NS6detail15normal_iteratorINS9_10device_ptrItEEEESE_t11max_functorItEtEEDaPvRmT3_T4_T5_mT6_P12ihipStream_tbENKUlT_T0_E_clISt17integral_constantIbLb1EEST_IbLb0EEEEDaSP_SQ_EUlSP_E0_NS1_11comp_targetILNS1_3genE3ELNS1_11target_archE908ELNS1_3gpuE7ELNS1_3repE0EEENS1_30default_config_static_selectorELNS0_4arch9wavefront6targetE1EEEvT1_: ; @_ZN7rocprim17ROCPRIM_400000_NS6detail17trampoline_kernelINS0_14default_configENS1_20scan_config_selectorItEEZZNS1_9scan_implILNS1_25lookback_scan_determinismE0ELb0ELb0ES3_N6thrust23THRUST_200600_302600_NS6detail15normal_iteratorINS9_10device_ptrItEEEESE_t11max_functorItEtEEDaPvRmT3_T4_T5_mT6_P12ihipStream_tbENKUlT_T0_E_clISt17integral_constantIbLb1EEST_IbLb0EEEEDaSP_SQ_EUlSP_E0_NS1_11comp_targetILNS1_3genE3ELNS1_11target_archE908ELNS1_3gpuE7ELNS1_3repE0EEENS1_30default_config_static_selectorELNS0_4arch9wavefront6targetE1EEEvT1_
; %bb.0:
	.section	.rodata,"a",@progbits
	.p2align	6, 0x0
	.amdhsa_kernel _ZN7rocprim17ROCPRIM_400000_NS6detail17trampoline_kernelINS0_14default_configENS1_20scan_config_selectorItEEZZNS1_9scan_implILNS1_25lookback_scan_determinismE0ELb0ELb0ES3_N6thrust23THRUST_200600_302600_NS6detail15normal_iteratorINS9_10device_ptrItEEEESE_t11max_functorItEtEEDaPvRmT3_T4_T5_mT6_P12ihipStream_tbENKUlT_T0_E_clISt17integral_constantIbLb1EEST_IbLb0EEEEDaSP_SQ_EUlSP_E0_NS1_11comp_targetILNS1_3genE3ELNS1_11target_archE908ELNS1_3gpuE7ELNS1_3repE0EEENS1_30default_config_static_selectorELNS0_4arch9wavefront6targetE1EEEvT1_
		.amdhsa_group_segment_fixed_size 0
		.amdhsa_private_segment_fixed_size 0
		.amdhsa_kernarg_size 32
		.amdhsa_user_sgpr_count 6
		.amdhsa_user_sgpr_private_segment_buffer 1
		.amdhsa_user_sgpr_dispatch_ptr 0
		.amdhsa_user_sgpr_queue_ptr 0
		.amdhsa_user_sgpr_kernarg_segment_ptr 1
		.amdhsa_user_sgpr_dispatch_id 0
		.amdhsa_user_sgpr_flat_scratch_init 0
		.amdhsa_user_sgpr_kernarg_preload_length 0
		.amdhsa_user_sgpr_kernarg_preload_offset 0
		.amdhsa_user_sgpr_private_segment_size 0
		.amdhsa_uses_dynamic_stack 0
		.amdhsa_system_sgpr_private_segment_wavefront_offset 0
		.amdhsa_system_sgpr_workgroup_id_x 1
		.amdhsa_system_sgpr_workgroup_id_y 0
		.amdhsa_system_sgpr_workgroup_id_z 0
		.amdhsa_system_sgpr_workgroup_info 0
		.amdhsa_system_vgpr_workitem_id 0
		.amdhsa_next_free_vgpr 1
		.amdhsa_next_free_sgpr 0
		.amdhsa_accum_offset 4
		.amdhsa_reserve_vcc 0
		.amdhsa_reserve_flat_scratch 0
		.amdhsa_float_round_mode_32 0
		.amdhsa_float_round_mode_16_64 0
		.amdhsa_float_denorm_mode_32 3
		.amdhsa_float_denorm_mode_16_64 3
		.amdhsa_dx10_clamp 1
		.amdhsa_ieee_mode 1
		.amdhsa_fp16_overflow 0
		.amdhsa_tg_split 0
		.amdhsa_exception_fp_ieee_invalid_op 0
		.amdhsa_exception_fp_denorm_src 0
		.amdhsa_exception_fp_ieee_div_zero 0
		.amdhsa_exception_fp_ieee_overflow 0
		.amdhsa_exception_fp_ieee_underflow 0
		.amdhsa_exception_fp_ieee_inexact 0
		.amdhsa_exception_int_div_zero 0
	.end_amdhsa_kernel
	.section	.text._ZN7rocprim17ROCPRIM_400000_NS6detail17trampoline_kernelINS0_14default_configENS1_20scan_config_selectorItEEZZNS1_9scan_implILNS1_25lookback_scan_determinismE0ELb0ELb0ES3_N6thrust23THRUST_200600_302600_NS6detail15normal_iteratorINS9_10device_ptrItEEEESE_t11max_functorItEtEEDaPvRmT3_T4_T5_mT6_P12ihipStream_tbENKUlT_T0_E_clISt17integral_constantIbLb1EEST_IbLb0EEEEDaSP_SQ_EUlSP_E0_NS1_11comp_targetILNS1_3genE3ELNS1_11target_archE908ELNS1_3gpuE7ELNS1_3repE0EEENS1_30default_config_static_selectorELNS0_4arch9wavefront6targetE1EEEvT1_,"axG",@progbits,_ZN7rocprim17ROCPRIM_400000_NS6detail17trampoline_kernelINS0_14default_configENS1_20scan_config_selectorItEEZZNS1_9scan_implILNS1_25lookback_scan_determinismE0ELb0ELb0ES3_N6thrust23THRUST_200600_302600_NS6detail15normal_iteratorINS9_10device_ptrItEEEESE_t11max_functorItEtEEDaPvRmT3_T4_T5_mT6_P12ihipStream_tbENKUlT_T0_E_clISt17integral_constantIbLb1EEST_IbLb0EEEEDaSP_SQ_EUlSP_E0_NS1_11comp_targetILNS1_3genE3ELNS1_11target_archE908ELNS1_3gpuE7ELNS1_3repE0EEENS1_30default_config_static_selectorELNS0_4arch9wavefront6targetE1EEEvT1_,comdat
.Lfunc_end2461:
	.size	_ZN7rocprim17ROCPRIM_400000_NS6detail17trampoline_kernelINS0_14default_configENS1_20scan_config_selectorItEEZZNS1_9scan_implILNS1_25lookback_scan_determinismE0ELb0ELb0ES3_N6thrust23THRUST_200600_302600_NS6detail15normal_iteratorINS9_10device_ptrItEEEESE_t11max_functorItEtEEDaPvRmT3_T4_T5_mT6_P12ihipStream_tbENKUlT_T0_E_clISt17integral_constantIbLb1EEST_IbLb0EEEEDaSP_SQ_EUlSP_E0_NS1_11comp_targetILNS1_3genE3ELNS1_11target_archE908ELNS1_3gpuE7ELNS1_3repE0EEENS1_30default_config_static_selectorELNS0_4arch9wavefront6targetE1EEEvT1_, .Lfunc_end2461-_ZN7rocprim17ROCPRIM_400000_NS6detail17trampoline_kernelINS0_14default_configENS1_20scan_config_selectorItEEZZNS1_9scan_implILNS1_25lookback_scan_determinismE0ELb0ELb0ES3_N6thrust23THRUST_200600_302600_NS6detail15normal_iteratorINS9_10device_ptrItEEEESE_t11max_functorItEtEEDaPvRmT3_T4_T5_mT6_P12ihipStream_tbENKUlT_T0_E_clISt17integral_constantIbLb1EEST_IbLb0EEEEDaSP_SQ_EUlSP_E0_NS1_11comp_targetILNS1_3genE3ELNS1_11target_archE908ELNS1_3gpuE7ELNS1_3repE0EEENS1_30default_config_static_selectorELNS0_4arch9wavefront6targetE1EEEvT1_
                                        ; -- End function
	.section	.AMDGPU.csdata,"",@progbits
; Kernel info:
; codeLenInByte = 0
; NumSgprs: 4
; NumVgprs: 0
; NumAgprs: 0
; TotalNumVgprs: 0
; ScratchSize: 0
; MemoryBound: 0
; FloatMode: 240
; IeeeMode: 1
; LDSByteSize: 0 bytes/workgroup (compile time only)
; SGPRBlocks: 0
; VGPRBlocks: 0
; NumSGPRsForWavesPerEU: 4
; NumVGPRsForWavesPerEU: 1
; AccumOffset: 4
; Occupancy: 8
; WaveLimiterHint : 0
; COMPUTE_PGM_RSRC2:SCRATCH_EN: 0
; COMPUTE_PGM_RSRC2:USER_SGPR: 6
; COMPUTE_PGM_RSRC2:TRAP_HANDLER: 0
; COMPUTE_PGM_RSRC2:TGID_X_EN: 1
; COMPUTE_PGM_RSRC2:TGID_Y_EN: 0
; COMPUTE_PGM_RSRC2:TGID_Z_EN: 0
; COMPUTE_PGM_RSRC2:TIDIG_COMP_CNT: 0
; COMPUTE_PGM_RSRC3_GFX90A:ACCUM_OFFSET: 0
; COMPUTE_PGM_RSRC3_GFX90A:TG_SPLIT: 0
	.section	.text._ZN7rocprim17ROCPRIM_400000_NS6detail17trampoline_kernelINS0_14default_configENS1_20scan_config_selectorItEEZZNS1_9scan_implILNS1_25lookback_scan_determinismE0ELb0ELb0ES3_N6thrust23THRUST_200600_302600_NS6detail15normal_iteratorINS9_10device_ptrItEEEESE_t11max_functorItEtEEDaPvRmT3_T4_T5_mT6_P12ihipStream_tbENKUlT_T0_E_clISt17integral_constantIbLb1EEST_IbLb0EEEEDaSP_SQ_EUlSP_E0_NS1_11comp_targetILNS1_3genE2ELNS1_11target_archE906ELNS1_3gpuE6ELNS1_3repE0EEENS1_30default_config_static_selectorELNS0_4arch9wavefront6targetE1EEEvT1_,"axG",@progbits,_ZN7rocprim17ROCPRIM_400000_NS6detail17trampoline_kernelINS0_14default_configENS1_20scan_config_selectorItEEZZNS1_9scan_implILNS1_25lookback_scan_determinismE0ELb0ELb0ES3_N6thrust23THRUST_200600_302600_NS6detail15normal_iteratorINS9_10device_ptrItEEEESE_t11max_functorItEtEEDaPvRmT3_T4_T5_mT6_P12ihipStream_tbENKUlT_T0_E_clISt17integral_constantIbLb1EEST_IbLb0EEEEDaSP_SQ_EUlSP_E0_NS1_11comp_targetILNS1_3genE2ELNS1_11target_archE906ELNS1_3gpuE6ELNS1_3repE0EEENS1_30default_config_static_selectorELNS0_4arch9wavefront6targetE1EEEvT1_,comdat
	.protected	_ZN7rocprim17ROCPRIM_400000_NS6detail17trampoline_kernelINS0_14default_configENS1_20scan_config_selectorItEEZZNS1_9scan_implILNS1_25lookback_scan_determinismE0ELb0ELb0ES3_N6thrust23THRUST_200600_302600_NS6detail15normal_iteratorINS9_10device_ptrItEEEESE_t11max_functorItEtEEDaPvRmT3_T4_T5_mT6_P12ihipStream_tbENKUlT_T0_E_clISt17integral_constantIbLb1EEST_IbLb0EEEEDaSP_SQ_EUlSP_E0_NS1_11comp_targetILNS1_3genE2ELNS1_11target_archE906ELNS1_3gpuE6ELNS1_3repE0EEENS1_30default_config_static_selectorELNS0_4arch9wavefront6targetE1EEEvT1_ ; -- Begin function _ZN7rocprim17ROCPRIM_400000_NS6detail17trampoline_kernelINS0_14default_configENS1_20scan_config_selectorItEEZZNS1_9scan_implILNS1_25lookback_scan_determinismE0ELb0ELb0ES3_N6thrust23THRUST_200600_302600_NS6detail15normal_iteratorINS9_10device_ptrItEEEESE_t11max_functorItEtEEDaPvRmT3_T4_T5_mT6_P12ihipStream_tbENKUlT_T0_E_clISt17integral_constantIbLb1EEST_IbLb0EEEEDaSP_SQ_EUlSP_E0_NS1_11comp_targetILNS1_3genE2ELNS1_11target_archE906ELNS1_3gpuE6ELNS1_3repE0EEENS1_30default_config_static_selectorELNS0_4arch9wavefront6targetE1EEEvT1_
	.globl	_ZN7rocprim17ROCPRIM_400000_NS6detail17trampoline_kernelINS0_14default_configENS1_20scan_config_selectorItEEZZNS1_9scan_implILNS1_25lookback_scan_determinismE0ELb0ELb0ES3_N6thrust23THRUST_200600_302600_NS6detail15normal_iteratorINS9_10device_ptrItEEEESE_t11max_functorItEtEEDaPvRmT3_T4_T5_mT6_P12ihipStream_tbENKUlT_T0_E_clISt17integral_constantIbLb1EEST_IbLb0EEEEDaSP_SQ_EUlSP_E0_NS1_11comp_targetILNS1_3genE2ELNS1_11target_archE906ELNS1_3gpuE6ELNS1_3repE0EEENS1_30default_config_static_selectorELNS0_4arch9wavefront6targetE1EEEvT1_
	.p2align	8
	.type	_ZN7rocprim17ROCPRIM_400000_NS6detail17trampoline_kernelINS0_14default_configENS1_20scan_config_selectorItEEZZNS1_9scan_implILNS1_25lookback_scan_determinismE0ELb0ELb0ES3_N6thrust23THRUST_200600_302600_NS6detail15normal_iteratorINS9_10device_ptrItEEEESE_t11max_functorItEtEEDaPvRmT3_T4_T5_mT6_P12ihipStream_tbENKUlT_T0_E_clISt17integral_constantIbLb1EEST_IbLb0EEEEDaSP_SQ_EUlSP_E0_NS1_11comp_targetILNS1_3genE2ELNS1_11target_archE906ELNS1_3gpuE6ELNS1_3repE0EEENS1_30default_config_static_selectorELNS0_4arch9wavefront6targetE1EEEvT1_,@function
_ZN7rocprim17ROCPRIM_400000_NS6detail17trampoline_kernelINS0_14default_configENS1_20scan_config_selectorItEEZZNS1_9scan_implILNS1_25lookback_scan_determinismE0ELb0ELb0ES3_N6thrust23THRUST_200600_302600_NS6detail15normal_iteratorINS9_10device_ptrItEEEESE_t11max_functorItEtEEDaPvRmT3_T4_T5_mT6_P12ihipStream_tbENKUlT_T0_E_clISt17integral_constantIbLb1EEST_IbLb0EEEEDaSP_SQ_EUlSP_E0_NS1_11comp_targetILNS1_3genE2ELNS1_11target_archE906ELNS1_3gpuE6ELNS1_3repE0EEENS1_30default_config_static_selectorELNS0_4arch9wavefront6targetE1EEEvT1_: ; @_ZN7rocprim17ROCPRIM_400000_NS6detail17trampoline_kernelINS0_14default_configENS1_20scan_config_selectorItEEZZNS1_9scan_implILNS1_25lookback_scan_determinismE0ELb0ELb0ES3_N6thrust23THRUST_200600_302600_NS6detail15normal_iteratorINS9_10device_ptrItEEEESE_t11max_functorItEtEEDaPvRmT3_T4_T5_mT6_P12ihipStream_tbENKUlT_T0_E_clISt17integral_constantIbLb1EEST_IbLb0EEEEDaSP_SQ_EUlSP_E0_NS1_11comp_targetILNS1_3genE2ELNS1_11target_archE906ELNS1_3gpuE6ELNS1_3repE0EEENS1_30default_config_static_selectorELNS0_4arch9wavefront6targetE1EEEvT1_
; %bb.0:
	.section	.rodata,"a",@progbits
	.p2align	6, 0x0
	.amdhsa_kernel _ZN7rocprim17ROCPRIM_400000_NS6detail17trampoline_kernelINS0_14default_configENS1_20scan_config_selectorItEEZZNS1_9scan_implILNS1_25lookback_scan_determinismE0ELb0ELb0ES3_N6thrust23THRUST_200600_302600_NS6detail15normal_iteratorINS9_10device_ptrItEEEESE_t11max_functorItEtEEDaPvRmT3_T4_T5_mT6_P12ihipStream_tbENKUlT_T0_E_clISt17integral_constantIbLb1EEST_IbLb0EEEEDaSP_SQ_EUlSP_E0_NS1_11comp_targetILNS1_3genE2ELNS1_11target_archE906ELNS1_3gpuE6ELNS1_3repE0EEENS1_30default_config_static_selectorELNS0_4arch9wavefront6targetE1EEEvT1_
		.amdhsa_group_segment_fixed_size 0
		.amdhsa_private_segment_fixed_size 0
		.amdhsa_kernarg_size 32
		.amdhsa_user_sgpr_count 6
		.amdhsa_user_sgpr_private_segment_buffer 1
		.amdhsa_user_sgpr_dispatch_ptr 0
		.amdhsa_user_sgpr_queue_ptr 0
		.amdhsa_user_sgpr_kernarg_segment_ptr 1
		.amdhsa_user_sgpr_dispatch_id 0
		.amdhsa_user_sgpr_flat_scratch_init 0
		.amdhsa_user_sgpr_kernarg_preload_length 0
		.amdhsa_user_sgpr_kernarg_preload_offset 0
		.amdhsa_user_sgpr_private_segment_size 0
		.amdhsa_uses_dynamic_stack 0
		.amdhsa_system_sgpr_private_segment_wavefront_offset 0
		.amdhsa_system_sgpr_workgroup_id_x 1
		.amdhsa_system_sgpr_workgroup_id_y 0
		.amdhsa_system_sgpr_workgroup_id_z 0
		.amdhsa_system_sgpr_workgroup_info 0
		.amdhsa_system_vgpr_workitem_id 0
		.amdhsa_next_free_vgpr 1
		.amdhsa_next_free_sgpr 0
		.amdhsa_accum_offset 4
		.amdhsa_reserve_vcc 0
		.amdhsa_reserve_flat_scratch 0
		.amdhsa_float_round_mode_32 0
		.amdhsa_float_round_mode_16_64 0
		.amdhsa_float_denorm_mode_32 3
		.amdhsa_float_denorm_mode_16_64 3
		.amdhsa_dx10_clamp 1
		.amdhsa_ieee_mode 1
		.amdhsa_fp16_overflow 0
		.amdhsa_tg_split 0
		.amdhsa_exception_fp_ieee_invalid_op 0
		.amdhsa_exception_fp_denorm_src 0
		.amdhsa_exception_fp_ieee_div_zero 0
		.amdhsa_exception_fp_ieee_overflow 0
		.amdhsa_exception_fp_ieee_underflow 0
		.amdhsa_exception_fp_ieee_inexact 0
		.amdhsa_exception_int_div_zero 0
	.end_amdhsa_kernel
	.section	.text._ZN7rocprim17ROCPRIM_400000_NS6detail17trampoline_kernelINS0_14default_configENS1_20scan_config_selectorItEEZZNS1_9scan_implILNS1_25lookback_scan_determinismE0ELb0ELb0ES3_N6thrust23THRUST_200600_302600_NS6detail15normal_iteratorINS9_10device_ptrItEEEESE_t11max_functorItEtEEDaPvRmT3_T4_T5_mT6_P12ihipStream_tbENKUlT_T0_E_clISt17integral_constantIbLb1EEST_IbLb0EEEEDaSP_SQ_EUlSP_E0_NS1_11comp_targetILNS1_3genE2ELNS1_11target_archE906ELNS1_3gpuE6ELNS1_3repE0EEENS1_30default_config_static_selectorELNS0_4arch9wavefront6targetE1EEEvT1_,"axG",@progbits,_ZN7rocprim17ROCPRIM_400000_NS6detail17trampoline_kernelINS0_14default_configENS1_20scan_config_selectorItEEZZNS1_9scan_implILNS1_25lookback_scan_determinismE0ELb0ELb0ES3_N6thrust23THRUST_200600_302600_NS6detail15normal_iteratorINS9_10device_ptrItEEEESE_t11max_functorItEtEEDaPvRmT3_T4_T5_mT6_P12ihipStream_tbENKUlT_T0_E_clISt17integral_constantIbLb1EEST_IbLb0EEEEDaSP_SQ_EUlSP_E0_NS1_11comp_targetILNS1_3genE2ELNS1_11target_archE906ELNS1_3gpuE6ELNS1_3repE0EEENS1_30default_config_static_selectorELNS0_4arch9wavefront6targetE1EEEvT1_,comdat
.Lfunc_end2462:
	.size	_ZN7rocprim17ROCPRIM_400000_NS6detail17trampoline_kernelINS0_14default_configENS1_20scan_config_selectorItEEZZNS1_9scan_implILNS1_25lookback_scan_determinismE0ELb0ELb0ES3_N6thrust23THRUST_200600_302600_NS6detail15normal_iteratorINS9_10device_ptrItEEEESE_t11max_functorItEtEEDaPvRmT3_T4_T5_mT6_P12ihipStream_tbENKUlT_T0_E_clISt17integral_constantIbLb1EEST_IbLb0EEEEDaSP_SQ_EUlSP_E0_NS1_11comp_targetILNS1_3genE2ELNS1_11target_archE906ELNS1_3gpuE6ELNS1_3repE0EEENS1_30default_config_static_selectorELNS0_4arch9wavefront6targetE1EEEvT1_, .Lfunc_end2462-_ZN7rocprim17ROCPRIM_400000_NS6detail17trampoline_kernelINS0_14default_configENS1_20scan_config_selectorItEEZZNS1_9scan_implILNS1_25lookback_scan_determinismE0ELb0ELb0ES3_N6thrust23THRUST_200600_302600_NS6detail15normal_iteratorINS9_10device_ptrItEEEESE_t11max_functorItEtEEDaPvRmT3_T4_T5_mT6_P12ihipStream_tbENKUlT_T0_E_clISt17integral_constantIbLb1EEST_IbLb0EEEEDaSP_SQ_EUlSP_E0_NS1_11comp_targetILNS1_3genE2ELNS1_11target_archE906ELNS1_3gpuE6ELNS1_3repE0EEENS1_30default_config_static_selectorELNS0_4arch9wavefront6targetE1EEEvT1_
                                        ; -- End function
	.section	.AMDGPU.csdata,"",@progbits
; Kernel info:
; codeLenInByte = 0
; NumSgprs: 4
; NumVgprs: 0
; NumAgprs: 0
; TotalNumVgprs: 0
; ScratchSize: 0
; MemoryBound: 0
; FloatMode: 240
; IeeeMode: 1
; LDSByteSize: 0 bytes/workgroup (compile time only)
; SGPRBlocks: 0
; VGPRBlocks: 0
; NumSGPRsForWavesPerEU: 4
; NumVGPRsForWavesPerEU: 1
; AccumOffset: 4
; Occupancy: 8
; WaveLimiterHint : 0
; COMPUTE_PGM_RSRC2:SCRATCH_EN: 0
; COMPUTE_PGM_RSRC2:USER_SGPR: 6
; COMPUTE_PGM_RSRC2:TRAP_HANDLER: 0
; COMPUTE_PGM_RSRC2:TGID_X_EN: 1
; COMPUTE_PGM_RSRC2:TGID_Y_EN: 0
; COMPUTE_PGM_RSRC2:TGID_Z_EN: 0
; COMPUTE_PGM_RSRC2:TIDIG_COMP_CNT: 0
; COMPUTE_PGM_RSRC3_GFX90A:ACCUM_OFFSET: 0
; COMPUTE_PGM_RSRC3_GFX90A:TG_SPLIT: 0
	.section	.text._ZN7rocprim17ROCPRIM_400000_NS6detail17trampoline_kernelINS0_14default_configENS1_20scan_config_selectorItEEZZNS1_9scan_implILNS1_25lookback_scan_determinismE0ELb0ELb0ES3_N6thrust23THRUST_200600_302600_NS6detail15normal_iteratorINS9_10device_ptrItEEEESE_t11max_functorItEtEEDaPvRmT3_T4_T5_mT6_P12ihipStream_tbENKUlT_T0_E_clISt17integral_constantIbLb1EEST_IbLb0EEEEDaSP_SQ_EUlSP_E0_NS1_11comp_targetILNS1_3genE10ELNS1_11target_archE1201ELNS1_3gpuE5ELNS1_3repE0EEENS1_30default_config_static_selectorELNS0_4arch9wavefront6targetE1EEEvT1_,"axG",@progbits,_ZN7rocprim17ROCPRIM_400000_NS6detail17trampoline_kernelINS0_14default_configENS1_20scan_config_selectorItEEZZNS1_9scan_implILNS1_25lookback_scan_determinismE0ELb0ELb0ES3_N6thrust23THRUST_200600_302600_NS6detail15normal_iteratorINS9_10device_ptrItEEEESE_t11max_functorItEtEEDaPvRmT3_T4_T5_mT6_P12ihipStream_tbENKUlT_T0_E_clISt17integral_constantIbLb1EEST_IbLb0EEEEDaSP_SQ_EUlSP_E0_NS1_11comp_targetILNS1_3genE10ELNS1_11target_archE1201ELNS1_3gpuE5ELNS1_3repE0EEENS1_30default_config_static_selectorELNS0_4arch9wavefront6targetE1EEEvT1_,comdat
	.protected	_ZN7rocprim17ROCPRIM_400000_NS6detail17trampoline_kernelINS0_14default_configENS1_20scan_config_selectorItEEZZNS1_9scan_implILNS1_25lookback_scan_determinismE0ELb0ELb0ES3_N6thrust23THRUST_200600_302600_NS6detail15normal_iteratorINS9_10device_ptrItEEEESE_t11max_functorItEtEEDaPvRmT3_T4_T5_mT6_P12ihipStream_tbENKUlT_T0_E_clISt17integral_constantIbLb1EEST_IbLb0EEEEDaSP_SQ_EUlSP_E0_NS1_11comp_targetILNS1_3genE10ELNS1_11target_archE1201ELNS1_3gpuE5ELNS1_3repE0EEENS1_30default_config_static_selectorELNS0_4arch9wavefront6targetE1EEEvT1_ ; -- Begin function _ZN7rocprim17ROCPRIM_400000_NS6detail17trampoline_kernelINS0_14default_configENS1_20scan_config_selectorItEEZZNS1_9scan_implILNS1_25lookback_scan_determinismE0ELb0ELb0ES3_N6thrust23THRUST_200600_302600_NS6detail15normal_iteratorINS9_10device_ptrItEEEESE_t11max_functorItEtEEDaPvRmT3_T4_T5_mT6_P12ihipStream_tbENKUlT_T0_E_clISt17integral_constantIbLb1EEST_IbLb0EEEEDaSP_SQ_EUlSP_E0_NS1_11comp_targetILNS1_3genE10ELNS1_11target_archE1201ELNS1_3gpuE5ELNS1_3repE0EEENS1_30default_config_static_selectorELNS0_4arch9wavefront6targetE1EEEvT1_
	.globl	_ZN7rocprim17ROCPRIM_400000_NS6detail17trampoline_kernelINS0_14default_configENS1_20scan_config_selectorItEEZZNS1_9scan_implILNS1_25lookback_scan_determinismE0ELb0ELb0ES3_N6thrust23THRUST_200600_302600_NS6detail15normal_iteratorINS9_10device_ptrItEEEESE_t11max_functorItEtEEDaPvRmT3_T4_T5_mT6_P12ihipStream_tbENKUlT_T0_E_clISt17integral_constantIbLb1EEST_IbLb0EEEEDaSP_SQ_EUlSP_E0_NS1_11comp_targetILNS1_3genE10ELNS1_11target_archE1201ELNS1_3gpuE5ELNS1_3repE0EEENS1_30default_config_static_selectorELNS0_4arch9wavefront6targetE1EEEvT1_
	.p2align	8
	.type	_ZN7rocprim17ROCPRIM_400000_NS6detail17trampoline_kernelINS0_14default_configENS1_20scan_config_selectorItEEZZNS1_9scan_implILNS1_25lookback_scan_determinismE0ELb0ELb0ES3_N6thrust23THRUST_200600_302600_NS6detail15normal_iteratorINS9_10device_ptrItEEEESE_t11max_functorItEtEEDaPvRmT3_T4_T5_mT6_P12ihipStream_tbENKUlT_T0_E_clISt17integral_constantIbLb1EEST_IbLb0EEEEDaSP_SQ_EUlSP_E0_NS1_11comp_targetILNS1_3genE10ELNS1_11target_archE1201ELNS1_3gpuE5ELNS1_3repE0EEENS1_30default_config_static_selectorELNS0_4arch9wavefront6targetE1EEEvT1_,@function
_ZN7rocprim17ROCPRIM_400000_NS6detail17trampoline_kernelINS0_14default_configENS1_20scan_config_selectorItEEZZNS1_9scan_implILNS1_25lookback_scan_determinismE0ELb0ELb0ES3_N6thrust23THRUST_200600_302600_NS6detail15normal_iteratorINS9_10device_ptrItEEEESE_t11max_functorItEtEEDaPvRmT3_T4_T5_mT6_P12ihipStream_tbENKUlT_T0_E_clISt17integral_constantIbLb1EEST_IbLb0EEEEDaSP_SQ_EUlSP_E0_NS1_11comp_targetILNS1_3genE10ELNS1_11target_archE1201ELNS1_3gpuE5ELNS1_3repE0EEENS1_30default_config_static_selectorELNS0_4arch9wavefront6targetE1EEEvT1_: ; @_ZN7rocprim17ROCPRIM_400000_NS6detail17trampoline_kernelINS0_14default_configENS1_20scan_config_selectorItEEZZNS1_9scan_implILNS1_25lookback_scan_determinismE0ELb0ELb0ES3_N6thrust23THRUST_200600_302600_NS6detail15normal_iteratorINS9_10device_ptrItEEEESE_t11max_functorItEtEEDaPvRmT3_T4_T5_mT6_P12ihipStream_tbENKUlT_T0_E_clISt17integral_constantIbLb1EEST_IbLb0EEEEDaSP_SQ_EUlSP_E0_NS1_11comp_targetILNS1_3genE10ELNS1_11target_archE1201ELNS1_3gpuE5ELNS1_3repE0EEENS1_30default_config_static_selectorELNS0_4arch9wavefront6targetE1EEEvT1_
; %bb.0:
	.section	.rodata,"a",@progbits
	.p2align	6, 0x0
	.amdhsa_kernel _ZN7rocprim17ROCPRIM_400000_NS6detail17trampoline_kernelINS0_14default_configENS1_20scan_config_selectorItEEZZNS1_9scan_implILNS1_25lookback_scan_determinismE0ELb0ELb0ES3_N6thrust23THRUST_200600_302600_NS6detail15normal_iteratorINS9_10device_ptrItEEEESE_t11max_functorItEtEEDaPvRmT3_T4_T5_mT6_P12ihipStream_tbENKUlT_T0_E_clISt17integral_constantIbLb1EEST_IbLb0EEEEDaSP_SQ_EUlSP_E0_NS1_11comp_targetILNS1_3genE10ELNS1_11target_archE1201ELNS1_3gpuE5ELNS1_3repE0EEENS1_30default_config_static_selectorELNS0_4arch9wavefront6targetE1EEEvT1_
		.amdhsa_group_segment_fixed_size 0
		.amdhsa_private_segment_fixed_size 0
		.amdhsa_kernarg_size 32
		.amdhsa_user_sgpr_count 6
		.amdhsa_user_sgpr_private_segment_buffer 1
		.amdhsa_user_sgpr_dispatch_ptr 0
		.amdhsa_user_sgpr_queue_ptr 0
		.amdhsa_user_sgpr_kernarg_segment_ptr 1
		.amdhsa_user_sgpr_dispatch_id 0
		.amdhsa_user_sgpr_flat_scratch_init 0
		.amdhsa_user_sgpr_kernarg_preload_length 0
		.amdhsa_user_sgpr_kernarg_preload_offset 0
		.amdhsa_user_sgpr_private_segment_size 0
		.amdhsa_uses_dynamic_stack 0
		.amdhsa_system_sgpr_private_segment_wavefront_offset 0
		.amdhsa_system_sgpr_workgroup_id_x 1
		.amdhsa_system_sgpr_workgroup_id_y 0
		.amdhsa_system_sgpr_workgroup_id_z 0
		.amdhsa_system_sgpr_workgroup_info 0
		.amdhsa_system_vgpr_workitem_id 0
		.amdhsa_next_free_vgpr 1
		.amdhsa_next_free_sgpr 0
		.amdhsa_accum_offset 4
		.amdhsa_reserve_vcc 0
		.amdhsa_reserve_flat_scratch 0
		.amdhsa_float_round_mode_32 0
		.amdhsa_float_round_mode_16_64 0
		.amdhsa_float_denorm_mode_32 3
		.amdhsa_float_denorm_mode_16_64 3
		.amdhsa_dx10_clamp 1
		.amdhsa_ieee_mode 1
		.amdhsa_fp16_overflow 0
		.amdhsa_tg_split 0
		.amdhsa_exception_fp_ieee_invalid_op 0
		.amdhsa_exception_fp_denorm_src 0
		.amdhsa_exception_fp_ieee_div_zero 0
		.amdhsa_exception_fp_ieee_overflow 0
		.amdhsa_exception_fp_ieee_underflow 0
		.amdhsa_exception_fp_ieee_inexact 0
		.amdhsa_exception_int_div_zero 0
	.end_amdhsa_kernel
	.section	.text._ZN7rocprim17ROCPRIM_400000_NS6detail17trampoline_kernelINS0_14default_configENS1_20scan_config_selectorItEEZZNS1_9scan_implILNS1_25lookback_scan_determinismE0ELb0ELb0ES3_N6thrust23THRUST_200600_302600_NS6detail15normal_iteratorINS9_10device_ptrItEEEESE_t11max_functorItEtEEDaPvRmT3_T4_T5_mT6_P12ihipStream_tbENKUlT_T0_E_clISt17integral_constantIbLb1EEST_IbLb0EEEEDaSP_SQ_EUlSP_E0_NS1_11comp_targetILNS1_3genE10ELNS1_11target_archE1201ELNS1_3gpuE5ELNS1_3repE0EEENS1_30default_config_static_selectorELNS0_4arch9wavefront6targetE1EEEvT1_,"axG",@progbits,_ZN7rocprim17ROCPRIM_400000_NS6detail17trampoline_kernelINS0_14default_configENS1_20scan_config_selectorItEEZZNS1_9scan_implILNS1_25lookback_scan_determinismE0ELb0ELb0ES3_N6thrust23THRUST_200600_302600_NS6detail15normal_iteratorINS9_10device_ptrItEEEESE_t11max_functorItEtEEDaPvRmT3_T4_T5_mT6_P12ihipStream_tbENKUlT_T0_E_clISt17integral_constantIbLb1EEST_IbLb0EEEEDaSP_SQ_EUlSP_E0_NS1_11comp_targetILNS1_3genE10ELNS1_11target_archE1201ELNS1_3gpuE5ELNS1_3repE0EEENS1_30default_config_static_selectorELNS0_4arch9wavefront6targetE1EEEvT1_,comdat
.Lfunc_end2463:
	.size	_ZN7rocprim17ROCPRIM_400000_NS6detail17trampoline_kernelINS0_14default_configENS1_20scan_config_selectorItEEZZNS1_9scan_implILNS1_25lookback_scan_determinismE0ELb0ELb0ES3_N6thrust23THRUST_200600_302600_NS6detail15normal_iteratorINS9_10device_ptrItEEEESE_t11max_functorItEtEEDaPvRmT3_T4_T5_mT6_P12ihipStream_tbENKUlT_T0_E_clISt17integral_constantIbLb1EEST_IbLb0EEEEDaSP_SQ_EUlSP_E0_NS1_11comp_targetILNS1_3genE10ELNS1_11target_archE1201ELNS1_3gpuE5ELNS1_3repE0EEENS1_30default_config_static_selectorELNS0_4arch9wavefront6targetE1EEEvT1_, .Lfunc_end2463-_ZN7rocprim17ROCPRIM_400000_NS6detail17trampoline_kernelINS0_14default_configENS1_20scan_config_selectorItEEZZNS1_9scan_implILNS1_25lookback_scan_determinismE0ELb0ELb0ES3_N6thrust23THRUST_200600_302600_NS6detail15normal_iteratorINS9_10device_ptrItEEEESE_t11max_functorItEtEEDaPvRmT3_T4_T5_mT6_P12ihipStream_tbENKUlT_T0_E_clISt17integral_constantIbLb1EEST_IbLb0EEEEDaSP_SQ_EUlSP_E0_NS1_11comp_targetILNS1_3genE10ELNS1_11target_archE1201ELNS1_3gpuE5ELNS1_3repE0EEENS1_30default_config_static_selectorELNS0_4arch9wavefront6targetE1EEEvT1_
                                        ; -- End function
	.section	.AMDGPU.csdata,"",@progbits
; Kernel info:
; codeLenInByte = 0
; NumSgprs: 4
; NumVgprs: 0
; NumAgprs: 0
; TotalNumVgprs: 0
; ScratchSize: 0
; MemoryBound: 0
; FloatMode: 240
; IeeeMode: 1
; LDSByteSize: 0 bytes/workgroup (compile time only)
; SGPRBlocks: 0
; VGPRBlocks: 0
; NumSGPRsForWavesPerEU: 4
; NumVGPRsForWavesPerEU: 1
; AccumOffset: 4
; Occupancy: 8
; WaveLimiterHint : 0
; COMPUTE_PGM_RSRC2:SCRATCH_EN: 0
; COMPUTE_PGM_RSRC2:USER_SGPR: 6
; COMPUTE_PGM_RSRC2:TRAP_HANDLER: 0
; COMPUTE_PGM_RSRC2:TGID_X_EN: 1
; COMPUTE_PGM_RSRC2:TGID_Y_EN: 0
; COMPUTE_PGM_RSRC2:TGID_Z_EN: 0
; COMPUTE_PGM_RSRC2:TIDIG_COMP_CNT: 0
; COMPUTE_PGM_RSRC3_GFX90A:ACCUM_OFFSET: 0
; COMPUTE_PGM_RSRC3_GFX90A:TG_SPLIT: 0
	.section	.text._ZN7rocprim17ROCPRIM_400000_NS6detail17trampoline_kernelINS0_14default_configENS1_20scan_config_selectorItEEZZNS1_9scan_implILNS1_25lookback_scan_determinismE0ELb0ELb0ES3_N6thrust23THRUST_200600_302600_NS6detail15normal_iteratorINS9_10device_ptrItEEEESE_t11max_functorItEtEEDaPvRmT3_T4_T5_mT6_P12ihipStream_tbENKUlT_T0_E_clISt17integral_constantIbLb1EEST_IbLb0EEEEDaSP_SQ_EUlSP_E0_NS1_11comp_targetILNS1_3genE10ELNS1_11target_archE1200ELNS1_3gpuE4ELNS1_3repE0EEENS1_30default_config_static_selectorELNS0_4arch9wavefront6targetE1EEEvT1_,"axG",@progbits,_ZN7rocprim17ROCPRIM_400000_NS6detail17trampoline_kernelINS0_14default_configENS1_20scan_config_selectorItEEZZNS1_9scan_implILNS1_25lookback_scan_determinismE0ELb0ELb0ES3_N6thrust23THRUST_200600_302600_NS6detail15normal_iteratorINS9_10device_ptrItEEEESE_t11max_functorItEtEEDaPvRmT3_T4_T5_mT6_P12ihipStream_tbENKUlT_T0_E_clISt17integral_constantIbLb1EEST_IbLb0EEEEDaSP_SQ_EUlSP_E0_NS1_11comp_targetILNS1_3genE10ELNS1_11target_archE1200ELNS1_3gpuE4ELNS1_3repE0EEENS1_30default_config_static_selectorELNS0_4arch9wavefront6targetE1EEEvT1_,comdat
	.protected	_ZN7rocprim17ROCPRIM_400000_NS6detail17trampoline_kernelINS0_14default_configENS1_20scan_config_selectorItEEZZNS1_9scan_implILNS1_25lookback_scan_determinismE0ELb0ELb0ES3_N6thrust23THRUST_200600_302600_NS6detail15normal_iteratorINS9_10device_ptrItEEEESE_t11max_functorItEtEEDaPvRmT3_T4_T5_mT6_P12ihipStream_tbENKUlT_T0_E_clISt17integral_constantIbLb1EEST_IbLb0EEEEDaSP_SQ_EUlSP_E0_NS1_11comp_targetILNS1_3genE10ELNS1_11target_archE1200ELNS1_3gpuE4ELNS1_3repE0EEENS1_30default_config_static_selectorELNS0_4arch9wavefront6targetE1EEEvT1_ ; -- Begin function _ZN7rocprim17ROCPRIM_400000_NS6detail17trampoline_kernelINS0_14default_configENS1_20scan_config_selectorItEEZZNS1_9scan_implILNS1_25lookback_scan_determinismE0ELb0ELb0ES3_N6thrust23THRUST_200600_302600_NS6detail15normal_iteratorINS9_10device_ptrItEEEESE_t11max_functorItEtEEDaPvRmT3_T4_T5_mT6_P12ihipStream_tbENKUlT_T0_E_clISt17integral_constantIbLb1EEST_IbLb0EEEEDaSP_SQ_EUlSP_E0_NS1_11comp_targetILNS1_3genE10ELNS1_11target_archE1200ELNS1_3gpuE4ELNS1_3repE0EEENS1_30default_config_static_selectorELNS0_4arch9wavefront6targetE1EEEvT1_
	.globl	_ZN7rocprim17ROCPRIM_400000_NS6detail17trampoline_kernelINS0_14default_configENS1_20scan_config_selectorItEEZZNS1_9scan_implILNS1_25lookback_scan_determinismE0ELb0ELb0ES3_N6thrust23THRUST_200600_302600_NS6detail15normal_iteratorINS9_10device_ptrItEEEESE_t11max_functorItEtEEDaPvRmT3_T4_T5_mT6_P12ihipStream_tbENKUlT_T0_E_clISt17integral_constantIbLb1EEST_IbLb0EEEEDaSP_SQ_EUlSP_E0_NS1_11comp_targetILNS1_3genE10ELNS1_11target_archE1200ELNS1_3gpuE4ELNS1_3repE0EEENS1_30default_config_static_selectorELNS0_4arch9wavefront6targetE1EEEvT1_
	.p2align	8
	.type	_ZN7rocprim17ROCPRIM_400000_NS6detail17trampoline_kernelINS0_14default_configENS1_20scan_config_selectorItEEZZNS1_9scan_implILNS1_25lookback_scan_determinismE0ELb0ELb0ES3_N6thrust23THRUST_200600_302600_NS6detail15normal_iteratorINS9_10device_ptrItEEEESE_t11max_functorItEtEEDaPvRmT3_T4_T5_mT6_P12ihipStream_tbENKUlT_T0_E_clISt17integral_constantIbLb1EEST_IbLb0EEEEDaSP_SQ_EUlSP_E0_NS1_11comp_targetILNS1_3genE10ELNS1_11target_archE1200ELNS1_3gpuE4ELNS1_3repE0EEENS1_30default_config_static_selectorELNS0_4arch9wavefront6targetE1EEEvT1_,@function
_ZN7rocprim17ROCPRIM_400000_NS6detail17trampoline_kernelINS0_14default_configENS1_20scan_config_selectorItEEZZNS1_9scan_implILNS1_25lookback_scan_determinismE0ELb0ELb0ES3_N6thrust23THRUST_200600_302600_NS6detail15normal_iteratorINS9_10device_ptrItEEEESE_t11max_functorItEtEEDaPvRmT3_T4_T5_mT6_P12ihipStream_tbENKUlT_T0_E_clISt17integral_constantIbLb1EEST_IbLb0EEEEDaSP_SQ_EUlSP_E0_NS1_11comp_targetILNS1_3genE10ELNS1_11target_archE1200ELNS1_3gpuE4ELNS1_3repE0EEENS1_30default_config_static_selectorELNS0_4arch9wavefront6targetE1EEEvT1_: ; @_ZN7rocprim17ROCPRIM_400000_NS6detail17trampoline_kernelINS0_14default_configENS1_20scan_config_selectorItEEZZNS1_9scan_implILNS1_25lookback_scan_determinismE0ELb0ELb0ES3_N6thrust23THRUST_200600_302600_NS6detail15normal_iteratorINS9_10device_ptrItEEEESE_t11max_functorItEtEEDaPvRmT3_T4_T5_mT6_P12ihipStream_tbENKUlT_T0_E_clISt17integral_constantIbLb1EEST_IbLb0EEEEDaSP_SQ_EUlSP_E0_NS1_11comp_targetILNS1_3genE10ELNS1_11target_archE1200ELNS1_3gpuE4ELNS1_3repE0EEENS1_30default_config_static_selectorELNS0_4arch9wavefront6targetE1EEEvT1_
; %bb.0:
	.section	.rodata,"a",@progbits
	.p2align	6, 0x0
	.amdhsa_kernel _ZN7rocprim17ROCPRIM_400000_NS6detail17trampoline_kernelINS0_14default_configENS1_20scan_config_selectorItEEZZNS1_9scan_implILNS1_25lookback_scan_determinismE0ELb0ELb0ES3_N6thrust23THRUST_200600_302600_NS6detail15normal_iteratorINS9_10device_ptrItEEEESE_t11max_functorItEtEEDaPvRmT3_T4_T5_mT6_P12ihipStream_tbENKUlT_T0_E_clISt17integral_constantIbLb1EEST_IbLb0EEEEDaSP_SQ_EUlSP_E0_NS1_11comp_targetILNS1_3genE10ELNS1_11target_archE1200ELNS1_3gpuE4ELNS1_3repE0EEENS1_30default_config_static_selectorELNS0_4arch9wavefront6targetE1EEEvT1_
		.amdhsa_group_segment_fixed_size 0
		.amdhsa_private_segment_fixed_size 0
		.amdhsa_kernarg_size 32
		.amdhsa_user_sgpr_count 6
		.amdhsa_user_sgpr_private_segment_buffer 1
		.amdhsa_user_sgpr_dispatch_ptr 0
		.amdhsa_user_sgpr_queue_ptr 0
		.amdhsa_user_sgpr_kernarg_segment_ptr 1
		.amdhsa_user_sgpr_dispatch_id 0
		.amdhsa_user_sgpr_flat_scratch_init 0
		.amdhsa_user_sgpr_kernarg_preload_length 0
		.amdhsa_user_sgpr_kernarg_preload_offset 0
		.amdhsa_user_sgpr_private_segment_size 0
		.amdhsa_uses_dynamic_stack 0
		.amdhsa_system_sgpr_private_segment_wavefront_offset 0
		.amdhsa_system_sgpr_workgroup_id_x 1
		.amdhsa_system_sgpr_workgroup_id_y 0
		.amdhsa_system_sgpr_workgroup_id_z 0
		.amdhsa_system_sgpr_workgroup_info 0
		.amdhsa_system_vgpr_workitem_id 0
		.amdhsa_next_free_vgpr 1
		.amdhsa_next_free_sgpr 0
		.amdhsa_accum_offset 4
		.amdhsa_reserve_vcc 0
		.amdhsa_reserve_flat_scratch 0
		.amdhsa_float_round_mode_32 0
		.amdhsa_float_round_mode_16_64 0
		.amdhsa_float_denorm_mode_32 3
		.amdhsa_float_denorm_mode_16_64 3
		.amdhsa_dx10_clamp 1
		.amdhsa_ieee_mode 1
		.amdhsa_fp16_overflow 0
		.amdhsa_tg_split 0
		.amdhsa_exception_fp_ieee_invalid_op 0
		.amdhsa_exception_fp_denorm_src 0
		.amdhsa_exception_fp_ieee_div_zero 0
		.amdhsa_exception_fp_ieee_overflow 0
		.amdhsa_exception_fp_ieee_underflow 0
		.amdhsa_exception_fp_ieee_inexact 0
		.amdhsa_exception_int_div_zero 0
	.end_amdhsa_kernel
	.section	.text._ZN7rocprim17ROCPRIM_400000_NS6detail17trampoline_kernelINS0_14default_configENS1_20scan_config_selectorItEEZZNS1_9scan_implILNS1_25lookback_scan_determinismE0ELb0ELb0ES3_N6thrust23THRUST_200600_302600_NS6detail15normal_iteratorINS9_10device_ptrItEEEESE_t11max_functorItEtEEDaPvRmT3_T4_T5_mT6_P12ihipStream_tbENKUlT_T0_E_clISt17integral_constantIbLb1EEST_IbLb0EEEEDaSP_SQ_EUlSP_E0_NS1_11comp_targetILNS1_3genE10ELNS1_11target_archE1200ELNS1_3gpuE4ELNS1_3repE0EEENS1_30default_config_static_selectorELNS0_4arch9wavefront6targetE1EEEvT1_,"axG",@progbits,_ZN7rocprim17ROCPRIM_400000_NS6detail17trampoline_kernelINS0_14default_configENS1_20scan_config_selectorItEEZZNS1_9scan_implILNS1_25lookback_scan_determinismE0ELb0ELb0ES3_N6thrust23THRUST_200600_302600_NS6detail15normal_iteratorINS9_10device_ptrItEEEESE_t11max_functorItEtEEDaPvRmT3_T4_T5_mT6_P12ihipStream_tbENKUlT_T0_E_clISt17integral_constantIbLb1EEST_IbLb0EEEEDaSP_SQ_EUlSP_E0_NS1_11comp_targetILNS1_3genE10ELNS1_11target_archE1200ELNS1_3gpuE4ELNS1_3repE0EEENS1_30default_config_static_selectorELNS0_4arch9wavefront6targetE1EEEvT1_,comdat
.Lfunc_end2464:
	.size	_ZN7rocprim17ROCPRIM_400000_NS6detail17trampoline_kernelINS0_14default_configENS1_20scan_config_selectorItEEZZNS1_9scan_implILNS1_25lookback_scan_determinismE0ELb0ELb0ES3_N6thrust23THRUST_200600_302600_NS6detail15normal_iteratorINS9_10device_ptrItEEEESE_t11max_functorItEtEEDaPvRmT3_T4_T5_mT6_P12ihipStream_tbENKUlT_T0_E_clISt17integral_constantIbLb1EEST_IbLb0EEEEDaSP_SQ_EUlSP_E0_NS1_11comp_targetILNS1_3genE10ELNS1_11target_archE1200ELNS1_3gpuE4ELNS1_3repE0EEENS1_30default_config_static_selectorELNS0_4arch9wavefront6targetE1EEEvT1_, .Lfunc_end2464-_ZN7rocprim17ROCPRIM_400000_NS6detail17trampoline_kernelINS0_14default_configENS1_20scan_config_selectorItEEZZNS1_9scan_implILNS1_25lookback_scan_determinismE0ELb0ELb0ES3_N6thrust23THRUST_200600_302600_NS6detail15normal_iteratorINS9_10device_ptrItEEEESE_t11max_functorItEtEEDaPvRmT3_T4_T5_mT6_P12ihipStream_tbENKUlT_T0_E_clISt17integral_constantIbLb1EEST_IbLb0EEEEDaSP_SQ_EUlSP_E0_NS1_11comp_targetILNS1_3genE10ELNS1_11target_archE1200ELNS1_3gpuE4ELNS1_3repE0EEENS1_30default_config_static_selectorELNS0_4arch9wavefront6targetE1EEEvT1_
                                        ; -- End function
	.section	.AMDGPU.csdata,"",@progbits
; Kernel info:
; codeLenInByte = 0
; NumSgprs: 4
; NumVgprs: 0
; NumAgprs: 0
; TotalNumVgprs: 0
; ScratchSize: 0
; MemoryBound: 0
; FloatMode: 240
; IeeeMode: 1
; LDSByteSize: 0 bytes/workgroup (compile time only)
; SGPRBlocks: 0
; VGPRBlocks: 0
; NumSGPRsForWavesPerEU: 4
; NumVGPRsForWavesPerEU: 1
; AccumOffset: 4
; Occupancy: 8
; WaveLimiterHint : 0
; COMPUTE_PGM_RSRC2:SCRATCH_EN: 0
; COMPUTE_PGM_RSRC2:USER_SGPR: 6
; COMPUTE_PGM_RSRC2:TRAP_HANDLER: 0
; COMPUTE_PGM_RSRC2:TGID_X_EN: 1
; COMPUTE_PGM_RSRC2:TGID_Y_EN: 0
; COMPUTE_PGM_RSRC2:TGID_Z_EN: 0
; COMPUTE_PGM_RSRC2:TIDIG_COMP_CNT: 0
; COMPUTE_PGM_RSRC3_GFX90A:ACCUM_OFFSET: 0
; COMPUTE_PGM_RSRC3_GFX90A:TG_SPLIT: 0
	.section	.text._ZN7rocprim17ROCPRIM_400000_NS6detail17trampoline_kernelINS0_14default_configENS1_20scan_config_selectorItEEZZNS1_9scan_implILNS1_25lookback_scan_determinismE0ELb0ELb0ES3_N6thrust23THRUST_200600_302600_NS6detail15normal_iteratorINS9_10device_ptrItEEEESE_t11max_functorItEtEEDaPvRmT3_T4_T5_mT6_P12ihipStream_tbENKUlT_T0_E_clISt17integral_constantIbLb1EEST_IbLb0EEEEDaSP_SQ_EUlSP_E0_NS1_11comp_targetILNS1_3genE9ELNS1_11target_archE1100ELNS1_3gpuE3ELNS1_3repE0EEENS1_30default_config_static_selectorELNS0_4arch9wavefront6targetE1EEEvT1_,"axG",@progbits,_ZN7rocprim17ROCPRIM_400000_NS6detail17trampoline_kernelINS0_14default_configENS1_20scan_config_selectorItEEZZNS1_9scan_implILNS1_25lookback_scan_determinismE0ELb0ELb0ES3_N6thrust23THRUST_200600_302600_NS6detail15normal_iteratorINS9_10device_ptrItEEEESE_t11max_functorItEtEEDaPvRmT3_T4_T5_mT6_P12ihipStream_tbENKUlT_T0_E_clISt17integral_constantIbLb1EEST_IbLb0EEEEDaSP_SQ_EUlSP_E0_NS1_11comp_targetILNS1_3genE9ELNS1_11target_archE1100ELNS1_3gpuE3ELNS1_3repE0EEENS1_30default_config_static_selectorELNS0_4arch9wavefront6targetE1EEEvT1_,comdat
	.protected	_ZN7rocprim17ROCPRIM_400000_NS6detail17trampoline_kernelINS0_14default_configENS1_20scan_config_selectorItEEZZNS1_9scan_implILNS1_25lookback_scan_determinismE0ELb0ELb0ES3_N6thrust23THRUST_200600_302600_NS6detail15normal_iteratorINS9_10device_ptrItEEEESE_t11max_functorItEtEEDaPvRmT3_T4_T5_mT6_P12ihipStream_tbENKUlT_T0_E_clISt17integral_constantIbLb1EEST_IbLb0EEEEDaSP_SQ_EUlSP_E0_NS1_11comp_targetILNS1_3genE9ELNS1_11target_archE1100ELNS1_3gpuE3ELNS1_3repE0EEENS1_30default_config_static_selectorELNS0_4arch9wavefront6targetE1EEEvT1_ ; -- Begin function _ZN7rocprim17ROCPRIM_400000_NS6detail17trampoline_kernelINS0_14default_configENS1_20scan_config_selectorItEEZZNS1_9scan_implILNS1_25lookback_scan_determinismE0ELb0ELb0ES3_N6thrust23THRUST_200600_302600_NS6detail15normal_iteratorINS9_10device_ptrItEEEESE_t11max_functorItEtEEDaPvRmT3_T4_T5_mT6_P12ihipStream_tbENKUlT_T0_E_clISt17integral_constantIbLb1EEST_IbLb0EEEEDaSP_SQ_EUlSP_E0_NS1_11comp_targetILNS1_3genE9ELNS1_11target_archE1100ELNS1_3gpuE3ELNS1_3repE0EEENS1_30default_config_static_selectorELNS0_4arch9wavefront6targetE1EEEvT1_
	.globl	_ZN7rocprim17ROCPRIM_400000_NS6detail17trampoline_kernelINS0_14default_configENS1_20scan_config_selectorItEEZZNS1_9scan_implILNS1_25lookback_scan_determinismE0ELb0ELb0ES3_N6thrust23THRUST_200600_302600_NS6detail15normal_iteratorINS9_10device_ptrItEEEESE_t11max_functorItEtEEDaPvRmT3_T4_T5_mT6_P12ihipStream_tbENKUlT_T0_E_clISt17integral_constantIbLb1EEST_IbLb0EEEEDaSP_SQ_EUlSP_E0_NS1_11comp_targetILNS1_3genE9ELNS1_11target_archE1100ELNS1_3gpuE3ELNS1_3repE0EEENS1_30default_config_static_selectorELNS0_4arch9wavefront6targetE1EEEvT1_
	.p2align	8
	.type	_ZN7rocprim17ROCPRIM_400000_NS6detail17trampoline_kernelINS0_14default_configENS1_20scan_config_selectorItEEZZNS1_9scan_implILNS1_25lookback_scan_determinismE0ELb0ELb0ES3_N6thrust23THRUST_200600_302600_NS6detail15normal_iteratorINS9_10device_ptrItEEEESE_t11max_functorItEtEEDaPvRmT3_T4_T5_mT6_P12ihipStream_tbENKUlT_T0_E_clISt17integral_constantIbLb1EEST_IbLb0EEEEDaSP_SQ_EUlSP_E0_NS1_11comp_targetILNS1_3genE9ELNS1_11target_archE1100ELNS1_3gpuE3ELNS1_3repE0EEENS1_30default_config_static_selectorELNS0_4arch9wavefront6targetE1EEEvT1_,@function
_ZN7rocprim17ROCPRIM_400000_NS6detail17trampoline_kernelINS0_14default_configENS1_20scan_config_selectorItEEZZNS1_9scan_implILNS1_25lookback_scan_determinismE0ELb0ELb0ES3_N6thrust23THRUST_200600_302600_NS6detail15normal_iteratorINS9_10device_ptrItEEEESE_t11max_functorItEtEEDaPvRmT3_T4_T5_mT6_P12ihipStream_tbENKUlT_T0_E_clISt17integral_constantIbLb1EEST_IbLb0EEEEDaSP_SQ_EUlSP_E0_NS1_11comp_targetILNS1_3genE9ELNS1_11target_archE1100ELNS1_3gpuE3ELNS1_3repE0EEENS1_30default_config_static_selectorELNS0_4arch9wavefront6targetE1EEEvT1_: ; @_ZN7rocprim17ROCPRIM_400000_NS6detail17trampoline_kernelINS0_14default_configENS1_20scan_config_selectorItEEZZNS1_9scan_implILNS1_25lookback_scan_determinismE0ELb0ELb0ES3_N6thrust23THRUST_200600_302600_NS6detail15normal_iteratorINS9_10device_ptrItEEEESE_t11max_functorItEtEEDaPvRmT3_T4_T5_mT6_P12ihipStream_tbENKUlT_T0_E_clISt17integral_constantIbLb1EEST_IbLb0EEEEDaSP_SQ_EUlSP_E0_NS1_11comp_targetILNS1_3genE9ELNS1_11target_archE1100ELNS1_3gpuE3ELNS1_3repE0EEENS1_30default_config_static_selectorELNS0_4arch9wavefront6targetE1EEEvT1_
; %bb.0:
	.section	.rodata,"a",@progbits
	.p2align	6, 0x0
	.amdhsa_kernel _ZN7rocprim17ROCPRIM_400000_NS6detail17trampoline_kernelINS0_14default_configENS1_20scan_config_selectorItEEZZNS1_9scan_implILNS1_25lookback_scan_determinismE0ELb0ELb0ES3_N6thrust23THRUST_200600_302600_NS6detail15normal_iteratorINS9_10device_ptrItEEEESE_t11max_functorItEtEEDaPvRmT3_T4_T5_mT6_P12ihipStream_tbENKUlT_T0_E_clISt17integral_constantIbLb1EEST_IbLb0EEEEDaSP_SQ_EUlSP_E0_NS1_11comp_targetILNS1_3genE9ELNS1_11target_archE1100ELNS1_3gpuE3ELNS1_3repE0EEENS1_30default_config_static_selectorELNS0_4arch9wavefront6targetE1EEEvT1_
		.amdhsa_group_segment_fixed_size 0
		.amdhsa_private_segment_fixed_size 0
		.amdhsa_kernarg_size 32
		.amdhsa_user_sgpr_count 6
		.amdhsa_user_sgpr_private_segment_buffer 1
		.amdhsa_user_sgpr_dispatch_ptr 0
		.amdhsa_user_sgpr_queue_ptr 0
		.amdhsa_user_sgpr_kernarg_segment_ptr 1
		.amdhsa_user_sgpr_dispatch_id 0
		.amdhsa_user_sgpr_flat_scratch_init 0
		.amdhsa_user_sgpr_kernarg_preload_length 0
		.amdhsa_user_sgpr_kernarg_preload_offset 0
		.amdhsa_user_sgpr_private_segment_size 0
		.amdhsa_uses_dynamic_stack 0
		.amdhsa_system_sgpr_private_segment_wavefront_offset 0
		.amdhsa_system_sgpr_workgroup_id_x 1
		.amdhsa_system_sgpr_workgroup_id_y 0
		.amdhsa_system_sgpr_workgroup_id_z 0
		.amdhsa_system_sgpr_workgroup_info 0
		.amdhsa_system_vgpr_workitem_id 0
		.amdhsa_next_free_vgpr 1
		.amdhsa_next_free_sgpr 0
		.amdhsa_accum_offset 4
		.amdhsa_reserve_vcc 0
		.amdhsa_reserve_flat_scratch 0
		.amdhsa_float_round_mode_32 0
		.amdhsa_float_round_mode_16_64 0
		.amdhsa_float_denorm_mode_32 3
		.amdhsa_float_denorm_mode_16_64 3
		.amdhsa_dx10_clamp 1
		.amdhsa_ieee_mode 1
		.amdhsa_fp16_overflow 0
		.amdhsa_tg_split 0
		.amdhsa_exception_fp_ieee_invalid_op 0
		.amdhsa_exception_fp_denorm_src 0
		.amdhsa_exception_fp_ieee_div_zero 0
		.amdhsa_exception_fp_ieee_overflow 0
		.amdhsa_exception_fp_ieee_underflow 0
		.amdhsa_exception_fp_ieee_inexact 0
		.amdhsa_exception_int_div_zero 0
	.end_amdhsa_kernel
	.section	.text._ZN7rocprim17ROCPRIM_400000_NS6detail17trampoline_kernelINS0_14default_configENS1_20scan_config_selectorItEEZZNS1_9scan_implILNS1_25lookback_scan_determinismE0ELb0ELb0ES3_N6thrust23THRUST_200600_302600_NS6detail15normal_iteratorINS9_10device_ptrItEEEESE_t11max_functorItEtEEDaPvRmT3_T4_T5_mT6_P12ihipStream_tbENKUlT_T0_E_clISt17integral_constantIbLb1EEST_IbLb0EEEEDaSP_SQ_EUlSP_E0_NS1_11comp_targetILNS1_3genE9ELNS1_11target_archE1100ELNS1_3gpuE3ELNS1_3repE0EEENS1_30default_config_static_selectorELNS0_4arch9wavefront6targetE1EEEvT1_,"axG",@progbits,_ZN7rocprim17ROCPRIM_400000_NS6detail17trampoline_kernelINS0_14default_configENS1_20scan_config_selectorItEEZZNS1_9scan_implILNS1_25lookback_scan_determinismE0ELb0ELb0ES3_N6thrust23THRUST_200600_302600_NS6detail15normal_iteratorINS9_10device_ptrItEEEESE_t11max_functorItEtEEDaPvRmT3_T4_T5_mT6_P12ihipStream_tbENKUlT_T0_E_clISt17integral_constantIbLb1EEST_IbLb0EEEEDaSP_SQ_EUlSP_E0_NS1_11comp_targetILNS1_3genE9ELNS1_11target_archE1100ELNS1_3gpuE3ELNS1_3repE0EEENS1_30default_config_static_selectorELNS0_4arch9wavefront6targetE1EEEvT1_,comdat
.Lfunc_end2465:
	.size	_ZN7rocprim17ROCPRIM_400000_NS6detail17trampoline_kernelINS0_14default_configENS1_20scan_config_selectorItEEZZNS1_9scan_implILNS1_25lookback_scan_determinismE0ELb0ELb0ES3_N6thrust23THRUST_200600_302600_NS6detail15normal_iteratorINS9_10device_ptrItEEEESE_t11max_functorItEtEEDaPvRmT3_T4_T5_mT6_P12ihipStream_tbENKUlT_T0_E_clISt17integral_constantIbLb1EEST_IbLb0EEEEDaSP_SQ_EUlSP_E0_NS1_11comp_targetILNS1_3genE9ELNS1_11target_archE1100ELNS1_3gpuE3ELNS1_3repE0EEENS1_30default_config_static_selectorELNS0_4arch9wavefront6targetE1EEEvT1_, .Lfunc_end2465-_ZN7rocprim17ROCPRIM_400000_NS6detail17trampoline_kernelINS0_14default_configENS1_20scan_config_selectorItEEZZNS1_9scan_implILNS1_25lookback_scan_determinismE0ELb0ELb0ES3_N6thrust23THRUST_200600_302600_NS6detail15normal_iteratorINS9_10device_ptrItEEEESE_t11max_functorItEtEEDaPvRmT3_T4_T5_mT6_P12ihipStream_tbENKUlT_T0_E_clISt17integral_constantIbLb1EEST_IbLb0EEEEDaSP_SQ_EUlSP_E0_NS1_11comp_targetILNS1_3genE9ELNS1_11target_archE1100ELNS1_3gpuE3ELNS1_3repE0EEENS1_30default_config_static_selectorELNS0_4arch9wavefront6targetE1EEEvT1_
                                        ; -- End function
	.section	.AMDGPU.csdata,"",@progbits
; Kernel info:
; codeLenInByte = 0
; NumSgprs: 4
; NumVgprs: 0
; NumAgprs: 0
; TotalNumVgprs: 0
; ScratchSize: 0
; MemoryBound: 0
; FloatMode: 240
; IeeeMode: 1
; LDSByteSize: 0 bytes/workgroup (compile time only)
; SGPRBlocks: 0
; VGPRBlocks: 0
; NumSGPRsForWavesPerEU: 4
; NumVGPRsForWavesPerEU: 1
; AccumOffset: 4
; Occupancy: 8
; WaveLimiterHint : 0
; COMPUTE_PGM_RSRC2:SCRATCH_EN: 0
; COMPUTE_PGM_RSRC2:USER_SGPR: 6
; COMPUTE_PGM_RSRC2:TRAP_HANDLER: 0
; COMPUTE_PGM_RSRC2:TGID_X_EN: 1
; COMPUTE_PGM_RSRC2:TGID_Y_EN: 0
; COMPUTE_PGM_RSRC2:TGID_Z_EN: 0
; COMPUTE_PGM_RSRC2:TIDIG_COMP_CNT: 0
; COMPUTE_PGM_RSRC3_GFX90A:ACCUM_OFFSET: 0
; COMPUTE_PGM_RSRC3_GFX90A:TG_SPLIT: 0
	.section	.text._ZN7rocprim17ROCPRIM_400000_NS6detail17trampoline_kernelINS0_14default_configENS1_20scan_config_selectorItEEZZNS1_9scan_implILNS1_25lookback_scan_determinismE0ELb0ELb0ES3_N6thrust23THRUST_200600_302600_NS6detail15normal_iteratorINS9_10device_ptrItEEEESE_t11max_functorItEtEEDaPvRmT3_T4_T5_mT6_P12ihipStream_tbENKUlT_T0_E_clISt17integral_constantIbLb1EEST_IbLb0EEEEDaSP_SQ_EUlSP_E0_NS1_11comp_targetILNS1_3genE8ELNS1_11target_archE1030ELNS1_3gpuE2ELNS1_3repE0EEENS1_30default_config_static_selectorELNS0_4arch9wavefront6targetE1EEEvT1_,"axG",@progbits,_ZN7rocprim17ROCPRIM_400000_NS6detail17trampoline_kernelINS0_14default_configENS1_20scan_config_selectorItEEZZNS1_9scan_implILNS1_25lookback_scan_determinismE0ELb0ELb0ES3_N6thrust23THRUST_200600_302600_NS6detail15normal_iteratorINS9_10device_ptrItEEEESE_t11max_functorItEtEEDaPvRmT3_T4_T5_mT6_P12ihipStream_tbENKUlT_T0_E_clISt17integral_constantIbLb1EEST_IbLb0EEEEDaSP_SQ_EUlSP_E0_NS1_11comp_targetILNS1_3genE8ELNS1_11target_archE1030ELNS1_3gpuE2ELNS1_3repE0EEENS1_30default_config_static_selectorELNS0_4arch9wavefront6targetE1EEEvT1_,comdat
	.protected	_ZN7rocprim17ROCPRIM_400000_NS6detail17trampoline_kernelINS0_14default_configENS1_20scan_config_selectorItEEZZNS1_9scan_implILNS1_25lookback_scan_determinismE0ELb0ELb0ES3_N6thrust23THRUST_200600_302600_NS6detail15normal_iteratorINS9_10device_ptrItEEEESE_t11max_functorItEtEEDaPvRmT3_T4_T5_mT6_P12ihipStream_tbENKUlT_T0_E_clISt17integral_constantIbLb1EEST_IbLb0EEEEDaSP_SQ_EUlSP_E0_NS1_11comp_targetILNS1_3genE8ELNS1_11target_archE1030ELNS1_3gpuE2ELNS1_3repE0EEENS1_30default_config_static_selectorELNS0_4arch9wavefront6targetE1EEEvT1_ ; -- Begin function _ZN7rocprim17ROCPRIM_400000_NS6detail17trampoline_kernelINS0_14default_configENS1_20scan_config_selectorItEEZZNS1_9scan_implILNS1_25lookback_scan_determinismE0ELb0ELb0ES3_N6thrust23THRUST_200600_302600_NS6detail15normal_iteratorINS9_10device_ptrItEEEESE_t11max_functorItEtEEDaPvRmT3_T4_T5_mT6_P12ihipStream_tbENKUlT_T0_E_clISt17integral_constantIbLb1EEST_IbLb0EEEEDaSP_SQ_EUlSP_E0_NS1_11comp_targetILNS1_3genE8ELNS1_11target_archE1030ELNS1_3gpuE2ELNS1_3repE0EEENS1_30default_config_static_selectorELNS0_4arch9wavefront6targetE1EEEvT1_
	.globl	_ZN7rocprim17ROCPRIM_400000_NS6detail17trampoline_kernelINS0_14default_configENS1_20scan_config_selectorItEEZZNS1_9scan_implILNS1_25lookback_scan_determinismE0ELb0ELb0ES3_N6thrust23THRUST_200600_302600_NS6detail15normal_iteratorINS9_10device_ptrItEEEESE_t11max_functorItEtEEDaPvRmT3_T4_T5_mT6_P12ihipStream_tbENKUlT_T0_E_clISt17integral_constantIbLb1EEST_IbLb0EEEEDaSP_SQ_EUlSP_E0_NS1_11comp_targetILNS1_3genE8ELNS1_11target_archE1030ELNS1_3gpuE2ELNS1_3repE0EEENS1_30default_config_static_selectorELNS0_4arch9wavefront6targetE1EEEvT1_
	.p2align	8
	.type	_ZN7rocprim17ROCPRIM_400000_NS6detail17trampoline_kernelINS0_14default_configENS1_20scan_config_selectorItEEZZNS1_9scan_implILNS1_25lookback_scan_determinismE0ELb0ELb0ES3_N6thrust23THRUST_200600_302600_NS6detail15normal_iteratorINS9_10device_ptrItEEEESE_t11max_functorItEtEEDaPvRmT3_T4_T5_mT6_P12ihipStream_tbENKUlT_T0_E_clISt17integral_constantIbLb1EEST_IbLb0EEEEDaSP_SQ_EUlSP_E0_NS1_11comp_targetILNS1_3genE8ELNS1_11target_archE1030ELNS1_3gpuE2ELNS1_3repE0EEENS1_30default_config_static_selectorELNS0_4arch9wavefront6targetE1EEEvT1_,@function
_ZN7rocprim17ROCPRIM_400000_NS6detail17trampoline_kernelINS0_14default_configENS1_20scan_config_selectorItEEZZNS1_9scan_implILNS1_25lookback_scan_determinismE0ELb0ELb0ES3_N6thrust23THRUST_200600_302600_NS6detail15normal_iteratorINS9_10device_ptrItEEEESE_t11max_functorItEtEEDaPvRmT3_T4_T5_mT6_P12ihipStream_tbENKUlT_T0_E_clISt17integral_constantIbLb1EEST_IbLb0EEEEDaSP_SQ_EUlSP_E0_NS1_11comp_targetILNS1_3genE8ELNS1_11target_archE1030ELNS1_3gpuE2ELNS1_3repE0EEENS1_30default_config_static_selectorELNS0_4arch9wavefront6targetE1EEEvT1_: ; @_ZN7rocprim17ROCPRIM_400000_NS6detail17trampoline_kernelINS0_14default_configENS1_20scan_config_selectorItEEZZNS1_9scan_implILNS1_25lookback_scan_determinismE0ELb0ELb0ES3_N6thrust23THRUST_200600_302600_NS6detail15normal_iteratorINS9_10device_ptrItEEEESE_t11max_functorItEtEEDaPvRmT3_T4_T5_mT6_P12ihipStream_tbENKUlT_T0_E_clISt17integral_constantIbLb1EEST_IbLb0EEEEDaSP_SQ_EUlSP_E0_NS1_11comp_targetILNS1_3genE8ELNS1_11target_archE1030ELNS1_3gpuE2ELNS1_3repE0EEENS1_30default_config_static_selectorELNS0_4arch9wavefront6targetE1EEEvT1_
; %bb.0:
	.section	.rodata,"a",@progbits
	.p2align	6, 0x0
	.amdhsa_kernel _ZN7rocprim17ROCPRIM_400000_NS6detail17trampoline_kernelINS0_14default_configENS1_20scan_config_selectorItEEZZNS1_9scan_implILNS1_25lookback_scan_determinismE0ELb0ELb0ES3_N6thrust23THRUST_200600_302600_NS6detail15normal_iteratorINS9_10device_ptrItEEEESE_t11max_functorItEtEEDaPvRmT3_T4_T5_mT6_P12ihipStream_tbENKUlT_T0_E_clISt17integral_constantIbLb1EEST_IbLb0EEEEDaSP_SQ_EUlSP_E0_NS1_11comp_targetILNS1_3genE8ELNS1_11target_archE1030ELNS1_3gpuE2ELNS1_3repE0EEENS1_30default_config_static_selectorELNS0_4arch9wavefront6targetE1EEEvT1_
		.amdhsa_group_segment_fixed_size 0
		.amdhsa_private_segment_fixed_size 0
		.amdhsa_kernarg_size 32
		.amdhsa_user_sgpr_count 6
		.amdhsa_user_sgpr_private_segment_buffer 1
		.amdhsa_user_sgpr_dispatch_ptr 0
		.amdhsa_user_sgpr_queue_ptr 0
		.amdhsa_user_sgpr_kernarg_segment_ptr 1
		.amdhsa_user_sgpr_dispatch_id 0
		.amdhsa_user_sgpr_flat_scratch_init 0
		.amdhsa_user_sgpr_kernarg_preload_length 0
		.amdhsa_user_sgpr_kernarg_preload_offset 0
		.amdhsa_user_sgpr_private_segment_size 0
		.amdhsa_uses_dynamic_stack 0
		.amdhsa_system_sgpr_private_segment_wavefront_offset 0
		.amdhsa_system_sgpr_workgroup_id_x 1
		.amdhsa_system_sgpr_workgroup_id_y 0
		.amdhsa_system_sgpr_workgroup_id_z 0
		.amdhsa_system_sgpr_workgroup_info 0
		.amdhsa_system_vgpr_workitem_id 0
		.amdhsa_next_free_vgpr 1
		.amdhsa_next_free_sgpr 0
		.amdhsa_accum_offset 4
		.amdhsa_reserve_vcc 0
		.amdhsa_reserve_flat_scratch 0
		.amdhsa_float_round_mode_32 0
		.amdhsa_float_round_mode_16_64 0
		.amdhsa_float_denorm_mode_32 3
		.amdhsa_float_denorm_mode_16_64 3
		.amdhsa_dx10_clamp 1
		.amdhsa_ieee_mode 1
		.amdhsa_fp16_overflow 0
		.amdhsa_tg_split 0
		.amdhsa_exception_fp_ieee_invalid_op 0
		.amdhsa_exception_fp_denorm_src 0
		.amdhsa_exception_fp_ieee_div_zero 0
		.amdhsa_exception_fp_ieee_overflow 0
		.amdhsa_exception_fp_ieee_underflow 0
		.amdhsa_exception_fp_ieee_inexact 0
		.amdhsa_exception_int_div_zero 0
	.end_amdhsa_kernel
	.section	.text._ZN7rocprim17ROCPRIM_400000_NS6detail17trampoline_kernelINS0_14default_configENS1_20scan_config_selectorItEEZZNS1_9scan_implILNS1_25lookback_scan_determinismE0ELb0ELb0ES3_N6thrust23THRUST_200600_302600_NS6detail15normal_iteratorINS9_10device_ptrItEEEESE_t11max_functorItEtEEDaPvRmT3_T4_T5_mT6_P12ihipStream_tbENKUlT_T0_E_clISt17integral_constantIbLb1EEST_IbLb0EEEEDaSP_SQ_EUlSP_E0_NS1_11comp_targetILNS1_3genE8ELNS1_11target_archE1030ELNS1_3gpuE2ELNS1_3repE0EEENS1_30default_config_static_selectorELNS0_4arch9wavefront6targetE1EEEvT1_,"axG",@progbits,_ZN7rocprim17ROCPRIM_400000_NS6detail17trampoline_kernelINS0_14default_configENS1_20scan_config_selectorItEEZZNS1_9scan_implILNS1_25lookback_scan_determinismE0ELb0ELb0ES3_N6thrust23THRUST_200600_302600_NS6detail15normal_iteratorINS9_10device_ptrItEEEESE_t11max_functorItEtEEDaPvRmT3_T4_T5_mT6_P12ihipStream_tbENKUlT_T0_E_clISt17integral_constantIbLb1EEST_IbLb0EEEEDaSP_SQ_EUlSP_E0_NS1_11comp_targetILNS1_3genE8ELNS1_11target_archE1030ELNS1_3gpuE2ELNS1_3repE0EEENS1_30default_config_static_selectorELNS0_4arch9wavefront6targetE1EEEvT1_,comdat
.Lfunc_end2466:
	.size	_ZN7rocprim17ROCPRIM_400000_NS6detail17trampoline_kernelINS0_14default_configENS1_20scan_config_selectorItEEZZNS1_9scan_implILNS1_25lookback_scan_determinismE0ELb0ELb0ES3_N6thrust23THRUST_200600_302600_NS6detail15normal_iteratorINS9_10device_ptrItEEEESE_t11max_functorItEtEEDaPvRmT3_T4_T5_mT6_P12ihipStream_tbENKUlT_T0_E_clISt17integral_constantIbLb1EEST_IbLb0EEEEDaSP_SQ_EUlSP_E0_NS1_11comp_targetILNS1_3genE8ELNS1_11target_archE1030ELNS1_3gpuE2ELNS1_3repE0EEENS1_30default_config_static_selectorELNS0_4arch9wavefront6targetE1EEEvT1_, .Lfunc_end2466-_ZN7rocprim17ROCPRIM_400000_NS6detail17trampoline_kernelINS0_14default_configENS1_20scan_config_selectorItEEZZNS1_9scan_implILNS1_25lookback_scan_determinismE0ELb0ELb0ES3_N6thrust23THRUST_200600_302600_NS6detail15normal_iteratorINS9_10device_ptrItEEEESE_t11max_functorItEtEEDaPvRmT3_T4_T5_mT6_P12ihipStream_tbENKUlT_T0_E_clISt17integral_constantIbLb1EEST_IbLb0EEEEDaSP_SQ_EUlSP_E0_NS1_11comp_targetILNS1_3genE8ELNS1_11target_archE1030ELNS1_3gpuE2ELNS1_3repE0EEENS1_30default_config_static_selectorELNS0_4arch9wavefront6targetE1EEEvT1_
                                        ; -- End function
	.section	.AMDGPU.csdata,"",@progbits
; Kernel info:
; codeLenInByte = 0
; NumSgprs: 4
; NumVgprs: 0
; NumAgprs: 0
; TotalNumVgprs: 0
; ScratchSize: 0
; MemoryBound: 0
; FloatMode: 240
; IeeeMode: 1
; LDSByteSize: 0 bytes/workgroup (compile time only)
; SGPRBlocks: 0
; VGPRBlocks: 0
; NumSGPRsForWavesPerEU: 4
; NumVGPRsForWavesPerEU: 1
; AccumOffset: 4
; Occupancy: 8
; WaveLimiterHint : 0
; COMPUTE_PGM_RSRC2:SCRATCH_EN: 0
; COMPUTE_PGM_RSRC2:USER_SGPR: 6
; COMPUTE_PGM_RSRC2:TRAP_HANDLER: 0
; COMPUTE_PGM_RSRC2:TGID_X_EN: 1
; COMPUTE_PGM_RSRC2:TGID_Y_EN: 0
; COMPUTE_PGM_RSRC2:TGID_Z_EN: 0
; COMPUTE_PGM_RSRC2:TIDIG_COMP_CNT: 0
; COMPUTE_PGM_RSRC3_GFX90A:ACCUM_OFFSET: 0
; COMPUTE_PGM_RSRC3_GFX90A:TG_SPLIT: 0
	.section	.text._ZN7rocprim17ROCPRIM_400000_NS6detail31init_lookback_scan_state_kernelINS1_19lookback_scan_stateItLb0ELb1EEENS1_16block_id_wrapperIjLb1EEEEEvT_jT0_jPNS7_10value_typeE,"axG",@progbits,_ZN7rocprim17ROCPRIM_400000_NS6detail31init_lookback_scan_state_kernelINS1_19lookback_scan_stateItLb0ELb1EEENS1_16block_id_wrapperIjLb1EEEEEvT_jT0_jPNS7_10value_typeE,comdat
	.protected	_ZN7rocprim17ROCPRIM_400000_NS6detail31init_lookback_scan_state_kernelINS1_19lookback_scan_stateItLb0ELb1EEENS1_16block_id_wrapperIjLb1EEEEEvT_jT0_jPNS7_10value_typeE ; -- Begin function _ZN7rocprim17ROCPRIM_400000_NS6detail31init_lookback_scan_state_kernelINS1_19lookback_scan_stateItLb0ELb1EEENS1_16block_id_wrapperIjLb1EEEEEvT_jT0_jPNS7_10value_typeE
	.globl	_ZN7rocprim17ROCPRIM_400000_NS6detail31init_lookback_scan_state_kernelINS1_19lookback_scan_stateItLb0ELb1EEENS1_16block_id_wrapperIjLb1EEEEEvT_jT0_jPNS7_10value_typeE
	.p2align	8
	.type	_ZN7rocprim17ROCPRIM_400000_NS6detail31init_lookback_scan_state_kernelINS1_19lookback_scan_stateItLb0ELb1EEENS1_16block_id_wrapperIjLb1EEEEEvT_jT0_jPNS7_10value_typeE,@function
_ZN7rocprim17ROCPRIM_400000_NS6detail31init_lookback_scan_state_kernelINS1_19lookback_scan_stateItLb0ELb1EEENS1_16block_id_wrapperIjLb1EEEEEvT_jT0_jPNS7_10value_typeE: ; @_ZN7rocprim17ROCPRIM_400000_NS6detail31init_lookback_scan_state_kernelINS1_19lookback_scan_stateItLb0ELb1EEENS1_16block_id_wrapperIjLb1EEEEEvT_jT0_jPNS7_10value_typeE
; %bb.0:
	s_load_dword s7, s[4:5], 0x34
	s_load_dwordx2 s[2:3], s[4:5], 0x20
	s_load_dwordx2 s[0:1], s[4:5], 0x0
	s_load_dword s10, s[4:5], 0x8
	s_waitcnt lgkmcnt(0)
	s_and_b32 s7, s7, 0xffff
	s_mul_i32 s6, s6, s7
	s_cmp_eq_u64 s[2:3], 0
	v_add_u32_e32 v0, s6, v0
	s_cbranch_scc1 .LBB2467_6
; %bb.1:
	s_load_dword s8, s[4:5], 0x18
	s_mov_b32 s9, 0
	s_waitcnt lgkmcnt(0)
	s_cmp_lt_u32 s8, s10
	s_cselect_b32 s6, s8, 0
	v_cmp_eq_u32_e32 vcc, s6, v0
	s_and_saveexec_b64 s[6:7], vcc
	s_cbranch_execz .LBB2467_5
; %bb.2:
	s_add_i32 s8, s8, 64
	s_lshl_b64 s[8:9], s[8:9], 2
	s_add_u32 s8, s0, s8
	s_addc_u32 s9, s1, s9
	v_mov_b32_e32 v2, 0
	global_load_dword v1, v2, s[8:9] glc
	s_waitcnt vmcnt(0)
	v_and_b32_e32 v3, 0xff0000, v1
	v_cmp_ne_u32_e32 vcc, 0, v3
	s_cbranch_vccnz .LBB2467_4
.LBB2467_3:                             ; =>This Inner Loop Header: Depth=1
	global_load_dword v1, v2, s[8:9] glc
	s_waitcnt vmcnt(0)
	v_and_b32_e32 v3, 0xff0000, v1
	v_cmp_eq_u32_e32 vcc, 0, v3
	s_cbranch_vccnz .LBB2467_3
.LBB2467_4:
	v_mov_b32_e32 v2, 0
	global_store_short v2, v1, s[2:3]
.LBB2467_5:
	s_or_b64 exec, exec, s[6:7]
.LBB2467_6:
	v_cmp_eq_u32_e32 vcc, 0, v0
	s_and_saveexec_b64 s[2:3], vcc
	s_cbranch_execnz .LBB2467_10
; %bb.7:
	s_or_b64 exec, exec, s[2:3]
	v_cmp_gt_u32_e32 vcc, s10, v0
	s_and_saveexec_b64 s[2:3], vcc
	s_cbranch_execnz .LBB2467_11
.LBB2467_8:
	s_or_b64 exec, exec, s[2:3]
	v_cmp_gt_u32_e32 vcc, 64, v0
	s_and_saveexec_b64 s[2:3], vcc
	s_cbranch_execnz .LBB2467_12
.LBB2467_9:
	s_endpgm
.LBB2467_10:
	s_load_dwordx2 s[4:5], s[4:5], 0x10
	v_mov_b32_e32 v1, 0
	s_waitcnt lgkmcnt(0)
	global_store_dword v1, v1, s[4:5]
	s_or_b64 exec, exec, s[2:3]
	v_cmp_gt_u32_e32 vcc, s10, v0
	s_and_saveexec_b64 s[2:3], vcc
	s_cbranch_execz .LBB2467_8
.LBB2467_11:
	v_add_u32_e32 v2, 64, v0
	v_mov_b32_e32 v3, 0
	v_lshlrev_b64 v[4:5], 2, v[2:3]
	v_mov_b32_e32 v1, s1
	v_add_co_u32_e32 v4, vcc, s0, v4
	v_addc_co_u32_e32 v5, vcc, v1, v5, vcc
	global_store_dword v[4:5], v3, off
	s_or_b64 exec, exec, s[2:3]
	v_cmp_gt_u32_e32 vcc, 64, v0
	s_and_saveexec_b64 s[2:3], vcc
	s_cbranch_execz .LBB2467_9
.LBB2467_12:
	v_mov_b32_e32 v1, 0
	v_lshlrev_b64 v[0:1], 2, v[0:1]
	v_mov_b32_e32 v2, s1
	v_add_co_u32_e32 v0, vcc, s0, v0
	v_addc_co_u32_e32 v1, vcc, v2, v1, vcc
	v_mov_b32_e32 v2, 0xff0000
	global_store_dword v[0:1], v2, off
	s_endpgm
	.section	.rodata,"a",@progbits
	.p2align	6, 0x0
	.amdhsa_kernel _ZN7rocprim17ROCPRIM_400000_NS6detail31init_lookback_scan_state_kernelINS1_19lookback_scan_stateItLb0ELb1EEENS1_16block_id_wrapperIjLb1EEEEEvT_jT0_jPNS7_10value_typeE
		.amdhsa_group_segment_fixed_size 0
		.amdhsa_private_segment_fixed_size 0
		.amdhsa_kernarg_size 296
		.amdhsa_user_sgpr_count 6
		.amdhsa_user_sgpr_private_segment_buffer 1
		.amdhsa_user_sgpr_dispatch_ptr 0
		.amdhsa_user_sgpr_queue_ptr 0
		.amdhsa_user_sgpr_kernarg_segment_ptr 1
		.amdhsa_user_sgpr_dispatch_id 0
		.amdhsa_user_sgpr_flat_scratch_init 0
		.amdhsa_user_sgpr_kernarg_preload_length 0
		.amdhsa_user_sgpr_kernarg_preload_offset 0
		.amdhsa_user_sgpr_private_segment_size 0
		.amdhsa_uses_dynamic_stack 0
		.amdhsa_system_sgpr_private_segment_wavefront_offset 0
		.amdhsa_system_sgpr_workgroup_id_x 1
		.amdhsa_system_sgpr_workgroup_id_y 0
		.amdhsa_system_sgpr_workgroup_id_z 0
		.amdhsa_system_sgpr_workgroup_info 0
		.amdhsa_system_vgpr_workitem_id 0
		.amdhsa_next_free_vgpr 6
		.amdhsa_next_free_sgpr 11
		.amdhsa_accum_offset 8
		.amdhsa_reserve_vcc 1
		.amdhsa_reserve_flat_scratch 0
		.amdhsa_float_round_mode_32 0
		.amdhsa_float_round_mode_16_64 0
		.amdhsa_float_denorm_mode_32 3
		.amdhsa_float_denorm_mode_16_64 3
		.amdhsa_dx10_clamp 1
		.amdhsa_ieee_mode 1
		.amdhsa_fp16_overflow 0
		.amdhsa_tg_split 0
		.amdhsa_exception_fp_ieee_invalid_op 0
		.amdhsa_exception_fp_denorm_src 0
		.amdhsa_exception_fp_ieee_div_zero 0
		.amdhsa_exception_fp_ieee_overflow 0
		.amdhsa_exception_fp_ieee_underflow 0
		.amdhsa_exception_fp_ieee_inexact 0
		.amdhsa_exception_int_div_zero 0
	.end_amdhsa_kernel
	.section	.text._ZN7rocprim17ROCPRIM_400000_NS6detail31init_lookback_scan_state_kernelINS1_19lookback_scan_stateItLb0ELb1EEENS1_16block_id_wrapperIjLb1EEEEEvT_jT0_jPNS7_10value_typeE,"axG",@progbits,_ZN7rocprim17ROCPRIM_400000_NS6detail31init_lookback_scan_state_kernelINS1_19lookback_scan_stateItLb0ELb1EEENS1_16block_id_wrapperIjLb1EEEEEvT_jT0_jPNS7_10value_typeE,comdat
.Lfunc_end2467:
	.size	_ZN7rocprim17ROCPRIM_400000_NS6detail31init_lookback_scan_state_kernelINS1_19lookback_scan_stateItLb0ELb1EEENS1_16block_id_wrapperIjLb1EEEEEvT_jT0_jPNS7_10value_typeE, .Lfunc_end2467-_ZN7rocprim17ROCPRIM_400000_NS6detail31init_lookback_scan_state_kernelINS1_19lookback_scan_stateItLb0ELb1EEENS1_16block_id_wrapperIjLb1EEEEEvT_jT0_jPNS7_10value_typeE
                                        ; -- End function
	.section	.AMDGPU.csdata,"",@progbits
; Kernel info:
; codeLenInByte = 372
; NumSgprs: 15
; NumVgprs: 6
; NumAgprs: 0
; TotalNumVgprs: 6
; ScratchSize: 0
; MemoryBound: 0
; FloatMode: 240
; IeeeMode: 1
; LDSByteSize: 0 bytes/workgroup (compile time only)
; SGPRBlocks: 1
; VGPRBlocks: 0
; NumSGPRsForWavesPerEU: 15
; NumVGPRsForWavesPerEU: 6
; AccumOffset: 8
; Occupancy: 8
; WaveLimiterHint : 0
; COMPUTE_PGM_RSRC2:SCRATCH_EN: 0
; COMPUTE_PGM_RSRC2:USER_SGPR: 6
; COMPUTE_PGM_RSRC2:TRAP_HANDLER: 0
; COMPUTE_PGM_RSRC2:TGID_X_EN: 1
; COMPUTE_PGM_RSRC2:TGID_Y_EN: 0
; COMPUTE_PGM_RSRC2:TGID_Z_EN: 0
; COMPUTE_PGM_RSRC2:TIDIG_COMP_CNT: 0
; COMPUTE_PGM_RSRC3_GFX90A:ACCUM_OFFSET: 1
; COMPUTE_PGM_RSRC3_GFX90A:TG_SPLIT: 0
	.section	.text._ZN7rocprim17ROCPRIM_400000_NS6detail17trampoline_kernelINS0_14default_configENS1_20scan_config_selectorItEEZZNS1_9scan_implILNS1_25lookback_scan_determinismE0ELb0ELb0ES3_N6thrust23THRUST_200600_302600_NS6detail15normal_iteratorINS9_10device_ptrItEEEESE_t11max_functorItEtEEDaPvRmT3_T4_T5_mT6_P12ihipStream_tbENKUlT_T0_E_clISt17integral_constantIbLb0EEST_IbLb1EEEEDaSP_SQ_EUlSP_E_NS1_11comp_targetILNS1_3genE0ELNS1_11target_archE4294967295ELNS1_3gpuE0ELNS1_3repE0EEENS1_30default_config_static_selectorELNS0_4arch9wavefront6targetE1EEEvT1_,"axG",@progbits,_ZN7rocprim17ROCPRIM_400000_NS6detail17trampoline_kernelINS0_14default_configENS1_20scan_config_selectorItEEZZNS1_9scan_implILNS1_25lookback_scan_determinismE0ELb0ELb0ES3_N6thrust23THRUST_200600_302600_NS6detail15normal_iteratorINS9_10device_ptrItEEEESE_t11max_functorItEtEEDaPvRmT3_T4_T5_mT6_P12ihipStream_tbENKUlT_T0_E_clISt17integral_constantIbLb0EEST_IbLb1EEEEDaSP_SQ_EUlSP_E_NS1_11comp_targetILNS1_3genE0ELNS1_11target_archE4294967295ELNS1_3gpuE0ELNS1_3repE0EEENS1_30default_config_static_selectorELNS0_4arch9wavefront6targetE1EEEvT1_,comdat
	.protected	_ZN7rocprim17ROCPRIM_400000_NS6detail17trampoline_kernelINS0_14default_configENS1_20scan_config_selectorItEEZZNS1_9scan_implILNS1_25lookback_scan_determinismE0ELb0ELb0ES3_N6thrust23THRUST_200600_302600_NS6detail15normal_iteratorINS9_10device_ptrItEEEESE_t11max_functorItEtEEDaPvRmT3_T4_T5_mT6_P12ihipStream_tbENKUlT_T0_E_clISt17integral_constantIbLb0EEST_IbLb1EEEEDaSP_SQ_EUlSP_E_NS1_11comp_targetILNS1_3genE0ELNS1_11target_archE4294967295ELNS1_3gpuE0ELNS1_3repE0EEENS1_30default_config_static_selectorELNS0_4arch9wavefront6targetE1EEEvT1_ ; -- Begin function _ZN7rocprim17ROCPRIM_400000_NS6detail17trampoline_kernelINS0_14default_configENS1_20scan_config_selectorItEEZZNS1_9scan_implILNS1_25lookback_scan_determinismE0ELb0ELb0ES3_N6thrust23THRUST_200600_302600_NS6detail15normal_iteratorINS9_10device_ptrItEEEESE_t11max_functorItEtEEDaPvRmT3_T4_T5_mT6_P12ihipStream_tbENKUlT_T0_E_clISt17integral_constantIbLb0EEST_IbLb1EEEEDaSP_SQ_EUlSP_E_NS1_11comp_targetILNS1_3genE0ELNS1_11target_archE4294967295ELNS1_3gpuE0ELNS1_3repE0EEENS1_30default_config_static_selectorELNS0_4arch9wavefront6targetE1EEEvT1_
	.globl	_ZN7rocprim17ROCPRIM_400000_NS6detail17trampoline_kernelINS0_14default_configENS1_20scan_config_selectorItEEZZNS1_9scan_implILNS1_25lookback_scan_determinismE0ELb0ELb0ES3_N6thrust23THRUST_200600_302600_NS6detail15normal_iteratorINS9_10device_ptrItEEEESE_t11max_functorItEtEEDaPvRmT3_T4_T5_mT6_P12ihipStream_tbENKUlT_T0_E_clISt17integral_constantIbLb0EEST_IbLb1EEEEDaSP_SQ_EUlSP_E_NS1_11comp_targetILNS1_3genE0ELNS1_11target_archE4294967295ELNS1_3gpuE0ELNS1_3repE0EEENS1_30default_config_static_selectorELNS0_4arch9wavefront6targetE1EEEvT1_
	.p2align	8
	.type	_ZN7rocprim17ROCPRIM_400000_NS6detail17trampoline_kernelINS0_14default_configENS1_20scan_config_selectorItEEZZNS1_9scan_implILNS1_25lookback_scan_determinismE0ELb0ELb0ES3_N6thrust23THRUST_200600_302600_NS6detail15normal_iteratorINS9_10device_ptrItEEEESE_t11max_functorItEtEEDaPvRmT3_T4_T5_mT6_P12ihipStream_tbENKUlT_T0_E_clISt17integral_constantIbLb0EEST_IbLb1EEEEDaSP_SQ_EUlSP_E_NS1_11comp_targetILNS1_3genE0ELNS1_11target_archE4294967295ELNS1_3gpuE0ELNS1_3repE0EEENS1_30default_config_static_selectorELNS0_4arch9wavefront6targetE1EEEvT1_,@function
_ZN7rocprim17ROCPRIM_400000_NS6detail17trampoline_kernelINS0_14default_configENS1_20scan_config_selectorItEEZZNS1_9scan_implILNS1_25lookback_scan_determinismE0ELb0ELb0ES3_N6thrust23THRUST_200600_302600_NS6detail15normal_iteratorINS9_10device_ptrItEEEESE_t11max_functorItEtEEDaPvRmT3_T4_T5_mT6_P12ihipStream_tbENKUlT_T0_E_clISt17integral_constantIbLb0EEST_IbLb1EEEEDaSP_SQ_EUlSP_E_NS1_11comp_targetILNS1_3genE0ELNS1_11target_archE4294967295ELNS1_3gpuE0ELNS1_3repE0EEENS1_30default_config_static_selectorELNS0_4arch9wavefront6targetE1EEEvT1_: ; @_ZN7rocprim17ROCPRIM_400000_NS6detail17trampoline_kernelINS0_14default_configENS1_20scan_config_selectorItEEZZNS1_9scan_implILNS1_25lookback_scan_determinismE0ELb0ELb0ES3_N6thrust23THRUST_200600_302600_NS6detail15normal_iteratorINS9_10device_ptrItEEEESE_t11max_functorItEtEEDaPvRmT3_T4_T5_mT6_P12ihipStream_tbENKUlT_T0_E_clISt17integral_constantIbLb0EEST_IbLb1EEEEDaSP_SQ_EUlSP_E_NS1_11comp_targetILNS1_3genE0ELNS1_11target_archE4294967295ELNS1_3gpuE0ELNS1_3repE0EEENS1_30default_config_static_selectorELNS0_4arch9wavefront6targetE1EEEvT1_
; %bb.0:
	.section	.rodata,"a",@progbits
	.p2align	6, 0x0
	.amdhsa_kernel _ZN7rocprim17ROCPRIM_400000_NS6detail17trampoline_kernelINS0_14default_configENS1_20scan_config_selectorItEEZZNS1_9scan_implILNS1_25lookback_scan_determinismE0ELb0ELb0ES3_N6thrust23THRUST_200600_302600_NS6detail15normal_iteratorINS9_10device_ptrItEEEESE_t11max_functorItEtEEDaPvRmT3_T4_T5_mT6_P12ihipStream_tbENKUlT_T0_E_clISt17integral_constantIbLb0EEST_IbLb1EEEEDaSP_SQ_EUlSP_E_NS1_11comp_targetILNS1_3genE0ELNS1_11target_archE4294967295ELNS1_3gpuE0ELNS1_3repE0EEENS1_30default_config_static_selectorELNS0_4arch9wavefront6targetE1EEEvT1_
		.amdhsa_group_segment_fixed_size 0
		.amdhsa_private_segment_fixed_size 0
		.amdhsa_kernarg_size 96
		.amdhsa_user_sgpr_count 6
		.amdhsa_user_sgpr_private_segment_buffer 1
		.amdhsa_user_sgpr_dispatch_ptr 0
		.amdhsa_user_sgpr_queue_ptr 0
		.amdhsa_user_sgpr_kernarg_segment_ptr 1
		.amdhsa_user_sgpr_dispatch_id 0
		.amdhsa_user_sgpr_flat_scratch_init 0
		.amdhsa_user_sgpr_kernarg_preload_length 0
		.amdhsa_user_sgpr_kernarg_preload_offset 0
		.amdhsa_user_sgpr_private_segment_size 0
		.amdhsa_uses_dynamic_stack 0
		.amdhsa_system_sgpr_private_segment_wavefront_offset 0
		.amdhsa_system_sgpr_workgroup_id_x 1
		.amdhsa_system_sgpr_workgroup_id_y 0
		.amdhsa_system_sgpr_workgroup_id_z 0
		.amdhsa_system_sgpr_workgroup_info 0
		.amdhsa_system_vgpr_workitem_id 0
		.amdhsa_next_free_vgpr 1
		.amdhsa_next_free_sgpr 0
		.amdhsa_accum_offset 4
		.amdhsa_reserve_vcc 0
		.amdhsa_reserve_flat_scratch 0
		.amdhsa_float_round_mode_32 0
		.amdhsa_float_round_mode_16_64 0
		.amdhsa_float_denorm_mode_32 3
		.amdhsa_float_denorm_mode_16_64 3
		.amdhsa_dx10_clamp 1
		.amdhsa_ieee_mode 1
		.amdhsa_fp16_overflow 0
		.amdhsa_tg_split 0
		.amdhsa_exception_fp_ieee_invalid_op 0
		.amdhsa_exception_fp_denorm_src 0
		.amdhsa_exception_fp_ieee_div_zero 0
		.amdhsa_exception_fp_ieee_overflow 0
		.amdhsa_exception_fp_ieee_underflow 0
		.amdhsa_exception_fp_ieee_inexact 0
		.amdhsa_exception_int_div_zero 0
	.end_amdhsa_kernel
	.section	.text._ZN7rocprim17ROCPRIM_400000_NS6detail17trampoline_kernelINS0_14default_configENS1_20scan_config_selectorItEEZZNS1_9scan_implILNS1_25lookback_scan_determinismE0ELb0ELb0ES3_N6thrust23THRUST_200600_302600_NS6detail15normal_iteratorINS9_10device_ptrItEEEESE_t11max_functorItEtEEDaPvRmT3_T4_T5_mT6_P12ihipStream_tbENKUlT_T0_E_clISt17integral_constantIbLb0EEST_IbLb1EEEEDaSP_SQ_EUlSP_E_NS1_11comp_targetILNS1_3genE0ELNS1_11target_archE4294967295ELNS1_3gpuE0ELNS1_3repE0EEENS1_30default_config_static_selectorELNS0_4arch9wavefront6targetE1EEEvT1_,"axG",@progbits,_ZN7rocprim17ROCPRIM_400000_NS6detail17trampoline_kernelINS0_14default_configENS1_20scan_config_selectorItEEZZNS1_9scan_implILNS1_25lookback_scan_determinismE0ELb0ELb0ES3_N6thrust23THRUST_200600_302600_NS6detail15normal_iteratorINS9_10device_ptrItEEEESE_t11max_functorItEtEEDaPvRmT3_T4_T5_mT6_P12ihipStream_tbENKUlT_T0_E_clISt17integral_constantIbLb0EEST_IbLb1EEEEDaSP_SQ_EUlSP_E_NS1_11comp_targetILNS1_3genE0ELNS1_11target_archE4294967295ELNS1_3gpuE0ELNS1_3repE0EEENS1_30default_config_static_selectorELNS0_4arch9wavefront6targetE1EEEvT1_,comdat
.Lfunc_end2468:
	.size	_ZN7rocprim17ROCPRIM_400000_NS6detail17trampoline_kernelINS0_14default_configENS1_20scan_config_selectorItEEZZNS1_9scan_implILNS1_25lookback_scan_determinismE0ELb0ELb0ES3_N6thrust23THRUST_200600_302600_NS6detail15normal_iteratorINS9_10device_ptrItEEEESE_t11max_functorItEtEEDaPvRmT3_T4_T5_mT6_P12ihipStream_tbENKUlT_T0_E_clISt17integral_constantIbLb0EEST_IbLb1EEEEDaSP_SQ_EUlSP_E_NS1_11comp_targetILNS1_3genE0ELNS1_11target_archE4294967295ELNS1_3gpuE0ELNS1_3repE0EEENS1_30default_config_static_selectorELNS0_4arch9wavefront6targetE1EEEvT1_, .Lfunc_end2468-_ZN7rocprim17ROCPRIM_400000_NS6detail17trampoline_kernelINS0_14default_configENS1_20scan_config_selectorItEEZZNS1_9scan_implILNS1_25lookback_scan_determinismE0ELb0ELb0ES3_N6thrust23THRUST_200600_302600_NS6detail15normal_iteratorINS9_10device_ptrItEEEESE_t11max_functorItEtEEDaPvRmT3_T4_T5_mT6_P12ihipStream_tbENKUlT_T0_E_clISt17integral_constantIbLb0EEST_IbLb1EEEEDaSP_SQ_EUlSP_E_NS1_11comp_targetILNS1_3genE0ELNS1_11target_archE4294967295ELNS1_3gpuE0ELNS1_3repE0EEENS1_30default_config_static_selectorELNS0_4arch9wavefront6targetE1EEEvT1_
                                        ; -- End function
	.section	.AMDGPU.csdata,"",@progbits
; Kernel info:
; codeLenInByte = 0
; NumSgprs: 4
; NumVgprs: 0
; NumAgprs: 0
; TotalNumVgprs: 0
; ScratchSize: 0
; MemoryBound: 0
; FloatMode: 240
; IeeeMode: 1
; LDSByteSize: 0 bytes/workgroup (compile time only)
; SGPRBlocks: 0
; VGPRBlocks: 0
; NumSGPRsForWavesPerEU: 4
; NumVGPRsForWavesPerEU: 1
; AccumOffset: 4
; Occupancy: 8
; WaveLimiterHint : 0
; COMPUTE_PGM_RSRC2:SCRATCH_EN: 0
; COMPUTE_PGM_RSRC2:USER_SGPR: 6
; COMPUTE_PGM_RSRC2:TRAP_HANDLER: 0
; COMPUTE_PGM_RSRC2:TGID_X_EN: 1
; COMPUTE_PGM_RSRC2:TGID_Y_EN: 0
; COMPUTE_PGM_RSRC2:TGID_Z_EN: 0
; COMPUTE_PGM_RSRC2:TIDIG_COMP_CNT: 0
; COMPUTE_PGM_RSRC3_GFX90A:ACCUM_OFFSET: 0
; COMPUTE_PGM_RSRC3_GFX90A:TG_SPLIT: 0
	.section	.text._ZN7rocprim17ROCPRIM_400000_NS6detail17trampoline_kernelINS0_14default_configENS1_20scan_config_selectorItEEZZNS1_9scan_implILNS1_25lookback_scan_determinismE0ELb0ELb0ES3_N6thrust23THRUST_200600_302600_NS6detail15normal_iteratorINS9_10device_ptrItEEEESE_t11max_functorItEtEEDaPvRmT3_T4_T5_mT6_P12ihipStream_tbENKUlT_T0_E_clISt17integral_constantIbLb0EEST_IbLb1EEEEDaSP_SQ_EUlSP_E_NS1_11comp_targetILNS1_3genE5ELNS1_11target_archE942ELNS1_3gpuE9ELNS1_3repE0EEENS1_30default_config_static_selectorELNS0_4arch9wavefront6targetE1EEEvT1_,"axG",@progbits,_ZN7rocprim17ROCPRIM_400000_NS6detail17trampoline_kernelINS0_14default_configENS1_20scan_config_selectorItEEZZNS1_9scan_implILNS1_25lookback_scan_determinismE0ELb0ELb0ES3_N6thrust23THRUST_200600_302600_NS6detail15normal_iteratorINS9_10device_ptrItEEEESE_t11max_functorItEtEEDaPvRmT3_T4_T5_mT6_P12ihipStream_tbENKUlT_T0_E_clISt17integral_constantIbLb0EEST_IbLb1EEEEDaSP_SQ_EUlSP_E_NS1_11comp_targetILNS1_3genE5ELNS1_11target_archE942ELNS1_3gpuE9ELNS1_3repE0EEENS1_30default_config_static_selectorELNS0_4arch9wavefront6targetE1EEEvT1_,comdat
	.protected	_ZN7rocprim17ROCPRIM_400000_NS6detail17trampoline_kernelINS0_14default_configENS1_20scan_config_selectorItEEZZNS1_9scan_implILNS1_25lookback_scan_determinismE0ELb0ELb0ES3_N6thrust23THRUST_200600_302600_NS6detail15normal_iteratorINS9_10device_ptrItEEEESE_t11max_functorItEtEEDaPvRmT3_T4_T5_mT6_P12ihipStream_tbENKUlT_T0_E_clISt17integral_constantIbLb0EEST_IbLb1EEEEDaSP_SQ_EUlSP_E_NS1_11comp_targetILNS1_3genE5ELNS1_11target_archE942ELNS1_3gpuE9ELNS1_3repE0EEENS1_30default_config_static_selectorELNS0_4arch9wavefront6targetE1EEEvT1_ ; -- Begin function _ZN7rocprim17ROCPRIM_400000_NS6detail17trampoline_kernelINS0_14default_configENS1_20scan_config_selectorItEEZZNS1_9scan_implILNS1_25lookback_scan_determinismE0ELb0ELb0ES3_N6thrust23THRUST_200600_302600_NS6detail15normal_iteratorINS9_10device_ptrItEEEESE_t11max_functorItEtEEDaPvRmT3_T4_T5_mT6_P12ihipStream_tbENKUlT_T0_E_clISt17integral_constantIbLb0EEST_IbLb1EEEEDaSP_SQ_EUlSP_E_NS1_11comp_targetILNS1_3genE5ELNS1_11target_archE942ELNS1_3gpuE9ELNS1_3repE0EEENS1_30default_config_static_selectorELNS0_4arch9wavefront6targetE1EEEvT1_
	.globl	_ZN7rocprim17ROCPRIM_400000_NS6detail17trampoline_kernelINS0_14default_configENS1_20scan_config_selectorItEEZZNS1_9scan_implILNS1_25lookback_scan_determinismE0ELb0ELb0ES3_N6thrust23THRUST_200600_302600_NS6detail15normal_iteratorINS9_10device_ptrItEEEESE_t11max_functorItEtEEDaPvRmT3_T4_T5_mT6_P12ihipStream_tbENKUlT_T0_E_clISt17integral_constantIbLb0EEST_IbLb1EEEEDaSP_SQ_EUlSP_E_NS1_11comp_targetILNS1_3genE5ELNS1_11target_archE942ELNS1_3gpuE9ELNS1_3repE0EEENS1_30default_config_static_selectorELNS0_4arch9wavefront6targetE1EEEvT1_
	.p2align	8
	.type	_ZN7rocprim17ROCPRIM_400000_NS6detail17trampoline_kernelINS0_14default_configENS1_20scan_config_selectorItEEZZNS1_9scan_implILNS1_25lookback_scan_determinismE0ELb0ELb0ES3_N6thrust23THRUST_200600_302600_NS6detail15normal_iteratorINS9_10device_ptrItEEEESE_t11max_functorItEtEEDaPvRmT3_T4_T5_mT6_P12ihipStream_tbENKUlT_T0_E_clISt17integral_constantIbLb0EEST_IbLb1EEEEDaSP_SQ_EUlSP_E_NS1_11comp_targetILNS1_3genE5ELNS1_11target_archE942ELNS1_3gpuE9ELNS1_3repE0EEENS1_30default_config_static_selectorELNS0_4arch9wavefront6targetE1EEEvT1_,@function
_ZN7rocprim17ROCPRIM_400000_NS6detail17trampoline_kernelINS0_14default_configENS1_20scan_config_selectorItEEZZNS1_9scan_implILNS1_25lookback_scan_determinismE0ELb0ELb0ES3_N6thrust23THRUST_200600_302600_NS6detail15normal_iteratorINS9_10device_ptrItEEEESE_t11max_functorItEtEEDaPvRmT3_T4_T5_mT6_P12ihipStream_tbENKUlT_T0_E_clISt17integral_constantIbLb0EEST_IbLb1EEEEDaSP_SQ_EUlSP_E_NS1_11comp_targetILNS1_3genE5ELNS1_11target_archE942ELNS1_3gpuE9ELNS1_3repE0EEENS1_30default_config_static_selectorELNS0_4arch9wavefront6targetE1EEEvT1_: ; @_ZN7rocprim17ROCPRIM_400000_NS6detail17trampoline_kernelINS0_14default_configENS1_20scan_config_selectorItEEZZNS1_9scan_implILNS1_25lookback_scan_determinismE0ELb0ELb0ES3_N6thrust23THRUST_200600_302600_NS6detail15normal_iteratorINS9_10device_ptrItEEEESE_t11max_functorItEtEEDaPvRmT3_T4_T5_mT6_P12ihipStream_tbENKUlT_T0_E_clISt17integral_constantIbLb0EEST_IbLb1EEEEDaSP_SQ_EUlSP_E_NS1_11comp_targetILNS1_3genE5ELNS1_11target_archE942ELNS1_3gpuE9ELNS1_3repE0EEENS1_30default_config_static_selectorELNS0_4arch9wavefront6targetE1EEEvT1_
; %bb.0:
	.section	.rodata,"a",@progbits
	.p2align	6, 0x0
	.amdhsa_kernel _ZN7rocprim17ROCPRIM_400000_NS6detail17trampoline_kernelINS0_14default_configENS1_20scan_config_selectorItEEZZNS1_9scan_implILNS1_25lookback_scan_determinismE0ELb0ELb0ES3_N6thrust23THRUST_200600_302600_NS6detail15normal_iteratorINS9_10device_ptrItEEEESE_t11max_functorItEtEEDaPvRmT3_T4_T5_mT6_P12ihipStream_tbENKUlT_T0_E_clISt17integral_constantIbLb0EEST_IbLb1EEEEDaSP_SQ_EUlSP_E_NS1_11comp_targetILNS1_3genE5ELNS1_11target_archE942ELNS1_3gpuE9ELNS1_3repE0EEENS1_30default_config_static_selectorELNS0_4arch9wavefront6targetE1EEEvT1_
		.amdhsa_group_segment_fixed_size 0
		.amdhsa_private_segment_fixed_size 0
		.amdhsa_kernarg_size 96
		.amdhsa_user_sgpr_count 6
		.amdhsa_user_sgpr_private_segment_buffer 1
		.amdhsa_user_sgpr_dispatch_ptr 0
		.amdhsa_user_sgpr_queue_ptr 0
		.amdhsa_user_sgpr_kernarg_segment_ptr 1
		.amdhsa_user_sgpr_dispatch_id 0
		.amdhsa_user_sgpr_flat_scratch_init 0
		.amdhsa_user_sgpr_kernarg_preload_length 0
		.amdhsa_user_sgpr_kernarg_preload_offset 0
		.amdhsa_user_sgpr_private_segment_size 0
		.amdhsa_uses_dynamic_stack 0
		.amdhsa_system_sgpr_private_segment_wavefront_offset 0
		.amdhsa_system_sgpr_workgroup_id_x 1
		.amdhsa_system_sgpr_workgroup_id_y 0
		.amdhsa_system_sgpr_workgroup_id_z 0
		.amdhsa_system_sgpr_workgroup_info 0
		.amdhsa_system_vgpr_workitem_id 0
		.amdhsa_next_free_vgpr 1
		.amdhsa_next_free_sgpr 0
		.amdhsa_accum_offset 4
		.amdhsa_reserve_vcc 0
		.amdhsa_reserve_flat_scratch 0
		.amdhsa_float_round_mode_32 0
		.amdhsa_float_round_mode_16_64 0
		.amdhsa_float_denorm_mode_32 3
		.amdhsa_float_denorm_mode_16_64 3
		.amdhsa_dx10_clamp 1
		.amdhsa_ieee_mode 1
		.amdhsa_fp16_overflow 0
		.amdhsa_tg_split 0
		.amdhsa_exception_fp_ieee_invalid_op 0
		.amdhsa_exception_fp_denorm_src 0
		.amdhsa_exception_fp_ieee_div_zero 0
		.amdhsa_exception_fp_ieee_overflow 0
		.amdhsa_exception_fp_ieee_underflow 0
		.amdhsa_exception_fp_ieee_inexact 0
		.amdhsa_exception_int_div_zero 0
	.end_amdhsa_kernel
	.section	.text._ZN7rocprim17ROCPRIM_400000_NS6detail17trampoline_kernelINS0_14default_configENS1_20scan_config_selectorItEEZZNS1_9scan_implILNS1_25lookback_scan_determinismE0ELb0ELb0ES3_N6thrust23THRUST_200600_302600_NS6detail15normal_iteratorINS9_10device_ptrItEEEESE_t11max_functorItEtEEDaPvRmT3_T4_T5_mT6_P12ihipStream_tbENKUlT_T0_E_clISt17integral_constantIbLb0EEST_IbLb1EEEEDaSP_SQ_EUlSP_E_NS1_11comp_targetILNS1_3genE5ELNS1_11target_archE942ELNS1_3gpuE9ELNS1_3repE0EEENS1_30default_config_static_selectorELNS0_4arch9wavefront6targetE1EEEvT1_,"axG",@progbits,_ZN7rocprim17ROCPRIM_400000_NS6detail17trampoline_kernelINS0_14default_configENS1_20scan_config_selectorItEEZZNS1_9scan_implILNS1_25lookback_scan_determinismE0ELb0ELb0ES3_N6thrust23THRUST_200600_302600_NS6detail15normal_iteratorINS9_10device_ptrItEEEESE_t11max_functorItEtEEDaPvRmT3_T4_T5_mT6_P12ihipStream_tbENKUlT_T0_E_clISt17integral_constantIbLb0EEST_IbLb1EEEEDaSP_SQ_EUlSP_E_NS1_11comp_targetILNS1_3genE5ELNS1_11target_archE942ELNS1_3gpuE9ELNS1_3repE0EEENS1_30default_config_static_selectorELNS0_4arch9wavefront6targetE1EEEvT1_,comdat
.Lfunc_end2469:
	.size	_ZN7rocprim17ROCPRIM_400000_NS6detail17trampoline_kernelINS0_14default_configENS1_20scan_config_selectorItEEZZNS1_9scan_implILNS1_25lookback_scan_determinismE0ELb0ELb0ES3_N6thrust23THRUST_200600_302600_NS6detail15normal_iteratorINS9_10device_ptrItEEEESE_t11max_functorItEtEEDaPvRmT3_T4_T5_mT6_P12ihipStream_tbENKUlT_T0_E_clISt17integral_constantIbLb0EEST_IbLb1EEEEDaSP_SQ_EUlSP_E_NS1_11comp_targetILNS1_3genE5ELNS1_11target_archE942ELNS1_3gpuE9ELNS1_3repE0EEENS1_30default_config_static_selectorELNS0_4arch9wavefront6targetE1EEEvT1_, .Lfunc_end2469-_ZN7rocprim17ROCPRIM_400000_NS6detail17trampoline_kernelINS0_14default_configENS1_20scan_config_selectorItEEZZNS1_9scan_implILNS1_25lookback_scan_determinismE0ELb0ELb0ES3_N6thrust23THRUST_200600_302600_NS6detail15normal_iteratorINS9_10device_ptrItEEEESE_t11max_functorItEtEEDaPvRmT3_T4_T5_mT6_P12ihipStream_tbENKUlT_T0_E_clISt17integral_constantIbLb0EEST_IbLb1EEEEDaSP_SQ_EUlSP_E_NS1_11comp_targetILNS1_3genE5ELNS1_11target_archE942ELNS1_3gpuE9ELNS1_3repE0EEENS1_30default_config_static_selectorELNS0_4arch9wavefront6targetE1EEEvT1_
                                        ; -- End function
	.section	.AMDGPU.csdata,"",@progbits
; Kernel info:
; codeLenInByte = 0
; NumSgprs: 4
; NumVgprs: 0
; NumAgprs: 0
; TotalNumVgprs: 0
; ScratchSize: 0
; MemoryBound: 0
; FloatMode: 240
; IeeeMode: 1
; LDSByteSize: 0 bytes/workgroup (compile time only)
; SGPRBlocks: 0
; VGPRBlocks: 0
; NumSGPRsForWavesPerEU: 4
; NumVGPRsForWavesPerEU: 1
; AccumOffset: 4
; Occupancy: 8
; WaveLimiterHint : 0
; COMPUTE_PGM_RSRC2:SCRATCH_EN: 0
; COMPUTE_PGM_RSRC2:USER_SGPR: 6
; COMPUTE_PGM_RSRC2:TRAP_HANDLER: 0
; COMPUTE_PGM_RSRC2:TGID_X_EN: 1
; COMPUTE_PGM_RSRC2:TGID_Y_EN: 0
; COMPUTE_PGM_RSRC2:TGID_Z_EN: 0
; COMPUTE_PGM_RSRC2:TIDIG_COMP_CNT: 0
; COMPUTE_PGM_RSRC3_GFX90A:ACCUM_OFFSET: 0
; COMPUTE_PGM_RSRC3_GFX90A:TG_SPLIT: 0
	.section	.text._ZN7rocprim17ROCPRIM_400000_NS6detail17trampoline_kernelINS0_14default_configENS1_20scan_config_selectorItEEZZNS1_9scan_implILNS1_25lookback_scan_determinismE0ELb0ELb0ES3_N6thrust23THRUST_200600_302600_NS6detail15normal_iteratorINS9_10device_ptrItEEEESE_t11max_functorItEtEEDaPvRmT3_T4_T5_mT6_P12ihipStream_tbENKUlT_T0_E_clISt17integral_constantIbLb0EEST_IbLb1EEEEDaSP_SQ_EUlSP_E_NS1_11comp_targetILNS1_3genE4ELNS1_11target_archE910ELNS1_3gpuE8ELNS1_3repE0EEENS1_30default_config_static_selectorELNS0_4arch9wavefront6targetE1EEEvT1_,"axG",@progbits,_ZN7rocprim17ROCPRIM_400000_NS6detail17trampoline_kernelINS0_14default_configENS1_20scan_config_selectorItEEZZNS1_9scan_implILNS1_25lookback_scan_determinismE0ELb0ELb0ES3_N6thrust23THRUST_200600_302600_NS6detail15normal_iteratorINS9_10device_ptrItEEEESE_t11max_functorItEtEEDaPvRmT3_T4_T5_mT6_P12ihipStream_tbENKUlT_T0_E_clISt17integral_constantIbLb0EEST_IbLb1EEEEDaSP_SQ_EUlSP_E_NS1_11comp_targetILNS1_3genE4ELNS1_11target_archE910ELNS1_3gpuE8ELNS1_3repE0EEENS1_30default_config_static_selectorELNS0_4arch9wavefront6targetE1EEEvT1_,comdat
	.protected	_ZN7rocprim17ROCPRIM_400000_NS6detail17trampoline_kernelINS0_14default_configENS1_20scan_config_selectorItEEZZNS1_9scan_implILNS1_25lookback_scan_determinismE0ELb0ELb0ES3_N6thrust23THRUST_200600_302600_NS6detail15normal_iteratorINS9_10device_ptrItEEEESE_t11max_functorItEtEEDaPvRmT3_T4_T5_mT6_P12ihipStream_tbENKUlT_T0_E_clISt17integral_constantIbLb0EEST_IbLb1EEEEDaSP_SQ_EUlSP_E_NS1_11comp_targetILNS1_3genE4ELNS1_11target_archE910ELNS1_3gpuE8ELNS1_3repE0EEENS1_30default_config_static_selectorELNS0_4arch9wavefront6targetE1EEEvT1_ ; -- Begin function _ZN7rocprim17ROCPRIM_400000_NS6detail17trampoline_kernelINS0_14default_configENS1_20scan_config_selectorItEEZZNS1_9scan_implILNS1_25lookback_scan_determinismE0ELb0ELb0ES3_N6thrust23THRUST_200600_302600_NS6detail15normal_iteratorINS9_10device_ptrItEEEESE_t11max_functorItEtEEDaPvRmT3_T4_T5_mT6_P12ihipStream_tbENKUlT_T0_E_clISt17integral_constantIbLb0EEST_IbLb1EEEEDaSP_SQ_EUlSP_E_NS1_11comp_targetILNS1_3genE4ELNS1_11target_archE910ELNS1_3gpuE8ELNS1_3repE0EEENS1_30default_config_static_selectorELNS0_4arch9wavefront6targetE1EEEvT1_
	.globl	_ZN7rocprim17ROCPRIM_400000_NS6detail17trampoline_kernelINS0_14default_configENS1_20scan_config_selectorItEEZZNS1_9scan_implILNS1_25lookback_scan_determinismE0ELb0ELb0ES3_N6thrust23THRUST_200600_302600_NS6detail15normal_iteratorINS9_10device_ptrItEEEESE_t11max_functorItEtEEDaPvRmT3_T4_T5_mT6_P12ihipStream_tbENKUlT_T0_E_clISt17integral_constantIbLb0EEST_IbLb1EEEEDaSP_SQ_EUlSP_E_NS1_11comp_targetILNS1_3genE4ELNS1_11target_archE910ELNS1_3gpuE8ELNS1_3repE0EEENS1_30default_config_static_selectorELNS0_4arch9wavefront6targetE1EEEvT1_
	.p2align	8
	.type	_ZN7rocprim17ROCPRIM_400000_NS6detail17trampoline_kernelINS0_14default_configENS1_20scan_config_selectorItEEZZNS1_9scan_implILNS1_25lookback_scan_determinismE0ELb0ELb0ES3_N6thrust23THRUST_200600_302600_NS6detail15normal_iteratorINS9_10device_ptrItEEEESE_t11max_functorItEtEEDaPvRmT3_T4_T5_mT6_P12ihipStream_tbENKUlT_T0_E_clISt17integral_constantIbLb0EEST_IbLb1EEEEDaSP_SQ_EUlSP_E_NS1_11comp_targetILNS1_3genE4ELNS1_11target_archE910ELNS1_3gpuE8ELNS1_3repE0EEENS1_30default_config_static_selectorELNS0_4arch9wavefront6targetE1EEEvT1_,@function
_ZN7rocprim17ROCPRIM_400000_NS6detail17trampoline_kernelINS0_14default_configENS1_20scan_config_selectorItEEZZNS1_9scan_implILNS1_25lookback_scan_determinismE0ELb0ELb0ES3_N6thrust23THRUST_200600_302600_NS6detail15normal_iteratorINS9_10device_ptrItEEEESE_t11max_functorItEtEEDaPvRmT3_T4_T5_mT6_P12ihipStream_tbENKUlT_T0_E_clISt17integral_constantIbLb0EEST_IbLb1EEEEDaSP_SQ_EUlSP_E_NS1_11comp_targetILNS1_3genE4ELNS1_11target_archE910ELNS1_3gpuE8ELNS1_3repE0EEENS1_30default_config_static_selectorELNS0_4arch9wavefront6targetE1EEEvT1_: ; @_ZN7rocprim17ROCPRIM_400000_NS6detail17trampoline_kernelINS0_14default_configENS1_20scan_config_selectorItEEZZNS1_9scan_implILNS1_25lookback_scan_determinismE0ELb0ELb0ES3_N6thrust23THRUST_200600_302600_NS6detail15normal_iteratorINS9_10device_ptrItEEEESE_t11max_functorItEtEEDaPvRmT3_T4_T5_mT6_P12ihipStream_tbENKUlT_T0_E_clISt17integral_constantIbLb0EEST_IbLb1EEEEDaSP_SQ_EUlSP_E_NS1_11comp_targetILNS1_3genE4ELNS1_11target_archE910ELNS1_3gpuE8ELNS1_3repE0EEENS1_30default_config_static_selectorELNS0_4arch9wavefront6targetE1EEEvT1_
; %bb.0:
	s_load_dwordx2 s[34:35], s[4:5], 0x28
	v_cmp_ne_u32_e64 s[0:1], 0, v0
	v_cmp_eq_u32_e64 s[2:3], 0, v0
	s_and_saveexec_b64 s[6:7], s[2:3]
	s_cbranch_execz .LBB2470_4
; %bb.1:
	s_mov_b64 s[10:11], exec
	v_mbcnt_lo_u32_b32 v1, s10, 0
	v_mbcnt_hi_u32_b32 v1, s11, v1
	v_cmp_eq_u32_e32 vcc, 0, v1
                                        ; implicit-def: $vgpr2
	s_and_saveexec_b64 s[8:9], vcc
	s_cbranch_execz .LBB2470_3
; %bb.2:
	s_load_dwordx2 s[12:13], s[4:5], 0x58
	s_bcnt1_i32_b64 s10, s[10:11]
	v_mov_b32_e32 v2, 0
	v_mov_b32_e32 v3, s10
	s_waitcnt lgkmcnt(0)
	global_atomic_add v2, v2, v3, s[12:13] glc
.LBB2470_3:
	s_or_b64 exec, exec, s[8:9]
	s_waitcnt vmcnt(0)
	v_readfirstlane_b32 s8, v2
	v_add_u32_e32 v1, s8, v1
	v_mov_b32_e32 v2, 0
	ds_write_b32 v2, v1
.LBB2470_4:
	s_or_b64 exec, exec, s[6:7]
	s_load_dwordx8 s[24:31], s[4:5], 0x0
	s_load_dword s6, s[4:5], 0x30
	s_load_dwordx8 s[16:23], s[4:5], 0x38
	v_mov_b32_e32 v1, 0
	s_waitcnt lgkmcnt(0)
	; wave barrier
	s_waitcnt lgkmcnt(0)
	ds_read_b32 v1, v1
	s_lshl_b64 s[14:15], s[26:27], 1
	s_add_u32 s7, s24, s14
	s_addc_u32 s8, s25, s15
	s_add_i32 s6, s6, -1
	s_mul_i32 s9, s6, 0x600
	s_sub_u32 s33, s30, s9
	s_waitcnt lgkmcnt(0)
	v_readfirstlane_b32 s37, v1
	s_subb_u32 s36, s31, 0
	s_mul_i32 s4, s37, 0x600
	s_mov_b32 s5, 0
	s_cmp_lg_u32 s37, s6
	s_cselect_b64 s[24:25], -1, 0
	s_lshl_b64 s[26:27], s[4:5], 1
	s_add_u32 s6, s7, s26
	s_addc_u32 s7, s8, s27
	s_mov_b64 s[4:5], -1
	s_and_b64 vcc, exec, s[24:25]
	v_lshlrev_b32_e32 v20, 1, v0
	s_waitcnt lgkmcnt(0)
	; wave barrier
	s_cbranch_vccz .LBB2470_6
; %bb.5:
	v_mov_b32_e32 v1, s7
	v_add_co_u32_e32 v2, vcc, s6, v20
	v_addc_co_u32_e32 v3, vcc, 0, v1, vcc
	flat_load_ushort v1, v[2:3]
	flat_load_ushort v4, v[2:3] offset:128
	flat_load_ushort v5, v[2:3] offset:256
	;; [unrolled: 1-line block ×23, first 2 shown]
	s_mov_b64 s[4:5], 0
	s_waitcnt vmcnt(0) lgkmcnt(0)
	ds_write_b16 v20, v1
	ds_write_b16 v20, v4 offset:128
	ds_write_b16 v20, v5 offset:256
	;; [unrolled: 1-line block ×23, first 2 shown]
	s_waitcnt lgkmcnt(0)
	; wave barrier
.LBB2470_6:
	s_andn2_b64 vcc, exec, s[4:5]
	v_cmp_gt_u32_e64 s[4:5], s33, v0
	s_cbranch_vccnz .LBB2470_56
; %bb.7:
	v_pk_mov_b32 v[2:3], s[6:7], s[6:7] op_sel:[0,1]
	flat_load_ushort v1, v[2:3]
	s_waitcnt vmcnt(0) lgkmcnt(0)
	v_mov_b32_e32 v2, v1
	s_and_saveexec_b64 s[8:9], s[4:5]
	s_cbranch_execz .LBB2470_9
; %bb.8:
	v_mov_b32_e32 v3, s7
	v_add_co_u32_e32 v2, vcc, s6, v20
	v_addc_co_u32_e32 v3, vcc, 0, v3, vcc
	flat_load_ushort v2, v[2:3]
.LBB2470_9:
	s_or_b64 exec, exec, s[8:9]
	v_or_b32_e32 v3, 64, v0
	v_cmp_gt_u32_e32 vcc, s33, v3
	v_mov_b32_e32 v3, v1
	s_and_saveexec_b64 s[4:5], vcc
	s_cbranch_execz .LBB2470_11
; %bb.10:
	v_mov_b32_e32 v3, s7
	v_add_co_u32_e32 v4, vcc, s6, v20
	v_addc_co_u32_e32 v5, vcc, 0, v3, vcc
	flat_load_ushort v3, v[4:5] offset:128
.LBB2470_11:
	s_or_b64 exec, exec, s[4:5]
	v_or_b32_e32 v4, 0x80, v0
	v_cmp_gt_u32_e32 vcc, s33, v4
	v_mov_b32_e32 v4, v1
	s_and_saveexec_b64 s[4:5], vcc
	s_cbranch_execz .LBB2470_13
; %bb.12:
	v_mov_b32_e32 v5, s7
	v_add_co_u32_e32 v4, vcc, s6, v20
	v_addc_co_u32_e32 v5, vcc, 0, v5, vcc
	flat_load_ushort v4, v[4:5] offset:256
.LBB2470_13:
	;; [unrolled: 12-line block ×22, first 2 shown]
	s_or_b64 exec, exec, s[4:5]
	v_or_b32_e32 v26, 0x5c0, v0
	v_cmp_gt_u32_e32 vcc, s33, v26
	s_and_saveexec_b64 s[4:5], vcc
	s_cbranch_execz .LBB2470_55
; %bb.54:
	v_mov_b32_e32 v1, s7
	v_add_co_u32_e32 v26, vcc, s6, v20
	v_addc_co_u32_e32 v27, vcc, 0, v1, vcc
	flat_load_ushort v1, v[26:27] offset:2944
.LBB2470_55:
	s_or_b64 exec, exec, s[4:5]
	s_waitcnt vmcnt(0) lgkmcnt(0)
	ds_write_b16 v20, v2
	ds_write_b16 v20, v3 offset:128
	ds_write_b16 v20, v4 offset:256
	;; [unrolled: 1-line block ×23, first 2 shown]
	s_waitcnt lgkmcnt(0)
	; wave barrier
.LBB2470_56:
	v_mul_u32_u24_e32 v21, 24, v0
	v_lshlrev_b32_e32 v22, 1, v21
	s_waitcnt lgkmcnt(0)
	ds_read_b128 v[10:13], v22
	ds_read_b128 v[6:9], v22 offset:16
	ds_read_b128 v[2:5], v22 offset:32
	s_cmp_lg_u32 s37, 0
	v_mbcnt_lo_u32_b32 v33, -1, 0
	s_waitcnt lgkmcnt(2)
	v_lshrrev_b32_e32 v32, 16, v11
	v_lshrrev_b32_e32 v31, 16, v12
	;; [unrolled: 1-line block ×3, first 2 shown]
	s_waitcnt lgkmcnt(1)
	v_lshrrev_b32_e32 v29, 16, v6
	v_lshrrev_b32_e32 v28, 16, v7
	;; [unrolled: 1-line block ×4, first 2 shown]
	s_waitcnt lgkmcnt(0)
	v_lshrrev_b32_e32 v25, 16, v2
	v_lshrrev_b32_e32 v24, 16, v3
	;; [unrolled: 1-line block ×4, first 2 shown]
	v_cmp_eq_u32_e32 vcc, 63, v0
	s_waitcnt lgkmcnt(0)
	; wave barrier
	s_cbranch_scc0 .LBB2470_79
; %bb.57:
	v_max_u16_sdwa v14, v10, v10 dst_sel:DWORD dst_unused:UNUSED_PAD src0_sel:DWORD src1_sel:WORD_1
	v_max3_u16 v14, v14, v11, v32
	v_max3_u16 v14, v14, v12, v31
	;; [unrolled: 1-line block ×11, first 2 shown]
	v_mbcnt_hi_u32_b32 v15, -1, v33
	v_and_b32_e32 v17, 0xffff, v14
	v_and_b32_e32 v16, 15, v15
	v_cmp_eq_u32_e64 s[4:5], 0, v16
	v_mov_b32_dpp v17, v17 row_shr:1 row_mask:0xf bank_mask:0xf
	v_max_u16_e32 v17, v17, v14
	v_cndmask_b32_e64 v14, v17, v14, s[4:5]
	v_and_b32_e32 v17, 0xffff, v14
	v_cmp_lt_u32_e64 s[4:5], 1, v16
	s_nop 0
	v_mov_b32_dpp v17, v17 row_shr:2 row_mask:0xf bank_mask:0xf
	v_max_u16_e32 v17, v17, v14
	v_cndmask_b32_e64 v14, v14, v17, s[4:5]
	v_and_b32_e32 v17, 0xffff, v14
	v_cmp_lt_u32_e64 s[4:5], 3, v16
	s_nop 0
	;; [unrolled: 6-line block ×3, first 2 shown]
	v_mov_b32_dpp v17, v17 row_shr:8 row_mask:0xf bank_mask:0xf
	v_max_u16_e32 v17, v17, v14
	v_cndmask_b32_e64 v14, v14, v17, s[4:5]
	v_and_b32_e32 v16, 0xffff, v14
	v_and_b32_e32 v17, 16, v15
	v_cmp_eq_u32_e64 s[4:5], 0, v17
	v_mov_b32_dpp v16, v16 row_bcast:15 row_mask:0xf bank_mask:0xf
	v_max_u16_e32 v16, v16, v14
	v_cndmask_b32_e64 v14, v16, v14, s[4:5]
	v_and_b32_e32 v16, 0xffff, v14
	v_cmp_lt_u32_e64 s[4:5], 31, v15
	s_nop 0
	v_mov_b32_dpp v16, v16 row_bcast:31 row_mask:0xf bank_mask:0xf
	v_max_u16_e32 v16, v16, v14
	v_cndmask_b32_e64 v14, v14, v16, s[4:5]
	s_and_saveexec_b64 s[4:5], vcc
	s_cbranch_execz .LBB2470_59
; %bb.58:
	v_mov_b32_e32 v16, 0
	ds_write_b16 v16, v14
.LBB2470_59:
	s_or_b64 exec, exec, s[4:5]
	v_add_u32_e32 v16, -1, v15
	v_and_b32_e32 v17, 64, v15
	v_cmp_lt_i32_e32 vcc, v16, v17
	v_cndmask_b32_e32 v16, v16, v15, vcc
	v_and_b32_e32 v14, 0xffff, v14
	v_lshlrev_b32_e32 v16, 2, v16
	ds_bpermute_b32 v34, v16, v14
	v_cmp_gt_u32_e32 vcc, 64, v0
	s_waitcnt lgkmcnt(0)
	; wave barrier
	s_waitcnt lgkmcnt(0)
	s_and_saveexec_b64 s[30:31], vcc
	s_cbranch_execz .LBB2470_78
; %bb.60:
	v_mov_b32_e32 v17, 0
	ds_read_u16 v35, v17
	s_mov_b32 s9, 0
	v_cmp_eq_u32_e64 s[4:5], 0, v15
	s_and_saveexec_b64 s[6:7], s[4:5]
	s_cbranch_execz .LBB2470_62
; %bb.61:
	s_add_i32 s8, s37, 64
	s_lshl_b64 s[8:9], s[8:9], 2
	s_add_u32 s8, s34, s8
	s_waitcnt lgkmcnt(0)
	v_or_b32_e32 v14, 0x10000, v35
	s_addc_u32 s9, s35, s9
	global_store_dword v17, v14, s[8:9]
.LBB2470_62:
	s_or_b64 exec, exec, s[6:7]
	v_xad_u32 v14, v15, -1, s37
	v_add_u32_e32 v16, 64, v14
	v_lshlrev_b64 v[18:19], 2, v[16:17]
	v_mov_b32_e32 v16, s35
	v_add_co_u32_e32 v18, vcc, s34, v18
	v_addc_co_u32_e32 v19, vcc, v16, v19, vcc
	global_load_dword v48, v[18:19], off glc
	s_waitcnt vmcnt(0)
	v_lshrrev_b32_e32 v37, 16, v48
	v_cmp_eq_u16_sdwa s[8:9], v37, v17 src0_sel:BYTE_0 src1_sel:DWORD
	s_and_saveexec_b64 s[6:7], s[8:9]
	s_cbranch_execz .LBB2470_66
; %bb.63:
	s_mov_b64 s[8:9], 0
	v_mov_b32_e32 v16, 0
.LBB2470_64:                            ; =>This Inner Loop Header: Depth=1
	global_load_dword v48, v[18:19], off glc
	s_waitcnt vmcnt(0)
	v_lshrrev_b32_e32 v37, 16, v48
	v_cmp_ne_u16_sdwa s[10:11], v37, v16 src0_sel:BYTE_0 src1_sel:DWORD
	s_or_b64 s[8:9], s[10:11], s[8:9]
	s_andn2_b64 exec, exec, s[8:9]
	s_cbranch_execnz .LBB2470_64
; %bb.65:
	s_or_b64 exec, exec, s[8:9]
.LBB2470_66:
	s_or_b64 exec, exec, s[6:7]
	v_and_b32_e32 v38, 63, v15
	v_cmp_ne_u32_e32 vcc, 63, v38
	v_mov_b32_e32 v36, 2
	v_addc_co_u32_e32 v39, vcc, 0, v15, vcc
	v_cmp_eq_u16_sdwa s[6:7], v37, v36 src0_sel:BYTE_0 src1_sel:DWORD
	v_lshlrev_b64 v[16:17], v15, -1
	v_and_b32_e32 v40, 0xffff, v48
	v_lshlrev_b32_e32 v39, 2, v39
	v_and_b32_e32 v18, s7, v17
	ds_bpermute_b32 v41, v39, v40
	v_or_b32_e32 v18, 0x80000000, v18
	v_and_b32_e32 v19, s6, v16
	v_ffbl_b32_e32 v18, v18
	v_add_u32_e32 v18, 32, v18
	v_ffbl_b32_e32 v19, v19
	v_min_u32_e32 v18, v19, v18
	s_waitcnt lgkmcnt(0)
	v_max_u16_e32 v19, v41, v48
	v_cmp_lt_u32_e32 vcc, v38, v18
	v_cmp_gt_u32_e64 s[6:7], 62, v38
	v_cndmask_b32_e32 v42, v40, v19, vcc
	v_cndmask_b32_e64 v40, 0, 1, s[6:7]
	v_lshlrev_b32_e32 v40, 1, v40
	v_add_lshl_u32 v40, v40, v15, 2
	ds_bpermute_b32 v43, v40, v42
	v_cndmask_b32_e32 v19, v48, v19, vcc
	v_add_u32_e32 v41, 2, v38
	v_cmp_gt_u32_e64 s[6:7], v41, v18
	v_cmp_gt_u32_e64 s[8:9], 60, v38
	s_waitcnt lgkmcnt(0)
	v_max_u16_e32 v43, v43, v19
	v_cndmask_b32_e64 v44, v43, v42, s[6:7]
	v_cndmask_b32_e64 v42, 0, 1, s[8:9]
	v_lshlrev_b32_e32 v42, 2, v42
	v_add_lshl_u32 v42, v42, v15, 2
	ds_bpermute_b32 v45, v42, v44
	v_cndmask_b32_e64 v19, v43, v19, s[6:7]
	v_add_u32_e32 v43, 4, v38
	v_cmp_gt_u32_e64 s[6:7], v43, v18
	v_cmp_gt_u32_e64 s[8:9], 56, v38
	s_waitcnt lgkmcnt(0)
	v_max_u16_e32 v51, v45, v19
	v_cndmask_b32_e64 v46, v51, v44, s[6:7]
	v_cndmask_b32_e64 v44, 0, 1, s[8:9]
	v_lshlrev_b32_e32 v44, 3, v44
	v_add_lshl_u32 v44, v44, v15, 2
	ds_bpermute_b32 v47, v44, v46
	v_cndmask_b32_e64 v49, v51, v19, s[6:7]
	v_add_u32_e32 v45, 8, v38
	v_cmp_gt_u32_e64 s[8:9], v45, v18
	v_cmp_gt_u32_e64 s[10:11], 48, v38
	s_waitcnt lgkmcnt(0)
	v_max_u16_e32 v52, v47, v49
	v_cndmask_b32_e64 v50, v52, v46, s[8:9]
	v_cndmask_b32_e64 v46, 0, 1, s[10:11]
	v_lshlrev_b32_e32 v46, 4, v46
	v_add_lshl_u32 v46, v46, v15, 2
	ds_bpermute_b32 v53, v46, v50
	v_cmp_gt_u32_e64 s[12:13], 32, v38
	v_cndmask_b32_e64 v54, v52, v49, s[8:9]
	v_add_u32_e32 v47, 16, v38
	v_cndmask_b32_e64 v49, 0, 1, s[12:13]
	s_waitcnt lgkmcnt(0)
	v_max_u16_e32 v53, v53, v54
	v_cmp_gt_u32_e64 s[10:11], v47, v18
	v_lshlrev_b32_e32 v49, 5, v49
	v_cndmask_b32_e64 v50, v53, v50, s[10:11]
	v_add_lshl_u32 v49, v49, v15, 2
	ds_bpermute_b32 v15, v49, v50
	v_cndmask_b32_e32 v19, v48, v19, vcc
	v_cndmask_b32_e64 v19, v51, v19, s[6:7]
	v_add_u32_e32 v50, 32, v38
	v_cndmask_b32_e64 v54, v53, v54, s[10:11]
	v_cndmask_b32_e64 v19, v52, v19, s[8:9]
	s_waitcnt lgkmcnt(0)
	v_max_u16_e32 v15, v15, v54
	v_cndmask_b32_e64 v19, v53, v19, s[10:11]
	v_cmp_gt_u32_e32 vcc, v50, v18
	v_cndmask_b32_e32 v18, v15, v19, vcc
	v_mov_b32_e32 v15, 0
	s_branch .LBB2470_68
.LBB2470_67:                            ;   in Loop: Header=BB2470_68 Depth=1
	s_or_b64 exec, exec, s[6:7]
	v_cmp_eq_u16_sdwa s[6:7], v37, v36 src0_sel:BYTE_0 src1_sel:DWORD
	v_and_b32_e32 v52, 0xffff, v51
	v_and_b32_e32 v18, s7, v17
	ds_bpermute_b32 v53, v39, v52
	v_or_b32_e32 v18, 0x80000000, v18
	v_and_b32_e32 v19, s6, v16
	v_ffbl_b32_e32 v18, v18
	v_add_u32_e32 v18, 32, v18
	v_ffbl_b32_e32 v19, v19
	v_min_u32_e32 v18, v19, v18
	s_waitcnt lgkmcnt(0)
	v_max_u16_e32 v19, v53, v51
	v_cmp_lt_u32_e32 vcc, v38, v18
	v_cndmask_b32_e32 v52, v52, v19, vcc
	ds_bpermute_b32 v53, v40, v52
	v_cndmask_b32_e32 v19, v51, v19, vcc
	v_cmp_gt_u32_e64 s[6:7], v41, v18
	v_cmp_gt_u32_e64 s[8:9], v45, v18
	v_subrev_u32_e32 v14, 64, v14
	s_waitcnt lgkmcnt(0)
	v_max_u16_e32 v53, v53, v19
	v_cndmask_b32_e64 v52, v53, v52, s[6:7]
	ds_bpermute_b32 v54, v42, v52
	v_cndmask_b32_e64 v19, v53, v19, s[6:7]
	v_cmp_gt_u32_e64 s[6:7], v43, v18
	s_waitcnt lgkmcnt(0)
	v_max_u16_e32 v53, v54, v19
	v_cndmask_b32_e64 v52, v53, v52, s[6:7]
	ds_bpermute_b32 v54, v44, v52
	v_cndmask_b32_e64 v55, v53, v19, s[6:7]
	v_cndmask_b32_e32 v19, v51, v19, vcc
	v_cmp_gt_u32_e32 vcc, v47, v18
	v_cndmask_b32_e64 v19, v53, v19, s[6:7]
	s_waitcnt lgkmcnt(0)
	v_max_u16_e32 v54, v54, v55
	v_cndmask_b32_e64 v52, v54, v52, s[8:9]
	ds_bpermute_b32 v56, v46, v52
	v_cndmask_b32_e64 v51, v54, v55, s[8:9]
	v_cndmask_b32_e64 v19, v54, v19, s[8:9]
	s_waitcnt lgkmcnt(0)
	v_max_u16_e32 v55, v56, v51
	v_cndmask_b32_e32 v52, v55, v52, vcc
	ds_bpermute_b32 v52, v49, v52
	v_cndmask_b32_e32 v51, v55, v51, vcc
	v_cndmask_b32_e32 v19, v55, v19, vcc
	v_cmp_gt_u32_e32 vcc, v50, v18
	s_waitcnt lgkmcnt(0)
	v_max_u16_e32 v51, v52, v51
	v_cndmask_b32_e32 v18, v51, v19, vcc
	v_max_u16_e32 v18, v18, v48
.LBB2470_68:                            ; =>This Loop Header: Depth=1
                                        ;     Child Loop BB2470_71 Depth 2
	v_cmp_ne_u16_sdwa s[6:7], v37, v36 src0_sel:BYTE_0 src1_sel:DWORD
	v_cndmask_b32_e64 v19, 0, 1, s[6:7]
	;;#ASMSTART
	;;#ASMEND
	v_cmp_ne_u32_e32 vcc, 0, v19
	s_cmp_lg_u64 vcc, exec
	v_mov_b32_e32 v48, v18
	s_cbranch_scc1 .LBB2470_73
; %bb.69:                               ;   in Loop: Header=BB2470_68 Depth=1
	v_lshlrev_b64 v[18:19], 2, v[14:15]
	v_mov_b32_e32 v37, s35
	v_add_co_u32_e32 v18, vcc, s34, v18
	v_addc_co_u32_e32 v19, vcc, v37, v19, vcc
	global_load_dword v51, v[18:19], off glc
	s_waitcnt vmcnt(0)
	v_lshrrev_b32_e32 v37, 16, v51
	v_cmp_eq_u16_sdwa s[8:9], v37, v15 src0_sel:BYTE_0 src1_sel:DWORD
	s_and_saveexec_b64 s[6:7], s[8:9]
	s_cbranch_execz .LBB2470_67
; %bb.70:                               ;   in Loop: Header=BB2470_68 Depth=1
	s_mov_b64 s[8:9], 0
.LBB2470_71:                            ;   Parent Loop BB2470_68 Depth=1
                                        ; =>  This Inner Loop Header: Depth=2
	global_load_dword v51, v[18:19], off glc
	s_waitcnt vmcnt(0)
	v_lshrrev_b32_e32 v37, 16, v51
	v_cmp_ne_u16_sdwa s[10:11], v37, v15 src0_sel:BYTE_0 src1_sel:DWORD
	s_or_b64 s[8:9], s[10:11], s[8:9]
	s_andn2_b64 exec, exec, s[8:9]
	s_cbranch_execnz .LBB2470_71
; %bb.72:                               ;   in Loop: Header=BB2470_68 Depth=1
	s_or_b64 exec, exec, s[8:9]
	s_branch .LBB2470_67
.LBB2470_73:                            ;   in Loop: Header=BB2470_68 Depth=1
                                        ; implicit-def: $vgpr18
                                        ; implicit-def: $vgpr37
	s_cbranch_execz .LBB2470_68
; %bb.74:
	s_and_saveexec_b64 s[6:7], s[4:5]
	s_cbranch_execz .LBB2470_76
; %bb.75:
	s_add_i32 s4, s37, 64
	s_mov_b32 s5, 0
	s_lshl_b64 s[4:5], s[4:5], 2
	v_max_u16_e32 v14, v48, v35
	s_add_u32 s4, s34, s4
	v_or_b32_e32 v14, 0x20000, v14
	s_addc_u32 s5, s35, s5
	v_mov_b32_e32 v15, 0
	global_store_dword v15, v14, s[4:5]
.LBB2470_76:
	s_or_b64 exec, exec, s[6:7]
	s_and_b64 exec, exec, s[2:3]
	s_cbranch_execz .LBB2470_78
; %bb.77:
	v_mov_b32_e32 v14, 0
	ds_write_b16 v14, v48
.LBB2470_78:
	s_or_b64 exec, exec, s[30:31]
	v_mov_b32_e32 v14, 0
	s_waitcnt lgkmcnt(0)
	; wave barrier
	s_waitcnt lgkmcnt(0)
	ds_read_u16 v14, v14
	v_max_u16_e32 v15, v34, v10
	v_cndmask_b32_e64 v15, v15, v10, s[2:3]
	s_waitcnt lgkmcnt(0)
	v_max_u16_e32 v14, v14, v15
	v_max_u16_sdwa v15, v14, v10 dst_sel:DWORD dst_unused:UNUSED_PAD src0_sel:DWORD src1_sel:WORD_1
	v_max_u16_e32 v16, v15, v11
	v_max_u16_e32 v17, v16, v32
	;; [unrolled: 1-line block ×22, first 2 shown]
	s_branch .LBB2470_89
.LBB2470_79:
                                        ; implicit-def: $vgpr14
                                        ; implicit-def: $vgpr15
                                        ; implicit-def: $vgpr16
                                        ; implicit-def: $vgpr17
                                        ; implicit-def: $vgpr18
                                        ; implicit-def: $vgpr19
                                        ; implicit-def: $vgpr35
                                        ; implicit-def: $vgpr37
                                        ; implicit-def: $vgpr34
                                        ; implicit-def: $vgpr36
                                        ; implicit-def: $vgpr38
                                        ; implicit-def: $vgpr39
                                        ; implicit-def: $vgpr40
                                        ; implicit-def: $vgpr41
                                        ; implicit-def: $vgpr43
                                        ; implicit-def: $vgpr45
                                        ; implicit-def: $vgpr42
                                        ; implicit-def: $vgpr44
                                        ; implicit-def: $vgpr46
                                        ; implicit-def: $vgpr47
                                        ; implicit-def: $vgpr48
                                        ; implicit-def: $vgpr49
                                        ; implicit-def: $vgpr50
                                        ; implicit-def: $vgpr51
	s_cbranch_execz .LBB2470_89
; %bb.80:
	s_cmp_lg_u64 s[20:21], 0
	s_cselect_b64 s[4:5], -1, 0
	s_and_b64 s[4:5], s[2:3], s[4:5]
	v_mov_b32_e32 v14, v10
	s_and_saveexec_b64 s[2:3], s[4:5]
	s_cbranch_execz .LBB2470_82
; %bb.81:
	v_mov_b32_e32 v14, 0
	global_load_ushort v14, v14, s[16:17]
	s_waitcnt vmcnt(0)
	v_max_u16_e32 v14, v14, v10
.LBB2470_82:
	s_or_b64 exec, exec, s[2:3]
	v_max_u16_sdwa v15, v14, v10 dst_sel:DWORD dst_unused:UNUSED_PAD src0_sel:DWORD src1_sel:WORD_1
	v_max_u16_e32 v16, v15, v11
	v_max_u16_e32 v17, v16, v32
	;; [unrolled: 1-line block ×22, first 2 shown]
	v_mbcnt_hi_u32_b32 v33, -1, v33
	v_and_b32_e32 v52, 15, v33
	v_mov_b32_dpp v53, v51 row_shr:1 row_mask:0xf bank_mask:0xf
	v_max_u16_e32 v53, v53, v51
	v_cmp_eq_u32_e32 vcc, 0, v52
	v_cndmask_b32_e32 v53, v53, v51, vcc
	v_and_b32_e32 v54, 0xffff, v53
	v_cmp_lt_u32_e32 vcc, 1, v52
	s_nop 0
	v_mov_b32_dpp v54, v54 row_shr:2 row_mask:0xf bank_mask:0xf
	v_max_u16_e32 v54, v54, v53
	v_cndmask_b32_e32 v53, v53, v54, vcc
	v_and_b32_e32 v54, 0xffff, v53
	v_cmp_lt_u32_e32 vcc, 3, v52
	s_nop 0
	v_mov_b32_dpp v54, v54 row_shr:4 row_mask:0xf bank_mask:0xf
	v_max_u16_e32 v54, v54, v53
	;; [unrolled: 6-line block ×3, first 2 shown]
	v_cndmask_b32_e32 v52, v53, v54, vcc
	v_and_b32_e32 v53, 0xffff, v52
	v_and_b32_e32 v54, 16, v33
	v_cmp_eq_u32_e32 vcc, 0, v54
	v_mov_b32_dpp v53, v53 row_bcast:15 row_mask:0xf bank_mask:0xf
	v_max_u16_e32 v53, v53, v52
	v_cndmask_b32_e32 v52, v53, v52, vcc
	v_and_b32_e32 v53, 0xffff, v52
	v_cmp_lt_u32_e32 vcc, 31, v33
	s_nop 0
	v_mov_b32_dpp v53, v53 row_bcast:31 row_mask:0xf bank_mask:0xf
	v_max_u16_e32 v53, v53, v52
	v_cndmask_b32_e32 v52, v52, v53, vcc
	v_cmp_eq_u32_e32 vcc, 63, v0
	s_and_saveexec_b64 s[2:3], vcc
	s_cbranch_execz .LBB2470_84
; %bb.83:
	v_mov_b32_e32 v53, 0
	ds_write_b16 v53, v52
.LBB2470_84:
	s_or_b64 exec, exec, s[2:3]
	v_add_u32_e32 v53, -1, v33
	v_and_b32_e32 v54, 64, v33
	v_cmp_lt_i32_e64 s[2:3], v53, v54
	v_cndmask_b32_e64 v33, v53, v33, s[2:3]
	v_and_b32_e32 v52, 0xffff, v52
	v_lshlrev_b32_e32 v33, 2, v33
	ds_bpermute_b32 v33, v33, v52
	s_waitcnt lgkmcnt(0)
	; wave barrier
	s_waitcnt lgkmcnt(0)
	s_and_saveexec_b64 s[2:3], s[0:1]
	s_cbranch_execz .LBB2470_86
; %bb.85:
	v_max_u16_e32 v14, v33, v14
	v_max_u16_sdwa v15, v14, v10 dst_sel:DWORD dst_unused:UNUSED_PAD src0_sel:DWORD src1_sel:WORD_1
	v_max_u16_e32 v16, v15, v11
	v_max_u16_e32 v17, v16, v32
	;; [unrolled: 1-line block ×22, first 2 shown]
	;;#ASMSTART
	;;#ASMEND
.LBB2470_86:
	s_or_b64 exec, exec, s[2:3]
	s_and_saveexec_b64 s[0:1], vcc
	s_cbranch_execz .LBB2470_88
; %bb.87:
	s_mov_b32 s2, 0x20000
	v_mov_b32_e32 v1, 0
	v_or_b32_sdwa v2, v51, s2 dst_sel:DWORD dst_unused:UNUSED_PAD src0_sel:WORD_0 src1_sel:DWORD
	global_store_dword v1, v2, s[34:35] offset:256
.LBB2470_88:
	s_or_b64 exec, exec, s[0:1]
.LBB2470_89:
	s_add_u32 s0, s28, s14
	s_addc_u32 s1, s29, s15
	s_add_u32 s2, s0, s26
	s_addc_u32 s3, s1, s27
	s_mov_b64 s[0:1], -1
	s_and_b64 vcc, exec, s[24:25]
	s_waitcnt lgkmcnt(0)
	; wave barrier
	s_cbranch_vccz .LBB2470_91
; %bb.90:
	s_mov_b32 s0, 0x5040100
	v_perm_b32 v5, v37, v35, s0
	v_perm_b32 v4, v19, v18, s0
	;; [unrolled: 1-line block ×4, first 2 shown]
	ds_write_b128 v22, v[2:5]
	v_perm_b32 v5, v45, v43, s0
	v_perm_b32 v4, v41, v40, s0
	;; [unrolled: 1-line block ×4, first 2 shown]
	ds_write_b128 v22, v[2:5] offset:16
	v_perm_b32 v5, v51, v50, s0
	v_perm_b32 v4, v49, v48, s0
	;; [unrolled: 1-line block ×4, first 2 shown]
	ds_write_b128 v22, v[2:5] offset:32
	s_waitcnt lgkmcnt(0)
	; wave barrier
	s_waitcnt lgkmcnt(0)
	ds_read_u16 v1, v20
	ds_read_u16 v4, v20 offset:128
	ds_read_u16 v5, v20 offset:256
	;; [unrolled: 1-line block ×23, first 2 shown]
	v_mov_b32_e32 v3, s3
	v_add_co_u32_e32 v2, vcc, s2, v20
	v_addc_co_u32_e32 v3, vcc, 0, v3, vcc
	s_waitcnt lgkmcnt(14)
	flat_store_short v[2:3], v1
	flat_store_short v[2:3], v4 offset:128
	flat_store_short v[2:3], v5 offset:256
	;; [unrolled: 1-line block ×9, first 2 shown]
	s_waitcnt lgkmcnt(0)
	flat_store_short v[2:3], v13 offset:1280
	flat_store_short v[2:3], v23 offset:1408
	;; [unrolled: 1-line block ×14, first 2 shown]
	s_mov_b64 s[0:1], 0
.LBB2470_91:
	s_andn2_b64 vcc, exec, s[0:1]
	s_cbranch_vccnz .LBB2470_148
; %bb.92:
	s_mov_b32 s0, 0x5040100
	v_perm_b32 v5, v37, v35, s0
	v_perm_b32 v4, v19, v18, s0
	;; [unrolled: 1-line block ×4, first 2 shown]
	ds_write_b128 v22, v[2:5]
	v_perm_b32 v5, v45, v43, s0
	v_perm_b32 v4, v41, v40, s0
	;; [unrolled: 1-line block ×4, first 2 shown]
	ds_write_b128 v22, v[2:5] offset:16
	v_perm_b32 v5, v51, v50, s0
	v_perm_b32 v4, v49, v48, s0
	;; [unrolled: 1-line block ×4, first 2 shown]
	s_movk_i32 s0, 0xffd2
	ds_write_b128 v22, v[2:5] offset:32
	v_mad_i32_i24 v2, v0, s0, v22
	s_waitcnt lgkmcnt(0)
	; wave barrier
	s_waitcnt lgkmcnt(0)
	ds_read_u16 v5, v2
	ds_read_u16 v4, v2 offset:128
	ds_read_u16 v7, v2 offset:256
	;; [unrolled: 1-line block ×23, first 2 shown]
	v_mov_b32_e32 v3, s3
	v_add_co_u32_e32 v2, vcc, s2, v20
	v_addc_co_u32_e32 v3, vcc, 0, v3, vcc
	v_mov_b32_e32 v1, 0
	v_cmp_gt_u32_e32 vcc, s33, v0
	s_and_saveexec_b64 s[0:1], vcc
	s_cbranch_execz .LBB2470_94
; %bb.93:
	s_waitcnt lgkmcnt(0)
	flat_store_short v[2:3], v5
.LBB2470_94:
	s_or_b64 exec, exec, s[0:1]
	v_or_b32_e32 v20, 64, v0
	v_cmp_gt_u32_e32 vcc, s33, v20
	s_and_saveexec_b64 s[0:1], vcc
	s_cbranch_execz .LBB2470_96
; %bb.95:
	s_waitcnt lgkmcnt(0)
	flat_store_short v[2:3], v4 offset:128
.LBB2470_96:
	s_or_b64 exec, exec, s[0:1]
	v_or_b32_e32 v20, 0x80, v0
	v_cmp_gt_u32_e32 vcc, s33, v20
	s_and_saveexec_b64 s[0:1], vcc
	s_cbranch_execz .LBB2470_98
; %bb.97:
	s_waitcnt lgkmcnt(0)
	flat_store_short v[2:3], v7 offset:256
.LBB2470_98:
	;; [unrolled: 9-line block ×23, first 2 shown]
	s_or_b64 exec, exec, s[0:1]
	v_cmp_lt_u64_e64 s[0:1], s[22:23], 2
	s_and_b64 vcc, exec, s[0:1]
	s_cbranch_vccnz .LBB2470_148
; %bb.141:
	s_add_u32 s0, s33, -1
	s_addc_u32 s1, s36, -1
	s_add_u32 s2, 0, 0xaaaa0000
	s_addc_u32 s3, 0, 42
	s_add_i32 s3, s3, 0xaaaaa80
	s_mul_hi_u32 s7, s2, 0xffffffe8
	s_sub_i32 s7, s7, s2
	s_mul_i32 s8, s3, 0xffffffe8
	s_mul_i32 s4, s2, 0xffffffe8
	s_add_i32 s7, s7, s8
	s_mul_hi_u32 s5, s3, s4
	s_mul_i32 s6, s3, s4
	s_mul_i32 s9, s2, s7
	s_mul_hi_u32 s4, s2, s4
	s_mul_hi_u32 s8, s2, s7
	s_add_u32 s4, s4, s9
	s_addc_u32 s8, 0, s8
	s_add_u32 s4, s4, s6
	s_mul_hi_u32 s9, s3, s7
	s_addc_u32 s4, s8, s5
	s_addc_u32 s5, s9, 0
	s_mul_i32 s6, s3, s7
	s_add_u32 s4, s4, s6
	v_mov_b32_e32 v2, s4
	s_addc_u32 s5, 0, s5
	v_add_co_u32_e32 v2, vcc, s2, v2
	s_cmp_lg_u64 vcc, 0
	s_addc_u32 s2, s3, s5
	v_readfirstlane_b32 s5, v2
	s_mul_i32 s4, s0, s2
	s_mul_hi_u32 s6, s0, s5
	s_mul_hi_u32 s3, s0, s2
	s_add_u32 s4, s6, s4
	s_addc_u32 s3, 0, s3
	s_mul_hi_u32 s7, s1, s5
	s_mul_i32 s5, s1, s5
	s_add_u32 s4, s4, s5
	s_mul_hi_u32 s6, s1, s2
	s_addc_u32 s3, s3, s7
	s_addc_u32 s4, s6, 0
	s_mul_i32 s2, s1, s2
	s_add_u32 s2, s3, s2
	s_addc_u32 s3, 0, s4
	s_add_u32 s4, s2, 1
	s_addc_u32 s5, s3, 0
	s_add_u32 s6, s2, 2
	s_mul_i32 s8, s3, 24
	s_mul_hi_u32 s9, s2, 24
	s_addc_u32 s7, s3, 0
	s_add_i32 s9, s9, s8
	s_mul_i32 s8, s2, 24
	v_mov_b32_e32 v2, s8
	v_sub_co_u32_e32 v2, vcc, s0, v2
	s_cmp_lg_u64 vcc, 0
	s_subb_u32 s8, s1, s9
	v_subrev_co_u32_e32 v3, vcc, 24, v2
	s_cmp_lg_u64 vcc, 0
	s_subb_u32 s9, s8, 0
	v_readfirstlane_b32 s10, v3
	s_cmp_gt_u32 s10, 23
	s_cselect_b32 s10, -1, 0
	s_cmp_eq_u32 s9, 0
	s_cselect_b32 s9, s10, -1
	s_cmp_lg_u32 s9, 0
	s_cselect_b32 s4, s6, s4
	v_readfirstlane_b32 s6, v2
	s_cselect_b32 s5, s7, s5
	s_cmp_gt_u32 s6, 23
	s_cselect_b32 s6, -1, 0
	s_cmp_eq_u32 s8, 0
	s_cselect_b32 s6, s6, -1
	s_cmp_lg_u32 s6, 0
	s_cselect_b32 s3, s5, s3
	s_cselect_b32 s2, s4, s2
	v_cmp_eq_u64_e32 vcc, s[2:3], v[0:1]
	s_and_saveexec_b64 s[2:3], vcc
	s_cbranch_execz .LBB2470_148
; %bb.142:
	v_mul_hi_u32_u24_e32 v1, 24, v0
	v_mov_b32_e32 v2, s1
	v_sub_co_u32_e32 v0, vcc, s0, v21
	v_subb_co_u32_e32 v1, vcc, v2, v1, vcc
	v_cmp_lt_i64_e32 vcc, 11, v[0:1]
	s_mov_b64 s[0:1], 0
	s_mov_b64 s[8:9], 0
	;; [unrolled: 1-line block ×4, first 2 shown]
	s_and_saveexec_b64 s[2:3], vcc
	s_xor_b64 s[2:3], exec, s[2:3]
	s_cbranch_execnz .LBB2470_149
; %bb.143:
	s_andn2_saveexec_b64 s[2:3], s[2:3]
	s_cbranch_execnz .LBB2470_194
.LBB2470_144:
	s_or_b64 exec, exec, s[2:3]
	s_and_saveexec_b64 s[2:3], s[8:9]
	s_cbranch_execnz .LBB2470_211
.LBB2470_145:
	s_or_b64 exec, exec, s[2:3]
	s_and_saveexec_b64 s[2:3], s[6:7]
	s_cbranch_execnz .LBB2470_212
.LBB2470_146:
	s_or_b64 exec, exec, s[2:3]
	s_and_saveexec_b64 s[2:3], s[4:5]
	s_xor_b64 s[2:3], exec, s[2:3]
	s_cbranch_execnz .LBB2470_213
.LBB2470_147:
	s_or_b64 exec, exec, s[2:3]
	s_and_b64 exec, exec, s[0:1]
	s_cbranch_execnz .LBB2470_214
.LBB2470_148:
	s_endpgm
.LBB2470_149:
	v_cmp_lt_i64_e32 vcc, 17, v[0:1]
	s_and_saveexec_b64 s[10:11], vcc
	s_xor_b64 s[10:11], exec, s[10:11]
	s_cbranch_execz .LBB2470_171
; %bb.150:
	v_cmp_lt_i64_e32 vcc, 20, v[0:1]
                                        ; implicit-def: $vgpr10
	s_and_saveexec_b64 s[12:13], vcc
	s_xor_b64 s[12:13], exec, s[12:13]
	s_cbranch_execz .LBB2470_160
; %bb.151:
	v_cmp_lt_i64_e32 vcc, 21, v[0:1]
	s_mov_b64 s[14:15], 0
                                        ; implicit-def: $vgpr10
	s_and_saveexec_b64 s[4:5], vcc
	s_xor_b64 s[4:5], exec, s[4:5]
	s_cbranch_execz .LBB2470_157
; %bb.152:
	v_cmp_lt_i64_e32 vcc, 22, v[0:1]
	s_and_saveexec_b64 s[14:15], vcc
	s_xor_b64 s[14:15], exec, s[14:15]
	s_cbranch_execz .LBB2470_154
; %bb.153:
	v_mov_b32_e32 v2, 0
	s_waitcnt lgkmcnt(0)
	global_store_short v2, v29, s[18:19]
                                        ; implicit-def: $vgpr28
.LBB2470_154:
	s_or_saveexec_b64 s[14:15], s[14:15]
	s_mov_b64 s[16:17], 0
	s_xor_b64 exec, exec, s[14:15]
; %bb.155:
	s_mov_b64 s[16:17], exec
; %bb.156:
	s_or_b64 exec, exec, s[14:15]
	s_and_b64 s[14:15], s[16:17], exec
	s_waitcnt lgkmcnt(0)
	v_mov_b32_e32 v10, v28
                                        ; implicit-def: $vgpr11
.LBB2470_157:
	s_andn2_saveexec_b64 s[4:5], s[4:5]
; %bb.158:
	s_mov_b64 s[6:7], exec
                                        ; implicit-def: $vgpr10
; %bb.159:
	s_or_b64 exec, exec, s[4:5]
	s_and_b64 s[4:5], s[14:15], exec
	s_and_b64 s[6:7], s[6:7], exec
                                        ; implicit-def: $vgpr26
                                        ; implicit-def: $vgpr12
                                        ; implicit-def: $vgpr23
.LBB2470_160:
	s_andn2_saveexec_b64 s[12:13], s[12:13]
	s_cbranch_execz .LBB2470_170
; %bb.161:
	v_cmp_lt_i64_e32 vcc, 18, v[0:1]
	s_mov_b64 s[14:15], 0
	s_and_saveexec_b64 s[8:9], vcc
	s_xor_b64 s[8:9], exec, s[8:9]
	s_cbranch_execz .LBB2470_167
; %bb.162:
	v_cmp_lt_i64_e32 vcc, 19, v[0:1]
	s_and_saveexec_b64 s[16:17], vcc
	s_xor_b64 s[16:17], exec, s[16:17]
; %bb.163:
	s_mov_b64 s[14:15], exec
                                        ; implicit-def: $vgpr23
; %bb.164:
	s_andn2_saveexec_b64 s[16:17], s[16:17]
	s_cbranch_execz .LBB2470_166
; %bb.165:
	v_mov_b32_e32 v2, 0
	s_waitcnt lgkmcnt(0)
	global_store_short v2, v23, s[18:19]
                                        ; implicit-def: $vgpr12
.LBB2470_166:
	s_or_b64 exec, exec, s[16:17]
	s_and_b64 s[14:15], s[14:15], exec
                                        ; implicit-def: $vgpr26
.LBB2470_167:
	s_andn2_saveexec_b64 s[8:9], s[8:9]
	s_cbranch_execz .LBB2470_169
; %bb.168:
	v_mov_b32_e32 v2, 0
	s_waitcnt lgkmcnt(0)
	global_store_short v2, v26, s[18:19]
                                        ; implicit-def: $vgpr12
.LBB2470_169:
	s_or_b64 exec, exec, s[8:9]
	s_and_b64 s[8:9], s[14:15], exec
                                        ; implicit-def: $vgpr10
                                        ; implicit-def: $vgpr11
.LBB2470_170:
	s_or_b64 exec, exec, s[12:13]
	s_and_b64 s[4:5], s[4:5], exec
	s_and_b64 s[6:7], s[6:7], exec
	;; [unrolled: 1-line block ×3, first 2 shown]
                                        ; implicit-def: $vgpr18
                                        ; implicit-def: $vgpr13
                                        ; implicit-def: $vgpr14
                                        ; implicit-def: $vgpr24
                                        ; implicit-def: $vgpr27
.LBB2470_171:
	s_andn2_saveexec_b64 s[10:11], s[10:11]
	s_cbranch_execz .LBB2470_193
; %bb.172:
	v_cmp_lt_i64_e32 vcc, 14, v[0:1]
	s_mov_b64 s[12:13], s[4:5]
	s_and_saveexec_b64 s[14:15], vcc
	s_xor_b64 s[14:15], exec, s[14:15]
	s_cbranch_execz .LBB2470_182
; %bb.173:
	v_cmp_lt_i64_e32 vcc, 15, v[0:1]
	s_and_saveexec_b64 s[12:13], vcc
	s_xor_b64 s[12:13], exec, s[12:13]
	s_cbranch_execz .LBB2470_179
; %bb.174:
	v_cmp_lt_i64_e32 vcc, 16, v[0:1]
	s_and_saveexec_b64 s[16:17], vcc
	s_xor_b64 s[16:17], exec, s[16:17]
	s_cbranch_execz .LBB2470_176
; %bb.175:
	v_mov_b32_e32 v2, 0
	s_waitcnt lgkmcnt(0)
	global_store_short v2, v27, s[18:19]
                                        ; implicit-def: $vgpr24
.LBB2470_176:
	s_andn2_saveexec_b64 s[16:17], s[16:17]
	s_cbranch_execz .LBB2470_178
; %bb.177:
	v_mov_b32_e32 v2, 0
	s_waitcnt lgkmcnt(0)
	global_store_short v2, v24, s[18:19]
.LBB2470_178:
	s_or_b64 exec, exec, s[16:17]
                                        ; implicit-def: $vgpr10
.LBB2470_179:
	s_or_saveexec_b64 s[12:13], s[12:13]
	s_mov_b64 s[16:17], s[4:5]
	s_xor_b64 exec, exec, s[12:13]
; %bb.180:
	s_or_b64 s[16:17], s[4:5], exec
; %bb.181:
	s_or_b64 exec, exec, s[12:13]
	s_andn2_b64 s[12:13], s[4:5], exec
	s_and_b64 s[16:17], s[16:17], exec
	s_or_b64 s[12:13], s[12:13], s[16:17]
                                        ; implicit-def: $vgpr18
                                        ; implicit-def: $vgpr13
                                        ; implicit-def: $vgpr14
.LBB2470_182:
	s_or_saveexec_b64 s[14:15], s[14:15]
	s_mov_b64 s[16:17], s[6:7]
                                        ; implicit-def: $vgpr11
	s_xor_b64 exec, exec, s[14:15]
	s_cbranch_execz .LBB2470_192
; %bb.183:
	v_cmp_lt_i64_e32 vcc, 12, v[0:1]
	s_mov_b64 s[20:21], s[6:7]
	s_mov_b64 s[22:23], s[12:13]
                                        ; implicit-def: $vgpr10
                                        ; implicit-def: $vgpr11
	s_and_saveexec_b64 s[16:17], vcc
	s_xor_b64 s[16:17], exec, s[16:17]
	s_cbranch_execz .LBB2470_189
; %bb.184:
	v_cmp_lt_i64_e32 vcc, 13, v[0:1]
	s_mov_b64 s[20:21], s[12:13]
	s_and_saveexec_b64 s[22:23], vcc
	s_xor_b64 s[22:23], exec, s[22:23]
; %bb.185:
	s_or_b64 s[20:21], s[12:13], exec
                                        ; implicit-def: $vgpr13
; %bb.186:
	s_or_saveexec_b64 s[22:23], s[22:23]
	s_mov_b64 s[24:25], s[6:7]
	s_xor_b64 exec, exec, s[22:23]
; %bb.187:
	s_or_b64 s[24:25], s[6:7], exec
                                        ; implicit-def: $vgpr14
; %bb.188:
	s_or_b64 exec, exec, s[22:23]
	s_andn2_b64 s[22:23], s[12:13], exec
	s_and_b64 s[20:21], s[20:21], exec
	s_or_b64 s[22:23], s[22:23], s[20:21]
	s_andn2_b64 s[20:21], s[6:7], exec
	s_and_b64 s[24:25], s[24:25], exec
	s_or_b64 s[20:21], s[20:21], s[24:25]
	s_waitcnt lgkmcnt(0)
	v_mov_b32_e32 v10, v14
	v_mov_b32_e32 v11, v13
                                        ; implicit-def: $vgpr18
.LBB2470_189:
	s_andn2_saveexec_b64 s[16:17], s[16:17]
	s_cbranch_execz .LBB2470_191
; %bb.190:
	s_or_b64 s[20:21], s[20:21], exec
                                        ; implicit-def: $vgpr10
	s_waitcnt lgkmcnt(0)
	v_mov_b32_e32 v11, v18
.LBB2470_191:
	s_or_b64 exec, exec, s[16:17]
	s_andn2_b64 s[12:13], s[12:13], exec
	s_and_b64 s[16:17], s[22:23], exec
	s_or_b64 s[12:13], s[12:13], s[16:17]
	s_andn2_b64 s[16:17], s[6:7], exec
	s_and_b64 s[20:21], s[20:21], exec
	s_or_b64 s[16:17], s[16:17], s[20:21]
.LBB2470_192:
	s_or_b64 exec, exec, s[14:15]
	s_andn2_b64 s[4:5], s[4:5], exec
	s_and_b64 s[12:13], s[12:13], exec
	s_or_b64 s[4:5], s[4:5], s[12:13]
	s_andn2_b64 s[6:7], s[6:7], exec
	s_and_b64 s[12:13], s[16:17], exec
	s_or_b64 s[6:7], s[6:7], s[12:13]
                                        ; implicit-def: $vgpr12
.LBB2470_193:
	s_or_b64 exec, exec, s[10:11]
	s_and_b64 s[4:5], s[4:5], exec
	s_and_b64 s[6:7], s[6:7], exec
	s_and_b64 s[8:9], s[8:9], exec
                                        ; implicit-def: $vgpr17
                                        ; implicit-def: $vgpr15
                                        ; implicit-def: $vgpr16
                                        ; implicit-def: $vgpr25
                                        ; implicit-def: $vgpr22
                                        ; implicit-def: $vgpr19
	s_andn2_saveexec_b64 s[2:3], s[2:3]
	s_cbranch_execz .LBB2470_144
.LBB2470_194:
	v_cmp_lt_i64_e32 vcc, 5, v[0:1]
	s_mov_b64 s[12:13], -1
	s_mov_b64 s[10:11], s[8:9]
	s_mov_b64 s[14:15], s[6:7]
	;; [unrolled: 1-line block ×3, first 2 shown]
                                        ; implicit-def: $vgpr10
                                        ; implicit-def: $vgpr11
                                        ; implicit-def: $vgpr12
	s_and_saveexec_b64 s[0:1], vcc
	s_cbranch_execz .LBB2470_210
; %bb.195:
	v_cmp_lt_i64_e32 vcc, 8, v[0:1]
	s_mov_b64 s[10:11], s[8:9]
                                        ; implicit-def: $vgpr12
	s_and_saveexec_b64 s[12:13], vcc
	s_xor_b64 s[12:13], exec, s[12:13]
	s_cbranch_execz .LBB2470_205
; %bb.196:
	v_cmp_lt_i64_e32 vcc, 9, v[0:1]
	s_and_saveexec_b64 s[10:11], vcc
	s_xor_b64 s[10:11], exec, s[10:11]
	s_cbranch_execz .LBB2470_202
; %bb.197:
	v_cmp_lt_i64_e32 vcc, 10, v[0:1]
	s_and_saveexec_b64 s[14:15], vcc
	s_xor_b64 s[14:15], exec, s[14:15]
; %bb.198:
                                        ; implicit-def: $vgpr22
; %bb.199:
	s_andn2_saveexec_b64 s[14:15], s[14:15]
	s_cbranch_execz .LBB2470_201
; %bb.200:
	s_waitcnt lgkmcnt(0)
	v_mov_b32_e32 v19, v22
.LBB2470_201:
	s_or_b64 exec, exec, s[14:15]
                                        ; implicit-def: $vgpr25
.LBB2470_202:
	s_andn2_saveexec_b64 s[10:11], s[10:11]
	s_cbranch_execz .LBB2470_204
; %bb.203:
	s_waitcnt lgkmcnt(0)
	v_mov_b32_e32 v19, v25
.LBB2470_204:
	s_or_b64 exec, exec, s[10:11]
	s_or_b64 s[10:11], s[8:9], exec
	s_waitcnt lgkmcnt(0)
	v_mov_b32_e32 v12, v19
                                        ; implicit-def: $vgpr17
                                        ; implicit-def: $vgpr15
                                        ; implicit-def: $vgpr16
.LBB2470_205:
	s_or_saveexec_b64 s[12:13], s[12:13]
	s_mov_b64 s[14:15], s[6:7]
	s_mov_b64 s[20:21], s[4:5]
                                        ; implicit-def: $vgpr10
                                        ; implicit-def: $vgpr11
	s_xor_b64 exec, exec, s[12:13]
	s_cbranch_execz .LBB2470_209
; %bb.206:
	v_cmp_lt_i64_e32 vcc, 6, v[0:1]
	s_mov_b64 s[20:21], -1
	s_mov_b64 s[16:17], s[10:11]
	s_mov_b64 s[14:15], s[6:7]
	s_and_saveexec_b64 s[22:23], vcc
; %bb.207:
	v_cmp_lt_i64_e32 vcc, 7, v[0:1]
	s_andn2_b64 s[16:17], s[10:11], exec
	s_and_b64 s[24:25], vcc, exec
	s_xor_b64 s[20:21], exec, -1
	s_or_b64 s[14:15], s[6:7], exec
	s_or_b64 s[16:17], s[16:17], s[24:25]
                                        ; implicit-def: $vgpr17
; %bb.208:
	s_or_b64 exec, exec, s[22:23]
	s_andn2_b64 s[22:23], s[4:5], exec
	s_and_b64 s[20:21], s[20:21], exec
	s_or_b64 s[20:21], s[22:23], s[20:21]
	s_andn2_b64 s[22:23], s[6:7], exec
	s_and_b64 s[14:15], s[14:15], exec
	s_andn2_b64 s[10:11], s[10:11], exec
	s_and_b64 s[16:17], s[16:17], exec
	s_or_b64 s[14:15], s[22:23], s[14:15]
	s_or_b64 s[10:11], s[10:11], s[16:17]
	s_waitcnt lgkmcnt(0)
	v_mov_b32_e32 v10, v17
	v_mov_b32_e32 v11, v15
	;; [unrolled: 1-line block ×3, first 2 shown]
.LBB2470_209:
	s_or_b64 exec, exec, s[12:13]
	s_andn2_b64 s[16:17], s[4:5], exec
	s_and_b64 s[20:21], s[20:21], exec
	s_or_b64 s[16:17], s[16:17], s[20:21]
	s_andn2_b64 s[20:21], s[6:7], exec
	s_and_b64 s[14:15], s[14:15], exec
	s_or_b64 s[14:15], s[20:21], s[14:15]
	s_andn2_b64 s[20:21], s[8:9], exec
	s_and_b64 s[10:11], s[10:11], exec
	s_xor_b64 s[12:13], exec, -1
	s_or_b64 s[10:11], s[20:21], s[10:11]
.LBB2470_210:
	s_or_b64 exec, exec, s[0:1]
	s_and_b64 s[0:1], s[12:13], exec
	s_andn2_b64 s[4:5], s[4:5], exec
	s_and_b64 s[12:13], s[16:17], exec
	s_or_b64 s[4:5], s[4:5], s[12:13]
	s_andn2_b64 s[6:7], s[6:7], exec
	s_and_b64 s[12:13], s[14:15], exec
	s_andn2_b64 s[8:9], s[8:9], exec
	s_and_b64 s[10:11], s[10:11], exec
	s_or_b64 s[6:7], s[6:7], s[12:13]
	s_or_b64 s[8:9], s[8:9], s[10:11]
	s_or_b64 exec, exec, s[2:3]
	s_and_saveexec_b64 s[2:3], s[8:9]
	s_cbranch_execz .LBB2470_145
.LBB2470_211:
	v_mov_b32_e32 v2, 0
	s_andn2_b64 s[6:7], s[6:7], exec
	s_waitcnt lgkmcnt(0)
	global_store_short v2, v12, s[18:19]
                                        ; implicit-def: $vgpr10
                                        ; implicit-def: $vgpr11
	s_or_b64 exec, exec, s[2:3]
	s_and_saveexec_b64 s[2:3], s[6:7]
	s_cbranch_execz .LBB2470_146
.LBB2470_212:
	v_mov_b32_e32 v2, 0
	s_waitcnt lgkmcnt(0)
	global_store_short v2, v11, s[18:19]
                                        ; implicit-def: $vgpr10
	s_or_b64 exec, exec, s[2:3]
	s_and_saveexec_b64 s[2:3], s[4:5]
	s_xor_b64 s[2:3], exec, s[2:3]
	s_cbranch_execz .LBB2470_147
.LBB2470_213:
	v_mov_b32_e32 v2, 0
	s_waitcnt lgkmcnt(0)
	global_store_short v2, v10, s[18:19]
	s_or_b64 exec, exec, s[2:3]
	s_and_b64 exec, exec, s[0:1]
	s_cbranch_execz .LBB2470_148
.LBB2470_214:
	v_cmp_lt_i64_e32 vcc, 2, v[0:1]
	s_and_saveexec_b64 s[0:1], vcc
	s_xor_b64 s[0:1], exec, s[0:1]
	s_cbranch_execz .LBB2470_224
; %bb.215:
	v_cmp_lt_i64_e32 vcc, 3, v[0:1]
	s_and_saveexec_b64 s[2:3], vcc
	s_xor_b64 s[2:3], exec, s[2:3]
	s_cbranch_execz .LBB2470_221
; %bb.216:
	;; [unrolled: 5-line block ×3, first 2 shown]
	v_mov_b32_e32 v0, 0
	s_waitcnt lgkmcnt(0)
	global_store_short v0, v9, s[18:19]
                                        ; implicit-def: $vgpr6
.LBB2470_218:
	s_andn2_saveexec_b64 s[4:5], s[4:5]
	s_cbranch_execz .LBB2470_220
; %bb.219:
	v_mov_b32_e32 v0, 0
	s_waitcnt lgkmcnt(0)
	global_store_short v0, v6, s[18:19]
.LBB2470_220:
	s_or_b64 exec, exec, s[4:5]
                                        ; implicit-def: $vgpr8
.LBB2470_221:
	s_andn2_saveexec_b64 s[2:3], s[2:3]
	s_cbranch_execz .LBB2470_223
; %bb.222:
	v_mov_b32_e32 v0, 0
	s_waitcnt lgkmcnt(0)
	global_store_short v0, v8, s[18:19]
.LBB2470_223:
	s_or_b64 exec, exec, s[2:3]
                                        ; implicit-def: $vgpr0_vgpr1
                                        ; implicit-def: $vgpr7
                                        ; implicit-def: $vgpr4
                                        ; implicit-def: $vgpr5
.LBB2470_224:
	s_andn2_saveexec_b64 s[0:1], s[0:1]
	s_cbranch_execz .LBB2470_148
; %bb.225:
	v_cmp_lt_i64_e32 vcc, 1, v[0:1]
	s_and_saveexec_b64 s[0:1], vcc
	s_xor_b64 s[0:1], exec, s[0:1]
	s_cbranch_execz .LBB2470_227
; %bb.226:
	v_mov_b32_e32 v0, 0
	s_waitcnt lgkmcnt(0)
	global_store_short v0, v7, s[18:19]
                                        ; implicit-def: $vgpr4
                                        ; implicit-def: $vgpr0_vgpr1
                                        ; implicit-def: $vgpr5
.LBB2470_227:
	s_andn2_saveexec_b64 s[0:1], s[0:1]
	s_cbranch_execz .LBB2470_148
; %bb.228:
	v_cmp_ne_u64_e32 vcc, 1, v[0:1]
	s_and_saveexec_b64 s[0:1], vcc
	s_xor_b64 s[0:1], exec, s[0:1]
	s_cbranch_execz .LBB2470_230
; %bb.229:
	v_mov_b32_e32 v0, 0
	s_waitcnt lgkmcnt(0)
	global_store_short v0, v5, s[18:19]
                                        ; implicit-def: $vgpr4
.LBB2470_230:
	s_andn2_saveexec_b64 s[0:1], s[0:1]
	s_cbranch_execz .LBB2470_148
; %bb.231:
	v_mov_b32_e32 v0, 0
	s_waitcnt lgkmcnt(0)
	global_store_short v0, v4, s[18:19]
	s_endpgm
	.section	.rodata,"a",@progbits
	.p2align	6, 0x0
	.amdhsa_kernel _ZN7rocprim17ROCPRIM_400000_NS6detail17trampoline_kernelINS0_14default_configENS1_20scan_config_selectorItEEZZNS1_9scan_implILNS1_25lookback_scan_determinismE0ELb0ELb0ES3_N6thrust23THRUST_200600_302600_NS6detail15normal_iteratorINS9_10device_ptrItEEEESE_t11max_functorItEtEEDaPvRmT3_T4_T5_mT6_P12ihipStream_tbENKUlT_T0_E_clISt17integral_constantIbLb0EEST_IbLb1EEEEDaSP_SQ_EUlSP_E_NS1_11comp_targetILNS1_3genE4ELNS1_11target_archE910ELNS1_3gpuE8ELNS1_3repE0EEENS1_30default_config_static_selectorELNS0_4arch9wavefront6targetE1EEEvT1_
		.amdhsa_group_segment_fixed_size 3072
		.amdhsa_private_segment_fixed_size 0
		.amdhsa_kernarg_size 96
		.amdhsa_user_sgpr_count 6
		.amdhsa_user_sgpr_private_segment_buffer 1
		.amdhsa_user_sgpr_dispatch_ptr 0
		.amdhsa_user_sgpr_queue_ptr 0
		.amdhsa_user_sgpr_kernarg_segment_ptr 1
		.amdhsa_user_sgpr_dispatch_id 0
		.amdhsa_user_sgpr_flat_scratch_init 0
		.amdhsa_user_sgpr_kernarg_preload_length 0
		.amdhsa_user_sgpr_kernarg_preload_offset 0
		.amdhsa_user_sgpr_private_segment_size 0
		.amdhsa_uses_dynamic_stack 0
		.amdhsa_system_sgpr_private_segment_wavefront_offset 0
		.amdhsa_system_sgpr_workgroup_id_x 1
		.amdhsa_system_sgpr_workgroup_id_y 0
		.amdhsa_system_sgpr_workgroup_id_z 0
		.amdhsa_system_sgpr_workgroup_info 0
		.amdhsa_system_vgpr_workitem_id 0
		.amdhsa_next_free_vgpr 57
		.amdhsa_next_free_sgpr 38
		.amdhsa_accum_offset 60
		.amdhsa_reserve_vcc 1
		.amdhsa_reserve_flat_scratch 0
		.amdhsa_float_round_mode_32 0
		.amdhsa_float_round_mode_16_64 0
		.amdhsa_float_denorm_mode_32 3
		.amdhsa_float_denorm_mode_16_64 3
		.amdhsa_dx10_clamp 1
		.amdhsa_ieee_mode 1
		.amdhsa_fp16_overflow 0
		.amdhsa_tg_split 0
		.amdhsa_exception_fp_ieee_invalid_op 0
		.amdhsa_exception_fp_denorm_src 0
		.amdhsa_exception_fp_ieee_div_zero 0
		.amdhsa_exception_fp_ieee_overflow 0
		.amdhsa_exception_fp_ieee_underflow 0
		.amdhsa_exception_fp_ieee_inexact 0
		.amdhsa_exception_int_div_zero 0
	.end_amdhsa_kernel
	.section	.text._ZN7rocprim17ROCPRIM_400000_NS6detail17trampoline_kernelINS0_14default_configENS1_20scan_config_selectorItEEZZNS1_9scan_implILNS1_25lookback_scan_determinismE0ELb0ELb0ES3_N6thrust23THRUST_200600_302600_NS6detail15normal_iteratorINS9_10device_ptrItEEEESE_t11max_functorItEtEEDaPvRmT3_T4_T5_mT6_P12ihipStream_tbENKUlT_T0_E_clISt17integral_constantIbLb0EEST_IbLb1EEEEDaSP_SQ_EUlSP_E_NS1_11comp_targetILNS1_3genE4ELNS1_11target_archE910ELNS1_3gpuE8ELNS1_3repE0EEENS1_30default_config_static_selectorELNS0_4arch9wavefront6targetE1EEEvT1_,"axG",@progbits,_ZN7rocprim17ROCPRIM_400000_NS6detail17trampoline_kernelINS0_14default_configENS1_20scan_config_selectorItEEZZNS1_9scan_implILNS1_25lookback_scan_determinismE0ELb0ELb0ES3_N6thrust23THRUST_200600_302600_NS6detail15normal_iteratorINS9_10device_ptrItEEEESE_t11max_functorItEtEEDaPvRmT3_T4_T5_mT6_P12ihipStream_tbENKUlT_T0_E_clISt17integral_constantIbLb0EEST_IbLb1EEEEDaSP_SQ_EUlSP_E_NS1_11comp_targetILNS1_3genE4ELNS1_11target_archE910ELNS1_3gpuE8ELNS1_3repE0EEENS1_30default_config_static_selectorELNS0_4arch9wavefront6targetE1EEEvT1_,comdat
.Lfunc_end2470:
	.size	_ZN7rocprim17ROCPRIM_400000_NS6detail17trampoline_kernelINS0_14default_configENS1_20scan_config_selectorItEEZZNS1_9scan_implILNS1_25lookback_scan_determinismE0ELb0ELb0ES3_N6thrust23THRUST_200600_302600_NS6detail15normal_iteratorINS9_10device_ptrItEEEESE_t11max_functorItEtEEDaPvRmT3_T4_T5_mT6_P12ihipStream_tbENKUlT_T0_E_clISt17integral_constantIbLb0EEST_IbLb1EEEEDaSP_SQ_EUlSP_E_NS1_11comp_targetILNS1_3genE4ELNS1_11target_archE910ELNS1_3gpuE8ELNS1_3repE0EEENS1_30default_config_static_selectorELNS0_4arch9wavefront6targetE1EEEvT1_, .Lfunc_end2470-_ZN7rocprim17ROCPRIM_400000_NS6detail17trampoline_kernelINS0_14default_configENS1_20scan_config_selectorItEEZZNS1_9scan_implILNS1_25lookback_scan_determinismE0ELb0ELb0ES3_N6thrust23THRUST_200600_302600_NS6detail15normal_iteratorINS9_10device_ptrItEEEESE_t11max_functorItEtEEDaPvRmT3_T4_T5_mT6_P12ihipStream_tbENKUlT_T0_E_clISt17integral_constantIbLb0EEST_IbLb1EEEEDaSP_SQ_EUlSP_E_NS1_11comp_targetILNS1_3genE4ELNS1_11target_archE910ELNS1_3gpuE8ELNS1_3repE0EEENS1_30default_config_static_selectorELNS0_4arch9wavefront6targetE1EEEvT1_
                                        ; -- End function
	.section	.AMDGPU.csdata,"",@progbits
; Kernel info:
; codeLenInByte = 7992
; NumSgprs: 42
; NumVgprs: 57
; NumAgprs: 0
; TotalNumVgprs: 57
; ScratchSize: 0
; MemoryBound: 0
; FloatMode: 240
; IeeeMode: 1
; LDSByteSize: 3072 bytes/workgroup (compile time only)
; SGPRBlocks: 5
; VGPRBlocks: 7
; NumSGPRsForWavesPerEU: 42
; NumVGPRsForWavesPerEU: 57
; AccumOffset: 60
; Occupancy: 6
; WaveLimiterHint : 1
; COMPUTE_PGM_RSRC2:SCRATCH_EN: 0
; COMPUTE_PGM_RSRC2:USER_SGPR: 6
; COMPUTE_PGM_RSRC2:TRAP_HANDLER: 0
; COMPUTE_PGM_RSRC2:TGID_X_EN: 1
; COMPUTE_PGM_RSRC2:TGID_Y_EN: 0
; COMPUTE_PGM_RSRC2:TGID_Z_EN: 0
; COMPUTE_PGM_RSRC2:TIDIG_COMP_CNT: 0
; COMPUTE_PGM_RSRC3_GFX90A:ACCUM_OFFSET: 14
; COMPUTE_PGM_RSRC3_GFX90A:TG_SPLIT: 0
	.section	.text._ZN7rocprim17ROCPRIM_400000_NS6detail17trampoline_kernelINS0_14default_configENS1_20scan_config_selectorItEEZZNS1_9scan_implILNS1_25lookback_scan_determinismE0ELb0ELb0ES3_N6thrust23THRUST_200600_302600_NS6detail15normal_iteratorINS9_10device_ptrItEEEESE_t11max_functorItEtEEDaPvRmT3_T4_T5_mT6_P12ihipStream_tbENKUlT_T0_E_clISt17integral_constantIbLb0EEST_IbLb1EEEEDaSP_SQ_EUlSP_E_NS1_11comp_targetILNS1_3genE3ELNS1_11target_archE908ELNS1_3gpuE7ELNS1_3repE0EEENS1_30default_config_static_selectorELNS0_4arch9wavefront6targetE1EEEvT1_,"axG",@progbits,_ZN7rocprim17ROCPRIM_400000_NS6detail17trampoline_kernelINS0_14default_configENS1_20scan_config_selectorItEEZZNS1_9scan_implILNS1_25lookback_scan_determinismE0ELb0ELb0ES3_N6thrust23THRUST_200600_302600_NS6detail15normal_iteratorINS9_10device_ptrItEEEESE_t11max_functorItEtEEDaPvRmT3_T4_T5_mT6_P12ihipStream_tbENKUlT_T0_E_clISt17integral_constantIbLb0EEST_IbLb1EEEEDaSP_SQ_EUlSP_E_NS1_11comp_targetILNS1_3genE3ELNS1_11target_archE908ELNS1_3gpuE7ELNS1_3repE0EEENS1_30default_config_static_selectorELNS0_4arch9wavefront6targetE1EEEvT1_,comdat
	.protected	_ZN7rocprim17ROCPRIM_400000_NS6detail17trampoline_kernelINS0_14default_configENS1_20scan_config_selectorItEEZZNS1_9scan_implILNS1_25lookback_scan_determinismE0ELb0ELb0ES3_N6thrust23THRUST_200600_302600_NS6detail15normal_iteratorINS9_10device_ptrItEEEESE_t11max_functorItEtEEDaPvRmT3_T4_T5_mT6_P12ihipStream_tbENKUlT_T0_E_clISt17integral_constantIbLb0EEST_IbLb1EEEEDaSP_SQ_EUlSP_E_NS1_11comp_targetILNS1_3genE3ELNS1_11target_archE908ELNS1_3gpuE7ELNS1_3repE0EEENS1_30default_config_static_selectorELNS0_4arch9wavefront6targetE1EEEvT1_ ; -- Begin function _ZN7rocprim17ROCPRIM_400000_NS6detail17trampoline_kernelINS0_14default_configENS1_20scan_config_selectorItEEZZNS1_9scan_implILNS1_25lookback_scan_determinismE0ELb0ELb0ES3_N6thrust23THRUST_200600_302600_NS6detail15normal_iteratorINS9_10device_ptrItEEEESE_t11max_functorItEtEEDaPvRmT3_T4_T5_mT6_P12ihipStream_tbENKUlT_T0_E_clISt17integral_constantIbLb0EEST_IbLb1EEEEDaSP_SQ_EUlSP_E_NS1_11comp_targetILNS1_3genE3ELNS1_11target_archE908ELNS1_3gpuE7ELNS1_3repE0EEENS1_30default_config_static_selectorELNS0_4arch9wavefront6targetE1EEEvT1_
	.globl	_ZN7rocprim17ROCPRIM_400000_NS6detail17trampoline_kernelINS0_14default_configENS1_20scan_config_selectorItEEZZNS1_9scan_implILNS1_25lookback_scan_determinismE0ELb0ELb0ES3_N6thrust23THRUST_200600_302600_NS6detail15normal_iteratorINS9_10device_ptrItEEEESE_t11max_functorItEtEEDaPvRmT3_T4_T5_mT6_P12ihipStream_tbENKUlT_T0_E_clISt17integral_constantIbLb0EEST_IbLb1EEEEDaSP_SQ_EUlSP_E_NS1_11comp_targetILNS1_3genE3ELNS1_11target_archE908ELNS1_3gpuE7ELNS1_3repE0EEENS1_30default_config_static_selectorELNS0_4arch9wavefront6targetE1EEEvT1_
	.p2align	8
	.type	_ZN7rocprim17ROCPRIM_400000_NS6detail17trampoline_kernelINS0_14default_configENS1_20scan_config_selectorItEEZZNS1_9scan_implILNS1_25lookback_scan_determinismE0ELb0ELb0ES3_N6thrust23THRUST_200600_302600_NS6detail15normal_iteratorINS9_10device_ptrItEEEESE_t11max_functorItEtEEDaPvRmT3_T4_T5_mT6_P12ihipStream_tbENKUlT_T0_E_clISt17integral_constantIbLb0EEST_IbLb1EEEEDaSP_SQ_EUlSP_E_NS1_11comp_targetILNS1_3genE3ELNS1_11target_archE908ELNS1_3gpuE7ELNS1_3repE0EEENS1_30default_config_static_selectorELNS0_4arch9wavefront6targetE1EEEvT1_,@function
_ZN7rocprim17ROCPRIM_400000_NS6detail17trampoline_kernelINS0_14default_configENS1_20scan_config_selectorItEEZZNS1_9scan_implILNS1_25lookback_scan_determinismE0ELb0ELb0ES3_N6thrust23THRUST_200600_302600_NS6detail15normal_iteratorINS9_10device_ptrItEEEESE_t11max_functorItEtEEDaPvRmT3_T4_T5_mT6_P12ihipStream_tbENKUlT_T0_E_clISt17integral_constantIbLb0EEST_IbLb1EEEEDaSP_SQ_EUlSP_E_NS1_11comp_targetILNS1_3genE3ELNS1_11target_archE908ELNS1_3gpuE7ELNS1_3repE0EEENS1_30default_config_static_selectorELNS0_4arch9wavefront6targetE1EEEvT1_: ; @_ZN7rocprim17ROCPRIM_400000_NS6detail17trampoline_kernelINS0_14default_configENS1_20scan_config_selectorItEEZZNS1_9scan_implILNS1_25lookback_scan_determinismE0ELb0ELb0ES3_N6thrust23THRUST_200600_302600_NS6detail15normal_iteratorINS9_10device_ptrItEEEESE_t11max_functorItEtEEDaPvRmT3_T4_T5_mT6_P12ihipStream_tbENKUlT_T0_E_clISt17integral_constantIbLb0EEST_IbLb1EEEEDaSP_SQ_EUlSP_E_NS1_11comp_targetILNS1_3genE3ELNS1_11target_archE908ELNS1_3gpuE7ELNS1_3repE0EEENS1_30default_config_static_selectorELNS0_4arch9wavefront6targetE1EEEvT1_
; %bb.0:
	.section	.rodata,"a",@progbits
	.p2align	6, 0x0
	.amdhsa_kernel _ZN7rocprim17ROCPRIM_400000_NS6detail17trampoline_kernelINS0_14default_configENS1_20scan_config_selectorItEEZZNS1_9scan_implILNS1_25lookback_scan_determinismE0ELb0ELb0ES3_N6thrust23THRUST_200600_302600_NS6detail15normal_iteratorINS9_10device_ptrItEEEESE_t11max_functorItEtEEDaPvRmT3_T4_T5_mT6_P12ihipStream_tbENKUlT_T0_E_clISt17integral_constantIbLb0EEST_IbLb1EEEEDaSP_SQ_EUlSP_E_NS1_11comp_targetILNS1_3genE3ELNS1_11target_archE908ELNS1_3gpuE7ELNS1_3repE0EEENS1_30default_config_static_selectorELNS0_4arch9wavefront6targetE1EEEvT1_
		.amdhsa_group_segment_fixed_size 0
		.amdhsa_private_segment_fixed_size 0
		.amdhsa_kernarg_size 96
		.amdhsa_user_sgpr_count 6
		.amdhsa_user_sgpr_private_segment_buffer 1
		.amdhsa_user_sgpr_dispatch_ptr 0
		.amdhsa_user_sgpr_queue_ptr 0
		.amdhsa_user_sgpr_kernarg_segment_ptr 1
		.amdhsa_user_sgpr_dispatch_id 0
		.amdhsa_user_sgpr_flat_scratch_init 0
		.amdhsa_user_sgpr_kernarg_preload_length 0
		.amdhsa_user_sgpr_kernarg_preload_offset 0
		.amdhsa_user_sgpr_private_segment_size 0
		.amdhsa_uses_dynamic_stack 0
		.amdhsa_system_sgpr_private_segment_wavefront_offset 0
		.amdhsa_system_sgpr_workgroup_id_x 1
		.amdhsa_system_sgpr_workgroup_id_y 0
		.amdhsa_system_sgpr_workgroup_id_z 0
		.amdhsa_system_sgpr_workgroup_info 0
		.amdhsa_system_vgpr_workitem_id 0
		.amdhsa_next_free_vgpr 1
		.amdhsa_next_free_sgpr 0
		.amdhsa_accum_offset 4
		.amdhsa_reserve_vcc 0
		.amdhsa_reserve_flat_scratch 0
		.amdhsa_float_round_mode_32 0
		.amdhsa_float_round_mode_16_64 0
		.amdhsa_float_denorm_mode_32 3
		.amdhsa_float_denorm_mode_16_64 3
		.amdhsa_dx10_clamp 1
		.amdhsa_ieee_mode 1
		.amdhsa_fp16_overflow 0
		.amdhsa_tg_split 0
		.amdhsa_exception_fp_ieee_invalid_op 0
		.amdhsa_exception_fp_denorm_src 0
		.amdhsa_exception_fp_ieee_div_zero 0
		.amdhsa_exception_fp_ieee_overflow 0
		.amdhsa_exception_fp_ieee_underflow 0
		.amdhsa_exception_fp_ieee_inexact 0
		.amdhsa_exception_int_div_zero 0
	.end_amdhsa_kernel
	.section	.text._ZN7rocprim17ROCPRIM_400000_NS6detail17trampoline_kernelINS0_14default_configENS1_20scan_config_selectorItEEZZNS1_9scan_implILNS1_25lookback_scan_determinismE0ELb0ELb0ES3_N6thrust23THRUST_200600_302600_NS6detail15normal_iteratorINS9_10device_ptrItEEEESE_t11max_functorItEtEEDaPvRmT3_T4_T5_mT6_P12ihipStream_tbENKUlT_T0_E_clISt17integral_constantIbLb0EEST_IbLb1EEEEDaSP_SQ_EUlSP_E_NS1_11comp_targetILNS1_3genE3ELNS1_11target_archE908ELNS1_3gpuE7ELNS1_3repE0EEENS1_30default_config_static_selectorELNS0_4arch9wavefront6targetE1EEEvT1_,"axG",@progbits,_ZN7rocprim17ROCPRIM_400000_NS6detail17trampoline_kernelINS0_14default_configENS1_20scan_config_selectorItEEZZNS1_9scan_implILNS1_25lookback_scan_determinismE0ELb0ELb0ES3_N6thrust23THRUST_200600_302600_NS6detail15normal_iteratorINS9_10device_ptrItEEEESE_t11max_functorItEtEEDaPvRmT3_T4_T5_mT6_P12ihipStream_tbENKUlT_T0_E_clISt17integral_constantIbLb0EEST_IbLb1EEEEDaSP_SQ_EUlSP_E_NS1_11comp_targetILNS1_3genE3ELNS1_11target_archE908ELNS1_3gpuE7ELNS1_3repE0EEENS1_30default_config_static_selectorELNS0_4arch9wavefront6targetE1EEEvT1_,comdat
.Lfunc_end2471:
	.size	_ZN7rocprim17ROCPRIM_400000_NS6detail17trampoline_kernelINS0_14default_configENS1_20scan_config_selectorItEEZZNS1_9scan_implILNS1_25lookback_scan_determinismE0ELb0ELb0ES3_N6thrust23THRUST_200600_302600_NS6detail15normal_iteratorINS9_10device_ptrItEEEESE_t11max_functorItEtEEDaPvRmT3_T4_T5_mT6_P12ihipStream_tbENKUlT_T0_E_clISt17integral_constantIbLb0EEST_IbLb1EEEEDaSP_SQ_EUlSP_E_NS1_11comp_targetILNS1_3genE3ELNS1_11target_archE908ELNS1_3gpuE7ELNS1_3repE0EEENS1_30default_config_static_selectorELNS0_4arch9wavefront6targetE1EEEvT1_, .Lfunc_end2471-_ZN7rocprim17ROCPRIM_400000_NS6detail17trampoline_kernelINS0_14default_configENS1_20scan_config_selectorItEEZZNS1_9scan_implILNS1_25lookback_scan_determinismE0ELb0ELb0ES3_N6thrust23THRUST_200600_302600_NS6detail15normal_iteratorINS9_10device_ptrItEEEESE_t11max_functorItEtEEDaPvRmT3_T4_T5_mT6_P12ihipStream_tbENKUlT_T0_E_clISt17integral_constantIbLb0EEST_IbLb1EEEEDaSP_SQ_EUlSP_E_NS1_11comp_targetILNS1_3genE3ELNS1_11target_archE908ELNS1_3gpuE7ELNS1_3repE0EEENS1_30default_config_static_selectorELNS0_4arch9wavefront6targetE1EEEvT1_
                                        ; -- End function
	.section	.AMDGPU.csdata,"",@progbits
; Kernel info:
; codeLenInByte = 0
; NumSgprs: 4
; NumVgprs: 0
; NumAgprs: 0
; TotalNumVgprs: 0
; ScratchSize: 0
; MemoryBound: 0
; FloatMode: 240
; IeeeMode: 1
; LDSByteSize: 0 bytes/workgroup (compile time only)
; SGPRBlocks: 0
; VGPRBlocks: 0
; NumSGPRsForWavesPerEU: 4
; NumVGPRsForWavesPerEU: 1
; AccumOffset: 4
; Occupancy: 8
; WaveLimiterHint : 0
; COMPUTE_PGM_RSRC2:SCRATCH_EN: 0
; COMPUTE_PGM_RSRC2:USER_SGPR: 6
; COMPUTE_PGM_RSRC2:TRAP_HANDLER: 0
; COMPUTE_PGM_RSRC2:TGID_X_EN: 1
; COMPUTE_PGM_RSRC2:TGID_Y_EN: 0
; COMPUTE_PGM_RSRC2:TGID_Z_EN: 0
; COMPUTE_PGM_RSRC2:TIDIG_COMP_CNT: 0
; COMPUTE_PGM_RSRC3_GFX90A:ACCUM_OFFSET: 0
; COMPUTE_PGM_RSRC3_GFX90A:TG_SPLIT: 0
	.section	.text._ZN7rocprim17ROCPRIM_400000_NS6detail17trampoline_kernelINS0_14default_configENS1_20scan_config_selectorItEEZZNS1_9scan_implILNS1_25lookback_scan_determinismE0ELb0ELb0ES3_N6thrust23THRUST_200600_302600_NS6detail15normal_iteratorINS9_10device_ptrItEEEESE_t11max_functorItEtEEDaPvRmT3_T4_T5_mT6_P12ihipStream_tbENKUlT_T0_E_clISt17integral_constantIbLb0EEST_IbLb1EEEEDaSP_SQ_EUlSP_E_NS1_11comp_targetILNS1_3genE2ELNS1_11target_archE906ELNS1_3gpuE6ELNS1_3repE0EEENS1_30default_config_static_selectorELNS0_4arch9wavefront6targetE1EEEvT1_,"axG",@progbits,_ZN7rocprim17ROCPRIM_400000_NS6detail17trampoline_kernelINS0_14default_configENS1_20scan_config_selectorItEEZZNS1_9scan_implILNS1_25lookback_scan_determinismE0ELb0ELb0ES3_N6thrust23THRUST_200600_302600_NS6detail15normal_iteratorINS9_10device_ptrItEEEESE_t11max_functorItEtEEDaPvRmT3_T4_T5_mT6_P12ihipStream_tbENKUlT_T0_E_clISt17integral_constantIbLb0EEST_IbLb1EEEEDaSP_SQ_EUlSP_E_NS1_11comp_targetILNS1_3genE2ELNS1_11target_archE906ELNS1_3gpuE6ELNS1_3repE0EEENS1_30default_config_static_selectorELNS0_4arch9wavefront6targetE1EEEvT1_,comdat
	.protected	_ZN7rocprim17ROCPRIM_400000_NS6detail17trampoline_kernelINS0_14default_configENS1_20scan_config_selectorItEEZZNS1_9scan_implILNS1_25lookback_scan_determinismE0ELb0ELb0ES3_N6thrust23THRUST_200600_302600_NS6detail15normal_iteratorINS9_10device_ptrItEEEESE_t11max_functorItEtEEDaPvRmT3_T4_T5_mT6_P12ihipStream_tbENKUlT_T0_E_clISt17integral_constantIbLb0EEST_IbLb1EEEEDaSP_SQ_EUlSP_E_NS1_11comp_targetILNS1_3genE2ELNS1_11target_archE906ELNS1_3gpuE6ELNS1_3repE0EEENS1_30default_config_static_selectorELNS0_4arch9wavefront6targetE1EEEvT1_ ; -- Begin function _ZN7rocprim17ROCPRIM_400000_NS6detail17trampoline_kernelINS0_14default_configENS1_20scan_config_selectorItEEZZNS1_9scan_implILNS1_25lookback_scan_determinismE0ELb0ELb0ES3_N6thrust23THRUST_200600_302600_NS6detail15normal_iteratorINS9_10device_ptrItEEEESE_t11max_functorItEtEEDaPvRmT3_T4_T5_mT6_P12ihipStream_tbENKUlT_T0_E_clISt17integral_constantIbLb0EEST_IbLb1EEEEDaSP_SQ_EUlSP_E_NS1_11comp_targetILNS1_3genE2ELNS1_11target_archE906ELNS1_3gpuE6ELNS1_3repE0EEENS1_30default_config_static_selectorELNS0_4arch9wavefront6targetE1EEEvT1_
	.globl	_ZN7rocprim17ROCPRIM_400000_NS6detail17trampoline_kernelINS0_14default_configENS1_20scan_config_selectorItEEZZNS1_9scan_implILNS1_25lookback_scan_determinismE0ELb0ELb0ES3_N6thrust23THRUST_200600_302600_NS6detail15normal_iteratorINS9_10device_ptrItEEEESE_t11max_functorItEtEEDaPvRmT3_T4_T5_mT6_P12ihipStream_tbENKUlT_T0_E_clISt17integral_constantIbLb0EEST_IbLb1EEEEDaSP_SQ_EUlSP_E_NS1_11comp_targetILNS1_3genE2ELNS1_11target_archE906ELNS1_3gpuE6ELNS1_3repE0EEENS1_30default_config_static_selectorELNS0_4arch9wavefront6targetE1EEEvT1_
	.p2align	8
	.type	_ZN7rocprim17ROCPRIM_400000_NS6detail17trampoline_kernelINS0_14default_configENS1_20scan_config_selectorItEEZZNS1_9scan_implILNS1_25lookback_scan_determinismE0ELb0ELb0ES3_N6thrust23THRUST_200600_302600_NS6detail15normal_iteratorINS9_10device_ptrItEEEESE_t11max_functorItEtEEDaPvRmT3_T4_T5_mT6_P12ihipStream_tbENKUlT_T0_E_clISt17integral_constantIbLb0EEST_IbLb1EEEEDaSP_SQ_EUlSP_E_NS1_11comp_targetILNS1_3genE2ELNS1_11target_archE906ELNS1_3gpuE6ELNS1_3repE0EEENS1_30default_config_static_selectorELNS0_4arch9wavefront6targetE1EEEvT1_,@function
_ZN7rocprim17ROCPRIM_400000_NS6detail17trampoline_kernelINS0_14default_configENS1_20scan_config_selectorItEEZZNS1_9scan_implILNS1_25lookback_scan_determinismE0ELb0ELb0ES3_N6thrust23THRUST_200600_302600_NS6detail15normal_iteratorINS9_10device_ptrItEEEESE_t11max_functorItEtEEDaPvRmT3_T4_T5_mT6_P12ihipStream_tbENKUlT_T0_E_clISt17integral_constantIbLb0EEST_IbLb1EEEEDaSP_SQ_EUlSP_E_NS1_11comp_targetILNS1_3genE2ELNS1_11target_archE906ELNS1_3gpuE6ELNS1_3repE0EEENS1_30default_config_static_selectorELNS0_4arch9wavefront6targetE1EEEvT1_: ; @_ZN7rocprim17ROCPRIM_400000_NS6detail17trampoline_kernelINS0_14default_configENS1_20scan_config_selectorItEEZZNS1_9scan_implILNS1_25lookback_scan_determinismE0ELb0ELb0ES3_N6thrust23THRUST_200600_302600_NS6detail15normal_iteratorINS9_10device_ptrItEEEESE_t11max_functorItEtEEDaPvRmT3_T4_T5_mT6_P12ihipStream_tbENKUlT_T0_E_clISt17integral_constantIbLb0EEST_IbLb1EEEEDaSP_SQ_EUlSP_E_NS1_11comp_targetILNS1_3genE2ELNS1_11target_archE906ELNS1_3gpuE6ELNS1_3repE0EEENS1_30default_config_static_selectorELNS0_4arch9wavefront6targetE1EEEvT1_
; %bb.0:
	.section	.rodata,"a",@progbits
	.p2align	6, 0x0
	.amdhsa_kernel _ZN7rocprim17ROCPRIM_400000_NS6detail17trampoline_kernelINS0_14default_configENS1_20scan_config_selectorItEEZZNS1_9scan_implILNS1_25lookback_scan_determinismE0ELb0ELb0ES3_N6thrust23THRUST_200600_302600_NS6detail15normal_iteratorINS9_10device_ptrItEEEESE_t11max_functorItEtEEDaPvRmT3_T4_T5_mT6_P12ihipStream_tbENKUlT_T0_E_clISt17integral_constantIbLb0EEST_IbLb1EEEEDaSP_SQ_EUlSP_E_NS1_11comp_targetILNS1_3genE2ELNS1_11target_archE906ELNS1_3gpuE6ELNS1_3repE0EEENS1_30default_config_static_selectorELNS0_4arch9wavefront6targetE1EEEvT1_
		.amdhsa_group_segment_fixed_size 0
		.amdhsa_private_segment_fixed_size 0
		.amdhsa_kernarg_size 96
		.amdhsa_user_sgpr_count 6
		.amdhsa_user_sgpr_private_segment_buffer 1
		.amdhsa_user_sgpr_dispatch_ptr 0
		.amdhsa_user_sgpr_queue_ptr 0
		.amdhsa_user_sgpr_kernarg_segment_ptr 1
		.amdhsa_user_sgpr_dispatch_id 0
		.amdhsa_user_sgpr_flat_scratch_init 0
		.amdhsa_user_sgpr_kernarg_preload_length 0
		.amdhsa_user_sgpr_kernarg_preload_offset 0
		.amdhsa_user_sgpr_private_segment_size 0
		.amdhsa_uses_dynamic_stack 0
		.amdhsa_system_sgpr_private_segment_wavefront_offset 0
		.amdhsa_system_sgpr_workgroup_id_x 1
		.amdhsa_system_sgpr_workgroup_id_y 0
		.amdhsa_system_sgpr_workgroup_id_z 0
		.amdhsa_system_sgpr_workgroup_info 0
		.amdhsa_system_vgpr_workitem_id 0
		.amdhsa_next_free_vgpr 1
		.amdhsa_next_free_sgpr 0
		.amdhsa_accum_offset 4
		.amdhsa_reserve_vcc 0
		.amdhsa_reserve_flat_scratch 0
		.amdhsa_float_round_mode_32 0
		.amdhsa_float_round_mode_16_64 0
		.amdhsa_float_denorm_mode_32 3
		.amdhsa_float_denorm_mode_16_64 3
		.amdhsa_dx10_clamp 1
		.amdhsa_ieee_mode 1
		.amdhsa_fp16_overflow 0
		.amdhsa_tg_split 0
		.amdhsa_exception_fp_ieee_invalid_op 0
		.amdhsa_exception_fp_denorm_src 0
		.amdhsa_exception_fp_ieee_div_zero 0
		.amdhsa_exception_fp_ieee_overflow 0
		.amdhsa_exception_fp_ieee_underflow 0
		.amdhsa_exception_fp_ieee_inexact 0
		.amdhsa_exception_int_div_zero 0
	.end_amdhsa_kernel
	.section	.text._ZN7rocprim17ROCPRIM_400000_NS6detail17trampoline_kernelINS0_14default_configENS1_20scan_config_selectorItEEZZNS1_9scan_implILNS1_25lookback_scan_determinismE0ELb0ELb0ES3_N6thrust23THRUST_200600_302600_NS6detail15normal_iteratorINS9_10device_ptrItEEEESE_t11max_functorItEtEEDaPvRmT3_T4_T5_mT6_P12ihipStream_tbENKUlT_T0_E_clISt17integral_constantIbLb0EEST_IbLb1EEEEDaSP_SQ_EUlSP_E_NS1_11comp_targetILNS1_3genE2ELNS1_11target_archE906ELNS1_3gpuE6ELNS1_3repE0EEENS1_30default_config_static_selectorELNS0_4arch9wavefront6targetE1EEEvT1_,"axG",@progbits,_ZN7rocprim17ROCPRIM_400000_NS6detail17trampoline_kernelINS0_14default_configENS1_20scan_config_selectorItEEZZNS1_9scan_implILNS1_25lookback_scan_determinismE0ELb0ELb0ES3_N6thrust23THRUST_200600_302600_NS6detail15normal_iteratorINS9_10device_ptrItEEEESE_t11max_functorItEtEEDaPvRmT3_T4_T5_mT6_P12ihipStream_tbENKUlT_T0_E_clISt17integral_constantIbLb0EEST_IbLb1EEEEDaSP_SQ_EUlSP_E_NS1_11comp_targetILNS1_3genE2ELNS1_11target_archE906ELNS1_3gpuE6ELNS1_3repE0EEENS1_30default_config_static_selectorELNS0_4arch9wavefront6targetE1EEEvT1_,comdat
.Lfunc_end2472:
	.size	_ZN7rocprim17ROCPRIM_400000_NS6detail17trampoline_kernelINS0_14default_configENS1_20scan_config_selectorItEEZZNS1_9scan_implILNS1_25lookback_scan_determinismE0ELb0ELb0ES3_N6thrust23THRUST_200600_302600_NS6detail15normal_iteratorINS9_10device_ptrItEEEESE_t11max_functorItEtEEDaPvRmT3_T4_T5_mT6_P12ihipStream_tbENKUlT_T0_E_clISt17integral_constantIbLb0EEST_IbLb1EEEEDaSP_SQ_EUlSP_E_NS1_11comp_targetILNS1_3genE2ELNS1_11target_archE906ELNS1_3gpuE6ELNS1_3repE0EEENS1_30default_config_static_selectorELNS0_4arch9wavefront6targetE1EEEvT1_, .Lfunc_end2472-_ZN7rocprim17ROCPRIM_400000_NS6detail17trampoline_kernelINS0_14default_configENS1_20scan_config_selectorItEEZZNS1_9scan_implILNS1_25lookback_scan_determinismE0ELb0ELb0ES3_N6thrust23THRUST_200600_302600_NS6detail15normal_iteratorINS9_10device_ptrItEEEESE_t11max_functorItEtEEDaPvRmT3_T4_T5_mT6_P12ihipStream_tbENKUlT_T0_E_clISt17integral_constantIbLb0EEST_IbLb1EEEEDaSP_SQ_EUlSP_E_NS1_11comp_targetILNS1_3genE2ELNS1_11target_archE906ELNS1_3gpuE6ELNS1_3repE0EEENS1_30default_config_static_selectorELNS0_4arch9wavefront6targetE1EEEvT1_
                                        ; -- End function
	.section	.AMDGPU.csdata,"",@progbits
; Kernel info:
; codeLenInByte = 0
; NumSgprs: 4
; NumVgprs: 0
; NumAgprs: 0
; TotalNumVgprs: 0
; ScratchSize: 0
; MemoryBound: 0
; FloatMode: 240
; IeeeMode: 1
; LDSByteSize: 0 bytes/workgroup (compile time only)
; SGPRBlocks: 0
; VGPRBlocks: 0
; NumSGPRsForWavesPerEU: 4
; NumVGPRsForWavesPerEU: 1
; AccumOffset: 4
; Occupancy: 8
; WaveLimiterHint : 0
; COMPUTE_PGM_RSRC2:SCRATCH_EN: 0
; COMPUTE_PGM_RSRC2:USER_SGPR: 6
; COMPUTE_PGM_RSRC2:TRAP_HANDLER: 0
; COMPUTE_PGM_RSRC2:TGID_X_EN: 1
; COMPUTE_PGM_RSRC2:TGID_Y_EN: 0
; COMPUTE_PGM_RSRC2:TGID_Z_EN: 0
; COMPUTE_PGM_RSRC2:TIDIG_COMP_CNT: 0
; COMPUTE_PGM_RSRC3_GFX90A:ACCUM_OFFSET: 0
; COMPUTE_PGM_RSRC3_GFX90A:TG_SPLIT: 0
	.section	.text._ZN7rocprim17ROCPRIM_400000_NS6detail17trampoline_kernelINS0_14default_configENS1_20scan_config_selectorItEEZZNS1_9scan_implILNS1_25lookback_scan_determinismE0ELb0ELb0ES3_N6thrust23THRUST_200600_302600_NS6detail15normal_iteratorINS9_10device_ptrItEEEESE_t11max_functorItEtEEDaPvRmT3_T4_T5_mT6_P12ihipStream_tbENKUlT_T0_E_clISt17integral_constantIbLb0EEST_IbLb1EEEEDaSP_SQ_EUlSP_E_NS1_11comp_targetILNS1_3genE10ELNS1_11target_archE1201ELNS1_3gpuE5ELNS1_3repE0EEENS1_30default_config_static_selectorELNS0_4arch9wavefront6targetE1EEEvT1_,"axG",@progbits,_ZN7rocprim17ROCPRIM_400000_NS6detail17trampoline_kernelINS0_14default_configENS1_20scan_config_selectorItEEZZNS1_9scan_implILNS1_25lookback_scan_determinismE0ELb0ELb0ES3_N6thrust23THRUST_200600_302600_NS6detail15normal_iteratorINS9_10device_ptrItEEEESE_t11max_functorItEtEEDaPvRmT3_T4_T5_mT6_P12ihipStream_tbENKUlT_T0_E_clISt17integral_constantIbLb0EEST_IbLb1EEEEDaSP_SQ_EUlSP_E_NS1_11comp_targetILNS1_3genE10ELNS1_11target_archE1201ELNS1_3gpuE5ELNS1_3repE0EEENS1_30default_config_static_selectorELNS0_4arch9wavefront6targetE1EEEvT1_,comdat
	.protected	_ZN7rocprim17ROCPRIM_400000_NS6detail17trampoline_kernelINS0_14default_configENS1_20scan_config_selectorItEEZZNS1_9scan_implILNS1_25lookback_scan_determinismE0ELb0ELb0ES3_N6thrust23THRUST_200600_302600_NS6detail15normal_iteratorINS9_10device_ptrItEEEESE_t11max_functorItEtEEDaPvRmT3_T4_T5_mT6_P12ihipStream_tbENKUlT_T0_E_clISt17integral_constantIbLb0EEST_IbLb1EEEEDaSP_SQ_EUlSP_E_NS1_11comp_targetILNS1_3genE10ELNS1_11target_archE1201ELNS1_3gpuE5ELNS1_3repE0EEENS1_30default_config_static_selectorELNS0_4arch9wavefront6targetE1EEEvT1_ ; -- Begin function _ZN7rocprim17ROCPRIM_400000_NS6detail17trampoline_kernelINS0_14default_configENS1_20scan_config_selectorItEEZZNS1_9scan_implILNS1_25lookback_scan_determinismE0ELb0ELb0ES3_N6thrust23THRUST_200600_302600_NS6detail15normal_iteratorINS9_10device_ptrItEEEESE_t11max_functorItEtEEDaPvRmT3_T4_T5_mT6_P12ihipStream_tbENKUlT_T0_E_clISt17integral_constantIbLb0EEST_IbLb1EEEEDaSP_SQ_EUlSP_E_NS1_11comp_targetILNS1_3genE10ELNS1_11target_archE1201ELNS1_3gpuE5ELNS1_3repE0EEENS1_30default_config_static_selectorELNS0_4arch9wavefront6targetE1EEEvT1_
	.globl	_ZN7rocprim17ROCPRIM_400000_NS6detail17trampoline_kernelINS0_14default_configENS1_20scan_config_selectorItEEZZNS1_9scan_implILNS1_25lookback_scan_determinismE0ELb0ELb0ES3_N6thrust23THRUST_200600_302600_NS6detail15normal_iteratorINS9_10device_ptrItEEEESE_t11max_functorItEtEEDaPvRmT3_T4_T5_mT6_P12ihipStream_tbENKUlT_T0_E_clISt17integral_constantIbLb0EEST_IbLb1EEEEDaSP_SQ_EUlSP_E_NS1_11comp_targetILNS1_3genE10ELNS1_11target_archE1201ELNS1_3gpuE5ELNS1_3repE0EEENS1_30default_config_static_selectorELNS0_4arch9wavefront6targetE1EEEvT1_
	.p2align	8
	.type	_ZN7rocprim17ROCPRIM_400000_NS6detail17trampoline_kernelINS0_14default_configENS1_20scan_config_selectorItEEZZNS1_9scan_implILNS1_25lookback_scan_determinismE0ELb0ELb0ES3_N6thrust23THRUST_200600_302600_NS6detail15normal_iteratorINS9_10device_ptrItEEEESE_t11max_functorItEtEEDaPvRmT3_T4_T5_mT6_P12ihipStream_tbENKUlT_T0_E_clISt17integral_constantIbLb0EEST_IbLb1EEEEDaSP_SQ_EUlSP_E_NS1_11comp_targetILNS1_3genE10ELNS1_11target_archE1201ELNS1_3gpuE5ELNS1_3repE0EEENS1_30default_config_static_selectorELNS0_4arch9wavefront6targetE1EEEvT1_,@function
_ZN7rocprim17ROCPRIM_400000_NS6detail17trampoline_kernelINS0_14default_configENS1_20scan_config_selectorItEEZZNS1_9scan_implILNS1_25lookback_scan_determinismE0ELb0ELb0ES3_N6thrust23THRUST_200600_302600_NS6detail15normal_iteratorINS9_10device_ptrItEEEESE_t11max_functorItEtEEDaPvRmT3_T4_T5_mT6_P12ihipStream_tbENKUlT_T0_E_clISt17integral_constantIbLb0EEST_IbLb1EEEEDaSP_SQ_EUlSP_E_NS1_11comp_targetILNS1_3genE10ELNS1_11target_archE1201ELNS1_3gpuE5ELNS1_3repE0EEENS1_30default_config_static_selectorELNS0_4arch9wavefront6targetE1EEEvT1_: ; @_ZN7rocprim17ROCPRIM_400000_NS6detail17trampoline_kernelINS0_14default_configENS1_20scan_config_selectorItEEZZNS1_9scan_implILNS1_25lookback_scan_determinismE0ELb0ELb0ES3_N6thrust23THRUST_200600_302600_NS6detail15normal_iteratorINS9_10device_ptrItEEEESE_t11max_functorItEtEEDaPvRmT3_T4_T5_mT6_P12ihipStream_tbENKUlT_T0_E_clISt17integral_constantIbLb0EEST_IbLb1EEEEDaSP_SQ_EUlSP_E_NS1_11comp_targetILNS1_3genE10ELNS1_11target_archE1201ELNS1_3gpuE5ELNS1_3repE0EEENS1_30default_config_static_selectorELNS0_4arch9wavefront6targetE1EEEvT1_
; %bb.0:
	.section	.rodata,"a",@progbits
	.p2align	6, 0x0
	.amdhsa_kernel _ZN7rocprim17ROCPRIM_400000_NS6detail17trampoline_kernelINS0_14default_configENS1_20scan_config_selectorItEEZZNS1_9scan_implILNS1_25lookback_scan_determinismE0ELb0ELb0ES3_N6thrust23THRUST_200600_302600_NS6detail15normal_iteratorINS9_10device_ptrItEEEESE_t11max_functorItEtEEDaPvRmT3_T4_T5_mT6_P12ihipStream_tbENKUlT_T0_E_clISt17integral_constantIbLb0EEST_IbLb1EEEEDaSP_SQ_EUlSP_E_NS1_11comp_targetILNS1_3genE10ELNS1_11target_archE1201ELNS1_3gpuE5ELNS1_3repE0EEENS1_30default_config_static_selectorELNS0_4arch9wavefront6targetE1EEEvT1_
		.amdhsa_group_segment_fixed_size 0
		.amdhsa_private_segment_fixed_size 0
		.amdhsa_kernarg_size 96
		.amdhsa_user_sgpr_count 6
		.amdhsa_user_sgpr_private_segment_buffer 1
		.amdhsa_user_sgpr_dispatch_ptr 0
		.amdhsa_user_sgpr_queue_ptr 0
		.amdhsa_user_sgpr_kernarg_segment_ptr 1
		.amdhsa_user_sgpr_dispatch_id 0
		.amdhsa_user_sgpr_flat_scratch_init 0
		.amdhsa_user_sgpr_kernarg_preload_length 0
		.amdhsa_user_sgpr_kernarg_preload_offset 0
		.amdhsa_user_sgpr_private_segment_size 0
		.amdhsa_uses_dynamic_stack 0
		.amdhsa_system_sgpr_private_segment_wavefront_offset 0
		.amdhsa_system_sgpr_workgroup_id_x 1
		.amdhsa_system_sgpr_workgroup_id_y 0
		.amdhsa_system_sgpr_workgroup_id_z 0
		.amdhsa_system_sgpr_workgroup_info 0
		.amdhsa_system_vgpr_workitem_id 0
		.amdhsa_next_free_vgpr 1
		.amdhsa_next_free_sgpr 0
		.amdhsa_accum_offset 4
		.amdhsa_reserve_vcc 0
		.amdhsa_reserve_flat_scratch 0
		.amdhsa_float_round_mode_32 0
		.amdhsa_float_round_mode_16_64 0
		.amdhsa_float_denorm_mode_32 3
		.amdhsa_float_denorm_mode_16_64 3
		.amdhsa_dx10_clamp 1
		.amdhsa_ieee_mode 1
		.amdhsa_fp16_overflow 0
		.amdhsa_tg_split 0
		.amdhsa_exception_fp_ieee_invalid_op 0
		.amdhsa_exception_fp_denorm_src 0
		.amdhsa_exception_fp_ieee_div_zero 0
		.amdhsa_exception_fp_ieee_overflow 0
		.amdhsa_exception_fp_ieee_underflow 0
		.amdhsa_exception_fp_ieee_inexact 0
		.amdhsa_exception_int_div_zero 0
	.end_amdhsa_kernel
	.section	.text._ZN7rocprim17ROCPRIM_400000_NS6detail17trampoline_kernelINS0_14default_configENS1_20scan_config_selectorItEEZZNS1_9scan_implILNS1_25lookback_scan_determinismE0ELb0ELb0ES3_N6thrust23THRUST_200600_302600_NS6detail15normal_iteratorINS9_10device_ptrItEEEESE_t11max_functorItEtEEDaPvRmT3_T4_T5_mT6_P12ihipStream_tbENKUlT_T0_E_clISt17integral_constantIbLb0EEST_IbLb1EEEEDaSP_SQ_EUlSP_E_NS1_11comp_targetILNS1_3genE10ELNS1_11target_archE1201ELNS1_3gpuE5ELNS1_3repE0EEENS1_30default_config_static_selectorELNS0_4arch9wavefront6targetE1EEEvT1_,"axG",@progbits,_ZN7rocprim17ROCPRIM_400000_NS6detail17trampoline_kernelINS0_14default_configENS1_20scan_config_selectorItEEZZNS1_9scan_implILNS1_25lookback_scan_determinismE0ELb0ELb0ES3_N6thrust23THRUST_200600_302600_NS6detail15normal_iteratorINS9_10device_ptrItEEEESE_t11max_functorItEtEEDaPvRmT3_T4_T5_mT6_P12ihipStream_tbENKUlT_T0_E_clISt17integral_constantIbLb0EEST_IbLb1EEEEDaSP_SQ_EUlSP_E_NS1_11comp_targetILNS1_3genE10ELNS1_11target_archE1201ELNS1_3gpuE5ELNS1_3repE0EEENS1_30default_config_static_selectorELNS0_4arch9wavefront6targetE1EEEvT1_,comdat
.Lfunc_end2473:
	.size	_ZN7rocprim17ROCPRIM_400000_NS6detail17trampoline_kernelINS0_14default_configENS1_20scan_config_selectorItEEZZNS1_9scan_implILNS1_25lookback_scan_determinismE0ELb0ELb0ES3_N6thrust23THRUST_200600_302600_NS6detail15normal_iteratorINS9_10device_ptrItEEEESE_t11max_functorItEtEEDaPvRmT3_T4_T5_mT6_P12ihipStream_tbENKUlT_T0_E_clISt17integral_constantIbLb0EEST_IbLb1EEEEDaSP_SQ_EUlSP_E_NS1_11comp_targetILNS1_3genE10ELNS1_11target_archE1201ELNS1_3gpuE5ELNS1_3repE0EEENS1_30default_config_static_selectorELNS0_4arch9wavefront6targetE1EEEvT1_, .Lfunc_end2473-_ZN7rocprim17ROCPRIM_400000_NS6detail17trampoline_kernelINS0_14default_configENS1_20scan_config_selectorItEEZZNS1_9scan_implILNS1_25lookback_scan_determinismE0ELb0ELb0ES3_N6thrust23THRUST_200600_302600_NS6detail15normal_iteratorINS9_10device_ptrItEEEESE_t11max_functorItEtEEDaPvRmT3_T4_T5_mT6_P12ihipStream_tbENKUlT_T0_E_clISt17integral_constantIbLb0EEST_IbLb1EEEEDaSP_SQ_EUlSP_E_NS1_11comp_targetILNS1_3genE10ELNS1_11target_archE1201ELNS1_3gpuE5ELNS1_3repE0EEENS1_30default_config_static_selectorELNS0_4arch9wavefront6targetE1EEEvT1_
                                        ; -- End function
	.section	.AMDGPU.csdata,"",@progbits
; Kernel info:
; codeLenInByte = 0
; NumSgprs: 4
; NumVgprs: 0
; NumAgprs: 0
; TotalNumVgprs: 0
; ScratchSize: 0
; MemoryBound: 0
; FloatMode: 240
; IeeeMode: 1
; LDSByteSize: 0 bytes/workgroup (compile time only)
; SGPRBlocks: 0
; VGPRBlocks: 0
; NumSGPRsForWavesPerEU: 4
; NumVGPRsForWavesPerEU: 1
; AccumOffset: 4
; Occupancy: 8
; WaveLimiterHint : 0
; COMPUTE_PGM_RSRC2:SCRATCH_EN: 0
; COMPUTE_PGM_RSRC2:USER_SGPR: 6
; COMPUTE_PGM_RSRC2:TRAP_HANDLER: 0
; COMPUTE_PGM_RSRC2:TGID_X_EN: 1
; COMPUTE_PGM_RSRC2:TGID_Y_EN: 0
; COMPUTE_PGM_RSRC2:TGID_Z_EN: 0
; COMPUTE_PGM_RSRC2:TIDIG_COMP_CNT: 0
; COMPUTE_PGM_RSRC3_GFX90A:ACCUM_OFFSET: 0
; COMPUTE_PGM_RSRC3_GFX90A:TG_SPLIT: 0
	.section	.text._ZN7rocprim17ROCPRIM_400000_NS6detail17trampoline_kernelINS0_14default_configENS1_20scan_config_selectorItEEZZNS1_9scan_implILNS1_25lookback_scan_determinismE0ELb0ELb0ES3_N6thrust23THRUST_200600_302600_NS6detail15normal_iteratorINS9_10device_ptrItEEEESE_t11max_functorItEtEEDaPvRmT3_T4_T5_mT6_P12ihipStream_tbENKUlT_T0_E_clISt17integral_constantIbLb0EEST_IbLb1EEEEDaSP_SQ_EUlSP_E_NS1_11comp_targetILNS1_3genE10ELNS1_11target_archE1200ELNS1_3gpuE4ELNS1_3repE0EEENS1_30default_config_static_selectorELNS0_4arch9wavefront6targetE1EEEvT1_,"axG",@progbits,_ZN7rocprim17ROCPRIM_400000_NS6detail17trampoline_kernelINS0_14default_configENS1_20scan_config_selectorItEEZZNS1_9scan_implILNS1_25lookback_scan_determinismE0ELb0ELb0ES3_N6thrust23THRUST_200600_302600_NS6detail15normal_iteratorINS9_10device_ptrItEEEESE_t11max_functorItEtEEDaPvRmT3_T4_T5_mT6_P12ihipStream_tbENKUlT_T0_E_clISt17integral_constantIbLb0EEST_IbLb1EEEEDaSP_SQ_EUlSP_E_NS1_11comp_targetILNS1_3genE10ELNS1_11target_archE1200ELNS1_3gpuE4ELNS1_3repE0EEENS1_30default_config_static_selectorELNS0_4arch9wavefront6targetE1EEEvT1_,comdat
	.protected	_ZN7rocprim17ROCPRIM_400000_NS6detail17trampoline_kernelINS0_14default_configENS1_20scan_config_selectorItEEZZNS1_9scan_implILNS1_25lookback_scan_determinismE0ELb0ELb0ES3_N6thrust23THRUST_200600_302600_NS6detail15normal_iteratorINS9_10device_ptrItEEEESE_t11max_functorItEtEEDaPvRmT3_T4_T5_mT6_P12ihipStream_tbENKUlT_T0_E_clISt17integral_constantIbLb0EEST_IbLb1EEEEDaSP_SQ_EUlSP_E_NS1_11comp_targetILNS1_3genE10ELNS1_11target_archE1200ELNS1_3gpuE4ELNS1_3repE0EEENS1_30default_config_static_selectorELNS0_4arch9wavefront6targetE1EEEvT1_ ; -- Begin function _ZN7rocprim17ROCPRIM_400000_NS6detail17trampoline_kernelINS0_14default_configENS1_20scan_config_selectorItEEZZNS1_9scan_implILNS1_25lookback_scan_determinismE0ELb0ELb0ES3_N6thrust23THRUST_200600_302600_NS6detail15normal_iteratorINS9_10device_ptrItEEEESE_t11max_functorItEtEEDaPvRmT3_T4_T5_mT6_P12ihipStream_tbENKUlT_T0_E_clISt17integral_constantIbLb0EEST_IbLb1EEEEDaSP_SQ_EUlSP_E_NS1_11comp_targetILNS1_3genE10ELNS1_11target_archE1200ELNS1_3gpuE4ELNS1_3repE0EEENS1_30default_config_static_selectorELNS0_4arch9wavefront6targetE1EEEvT1_
	.globl	_ZN7rocprim17ROCPRIM_400000_NS6detail17trampoline_kernelINS0_14default_configENS1_20scan_config_selectorItEEZZNS1_9scan_implILNS1_25lookback_scan_determinismE0ELb0ELb0ES3_N6thrust23THRUST_200600_302600_NS6detail15normal_iteratorINS9_10device_ptrItEEEESE_t11max_functorItEtEEDaPvRmT3_T4_T5_mT6_P12ihipStream_tbENKUlT_T0_E_clISt17integral_constantIbLb0EEST_IbLb1EEEEDaSP_SQ_EUlSP_E_NS1_11comp_targetILNS1_3genE10ELNS1_11target_archE1200ELNS1_3gpuE4ELNS1_3repE0EEENS1_30default_config_static_selectorELNS0_4arch9wavefront6targetE1EEEvT1_
	.p2align	8
	.type	_ZN7rocprim17ROCPRIM_400000_NS6detail17trampoline_kernelINS0_14default_configENS1_20scan_config_selectorItEEZZNS1_9scan_implILNS1_25lookback_scan_determinismE0ELb0ELb0ES3_N6thrust23THRUST_200600_302600_NS6detail15normal_iteratorINS9_10device_ptrItEEEESE_t11max_functorItEtEEDaPvRmT3_T4_T5_mT6_P12ihipStream_tbENKUlT_T0_E_clISt17integral_constantIbLb0EEST_IbLb1EEEEDaSP_SQ_EUlSP_E_NS1_11comp_targetILNS1_3genE10ELNS1_11target_archE1200ELNS1_3gpuE4ELNS1_3repE0EEENS1_30default_config_static_selectorELNS0_4arch9wavefront6targetE1EEEvT1_,@function
_ZN7rocprim17ROCPRIM_400000_NS6detail17trampoline_kernelINS0_14default_configENS1_20scan_config_selectorItEEZZNS1_9scan_implILNS1_25lookback_scan_determinismE0ELb0ELb0ES3_N6thrust23THRUST_200600_302600_NS6detail15normal_iteratorINS9_10device_ptrItEEEESE_t11max_functorItEtEEDaPvRmT3_T4_T5_mT6_P12ihipStream_tbENKUlT_T0_E_clISt17integral_constantIbLb0EEST_IbLb1EEEEDaSP_SQ_EUlSP_E_NS1_11comp_targetILNS1_3genE10ELNS1_11target_archE1200ELNS1_3gpuE4ELNS1_3repE0EEENS1_30default_config_static_selectorELNS0_4arch9wavefront6targetE1EEEvT1_: ; @_ZN7rocprim17ROCPRIM_400000_NS6detail17trampoline_kernelINS0_14default_configENS1_20scan_config_selectorItEEZZNS1_9scan_implILNS1_25lookback_scan_determinismE0ELb0ELb0ES3_N6thrust23THRUST_200600_302600_NS6detail15normal_iteratorINS9_10device_ptrItEEEESE_t11max_functorItEtEEDaPvRmT3_T4_T5_mT6_P12ihipStream_tbENKUlT_T0_E_clISt17integral_constantIbLb0EEST_IbLb1EEEEDaSP_SQ_EUlSP_E_NS1_11comp_targetILNS1_3genE10ELNS1_11target_archE1200ELNS1_3gpuE4ELNS1_3repE0EEENS1_30default_config_static_selectorELNS0_4arch9wavefront6targetE1EEEvT1_
; %bb.0:
	.section	.rodata,"a",@progbits
	.p2align	6, 0x0
	.amdhsa_kernel _ZN7rocprim17ROCPRIM_400000_NS6detail17trampoline_kernelINS0_14default_configENS1_20scan_config_selectorItEEZZNS1_9scan_implILNS1_25lookback_scan_determinismE0ELb0ELb0ES3_N6thrust23THRUST_200600_302600_NS6detail15normal_iteratorINS9_10device_ptrItEEEESE_t11max_functorItEtEEDaPvRmT3_T4_T5_mT6_P12ihipStream_tbENKUlT_T0_E_clISt17integral_constantIbLb0EEST_IbLb1EEEEDaSP_SQ_EUlSP_E_NS1_11comp_targetILNS1_3genE10ELNS1_11target_archE1200ELNS1_3gpuE4ELNS1_3repE0EEENS1_30default_config_static_selectorELNS0_4arch9wavefront6targetE1EEEvT1_
		.amdhsa_group_segment_fixed_size 0
		.amdhsa_private_segment_fixed_size 0
		.amdhsa_kernarg_size 96
		.amdhsa_user_sgpr_count 6
		.amdhsa_user_sgpr_private_segment_buffer 1
		.amdhsa_user_sgpr_dispatch_ptr 0
		.amdhsa_user_sgpr_queue_ptr 0
		.amdhsa_user_sgpr_kernarg_segment_ptr 1
		.amdhsa_user_sgpr_dispatch_id 0
		.amdhsa_user_sgpr_flat_scratch_init 0
		.amdhsa_user_sgpr_kernarg_preload_length 0
		.amdhsa_user_sgpr_kernarg_preload_offset 0
		.amdhsa_user_sgpr_private_segment_size 0
		.amdhsa_uses_dynamic_stack 0
		.amdhsa_system_sgpr_private_segment_wavefront_offset 0
		.amdhsa_system_sgpr_workgroup_id_x 1
		.amdhsa_system_sgpr_workgroup_id_y 0
		.amdhsa_system_sgpr_workgroup_id_z 0
		.amdhsa_system_sgpr_workgroup_info 0
		.amdhsa_system_vgpr_workitem_id 0
		.amdhsa_next_free_vgpr 1
		.amdhsa_next_free_sgpr 0
		.amdhsa_accum_offset 4
		.amdhsa_reserve_vcc 0
		.amdhsa_reserve_flat_scratch 0
		.amdhsa_float_round_mode_32 0
		.amdhsa_float_round_mode_16_64 0
		.amdhsa_float_denorm_mode_32 3
		.amdhsa_float_denorm_mode_16_64 3
		.amdhsa_dx10_clamp 1
		.amdhsa_ieee_mode 1
		.amdhsa_fp16_overflow 0
		.amdhsa_tg_split 0
		.amdhsa_exception_fp_ieee_invalid_op 0
		.amdhsa_exception_fp_denorm_src 0
		.amdhsa_exception_fp_ieee_div_zero 0
		.amdhsa_exception_fp_ieee_overflow 0
		.amdhsa_exception_fp_ieee_underflow 0
		.amdhsa_exception_fp_ieee_inexact 0
		.amdhsa_exception_int_div_zero 0
	.end_amdhsa_kernel
	.section	.text._ZN7rocprim17ROCPRIM_400000_NS6detail17trampoline_kernelINS0_14default_configENS1_20scan_config_selectorItEEZZNS1_9scan_implILNS1_25lookback_scan_determinismE0ELb0ELb0ES3_N6thrust23THRUST_200600_302600_NS6detail15normal_iteratorINS9_10device_ptrItEEEESE_t11max_functorItEtEEDaPvRmT3_T4_T5_mT6_P12ihipStream_tbENKUlT_T0_E_clISt17integral_constantIbLb0EEST_IbLb1EEEEDaSP_SQ_EUlSP_E_NS1_11comp_targetILNS1_3genE10ELNS1_11target_archE1200ELNS1_3gpuE4ELNS1_3repE0EEENS1_30default_config_static_selectorELNS0_4arch9wavefront6targetE1EEEvT1_,"axG",@progbits,_ZN7rocprim17ROCPRIM_400000_NS6detail17trampoline_kernelINS0_14default_configENS1_20scan_config_selectorItEEZZNS1_9scan_implILNS1_25lookback_scan_determinismE0ELb0ELb0ES3_N6thrust23THRUST_200600_302600_NS6detail15normal_iteratorINS9_10device_ptrItEEEESE_t11max_functorItEtEEDaPvRmT3_T4_T5_mT6_P12ihipStream_tbENKUlT_T0_E_clISt17integral_constantIbLb0EEST_IbLb1EEEEDaSP_SQ_EUlSP_E_NS1_11comp_targetILNS1_3genE10ELNS1_11target_archE1200ELNS1_3gpuE4ELNS1_3repE0EEENS1_30default_config_static_selectorELNS0_4arch9wavefront6targetE1EEEvT1_,comdat
.Lfunc_end2474:
	.size	_ZN7rocprim17ROCPRIM_400000_NS6detail17trampoline_kernelINS0_14default_configENS1_20scan_config_selectorItEEZZNS1_9scan_implILNS1_25lookback_scan_determinismE0ELb0ELb0ES3_N6thrust23THRUST_200600_302600_NS6detail15normal_iteratorINS9_10device_ptrItEEEESE_t11max_functorItEtEEDaPvRmT3_T4_T5_mT6_P12ihipStream_tbENKUlT_T0_E_clISt17integral_constantIbLb0EEST_IbLb1EEEEDaSP_SQ_EUlSP_E_NS1_11comp_targetILNS1_3genE10ELNS1_11target_archE1200ELNS1_3gpuE4ELNS1_3repE0EEENS1_30default_config_static_selectorELNS0_4arch9wavefront6targetE1EEEvT1_, .Lfunc_end2474-_ZN7rocprim17ROCPRIM_400000_NS6detail17trampoline_kernelINS0_14default_configENS1_20scan_config_selectorItEEZZNS1_9scan_implILNS1_25lookback_scan_determinismE0ELb0ELb0ES3_N6thrust23THRUST_200600_302600_NS6detail15normal_iteratorINS9_10device_ptrItEEEESE_t11max_functorItEtEEDaPvRmT3_T4_T5_mT6_P12ihipStream_tbENKUlT_T0_E_clISt17integral_constantIbLb0EEST_IbLb1EEEEDaSP_SQ_EUlSP_E_NS1_11comp_targetILNS1_3genE10ELNS1_11target_archE1200ELNS1_3gpuE4ELNS1_3repE0EEENS1_30default_config_static_selectorELNS0_4arch9wavefront6targetE1EEEvT1_
                                        ; -- End function
	.section	.AMDGPU.csdata,"",@progbits
; Kernel info:
; codeLenInByte = 0
; NumSgprs: 4
; NumVgprs: 0
; NumAgprs: 0
; TotalNumVgprs: 0
; ScratchSize: 0
; MemoryBound: 0
; FloatMode: 240
; IeeeMode: 1
; LDSByteSize: 0 bytes/workgroup (compile time only)
; SGPRBlocks: 0
; VGPRBlocks: 0
; NumSGPRsForWavesPerEU: 4
; NumVGPRsForWavesPerEU: 1
; AccumOffset: 4
; Occupancy: 8
; WaveLimiterHint : 0
; COMPUTE_PGM_RSRC2:SCRATCH_EN: 0
; COMPUTE_PGM_RSRC2:USER_SGPR: 6
; COMPUTE_PGM_RSRC2:TRAP_HANDLER: 0
; COMPUTE_PGM_RSRC2:TGID_X_EN: 1
; COMPUTE_PGM_RSRC2:TGID_Y_EN: 0
; COMPUTE_PGM_RSRC2:TGID_Z_EN: 0
; COMPUTE_PGM_RSRC2:TIDIG_COMP_CNT: 0
; COMPUTE_PGM_RSRC3_GFX90A:ACCUM_OFFSET: 0
; COMPUTE_PGM_RSRC3_GFX90A:TG_SPLIT: 0
	.section	.text._ZN7rocprim17ROCPRIM_400000_NS6detail17trampoline_kernelINS0_14default_configENS1_20scan_config_selectorItEEZZNS1_9scan_implILNS1_25lookback_scan_determinismE0ELb0ELb0ES3_N6thrust23THRUST_200600_302600_NS6detail15normal_iteratorINS9_10device_ptrItEEEESE_t11max_functorItEtEEDaPvRmT3_T4_T5_mT6_P12ihipStream_tbENKUlT_T0_E_clISt17integral_constantIbLb0EEST_IbLb1EEEEDaSP_SQ_EUlSP_E_NS1_11comp_targetILNS1_3genE9ELNS1_11target_archE1100ELNS1_3gpuE3ELNS1_3repE0EEENS1_30default_config_static_selectorELNS0_4arch9wavefront6targetE1EEEvT1_,"axG",@progbits,_ZN7rocprim17ROCPRIM_400000_NS6detail17trampoline_kernelINS0_14default_configENS1_20scan_config_selectorItEEZZNS1_9scan_implILNS1_25lookback_scan_determinismE0ELb0ELb0ES3_N6thrust23THRUST_200600_302600_NS6detail15normal_iteratorINS9_10device_ptrItEEEESE_t11max_functorItEtEEDaPvRmT3_T4_T5_mT6_P12ihipStream_tbENKUlT_T0_E_clISt17integral_constantIbLb0EEST_IbLb1EEEEDaSP_SQ_EUlSP_E_NS1_11comp_targetILNS1_3genE9ELNS1_11target_archE1100ELNS1_3gpuE3ELNS1_3repE0EEENS1_30default_config_static_selectorELNS0_4arch9wavefront6targetE1EEEvT1_,comdat
	.protected	_ZN7rocprim17ROCPRIM_400000_NS6detail17trampoline_kernelINS0_14default_configENS1_20scan_config_selectorItEEZZNS1_9scan_implILNS1_25lookback_scan_determinismE0ELb0ELb0ES3_N6thrust23THRUST_200600_302600_NS6detail15normal_iteratorINS9_10device_ptrItEEEESE_t11max_functorItEtEEDaPvRmT3_T4_T5_mT6_P12ihipStream_tbENKUlT_T0_E_clISt17integral_constantIbLb0EEST_IbLb1EEEEDaSP_SQ_EUlSP_E_NS1_11comp_targetILNS1_3genE9ELNS1_11target_archE1100ELNS1_3gpuE3ELNS1_3repE0EEENS1_30default_config_static_selectorELNS0_4arch9wavefront6targetE1EEEvT1_ ; -- Begin function _ZN7rocprim17ROCPRIM_400000_NS6detail17trampoline_kernelINS0_14default_configENS1_20scan_config_selectorItEEZZNS1_9scan_implILNS1_25lookback_scan_determinismE0ELb0ELb0ES3_N6thrust23THRUST_200600_302600_NS6detail15normal_iteratorINS9_10device_ptrItEEEESE_t11max_functorItEtEEDaPvRmT3_T4_T5_mT6_P12ihipStream_tbENKUlT_T0_E_clISt17integral_constantIbLb0EEST_IbLb1EEEEDaSP_SQ_EUlSP_E_NS1_11comp_targetILNS1_3genE9ELNS1_11target_archE1100ELNS1_3gpuE3ELNS1_3repE0EEENS1_30default_config_static_selectorELNS0_4arch9wavefront6targetE1EEEvT1_
	.globl	_ZN7rocprim17ROCPRIM_400000_NS6detail17trampoline_kernelINS0_14default_configENS1_20scan_config_selectorItEEZZNS1_9scan_implILNS1_25lookback_scan_determinismE0ELb0ELb0ES3_N6thrust23THRUST_200600_302600_NS6detail15normal_iteratorINS9_10device_ptrItEEEESE_t11max_functorItEtEEDaPvRmT3_T4_T5_mT6_P12ihipStream_tbENKUlT_T0_E_clISt17integral_constantIbLb0EEST_IbLb1EEEEDaSP_SQ_EUlSP_E_NS1_11comp_targetILNS1_3genE9ELNS1_11target_archE1100ELNS1_3gpuE3ELNS1_3repE0EEENS1_30default_config_static_selectorELNS0_4arch9wavefront6targetE1EEEvT1_
	.p2align	8
	.type	_ZN7rocprim17ROCPRIM_400000_NS6detail17trampoline_kernelINS0_14default_configENS1_20scan_config_selectorItEEZZNS1_9scan_implILNS1_25lookback_scan_determinismE0ELb0ELb0ES3_N6thrust23THRUST_200600_302600_NS6detail15normal_iteratorINS9_10device_ptrItEEEESE_t11max_functorItEtEEDaPvRmT3_T4_T5_mT6_P12ihipStream_tbENKUlT_T0_E_clISt17integral_constantIbLb0EEST_IbLb1EEEEDaSP_SQ_EUlSP_E_NS1_11comp_targetILNS1_3genE9ELNS1_11target_archE1100ELNS1_3gpuE3ELNS1_3repE0EEENS1_30default_config_static_selectorELNS0_4arch9wavefront6targetE1EEEvT1_,@function
_ZN7rocprim17ROCPRIM_400000_NS6detail17trampoline_kernelINS0_14default_configENS1_20scan_config_selectorItEEZZNS1_9scan_implILNS1_25lookback_scan_determinismE0ELb0ELb0ES3_N6thrust23THRUST_200600_302600_NS6detail15normal_iteratorINS9_10device_ptrItEEEESE_t11max_functorItEtEEDaPvRmT3_T4_T5_mT6_P12ihipStream_tbENKUlT_T0_E_clISt17integral_constantIbLb0EEST_IbLb1EEEEDaSP_SQ_EUlSP_E_NS1_11comp_targetILNS1_3genE9ELNS1_11target_archE1100ELNS1_3gpuE3ELNS1_3repE0EEENS1_30default_config_static_selectorELNS0_4arch9wavefront6targetE1EEEvT1_: ; @_ZN7rocprim17ROCPRIM_400000_NS6detail17trampoline_kernelINS0_14default_configENS1_20scan_config_selectorItEEZZNS1_9scan_implILNS1_25lookback_scan_determinismE0ELb0ELb0ES3_N6thrust23THRUST_200600_302600_NS6detail15normal_iteratorINS9_10device_ptrItEEEESE_t11max_functorItEtEEDaPvRmT3_T4_T5_mT6_P12ihipStream_tbENKUlT_T0_E_clISt17integral_constantIbLb0EEST_IbLb1EEEEDaSP_SQ_EUlSP_E_NS1_11comp_targetILNS1_3genE9ELNS1_11target_archE1100ELNS1_3gpuE3ELNS1_3repE0EEENS1_30default_config_static_selectorELNS0_4arch9wavefront6targetE1EEEvT1_
; %bb.0:
	.section	.rodata,"a",@progbits
	.p2align	6, 0x0
	.amdhsa_kernel _ZN7rocprim17ROCPRIM_400000_NS6detail17trampoline_kernelINS0_14default_configENS1_20scan_config_selectorItEEZZNS1_9scan_implILNS1_25lookback_scan_determinismE0ELb0ELb0ES3_N6thrust23THRUST_200600_302600_NS6detail15normal_iteratorINS9_10device_ptrItEEEESE_t11max_functorItEtEEDaPvRmT3_T4_T5_mT6_P12ihipStream_tbENKUlT_T0_E_clISt17integral_constantIbLb0EEST_IbLb1EEEEDaSP_SQ_EUlSP_E_NS1_11comp_targetILNS1_3genE9ELNS1_11target_archE1100ELNS1_3gpuE3ELNS1_3repE0EEENS1_30default_config_static_selectorELNS0_4arch9wavefront6targetE1EEEvT1_
		.amdhsa_group_segment_fixed_size 0
		.amdhsa_private_segment_fixed_size 0
		.amdhsa_kernarg_size 96
		.amdhsa_user_sgpr_count 6
		.amdhsa_user_sgpr_private_segment_buffer 1
		.amdhsa_user_sgpr_dispatch_ptr 0
		.amdhsa_user_sgpr_queue_ptr 0
		.amdhsa_user_sgpr_kernarg_segment_ptr 1
		.amdhsa_user_sgpr_dispatch_id 0
		.amdhsa_user_sgpr_flat_scratch_init 0
		.amdhsa_user_sgpr_kernarg_preload_length 0
		.amdhsa_user_sgpr_kernarg_preload_offset 0
		.amdhsa_user_sgpr_private_segment_size 0
		.amdhsa_uses_dynamic_stack 0
		.amdhsa_system_sgpr_private_segment_wavefront_offset 0
		.amdhsa_system_sgpr_workgroup_id_x 1
		.amdhsa_system_sgpr_workgroup_id_y 0
		.amdhsa_system_sgpr_workgroup_id_z 0
		.amdhsa_system_sgpr_workgroup_info 0
		.amdhsa_system_vgpr_workitem_id 0
		.amdhsa_next_free_vgpr 1
		.amdhsa_next_free_sgpr 0
		.amdhsa_accum_offset 4
		.amdhsa_reserve_vcc 0
		.amdhsa_reserve_flat_scratch 0
		.amdhsa_float_round_mode_32 0
		.amdhsa_float_round_mode_16_64 0
		.amdhsa_float_denorm_mode_32 3
		.amdhsa_float_denorm_mode_16_64 3
		.amdhsa_dx10_clamp 1
		.amdhsa_ieee_mode 1
		.amdhsa_fp16_overflow 0
		.amdhsa_tg_split 0
		.amdhsa_exception_fp_ieee_invalid_op 0
		.amdhsa_exception_fp_denorm_src 0
		.amdhsa_exception_fp_ieee_div_zero 0
		.amdhsa_exception_fp_ieee_overflow 0
		.amdhsa_exception_fp_ieee_underflow 0
		.amdhsa_exception_fp_ieee_inexact 0
		.amdhsa_exception_int_div_zero 0
	.end_amdhsa_kernel
	.section	.text._ZN7rocprim17ROCPRIM_400000_NS6detail17trampoline_kernelINS0_14default_configENS1_20scan_config_selectorItEEZZNS1_9scan_implILNS1_25lookback_scan_determinismE0ELb0ELb0ES3_N6thrust23THRUST_200600_302600_NS6detail15normal_iteratorINS9_10device_ptrItEEEESE_t11max_functorItEtEEDaPvRmT3_T4_T5_mT6_P12ihipStream_tbENKUlT_T0_E_clISt17integral_constantIbLb0EEST_IbLb1EEEEDaSP_SQ_EUlSP_E_NS1_11comp_targetILNS1_3genE9ELNS1_11target_archE1100ELNS1_3gpuE3ELNS1_3repE0EEENS1_30default_config_static_selectorELNS0_4arch9wavefront6targetE1EEEvT1_,"axG",@progbits,_ZN7rocprim17ROCPRIM_400000_NS6detail17trampoline_kernelINS0_14default_configENS1_20scan_config_selectorItEEZZNS1_9scan_implILNS1_25lookback_scan_determinismE0ELb0ELb0ES3_N6thrust23THRUST_200600_302600_NS6detail15normal_iteratorINS9_10device_ptrItEEEESE_t11max_functorItEtEEDaPvRmT3_T4_T5_mT6_P12ihipStream_tbENKUlT_T0_E_clISt17integral_constantIbLb0EEST_IbLb1EEEEDaSP_SQ_EUlSP_E_NS1_11comp_targetILNS1_3genE9ELNS1_11target_archE1100ELNS1_3gpuE3ELNS1_3repE0EEENS1_30default_config_static_selectorELNS0_4arch9wavefront6targetE1EEEvT1_,comdat
.Lfunc_end2475:
	.size	_ZN7rocprim17ROCPRIM_400000_NS6detail17trampoline_kernelINS0_14default_configENS1_20scan_config_selectorItEEZZNS1_9scan_implILNS1_25lookback_scan_determinismE0ELb0ELb0ES3_N6thrust23THRUST_200600_302600_NS6detail15normal_iteratorINS9_10device_ptrItEEEESE_t11max_functorItEtEEDaPvRmT3_T4_T5_mT6_P12ihipStream_tbENKUlT_T0_E_clISt17integral_constantIbLb0EEST_IbLb1EEEEDaSP_SQ_EUlSP_E_NS1_11comp_targetILNS1_3genE9ELNS1_11target_archE1100ELNS1_3gpuE3ELNS1_3repE0EEENS1_30default_config_static_selectorELNS0_4arch9wavefront6targetE1EEEvT1_, .Lfunc_end2475-_ZN7rocprim17ROCPRIM_400000_NS6detail17trampoline_kernelINS0_14default_configENS1_20scan_config_selectorItEEZZNS1_9scan_implILNS1_25lookback_scan_determinismE0ELb0ELb0ES3_N6thrust23THRUST_200600_302600_NS6detail15normal_iteratorINS9_10device_ptrItEEEESE_t11max_functorItEtEEDaPvRmT3_T4_T5_mT6_P12ihipStream_tbENKUlT_T0_E_clISt17integral_constantIbLb0EEST_IbLb1EEEEDaSP_SQ_EUlSP_E_NS1_11comp_targetILNS1_3genE9ELNS1_11target_archE1100ELNS1_3gpuE3ELNS1_3repE0EEENS1_30default_config_static_selectorELNS0_4arch9wavefront6targetE1EEEvT1_
                                        ; -- End function
	.section	.AMDGPU.csdata,"",@progbits
; Kernel info:
; codeLenInByte = 0
; NumSgprs: 4
; NumVgprs: 0
; NumAgprs: 0
; TotalNumVgprs: 0
; ScratchSize: 0
; MemoryBound: 0
; FloatMode: 240
; IeeeMode: 1
; LDSByteSize: 0 bytes/workgroup (compile time only)
; SGPRBlocks: 0
; VGPRBlocks: 0
; NumSGPRsForWavesPerEU: 4
; NumVGPRsForWavesPerEU: 1
; AccumOffset: 4
; Occupancy: 8
; WaveLimiterHint : 0
; COMPUTE_PGM_RSRC2:SCRATCH_EN: 0
; COMPUTE_PGM_RSRC2:USER_SGPR: 6
; COMPUTE_PGM_RSRC2:TRAP_HANDLER: 0
; COMPUTE_PGM_RSRC2:TGID_X_EN: 1
; COMPUTE_PGM_RSRC2:TGID_Y_EN: 0
; COMPUTE_PGM_RSRC2:TGID_Z_EN: 0
; COMPUTE_PGM_RSRC2:TIDIG_COMP_CNT: 0
; COMPUTE_PGM_RSRC3_GFX90A:ACCUM_OFFSET: 0
; COMPUTE_PGM_RSRC3_GFX90A:TG_SPLIT: 0
	.section	.text._ZN7rocprim17ROCPRIM_400000_NS6detail17trampoline_kernelINS0_14default_configENS1_20scan_config_selectorItEEZZNS1_9scan_implILNS1_25lookback_scan_determinismE0ELb0ELb0ES3_N6thrust23THRUST_200600_302600_NS6detail15normal_iteratorINS9_10device_ptrItEEEESE_t11max_functorItEtEEDaPvRmT3_T4_T5_mT6_P12ihipStream_tbENKUlT_T0_E_clISt17integral_constantIbLb0EEST_IbLb1EEEEDaSP_SQ_EUlSP_E_NS1_11comp_targetILNS1_3genE8ELNS1_11target_archE1030ELNS1_3gpuE2ELNS1_3repE0EEENS1_30default_config_static_selectorELNS0_4arch9wavefront6targetE1EEEvT1_,"axG",@progbits,_ZN7rocprim17ROCPRIM_400000_NS6detail17trampoline_kernelINS0_14default_configENS1_20scan_config_selectorItEEZZNS1_9scan_implILNS1_25lookback_scan_determinismE0ELb0ELb0ES3_N6thrust23THRUST_200600_302600_NS6detail15normal_iteratorINS9_10device_ptrItEEEESE_t11max_functorItEtEEDaPvRmT3_T4_T5_mT6_P12ihipStream_tbENKUlT_T0_E_clISt17integral_constantIbLb0EEST_IbLb1EEEEDaSP_SQ_EUlSP_E_NS1_11comp_targetILNS1_3genE8ELNS1_11target_archE1030ELNS1_3gpuE2ELNS1_3repE0EEENS1_30default_config_static_selectorELNS0_4arch9wavefront6targetE1EEEvT1_,comdat
	.protected	_ZN7rocprim17ROCPRIM_400000_NS6detail17trampoline_kernelINS0_14default_configENS1_20scan_config_selectorItEEZZNS1_9scan_implILNS1_25lookback_scan_determinismE0ELb0ELb0ES3_N6thrust23THRUST_200600_302600_NS6detail15normal_iteratorINS9_10device_ptrItEEEESE_t11max_functorItEtEEDaPvRmT3_T4_T5_mT6_P12ihipStream_tbENKUlT_T0_E_clISt17integral_constantIbLb0EEST_IbLb1EEEEDaSP_SQ_EUlSP_E_NS1_11comp_targetILNS1_3genE8ELNS1_11target_archE1030ELNS1_3gpuE2ELNS1_3repE0EEENS1_30default_config_static_selectorELNS0_4arch9wavefront6targetE1EEEvT1_ ; -- Begin function _ZN7rocprim17ROCPRIM_400000_NS6detail17trampoline_kernelINS0_14default_configENS1_20scan_config_selectorItEEZZNS1_9scan_implILNS1_25lookback_scan_determinismE0ELb0ELb0ES3_N6thrust23THRUST_200600_302600_NS6detail15normal_iteratorINS9_10device_ptrItEEEESE_t11max_functorItEtEEDaPvRmT3_T4_T5_mT6_P12ihipStream_tbENKUlT_T0_E_clISt17integral_constantIbLb0EEST_IbLb1EEEEDaSP_SQ_EUlSP_E_NS1_11comp_targetILNS1_3genE8ELNS1_11target_archE1030ELNS1_3gpuE2ELNS1_3repE0EEENS1_30default_config_static_selectorELNS0_4arch9wavefront6targetE1EEEvT1_
	.globl	_ZN7rocprim17ROCPRIM_400000_NS6detail17trampoline_kernelINS0_14default_configENS1_20scan_config_selectorItEEZZNS1_9scan_implILNS1_25lookback_scan_determinismE0ELb0ELb0ES3_N6thrust23THRUST_200600_302600_NS6detail15normal_iteratorINS9_10device_ptrItEEEESE_t11max_functorItEtEEDaPvRmT3_T4_T5_mT6_P12ihipStream_tbENKUlT_T0_E_clISt17integral_constantIbLb0EEST_IbLb1EEEEDaSP_SQ_EUlSP_E_NS1_11comp_targetILNS1_3genE8ELNS1_11target_archE1030ELNS1_3gpuE2ELNS1_3repE0EEENS1_30default_config_static_selectorELNS0_4arch9wavefront6targetE1EEEvT1_
	.p2align	8
	.type	_ZN7rocprim17ROCPRIM_400000_NS6detail17trampoline_kernelINS0_14default_configENS1_20scan_config_selectorItEEZZNS1_9scan_implILNS1_25lookback_scan_determinismE0ELb0ELb0ES3_N6thrust23THRUST_200600_302600_NS6detail15normal_iteratorINS9_10device_ptrItEEEESE_t11max_functorItEtEEDaPvRmT3_T4_T5_mT6_P12ihipStream_tbENKUlT_T0_E_clISt17integral_constantIbLb0EEST_IbLb1EEEEDaSP_SQ_EUlSP_E_NS1_11comp_targetILNS1_3genE8ELNS1_11target_archE1030ELNS1_3gpuE2ELNS1_3repE0EEENS1_30default_config_static_selectorELNS0_4arch9wavefront6targetE1EEEvT1_,@function
_ZN7rocprim17ROCPRIM_400000_NS6detail17trampoline_kernelINS0_14default_configENS1_20scan_config_selectorItEEZZNS1_9scan_implILNS1_25lookback_scan_determinismE0ELb0ELb0ES3_N6thrust23THRUST_200600_302600_NS6detail15normal_iteratorINS9_10device_ptrItEEEESE_t11max_functorItEtEEDaPvRmT3_T4_T5_mT6_P12ihipStream_tbENKUlT_T0_E_clISt17integral_constantIbLb0EEST_IbLb1EEEEDaSP_SQ_EUlSP_E_NS1_11comp_targetILNS1_3genE8ELNS1_11target_archE1030ELNS1_3gpuE2ELNS1_3repE0EEENS1_30default_config_static_selectorELNS0_4arch9wavefront6targetE1EEEvT1_: ; @_ZN7rocprim17ROCPRIM_400000_NS6detail17trampoline_kernelINS0_14default_configENS1_20scan_config_selectorItEEZZNS1_9scan_implILNS1_25lookback_scan_determinismE0ELb0ELb0ES3_N6thrust23THRUST_200600_302600_NS6detail15normal_iteratorINS9_10device_ptrItEEEESE_t11max_functorItEtEEDaPvRmT3_T4_T5_mT6_P12ihipStream_tbENKUlT_T0_E_clISt17integral_constantIbLb0EEST_IbLb1EEEEDaSP_SQ_EUlSP_E_NS1_11comp_targetILNS1_3genE8ELNS1_11target_archE1030ELNS1_3gpuE2ELNS1_3repE0EEENS1_30default_config_static_selectorELNS0_4arch9wavefront6targetE1EEEvT1_
; %bb.0:
	.section	.rodata,"a",@progbits
	.p2align	6, 0x0
	.amdhsa_kernel _ZN7rocprim17ROCPRIM_400000_NS6detail17trampoline_kernelINS0_14default_configENS1_20scan_config_selectorItEEZZNS1_9scan_implILNS1_25lookback_scan_determinismE0ELb0ELb0ES3_N6thrust23THRUST_200600_302600_NS6detail15normal_iteratorINS9_10device_ptrItEEEESE_t11max_functorItEtEEDaPvRmT3_T4_T5_mT6_P12ihipStream_tbENKUlT_T0_E_clISt17integral_constantIbLb0EEST_IbLb1EEEEDaSP_SQ_EUlSP_E_NS1_11comp_targetILNS1_3genE8ELNS1_11target_archE1030ELNS1_3gpuE2ELNS1_3repE0EEENS1_30default_config_static_selectorELNS0_4arch9wavefront6targetE1EEEvT1_
		.amdhsa_group_segment_fixed_size 0
		.amdhsa_private_segment_fixed_size 0
		.amdhsa_kernarg_size 96
		.amdhsa_user_sgpr_count 6
		.amdhsa_user_sgpr_private_segment_buffer 1
		.amdhsa_user_sgpr_dispatch_ptr 0
		.amdhsa_user_sgpr_queue_ptr 0
		.amdhsa_user_sgpr_kernarg_segment_ptr 1
		.amdhsa_user_sgpr_dispatch_id 0
		.amdhsa_user_sgpr_flat_scratch_init 0
		.amdhsa_user_sgpr_kernarg_preload_length 0
		.amdhsa_user_sgpr_kernarg_preload_offset 0
		.amdhsa_user_sgpr_private_segment_size 0
		.amdhsa_uses_dynamic_stack 0
		.amdhsa_system_sgpr_private_segment_wavefront_offset 0
		.amdhsa_system_sgpr_workgroup_id_x 1
		.amdhsa_system_sgpr_workgroup_id_y 0
		.amdhsa_system_sgpr_workgroup_id_z 0
		.amdhsa_system_sgpr_workgroup_info 0
		.amdhsa_system_vgpr_workitem_id 0
		.amdhsa_next_free_vgpr 1
		.amdhsa_next_free_sgpr 0
		.amdhsa_accum_offset 4
		.amdhsa_reserve_vcc 0
		.amdhsa_reserve_flat_scratch 0
		.amdhsa_float_round_mode_32 0
		.amdhsa_float_round_mode_16_64 0
		.amdhsa_float_denorm_mode_32 3
		.amdhsa_float_denorm_mode_16_64 3
		.amdhsa_dx10_clamp 1
		.amdhsa_ieee_mode 1
		.amdhsa_fp16_overflow 0
		.amdhsa_tg_split 0
		.amdhsa_exception_fp_ieee_invalid_op 0
		.amdhsa_exception_fp_denorm_src 0
		.amdhsa_exception_fp_ieee_div_zero 0
		.amdhsa_exception_fp_ieee_overflow 0
		.amdhsa_exception_fp_ieee_underflow 0
		.amdhsa_exception_fp_ieee_inexact 0
		.amdhsa_exception_int_div_zero 0
	.end_amdhsa_kernel
	.section	.text._ZN7rocprim17ROCPRIM_400000_NS6detail17trampoline_kernelINS0_14default_configENS1_20scan_config_selectorItEEZZNS1_9scan_implILNS1_25lookback_scan_determinismE0ELb0ELb0ES3_N6thrust23THRUST_200600_302600_NS6detail15normal_iteratorINS9_10device_ptrItEEEESE_t11max_functorItEtEEDaPvRmT3_T4_T5_mT6_P12ihipStream_tbENKUlT_T0_E_clISt17integral_constantIbLb0EEST_IbLb1EEEEDaSP_SQ_EUlSP_E_NS1_11comp_targetILNS1_3genE8ELNS1_11target_archE1030ELNS1_3gpuE2ELNS1_3repE0EEENS1_30default_config_static_selectorELNS0_4arch9wavefront6targetE1EEEvT1_,"axG",@progbits,_ZN7rocprim17ROCPRIM_400000_NS6detail17trampoline_kernelINS0_14default_configENS1_20scan_config_selectorItEEZZNS1_9scan_implILNS1_25lookback_scan_determinismE0ELb0ELb0ES3_N6thrust23THRUST_200600_302600_NS6detail15normal_iteratorINS9_10device_ptrItEEEESE_t11max_functorItEtEEDaPvRmT3_T4_T5_mT6_P12ihipStream_tbENKUlT_T0_E_clISt17integral_constantIbLb0EEST_IbLb1EEEEDaSP_SQ_EUlSP_E_NS1_11comp_targetILNS1_3genE8ELNS1_11target_archE1030ELNS1_3gpuE2ELNS1_3repE0EEENS1_30default_config_static_selectorELNS0_4arch9wavefront6targetE1EEEvT1_,comdat
.Lfunc_end2476:
	.size	_ZN7rocprim17ROCPRIM_400000_NS6detail17trampoline_kernelINS0_14default_configENS1_20scan_config_selectorItEEZZNS1_9scan_implILNS1_25lookback_scan_determinismE0ELb0ELb0ES3_N6thrust23THRUST_200600_302600_NS6detail15normal_iteratorINS9_10device_ptrItEEEESE_t11max_functorItEtEEDaPvRmT3_T4_T5_mT6_P12ihipStream_tbENKUlT_T0_E_clISt17integral_constantIbLb0EEST_IbLb1EEEEDaSP_SQ_EUlSP_E_NS1_11comp_targetILNS1_3genE8ELNS1_11target_archE1030ELNS1_3gpuE2ELNS1_3repE0EEENS1_30default_config_static_selectorELNS0_4arch9wavefront6targetE1EEEvT1_, .Lfunc_end2476-_ZN7rocprim17ROCPRIM_400000_NS6detail17trampoline_kernelINS0_14default_configENS1_20scan_config_selectorItEEZZNS1_9scan_implILNS1_25lookback_scan_determinismE0ELb0ELb0ES3_N6thrust23THRUST_200600_302600_NS6detail15normal_iteratorINS9_10device_ptrItEEEESE_t11max_functorItEtEEDaPvRmT3_T4_T5_mT6_P12ihipStream_tbENKUlT_T0_E_clISt17integral_constantIbLb0EEST_IbLb1EEEEDaSP_SQ_EUlSP_E_NS1_11comp_targetILNS1_3genE8ELNS1_11target_archE1030ELNS1_3gpuE2ELNS1_3repE0EEENS1_30default_config_static_selectorELNS0_4arch9wavefront6targetE1EEEvT1_
                                        ; -- End function
	.section	.AMDGPU.csdata,"",@progbits
; Kernel info:
; codeLenInByte = 0
; NumSgprs: 4
; NumVgprs: 0
; NumAgprs: 0
; TotalNumVgprs: 0
; ScratchSize: 0
; MemoryBound: 0
; FloatMode: 240
; IeeeMode: 1
; LDSByteSize: 0 bytes/workgroup (compile time only)
; SGPRBlocks: 0
; VGPRBlocks: 0
; NumSGPRsForWavesPerEU: 4
; NumVGPRsForWavesPerEU: 1
; AccumOffset: 4
; Occupancy: 8
; WaveLimiterHint : 0
; COMPUTE_PGM_RSRC2:SCRATCH_EN: 0
; COMPUTE_PGM_RSRC2:USER_SGPR: 6
; COMPUTE_PGM_RSRC2:TRAP_HANDLER: 0
; COMPUTE_PGM_RSRC2:TGID_X_EN: 1
; COMPUTE_PGM_RSRC2:TGID_Y_EN: 0
; COMPUTE_PGM_RSRC2:TGID_Z_EN: 0
; COMPUTE_PGM_RSRC2:TIDIG_COMP_CNT: 0
; COMPUTE_PGM_RSRC3_GFX90A:ACCUM_OFFSET: 0
; COMPUTE_PGM_RSRC3_GFX90A:TG_SPLIT: 0
	.section	.text._ZN7rocprim17ROCPRIM_400000_NS6detail17trampoline_kernelINS0_14default_configENS1_20scan_config_selectorItEEZZNS1_9scan_implILNS1_25lookback_scan_determinismE0ELb0ELb0ES3_N6thrust23THRUST_200600_302600_NS6detail15normal_iteratorINS9_10device_ptrItEEEESE_t11max_functorItEtEEDaPvRmT3_T4_T5_mT6_P12ihipStream_tbENKUlT_T0_E_clISt17integral_constantIbLb0EEST_IbLb1EEEEDaSP_SQ_EUlSP_E0_NS1_11comp_targetILNS1_3genE0ELNS1_11target_archE4294967295ELNS1_3gpuE0ELNS1_3repE0EEENS1_30default_config_static_selectorELNS0_4arch9wavefront6targetE1EEEvT1_,"axG",@progbits,_ZN7rocprim17ROCPRIM_400000_NS6detail17trampoline_kernelINS0_14default_configENS1_20scan_config_selectorItEEZZNS1_9scan_implILNS1_25lookback_scan_determinismE0ELb0ELb0ES3_N6thrust23THRUST_200600_302600_NS6detail15normal_iteratorINS9_10device_ptrItEEEESE_t11max_functorItEtEEDaPvRmT3_T4_T5_mT6_P12ihipStream_tbENKUlT_T0_E_clISt17integral_constantIbLb0EEST_IbLb1EEEEDaSP_SQ_EUlSP_E0_NS1_11comp_targetILNS1_3genE0ELNS1_11target_archE4294967295ELNS1_3gpuE0ELNS1_3repE0EEENS1_30default_config_static_selectorELNS0_4arch9wavefront6targetE1EEEvT1_,comdat
	.protected	_ZN7rocprim17ROCPRIM_400000_NS6detail17trampoline_kernelINS0_14default_configENS1_20scan_config_selectorItEEZZNS1_9scan_implILNS1_25lookback_scan_determinismE0ELb0ELb0ES3_N6thrust23THRUST_200600_302600_NS6detail15normal_iteratorINS9_10device_ptrItEEEESE_t11max_functorItEtEEDaPvRmT3_T4_T5_mT6_P12ihipStream_tbENKUlT_T0_E_clISt17integral_constantIbLb0EEST_IbLb1EEEEDaSP_SQ_EUlSP_E0_NS1_11comp_targetILNS1_3genE0ELNS1_11target_archE4294967295ELNS1_3gpuE0ELNS1_3repE0EEENS1_30default_config_static_selectorELNS0_4arch9wavefront6targetE1EEEvT1_ ; -- Begin function _ZN7rocprim17ROCPRIM_400000_NS6detail17trampoline_kernelINS0_14default_configENS1_20scan_config_selectorItEEZZNS1_9scan_implILNS1_25lookback_scan_determinismE0ELb0ELb0ES3_N6thrust23THRUST_200600_302600_NS6detail15normal_iteratorINS9_10device_ptrItEEEESE_t11max_functorItEtEEDaPvRmT3_T4_T5_mT6_P12ihipStream_tbENKUlT_T0_E_clISt17integral_constantIbLb0EEST_IbLb1EEEEDaSP_SQ_EUlSP_E0_NS1_11comp_targetILNS1_3genE0ELNS1_11target_archE4294967295ELNS1_3gpuE0ELNS1_3repE0EEENS1_30default_config_static_selectorELNS0_4arch9wavefront6targetE1EEEvT1_
	.globl	_ZN7rocprim17ROCPRIM_400000_NS6detail17trampoline_kernelINS0_14default_configENS1_20scan_config_selectorItEEZZNS1_9scan_implILNS1_25lookback_scan_determinismE0ELb0ELb0ES3_N6thrust23THRUST_200600_302600_NS6detail15normal_iteratorINS9_10device_ptrItEEEESE_t11max_functorItEtEEDaPvRmT3_T4_T5_mT6_P12ihipStream_tbENKUlT_T0_E_clISt17integral_constantIbLb0EEST_IbLb1EEEEDaSP_SQ_EUlSP_E0_NS1_11comp_targetILNS1_3genE0ELNS1_11target_archE4294967295ELNS1_3gpuE0ELNS1_3repE0EEENS1_30default_config_static_selectorELNS0_4arch9wavefront6targetE1EEEvT1_
	.p2align	8
	.type	_ZN7rocprim17ROCPRIM_400000_NS6detail17trampoline_kernelINS0_14default_configENS1_20scan_config_selectorItEEZZNS1_9scan_implILNS1_25lookback_scan_determinismE0ELb0ELb0ES3_N6thrust23THRUST_200600_302600_NS6detail15normal_iteratorINS9_10device_ptrItEEEESE_t11max_functorItEtEEDaPvRmT3_T4_T5_mT6_P12ihipStream_tbENKUlT_T0_E_clISt17integral_constantIbLb0EEST_IbLb1EEEEDaSP_SQ_EUlSP_E0_NS1_11comp_targetILNS1_3genE0ELNS1_11target_archE4294967295ELNS1_3gpuE0ELNS1_3repE0EEENS1_30default_config_static_selectorELNS0_4arch9wavefront6targetE1EEEvT1_,@function
_ZN7rocprim17ROCPRIM_400000_NS6detail17trampoline_kernelINS0_14default_configENS1_20scan_config_selectorItEEZZNS1_9scan_implILNS1_25lookback_scan_determinismE0ELb0ELb0ES3_N6thrust23THRUST_200600_302600_NS6detail15normal_iteratorINS9_10device_ptrItEEEESE_t11max_functorItEtEEDaPvRmT3_T4_T5_mT6_P12ihipStream_tbENKUlT_T0_E_clISt17integral_constantIbLb0EEST_IbLb1EEEEDaSP_SQ_EUlSP_E0_NS1_11comp_targetILNS1_3genE0ELNS1_11target_archE4294967295ELNS1_3gpuE0ELNS1_3repE0EEENS1_30default_config_static_selectorELNS0_4arch9wavefront6targetE1EEEvT1_: ; @_ZN7rocprim17ROCPRIM_400000_NS6detail17trampoline_kernelINS0_14default_configENS1_20scan_config_selectorItEEZZNS1_9scan_implILNS1_25lookback_scan_determinismE0ELb0ELb0ES3_N6thrust23THRUST_200600_302600_NS6detail15normal_iteratorINS9_10device_ptrItEEEESE_t11max_functorItEtEEDaPvRmT3_T4_T5_mT6_P12ihipStream_tbENKUlT_T0_E_clISt17integral_constantIbLb0EEST_IbLb1EEEEDaSP_SQ_EUlSP_E0_NS1_11comp_targetILNS1_3genE0ELNS1_11target_archE4294967295ELNS1_3gpuE0ELNS1_3repE0EEENS1_30default_config_static_selectorELNS0_4arch9wavefront6targetE1EEEvT1_
; %bb.0:
	.section	.rodata,"a",@progbits
	.p2align	6, 0x0
	.amdhsa_kernel _ZN7rocprim17ROCPRIM_400000_NS6detail17trampoline_kernelINS0_14default_configENS1_20scan_config_selectorItEEZZNS1_9scan_implILNS1_25lookback_scan_determinismE0ELb0ELb0ES3_N6thrust23THRUST_200600_302600_NS6detail15normal_iteratorINS9_10device_ptrItEEEESE_t11max_functorItEtEEDaPvRmT3_T4_T5_mT6_P12ihipStream_tbENKUlT_T0_E_clISt17integral_constantIbLb0EEST_IbLb1EEEEDaSP_SQ_EUlSP_E0_NS1_11comp_targetILNS1_3genE0ELNS1_11target_archE4294967295ELNS1_3gpuE0ELNS1_3repE0EEENS1_30default_config_static_selectorELNS0_4arch9wavefront6targetE1EEEvT1_
		.amdhsa_group_segment_fixed_size 0
		.amdhsa_private_segment_fixed_size 0
		.amdhsa_kernarg_size 32
		.amdhsa_user_sgpr_count 6
		.amdhsa_user_sgpr_private_segment_buffer 1
		.amdhsa_user_sgpr_dispatch_ptr 0
		.amdhsa_user_sgpr_queue_ptr 0
		.amdhsa_user_sgpr_kernarg_segment_ptr 1
		.amdhsa_user_sgpr_dispatch_id 0
		.amdhsa_user_sgpr_flat_scratch_init 0
		.amdhsa_user_sgpr_kernarg_preload_length 0
		.amdhsa_user_sgpr_kernarg_preload_offset 0
		.amdhsa_user_sgpr_private_segment_size 0
		.amdhsa_uses_dynamic_stack 0
		.amdhsa_system_sgpr_private_segment_wavefront_offset 0
		.amdhsa_system_sgpr_workgroup_id_x 1
		.amdhsa_system_sgpr_workgroup_id_y 0
		.amdhsa_system_sgpr_workgroup_id_z 0
		.amdhsa_system_sgpr_workgroup_info 0
		.amdhsa_system_vgpr_workitem_id 0
		.amdhsa_next_free_vgpr 1
		.amdhsa_next_free_sgpr 0
		.amdhsa_accum_offset 4
		.amdhsa_reserve_vcc 0
		.amdhsa_reserve_flat_scratch 0
		.amdhsa_float_round_mode_32 0
		.amdhsa_float_round_mode_16_64 0
		.amdhsa_float_denorm_mode_32 3
		.amdhsa_float_denorm_mode_16_64 3
		.amdhsa_dx10_clamp 1
		.amdhsa_ieee_mode 1
		.amdhsa_fp16_overflow 0
		.amdhsa_tg_split 0
		.amdhsa_exception_fp_ieee_invalid_op 0
		.amdhsa_exception_fp_denorm_src 0
		.amdhsa_exception_fp_ieee_div_zero 0
		.amdhsa_exception_fp_ieee_overflow 0
		.amdhsa_exception_fp_ieee_underflow 0
		.amdhsa_exception_fp_ieee_inexact 0
		.amdhsa_exception_int_div_zero 0
	.end_amdhsa_kernel
	.section	.text._ZN7rocprim17ROCPRIM_400000_NS6detail17trampoline_kernelINS0_14default_configENS1_20scan_config_selectorItEEZZNS1_9scan_implILNS1_25lookback_scan_determinismE0ELb0ELb0ES3_N6thrust23THRUST_200600_302600_NS6detail15normal_iteratorINS9_10device_ptrItEEEESE_t11max_functorItEtEEDaPvRmT3_T4_T5_mT6_P12ihipStream_tbENKUlT_T0_E_clISt17integral_constantIbLb0EEST_IbLb1EEEEDaSP_SQ_EUlSP_E0_NS1_11comp_targetILNS1_3genE0ELNS1_11target_archE4294967295ELNS1_3gpuE0ELNS1_3repE0EEENS1_30default_config_static_selectorELNS0_4arch9wavefront6targetE1EEEvT1_,"axG",@progbits,_ZN7rocprim17ROCPRIM_400000_NS6detail17trampoline_kernelINS0_14default_configENS1_20scan_config_selectorItEEZZNS1_9scan_implILNS1_25lookback_scan_determinismE0ELb0ELb0ES3_N6thrust23THRUST_200600_302600_NS6detail15normal_iteratorINS9_10device_ptrItEEEESE_t11max_functorItEtEEDaPvRmT3_T4_T5_mT6_P12ihipStream_tbENKUlT_T0_E_clISt17integral_constantIbLb0EEST_IbLb1EEEEDaSP_SQ_EUlSP_E0_NS1_11comp_targetILNS1_3genE0ELNS1_11target_archE4294967295ELNS1_3gpuE0ELNS1_3repE0EEENS1_30default_config_static_selectorELNS0_4arch9wavefront6targetE1EEEvT1_,comdat
.Lfunc_end2477:
	.size	_ZN7rocprim17ROCPRIM_400000_NS6detail17trampoline_kernelINS0_14default_configENS1_20scan_config_selectorItEEZZNS1_9scan_implILNS1_25lookback_scan_determinismE0ELb0ELb0ES3_N6thrust23THRUST_200600_302600_NS6detail15normal_iteratorINS9_10device_ptrItEEEESE_t11max_functorItEtEEDaPvRmT3_T4_T5_mT6_P12ihipStream_tbENKUlT_T0_E_clISt17integral_constantIbLb0EEST_IbLb1EEEEDaSP_SQ_EUlSP_E0_NS1_11comp_targetILNS1_3genE0ELNS1_11target_archE4294967295ELNS1_3gpuE0ELNS1_3repE0EEENS1_30default_config_static_selectorELNS0_4arch9wavefront6targetE1EEEvT1_, .Lfunc_end2477-_ZN7rocprim17ROCPRIM_400000_NS6detail17trampoline_kernelINS0_14default_configENS1_20scan_config_selectorItEEZZNS1_9scan_implILNS1_25lookback_scan_determinismE0ELb0ELb0ES3_N6thrust23THRUST_200600_302600_NS6detail15normal_iteratorINS9_10device_ptrItEEEESE_t11max_functorItEtEEDaPvRmT3_T4_T5_mT6_P12ihipStream_tbENKUlT_T0_E_clISt17integral_constantIbLb0EEST_IbLb1EEEEDaSP_SQ_EUlSP_E0_NS1_11comp_targetILNS1_3genE0ELNS1_11target_archE4294967295ELNS1_3gpuE0ELNS1_3repE0EEENS1_30default_config_static_selectorELNS0_4arch9wavefront6targetE1EEEvT1_
                                        ; -- End function
	.section	.AMDGPU.csdata,"",@progbits
; Kernel info:
; codeLenInByte = 0
; NumSgprs: 4
; NumVgprs: 0
; NumAgprs: 0
; TotalNumVgprs: 0
; ScratchSize: 0
; MemoryBound: 0
; FloatMode: 240
; IeeeMode: 1
; LDSByteSize: 0 bytes/workgroup (compile time only)
; SGPRBlocks: 0
; VGPRBlocks: 0
; NumSGPRsForWavesPerEU: 4
; NumVGPRsForWavesPerEU: 1
; AccumOffset: 4
; Occupancy: 8
; WaveLimiterHint : 0
; COMPUTE_PGM_RSRC2:SCRATCH_EN: 0
; COMPUTE_PGM_RSRC2:USER_SGPR: 6
; COMPUTE_PGM_RSRC2:TRAP_HANDLER: 0
; COMPUTE_PGM_RSRC2:TGID_X_EN: 1
; COMPUTE_PGM_RSRC2:TGID_Y_EN: 0
; COMPUTE_PGM_RSRC2:TGID_Z_EN: 0
; COMPUTE_PGM_RSRC2:TIDIG_COMP_CNT: 0
; COMPUTE_PGM_RSRC3_GFX90A:ACCUM_OFFSET: 0
; COMPUTE_PGM_RSRC3_GFX90A:TG_SPLIT: 0
	.section	.text._ZN7rocprim17ROCPRIM_400000_NS6detail17trampoline_kernelINS0_14default_configENS1_20scan_config_selectorItEEZZNS1_9scan_implILNS1_25lookback_scan_determinismE0ELb0ELb0ES3_N6thrust23THRUST_200600_302600_NS6detail15normal_iteratorINS9_10device_ptrItEEEESE_t11max_functorItEtEEDaPvRmT3_T4_T5_mT6_P12ihipStream_tbENKUlT_T0_E_clISt17integral_constantIbLb0EEST_IbLb1EEEEDaSP_SQ_EUlSP_E0_NS1_11comp_targetILNS1_3genE5ELNS1_11target_archE942ELNS1_3gpuE9ELNS1_3repE0EEENS1_30default_config_static_selectorELNS0_4arch9wavefront6targetE1EEEvT1_,"axG",@progbits,_ZN7rocprim17ROCPRIM_400000_NS6detail17trampoline_kernelINS0_14default_configENS1_20scan_config_selectorItEEZZNS1_9scan_implILNS1_25lookback_scan_determinismE0ELb0ELb0ES3_N6thrust23THRUST_200600_302600_NS6detail15normal_iteratorINS9_10device_ptrItEEEESE_t11max_functorItEtEEDaPvRmT3_T4_T5_mT6_P12ihipStream_tbENKUlT_T0_E_clISt17integral_constantIbLb0EEST_IbLb1EEEEDaSP_SQ_EUlSP_E0_NS1_11comp_targetILNS1_3genE5ELNS1_11target_archE942ELNS1_3gpuE9ELNS1_3repE0EEENS1_30default_config_static_selectorELNS0_4arch9wavefront6targetE1EEEvT1_,comdat
	.protected	_ZN7rocprim17ROCPRIM_400000_NS6detail17trampoline_kernelINS0_14default_configENS1_20scan_config_selectorItEEZZNS1_9scan_implILNS1_25lookback_scan_determinismE0ELb0ELb0ES3_N6thrust23THRUST_200600_302600_NS6detail15normal_iteratorINS9_10device_ptrItEEEESE_t11max_functorItEtEEDaPvRmT3_T4_T5_mT6_P12ihipStream_tbENKUlT_T0_E_clISt17integral_constantIbLb0EEST_IbLb1EEEEDaSP_SQ_EUlSP_E0_NS1_11comp_targetILNS1_3genE5ELNS1_11target_archE942ELNS1_3gpuE9ELNS1_3repE0EEENS1_30default_config_static_selectorELNS0_4arch9wavefront6targetE1EEEvT1_ ; -- Begin function _ZN7rocprim17ROCPRIM_400000_NS6detail17trampoline_kernelINS0_14default_configENS1_20scan_config_selectorItEEZZNS1_9scan_implILNS1_25lookback_scan_determinismE0ELb0ELb0ES3_N6thrust23THRUST_200600_302600_NS6detail15normal_iteratorINS9_10device_ptrItEEEESE_t11max_functorItEtEEDaPvRmT3_T4_T5_mT6_P12ihipStream_tbENKUlT_T0_E_clISt17integral_constantIbLb0EEST_IbLb1EEEEDaSP_SQ_EUlSP_E0_NS1_11comp_targetILNS1_3genE5ELNS1_11target_archE942ELNS1_3gpuE9ELNS1_3repE0EEENS1_30default_config_static_selectorELNS0_4arch9wavefront6targetE1EEEvT1_
	.globl	_ZN7rocprim17ROCPRIM_400000_NS6detail17trampoline_kernelINS0_14default_configENS1_20scan_config_selectorItEEZZNS1_9scan_implILNS1_25lookback_scan_determinismE0ELb0ELb0ES3_N6thrust23THRUST_200600_302600_NS6detail15normal_iteratorINS9_10device_ptrItEEEESE_t11max_functorItEtEEDaPvRmT3_T4_T5_mT6_P12ihipStream_tbENKUlT_T0_E_clISt17integral_constantIbLb0EEST_IbLb1EEEEDaSP_SQ_EUlSP_E0_NS1_11comp_targetILNS1_3genE5ELNS1_11target_archE942ELNS1_3gpuE9ELNS1_3repE0EEENS1_30default_config_static_selectorELNS0_4arch9wavefront6targetE1EEEvT1_
	.p2align	8
	.type	_ZN7rocprim17ROCPRIM_400000_NS6detail17trampoline_kernelINS0_14default_configENS1_20scan_config_selectorItEEZZNS1_9scan_implILNS1_25lookback_scan_determinismE0ELb0ELb0ES3_N6thrust23THRUST_200600_302600_NS6detail15normal_iteratorINS9_10device_ptrItEEEESE_t11max_functorItEtEEDaPvRmT3_T4_T5_mT6_P12ihipStream_tbENKUlT_T0_E_clISt17integral_constantIbLb0EEST_IbLb1EEEEDaSP_SQ_EUlSP_E0_NS1_11comp_targetILNS1_3genE5ELNS1_11target_archE942ELNS1_3gpuE9ELNS1_3repE0EEENS1_30default_config_static_selectorELNS0_4arch9wavefront6targetE1EEEvT1_,@function
_ZN7rocprim17ROCPRIM_400000_NS6detail17trampoline_kernelINS0_14default_configENS1_20scan_config_selectorItEEZZNS1_9scan_implILNS1_25lookback_scan_determinismE0ELb0ELb0ES3_N6thrust23THRUST_200600_302600_NS6detail15normal_iteratorINS9_10device_ptrItEEEESE_t11max_functorItEtEEDaPvRmT3_T4_T5_mT6_P12ihipStream_tbENKUlT_T0_E_clISt17integral_constantIbLb0EEST_IbLb1EEEEDaSP_SQ_EUlSP_E0_NS1_11comp_targetILNS1_3genE5ELNS1_11target_archE942ELNS1_3gpuE9ELNS1_3repE0EEENS1_30default_config_static_selectorELNS0_4arch9wavefront6targetE1EEEvT1_: ; @_ZN7rocprim17ROCPRIM_400000_NS6detail17trampoline_kernelINS0_14default_configENS1_20scan_config_selectorItEEZZNS1_9scan_implILNS1_25lookback_scan_determinismE0ELb0ELb0ES3_N6thrust23THRUST_200600_302600_NS6detail15normal_iteratorINS9_10device_ptrItEEEESE_t11max_functorItEtEEDaPvRmT3_T4_T5_mT6_P12ihipStream_tbENKUlT_T0_E_clISt17integral_constantIbLb0EEST_IbLb1EEEEDaSP_SQ_EUlSP_E0_NS1_11comp_targetILNS1_3genE5ELNS1_11target_archE942ELNS1_3gpuE9ELNS1_3repE0EEENS1_30default_config_static_selectorELNS0_4arch9wavefront6targetE1EEEvT1_
; %bb.0:
	.section	.rodata,"a",@progbits
	.p2align	6, 0x0
	.amdhsa_kernel _ZN7rocprim17ROCPRIM_400000_NS6detail17trampoline_kernelINS0_14default_configENS1_20scan_config_selectorItEEZZNS1_9scan_implILNS1_25lookback_scan_determinismE0ELb0ELb0ES3_N6thrust23THRUST_200600_302600_NS6detail15normal_iteratorINS9_10device_ptrItEEEESE_t11max_functorItEtEEDaPvRmT3_T4_T5_mT6_P12ihipStream_tbENKUlT_T0_E_clISt17integral_constantIbLb0EEST_IbLb1EEEEDaSP_SQ_EUlSP_E0_NS1_11comp_targetILNS1_3genE5ELNS1_11target_archE942ELNS1_3gpuE9ELNS1_3repE0EEENS1_30default_config_static_selectorELNS0_4arch9wavefront6targetE1EEEvT1_
		.amdhsa_group_segment_fixed_size 0
		.amdhsa_private_segment_fixed_size 0
		.amdhsa_kernarg_size 32
		.amdhsa_user_sgpr_count 6
		.amdhsa_user_sgpr_private_segment_buffer 1
		.amdhsa_user_sgpr_dispatch_ptr 0
		.amdhsa_user_sgpr_queue_ptr 0
		.amdhsa_user_sgpr_kernarg_segment_ptr 1
		.amdhsa_user_sgpr_dispatch_id 0
		.amdhsa_user_sgpr_flat_scratch_init 0
		.amdhsa_user_sgpr_kernarg_preload_length 0
		.amdhsa_user_sgpr_kernarg_preload_offset 0
		.amdhsa_user_sgpr_private_segment_size 0
		.amdhsa_uses_dynamic_stack 0
		.amdhsa_system_sgpr_private_segment_wavefront_offset 0
		.amdhsa_system_sgpr_workgroup_id_x 1
		.amdhsa_system_sgpr_workgroup_id_y 0
		.amdhsa_system_sgpr_workgroup_id_z 0
		.amdhsa_system_sgpr_workgroup_info 0
		.amdhsa_system_vgpr_workitem_id 0
		.amdhsa_next_free_vgpr 1
		.amdhsa_next_free_sgpr 0
		.amdhsa_accum_offset 4
		.amdhsa_reserve_vcc 0
		.amdhsa_reserve_flat_scratch 0
		.amdhsa_float_round_mode_32 0
		.amdhsa_float_round_mode_16_64 0
		.amdhsa_float_denorm_mode_32 3
		.amdhsa_float_denorm_mode_16_64 3
		.amdhsa_dx10_clamp 1
		.amdhsa_ieee_mode 1
		.amdhsa_fp16_overflow 0
		.amdhsa_tg_split 0
		.amdhsa_exception_fp_ieee_invalid_op 0
		.amdhsa_exception_fp_denorm_src 0
		.amdhsa_exception_fp_ieee_div_zero 0
		.amdhsa_exception_fp_ieee_overflow 0
		.amdhsa_exception_fp_ieee_underflow 0
		.amdhsa_exception_fp_ieee_inexact 0
		.amdhsa_exception_int_div_zero 0
	.end_amdhsa_kernel
	.section	.text._ZN7rocprim17ROCPRIM_400000_NS6detail17trampoline_kernelINS0_14default_configENS1_20scan_config_selectorItEEZZNS1_9scan_implILNS1_25lookback_scan_determinismE0ELb0ELb0ES3_N6thrust23THRUST_200600_302600_NS6detail15normal_iteratorINS9_10device_ptrItEEEESE_t11max_functorItEtEEDaPvRmT3_T4_T5_mT6_P12ihipStream_tbENKUlT_T0_E_clISt17integral_constantIbLb0EEST_IbLb1EEEEDaSP_SQ_EUlSP_E0_NS1_11comp_targetILNS1_3genE5ELNS1_11target_archE942ELNS1_3gpuE9ELNS1_3repE0EEENS1_30default_config_static_selectorELNS0_4arch9wavefront6targetE1EEEvT1_,"axG",@progbits,_ZN7rocprim17ROCPRIM_400000_NS6detail17trampoline_kernelINS0_14default_configENS1_20scan_config_selectorItEEZZNS1_9scan_implILNS1_25lookback_scan_determinismE0ELb0ELb0ES3_N6thrust23THRUST_200600_302600_NS6detail15normal_iteratorINS9_10device_ptrItEEEESE_t11max_functorItEtEEDaPvRmT3_T4_T5_mT6_P12ihipStream_tbENKUlT_T0_E_clISt17integral_constantIbLb0EEST_IbLb1EEEEDaSP_SQ_EUlSP_E0_NS1_11comp_targetILNS1_3genE5ELNS1_11target_archE942ELNS1_3gpuE9ELNS1_3repE0EEENS1_30default_config_static_selectorELNS0_4arch9wavefront6targetE1EEEvT1_,comdat
.Lfunc_end2478:
	.size	_ZN7rocprim17ROCPRIM_400000_NS6detail17trampoline_kernelINS0_14default_configENS1_20scan_config_selectorItEEZZNS1_9scan_implILNS1_25lookback_scan_determinismE0ELb0ELb0ES3_N6thrust23THRUST_200600_302600_NS6detail15normal_iteratorINS9_10device_ptrItEEEESE_t11max_functorItEtEEDaPvRmT3_T4_T5_mT6_P12ihipStream_tbENKUlT_T0_E_clISt17integral_constantIbLb0EEST_IbLb1EEEEDaSP_SQ_EUlSP_E0_NS1_11comp_targetILNS1_3genE5ELNS1_11target_archE942ELNS1_3gpuE9ELNS1_3repE0EEENS1_30default_config_static_selectorELNS0_4arch9wavefront6targetE1EEEvT1_, .Lfunc_end2478-_ZN7rocprim17ROCPRIM_400000_NS6detail17trampoline_kernelINS0_14default_configENS1_20scan_config_selectorItEEZZNS1_9scan_implILNS1_25lookback_scan_determinismE0ELb0ELb0ES3_N6thrust23THRUST_200600_302600_NS6detail15normal_iteratorINS9_10device_ptrItEEEESE_t11max_functorItEtEEDaPvRmT3_T4_T5_mT6_P12ihipStream_tbENKUlT_T0_E_clISt17integral_constantIbLb0EEST_IbLb1EEEEDaSP_SQ_EUlSP_E0_NS1_11comp_targetILNS1_3genE5ELNS1_11target_archE942ELNS1_3gpuE9ELNS1_3repE0EEENS1_30default_config_static_selectorELNS0_4arch9wavefront6targetE1EEEvT1_
                                        ; -- End function
	.section	.AMDGPU.csdata,"",@progbits
; Kernel info:
; codeLenInByte = 0
; NumSgprs: 4
; NumVgprs: 0
; NumAgprs: 0
; TotalNumVgprs: 0
; ScratchSize: 0
; MemoryBound: 0
; FloatMode: 240
; IeeeMode: 1
; LDSByteSize: 0 bytes/workgroup (compile time only)
; SGPRBlocks: 0
; VGPRBlocks: 0
; NumSGPRsForWavesPerEU: 4
; NumVGPRsForWavesPerEU: 1
; AccumOffset: 4
; Occupancy: 8
; WaveLimiterHint : 0
; COMPUTE_PGM_RSRC2:SCRATCH_EN: 0
; COMPUTE_PGM_RSRC2:USER_SGPR: 6
; COMPUTE_PGM_RSRC2:TRAP_HANDLER: 0
; COMPUTE_PGM_RSRC2:TGID_X_EN: 1
; COMPUTE_PGM_RSRC2:TGID_Y_EN: 0
; COMPUTE_PGM_RSRC2:TGID_Z_EN: 0
; COMPUTE_PGM_RSRC2:TIDIG_COMP_CNT: 0
; COMPUTE_PGM_RSRC3_GFX90A:ACCUM_OFFSET: 0
; COMPUTE_PGM_RSRC3_GFX90A:TG_SPLIT: 0
	.section	.text._ZN7rocprim17ROCPRIM_400000_NS6detail17trampoline_kernelINS0_14default_configENS1_20scan_config_selectorItEEZZNS1_9scan_implILNS1_25lookback_scan_determinismE0ELb0ELb0ES3_N6thrust23THRUST_200600_302600_NS6detail15normal_iteratorINS9_10device_ptrItEEEESE_t11max_functorItEtEEDaPvRmT3_T4_T5_mT6_P12ihipStream_tbENKUlT_T0_E_clISt17integral_constantIbLb0EEST_IbLb1EEEEDaSP_SQ_EUlSP_E0_NS1_11comp_targetILNS1_3genE4ELNS1_11target_archE910ELNS1_3gpuE8ELNS1_3repE0EEENS1_30default_config_static_selectorELNS0_4arch9wavefront6targetE1EEEvT1_,"axG",@progbits,_ZN7rocprim17ROCPRIM_400000_NS6detail17trampoline_kernelINS0_14default_configENS1_20scan_config_selectorItEEZZNS1_9scan_implILNS1_25lookback_scan_determinismE0ELb0ELb0ES3_N6thrust23THRUST_200600_302600_NS6detail15normal_iteratorINS9_10device_ptrItEEEESE_t11max_functorItEtEEDaPvRmT3_T4_T5_mT6_P12ihipStream_tbENKUlT_T0_E_clISt17integral_constantIbLb0EEST_IbLb1EEEEDaSP_SQ_EUlSP_E0_NS1_11comp_targetILNS1_3genE4ELNS1_11target_archE910ELNS1_3gpuE8ELNS1_3repE0EEENS1_30default_config_static_selectorELNS0_4arch9wavefront6targetE1EEEvT1_,comdat
	.protected	_ZN7rocprim17ROCPRIM_400000_NS6detail17trampoline_kernelINS0_14default_configENS1_20scan_config_selectorItEEZZNS1_9scan_implILNS1_25lookback_scan_determinismE0ELb0ELb0ES3_N6thrust23THRUST_200600_302600_NS6detail15normal_iteratorINS9_10device_ptrItEEEESE_t11max_functorItEtEEDaPvRmT3_T4_T5_mT6_P12ihipStream_tbENKUlT_T0_E_clISt17integral_constantIbLb0EEST_IbLb1EEEEDaSP_SQ_EUlSP_E0_NS1_11comp_targetILNS1_3genE4ELNS1_11target_archE910ELNS1_3gpuE8ELNS1_3repE0EEENS1_30default_config_static_selectorELNS0_4arch9wavefront6targetE1EEEvT1_ ; -- Begin function _ZN7rocprim17ROCPRIM_400000_NS6detail17trampoline_kernelINS0_14default_configENS1_20scan_config_selectorItEEZZNS1_9scan_implILNS1_25lookback_scan_determinismE0ELb0ELb0ES3_N6thrust23THRUST_200600_302600_NS6detail15normal_iteratorINS9_10device_ptrItEEEESE_t11max_functorItEtEEDaPvRmT3_T4_T5_mT6_P12ihipStream_tbENKUlT_T0_E_clISt17integral_constantIbLb0EEST_IbLb1EEEEDaSP_SQ_EUlSP_E0_NS1_11comp_targetILNS1_3genE4ELNS1_11target_archE910ELNS1_3gpuE8ELNS1_3repE0EEENS1_30default_config_static_selectorELNS0_4arch9wavefront6targetE1EEEvT1_
	.globl	_ZN7rocprim17ROCPRIM_400000_NS6detail17trampoline_kernelINS0_14default_configENS1_20scan_config_selectorItEEZZNS1_9scan_implILNS1_25lookback_scan_determinismE0ELb0ELb0ES3_N6thrust23THRUST_200600_302600_NS6detail15normal_iteratorINS9_10device_ptrItEEEESE_t11max_functorItEtEEDaPvRmT3_T4_T5_mT6_P12ihipStream_tbENKUlT_T0_E_clISt17integral_constantIbLb0EEST_IbLb1EEEEDaSP_SQ_EUlSP_E0_NS1_11comp_targetILNS1_3genE4ELNS1_11target_archE910ELNS1_3gpuE8ELNS1_3repE0EEENS1_30default_config_static_selectorELNS0_4arch9wavefront6targetE1EEEvT1_
	.p2align	8
	.type	_ZN7rocprim17ROCPRIM_400000_NS6detail17trampoline_kernelINS0_14default_configENS1_20scan_config_selectorItEEZZNS1_9scan_implILNS1_25lookback_scan_determinismE0ELb0ELb0ES3_N6thrust23THRUST_200600_302600_NS6detail15normal_iteratorINS9_10device_ptrItEEEESE_t11max_functorItEtEEDaPvRmT3_T4_T5_mT6_P12ihipStream_tbENKUlT_T0_E_clISt17integral_constantIbLb0EEST_IbLb1EEEEDaSP_SQ_EUlSP_E0_NS1_11comp_targetILNS1_3genE4ELNS1_11target_archE910ELNS1_3gpuE8ELNS1_3repE0EEENS1_30default_config_static_selectorELNS0_4arch9wavefront6targetE1EEEvT1_,@function
_ZN7rocprim17ROCPRIM_400000_NS6detail17trampoline_kernelINS0_14default_configENS1_20scan_config_selectorItEEZZNS1_9scan_implILNS1_25lookback_scan_determinismE0ELb0ELb0ES3_N6thrust23THRUST_200600_302600_NS6detail15normal_iteratorINS9_10device_ptrItEEEESE_t11max_functorItEtEEDaPvRmT3_T4_T5_mT6_P12ihipStream_tbENKUlT_T0_E_clISt17integral_constantIbLb0EEST_IbLb1EEEEDaSP_SQ_EUlSP_E0_NS1_11comp_targetILNS1_3genE4ELNS1_11target_archE910ELNS1_3gpuE8ELNS1_3repE0EEENS1_30default_config_static_selectorELNS0_4arch9wavefront6targetE1EEEvT1_: ; @_ZN7rocprim17ROCPRIM_400000_NS6detail17trampoline_kernelINS0_14default_configENS1_20scan_config_selectorItEEZZNS1_9scan_implILNS1_25lookback_scan_determinismE0ELb0ELb0ES3_N6thrust23THRUST_200600_302600_NS6detail15normal_iteratorINS9_10device_ptrItEEEESE_t11max_functorItEtEEDaPvRmT3_T4_T5_mT6_P12ihipStream_tbENKUlT_T0_E_clISt17integral_constantIbLb0EEST_IbLb1EEEEDaSP_SQ_EUlSP_E0_NS1_11comp_targetILNS1_3genE4ELNS1_11target_archE910ELNS1_3gpuE8ELNS1_3repE0EEENS1_30default_config_static_selectorELNS0_4arch9wavefront6targetE1EEEvT1_
; %bb.0:
	s_load_dwordx4 s[52:55], s[4:5], 0x0
	v_mov_b32_e32 v1, 0
	v_lshlrev_b32_e32 v14, 1, v0
	s_waitcnt lgkmcnt(0)
	global_load_ushort v2, v1, s[52:53]
	v_cmp_gt_u32_e32 vcc, s54, v0
	s_waitcnt vmcnt(0)
	v_mov_b32_e32 v3, v2
	s_and_saveexec_b64 s[0:1], vcc
	s_cbranch_execz .LBB2479_2
; %bb.1:
	global_load_ushort v3, v14, s[52:53]
.LBB2479_2:
	s_or_b64 exec, exec, s[0:1]
	v_or_b32_e32 v1, 64, v0
	v_cmp_gt_u32_e64 s[0:1], s54, v1
	v_mov_b32_e32 v4, v2
	s_and_saveexec_b64 s[2:3], s[0:1]
	s_cbranch_execz .LBB2479_4
; %bb.3:
	global_load_ushort v4, v14, s[52:53] offset:128
.LBB2479_4:
	s_or_b64 exec, exec, s[2:3]
	v_or_b32_e32 v1, 0x80, v0
	v_cmp_gt_u32_e64 s[2:3], s54, v1
	v_mov_b32_e32 v5, v2
	s_and_saveexec_b64 s[6:7], s[2:3]
	s_cbranch_execz .LBB2479_6
; %bb.5:
	global_load_ushort v5, v14, s[52:53] offset:256
.LBB2479_6:
	;; [unrolled: 9-line block ×22, first 2 shown]
	s_or_b64 exec, exec, s[46:47]
	v_or_b32_e32 v1, 0x5c0, v0
	v_cmp_gt_u32_e64 s[46:47], s54, v1
	v_cmp_le_u32_e64 s[50:51], s54, v1
	s_and_saveexec_b64 s[54:55], s[50:51]
	s_xor_b64 s[50:51], exec, s[54:55]
; %bb.47:
	v_mov_b32_e32 v1, 0
; %bb.48:
	s_andn2_saveexec_b64 s[50:51], s[50:51]
	s_cbranch_execz .LBB2479_50
; %bb.49:
	global_load_ushort v2, v14, s[52:53] offset:2944
	v_mov_b32_e32 v1, 0
.LBB2479_50:
	s_or_b64 exec, exec, s[50:51]
	s_waitcnt vmcnt(0)
	ds_write_b16 v14, v3
	ds_write_b16 v14, v4 offset:128
	ds_write_b16 v14, v5 offset:256
	;; [unrolled: 1-line block ×23, first 2 shown]
	v_mad_u32_u24 v15, v0, 46, v14
	s_waitcnt lgkmcnt(0)
	; wave barrier
	s_waitcnt lgkmcnt(0)
	ds_read_b128 v[2:5], v15
	ds_read_b128 v[10:13], v15 offset:16
	ds_read_b128 v[6:9], v15 offset:32
	v_mbcnt_lo_u32_b32 v39, -1, 0
	v_mbcnt_hi_u32_b32 v39, -1, v39
	s_waitcnt lgkmcnt(2)
	v_max_u16_sdwa v16, v2, v2 dst_sel:DWORD dst_unused:UNUSED_PAD src0_sel:DWORD src1_sel:WORD_1
	v_max_u16_e32 v17, v16, v3
	v_max_u16_sdwa v19, v17, v3 dst_sel:DWORD dst_unused:UNUSED_PAD src0_sel:DWORD src1_sel:WORD_1
	v_max_u16_e32 v21, v19, v4
	;; [unrolled: 2-line block ×3, first 2 shown]
	v_max_u16_sdwa v29, v26, v5 dst_sel:DWORD dst_unused:UNUSED_PAD src0_sel:DWORD src1_sel:WORD_1
	s_waitcnt lgkmcnt(1)
	v_max_u16_e32 v18, v29, v10
	v_max_u16_sdwa v20, v18, v10 dst_sel:DWORD dst_unused:UNUSED_PAD src0_sel:DWORD src1_sel:WORD_1
	v_max_u16_e32 v22, v20, v11
	v_max_u16_sdwa v25, v22, v11 dst_sel:DWORD dst_unused:UNUSED_PAD src0_sel:DWORD src1_sel:WORD_1
	;; [unrolled: 2-line block ×4, first 2 shown]
	s_waitcnt lgkmcnt(0)
	v_max_u16_e32 v24, v35, v6
	v_max_u16_sdwa v27, v24, v6 dst_sel:DWORD dst_unused:UNUSED_PAD src0_sel:DWORD src1_sel:WORD_1
	v_max_u16_e32 v30, v27, v7
	v_max_u16_sdwa v32, v30, v7 dst_sel:DWORD dst_unused:UNUSED_PAD src0_sel:DWORD src1_sel:WORD_1
	;; [unrolled: 2-line block ×4, first 2 shown]
	v_and_b32_e32 v40, 15, v39
	s_load_dwordx2 s[50:51], s[4:5], 0x18
	v_mov_b32_dpp v41, v38 row_shr:1 row_mask:0xf bank_mask:0xf
	v_max_u16_e32 v41, v41, v38
	v_cmp_eq_u32_e64 s[4:5], 0, v40
	v_cndmask_b32_e64 v41, v41, v38, s[4:5]
	v_and_b32_e32 v42, 0xffff, v41
	v_cmp_lt_u32_e64 s[4:5], 1, v40
	s_waitcnt lgkmcnt(0)
	v_mov_b32_dpp v42, v42 row_shr:2 row_mask:0xf bank_mask:0xf
	v_max_u16_e32 v42, v42, v41
	v_cndmask_b32_e64 v41, v41, v42, s[4:5]
	v_and_b32_e32 v42, 0xffff, v41
	v_cmp_lt_u32_e64 s[4:5], 3, v40
	; wave barrier
	s_nop 0
	v_mov_b32_dpp v42, v42 row_shr:4 row_mask:0xf bank_mask:0xf
	v_max_u16_e32 v42, v42, v41
	v_cndmask_b32_e64 v41, v41, v42, s[4:5]
	v_and_b32_e32 v42, 0xffff, v41
	v_cmp_lt_u32_e64 s[4:5], 7, v40
	s_nop 0
	v_mov_b32_dpp v42, v42 row_shr:8 row_mask:0xf bank_mask:0xf
	v_max_u16_e32 v42, v42, v41
	v_cndmask_b32_e64 v40, v41, v42, s[4:5]
	v_and_b32_e32 v41, 0xffff, v40
	v_and_b32_e32 v42, 16, v39
	v_cmp_eq_u32_e64 s[4:5], 0, v42
	v_mov_b32_dpp v41, v41 row_bcast:15 row_mask:0xf bank_mask:0xf
	v_max_u16_e32 v41, v41, v40
	v_cndmask_b32_e64 v40, v41, v40, s[4:5]
	v_and_b32_e32 v41, 0xffff, v40
	v_cmp_lt_u32_e64 s[4:5], 31, v39
	s_nop 0
	v_mov_b32_dpp v41, v41 row_bcast:31 row_mask:0xf bank_mask:0xf
	v_max_u16_e32 v41, v41, v40
	v_cndmask_b32_e64 v40, v40, v41, s[4:5]
	v_cmp_eq_u32_e64 s[4:5], 63, v0
	s_and_saveexec_b64 s[52:53], s[4:5]
	s_cbranch_execz .LBB2479_52
; %bb.51:
	v_mov_b32_e32 v41, 0
	ds_write_b16 v41, v40
.LBB2479_52:
	s_or_b64 exec, exec, s[52:53]
	v_add_u32_e32 v41, -1, v39
	v_and_b32_e32 v42, 64, v39
	v_cmp_lt_i32_e64 s[4:5], v41, v42
	v_cndmask_b32_e64 v39, v41, v39, s[4:5]
	v_and_b32_e32 v40, 0xffff, v40
	v_lshlrev_b32_e32 v39, 2, v39
	ds_bpermute_b32 v39, v39, v40
	v_cmp_ne_u32_e64 s[4:5], 0, v0
	s_waitcnt lgkmcnt(0)
	; wave barrier
	s_waitcnt lgkmcnt(0)
	s_and_saveexec_b64 s[52:53], s[4:5]
	s_cbranch_execz .LBB2479_54
; %bb.53:
	v_max_u16_e32 v39, v39, v2
	v_max_u16_sdwa v16, v39, v2 dst_sel:DWORD dst_unused:UNUSED_PAD src0_sel:DWORD src1_sel:WORD_1
	v_max_u16_e32 v17, v16, v3
	v_max_u16_sdwa v19, v17, v3 dst_sel:DWORD dst_unused:UNUSED_PAD src0_sel:DWORD src1_sel:WORD_1
	;; [unrolled: 2-line block ×12, first 2 shown]
	v_mov_b32_e32 v2, v39
	;;#ASMSTART
	;;#ASMEND
.LBB2479_54:
	s_or_b64 exec, exec, s[52:53]
	s_mov_b32 s4, 0x5040100
	v_perm_b32 v5, v29, v26, s4
	v_perm_b32 v4, v23, v21, s4
	;; [unrolled: 1-line block ×4, first 2 shown]
	s_waitcnt lgkmcnt(0)
	; wave barrier
	ds_write_b128 v15, v[2:5]
	v_perm_b32 v5, v35, v33, s4
	v_perm_b32 v4, v31, v28, s4
	;; [unrolled: 1-line block ×4, first 2 shown]
	ds_write_b128 v15, v[2:5] offset:16
	v_perm_b32 v5, v38, v37, s4
	v_perm_b32 v4, v36, v34, s4
	;; [unrolled: 1-line block ×4, first 2 shown]
	s_movk_i32 s4, 0xffd2
	ds_write_b128 v15, v[2:5] offset:32
	v_mad_i32_i24 v2, v0, s4, v15
	s_waitcnt lgkmcnt(0)
	; wave barrier
	s_waitcnt lgkmcnt(0)
	ds_read_u16 v25, v2 offset:128
	ds_read_u16 v24, v2 offset:256
	;; [unrolled: 1-line block ×23, first 2 shown]
	v_lshlrev_b64 v[0:1], 1, v[0:1]
	v_mov_b32_e32 v26, s51
	v_add_co_u32_e64 v0, s[4:5], s50, v0
	v_addc_co_u32_e64 v1, s[4:5], v26, v1, s[4:5]
	s_and_saveexec_b64 s[4:5], vcc
	s_cbranch_execnz .LBB2479_79
; %bb.55:
	s_or_b64 exec, exec, s[4:5]
	s_and_saveexec_b64 s[4:5], s[0:1]
	s_cbranch_execnz .LBB2479_80
.LBB2479_56:
	s_or_b64 exec, exec, s[4:5]
	s_and_saveexec_b64 s[0:1], s[2:3]
	s_cbranch_execnz .LBB2479_81
.LBB2479_57:
	s_or_b64 exec, exec, s[0:1]
	s_and_saveexec_b64 s[0:1], s[48:49]
	s_cbranch_execnz .LBB2479_82
.LBB2479_58:
	s_or_b64 exec, exec, s[0:1]
	s_and_saveexec_b64 s[0:1], s[6:7]
	s_cbranch_execnz .LBB2479_83
.LBB2479_59:
	s_or_b64 exec, exec, s[0:1]
	s_and_saveexec_b64 s[0:1], s[8:9]
	s_cbranch_execnz .LBB2479_84
.LBB2479_60:
	s_or_b64 exec, exec, s[0:1]
	s_and_saveexec_b64 s[0:1], s[10:11]
	s_cbranch_execnz .LBB2479_85
.LBB2479_61:
	s_or_b64 exec, exec, s[0:1]
	s_and_saveexec_b64 s[0:1], s[12:13]
	s_cbranch_execnz .LBB2479_86
.LBB2479_62:
	s_or_b64 exec, exec, s[0:1]
	s_and_saveexec_b64 s[0:1], s[14:15]
	s_cbranch_execnz .LBB2479_87
.LBB2479_63:
	s_or_b64 exec, exec, s[0:1]
	s_and_saveexec_b64 s[0:1], s[16:17]
	s_cbranch_execnz .LBB2479_88
.LBB2479_64:
	s_or_b64 exec, exec, s[0:1]
	s_and_saveexec_b64 s[0:1], s[18:19]
	s_cbranch_execnz .LBB2479_89
.LBB2479_65:
	s_or_b64 exec, exec, s[0:1]
	s_and_saveexec_b64 s[0:1], s[20:21]
	s_cbranch_execnz .LBB2479_90
.LBB2479_66:
	s_or_b64 exec, exec, s[0:1]
	s_and_saveexec_b64 s[0:1], s[22:23]
	s_cbranch_execnz .LBB2479_91
.LBB2479_67:
	s_or_b64 exec, exec, s[0:1]
	s_and_saveexec_b64 s[0:1], s[24:25]
	s_cbranch_execnz .LBB2479_92
.LBB2479_68:
	s_or_b64 exec, exec, s[0:1]
	s_and_saveexec_b64 s[0:1], s[26:27]
	s_cbranch_execnz .LBB2479_93
.LBB2479_69:
	s_or_b64 exec, exec, s[0:1]
	s_and_saveexec_b64 s[0:1], s[28:29]
	s_cbranch_execnz .LBB2479_94
.LBB2479_70:
	s_or_b64 exec, exec, s[0:1]
	s_and_saveexec_b64 s[0:1], s[30:31]
	s_cbranch_execnz .LBB2479_95
.LBB2479_71:
	s_or_b64 exec, exec, s[0:1]
	s_and_saveexec_b64 s[0:1], s[34:35]
	s_cbranch_execnz .LBB2479_96
.LBB2479_72:
	s_or_b64 exec, exec, s[0:1]
	s_and_saveexec_b64 s[0:1], s[36:37]
	s_cbranch_execnz .LBB2479_97
.LBB2479_73:
	s_or_b64 exec, exec, s[0:1]
	s_and_saveexec_b64 s[0:1], s[38:39]
	s_cbranch_execnz .LBB2479_98
.LBB2479_74:
	s_or_b64 exec, exec, s[0:1]
	s_and_saveexec_b64 s[0:1], s[40:41]
	s_cbranch_execnz .LBB2479_99
.LBB2479_75:
	s_or_b64 exec, exec, s[0:1]
	s_and_saveexec_b64 s[0:1], s[42:43]
	s_cbranch_execnz .LBB2479_100
.LBB2479_76:
	s_or_b64 exec, exec, s[0:1]
	s_and_saveexec_b64 s[0:1], s[44:45]
	s_cbranch_execnz .LBB2479_101
.LBB2479_77:
	s_or_b64 exec, exec, s[0:1]
	s_and_saveexec_b64 s[0:1], s[46:47]
	s_cbranch_execnz .LBB2479_102
.LBB2479_78:
	s_endpgm
.LBB2479_79:
	ds_read_u16 v14, v14
	s_waitcnt lgkmcnt(0)
	global_store_short v[0:1], v14, off
	s_or_b64 exec, exec, s[4:5]
	s_and_saveexec_b64 s[4:5], s[0:1]
	s_cbranch_execz .LBB2479_56
.LBB2479_80:
	s_waitcnt lgkmcnt(14)
	global_store_short v[0:1], v25, off offset:128
	s_or_b64 exec, exec, s[4:5]
	s_and_saveexec_b64 s[0:1], s[2:3]
	s_cbranch_execz .LBB2479_57
.LBB2479_81:
	s_waitcnt lgkmcnt(14)
	global_store_short v[0:1], v24, off offset:256
	s_or_b64 exec, exec, s[0:1]
	s_and_saveexec_b64 s[0:1], s[48:49]
	s_cbranch_execz .LBB2479_58
.LBB2479_82:
	s_waitcnt lgkmcnt(14)
	global_store_short v[0:1], v23, off offset:384
	s_or_b64 exec, exec, s[0:1]
	s_and_saveexec_b64 s[0:1], s[6:7]
	s_cbranch_execz .LBB2479_59
.LBB2479_83:
	s_waitcnt lgkmcnt(14)
	global_store_short v[0:1], v22, off offset:512
	s_or_b64 exec, exec, s[0:1]
	s_and_saveexec_b64 s[0:1], s[8:9]
	s_cbranch_execz .LBB2479_60
.LBB2479_84:
	s_waitcnt lgkmcnt(14)
	global_store_short v[0:1], v21, off offset:640
	s_or_b64 exec, exec, s[0:1]
	s_and_saveexec_b64 s[0:1], s[10:11]
	s_cbranch_execz .LBB2479_61
.LBB2479_85:
	s_waitcnt lgkmcnt(14)
	global_store_short v[0:1], v20, off offset:768
	s_or_b64 exec, exec, s[0:1]
	s_and_saveexec_b64 s[0:1], s[12:13]
	s_cbranch_execz .LBB2479_62
.LBB2479_86:
	s_waitcnt lgkmcnt(14)
	global_store_short v[0:1], v19, off offset:896
	s_or_b64 exec, exec, s[0:1]
	s_and_saveexec_b64 s[0:1], s[14:15]
	s_cbranch_execz .LBB2479_63
.LBB2479_87:
	s_waitcnt lgkmcnt(14)
	global_store_short v[0:1], v18, off offset:1024
	s_or_b64 exec, exec, s[0:1]
	s_and_saveexec_b64 s[0:1], s[16:17]
	s_cbranch_execz .LBB2479_64
.LBB2479_88:
	s_waitcnt lgkmcnt(14)
	global_store_short v[0:1], v17, off offset:1152
	s_or_b64 exec, exec, s[0:1]
	s_and_saveexec_b64 s[0:1], s[18:19]
	s_cbranch_execz .LBB2479_65
.LBB2479_89:
	s_waitcnt lgkmcnt(13)
	global_store_short v[0:1], v16, off offset:1280
	s_or_b64 exec, exec, s[0:1]
	s_and_saveexec_b64 s[0:1], s[20:21]
	s_cbranch_execz .LBB2479_66
.LBB2479_90:
	s_waitcnt lgkmcnt(12)
	global_store_short v[0:1], v15, off offset:1408
	s_or_b64 exec, exec, s[0:1]
	s_and_saveexec_b64 s[0:1], s[22:23]
	s_cbranch_execz .LBB2479_67
.LBB2479_91:
	s_waitcnt lgkmcnt(11)
	global_store_short v[0:1], v13, off offset:1536
	s_or_b64 exec, exec, s[0:1]
	s_and_saveexec_b64 s[0:1], s[24:25]
	s_cbranch_execz .LBB2479_68
.LBB2479_92:
	s_waitcnt lgkmcnt(10)
	global_store_short v[0:1], v12, off offset:1664
	s_or_b64 exec, exec, s[0:1]
	s_and_saveexec_b64 s[0:1], s[26:27]
	s_cbranch_execz .LBB2479_69
.LBB2479_93:
	s_waitcnt lgkmcnt(9)
	global_store_short v[0:1], v11, off offset:1792
	s_or_b64 exec, exec, s[0:1]
	s_and_saveexec_b64 s[0:1], s[28:29]
	s_cbranch_execz .LBB2479_70
.LBB2479_94:
	s_waitcnt lgkmcnt(8)
	global_store_short v[0:1], v10, off offset:1920
	s_or_b64 exec, exec, s[0:1]
	s_and_saveexec_b64 s[0:1], s[30:31]
	s_cbranch_execz .LBB2479_71
.LBB2479_95:
	s_waitcnt lgkmcnt(1)
	global_store_short v[0:1], v9, off offset:2048
	s_or_b64 exec, exec, s[0:1]
	s_and_saveexec_b64 s[0:1], s[34:35]
	s_cbranch_execz .LBB2479_72
.LBB2479_96:
	s_waitcnt lgkmcnt(7)
	global_store_short v[0:1], v8, off offset:2176
	s_or_b64 exec, exec, s[0:1]
	s_and_saveexec_b64 s[0:1], s[36:37]
	s_cbranch_execz .LBB2479_73
.LBB2479_97:
	s_waitcnt lgkmcnt(6)
	global_store_short v[0:1], v7, off offset:2304
	s_or_b64 exec, exec, s[0:1]
	s_and_saveexec_b64 s[0:1], s[38:39]
	s_cbranch_execz .LBB2479_74
.LBB2479_98:
	s_waitcnt lgkmcnt(5)
	global_store_short v[0:1], v6, off offset:2432
	s_or_b64 exec, exec, s[0:1]
	s_and_saveexec_b64 s[0:1], s[40:41]
	s_cbranch_execz .LBB2479_75
.LBB2479_99:
	s_waitcnt lgkmcnt(4)
	global_store_short v[0:1], v5, off offset:2560
	s_or_b64 exec, exec, s[0:1]
	s_and_saveexec_b64 s[0:1], s[42:43]
	s_cbranch_execz .LBB2479_76
.LBB2479_100:
	s_waitcnt lgkmcnt(3)
	global_store_short v[0:1], v4, off offset:2688
	s_or_b64 exec, exec, s[0:1]
	s_and_saveexec_b64 s[0:1], s[44:45]
	s_cbranch_execz .LBB2479_77
.LBB2479_101:
	s_waitcnt lgkmcnt(2)
	global_store_short v[0:1], v3, off offset:2816
	s_or_b64 exec, exec, s[0:1]
	s_and_saveexec_b64 s[0:1], s[46:47]
	s_cbranch_execz .LBB2479_78
.LBB2479_102:
	s_waitcnt lgkmcnt(0)
	global_store_short v[0:1], v2, off offset:2944
	s_endpgm
	.section	.rodata,"a",@progbits
	.p2align	6, 0x0
	.amdhsa_kernel _ZN7rocprim17ROCPRIM_400000_NS6detail17trampoline_kernelINS0_14default_configENS1_20scan_config_selectorItEEZZNS1_9scan_implILNS1_25lookback_scan_determinismE0ELb0ELb0ES3_N6thrust23THRUST_200600_302600_NS6detail15normal_iteratorINS9_10device_ptrItEEEESE_t11max_functorItEtEEDaPvRmT3_T4_T5_mT6_P12ihipStream_tbENKUlT_T0_E_clISt17integral_constantIbLb0EEST_IbLb1EEEEDaSP_SQ_EUlSP_E0_NS1_11comp_targetILNS1_3genE4ELNS1_11target_archE910ELNS1_3gpuE8ELNS1_3repE0EEENS1_30default_config_static_selectorELNS0_4arch9wavefront6targetE1EEEvT1_
		.amdhsa_group_segment_fixed_size 3072
		.amdhsa_private_segment_fixed_size 0
		.amdhsa_kernarg_size 32
		.amdhsa_user_sgpr_count 6
		.amdhsa_user_sgpr_private_segment_buffer 1
		.amdhsa_user_sgpr_dispatch_ptr 0
		.amdhsa_user_sgpr_queue_ptr 0
		.amdhsa_user_sgpr_kernarg_segment_ptr 1
		.amdhsa_user_sgpr_dispatch_id 0
		.amdhsa_user_sgpr_flat_scratch_init 0
		.amdhsa_user_sgpr_kernarg_preload_length 0
		.amdhsa_user_sgpr_kernarg_preload_offset 0
		.amdhsa_user_sgpr_private_segment_size 0
		.amdhsa_uses_dynamic_stack 0
		.amdhsa_system_sgpr_private_segment_wavefront_offset 0
		.amdhsa_system_sgpr_workgroup_id_x 1
		.amdhsa_system_sgpr_workgroup_id_y 0
		.amdhsa_system_sgpr_workgroup_id_z 0
		.amdhsa_system_sgpr_workgroup_info 0
		.amdhsa_system_vgpr_workitem_id 0
		.amdhsa_next_free_vgpr 43
		.amdhsa_next_free_sgpr 56
		.amdhsa_accum_offset 44
		.amdhsa_reserve_vcc 1
		.amdhsa_reserve_flat_scratch 0
		.amdhsa_float_round_mode_32 0
		.amdhsa_float_round_mode_16_64 0
		.amdhsa_float_denorm_mode_32 3
		.amdhsa_float_denorm_mode_16_64 3
		.amdhsa_dx10_clamp 1
		.amdhsa_ieee_mode 1
		.amdhsa_fp16_overflow 0
		.amdhsa_tg_split 0
		.amdhsa_exception_fp_ieee_invalid_op 0
		.amdhsa_exception_fp_denorm_src 0
		.amdhsa_exception_fp_ieee_div_zero 0
		.amdhsa_exception_fp_ieee_overflow 0
		.amdhsa_exception_fp_ieee_underflow 0
		.amdhsa_exception_fp_ieee_inexact 0
		.amdhsa_exception_int_div_zero 0
	.end_amdhsa_kernel
	.section	.text._ZN7rocprim17ROCPRIM_400000_NS6detail17trampoline_kernelINS0_14default_configENS1_20scan_config_selectorItEEZZNS1_9scan_implILNS1_25lookback_scan_determinismE0ELb0ELb0ES3_N6thrust23THRUST_200600_302600_NS6detail15normal_iteratorINS9_10device_ptrItEEEESE_t11max_functorItEtEEDaPvRmT3_T4_T5_mT6_P12ihipStream_tbENKUlT_T0_E_clISt17integral_constantIbLb0EEST_IbLb1EEEEDaSP_SQ_EUlSP_E0_NS1_11comp_targetILNS1_3genE4ELNS1_11target_archE910ELNS1_3gpuE8ELNS1_3repE0EEENS1_30default_config_static_selectorELNS0_4arch9wavefront6targetE1EEEvT1_,"axG",@progbits,_ZN7rocprim17ROCPRIM_400000_NS6detail17trampoline_kernelINS0_14default_configENS1_20scan_config_selectorItEEZZNS1_9scan_implILNS1_25lookback_scan_determinismE0ELb0ELb0ES3_N6thrust23THRUST_200600_302600_NS6detail15normal_iteratorINS9_10device_ptrItEEEESE_t11max_functorItEtEEDaPvRmT3_T4_T5_mT6_P12ihipStream_tbENKUlT_T0_E_clISt17integral_constantIbLb0EEST_IbLb1EEEEDaSP_SQ_EUlSP_E0_NS1_11comp_targetILNS1_3genE4ELNS1_11target_archE910ELNS1_3gpuE8ELNS1_3repE0EEENS1_30default_config_static_selectorELNS0_4arch9wavefront6targetE1EEEvT1_,comdat
.Lfunc_end2479:
	.size	_ZN7rocprim17ROCPRIM_400000_NS6detail17trampoline_kernelINS0_14default_configENS1_20scan_config_selectorItEEZZNS1_9scan_implILNS1_25lookback_scan_determinismE0ELb0ELb0ES3_N6thrust23THRUST_200600_302600_NS6detail15normal_iteratorINS9_10device_ptrItEEEESE_t11max_functorItEtEEDaPvRmT3_T4_T5_mT6_P12ihipStream_tbENKUlT_T0_E_clISt17integral_constantIbLb0EEST_IbLb1EEEEDaSP_SQ_EUlSP_E0_NS1_11comp_targetILNS1_3genE4ELNS1_11target_archE910ELNS1_3gpuE8ELNS1_3repE0EEENS1_30default_config_static_selectorELNS0_4arch9wavefront6targetE1EEEvT1_, .Lfunc_end2479-_ZN7rocprim17ROCPRIM_400000_NS6detail17trampoline_kernelINS0_14default_configENS1_20scan_config_selectorItEEZZNS1_9scan_implILNS1_25lookback_scan_determinismE0ELb0ELb0ES3_N6thrust23THRUST_200600_302600_NS6detail15normal_iteratorINS9_10device_ptrItEEEESE_t11max_functorItEtEEDaPvRmT3_T4_T5_mT6_P12ihipStream_tbENKUlT_T0_E_clISt17integral_constantIbLb0EEST_IbLb1EEEEDaSP_SQ_EUlSP_E0_NS1_11comp_targetILNS1_3genE4ELNS1_11target_archE910ELNS1_3gpuE8ELNS1_3repE0EEENS1_30default_config_static_selectorELNS0_4arch9wavefront6targetE1EEEvT1_
                                        ; -- End function
	.section	.AMDGPU.csdata,"",@progbits
; Kernel info:
; codeLenInByte = 3120
; NumSgprs: 60
; NumVgprs: 43
; NumAgprs: 0
; TotalNumVgprs: 43
; ScratchSize: 0
; MemoryBound: 0
; FloatMode: 240
; IeeeMode: 1
; LDSByteSize: 3072 bytes/workgroup (compile time only)
; SGPRBlocks: 7
; VGPRBlocks: 5
; NumSGPRsForWavesPerEU: 60
; NumVGPRsForWavesPerEU: 43
; AccumOffset: 44
; Occupancy: 6
; WaveLimiterHint : 0
; COMPUTE_PGM_RSRC2:SCRATCH_EN: 0
; COMPUTE_PGM_RSRC2:USER_SGPR: 6
; COMPUTE_PGM_RSRC2:TRAP_HANDLER: 0
; COMPUTE_PGM_RSRC2:TGID_X_EN: 1
; COMPUTE_PGM_RSRC2:TGID_Y_EN: 0
; COMPUTE_PGM_RSRC2:TGID_Z_EN: 0
; COMPUTE_PGM_RSRC2:TIDIG_COMP_CNT: 0
; COMPUTE_PGM_RSRC3_GFX90A:ACCUM_OFFSET: 10
; COMPUTE_PGM_RSRC3_GFX90A:TG_SPLIT: 0
	.section	.text._ZN7rocprim17ROCPRIM_400000_NS6detail17trampoline_kernelINS0_14default_configENS1_20scan_config_selectorItEEZZNS1_9scan_implILNS1_25lookback_scan_determinismE0ELb0ELb0ES3_N6thrust23THRUST_200600_302600_NS6detail15normal_iteratorINS9_10device_ptrItEEEESE_t11max_functorItEtEEDaPvRmT3_T4_T5_mT6_P12ihipStream_tbENKUlT_T0_E_clISt17integral_constantIbLb0EEST_IbLb1EEEEDaSP_SQ_EUlSP_E0_NS1_11comp_targetILNS1_3genE3ELNS1_11target_archE908ELNS1_3gpuE7ELNS1_3repE0EEENS1_30default_config_static_selectorELNS0_4arch9wavefront6targetE1EEEvT1_,"axG",@progbits,_ZN7rocprim17ROCPRIM_400000_NS6detail17trampoline_kernelINS0_14default_configENS1_20scan_config_selectorItEEZZNS1_9scan_implILNS1_25lookback_scan_determinismE0ELb0ELb0ES3_N6thrust23THRUST_200600_302600_NS6detail15normal_iteratorINS9_10device_ptrItEEEESE_t11max_functorItEtEEDaPvRmT3_T4_T5_mT6_P12ihipStream_tbENKUlT_T0_E_clISt17integral_constantIbLb0EEST_IbLb1EEEEDaSP_SQ_EUlSP_E0_NS1_11comp_targetILNS1_3genE3ELNS1_11target_archE908ELNS1_3gpuE7ELNS1_3repE0EEENS1_30default_config_static_selectorELNS0_4arch9wavefront6targetE1EEEvT1_,comdat
	.protected	_ZN7rocprim17ROCPRIM_400000_NS6detail17trampoline_kernelINS0_14default_configENS1_20scan_config_selectorItEEZZNS1_9scan_implILNS1_25lookback_scan_determinismE0ELb0ELb0ES3_N6thrust23THRUST_200600_302600_NS6detail15normal_iteratorINS9_10device_ptrItEEEESE_t11max_functorItEtEEDaPvRmT3_T4_T5_mT6_P12ihipStream_tbENKUlT_T0_E_clISt17integral_constantIbLb0EEST_IbLb1EEEEDaSP_SQ_EUlSP_E0_NS1_11comp_targetILNS1_3genE3ELNS1_11target_archE908ELNS1_3gpuE7ELNS1_3repE0EEENS1_30default_config_static_selectorELNS0_4arch9wavefront6targetE1EEEvT1_ ; -- Begin function _ZN7rocprim17ROCPRIM_400000_NS6detail17trampoline_kernelINS0_14default_configENS1_20scan_config_selectorItEEZZNS1_9scan_implILNS1_25lookback_scan_determinismE0ELb0ELb0ES3_N6thrust23THRUST_200600_302600_NS6detail15normal_iteratorINS9_10device_ptrItEEEESE_t11max_functorItEtEEDaPvRmT3_T4_T5_mT6_P12ihipStream_tbENKUlT_T0_E_clISt17integral_constantIbLb0EEST_IbLb1EEEEDaSP_SQ_EUlSP_E0_NS1_11comp_targetILNS1_3genE3ELNS1_11target_archE908ELNS1_3gpuE7ELNS1_3repE0EEENS1_30default_config_static_selectorELNS0_4arch9wavefront6targetE1EEEvT1_
	.globl	_ZN7rocprim17ROCPRIM_400000_NS6detail17trampoline_kernelINS0_14default_configENS1_20scan_config_selectorItEEZZNS1_9scan_implILNS1_25lookback_scan_determinismE0ELb0ELb0ES3_N6thrust23THRUST_200600_302600_NS6detail15normal_iteratorINS9_10device_ptrItEEEESE_t11max_functorItEtEEDaPvRmT3_T4_T5_mT6_P12ihipStream_tbENKUlT_T0_E_clISt17integral_constantIbLb0EEST_IbLb1EEEEDaSP_SQ_EUlSP_E0_NS1_11comp_targetILNS1_3genE3ELNS1_11target_archE908ELNS1_3gpuE7ELNS1_3repE0EEENS1_30default_config_static_selectorELNS0_4arch9wavefront6targetE1EEEvT1_
	.p2align	8
	.type	_ZN7rocprim17ROCPRIM_400000_NS6detail17trampoline_kernelINS0_14default_configENS1_20scan_config_selectorItEEZZNS1_9scan_implILNS1_25lookback_scan_determinismE0ELb0ELb0ES3_N6thrust23THRUST_200600_302600_NS6detail15normal_iteratorINS9_10device_ptrItEEEESE_t11max_functorItEtEEDaPvRmT3_T4_T5_mT6_P12ihipStream_tbENKUlT_T0_E_clISt17integral_constantIbLb0EEST_IbLb1EEEEDaSP_SQ_EUlSP_E0_NS1_11comp_targetILNS1_3genE3ELNS1_11target_archE908ELNS1_3gpuE7ELNS1_3repE0EEENS1_30default_config_static_selectorELNS0_4arch9wavefront6targetE1EEEvT1_,@function
_ZN7rocprim17ROCPRIM_400000_NS6detail17trampoline_kernelINS0_14default_configENS1_20scan_config_selectorItEEZZNS1_9scan_implILNS1_25lookback_scan_determinismE0ELb0ELb0ES3_N6thrust23THRUST_200600_302600_NS6detail15normal_iteratorINS9_10device_ptrItEEEESE_t11max_functorItEtEEDaPvRmT3_T4_T5_mT6_P12ihipStream_tbENKUlT_T0_E_clISt17integral_constantIbLb0EEST_IbLb1EEEEDaSP_SQ_EUlSP_E0_NS1_11comp_targetILNS1_3genE3ELNS1_11target_archE908ELNS1_3gpuE7ELNS1_3repE0EEENS1_30default_config_static_selectorELNS0_4arch9wavefront6targetE1EEEvT1_: ; @_ZN7rocprim17ROCPRIM_400000_NS6detail17trampoline_kernelINS0_14default_configENS1_20scan_config_selectorItEEZZNS1_9scan_implILNS1_25lookback_scan_determinismE0ELb0ELb0ES3_N6thrust23THRUST_200600_302600_NS6detail15normal_iteratorINS9_10device_ptrItEEEESE_t11max_functorItEtEEDaPvRmT3_T4_T5_mT6_P12ihipStream_tbENKUlT_T0_E_clISt17integral_constantIbLb0EEST_IbLb1EEEEDaSP_SQ_EUlSP_E0_NS1_11comp_targetILNS1_3genE3ELNS1_11target_archE908ELNS1_3gpuE7ELNS1_3repE0EEENS1_30default_config_static_selectorELNS0_4arch9wavefront6targetE1EEEvT1_
; %bb.0:
	.section	.rodata,"a",@progbits
	.p2align	6, 0x0
	.amdhsa_kernel _ZN7rocprim17ROCPRIM_400000_NS6detail17trampoline_kernelINS0_14default_configENS1_20scan_config_selectorItEEZZNS1_9scan_implILNS1_25lookback_scan_determinismE0ELb0ELb0ES3_N6thrust23THRUST_200600_302600_NS6detail15normal_iteratorINS9_10device_ptrItEEEESE_t11max_functorItEtEEDaPvRmT3_T4_T5_mT6_P12ihipStream_tbENKUlT_T0_E_clISt17integral_constantIbLb0EEST_IbLb1EEEEDaSP_SQ_EUlSP_E0_NS1_11comp_targetILNS1_3genE3ELNS1_11target_archE908ELNS1_3gpuE7ELNS1_3repE0EEENS1_30default_config_static_selectorELNS0_4arch9wavefront6targetE1EEEvT1_
		.amdhsa_group_segment_fixed_size 0
		.amdhsa_private_segment_fixed_size 0
		.amdhsa_kernarg_size 32
		.amdhsa_user_sgpr_count 6
		.amdhsa_user_sgpr_private_segment_buffer 1
		.amdhsa_user_sgpr_dispatch_ptr 0
		.amdhsa_user_sgpr_queue_ptr 0
		.amdhsa_user_sgpr_kernarg_segment_ptr 1
		.amdhsa_user_sgpr_dispatch_id 0
		.amdhsa_user_sgpr_flat_scratch_init 0
		.amdhsa_user_sgpr_kernarg_preload_length 0
		.amdhsa_user_sgpr_kernarg_preload_offset 0
		.amdhsa_user_sgpr_private_segment_size 0
		.amdhsa_uses_dynamic_stack 0
		.amdhsa_system_sgpr_private_segment_wavefront_offset 0
		.amdhsa_system_sgpr_workgroup_id_x 1
		.amdhsa_system_sgpr_workgroup_id_y 0
		.amdhsa_system_sgpr_workgroup_id_z 0
		.amdhsa_system_sgpr_workgroup_info 0
		.amdhsa_system_vgpr_workitem_id 0
		.amdhsa_next_free_vgpr 1
		.amdhsa_next_free_sgpr 0
		.amdhsa_accum_offset 4
		.amdhsa_reserve_vcc 0
		.amdhsa_reserve_flat_scratch 0
		.amdhsa_float_round_mode_32 0
		.amdhsa_float_round_mode_16_64 0
		.amdhsa_float_denorm_mode_32 3
		.amdhsa_float_denorm_mode_16_64 3
		.amdhsa_dx10_clamp 1
		.amdhsa_ieee_mode 1
		.amdhsa_fp16_overflow 0
		.amdhsa_tg_split 0
		.amdhsa_exception_fp_ieee_invalid_op 0
		.amdhsa_exception_fp_denorm_src 0
		.amdhsa_exception_fp_ieee_div_zero 0
		.amdhsa_exception_fp_ieee_overflow 0
		.amdhsa_exception_fp_ieee_underflow 0
		.amdhsa_exception_fp_ieee_inexact 0
		.amdhsa_exception_int_div_zero 0
	.end_amdhsa_kernel
	.section	.text._ZN7rocprim17ROCPRIM_400000_NS6detail17trampoline_kernelINS0_14default_configENS1_20scan_config_selectorItEEZZNS1_9scan_implILNS1_25lookback_scan_determinismE0ELb0ELb0ES3_N6thrust23THRUST_200600_302600_NS6detail15normal_iteratorINS9_10device_ptrItEEEESE_t11max_functorItEtEEDaPvRmT3_T4_T5_mT6_P12ihipStream_tbENKUlT_T0_E_clISt17integral_constantIbLb0EEST_IbLb1EEEEDaSP_SQ_EUlSP_E0_NS1_11comp_targetILNS1_3genE3ELNS1_11target_archE908ELNS1_3gpuE7ELNS1_3repE0EEENS1_30default_config_static_selectorELNS0_4arch9wavefront6targetE1EEEvT1_,"axG",@progbits,_ZN7rocprim17ROCPRIM_400000_NS6detail17trampoline_kernelINS0_14default_configENS1_20scan_config_selectorItEEZZNS1_9scan_implILNS1_25lookback_scan_determinismE0ELb0ELb0ES3_N6thrust23THRUST_200600_302600_NS6detail15normal_iteratorINS9_10device_ptrItEEEESE_t11max_functorItEtEEDaPvRmT3_T4_T5_mT6_P12ihipStream_tbENKUlT_T0_E_clISt17integral_constantIbLb0EEST_IbLb1EEEEDaSP_SQ_EUlSP_E0_NS1_11comp_targetILNS1_3genE3ELNS1_11target_archE908ELNS1_3gpuE7ELNS1_3repE0EEENS1_30default_config_static_selectorELNS0_4arch9wavefront6targetE1EEEvT1_,comdat
.Lfunc_end2480:
	.size	_ZN7rocprim17ROCPRIM_400000_NS6detail17trampoline_kernelINS0_14default_configENS1_20scan_config_selectorItEEZZNS1_9scan_implILNS1_25lookback_scan_determinismE0ELb0ELb0ES3_N6thrust23THRUST_200600_302600_NS6detail15normal_iteratorINS9_10device_ptrItEEEESE_t11max_functorItEtEEDaPvRmT3_T4_T5_mT6_P12ihipStream_tbENKUlT_T0_E_clISt17integral_constantIbLb0EEST_IbLb1EEEEDaSP_SQ_EUlSP_E0_NS1_11comp_targetILNS1_3genE3ELNS1_11target_archE908ELNS1_3gpuE7ELNS1_3repE0EEENS1_30default_config_static_selectorELNS0_4arch9wavefront6targetE1EEEvT1_, .Lfunc_end2480-_ZN7rocprim17ROCPRIM_400000_NS6detail17trampoline_kernelINS0_14default_configENS1_20scan_config_selectorItEEZZNS1_9scan_implILNS1_25lookback_scan_determinismE0ELb0ELb0ES3_N6thrust23THRUST_200600_302600_NS6detail15normal_iteratorINS9_10device_ptrItEEEESE_t11max_functorItEtEEDaPvRmT3_T4_T5_mT6_P12ihipStream_tbENKUlT_T0_E_clISt17integral_constantIbLb0EEST_IbLb1EEEEDaSP_SQ_EUlSP_E0_NS1_11comp_targetILNS1_3genE3ELNS1_11target_archE908ELNS1_3gpuE7ELNS1_3repE0EEENS1_30default_config_static_selectorELNS0_4arch9wavefront6targetE1EEEvT1_
                                        ; -- End function
	.section	.AMDGPU.csdata,"",@progbits
; Kernel info:
; codeLenInByte = 0
; NumSgprs: 4
; NumVgprs: 0
; NumAgprs: 0
; TotalNumVgprs: 0
; ScratchSize: 0
; MemoryBound: 0
; FloatMode: 240
; IeeeMode: 1
; LDSByteSize: 0 bytes/workgroup (compile time only)
; SGPRBlocks: 0
; VGPRBlocks: 0
; NumSGPRsForWavesPerEU: 4
; NumVGPRsForWavesPerEU: 1
; AccumOffset: 4
; Occupancy: 8
; WaveLimiterHint : 0
; COMPUTE_PGM_RSRC2:SCRATCH_EN: 0
; COMPUTE_PGM_RSRC2:USER_SGPR: 6
; COMPUTE_PGM_RSRC2:TRAP_HANDLER: 0
; COMPUTE_PGM_RSRC2:TGID_X_EN: 1
; COMPUTE_PGM_RSRC2:TGID_Y_EN: 0
; COMPUTE_PGM_RSRC2:TGID_Z_EN: 0
; COMPUTE_PGM_RSRC2:TIDIG_COMP_CNT: 0
; COMPUTE_PGM_RSRC3_GFX90A:ACCUM_OFFSET: 0
; COMPUTE_PGM_RSRC3_GFX90A:TG_SPLIT: 0
	.section	.text._ZN7rocprim17ROCPRIM_400000_NS6detail17trampoline_kernelINS0_14default_configENS1_20scan_config_selectorItEEZZNS1_9scan_implILNS1_25lookback_scan_determinismE0ELb0ELb0ES3_N6thrust23THRUST_200600_302600_NS6detail15normal_iteratorINS9_10device_ptrItEEEESE_t11max_functorItEtEEDaPvRmT3_T4_T5_mT6_P12ihipStream_tbENKUlT_T0_E_clISt17integral_constantIbLb0EEST_IbLb1EEEEDaSP_SQ_EUlSP_E0_NS1_11comp_targetILNS1_3genE2ELNS1_11target_archE906ELNS1_3gpuE6ELNS1_3repE0EEENS1_30default_config_static_selectorELNS0_4arch9wavefront6targetE1EEEvT1_,"axG",@progbits,_ZN7rocprim17ROCPRIM_400000_NS6detail17trampoline_kernelINS0_14default_configENS1_20scan_config_selectorItEEZZNS1_9scan_implILNS1_25lookback_scan_determinismE0ELb0ELb0ES3_N6thrust23THRUST_200600_302600_NS6detail15normal_iteratorINS9_10device_ptrItEEEESE_t11max_functorItEtEEDaPvRmT3_T4_T5_mT6_P12ihipStream_tbENKUlT_T0_E_clISt17integral_constantIbLb0EEST_IbLb1EEEEDaSP_SQ_EUlSP_E0_NS1_11comp_targetILNS1_3genE2ELNS1_11target_archE906ELNS1_3gpuE6ELNS1_3repE0EEENS1_30default_config_static_selectorELNS0_4arch9wavefront6targetE1EEEvT1_,comdat
	.protected	_ZN7rocprim17ROCPRIM_400000_NS6detail17trampoline_kernelINS0_14default_configENS1_20scan_config_selectorItEEZZNS1_9scan_implILNS1_25lookback_scan_determinismE0ELb0ELb0ES3_N6thrust23THRUST_200600_302600_NS6detail15normal_iteratorINS9_10device_ptrItEEEESE_t11max_functorItEtEEDaPvRmT3_T4_T5_mT6_P12ihipStream_tbENKUlT_T0_E_clISt17integral_constantIbLb0EEST_IbLb1EEEEDaSP_SQ_EUlSP_E0_NS1_11comp_targetILNS1_3genE2ELNS1_11target_archE906ELNS1_3gpuE6ELNS1_3repE0EEENS1_30default_config_static_selectorELNS0_4arch9wavefront6targetE1EEEvT1_ ; -- Begin function _ZN7rocprim17ROCPRIM_400000_NS6detail17trampoline_kernelINS0_14default_configENS1_20scan_config_selectorItEEZZNS1_9scan_implILNS1_25lookback_scan_determinismE0ELb0ELb0ES3_N6thrust23THRUST_200600_302600_NS6detail15normal_iteratorINS9_10device_ptrItEEEESE_t11max_functorItEtEEDaPvRmT3_T4_T5_mT6_P12ihipStream_tbENKUlT_T0_E_clISt17integral_constantIbLb0EEST_IbLb1EEEEDaSP_SQ_EUlSP_E0_NS1_11comp_targetILNS1_3genE2ELNS1_11target_archE906ELNS1_3gpuE6ELNS1_3repE0EEENS1_30default_config_static_selectorELNS0_4arch9wavefront6targetE1EEEvT1_
	.globl	_ZN7rocprim17ROCPRIM_400000_NS6detail17trampoline_kernelINS0_14default_configENS1_20scan_config_selectorItEEZZNS1_9scan_implILNS1_25lookback_scan_determinismE0ELb0ELb0ES3_N6thrust23THRUST_200600_302600_NS6detail15normal_iteratorINS9_10device_ptrItEEEESE_t11max_functorItEtEEDaPvRmT3_T4_T5_mT6_P12ihipStream_tbENKUlT_T0_E_clISt17integral_constantIbLb0EEST_IbLb1EEEEDaSP_SQ_EUlSP_E0_NS1_11comp_targetILNS1_3genE2ELNS1_11target_archE906ELNS1_3gpuE6ELNS1_3repE0EEENS1_30default_config_static_selectorELNS0_4arch9wavefront6targetE1EEEvT1_
	.p2align	8
	.type	_ZN7rocprim17ROCPRIM_400000_NS6detail17trampoline_kernelINS0_14default_configENS1_20scan_config_selectorItEEZZNS1_9scan_implILNS1_25lookback_scan_determinismE0ELb0ELb0ES3_N6thrust23THRUST_200600_302600_NS6detail15normal_iteratorINS9_10device_ptrItEEEESE_t11max_functorItEtEEDaPvRmT3_T4_T5_mT6_P12ihipStream_tbENKUlT_T0_E_clISt17integral_constantIbLb0EEST_IbLb1EEEEDaSP_SQ_EUlSP_E0_NS1_11comp_targetILNS1_3genE2ELNS1_11target_archE906ELNS1_3gpuE6ELNS1_3repE0EEENS1_30default_config_static_selectorELNS0_4arch9wavefront6targetE1EEEvT1_,@function
_ZN7rocprim17ROCPRIM_400000_NS6detail17trampoline_kernelINS0_14default_configENS1_20scan_config_selectorItEEZZNS1_9scan_implILNS1_25lookback_scan_determinismE0ELb0ELb0ES3_N6thrust23THRUST_200600_302600_NS6detail15normal_iteratorINS9_10device_ptrItEEEESE_t11max_functorItEtEEDaPvRmT3_T4_T5_mT6_P12ihipStream_tbENKUlT_T0_E_clISt17integral_constantIbLb0EEST_IbLb1EEEEDaSP_SQ_EUlSP_E0_NS1_11comp_targetILNS1_3genE2ELNS1_11target_archE906ELNS1_3gpuE6ELNS1_3repE0EEENS1_30default_config_static_selectorELNS0_4arch9wavefront6targetE1EEEvT1_: ; @_ZN7rocprim17ROCPRIM_400000_NS6detail17trampoline_kernelINS0_14default_configENS1_20scan_config_selectorItEEZZNS1_9scan_implILNS1_25lookback_scan_determinismE0ELb0ELb0ES3_N6thrust23THRUST_200600_302600_NS6detail15normal_iteratorINS9_10device_ptrItEEEESE_t11max_functorItEtEEDaPvRmT3_T4_T5_mT6_P12ihipStream_tbENKUlT_T0_E_clISt17integral_constantIbLb0EEST_IbLb1EEEEDaSP_SQ_EUlSP_E0_NS1_11comp_targetILNS1_3genE2ELNS1_11target_archE906ELNS1_3gpuE6ELNS1_3repE0EEENS1_30default_config_static_selectorELNS0_4arch9wavefront6targetE1EEEvT1_
; %bb.0:
	.section	.rodata,"a",@progbits
	.p2align	6, 0x0
	.amdhsa_kernel _ZN7rocprim17ROCPRIM_400000_NS6detail17trampoline_kernelINS0_14default_configENS1_20scan_config_selectorItEEZZNS1_9scan_implILNS1_25lookback_scan_determinismE0ELb0ELb0ES3_N6thrust23THRUST_200600_302600_NS6detail15normal_iteratorINS9_10device_ptrItEEEESE_t11max_functorItEtEEDaPvRmT3_T4_T5_mT6_P12ihipStream_tbENKUlT_T0_E_clISt17integral_constantIbLb0EEST_IbLb1EEEEDaSP_SQ_EUlSP_E0_NS1_11comp_targetILNS1_3genE2ELNS1_11target_archE906ELNS1_3gpuE6ELNS1_3repE0EEENS1_30default_config_static_selectorELNS0_4arch9wavefront6targetE1EEEvT1_
		.amdhsa_group_segment_fixed_size 0
		.amdhsa_private_segment_fixed_size 0
		.amdhsa_kernarg_size 32
		.amdhsa_user_sgpr_count 6
		.amdhsa_user_sgpr_private_segment_buffer 1
		.amdhsa_user_sgpr_dispatch_ptr 0
		.amdhsa_user_sgpr_queue_ptr 0
		.amdhsa_user_sgpr_kernarg_segment_ptr 1
		.amdhsa_user_sgpr_dispatch_id 0
		.amdhsa_user_sgpr_flat_scratch_init 0
		.amdhsa_user_sgpr_kernarg_preload_length 0
		.amdhsa_user_sgpr_kernarg_preload_offset 0
		.amdhsa_user_sgpr_private_segment_size 0
		.amdhsa_uses_dynamic_stack 0
		.amdhsa_system_sgpr_private_segment_wavefront_offset 0
		.amdhsa_system_sgpr_workgroup_id_x 1
		.amdhsa_system_sgpr_workgroup_id_y 0
		.amdhsa_system_sgpr_workgroup_id_z 0
		.amdhsa_system_sgpr_workgroup_info 0
		.amdhsa_system_vgpr_workitem_id 0
		.amdhsa_next_free_vgpr 1
		.amdhsa_next_free_sgpr 0
		.amdhsa_accum_offset 4
		.amdhsa_reserve_vcc 0
		.amdhsa_reserve_flat_scratch 0
		.amdhsa_float_round_mode_32 0
		.amdhsa_float_round_mode_16_64 0
		.amdhsa_float_denorm_mode_32 3
		.amdhsa_float_denorm_mode_16_64 3
		.amdhsa_dx10_clamp 1
		.amdhsa_ieee_mode 1
		.amdhsa_fp16_overflow 0
		.amdhsa_tg_split 0
		.amdhsa_exception_fp_ieee_invalid_op 0
		.amdhsa_exception_fp_denorm_src 0
		.amdhsa_exception_fp_ieee_div_zero 0
		.amdhsa_exception_fp_ieee_overflow 0
		.amdhsa_exception_fp_ieee_underflow 0
		.amdhsa_exception_fp_ieee_inexact 0
		.amdhsa_exception_int_div_zero 0
	.end_amdhsa_kernel
	.section	.text._ZN7rocprim17ROCPRIM_400000_NS6detail17trampoline_kernelINS0_14default_configENS1_20scan_config_selectorItEEZZNS1_9scan_implILNS1_25lookback_scan_determinismE0ELb0ELb0ES3_N6thrust23THRUST_200600_302600_NS6detail15normal_iteratorINS9_10device_ptrItEEEESE_t11max_functorItEtEEDaPvRmT3_T4_T5_mT6_P12ihipStream_tbENKUlT_T0_E_clISt17integral_constantIbLb0EEST_IbLb1EEEEDaSP_SQ_EUlSP_E0_NS1_11comp_targetILNS1_3genE2ELNS1_11target_archE906ELNS1_3gpuE6ELNS1_3repE0EEENS1_30default_config_static_selectorELNS0_4arch9wavefront6targetE1EEEvT1_,"axG",@progbits,_ZN7rocprim17ROCPRIM_400000_NS6detail17trampoline_kernelINS0_14default_configENS1_20scan_config_selectorItEEZZNS1_9scan_implILNS1_25lookback_scan_determinismE0ELb0ELb0ES3_N6thrust23THRUST_200600_302600_NS6detail15normal_iteratorINS9_10device_ptrItEEEESE_t11max_functorItEtEEDaPvRmT3_T4_T5_mT6_P12ihipStream_tbENKUlT_T0_E_clISt17integral_constantIbLb0EEST_IbLb1EEEEDaSP_SQ_EUlSP_E0_NS1_11comp_targetILNS1_3genE2ELNS1_11target_archE906ELNS1_3gpuE6ELNS1_3repE0EEENS1_30default_config_static_selectorELNS0_4arch9wavefront6targetE1EEEvT1_,comdat
.Lfunc_end2481:
	.size	_ZN7rocprim17ROCPRIM_400000_NS6detail17trampoline_kernelINS0_14default_configENS1_20scan_config_selectorItEEZZNS1_9scan_implILNS1_25lookback_scan_determinismE0ELb0ELb0ES3_N6thrust23THRUST_200600_302600_NS6detail15normal_iteratorINS9_10device_ptrItEEEESE_t11max_functorItEtEEDaPvRmT3_T4_T5_mT6_P12ihipStream_tbENKUlT_T0_E_clISt17integral_constantIbLb0EEST_IbLb1EEEEDaSP_SQ_EUlSP_E0_NS1_11comp_targetILNS1_3genE2ELNS1_11target_archE906ELNS1_3gpuE6ELNS1_3repE0EEENS1_30default_config_static_selectorELNS0_4arch9wavefront6targetE1EEEvT1_, .Lfunc_end2481-_ZN7rocprim17ROCPRIM_400000_NS6detail17trampoline_kernelINS0_14default_configENS1_20scan_config_selectorItEEZZNS1_9scan_implILNS1_25lookback_scan_determinismE0ELb0ELb0ES3_N6thrust23THRUST_200600_302600_NS6detail15normal_iteratorINS9_10device_ptrItEEEESE_t11max_functorItEtEEDaPvRmT3_T4_T5_mT6_P12ihipStream_tbENKUlT_T0_E_clISt17integral_constantIbLb0EEST_IbLb1EEEEDaSP_SQ_EUlSP_E0_NS1_11comp_targetILNS1_3genE2ELNS1_11target_archE906ELNS1_3gpuE6ELNS1_3repE0EEENS1_30default_config_static_selectorELNS0_4arch9wavefront6targetE1EEEvT1_
                                        ; -- End function
	.section	.AMDGPU.csdata,"",@progbits
; Kernel info:
; codeLenInByte = 0
; NumSgprs: 4
; NumVgprs: 0
; NumAgprs: 0
; TotalNumVgprs: 0
; ScratchSize: 0
; MemoryBound: 0
; FloatMode: 240
; IeeeMode: 1
; LDSByteSize: 0 bytes/workgroup (compile time only)
; SGPRBlocks: 0
; VGPRBlocks: 0
; NumSGPRsForWavesPerEU: 4
; NumVGPRsForWavesPerEU: 1
; AccumOffset: 4
; Occupancy: 8
; WaveLimiterHint : 0
; COMPUTE_PGM_RSRC2:SCRATCH_EN: 0
; COMPUTE_PGM_RSRC2:USER_SGPR: 6
; COMPUTE_PGM_RSRC2:TRAP_HANDLER: 0
; COMPUTE_PGM_RSRC2:TGID_X_EN: 1
; COMPUTE_PGM_RSRC2:TGID_Y_EN: 0
; COMPUTE_PGM_RSRC2:TGID_Z_EN: 0
; COMPUTE_PGM_RSRC2:TIDIG_COMP_CNT: 0
; COMPUTE_PGM_RSRC3_GFX90A:ACCUM_OFFSET: 0
; COMPUTE_PGM_RSRC3_GFX90A:TG_SPLIT: 0
	.section	.text._ZN7rocprim17ROCPRIM_400000_NS6detail17trampoline_kernelINS0_14default_configENS1_20scan_config_selectorItEEZZNS1_9scan_implILNS1_25lookback_scan_determinismE0ELb0ELb0ES3_N6thrust23THRUST_200600_302600_NS6detail15normal_iteratorINS9_10device_ptrItEEEESE_t11max_functorItEtEEDaPvRmT3_T4_T5_mT6_P12ihipStream_tbENKUlT_T0_E_clISt17integral_constantIbLb0EEST_IbLb1EEEEDaSP_SQ_EUlSP_E0_NS1_11comp_targetILNS1_3genE10ELNS1_11target_archE1201ELNS1_3gpuE5ELNS1_3repE0EEENS1_30default_config_static_selectorELNS0_4arch9wavefront6targetE1EEEvT1_,"axG",@progbits,_ZN7rocprim17ROCPRIM_400000_NS6detail17trampoline_kernelINS0_14default_configENS1_20scan_config_selectorItEEZZNS1_9scan_implILNS1_25lookback_scan_determinismE0ELb0ELb0ES3_N6thrust23THRUST_200600_302600_NS6detail15normal_iteratorINS9_10device_ptrItEEEESE_t11max_functorItEtEEDaPvRmT3_T4_T5_mT6_P12ihipStream_tbENKUlT_T0_E_clISt17integral_constantIbLb0EEST_IbLb1EEEEDaSP_SQ_EUlSP_E0_NS1_11comp_targetILNS1_3genE10ELNS1_11target_archE1201ELNS1_3gpuE5ELNS1_3repE0EEENS1_30default_config_static_selectorELNS0_4arch9wavefront6targetE1EEEvT1_,comdat
	.protected	_ZN7rocprim17ROCPRIM_400000_NS6detail17trampoline_kernelINS0_14default_configENS1_20scan_config_selectorItEEZZNS1_9scan_implILNS1_25lookback_scan_determinismE0ELb0ELb0ES3_N6thrust23THRUST_200600_302600_NS6detail15normal_iteratorINS9_10device_ptrItEEEESE_t11max_functorItEtEEDaPvRmT3_T4_T5_mT6_P12ihipStream_tbENKUlT_T0_E_clISt17integral_constantIbLb0EEST_IbLb1EEEEDaSP_SQ_EUlSP_E0_NS1_11comp_targetILNS1_3genE10ELNS1_11target_archE1201ELNS1_3gpuE5ELNS1_3repE0EEENS1_30default_config_static_selectorELNS0_4arch9wavefront6targetE1EEEvT1_ ; -- Begin function _ZN7rocprim17ROCPRIM_400000_NS6detail17trampoline_kernelINS0_14default_configENS1_20scan_config_selectorItEEZZNS1_9scan_implILNS1_25lookback_scan_determinismE0ELb0ELb0ES3_N6thrust23THRUST_200600_302600_NS6detail15normal_iteratorINS9_10device_ptrItEEEESE_t11max_functorItEtEEDaPvRmT3_T4_T5_mT6_P12ihipStream_tbENKUlT_T0_E_clISt17integral_constantIbLb0EEST_IbLb1EEEEDaSP_SQ_EUlSP_E0_NS1_11comp_targetILNS1_3genE10ELNS1_11target_archE1201ELNS1_3gpuE5ELNS1_3repE0EEENS1_30default_config_static_selectorELNS0_4arch9wavefront6targetE1EEEvT1_
	.globl	_ZN7rocprim17ROCPRIM_400000_NS6detail17trampoline_kernelINS0_14default_configENS1_20scan_config_selectorItEEZZNS1_9scan_implILNS1_25lookback_scan_determinismE0ELb0ELb0ES3_N6thrust23THRUST_200600_302600_NS6detail15normal_iteratorINS9_10device_ptrItEEEESE_t11max_functorItEtEEDaPvRmT3_T4_T5_mT6_P12ihipStream_tbENKUlT_T0_E_clISt17integral_constantIbLb0EEST_IbLb1EEEEDaSP_SQ_EUlSP_E0_NS1_11comp_targetILNS1_3genE10ELNS1_11target_archE1201ELNS1_3gpuE5ELNS1_3repE0EEENS1_30default_config_static_selectorELNS0_4arch9wavefront6targetE1EEEvT1_
	.p2align	8
	.type	_ZN7rocprim17ROCPRIM_400000_NS6detail17trampoline_kernelINS0_14default_configENS1_20scan_config_selectorItEEZZNS1_9scan_implILNS1_25lookback_scan_determinismE0ELb0ELb0ES3_N6thrust23THRUST_200600_302600_NS6detail15normal_iteratorINS9_10device_ptrItEEEESE_t11max_functorItEtEEDaPvRmT3_T4_T5_mT6_P12ihipStream_tbENKUlT_T0_E_clISt17integral_constantIbLb0EEST_IbLb1EEEEDaSP_SQ_EUlSP_E0_NS1_11comp_targetILNS1_3genE10ELNS1_11target_archE1201ELNS1_3gpuE5ELNS1_3repE0EEENS1_30default_config_static_selectorELNS0_4arch9wavefront6targetE1EEEvT1_,@function
_ZN7rocprim17ROCPRIM_400000_NS6detail17trampoline_kernelINS0_14default_configENS1_20scan_config_selectorItEEZZNS1_9scan_implILNS1_25lookback_scan_determinismE0ELb0ELb0ES3_N6thrust23THRUST_200600_302600_NS6detail15normal_iteratorINS9_10device_ptrItEEEESE_t11max_functorItEtEEDaPvRmT3_T4_T5_mT6_P12ihipStream_tbENKUlT_T0_E_clISt17integral_constantIbLb0EEST_IbLb1EEEEDaSP_SQ_EUlSP_E0_NS1_11comp_targetILNS1_3genE10ELNS1_11target_archE1201ELNS1_3gpuE5ELNS1_3repE0EEENS1_30default_config_static_selectorELNS0_4arch9wavefront6targetE1EEEvT1_: ; @_ZN7rocprim17ROCPRIM_400000_NS6detail17trampoline_kernelINS0_14default_configENS1_20scan_config_selectorItEEZZNS1_9scan_implILNS1_25lookback_scan_determinismE0ELb0ELb0ES3_N6thrust23THRUST_200600_302600_NS6detail15normal_iteratorINS9_10device_ptrItEEEESE_t11max_functorItEtEEDaPvRmT3_T4_T5_mT6_P12ihipStream_tbENKUlT_T0_E_clISt17integral_constantIbLb0EEST_IbLb1EEEEDaSP_SQ_EUlSP_E0_NS1_11comp_targetILNS1_3genE10ELNS1_11target_archE1201ELNS1_3gpuE5ELNS1_3repE0EEENS1_30default_config_static_selectorELNS0_4arch9wavefront6targetE1EEEvT1_
; %bb.0:
	.section	.rodata,"a",@progbits
	.p2align	6, 0x0
	.amdhsa_kernel _ZN7rocprim17ROCPRIM_400000_NS6detail17trampoline_kernelINS0_14default_configENS1_20scan_config_selectorItEEZZNS1_9scan_implILNS1_25lookback_scan_determinismE0ELb0ELb0ES3_N6thrust23THRUST_200600_302600_NS6detail15normal_iteratorINS9_10device_ptrItEEEESE_t11max_functorItEtEEDaPvRmT3_T4_T5_mT6_P12ihipStream_tbENKUlT_T0_E_clISt17integral_constantIbLb0EEST_IbLb1EEEEDaSP_SQ_EUlSP_E0_NS1_11comp_targetILNS1_3genE10ELNS1_11target_archE1201ELNS1_3gpuE5ELNS1_3repE0EEENS1_30default_config_static_selectorELNS0_4arch9wavefront6targetE1EEEvT1_
		.amdhsa_group_segment_fixed_size 0
		.amdhsa_private_segment_fixed_size 0
		.amdhsa_kernarg_size 32
		.amdhsa_user_sgpr_count 6
		.amdhsa_user_sgpr_private_segment_buffer 1
		.amdhsa_user_sgpr_dispatch_ptr 0
		.amdhsa_user_sgpr_queue_ptr 0
		.amdhsa_user_sgpr_kernarg_segment_ptr 1
		.amdhsa_user_sgpr_dispatch_id 0
		.amdhsa_user_sgpr_flat_scratch_init 0
		.amdhsa_user_sgpr_kernarg_preload_length 0
		.amdhsa_user_sgpr_kernarg_preload_offset 0
		.amdhsa_user_sgpr_private_segment_size 0
		.amdhsa_uses_dynamic_stack 0
		.amdhsa_system_sgpr_private_segment_wavefront_offset 0
		.amdhsa_system_sgpr_workgroup_id_x 1
		.amdhsa_system_sgpr_workgroup_id_y 0
		.amdhsa_system_sgpr_workgroup_id_z 0
		.amdhsa_system_sgpr_workgroup_info 0
		.amdhsa_system_vgpr_workitem_id 0
		.amdhsa_next_free_vgpr 1
		.amdhsa_next_free_sgpr 0
		.amdhsa_accum_offset 4
		.amdhsa_reserve_vcc 0
		.amdhsa_reserve_flat_scratch 0
		.amdhsa_float_round_mode_32 0
		.amdhsa_float_round_mode_16_64 0
		.amdhsa_float_denorm_mode_32 3
		.amdhsa_float_denorm_mode_16_64 3
		.amdhsa_dx10_clamp 1
		.amdhsa_ieee_mode 1
		.amdhsa_fp16_overflow 0
		.amdhsa_tg_split 0
		.amdhsa_exception_fp_ieee_invalid_op 0
		.amdhsa_exception_fp_denorm_src 0
		.amdhsa_exception_fp_ieee_div_zero 0
		.amdhsa_exception_fp_ieee_overflow 0
		.amdhsa_exception_fp_ieee_underflow 0
		.amdhsa_exception_fp_ieee_inexact 0
		.amdhsa_exception_int_div_zero 0
	.end_amdhsa_kernel
	.section	.text._ZN7rocprim17ROCPRIM_400000_NS6detail17trampoline_kernelINS0_14default_configENS1_20scan_config_selectorItEEZZNS1_9scan_implILNS1_25lookback_scan_determinismE0ELb0ELb0ES3_N6thrust23THRUST_200600_302600_NS6detail15normal_iteratorINS9_10device_ptrItEEEESE_t11max_functorItEtEEDaPvRmT3_T4_T5_mT6_P12ihipStream_tbENKUlT_T0_E_clISt17integral_constantIbLb0EEST_IbLb1EEEEDaSP_SQ_EUlSP_E0_NS1_11comp_targetILNS1_3genE10ELNS1_11target_archE1201ELNS1_3gpuE5ELNS1_3repE0EEENS1_30default_config_static_selectorELNS0_4arch9wavefront6targetE1EEEvT1_,"axG",@progbits,_ZN7rocprim17ROCPRIM_400000_NS6detail17trampoline_kernelINS0_14default_configENS1_20scan_config_selectorItEEZZNS1_9scan_implILNS1_25lookback_scan_determinismE0ELb0ELb0ES3_N6thrust23THRUST_200600_302600_NS6detail15normal_iteratorINS9_10device_ptrItEEEESE_t11max_functorItEtEEDaPvRmT3_T4_T5_mT6_P12ihipStream_tbENKUlT_T0_E_clISt17integral_constantIbLb0EEST_IbLb1EEEEDaSP_SQ_EUlSP_E0_NS1_11comp_targetILNS1_3genE10ELNS1_11target_archE1201ELNS1_3gpuE5ELNS1_3repE0EEENS1_30default_config_static_selectorELNS0_4arch9wavefront6targetE1EEEvT1_,comdat
.Lfunc_end2482:
	.size	_ZN7rocprim17ROCPRIM_400000_NS6detail17trampoline_kernelINS0_14default_configENS1_20scan_config_selectorItEEZZNS1_9scan_implILNS1_25lookback_scan_determinismE0ELb0ELb0ES3_N6thrust23THRUST_200600_302600_NS6detail15normal_iteratorINS9_10device_ptrItEEEESE_t11max_functorItEtEEDaPvRmT3_T4_T5_mT6_P12ihipStream_tbENKUlT_T0_E_clISt17integral_constantIbLb0EEST_IbLb1EEEEDaSP_SQ_EUlSP_E0_NS1_11comp_targetILNS1_3genE10ELNS1_11target_archE1201ELNS1_3gpuE5ELNS1_3repE0EEENS1_30default_config_static_selectorELNS0_4arch9wavefront6targetE1EEEvT1_, .Lfunc_end2482-_ZN7rocprim17ROCPRIM_400000_NS6detail17trampoline_kernelINS0_14default_configENS1_20scan_config_selectorItEEZZNS1_9scan_implILNS1_25lookback_scan_determinismE0ELb0ELb0ES3_N6thrust23THRUST_200600_302600_NS6detail15normal_iteratorINS9_10device_ptrItEEEESE_t11max_functorItEtEEDaPvRmT3_T4_T5_mT6_P12ihipStream_tbENKUlT_T0_E_clISt17integral_constantIbLb0EEST_IbLb1EEEEDaSP_SQ_EUlSP_E0_NS1_11comp_targetILNS1_3genE10ELNS1_11target_archE1201ELNS1_3gpuE5ELNS1_3repE0EEENS1_30default_config_static_selectorELNS0_4arch9wavefront6targetE1EEEvT1_
                                        ; -- End function
	.section	.AMDGPU.csdata,"",@progbits
; Kernel info:
; codeLenInByte = 0
; NumSgprs: 4
; NumVgprs: 0
; NumAgprs: 0
; TotalNumVgprs: 0
; ScratchSize: 0
; MemoryBound: 0
; FloatMode: 240
; IeeeMode: 1
; LDSByteSize: 0 bytes/workgroup (compile time only)
; SGPRBlocks: 0
; VGPRBlocks: 0
; NumSGPRsForWavesPerEU: 4
; NumVGPRsForWavesPerEU: 1
; AccumOffset: 4
; Occupancy: 8
; WaveLimiterHint : 0
; COMPUTE_PGM_RSRC2:SCRATCH_EN: 0
; COMPUTE_PGM_RSRC2:USER_SGPR: 6
; COMPUTE_PGM_RSRC2:TRAP_HANDLER: 0
; COMPUTE_PGM_RSRC2:TGID_X_EN: 1
; COMPUTE_PGM_RSRC2:TGID_Y_EN: 0
; COMPUTE_PGM_RSRC2:TGID_Z_EN: 0
; COMPUTE_PGM_RSRC2:TIDIG_COMP_CNT: 0
; COMPUTE_PGM_RSRC3_GFX90A:ACCUM_OFFSET: 0
; COMPUTE_PGM_RSRC3_GFX90A:TG_SPLIT: 0
	.section	.text._ZN7rocprim17ROCPRIM_400000_NS6detail17trampoline_kernelINS0_14default_configENS1_20scan_config_selectorItEEZZNS1_9scan_implILNS1_25lookback_scan_determinismE0ELb0ELb0ES3_N6thrust23THRUST_200600_302600_NS6detail15normal_iteratorINS9_10device_ptrItEEEESE_t11max_functorItEtEEDaPvRmT3_T4_T5_mT6_P12ihipStream_tbENKUlT_T0_E_clISt17integral_constantIbLb0EEST_IbLb1EEEEDaSP_SQ_EUlSP_E0_NS1_11comp_targetILNS1_3genE10ELNS1_11target_archE1200ELNS1_3gpuE4ELNS1_3repE0EEENS1_30default_config_static_selectorELNS0_4arch9wavefront6targetE1EEEvT1_,"axG",@progbits,_ZN7rocprim17ROCPRIM_400000_NS6detail17trampoline_kernelINS0_14default_configENS1_20scan_config_selectorItEEZZNS1_9scan_implILNS1_25lookback_scan_determinismE0ELb0ELb0ES3_N6thrust23THRUST_200600_302600_NS6detail15normal_iteratorINS9_10device_ptrItEEEESE_t11max_functorItEtEEDaPvRmT3_T4_T5_mT6_P12ihipStream_tbENKUlT_T0_E_clISt17integral_constantIbLb0EEST_IbLb1EEEEDaSP_SQ_EUlSP_E0_NS1_11comp_targetILNS1_3genE10ELNS1_11target_archE1200ELNS1_3gpuE4ELNS1_3repE0EEENS1_30default_config_static_selectorELNS0_4arch9wavefront6targetE1EEEvT1_,comdat
	.protected	_ZN7rocprim17ROCPRIM_400000_NS6detail17trampoline_kernelINS0_14default_configENS1_20scan_config_selectorItEEZZNS1_9scan_implILNS1_25lookback_scan_determinismE0ELb0ELb0ES3_N6thrust23THRUST_200600_302600_NS6detail15normal_iteratorINS9_10device_ptrItEEEESE_t11max_functorItEtEEDaPvRmT3_T4_T5_mT6_P12ihipStream_tbENKUlT_T0_E_clISt17integral_constantIbLb0EEST_IbLb1EEEEDaSP_SQ_EUlSP_E0_NS1_11comp_targetILNS1_3genE10ELNS1_11target_archE1200ELNS1_3gpuE4ELNS1_3repE0EEENS1_30default_config_static_selectorELNS0_4arch9wavefront6targetE1EEEvT1_ ; -- Begin function _ZN7rocprim17ROCPRIM_400000_NS6detail17trampoline_kernelINS0_14default_configENS1_20scan_config_selectorItEEZZNS1_9scan_implILNS1_25lookback_scan_determinismE0ELb0ELb0ES3_N6thrust23THRUST_200600_302600_NS6detail15normal_iteratorINS9_10device_ptrItEEEESE_t11max_functorItEtEEDaPvRmT3_T4_T5_mT6_P12ihipStream_tbENKUlT_T0_E_clISt17integral_constantIbLb0EEST_IbLb1EEEEDaSP_SQ_EUlSP_E0_NS1_11comp_targetILNS1_3genE10ELNS1_11target_archE1200ELNS1_3gpuE4ELNS1_3repE0EEENS1_30default_config_static_selectorELNS0_4arch9wavefront6targetE1EEEvT1_
	.globl	_ZN7rocprim17ROCPRIM_400000_NS6detail17trampoline_kernelINS0_14default_configENS1_20scan_config_selectorItEEZZNS1_9scan_implILNS1_25lookback_scan_determinismE0ELb0ELb0ES3_N6thrust23THRUST_200600_302600_NS6detail15normal_iteratorINS9_10device_ptrItEEEESE_t11max_functorItEtEEDaPvRmT3_T4_T5_mT6_P12ihipStream_tbENKUlT_T0_E_clISt17integral_constantIbLb0EEST_IbLb1EEEEDaSP_SQ_EUlSP_E0_NS1_11comp_targetILNS1_3genE10ELNS1_11target_archE1200ELNS1_3gpuE4ELNS1_3repE0EEENS1_30default_config_static_selectorELNS0_4arch9wavefront6targetE1EEEvT1_
	.p2align	8
	.type	_ZN7rocprim17ROCPRIM_400000_NS6detail17trampoline_kernelINS0_14default_configENS1_20scan_config_selectorItEEZZNS1_9scan_implILNS1_25lookback_scan_determinismE0ELb0ELb0ES3_N6thrust23THRUST_200600_302600_NS6detail15normal_iteratorINS9_10device_ptrItEEEESE_t11max_functorItEtEEDaPvRmT3_T4_T5_mT6_P12ihipStream_tbENKUlT_T0_E_clISt17integral_constantIbLb0EEST_IbLb1EEEEDaSP_SQ_EUlSP_E0_NS1_11comp_targetILNS1_3genE10ELNS1_11target_archE1200ELNS1_3gpuE4ELNS1_3repE0EEENS1_30default_config_static_selectorELNS0_4arch9wavefront6targetE1EEEvT1_,@function
_ZN7rocprim17ROCPRIM_400000_NS6detail17trampoline_kernelINS0_14default_configENS1_20scan_config_selectorItEEZZNS1_9scan_implILNS1_25lookback_scan_determinismE0ELb0ELb0ES3_N6thrust23THRUST_200600_302600_NS6detail15normal_iteratorINS9_10device_ptrItEEEESE_t11max_functorItEtEEDaPvRmT3_T4_T5_mT6_P12ihipStream_tbENKUlT_T0_E_clISt17integral_constantIbLb0EEST_IbLb1EEEEDaSP_SQ_EUlSP_E0_NS1_11comp_targetILNS1_3genE10ELNS1_11target_archE1200ELNS1_3gpuE4ELNS1_3repE0EEENS1_30default_config_static_selectorELNS0_4arch9wavefront6targetE1EEEvT1_: ; @_ZN7rocprim17ROCPRIM_400000_NS6detail17trampoline_kernelINS0_14default_configENS1_20scan_config_selectorItEEZZNS1_9scan_implILNS1_25lookback_scan_determinismE0ELb0ELb0ES3_N6thrust23THRUST_200600_302600_NS6detail15normal_iteratorINS9_10device_ptrItEEEESE_t11max_functorItEtEEDaPvRmT3_T4_T5_mT6_P12ihipStream_tbENKUlT_T0_E_clISt17integral_constantIbLb0EEST_IbLb1EEEEDaSP_SQ_EUlSP_E0_NS1_11comp_targetILNS1_3genE10ELNS1_11target_archE1200ELNS1_3gpuE4ELNS1_3repE0EEENS1_30default_config_static_selectorELNS0_4arch9wavefront6targetE1EEEvT1_
; %bb.0:
	.section	.rodata,"a",@progbits
	.p2align	6, 0x0
	.amdhsa_kernel _ZN7rocprim17ROCPRIM_400000_NS6detail17trampoline_kernelINS0_14default_configENS1_20scan_config_selectorItEEZZNS1_9scan_implILNS1_25lookback_scan_determinismE0ELb0ELb0ES3_N6thrust23THRUST_200600_302600_NS6detail15normal_iteratorINS9_10device_ptrItEEEESE_t11max_functorItEtEEDaPvRmT3_T4_T5_mT6_P12ihipStream_tbENKUlT_T0_E_clISt17integral_constantIbLb0EEST_IbLb1EEEEDaSP_SQ_EUlSP_E0_NS1_11comp_targetILNS1_3genE10ELNS1_11target_archE1200ELNS1_3gpuE4ELNS1_3repE0EEENS1_30default_config_static_selectorELNS0_4arch9wavefront6targetE1EEEvT1_
		.amdhsa_group_segment_fixed_size 0
		.amdhsa_private_segment_fixed_size 0
		.amdhsa_kernarg_size 32
		.amdhsa_user_sgpr_count 6
		.amdhsa_user_sgpr_private_segment_buffer 1
		.amdhsa_user_sgpr_dispatch_ptr 0
		.amdhsa_user_sgpr_queue_ptr 0
		.amdhsa_user_sgpr_kernarg_segment_ptr 1
		.amdhsa_user_sgpr_dispatch_id 0
		.amdhsa_user_sgpr_flat_scratch_init 0
		.amdhsa_user_sgpr_kernarg_preload_length 0
		.amdhsa_user_sgpr_kernarg_preload_offset 0
		.amdhsa_user_sgpr_private_segment_size 0
		.amdhsa_uses_dynamic_stack 0
		.amdhsa_system_sgpr_private_segment_wavefront_offset 0
		.amdhsa_system_sgpr_workgroup_id_x 1
		.amdhsa_system_sgpr_workgroup_id_y 0
		.amdhsa_system_sgpr_workgroup_id_z 0
		.amdhsa_system_sgpr_workgroup_info 0
		.amdhsa_system_vgpr_workitem_id 0
		.amdhsa_next_free_vgpr 1
		.amdhsa_next_free_sgpr 0
		.amdhsa_accum_offset 4
		.amdhsa_reserve_vcc 0
		.amdhsa_reserve_flat_scratch 0
		.amdhsa_float_round_mode_32 0
		.amdhsa_float_round_mode_16_64 0
		.amdhsa_float_denorm_mode_32 3
		.amdhsa_float_denorm_mode_16_64 3
		.amdhsa_dx10_clamp 1
		.amdhsa_ieee_mode 1
		.amdhsa_fp16_overflow 0
		.amdhsa_tg_split 0
		.amdhsa_exception_fp_ieee_invalid_op 0
		.amdhsa_exception_fp_denorm_src 0
		.amdhsa_exception_fp_ieee_div_zero 0
		.amdhsa_exception_fp_ieee_overflow 0
		.amdhsa_exception_fp_ieee_underflow 0
		.amdhsa_exception_fp_ieee_inexact 0
		.amdhsa_exception_int_div_zero 0
	.end_amdhsa_kernel
	.section	.text._ZN7rocprim17ROCPRIM_400000_NS6detail17trampoline_kernelINS0_14default_configENS1_20scan_config_selectorItEEZZNS1_9scan_implILNS1_25lookback_scan_determinismE0ELb0ELb0ES3_N6thrust23THRUST_200600_302600_NS6detail15normal_iteratorINS9_10device_ptrItEEEESE_t11max_functorItEtEEDaPvRmT3_T4_T5_mT6_P12ihipStream_tbENKUlT_T0_E_clISt17integral_constantIbLb0EEST_IbLb1EEEEDaSP_SQ_EUlSP_E0_NS1_11comp_targetILNS1_3genE10ELNS1_11target_archE1200ELNS1_3gpuE4ELNS1_3repE0EEENS1_30default_config_static_selectorELNS0_4arch9wavefront6targetE1EEEvT1_,"axG",@progbits,_ZN7rocprim17ROCPRIM_400000_NS6detail17trampoline_kernelINS0_14default_configENS1_20scan_config_selectorItEEZZNS1_9scan_implILNS1_25lookback_scan_determinismE0ELb0ELb0ES3_N6thrust23THRUST_200600_302600_NS6detail15normal_iteratorINS9_10device_ptrItEEEESE_t11max_functorItEtEEDaPvRmT3_T4_T5_mT6_P12ihipStream_tbENKUlT_T0_E_clISt17integral_constantIbLb0EEST_IbLb1EEEEDaSP_SQ_EUlSP_E0_NS1_11comp_targetILNS1_3genE10ELNS1_11target_archE1200ELNS1_3gpuE4ELNS1_3repE0EEENS1_30default_config_static_selectorELNS0_4arch9wavefront6targetE1EEEvT1_,comdat
.Lfunc_end2483:
	.size	_ZN7rocprim17ROCPRIM_400000_NS6detail17trampoline_kernelINS0_14default_configENS1_20scan_config_selectorItEEZZNS1_9scan_implILNS1_25lookback_scan_determinismE0ELb0ELb0ES3_N6thrust23THRUST_200600_302600_NS6detail15normal_iteratorINS9_10device_ptrItEEEESE_t11max_functorItEtEEDaPvRmT3_T4_T5_mT6_P12ihipStream_tbENKUlT_T0_E_clISt17integral_constantIbLb0EEST_IbLb1EEEEDaSP_SQ_EUlSP_E0_NS1_11comp_targetILNS1_3genE10ELNS1_11target_archE1200ELNS1_3gpuE4ELNS1_3repE0EEENS1_30default_config_static_selectorELNS0_4arch9wavefront6targetE1EEEvT1_, .Lfunc_end2483-_ZN7rocprim17ROCPRIM_400000_NS6detail17trampoline_kernelINS0_14default_configENS1_20scan_config_selectorItEEZZNS1_9scan_implILNS1_25lookback_scan_determinismE0ELb0ELb0ES3_N6thrust23THRUST_200600_302600_NS6detail15normal_iteratorINS9_10device_ptrItEEEESE_t11max_functorItEtEEDaPvRmT3_T4_T5_mT6_P12ihipStream_tbENKUlT_T0_E_clISt17integral_constantIbLb0EEST_IbLb1EEEEDaSP_SQ_EUlSP_E0_NS1_11comp_targetILNS1_3genE10ELNS1_11target_archE1200ELNS1_3gpuE4ELNS1_3repE0EEENS1_30default_config_static_selectorELNS0_4arch9wavefront6targetE1EEEvT1_
                                        ; -- End function
	.section	.AMDGPU.csdata,"",@progbits
; Kernel info:
; codeLenInByte = 0
; NumSgprs: 4
; NumVgprs: 0
; NumAgprs: 0
; TotalNumVgprs: 0
; ScratchSize: 0
; MemoryBound: 0
; FloatMode: 240
; IeeeMode: 1
; LDSByteSize: 0 bytes/workgroup (compile time only)
; SGPRBlocks: 0
; VGPRBlocks: 0
; NumSGPRsForWavesPerEU: 4
; NumVGPRsForWavesPerEU: 1
; AccumOffset: 4
; Occupancy: 8
; WaveLimiterHint : 0
; COMPUTE_PGM_RSRC2:SCRATCH_EN: 0
; COMPUTE_PGM_RSRC2:USER_SGPR: 6
; COMPUTE_PGM_RSRC2:TRAP_HANDLER: 0
; COMPUTE_PGM_RSRC2:TGID_X_EN: 1
; COMPUTE_PGM_RSRC2:TGID_Y_EN: 0
; COMPUTE_PGM_RSRC2:TGID_Z_EN: 0
; COMPUTE_PGM_RSRC2:TIDIG_COMP_CNT: 0
; COMPUTE_PGM_RSRC3_GFX90A:ACCUM_OFFSET: 0
; COMPUTE_PGM_RSRC3_GFX90A:TG_SPLIT: 0
	.section	.text._ZN7rocprim17ROCPRIM_400000_NS6detail17trampoline_kernelINS0_14default_configENS1_20scan_config_selectorItEEZZNS1_9scan_implILNS1_25lookback_scan_determinismE0ELb0ELb0ES3_N6thrust23THRUST_200600_302600_NS6detail15normal_iteratorINS9_10device_ptrItEEEESE_t11max_functorItEtEEDaPvRmT3_T4_T5_mT6_P12ihipStream_tbENKUlT_T0_E_clISt17integral_constantIbLb0EEST_IbLb1EEEEDaSP_SQ_EUlSP_E0_NS1_11comp_targetILNS1_3genE9ELNS1_11target_archE1100ELNS1_3gpuE3ELNS1_3repE0EEENS1_30default_config_static_selectorELNS0_4arch9wavefront6targetE1EEEvT1_,"axG",@progbits,_ZN7rocprim17ROCPRIM_400000_NS6detail17trampoline_kernelINS0_14default_configENS1_20scan_config_selectorItEEZZNS1_9scan_implILNS1_25lookback_scan_determinismE0ELb0ELb0ES3_N6thrust23THRUST_200600_302600_NS6detail15normal_iteratorINS9_10device_ptrItEEEESE_t11max_functorItEtEEDaPvRmT3_T4_T5_mT6_P12ihipStream_tbENKUlT_T0_E_clISt17integral_constantIbLb0EEST_IbLb1EEEEDaSP_SQ_EUlSP_E0_NS1_11comp_targetILNS1_3genE9ELNS1_11target_archE1100ELNS1_3gpuE3ELNS1_3repE0EEENS1_30default_config_static_selectorELNS0_4arch9wavefront6targetE1EEEvT1_,comdat
	.protected	_ZN7rocprim17ROCPRIM_400000_NS6detail17trampoline_kernelINS0_14default_configENS1_20scan_config_selectorItEEZZNS1_9scan_implILNS1_25lookback_scan_determinismE0ELb0ELb0ES3_N6thrust23THRUST_200600_302600_NS6detail15normal_iteratorINS9_10device_ptrItEEEESE_t11max_functorItEtEEDaPvRmT3_T4_T5_mT6_P12ihipStream_tbENKUlT_T0_E_clISt17integral_constantIbLb0EEST_IbLb1EEEEDaSP_SQ_EUlSP_E0_NS1_11comp_targetILNS1_3genE9ELNS1_11target_archE1100ELNS1_3gpuE3ELNS1_3repE0EEENS1_30default_config_static_selectorELNS0_4arch9wavefront6targetE1EEEvT1_ ; -- Begin function _ZN7rocprim17ROCPRIM_400000_NS6detail17trampoline_kernelINS0_14default_configENS1_20scan_config_selectorItEEZZNS1_9scan_implILNS1_25lookback_scan_determinismE0ELb0ELb0ES3_N6thrust23THRUST_200600_302600_NS6detail15normal_iteratorINS9_10device_ptrItEEEESE_t11max_functorItEtEEDaPvRmT3_T4_T5_mT6_P12ihipStream_tbENKUlT_T0_E_clISt17integral_constantIbLb0EEST_IbLb1EEEEDaSP_SQ_EUlSP_E0_NS1_11comp_targetILNS1_3genE9ELNS1_11target_archE1100ELNS1_3gpuE3ELNS1_3repE0EEENS1_30default_config_static_selectorELNS0_4arch9wavefront6targetE1EEEvT1_
	.globl	_ZN7rocprim17ROCPRIM_400000_NS6detail17trampoline_kernelINS0_14default_configENS1_20scan_config_selectorItEEZZNS1_9scan_implILNS1_25lookback_scan_determinismE0ELb0ELb0ES3_N6thrust23THRUST_200600_302600_NS6detail15normal_iteratorINS9_10device_ptrItEEEESE_t11max_functorItEtEEDaPvRmT3_T4_T5_mT6_P12ihipStream_tbENKUlT_T0_E_clISt17integral_constantIbLb0EEST_IbLb1EEEEDaSP_SQ_EUlSP_E0_NS1_11comp_targetILNS1_3genE9ELNS1_11target_archE1100ELNS1_3gpuE3ELNS1_3repE0EEENS1_30default_config_static_selectorELNS0_4arch9wavefront6targetE1EEEvT1_
	.p2align	8
	.type	_ZN7rocprim17ROCPRIM_400000_NS6detail17trampoline_kernelINS0_14default_configENS1_20scan_config_selectorItEEZZNS1_9scan_implILNS1_25lookback_scan_determinismE0ELb0ELb0ES3_N6thrust23THRUST_200600_302600_NS6detail15normal_iteratorINS9_10device_ptrItEEEESE_t11max_functorItEtEEDaPvRmT3_T4_T5_mT6_P12ihipStream_tbENKUlT_T0_E_clISt17integral_constantIbLb0EEST_IbLb1EEEEDaSP_SQ_EUlSP_E0_NS1_11comp_targetILNS1_3genE9ELNS1_11target_archE1100ELNS1_3gpuE3ELNS1_3repE0EEENS1_30default_config_static_selectorELNS0_4arch9wavefront6targetE1EEEvT1_,@function
_ZN7rocprim17ROCPRIM_400000_NS6detail17trampoline_kernelINS0_14default_configENS1_20scan_config_selectorItEEZZNS1_9scan_implILNS1_25lookback_scan_determinismE0ELb0ELb0ES3_N6thrust23THRUST_200600_302600_NS6detail15normal_iteratorINS9_10device_ptrItEEEESE_t11max_functorItEtEEDaPvRmT3_T4_T5_mT6_P12ihipStream_tbENKUlT_T0_E_clISt17integral_constantIbLb0EEST_IbLb1EEEEDaSP_SQ_EUlSP_E0_NS1_11comp_targetILNS1_3genE9ELNS1_11target_archE1100ELNS1_3gpuE3ELNS1_3repE0EEENS1_30default_config_static_selectorELNS0_4arch9wavefront6targetE1EEEvT1_: ; @_ZN7rocprim17ROCPRIM_400000_NS6detail17trampoline_kernelINS0_14default_configENS1_20scan_config_selectorItEEZZNS1_9scan_implILNS1_25lookback_scan_determinismE0ELb0ELb0ES3_N6thrust23THRUST_200600_302600_NS6detail15normal_iteratorINS9_10device_ptrItEEEESE_t11max_functorItEtEEDaPvRmT3_T4_T5_mT6_P12ihipStream_tbENKUlT_T0_E_clISt17integral_constantIbLb0EEST_IbLb1EEEEDaSP_SQ_EUlSP_E0_NS1_11comp_targetILNS1_3genE9ELNS1_11target_archE1100ELNS1_3gpuE3ELNS1_3repE0EEENS1_30default_config_static_selectorELNS0_4arch9wavefront6targetE1EEEvT1_
; %bb.0:
	.section	.rodata,"a",@progbits
	.p2align	6, 0x0
	.amdhsa_kernel _ZN7rocprim17ROCPRIM_400000_NS6detail17trampoline_kernelINS0_14default_configENS1_20scan_config_selectorItEEZZNS1_9scan_implILNS1_25lookback_scan_determinismE0ELb0ELb0ES3_N6thrust23THRUST_200600_302600_NS6detail15normal_iteratorINS9_10device_ptrItEEEESE_t11max_functorItEtEEDaPvRmT3_T4_T5_mT6_P12ihipStream_tbENKUlT_T0_E_clISt17integral_constantIbLb0EEST_IbLb1EEEEDaSP_SQ_EUlSP_E0_NS1_11comp_targetILNS1_3genE9ELNS1_11target_archE1100ELNS1_3gpuE3ELNS1_3repE0EEENS1_30default_config_static_selectorELNS0_4arch9wavefront6targetE1EEEvT1_
		.amdhsa_group_segment_fixed_size 0
		.amdhsa_private_segment_fixed_size 0
		.amdhsa_kernarg_size 32
		.amdhsa_user_sgpr_count 6
		.amdhsa_user_sgpr_private_segment_buffer 1
		.amdhsa_user_sgpr_dispatch_ptr 0
		.amdhsa_user_sgpr_queue_ptr 0
		.amdhsa_user_sgpr_kernarg_segment_ptr 1
		.amdhsa_user_sgpr_dispatch_id 0
		.amdhsa_user_sgpr_flat_scratch_init 0
		.amdhsa_user_sgpr_kernarg_preload_length 0
		.amdhsa_user_sgpr_kernarg_preload_offset 0
		.amdhsa_user_sgpr_private_segment_size 0
		.amdhsa_uses_dynamic_stack 0
		.amdhsa_system_sgpr_private_segment_wavefront_offset 0
		.amdhsa_system_sgpr_workgroup_id_x 1
		.amdhsa_system_sgpr_workgroup_id_y 0
		.amdhsa_system_sgpr_workgroup_id_z 0
		.amdhsa_system_sgpr_workgroup_info 0
		.amdhsa_system_vgpr_workitem_id 0
		.amdhsa_next_free_vgpr 1
		.amdhsa_next_free_sgpr 0
		.amdhsa_accum_offset 4
		.amdhsa_reserve_vcc 0
		.amdhsa_reserve_flat_scratch 0
		.amdhsa_float_round_mode_32 0
		.amdhsa_float_round_mode_16_64 0
		.amdhsa_float_denorm_mode_32 3
		.amdhsa_float_denorm_mode_16_64 3
		.amdhsa_dx10_clamp 1
		.amdhsa_ieee_mode 1
		.amdhsa_fp16_overflow 0
		.amdhsa_tg_split 0
		.amdhsa_exception_fp_ieee_invalid_op 0
		.amdhsa_exception_fp_denorm_src 0
		.amdhsa_exception_fp_ieee_div_zero 0
		.amdhsa_exception_fp_ieee_overflow 0
		.amdhsa_exception_fp_ieee_underflow 0
		.amdhsa_exception_fp_ieee_inexact 0
		.amdhsa_exception_int_div_zero 0
	.end_amdhsa_kernel
	.section	.text._ZN7rocprim17ROCPRIM_400000_NS6detail17trampoline_kernelINS0_14default_configENS1_20scan_config_selectorItEEZZNS1_9scan_implILNS1_25lookback_scan_determinismE0ELb0ELb0ES3_N6thrust23THRUST_200600_302600_NS6detail15normal_iteratorINS9_10device_ptrItEEEESE_t11max_functorItEtEEDaPvRmT3_T4_T5_mT6_P12ihipStream_tbENKUlT_T0_E_clISt17integral_constantIbLb0EEST_IbLb1EEEEDaSP_SQ_EUlSP_E0_NS1_11comp_targetILNS1_3genE9ELNS1_11target_archE1100ELNS1_3gpuE3ELNS1_3repE0EEENS1_30default_config_static_selectorELNS0_4arch9wavefront6targetE1EEEvT1_,"axG",@progbits,_ZN7rocprim17ROCPRIM_400000_NS6detail17trampoline_kernelINS0_14default_configENS1_20scan_config_selectorItEEZZNS1_9scan_implILNS1_25lookback_scan_determinismE0ELb0ELb0ES3_N6thrust23THRUST_200600_302600_NS6detail15normal_iteratorINS9_10device_ptrItEEEESE_t11max_functorItEtEEDaPvRmT3_T4_T5_mT6_P12ihipStream_tbENKUlT_T0_E_clISt17integral_constantIbLb0EEST_IbLb1EEEEDaSP_SQ_EUlSP_E0_NS1_11comp_targetILNS1_3genE9ELNS1_11target_archE1100ELNS1_3gpuE3ELNS1_3repE0EEENS1_30default_config_static_selectorELNS0_4arch9wavefront6targetE1EEEvT1_,comdat
.Lfunc_end2484:
	.size	_ZN7rocprim17ROCPRIM_400000_NS6detail17trampoline_kernelINS0_14default_configENS1_20scan_config_selectorItEEZZNS1_9scan_implILNS1_25lookback_scan_determinismE0ELb0ELb0ES3_N6thrust23THRUST_200600_302600_NS6detail15normal_iteratorINS9_10device_ptrItEEEESE_t11max_functorItEtEEDaPvRmT3_T4_T5_mT6_P12ihipStream_tbENKUlT_T0_E_clISt17integral_constantIbLb0EEST_IbLb1EEEEDaSP_SQ_EUlSP_E0_NS1_11comp_targetILNS1_3genE9ELNS1_11target_archE1100ELNS1_3gpuE3ELNS1_3repE0EEENS1_30default_config_static_selectorELNS0_4arch9wavefront6targetE1EEEvT1_, .Lfunc_end2484-_ZN7rocprim17ROCPRIM_400000_NS6detail17trampoline_kernelINS0_14default_configENS1_20scan_config_selectorItEEZZNS1_9scan_implILNS1_25lookback_scan_determinismE0ELb0ELb0ES3_N6thrust23THRUST_200600_302600_NS6detail15normal_iteratorINS9_10device_ptrItEEEESE_t11max_functorItEtEEDaPvRmT3_T4_T5_mT6_P12ihipStream_tbENKUlT_T0_E_clISt17integral_constantIbLb0EEST_IbLb1EEEEDaSP_SQ_EUlSP_E0_NS1_11comp_targetILNS1_3genE9ELNS1_11target_archE1100ELNS1_3gpuE3ELNS1_3repE0EEENS1_30default_config_static_selectorELNS0_4arch9wavefront6targetE1EEEvT1_
                                        ; -- End function
	.section	.AMDGPU.csdata,"",@progbits
; Kernel info:
; codeLenInByte = 0
; NumSgprs: 4
; NumVgprs: 0
; NumAgprs: 0
; TotalNumVgprs: 0
; ScratchSize: 0
; MemoryBound: 0
; FloatMode: 240
; IeeeMode: 1
; LDSByteSize: 0 bytes/workgroup (compile time only)
; SGPRBlocks: 0
; VGPRBlocks: 0
; NumSGPRsForWavesPerEU: 4
; NumVGPRsForWavesPerEU: 1
; AccumOffset: 4
; Occupancy: 8
; WaveLimiterHint : 0
; COMPUTE_PGM_RSRC2:SCRATCH_EN: 0
; COMPUTE_PGM_RSRC2:USER_SGPR: 6
; COMPUTE_PGM_RSRC2:TRAP_HANDLER: 0
; COMPUTE_PGM_RSRC2:TGID_X_EN: 1
; COMPUTE_PGM_RSRC2:TGID_Y_EN: 0
; COMPUTE_PGM_RSRC2:TGID_Z_EN: 0
; COMPUTE_PGM_RSRC2:TIDIG_COMP_CNT: 0
; COMPUTE_PGM_RSRC3_GFX90A:ACCUM_OFFSET: 0
; COMPUTE_PGM_RSRC3_GFX90A:TG_SPLIT: 0
	.section	.text._ZN7rocprim17ROCPRIM_400000_NS6detail17trampoline_kernelINS0_14default_configENS1_20scan_config_selectorItEEZZNS1_9scan_implILNS1_25lookback_scan_determinismE0ELb0ELb0ES3_N6thrust23THRUST_200600_302600_NS6detail15normal_iteratorINS9_10device_ptrItEEEESE_t11max_functorItEtEEDaPvRmT3_T4_T5_mT6_P12ihipStream_tbENKUlT_T0_E_clISt17integral_constantIbLb0EEST_IbLb1EEEEDaSP_SQ_EUlSP_E0_NS1_11comp_targetILNS1_3genE8ELNS1_11target_archE1030ELNS1_3gpuE2ELNS1_3repE0EEENS1_30default_config_static_selectorELNS0_4arch9wavefront6targetE1EEEvT1_,"axG",@progbits,_ZN7rocprim17ROCPRIM_400000_NS6detail17trampoline_kernelINS0_14default_configENS1_20scan_config_selectorItEEZZNS1_9scan_implILNS1_25lookback_scan_determinismE0ELb0ELb0ES3_N6thrust23THRUST_200600_302600_NS6detail15normal_iteratorINS9_10device_ptrItEEEESE_t11max_functorItEtEEDaPvRmT3_T4_T5_mT6_P12ihipStream_tbENKUlT_T0_E_clISt17integral_constantIbLb0EEST_IbLb1EEEEDaSP_SQ_EUlSP_E0_NS1_11comp_targetILNS1_3genE8ELNS1_11target_archE1030ELNS1_3gpuE2ELNS1_3repE0EEENS1_30default_config_static_selectorELNS0_4arch9wavefront6targetE1EEEvT1_,comdat
	.protected	_ZN7rocprim17ROCPRIM_400000_NS6detail17trampoline_kernelINS0_14default_configENS1_20scan_config_selectorItEEZZNS1_9scan_implILNS1_25lookback_scan_determinismE0ELb0ELb0ES3_N6thrust23THRUST_200600_302600_NS6detail15normal_iteratorINS9_10device_ptrItEEEESE_t11max_functorItEtEEDaPvRmT3_T4_T5_mT6_P12ihipStream_tbENKUlT_T0_E_clISt17integral_constantIbLb0EEST_IbLb1EEEEDaSP_SQ_EUlSP_E0_NS1_11comp_targetILNS1_3genE8ELNS1_11target_archE1030ELNS1_3gpuE2ELNS1_3repE0EEENS1_30default_config_static_selectorELNS0_4arch9wavefront6targetE1EEEvT1_ ; -- Begin function _ZN7rocprim17ROCPRIM_400000_NS6detail17trampoline_kernelINS0_14default_configENS1_20scan_config_selectorItEEZZNS1_9scan_implILNS1_25lookback_scan_determinismE0ELb0ELb0ES3_N6thrust23THRUST_200600_302600_NS6detail15normal_iteratorINS9_10device_ptrItEEEESE_t11max_functorItEtEEDaPvRmT3_T4_T5_mT6_P12ihipStream_tbENKUlT_T0_E_clISt17integral_constantIbLb0EEST_IbLb1EEEEDaSP_SQ_EUlSP_E0_NS1_11comp_targetILNS1_3genE8ELNS1_11target_archE1030ELNS1_3gpuE2ELNS1_3repE0EEENS1_30default_config_static_selectorELNS0_4arch9wavefront6targetE1EEEvT1_
	.globl	_ZN7rocprim17ROCPRIM_400000_NS6detail17trampoline_kernelINS0_14default_configENS1_20scan_config_selectorItEEZZNS1_9scan_implILNS1_25lookback_scan_determinismE0ELb0ELb0ES3_N6thrust23THRUST_200600_302600_NS6detail15normal_iteratorINS9_10device_ptrItEEEESE_t11max_functorItEtEEDaPvRmT3_T4_T5_mT6_P12ihipStream_tbENKUlT_T0_E_clISt17integral_constantIbLb0EEST_IbLb1EEEEDaSP_SQ_EUlSP_E0_NS1_11comp_targetILNS1_3genE8ELNS1_11target_archE1030ELNS1_3gpuE2ELNS1_3repE0EEENS1_30default_config_static_selectorELNS0_4arch9wavefront6targetE1EEEvT1_
	.p2align	8
	.type	_ZN7rocprim17ROCPRIM_400000_NS6detail17trampoline_kernelINS0_14default_configENS1_20scan_config_selectorItEEZZNS1_9scan_implILNS1_25lookback_scan_determinismE0ELb0ELb0ES3_N6thrust23THRUST_200600_302600_NS6detail15normal_iteratorINS9_10device_ptrItEEEESE_t11max_functorItEtEEDaPvRmT3_T4_T5_mT6_P12ihipStream_tbENKUlT_T0_E_clISt17integral_constantIbLb0EEST_IbLb1EEEEDaSP_SQ_EUlSP_E0_NS1_11comp_targetILNS1_3genE8ELNS1_11target_archE1030ELNS1_3gpuE2ELNS1_3repE0EEENS1_30default_config_static_selectorELNS0_4arch9wavefront6targetE1EEEvT1_,@function
_ZN7rocprim17ROCPRIM_400000_NS6detail17trampoline_kernelINS0_14default_configENS1_20scan_config_selectorItEEZZNS1_9scan_implILNS1_25lookback_scan_determinismE0ELb0ELb0ES3_N6thrust23THRUST_200600_302600_NS6detail15normal_iteratorINS9_10device_ptrItEEEESE_t11max_functorItEtEEDaPvRmT3_T4_T5_mT6_P12ihipStream_tbENKUlT_T0_E_clISt17integral_constantIbLb0EEST_IbLb1EEEEDaSP_SQ_EUlSP_E0_NS1_11comp_targetILNS1_3genE8ELNS1_11target_archE1030ELNS1_3gpuE2ELNS1_3repE0EEENS1_30default_config_static_selectorELNS0_4arch9wavefront6targetE1EEEvT1_: ; @_ZN7rocprim17ROCPRIM_400000_NS6detail17trampoline_kernelINS0_14default_configENS1_20scan_config_selectorItEEZZNS1_9scan_implILNS1_25lookback_scan_determinismE0ELb0ELb0ES3_N6thrust23THRUST_200600_302600_NS6detail15normal_iteratorINS9_10device_ptrItEEEESE_t11max_functorItEtEEDaPvRmT3_T4_T5_mT6_P12ihipStream_tbENKUlT_T0_E_clISt17integral_constantIbLb0EEST_IbLb1EEEEDaSP_SQ_EUlSP_E0_NS1_11comp_targetILNS1_3genE8ELNS1_11target_archE1030ELNS1_3gpuE2ELNS1_3repE0EEENS1_30default_config_static_selectorELNS0_4arch9wavefront6targetE1EEEvT1_
; %bb.0:
	.section	.rodata,"a",@progbits
	.p2align	6, 0x0
	.amdhsa_kernel _ZN7rocprim17ROCPRIM_400000_NS6detail17trampoline_kernelINS0_14default_configENS1_20scan_config_selectorItEEZZNS1_9scan_implILNS1_25lookback_scan_determinismE0ELb0ELb0ES3_N6thrust23THRUST_200600_302600_NS6detail15normal_iteratorINS9_10device_ptrItEEEESE_t11max_functorItEtEEDaPvRmT3_T4_T5_mT6_P12ihipStream_tbENKUlT_T0_E_clISt17integral_constantIbLb0EEST_IbLb1EEEEDaSP_SQ_EUlSP_E0_NS1_11comp_targetILNS1_3genE8ELNS1_11target_archE1030ELNS1_3gpuE2ELNS1_3repE0EEENS1_30default_config_static_selectorELNS0_4arch9wavefront6targetE1EEEvT1_
		.amdhsa_group_segment_fixed_size 0
		.amdhsa_private_segment_fixed_size 0
		.amdhsa_kernarg_size 32
		.amdhsa_user_sgpr_count 6
		.amdhsa_user_sgpr_private_segment_buffer 1
		.amdhsa_user_sgpr_dispatch_ptr 0
		.amdhsa_user_sgpr_queue_ptr 0
		.amdhsa_user_sgpr_kernarg_segment_ptr 1
		.amdhsa_user_sgpr_dispatch_id 0
		.amdhsa_user_sgpr_flat_scratch_init 0
		.amdhsa_user_sgpr_kernarg_preload_length 0
		.amdhsa_user_sgpr_kernarg_preload_offset 0
		.amdhsa_user_sgpr_private_segment_size 0
		.amdhsa_uses_dynamic_stack 0
		.amdhsa_system_sgpr_private_segment_wavefront_offset 0
		.amdhsa_system_sgpr_workgroup_id_x 1
		.amdhsa_system_sgpr_workgroup_id_y 0
		.amdhsa_system_sgpr_workgroup_id_z 0
		.amdhsa_system_sgpr_workgroup_info 0
		.amdhsa_system_vgpr_workitem_id 0
		.amdhsa_next_free_vgpr 1
		.amdhsa_next_free_sgpr 0
		.amdhsa_accum_offset 4
		.amdhsa_reserve_vcc 0
		.amdhsa_reserve_flat_scratch 0
		.amdhsa_float_round_mode_32 0
		.amdhsa_float_round_mode_16_64 0
		.amdhsa_float_denorm_mode_32 3
		.amdhsa_float_denorm_mode_16_64 3
		.amdhsa_dx10_clamp 1
		.amdhsa_ieee_mode 1
		.amdhsa_fp16_overflow 0
		.amdhsa_tg_split 0
		.amdhsa_exception_fp_ieee_invalid_op 0
		.amdhsa_exception_fp_denorm_src 0
		.amdhsa_exception_fp_ieee_div_zero 0
		.amdhsa_exception_fp_ieee_overflow 0
		.amdhsa_exception_fp_ieee_underflow 0
		.amdhsa_exception_fp_ieee_inexact 0
		.amdhsa_exception_int_div_zero 0
	.end_amdhsa_kernel
	.section	.text._ZN7rocprim17ROCPRIM_400000_NS6detail17trampoline_kernelINS0_14default_configENS1_20scan_config_selectorItEEZZNS1_9scan_implILNS1_25lookback_scan_determinismE0ELb0ELb0ES3_N6thrust23THRUST_200600_302600_NS6detail15normal_iteratorINS9_10device_ptrItEEEESE_t11max_functorItEtEEDaPvRmT3_T4_T5_mT6_P12ihipStream_tbENKUlT_T0_E_clISt17integral_constantIbLb0EEST_IbLb1EEEEDaSP_SQ_EUlSP_E0_NS1_11comp_targetILNS1_3genE8ELNS1_11target_archE1030ELNS1_3gpuE2ELNS1_3repE0EEENS1_30default_config_static_selectorELNS0_4arch9wavefront6targetE1EEEvT1_,"axG",@progbits,_ZN7rocprim17ROCPRIM_400000_NS6detail17trampoline_kernelINS0_14default_configENS1_20scan_config_selectorItEEZZNS1_9scan_implILNS1_25lookback_scan_determinismE0ELb0ELb0ES3_N6thrust23THRUST_200600_302600_NS6detail15normal_iteratorINS9_10device_ptrItEEEESE_t11max_functorItEtEEDaPvRmT3_T4_T5_mT6_P12ihipStream_tbENKUlT_T0_E_clISt17integral_constantIbLb0EEST_IbLb1EEEEDaSP_SQ_EUlSP_E0_NS1_11comp_targetILNS1_3genE8ELNS1_11target_archE1030ELNS1_3gpuE2ELNS1_3repE0EEENS1_30default_config_static_selectorELNS0_4arch9wavefront6targetE1EEEvT1_,comdat
.Lfunc_end2485:
	.size	_ZN7rocprim17ROCPRIM_400000_NS6detail17trampoline_kernelINS0_14default_configENS1_20scan_config_selectorItEEZZNS1_9scan_implILNS1_25lookback_scan_determinismE0ELb0ELb0ES3_N6thrust23THRUST_200600_302600_NS6detail15normal_iteratorINS9_10device_ptrItEEEESE_t11max_functorItEtEEDaPvRmT3_T4_T5_mT6_P12ihipStream_tbENKUlT_T0_E_clISt17integral_constantIbLb0EEST_IbLb1EEEEDaSP_SQ_EUlSP_E0_NS1_11comp_targetILNS1_3genE8ELNS1_11target_archE1030ELNS1_3gpuE2ELNS1_3repE0EEENS1_30default_config_static_selectorELNS0_4arch9wavefront6targetE1EEEvT1_, .Lfunc_end2485-_ZN7rocprim17ROCPRIM_400000_NS6detail17trampoline_kernelINS0_14default_configENS1_20scan_config_selectorItEEZZNS1_9scan_implILNS1_25lookback_scan_determinismE0ELb0ELb0ES3_N6thrust23THRUST_200600_302600_NS6detail15normal_iteratorINS9_10device_ptrItEEEESE_t11max_functorItEtEEDaPvRmT3_T4_T5_mT6_P12ihipStream_tbENKUlT_T0_E_clISt17integral_constantIbLb0EEST_IbLb1EEEEDaSP_SQ_EUlSP_E0_NS1_11comp_targetILNS1_3genE8ELNS1_11target_archE1030ELNS1_3gpuE2ELNS1_3repE0EEENS1_30default_config_static_selectorELNS0_4arch9wavefront6targetE1EEEvT1_
                                        ; -- End function
	.section	.AMDGPU.csdata,"",@progbits
; Kernel info:
; codeLenInByte = 0
; NumSgprs: 4
; NumVgprs: 0
; NumAgprs: 0
; TotalNumVgprs: 0
; ScratchSize: 0
; MemoryBound: 0
; FloatMode: 240
; IeeeMode: 1
; LDSByteSize: 0 bytes/workgroup (compile time only)
; SGPRBlocks: 0
; VGPRBlocks: 0
; NumSGPRsForWavesPerEU: 4
; NumVGPRsForWavesPerEU: 1
; AccumOffset: 4
; Occupancy: 8
; WaveLimiterHint : 0
; COMPUTE_PGM_RSRC2:SCRATCH_EN: 0
; COMPUTE_PGM_RSRC2:USER_SGPR: 6
; COMPUTE_PGM_RSRC2:TRAP_HANDLER: 0
; COMPUTE_PGM_RSRC2:TGID_X_EN: 1
; COMPUTE_PGM_RSRC2:TGID_Y_EN: 0
; COMPUTE_PGM_RSRC2:TGID_Z_EN: 0
; COMPUTE_PGM_RSRC2:TIDIG_COMP_CNT: 0
; COMPUTE_PGM_RSRC3_GFX90A:ACCUM_OFFSET: 0
; COMPUTE_PGM_RSRC3_GFX90A:TG_SPLIT: 0
	.section	.text._ZN7rocprim17ROCPRIM_400000_NS6detail17trampoline_kernelINS0_14default_configENS1_20scan_config_selectorItEEZZNS1_9scan_implILNS1_25lookback_scan_determinismE0ELb1ELb1ES3_N6thrust23THRUST_200600_302600_NS6detail15normal_iteratorINS9_10device_ptrItEEEESE_t11max_functorItEtEEDaPvRmT3_T4_T5_mT6_P12ihipStream_tbENKUlT_T0_E_clISt17integral_constantIbLb0EESU_EEDaSP_SQ_EUlSP_E_NS1_11comp_targetILNS1_3genE0ELNS1_11target_archE4294967295ELNS1_3gpuE0ELNS1_3repE0EEENS1_30default_config_static_selectorELNS0_4arch9wavefront6targetE1EEEvT1_,"axG",@progbits,_ZN7rocprim17ROCPRIM_400000_NS6detail17trampoline_kernelINS0_14default_configENS1_20scan_config_selectorItEEZZNS1_9scan_implILNS1_25lookback_scan_determinismE0ELb1ELb1ES3_N6thrust23THRUST_200600_302600_NS6detail15normal_iteratorINS9_10device_ptrItEEEESE_t11max_functorItEtEEDaPvRmT3_T4_T5_mT6_P12ihipStream_tbENKUlT_T0_E_clISt17integral_constantIbLb0EESU_EEDaSP_SQ_EUlSP_E_NS1_11comp_targetILNS1_3genE0ELNS1_11target_archE4294967295ELNS1_3gpuE0ELNS1_3repE0EEENS1_30default_config_static_selectorELNS0_4arch9wavefront6targetE1EEEvT1_,comdat
	.protected	_ZN7rocprim17ROCPRIM_400000_NS6detail17trampoline_kernelINS0_14default_configENS1_20scan_config_selectorItEEZZNS1_9scan_implILNS1_25lookback_scan_determinismE0ELb1ELb1ES3_N6thrust23THRUST_200600_302600_NS6detail15normal_iteratorINS9_10device_ptrItEEEESE_t11max_functorItEtEEDaPvRmT3_T4_T5_mT6_P12ihipStream_tbENKUlT_T0_E_clISt17integral_constantIbLb0EESU_EEDaSP_SQ_EUlSP_E_NS1_11comp_targetILNS1_3genE0ELNS1_11target_archE4294967295ELNS1_3gpuE0ELNS1_3repE0EEENS1_30default_config_static_selectorELNS0_4arch9wavefront6targetE1EEEvT1_ ; -- Begin function _ZN7rocprim17ROCPRIM_400000_NS6detail17trampoline_kernelINS0_14default_configENS1_20scan_config_selectorItEEZZNS1_9scan_implILNS1_25lookback_scan_determinismE0ELb1ELb1ES3_N6thrust23THRUST_200600_302600_NS6detail15normal_iteratorINS9_10device_ptrItEEEESE_t11max_functorItEtEEDaPvRmT3_T4_T5_mT6_P12ihipStream_tbENKUlT_T0_E_clISt17integral_constantIbLb0EESU_EEDaSP_SQ_EUlSP_E_NS1_11comp_targetILNS1_3genE0ELNS1_11target_archE4294967295ELNS1_3gpuE0ELNS1_3repE0EEENS1_30default_config_static_selectorELNS0_4arch9wavefront6targetE1EEEvT1_
	.globl	_ZN7rocprim17ROCPRIM_400000_NS6detail17trampoline_kernelINS0_14default_configENS1_20scan_config_selectorItEEZZNS1_9scan_implILNS1_25lookback_scan_determinismE0ELb1ELb1ES3_N6thrust23THRUST_200600_302600_NS6detail15normal_iteratorINS9_10device_ptrItEEEESE_t11max_functorItEtEEDaPvRmT3_T4_T5_mT6_P12ihipStream_tbENKUlT_T0_E_clISt17integral_constantIbLb0EESU_EEDaSP_SQ_EUlSP_E_NS1_11comp_targetILNS1_3genE0ELNS1_11target_archE4294967295ELNS1_3gpuE0ELNS1_3repE0EEENS1_30default_config_static_selectorELNS0_4arch9wavefront6targetE1EEEvT1_
	.p2align	8
	.type	_ZN7rocprim17ROCPRIM_400000_NS6detail17trampoline_kernelINS0_14default_configENS1_20scan_config_selectorItEEZZNS1_9scan_implILNS1_25lookback_scan_determinismE0ELb1ELb1ES3_N6thrust23THRUST_200600_302600_NS6detail15normal_iteratorINS9_10device_ptrItEEEESE_t11max_functorItEtEEDaPvRmT3_T4_T5_mT6_P12ihipStream_tbENKUlT_T0_E_clISt17integral_constantIbLb0EESU_EEDaSP_SQ_EUlSP_E_NS1_11comp_targetILNS1_3genE0ELNS1_11target_archE4294967295ELNS1_3gpuE0ELNS1_3repE0EEENS1_30default_config_static_selectorELNS0_4arch9wavefront6targetE1EEEvT1_,@function
_ZN7rocprim17ROCPRIM_400000_NS6detail17trampoline_kernelINS0_14default_configENS1_20scan_config_selectorItEEZZNS1_9scan_implILNS1_25lookback_scan_determinismE0ELb1ELb1ES3_N6thrust23THRUST_200600_302600_NS6detail15normal_iteratorINS9_10device_ptrItEEEESE_t11max_functorItEtEEDaPvRmT3_T4_T5_mT6_P12ihipStream_tbENKUlT_T0_E_clISt17integral_constantIbLb0EESU_EEDaSP_SQ_EUlSP_E_NS1_11comp_targetILNS1_3genE0ELNS1_11target_archE4294967295ELNS1_3gpuE0ELNS1_3repE0EEENS1_30default_config_static_selectorELNS0_4arch9wavefront6targetE1EEEvT1_: ; @_ZN7rocprim17ROCPRIM_400000_NS6detail17trampoline_kernelINS0_14default_configENS1_20scan_config_selectorItEEZZNS1_9scan_implILNS1_25lookback_scan_determinismE0ELb1ELb1ES3_N6thrust23THRUST_200600_302600_NS6detail15normal_iteratorINS9_10device_ptrItEEEESE_t11max_functorItEtEEDaPvRmT3_T4_T5_mT6_P12ihipStream_tbENKUlT_T0_E_clISt17integral_constantIbLb0EESU_EEDaSP_SQ_EUlSP_E_NS1_11comp_targetILNS1_3genE0ELNS1_11target_archE4294967295ELNS1_3gpuE0ELNS1_3repE0EEENS1_30default_config_static_selectorELNS0_4arch9wavefront6targetE1EEEvT1_
; %bb.0:
	.section	.rodata,"a",@progbits
	.p2align	6, 0x0
	.amdhsa_kernel _ZN7rocprim17ROCPRIM_400000_NS6detail17trampoline_kernelINS0_14default_configENS1_20scan_config_selectorItEEZZNS1_9scan_implILNS1_25lookback_scan_determinismE0ELb1ELb1ES3_N6thrust23THRUST_200600_302600_NS6detail15normal_iteratorINS9_10device_ptrItEEEESE_t11max_functorItEtEEDaPvRmT3_T4_T5_mT6_P12ihipStream_tbENKUlT_T0_E_clISt17integral_constantIbLb0EESU_EEDaSP_SQ_EUlSP_E_NS1_11comp_targetILNS1_3genE0ELNS1_11target_archE4294967295ELNS1_3gpuE0ELNS1_3repE0EEENS1_30default_config_static_selectorELNS0_4arch9wavefront6targetE1EEEvT1_
		.amdhsa_group_segment_fixed_size 0
		.amdhsa_private_segment_fixed_size 0
		.amdhsa_kernarg_size 96
		.amdhsa_user_sgpr_count 6
		.amdhsa_user_sgpr_private_segment_buffer 1
		.amdhsa_user_sgpr_dispatch_ptr 0
		.amdhsa_user_sgpr_queue_ptr 0
		.amdhsa_user_sgpr_kernarg_segment_ptr 1
		.amdhsa_user_sgpr_dispatch_id 0
		.amdhsa_user_sgpr_flat_scratch_init 0
		.amdhsa_user_sgpr_kernarg_preload_length 0
		.amdhsa_user_sgpr_kernarg_preload_offset 0
		.amdhsa_user_sgpr_private_segment_size 0
		.amdhsa_uses_dynamic_stack 0
		.amdhsa_system_sgpr_private_segment_wavefront_offset 0
		.amdhsa_system_sgpr_workgroup_id_x 1
		.amdhsa_system_sgpr_workgroup_id_y 0
		.amdhsa_system_sgpr_workgroup_id_z 0
		.amdhsa_system_sgpr_workgroup_info 0
		.amdhsa_system_vgpr_workitem_id 0
		.amdhsa_next_free_vgpr 1
		.amdhsa_next_free_sgpr 0
		.amdhsa_accum_offset 4
		.amdhsa_reserve_vcc 0
		.amdhsa_reserve_flat_scratch 0
		.amdhsa_float_round_mode_32 0
		.amdhsa_float_round_mode_16_64 0
		.amdhsa_float_denorm_mode_32 3
		.amdhsa_float_denorm_mode_16_64 3
		.amdhsa_dx10_clamp 1
		.amdhsa_ieee_mode 1
		.amdhsa_fp16_overflow 0
		.amdhsa_tg_split 0
		.amdhsa_exception_fp_ieee_invalid_op 0
		.amdhsa_exception_fp_denorm_src 0
		.amdhsa_exception_fp_ieee_div_zero 0
		.amdhsa_exception_fp_ieee_overflow 0
		.amdhsa_exception_fp_ieee_underflow 0
		.amdhsa_exception_fp_ieee_inexact 0
		.amdhsa_exception_int_div_zero 0
	.end_amdhsa_kernel
	.section	.text._ZN7rocprim17ROCPRIM_400000_NS6detail17trampoline_kernelINS0_14default_configENS1_20scan_config_selectorItEEZZNS1_9scan_implILNS1_25lookback_scan_determinismE0ELb1ELb1ES3_N6thrust23THRUST_200600_302600_NS6detail15normal_iteratorINS9_10device_ptrItEEEESE_t11max_functorItEtEEDaPvRmT3_T4_T5_mT6_P12ihipStream_tbENKUlT_T0_E_clISt17integral_constantIbLb0EESU_EEDaSP_SQ_EUlSP_E_NS1_11comp_targetILNS1_3genE0ELNS1_11target_archE4294967295ELNS1_3gpuE0ELNS1_3repE0EEENS1_30default_config_static_selectorELNS0_4arch9wavefront6targetE1EEEvT1_,"axG",@progbits,_ZN7rocprim17ROCPRIM_400000_NS6detail17trampoline_kernelINS0_14default_configENS1_20scan_config_selectorItEEZZNS1_9scan_implILNS1_25lookback_scan_determinismE0ELb1ELb1ES3_N6thrust23THRUST_200600_302600_NS6detail15normal_iteratorINS9_10device_ptrItEEEESE_t11max_functorItEtEEDaPvRmT3_T4_T5_mT6_P12ihipStream_tbENKUlT_T0_E_clISt17integral_constantIbLb0EESU_EEDaSP_SQ_EUlSP_E_NS1_11comp_targetILNS1_3genE0ELNS1_11target_archE4294967295ELNS1_3gpuE0ELNS1_3repE0EEENS1_30default_config_static_selectorELNS0_4arch9wavefront6targetE1EEEvT1_,comdat
.Lfunc_end2486:
	.size	_ZN7rocprim17ROCPRIM_400000_NS6detail17trampoline_kernelINS0_14default_configENS1_20scan_config_selectorItEEZZNS1_9scan_implILNS1_25lookback_scan_determinismE0ELb1ELb1ES3_N6thrust23THRUST_200600_302600_NS6detail15normal_iteratorINS9_10device_ptrItEEEESE_t11max_functorItEtEEDaPvRmT3_T4_T5_mT6_P12ihipStream_tbENKUlT_T0_E_clISt17integral_constantIbLb0EESU_EEDaSP_SQ_EUlSP_E_NS1_11comp_targetILNS1_3genE0ELNS1_11target_archE4294967295ELNS1_3gpuE0ELNS1_3repE0EEENS1_30default_config_static_selectorELNS0_4arch9wavefront6targetE1EEEvT1_, .Lfunc_end2486-_ZN7rocprim17ROCPRIM_400000_NS6detail17trampoline_kernelINS0_14default_configENS1_20scan_config_selectorItEEZZNS1_9scan_implILNS1_25lookback_scan_determinismE0ELb1ELb1ES3_N6thrust23THRUST_200600_302600_NS6detail15normal_iteratorINS9_10device_ptrItEEEESE_t11max_functorItEtEEDaPvRmT3_T4_T5_mT6_P12ihipStream_tbENKUlT_T0_E_clISt17integral_constantIbLb0EESU_EEDaSP_SQ_EUlSP_E_NS1_11comp_targetILNS1_3genE0ELNS1_11target_archE4294967295ELNS1_3gpuE0ELNS1_3repE0EEENS1_30default_config_static_selectorELNS0_4arch9wavefront6targetE1EEEvT1_
                                        ; -- End function
	.section	.AMDGPU.csdata,"",@progbits
; Kernel info:
; codeLenInByte = 0
; NumSgprs: 4
; NumVgprs: 0
; NumAgprs: 0
; TotalNumVgprs: 0
; ScratchSize: 0
; MemoryBound: 0
; FloatMode: 240
; IeeeMode: 1
; LDSByteSize: 0 bytes/workgroup (compile time only)
; SGPRBlocks: 0
; VGPRBlocks: 0
; NumSGPRsForWavesPerEU: 4
; NumVGPRsForWavesPerEU: 1
; AccumOffset: 4
; Occupancy: 8
; WaveLimiterHint : 0
; COMPUTE_PGM_RSRC2:SCRATCH_EN: 0
; COMPUTE_PGM_RSRC2:USER_SGPR: 6
; COMPUTE_PGM_RSRC2:TRAP_HANDLER: 0
; COMPUTE_PGM_RSRC2:TGID_X_EN: 1
; COMPUTE_PGM_RSRC2:TGID_Y_EN: 0
; COMPUTE_PGM_RSRC2:TGID_Z_EN: 0
; COMPUTE_PGM_RSRC2:TIDIG_COMP_CNT: 0
; COMPUTE_PGM_RSRC3_GFX90A:ACCUM_OFFSET: 0
; COMPUTE_PGM_RSRC3_GFX90A:TG_SPLIT: 0
	.section	.text._ZN7rocprim17ROCPRIM_400000_NS6detail17trampoline_kernelINS0_14default_configENS1_20scan_config_selectorItEEZZNS1_9scan_implILNS1_25lookback_scan_determinismE0ELb1ELb1ES3_N6thrust23THRUST_200600_302600_NS6detail15normal_iteratorINS9_10device_ptrItEEEESE_t11max_functorItEtEEDaPvRmT3_T4_T5_mT6_P12ihipStream_tbENKUlT_T0_E_clISt17integral_constantIbLb0EESU_EEDaSP_SQ_EUlSP_E_NS1_11comp_targetILNS1_3genE5ELNS1_11target_archE942ELNS1_3gpuE9ELNS1_3repE0EEENS1_30default_config_static_selectorELNS0_4arch9wavefront6targetE1EEEvT1_,"axG",@progbits,_ZN7rocprim17ROCPRIM_400000_NS6detail17trampoline_kernelINS0_14default_configENS1_20scan_config_selectorItEEZZNS1_9scan_implILNS1_25lookback_scan_determinismE0ELb1ELb1ES3_N6thrust23THRUST_200600_302600_NS6detail15normal_iteratorINS9_10device_ptrItEEEESE_t11max_functorItEtEEDaPvRmT3_T4_T5_mT6_P12ihipStream_tbENKUlT_T0_E_clISt17integral_constantIbLb0EESU_EEDaSP_SQ_EUlSP_E_NS1_11comp_targetILNS1_3genE5ELNS1_11target_archE942ELNS1_3gpuE9ELNS1_3repE0EEENS1_30default_config_static_selectorELNS0_4arch9wavefront6targetE1EEEvT1_,comdat
	.protected	_ZN7rocprim17ROCPRIM_400000_NS6detail17trampoline_kernelINS0_14default_configENS1_20scan_config_selectorItEEZZNS1_9scan_implILNS1_25lookback_scan_determinismE0ELb1ELb1ES3_N6thrust23THRUST_200600_302600_NS6detail15normal_iteratorINS9_10device_ptrItEEEESE_t11max_functorItEtEEDaPvRmT3_T4_T5_mT6_P12ihipStream_tbENKUlT_T0_E_clISt17integral_constantIbLb0EESU_EEDaSP_SQ_EUlSP_E_NS1_11comp_targetILNS1_3genE5ELNS1_11target_archE942ELNS1_3gpuE9ELNS1_3repE0EEENS1_30default_config_static_selectorELNS0_4arch9wavefront6targetE1EEEvT1_ ; -- Begin function _ZN7rocprim17ROCPRIM_400000_NS6detail17trampoline_kernelINS0_14default_configENS1_20scan_config_selectorItEEZZNS1_9scan_implILNS1_25lookback_scan_determinismE0ELb1ELb1ES3_N6thrust23THRUST_200600_302600_NS6detail15normal_iteratorINS9_10device_ptrItEEEESE_t11max_functorItEtEEDaPvRmT3_T4_T5_mT6_P12ihipStream_tbENKUlT_T0_E_clISt17integral_constantIbLb0EESU_EEDaSP_SQ_EUlSP_E_NS1_11comp_targetILNS1_3genE5ELNS1_11target_archE942ELNS1_3gpuE9ELNS1_3repE0EEENS1_30default_config_static_selectorELNS0_4arch9wavefront6targetE1EEEvT1_
	.globl	_ZN7rocprim17ROCPRIM_400000_NS6detail17trampoline_kernelINS0_14default_configENS1_20scan_config_selectorItEEZZNS1_9scan_implILNS1_25lookback_scan_determinismE0ELb1ELb1ES3_N6thrust23THRUST_200600_302600_NS6detail15normal_iteratorINS9_10device_ptrItEEEESE_t11max_functorItEtEEDaPvRmT3_T4_T5_mT6_P12ihipStream_tbENKUlT_T0_E_clISt17integral_constantIbLb0EESU_EEDaSP_SQ_EUlSP_E_NS1_11comp_targetILNS1_3genE5ELNS1_11target_archE942ELNS1_3gpuE9ELNS1_3repE0EEENS1_30default_config_static_selectorELNS0_4arch9wavefront6targetE1EEEvT1_
	.p2align	8
	.type	_ZN7rocprim17ROCPRIM_400000_NS6detail17trampoline_kernelINS0_14default_configENS1_20scan_config_selectorItEEZZNS1_9scan_implILNS1_25lookback_scan_determinismE0ELb1ELb1ES3_N6thrust23THRUST_200600_302600_NS6detail15normal_iteratorINS9_10device_ptrItEEEESE_t11max_functorItEtEEDaPvRmT3_T4_T5_mT6_P12ihipStream_tbENKUlT_T0_E_clISt17integral_constantIbLb0EESU_EEDaSP_SQ_EUlSP_E_NS1_11comp_targetILNS1_3genE5ELNS1_11target_archE942ELNS1_3gpuE9ELNS1_3repE0EEENS1_30default_config_static_selectorELNS0_4arch9wavefront6targetE1EEEvT1_,@function
_ZN7rocprim17ROCPRIM_400000_NS6detail17trampoline_kernelINS0_14default_configENS1_20scan_config_selectorItEEZZNS1_9scan_implILNS1_25lookback_scan_determinismE0ELb1ELb1ES3_N6thrust23THRUST_200600_302600_NS6detail15normal_iteratorINS9_10device_ptrItEEEESE_t11max_functorItEtEEDaPvRmT3_T4_T5_mT6_P12ihipStream_tbENKUlT_T0_E_clISt17integral_constantIbLb0EESU_EEDaSP_SQ_EUlSP_E_NS1_11comp_targetILNS1_3genE5ELNS1_11target_archE942ELNS1_3gpuE9ELNS1_3repE0EEENS1_30default_config_static_selectorELNS0_4arch9wavefront6targetE1EEEvT1_: ; @_ZN7rocprim17ROCPRIM_400000_NS6detail17trampoline_kernelINS0_14default_configENS1_20scan_config_selectorItEEZZNS1_9scan_implILNS1_25lookback_scan_determinismE0ELb1ELb1ES3_N6thrust23THRUST_200600_302600_NS6detail15normal_iteratorINS9_10device_ptrItEEEESE_t11max_functorItEtEEDaPvRmT3_T4_T5_mT6_P12ihipStream_tbENKUlT_T0_E_clISt17integral_constantIbLb0EESU_EEDaSP_SQ_EUlSP_E_NS1_11comp_targetILNS1_3genE5ELNS1_11target_archE942ELNS1_3gpuE9ELNS1_3repE0EEENS1_30default_config_static_selectorELNS0_4arch9wavefront6targetE1EEEvT1_
; %bb.0:
	.section	.rodata,"a",@progbits
	.p2align	6, 0x0
	.amdhsa_kernel _ZN7rocprim17ROCPRIM_400000_NS6detail17trampoline_kernelINS0_14default_configENS1_20scan_config_selectorItEEZZNS1_9scan_implILNS1_25lookback_scan_determinismE0ELb1ELb1ES3_N6thrust23THRUST_200600_302600_NS6detail15normal_iteratorINS9_10device_ptrItEEEESE_t11max_functorItEtEEDaPvRmT3_T4_T5_mT6_P12ihipStream_tbENKUlT_T0_E_clISt17integral_constantIbLb0EESU_EEDaSP_SQ_EUlSP_E_NS1_11comp_targetILNS1_3genE5ELNS1_11target_archE942ELNS1_3gpuE9ELNS1_3repE0EEENS1_30default_config_static_selectorELNS0_4arch9wavefront6targetE1EEEvT1_
		.amdhsa_group_segment_fixed_size 0
		.amdhsa_private_segment_fixed_size 0
		.amdhsa_kernarg_size 96
		.amdhsa_user_sgpr_count 6
		.amdhsa_user_sgpr_private_segment_buffer 1
		.amdhsa_user_sgpr_dispatch_ptr 0
		.amdhsa_user_sgpr_queue_ptr 0
		.amdhsa_user_sgpr_kernarg_segment_ptr 1
		.amdhsa_user_sgpr_dispatch_id 0
		.amdhsa_user_sgpr_flat_scratch_init 0
		.amdhsa_user_sgpr_kernarg_preload_length 0
		.amdhsa_user_sgpr_kernarg_preload_offset 0
		.amdhsa_user_sgpr_private_segment_size 0
		.amdhsa_uses_dynamic_stack 0
		.amdhsa_system_sgpr_private_segment_wavefront_offset 0
		.amdhsa_system_sgpr_workgroup_id_x 1
		.amdhsa_system_sgpr_workgroup_id_y 0
		.amdhsa_system_sgpr_workgroup_id_z 0
		.amdhsa_system_sgpr_workgroup_info 0
		.amdhsa_system_vgpr_workitem_id 0
		.amdhsa_next_free_vgpr 1
		.amdhsa_next_free_sgpr 0
		.amdhsa_accum_offset 4
		.amdhsa_reserve_vcc 0
		.amdhsa_reserve_flat_scratch 0
		.amdhsa_float_round_mode_32 0
		.amdhsa_float_round_mode_16_64 0
		.amdhsa_float_denorm_mode_32 3
		.amdhsa_float_denorm_mode_16_64 3
		.amdhsa_dx10_clamp 1
		.amdhsa_ieee_mode 1
		.amdhsa_fp16_overflow 0
		.amdhsa_tg_split 0
		.amdhsa_exception_fp_ieee_invalid_op 0
		.amdhsa_exception_fp_denorm_src 0
		.amdhsa_exception_fp_ieee_div_zero 0
		.amdhsa_exception_fp_ieee_overflow 0
		.amdhsa_exception_fp_ieee_underflow 0
		.amdhsa_exception_fp_ieee_inexact 0
		.amdhsa_exception_int_div_zero 0
	.end_amdhsa_kernel
	.section	.text._ZN7rocprim17ROCPRIM_400000_NS6detail17trampoline_kernelINS0_14default_configENS1_20scan_config_selectorItEEZZNS1_9scan_implILNS1_25lookback_scan_determinismE0ELb1ELb1ES3_N6thrust23THRUST_200600_302600_NS6detail15normal_iteratorINS9_10device_ptrItEEEESE_t11max_functorItEtEEDaPvRmT3_T4_T5_mT6_P12ihipStream_tbENKUlT_T0_E_clISt17integral_constantIbLb0EESU_EEDaSP_SQ_EUlSP_E_NS1_11comp_targetILNS1_3genE5ELNS1_11target_archE942ELNS1_3gpuE9ELNS1_3repE0EEENS1_30default_config_static_selectorELNS0_4arch9wavefront6targetE1EEEvT1_,"axG",@progbits,_ZN7rocprim17ROCPRIM_400000_NS6detail17trampoline_kernelINS0_14default_configENS1_20scan_config_selectorItEEZZNS1_9scan_implILNS1_25lookback_scan_determinismE0ELb1ELb1ES3_N6thrust23THRUST_200600_302600_NS6detail15normal_iteratorINS9_10device_ptrItEEEESE_t11max_functorItEtEEDaPvRmT3_T4_T5_mT6_P12ihipStream_tbENKUlT_T0_E_clISt17integral_constantIbLb0EESU_EEDaSP_SQ_EUlSP_E_NS1_11comp_targetILNS1_3genE5ELNS1_11target_archE942ELNS1_3gpuE9ELNS1_3repE0EEENS1_30default_config_static_selectorELNS0_4arch9wavefront6targetE1EEEvT1_,comdat
.Lfunc_end2487:
	.size	_ZN7rocprim17ROCPRIM_400000_NS6detail17trampoline_kernelINS0_14default_configENS1_20scan_config_selectorItEEZZNS1_9scan_implILNS1_25lookback_scan_determinismE0ELb1ELb1ES3_N6thrust23THRUST_200600_302600_NS6detail15normal_iteratorINS9_10device_ptrItEEEESE_t11max_functorItEtEEDaPvRmT3_T4_T5_mT6_P12ihipStream_tbENKUlT_T0_E_clISt17integral_constantIbLb0EESU_EEDaSP_SQ_EUlSP_E_NS1_11comp_targetILNS1_3genE5ELNS1_11target_archE942ELNS1_3gpuE9ELNS1_3repE0EEENS1_30default_config_static_selectorELNS0_4arch9wavefront6targetE1EEEvT1_, .Lfunc_end2487-_ZN7rocprim17ROCPRIM_400000_NS6detail17trampoline_kernelINS0_14default_configENS1_20scan_config_selectorItEEZZNS1_9scan_implILNS1_25lookback_scan_determinismE0ELb1ELb1ES3_N6thrust23THRUST_200600_302600_NS6detail15normal_iteratorINS9_10device_ptrItEEEESE_t11max_functorItEtEEDaPvRmT3_T4_T5_mT6_P12ihipStream_tbENKUlT_T0_E_clISt17integral_constantIbLb0EESU_EEDaSP_SQ_EUlSP_E_NS1_11comp_targetILNS1_3genE5ELNS1_11target_archE942ELNS1_3gpuE9ELNS1_3repE0EEENS1_30default_config_static_selectorELNS0_4arch9wavefront6targetE1EEEvT1_
                                        ; -- End function
	.section	.AMDGPU.csdata,"",@progbits
; Kernel info:
; codeLenInByte = 0
; NumSgprs: 4
; NumVgprs: 0
; NumAgprs: 0
; TotalNumVgprs: 0
; ScratchSize: 0
; MemoryBound: 0
; FloatMode: 240
; IeeeMode: 1
; LDSByteSize: 0 bytes/workgroup (compile time only)
; SGPRBlocks: 0
; VGPRBlocks: 0
; NumSGPRsForWavesPerEU: 4
; NumVGPRsForWavesPerEU: 1
; AccumOffset: 4
; Occupancy: 8
; WaveLimiterHint : 0
; COMPUTE_PGM_RSRC2:SCRATCH_EN: 0
; COMPUTE_PGM_RSRC2:USER_SGPR: 6
; COMPUTE_PGM_RSRC2:TRAP_HANDLER: 0
; COMPUTE_PGM_RSRC2:TGID_X_EN: 1
; COMPUTE_PGM_RSRC2:TGID_Y_EN: 0
; COMPUTE_PGM_RSRC2:TGID_Z_EN: 0
; COMPUTE_PGM_RSRC2:TIDIG_COMP_CNT: 0
; COMPUTE_PGM_RSRC3_GFX90A:ACCUM_OFFSET: 0
; COMPUTE_PGM_RSRC3_GFX90A:TG_SPLIT: 0
	.section	.text._ZN7rocprim17ROCPRIM_400000_NS6detail17trampoline_kernelINS0_14default_configENS1_20scan_config_selectorItEEZZNS1_9scan_implILNS1_25lookback_scan_determinismE0ELb1ELb1ES3_N6thrust23THRUST_200600_302600_NS6detail15normal_iteratorINS9_10device_ptrItEEEESE_t11max_functorItEtEEDaPvRmT3_T4_T5_mT6_P12ihipStream_tbENKUlT_T0_E_clISt17integral_constantIbLb0EESU_EEDaSP_SQ_EUlSP_E_NS1_11comp_targetILNS1_3genE4ELNS1_11target_archE910ELNS1_3gpuE8ELNS1_3repE0EEENS1_30default_config_static_selectorELNS0_4arch9wavefront6targetE1EEEvT1_,"axG",@progbits,_ZN7rocprim17ROCPRIM_400000_NS6detail17trampoline_kernelINS0_14default_configENS1_20scan_config_selectorItEEZZNS1_9scan_implILNS1_25lookback_scan_determinismE0ELb1ELb1ES3_N6thrust23THRUST_200600_302600_NS6detail15normal_iteratorINS9_10device_ptrItEEEESE_t11max_functorItEtEEDaPvRmT3_T4_T5_mT6_P12ihipStream_tbENKUlT_T0_E_clISt17integral_constantIbLb0EESU_EEDaSP_SQ_EUlSP_E_NS1_11comp_targetILNS1_3genE4ELNS1_11target_archE910ELNS1_3gpuE8ELNS1_3repE0EEENS1_30default_config_static_selectorELNS0_4arch9wavefront6targetE1EEEvT1_,comdat
	.protected	_ZN7rocprim17ROCPRIM_400000_NS6detail17trampoline_kernelINS0_14default_configENS1_20scan_config_selectorItEEZZNS1_9scan_implILNS1_25lookback_scan_determinismE0ELb1ELb1ES3_N6thrust23THRUST_200600_302600_NS6detail15normal_iteratorINS9_10device_ptrItEEEESE_t11max_functorItEtEEDaPvRmT3_T4_T5_mT6_P12ihipStream_tbENKUlT_T0_E_clISt17integral_constantIbLb0EESU_EEDaSP_SQ_EUlSP_E_NS1_11comp_targetILNS1_3genE4ELNS1_11target_archE910ELNS1_3gpuE8ELNS1_3repE0EEENS1_30default_config_static_selectorELNS0_4arch9wavefront6targetE1EEEvT1_ ; -- Begin function _ZN7rocprim17ROCPRIM_400000_NS6detail17trampoline_kernelINS0_14default_configENS1_20scan_config_selectorItEEZZNS1_9scan_implILNS1_25lookback_scan_determinismE0ELb1ELb1ES3_N6thrust23THRUST_200600_302600_NS6detail15normal_iteratorINS9_10device_ptrItEEEESE_t11max_functorItEtEEDaPvRmT3_T4_T5_mT6_P12ihipStream_tbENKUlT_T0_E_clISt17integral_constantIbLb0EESU_EEDaSP_SQ_EUlSP_E_NS1_11comp_targetILNS1_3genE4ELNS1_11target_archE910ELNS1_3gpuE8ELNS1_3repE0EEENS1_30default_config_static_selectorELNS0_4arch9wavefront6targetE1EEEvT1_
	.globl	_ZN7rocprim17ROCPRIM_400000_NS6detail17trampoline_kernelINS0_14default_configENS1_20scan_config_selectorItEEZZNS1_9scan_implILNS1_25lookback_scan_determinismE0ELb1ELb1ES3_N6thrust23THRUST_200600_302600_NS6detail15normal_iteratorINS9_10device_ptrItEEEESE_t11max_functorItEtEEDaPvRmT3_T4_T5_mT6_P12ihipStream_tbENKUlT_T0_E_clISt17integral_constantIbLb0EESU_EEDaSP_SQ_EUlSP_E_NS1_11comp_targetILNS1_3genE4ELNS1_11target_archE910ELNS1_3gpuE8ELNS1_3repE0EEENS1_30default_config_static_selectorELNS0_4arch9wavefront6targetE1EEEvT1_
	.p2align	8
	.type	_ZN7rocprim17ROCPRIM_400000_NS6detail17trampoline_kernelINS0_14default_configENS1_20scan_config_selectorItEEZZNS1_9scan_implILNS1_25lookback_scan_determinismE0ELb1ELb1ES3_N6thrust23THRUST_200600_302600_NS6detail15normal_iteratorINS9_10device_ptrItEEEESE_t11max_functorItEtEEDaPvRmT3_T4_T5_mT6_P12ihipStream_tbENKUlT_T0_E_clISt17integral_constantIbLb0EESU_EEDaSP_SQ_EUlSP_E_NS1_11comp_targetILNS1_3genE4ELNS1_11target_archE910ELNS1_3gpuE8ELNS1_3repE0EEENS1_30default_config_static_selectorELNS0_4arch9wavefront6targetE1EEEvT1_,@function
_ZN7rocprim17ROCPRIM_400000_NS6detail17trampoline_kernelINS0_14default_configENS1_20scan_config_selectorItEEZZNS1_9scan_implILNS1_25lookback_scan_determinismE0ELb1ELb1ES3_N6thrust23THRUST_200600_302600_NS6detail15normal_iteratorINS9_10device_ptrItEEEESE_t11max_functorItEtEEDaPvRmT3_T4_T5_mT6_P12ihipStream_tbENKUlT_T0_E_clISt17integral_constantIbLb0EESU_EEDaSP_SQ_EUlSP_E_NS1_11comp_targetILNS1_3genE4ELNS1_11target_archE910ELNS1_3gpuE8ELNS1_3repE0EEENS1_30default_config_static_selectorELNS0_4arch9wavefront6targetE1EEEvT1_: ; @_ZN7rocprim17ROCPRIM_400000_NS6detail17trampoline_kernelINS0_14default_configENS1_20scan_config_selectorItEEZZNS1_9scan_implILNS1_25lookback_scan_determinismE0ELb1ELb1ES3_N6thrust23THRUST_200600_302600_NS6detail15normal_iteratorINS9_10device_ptrItEEEESE_t11max_functorItEtEEDaPvRmT3_T4_T5_mT6_P12ihipStream_tbENKUlT_T0_E_clISt17integral_constantIbLb0EESU_EEDaSP_SQ_EUlSP_E_NS1_11comp_targetILNS1_3genE4ELNS1_11target_archE910ELNS1_3gpuE8ELNS1_3repE0EEENS1_30default_config_static_selectorELNS0_4arch9wavefront6targetE1EEEvT1_
; %bb.0:
	s_load_dwordx8 s[12:19], s[4:5], 0x0
	s_load_dword s1, s[4:5], 0x30
	s_mul_i32 s0, s6, 0x600
	v_lshlrev_b32_e32 v20, 1, v0
	s_waitcnt lgkmcnt(0)
	s_lshl_b64 s[20:21], s[14:15], 1
	s_add_u32 s27, s12, s20
	s_addc_u32 s28, s13, s21
	s_add_i32 s2, s1, -1
	s_mul_i32 s3, s2, 0x600
	s_sub_u32 s7, s18, s3
	s_subb_u32 s26, s19, 0
	s_mov_b32 s1, 0
	s_cmp_lg_u32 s6, s2
	s_cselect_b64 s[18:19], -1, 0
	s_lshl_b64 s[22:23], s[0:1], 1
	s_add_u32 s2, s27, s22
	s_addc_u32 s3, s28, s23
	s_mov_b64 s[0:1], -1
	s_and_b64 vcc, exec, s[18:19]
	s_cbranch_vccz .LBB2488_2
; %bb.1:
	v_mov_b32_e32 v1, s3
	v_add_co_u32_e32 v2, vcc, s2, v20
	v_addc_co_u32_e32 v3, vcc, 0, v1, vcc
	flat_load_ushort v1, v[2:3]
	flat_load_ushort v4, v[2:3] offset:128
	flat_load_ushort v5, v[2:3] offset:256
	;; [unrolled: 1-line block ×23, first 2 shown]
	s_mov_b64 s[0:1], 0
	s_waitcnt vmcnt(0) lgkmcnt(0)
	ds_write_b16 v20, v1
	ds_write_b16 v20, v4 offset:128
	ds_write_b16 v20, v5 offset:256
	;; [unrolled: 1-line block ×23, first 2 shown]
	s_waitcnt lgkmcnt(0)
	; wave barrier
.LBB2488_2:
	s_load_dwordx2 s[24:25], s[4:5], 0x28
	s_andn2_b64 vcc, exec, s[0:1]
	v_cmp_gt_u32_e64 s[0:1], s7, v0
	s_cbranch_vccnz .LBB2488_52
; %bb.3:
	v_pk_mov_b32 v[2:3], s[2:3], s[2:3] op_sel:[0,1]
	flat_load_ushort v1, v[2:3]
	s_waitcnt vmcnt(0) lgkmcnt(0)
	v_mov_b32_e32 v2, v1
	s_and_saveexec_b64 s[8:9], s[0:1]
	s_cbranch_execz .LBB2488_5
; %bb.4:
	v_mov_b32_e32 v3, s3
	v_add_co_u32_e32 v2, vcc, s2, v20
	v_addc_co_u32_e32 v3, vcc, 0, v3, vcc
	flat_load_ushort v2, v[2:3]
.LBB2488_5:
	s_or_b64 exec, exec, s[8:9]
	v_or_b32_e32 v3, 64, v0
	v_cmp_gt_u32_e32 vcc, s7, v3
	v_mov_b32_e32 v3, v1
	s_and_saveexec_b64 s[0:1], vcc
	s_cbranch_execz .LBB2488_7
; %bb.6:
	v_mov_b32_e32 v3, s3
	v_add_co_u32_e32 v4, vcc, s2, v20
	v_addc_co_u32_e32 v5, vcc, 0, v3, vcc
	flat_load_ushort v3, v[4:5] offset:128
.LBB2488_7:
	s_or_b64 exec, exec, s[0:1]
	v_or_b32_e32 v4, 0x80, v0
	v_cmp_gt_u32_e32 vcc, s7, v4
	v_mov_b32_e32 v4, v1
	s_and_saveexec_b64 s[0:1], vcc
	s_cbranch_execz .LBB2488_9
; %bb.8:
	v_mov_b32_e32 v5, s3
	v_add_co_u32_e32 v4, vcc, s2, v20
	v_addc_co_u32_e32 v5, vcc, 0, v5, vcc
	flat_load_ushort v4, v[4:5] offset:256
.LBB2488_9:
	;; [unrolled: 12-line block ×22, first 2 shown]
	s_or_b64 exec, exec, s[0:1]
	v_or_b32_e32 v26, 0x5c0, v0
	v_cmp_gt_u32_e32 vcc, s7, v26
	s_and_saveexec_b64 s[0:1], vcc
	s_cbranch_execz .LBB2488_51
; %bb.50:
	v_mov_b32_e32 v1, s3
	v_add_co_u32_e32 v26, vcc, s2, v20
	v_addc_co_u32_e32 v27, vcc, 0, v1, vcc
	flat_load_ushort v1, v[26:27] offset:2944
.LBB2488_51:
	s_or_b64 exec, exec, s[0:1]
	s_waitcnt vmcnt(0) lgkmcnt(0)
	ds_write_b16 v20, v2
	ds_write_b16 v20, v3 offset:128
	ds_write_b16 v20, v4 offset:256
	;; [unrolled: 1-line block ×23, first 2 shown]
	s_waitcnt lgkmcnt(0)
	; wave barrier
.LBB2488_52:
	v_mul_u32_u24_e32 v21, 24, v0
	v_lshlrev_b32_e32 v22, 1, v21
	s_waitcnt lgkmcnt(0)
	ds_read_b128 v[10:13], v22
	ds_read_b128 v[6:9], v22 offset:16
	ds_read_b128 v[2:5], v22 offset:32
	s_cmp_lg_u32 s6, 0
	v_mbcnt_lo_u32_b32 v33, -1, 0
	s_waitcnt lgkmcnt(2)
	v_lshrrev_b32_e32 v31, 16, v11
	v_max_u16_sdwa v14, v10, v10 dst_sel:DWORD dst_unused:UNUSED_PAD src0_sel:DWORD src1_sel:WORD_1
	v_lshrrev_b32_e32 v30, 16, v12
	v_lshrrev_b32_e32 v29, 16, v13
	s_waitcnt lgkmcnt(1)
	v_lshrrev_b32_e32 v28, 16, v6
	v_lshrrev_b32_e32 v27, 16, v7
	;; [unrolled: 1-line block ×4, first 2 shown]
	s_waitcnt lgkmcnt(0)
	v_lshrrev_b32_e32 v24, 16, v2
	v_lshrrev_b32_e32 v23, 16, v3
	;; [unrolled: 1-line block ×4, first 2 shown]
	v_max3_u16 v34, v14, v11, v31
	v_cmp_eq_u32_e32 vcc, 63, v0
	s_waitcnt lgkmcnt(0)
	; wave barrier
	s_cbranch_scc0 .LBB2488_75
; %bb.53:
	v_max3_u16 v14, v34, v12, v30
	v_max3_u16 v14, v14, v13, v29
	v_max3_u16 v14, v14, v6, v28
	v_max3_u16 v14, v14, v7, v27
	v_max3_u16 v14, v14, v8, v26
	v_max3_u16 v14, v14, v9, v25
	v_max3_u16 v14, v14, v2, v24
	v_max3_u16 v14, v14, v3, v23
	v_max3_u16 v14, v14, v4, v1
	v_max3_u16 v14, v14, v5, v32
	v_mbcnt_hi_u32_b32 v15, -1, v33
	v_and_b32_e32 v17, 0xffff, v14
	v_and_b32_e32 v16, 15, v15
	v_cmp_eq_u32_e64 s[0:1], 0, v16
	v_mov_b32_dpp v17, v17 row_shr:1 row_mask:0xf bank_mask:0xf
	v_max_u16_e32 v17, v17, v14
	v_cndmask_b32_e64 v14, v17, v14, s[0:1]
	v_and_b32_e32 v17, 0xffff, v14
	v_cmp_lt_u32_e64 s[0:1], 1, v16
	s_nop 0
	v_mov_b32_dpp v17, v17 row_shr:2 row_mask:0xf bank_mask:0xf
	v_max_u16_e32 v17, v17, v14
	v_cndmask_b32_e64 v14, v14, v17, s[0:1]
	v_and_b32_e32 v17, 0xffff, v14
	v_cmp_lt_u32_e64 s[0:1], 3, v16
	s_nop 0
	;; [unrolled: 6-line block ×3, first 2 shown]
	v_mov_b32_dpp v17, v17 row_shr:8 row_mask:0xf bank_mask:0xf
	v_max_u16_e32 v17, v17, v14
	v_cndmask_b32_e64 v14, v14, v17, s[0:1]
	v_and_b32_e32 v16, 0xffff, v14
	v_and_b32_e32 v17, 16, v15
	v_cmp_eq_u32_e64 s[0:1], 0, v17
	v_mov_b32_dpp v16, v16 row_bcast:15 row_mask:0xf bank_mask:0xf
	v_max_u16_e32 v16, v16, v14
	v_cndmask_b32_e64 v14, v16, v14, s[0:1]
	v_and_b32_e32 v16, 0xffff, v14
	v_cmp_lt_u32_e64 s[0:1], 31, v15
	s_nop 0
	v_mov_b32_dpp v16, v16 row_bcast:31 row_mask:0xf bank_mask:0xf
	v_max_u16_e32 v16, v16, v14
	v_cndmask_b32_e64 v14, v14, v16, s[0:1]
	s_and_saveexec_b64 s[0:1], vcc
	s_cbranch_execz .LBB2488_55
; %bb.54:
	v_mov_b32_e32 v16, 0
	ds_write_b16 v16, v14
.LBB2488_55:
	s_or_b64 exec, exec, s[0:1]
	v_add_u32_e32 v16, -1, v15
	v_and_b32_e32 v17, 64, v15
	v_cmp_lt_i32_e32 vcc, v16, v17
	v_cndmask_b32_e32 v16, v16, v15, vcc
	v_and_b32_e32 v14, 0xffff, v14
	v_lshlrev_b32_e32 v16, 2, v16
	ds_bpermute_b32 v35, v16, v14
	v_cmp_gt_u32_e32 vcc, 64, v0
	s_waitcnt lgkmcnt(0)
	; wave barrier
	s_waitcnt lgkmcnt(0)
	s_and_saveexec_b64 s[14:15], vcc
	s_cbranch_execz .LBB2488_74
; %bb.56:
	v_mov_b32_e32 v17, 0
	ds_read_u16 v36, v17
	s_mov_b32 s9, 0
	v_cmp_eq_u32_e64 s[0:1], 0, v15
	s_and_saveexec_b64 s[2:3], s[0:1]
	s_cbranch_execz .LBB2488_58
; %bb.57:
	s_add_i32 s8, s6, 64
	s_lshl_b64 s[8:9], s[8:9], 2
	s_add_u32 s8, s24, s8
	s_waitcnt lgkmcnt(0)
	v_or_b32_e32 v14, 0x10000, v36
	s_addc_u32 s9, s25, s9
	global_store_dword v17, v14, s[8:9]
.LBB2488_58:
	s_or_b64 exec, exec, s[2:3]
	v_xad_u32 v14, v15, -1, s6
	v_add_u32_e32 v16, 64, v14
	v_lshlrev_b64 v[18:19], 2, v[16:17]
	v_mov_b32_e32 v16, s25
	v_add_co_u32_e32 v18, vcc, s24, v18
	v_addc_co_u32_e32 v19, vcc, v16, v19, vcc
	global_load_dword v49, v[18:19], off glc
	s_waitcnt vmcnt(0)
	v_lshrrev_b32_e32 v38, 16, v49
	v_cmp_eq_u16_sdwa s[8:9], v38, v17 src0_sel:BYTE_0 src1_sel:DWORD
	s_and_saveexec_b64 s[2:3], s[8:9]
	s_cbranch_execz .LBB2488_62
; %bb.59:
	s_mov_b64 s[8:9], 0
	v_mov_b32_e32 v16, 0
.LBB2488_60:                            ; =>This Inner Loop Header: Depth=1
	global_load_dword v49, v[18:19], off glc
	s_waitcnt vmcnt(0)
	v_lshrrev_b32_e32 v38, 16, v49
	v_cmp_ne_u16_sdwa s[10:11], v38, v16 src0_sel:BYTE_0 src1_sel:DWORD
	s_or_b64 s[8:9], s[10:11], s[8:9]
	s_andn2_b64 exec, exec, s[8:9]
	s_cbranch_execnz .LBB2488_60
; %bb.61:
	s_or_b64 exec, exec, s[8:9]
.LBB2488_62:
	s_or_b64 exec, exec, s[2:3]
	v_and_b32_e32 v39, 63, v15
	v_cmp_ne_u32_e32 vcc, 63, v39
	v_mov_b32_e32 v37, 2
	v_addc_co_u32_e32 v40, vcc, 0, v15, vcc
	v_cmp_eq_u16_sdwa s[2:3], v38, v37 src0_sel:BYTE_0 src1_sel:DWORD
	v_lshlrev_b64 v[16:17], v15, -1
	v_and_b32_e32 v41, 0xffff, v49
	v_lshlrev_b32_e32 v40, 2, v40
	v_and_b32_e32 v18, s3, v17
	ds_bpermute_b32 v42, v40, v41
	v_or_b32_e32 v18, 0x80000000, v18
	v_and_b32_e32 v19, s2, v16
	v_ffbl_b32_e32 v18, v18
	v_add_u32_e32 v18, 32, v18
	v_ffbl_b32_e32 v19, v19
	v_min_u32_e32 v18, v19, v18
	s_waitcnt lgkmcnt(0)
	v_max_u16_e32 v19, v42, v49
	v_cmp_lt_u32_e32 vcc, v39, v18
	v_cmp_gt_u32_e64 s[2:3], 62, v39
	v_cndmask_b32_e32 v43, v41, v19, vcc
	v_cndmask_b32_e64 v41, 0, 1, s[2:3]
	v_lshlrev_b32_e32 v41, 1, v41
	v_add_lshl_u32 v41, v41, v15, 2
	ds_bpermute_b32 v44, v41, v43
	v_cndmask_b32_e32 v19, v49, v19, vcc
	v_add_u32_e32 v42, 2, v39
	v_cmp_gt_u32_e64 s[2:3], v42, v18
	v_cmp_gt_u32_e64 s[8:9], 60, v39
	s_waitcnt lgkmcnt(0)
	v_max_u16_e32 v44, v44, v19
	v_cndmask_b32_e64 v45, v44, v43, s[2:3]
	v_cndmask_b32_e64 v43, 0, 1, s[8:9]
	v_lshlrev_b32_e32 v43, 2, v43
	v_add_lshl_u32 v43, v43, v15, 2
	ds_bpermute_b32 v46, v43, v45
	v_cndmask_b32_e64 v19, v44, v19, s[2:3]
	v_add_u32_e32 v44, 4, v39
	v_cmp_gt_u32_e64 s[2:3], v44, v18
	v_cmp_gt_u32_e64 s[8:9], 56, v39
	s_waitcnt lgkmcnt(0)
	v_max_u16_e32 v52, v46, v19
	v_cndmask_b32_e64 v47, v52, v45, s[2:3]
	v_cndmask_b32_e64 v45, 0, 1, s[8:9]
	v_lshlrev_b32_e32 v45, 3, v45
	v_add_lshl_u32 v45, v45, v15, 2
	ds_bpermute_b32 v48, v45, v47
	v_cndmask_b32_e64 v50, v52, v19, s[2:3]
	v_add_u32_e32 v46, 8, v39
	v_cmp_gt_u32_e64 s[8:9], v46, v18
	v_cmp_gt_u32_e64 s[10:11], 48, v39
	s_waitcnt lgkmcnt(0)
	v_max_u16_e32 v53, v48, v50
	v_cndmask_b32_e64 v51, v53, v47, s[8:9]
	v_cndmask_b32_e64 v47, 0, 1, s[10:11]
	v_lshlrev_b32_e32 v47, 4, v47
	v_add_lshl_u32 v47, v47, v15, 2
	ds_bpermute_b32 v54, v47, v51
	v_cmp_gt_u32_e64 s[12:13], 32, v39
	v_cndmask_b32_e64 v55, v53, v50, s[8:9]
	v_add_u32_e32 v48, 16, v39
	v_cndmask_b32_e64 v50, 0, 1, s[12:13]
	s_waitcnt lgkmcnt(0)
	v_max_u16_e32 v54, v54, v55
	v_cmp_gt_u32_e64 s[10:11], v48, v18
	v_lshlrev_b32_e32 v50, 5, v50
	v_cndmask_b32_e64 v51, v54, v51, s[10:11]
	v_add_lshl_u32 v50, v50, v15, 2
	ds_bpermute_b32 v15, v50, v51
	v_cndmask_b32_e32 v19, v49, v19, vcc
	v_cndmask_b32_e64 v19, v52, v19, s[2:3]
	v_add_u32_e32 v51, 32, v39
	v_cndmask_b32_e64 v55, v54, v55, s[10:11]
	v_cndmask_b32_e64 v19, v53, v19, s[8:9]
	s_waitcnt lgkmcnt(0)
	v_max_u16_e32 v15, v15, v55
	v_cndmask_b32_e64 v19, v54, v19, s[10:11]
	v_cmp_gt_u32_e32 vcc, v51, v18
	v_cndmask_b32_e32 v18, v15, v19, vcc
	v_mov_b32_e32 v15, 0
	s_branch .LBB2488_64
.LBB2488_63:                            ;   in Loop: Header=BB2488_64 Depth=1
	s_or_b64 exec, exec, s[2:3]
	v_cmp_eq_u16_sdwa s[2:3], v38, v37 src0_sel:BYTE_0 src1_sel:DWORD
	v_and_b32_e32 v53, 0xffff, v52
	v_and_b32_e32 v18, s3, v17
	ds_bpermute_b32 v54, v40, v53
	v_or_b32_e32 v18, 0x80000000, v18
	v_and_b32_e32 v19, s2, v16
	v_ffbl_b32_e32 v18, v18
	v_add_u32_e32 v18, 32, v18
	v_ffbl_b32_e32 v19, v19
	v_min_u32_e32 v18, v19, v18
	s_waitcnt lgkmcnt(0)
	v_max_u16_e32 v19, v54, v52
	v_cmp_lt_u32_e32 vcc, v39, v18
	v_cndmask_b32_e32 v53, v53, v19, vcc
	ds_bpermute_b32 v54, v41, v53
	v_cndmask_b32_e32 v19, v52, v19, vcc
	v_cmp_gt_u32_e64 s[2:3], v42, v18
	v_cmp_gt_u32_e64 s[8:9], v46, v18
	v_subrev_u32_e32 v14, 64, v14
	s_waitcnt lgkmcnt(0)
	v_max_u16_e32 v54, v54, v19
	v_cndmask_b32_e64 v53, v54, v53, s[2:3]
	ds_bpermute_b32 v55, v43, v53
	v_cndmask_b32_e64 v19, v54, v19, s[2:3]
	v_cmp_gt_u32_e64 s[2:3], v44, v18
	s_waitcnt lgkmcnt(0)
	v_max_u16_e32 v54, v55, v19
	v_cndmask_b32_e64 v53, v54, v53, s[2:3]
	ds_bpermute_b32 v55, v45, v53
	v_cndmask_b32_e64 v56, v54, v19, s[2:3]
	v_cndmask_b32_e32 v19, v52, v19, vcc
	v_cmp_gt_u32_e32 vcc, v48, v18
	v_cndmask_b32_e64 v19, v54, v19, s[2:3]
	s_waitcnt lgkmcnt(0)
	v_max_u16_e32 v55, v55, v56
	v_cndmask_b32_e64 v53, v55, v53, s[8:9]
	ds_bpermute_b32 v57, v47, v53
	v_cndmask_b32_e64 v52, v55, v56, s[8:9]
	v_cndmask_b32_e64 v19, v55, v19, s[8:9]
	s_waitcnt lgkmcnt(0)
	v_max_u16_e32 v56, v57, v52
	v_cndmask_b32_e32 v53, v56, v53, vcc
	ds_bpermute_b32 v53, v50, v53
	v_cndmask_b32_e32 v52, v56, v52, vcc
	v_cndmask_b32_e32 v19, v56, v19, vcc
	v_cmp_gt_u32_e32 vcc, v51, v18
	s_waitcnt lgkmcnt(0)
	v_max_u16_e32 v52, v53, v52
	v_cndmask_b32_e32 v18, v52, v19, vcc
	v_max_u16_e32 v18, v18, v49
.LBB2488_64:                            ; =>This Loop Header: Depth=1
                                        ;     Child Loop BB2488_67 Depth 2
	v_cmp_ne_u16_sdwa s[2:3], v38, v37 src0_sel:BYTE_0 src1_sel:DWORD
	v_cndmask_b32_e64 v19, 0, 1, s[2:3]
	;;#ASMSTART
	;;#ASMEND
	v_cmp_ne_u32_e32 vcc, 0, v19
	s_cmp_lg_u64 vcc, exec
	v_mov_b32_e32 v49, v18
	s_cbranch_scc1 .LBB2488_69
; %bb.65:                               ;   in Loop: Header=BB2488_64 Depth=1
	v_lshlrev_b64 v[18:19], 2, v[14:15]
	v_mov_b32_e32 v38, s25
	v_add_co_u32_e32 v18, vcc, s24, v18
	v_addc_co_u32_e32 v19, vcc, v38, v19, vcc
	global_load_dword v52, v[18:19], off glc
	s_waitcnt vmcnt(0)
	v_lshrrev_b32_e32 v38, 16, v52
	v_cmp_eq_u16_sdwa s[8:9], v38, v15 src0_sel:BYTE_0 src1_sel:DWORD
	s_and_saveexec_b64 s[2:3], s[8:9]
	s_cbranch_execz .LBB2488_63
; %bb.66:                               ;   in Loop: Header=BB2488_64 Depth=1
	s_mov_b64 s[8:9], 0
.LBB2488_67:                            ;   Parent Loop BB2488_64 Depth=1
                                        ; =>  This Inner Loop Header: Depth=2
	global_load_dword v52, v[18:19], off glc
	s_waitcnt vmcnt(0)
	v_lshrrev_b32_e32 v38, 16, v52
	v_cmp_ne_u16_sdwa s[10:11], v38, v15 src0_sel:BYTE_0 src1_sel:DWORD
	s_or_b64 s[8:9], s[10:11], s[8:9]
	s_andn2_b64 exec, exec, s[8:9]
	s_cbranch_execnz .LBB2488_67
; %bb.68:                               ;   in Loop: Header=BB2488_64 Depth=1
	s_or_b64 exec, exec, s[8:9]
	s_branch .LBB2488_63
.LBB2488_69:                            ;   in Loop: Header=BB2488_64 Depth=1
                                        ; implicit-def: $vgpr18
                                        ; implicit-def: $vgpr38
	s_cbranch_execz .LBB2488_64
; %bb.70:
	s_and_saveexec_b64 s[2:3], s[0:1]
	s_cbranch_execz .LBB2488_72
; %bb.71:
	s_add_i32 s0, s6, 64
	s_mov_b32 s1, 0
	s_lshl_b64 s[0:1], s[0:1], 2
	v_max_u16_e32 v14, v49, v36
	s_add_u32 s0, s24, s0
	v_or_b32_e32 v14, 0x20000, v14
	s_addc_u32 s1, s25, s1
	v_mov_b32_e32 v15, 0
	global_store_dword v15, v14, s[0:1]
.LBB2488_72:
	s_or_b64 exec, exec, s[2:3]
	v_cmp_eq_u32_e32 vcc, 0, v0
	s_and_b64 exec, exec, vcc
	s_cbranch_execz .LBB2488_74
; %bb.73:
	v_mov_b32_e32 v14, 0
	ds_write_b16 v14, v49
.LBB2488_74:
	s_or_b64 exec, exec, s[14:15]
	v_mov_b32_e32 v14, 0
	s_waitcnt lgkmcnt(0)
	; wave barrier
	s_waitcnt lgkmcnt(0)
	ds_read_u16 v14, v14
	v_cmp_eq_u32_e32 vcc, 0, v0
	s_waitcnt lgkmcnt(0)
	v_max_u16_e32 v15, v14, v35
	v_cndmask_b32_e32 v15, v15, v14, vcc
	v_max_u16_e32 v14, v15, v10
	v_max_u16_sdwa v16, v14, v10 dst_sel:DWORD dst_unused:UNUSED_PAD src0_sel:DWORD src1_sel:WORD_1
	v_max_u16_e32 v17, v16, v11
	v_max_u16_e32 v18, v17, v31
	;; [unrolled: 1-line block ×21, first 2 shown]
	s_load_dwordx8 s[8:15], s[4:5], 0x38
	s_branch .LBB2488_83
.LBB2488_75:
                                        ; implicit-def: $vgpr15
                                        ; implicit-def: $vgpr14
                                        ; implicit-def: $vgpr16
                                        ; implicit-def: $vgpr17
                                        ; implicit-def: $vgpr18
                                        ; implicit-def: $vgpr35
                                        ; implicit-def: $vgpr37
                                        ; implicit-def: $vgpr39
                                        ; implicit-def: $vgpr19
                                        ; implicit-def: $vgpr36
                                        ; implicit-def: $vgpr38
                                        ; implicit-def: $vgpr40
                                        ; implicit-def: $vgpr41
                                        ; implicit-def: $vgpr43
                                        ; implicit-def: $vgpr45
                                        ; implicit-def: $vgpr47
                                        ; implicit-def: $vgpr42
                                        ; implicit-def: $vgpr44
                                        ; implicit-def: $vgpr46
                                        ; implicit-def: $vgpr48
                                        ; implicit-def: $vgpr49
                                        ; implicit-def: $vgpr50
                                        ; implicit-def: $vgpr51
                                        ; implicit-def: $vgpr52
	s_load_dwordx8 s[8:15], s[4:5], 0x38
	s_cbranch_execz .LBB2488_83
; %bb.76:
	s_load_dword s0, s[4:5], 0x20
	s_waitcnt lgkmcnt(0)
	s_cmp_eq_u64 s[12:13], 0
	v_mov_b32_e32 v52, s0
	s_cbranch_scc1 .LBB2488_78
; %bb.77:
	v_mov_b32_e32 v14, 0
	global_load_ushort v16, v14, s[8:9]
	v_mov_b32_e32 v15, s28
	v_add_co_u32_e64 v14, vcc, -2, s27
	v_addc_co_u32_e32 v15, vcc, -1, v15, vcc
	flat_load_ushort v14, v[14:15]
	s_waitcnt vmcnt(0) lgkmcnt(0)
	v_max_u16_e32 v52, v16, v14
.LBB2488_78:
	v_max3_u16 v14, v34, v12, v30
	v_max3_u16 v14, v14, v13, v29
	;; [unrolled: 1-line block ×10, first 2 shown]
	v_mbcnt_hi_u32_b32 v14, -1, v33
	v_and_b32_e32 v17, 0xffff, v15
	v_and_b32_e32 v16, 15, v14
	v_cmp_eq_u32_e32 vcc, 0, v16
	v_mov_b32_dpp v17, v17 row_shr:1 row_mask:0xf bank_mask:0xf
	v_max_u16_e32 v17, v17, v15
	v_cndmask_b32_e32 v15, v17, v15, vcc
	v_and_b32_e32 v17, 0xffff, v15
	v_cmp_lt_u32_e32 vcc, 1, v16
	s_nop 0
	v_mov_b32_dpp v17, v17 row_shr:2 row_mask:0xf bank_mask:0xf
	v_max_u16_e32 v17, v17, v15
	v_cndmask_b32_e32 v15, v15, v17, vcc
	v_and_b32_e32 v17, 0xffff, v15
	v_cmp_lt_u32_e32 vcc, 3, v16
	s_nop 0
	;; [unrolled: 6-line block ×3, first 2 shown]
	v_mov_b32_dpp v17, v17 row_shr:8 row_mask:0xf bank_mask:0xf
	v_max_u16_e32 v17, v17, v15
	v_cndmask_b32_e32 v15, v15, v17, vcc
	v_and_b32_e32 v16, 0xffff, v15
	v_and_b32_e32 v17, 16, v14
	v_cmp_eq_u32_e32 vcc, 0, v17
	v_mov_b32_dpp v16, v16 row_bcast:15 row_mask:0xf bank_mask:0xf
	v_max_u16_e32 v16, v16, v15
	v_cndmask_b32_e32 v15, v16, v15, vcc
	v_and_b32_e32 v16, 0xffff, v15
	v_cmp_lt_u32_e32 vcc, 31, v14
	s_nop 0
	v_mov_b32_dpp v16, v16 row_bcast:31 row_mask:0xf bank_mask:0xf
	v_max_u16_e32 v16, v16, v15
	v_cndmask_b32_e32 v15, v15, v16, vcc
	v_cmp_eq_u32_e32 vcc, 63, v0
	s_and_saveexec_b64 s[0:1], vcc
	s_cbranch_execz .LBB2488_80
; %bb.79:
	v_mov_b32_e32 v16, 0
	ds_write_b16 v16, v15
.LBB2488_80:
	s_or_b64 exec, exec, s[0:1]
	v_add_u32_e32 v16, -1, v14
	v_and_b32_e32 v17, 64, v14
	v_cmp_lt_i32_e32 vcc, v16, v17
	v_cndmask_b32_e32 v16, v16, v14, vcc
	v_max_u16_e32 v15, v52, v15
	v_lshlrev_b32_e32 v16, 2, v16
	ds_bpermute_b32 v15, v16, v15
	v_cmp_eq_u32_e32 vcc, 0, v14
	v_cmp_eq_u32_e64 s[0:1], 0, v0
	s_or_b64 vcc, s[0:1], vcc
	s_waitcnt lgkmcnt(0)
	v_cndmask_b32_e32 v15, v15, v52, vcc
	v_max_u16_e32 v14, v15, v10
	v_max_u16_sdwa v16, v14, v10 dst_sel:DWORD dst_unused:UNUSED_PAD src0_sel:DWORD src1_sel:WORD_1
	v_max_u16_e32 v17, v16, v11
	v_max_u16_e32 v18, v17, v31
	;; [unrolled: 1-line block ×20, first 2 shown]
	; wave barrier
	s_and_saveexec_b64 s[2:3], s[0:1]
	s_cbranch_execz .LBB2488_82
; %bb.81:
	v_mov_b32_e32 v1, 0
	ds_read_u16 v2, v1
	v_mov_b32_e32 v15, v52
	s_waitcnt lgkmcnt(0)
	v_max_u16_e32 v2, v52, v2
	v_or_b32_e32 v2, 0x20000, v2
	global_store_dword v1, v2, s[24:25] offset:256
.LBB2488_82:
	s_or_b64 exec, exec, s[2:3]
	v_max_u16_e32 v52, v51, v5
.LBB2488_83:
	s_add_u32 s0, s16, s20
	s_addc_u32 s1, s17, s21
	s_add_u32 s2, s0, s22
	s_addc_u32 s3, s1, s23
	s_mov_b64 s[0:1], -1
	s_and_b64 vcc, exec, s[18:19]
	s_waitcnt lgkmcnt(0)
	; wave barrier
	s_waitcnt lgkmcnt(0)
	s_cbranch_vccz .LBB2488_85
; %bb.84:
	s_mov_b32 s0, 0x5040100
	v_perm_b32 v5, v39, v37, s0
	v_perm_b32 v4, v35, v18, s0
	v_perm_b32 v3, v17, v16, s0
	v_perm_b32 v2, v14, v15, s0
	ds_write_b128 v22, v[2:5]
	v_perm_b32 v5, v47, v45, s0
	v_perm_b32 v4, v43, v41, s0
	;; [unrolled: 1-line block ×4, first 2 shown]
	ds_write_b128 v22, v[2:5] offset:16
	v_perm_b32 v5, v52, v51, s0
	v_perm_b32 v4, v50, v49, s0
	;; [unrolled: 1-line block ×4, first 2 shown]
	ds_write_b128 v22, v[2:5] offset:32
	s_waitcnt lgkmcnt(0)
	; wave barrier
	s_waitcnt lgkmcnt(0)
	ds_read_u16 v1, v20
	ds_read_u16 v4, v20 offset:128
	ds_read_u16 v5, v20 offset:256
	ds_read_u16 v6, v20 offset:384
	ds_read_u16 v7, v20 offset:512
	ds_read_u16 v8, v20 offset:640
	ds_read_u16 v9, v20 offset:768
	ds_read_u16 v10, v20 offset:896
	ds_read_u16 v11, v20 offset:1024
	ds_read_u16 v12, v20 offset:1152
	ds_read_u16 v13, v20 offset:1280
	ds_read_u16 v23, v20 offset:1408
	ds_read_u16 v24, v20 offset:1536
	ds_read_u16 v25, v20 offset:1664
	ds_read_u16 v26, v20 offset:1792
	ds_read_u16 v27, v20 offset:1920
	ds_read_u16 v28, v20 offset:2048
	ds_read_u16 v29, v20 offset:2176
	ds_read_u16 v30, v20 offset:2304
	ds_read_u16 v31, v20 offset:2432
	ds_read_u16 v32, v20 offset:2560
	ds_read_u16 v33, v20 offset:2688
	ds_read_u16 v34, v20 offset:2816
	ds_read_u16 v53, v20 offset:2944
	v_mov_b32_e32 v3, s3
	v_add_co_u32_e32 v2, vcc, s2, v20
	v_addc_co_u32_e32 v3, vcc, 0, v3, vcc
	s_waitcnt lgkmcnt(14)
	flat_store_short v[2:3], v1
	flat_store_short v[2:3], v4 offset:128
	flat_store_short v[2:3], v5 offset:256
	;; [unrolled: 1-line block ×9, first 2 shown]
	s_waitcnt lgkmcnt(0)
	flat_store_short v[2:3], v13 offset:1280
	flat_store_short v[2:3], v23 offset:1408
	;; [unrolled: 1-line block ×14, first 2 shown]
	s_mov_b64 s[0:1], 0
.LBB2488_85:
	s_andn2_b64 vcc, exec, s[0:1]
	s_cbranch_vccnz .LBB2488_142
; %bb.86:
	s_mov_b32 s0, 0x5040100
	v_perm_b32 v5, v39, v37, s0
	v_perm_b32 v4, v35, v18, s0
	;; [unrolled: 1-line block ×4, first 2 shown]
	ds_write_b128 v22, v[2:5]
	v_perm_b32 v5, v47, v45, s0
	v_perm_b32 v4, v43, v41, s0
	;; [unrolled: 1-line block ×4, first 2 shown]
	ds_write_b128 v22, v[2:5] offset:16
	v_perm_b32 v5, v52, v51, s0
	v_perm_b32 v4, v50, v49, s0
	;; [unrolled: 1-line block ×4, first 2 shown]
	s_movk_i32 s0, 0xffd2
	ds_write_b128 v22, v[2:5] offset:32
	v_mad_i32_i24 v2, v0, s0, v22
	s_waitcnt lgkmcnt(0)
	; wave barrier
	s_waitcnt lgkmcnt(0)
	ds_read_u16 v5, v2
	ds_read_u16 v4, v2 offset:128
	ds_read_u16 v7, v2 offset:256
	;; [unrolled: 1-line block ×23, first 2 shown]
	v_mov_b32_e32 v3, s3
	v_add_co_u32_e32 v2, vcc, s2, v20
	v_addc_co_u32_e32 v3, vcc, 0, v3, vcc
	v_mov_b32_e32 v1, 0
	v_cmp_gt_u32_e32 vcc, s7, v0
	s_and_saveexec_b64 s[0:1], vcc
	s_cbranch_execz .LBB2488_88
; %bb.87:
	s_waitcnt lgkmcnt(0)
	flat_store_short v[2:3], v5
.LBB2488_88:
	s_or_b64 exec, exec, s[0:1]
	v_or_b32_e32 v20, 64, v0
	v_cmp_gt_u32_e32 vcc, s7, v20
	s_and_saveexec_b64 s[0:1], vcc
	s_cbranch_execz .LBB2488_90
; %bb.89:
	s_waitcnt lgkmcnt(0)
	flat_store_short v[2:3], v4 offset:128
.LBB2488_90:
	s_or_b64 exec, exec, s[0:1]
	v_or_b32_e32 v20, 0x80, v0
	v_cmp_gt_u32_e32 vcc, s7, v20
	s_and_saveexec_b64 s[0:1], vcc
	s_cbranch_execz .LBB2488_92
; %bb.91:
	s_waitcnt lgkmcnt(0)
	flat_store_short v[2:3], v7 offset:256
.LBB2488_92:
	;; [unrolled: 9-line block ×23, first 2 shown]
	s_or_b64 exec, exec, s[0:1]
	v_cmp_lt_u64_e64 s[0:1], s[14:15], 2
	s_and_b64 vcc, exec, s[0:1]
	s_cbranch_vccnz .LBB2488_142
; %bb.135:
	s_add_u32 s0, s7, -1
	s_addc_u32 s1, s26, -1
	s_add_u32 s2, 0, 0xaaaa0000
	s_addc_u32 s3, 0, 42
	s_add_i32 s3, s3, 0xaaaaa80
	s_mul_hi_u32 s7, s2, 0xffffffe8
	s_sub_i32 s7, s7, s2
	s_mul_i32 s8, s3, 0xffffffe8
	s_mul_i32 s4, s2, 0xffffffe8
	s_add_i32 s7, s7, s8
	s_mul_hi_u32 s5, s3, s4
	s_mul_i32 s6, s3, s4
	s_mul_i32 s9, s2, s7
	s_mul_hi_u32 s4, s2, s4
	s_mul_hi_u32 s8, s2, s7
	s_add_u32 s4, s4, s9
	s_addc_u32 s8, 0, s8
	s_add_u32 s4, s4, s6
	s_mul_hi_u32 s9, s3, s7
	s_addc_u32 s4, s8, s5
	s_addc_u32 s5, s9, 0
	s_mul_i32 s6, s3, s7
	s_add_u32 s4, s4, s6
	v_mov_b32_e32 v2, s4
	s_addc_u32 s5, 0, s5
	v_add_co_u32_e32 v2, vcc, s2, v2
	s_cmp_lg_u64 vcc, 0
	s_addc_u32 s2, s3, s5
	v_readfirstlane_b32 s5, v2
	s_mul_i32 s4, s0, s2
	s_mul_hi_u32 s6, s0, s5
	s_mul_hi_u32 s3, s0, s2
	s_add_u32 s4, s6, s4
	s_addc_u32 s3, 0, s3
	s_mul_hi_u32 s7, s1, s5
	s_mul_i32 s5, s1, s5
	s_add_u32 s4, s4, s5
	s_mul_hi_u32 s6, s1, s2
	s_addc_u32 s3, s3, s7
	s_addc_u32 s4, s6, 0
	s_mul_i32 s2, s1, s2
	s_add_u32 s2, s3, s2
	s_addc_u32 s3, 0, s4
	s_add_u32 s4, s2, 1
	s_addc_u32 s5, s3, 0
	s_add_u32 s6, s2, 2
	s_mul_i32 s8, s3, 24
	s_mul_hi_u32 s9, s2, 24
	s_addc_u32 s7, s3, 0
	s_add_i32 s9, s9, s8
	s_mul_i32 s8, s2, 24
	v_mov_b32_e32 v2, s8
	v_sub_co_u32_e32 v2, vcc, s0, v2
	s_cmp_lg_u64 vcc, 0
	s_subb_u32 s8, s1, s9
	v_subrev_co_u32_e32 v3, vcc, 24, v2
	s_cmp_lg_u64 vcc, 0
	s_subb_u32 s9, s8, 0
	v_readfirstlane_b32 s12, v3
	s_cmp_gt_u32 s12, 23
	s_cselect_b32 s12, -1, 0
	s_cmp_eq_u32 s9, 0
	s_cselect_b32 s9, s12, -1
	s_cmp_lg_u32 s9, 0
	s_cselect_b32 s4, s6, s4
	v_readfirstlane_b32 s6, v2
	s_cselect_b32 s5, s7, s5
	s_cmp_gt_u32 s6, 23
	s_cselect_b32 s6, -1, 0
	s_cmp_eq_u32 s8, 0
	s_cselect_b32 s6, s6, -1
	s_cmp_lg_u32 s6, 0
	s_cselect_b32 s3, s5, s3
	s_cselect_b32 s2, s4, s2
	v_cmp_eq_u64_e32 vcc, s[2:3], v[0:1]
	s_and_saveexec_b64 s[2:3], vcc
	s_cbranch_execz .LBB2488_142
; %bb.136:
	v_mul_hi_u32_u24_e32 v1, 24, v0
	v_mov_b32_e32 v2, s1
	v_sub_co_u32_e32 v0, vcc, s0, v21
	v_subb_co_u32_e32 v1, vcc, v2, v1, vcc
	v_cmp_lt_i64_e32 vcc, 11, v[0:1]
	s_mov_b64 s[0:1], 0
	s_mov_b64 s[8:9], 0
	;; [unrolled: 1-line block ×4, first 2 shown]
	s_and_saveexec_b64 s[2:3], vcc
	s_xor_b64 s[2:3], exec, s[2:3]
	s_cbranch_execnz .LBB2488_143
; %bb.137:
	s_andn2_saveexec_b64 s[2:3], s[2:3]
	s_cbranch_execnz .LBB2488_188
.LBB2488_138:
	s_or_b64 exec, exec, s[2:3]
	s_and_saveexec_b64 s[2:3], s[8:9]
	s_cbranch_execnz .LBB2488_205
.LBB2488_139:
	s_or_b64 exec, exec, s[2:3]
	s_and_saveexec_b64 s[2:3], s[6:7]
	s_cbranch_execnz .LBB2488_206
.LBB2488_140:
	s_or_b64 exec, exec, s[2:3]
	s_and_saveexec_b64 s[2:3], s[4:5]
	s_xor_b64 s[2:3], exec, s[2:3]
	s_cbranch_execnz .LBB2488_207
.LBB2488_141:
	s_or_b64 exec, exec, s[2:3]
	s_and_b64 exec, exec, s[0:1]
	s_cbranch_execnz .LBB2488_208
.LBB2488_142:
	s_endpgm
.LBB2488_143:
	v_cmp_lt_i64_e32 vcc, 17, v[0:1]
	s_and_saveexec_b64 s[12:13], vcc
	s_xor_b64 s[12:13], exec, s[12:13]
	s_cbranch_execz .LBB2488_165
; %bb.144:
	v_cmp_lt_i64_e32 vcc, 20, v[0:1]
                                        ; implicit-def: $vgpr10
	s_and_saveexec_b64 s[14:15], vcc
	s_xor_b64 s[14:15], exec, s[14:15]
	s_cbranch_execz .LBB2488_154
; %bb.145:
	v_cmp_lt_i64_e32 vcc, 21, v[0:1]
	s_mov_b64 s[16:17], 0
                                        ; implicit-def: $vgpr10
	s_and_saveexec_b64 s[4:5], vcc
	s_xor_b64 s[4:5], exec, s[4:5]
	s_cbranch_execz .LBB2488_151
; %bb.146:
	v_cmp_lt_i64_e32 vcc, 22, v[0:1]
	s_and_saveexec_b64 s[16:17], vcc
	s_xor_b64 s[16:17], exec, s[16:17]
	s_cbranch_execz .LBB2488_148
; %bb.147:
	v_mov_b32_e32 v2, 0
	s_waitcnt lgkmcnt(0)
	global_store_short v2, v29, s[10:11]
                                        ; implicit-def: $vgpr28
.LBB2488_148:
	s_or_saveexec_b64 s[16:17], s[16:17]
	s_mov_b64 s[18:19], 0
	s_xor_b64 exec, exec, s[16:17]
; %bb.149:
	s_mov_b64 s[18:19], exec
; %bb.150:
	s_or_b64 exec, exec, s[16:17]
	s_and_b64 s[16:17], s[18:19], exec
	s_waitcnt lgkmcnt(0)
	v_mov_b32_e32 v10, v28
                                        ; implicit-def: $vgpr11
.LBB2488_151:
	s_andn2_saveexec_b64 s[4:5], s[4:5]
; %bb.152:
	s_mov_b64 s[6:7], exec
                                        ; implicit-def: $vgpr10
; %bb.153:
	s_or_b64 exec, exec, s[4:5]
	s_and_b64 s[4:5], s[16:17], exec
	s_and_b64 s[6:7], s[6:7], exec
                                        ; implicit-def: $vgpr26
                                        ; implicit-def: $vgpr12
                                        ; implicit-def: $vgpr23
.LBB2488_154:
	s_andn2_saveexec_b64 s[14:15], s[14:15]
	s_cbranch_execz .LBB2488_164
; %bb.155:
	v_cmp_lt_i64_e32 vcc, 18, v[0:1]
	s_mov_b64 s[16:17], 0
	s_and_saveexec_b64 s[8:9], vcc
	s_xor_b64 s[8:9], exec, s[8:9]
	s_cbranch_execz .LBB2488_161
; %bb.156:
	v_cmp_lt_i64_e32 vcc, 19, v[0:1]
	s_and_saveexec_b64 s[18:19], vcc
	s_xor_b64 s[18:19], exec, s[18:19]
; %bb.157:
	s_mov_b64 s[16:17], exec
                                        ; implicit-def: $vgpr23
; %bb.158:
	s_andn2_saveexec_b64 s[18:19], s[18:19]
	s_cbranch_execz .LBB2488_160
; %bb.159:
	v_mov_b32_e32 v2, 0
	s_waitcnt lgkmcnt(0)
	global_store_short v2, v23, s[10:11]
                                        ; implicit-def: $vgpr12
.LBB2488_160:
	s_or_b64 exec, exec, s[18:19]
	s_and_b64 s[16:17], s[16:17], exec
                                        ; implicit-def: $vgpr26
.LBB2488_161:
	s_andn2_saveexec_b64 s[8:9], s[8:9]
	s_cbranch_execz .LBB2488_163
; %bb.162:
	v_mov_b32_e32 v2, 0
	s_waitcnt lgkmcnt(0)
	global_store_short v2, v26, s[10:11]
                                        ; implicit-def: $vgpr12
.LBB2488_163:
	s_or_b64 exec, exec, s[8:9]
	s_and_b64 s[8:9], s[16:17], exec
                                        ; implicit-def: $vgpr10
                                        ; implicit-def: $vgpr11
.LBB2488_164:
	s_or_b64 exec, exec, s[14:15]
	s_and_b64 s[4:5], s[4:5], exec
	s_and_b64 s[6:7], s[6:7], exec
	;; [unrolled: 1-line block ×3, first 2 shown]
                                        ; implicit-def: $vgpr18
                                        ; implicit-def: $vgpr13
                                        ; implicit-def: $vgpr14
                                        ; implicit-def: $vgpr24
                                        ; implicit-def: $vgpr27
.LBB2488_165:
	s_andn2_saveexec_b64 s[12:13], s[12:13]
	s_cbranch_execz .LBB2488_187
; %bb.166:
	v_cmp_lt_i64_e32 vcc, 14, v[0:1]
	s_mov_b64 s[14:15], s[4:5]
	s_and_saveexec_b64 s[16:17], vcc
	s_xor_b64 s[16:17], exec, s[16:17]
	s_cbranch_execz .LBB2488_176
; %bb.167:
	v_cmp_lt_i64_e32 vcc, 15, v[0:1]
	s_and_saveexec_b64 s[14:15], vcc
	s_xor_b64 s[14:15], exec, s[14:15]
	s_cbranch_execz .LBB2488_173
; %bb.168:
	v_cmp_lt_i64_e32 vcc, 16, v[0:1]
	s_and_saveexec_b64 s[18:19], vcc
	s_xor_b64 s[18:19], exec, s[18:19]
	s_cbranch_execz .LBB2488_170
; %bb.169:
	v_mov_b32_e32 v2, 0
	s_waitcnt lgkmcnt(0)
	global_store_short v2, v27, s[10:11]
                                        ; implicit-def: $vgpr24
.LBB2488_170:
	s_andn2_saveexec_b64 s[18:19], s[18:19]
	s_cbranch_execz .LBB2488_172
; %bb.171:
	v_mov_b32_e32 v2, 0
	s_waitcnt lgkmcnt(0)
	global_store_short v2, v24, s[10:11]
.LBB2488_172:
	s_or_b64 exec, exec, s[18:19]
                                        ; implicit-def: $vgpr10
.LBB2488_173:
	s_or_saveexec_b64 s[14:15], s[14:15]
	s_mov_b64 s[18:19], s[4:5]
	s_xor_b64 exec, exec, s[14:15]
; %bb.174:
	s_or_b64 s[18:19], s[4:5], exec
; %bb.175:
	s_or_b64 exec, exec, s[14:15]
	s_andn2_b64 s[14:15], s[4:5], exec
	s_and_b64 s[18:19], s[18:19], exec
	s_or_b64 s[14:15], s[14:15], s[18:19]
                                        ; implicit-def: $vgpr18
                                        ; implicit-def: $vgpr13
                                        ; implicit-def: $vgpr14
.LBB2488_176:
	s_or_saveexec_b64 s[16:17], s[16:17]
	s_mov_b64 s[18:19], s[6:7]
                                        ; implicit-def: $vgpr11
	s_xor_b64 exec, exec, s[16:17]
	s_cbranch_execz .LBB2488_186
; %bb.177:
	v_cmp_lt_i64_e32 vcc, 12, v[0:1]
	s_mov_b64 s[20:21], s[6:7]
	s_mov_b64 s[22:23], s[14:15]
                                        ; implicit-def: $vgpr10
                                        ; implicit-def: $vgpr11
	s_and_saveexec_b64 s[18:19], vcc
	s_xor_b64 s[18:19], exec, s[18:19]
	s_cbranch_execz .LBB2488_183
; %bb.178:
	v_cmp_lt_i64_e32 vcc, 13, v[0:1]
	s_mov_b64 s[20:21], s[14:15]
	s_and_saveexec_b64 s[22:23], vcc
	s_xor_b64 s[22:23], exec, s[22:23]
; %bb.179:
	s_or_b64 s[20:21], s[14:15], exec
                                        ; implicit-def: $vgpr13
; %bb.180:
	s_or_saveexec_b64 s[22:23], s[22:23]
	s_mov_b64 s[24:25], s[6:7]
	s_xor_b64 exec, exec, s[22:23]
; %bb.181:
	s_or_b64 s[24:25], s[6:7], exec
                                        ; implicit-def: $vgpr14
; %bb.182:
	s_or_b64 exec, exec, s[22:23]
	s_andn2_b64 s[22:23], s[14:15], exec
	s_and_b64 s[20:21], s[20:21], exec
	s_or_b64 s[22:23], s[22:23], s[20:21]
	s_andn2_b64 s[20:21], s[6:7], exec
	s_and_b64 s[24:25], s[24:25], exec
	s_or_b64 s[20:21], s[20:21], s[24:25]
	s_waitcnt lgkmcnt(0)
	v_mov_b32_e32 v10, v14
	v_mov_b32_e32 v11, v13
                                        ; implicit-def: $vgpr18
.LBB2488_183:
	s_andn2_saveexec_b64 s[18:19], s[18:19]
	s_cbranch_execz .LBB2488_185
; %bb.184:
	s_or_b64 s[20:21], s[20:21], exec
                                        ; implicit-def: $vgpr10
	s_waitcnt lgkmcnt(0)
	v_mov_b32_e32 v11, v18
.LBB2488_185:
	s_or_b64 exec, exec, s[18:19]
	s_andn2_b64 s[14:15], s[14:15], exec
	s_and_b64 s[18:19], s[22:23], exec
	s_or_b64 s[14:15], s[14:15], s[18:19]
	s_andn2_b64 s[18:19], s[6:7], exec
	s_and_b64 s[20:21], s[20:21], exec
	s_or_b64 s[18:19], s[18:19], s[20:21]
.LBB2488_186:
	s_or_b64 exec, exec, s[16:17]
	s_andn2_b64 s[4:5], s[4:5], exec
	s_and_b64 s[14:15], s[14:15], exec
	s_or_b64 s[4:5], s[4:5], s[14:15]
	s_andn2_b64 s[6:7], s[6:7], exec
	s_and_b64 s[14:15], s[18:19], exec
	s_or_b64 s[6:7], s[6:7], s[14:15]
                                        ; implicit-def: $vgpr12
.LBB2488_187:
	s_or_b64 exec, exec, s[12:13]
	s_and_b64 s[4:5], s[4:5], exec
	s_and_b64 s[6:7], s[6:7], exec
	;; [unrolled: 1-line block ×3, first 2 shown]
                                        ; implicit-def: $vgpr17
                                        ; implicit-def: $vgpr15
                                        ; implicit-def: $vgpr16
                                        ; implicit-def: $vgpr25
                                        ; implicit-def: $vgpr22
                                        ; implicit-def: $vgpr19
	s_andn2_saveexec_b64 s[2:3], s[2:3]
	s_cbranch_execz .LBB2488_138
.LBB2488_188:
	v_cmp_lt_i64_e32 vcc, 5, v[0:1]
	s_mov_b64 s[14:15], -1
	s_mov_b64 s[12:13], s[8:9]
	s_mov_b64 s[16:17], s[6:7]
	;; [unrolled: 1-line block ×3, first 2 shown]
                                        ; implicit-def: $vgpr10
                                        ; implicit-def: $vgpr11
                                        ; implicit-def: $vgpr12
	s_and_saveexec_b64 s[0:1], vcc
	s_cbranch_execz .LBB2488_204
; %bb.189:
	v_cmp_lt_i64_e32 vcc, 8, v[0:1]
	s_mov_b64 s[12:13], s[8:9]
                                        ; implicit-def: $vgpr12
	s_and_saveexec_b64 s[14:15], vcc
	s_xor_b64 s[14:15], exec, s[14:15]
	s_cbranch_execz .LBB2488_199
; %bb.190:
	v_cmp_lt_i64_e32 vcc, 9, v[0:1]
	s_and_saveexec_b64 s[12:13], vcc
	s_xor_b64 s[12:13], exec, s[12:13]
	s_cbranch_execz .LBB2488_196
; %bb.191:
	v_cmp_lt_i64_e32 vcc, 10, v[0:1]
	s_and_saveexec_b64 s[16:17], vcc
	s_xor_b64 s[16:17], exec, s[16:17]
; %bb.192:
                                        ; implicit-def: $vgpr22
; %bb.193:
	s_andn2_saveexec_b64 s[16:17], s[16:17]
	s_cbranch_execz .LBB2488_195
; %bb.194:
	s_waitcnt lgkmcnt(0)
	v_mov_b32_e32 v19, v22
.LBB2488_195:
	s_or_b64 exec, exec, s[16:17]
                                        ; implicit-def: $vgpr25
.LBB2488_196:
	s_andn2_saveexec_b64 s[12:13], s[12:13]
	s_cbranch_execz .LBB2488_198
; %bb.197:
	s_waitcnt lgkmcnt(0)
	v_mov_b32_e32 v19, v25
.LBB2488_198:
	s_or_b64 exec, exec, s[12:13]
	s_or_b64 s[12:13], s[8:9], exec
	s_waitcnt lgkmcnt(0)
	v_mov_b32_e32 v12, v19
                                        ; implicit-def: $vgpr17
                                        ; implicit-def: $vgpr15
                                        ; implicit-def: $vgpr16
.LBB2488_199:
	s_or_saveexec_b64 s[14:15], s[14:15]
	s_mov_b64 s[16:17], s[6:7]
	s_mov_b64 s[20:21], s[4:5]
                                        ; implicit-def: $vgpr10
                                        ; implicit-def: $vgpr11
	s_xor_b64 exec, exec, s[14:15]
	s_cbranch_execz .LBB2488_203
; %bb.200:
	v_cmp_lt_i64_e32 vcc, 6, v[0:1]
	s_mov_b64 s[20:21], -1
	s_mov_b64 s[18:19], s[12:13]
	s_mov_b64 s[16:17], s[6:7]
	s_and_saveexec_b64 s[22:23], vcc
; %bb.201:
	v_cmp_lt_i64_e32 vcc, 7, v[0:1]
	s_andn2_b64 s[18:19], s[12:13], exec
	s_and_b64 s[24:25], vcc, exec
	s_xor_b64 s[20:21], exec, -1
	s_or_b64 s[16:17], s[6:7], exec
	s_or_b64 s[18:19], s[18:19], s[24:25]
                                        ; implicit-def: $vgpr17
; %bb.202:
	s_or_b64 exec, exec, s[22:23]
	s_andn2_b64 s[22:23], s[4:5], exec
	s_and_b64 s[20:21], s[20:21], exec
	s_or_b64 s[20:21], s[22:23], s[20:21]
	s_andn2_b64 s[22:23], s[6:7], exec
	s_and_b64 s[16:17], s[16:17], exec
	s_andn2_b64 s[12:13], s[12:13], exec
	s_and_b64 s[18:19], s[18:19], exec
	s_or_b64 s[16:17], s[22:23], s[16:17]
	s_or_b64 s[12:13], s[12:13], s[18:19]
	s_waitcnt lgkmcnt(0)
	v_mov_b32_e32 v10, v17
	v_mov_b32_e32 v11, v15
	;; [unrolled: 1-line block ×3, first 2 shown]
.LBB2488_203:
	s_or_b64 exec, exec, s[14:15]
	s_andn2_b64 s[18:19], s[4:5], exec
	s_and_b64 s[20:21], s[20:21], exec
	s_or_b64 s[18:19], s[18:19], s[20:21]
	s_andn2_b64 s[20:21], s[6:7], exec
	s_and_b64 s[16:17], s[16:17], exec
	s_or_b64 s[16:17], s[20:21], s[16:17]
	s_andn2_b64 s[20:21], s[8:9], exec
	s_and_b64 s[12:13], s[12:13], exec
	s_xor_b64 s[14:15], exec, -1
	s_or_b64 s[12:13], s[20:21], s[12:13]
.LBB2488_204:
	s_or_b64 exec, exec, s[0:1]
	s_and_b64 s[0:1], s[14:15], exec
	s_andn2_b64 s[4:5], s[4:5], exec
	s_and_b64 s[14:15], s[18:19], exec
	s_or_b64 s[4:5], s[4:5], s[14:15]
	s_andn2_b64 s[6:7], s[6:7], exec
	s_and_b64 s[14:15], s[16:17], exec
	s_andn2_b64 s[8:9], s[8:9], exec
	s_and_b64 s[12:13], s[12:13], exec
	s_or_b64 s[6:7], s[6:7], s[14:15]
	s_or_b64 s[8:9], s[8:9], s[12:13]
	s_or_b64 exec, exec, s[2:3]
	s_and_saveexec_b64 s[2:3], s[8:9]
	s_cbranch_execz .LBB2488_139
.LBB2488_205:
	v_mov_b32_e32 v2, 0
	s_andn2_b64 s[6:7], s[6:7], exec
	s_waitcnt lgkmcnt(0)
	global_store_short v2, v12, s[10:11]
                                        ; implicit-def: $vgpr10
                                        ; implicit-def: $vgpr11
	s_or_b64 exec, exec, s[2:3]
	s_and_saveexec_b64 s[2:3], s[6:7]
	s_cbranch_execz .LBB2488_140
.LBB2488_206:
	v_mov_b32_e32 v2, 0
	s_waitcnt lgkmcnt(0)
	global_store_short v2, v11, s[10:11]
                                        ; implicit-def: $vgpr10
	s_or_b64 exec, exec, s[2:3]
	s_and_saveexec_b64 s[2:3], s[4:5]
	s_xor_b64 s[2:3], exec, s[2:3]
	s_cbranch_execz .LBB2488_141
.LBB2488_207:
	v_mov_b32_e32 v2, 0
	s_waitcnt lgkmcnt(0)
	global_store_short v2, v10, s[10:11]
	s_or_b64 exec, exec, s[2:3]
	s_and_b64 exec, exec, s[0:1]
	s_cbranch_execz .LBB2488_142
.LBB2488_208:
	v_cmp_lt_i64_e32 vcc, 2, v[0:1]
	s_and_saveexec_b64 s[0:1], vcc
	s_xor_b64 s[0:1], exec, s[0:1]
	s_cbranch_execz .LBB2488_218
; %bb.209:
	v_cmp_lt_i64_e32 vcc, 3, v[0:1]
	s_and_saveexec_b64 s[2:3], vcc
	s_xor_b64 s[2:3], exec, s[2:3]
	s_cbranch_execz .LBB2488_215
; %bb.210:
	;; [unrolled: 5-line block ×3, first 2 shown]
	v_mov_b32_e32 v0, 0
	s_waitcnt lgkmcnt(0)
	global_store_short v0, v9, s[10:11]
                                        ; implicit-def: $vgpr6
.LBB2488_212:
	s_andn2_saveexec_b64 s[4:5], s[4:5]
	s_cbranch_execz .LBB2488_214
; %bb.213:
	v_mov_b32_e32 v0, 0
	s_waitcnt lgkmcnt(0)
	global_store_short v0, v6, s[10:11]
.LBB2488_214:
	s_or_b64 exec, exec, s[4:5]
                                        ; implicit-def: $vgpr8
.LBB2488_215:
	s_andn2_saveexec_b64 s[2:3], s[2:3]
	s_cbranch_execz .LBB2488_217
; %bb.216:
	v_mov_b32_e32 v0, 0
	s_waitcnt lgkmcnt(0)
	global_store_short v0, v8, s[10:11]
.LBB2488_217:
	s_or_b64 exec, exec, s[2:3]
                                        ; implicit-def: $vgpr0_vgpr1
                                        ; implicit-def: $vgpr7
                                        ; implicit-def: $vgpr4
                                        ; implicit-def: $vgpr5
.LBB2488_218:
	s_andn2_saveexec_b64 s[0:1], s[0:1]
	s_cbranch_execz .LBB2488_142
; %bb.219:
	v_cmp_lt_i64_e32 vcc, 1, v[0:1]
	s_and_saveexec_b64 s[0:1], vcc
	s_xor_b64 s[0:1], exec, s[0:1]
	s_cbranch_execz .LBB2488_221
; %bb.220:
	v_mov_b32_e32 v0, 0
	s_waitcnt lgkmcnt(0)
	global_store_short v0, v7, s[10:11]
                                        ; implicit-def: $vgpr4
                                        ; implicit-def: $vgpr0_vgpr1
                                        ; implicit-def: $vgpr5
.LBB2488_221:
	s_andn2_saveexec_b64 s[0:1], s[0:1]
	s_cbranch_execz .LBB2488_142
; %bb.222:
	v_cmp_ne_u64_e32 vcc, 1, v[0:1]
	s_and_saveexec_b64 s[0:1], vcc
	s_xor_b64 s[0:1], exec, s[0:1]
	s_cbranch_execz .LBB2488_224
; %bb.223:
	v_mov_b32_e32 v0, 0
	s_waitcnt lgkmcnt(0)
	global_store_short v0, v5, s[10:11]
                                        ; implicit-def: $vgpr4
.LBB2488_224:
	s_andn2_saveexec_b64 s[0:1], s[0:1]
	s_cbranch_execz .LBB2488_142
; %bb.225:
	v_mov_b32_e32 v0, 0
	s_waitcnt lgkmcnt(0)
	global_store_short v0, v4, s[10:11]
	s_endpgm
	.section	.rodata,"a",@progbits
	.p2align	6, 0x0
	.amdhsa_kernel _ZN7rocprim17ROCPRIM_400000_NS6detail17trampoline_kernelINS0_14default_configENS1_20scan_config_selectorItEEZZNS1_9scan_implILNS1_25lookback_scan_determinismE0ELb1ELb1ES3_N6thrust23THRUST_200600_302600_NS6detail15normal_iteratorINS9_10device_ptrItEEEESE_t11max_functorItEtEEDaPvRmT3_T4_T5_mT6_P12ihipStream_tbENKUlT_T0_E_clISt17integral_constantIbLb0EESU_EEDaSP_SQ_EUlSP_E_NS1_11comp_targetILNS1_3genE4ELNS1_11target_archE910ELNS1_3gpuE8ELNS1_3repE0EEENS1_30default_config_static_selectorELNS0_4arch9wavefront6targetE1EEEvT1_
		.amdhsa_group_segment_fixed_size 3072
		.amdhsa_private_segment_fixed_size 0
		.amdhsa_kernarg_size 96
		.amdhsa_user_sgpr_count 6
		.amdhsa_user_sgpr_private_segment_buffer 1
		.amdhsa_user_sgpr_dispatch_ptr 0
		.amdhsa_user_sgpr_queue_ptr 0
		.amdhsa_user_sgpr_kernarg_segment_ptr 1
		.amdhsa_user_sgpr_dispatch_id 0
		.amdhsa_user_sgpr_flat_scratch_init 0
		.amdhsa_user_sgpr_kernarg_preload_length 0
		.amdhsa_user_sgpr_kernarg_preload_offset 0
		.amdhsa_user_sgpr_private_segment_size 0
		.amdhsa_uses_dynamic_stack 0
		.amdhsa_system_sgpr_private_segment_wavefront_offset 0
		.amdhsa_system_sgpr_workgroup_id_x 1
		.amdhsa_system_sgpr_workgroup_id_y 0
		.amdhsa_system_sgpr_workgroup_id_z 0
		.amdhsa_system_sgpr_workgroup_info 0
		.amdhsa_system_vgpr_workitem_id 0
		.amdhsa_next_free_vgpr 58
		.amdhsa_next_free_sgpr 29
		.amdhsa_accum_offset 60
		.amdhsa_reserve_vcc 1
		.amdhsa_reserve_flat_scratch 0
		.amdhsa_float_round_mode_32 0
		.amdhsa_float_round_mode_16_64 0
		.amdhsa_float_denorm_mode_32 3
		.amdhsa_float_denorm_mode_16_64 3
		.amdhsa_dx10_clamp 1
		.amdhsa_ieee_mode 1
		.amdhsa_fp16_overflow 0
		.amdhsa_tg_split 0
		.amdhsa_exception_fp_ieee_invalid_op 0
		.amdhsa_exception_fp_denorm_src 0
		.amdhsa_exception_fp_ieee_div_zero 0
		.amdhsa_exception_fp_ieee_overflow 0
		.amdhsa_exception_fp_ieee_underflow 0
		.amdhsa_exception_fp_ieee_inexact 0
		.amdhsa_exception_int_div_zero 0
	.end_amdhsa_kernel
	.section	.text._ZN7rocprim17ROCPRIM_400000_NS6detail17trampoline_kernelINS0_14default_configENS1_20scan_config_selectorItEEZZNS1_9scan_implILNS1_25lookback_scan_determinismE0ELb1ELb1ES3_N6thrust23THRUST_200600_302600_NS6detail15normal_iteratorINS9_10device_ptrItEEEESE_t11max_functorItEtEEDaPvRmT3_T4_T5_mT6_P12ihipStream_tbENKUlT_T0_E_clISt17integral_constantIbLb0EESU_EEDaSP_SQ_EUlSP_E_NS1_11comp_targetILNS1_3genE4ELNS1_11target_archE910ELNS1_3gpuE8ELNS1_3repE0EEENS1_30default_config_static_selectorELNS0_4arch9wavefront6targetE1EEEvT1_,"axG",@progbits,_ZN7rocprim17ROCPRIM_400000_NS6detail17trampoline_kernelINS0_14default_configENS1_20scan_config_selectorItEEZZNS1_9scan_implILNS1_25lookback_scan_determinismE0ELb1ELb1ES3_N6thrust23THRUST_200600_302600_NS6detail15normal_iteratorINS9_10device_ptrItEEEESE_t11max_functorItEtEEDaPvRmT3_T4_T5_mT6_P12ihipStream_tbENKUlT_T0_E_clISt17integral_constantIbLb0EESU_EEDaSP_SQ_EUlSP_E_NS1_11comp_targetILNS1_3genE4ELNS1_11target_archE910ELNS1_3gpuE8ELNS1_3repE0EEENS1_30default_config_static_selectorELNS0_4arch9wavefront6targetE1EEEvT1_,comdat
.Lfunc_end2488:
	.size	_ZN7rocprim17ROCPRIM_400000_NS6detail17trampoline_kernelINS0_14default_configENS1_20scan_config_selectorItEEZZNS1_9scan_implILNS1_25lookback_scan_determinismE0ELb1ELb1ES3_N6thrust23THRUST_200600_302600_NS6detail15normal_iteratorINS9_10device_ptrItEEEESE_t11max_functorItEtEEDaPvRmT3_T4_T5_mT6_P12ihipStream_tbENKUlT_T0_E_clISt17integral_constantIbLb0EESU_EEDaSP_SQ_EUlSP_E_NS1_11comp_targetILNS1_3genE4ELNS1_11target_archE910ELNS1_3gpuE8ELNS1_3repE0EEENS1_30default_config_static_selectorELNS0_4arch9wavefront6targetE1EEEvT1_, .Lfunc_end2488-_ZN7rocprim17ROCPRIM_400000_NS6detail17trampoline_kernelINS0_14default_configENS1_20scan_config_selectorItEEZZNS1_9scan_implILNS1_25lookback_scan_determinismE0ELb1ELb1ES3_N6thrust23THRUST_200600_302600_NS6detail15normal_iteratorINS9_10device_ptrItEEEESE_t11max_functorItEtEEDaPvRmT3_T4_T5_mT6_P12ihipStream_tbENKUlT_T0_E_clISt17integral_constantIbLb0EESU_EEDaSP_SQ_EUlSP_E_NS1_11comp_targetILNS1_3genE4ELNS1_11target_archE910ELNS1_3gpuE8ELNS1_3repE0EEENS1_30default_config_static_selectorELNS0_4arch9wavefront6targetE1EEEvT1_
                                        ; -- End function
	.section	.AMDGPU.csdata,"",@progbits
; Kernel info:
; codeLenInByte = 7868
; NumSgprs: 33
; NumVgprs: 58
; NumAgprs: 0
; TotalNumVgprs: 58
; ScratchSize: 0
; MemoryBound: 0
; FloatMode: 240
; IeeeMode: 1
; LDSByteSize: 3072 bytes/workgroup (compile time only)
; SGPRBlocks: 4
; VGPRBlocks: 7
; NumSGPRsForWavesPerEU: 33
; NumVGPRsForWavesPerEU: 58
; AccumOffset: 60
; Occupancy: 6
; WaveLimiterHint : 1
; COMPUTE_PGM_RSRC2:SCRATCH_EN: 0
; COMPUTE_PGM_RSRC2:USER_SGPR: 6
; COMPUTE_PGM_RSRC2:TRAP_HANDLER: 0
; COMPUTE_PGM_RSRC2:TGID_X_EN: 1
; COMPUTE_PGM_RSRC2:TGID_Y_EN: 0
; COMPUTE_PGM_RSRC2:TGID_Z_EN: 0
; COMPUTE_PGM_RSRC2:TIDIG_COMP_CNT: 0
; COMPUTE_PGM_RSRC3_GFX90A:ACCUM_OFFSET: 14
; COMPUTE_PGM_RSRC3_GFX90A:TG_SPLIT: 0
	.section	.text._ZN7rocprim17ROCPRIM_400000_NS6detail17trampoline_kernelINS0_14default_configENS1_20scan_config_selectorItEEZZNS1_9scan_implILNS1_25lookback_scan_determinismE0ELb1ELb1ES3_N6thrust23THRUST_200600_302600_NS6detail15normal_iteratorINS9_10device_ptrItEEEESE_t11max_functorItEtEEDaPvRmT3_T4_T5_mT6_P12ihipStream_tbENKUlT_T0_E_clISt17integral_constantIbLb0EESU_EEDaSP_SQ_EUlSP_E_NS1_11comp_targetILNS1_3genE3ELNS1_11target_archE908ELNS1_3gpuE7ELNS1_3repE0EEENS1_30default_config_static_selectorELNS0_4arch9wavefront6targetE1EEEvT1_,"axG",@progbits,_ZN7rocprim17ROCPRIM_400000_NS6detail17trampoline_kernelINS0_14default_configENS1_20scan_config_selectorItEEZZNS1_9scan_implILNS1_25lookback_scan_determinismE0ELb1ELb1ES3_N6thrust23THRUST_200600_302600_NS6detail15normal_iteratorINS9_10device_ptrItEEEESE_t11max_functorItEtEEDaPvRmT3_T4_T5_mT6_P12ihipStream_tbENKUlT_T0_E_clISt17integral_constantIbLb0EESU_EEDaSP_SQ_EUlSP_E_NS1_11comp_targetILNS1_3genE3ELNS1_11target_archE908ELNS1_3gpuE7ELNS1_3repE0EEENS1_30default_config_static_selectorELNS0_4arch9wavefront6targetE1EEEvT1_,comdat
	.protected	_ZN7rocprim17ROCPRIM_400000_NS6detail17trampoline_kernelINS0_14default_configENS1_20scan_config_selectorItEEZZNS1_9scan_implILNS1_25lookback_scan_determinismE0ELb1ELb1ES3_N6thrust23THRUST_200600_302600_NS6detail15normal_iteratorINS9_10device_ptrItEEEESE_t11max_functorItEtEEDaPvRmT3_T4_T5_mT6_P12ihipStream_tbENKUlT_T0_E_clISt17integral_constantIbLb0EESU_EEDaSP_SQ_EUlSP_E_NS1_11comp_targetILNS1_3genE3ELNS1_11target_archE908ELNS1_3gpuE7ELNS1_3repE0EEENS1_30default_config_static_selectorELNS0_4arch9wavefront6targetE1EEEvT1_ ; -- Begin function _ZN7rocprim17ROCPRIM_400000_NS6detail17trampoline_kernelINS0_14default_configENS1_20scan_config_selectorItEEZZNS1_9scan_implILNS1_25lookback_scan_determinismE0ELb1ELb1ES3_N6thrust23THRUST_200600_302600_NS6detail15normal_iteratorINS9_10device_ptrItEEEESE_t11max_functorItEtEEDaPvRmT3_T4_T5_mT6_P12ihipStream_tbENKUlT_T0_E_clISt17integral_constantIbLb0EESU_EEDaSP_SQ_EUlSP_E_NS1_11comp_targetILNS1_3genE3ELNS1_11target_archE908ELNS1_3gpuE7ELNS1_3repE0EEENS1_30default_config_static_selectorELNS0_4arch9wavefront6targetE1EEEvT1_
	.globl	_ZN7rocprim17ROCPRIM_400000_NS6detail17trampoline_kernelINS0_14default_configENS1_20scan_config_selectorItEEZZNS1_9scan_implILNS1_25lookback_scan_determinismE0ELb1ELb1ES3_N6thrust23THRUST_200600_302600_NS6detail15normal_iteratorINS9_10device_ptrItEEEESE_t11max_functorItEtEEDaPvRmT3_T4_T5_mT6_P12ihipStream_tbENKUlT_T0_E_clISt17integral_constantIbLb0EESU_EEDaSP_SQ_EUlSP_E_NS1_11comp_targetILNS1_3genE3ELNS1_11target_archE908ELNS1_3gpuE7ELNS1_3repE0EEENS1_30default_config_static_selectorELNS0_4arch9wavefront6targetE1EEEvT1_
	.p2align	8
	.type	_ZN7rocprim17ROCPRIM_400000_NS6detail17trampoline_kernelINS0_14default_configENS1_20scan_config_selectorItEEZZNS1_9scan_implILNS1_25lookback_scan_determinismE0ELb1ELb1ES3_N6thrust23THRUST_200600_302600_NS6detail15normal_iteratorINS9_10device_ptrItEEEESE_t11max_functorItEtEEDaPvRmT3_T4_T5_mT6_P12ihipStream_tbENKUlT_T0_E_clISt17integral_constantIbLb0EESU_EEDaSP_SQ_EUlSP_E_NS1_11comp_targetILNS1_3genE3ELNS1_11target_archE908ELNS1_3gpuE7ELNS1_3repE0EEENS1_30default_config_static_selectorELNS0_4arch9wavefront6targetE1EEEvT1_,@function
_ZN7rocprim17ROCPRIM_400000_NS6detail17trampoline_kernelINS0_14default_configENS1_20scan_config_selectorItEEZZNS1_9scan_implILNS1_25lookback_scan_determinismE0ELb1ELb1ES3_N6thrust23THRUST_200600_302600_NS6detail15normal_iteratorINS9_10device_ptrItEEEESE_t11max_functorItEtEEDaPvRmT3_T4_T5_mT6_P12ihipStream_tbENKUlT_T0_E_clISt17integral_constantIbLb0EESU_EEDaSP_SQ_EUlSP_E_NS1_11comp_targetILNS1_3genE3ELNS1_11target_archE908ELNS1_3gpuE7ELNS1_3repE0EEENS1_30default_config_static_selectorELNS0_4arch9wavefront6targetE1EEEvT1_: ; @_ZN7rocprim17ROCPRIM_400000_NS6detail17trampoline_kernelINS0_14default_configENS1_20scan_config_selectorItEEZZNS1_9scan_implILNS1_25lookback_scan_determinismE0ELb1ELb1ES3_N6thrust23THRUST_200600_302600_NS6detail15normal_iteratorINS9_10device_ptrItEEEESE_t11max_functorItEtEEDaPvRmT3_T4_T5_mT6_P12ihipStream_tbENKUlT_T0_E_clISt17integral_constantIbLb0EESU_EEDaSP_SQ_EUlSP_E_NS1_11comp_targetILNS1_3genE3ELNS1_11target_archE908ELNS1_3gpuE7ELNS1_3repE0EEENS1_30default_config_static_selectorELNS0_4arch9wavefront6targetE1EEEvT1_
; %bb.0:
	.section	.rodata,"a",@progbits
	.p2align	6, 0x0
	.amdhsa_kernel _ZN7rocprim17ROCPRIM_400000_NS6detail17trampoline_kernelINS0_14default_configENS1_20scan_config_selectorItEEZZNS1_9scan_implILNS1_25lookback_scan_determinismE0ELb1ELb1ES3_N6thrust23THRUST_200600_302600_NS6detail15normal_iteratorINS9_10device_ptrItEEEESE_t11max_functorItEtEEDaPvRmT3_T4_T5_mT6_P12ihipStream_tbENKUlT_T0_E_clISt17integral_constantIbLb0EESU_EEDaSP_SQ_EUlSP_E_NS1_11comp_targetILNS1_3genE3ELNS1_11target_archE908ELNS1_3gpuE7ELNS1_3repE0EEENS1_30default_config_static_selectorELNS0_4arch9wavefront6targetE1EEEvT1_
		.amdhsa_group_segment_fixed_size 0
		.amdhsa_private_segment_fixed_size 0
		.amdhsa_kernarg_size 96
		.amdhsa_user_sgpr_count 6
		.amdhsa_user_sgpr_private_segment_buffer 1
		.amdhsa_user_sgpr_dispatch_ptr 0
		.amdhsa_user_sgpr_queue_ptr 0
		.amdhsa_user_sgpr_kernarg_segment_ptr 1
		.amdhsa_user_sgpr_dispatch_id 0
		.amdhsa_user_sgpr_flat_scratch_init 0
		.amdhsa_user_sgpr_kernarg_preload_length 0
		.amdhsa_user_sgpr_kernarg_preload_offset 0
		.amdhsa_user_sgpr_private_segment_size 0
		.amdhsa_uses_dynamic_stack 0
		.amdhsa_system_sgpr_private_segment_wavefront_offset 0
		.amdhsa_system_sgpr_workgroup_id_x 1
		.amdhsa_system_sgpr_workgroup_id_y 0
		.amdhsa_system_sgpr_workgroup_id_z 0
		.amdhsa_system_sgpr_workgroup_info 0
		.amdhsa_system_vgpr_workitem_id 0
		.amdhsa_next_free_vgpr 1
		.amdhsa_next_free_sgpr 0
		.amdhsa_accum_offset 4
		.amdhsa_reserve_vcc 0
		.amdhsa_reserve_flat_scratch 0
		.amdhsa_float_round_mode_32 0
		.amdhsa_float_round_mode_16_64 0
		.amdhsa_float_denorm_mode_32 3
		.amdhsa_float_denorm_mode_16_64 3
		.amdhsa_dx10_clamp 1
		.amdhsa_ieee_mode 1
		.amdhsa_fp16_overflow 0
		.amdhsa_tg_split 0
		.amdhsa_exception_fp_ieee_invalid_op 0
		.amdhsa_exception_fp_denorm_src 0
		.amdhsa_exception_fp_ieee_div_zero 0
		.amdhsa_exception_fp_ieee_overflow 0
		.amdhsa_exception_fp_ieee_underflow 0
		.amdhsa_exception_fp_ieee_inexact 0
		.amdhsa_exception_int_div_zero 0
	.end_amdhsa_kernel
	.section	.text._ZN7rocprim17ROCPRIM_400000_NS6detail17trampoline_kernelINS0_14default_configENS1_20scan_config_selectorItEEZZNS1_9scan_implILNS1_25lookback_scan_determinismE0ELb1ELb1ES3_N6thrust23THRUST_200600_302600_NS6detail15normal_iteratorINS9_10device_ptrItEEEESE_t11max_functorItEtEEDaPvRmT3_T4_T5_mT6_P12ihipStream_tbENKUlT_T0_E_clISt17integral_constantIbLb0EESU_EEDaSP_SQ_EUlSP_E_NS1_11comp_targetILNS1_3genE3ELNS1_11target_archE908ELNS1_3gpuE7ELNS1_3repE0EEENS1_30default_config_static_selectorELNS0_4arch9wavefront6targetE1EEEvT1_,"axG",@progbits,_ZN7rocprim17ROCPRIM_400000_NS6detail17trampoline_kernelINS0_14default_configENS1_20scan_config_selectorItEEZZNS1_9scan_implILNS1_25lookback_scan_determinismE0ELb1ELb1ES3_N6thrust23THRUST_200600_302600_NS6detail15normal_iteratorINS9_10device_ptrItEEEESE_t11max_functorItEtEEDaPvRmT3_T4_T5_mT6_P12ihipStream_tbENKUlT_T0_E_clISt17integral_constantIbLb0EESU_EEDaSP_SQ_EUlSP_E_NS1_11comp_targetILNS1_3genE3ELNS1_11target_archE908ELNS1_3gpuE7ELNS1_3repE0EEENS1_30default_config_static_selectorELNS0_4arch9wavefront6targetE1EEEvT1_,comdat
.Lfunc_end2489:
	.size	_ZN7rocprim17ROCPRIM_400000_NS6detail17trampoline_kernelINS0_14default_configENS1_20scan_config_selectorItEEZZNS1_9scan_implILNS1_25lookback_scan_determinismE0ELb1ELb1ES3_N6thrust23THRUST_200600_302600_NS6detail15normal_iteratorINS9_10device_ptrItEEEESE_t11max_functorItEtEEDaPvRmT3_T4_T5_mT6_P12ihipStream_tbENKUlT_T0_E_clISt17integral_constantIbLb0EESU_EEDaSP_SQ_EUlSP_E_NS1_11comp_targetILNS1_3genE3ELNS1_11target_archE908ELNS1_3gpuE7ELNS1_3repE0EEENS1_30default_config_static_selectorELNS0_4arch9wavefront6targetE1EEEvT1_, .Lfunc_end2489-_ZN7rocprim17ROCPRIM_400000_NS6detail17trampoline_kernelINS0_14default_configENS1_20scan_config_selectorItEEZZNS1_9scan_implILNS1_25lookback_scan_determinismE0ELb1ELb1ES3_N6thrust23THRUST_200600_302600_NS6detail15normal_iteratorINS9_10device_ptrItEEEESE_t11max_functorItEtEEDaPvRmT3_T4_T5_mT6_P12ihipStream_tbENKUlT_T0_E_clISt17integral_constantIbLb0EESU_EEDaSP_SQ_EUlSP_E_NS1_11comp_targetILNS1_3genE3ELNS1_11target_archE908ELNS1_3gpuE7ELNS1_3repE0EEENS1_30default_config_static_selectorELNS0_4arch9wavefront6targetE1EEEvT1_
                                        ; -- End function
	.section	.AMDGPU.csdata,"",@progbits
; Kernel info:
; codeLenInByte = 0
; NumSgprs: 4
; NumVgprs: 0
; NumAgprs: 0
; TotalNumVgprs: 0
; ScratchSize: 0
; MemoryBound: 0
; FloatMode: 240
; IeeeMode: 1
; LDSByteSize: 0 bytes/workgroup (compile time only)
; SGPRBlocks: 0
; VGPRBlocks: 0
; NumSGPRsForWavesPerEU: 4
; NumVGPRsForWavesPerEU: 1
; AccumOffset: 4
; Occupancy: 8
; WaveLimiterHint : 0
; COMPUTE_PGM_RSRC2:SCRATCH_EN: 0
; COMPUTE_PGM_RSRC2:USER_SGPR: 6
; COMPUTE_PGM_RSRC2:TRAP_HANDLER: 0
; COMPUTE_PGM_RSRC2:TGID_X_EN: 1
; COMPUTE_PGM_RSRC2:TGID_Y_EN: 0
; COMPUTE_PGM_RSRC2:TGID_Z_EN: 0
; COMPUTE_PGM_RSRC2:TIDIG_COMP_CNT: 0
; COMPUTE_PGM_RSRC3_GFX90A:ACCUM_OFFSET: 0
; COMPUTE_PGM_RSRC3_GFX90A:TG_SPLIT: 0
	.section	.text._ZN7rocprim17ROCPRIM_400000_NS6detail17trampoline_kernelINS0_14default_configENS1_20scan_config_selectorItEEZZNS1_9scan_implILNS1_25lookback_scan_determinismE0ELb1ELb1ES3_N6thrust23THRUST_200600_302600_NS6detail15normal_iteratorINS9_10device_ptrItEEEESE_t11max_functorItEtEEDaPvRmT3_T4_T5_mT6_P12ihipStream_tbENKUlT_T0_E_clISt17integral_constantIbLb0EESU_EEDaSP_SQ_EUlSP_E_NS1_11comp_targetILNS1_3genE2ELNS1_11target_archE906ELNS1_3gpuE6ELNS1_3repE0EEENS1_30default_config_static_selectorELNS0_4arch9wavefront6targetE1EEEvT1_,"axG",@progbits,_ZN7rocprim17ROCPRIM_400000_NS6detail17trampoline_kernelINS0_14default_configENS1_20scan_config_selectorItEEZZNS1_9scan_implILNS1_25lookback_scan_determinismE0ELb1ELb1ES3_N6thrust23THRUST_200600_302600_NS6detail15normal_iteratorINS9_10device_ptrItEEEESE_t11max_functorItEtEEDaPvRmT3_T4_T5_mT6_P12ihipStream_tbENKUlT_T0_E_clISt17integral_constantIbLb0EESU_EEDaSP_SQ_EUlSP_E_NS1_11comp_targetILNS1_3genE2ELNS1_11target_archE906ELNS1_3gpuE6ELNS1_3repE0EEENS1_30default_config_static_selectorELNS0_4arch9wavefront6targetE1EEEvT1_,comdat
	.protected	_ZN7rocprim17ROCPRIM_400000_NS6detail17trampoline_kernelINS0_14default_configENS1_20scan_config_selectorItEEZZNS1_9scan_implILNS1_25lookback_scan_determinismE0ELb1ELb1ES3_N6thrust23THRUST_200600_302600_NS6detail15normal_iteratorINS9_10device_ptrItEEEESE_t11max_functorItEtEEDaPvRmT3_T4_T5_mT6_P12ihipStream_tbENKUlT_T0_E_clISt17integral_constantIbLb0EESU_EEDaSP_SQ_EUlSP_E_NS1_11comp_targetILNS1_3genE2ELNS1_11target_archE906ELNS1_3gpuE6ELNS1_3repE0EEENS1_30default_config_static_selectorELNS0_4arch9wavefront6targetE1EEEvT1_ ; -- Begin function _ZN7rocprim17ROCPRIM_400000_NS6detail17trampoline_kernelINS0_14default_configENS1_20scan_config_selectorItEEZZNS1_9scan_implILNS1_25lookback_scan_determinismE0ELb1ELb1ES3_N6thrust23THRUST_200600_302600_NS6detail15normal_iteratorINS9_10device_ptrItEEEESE_t11max_functorItEtEEDaPvRmT3_T4_T5_mT6_P12ihipStream_tbENKUlT_T0_E_clISt17integral_constantIbLb0EESU_EEDaSP_SQ_EUlSP_E_NS1_11comp_targetILNS1_3genE2ELNS1_11target_archE906ELNS1_3gpuE6ELNS1_3repE0EEENS1_30default_config_static_selectorELNS0_4arch9wavefront6targetE1EEEvT1_
	.globl	_ZN7rocprim17ROCPRIM_400000_NS6detail17trampoline_kernelINS0_14default_configENS1_20scan_config_selectorItEEZZNS1_9scan_implILNS1_25lookback_scan_determinismE0ELb1ELb1ES3_N6thrust23THRUST_200600_302600_NS6detail15normal_iteratorINS9_10device_ptrItEEEESE_t11max_functorItEtEEDaPvRmT3_T4_T5_mT6_P12ihipStream_tbENKUlT_T0_E_clISt17integral_constantIbLb0EESU_EEDaSP_SQ_EUlSP_E_NS1_11comp_targetILNS1_3genE2ELNS1_11target_archE906ELNS1_3gpuE6ELNS1_3repE0EEENS1_30default_config_static_selectorELNS0_4arch9wavefront6targetE1EEEvT1_
	.p2align	8
	.type	_ZN7rocprim17ROCPRIM_400000_NS6detail17trampoline_kernelINS0_14default_configENS1_20scan_config_selectorItEEZZNS1_9scan_implILNS1_25lookback_scan_determinismE0ELb1ELb1ES3_N6thrust23THRUST_200600_302600_NS6detail15normal_iteratorINS9_10device_ptrItEEEESE_t11max_functorItEtEEDaPvRmT3_T4_T5_mT6_P12ihipStream_tbENKUlT_T0_E_clISt17integral_constantIbLb0EESU_EEDaSP_SQ_EUlSP_E_NS1_11comp_targetILNS1_3genE2ELNS1_11target_archE906ELNS1_3gpuE6ELNS1_3repE0EEENS1_30default_config_static_selectorELNS0_4arch9wavefront6targetE1EEEvT1_,@function
_ZN7rocprim17ROCPRIM_400000_NS6detail17trampoline_kernelINS0_14default_configENS1_20scan_config_selectorItEEZZNS1_9scan_implILNS1_25lookback_scan_determinismE0ELb1ELb1ES3_N6thrust23THRUST_200600_302600_NS6detail15normal_iteratorINS9_10device_ptrItEEEESE_t11max_functorItEtEEDaPvRmT3_T4_T5_mT6_P12ihipStream_tbENKUlT_T0_E_clISt17integral_constantIbLb0EESU_EEDaSP_SQ_EUlSP_E_NS1_11comp_targetILNS1_3genE2ELNS1_11target_archE906ELNS1_3gpuE6ELNS1_3repE0EEENS1_30default_config_static_selectorELNS0_4arch9wavefront6targetE1EEEvT1_: ; @_ZN7rocprim17ROCPRIM_400000_NS6detail17trampoline_kernelINS0_14default_configENS1_20scan_config_selectorItEEZZNS1_9scan_implILNS1_25lookback_scan_determinismE0ELb1ELb1ES3_N6thrust23THRUST_200600_302600_NS6detail15normal_iteratorINS9_10device_ptrItEEEESE_t11max_functorItEtEEDaPvRmT3_T4_T5_mT6_P12ihipStream_tbENKUlT_T0_E_clISt17integral_constantIbLb0EESU_EEDaSP_SQ_EUlSP_E_NS1_11comp_targetILNS1_3genE2ELNS1_11target_archE906ELNS1_3gpuE6ELNS1_3repE0EEENS1_30default_config_static_selectorELNS0_4arch9wavefront6targetE1EEEvT1_
; %bb.0:
	.section	.rodata,"a",@progbits
	.p2align	6, 0x0
	.amdhsa_kernel _ZN7rocprim17ROCPRIM_400000_NS6detail17trampoline_kernelINS0_14default_configENS1_20scan_config_selectorItEEZZNS1_9scan_implILNS1_25lookback_scan_determinismE0ELb1ELb1ES3_N6thrust23THRUST_200600_302600_NS6detail15normal_iteratorINS9_10device_ptrItEEEESE_t11max_functorItEtEEDaPvRmT3_T4_T5_mT6_P12ihipStream_tbENKUlT_T0_E_clISt17integral_constantIbLb0EESU_EEDaSP_SQ_EUlSP_E_NS1_11comp_targetILNS1_3genE2ELNS1_11target_archE906ELNS1_3gpuE6ELNS1_3repE0EEENS1_30default_config_static_selectorELNS0_4arch9wavefront6targetE1EEEvT1_
		.amdhsa_group_segment_fixed_size 0
		.amdhsa_private_segment_fixed_size 0
		.amdhsa_kernarg_size 96
		.amdhsa_user_sgpr_count 6
		.amdhsa_user_sgpr_private_segment_buffer 1
		.amdhsa_user_sgpr_dispatch_ptr 0
		.amdhsa_user_sgpr_queue_ptr 0
		.amdhsa_user_sgpr_kernarg_segment_ptr 1
		.amdhsa_user_sgpr_dispatch_id 0
		.amdhsa_user_sgpr_flat_scratch_init 0
		.amdhsa_user_sgpr_kernarg_preload_length 0
		.amdhsa_user_sgpr_kernarg_preload_offset 0
		.amdhsa_user_sgpr_private_segment_size 0
		.amdhsa_uses_dynamic_stack 0
		.amdhsa_system_sgpr_private_segment_wavefront_offset 0
		.amdhsa_system_sgpr_workgroup_id_x 1
		.amdhsa_system_sgpr_workgroup_id_y 0
		.amdhsa_system_sgpr_workgroup_id_z 0
		.amdhsa_system_sgpr_workgroup_info 0
		.amdhsa_system_vgpr_workitem_id 0
		.amdhsa_next_free_vgpr 1
		.amdhsa_next_free_sgpr 0
		.amdhsa_accum_offset 4
		.amdhsa_reserve_vcc 0
		.amdhsa_reserve_flat_scratch 0
		.amdhsa_float_round_mode_32 0
		.amdhsa_float_round_mode_16_64 0
		.amdhsa_float_denorm_mode_32 3
		.amdhsa_float_denorm_mode_16_64 3
		.amdhsa_dx10_clamp 1
		.amdhsa_ieee_mode 1
		.amdhsa_fp16_overflow 0
		.amdhsa_tg_split 0
		.amdhsa_exception_fp_ieee_invalid_op 0
		.amdhsa_exception_fp_denorm_src 0
		.amdhsa_exception_fp_ieee_div_zero 0
		.amdhsa_exception_fp_ieee_overflow 0
		.amdhsa_exception_fp_ieee_underflow 0
		.amdhsa_exception_fp_ieee_inexact 0
		.amdhsa_exception_int_div_zero 0
	.end_amdhsa_kernel
	.section	.text._ZN7rocprim17ROCPRIM_400000_NS6detail17trampoline_kernelINS0_14default_configENS1_20scan_config_selectorItEEZZNS1_9scan_implILNS1_25lookback_scan_determinismE0ELb1ELb1ES3_N6thrust23THRUST_200600_302600_NS6detail15normal_iteratorINS9_10device_ptrItEEEESE_t11max_functorItEtEEDaPvRmT3_T4_T5_mT6_P12ihipStream_tbENKUlT_T0_E_clISt17integral_constantIbLb0EESU_EEDaSP_SQ_EUlSP_E_NS1_11comp_targetILNS1_3genE2ELNS1_11target_archE906ELNS1_3gpuE6ELNS1_3repE0EEENS1_30default_config_static_selectorELNS0_4arch9wavefront6targetE1EEEvT1_,"axG",@progbits,_ZN7rocprim17ROCPRIM_400000_NS6detail17trampoline_kernelINS0_14default_configENS1_20scan_config_selectorItEEZZNS1_9scan_implILNS1_25lookback_scan_determinismE0ELb1ELb1ES3_N6thrust23THRUST_200600_302600_NS6detail15normal_iteratorINS9_10device_ptrItEEEESE_t11max_functorItEtEEDaPvRmT3_T4_T5_mT6_P12ihipStream_tbENKUlT_T0_E_clISt17integral_constantIbLb0EESU_EEDaSP_SQ_EUlSP_E_NS1_11comp_targetILNS1_3genE2ELNS1_11target_archE906ELNS1_3gpuE6ELNS1_3repE0EEENS1_30default_config_static_selectorELNS0_4arch9wavefront6targetE1EEEvT1_,comdat
.Lfunc_end2490:
	.size	_ZN7rocprim17ROCPRIM_400000_NS6detail17trampoline_kernelINS0_14default_configENS1_20scan_config_selectorItEEZZNS1_9scan_implILNS1_25lookback_scan_determinismE0ELb1ELb1ES3_N6thrust23THRUST_200600_302600_NS6detail15normal_iteratorINS9_10device_ptrItEEEESE_t11max_functorItEtEEDaPvRmT3_T4_T5_mT6_P12ihipStream_tbENKUlT_T0_E_clISt17integral_constantIbLb0EESU_EEDaSP_SQ_EUlSP_E_NS1_11comp_targetILNS1_3genE2ELNS1_11target_archE906ELNS1_3gpuE6ELNS1_3repE0EEENS1_30default_config_static_selectorELNS0_4arch9wavefront6targetE1EEEvT1_, .Lfunc_end2490-_ZN7rocprim17ROCPRIM_400000_NS6detail17trampoline_kernelINS0_14default_configENS1_20scan_config_selectorItEEZZNS1_9scan_implILNS1_25lookback_scan_determinismE0ELb1ELb1ES3_N6thrust23THRUST_200600_302600_NS6detail15normal_iteratorINS9_10device_ptrItEEEESE_t11max_functorItEtEEDaPvRmT3_T4_T5_mT6_P12ihipStream_tbENKUlT_T0_E_clISt17integral_constantIbLb0EESU_EEDaSP_SQ_EUlSP_E_NS1_11comp_targetILNS1_3genE2ELNS1_11target_archE906ELNS1_3gpuE6ELNS1_3repE0EEENS1_30default_config_static_selectorELNS0_4arch9wavefront6targetE1EEEvT1_
                                        ; -- End function
	.section	.AMDGPU.csdata,"",@progbits
; Kernel info:
; codeLenInByte = 0
; NumSgprs: 4
; NumVgprs: 0
; NumAgprs: 0
; TotalNumVgprs: 0
; ScratchSize: 0
; MemoryBound: 0
; FloatMode: 240
; IeeeMode: 1
; LDSByteSize: 0 bytes/workgroup (compile time only)
; SGPRBlocks: 0
; VGPRBlocks: 0
; NumSGPRsForWavesPerEU: 4
; NumVGPRsForWavesPerEU: 1
; AccumOffset: 4
; Occupancy: 8
; WaveLimiterHint : 0
; COMPUTE_PGM_RSRC2:SCRATCH_EN: 0
; COMPUTE_PGM_RSRC2:USER_SGPR: 6
; COMPUTE_PGM_RSRC2:TRAP_HANDLER: 0
; COMPUTE_PGM_RSRC2:TGID_X_EN: 1
; COMPUTE_PGM_RSRC2:TGID_Y_EN: 0
; COMPUTE_PGM_RSRC2:TGID_Z_EN: 0
; COMPUTE_PGM_RSRC2:TIDIG_COMP_CNT: 0
; COMPUTE_PGM_RSRC3_GFX90A:ACCUM_OFFSET: 0
; COMPUTE_PGM_RSRC3_GFX90A:TG_SPLIT: 0
	.section	.text._ZN7rocprim17ROCPRIM_400000_NS6detail17trampoline_kernelINS0_14default_configENS1_20scan_config_selectorItEEZZNS1_9scan_implILNS1_25lookback_scan_determinismE0ELb1ELb1ES3_N6thrust23THRUST_200600_302600_NS6detail15normal_iteratorINS9_10device_ptrItEEEESE_t11max_functorItEtEEDaPvRmT3_T4_T5_mT6_P12ihipStream_tbENKUlT_T0_E_clISt17integral_constantIbLb0EESU_EEDaSP_SQ_EUlSP_E_NS1_11comp_targetILNS1_3genE10ELNS1_11target_archE1201ELNS1_3gpuE5ELNS1_3repE0EEENS1_30default_config_static_selectorELNS0_4arch9wavefront6targetE1EEEvT1_,"axG",@progbits,_ZN7rocprim17ROCPRIM_400000_NS6detail17trampoline_kernelINS0_14default_configENS1_20scan_config_selectorItEEZZNS1_9scan_implILNS1_25lookback_scan_determinismE0ELb1ELb1ES3_N6thrust23THRUST_200600_302600_NS6detail15normal_iteratorINS9_10device_ptrItEEEESE_t11max_functorItEtEEDaPvRmT3_T4_T5_mT6_P12ihipStream_tbENKUlT_T0_E_clISt17integral_constantIbLb0EESU_EEDaSP_SQ_EUlSP_E_NS1_11comp_targetILNS1_3genE10ELNS1_11target_archE1201ELNS1_3gpuE5ELNS1_3repE0EEENS1_30default_config_static_selectorELNS0_4arch9wavefront6targetE1EEEvT1_,comdat
	.protected	_ZN7rocprim17ROCPRIM_400000_NS6detail17trampoline_kernelINS0_14default_configENS1_20scan_config_selectorItEEZZNS1_9scan_implILNS1_25lookback_scan_determinismE0ELb1ELb1ES3_N6thrust23THRUST_200600_302600_NS6detail15normal_iteratorINS9_10device_ptrItEEEESE_t11max_functorItEtEEDaPvRmT3_T4_T5_mT6_P12ihipStream_tbENKUlT_T0_E_clISt17integral_constantIbLb0EESU_EEDaSP_SQ_EUlSP_E_NS1_11comp_targetILNS1_3genE10ELNS1_11target_archE1201ELNS1_3gpuE5ELNS1_3repE0EEENS1_30default_config_static_selectorELNS0_4arch9wavefront6targetE1EEEvT1_ ; -- Begin function _ZN7rocprim17ROCPRIM_400000_NS6detail17trampoline_kernelINS0_14default_configENS1_20scan_config_selectorItEEZZNS1_9scan_implILNS1_25lookback_scan_determinismE0ELb1ELb1ES3_N6thrust23THRUST_200600_302600_NS6detail15normal_iteratorINS9_10device_ptrItEEEESE_t11max_functorItEtEEDaPvRmT3_T4_T5_mT6_P12ihipStream_tbENKUlT_T0_E_clISt17integral_constantIbLb0EESU_EEDaSP_SQ_EUlSP_E_NS1_11comp_targetILNS1_3genE10ELNS1_11target_archE1201ELNS1_3gpuE5ELNS1_3repE0EEENS1_30default_config_static_selectorELNS0_4arch9wavefront6targetE1EEEvT1_
	.globl	_ZN7rocprim17ROCPRIM_400000_NS6detail17trampoline_kernelINS0_14default_configENS1_20scan_config_selectorItEEZZNS1_9scan_implILNS1_25lookback_scan_determinismE0ELb1ELb1ES3_N6thrust23THRUST_200600_302600_NS6detail15normal_iteratorINS9_10device_ptrItEEEESE_t11max_functorItEtEEDaPvRmT3_T4_T5_mT6_P12ihipStream_tbENKUlT_T0_E_clISt17integral_constantIbLb0EESU_EEDaSP_SQ_EUlSP_E_NS1_11comp_targetILNS1_3genE10ELNS1_11target_archE1201ELNS1_3gpuE5ELNS1_3repE0EEENS1_30default_config_static_selectorELNS0_4arch9wavefront6targetE1EEEvT1_
	.p2align	8
	.type	_ZN7rocprim17ROCPRIM_400000_NS6detail17trampoline_kernelINS0_14default_configENS1_20scan_config_selectorItEEZZNS1_9scan_implILNS1_25lookback_scan_determinismE0ELb1ELb1ES3_N6thrust23THRUST_200600_302600_NS6detail15normal_iteratorINS9_10device_ptrItEEEESE_t11max_functorItEtEEDaPvRmT3_T4_T5_mT6_P12ihipStream_tbENKUlT_T0_E_clISt17integral_constantIbLb0EESU_EEDaSP_SQ_EUlSP_E_NS1_11comp_targetILNS1_3genE10ELNS1_11target_archE1201ELNS1_3gpuE5ELNS1_3repE0EEENS1_30default_config_static_selectorELNS0_4arch9wavefront6targetE1EEEvT1_,@function
_ZN7rocprim17ROCPRIM_400000_NS6detail17trampoline_kernelINS0_14default_configENS1_20scan_config_selectorItEEZZNS1_9scan_implILNS1_25lookback_scan_determinismE0ELb1ELb1ES3_N6thrust23THRUST_200600_302600_NS6detail15normal_iteratorINS9_10device_ptrItEEEESE_t11max_functorItEtEEDaPvRmT3_T4_T5_mT6_P12ihipStream_tbENKUlT_T0_E_clISt17integral_constantIbLb0EESU_EEDaSP_SQ_EUlSP_E_NS1_11comp_targetILNS1_3genE10ELNS1_11target_archE1201ELNS1_3gpuE5ELNS1_3repE0EEENS1_30default_config_static_selectorELNS0_4arch9wavefront6targetE1EEEvT1_: ; @_ZN7rocprim17ROCPRIM_400000_NS6detail17trampoline_kernelINS0_14default_configENS1_20scan_config_selectorItEEZZNS1_9scan_implILNS1_25lookback_scan_determinismE0ELb1ELb1ES3_N6thrust23THRUST_200600_302600_NS6detail15normal_iteratorINS9_10device_ptrItEEEESE_t11max_functorItEtEEDaPvRmT3_T4_T5_mT6_P12ihipStream_tbENKUlT_T0_E_clISt17integral_constantIbLb0EESU_EEDaSP_SQ_EUlSP_E_NS1_11comp_targetILNS1_3genE10ELNS1_11target_archE1201ELNS1_3gpuE5ELNS1_3repE0EEENS1_30default_config_static_selectorELNS0_4arch9wavefront6targetE1EEEvT1_
; %bb.0:
	.section	.rodata,"a",@progbits
	.p2align	6, 0x0
	.amdhsa_kernel _ZN7rocprim17ROCPRIM_400000_NS6detail17trampoline_kernelINS0_14default_configENS1_20scan_config_selectorItEEZZNS1_9scan_implILNS1_25lookback_scan_determinismE0ELb1ELb1ES3_N6thrust23THRUST_200600_302600_NS6detail15normal_iteratorINS9_10device_ptrItEEEESE_t11max_functorItEtEEDaPvRmT3_T4_T5_mT6_P12ihipStream_tbENKUlT_T0_E_clISt17integral_constantIbLb0EESU_EEDaSP_SQ_EUlSP_E_NS1_11comp_targetILNS1_3genE10ELNS1_11target_archE1201ELNS1_3gpuE5ELNS1_3repE0EEENS1_30default_config_static_selectorELNS0_4arch9wavefront6targetE1EEEvT1_
		.amdhsa_group_segment_fixed_size 0
		.amdhsa_private_segment_fixed_size 0
		.amdhsa_kernarg_size 96
		.amdhsa_user_sgpr_count 6
		.amdhsa_user_sgpr_private_segment_buffer 1
		.amdhsa_user_sgpr_dispatch_ptr 0
		.amdhsa_user_sgpr_queue_ptr 0
		.amdhsa_user_sgpr_kernarg_segment_ptr 1
		.amdhsa_user_sgpr_dispatch_id 0
		.amdhsa_user_sgpr_flat_scratch_init 0
		.amdhsa_user_sgpr_kernarg_preload_length 0
		.amdhsa_user_sgpr_kernarg_preload_offset 0
		.amdhsa_user_sgpr_private_segment_size 0
		.amdhsa_uses_dynamic_stack 0
		.amdhsa_system_sgpr_private_segment_wavefront_offset 0
		.amdhsa_system_sgpr_workgroup_id_x 1
		.amdhsa_system_sgpr_workgroup_id_y 0
		.amdhsa_system_sgpr_workgroup_id_z 0
		.amdhsa_system_sgpr_workgroup_info 0
		.amdhsa_system_vgpr_workitem_id 0
		.amdhsa_next_free_vgpr 1
		.amdhsa_next_free_sgpr 0
		.amdhsa_accum_offset 4
		.amdhsa_reserve_vcc 0
		.amdhsa_reserve_flat_scratch 0
		.amdhsa_float_round_mode_32 0
		.amdhsa_float_round_mode_16_64 0
		.amdhsa_float_denorm_mode_32 3
		.amdhsa_float_denorm_mode_16_64 3
		.amdhsa_dx10_clamp 1
		.amdhsa_ieee_mode 1
		.amdhsa_fp16_overflow 0
		.amdhsa_tg_split 0
		.amdhsa_exception_fp_ieee_invalid_op 0
		.amdhsa_exception_fp_denorm_src 0
		.amdhsa_exception_fp_ieee_div_zero 0
		.amdhsa_exception_fp_ieee_overflow 0
		.amdhsa_exception_fp_ieee_underflow 0
		.amdhsa_exception_fp_ieee_inexact 0
		.amdhsa_exception_int_div_zero 0
	.end_amdhsa_kernel
	.section	.text._ZN7rocprim17ROCPRIM_400000_NS6detail17trampoline_kernelINS0_14default_configENS1_20scan_config_selectorItEEZZNS1_9scan_implILNS1_25lookback_scan_determinismE0ELb1ELb1ES3_N6thrust23THRUST_200600_302600_NS6detail15normal_iteratorINS9_10device_ptrItEEEESE_t11max_functorItEtEEDaPvRmT3_T4_T5_mT6_P12ihipStream_tbENKUlT_T0_E_clISt17integral_constantIbLb0EESU_EEDaSP_SQ_EUlSP_E_NS1_11comp_targetILNS1_3genE10ELNS1_11target_archE1201ELNS1_3gpuE5ELNS1_3repE0EEENS1_30default_config_static_selectorELNS0_4arch9wavefront6targetE1EEEvT1_,"axG",@progbits,_ZN7rocprim17ROCPRIM_400000_NS6detail17trampoline_kernelINS0_14default_configENS1_20scan_config_selectorItEEZZNS1_9scan_implILNS1_25lookback_scan_determinismE0ELb1ELb1ES3_N6thrust23THRUST_200600_302600_NS6detail15normal_iteratorINS9_10device_ptrItEEEESE_t11max_functorItEtEEDaPvRmT3_T4_T5_mT6_P12ihipStream_tbENKUlT_T0_E_clISt17integral_constantIbLb0EESU_EEDaSP_SQ_EUlSP_E_NS1_11comp_targetILNS1_3genE10ELNS1_11target_archE1201ELNS1_3gpuE5ELNS1_3repE0EEENS1_30default_config_static_selectorELNS0_4arch9wavefront6targetE1EEEvT1_,comdat
.Lfunc_end2491:
	.size	_ZN7rocprim17ROCPRIM_400000_NS6detail17trampoline_kernelINS0_14default_configENS1_20scan_config_selectorItEEZZNS1_9scan_implILNS1_25lookback_scan_determinismE0ELb1ELb1ES3_N6thrust23THRUST_200600_302600_NS6detail15normal_iteratorINS9_10device_ptrItEEEESE_t11max_functorItEtEEDaPvRmT3_T4_T5_mT6_P12ihipStream_tbENKUlT_T0_E_clISt17integral_constantIbLb0EESU_EEDaSP_SQ_EUlSP_E_NS1_11comp_targetILNS1_3genE10ELNS1_11target_archE1201ELNS1_3gpuE5ELNS1_3repE0EEENS1_30default_config_static_selectorELNS0_4arch9wavefront6targetE1EEEvT1_, .Lfunc_end2491-_ZN7rocprim17ROCPRIM_400000_NS6detail17trampoline_kernelINS0_14default_configENS1_20scan_config_selectorItEEZZNS1_9scan_implILNS1_25lookback_scan_determinismE0ELb1ELb1ES3_N6thrust23THRUST_200600_302600_NS6detail15normal_iteratorINS9_10device_ptrItEEEESE_t11max_functorItEtEEDaPvRmT3_T4_T5_mT6_P12ihipStream_tbENKUlT_T0_E_clISt17integral_constantIbLb0EESU_EEDaSP_SQ_EUlSP_E_NS1_11comp_targetILNS1_3genE10ELNS1_11target_archE1201ELNS1_3gpuE5ELNS1_3repE0EEENS1_30default_config_static_selectorELNS0_4arch9wavefront6targetE1EEEvT1_
                                        ; -- End function
	.section	.AMDGPU.csdata,"",@progbits
; Kernel info:
; codeLenInByte = 0
; NumSgprs: 4
; NumVgprs: 0
; NumAgprs: 0
; TotalNumVgprs: 0
; ScratchSize: 0
; MemoryBound: 0
; FloatMode: 240
; IeeeMode: 1
; LDSByteSize: 0 bytes/workgroup (compile time only)
; SGPRBlocks: 0
; VGPRBlocks: 0
; NumSGPRsForWavesPerEU: 4
; NumVGPRsForWavesPerEU: 1
; AccumOffset: 4
; Occupancy: 8
; WaveLimiterHint : 0
; COMPUTE_PGM_RSRC2:SCRATCH_EN: 0
; COMPUTE_PGM_RSRC2:USER_SGPR: 6
; COMPUTE_PGM_RSRC2:TRAP_HANDLER: 0
; COMPUTE_PGM_RSRC2:TGID_X_EN: 1
; COMPUTE_PGM_RSRC2:TGID_Y_EN: 0
; COMPUTE_PGM_RSRC2:TGID_Z_EN: 0
; COMPUTE_PGM_RSRC2:TIDIG_COMP_CNT: 0
; COMPUTE_PGM_RSRC3_GFX90A:ACCUM_OFFSET: 0
; COMPUTE_PGM_RSRC3_GFX90A:TG_SPLIT: 0
	.section	.text._ZN7rocprim17ROCPRIM_400000_NS6detail17trampoline_kernelINS0_14default_configENS1_20scan_config_selectorItEEZZNS1_9scan_implILNS1_25lookback_scan_determinismE0ELb1ELb1ES3_N6thrust23THRUST_200600_302600_NS6detail15normal_iteratorINS9_10device_ptrItEEEESE_t11max_functorItEtEEDaPvRmT3_T4_T5_mT6_P12ihipStream_tbENKUlT_T0_E_clISt17integral_constantIbLb0EESU_EEDaSP_SQ_EUlSP_E_NS1_11comp_targetILNS1_3genE10ELNS1_11target_archE1200ELNS1_3gpuE4ELNS1_3repE0EEENS1_30default_config_static_selectorELNS0_4arch9wavefront6targetE1EEEvT1_,"axG",@progbits,_ZN7rocprim17ROCPRIM_400000_NS6detail17trampoline_kernelINS0_14default_configENS1_20scan_config_selectorItEEZZNS1_9scan_implILNS1_25lookback_scan_determinismE0ELb1ELb1ES3_N6thrust23THRUST_200600_302600_NS6detail15normal_iteratorINS9_10device_ptrItEEEESE_t11max_functorItEtEEDaPvRmT3_T4_T5_mT6_P12ihipStream_tbENKUlT_T0_E_clISt17integral_constantIbLb0EESU_EEDaSP_SQ_EUlSP_E_NS1_11comp_targetILNS1_3genE10ELNS1_11target_archE1200ELNS1_3gpuE4ELNS1_3repE0EEENS1_30default_config_static_selectorELNS0_4arch9wavefront6targetE1EEEvT1_,comdat
	.protected	_ZN7rocprim17ROCPRIM_400000_NS6detail17trampoline_kernelINS0_14default_configENS1_20scan_config_selectorItEEZZNS1_9scan_implILNS1_25lookback_scan_determinismE0ELb1ELb1ES3_N6thrust23THRUST_200600_302600_NS6detail15normal_iteratorINS9_10device_ptrItEEEESE_t11max_functorItEtEEDaPvRmT3_T4_T5_mT6_P12ihipStream_tbENKUlT_T0_E_clISt17integral_constantIbLb0EESU_EEDaSP_SQ_EUlSP_E_NS1_11comp_targetILNS1_3genE10ELNS1_11target_archE1200ELNS1_3gpuE4ELNS1_3repE0EEENS1_30default_config_static_selectorELNS0_4arch9wavefront6targetE1EEEvT1_ ; -- Begin function _ZN7rocprim17ROCPRIM_400000_NS6detail17trampoline_kernelINS0_14default_configENS1_20scan_config_selectorItEEZZNS1_9scan_implILNS1_25lookback_scan_determinismE0ELb1ELb1ES3_N6thrust23THRUST_200600_302600_NS6detail15normal_iteratorINS9_10device_ptrItEEEESE_t11max_functorItEtEEDaPvRmT3_T4_T5_mT6_P12ihipStream_tbENKUlT_T0_E_clISt17integral_constantIbLb0EESU_EEDaSP_SQ_EUlSP_E_NS1_11comp_targetILNS1_3genE10ELNS1_11target_archE1200ELNS1_3gpuE4ELNS1_3repE0EEENS1_30default_config_static_selectorELNS0_4arch9wavefront6targetE1EEEvT1_
	.globl	_ZN7rocprim17ROCPRIM_400000_NS6detail17trampoline_kernelINS0_14default_configENS1_20scan_config_selectorItEEZZNS1_9scan_implILNS1_25lookback_scan_determinismE0ELb1ELb1ES3_N6thrust23THRUST_200600_302600_NS6detail15normal_iteratorINS9_10device_ptrItEEEESE_t11max_functorItEtEEDaPvRmT3_T4_T5_mT6_P12ihipStream_tbENKUlT_T0_E_clISt17integral_constantIbLb0EESU_EEDaSP_SQ_EUlSP_E_NS1_11comp_targetILNS1_3genE10ELNS1_11target_archE1200ELNS1_3gpuE4ELNS1_3repE0EEENS1_30default_config_static_selectorELNS0_4arch9wavefront6targetE1EEEvT1_
	.p2align	8
	.type	_ZN7rocprim17ROCPRIM_400000_NS6detail17trampoline_kernelINS0_14default_configENS1_20scan_config_selectorItEEZZNS1_9scan_implILNS1_25lookback_scan_determinismE0ELb1ELb1ES3_N6thrust23THRUST_200600_302600_NS6detail15normal_iteratorINS9_10device_ptrItEEEESE_t11max_functorItEtEEDaPvRmT3_T4_T5_mT6_P12ihipStream_tbENKUlT_T0_E_clISt17integral_constantIbLb0EESU_EEDaSP_SQ_EUlSP_E_NS1_11comp_targetILNS1_3genE10ELNS1_11target_archE1200ELNS1_3gpuE4ELNS1_3repE0EEENS1_30default_config_static_selectorELNS0_4arch9wavefront6targetE1EEEvT1_,@function
_ZN7rocprim17ROCPRIM_400000_NS6detail17trampoline_kernelINS0_14default_configENS1_20scan_config_selectorItEEZZNS1_9scan_implILNS1_25lookback_scan_determinismE0ELb1ELb1ES3_N6thrust23THRUST_200600_302600_NS6detail15normal_iteratorINS9_10device_ptrItEEEESE_t11max_functorItEtEEDaPvRmT3_T4_T5_mT6_P12ihipStream_tbENKUlT_T0_E_clISt17integral_constantIbLb0EESU_EEDaSP_SQ_EUlSP_E_NS1_11comp_targetILNS1_3genE10ELNS1_11target_archE1200ELNS1_3gpuE4ELNS1_3repE0EEENS1_30default_config_static_selectorELNS0_4arch9wavefront6targetE1EEEvT1_: ; @_ZN7rocprim17ROCPRIM_400000_NS6detail17trampoline_kernelINS0_14default_configENS1_20scan_config_selectorItEEZZNS1_9scan_implILNS1_25lookback_scan_determinismE0ELb1ELb1ES3_N6thrust23THRUST_200600_302600_NS6detail15normal_iteratorINS9_10device_ptrItEEEESE_t11max_functorItEtEEDaPvRmT3_T4_T5_mT6_P12ihipStream_tbENKUlT_T0_E_clISt17integral_constantIbLb0EESU_EEDaSP_SQ_EUlSP_E_NS1_11comp_targetILNS1_3genE10ELNS1_11target_archE1200ELNS1_3gpuE4ELNS1_3repE0EEENS1_30default_config_static_selectorELNS0_4arch9wavefront6targetE1EEEvT1_
; %bb.0:
	.section	.rodata,"a",@progbits
	.p2align	6, 0x0
	.amdhsa_kernel _ZN7rocprim17ROCPRIM_400000_NS6detail17trampoline_kernelINS0_14default_configENS1_20scan_config_selectorItEEZZNS1_9scan_implILNS1_25lookback_scan_determinismE0ELb1ELb1ES3_N6thrust23THRUST_200600_302600_NS6detail15normal_iteratorINS9_10device_ptrItEEEESE_t11max_functorItEtEEDaPvRmT3_T4_T5_mT6_P12ihipStream_tbENKUlT_T0_E_clISt17integral_constantIbLb0EESU_EEDaSP_SQ_EUlSP_E_NS1_11comp_targetILNS1_3genE10ELNS1_11target_archE1200ELNS1_3gpuE4ELNS1_3repE0EEENS1_30default_config_static_selectorELNS0_4arch9wavefront6targetE1EEEvT1_
		.amdhsa_group_segment_fixed_size 0
		.amdhsa_private_segment_fixed_size 0
		.amdhsa_kernarg_size 96
		.amdhsa_user_sgpr_count 6
		.amdhsa_user_sgpr_private_segment_buffer 1
		.amdhsa_user_sgpr_dispatch_ptr 0
		.amdhsa_user_sgpr_queue_ptr 0
		.amdhsa_user_sgpr_kernarg_segment_ptr 1
		.amdhsa_user_sgpr_dispatch_id 0
		.amdhsa_user_sgpr_flat_scratch_init 0
		.amdhsa_user_sgpr_kernarg_preload_length 0
		.amdhsa_user_sgpr_kernarg_preload_offset 0
		.amdhsa_user_sgpr_private_segment_size 0
		.amdhsa_uses_dynamic_stack 0
		.amdhsa_system_sgpr_private_segment_wavefront_offset 0
		.amdhsa_system_sgpr_workgroup_id_x 1
		.amdhsa_system_sgpr_workgroup_id_y 0
		.amdhsa_system_sgpr_workgroup_id_z 0
		.amdhsa_system_sgpr_workgroup_info 0
		.amdhsa_system_vgpr_workitem_id 0
		.amdhsa_next_free_vgpr 1
		.amdhsa_next_free_sgpr 0
		.amdhsa_accum_offset 4
		.amdhsa_reserve_vcc 0
		.amdhsa_reserve_flat_scratch 0
		.amdhsa_float_round_mode_32 0
		.amdhsa_float_round_mode_16_64 0
		.amdhsa_float_denorm_mode_32 3
		.amdhsa_float_denorm_mode_16_64 3
		.amdhsa_dx10_clamp 1
		.amdhsa_ieee_mode 1
		.amdhsa_fp16_overflow 0
		.amdhsa_tg_split 0
		.amdhsa_exception_fp_ieee_invalid_op 0
		.amdhsa_exception_fp_denorm_src 0
		.amdhsa_exception_fp_ieee_div_zero 0
		.amdhsa_exception_fp_ieee_overflow 0
		.amdhsa_exception_fp_ieee_underflow 0
		.amdhsa_exception_fp_ieee_inexact 0
		.amdhsa_exception_int_div_zero 0
	.end_amdhsa_kernel
	.section	.text._ZN7rocprim17ROCPRIM_400000_NS6detail17trampoline_kernelINS0_14default_configENS1_20scan_config_selectorItEEZZNS1_9scan_implILNS1_25lookback_scan_determinismE0ELb1ELb1ES3_N6thrust23THRUST_200600_302600_NS6detail15normal_iteratorINS9_10device_ptrItEEEESE_t11max_functorItEtEEDaPvRmT3_T4_T5_mT6_P12ihipStream_tbENKUlT_T0_E_clISt17integral_constantIbLb0EESU_EEDaSP_SQ_EUlSP_E_NS1_11comp_targetILNS1_3genE10ELNS1_11target_archE1200ELNS1_3gpuE4ELNS1_3repE0EEENS1_30default_config_static_selectorELNS0_4arch9wavefront6targetE1EEEvT1_,"axG",@progbits,_ZN7rocprim17ROCPRIM_400000_NS6detail17trampoline_kernelINS0_14default_configENS1_20scan_config_selectorItEEZZNS1_9scan_implILNS1_25lookback_scan_determinismE0ELb1ELb1ES3_N6thrust23THRUST_200600_302600_NS6detail15normal_iteratorINS9_10device_ptrItEEEESE_t11max_functorItEtEEDaPvRmT3_T4_T5_mT6_P12ihipStream_tbENKUlT_T0_E_clISt17integral_constantIbLb0EESU_EEDaSP_SQ_EUlSP_E_NS1_11comp_targetILNS1_3genE10ELNS1_11target_archE1200ELNS1_3gpuE4ELNS1_3repE0EEENS1_30default_config_static_selectorELNS0_4arch9wavefront6targetE1EEEvT1_,comdat
.Lfunc_end2492:
	.size	_ZN7rocprim17ROCPRIM_400000_NS6detail17trampoline_kernelINS0_14default_configENS1_20scan_config_selectorItEEZZNS1_9scan_implILNS1_25lookback_scan_determinismE0ELb1ELb1ES3_N6thrust23THRUST_200600_302600_NS6detail15normal_iteratorINS9_10device_ptrItEEEESE_t11max_functorItEtEEDaPvRmT3_T4_T5_mT6_P12ihipStream_tbENKUlT_T0_E_clISt17integral_constantIbLb0EESU_EEDaSP_SQ_EUlSP_E_NS1_11comp_targetILNS1_3genE10ELNS1_11target_archE1200ELNS1_3gpuE4ELNS1_3repE0EEENS1_30default_config_static_selectorELNS0_4arch9wavefront6targetE1EEEvT1_, .Lfunc_end2492-_ZN7rocprim17ROCPRIM_400000_NS6detail17trampoline_kernelINS0_14default_configENS1_20scan_config_selectorItEEZZNS1_9scan_implILNS1_25lookback_scan_determinismE0ELb1ELb1ES3_N6thrust23THRUST_200600_302600_NS6detail15normal_iteratorINS9_10device_ptrItEEEESE_t11max_functorItEtEEDaPvRmT3_T4_T5_mT6_P12ihipStream_tbENKUlT_T0_E_clISt17integral_constantIbLb0EESU_EEDaSP_SQ_EUlSP_E_NS1_11comp_targetILNS1_3genE10ELNS1_11target_archE1200ELNS1_3gpuE4ELNS1_3repE0EEENS1_30default_config_static_selectorELNS0_4arch9wavefront6targetE1EEEvT1_
                                        ; -- End function
	.section	.AMDGPU.csdata,"",@progbits
; Kernel info:
; codeLenInByte = 0
; NumSgprs: 4
; NumVgprs: 0
; NumAgprs: 0
; TotalNumVgprs: 0
; ScratchSize: 0
; MemoryBound: 0
; FloatMode: 240
; IeeeMode: 1
; LDSByteSize: 0 bytes/workgroup (compile time only)
; SGPRBlocks: 0
; VGPRBlocks: 0
; NumSGPRsForWavesPerEU: 4
; NumVGPRsForWavesPerEU: 1
; AccumOffset: 4
; Occupancy: 8
; WaveLimiterHint : 0
; COMPUTE_PGM_RSRC2:SCRATCH_EN: 0
; COMPUTE_PGM_RSRC2:USER_SGPR: 6
; COMPUTE_PGM_RSRC2:TRAP_HANDLER: 0
; COMPUTE_PGM_RSRC2:TGID_X_EN: 1
; COMPUTE_PGM_RSRC2:TGID_Y_EN: 0
; COMPUTE_PGM_RSRC2:TGID_Z_EN: 0
; COMPUTE_PGM_RSRC2:TIDIG_COMP_CNT: 0
; COMPUTE_PGM_RSRC3_GFX90A:ACCUM_OFFSET: 0
; COMPUTE_PGM_RSRC3_GFX90A:TG_SPLIT: 0
	.section	.text._ZN7rocprim17ROCPRIM_400000_NS6detail17trampoline_kernelINS0_14default_configENS1_20scan_config_selectorItEEZZNS1_9scan_implILNS1_25lookback_scan_determinismE0ELb1ELb1ES3_N6thrust23THRUST_200600_302600_NS6detail15normal_iteratorINS9_10device_ptrItEEEESE_t11max_functorItEtEEDaPvRmT3_T4_T5_mT6_P12ihipStream_tbENKUlT_T0_E_clISt17integral_constantIbLb0EESU_EEDaSP_SQ_EUlSP_E_NS1_11comp_targetILNS1_3genE9ELNS1_11target_archE1100ELNS1_3gpuE3ELNS1_3repE0EEENS1_30default_config_static_selectorELNS0_4arch9wavefront6targetE1EEEvT1_,"axG",@progbits,_ZN7rocprim17ROCPRIM_400000_NS6detail17trampoline_kernelINS0_14default_configENS1_20scan_config_selectorItEEZZNS1_9scan_implILNS1_25lookback_scan_determinismE0ELb1ELb1ES3_N6thrust23THRUST_200600_302600_NS6detail15normal_iteratorINS9_10device_ptrItEEEESE_t11max_functorItEtEEDaPvRmT3_T4_T5_mT6_P12ihipStream_tbENKUlT_T0_E_clISt17integral_constantIbLb0EESU_EEDaSP_SQ_EUlSP_E_NS1_11comp_targetILNS1_3genE9ELNS1_11target_archE1100ELNS1_3gpuE3ELNS1_3repE0EEENS1_30default_config_static_selectorELNS0_4arch9wavefront6targetE1EEEvT1_,comdat
	.protected	_ZN7rocprim17ROCPRIM_400000_NS6detail17trampoline_kernelINS0_14default_configENS1_20scan_config_selectorItEEZZNS1_9scan_implILNS1_25lookback_scan_determinismE0ELb1ELb1ES3_N6thrust23THRUST_200600_302600_NS6detail15normal_iteratorINS9_10device_ptrItEEEESE_t11max_functorItEtEEDaPvRmT3_T4_T5_mT6_P12ihipStream_tbENKUlT_T0_E_clISt17integral_constantIbLb0EESU_EEDaSP_SQ_EUlSP_E_NS1_11comp_targetILNS1_3genE9ELNS1_11target_archE1100ELNS1_3gpuE3ELNS1_3repE0EEENS1_30default_config_static_selectorELNS0_4arch9wavefront6targetE1EEEvT1_ ; -- Begin function _ZN7rocprim17ROCPRIM_400000_NS6detail17trampoline_kernelINS0_14default_configENS1_20scan_config_selectorItEEZZNS1_9scan_implILNS1_25lookback_scan_determinismE0ELb1ELb1ES3_N6thrust23THRUST_200600_302600_NS6detail15normal_iteratorINS9_10device_ptrItEEEESE_t11max_functorItEtEEDaPvRmT3_T4_T5_mT6_P12ihipStream_tbENKUlT_T0_E_clISt17integral_constantIbLb0EESU_EEDaSP_SQ_EUlSP_E_NS1_11comp_targetILNS1_3genE9ELNS1_11target_archE1100ELNS1_3gpuE3ELNS1_3repE0EEENS1_30default_config_static_selectorELNS0_4arch9wavefront6targetE1EEEvT1_
	.globl	_ZN7rocprim17ROCPRIM_400000_NS6detail17trampoline_kernelINS0_14default_configENS1_20scan_config_selectorItEEZZNS1_9scan_implILNS1_25lookback_scan_determinismE0ELb1ELb1ES3_N6thrust23THRUST_200600_302600_NS6detail15normal_iteratorINS9_10device_ptrItEEEESE_t11max_functorItEtEEDaPvRmT3_T4_T5_mT6_P12ihipStream_tbENKUlT_T0_E_clISt17integral_constantIbLb0EESU_EEDaSP_SQ_EUlSP_E_NS1_11comp_targetILNS1_3genE9ELNS1_11target_archE1100ELNS1_3gpuE3ELNS1_3repE0EEENS1_30default_config_static_selectorELNS0_4arch9wavefront6targetE1EEEvT1_
	.p2align	8
	.type	_ZN7rocprim17ROCPRIM_400000_NS6detail17trampoline_kernelINS0_14default_configENS1_20scan_config_selectorItEEZZNS1_9scan_implILNS1_25lookback_scan_determinismE0ELb1ELb1ES3_N6thrust23THRUST_200600_302600_NS6detail15normal_iteratorINS9_10device_ptrItEEEESE_t11max_functorItEtEEDaPvRmT3_T4_T5_mT6_P12ihipStream_tbENKUlT_T0_E_clISt17integral_constantIbLb0EESU_EEDaSP_SQ_EUlSP_E_NS1_11comp_targetILNS1_3genE9ELNS1_11target_archE1100ELNS1_3gpuE3ELNS1_3repE0EEENS1_30default_config_static_selectorELNS0_4arch9wavefront6targetE1EEEvT1_,@function
_ZN7rocprim17ROCPRIM_400000_NS6detail17trampoline_kernelINS0_14default_configENS1_20scan_config_selectorItEEZZNS1_9scan_implILNS1_25lookback_scan_determinismE0ELb1ELb1ES3_N6thrust23THRUST_200600_302600_NS6detail15normal_iteratorINS9_10device_ptrItEEEESE_t11max_functorItEtEEDaPvRmT3_T4_T5_mT6_P12ihipStream_tbENKUlT_T0_E_clISt17integral_constantIbLb0EESU_EEDaSP_SQ_EUlSP_E_NS1_11comp_targetILNS1_3genE9ELNS1_11target_archE1100ELNS1_3gpuE3ELNS1_3repE0EEENS1_30default_config_static_selectorELNS0_4arch9wavefront6targetE1EEEvT1_: ; @_ZN7rocprim17ROCPRIM_400000_NS6detail17trampoline_kernelINS0_14default_configENS1_20scan_config_selectorItEEZZNS1_9scan_implILNS1_25lookback_scan_determinismE0ELb1ELb1ES3_N6thrust23THRUST_200600_302600_NS6detail15normal_iteratorINS9_10device_ptrItEEEESE_t11max_functorItEtEEDaPvRmT3_T4_T5_mT6_P12ihipStream_tbENKUlT_T0_E_clISt17integral_constantIbLb0EESU_EEDaSP_SQ_EUlSP_E_NS1_11comp_targetILNS1_3genE9ELNS1_11target_archE1100ELNS1_3gpuE3ELNS1_3repE0EEENS1_30default_config_static_selectorELNS0_4arch9wavefront6targetE1EEEvT1_
; %bb.0:
	.section	.rodata,"a",@progbits
	.p2align	6, 0x0
	.amdhsa_kernel _ZN7rocprim17ROCPRIM_400000_NS6detail17trampoline_kernelINS0_14default_configENS1_20scan_config_selectorItEEZZNS1_9scan_implILNS1_25lookback_scan_determinismE0ELb1ELb1ES3_N6thrust23THRUST_200600_302600_NS6detail15normal_iteratorINS9_10device_ptrItEEEESE_t11max_functorItEtEEDaPvRmT3_T4_T5_mT6_P12ihipStream_tbENKUlT_T0_E_clISt17integral_constantIbLb0EESU_EEDaSP_SQ_EUlSP_E_NS1_11comp_targetILNS1_3genE9ELNS1_11target_archE1100ELNS1_3gpuE3ELNS1_3repE0EEENS1_30default_config_static_selectorELNS0_4arch9wavefront6targetE1EEEvT1_
		.amdhsa_group_segment_fixed_size 0
		.amdhsa_private_segment_fixed_size 0
		.amdhsa_kernarg_size 96
		.amdhsa_user_sgpr_count 6
		.amdhsa_user_sgpr_private_segment_buffer 1
		.amdhsa_user_sgpr_dispatch_ptr 0
		.amdhsa_user_sgpr_queue_ptr 0
		.amdhsa_user_sgpr_kernarg_segment_ptr 1
		.amdhsa_user_sgpr_dispatch_id 0
		.amdhsa_user_sgpr_flat_scratch_init 0
		.amdhsa_user_sgpr_kernarg_preload_length 0
		.amdhsa_user_sgpr_kernarg_preload_offset 0
		.amdhsa_user_sgpr_private_segment_size 0
		.amdhsa_uses_dynamic_stack 0
		.amdhsa_system_sgpr_private_segment_wavefront_offset 0
		.amdhsa_system_sgpr_workgroup_id_x 1
		.amdhsa_system_sgpr_workgroup_id_y 0
		.amdhsa_system_sgpr_workgroup_id_z 0
		.amdhsa_system_sgpr_workgroup_info 0
		.amdhsa_system_vgpr_workitem_id 0
		.amdhsa_next_free_vgpr 1
		.amdhsa_next_free_sgpr 0
		.amdhsa_accum_offset 4
		.amdhsa_reserve_vcc 0
		.amdhsa_reserve_flat_scratch 0
		.amdhsa_float_round_mode_32 0
		.amdhsa_float_round_mode_16_64 0
		.amdhsa_float_denorm_mode_32 3
		.amdhsa_float_denorm_mode_16_64 3
		.amdhsa_dx10_clamp 1
		.amdhsa_ieee_mode 1
		.amdhsa_fp16_overflow 0
		.amdhsa_tg_split 0
		.amdhsa_exception_fp_ieee_invalid_op 0
		.amdhsa_exception_fp_denorm_src 0
		.amdhsa_exception_fp_ieee_div_zero 0
		.amdhsa_exception_fp_ieee_overflow 0
		.amdhsa_exception_fp_ieee_underflow 0
		.amdhsa_exception_fp_ieee_inexact 0
		.amdhsa_exception_int_div_zero 0
	.end_amdhsa_kernel
	.section	.text._ZN7rocprim17ROCPRIM_400000_NS6detail17trampoline_kernelINS0_14default_configENS1_20scan_config_selectorItEEZZNS1_9scan_implILNS1_25lookback_scan_determinismE0ELb1ELb1ES3_N6thrust23THRUST_200600_302600_NS6detail15normal_iteratorINS9_10device_ptrItEEEESE_t11max_functorItEtEEDaPvRmT3_T4_T5_mT6_P12ihipStream_tbENKUlT_T0_E_clISt17integral_constantIbLb0EESU_EEDaSP_SQ_EUlSP_E_NS1_11comp_targetILNS1_3genE9ELNS1_11target_archE1100ELNS1_3gpuE3ELNS1_3repE0EEENS1_30default_config_static_selectorELNS0_4arch9wavefront6targetE1EEEvT1_,"axG",@progbits,_ZN7rocprim17ROCPRIM_400000_NS6detail17trampoline_kernelINS0_14default_configENS1_20scan_config_selectorItEEZZNS1_9scan_implILNS1_25lookback_scan_determinismE0ELb1ELb1ES3_N6thrust23THRUST_200600_302600_NS6detail15normal_iteratorINS9_10device_ptrItEEEESE_t11max_functorItEtEEDaPvRmT3_T4_T5_mT6_P12ihipStream_tbENKUlT_T0_E_clISt17integral_constantIbLb0EESU_EEDaSP_SQ_EUlSP_E_NS1_11comp_targetILNS1_3genE9ELNS1_11target_archE1100ELNS1_3gpuE3ELNS1_3repE0EEENS1_30default_config_static_selectorELNS0_4arch9wavefront6targetE1EEEvT1_,comdat
.Lfunc_end2493:
	.size	_ZN7rocprim17ROCPRIM_400000_NS6detail17trampoline_kernelINS0_14default_configENS1_20scan_config_selectorItEEZZNS1_9scan_implILNS1_25lookback_scan_determinismE0ELb1ELb1ES3_N6thrust23THRUST_200600_302600_NS6detail15normal_iteratorINS9_10device_ptrItEEEESE_t11max_functorItEtEEDaPvRmT3_T4_T5_mT6_P12ihipStream_tbENKUlT_T0_E_clISt17integral_constantIbLb0EESU_EEDaSP_SQ_EUlSP_E_NS1_11comp_targetILNS1_3genE9ELNS1_11target_archE1100ELNS1_3gpuE3ELNS1_3repE0EEENS1_30default_config_static_selectorELNS0_4arch9wavefront6targetE1EEEvT1_, .Lfunc_end2493-_ZN7rocprim17ROCPRIM_400000_NS6detail17trampoline_kernelINS0_14default_configENS1_20scan_config_selectorItEEZZNS1_9scan_implILNS1_25lookback_scan_determinismE0ELb1ELb1ES3_N6thrust23THRUST_200600_302600_NS6detail15normal_iteratorINS9_10device_ptrItEEEESE_t11max_functorItEtEEDaPvRmT3_T4_T5_mT6_P12ihipStream_tbENKUlT_T0_E_clISt17integral_constantIbLb0EESU_EEDaSP_SQ_EUlSP_E_NS1_11comp_targetILNS1_3genE9ELNS1_11target_archE1100ELNS1_3gpuE3ELNS1_3repE0EEENS1_30default_config_static_selectorELNS0_4arch9wavefront6targetE1EEEvT1_
                                        ; -- End function
	.section	.AMDGPU.csdata,"",@progbits
; Kernel info:
; codeLenInByte = 0
; NumSgprs: 4
; NumVgprs: 0
; NumAgprs: 0
; TotalNumVgprs: 0
; ScratchSize: 0
; MemoryBound: 0
; FloatMode: 240
; IeeeMode: 1
; LDSByteSize: 0 bytes/workgroup (compile time only)
; SGPRBlocks: 0
; VGPRBlocks: 0
; NumSGPRsForWavesPerEU: 4
; NumVGPRsForWavesPerEU: 1
; AccumOffset: 4
; Occupancy: 8
; WaveLimiterHint : 0
; COMPUTE_PGM_RSRC2:SCRATCH_EN: 0
; COMPUTE_PGM_RSRC2:USER_SGPR: 6
; COMPUTE_PGM_RSRC2:TRAP_HANDLER: 0
; COMPUTE_PGM_RSRC2:TGID_X_EN: 1
; COMPUTE_PGM_RSRC2:TGID_Y_EN: 0
; COMPUTE_PGM_RSRC2:TGID_Z_EN: 0
; COMPUTE_PGM_RSRC2:TIDIG_COMP_CNT: 0
; COMPUTE_PGM_RSRC3_GFX90A:ACCUM_OFFSET: 0
; COMPUTE_PGM_RSRC3_GFX90A:TG_SPLIT: 0
	.section	.text._ZN7rocprim17ROCPRIM_400000_NS6detail17trampoline_kernelINS0_14default_configENS1_20scan_config_selectorItEEZZNS1_9scan_implILNS1_25lookback_scan_determinismE0ELb1ELb1ES3_N6thrust23THRUST_200600_302600_NS6detail15normal_iteratorINS9_10device_ptrItEEEESE_t11max_functorItEtEEDaPvRmT3_T4_T5_mT6_P12ihipStream_tbENKUlT_T0_E_clISt17integral_constantIbLb0EESU_EEDaSP_SQ_EUlSP_E_NS1_11comp_targetILNS1_3genE8ELNS1_11target_archE1030ELNS1_3gpuE2ELNS1_3repE0EEENS1_30default_config_static_selectorELNS0_4arch9wavefront6targetE1EEEvT1_,"axG",@progbits,_ZN7rocprim17ROCPRIM_400000_NS6detail17trampoline_kernelINS0_14default_configENS1_20scan_config_selectorItEEZZNS1_9scan_implILNS1_25lookback_scan_determinismE0ELb1ELb1ES3_N6thrust23THRUST_200600_302600_NS6detail15normal_iteratorINS9_10device_ptrItEEEESE_t11max_functorItEtEEDaPvRmT3_T4_T5_mT6_P12ihipStream_tbENKUlT_T0_E_clISt17integral_constantIbLb0EESU_EEDaSP_SQ_EUlSP_E_NS1_11comp_targetILNS1_3genE8ELNS1_11target_archE1030ELNS1_3gpuE2ELNS1_3repE0EEENS1_30default_config_static_selectorELNS0_4arch9wavefront6targetE1EEEvT1_,comdat
	.protected	_ZN7rocprim17ROCPRIM_400000_NS6detail17trampoline_kernelINS0_14default_configENS1_20scan_config_selectorItEEZZNS1_9scan_implILNS1_25lookback_scan_determinismE0ELb1ELb1ES3_N6thrust23THRUST_200600_302600_NS6detail15normal_iteratorINS9_10device_ptrItEEEESE_t11max_functorItEtEEDaPvRmT3_T4_T5_mT6_P12ihipStream_tbENKUlT_T0_E_clISt17integral_constantIbLb0EESU_EEDaSP_SQ_EUlSP_E_NS1_11comp_targetILNS1_3genE8ELNS1_11target_archE1030ELNS1_3gpuE2ELNS1_3repE0EEENS1_30default_config_static_selectorELNS0_4arch9wavefront6targetE1EEEvT1_ ; -- Begin function _ZN7rocprim17ROCPRIM_400000_NS6detail17trampoline_kernelINS0_14default_configENS1_20scan_config_selectorItEEZZNS1_9scan_implILNS1_25lookback_scan_determinismE0ELb1ELb1ES3_N6thrust23THRUST_200600_302600_NS6detail15normal_iteratorINS9_10device_ptrItEEEESE_t11max_functorItEtEEDaPvRmT3_T4_T5_mT6_P12ihipStream_tbENKUlT_T0_E_clISt17integral_constantIbLb0EESU_EEDaSP_SQ_EUlSP_E_NS1_11comp_targetILNS1_3genE8ELNS1_11target_archE1030ELNS1_3gpuE2ELNS1_3repE0EEENS1_30default_config_static_selectorELNS0_4arch9wavefront6targetE1EEEvT1_
	.globl	_ZN7rocprim17ROCPRIM_400000_NS6detail17trampoline_kernelINS0_14default_configENS1_20scan_config_selectorItEEZZNS1_9scan_implILNS1_25lookback_scan_determinismE0ELb1ELb1ES3_N6thrust23THRUST_200600_302600_NS6detail15normal_iteratorINS9_10device_ptrItEEEESE_t11max_functorItEtEEDaPvRmT3_T4_T5_mT6_P12ihipStream_tbENKUlT_T0_E_clISt17integral_constantIbLb0EESU_EEDaSP_SQ_EUlSP_E_NS1_11comp_targetILNS1_3genE8ELNS1_11target_archE1030ELNS1_3gpuE2ELNS1_3repE0EEENS1_30default_config_static_selectorELNS0_4arch9wavefront6targetE1EEEvT1_
	.p2align	8
	.type	_ZN7rocprim17ROCPRIM_400000_NS6detail17trampoline_kernelINS0_14default_configENS1_20scan_config_selectorItEEZZNS1_9scan_implILNS1_25lookback_scan_determinismE0ELb1ELb1ES3_N6thrust23THRUST_200600_302600_NS6detail15normal_iteratorINS9_10device_ptrItEEEESE_t11max_functorItEtEEDaPvRmT3_T4_T5_mT6_P12ihipStream_tbENKUlT_T0_E_clISt17integral_constantIbLb0EESU_EEDaSP_SQ_EUlSP_E_NS1_11comp_targetILNS1_3genE8ELNS1_11target_archE1030ELNS1_3gpuE2ELNS1_3repE0EEENS1_30default_config_static_selectorELNS0_4arch9wavefront6targetE1EEEvT1_,@function
_ZN7rocprim17ROCPRIM_400000_NS6detail17trampoline_kernelINS0_14default_configENS1_20scan_config_selectorItEEZZNS1_9scan_implILNS1_25lookback_scan_determinismE0ELb1ELb1ES3_N6thrust23THRUST_200600_302600_NS6detail15normal_iteratorINS9_10device_ptrItEEEESE_t11max_functorItEtEEDaPvRmT3_T4_T5_mT6_P12ihipStream_tbENKUlT_T0_E_clISt17integral_constantIbLb0EESU_EEDaSP_SQ_EUlSP_E_NS1_11comp_targetILNS1_3genE8ELNS1_11target_archE1030ELNS1_3gpuE2ELNS1_3repE0EEENS1_30default_config_static_selectorELNS0_4arch9wavefront6targetE1EEEvT1_: ; @_ZN7rocprim17ROCPRIM_400000_NS6detail17trampoline_kernelINS0_14default_configENS1_20scan_config_selectorItEEZZNS1_9scan_implILNS1_25lookback_scan_determinismE0ELb1ELb1ES3_N6thrust23THRUST_200600_302600_NS6detail15normal_iteratorINS9_10device_ptrItEEEESE_t11max_functorItEtEEDaPvRmT3_T4_T5_mT6_P12ihipStream_tbENKUlT_T0_E_clISt17integral_constantIbLb0EESU_EEDaSP_SQ_EUlSP_E_NS1_11comp_targetILNS1_3genE8ELNS1_11target_archE1030ELNS1_3gpuE2ELNS1_3repE0EEENS1_30default_config_static_selectorELNS0_4arch9wavefront6targetE1EEEvT1_
; %bb.0:
	.section	.rodata,"a",@progbits
	.p2align	6, 0x0
	.amdhsa_kernel _ZN7rocprim17ROCPRIM_400000_NS6detail17trampoline_kernelINS0_14default_configENS1_20scan_config_selectorItEEZZNS1_9scan_implILNS1_25lookback_scan_determinismE0ELb1ELb1ES3_N6thrust23THRUST_200600_302600_NS6detail15normal_iteratorINS9_10device_ptrItEEEESE_t11max_functorItEtEEDaPvRmT3_T4_T5_mT6_P12ihipStream_tbENKUlT_T0_E_clISt17integral_constantIbLb0EESU_EEDaSP_SQ_EUlSP_E_NS1_11comp_targetILNS1_3genE8ELNS1_11target_archE1030ELNS1_3gpuE2ELNS1_3repE0EEENS1_30default_config_static_selectorELNS0_4arch9wavefront6targetE1EEEvT1_
		.amdhsa_group_segment_fixed_size 0
		.amdhsa_private_segment_fixed_size 0
		.amdhsa_kernarg_size 96
		.amdhsa_user_sgpr_count 6
		.amdhsa_user_sgpr_private_segment_buffer 1
		.amdhsa_user_sgpr_dispatch_ptr 0
		.amdhsa_user_sgpr_queue_ptr 0
		.amdhsa_user_sgpr_kernarg_segment_ptr 1
		.amdhsa_user_sgpr_dispatch_id 0
		.amdhsa_user_sgpr_flat_scratch_init 0
		.amdhsa_user_sgpr_kernarg_preload_length 0
		.amdhsa_user_sgpr_kernarg_preload_offset 0
		.amdhsa_user_sgpr_private_segment_size 0
		.amdhsa_uses_dynamic_stack 0
		.amdhsa_system_sgpr_private_segment_wavefront_offset 0
		.amdhsa_system_sgpr_workgroup_id_x 1
		.amdhsa_system_sgpr_workgroup_id_y 0
		.amdhsa_system_sgpr_workgroup_id_z 0
		.amdhsa_system_sgpr_workgroup_info 0
		.amdhsa_system_vgpr_workitem_id 0
		.amdhsa_next_free_vgpr 1
		.amdhsa_next_free_sgpr 0
		.amdhsa_accum_offset 4
		.amdhsa_reserve_vcc 0
		.amdhsa_reserve_flat_scratch 0
		.amdhsa_float_round_mode_32 0
		.amdhsa_float_round_mode_16_64 0
		.amdhsa_float_denorm_mode_32 3
		.amdhsa_float_denorm_mode_16_64 3
		.amdhsa_dx10_clamp 1
		.amdhsa_ieee_mode 1
		.amdhsa_fp16_overflow 0
		.amdhsa_tg_split 0
		.amdhsa_exception_fp_ieee_invalid_op 0
		.amdhsa_exception_fp_denorm_src 0
		.amdhsa_exception_fp_ieee_div_zero 0
		.amdhsa_exception_fp_ieee_overflow 0
		.amdhsa_exception_fp_ieee_underflow 0
		.amdhsa_exception_fp_ieee_inexact 0
		.amdhsa_exception_int_div_zero 0
	.end_amdhsa_kernel
	.section	.text._ZN7rocprim17ROCPRIM_400000_NS6detail17trampoline_kernelINS0_14default_configENS1_20scan_config_selectorItEEZZNS1_9scan_implILNS1_25lookback_scan_determinismE0ELb1ELb1ES3_N6thrust23THRUST_200600_302600_NS6detail15normal_iteratorINS9_10device_ptrItEEEESE_t11max_functorItEtEEDaPvRmT3_T4_T5_mT6_P12ihipStream_tbENKUlT_T0_E_clISt17integral_constantIbLb0EESU_EEDaSP_SQ_EUlSP_E_NS1_11comp_targetILNS1_3genE8ELNS1_11target_archE1030ELNS1_3gpuE2ELNS1_3repE0EEENS1_30default_config_static_selectorELNS0_4arch9wavefront6targetE1EEEvT1_,"axG",@progbits,_ZN7rocprim17ROCPRIM_400000_NS6detail17trampoline_kernelINS0_14default_configENS1_20scan_config_selectorItEEZZNS1_9scan_implILNS1_25lookback_scan_determinismE0ELb1ELb1ES3_N6thrust23THRUST_200600_302600_NS6detail15normal_iteratorINS9_10device_ptrItEEEESE_t11max_functorItEtEEDaPvRmT3_T4_T5_mT6_P12ihipStream_tbENKUlT_T0_E_clISt17integral_constantIbLb0EESU_EEDaSP_SQ_EUlSP_E_NS1_11comp_targetILNS1_3genE8ELNS1_11target_archE1030ELNS1_3gpuE2ELNS1_3repE0EEENS1_30default_config_static_selectorELNS0_4arch9wavefront6targetE1EEEvT1_,comdat
.Lfunc_end2494:
	.size	_ZN7rocprim17ROCPRIM_400000_NS6detail17trampoline_kernelINS0_14default_configENS1_20scan_config_selectorItEEZZNS1_9scan_implILNS1_25lookback_scan_determinismE0ELb1ELb1ES3_N6thrust23THRUST_200600_302600_NS6detail15normal_iteratorINS9_10device_ptrItEEEESE_t11max_functorItEtEEDaPvRmT3_T4_T5_mT6_P12ihipStream_tbENKUlT_T0_E_clISt17integral_constantIbLb0EESU_EEDaSP_SQ_EUlSP_E_NS1_11comp_targetILNS1_3genE8ELNS1_11target_archE1030ELNS1_3gpuE2ELNS1_3repE0EEENS1_30default_config_static_selectorELNS0_4arch9wavefront6targetE1EEEvT1_, .Lfunc_end2494-_ZN7rocprim17ROCPRIM_400000_NS6detail17trampoline_kernelINS0_14default_configENS1_20scan_config_selectorItEEZZNS1_9scan_implILNS1_25lookback_scan_determinismE0ELb1ELb1ES3_N6thrust23THRUST_200600_302600_NS6detail15normal_iteratorINS9_10device_ptrItEEEESE_t11max_functorItEtEEDaPvRmT3_T4_T5_mT6_P12ihipStream_tbENKUlT_T0_E_clISt17integral_constantIbLb0EESU_EEDaSP_SQ_EUlSP_E_NS1_11comp_targetILNS1_3genE8ELNS1_11target_archE1030ELNS1_3gpuE2ELNS1_3repE0EEENS1_30default_config_static_selectorELNS0_4arch9wavefront6targetE1EEEvT1_
                                        ; -- End function
	.section	.AMDGPU.csdata,"",@progbits
; Kernel info:
; codeLenInByte = 0
; NumSgprs: 4
; NumVgprs: 0
; NumAgprs: 0
; TotalNumVgprs: 0
; ScratchSize: 0
; MemoryBound: 0
; FloatMode: 240
; IeeeMode: 1
; LDSByteSize: 0 bytes/workgroup (compile time only)
; SGPRBlocks: 0
; VGPRBlocks: 0
; NumSGPRsForWavesPerEU: 4
; NumVGPRsForWavesPerEU: 1
; AccumOffset: 4
; Occupancy: 8
; WaveLimiterHint : 0
; COMPUTE_PGM_RSRC2:SCRATCH_EN: 0
; COMPUTE_PGM_RSRC2:USER_SGPR: 6
; COMPUTE_PGM_RSRC2:TRAP_HANDLER: 0
; COMPUTE_PGM_RSRC2:TGID_X_EN: 1
; COMPUTE_PGM_RSRC2:TGID_Y_EN: 0
; COMPUTE_PGM_RSRC2:TGID_Z_EN: 0
; COMPUTE_PGM_RSRC2:TIDIG_COMP_CNT: 0
; COMPUTE_PGM_RSRC3_GFX90A:ACCUM_OFFSET: 0
; COMPUTE_PGM_RSRC3_GFX90A:TG_SPLIT: 0
	.section	.text._ZN7rocprim17ROCPRIM_400000_NS6detail17trampoline_kernelINS0_14default_configENS1_20scan_config_selectorItEEZZNS1_9scan_implILNS1_25lookback_scan_determinismE0ELb1ELb1ES3_N6thrust23THRUST_200600_302600_NS6detail15normal_iteratorINS9_10device_ptrItEEEESE_t11max_functorItEtEEDaPvRmT3_T4_T5_mT6_P12ihipStream_tbENKUlT_T0_E_clISt17integral_constantIbLb0EESU_EEDaSP_SQ_EUlSP_E0_NS1_11comp_targetILNS1_3genE0ELNS1_11target_archE4294967295ELNS1_3gpuE0ELNS1_3repE0EEENS1_30default_config_static_selectorELNS0_4arch9wavefront6targetE1EEEvT1_,"axG",@progbits,_ZN7rocprim17ROCPRIM_400000_NS6detail17trampoline_kernelINS0_14default_configENS1_20scan_config_selectorItEEZZNS1_9scan_implILNS1_25lookback_scan_determinismE0ELb1ELb1ES3_N6thrust23THRUST_200600_302600_NS6detail15normal_iteratorINS9_10device_ptrItEEEESE_t11max_functorItEtEEDaPvRmT3_T4_T5_mT6_P12ihipStream_tbENKUlT_T0_E_clISt17integral_constantIbLb0EESU_EEDaSP_SQ_EUlSP_E0_NS1_11comp_targetILNS1_3genE0ELNS1_11target_archE4294967295ELNS1_3gpuE0ELNS1_3repE0EEENS1_30default_config_static_selectorELNS0_4arch9wavefront6targetE1EEEvT1_,comdat
	.protected	_ZN7rocprim17ROCPRIM_400000_NS6detail17trampoline_kernelINS0_14default_configENS1_20scan_config_selectorItEEZZNS1_9scan_implILNS1_25lookback_scan_determinismE0ELb1ELb1ES3_N6thrust23THRUST_200600_302600_NS6detail15normal_iteratorINS9_10device_ptrItEEEESE_t11max_functorItEtEEDaPvRmT3_T4_T5_mT6_P12ihipStream_tbENKUlT_T0_E_clISt17integral_constantIbLb0EESU_EEDaSP_SQ_EUlSP_E0_NS1_11comp_targetILNS1_3genE0ELNS1_11target_archE4294967295ELNS1_3gpuE0ELNS1_3repE0EEENS1_30default_config_static_selectorELNS0_4arch9wavefront6targetE1EEEvT1_ ; -- Begin function _ZN7rocprim17ROCPRIM_400000_NS6detail17trampoline_kernelINS0_14default_configENS1_20scan_config_selectorItEEZZNS1_9scan_implILNS1_25lookback_scan_determinismE0ELb1ELb1ES3_N6thrust23THRUST_200600_302600_NS6detail15normal_iteratorINS9_10device_ptrItEEEESE_t11max_functorItEtEEDaPvRmT3_T4_T5_mT6_P12ihipStream_tbENKUlT_T0_E_clISt17integral_constantIbLb0EESU_EEDaSP_SQ_EUlSP_E0_NS1_11comp_targetILNS1_3genE0ELNS1_11target_archE4294967295ELNS1_3gpuE0ELNS1_3repE0EEENS1_30default_config_static_selectorELNS0_4arch9wavefront6targetE1EEEvT1_
	.globl	_ZN7rocprim17ROCPRIM_400000_NS6detail17trampoline_kernelINS0_14default_configENS1_20scan_config_selectorItEEZZNS1_9scan_implILNS1_25lookback_scan_determinismE0ELb1ELb1ES3_N6thrust23THRUST_200600_302600_NS6detail15normal_iteratorINS9_10device_ptrItEEEESE_t11max_functorItEtEEDaPvRmT3_T4_T5_mT6_P12ihipStream_tbENKUlT_T0_E_clISt17integral_constantIbLb0EESU_EEDaSP_SQ_EUlSP_E0_NS1_11comp_targetILNS1_3genE0ELNS1_11target_archE4294967295ELNS1_3gpuE0ELNS1_3repE0EEENS1_30default_config_static_selectorELNS0_4arch9wavefront6targetE1EEEvT1_
	.p2align	8
	.type	_ZN7rocprim17ROCPRIM_400000_NS6detail17trampoline_kernelINS0_14default_configENS1_20scan_config_selectorItEEZZNS1_9scan_implILNS1_25lookback_scan_determinismE0ELb1ELb1ES3_N6thrust23THRUST_200600_302600_NS6detail15normal_iteratorINS9_10device_ptrItEEEESE_t11max_functorItEtEEDaPvRmT3_T4_T5_mT6_P12ihipStream_tbENKUlT_T0_E_clISt17integral_constantIbLb0EESU_EEDaSP_SQ_EUlSP_E0_NS1_11comp_targetILNS1_3genE0ELNS1_11target_archE4294967295ELNS1_3gpuE0ELNS1_3repE0EEENS1_30default_config_static_selectorELNS0_4arch9wavefront6targetE1EEEvT1_,@function
_ZN7rocprim17ROCPRIM_400000_NS6detail17trampoline_kernelINS0_14default_configENS1_20scan_config_selectorItEEZZNS1_9scan_implILNS1_25lookback_scan_determinismE0ELb1ELb1ES3_N6thrust23THRUST_200600_302600_NS6detail15normal_iteratorINS9_10device_ptrItEEEESE_t11max_functorItEtEEDaPvRmT3_T4_T5_mT6_P12ihipStream_tbENKUlT_T0_E_clISt17integral_constantIbLb0EESU_EEDaSP_SQ_EUlSP_E0_NS1_11comp_targetILNS1_3genE0ELNS1_11target_archE4294967295ELNS1_3gpuE0ELNS1_3repE0EEENS1_30default_config_static_selectorELNS0_4arch9wavefront6targetE1EEEvT1_: ; @_ZN7rocprim17ROCPRIM_400000_NS6detail17trampoline_kernelINS0_14default_configENS1_20scan_config_selectorItEEZZNS1_9scan_implILNS1_25lookback_scan_determinismE0ELb1ELb1ES3_N6thrust23THRUST_200600_302600_NS6detail15normal_iteratorINS9_10device_ptrItEEEESE_t11max_functorItEtEEDaPvRmT3_T4_T5_mT6_P12ihipStream_tbENKUlT_T0_E_clISt17integral_constantIbLb0EESU_EEDaSP_SQ_EUlSP_E0_NS1_11comp_targetILNS1_3genE0ELNS1_11target_archE4294967295ELNS1_3gpuE0ELNS1_3repE0EEENS1_30default_config_static_selectorELNS0_4arch9wavefront6targetE1EEEvT1_
; %bb.0:
	.section	.rodata,"a",@progbits
	.p2align	6, 0x0
	.amdhsa_kernel _ZN7rocprim17ROCPRIM_400000_NS6detail17trampoline_kernelINS0_14default_configENS1_20scan_config_selectorItEEZZNS1_9scan_implILNS1_25lookback_scan_determinismE0ELb1ELb1ES3_N6thrust23THRUST_200600_302600_NS6detail15normal_iteratorINS9_10device_ptrItEEEESE_t11max_functorItEtEEDaPvRmT3_T4_T5_mT6_P12ihipStream_tbENKUlT_T0_E_clISt17integral_constantIbLb0EESU_EEDaSP_SQ_EUlSP_E0_NS1_11comp_targetILNS1_3genE0ELNS1_11target_archE4294967295ELNS1_3gpuE0ELNS1_3repE0EEENS1_30default_config_static_selectorELNS0_4arch9wavefront6targetE1EEEvT1_
		.amdhsa_group_segment_fixed_size 0
		.amdhsa_private_segment_fixed_size 0
		.amdhsa_kernarg_size 32
		.amdhsa_user_sgpr_count 6
		.amdhsa_user_sgpr_private_segment_buffer 1
		.amdhsa_user_sgpr_dispatch_ptr 0
		.amdhsa_user_sgpr_queue_ptr 0
		.amdhsa_user_sgpr_kernarg_segment_ptr 1
		.amdhsa_user_sgpr_dispatch_id 0
		.amdhsa_user_sgpr_flat_scratch_init 0
		.amdhsa_user_sgpr_kernarg_preload_length 0
		.amdhsa_user_sgpr_kernarg_preload_offset 0
		.amdhsa_user_sgpr_private_segment_size 0
		.amdhsa_uses_dynamic_stack 0
		.amdhsa_system_sgpr_private_segment_wavefront_offset 0
		.amdhsa_system_sgpr_workgroup_id_x 1
		.amdhsa_system_sgpr_workgroup_id_y 0
		.amdhsa_system_sgpr_workgroup_id_z 0
		.amdhsa_system_sgpr_workgroup_info 0
		.amdhsa_system_vgpr_workitem_id 0
		.amdhsa_next_free_vgpr 1
		.amdhsa_next_free_sgpr 0
		.amdhsa_accum_offset 4
		.amdhsa_reserve_vcc 0
		.amdhsa_reserve_flat_scratch 0
		.amdhsa_float_round_mode_32 0
		.amdhsa_float_round_mode_16_64 0
		.amdhsa_float_denorm_mode_32 3
		.amdhsa_float_denorm_mode_16_64 3
		.amdhsa_dx10_clamp 1
		.amdhsa_ieee_mode 1
		.amdhsa_fp16_overflow 0
		.amdhsa_tg_split 0
		.amdhsa_exception_fp_ieee_invalid_op 0
		.amdhsa_exception_fp_denorm_src 0
		.amdhsa_exception_fp_ieee_div_zero 0
		.amdhsa_exception_fp_ieee_overflow 0
		.amdhsa_exception_fp_ieee_underflow 0
		.amdhsa_exception_fp_ieee_inexact 0
		.amdhsa_exception_int_div_zero 0
	.end_amdhsa_kernel
	.section	.text._ZN7rocprim17ROCPRIM_400000_NS6detail17trampoline_kernelINS0_14default_configENS1_20scan_config_selectorItEEZZNS1_9scan_implILNS1_25lookback_scan_determinismE0ELb1ELb1ES3_N6thrust23THRUST_200600_302600_NS6detail15normal_iteratorINS9_10device_ptrItEEEESE_t11max_functorItEtEEDaPvRmT3_T4_T5_mT6_P12ihipStream_tbENKUlT_T0_E_clISt17integral_constantIbLb0EESU_EEDaSP_SQ_EUlSP_E0_NS1_11comp_targetILNS1_3genE0ELNS1_11target_archE4294967295ELNS1_3gpuE0ELNS1_3repE0EEENS1_30default_config_static_selectorELNS0_4arch9wavefront6targetE1EEEvT1_,"axG",@progbits,_ZN7rocprim17ROCPRIM_400000_NS6detail17trampoline_kernelINS0_14default_configENS1_20scan_config_selectorItEEZZNS1_9scan_implILNS1_25lookback_scan_determinismE0ELb1ELb1ES3_N6thrust23THRUST_200600_302600_NS6detail15normal_iteratorINS9_10device_ptrItEEEESE_t11max_functorItEtEEDaPvRmT3_T4_T5_mT6_P12ihipStream_tbENKUlT_T0_E_clISt17integral_constantIbLb0EESU_EEDaSP_SQ_EUlSP_E0_NS1_11comp_targetILNS1_3genE0ELNS1_11target_archE4294967295ELNS1_3gpuE0ELNS1_3repE0EEENS1_30default_config_static_selectorELNS0_4arch9wavefront6targetE1EEEvT1_,comdat
.Lfunc_end2495:
	.size	_ZN7rocprim17ROCPRIM_400000_NS6detail17trampoline_kernelINS0_14default_configENS1_20scan_config_selectorItEEZZNS1_9scan_implILNS1_25lookback_scan_determinismE0ELb1ELb1ES3_N6thrust23THRUST_200600_302600_NS6detail15normal_iteratorINS9_10device_ptrItEEEESE_t11max_functorItEtEEDaPvRmT3_T4_T5_mT6_P12ihipStream_tbENKUlT_T0_E_clISt17integral_constantIbLb0EESU_EEDaSP_SQ_EUlSP_E0_NS1_11comp_targetILNS1_3genE0ELNS1_11target_archE4294967295ELNS1_3gpuE0ELNS1_3repE0EEENS1_30default_config_static_selectorELNS0_4arch9wavefront6targetE1EEEvT1_, .Lfunc_end2495-_ZN7rocprim17ROCPRIM_400000_NS6detail17trampoline_kernelINS0_14default_configENS1_20scan_config_selectorItEEZZNS1_9scan_implILNS1_25lookback_scan_determinismE0ELb1ELb1ES3_N6thrust23THRUST_200600_302600_NS6detail15normal_iteratorINS9_10device_ptrItEEEESE_t11max_functorItEtEEDaPvRmT3_T4_T5_mT6_P12ihipStream_tbENKUlT_T0_E_clISt17integral_constantIbLb0EESU_EEDaSP_SQ_EUlSP_E0_NS1_11comp_targetILNS1_3genE0ELNS1_11target_archE4294967295ELNS1_3gpuE0ELNS1_3repE0EEENS1_30default_config_static_selectorELNS0_4arch9wavefront6targetE1EEEvT1_
                                        ; -- End function
	.section	.AMDGPU.csdata,"",@progbits
; Kernel info:
; codeLenInByte = 0
; NumSgprs: 4
; NumVgprs: 0
; NumAgprs: 0
; TotalNumVgprs: 0
; ScratchSize: 0
; MemoryBound: 0
; FloatMode: 240
; IeeeMode: 1
; LDSByteSize: 0 bytes/workgroup (compile time only)
; SGPRBlocks: 0
; VGPRBlocks: 0
; NumSGPRsForWavesPerEU: 4
; NumVGPRsForWavesPerEU: 1
; AccumOffset: 4
; Occupancy: 8
; WaveLimiterHint : 0
; COMPUTE_PGM_RSRC2:SCRATCH_EN: 0
; COMPUTE_PGM_RSRC2:USER_SGPR: 6
; COMPUTE_PGM_RSRC2:TRAP_HANDLER: 0
; COMPUTE_PGM_RSRC2:TGID_X_EN: 1
; COMPUTE_PGM_RSRC2:TGID_Y_EN: 0
; COMPUTE_PGM_RSRC2:TGID_Z_EN: 0
; COMPUTE_PGM_RSRC2:TIDIG_COMP_CNT: 0
; COMPUTE_PGM_RSRC3_GFX90A:ACCUM_OFFSET: 0
; COMPUTE_PGM_RSRC3_GFX90A:TG_SPLIT: 0
	.section	.text._ZN7rocprim17ROCPRIM_400000_NS6detail17trampoline_kernelINS0_14default_configENS1_20scan_config_selectorItEEZZNS1_9scan_implILNS1_25lookback_scan_determinismE0ELb1ELb1ES3_N6thrust23THRUST_200600_302600_NS6detail15normal_iteratorINS9_10device_ptrItEEEESE_t11max_functorItEtEEDaPvRmT3_T4_T5_mT6_P12ihipStream_tbENKUlT_T0_E_clISt17integral_constantIbLb0EESU_EEDaSP_SQ_EUlSP_E0_NS1_11comp_targetILNS1_3genE5ELNS1_11target_archE942ELNS1_3gpuE9ELNS1_3repE0EEENS1_30default_config_static_selectorELNS0_4arch9wavefront6targetE1EEEvT1_,"axG",@progbits,_ZN7rocprim17ROCPRIM_400000_NS6detail17trampoline_kernelINS0_14default_configENS1_20scan_config_selectorItEEZZNS1_9scan_implILNS1_25lookback_scan_determinismE0ELb1ELb1ES3_N6thrust23THRUST_200600_302600_NS6detail15normal_iteratorINS9_10device_ptrItEEEESE_t11max_functorItEtEEDaPvRmT3_T4_T5_mT6_P12ihipStream_tbENKUlT_T0_E_clISt17integral_constantIbLb0EESU_EEDaSP_SQ_EUlSP_E0_NS1_11comp_targetILNS1_3genE5ELNS1_11target_archE942ELNS1_3gpuE9ELNS1_3repE0EEENS1_30default_config_static_selectorELNS0_4arch9wavefront6targetE1EEEvT1_,comdat
	.protected	_ZN7rocprim17ROCPRIM_400000_NS6detail17trampoline_kernelINS0_14default_configENS1_20scan_config_selectorItEEZZNS1_9scan_implILNS1_25lookback_scan_determinismE0ELb1ELb1ES3_N6thrust23THRUST_200600_302600_NS6detail15normal_iteratorINS9_10device_ptrItEEEESE_t11max_functorItEtEEDaPvRmT3_T4_T5_mT6_P12ihipStream_tbENKUlT_T0_E_clISt17integral_constantIbLb0EESU_EEDaSP_SQ_EUlSP_E0_NS1_11comp_targetILNS1_3genE5ELNS1_11target_archE942ELNS1_3gpuE9ELNS1_3repE0EEENS1_30default_config_static_selectorELNS0_4arch9wavefront6targetE1EEEvT1_ ; -- Begin function _ZN7rocprim17ROCPRIM_400000_NS6detail17trampoline_kernelINS0_14default_configENS1_20scan_config_selectorItEEZZNS1_9scan_implILNS1_25lookback_scan_determinismE0ELb1ELb1ES3_N6thrust23THRUST_200600_302600_NS6detail15normal_iteratorINS9_10device_ptrItEEEESE_t11max_functorItEtEEDaPvRmT3_T4_T5_mT6_P12ihipStream_tbENKUlT_T0_E_clISt17integral_constantIbLb0EESU_EEDaSP_SQ_EUlSP_E0_NS1_11comp_targetILNS1_3genE5ELNS1_11target_archE942ELNS1_3gpuE9ELNS1_3repE0EEENS1_30default_config_static_selectorELNS0_4arch9wavefront6targetE1EEEvT1_
	.globl	_ZN7rocprim17ROCPRIM_400000_NS6detail17trampoline_kernelINS0_14default_configENS1_20scan_config_selectorItEEZZNS1_9scan_implILNS1_25lookback_scan_determinismE0ELb1ELb1ES3_N6thrust23THRUST_200600_302600_NS6detail15normal_iteratorINS9_10device_ptrItEEEESE_t11max_functorItEtEEDaPvRmT3_T4_T5_mT6_P12ihipStream_tbENKUlT_T0_E_clISt17integral_constantIbLb0EESU_EEDaSP_SQ_EUlSP_E0_NS1_11comp_targetILNS1_3genE5ELNS1_11target_archE942ELNS1_3gpuE9ELNS1_3repE0EEENS1_30default_config_static_selectorELNS0_4arch9wavefront6targetE1EEEvT1_
	.p2align	8
	.type	_ZN7rocprim17ROCPRIM_400000_NS6detail17trampoline_kernelINS0_14default_configENS1_20scan_config_selectorItEEZZNS1_9scan_implILNS1_25lookback_scan_determinismE0ELb1ELb1ES3_N6thrust23THRUST_200600_302600_NS6detail15normal_iteratorINS9_10device_ptrItEEEESE_t11max_functorItEtEEDaPvRmT3_T4_T5_mT6_P12ihipStream_tbENKUlT_T0_E_clISt17integral_constantIbLb0EESU_EEDaSP_SQ_EUlSP_E0_NS1_11comp_targetILNS1_3genE5ELNS1_11target_archE942ELNS1_3gpuE9ELNS1_3repE0EEENS1_30default_config_static_selectorELNS0_4arch9wavefront6targetE1EEEvT1_,@function
_ZN7rocprim17ROCPRIM_400000_NS6detail17trampoline_kernelINS0_14default_configENS1_20scan_config_selectorItEEZZNS1_9scan_implILNS1_25lookback_scan_determinismE0ELb1ELb1ES3_N6thrust23THRUST_200600_302600_NS6detail15normal_iteratorINS9_10device_ptrItEEEESE_t11max_functorItEtEEDaPvRmT3_T4_T5_mT6_P12ihipStream_tbENKUlT_T0_E_clISt17integral_constantIbLb0EESU_EEDaSP_SQ_EUlSP_E0_NS1_11comp_targetILNS1_3genE5ELNS1_11target_archE942ELNS1_3gpuE9ELNS1_3repE0EEENS1_30default_config_static_selectorELNS0_4arch9wavefront6targetE1EEEvT1_: ; @_ZN7rocprim17ROCPRIM_400000_NS6detail17trampoline_kernelINS0_14default_configENS1_20scan_config_selectorItEEZZNS1_9scan_implILNS1_25lookback_scan_determinismE0ELb1ELb1ES3_N6thrust23THRUST_200600_302600_NS6detail15normal_iteratorINS9_10device_ptrItEEEESE_t11max_functorItEtEEDaPvRmT3_T4_T5_mT6_P12ihipStream_tbENKUlT_T0_E_clISt17integral_constantIbLb0EESU_EEDaSP_SQ_EUlSP_E0_NS1_11comp_targetILNS1_3genE5ELNS1_11target_archE942ELNS1_3gpuE9ELNS1_3repE0EEENS1_30default_config_static_selectorELNS0_4arch9wavefront6targetE1EEEvT1_
; %bb.0:
	.section	.rodata,"a",@progbits
	.p2align	6, 0x0
	.amdhsa_kernel _ZN7rocprim17ROCPRIM_400000_NS6detail17trampoline_kernelINS0_14default_configENS1_20scan_config_selectorItEEZZNS1_9scan_implILNS1_25lookback_scan_determinismE0ELb1ELb1ES3_N6thrust23THRUST_200600_302600_NS6detail15normal_iteratorINS9_10device_ptrItEEEESE_t11max_functorItEtEEDaPvRmT3_T4_T5_mT6_P12ihipStream_tbENKUlT_T0_E_clISt17integral_constantIbLb0EESU_EEDaSP_SQ_EUlSP_E0_NS1_11comp_targetILNS1_3genE5ELNS1_11target_archE942ELNS1_3gpuE9ELNS1_3repE0EEENS1_30default_config_static_selectorELNS0_4arch9wavefront6targetE1EEEvT1_
		.amdhsa_group_segment_fixed_size 0
		.amdhsa_private_segment_fixed_size 0
		.amdhsa_kernarg_size 32
		.amdhsa_user_sgpr_count 6
		.amdhsa_user_sgpr_private_segment_buffer 1
		.amdhsa_user_sgpr_dispatch_ptr 0
		.amdhsa_user_sgpr_queue_ptr 0
		.amdhsa_user_sgpr_kernarg_segment_ptr 1
		.amdhsa_user_sgpr_dispatch_id 0
		.amdhsa_user_sgpr_flat_scratch_init 0
		.amdhsa_user_sgpr_kernarg_preload_length 0
		.amdhsa_user_sgpr_kernarg_preload_offset 0
		.amdhsa_user_sgpr_private_segment_size 0
		.amdhsa_uses_dynamic_stack 0
		.amdhsa_system_sgpr_private_segment_wavefront_offset 0
		.amdhsa_system_sgpr_workgroup_id_x 1
		.amdhsa_system_sgpr_workgroup_id_y 0
		.amdhsa_system_sgpr_workgroup_id_z 0
		.amdhsa_system_sgpr_workgroup_info 0
		.amdhsa_system_vgpr_workitem_id 0
		.amdhsa_next_free_vgpr 1
		.amdhsa_next_free_sgpr 0
		.amdhsa_accum_offset 4
		.amdhsa_reserve_vcc 0
		.amdhsa_reserve_flat_scratch 0
		.amdhsa_float_round_mode_32 0
		.amdhsa_float_round_mode_16_64 0
		.amdhsa_float_denorm_mode_32 3
		.amdhsa_float_denorm_mode_16_64 3
		.amdhsa_dx10_clamp 1
		.amdhsa_ieee_mode 1
		.amdhsa_fp16_overflow 0
		.amdhsa_tg_split 0
		.amdhsa_exception_fp_ieee_invalid_op 0
		.amdhsa_exception_fp_denorm_src 0
		.amdhsa_exception_fp_ieee_div_zero 0
		.amdhsa_exception_fp_ieee_overflow 0
		.amdhsa_exception_fp_ieee_underflow 0
		.amdhsa_exception_fp_ieee_inexact 0
		.amdhsa_exception_int_div_zero 0
	.end_amdhsa_kernel
	.section	.text._ZN7rocprim17ROCPRIM_400000_NS6detail17trampoline_kernelINS0_14default_configENS1_20scan_config_selectorItEEZZNS1_9scan_implILNS1_25lookback_scan_determinismE0ELb1ELb1ES3_N6thrust23THRUST_200600_302600_NS6detail15normal_iteratorINS9_10device_ptrItEEEESE_t11max_functorItEtEEDaPvRmT3_T4_T5_mT6_P12ihipStream_tbENKUlT_T0_E_clISt17integral_constantIbLb0EESU_EEDaSP_SQ_EUlSP_E0_NS1_11comp_targetILNS1_3genE5ELNS1_11target_archE942ELNS1_3gpuE9ELNS1_3repE0EEENS1_30default_config_static_selectorELNS0_4arch9wavefront6targetE1EEEvT1_,"axG",@progbits,_ZN7rocprim17ROCPRIM_400000_NS6detail17trampoline_kernelINS0_14default_configENS1_20scan_config_selectorItEEZZNS1_9scan_implILNS1_25lookback_scan_determinismE0ELb1ELb1ES3_N6thrust23THRUST_200600_302600_NS6detail15normal_iteratorINS9_10device_ptrItEEEESE_t11max_functorItEtEEDaPvRmT3_T4_T5_mT6_P12ihipStream_tbENKUlT_T0_E_clISt17integral_constantIbLb0EESU_EEDaSP_SQ_EUlSP_E0_NS1_11comp_targetILNS1_3genE5ELNS1_11target_archE942ELNS1_3gpuE9ELNS1_3repE0EEENS1_30default_config_static_selectorELNS0_4arch9wavefront6targetE1EEEvT1_,comdat
.Lfunc_end2496:
	.size	_ZN7rocprim17ROCPRIM_400000_NS6detail17trampoline_kernelINS0_14default_configENS1_20scan_config_selectorItEEZZNS1_9scan_implILNS1_25lookback_scan_determinismE0ELb1ELb1ES3_N6thrust23THRUST_200600_302600_NS6detail15normal_iteratorINS9_10device_ptrItEEEESE_t11max_functorItEtEEDaPvRmT3_T4_T5_mT6_P12ihipStream_tbENKUlT_T0_E_clISt17integral_constantIbLb0EESU_EEDaSP_SQ_EUlSP_E0_NS1_11comp_targetILNS1_3genE5ELNS1_11target_archE942ELNS1_3gpuE9ELNS1_3repE0EEENS1_30default_config_static_selectorELNS0_4arch9wavefront6targetE1EEEvT1_, .Lfunc_end2496-_ZN7rocprim17ROCPRIM_400000_NS6detail17trampoline_kernelINS0_14default_configENS1_20scan_config_selectorItEEZZNS1_9scan_implILNS1_25lookback_scan_determinismE0ELb1ELb1ES3_N6thrust23THRUST_200600_302600_NS6detail15normal_iteratorINS9_10device_ptrItEEEESE_t11max_functorItEtEEDaPvRmT3_T4_T5_mT6_P12ihipStream_tbENKUlT_T0_E_clISt17integral_constantIbLb0EESU_EEDaSP_SQ_EUlSP_E0_NS1_11comp_targetILNS1_3genE5ELNS1_11target_archE942ELNS1_3gpuE9ELNS1_3repE0EEENS1_30default_config_static_selectorELNS0_4arch9wavefront6targetE1EEEvT1_
                                        ; -- End function
	.section	.AMDGPU.csdata,"",@progbits
; Kernel info:
; codeLenInByte = 0
; NumSgprs: 4
; NumVgprs: 0
; NumAgprs: 0
; TotalNumVgprs: 0
; ScratchSize: 0
; MemoryBound: 0
; FloatMode: 240
; IeeeMode: 1
; LDSByteSize: 0 bytes/workgroup (compile time only)
; SGPRBlocks: 0
; VGPRBlocks: 0
; NumSGPRsForWavesPerEU: 4
; NumVGPRsForWavesPerEU: 1
; AccumOffset: 4
; Occupancy: 8
; WaveLimiterHint : 0
; COMPUTE_PGM_RSRC2:SCRATCH_EN: 0
; COMPUTE_PGM_RSRC2:USER_SGPR: 6
; COMPUTE_PGM_RSRC2:TRAP_HANDLER: 0
; COMPUTE_PGM_RSRC2:TGID_X_EN: 1
; COMPUTE_PGM_RSRC2:TGID_Y_EN: 0
; COMPUTE_PGM_RSRC2:TGID_Z_EN: 0
; COMPUTE_PGM_RSRC2:TIDIG_COMP_CNT: 0
; COMPUTE_PGM_RSRC3_GFX90A:ACCUM_OFFSET: 0
; COMPUTE_PGM_RSRC3_GFX90A:TG_SPLIT: 0
	.section	.text._ZN7rocprim17ROCPRIM_400000_NS6detail17trampoline_kernelINS0_14default_configENS1_20scan_config_selectorItEEZZNS1_9scan_implILNS1_25lookback_scan_determinismE0ELb1ELb1ES3_N6thrust23THRUST_200600_302600_NS6detail15normal_iteratorINS9_10device_ptrItEEEESE_t11max_functorItEtEEDaPvRmT3_T4_T5_mT6_P12ihipStream_tbENKUlT_T0_E_clISt17integral_constantIbLb0EESU_EEDaSP_SQ_EUlSP_E0_NS1_11comp_targetILNS1_3genE4ELNS1_11target_archE910ELNS1_3gpuE8ELNS1_3repE0EEENS1_30default_config_static_selectorELNS0_4arch9wavefront6targetE1EEEvT1_,"axG",@progbits,_ZN7rocprim17ROCPRIM_400000_NS6detail17trampoline_kernelINS0_14default_configENS1_20scan_config_selectorItEEZZNS1_9scan_implILNS1_25lookback_scan_determinismE0ELb1ELb1ES3_N6thrust23THRUST_200600_302600_NS6detail15normal_iteratorINS9_10device_ptrItEEEESE_t11max_functorItEtEEDaPvRmT3_T4_T5_mT6_P12ihipStream_tbENKUlT_T0_E_clISt17integral_constantIbLb0EESU_EEDaSP_SQ_EUlSP_E0_NS1_11comp_targetILNS1_3genE4ELNS1_11target_archE910ELNS1_3gpuE8ELNS1_3repE0EEENS1_30default_config_static_selectorELNS0_4arch9wavefront6targetE1EEEvT1_,comdat
	.protected	_ZN7rocprim17ROCPRIM_400000_NS6detail17trampoline_kernelINS0_14default_configENS1_20scan_config_selectorItEEZZNS1_9scan_implILNS1_25lookback_scan_determinismE0ELb1ELb1ES3_N6thrust23THRUST_200600_302600_NS6detail15normal_iteratorINS9_10device_ptrItEEEESE_t11max_functorItEtEEDaPvRmT3_T4_T5_mT6_P12ihipStream_tbENKUlT_T0_E_clISt17integral_constantIbLb0EESU_EEDaSP_SQ_EUlSP_E0_NS1_11comp_targetILNS1_3genE4ELNS1_11target_archE910ELNS1_3gpuE8ELNS1_3repE0EEENS1_30default_config_static_selectorELNS0_4arch9wavefront6targetE1EEEvT1_ ; -- Begin function _ZN7rocprim17ROCPRIM_400000_NS6detail17trampoline_kernelINS0_14default_configENS1_20scan_config_selectorItEEZZNS1_9scan_implILNS1_25lookback_scan_determinismE0ELb1ELb1ES3_N6thrust23THRUST_200600_302600_NS6detail15normal_iteratorINS9_10device_ptrItEEEESE_t11max_functorItEtEEDaPvRmT3_T4_T5_mT6_P12ihipStream_tbENKUlT_T0_E_clISt17integral_constantIbLb0EESU_EEDaSP_SQ_EUlSP_E0_NS1_11comp_targetILNS1_3genE4ELNS1_11target_archE910ELNS1_3gpuE8ELNS1_3repE0EEENS1_30default_config_static_selectorELNS0_4arch9wavefront6targetE1EEEvT1_
	.globl	_ZN7rocprim17ROCPRIM_400000_NS6detail17trampoline_kernelINS0_14default_configENS1_20scan_config_selectorItEEZZNS1_9scan_implILNS1_25lookback_scan_determinismE0ELb1ELb1ES3_N6thrust23THRUST_200600_302600_NS6detail15normal_iteratorINS9_10device_ptrItEEEESE_t11max_functorItEtEEDaPvRmT3_T4_T5_mT6_P12ihipStream_tbENKUlT_T0_E_clISt17integral_constantIbLb0EESU_EEDaSP_SQ_EUlSP_E0_NS1_11comp_targetILNS1_3genE4ELNS1_11target_archE910ELNS1_3gpuE8ELNS1_3repE0EEENS1_30default_config_static_selectorELNS0_4arch9wavefront6targetE1EEEvT1_
	.p2align	8
	.type	_ZN7rocprim17ROCPRIM_400000_NS6detail17trampoline_kernelINS0_14default_configENS1_20scan_config_selectorItEEZZNS1_9scan_implILNS1_25lookback_scan_determinismE0ELb1ELb1ES3_N6thrust23THRUST_200600_302600_NS6detail15normal_iteratorINS9_10device_ptrItEEEESE_t11max_functorItEtEEDaPvRmT3_T4_T5_mT6_P12ihipStream_tbENKUlT_T0_E_clISt17integral_constantIbLb0EESU_EEDaSP_SQ_EUlSP_E0_NS1_11comp_targetILNS1_3genE4ELNS1_11target_archE910ELNS1_3gpuE8ELNS1_3repE0EEENS1_30default_config_static_selectorELNS0_4arch9wavefront6targetE1EEEvT1_,@function
_ZN7rocprim17ROCPRIM_400000_NS6detail17trampoline_kernelINS0_14default_configENS1_20scan_config_selectorItEEZZNS1_9scan_implILNS1_25lookback_scan_determinismE0ELb1ELb1ES3_N6thrust23THRUST_200600_302600_NS6detail15normal_iteratorINS9_10device_ptrItEEEESE_t11max_functorItEtEEDaPvRmT3_T4_T5_mT6_P12ihipStream_tbENKUlT_T0_E_clISt17integral_constantIbLb0EESU_EEDaSP_SQ_EUlSP_E0_NS1_11comp_targetILNS1_3genE4ELNS1_11target_archE910ELNS1_3gpuE8ELNS1_3repE0EEENS1_30default_config_static_selectorELNS0_4arch9wavefront6targetE1EEEvT1_: ; @_ZN7rocprim17ROCPRIM_400000_NS6detail17trampoline_kernelINS0_14default_configENS1_20scan_config_selectorItEEZZNS1_9scan_implILNS1_25lookback_scan_determinismE0ELb1ELb1ES3_N6thrust23THRUST_200600_302600_NS6detail15normal_iteratorINS9_10device_ptrItEEEESE_t11max_functorItEtEEDaPvRmT3_T4_T5_mT6_P12ihipStream_tbENKUlT_T0_E_clISt17integral_constantIbLb0EESU_EEDaSP_SQ_EUlSP_E0_NS1_11comp_targetILNS1_3genE4ELNS1_11target_archE910ELNS1_3gpuE8ELNS1_3repE0EEENS1_30default_config_static_selectorELNS0_4arch9wavefront6targetE1EEEvT1_
; %bb.0:
	s_load_dwordx4 s[52:55], s[4:5], 0x0
	v_mov_b32_e32 v1, 0
	v_lshlrev_b32_e32 v14, 1, v0
	s_waitcnt lgkmcnt(0)
	global_load_ushort v2, v1, s[52:53]
	v_cmp_gt_u32_e32 vcc, s54, v0
	s_waitcnt vmcnt(0)
	v_mov_b32_e32 v3, v2
	s_and_saveexec_b64 s[0:1], vcc
	s_cbranch_execz .LBB2497_2
; %bb.1:
	global_load_ushort v3, v14, s[52:53]
.LBB2497_2:
	s_or_b64 exec, exec, s[0:1]
	v_or_b32_e32 v1, 64, v0
	v_cmp_gt_u32_e64 s[0:1], s54, v1
	v_mov_b32_e32 v4, v2
	s_and_saveexec_b64 s[2:3], s[0:1]
	s_cbranch_execz .LBB2497_4
; %bb.3:
	global_load_ushort v4, v14, s[52:53] offset:128
.LBB2497_4:
	s_or_b64 exec, exec, s[2:3]
	v_or_b32_e32 v1, 0x80, v0
	v_cmp_gt_u32_e64 s[2:3], s54, v1
	v_mov_b32_e32 v5, v2
	s_and_saveexec_b64 s[6:7], s[2:3]
	s_cbranch_execz .LBB2497_6
; %bb.5:
	global_load_ushort v5, v14, s[52:53] offset:256
.LBB2497_6:
	;; [unrolled: 9-line block ×22, first 2 shown]
	s_or_b64 exec, exec, s[46:47]
	v_or_b32_e32 v1, 0x5c0, v0
	v_cmp_gt_u32_e64 s[46:47], s54, v1
	v_cmp_le_u32_e64 s[50:51], s54, v1
	s_and_saveexec_b64 s[54:55], s[50:51]
	s_xor_b64 s[50:51], exec, s[54:55]
; %bb.47:
	v_mov_b32_e32 v1, 0
; %bb.48:
	s_or_saveexec_b64 s[50:51], s[50:51]
	s_load_dword s33, s[4:5], 0x10
	s_load_dwordx2 s[54:55], s[4:5], 0x18
	s_xor_b64 exec, exec, s[50:51]
	s_cbranch_execz .LBB2497_50
; %bb.49:
	global_load_ushort v2, v14, s[52:53] offset:2944
	v_mov_b32_e32 v1, 0
.LBB2497_50:
	s_or_b64 exec, exec, s[50:51]
	s_waitcnt vmcnt(0)
	ds_write_b16 v14, v3
	ds_write_b16 v14, v4 offset:128
	ds_write_b16 v14, v5 offset:256
	ds_write_b16 v14, v6 offset:384
	ds_write_b16 v14, v7 offset:512
	ds_write_b16 v14, v8 offset:640
	ds_write_b16 v14, v9 offset:768
	ds_write_b16 v14, v10 offset:896
	ds_write_b16 v14, v11 offset:1024
	ds_write_b16 v14, v12 offset:1152
	ds_write_b16 v14, v13 offset:1280
	ds_write_b16 v14, v15 offset:1408
	ds_write_b16 v14, v16 offset:1536
	ds_write_b16 v14, v17 offset:1664
	ds_write_b16 v14, v18 offset:1792
	ds_write_b16 v14, v19 offset:1920
	ds_write_b16 v14, v20 offset:2048
	ds_write_b16 v14, v21 offset:2176
	ds_write_b16 v14, v22 offset:2304
	ds_write_b16 v14, v23 offset:2432
	ds_write_b16 v14, v24 offset:2560
	ds_write_b16 v14, v25 offset:2688
	ds_write_b16 v14, v26 offset:2816
	ds_write_b16 v14, v2 offset:2944
	v_mad_u32_u24 v15, v0, 46, v14
	s_waitcnt lgkmcnt(0)
	; wave barrier
	s_waitcnt lgkmcnt(0)
	ds_read_b128 v[10:13], v15
	ds_read_b128 v[6:9], v15 offset:16
	ds_read_b128 v[2:5], v15 offset:32
	s_waitcnt lgkmcnt(0)
	; wave barrier
	s_waitcnt lgkmcnt(0)
	v_lshrrev_b32_e32 v25, 16, v11
	v_max_u16_sdwa v27, v10, v10 dst_sel:DWORD dst_unused:UNUSED_PAD src0_sel:DWORD src1_sel:WORD_1
	v_lshrrev_b32_e32 v24, 16, v12
	v_max3_u16 v27, v27, v11, v25
	v_lshrrev_b32_e32 v23, 16, v13
	v_max3_u16 v27, v27, v12, v24
	;; [unrolled: 2-line block ×10, first 2 shown]
	v_max3_u16 v27, v27, v5, v26
	v_mbcnt_lo_u32_b32 v26, -1, 0
	v_mbcnt_hi_u32_b32 v26, -1, v26
	v_and_b32_e32 v29, 0xffff, v27
	v_and_b32_e32 v28, 15, v26
	v_cmp_eq_u32_e64 s[4:5], 0, v28
	v_mov_b32_dpp v29, v29 row_shr:1 row_mask:0xf bank_mask:0xf
	v_max_u16_e32 v29, v29, v27
	v_cndmask_b32_e64 v27, v29, v27, s[4:5]
	v_and_b32_e32 v29, 0xffff, v27
	v_cmp_lt_u32_e64 s[4:5], 1, v28
	s_nop 0
	v_mov_b32_dpp v29, v29 row_shr:2 row_mask:0xf bank_mask:0xf
	v_max_u16_e32 v29, v29, v27
	v_cndmask_b32_e64 v27, v27, v29, s[4:5]
	v_and_b32_e32 v29, 0xffff, v27
	v_cmp_lt_u32_e64 s[4:5], 3, v28
	s_nop 0
	;; [unrolled: 6-line block ×3, first 2 shown]
	v_mov_b32_dpp v29, v29 row_shr:8 row_mask:0xf bank_mask:0xf
	v_max_u16_e32 v29, v29, v27
	v_cndmask_b32_e64 v27, v27, v29, s[4:5]
	v_and_b32_e32 v28, 0xffff, v27
	v_and_b32_e32 v29, 16, v26
	v_cmp_eq_u32_e64 s[4:5], 0, v29
	v_mov_b32_dpp v28, v28 row_bcast:15 row_mask:0xf bank_mask:0xf
	v_max_u16_e32 v28, v28, v27
	v_cndmask_b32_e64 v27, v28, v27, s[4:5]
	v_and_b32_e32 v28, 0xffff, v27
	v_cmp_lt_u32_e64 s[4:5], 31, v26
	s_nop 0
	v_mov_b32_dpp v28, v28 row_bcast:31 row_mask:0xf bank_mask:0xf
	v_max_u16_e32 v28, v28, v27
	v_cndmask_b32_e64 v27, v27, v28, s[4:5]
	v_cmp_eq_u32_e64 s[4:5], 63, v0
	s_and_saveexec_b64 s[50:51], s[4:5]
	s_cbranch_execz .LBB2497_52
; %bb.51:
	v_mov_b32_e32 v28, 0
	ds_write_b16 v28, v27
.LBB2497_52:
	s_or_b64 exec, exec, s[50:51]
	v_add_u32_e32 v28, -1, v26
	v_and_b32_e32 v29, 64, v26
	v_cmp_lt_i32_e64 s[4:5], v28, v29
	v_cndmask_b32_e64 v28, v28, v26, s[4:5]
	v_max_u16_e32 v27, s33, v27
	v_lshlrev_b32_e32 v28, 2, v28
	ds_bpermute_b32 v27, v28, v27
	v_cmp_eq_u32_e64 s[4:5], 0, v26
	v_cmp_eq_u32_e64 s[50:51], 0, v0
	v_mov_b32_e32 v26, s33
	s_or_b64 s[4:5], s[50:51], s[4:5]
	s_waitcnt lgkmcnt(0)
	v_cndmask_b32_e64 v26, v27, v26, s[4:5]
	v_max_u16_e32 v27, v26, v10
	v_max_u16_sdwa v10, v27, v10 dst_sel:DWORD dst_unused:UNUSED_PAD src0_sel:DWORD src1_sel:WORD_1
	v_max_u16_e32 v11, v10, v11
	v_max_u16_e32 v25, v11, v25
	;; [unrolled: 1-line block ×20, first 2 shown]
	s_mov_b32 s4, 0x5040100
	v_max_u16_e32 v31, v16, v5
	v_perm_b32 v2, v27, v26, s4
	v_perm_b32 v3, v11, v10, s4
	;; [unrolled: 1-line block ×4, first 2 shown]
	s_waitcnt lgkmcnt(0)
	; wave barrier
	s_waitcnt lgkmcnt(0)
	s_waitcnt lgkmcnt(0)
	; wave barrier
	ds_write_b128 v15, v[2:5]
	v_perm_b32 v2, v6, v23, s4
	v_perm_b32 v3, v7, v22, s4
	;; [unrolled: 1-line block ×4, first 2 shown]
	ds_write_b128 v15, v[2:5] offset:16
	v_perm_b32 v2, v28, v19, s4
	v_perm_b32 v3, v29, v18, s4
	;; [unrolled: 1-line block ×4, first 2 shown]
	s_movk_i32 s4, 0xffd2
	ds_write_b128 v15, v[2:5] offset:32
	v_mad_i32_i24 v2, v0, s4, v15
	s_waitcnt lgkmcnt(0)
	; wave barrier
	s_waitcnt lgkmcnt(0)
	ds_read_u16 v25, v2 offset:128
	ds_read_u16 v24, v2 offset:256
	ds_read_u16 v23, v2 offset:384
	ds_read_u16 v22, v2 offset:512
	ds_read_u16 v21, v2 offset:640
	ds_read_u16 v20, v2 offset:768
	ds_read_u16 v19, v2 offset:896
	ds_read_u16 v18, v2 offset:1024
	ds_read_u16 v17, v2 offset:1152
	ds_read_u16 v16, v2 offset:1280
	ds_read_u16 v15, v2 offset:1408
	ds_read_u16 v13, v2 offset:1536
	ds_read_u16 v12, v2 offset:1664
	ds_read_u16 v11, v2 offset:1792
	ds_read_u16 v10, v2 offset:1920
	ds_read_u16 v8, v2 offset:2176
	ds_read_u16 v7, v2 offset:2304
	ds_read_u16 v6, v2 offset:2432
	ds_read_u16 v5, v2 offset:2560
	ds_read_u16 v4, v2 offset:2688
	ds_read_u16 v3, v2 offset:2816
	ds_read_u16 v9, v14 offset:2048
	ds_read_u16 v2, v2 offset:2944
	v_lshlrev_b64 v[0:1], 1, v[0:1]
	v_mov_b32_e32 v26, s55
	v_add_co_u32_e64 v0, s[4:5], s54, v0
	v_addc_co_u32_e64 v1, s[4:5], v26, v1, s[4:5]
	s_and_saveexec_b64 s[4:5], vcc
	s_cbranch_execnz .LBB2497_77
; %bb.53:
	s_or_b64 exec, exec, s[4:5]
	s_and_saveexec_b64 s[4:5], s[0:1]
	s_cbranch_execnz .LBB2497_78
.LBB2497_54:
	s_or_b64 exec, exec, s[4:5]
	s_and_saveexec_b64 s[0:1], s[2:3]
	s_cbranch_execnz .LBB2497_79
.LBB2497_55:
	s_or_b64 exec, exec, s[0:1]
	s_and_saveexec_b64 s[0:1], s[48:49]
	s_cbranch_execnz .LBB2497_80
.LBB2497_56:
	s_or_b64 exec, exec, s[0:1]
	s_and_saveexec_b64 s[0:1], s[6:7]
	s_cbranch_execnz .LBB2497_81
.LBB2497_57:
	s_or_b64 exec, exec, s[0:1]
	s_and_saveexec_b64 s[0:1], s[8:9]
	s_cbranch_execnz .LBB2497_82
.LBB2497_58:
	s_or_b64 exec, exec, s[0:1]
	s_and_saveexec_b64 s[0:1], s[10:11]
	s_cbranch_execnz .LBB2497_83
.LBB2497_59:
	s_or_b64 exec, exec, s[0:1]
	s_and_saveexec_b64 s[0:1], s[12:13]
	s_cbranch_execnz .LBB2497_84
.LBB2497_60:
	s_or_b64 exec, exec, s[0:1]
	s_and_saveexec_b64 s[0:1], s[14:15]
	s_cbranch_execnz .LBB2497_85
.LBB2497_61:
	s_or_b64 exec, exec, s[0:1]
	s_and_saveexec_b64 s[0:1], s[16:17]
	s_cbranch_execnz .LBB2497_86
.LBB2497_62:
	s_or_b64 exec, exec, s[0:1]
	s_and_saveexec_b64 s[0:1], s[18:19]
	s_cbranch_execnz .LBB2497_87
.LBB2497_63:
	s_or_b64 exec, exec, s[0:1]
	s_and_saveexec_b64 s[0:1], s[20:21]
	s_cbranch_execnz .LBB2497_88
.LBB2497_64:
	s_or_b64 exec, exec, s[0:1]
	s_and_saveexec_b64 s[0:1], s[22:23]
	s_cbranch_execnz .LBB2497_89
.LBB2497_65:
	s_or_b64 exec, exec, s[0:1]
	s_and_saveexec_b64 s[0:1], s[24:25]
	s_cbranch_execnz .LBB2497_90
.LBB2497_66:
	s_or_b64 exec, exec, s[0:1]
	s_and_saveexec_b64 s[0:1], s[26:27]
	s_cbranch_execnz .LBB2497_91
.LBB2497_67:
	s_or_b64 exec, exec, s[0:1]
	s_and_saveexec_b64 s[0:1], s[28:29]
	s_cbranch_execnz .LBB2497_92
.LBB2497_68:
	s_or_b64 exec, exec, s[0:1]
	s_and_saveexec_b64 s[0:1], s[30:31]
	s_cbranch_execnz .LBB2497_93
.LBB2497_69:
	s_or_b64 exec, exec, s[0:1]
	s_and_saveexec_b64 s[0:1], s[34:35]
	s_cbranch_execnz .LBB2497_94
.LBB2497_70:
	s_or_b64 exec, exec, s[0:1]
	s_and_saveexec_b64 s[0:1], s[36:37]
	s_cbranch_execnz .LBB2497_95
.LBB2497_71:
	s_or_b64 exec, exec, s[0:1]
	s_and_saveexec_b64 s[0:1], s[38:39]
	s_cbranch_execnz .LBB2497_96
.LBB2497_72:
	s_or_b64 exec, exec, s[0:1]
	s_and_saveexec_b64 s[0:1], s[40:41]
	s_cbranch_execnz .LBB2497_97
.LBB2497_73:
	s_or_b64 exec, exec, s[0:1]
	s_and_saveexec_b64 s[0:1], s[42:43]
	s_cbranch_execnz .LBB2497_98
.LBB2497_74:
	s_or_b64 exec, exec, s[0:1]
	s_and_saveexec_b64 s[0:1], s[44:45]
	s_cbranch_execnz .LBB2497_99
.LBB2497_75:
	s_or_b64 exec, exec, s[0:1]
	s_and_saveexec_b64 s[0:1], s[46:47]
	s_cbranch_execnz .LBB2497_100
.LBB2497_76:
	s_endpgm
.LBB2497_77:
	ds_read_u16 v14, v14
	s_waitcnt lgkmcnt(0)
	global_store_short v[0:1], v14, off
	s_or_b64 exec, exec, s[4:5]
	s_and_saveexec_b64 s[4:5], s[0:1]
	s_cbranch_execz .LBB2497_54
.LBB2497_78:
	s_waitcnt lgkmcnt(14)
	global_store_short v[0:1], v25, off offset:128
	s_or_b64 exec, exec, s[4:5]
	s_and_saveexec_b64 s[0:1], s[2:3]
	s_cbranch_execz .LBB2497_55
.LBB2497_79:
	s_waitcnt lgkmcnt(14)
	global_store_short v[0:1], v24, off offset:256
	s_or_b64 exec, exec, s[0:1]
	s_and_saveexec_b64 s[0:1], s[48:49]
	s_cbranch_execz .LBB2497_56
.LBB2497_80:
	s_waitcnt lgkmcnt(14)
	global_store_short v[0:1], v23, off offset:384
	s_or_b64 exec, exec, s[0:1]
	s_and_saveexec_b64 s[0:1], s[6:7]
	s_cbranch_execz .LBB2497_57
.LBB2497_81:
	s_waitcnt lgkmcnt(14)
	global_store_short v[0:1], v22, off offset:512
	s_or_b64 exec, exec, s[0:1]
	s_and_saveexec_b64 s[0:1], s[8:9]
	s_cbranch_execz .LBB2497_58
.LBB2497_82:
	s_waitcnt lgkmcnt(14)
	global_store_short v[0:1], v21, off offset:640
	s_or_b64 exec, exec, s[0:1]
	s_and_saveexec_b64 s[0:1], s[10:11]
	s_cbranch_execz .LBB2497_59
.LBB2497_83:
	s_waitcnt lgkmcnt(14)
	global_store_short v[0:1], v20, off offset:768
	s_or_b64 exec, exec, s[0:1]
	s_and_saveexec_b64 s[0:1], s[12:13]
	s_cbranch_execz .LBB2497_60
.LBB2497_84:
	s_waitcnt lgkmcnt(14)
	global_store_short v[0:1], v19, off offset:896
	s_or_b64 exec, exec, s[0:1]
	s_and_saveexec_b64 s[0:1], s[14:15]
	s_cbranch_execz .LBB2497_61
.LBB2497_85:
	s_waitcnt lgkmcnt(14)
	global_store_short v[0:1], v18, off offset:1024
	s_or_b64 exec, exec, s[0:1]
	s_and_saveexec_b64 s[0:1], s[16:17]
	s_cbranch_execz .LBB2497_62
.LBB2497_86:
	s_waitcnt lgkmcnt(14)
	global_store_short v[0:1], v17, off offset:1152
	s_or_b64 exec, exec, s[0:1]
	s_and_saveexec_b64 s[0:1], s[18:19]
	s_cbranch_execz .LBB2497_63
.LBB2497_87:
	s_waitcnt lgkmcnt(13)
	global_store_short v[0:1], v16, off offset:1280
	s_or_b64 exec, exec, s[0:1]
	s_and_saveexec_b64 s[0:1], s[20:21]
	s_cbranch_execz .LBB2497_64
.LBB2497_88:
	s_waitcnt lgkmcnt(12)
	global_store_short v[0:1], v15, off offset:1408
	s_or_b64 exec, exec, s[0:1]
	s_and_saveexec_b64 s[0:1], s[22:23]
	s_cbranch_execz .LBB2497_65
.LBB2497_89:
	s_waitcnt lgkmcnt(11)
	global_store_short v[0:1], v13, off offset:1536
	s_or_b64 exec, exec, s[0:1]
	s_and_saveexec_b64 s[0:1], s[24:25]
	s_cbranch_execz .LBB2497_66
.LBB2497_90:
	s_waitcnt lgkmcnt(10)
	global_store_short v[0:1], v12, off offset:1664
	s_or_b64 exec, exec, s[0:1]
	s_and_saveexec_b64 s[0:1], s[26:27]
	s_cbranch_execz .LBB2497_67
.LBB2497_91:
	s_waitcnt lgkmcnt(9)
	global_store_short v[0:1], v11, off offset:1792
	s_or_b64 exec, exec, s[0:1]
	s_and_saveexec_b64 s[0:1], s[28:29]
	s_cbranch_execz .LBB2497_68
.LBB2497_92:
	s_waitcnt lgkmcnt(8)
	global_store_short v[0:1], v10, off offset:1920
	s_or_b64 exec, exec, s[0:1]
	s_and_saveexec_b64 s[0:1], s[30:31]
	s_cbranch_execz .LBB2497_69
.LBB2497_93:
	s_waitcnt lgkmcnt(1)
	global_store_short v[0:1], v9, off offset:2048
	s_or_b64 exec, exec, s[0:1]
	s_and_saveexec_b64 s[0:1], s[34:35]
	s_cbranch_execz .LBB2497_70
.LBB2497_94:
	s_waitcnt lgkmcnt(7)
	global_store_short v[0:1], v8, off offset:2176
	s_or_b64 exec, exec, s[0:1]
	s_and_saveexec_b64 s[0:1], s[36:37]
	s_cbranch_execz .LBB2497_71
.LBB2497_95:
	s_waitcnt lgkmcnt(6)
	global_store_short v[0:1], v7, off offset:2304
	s_or_b64 exec, exec, s[0:1]
	s_and_saveexec_b64 s[0:1], s[38:39]
	s_cbranch_execz .LBB2497_72
.LBB2497_96:
	s_waitcnt lgkmcnt(5)
	global_store_short v[0:1], v6, off offset:2432
	s_or_b64 exec, exec, s[0:1]
	s_and_saveexec_b64 s[0:1], s[40:41]
	s_cbranch_execz .LBB2497_73
.LBB2497_97:
	s_waitcnt lgkmcnt(4)
	global_store_short v[0:1], v5, off offset:2560
	s_or_b64 exec, exec, s[0:1]
	s_and_saveexec_b64 s[0:1], s[42:43]
	s_cbranch_execz .LBB2497_74
.LBB2497_98:
	s_waitcnt lgkmcnt(3)
	global_store_short v[0:1], v4, off offset:2688
	s_or_b64 exec, exec, s[0:1]
	s_and_saveexec_b64 s[0:1], s[44:45]
	s_cbranch_execz .LBB2497_75
.LBB2497_99:
	s_waitcnt lgkmcnt(2)
	global_store_short v[0:1], v3, off offset:2816
	s_or_b64 exec, exec, s[0:1]
	s_and_saveexec_b64 s[0:1], s[46:47]
	s_cbranch_execz .LBB2497_76
.LBB2497_100:
	s_waitcnt lgkmcnt(0)
	global_store_short v[0:1], v2, off offset:2944
	s_endpgm
	.section	.rodata,"a",@progbits
	.p2align	6, 0x0
	.amdhsa_kernel _ZN7rocprim17ROCPRIM_400000_NS6detail17trampoline_kernelINS0_14default_configENS1_20scan_config_selectorItEEZZNS1_9scan_implILNS1_25lookback_scan_determinismE0ELb1ELb1ES3_N6thrust23THRUST_200600_302600_NS6detail15normal_iteratorINS9_10device_ptrItEEEESE_t11max_functorItEtEEDaPvRmT3_T4_T5_mT6_P12ihipStream_tbENKUlT_T0_E_clISt17integral_constantIbLb0EESU_EEDaSP_SQ_EUlSP_E0_NS1_11comp_targetILNS1_3genE4ELNS1_11target_archE910ELNS1_3gpuE8ELNS1_3repE0EEENS1_30default_config_static_selectorELNS0_4arch9wavefront6targetE1EEEvT1_
		.amdhsa_group_segment_fixed_size 3072
		.amdhsa_private_segment_fixed_size 0
		.amdhsa_kernarg_size 32
		.amdhsa_user_sgpr_count 6
		.amdhsa_user_sgpr_private_segment_buffer 1
		.amdhsa_user_sgpr_dispatch_ptr 0
		.amdhsa_user_sgpr_queue_ptr 0
		.amdhsa_user_sgpr_kernarg_segment_ptr 1
		.amdhsa_user_sgpr_dispatch_id 0
		.amdhsa_user_sgpr_flat_scratch_init 0
		.amdhsa_user_sgpr_kernarg_preload_length 0
		.amdhsa_user_sgpr_kernarg_preload_offset 0
		.amdhsa_user_sgpr_private_segment_size 0
		.amdhsa_uses_dynamic_stack 0
		.amdhsa_system_sgpr_private_segment_wavefront_offset 0
		.amdhsa_system_sgpr_workgroup_id_x 1
		.amdhsa_system_sgpr_workgroup_id_y 0
		.amdhsa_system_sgpr_workgroup_id_z 0
		.amdhsa_system_sgpr_workgroup_info 0
		.amdhsa_system_vgpr_workitem_id 0
		.amdhsa_next_free_vgpr 32
		.amdhsa_next_free_sgpr 56
		.amdhsa_accum_offset 32
		.amdhsa_reserve_vcc 1
		.amdhsa_reserve_flat_scratch 0
		.amdhsa_float_round_mode_32 0
		.amdhsa_float_round_mode_16_64 0
		.amdhsa_float_denorm_mode_32 3
		.amdhsa_float_denorm_mode_16_64 3
		.amdhsa_dx10_clamp 1
		.amdhsa_ieee_mode 1
		.amdhsa_fp16_overflow 0
		.amdhsa_tg_split 0
		.amdhsa_exception_fp_ieee_invalid_op 0
		.amdhsa_exception_fp_denorm_src 0
		.amdhsa_exception_fp_ieee_div_zero 0
		.amdhsa_exception_fp_ieee_overflow 0
		.amdhsa_exception_fp_ieee_underflow 0
		.amdhsa_exception_fp_ieee_inexact 0
		.amdhsa_exception_int_div_zero 0
	.end_amdhsa_kernel
	.section	.text._ZN7rocprim17ROCPRIM_400000_NS6detail17trampoline_kernelINS0_14default_configENS1_20scan_config_selectorItEEZZNS1_9scan_implILNS1_25lookback_scan_determinismE0ELb1ELb1ES3_N6thrust23THRUST_200600_302600_NS6detail15normal_iteratorINS9_10device_ptrItEEEESE_t11max_functorItEtEEDaPvRmT3_T4_T5_mT6_P12ihipStream_tbENKUlT_T0_E_clISt17integral_constantIbLb0EESU_EEDaSP_SQ_EUlSP_E0_NS1_11comp_targetILNS1_3genE4ELNS1_11target_archE910ELNS1_3gpuE8ELNS1_3repE0EEENS1_30default_config_static_selectorELNS0_4arch9wavefront6targetE1EEEvT1_,"axG",@progbits,_ZN7rocprim17ROCPRIM_400000_NS6detail17trampoline_kernelINS0_14default_configENS1_20scan_config_selectorItEEZZNS1_9scan_implILNS1_25lookback_scan_determinismE0ELb1ELb1ES3_N6thrust23THRUST_200600_302600_NS6detail15normal_iteratorINS9_10device_ptrItEEEESE_t11max_functorItEtEEDaPvRmT3_T4_T5_mT6_P12ihipStream_tbENKUlT_T0_E_clISt17integral_constantIbLb0EESU_EEDaSP_SQ_EUlSP_E0_NS1_11comp_targetILNS1_3genE4ELNS1_11target_archE910ELNS1_3gpuE8ELNS1_3repE0EEENS1_30default_config_static_selectorELNS0_4arch9wavefront6targetE1EEEvT1_,comdat
.Lfunc_end2497:
	.size	_ZN7rocprim17ROCPRIM_400000_NS6detail17trampoline_kernelINS0_14default_configENS1_20scan_config_selectorItEEZZNS1_9scan_implILNS1_25lookback_scan_determinismE0ELb1ELb1ES3_N6thrust23THRUST_200600_302600_NS6detail15normal_iteratorINS9_10device_ptrItEEEESE_t11max_functorItEtEEDaPvRmT3_T4_T5_mT6_P12ihipStream_tbENKUlT_T0_E_clISt17integral_constantIbLb0EESU_EEDaSP_SQ_EUlSP_E0_NS1_11comp_targetILNS1_3genE4ELNS1_11target_archE910ELNS1_3gpuE8ELNS1_3repE0EEENS1_30default_config_static_selectorELNS0_4arch9wavefront6targetE1EEEvT1_, .Lfunc_end2497-_ZN7rocprim17ROCPRIM_400000_NS6detail17trampoline_kernelINS0_14default_configENS1_20scan_config_selectorItEEZZNS1_9scan_implILNS1_25lookback_scan_determinismE0ELb1ELb1ES3_N6thrust23THRUST_200600_302600_NS6detail15normal_iteratorINS9_10device_ptrItEEEESE_t11max_functorItEtEEDaPvRmT3_T4_T5_mT6_P12ihipStream_tbENKUlT_T0_E_clISt17integral_constantIbLb0EESU_EEDaSP_SQ_EUlSP_E0_NS1_11comp_targetILNS1_3genE4ELNS1_11target_archE910ELNS1_3gpuE8ELNS1_3repE0EEENS1_30default_config_static_selectorELNS0_4arch9wavefront6targetE1EEEvT1_
                                        ; -- End function
	.section	.AMDGPU.csdata,"",@progbits
; Kernel info:
; codeLenInByte = 3096
; NumSgprs: 60
; NumVgprs: 32
; NumAgprs: 0
; TotalNumVgprs: 32
; ScratchSize: 0
; MemoryBound: 0
; FloatMode: 240
; IeeeMode: 1
; LDSByteSize: 3072 bytes/workgroup (compile time only)
; SGPRBlocks: 7
; VGPRBlocks: 3
; NumSGPRsForWavesPerEU: 60
; NumVGPRsForWavesPerEU: 32
; AccumOffset: 32
; Occupancy: 6
; WaveLimiterHint : 0
; COMPUTE_PGM_RSRC2:SCRATCH_EN: 0
; COMPUTE_PGM_RSRC2:USER_SGPR: 6
; COMPUTE_PGM_RSRC2:TRAP_HANDLER: 0
; COMPUTE_PGM_RSRC2:TGID_X_EN: 1
; COMPUTE_PGM_RSRC2:TGID_Y_EN: 0
; COMPUTE_PGM_RSRC2:TGID_Z_EN: 0
; COMPUTE_PGM_RSRC2:TIDIG_COMP_CNT: 0
; COMPUTE_PGM_RSRC3_GFX90A:ACCUM_OFFSET: 7
; COMPUTE_PGM_RSRC3_GFX90A:TG_SPLIT: 0
	.section	.text._ZN7rocprim17ROCPRIM_400000_NS6detail17trampoline_kernelINS0_14default_configENS1_20scan_config_selectorItEEZZNS1_9scan_implILNS1_25lookback_scan_determinismE0ELb1ELb1ES3_N6thrust23THRUST_200600_302600_NS6detail15normal_iteratorINS9_10device_ptrItEEEESE_t11max_functorItEtEEDaPvRmT3_T4_T5_mT6_P12ihipStream_tbENKUlT_T0_E_clISt17integral_constantIbLb0EESU_EEDaSP_SQ_EUlSP_E0_NS1_11comp_targetILNS1_3genE3ELNS1_11target_archE908ELNS1_3gpuE7ELNS1_3repE0EEENS1_30default_config_static_selectorELNS0_4arch9wavefront6targetE1EEEvT1_,"axG",@progbits,_ZN7rocprim17ROCPRIM_400000_NS6detail17trampoline_kernelINS0_14default_configENS1_20scan_config_selectorItEEZZNS1_9scan_implILNS1_25lookback_scan_determinismE0ELb1ELb1ES3_N6thrust23THRUST_200600_302600_NS6detail15normal_iteratorINS9_10device_ptrItEEEESE_t11max_functorItEtEEDaPvRmT3_T4_T5_mT6_P12ihipStream_tbENKUlT_T0_E_clISt17integral_constantIbLb0EESU_EEDaSP_SQ_EUlSP_E0_NS1_11comp_targetILNS1_3genE3ELNS1_11target_archE908ELNS1_3gpuE7ELNS1_3repE0EEENS1_30default_config_static_selectorELNS0_4arch9wavefront6targetE1EEEvT1_,comdat
	.protected	_ZN7rocprim17ROCPRIM_400000_NS6detail17trampoline_kernelINS0_14default_configENS1_20scan_config_selectorItEEZZNS1_9scan_implILNS1_25lookback_scan_determinismE0ELb1ELb1ES3_N6thrust23THRUST_200600_302600_NS6detail15normal_iteratorINS9_10device_ptrItEEEESE_t11max_functorItEtEEDaPvRmT3_T4_T5_mT6_P12ihipStream_tbENKUlT_T0_E_clISt17integral_constantIbLb0EESU_EEDaSP_SQ_EUlSP_E0_NS1_11comp_targetILNS1_3genE3ELNS1_11target_archE908ELNS1_3gpuE7ELNS1_3repE0EEENS1_30default_config_static_selectorELNS0_4arch9wavefront6targetE1EEEvT1_ ; -- Begin function _ZN7rocprim17ROCPRIM_400000_NS6detail17trampoline_kernelINS0_14default_configENS1_20scan_config_selectorItEEZZNS1_9scan_implILNS1_25lookback_scan_determinismE0ELb1ELb1ES3_N6thrust23THRUST_200600_302600_NS6detail15normal_iteratorINS9_10device_ptrItEEEESE_t11max_functorItEtEEDaPvRmT3_T4_T5_mT6_P12ihipStream_tbENKUlT_T0_E_clISt17integral_constantIbLb0EESU_EEDaSP_SQ_EUlSP_E0_NS1_11comp_targetILNS1_3genE3ELNS1_11target_archE908ELNS1_3gpuE7ELNS1_3repE0EEENS1_30default_config_static_selectorELNS0_4arch9wavefront6targetE1EEEvT1_
	.globl	_ZN7rocprim17ROCPRIM_400000_NS6detail17trampoline_kernelINS0_14default_configENS1_20scan_config_selectorItEEZZNS1_9scan_implILNS1_25lookback_scan_determinismE0ELb1ELb1ES3_N6thrust23THRUST_200600_302600_NS6detail15normal_iteratorINS9_10device_ptrItEEEESE_t11max_functorItEtEEDaPvRmT3_T4_T5_mT6_P12ihipStream_tbENKUlT_T0_E_clISt17integral_constantIbLb0EESU_EEDaSP_SQ_EUlSP_E0_NS1_11comp_targetILNS1_3genE3ELNS1_11target_archE908ELNS1_3gpuE7ELNS1_3repE0EEENS1_30default_config_static_selectorELNS0_4arch9wavefront6targetE1EEEvT1_
	.p2align	8
	.type	_ZN7rocprim17ROCPRIM_400000_NS6detail17trampoline_kernelINS0_14default_configENS1_20scan_config_selectorItEEZZNS1_9scan_implILNS1_25lookback_scan_determinismE0ELb1ELb1ES3_N6thrust23THRUST_200600_302600_NS6detail15normal_iteratorINS9_10device_ptrItEEEESE_t11max_functorItEtEEDaPvRmT3_T4_T5_mT6_P12ihipStream_tbENKUlT_T0_E_clISt17integral_constantIbLb0EESU_EEDaSP_SQ_EUlSP_E0_NS1_11comp_targetILNS1_3genE3ELNS1_11target_archE908ELNS1_3gpuE7ELNS1_3repE0EEENS1_30default_config_static_selectorELNS0_4arch9wavefront6targetE1EEEvT1_,@function
_ZN7rocprim17ROCPRIM_400000_NS6detail17trampoline_kernelINS0_14default_configENS1_20scan_config_selectorItEEZZNS1_9scan_implILNS1_25lookback_scan_determinismE0ELb1ELb1ES3_N6thrust23THRUST_200600_302600_NS6detail15normal_iteratorINS9_10device_ptrItEEEESE_t11max_functorItEtEEDaPvRmT3_T4_T5_mT6_P12ihipStream_tbENKUlT_T0_E_clISt17integral_constantIbLb0EESU_EEDaSP_SQ_EUlSP_E0_NS1_11comp_targetILNS1_3genE3ELNS1_11target_archE908ELNS1_3gpuE7ELNS1_3repE0EEENS1_30default_config_static_selectorELNS0_4arch9wavefront6targetE1EEEvT1_: ; @_ZN7rocprim17ROCPRIM_400000_NS6detail17trampoline_kernelINS0_14default_configENS1_20scan_config_selectorItEEZZNS1_9scan_implILNS1_25lookback_scan_determinismE0ELb1ELb1ES3_N6thrust23THRUST_200600_302600_NS6detail15normal_iteratorINS9_10device_ptrItEEEESE_t11max_functorItEtEEDaPvRmT3_T4_T5_mT6_P12ihipStream_tbENKUlT_T0_E_clISt17integral_constantIbLb0EESU_EEDaSP_SQ_EUlSP_E0_NS1_11comp_targetILNS1_3genE3ELNS1_11target_archE908ELNS1_3gpuE7ELNS1_3repE0EEENS1_30default_config_static_selectorELNS0_4arch9wavefront6targetE1EEEvT1_
; %bb.0:
	.section	.rodata,"a",@progbits
	.p2align	6, 0x0
	.amdhsa_kernel _ZN7rocprim17ROCPRIM_400000_NS6detail17trampoline_kernelINS0_14default_configENS1_20scan_config_selectorItEEZZNS1_9scan_implILNS1_25lookback_scan_determinismE0ELb1ELb1ES3_N6thrust23THRUST_200600_302600_NS6detail15normal_iteratorINS9_10device_ptrItEEEESE_t11max_functorItEtEEDaPvRmT3_T4_T5_mT6_P12ihipStream_tbENKUlT_T0_E_clISt17integral_constantIbLb0EESU_EEDaSP_SQ_EUlSP_E0_NS1_11comp_targetILNS1_3genE3ELNS1_11target_archE908ELNS1_3gpuE7ELNS1_3repE0EEENS1_30default_config_static_selectorELNS0_4arch9wavefront6targetE1EEEvT1_
		.amdhsa_group_segment_fixed_size 0
		.amdhsa_private_segment_fixed_size 0
		.amdhsa_kernarg_size 32
		.amdhsa_user_sgpr_count 6
		.amdhsa_user_sgpr_private_segment_buffer 1
		.amdhsa_user_sgpr_dispatch_ptr 0
		.amdhsa_user_sgpr_queue_ptr 0
		.amdhsa_user_sgpr_kernarg_segment_ptr 1
		.amdhsa_user_sgpr_dispatch_id 0
		.amdhsa_user_sgpr_flat_scratch_init 0
		.amdhsa_user_sgpr_kernarg_preload_length 0
		.amdhsa_user_sgpr_kernarg_preload_offset 0
		.amdhsa_user_sgpr_private_segment_size 0
		.amdhsa_uses_dynamic_stack 0
		.amdhsa_system_sgpr_private_segment_wavefront_offset 0
		.amdhsa_system_sgpr_workgroup_id_x 1
		.amdhsa_system_sgpr_workgroup_id_y 0
		.amdhsa_system_sgpr_workgroup_id_z 0
		.amdhsa_system_sgpr_workgroup_info 0
		.amdhsa_system_vgpr_workitem_id 0
		.amdhsa_next_free_vgpr 1
		.amdhsa_next_free_sgpr 0
		.amdhsa_accum_offset 4
		.amdhsa_reserve_vcc 0
		.amdhsa_reserve_flat_scratch 0
		.amdhsa_float_round_mode_32 0
		.amdhsa_float_round_mode_16_64 0
		.amdhsa_float_denorm_mode_32 3
		.amdhsa_float_denorm_mode_16_64 3
		.amdhsa_dx10_clamp 1
		.amdhsa_ieee_mode 1
		.amdhsa_fp16_overflow 0
		.amdhsa_tg_split 0
		.amdhsa_exception_fp_ieee_invalid_op 0
		.amdhsa_exception_fp_denorm_src 0
		.amdhsa_exception_fp_ieee_div_zero 0
		.amdhsa_exception_fp_ieee_overflow 0
		.amdhsa_exception_fp_ieee_underflow 0
		.amdhsa_exception_fp_ieee_inexact 0
		.amdhsa_exception_int_div_zero 0
	.end_amdhsa_kernel
	.section	.text._ZN7rocprim17ROCPRIM_400000_NS6detail17trampoline_kernelINS0_14default_configENS1_20scan_config_selectorItEEZZNS1_9scan_implILNS1_25lookback_scan_determinismE0ELb1ELb1ES3_N6thrust23THRUST_200600_302600_NS6detail15normal_iteratorINS9_10device_ptrItEEEESE_t11max_functorItEtEEDaPvRmT3_T4_T5_mT6_P12ihipStream_tbENKUlT_T0_E_clISt17integral_constantIbLb0EESU_EEDaSP_SQ_EUlSP_E0_NS1_11comp_targetILNS1_3genE3ELNS1_11target_archE908ELNS1_3gpuE7ELNS1_3repE0EEENS1_30default_config_static_selectorELNS0_4arch9wavefront6targetE1EEEvT1_,"axG",@progbits,_ZN7rocprim17ROCPRIM_400000_NS6detail17trampoline_kernelINS0_14default_configENS1_20scan_config_selectorItEEZZNS1_9scan_implILNS1_25lookback_scan_determinismE0ELb1ELb1ES3_N6thrust23THRUST_200600_302600_NS6detail15normal_iteratorINS9_10device_ptrItEEEESE_t11max_functorItEtEEDaPvRmT3_T4_T5_mT6_P12ihipStream_tbENKUlT_T0_E_clISt17integral_constantIbLb0EESU_EEDaSP_SQ_EUlSP_E0_NS1_11comp_targetILNS1_3genE3ELNS1_11target_archE908ELNS1_3gpuE7ELNS1_3repE0EEENS1_30default_config_static_selectorELNS0_4arch9wavefront6targetE1EEEvT1_,comdat
.Lfunc_end2498:
	.size	_ZN7rocprim17ROCPRIM_400000_NS6detail17trampoline_kernelINS0_14default_configENS1_20scan_config_selectorItEEZZNS1_9scan_implILNS1_25lookback_scan_determinismE0ELb1ELb1ES3_N6thrust23THRUST_200600_302600_NS6detail15normal_iteratorINS9_10device_ptrItEEEESE_t11max_functorItEtEEDaPvRmT3_T4_T5_mT6_P12ihipStream_tbENKUlT_T0_E_clISt17integral_constantIbLb0EESU_EEDaSP_SQ_EUlSP_E0_NS1_11comp_targetILNS1_3genE3ELNS1_11target_archE908ELNS1_3gpuE7ELNS1_3repE0EEENS1_30default_config_static_selectorELNS0_4arch9wavefront6targetE1EEEvT1_, .Lfunc_end2498-_ZN7rocprim17ROCPRIM_400000_NS6detail17trampoline_kernelINS0_14default_configENS1_20scan_config_selectorItEEZZNS1_9scan_implILNS1_25lookback_scan_determinismE0ELb1ELb1ES3_N6thrust23THRUST_200600_302600_NS6detail15normal_iteratorINS9_10device_ptrItEEEESE_t11max_functorItEtEEDaPvRmT3_T4_T5_mT6_P12ihipStream_tbENKUlT_T0_E_clISt17integral_constantIbLb0EESU_EEDaSP_SQ_EUlSP_E0_NS1_11comp_targetILNS1_3genE3ELNS1_11target_archE908ELNS1_3gpuE7ELNS1_3repE0EEENS1_30default_config_static_selectorELNS0_4arch9wavefront6targetE1EEEvT1_
                                        ; -- End function
	.section	.AMDGPU.csdata,"",@progbits
; Kernel info:
; codeLenInByte = 0
; NumSgprs: 4
; NumVgprs: 0
; NumAgprs: 0
; TotalNumVgprs: 0
; ScratchSize: 0
; MemoryBound: 0
; FloatMode: 240
; IeeeMode: 1
; LDSByteSize: 0 bytes/workgroup (compile time only)
; SGPRBlocks: 0
; VGPRBlocks: 0
; NumSGPRsForWavesPerEU: 4
; NumVGPRsForWavesPerEU: 1
; AccumOffset: 4
; Occupancy: 8
; WaveLimiterHint : 0
; COMPUTE_PGM_RSRC2:SCRATCH_EN: 0
; COMPUTE_PGM_RSRC2:USER_SGPR: 6
; COMPUTE_PGM_RSRC2:TRAP_HANDLER: 0
; COMPUTE_PGM_RSRC2:TGID_X_EN: 1
; COMPUTE_PGM_RSRC2:TGID_Y_EN: 0
; COMPUTE_PGM_RSRC2:TGID_Z_EN: 0
; COMPUTE_PGM_RSRC2:TIDIG_COMP_CNT: 0
; COMPUTE_PGM_RSRC3_GFX90A:ACCUM_OFFSET: 0
; COMPUTE_PGM_RSRC3_GFX90A:TG_SPLIT: 0
	.section	.text._ZN7rocprim17ROCPRIM_400000_NS6detail17trampoline_kernelINS0_14default_configENS1_20scan_config_selectorItEEZZNS1_9scan_implILNS1_25lookback_scan_determinismE0ELb1ELb1ES3_N6thrust23THRUST_200600_302600_NS6detail15normal_iteratorINS9_10device_ptrItEEEESE_t11max_functorItEtEEDaPvRmT3_T4_T5_mT6_P12ihipStream_tbENKUlT_T0_E_clISt17integral_constantIbLb0EESU_EEDaSP_SQ_EUlSP_E0_NS1_11comp_targetILNS1_3genE2ELNS1_11target_archE906ELNS1_3gpuE6ELNS1_3repE0EEENS1_30default_config_static_selectorELNS0_4arch9wavefront6targetE1EEEvT1_,"axG",@progbits,_ZN7rocprim17ROCPRIM_400000_NS6detail17trampoline_kernelINS0_14default_configENS1_20scan_config_selectorItEEZZNS1_9scan_implILNS1_25lookback_scan_determinismE0ELb1ELb1ES3_N6thrust23THRUST_200600_302600_NS6detail15normal_iteratorINS9_10device_ptrItEEEESE_t11max_functorItEtEEDaPvRmT3_T4_T5_mT6_P12ihipStream_tbENKUlT_T0_E_clISt17integral_constantIbLb0EESU_EEDaSP_SQ_EUlSP_E0_NS1_11comp_targetILNS1_3genE2ELNS1_11target_archE906ELNS1_3gpuE6ELNS1_3repE0EEENS1_30default_config_static_selectorELNS0_4arch9wavefront6targetE1EEEvT1_,comdat
	.protected	_ZN7rocprim17ROCPRIM_400000_NS6detail17trampoline_kernelINS0_14default_configENS1_20scan_config_selectorItEEZZNS1_9scan_implILNS1_25lookback_scan_determinismE0ELb1ELb1ES3_N6thrust23THRUST_200600_302600_NS6detail15normal_iteratorINS9_10device_ptrItEEEESE_t11max_functorItEtEEDaPvRmT3_T4_T5_mT6_P12ihipStream_tbENKUlT_T0_E_clISt17integral_constantIbLb0EESU_EEDaSP_SQ_EUlSP_E0_NS1_11comp_targetILNS1_3genE2ELNS1_11target_archE906ELNS1_3gpuE6ELNS1_3repE0EEENS1_30default_config_static_selectorELNS0_4arch9wavefront6targetE1EEEvT1_ ; -- Begin function _ZN7rocprim17ROCPRIM_400000_NS6detail17trampoline_kernelINS0_14default_configENS1_20scan_config_selectorItEEZZNS1_9scan_implILNS1_25lookback_scan_determinismE0ELb1ELb1ES3_N6thrust23THRUST_200600_302600_NS6detail15normal_iteratorINS9_10device_ptrItEEEESE_t11max_functorItEtEEDaPvRmT3_T4_T5_mT6_P12ihipStream_tbENKUlT_T0_E_clISt17integral_constantIbLb0EESU_EEDaSP_SQ_EUlSP_E0_NS1_11comp_targetILNS1_3genE2ELNS1_11target_archE906ELNS1_3gpuE6ELNS1_3repE0EEENS1_30default_config_static_selectorELNS0_4arch9wavefront6targetE1EEEvT1_
	.globl	_ZN7rocprim17ROCPRIM_400000_NS6detail17trampoline_kernelINS0_14default_configENS1_20scan_config_selectorItEEZZNS1_9scan_implILNS1_25lookback_scan_determinismE0ELb1ELb1ES3_N6thrust23THRUST_200600_302600_NS6detail15normal_iteratorINS9_10device_ptrItEEEESE_t11max_functorItEtEEDaPvRmT3_T4_T5_mT6_P12ihipStream_tbENKUlT_T0_E_clISt17integral_constantIbLb0EESU_EEDaSP_SQ_EUlSP_E0_NS1_11comp_targetILNS1_3genE2ELNS1_11target_archE906ELNS1_3gpuE6ELNS1_3repE0EEENS1_30default_config_static_selectorELNS0_4arch9wavefront6targetE1EEEvT1_
	.p2align	8
	.type	_ZN7rocprim17ROCPRIM_400000_NS6detail17trampoline_kernelINS0_14default_configENS1_20scan_config_selectorItEEZZNS1_9scan_implILNS1_25lookback_scan_determinismE0ELb1ELb1ES3_N6thrust23THRUST_200600_302600_NS6detail15normal_iteratorINS9_10device_ptrItEEEESE_t11max_functorItEtEEDaPvRmT3_T4_T5_mT6_P12ihipStream_tbENKUlT_T0_E_clISt17integral_constantIbLb0EESU_EEDaSP_SQ_EUlSP_E0_NS1_11comp_targetILNS1_3genE2ELNS1_11target_archE906ELNS1_3gpuE6ELNS1_3repE0EEENS1_30default_config_static_selectorELNS0_4arch9wavefront6targetE1EEEvT1_,@function
_ZN7rocprim17ROCPRIM_400000_NS6detail17trampoline_kernelINS0_14default_configENS1_20scan_config_selectorItEEZZNS1_9scan_implILNS1_25lookback_scan_determinismE0ELb1ELb1ES3_N6thrust23THRUST_200600_302600_NS6detail15normal_iteratorINS9_10device_ptrItEEEESE_t11max_functorItEtEEDaPvRmT3_T4_T5_mT6_P12ihipStream_tbENKUlT_T0_E_clISt17integral_constantIbLb0EESU_EEDaSP_SQ_EUlSP_E0_NS1_11comp_targetILNS1_3genE2ELNS1_11target_archE906ELNS1_3gpuE6ELNS1_3repE0EEENS1_30default_config_static_selectorELNS0_4arch9wavefront6targetE1EEEvT1_: ; @_ZN7rocprim17ROCPRIM_400000_NS6detail17trampoline_kernelINS0_14default_configENS1_20scan_config_selectorItEEZZNS1_9scan_implILNS1_25lookback_scan_determinismE0ELb1ELb1ES3_N6thrust23THRUST_200600_302600_NS6detail15normal_iteratorINS9_10device_ptrItEEEESE_t11max_functorItEtEEDaPvRmT3_T4_T5_mT6_P12ihipStream_tbENKUlT_T0_E_clISt17integral_constantIbLb0EESU_EEDaSP_SQ_EUlSP_E0_NS1_11comp_targetILNS1_3genE2ELNS1_11target_archE906ELNS1_3gpuE6ELNS1_3repE0EEENS1_30default_config_static_selectorELNS0_4arch9wavefront6targetE1EEEvT1_
; %bb.0:
	.section	.rodata,"a",@progbits
	.p2align	6, 0x0
	.amdhsa_kernel _ZN7rocprim17ROCPRIM_400000_NS6detail17trampoline_kernelINS0_14default_configENS1_20scan_config_selectorItEEZZNS1_9scan_implILNS1_25lookback_scan_determinismE0ELb1ELb1ES3_N6thrust23THRUST_200600_302600_NS6detail15normal_iteratorINS9_10device_ptrItEEEESE_t11max_functorItEtEEDaPvRmT3_T4_T5_mT6_P12ihipStream_tbENKUlT_T0_E_clISt17integral_constantIbLb0EESU_EEDaSP_SQ_EUlSP_E0_NS1_11comp_targetILNS1_3genE2ELNS1_11target_archE906ELNS1_3gpuE6ELNS1_3repE0EEENS1_30default_config_static_selectorELNS0_4arch9wavefront6targetE1EEEvT1_
		.amdhsa_group_segment_fixed_size 0
		.amdhsa_private_segment_fixed_size 0
		.amdhsa_kernarg_size 32
		.amdhsa_user_sgpr_count 6
		.amdhsa_user_sgpr_private_segment_buffer 1
		.amdhsa_user_sgpr_dispatch_ptr 0
		.amdhsa_user_sgpr_queue_ptr 0
		.amdhsa_user_sgpr_kernarg_segment_ptr 1
		.amdhsa_user_sgpr_dispatch_id 0
		.amdhsa_user_sgpr_flat_scratch_init 0
		.amdhsa_user_sgpr_kernarg_preload_length 0
		.amdhsa_user_sgpr_kernarg_preload_offset 0
		.amdhsa_user_sgpr_private_segment_size 0
		.amdhsa_uses_dynamic_stack 0
		.amdhsa_system_sgpr_private_segment_wavefront_offset 0
		.amdhsa_system_sgpr_workgroup_id_x 1
		.amdhsa_system_sgpr_workgroup_id_y 0
		.amdhsa_system_sgpr_workgroup_id_z 0
		.amdhsa_system_sgpr_workgroup_info 0
		.amdhsa_system_vgpr_workitem_id 0
		.amdhsa_next_free_vgpr 1
		.amdhsa_next_free_sgpr 0
		.amdhsa_accum_offset 4
		.amdhsa_reserve_vcc 0
		.amdhsa_reserve_flat_scratch 0
		.amdhsa_float_round_mode_32 0
		.amdhsa_float_round_mode_16_64 0
		.amdhsa_float_denorm_mode_32 3
		.amdhsa_float_denorm_mode_16_64 3
		.amdhsa_dx10_clamp 1
		.amdhsa_ieee_mode 1
		.amdhsa_fp16_overflow 0
		.amdhsa_tg_split 0
		.amdhsa_exception_fp_ieee_invalid_op 0
		.amdhsa_exception_fp_denorm_src 0
		.amdhsa_exception_fp_ieee_div_zero 0
		.amdhsa_exception_fp_ieee_overflow 0
		.amdhsa_exception_fp_ieee_underflow 0
		.amdhsa_exception_fp_ieee_inexact 0
		.amdhsa_exception_int_div_zero 0
	.end_amdhsa_kernel
	.section	.text._ZN7rocprim17ROCPRIM_400000_NS6detail17trampoline_kernelINS0_14default_configENS1_20scan_config_selectorItEEZZNS1_9scan_implILNS1_25lookback_scan_determinismE0ELb1ELb1ES3_N6thrust23THRUST_200600_302600_NS6detail15normal_iteratorINS9_10device_ptrItEEEESE_t11max_functorItEtEEDaPvRmT3_T4_T5_mT6_P12ihipStream_tbENKUlT_T0_E_clISt17integral_constantIbLb0EESU_EEDaSP_SQ_EUlSP_E0_NS1_11comp_targetILNS1_3genE2ELNS1_11target_archE906ELNS1_3gpuE6ELNS1_3repE0EEENS1_30default_config_static_selectorELNS0_4arch9wavefront6targetE1EEEvT1_,"axG",@progbits,_ZN7rocprim17ROCPRIM_400000_NS6detail17trampoline_kernelINS0_14default_configENS1_20scan_config_selectorItEEZZNS1_9scan_implILNS1_25lookback_scan_determinismE0ELb1ELb1ES3_N6thrust23THRUST_200600_302600_NS6detail15normal_iteratorINS9_10device_ptrItEEEESE_t11max_functorItEtEEDaPvRmT3_T4_T5_mT6_P12ihipStream_tbENKUlT_T0_E_clISt17integral_constantIbLb0EESU_EEDaSP_SQ_EUlSP_E0_NS1_11comp_targetILNS1_3genE2ELNS1_11target_archE906ELNS1_3gpuE6ELNS1_3repE0EEENS1_30default_config_static_selectorELNS0_4arch9wavefront6targetE1EEEvT1_,comdat
.Lfunc_end2499:
	.size	_ZN7rocprim17ROCPRIM_400000_NS6detail17trampoline_kernelINS0_14default_configENS1_20scan_config_selectorItEEZZNS1_9scan_implILNS1_25lookback_scan_determinismE0ELb1ELb1ES3_N6thrust23THRUST_200600_302600_NS6detail15normal_iteratorINS9_10device_ptrItEEEESE_t11max_functorItEtEEDaPvRmT3_T4_T5_mT6_P12ihipStream_tbENKUlT_T0_E_clISt17integral_constantIbLb0EESU_EEDaSP_SQ_EUlSP_E0_NS1_11comp_targetILNS1_3genE2ELNS1_11target_archE906ELNS1_3gpuE6ELNS1_3repE0EEENS1_30default_config_static_selectorELNS0_4arch9wavefront6targetE1EEEvT1_, .Lfunc_end2499-_ZN7rocprim17ROCPRIM_400000_NS6detail17trampoline_kernelINS0_14default_configENS1_20scan_config_selectorItEEZZNS1_9scan_implILNS1_25lookback_scan_determinismE0ELb1ELb1ES3_N6thrust23THRUST_200600_302600_NS6detail15normal_iteratorINS9_10device_ptrItEEEESE_t11max_functorItEtEEDaPvRmT3_T4_T5_mT6_P12ihipStream_tbENKUlT_T0_E_clISt17integral_constantIbLb0EESU_EEDaSP_SQ_EUlSP_E0_NS1_11comp_targetILNS1_3genE2ELNS1_11target_archE906ELNS1_3gpuE6ELNS1_3repE0EEENS1_30default_config_static_selectorELNS0_4arch9wavefront6targetE1EEEvT1_
                                        ; -- End function
	.section	.AMDGPU.csdata,"",@progbits
; Kernel info:
; codeLenInByte = 0
; NumSgprs: 4
; NumVgprs: 0
; NumAgprs: 0
; TotalNumVgprs: 0
; ScratchSize: 0
; MemoryBound: 0
; FloatMode: 240
; IeeeMode: 1
; LDSByteSize: 0 bytes/workgroup (compile time only)
; SGPRBlocks: 0
; VGPRBlocks: 0
; NumSGPRsForWavesPerEU: 4
; NumVGPRsForWavesPerEU: 1
; AccumOffset: 4
; Occupancy: 8
; WaveLimiterHint : 0
; COMPUTE_PGM_RSRC2:SCRATCH_EN: 0
; COMPUTE_PGM_RSRC2:USER_SGPR: 6
; COMPUTE_PGM_RSRC2:TRAP_HANDLER: 0
; COMPUTE_PGM_RSRC2:TGID_X_EN: 1
; COMPUTE_PGM_RSRC2:TGID_Y_EN: 0
; COMPUTE_PGM_RSRC2:TGID_Z_EN: 0
; COMPUTE_PGM_RSRC2:TIDIG_COMP_CNT: 0
; COMPUTE_PGM_RSRC3_GFX90A:ACCUM_OFFSET: 0
; COMPUTE_PGM_RSRC3_GFX90A:TG_SPLIT: 0
	.section	.text._ZN7rocprim17ROCPRIM_400000_NS6detail17trampoline_kernelINS0_14default_configENS1_20scan_config_selectorItEEZZNS1_9scan_implILNS1_25lookback_scan_determinismE0ELb1ELb1ES3_N6thrust23THRUST_200600_302600_NS6detail15normal_iteratorINS9_10device_ptrItEEEESE_t11max_functorItEtEEDaPvRmT3_T4_T5_mT6_P12ihipStream_tbENKUlT_T0_E_clISt17integral_constantIbLb0EESU_EEDaSP_SQ_EUlSP_E0_NS1_11comp_targetILNS1_3genE10ELNS1_11target_archE1201ELNS1_3gpuE5ELNS1_3repE0EEENS1_30default_config_static_selectorELNS0_4arch9wavefront6targetE1EEEvT1_,"axG",@progbits,_ZN7rocprim17ROCPRIM_400000_NS6detail17trampoline_kernelINS0_14default_configENS1_20scan_config_selectorItEEZZNS1_9scan_implILNS1_25lookback_scan_determinismE0ELb1ELb1ES3_N6thrust23THRUST_200600_302600_NS6detail15normal_iteratorINS9_10device_ptrItEEEESE_t11max_functorItEtEEDaPvRmT3_T4_T5_mT6_P12ihipStream_tbENKUlT_T0_E_clISt17integral_constantIbLb0EESU_EEDaSP_SQ_EUlSP_E0_NS1_11comp_targetILNS1_3genE10ELNS1_11target_archE1201ELNS1_3gpuE5ELNS1_3repE0EEENS1_30default_config_static_selectorELNS0_4arch9wavefront6targetE1EEEvT1_,comdat
	.protected	_ZN7rocprim17ROCPRIM_400000_NS6detail17trampoline_kernelINS0_14default_configENS1_20scan_config_selectorItEEZZNS1_9scan_implILNS1_25lookback_scan_determinismE0ELb1ELb1ES3_N6thrust23THRUST_200600_302600_NS6detail15normal_iteratorINS9_10device_ptrItEEEESE_t11max_functorItEtEEDaPvRmT3_T4_T5_mT6_P12ihipStream_tbENKUlT_T0_E_clISt17integral_constantIbLb0EESU_EEDaSP_SQ_EUlSP_E0_NS1_11comp_targetILNS1_3genE10ELNS1_11target_archE1201ELNS1_3gpuE5ELNS1_3repE0EEENS1_30default_config_static_selectorELNS0_4arch9wavefront6targetE1EEEvT1_ ; -- Begin function _ZN7rocprim17ROCPRIM_400000_NS6detail17trampoline_kernelINS0_14default_configENS1_20scan_config_selectorItEEZZNS1_9scan_implILNS1_25lookback_scan_determinismE0ELb1ELb1ES3_N6thrust23THRUST_200600_302600_NS6detail15normal_iteratorINS9_10device_ptrItEEEESE_t11max_functorItEtEEDaPvRmT3_T4_T5_mT6_P12ihipStream_tbENKUlT_T0_E_clISt17integral_constantIbLb0EESU_EEDaSP_SQ_EUlSP_E0_NS1_11comp_targetILNS1_3genE10ELNS1_11target_archE1201ELNS1_3gpuE5ELNS1_3repE0EEENS1_30default_config_static_selectorELNS0_4arch9wavefront6targetE1EEEvT1_
	.globl	_ZN7rocprim17ROCPRIM_400000_NS6detail17trampoline_kernelINS0_14default_configENS1_20scan_config_selectorItEEZZNS1_9scan_implILNS1_25lookback_scan_determinismE0ELb1ELb1ES3_N6thrust23THRUST_200600_302600_NS6detail15normal_iteratorINS9_10device_ptrItEEEESE_t11max_functorItEtEEDaPvRmT3_T4_T5_mT6_P12ihipStream_tbENKUlT_T0_E_clISt17integral_constantIbLb0EESU_EEDaSP_SQ_EUlSP_E0_NS1_11comp_targetILNS1_3genE10ELNS1_11target_archE1201ELNS1_3gpuE5ELNS1_3repE0EEENS1_30default_config_static_selectorELNS0_4arch9wavefront6targetE1EEEvT1_
	.p2align	8
	.type	_ZN7rocprim17ROCPRIM_400000_NS6detail17trampoline_kernelINS0_14default_configENS1_20scan_config_selectorItEEZZNS1_9scan_implILNS1_25lookback_scan_determinismE0ELb1ELb1ES3_N6thrust23THRUST_200600_302600_NS6detail15normal_iteratorINS9_10device_ptrItEEEESE_t11max_functorItEtEEDaPvRmT3_T4_T5_mT6_P12ihipStream_tbENKUlT_T0_E_clISt17integral_constantIbLb0EESU_EEDaSP_SQ_EUlSP_E0_NS1_11comp_targetILNS1_3genE10ELNS1_11target_archE1201ELNS1_3gpuE5ELNS1_3repE0EEENS1_30default_config_static_selectorELNS0_4arch9wavefront6targetE1EEEvT1_,@function
_ZN7rocprim17ROCPRIM_400000_NS6detail17trampoline_kernelINS0_14default_configENS1_20scan_config_selectorItEEZZNS1_9scan_implILNS1_25lookback_scan_determinismE0ELb1ELb1ES3_N6thrust23THRUST_200600_302600_NS6detail15normal_iteratorINS9_10device_ptrItEEEESE_t11max_functorItEtEEDaPvRmT3_T4_T5_mT6_P12ihipStream_tbENKUlT_T0_E_clISt17integral_constantIbLb0EESU_EEDaSP_SQ_EUlSP_E0_NS1_11comp_targetILNS1_3genE10ELNS1_11target_archE1201ELNS1_3gpuE5ELNS1_3repE0EEENS1_30default_config_static_selectorELNS0_4arch9wavefront6targetE1EEEvT1_: ; @_ZN7rocprim17ROCPRIM_400000_NS6detail17trampoline_kernelINS0_14default_configENS1_20scan_config_selectorItEEZZNS1_9scan_implILNS1_25lookback_scan_determinismE0ELb1ELb1ES3_N6thrust23THRUST_200600_302600_NS6detail15normal_iteratorINS9_10device_ptrItEEEESE_t11max_functorItEtEEDaPvRmT3_T4_T5_mT6_P12ihipStream_tbENKUlT_T0_E_clISt17integral_constantIbLb0EESU_EEDaSP_SQ_EUlSP_E0_NS1_11comp_targetILNS1_3genE10ELNS1_11target_archE1201ELNS1_3gpuE5ELNS1_3repE0EEENS1_30default_config_static_selectorELNS0_4arch9wavefront6targetE1EEEvT1_
; %bb.0:
	.section	.rodata,"a",@progbits
	.p2align	6, 0x0
	.amdhsa_kernel _ZN7rocprim17ROCPRIM_400000_NS6detail17trampoline_kernelINS0_14default_configENS1_20scan_config_selectorItEEZZNS1_9scan_implILNS1_25lookback_scan_determinismE0ELb1ELb1ES3_N6thrust23THRUST_200600_302600_NS6detail15normal_iteratorINS9_10device_ptrItEEEESE_t11max_functorItEtEEDaPvRmT3_T4_T5_mT6_P12ihipStream_tbENKUlT_T0_E_clISt17integral_constantIbLb0EESU_EEDaSP_SQ_EUlSP_E0_NS1_11comp_targetILNS1_3genE10ELNS1_11target_archE1201ELNS1_3gpuE5ELNS1_3repE0EEENS1_30default_config_static_selectorELNS0_4arch9wavefront6targetE1EEEvT1_
		.amdhsa_group_segment_fixed_size 0
		.amdhsa_private_segment_fixed_size 0
		.amdhsa_kernarg_size 32
		.amdhsa_user_sgpr_count 6
		.amdhsa_user_sgpr_private_segment_buffer 1
		.amdhsa_user_sgpr_dispatch_ptr 0
		.amdhsa_user_sgpr_queue_ptr 0
		.amdhsa_user_sgpr_kernarg_segment_ptr 1
		.amdhsa_user_sgpr_dispatch_id 0
		.amdhsa_user_sgpr_flat_scratch_init 0
		.amdhsa_user_sgpr_kernarg_preload_length 0
		.amdhsa_user_sgpr_kernarg_preload_offset 0
		.amdhsa_user_sgpr_private_segment_size 0
		.amdhsa_uses_dynamic_stack 0
		.amdhsa_system_sgpr_private_segment_wavefront_offset 0
		.amdhsa_system_sgpr_workgroup_id_x 1
		.amdhsa_system_sgpr_workgroup_id_y 0
		.amdhsa_system_sgpr_workgroup_id_z 0
		.amdhsa_system_sgpr_workgroup_info 0
		.amdhsa_system_vgpr_workitem_id 0
		.amdhsa_next_free_vgpr 1
		.amdhsa_next_free_sgpr 0
		.amdhsa_accum_offset 4
		.amdhsa_reserve_vcc 0
		.amdhsa_reserve_flat_scratch 0
		.amdhsa_float_round_mode_32 0
		.amdhsa_float_round_mode_16_64 0
		.amdhsa_float_denorm_mode_32 3
		.amdhsa_float_denorm_mode_16_64 3
		.amdhsa_dx10_clamp 1
		.amdhsa_ieee_mode 1
		.amdhsa_fp16_overflow 0
		.amdhsa_tg_split 0
		.amdhsa_exception_fp_ieee_invalid_op 0
		.amdhsa_exception_fp_denorm_src 0
		.amdhsa_exception_fp_ieee_div_zero 0
		.amdhsa_exception_fp_ieee_overflow 0
		.amdhsa_exception_fp_ieee_underflow 0
		.amdhsa_exception_fp_ieee_inexact 0
		.amdhsa_exception_int_div_zero 0
	.end_amdhsa_kernel
	.section	.text._ZN7rocprim17ROCPRIM_400000_NS6detail17trampoline_kernelINS0_14default_configENS1_20scan_config_selectorItEEZZNS1_9scan_implILNS1_25lookback_scan_determinismE0ELb1ELb1ES3_N6thrust23THRUST_200600_302600_NS6detail15normal_iteratorINS9_10device_ptrItEEEESE_t11max_functorItEtEEDaPvRmT3_T4_T5_mT6_P12ihipStream_tbENKUlT_T0_E_clISt17integral_constantIbLb0EESU_EEDaSP_SQ_EUlSP_E0_NS1_11comp_targetILNS1_3genE10ELNS1_11target_archE1201ELNS1_3gpuE5ELNS1_3repE0EEENS1_30default_config_static_selectorELNS0_4arch9wavefront6targetE1EEEvT1_,"axG",@progbits,_ZN7rocprim17ROCPRIM_400000_NS6detail17trampoline_kernelINS0_14default_configENS1_20scan_config_selectorItEEZZNS1_9scan_implILNS1_25lookback_scan_determinismE0ELb1ELb1ES3_N6thrust23THRUST_200600_302600_NS6detail15normal_iteratorINS9_10device_ptrItEEEESE_t11max_functorItEtEEDaPvRmT3_T4_T5_mT6_P12ihipStream_tbENKUlT_T0_E_clISt17integral_constantIbLb0EESU_EEDaSP_SQ_EUlSP_E0_NS1_11comp_targetILNS1_3genE10ELNS1_11target_archE1201ELNS1_3gpuE5ELNS1_3repE0EEENS1_30default_config_static_selectorELNS0_4arch9wavefront6targetE1EEEvT1_,comdat
.Lfunc_end2500:
	.size	_ZN7rocprim17ROCPRIM_400000_NS6detail17trampoline_kernelINS0_14default_configENS1_20scan_config_selectorItEEZZNS1_9scan_implILNS1_25lookback_scan_determinismE0ELb1ELb1ES3_N6thrust23THRUST_200600_302600_NS6detail15normal_iteratorINS9_10device_ptrItEEEESE_t11max_functorItEtEEDaPvRmT3_T4_T5_mT6_P12ihipStream_tbENKUlT_T0_E_clISt17integral_constantIbLb0EESU_EEDaSP_SQ_EUlSP_E0_NS1_11comp_targetILNS1_3genE10ELNS1_11target_archE1201ELNS1_3gpuE5ELNS1_3repE0EEENS1_30default_config_static_selectorELNS0_4arch9wavefront6targetE1EEEvT1_, .Lfunc_end2500-_ZN7rocprim17ROCPRIM_400000_NS6detail17trampoline_kernelINS0_14default_configENS1_20scan_config_selectorItEEZZNS1_9scan_implILNS1_25lookback_scan_determinismE0ELb1ELb1ES3_N6thrust23THRUST_200600_302600_NS6detail15normal_iteratorINS9_10device_ptrItEEEESE_t11max_functorItEtEEDaPvRmT3_T4_T5_mT6_P12ihipStream_tbENKUlT_T0_E_clISt17integral_constantIbLb0EESU_EEDaSP_SQ_EUlSP_E0_NS1_11comp_targetILNS1_3genE10ELNS1_11target_archE1201ELNS1_3gpuE5ELNS1_3repE0EEENS1_30default_config_static_selectorELNS0_4arch9wavefront6targetE1EEEvT1_
                                        ; -- End function
	.section	.AMDGPU.csdata,"",@progbits
; Kernel info:
; codeLenInByte = 0
; NumSgprs: 4
; NumVgprs: 0
; NumAgprs: 0
; TotalNumVgprs: 0
; ScratchSize: 0
; MemoryBound: 0
; FloatMode: 240
; IeeeMode: 1
; LDSByteSize: 0 bytes/workgroup (compile time only)
; SGPRBlocks: 0
; VGPRBlocks: 0
; NumSGPRsForWavesPerEU: 4
; NumVGPRsForWavesPerEU: 1
; AccumOffset: 4
; Occupancy: 8
; WaveLimiterHint : 0
; COMPUTE_PGM_RSRC2:SCRATCH_EN: 0
; COMPUTE_PGM_RSRC2:USER_SGPR: 6
; COMPUTE_PGM_RSRC2:TRAP_HANDLER: 0
; COMPUTE_PGM_RSRC2:TGID_X_EN: 1
; COMPUTE_PGM_RSRC2:TGID_Y_EN: 0
; COMPUTE_PGM_RSRC2:TGID_Z_EN: 0
; COMPUTE_PGM_RSRC2:TIDIG_COMP_CNT: 0
; COMPUTE_PGM_RSRC3_GFX90A:ACCUM_OFFSET: 0
; COMPUTE_PGM_RSRC3_GFX90A:TG_SPLIT: 0
	.section	.text._ZN7rocprim17ROCPRIM_400000_NS6detail17trampoline_kernelINS0_14default_configENS1_20scan_config_selectorItEEZZNS1_9scan_implILNS1_25lookback_scan_determinismE0ELb1ELb1ES3_N6thrust23THRUST_200600_302600_NS6detail15normal_iteratorINS9_10device_ptrItEEEESE_t11max_functorItEtEEDaPvRmT3_T4_T5_mT6_P12ihipStream_tbENKUlT_T0_E_clISt17integral_constantIbLb0EESU_EEDaSP_SQ_EUlSP_E0_NS1_11comp_targetILNS1_3genE10ELNS1_11target_archE1200ELNS1_3gpuE4ELNS1_3repE0EEENS1_30default_config_static_selectorELNS0_4arch9wavefront6targetE1EEEvT1_,"axG",@progbits,_ZN7rocprim17ROCPRIM_400000_NS6detail17trampoline_kernelINS0_14default_configENS1_20scan_config_selectorItEEZZNS1_9scan_implILNS1_25lookback_scan_determinismE0ELb1ELb1ES3_N6thrust23THRUST_200600_302600_NS6detail15normal_iteratorINS9_10device_ptrItEEEESE_t11max_functorItEtEEDaPvRmT3_T4_T5_mT6_P12ihipStream_tbENKUlT_T0_E_clISt17integral_constantIbLb0EESU_EEDaSP_SQ_EUlSP_E0_NS1_11comp_targetILNS1_3genE10ELNS1_11target_archE1200ELNS1_3gpuE4ELNS1_3repE0EEENS1_30default_config_static_selectorELNS0_4arch9wavefront6targetE1EEEvT1_,comdat
	.protected	_ZN7rocprim17ROCPRIM_400000_NS6detail17trampoline_kernelINS0_14default_configENS1_20scan_config_selectorItEEZZNS1_9scan_implILNS1_25lookback_scan_determinismE0ELb1ELb1ES3_N6thrust23THRUST_200600_302600_NS6detail15normal_iteratorINS9_10device_ptrItEEEESE_t11max_functorItEtEEDaPvRmT3_T4_T5_mT6_P12ihipStream_tbENKUlT_T0_E_clISt17integral_constantIbLb0EESU_EEDaSP_SQ_EUlSP_E0_NS1_11comp_targetILNS1_3genE10ELNS1_11target_archE1200ELNS1_3gpuE4ELNS1_3repE0EEENS1_30default_config_static_selectorELNS0_4arch9wavefront6targetE1EEEvT1_ ; -- Begin function _ZN7rocprim17ROCPRIM_400000_NS6detail17trampoline_kernelINS0_14default_configENS1_20scan_config_selectorItEEZZNS1_9scan_implILNS1_25lookback_scan_determinismE0ELb1ELb1ES3_N6thrust23THRUST_200600_302600_NS6detail15normal_iteratorINS9_10device_ptrItEEEESE_t11max_functorItEtEEDaPvRmT3_T4_T5_mT6_P12ihipStream_tbENKUlT_T0_E_clISt17integral_constantIbLb0EESU_EEDaSP_SQ_EUlSP_E0_NS1_11comp_targetILNS1_3genE10ELNS1_11target_archE1200ELNS1_3gpuE4ELNS1_3repE0EEENS1_30default_config_static_selectorELNS0_4arch9wavefront6targetE1EEEvT1_
	.globl	_ZN7rocprim17ROCPRIM_400000_NS6detail17trampoline_kernelINS0_14default_configENS1_20scan_config_selectorItEEZZNS1_9scan_implILNS1_25lookback_scan_determinismE0ELb1ELb1ES3_N6thrust23THRUST_200600_302600_NS6detail15normal_iteratorINS9_10device_ptrItEEEESE_t11max_functorItEtEEDaPvRmT3_T4_T5_mT6_P12ihipStream_tbENKUlT_T0_E_clISt17integral_constantIbLb0EESU_EEDaSP_SQ_EUlSP_E0_NS1_11comp_targetILNS1_3genE10ELNS1_11target_archE1200ELNS1_3gpuE4ELNS1_3repE0EEENS1_30default_config_static_selectorELNS0_4arch9wavefront6targetE1EEEvT1_
	.p2align	8
	.type	_ZN7rocprim17ROCPRIM_400000_NS6detail17trampoline_kernelINS0_14default_configENS1_20scan_config_selectorItEEZZNS1_9scan_implILNS1_25lookback_scan_determinismE0ELb1ELb1ES3_N6thrust23THRUST_200600_302600_NS6detail15normal_iteratorINS9_10device_ptrItEEEESE_t11max_functorItEtEEDaPvRmT3_T4_T5_mT6_P12ihipStream_tbENKUlT_T0_E_clISt17integral_constantIbLb0EESU_EEDaSP_SQ_EUlSP_E0_NS1_11comp_targetILNS1_3genE10ELNS1_11target_archE1200ELNS1_3gpuE4ELNS1_3repE0EEENS1_30default_config_static_selectorELNS0_4arch9wavefront6targetE1EEEvT1_,@function
_ZN7rocprim17ROCPRIM_400000_NS6detail17trampoline_kernelINS0_14default_configENS1_20scan_config_selectorItEEZZNS1_9scan_implILNS1_25lookback_scan_determinismE0ELb1ELb1ES3_N6thrust23THRUST_200600_302600_NS6detail15normal_iteratorINS9_10device_ptrItEEEESE_t11max_functorItEtEEDaPvRmT3_T4_T5_mT6_P12ihipStream_tbENKUlT_T0_E_clISt17integral_constantIbLb0EESU_EEDaSP_SQ_EUlSP_E0_NS1_11comp_targetILNS1_3genE10ELNS1_11target_archE1200ELNS1_3gpuE4ELNS1_3repE0EEENS1_30default_config_static_selectorELNS0_4arch9wavefront6targetE1EEEvT1_: ; @_ZN7rocprim17ROCPRIM_400000_NS6detail17trampoline_kernelINS0_14default_configENS1_20scan_config_selectorItEEZZNS1_9scan_implILNS1_25lookback_scan_determinismE0ELb1ELb1ES3_N6thrust23THRUST_200600_302600_NS6detail15normal_iteratorINS9_10device_ptrItEEEESE_t11max_functorItEtEEDaPvRmT3_T4_T5_mT6_P12ihipStream_tbENKUlT_T0_E_clISt17integral_constantIbLb0EESU_EEDaSP_SQ_EUlSP_E0_NS1_11comp_targetILNS1_3genE10ELNS1_11target_archE1200ELNS1_3gpuE4ELNS1_3repE0EEENS1_30default_config_static_selectorELNS0_4arch9wavefront6targetE1EEEvT1_
; %bb.0:
	.section	.rodata,"a",@progbits
	.p2align	6, 0x0
	.amdhsa_kernel _ZN7rocprim17ROCPRIM_400000_NS6detail17trampoline_kernelINS0_14default_configENS1_20scan_config_selectorItEEZZNS1_9scan_implILNS1_25lookback_scan_determinismE0ELb1ELb1ES3_N6thrust23THRUST_200600_302600_NS6detail15normal_iteratorINS9_10device_ptrItEEEESE_t11max_functorItEtEEDaPvRmT3_T4_T5_mT6_P12ihipStream_tbENKUlT_T0_E_clISt17integral_constantIbLb0EESU_EEDaSP_SQ_EUlSP_E0_NS1_11comp_targetILNS1_3genE10ELNS1_11target_archE1200ELNS1_3gpuE4ELNS1_3repE0EEENS1_30default_config_static_selectorELNS0_4arch9wavefront6targetE1EEEvT1_
		.amdhsa_group_segment_fixed_size 0
		.amdhsa_private_segment_fixed_size 0
		.amdhsa_kernarg_size 32
		.amdhsa_user_sgpr_count 6
		.amdhsa_user_sgpr_private_segment_buffer 1
		.amdhsa_user_sgpr_dispatch_ptr 0
		.amdhsa_user_sgpr_queue_ptr 0
		.amdhsa_user_sgpr_kernarg_segment_ptr 1
		.amdhsa_user_sgpr_dispatch_id 0
		.amdhsa_user_sgpr_flat_scratch_init 0
		.amdhsa_user_sgpr_kernarg_preload_length 0
		.amdhsa_user_sgpr_kernarg_preload_offset 0
		.amdhsa_user_sgpr_private_segment_size 0
		.amdhsa_uses_dynamic_stack 0
		.amdhsa_system_sgpr_private_segment_wavefront_offset 0
		.amdhsa_system_sgpr_workgroup_id_x 1
		.amdhsa_system_sgpr_workgroup_id_y 0
		.amdhsa_system_sgpr_workgroup_id_z 0
		.amdhsa_system_sgpr_workgroup_info 0
		.amdhsa_system_vgpr_workitem_id 0
		.amdhsa_next_free_vgpr 1
		.amdhsa_next_free_sgpr 0
		.amdhsa_accum_offset 4
		.amdhsa_reserve_vcc 0
		.amdhsa_reserve_flat_scratch 0
		.amdhsa_float_round_mode_32 0
		.amdhsa_float_round_mode_16_64 0
		.amdhsa_float_denorm_mode_32 3
		.amdhsa_float_denorm_mode_16_64 3
		.amdhsa_dx10_clamp 1
		.amdhsa_ieee_mode 1
		.amdhsa_fp16_overflow 0
		.amdhsa_tg_split 0
		.amdhsa_exception_fp_ieee_invalid_op 0
		.amdhsa_exception_fp_denorm_src 0
		.amdhsa_exception_fp_ieee_div_zero 0
		.amdhsa_exception_fp_ieee_overflow 0
		.amdhsa_exception_fp_ieee_underflow 0
		.amdhsa_exception_fp_ieee_inexact 0
		.amdhsa_exception_int_div_zero 0
	.end_amdhsa_kernel
	.section	.text._ZN7rocprim17ROCPRIM_400000_NS6detail17trampoline_kernelINS0_14default_configENS1_20scan_config_selectorItEEZZNS1_9scan_implILNS1_25lookback_scan_determinismE0ELb1ELb1ES3_N6thrust23THRUST_200600_302600_NS6detail15normal_iteratorINS9_10device_ptrItEEEESE_t11max_functorItEtEEDaPvRmT3_T4_T5_mT6_P12ihipStream_tbENKUlT_T0_E_clISt17integral_constantIbLb0EESU_EEDaSP_SQ_EUlSP_E0_NS1_11comp_targetILNS1_3genE10ELNS1_11target_archE1200ELNS1_3gpuE4ELNS1_3repE0EEENS1_30default_config_static_selectorELNS0_4arch9wavefront6targetE1EEEvT1_,"axG",@progbits,_ZN7rocprim17ROCPRIM_400000_NS6detail17trampoline_kernelINS0_14default_configENS1_20scan_config_selectorItEEZZNS1_9scan_implILNS1_25lookback_scan_determinismE0ELb1ELb1ES3_N6thrust23THRUST_200600_302600_NS6detail15normal_iteratorINS9_10device_ptrItEEEESE_t11max_functorItEtEEDaPvRmT3_T4_T5_mT6_P12ihipStream_tbENKUlT_T0_E_clISt17integral_constantIbLb0EESU_EEDaSP_SQ_EUlSP_E0_NS1_11comp_targetILNS1_3genE10ELNS1_11target_archE1200ELNS1_3gpuE4ELNS1_3repE0EEENS1_30default_config_static_selectorELNS0_4arch9wavefront6targetE1EEEvT1_,comdat
.Lfunc_end2501:
	.size	_ZN7rocprim17ROCPRIM_400000_NS6detail17trampoline_kernelINS0_14default_configENS1_20scan_config_selectorItEEZZNS1_9scan_implILNS1_25lookback_scan_determinismE0ELb1ELb1ES3_N6thrust23THRUST_200600_302600_NS6detail15normal_iteratorINS9_10device_ptrItEEEESE_t11max_functorItEtEEDaPvRmT3_T4_T5_mT6_P12ihipStream_tbENKUlT_T0_E_clISt17integral_constantIbLb0EESU_EEDaSP_SQ_EUlSP_E0_NS1_11comp_targetILNS1_3genE10ELNS1_11target_archE1200ELNS1_3gpuE4ELNS1_3repE0EEENS1_30default_config_static_selectorELNS0_4arch9wavefront6targetE1EEEvT1_, .Lfunc_end2501-_ZN7rocprim17ROCPRIM_400000_NS6detail17trampoline_kernelINS0_14default_configENS1_20scan_config_selectorItEEZZNS1_9scan_implILNS1_25lookback_scan_determinismE0ELb1ELb1ES3_N6thrust23THRUST_200600_302600_NS6detail15normal_iteratorINS9_10device_ptrItEEEESE_t11max_functorItEtEEDaPvRmT3_T4_T5_mT6_P12ihipStream_tbENKUlT_T0_E_clISt17integral_constantIbLb0EESU_EEDaSP_SQ_EUlSP_E0_NS1_11comp_targetILNS1_3genE10ELNS1_11target_archE1200ELNS1_3gpuE4ELNS1_3repE0EEENS1_30default_config_static_selectorELNS0_4arch9wavefront6targetE1EEEvT1_
                                        ; -- End function
	.section	.AMDGPU.csdata,"",@progbits
; Kernel info:
; codeLenInByte = 0
; NumSgprs: 4
; NumVgprs: 0
; NumAgprs: 0
; TotalNumVgprs: 0
; ScratchSize: 0
; MemoryBound: 0
; FloatMode: 240
; IeeeMode: 1
; LDSByteSize: 0 bytes/workgroup (compile time only)
; SGPRBlocks: 0
; VGPRBlocks: 0
; NumSGPRsForWavesPerEU: 4
; NumVGPRsForWavesPerEU: 1
; AccumOffset: 4
; Occupancy: 8
; WaveLimiterHint : 0
; COMPUTE_PGM_RSRC2:SCRATCH_EN: 0
; COMPUTE_PGM_RSRC2:USER_SGPR: 6
; COMPUTE_PGM_RSRC2:TRAP_HANDLER: 0
; COMPUTE_PGM_RSRC2:TGID_X_EN: 1
; COMPUTE_PGM_RSRC2:TGID_Y_EN: 0
; COMPUTE_PGM_RSRC2:TGID_Z_EN: 0
; COMPUTE_PGM_RSRC2:TIDIG_COMP_CNT: 0
; COMPUTE_PGM_RSRC3_GFX90A:ACCUM_OFFSET: 0
; COMPUTE_PGM_RSRC3_GFX90A:TG_SPLIT: 0
	.section	.text._ZN7rocprim17ROCPRIM_400000_NS6detail17trampoline_kernelINS0_14default_configENS1_20scan_config_selectorItEEZZNS1_9scan_implILNS1_25lookback_scan_determinismE0ELb1ELb1ES3_N6thrust23THRUST_200600_302600_NS6detail15normal_iteratorINS9_10device_ptrItEEEESE_t11max_functorItEtEEDaPvRmT3_T4_T5_mT6_P12ihipStream_tbENKUlT_T0_E_clISt17integral_constantIbLb0EESU_EEDaSP_SQ_EUlSP_E0_NS1_11comp_targetILNS1_3genE9ELNS1_11target_archE1100ELNS1_3gpuE3ELNS1_3repE0EEENS1_30default_config_static_selectorELNS0_4arch9wavefront6targetE1EEEvT1_,"axG",@progbits,_ZN7rocprim17ROCPRIM_400000_NS6detail17trampoline_kernelINS0_14default_configENS1_20scan_config_selectorItEEZZNS1_9scan_implILNS1_25lookback_scan_determinismE0ELb1ELb1ES3_N6thrust23THRUST_200600_302600_NS6detail15normal_iteratorINS9_10device_ptrItEEEESE_t11max_functorItEtEEDaPvRmT3_T4_T5_mT6_P12ihipStream_tbENKUlT_T0_E_clISt17integral_constantIbLb0EESU_EEDaSP_SQ_EUlSP_E0_NS1_11comp_targetILNS1_3genE9ELNS1_11target_archE1100ELNS1_3gpuE3ELNS1_3repE0EEENS1_30default_config_static_selectorELNS0_4arch9wavefront6targetE1EEEvT1_,comdat
	.protected	_ZN7rocprim17ROCPRIM_400000_NS6detail17trampoline_kernelINS0_14default_configENS1_20scan_config_selectorItEEZZNS1_9scan_implILNS1_25lookback_scan_determinismE0ELb1ELb1ES3_N6thrust23THRUST_200600_302600_NS6detail15normal_iteratorINS9_10device_ptrItEEEESE_t11max_functorItEtEEDaPvRmT3_T4_T5_mT6_P12ihipStream_tbENKUlT_T0_E_clISt17integral_constantIbLb0EESU_EEDaSP_SQ_EUlSP_E0_NS1_11comp_targetILNS1_3genE9ELNS1_11target_archE1100ELNS1_3gpuE3ELNS1_3repE0EEENS1_30default_config_static_selectorELNS0_4arch9wavefront6targetE1EEEvT1_ ; -- Begin function _ZN7rocprim17ROCPRIM_400000_NS6detail17trampoline_kernelINS0_14default_configENS1_20scan_config_selectorItEEZZNS1_9scan_implILNS1_25lookback_scan_determinismE0ELb1ELb1ES3_N6thrust23THRUST_200600_302600_NS6detail15normal_iteratorINS9_10device_ptrItEEEESE_t11max_functorItEtEEDaPvRmT3_T4_T5_mT6_P12ihipStream_tbENKUlT_T0_E_clISt17integral_constantIbLb0EESU_EEDaSP_SQ_EUlSP_E0_NS1_11comp_targetILNS1_3genE9ELNS1_11target_archE1100ELNS1_3gpuE3ELNS1_3repE0EEENS1_30default_config_static_selectorELNS0_4arch9wavefront6targetE1EEEvT1_
	.globl	_ZN7rocprim17ROCPRIM_400000_NS6detail17trampoline_kernelINS0_14default_configENS1_20scan_config_selectorItEEZZNS1_9scan_implILNS1_25lookback_scan_determinismE0ELb1ELb1ES3_N6thrust23THRUST_200600_302600_NS6detail15normal_iteratorINS9_10device_ptrItEEEESE_t11max_functorItEtEEDaPvRmT3_T4_T5_mT6_P12ihipStream_tbENKUlT_T0_E_clISt17integral_constantIbLb0EESU_EEDaSP_SQ_EUlSP_E0_NS1_11comp_targetILNS1_3genE9ELNS1_11target_archE1100ELNS1_3gpuE3ELNS1_3repE0EEENS1_30default_config_static_selectorELNS0_4arch9wavefront6targetE1EEEvT1_
	.p2align	8
	.type	_ZN7rocprim17ROCPRIM_400000_NS6detail17trampoline_kernelINS0_14default_configENS1_20scan_config_selectorItEEZZNS1_9scan_implILNS1_25lookback_scan_determinismE0ELb1ELb1ES3_N6thrust23THRUST_200600_302600_NS6detail15normal_iteratorINS9_10device_ptrItEEEESE_t11max_functorItEtEEDaPvRmT3_T4_T5_mT6_P12ihipStream_tbENKUlT_T0_E_clISt17integral_constantIbLb0EESU_EEDaSP_SQ_EUlSP_E0_NS1_11comp_targetILNS1_3genE9ELNS1_11target_archE1100ELNS1_3gpuE3ELNS1_3repE0EEENS1_30default_config_static_selectorELNS0_4arch9wavefront6targetE1EEEvT1_,@function
_ZN7rocprim17ROCPRIM_400000_NS6detail17trampoline_kernelINS0_14default_configENS1_20scan_config_selectorItEEZZNS1_9scan_implILNS1_25lookback_scan_determinismE0ELb1ELb1ES3_N6thrust23THRUST_200600_302600_NS6detail15normal_iteratorINS9_10device_ptrItEEEESE_t11max_functorItEtEEDaPvRmT3_T4_T5_mT6_P12ihipStream_tbENKUlT_T0_E_clISt17integral_constantIbLb0EESU_EEDaSP_SQ_EUlSP_E0_NS1_11comp_targetILNS1_3genE9ELNS1_11target_archE1100ELNS1_3gpuE3ELNS1_3repE0EEENS1_30default_config_static_selectorELNS0_4arch9wavefront6targetE1EEEvT1_: ; @_ZN7rocprim17ROCPRIM_400000_NS6detail17trampoline_kernelINS0_14default_configENS1_20scan_config_selectorItEEZZNS1_9scan_implILNS1_25lookback_scan_determinismE0ELb1ELb1ES3_N6thrust23THRUST_200600_302600_NS6detail15normal_iteratorINS9_10device_ptrItEEEESE_t11max_functorItEtEEDaPvRmT3_T4_T5_mT6_P12ihipStream_tbENKUlT_T0_E_clISt17integral_constantIbLb0EESU_EEDaSP_SQ_EUlSP_E0_NS1_11comp_targetILNS1_3genE9ELNS1_11target_archE1100ELNS1_3gpuE3ELNS1_3repE0EEENS1_30default_config_static_selectorELNS0_4arch9wavefront6targetE1EEEvT1_
; %bb.0:
	.section	.rodata,"a",@progbits
	.p2align	6, 0x0
	.amdhsa_kernel _ZN7rocprim17ROCPRIM_400000_NS6detail17trampoline_kernelINS0_14default_configENS1_20scan_config_selectorItEEZZNS1_9scan_implILNS1_25lookback_scan_determinismE0ELb1ELb1ES3_N6thrust23THRUST_200600_302600_NS6detail15normal_iteratorINS9_10device_ptrItEEEESE_t11max_functorItEtEEDaPvRmT3_T4_T5_mT6_P12ihipStream_tbENKUlT_T0_E_clISt17integral_constantIbLb0EESU_EEDaSP_SQ_EUlSP_E0_NS1_11comp_targetILNS1_3genE9ELNS1_11target_archE1100ELNS1_3gpuE3ELNS1_3repE0EEENS1_30default_config_static_selectorELNS0_4arch9wavefront6targetE1EEEvT1_
		.amdhsa_group_segment_fixed_size 0
		.amdhsa_private_segment_fixed_size 0
		.amdhsa_kernarg_size 32
		.amdhsa_user_sgpr_count 6
		.amdhsa_user_sgpr_private_segment_buffer 1
		.amdhsa_user_sgpr_dispatch_ptr 0
		.amdhsa_user_sgpr_queue_ptr 0
		.amdhsa_user_sgpr_kernarg_segment_ptr 1
		.amdhsa_user_sgpr_dispatch_id 0
		.amdhsa_user_sgpr_flat_scratch_init 0
		.amdhsa_user_sgpr_kernarg_preload_length 0
		.amdhsa_user_sgpr_kernarg_preload_offset 0
		.amdhsa_user_sgpr_private_segment_size 0
		.amdhsa_uses_dynamic_stack 0
		.amdhsa_system_sgpr_private_segment_wavefront_offset 0
		.amdhsa_system_sgpr_workgroup_id_x 1
		.amdhsa_system_sgpr_workgroup_id_y 0
		.amdhsa_system_sgpr_workgroup_id_z 0
		.amdhsa_system_sgpr_workgroup_info 0
		.amdhsa_system_vgpr_workitem_id 0
		.amdhsa_next_free_vgpr 1
		.amdhsa_next_free_sgpr 0
		.amdhsa_accum_offset 4
		.amdhsa_reserve_vcc 0
		.amdhsa_reserve_flat_scratch 0
		.amdhsa_float_round_mode_32 0
		.amdhsa_float_round_mode_16_64 0
		.amdhsa_float_denorm_mode_32 3
		.amdhsa_float_denorm_mode_16_64 3
		.amdhsa_dx10_clamp 1
		.amdhsa_ieee_mode 1
		.amdhsa_fp16_overflow 0
		.amdhsa_tg_split 0
		.amdhsa_exception_fp_ieee_invalid_op 0
		.amdhsa_exception_fp_denorm_src 0
		.amdhsa_exception_fp_ieee_div_zero 0
		.amdhsa_exception_fp_ieee_overflow 0
		.amdhsa_exception_fp_ieee_underflow 0
		.amdhsa_exception_fp_ieee_inexact 0
		.amdhsa_exception_int_div_zero 0
	.end_amdhsa_kernel
	.section	.text._ZN7rocprim17ROCPRIM_400000_NS6detail17trampoline_kernelINS0_14default_configENS1_20scan_config_selectorItEEZZNS1_9scan_implILNS1_25lookback_scan_determinismE0ELb1ELb1ES3_N6thrust23THRUST_200600_302600_NS6detail15normal_iteratorINS9_10device_ptrItEEEESE_t11max_functorItEtEEDaPvRmT3_T4_T5_mT6_P12ihipStream_tbENKUlT_T0_E_clISt17integral_constantIbLb0EESU_EEDaSP_SQ_EUlSP_E0_NS1_11comp_targetILNS1_3genE9ELNS1_11target_archE1100ELNS1_3gpuE3ELNS1_3repE0EEENS1_30default_config_static_selectorELNS0_4arch9wavefront6targetE1EEEvT1_,"axG",@progbits,_ZN7rocprim17ROCPRIM_400000_NS6detail17trampoline_kernelINS0_14default_configENS1_20scan_config_selectorItEEZZNS1_9scan_implILNS1_25lookback_scan_determinismE0ELb1ELb1ES3_N6thrust23THRUST_200600_302600_NS6detail15normal_iteratorINS9_10device_ptrItEEEESE_t11max_functorItEtEEDaPvRmT3_T4_T5_mT6_P12ihipStream_tbENKUlT_T0_E_clISt17integral_constantIbLb0EESU_EEDaSP_SQ_EUlSP_E0_NS1_11comp_targetILNS1_3genE9ELNS1_11target_archE1100ELNS1_3gpuE3ELNS1_3repE0EEENS1_30default_config_static_selectorELNS0_4arch9wavefront6targetE1EEEvT1_,comdat
.Lfunc_end2502:
	.size	_ZN7rocprim17ROCPRIM_400000_NS6detail17trampoline_kernelINS0_14default_configENS1_20scan_config_selectorItEEZZNS1_9scan_implILNS1_25lookback_scan_determinismE0ELb1ELb1ES3_N6thrust23THRUST_200600_302600_NS6detail15normal_iteratorINS9_10device_ptrItEEEESE_t11max_functorItEtEEDaPvRmT3_T4_T5_mT6_P12ihipStream_tbENKUlT_T0_E_clISt17integral_constantIbLb0EESU_EEDaSP_SQ_EUlSP_E0_NS1_11comp_targetILNS1_3genE9ELNS1_11target_archE1100ELNS1_3gpuE3ELNS1_3repE0EEENS1_30default_config_static_selectorELNS0_4arch9wavefront6targetE1EEEvT1_, .Lfunc_end2502-_ZN7rocprim17ROCPRIM_400000_NS6detail17trampoline_kernelINS0_14default_configENS1_20scan_config_selectorItEEZZNS1_9scan_implILNS1_25lookback_scan_determinismE0ELb1ELb1ES3_N6thrust23THRUST_200600_302600_NS6detail15normal_iteratorINS9_10device_ptrItEEEESE_t11max_functorItEtEEDaPvRmT3_T4_T5_mT6_P12ihipStream_tbENKUlT_T0_E_clISt17integral_constantIbLb0EESU_EEDaSP_SQ_EUlSP_E0_NS1_11comp_targetILNS1_3genE9ELNS1_11target_archE1100ELNS1_3gpuE3ELNS1_3repE0EEENS1_30default_config_static_selectorELNS0_4arch9wavefront6targetE1EEEvT1_
                                        ; -- End function
	.section	.AMDGPU.csdata,"",@progbits
; Kernel info:
; codeLenInByte = 0
; NumSgprs: 4
; NumVgprs: 0
; NumAgprs: 0
; TotalNumVgprs: 0
; ScratchSize: 0
; MemoryBound: 0
; FloatMode: 240
; IeeeMode: 1
; LDSByteSize: 0 bytes/workgroup (compile time only)
; SGPRBlocks: 0
; VGPRBlocks: 0
; NumSGPRsForWavesPerEU: 4
; NumVGPRsForWavesPerEU: 1
; AccumOffset: 4
; Occupancy: 8
; WaveLimiterHint : 0
; COMPUTE_PGM_RSRC2:SCRATCH_EN: 0
; COMPUTE_PGM_RSRC2:USER_SGPR: 6
; COMPUTE_PGM_RSRC2:TRAP_HANDLER: 0
; COMPUTE_PGM_RSRC2:TGID_X_EN: 1
; COMPUTE_PGM_RSRC2:TGID_Y_EN: 0
; COMPUTE_PGM_RSRC2:TGID_Z_EN: 0
; COMPUTE_PGM_RSRC2:TIDIG_COMP_CNT: 0
; COMPUTE_PGM_RSRC3_GFX90A:ACCUM_OFFSET: 0
; COMPUTE_PGM_RSRC3_GFX90A:TG_SPLIT: 0
	.section	.text._ZN7rocprim17ROCPRIM_400000_NS6detail17trampoline_kernelINS0_14default_configENS1_20scan_config_selectorItEEZZNS1_9scan_implILNS1_25lookback_scan_determinismE0ELb1ELb1ES3_N6thrust23THRUST_200600_302600_NS6detail15normal_iteratorINS9_10device_ptrItEEEESE_t11max_functorItEtEEDaPvRmT3_T4_T5_mT6_P12ihipStream_tbENKUlT_T0_E_clISt17integral_constantIbLb0EESU_EEDaSP_SQ_EUlSP_E0_NS1_11comp_targetILNS1_3genE8ELNS1_11target_archE1030ELNS1_3gpuE2ELNS1_3repE0EEENS1_30default_config_static_selectorELNS0_4arch9wavefront6targetE1EEEvT1_,"axG",@progbits,_ZN7rocprim17ROCPRIM_400000_NS6detail17trampoline_kernelINS0_14default_configENS1_20scan_config_selectorItEEZZNS1_9scan_implILNS1_25lookback_scan_determinismE0ELb1ELb1ES3_N6thrust23THRUST_200600_302600_NS6detail15normal_iteratorINS9_10device_ptrItEEEESE_t11max_functorItEtEEDaPvRmT3_T4_T5_mT6_P12ihipStream_tbENKUlT_T0_E_clISt17integral_constantIbLb0EESU_EEDaSP_SQ_EUlSP_E0_NS1_11comp_targetILNS1_3genE8ELNS1_11target_archE1030ELNS1_3gpuE2ELNS1_3repE0EEENS1_30default_config_static_selectorELNS0_4arch9wavefront6targetE1EEEvT1_,comdat
	.protected	_ZN7rocprim17ROCPRIM_400000_NS6detail17trampoline_kernelINS0_14default_configENS1_20scan_config_selectorItEEZZNS1_9scan_implILNS1_25lookback_scan_determinismE0ELb1ELb1ES3_N6thrust23THRUST_200600_302600_NS6detail15normal_iteratorINS9_10device_ptrItEEEESE_t11max_functorItEtEEDaPvRmT3_T4_T5_mT6_P12ihipStream_tbENKUlT_T0_E_clISt17integral_constantIbLb0EESU_EEDaSP_SQ_EUlSP_E0_NS1_11comp_targetILNS1_3genE8ELNS1_11target_archE1030ELNS1_3gpuE2ELNS1_3repE0EEENS1_30default_config_static_selectorELNS0_4arch9wavefront6targetE1EEEvT1_ ; -- Begin function _ZN7rocprim17ROCPRIM_400000_NS6detail17trampoline_kernelINS0_14default_configENS1_20scan_config_selectorItEEZZNS1_9scan_implILNS1_25lookback_scan_determinismE0ELb1ELb1ES3_N6thrust23THRUST_200600_302600_NS6detail15normal_iteratorINS9_10device_ptrItEEEESE_t11max_functorItEtEEDaPvRmT3_T4_T5_mT6_P12ihipStream_tbENKUlT_T0_E_clISt17integral_constantIbLb0EESU_EEDaSP_SQ_EUlSP_E0_NS1_11comp_targetILNS1_3genE8ELNS1_11target_archE1030ELNS1_3gpuE2ELNS1_3repE0EEENS1_30default_config_static_selectorELNS0_4arch9wavefront6targetE1EEEvT1_
	.globl	_ZN7rocprim17ROCPRIM_400000_NS6detail17trampoline_kernelINS0_14default_configENS1_20scan_config_selectorItEEZZNS1_9scan_implILNS1_25lookback_scan_determinismE0ELb1ELb1ES3_N6thrust23THRUST_200600_302600_NS6detail15normal_iteratorINS9_10device_ptrItEEEESE_t11max_functorItEtEEDaPvRmT3_T4_T5_mT6_P12ihipStream_tbENKUlT_T0_E_clISt17integral_constantIbLb0EESU_EEDaSP_SQ_EUlSP_E0_NS1_11comp_targetILNS1_3genE8ELNS1_11target_archE1030ELNS1_3gpuE2ELNS1_3repE0EEENS1_30default_config_static_selectorELNS0_4arch9wavefront6targetE1EEEvT1_
	.p2align	8
	.type	_ZN7rocprim17ROCPRIM_400000_NS6detail17trampoline_kernelINS0_14default_configENS1_20scan_config_selectorItEEZZNS1_9scan_implILNS1_25lookback_scan_determinismE0ELb1ELb1ES3_N6thrust23THRUST_200600_302600_NS6detail15normal_iteratorINS9_10device_ptrItEEEESE_t11max_functorItEtEEDaPvRmT3_T4_T5_mT6_P12ihipStream_tbENKUlT_T0_E_clISt17integral_constantIbLb0EESU_EEDaSP_SQ_EUlSP_E0_NS1_11comp_targetILNS1_3genE8ELNS1_11target_archE1030ELNS1_3gpuE2ELNS1_3repE0EEENS1_30default_config_static_selectorELNS0_4arch9wavefront6targetE1EEEvT1_,@function
_ZN7rocprim17ROCPRIM_400000_NS6detail17trampoline_kernelINS0_14default_configENS1_20scan_config_selectorItEEZZNS1_9scan_implILNS1_25lookback_scan_determinismE0ELb1ELb1ES3_N6thrust23THRUST_200600_302600_NS6detail15normal_iteratorINS9_10device_ptrItEEEESE_t11max_functorItEtEEDaPvRmT3_T4_T5_mT6_P12ihipStream_tbENKUlT_T0_E_clISt17integral_constantIbLb0EESU_EEDaSP_SQ_EUlSP_E0_NS1_11comp_targetILNS1_3genE8ELNS1_11target_archE1030ELNS1_3gpuE2ELNS1_3repE0EEENS1_30default_config_static_selectorELNS0_4arch9wavefront6targetE1EEEvT1_: ; @_ZN7rocprim17ROCPRIM_400000_NS6detail17trampoline_kernelINS0_14default_configENS1_20scan_config_selectorItEEZZNS1_9scan_implILNS1_25lookback_scan_determinismE0ELb1ELb1ES3_N6thrust23THRUST_200600_302600_NS6detail15normal_iteratorINS9_10device_ptrItEEEESE_t11max_functorItEtEEDaPvRmT3_T4_T5_mT6_P12ihipStream_tbENKUlT_T0_E_clISt17integral_constantIbLb0EESU_EEDaSP_SQ_EUlSP_E0_NS1_11comp_targetILNS1_3genE8ELNS1_11target_archE1030ELNS1_3gpuE2ELNS1_3repE0EEENS1_30default_config_static_selectorELNS0_4arch9wavefront6targetE1EEEvT1_
; %bb.0:
	.section	.rodata,"a",@progbits
	.p2align	6, 0x0
	.amdhsa_kernel _ZN7rocprim17ROCPRIM_400000_NS6detail17trampoline_kernelINS0_14default_configENS1_20scan_config_selectorItEEZZNS1_9scan_implILNS1_25lookback_scan_determinismE0ELb1ELb1ES3_N6thrust23THRUST_200600_302600_NS6detail15normal_iteratorINS9_10device_ptrItEEEESE_t11max_functorItEtEEDaPvRmT3_T4_T5_mT6_P12ihipStream_tbENKUlT_T0_E_clISt17integral_constantIbLb0EESU_EEDaSP_SQ_EUlSP_E0_NS1_11comp_targetILNS1_3genE8ELNS1_11target_archE1030ELNS1_3gpuE2ELNS1_3repE0EEENS1_30default_config_static_selectorELNS0_4arch9wavefront6targetE1EEEvT1_
		.amdhsa_group_segment_fixed_size 0
		.amdhsa_private_segment_fixed_size 0
		.amdhsa_kernarg_size 32
		.amdhsa_user_sgpr_count 6
		.amdhsa_user_sgpr_private_segment_buffer 1
		.amdhsa_user_sgpr_dispatch_ptr 0
		.amdhsa_user_sgpr_queue_ptr 0
		.amdhsa_user_sgpr_kernarg_segment_ptr 1
		.amdhsa_user_sgpr_dispatch_id 0
		.amdhsa_user_sgpr_flat_scratch_init 0
		.amdhsa_user_sgpr_kernarg_preload_length 0
		.amdhsa_user_sgpr_kernarg_preload_offset 0
		.amdhsa_user_sgpr_private_segment_size 0
		.amdhsa_uses_dynamic_stack 0
		.amdhsa_system_sgpr_private_segment_wavefront_offset 0
		.amdhsa_system_sgpr_workgroup_id_x 1
		.amdhsa_system_sgpr_workgroup_id_y 0
		.amdhsa_system_sgpr_workgroup_id_z 0
		.amdhsa_system_sgpr_workgroup_info 0
		.amdhsa_system_vgpr_workitem_id 0
		.amdhsa_next_free_vgpr 1
		.amdhsa_next_free_sgpr 0
		.amdhsa_accum_offset 4
		.amdhsa_reserve_vcc 0
		.amdhsa_reserve_flat_scratch 0
		.amdhsa_float_round_mode_32 0
		.amdhsa_float_round_mode_16_64 0
		.amdhsa_float_denorm_mode_32 3
		.amdhsa_float_denorm_mode_16_64 3
		.amdhsa_dx10_clamp 1
		.amdhsa_ieee_mode 1
		.amdhsa_fp16_overflow 0
		.amdhsa_tg_split 0
		.amdhsa_exception_fp_ieee_invalid_op 0
		.amdhsa_exception_fp_denorm_src 0
		.amdhsa_exception_fp_ieee_div_zero 0
		.amdhsa_exception_fp_ieee_overflow 0
		.amdhsa_exception_fp_ieee_underflow 0
		.amdhsa_exception_fp_ieee_inexact 0
		.amdhsa_exception_int_div_zero 0
	.end_amdhsa_kernel
	.section	.text._ZN7rocprim17ROCPRIM_400000_NS6detail17trampoline_kernelINS0_14default_configENS1_20scan_config_selectorItEEZZNS1_9scan_implILNS1_25lookback_scan_determinismE0ELb1ELb1ES3_N6thrust23THRUST_200600_302600_NS6detail15normal_iteratorINS9_10device_ptrItEEEESE_t11max_functorItEtEEDaPvRmT3_T4_T5_mT6_P12ihipStream_tbENKUlT_T0_E_clISt17integral_constantIbLb0EESU_EEDaSP_SQ_EUlSP_E0_NS1_11comp_targetILNS1_3genE8ELNS1_11target_archE1030ELNS1_3gpuE2ELNS1_3repE0EEENS1_30default_config_static_selectorELNS0_4arch9wavefront6targetE1EEEvT1_,"axG",@progbits,_ZN7rocprim17ROCPRIM_400000_NS6detail17trampoline_kernelINS0_14default_configENS1_20scan_config_selectorItEEZZNS1_9scan_implILNS1_25lookback_scan_determinismE0ELb1ELb1ES3_N6thrust23THRUST_200600_302600_NS6detail15normal_iteratorINS9_10device_ptrItEEEESE_t11max_functorItEtEEDaPvRmT3_T4_T5_mT6_P12ihipStream_tbENKUlT_T0_E_clISt17integral_constantIbLb0EESU_EEDaSP_SQ_EUlSP_E0_NS1_11comp_targetILNS1_3genE8ELNS1_11target_archE1030ELNS1_3gpuE2ELNS1_3repE0EEENS1_30default_config_static_selectorELNS0_4arch9wavefront6targetE1EEEvT1_,comdat
.Lfunc_end2503:
	.size	_ZN7rocprim17ROCPRIM_400000_NS6detail17trampoline_kernelINS0_14default_configENS1_20scan_config_selectorItEEZZNS1_9scan_implILNS1_25lookback_scan_determinismE0ELb1ELb1ES3_N6thrust23THRUST_200600_302600_NS6detail15normal_iteratorINS9_10device_ptrItEEEESE_t11max_functorItEtEEDaPvRmT3_T4_T5_mT6_P12ihipStream_tbENKUlT_T0_E_clISt17integral_constantIbLb0EESU_EEDaSP_SQ_EUlSP_E0_NS1_11comp_targetILNS1_3genE8ELNS1_11target_archE1030ELNS1_3gpuE2ELNS1_3repE0EEENS1_30default_config_static_selectorELNS0_4arch9wavefront6targetE1EEEvT1_, .Lfunc_end2503-_ZN7rocprim17ROCPRIM_400000_NS6detail17trampoline_kernelINS0_14default_configENS1_20scan_config_selectorItEEZZNS1_9scan_implILNS1_25lookback_scan_determinismE0ELb1ELb1ES3_N6thrust23THRUST_200600_302600_NS6detail15normal_iteratorINS9_10device_ptrItEEEESE_t11max_functorItEtEEDaPvRmT3_T4_T5_mT6_P12ihipStream_tbENKUlT_T0_E_clISt17integral_constantIbLb0EESU_EEDaSP_SQ_EUlSP_E0_NS1_11comp_targetILNS1_3genE8ELNS1_11target_archE1030ELNS1_3gpuE2ELNS1_3repE0EEENS1_30default_config_static_selectorELNS0_4arch9wavefront6targetE1EEEvT1_
                                        ; -- End function
	.section	.AMDGPU.csdata,"",@progbits
; Kernel info:
; codeLenInByte = 0
; NumSgprs: 4
; NumVgprs: 0
; NumAgprs: 0
; TotalNumVgprs: 0
; ScratchSize: 0
; MemoryBound: 0
; FloatMode: 240
; IeeeMode: 1
; LDSByteSize: 0 bytes/workgroup (compile time only)
; SGPRBlocks: 0
; VGPRBlocks: 0
; NumSGPRsForWavesPerEU: 4
; NumVGPRsForWavesPerEU: 1
; AccumOffset: 4
; Occupancy: 8
; WaveLimiterHint : 0
; COMPUTE_PGM_RSRC2:SCRATCH_EN: 0
; COMPUTE_PGM_RSRC2:USER_SGPR: 6
; COMPUTE_PGM_RSRC2:TRAP_HANDLER: 0
; COMPUTE_PGM_RSRC2:TGID_X_EN: 1
; COMPUTE_PGM_RSRC2:TGID_Y_EN: 0
; COMPUTE_PGM_RSRC2:TGID_Z_EN: 0
; COMPUTE_PGM_RSRC2:TIDIG_COMP_CNT: 0
; COMPUTE_PGM_RSRC3_GFX90A:ACCUM_OFFSET: 0
; COMPUTE_PGM_RSRC3_GFX90A:TG_SPLIT: 0
	.section	.text._ZN7rocprim17ROCPRIM_400000_NS6detail17trampoline_kernelINS0_14default_configENS1_20scan_config_selectorItEEZZNS1_9scan_implILNS1_25lookback_scan_determinismE0ELb1ELb1ES3_N6thrust23THRUST_200600_302600_NS6detail15normal_iteratorINS9_10device_ptrItEEEESE_t11max_functorItEtEEDaPvRmT3_T4_T5_mT6_P12ihipStream_tbENKUlT_T0_E_clISt17integral_constantIbLb1EESU_EEDaSP_SQ_EUlSP_E_NS1_11comp_targetILNS1_3genE0ELNS1_11target_archE4294967295ELNS1_3gpuE0ELNS1_3repE0EEENS1_30default_config_static_selectorELNS0_4arch9wavefront6targetE1EEEvT1_,"axG",@progbits,_ZN7rocprim17ROCPRIM_400000_NS6detail17trampoline_kernelINS0_14default_configENS1_20scan_config_selectorItEEZZNS1_9scan_implILNS1_25lookback_scan_determinismE0ELb1ELb1ES3_N6thrust23THRUST_200600_302600_NS6detail15normal_iteratorINS9_10device_ptrItEEEESE_t11max_functorItEtEEDaPvRmT3_T4_T5_mT6_P12ihipStream_tbENKUlT_T0_E_clISt17integral_constantIbLb1EESU_EEDaSP_SQ_EUlSP_E_NS1_11comp_targetILNS1_3genE0ELNS1_11target_archE4294967295ELNS1_3gpuE0ELNS1_3repE0EEENS1_30default_config_static_selectorELNS0_4arch9wavefront6targetE1EEEvT1_,comdat
	.protected	_ZN7rocprim17ROCPRIM_400000_NS6detail17trampoline_kernelINS0_14default_configENS1_20scan_config_selectorItEEZZNS1_9scan_implILNS1_25lookback_scan_determinismE0ELb1ELb1ES3_N6thrust23THRUST_200600_302600_NS6detail15normal_iteratorINS9_10device_ptrItEEEESE_t11max_functorItEtEEDaPvRmT3_T4_T5_mT6_P12ihipStream_tbENKUlT_T0_E_clISt17integral_constantIbLb1EESU_EEDaSP_SQ_EUlSP_E_NS1_11comp_targetILNS1_3genE0ELNS1_11target_archE4294967295ELNS1_3gpuE0ELNS1_3repE0EEENS1_30default_config_static_selectorELNS0_4arch9wavefront6targetE1EEEvT1_ ; -- Begin function _ZN7rocprim17ROCPRIM_400000_NS6detail17trampoline_kernelINS0_14default_configENS1_20scan_config_selectorItEEZZNS1_9scan_implILNS1_25lookback_scan_determinismE0ELb1ELb1ES3_N6thrust23THRUST_200600_302600_NS6detail15normal_iteratorINS9_10device_ptrItEEEESE_t11max_functorItEtEEDaPvRmT3_T4_T5_mT6_P12ihipStream_tbENKUlT_T0_E_clISt17integral_constantIbLb1EESU_EEDaSP_SQ_EUlSP_E_NS1_11comp_targetILNS1_3genE0ELNS1_11target_archE4294967295ELNS1_3gpuE0ELNS1_3repE0EEENS1_30default_config_static_selectorELNS0_4arch9wavefront6targetE1EEEvT1_
	.globl	_ZN7rocprim17ROCPRIM_400000_NS6detail17trampoline_kernelINS0_14default_configENS1_20scan_config_selectorItEEZZNS1_9scan_implILNS1_25lookback_scan_determinismE0ELb1ELb1ES3_N6thrust23THRUST_200600_302600_NS6detail15normal_iteratorINS9_10device_ptrItEEEESE_t11max_functorItEtEEDaPvRmT3_T4_T5_mT6_P12ihipStream_tbENKUlT_T0_E_clISt17integral_constantIbLb1EESU_EEDaSP_SQ_EUlSP_E_NS1_11comp_targetILNS1_3genE0ELNS1_11target_archE4294967295ELNS1_3gpuE0ELNS1_3repE0EEENS1_30default_config_static_selectorELNS0_4arch9wavefront6targetE1EEEvT1_
	.p2align	8
	.type	_ZN7rocprim17ROCPRIM_400000_NS6detail17trampoline_kernelINS0_14default_configENS1_20scan_config_selectorItEEZZNS1_9scan_implILNS1_25lookback_scan_determinismE0ELb1ELb1ES3_N6thrust23THRUST_200600_302600_NS6detail15normal_iteratorINS9_10device_ptrItEEEESE_t11max_functorItEtEEDaPvRmT3_T4_T5_mT6_P12ihipStream_tbENKUlT_T0_E_clISt17integral_constantIbLb1EESU_EEDaSP_SQ_EUlSP_E_NS1_11comp_targetILNS1_3genE0ELNS1_11target_archE4294967295ELNS1_3gpuE0ELNS1_3repE0EEENS1_30default_config_static_selectorELNS0_4arch9wavefront6targetE1EEEvT1_,@function
_ZN7rocprim17ROCPRIM_400000_NS6detail17trampoline_kernelINS0_14default_configENS1_20scan_config_selectorItEEZZNS1_9scan_implILNS1_25lookback_scan_determinismE0ELb1ELb1ES3_N6thrust23THRUST_200600_302600_NS6detail15normal_iteratorINS9_10device_ptrItEEEESE_t11max_functorItEtEEDaPvRmT3_T4_T5_mT6_P12ihipStream_tbENKUlT_T0_E_clISt17integral_constantIbLb1EESU_EEDaSP_SQ_EUlSP_E_NS1_11comp_targetILNS1_3genE0ELNS1_11target_archE4294967295ELNS1_3gpuE0ELNS1_3repE0EEENS1_30default_config_static_selectorELNS0_4arch9wavefront6targetE1EEEvT1_: ; @_ZN7rocprim17ROCPRIM_400000_NS6detail17trampoline_kernelINS0_14default_configENS1_20scan_config_selectorItEEZZNS1_9scan_implILNS1_25lookback_scan_determinismE0ELb1ELb1ES3_N6thrust23THRUST_200600_302600_NS6detail15normal_iteratorINS9_10device_ptrItEEEESE_t11max_functorItEtEEDaPvRmT3_T4_T5_mT6_P12ihipStream_tbENKUlT_T0_E_clISt17integral_constantIbLb1EESU_EEDaSP_SQ_EUlSP_E_NS1_11comp_targetILNS1_3genE0ELNS1_11target_archE4294967295ELNS1_3gpuE0ELNS1_3repE0EEENS1_30default_config_static_selectorELNS0_4arch9wavefront6targetE1EEEvT1_
; %bb.0:
	.section	.rodata,"a",@progbits
	.p2align	6, 0x0
	.amdhsa_kernel _ZN7rocprim17ROCPRIM_400000_NS6detail17trampoline_kernelINS0_14default_configENS1_20scan_config_selectorItEEZZNS1_9scan_implILNS1_25lookback_scan_determinismE0ELb1ELb1ES3_N6thrust23THRUST_200600_302600_NS6detail15normal_iteratorINS9_10device_ptrItEEEESE_t11max_functorItEtEEDaPvRmT3_T4_T5_mT6_P12ihipStream_tbENKUlT_T0_E_clISt17integral_constantIbLb1EESU_EEDaSP_SQ_EUlSP_E_NS1_11comp_targetILNS1_3genE0ELNS1_11target_archE4294967295ELNS1_3gpuE0ELNS1_3repE0EEENS1_30default_config_static_selectorELNS0_4arch9wavefront6targetE1EEEvT1_
		.amdhsa_group_segment_fixed_size 0
		.amdhsa_private_segment_fixed_size 0
		.amdhsa_kernarg_size 96
		.amdhsa_user_sgpr_count 6
		.amdhsa_user_sgpr_private_segment_buffer 1
		.amdhsa_user_sgpr_dispatch_ptr 0
		.amdhsa_user_sgpr_queue_ptr 0
		.amdhsa_user_sgpr_kernarg_segment_ptr 1
		.amdhsa_user_sgpr_dispatch_id 0
		.amdhsa_user_sgpr_flat_scratch_init 0
		.amdhsa_user_sgpr_kernarg_preload_length 0
		.amdhsa_user_sgpr_kernarg_preload_offset 0
		.amdhsa_user_sgpr_private_segment_size 0
		.amdhsa_uses_dynamic_stack 0
		.amdhsa_system_sgpr_private_segment_wavefront_offset 0
		.amdhsa_system_sgpr_workgroup_id_x 1
		.amdhsa_system_sgpr_workgroup_id_y 0
		.amdhsa_system_sgpr_workgroup_id_z 0
		.amdhsa_system_sgpr_workgroup_info 0
		.amdhsa_system_vgpr_workitem_id 0
		.amdhsa_next_free_vgpr 1
		.amdhsa_next_free_sgpr 0
		.amdhsa_accum_offset 4
		.amdhsa_reserve_vcc 0
		.amdhsa_reserve_flat_scratch 0
		.amdhsa_float_round_mode_32 0
		.amdhsa_float_round_mode_16_64 0
		.amdhsa_float_denorm_mode_32 3
		.amdhsa_float_denorm_mode_16_64 3
		.amdhsa_dx10_clamp 1
		.amdhsa_ieee_mode 1
		.amdhsa_fp16_overflow 0
		.amdhsa_tg_split 0
		.amdhsa_exception_fp_ieee_invalid_op 0
		.amdhsa_exception_fp_denorm_src 0
		.amdhsa_exception_fp_ieee_div_zero 0
		.amdhsa_exception_fp_ieee_overflow 0
		.amdhsa_exception_fp_ieee_underflow 0
		.amdhsa_exception_fp_ieee_inexact 0
		.amdhsa_exception_int_div_zero 0
	.end_amdhsa_kernel
	.section	.text._ZN7rocprim17ROCPRIM_400000_NS6detail17trampoline_kernelINS0_14default_configENS1_20scan_config_selectorItEEZZNS1_9scan_implILNS1_25lookback_scan_determinismE0ELb1ELb1ES3_N6thrust23THRUST_200600_302600_NS6detail15normal_iteratorINS9_10device_ptrItEEEESE_t11max_functorItEtEEDaPvRmT3_T4_T5_mT6_P12ihipStream_tbENKUlT_T0_E_clISt17integral_constantIbLb1EESU_EEDaSP_SQ_EUlSP_E_NS1_11comp_targetILNS1_3genE0ELNS1_11target_archE4294967295ELNS1_3gpuE0ELNS1_3repE0EEENS1_30default_config_static_selectorELNS0_4arch9wavefront6targetE1EEEvT1_,"axG",@progbits,_ZN7rocprim17ROCPRIM_400000_NS6detail17trampoline_kernelINS0_14default_configENS1_20scan_config_selectorItEEZZNS1_9scan_implILNS1_25lookback_scan_determinismE0ELb1ELb1ES3_N6thrust23THRUST_200600_302600_NS6detail15normal_iteratorINS9_10device_ptrItEEEESE_t11max_functorItEtEEDaPvRmT3_T4_T5_mT6_P12ihipStream_tbENKUlT_T0_E_clISt17integral_constantIbLb1EESU_EEDaSP_SQ_EUlSP_E_NS1_11comp_targetILNS1_3genE0ELNS1_11target_archE4294967295ELNS1_3gpuE0ELNS1_3repE0EEENS1_30default_config_static_selectorELNS0_4arch9wavefront6targetE1EEEvT1_,comdat
.Lfunc_end2504:
	.size	_ZN7rocprim17ROCPRIM_400000_NS6detail17trampoline_kernelINS0_14default_configENS1_20scan_config_selectorItEEZZNS1_9scan_implILNS1_25lookback_scan_determinismE0ELb1ELb1ES3_N6thrust23THRUST_200600_302600_NS6detail15normal_iteratorINS9_10device_ptrItEEEESE_t11max_functorItEtEEDaPvRmT3_T4_T5_mT6_P12ihipStream_tbENKUlT_T0_E_clISt17integral_constantIbLb1EESU_EEDaSP_SQ_EUlSP_E_NS1_11comp_targetILNS1_3genE0ELNS1_11target_archE4294967295ELNS1_3gpuE0ELNS1_3repE0EEENS1_30default_config_static_selectorELNS0_4arch9wavefront6targetE1EEEvT1_, .Lfunc_end2504-_ZN7rocprim17ROCPRIM_400000_NS6detail17trampoline_kernelINS0_14default_configENS1_20scan_config_selectorItEEZZNS1_9scan_implILNS1_25lookback_scan_determinismE0ELb1ELb1ES3_N6thrust23THRUST_200600_302600_NS6detail15normal_iteratorINS9_10device_ptrItEEEESE_t11max_functorItEtEEDaPvRmT3_T4_T5_mT6_P12ihipStream_tbENKUlT_T0_E_clISt17integral_constantIbLb1EESU_EEDaSP_SQ_EUlSP_E_NS1_11comp_targetILNS1_3genE0ELNS1_11target_archE4294967295ELNS1_3gpuE0ELNS1_3repE0EEENS1_30default_config_static_selectorELNS0_4arch9wavefront6targetE1EEEvT1_
                                        ; -- End function
	.section	.AMDGPU.csdata,"",@progbits
; Kernel info:
; codeLenInByte = 0
; NumSgprs: 4
; NumVgprs: 0
; NumAgprs: 0
; TotalNumVgprs: 0
; ScratchSize: 0
; MemoryBound: 0
; FloatMode: 240
; IeeeMode: 1
; LDSByteSize: 0 bytes/workgroup (compile time only)
; SGPRBlocks: 0
; VGPRBlocks: 0
; NumSGPRsForWavesPerEU: 4
; NumVGPRsForWavesPerEU: 1
; AccumOffset: 4
; Occupancy: 8
; WaveLimiterHint : 0
; COMPUTE_PGM_RSRC2:SCRATCH_EN: 0
; COMPUTE_PGM_RSRC2:USER_SGPR: 6
; COMPUTE_PGM_RSRC2:TRAP_HANDLER: 0
; COMPUTE_PGM_RSRC2:TGID_X_EN: 1
; COMPUTE_PGM_RSRC2:TGID_Y_EN: 0
; COMPUTE_PGM_RSRC2:TGID_Z_EN: 0
; COMPUTE_PGM_RSRC2:TIDIG_COMP_CNT: 0
; COMPUTE_PGM_RSRC3_GFX90A:ACCUM_OFFSET: 0
; COMPUTE_PGM_RSRC3_GFX90A:TG_SPLIT: 0
	.section	.text._ZN7rocprim17ROCPRIM_400000_NS6detail17trampoline_kernelINS0_14default_configENS1_20scan_config_selectorItEEZZNS1_9scan_implILNS1_25lookback_scan_determinismE0ELb1ELb1ES3_N6thrust23THRUST_200600_302600_NS6detail15normal_iteratorINS9_10device_ptrItEEEESE_t11max_functorItEtEEDaPvRmT3_T4_T5_mT6_P12ihipStream_tbENKUlT_T0_E_clISt17integral_constantIbLb1EESU_EEDaSP_SQ_EUlSP_E_NS1_11comp_targetILNS1_3genE5ELNS1_11target_archE942ELNS1_3gpuE9ELNS1_3repE0EEENS1_30default_config_static_selectorELNS0_4arch9wavefront6targetE1EEEvT1_,"axG",@progbits,_ZN7rocprim17ROCPRIM_400000_NS6detail17trampoline_kernelINS0_14default_configENS1_20scan_config_selectorItEEZZNS1_9scan_implILNS1_25lookback_scan_determinismE0ELb1ELb1ES3_N6thrust23THRUST_200600_302600_NS6detail15normal_iteratorINS9_10device_ptrItEEEESE_t11max_functorItEtEEDaPvRmT3_T4_T5_mT6_P12ihipStream_tbENKUlT_T0_E_clISt17integral_constantIbLb1EESU_EEDaSP_SQ_EUlSP_E_NS1_11comp_targetILNS1_3genE5ELNS1_11target_archE942ELNS1_3gpuE9ELNS1_3repE0EEENS1_30default_config_static_selectorELNS0_4arch9wavefront6targetE1EEEvT1_,comdat
	.protected	_ZN7rocprim17ROCPRIM_400000_NS6detail17trampoline_kernelINS0_14default_configENS1_20scan_config_selectorItEEZZNS1_9scan_implILNS1_25lookback_scan_determinismE0ELb1ELb1ES3_N6thrust23THRUST_200600_302600_NS6detail15normal_iteratorINS9_10device_ptrItEEEESE_t11max_functorItEtEEDaPvRmT3_T4_T5_mT6_P12ihipStream_tbENKUlT_T0_E_clISt17integral_constantIbLb1EESU_EEDaSP_SQ_EUlSP_E_NS1_11comp_targetILNS1_3genE5ELNS1_11target_archE942ELNS1_3gpuE9ELNS1_3repE0EEENS1_30default_config_static_selectorELNS0_4arch9wavefront6targetE1EEEvT1_ ; -- Begin function _ZN7rocprim17ROCPRIM_400000_NS6detail17trampoline_kernelINS0_14default_configENS1_20scan_config_selectorItEEZZNS1_9scan_implILNS1_25lookback_scan_determinismE0ELb1ELb1ES3_N6thrust23THRUST_200600_302600_NS6detail15normal_iteratorINS9_10device_ptrItEEEESE_t11max_functorItEtEEDaPvRmT3_T4_T5_mT6_P12ihipStream_tbENKUlT_T0_E_clISt17integral_constantIbLb1EESU_EEDaSP_SQ_EUlSP_E_NS1_11comp_targetILNS1_3genE5ELNS1_11target_archE942ELNS1_3gpuE9ELNS1_3repE0EEENS1_30default_config_static_selectorELNS0_4arch9wavefront6targetE1EEEvT1_
	.globl	_ZN7rocprim17ROCPRIM_400000_NS6detail17trampoline_kernelINS0_14default_configENS1_20scan_config_selectorItEEZZNS1_9scan_implILNS1_25lookback_scan_determinismE0ELb1ELb1ES3_N6thrust23THRUST_200600_302600_NS6detail15normal_iteratorINS9_10device_ptrItEEEESE_t11max_functorItEtEEDaPvRmT3_T4_T5_mT6_P12ihipStream_tbENKUlT_T0_E_clISt17integral_constantIbLb1EESU_EEDaSP_SQ_EUlSP_E_NS1_11comp_targetILNS1_3genE5ELNS1_11target_archE942ELNS1_3gpuE9ELNS1_3repE0EEENS1_30default_config_static_selectorELNS0_4arch9wavefront6targetE1EEEvT1_
	.p2align	8
	.type	_ZN7rocprim17ROCPRIM_400000_NS6detail17trampoline_kernelINS0_14default_configENS1_20scan_config_selectorItEEZZNS1_9scan_implILNS1_25lookback_scan_determinismE0ELb1ELb1ES3_N6thrust23THRUST_200600_302600_NS6detail15normal_iteratorINS9_10device_ptrItEEEESE_t11max_functorItEtEEDaPvRmT3_T4_T5_mT6_P12ihipStream_tbENKUlT_T0_E_clISt17integral_constantIbLb1EESU_EEDaSP_SQ_EUlSP_E_NS1_11comp_targetILNS1_3genE5ELNS1_11target_archE942ELNS1_3gpuE9ELNS1_3repE0EEENS1_30default_config_static_selectorELNS0_4arch9wavefront6targetE1EEEvT1_,@function
_ZN7rocprim17ROCPRIM_400000_NS6detail17trampoline_kernelINS0_14default_configENS1_20scan_config_selectorItEEZZNS1_9scan_implILNS1_25lookback_scan_determinismE0ELb1ELb1ES3_N6thrust23THRUST_200600_302600_NS6detail15normal_iteratorINS9_10device_ptrItEEEESE_t11max_functorItEtEEDaPvRmT3_T4_T5_mT6_P12ihipStream_tbENKUlT_T0_E_clISt17integral_constantIbLb1EESU_EEDaSP_SQ_EUlSP_E_NS1_11comp_targetILNS1_3genE5ELNS1_11target_archE942ELNS1_3gpuE9ELNS1_3repE0EEENS1_30default_config_static_selectorELNS0_4arch9wavefront6targetE1EEEvT1_: ; @_ZN7rocprim17ROCPRIM_400000_NS6detail17trampoline_kernelINS0_14default_configENS1_20scan_config_selectorItEEZZNS1_9scan_implILNS1_25lookback_scan_determinismE0ELb1ELb1ES3_N6thrust23THRUST_200600_302600_NS6detail15normal_iteratorINS9_10device_ptrItEEEESE_t11max_functorItEtEEDaPvRmT3_T4_T5_mT6_P12ihipStream_tbENKUlT_T0_E_clISt17integral_constantIbLb1EESU_EEDaSP_SQ_EUlSP_E_NS1_11comp_targetILNS1_3genE5ELNS1_11target_archE942ELNS1_3gpuE9ELNS1_3repE0EEENS1_30default_config_static_selectorELNS0_4arch9wavefront6targetE1EEEvT1_
; %bb.0:
	.section	.rodata,"a",@progbits
	.p2align	6, 0x0
	.amdhsa_kernel _ZN7rocprim17ROCPRIM_400000_NS6detail17trampoline_kernelINS0_14default_configENS1_20scan_config_selectorItEEZZNS1_9scan_implILNS1_25lookback_scan_determinismE0ELb1ELb1ES3_N6thrust23THRUST_200600_302600_NS6detail15normal_iteratorINS9_10device_ptrItEEEESE_t11max_functorItEtEEDaPvRmT3_T4_T5_mT6_P12ihipStream_tbENKUlT_T0_E_clISt17integral_constantIbLb1EESU_EEDaSP_SQ_EUlSP_E_NS1_11comp_targetILNS1_3genE5ELNS1_11target_archE942ELNS1_3gpuE9ELNS1_3repE0EEENS1_30default_config_static_selectorELNS0_4arch9wavefront6targetE1EEEvT1_
		.amdhsa_group_segment_fixed_size 0
		.amdhsa_private_segment_fixed_size 0
		.amdhsa_kernarg_size 96
		.amdhsa_user_sgpr_count 6
		.amdhsa_user_sgpr_private_segment_buffer 1
		.amdhsa_user_sgpr_dispatch_ptr 0
		.amdhsa_user_sgpr_queue_ptr 0
		.amdhsa_user_sgpr_kernarg_segment_ptr 1
		.amdhsa_user_sgpr_dispatch_id 0
		.amdhsa_user_sgpr_flat_scratch_init 0
		.amdhsa_user_sgpr_kernarg_preload_length 0
		.amdhsa_user_sgpr_kernarg_preload_offset 0
		.amdhsa_user_sgpr_private_segment_size 0
		.amdhsa_uses_dynamic_stack 0
		.amdhsa_system_sgpr_private_segment_wavefront_offset 0
		.amdhsa_system_sgpr_workgroup_id_x 1
		.amdhsa_system_sgpr_workgroup_id_y 0
		.amdhsa_system_sgpr_workgroup_id_z 0
		.amdhsa_system_sgpr_workgroup_info 0
		.amdhsa_system_vgpr_workitem_id 0
		.amdhsa_next_free_vgpr 1
		.amdhsa_next_free_sgpr 0
		.amdhsa_accum_offset 4
		.amdhsa_reserve_vcc 0
		.amdhsa_reserve_flat_scratch 0
		.amdhsa_float_round_mode_32 0
		.amdhsa_float_round_mode_16_64 0
		.amdhsa_float_denorm_mode_32 3
		.amdhsa_float_denorm_mode_16_64 3
		.amdhsa_dx10_clamp 1
		.amdhsa_ieee_mode 1
		.amdhsa_fp16_overflow 0
		.amdhsa_tg_split 0
		.amdhsa_exception_fp_ieee_invalid_op 0
		.amdhsa_exception_fp_denorm_src 0
		.amdhsa_exception_fp_ieee_div_zero 0
		.amdhsa_exception_fp_ieee_overflow 0
		.amdhsa_exception_fp_ieee_underflow 0
		.amdhsa_exception_fp_ieee_inexact 0
		.amdhsa_exception_int_div_zero 0
	.end_amdhsa_kernel
	.section	.text._ZN7rocprim17ROCPRIM_400000_NS6detail17trampoline_kernelINS0_14default_configENS1_20scan_config_selectorItEEZZNS1_9scan_implILNS1_25lookback_scan_determinismE0ELb1ELb1ES3_N6thrust23THRUST_200600_302600_NS6detail15normal_iteratorINS9_10device_ptrItEEEESE_t11max_functorItEtEEDaPvRmT3_T4_T5_mT6_P12ihipStream_tbENKUlT_T0_E_clISt17integral_constantIbLb1EESU_EEDaSP_SQ_EUlSP_E_NS1_11comp_targetILNS1_3genE5ELNS1_11target_archE942ELNS1_3gpuE9ELNS1_3repE0EEENS1_30default_config_static_selectorELNS0_4arch9wavefront6targetE1EEEvT1_,"axG",@progbits,_ZN7rocprim17ROCPRIM_400000_NS6detail17trampoline_kernelINS0_14default_configENS1_20scan_config_selectorItEEZZNS1_9scan_implILNS1_25lookback_scan_determinismE0ELb1ELb1ES3_N6thrust23THRUST_200600_302600_NS6detail15normal_iteratorINS9_10device_ptrItEEEESE_t11max_functorItEtEEDaPvRmT3_T4_T5_mT6_P12ihipStream_tbENKUlT_T0_E_clISt17integral_constantIbLb1EESU_EEDaSP_SQ_EUlSP_E_NS1_11comp_targetILNS1_3genE5ELNS1_11target_archE942ELNS1_3gpuE9ELNS1_3repE0EEENS1_30default_config_static_selectorELNS0_4arch9wavefront6targetE1EEEvT1_,comdat
.Lfunc_end2505:
	.size	_ZN7rocprim17ROCPRIM_400000_NS6detail17trampoline_kernelINS0_14default_configENS1_20scan_config_selectorItEEZZNS1_9scan_implILNS1_25lookback_scan_determinismE0ELb1ELb1ES3_N6thrust23THRUST_200600_302600_NS6detail15normal_iteratorINS9_10device_ptrItEEEESE_t11max_functorItEtEEDaPvRmT3_T4_T5_mT6_P12ihipStream_tbENKUlT_T0_E_clISt17integral_constantIbLb1EESU_EEDaSP_SQ_EUlSP_E_NS1_11comp_targetILNS1_3genE5ELNS1_11target_archE942ELNS1_3gpuE9ELNS1_3repE0EEENS1_30default_config_static_selectorELNS0_4arch9wavefront6targetE1EEEvT1_, .Lfunc_end2505-_ZN7rocprim17ROCPRIM_400000_NS6detail17trampoline_kernelINS0_14default_configENS1_20scan_config_selectorItEEZZNS1_9scan_implILNS1_25lookback_scan_determinismE0ELb1ELb1ES3_N6thrust23THRUST_200600_302600_NS6detail15normal_iteratorINS9_10device_ptrItEEEESE_t11max_functorItEtEEDaPvRmT3_T4_T5_mT6_P12ihipStream_tbENKUlT_T0_E_clISt17integral_constantIbLb1EESU_EEDaSP_SQ_EUlSP_E_NS1_11comp_targetILNS1_3genE5ELNS1_11target_archE942ELNS1_3gpuE9ELNS1_3repE0EEENS1_30default_config_static_selectorELNS0_4arch9wavefront6targetE1EEEvT1_
                                        ; -- End function
	.section	.AMDGPU.csdata,"",@progbits
; Kernel info:
; codeLenInByte = 0
; NumSgprs: 4
; NumVgprs: 0
; NumAgprs: 0
; TotalNumVgprs: 0
; ScratchSize: 0
; MemoryBound: 0
; FloatMode: 240
; IeeeMode: 1
; LDSByteSize: 0 bytes/workgroup (compile time only)
; SGPRBlocks: 0
; VGPRBlocks: 0
; NumSGPRsForWavesPerEU: 4
; NumVGPRsForWavesPerEU: 1
; AccumOffset: 4
; Occupancy: 8
; WaveLimiterHint : 0
; COMPUTE_PGM_RSRC2:SCRATCH_EN: 0
; COMPUTE_PGM_RSRC2:USER_SGPR: 6
; COMPUTE_PGM_RSRC2:TRAP_HANDLER: 0
; COMPUTE_PGM_RSRC2:TGID_X_EN: 1
; COMPUTE_PGM_RSRC2:TGID_Y_EN: 0
; COMPUTE_PGM_RSRC2:TGID_Z_EN: 0
; COMPUTE_PGM_RSRC2:TIDIG_COMP_CNT: 0
; COMPUTE_PGM_RSRC3_GFX90A:ACCUM_OFFSET: 0
; COMPUTE_PGM_RSRC3_GFX90A:TG_SPLIT: 0
	.section	.text._ZN7rocprim17ROCPRIM_400000_NS6detail17trampoline_kernelINS0_14default_configENS1_20scan_config_selectorItEEZZNS1_9scan_implILNS1_25lookback_scan_determinismE0ELb1ELb1ES3_N6thrust23THRUST_200600_302600_NS6detail15normal_iteratorINS9_10device_ptrItEEEESE_t11max_functorItEtEEDaPvRmT3_T4_T5_mT6_P12ihipStream_tbENKUlT_T0_E_clISt17integral_constantIbLb1EESU_EEDaSP_SQ_EUlSP_E_NS1_11comp_targetILNS1_3genE4ELNS1_11target_archE910ELNS1_3gpuE8ELNS1_3repE0EEENS1_30default_config_static_selectorELNS0_4arch9wavefront6targetE1EEEvT1_,"axG",@progbits,_ZN7rocprim17ROCPRIM_400000_NS6detail17trampoline_kernelINS0_14default_configENS1_20scan_config_selectorItEEZZNS1_9scan_implILNS1_25lookback_scan_determinismE0ELb1ELb1ES3_N6thrust23THRUST_200600_302600_NS6detail15normal_iteratorINS9_10device_ptrItEEEESE_t11max_functorItEtEEDaPvRmT3_T4_T5_mT6_P12ihipStream_tbENKUlT_T0_E_clISt17integral_constantIbLb1EESU_EEDaSP_SQ_EUlSP_E_NS1_11comp_targetILNS1_3genE4ELNS1_11target_archE910ELNS1_3gpuE8ELNS1_3repE0EEENS1_30default_config_static_selectorELNS0_4arch9wavefront6targetE1EEEvT1_,comdat
	.protected	_ZN7rocprim17ROCPRIM_400000_NS6detail17trampoline_kernelINS0_14default_configENS1_20scan_config_selectorItEEZZNS1_9scan_implILNS1_25lookback_scan_determinismE0ELb1ELb1ES3_N6thrust23THRUST_200600_302600_NS6detail15normal_iteratorINS9_10device_ptrItEEEESE_t11max_functorItEtEEDaPvRmT3_T4_T5_mT6_P12ihipStream_tbENKUlT_T0_E_clISt17integral_constantIbLb1EESU_EEDaSP_SQ_EUlSP_E_NS1_11comp_targetILNS1_3genE4ELNS1_11target_archE910ELNS1_3gpuE8ELNS1_3repE0EEENS1_30default_config_static_selectorELNS0_4arch9wavefront6targetE1EEEvT1_ ; -- Begin function _ZN7rocprim17ROCPRIM_400000_NS6detail17trampoline_kernelINS0_14default_configENS1_20scan_config_selectorItEEZZNS1_9scan_implILNS1_25lookback_scan_determinismE0ELb1ELb1ES3_N6thrust23THRUST_200600_302600_NS6detail15normal_iteratorINS9_10device_ptrItEEEESE_t11max_functorItEtEEDaPvRmT3_T4_T5_mT6_P12ihipStream_tbENKUlT_T0_E_clISt17integral_constantIbLb1EESU_EEDaSP_SQ_EUlSP_E_NS1_11comp_targetILNS1_3genE4ELNS1_11target_archE910ELNS1_3gpuE8ELNS1_3repE0EEENS1_30default_config_static_selectorELNS0_4arch9wavefront6targetE1EEEvT1_
	.globl	_ZN7rocprim17ROCPRIM_400000_NS6detail17trampoline_kernelINS0_14default_configENS1_20scan_config_selectorItEEZZNS1_9scan_implILNS1_25lookback_scan_determinismE0ELb1ELb1ES3_N6thrust23THRUST_200600_302600_NS6detail15normal_iteratorINS9_10device_ptrItEEEESE_t11max_functorItEtEEDaPvRmT3_T4_T5_mT6_P12ihipStream_tbENKUlT_T0_E_clISt17integral_constantIbLb1EESU_EEDaSP_SQ_EUlSP_E_NS1_11comp_targetILNS1_3genE4ELNS1_11target_archE910ELNS1_3gpuE8ELNS1_3repE0EEENS1_30default_config_static_selectorELNS0_4arch9wavefront6targetE1EEEvT1_
	.p2align	8
	.type	_ZN7rocprim17ROCPRIM_400000_NS6detail17trampoline_kernelINS0_14default_configENS1_20scan_config_selectorItEEZZNS1_9scan_implILNS1_25lookback_scan_determinismE0ELb1ELb1ES3_N6thrust23THRUST_200600_302600_NS6detail15normal_iteratorINS9_10device_ptrItEEEESE_t11max_functorItEtEEDaPvRmT3_T4_T5_mT6_P12ihipStream_tbENKUlT_T0_E_clISt17integral_constantIbLb1EESU_EEDaSP_SQ_EUlSP_E_NS1_11comp_targetILNS1_3genE4ELNS1_11target_archE910ELNS1_3gpuE8ELNS1_3repE0EEENS1_30default_config_static_selectorELNS0_4arch9wavefront6targetE1EEEvT1_,@function
_ZN7rocprim17ROCPRIM_400000_NS6detail17trampoline_kernelINS0_14default_configENS1_20scan_config_selectorItEEZZNS1_9scan_implILNS1_25lookback_scan_determinismE0ELb1ELb1ES3_N6thrust23THRUST_200600_302600_NS6detail15normal_iteratorINS9_10device_ptrItEEEESE_t11max_functorItEtEEDaPvRmT3_T4_T5_mT6_P12ihipStream_tbENKUlT_T0_E_clISt17integral_constantIbLb1EESU_EEDaSP_SQ_EUlSP_E_NS1_11comp_targetILNS1_3genE4ELNS1_11target_archE910ELNS1_3gpuE8ELNS1_3repE0EEENS1_30default_config_static_selectorELNS0_4arch9wavefront6targetE1EEEvT1_: ; @_ZN7rocprim17ROCPRIM_400000_NS6detail17trampoline_kernelINS0_14default_configENS1_20scan_config_selectorItEEZZNS1_9scan_implILNS1_25lookback_scan_determinismE0ELb1ELb1ES3_N6thrust23THRUST_200600_302600_NS6detail15normal_iteratorINS9_10device_ptrItEEEESE_t11max_functorItEtEEDaPvRmT3_T4_T5_mT6_P12ihipStream_tbENKUlT_T0_E_clISt17integral_constantIbLb1EESU_EEDaSP_SQ_EUlSP_E_NS1_11comp_targetILNS1_3genE4ELNS1_11target_archE910ELNS1_3gpuE8ELNS1_3repE0EEENS1_30default_config_static_selectorELNS0_4arch9wavefront6targetE1EEEvT1_
; %bb.0:
	s_load_dword s35, s[4:5], 0x20
	s_load_dwordx2 s[28:29], s[4:5], 0x28
	v_cmp_eq_u32_e64 s[0:1], 0, v0
	s_and_saveexec_b64 s[2:3], s[0:1]
	s_cbranch_execz .LBB2506_4
; %bb.1:
	s_mov_b64 s[8:9], exec
	v_mbcnt_lo_u32_b32 v1, s8, 0
	v_mbcnt_hi_u32_b32 v1, s9, v1
	v_cmp_eq_u32_e32 vcc, 0, v1
                                        ; implicit-def: $vgpr2
	s_and_saveexec_b64 s[6:7], vcc
	s_cbranch_execz .LBB2506_3
; %bb.2:
	s_load_dwordx2 s[10:11], s[4:5], 0x58
	s_bcnt1_i32_b64 s8, s[8:9]
	v_mov_b32_e32 v2, 0
	v_mov_b32_e32 v3, s8
	s_waitcnt lgkmcnt(0)
	global_atomic_add v2, v2, v3, s[10:11] glc
.LBB2506_3:
	s_or_b64 exec, exec, s[6:7]
	s_waitcnt vmcnt(0)
	v_readfirstlane_b32 s6, v2
	v_add_u32_e32 v1, s6, v1
	v_mov_b32_e32 v2, 0
	ds_write_b32 v2, v1
.LBB2506_4:
	s_or_b64 exec, exec, s[2:3]
	s_load_dwordx8 s[20:27], s[4:5], 0x0
	s_load_dword s2, s[4:5], 0x30
	s_load_dwordx8 s[12:19], s[4:5], 0x38
	v_mov_b32_e32 v1, 0
	s_waitcnt lgkmcnt(0)
	; wave barrier
	s_waitcnt lgkmcnt(0)
	ds_read_b32 v1, v1
	s_lshl_b64 s[22:23], s[22:23], 1
	s_add_u32 s36, s20, s22
	s_addc_u32 s37, s21, s23
	s_add_i32 s2, s2, -1
	s_mul_i32 s3, s2, 0x600
	s_sub_u32 s33, s26, s3
	s_waitcnt lgkmcnt(0)
	v_readfirstlane_b32 s38, v1
	s_subb_u32 s34, s27, 0
	s_mul_i32 s4, s38, 0x600
	s_mov_b32 s5, 0
	s_cmp_lg_u32 s38, s2
	s_cselect_b64 s[20:21], -1, 0
	s_lshl_b64 s[26:27], s[4:5], 1
	s_add_u32 s4, s36, s26
	s_addc_u32 s5, s37, s27
	s_mov_b64 s[2:3], -1
	s_and_b64 vcc, exec, s[20:21]
	v_lshlrev_b32_e32 v20, 1, v0
	s_waitcnt lgkmcnt(0)
	; wave barrier
	s_cbranch_vccz .LBB2506_6
; %bb.5:
	v_mov_b32_e32 v1, s5
	v_add_co_u32_e32 v2, vcc, s4, v20
	v_addc_co_u32_e32 v3, vcc, 0, v1, vcc
	flat_load_ushort v1, v[2:3]
	flat_load_ushort v4, v[2:3] offset:128
	flat_load_ushort v5, v[2:3] offset:256
	;; [unrolled: 1-line block ×23, first 2 shown]
	s_mov_b64 s[2:3], 0
	s_waitcnt vmcnt(0) lgkmcnt(0)
	ds_write_b16 v20, v1
	ds_write_b16 v20, v4 offset:128
	ds_write_b16 v20, v5 offset:256
	;; [unrolled: 1-line block ×23, first 2 shown]
	s_waitcnt lgkmcnt(0)
	; wave barrier
.LBB2506_6:
	s_andn2_b64 vcc, exec, s[2:3]
	v_cmp_gt_u32_e64 s[2:3], s33, v0
	s_cbranch_vccnz .LBB2506_56
; %bb.7:
	v_pk_mov_b32 v[2:3], s[4:5], s[4:5] op_sel:[0,1]
	flat_load_ushort v1, v[2:3]
	s_waitcnt vmcnt(0) lgkmcnt(0)
	v_mov_b32_e32 v2, v1
	s_and_saveexec_b64 s[6:7], s[2:3]
	s_cbranch_execz .LBB2506_9
; %bb.8:
	v_mov_b32_e32 v3, s5
	v_add_co_u32_e32 v2, vcc, s4, v20
	v_addc_co_u32_e32 v3, vcc, 0, v3, vcc
	flat_load_ushort v2, v[2:3]
.LBB2506_9:
	s_or_b64 exec, exec, s[6:7]
	v_or_b32_e32 v3, 64, v0
	v_cmp_gt_u32_e32 vcc, s33, v3
	v_mov_b32_e32 v3, v1
	s_and_saveexec_b64 s[2:3], vcc
	s_cbranch_execz .LBB2506_11
; %bb.10:
	v_mov_b32_e32 v3, s5
	v_add_co_u32_e32 v4, vcc, s4, v20
	v_addc_co_u32_e32 v5, vcc, 0, v3, vcc
	flat_load_ushort v3, v[4:5] offset:128
.LBB2506_11:
	s_or_b64 exec, exec, s[2:3]
	v_or_b32_e32 v4, 0x80, v0
	v_cmp_gt_u32_e32 vcc, s33, v4
	v_mov_b32_e32 v4, v1
	s_and_saveexec_b64 s[2:3], vcc
	s_cbranch_execz .LBB2506_13
; %bb.12:
	v_mov_b32_e32 v5, s5
	v_add_co_u32_e32 v4, vcc, s4, v20
	v_addc_co_u32_e32 v5, vcc, 0, v5, vcc
	flat_load_ushort v4, v[4:5] offset:256
.LBB2506_13:
	;; [unrolled: 12-line block ×22, first 2 shown]
	s_or_b64 exec, exec, s[2:3]
	v_or_b32_e32 v26, 0x5c0, v0
	v_cmp_gt_u32_e32 vcc, s33, v26
	s_and_saveexec_b64 s[2:3], vcc
	s_cbranch_execz .LBB2506_55
; %bb.54:
	v_mov_b32_e32 v1, s5
	v_add_co_u32_e32 v26, vcc, s4, v20
	v_addc_co_u32_e32 v27, vcc, 0, v1, vcc
	flat_load_ushort v1, v[26:27] offset:2944
.LBB2506_55:
	s_or_b64 exec, exec, s[2:3]
	s_waitcnt vmcnt(0) lgkmcnt(0)
	ds_write_b16 v20, v2
	ds_write_b16 v20, v3 offset:128
	ds_write_b16 v20, v4 offset:256
	ds_write_b16 v20, v5 offset:384
	ds_write_b16 v20, v6 offset:512
	ds_write_b16 v20, v7 offset:640
	ds_write_b16 v20, v8 offset:768
	ds_write_b16 v20, v9 offset:896
	ds_write_b16 v20, v10 offset:1024
	ds_write_b16 v20, v11 offset:1152
	ds_write_b16 v20, v12 offset:1280
	ds_write_b16 v20, v13 offset:1408
	ds_write_b16 v20, v14 offset:1536
	ds_write_b16 v20, v15 offset:1664
	ds_write_b16 v20, v16 offset:1792
	ds_write_b16 v20, v17 offset:1920
	ds_write_b16 v20, v18 offset:2048
	ds_write_b16 v20, v19 offset:2176
	ds_write_b16 v20, v21 offset:2304
	ds_write_b16 v20, v22 offset:2432
	ds_write_b16 v20, v23 offset:2560
	ds_write_b16 v20, v24 offset:2688
	ds_write_b16 v20, v25 offset:2816
	ds_write_b16 v20, v1 offset:2944
	s_waitcnt lgkmcnt(0)
	; wave barrier
.LBB2506_56:
	v_mul_u32_u24_e32 v21, 24, v0
	v_lshlrev_b32_e32 v22, 1, v21
	s_waitcnt lgkmcnt(0)
	ds_read_b128 v[10:13], v22
	ds_read_b128 v[6:9], v22 offset:16
	ds_read_b128 v[2:5], v22 offset:32
	s_cmp_lg_u32 s38, 0
	v_mbcnt_lo_u32_b32 v33, -1, 0
	s_waitcnt lgkmcnt(2)
	v_lshrrev_b32_e32 v31, 16, v11
	v_max_u16_sdwa v14, v10, v10 dst_sel:DWORD dst_unused:UNUSED_PAD src0_sel:DWORD src1_sel:WORD_1
	v_lshrrev_b32_e32 v30, 16, v12
	v_lshrrev_b32_e32 v29, 16, v13
	s_waitcnt lgkmcnt(1)
	v_lshrrev_b32_e32 v28, 16, v6
	v_lshrrev_b32_e32 v27, 16, v7
	;; [unrolled: 1-line block ×4, first 2 shown]
	s_waitcnt lgkmcnt(0)
	v_lshrrev_b32_e32 v24, 16, v2
	v_lshrrev_b32_e32 v23, 16, v3
	;; [unrolled: 1-line block ×4, first 2 shown]
	v_max3_u16 v34, v14, v11, v31
	v_cmp_eq_u32_e32 vcc, 63, v0
	s_waitcnt lgkmcnt(0)
	; wave barrier
	s_cbranch_scc0 .LBB2506_83
; %bb.57:
	v_max3_u16 v14, v34, v12, v30
	v_max3_u16 v14, v14, v13, v29
	v_max3_u16 v14, v14, v6, v28
	v_max3_u16 v14, v14, v7, v27
	v_max3_u16 v14, v14, v8, v26
	v_max3_u16 v14, v14, v9, v25
	v_max3_u16 v14, v14, v2, v24
	v_max3_u16 v14, v14, v3, v23
	v_max3_u16 v14, v14, v4, v1
	v_max3_u16 v14, v14, v5, v32
	v_mbcnt_hi_u32_b32 v15, -1, v33
	v_and_b32_e32 v17, 0xffff, v14
	v_and_b32_e32 v16, 15, v15
	v_cmp_eq_u32_e64 s[2:3], 0, v16
	v_mov_b32_dpp v17, v17 row_shr:1 row_mask:0xf bank_mask:0xf
	v_max_u16_e32 v17, v17, v14
	v_cndmask_b32_e64 v14, v17, v14, s[2:3]
	v_and_b32_e32 v17, 0xffff, v14
	v_cmp_lt_u32_e64 s[2:3], 1, v16
	s_nop 0
	v_mov_b32_dpp v17, v17 row_shr:2 row_mask:0xf bank_mask:0xf
	v_max_u16_e32 v17, v17, v14
	v_cndmask_b32_e64 v14, v14, v17, s[2:3]
	v_and_b32_e32 v17, 0xffff, v14
	v_cmp_lt_u32_e64 s[2:3], 3, v16
	s_nop 0
	;; [unrolled: 6-line block ×3, first 2 shown]
	v_mov_b32_dpp v17, v17 row_shr:8 row_mask:0xf bank_mask:0xf
	v_max_u16_e32 v17, v17, v14
	v_cndmask_b32_e64 v14, v14, v17, s[2:3]
	v_and_b32_e32 v16, 0xffff, v14
	v_and_b32_e32 v17, 16, v15
	v_cmp_eq_u32_e64 s[2:3], 0, v17
	v_mov_b32_dpp v16, v16 row_bcast:15 row_mask:0xf bank_mask:0xf
	v_max_u16_e32 v16, v16, v14
	v_cndmask_b32_e64 v14, v16, v14, s[2:3]
	v_and_b32_e32 v16, 0xffff, v14
	v_cmp_lt_u32_e64 s[2:3], 31, v15
	s_nop 0
	v_mov_b32_dpp v16, v16 row_bcast:31 row_mask:0xf bank_mask:0xf
	v_max_u16_e32 v16, v16, v14
	v_cndmask_b32_e64 v14, v14, v16, s[2:3]
	s_and_saveexec_b64 s[2:3], vcc
	s_cbranch_execz .LBB2506_59
; %bb.58:
	v_mov_b32_e32 v16, 0
	ds_write_b16 v16, v14
.LBB2506_59:
	s_or_b64 exec, exec, s[2:3]
	v_add_u32_e32 v16, -1, v15
	v_and_b32_e32 v17, 64, v15
	v_cmp_lt_i32_e32 vcc, v16, v17
	v_cndmask_b32_e32 v16, v16, v15, vcc
	v_and_b32_e32 v14, 0xffff, v14
	v_lshlrev_b32_e32 v16, 2, v16
	ds_bpermute_b32 v35, v16, v14
	v_cmp_gt_u32_e32 vcc, 64, v0
	s_waitcnt lgkmcnt(0)
	; wave barrier
	s_waitcnt lgkmcnt(0)
	s_and_saveexec_b64 s[30:31], vcc
	s_cbranch_execz .LBB2506_82
; %bb.60:
	v_mov_b32_e32 v19, 0
	ds_read_u16 v36, v19
	s_mov_b32 s7, 0
	v_cmp_eq_u32_e64 s[2:3], 0, v15
	s_and_saveexec_b64 s[4:5], s[2:3]
	s_cbranch_execz .LBB2506_62
; %bb.61:
	s_add_i32 s6, s38, 64
	s_lshl_b64 s[6:7], s[6:7], 2
	s_add_u32 s6, s28, s6
	s_waitcnt lgkmcnt(0)
	v_or_b32_e32 v14, 0x10000, v36
	s_addc_u32 s7, s29, s7
	global_store_dword v19, v14, s[6:7]
.LBB2506_62:
	s_or_b64 exec, exec, s[4:5]
	v_xad_u32 v14, v15, -1, s38
	v_add_u32_e32 v18, 64, v14
	v_lshlrev_b64 v[16:17], 2, v[18:19]
	v_mov_b32_e32 v18, s29
	v_add_co_u32_e32 v16, vcc, s28, v16
	v_addc_co_u32_e32 v17, vcc, v18, v17, vcc
	global_load_dword v18, v[16:17], off glc
	s_waitcnt vmcnt(0)
	v_lshrrev_b32_e32 v40, 16, v18
	v_cmp_eq_u16_sdwa s[6:7], v40, v19 src0_sel:BYTE_0 src1_sel:DWORD
	s_and_saveexec_b64 s[4:5], s[6:7]
	s_cbranch_execz .LBB2506_68
; %bb.63:
	s_mov_b32 s8, 1
	s_mov_b64 s[6:7], 0
	v_mov_b32_e32 v19, 0
.LBB2506_64:                            ; =>This Loop Header: Depth=1
                                        ;     Child Loop BB2506_65 Depth 2
	s_max_u32 s9, s8, 1
.LBB2506_65:                            ;   Parent Loop BB2506_64 Depth=1
                                        ; =>  This Inner Loop Header: Depth=2
	s_add_i32 s9, s9, -1
	s_cmp_eq_u32 s9, 0
	s_sleep 1
	s_cbranch_scc0 .LBB2506_65
; %bb.66:                               ;   in Loop: Header=BB2506_64 Depth=1
	global_load_dword v18, v[16:17], off glc
	s_cmp_lt_u32 s8, 32
	s_cselect_b64 s[10:11], -1, 0
	s_cmp_lg_u64 s[10:11], 0
	s_addc_u32 s8, s8, 0
	s_waitcnt vmcnt(0)
	v_lshrrev_b32_e32 v40, 16, v18
	v_cmp_ne_u16_sdwa s[10:11], v40, v19 src0_sel:BYTE_0 src1_sel:DWORD
	s_or_b64 s[6:7], s[10:11], s[6:7]
	s_andn2_b64 exec, exec, s[6:7]
	s_cbranch_execnz .LBB2506_64
; %bb.67:
	s_or_b64 exec, exec, s[6:7]
.LBB2506_68:
	s_or_b64 exec, exec, s[4:5]
	v_and_b32_e32 v38, 63, v15
	v_cmp_ne_u32_e32 vcc, 63, v38
	v_mov_b32_e32 v37, 2
	v_addc_co_u32_e32 v39, vcc, 0, v15, vcc
	v_cmp_eq_u16_sdwa s[4:5], v40, v37 src0_sel:BYTE_0 src1_sel:DWORD
	v_lshlrev_b64 v[16:17], v15, -1
	v_and_b32_e32 v42, 0xffff, v18
	v_lshlrev_b32_e32 v39, 2, v39
	v_and_b32_e32 v19, s5, v17
	ds_bpermute_b32 v43, v39, v42
	v_or_b32_e32 v19, 0x80000000, v19
	v_and_b32_e32 v41, s4, v16
	v_ffbl_b32_e32 v19, v19
	v_add_u32_e32 v19, 32, v19
	v_ffbl_b32_e32 v41, v41
	v_cmp_gt_u32_e64 s[4:5], 62, v38
	v_min_u32_e32 v19, v41, v19
	v_cndmask_b32_e64 v41, 0, 1, s[4:5]
	s_waitcnt lgkmcnt(0)
	v_max_u16_e32 v43, v43, v18
	v_cmp_lt_u32_e32 vcc, v38, v19
	v_lshlrev_b32_e32 v41, 1, v41
	v_cndmask_b32_e32 v44, v42, v43, vcc
	v_add_lshl_u32 v41, v41, v15, 2
	ds_bpermute_b32 v45, v41, v44
	v_cmp_gt_u32_e64 s[6:7], 60, v38
	v_cndmask_b32_e32 v46, v18, v43, vcc
	v_add_u32_e32 v42, 2, v38
	v_cndmask_b32_e64 v43, 0, 1, s[6:7]
	s_waitcnt lgkmcnt(0)
	v_max_u16_e32 v45, v45, v46
	v_cmp_gt_u32_e64 s[4:5], v42, v19
	v_lshlrev_b32_e32 v43, 2, v43
	v_cndmask_b32_e64 v47, v45, v44, s[4:5]
	v_add_lshl_u32 v43, v43, v15, 2
	ds_bpermute_b32 v48, v43, v47
	v_cmp_gt_u32_e64 s[6:7], 56, v38
	v_cndmask_b32_e64 v49, v45, v46, s[4:5]
	v_add_u32_e32 v44, 4, v38
	v_cndmask_b32_e64 v45, 0, 1, s[6:7]
	s_waitcnt lgkmcnt(0)
	v_max_u16_e32 v52, v48, v49
	v_cmp_gt_u32_e64 s[4:5], v44, v19
	v_lshlrev_b32_e32 v45, 3, v45
	v_cndmask_b32_e64 v47, v52, v47, s[4:5]
	v_add_lshl_u32 v45, v45, v15, 2
	ds_bpermute_b32 v48, v45, v47
	v_cndmask_b32_e64 v50, v52, v49, s[4:5]
	v_add_u32_e32 v46, 8, v38
	v_cmp_gt_u32_e64 s[6:7], v46, v19
	v_cmp_gt_u32_e64 s[8:9], 48, v38
	s_waitcnt lgkmcnt(0)
	v_max_u16_e32 v53, v48, v50
	v_cndmask_b32_e64 v51, v53, v47, s[6:7]
	v_cndmask_b32_e64 v47, 0, 1, s[8:9]
	v_lshlrev_b32_e32 v47, 4, v47
	v_add_lshl_u32 v47, v47, v15, 2
	ds_bpermute_b32 v54, v47, v51
	v_cmp_gt_u32_e64 s[10:11], 32, v38
	v_cndmask_b32_e64 v55, v53, v50, s[6:7]
	v_add_u32_e32 v48, 16, v38
	v_cndmask_b32_e64 v50, 0, 1, s[10:11]
	s_waitcnt lgkmcnt(0)
	v_max_u16_e32 v54, v54, v55
	v_cmp_gt_u32_e64 s[8:9], v48, v19
	v_lshlrev_b32_e32 v50, 5, v50
	v_cndmask_b32_e64 v51, v54, v51, s[8:9]
	v_add_lshl_u32 v50, v50, v15, 2
	ds_bpermute_b32 v15, v50, v51
	v_cndmask_b32_e32 v18, v18, v49, vcc
	v_cndmask_b32_e64 v18, v52, v18, s[4:5]
	v_add_u32_e32 v51, 32, v38
	v_cndmask_b32_e64 v55, v54, v55, s[8:9]
	v_cndmask_b32_e64 v18, v53, v18, s[6:7]
	s_waitcnt lgkmcnt(0)
	v_max_u16_e32 v15, v15, v55
	v_cndmask_b32_e64 v18, v54, v18, s[8:9]
	v_cmp_gt_u32_e32 vcc, v51, v19
	v_cndmask_b32_e32 v18, v15, v18, vcc
	v_mov_b32_e32 v15, 0
	s_branch .LBB2506_70
.LBB2506_69:                            ;   in Loop: Header=BB2506_70 Depth=1
	s_or_b64 exec, exec, s[4:5]
	v_cmp_eq_u16_sdwa s[4:5], v40, v37 src0_sel:BYTE_0 src1_sel:DWORD
	v_and_b32_e32 v53, 0xffff, v52
	v_and_b32_e32 v18, s5, v17
	ds_bpermute_b32 v54, v39, v53
	v_or_b32_e32 v18, 0x80000000, v18
	v_and_b32_e32 v19, s4, v16
	v_ffbl_b32_e32 v18, v18
	v_add_u32_e32 v18, 32, v18
	v_ffbl_b32_e32 v19, v19
	v_min_u32_e32 v18, v19, v18
	s_waitcnt lgkmcnt(0)
	v_max_u16_e32 v19, v54, v52
	v_cmp_lt_u32_e32 vcc, v38, v18
	v_cndmask_b32_e32 v53, v53, v19, vcc
	ds_bpermute_b32 v54, v41, v53
	v_cndmask_b32_e32 v19, v52, v19, vcc
	v_cmp_gt_u32_e64 s[4:5], v42, v18
	v_cmp_gt_u32_e64 s[6:7], v46, v18
	v_subrev_u32_e32 v14, 64, v14
	s_waitcnt lgkmcnt(0)
	v_max_u16_e32 v54, v54, v19
	v_cndmask_b32_e64 v53, v54, v53, s[4:5]
	ds_bpermute_b32 v55, v43, v53
	v_cndmask_b32_e64 v19, v54, v19, s[4:5]
	v_cmp_gt_u32_e64 s[4:5], v44, v18
	s_waitcnt lgkmcnt(0)
	v_max_u16_e32 v54, v55, v19
	v_cndmask_b32_e64 v53, v54, v53, s[4:5]
	ds_bpermute_b32 v55, v45, v53
	v_cndmask_b32_e64 v56, v54, v19, s[4:5]
	v_cndmask_b32_e32 v19, v52, v19, vcc
	v_cmp_gt_u32_e32 vcc, v48, v18
	v_cndmask_b32_e64 v19, v54, v19, s[4:5]
	s_waitcnt lgkmcnt(0)
	v_max_u16_e32 v55, v55, v56
	v_cndmask_b32_e64 v53, v55, v53, s[6:7]
	ds_bpermute_b32 v57, v47, v53
	v_cndmask_b32_e64 v52, v55, v56, s[6:7]
	v_cndmask_b32_e64 v19, v55, v19, s[6:7]
	s_waitcnt lgkmcnt(0)
	v_max_u16_e32 v56, v57, v52
	v_cndmask_b32_e32 v53, v56, v53, vcc
	ds_bpermute_b32 v53, v50, v53
	v_cndmask_b32_e32 v52, v56, v52, vcc
	v_cndmask_b32_e32 v19, v56, v19, vcc
	v_cmp_gt_u32_e32 vcc, v51, v18
	s_waitcnt lgkmcnt(0)
	v_max_u16_e32 v52, v53, v52
	v_cndmask_b32_e32 v18, v52, v19, vcc
	v_max_u16_e32 v18, v18, v49
.LBB2506_70:                            ; =>This Loop Header: Depth=1
                                        ;     Child Loop BB2506_73 Depth 2
                                        ;       Child Loop BB2506_74 Depth 3
	v_cmp_ne_u16_sdwa s[4:5], v40, v37 src0_sel:BYTE_0 src1_sel:DWORD
	v_cndmask_b32_e64 v19, 0, 1, s[4:5]
	;;#ASMSTART
	;;#ASMEND
	v_cmp_ne_u32_e32 vcc, 0, v19
	s_cmp_lg_u64 vcc, exec
	v_mov_b32_e32 v49, v18
	s_cbranch_scc1 .LBB2506_77
; %bb.71:                               ;   in Loop: Header=BB2506_70 Depth=1
	v_lshlrev_b64 v[18:19], 2, v[14:15]
	v_mov_b32_e32 v40, s29
	v_add_co_u32_e32 v18, vcc, s28, v18
	v_addc_co_u32_e32 v19, vcc, v40, v19, vcc
	global_load_dword v52, v[18:19], off glc
	s_waitcnt vmcnt(0)
	v_lshrrev_b32_e32 v40, 16, v52
	v_cmp_eq_u16_sdwa s[6:7], v40, v15 src0_sel:BYTE_0 src1_sel:DWORD
	s_and_saveexec_b64 s[4:5], s[6:7]
	s_cbranch_execz .LBB2506_69
; %bb.72:                               ;   in Loop: Header=BB2506_70 Depth=1
	s_mov_b32 s8, 1
	s_mov_b64 s[6:7], 0
.LBB2506_73:                            ;   Parent Loop BB2506_70 Depth=1
                                        ; =>  This Loop Header: Depth=2
                                        ;       Child Loop BB2506_74 Depth 3
	s_max_u32 s9, s8, 1
.LBB2506_74:                            ;   Parent Loop BB2506_70 Depth=1
                                        ;     Parent Loop BB2506_73 Depth=2
                                        ; =>    This Inner Loop Header: Depth=3
	s_add_i32 s9, s9, -1
	s_cmp_eq_u32 s9, 0
	s_sleep 1
	s_cbranch_scc0 .LBB2506_74
; %bb.75:                               ;   in Loop: Header=BB2506_73 Depth=2
	global_load_dword v52, v[18:19], off glc
	s_cmp_lt_u32 s8, 32
	s_cselect_b64 s[10:11], -1, 0
	s_cmp_lg_u64 s[10:11], 0
	s_addc_u32 s8, s8, 0
	s_waitcnt vmcnt(0)
	v_lshrrev_b32_e32 v40, 16, v52
	v_cmp_ne_u16_sdwa s[10:11], v40, v15 src0_sel:BYTE_0 src1_sel:DWORD
	s_or_b64 s[6:7], s[10:11], s[6:7]
	s_andn2_b64 exec, exec, s[6:7]
	s_cbranch_execnz .LBB2506_73
; %bb.76:                               ;   in Loop: Header=BB2506_70 Depth=1
	s_or_b64 exec, exec, s[6:7]
	s_branch .LBB2506_69
.LBB2506_77:                            ;   in Loop: Header=BB2506_70 Depth=1
                                        ; implicit-def: $vgpr18
                                        ; implicit-def: $vgpr40
	s_cbranch_execz .LBB2506_70
; %bb.78:
	s_and_saveexec_b64 s[4:5], s[2:3]
	s_cbranch_execz .LBB2506_80
; %bb.79:
	s_add_i32 s2, s38, 64
	s_mov_b32 s3, 0
	s_lshl_b64 s[2:3], s[2:3], 2
	v_max_u16_e32 v14, v49, v36
	s_add_u32 s2, s28, s2
	v_or_b32_e32 v14, 0x20000, v14
	s_addc_u32 s3, s29, s3
	v_mov_b32_e32 v15, 0
	global_store_dword v15, v14, s[2:3]
.LBB2506_80:
	s_or_b64 exec, exec, s[4:5]
	s_and_b64 exec, exec, s[0:1]
	s_cbranch_execz .LBB2506_82
; %bb.81:
	v_mov_b32_e32 v14, 0
	ds_write_b16 v14, v49
.LBB2506_82:
	s_or_b64 exec, exec, s[30:31]
	v_mov_b32_e32 v14, 0
	s_waitcnt lgkmcnt(0)
	; wave barrier
	s_waitcnt lgkmcnt(0)
	ds_read_u16 v14, v14
	s_waitcnt lgkmcnt(0)
	v_max_u16_e32 v15, v14, v35
	v_cndmask_b32_e64 v15, v15, v14, s[0:1]
	v_max_u16_e32 v14, v15, v10
	v_max_u16_sdwa v16, v14, v10 dst_sel:DWORD dst_unused:UNUSED_PAD src0_sel:DWORD src1_sel:WORD_1
	v_max_u16_e32 v17, v16, v11
	v_max_u16_e32 v18, v17, v31
	;; [unrolled: 1-line block ×21, first 2 shown]
	s_branch .LBB2506_91
.LBB2506_83:
                                        ; implicit-def: $vgpr15
                                        ; implicit-def: $vgpr14
                                        ; implicit-def: $vgpr16
                                        ; implicit-def: $vgpr17
                                        ; implicit-def: $vgpr18
                                        ; implicit-def: $vgpr35
                                        ; implicit-def: $vgpr37
                                        ; implicit-def: $vgpr39
                                        ; implicit-def: $vgpr19
                                        ; implicit-def: $vgpr36
                                        ; implicit-def: $vgpr38
                                        ; implicit-def: $vgpr40
                                        ; implicit-def: $vgpr41
                                        ; implicit-def: $vgpr43
                                        ; implicit-def: $vgpr45
                                        ; implicit-def: $vgpr47
                                        ; implicit-def: $vgpr42
                                        ; implicit-def: $vgpr44
                                        ; implicit-def: $vgpr46
                                        ; implicit-def: $vgpr48
                                        ; implicit-def: $vgpr49
                                        ; implicit-def: $vgpr50
                                        ; implicit-def: $vgpr51
                                        ; implicit-def: $vgpr52
	s_cbranch_execz .LBB2506_91
; %bb.84:
	s_cmp_eq_u64 s[16:17], 0
	v_mov_b32_e32 v52, s35
	s_cbranch_scc1 .LBB2506_86
; %bb.85:
	v_mov_b32_e32 v14, 0
	global_load_ushort v16, v14, s[12:13]
	v_mov_b32_e32 v15, s37
	v_add_co_u32_e64 v14, vcc, -2, s36
	v_addc_co_u32_e32 v15, vcc, -1, v15, vcc
	flat_load_ushort v14, v[14:15]
	s_waitcnt vmcnt(0) lgkmcnt(0)
	v_max_u16_e32 v52, v16, v14
.LBB2506_86:
	v_max3_u16 v14, v34, v12, v30
	v_max3_u16 v14, v14, v13, v29
	v_max3_u16 v14, v14, v6, v28
	v_max3_u16 v14, v14, v7, v27
	v_max3_u16 v14, v14, v8, v26
	v_max3_u16 v14, v14, v9, v25
	v_max3_u16 v14, v14, v2, v24
	v_max3_u16 v14, v14, v3, v23
	v_max3_u16 v14, v14, v4, v1
	v_max3_u16 v15, v14, v5, v32
	v_mbcnt_hi_u32_b32 v14, -1, v33
	v_and_b32_e32 v17, 0xffff, v15
	v_and_b32_e32 v16, 15, v14
	v_cmp_eq_u32_e32 vcc, 0, v16
	v_mov_b32_dpp v17, v17 row_shr:1 row_mask:0xf bank_mask:0xf
	v_max_u16_e32 v17, v17, v15
	v_cndmask_b32_e32 v15, v17, v15, vcc
	v_and_b32_e32 v17, 0xffff, v15
	v_cmp_lt_u32_e32 vcc, 1, v16
	s_nop 0
	v_mov_b32_dpp v17, v17 row_shr:2 row_mask:0xf bank_mask:0xf
	v_max_u16_e32 v17, v17, v15
	v_cndmask_b32_e32 v15, v15, v17, vcc
	v_and_b32_e32 v17, 0xffff, v15
	v_cmp_lt_u32_e32 vcc, 3, v16
	s_nop 0
	;; [unrolled: 6-line block ×3, first 2 shown]
	v_mov_b32_dpp v17, v17 row_shr:8 row_mask:0xf bank_mask:0xf
	v_max_u16_e32 v17, v17, v15
	v_cndmask_b32_e32 v15, v15, v17, vcc
	v_and_b32_e32 v16, 0xffff, v15
	v_and_b32_e32 v17, 16, v14
	v_cmp_eq_u32_e32 vcc, 0, v17
	v_mov_b32_dpp v16, v16 row_bcast:15 row_mask:0xf bank_mask:0xf
	v_max_u16_e32 v16, v16, v15
	v_cndmask_b32_e32 v15, v16, v15, vcc
	v_and_b32_e32 v16, 0xffff, v15
	v_cmp_lt_u32_e32 vcc, 31, v14
	s_nop 0
	v_mov_b32_dpp v16, v16 row_bcast:31 row_mask:0xf bank_mask:0xf
	v_max_u16_e32 v16, v16, v15
	v_cndmask_b32_e32 v15, v15, v16, vcc
	v_cmp_eq_u32_e32 vcc, 63, v0
	s_and_saveexec_b64 s[2:3], vcc
	s_cbranch_execz .LBB2506_88
; %bb.87:
	v_mov_b32_e32 v16, 0
	ds_write_b16 v16, v15
.LBB2506_88:
	s_or_b64 exec, exec, s[2:3]
	v_add_u32_e32 v16, -1, v14
	v_and_b32_e32 v17, 64, v14
	v_cmp_lt_i32_e32 vcc, v16, v17
	v_cndmask_b32_e32 v16, v16, v14, vcc
	v_max_u16_e32 v15, v52, v15
	v_lshlrev_b32_e32 v16, 2, v16
	ds_bpermute_b32 v15, v16, v15
	v_cmp_eq_u32_e32 vcc, 0, v14
	s_or_b64 vcc, s[0:1], vcc
	s_waitcnt lgkmcnt(0)
	; wave barrier
	s_waitcnt lgkmcnt(0)
	v_cndmask_b32_e32 v15, v15, v52, vcc
	v_max_u16_e32 v14, v15, v10
	v_max_u16_sdwa v16, v14, v10 dst_sel:DWORD dst_unused:UNUSED_PAD src0_sel:DWORD src1_sel:WORD_1
	v_max_u16_e32 v17, v16, v11
	v_max_u16_e32 v18, v17, v31
	;; [unrolled: 1-line block ×20, first 2 shown]
	s_and_saveexec_b64 s[2:3], s[0:1]
	s_cbranch_execz .LBB2506_90
; %bb.89:
	v_mov_b32_e32 v1, 0
	ds_read_u16 v2, v1
	v_mov_b32_e32 v15, v52
	s_waitcnt lgkmcnt(0)
	v_max_u16_e32 v2, v52, v2
	v_or_b32_e32 v2, 0x20000, v2
	global_store_dword v1, v2, s[28:29] offset:256
.LBB2506_90:
	s_or_b64 exec, exec, s[2:3]
	v_max_u16_e32 v52, v51, v5
.LBB2506_91:
	s_add_u32 s0, s24, s22
	s_addc_u32 s1, s25, s23
	s_add_u32 s2, s0, s26
	s_addc_u32 s3, s1, s27
	s_mov_b64 s[0:1], -1
	s_and_b64 vcc, exec, s[20:21]
	s_waitcnt lgkmcnt(0)
	; wave barrier
	s_cbranch_vccz .LBB2506_93
; %bb.92:
	s_mov_b32 s0, 0x5040100
	v_perm_b32 v5, v39, v37, s0
	v_perm_b32 v4, v35, v18, s0
	;; [unrolled: 1-line block ×4, first 2 shown]
	ds_write_b128 v22, v[2:5]
	v_perm_b32 v5, v47, v45, s0
	v_perm_b32 v4, v43, v41, s0
	v_perm_b32 v3, v40, v38, s0
	v_perm_b32 v2, v36, v19, s0
	ds_write_b128 v22, v[2:5] offset:16
	v_perm_b32 v5, v52, v51, s0
	v_perm_b32 v4, v50, v49, s0
	;; [unrolled: 1-line block ×4, first 2 shown]
	ds_write_b128 v22, v[2:5] offset:32
	s_waitcnt lgkmcnt(0)
	; wave barrier
	s_waitcnt lgkmcnt(0)
	ds_read_u16 v1, v20
	ds_read_u16 v4, v20 offset:128
	ds_read_u16 v5, v20 offset:256
	;; [unrolled: 1-line block ×23, first 2 shown]
	v_mov_b32_e32 v3, s3
	v_add_co_u32_e32 v2, vcc, s2, v20
	v_addc_co_u32_e32 v3, vcc, 0, v3, vcc
	s_waitcnt lgkmcnt(14)
	flat_store_short v[2:3], v1
	flat_store_short v[2:3], v4 offset:128
	flat_store_short v[2:3], v5 offset:256
	;; [unrolled: 1-line block ×9, first 2 shown]
	s_waitcnt lgkmcnt(0)
	flat_store_short v[2:3], v13 offset:1280
	flat_store_short v[2:3], v23 offset:1408
	;; [unrolled: 1-line block ×14, first 2 shown]
	s_mov_b64 s[0:1], 0
.LBB2506_93:
	s_andn2_b64 vcc, exec, s[0:1]
	s_cbranch_vccnz .LBB2506_150
; %bb.94:
	s_mov_b32 s0, 0x5040100
	v_perm_b32 v5, v39, v37, s0
	v_perm_b32 v4, v35, v18, s0
	;; [unrolled: 1-line block ×4, first 2 shown]
	ds_write_b128 v22, v[2:5]
	v_perm_b32 v5, v47, v45, s0
	v_perm_b32 v4, v43, v41, s0
	;; [unrolled: 1-line block ×4, first 2 shown]
	ds_write_b128 v22, v[2:5] offset:16
	v_perm_b32 v5, v52, v51, s0
	v_perm_b32 v4, v50, v49, s0
	v_perm_b32 v3, v48, v46, s0
	v_perm_b32 v2, v44, v42, s0
	s_movk_i32 s0, 0xffd2
	ds_write_b128 v22, v[2:5] offset:32
	v_mad_i32_i24 v2, v0, s0, v22
	s_waitcnt lgkmcnt(0)
	; wave barrier
	s_waitcnt lgkmcnt(0)
	ds_read_u16 v5, v2
	ds_read_u16 v4, v2 offset:128
	ds_read_u16 v7, v2 offset:256
	;; [unrolled: 1-line block ×23, first 2 shown]
	v_mov_b32_e32 v3, s3
	v_add_co_u32_e32 v2, vcc, s2, v20
	v_addc_co_u32_e32 v3, vcc, 0, v3, vcc
	v_mov_b32_e32 v1, 0
	v_cmp_gt_u32_e32 vcc, s33, v0
	s_and_saveexec_b64 s[0:1], vcc
	s_cbranch_execz .LBB2506_96
; %bb.95:
	s_waitcnt lgkmcnt(0)
	flat_store_short v[2:3], v5
.LBB2506_96:
	s_or_b64 exec, exec, s[0:1]
	v_or_b32_e32 v20, 64, v0
	v_cmp_gt_u32_e32 vcc, s33, v20
	s_and_saveexec_b64 s[0:1], vcc
	s_cbranch_execz .LBB2506_98
; %bb.97:
	s_waitcnt lgkmcnt(0)
	flat_store_short v[2:3], v4 offset:128
.LBB2506_98:
	s_or_b64 exec, exec, s[0:1]
	v_or_b32_e32 v20, 0x80, v0
	v_cmp_gt_u32_e32 vcc, s33, v20
	s_and_saveexec_b64 s[0:1], vcc
	s_cbranch_execz .LBB2506_100
; %bb.99:
	s_waitcnt lgkmcnt(0)
	flat_store_short v[2:3], v7 offset:256
.LBB2506_100:
	;; [unrolled: 9-line block ×23, first 2 shown]
	s_or_b64 exec, exec, s[0:1]
	v_cmp_lt_u64_e64 s[0:1], s[18:19], 2
	s_and_b64 vcc, exec, s[0:1]
	s_cbranch_vccnz .LBB2506_150
; %bb.143:
	s_add_u32 s0, s33, -1
	s_addc_u32 s1, s34, -1
	s_add_u32 s2, 0, 0xaaaa0000
	s_addc_u32 s3, 0, 42
	s_add_i32 s3, s3, 0xaaaaa80
	s_mul_hi_u32 s7, s2, 0xffffffe8
	s_sub_i32 s7, s7, s2
	s_mul_i32 s8, s3, 0xffffffe8
	s_mul_i32 s4, s2, 0xffffffe8
	s_add_i32 s7, s7, s8
	s_mul_hi_u32 s5, s3, s4
	s_mul_i32 s6, s3, s4
	s_mul_i32 s9, s2, s7
	s_mul_hi_u32 s4, s2, s4
	s_mul_hi_u32 s8, s2, s7
	s_add_u32 s4, s4, s9
	s_addc_u32 s8, 0, s8
	s_add_u32 s4, s4, s6
	s_mul_hi_u32 s9, s3, s7
	s_addc_u32 s4, s8, s5
	s_addc_u32 s5, s9, 0
	s_mul_i32 s6, s3, s7
	s_add_u32 s4, s4, s6
	v_mov_b32_e32 v2, s4
	s_addc_u32 s5, 0, s5
	v_add_co_u32_e32 v2, vcc, s2, v2
	s_cmp_lg_u64 vcc, 0
	s_addc_u32 s2, s3, s5
	v_readfirstlane_b32 s5, v2
	s_mul_i32 s4, s0, s2
	s_mul_hi_u32 s6, s0, s5
	s_mul_hi_u32 s3, s0, s2
	s_add_u32 s4, s6, s4
	s_addc_u32 s3, 0, s3
	s_mul_hi_u32 s7, s1, s5
	s_mul_i32 s5, s1, s5
	s_add_u32 s4, s4, s5
	s_mul_hi_u32 s6, s1, s2
	s_addc_u32 s3, s3, s7
	s_addc_u32 s4, s6, 0
	s_mul_i32 s2, s1, s2
	s_add_u32 s2, s3, s2
	s_addc_u32 s3, 0, s4
	s_add_u32 s4, s2, 1
	s_addc_u32 s5, s3, 0
	s_add_u32 s6, s2, 2
	s_mul_i32 s8, s3, 24
	s_mul_hi_u32 s9, s2, 24
	s_addc_u32 s7, s3, 0
	s_add_i32 s9, s9, s8
	s_mul_i32 s8, s2, 24
	v_mov_b32_e32 v2, s8
	v_sub_co_u32_e32 v2, vcc, s0, v2
	s_cmp_lg_u64 vcc, 0
	s_subb_u32 s8, s1, s9
	v_subrev_co_u32_e32 v3, vcc, 24, v2
	s_cmp_lg_u64 vcc, 0
	s_subb_u32 s9, s8, 0
	v_readfirstlane_b32 s10, v3
	s_cmp_gt_u32 s10, 23
	s_cselect_b32 s10, -1, 0
	s_cmp_eq_u32 s9, 0
	s_cselect_b32 s9, s10, -1
	s_cmp_lg_u32 s9, 0
	s_cselect_b32 s4, s6, s4
	v_readfirstlane_b32 s6, v2
	s_cselect_b32 s5, s7, s5
	s_cmp_gt_u32 s6, 23
	s_cselect_b32 s6, -1, 0
	s_cmp_eq_u32 s8, 0
	s_cselect_b32 s6, s6, -1
	s_cmp_lg_u32 s6, 0
	s_cselect_b32 s3, s5, s3
	s_cselect_b32 s2, s4, s2
	v_cmp_eq_u64_e32 vcc, s[2:3], v[0:1]
	s_and_saveexec_b64 s[2:3], vcc
	s_cbranch_execz .LBB2506_150
; %bb.144:
	v_mul_hi_u32_u24_e32 v1, 24, v0
	v_mov_b32_e32 v2, s1
	v_sub_co_u32_e32 v0, vcc, s0, v21
	v_subb_co_u32_e32 v1, vcc, v2, v1, vcc
	v_cmp_lt_i64_e32 vcc, 11, v[0:1]
	s_mov_b64 s[0:1], 0
	s_mov_b64 s[8:9], 0
	;; [unrolled: 1-line block ×4, first 2 shown]
	s_and_saveexec_b64 s[2:3], vcc
	s_xor_b64 s[2:3], exec, s[2:3]
	s_cbranch_execnz .LBB2506_151
; %bb.145:
	s_andn2_saveexec_b64 s[2:3], s[2:3]
	s_cbranch_execnz .LBB2506_196
.LBB2506_146:
	s_or_b64 exec, exec, s[2:3]
	s_and_saveexec_b64 s[2:3], s[8:9]
	s_cbranch_execnz .LBB2506_213
.LBB2506_147:
	s_or_b64 exec, exec, s[2:3]
	s_and_saveexec_b64 s[2:3], s[6:7]
	s_cbranch_execnz .LBB2506_214
.LBB2506_148:
	s_or_b64 exec, exec, s[2:3]
	s_and_saveexec_b64 s[2:3], s[4:5]
	s_xor_b64 s[2:3], exec, s[2:3]
	s_cbranch_execnz .LBB2506_215
.LBB2506_149:
	s_or_b64 exec, exec, s[2:3]
	s_and_b64 exec, exec, s[0:1]
	s_cbranch_execnz .LBB2506_216
.LBB2506_150:
	s_endpgm
.LBB2506_151:
	v_cmp_lt_i64_e32 vcc, 17, v[0:1]
	s_and_saveexec_b64 s[10:11], vcc
	s_xor_b64 s[10:11], exec, s[10:11]
	s_cbranch_execz .LBB2506_173
; %bb.152:
	v_cmp_lt_i64_e32 vcc, 20, v[0:1]
                                        ; implicit-def: $vgpr10
	s_and_saveexec_b64 s[12:13], vcc
	s_xor_b64 s[12:13], exec, s[12:13]
	s_cbranch_execz .LBB2506_162
; %bb.153:
	v_cmp_lt_i64_e32 vcc, 21, v[0:1]
	s_mov_b64 s[16:17], 0
                                        ; implicit-def: $vgpr10
	s_and_saveexec_b64 s[4:5], vcc
	s_xor_b64 s[4:5], exec, s[4:5]
	s_cbranch_execz .LBB2506_159
; %bb.154:
	v_cmp_lt_i64_e32 vcc, 22, v[0:1]
	s_and_saveexec_b64 s[16:17], vcc
	s_xor_b64 s[16:17], exec, s[16:17]
	s_cbranch_execz .LBB2506_156
; %bb.155:
	v_mov_b32_e32 v2, 0
	s_waitcnt lgkmcnt(0)
	global_store_short v2, v29, s[14:15]
                                        ; implicit-def: $vgpr28
.LBB2506_156:
	s_or_saveexec_b64 s[16:17], s[16:17]
	s_mov_b64 s[18:19], 0
	s_xor_b64 exec, exec, s[16:17]
; %bb.157:
	s_mov_b64 s[18:19], exec
; %bb.158:
	s_or_b64 exec, exec, s[16:17]
	s_and_b64 s[16:17], s[18:19], exec
	s_waitcnt lgkmcnt(0)
	v_mov_b32_e32 v10, v28
                                        ; implicit-def: $vgpr11
.LBB2506_159:
	s_andn2_saveexec_b64 s[4:5], s[4:5]
; %bb.160:
	s_mov_b64 s[6:7], exec
                                        ; implicit-def: $vgpr10
; %bb.161:
	s_or_b64 exec, exec, s[4:5]
	s_and_b64 s[4:5], s[16:17], exec
	s_and_b64 s[6:7], s[6:7], exec
                                        ; implicit-def: $vgpr26
                                        ; implicit-def: $vgpr12
                                        ; implicit-def: $vgpr23
.LBB2506_162:
	s_andn2_saveexec_b64 s[12:13], s[12:13]
	s_cbranch_execz .LBB2506_172
; %bb.163:
	v_cmp_lt_i64_e32 vcc, 18, v[0:1]
	s_mov_b64 s[16:17], 0
	s_and_saveexec_b64 s[8:9], vcc
	s_xor_b64 s[8:9], exec, s[8:9]
	s_cbranch_execz .LBB2506_169
; %bb.164:
	v_cmp_lt_i64_e32 vcc, 19, v[0:1]
	s_and_saveexec_b64 s[18:19], vcc
	s_xor_b64 s[18:19], exec, s[18:19]
; %bb.165:
	s_mov_b64 s[16:17], exec
                                        ; implicit-def: $vgpr23
; %bb.166:
	s_andn2_saveexec_b64 s[18:19], s[18:19]
	s_cbranch_execz .LBB2506_168
; %bb.167:
	v_mov_b32_e32 v2, 0
	s_waitcnt lgkmcnt(0)
	global_store_short v2, v23, s[14:15]
                                        ; implicit-def: $vgpr12
.LBB2506_168:
	s_or_b64 exec, exec, s[18:19]
	s_and_b64 s[16:17], s[16:17], exec
                                        ; implicit-def: $vgpr26
.LBB2506_169:
	s_andn2_saveexec_b64 s[8:9], s[8:9]
	s_cbranch_execz .LBB2506_171
; %bb.170:
	v_mov_b32_e32 v2, 0
	s_waitcnt lgkmcnt(0)
	global_store_short v2, v26, s[14:15]
                                        ; implicit-def: $vgpr12
.LBB2506_171:
	s_or_b64 exec, exec, s[8:9]
	s_and_b64 s[8:9], s[16:17], exec
                                        ; implicit-def: $vgpr10
                                        ; implicit-def: $vgpr11
.LBB2506_172:
	s_or_b64 exec, exec, s[12:13]
	s_and_b64 s[4:5], s[4:5], exec
	s_and_b64 s[6:7], s[6:7], exec
	;; [unrolled: 1-line block ×3, first 2 shown]
                                        ; implicit-def: $vgpr18
                                        ; implicit-def: $vgpr13
                                        ; implicit-def: $vgpr14
                                        ; implicit-def: $vgpr24
                                        ; implicit-def: $vgpr27
.LBB2506_173:
	s_andn2_saveexec_b64 s[10:11], s[10:11]
	s_cbranch_execz .LBB2506_195
; %bb.174:
	v_cmp_lt_i64_e32 vcc, 14, v[0:1]
	s_mov_b64 s[12:13], s[4:5]
	s_and_saveexec_b64 s[16:17], vcc
	s_xor_b64 s[16:17], exec, s[16:17]
	s_cbranch_execz .LBB2506_184
; %bb.175:
	v_cmp_lt_i64_e32 vcc, 15, v[0:1]
	s_and_saveexec_b64 s[12:13], vcc
	s_xor_b64 s[12:13], exec, s[12:13]
	s_cbranch_execz .LBB2506_181
; %bb.176:
	v_cmp_lt_i64_e32 vcc, 16, v[0:1]
	s_and_saveexec_b64 s[18:19], vcc
	s_xor_b64 s[18:19], exec, s[18:19]
	s_cbranch_execz .LBB2506_178
; %bb.177:
	v_mov_b32_e32 v2, 0
	s_waitcnt lgkmcnt(0)
	global_store_short v2, v27, s[14:15]
                                        ; implicit-def: $vgpr24
.LBB2506_178:
	s_andn2_saveexec_b64 s[18:19], s[18:19]
	s_cbranch_execz .LBB2506_180
; %bb.179:
	v_mov_b32_e32 v2, 0
	s_waitcnt lgkmcnt(0)
	global_store_short v2, v24, s[14:15]
.LBB2506_180:
	s_or_b64 exec, exec, s[18:19]
                                        ; implicit-def: $vgpr10
.LBB2506_181:
	s_or_saveexec_b64 s[12:13], s[12:13]
	s_mov_b64 s[18:19], s[4:5]
	s_xor_b64 exec, exec, s[12:13]
; %bb.182:
	s_or_b64 s[18:19], s[4:5], exec
; %bb.183:
	s_or_b64 exec, exec, s[12:13]
	s_andn2_b64 s[12:13], s[4:5], exec
	s_and_b64 s[18:19], s[18:19], exec
	s_or_b64 s[12:13], s[12:13], s[18:19]
                                        ; implicit-def: $vgpr18
                                        ; implicit-def: $vgpr13
                                        ; implicit-def: $vgpr14
.LBB2506_184:
	s_or_saveexec_b64 s[16:17], s[16:17]
	s_mov_b64 s[18:19], s[6:7]
                                        ; implicit-def: $vgpr11
	s_xor_b64 exec, exec, s[16:17]
	s_cbranch_execz .LBB2506_194
; %bb.185:
	v_cmp_lt_i64_e32 vcc, 12, v[0:1]
	s_mov_b64 s[20:21], s[6:7]
	s_mov_b64 s[22:23], s[12:13]
                                        ; implicit-def: $vgpr10
                                        ; implicit-def: $vgpr11
	s_and_saveexec_b64 s[18:19], vcc
	s_xor_b64 s[18:19], exec, s[18:19]
	s_cbranch_execz .LBB2506_191
; %bb.186:
	v_cmp_lt_i64_e32 vcc, 13, v[0:1]
	s_mov_b64 s[20:21], s[12:13]
	s_and_saveexec_b64 s[22:23], vcc
	s_xor_b64 s[22:23], exec, s[22:23]
; %bb.187:
	s_or_b64 s[20:21], s[12:13], exec
                                        ; implicit-def: $vgpr13
; %bb.188:
	s_or_saveexec_b64 s[22:23], s[22:23]
	s_mov_b64 s[24:25], s[6:7]
	s_xor_b64 exec, exec, s[22:23]
; %bb.189:
	s_or_b64 s[24:25], s[6:7], exec
                                        ; implicit-def: $vgpr14
; %bb.190:
	s_or_b64 exec, exec, s[22:23]
	s_andn2_b64 s[22:23], s[12:13], exec
	s_and_b64 s[20:21], s[20:21], exec
	s_or_b64 s[22:23], s[22:23], s[20:21]
	s_andn2_b64 s[20:21], s[6:7], exec
	s_and_b64 s[24:25], s[24:25], exec
	s_or_b64 s[20:21], s[20:21], s[24:25]
	s_waitcnt lgkmcnt(0)
	v_mov_b32_e32 v10, v14
	v_mov_b32_e32 v11, v13
                                        ; implicit-def: $vgpr18
.LBB2506_191:
	s_andn2_saveexec_b64 s[18:19], s[18:19]
	s_cbranch_execz .LBB2506_193
; %bb.192:
	s_or_b64 s[20:21], s[20:21], exec
                                        ; implicit-def: $vgpr10
	s_waitcnt lgkmcnt(0)
	v_mov_b32_e32 v11, v18
.LBB2506_193:
	s_or_b64 exec, exec, s[18:19]
	s_andn2_b64 s[12:13], s[12:13], exec
	s_and_b64 s[18:19], s[22:23], exec
	s_or_b64 s[12:13], s[12:13], s[18:19]
	s_andn2_b64 s[18:19], s[6:7], exec
	s_and_b64 s[20:21], s[20:21], exec
	s_or_b64 s[18:19], s[18:19], s[20:21]
.LBB2506_194:
	s_or_b64 exec, exec, s[16:17]
	s_andn2_b64 s[4:5], s[4:5], exec
	s_and_b64 s[12:13], s[12:13], exec
	s_or_b64 s[4:5], s[4:5], s[12:13]
	s_andn2_b64 s[6:7], s[6:7], exec
	s_and_b64 s[12:13], s[18:19], exec
	s_or_b64 s[6:7], s[6:7], s[12:13]
                                        ; implicit-def: $vgpr12
.LBB2506_195:
	s_or_b64 exec, exec, s[10:11]
	s_and_b64 s[4:5], s[4:5], exec
	s_and_b64 s[6:7], s[6:7], exec
	;; [unrolled: 1-line block ×3, first 2 shown]
                                        ; implicit-def: $vgpr17
                                        ; implicit-def: $vgpr15
                                        ; implicit-def: $vgpr16
                                        ; implicit-def: $vgpr25
                                        ; implicit-def: $vgpr22
                                        ; implicit-def: $vgpr19
	s_andn2_saveexec_b64 s[2:3], s[2:3]
	s_cbranch_execz .LBB2506_146
.LBB2506_196:
	v_cmp_lt_i64_e32 vcc, 5, v[0:1]
	s_mov_b64 s[12:13], -1
	s_mov_b64 s[10:11], s[8:9]
	s_mov_b64 s[16:17], s[6:7]
	;; [unrolled: 1-line block ×3, first 2 shown]
                                        ; implicit-def: $vgpr10
                                        ; implicit-def: $vgpr11
                                        ; implicit-def: $vgpr12
	s_and_saveexec_b64 s[0:1], vcc
	s_cbranch_execz .LBB2506_212
; %bb.197:
	v_cmp_lt_i64_e32 vcc, 8, v[0:1]
	s_mov_b64 s[10:11], s[8:9]
                                        ; implicit-def: $vgpr12
	s_and_saveexec_b64 s[12:13], vcc
	s_xor_b64 s[12:13], exec, s[12:13]
	s_cbranch_execz .LBB2506_207
; %bb.198:
	v_cmp_lt_i64_e32 vcc, 9, v[0:1]
	s_and_saveexec_b64 s[10:11], vcc
	s_xor_b64 s[10:11], exec, s[10:11]
	s_cbranch_execz .LBB2506_204
; %bb.199:
	v_cmp_lt_i64_e32 vcc, 10, v[0:1]
	s_and_saveexec_b64 s[16:17], vcc
	s_xor_b64 s[16:17], exec, s[16:17]
; %bb.200:
                                        ; implicit-def: $vgpr22
; %bb.201:
	s_andn2_saveexec_b64 s[16:17], s[16:17]
	s_cbranch_execz .LBB2506_203
; %bb.202:
	s_waitcnt lgkmcnt(0)
	v_mov_b32_e32 v19, v22
.LBB2506_203:
	s_or_b64 exec, exec, s[16:17]
                                        ; implicit-def: $vgpr25
.LBB2506_204:
	s_andn2_saveexec_b64 s[10:11], s[10:11]
	s_cbranch_execz .LBB2506_206
; %bb.205:
	s_waitcnt lgkmcnt(0)
	v_mov_b32_e32 v19, v25
.LBB2506_206:
	s_or_b64 exec, exec, s[10:11]
	s_or_b64 s[10:11], s[8:9], exec
	s_waitcnt lgkmcnt(0)
	v_mov_b32_e32 v12, v19
                                        ; implicit-def: $vgpr17
                                        ; implicit-def: $vgpr15
                                        ; implicit-def: $vgpr16
.LBB2506_207:
	s_or_saveexec_b64 s[12:13], s[12:13]
	s_mov_b64 s[16:17], s[6:7]
	s_mov_b64 s[20:21], s[4:5]
                                        ; implicit-def: $vgpr10
                                        ; implicit-def: $vgpr11
	s_xor_b64 exec, exec, s[12:13]
	s_cbranch_execz .LBB2506_211
; %bb.208:
	v_cmp_lt_i64_e32 vcc, 6, v[0:1]
	s_mov_b64 s[20:21], -1
	s_mov_b64 s[18:19], s[10:11]
	s_mov_b64 s[16:17], s[6:7]
	s_and_saveexec_b64 s[22:23], vcc
; %bb.209:
	v_cmp_lt_i64_e32 vcc, 7, v[0:1]
	s_andn2_b64 s[18:19], s[10:11], exec
	s_and_b64 s[24:25], vcc, exec
	s_xor_b64 s[20:21], exec, -1
	s_or_b64 s[16:17], s[6:7], exec
	s_or_b64 s[18:19], s[18:19], s[24:25]
                                        ; implicit-def: $vgpr17
; %bb.210:
	s_or_b64 exec, exec, s[22:23]
	s_andn2_b64 s[22:23], s[4:5], exec
	s_and_b64 s[20:21], s[20:21], exec
	s_or_b64 s[20:21], s[22:23], s[20:21]
	s_andn2_b64 s[22:23], s[6:7], exec
	s_and_b64 s[16:17], s[16:17], exec
	s_andn2_b64 s[10:11], s[10:11], exec
	s_and_b64 s[18:19], s[18:19], exec
	s_or_b64 s[16:17], s[22:23], s[16:17]
	s_or_b64 s[10:11], s[10:11], s[18:19]
	s_waitcnt lgkmcnt(0)
	v_mov_b32_e32 v10, v17
	v_mov_b32_e32 v11, v15
	;; [unrolled: 1-line block ×3, first 2 shown]
.LBB2506_211:
	s_or_b64 exec, exec, s[12:13]
	s_andn2_b64 s[18:19], s[4:5], exec
	s_and_b64 s[20:21], s[20:21], exec
	s_or_b64 s[18:19], s[18:19], s[20:21]
	s_andn2_b64 s[20:21], s[6:7], exec
	s_and_b64 s[16:17], s[16:17], exec
	s_or_b64 s[16:17], s[20:21], s[16:17]
	s_andn2_b64 s[20:21], s[8:9], exec
	s_and_b64 s[10:11], s[10:11], exec
	s_xor_b64 s[12:13], exec, -1
	s_or_b64 s[10:11], s[20:21], s[10:11]
.LBB2506_212:
	s_or_b64 exec, exec, s[0:1]
	s_and_b64 s[0:1], s[12:13], exec
	s_andn2_b64 s[4:5], s[4:5], exec
	s_and_b64 s[12:13], s[18:19], exec
	s_or_b64 s[4:5], s[4:5], s[12:13]
	s_andn2_b64 s[6:7], s[6:7], exec
	s_and_b64 s[12:13], s[16:17], exec
	s_andn2_b64 s[8:9], s[8:9], exec
	s_and_b64 s[10:11], s[10:11], exec
	s_or_b64 s[6:7], s[6:7], s[12:13]
	s_or_b64 s[8:9], s[8:9], s[10:11]
	s_or_b64 exec, exec, s[2:3]
	s_and_saveexec_b64 s[2:3], s[8:9]
	s_cbranch_execz .LBB2506_147
.LBB2506_213:
	v_mov_b32_e32 v2, 0
	s_andn2_b64 s[6:7], s[6:7], exec
	s_waitcnt lgkmcnt(0)
	global_store_short v2, v12, s[14:15]
                                        ; implicit-def: $vgpr10
                                        ; implicit-def: $vgpr11
	s_or_b64 exec, exec, s[2:3]
	s_and_saveexec_b64 s[2:3], s[6:7]
	s_cbranch_execz .LBB2506_148
.LBB2506_214:
	v_mov_b32_e32 v2, 0
	s_waitcnt lgkmcnt(0)
	global_store_short v2, v11, s[14:15]
                                        ; implicit-def: $vgpr10
	s_or_b64 exec, exec, s[2:3]
	s_and_saveexec_b64 s[2:3], s[4:5]
	s_xor_b64 s[2:3], exec, s[2:3]
	s_cbranch_execz .LBB2506_149
.LBB2506_215:
	v_mov_b32_e32 v2, 0
	s_waitcnt lgkmcnt(0)
	global_store_short v2, v10, s[14:15]
	s_or_b64 exec, exec, s[2:3]
	s_and_b64 exec, exec, s[0:1]
	s_cbranch_execz .LBB2506_150
.LBB2506_216:
	v_cmp_lt_i64_e32 vcc, 2, v[0:1]
	s_and_saveexec_b64 s[0:1], vcc
	s_xor_b64 s[0:1], exec, s[0:1]
	s_cbranch_execz .LBB2506_226
; %bb.217:
	v_cmp_lt_i64_e32 vcc, 3, v[0:1]
	s_and_saveexec_b64 s[2:3], vcc
	s_xor_b64 s[2:3], exec, s[2:3]
	s_cbranch_execz .LBB2506_223
; %bb.218:
	v_cmp_lt_i64_e32 vcc, 4, v[0:1]
	s_and_saveexec_b64 s[4:5], vcc
	s_xor_b64 s[4:5], exec, s[4:5]
	s_cbranch_execz .LBB2506_220
; %bb.219:
	v_mov_b32_e32 v0, 0
	s_waitcnt lgkmcnt(0)
	global_store_short v0, v9, s[14:15]
                                        ; implicit-def: $vgpr6
.LBB2506_220:
	s_andn2_saveexec_b64 s[4:5], s[4:5]
	s_cbranch_execz .LBB2506_222
; %bb.221:
	v_mov_b32_e32 v0, 0
	s_waitcnt lgkmcnt(0)
	global_store_short v0, v6, s[14:15]
.LBB2506_222:
	s_or_b64 exec, exec, s[4:5]
                                        ; implicit-def: $vgpr8
.LBB2506_223:
	s_andn2_saveexec_b64 s[2:3], s[2:3]
	s_cbranch_execz .LBB2506_225
; %bb.224:
	v_mov_b32_e32 v0, 0
	s_waitcnt lgkmcnt(0)
	global_store_short v0, v8, s[14:15]
.LBB2506_225:
	s_or_b64 exec, exec, s[2:3]
                                        ; implicit-def: $vgpr0_vgpr1
                                        ; implicit-def: $vgpr7
                                        ; implicit-def: $vgpr4
                                        ; implicit-def: $vgpr5
.LBB2506_226:
	s_andn2_saveexec_b64 s[0:1], s[0:1]
	s_cbranch_execz .LBB2506_150
; %bb.227:
	v_cmp_lt_i64_e32 vcc, 1, v[0:1]
	s_and_saveexec_b64 s[0:1], vcc
	s_xor_b64 s[0:1], exec, s[0:1]
	s_cbranch_execz .LBB2506_229
; %bb.228:
	v_mov_b32_e32 v0, 0
	s_waitcnt lgkmcnt(0)
	global_store_short v0, v7, s[14:15]
                                        ; implicit-def: $vgpr4
                                        ; implicit-def: $vgpr0_vgpr1
                                        ; implicit-def: $vgpr5
.LBB2506_229:
	s_andn2_saveexec_b64 s[0:1], s[0:1]
	s_cbranch_execz .LBB2506_150
; %bb.230:
	v_cmp_ne_u64_e32 vcc, 1, v[0:1]
	s_and_saveexec_b64 s[0:1], vcc
	s_xor_b64 s[0:1], exec, s[0:1]
	s_cbranch_execz .LBB2506_232
; %bb.231:
	v_mov_b32_e32 v0, 0
	s_waitcnt lgkmcnt(0)
	global_store_short v0, v5, s[14:15]
                                        ; implicit-def: $vgpr4
.LBB2506_232:
	s_andn2_saveexec_b64 s[0:1], s[0:1]
	s_cbranch_execz .LBB2506_150
; %bb.233:
	v_mov_b32_e32 v0, 0
	s_waitcnt lgkmcnt(0)
	global_store_short v0, v4, s[14:15]
	s_endpgm
	.section	.rodata,"a",@progbits
	.p2align	6, 0x0
	.amdhsa_kernel _ZN7rocprim17ROCPRIM_400000_NS6detail17trampoline_kernelINS0_14default_configENS1_20scan_config_selectorItEEZZNS1_9scan_implILNS1_25lookback_scan_determinismE0ELb1ELb1ES3_N6thrust23THRUST_200600_302600_NS6detail15normal_iteratorINS9_10device_ptrItEEEESE_t11max_functorItEtEEDaPvRmT3_T4_T5_mT6_P12ihipStream_tbENKUlT_T0_E_clISt17integral_constantIbLb1EESU_EEDaSP_SQ_EUlSP_E_NS1_11comp_targetILNS1_3genE4ELNS1_11target_archE910ELNS1_3gpuE8ELNS1_3repE0EEENS1_30default_config_static_selectorELNS0_4arch9wavefront6targetE1EEEvT1_
		.amdhsa_group_segment_fixed_size 3072
		.amdhsa_private_segment_fixed_size 0
		.amdhsa_kernarg_size 96
		.amdhsa_user_sgpr_count 6
		.amdhsa_user_sgpr_private_segment_buffer 1
		.amdhsa_user_sgpr_dispatch_ptr 0
		.amdhsa_user_sgpr_queue_ptr 0
		.amdhsa_user_sgpr_kernarg_segment_ptr 1
		.amdhsa_user_sgpr_dispatch_id 0
		.amdhsa_user_sgpr_flat_scratch_init 0
		.amdhsa_user_sgpr_kernarg_preload_length 0
		.amdhsa_user_sgpr_kernarg_preload_offset 0
		.amdhsa_user_sgpr_private_segment_size 0
		.amdhsa_uses_dynamic_stack 0
		.amdhsa_system_sgpr_private_segment_wavefront_offset 0
		.amdhsa_system_sgpr_workgroup_id_x 1
		.amdhsa_system_sgpr_workgroup_id_y 0
		.amdhsa_system_sgpr_workgroup_id_z 0
		.amdhsa_system_sgpr_workgroup_info 0
		.amdhsa_system_vgpr_workitem_id 0
		.amdhsa_next_free_vgpr 58
		.amdhsa_next_free_sgpr 39
		.amdhsa_accum_offset 60
		.amdhsa_reserve_vcc 1
		.amdhsa_reserve_flat_scratch 0
		.amdhsa_float_round_mode_32 0
		.amdhsa_float_round_mode_16_64 0
		.amdhsa_float_denorm_mode_32 3
		.amdhsa_float_denorm_mode_16_64 3
		.amdhsa_dx10_clamp 1
		.amdhsa_ieee_mode 1
		.amdhsa_fp16_overflow 0
		.amdhsa_tg_split 0
		.amdhsa_exception_fp_ieee_invalid_op 0
		.amdhsa_exception_fp_denorm_src 0
		.amdhsa_exception_fp_ieee_div_zero 0
		.amdhsa_exception_fp_ieee_overflow 0
		.amdhsa_exception_fp_ieee_underflow 0
		.amdhsa_exception_fp_ieee_inexact 0
		.amdhsa_exception_int_div_zero 0
	.end_amdhsa_kernel
	.section	.text._ZN7rocprim17ROCPRIM_400000_NS6detail17trampoline_kernelINS0_14default_configENS1_20scan_config_selectorItEEZZNS1_9scan_implILNS1_25lookback_scan_determinismE0ELb1ELb1ES3_N6thrust23THRUST_200600_302600_NS6detail15normal_iteratorINS9_10device_ptrItEEEESE_t11max_functorItEtEEDaPvRmT3_T4_T5_mT6_P12ihipStream_tbENKUlT_T0_E_clISt17integral_constantIbLb1EESU_EEDaSP_SQ_EUlSP_E_NS1_11comp_targetILNS1_3genE4ELNS1_11target_archE910ELNS1_3gpuE8ELNS1_3repE0EEENS1_30default_config_static_selectorELNS0_4arch9wavefront6targetE1EEEvT1_,"axG",@progbits,_ZN7rocprim17ROCPRIM_400000_NS6detail17trampoline_kernelINS0_14default_configENS1_20scan_config_selectorItEEZZNS1_9scan_implILNS1_25lookback_scan_determinismE0ELb1ELb1ES3_N6thrust23THRUST_200600_302600_NS6detail15normal_iteratorINS9_10device_ptrItEEEESE_t11max_functorItEtEEDaPvRmT3_T4_T5_mT6_P12ihipStream_tbENKUlT_T0_E_clISt17integral_constantIbLb1EESU_EEDaSP_SQ_EUlSP_E_NS1_11comp_targetILNS1_3genE4ELNS1_11target_archE910ELNS1_3gpuE8ELNS1_3repE0EEENS1_30default_config_static_selectorELNS0_4arch9wavefront6targetE1EEEvT1_,comdat
.Lfunc_end2506:
	.size	_ZN7rocprim17ROCPRIM_400000_NS6detail17trampoline_kernelINS0_14default_configENS1_20scan_config_selectorItEEZZNS1_9scan_implILNS1_25lookback_scan_determinismE0ELb1ELb1ES3_N6thrust23THRUST_200600_302600_NS6detail15normal_iteratorINS9_10device_ptrItEEEESE_t11max_functorItEtEEDaPvRmT3_T4_T5_mT6_P12ihipStream_tbENKUlT_T0_E_clISt17integral_constantIbLb1EESU_EEDaSP_SQ_EUlSP_E_NS1_11comp_targetILNS1_3genE4ELNS1_11target_archE910ELNS1_3gpuE8ELNS1_3repE0EEENS1_30default_config_static_selectorELNS0_4arch9wavefront6targetE1EEEvT1_, .Lfunc_end2506-_ZN7rocprim17ROCPRIM_400000_NS6detail17trampoline_kernelINS0_14default_configENS1_20scan_config_selectorItEEZZNS1_9scan_implILNS1_25lookback_scan_determinismE0ELb1ELb1ES3_N6thrust23THRUST_200600_302600_NS6detail15normal_iteratorINS9_10device_ptrItEEEESE_t11max_functorItEtEEDaPvRmT3_T4_T5_mT6_P12ihipStream_tbENKUlT_T0_E_clISt17integral_constantIbLb1EESU_EEDaSP_SQ_EUlSP_E_NS1_11comp_targetILNS1_3genE4ELNS1_11target_archE910ELNS1_3gpuE8ELNS1_3repE0EEENS1_30default_config_static_selectorELNS0_4arch9wavefront6targetE1EEEvT1_
                                        ; -- End function
	.section	.AMDGPU.csdata,"",@progbits
; Kernel info:
; codeLenInByte = 8064
; NumSgprs: 43
; NumVgprs: 58
; NumAgprs: 0
; TotalNumVgprs: 58
; ScratchSize: 0
; MemoryBound: 0
; FloatMode: 240
; IeeeMode: 1
; LDSByteSize: 3072 bytes/workgroup (compile time only)
; SGPRBlocks: 5
; VGPRBlocks: 7
; NumSGPRsForWavesPerEU: 43
; NumVGPRsForWavesPerEU: 58
; AccumOffset: 60
; Occupancy: 6
; WaveLimiterHint : 1
; COMPUTE_PGM_RSRC2:SCRATCH_EN: 0
; COMPUTE_PGM_RSRC2:USER_SGPR: 6
; COMPUTE_PGM_RSRC2:TRAP_HANDLER: 0
; COMPUTE_PGM_RSRC2:TGID_X_EN: 1
; COMPUTE_PGM_RSRC2:TGID_Y_EN: 0
; COMPUTE_PGM_RSRC2:TGID_Z_EN: 0
; COMPUTE_PGM_RSRC2:TIDIG_COMP_CNT: 0
; COMPUTE_PGM_RSRC3_GFX90A:ACCUM_OFFSET: 14
; COMPUTE_PGM_RSRC3_GFX90A:TG_SPLIT: 0
	.section	.text._ZN7rocprim17ROCPRIM_400000_NS6detail17trampoline_kernelINS0_14default_configENS1_20scan_config_selectorItEEZZNS1_9scan_implILNS1_25lookback_scan_determinismE0ELb1ELb1ES3_N6thrust23THRUST_200600_302600_NS6detail15normal_iteratorINS9_10device_ptrItEEEESE_t11max_functorItEtEEDaPvRmT3_T4_T5_mT6_P12ihipStream_tbENKUlT_T0_E_clISt17integral_constantIbLb1EESU_EEDaSP_SQ_EUlSP_E_NS1_11comp_targetILNS1_3genE3ELNS1_11target_archE908ELNS1_3gpuE7ELNS1_3repE0EEENS1_30default_config_static_selectorELNS0_4arch9wavefront6targetE1EEEvT1_,"axG",@progbits,_ZN7rocprim17ROCPRIM_400000_NS6detail17trampoline_kernelINS0_14default_configENS1_20scan_config_selectorItEEZZNS1_9scan_implILNS1_25lookback_scan_determinismE0ELb1ELb1ES3_N6thrust23THRUST_200600_302600_NS6detail15normal_iteratorINS9_10device_ptrItEEEESE_t11max_functorItEtEEDaPvRmT3_T4_T5_mT6_P12ihipStream_tbENKUlT_T0_E_clISt17integral_constantIbLb1EESU_EEDaSP_SQ_EUlSP_E_NS1_11comp_targetILNS1_3genE3ELNS1_11target_archE908ELNS1_3gpuE7ELNS1_3repE0EEENS1_30default_config_static_selectorELNS0_4arch9wavefront6targetE1EEEvT1_,comdat
	.protected	_ZN7rocprim17ROCPRIM_400000_NS6detail17trampoline_kernelINS0_14default_configENS1_20scan_config_selectorItEEZZNS1_9scan_implILNS1_25lookback_scan_determinismE0ELb1ELb1ES3_N6thrust23THRUST_200600_302600_NS6detail15normal_iteratorINS9_10device_ptrItEEEESE_t11max_functorItEtEEDaPvRmT3_T4_T5_mT6_P12ihipStream_tbENKUlT_T0_E_clISt17integral_constantIbLb1EESU_EEDaSP_SQ_EUlSP_E_NS1_11comp_targetILNS1_3genE3ELNS1_11target_archE908ELNS1_3gpuE7ELNS1_3repE0EEENS1_30default_config_static_selectorELNS0_4arch9wavefront6targetE1EEEvT1_ ; -- Begin function _ZN7rocprim17ROCPRIM_400000_NS6detail17trampoline_kernelINS0_14default_configENS1_20scan_config_selectorItEEZZNS1_9scan_implILNS1_25lookback_scan_determinismE0ELb1ELb1ES3_N6thrust23THRUST_200600_302600_NS6detail15normal_iteratorINS9_10device_ptrItEEEESE_t11max_functorItEtEEDaPvRmT3_T4_T5_mT6_P12ihipStream_tbENKUlT_T0_E_clISt17integral_constantIbLb1EESU_EEDaSP_SQ_EUlSP_E_NS1_11comp_targetILNS1_3genE3ELNS1_11target_archE908ELNS1_3gpuE7ELNS1_3repE0EEENS1_30default_config_static_selectorELNS0_4arch9wavefront6targetE1EEEvT1_
	.globl	_ZN7rocprim17ROCPRIM_400000_NS6detail17trampoline_kernelINS0_14default_configENS1_20scan_config_selectorItEEZZNS1_9scan_implILNS1_25lookback_scan_determinismE0ELb1ELb1ES3_N6thrust23THRUST_200600_302600_NS6detail15normal_iteratorINS9_10device_ptrItEEEESE_t11max_functorItEtEEDaPvRmT3_T4_T5_mT6_P12ihipStream_tbENKUlT_T0_E_clISt17integral_constantIbLb1EESU_EEDaSP_SQ_EUlSP_E_NS1_11comp_targetILNS1_3genE3ELNS1_11target_archE908ELNS1_3gpuE7ELNS1_3repE0EEENS1_30default_config_static_selectorELNS0_4arch9wavefront6targetE1EEEvT1_
	.p2align	8
	.type	_ZN7rocprim17ROCPRIM_400000_NS6detail17trampoline_kernelINS0_14default_configENS1_20scan_config_selectorItEEZZNS1_9scan_implILNS1_25lookback_scan_determinismE0ELb1ELb1ES3_N6thrust23THRUST_200600_302600_NS6detail15normal_iteratorINS9_10device_ptrItEEEESE_t11max_functorItEtEEDaPvRmT3_T4_T5_mT6_P12ihipStream_tbENKUlT_T0_E_clISt17integral_constantIbLb1EESU_EEDaSP_SQ_EUlSP_E_NS1_11comp_targetILNS1_3genE3ELNS1_11target_archE908ELNS1_3gpuE7ELNS1_3repE0EEENS1_30default_config_static_selectorELNS0_4arch9wavefront6targetE1EEEvT1_,@function
_ZN7rocprim17ROCPRIM_400000_NS6detail17trampoline_kernelINS0_14default_configENS1_20scan_config_selectorItEEZZNS1_9scan_implILNS1_25lookback_scan_determinismE0ELb1ELb1ES3_N6thrust23THRUST_200600_302600_NS6detail15normal_iteratorINS9_10device_ptrItEEEESE_t11max_functorItEtEEDaPvRmT3_T4_T5_mT6_P12ihipStream_tbENKUlT_T0_E_clISt17integral_constantIbLb1EESU_EEDaSP_SQ_EUlSP_E_NS1_11comp_targetILNS1_3genE3ELNS1_11target_archE908ELNS1_3gpuE7ELNS1_3repE0EEENS1_30default_config_static_selectorELNS0_4arch9wavefront6targetE1EEEvT1_: ; @_ZN7rocprim17ROCPRIM_400000_NS6detail17trampoline_kernelINS0_14default_configENS1_20scan_config_selectorItEEZZNS1_9scan_implILNS1_25lookback_scan_determinismE0ELb1ELb1ES3_N6thrust23THRUST_200600_302600_NS6detail15normal_iteratorINS9_10device_ptrItEEEESE_t11max_functorItEtEEDaPvRmT3_T4_T5_mT6_P12ihipStream_tbENKUlT_T0_E_clISt17integral_constantIbLb1EESU_EEDaSP_SQ_EUlSP_E_NS1_11comp_targetILNS1_3genE3ELNS1_11target_archE908ELNS1_3gpuE7ELNS1_3repE0EEENS1_30default_config_static_selectorELNS0_4arch9wavefront6targetE1EEEvT1_
; %bb.0:
	.section	.rodata,"a",@progbits
	.p2align	6, 0x0
	.amdhsa_kernel _ZN7rocprim17ROCPRIM_400000_NS6detail17trampoline_kernelINS0_14default_configENS1_20scan_config_selectorItEEZZNS1_9scan_implILNS1_25lookback_scan_determinismE0ELb1ELb1ES3_N6thrust23THRUST_200600_302600_NS6detail15normal_iteratorINS9_10device_ptrItEEEESE_t11max_functorItEtEEDaPvRmT3_T4_T5_mT6_P12ihipStream_tbENKUlT_T0_E_clISt17integral_constantIbLb1EESU_EEDaSP_SQ_EUlSP_E_NS1_11comp_targetILNS1_3genE3ELNS1_11target_archE908ELNS1_3gpuE7ELNS1_3repE0EEENS1_30default_config_static_selectorELNS0_4arch9wavefront6targetE1EEEvT1_
		.amdhsa_group_segment_fixed_size 0
		.amdhsa_private_segment_fixed_size 0
		.amdhsa_kernarg_size 96
		.amdhsa_user_sgpr_count 6
		.amdhsa_user_sgpr_private_segment_buffer 1
		.amdhsa_user_sgpr_dispatch_ptr 0
		.amdhsa_user_sgpr_queue_ptr 0
		.amdhsa_user_sgpr_kernarg_segment_ptr 1
		.amdhsa_user_sgpr_dispatch_id 0
		.amdhsa_user_sgpr_flat_scratch_init 0
		.amdhsa_user_sgpr_kernarg_preload_length 0
		.amdhsa_user_sgpr_kernarg_preload_offset 0
		.amdhsa_user_sgpr_private_segment_size 0
		.amdhsa_uses_dynamic_stack 0
		.amdhsa_system_sgpr_private_segment_wavefront_offset 0
		.amdhsa_system_sgpr_workgroup_id_x 1
		.amdhsa_system_sgpr_workgroup_id_y 0
		.amdhsa_system_sgpr_workgroup_id_z 0
		.amdhsa_system_sgpr_workgroup_info 0
		.amdhsa_system_vgpr_workitem_id 0
		.amdhsa_next_free_vgpr 1
		.amdhsa_next_free_sgpr 0
		.amdhsa_accum_offset 4
		.amdhsa_reserve_vcc 0
		.amdhsa_reserve_flat_scratch 0
		.amdhsa_float_round_mode_32 0
		.amdhsa_float_round_mode_16_64 0
		.amdhsa_float_denorm_mode_32 3
		.amdhsa_float_denorm_mode_16_64 3
		.amdhsa_dx10_clamp 1
		.amdhsa_ieee_mode 1
		.amdhsa_fp16_overflow 0
		.amdhsa_tg_split 0
		.amdhsa_exception_fp_ieee_invalid_op 0
		.amdhsa_exception_fp_denorm_src 0
		.amdhsa_exception_fp_ieee_div_zero 0
		.amdhsa_exception_fp_ieee_overflow 0
		.amdhsa_exception_fp_ieee_underflow 0
		.amdhsa_exception_fp_ieee_inexact 0
		.amdhsa_exception_int_div_zero 0
	.end_amdhsa_kernel
	.section	.text._ZN7rocprim17ROCPRIM_400000_NS6detail17trampoline_kernelINS0_14default_configENS1_20scan_config_selectorItEEZZNS1_9scan_implILNS1_25lookback_scan_determinismE0ELb1ELb1ES3_N6thrust23THRUST_200600_302600_NS6detail15normal_iteratorINS9_10device_ptrItEEEESE_t11max_functorItEtEEDaPvRmT3_T4_T5_mT6_P12ihipStream_tbENKUlT_T0_E_clISt17integral_constantIbLb1EESU_EEDaSP_SQ_EUlSP_E_NS1_11comp_targetILNS1_3genE3ELNS1_11target_archE908ELNS1_3gpuE7ELNS1_3repE0EEENS1_30default_config_static_selectorELNS0_4arch9wavefront6targetE1EEEvT1_,"axG",@progbits,_ZN7rocprim17ROCPRIM_400000_NS6detail17trampoline_kernelINS0_14default_configENS1_20scan_config_selectorItEEZZNS1_9scan_implILNS1_25lookback_scan_determinismE0ELb1ELb1ES3_N6thrust23THRUST_200600_302600_NS6detail15normal_iteratorINS9_10device_ptrItEEEESE_t11max_functorItEtEEDaPvRmT3_T4_T5_mT6_P12ihipStream_tbENKUlT_T0_E_clISt17integral_constantIbLb1EESU_EEDaSP_SQ_EUlSP_E_NS1_11comp_targetILNS1_3genE3ELNS1_11target_archE908ELNS1_3gpuE7ELNS1_3repE0EEENS1_30default_config_static_selectorELNS0_4arch9wavefront6targetE1EEEvT1_,comdat
.Lfunc_end2507:
	.size	_ZN7rocprim17ROCPRIM_400000_NS6detail17trampoline_kernelINS0_14default_configENS1_20scan_config_selectorItEEZZNS1_9scan_implILNS1_25lookback_scan_determinismE0ELb1ELb1ES3_N6thrust23THRUST_200600_302600_NS6detail15normal_iteratorINS9_10device_ptrItEEEESE_t11max_functorItEtEEDaPvRmT3_T4_T5_mT6_P12ihipStream_tbENKUlT_T0_E_clISt17integral_constantIbLb1EESU_EEDaSP_SQ_EUlSP_E_NS1_11comp_targetILNS1_3genE3ELNS1_11target_archE908ELNS1_3gpuE7ELNS1_3repE0EEENS1_30default_config_static_selectorELNS0_4arch9wavefront6targetE1EEEvT1_, .Lfunc_end2507-_ZN7rocprim17ROCPRIM_400000_NS6detail17trampoline_kernelINS0_14default_configENS1_20scan_config_selectorItEEZZNS1_9scan_implILNS1_25lookback_scan_determinismE0ELb1ELb1ES3_N6thrust23THRUST_200600_302600_NS6detail15normal_iteratorINS9_10device_ptrItEEEESE_t11max_functorItEtEEDaPvRmT3_T4_T5_mT6_P12ihipStream_tbENKUlT_T0_E_clISt17integral_constantIbLb1EESU_EEDaSP_SQ_EUlSP_E_NS1_11comp_targetILNS1_3genE3ELNS1_11target_archE908ELNS1_3gpuE7ELNS1_3repE0EEENS1_30default_config_static_selectorELNS0_4arch9wavefront6targetE1EEEvT1_
                                        ; -- End function
	.section	.AMDGPU.csdata,"",@progbits
; Kernel info:
; codeLenInByte = 0
; NumSgprs: 4
; NumVgprs: 0
; NumAgprs: 0
; TotalNumVgprs: 0
; ScratchSize: 0
; MemoryBound: 0
; FloatMode: 240
; IeeeMode: 1
; LDSByteSize: 0 bytes/workgroup (compile time only)
; SGPRBlocks: 0
; VGPRBlocks: 0
; NumSGPRsForWavesPerEU: 4
; NumVGPRsForWavesPerEU: 1
; AccumOffset: 4
; Occupancy: 8
; WaveLimiterHint : 0
; COMPUTE_PGM_RSRC2:SCRATCH_EN: 0
; COMPUTE_PGM_RSRC2:USER_SGPR: 6
; COMPUTE_PGM_RSRC2:TRAP_HANDLER: 0
; COMPUTE_PGM_RSRC2:TGID_X_EN: 1
; COMPUTE_PGM_RSRC2:TGID_Y_EN: 0
; COMPUTE_PGM_RSRC2:TGID_Z_EN: 0
; COMPUTE_PGM_RSRC2:TIDIG_COMP_CNT: 0
; COMPUTE_PGM_RSRC3_GFX90A:ACCUM_OFFSET: 0
; COMPUTE_PGM_RSRC3_GFX90A:TG_SPLIT: 0
	.section	.text._ZN7rocprim17ROCPRIM_400000_NS6detail17trampoline_kernelINS0_14default_configENS1_20scan_config_selectorItEEZZNS1_9scan_implILNS1_25lookback_scan_determinismE0ELb1ELb1ES3_N6thrust23THRUST_200600_302600_NS6detail15normal_iteratorINS9_10device_ptrItEEEESE_t11max_functorItEtEEDaPvRmT3_T4_T5_mT6_P12ihipStream_tbENKUlT_T0_E_clISt17integral_constantIbLb1EESU_EEDaSP_SQ_EUlSP_E_NS1_11comp_targetILNS1_3genE2ELNS1_11target_archE906ELNS1_3gpuE6ELNS1_3repE0EEENS1_30default_config_static_selectorELNS0_4arch9wavefront6targetE1EEEvT1_,"axG",@progbits,_ZN7rocprim17ROCPRIM_400000_NS6detail17trampoline_kernelINS0_14default_configENS1_20scan_config_selectorItEEZZNS1_9scan_implILNS1_25lookback_scan_determinismE0ELb1ELb1ES3_N6thrust23THRUST_200600_302600_NS6detail15normal_iteratorINS9_10device_ptrItEEEESE_t11max_functorItEtEEDaPvRmT3_T4_T5_mT6_P12ihipStream_tbENKUlT_T0_E_clISt17integral_constantIbLb1EESU_EEDaSP_SQ_EUlSP_E_NS1_11comp_targetILNS1_3genE2ELNS1_11target_archE906ELNS1_3gpuE6ELNS1_3repE0EEENS1_30default_config_static_selectorELNS0_4arch9wavefront6targetE1EEEvT1_,comdat
	.protected	_ZN7rocprim17ROCPRIM_400000_NS6detail17trampoline_kernelINS0_14default_configENS1_20scan_config_selectorItEEZZNS1_9scan_implILNS1_25lookback_scan_determinismE0ELb1ELb1ES3_N6thrust23THRUST_200600_302600_NS6detail15normal_iteratorINS9_10device_ptrItEEEESE_t11max_functorItEtEEDaPvRmT3_T4_T5_mT6_P12ihipStream_tbENKUlT_T0_E_clISt17integral_constantIbLb1EESU_EEDaSP_SQ_EUlSP_E_NS1_11comp_targetILNS1_3genE2ELNS1_11target_archE906ELNS1_3gpuE6ELNS1_3repE0EEENS1_30default_config_static_selectorELNS0_4arch9wavefront6targetE1EEEvT1_ ; -- Begin function _ZN7rocprim17ROCPRIM_400000_NS6detail17trampoline_kernelINS0_14default_configENS1_20scan_config_selectorItEEZZNS1_9scan_implILNS1_25lookback_scan_determinismE0ELb1ELb1ES3_N6thrust23THRUST_200600_302600_NS6detail15normal_iteratorINS9_10device_ptrItEEEESE_t11max_functorItEtEEDaPvRmT3_T4_T5_mT6_P12ihipStream_tbENKUlT_T0_E_clISt17integral_constantIbLb1EESU_EEDaSP_SQ_EUlSP_E_NS1_11comp_targetILNS1_3genE2ELNS1_11target_archE906ELNS1_3gpuE6ELNS1_3repE0EEENS1_30default_config_static_selectorELNS0_4arch9wavefront6targetE1EEEvT1_
	.globl	_ZN7rocprim17ROCPRIM_400000_NS6detail17trampoline_kernelINS0_14default_configENS1_20scan_config_selectorItEEZZNS1_9scan_implILNS1_25lookback_scan_determinismE0ELb1ELb1ES3_N6thrust23THRUST_200600_302600_NS6detail15normal_iteratorINS9_10device_ptrItEEEESE_t11max_functorItEtEEDaPvRmT3_T4_T5_mT6_P12ihipStream_tbENKUlT_T0_E_clISt17integral_constantIbLb1EESU_EEDaSP_SQ_EUlSP_E_NS1_11comp_targetILNS1_3genE2ELNS1_11target_archE906ELNS1_3gpuE6ELNS1_3repE0EEENS1_30default_config_static_selectorELNS0_4arch9wavefront6targetE1EEEvT1_
	.p2align	8
	.type	_ZN7rocprim17ROCPRIM_400000_NS6detail17trampoline_kernelINS0_14default_configENS1_20scan_config_selectorItEEZZNS1_9scan_implILNS1_25lookback_scan_determinismE0ELb1ELb1ES3_N6thrust23THRUST_200600_302600_NS6detail15normal_iteratorINS9_10device_ptrItEEEESE_t11max_functorItEtEEDaPvRmT3_T4_T5_mT6_P12ihipStream_tbENKUlT_T0_E_clISt17integral_constantIbLb1EESU_EEDaSP_SQ_EUlSP_E_NS1_11comp_targetILNS1_3genE2ELNS1_11target_archE906ELNS1_3gpuE6ELNS1_3repE0EEENS1_30default_config_static_selectorELNS0_4arch9wavefront6targetE1EEEvT1_,@function
_ZN7rocprim17ROCPRIM_400000_NS6detail17trampoline_kernelINS0_14default_configENS1_20scan_config_selectorItEEZZNS1_9scan_implILNS1_25lookback_scan_determinismE0ELb1ELb1ES3_N6thrust23THRUST_200600_302600_NS6detail15normal_iteratorINS9_10device_ptrItEEEESE_t11max_functorItEtEEDaPvRmT3_T4_T5_mT6_P12ihipStream_tbENKUlT_T0_E_clISt17integral_constantIbLb1EESU_EEDaSP_SQ_EUlSP_E_NS1_11comp_targetILNS1_3genE2ELNS1_11target_archE906ELNS1_3gpuE6ELNS1_3repE0EEENS1_30default_config_static_selectorELNS0_4arch9wavefront6targetE1EEEvT1_: ; @_ZN7rocprim17ROCPRIM_400000_NS6detail17trampoline_kernelINS0_14default_configENS1_20scan_config_selectorItEEZZNS1_9scan_implILNS1_25lookback_scan_determinismE0ELb1ELb1ES3_N6thrust23THRUST_200600_302600_NS6detail15normal_iteratorINS9_10device_ptrItEEEESE_t11max_functorItEtEEDaPvRmT3_T4_T5_mT6_P12ihipStream_tbENKUlT_T0_E_clISt17integral_constantIbLb1EESU_EEDaSP_SQ_EUlSP_E_NS1_11comp_targetILNS1_3genE2ELNS1_11target_archE906ELNS1_3gpuE6ELNS1_3repE0EEENS1_30default_config_static_selectorELNS0_4arch9wavefront6targetE1EEEvT1_
; %bb.0:
	.section	.rodata,"a",@progbits
	.p2align	6, 0x0
	.amdhsa_kernel _ZN7rocprim17ROCPRIM_400000_NS6detail17trampoline_kernelINS0_14default_configENS1_20scan_config_selectorItEEZZNS1_9scan_implILNS1_25lookback_scan_determinismE0ELb1ELb1ES3_N6thrust23THRUST_200600_302600_NS6detail15normal_iteratorINS9_10device_ptrItEEEESE_t11max_functorItEtEEDaPvRmT3_T4_T5_mT6_P12ihipStream_tbENKUlT_T0_E_clISt17integral_constantIbLb1EESU_EEDaSP_SQ_EUlSP_E_NS1_11comp_targetILNS1_3genE2ELNS1_11target_archE906ELNS1_3gpuE6ELNS1_3repE0EEENS1_30default_config_static_selectorELNS0_4arch9wavefront6targetE1EEEvT1_
		.amdhsa_group_segment_fixed_size 0
		.amdhsa_private_segment_fixed_size 0
		.amdhsa_kernarg_size 96
		.amdhsa_user_sgpr_count 6
		.amdhsa_user_sgpr_private_segment_buffer 1
		.amdhsa_user_sgpr_dispatch_ptr 0
		.amdhsa_user_sgpr_queue_ptr 0
		.amdhsa_user_sgpr_kernarg_segment_ptr 1
		.amdhsa_user_sgpr_dispatch_id 0
		.amdhsa_user_sgpr_flat_scratch_init 0
		.amdhsa_user_sgpr_kernarg_preload_length 0
		.amdhsa_user_sgpr_kernarg_preload_offset 0
		.amdhsa_user_sgpr_private_segment_size 0
		.amdhsa_uses_dynamic_stack 0
		.amdhsa_system_sgpr_private_segment_wavefront_offset 0
		.amdhsa_system_sgpr_workgroup_id_x 1
		.amdhsa_system_sgpr_workgroup_id_y 0
		.amdhsa_system_sgpr_workgroup_id_z 0
		.amdhsa_system_sgpr_workgroup_info 0
		.amdhsa_system_vgpr_workitem_id 0
		.amdhsa_next_free_vgpr 1
		.amdhsa_next_free_sgpr 0
		.amdhsa_accum_offset 4
		.amdhsa_reserve_vcc 0
		.amdhsa_reserve_flat_scratch 0
		.amdhsa_float_round_mode_32 0
		.amdhsa_float_round_mode_16_64 0
		.amdhsa_float_denorm_mode_32 3
		.amdhsa_float_denorm_mode_16_64 3
		.amdhsa_dx10_clamp 1
		.amdhsa_ieee_mode 1
		.amdhsa_fp16_overflow 0
		.amdhsa_tg_split 0
		.amdhsa_exception_fp_ieee_invalid_op 0
		.amdhsa_exception_fp_denorm_src 0
		.amdhsa_exception_fp_ieee_div_zero 0
		.amdhsa_exception_fp_ieee_overflow 0
		.amdhsa_exception_fp_ieee_underflow 0
		.amdhsa_exception_fp_ieee_inexact 0
		.amdhsa_exception_int_div_zero 0
	.end_amdhsa_kernel
	.section	.text._ZN7rocprim17ROCPRIM_400000_NS6detail17trampoline_kernelINS0_14default_configENS1_20scan_config_selectorItEEZZNS1_9scan_implILNS1_25lookback_scan_determinismE0ELb1ELb1ES3_N6thrust23THRUST_200600_302600_NS6detail15normal_iteratorINS9_10device_ptrItEEEESE_t11max_functorItEtEEDaPvRmT3_T4_T5_mT6_P12ihipStream_tbENKUlT_T0_E_clISt17integral_constantIbLb1EESU_EEDaSP_SQ_EUlSP_E_NS1_11comp_targetILNS1_3genE2ELNS1_11target_archE906ELNS1_3gpuE6ELNS1_3repE0EEENS1_30default_config_static_selectorELNS0_4arch9wavefront6targetE1EEEvT1_,"axG",@progbits,_ZN7rocprim17ROCPRIM_400000_NS6detail17trampoline_kernelINS0_14default_configENS1_20scan_config_selectorItEEZZNS1_9scan_implILNS1_25lookback_scan_determinismE0ELb1ELb1ES3_N6thrust23THRUST_200600_302600_NS6detail15normal_iteratorINS9_10device_ptrItEEEESE_t11max_functorItEtEEDaPvRmT3_T4_T5_mT6_P12ihipStream_tbENKUlT_T0_E_clISt17integral_constantIbLb1EESU_EEDaSP_SQ_EUlSP_E_NS1_11comp_targetILNS1_3genE2ELNS1_11target_archE906ELNS1_3gpuE6ELNS1_3repE0EEENS1_30default_config_static_selectorELNS0_4arch9wavefront6targetE1EEEvT1_,comdat
.Lfunc_end2508:
	.size	_ZN7rocprim17ROCPRIM_400000_NS6detail17trampoline_kernelINS0_14default_configENS1_20scan_config_selectorItEEZZNS1_9scan_implILNS1_25lookback_scan_determinismE0ELb1ELb1ES3_N6thrust23THRUST_200600_302600_NS6detail15normal_iteratorINS9_10device_ptrItEEEESE_t11max_functorItEtEEDaPvRmT3_T4_T5_mT6_P12ihipStream_tbENKUlT_T0_E_clISt17integral_constantIbLb1EESU_EEDaSP_SQ_EUlSP_E_NS1_11comp_targetILNS1_3genE2ELNS1_11target_archE906ELNS1_3gpuE6ELNS1_3repE0EEENS1_30default_config_static_selectorELNS0_4arch9wavefront6targetE1EEEvT1_, .Lfunc_end2508-_ZN7rocprim17ROCPRIM_400000_NS6detail17trampoline_kernelINS0_14default_configENS1_20scan_config_selectorItEEZZNS1_9scan_implILNS1_25lookback_scan_determinismE0ELb1ELb1ES3_N6thrust23THRUST_200600_302600_NS6detail15normal_iteratorINS9_10device_ptrItEEEESE_t11max_functorItEtEEDaPvRmT3_T4_T5_mT6_P12ihipStream_tbENKUlT_T0_E_clISt17integral_constantIbLb1EESU_EEDaSP_SQ_EUlSP_E_NS1_11comp_targetILNS1_3genE2ELNS1_11target_archE906ELNS1_3gpuE6ELNS1_3repE0EEENS1_30default_config_static_selectorELNS0_4arch9wavefront6targetE1EEEvT1_
                                        ; -- End function
	.section	.AMDGPU.csdata,"",@progbits
; Kernel info:
; codeLenInByte = 0
; NumSgprs: 4
; NumVgprs: 0
; NumAgprs: 0
; TotalNumVgprs: 0
; ScratchSize: 0
; MemoryBound: 0
; FloatMode: 240
; IeeeMode: 1
; LDSByteSize: 0 bytes/workgroup (compile time only)
; SGPRBlocks: 0
; VGPRBlocks: 0
; NumSGPRsForWavesPerEU: 4
; NumVGPRsForWavesPerEU: 1
; AccumOffset: 4
; Occupancy: 8
; WaveLimiterHint : 0
; COMPUTE_PGM_RSRC2:SCRATCH_EN: 0
; COMPUTE_PGM_RSRC2:USER_SGPR: 6
; COMPUTE_PGM_RSRC2:TRAP_HANDLER: 0
; COMPUTE_PGM_RSRC2:TGID_X_EN: 1
; COMPUTE_PGM_RSRC2:TGID_Y_EN: 0
; COMPUTE_PGM_RSRC2:TGID_Z_EN: 0
; COMPUTE_PGM_RSRC2:TIDIG_COMP_CNT: 0
; COMPUTE_PGM_RSRC3_GFX90A:ACCUM_OFFSET: 0
; COMPUTE_PGM_RSRC3_GFX90A:TG_SPLIT: 0
	.section	.text._ZN7rocprim17ROCPRIM_400000_NS6detail17trampoline_kernelINS0_14default_configENS1_20scan_config_selectorItEEZZNS1_9scan_implILNS1_25lookback_scan_determinismE0ELb1ELb1ES3_N6thrust23THRUST_200600_302600_NS6detail15normal_iteratorINS9_10device_ptrItEEEESE_t11max_functorItEtEEDaPvRmT3_T4_T5_mT6_P12ihipStream_tbENKUlT_T0_E_clISt17integral_constantIbLb1EESU_EEDaSP_SQ_EUlSP_E_NS1_11comp_targetILNS1_3genE10ELNS1_11target_archE1201ELNS1_3gpuE5ELNS1_3repE0EEENS1_30default_config_static_selectorELNS0_4arch9wavefront6targetE1EEEvT1_,"axG",@progbits,_ZN7rocprim17ROCPRIM_400000_NS6detail17trampoline_kernelINS0_14default_configENS1_20scan_config_selectorItEEZZNS1_9scan_implILNS1_25lookback_scan_determinismE0ELb1ELb1ES3_N6thrust23THRUST_200600_302600_NS6detail15normal_iteratorINS9_10device_ptrItEEEESE_t11max_functorItEtEEDaPvRmT3_T4_T5_mT6_P12ihipStream_tbENKUlT_T0_E_clISt17integral_constantIbLb1EESU_EEDaSP_SQ_EUlSP_E_NS1_11comp_targetILNS1_3genE10ELNS1_11target_archE1201ELNS1_3gpuE5ELNS1_3repE0EEENS1_30default_config_static_selectorELNS0_4arch9wavefront6targetE1EEEvT1_,comdat
	.protected	_ZN7rocprim17ROCPRIM_400000_NS6detail17trampoline_kernelINS0_14default_configENS1_20scan_config_selectorItEEZZNS1_9scan_implILNS1_25lookback_scan_determinismE0ELb1ELb1ES3_N6thrust23THRUST_200600_302600_NS6detail15normal_iteratorINS9_10device_ptrItEEEESE_t11max_functorItEtEEDaPvRmT3_T4_T5_mT6_P12ihipStream_tbENKUlT_T0_E_clISt17integral_constantIbLb1EESU_EEDaSP_SQ_EUlSP_E_NS1_11comp_targetILNS1_3genE10ELNS1_11target_archE1201ELNS1_3gpuE5ELNS1_3repE0EEENS1_30default_config_static_selectorELNS0_4arch9wavefront6targetE1EEEvT1_ ; -- Begin function _ZN7rocprim17ROCPRIM_400000_NS6detail17trampoline_kernelINS0_14default_configENS1_20scan_config_selectorItEEZZNS1_9scan_implILNS1_25lookback_scan_determinismE0ELb1ELb1ES3_N6thrust23THRUST_200600_302600_NS6detail15normal_iteratorINS9_10device_ptrItEEEESE_t11max_functorItEtEEDaPvRmT3_T4_T5_mT6_P12ihipStream_tbENKUlT_T0_E_clISt17integral_constantIbLb1EESU_EEDaSP_SQ_EUlSP_E_NS1_11comp_targetILNS1_3genE10ELNS1_11target_archE1201ELNS1_3gpuE5ELNS1_3repE0EEENS1_30default_config_static_selectorELNS0_4arch9wavefront6targetE1EEEvT1_
	.globl	_ZN7rocprim17ROCPRIM_400000_NS6detail17trampoline_kernelINS0_14default_configENS1_20scan_config_selectorItEEZZNS1_9scan_implILNS1_25lookback_scan_determinismE0ELb1ELb1ES3_N6thrust23THRUST_200600_302600_NS6detail15normal_iteratorINS9_10device_ptrItEEEESE_t11max_functorItEtEEDaPvRmT3_T4_T5_mT6_P12ihipStream_tbENKUlT_T0_E_clISt17integral_constantIbLb1EESU_EEDaSP_SQ_EUlSP_E_NS1_11comp_targetILNS1_3genE10ELNS1_11target_archE1201ELNS1_3gpuE5ELNS1_3repE0EEENS1_30default_config_static_selectorELNS0_4arch9wavefront6targetE1EEEvT1_
	.p2align	8
	.type	_ZN7rocprim17ROCPRIM_400000_NS6detail17trampoline_kernelINS0_14default_configENS1_20scan_config_selectorItEEZZNS1_9scan_implILNS1_25lookback_scan_determinismE0ELb1ELb1ES3_N6thrust23THRUST_200600_302600_NS6detail15normal_iteratorINS9_10device_ptrItEEEESE_t11max_functorItEtEEDaPvRmT3_T4_T5_mT6_P12ihipStream_tbENKUlT_T0_E_clISt17integral_constantIbLb1EESU_EEDaSP_SQ_EUlSP_E_NS1_11comp_targetILNS1_3genE10ELNS1_11target_archE1201ELNS1_3gpuE5ELNS1_3repE0EEENS1_30default_config_static_selectorELNS0_4arch9wavefront6targetE1EEEvT1_,@function
_ZN7rocprim17ROCPRIM_400000_NS6detail17trampoline_kernelINS0_14default_configENS1_20scan_config_selectorItEEZZNS1_9scan_implILNS1_25lookback_scan_determinismE0ELb1ELb1ES3_N6thrust23THRUST_200600_302600_NS6detail15normal_iteratorINS9_10device_ptrItEEEESE_t11max_functorItEtEEDaPvRmT3_T4_T5_mT6_P12ihipStream_tbENKUlT_T0_E_clISt17integral_constantIbLb1EESU_EEDaSP_SQ_EUlSP_E_NS1_11comp_targetILNS1_3genE10ELNS1_11target_archE1201ELNS1_3gpuE5ELNS1_3repE0EEENS1_30default_config_static_selectorELNS0_4arch9wavefront6targetE1EEEvT1_: ; @_ZN7rocprim17ROCPRIM_400000_NS6detail17trampoline_kernelINS0_14default_configENS1_20scan_config_selectorItEEZZNS1_9scan_implILNS1_25lookback_scan_determinismE0ELb1ELb1ES3_N6thrust23THRUST_200600_302600_NS6detail15normal_iteratorINS9_10device_ptrItEEEESE_t11max_functorItEtEEDaPvRmT3_T4_T5_mT6_P12ihipStream_tbENKUlT_T0_E_clISt17integral_constantIbLb1EESU_EEDaSP_SQ_EUlSP_E_NS1_11comp_targetILNS1_3genE10ELNS1_11target_archE1201ELNS1_3gpuE5ELNS1_3repE0EEENS1_30default_config_static_selectorELNS0_4arch9wavefront6targetE1EEEvT1_
; %bb.0:
	.section	.rodata,"a",@progbits
	.p2align	6, 0x0
	.amdhsa_kernel _ZN7rocprim17ROCPRIM_400000_NS6detail17trampoline_kernelINS0_14default_configENS1_20scan_config_selectorItEEZZNS1_9scan_implILNS1_25lookback_scan_determinismE0ELb1ELb1ES3_N6thrust23THRUST_200600_302600_NS6detail15normal_iteratorINS9_10device_ptrItEEEESE_t11max_functorItEtEEDaPvRmT3_T4_T5_mT6_P12ihipStream_tbENKUlT_T0_E_clISt17integral_constantIbLb1EESU_EEDaSP_SQ_EUlSP_E_NS1_11comp_targetILNS1_3genE10ELNS1_11target_archE1201ELNS1_3gpuE5ELNS1_3repE0EEENS1_30default_config_static_selectorELNS0_4arch9wavefront6targetE1EEEvT1_
		.amdhsa_group_segment_fixed_size 0
		.amdhsa_private_segment_fixed_size 0
		.amdhsa_kernarg_size 96
		.amdhsa_user_sgpr_count 6
		.amdhsa_user_sgpr_private_segment_buffer 1
		.amdhsa_user_sgpr_dispatch_ptr 0
		.amdhsa_user_sgpr_queue_ptr 0
		.amdhsa_user_sgpr_kernarg_segment_ptr 1
		.amdhsa_user_sgpr_dispatch_id 0
		.amdhsa_user_sgpr_flat_scratch_init 0
		.amdhsa_user_sgpr_kernarg_preload_length 0
		.amdhsa_user_sgpr_kernarg_preload_offset 0
		.amdhsa_user_sgpr_private_segment_size 0
		.amdhsa_uses_dynamic_stack 0
		.amdhsa_system_sgpr_private_segment_wavefront_offset 0
		.amdhsa_system_sgpr_workgroup_id_x 1
		.amdhsa_system_sgpr_workgroup_id_y 0
		.amdhsa_system_sgpr_workgroup_id_z 0
		.amdhsa_system_sgpr_workgroup_info 0
		.amdhsa_system_vgpr_workitem_id 0
		.amdhsa_next_free_vgpr 1
		.amdhsa_next_free_sgpr 0
		.amdhsa_accum_offset 4
		.amdhsa_reserve_vcc 0
		.amdhsa_reserve_flat_scratch 0
		.amdhsa_float_round_mode_32 0
		.amdhsa_float_round_mode_16_64 0
		.amdhsa_float_denorm_mode_32 3
		.amdhsa_float_denorm_mode_16_64 3
		.amdhsa_dx10_clamp 1
		.amdhsa_ieee_mode 1
		.amdhsa_fp16_overflow 0
		.amdhsa_tg_split 0
		.amdhsa_exception_fp_ieee_invalid_op 0
		.amdhsa_exception_fp_denorm_src 0
		.amdhsa_exception_fp_ieee_div_zero 0
		.amdhsa_exception_fp_ieee_overflow 0
		.amdhsa_exception_fp_ieee_underflow 0
		.amdhsa_exception_fp_ieee_inexact 0
		.amdhsa_exception_int_div_zero 0
	.end_amdhsa_kernel
	.section	.text._ZN7rocprim17ROCPRIM_400000_NS6detail17trampoline_kernelINS0_14default_configENS1_20scan_config_selectorItEEZZNS1_9scan_implILNS1_25lookback_scan_determinismE0ELb1ELb1ES3_N6thrust23THRUST_200600_302600_NS6detail15normal_iteratorINS9_10device_ptrItEEEESE_t11max_functorItEtEEDaPvRmT3_T4_T5_mT6_P12ihipStream_tbENKUlT_T0_E_clISt17integral_constantIbLb1EESU_EEDaSP_SQ_EUlSP_E_NS1_11comp_targetILNS1_3genE10ELNS1_11target_archE1201ELNS1_3gpuE5ELNS1_3repE0EEENS1_30default_config_static_selectorELNS0_4arch9wavefront6targetE1EEEvT1_,"axG",@progbits,_ZN7rocprim17ROCPRIM_400000_NS6detail17trampoline_kernelINS0_14default_configENS1_20scan_config_selectorItEEZZNS1_9scan_implILNS1_25lookback_scan_determinismE0ELb1ELb1ES3_N6thrust23THRUST_200600_302600_NS6detail15normal_iteratorINS9_10device_ptrItEEEESE_t11max_functorItEtEEDaPvRmT3_T4_T5_mT6_P12ihipStream_tbENKUlT_T0_E_clISt17integral_constantIbLb1EESU_EEDaSP_SQ_EUlSP_E_NS1_11comp_targetILNS1_3genE10ELNS1_11target_archE1201ELNS1_3gpuE5ELNS1_3repE0EEENS1_30default_config_static_selectorELNS0_4arch9wavefront6targetE1EEEvT1_,comdat
.Lfunc_end2509:
	.size	_ZN7rocprim17ROCPRIM_400000_NS6detail17trampoline_kernelINS0_14default_configENS1_20scan_config_selectorItEEZZNS1_9scan_implILNS1_25lookback_scan_determinismE0ELb1ELb1ES3_N6thrust23THRUST_200600_302600_NS6detail15normal_iteratorINS9_10device_ptrItEEEESE_t11max_functorItEtEEDaPvRmT3_T4_T5_mT6_P12ihipStream_tbENKUlT_T0_E_clISt17integral_constantIbLb1EESU_EEDaSP_SQ_EUlSP_E_NS1_11comp_targetILNS1_3genE10ELNS1_11target_archE1201ELNS1_3gpuE5ELNS1_3repE0EEENS1_30default_config_static_selectorELNS0_4arch9wavefront6targetE1EEEvT1_, .Lfunc_end2509-_ZN7rocprim17ROCPRIM_400000_NS6detail17trampoline_kernelINS0_14default_configENS1_20scan_config_selectorItEEZZNS1_9scan_implILNS1_25lookback_scan_determinismE0ELb1ELb1ES3_N6thrust23THRUST_200600_302600_NS6detail15normal_iteratorINS9_10device_ptrItEEEESE_t11max_functorItEtEEDaPvRmT3_T4_T5_mT6_P12ihipStream_tbENKUlT_T0_E_clISt17integral_constantIbLb1EESU_EEDaSP_SQ_EUlSP_E_NS1_11comp_targetILNS1_3genE10ELNS1_11target_archE1201ELNS1_3gpuE5ELNS1_3repE0EEENS1_30default_config_static_selectorELNS0_4arch9wavefront6targetE1EEEvT1_
                                        ; -- End function
	.section	.AMDGPU.csdata,"",@progbits
; Kernel info:
; codeLenInByte = 0
; NumSgprs: 4
; NumVgprs: 0
; NumAgprs: 0
; TotalNumVgprs: 0
; ScratchSize: 0
; MemoryBound: 0
; FloatMode: 240
; IeeeMode: 1
; LDSByteSize: 0 bytes/workgroup (compile time only)
; SGPRBlocks: 0
; VGPRBlocks: 0
; NumSGPRsForWavesPerEU: 4
; NumVGPRsForWavesPerEU: 1
; AccumOffset: 4
; Occupancy: 8
; WaveLimiterHint : 0
; COMPUTE_PGM_RSRC2:SCRATCH_EN: 0
; COMPUTE_PGM_RSRC2:USER_SGPR: 6
; COMPUTE_PGM_RSRC2:TRAP_HANDLER: 0
; COMPUTE_PGM_RSRC2:TGID_X_EN: 1
; COMPUTE_PGM_RSRC2:TGID_Y_EN: 0
; COMPUTE_PGM_RSRC2:TGID_Z_EN: 0
; COMPUTE_PGM_RSRC2:TIDIG_COMP_CNT: 0
; COMPUTE_PGM_RSRC3_GFX90A:ACCUM_OFFSET: 0
; COMPUTE_PGM_RSRC3_GFX90A:TG_SPLIT: 0
	.section	.text._ZN7rocprim17ROCPRIM_400000_NS6detail17trampoline_kernelINS0_14default_configENS1_20scan_config_selectorItEEZZNS1_9scan_implILNS1_25lookback_scan_determinismE0ELb1ELb1ES3_N6thrust23THRUST_200600_302600_NS6detail15normal_iteratorINS9_10device_ptrItEEEESE_t11max_functorItEtEEDaPvRmT3_T4_T5_mT6_P12ihipStream_tbENKUlT_T0_E_clISt17integral_constantIbLb1EESU_EEDaSP_SQ_EUlSP_E_NS1_11comp_targetILNS1_3genE10ELNS1_11target_archE1200ELNS1_3gpuE4ELNS1_3repE0EEENS1_30default_config_static_selectorELNS0_4arch9wavefront6targetE1EEEvT1_,"axG",@progbits,_ZN7rocprim17ROCPRIM_400000_NS6detail17trampoline_kernelINS0_14default_configENS1_20scan_config_selectorItEEZZNS1_9scan_implILNS1_25lookback_scan_determinismE0ELb1ELb1ES3_N6thrust23THRUST_200600_302600_NS6detail15normal_iteratorINS9_10device_ptrItEEEESE_t11max_functorItEtEEDaPvRmT3_T4_T5_mT6_P12ihipStream_tbENKUlT_T0_E_clISt17integral_constantIbLb1EESU_EEDaSP_SQ_EUlSP_E_NS1_11comp_targetILNS1_3genE10ELNS1_11target_archE1200ELNS1_3gpuE4ELNS1_3repE0EEENS1_30default_config_static_selectorELNS0_4arch9wavefront6targetE1EEEvT1_,comdat
	.protected	_ZN7rocprim17ROCPRIM_400000_NS6detail17trampoline_kernelINS0_14default_configENS1_20scan_config_selectorItEEZZNS1_9scan_implILNS1_25lookback_scan_determinismE0ELb1ELb1ES3_N6thrust23THRUST_200600_302600_NS6detail15normal_iteratorINS9_10device_ptrItEEEESE_t11max_functorItEtEEDaPvRmT3_T4_T5_mT6_P12ihipStream_tbENKUlT_T0_E_clISt17integral_constantIbLb1EESU_EEDaSP_SQ_EUlSP_E_NS1_11comp_targetILNS1_3genE10ELNS1_11target_archE1200ELNS1_3gpuE4ELNS1_3repE0EEENS1_30default_config_static_selectorELNS0_4arch9wavefront6targetE1EEEvT1_ ; -- Begin function _ZN7rocprim17ROCPRIM_400000_NS6detail17trampoline_kernelINS0_14default_configENS1_20scan_config_selectorItEEZZNS1_9scan_implILNS1_25lookback_scan_determinismE0ELb1ELb1ES3_N6thrust23THRUST_200600_302600_NS6detail15normal_iteratorINS9_10device_ptrItEEEESE_t11max_functorItEtEEDaPvRmT3_T4_T5_mT6_P12ihipStream_tbENKUlT_T0_E_clISt17integral_constantIbLb1EESU_EEDaSP_SQ_EUlSP_E_NS1_11comp_targetILNS1_3genE10ELNS1_11target_archE1200ELNS1_3gpuE4ELNS1_3repE0EEENS1_30default_config_static_selectorELNS0_4arch9wavefront6targetE1EEEvT1_
	.globl	_ZN7rocprim17ROCPRIM_400000_NS6detail17trampoline_kernelINS0_14default_configENS1_20scan_config_selectorItEEZZNS1_9scan_implILNS1_25lookback_scan_determinismE0ELb1ELb1ES3_N6thrust23THRUST_200600_302600_NS6detail15normal_iteratorINS9_10device_ptrItEEEESE_t11max_functorItEtEEDaPvRmT3_T4_T5_mT6_P12ihipStream_tbENKUlT_T0_E_clISt17integral_constantIbLb1EESU_EEDaSP_SQ_EUlSP_E_NS1_11comp_targetILNS1_3genE10ELNS1_11target_archE1200ELNS1_3gpuE4ELNS1_3repE0EEENS1_30default_config_static_selectorELNS0_4arch9wavefront6targetE1EEEvT1_
	.p2align	8
	.type	_ZN7rocprim17ROCPRIM_400000_NS6detail17trampoline_kernelINS0_14default_configENS1_20scan_config_selectorItEEZZNS1_9scan_implILNS1_25lookback_scan_determinismE0ELb1ELb1ES3_N6thrust23THRUST_200600_302600_NS6detail15normal_iteratorINS9_10device_ptrItEEEESE_t11max_functorItEtEEDaPvRmT3_T4_T5_mT6_P12ihipStream_tbENKUlT_T0_E_clISt17integral_constantIbLb1EESU_EEDaSP_SQ_EUlSP_E_NS1_11comp_targetILNS1_3genE10ELNS1_11target_archE1200ELNS1_3gpuE4ELNS1_3repE0EEENS1_30default_config_static_selectorELNS0_4arch9wavefront6targetE1EEEvT1_,@function
_ZN7rocprim17ROCPRIM_400000_NS6detail17trampoline_kernelINS0_14default_configENS1_20scan_config_selectorItEEZZNS1_9scan_implILNS1_25lookback_scan_determinismE0ELb1ELb1ES3_N6thrust23THRUST_200600_302600_NS6detail15normal_iteratorINS9_10device_ptrItEEEESE_t11max_functorItEtEEDaPvRmT3_T4_T5_mT6_P12ihipStream_tbENKUlT_T0_E_clISt17integral_constantIbLb1EESU_EEDaSP_SQ_EUlSP_E_NS1_11comp_targetILNS1_3genE10ELNS1_11target_archE1200ELNS1_3gpuE4ELNS1_3repE0EEENS1_30default_config_static_selectorELNS0_4arch9wavefront6targetE1EEEvT1_: ; @_ZN7rocprim17ROCPRIM_400000_NS6detail17trampoline_kernelINS0_14default_configENS1_20scan_config_selectorItEEZZNS1_9scan_implILNS1_25lookback_scan_determinismE0ELb1ELb1ES3_N6thrust23THRUST_200600_302600_NS6detail15normal_iteratorINS9_10device_ptrItEEEESE_t11max_functorItEtEEDaPvRmT3_T4_T5_mT6_P12ihipStream_tbENKUlT_T0_E_clISt17integral_constantIbLb1EESU_EEDaSP_SQ_EUlSP_E_NS1_11comp_targetILNS1_3genE10ELNS1_11target_archE1200ELNS1_3gpuE4ELNS1_3repE0EEENS1_30default_config_static_selectorELNS0_4arch9wavefront6targetE1EEEvT1_
; %bb.0:
	.section	.rodata,"a",@progbits
	.p2align	6, 0x0
	.amdhsa_kernel _ZN7rocprim17ROCPRIM_400000_NS6detail17trampoline_kernelINS0_14default_configENS1_20scan_config_selectorItEEZZNS1_9scan_implILNS1_25lookback_scan_determinismE0ELb1ELb1ES3_N6thrust23THRUST_200600_302600_NS6detail15normal_iteratorINS9_10device_ptrItEEEESE_t11max_functorItEtEEDaPvRmT3_T4_T5_mT6_P12ihipStream_tbENKUlT_T0_E_clISt17integral_constantIbLb1EESU_EEDaSP_SQ_EUlSP_E_NS1_11comp_targetILNS1_3genE10ELNS1_11target_archE1200ELNS1_3gpuE4ELNS1_3repE0EEENS1_30default_config_static_selectorELNS0_4arch9wavefront6targetE1EEEvT1_
		.amdhsa_group_segment_fixed_size 0
		.amdhsa_private_segment_fixed_size 0
		.amdhsa_kernarg_size 96
		.amdhsa_user_sgpr_count 6
		.amdhsa_user_sgpr_private_segment_buffer 1
		.amdhsa_user_sgpr_dispatch_ptr 0
		.amdhsa_user_sgpr_queue_ptr 0
		.amdhsa_user_sgpr_kernarg_segment_ptr 1
		.amdhsa_user_sgpr_dispatch_id 0
		.amdhsa_user_sgpr_flat_scratch_init 0
		.amdhsa_user_sgpr_kernarg_preload_length 0
		.amdhsa_user_sgpr_kernarg_preload_offset 0
		.amdhsa_user_sgpr_private_segment_size 0
		.amdhsa_uses_dynamic_stack 0
		.amdhsa_system_sgpr_private_segment_wavefront_offset 0
		.amdhsa_system_sgpr_workgroup_id_x 1
		.amdhsa_system_sgpr_workgroup_id_y 0
		.amdhsa_system_sgpr_workgroup_id_z 0
		.amdhsa_system_sgpr_workgroup_info 0
		.amdhsa_system_vgpr_workitem_id 0
		.amdhsa_next_free_vgpr 1
		.amdhsa_next_free_sgpr 0
		.amdhsa_accum_offset 4
		.amdhsa_reserve_vcc 0
		.amdhsa_reserve_flat_scratch 0
		.amdhsa_float_round_mode_32 0
		.amdhsa_float_round_mode_16_64 0
		.amdhsa_float_denorm_mode_32 3
		.amdhsa_float_denorm_mode_16_64 3
		.amdhsa_dx10_clamp 1
		.amdhsa_ieee_mode 1
		.amdhsa_fp16_overflow 0
		.amdhsa_tg_split 0
		.amdhsa_exception_fp_ieee_invalid_op 0
		.amdhsa_exception_fp_denorm_src 0
		.amdhsa_exception_fp_ieee_div_zero 0
		.amdhsa_exception_fp_ieee_overflow 0
		.amdhsa_exception_fp_ieee_underflow 0
		.amdhsa_exception_fp_ieee_inexact 0
		.amdhsa_exception_int_div_zero 0
	.end_amdhsa_kernel
	.section	.text._ZN7rocprim17ROCPRIM_400000_NS6detail17trampoline_kernelINS0_14default_configENS1_20scan_config_selectorItEEZZNS1_9scan_implILNS1_25lookback_scan_determinismE0ELb1ELb1ES3_N6thrust23THRUST_200600_302600_NS6detail15normal_iteratorINS9_10device_ptrItEEEESE_t11max_functorItEtEEDaPvRmT3_T4_T5_mT6_P12ihipStream_tbENKUlT_T0_E_clISt17integral_constantIbLb1EESU_EEDaSP_SQ_EUlSP_E_NS1_11comp_targetILNS1_3genE10ELNS1_11target_archE1200ELNS1_3gpuE4ELNS1_3repE0EEENS1_30default_config_static_selectorELNS0_4arch9wavefront6targetE1EEEvT1_,"axG",@progbits,_ZN7rocprim17ROCPRIM_400000_NS6detail17trampoline_kernelINS0_14default_configENS1_20scan_config_selectorItEEZZNS1_9scan_implILNS1_25lookback_scan_determinismE0ELb1ELb1ES3_N6thrust23THRUST_200600_302600_NS6detail15normal_iteratorINS9_10device_ptrItEEEESE_t11max_functorItEtEEDaPvRmT3_T4_T5_mT6_P12ihipStream_tbENKUlT_T0_E_clISt17integral_constantIbLb1EESU_EEDaSP_SQ_EUlSP_E_NS1_11comp_targetILNS1_3genE10ELNS1_11target_archE1200ELNS1_3gpuE4ELNS1_3repE0EEENS1_30default_config_static_selectorELNS0_4arch9wavefront6targetE1EEEvT1_,comdat
.Lfunc_end2510:
	.size	_ZN7rocprim17ROCPRIM_400000_NS6detail17trampoline_kernelINS0_14default_configENS1_20scan_config_selectorItEEZZNS1_9scan_implILNS1_25lookback_scan_determinismE0ELb1ELb1ES3_N6thrust23THRUST_200600_302600_NS6detail15normal_iteratorINS9_10device_ptrItEEEESE_t11max_functorItEtEEDaPvRmT3_T4_T5_mT6_P12ihipStream_tbENKUlT_T0_E_clISt17integral_constantIbLb1EESU_EEDaSP_SQ_EUlSP_E_NS1_11comp_targetILNS1_3genE10ELNS1_11target_archE1200ELNS1_3gpuE4ELNS1_3repE0EEENS1_30default_config_static_selectorELNS0_4arch9wavefront6targetE1EEEvT1_, .Lfunc_end2510-_ZN7rocprim17ROCPRIM_400000_NS6detail17trampoline_kernelINS0_14default_configENS1_20scan_config_selectorItEEZZNS1_9scan_implILNS1_25lookback_scan_determinismE0ELb1ELb1ES3_N6thrust23THRUST_200600_302600_NS6detail15normal_iteratorINS9_10device_ptrItEEEESE_t11max_functorItEtEEDaPvRmT3_T4_T5_mT6_P12ihipStream_tbENKUlT_T0_E_clISt17integral_constantIbLb1EESU_EEDaSP_SQ_EUlSP_E_NS1_11comp_targetILNS1_3genE10ELNS1_11target_archE1200ELNS1_3gpuE4ELNS1_3repE0EEENS1_30default_config_static_selectorELNS0_4arch9wavefront6targetE1EEEvT1_
                                        ; -- End function
	.section	.AMDGPU.csdata,"",@progbits
; Kernel info:
; codeLenInByte = 0
; NumSgprs: 4
; NumVgprs: 0
; NumAgprs: 0
; TotalNumVgprs: 0
; ScratchSize: 0
; MemoryBound: 0
; FloatMode: 240
; IeeeMode: 1
; LDSByteSize: 0 bytes/workgroup (compile time only)
; SGPRBlocks: 0
; VGPRBlocks: 0
; NumSGPRsForWavesPerEU: 4
; NumVGPRsForWavesPerEU: 1
; AccumOffset: 4
; Occupancy: 8
; WaveLimiterHint : 0
; COMPUTE_PGM_RSRC2:SCRATCH_EN: 0
; COMPUTE_PGM_RSRC2:USER_SGPR: 6
; COMPUTE_PGM_RSRC2:TRAP_HANDLER: 0
; COMPUTE_PGM_RSRC2:TGID_X_EN: 1
; COMPUTE_PGM_RSRC2:TGID_Y_EN: 0
; COMPUTE_PGM_RSRC2:TGID_Z_EN: 0
; COMPUTE_PGM_RSRC2:TIDIG_COMP_CNT: 0
; COMPUTE_PGM_RSRC3_GFX90A:ACCUM_OFFSET: 0
; COMPUTE_PGM_RSRC3_GFX90A:TG_SPLIT: 0
	.section	.text._ZN7rocprim17ROCPRIM_400000_NS6detail17trampoline_kernelINS0_14default_configENS1_20scan_config_selectorItEEZZNS1_9scan_implILNS1_25lookback_scan_determinismE0ELb1ELb1ES3_N6thrust23THRUST_200600_302600_NS6detail15normal_iteratorINS9_10device_ptrItEEEESE_t11max_functorItEtEEDaPvRmT3_T4_T5_mT6_P12ihipStream_tbENKUlT_T0_E_clISt17integral_constantIbLb1EESU_EEDaSP_SQ_EUlSP_E_NS1_11comp_targetILNS1_3genE9ELNS1_11target_archE1100ELNS1_3gpuE3ELNS1_3repE0EEENS1_30default_config_static_selectorELNS0_4arch9wavefront6targetE1EEEvT1_,"axG",@progbits,_ZN7rocprim17ROCPRIM_400000_NS6detail17trampoline_kernelINS0_14default_configENS1_20scan_config_selectorItEEZZNS1_9scan_implILNS1_25lookback_scan_determinismE0ELb1ELb1ES3_N6thrust23THRUST_200600_302600_NS6detail15normal_iteratorINS9_10device_ptrItEEEESE_t11max_functorItEtEEDaPvRmT3_T4_T5_mT6_P12ihipStream_tbENKUlT_T0_E_clISt17integral_constantIbLb1EESU_EEDaSP_SQ_EUlSP_E_NS1_11comp_targetILNS1_3genE9ELNS1_11target_archE1100ELNS1_3gpuE3ELNS1_3repE0EEENS1_30default_config_static_selectorELNS0_4arch9wavefront6targetE1EEEvT1_,comdat
	.protected	_ZN7rocprim17ROCPRIM_400000_NS6detail17trampoline_kernelINS0_14default_configENS1_20scan_config_selectorItEEZZNS1_9scan_implILNS1_25lookback_scan_determinismE0ELb1ELb1ES3_N6thrust23THRUST_200600_302600_NS6detail15normal_iteratorINS9_10device_ptrItEEEESE_t11max_functorItEtEEDaPvRmT3_T4_T5_mT6_P12ihipStream_tbENKUlT_T0_E_clISt17integral_constantIbLb1EESU_EEDaSP_SQ_EUlSP_E_NS1_11comp_targetILNS1_3genE9ELNS1_11target_archE1100ELNS1_3gpuE3ELNS1_3repE0EEENS1_30default_config_static_selectorELNS0_4arch9wavefront6targetE1EEEvT1_ ; -- Begin function _ZN7rocprim17ROCPRIM_400000_NS6detail17trampoline_kernelINS0_14default_configENS1_20scan_config_selectorItEEZZNS1_9scan_implILNS1_25lookback_scan_determinismE0ELb1ELb1ES3_N6thrust23THRUST_200600_302600_NS6detail15normal_iteratorINS9_10device_ptrItEEEESE_t11max_functorItEtEEDaPvRmT3_T4_T5_mT6_P12ihipStream_tbENKUlT_T0_E_clISt17integral_constantIbLb1EESU_EEDaSP_SQ_EUlSP_E_NS1_11comp_targetILNS1_3genE9ELNS1_11target_archE1100ELNS1_3gpuE3ELNS1_3repE0EEENS1_30default_config_static_selectorELNS0_4arch9wavefront6targetE1EEEvT1_
	.globl	_ZN7rocprim17ROCPRIM_400000_NS6detail17trampoline_kernelINS0_14default_configENS1_20scan_config_selectorItEEZZNS1_9scan_implILNS1_25lookback_scan_determinismE0ELb1ELb1ES3_N6thrust23THRUST_200600_302600_NS6detail15normal_iteratorINS9_10device_ptrItEEEESE_t11max_functorItEtEEDaPvRmT3_T4_T5_mT6_P12ihipStream_tbENKUlT_T0_E_clISt17integral_constantIbLb1EESU_EEDaSP_SQ_EUlSP_E_NS1_11comp_targetILNS1_3genE9ELNS1_11target_archE1100ELNS1_3gpuE3ELNS1_3repE0EEENS1_30default_config_static_selectorELNS0_4arch9wavefront6targetE1EEEvT1_
	.p2align	8
	.type	_ZN7rocprim17ROCPRIM_400000_NS6detail17trampoline_kernelINS0_14default_configENS1_20scan_config_selectorItEEZZNS1_9scan_implILNS1_25lookback_scan_determinismE0ELb1ELb1ES3_N6thrust23THRUST_200600_302600_NS6detail15normal_iteratorINS9_10device_ptrItEEEESE_t11max_functorItEtEEDaPvRmT3_T4_T5_mT6_P12ihipStream_tbENKUlT_T0_E_clISt17integral_constantIbLb1EESU_EEDaSP_SQ_EUlSP_E_NS1_11comp_targetILNS1_3genE9ELNS1_11target_archE1100ELNS1_3gpuE3ELNS1_3repE0EEENS1_30default_config_static_selectorELNS0_4arch9wavefront6targetE1EEEvT1_,@function
_ZN7rocprim17ROCPRIM_400000_NS6detail17trampoline_kernelINS0_14default_configENS1_20scan_config_selectorItEEZZNS1_9scan_implILNS1_25lookback_scan_determinismE0ELb1ELb1ES3_N6thrust23THRUST_200600_302600_NS6detail15normal_iteratorINS9_10device_ptrItEEEESE_t11max_functorItEtEEDaPvRmT3_T4_T5_mT6_P12ihipStream_tbENKUlT_T0_E_clISt17integral_constantIbLb1EESU_EEDaSP_SQ_EUlSP_E_NS1_11comp_targetILNS1_3genE9ELNS1_11target_archE1100ELNS1_3gpuE3ELNS1_3repE0EEENS1_30default_config_static_selectorELNS0_4arch9wavefront6targetE1EEEvT1_: ; @_ZN7rocprim17ROCPRIM_400000_NS6detail17trampoline_kernelINS0_14default_configENS1_20scan_config_selectorItEEZZNS1_9scan_implILNS1_25lookback_scan_determinismE0ELb1ELb1ES3_N6thrust23THRUST_200600_302600_NS6detail15normal_iteratorINS9_10device_ptrItEEEESE_t11max_functorItEtEEDaPvRmT3_T4_T5_mT6_P12ihipStream_tbENKUlT_T0_E_clISt17integral_constantIbLb1EESU_EEDaSP_SQ_EUlSP_E_NS1_11comp_targetILNS1_3genE9ELNS1_11target_archE1100ELNS1_3gpuE3ELNS1_3repE0EEENS1_30default_config_static_selectorELNS0_4arch9wavefront6targetE1EEEvT1_
; %bb.0:
	.section	.rodata,"a",@progbits
	.p2align	6, 0x0
	.amdhsa_kernel _ZN7rocprim17ROCPRIM_400000_NS6detail17trampoline_kernelINS0_14default_configENS1_20scan_config_selectorItEEZZNS1_9scan_implILNS1_25lookback_scan_determinismE0ELb1ELb1ES3_N6thrust23THRUST_200600_302600_NS6detail15normal_iteratorINS9_10device_ptrItEEEESE_t11max_functorItEtEEDaPvRmT3_T4_T5_mT6_P12ihipStream_tbENKUlT_T0_E_clISt17integral_constantIbLb1EESU_EEDaSP_SQ_EUlSP_E_NS1_11comp_targetILNS1_3genE9ELNS1_11target_archE1100ELNS1_3gpuE3ELNS1_3repE0EEENS1_30default_config_static_selectorELNS0_4arch9wavefront6targetE1EEEvT1_
		.amdhsa_group_segment_fixed_size 0
		.amdhsa_private_segment_fixed_size 0
		.amdhsa_kernarg_size 96
		.amdhsa_user_sgpr_count 6
		.amdhsa_user_sgpr_private_segment_buffer 1
		.amdhsa_user_sgpr_dispatch_ptr 0
		.amdhsa_user_sgpr_queue_ptr 0
		.amdhsa_user_sgpr_kernarg_segment_ptr 1
		.amdhsa_user_sgpr_dispatch_id 0
		.amdhsa_user_sgpr_flat_scratch_init 0
		.amdhsa_user_sgpr_kernarg_preload_length 0
		.amdhsa_user_sgpr_kernarg_preload_offset 0
		.amdhsa_user_sgpr_private_segment_size 0
		.amdhsa_uses_dynamic_stack 0
		.amdhsa_system_sgpr_private_segment_wavefront_offset 0
		.amdhsa_system_sgpr_workgroup_id_x 1
		.amdhsa_system_sgpr_workgroup_id_y 0
		.amdhsa_system_sgpr_workgroup_id_z 0
		.amdhsa_system_sgpr_workgroup_info 0
		.amdhsa_system_vgpr_workitem_id 0
		.amdhsa_next_free_vgpr 1
		.amdhsa_next_free_sgpr 0
		.amdhsa_accum_offset 4
		.amdhsa_reserve_vcc 0
		.amdhsa_reserve_flat_scratch 0
		.amdhsa_float_round_mode_32 0
		.amdhsa_float_round_mode_16_64 0
		.amdhsa_float_denorm_mode_32 3
		.amdhsa_float_denorm_mode_16_64 3
		.amdhsa_dx10_clamp 1
		.amdhsa_ieee_mode 1
		.amdhsa_fp16_overflow 0
		.amdhsa_tg_split 0
		.amdhsa_exception_fp_ieee_invalid_op 0
		.amdhsa_exception_fp_denorm_src 0
		.amdhsa_exception_fp_ieee_div_zero 0
		.amdhsa_exception_fp_ieee_overflow 0
		.amdhsa_exception_fp_ieee_underflow 0
		.amdhsa_exception_fp_ieee_inexact 0
		.amdhsa_exception_int_div_zero 0
	.end_amdhsa_kernel
	.section	.text._ZN7rocprim17ROCPRIM_400000_NS6detail17trampoline_kernelINS0_14default_configENS1_20scan_config_selectorItEEZZNS1_9scan_implILNS1_25lookback_scan_determinismE0ELb1ELb1ES3_N6thrust23THRUST_200600_302600_NS6detail15normal_iteratorINS9_10device_ptrItEEEESE_t11max_functorItEtEEDaPvRmT3_T4_T5_mT6_P12ihipStream_tbENKUlT_T0_E_clISt17integral_constantIbLb1EESU_EEDaSP_SQ_EUlSP_E_NS1_11comp_targetILNS1_3genE9ELNS1_11target_archE1100ELNS1_3gpuE3ELNS1_3repE0EEENS1_30default_config_static_selectorELNS0_4arch9wavefront6targetE1EEEvT1_,"axG",@progbits,_ZN7rocprim17ROCPRIM_400000_NS6detail17trampoline_kernelINS0_14default_configENS1_20scan_config_selectorItEEZZNS1_9scan_implILNS1_25lookback_scan_determinismE0ELb1ELb1ES3_N6thrust23THRUST_200600_302600_NS6detail15normal_iteratorINS9_10device_ptrItEEEESE_t11max_functorItEtEEDaPvRmT3_T4_T5_mT6_P12ihipStream_tbENKUlT_T0_E_clISt17integral_constantIbLb1EESU_EEDaSP_SQ_EUlSP_E_NS1_11comp_targetILNS1_3genE9ELNS1_11target_archE1100ELNS1_3gpuE3ELNS1_3repE0EEENS1_30default_config_static_selectorELNS0_4arch9wavefront6targetE1EEEvT1_,comdat
.Lfunc_end2511:
	.size	_ZN7rocprim17ROCPRIM_400000_NS6detail17trampoline_kernelINS0_14default_configENS1_20scan_config_selectorItEEZZNS1_9scan_implILNS1_25lookback_scan_determinismE0ELb1ELb1ES3_N6thrust23THRUST_200600_302600_NS6detail15normal_iteratorINS9_10device_ptrItEEEESE_t11max_functorItEtEEDaPvRmT3_T4_T5_mT6_P12ihipStream_tbENKUlT_T0_E_clISt17integral_constantIbLb1EESU_EEDaSP_SQ_EUlSP_E_NS1_11comp_targetILNS1_3genE9ELNS1_11target_archE1100ELNS1_3gpuE3ELNS1_3repE0EEENS1_30default_config_static_selectorELNS0_4arch9wavefront6targetE1EEEvT1_, .Lfunc_end2511-_ZN7rocprim17ROCPRIM_400000_NS6detail17trampoline_kernelINS0_14default_configENS1_20scan_config_selectorItEEZZNS1_9scan_implILNS1_25lookback_scan_determinismE0ELb1ELb1ES3_N6thrust23THRUST_200600_302600_NS6detail15normal_iteratorINS9_10device_ptrItEEEESE_t11max_functorItEtEEDaPvRmT3_T4_T5_mT6_P12ihipStream_tbENKUlT_T0_E_clISt17integral_constantIbLb1EESU_EEDaSP_SQ_EUlSP_E_NS1_11comp_targetILNS1_3genE9ELNS1_11target_archE1100ELNS1_3gpuE3ELNS1_3repE0EEENS1_30default_config_static_selectorELNS0_4arch9wavefront6targetE1EEEvT1_
                                        ; -- End function
	.section	.AMDGPU.csdata,"",@progbits
; Kernel info:
; codeLenInByte = 0
; NumSgprs: 4
; NumVgprs: 0
; NumAgprs: 0
; TotalNumVgprs: 0
; ScratchSize: 0
; MemoryBound: 0
; FloatMode: 240
; IeeeMode: 1
; LDSByteSize: 0 bytes/workgroup (compile time only)
; SGPRBlocks: 0
; VGPRBlocks: 0
; NumSGPRsForWavesPerEU: 4
; NumVGPRsForWavesPerEU: 1
; AccumOffset: 4
; Occupancy: 8
; WaveLimiterHint : 0
; COMPUTE_PGM_RSRC2:SCRATCH_EN: 0
; COMPUTE_PGM_RSRC2:USER_SGPR: 6
; COMPUTE_PGM_RSRC2:TRAP_HANDLER: 0
; COMPUTE_PGM_RSRC2:TGID_X_EN: 1
; COMPUTE_PGM_RSRC2:TGID_Y_EN: 0
; COMPUTE_PGM_RSRC2:TGID_Z_EN: 0
; COMPUTE_PGM_RSRC2:TIDIG_COMP_CNT: 0
; COMPUTE_PGM_RSRC3_GFX90A:ACCUM_OFFSET: 0
; COMPUTE_PGM_RSRC3_GFX90A:TG_SPLIT: 0
	.section	.text._ZN7rocprim17ROCPRIM_400000_NS6detail17trampoline_kernelINS0_14default_configENS1_20scan_config_selectorItEEZZNS1_9scan_implILNS1_25lookback_scan_determinismE0ELb1ELb1ES3_N6thrust23THRUST_200600_302600_NS6detail15normal_iteratorINS9_10device_ptrItEEEESE_t11max_functorItEtEEDaPvRmT3_T4_T5_mT6_P12ihipStream_tbENKUlT_T0_E_clISt17integral_constantIbLb1EESU_EEDaSP_SQ_EUlSP_E_NS1_11comp_targetILNS1_3genE8ELNS1_11target_archE1030ELNS1_3gpuE2ELNS1_3repE0EEENS1_30default_config_static_selectorELNS0_4arch9wavefront6targetE1EEEvT1_,"axG",@progbits,_ZN7rocprim17ROCPRIM_400000_NS6detail17trampoline_kernelINS0_14default_configENS1_20scan_config_selectorItEEZZNS1_9scan_implILNS1_25lookback_scan_determinismE0ELb1ELb1ES3_N6thrust23THRUST_200600_302600_NS6detail15normal_iteratorINS9_10device_ptrItEEEESE_t11max_functorItEtEEDaPvRmT3_T4_T5_mT6_P12ihipStream_tbENKUlT_T0_E_clISt17integral_constantIbLb1EESU_EEDaSP_SQ_EUlSP_E_NS1_11comp_targetILNS1_3genE8ELNS1_11target_archE1030ELNS1_3gpuE2ELNS1_3repE0EEENS1_30default_config_static_selectorELNS0_4arch9wavefront6targetE1EEEvT1_,comdat
	.protected	_ZN7rocprim17ROCPRIM_400000_NS6detail17trampoline_kernelINS0_14default_configENS1_20scan_config_selectorItEEZZNS1_9scan_implILNS1_25lookback_scan_determinismE0ELb1ELb1ES3_N6thrust23THRUST_200600_302600_NS6detail15normal_iteratorINS9_10device_ptrItEEEESE_t11max_functorItEtEEDaPvRmT3_T4_T5_mT6_P12ihipStream_tbENKUlT_T0_E_clISt17integral_constantIbLb1EESU_EEDaSP_SQ_EUlSP_E_NS1_11comp_targetILNS1_3genE8ELNS1_11target_archE1030ELNS1_3gpuE2ELNS1_3repE0EEENS1_30default_config_static_selectorELNS0_4arch9wavefront6targetE1EEEvT1_ ; -- Begin function _ZN7rocprim17ROCPRIM_400000_NS6detail17trampoline_kernelINS0_14default_configENS1_20scan_config_selectorItEEZZNS1_9scan_implILNS1_25lookback_scan_determinismE0ELb1ELb1ES3_N6thrust23THRUST_200600_302600_NS6detail15normal_iteratorINS9_10device_ptrItEEEESE_t11max_functorItEtEEDaPvRmT3_T4_T5_mT6_P12ihipStream_tbENKUlT_T0_E_clISt17integral_constantIbLb1EESU_EEDaSP_SQ_EUlSP_E_NS1_11comp_targetILNS1_3genE8ELNS1_11target_archE1030ELNS1_3gpuE2ELNS1_3repE0EEENS1_30default_config_static_selectorELNS0_4arch9wavefront6targetE1EEEvT1_
	.globl	_ZN7rocprim17ROCPRIM_400000_NS6detail17trampoline_kernelINS0_14default_configENS1_20scan_config_selectorItEEZZNS1_9scan_implILNS1_25lookback_scan_determinismE0ELb1ELb1ES3_N6thrust23THRUST_200600_302600_NS6detail15normal_iteratorINS9_10device_ptrItEEEESE_t11max_functorItEtEEDaPvRmT3_T4_T5_mT6_P12ihipStream_tbENKUlT_T0_E_clISt17integral_constantIbLb1EESU_EEDaSP_SQ_EUlSP_E_NS1_11comp_targetILNS1_3genE8ELNS1_11target_archE1030ELNS1_3gpuE2ELNS1_3repE0EEENS1_30default_config_static_selectorELNS0_4arch9wavefront6targetE1EEEvT1_
	.p2align	8
	.type	_ZN7rocprim17ROCPRIM_400000_NS6detail17trampoline_kernelINS0_14default_configENS1_20scan_config_selectorItEEZZNS1_9scan_implILNS1_25lookback_scan_determinismE0ELb1ELb1ES3_N6thrust23THRUST_200600_302600_NS6detail15normal_iteratorINS9_10device_ptrItEEEESE_t11max_functorItEtEEDaPvRmT3_T4_T5_mT6_P12ihipStream_tbENKUlT_T0_E_clISt17integral_constantIbLb1EESU_EEDaSP_SQ_EUlSP_E_NS1_11comp_targetILNS1_3genE8ELNS1_11target_archE1030ELNS1_3gpuE2ELNS1_3repE0EEENS1_30default_config_static_selectorELNS0_4arch9wavefront6targetE1EEEvT1_,@function
_ZN7rocprim17ROCPRIM_400000_NS6detail17trampoline_kernelINS0_14default_configENS1_20scan_config_selectorItEEZZNS1_9scan_implILNS1_25lookback_scan_determinismE0ELb1ELb1ES3_N6thrust23THRUST_200600_302600_NS6detail15normal_iteratorINS9_10device_ptrItEEEESE_t11max_functorItEtEEDaPvRmT3_T4_T5_mT6_P12ihipStream_tbENKUlT_T0_E_clISt17integral_constantIbLb1EESU_EEDaSP_SQ_EUlSP_E_NS1_11comp_targetILNS1_3genE8ELNS1_11target_archE1030ELNS1_3gpuE2ELNS1_3repE0EEENS1_30default_config_static_selectorELNS0_4arch9wavefront6targetE1EEEvT1_: ; @_ZN7rocprim17ROCPRIM_400000_NS6detail17trampoline_kernelINS0_14default_configENS1_20scan_config_selectorItEEZZNS1_9scan_implILNS1_25lookback_scan_determinismE0ELb1ELb1ES3_N6thrust23THRUST_200600_302600_NS6detail15normal_iteratorINS9_10device_ptrItEEEESE_t11max_functorItEtEEDaPvRmT3_T4_T5_mT6_P12ihipStream_tbENKUlT_T0_E_clISt17integral_constantIbLb1EESU_EEDaSP_SQ_EUlSP_E_NS1_11comp_targetILNS1_3genE8ELNS1_11target_archE1030ELNS1_3gpuE2ELNS1_3repE0EEENS1_30default_config_static_selectorELNS0_4arch9wavefront6targetE1EEEvT1_
; %bb.0:
	.section	.rodata,"a",@progbits
	.p2align	6, 0x0
	.amdhsa_kernel _ZN7rocprim17ROCPRIM_400000_NS6detail17trampoline_kernelINS0_14default_configENS1_20scan_config_selectorItEEZZNS1_9scan_implILNS1_25lookback_scan_determinismE0ELb1ELb1ES3_N6thrust23THRUST_200600_302600_NS6detail15normal_iteratorINS9_10device_ptrItEEEESE_t11max_functorItEtEEDaPvRmT3_T4_T5_mT6_P12ihipStream_tbENKUlT_T0_E_clISt17integral_constantIbLb1EESU_EEDaSP_SQ_EUlSP_E_NS1_11comp_targetILNS1_3genE8ELNS1_11target_archE1030ELNS1_3gpuE2ELNS1_3repE0EEENS1_30default_config_static_selectorELNS0_4arch9wavefront6targetE1EEEvT1_
		.amdhsa_group_segment_fixed_size 0
		.amdhsa_private_segment_fixed_size 0
		.amdhsa_kernarg_size 96
		.amdhsa_user_sgpr_count 6
		.amdhsa_user_sgpr_private_segment_buffer 1
		.amdhsa_user_sgpr_dispatch_ptr 0
		.amdhsa_user_sgpr_queue_ptr 0
		.amdhsa_user_sgpr_kernarg_segment_ptr 1
		.amdhsa_user_sgpr_dispatch_id 0
		.amdhsa_user_sgpr_flat_scratch_init 0
		.amdhsa_user_sgpr_kernarg_preload_length 0
		.amdhsa_user_sgpr_kernarg_preload_offset 0
		.amdhsa_user_sgpr_private_segment_size 0
		.amdhsa_uses_dynamic_stack 0
		.amdhsa_system_sgpr_private_segment_wavefront_offset 0
		.amdhsa_system_sgpr_workgroup_id_x 1
		.amdhsa_system_sgpr_workgroup_id_y 0
		.amdhsa_system_sgpr_workgroup_id_z 0
		.amdhsa_system_sgpr_workgroup_info 0
		.amdhsa_system_vgpr_workitem_id 0
		.amdhsa_next_free_vgpr 1
		.amdhsa_next_free_sgpr 0
		.amdhsa_accum_offset 4
		.amdhsa_reserve_vcc 0
		.amdhsa_reserve_flat_scratch 0
		.amdhsa_float_round_mode_32 0
		.amdhsa_float_round_mode_16_64 0
		.amdhsa_float_denorm_mode_32 3
		.amdhsa_float_denorm_mode_16_64 3
		.amdhsa_dx10_clamp 1
		.amdhsa_ieee_mode 1
		.amdhsa_fp16_overflow 0
		.amdhsa_tg_split 0
		.amdhsa_exception_fp_ieee_invalid_op 0
		.amdhsa_exception_fp_denorm_src 0
		.amdhsa_exception_fp_ieee_div_zero 0
		.amdhsa_exception_fp_ieee_overflow 0
		.amdhsa_exception_fp_ieee_underflow 0
		.amdhsa_exception_fp_ieee_inexact 0
		.amdhsa_exception_int_div_zero 0
	.end_amdhsa_kernel
	.section	.text._ZN7rocprim17ROCPRIM_400000_NS6detail17trampoline_kernelINS0_14default_configENS1_20scan_config_selectorItEEZZNS1_9scan_implILNS1_25lookback_scan_determinismE0ELb1ELb1ES3_N6thrust23THRUST_200600_302600_NS6detail15normal_iteratorINS9_10device_ptrItEEEESE_t11max_functorItEtEEDaPvRmT3_T4_T5_mT6_P12ihipStream_tbENKUlT_T0_E_clISt17integral_constantIbLb1EESU_EEDaSP_SQ_EUlSP_E_NS1_11comp_targetILNS1_3genE8ELNS1_11target_archE1030ELNS1_3gpuE2ELNS1_3repE0EEENS1_30default_config_static_selectorELNS0_4arch9wavefront6targetE1EEEvT1_,"axG",@progbits,_ZN7rocprim17ROCPRIM_400000_NS6detail17trampoline_kernelINS0_14default_configENS1_20scan_config_selectorItEEZZNS1_9scan_implILNS1_25lookback_scan_determinismE0ELb1ELb1ES3_N6thrust23THRUST_200600_302600_NS6detail15normal_iteratorINS9_10device_ptrItEEEESE_t11max_functorItEtEEDaPvRmT3_T4_T5_mT6_P12ihipStream_tbENKUlT_T0_E_clISt17integral_constantIbLb1EESU_EEDaSP_SQ_EUlSP_E_NS1_11comp_targetILNS1_3genE8ELNS1_11target_archE1030ELNS1_3gpuE2ELNS1_3repE0EEENS1_30default_config_static_selectorELNS0_4arch9wavefront6targetE1EEEvT1_,comdat
.Lfunc_end2512:
	.size	_ZN7rocprim17ROCPRIM_400000_NS6detail17trampoline_kernelINS0_14default_configENS1_20scan_config_selectorItEEZZNS1_9scan_implILNS1_25lookback_scan_determinismE0ELb1ELb1ES3_N6thrust23THRUST_200600_302600_NS6detail15normal_iteratorINS9_10device_ptrItEEEESE_t11max_functorItEtEEDaPvRmT3_T4_T5_mT6_P12ihipStream_tbENKUlT_T0_E_clISt17integral_constantIbLb1EESU_EEDaSP_SQ_EUlSP_E_NS1_11comp_targetILNS1_3genE8ELNS1_11target_archE1030ELNS1_3gpuE2ELNS1_3repE0EEENS1_30default_config_static_selectorELNS0_4arch9wavefront6targetE1EEEvT1_, .Lfunc_end2512-_ZN7rocprim17ROCPRIM_400000_NS6detail17trampoline_kernelINS0_14default_configENS1_20scan_config_selectorItEEZZNS1_9scan_implILNS1_25lookback_scan_determinismE0ELb1ELb1ES3_N6thrust23THRUST_200600_302600_NS6detail15normal_iteratorINS9_10device_ptrItEEEESE_t11max_functorItEtEEDaPvRmT3_T4_T5_mT6_P12ihipStream_tbENKUlT_T0_E_clISt17integral_constantIbLb1EESU_EEDaSP_SQ_EUlSP_E_NS1_11comp_targetILNS1_3genE8ELNS1_11target_archE1030ELNS1_3gpuE2ELNS1_3repE0EEENS1_30default_config_static_selectorELNS0_4arch9wavefront6targetE1EEEvT1_
                                        ; -- End function
	.section	.AMDGPU.csdata,"",@progbits
; Kernel info:
; codeLenInByte = 0
; NumSgprs: 4
; NumVgprs: 0
; NumAgprs: 0
; TotalNumVgprs: 0
; ScratchSize: 0
; MemoryBound: 0
; FloatMode: 240
; IeeeMode: 1
; LDSByteSize: 0 bytes/workgroup (compile time only)
; SGPRBlocks: 0
; VGPRBlocks: 0
; NumSGPRsForWavesPerEU: 4
; NumVGPRsForWavesPerEU: 1
; AccumOffset: 4
; Occupancy: 8
; WaveLimiterHint : 0
; COMPUTE_PGM_RSRC2:SCRATCH_EN: 0
; COMPUTE_PGM_RSRC2:USER_SGPR: 6
; COMPUTE_PGM_RSRC2:TRAP_HANDLER: 0
; COMPUTE_PGM_RSRC2:TGID_X_EN: 1
; COMPUTE_PGM_RSRC2:TGID_Y_EN: 0
; COMPUTE_PGM_RSRC2:TGID_Z_EN: 0
; COMPUTE_PGM_RSRC2:TIDIG_COMP_CNT: 0
; COMPUTE_PGM_RSRC3_GFX90A:ACCUM_OFFSET: 0
; COMPUTE_PGM_RSRC3_GFX90A:TG_SPLIT: 0
	.section	.text._ZN7rocprim17ROCPRIM_400000_NS6detail17trampoline_kernelINS0_14default_configENS1_20scan_config_selectorItEEZZNS1_9scan_implILNS1_25lookback_scan_determinismE0ELb1ELb1ES3_N6thrust23THRUST_200600_302600_NS6detail15normal_iteratorINS9_10device_ptrItEEEESE_t11max_functorItEtEEDaPvRmT3_T4_T5_mT6_P12ihipStream_tbENKUlT_T0_E_clISt17integral_constantIbLb1EESU_EEDaSP_SQ_EUlSP_E0_NS1_11comp_targetILNS1_3genE0ELNS1_11target_archE4294967295ELNS1_3gpuE0ELNS1_3repE0EEENS1_30default_config_static_selectorELNS0_4arch9wavefront6targetE1EEEvT1_,"axG",@progbits,_ZN7rocprim17ROCPRIM_400000_NS6detail17trampoline_kernelINS0_14default_configENS1_20scan_config_selectorItEEZZNS1_9scan_implILNS1_25lookback_scan_determinismE0ELb1ELb1ES3_N6thrust23THRUST_200600_302600_NS6detail15normal_iteratorINS9_10device_ptrItEEEESE_t11max_functorItEtEEDaPvRmT3_T4_T5_mT6_P12ihipStream_tbENKUlT_T0_E_clISt17integral_constantIbLb1EESU_EEDaSP_SQ_EUlSP_E0_NS1_11comp_targetILNS1_3genE0ELNS1_11target_archE4294967295ELNS1_3gpuE0ELNS1_3repE0EEENS1_30default_config_static_selectorELNS0_4arch9wavefront6targetE1EEEvT1_,comdat
	.protected	_ZN7rocprim17ROCPRIM_400000_NS6detail17trampoline_kernelINS0_14default_configENS1_20scan_config_selectorItEEZZNS1_9scan_implILNS1_25lookback_scan_determinismE0ELb1ELb1ES3_N6thrust23THRUST_200600_302600_NS6detail15normal_iteratorINS9_10device_ptrItEEEESE_t11max_functorItEtEEDaPvRmT3_T4_T5_mT6_P12ihipStream_tbENKUlT_T0_E_clISt17integral_constantIbLb1EESU_EEDaSP_SQ_EUlSP_E0_NS1_11comp_targetILNS1_3genE0ELNS1_11target_archE4294967295ELNS1_3gpuE0ELNS1_3repE0EEENS1_30default_config_static_selectorELNS0_4arch9wavefront6targetE1EEEvT1_ ; -- Begin function _ZN7rocprim17ROCPRIM_400000_NS6detail17trampoline_kernelINS0_14default_configENS1_20scan_config_selectorItEEZZNS1_9scan_implILNS1_25lookback_scan_determinismE0ELb1ELb1ES3_N6thrust23THRUST_200600_302600_NS6detail15normal_iteratorINS9_10device_ptrItEEEESE_t11max_functorItEtEEDaPvRmT3_T4_T5_mT6_P12ihipStream_tbENKUlT_T0_E_clISt17integral_constantIbLb1EESU_EEDaSP_SQ_EUlSP_E0_NS1_11comp_targetILNS1_3genE0ELNS1_11target_archE4294967295ELNS1_3gpuE0ELNS1_3repE0EEENS1_30default_config_static_selectorELNS0_4arch9wavefront6targetE1EEEvT1_
	.globl	_ZN7rocprim17ROCPRIM_400000_NS6detail17trampoline_kernelINS0_14default_configENS1_20scan_config_selectorItEEZZNS1_9scan_implILNS1_25lookback_scan_determinismE0ELb1ELb1ES3_N6thrust23THRUST_200600_302600_NS6detail15normal_iteratorINS9_10device_ptrItEEEESE_t11max_functorItEtEEDaPvRmT3_T4_T5_mT6_P12ihipStream_tbENKUlT_T0_E_clISt17integral_constantIbLb1EESU_EEDaSP_SQ_EUlSP_E0_NS1_11comp_targetILNS1_3genE0ELNS1_11target_archE4294967295ELNS1_3gpuE0ELNS1_3repE0EEENS1_30default_config_static_selectorELNS0_4arch9wavefront6targetE1EEEvT1_
	.p2align	8
	.type	_ZN7rocprim17ROCPRIM_400000_NS6detail17trampoline_kernelINS0_14default_configENS1_20scan_config_selectorItEEZZNS1_9scan_implILNS1_25lookback_scan_determinismE0ELb1ELb1ES3_N6thrust23THRUST_200600_302600_NS6detail15normal_iteratorINS9_10device_ptrItEEEESE_t11max_functorItEtEEDaPvRmT3_T4_T5_mT6_P12ihipStream_tbENKUlT_T0_E_clISt17integral_constantIbLb1EESU_EEDaSP_SQ_EUlSP_E0_NS1_11comp_targetILNS1_3genE0ELNS1_11target_archE4294967295ELNS1_3gpuE0ELNS1_3repE0EEENS1_30default_config_static_selectorELNS0_4arch9wavefront6targetE1EEEvT1_,@function
_ZN7rocprim17ROCPRIM_400000_NS6detail17trampoline_kernelINS0_14default_configENS1_20scan_config_selectorItEEZZNS1_9scan_implILNS1_25lookback_scan_determinismE0ELb1ELb1ES3_N6thrust23THRUST_200600_302600_NS6detail15normal_iteratorINS9_10device_ptrItEEEESE_t11max_functorItEtEEDaPvRmT3_T4_T5_mT6_P12ihipStream_tbENKUlT_T0_E_clISt17integral_constantIbLb1EESU_EEDaSP_SQ_EUlSP_E0_NS1_11comp_targetILNS1_3genE0ELNS1_11target_archE4294967295ELNS1_3gpuE0ELNS1_3repE0EEENS1_30default_config_static_selectorELNS0_4arch9wavefront6targetE1EEEvT1_: ; @_ZN7rocprim17ROCPRIM_400000_NS6detail17trampoline_kernelINS0_14default_configENS1_20scan_config_selectorItEEZZNS1_9scan_implILNS1_25lookback_scan_determinismE0ELb1ELb1ES3_N6thrust23THRUST_200600_302600_NS6detail15normal_iteratorINS9_10device_ptrItEEEESE_t11max_functorItEtEEDaPvRmT3_T4_T5_mT6_P12ihipStream_tbENKUlT_T0_E_clISt17integral_constantIbLb1EESU_EEDaSP_SQ_EUlSP_E0_NS1_11comp_targetILNS1_3genE0ELNS1_11target_archE4294967295ELNS1_3gpuE0ELNS1_3repE0EEENS1_30default_config_static_selectorELNS0_4arch9wavefront6targetE1EEEvT1_
; %bb.0:
	.section	.rodata,"a",@progbits
	.p2align	6, 0x0
	.amdhsa_kernel _ZN7rocprim17ROCPRIM_400000_NS6detail17trampoline_kernelINS0_14default_configENS1_20scan_config_selectorItEEZZNS1_9scan_implILNS1_25lookback_scan_determinismE0ELb1ELb1ES3_N6thrust23THRUST_200600_302600_NS6detail15normal_iteratorINS9_10device_ptrItEEEESE_t11max_functorItEtEEDaPvRmT3_T4_T5_mT6_P12ihipStream_tbENKUlT_T0_E_clISt17integral_constantIbLb1EESU_EEDaSP_SQ_EUlSP_E0_NS1_11comp_targetILNS1_3genE0ELNS1_11target_archE4294967295ELNS1_3gpuE0ELNS1_3repE0EEENS1_30default_config_static_selectorELNS0_4arch9wavefront6targetE1EEEvT1_
		.amdhsa_group_segment_fixed_size 0
		.amdhsa_private_segment_fixed_size 0
		.amdhsa_kernarg_size 32
		.amdhsa_user_sgpr_count 6
		.amdhsa_user_sgpr_private_segment_buffer 1
		.amdhsa_user_sgpr_dispatch_ptr 0
		.amdhsa_user_sgpr_queue_ptr 0
		.amdhsa_user_sgpr_kernarg_segment_ptr 1
		.amdhsa_user_sgpr_dispatch_id 0
		.amdhsa_user_sgpr_flat_scratch_init 0
		.amdhsa_user_sgpr_kernarg_preload_length 0
		.amdhsa_user_sgpr_kernarg_preload_offset 0
		.amdhsa_user_sgpr_private_segment_size 0
		.amdhsa_uses_dynamic_stack 0
		.amdhsa_system_sgpr_private_segment_wavefront_offset 0
		.amdhsa_system_sgpr_workgroup_id_x 1
		.amdhsa_system_sgpr_workgroup_id_y 0
		.amdhsa_system_sgpr_workgroup_id_z 0
		.amdhsa_system_sgpr_workgroup_info 0
		.amdhsa_system_vgpr_workitem_id 0
		.amdhsa_next_free_vgpr 1
		.amdhsa_next_free_sgpr 0
		.amdhsa_accum_offset 4
		.amdhsa_reserve_vcc 0
		.amdhsa_reserve_flat_scratch 0
		.amdhsa_float_round_mode_32 0
		.amdhsa_float_round_mode_16_64 0
		.amdhsa_float_denorm_mode_32 3
		.amdhsa_float_denorm_mode_16_64 3
		.amdhsa_dx10_clamp 1
		.amdhsa_ieee_mode 1
		.amdhsa_fp16_overflow 0
		.amdhsa_tg_split 0
		.amdhsa_exception_fp_ieee_invalid_op 0
		.amdhsa_exception_fp_denorm_src 0
		.amdhsa_exception_fp_ieee_div_zero 0
		.amdhsa_exception_fp_ieee_overflow 0
		.amdhsa_exception_fp_ieee_underflow 0
		.amdhsa_exception_fp_ieee_inexact 0
		.amdhsa_exception_int_div_zero 0
	.end_amdhsa_kernel
	.section	.text._ZN7rocprim17ROCPRIM_400000_NS6detail17trampoline_kernelINS0_14default_configENS1_20scan_config_selectorItEEZZNS1_9scan_implILNS1_25lookback_scan_determinismE0ELb1ELb1ES3_N6thrust23THRUST_200600_302600_NS6detail15normal_iteratorINS9_10device_ptrItEEEESE_t11max_functorItEtEEDaPvRmT3_T4_T5_mT6_P12ihipStream_tbENKUlT_T0_E_clISt17integral_constantIbLb1EESU_EEDaSP_SQ_EUlSP_E0_NS1_11comp_targetILNS1_3genE0ELNS1_11target_archE4294967295ELNS1_3gpuE0ELNS1_3repE0EEENS1_30default_config_static_selectorELNS0_4arch9wavefront6targetE1EEEvT1_,"axG",@progbits,_ZN7rocprim17ROCPRIM_400000_NS6detail17trampoline_kernelINS0_14default_configENS1_20scan_config_selectorItEEZZNS1_9scan_implILNS1_25lookback_scan_determinismE0ELb1ELb1ES3_N6thrust23THRUST_200600_302600_NS6detail15normal_iteratorINS9_10device_ptrItEEEESE_t11max_functorItEtEEDaPvRmT3_T4_T5_mT6_P12ihipStream_tbENKUlT_T0_E_clISt17integral_constantIbLb1EESU_EEDaSP_SQ_EUlSP_E0_NS1_11comp_targetILNS1_3genE0ELNS1_11target_archE4294967295ELNS1_3gpuE0ELNS1_3repE0EEENS1_30default_config_static_selectorELNS0_4arch9wavefront6targetE1EEEvT1_,comdat
.Lfunc_end2513:
	.size	_ZN7rocprim17ROCPRIM_400000_NS6detail17trampoline_kernelINS0_14default_configENS1_20scan_config_selectorItEEZZNS1_9scan_implILNS1_25lookback_scan_determinismE0ELb1ELb1ES3_N6thrust23THRUST_200600_302600_NS6detail15normal_iteratorINS9_10device_ptrItEEEESE_t11max_functorItEtEEDaPvRmT3_T4_T5_mT6_P12ihipStream_tbENKUlT_T0_E_clISt17integral_constantIbLb1EESU_EEDaSP_SQ_EUlSP_E0_NS1_11comp_targetILNS1_3genE0ELNS1_11target_archE4294967295ELNS1_3gpuE0ELNS1_3repE0EEENS1_30default_config_static_selectorELNS0_4arch9wavefront6targetE1EEEvT1_, .Lfunc_end2513-_ZN7rocprim17ROCPRIM_400000_NS6detail17trampoline_kernelINS0_14default_configENS1_20scan_config_selectorItEEZZNS1_9scan_implILNS1_25lookback_scan_determinismE0ELb1ELb1ES3_N6thrust23THRUST_200600_302600_NS6detail15normal_iteratorINS9_10device_ptrItEEEESE_t11max_functorItEtEEDaPvRmT3_T4_T5_mT6_P12ihipStream_tbENKUlT_T0_E_clISt17integral_constantIbLb1EESU_EEDaSP_SQ_EUlSP_E0_NS1_11comp_targetILNS1_3genE0ELNS1_11target_archE4294967295ELNS1_3gpuE0ELNS1_3repE0EEENS1_30default_config_static_selectorELNS0_4arch9wavefront6targetE1EEEvT1_
                                        ; -- End function
	.section	.AMDGPU.csdata,"",@progbits
; Kernel info:
; codeLenInByte = 0
; NumSgprs: 4
; NumVgprs: 0
; NumAgprs: 0
; TotalNumVgprs: 0
; ScratchSize: 0
; MemoryBound: 0
; FloatMode: 240
; IeeeMode: 1
; LDSByteSize: 0 bytes/workgroup (compile time only)
; SGPRBlocks: 0
; VGPRBlocks: 0
; NumSGPRsForWavesPerEU: 4
; NumVGPRsForWavesPerEU: 1
; AccumOffset: 4
; Occupancy: 8
; WaveLimiterHint : 0
; COMPUTE_PGM_RSRC2:SCRATCH_EN: 0
; COMPUTE_PGM_RSRC2:USER_SGPR: 6
; COMPUTE_PGM_RSRC2:TRAP_HANDLER: 0
; COMPUTE_PGM_RSRC2:TGID_X_EN: 1
; COMPUTE_PGM_RSRC2:TGID_Y_EN: 0
; COMPUTE_PGM_RSRC2:TGID_Z_EN: 0
; COMPUTE_PGM_RSRC2:TIDIG_COMP_CNT: 0
; COMPUTE_PGM_RSRC3_GFX90A:ACCUM_OFFSET: 0
; COMPUTE_PGM_RSRC3_GFX90A:TG_SPLIT: 0
	.section	.text._ZN7rocprim17ROCPRIM_400000_NS6detail17trampoline_kernelINS0_14default_configENS1_20scan_config_selectorItEEZZNS1_9scan_implILNS1_25lookback_scan_determinismE0ELb1ELb1ES3_N6thrust23THRUST_200600_302600_NS6detail15normal_iteratorINS9_10device_ptrItEEEESE_t11max_functorItEtEEDaPvRmT3_T4_T5_mT6_P12ihipStream_tbENKUlT_T0_E_clISt17integral_constantIbLb1EESU_EEDaSP_SQ_EUlSP_E0_NS1_11comp_targetILNS1_3genE5ELNS1_11target_archE942ELNS1_3gpuE9ELNS1_3repE0EEENS1_30default_config_static_selectorELNS0_4arch9wavefront6targetE1EEEvT1_,"axG",@progbits,_ZN7rocprim17ROCPRIM_400000_NS6detail17trampoline_kernelINS0_14default_configENS1_20scan_config_selectorItEEZZNS1_9scan_implILNS1_25lookback_scan_determinismE0ELb1ELb1ES3_N6thrust23THRUST_200600_302600_NS6detail15normal_iteratorINS9_10device_ptrItEEEESE_t11max_functorItEtEEDaPvRmT3_T4_T5_mT6_P12ihipStream_tbENKUlT_T0_E_clISt17integral_constantIbLb1EESU_EEDaSP_SQ_EUlSP_E0_NS1_11comp_targetILNS1_3genE5ELNS1_11target_archE942ELNS1_3gpuE9ELNS1_3repE0EEENS1_30default_config_static_selectorELNS0_4arch9wavefront6targetE1EEEvT1_,comdat
	.protected	_ZN7rocprim17ROCPRIM_400000_NS6detail17trampoline_kernelINS0_14default_configENS1_20scan_config_selectorItEEZZNS1_9scan_implILNS1_25lookback_scan_determinismE0ELb1ELb1ES3_N6thrust23THRUST_200600_302600_NS6detail15normal_iteratorINS9_10device_ptrItEEEESE_t11max_functorItEtEEDaPvRmT3_T4_T5_mT6_P12ihipStream_tbENKUlT_T0_E_clISt17integral_constantIbLb1EESU_EEDaSP_SQ_EUlSP_E0_NS1_11comp_targetILNS1_3genE5ELNS1_11target_archE942ELNS1_3gpuE9ELNS1_3repE0EEENS1_30default_config_static_selectorELNS0_4arch9wavefront6targetE1EEEvT1_ ; -- Begin function _ZN7rocprim17ROCPRIM_400000_NS6detail17trampoline_kernelINS0_14default_configENS1_20scan_config_selectorItEEZZNS1_9scan_implILNS1_25lookback_scan_determinismE0ELb1ELb1ES3_N6thrust23THRUST_200600_302600_NS6detail15normal_iteratorINS9_10device_ptrItEEEESE_t11max_functorItEtEEDaPvRmT3_T4_T5_mT6_P12ihipStream_tbENKUlT_T0_E_clISt17integral_constantIbLb1EESU_EEDaSP_SQ_EUlSP_E0_NS1_11comp_targetILNS1_3genE5ELNS1_11target_archE942ELNS1_3gpuE9ELNS1_3repE0EEENS1_30default_config_static_selectorELNS0_4arch9wavefront6targetE1EEEvT1_
	.globl	_ZN7rocprim17ROCPRIM_400000_NS6detail17trampoline_kernelINS0_14default_configENS1_20scan_config_selectorItEEZZNS1_9scan_implILNS1_25lookback_scan_determinismE0ELb1ELb1ES3_N6thrust23THRUST_200600_302600_NS6detail15normal_iteratorINS9_10device_ptrItEEEESE_t11max_functorItEtEEDaPvRmT3_T4_T5_mT6_P12ihipStream_tbENKUlT_T0_E_clISt17integral_constantIbLb1EESU_EEDaSP_SQ_EUlSP_E0_NS1_11comp_targetILNS1_3genE5ELNS1_11target_archE942ELNS1_3gpuE9ELNS1_3repE0EEENS1_30default_config_static_selectorELNS0_4arch9wavefront6targetE1EEEvT1_
	.p2align	8
	.type	_ZN7rocprim17ROCPRIM_400000_NS6detail17trampoline_kernelINS0_14default_configENS1_20scan_config_selectorItEEZZNS1_9scan_implILNS1_25lookback_scan_determinismE0ELb1ELb1ES3_N6thrust23THRUST_200600_302600_NS6detail15normal_iteratorINS9_10device_ptrItEEEESE_t11max_functorItEtEEDaPvRmT3_T4_T5_mT6_P12ihipStream_tbENKUlT_T0_E_clISt17integral_constantIbLb1EESU_EEDaSP_SQ_EUlSP_E0_NS1_11comp_targetILNS1_3genE5ELNS1_11target_archE942ELNS1_3gpuE9ELNS1_3repE0EEENS1_30default_config_static_selectorELNS0_4arch9wavefront6targetE1EEEvT1_,@function
_ZN7rocprim17ROCPRIM_400000_NS6detail17trampoline_kernelINS0_14default_configENS1_20scan_config_selectorItEEZZNS1_9scan_implILNS1_25lookback_scan_determinismE0ELb1ELb1ES3_N6thrust23THRUST_200600_302600_NS6detail15normal_iteratorINS9_10device_ptrItEEEESE_t11max_functorItEtEEDaPvRmT3_T4_T5_mT6_P12ihipStream_tbENKUlT_T0_E_clISt17integral_constantIbLb1EESU_EEDaSP_SQ_EUlSP_E0_NS1_11comp_targetILNS1_3genE5ELNS1_11target_archE942ELNS1_3gpuE9ELNS1_3repE0EEENS1_30default_config_static_selectorELNS0_4arch9wavefront6targetE1EEEvT1_: ; @_ZN7rocprim17ROCPRIM_400000_NS6detail17trampoline_kernelINS0_14default_configENS1_20scan_config_selectorItEEZZNS1_9scan_implILNS1_25lookback_scan_determinismE0ELb1ELb1ES3_N6thrust23THRUST_200600_302600_NS6detail15normal_iteratorINS9_10device_ptrItEEEESE_t11max_functorItEtEEDaPvRmT3_T4_T5_mT6_P12ihipStream_tbENKUlT_T0_E_clISt17integral_constantIbLb1EESU_EEDaSP_SQ_EUlSP_E0_NS1_11comp_targetILNS1_3genE5ELNS1_11target_archE942ELNS1_3gpuE9ELNS1_3repE0EEENS1_30default_config_static_selectorELNS0_4arch9wavefront6targetE1EEEvT1_
; %bb.0:
	.section	.rodata,"a",@progbits
	.p2align	6, 0x0
	.amdhsa_kernel _ZN7rocprim17ROCPRIM_400000_NS6detail17trampoline_kernelINS0_14default_configENS1_20scan_config_selectorItEEZZNS1_9scan_implILNS1_25lookback_scan_determinismE0ELb1ELb1ES3_N6thrust23THRUST_200600_302600_NS6detail15normal_iteratorINS9_10device_ptrItEEEESE_t11max_functorItEtEEDaPvRmT3_T4_T5_mT6_P12ihipStream_tbENKUlT_T0_E_clISt17integral_constantIbLb1EESU_EEDaSP_SQ_EUlSP_E0_NS1_11comp_targetILNS1_3genE5ELNS1_11target_archE942ELNS1_3gpuE9ELNS1_3repE0EEENS1_30default_config_static_selectorELNS0_4arch9wavefront6targetE1EEEvT1_
		.amdhsa_group_segment_fixed_size 0
		.amdhsa_private_segment_fixed_size 0
		.amdhsa_kernarg_size 32
		.amdhsa_user_sgpr_count 6
		.amdhsa_user_sgpr_private_segment_buffer 1
		.amdhsa_user_sgpr_dispatch_ptr 0
		.amdhsa_user_sgpr_queue_ptr 0
		.amdhsa_user_sgpr_kernarg_segment_ptr 1
		.amdhsa_user_sgpr_dispatch_id 0
		.amdhsa_user_sgpr_flat_scratch_init 0
		.amdhsa_user_sgpr_kernarg_preload_length 0
		.amdhsa_user_sgpr_kernarg_preload_offset 0
		.amdhsa_user_sgpr_private_segment_size 0
		.amdhsa_uses_dynamic_stack 0
		.amdhsa_system_sgpr_private_segment_wavefront_offset 0
		.amdhsa_system_sgpr_workgroup_id_x 1
		.amdhsa_system_sgpr_workgroup_id_y 0
		.amdhsa_system_sgpr_workgroup_id_z 0
		.amdhsa_system_sgpr_workgroup_info 0
		.amdhsa_system_vgpr_workitem_id 0
		.amdhsa_next_free_vgpr 1
		.amdhsa_next_free_sgpr 0
		.amdhsa_accum_offset 4
		.amdhsa_reserve_vcc 0
		.amdhsa_reserve_flat_scratch 0
		.amdhsa_float_round_mode_32 0
		.amdhsa_float_round_mode_16_64 0
		.amdhsa_float_denorm_mode_32 3
		.amdhsa_float_denorm_mode_16_64 3
		.amdhsa_dx10_clamp 1
		.amdhsa_ieee_mode 1
		.amdhsa_fp16_overflow 0
		.amdhsa_tg_split 0
		.amdhsa_exception_fp_ieee_invalid_op 0
		.amdhsa_exception_fp_denorm_src 0
		.amdhsa_exception_fp_ieee_div_zero 0
		.amdhsa_exception_fp_ieee_overflow 0
		.amdhsa_exception_fp_ieee_underflow 0
		.amdhsa_exception_fp_ieee_inexact 0
		.amdhsa_exception_int_div_zero 0
	.end_amdhsa_kernel
	.section	.text._ZN7rocprim17ROCPRIM_400000_NS6detail17trampoline_kernelINS0_14default_configENS1_20scan_config_selectorItEEZZNS1_9scan_implILNS1_25lookback_scan_determinismE0ELb1ELb1ES3_N6thrust23THRUST_200600_302600_NS6detail15normal_iteratorINS9_10device_ptrItEEEESE_t11max_functorItEtEEDaPvRmT3_T4_T5_mT6_P12ihipStream_tbENKUlT_T0_E_clISt17integral_constantIbLb1EESU_EEDaSP_SQ_EUlSP_E0_NS1_11comp_targetILNS1_3genE5ELNS1_11target_archE942ELNS1_3gpuE9ELNS1_3repE0EEENS1_30default_config_static_selectorELNS0_4arch9wavefront6targetE1EEEvT1_,"axG",@progbits,_ZN7rocprim17ROCPRIM_400000_NS6detail17trampoline_kernelINS0_14default_configENS1_20scan_config_selectorItEEZZNS1_9scan_implILNS1_25lookback_scan_determinismE0ELb1ELb1ES3_N6thrust23THRUST_200600_302600_NS6detail15normal_iteratorINS9_10device_ptrItEEEESE_t11max_functorItEtEEDaPvRmT3_T4_T5_mT6_P12ihipStream_tbENKUlT_T0_E_clISt17integral_constantIbLb1EESU_EEDaSP_SQ_EUlSP_E0_NS1_11comp_targetILNS1_3genE5ELNS1_11target_archE942ELNS1_3gpuE9ELNS1_3repE0EEENS1_30default_config_static_selectorELNS0_4arch9wavefront6targetE1EEEvT1_,comdat
.Lfunc_end2514:
	.size	_ZN7rocprim17ROCPRIM_400000_NS6detail17trampoline_kernelINS0_14default_configENS1_20scan_config_selectorItEEZZNS1_9scan_implILNS1_25lookback_scan_determinismE0ELb1ELb1ES3_N6thrust23THRUST_200600_302600_NS6detail15normal_iteratorINS9_10device_ptrItEEEESE_t11max_functorItEtEEDaPvRmT3_T4_T5_mT6_P12ihipStream_tbENKUlT_T0_E_clISt17integral_constantIbLb1EESU_EEDaSP_SQ_EUlSP_E0_NS1_11comp_targetILNS1_3genE5ELNS1_11target_archE942ELNS1_3gpuE9ELNS1_3repE0EEENS1_30default_config_static_selectorELNS0_4arch9wavefront6targetE1EEEvT1_, .Lfunc_end2514-_ZN7rocprim17ROCPRIM_400000_NS6detail17trampoline_kernelINS0_14default_configENS1_20scan_config_selectorItEEZZNS1_9scan_implILNS1_25lookback_scan_determinismE0ELb1ELb1ES3_N6thrust23THRUST_200600_302600_NS6detail15normal_iteratorINS9_10device_ptrItEEEESE_t11max_functorItEtEEDaPvRmT3_T4_T5_mT6_P12ihipStream_tbENKUlT_T0_E_clISt17integral_constantIbLb1EESU_EEDaSP_SQ_EUlSP_E0_NS1_11comp_targetILNS1_3genE5ELNS1_11target_archE942ELNS1_3gpuE9ELNS1_3repE0EEENS1_30default_config_static_selectorELNS0_4arch9wavefront6targetE1EEEvT1_
                                        ; -- End function
	.section	.AMDGPU.csdata,"",@progbits
; Kernel info:
; codeLenInByte = 0
; NumSgprs: 4
; NumVgprs: 0
; NumAgprs: 0
; TotalNumVgprs: 0
; ScratchSize: 0
; MemoryBound: 0
; FloatMode: 240
; IeeeMode: 1
; LDSByteSize: 0 bytes/workgroup (compile time only)
; SGPRBlocks: 0
; VGPRBlocks: 0
; NumSGPRsForWavesPerEU: 4
; NumVGPRsForWavesPerEU: 1
; AccumOffset: 4
; Occupancy: 8
; WaveLimiterHint : 0
; COMPUTE_PGM_RSRC2:SCRATCH_EN: 0
; COMPUTE_PGM_RSRC2:USER_SGPR: 6
; COMPUTE_PGM_RSRC2:TRAP_HANDLER: 0
; COMPUTE_PGM_RSRC2:TGID_X_EN: 1
; COMPUTE_PGM_RSRC2:TGID_Y_EN: 0
; COMPUTE_PGM_RSRC2:TGID_Z_EN: 0
; COMPUTE_PGM_RSRC2:TIDIG_COMP_CNT: 0
; COMPUTE_PGM_RSRC3_GFX90A:ACCUM_OFFSET: 0
; COMPUTE_PGM_RSRC3_GFX90A:TG_SPLIT: 0
	.section	.text._ZN7rocprim17ROCPRIM_400000_NS6detail17trampoline_kernelINS0_14default_configENS1_20scan_config_selectorItEEZZNS1_9scan_implILNS1_25lookback_scan_determinismE0ELb1ELb1ES3_N6thrust23THRUST_200600_302600_NS6detail15normal_iteratorINS9_10device_ptrItEEEESE_t11max_functorItEtEEDaPvRmT3_T4_T5_mT6_P12ihipStream_tbENKUlT_T0_E_clISt17integral_constantIbLb1EESU_EEDaSP_SQ_EUlSP_E0_NS1_11comp_targetILNS1_3genE4ELNS1_11target_archE910ELNS1_3gpuE8ELNS1_3repE0EEENS1_30default_config_static_selectorELNS0_4arch9wavefront6targetE1EEEvT1_,"axG",@progbits,_ZN7rocprim17ROCPRIM_400000_NS6detail17trampoline_kernelINS0_14default_configENS1_20scan_config_selectorItEEZZNS1_9scan_implILNS1_25lookback_scan_determinismE0ELb1ELb1ES3_N6thrust23THRUST_200600_302600_NS6detail15normal_iteratorINS9_10device_ptrItEEEESE_t11max_functorItEtEEDaPvRmT3_T4_T5_mT6_P12ihipStream_tbENKUlT_T0_E_clISt17integral_constantIbLb1EESU_EEDaSP_SQ_EUlSP_E0_NS1_11comp_targetILNS1_3genE4ELNS1_11target_archE910ELNS1_3gpuE8ELNS1_3repE0EEENS1_30default_config_static_selectorELNS0_4arch9wavefront6targetE1EEEvT1_,comdat
	.protected	_ZN7rocprim17ROCPRIM_400000_NS6detail17trampoline_kernelINS0_14default_configENS1_20scan_config_selectorItEEZZNS1_9scan_implILNS1_25lookback_scan_determinismE0ELb1ELb1ES3_N6thrust23THRUST_200600_302600_NS6detail15normal_iteratorINS9_10device_ptrItEEEESE_t11max_functorItEtEEDaPvRmT3_T4_T5_mT6_P12ihipStream_tbENKUlT_T0_E_clISt17integral_constantIbLb1EESU_EEDaSP_SQ_EUlSP_E0_NS1_11comp_targetILNS1_3genE4ELNS1_11target_archE910ELNS1_3gpuE8ELNS1_3repE0EEENS1_30default_config_static_selectorELNS0_4arch9wavefront6targetE1EEEvT1_ ; -- Begin function _ZN7rocprim17ROCPRIM_400000_NS6detail17trampoline_kernelINS0_14default_configENS1_20scan_config_selectorItEEZZNS1_9scan_implILNS1_25lookback_scan_determinismE0ELb1ELb1ES3_N6thrust23THRUST_200600_302600_NS6detail15normal_iteratorINS9_10device_ptrItEEEESE_t11max_functorItEtEEDaPvRmT3_T4_T5_mT6_P12ihipStream_tbENKUlT_T0_E_clISt17integral_constantIbLb1EESU_EEDaSP_SQ_EUlSP_E0_NS1_11comp_targetILNS1_3genE4ELNS1_11target_archE910ELNS1_3gpuE8ELNS1_3repE0EEENS1_30default_config_static_selectorELNS0_4arch9wavefront6targetE1EEEvT1_
	.globl	_ZN7rocprim17ROCPRIM_400000_NS6detail17trampoline_kernelINS0_14default_configENS1_20scan_config_selectorItEEZZNS1_9scan_implILNS1_25lookback_scan_determinismE0ELb1ELb1ES3_N6thrust23THRUST_200600_302600_NS6detail15normal_iteratorINS9_10device_ptrItEEEESE_t11max_functorItEtEEDaPvRmT3_T4_T5_mT6_P12ihipStream_tbENKUlT_T0_E_clISt17integral_constantIbLb1EESU_EEDaSP_SQ_EUlSP_E0_NS1_11comp_targetILNS1_3genE4ELNS1_11target_archE910ELNS1_3gpuE8ELNS1_3repE0EEENS1_30default_config_static_selectorELNS0_4arch9wavefront6targetE1EEEvT1_
	.p2align	8
	.type	_ZN7rocprim17ROCPRIM_400000_NS6detail17trampoline_kernelINS0_14default_configENS1_20scan_config_selectorItEEZZNS1_9scan_implILNS1_25lookback_scan_determinismE0ELb1ELb1ES3_N6thrust23THRUST_200600_302600_NS6detail15normal_iteratorINS9_10device_ptrItEEEESE_t11max_functorItEtEEDaPvRmT3_T4_T5_mT6_P12ihipStream_tbENKUlT_T0_E_clISt17integral_constantIbLb1EESU_EEDaSP_SQ_EUlSP_E0_NS1_11comp_targetILNS1_3genE4ELNS1_11target_archE910ELNS1_3gpuE8ELNS1_3repE0EEENS1_30default_config_static_selectorELNS0_4arch9wavefront6targetE1EEEvT1_,@function
_ZN7rocprim17ROCPRIM_400000_NS6detail17trampoline_kernelINS0_14default_configENS1_20scan_config_selectorItEEZZNS1_9scan_implILNS1_25lookback_scan_determinismE0ELb1ELb1ES3_N6thrust23THRUST_200600_302600_NS6detail15normal_iteratorINS9_10device_ptrItEEEESE_t11max_functorItEtEEDaPvRmT3_T4_T5_mT6_P12ihipStream_tbENKUlT_T0_E_clISt17integral_constantIbLb1EESU_EEDaSP_SQ_EUlSP_E0_NS1_11comp_targetILNS1_3genE4ELNS1_11target_archE910ELNS1_3gpuE8ELNS1_3repE0EEENS1_30default_config_static_selectorELNS0_4arch9wavefront6targetE1EEEvT1_: ; @_ZN7rocprim17ROCPRIM_400000_NS6detail17trampoline_kernelINS0_14default_configENS1_20scan_config_selectorItEEZZNS1_9scan_implILNS1_25lookback_scan_determinismE0ELb1ELb1ES3_N6thrust23THRUST_200600_302600_NS6detail15normal_iteratorINS9_10device_ptrItEEEESE_t11max_functorItEtEEDaPvRmT3_T4_T5_mT6_P12ihipStream_tbENKUlT_T0_E_clISt17integral_constantIbLb1EESU_EEDaSP_SQ_EUlSP_E0_NS1_11comp_targetILNS1_3genE4ELNS1_11target_archE910ELNS1_3gpuE8ELNS1_3repE0EEENS1_30default_config_static_selectorELNS0_4arch9wavefront6targetE1EEEvT1_
; %bb.0:
	s_load_dwordx4 s[52:55], s[4:5], 0x0
	v_mov_b32_e32 v1, 0
	v_lshlrev_b32_e32 v14, 1, v0
	s_waitcnt lgkmcnt(0)
	global_load_ushort v2, v1, s[52:53]
	v_cmp_gt_u32_e32 vcc, s54, v0
	s_waitcnt vmcnt(0)
	v_mov_b32_e32 v3, v2
	s_and_saveexec_b64 s[0:1], vcc
	s_cbranch_execz .LBB2515_2
; %bb.1:
	global_load_ushort v3, v14, s[52:53]
.LBB2515_2:
	s_or_b64 exec, exec, s[0:1]
	v_or_b32_e32 v1, 64, v0
	v_cmp_gt_u32_e64 s[0:1], s54, v1
	v_mov_b32_e32 v4, v2
	s_and_saveexec_b64 s[2:3], s[0:1]
	s_cbranch_execz .LBB2515_4
; %bb.3:
	global_load_ushort v4, v14, s[52:53] offset:128
.LBB2515_4:
	s_or_b64 exec, exec, s[2:3]
	v_or_b32_e32 v1, 0x80, v0
	v_cmp_gt_u32_e64 s[2:3], s54, v1
	v_mov_b32_e32 v5, v2
	s_and_saveexec_b64 s[6:7], s[2:3]
	s_cbranch_execz .LBB2515_6
; %bb.5:
	global_load_ushort v5, v14, s[52:53] offset:256
.LBB2515_6:
	s_or_b64 exec, exec, s[6:7]
	v_or_b32_e32 v1, 0xc0, v0
	v_cmp_gt_u32_e64 s[48:49], s54, v1
	v_mov_b32_e32 v6, v2
	s_and_saveexec_b64 s[6:7], s[48:49]
	s_cbranch_execz .LBB2515_8
; %bb.7:
	global_load_ushort v6, v14, s[52:53] offset:384
.LBB2515_8:
	s_or_b64 exec, exec, s[6:7]
	v_or_b32_e32 v1, 0x100, v0
	v_cmp_gt_u32_e64 s[6:7], s54, v1
	v_mov_b32_e32 v7, v2
	s_and_saveexec_b64 s[8:9], s[6:7]
	s_cbranch_execz .LBB2515_10
; %bb.9:
	global_load_ushort v7, v14, s[52:53] offset:512
.LBB2515_10:
	s_or_b64 exec, exec, s[8:9]
	v_or_b32_e32 v1, 0x140, v0
	v_cmp_gt_u32_e64 s[8:9], s54, v1
	v_mov_b32_e32 v8, v2
	s_and_saveexec_b64 s[10:11], s[8:9]
	s_cbranch_execz .LBB2515_12
; %bb.11:
	global_load_ushort v8, v14, s[52:53] offset:640
.LBB2515_12:
	s_or_b64 exec, exec, s[10:11]
	v_or_b32_e32 v1, 0x180, v0
	v_cmp_gt_u32_e64 s[10:11], s54, v1
	v_mov_b32_e32 v9, v2
	s_and_saveexec_b64 s[12:13], s[10:11]
	s_cbranch_execz .LBB2515_14
; %bb.13:
	global_load_ushort v9, v14, s[52:53] offset:768
.LBB2515_14:
	s_or_b64 exec, exec, s[12:13]
	v_or_b32_e32 v1, 0x1c0, v0
	v_cmp_gt_u32_e64 s[12:13], s54, v1
	v_mov_b32_e32 v10, v2
	s_and_saveexec_b64 s[14:15], s[12:13]
	s_cbranch_execz .LBB2515_16
; %bb.15:
	global_load_ushort v10, v14, s[52:53] offset:896
.LBB2515_16:
	s_or_b64 exec, exec, s[14:15]
	v_or_b32_e32 v1, 0x200, v0
	v_cmp_gt_u32_e64 s[14:15], s54, v1
	v_mov_b32_e32 v11, v2
	s_and_saveexec_b64 s[16:17], s[14:15]
	s_cbranch_execz .LBB2515_18
; %bb.17:
	global_load_ushort v11, v14, s[52:53] offset:1024
.LBB2515_18:
	s_or_b64 exec, exec, s[16:17]
	v_or_b32_e32 v1, 0x240, v0
	v_cmp_gt_u32_e64 s[16:17], s54, v1
	v_mov_b32_e32 v12, v2
	s_and_saveexec_b64 s[18:19], s[16:17]
	s_cbranch_execz .LBB2515_20
; %bb.19:
	global_load_ushort v12, v14, s[52:53] offset:1152
.LBB2515_20:
	s_or_b64 exec, exec, s[18:19]
	v_or_b32_e32 v1, 0x280, v0
	v_cmp_gt_u32_e64 s[18:19], s54, v1
	v_mov_b32_e32 v13, v2
	s_and_saveexec_b64 s[20:21], s[18:19]
	s_cbranch_execz .LBB2515_22
; %bb.21:
	global_load_ushort v13, v14, s[52:53] offset:1280
.LBB2515_22:
	s_or_b64 exec, exec, s[20:21]
	v_or_b32_e32 v1, 0x2c0, v0
	v_cmp_gt_u32_e64 s[20:21], s54, v1
	v_mov_b32_e32 v15, v2
	s_and_saveexec_b64 s[22:23], s[20:21]
	s_cbranch_execz .LBB2515_24
; %bb.23:
	global_load_ushort v15, v14, s[52:53] offset:1408
.LBB2515_24:
	s_or_b64 exec, exec, s[22:23]
	v_or_b32_e32 v1, 0x300, v0
	v_cmp_gt_u32_e64 s[22:23], s54, v1
	v_mov_b32_e32 v16, v2
	s_and_saveexec_b64 s[24:25], s[22:23]
	s_cbranch_execz .LBB2515_26
; %bb.25:
	global_load_ushort v16, v14, s[52:53] offset:1536
.LBB2515_26:
	s_or_b64 exec, exec, s[24:25]
	v_or_b32_e32 v1, 0x340, v0
	v_cmp_gt_u32_e64 s[24:25], s54, v1
	v_mov_b32_e32 v17, v2
	s_and_saveexec_b64 s[26:27], s[24:25]
	s_cbranch_execz .LBB2515_28
; %bb.27:
	global_load_ushort v17, v14, s[52:53] offset:1664
.LBB2515_28:
	s_or_b64 exec, exec, s[26:27]
	v_or_b32_e32 v1, 0x380, v0
	v_cmp_gt_u32_e64 s[26:27], s54, v1
	v_mov_b32_e32 v18, v2
	s_and_saveexec_b64 s[28:29], s[26:27]
	s_cbranch_execz .LBB2515_30
; %bb.29:
	global_load_ushort v18, v14, s[52:53] offset:1792
.LBB2515_30:
	s_or_b64 exec, exec, s[28:29]
	v_or_b32_e32 v1, 0x3c0, v0
	v_cmp_gt_u32_e64 s[28:29], s54, v1
	v_mov_b32_e32 v19, v2
	s_and_saveexec_b64 s[30:31], s[28:29]
	s_cbranch_execz .LBB2515_32
; %bb.31:
	global_load_ushort v19, v14, s[52:53] offset:1920
.LBB2515_32:
	s_or_b64 exec, exec, s[30:31]
	v_or_b32_e32 v1, 0x400, v0
	v_cmp_gt_u32_e64 s[30:31], s54, v1
	v_mov_b32_e32 v20, v2
	s_and_saveexec_b64 s[34:35], s[30:31]
	s_cbranch_execz .LBB2515_34
; %bb.33:
	global_load_ushort v20, v14, s[52:53] offset:2048
.LBB2515_34:
	s_or_b64 exec, exec, s[34:35]
	v_or_b32_e32 v1, 0x440, v0
	v_cmp_gt_u32_e64 s[34:35], s54, v1
	v_mov_b32_e32 v21, v2
	s_and_saveexec_b64 s[36:37], s[34:35]
	s_cbranch_execz .LBB2515_36
; %bb.35:
	global_load_ushort v21, v14, s[52:53] offset:2176
.LBB2515_36:
	s_or_b64 exec, exec, s[36:37]
	v_or_b32_e32 v1, 0x480, v0
	v_cmp_gt_u32_e64 s[36:37], s54, v1
	v_mov_b32_e32 v22, v2
	s_and_saveexec_b64 s[38:39], s[36:37]
	s_cbranch_execz .LBB2515_38
; %bb.37:
	global_load_ushort v22, v14, s[52:53] offset:2304
.LBB2515_38:
	s_or_b64 exec, exec, s[38:39]
	v_or_b32_e32 v1, 0x4c0, v0
	v_cmp_gt_u32_e64 s[38:39], s54, v1
	v_mov_b32_e32 v23, v2
	s_and_saveexec_b64 s[40:41], s[38:39]
	s_cbranch_execz .LBB2515_40
; %bb.39:
	global_load_ushort v23, v14, s[52:53] offset:2432
.LBB2515_40:
	s_or_b64 exec, exec, s[40:41]
	v_or_b32_e32 v1, 0x500, v0
	v_cmp_gt_u32_e64 s[40:41], s54, v1
	v_mov_b32_e32 v24, v2
	s_and_saveexec_b64 s[42:43], s[40:41]
	s_cbranch_execz .LBB2515_42
; %bb.41:
	global_load_ushort v24, v14, s[52:53] offset:2560
.LBB2515_42:
	s_or_b64 exec, exec, s[42:43]
	v_or_b32_e32 v1, 0x540, v0
	v_cmp_gt_u32_e64 s[42:43], s54, v1
	v_mov_b32_e32 v25, v2
	s_and_saveexec_b64 s[44:45], s[42:43]
	s_cbranch_execz .LBB2515_44
; %bb.43:
	global_load_ushort v25, v14, s[52:53] offset:2688
.LBB2515_44:
	s_or_b64 exec, exec, s[44:45]
	v_or_b32_e32 v1, 0x580, v0
	v_cmp_gt_u32_e64 s[44:45], s54, v1
	v_mov_b32_e32 v26, v2
	s_and_saveexec_b64 s[46:47], s[44:45]
	s_cbranch_execz .LBB2515_46
; %bb.45:
	global_load_ushort v26, v14, s[52:53] offset:2816
.LBB2515_46:
	s_or_b64 exec, exec, s[46:47]
	v_or_b32_e32 v1, 0x5c0, v0
	v_cmp_gt_u32_e64 s[46:47], s54, v1
	v_cmp_le_u32_e64 s[50:51], s54, v1
	s_and_saveexec_b64 s[54:55], s[50:51]
	s_xor_b64 s[50:51], exec, s[54:55]
; %bb.47:
	v_mov_b32_e32 v1, 0
; %bb.48:
	s_or_saveexec_b64 s[50:51], s[50:51]
	s_load_dword s33, s[4:5], 0x10
	s_load_dwordx2 s[54:55], s[4:5], 0x18
	s_xor_b64 exec, exec, s[50:51]
	s_cbranch_execz .LBB2515_50
; %bb.49:
	global_load_ushort v2, v14, s[52:53] offset:2944
	v_mov_b32_e32 v1, 0
.LBB2515_50:
	s_or_b64 exec, exec, s[50:51]
	s_waitcnt vmcnt(0)
	ds_write_b16 v14, v3
	ds_write_b16 v14, v4 offset:128
	ds_write_b16 v14, v5 offset:256
	;; [unrolled: 1-line block ×23, first 2 shown]
	v_mad_u32_u24 v15, v0, 46, v14
	s_waitcnt lgkmcnt(0)
	; wave barrier
	s_waitcnt lgkmcnt(0)
	ds_read_b128 v[10:13], v15
	ds_read_b128 v[6:9], v15 offset:16
	ds_read_b128 v[2:5], v15 offset:32
	s_waitcnt lgkmcnt(0)
	; wave barrier
	s_waitcnt lgkmcnt(0)
	v_lshrrev_b32_e32 v25, 16, v11
	v_max_u16_sdwa v27, v10, v10 dst_sel:DWORD dst_unused:UNUSED_PAD src0_sel:DWORD src1_sel:WORD_1
	v_lshrrev_b32_e32 v24, 16, v12
	v_max3_u16 v27, v27, v11, v25
	v_lshrrev_b32_e32 v23, 16, v13
	v_max3_u16 v27, v27, v12, v24
	;; [unrolled: 2-line block ×10, first 2 shown]
	v_max3_u16 v27, v27, v5, v26
	v_mbcnt_lo_u32_b32 v26, -1, 0
	v_mbcnt_hi_u32_b32 v26, -1, v26
	v_and_b32_e32 v29, 0xffff, v27
	v_and_b32_e32 v28, 15, v26
	v_cmp_eq_u32_e64 s[4:5], 0, v28
	v_mov_b32_dpp v29, v29 row_shr:1 row_mask:0xf bank_mask:0xf
	v_max_u16_e32 v29, v29, v27
	v_cndmask_b32_e64 v27, v29, v27, s[4:5]
	v_and_b32_e32 v29, 0xffff, v27
	v_cmp_lt_u32_e64 s[4:5], 1, v28
	s_nop 0
	v_mov_b32_dpp v29, v29 row_shr:2 row_mask:0xf bank_mask:0xf
	v_max_u16_e32 v29, v29, v27
	v_cndmask_b32_e64 v27, v27, v29, s[4:5]
	v_and_b32_e32 v29, 0xffff, v27
	v_cmp_lt_u32_e64 s[4:5], 3, v28
	s_nop 0
	;; [unrolled: 6-line block ×3, first 2 shown]
	v_mov_b32_dpp v29, v29 row_shr:8 row_mask:0xf bank_mask:0xf
	v_max_u16_e32 v29, v29, v27
	v_cndmask_b32_e64 v27, v27, v29, s[4:5]
	v_and_b32_e32 v28, 0xffff, v27
	v_and_b32_e32 v29, 16, v26
	v_cmp_eq_u32_e64 s[4:5], 0, v29
	v_mov_b32_dpp v28, v28 row_bcast:15 row_mask:0xf bank_mask:0xf
	v_max_u16_e32 v28, v28, v27
	v_cndmask_b32_e64 v27, v28, v27, s[4:5]
	v_and_b32_e32 v28, 0xffff, v27
	v_cmp_lt_u32_e64 s[4:5], 31, v26
	s_nop 0
	v_mov_b32_dpp v28, v28 row_bcast:31 row_mask:0xf bank_mask:0xf
	v_max_u16_e32 v28, v28, v27
	v_cndmask_b32_e64 v27, v27, v28, s[4:5]
	v_cmp_eq_u32_e64 s[4:5], 63, v0
	s_and_saveexec_b64 s[50:51], s[4:5]
	s_cbranch_execz .LBB2515_52
; %bb.51:
	v_mov_b32_e32 v28, 0
	ds_write_b16 v28, v27
.LBB2515_52:
	s_or_b64 exec, exec, s[50:51]
	v_add_u32_e32 v28, -1, v26
	v_and_b32_e32 v29, 64, v26
	v_cmp_lt_i32_e64 s[4:5], v28, v29
	v_cndmask_b32_e64 v28, v28, v26, s[4:5]
	v_max_u16_e32 v27, s33, v27
	v_lshlrev_b32_e32 v28, 2, v28
	ds_bpermute_b32 v27, v28, v27
	v_cmp_eq_u32_e64 s[4:5], 0, v26
	v_cmp_eq_u32_e64 s[50:51], 0, v0
	v_mov_b32_e32 v26, s33
	s_or_b64 s[4:5], s[50:51], s[4:5]
	s_waitcnt lgkmcnt(0)
	v_cndmask_b32_e64 v26, v27, v26, s[4:5]
	v_max_u16_e32 v27, v26, v10
	v_max_u16_sdwa v10, v27, v10 dst_sel:DWORD dst_unused:UNUSED_PAD src0_sel:DWORD src1_sel:WORD_1
	v_max_u16_e32 v11, v10, v11
	v_max_u16_e32 v25, v11, v25
	;; [unrolled: 1-line block ×20, first 2 shown]
	s_mov_b32 s4, 0x5040100
	v_max_u16_e32 v31, v16, v5
	v_perm_b32 v2, v27, v26, s4
	v_perm_b32 v3, v11, v10, s4
	;; [unrolled: 1-line block ×4, first 2 shown]
	s_waitcnt lgkmcnt(0)
	; wave barrier
	s_waitcnt lgkmcnt(0)
	s_waitcnt lgkmcnt(0)
	; wave barrier
	ds_write_b128 v15, v[2:5]
	v_perm_b32 v2, v6, v23, s4
	v_perm_b32 v3, v7, v22, s4
	v_perm_b32 v4, v8, v21, s4
	v_perm_b32 v5, v9, v20, s4
	ds_write_b128 v15, v[2:5] offset:16
	v_perm_b32 v2, v28, v19, s4
	v_perm_b32 v3, v29, v18, s4
	;; [unrolled: 1-line block ×4, first 2 shown]
	s_movk_i32 s4, 0xffd2
	ds_write_b128 v15, v[2:5] offset:32
	v_mad_i32_i24 v2, v0, s4, v15
	s_waitcnt lgkmcnt(0)
	; wave barrier
	s_waitcnt lgkmcnt(0)
	ds_read_u16 v25, v2 offset:128
	ds_read_u16 v24, v2 offset:256
	;; [unrolled: 1-line block ×23, first 2 shown]
	v_lshlrev_b64 v[0:1], 1, v[0:1]
	v_mov_b32_e32 v26, s55
	v_add_co_u32_e64 v0, s[4:5], s54, v0
	v_addc_co_u32_e64 v1, s[4:5], v26, v1, s[4:5]
	s_and_saveexec_b64 s[4:5], vcc
	s_cbranch_execnz .LBB2515_77
; %bb.53:
	s_or_b64 exec, exec, s[4:5]
	s_and_saveexec_b64 s[4:5], s[0:1]
	s_cbranch_execnz .LBB2515_78
.LBB2515_54:
	s_or_b64 exec, exec, s[4:5]
	s_and_saveexec_b64 s[0:1], s[2:3]
	s_cbranch_execnz .LBB2515_79
.LBB2515_55:
	s_or_b64 exec, exec, s[0:1]
	s_and_saveexec_b64 s[0:1], s[48:49]
	s_cbranch_execnz .LBB2515_80
.LBB2515_56:
	s_or_b64 exec, exec, s[0:1]
	s_and_saveexec_b64 s[0:1], s[6:7]
	s_cbranch_execnz .LBB2515_81
.LBB2515_57:
	s_or_b64 exec, exec, s[0:1]
	s_and_saveexec_b64 s[0:1], s[8:9]
	s_cbranch_execnz .LBB2515_82
.LBB2515_58:
	s_or_b64 exec, exec, s[0:1]
	s_and_saveexec_b64 s[0:1], s[10:11]
	s_cbranch_execnz .LBB2515_83
.LBB2515_59:
	s_or_b64 exec, exec, s[0:1]
	s_and_saveexec_b64 s[0:1], s[12:13]
	s_cbranch_execnz .LBB2515_84
.LBB2515_60:
	s_or_b64 exec, exec, s[0:1]
	s_and_saveexec_b64 s[0:1], s[14:15]
	s_cbranch_execnz .LBB2515_85
.LBB2515_61:
	s_or_b64 exec, exec, s[0:1]
	s_and_saveexec_b64 s[0:1], s[16:17]
	s_cbranch_execnz .LBB2515_86
.LBB2515_62:
	s_or_b64 exec, exec, s[0:1]
	s_and_saveexec_b64 s[0:1], s[18:19]
	s_cbranch_execnz .LBB2515_87
.LBB2515_63:
	s_or_b64 exec, exec, s[0:1]
	s_and_saveexec_b64 s[0:1], s[20:21]
	s_cbranch_execnz .LBB2515_88
.LBB2515_64:
	s_or_b64 exec, exec, s[0:1]
	s_and_saveexec_b64 s[0:1], s[22:23]
	s_cbranch_execnz .LBB2515_89
.LBB2515_65:
	s_or_b64 exec, exec, s[0:1]
	s_and_saveexec_b64 s[0:1], s[24:25]
	s_cbranch_execnz .LBB2515_90
.LBB2515_66:
	s_or_b64 exec, exec, s[0:1]
	s_and_saveexec_b64 s[0:1], s[26:27]
	s_cbranch_execnz .LBB2515_91
.LBB2515_67:
	s_or_b64 exec, exec, s[0:1]
	s_and_saveexec_b64 s[0:1], s[28:29]
	s_cbranch_execnz .LBB2515_92
.LBB2515_68:
	s_or_b64 exec, exec, s[0:1]
	s_and_saveexec_b64 s[0:1], s[30:31]
	s_cbranch_execnz .LBB2515_93
.LBB2515_69:
	s_or_b64 exec, exec, s[0:1]
	s_and_saveexec_b64 s[0:1], s[34:35]
	s_cbranch_execnz .LBB2515_94
.LBB2515_70:
	s_or_b64 exec, exec, s[0:1]
	s_and_saveexec_b64 s[0:1], s[36:37]
	s_cbranch_execnz .LBB2515_95
.LBB2515_71:
	s_or_b64 exec, exec, s[0:1]
	s_and_saveexec_b64 s[0:1], s[38:39]
	s_cbranch_execnz .LBB2515_96
.LBB2515_72:
	s_or_b64 exec, exec, s[0:1]
	s_and_saveexec_b64 s[0:1], s[40:41]
	s_cbranch_execnz .LBB2515_97
.LBB2515_73:
	s_or_b64 exec, exec, s[0:1]
	s_and_saveexec_b64 s[0:1], s[42:43]
	s_cbranch_execnz .LBB2515_98
.LBB2515_74:
	s_or_b64 exec, exec, s[0:1]
	s_and_saveexec_b64 s[0:1], s[44:45]
	s_cbranch_execnz .LBB2515_99
.LBB2515_75:
	s_or_b64 exec, exec, s[0:1]
	s_and_saveexec_b64 s[0:1], s[46:47]
	s_cbranch_execnz .LBB2515_100
.LBB2515_76:
	s_endpgm
.LBB2515_77:
	ds_read_u16 v14, v14
	s_waitcnt lgkmcnt(0)
	global_store_short v[0:1], v14, off
	s_or_b64 exec, exec, s[4:5]
	s_and_saveexec_b64 s[4:5], s[0:1]
	s_cbranch_execz .LBB2515_54
.LBB2515_78:
	s_waitcnt lgkmcnt(14)
	global_store_short v[0:1], v25, off offset:128
	s_or_b64 exec, exec, s[4:5]
	s_and_saveexec_b64 s[0:1], s[2:3]
	s_cbranch_execz .LBB2515_55
.LBB2515_79:
	s_waitcnt lgkmcnt(14)
	global_store_short v[0:1], v24, off offset:256
	s_or_b64 exec, exec, s[0:1]
	s_and_saveexec_b64 s[0:1], s[48:49]
	s_cbranch_execz .LBB2515_56
.LBB2515_80:
	s_waitcnt lgkmcnt(14)
	global_store_short v[0:1], v23, off offset:384
	s_or_b64 exec, exec, s[0:1]
	s_and_saveexec_b64 s[0:1], s[6:7]
	s_cbranch_execz .LBB2515_57
.LBB2515_81:
	s_waitcnt lgkmcnt(14)
	global_store_short v[0:1], v22, off offset:512
	s_or_b64 exec, exec, s[0:1]
	s_and_saveexec_b64 s[0:1], s[8:9]
	s_cbranch_execz .LBB2515_58
.LBB2515_82:
	s_waitcnt lgkmcnt(14)
	global_store_short v[0:1], v21, off offset:640
	s_or_b64 exec, exec, s[0:1]
	s_and_saveexec_b64 s[0:1], s[10:11]
	s_cbranch_execz .LBB2515_59
.LBB2515_83:
	s_waitcnt lgkmcnt(14)
	global_store_short v[0:1], v20, off offset:768
	s_or_b64 exec, exec, s[0:1]
	s_and_saveexec_b64 s[0:1], s[12:13]
	s_cbranch_execz .LBB2515_60
.LBB2515_84:
	s_waitcnt lgkmcnt(14)
	global_store_short v[0:1], v19, off offset:896
	s_or_b64 exec, exec, s[0:1]
	s_and_saveexec_b64 s[0:1], s[14:15]
	s_cbranch_execz .LBB2515_61
.LBB2515_85:
	s_waitcnt lgkmcnt(14)
	global_store_short v[0:1], v18, off offset:1024
	s_or_b64 exec, exec, s[0:1]
	s_and_saveexec_b64 s[0:1], s[16:17]
	s_cbranch_execz .LBB2515_62
.LBB2515_86:
	s_waitcnt lgkmcnt(14)
	global_store_short v[0:1], v17, off offset:1152
	s_or_b64 exec, exec, s[0:1]
	s_and_saveexec_b64 s[0:1], s[18:19]
	s_cbranch_execz .LBB2515_63
.LBB2515_87:
	s_waitcnt lgkmcnt(13)
	global_store_short v[0:1], v16, off offset:1280
	s_or_b64 exec, exec, s[0:1]
	s_and_saveexec_b64 s[0:1], s[20:21]
	s_cbranch_execz .LBB2515_64
.LBB2515_88:
	s_waitcnt lgkmcnt(12)
	global_store_short v[0:1], v15, off offset:1408
	s_or_b64 exec, exec, s[0:1]
	s_and_saveexec_b64 s[0:1], s[22:23]
	s_cbranch_execz .LBB2515_65
.LBB2515_89:
	s_waitcnt lgkmcnt(11)
	global_store_short v[0:1], v13, off offset:1536
	s_or_b64 exec, exec, s[0:1]
	s_and_saveexec_b64 s[0:1], s[24:25]
	s_cbranch_execz .LBB2515_66
.LBB2515_90:
	s_waitcnt lgkmcnt(10)
	global_store_short v[0:1], v12, off offset:1664
	s_or_b64 exec, exec, s[0:1]
	s_and_saveexec_b64 s[0:1], s[26:27]
	s_cbranch_execz .LBB2515_67
.LBB2515_91:
	s_waitcnt lgkmcnt(9)
	global_store_short v[0:1], v11, off offset:1792
	s_or_b64 exec, exec, s[0:1]
	s_and_saveexec_b64 s[0:1], s[28:29]
	s_cbranch_execz .LBB2515_68
.LBB2515_92:
	s_waitcnt lgkmcnt(8)
	global_store_short v[0:1], v10, off offset:1920
	s_or_b64 exec, exec, s[0:1]
	s_and_saveexec_b64 s[0:1], s[30:31]
	s_cbranch_execz .LBB2515_69
.LBB2515_93:
	s_waitcnt lgkmcnt(1)
	global_store_short v[0:1], v9, off offset:2048
	s_or_b64 exec, exec, s[0:1]
	s_and_saveexec_b64 s[0:1], s[34:35]
	s_cbranch_execz .LBB2515_70
.LBB2515_94:
	s_waitcnt lgkmcnt(7)
	global_store_short v[0:1], v8, off offset:2176
	s_or_b64 exec, exec, s[0:1]
	s_and_saveexec_b64 s[0:1], s[36:37]
	s_cbranch_execz .LBB2515_71
.LBB2515_95:
	s_waitcnt lgkmcnt(6)
	global_store_short v[0:1], v7, off offset:2304
	s_or_b64 exec, exec, s[0:1]
	s_and_saveexec_b64 s[0:1], s[38:39]
	s_cbranch_execz .LBB2515_72
.LBB2515_96:
	s_waitcnt lgkmcnt(5)
	global_store_short v[0:1], v6, off offset:2432
	s_or_b64 exec, exec, s[0:1]
	s_and_saveexec_b64 s[0:1], s[40:41]
	s_cbranch_execz .LBB2515_73
.LBB2515_97:
	s_waitcnt lgkmcnt(4)
	global_store_short v[0:1], v5, off offset:2560
	s_or_b64 exec, exec, s[0:1]
	s_and_saveexec_b64 s[0:1], s[42:43]
	s_cbranch_execz .LBB2515_74
.LBB2515_98:
	s_waitcnt lgkmcnt(3)
	global_store_short v[0:1], v4, off offset:2688
	s_or_b64 exec, exec, s[0:1]
	s_and_saveexec_b64 s[0:1], s[44:45]
	s_cbranch_execz .LBB2515_75
.LBB2515_99:
	s_waitcnt lgkmcnt(2)
	global_store_short v[0:1], v3, off offset:2816
	s_or_b64 exec, exec, s[0:1]
	s_and_saveexec_b64 s[0:1], s[46:47]
	s_cbranch_execz .LBB2515_76
.LBB2515_100:
	s_waitcnt lgkmcnt(0)
	global_store_short v[0:1], v2, off offset:2944
	s_endpgm
	.section	.rodata,"a",@progbits
	.p2align	6, 0x0
	.amdhsa_kernel _ZN7rocprim17ROCPRIM_400000_NS6detail17trampoline_kernelINS0_14default_configENS1_20scan_config_selectorItEEZZNS1_9scan_implILNS1_25lookback_scan_determinismE0ELb1ELb1ES3_N6thrust23THRUST_200600_302600_NS6detail15normal_iteratorINS9_10device_ptrItEEEESE_t11max_functorItEtEEDaPvRmT3_T4_T5_mT6_P12ihipStream_tbENKUlT_T0_E_clISt17integral_constantIbLb1EESU_EEDaSP_SQ_EUlSP_E0_NS1_11comp_targetILNS1_3genE4ELNS1_11target_archE910ELNS1_3gpuE8ELNS1_3repE0EEENS1_30default_config_static_selectorELNS0_4arch9wavefront6targetE1EEEvT1_
		.amdhsa_group_segment_fixed_size 3072
		.amdhsa_private_segment_fixed_size 0
		.amdhsa_kernarg_size 32
		.amdhsa_user_sgpr_count 6
		.amdhsa_user_sgpr_private_segment_buffer 1
		.amdhsa_user_sgpr_dispatch_ptr 0
		.amdhsa_user_sgpr_queue_ptr 0
		.amdhsa_user_sgpr_kernarg_segment_ptr 1
		.amdhsa_user_sgpr_dispatch_id 0
		.amdhsa_user_sgpr_flat_scratch_init 0
		.amdhsa_user_sgpr_kernarg_preload_length 0
		.amdhsa_user_sgpr_kernarg_preload_offset 0
		.amdhsa_user_sgpr_private_segment_size 0
		.amdhsa_uses_dynamic_stack 0
		.amdhsa_system_sgpr_private_segment_wavefront_offset 0
		.amdhsa_system_sgpr_workgroup_id_x 1
		.amdhsa_system_sgpr_workgroup_id_y 0
		.amdhsa_system_sgpr_workgroup_id_z 0
		.amdhsa_system_sgpr_workgroup_info 0
		.amdhsa_system_vgpr_workitem_id 0
		.amdhsa_next_free_vgpr 32
		.amdhsa_next_free_sgpr 56
		.amdhsa_accum_offset 32
		.amdhsa_reserve_vcc 1
		.amdhsa_reserve_flat_scratch 0
		.amdhsa_float_round_mode_32 0
		.amdhsa_float_round_mode_16_64 0
		.amdhsa_float_denorm_mode_32 3
		.amdhsa_float_denorm_mode_16_64 3
		.amdhsa_dx10_clamp 1
		.amdhsa_ieee_mode 1
		.amdhsa_fp16_overflow 0
		.amdhsa_tg_split 0
		.amdhsa_exception_fp_ieee_invalid_op 0
		.amdhsa_exception_fp_denorm_src 0
		.amdhsa_exception_fp_ieee_div_zero 0
		.amdhsa_exception_fp_ieee_overflow 0
		.amdhsa_exception_fp_ieee_underflow 0
		.amdhsa_exception_fp_ieee_inexact 0
		.amdhsa_exception_int_div_zero 0
	.end_amdhsa_kernel
	.section	.text._ZN7rocprim17ROCPRIM_400000_NS6detail17trampoline_kernelINS0_14default_configENS1_20scan_config_selectorItEEZZNS1_9scan_implILNS1_25lookback_scan_determinismE0ELb1ELb1ES3_N6thrust23THRUST_200600_302600_NS6detail15normal_iteratorINS9_10device_ptrItEEEESE_t11max_functorItEtEEDaPvRmT3_T4_T5_mT6_P12ihipStream_tbENKUlT_T0_E_clISt17integral_constantIbLb1EESU_EEDaSP_SQ_EUlSP_E0_NS1_11comp_targetILNS1_3genE4ELNS1_11target_archE910ELNS1_3gpuE8ELNS1_3repE0EEENS1_30default_config_static_selectorELNS0_4arch9wavefront6targetE1EEEvT1_,"axG",@progbits,_ZN7rocprim17ROCPRIM_400000_NS6detail17trampoline_kernelINS0_14default_configENS1_20scan_config_selectorItEEZZNS1_9scan_implILNS1_25lookback_scan_determinismE0ELb1ELb1ES3_N6thrust23THRUST_200600_302600_NS6detail15normal_iteratorINS9_10device_ptrItEEEESE_t11max_functorItEtEEDaPvRmT3_T4_T5_mT6_P12ihipStream_tbENKUlT_T0_E_clISt17integral_constantIbLb1EESU_EEDaSP_SQ_EUlSP_E0_NS1_11comp_targetILNS1_3genE4ELNS1_11target_archE910ELNS1_3gpuE8ELNS1_3repE0EEENS1_30default_config_static_selectorELNS0_4arch9wavefront6targetE1EEEvT1_,comdat
.Lfunc_end2515:
	.size	_ZN7rocprim17ROCPRIM_400000_NS6detail17trampoline_kernelINS0_14default_configENS1_20scan_config_selectorItEEZZNS1_9scan_implILNS1_25lookback_scan_determinismE0ELb1ELb1ES3_N6thrust23THRUST_200600_302600_NS6detail15normal_iteratorINS9_10device_ptrItEEEESE_t11max_functorItEtEEDaPvRmT3_T4_T5_mT6_P12ihipStream_tbENKUlT_T0_E_clISt17integral_constantIbLb1EESU_EEDaSP_SQ_EUlSP_E0_NS1_11comp_targetILNS1_3genE4ELNS1_11target_archE910ELNS1_3gpuE8ELNS1_3repE0EEENS1_30default_config_static_selectorELNS0_4arch9wavefront6targetE1EEEvT1_, .Lfunc_end2515-_ZN7rocprim17ROCPRIM_400000_NS6detail17trampoline_kernelINS0_14default_configENS1_20scan_config_selectorItEEZZNS1_9scan_implILNS1_25lookback_scan_determinismE0ELb1ELb1ES3_N6thrust23THRUST_200600_302600_NS6detail15normal_iteratorINS9_10device_ptrItEEEESE_t11max_functorItEtEEDaPvRmT3_T4_T5_mT6_P12ihipStream_tbENKUlT_T0_E_clISt17integral_constantIbLb1EESU_EEDaSP_SQ_EUlSP_E0_NS1_11comp_targetILNS1_3genE4ELNS1_11target_archE910ELNS1_3gpuE8ELNS1_3repE0EEENS1_30default_config_static_selectorELNS0_4arch9wavefront6targetE1EEEvT1_
                                        ; -- End function
	.section	.AMDGPU.csdata,"",@progbits
; Kernel info:
; codeLenInByte = 3096
; NumSgprs: 60
; NumVgprs: 32
; NumAgprs: 0
; TotalNumVgprs: 32
; ScratchSize: 0
; MemoryBound: 0
; FloatMode: 240
; IeeeMode: 1
; LDSByteSize: 3072 bytes/workgroup (compile time only)
; SGPRBlocks: 7
; VGPRBlocks: 3
; NumSGPRsForWavesPerEU: 60
; NumVGPRsForWavesPerEU: 32
; AccumOffset: 32
; Occupancy: 6
; WaveLimiterHint : 0
; COMPUTE_PGM_RSRC2:SCRATCH_EN: 0
; COMPUTE_PGM_RSRC2:USER_SGPR: 6
; COMPUTE_PGM_RSRC2:TRAP_HANDLER: 0
; COMPUTE_PGM_RSRC2:TGID_X_EN: 1
; COMPUTE_PGM_RSRC2:TGID_Y_EN: 0
; COMPUTE_PGM_RSRC2:TGID_Z_EN: 0
; COMPUTE_PGM_RSRC2:TIDIG_COMP_CNT: 0
; COMPUTE_PGM_RSRC3_GFX90A:ACCUM_OFFSET: 7
; COMPUTE_PGM_RSRC3_GFX90A:TG_SPLIT: 0
	.section	.text._ZN7rocprim17ROCPRIM_400000_NS6detail17trampoline_kernelINS0_14default_configENS1_20scan_config_selectorItEEZZNS1_9scan_implILNS1_25lookback_scan_determinismE0ELb1ELb1ES3_N6thrust23THRUST_200600_302600_NS6detail15normal_iteratorINS9_10device_ptrItEEEESE_t11max_functorItEtEEDaPvRmT3_T4_T5_mT6_P12ihipStream_tbENKUlT_T0_E_clISt17integral_constantIbLb1EESU_EEDaSP_SQ_EUlSP_E0_NS1_11comp_targetILNS1_3genE3ELNS1_11target_archE908ELNS1_3gpuE7ELNS1_3repE0EEENS1_30default_config_static_selectorELNS0_4arch9wavefront6targetE1EEEvT1_,"axG",@progbits,_ZN7rocprim17ROCPRIM_400000_NS6detail17trampoline_kernelINS0_14default_configENS1_20scan_config_selectorItEEZZNS1_9scan_implILNS1_25lookback_scan_determinismE0ELb1ELb1ES3_N6thrust23THRUST_200600_302600_NS6detail15normal_iteratorINS9_10device_ptrItEEEESE_t11max_functorItEtEEDaPvRmT3_T4_T5_mT6_P12ihipStream_tbENKUlT_T0_E_clISt17integral_constantIbLb1EESU_EEDaSP_SQ_EUlSP_E0_NS1_11comp_targetILNS1_3genE3ELNS1_11target_archE908ELNS1_3gpuE7ELNS1_3repE0EEENS1_30default_config_static_selectorELNS0_4arch9wavefront6targetE1EEEvT1_,comdat
	.protected	_ZN7rocprim17ROCPRIM_400000_NS6detail17trampoline_kernelINS0_14default_configENS1_20scan_config_selectorItEEZZNS1_9scan_implILNS1_25lookback_scan_determinismE0ELb1ELb1ES3_N6thrust23THRUST_200600_302600_NS6detail15normal_iteratorINS9_10device_ptrItEEEESE_t11max_functorItEtEEDaPvRmT3_T4_T5_mT6_P12ihipStream_tbENKUlT_T0_E_clISt17integral_constantIbLb1EESU_EEDaSP_SQ_EUlSP_E0_NS1_11comp_targetILNS1_3genE3ELNS1_11target_archE908ELNS1_3gpuE7ELNS1_3repE0EEENS1_30default_config_static_selectorELNS0_4arch9wavefront6targetE1EEEvT1_ ; -- Begin function _ZN7rocprim17ROCPRIM_400000_NS6detail17trampoline_kernelINS0_14default_configENS1_20scan_config_selectorItEEZZNS1_9scan_implILNS1_25lookback_scan_determinismE0ELb1ELb1ES3_N6thrust23THRUST_200600_302600_NS6detail15normal_iteratorINS9_10device_ptrItEEEESE_t11max_functorItEtEEDaPvRmT3_T4_T5_mT6_P12ihipStream_tbENKUlT_T0_E_clISt17integral_constantIbLb1EESU_EEDaSP_SQ_EUlSP_E0_NS1_11comp_targetILNS1_3genE3ELNS1_11target_archE908ELNS1_3gpuE7ELNS1_3repE0EEENS1_30default_config_static_selectorELNS0_4arch9wavefront6targetE1EEEvT1_
	.globl	_ZN7rocprim17ROCPRIM_400000_NS6detail17trampoline_kernelINS0_14default_configENS1_20scan_config_selectorItEEZZNS1_9scan_implILNS1_25lookback_scan_determinismE0ELb1ELb1ES3_N6thrust23THRUST_200600_302600_NS6detail15normal_iteratorINS9_10device_ptrItEEEESE_t11max_functorItEtEEDaPvRmT3_T4_T5_mT6_P12ihipStream_tbENKUlT_T0_E_clISt17integral_constantIbLb1EESU_EEDaSP_SQ_EUlSP_E0_NS1_11comp_targetILNS1_3genE3ELNS1_11target_archE908ELNS1_3gpuE7ELNS1_3repE0EEENS1_30default_config_static_selectorELNS0_4arch9wavefront6targetE1EEEvT1_
	.p2align	8
	.type	_ZN7rocprim17ROCPRIM_400000_NS6detail17trampoline_kernelINS0_14default_configENS1_20scan_config_selectorItEEZZNS1_9scan_implILNS1_25lookback_scan_determinismE0ELb1ELb1ES3_N6thrust23THRUST_200600_302600_NS6detail15normal_iteratorINS9_10device_ptrItEEEESE_t11max_functorItEtEEDaPvRmT3_T4_T5_mT6_P12ihipStream_tbENKUlT_T0_E_clISt17integral_constantIbLb1EESU_EEDaSP_SQ_EUlSP_E0_NS1_11comp_targetILNS1_3genE3ELNS1_11target_archE908ELNS1_3gpuE7ELNS1_3repE0EEENS1_30default_config_static_selectorELNS0_4arch9wavefront6targetE1EEEvT1_,@function
_ZN7rocprim17ROCPRIM_400000_NS6detail17trampoline_kernelINS0_14default_configENS1_20scan_config_selectorItEEZZNS1_9scan_implILNS1_25lookback_scan_determinismE0ELb1ELb1ES3_N6thrust23THRUST_200600_302600_NS6detail15normal_iteratorINS9_10device_ptrItEEEESE_t11max_functorItEtEEDaPvRmT3_T4_T5_mT6_P12ihipStream_tbENKUlT_T0_E_clISt17integral_constantIbLb1EESU_EEDaSP_SQ_EUlSP_E0_NS1_11comp_targetILNS1_3genE3ELNS1_11target_archE908ELNS1_3gpuE7ELNS1_3repE0EEENS1_30default_config_static_selectorELNS0_4arch9wavefront6targetE1EEEvT1_: ; @_ZN7rocprim17ROCPRIM_400000_NS6detail17trampoline_kernelINS0_14default_configENS1_20scan_config_selectorItEEZZNS1_9scan_implILNS1_25lookback_scan_determinismE0ELb1ELb1ES3_N6thrust23THRUST_200600_302600_NS6detail15normal_iteratorINS9_10device_ptrItEEEESE_t11max_functorItEtEEDaPvRmT3_T4_T5_mT6_P12ihipStream_tbENKUlT_T0_E_clISt17integral_constantIbLb1EESU_EEDaSP_SQ_EUlSP_E0_NS1_11comp_targetILNS1_3genE3ELNS1_11target_archE908ELNS1_3gpuE7ELNS1_3repE0EEENS1_30default_config_static_selectorELNS0_4arch9wavefront6targetE1EEEvT1_
; %bb.0:
	.section	.rodata,"a",@progbits
	.p2align	6, 0x0
	.amdhsa_kernel _ZN7rocprim17ROCPRIM_400000_NS6detail17trampoline_kernelINS0_14default_configENS1_20scan_config_selectorItEEZZNS1_9scan_implILNS1_25lookback_scan_determinismE0ELb1ELb1ES3_N6thrust23THRUST_200600_302600_NS6detail15normal_iteratorINS9_10device_ptrItEEEESE_t11max_functorItEtEEDaPvRmT3_T4_T5_mT6_P12ihipStream_tbENKUlT_T0_E_clISt17integral_constantIbLb1EESU_EEDaSP_SQ_EUlSP_E0_NS1_11comp_targetILNS1_3genE3ELNS1_11target_archE908ELNS1_3gpuE7ELNS1_3repE0EEENS1_30default_config_static_selectorELNS0_4arch9wavefront6targetE1EEEvT1_
		.amdhsa_group_segment_fixed_size 0
		.amdhsa_private_segment_fixed_size 0
		.amdhsa_kernarg_size 32
		.amdhsa_user_sgpr_count 6
		.amdhsa_user_sgpr_private_segment_buffer 1
		.amdhsa_user_sgpr_dispatch_ptr 0
		.amdhsa_user_sgpr_queue_ptr 0
		.amdhsa_user_sgpr_kernarg_segment_ptr 1
		.amdhsa_user_sgpr_dispatch_id 0
		.amdhsa_user_sgpr_flat_scratch_init 0
		.amdhsa_user_sgpr_kernarg_preload_length 0
		.amdhsa_user_sgpr_kernarg_preload_offset 0
		.amdhsa_user_sgpr_private_segment_size 0
		.amdhsa_uses_dynamic_stack 0
		.amdhsa_system_sgpr_private_segment_wavefront_offset 0
		.amdhsa_system_sgpr_workgroup_id_x 1
		.amdhsa_system_sgpr_workgroup_id_y 0
		.amdhsa_system_sgpr_workgroup_id_z 0
		.amdhsa_system_sgpr_workgroup_info 0
		.amdhsa_system_vgpr_workitem_id 0
		.amdhsa_next_free_vgpr 1
		.amdhsa_next_free_sgpr 0
		.amdhsa_accum_offset 4
		.amdhsa_reserve_vcc 0
		.amdhsa_reserve_flat_scratch 0
		.amdhsa_float_round_mode_32 0
		.amdhsa_float_round_mode_16_64 0
		.amdhsa_float_denorm_mode_32 3
		.amdhsa_float_denorm_mode_16_64 3
		.amdhsa_dx10_clamp 1
		.amdhsa_ieee_mode 1
		.amdhsa_fp16_overflow 0
		.amdhsa_tg_split 0
		.amdhsa_exception_fp_ieee_invalid_op 0
		.amdhsa_exception_fp_denorm_src 0
		.amdhsa_exception_fp_ieee_div_zero 0
		.amdhsa_exception_fp_ieee_overflow 0
		.amdhsa_exception_fp_ieee_underflow 0
		.amdhsa_exception_fp_ieee_inexact 0
		.amdhsa_exception_int_div_zero 0
	.end_amdhsa_kernel
	.section	.text._ZN7rocprim17ROCPRIM_400000_NS6detail17trampoline_kernelINS0_14default_configENS1_20scan_config_selectorItEEZZNS1_9scan_implILNS1_25lookback_scan_determinismE0ELb1ELb1ES3_N6thrust23THRUST_200600_302600_NS6detail15normal_iteratorINS9_10device_ptrItEEEESE_t11max_functorItEtEEDaPvRmT3_T4_T5_mT6_P12ihipStream_tbENKUlT_T0_E_clISt17integral_constantIbLb1EESU_EEDaSP_SQ_EUlSP_E0_NS1_11comp_targetILNS1_3genE3ELNS1_11target_archE908ELNS1_3gpuE7ELNS1_3repE0EEENS1_30default_config_static_selectorELNS0_4arch9wavefront6targetE1EEEvT1_,"axG",@progbits,_ZN7rocprim17ROCPRIM_400000_NS6detail17trampoline_kernelINS0_14default_configENS1_20scan_config_selectorItEEZZNS1_9scan_implILNS1_25lookback_scan_determinismE0ELb1ELb1ES3_N6thrust23THRUST_200600_302600_NS6detail15normal_iteratorINS9_10device_ptrItEEEESE_t11max_functorItEtEEDaPvRmT3_T4_T5_mT6_P12ihipStream_tbENKUlT_T0_E_clISt17integral_constantIbLb1EESU_EEDaSP_SQ_EUlSP_E0_NS1_11comp_targetILNS1_3genE3ELNS1_11target_archE908ELNS1_3gpuE7ELNS1_3repE0EEENS1_30default_config_static_selectorELNS0_4arch9wavefront6targetE1EEEvT1_,comdat
.Lfunc_end2516:
	.size	_ZN7rocprim17ROCPRIM_400000_NS6detail17trampoline_kernelINS0_14default_configENS1_20scan_config_selectorItEEZZNS1_9scan_implILNS1_25lookback_scan_determinismE0ELb1ELb1ES3_N6thrust23THRUST_200600_302600_NS6detail15normal_iteratorINS9_10device_ptrItEEEESE_t11max_functorItEtEEDaPvRmT3_T4_T5_mT6_P12ihipStream_tbENKUlT_T0_E_clISt17integral_constantIbLb1EESU_EEDaSP_SQ_EUlSP_E0_NS1_11comp_targetILNS1_3genE3ELNS1_11target_archE908ELNS1_3gpuE7ELNS1_3repE0EEENS1_30default_config_static_selectorELNS0_4arch9wavefront6targetE1EEEvT1_, .Lfunc_end2516-_ZN7rocprim17ROCPRIM_400000_NS6detail17trampoline_kernelINS0_14default_configENS1_20scan_config_selectorItEEZZNS1_9scan_implILNS1_25lookback_scan_determinismE0ELb1ELb1ES3_N6thrust23THRUST_200600_302600_NS6detail15normal_iteratorINS9_10device_ptrItEEEESE_t11max_functorItEtEEDaPvRmT3_T4_T5_mT6_P12ihipStream_tbENKUlT_T0_E_clISt17integral_constantIbLb1EESU_EEDaSP_SQ_EUlSP_E0_NS1_11comp_targetILNS1_3genE3ELNS1_11target_archE908ELNS1_3gpuE7ELNS1_3repE0EEENS1_30default_config_static_selectorELNS0_4arch9wavefront6targetE1EEEvT1_
                                        ; -- End function
	.section	.AMDGPU.csdata,"",@progbits
; Kernel info:
; codeLenInByte = 0
; NumSgprs: 4
; NumVgprs: 0
; NumAgprs: 0
; TotalNumVgprs: 0
; ScratchSize: 0
; MemoryBound: 0
; FloatMode: 240
; IeeeMode: 1
; LDSByteSize: 0 bytes/workgroup (compile time only)
; SGPRBlocks: 0
; VGPRBlocks: 0
; NumSGPRsForWavesPerEU: 4
; NumVGPRsForWavesPerEU: 1
; AccumOffset: 4
; Occupancy: 8
; WaveLimiterHint : 0
; COMPUTE_PGM_RSRC2:SCRATCH_EN: 0
; COMPUTE_PGM_RSRC2:USER_SGPR: 6
; COMPUTE_PGM_RSRC2:TRAP_HANDLER: 0
; COMPUTE_PGM_RSRC2:TGID_X_EN: 1
; COMPUTE_PGM_RSRC2:TGID_Y_EN: 0
; COMPUTE_PGM_RSRC2:TGID_Z_EN: 0
; COMPUTE_PGM_RSRC2:TIDIG_COMP_CNT: 0
; COMPUTE_PGM_RSRC3_GFX90A:ACCUM_OFFSET: 0
; COMPUTE_PGM_RSRC3_GFX90A:TG_SPLIT: 0
	.section	.text._ZN7rocprim17ROCPRIM_400000_NS6detail17trampoline_kernelINS0_14default_configENS1_20scan_config_selectorItEEZZNS1_9scan_implILNS1_25lookback_scan_determinismE0ELb1ELb1ES3_N6thrust23THRUST_200600_302600_NS6detail15normal_iteratorINS9_10device_ptrItEEEESE_t11max_functorItEtEEDaPvRmT3_T4_T5_mT6_P12ihipStream_tbENKUlT_T0_E_clISt17integral_constantIbLb1EESU_EEDaSP_SQ_EUlSP_E0_NS1_11comp_targetILNS1_3genE2ELNS1_11target_archE906ELNS1_3gpuE6ELNS1_3repE0EEENS1_30default_config_static_selectorELNS0_4arch9wavefront6targetE1EEEvT1_,"axG",@progbits,_ZN7rocprim17ROCPRIM_400000_NS6detail17trampoline_kernelINS0_14default_configENS1_20scan_config_selectorItEEZZNS1_9scan_implILNS1_25lookback_scan_determinismE0ELb1ELb1ES3_N6thrust23THRUST_200600_302600_NS6detail15normal_iteratorINS9_10device_ptrItEEEESE_t11max_functorItEtEEDaPvRmT3_T4_T5_mT6_P12ihipStream_tbENKUlT_T0_E_clISt17integral_constantIbLb1EESU_EEDaSP_SQ_EUlSP_E0_NS1_11comp_targetILNS1_3genE2ELNS1_11target_archE906ELNS1_3gpuE6ELNS1_3repE0EEENS1_30default_config_static_selectorELNS0_4arch9wavefront6targetE1EEEvT1_,comdat
	.protected	_ZN7rocprim17ROCPRIM_400000_NS6detail17trampoline_kernelINS0_14default_configENS1_20scan_config_selectorItEEZZNS1_9scan_implILNS1_25lookback_scan_determinismE0ELb1ELb1ES3_N6thrust23THRUST_200600_302600_NS6detail15normal_iteratorINS9_10device_ptrItEEEESE_t11max_functorItEtEEDaPvRmT3_T4_T5_mT6_P12ihipStream_tbENKUlT_T0_E_clISt17integral_constantIbLb1EESU_EEDaSP_SQ_EUlSP_E0_NS1_11comp_targetILNS1_3genE2ELNS1_11target_archE906ELNS1_3gpuE6ELNS1_3repE0EEENS1_30default_config_static_selectorELNS0_4arch9wavefront6targetE1EEEvT1_ ; -- Begin function _ZN7rocprim17ROCPRIM_400000_NS6detail17trampoline_kernelINS0_14default_configENS1_20scan_config_selectorItEEZZNS1_9scan_implILNS1_25lookback_scan_determinismE0ELb1ELb1ES3_N6thrust23THRUST_200600_302600_NS6detail15normal_iteratorINS9_10device_ptrItEEEESE_t11max_functorItEtEEDaPvRmT3_T4_T5_mT6_P12ihipStream_tbENKUlT_T0_E_clISt17integral_constantIbLb1EESU_EEDaSP_SQ_EUlSP_E0_NS1_11comp_targetILNS1_3genE2ELNS1_11target_archE906ELNS1_3gpuE6ELNS1_3repE0EEENS1_30default_config_static_selectorELNS0_4arch9wavefront6targetE1EEEvT1_
	.globl	_ZN7rocprim17ROCPRIM_400000_NS6detail17trampoline_kernelINS0_14default_configENS1_20scan_config_selectorItEEZZNS1_9scan_implILNS1_25lookback_scan_determinismE0ELb1ELb1ES3_N6thrust23THRUST_200600_302600_NS6detail15normal_iteratorINS9_10device_ptrItEEEESE_t11max_functorItEtEEDaPvRmT3_T4_T5_mT6_P12ihipStream_tbENKUlT_T0_E_clISt17integral_constantIbLb1EESU_EEDaSP_SQ_EUlSP_E0_NS1_11comp_targetILNS1_3genE2ELNS1_11target_archE906ELNS1_3gpuE6ELNS1_3repE0EEENS1_30default_config_static_selectorELNS0_4arch9wavefront6targetE1EEEvT1_
	.p2align	8
	.type	_ZN7rocprim17ROCPRIM_400000_NS6detail17trampoline_kernelINS0_14default_configENS1_20scan_config_selectorItEEZZNS1_9scan_implILNS1_25lookback_scan_determinismE0ELb1ELb1ES3_N6thrust23THRUST_200600_302600_NS6detail15normal_iteratorINS9_10device_ptrItEEEESE_t11max_functorItEtEEDaPvRmT3_T4_T5_mT6_P12ihipStream_tbENKUlT_T0_E_clISt17integral_constantIbLb1EESU_EEDaSP_SQ_EUlSP_E0_NS1_11comp_targetILNS1_3genE2ELNS1_11target_archE906ELNS1_3gpuE6ELNS1_3repE0EEENS1_30default_config_static_selectorELNS0_4arch9wavefront6targetE1EEEvT1_,@function
_ZN7rocprim17ROCPRIM_400000_NS6detail17trampoline_kernelINS0_14default_configENS1_20scan_config_selectorItEEZZNS1_9scan_implILNS1_25lookback_scan_determinismE0ELb1ELb1ES3_N6thrust23THRUST_200600_302600_NS6detail15normal_iteratorINS9_10device_ptrItEEEESE_t11max_functorItEtEEDaPvRmT3_T4_T5_mT6_P12ihipStream_tbENKUlT_T0_E_clISt17integral_constantIbLb1EESU_EEDaSP_SQ_EUlSP_E0_NS1_11comp_targetILNS1_3genE2ELNS1_11target_archE906ELNS1_3gpuE6ELNS1_3repE0EEENS1_30default_config_static_selectorELNS0_4arch9wavefront6targetE1EEEvT1_: ; @_ZN7rocprim17ROCPRIM_400000_NS6detail17trampoline_kernelINS0_14default_configENS1_20scan_config_selectorItEEZZNS1_9scan_implILNS1_25lookback_scan_determinismE0ELb1ELb1ES3_N6thrust23THRUST_200600_302600_NS6detail15normal_iteratorINS9_10device_ptrItEEEESE_t11max_functorItEtEEDaPvRmT3_T4_T5_mT6_P12ihipStream_tbENKUlT_T0_E_clISt17integral_constantIbLb1EESU_EEDaSP_SQ_EUlSP_E0_NS1_11comp_targetILNS1_3genE2ELNS1_11target_archE906ELNS1_3gpuE6ELNS1_3repE0EEENS1_30default_config_static_selectorELNS0_4arch9wavefront6targetE1EEEvT1_
; %bb.0:
	.section	.rodata,"a",@progbits
	.p2align	6, 0x0
	.amdhsa_kernel _ZN7rocprim17ROCPRIM_400000_NS6detail17trampoline_kernelINS0_14default_configENS1_20scan_config_selectorItEEZZNS1_9scan_implILNS1_25lookback_scan_determinismE0ELb1ELb1ES3_N6thrust23THRUST_200600_302600_NS6detail15normal_iteratorINS9_10device_ptrItEEEESE_t11max_functorItEtEEDaPvRmT3_T4_T5_mT6_P12ihipStream_tbENKUlT_T0_E_clISt17integral_constantIbLb1EESU_EEDaSP_SQ_EUlSP_E0_NS1_11comp_targetILNS1_3genE2ELNS1_11target_archE906ELNS1_3gpuE6ELNS1_3repE0EEENS1_30default_config_static_selectorELNS0_4arch9wavefront6targetE1EEEvT1_
		.amdhsa_group_segment_fixed_size 0
		.amdhsa_private_segment_fixed_size 0
		.amdhsa_kernarg_size 32
		.amdhsa_user_sgpr_count 6
		.amdhsa_user_sgpr_private_segment_buffer 1
		.amdhsa_user_sgpr_dispatch_ptr 0
		.amdhsa_user_sgpr_queue_ptr 0
		.amdhsa_user_sgpr_kernarg_segment_ptr 1
		.amdhsa_user_sgpr_dispatch_id 0
		.amdhsa_user_sgpr_flat_scratch_init 0
		.amdhsa_user_sgpr_kernarg_preload_length 0
		.amdhsa_user_sgpr_kernarg_preload_offset 0
		.amdhsa_user_sgpr_private_segment_size 0
		.amdhsa_uses_dynamic_stack 0
		.amdhsa_system_sgpr_private_segment_wavefront_offset 0
		.amdhsa_system_sgpr_workgroup_id_x 1
		.amdhsa_system_sgpr_workgroup_id_y 0
		.amdhsa_system_sgpr_workgroup_id_z 0
		.amdhsa_system_sgpr_workgroup_info 0
		.amdhsa_system_vgpr_workitem_id 0
		.amdhsa_next_free_vgpr 1
		.amdhsa_next_free_sgpr 0
		.amdhsa_accum_offset 4
		.amdhsa_reserve_vcc 0
		.amdhsa_reserve_flat_scratch 0
		.amdhsa_float_round_mode_32 0
		.amdhsa_float_round_mode_16_64 0
		.amdhsa_float_denorm_mode_32 3
		.amdhsa_float_denorm_mode_16_64 3
		.amdhsa_dx10_clamp 1
		.amdhsa_ieee_mode 1
		.amdhsa_fp16_overflow 0
		.amdhsa_tg_split 0
		.amdhsa_exception_fp_ieee_invalid_op 0
		.amdhsa_exception_fp_denorm_src 0
		.amdhsa_exception_fp_ieee_div_zero 0
		.amdhsa_exception_fp_ieee_overflow 0
		.amdhsa_exception_fp_ieee_underflow 0
		.amdhsa_exception_fp_ieee_inexact 0
		.amdhsa_exception_int_div_zero 0
	.end_amdhsa_kernel
	.section	.text._ZN7rocprim17ROCPRIM_400000_NS6detail17trampoline_kernelINS0_14default_configENS1_20scan_config_selectorItEEZZNS1_9scan_implILNS1_25lookback_scan_determinismE0ELb1ELb1ES3_N6thrust23THRUST_200600_302600_NS6detail15normal_iteratorINS9_10device_ptrItEEEESE_t11max_functorItEtEEDaPvRmT3_T4_T5_mT6_P12ihipStream_tbENKUlT_T0_E_clISt17integral_constantIbLb1EESU_EEDaSP_SQ_EUlSP_E0_NS1_11comp_targetILNS1_3genE2ELNS1_11target_archE906ELNS1_3gpuE6ELNS1_3repE0EEENS1_30default_config_static_selectorELNS0_4arch9wavefront6targetE1EEEvT1_,"axG",@progbits,_ZN7rocprim17ROCPRIM_400000_NS6detail17trampoline_kernelINS0_14default_configENS1_20scan_config_selectorItEEZZNS1_9scan_implILNS1_25lookback_scan_determinismE0ELb1ELb1ES3_N6thrust23THRUST_200600_302600_NS6detail15normal_iteratorINS9_10device_ptrItEEEESE_t11max_functorItEtEEDaPvRmT3_T4_T5_mT6_P12ihipStream_tbENKUlT_T0_E_clISt17integral_constantIbLb1EESU_EEDaSP_SQ_EUlSP_E0_NS1_11comp_targetILNS1_3genE2ELNS1_11target_archE906ELNS1_3gpuE6ELNS1_3repE0EEENS1_30default_config_static_selectorELNS0_4arch9wavefront6targetE1EEEvT1_,comdat
.Lfunc_end2517:
	.size	_ZN7rocprim17ROCPRIM_400000_NS6detail17trampoline_kernelINS0_14default_configENS1_20scan_config_selectorItEEZZNS1_9scan_implILNS1_25lookback_scan_determinismE0ELb1ELb1ES3_N6thrust23THRUST_200600_302600_NS6detail15normal_iteratorINS9_10device_ptrItEEEESE_t11max_functorItEtEEDaPvRmT3_T4_T5_mT6_P12ihipStream_tbENKUlT_T0_E_clISt17integral_constantIbLb1EESU_EEDaSP_SQ_EUlSP_E0_NS1_11comp_targetILNS1_3genE2ELNS1_11target_archE906ELNS1_3gpuE6ELNS1_3repE0EEENS1_30default_config_static_selectorELNS0_4arch9wavefront6targetE1EEEvT1_, .Lfunc_end2517-_ZN7rocprim17ROCPRIM_400000_NS6detail17trampoline_kernelINS0_14default_configENS1_20scan_config_selectorItEEZZNS1_9scan_implILNS1_25lookback_scan_determinismE0ELb1ELb1ES3_N6thrust23THRUST_200600_302600_NS6detail15normal_iteratorINS9_10device_ptrItEEEESE_t11max_functorItEtEEDaPvRmT3_T4_T5_mT6_P12ihipStream_tbENKUlT_T0_E_clISt17integral_constantIbLb1EESU_EEDaSP_SQ_EUlSP_E0_NS1_11comp_targetILNS1_3genE2ELNS1_11target_archE906ELNS1_3gpuE6ELNS1_3repE0EEENS1_30default_config_static_selectorELNS0_4arch9wavefront6targetE1EEEvT1_
                                        ; -- End function
	.section	.AMDGPU.csdata,"",@progbits
; Kernel info:
; codeLenInByte = 0
; NumSgprs: 4
; NumVgprs: 0
; NumAgprs: 0
; TotalNumVgprs: 0
; ScratchSize: 0
; MemoryBound: 0
; FloatMode: 240
; IeeeMode: 1
; LDSByteSize: 0 bytes/workgroup (compile time only)
; SGPRBlocks: 0
; VGPRBlocks: 0
; NumSGPRsForWavesPerEU: 4
; NumVGPRsForWavesPerEU: 1
; AccumOffset: 4
; Occupancy: 8
; WaveLimiterHint : 0
; COMPUTE_PGM_RSRC2:SCRATCH_EN: 0
; COMPUTE_PGM_RSRC2:USER_SGPR: 6
; COMPUTE_PGM_RSRC2:TRAP_HANDLER: 0
; COMPUTE_PGM_RSRC2:TGID_X_EN: 1
; COMPUTE_PGM_RSRC2:TGID_Y_EN: 0
; COMPUTE_PGM_RSRC2:TGID_Z_EN: 0
; COMPUTE_PGM_RSRC2:TIDIG_COMP_CNT: 0
; COMPUTE_PGM_RSRC3_GFX90A:ACCUM_OFFSET: 0
; COMPUTE_PGM_RSRC3_GFX90A:TG_SPLIT: 0
	.section	.text._ZN7rocprim17ROCPRIM_400000_NS6detail17trampoline_kernelINS0_14default_configENS1_20scan_config_selectorItEEZZNS1_9scan_implILNS1_25lookback_scan_determinismE0ELb1ELb1ES3_N6thrust23THRUST_200600_302600_NS6detail15normal_iteratorINS9_10device_ptrItEEEESE_t11max_functorItEtEEDaPvRmT3_T4_T5_mT6_P12ihipStream_tbENKUlT_T0_E_clISt17integral_constantIbLb1EESU_EEDaSP_SQ_EUlSP_E0_NS1_11comp_targetILNS1_3genE10ELNS1_11target_archE1201ELNS1_3gpuE5ELNS1_3repE0EEENS1_30default_config_static_selectorELNS0_4arch9wavefront6targetE1EEEvT1_,"axG",@progbits,_ZN7rocprim17ROCPRIM_400000_NS6detail17trampoline_kernelINS0_14default_configENS1_20scan_config_selectorItEEZZNS1_9scan_implILNS1_25lookback_scan_determinismE0ELb1ELb1ES3_N6thrust23THRUST_200600_302600_NS6detail15normal_iteratorINS9_10device_ptrItEEEESE_t11max_functorItEtEEDaPvRmT3_T4_T5_mT6_P12ihipStream_tbENKUlT_T0_E_clISt17integral_constantIbLb1EESU_EEDaSP_SQ_EUlSP_E0_NS1_11comp_targetILNS1_3genE10ELNS1_11target_archE1201ELNS1_3gpuE5ELNS1_3repE0EEENS1_30default_config_static_selectorELNS0_4arch9wavefront6targetE1EEEvT1_,comdat
	.protected	_ZN7rocprim17ROCPRIM_400000_NS6detail17trampoline_kernelINS0_14default_configENS1_20scan_config_selectorItEEZZNS1_9scan_implILNS1_25lookback_scan_determinismE0ELb1ELb1ES3_N6thrust23THRUST_200600_302600_NS6detail15normal_iteratorINS9_10device_ptrItEEEESE_t11max_functorItEtEEDaPvRmT3_T4_T5_mT6_P12ihipStream_tbENKUlT_T0_E_clISt17integral_constantIbLb1EESU_EEDaSP_SQ_EUlSP_E0_NS1_11comp_targetILNS1_3genE10ELNS1_11target_archE1201ELNS1_3gpuE5ELNS1_3repE0EEENS1_30default_config_static_selectorELNS0_4arch9wavefront6targetE1EEEvT1_ ; -- Begin function _ZN7rocprim17ROCPRIM_400000_NS6detail17trampoline_kernelINS0_14default_configENS1_20scan_config_selectorItEEZZNS1_9scan_implILNS1_25lookback_scan_determinismE0ELb1ELb1ES3_N6thrust23THRUST_200600_302600_NS6detail15normal_iteratorINS9_10device_ptrItEEEESE_t11max_functorItEtEEDaPvRmT3_T4_T5_mT6_P12ihipStream_tbENKUlT_T0_E_clISt17integral_constantIbLb1EESU_EEDaSP_SQ_EUlSP_E0_NS1_11comp_targetILNS1_3genE10ELNS1_11target_archE1201ELNS1_3gpuE5ELNS1_3repE0EEENS1_30default_config_static_selectorELNS0_4arch9wavefront6targetE1EEEvT1_
	.globl	_ZN7rocprim17ROCPRIM_400000_NS6detail17trampoline_kernelINS0_14default_configENS1_20scan_config_selectorItEEZZNS1_9scan_implILNS1_25lookback_scan_determinismE0ELb1ELb1ES3_N6thrust23THRUST_200600_302600_NS6detail15normal_iteratorINS9_10device_ptrItEEEESE_t11max_functorItEtEEDaPvRmT3_T4_T5_mT6_P12ihipStream_tbENKUlT_T0_E_clISt17integral_constantIbLb1EESU_EEDaSP_SQ_EUlSP_E0_NS1_11comp_targetILNS1_3genE10ELNS1_11target_archE1201ELNS1_3gpuE5ELNS1_3repE0EEENS1_30default_config_static_selectorELNS0_4arch9wavefront6targetE1EEEvT1_
	.p2align	8
	.type	_ZN7rocprim17ROCPRIM_400000_NS6detail17trampoline_kernelINS0_14default_configENS1_20scan_config_selectorItEEZZNS1_9scan_implILNS1_25lookback_scan_determinismE0ELb1ELb1ES3_N6thrust23THRUST_200600_302600_NS6detail15normal_iteratorINS9_10device_ptrItEEEESE_t11max_functorItEtEEDaPvRmT3_T4_T5_mT6_P12ihipStream_tbENKUlT_T0_E_clISt17integral_constantIbLb1EESU_EEDaSP_SQ_EUlSP_E0_NS1_11comp_targetILNS1_3genE10ELNS1_11target_archE1201ELNS1_3gpuE5ELNS1_3repE0EEENS1_30default_config_static_selectorELNS0_4arch9wavefront6targetE1EEEvT1_,@function
_ZN7rocprim17ROCPRIM_400000_NS6detail17trampoline_kernelINS0_14default_configENS1_20scan_config_selectorItEEZZNS1_9scan_implILNS1_25lookback_scan_determinismE0ELb1ELb1ES3_N6thrust23THRUST_200600_302600_NS6detail15normal_iteratorINS9_10device_ptrItEEEESE_t11max_functorItEtEEDaPvRmT3_T4_T5_mT6_P12ihipStream_tbENKUlT_T0_E_clISt17integral_constantIbLb1EESU_EEDaSP_SQ_EUlSP_E0_NS1_11comp_targetILNS1_3genE10ELNS1_11target_archE1201ELNS1_3gpuE5ELNS1_3repE0EEENS1_30default_config_static_selectorELNS0_4arch9wavefront6targetE1EEEvT1_: ; @_ZN7rocprim17ROCPRIM_400000_NS6detail17trampoline_kernelINS0_14default_configENS1_20scan_config_selectorItEEZZNS1_9scan_implILNS1_25lookback_scan_determinismE0ELb1ELb1ES3_N6thrust23THRUST_200600_302600_NS6detail15normal_iteratorINS9_10device_ptrItEEEESE_t11max_functorItEtEEDaPvRmT3_T4_T5_mT6_P12ihipStream_tbENKUlT_T0_E_clISt17integral_constantIbLb1EESU_EEDaSP_SQ_EUlSP_E0_NS1_11comp_targetILNS1_3genE10ELNS1_11target_archE1201ELNS1_3gpuE5ELNS1_3repE0EEENS1_30default_config_static_selectorELNS0_4arch9wavefront6targetE1EEEvT1_
; %bb.0:
	.section	.rodata,"a",@progbits
	.p2align	6, 0x0
	.amdhsa_kernel _ZN7rocprim17ROCPRIM_400000_NS6detail17trampoline_kernelINS0_14default_configENS1_20scan_config_selectorItEEZZNS1_9scan_implILNS1_25lookback_scan_determinismE0ELb1ELb1ES3_N6thrust23THRUST_200600_302600_NS6detail15normal_iteratorINS9_10device_ptrItEEEESE_t11max_functorItEtEEDaPvRmT3_T4_T5_mT6_P12ihipStream_tbENKUlT_T0_E_clISt17integral_constantIbLb1EESU_EEDaSP_SQ_EUlSP_E0_NS1_11comp_targetILNS1_3genE10ELNS1_11target_archE1201ELNS1_3gpuE5ELNS1_3repE0EEENS1_30default_config_static_selectorELNS0_4arch9wavefront6targetE1EEEvT1_
		.amdhsa_group_segment_fixed_size 0
		.amdhsa_private_segment_fixed_size 0
		.amdhsa_kernarg_size 32
		.amdhsa_user_sgpr_count 6
		.amdhsa_user_sgpr_private_segment_buffer 1
		.amdhsa_user_sgpr_dispatch_ptr 0
		.amdhsa_user_sgpr_queue_ptr 0
		.amdhsa_user_sgpr_kernarg_segment_ptr 1
		.amdhsa_user_sgpr_dispatch_id 0
		.amdhsa_user_sgpr_flat_scratch_init 0
		.amdhsa_user_sgpr_kernarg_preload_length 0
		.amdhsa_user_sgpr_kernarg_preload_offset 0
		.amdhsa_user_sgpr_private_segment_size 0
		.amdhsa_uses_dynamic_stack 0
		.amdhsa_system_sgpr_private_segment_wavefront_offset 0
		.amdhsa_system_sgpr_workgroup_id_x 1
		.amdhsa_system_sgpr_workgroup_id_y 0
		.amdhsa_system_sgpr_workgroup_id_z 0
		.amdhsa_system_sgpr_workgroup_info 0
		.amdhsa_system_vgpr_workitem_id 0
		.amdhsa_next_free_vgpr 1
		.amdhsa_next_free_sgpr 0
		.amdhsa_accum_offset 4
		.amdhsa_reserve_vcc 0
		.amdhsa_reserve_flat_scratch 0
		.amdhsa_float_round_mode_32 0
		.amdhsa_float_round_mode_16_64 0
		.amdhsa_float_denorm_mode_32 3
		.amdhsa_float_denorm_mode_16_64 3
		.amdhsa_dx10_clamp 1
		.amdhsa_ieee_mode 1
		.amdhsa_fp16_overflow 0
		.amdhsa_tg_split 0
		.amdhsa_exception_fp_ieee_invalid_op 0
		.amdhsa_exception_fp_denorm_src 0
		.amdhsa_exception_fp_ieee_div_zero 0
		.amdhsa_exception_fp_ieee_overflow 0
		.amdhsa_exception_fp_ieee_underflow 0
		.amdhsa_exception_fp_ieee_inexact 0
		.amdhsa_exception_int_div_zero 0
	.end_amdhsa_kernel
	.section	.text._ZN7rocprim17ROCPRIM_400000_NS6detail17trampoline_kernelINS0_14default_configENS1_20scan_config_selectorItEEZZNS1_9scan_implILNS1_25lookback_scan_determinismE0ELb1ELb1ES3_N6thrust23THRUST_200600_302600_NS6detail15normal_iteratorINS9_10device_ptrItEEEESE_t11max_functorItEtEEDaPvRmT3_T4_T5_mT6_P12ihipStream_tbENKUlT_T0_E_clISt17integral_constantIbLb1EESU_EEDaSP_SQ_EUlSP_E0_NS1_11comp_targetILNS1_3genE10ELNS1_11target_archE1201ELNS1_3gpuE5ELNS1_3repE0EEENS1_30default_config_static_selectorELNS0_4arch9wavefront6targetE1EEEvT1_,"axG",@progbits,_ZN7rocprim17ROCPRIM_400000_NS6detail17trampoline_kernelINS0_14default_configENS1_20scan_config_selectorItEEZZNS1_9scan_implILNS1_25lookback_scan_determinismE0ELb1ELb1ES3_N6thrust23THRUST_200600_302600_NS6detail15normal_iteratorINS9_10device_ptrItEEEESE_t11max_functorItEtEEDaPvRmT3_T4_T5_mT6_P12ihipStream_tbENKUlT_T0_E_clISt17integral_constantIbLb1EESU_EEDaSP_SQ_EUlSP_E0_NS1_11comp_targetILNS1_3genE10ELNS1_11target_archE1201ELNS1_3gpuE5ELNS1_3repE0EEENS1_30default_config_static_selectorELNS0_4arch9wavefront6targetE1EEEvT1_,comdat
.Lfunc_end2518:
	.size	_ZN7rocprim17ROCPRIM_400000_NS6detail17trampoline_kernelINS0_14default_configENS1_20scan_config_selectorItEEZZNS1_9scan_implILNS1_25lookback_scan_determinismE0ELb1ELb1ES3_N6thrust23THRUST_200600_302600_NS6detail15normal_iteratorINS9_10device_ptrItEEEESE_t11max_functorItEtEEDaPvRmT3_T4_T5_mT6_P12ihipStream_tbENKUlT_T0_E_clISt17integral_constantIbLb1EESU_EEDaSP_SQ_EUlSP_E0_NS1_11comp_targetILNS1_3genE10ELNS1_11target_archE1201ELNS1_3gpuE5ELNS1_3repE0EEENS1_30default_config_static_selectorELNS0_4arch9wavefront6targetE1EEEvT1_, .Lfunc_end2518-_ZN7rocprim17ROCPRIM_400000_NS6detail17trampoline_kernelINS0_14default_configENS1_20scan_config_selectorItEEZZNS1_9scan_implILNS1_25lookback_scan_determinismE0ELb1ELb1ES3_N6thrust23THRUST_200600_302600_NS6detail15normal_iteratorINS9_10device_ptrItEEEESE_t11max_functorItEtEEDaPvRmT3_T4_T5_mT6_P12ihipStream_tbENKUlT_T0_E_clISt17integral_constantIbLb1EESU_EEDaSP_SQ_EUlSP_E0_NS1_11comp_targetILNS1_3genE10ELNS1_11target_archE1201ELNS1_3gpuE5ELNS1_3repE0EEENS1_30default_config_static_selectorELNS0_4arch9wavefront6targetE1EEEvT1_
                                        ; -- End function
	.section	.AMDGPU.csdata,"",@progbits
; Kernel info:
; codeLenInByte = 0
; NumSgprs: 4
; NumVgprs: 0
; NumAgprs: 0
; TotalNumVgprs: 0
; ScratchSize: 0
; MemoryBound: 0
; FloatMode: 240
; IeeeMode: 1
; LDSByteSize: 0 bytes/workgroup (compile time only)
; SGPRBlocks: 0
; VGPRBlocks: 0
; NumSGPRsForWavesPerEU: 4
; NumVGPRsForWavesPerEU: 1
; AccumOffset: 4
; Occupancy: 8
; WaveLimiterHint : 0
; COMPUTE_PGM_RSRC2:SCRATCH_EN: 0
; COMPUTE_PGM_RSRC2:USER_SGPR: 6
; COMPUTE_PGM_RSRC2:TRAP_HANDLER: 0
; COMPUTE_PGM_RSRC2:TGID_X_EN: 1
; COMPUTE_PGM_RSRC2:TGID_Y_EN: 0
; COMPUTE_PGM_RSRC2:TGID_Z_EN: 0
; COMPUTE_PGM_RSRC2:TIDIG_COMP_CNT: 0
; COMPUTE_PGM_RSRC3_GFX90A:ACCUM_OFFSET: 0
; COMPUTE_PGM_RSRC3_GFX90A:TG_SPLIT: 0
	.section	.text._ZN7rocprim17ROCPRIM_400000_NS6detail17trampoline_kernelINS0_14default_configENS1_20scan_config_selectorItEEZZNS1_9scan_implILNS1_25lookback_scan_determinismE0ELb1ELb1ES3_N6thrust23THRUST_200600_302600_NS6detail15normal_iteratorINS9_10device_ptrItEEEESE_t11max_functorItEtEEDaPvRmT3_T4_T5_mT6_P12ihipStream_tbENKUlT_T0_E_clISt17integral_constantIbLb1EESU_EEDaSP_SQ_EUlSP_E0_NS1_11comp_targetILNS1_3genE10ELNS1_11target_archE1200ELNS1_3gpuE4ELNS1_3repE0EEENS1_30default_config_static_selectorELNS0_4arch9wavefront6targetE1EEEvT1_,"axG",@progbits,_ZN7rocprim17ROCPRIM_400000_NS6detail17trampoline_kernelINS0_14default_configENS1_20scan_config_selectorItEEZZNS1_9scan_implILNS1_25lookback_scan_determinismE0ELb1ELb1ES3_N6thrust23THRUST_200600_302600_NS6detail15normal_iteratorINS9_10device_ptrItEEEESE_t11max_functorItEtEEDaPvRmT3_T4_T5_mT6_P12ihipStream_tbENKUlT_T0_E_clISt17integral_constantIbLb1EESU_EEDaSP_SQ_EUlSP_E0_NS1_11comp_targetILNS1_3genE10ELNS1_11target_archE1200ELNS1_3gpuE4ELNS1_3repE0EEENS1_30default_config_static_selectorELNS0_4arch9wavefront6targetE1EEEvT1_,comdat
	.protected	_ZN7rocprim17ROCPRIM_400000_NS6detail17trampoline_kernelINS0_14default_configENS1_20scan_config_selectorItEEZZNS1_9scan_implILNS1_25lookback_scan_determinismE0ELb1ELb1ES3_N6thrust23THRUST_200600_302600_NS6detail15normal_iteratorINS9_10device_ptrItEEEESE_t11max_functorItEtEEDaPvRmT3_T4_T5_mT6_P12ihipStream_tbENKUlT_T0_E_clISt17integral_constantIbLb1EESU_EEDaSP_SQ_EUlSP_E0_NS1_11comp_targetILNS1_3genE10ELNS1_11target_archE1200ELNS1_3gpuE4ELNS1_3repE0EEENS1_30default_config_static_selectorELNS0_4arch9wavefront6targetE1EEEvT1_ ; -- Begin function _ZN7rocprim17ROCPRIM_400000_NS6detail17trampoline_kernelINS0_14default_configENS1_20scan_config_selectorItEEZZNS1_9scan_implILNS1_25lookback_scan_determinismE0ELb1ELb1ES3_N6thrust23THRUST_200600_302600_NS6detail15normal_iteratorINS9_10device_ptrItEEEESE_t11max_functorItEtEEDaPvRmT3_T4_T5_mT6_P12ihipStream_tbENKUlT_T0_E_clISt17integral_constantIbLb1EESU_EEDaSP_SQ_EUlSP_E0_NS1_11comp_targetILNS1_3genE10ELNS1_11target_archE1200ELNS1_3gpuE4ELNS1_3repE0EEENS1_30default_config_static_selectorELNS0_4arch9wavefront6targetE1EEEvT1_
	.globl	_ZN7rocprim17ROCPRIM_400000_NS6detail17trampoline_kernelINS0_14default_configENS1_20scan_config_selectorItEEZZNS1_9scan_implILNS1_25lookback_scan_determinismE0ELb1ELb1ES3_N6thrust23THRUST_200600_302600_NS6detail15normal_iteratorINS9_10device_ptrItEEEESE_t11max_functorItEtEEDaPvRmT3_T4_T5_mT6_P12ihipStream_tbENKUlT_T0_E_clISt17integral_constantIbLb1EESU_EEDaSP_SQ_EUlSP_E0_NS1_11comp_targetILNS1_3genE10ELNS1_11target_archE1200ELNS1_3gpuE4ELNS1_3repE0EEENS1_30default_config_static_selectorELNS0_4arch9wavefront6targetE1EEEvT1_
	.p2align	8
	.type	_ZN7rocprim17ROCPRIM_400000_NS6detail17trampoline_kernelINS0_14default_configENS1_20scan_config_selectorItEEZZNS1_9scan_implILNS1_25lookback_scan_determinismE0ELb1ELb1ES3_N6thrust23THRUST_200600_302600_NS6detail15normal_iteratorINS9_10device_ptrItEEEESE_t11max_functorItEtEEDaPvRmT3_T4_T5_mT6_P12ihipStream_tbENKUlT_T0_E_clISt17integral_constantIbLb1EESU_EEDaSP_SQ_EUlSP_E0_NS1_11comp_targetILNS1_3genE10ELNS1_11target_archE1200ELNS1_3gpuE4ELNS1_3repE0EEENS1_30default_config_static_selectorELNS0_4arch9wavefront6targetE1EEEvT1_,@function
_ZN7rocprim17ROCPRIM_400000_NS6detail17trampoline_kernelINS0_14default_configENS1_20scan_config_selectorItEEZZNS1_9scan_implILNS1_25lookback_scan_determinismE0ELb1ELb1ES3_N6thrust23THRUST_200600_302600_NS6detail15normal_iteratorINS9_10device_ptrItEEEESE_t11max_functorItEtEEDaPvRmT3_T4_T5_mT6_P12ihipStream_tbENKUlT_T0_E_clISt17integral_constantIbLb1EESU_EEDaSP_SQ_EUlSP_E0_NS1_11comp_targetILNS1_3genE10ELNS1_11target_archE1200ELNS1_3gpuE4ELNS1_3repE0EEENS1_30default_config_static_selectorELNS0_4arch9wavefront6targetE1EEEvT1_: ; @_ZN7rocprim17ROCPRIM_400000_NS6detail17trampoline_kernelINS0_14default_configENS1_20scan_config_selectorItEEZZNS1_9scan_implILNS1_25lookback_scan_determinismE0ELb1ELb1ES3_N6thrust23THRUST_200600_302600_NS6detail15normal_iteratorINS9_10device_ptrItEEEESE_t11max_functorItEtEEDaPvRmT3_T4_T5_mT6_P12ihipStream_tbENKUlT_T0_E_clISt17integral_constantIbLb1EESU_EEDaSP_SQ_EUlSP_E0_NS1_11comp_targetILNS1_3genE10ELNS1_11target_archE1200ELNS1_3gpuE4ELNS1_3repE0EEENS1_30default_config_static_selectorELNS0_4arch9wavefront6targetE1EEEvT1_
; %bb.0:
	.section	.rodata,"a",@progbits
	.p2align	6, 0x0
	.amdhsa_kernel _ZN7rocprim17ROCPRIM_400000_NS6detail17trampoline_kernelINS0_14default_configENS1_20scan_config_selectorItEEZZNS1_9scan_implILNS1_25lookback_scan_determinismE0ELb1ELb1ES3_N6thrust23THRUST_200600_302600_NS6detail15normal_iteratorINS9_10device_ptrItEEEESE_t11max_functorItEtEEDaPvRmT3_T4_T5_mT6_P12ihipStream_tbENKUlT_T0_E_clISt17integral_constantIbLb1EESU_EEDaSP_SQ_EUlSP_E0_NS1_11comp_targetILNS1_3genE10ELNS1_11target_archE1200ELNS1_3gpuE4ELNS1_3repE0EEENS1_30default_config_static_selectorELNS0_4arch9wavefront6targetE1EEEvT1_
		.amdhsa_group_segment_fixed_size 0
		.amdhsa_private_segment_fixed_size 0
		.amdhsa_kernarg_size 32
		.amdhsa_user_sgpr_count 6
		.amdhsa_user_sgpr_private_segment_buffer 1
		.amdhsa_user_sgpr_dispatch_ptr 0
		.amdhsa_user_sgpr_queue_ptr 0
		.amdhsa_user_sgpr_kernarg_segment_ptr 1
		.amdhsa_user_sgpr_dispatch_id 0
		.amdhsa_user_sgpr_flat_scratch_init 0
		.amdhsa_user_sgpr_kernarg_preload_length 0
		.amdhsa_user_sgpr_kernarg_preload_offset 0
		.amdhsa_user_sgpr_private_segment_size 0
		.amdhsa_uses_dynamic_stack 0
		.amdhsa_system_sgpr_private_segment_wavefront_offset 0
		.amdhsa_system_sgpr_workgroup_id_x 1
		.amdhsa_system_sgpr_workgroup_id_y 0
		.amdhsa_system_sgpr_workgroup_id_z 0
		.amdhsa_system_sgpr_workgroup_info 0
		.amdhsa_system_vgpr_workitem_id 0
		.amdhsa_next_free_vgpr 1
		.amdhsa_next_free_sgpr 0
		.amdhsa_accum_offset 4
		.amdhsa_reserve_vcc 0
		.amdhsa_reserve_flat_scratch 0
		.amdhsa_float_round_mode_32 0
		.amdhsa_float_round_mode_16_64 0
		.amdhsa_float_denorm_mode_32 3
		.amdhsa_float_denorm_mode_16_64 3
		.amdhsa_dx10_clamp 1
		.amdhsa_ieee_mode 1
		.amdhsa_fp16_overflow 0
		.amdhsa_tg_split 0
		.amdhsa_exception_fp_ieee_invalid_op 0
		.amdhsa_exception_fp_denorm_src 0
		.amdhsa_exception_fp_ieee_div_zero 0
		.amdhsa_exception_fp_ieee_overflow 0
		.amdhsa_exception_fp_ieee_underflow 0
		.amdhsa_exception_fp_ieee_inexact 0
		.amdhsa_exception_int_div_zero 0
	.end_amdhsa_kernel
	.section	.text._ZN7rocprim17ROCPRIM_400000_NS6detail17trampoline_kernelINS0_14default_configENS1_20scan_config_selectorItEEZZNS1_9scan_implILNS1_25lookback_scan_determinismE0ELb1ELb1ES3_N6thrust23THRUST_200600_302600_NS6detail15normal_iteratorINS9_10device_ptrItEEEESE_t11max_functorItEtEEDaPvRmT3_T4_T5_mT6_P12ihipStream_tbENKUlT_T0_E_clISt17integral_constantIbLb1EESU_EEDaSP_SQ_EUlSP_E0_NS1_11comp_targetILNS1_3genE10ELNS1_11target_archE1200ELNS1_3gpuE4ELNS1_3repE0EEENS1_30default_config_static_selectorELNS0_4arch9wavefront6targetE1EEEvT1_,"axG",@progbits,_ZN7rocprim17ROCPRIM_400000_NS6detail17trampoline_kernelINS0_14default_configENS1_20scan_config_selectorItEEZZNS1_9scan_implILNS1_25lookback_scan_determinismE0ELb1ELb1ES3_N6thrust23THRUST_200600_302600_NS6detail15normal_iteratorINS9_10device_ptrItEEEESE_t11max_functorItEtEEDaPvRmT3_T4_T5_mT6_P12ihipStream_tbENKUlT_T0_E_clISt17integral_constantIbLb1EESU_EEDaSP_SQ_EUlSP_E0_NS1_11comp_targetILNS1_3genE10ELNS1_11target_archE1200ELNS1_3gpuE4ELNS1_3repE0EEENS1_30default_config_static_selectorELNS0_4arch9wavefront6targetE1EEEvT1_,comdat
.Lfunc_end2519:
	.size	_ZN7rocprim17ROCPRIM_400000_NS6detail17trampoline_kernelINS0_14default_configENS1_20scan_config_selectorItEEZZNS1_9scan_implILNS1_25lookback_scan_determinismE0ELb1ELb1ES3_N6thrust23THRUST_200600_302600_NS6detail15normal_iteratorINS9_10device_ptrItEEEESE_t11max_functorItEtEEDaPvRmT3_T4_T5_mT6_P12ihipStream_tbENKUlT_T0_E_clISt17integral_constantIbLb1EESU_EEDaSP_SQ_EUlSP_E0_NS1_11comp_targetILNS1_3genE10ELNS1_11target_archE1200ELNS1_3gpuE4ELNS1_3repE0EEENS1_30default_config_static_selectorELNS0_4arch9wavefront6targetE1EEEvT1_, .Lfunc_end2519-_ZN7rocprim17ROCPRIM_400000_NS6detail17trampoline_kernelINS0_14default_configENS1_20scan_config_selectorItEEZZNS1_9scan_implILNS1_25lookback_scan_determinismE0ELb1ELb1ES3_N6thrust23THRUST_200600_302600_NS6detail15normal_iteratorINS9_10device_ptrItEEEESE_t11max_functorItEtEEDaPvRmT3_T4_T5_mT6_P12ihipStream_tbENKUlT_T0_E_clISt17integral_constantIbLb1EESU_EEDaSP_SQ_EUlSP_E0_NS1_11comp_targetILNS1_3genE10ELNS1_11target_archE1200ELNS1_3gpuE4ELNS1_3repE0EEENS1_30default_config_static_selectorELNS0_4arch9wavefront6targetE1EEEvT1_
                                        ; -- End function
	.section	.AMDGPU.csdata,"",@progbits
; Kernel info:
; codeLenInByte = 0
; NumSgprs: 4
; NumVgprs: 0
; NumAgprs: 0
; TotalNumVgprs: 0
; ScratchSize: 0
; MemoryBound: 0
; FloatMode: 240
; IeeeMode: 1
; LDSByteSize: 0 bytes/workgroup (compile time only)
; SGPRBlocks: 0
; VGPRBlocks: 0
; NumSGPRsForWavesPerEU: 4
; NumVGPRsForWavesPerEU: 1
; AccumOffset: 4
; Occupancy: 8
; WaveLimiterHint : 0
; COMPUTE_PGM_RSRC2:SCRATCH_EN: 0
; COMPUTE_PGM_RSRC2:USER_SGPR: 6
; COMPUTE_PGM_RSRC2:TRAP_HANDLER: 0
; COMPUTE_PGM_RSRC2:TGID_X_EN: 1
; COMPUTE_PGM_RSRC2:TGID_Y_EN: 0
; COMPUTE_PGM_RSRC2:TGID_Z_EN: 0
; COMPUTE_PGM_RSRC2:TIDIG_COMP_CNT: 0
; COMPUTE_PGM_RSRC3_GFX90A:ACCUM_OFFSET: 0
; COMPUTE_PGM_RSRC3_GFX90A:TG_SPLIT: 0
	.section	.text._ZN7rocprim17ROCPRIM_400000_NS6detail17trampoline_kernelINS0_14default_configENS1_20scan_config_selectorItEEZZNS1_9scan_implILNS1_25lookback_scan_determinismE0ELb1ELb1ES3_N6thrust23THRUST_200600_302600_NS6detail15normal_iteratorINS9_10device_ptrItEEEESE_t11max_functorItEtEEDaPvRmT3_T4_T5_mT6_P12ihipStream_tbENKUlT_T0_E_clISt17integral_constantIbLb1EESU_EEDaSP_SQ_EUlSP_E0_NS1_11comp_targetILNS1_3genE9ELNS1_11target_archE1100ELNS1_3gpuE3ELNS1_3repE0EEENS1_30default_config_static_selectorELNS0_4arch9wavefront6targetE1EEEvT1_,"axG",@progbits,_ZN7rocprim17ROCPRIM_400000_NS6detail17trampoline_kernelINS0_14default_configENS1_20scan_config_selectorItEEZZNS1_9scan_implILNS1_25lookback_scan_determinismE0ELb1ELb1ES3_N6thrust23THRUST_200600_302600_NS6detail15normal_iteratorINS9_10device_ptrItEEEESE_t11max_functorItEtEEDaPvRmT3_T4_T5_mT6_P12ihipStream_tbENKUlT_T0_E_clISt17integral_constantIbLb1EESU_EEDaSP_SQ_EUlSP_E0_NS1_11comp_targetILNS1_3genE9ELNS1_11target_archE1100ELNS1_3gpuE3ELNS1_3repE0EEENS1_30default_config_static_selectorELNS0_4arch9wavefront6targetE1EEEvT1_,comdat
	.protected	_ZN7rocprim17ROCPRIM_400000_NS6detail17trampoline_kernelINS0_14default_configENS1_20scan_config_selectorItEEZZNS1_9scan_implILNS1_25lookback_scan_determinismE0ELb1ELb1ES3_N6thrust23THRUST_200600_302600_NS6detail15normal_iteratorINS9_10device_ptrItEEEESE_t11max_functorItEtEEDaPvRmT3_T4_T5_mT6_P12ihipStream_tbENKUlT_T0_E_clISt17integral_constantIbLb1EESU_EEDaSP_SQ_EUlSP_E0_NS1_11comp_targetILNS1_3genE9ELNS1_11target_archE1100ELNS1_3gpuE3ELNS1_3repE0EEENS1_30default_config_static_selectorELNS0_4arch9wavefront6targetE1EEEvT1_ ; -- Begin function _ZN7rocprim17ROCPRIM_400000_NS6detail17trampoline_kernelINS0_14default_configENS1_20scan_config_selectorItEEZZNS1_9scan_implILNS1_25lookback_scan_determinismE0ELb1ELb1ES3_N6thrust23THRUST_200600_302600_NS6detail15normal_iteratorINS9_10device_ptrItEEEESE_t11max_functorItEtEEDaPvRmT3_T4_T5_mT6_P12ihipStream_tbENKUlT_T0_E_clISt17integral_constantIbLb1EESU_EEDaSP_SQ_EUlSP_E0_NS1_11comp_targetILNS1_3genE9ELNS1_11target_archE1100ELNS1_3gpuE3ELNS1_3repE0EEENS1_30default_config_static_selectorELNS0_4arch9wavefront6targetE1EEEvT1_
	.globl	_ZN7rocprim17ROCPRIM_400000_NS6detail17trampoline_kernelINS0_14default_configENS1_20scan_config_selectorItEEZZNS1_9scan_implILNS1_25lookback_scan_determinismE0ELb1ELb1ES3_N6thrust23THRUST_200600_302600_NS6detail15normal_iteratorINS9_10device_ptrItEEEESE_t11max_functorItEtEEDaPvRmT3_T4_T5_mT6_P12ihipStream_tbENKUlT_T0_E_clISt17integral_constantIbLb1EESU_EEDaSP_SQ_EUlSP_E0_NS1_11comp_targetILNS1_3genE9ELNS1_11target_archE1100ELNS1_3gpuE3ELNS1_3repE0EEENS1_30default_config_static_selectorELNS0_4arch9wavefront6targetE1EEEvT1_
	.p2align	8
	.type	_ZN7rocprim17ROCPRIM_400000_NS6detail17trampoline_kernelINS0_14default_configENS1_20scan_config_selectorItEEZZNS1_9scan_implILNS1_25lookback_scan_determinismE0ELb1ELb1ES3_N6thrust23THRUST_200600_302600_NS6detail15normal_iteratorINS9_10device_ptrItEEEESE_t11max_functorItEtEEDaPvRmT3_T4_T5_mT6_P12ihipStream_tbENKUlT_T0_E_clISt17integral_constantIbLb1EESU_EEDaSP_SQ_EUlSP_E0_NS1_11comp_targetILNS1_3genE9ELNS1_11target_archE1100ELNS1_3gpuE3ELNS1_3repE0EEENS1_30default_config_static_selectorELNS0_4arch9wavefront6targetE1EEEvT1_,@function
_ZN7rocprim17ROCPRIM_400000_NS6detail17trampoline_kernelINS0_14default_configENS1_20scan_config_selectorItEEZZNS1_9scan_implILNS1_25lookback_scan_determinismE0ELb1ELb1ES3_N6thrust23THRUST_200600_302600_NS6detail15normal_iteratorINS9_10device_ptrItEEEESE_t11max_functorItEtEEDaPvRmT3_T4_T5_mT6_P12ihipStream_tbENKUlT_T0_E_clISt17integral_constantIbLb1EESU_EEDaSP_SQ_EUlSP_E0_NS1_11comp_targetILNS1_3genE9ELNS1_11target_archE1100ELNS1_3gpuE3ELNS1_3repE0EEENS1_30default_config_static_selectorELNS0_4arch9wavefront6targetE1EEEvT1_: ; @_ZN7rocprim17ROCPRIM_400000_NS6detail17trampoline_kernelINS0_14default_configENS1_20scan_config_selectorItEEZZNS1_9scan_implILNS1_25lookback_scan_determinismE0ELb1ELb1ES3_N6thrust23THRUST_200600_302600_NS6detail15normal_iteratorINS9_10device_ptrItEEEESE_t11max_functorItEtEEDaPvRmT3_T4_T5_mT6_P12ihipStream_tbENKUlT_T0_E_clISt17integral_constantIbLb1EESU_EEDaSP_SQ_EUlSP_E0_NS1_11comp_targetILNS1_3genE9ELNS1_11target_archE1100ELNS1_3gpuE3ELNS1_3repE0EEENS1_30default_config_static_selectorELNS0_4arch9wavefront6targetE1EEEvT1_
; %bb.0:
	.section	.rodata,"a",@progbits
	.p2align	6, 0x0
	.amdhsa_kernel _ZN7rocprim17ROCPRIM_400000_NS6detail17trampoline_kernelINS0_14default_configENS1_20scan_config_selectorItEEZZNS1_9scan_implILNS1_25lookback_scan_determinismE0ELb1ELb1ES3_N6thrust23THRUST_200600_302600_NS6detail15normal_iteratorINS9_10device_ptrItEEEESE_t11max_functorItEtEEDaPvRmT3_T4_T5_mT6_P12ihipStream_tbENKUlT_T0_E_clISt17integral_constantIbLb1EESU_EEDaSP_SQ_EUlSP_E0_NS1_11comp_targetILNS1_3genE9ELNS1_11target_archE1100ELNS1_3gpuE3ELNS1_3repE0EEENS1_30default_config_static_selectorELNS0_4arch9wavefront6targetE1EEEvT1_
		.amdhsa_group_segment_fixed_size 0
		.amdhsa_private_segment_fixed_size 0
		.amdhsa_kernarg_size 32
		.amdhsa_user_sgpr_count 6
		.amdhsa_user_sgpr_private_segment_buffer 1
		.amdhsa_user_sgpr_dispatch_ptr 0
		.amdhsa_user_sgpr_queue_ptr 0
		.amdhsa_user_sgpr_kernarg_segment_ptr 1
		.amdhsa_user_sgpr_dispatch_id 0
		.amdhsa_user_sgpr_flat_scratch_init 0
		.amdhsa_user_sgpr_kernarg_preload_length 0
		.amdhsa_user_sgpr_kernarg_preload_offset 0
		.amdhsa_user_sgpr_private_segment_size 0
		.amdhsa_uses_dynamic_stack 0
		.amdhsa_system_sgpr_private_segment_wavefront_offset 0
		.amdhsa_system_sgpr_workgroup_id_x 1
		.amdhsa_system_sgpr_workgroup_id_y 0
		.amdhsa_system_sgpr_workgroup_id_z 0
		.amdhsa_system_sgpr_workgroup_info 0
		.amdhsa_system_vgpr_workitem_id 0
		.amdhsa_next_free_vgpr 1
		.amdhsa_next_free_sgpr 0
		.amdhsa_accum_offset 4
		.amdhsa_reserve_vcc 0
		.amdhsa_reserve_flat_scratch 0
		.amdhsa_float_round_mode_32 0
		.amdhsa_float_round_mode_16_64 0
		.amdhsa_float_denorm_mode_32 3
		.amdhsa_float_denorm_mode_16_64 3
		.amdhsa_dx10_clamp 1
		.amdhsa_ieee_mode 1
		.amdhsa_fp16_overflow 0
		.amdhsa_tg_split 0
		.amdhsa_exception_fp_ieee_invalid_op 0
		.amdhsa_exception_fp_denorm_src 0
		.amdhsa_exception_fp_ieee_div_zero 0
		.amdhsa_exception_fp_ieee_overflow 0
		.amdhsa_exception_fp_ieee_underflow 0
		.amdhsa_exception_fp_ieee_inexact 0
		.amdhsa_exception_int_div_zero 0
	.end_amdhsa_kernel
	.section	.text._ZN7rocprim17ROCPRIM_400000_NS6detail17trampoline_kernelINS0_14default_configENS1_20scan_config_selectorItEEZZNS1_9scan_implILNS1_25lookback_scan_determinismE0ELb1ELb1ES3_N6thrust23THRUST_200600_302600_NS6detail15normal_iteratorINS9_10device_ptrItEEEESE_t11max_functorItEtEEDaPvRmT3_T4_T5_mT6_P12ihipStream_tbENKUlT_T0_E_clISt17integral_constantIbLb1EESU_EEDaSP_SQ_EUlSP_E0_NS1_11comp_targetILNS1_3genE9ELNS1_11target_archE1100ELNS1_3gpuE3ELNS1_3repE0EEENS1_30default_config_static_selectorELNS0_4arch9wavefront6targetE1EEEvT1_,"axG",@progbits,_ZN7rocprim17ROCPRIM_400000_NS6detail17trampoline_kernelINS0_14default_configENS1_20scan_config_selectorItEEZZNS1_9scan_implILNS1_25lookback_scan_determinismE0ELb1ELb1ES3_N6thrust23THRUST_200600_302600_NS6detail15normal_iteratorINS9_10device_ptrItEEEESE_t11max_functorItEtEEDaPvRmT3_T4_T5_mT6_P12ihipStream_tbENKUlT_T0_E_clISt17integral_constantIbLb1EESU_EEDaSP_SQ_EUlSP_E0_NS1_11comp_targetILNS1_3genE9ELNS1_11target_archE1100ELNS1_3gpuE3ELNS1_3repE0EEENS1_30default_config_static_selectorELNS0_4arch9wavefront6targetE1EEEvT1_,comdat
.Lfunc_end2520:
	.size	_ZN7rocprim17ROCPRIM_400000_NS6detail17trampoline_kernelINS0_14default_configENS1_20scan_config_selectorItEEZZNS1_9scan_implILNS1_25lookback_scan_determinismE0ELb1ELb1ES3_N6thrust23THRUST_200600_302600_NS6detail15normal_iteratorINS9_10device_ptrItEEEESE_t11max_functorItEtEEDaPvRmT3_T4_T5_mT6_P12ihipStream_tbENKUlT_T0_E_clISt17integral_constantIbLb1EESU_EEDaSP_SQ_EUlSP_E0_NS1_11comp_targetILNS1_3genE9ELNS1_11target_archE1100ELNS1_3gpuE3ELNS1_3repE0EEENS1_30default_config_static_selectorELNS0_4arch9wavefront6targetE1EEEvT1_, .Lfunc_end2520-_ZN7rocprim17ROCPRIM_400000_NS6detail17trampoline_kernelINS0_14default_configENS1_20scan_config_selectorItEEZZNS1_9scan_implILNS1_25lookback_scan_determinismE0ELb1ELb1ES3_N6thrust23THRUST_200600_302600_NS6detail15normal_iteratorINS9_10device_ptrItEEEESE_t11max_functorItEtEEDaPvRmT3_T4_T5_mT6_P12ihipStream_tbENKUlT_T0_E_clISt17integral_constantIbLb1EESU_EEDaSP_SQ_EUlSP_E0_NS1_11comp_targetILNS1_3genE9ELNS1_11target_archE1100ELNS1_3gpuE3ELNS1_3repE0EEENS1_30default_config_static_selectorELNS0_4arch9wavefront6targetE1EEEvT1_
                                        ; -- End function
	.section	.AMDGPU.csdata,"",@progbits
; Kernel info:
; codeLenInByte = 0
; NumSgprs: 4
; NumVgprs: 0
; NumAgprs: 0
; TotalNumVgprs: 0
; ScratchSize: 0
; MemoryBound: 0
; FloatMode: 240
; IeeeMode: 1
; LDSByteSize: 0 bytes/workgroup (compile time only)
; SGPRBlocks: 0
; VGPRBlocks: 0
; NumSGPRsForWavesPerEU: 4
; NumVGPRsForWavesPerEU: 1
; AccumOffset: 4
; Occupancy: 8
; WaveLimiterHint : 0
; COMPUTE_PGM_RSRC2:SCRATCH_EN: 0
; COMPUTE_PGM_RSRC2:USER_SGPR: 6
; COMPUTE_PGM_RSRC2:TRAP_HANDLER: 0
; COMPUTE_PGM_RSRC2:TGID_X_EN: 1
; COMPUTE_PGM_RSRC2:TGID_Y_EN: 0
; COMPUTE_PGM_RSRC2:TGID_Z_EN: 0
; COMPUTE_PGM_RSRC2:TIDIG_COMP_CNT: 0
; COMPUTE_PGM_RSRC3_GFX90A:ACCUM_OFFSET: 0
; COMPUTE_PGM_RSRC3_GFX90A:TG_SPLIT: 0
	.section	.text._ZN7rocprim17ROCPRIM_400000_NS6detail17trampoline_kernelINS0_14default_configENS1_20scan_config_selectorItEEZZNS1_9scan_implILNS1_25lookback_scan_determinismE0ELb1ELb1ES3_N6thrust23THRUST_200600_302600_NS6detail15normal_iteratorINS9_10device_ptrItEEEESE_t11max_functorItEtEEDaPvRmT3_T4_T5_mT6_P12ihipStream_tbENKUlT_T0_E_clISt17integral_constantIbLb1EESU_EEDaSP_SQ_EUlSP_E0_NS1_11comp_targetILNS1_3genE8ELNS1_11target_archE1030ELNS1_3gpuE2ELNS1_3repE0EEENS1_30default_config_static_selectorELNS0_4arch9wavefront6targetE1EEEvT1_,"axG",@progbits,_ZN7rocprim17ROCPRIM_400000_NS6detail17trampoline_kernelINS0_14default_configENS1_20scan_config_selectorItEEZZNS1_9scan_implILNS1_25lookback_scan_determinismE0ELb1ELb1ES3_N6thrust23THRUST_200600_302600_NS6detail15normal_iteratorINS9_10device_ptrItEEEESE_t11max_functorItEtEEDaPvRmT3_T4_T5_mT6_P12ihipStream_tbENKUlT_T0_E_clISt17integral_constantIbLb1EESU_EEDaSP_SQ_EUlSP_E0_NS1_11comp_targetILNS1_3genE8ELNS1_11target_archE1030ELNS1_3gpuE2ELNS1_3repE0EEENS1_30default_config_static_selectorELNS0_4arch9wavefront6targetE1EEEvT1_,comdat
	.protected	_ZN7rocprim17ROCPRIM_400000_NS6detail17trampoline_kernelINS0_14default_configENS1_20scan_config_selectorItEEZZNS1_9scan_implILNS1_25lookback_scan_determinismE0ELb1ELb1ES3_N6thrust23THRUST_200600_302600_NS6detail15normal_iteratorINS9_10device_ptrItEEEESE_t11max_functorItEtEEDaPvRmT3_T4_T5_mT6_P12ihipStream_tbENKUlT_T0_E_clISt17integral_constantIbLb1EESU_EEDaSP_SQ_EUlSP_E0_NS1_11comp_targetILNS1_3genE8ELNS1_11target_archE1030ELNS1_3gpuE2ELNS1_3repE0EEENS1_30default_config_static_selectorELNS0_4arch9wavefront6targetE1EEEvT1_ ; -- Begin function _ZN7rocprim17ROCPRIM_400000_NS6detail17trampoline_kernelINS0_14default_configENS1_20scan_config_selectorItEEZZNS1_9scan_implILNS1_25lookback_scan_determinismE0ELb1ELb1ES3_N6thrust23THRUST_200600_302600_NS6detail15normal_iteratorINS9_10device_ptrItEEEESE_t11max_functorItEtEEDaPvRmT3_T4_T5_mT6_P12ihipStream_tbENKUlT_T0_E_clISt17integral_constantIbLb1EESU_EEDaSP_SQ_EUlSP_E0_NS1_11comp_targetILNS1_3genE8ELNS1_11target_archE1030ELNS1_3gpuE2ELNS1_3repE0EEENS1_30default_config_static_selectorELNS0_4arch9wavefront6targetE1EEEvT1_
	.globl	_ZN7rocprim17ROCPRIM_400000_NS6detail17trampoline_kernelINS0_14default_configENS1_20scan_config_selectorItEEZZNS1_9scan_implILNS1_25lookback_scan_determinismE0ELb1ELb1ES3_N6thrust23THRUST_200600_302600_NS6detail15normal_iteratorINS9_10device_ptrItEEEESE_t11max_functorItEtEEDaPvRmT3_T4_T5_mT6_P12ihipStream_tbENKUlT_T0_E_clISt17integral_constantIbLb1EESU_EEDaSP_SQ_EUlSP_E0_NS1_11comp_targetILNS1_3genE8ELNS1_11target_archE1030ELNS1_3gpuE2ELNS1_3repE0EEENS1_30default_config_static_selectorELNS0_4arch9wavefront6targetE1EEEvT1_
	.p2align	8
	.type	_ZN7rocprim17ROCPRIM_400000_NS6detail17trampoline_kernelINS0_14default_configENS1_20scan_config_selectorItEEZZNS1_9scan_implILNS1_25lookback_scan_determinismE0ELb1ELb1ES3_N6thrust23THRUST_200600_302600_NS6detail15normal_iteratorINS9_10device_ptrItEEEESE_t11max_functorItEtEEDaPvRmT3_T4_T5_mT6_P12ihipStream_tbENKUlT_T0_E_clISt17integral_constantIbLb1EESU_EEDaSP_SQ_EUlSP_E0_NS1_11comp_targetILNS1_3genE8ELNS1_11target_archE1030ELNS1_3gpuE2ELNS1_3repE0EEENS1_30default_config_static_selectorELNS0_4arch9wavefront6targetE1EEEvT1_,@function
_ZN7rocprim17ROCPRIM_400000_NS6detail17trampoline_kernelINS0_14default_configENS1_20scan_config_selectorItEEZZNS1_9scan_implILNS1_25lookback_scan_determinismE0ELb1ELb1ES3_N6thrust23THRUST_200600_302600_NS6detail15normal_iteratorINS9_10device_ptrItEEEESE_t11max_functorItEtEEDaPvRmT3_T4_T5_mT6_P12ihipStream_tbENKUlT_T0_E_clISt17integral_constantIbLb1EESU_EEDaSP_SQ_EUlSP_E0_NS1_11comp_targetILNS1_3genE8ELNS1_11target_archE1030ELNS1_3gpuE2ELNS1_3repE0EEENS1_30default_config_static_selectorELNS0_4arch9wavefront6targetE1EEEvT1_: ; @_ZN7rocprim17ROCPRIM_400000_NS6detail17trampoline_kernelINS0_14default_configENS1_20scan_config_selectorItEEZZNS1_9scan_implILNS1_25lookback_scan_determinismE0ELb1ELb1ES3_N6thrust23THRUST_200600_302600_NS6detail15normal_iteratorINS9_10device_ptrItEEEESE_t11max_functorItEtEEDaPvRmT3_T4_T5_mT6_P12ihipStream_tbENKUlT_T0_E_clISt17integral_constantIbLb1EESU_EEDaSP_SQ_EUlSP_E0_NS1_11comp_targetILNS1_3genE8ELNS1_11target_archE1030ELNS1_3gpuE2ELNS1_3repE0EEENS1_30default_config_static_selectorELNS0_4arch9wavefront6targetE1EEEvT1_
; %bb.0:
	.section	.rodata,"a",@progbits
	.p2align	6, 0x0
	.amdhsa_kernel _ZN7rocprim17ROCPRIM_400000_NS6detail17trampoline_kernelINS0_14default_configENS1_20scan_config_selectorItEEZZNS1_9scan_implILNS1_25lookback_scan_determinismE0ELb1ELb1ES3_N6thrust23THRUST_200600_302600_NS6detail15normal_iteratorINS9_10device_ptrItEEEESE_t11max_functorItEtEEDaPvRmT3_T4_T5_mT6_P12ihipStream_tbENKUlT_T0_E_clISt17integral_constantIbLb1EESU_EEDaSP_SQ_EUlSP_E0_NS1_11comp_targetILNS1_3genE8ELNS1_11target_archE1030ELNS1_3gpuE2ELNS1_3repE0EEENS1_30default_config_static_selectorELNS0_4arch9wavefront6targetE1EEEvT1_
		.amdhsa_group_segment_fixed_size 0
		.amdhsa_private_segment_fixed_size 0
		.amdhsa_kernarg_size 32
		.amdhsa_user_sgpr_count 6
		.amdhsa_user_sgpr_private_segment_buffer 1
		.amdhsa_user_sgpr_dispatch_ptr 0
		.amdhsa_user_sgpr_queue_ptr 0
		.amdhsa_user_sgpr_kernarg_segment_ptr 1
		.amdhsa_user_sgpr_dispatch_id 0
		.amdhsa_user_sgpr_flat_scratch_init 0
		.amdhsa_user_sgpr_kernarg_preload_length 0
		.amdhsa_user_sgpr_kernarg_preload_offset 0
		.amdhsa_user_sgpr_private_segment_size 0
		.amdhsa_uses_dynamic_stack 0
		.amdhsa_system_sgpr_private_segment_wavefront_offset 0
		.amdhsa_system_sgpr_workgroup_id_x 1
		.amdhsa_system_sgpr_workgroup_id_y 0
		.amdhsa_system_sgpr_workgroup_id_z 0
		.amdhsa_system_sgpr_workgroup_info 0
		.amdhsa_system_vgpr_workitem_id 0
		.amdhsa_next_free_vgpr 1
		.amdhsa_next_free_sgpr 0
		.amdhsa_accum_offset 4
		.amdhsa_reserve_vcc 0
		.amdhsa_reserve_flat_scratch 0
		.amdhsa_float_round_mode_32 0
		.amdhsa_float_round_mode_16_64 0
		.amdhsa_float_denorm_mode_32 3
		.amdhsa_float_denorm_mode_16_64 3
		.amdhsa_dx10_clamp 1
		.amdhsa_ieee_mode 1
		.amdhsa_fp16_overflow 0
		.amdhsa_tg_split 0
		.amdhsa_exception_fp_ieee_invalid_op 0
		.amdhsa_exception_fp_denorm_src 0
		.amdhsa_exception_fp_ieee_div_zero 0
		.amdhsa_exception_fp_ieee_overflow 0
		.amdhsa_exception_fp_ieee_underflow 0
		.amdhsa_exception_fp_ieee_inexact 0
		.amdhsa_exception_int_div_zero 0
	.end_amdhsa_kernel
	.section	.text._ZN7rocprim17ROCPRIM_400000_NS6detail17trampoline_kernelINS0_14default_configENS1_20scan_config_selectorItEEZZNS1_9scan_implILNS1_25lookback_scan_determinismE0ELb1ELb1ES3_N6thrust23THRUST_200600_302600_NS6detail15normal_iteratorINS9_10device_ptrItEEEESE_t11max_functorItEtEEDaPvRmT3_T4_T5_mT6_P12ihipStream_tbENKUlT_T0_E_clISt17integral_constantIbLb1EESU_EEDaSP_SQ_EUlSP_E0_NS1_11comp_targetILNS1_3genE8ELNS1_11target_archE1030ELNS1_3gpuE2ELNS1_3repE0EEENS1_30default_config_static_selectorELNS0_4arch9wavefront6targetE1EEEvT1_,"axG",@progbits,_ZN7rocprim17ROCPRIM_400000_NS6detail17trampoline_kernelINS0_14default_configENS1_20scan_config_selectorItEEZZNS1_9scan_implILNS1_25lookback_scan_determinismE0ELb1ELb1ES3_N6thrust23THRUST_200600_302600_NS6detail15normal_iteratorINS9_10device_ptrItEEEESE_t11max_functorItEtEEDaPvRmT3_T4_T5_mT6_P12ihipStream_tbENKUlT_T0_E_clISt17integral_constantIbLb1EESU_EEDaSP_SQ_EUlSP_E0_NS1_11comp_targetILNS1_3genE8ELNS1_11target_archE1030ELNS1_3gpuE2ELNS1_3repE0EEENS1_30default_config_static_selectorELNS0_4arch9wavefront6targetE1EEEvT1_,comdat
.Lfunc_end2521:
	.size	_ZN7rocprim17ROCPRIM_400000_NS6detail17trampoline_kernelINS0_14default_configENS1_20scan_config_selectorItEEZZNS1_9scan_implILNS1_25lookback_scan_determinismE0ELb1ELb1ES3_N6thrust23THRUST_200600_302600_NS6detail15normal_iteratorINS9_10device_ptrItEEEESE_t11max_functorItEtEEDaPvRmT3_T4_T5_mT6_P12ihipStream_tbENKUlT_T0_E_clISt17integral_constantIbLb1EESU_EEDaSP_SQ_EUlSP_E0_NS1_11comp_targetILNS1_3genE8ELNS1_11target_archE1030ELNS1_3gpuE2ELNS1_3repE0EEENS1_30default_config_static_selectorELNS0_4arch9wavefront6targetE1EEEvT1_, .Lfunc_end2521-_ZN7rocprim17ROCPRIM_400000_NS6detail17trampoline_kernelINS0_14default_configENS1_20scan_config_selectorItEEZZNS1_9scan_implILNS1_25lookback_scan_determinismE0ELb1ELb1ES3_N6thrust23THRUST_200600_302600_NS6detail15normal_iteratorINS9_10device_ptrItEEEESE_t11max_functorItEtEEDaPvRmT3_T4_T5_mT6_P12ihipStream_tbENKUlT_T0_E_clISt17integral_constantIbLb1EESU_EEDaSP_SQ_EUlSP_E0_NS1_11comp_targetILNS1_3genE8ELNS1_11target_archE1030ELNS1_3gpuE2ELNS1_3repE0EEENS1_30default_config_static_selectorELNS0_4arch9wavefront6targetE1EEEvT1_
                                        ; -- End function
	.section	.AMDGPU.csdata,"",@progbits
; Kernel info:
; codeLenInByte = 0
; NumSgprs: 4
; NumVgprs: 0
; NumAgprs: 0
; TotalNumVgprs: 0
; ScratchSize: 0
; MemoryBound: 0
; FloatMode: 240
; IeeeMode: 1
; LDSByteSize: 0 bytes/workgroup (compile time only)
; SGPRBlocks: 0
; VGPRBlocks: 0
; NumSGPRsForWavesPerEU: 4
; NumVGPRsForWavesPerEU: 1
; AccumOffset: 4
; Occupancy: 8
; WaveLimiterHint : 0
; COMPUTE_PGM_RSRC2:SCRATCH_EN: 0
; COMPUTE_PGM_RSRC2:USER_SGPR: 6
; COMPUTE_PGM_RSRC2:TRAP_HANDLER: 0
; COMPUTE_PGM_RSRC2:TGID_X_EN: 1
; COMPUTE_PGM_RSRC2:TGID_Y_EN: 0
; COMPUTE_PGM_RSRC2:TGID_Z_EN: 0
; COMPUTE_PGM_RSRC2:TIDIG_COMP_CNT: 0
; COMPUTE_PGM_RSRC3_GFX90A:ACCUM_OFFSET: 0
; COMPUTE_PGM_RSRC3_GFX90A:TG_SPLIT: 0
	.section	.text._ZN7rocprim17ROCPRIM_400000_NS6detail17trampoline_kernelINS0_14default_configENS1_20scan_config_selectorItEEZZNS1_9scan_implILNS1_25lookback_scan_determinismE0ELb1ELb1ES3_N6thrust23THRUST_200600_302600_NS6detail15normal_iteratorINS9_10device_ptrItEEEESE_t11max_functorItEtEEDaPvRmT3_T4_T5_mT6_P12ihipStream_tbENKUlT_T0_E_clISt17integral_constantIbLb1EEST_IbLb0EEEEDaSP_SQ_EUlSP_E_NS1_11comp_targetILNS1_3genE0ELNS1_11target_archE4294967295ELNS1_3gpuE0ELNS1_3repE0EEENS1_30default_config_static_selectorELNS0_4arch9wavefront6targetE1EEEvT1_,"axG",@progbits,_ZN7rocprim17ROCPRIM_400000_NS6detail17trampoline_kernelINS0_14default_configENS1_20scan_config_selectorItEEZZNS1_9scan_implILNS1_25lookback_scan_determinismE0ELb1ELb1ES3_N6thrust23THRUST_200600_302600_NS6detail15normal_iteratorINS9_10device_ptrItEEEESE_t11max_functorItEtEEDaPvRmT3_T4_T5_mT6_P12ihipStream_tbENKUlT_T0_E_clISt17integral_constantIbLb1EEST_IbLb0EEEEDaSP_SQ_EUlSP_E_NS1_11comp_targetILNS1_3genE0ELNS1_11target_archE4294967295ELNS1_3gpuE0ELNS1_3repE0EEENS1_30default_config_static_selectorELNS0_4arch9wavefront6targetE1EEEvT1_,comdat
	.protected	_ZN7rocprim17ROCPRIM_400000_NS6detail17trampoline_kernelINS0_14default_configENS1_20scan_config_selectorItEEZZNS1_9scan_implILNS1_25lookback_scan_determinismE0ELb1ELb1ES3_N6thrust23THRUST_200600_302600_NS6detail15normal_iteratorINS9_10device_ptrItEEEESE_t11max_functorItEtEEDaPvRmT3_T4_T5_mT6_P12ihipStream_tbENKUlT_T0_E_clISt17integral_constantIbLb1EEST_IbLb0EEEEDaSP_SQ_EUlSP_E_NS1_11comp_targetILNS1_3genE0ELNS1_11target_archE4294967295ELNS1_3gpuE0ELNS1_3repE0EEENS1_30default_config_static_selectorELNS0_4arch9wavefront6targetE1EEEvT1_ ; -- Begin function _ZN7rocprim17ROCPRIM_400000_NS6detail17trampoline_kernelINS0_14default_configENS1_20scan_config_selectorItEEZZNS1_9scan_implILNS1_25lookback_scan_determinismE0ELb1ELb1ES3_N6thrust23THRUST_200600_302600_NS6detail15normal_iteratorINS9_10device_ptrItEEEESE_t11max_functorItEtEEDaPvRmT3_T4_T5_mT6_P12ihipStream_tbENKUlT_T0_E_clISt17integral_constantIbLb1EEST_IbLb0EEEEDaSP_SQ_EUlSP_E_NS1_11comp_targetILNS1_3genE0ELNS1_11target_archE4294967295ELNS1_3gpuE0ELNS1_3repE0EEENS1_30default_config_static_selectorELNS0_4arch9wavefront6targetE1EEEvT1_
	.globl	_ZN7rocprim17ROCPRIM_400000_NS6detail17trampoline_kernelINS0_14default_configENS1_20scan_config_selectorItEEZZNS1_9scan_implILNS1_25lookback_scan_determinismE0ELb1ELb1ES3_N6thrust23THRUST_200600_302600_NS6detail15normal_iteratorINS9_10device_ptrItEEEESE_t11max_functorItEtEEDaPvRmT3_T4_T5_mT6_P12ihipStream_tbENKUlT_T0_E_clISt17integral_constantIbLb1EEST_IbLb0EEEEDaSP_SQ_EUlSP_E_NS1_11comp_targetILNS1_3genE0ELNS1_11target_archE4294967295ELNS1_3gpuE0ELNS1_3repE0EEENS1_30default_config_static_selectorELNS0_4arch9wavefront6targetE1EEEvT1_
	.p2align	8
	.type	_ZN7rocprim17ROCPRIM_400000_NS6detail17trampoline_kernelINS0_14default_configENS1_20scan_config_selectorItEEZZNS1_9scan_implILNS1_25lookback_scan_determinismE0ELb1ELb1ES3_N6thrust23THRUST_200600_302600_NS6detail15normal_iteratorINS9_10device_ptrItEEEESE_t11max_functorItEtEEDaPvRmT3_T4_T5_mT6_P12ihipStream_tbENKUlT_T0_E_clISt17integral_constantIbLb1EEST_IbLb0EEEEDaSP_SQ_EUlSP_E_NS1_11comp_targetILNS1_3genE0ELNS1_11target_archE4294967295ELNS1_3gpuE0ELNS1_3repE0EEENS1_30default_config_static_selectorELNS0_4arch9wavefront6targetE1EEEvT1_,@function
_ZN7rocprim17ROCPRIM_400000_NS6detail17trampoline_kernelINS0_14default_configENS1_20scan_config_selectorItEEZZNS1_9scan_implILNS1_25lookback_scan_determinismE0ELb1ELb1ES3_N6thrust23THRUST_200600_302600_NS6detail15normal_iteratorINS9_10device_ptrItEEEESE_t11max_functorItEtEEDaPvRmT3_T4_T5_mT6_P12ihipStream_tbENKUlT_T0_E_clISt17integral_constantIbLb1EEST_IbLb0EEEEDaSP_SQ_EUlSP_E_NS1_11comp_targetILNS1_3genE0ELNS1_11target_archE4294967295ELNS1_3gpuE0ELNS1_3repE0EEENS1_30default_config_static_selectorELNS0_4arch9wavefront6targetE1EEEvT1_: ; @_ZN7rocprim17ROCPRIM_400000_NS6detail17trampoline_kernelINS0_14default_configENS1_20scan_config_selectorItEEZZNS1_9scan_implILNS1_25lookback_scan_determinismE0ELb1ELb1ES3_N6thrust23THRUST_200600_302600_NS6detail15normal_iteratorINS9_10device_ptrItEEEESE_t11max_functorItEtEEDaPvRmT3_T4_T5_mT6_P12ihipStream_tbENKUlT_T0_E_clISt17integral_constantIbLb1EEST_IbLb0EEEEDaSP_SQ_EUlSP_E_NS1_11comp_targetILNS1_3genE0ELNS1_11target_archE4294967295ELNS1_3gpuE0ELNS1_3repE0EEENS1_30default_config_static_selectorELNS0_4arch9wavefront6targetE1EEEvT1_
; %bb.0:
	.section	.rodata,"a",@progbits
	.p2align	6, 0x0
	.amdhsa_kernel _ZN7rocprim17ROCPRIM_400000_NS6detail17trampoline_kernelINS0_14default_configENS1_20scan_config_selectorItEEZZNS1_9scan_implILNS1_25lookback_scan_determinismE0ELb1ELb1ES3_N6thrust23THRUST_200600_302600_NS6detail15normal_iteratorINS9_10device_ptrItEEEESE_t11max_functorItEtEEDaPvRmT3_T4_T5_mT6_P12ihipStream_tbENKUlT_T0_E_clISt17integral_constantIbLb1EEST_IbLb0EEEEDaSP_SQ_EUlSP_E_NS1_11comp_targetILNS1_3genE0ELNS1_11target_archE4294967295ELNS1_3gpuE0ELNS1_3repE0EEENS1_30default_config_static_selectorELNS0_4arch9wavefront6targetE1EEEvT1_
		.amdhsa_group_segment_fixed_size 0
		.amdhsa_private_segment_fixed_size 0
		.amdhsa_kernarg_size 96
		.amdhsa_user_sgpr_count 6
		.amdhsa_user_sgpr_private_segment_buffer 1
		.amdhsa_user_sgpr_dispatch_ptr 0
		.amdhsa_user_sgpr_queue_ptr 0
		.amdhsa_user_sgpr_kernarg_segment_ptr 1
		.amdhsa_user_sgpr_dispatch_id 0
		.amdhsa_user_sgpr_flat_scratch_init 0
		.amdhsa_user_sgpr_kernarg_preload_length 0
		.amdhsa_user_sgpr_kernarg_preload_offset 0
		.amdhsa_user_sgpr_private_segment_size 0
		.amdhsa_uses_dynamic_stack 0
		.amdhsa_system_sgpr_private_segment_wavefront_offset 0
		.amdhsa_system_sgpr_workgroup_id_x 1
		.amdhsa_system_sgpr_workgroup_id_y 0
		.amdhsa_system_sgpr_workgroup_id_z 0
		.amdhsa_system_sgpr_workgroup_info 0
		.amdhsa_system_vgpr_workitem_id 0
		.amdhsa_next_free_vgpr 1
		.amdhsa_next_free_sgpr 0
		.amdhsa_accum_offset 4
		.amdhsa_reserve_vcc 0
		.amdhsa_reserve_flat_scratch 0
		.amdhsa_float_round_mode_32 0
		.amdhsa_float_round_mode_16_64 0
		.amdhsa_float_denorm_mode_32 3
		.amdhsa_float_denorm_mode_16_64 3
		.amdhsa_dx10_clamp 1
		.amdhsa_ieee_mode 1
		.amdhsa_fp16_overflow 0
		.amdhsa_tg_split 0
		.amdhsa_exception_fp_ieee_invalid_op 0
		.amdhsa_exception_fp_denorm_src 0
		.amdhsa_exception_fp_ieee_div_zero 0
		.amdhsa_exception_fp_ieee_overflow 0
		.amdhsa_exception_fp_ieee_underflow 0
		.amdhsa_exception_fp_ieee_inexact 0
		.amdhsa_exception_int_div_zero 0
	.end_amdhsa_kernel
	.section	.text._ZN7rocprim17ROCPRIM_400000_NS6detail17trampoline_kernelINS0_14default_configENS1_20scan_config_selectorItEEZZNS1_9scan_implILNS1_25lookback_scan_determinismE0ELb1ELb1ES3_N6thrust23THRUST_200600_302600_NS6detail15normal_iteratorINS9_10device_ptrItEEEESE_t11max_functorItEtEEDaPvRmT3_T4_T5_mT6_P12ihipStream_tbENKUlT_T0_E_clISt17integral_constantIbLb1EEST_IbLb0EEEEDaSP_SQ_EUlSP_E_NS1_11comp_targetILNS1_3genE0ELNS1_11target_archE4294967295ELNS1_3gpuE0ELNS1_3repE0EEENS1_30default_config_static_selectorELNS0_4arch9wavefront6targetE1EEEvT1_,"axG",@progbits,_ZN7rocprim17ROCPRIM_400000_NS6detail17trampoline_kernelINS0_14default_configENS1_20scan_config_selectorItEEZZNS1_9scan_implILNS1_25lookback_scan_determinismE0ELb1ELb1ES3_N6thrust23THRUST_200600_302600_NS6detail15normal_iteratorINS9_10device_ptrItEEEESE_t11max_functorItEtEEDaPvRmT3_T4_T5_mT6_P12ihipStream_tbENKUlT_T0_E_clISt17integral_constantIbLb1EEST_IbLb0EEEEDaSP_SQ_EUlSP_E_NS1_11comp_targetILNS1_3genE0ELNS1_11target_archE4294967295ELNS1_3gpuE0ELNS1_3repE0EEENS1_30default_config_static_selectorELNS0_4arch9wavefront6targetE1EEEvT1_,comdat
.Lfunc_end2522:
	.size	_ZN7rocprim17ROCPRIM_400000_NS6detail17trampoline_kernelINS0_14default_configENS1_20scan_config_selectorItEEZZNS1_9scan_implILNS1_25lookback_scan_determinismE0ELb1ELb1ES3_N6thrust23THRUST_200600_302600_NS6detail15normal_iteratorINS9_10device_ptrItEEEESE_t11max_functorItEtEEDaPvRmT3_T4_T5_mT6_P12ihipStream_tbENKUlT_T0_E_clISt17integral_constantIbLb1EEST_IbLb0EEEEDaSP_SQ_EUlSP_E_NS1_11comp_targetILNS1_3genE0ELNS1_11target_archE4294967295ELNS1_3gpuE0ELNS1_3repE0EEENS1_30default_config_static_selectorELNS0_4arch9wavefront6targetE1EEEvT1_, .Lfunc_end2522-_ZN7rocprim17ROCPRIM_400000_NS6detail17trampoline_kernelINS0_14default_configENS1_20scan_config_selectorItEEZZNS1_9scan_implILNS1_25lookback_scan_determinismE0ELb1ELb1ES3_N6thrust23THRUST_200600_302600_NS6detail15normal_iteratorINS9_10device_ptrItEEEESE_t11max_functorItEtEEDaPvRmT3_T4_T5_mT6_P12ihipStream_tbENKUlT_T0_E_clISt17integral_constantIbLb1EEST_IbLb0EEEEDaSP_SQ_EUlSP_E_NS1_11comp_targetILNS1_3genE0ELNS1_11target_archE4294967295ELNS1_3gpuE0ELNS1_3repE0EEENS1_30default_config_static_selectorELNS0_4arch9wavefront6targetE1EEEvT1_
                                        ; -- End function
	.section	.AMDGPU.csdata,"",@progbits
; Kernel info:
; codeLenInByte = 0
; NumSgprs: 4
; NumVgprs: 0
; NumAgprs: 0
; TotalNumVgprs: 0
; ScratchSize: 0
; MemoryBound: 0
; FloatMode: 240
; IeeeMode: 1
; LDSByteSize: 0 bytes/workgroup (compile time only)
; SGPRBlocks: 0
; VGPRBlocks: 0
; NumSGPRsForWavesPerEU: 4
; NumVGPRsForWavesPerEU: 1
; AccumOffset: 4
; Occupancy: 8
; WaveLimiterHint : 0
; COMPUTE_PGM_RSRC2:SCRATCH_EN: 0
; COMPUTE_PGM_RSRC2:USER_SGPR: 6
; COMPUTE_PGM_RSRC2:TRAP_HANDLER: 0
; COMPUTE_PGM_RSRC2:TGID_X_EN: 1
; COMPUTE_PGM_RSRC2:TGID_Y_EN: 0
; COMPUTE_PGM_RSRC2:TGID_Z_EN: 0
; COMPUTE_PGM_RSRC2:TIDIG_COMP_CNT: 0
; COMPUTE_PGM_RSRC3_GFX90A:ACCUM_OFFSET: 0
; COMPUTE_PGM_RSRC3_GFX90A:TG_SPLIT: 0
	.section	.text._ZN7rocprim17ROCPRIM_400000_NS6detail17trampoline_kernelINS0_14default_configENS1_20scan_config_selectorItEEZZNS1_9scan_implILNS1_25lookback_scan_determinismE0ELb1ELb1ES3_N6thrust23THRUST_200600_302600_NS6detail15normal_iteratorINS9_10device_ptrItEEEESE_t11max_functorItEtEEDaPvRmT3_T4_T5_mT6_P12ihipStream_tbENKUlT_T0_E_clISt17integral_constantIbLb1EEST_IbLb0EEEEDaSP_SQ_EUlSP_E_NS1_11comp_targetILNS1_3genE5ELNS1_11target_archE942ELNS1_3gpuE9ELNS1_3repE0EEENS1_30default_config_static_selectorELNS0_4arch9wavefront6targetE1EEEvT1_,"axG",@progbits,_ZN7rocprim17ROCPRIM_400000_NS6detail17trampoline_kernelINS0_14default_configENS1_20scan_config_selectorItEEZZNS1_9scan_implILNS1_25lookback_scan_determinismE0ELb1ELb1ES3_N6thrust23THRUST_200600_302600_NS6detail15normal_iteratorINS9_10device_ptrItEEEESE_t11max_functorItEtEEDaPvRmT3_T4_T5_mT6_P12ihipStream_tbENKUlT_T0_E_clISt17integral_constantIbLb1EEST_IbLb0EEEEDaSP_SQ_EUlSP_E_NS1_11comp_targetILNS1_3genE5ELNS1_11target_archE942ELNS1_3gpuE9ELNS1_3repE0EEENS1_30default_config_static_selectorELNS0_4arch9wavefront6targetE1EEEvT1_,comdat
	.protected	_ZN7rocprim17ROCPRIM_400000_NS6detail17trampoline_kernelINS0_14default_configENS1_20scan_config_selectorItEEZZNS1_9scan_implILNS1_25lookback_scan_determinismE0ELb1ELb1ES3_N6thrust23THRUST_200600_302600_NS6detail15normal_iteratorINS9_10device_ptrItEEEESE_t11max_functorItEtEEDaPvRmT3_T4_T5_mT6_P12ihipStream_tbENKUlT_T0_E_clISt17integral_constantIbLb1EEST_IbLb0EEEEDaSP_SQ_EUlSP_E_NS1_11comp_targetILNS1_3genE5ELNS1_11target_archE942ELNS1_3gpuE9ELNS1_3repE0EEENS1_30default_config_static_selectorELNS0_4arch9wavefront6targetE1EEEvT1_ ; -- Begin function _ZN7rocprim17ROCPRIM_400000_NS6detail17trampoline_kernelINS0_14default_configENS1_20scan_config_selectorItEEZZNS1_9scan_implILNS1_25lookback_scan_determinismE0ELb1ELb1ES3_N6thrust23THRUST_200600_302600_NS6detail15normal_iteratorINS9_10device_ptrItEEEESE_t11max_functorItEtEEDaPvRmT3_T4_T5_mT6_P12ihipStream_tbENKUlT_T0_E_clISt17integral_constantIbLb1EEST_IbLb0EEEEDaSP_SQ_EUlSP_E_NS1_11comp_targetILNS1_3genE5ELNS1_11target_archE942ELNS1_3gpuE9ELNS1_3repE0EEENS1_30default_config_static_selectorELNS0_4arch9wavefront6targetE1EEEvT1_
	.globl	_ZN7rocprim17ROCPRIM_400000_NS6detail17trampoline_kernelINS0_14default_configENS1_20scan_config_selectorItEEZZNS1_9scan_implILNS1_25lookback_scan_determinismE0ELb1ELb1ES3_N6thrust23THRUST_200600_302600_NS6detail15normal_iteratorINS9_10device_ptrItEEEESE_t11max_functorItEtEEDaPvRmT3_T4_T5_mT6_P12ihipStream_tbENKUlT_T0_E_clISt17integral_constantIbLb1EEST_IbLb0EEEEDaSP_SQ_EUlSP_E_NS1_11comp_targetILNS1_3genE5ELNS1_11target_archE942ELNS1_3gpuE9ELNS1_3repE0EEENS1_30default_config_static_selectorELNS0_4arch9wavefront6targetE1EEEvT1_
	.p2align	8
	.type	_ZN7rocprim17ROCPRIM_400000_NS6detail17trampoline_kernelINS0_14default_configENS1_20scan_config_selectorItEEZZNS1_9scan_implILNS1_25lookback_scan_determinismE0ELb1ELb1ES3_N6thrust23THRUST_200600_302600_NS6detail15normal_iteratorINS9_10device_ptrItEEEESE_t11max_functorItEtEEDaPvRmT3_T4_T5_mT6_P12ihipStream_tbENKUlT_T0_E_clISt17integral_constantIbLb1EEST_IbLb0EEEEDaSP_SQ_EUlSP_E_NS1_11comp_targetILNS1_3genE5ELNS1_11target_archE942ELNS1_3gpuE9ELNS1_3repE0EEENS1_30default_config_static_selectorELNS0_4arch9wavefront6targetE1EEEvT1_,@function
_ZN7rocprim17ROCPRIM_400000_NS6detail17trampoline_kernelINS0_14default_configENS1_20scan_config_selectorItEEZZNS1_9scan_implILNS1_25lookback_scan_determinismE0ELb1ELb1ES3_N6thrust23THRUST_200600_302600_NS6detail15normal_iteratorINS9_10device_ptrItEEEESE_t11max_functorItEtEEDaPvRmT3_T4_T5_mT6_P12ihipStream_tbENKUlT_T0_E_clISt17integral_constantIbLb1EEST_IbLb0EEEEDaSP_SQ_EUlSP_E_NS1_11comp_targetILNS1_3genE5ELNS1_11target_archE942ELNS1_3gpuE9ELNS1_3repE0EEENS1_30default_config_static_selectorELNS0_4arch9wavefront6targetE1EEEvT1_: ; @_ZN7rocprim17ROCPRIM_400000_NS6detail17trampoline_kernelINS0_14default_configENS1_20scan_config_selectorItEEZZNS1_9scan_implILNS1_25lookback_scan_determinismE0ELb1ELb1ES3_N6thrust23THRUST_200600_302600_NS6detail15normal_iteratorINS9_10device_ptrItEEEESE_t11max_functorItEtEEDaPvRmT3_T4_T5_mT6_P12ihipStream_tbENKUlT_T0_E_clISt17integral_constantIbLb1EEST_IbLb0EEEEDaSP_SQ_EUlSP_E_NS1_11comp_targetILNS1_3genE5ELNS1_11target_archE942ELNS1_3gpuE9ELNS1_3repE0EEENS1_30default_config_static_selectorELNS0_4arch9wavefront6targetE1EEEvT1_
; %bb.0:
	.section	.rodata,"a",@progbits
	.p2align	6, 0x0
	.amdhsa_kernel _ZN7rocprim17ROCPRIM_400000_NS6detail17trampoline_kernelINS0_14default_configENS1_20scan_config_selectorItEEZZNS1_9scan_implILNS1_25lookback_scan_determinismE0ELb1ELb1ES3_N6thrust23THRUST_200600_302600_NS6detail15normal_iteratorINS9_10device_ptrItEEEESE_t11max_functorItEtEEDaPvRmT3_T4_T5_mT6_P12ihipStream_tbENKUlT_T0_E_clISt17integral_constantIbLb1EEST_IbLb0EEEEDaSP_SQ_EUlSP_E_NS1_11comp_targetILNS1_3genE5ELNS1_11target_archE942ELNS1_3gpuE9ELNS1_3repE0EEENS1_30default_config_static_selectorELNS0_4arch9wavefront6targetE1EEEvT1_
		.amdhsa_group_segment_fixed_size 0
		.amdhsa_private_segment_fixed_size 0
		.amdhsa_kernarg_size 96
		.amdhsa_user_sgpr_count 6
		.amdhsa_user_sgpr_private_segment_buffer 1
		.amdhsa_user_sgpr_dispatch_ptr 0
		.amdhsa_user_sgpr_queue_ptr 0
		.amdhsa_user_sgpr_kernarg_segment_ptr 1
		.amdhsa_user_sgpr_dispatch_id 0
		.amdhsa_user_sgpr_flat_scratch_init 0
		.amdhsa_user_sgpr_kernarg_preload_length 0
		.amdhsa_user_sgpr_kernarg_preload_offset 0
		.amdhsa_user_sgpr_private_segment_size 0
		.amdhsa_uses_dynamic_stack 0
		.amdhsa_system_sgpr_private_segment_wavefront_offset 0
		.amdhsa_system_sgpr_workgroup_id_x 1
		.amdhsa_system_sgpr_workgroup_id_y 0
		.amdhsa_system_sgpr_workgroup_id_z 0
		.amdhsa_system_sgpr_workgroup_info 0
		.amdhsa_system_vgpr_workitem_id 0
		.amdhsa_next_free_vgpr 1
		.amdhsa_next_free_sgpr 0
		.amdhsa_accum_offset 4
		.amdhsa_reserve_vcc 0
		.amdhsa_reserve_flat_scratch 0
		.amdhsa_float_round_mode_32 0
		.amdhsa_float_round_mode_16_64 0
		.amdhsa_float_denorm_mode_32 3
		.amdhsa_float_denorm_mode_16_64 3
		.amdhsa_dx10_clamp 1
		.amdhsa_ieee_mode 1
		.amdhsa_fp16_overflow 0
		.amdhsa_tg_split 0
		.amdhsa_exception_fp_ieee_invalid_op 0
		.amdhsa_exception_fp_denorm_src 0
		.amdhsa_exception_fp_ieee_div_zero 0
		.amdhsa_exception_fp_ieee_overflow 0
		.amdhsa_exception_fp_ieee_underflow 0
		.amdhsa_exception_fp_ieee_inexact 0
		.amdhsa_exception_int_div_zero 0
	.end_amdhsa_kernel
	.section	.text._ZN7rocprim17ROCPRIM_400000_NS6detail17trampoline_kernelINS0_14default_configENS1_20scan_config_selectorItEEZZNS1_9scan_implILNS1_25lookback_scan_determinismE0ELb1ELb1ES3_N6thrust23THRUST_200600_302600_NS6detail15normal_iteratorINS9_10device_ptrItEEEESE_t11max_functorItEtEEDaPvRmT3_T4_T5_mT6_P12ihipStream_tbENKUlT_T0_E_clISt17integral_constantIbLb1EEST_IbLb0EEEEDaSP_SQ_EUlSP_E_NS1_11comp_targetILNS1_3genE5ELNS1_11target_archE942ELNS1_3gpuE9ELNS1_3repE0EEENS1_30default_config_static_selectorELNS0_4arch9wavefront6targetE1EEEvT1_,"axG",@progbits,_ZN7rocprim17ROCPRIM_400000_NS6detail17trampoline_kernelINS0_14default_configENS1_20scan_config_selectorItEEZZNS1_9scan_implILNS1_25lookback_scan_determinismE0ELb1ELb1ES3_N6thrust23THRUST_200600_302600_NS6detail15normal_iteratorINS9_10device_ptrItEEEESE_t11max_functorItEtEEDaPvRmT3_T4_T5_mT6_P12ihipStream_tbENKUlT_T0_E_clISt17integral_constantIbLb1EEST_IbLb0EEEEDaSP_SQ_EUlSP_E_NS1_11comp_targetILNS1_3genE5ELNS1_11target_archE942ELNS1_3gpuE9ELNS1_3repE0EEENS1_30default_config_static_selectorELNS0_4arch9wavefront6targetE1EEEvT1_,comdat
.Lfunc_end2523:
	.size	_ZN7rocprim17ROCPRIM_400000_NS6detail17trampoline_kernelINS0_14default_configENS1_20scan_config_selectorItEEZZNS1_9scan_implILNS1_25lookback_scan_determinismE0ELb1ELb1ES3_N6thrust23THRUST_200600_302600_NS6detail15normal_iteratorINS9_10device_ptrItEEEESE_t11max_functorItEtEEDaPvRmT3_T4_T5_mT6_P12ihipStream_tbENKUlT_T0_E_clISt17integral_constantIbLb1EEST_IbLb0EEEEDaSP_SQ_EUlSP_E_NS1_11comp_targetILNS1_3genE5ELNS1_11target_archE942ELNS1_3gpuE9ELNS1_3repE0EEENS1_30default_config_static_selectorELNS0_4arch9wavefront6targetE1EEEvT1_, .Lfunc_end2523-_ZN7rocprim17ROCPRIM_400000_NS6detail17trampoline_kernelINS0_14default_configENS1_20scan_config_selectorItEEZZNS1_9scan_implILNS1_25lookback_scan_determinismE0ELb1ELb1ES3_N6thrust23THRUST_200600_302600_NS6detail15normal_iteratorINS9_10device_ptrItEEEESE_t11max_functorItEtEEDaPvRmT3_T4_T5_mT6_P12ihipStream_tbENKUlT_T0_E_clISt17integral_constantIbLb1EEST_IbLb0EEEEDaSP_SQ_EUlSP_E_NS1_11comp_targetILNS1_3genE5ELNS1_11target_archE942ELNS1_3gpuE9ELNS1_3repE0EEENS1_30default_config_static_selectorELNS0_4arch9wavefront6targetE1EEEvT1_
                                        ; -- End function
	.section	.AMDGPU.csdata,"",@progbits
; Kernel info:
; codeLenInByte = 0
; NumSgprs: 4
; NumVgprs: 0
; NumAgprs: 0
; TotalNumVgprs: 0
; ScratchSize: 0
; MemoryBound: 0
; FloatMode: 240
; IeeeMode: 1
; LDSByteSize: 0 bytes/workgroup (compile time only)
; SGPRBlocks: 0
; VGPRBlocks: 0
; NumSGPRsForWavesPerEU: 4
; NumVGPRsForWavesPerEU: 1
; AccumOffset: 4
; Occupancy: 8
; WaveLimiterHint : 0
; COMPUTE_PGM_RSRC2:SCRATCH_EN: 0
; COMPUTE_PGM_RSRC2:USER_SGPR: 6
; COMPUTE_PGM_RSRC2:TRAP_HANDLER: 0
; COMPUTE_PGM_RSRC2:TGID_X_EN: 1
; COMPUTE_PGM_RSRC2:TGID_Y_EN: 0
; COMPUTE_PGM_RSRC2:TGID_Z_EN: 0
; COMPUTE_PGM_RSRC2:TIDIG_COMP_CNT: 0
; COMPUTE_PGM_RSRC3_GFX90A:ACCUM_OFFSET: 0
; COMPUTE_PGM_RSRC3_GFX90A:TG_SPLIT: 0
	.section	.text._ZN7rocprim17ROCPRIM_400000_NS6detail17trampoline_kernelINS0_14default_configENS1_20scan_config_selectorItEEZZNS1_9scan_implILNS1_25lookback_scan_determinismE0ELb1ELb1ES3_N6thrust23THRUST_200600_302600_NS6detail15normal_iteratorINS9_10device_ptrItEEEESE_t11max_functorItEtEEDaPvRmT3_T4_T5_mT6_P12ihipStream_tbENKUlT_T0_E_clISt17integral_constantIbLb1EEST_IbLb0EEEEDaSP_SQ_EUlSP_E_NS1_11comp_targetILNS1_3genE4ELNS1_11target_archE910ELNS1_3gpuE8ELNS1_3repE0EEENS1_30default_config_static_selectorELNS0_4arch9wavefront6targetE1EEEvT1_,"axG",@progbits,_ZN7rocprim17ROCPRIM_400000_NS6detail17trampoline_kernelINS0_14default_configENS1_20scan_config_selectorItEEZZNS1_9scan_implILNS1_25lookback_scan_determinismE0ELb1ELb1ES3_N6thrust23THRUST_200600_302600_NS6detail15normal_iteratorINS9_10device_ptrItEEEESE_t11max_functorItEtEEDaPvRmT3_T4_T5_mT6_P12ihipStream_tbENKUlT_T0_E_clISt17integral_constantIbLb1EEST_IbLb0EEEEDaSP_SQ_EUlSP_E_NS1_11comp_targetILNS1_3genE4ELNS1_11target_archE910ELNS1_3gpuE8ELNS1_3repE0EEENS1_30default_config_static_selectorELNS0_4arch9wavefront6targetE1EEEvT1_,comdat
	.protected	_ZN7rocprim17ROCPRIM_400000_NS6detail17trampoline_kernelINS0_14default_configENS1_20scan_config_selectorItEEZZNS1_9scan_implILNS1_25lookback_scan_determinismE0ELb1ELb1ES3_N6thrust23THRUST_200600_302600_NS6detail15normal_iteratorINS9_10device_ptrItEEEESE_t11max_functorItEtEEDaPvRmT3_T4_T5_mT6_P12ihipStream_tbENKUlT_T0_E_clISt17integral_constantIbLb1EEST_IbLb0EEEEDaSP_SQ_EUlSP_E_NS1_11comp_targetILNS1_3genE4ELNS1_11target_archE910ELNS1_3gpuE8ELNS1_3repE0EEENS1_30default_config_static_selectorELNS0_4arch9wavefront6targetE1EEEvT1_ ; -- Begin function _ZN7rocprim17ROCPRIM_400000_NS6detail17trampoline_kernelINS0_14default_configENS1_20scan_config_selectorItEEZZNS1_9scan_implILNS1_25lookback_scan_determinismE0ELb1ELb1ES3_N6thrust23THRUST_200600_302600_NS6detail15normal_iteratorINS9_10device_ptrItEEEESE_t11max_functorItEtEEDaPvRmT3_T4_T5_mT6_P12ihipStream_tbENKUlT_T0_E_clISt17integral_constantIbLb1EEST_IbLb0EEEEDaSP_SQ_EUlSP_E_NS1_11comp_targetILNS1_3genE4ELNS1_11target_archE910ELNS1_3gpuE8ELNS1_3repE0EEENS1_30default_config_static_selectorELNS0_4arch9wavefront6targetE1EEEvT1_
	.globl	_ZN7rocprim17ROCPRIM_400000_NS6detail17trampoline_kernelINS0_14default_configENS1_20scan_config_selectorItEEZZNS1_9scan_implILNS1_25lookback_scan_determinismE0ELb1ELb1ES3_N6thrust23THRUST_200600_302600_NS6detail15normal_iteratorINS9_10device_ptrItEEEESE_t11max_functorItEtEEDaPvRmT3_T4_T5_mT6_P12ihipStream_tbENKUlT_T0_E_clISt17integral_constantIbLb1EEST_IbLb0EEEEDaSP_SQ_EUlSP_E_NS1_11comp_targetILNS1_3genE4ELNS1_11target_archE910ELNS1_3gpuE8ELNS1_3repE0EEENS1_30default_config_static_selectorELNS0_4arch9wavefront6targetE1EEEvT1_
	.p2align	8
	.type	_ZN7rocprim17ROCPRIM_400000_NS6detail17trampoline_kernelINS0_14default_configENS1_20scan_config_selectorItEEZZNS1_9scan_implILNS1_25lookback_scan_determinismE0ELb1ELb1ES3_N6thrust23THRUST_200600_302600_NS6detail15normal_iteratorINS9_10device_ptrItEEEESE_t11max_functorItEtEEDaPvRmT3_T4_T5_mT6_P12ihipStream_tbENKUlT_T0_E_clISt17integral_constantIbLb1EEST_IbLb0EEEEDaSP_SQ_EUlSP_E_NS1_11comp_targetILNS1_3genE4ELNS1_11target_archE910ELNS1_3gpuE8ELNS1_3repE0EEENS1_30default_config_static_selectorELNS0_4arch9wavefront6targetE1EEEvT1_,@function
_ZN7rocprim17ROCPRIM_400000_NS6detail17trampoline_kernelINS0_14default_configENS1_20scan_config_selectorItEEZZNS1_9scan_implILNS1_25lookback_scan_determinismE0ELb1ELb1ES3_N6thrust23THRUST_200600_302600_NS6detail15normal_iteratorINS9_10device_ptrItEEEESE_t11max_functorItEtEEDaPvRmT3_T4_T5_mT6_P12ihipStream_tbENKUlT_T0_E_clISt17integral_constantIbLb1EEST_IbLb0EEEEDaSP_SQ_EUlSP_E_NS1_11comp_targetILNS1_3genE4ELNS1_11target_archE910ELNS1_3gpuE8ELNS1_3repE0EEENS1_30default_config_static_selectorELNS0_4arch9wavefront6targetE1EEEvT1_: ; @_ZN7rocprim17ROCPRIM_400000_NS6detail17trampoline_kernelINS0_14default_configENS1_20scan_config_selectorItEEZZNS1_9scan_implILNS1_25lookback_scan_determinismE0ELb1ELb1ES3_N6thrust23THRUST_200600_302600_NS6detail15normal_iteratorINS9_10device_ptrItEEEESE_t11max_functorItEtEEDaPvRmT3_T4_T5_mT6_P12ihipStream_tbENKUlT_T0_E_clISt17integral_constantIbLb1EEST_IbLb0EEEEDaSP_SQ_EUlSP_E_NS1_11comp_targetILNS1_3genE4ELNS1_11target_archE910ELNS1_3gpuE8ELNS1_3repE0EEENS1_30default_config_static_selectorELNS0_4arch9wavefront6targetE1EEEvT1_
; %bb.0:
	s_load_dwordx8 s[12:19], s[4:5], 0x0
	s_load_dword s1, s[4:5], 0x30
	s_mul_i32 s0, s6, 0x600
	v_lshlrev_b32_e32 v20, 1, v0
	s_waitcnt lgkmcnt(0)
	s_lshl_b64 s[20:21], s[14:15], 1
	s_add_u32 s27, s12, s20
	s_addc_u32 s28, s13, s21
	s_add_i32 s2, s1, -1
	s_mul_i32 s3, s2, 0x600
	s_sub_u32 s7, s18, s3
	s_subb_u32 s26, s19, 0
	s_mov_b32 s1, 0
	s_cmp_lg_u32 s6, s2
	s_cselect_b64 s[18:19], -1, 0
	s_lshl_b64 s[22:23], s[0:1], 1
	s_add_u32 s2, s27, s22
	s_addc_u32 s3, s28, s23
	s_mov_b64 s[0:1], -1
	s_and_b64 vcc, exec, s[18:19]
	s_cbranch_vccz .LBB2524_2
; %bb.1:
	v_mov_b32_e32 v1, s3
	v_add_co_u32_e32 v2, vcc, s2, v20
	v_addc_co_u32_e32 v3, vcc, 0, v1, vcc
	flat_load_ushort v1, v[2:3]
	flat_load_ushort v4, v[2:3] offset:128
	flat_load_ushort v5, v[2:3] offset:256
	;; [unrolled: 1-line block ×23, first 2 shown]
	s_mov_b64 s[0:1], 0
	s_waitcnt vmcnt(0) lgkmcnt(0)
	ds_write_b16 v20, v1
	ds_write_b16 v20, v4 offset:128
	ds_write_b16 v20, v5 offset:256
	;; [unrolled: 1-line block ×23, first 2 shown]
	s_waitcnt lgkmcnt(0)
	; wave barrier
.LBB2524_2:
	s_load_dwordx2 s[24:25], s[4:5], 0x28
	s_andn2_b64 vcc, exec, s[0:1]
	v_cmp_gt_u32_e64 s[0:1], s7, v0
	s_cbranch_vccnz .LBB2524_52
; %bb.3:
	v_pk_mov_b32 v[2:3], s[2:3], s[2:3] op_sel:[0,1]
	flat_load_ushort v1, v[2:3]
	s_waitcnt vmcnt(0) lgkmcnt(0)
	v_mov_b32_e32 v2, v1
	s_and_saveexec_b64 s[8:9], s[0:1]
	s_cbranch_execz .LBB2524_5
; %bb.4:
	v_mov_b32_e32 v3, s3
	v_add_co_u32_e32 v2, vcc, s2, v20
	v_addc_co_u32_e32 v3, vcc, 0, v3, vcc
	flat_load_ushort v2, v[2:3]
.LBB2524_5:
	s_or_b64 exec, exec, s[8:9]
	v_or_b32_e32 v3, 64, v0
	v_cmp_gt_u32_e32 vcc, s7, v3
	v_mov_b32_e32 v3, v1
	s_and_saveexec_b64 s[0:1], vcc
	s_cbranch_execz .LBB2524_7
; %bb.6:
	v_mov_b32_e32 v3, s3
	v_add_co_u32_e32 v4, vcc, s2, v20
	v_addc_co_u32_e32 v5, vcc, 0, v3, vcc
	flat_load_ushort v3, v[4:5] offset:128
.LBB2524_7:
	s_or_b64 exec, exec, s[0:1]
	v_or_b32_e32 v4, 0x80, v0
	v_cmp_gt_u32_e32 vcc, s7, v4
	v_mov_b32_e32 v4, v1
	s_and_saveexec_b64 s[0:1], vcc
	s_cbranch_execz .LBB2524_9
; %bb.8:
	v_mov_b32_e32 v5, s3
	v_add_co_u32_e32 v4, vcc, s2, v20
	v_addc_co_u32_e32 v5, vcc, 0, v5, vcc
	flat_load_ushort v4, v[4:5] offset:256
.LBB2524_9:
	;; [unrolled: 12-line block ×22, first 2 shown]
	s_or_b64 exec, exec, s[0:1]
	v_or_b32_e32 v26, 0x5c0, v0
	v_cmp_gt_u32_e32 vcc, s7, v26
	s_and_saveexec_b64 s[0:1], vcc
	s_cbranch_execz .LBB2524_51
; %bb.50:
	v_mov_b32_e32 v1, s3
	v_add_co_u32_e32 v26, vcc, s2, v20
	v_addc_co_u32_e32 v27, vcc, 0, v1, vcc
	flat_load_ushort v1, v[26:27] offset:2944
.LBB2524_51:
	s_or_b64 exec, exec, s[0:1]
	s_waitcnt vmcnt(0) lgkmcnt(0)
	ds_write_b16 v20, v2
	ds_write_b16 v20, v3 offset:128
	ds_write_b16 v20, v4 offset:256
	;; [unrolled: 1-line block ×23, first 2 shown]
	s_waitcnt lgkmcnt(0)
	; wave barrier
.LBB2524_52:
	v_mul_u32_u24_e32 v21, 24, v0
	v_lshlrev_b32_e32 v22, 1, v21
	s_waitcnt lgkmcnt(0)
	ds_read_b128 v[10:13], v22
	ds_read_b128 v[6:9], v22 offset:16
	ds_read_b128 v[2:5], v22 offset:32
	s_cmp_lg_u32 s6, 0
	v_mbcnt_lo_u32_b32 v33, -1, 0
	s_waitcnt lgkmcnt(2)
	v_lshrrev_b32_e32 v31, 16, v11
	v_max_u16_sdwa v14, v10, v10 dst_sel:DWORD dst_unused:UNUSED_PAD src0_sel:DWORD src1_sel:WORD_1
	v_lshrrev_b32_e32 v30, 16, v12
	v_lshrrev_b32_e32 v29, 16, v13
	s_waitcnt lgkmcnt(1)
	v_lshrrev_b32_e32 v28, 16, v6
	v_lshrrev_b32_e32 v27, 16, v7
	;; [unrolled: 1-line block ×4, first 2 shown]
	s_waitcnt lgkmcnt(0)
	v_lshrrev_b32_e32 v24, 16, v2
	v_lshrrev_b32_e32 v23, 16, v3
	;; [unrolled: 1-line block ×4, first 2 shown]
	v_max3_u16 v34, v14, v11, v31
	v_cmp_eq_u32_e32 vcc, 63, v0
	s_waitcnt lgkmcnt(0)
	; wave barrier
	s_cbranch_scc0 .LBB2524_79
; %bb.53:
	v_max3_u16 v14, v34, v12, v30
	v_max3_u16 v14, v14, v13, v29
	;; [unrolled: 1-line block ×10, first 2 shown]
	v_mbcnt_hi_u32_b32 v15, -1, v33
	v_and_b32_e32 v17, 0xffff, v14
	v_and_b32_e32 v16, 15, v15
	v_cmp_eq_u32_e64 s[0:1], 0, v16
	v_mov_b32_dpp v17, v17 row_shr:1 row_mask:0xf bank_mask:0xf
	v_max_u16_e32 v17, v17, v14
	v_cndmask_b32_e64 v14, v17, v14, s[0:1]
	v_and_b32_e32 v17, 0xffff, v14
	v_cmp_lt_u32_e64 s[0:1], 1, v16
	s_nop 0
	v_mov_b32_dpp v17, v17 row_shr:2 row_mask:0xf bank_mask:0xf
	v_max_u16_e32 v17, v17, v14
	v_cndmask_b32_e64 v14, v14, v17, s[0:1]
	v_and_b32_e32 v17, 0xffff, v14
	v_cmp_lt_u32_e64 s[0:1], 3, v16
	s_nop 0
	;; [unrolled: 6-line block ×3, first 2 shown]
	v_mov_b32_dpp v17, v17 row_shr:8 row_mask:0xf bank_mask:0xf
	v_max_u16_e32 v17, v17, v14
	v_cndmask_b32_e64 v14, v14, v17, s[0:1]
	v_and_b32_e32 v16, 0xffff, v14
	v_and_b32_e32 v17, 16, v15
	v_cmp_eq_u32_e64 s[0:1], 0, v17
	v_mov_b32_dpp v16, v16 row_bcast:15 row_mask:0xf bank_mask:0xf
	v_max_u16_e32 v16, v16, v14
	v_cndmask_b32_e64 v14, v16, v14, s[0:1]
	v_and_b32_e32 v16, 0xffff, v14
	v_cmp_lt_u32_e64 s[0:1], 31, v15
	s_nop 0
	v_mov_b32_dpp v16, v16 row_bcast:31 row_mask:0xf bank_mask:0xf
	v_max_u16_e32 v16, v16, v14
	v_cndmask_b32_e64 v14, v14, v16, s[0:1]
	s_and_saveexec_b64 s[0:1], vcc
	s_cbranch_execz .LBB2524_55
; %bb.54:
	v_mov_b32_e32 v16, 0
	ds_write_b16 v16, v14
.LBB2524_55:
	s_or_b64 exec, exec, s[0:1]
	v_add_u32_e32 v16, -1, v15
	v_and_b32_e32 v17, 64, v15
	v_cmp_lt_i32_e32 vcc, v16, v17
	v_cndmask_b32_e32 v16, v16, v15, vcc
	v_and_b32_e32 v14, 0xffff, v14
	v_lshlrev_b32_e32 v16, 2, v16
	ds_bpermute_b32 v35, v16, v14
	v_cmp_gt_u32_e32 vcc, 64, v0
	s_waitcnt lgkmcnt(0)
	; wave barrier
	s_waitcnt lgkmcnt(0)
	s_and_saveexec_b64 s[14:15], vcc
	s_cbranch_execz .LBB2524_78
; %bb.56:
	v_mov_b32_e32 v19, 0
	ds_read_u16 v36, v19
	s_mov_b32 s9, 0
	v_cmp_eq_u32_e64 s[0:1], 0, v15
	s_and_saveexec_b64 s[2:3], s[0:1]
	s_cbranch_execz .LBB2524_58
; %bb.57:
	s_add_i32 s8, s6, 64
	s_lshl_b64 s[8:9], s[8:9], 2
	s_add_u32 s8, s24, s8
	s_waitcnt lgkmcnt(0)
	v_or_b32_e32 v14, 0x10000, v36
	s_addc_u32 s9, s25, s9
	global_store_dword v19, v14, s[8:9]
.LBB2524_58:
	s_or_b64 exec, exec, s[2:3]
	v_xad_u32 v14, v15, -1, s6
	v_add_u32_e32 v18, 64, v14
	v_lshlrev_b64 v[16:17], 2, v[18:19]
	v_mov_b32_e32 v18, s25
	v_add_co_u32_e32 v16, vcc, s24, v16
	v_addc_co_u32_e32 v17, vcc, v18, v17, vcc
	global_load_dword v18, v[16:17], off glc
	s_waitcnt vmcnt(0)
	v_lshrrev_b32_e32 v40, 16, v18
	v_cmp_eq_u16_sdwa s[8:9], v40, v19 src0_sel:BYTE_0 src1_sel:DWORD
	s_and_saveexec_b64 s[2:3], s[8:9]
	s_cbranch_execz .LBB2524_64
; %bb.59:
	s_mov_b32 s10, 1
	s_mov_b64 s[8:9], 0
	v_mov_b32_e32 v19, 0
.LBB2524_60:                            ; =>This Loop Header: Depth=1
                                        ;     Child Loop BB2524_61 Depth 2
	s_max_u32 s11, s10, 1
.LBB2524_61:                            ;   Parent Loop BB2524_60 Depth=1
                                        ; =>  This Inner Loop Header: Depth=2
	s_add_i32 s11, s11, -1
	s_cmp_eq_u32 s11, 0
	s_sleep 1
	s_cbranch_scc0 .LBB2524_61
; %bb.62:                               ;   in Loop: Header=BB2524_60 Depth=1
	global_load_dword v18, v[16:17], off glc
	s_cmp_lt_u32 s10, 32
	s_cselect_b64 s[12:13], -1, 0
	s_cmp_lg_u64 s[12:13], 0
	s_addc_u32 s10, s10, 0
	s_waitcnt vmcnt(0)
	v_lshrrev_b32_e32 v40, 16, v18
	v_cmp_ne_u16_sdwa s[12:13], v40, v19 src0_sel:BYTE_0 src1_sel:DWORD
	s_or_b64 s[8:9], s[12:13], s[8:9]
	s_andn2_b64 exec, exec, s[8:9]
	s_cbranch_execnz .LBB2524_60
; %bb.63:
	s_or_b64 exec, exec, s[8:9]
.LBB2524_64:
	s_or_b64 exec, exec, s[2:3]
	v_and_b32_e32 v38, 63, v15
	v_cmp_ne_u32_e32 vcc, 63, v38
	v_mov_b32_e32 v37, 2
	v_addc_co_u32_e32 v39, vcc, 0, v15, vcc
	v_cmp_eq_u16_sdwa s[2:3], v40, v37 src0_sel:BYTE_0 src1_sel:DWORD
	v_lshlrev_b64 v[16:17], v15, -1
	v_and_b32_e32 v42, 0xffff, v18
	v_lshlrev_b32_e32 v39, 2, v39
	v_and_b32_e32 v19, s3, v17
	ds_bpermute_b32 v43, v39, v42
	v_or_b32_e32 v19, 0x80000000, v19
	v_and_b32_e32 v41, s2, v16
	v_ffbl_b32_e32 v19, v19
	v_add_u32_e32 v19, 32, v19
	v_ffbl_b32_e32 v41, v41
	v_cmp_gt_u32_e64 s[2:3], 62, v38
	v_min_u32_e32 v19, v41, v19
	v_cndmask_b32_e64 v41, 0, 1, s[2:3]
	s_waitcnt lgkmcnt(0)
	v_max_u16_e32 v43, v43, v18
	v_cmp_lt_u32_e32 vcc, v38, v19
	v_lshlrev_b32_e32 v41, 1, v41
	v_cndmask_b32_e32 v44, v42, v43, vcc
	v_add_lshl_u32 v41, v41, v15, 2
	ds_bpermute_b32 v45, v41, v44
	v_cmp_gt_u32_e64 s[8:9], 60, v38
	v_cndmask_b32_e32 v46, v18, v43, vcc
	v_add_u32_e32 v42, 2, v38
	v_cndmask_b32_e64 v43, 0, 1, s[8:9]
	s_waitcnt lgkmcnt(0)
	v_max_u16_e32 v45, v45, v46
	v_cmp_gt_u32_e64 s[2:3], v42, v19
	v_lshlrev_b32_e32 v43, 2, v43
	v_cndmask_b32_e64 v47, v45, v44, s[2:3]
	v_add_lshl_u32 v43, v43, v15, 2
	ds_bpermute_b32 v48, v43, v47
	v_cmp_gt_u32_e64 s[8:9], 56, v38
	v_cndmask_b32_e64 v49, v45, v46, s[2:3]
	v_add_u32_e32 v44, 4, v38
	v_cndmask_b32_e64 v45, 0, 1, s[8:9]
	s_waitcnt lgkmcnt(0)
	v_max_u16_e32 v52, v48, v49
	v_cmp_gt_u32_e64 s[2:3], v44, v19
	v_lshlrev_b32_e32 v45, 3, v45
	v_cndmask_b32_e64 v47, v52, v47, s[2:3]
	v_add_lshl_u32 v45, v45, v15, 2
	ds_bpermute_b32 v48, v45, v47
	v_cndmask_b32_e64 v50, v52, v49, s[2:3]
	v_add_u32_e32 v46, 8, v38
	v_cmp_gt_u32_e64 s[8:9], v46, v19
	v_cmp_gt_u32_e64 s[10:11], 48, v38
	s_waitcnt lgkmcnt(0)
	v_max_u16_e32 v53, v48, v50
	v_cndmask_b32_e64 v51, v53, v47, s[8:9]
	v_cndmask_b32_e64 v47, 0, 1, s[10:11]
	v_lshlrev_b32_e32 v47, 4, v47
	v_add_lshl_u32 v47, v47, v15, 2
	ds_bpermute_b32 v54, v47, v51
	v_cmp_gt_u32_e64 s[12:13], 32, v38
	v_cndmask_b32_e64 v55, v53, v50, s[8:9]
	v_add_u32_e32 v48, 16, v38
	v_cndmask_b32_e64 v50, 0, 1, s[12:13]
	s_waitcnt lgkmcnt(0)
	v_max_u16_e32 v54, v54, v55
	v_cmp_gt_u32_e64 s[10:11], v48, v19
	v_lshlrev_b32_e32 v50, 5, v50
	v_cndmask_b32_e64 v51, v54, v51, s[10:11]
	v_add_lshl_u32 v50, v50, v15, 2
	ds_bpermute_b32 v15, v50, v51
	v_cndmask_b32_e32 v18, v18, v49, vcc
	v_cndmask_b32_e64 v18, v52, v18, s[2:3]
	v_add_u32_e32 v51, 32, v38
	v_cndmask_b32_e64 v55, v54, v55, s[10:11]
	v_cndmask_b32_e64 v18, v53, v18, s[8:9]
	s_waitcnt lgkmcnt(0)
	v_max_u16_e32 v15, v15, v55
	v_cndmask_b32_e64 v18, v54, v18, s[10:11]
	v_cmp_gt_u32_e32 vcc, v51, v19
	v_cndmask_b32_e32 v18, v15, v18, vcc
	v_mov_b32_e32 v15, 0
	s_branch .LBB2524_66
.LBB2524_65:                            ;   in Loop: Header=BB2524_66 Depth=1
	s_or_b64 exec, exec, s[2:3]
	v_cmp_eq_u16_sdwa s[2:3], v40, v37 src0_sel:BYTE_0 src1_sel:DWORD
	v_and_b32_e32 v53, 0xffff, v52
	v_and_b32_e32 v18, s3, v17
	ds_bpermute_b32 v54, v39, v53
	v_or_b32_e32 v18, 0x80000000, v18
	v_and_b32_e32 v19, s2, v16
	v_ffbl_b32_e32 v18, v18
	v_add_u32_e32 v18, 32, v18
	v_ffbl_b32_e32 v19, v19
	v_min_u32_e32 v18, v19, v18
	s_waitcnt lgkmcnt(0)
	v_max_u16_e32 v19, v54, v52
	v_cmp_lt_u32_e32 vcc, v38, v18
	v_cndmask_b32_e32 v53, v53, v19, vcc
	ds_bpermute_b32 v54, v41, v53
	v_cndmask_b32_e32 v19, v52, v19, vcc
	v_cmp_gt_u32_e64 s[2:3], v42, v18
	v_cmp_gt_u32_e64 s[8:9], v46, v18
	v_subrev_u32_e32 v14, 64, v14
	s_waitcnt lgkmcnt(0)
	v_max_u16_e32 v54, v54, v19
	v_cndmask_b32_e64 v53, v54, v53, s[2:3]
	ds_bpermute_b32 v55, v43, v53
	v_cndmask_b32_e64 v19, v54, v19, s[2:3]
	v_cmp_gt_u32_e64 s[2:3], v44, v18
	s_waitcnt lgkmcnt(0)
	v_max_u16_e32 v54, v55, v19
	v_cndmask_b32_e64 v53, v54, v53, s[2:3]
	ds_bpermute_b32 v55, v45, v53
	v_cndmask_b32_e64 v56, v54, v19, s[2:3]
	v_cndmask_b32_e32 v19, v52, v19, vcc
	v_cmp_gt_u32_e32 vcc, v48, v18
	v_cndmask_b32_e64 v19, v54, v19, s[2:3]
	s_waitcnt lgkmcnt(0)
	v_max_u16_e32 v55, v55, v56
	v_cndmask_b32_e64 v53, v55, v53, s[8:9]
	ds_bpermute_b32 v57, v47, v53
	v_cndmask_b32_e64 v52, v55, v56, s[8:9]
	v_cndmask_b32_e64 v19, v55, v19, s[8:9]
	s_waitcnt lgkmcnt(0)
	v_max_u16_e32 v56, v57, v52
	v_cndmask_b32_e32 v53, v56, v53, vcc
	ds_bpermute_b32 v53, v50, v53
	v_cndmask_b32_e32 v52, v56, v52, vcc
	v_cndmask_b32_e32 v19, v56, v19, vcc
	v_cmp_gt_u32_e32 vcc, v51, v18
	s_waitcnt lgkmcnt(0)
	v_max_u16_e32 v52, v53, v52
	v_cndmask_b32_e32 v18, v52, v19, vcc
	v_max_u16_e32 v18, v18, v49
.LBB2524_66:                            ; =>This Loop Header: Depth=1
                                        ;     Child Loop BB2524_69 Depth 2
                                        ;       Child Loop BB2524_70 Depth 3
	v_cmp_ne_u16_sdwa s[2:3], v40, v37 src0_sel:BYTE_0 src1_sel:DWORD
	v_cndmask_b32_e64 v19, 0, 1, s[2:3]
	;;#ASMSTART
	;;#ASMEND
	v_cmp_ne_u32_e32 vcc, 0, v19
	s_cmp_lg_u64 vcc, exec
	v_mov_b32_e32 v49, v18
	s_cbranch_scc1 .LBB2524_73
; %bb.67:                               ;   in Loop: Header=BB2524_66 Depth=1
	v_lshlrev_b64 v[18:19], 2, v[14:15]
	v_mov_b32_e32 v40, s25
	v_add_co_u32_e32 v18, vcc, s24, v18
	v_addc_co_u32_e32 v19, vcc, v40, v19, vcc
	global_load_dword v52, v[18:19], off glc
	s_waitcnt vmcnt(0)
	v_lshrrev_b32_e32 v40, 16, v52
	v_cmp_eq_u16_sdwa s[8:9], v40, v15 src0_sel:BYTE_0 src1_sel:DWORD
	s_and_saveexec_b64 s[2:3], s[8:9]
	s_cbranch_execz .LBB2524_65
; %bb.68:                               ;   in Loop: Header=BB2524_66 Depth=1
	s_mov_b32 s10, 1
	s_mov_b64 s[8:9], 0
.LBB2524_69:                            ;   Parent Loop BB2524_66 Depth=1
                                        ; =>  This Loop Header: Depth=2
                                        ;       Child Loop BB2524_70 Depth 3
	s_max_u32 s11, s10, 1
.LBB2524_70:                            ;   Parent Loop BB2524_66 Depth=1
                                        ;     Parent Loop BB2524_69 Depth=2
                                        ; =>    This Inner Loop Header: Depth=3
	s_add_i32 s11, s11, -1
	s_cmp_eq_u32 s11, 0
	s_sleep 1
	s_cbranch_scc0 .LBB2524_70
; %bb.71:                               ;   in Loop: Header=BB2524_69 Depth=2
	global_load_dword v52, v[18:19], off glc
	s_cmp_lt_u32 s10, 32
	s_cselect_b64 s[12:13], -1, 0
	s_cmp_lg_u64 s[12:13], 0
	s_addc_u32 s10, s10, 0
	s_waitcnt vmcnt(0)
	v_lshrrev_b32_e32 v40, 16, v52
	v_cmp_ne_u16_sdwa s[12:13], v40, v15 src0_sel:BYTE_0 src1_sel:DWORD
	s_or_b64 s[8:9], s[12:13], s[8:9]
	s_andn2_b64 exec, exec, s[8:9]
	s_cbranch_execnz .LBB2524_69
; %bb.72:                               ;   in Loop: Header=BB2524_66 Depth=1
	s_or_b64 exec, exec, s[8:9]
	s_branch .LBB2524_65
.LBB2524_73:                            ;   in Loop: Header=BB2524_66 Depth=1
                                        ; implicit-def: $vgpr18
                                        ; implicit-def: $vgpr40
	s_cbranch_execz .LBB2524_66
; %bb.74:
	s_and_saveexec_b64 s[2:3], s[0:1]
	s_cbranch_execz .LBB2524_76
; %bb.75:
	s_add_i32 s0, s6, 64
	s_mov_b32 s1, 0
	s_lshl_b64 s[0:1], s[0:1], 2
	v_max_u16_e32 v14, v49, v36
	s_add_u32 s0, s24, s0
	v_or_b32_e32 v14, 0x20000, v14
	s_addc_u32 s1, s25, s1
	v_mov_b32_e32 v15, 0
	global_store_dword v15, v14, s[0:1]
.LBB2524_76:
	s_or_b64 exec, exec, s[2:3]
	v_cmp_eq_u32_e32 vcc, 0, v0
	s_and_b64 exec, exec, vcc
	s_cbranch_execz .LBB2524_78
; %bb.77:
	v_mov_b32_e32 v14, 0
	ds_write_b16 v14, v49
.LBB2524_78:
	s_or_b64 exec, exec, s[14:15]
	v_mov_b32_e32 v14, 0
	s_waitcnt lgkmcnt(0)
	; wave barrier
	s_waitcnt lgkmcnt(0)
	ds_read_u16 v14, v14
	v_cmp_eq_u32_e32 vcc, 0, v0
	s_waitcnt lgkmcnt(0)
	v_max_u16_e32 v15, v14, v35
	v_cndmask_b32_e32 v15, v15, v14, vcc
	v_max_u16_e32 v14, v15, v10
	v_max_u16_sdwa v16, v14, v10 dst_sel:DWORD dst_unused:UNUSED_PAD src0_sel:DWORD src1_sel:WORD_1
	v_max_u16_e32 v17, v16, v11
	v_max_u16_e32 v18, v17, v31
	;; [unrolled: 1-line block ×21, first 2 shown]
	s_load_dwordx8 s[8:15], s[4:5], 0x38
	s_branch .LBB2524_87
.LBB2524_79:
                                        ; implicit-def: $vgpr15
                                        ; implicit-def: $vgpr14
                                        ; implicit-def: $vgpr16
                                        ; implicit-def: $vgpr17
                                        ; implicit-def: $vgpr18
                                        ; implicit-def: $vgpr35
                                        ; implicit-def: $vgpr37
                                        ; implicit-def: $vgpr39
                                        ; implicit-def: $vgpr19
                                        ; implicit-def: $vgpr36
                                        ; implicit-def: $vgpr38
                                        ; implicit-def: $vgpr40
                                        ; implicit-def: $vgpr41
                                        ; implicit-def: $vgpr43
                                        ; implicit-def: $vgpr45
                                        ; implicit-def: $vgpr47
                                        ; implicit-def: $vgpr42
                                        ; implicit-def: $vgpr44
                                        ; implicit-def: $vgpr46
                                        ; implicit-def: $vgpr48
                                        ; implicit-def: $vgpr49
                                        ; implicit-def: $vgpr50
                                        ; implicit-def: $vgpr51
                                        ; implicit-def: $vgpr52
	s_load_dwordx8 s[8:15], s[4:5], 0x38
	s_cbranch_execz .LBB2524_87
; %bb.80:
	s_load_dword s0, s[4:5], 0x20
	s_waitcnt lgkmcnt(0)
	s_cmp_eq_u64 s[12:13], 0
	v_mov_b32_e32 v52, s0
	s_cbranch_scc1 .LBB2524_82
; %bb.81:
	v_mov_b32_e32 v14, 0
	global_load_ushort v16, v14, s[8:9]
	v_mov_b32_e32 v15, s28
	v_add_co_u32_e64 v14, vcc, -2, s27
	v_addc_co_u32_e32 v15, vcc, -1, v15, vcc
	flat_load_ushort v14, v[14:15]
	s_waitcnt vmcnt(0) lgkmcnt(0)
	v_max_u16_e32 v52, v16, v14
.LBB2524_82:
	v_max3_u16 v14, v34, v12, v30
	v_max3_u16 v14, v14, v13, v29
	;; [unrolled: 1-line block ×10, first 2 shown]
	v_mbcnt_hi_u32_b32 v14, -1, v33
	v_and_b32_e32 v17, 0xffff, v15
	v_and_b32_e32 v16, 15, v14
	v_cmp_eq_u32_e32 vcc, 0, v16
	v_mov_b32_dpp v17, v17 row_shr:1 row_mask:0xf bank_mask:0xf
	v_max_u16_e32 v17, v17, v15
	v_cndmask_b32_e32 v15, v17, v15, vcc
	v_and_b32_e32 v17, 0xffff, v15
	v_cmp_lt_u32_e32 vcc, 1, v16
	s_nop 0
	v_mov_b32_dpp v17, v17 row_shr:2 row_mask:0xf bank_mask:0xf
	v_max_u16_e32 v17, v17, v15
	v_cndmask_b32_e32 v15, v15, v17, vcc
	v_and_b32_e32 v17, 0xffff, v15
	v_cmp_lt_u32_e32 vcc, 3, v16
	s_nop 0
	;; [unrolled: 6-line block ×3, first 2 shown]
	v_mov_b32_dpp v17, v17 row_shr:8 row_mask:0xf bank_mask:0xf
	v_max_u16_e32 v17, v17, v15
	v_cndmask_b32_e32 v15, v15, v17, vcc
	v_and_b32_e32 v16, 0xffff, v15
	v_and_b32_e32 v17, 16, v14
	v_cmp_eq_u32_e32 vcc, 0, v17
	v_mov_b32_dpp v16, v16 row_bcast:15 row_mask:0xf bank_mask:0xf
	v_max_u16_e32 v16, v16, v15
	v_cndmask_b32_e32 v15, v16, v15, vcc
	v_and_b32_e32 v16, 0xffff, v15
	v_cmp_lt_u32_e32 vcc, 31, v14
	s_nop 0
	v_mov_b32_dpp v16, v16 row_bcast:31 row_mask:0xf bank_mask:0xf
	v_max_u16_e32 v16, v16, v15
	v_cndmask_b32_e32 v15, v15, v16, vcc
	v_cmp_eq_u32_e32 vcc, 63, v0
	s_and_saveexec_b64 s[0:1], vcc
	s_cbranch_execz .LBB2524_84
; %bb.83:
	v_mov_b32_e32 v16, 0
	ds_write_b16 v16, v15
.LBB2524_84:
	s_or_b64 exec, exec, s[0:1]
	v_add_u32_e32 v16, -1, v14
	v_and_b32_e32 v17, 64, v14
	v_cmp_lt_i32_e32 vcc, v16, v17
	v_cndmask_b32_e32 v16, v16, v14, vcc
	v_max_u16_e32 v15, v52, v15
	v_lshlrev_b32_e32 v16, 2, v16
	ds_bpermute_b32 v15, v16, v15
	v_cmp_eq_u32_e32 vcc, 0, v14
	v_cmp_eq_u32_e64 s[0:1], 0, v0
	s_or_b64 vcc, s[0:1], vcc
	s_waitcnt lgkmcnt(0)
	v_cndmask_b32_e32 v15, v15, v52, vcc
	v_max_u16_e32 v14, v15, v10
	v_max_u16_sdwa v16, v14, v10 dst_sel:DWORD dst_unused:UNUSED_PAD src0_sel:DWORD src1_sel:WORD_1
	v_max_u16_e32 v17, v16, v11
	v_max_u16_e32 v18, v17, v31
	;; [unrolled: 1-line block ×20, first 2 shown]
	; wave barrier
	s_and_saveexec_b64 s[2:3], s[0:1]
	s_cbranch_execz .LBB2524_86
; %bb.85:
	v_mov_b32_e32 v1, 0
	ds_read_u16 v2, v1
	v_mov_b32_e32 v15, v52
	s_waitcnt lgkmcnt(0)
	v_max_u16_e32 v2, v52, v2
	v_or_b32_e32 v2, 0x20000, v2
	global_store_dword v1, v2, s[24:25] offset:256
.LBB2524_86:
	s_or_b64 exec, exec, s[2:3]
	v_max_u16_e32 v52, v51, v5
.LBB2524_87:
	s_add_u32 s0, s16, s20
	s_addc_u32 s1, s17, s21
	s_add_u32 s2, s0, s22
	s_addc_u32 s3, s1, s23
	s_mov_b64 s[0:1], -1
	s_and_b64 vcc, exec, s[18:19]
	s_waitcnt lgkmcnt(0)
	; wave barrier
	s_waitcnt lgkmcnt(0)
	s_cbranch_vccz .LBB2524_89
; %bb.88:
	s_mov_b32 s0, 0x5040100
	v_perm_b32 v5, v39, v37, s0
	v_perm_b32 v4, v35, v18, s0
	;; [unrolled: 1-line block ×4, first 2 shown]
	ds_write_b128 v22, v[2:5]
	v_perm_b32 v5, v47, v45, s0
	v_perm_b32 v4, v43, v41, s0
	;; [unrolled: 1-line block ×4, first 2 shown]
	ds_write_b128 v22, v[2:5] offset:16
	v_perm_b32 v5, v52, v51, s0
	v_perm_b32 v4, v50, v49, s0
	v_perm_b32 v3, v48, v46, s0
	v_perm_b32 v2, v44, v42, s0
	ds_write_b128 v22, v[2:5] offset:32
	s_waitcnt lgkmcnt(0)
	; wave barrier
	s_waitcnt lgkmcnt(0)
	ds_read_u16 v1, v20
	ds_read_u16 v4, v20 offset:128
	ds_read_u16 v5, v20 offset:256
	;; [unrolled: 1-line block ×23, first 2 shown]
	v_mov_b32_e32 v3, s3
	v_add_co_u32_e32 v2, vcc, s2, v20
	v_addc_co_u32_e32 v3, vcc, 0, v3, vcc
	s_waitcnt lgkmcnt(14)
	flat_store_short v[2:3], v1
	flat_store_short v[2:3], v4 offset:128
	flat_store_short v[2:3], v5 offset:256
	;; [unrolled: 1-line block ×9, first 2 shown]
	s_waitcnt lgkmcnt(0)
	flat_store_short v[2:3], v13 offset:1280
	flat_store_short v[2:3], v23 offset:1408
	;; [unrolled: 1-line block ×14, first 2 shown]
	s_mov_b64 s[0:1], 0
.LBB2524_89:
	s_andn2_b64 vcc, exec, s[0:1]
	s_cbranch_vccnz .LBB2524_146
; %bb.90:
	s_mov_b32 s0, 0x5040100
	v_perm_b32 v5, v39, v37, s0
	v_perm_b32 v4, v35, v18, s0
	;; [unrolled: 1-line block ×4, first 2 shown]
	ds_write_b128 v22, v[2:5]
	v_perm_b32 v5, v47, v45, s0
	v_perm_b32 v4, v43, v41, s0
	;; [unrolled: 1-line block ×4, first 2 shown]
	ds_write_b128 v22, v[2:5] offset:16
	v_perm_b32 v5, v52, v51, s0
	v_perm_b32 v4, v50, v49, s0
	;; [unrolled: 1-line block ×4, first 2 shown]
	s_movk_i32 s0, 0xffd2
	ds_write_b128 v22, v[2:5] offset:32
	v_mad_i32_i24 v2, v0, s0, v22
	s_waitcnt lgkmcnt(0)
	; wave barrier
	s_waitcnt lgkmcnt(0)
	ds_read_u16 v5, v2
	ds_read_u16 v4, v2 offset:128
	ds_read_u16 v7, v2 offset:256
	;; [unrolled: 1-line block ×23, first 2 shown]
	v_mov_b32_e32 v3, s3
	v_add_co_u32_e32 v2, vcc, s2, v20
	v_addc_co_u32_e32 v3, vcc, 0, v3, vcc
	v_mov_b32_e32 v1, 0
	v_cmp_gt_u32_e32 vcc, s7, v0
	s_and_saveexec_b64 s[0:1], vcc
	s_cbranch_execz .LBB2524_92
; %bb.91:
	s_waitcnt lgkmcnt(0)
	flat_store_short v[2:3], v5
.LBB2524_92:
	s_or_b64 exec, exec, s[0:1]
	v_or_b32_e32 v20, 64, v0
	v_cmp_gt_u32_e32 vcc, s7, v20
	s_and_saveexec_b64 s[0:1], vcc
	s_cbranch_execz .LBB2524_94
; %bb.93:
	s_waitcnt lgkmcnt(0)
	flat_store_short v[2:3], v4 offset:128
.LBB2524_94:
	s_or_b64 exec, exec, s[0:1]
	v_or_b32_e32 v20, 0x80, v0
	v_cmp_gt_u32_e32 vcc, s7, v20
	s_and_saveexec_b64 s[0:1], vcc
	s_cbranch_execz .LBB2524_96
; %bb.95:
	s_waitcnt lgkmcnt(0)
	flat_store_short v[2:3], v7 offset:256
.LBB2524_96:
	;; [unrolled: 9-line block ×23, first 2 shown]
	s_or_b64 exec, exec, s[0:1]
	v_cmp_lt_u64_e64 s[0:1], s[14:15], 2
	s_and_b64 vcc, exec, s[0:1]
	s_cbranch_vccnz .LBB2524_146
; %bb.139:
	s_add_u32 s0, s7, -1
	s_addc_u32 s1, s26, -1
	s_add_u32 s2, 0, 0xaaaa0000
	s_addc_u32 s3, 0, 42
	s_add_i32 s3, s3, 0xaaaaa80
	s_mul_hi_u32 s7, s2, 0xffffffe8
	s_sub_i32 s7, s7, s2
	s_mul_i32 s8, s3, 0xffffffe8
	s_mul_i32 s4, s2, 0xffffffe8
	s_add_i32 s7, s7, s8
	s_mul_hi_u32 s5, s3, s4
	s_mul_i32 s6, s3, s4
	s_mul_i32 s9, s2, s7
	s_mul_hi_u32 s4, s2, s4
	s_mul_hi_u32 s8, s2, s7
	s_add_u32 s4, s4, s9
	s_addc_u32 s8, 0, s8
	s_add_u32 s4, s4, s6
	s_mul_hi_u32 s9, s3, s7
	s_addc_u32 s4, s8, s5
	s_addc_u32 s5, s9, 0
	s_mul_i32 s6, s3, s7
	s_add_u32 s4, s4, s6
	v_mov_b32_e32 v2, s4
	s_addc_u32 s5, 0, s5
	v_add_co_u32_e32 v2, vcc, s2, v2
	s_cmp_lg_u64 vcc, 0
	s_addc_u32 s2, s3, s5
	v_readfirstlane_b32 s5, v2
	s_mul_i32 s4, s0, s2
	s_mul_hi_u32 s6, s0, s5
	s_mul_hi_u32 s3, s0, s2
	s_add_u32 s4, s6, s4
	s_addc_u32 s3, 0, s3
	s_mul_hi_u32 s7, s1, s5
	s_mul_i32 s5, s1, s5
	s_add_u32 s4, s4, s5
	s_mul_hi_u32 s6, s1, s2
	s_addc_u32 s3, s3, s7
	s_addc_u32 s4, s6, 0
	s_mul_i32 s2, s1, s2
	s_add_u32 s2, s3, s2
	s_addc_u32 s3, 0, s4
	s_add_u32 s4, s2, 1
	s_addc_u32 s5, s3, 0
	s_add_u32 s6, s2, 2
	s_mul_i32 s8, s3, 24
	s_mul_hi_u32 s9, s2, 24
	s_addc_u32 s7, s3, 0
	s_add_i32 s9, s9, s8
	s_mul_i32 s8, s2, 24
	v_mov_b32_e32 v2, s8
	v_sub_co_u32_e32 v2, vcc, s0, v2
	s_cmp_lg_u64 vcc, 0
	s_subb_u32 s8, s1, s9
	v_subrev_co_u32_e32 v3, vcc, 24, v2
	s_cmp_lg_u64 vcc, 0
	s_subb_u32 s9, s8, 0
	v_readfirstlane_b32 s12, v3
	s_cmp_gt_u32 s12, 23
	s_cselect_b32 s12, -1, 0
	s_cmp_eq_u32 s9, 0
	s_cselect_b32 s9, s12, -1
	s_cmp_lg_u32 s9, 0
	s_cselect_b32 s4, s6, s4
	v_readfirstlane_b32 s6, v2
	s_cselect_b32 s5, s7, s5
	s_cmp_gt_u32 s6, 23
	s_cselect_b32 s6, -1, 0
	s_cmp_eq_u32 s8, 0
	s_cselect_b32 s6, s6, -1
	s_cmp_lg_u32 s6, 0
	s_cselect_b32 s3, s5, s3
	s_cselect_b32 s2, s4, s2
	v_cmp_eq_u64_e32 vcc, s[2:3], v[0:1]
	s_and_saveexec_b64 s[2:3], vcc
	s_cbranch_execz .LBB2524_146
; %bb.140:
	v_mul_hi_u32_u24_e32 v1, 24, v0
	v_mov_b32_e32 v2, s1
	v_sub_co_u32_e32 v0, vcc, s0, v21
	v_subb_co_u32_e32 v1, vcc, v2, v1, vcc
	v_cmp_lt_i64_e32 vcc, 11, v[0:1]
	s_mov_b64 s[0:1], 0
	s_mov_b64 s[8:9], 0
	;; [unrolled: 1-line block ×4, first 2 shown]
	s_and_saveexec_b64 s[2:3], vcc
	s_xor_b64 s[2:3], exec, s[2:3]
	s_cbranch_execnz .LBB2524_147
; %bb.141:
	s_andn2_saveexec_b64 s[2:3], s[2:3]
	s_cbranch_execnz .LBB2524_192
.LBB2524_142:
	s_or_b64 exec, exec, s[2:3]
	s_and_saveexec_b64 s[2:3], s[8:9]
	s_cbranch_execnz .LBB2524_209
.LBB2524_143:
	s_or_b64 exec, exec, s[2:3]
	s_and_saveexec_b64 s[2:3], s[6:7]
	s_cbranch_execnz .LBB2524_210
.LBB2524_144:
	s_or_b64 exec, exec, s[2:3]
	s_and_saveexec_b64 s[2:3], s[4:5]
	s_xor_b64 s[2:3], exec, s[2:3]
	s_cbranch_execnz .LBB2524_211
.LBB2524_145:
	s_or_b64 exec, exec, s[2:3]
	s_and_b64 exec, exec, s[0:1]
	s_cbranch_execnz .LBB2524_212
.LBB2524_146:
	s_endpgm
.LBB2524_147:
	v_cmp_lt_i64_e32 vcc, 17, v[0:1]
	s_and_saveexec_b64 s[12:13], vcc
	s_xor_b64 s[12:13], exec, s[12:13]
	s_cbranch_execz .LBB2524_169
; %bb.148:
	v_cmp_lt_i64_e32 vcc, 20, v[0:1]
                                        ; implicit-def: $vgpr10
	s_and_saveexec_b64 s[14:15], vcc
	s_xor_b64 s[14:15], exec, s[14:15]
	s_cbranch_execz .LBB2524_158
; %bb.149:
	v_cmp_lt_i64_e32 vcc, 21, v[0:1]
	s_mov_b64 s[16:17], 0
                                        ; implicit-def: $vgpr10
	s_and_saveexec_b64 s[4:5], vcc
	s_xor_b64 s[4:5], exec, s[4:5]
	s_cbranch_execz .LBB2524_155
; %bb.150:
	v_cmp_lt_i64_e32 vcc, 22, v[0:1]
	s_and_saveexec_b64 s[16:17], vcc
	s_xor_b64 s[16:17], exec, s[16:17]
	s_cbranch_execz .LBB2524_152
; %bb.151:
	v_mov_b32_e32 v2, 0
	s_waitcnt lgkmcnt(0)
	global_store_short v2, v29, s[10:11]
                                        ; implicit-def: $vgpr28
.LBB2524_152:
	s_or_saveexec_b64 s[16:17], s[16:17]
	s_mov_b64 s[18:19], 0
	s_xor_b64 exec, exec, s[16:17]
; %bb.153:
	s_mov_b64 s[18:19], exec
; %bb.154:
	s_or_b64 exec, exec, s[16:17]
	s_and_b64 s[16:17], s[18:19], exec
	s_waitcnt lgkmcnt(0)
	v_mov_b32_e32 v10, v28
                                        ; implicit-def: $vgpr11
.LBB2524_155:
	s_andn2_saveexec_b64 s[4:5], s[4:5]
; %bb.156:
	s_mov_b64 s[6:7], exec
                                        ; implicit-def: $vgpr10
; %bb.157:
	s_or_b64 exec, exec, s[4:5]
	s_and_b64 s[4:5], s[16:17], exec
	s_and_b64 s[6:7], s[6:7], exec
                                        ; implicit-def: $vgpr26
                                        ; implicit-def: $vgpr12
                                        ; implicit-def: $vgpr23
.LBB2524_158:
	s_andn2_saveexec_b64 s[14:15], s[14:15]
	s_cbranch_execz .LBB2524_168
; %bb.159:
	v_cmp_lt_i64_e32 vcc, 18, v[0:1]
	s_mov_b64 s[16:17], 0
	s_and_saveexec_b64 s[8:9], vcc
	s_xor_b64 s[8:9], exec, s[8:9]
	s_cbranch_execz .LBB2524_165
; %bb.160:
	v_cmp_lt_i64_e32 vcc, 19, v[0:1]
	s_and_saveexec_b64 s[18:19], vcc
	s_xor_b64 s[18:19], exec, s[18:19]
; %bb.161:
	s_mov_b64 s[16:17], exec
                                        ; implicit-def: $vgpr23
; %bb.162:
	s_andn2_saveexec_b64 s[18:19], s[18:19]
	s_cbranch_execz .LBB2524_164
; %bb.163:
	v_mov_b32_e32 v2, 0
	s_waitcnt lgkmcnt(0)
	global_store_short v2, v23, s[10:11]
                                        ; implicit-def: $vgpr12
.LBB2524_164:
	s_or_b64 exec, exec, s[18:19]
	s_and_b64 s[16:17], s[16:17], exec
                                        ; implicit-def: $vgpr26
.LBB2524_165:
	s_andn2_saveexec_b64 s[8:9], s[8:9]
	s_cbranch_execz .LBB2524_167
; %bb.166:
	v_mov_b32_e32 v2, 0
	s_waitcnt lgkmcnt(0)
	global_store_short v2, v26, s[10:11]
                                        ; implicit-def: $vgpr12
.LBB2524_167:
	s_or_b64 exec, exec, s[8:9]
	s_and_b64 s[8:9], s[16:17], exec
                                        ; implicit-def: $vgpr10
                                        ; implicit-def: $vgpr11
.LBB2524_168:
	s_or_b64 exec, exec, s[14:15]
	s_and_b64 s[4:5], s[4:5], exec
	s_and_b64 s[6:7], s[6:7], exec
	;; [unrolled: 1-line block ×3, first 2 shown]
                                        ; implicit-def: $vgpr18
                                        ; implicit-def: $vgpr13
                                        ; implicit-def: $vgpr14
                                        ; implicit-def: $vgpr24
                                        ; implicit-def: $vgpr27
.LBB2524_169:
	s_andn2_saveexec_b64 s[12:13], s[12:13]
	s_cbranch_execz .LBB2524_191
; %bb.170:
	v_cmp_lt_i64_e32 vcc, 14, v[0:1]
	s_mov_b64 s[14:15], s[4:5]
	s_and_saveexec_b64 s[16:17], vcc
	s_xor_b64 s[16:17], exec, s[16:17]
	s_cbranch_execz .LBB2524_180
; %bb.171:
	v_cmp_lt_i64_e32 vcc, 15, v[0:1]
	s_and_saveexec_b64 s[14:15], vcc
	s_xor_b64 s[14:15], exec, s[14:15]
	s_cbranch_execz .LBB2524_177
; %bb.172:
	v_cmp_lt_i64_e32 vcc, 16, v[0:1]
	s_and_saveexec_b64 s[18:19], vcc
	s_xor_b64 s[18:19], exec, s[18:19]
	s_cbranch_execz .LBB2524_174
; %bb.173:
	v_mov_b32_e32 v2, 0
	s_waitcnt lgkmcnt(0)
	global_store_short v2, v27, s[10:11]
                                        ; implicit-def: $vgpr24
.LBB2524_174:
	s_andn2_saveexec_b64 s[18:19], s[18:19]
	s_cbranch_execz .LBB2524_176
; %bb.175:
	v_mov_b32_e32 v2, 0
	s_waitcnt lgkmcnt(0)
	global_store_short v2, v24, s[10:11]
.LBB2524_176:
	s_or_b64 exec, exec, s[18:19]
                                        ; implicit-def: $vgpr10
.LBB2524_177:
	s_or_saveexec_b64 s[14:15], s[14:15]
	s_mov_b64 s[18:19], s[4:5]
	s_xor_b64 exec, exec, s[14:15]
; %bb.178:
	s_or_b64 s[18:19], s[4:5], exec
; %bb.179:
	s_or_b64 exec, exec, s[14:15]
	s_andn2_b64 s[14:15], s[4:5], exec
	s_and_b64 s[18:19], s[18:19], exec
	s_or_b64 s[14:15], s[14:15], s[18:19]
                                        ; implicit-def: $vgpr18
                                        ; implicit-def: $vgpr13
                                        ; implicit-def: $vgpr14
.LBB2524_180:
	s_or_saveexec_b64 s[16:17], s[16:17]
	s_mov_b64 s[18:19], s[6:7]
                                        ; implicit-def: $vgpr11
	s_xor_b64 exec, exec, s[16:17]
	s_cbranch_execz .LBB2524_190
; %bb.181:
	v_cmp_lt_i64_e32 vcc, 12, v[0:1]
	s_mov_b64 s[20:21], s[6:7]
	s_mov_b64 s[22:23], s[14:15]
                                        ; implicit-def: $vgpr10
                                        ; implicit-def: $vgpr11
	s_and_saveexec_b64 s[18:19], vcc
	s_xor_b64 s[18:19], exec, s[18:19]
	s_cbranch_execz .LBB2524_187
; %bb.182:
	v_cmp_lt_i64_e32 vcc, 13, v[0:1]
	s_mov_b64 s[20:21], s[14:15]
	s_and_saveexec_b64 s[22:23], vcc
	s_xor_b64 s[22:23], exec, s[22:23]
; %bb.183:
	s_or_b64 s[20:21], s[14:15], exec
                                        ; implicit-def: $vgpr13
; %bb.184:
	s_or_saveexec_b64 s[22:23], s[22:23]
	s_mov_b64 s[24:25], s[6:7]
	s_xor_b64 exec, exec, s[22:23]
; %bb.185:
	s_or_b64 s[24:25], s[6:7], exec
                                        ; implicit-def: $vgpr14
; %bb.186:
	s_or_b64 exec, exec, s[22:23]
	s_andn2_b64 s[22:23], s[14:15], exec
	s_and_b64 s[20:21], s[20:21], exec
	s_or_b64 s[22:23], s[22:23], s[20:21]
	s_andn2_b64 s[20:21], s[6:7], exec
	s_and_b64 s[24:25], s[24:25], exec
	s_or_b64 s[20:21], s[20:21], s[24:25]
	s_waitcnt lgkmcnt(0)
	v_mov_b32_e32 v10, v14
	v_mov_b32_e32 v11, v13
                                        ; implicit-def: $vgpr18
.LBB2524_187:
	s_andn2_saveexec_b64 s[18:19], s[18:19]
	s_cbranch_execz .LBB2524_189
; %bb.188:
	s_or_b64 s[20:21], s[20:21], exec
                                        ; implicit-def: $vgpr10
	s_waitcnt lgkmcnt(0)
	v_mov_b32_e32 v11, v18
.LBB2524_189:
	s_or_b64 exec, exec, s[18:19]
	s_andn2_b64 s[14:15], s[14:15], exec
	s_and_b64 s[18:19], s[22:23], exec
	s_or_b64 s[14:15], s[14:15], s[18:19]
	s_andn2_b64 s[18:19], s[6:7], exec
	s_and_b64 s[20:21], s[20:21], exec
	s_or_b64 s[18:19], s[18:19], s[20:21]
.LBB2524_190:
	s_or_b64 exec, exec, s[16:17]
	s_andn2_b64 s[4:5], s[4:5], exec
	s_and_b64 s[14:15], s[14:15], exec
	s_or_b64 s[4:5], s[4:5], s[14:15]
	s_andn2_b64 s[6:7], s[6:7], exec
	s_and_b64 s[14:15], s[18:19], exec
	s_or_b64 s[6:7], s[6:7], s[14:15]
                                        ; implicit-def: $vgpr12
.LBB2524_191:
	s_or_b64 exec, exec, s[12:13]
	s_and_b64 s[4:5], s[4:5], exec
	s_and_b64 s[6:7], s[6:7], exec
	;; [unrolled: 1-line block ×3, first 2 shown]
                                        ; implicit-def: $vgpr17
                                        ; implicit-def: $vgpr15
                                        ; implicit-def: $vgpr16
                                        ; implicit-def: $vgpr25
                                        ; implicit-def: $vgpr22
                                        ; implicit-def: $vgpr19
	s_andn2_saveexec_b64 s[2:3], s[2:3]
	s_cbranch_execz .LBB2524_142
.LBB2524_192:
	v_cmp_lt_i64_e32 vcc, 5, v[0:1]
	s_mov_b64 s[14:15], -1
	s_mov_b64 s[12:13], s[8:9]
	s_mov_b64 s[16:17], s[6:7]
	;; [unrolled: 1-line block ×3, first 2 shown]
                                        ; implicit-def: $vgpr10
                                        ; implicit-def: $vgpr11
                                        ; implicit-def: $vgpr12
	s_and_saveexec_b64 s[0:1], vcc
	s_cbranch_execz .LBB2524_208
; %bb.193:
	v_cmp_lt_i64_e32 vcc, 8, v[0:1]
	s_mov_b64 s[12:13], s[8:9]
                                        ; implicit-def: $vgpr12
	s_and_saveexec_b64 s[14:15], vcc
	s_xor_b64 s[14:15], exec, s[14:15]
	s_cbranch_execz .LBB2524_203
; %bb.194:
	v_cmp_lt_i64_e32 vcc, 9, v[0:1]
	s_and_saveexec_b64 s[12:13], vcc
	s_xor_b64 s[12:13], exec, s[12:13]
	s_cbranch_execz .LBB2524_200
; %bb.195:
	v_cmp_lt_i64_e32 vcc, 10, v[0:1]
	s_and_saveexec_b64 s[16:17], vcc
	s_xor_b64 s[16:17], exec, s[16:17]
; %bb.196:
                                        ; implicit-def: $vgpr22
; %bb.197:
	s_andn2_saveexec_b64 s[16:17], s[16:17]
	s_cbranch_execz .LBB2524_199
; %bb.198:
	s_waitcnt lgkmcnt(0)
	v_mov_b32_e32 v19, v22
.LBB2524_199:
	s_or_b64 exec, exec, s[16:17]
                                        ; implicit-def: $vgpr25
.LBB2524_200:
	s_andn2_saveexec_b64 s[12:13], s[12:13]
	s_cbranch_execz .LBB2524_202
; %bb.201:
	s_waitcnt lgkmcnt(0)
	v_mov_b32_e32 v19, v25
.LBB2524_202:
	s_or_b64 exec, exec, s[12:13]
	s_or_b64 s[12:13], s[8:9], exec
	s_waitcnt lgkmcnt(0)
	v_mov_b32_e32 v12, v19
                                        ; implicit-def: $vgpr17
                                        ; implicit-def: $vgpr15
                                        ; implicit-def: $vgpr16
.LBB2524_203:
	s_or_saveexec_b64 s[14:15], s[14:15]
	s_mov_b64 s[16:17], s[6:7]
	s_mov_b64 s[20:21], s[4:5]
                                        ; implicit-def: $vgpr10
                                        ; implicit-def: $vgpr11
	s_xor_b64 exec, exec, s[14:15]
	s_cbranch_execz .LBB2524_207
; %bb.204:
	v_cmp_lt_i64_e32 vcc, 6, v[0:1]
	s_mov_b64 s[20:21], -1
	s_mov_b64 s[18:19], s[12:13]
	s_mov_b64 s[16:17], s[6:7]
	s_and_saveexec_b64 s[22:23], vcc
; %bb.205:
	v_cmp_lt_i64_e32 vcc, 7, v[0:1]
	s_andn2_b64 s[18:19], s[12:13], exec
	s_and_b64 s[24:25], vcc, exec
	s_xor_b64 s[20:21], exec, -1
	s_or_b64 s[16:17], s[6:7], exec
	s_or_b64 s[18:19], s[18:19], s[24:25]
                                        ; implicit-def: $vgpr17
; %bb.206:
	s_or_b64 exec, exec, s[22:23]
	s_andn2_b64 s[22:23], s[4:5], exec
	s_and_b64 s[20:21], s[20:21], exec
	s_or_b64 s[20:21], s[22:23], s[20:21]
	s_andn2_b64 s[22:23], s[6:7], exec
	s_and_b64 s[16:17], s[16:17], exec
	s_andn2_b64 s[12:13], s[12:13], exec
	s_and_b64 s[18:19], s[18:19], exec
	s_or_b64 s[16:17], s[22:23], s[16:17]
	s_or_b64 s[12:13], s[12:13], s[18:19]
	s_waitcnt lgkmcnt(0)
	v_mov_b32_e32 v10, v17
	v_mov_b32_e32 v11, v15
	;; [unrolled: 1-line block ×3, first 2 shown]
.LBB2524_207:
	s_or_b64 exec, exec, s[14:15]
	s_andn2_b64 s[18:19], s[4:5], exec
	s_and_b64 s[20:21], s[20:21], exec
	s_or_b64 s[18:19], s[18:19], s[20:21]
	s_andn2_b64 s[20:21], s[6:7], exec
	s_and_b64 s[16:17], s[16:17], exec
	s_or_b64 s[16:17], s[20:21], s[16:17]
	s_andn2_b64 s[20:21], s[8:9], exec
	s_and_b64 s[12:13], s[12:13], exec
	s_xor_b64 s[14:15], exec, -1
	s_or_b64 s[12:13], s[20:21], s[12:13]
.LBB2524_208:
	s_or_b64 exec, exec, s[0:1]
	s_and_b64 s[0:1], s[14:15], exec
	s_andn2_b64 s[4:5], s[4:5], exec
	s_and_b64 s[14:15], s[18:19], exec
	s_or_b64 s[4:5], s[4:5], s[14:15]
	s_andn2_b64 s[6:7], s[6:7], exec
	s_and_b64 s[14:15], s[16:17], exec
	s_andn2_b64 s[8:9], s[8:9], exec
	s_and_b64 s[12:13], s[12:13], exec
	s_or_b64 s[6:7], s[6:7], s[14:15]
	s_or_b64 s[8:9], s[8:9], s[12:13]
	s_or_b64 exec, exec, s[2:3]
	s_and_saveexec_b64 s[2:3], s[8:9]
	s_cbranch_execz .LBB2524_143
.LBB2524_209:
	v_mov_b32_e32 v2, 0
	s_andn2_b64 s[6:7], s[6:7], exec
	s_waitcnt lgkmcnt(0)
	global_store_short v2, v12, s[10:11]
                                        ; implicit-def: $vgpr10
                                        ; implicit-def: $vgpr11
	s_or_b64 exec, exec, s[2:3]
	s_and_saveexec_b64 s[2:3], s[6:7]
	s_cbranch_execz .LBB2524_144
.LBB2524_210:
	v_mov_b32_e32 v2, 0
	s_waitcnt lgkmcnt(0)
	global_store_short v2, v11, s[10:11]
                                        ; implicit-def: $vgpr10
	s_or_b64 exec, exec, s[2:3]
	s_and_saveexec_b64 s[2:3], s[4:5]
	s_xor_b64 s[2:3], exec, s[2:3]
	s_cbranch_execz .LBB2524_145
.LBB2524_211:
	v_mov_b32_e32 v2, 0
	s_waitcnt lgkmcnt(0)
	global_store_short v2, v10, s[10:11]
	s_or_b64 exec, exec, s[2:3]
	s_and_b64 exec, exec, s[0:1]
	s_cbranch_execz .LBB2524_146
.LBB2524_212:
	v_cmp_lt_i64_e32 vcc, 2, v[0:1]
	s_and_saveexec_b64 s[0:1], vcc
	s_xor_b64 s[0:1], exec, s[0:1]
	s_cbranch_execz .LBB2524_222
; %bb.213:
	v_cmp_lt_i64_e32 vcc, 3, v[0:1]
	s_and_saveexec_b64 s[2:3], vcc
	s_xor_b64 s[2:3], exec, s[2:3]
	s_cbranch_execz .LBB2524_219
; %bb.214:
	;; [unrolled: 5-line block ×3, first 2 shown]
	v_mov_b32_e32 v0, 0
	s_waitcnt lgkmcnt(0)
	global_store_short v0, v9, s[10:11]
                                        ; implicit-def: $vgpr6
.LBB2524_216:
	s_andn2_saveexec_b64 s[4:5], s[4:5]
	s_cbranch_execz .LBB2524_218
; %bb.217:
	v_mov_b32_e32 v0, 0
	s_waitcnt lgkmcnt(0)
	global_store_short v0, v6, s[10:11]
.LBB2524_218:
	s_or_b64 exec, exec, s[4:5]
                                        ; implicit-def: $vgpr8
.LBB2524_219:
	s_andn2_saveexec_b64 s[2:3], s[2:3]
	s_cbranch_execz .LBB2524_221
; %bb.220:
	v_mov_b32_e32 v0, 0
	s_waitcnt lgkmcnt(0)
	global_store_short v0, v8, s[10:11]
.LBB2524_221:
	s_or_b64 exec, exec, s[2:3]
                                        ; implicit-def: $vgpr0_vgpr1
                                        ; implicit-def: $vgpr7
                                        ; implicit-def: $vgpr4
                                        ; implicit-def: $vgpr5
.LBB2524_222:
	s_andn2_saveexec_b64 s[0:1], s[0:1]
	s_cbranch_execz .LBB2524_146
; %bb.223:
	v_cmp_lt_i64_e32 vcc, 1, v[0:1]
	s_and_saveexec_b64 s[0:1], vcc
	s_xor_b64 s[0:1], exec, s[0:1]
	s_cbranch_execz .LBB2524_225
; %bb.224:
	v_mov_b32_e32 v0, 0
	s_waitcnt lgkmcnt(0)
	global_store_short v0, v7, s[10:11]
                                        ; implicit-def: $vgpr4
                                        ; implicit-def: $vgpr0_vgpr1
                                        ; implicit-def: $vgpr5
.LBB2524_225:
	s_andn2_saveexec_b64 s[0:1], s[0:1]
	s_cbranch_execz .LBB2524_146
; %bb.226:
	v_cmp_ne_u64_e32 vcc, 1, v[0:1]
	s_and_saveexec_b64 s[0:1], vcc
	s_xor_b64 s[0:1], exec, s[0:1]
	s_cbranch_execz .LBB2524_228
; %bb.227:
	v_mov_b32_e32 v0, 0
	s_waitcnt lgkmcnt(0)
	global_store_short v0, v5, s[10:11]
                                        ; implicit-def: $vgpr4
.LBB2524_228:
	s_andn2_saveexec_b64 s[0:1], s[0:1]
	s_cbranch_execz .LBB2524_146
; %bb.229:
	v_mov_b32_e32 v0, 0
	s_waitcnt lgkmcnt(0)
	global_store_short v0, v4, s[10:11]
	s_endpgm
	.section	.rodata,"a",@progbits
	.p2align	6, 0x0
	.amdhsa_kernel _ZN7rocprim17ROCPRIM_400000_NS6detail17trampoline_kernelINS0_14default_configENS1_20scan_config_selectorItEEZZNS1_9scan_implILNS1_25lookback_scan_determinismE0ELb1ELb1ES3_N6thrust23THRUST_200600_302600_NS6detail15normal_iteratorINS9_10device_ptrItEEEESE_t11max_functorItEtEEDaPvRmT3_T4_T5_mT6_P12ihipStream_tbENKUlT_T0_E_clISt17integral_constantIbLb1EEST_IbLb0EEEEDaSP_SQ_EUlSP_E_NS1_11comp_targetILNS1_3genE4ELNS1_11target_archE910ELNS1_3gpuE8ELNS1_3repE0EEENS1_30default_config_static_selectorELNS0_4arch9wavefront6targetE1EEEvT1_
		.amdhsa_group_segment_fixed_size 3072
		.amdhsa_private_segment_fixed_size 0
		.amdhsa_kernarg_size 96
		.amdhsa_user_sgpr_count 6
		.amdhsa_user_sgpr_private_segment_buffer 1
		.amdhsa_user_sgpr_dispatch_ptr 0
		.amdhsa_user_sgpr_queue_ptr 0
		.amdhsa_user_sgpr_kernarg_segment_ptr 1
		.amdhsa_user_sgpr_dispatch_id 0
		.amdhsa_user_sgpr_flat_scratch_init 0
		.amdhsa_user_sgpr_kernarg_preload_length 0
		.amdhsa_user_sgpr_kernarg_preload_offset 0
		.amdhsa_user_sgpr_private_segment_size 0
		.amdhsa_uses_dynamic_stack 0
		.amdhsa_system_sgpr_private_segment_wavefront_offset 0
		.amdhsa_system_sgpr_workgroup_id_x 1
		.amdhsa_system_sgpr_workgroup_id_y 0
		.amdhsa_system_sgpr_workgroup_id_z 0
		.amdhsa_system_sgpr_workgroup_info 0
		.amdhsa_system_vgpr_workitem_id 0
		.amdhsa_next_free_vgpr 58
		.amdhsa_next_free_sgpr 29
		.amdhsa_accum_offset 60
		.amdhsa_reserve_vcc 1
		.amdhsa_reserve_flat_scratch 0
		.amdhsa_float_round_mode_32 0
		.amdhsa_float_round_mode_16_64 0
		.amdhsa_float_denorm_mode_32 3
		.amdhsa_float_denorm_mode_16_64 3
		.amdhsa_dx10_clamp 1
		.amdhsa_ieee_mode 1
		.amdhsa_fp16_overflow 0
		.amdhsa_tg_split 0
		.amdhsa_exception_fp_ieee_invalid_op 0
		.amdhsa_exception_fp_denorm_src 0
		.amdhsa_exception_fp_ieee_div_zero 0
		.amdhsa_exception_fp_ieee_overflow 0
		.amdhsa_exception_fp_ieee_underflow 0
		.amdhsa_exception_fp_ieee_inexact 0
		.amdhsa_exception_int_div_zero 0
	.end_amdhsa_kernel
	.section	.text._ZN7rocprim17ROCPRIM_400000_NS6detail17trampoline_kernelINS0_14default_configENS1_20scan_config_selectorItEEZZNS1_9scan_implILNS1_25lookback_scan_determinismE0ELb1ELb1ES3_N6thrust23THRUST_200600_302600_NS6detail15normal_iteratorINS9_10device_ptrItEEEESE_t11max_functorItEtEEDaPvRmT3_T4_T5_mT6_P12ihipStream_tbENKUlT_T0_E_clISt17integral_constantIbLb1EEST_IbLb0EEEEDaSP_SQ_EUlSP_E_NS1_11comp_targetILNS1_3genE4ELNS1_11target_archE910ELNS1_3gpuE8ELNS1_3repE0EEENS1_30default_config_static_selectorELNS0_4arch9wavefront6targetE1EEEvT1_,"axG",@progbits,_ZN7rocprim17ROCPRIM_400000_NS6detail17trampoline_kernelINS0_14default_configENS1_20scan_config_selectorItEEZZNS1_9scan_implILNS1_25lookback_scan_determinismE0ELb1ELb1ES3_N6thrust23THRUST_200600_302600_NS6detail15normal_iteratorINS9_10device_ptrItEEEESE_t11max_functorItEtEEDaPvRmT3_T4_T5_mT6_P12ihipStream_tbENKUlT_T0_E_clISt17integral_constantIbLb1EEST_IbLb0EEEEDaSP_SQ_EUlSP_E_NS1_11comp_targetILNS1_3genE4ELNS1_11target_archE910ELNS1_3gpuE8ELNS1_3repE0EEENS1_30default_config_static_selectorELNS0_4arch9wavefront6targetE1EEEvT1_,comdat
.Lfunc_end2524:
	.size	_ZN7rocprim17ROCPRIM_400000_NS6detail17trampoline_kernelINS0_14default_configENS1_20scan_config_selectorItEEZZNS1_9scan_implILNS1_25lookback_scan_determinismE0ELb1ELb1ES3_N6thrust23THRUST_200600_302600_NS6detail15normal_iteratorINS9_10device_ptrItEEEESE_t11max_functorItEtEEDaPvRmT3_T4_T5_mT6_P12ihipStream_tbENKUlT_T0_E_clISt17integral_constantIbLb1EEST_IbLb0EEEEDaSP_SQ_EUlSP_E_NS1_11comp_targetILNS1_3genE4ELNS1_11target_archE910ELNS1_3gpuE8ELNS1_3repE0EEENS1_30default_config_static_selectorELNS0_4arch9wavefront6targetE1EEEvT1_, .Lfunc_end2524-_ZN7rocprim17ROCPRIM_400000_NS6detail17trampoline_kernelINS0_14default_configENS1_20scan_config_selectorItEEZZNS1_9scan_implILNS1_25lookback_scan_determinismE0ELb1ELb1ES3_N6thrust23THRUST_200600_302600_NS6detail15normal_iteratorINS9_10device_ptrItEEEESE_t11max_functorItEtEEDaPvRmT3_T4_T5_mT6_P12ihipStream_tbENKUlT_T0_E_clISt17integral_constantIbLb1EEST_IbLb0EEEEDaSP_SQ_EUlSP_E_NS1_11comp_targetILNS1_3genE4ELNS1_11target_archE910ELNS1_3gpuE8ELNS1_3repE0EEENS1_30default_config_static_selectorELNS0_4arch9wavefront6targetE1EEEvT1_
                                        ; -- End function
	.section	.AMDGPU.csdata,"",@progbits
; Kernel info:
; codeLenInByte = 7948
; NumSgprs: 33
; NumVgprs: 58
; NumAgprs: 0
; TotalNumVgprs: 58
; ScratchSize: 0
; MemoryBound: 0
; FloatMode: 240
; IeeeMode: 1
; LDSByteSize: 3072 bytes/workgroup (compile time only)
; SGPRBlocks: 4
; VGPRBlocks: 7
; NumSGPRsForWavesPerEU: 33
; NumVGPRsForWavesPerEU: 58
; AccumOffset: 60
; Occupancy: 6
; WaveLimiterHint : 1
; COMPUTE_PGM_RSRC2:SCRATCH_EN: 0
; COMPUTE_PGM_RSRC2:USER_SGPR: 6
; COMPUTE_PGM_RSRC2:TRAP_HANDLER: 0
; COMPUTE_PGM_RSRC2:TGID_X_EN: 1
; COMPUTE_PGM_RSRC2:TGID_Y_EN: 0
; COMPUTE_PGM_RSRC2:TGID_Z_EN: 0
; COMPUTE_PGM_RSRC2:TIDIG_COMP_CNT: 0
; COMPUTE_PGM_RSRC3_GFX90A:ACCUM_OFFSET: 14
; COMPUTE_PGM_RSRC3_GFX90A:TG_SPLIT: 0
	.section	.text._ZN7rocprim17ROCPRIM_400000_NS6detail17trampoline_kernelINS0_14default_configENS1_20scan_config_selectorItEEZZNS1_9scan_implILNS1_25lookback_scan_determinismE0ELb1ELb1ES3_N6thrust23THRUST_200600_302600_NS6detail15normal_iteratorINS9_10device_ptrItEEEESE_t11max_functorItEtEEDaPvRmT3_T4_T5_mT6_P12ihipStream_tbENKUlT_T0_E_clISt17integral_constantIbLb1EEST_IbLb0EEEEDaSP_SQ_EUlSP_E_NS1_11comp_targetILNS1_3genE3ELNS1_11target_archE908ELNS1_3gpuE7ELNS1_3repE0EEENS1_30default_config_static_selectorELNS0_4arch9wavefront6targetE1EEEvT1_,"axG",@progbits,_ZN7rocprim17ROCPRIM_400000_NS6detail17trampoline_kernelINS0_14default_configENS1_20scan_config_selectorItEEZZNS1_9scan_implILNS1_25lookback_scan_determinismE0ELb1ELb1ES3_N6thrust23THRUST_200600_302600_NS6detail15normal_iteratorINS9_10device_ptrItEEEESE_t11max_functorItEtEEDaPvRmT3_T4_T5_mT6_P12ihipStream_tbENKUlT_T0_E_clISt17integral_constantIbLb1EEST_IbLb0EEEEDaSP_SQ_EUlSP_E_NS1_11comp_targetILNS1_3genE3ELNS1_11target_archE908ELNS1_3gpuE7ELNS1_3repE0EEENS1_30default_config_static_selectorELNS0_4arch9wavefront6targetE1EEEvT1_,comdat
	.protected	_ZN7rocprim17ROCPRIM_400000_NS6detail17trampoline_kernelINS0_14default_configENS1_20scan_config_selectorItEEZZNS1_9scan_implILNS1_25lookback_scan_determinismE0ELb1ELb1ES3_N6thrust23THRUST_200600_302600_NS6detail15normal_iteratorINS9_10device_ptrItEEEESE_t11max_functorItEtEEDaPvRmT3_T4_T5_mT6_P12ihipStream_tbENKUlT_T0_E_clISt17integral_constantIbLb1EEST_IbLb0EEEEDaSP_SQ_EUlSP_E_NS1_11comp_targetILNS1_3genE3ELNS1_11target_archE908ELNS1_3gpuE7ELNS1_3repE0EEENS1_30default_config_static_selectorELNS0_4arch9wavefront6targetE1EEEvT1_ ; -- Begin function _ZN7rocprim17ROCPRIM_400000_NS6detail17trampoline_kernelINS0_14default_configENS1_20scan_config_selectorItEEZZNS1_9scan_implILNS1_25lookback_scan_determinismE0ELb1ELb1ES3_N6thrust23THRUST_200600_302600_NS6detail15normal_iteratorINS9_10device_ptrItEEEESE_t11max_functorItEtEEDaPvRmT3_T4_T5_mT6_P12ihipStream_tbENKUlT_T0_E_clISt17integral_constantIbLb1EEST_IbLb0EEEEDaSP_SQ_EUlSP_E_NS1_11comp_targetILNS1_3genE3ELNS1_11target_archE908ELNS1_3gpuE7ELNS1_3repE0EEENS1_30default_config_static_selectorELNS0_4arch9wavefront6targetE1EEEvT1_
	.globl	_ZN7rocprim17ROCPRIM_400000_NS6detail17trampoline_kernelINS0_14default_configENS1_20scan_config_selectorItEEZZNS1_9scan_implILNS1_25lookback_scan_determinismE0ELb1ELb1ES3_N6thrust23THRUST_200600_302600_NS6detail15normal_iteratorINS9_10device_ptrItEEEESE_t11max_functorItEtEEDaPvRmT3_T4_T5_mT6_P12ihipStream_tbENKUlT_T0_E_clISt17integral_constantIbLb1EEST_IbLb0EEEEDaSP_SQ_EUlSP_E_NS1_11comp_targetILNS1_3genE3ELNS1_11target_archE908ELNS1_3gpuE7ELNS1_3repE0EEENS1_30default_config_static_selectorELNS0_4arch9wavefront6targetE1EEEvT1_
	.p2align	8
	.type	_ZN7rocprim17ROCPRIM_400000_NS6detail17trampoline_kernelINS0_14default_configENS1_20scan_config_selectorItEEZZNS1_9scan_implILNS1_25lookback_scan_determinismE0ELb1ELb1ES3_N6thrust23THRUST_200600_302600_NS6detail15normal_iteratorINS9_10device_ptrItEEEESE_t11max_functorItEtEEDaPvRmT3_T4_T5_mT6_P12ihipStream_tbENKUlT_T0_E_clISt17integral_constantIbLb1EEST_IbLb0EEEEDaSP_SQ_EUlSP_E_NS1_11comp_targetILNS1_3genE3ELNS1_11target_archE908ELNS1_3gpuE7ELNS1_3repE0EEENS1_30default_config_static_selectorELNS0_4arch9wavefront6targetE1EEEvT1_,@function
_ZN7rocprim17ROCPRIM_400000_NS6detail17trampoline_kernelINS0_14default_configENS1_20scan_config_selectorItEEZZNS1_9scan_implILNS1_25lookback_scan_determinismE0ELb1ELb1ES3_N6thrust23THRUST_200600_302600_NS6detail15normal_iteratorINS9_10device_ptrItEEEESE_t11max_functorItEtEEDaPvRmT3_T4_T5_mT6_P12ihipStream_tbENKUlT_T0_E_clISt17integral_constantIbLb1EEST_IbLb0EEEEDaSP_SQ_EUlSP_E_NS1_11comp_targetILNS1_3genE3ELNS1_11target_archE908ELNS1_3gpuE7ELNS1_3repE0EEENS1_30default_config_static_selectorELNS0_4arch9wavefront6targetE1EEEvT1_: ; @_ZN7rocprim17ROCPRIM_400000_NS6detail17trampoline_kernelINS0_14default_configENS1_20scan_config_selectorItEEZZNS1_9scan_implILNS1_25lookback_scan_determinismE0ELb1ELb1ES3_N6thrust23THRUST_200600_302600_NS6detail15normal_iteratorINS9_10device_ptrItEEEESE_t11max_functorItEtEEDaPvRmT3_T4_T5_mT6_P12ihipStream_tbENKUlT_T0_E_clISt17integral_constantIbLb1EEST_IbLb0EEEEDaSP_SQ_EUlSP_E_NS1_11comp_targetILNS1_3genE3ELNS1_11target_archE908ELNS1_3gpuE7ELNS1_3repE0EEENS1_30default_config_static_selectorELNS0_4arch9wavefront6targetE1EEEvT1_
; %bb.0:
	.section	.rodata,"a",@progbits
	.p2align	6, 0x0
	.amdhsa_kernel _ZN7rocprim17ROCPRIM_400000_NS6detail17trampoline_kernelINS0_14default_configENS1_20scan_config_selectorItEEZZNS1_9scan_implILNS1_25lookback_scan_determinismE0ELb1ELb1ES3_N6thrust23THRUST_200600_302600_NS6detail15normal_iteratorINS9_10device_ptrItEEEESE_t11max_functorItEtEEDaPvRmT3_T4_T5_mT6_P12ihipStream_tbENKUlT_T0_E_clISt17integral_constantIbLb1EEST_IbLb0EEEEDaSP_SQ_EUlSP_E_NS1_11comp_targetILNS1_3genE3ELNS1_11target_archE908ELNS1_3gpuE7ELNS1_3repE0EEENS1_30default_config_static_selectorELNS0_4arch9wavefront6targetE1EEEvT1_
		.amdhsa_group_segment_fixed_size 0
		.amdhsa_private_segment_fixed_size 0
		.amdhsa_kernarg_size 96
		.amdhsa_user_sgpr_count 6
		.amdhsa_user_sgpr_private_segment_buffer 1
		.amdhsa_user_sgpr_dispatch_ptr 0
		.amdhsa_user_sgpr_queue_ptr 0
		.amdhsa_user_sgpr_kernarg_segment_ptr 1
		.amdhsa_user_sgpr_dispatch_id 0
		.amdhsa_user_sgpr_flat_scratch_init 0
		.amdhsa_user_sgpr_kernarg_preload_length 0
		.amdhsa_user_sgpr_kernarg_preload_offset 0
		.amdhsa_user_sgpr_private_segment_size 0
		.amdhsa_uses_dynamic_stack 0
		.amdhsa_system_sgpr_private_segment_wavefront_offset 0
		.amdhsa_system_sgpr_workgroup_id_x 1
		.amdhsa_system_sgpr_workgroup_id_y 0
		.amdhsa_system_sgpr_workgroup_id_z 0
		.amdhsa_system_sgpr_workgroup_info 0
		.amdhsa_system_vgpr_workitem_id 0
		.amdhsa_next_free_vgpr 1
		.amdhsa_next_free_sgpr 0
		.amdhsa_accum_offset 4
		.amdhsa_reserve_vcc 0
		.amdhsa_reserve_flat_scratch 0
		.amdhsa_float_round_mode_32 0
		.amdhsa_float_round_mode_16_64 0
		.amdhsa_float_denorm_mode_32 3
		.amdhsa_float_denorm_mode_16_64 3
		.amdhsa_dx10_clamp 1
		.amdhsa_ieee_mode 1
		.amdhsa_fp16_overflow 0
		.amdhsa_tg_split 0
		.amdhsa_exception_fp_ieee_invalid_op 0
		.amdhsa_exception_fp_denorm_src 0
		.amdhsa_exception_fp_ieee_div_zero 0
		.amdhsa_exception_fp_ieee_overflow 0
		.amdhsa_exception_fp_ieee_underflow 0
		.amdhsa_exception_fp_ieee_inexact 0
		.amdhsa_exception_int_div_zero 0
	.end_amdhsa_kernel
	.section	.text._ZN7rocprim17ROCPRIM_400000_NS6detail17trampoline_kernelINS0_14default_configENS1_20scan_config_selectorItEEZZNS1_9scan_implILNS1_25lookback_scan_determinismE0ELb1ELb1ES3_N6thrust23THRUST_200600_302600_NS6detail15normal_iteratorINS9_10device_ptrItEEEESE_t11max_functorItEtEEDaPvRmT3_T4_T5_mT6_P12ihipStream_tbENKUlT_T0_E_clISt17integral_constantIbLb1EEST_IbLb0EEEEDaSP_SQ_EUlSP_E_NS1_11comp_targetILNS1_3genE3ELNS1_11target_archE908ELNS1_3gpuE7ELNS1_3repE0EEENS1_30default_config_static_selectorELNS0_4arch9wavefront6targetE1EEEvT1_,"axG",@progbits,_ZN7rocprim17ROCPRIM_400000_NS6detail17trampoline_kernelINS0_14default_configENS1_20scan_config_selectorItEEZZNS1_9scan_implILNS1_25lookback_scan_determinismE0ELb1ELb1ES3_N6thrust23THRUST_200600_302600_NS6detail15normal_iteratorINS9_10device_ptrItEEEESE_t11max_functorItEtEEDaPvRmT3_T4_T5_mT6_P12ihipStream_tbENKUlT_T0_E_clISt17integral_constantIbLb1EEST_IbLb0EEEEDaSP_SQ_EUlSP_E_NS1_11comp_targetILNS1_3genE3ELNS1_11target_archE908ELNS1_3gpuE7ELNS1_3repE0EEENS1_30default_config_static_selectorELNS0_4arch9wavefront6targetE1EEEvT1_,comdat
.Lfunc_end2525:
	.size	_ZN7rocprim17ROCPRIM_400000_NS6detail17trampoline_kernelINS0_14default_configENS1_20scan_config_selectorItEEZZNS1_9scan_implILNS1_25lookback_scan_determinismE0ELb1ELb1ES3_N6thrust23THRUST_200600_302600_NS6detail15normal_iteratorINS9_10device_ptrItEEEESE_t11max_functorItEtEEDaPvRmT3_T4_T5_mT6_P12ihipStream_tbENKUlT_T0_E_clISt17integral_constantIbLb1EEST_IbLb0EEEEDaSP_SQ_EUlSP_E_NS1_11comp_targetILNS1_3genE3ELNS1_11target_archE908ELNS1_3gpuE7ELNS1_3repE0EEENS1_30default_config_static_selectorELNS0_4arch9wavefront6targetE1EEEvT1_, .Lfunc_end2525-_ZN7rocprim17ROCPRIM_400000_NS6detail17trampoline_kernelINS0_14default_configENS1_20scan_config_selectorItEEZZNS1_9scan_implILNS1_25lookback_scan_determinismE0ELb1ELb1ES3_N6thrust23THRUST_200600_302600_NS6detail15normal_iteratorINS9_10device_ptrItEEEESE_t11max_functorItEtEEDaPvRmT3_T4_T5_mT6_P12ihipStream_tbENKUlT_T0_E_clISt17integral_constantIbLb1EEST_IbLb0EEEEDaSP_SQ_EUlSP_E_NS1_11comp_targetILNS1_3genE3ELNS1_11target_archE908ELNS1_3gpuE7ELNS1_3repE0EEENS1_30default_config_static_selectorELNS0_4arch9wavefront6targetE1EEEvT1_
                                        ; -- End function
	.section	.AMDGPU.csdata,"",@progbits
; Kernel info:
; codeLenInByte = 0
; NumSgprs: 4
; NumVgprs: 0
; NumAgprs: 0
; TotalNumVgprs: 0
; ScratchSize: 0
; MemoryBound: 0
; FloatMode: 240
; IeeeMode: 1
; LDSByteSize: 0 bytes/workgroup (compile time only)
; SGPRBlocks: 0
; VGPRBlocks: 0
; NumSGPRsForWavesPerEU: 4
; NumVGPRsForWavesPerEU: 1
; AccumOffset: 4
; Occupancy: 8
; WaveLimiterHint : 0
; COMPUTE_PGM_RSRC2:SCRATCH_EN: 0
; COMPUTE_PGM_RSRC2:USER_SGPR: 6
; COMPUTE_PGM_RSRC2:TRAP_HANDLER: 0
; COMPUTE_PGM_RSRC2:TGID_X_EN: 1
; COMPUTE_PGM_RSRC2:TGID_Y_EN: 0
; COMPUTE_PGM_RSRC2:TGID_Z_EN: 0
; COMPUTE_PGM_RSRC2:TIDIG_COMP_CNT: 0
; COMPUTE_PGM_RSRC3_GFX90A:ACCUM_OFFSET: 0
; COMPUTE_PGM_RSRC3_GFX90A:TG_SPLIT: 0
	.section	.text._ZN7rocprim17ROCPRIM_400000_NS6detail17trampoline_kernelINS0_14default_configENS1_20scan_config_selectorItEEZZNS1_9scan_implILNS1_25lookback_scan_determinismE0ELb1ELb1ES3_N6thrust23THRUST_200600_302600_NS6detail15normal_iteratorINS9_10device_ptrItEEEESE_t11max_functorItEtEEDaPvRmT3_T4_T5_mT6_P12ihipStream_tbENKUlT_T0_E_clISt17integral_constantIbLb1EEST_IbLb0EEEEDaSP_SQ_EUlSP_E_NS1_11comp_targetILNS1_3genE2ELNS1_11target_archE906ELNS1_3gpuE6ELNS1_3repE0EEENS1_30default_config_static_selectorELNS0_4arch9wavefront6targetE1EEEvT1_,"axG",@progbits,_ZN7rocprim17ROCPRIM_400000_NS6detail17trampoline_kernelINS0_14default_configENS1_20scan_config_selectorItEEZZNS1_9scan_implILNS1_25lookback_scan_determinismE0ELb1ELb1ES3_N6thrust23THRUST_200600_302600_NS6detail15normal_iteratorINS9_10device_ptrItEEEESE_t11max_functorItEtEEDaPvRmT3_T4_T5_mT6_P12ihipStream_tbENKUlT_T0_E_clISt17integral_constantIbLb1EEST_IbLb0EEEEDaSP_SQ_EUlSP_E_NS1_11comp_targetILNS1_3genE2ELNS1_11target_archE906ELNS1_3gpuE6ELNS1_3repE0EEENS1_30default_config_static_selectorELNS0_4arch9wavefront6targetE1EEEvT1_,comdat
	.protected	_ZN7rocprim17ROCPRIM_400000_NS6detail17trampoline_kernelINS0_14default_configENS1_20scan_config_selectorItEEZZNS1_9scan_implILNS1_25lookback_scan_determinismE0ELb1ELb1ES3_N6thrust23THRUST_200600_302600_NS6detail15normal_iteratorINS9_10device_ptrItEEEESE_t11max_functorItEtEEDaPvRmT3_T4_T5_mT6_P12ihipStream_tbENKUlT_T0_E_clISt17integral_constantIbLb1EEST_IbLb0EEEEDaSP_SQ_EUlSP_E_NS1_11comp_targetILNS1_3genE2ELNS1_11target_archE906ELNS1_3gpuE6ELNS1_3repE0EEENS1_30default_config_static_selectorELNS0_4arch9wavefront6targetE1EEEvT1_ ; -- Begin function _ZN7rocprim17ROCPRIM_400000_NS6detail17trampoline_kernelINS0_14default_configENS1_20scan_config_selectorItEEZZNS1_9scan_implILNS1_25lookback_scan_determinismE0ELb1ELb1ES3_N6thrust23THRUST_200600_302600_NS6detail15normal_iteratorINS9_10device_ptrItEEEESE_t11max_functorItEtEEDaPvRmT3_T4_T5_mT6_P12ihipStream_tbENKUlT_T0_E_clISt17integral_constantIbLb1EEST_IbLb0EEEEDaSP_SQ_EUlSP_E_NS1_11comp_targetILNS1_3genE2ELNS1_11target_archE906ELNS1_3gpuE6ELNS1_3repE0EEENS1_30default_config_static_selectorELNS0_4arch9wavefront6targetE1EEEvT1_
	.globl	_ZN7rocprim17ROCPRIM_400000_NS6detail17trampoline_kernelINS0_14default_configENS1_20scan_config_selectorItEEZZNS1_9scan_implILNS1_25lookback_scan_determinismE0ELb1ELb1ES3_N6thrust23THRUST_200600_302600_NS6detail15normal_iteratorINS9_10device_ptrItEEEESE_t11max_functorItEtEEDaPvRmT3_T4_T5_mT6_P12ihipStream_tbENKUlT_T0_E_clISt17integral_constantIbLb1EEST_IbLb0EEEEDaSP_SQ_EUlSP_E_NS1_11comp_targetILNS1_3genE2ELNS1_11target_archE906ELNS1_3gpuE6ELNS1_3repE0EEENS1_30default_config_static_selectorELNS0_4arch9wavefront6targetE1EEEvT1_
	.p2align	8
	.type	_ZN7rocprim17ROCPRIM_400000_NS6detail17trampoline_kernelINS0_14default_configENS1_20scan_config_selectorItEEZZNS1_9scan_implILNS1_25lookback_scan_determinismE0ELb1ELb1ES3_N6thrust23THRUST_200600_302600_NS6detail15normal_iteratorINS9_10device_ptrItEEEESE_t11max_functorItEtEEDaPvRmT3_T4_T5_mT6_P12ihipStream_tbENKUlT_T0_E_clISt17integral_constantIbLb1EEST_IbLb0EEEEDaSP_SQ_EUlSP_E_NS1_11comp_targetILNS1_3genE2ELNS1_11target_archE906ELNS1_3gpuE6ELNS1_3repE0EEENS1_30default_config_static_selectorELNS0_4arch9wavefront6targetE1EEEvT1_,@function
_ZN7rocprim17ROCPRIM_400000_NS6detail17trampoline_kernelINS0_14default_configENS1_20scan_config_selectorItEEZZNS1_9scan_implILNS1_25lookback_scan_determinismE0ELb1ELb1ES3_N6thrust23THRUST_200600_302600_NS6detail15normal_iteratorINS9_10device_ptrItEEEESE_t11max_functorItEtEEDaPvRmT3_T4_T5_mT6_P12ihipStream_tbENKUlT_T0_E_clISt17integral_constantIbLb1EEST_IbLb0EEEEDaSP_SQ_EUlSP_E_NS1_11comp_targetILNS1_3genE2ELNS1_11target_archE906ELNS1_3gpuE6ELNS1_3repE0EEENS1_30default_config_static_selectorELNS0_4arch9wavefront6targetE1EEEvT1_: ; @_ZN7rocprim17ROCPRIM_400000_NS6detail17trampoline_kernelINS0_14default_configENS1_20scan_config_selectorItEEZZNS1_9scan_implILNS1_25lookback_scan_determinismE0ELb1ELb1ES3_N6thrust23THRUST_200600_302600_NS6detail15normal_iteratorINS9_10device_ptrItEEEESE_t11max_functorItEtEEDaPvRmT3_T4_T5_mT6_P12ihipStream_tbENKUlT_T0_E_clISt17integral_constantIbLb1EEST_IbLb0EEEEDaSP_SQ_EUlSP_E_NS1_11comp_targetILNS1_3genE2ELNS1_11target_archE906ELNS1_3gpuE6ELNS1_3repE0EEENS1_30default_config_static_selectorELNS0_4arch9wavefront6targetE1EEEvT1_
; %bb.0:
	.section	.rodata,"a",@progbits
	.p2align	6, 0x0
	.amdhsa_kernel _ZN7rocprim17ROCPRIM_400000_NS6detail17trampoline_kernelINS0_14default_configENS1_20scan_config_selectorItEEZZNS1_9scan_implILNS1_25lookback_scan_determinismE0ELb1ELb1ES3_N6thrust23THRUST_200600_302600_NS6detail15normal_iteratorINS9_10device_ptrItEEEESE_t11max_functorItEtEEDaPvRmT3_T4_T5_mT6_P12ihipStream_tbENKUlT_T0_E_clISt17integral_constantIbLb1EEST_IbLb0EEEEDaSP_SQ_EUlSP_E_NS1_11comp_targetILNS1_3genE2ELNS1_11target_archE906ELNS1_3gpuE6ELNS1_3repE0EEENS1_30default_config_static_selectorELNS0_4arch9wavefront6targetE1EEEvT1_
		.amdhsa_group_segment_fixed_size 0
		.amdhsa_private_segment_fixed_size 0
		.amdhsa_kernarg_size 96
		.amdhsa_user_sgpr_count 6
		.amdhsa_user_sgpr_private_segment_buffer 1
		.amdhsa_user_sgpr_dispatch_ptr 0
		.amdhsa_user_sgpr_queue_ptr 0
		.amdhsa_user_sgpr_kernarg_segment_ptr 1
		.amdhsa_user_sgpr_dispatch_id 0
		.amdhsa_user_sgpr_flat_scratch_init 0
		.amdhsa_user_sgpr_kernarg_preload_length 0
		.amdhsa_user_sgpr_kernarg_preload_offset 0
		.amdhsa_user_sgpr_private_segment_size 0
		.amdhsa_uses_dynamic_stack 0
		.amdhsa_system_sgpr_private_segment_wavefront_offset 0
		.amdhsa_system_sgpr_workgroup_id_x 1
		.amdhsa_system_sgpr_workgroup_id_y 0
		.amdhsa_system_sgpr_workgroup_id_z 0
		.amdhsa_system_sgpr_workgroup_info 0
		.amdhsa_system_vgpr_workitem_id 0
		.amdhsa_next_free_vgpr 1
		.amdhsa_next_free_sgpr 0
		.amdhsa_accum_offset 4
		.amdhsa_reserve_vcc 0
		.amdhsa_reserve_flat_scratch 0
		.amdhsa_float_round_mode_32 0
		.amdhsa_float_round_mode_16_64 0
		.amdhsa_float_denorm_mode_32 3
		.amdhsa_float_denorm_mode_16_64 3
		.amdhsa_dx10_clamp 1
		.amdhsa_ieee_mode 1
		.amdhsa_fp16_overflow 0
		.amdhsa_tg_split 0
		.amdhsa_exception_fp_ieee_invalid_op 0
		.amdhsa_exception_fp_denorm_src 0
		.amdhsa_exception_fp_ieee_div_zero 0
		.amdhsa_exception_fp_ieee_overflow 0
		.amdhsa_exception_fp_ieee_underflow 0
		.amdhsa_exception_fp_ieee_inexact 0
		.amdhsa_exception_int_div_zero 0
	.end_amdhsa_kernel
	.section	.text._ZN7rocprim17ROCPRIM_400000_NS6detail17trampoline_kernelINS0_14default_configENS1_20scan_config_selectorItEEZZNS1_9scan_implILNS1_25lookback_scan_determinismE0ELb1ELb1ES3_N6thrust23THRUST_200600_302600_NS6detail15normal_iteratorINS9_10device_ptrItEEEESE_t11max_functorItEtEEDaPvRmT3_T4_T5_mT6_P12ihipStream_tbENKUlT_T0_E_clISt17integral_constantIbLb1EEST_IbLb0EEEEDaSP_SQ_EUlSP_E_NS1_11comp_targetILNS1_3genE2ELNS1_11target_archE906ELNS1_3gpuE6ELNS1_3repE0EEENS1_30default_config_static_selectorELNS0_4arch9wavefront6targetE1EEEvT1_,"axG",@progbits,_ZN7rocprim17ROCPRIM_400000_NS6detail17trampoline_kernelINS0_14default_configENS1_20scan_config_selectorItEEZZNS1_9scan_implILNS1_25lookback_scan_determinismE0ELb1ELb1ES3_N6thrust23THRUST_200600_302600_NS6detail15normal_iteratorINS9_10device_ptrItEEEESE_t11max_functorItEtEEDaPvRmT3_T4_T5_mT6_P12ihipStream_tbENKUlT_T0_E_clISt17integral_constantIbLb1EEST_IbLb0EEEEDaSP_SQ_EUlSP_E_NS1_11comp_targetILNS1_3genE2ELNS1_11target_archE906ELNS1_3gpuE6ELNS1_3repE0EEENS1_30default_config_static_selectorELNS0_4arch9wavefront6targetE1EEEvT1_,comdat
.Lfunc_end2526:
	.size	_ZN7rocprim17ROCPRIM_400000_NS6detail17trampoline_kernelINS0_14default_configENS1_20scan_config_selectorItEEZZNS1_9scan_implILNS1_25lookback_scan_determinismE0ELb1ELb1ES3_N6thrust23THRUST_200600_302600_NS6detail15normal_iteratorINS9_10device_ptrItEEEESE_t11max_functorItEtEEDaPvRmT3_T4_T5_mT6_P12ihipStream_tbENKUlT_T0_E_clISt17integral_constantIbLb1EEST_IbLb0EEEEDaSP_SQ_EUlSP_E_NS1_11comp_targetILNS1_3genE2ELNS1_11target_archE906ELNS1_3gpuE6ELNS1_3repE0EEENS1_30default_config_static_selectorELNS0_4arch9wavefront6targetE1EEEvT1_, .Lfunc_end2526-_ZN7rocprim17ROCPRIM_400000_NS6detail17trampoline_kernelINS0_14default_configENS1_20scan_config_selectorItEEZZNS1_9scan_implILNS1_25lookback_scan_determinismE0ELb1ELb1ES3_N6thrust23THRUST_200600_302600_NS6detail15normal_iteratorINS9_10device_ptrItEEEESE_t11max_functorItEtEEDaPvRmT3_T4_T5_mT6_P12ihipStream_tbENKUlT_T0_E_clISt17integral_constantIbLb1EEST_IbLb0EEEEDaSP_SQ_EUlSP_E_NS1_11comp_targetILNS1_3genE2ELNS1_11target_archE906ELNS1_3gpuE6ELNS1_3repE0EEENS1_30default_config_static_selectorELNS0_4arch9wavefront6targetE1EEEvT1_
                                        ; -- End function
	.section	.AMDGPU.csdata,"",@progbits
; Kernel info:
; codeLenInByte = 0
; NumSgprs: 4
; NumVgprs: 0
; NumAgprs: 0
; TotalNumVgprs: 0
; ScratchSize: 0
; MemoryBound: 0
; FloatMode: 240
; IeeeMode: 1
; LDSByteSize: 0 bytes/workgroup (compile time only)
; SGPRBlocks: 0
; VGPRBlocks: 0
; NumSGPRsForWavesPerEU: 4
; NumVGPRsForWavesPerEU: 1
; AccumOffset: 4
; Occupancy: 8
; WaveLimiterHint : 0
; COMPUTE_PGM_RSRC2:SCRATCH_EN: 0
; COMPUTE_PGM_RSRC2:USER_SGPR: 6
; COMPUTE_PGM_RSRC2:TRAP_HANDLER: 0
; COMPUTE_PGM_RSRC2:TGID_X_EN: 1
; COMPUTE_PGM_RSRC2:TGID_Y_EN: 0
; COMPUTE_PGM_RSRC2:TGID_Z_EN: 0
; COMPUTE_PGM_RSRC2:TIDIG_COMP_CNT: 0
; COMPUTE_PGM_RSRC3_GFX90A:ACCUM_OFFSET: 0
; COMPUTE_PGM_RSRC3_GFX90A:TG_SPLIT: 0
	.section	.text._ZN7rocprim17ROCPRIM_400000_NS6detail17trampoline_kernelINS0_14default_configENS1_20scan_config_selectorItEEZZNS1_9scan_implILNS1_25lookback_scan_determinismE0ELb1ELb1ES3_N6thrust23THRUST_200600_302600_NS6detail15normal_iteratorINS9_10device_ptrItEEEESE_t11max_functorItEtEEDaPvRmT3_T4_T5_mT6_P12ihipStream_tbENKUlT_T0_E_clISt17integral_constantIbLb1EEST_IbLb0EEEEDaSP_SQ_EUlSP_E_NS1_11comp_targetILNS1_3genE10ELNS1_11target_archE1201ELNS1_3gpuE5ELNS1_3repE0EEENS1_30default_config_static_selectorELNS0_4arch9wavefront6targetE1EEEvT1_,"axG",@progbits,_ZN7rocprim17ROCPRIM_400000_NS6detail17trampoline_kernelINS0_14default_configENS1_20scan_config_selectorItEEZZNS1_9scan_implILNS1_25lookback_scan_determinismE0ELb1ELb1ES3_N6thrust23THRUST_200600_302600_NS6detail15normal_iteratorINS9_10device_ptrItEEEESE_t11max_functorItEtEEDaPvRmT3_T4_T5_mT6_P12ihipStream_tbENKUlT_T0_E_clISt17integral_constantIbLb1EEST_IbLb0EEEEDaSP_SQ_EUlSP_E_NS1_11comp_targetILNS1_3genE10ELNS1_11target_archE1201ELNS1_3gpuE5ELNS1_3repE0EEENS1_30default_config_static_selectorELNS0_4arch9wavefront6targetE1EEEvT1_,comdat
	.protected	_ZN7rocprim17ROCPRIM_400000_NS6detail17trampoline_kernelINS0_14default_configENS1_20scan_config_selectorItEEZZNS1_9scan_implILNS1_25lookback_scan_determinismE0ELb1ELb1ES3_N6thrust23THRUST_200600_302600_NS6detail15normal_iteratorINS9_10device_ptrItEEEESE_t11max_functorItEtEEDaPvRmT3_T4_T5_mT6_P12ihipStream_tbENKUlT_T0_E_clISt17integral_constantIbLb1EEST_IbLb0EEEEDaSP_SQ_EUlSP_E_NS1_11comp_targetILNS1_3genE10ELNS1_11target_archE1201ELNS1_3gpuE5ELNS1_3repE0EEENS1_30default_config_static_selectorELNS0_4arch9wavefront6targetE1EEEvT1_ ; -- Begin function _ZN7rocprim17ROCPRIM_400000_NS6detail17trampoline_kernelINS0_14default_configENS1_20scan_config_selectorItEEZZNS1_9scan_implILNS1_25lookback_scan_determinismE0ELb1ELb1ES3_N6thrust23THRUST_200600_302600_NS6detail15normal_iteratorINS9_10device_ptrItEEEESE_t11max_functorItEtEEDaPvRmT3_T4_T5_mT6_P12ihipStream_tbENKUlT_T0_E_clISt17integral_constantIbLb1EEST_IbLb0EEEEDaSP_SQ_EUlSP_E_NS1_11comp_targetILNS1_3genE10ELNS1_11target_archE1201ELNS1_3gpuE5ELNS1_3repE0EEENS1_30default_config_static_selectorELNS0_4arch9wavefront6targetE1EEEvT1_
	.globl	_ZN7rocprim17ROCPRIM_400000_NS6detail17trampoline_kernelINS0_14default_configENS1_20scan_config_selectorItEEZZNS1_9scan_implILNS1_25lookback_scan_determinismE0ELb1ELb1ES3_N6thrust23THRUST_200600_302600_NS6detail15normal_iteratorINS9_10device_ptrItEEEESE_t11max_functorItEtEEDaPvRmT3_T4_T5_mT6_P12ihipStream_tbENKUlT_T0_E_clISt17integral_constantIbLb1EEST_IbLb0EEEEDaSP_SQ_EUlSP_E_NS1_11comp_targetILNS1_3genE10ELNS1_11target_archE1201ELNS1_3gpuE5ELNS1_3repE0EEENS1_30default_config_static_selectorELNS0_4arch9wavefront6targetE1EEEvT1_
	.p2align	8
	.type	_ZN7rocprim17ROCPRIM_400000_NS6detail17trampoline_kernelINS0_14default_configENS1_20scan_config_selectorItEEZZNS1_9scan_implILNS1_25lookback_scan_determinismE0ELb1ELb1ES3_N6thrust23THRUST_200600_302600_NS6detail15normal_iteratorINS9_10device_ptrItEEEESE_t11max_functorItEtEEDaPvRmT3_T4_T5_mT6_P12ihipStream_tbENKUlT_T0_E_clISt17integral_constantIbLb1EEST_IbLb0EEEEDaSP_SQ_EUlSP_E_NS1_11comp_targetILNS1_3genE10ELNS1_11target_archE1201ELNS1_3gpuE5ELNS1_3repE0EEENS1_30default_config_static_selectorELNS0_4arch9wavefront6targetE1EEEvT1_,@function
_ZN7rocprim17ROCPRIM_400000_NS6detail17trampoline_kernelINS0_14default_configENS1_20scan_config_selectorItEEZZNS1_9scan_implILNS1_25lookback_scan_determinismE0ELb1ELb1ES3_N6thrust23THRUST_200600_302600_NS6detail15normal_iteratorINS9_10device_ptrItEEEESE_t11max_functorItEtEEDaPvRmT3_T4_T5_mT6_P12ihipStream_tbENKUlT_T0_E_clISt17integral_constantIbLb1EEST_IbLb0EEEEDaSP_SQ_EUlSP_E_NS1_11comp_targetILNS1_3genE10ELNS1_11target_archE1201ELNS1_3gpuE5ELNS1_3repE0EEENS1_30default_config_static_selectorELNS0_4arch9wavefront6targetE1EEEvT1_: ; @_ZN7rocprim17ROCPRIM_400000_NS6detail17trampoline_kernelINS0_14default_configENS1_20scan_config_selectorItEEZZNS1_9scan_implILNS1_25lookback_scan_determinismE0ELb1ELb1ES3_N6thrust23THRUST_200600_302600_NS6detail15normal_iteratorINS9_10device_ptrItEEEESE_t11max_functorItEtEEDaPvRmT3_T4_T5_mT6_P12ihipStream_tbENKUlT_T0_E_clISt17integral_constantIbLb1EEST_IbLb0EEEEDaSP_SQ_EUlSP_E_NS1_11comp_targetILNS1_3genE10ELNS1_11target_archE1201ELNS1_3gpuE5ELNS1_3repE0EEENS1_30default_config_static_selectorELNS0_4arch9wavefront6targetE1EEEvT1_
; %bb.0:
	.section	.rodata,"a",@progbits
	.p2align	6, 0x0
	.amdhsa_kernel _ZN7rocprim17ROCPRIM_400000_NS6detail17trampoline_kernelINS0_14default_configENS1_20scan_config_selectorItEEZZNS1_9scan_implILNS1_25lookback_scan_determinismE0ELb1ELb1ES3_N6thrust23THRUST_200600_302600_NS6detail15normal_iteratorINS9_10device_ptrItEEEESE_t11max_functorItEtEEDaPvRmT3_T4_T5_mT6_P12ihipStream_tbENKUlT_T0_E_clISt17integral_constantIbLb1EEST_IbLb0EEEEDaSP_SQ_EUlSP_E_NS1_11comp_targetILNS1_3genE10ELNS1_11target_archE1201ELNS1_3gpuE5ELNS1_3repE0EEENS1_30default_config_static_selectorELNS0_4arch9wavefront6targetE1EEEvT1_
		.amdhsa_group_segment_fixed_size 0
		.amdhsa_private_segment_fixed_size 0
		.amdhsa_kernarg_size 96
		.amdhsa_user_sgpr_count 6
		.amdhsa_user_sgpr_private_segment_buffer 1
		.amdhsa_user_sgpr_dispatch_ptr 0
		.amdhsa_user_sgpr_queue_ptr 0
		.amdhsa_user_sgpr_kernarg_segment_ptr 1
		.amdhsa_user_sgpr_dispatch_id 0
		.amdhsa_user_sgpr_flat_scratch_init 0
		.amdhsa_user_sgpr_kernarg_preload_length 0
		.amdhsa_user_sgpr_kernarg_preload_offset 0
		.amdhsa_user_sgpr_private_segment_size 0
		.amdhsa_uses_dynamic_stack 0
		.amdhsa_system_sgpr_private_segment_wavefront_offset 0
		.amdhsa_system_sgpr_workgroup_id_x 1
		.amdhsa_system_sgpr_workgroup_id_y 0
		.amdhsa_system_sgpr_workgroup_id_z 0
		.amdhsa_system_sgpr_workgroup_info 0
		.amdhsa_system_vgpr_workitem_id 0
		.amdhsa_next_free_vgpr 1
		.amdhsa_next_free_sgpr 0
		.amdhsa_accum_offset 4
		.amdhsa_reserve_vcc 0
		.amdhsa_reserve_flat_scratch 0
		.amdhsa_float_round_mode_32 0
		.amdhsa_float_round_mode_16_64 0
		.amdhsa_float_denorm_mode_32 3
		.amdhsa_float_denorm_mode_16_64 3
		.amdhsa_dx10_clamp 1
		.amdhsa_ieee_mode 1
		.amdhsa_fp16_overflow 0
		.amdhsa_tg_split 0
		.amdhsa_exception_fp_ieee_invalid_op 0
		.amdhsa_exception_fp_denorm_src 0
		.amdhsa_exception_fp_ieee_div_zero 0
		.amdhsa_exception_fp_ieee_overflow 0
		.amdhsa_exception_fp_ieee_underflow 0
		.amdhsa_exception_fp_ieee_inexact 0
		.amdhsa_exception_int_div_zero 0
	.end_amdhsa_kernel
	.section	.text._ZN7rocprim17ROCPRIM_400000_NS6detail17trampoline_kernelINS0_14default_configENS1_20scan_config_selectorItEEZZNS1_9scan_implILNS1_25lookback_scan_determinismE0ELb1ELb1ES3_N6thrust23THRUST_200600_302600_NS6detail15normal_iteratorINS9_10device_ptrItEEEESE_t11max_functorItEtEEDaPvRmT3_T4_T5_mT6_P12ihipStream_tbENKUlT_T0_E_clISt17integral_constantIbLb1EEST_IbLb0EEEEDaSP_SQ_EUlSP_E_NS1_11comp_targetILNS1_3genE10ELNS1_11target_archE1201ELNS1_3gpuE5ELNS1_3repE0EEENS1_30default_config_static_selectorELNS0_4arch9wavefront6targetE1EEEvT1_,"axG",@progbits,_ZN7rocprim17ROCPRIM_400000_NS6detail17trampoline_kernelINS0_14default_configENS1_20scan_config_selectorItEEZZNS1_9scan_implILNS1_25lookback_scan_determinismE0ELb1ELb1ES3_N6thrust23THRUST_200600_302600_NS6detail15normal_iteratorINS9_10device_ptrItEEEESE_t11max_functorItEtEEDaPvRmT3_T4_T5_mT6_P12ihipStream_tbENKUlT_T0_E_clISt17integral_constantIbLb1EEST_IbLb0EEEEDaSP_SQ_EUlSP_E_NS1_11comp_targetILNS1_3genE10ELNS1_11target_archE1201ELNS1_3gpuE5ELNS1_3repE0EEENS1_30default_config_static_selectorELNS0_4arch9wavefront6targetE1EEEvT1_,comdat
.Lfunc_end2527:
	.size	_ZN7rocprim17ROCPRIM_400000_NS6detail17trampoline_kernelINS0_14default_configENS1_20scan_config_selectorItEEZZNS1_9scan_implILNS1_25lookback_scan_determinismE0ELb1ELb1ES3_N6thrust23THRUST_200600_302600_NS6detail15normal_iteratorINS9_10device_ptrItEEEESE_t11max_functorItEtEEDaPvRmT3_T4_T5_mT6_P12ihipStream_tbENKUlT_T0_E_clISt17integral_constantIbLb1EEST_IbLb0EEEEDaSP_SQ_EUlSP_E_NS1_11comp_targetILNS1_3genE10ELNS1_11target_archE1201ELNS1_3gpuE5ELNS1_3repE0EEENS1_30default_config_static_selectorELNS0_4arch9wavefront6targetE1EEEvT1_, .Lfunc_end2527-_ZN7rocprim17ROCPRIM_400000_NS6detail17trampoline_kernelINS0_14default_configENS1_20scan_config_selectorItEEZZNS1_9scan_implILNS1_25lookback_scan_determinismE0ELb1ELb1ES3_N6thrust23THRUST_200600_302600_NS6detail15normal_iteratorINS9_10device_ptrItEEEESE_t11max_functorItEtEEDaPvRmT3_T4_T5_mT6_P12ihipStream_tbENKUlT_T0_E_clISt17integral_constantIbLb1EEST_IbLb0EEEEDaSP_SQ_EUlSP_E_NS1_11comp_targetILNS1_3genE10ELNS1_11target_archE1201ELNS1_3gpuE5ELNS1_3repE0EEENS1_30default_config_static_selectorELNS0_4arch9wavefront6targetE1EEEvT1_
                                        ; -- End function
	.section	.AMDGPU.csdata,"",@progbits
; Kernel info:
; codeLenInByte = 0
; NumSgprs: 4
; NumVgprs: 0
; NumAgprs: 0
; TotalNumVgprs: 0
; ScratchSize: 0
; MemoryBound: 0
; FloatMode: 240
; IeeeMode: 1
; LDSByteSize: 0 bytes/workgroup (compile time only)
; SGPRBlocks: 0
; VGPRBlocks: 0
; NumSGPRsForWavesPerEU: 4
; NumVGPRsForWavesPerEU: 1
; AccumOffset: 4
; Occupancy: 8
; WaveLimiterHint : 0
; COMPUTE_PGM_RSRC2:SCRATCH_EN: 0
; COMPUTE_PGM_RSRC2:USER_SGPR: 6
; COMPUTE_PGM_RSRC2:TRAP_HANDLER: 0
; COMPUTE_PGM_RSRC2:TGID_X_EN: 1
; COMPUTE_PGM_RSRC2:TGID_Y_EN: 0
; COMPUTE_PGM_RSRC2:TGID_Z_EN: 0
; COMPUTE_PGM_RSRC2:TIDIG_COMP_CNT: 0
; COMPUTE_PGM_RSRC3_GFX90A:ACCUM_OFFSET: 0
; COMPUTE_PGM_RSRC3_GFX90A:TG_SPLIT: 0
	.section	.text._ZN7rocprim17ROCPRIM_400000_NS6detail17trampoline_kernelINS0_14default_configENS1_20scan_config_selectorItEEZZNS1_9scan_implILNS1_25lookback_scan_determinismE0ELb1ELb1ES3_N6thrust23THRUST_200600_302600_NS6detail15normal_iteratorINS9_10device_ptrItEEEESE_t11max_functorItEtEEDaPvRmT3_T4_T5_mT6_P12ihipStream_tbENKUlT_T0_E_clISt17integral_constantIbLb1EEST_IbLb0EEEEDaSP_SQ_EUlSP_E_NS1_11comp_targetILNS1_3genE10ELNS1_11target_archE1200ELNS1_3gpuE4ELNS1_3repE0EEENS1_30default_config_static_selectorELNS0_4arch9wavefront6targetE1EEEvT1_,"axG",@progbits,_ZN7rocprim17ROCPRIM_400000_NS6detail17trampoline_kernelINS0_14default_configENS1_20scan_config_selectorItEEZZNS1_9scan_implILNS1_25lookback_scan_determinismE0ELb1ELb1ES3_N6thrust23THRUST_200600_302600_NS6detail15normal_iteratorINS9_10device_ptrItEEEESE_t11max_functorItEtEEDaPvRmT3_T4_T5_mT6_P12ihipStream_tbENKUlT_T0_E_clISt17integral_constantIbLb1EEST_IbLb0EEEEDaSP_SQ_EUlSP_E_NS1_11comp_targetILNS1_3genE10ELNS1_11target_archE1200ELNS1_3gpuE4ELNS1_3repE0EEENS1_30default_config_static_selectorELNS0_4arch9wavefront6targetE1EEEvT1_,comdat
	.protected	_ZN7rocprim17ROCPRIM_400000_NS6detail17trampoline_kernelINS0_14default_configENS1_20scan_config_selectorItEEZZNS1_9scan_implILNS1_25lookback_scan_determinismE0ELb1ELb1ES3_N6thrust23THRUST_200600_302600_NS6detail15normal_iteratorINS9_10device_ptrItEEEESE_t11max_functorItEtEEDaPvRmT3_T4_T5_mT6_P12ihipStream_tbENKUlT_T0_E_clISt17integral_constantIbLb1EEST_IbLb0EEEEDaSP_SQ_EUlSP_E_NS1_11comp_targetILNS1_3genE10ELNS1_11target_archE1200ELNS1_3gpuE4ELNS1_3repE0EEENS1_30default_config_static_selectorELNS0_4arch9wavefront6targetE1EEEvT1_ ; -- Begin function _ZN7rocprim17ROCPRIM_400000_NS6detail17trampoline_kernelINS0_14default_configENS1_20scan_config_selectorItEEZZNS1_9scan_implILNS1_25lookback_scan_determinismE0ELb1ELb1ES3_N6thrust23THRUST_200600_302600_NS6detail15normal_iteratorINS9_10device_ptrItEEEESE_t11max_functorItEtEEDaPvRmT3_T4_T5_mT6_P12ihipStream_tbENKUlT_T0_E_clISt17integral_constantIbLb1EEST_IbLb0EEEEDaSP_SQ_EUlSP_E_NS1_11comp_targetILNS1_3genE10ELNS1_11target_archE1200ELNS1_3gpuE4ELNS1_3repE0EEENS1_30default_config_static_selectorELNS0_4arch9wavefront6targetE1EEEvT1_
	.globl	_ZN7rocprim17ROCPRIM_400000_NS6detail17trampoline_kernelINS0_14default_configENS1_20scan_config_selectorItEEZZNS1_9scan_implILNS1_25lookback_scan_determinismE0ELb1ELb1ES3_N6thrust23THRUST_200600_302600_NS6detail15normal_iteratorINS9_10device_ptrItEEEESE_t11max_functorItEtEEDaPvRmT3_T4_T5_mT6_P12ihipStream_tbENKUlT_T0_E_clISt17integral_constantIbLb1EEST_IbLb0EEEEDaSP_SQ_EUlSP_E_NS1_11comp_targetILNS1_3genE10ELNS1_11target_archE1200ELNS1_3gpuE4ELNS1_3repE0EEENS1_30default_config_static_selectorELNS0_4arch9wavefront6targetE1EEEvT1_
	.p2align	8
	.type	_ZN7rocprim17ROCPRIM_400000_NS6detail17trampoline_kernelINS0_14default_configENS1_20scan_config_selectorItEEZZNS1_9scan_implILNS1_25lookback_scan_determinismE0ELb1ELb1ES3_N6thrust23THRUST_200600_302600_NS6detail15normal_iteratorINS9_10device_ptrItEEEESE_t11max_functorItEtEEDaPvRmT3_T4_T5_mT6_P12ihipStream_tbENKUlT_T0_E_clISt17integral_constantIbLb1EEST_IbLb0EEEEDaSP_SQ_EUlSP_E_NS1_11comp_targetILNS1_3genE10ELNS1_11target_archE1200ELNS1_3gpuE4ELNS1_3repE0EEENS1_30default_config_static_selectorELNS0_4arch9wavefront6targetE1EEEvT1_,@function
_ZN7rocprim17ROCPRIM_400000_NS6detail17trampoline_kernelINS0_14default_configENS1_20scan_config_selectorItEEZZNS1_9scan_implILNS1_25lookback_scan_determinismE0ELb1ELb1ES3_N6thrust23THRUST_200600_302600_NS6detail15normal_iteratorINS9_10device_ptrItEEEESE_t11max_functorItEtEEDaPvRmT3_T4_T5_mT6_P12ihipStream_tbENKUlT_T0_E_clISt17integral_constantIbLb1EEST_IbLb0EEEEDaSP_SQ_EUlSP_E_NS1_11comp_targetILNS1_3genE10ELNS1_11target_archE1200ELNS1_3gpuE4ELNS1_3repE0EEENS1_30default_config_static_selectorELNS0_4arch9wavefront6targetE1EEEvT1_: ; @_ZN7rocprim17ROCPRIM_400000_NS6detail17trampoline_kernelINS0_14default_configENS1_20scan_config_selectorItEEZZNS1_9scan_implILNS1_25lookback_scan_determinismE0ELb1ELb1ES3_N6thrust23THRUST_200600_302600_NS6detail15normal_iteratorINS9_10device_ptrItEEEESE_t11max_functorItEtEEDaPvRmT3_T4_T5_mT6_P12ihipStream_tbENKUlT_T0_E_clISt17integral_constantIbLb1EEST_IbLb0EEEEDaSP_SQ_EUlSP_E_NS1_11comp_targetILNS1_3genE10ELNS1_11target_archE1200ELNS1_3gpuE4ELNS1_3repE0EEENS1_30default_config_static_selectorELNS0_4arch9wavefront6targetE1EEEvT1_
; %bb.0:
	.section	.rodata,"a",@progbits
	.p2align	6, 0x0
	.amdhsa_kernel _ZN7rocprim17ROCPRIM_400000_NS6detail17trampoline_kernelINS0_14default_configENS1_20scan_config_selectorItEEZZNS1_9scan_implILNS1_25lookback_scan_determinismE0ELb1ELb1ES3_N6thrust23THRUST_200600_302600_NS6detail15normal_iteratorINS9_10device_ptrItEEEESE_t11max_functorItEtEEDaPvRmT3_T4_T5_mT6_P12ihipStream_tbENKUlT_T0_E_clISt17integral_constantIbLb1EEST_IbLb0EEEEDaSP_SQ_EUlSP_E_NS1_11comp_targetILNS1_3genE10ELNS1_11target_archE1200ELNS1_3gpuE4ELNS1_3repE0EEENS1_30default_config_static_selectorELNS0_4arch9wavefront6targetE1EEEvT1_
		.amdhsa_group_segment_fixed_size 0
		.amdhsa_private_segment_fixed_size 0
		.amdhsa_kernarg_size 96
		.amdhsa_user_sgpr_count 6
		.amdhsa_user_sgpr_private_segment_buffer 1
		.amdhsa_user_sgpr_dispatch_ptr 0
		.amdhsa_user_sgpr_queue_ptr 0
		.amdhsa_user_sgpr_kernarg_segment_ptr 1
		.amdhsa_user_sgpr_dispatch_id 0
		.amdhsa_user_sgpr_flat_scratch_init 0
		.amdhsa_user_sgpr_kernarg_preload_length 0
		.amdhsa_user_sgpr_kernarg_preload_offset 0
		.amdhsa_user_sgpr_private_segment_size 0
		.amdhsa_uses_dynamic_stack 0
		.amdhsa_system_sgpr_private_segment_wavefront_offset 0
		.amdhsa_system_sgpr_workgroup_id_x 1
		.amdhsa_system_sgpr_workgroup_id_y 0
		.amdhsa_system_sgpr_workgroup_id_z 0
		.amdhsa_system_sgpr_workgroup_info 0
		.amdhsa_system_vgpr_workitem_id 0
		.amdhsa_next_free_vgpr 1
		.amdhsa_next_free_sgpr 0
		.amdhsa_accum_offset 4
		.amdhsa_reserve_vcc 0
		.amdhsa_reserve_flat_scratch 0
		.amdhsa_float_round_mode_32 0
		.amdhsa_float_round_mode_16_64 0
		.amdhsa_float_denorm_mode_32 3
		.amdhsa_float_denorm_mode_16_64 3
		.amdhsa_dx10_clamp 1
		.amdhsa_ieee_mode 1
		.amdhsa_fp16_overflow 0
		.amdhsa_tg_split 0
		.amdhsa_exception_fp_ieee_invalid_op 0
		.amdhsa_exception_fp_denorm_src 0
		.amdhsa_exception_fp_ieee_div_zero 0
		.amdhsa_exception_fp_ieee_overflow 0
		.amdhsa_exception_fp_ieee_underflow 0
		.amdhsa_exception_fp_ieee_inexact 0
		.amdhsa_exception_int_div_zero 0
	.end_amdhsa_kernel
	.section	.text._ZN7rocprim17ROCPRIM_400000_NS6detail17trampoline_kernelINS0_14default_configENS1_20scan_config_selectorItEEZZNS1_9scan_implILNS1_25lookback_scan_determinismE0ELb1ELb1ES3_N6thrust23THRUST_200600_302600_NS6detail15normal_iteratorINS9_10device_ptrItEEEESE_t11max_functorItEtEEDaPvRmT3_T4_T5_mT6_P12ihipStream_tbENKUlT_T0_E_clISt17integral_constantIbLb1EEST_IbLb0EEEEDaSP_SQ_EUlSP_E_NS1_11comp_targetILNS1_3genE10ELNS1_11target_archE1200ELNS1_3gpuE4ELNS1_3repE0EEENS1_30default_config_static_selectorELNS0_4arch9wavefront6targetE1EEEvT1_,"axG",@progbits,_ZN7rocprim17ROCPRIM_400000_NS6detail17trampoline_kernelINS0_14default_configENS1_20scan_config_selectorItEEZZNS1_9scan_implILNS1_25lookback_scan_determinismE0ELb1ELb1ES3_N6thrust23THRUST_200600_302600_NS6detail15normal_iteratorINS9_10device_ptrItEEEESE_t11max_functorItEtEEDaPvRmT3_T4_T5_mT6_P12ihipStream_tbENKUlT_T0_E_clISt17integral_constantIbLb1EEST_IbLb0EEEEDaSP_SQ_EUlSP_E_NS1_11comp_targetILNS1_3genE10ELNS1_11target_archE1200ELNS1_3gpuE4ELNS1_3repE0EEENS1_30default_config_static_selectorELNS0_4arch9wavefront6targetE1EEEvT1_,comdat
.Lfunc_end2528:
	.size	_ZN7rocprim17ROCPRIM_400000_NS6detail17trampoline_kernelINS0_14default_configENS1_20scan_config_selectorItEEZZNS1_9scan_implILNS1_25lookback_scan_determinismE0ELb1ELb1ES3_N6thrust23THRUST_200600_302600_NS6detail15normal_iteratorINS9_10device_ptrItEEEESE_t11max_functorItEtEEDaPvRmT3_T4_T5_mT6_P12ihipStream_tbENKUlT_T0_E_clISt17integral_constantIbLb1EEST_IbLb0EEEEDaSP_SQ_EUlSP_E_NS1_11comp_targetILNS1_3genE10ELNS1_11target_archE1200ELNS1_3gpuE4ELNS1_3repE0EEENS1_30default_config_static_selectorELNS0_4arch9wavefront6targetE1EEEvT1_, .Lfunc_end2528-_ZN7rocprim17ROCPRIM_400000_NS6detail17trampoline_kernelINS0_14default_configENS1_20scan_config_selectorItEEZZNS1_9scan_implILNS1_25lookback_scan_determinismE0ELb1ELb1ES3_N6thrust23THRUST_200600_302600_NS6detail15normal_iteratorINS9_10device_ptrItEEEESE_t11max_functorItEtEEDaPvRmT3_T4_T5_mT6_P12ihipStream_tbENKUlT_T0_E_clISt17integral_constantIbLb1EEST_IbLb0EEEEDaSP_SQ_EUlSP_E_NS1_11comp_targetILNS1_3genE10ELNS1_11target_archE1200ELNS1_3gpuE4ELNS1_3repE0EEENS1_30default_config_static_selectorELNS0_4arch9wavefront6targetE1EEEvT1_
                                        ; -- End function
	.section	.AMDGPU.csdata,"",@progbits
; Kernel info:
; codeLenInByte = 0
; NumSgprs: 4
; NumVgprs: 0
; NumAgprs: 0
; TotalNumVgprs: 0
; ScratchSize: 0
; MemoryBound: 0
; FloatMode: 240
; IeeeMode: 1
; LDSByteSize: 0 bytes/workgroup (compile time only)
; SGPRBlocks: 0
; VGPRBlocks: 0
; NumSGPRsForWavesPerEU: 4
; NumVGPRsForWavesPerEU: 1
; AccumOffset: 4
; Occupancy: 8
; WaveLimiterHint : 0
; COMPUTE_PGM_RSRC2:SCRATCH_EN: 0
; COMPUTE_PGM_RSRC2:USER_SGPR: 6
; COMPUTE_PGM_RSRC2:TRAP_HANDLER: 0
; COMPUTE_PGM_RSRC2:TGID_X_EN: 1
; COMPUTE_PGM_RSRC2:TGID_Y_EN: 0
; COMPUTE_PGM_RSRC2:TGID_Z_EN: 0
; COMPUTE_PGM_RSRC2:TIDIG_COMP_CNT: 0
; COMPUTE_PGM_RSRC3_GFX90A:ACCUM_OFFSET: 0
; COMPUTE_PGM_RSRC3_GFX90A:TG_SPLIT: 0
	.section	.text._ZN7rocprim17ROCPRIM_400000_NS6detail17trampoline_kernelINS0_14default_configENS1_20scan_config_selectorItEEZZNS1_9scan_implILNS1_25lookback_scan_determinismE0ELb1ELb1ES3_N6thrust23THRUST_200600_302600_NS6detail15normal_iteratorINS9_10device_ptrItEEEESE_t11max_functorItEtEEDaPvRmT3_T4_T5_mT6_P12ihipStream_tbENKUlT_T0_E_clISt17integral_constantIbLb1EEST_IbLb0EEEEDaSP_SQ_EUlSP_E_NS1_11comp_targetILNS1_3genE9ELNS1_11target_archE1100ELNS1_3gpuE3ELNS1_3repE0EEENS1_30default_config_static_selectorELNS0_4arch9wavefront6targetE1EEEvT1_,"axG",@progbits,_ZN7rocprim17ROCPRIM_400000_NS6detail17trampoline_kernelINS0_14default_configENS1_20scan_config_selectorItEEZZNS1_9scan_implILNS1_25lookback_scan_determinismE0ELb1ELb1ES3_N6thrust23THRUST_200600_302600_NS6detail15normal_iteratorINS9_10device_ptrItEEEESE_t11max_functorItEtEEDaPvRmT3_T4_T5_mT6_P12ihipStream_tbENKUlT_T0_E_clISt17integral_constantIbLb1EEST_IbLb0EEEEDaSP_SQ_EUlSP_E_NS1_11comp_targetILNS1_3genE9ELNS1_11target_archE1100ELNS1_3gpuE3ELNS1_3repE0EEENS1_30default_config_static_selectorELNS0_4arch9wavefront6targetE1EEEvT1_,comdat
	.protected	_ZN7rocprim17ROCPRIM_400000_NS6detail17trampoline_kernelINS0_14default_configENS1_20scan_config_selectorItEEZZNS1_9scan_implILNS1_25lookback_scan_determinismE0ELb1ELb1ES3_N6thrust23THRUST_200600_302600_NS6detail15normal_iteratorINS9_10device_ptrItEEEESE_t11max_functorItEtEEDaPvRmT3_T4_T5_mT6_P12ihipStream_tbENKUlT_T0_E_clISt17integral_constantIbLb1EEST_IbLb0EEEEDaSP_SQ_EUlSP_E_NS1_11comp_targetILNS1_3genE9ELNS1_11target_archE1100ELNS1_3gpuE3ELNS1_3repE0EEENS1_30default_config_static_selectorELNS0_4arch9wavefront6targetE1EEEvT1_ ; -- Begin function _ZN7rocprim17ROCPRIM_400000_NS6detail17trampoline_kernelINS0_14default_configENS1_20scan_config_selectorItEEZZNS1_9scan_implILNS1_25lookback_scan_determinismE0ELb1ELb1ES3_N6thrust23THRUST_200600_302600_NS6detail15normal_iteratorINS9_10device_ptrItEEEESE_t11max_functorItEtEEDaPvRmT3_T4_T5_mT6_P12ihipStream_tbENKUlT_T0_E_clISt17integral_constantIbLb1EEST_IbLb0EEEEDaSP_SQ_EUlSP_E_NS1_11comp_targetILNS1_3genE9ELNS1_11target_archE1100ELNS1_3gpuE3ELNS1_3repE0EEENS1_30default_config_static_selectorELNS0_4arch9wavefront6targetE1EEEvT1_
	.globl	_ZN7rocprim17ROCPRIM_400000_NS6detail17trampoline_kernelINS0_14default_configENS1_20scan_config_selectorItEEZZNS1_9scan_implILNS1_25lookback_scan_determinismE0ELb1ELb1ES3_N6thrust23THRUST_200600_302600_NS6detail15normal_iteratorINS9_10device_ptrItEEEESE_t11max_functorItEtEEDaPvRmT3_T4_T5_mT6_P12ihipStream_tbENKUlT_T0_E_clISt17integral_constantIbLb1EEST_IbLb0EEEEDaSP_SQ_EUlSP_E_NS1_11comp_targetILNS1_3genE9ELNS1_11target_archE1100ELNS1_3gpuE3ELNS1_3repE0EEENS1_30default_config_static_selectorELNS0_4arch9wavefront6targetE1EEEvT1_
	.p2align	8
	.type	_ZN7rocprim17ROCPRIM_400000_NS6detail17trampoline_kernelINS0_14default_configENS1_20scan_config_selectorItEEZZNS1_9scan_implILNS1_25lookback_scan_determinismE0ELb1ELb1ES3_N6thrust23THRUST_200600_302600_NS6detail15normal_iteratorINS9_10device_ptrItEEEESE_t11max_functorItEtEEDaPvRmT3_T4_T5_mT6_P12ihipStream_tbENKUlT_T0_E_clISt17integral_constantIbLb1EEST_IbLb0EEEEDaSP_SQ_EUlSP_E_NS1_11comp_targetILNS1_3genE9ELNS1_11target_archE1100ELNS1_3gpuE3ELNS1_3repE0EEENS1_30default_config_static_selectorELNS0_4arch9wavefront6targetE1EEEvT1_,@function
_ZN7rocprim17ROCPRIM_400000_NS6detail17trampoline_kernelINS0_14default_configENS1_20scan_config_selectorItEEZZNS1_9scan_implILNS1_25lookback_scan_determinismE0ELb1ELb1ES3_N6thrust23THRUST_200600_302600_NS6detail15normal_iteratorINS9_10device_ptrItEEEESE_t11max_functorItEtEEDaPvRmT3_T4_T5_mT6_P12ihipStream_tbENKUlT_T0_E_clISt17integral_constantIbLb1EEST_IbLb0EEEEDaSP_SQ_EUlSP_E_NS1_11comp_targetILNS1_3genE9ELNS1_11target_archE1100ELNS1_3gpuE3ELNS1_3repE0EEENS1_30default_config_static_selectorELNS0_4arch9wavefront6targetE1EEEvT1_: ; @_ZN7rocprim17ROCPRIM_400000_NS6detail17trampoline_kernelINS0_14default_configENS1_20scan_config_selectorItEEZZNS1_9scan_implILNS1_25lookback_scan_determinismE0ELb1ELb1ES3_N6thrust23THRUST_200600_302600_NS6detail15normal_iteratorINS9_10device_ptrItEEEESE_t11max_functorItEtEEDaPvRmT3_T4_T5_mT6_P12ihipStream_tbENKUlT_T0_E_clISt17integral_constantIbLb1EEST_IbLb0EEEEDaSP_SQ_EUlSP_E_NS1_11comp_targetILNS1_3genE9ELNS1_11target_archE1100ELNS1_3gpuE3ELNS1_3repE0EEENS1_30default_config_static_selectorELNS0_4arch9wavefront6targetE1EEEvT1_
; %bb.0:
	.section	.rodata,"a",@progbits
	.p2align	6, 0x0
	.amdhsa_kernel _ZN7rocprim17ROCPRIM_400000_NS6detail17trampoline_kernelINS0_14default_configENS1_20scan_config_selectorItEEZZNS1_9scan_implILNS1_25lookback_scan_determinismE0ELb1ELb1ES3_N6thrust23THRUST_200600_302600_NS6detail15normal_iteratorINS9_10device_ptrItEEEESE_t11max_functorItEtEEDaPvRmT3_T4_T5_mT6_P12ihipStream_tbENKUlT_T0_E_clISt17integral_constantIbLb1EEST_IbLb0EEEEDaSP_SQ_EUlSP_E_NS1_11comp_targetILNS1_3genE9ELNS1_11target_archE1100ELNS1_3gpuE3ELNS1_3repE0EEENS1_30default_config_static_selectorELNS0_4arch9wavefront6targetE1EEEvT1_
		.amdhsa_group_segment_fixed_size 0
		.amdhsa_private_segment_fixed_size 0
		.amdhsa_kernarg_size 96
		.amdhsa_user_sgpr_count 6
		.amdhsa_user_sgpr_private_segment_buffer 1
		.amdhsa_user_sgpr_dispatch_ptr 0
		.amdhsa_user_sgpr_queue_ptr 0
		.amdhsa_user_sgpr_kernarg_segment_ptr 1
		.amdhsa_user_sgpr_dispatch_id 0
		.amdhsa_user_sgpr_flat_scratch_init 0
		.amdhsa_user_sgpr_kernarg_preload_length 0
		.amdhsa_user_sgpr_kernarg_preload_offset 0
		.amdhsa_user_sgpr_private_segment_size 0
		.amdhsa_uses_dynamic_stack 0
		.amdhsa_system_sgpr_private_segment_wavefront_offset 0
		.amdhsa_system_sgpr_workgroup_id_x 1
		.amdhsa_system_sgpr_workgroup_id_y 0
		.amdhsa_system_sgpr_workgroup_id_z 0
		.amdhsa_system_sgpr_workgroup_info 0
		.amdhsa_system_vgpr_workitem_id 0
		.amdhsa_next_free_vgpr 1
		.amdhsa_next_free_sgpr 0
		.amdhsa_accum_offset 4
		.amdhsa_reserve_vcc 0
		.amdhsa_reserve_flat_scratch 0
		.amdhsa_float_round_mode_32 0
		.amdhsa_float_round_mode_16_64 0
		.amdhsa_float_denorm_mode_32 3
		.amdhsa_float_denorm_mode_16_64 3
		.amdhsa_dx10_clamp 1
		.amdhsa_ieee_mode 1
		.amdhsa_fp16_overflow 0
		.amdhsa_tg_split 0
		.amdhsa_exception_fp_ieee_invalid_op 0
		.amdhsa_exception_fp_denorm_src 0
		.amdhsa_exception_fp_ieee_div_zero 0
		.amdhsa_exception_fp_ieee_overflow 0
		.amdhsa_exception_fp_ieee_underflow 0
		.amdhsa_exception_fp_ieee_inexact 0
		.amdhsa_exception_int_div_zero 0
	.end_amdhsa_kernel
	.section	.text._ZN7rocprim17ROCPRIM_400000_NS6detail17trampoline_kernelINS0_14default_configENS1_20scan_config_selectorItEEZZNS1_9scan_implILNS1_25lookback_scan_determinismE0ELb1ELb1ES3_N6thrust23THRUST_200600_302600_NS6detail15normal_iteratorINS9_10device_ptrItEEEESE_t11max_functorItEtEEDaPvRmT3_T4_T5_mT6_P12ihipStream_tbENKUlT_T0_E_clISt17integral_constantIbLb1EEST_IbLb0EEEEDaSP_SQ_EUlSP_E_NS1_11comp_targetILNS1_3genE9ELNS1_11target_archE1100ELNS1_3gpuE3ELNS1_3repE0EEENS1_30default_config_static_selectorELNS0_4arch9wavefront6targetE1EEEvT1_,"axG",@progbits,_ZN7rocprim17ROCPRIM_400000_NS6detail17trampoline_kernelINS0_14default_configENS1_20scan_config_selectorItEEZZNS1_9scan_implILNS1_25lookback_scan_determinismE0ELb1ELb1ES3_N6thrust23THRUST_200600_302600_NS6detail15normal_iteratorINS9_10device_ptrItEEEESE_t11max_functorItEtEEDaPvRmT3_T4_T5_mT6_P12ihipStream_tbENKUlT_T0_E_clISt17integral_constantIbLb1EEST_IbLb0EEEEDaSP_SQ_EUlSP_E_NS1_11comp_targetILNS1_3genE9ELNS1_11target_archE1100ELNS1_3gpuE3ELNS1_3repE0EEENS1_30default_config_static_selectorELNS0_4arch9wavefront6targetE1EEEvT1_,comdat
.Lfunc_end2529:
	.size	_ZN7rocprim17ROCPRIM_400000_NS6detail17trampoline_kernelINS0_14default_configENS1_20scan_config_selectorItEEZZNS1_9scan_implILNS1_25lookback_scan_determinismE0ELb1ELb1ES3_N6thrust23THRUST_200600_302600_NS6detail15normal_iteratorINS9_10device_ptrItEEEESE_t11max_functorItEtEEDaPvRmT3_T4_T5_mT6_P12ihipStream_tbENKUlT_T0_E_clISt17integral_constantIbLb1EEST_IbLb0EEEEDaSP_SQ_EUlSP_E_NS1_11comp_targetILNS1_3genE9ELNS1_11target_archE1100ELNS1_3gpuE3ELNS1_3repE0EEENS1_30default_config_static_selectorELNS0_4arch9wavefront6targetE1EEEvT1_, .Lfunc_end2529-_ZN7rocprim17ROCPRIM_400000_NS6detail17trampoline_kernelINS0_14default_configENS1_20scan_config_selectorItEEZZNS1_9scan_implILNS1_25lookback_scan_determinismE0ELb1ELb1ES3_N6thrust23THRUST_200600_302600_NS6detail15normal_iteratorINS9_10device_ptrItEEEESE_t11max_functorItEtEEDaPvRmT3_T4_T5_mT6_P12ihipStream_tbENKUlT_T0_E_clISt17integral_constantIbLb1EEST_IbLb0EEEEDaSP_SQ_EUlSP_E_NS1_11comp_targetILNS1_3genE9ELNS1_11target_archE1100ELNS1_3gpuE3ELNS1_3repE0EEENS1_30default_config_static_selectorELNS0_4arch9wavefront6targetE1EEEvT1_
                                        ; -- End function
	.section	.AMDGPU.csdata,"",@progbits
; Kernel info:
; codeLenInByte = 0
; NumSgprs: 4
; NumVgprs: 0
; NumAgprs: 0
; TotalNumVgprs: 0
; ScratchSize: 0
; MemoryBound: 0
; FloatMode: 240
; IeeeMode: 1
; LDSByteSize: 0 bytes/workgroup (compile time only)
; SGPRBlocks: 0
; VGPRBlocks: 0
; NumSGPRsForWavesPerEU: 4
; NumVGPRsForWavesPerEU: 1
; AccumOffset: 4
; Occupancy: 8
; WaveLimiterHint : 0
; COMPUTE_PGM_RSRC2:SCRATCH_EN: 0
; COMPUTE_PGM_RSRC2:USER_SGPR: 6
; COMPUTE_PGM_RSRC2:TRAP_HANDLER: 0
; COMPUTE_PGM_RSRC2:TGID_X_EN: 1
; COMPUTE_PGM_RSRC2:TGID_Y_EN: 0
; COMPUTE_PGM_RSRC2:TGID_Z_EN: 0
; COMPUTE_PGM_RSRC2:TIDIG_COMP_CNT: 0
; COMPUTE_PGM_RSRC3_GFX90A:ACCUM_OFFSET: 0
; COMPUTE_PGM_RSRC3_GFX90A:TG_SPLIT: 0
	.section	.text._ZN7rocprim17ROCPRIM_400000_NS6detail17trampoline_kernelINS0_14default_configENS1_20scan_config_selectorItEEZZNS1_9scan_implILNS1_25lookback_scan_determinismE0ELb1ELb1ES3_N6thrust23THRUST_200600_302600_NS6detail15normal_iteratorINS9_10device_ptrItEEEESE_t11max_functorItEtEEDaPvRmT3_T4_T5_mT6_P12ihipStream_tbENKUlT_T0_E_clISt17integral_constantIbLb1EEST_IbLb0EEEEDaSP_SQ_EUlSP_E_NS1_11comp_targetILNS1_3genE8ELNS1_11target_archE1030ELNS1_3gpuE2ELNS1_3repE0EEENS1_30default_config_static_selectorELNS0_4arch9wavefront6targetE1EEEvT1_,"axG",@progbits,_ZN7rocprim17ROCPRIM_400000_NS6detail17trampoline_kernelINS0_14default_configENS1_20scan_config_selectorItEEZZNS1_9scan_implILNS1_25lookback_scan_determinismE0ELb1ELb1ES3_N6thrust23THRUST_200600_302600_NS6detail15normal_iteratorINS9_10device_ptrItEEEESE_t11max_functorItEtEEDaPvRmT3_T4_T5_mT6_P12ihipStream_tbENKUlT_T0_E_clISt17integral_constantIbLb1EEST_IbLb0EEEEDaSP_SQ_EUlSP_E_NS1_11comp_targetILNS1_3genE8ELNS1_11target_archE1030ELNS1_3gpuE2ELNS1_3repE0EEENS1_30default_config_static_selectorELNS0_4arch9wavefront6targetE1EEEvT1_,comdat
	.protected	_ZN7rocprim17ROCPRIM_400000_NS6detail17trampoline_kernelINS0_14default_configENS1_20scan_config_selectorItEEZZNS1_9scan_implILNS1_25lookback_scan_determinismE0ELb1ELb1ES3_N6thrust23THRUST_200600_302600_NS6detail15normal_iteratorINS9_10device_ptrItEEEESE_t11max_functorItEtEEDaPvRmT3_T4_T5_mT6_P12ihipStream_tbENKUlT_T0_E_clISt17integral_constantIbLb1EEST_IbLb0EEEEDaSP_SQ_EUlSP_E_NS1_11comp_targetILNS1_3genE8ELNS1_11target_archE1030ELNS1_3gpuE2ELNS1_3repE0EEENS1_30default_config_static_selectorELNS0_4arch9wavefront6targetE1EEEvT1_ ; -- Begin function _ZN7rocprim17ROCPRIM_400000_NS6detail17trampoline_kernelINS0_14default_configENS1_20scan_config_selectorItEEZZNS1_9scan_implILNS1_25lookback_scan_determinismE0ELb1ELb1ES3_N6thrust23THRUST_200600_302600_NS6detail15normal_iteratorINS9_10device_ptrItEEEESE_t11max_functorItEtEEDaPvRmT3_T4_T5_mT6_P12ihipStream_tbENKUlT_T0_E_clISt17integral_constantIbLb1EEST_IbLb0EEEEDaSP_SQ_EUlSP_E_NS1_11comp_targetILNS1_3genE8ELNS1_11target_archE1030ELNS1_3gpuE2ELNS1_3repE0EEENS1_30default_config_static_selectorELNS0_4arch9wavefront6targetE1EEEvT1_
	.globl	_ZN7rocprim17ROCPRIM_400000_NS6detail17trampoline_kernelINS0_14default_configENS1_20scan_config_selectorItEEZZNS1_9scan_implILNS1_25lookback_scan_determinismE0ELb1ELb1ES3_N6thrust23THRUST_200600_302600_NS6detail15normal_iteratorINS9_10device_ptrItEEEESE_t11max_functorItEtEEDaPvRmT3_T4_T5_mT6_P12ihipStream_tbENKUlT_T0_E_clISt17integral_constantIbLb1EEST_IbLb0EEEEDaSP_SQ_EUlSP_E_NS1_11comp_targetILNS1_3genE8ELNS1_11target_archE1030ELNS1_3gpuE2ELNS1_3repE0EEENS1_30default_config_static_selectorELNS0_4arch9wavefront6targetE1EEEvT1_
	.p2align	8
	.type	_ZN7rocprim17ROCPRIM_400000_NS6detail17trampoline_kernelINS0_14default_configENS1_20scan_config_selectorItEEZZNS1_9scan_implILNS1_25lookback_scan_determinismE0ELb1ELb1ES3_N6thrust23THRUST_200600_302600_NS6detail15normal_iteratorINS9_10device_ptrItEEEESE_t11max_functorItEtEEDaPvRmT3_T4_T5_mT6_P12ihipStream_tbENKUlT_T0_E_clISt17integral_constantIbLb1EEST_IbLb0EEEEDaSP_SQ_EUlSP_E_NS1_11comp_targetILNS1_3genE8ELNS1_11target_archE1030ELNS1_3gpuE2ELNS1_3repE0EEENS1_30default_config_static_selectorELNS0_4arch9wavefront6targetE1EEEvT1_,@function
_ZN7rocprim17ROCPRIM_400000_NS6detail17trampoline_kernelINS0_14default_configENS1_20scan_config_selectorItEEZZNS1_9scan_implILNS1_25lookback_scan_determinismE0ELb1ELb1ES3_N6thrust23THRUST_200600_302600_NS6detail15normal_iteratorINS9_10device_ptrItEEEESE_t11max_functorItEtEEDaPvRmT3_T4_T5_mT6_P12ihipStream_tbENKUlT_T0_E_clISt17integral_constantIbLb1EEST_IbLb0EEEEDaSP_SQ_EUlSP_E_NS1_11comp_targetILNS1_3genE8ELNS1_11target_archE1030ELNS1_3gpuE2ELNS1_3repE0EEENS1_30default_config_static_selectorELNS0_4arch9wavefront6targetE1EEEvT1_: ; @_ZN7rocprim17ROCPRIM_400000_NS6detail17trampoline_kernelINS0_14default_configENS1_20scan_config_selectorItEEZZNS1_9scan_implILNS1_25lookback_scan_determinismE0ELb1ELb1ES3_N6thrust23THRUST_200600_302600_NS6detail15normal_iteratorINS9_10device_ptrItEEEESE_t11max_functorItEtEEDaPvRmT3_T4_T5_mT6_P12ihipStream_tbENKUlT_T0_E_clISt17integral_constantIbLb1EEST_IbLb0EEEEDaSP_SQ_EUlSP_E_NS1_11comp_targetILNS1_3genE8ELNS1_11target_archE1030ELNS1_3gpuE2ELNS1_3repE0EEENS1_30default_config_static_selectorELNS0_4arch9wavefront6targetE1EEEvT1_
; %bb.0:
	.section	.rodata,"a",@progbits
	.p2align	6, 0x0
	.amdhsa_kernel _ZN7rocprim17ROCPRIM_400000_NS6detail17trampoline_kernelINS0_14default_configENS1_20scan_config_selectorItEEZZNS1_9scan_implILNS1_25lookback_scan_determinismE0ELb1ELb1ES3_N6thrust23THRUST_200600_302600_NS6detail15normal_iteratorINS9_10device_ptrItEEEESE_t11max_functorItEtEEDaPvRmT3_T4_T5_mT6_P12ihipStream_tbENKUlT_T0_E_clISt17integral_constantIbLb1EEST_IbLb0EEEEDaSP_SQ_EUlSP_E_NS1_11comp_targetILNS1_3genE8ELNS1_11target_archE1030ELNS1_3gpuE2ELNS1_3repE0EEENS1_30default_config_static_selectorELNS0_4arch9wavefront6targetE1EEEvT1_
		.amdhsa_group_segment_fixed_size 0
		.amdhsa_private_segment_fixed_size 0
		.amdhsa_kernarg_size 96
		.amdhsa_user_sgpr_count 6
		.amdhsa_user_sgpr_private_segment_buffer 1
		.amdhsa_user_sgpr_dispatch_ptr 0
		.amdhsa_user_sgpr_queue_ptr 0
		.amdhsa_user_sgpr_kernarg_segment_ptr 1
		.amdhsa_user_sgpr_dispatch_id 0
		.amdhsa_user_sgpr_flat_scratch_init 0
		.amdhsa_user_sgpr_kernarg_preload_length 0
		.amdhsa_user_sgpr_kernarg_preload_offset 0
		.amdhsa_user_sgpr_private_segment_size 0
		.amdhsa_uses_dynamic_stack 0
		.amdhsa_system_sgpr_private_segment_wavefront_offset 0
		.amdhsa_system_sgpr_workgroup_id_x 1
		.amdhsa_system_sgpr_workgroup_id_y 0
		.amdhsa_system_sgpr_workgroup_id_z 0
		.amdhsa_system_sgpr_workgroup_info 0
		.amdhsa_system_vgpr_workitem_id 0
		.amdhsa_next_free_vgpr 1
		.amdhsa_next_free_sgpr 0
		.amdhsa_accum_offset 4
		.amdhsa_reserve_vcc 0
		.amdhsa_reserve_flat_scratch 0
		.amdhsa_float_round_mode_32 0
		.amdhsa_float_round_mode_16_64 0
		.amdhsa_float_denorm_mode_32 3
		.amdhsa_float_denorm_mode_16_64 3
		.amdhsa_dx10_clamp 1
		.amdhsa_ieee_mode 1
		.amdhsa_fp16_overflow 0
		.amdhsa_tg_split 0
		.amdhsa_exception_fp_ieee_invalid_op 0
		.amdhsa_exception_fp_denorm_src 0
		.amdhsa_exception_fp_ieee_div_zero 0
		.amdhsa_exception_fp_ieee_overflow 0
		.amdhsa_exception_fp_ieee_underflow 0
		.amdhsa_exception_fp_ieee_inexact 0
		.amdhsa_exception_int_div_zero 0
	.end_amdhsa_kernel
	.section	.text._ZN7rocprim17ROCPRIM_400000_NS6detail17trampoline_kernelINS0_14default_configENS1_20scan_config_selectorItEEZZNS1_9scan_implILNS1_25lookback_scan_determinismE0ELb1ELb1ES3_N6thrust23THRUST_200600_302600_NS6detail15normal_iteratorINS9_10device_ptrItEEEESE_t11max_functorItEtEEDaPvRmT3_T4_T5_mT6_P12ihipStream_tbENKUlT_T0_E_clISt17integral_constantIbLb1EEST_IbLb0EEEEDaSP_SQ_EUlSP_E_NS1_11comp_targetILNS1_3genE8ELNS1_11target_archE1030ELNS1_3gpuE2ELNS1_3repE0EEENS1_30default_config_static_selectorELNS0_4arch9wavefront6targetE1EEEvT1_,"axG",@progbits,_ZN7rocprim17ROCPRIM_400000_NS6detail17trampoline_kernelINS0_14default_configENS1_20scan_config_selectorItEEZZNS1_9scan_implILNS1_25lookback_scan_determinismE0ELb1ELb1ES3_N6thrust23THRUST_200600_302600_NS6detail15normal_iteratorINS9_10device_ptrItEEEESE_t11max_functorItEtEEDaPvRmT3_T4_T5_mT6_P12ihipStream_tbENKUlT_T0_E_clISt17integral_constantIbLb1EEST_IbLb0EEEEDaSP_SQ_EUlSP_E_NS1_11comp_targetILNS1_3genE8ELNS1_11target_archE1030ELNS1_3gpuE2ELNS1_3repE0EEENS1_30default_config_static_selectorELNS0_4arch9wavefront6targetE1EEEvT1_,comdat
.Lfunc_end2530:
	.size	_ZN7rocprim17ROCPRIM_400000_NS6detail17trampoline_kernelINS0_14default_configENS1_20scan_config_selectorItEEZZNS1_9scan_implILNS1_25lookback_scan_determinismE0ELb1ELb1ES3_N6thrust23THRUST_200600_302600_NS6detail15normal_iteratorINS9_10device_ptrItEEEESE_t11max_functorItEtEEDaPvRmT3_T4_T5_mT6_P12ihipStream_tbENKUlT_T0_E_clISt17integral_constantIbLb1EEST_IbLb0EEEEDaSP_SQ_EUlSP_E_NS1_11comp_targetILNS1_3genE8ELNS1_11target_archE1030ELNS1_3gpuE2ELNS1_3repE0EEENS1_30default_config_static_selectorELNS0_4arch9wavefront6targetE1EEEvT1_, .Lfunc_end2530-_ZN7rocprim17ROCPRIM_400000_NS6detail17trampoline_kernelINS0_14default_configENS1_20scan_config_selectorItEEZZNS1_9scan_implILNS1_25lookback_scan_determinismE0ELb1ELb1ES3_N6thrust23THRUST_200600_302600_NS6detail15normal_iteratorINS9_10device_ptrItEEEESE_t11max_functorItEtEEDaPvRmT3_T4_T5_mT6_P12ihipStream_tbENKUlT_T0_E_clISt17integral_constantIbLb1EEST_IbLb0EEEEDaSP_SQ_EUlSP_E_NS1_11comp_targetILNS1_3genE8ELNS1_11target_archE1030ELNS1_3gpuE2ELNS1_3repE0EEENS1_30default_config_static_selectorELNS0_4arch9wavefront6targetE1EEEvT1_
                                        ; -- End function
	.section	.AMDGPU.csdata,"",@progbits
; Kernel info:
; codeLenInByte = 0
; NumSgprs: 4
; NumVgprs: 0
; NumAgprs: 0
; TotalNumVgprs: 0
; ScratchSize: 0
; MemoryBound: 0
; FloatMode: 240
; IeeeMode: 1
; LDSByteSize: 0 bytes/workgroup (compile time only)
; SGPRBlocks: 0
; VGPRBlocks: 0
; NumSGPRsForWavesPerEU: 4
; NumVGPRsForWavesPerEU: 1
; AccumOffset: 4
; Occupancy: 8
; WaveLimiterHint : 0
; COMPUTE_PGM_RSRC2:SCRATCH_EN: 0
; COMPUTE_PGM_RSRC2:USER_SGPR: 6
; COMPUTE_PGM_RSRC2:TRAP_HANDLER: 0
; COMPUTE_PGM_RSRC2:TGID_X_EN: 1
; COMPUTE_PGM_RSRC2:TGID_Y_EN: 0
; COMPUTE_PGM_RSRC2:TGID_Z_EN: 0
; COMPUTE_PGM_RSRC2:TIDIG_COMP_CNT: 0
; COMPUTE_PGM_RSRC3_GFX90A:ACCUM_OFFSET: 0
; COMPUTE_PGM_RSRC3_GFX90A:TG_SPLIT: 0
	.section	.text._ZN7rocprim17ROCPRIM_400000_NS6detail17trampoline_kernelINS0_14default_configENS1_20scan_config_selectorItEEZZNS1_9scan_implILNS1_25lookback_scan_determinismE0ELb1ELb1ES3_N6thrust23THRUST_200600_302600_NS6detail15normal_iteratorINS9_10device_ptrItEEEESE_t11max_functorItEtEEDaPvRmT3_T4_T5_mT6_P12ihipStream_tbENKUlT_T0_E_clISt17integral_constantIbLb1EEST_IbLb0EEEEDaSP_SQ_EUlSP_E0_NS1_11comp_targetILNS1_3genE0ELNS1_11target_archE4294967295ELNS1_3gpuE0ELNS1_3repE0EEENS1_30default_config_static_selectorELNS0_4arch9wavefront6targetE1EEEvT1_,"axG",@progbits,_ZN7rocprim17ROCPRIM_400000_NS6detail17trampoline_kernelINS0_14default_configENS1_20scan_config_selectorItEEZZNS1_9scan_implILNS1_25lookback_scan_determinismE0ELb1ELb1ES3_N6thrust23THRUST_200600_302600_NS6detail15normal_iteratorINS9_10device_ptrItEEEESE_t11max_functorItEtEEDaPvRmT3_T4_T5_mT6_P12ihipStream_tbENKUlT_T0_E_clISt17integral_constantIbLb1EEST_IbLb0EEEEDaSP_SQ_EUlSP_E0_NS1_11comp_targetILNS1_3genE0ELNS1_11target_archE4294967295ELNS1_3gpuE0ELNS1_3repE0EEENS1_30default_config_static_selectorELNS0_4arch9wavefront6targetE1EEEvT1_,comdat
	.protected	_ZN7rocprim17ROCPRIM_400000_NS6detail17trampoline_kernelINS0_14default_configENS1_20scan_config_selectorItEEZZNS1_9scan_implILNS1_25lookback_scan_determinismE0ELb1ELb1ES3_N6thrust23THRUST_200600_302600_NS6detail15normal_iteratorINS9_10device_ptrItEEEESE_t11max_functorItEtEEDaPvRmT3_T4_T5_mT6_P12ihipStream_tbENKUlT_T0_E_clISt17integral_constantIbLb1EEST_IbLb0EEEEDaSP_SQ_EUlSP_E0_NS1_11comp_targetILNS1_3genE0ELNS1_11target_archE4294967295ELNS1_3gpuE0ELNS1_3repE0EEENS1_30default_config_static_selectorELNS0_4arch9wavefront6targetE1EEEvT1_ ; -- Begin function _ZN7rocprim17ROCPRIM_400000_NS6detail17trampoline_kernelINS0_14default_configENS1_20scan_config_selectorItEEZZNS1_9scan_implILNS1_25lookback_scan_determinismE0ELb1ELb1ES3_N6thrust23THRUST_200600_302600_NS6detail15normal_iteratorINS9_10device_ptrItEEEESE_t11max_functorItEtEEDaPvRmT3_T4_T5_mT6_P12ihipStream_tbENKUlT_T0_E_clISt17integral_constantIbLb1EEST_IbLb0EEEEDaSP_SQ_EUlSP_E0_NS1_11comp_targetILNS1_3genE0ELNS1_11target_archE4294967295ELNS1_3gpuE0ELNS1_3repE0EEENS1_30default_config_static_selectorELNS0_4arch9wavefront6targetE1EEEvT1_
	.globl	_ZN7rocprim17ROCPRIM_400000_NS6detail17trampoline_kernelINS0_14default_configENS1_20scan_config_selectorItEEZZNS1_9scan_implILNS1_25lookback_scan_determinismE0ELb1ELb1ES3_N6thrust23THRUST_200600_302600_NS6detail15normal_iteratorINS9_10device_ptrItEEEESE_t11max_functorItEtEEDaPvRmT3_T4_T5_mT6_P12ihipStream_tbENKUlT_T0_E_clISt17integral_constantIbLb1EEST_IbLb0EEEEDaSP_SQ_EUlSP_E0_NS1_11comp_targetILNS1_3genE0ELNS1_11target_archE4294967295ELNS1_3gpuE0ELNS1_3repE0EEENS1_30default_config_static_selectorELNS0_4arch9wavefront6targetE1EEEvT1_
	.p2align	8
	.type	_ZN7rocprim17ROCPRIM_400000_NS6detail17trampoline_kernelINS0_14default_configENS1_20scan_config_selectorItEEZZNS1_9scan_implILNS1_25lookback_scan_determinismE0ELb1ELb1ES3_N6thrust23THRUST_200600_302600_NS6detail15normal_iteratorINS9_10device_ptrItEEEESE_t11max_functorItEtEEDaPvRmT3_T4_T5_mT6_P12ihipStream_tbENKUlT_T0_E_clISt17integral_constantIbLb1EEST_IbLb0EEEEDaSP_SQ_EUlSP_E0_NS1_11comp_targetILNS1_3genE0ELNS1_11target_archE4294967295ELNS1_3gpuE0ELNS1_3repE0EEENS1_30default_config_static_selectorELNS0_4arch9wavefront6targetE1EEEvT1_,@function
_ZN7rocprim17ROCPRIM_400000_NS6detail17trampoline_kernelINS0_14default_configENS1_20scan_config_selectorItEEZZNS1_9scan_implILNS1_25lookback_scan_determinismE0ELb1ELb1ES3_N6thrust23THRUST_200600_302600_NS6detail15normal_iteratorINS9_10device_ptrItEEEESE_t11max_functorItEtEEDaPvRmT3_T4_T5_mT6_P12ihipStream_tbENKUlT_T0_E_clISt17integral_constantIbLb1EEST_IbLb0EEEEDaSP_SQ_EUlSP_E0_NS1_11comp_targetILNS1_3genE0ELNS1_11target_archE4294967295ELNS1_3gpuE0ELNS1_3repE0EEENS1_30default_config_static_selectorELNS0_4arch9wavefront6targetE1EEEvT1_: ; @_ZN7rocprim17ROCPRIM_400000_NS6detail17trampoline_kernelINS0_14default_configENS1_20scan_config_selectorItEEZZNS1_9scan_implILNS1_25lookback_scan_determinismE0ELb1ELb1ES3_N6thrust23THRUST_200600_302600_NS6detail15normal_iteratorINS9_10device_ptrItEEEESE_t11max_functorItEtEEDaPvRmT3_T4_T5_mT6_P12ihipStream_tbENKUlT_T0_E_clISt17integral_constantIbLb1EEST_IbLb0EEEEDaSP_SQ_EUlSP_E0_NS1_11comp_targetILNS1_3genE0ELNS1_11target_archE4294967295ELNS1_3gpuE0ELNS1_3repE0EEENS1_30default_config_static_selectorELNS0_4arch9wavefront6targetE1EEEvT1_
; %bb.0:
	.section	.rodata,"a",@progbits
	.p2align	6, 0x0
	.amdhsa_kernel _ZN7rocprim17ROCPRIM_400000_NS6detail17trampoline_kernelINS0_14default_configENS1_20scan_config_selectorItEEZZNS1_9scan_implILNS1_25lookback_scan_determinismE0ELb1ELb1ES3_N6thrust23THRUST_200600_302600_NS6detail15normal_iteratorINS9_10device_ptrItEEEESE_t11max_functorItEtEEDaPvRmT3_T4_T5_mT6_P12ihipStream_tbENKUlT_T0_E_clISt17integral_constantIbLb1EEST_IbLb0EEEEDaSP_SQ_EUlSP_E0_NS1_11comp_targetILNS1_3genE0ELNS1_11target_archE4294967295ELNS1_3gpuE0ELNS1_3repE0EEENS1_30default_config_static_selectorELNS0_4arch9wavefront6targetE1EEEvT1_
		.amdhsa_group_segment_fixed_size 0
		.amdhsa_private_segment_fixed_size 0
		.amdhsa_kernarg_size 32
		.amdhsa_user_sgpr_count 6
		.amdhsa_user_sgpr_private_segment_buffer 1
		.amdhsa_user_sgpr_dispatch_ptr 0
		.amdhsa_user_sgpr_queue_ptr 0
		.amdhsa_user_sgpr_kernarg_segment_ptr 1
		.amdhsa_user_sgpr_dispatch_id 0
		.amdhsa_user_sgpr_flat_scratch_init 0
		.amdhsa_user_sgpr_kernarg_preload_length 0
		.amdhsa_user_sgpr_kernarg_preload_offset 0
		.amdhsa_user_sgpr_private_segment_size 0
		.amdhsa_uses_dynamic_stack 0
		.amdhsa_system_sgpr_private_segment_wavefront_offset 0
		.amdhsa_system_sgpr_workgroup_id_x 1
		.amdhsa_system_sgpr_workgroup_id_y 0
		.amdhsa_system_sgpr_workgroup_id_z 0
		.amdhsa_system_sgpr_workgroup_info 0
		.amdhsa_system_vgpr_workitem_id 0
		.amdhsa_next_free_vgpr 1
		.amdhsa_next_free_sgpr 0
		.amdhsa_accum_offset 4
		.amdhsa_reserve_vcc 0
		.amdhsa_reserve_flat_scratch 0
		.amdhsa_float_round_mode_32 0
		.amdhsa_float_round_mode_16_64 0
		.amdhsa_float_denorm_mode_32 3
		.amdhsa_float_denorm_mode_16_64 3
		.amdhsa_dx10_clamp 1
		.amdhsa_ieee_mode 1
		.amdhsa_fp16_overflow 0
		.amdhsa_tg_split 0
		.amdhsa_exception_fp_ieee_invalid_op 0
		.amdhsa_exception_fp_denorm_src 0
		.amdhsa_exception_fp_ieee_div_zero 0
		.amdhsa_exception_fp_ieee_overflow 0
		.amdhsa_exception_fp_ieee_underflow 0
		.amdhsa_exception_fp_ieee_inexact 0
		.amdhsa_exception_int_div_zero 0
	.end_amdhsa_kernel
	.section	.text._ZN7rocprim17ROCPRIM_400000_NS6detail17trampoline_kernelINS0_14default_configENS1_20scan_config_selectorItEEZZNS1_9scan_implILNS1_25lookback_scan_determinismE0ELb1ELb1ES3_N6thrust23THRUST_200600_302600_NS6detail15normal_iteratorINS9_10device_ptrItEEEESE_t11max_functorItEtEEDaPvRmT3_T4_T5_mT6_P12ihipStream_tbENKUlT_T0_E_clISt17integral_constantIbLb1EEST_IbLb0EEEEDaSP_SQ_EUlSP_E0_NS1_11comp_targetILNS1_3genE0ELNS1_11target_archE4294967295ELNS1_3gpuE0ELNS1_3repE0EEENS1_30default_config_static_selectorELNS0_4arch9wavefront6targetE1EEEvT1_,"axG",@progbits,_ZN7rocprim17ROCPRIM_400000_NS6detail17trampoline_kernelINS0_14default_configENS1_20scan_config_selectorItEEZZNS1_9scan_implILNS1_25lookback_scan_determinismE0ELb1ELb1ES3_N6thrust23THRUST_200600_302600_NS6detail15normal_iteratorINS9_10device_ptrItEEEESE_t11max_functorItEtEEDaPvRmT3_T4_T5_mT6_P12ihipStream_tbENKUlT_T0_E_clISt17integral_constantIbLb1EEST_IbLb0EEEEDaSP_SQ_EUlSP_E0_NS1_11comp_targetILNS1_3genE0ELNS1_11target_archE4294967295ELNS1_3gpuE0ELNS1_3repE0EEENS1_30default_config_static_selectorELNS0_4arch9wavefront6targetE1EEEvT1_,comdat
.Lfunc_end2531:
	.size	_ZN7rocprim17ROCPRIM_400000_NS6detail17trampoline_kernelINS0_14default_configENS1_20scan_config_selectorItEEZZNS1_9scan_implILNS1_25lookback_scan_determinismE0ELb1ELb1ES3_N6thrust23THRUST_200600_302600_NS6detail15normal_iteratorINS9_10device_ptrItEEEESE_t11max_functorItEtEEDaPvRmT3_T4_T5_mT6_P12ihipStream_tbENKUlT_T0_E_clISt17integral_constantIbLb1EEST_IbLb0EEEEDaSP_SQ_EUlSP_E0_NS1_11comp_targetILNS1_3genE0ELNS1_11target_archE4294967295ELNS1_3gpuE0ELNS1_3repE0EEENS1_30default_config_static_selectorELNS0_4arch9wavefront6targetE1EEEvT1_, .Lfunc_end2531-_ZN7rocprim17ROCPRIM_400000_NS6detail17trampoline_kernelINS0_14default_configENS1_20scan_config_selectorItEEZZNS1_9scan_implILNS1_25lookback_scan_determinismE0ELb1ELb1ES3_N6thrust23THRUST_200600_302600_NS6detail15normal_iteratorINS9_10device_ptrItEEEESE_t11max_functorItEtEEDaPvRmT3_T4_T5_mT6_P12ihipStream_tbENKUlT_T0_E_clISt17integral_constantIbLb1EEST_IbLb0EEEEDaSP_SQ_EUlSP_E0_NS1_11comp_targetILNS1_3genE0ELNS1_11target_archE4294967295ELNS1_3gpuE0ELNS1_3repE0EEENS1_30default_config_static_selectorELNS0_4arch9wavefront6targetE1EEEvT1_
                                        ; -- End function
	.section	.AMDGPU.csdata,"",@progbits
; Kernel info:
; codeLenInByte = 0
; NumSgprs: 4
; NumVgprs: 0
; NumAgprs: 0
; TotalNumVgprs: 0
; ScratchSize: 0
; MemoryBound: 0
; FloatMode: 240
; IeeeMode: 1
; LDSByteSize: 0 bytes/workgroup (compile time only)
; SGPRBlocks: 0
; VGPRBlocks: 0
; NumSGPRsForWavesPerEU: 4
; NumVGPRsForWavesPerEU: 1
; AccumOffset: 4
; Occupancy: 8
; WaveLimiterHint : 0
; COMPUTE_PGM_RSRC2:SCRATCH_EN: 0
; COMPUTE_PGM_RSRC2:USER_SGPR: 6
; COMPUTE_PGM_RSRC2:TRAP_HANDLER: 0
; COMPUTE_PGM_RSRC2:TGID_X_EN: 1
; COMPUTE_PGM_RSRC2:TGID_Y_EN: 0
; COMPUTE_PGM_RSRC2:TGID_Z_EN: 0
; COMPUTE_PGM_RSRC2:TIDIG_COMP_CNT: 0
; COMPUTE_PGM_RSRC3_GFX90A:ACCUM_OFFSET: 0
; COMPUTE_PGM_RSRC3_GFX90A:TG_SPLIT: 0
	.section	.text._ZN7rocprim17ROCPRIM_400000_NS6detail17trampoline_kernelINS0_14default_configENS1_20scan_config_selectorItEEZZNS1_9scan_implILNS1_25lookback_scan_determinismE0ELb1ELb1ES3_N6thrust23THRUST_200600_302600_NS6detail15normal_iteratorINS9_10device_ptrItEEEESE_t11max_functorItEtEEDaPvRmT3_T4_T5_mT6_P12ihipStream_tbENKUlT_T0_E_clISt17integral_constantIbLb1EEST_IbLb0EEEEDaSP_SQ_EUlSP_E0_NS1_11comp_targetILNS1_3genE5ELNS1_11target_archE942ELNS1_3gpuE9ELNS1_3repE0EEENS1_30default_config_static_selectorELNS0_4arch9wavefront6targetE1EEEvT1_,"axG",@progbits,_ZN7rocprim17ROCPRIM_400000_NS6detail17trampoline_kernelINS0_14default_configENS1_20scan_config_selectorItEEZZNS1_9scan_implILNS1_25lookback_scan_determinismE0ELb1ELb1ES3_N6thrust23THRUST_200600_302600_NS6detail15normal_iteratorINS9_10device_ptrItEEEESE_t11max_functorItEtEEDaPvRmT3_T4_T5_mT6_P12ihipStream_tbENKUlT_T0_E_clISt17integral_constantIbLb1EEST_IbLb0EEEEDaSP_SQ_EUlSP_E0_NS1_11comp_targetILNS1_3genE5ELNS1_11target_archE942ELNS1_3gpuE9ELNS1_3repE0EEENS1_30default_config_static_selectorELNS0_4arch9wavefront6targetE1EEEvT1_,comdat
	.protected	_ZN7rocprim17ROCPRIM_400000_NS6detail17trampoline_kernelINS0_14default_configENS1_20scan_config_selectorItEEZZNS1_9scan_implILNS1_25lookback_scan_determinismE0ELb1ELb1ES3_N6thrust23THRUST_200600_302600_NS6detail15normal_iteratorINS9_10device_ptrItEEEESE_t11max_functorItEtEEDaPvRmT3_T4_T5_mT6_P12ihipStream_tbENKUlT_T0_E_clISt17integral_constantIbLb1EEST_IbLb0EEEEDaSP_SQ_EUlSP_E0_NS1_11comp_targetILNS1_3genE5ELNS1_11target_archE942ELNS1_3gpuE9ELNS1_3repE0EEENS1_30default_config_static_selectorELNS0_4arch9wavefront6targetE1EEEvT1_ ; -- Begin function _ZN7rocprim17ROCPRIM_400000_NS6detail17trampoline_kernelINS0_14default_configENS1_20scan_config_selectorItEEZZNS1_9scan_implILNS1_25lookback_scan_determinismE0ELb1ELb1ES3_N6thrust23THRUST_200600_302600_NS6detail15normal_iteratorINS9_10device_ptrItEEEESE_t11max_functorItEtEEDaPvRmT3_T4_T5_mT6_P12ihipStream_tbENKUlT_T0_E_clISt17integral_constantIbLb1EEST_IbLb0EEEEDaSP_SQ_EUlSP_E0_NS1_11comp_targetILNS1_3genE5ELNS1_11target_archE942ELNS1_3gpuE9ELNS1_3repE0EEENS1_30default_config_static_selectorELNS0_4arch9wavefront6targetE1EEEvT1_
	.globl	_ZN7rocprim17ROCPRIM_400000_NS6detail17trampoline_kernelINS0_14default_configENS1_20scan_config_selectorItEEZZNS1_9scan_implILNS1_25lookback_scan_determinismE0ELb1ELb1ES3_N6thrust23THRUST_200600_302600_NS6detail15normal_iteratorINS9_10device_ptrItEEEESE_t11max_functorItEtEEDaPvRmT3_T4_T5_mT6_P12ihipStream_tbENKUlT_T0_E_clISt17integral_constantIbLb1EEST_IbLb0EEEEDaSP_SQ_EUlSP_E0_NS1_11comp_targetILNS1_3genE5ELNS1_11target_archE942ELNS1_3gpuE9ELNS1_3repE0EEENS1_30default_config_static_selectorELNS0_4arch9wavefront6targetE1EEEvT1_
	.p2align	8
	.type	_ZN7rocprim17ROCPRIM_400000_NS6detail17trampoline_kernelINS0_14default_configENS1_20scan_config_selectorItEEZZNS1_9scan_implILNS1_25lookback_scan_determinismE0ELb1ELb1ES3_N6thrust23THRUST_200600_302600_NS6detail15normal_iteratorINS9_10device_ptrItEEEESE_t11max_functorItEtEEDaPvRmT3_T4_T5_mT6_P12ihipStream_tbENKUlT_T0_E_clISt17integral_constantIbLb1EEST_IbLb0EEEEDaSP_SQ_EUlSP_E0_NS1_11comp_targetILNS1_3genE5ELNS1_11target_archE942ELNS1_3gpuE9ELNS1_3repE0EEENS1_30default_config_static_selectorELNS0_4arch9wavefront6targetE1EEEvT1_,@function
_ZN7rocprim17ROCPRIM_400000_NS6detail17trampoline_kernelINS0_14default_configENS1_20scan_config_selectorItEEZZNS1_9scan_implILNS1_25lookback_scan_determinismE0ELb1ELb1ES3_N6thrust23THRUST_200600_302600_NS6detail15normal_iteratorINS9_10device_ptrItEEEESE_t11max_functorItEtEEDaPvRmT3_T4_T5_mT6_P12ihipStream_tbENKUlT_T0_E_clISt17integral_constantIbLb1EEST_IbLb0EEEEDaSP_SQ_EUlSP_E0_NS1_11comp_targetILNS1_3genE5ELNS1_11target_archE942ELNS1_3gpuE9ELNS1_3repE0EEENS1_30default_config_static_selectorELNS0_4arch9wavefront6targetE1EEEvT1_: ; @_ZN7rocprim17ROCPRIM_400000_NS6detail17trampoline_kernelINS0_14default_configENS1_20scan_config_selectorItEEZZNS1_9scan_implILNS1_25lookback_scan_determinismE0ELb1ELb1ES3_N6thrust23THRUST_200600_302600_NS6detail15normal_iteratorINS9_10device_ptrItEEEESE_t11max_functorItEtEEDaPvRmT3_T4_T5_mT6_P12ihipStream_tbENKUlT_T0_E_clISt17integral_constantIbLb1EEST_IbLb0EEEEDaSP_SQ_EUlSP_E0_NS1_11comp_targetILNS1_3genE5ELNS1_11target_archE942ELNS1_3gpuE9ELNS1_3repE0EEENS1_30default_config_static_selectorELNS0_4arch9wavefront6targetE1EEEvT1_
; %bb.0:
	.section	.rodata,"a",@progbits
	.p2align	6, 0x0
	.amdhsa_kernel _ZN7rocprim17ROCPRIM_400000_NS6detail17trampoline_kernelINS0_14default_configENS1_20scan_config_selectorItEEZZNS1_9scan_implILNS1_25lookback_scan_determinismE0ELb1ELb1ES3_N6thrust23THRUST_200600_302600_NS6detail15normal_iteratorINS9_10device_ptrItEEEESE_t11max_functorItEtEEDaPvRmT3_T4_T5_mT6_P12ihipStream_tbENKUlT_T0_E_clISt17integral_constantIbLb1EEST_IbLb0EEEEDaSP_SQ_EUlSP_E0_NS1_11comp_targetILNS1_3genE5ELNS1_11target_archE942ELNS1_3gpuE9ELNS1_3repE0EEENS1_30default_config_static_selectorELNS0_4arch9wavefront6targetE1EEEvT1_
		.amdhsa_group_segment_fixed_size 0
		.amdhsa_private_segment_fixed_size 0
		.amdhsa_kernarg_size 32
		.amdhsa_user_sgpr_count 6
		.amdhsa_user_sgpr_private_segment_buffer 1
		.amdhsa_user_sgpr_dispatch_ptr 0
		.amdhsa_user_sgpr_queue_ptr 0
		.amdhsa_user_sgpr_kernarg_segment_ptr 1
		.amdhsa_user_sgpr_dispatch_id 0
		.amdhsa_user_sgpr_flat_scratch_init 0
		.amdhsa_user_sgpr_kernarg_preload_length 0
		.amdhsa_user_sgpr_kernarg_preload_offset 0
		.amdhsa_user_sgpr_private_segment_size 0
		.amdhsa_uses_dynamic_stack 0
		.amdhsa_system_sgpr_private_segment_wavefront_offset 0
		.amdhsa_system_sgpr_workgroup_id_x 1
		.amdhsa_system_sgpr_workgroup_id_y 0
		.amdhsa_system_sgpr_workgroup_id_z 0
		.amdhsa_system_sgpr_workgroup_info 0
		.amdhsa_system_vgpr_workitem_id 0
		.amdhsa_next_free_vgpr 1
		.amdhsa_next_free_sgpr 0
		.amdhsa_accum_offset 4
		.amdhsa_reserve_vcc 0
		.amdhsa_reserve_flat_scratch 0
		.amdhsa_float_round_mode_32 0
		.amdhsa_float_round_mode_16_64 0
		.amdhsa_float_denorm_mode_32 3
		.amdhsa_float_denorm_mode_16_64 3
		.amdhsa_dx10_clamp 1
		.amdhsa_ieee_mode 1
		.amdhsa_fp16_overflow 0
		.amdhsa_tg_split 0
		.amdhsa_exception_fp_ieee_invalid_op 0
		.amdhsa_exception_fp_denorm_src 0
		.amdhsa_exception_fp_ieee_div_zero 0
		.amdhsa_exception_fp_ieee_overflow 0
		.amdhsa_exception_fp_ieee_underflow 0
		.amdhsa_exception_fp_ieee_inexact 0
		.amdhsa_exception_int_div_zero 0
	.end_amdhsa_kernel
	.section	.text._ZN7rocprim17ROCPRIM_400000_NS6detail17trampoline_kernelINS0_14default_configENS1_20scan_config_selectorItEEZZNS1_9scan_implILNS1_25lookback_scan_determinismE0ELb1ELb1ES3_N6thrust23THRUST_200600_302600_NS6detail15normal_iteratorINS9_10device_ptrItEEEESE_t11max_functorItEtEEDaPvRmT3_T4_T5_mT6_P12ihipStream_tbENKUlT_T0_E_clISt17integral_constantIbLb1EEST_IbLb0EEEEDaSP_SQ_EUlSP_E0_NS1_11comp_targetILNS1_3genE5ELNS1_11target_archE942ELNS1_3gpuE9ELNS1_3repE0EEENS1_30default_config_static_selectorELNS0_4arch9wavefront6targetE1EEEvT1_,"axG",@progbits,_ZN7rocprim17ROCPRIM_400000_NS6detail17trampoline_kernelINS0_14default_configENS1_20scan_config_selectorItEEZZNS1_9scan_implILNS1_25lookback_scan_determinismE0ELb1ELb1ES3_N6thrust23THRUST_200600_302600_NS6detail15normal_iteratorINS9_10device_ptrItEEEESE_t11max_functorItEtEEDaPvRmT3_T4_T5_mT6_P12ihipStream_tbENKUlT_T0_E_clISt17integral_constantIbLb1EEST_IbLb0EEEEDaSP_SQ_EUlSP_E0_NS1_11comp_targetILNS1_3genE5ELNS1_11target_archE942ELNS1_3gpuE9ELNS1_3repE0EEENS1_30default_config_static_selectorELNS0_4arch9wavefront6targetE1EEEvT1_,comdat
.Lfunc_end2532:
	.size	_ZN7rocprim17ROCPRIM_400000_NS6detail17trampoline_kernelINS0_14default_configENS1_20scan_config_selectorItEEZZNS1_9scan_implILNS1_25lookback_scan_determinismE0ELb1ELb1ES3_N6thrust23THRUST_200600_302600_NS6detail15normal_iteratorINS9_10device_ptrItEEEESE_t11max_functorItEtEEDaPvRmT3_T4_T5_mT6_P12ihipStream_tbENKUlT_T0_E_clISt17integral_constantIbLb1EEST_IbLb0EEEEDaSP_SQ_EUlSP_E0_NS1_11comp_targetILNS1_3genE5ELNS1_11target_archE942ELNS1_3gpuE9ELNS1_3repE0EEENS1_30default_config_static_selectorELNS0_4arch9wavefront6targetE1EEEvT1_, .Lfunc_end2532-_ZN7rocprim17ROCPRIM_400000_NS6detail17trampoline_kernelINS0_14default_configENS1_20scan_config_selectorItEEZZNS1_9scan_implILNS1_25lookback_scan_determinismE0ELb1ELb1ES3_N6thrust23THRUST_200600_302600_NS6detail15normal_iteratorINS9_10device_ptrItEEEESE_t11max_functorItEtEEDaPvRmT3_T4_T5_mT6_P12ihipStream_tbENKUlT_T0_E_clISt17integral_constantIbLb1EEST_IbLb0EEEEDaSP_SQ_EUlSP_E0_NS1_11comp_targetILNS1_3genE5ELNS1_11target_archE942ELNS1_3gpuE9ELNS1_3repE0EEENS1_30default_config_static_selectorELNS0_4arch9wavefront6targetE1EEEvT1_
                                        ; -- End function
	.section	.AMDGPU.csdata,"",@progbits
; Kernel info:
; codeLenInByte = 0
; NumSgprs: 4
; NumVgprs: 0
; NumAgprs: 0
; TotalNumVgprs: 0
; ScratchSize: 0
; MemoryBound: 0
; FloatMode: 240
; IeeeMode: 1
; LDSByteSize: 0 bytes/workgroup (compile time only)
; SGPRBlocks: 0
; VGPRBlocks: 0
; NumSGPRsForWavesPerEU: 4
; NumVGPRsForWavesPerEU: 1
; AccumOffset: 4
; Occupancy: 8
; WaveLimiterHint : 0
; COMPUTE_PGM_RSRC2:SCRATCH_EN: 0
; COMPUTE_PGM_RSRC2:USER_SGPR: 6
; COMPUTE_PGM_RSRC2:TRAP_HANDLER: 0
; COMPUTE_PGM_RSRC2:TGID_X_EN: 1
; COMPUTE_PGM_RSRC2:TGID_Y_EN: 0
; COMPUTE_PGM_RSRC2:TGID_Z_EN: 0
; COMPUTE_PGM_RSRC2:TIDIG_COMP_CNT: 0
; COMPUTE_PGM_RSRC3_GFX90A:ACCUM_OFFSET: 0
; COMPUTE_PGM_RSRC3_GFX90A:TG_SPLIT: 0
	.section	.text._ZN7rocprim17ROCPRIM_400000_NS6detail17trampoline_kernelINS0_14default_configENS1_20scan_config_selectorItEEZZNS1_9scan_implILNS1_25lookback_scan_determinismE0ELb1ELb1ES3_N6thrust23THRUST_200600_302600_NS6detail15normal_iteratorINS9_10device_ptrItEEEESE_t11max_functorItEtEEDaPvRmT3_T4_T5_mT6_P12ihipStream_tbENKUlT_T0_E_clISt17integral_constantIbLb1EEST_IbLb0EEEEDaSP_SQ_EUlSP_E0_NS1_11comp_targetILNS1_3genE4ELNS1_11target_archE910ELNS1_3gpuE8ELNS1_3repE0EEENS1_30default_config_static_selectorELNS0_4arch9wavefront6targetE1EEEvT1_,"axG",@progbits,_ZN7rocprim17ROCPRIM_400000_NS6detail17trampoline_kernelINS0_14default_configENS1_20scan_config_selectorItEEZZNS1_9scan_implILNS1_25lookback_scan_determinismE0ELb1ELb1ES3_N6thrust23THRUST_200600_302600_NS6detail15normal_iteratorINS9_10device_ptrItEEEESE_t11max_functorItEtEEDaPvRmT3_T4_T5_mT6_P12ihipStream_tbENKUlT_T0_E_clISt17integral_constantIbLb1EEST_IbLb0EEEEDaSP_SQ_EUlSP_E0_NS1_11comp_targetILNS1_3genE4ELNS1_11target_archE910ELNS1_3gpuE8ELNS1_3repE0EEENS1_30default_config_static_selectorELNS0_4arch9wavefront6targetE1EEEvT1_,comdat
	.protected	_ZN7rocprim17ROCPRIM_400000_NS6detail17trampoline_kernelINS0_14default_configENS1_20scan_config_selectorItEEZZNS1_9scan_implILNS1_25lookback_scan_determinismE0ELb1ELb1ES3_N6thrust23THRUST_200600_302600_NS6detail15normal_iteratorINS9_10device_ptrItEEEESE_t11max_functorItEtEEDaPvRmT3_T4_T5_mT6_P12ihipStream_tbENKUlT_T0_E_clISt17integral_constantIbLb1EEST_IbLb0EEEEDaSP_SQ_EUlSP_E0_NS1_11comp_targetILNS1_3genE4ELNS1_11target_archE910ELNS1_3gpuE8ELNS1_3repE0EEENS1_30default_config_static_selectorELNS0_4arch9wavefront6targetE1EEEvT1_ ; -- Begin function _ZN7rocprim17ROCPRIM_400000_NS6detail17trampoline_kernelINS0_14default_configENS1_20scan_config_selectorItEEZZNS1_9scan_implILNS1_25lookback_scan_determinismE0ELb1ELb1ES3_N6thrust23THRUST_200600_302600_NS6detail15normal_iteratorINS9_10device_ptrItEEEESE_t11max_functorItEtEEDaPvRmT3_T4_T5_mT6_P12ihipStream_tbENKUlT_T0_E_clISt17integral_constantIbLb1EEST_IbLb0EEEEDaSP_SQ_EUlSP_E0_NS1_11comp_targetILNS1_3genE4ELNS1_11target_archE910ELNS1_3gpuE8ELNS1_3repE0EEENS1_30default_config_static_selectorELNS0_4arch9wavefront6targetE1EEEvT1_
	.globl	_ZN7rocprim17ROCPRIM_400000_NS6detail17trampoline_kernelINS0_14default_configENS1_20scan_config_selectorItEEZZNS1_9scan_implILNS1_25lookback_scan_determinismE0ELb1ELb1ES3_N6thrust23THRUST_200600_302600_NS6detail15normal_iteratorINS9_10device_ptrItEEEESE_t11max_functorItEtEEDaPvRmT3_T4_T5_mT6_P12ihipStream_tbENKUlT_T0_E_clISt17integral_constantIbLb1EEST_IbLb0EEEEDaSP_SQ_EUlSP_E0_NS1_11comp_targetILNS1_3genE4ELNS1_11target_archE910ELNS1_3gpuE8ELNS1_3repE0EEENS1_30default_config_static_selectorELNS0_4arch9wavefront6targetE1EEEvT1_
	.p2align	8
	.type	_ZN7rocprim17ROCPRIM_400000_NS6detail17trampoline_kernelINS0_14default_configENS1_20scan_config_selectorItEEZZNS1_9scan_implILNS1_25lookback_scan_determinismE0ELb1ELb1ES3_N6thrust23THRUST_200600_302600_NS6detail15normal_iteratorINS9_10device_ptrItEEEESE_t11max_functorItEtEEDaPvRmT3_T4_T5_mT6_P12ihipStream_tbENKUlT_T0_E_clISt17integral_constantIbLb1EEST_IbLb0EEEEDaSP_SQ_EUlSP_E0_NS1_11comp_targetILNS1_3genE4ELNS1_11target_archE910ELNS1_3gpuE8ELNS1_3repE0EEENS1_30default_config_static_selectorELNS0_4arch9wavefront6targetE1EEEvT1_,@function
_ZN7rocprim17ROCPRIM_400000_NS6detail17trampoline_kernelINS0_14default_configENS1_20scan_config_selectorItEEZZNS1_9scan_implILNS1_25lookback_scan_determinismE0ELb1ELb1ES3_N6thrust23THRUST_200600_302600_NS6detail15normal_iteratorINS9_10device_ptrItEEEESE_t11max_functorItEtEEDaPvRmT3_T4_T5_mT6_P12ihipStream_tbENKUlT_T0_E_clISt17integral_constantIbLb1EEST_IbLb0EEEEDaSP_SQ_EUlSP_E0_NS1_11comp_targetILNS1_3genE4ELNS1_11target_archE910ELNS1_3gpuE8ELNS1_3repE0EEENS1_30default_config_static_selectorELNS0_4arch9wavefront6targetE1EEEvT1_: ; @_ZN7rocprim17ROCPRIM_400000_NS6detail17trampoline_kernelINS0_14default_configENS1_20scan_config_selectorItEEZZNS1_9scan_implILNS1_25lookback_scan_determinismE0ELb1ELb1ES3_N6thrust23THRUST_200600_302600_NS6detail15normal_iteratorINS9_10device_ptrItEEEESE_t11max_functorItEtEEDaPvRmT3_T4_T5_mT6_P12ihipStream_tbENKUlT_T0_E_clISt17integral_constantIbLb1EEST_IbLb0EEEEDaSP_SQ_EUlSP_E0_NS1_11comp_targetILNS1_3genE4ELNS1_11target_archE910ELNS1_3gpuE8ELNS1_3repE0EEENS1_30default_config_static_selectorELNS0_4arch9wavefront6targetE1EEEvT1_
; %bb.0:
	s_load_dwordx4 s[52:55], s[4:5], 0x0
	v_mov_b32_e32 v1, 0
	v_lshlrev_b32_e32 v14, 1, v0
	s_waitcnt lgkmcnt(0)
	global_load_ushort v2, v1, s[52:53]
	v_cmp_gt_u32_e32 vcc, s54, v0
	s_waitcnt vmcnt(0)
	v_mov_b32_e32 v3, v2
	s_and_saveexec_b64 s[0:1], vcc
	s_cbranch_execz .LBB2533_2
; %bb.1:
	global_load_ushort v3, v14, s[52:53]
.LBB2533_2:
	s_or_b64 exec, exec, s[0:1]
	v_or_b32_e32 v1, 64, v0
	v_cmp_gt_u32_e64 s[0:1], s54, v1
	v_mov_b32_e32 v4, v2
	s_and_saveexec_b64 s[2:3], s[0:1]
	s_cbranch_execz .LBB2533_4
; %bb.3:
	global_load_ushort v4, v14, s[52:53] offset:128
.LBB2533_4:
	s_or_b64 exec, exec, s[2:3]
	v_or_b32_e32 v1, 0x80, v0
	v_cmp_gt_u32_e64 s[2:3], s54, v1
	v_mov_b32_e32 v5, v2
	s_and_saveexec_b64 s[6:7], s[2:3]
	s_cbranch_execz .LBB2533_6
; %bb.5:
	global_load_ushort v5, v14, s[52:53] offset:256
.LBB2533_6:
	;; [unrolled: 9-line block ×22, first 2 shown]
	s_or_b64 exec, exec, s[46:47]
	v_or_b32_e32 v1, 0x5c0, v0
	v_cmp_gt_u32_e64 s[46:47], s54, v1
	v_cmp_le_u32_e64 s[50:51], s54, v1
	s_and_saveexec_b64 s[54:55], s[50:51]
	s_xor_b64 s[50:51], exec, s[54:55]
; %bb.47:
	v_mov_b32_e32 v1, 0
; %bb.48:
	s_or_saveexec_b64 s[50:51], s[50:51]
	s_load_dword s33, s[4:5], 0x10
	s_load_dwordx2 s[54:55], s[4:5], 0x18
	s_xor_b64 exec, exec, s[50:51]
	s_cbranch_execz .LBB2533_50
; %bb.49:
	global_load_ushort v2, v14, s[52:53] offset:2944
	v_mov_b32_e32 v1, 0
.LBB2533_50:
	s_or_b64 exec, exec, s[50:51]
	s_waitcnt vmcnt(0)
	ds_write_b16 v14, v3
	ds_write_b16 v14, v4 offset:128
	ds_write_b16 v14, v5 offset:256
	;; [unrolled: 1-line block ×23, first 2 shown]
	v_mad_u32_u24 v15, v0, 46, v14
	s_waitcnt lgkmcnt(0)
	; wave barrier
	s_waitcnt lgkmcnt(0)
	ds_read_b128 v[10:13], v15
	ds_read_b128 v[6:9], v15 offset:16
	ds_read_b128 v[2:5], v15 offset:32
	s_waitcnt lgkmcnt(0)
	; wave barrier
	s_waitcnt lgkmcnt(0)
	v_lshrrev_b32_e32 v25, 16, v11
	v_max_u16_sdwa v27, v10, v10 dst_sel:DWORD dst_unused:UNUSED_PAD src0_sel:DWORD src1_sel:WORD_1
	v_lshrrev_b32_e32 v24, 16, v12
	v_max3_u16 v27, v27, v11, v25
	v_lshrrev_b32_e32 v23, 16, v13
	v_max3_u16 v27, v27, v12, v24
	;; [unrolled: 2-line block ×10, first 2 shown]
	v_max3_u16 v27, v27, v5, v26
	v_mbcnt_lo_u32_b32 v26, -1, 0
	v_mbcnt_hi_u32_b32 v26, -1, v26
	v_and_b32_e32 v29, 0xffff, v27
	v_and_b32_e32 v28, 15, v26
	v_cmp_eq_u32_e64 s[4:5], 0, v28
	v_mov_b32_dpp v29, v29 row_shr:1 row_mask:0xf bank_mask:0xf
	v_max_u16_e32 v29, v29, v27
	v_cndmask_b32_e64 v27, v29, v27, s[4:5]
	v_and_b32_e32 v29, 0xffff, v27
	v_cmp_lt_u32_e64 s[4:5], 1, v28
	s_nop 0
	v_mov_b32_dpp v29, v29 row_shr:2 row_mask:0xf bank_mask:0xf
	v_max_u16_e32 v29, v29, v27
	v_cndmask_b32_e64 v27, v27, v29, s[4:5]
	v_and_b32_e32 v29, 0xffff, v27
	v_cmp_lt_u32_e64 s[4:5], 3, v28
	s_nop 0
	;; [unrolled: 6-line block ×3, first 2 shown]
	v_mov_b32_dpp v29, v29 row_shr:8 row_mask:0xf bank_mask:0xf
	v_max_u16_e32 v29, v29, v27
	v_cndmask_b32_e64 v27, v27, v29, s[4:5]
	v_and_b32_e32 v28, 0xffff, v27
	v_and_b32_e32 v29, 16, v26
	v_cmp_eq_u32_e64 s[4:5], 0, v29
	v_mov_b32_dpp v28, v28 row_bcast:15 row_mask:0xf bank_mask:0xf
	v_max_u16_e32 v28, v28, v27
	v_cndmask_b32_e64 v27, v28, v27, s[4:5]
	v_and_b32_e32 v28, 0xffff, v27
	v_cmp_lt_u32_e64 s[4:5], 31, v26
	s_nop 0
	v_mov_b32_dpp v28, v28 row_bcast:31 row_mask:0xf bank_mask:0xf
	v_max_u16_e32 v28, v28, v27
	v_cndmask_b32_e64 v27, v27, v28, s[4:5]
	v_cmp_eq_u32_e64 s[4:5], 63, v0
	s_and_saveexec_b64 s[50:51], s[4:5]
	s_cbranch_execz .LBB2533_52
; %bb.51:
	v_mov_b32_e32 v28, 0
	ds_write_b16 v28, v27
.LBB2533_52:
	s_or_b64 exec, exec, s[50:51]
	v_add_u32_e32 v28, -1, v26
	v_and_b32_e32 v29, 64, v26
	v_cmp_lt_i32_e64 s[4:5], v28, v29
	v_cndmask_b32_e64 v28, v28, v26, s[4:5]
	v_max_u16_e32 v27, s33, v27
	v_lshlrev_b32_e32 v28, 2, v28
	ds_bpermute_b32 v27, v28, v27
	v_cmp_eq_u32_e64 s[4:5], 0, v26
	v_cmp_eq_u32_e64 s[50:51], 0, v0
	v_mov_b32_e32 v26, s33
	s_or_b64 s[4:5], s[50:51], s[4:5]
	s_waitcnt lgkmcnt(0)
	v_cndmask_b32_e64 v26, v27, v26, s[4:5]
	v_max_u16_e32 v27, v26, v10
	v_max_u16_sdwa v10, v27, v10 dst_sel:DWORD dst_unused:UNUSED_PAD src0_sel:DWORD src1_sel:WORD_1
	v_max_u16_e32 v11, v10, v11
	v_max_u16_e32 v25, v11, v25
	;; [unrolled: 1-line block ×20, first 2 shown]
	s_mov_b32 s4, 0x5040100
	v_max_u16_e32 v31, v16, v5
	v_perm_b32 v2, v27, v26, s4
	v_perm_b32 v3, v11, v10, s4
	;; [unrolled: 1-line block ×4, first 2 shown]
	s_waitcnt lgkmcnt(0)
	; wave barrier
	s_waitcnt lgkmcnt(0)
	s_waitcnt lgkmcnt(0)
	; wave barrier
	ds_write_b128 v15, v[2:5]
	v_perm_b32 v2, v6, v23, s4
	v_perm_b32 v3, v7, v22, s4
	;; [unrolled: 1-line block ×4, first 2 shown]
	ds_write_b128 v15, v[2:5] offset:16
	v_perm_b32 v2, v28, v19, s4
	v_perm_b32 v3, v29, v18, s4
	;; [unrolled: 1-line block ×4, first 2 shown]
	s_movk_i32 s4, 0xffd2
	ds_write_b128 v15, v[2:5] offset:32
	v_mad_i32_i24 v2, v0, s4, v15
	s_waitcnt lgkmcnt(0)
	; wave barrier
	s_waitcnt lgkmcnt(0)
	ds_read_u16 v25, v2 offset:128
	ds_read_u16 v24, v2 offset:256
	;; [unrolled: 1-line block ×23, first 2 shown]
	v_lshlrev_b64 v[0:1], 1, v[0:1]
	v_mov_b32_e32 v26, s55
	v_add_co_u32_e64 v0, s[4:5], s54, v0
	v_addc_co_u32_e64 v1, s[4:5], v26, v1, s[4:5]
	s_and_saveexec_b64 s[4:5], vcc
	s_cbranch_execnz .LBB2533_77
; %bb.53:
	s_or_b64 exec, exec, s[4:5]
	s_and_saveexec_b64 s[4:5], s[0:1]
	s_cbranch_execnz .LBB2533_78
.LBB2533_54:
	s_or_b64 exec, exec, s[4:5]
	s_and_saveexec_b64 s[0:1], s[2:3]
	s_cbranch_execnz .LBB2533_79
.LBB2533_55:
	s_or_b64 exec, exec, s[0:1]
	s_and_saveexec_b64 s[0:1], s[48:49]
	s_cbranch_execnz .LBB2533_80
.LBB2533_56:
	s_or_b64 exec, exec, s[0:1]
	s_and_saveexec_b64 s[0:1], s[6:7]
	s_cbranch_execnz .LBB2533_81
.LBB2533_57:
	s_or_b64 exec, exec, s[0:1]
	s_and_saveexec_b64 s[0:1], s[8:9]
	s_cbranch_execnz .LBB2533_82
.LBB2533_58:
	s_or_b64 exec, exec, s[0:1]
	s_and_saveexec_b64 s[0:1], s[10:11]
	s_cbranch_execnz .LBB2533_83
.LBB2533_59:
	s_or_b64 exec, exec, s[0:1]
	s_and_saveexec_b64 s[0:1], s[12:13]
	s_cbranch_execnz .LBB2533_84
.LBB2533_60:
	s_or_b64 exec, exec, s[0:1]
	s_and_saveexec_b64 s[0:1], s[14:15]
	s_cbranch_execnz .LBB2533_85
.LBB2533_61:
	s_or_b64 exec, exec, s[0:1]
	s_and_saveexec_b64 s[0:1], s[16:17]
	s_cbranch_execnz .LBB2533_86
.LBB2533_62:
	s_or_b64 exec, exec, s[0:1]
	s_and_saveexec_b64 s[0:1], s[18:19]
	s_cbranch_execnz .LBB2533_87
.LBB2533_63:
	s_or_b64 exec, exec, s[0:1]
	s_and_saveexec_b64 s[0:1], s[20:21]
	s_cbranch_execnz .LBB2533_88
.LBB2533_64:
	s_or_b64 exec, exec, s[0:1]
	s_and_saveexec_b64 s[0:1], s[22:23]
	s_cbranch_execnz .LBB2533_89
.LBB2533_65:
	s_or_b64 exec, exec, s[0:1]
	s_and_saveexec_b64 s[0:1], s[24:25]
	s_cbranch_execnz .LBB2533_90
.LBB2533_66:
	s_or_b64 exec, exec, s[0:1]
	s_and_saveexec_b64 s[0:1], s[26:27]
	s_cbranch_execnz .LBB2533_91
.LBB2533_67:
	s_or_b64 exec, exec, s[0:1]
	s_and_saveexec_b64 s[0:1], s[28:29]
	s_cbranch_execnz .LBB2533_92
.LBB2533_68:
	s_or_b64 exec, exec, s[0:1]
	s_and_saveexec_b64 s[0:1], s[30:31]
	s_cbranch_execnz .LBB2533_93
.LBB2533_69:
	s_or_b64 exec, exec, s[0:1]
	s_and_saveexec_b64 s[0:1], s[34:35]
	s_cbranch_execnz .LBB2533_94
.LBB2533_70:
	s_or_b64 exec, exec, s[0:1]
	s_and_saveexec_b64 s[0:1], s[36:37]
	s_cbranch_execnz .LBB2533_95
.LBB2533_71:
	s_or_b64 exec, exec, s[0:1]
	s_and_saveexec_b64 s[0:1], s[38:39]
	s_cbranch_execnz .LBB2533_96
.LBB2533_72:
	s_or_b64 exec, exec, s[0:1]
	s_and_saveexec_b64 s[0:1], s[40:41]
	s_cbranch_execnz .LBB2533_97
.LBB2533_73:
	s_or_b64 exec, exec, s[0:1]
	s_and_saveexec_b64 s[0:1], s[42:43]
	s_cbranch_execnz .LBB2533_98
.LBB2533_74:
	s_or_b64 exec, exec, s[0:1]
	s_and_saveexec_b64 s[0:1], s[44:45]
	s_cbranch_execnz .LBB2533_99
.LBB2533_75:
	s_or_b64 exec, exec, s[0:1]
	s_and_saveexec_b64 s[0:1], s[46:47]
	s_cbranch_execnz .LBB2533_100
.LBB2533_76:
	s_endpgm
.LBB2533_77:
	ds_read_u16 v14, v14
	s_waitcnt lgkmcnt(0)
	global_store_short v[0:1], v14, off
	s_or_b64 exec, exec, s[4:5]
	s_and_saveexec_b64 s[4:5], s[0:1]
	s_cbranch_execz .LBB2533_54
.LBB2533_78:
	s_waitcnt lgkmcnt(14)
	global_store_short v[0:1], v25, off offset:128
	s_or_b64 exec, exec, s[4:5]
	s_and_saveexec_b64 s[0:1], s[2:3]
	s_cbranch_execz .LBB2533_55
.LBB2533_79:
	s_waitcnt lgkmcnt(14)
	global_store_short v[0:1], v24, off offset:256
	s_or_b64 exec, exec, s[0:1]
	s_and_saveexec_b64 s[0:1], s[48:49]
	s_cbranch_execz .LBB2533_56
.LBB2533_80:
	s_waitcnt lgkmcnt(14)
	global_store_short v[0:1], v23, off offset:384
	s_or_b64 exec, exec, s[0:1]
	s_and_saveexec_b64 s[0:1], s[6:7]
	s_cbranch_execz .LBB2533_57
.LBB2533_81:
	s_waitcnt lgkmcnt(14)
	global_store_short v[0:1], v22, off offset:512
	s_or_b64 exec, exec, s[0:1]
	s_and_saveexec_b64 s[0:1], s[8:9]
	s_cbranch_execz .LBB2533_58
.LBB2533_82:
	s_waitcnt lgkmcnt(14)
	global_store_short v[0:1], v21, off offset:640
	s_or_b64 exec, exec, s[0:1]
	s_and_saveexec_b64 s[0:1], s[10:11]
	s_cbranch_execz .LBB2533_59
.LBB2533_83:
	s_waitcnt lgkmcnt(14)
	global_store_short v[0:1], v20, off offset:768
	s_or_b64 exec, exec, s[0:1]
	s_and_saveexec_b64 s[0:1], s[12:13]
	s_cbranch_execz .LBB2533_60
.LBB2533_84:
	s_waitcnt lgkmcnt(14)
	global_store_short v[0:1], v19, off offset:896
	s_or_b64 exec, exec, s[0:1]
	s_and_saveexec_b64 s[0:1], s[14:15]
	s_cbranch_execz .LBB2533_61
.LBB2533_85:
	s_waitcnt lgkmcnt(14)
	global_store_short v[0:1], v18, off offset:1024
	s_or_b64 exec, exec, s[0:1]
	s_and_saveexec_b64 s[0:1], s[16:17]
	s_cbranch_execz .LBB2533_62
.LBB2533_86:
	s_waitcnt lgkmcnt(14)
	global_store_short v[0:1], v17, off offset:1152
	s_or_b64 exec, exec, s[0:1]
	s_and_saveexec_b64 s[0:1], s[18:19]
	s_cbranch_execz .LBB2533_63
.LBB2533_87:
	s_waitcnt lgkmcnt(13)
	global_store_short v[0:1], v16, off offset:1280
	s_or_b64 exec, exec, s[0:1]
	s_and_saveexec_b64 s[0:1], s[20:21]
	s_cbranch_execz .LBB2533_64
.LBB2533_88:
	s_waitcnt lgkmcnt(12)
	global_store_short v[0:1], v15, off offset:1408
	s_or_b64 exec, exec, s[0:1]
	s_and_saveexec_b64 s[0:1], s[22:23]
	s_cbranch_execz .LBB2533_65
.LBB2533_89:
	s_waitcnt lgkmcnt(11)
	global_store_short v[0:1], v13, off offset:1536
	s_or_b64 exec, exec, s[0:1]
	s_and_saveexec_b64 s[0:1], s[24:25]
	s_cbranch_execz .LBB2533_66
.LBB2533_90:
	s_waitcnt lgkmcnt(10)
	global_store_short v[0:1], v12, off offset:1664
	s_or_b64 exec, exec, s[0:1]
	s_and_saveexec_b64 s[0:1], s[26:27]
	s_cbranch_execz .LBB2533_67
.LBB2533_91:
	s_waitcnt lgkmcnt(9)
	global_store_short v[0:1], v11, off offset:1792
	s_or_b64 exec, exec, s[0:1]
	s_and_saveexec_b64 s[0:1], s[28:29]
	s_cbranch_execz .LBB2533_68
.LBB2533_92:
	s_waitcnt lgkmcnt(8)
	global_store_short v[0:1], v10, off offset:1920
	s_or_b64 exec, exec, s[0:1]
	s_and_saveexec_b64 s[0:1], s[30:31]
	s_cbranch_execz .LBB2533_69
.LBB2533_93:
	s_waitcnt lgkmcnt(1)
	global_store_short v[0:1], v9, off offset:2048
	s_or_b64 exec, exec, s[0:1]
	s_and_saveexec_b64 s[0:1], s[34:35]
	s_cbranch_execz .LBB2533_70
.LBB2533_94:
	s_waitcnt lgkmcnt(7)
	global_store_short v[0:1], v8, off offset:2176
	s_or_b64 exec, exec, s[0:1]
	s_and_saveexec_b64 s[0:1], s[36:37]
	s_cbranch_execz .LBB2533_71
.LBB2533_95:
	s_waitcnt lgkmcnt(6)
	global_store_short v[0:1], v7, off offset:2304
	s_or_b64 exec, exec, s[0:1]
	s_and_saveexec_b64 s[0:1], s[38:39]
	s_cbranch_execz .LBB2533_72
.LBB2533_96:
	s_waitcnt lgkmcnt(5)
	global_store_short v[0:1], v6, off offset:2432
	s_or_b64 exec, exec, s[0:1]
	s_and_saveexec_b64 s[0:1], s[40:41]
	s_cbranch_execz .LBB2533_73
.LBB2533_97:
	s_waitcnt lgkmcnt(4)
	global_store_short v[0:1], v5, off offset:2560
	s_or_b64 exec, exec, s[0:1]
	s_and_saveexec_b64 s[0:1], s[42:43]
	s_cbranch_execz .LBB2533_74
.LBB2533_98:
	s_waitcnt lgkmcnt(3)
	global_store_short v[0:1], v4, off offset:2688
	s_or_b64 exec, exec, s[0:1]
	s_and_saveexec_b64 s[0:1], s[44:45]
	s_cbranch_execz .LBB2533_75
.LBB2533_99:
	s_waitcnt lgkmcnt(2)
	global_store_short v[0:1], v3, off offset:2816
	s_or_b64 exec, exec, s[0:1]
	s_and_saveexec_b64 s[0:1], s[46:47]
	s_cbranch_execz .LBB2533_76
.LBB2533_100:
	s_waitcnt lgkmcnt(0)
	global_store_short v[0:1], v2, off offset:2944
	s_endpgm
	.section	.rodata,"a",@progbits
	.p2align	6, 0x0
	.amdhsa_kernel _ZN7rocprim17ROCPRIM_400000_NS6detail17trampoline_kernelINS0_14default_configENS1_20scan_config_selectorItEEZZNS1_9scan_implILNS1_25lookback_scan_determinismE0ELb1ELb1ES3_N6thrust23THRUST_200600_302600_NS6detail15normal_iteratorINS9_10device_ptrItEEEESE_t11max_functorItEtEEDaPvRmT3_T4_T5_mT6_P12ihipStream_tbENKUlT_T0_E_clISt17integral_constantIbLb1EEST_IbLb0EEEEDaSP_SQ_EUlSP_E0_NS1_11comp_targetILNS1_3genE4ELNS1_11target_archE910ELNS1_3gpuE8ELNS1_3repE0EEENS1_30default_config_static_selectorELNS0_4arch9wavefront6targetE1EEEvT1_
		.amdhsa_group_segment_fixed_size 3072
		.amdhsa_private_segment_fixed_size 0
		.amdhsa_kernarg_size 32
		.amdhsa_user_sgpr_count 6
		.amdhsa_user_sgpr_private_segment_buffer 1
		.amdhsa_user_sgpr_dispatch_ptr 0
		.amdhsa_user_sgpr_queue_ptr 0
		.amdhsa_user_sgpr_kernarg_segment_ptr 1
		.amdhsa_user_sgpr_dispatch_id 0
		.amdhsa_user_sgpr_flat_scratch_init 0
		.amdhsa_user_sgpr_kernarg_preload_length 0
		.amdhsa_user_sgpr_kernarg_preload_offset 0
		.amdhsa_user_sgpr_private_segment_size 0
		.amdhsa_uses_dynamic_stack 0
		.amdhsa_system_sgpr_private_segment_wavefront_offset 0
		.amdhsa_system_sgpr_workgroup_id_x 1
		.amdhsa_system_sgpr_workgroup_id_y 0
		.amdhsa_system_sgpr_workgroup_id_z 0
		.amdhsa_system_sgpr_workgroup_info 0
		.amdhsa_system_vgpr_workitem_id 0
		.amdhsa_next_free_vgpr 32
		.amdhsa_next_free_sgpr 56
		.amdhsa_accum_offset 32
		.amdhsa_reserve_vcc 1
		.amdhsa_reserve_flat_scratch 0
		.amdhsa_float_round_mode_32 0
		.amdhsa_float_round_mode_16_64 0
		.amdhsa_float_denorm_mode_32 3
		.amdhsa_float_denorm_mode_16_64 3
		.amdhsa_dx10_clamp 1
		.amdhsa_ieee_mode 1
		.amdhsa_fp16_overflow 0
		.amdhsa_tg_split 0
		.amdhsa_exception_fp_ieee_invalid_op 0
		.amdhsa_exception_fp_denorm_src 0
		.amdhsa_exception_fp_ieee_div_zero 0
		.amdhsa_exception_fp_ieee_overflow 0
		.amdhsa_exception_fp_ieee_underflow 0
		.amdhsa_exception_fp_ieee_inexact 0
		.amdhsa_exception_int_div_zero 0
	.end_amdhsa_kernel
	.section	.text._ZN7rocprim17ROCPRIM_400000_NS6detail17trampoline_kernelINS0_14default_configENS1_20scan_config_selectorItEEZZNS1_9scan_implILNS1_25lookback_scan_determinismE0ELb1ELb1ES3_N6thrust23THRUST_200600_302600_NS6detail15normal_iteratorINS9_10device_ptrItEEEESE_t11max_functorItEtEEDaPvRmT3_T4_T5_mT6_P12ihipStream_tbENKUlT_T0_E_clISt17integral_constantIbLb1EEST_IbLb0EEEEDaSP_SQ_EUlSP_E0_NS1_11comp_targetILNS1_3genE4ELNS1_11target_archE910ELNS1_3gpuE8ELNS1_3repE0EEENS1_30default_config_static_selectorELNS0_4arch9wavefront6targetE1EEEvT1_,"axG",@progbits,_ZN7rocprim17ROCPRIM_400000_NS6detail17trampoline_kernelINS0_14default_configENS1_20scan_config_selectorItEEZZNS1_9scan_implILNS1_25lookback_scan_determinismE0ELb1ELb1ES3_N6thrust23THRUST_200600_302600_NS6detail15normal_iteratorINS9_10device_ptrItEEEESE_t11max_functorItEtEEDaPvRmT3_T4_T5_mT6_P12ihipStream_tbENKUlT_T0_E_clISt17integral_constantIbLb1EEST_IbLb0EEEEDaSP_SQ_EUlSP_E0_NS1_11comp_targetILNS1_3genE4ELNS1_11target_archE910ELNS1_3gpuE8ELNS1_3repE0EEENS1_30default_config_static_selectorELNS0_4arch9wavefront6targetE1EEEvT1_,comdat
.Lfunc_end2533:
	.size	_ZN7rocprim17ROCPRIM_400000_NS6detail17trampoline_kernelINS0_14default_configENS1_20scan_config_selectorItEEZZNS1_9scan_implILNS1_25lookback_scan_determinismE0ELb1ELb1ES3_N6thrust23THRUST_200600_302600_NS6detail15normal_iteratorINS9_10device_ptrItEEEESE_t11max_functorItEtEEDaPvRmT3_T4_T5_mT6_P12ihipStream_tbENKUlT_T0_E_clISt17integral_constantIbLb1EEST_IbLb0EEEEDaSP_SQ_EUlSP_E0_NS1_11comp_targetILNS1_3genE4ELNS1_11target_archE910ELNS1_3gpuE8ELNS1_3repE0EEENS1_30default_config_static_selectorELNS0_4arch9wavefront6targetE1EEEvT1_, .Lfunc_end2533-_ZN7rocprim17ROCPRIM_400000_NS6detail17trampoline_kernelINS0_14default_configENS1_20scan_config_selectorItEEZZNS1_9scan_implILNS1_25lookback_scan_determinismE0ELb1ELb1ES3_N6thrust23THRUST_200600_302600_NS6detail15normal_iteratorINS9_10device_ptrItEEEESE_t11max_functorItEtEEDaPvRmT3_T4_T5_mT6_P12ihipStream_tbENKUlT_T0_E_clISt17integral_constantIbLb1EEST_IbLb0EEEEDaSP_SQ_EUlSP_E0_NS1_11comp_targetILNS1_3genE4ELNS1_11target_archE910ELNS1_3gpuE8ELNS1_3repE0EEENS1_30default_config_static_selectorELNS0_4arch9wavefront6targetE1EEEvT1_
                                        ; -- End function
	.section	.AMDGPU.csdata,"",@progbits
; Kernel info:
; codeLenInByte = 3096
; NumSgprs: 60
; NumVgprs: 32
; NumAgprs: 0
; TotalNumVgprs: 32
; ScratchSize: 0
; MemoryBound: 0
; FloatMode: 240
; IeeeMode: 1
; LDSByteSize: 3072 bytes/workgroup (compile time only)
; SGPRBlocks: 7
; VGPRBlocks: 3
; NumSGPRsForWavesPerEU: 60
; NumVGPRsForWavesPerEU: 32
; AccumOffset: 32
; Occupancy: 6
; WaveLimiterHint : 0
; COMPUTE_PGM_RSRC2:SCRATCH_EN: 0
; COMPUTE_PGM_RSRC2:USER_SGPR: 6
; COMPUTE_PGM_RSRC2:TRAP_HANDLER: 0
; COMPUTE_PGM_RSRC2:TGID_X_EN: 1
; COMPUTE_PGM_RSRC2:TGID_Y_EN: 0
; COMPUTE_PGM_RSRC2:TGID_Z_EN: 0
; COMPUTE_PGM_RSRC2:TIDIG_COMP_CNT: 0
; COMPUTE_PGM_RSRC3_GFX90A:ACCUM_OFFSET: 7
; COMPUTE_PGM_RSRC3_GFX90A:TG_SPLIT: 0
	.section	.text._ZN7rocprim17ROCPRIM_400000_NS6detail17trampoline_kernelINS0_14default_configENS1_20scan_config_selectorItEEZZNS1_9scan_implILNS1_25lookback_scan_determinismE0ELb1ELb1ES3_N6thrust23THRUST_200600_302600_NS6detail15normal_iteratorINS9_10device_ptrItEEEESE_t11max_functorItEtEEDaPvRmT3_T4_T5_mT6_P12ihipStream_tbENKUlT_T0_E_clISt17integral_constantIbLb1EEST_IbLb0EEEEDaSP_SQ_EUlSP_E0_NS1_11comp_targetILNS1_3genE3ELNS1_11target_archE908ELNS1_3gpuE7ELNS1_3repE0EEENS1_30default_config_static_selectorELNS0_4arch9wavefront6targetE1EEEvT1_,"axG",@progbits,_ZN7rocprim17ROCPRIM_400000_NS6detail17trampoline_kernelINS0_14default_configENS1_20scan_config_selectorItEEZZNS1_9scan_implILNS1_25lookback_scan_determinismE0ELb1ELb1ES3_N6thrust23THRUST_200600_302600_NS6detail15normal_iteratorINS9_10device_ptrItEEEESE_t11max_functorItEtEEDaPvRmT3_T4_T5_mT6_P12ihipStream_tbENKUlT_T0_E_clISt17integral_constantIbLb1EEST_IbLb0EEEEDaSP_SQ_EUlSP_E0_NS1_11comp_targetILNS1_3genE3ELNS1_11target_archE908ELNS1_3gpuE7ELNS1_3repE0EEENS1_30default_config_static_selectorELNS0_4arch9wavefront6targetE1EEEvT1_,comdat
	.protected	_ZN7rocprim17ROCPRIM_400000_NS6detail17trampoline_kernelINS0_14default_configENS1_20scan_config_selectorItEEZZNS1_9scan_implILNS1_25lookback_scan_determinismE0ELb1ELb1ES3_N6thrust23THRUST_200600_302600_NS6detail15normal_iteratorINS9_10device_ptrItEEEESE_t11max_functorItEtEEDaPvRmT3_T4_T5_mT6_P12ihipStream_tbENKUlT_T0_E_clISt17integral_constantIbLb1EEST_IbLb0EEEEDaSP_SQ_EUlSP_E0_NS1_11comp_targetILNS1_3genE3ELNS1_11target_archE908ELNS1_3gpuE7ELNS1_3repE0EEENS1_30default_config_static_selectorELNS0_4arch9wavefront6targetE1EEEvT1_ ; -- Begin function _ZN7rocprim17ROCPRIM_400000_NS6detail17trampoline_kernelINS0_14default_configENS1_20scan_config_selectorItEEZZNS1_9scan_implILNS1_25lookback_scan_determinismE0ELb1ELb1ES3_N6thrust23THRUST_200600_302600_NS6detail15normal_iteratorINS9_10device_ptrItEEEESE_t11max_functorItEtEEDaPvRmT3_T4_T5_mT6_P12ihipStream_tbENKUlT_T0_E_clISt17integral_constantIbLb1EEST_IbLb0EEEEDaSP_SQ_EUlSP_E0_NS1_11comp_targetILNS1_3genE3ELNS1_11target_archE908ELNS1_3gpuE7ELNS1_3repE0EEENS1_30default_config_static_selectorELNS0_4arch9wavefront6targetE1EEEvT1_
	.globl	_ZN7rocprim17ROCPRIM_400000_NS6detail17trampoline_kernelINS0_14default_configENS1_20scan_config_selectorItEEZZNS1_9scan_implILNS1_25lookback_scan_determinismE0ELb1ELb1ES3_N6thrust23THRUST_200600_302600_NS6detail15normal_iteratorINS9_10device_ptrItEEEESE_t11max_functorItEtEEDaPvRmT3_T4_T5_mT6_P12ihipStream_tbENKUlT_T0_E_clISt17integral_constantIbLb1EEST_IbLb0EEEEDaSP_SQ_EUlSP_E0_NS1_11comp_targetILNS1_3genE3ELNS1_11target_archE908ELNS1_3gpuE7ELNS1_3repE0EEENS1_30default_config_static_selectorELNS0_4arch9wavefront6targetE1EEEvT1_
	.p2align	8
	.type	_ZN7rocprim17ROCPRIM_400000_NS6detail17trampoline_kernelINS0_14default_configENS1_20scan_config_selectorItEEZZNS1_9scan_implILNS1_25lookback_scan_determinismE0ELb1ELb1ES3_N6thrust23THRUST_200600_302600_NS6detail15normal_iteratorINS9_10device_ptrItEEEESE_t11max_functorItEtEEDaPvRmT3_T4_T5_mT6_P12ihipStream_tbENKUlT_T0_E_clISt17integral_constantIbLb1EEST_IbLb0EEEEDaSP_SQ_EUlSP_E0_NS1_11comp_targetILNS1_3genE3ELNS1_11target_archE908ELNS1_3gpuE7ELNS1_3repE0EEENS1_30default_config_static_selectorELNS0_4arch9wavefront6targetE1EEEvT1_,@function
_ZN7rocprim17ROCPRIM_400000_NS6detail17trampoline_kernelINS0_14default_configENS1_20scan_config_selectorItEEZZNS1_9scan_implILNS1_25lookback_scan_determinismE0ELb1ELb1ES3_N6thrust23THRUST_200600_302600_NS6detail15normal_iteratorINS9_10device_ptrItEEEESE_t11max_functorItEtEEDaPvRmT3_T4_T5_mT6_P12ihipStream_tbENKUlT_T0_E_clISt17integral_constantIbLb1EEST_IbLb0EEEEDaSP_SQ_EUlSP_E0_NS1_11comp_targetILNS1_3genE3ELNS1_11target_archE908ELNS1_3gpuE7ELNS1_3repE0EEENS1_30default_config_static_selectorELNS0_4arch9wavefront6targetE1EEEvT1_: ; @_ZN7rocprim17ROCPRIM_400000_NS6detail17trampoline_kernelINS0_14default_configENS1_20scan_config_selectorItEEZZNS1_9scan_implILNS1_25lookback_scan_determinismE0ELb1ELb1ES3_N6thrust23THRUST_200600_302600_NS6detail15normal_iteratorINS9_10device_ptrItEEEESE_t11max_functorItEtEEDaPvRmT3_T4_T5_mT6_P12ihipStream_tbENKUlT_T0_E_clISt17integral_constantIbLb1EEST_IbLb0EEEEDaSP_SQ_EUlSP_E0_NS1_11comp_targetILNS1_3genE3ELNS1_11target_archE908ELNS1_3gpuE7ELNS1_3repE0EEENS1_30default_config_static_selectorELNS0_4arch9wavefront6targetE1EEEvT1_
; %bb.0:
	.section	.rodata,"a",@progbits
	.p2align	6, 0x0
	.amdhsa_kernel _ZN7rocprim17ROCPRIM_400000_NS6detail17trampoline_kernelINS0_14default_configENS1_20scan_config_selectorItEEZZNS1_9scan_implILNS1_25lookback_scan_determinismE0ELb1ELb1ES3_N6thrust23THRUST_200600_302600_NS6detail15normal_iteratorINS9_10device_ptrItEEEESE_t11max_functorItEtEEDaPvRmT3_T4_T5_mT6_P12ihipStream_tbENKUlT_T0_E_clISt17integral_constantIbLb1EEST_IbLb0EEEEDaSP_SQ_EUlSP_E0_NS1_11comp_targetILNS1_3genE3ELNS1_11target_archE908ELNS1_3gpuE7ELNS1_3repE0EEENS1_30default_config_static_selectorELNS0_4arch9wavefront6targetE1EEEvT1_
		.amdhsa_group_segment_fixed_size 0
		.amdhsa_private_segment_fixed_size 0
		.amdhsa_kernarg_size 32
		.amdhsa_user_sgpr_count 6
		.amdhsa_user_sgpr_private_segment_buffer 1
		.amdhsa_user_sgpr_dispatch_ptr 0
		.amdhsa_user_sgpr_queue_ptr 0
		.amdhsa_user_sgpr_kernarg_segment_ptr 1
		.amdhsa_user_sgpr_dispatch_id 0
		.amdhsa_user_sgpr_flat_scratch_init 0
		.amdhsa_user_sgpr_kernarg_preload_length 0
		.amdhsa_user_sgpr_kernarg_preload_offset 0
		.amdhsa_user_sgpr_private_segment_size 0
		.amdhsa_uses_dynamic_stack 0
		.amdhsa_system_sgpr_private_segment_wavefront_offset 0
		.amdhsa_system_sgpr_workgroup_id_x 1
		.amdhsa_system_sgpr_workgroup_id_y 0
		.amdhsa_system_sgpr_workgroup_id_z 0
		.amdhsa_system_sgpr_workgroup_info 0
		.amdhsa_system_vgpr_workitem_id 0
		.amdhsa_next_free_vgpr 1
		.amdhsa_next_free_sgpr 0
		.amdhsa_accum_offset 4
		.amdhsa_reserve_vcc 0
		.amdhsa_reserve_flat_scratch 0
		.amdhsa_float_round_mode_32 0
		.amdhsa_float_round_mode_16_64 0
		.amdhsa_float_denorm_mode_32 3
		.amdhsa_float_denorm_mode_16_64 3
		.amdhsa_dx10_clamp 1
		.amdhsa_ieee_mode 1
		.amdhsa_fp16_overflow 0
		.amdhsa_tg_split 0
		.amdhsa_exception_fp_ieee_invalid_op 0
		.amdhsa_exception_fp_denorm_src 0
		.amdhsa_exception_fp_ieee_div_zero 0
		.amdhsa_exception_fp_ieee_overflow 0
		.amdhsa_exception_fp_ieee_underflow 0
		.amdhsa_exception_fp_ieee_inexact 0
		.amdhsa_exception_int_div_zero 0
	.end_amdhsa_kernel
	.section	.text._ZN7rocprim17ROCPRIM_400000_NS6detail17trampoline_kernelINS0_14default_configENS1_20scan_config_selectorItEEZZNS1_9scan_implILNS1_25lookback_scan_determinismE0ELb1ELb1ES3_N6thrust23THRUST_200600_302600_NS6detail15normal_iteratorINS9_10device_ptrItEEEESE_t11max_functorItEtEEDaPvRmT3_T4_T5_mT6_P12ihipStream_tbENKUlT_T0_E_clISt17integral_constantIbLb1EEST_IbLb0EEEEDaSP_SQ_EUlSP_E0_NS1_11comp_targetILNS1_3genE3ELNS1_11target_archE908ELNS1_3gpuE7ELNS1_3repE0EEENS1_30default_config_static_selectorELNS0_4arch9wavefront6targetE1EEEvT1_,"axG",@progbits,_ZN7rocprim17ROCPRIM_400000_NS6detail17trampoline_kernelINS0_14default_configENS1_20scan_config_selectorItEEZZNS1_9scan_implILNS1_25lookback_scan_determinismE0ELb1ELb1ES3_N6thrust23THRUST_200600_302600_NS6detail15normal_iteratorINS9_10device_ptrItEEEESE_t11max_functorItEtEEDaPvRmT3_T4_T5_mT6_P12ihipStream_tbENKUlT_T0_E_clISt17integral_constantIbLb1EEST_IbLb0EEEEDaSP_SQ_EUlSP_E0_NS1_11comp_targetILNS1_3genE3ELNS1_11target_archE908ELNS1_3gpuE7ELNS1_3repE0EEENS1_30default_config_static_selectorELNS0_4arch9wavefront6targetE1EEEvT1_,comdat
.Lfunc_end2534:
	.size	_ZN7rocprim17ROCPRIM_400000_NS6detail17trampoline_kernelINS0_14default_configENS1_20scan_config_selectorItEEZZNS1_9scan_implILNS1_25lookback_scan_determinismE0ELb1ELb1ES3_N6thrust23THRUST_200600_302600_NS6detail15normal_iteratorINS9_10device_ptrItEEEESE_t11max_functorItEtEEDaPvRmT3_T4_T5_mT6_P12ihipStream_tbENKUlT_T0_E_clISt17integral_constantIbLb1EEST_IbLb0EEEEDaSP_SQ_EUlSP_E0_NS1_11comp_targetILNS1_3genE3ELNS1_11target_archE908ELNS1_3gpuE7ELNS1_3repE0EEENS1_30default_config_static_selectorELNS0_4arch9wavefront6targetE1EEEvT1_, .Lfunc_end2534-_ZN7rocprim17ROCPRIM_400000_NS6detail17trampoline_kernelINS0_14default_configENS1_20scan_config_selectorItEEZZNS1_9scan_implILNS1_25lookback_scan_determinismE0ELb1ELb1ES3_N6thrust23THRUST_200600_302600_NS6detail15normal_iteratorINS9_10device_ptrItEEEESE_t11max_functorItEtEEDaPvRmT3_T4_T5_mT6_P12ihipStream_tbENKUlT_T0_E_clISt17integral_constantIbLb1EEST_IbLb0EEEEDaSP_SQ_EUlSP_E0_NS1_11comp_targetILNS1_3genE3ELNS1_11target_archE908ELNS1_3gpuE7ELNS1_3repE0EEENS1_30default_config_static_selectorELNS0_4arch9wavefront6targetE1EEEvT1_
                                        ; -- End function
	.section	.AMDGPU.csdata,"",@progbits
; Kernel info:
; codeLenInByte = 0
; NumSgprs: 4
; NumVgprs: 0
; NumAgprs: 0
; TotalNumVgprs: 0
; ScratchSize: 0
; MemoryBound: 0
; FloatMode: 240
; IeeeMode: 1
; LDSByteSize: 0 bytes/workgroup (compile time only)
; SGPRBlocks: 0
; VGPRBlocks: 0
; NumSGPRsForWavesPerEU: 4
; NumVGPRsForWavesPerEU: 1
; AccumOffset: 4
; Occupancy: 8
; WaveLimiterHint : 0
; COMPUTE_PGM_RSRC2:SCRATCH_EN: 0
; COMPUTE_PGM_RSRC2:USER_SGPR: 6
; COMPUTE_PGM_RSRC2:TRAP_HANDLER: 0
; COMPUTE_PGM_RSRC2:TGID_X_EN: 1
; COMPUTE_PGM_RSRC2:TGID_Y_EN: 0
; COMPUTE_PGM_RSRC2:TGID_Z_EN: 0
; COMPUTE_PGM_RSRC2:TIDIG_COMP_CNT: 0
; COMPUTE_PGM_RSRC3_GFX90A:ACCUM_OFFSET: 0
; COMPUTE_PGM_RSRC3_GFX90A:TG_SPLIT: 0
	.section	.text._ZN7rocprim17ROCPRIM_400000_NS6detail17trampoline_kernelINS0_14default_configENS1_20scan_config_selectorItEEZZNS1_9scan_implILNS1_25lookback_scan_determinismE0ELb1ELb1ES3_N6thrust23THRUST_200600_302600_NS6detail15normal_iteratorINS9_10device_ptrItEEEESE_t11max_functorItEtEEDaPvRmT3_T4_T5_mT6_P12ihipStream_tbENKUlT_T0_E_clISt17integral_constantIbLb1EEST_IbLb0EEEEDaSP_SQ_EUlSP_E0_NS1_11comp_targetILNS1_3genE2ELNS1_11target_archE906ELNS1_3gpuE6ELNS1_3repE0EEENS1_30default_config_static_selectorELNS0_4arch9wavefront6targetE1EEEvT1_,"axG",@progbits,_ZN7rocprim17ROCPRIM_400000_NS6detail17trampoline_kernelINS0_14default_configENS1_20scan_config_selectorItEEZZNS1_9scan_implILNS1_25lookback_scan_determinismE0ELb1ELb1ES3_N6thrust23THRUST_200600_302600_NS6detail15normal_iteratorINS9_10device_ptrItEEEESE_t11max_functorItEtEEDaPvRmT3_T4_T5_mT6_P12ihipStream_tbENKUlT_T0_E_clISt17integral_constantIbLb1EEST_IbLb0EEEEDaSP_SQ_EUlSP_E0_NS1_11comp_targetILNS1_3genE2ELNS1_11target_archE906ELNS1_3gpuE6ELNS1_3repE0EEENS1_30default_config_static_selectorELNS0_4arch9wavefront6targetE1EEEvT1_,comdat
	.protected	_ZN7rocprim17ROCPRIM_400000_NS6detail17trampoline_kernelINS0_14default_configENS1_20scan_config_selectorItEEZZNS1_9scan_implILNS1_25lookback_scan_determinismE0ELb1ELb1ES3_N6thrust23THRUST_200600_302600_NS6detail15normal_iteratorINS9_10device_ptrItEEEESE_t11max_functorItEtEEDaPvRmT3_T4_T5_mT6_P12ihipStream_tbENKUlT_T0_E_clISt17integral_constantIbLb1EEST_IbLb0EEEEDaSP_SQ_EUlSP_E0_NS1_11comp_targetILNS1_3genE2ELNS1_11target_archE906ELNS1_3gpuE6ELNS1_3repE0EEENS1_30default_config_static_selectorELNS0_4arch9wavefront6targetE1EEEvT1_ ; -- Begin function _ZN7rocprim17ROCPRIM_400000_NS6detail17trampoline_kernelINS0_14default_configENS1_20scan_config_selectorItEEZZNS1_9scan_implILNS1_25lookback_scan_determinismE0ELb1ELb1ES3_N6thrust23THRUST_200600_302600_NS6detail15normal_iteratorINS9_10device_ptrItEEEESE_t11max_functorItEtEEDaPvRmT3_T4_T5_mT6_P12ihipStream_tbENKUlT_T0_E_clISt17integral_constantIbLb1EEST_IbLb0EEEEDaSP_SQ_EUlSP_E0_NS1_11comp_targetILNS1_3genE2ELNS1_11target_archE906ELNS1_3gpuE6ELNS1_3repE0EEENS1_30default_config_static_selectorELNS0_4arch9wavefront6targetE1EEEvT1_
	.globl	_ZN7rocprim17ROCPRIM_400000_NS6detail17trampoline_kernelINS0_14default_configENS1_20scan_config_selectorItEEZZNS1_9scan_implILNS1_25lookback_scan_determinismE0ELb1ELb1ES3_N6thrust23THRUST_200600_302600_NS6detail15normal_iteratorINS9_10device_ptrItEEEESE_t11max_functorItEtEEDaPvRmT3_T4_T5_mT6_P12ihipStream_tbENKUlT_T0_E_clISt17integral_constantIbLb1EEST_IbLb0EEEEDaSP_SQ_EUlSP_E0_NS1_11comp_targetILNS1_3genE2ELNS1_11target_archE906ELNS1_3gpuE6ELNS1_3repE0EEENS1_30default_config_static_selectorELNS0_4arch9wavefront6targetE1EEEvT1_
	.p2align	8
	.type	_ZN7rocprim17ROCPRIM_400000_NS6detail17trampoline_kernelINS0_14default_configENS1_20scan_config_selectorItEEZZNS1_9scan_implILNS1_25lookback_scan_determinismE0ELb1ELb1ES3_N6thrust23THRUST_200600_302600_NS6detail15normal_iteratorINS9_10device_ptrItEEEESE_t11max_functorItEtEEDaPvRmT3_T4_T5_mT6_P12ihipStream_tbENKUlT_T0_E_clISt17integral_constantIbLb1EEST_IbLb0EEEEDaSP_SQ_EUlSP_E0_NS1_11comp_targetILNS1_3genE2ELNS1_11target_archE906ELNS1_3gpuE6ELNS1_3repE0EEENS1_30default_config_static_selectorELNS0_4arch9wavefront6targetE1EEEvT1_,@function
_ZN7rocprim17ROCPRIM_400000_NS6detail17trampoline_kernelINS0_14default_configENS1_20scan_config_selectorItEEZZNS1_9scan_implILNS1_25lookback_scan_determinismE0ELb1ELb1ES3_N6thrust23THRUST_200600_302600_NS6detail15normal_iteratorINS9_10device_ptrItEEEESE_t11max_functorItEtEEDaPvRmT3_T4_T5_mT6_P12ihipStream_tbENKUlT_T0_E_clISt17integral_constantIbLb1EEST_IbLb0EEEEDaSP_SQ_EUlSP_E0_NS1_11comp_targetILNS1_3genE2ELNS1_11target_archE906ELNS1_3gpuE6ELNS1_3repE0EEENS1_30default_config_static_selectorELNS0_4arch9wavefront6targetE1EEEvT1_: ; @_ZN7rocprim17ROCPRIM_400000_NS6detail17trampoline_kernelINS0_14default_configENS1_20scan_config_selectorItEEZZNS1_9scan_implILNS1_25lookback_scan_determinismE0ELb1ELb1ES3_N6thrust23THRUST_200600_302600_NS6detail15normal_iteratorINS9_10device_ptrItEEEESE_t11max_functorItEtEEDaPvRmT3_T4_T5_mT6_P12ihipStream_tbENKUlT_T0_E_clISt17integral_constantIbLb1EEST_IbLb0EEEEDaSP_SQ_EUlSP_E0_NS1_11comp_targetILNS1_3genE2ELNS1_11target_archE906ELNS1_3gpuE6ELNS1_3repE0EEENS1_30default_config_static_selectorELNS0_4arch9wavefront6targetE1EEEvT1_
; %bb.0:
	.section	.rodata,"a",@progbits
	.p2align	6, 0x0
	.amdhsa_kernel _ZN7rocprim17ROCPRIM_400000_NS6detail17trampoline_kernelINS0_14default_configENS1_20scan_config_selectorItEEZZNS1_9scan_implILNS1_25lookback_scan_determinismE0ELb1ELb1ES3_N6thrust23THRUST_200600_302600_NS6detail15normal_iteratorINS9_10device_ptrItEEEESE_t11max_functorItEtEEDaPvRmT3_T4_T5_mT6_P12ihipStream_tbENKUlT_T0_E_clISt17integral_constantIbLb1EEST_IbLb0EEEEDaSP_SQ_EUlSP_E0_NS1_11comp_targetILNS1_3genE2ELNS1_11target_archE906ELNS1_3gpuE6ELNS1_3repE0EEENS1_30default_config_static_selectorELNS0_4arch9wavefront6targetE1EEEvT1_
		.amdhsa_group_segment_fixed_size 0
		.amdhsa_private_segment_fixed_size 0
		.amdhsa_kernarg_size 32
		.amdhsa_user_sgpr_count 6
		.amdhsa_user_sgpr_private_segment_buffer 1
		.amdhsa_user_sgpr_dispatch_ptr 0
		.amdhsa_user_sgpr_queue_ptr 0
		.amdhsa_user_sgpr_kernarg_segment_ptr 1
		.amdhsa_user_sgpr_dispatch_id 0
		.amdhsa_user_sgpr_flat_scratch_init 0
		.amdhsa_user_sgpr_kernarg_preload_length 0
		.amdhsa_user_sgpr_kernarg_preload_offset 0
		.amdhsa_user_sgpr_private_segment_size 0
		.amdhsa_uses_dynamic_stack 0
		.amdhsa_system_sgpr_private_segment_wavefront_offset 0
		.amdhsa_system_sgpr_workgroup_id_x 1
		.amdhsa_system_sgpr_workgroup_id_y 0
		.amdhsa_system_sgpr_workgroup_id_z 0
		.amdhsa_system_sgpr_workgroup_info 0
		.amdhsa_system_vgpr_workitem_id 0
		.amdhsa_next_free_vgpr 1
		.amdhsa_next_free_sgpr 0
		.amdhsa_accum_offset 4
		.amdhsa_reserve_vcc 0
		.amdhsa_reserve_flat_scratch 0
		.amdhsa_float_round_mode_32 0
		.amdhsa_float_round_mode_16_64 0
		.amdhsa_float_denorm_mode_32 3
		.amdhsa_float_denorm_mode_16_64 3
		.amdhsa_dx10_clamp 1
		.amdhsa_ieee_mode 1
		.amdhsa_fp16_overflow 0
		.amdhsa_tg_split 0
		.amdhsa_exception_fp_ieee_invalid_op 0
		.amdhsa_exception_fp_denorm_src 0
		.amdhsa_exception_fp_ieee_div_zero 0
		.amdhsa_exception_fp_ieee_overflow 0
		.amdhsa_exception_fp_ieee_underflow 0
		.amdhsa_exception_fp_ieee_inexact 0
		.amdhsa_exception_int_div_zero 0
	.end_amdhsa_kernel
	.section	.text._ZN7rocprim17ROCPRIM_400000_NS6detail17trampoline_kernelINS0_14default_configENS1_20scan_config_selectorItEEZZNS1_9scan_implILNS1_25lookback_scan_determinismE0ELb1ELb1ES3_N6thrust23THRUST_200600_302600_NS6detail15normal_iteratorINS9_10device_ptrItEEEESE_t11max_functorItEtEEDaPvRmT3_T4_T5_mT6_P12ihipStream_tbENKUlT_T0_E_clISt17integral_constantIbLb1EEST_IbLb0EEEEDaSP_SQ_EUlSP_E0_NS1_11comp_targetILNS1_3genE2ELNS1_11target_archE906ELNS1_3gpuE6ELNS1_3repE0EEENS1_30default_config_static_selectorELNS0_4arch9wavefront6targetE1EEEvT1_,"axG",@progbits,_ZN7rocprim17ROCPRIM_400000_NS6detail17trampoline_kernelINS0_14default_configENS1_20scan_config_selectorItEEZZNS1_9scan_implILNS1_25lookback_scan_determinismE0ELb1ELb1ES3_N6thrust23THRUST_200600_302600_NS6detail15normal_iteratorINS9_10device_ptrItEEEESE_t11max_functorItEtEEDaPvRmT3_T4_T5_mT6_P12ihipStream_tbENKUlT_T0_E_clISt17integral_constantIbLb1EEST_IbLb0EEEEDaSP_SQ_EUlSP_E0_NS1_11comp_targetILNS1_3genE2ELNS1_11target_archE906ELNS1_3gpuE6ELNS1_3repE0EEENS1_30default_config_static_selectorELNS0_4arch9wavefront6targetE1EEEvT1_,comdat
.Lfunc_end2535:
	.size	_ZN7rocprim17ROCPRIM_400000_NS6detail17trampoline_kernelINS0_14default_configENS1_20scan_config_selectorItEEZZNS1_9scan_implILNS1_25lookback_scan_determinismE0ELb1ELb1ES3_N6thrust23THRUST_200600_302600_NS6detail15normal_iteratorINS9_10device_ptrItEEEESE_t11max_functorItEtEEDaPvRmT3_T4_T5_mT6_P12ihipStream_tbENKUlT_T0_E_clISt17integral_constantIbLb1EEST_IbLb0EEEEDaSP_SQ_EUlSP_E0_NS1_11comp_targetILNS1_3genE2ELNS1_11target_archE906ELNS1_3gpuE6ELNS1_3repE0EEENS1_30default_config_static_selectorELNS0_4arch9wavefront6targetE1EEEvT1_, .Lfunc_end2535-_ZN7rocprim17ROCPRIM_400000_NS6detail17trampoline_kernelINS0_14default_configENS1_20scan_config_selectorItEEZZNS1_9scan_implILNS1_25lookback_scan_determinismE0ELb1ELb1ES3_N6thrust23THRUST_200600_302600_NS6detail15normal_iteratorINS9_10device_ptrItEEEESE_t11max_functorItEtEEDaPvRmT3_T4_T5_mT6_P12ihipStream_tbENKUlT_T0_E_clISt17integral_constantIbLb1EEST_IbLb0EEEEDaSP_SQ_EUlSP_E0_NS1_11comp_targetILNS1_3genE2ELNS1_11target_archE906ELNS1_3gpuE6ELNS1_3repE0EEENS1_30default_config_static_selectorELNS0_4arch9wavefront6targetE1EEEvT1_
                                        ; -- End function
	.section	.AMDGPU.csdata,"",@progbits
; Kernel info:
; codeLenInByte = 0
; NumSgprs: 4
; NumVgprs: 0
; NumAgprs: 0
; TotalNumVgprs: 0
; ScratchSize: 0
; MemoryBound: 0
; FloatMode: 240
; IeeeMode: 1
; LDSByteSize: 0 bytes/workgroup (compile time only)
; SGPRBlocks: 0
; VGPRBlocks: 0
; NumSGPRsForWavesPerEU: 4
; NumVGPRsForWavesPerEU: 1
; AccumOffset: 4
; Occupancy: 8
; WaveLimiterHint : 0
; COMPUTE_PGM_RSRC2:SCRATCH_EN: 0
; COMPUTE_PGM_RSRC2:USER_SGPR: 6
; COMPUTE_PGM_RSRC2:TRAP_HANDLER: 0
; COMPUTE_PGM_RSRC2:TGID_X_EN: 1
; COMPUTE_PGM_RSRC2:TGID_Y_EN: 0
; COMPUTE_PGM_RSRC2:TGID_Z_EN: 0
; COMPUTE_PGM_RSRC2:TIDIG_COMP_CNT: 0
; COMPUTE_PGM_RSRC3_GFX90A:ACCUM_OFFSET: 0
; COMPUTE_PGM_RSRC3_GFX90A:TG_SPLIT: 0
	.section	.text._ZN7rocprim17ROCPRIM_400000_NS6detail17trampoline_kernelINS0_14default_configENS1_20scan_config_selectorItEEZZNS1_9scan_implILNS1_25lookback_scan_determinismE0ELb1ELb1ES3_N6thrust23THRUST_200600_302600_NS6detail15normal_iteratorINS9_10device_ptrItEEEESE_t11max_functorItEtEEDaPvRmT3_T4_T5_mT6_P12ihipStream_tbENKUlT_T0_E_clISt17integral_constantIbLb1EEST_IbLb0EEEEDaSP_SQ_EUlSP_E0_NS1_11comp_targetILNS1_3genE10ELNS1_11target_archE1201ELNS1_3gpuE5ELNS1_3repE0EEENS1_30default_config_static_selectorELNS0_4arch9wavefront6targetE1EEEvT1_,"axG",@progbits,_ZN7rocprim17ROCPRIM_400000_NS6detail17trampoline_kernelINS0_14default_configENS1_20scan_config_selectorItEEZZNS1_9scan_implILNS1_25lookback_scan_determinismE0ELb1ELb1ES3_N6thrust23THRUST_200600_302600_NS6detail15normal_iteratorINS9_10device_ptrItEEEESE_t11max_functorItEtEEDaPvRmT3_T4_T5_mT6_P12ihipStream_tbENKUlT_T0_E_clISt17integral_constantIbLb1EEST_IbLb0EEEEDaSP_SQ_EUlSP_E0_NS1_11comp_targetILNS1_3genE10ELNS1_11target_archE1201ELNS1_3gpuE5ELNS1_3repE0EEENS1_30default_config_static_selectorELNS0_4arch9wavefront6targetE1EEEvT1_,comdat
	.protected	_ZN7rocprim17ROCPRIM_400000_NS6detail17trampoline_kernelINS0_14default_configENS1_20scan_config_selectorItEEZZNS1_9scan_implILNS1_25lookback_scan_determinismE0ELb1ELb1ES3_N6thrust23THRUST_200600_302600_NS6detail15normal_iteratorINS9_10device_ptrItEEEESE_t11max_functorItEtEEDaPvRmT3_T4_T5_mT6_P12ihipStream_tbENKUlT_T0_E_clISt17integral_constantIbLb1EEST_IbLb0EEEEDaSP_SQ_EUlSP_E0_NS1_11comp_targetILNS1_3genE10ELNS1_11target_archE1201ELNS1_3gpuE5ELNS1_3repE0EEENS1_30default_config_static_selectorELNS0_4arch9wavefront6targetE1EEEvT1_ ; -- Begin function _ZN7rocprim17ROCPRIM_400000_NS6detail17trampoline_kernelINS0_14default_configENS1_20scan_config_selectorItEEZZNS1_9scan_implILNS1_25lookback_scan_determinismE0ELb1ELb1ES3_N6thrust23THRUST_200600_302600_NS6detail15normal_iteratorINS9_10device_ptrItEEEESE_t11max_functorItEtEEDaPvRmT3_T4_T5_mT6_P12ihipStream_tbENKUlT_T0_E_clISt17integral_constantIbLb1EEST_IbLb0EEEEDaSP_SQ_EUlSP_E0_NS1_11comp_targetILNS1_3genE10ELNS1_11target_archE1201ELNS1_3gpuE5ELNS1_3repE0EEENS1_30default_config_static_selectorELNS0_4arch9wavefront6targetE1EEEvT1_
	.globl	_ZN7rocprim17ROCPRIM_400000_NS6detail17trampoline_kernelINS0_14default_configENS1_20scan_config_selectorItEEZZNS1_9scan_implILNS1_25lookback_scan_determinismE0ELb1ELb1ES3_N6thrust23THRUST_200600_302600_NS6detail15normal_iteratorINS9_10device_ptrItEEEESE_t11max_functorItEtEEDaPvRmT3_T4_T5_mT6_P12ihipStream_tbENKUlT_T0_E_clISt17integral_constantIbLb1EEST_IbLb0EEEEDaSP_SQ_EUlSP_E0_NS1_11comp_targetILNS1_3genE10ELNS1_11target_archE1201ELNS1_3gpuE5ELNS1_3repE0EEENS1_30default_config_static_selectorELNS0_4arch9wavefront6targetE1EEEvT1_
	.p2align	8
	.type	_ZN7rocprim17ROCPRIM_400000_NS6detail17trampoline_kernelINS0_14default_configENS1_20scan_config_selectorItEEZZNS1_9scan_implILNS1_25lookback_scan_determinismE0ELb1ELb1ES3_N6thrust23THRUST_200600_302600_NS6detail15normal_iteratorINS9_10device_ptrItEEEESE_t11max_functorItEtEEDaPvRmT3_T4_T5_mT6_P12ihipStream_tbENKUlT_T0_E_clISt17integral_constantIbLb1EEST_IbLb0EEEEDaSP_SQ_EUlSP_E0_NS1_11comp_targetILNS1_3genE10ELNS1_11target_archE1201ELNS1_3gpuE5ELNS1_3repE0EEENS1_30default_config_static_selectorELNS0_4arch9wavefront6targetE1EEEvT1_,@function
_ZN7rocprim17ROCPRIM_400000_NS6detail17trampoline_kernelINS0_14default_configENS1_20scan_config_selectorItEEZZNS1_9scan_implILNS1_25lookback_scan_determinismE0ELb1ELb1ES3_N6thrust23THRUST_200600_302600_NS6detail15normal_iteratorINS9_10device_ptrItEEEESE_t11max_functorItEtEEDaPvRmT3_T4_T5_mT6_P12ihipStream_tbENKUlT_T0_E_clISt17integral_constantIbLb1EEST_IbLb0EEEEDaSP_SQ_EUlSP_E0_NS1_11comp_targetILNS1_3genE10ELNS1_11target_archE1201ELNS1_3gpuE5ELNS1_3repE0EEENS1_30default_config_static_selectorELNS0_4arch9wavefront6targetE1EEEvT1_: ; @_ZN7rocprim17ROCPRIM_400000_NS6detail17trampoline_kernelINS0_14default_configENS1_20scan_config_selectorItEEZZNS1_9scan_implILNS1_25lookback_scan_determinismE0ELb1ELb1ES3_N6thrust23THRUST_200600_302600_NS6detail15normal_iteratorINS9_10device_ptrItEEEESE_t11max_functorItEtEEDaPvRmT3_T4_T5_mT6_P12ihipStream_tbENKUlT_T0_E_clISt17integral_constantIbLb1EEST_IbLb0EEEEDaSP_SQ_EUlSP_E0_NS1_11comp_targetILNS1_3genE10ELNS1_11target_archE1201ELNS1_3gpuE5ELNS1_3repE0EEENS1_30default_config_static_selectorELNS0_4arch9wavefront6targetE1EEEvT1_
; %bb.0:
	.section	.rodata,"a",@progbits
	.p2align	6, 0x0
	.amdhsa_kernel _ZN7rocprim17ROCPRIM_400000_NS6detail17trampoline_kernelINS0_14default_configENS1_20scan_config_selectorItEEZZNS1_9scan_implILNS1_25lookback_scan_determinismE0ELb1ELb1ES3_N6thrust23THRUST_200600_302600_NS6detail15normal_iteratorINS9_10device_ptrItEEEESE_t11max_functorItEtEEDaPvRmT3_T4_T5_mT6_P12ihipStream_tbENKUlT_T0_E_clISt17integral_constantIbLb1EEST_IbLb0EEEEDaSP_SQ_EUlSP_E0_NS1_11comp_targetILNS1_3genE10ELNS1_11target_archE1201ELNS1_3gpuE5ELNS1_3repE0EEENS1_30default_config_static_selectorELNS0_4arch9wavefront6targetE1EEEvT1_
		.amdhsa_group_segment_fixed_size 0
		.amdhsa_private_segment_fixed_size 0
		.amdhsa_kernarg_size 32
		.amdhsa_user_sgpr_count 6
		.amdhsa_user_sgpr_private_segment_buffer 1
		.amdhsa_user_sgpr_dispatch_ptr 0
		.amdhsa_user_sgpr_queue_ptr 0
		.amdhsa_user_sgpr_kernarg_segment_ptr 1
		.amdhsa_user_sgpr_dispatch_id 0
		.amdhsa_user_sgpr_flat_scratch_init 0
		.amdhsa_user_sgpr_kernarg_preload_length 0
		.amdhsa_user_sgpr_kernarg_preload_offset 0
		.amdhsa_user_sgpr_private_segment_size 0
		.amdhsa_uses_dynamic_stack 0
		.amdhsa_system_sgpr_private_segment_wavefront_offset 0
		.amdhsa_system_sgpr_workgroup_id_x 1
		.amdhsa_system_sgpr_workgroup_id_y 0
		.amdhsa_system_sgpr_workgroup_id_z 0
		.amdhsa_system_sgpr_workgroup_info 0
		.amdhsa_system_vgpr_workitem_id 0
		.amdhsa_next_free_vgpr 1
		.amdhsa_next_free_sgpr 0
		.amdhsa_accum_offset 4
		.amdhsa_reserve_vcc 0
		.amdhsa_reserve_flat_scratch 0
		.amdhsa_float_round_mode_32 0
		.amdhsa_float_round_mode_16_64 0
		.amdhsa_float_denorm_mode_32 3
		.amdhsa_float_denorm_mode_16_64 3
		.amdhsa_dx10_clamp 1
		.amdhsa_ieee_mode 1
		.amdhsa_fp16_overflow 0
		.amdhsa_tg_split 0
		.amdhsa_exception_fp_ieee_invalid_op 0
		.amdhsa_exception_fp_denorm_src 0
		.amdhsa_exception_fp_ieee_div_zero 0
		.amdhsa_exception_fp_ieee_overflow 0
		.amdhsa_exception_fp_ieee_underflow 0
		.amdhsa_exception_fp_ieee_inexact 0
		.amdhsa_exception_int_div_zero 0
	.end_amdhsa_kernel
	.section	.text._ZN7rocprim17ROCPRIM_400000_NS6detail17trampoline_kernelINS0_14default_configENS1_20scan_config_selectorItEEZZNS1_9scan_implILNS1_25lookback_scan_determinismE0ELb1ELb1ES3_N6thrust23THRUST_200600_302600_NS6detail15normal_iteratorINS9_10device_ptrItEEEESE_t11max_functorItEtEEDaPvRmT3_T4_T5_mT6_P12ihipStream_tbENKUlT_T0_E_clISt17integral_constantIbLb1EEST_IbLb0EEEEDaSP_SQ_EUlSP_E0_NS1_11comp_targetILNS1_3genE10ELNS1_11target_archE1201ELNS1_3gpuE5ELNS1_3repE0EEENS1_30default_config_static_selectorELNS0_4arch9wavefront6targetE1EEEvT1_,"axG",@progbits,_ZN7rocprim17ROCPRIM_400000_NS6detail17trampoline_kernelINS0_14default_configENS1_20scan_config_selectorItEEZZNS1_9scan_implILNS1_25lookback_scan_determinismE0ELb1ELb1ES3_N6thrust23THRUST_200600_302600_NS6detail15normal_iteratorINS9_10device_ptrItEEEESE_t11max_functorItEtEEDaPvRmT3_T4_T5_mT6_P12ihipStream_tbENKUlT_T0_E_clISt17integral_constantIbLb1EEST_IbLb0EEEEDaSP_SQ_EUlSP_E0_NS1_11comp_targetILNS1_3genE10ELNS1_11target_archE1201ELNS1_3gpuE5ELNS1_3repE0EEENS1_30default_config_static_selectorELNS0_4arch9wavefront6targetE1EEEvT1_,comdat
.Lfunc_end2536:
	.size	_ZN7rocprim17ROCPRIM_400000_NS6detail17trampoline_kernelINS0_14default_configENS1_20scan_config_selectorItEEZZNS1_9scan_implILNS1_25lookback_scan_determinismE0ELb1ELb1ES3_N6thrust23THRUST_200600_302600_NS6detail15normal_iteratorINS9_10device_ptrItEEEESE_t11max_functorItEtEEDaPvRmT3_T4_T5_mT6_P12ihipStream_tbENKUlT_T0_E_clISt17integral_constantIbLb1EEST_IbLb0EEEEDaSP_SQ_EUlSP_E0_NS1_11comp_targetILNS1_3genE10ELNS1_11target_archE1201ELNS1_3gpuE5ELNS1_3repE0EEENS1_30default_config_static_selectorELNS0_4arch9wavefront6targetE1EEEvT1_, .Lfunc_end2536-_ZN7rocprim17ROCPRIM_400000_NS6detail17trampoline_kernelINS0_14default_configENS1_20scan_config_selectorItEEZZNS1_9scan_implILNS1_25lookback_scan_determinismE0ELb1ELb1ES3_N6thrust23THRUST_200600_302600_NS6detail15normal_iteratorINS9_10device_ptrItEEEESE_t11max_functorItEtEEDaPvRmT3_T4_T5_mT6_P12ihipStream_tbENKUlT_T0_E_clISt17integral_constantIbLb1EEST_IbLb0EEEEDaSP_SQ_EUlSP_E0_NS1_11comp_targetILNS1_3genE10ELNS1_11target_archE1201ELNS1_3gpuE5ELNS1_3repE0EEENS1_30default_config_static_selectorELNS0_4arch9wavefront6targetE1EEEvT1_
                                        ; -- End function
	.section	.AMDGPU.csdata,"",@progbits
; Kernel info:
; codeLenInByte = 0
; NumSgprs: 4
; NumVgprs: 0
; NumAgprs: 0
; TotalNumVgprs: 0
; ScratchSize: 0
; MemoryBound: 0
; FloatMode: 240
; IeeeMode: 1
; LDSByteSize: 0 bytes/workgroup (compile time only)
; SGPRBlocks: 0
; VGPRBlocks: 0
; NumSGPRsForWavesPerEU: 4
; NumVGPRsForWavesPerEU: 1
; AccumOffset: 4
; Occupancy: 8
; WaveLimiterHint : 0
; COMPUTE_PGM_RSRC2:SCRATCH_EN: 0
; COMPUTE_PGM_RSRC2:USER_SGPR: 6
; COMPUTE_PGM_RSRC2:TRAP_HANDLER: 0
; COMPUTE_PGM_RSRC2:TGID_X_EN: 1
; COMPUTE_PGM_RSRC2:TGID_Y_EN: 0
; COMPUTE_PGM_RSRC2:TGID_Z_EN: 0
; COMPUTE_PGM_RSRC2:TIDIG_COMP_CNT: 0
; COMPUTE_PGM_RSRC3_GFX90A:ACCUM_OFFSET: 0
; COMPUTE_PGM_RSRC3_GFX90A:TG_SPLIT: 0
	.section	.text._ZN7rocprim17ROCPRIM_400000_NS6detail17trampoline_kernelINS0_14default_configENS1_20scan_config_selectorItEEZZNS1_9scan_implILNS1_25lookback_scan_determinismE0ELb1ELb1ES3_N6thrust23THRUST_200600_302600_NS6detail15normal_iteratorINS9_10device_ptrItEEEESE_t11max_functorItEtEEDaPvRmT3_T4_T5_mT6_P12ihipStream_tbENKUlT_T0_E_clISt17integral_constantIbLb1EEST_IbLb0EEEEDaSP_SQ_EUlSP_E0_NS1_11comp_targetILNS1_3genE10ELNS1_11target_archE1200ELNS1_3gpuE4ELNS1_3repE0EEENS1_30default_config_static_selectorELNS0_4arch9wavefront6targetE1EEEvT1_,"axG",@progbits,_ZN7rocprim17ROCPRIM_400000_NS6detail17trampoline_kernelINS0_14default_configENS1_20scan_config_selectorItEEZZNS1_9scan_implILNS1_25lookback_scan_determinismE0ELb1ELb1ES3_N6thrust23THRUST_200600_302600_NS6detail15normal_iteratorINS9_10device_ptrItEEEESE_t11max_functorItEtEEDaPvRmT3_T4_T5_mT6_P12ihipStream_tbENKUlT_T0_E_clISt17integral_constantIbLb1EEST_IbLb0EEEEDaSP_SQ_EUlSP_E0_NS1_11comp_targetILNS1_3genE10ELNS1_11target_archE1200ELNS1_3gpuE4ELNS1_3repE0EEENS1_30default_config_static_selectorELNS0_4arch9wavefront6targetE1EEEvT1_,comdat
	.protected	_ZN7rocprim17ROCPRIM_400000_NS6detail17trampoline_kernelINS0_14default_configENS1_20scan_config_selectorItEEZZNS1_9scan_implILNS1_25lookback_scan_determinismE0ELb1ELb1ES3_N6thrust23THRUST_200600_302600_NS6detail15normal_iteratorINS9_10device_ptrItEEEESE_t11max_functorItEtEEDaPvRmT3_T4_T5_mT6_P12ihipStream_tbENKUlT_T0_E_clISt17integral_constantIbLb1EEST_IbLb0EEEEDaSP_SQ_EUlSP_E0_NS1_11comp_targetILNS1_3genE10ELNS1_11target_archE1200ELNS1_3gpuE4ELNS1_3repE0EEENS1_30default_config_static_selectorELNS0_4arch9wavefront6targetE1EEEvT1_ ; -- Begin function _ZN7rocprim17ROCPRIM_400000_NS6detail17trampoline_kernelINS0_14default_configENS1_20scan_config_selectorItEEZZNS1_9scan_implILNS1_25lookback_scan_determinismE0ELb1ELb1ES3_N6thrust23THRUST_200600_302600_NS6detail15normal_iteratorINS9_10device_ptrItEEEESE_t11max_functorItEtEEDaPvRmT3_T4_T5_mT6_P12ihipStream_tbENKUlT_T0_E_clISt17integral_constantIbLb1EEST_IbLb0EEEEDaSP_SQ_EUlSP_E0_NS1_11comp_targetILNS1_3genE10ELNS1_11target_archE1200ELNS1_3gpuE4ELNS1_3repE0EEENS1_30default_config_static_selectorELNS0_4arch9wavefront6targetE1EEEvT1_
	.globl	_ZN7rocprim17ROCPRIM_400000_NS6detail17trampoline_kernelINS0_14default_configENS1_20scan_config_selectorItEEZZNS1_9scan_implILNS1_25lookback_scan_determinismE0ELb1ELb1ES3_N6thrust23THRUST_200600_302600_NS6detail15normal_iteratorINS9_10device_ptrItEEEESE_t11max_functorItEtEEDaPvRmT3_T4_T5_mT6_P12ihipStream_tbENKUlT_T0_E_clISt17integral_constantIbLb1EEST_IbLb0EEEEDaSP_SQ_EUlSP_E0_NS1_11comp_targetILNS1_3genE10ELNS1_11target_archE1200ELNS1_3gpuE4ELNS1_3repE0EEENS1_30default_config_static_selectorELNS0_4arch9wavefront6targetE1EEEvT1_
	.p2align	8
	.type	_ZN7rocprim17ROCPRIM_400000_NS6detail17trampoline_kernelINS0_14default_configENS1_20scan_config_selectorItEEZZNS1_9scan_implILNS1_25lookback_scan_determinismE0ELb1ELb1ES3_N6thrust23THRUST_200600_302600_NS6detail15normal_iteratorINS9_10device_ptrItEEEESE_t11max_functorItEtEEDaPvRmT3_T4_T5_mT6_P12ihipStream_tbENKUlT_T0_E_clISt17integral_constantIbLb1EEST_IbLb0EEEEDaSP_SQ_EUlSP_E0_NS1_11comp_targetILNS1_3genE10ELNS1_11target_archE1200ELNS1_3gpuE4ELNS1_3repE0EEENS1_30default_config_static_selectorELNS0_4arch9wavefront6targetE1EEEvT1_,@function
_ZN7rocprim17ROCPRIM_400000_NS6detail17trampoline_kernelINS0_14default_configENS1_20scan_config_selectorItEEZZNS1_9scan_implILNS1_25lookback_scan_determinismE0ELb1ELb1ES3_N6thrust23THRUST_200600_302600_NS6detail15normal_iteratorINS9_10device_ptrItEEEESE_t11max_functorItEtEEDaPvRmT3_T4_T5_mT6_P12ihipStream_tbENKUlT_T0_E_clISt17integral_constantIbLb1EEST_IbLb0EEEEDaSP_SQ_EUlSP_E0_NS1_11comp_targetILNS1_3genE10ELNS1_11target_archE1200ELNS1_3gpuE4ELNS1_3repE0EEENS1_30default_config_static_selectorELNS0_4arch9wavefront6targetE1EEEvT1_: ; @_ZN7rocprim17ROCPRIM_400000_NS6detail17trampoline_kernelINS0_14default_configENS1_20scan_config_selectorItEEZZNS1_9scan_implILNS1_25lookback_scan_determinismE0ELb1ELb1ES3_N6thrust23THRUST_200600_302600_NS6detail15normal_iteratorINS9_10device_ptrItEEEESE_t11max_functorItEtEEDaPvRmT3_T4_T5_mT6_P12ihipStream_tbENKUlT_T0_E_clISt17integral_constantIbLb1EEST_IbLb0EEEEDaSP_SQ_EUlSP_E0_NS1_11comp_targetILNS1_3genE10ELNS1_11target_archE1200ELNS1_3gpuE4ELNS1_3repE0EEENS1_30default_config_static_selectorELNS0_4arch9wavefront6targetE1EEEvT1_
; %bb.0:
	.section	.rodata,"a",@progbits
	.p2align	6, 0x0
	.amdhsa_kernel _ZN7rocprim17ROCPRIM_400000_NS6detail17trampoline_kernelINS0_14default_configENS1_20scan_config_selectorItEEZZNS1_9scan_implILNS1_25lookback_scan_determinismE0ELb1ELb1ES3_N6thrust23THRUST_200600_302600_NS6detail15normal_iteratorINS9_10device_ptrItEEEESE_t11max_functorItEtEEDaPvRmT3_T4_T5_mT6_P12ihipStream_tbENKUlT_T0_E_clISt17integral_constantIbLb1EEST_IbLb0EEEEDaSP_SQ_EUlSP_E0_NS1_11comp_targetILNS1_3genE10ELNS1_11target_archE1200ELNS1_3gpuE4ELNS1_3repE0EEENS1_30default_config_static_selectorELNS0_4arch9wavefront6targetE1EEEvT1_
		.amdhsa_group_segment_fixed_size 0
		.amdhsa_private_segment_fixed_size 0
		.amdhsa_kernarg_size 32
		.amdhsa_user_sgpr_count 6
		.amdhsa_user_sgpr_private_segment_buffer 1
		.amdhsa_user_sgpr_dispatch_ptr 0
		.amdhsa_user_sgpr_queue_ptr 0
		.amdhsa_user_sgpr_kernarg_segment_ptr 1
		.amdhsa_user_sgpr_dispatch_id 0
		.amdhsa_user_sgpr_flat_scratch_init 0
		.amdhsa_user_sgpr_kernarg_preload_length 0
		.amdhsa_user_sgpr_kernarg_preload_offset 0
		.amdhsa_user_sgpr_private_segment_size 0
		.amdhsa_uses_dynamic_stack 0
		.amdhsa_system_sgpr_private_segment_wavefront_offset 0
		.amdhsa_system_sgpr_workgroup_id_x 1
		.amdhsa_system_sgpr_workgroup_id_y 0
		.amdhsa_system_sgpr_workgroup_id_z 0
		.amdhsa_system_sgpr_workgroup_info 0
		.amdhsa_system_vgpr_workitem_id 0
		.amdhsa_next_free_vgpr 1
		.amdhsa_next_free_sgpr 0
		.amdhsa_accum_offset 4
		.amdhsa_reserve_vcc 0
		.amdhsa_reserve_flat_scratch 0
		.amdhsa_float_round_mode_32 0
		.amdhsa_float_round_mode_16_64 0
		.amdhsa_float_denorm_mode_32 3
		.amdhsa_float_denorm_mode_16_64 3
		.amdhsa_dx10_clamp 1
		.amdhsa_ieee_mode 1
		.amdhsa_fp16_overflow 0
		.amdhsa_tg_split 0
		.amdhsa_exception_fp_ieee_invalid_op 0
		.amdhsa_exception_fp_denorm_src 0
		.amdhsa_exception_fp_ieee_div_zero 0
		.amdhsa_exception_fp_ieee_overflow 0
		.amdhsa_exception_fp_ieee_underflow 0
		.amdhsa_exception_fp_ieee_inexact 0
		.amdhsa_exception_int_div_zero 0
	.end_amdhsa_kernel
	.section	.text._ZN7rocprim17ROCPRIM_400000_NS6detail17trampoline_kernelINS0_14default_configENS1_20scan_config_selectorItEEZZNS1_9scan_implILNS1_25lookback_scan_determinismE0ELb1ELb1ES3_N6thrust23THRUST_200600_302600_NS6detail15normal_iteratorINS9_10device_ptrItEEEESE_t11max_functorItEtEEDaPvRmT3_T4_T5_mT6_P12ihipStream_tbENKUlT_T0_E_clISt17integral_constantIbLb1EEST_IbLb0EEEEDaSP_SQ_EUlSP_E0_NS1_11comp_targetILNS1_3genE10ELNS1_11target_archE1200ELNS1_3gpuE4ELNS1_3repE0EEENS1_30default_config_static_selectorELNS0_4arch9wavefront6targetE1EEEvT1_,"axG",@progbits,_ZN7rocprim17ROCPRIM_400000_NS6detail17trampoline_kernelINS0_14default_configENS1_20scan_config_selectorItEEZZNS1_9scan_implILNS1_25lookback_scan_determinismE0ELb1ELb1ES3_N6thrust23THRUST_200600_302600_NS6detail15normal_iteratorINS9_10device_ptrItEEEESE_t11max_functorItEtEEDaPvRmT3_T4_T5_mT6_P12ihipStream_tbENKUlT_T0_E_clISt17integral_constantIbLb1EEST_IbLb0EEEEDaSP_SQ_EUlSP_E0_NS1_11comp_targetILNS1_3genE10ELNS1_11target_archE1200ELNS1_3gpuE4ELNS1_3repE0EEENS1_30default_config_static_selectorELNS0_4arch9wavefront6targetE1EEEvT1_,comdat
.Lfunc_end2537:
	.size	_ZN7rocprim17ROCPRIM_400000_NS6detail17trampoline_kernelINS0_14default_configENS1_20scan_config_selectorItEEZZNS1_9scan_implILNS1_25lookback_scan_determinismE0ELb1ELb1ES3_N6thrust23THRUST_200600_302600_NS6detail15normal_iteratorINS9_10device_ptrItEEEESE_t11max_functorItEtEEDaPvRmT3_T4_T5_mT6_P12ihipStream_tbENKUlT_T0_E_clISt17integral_constantIbLb1EEST_IbLb0EEEEDaSP_SQ_EUlSP_E0_NS1_11comp_targetILNS1_3genE10ELNS1_11target_archE1200ELNS1_3gpuE4ELNS1_3repE0EEENS1_30default_config_static_selectorELNS0_4arch9wavefront6targetE1EEEvT1_, .Lfunc_end2537-_ZN7rocprim17ROCPRIM_400000_NS6detail17trampoline_kernelINS0_14default_configENS1_20scan_config_selectorItEEZZNS1_9scan_implILNS1_25lookback_scan_determinismE0ELb1ELb1ES3_N6thrust23THRUST_200600_302600_NS6detail15normal_iteratorINS9_10device_ptrItEEEESE_t11max_functorItEtEEDaPvRmT3_T4_T5_mT6_P12ihipStream_tbENKUlT_T0_E_clISt17integral_constantIbLb1EEST_IbLb0EEEEDaSP_SQ_EUlSP_E0_NS1_11comp_targetILNS1_3genE10ELNS1_11target_archE1200ELNS1_3gpuE4ELNS1_3repE0EEENS1_30default_config_static_selectorELNS0_4arch9wavefront6targetE1EEEvT1_
                                        ; -- End function
	.section	.AMDGPU.csdata,"",@progbits
; Kernel info:
; codeLenInByte = 0
; NumSgprs: 4
; NumVgprs: 0
; NumAgprs: 0
; TotalNumVgprs: 0
; ScratchSize: 0
; MemoryBound: 0
; FloatMode: 240
; IeeeMode: 1
; LDSByteSize: 0 bytes/workgroup (compile time only)
; SGPRBlocks: 0
; VGPRBlocks: 0
; NumSGPRsForWavesPerEU: 4
; NumVGPRsForWavesPerEU: 1
; AccumOffset: 4
; Occupancy: 8
; WaveLimiterHint : 0
; COMPUTE_PGM_RSRC2:SCRATCH_EN: 0
; COMPUTE_PGM_RSRC2:USER_SGPR: 6
; COMPUTE_PGM_RSRC2:TRAP_HANDLER: 0
; COMPUTE_PGM_RSRC2:TGID_X_EN: 1
; COMPUTE_PGM_RSRC2:TGID_Y_EN: 0
; COMPUTE_PGM_RSRC2:TGID_Z_EN: 0
; COMPUTE_PGM_RSRC2:TIDIG_COMP_CNT: 0
; COMPUTE_PGM_RSRC3_GFX90A:ACCUM_OFFSET: 0
; COMPUTE_PGM_RSRC3_GFX90A:TG_SPLIT: 0
	.section	.text._ZN7rocprim17ROCPRIM_400000_NS6detail17trampoline_kernelINS0_14default_configENS1_20scan_config_selectorItEEZZNS1_9scan_implILNS1_25lookback_scan_determinismE0ELb1ELb1ES3_N6thrust23THRUST_200600_302600_NS6detail15normal_iteratorINS9_10device_ptrItEEEESE_t11max_functorItEtEEDaPvRmT3_T4_T5_mT6_P12ihipStream_tbENKUlT_T0_E_clISt17integral_constantIbLb1EEST_IbLb0EEEEDaSP_SQ_EUlSP_E0_NS1_11comp_targetILNS1_3genE9ELNS1_11target_archE1100ELNS1_3gpuE3ELNS1_3repE0EEENS1_30default_config_static_selectorELNS0_4arch9wavefront6targetE1EEEvT1_,"axG",@progbits,_ZN7rocprim17ROCPRIM_400000_NS6detail17trampoline_kernelINS0_14default_configENS1_20scan_config_selectorItEEZZNS1_9scan_implILNS1_25lookback_scan_determinismE0ELb1ELb1ES3_N6thrust23THRUST_200600_302600_NS6detail15normal_iteratorINS9_10device_ptrItEEEESE_t11max_functorItEtEEDaPvRmT3_T4_T5_mT6_P12ihipStream_tbENKUlT_T0_E_clISt17integral_constantIbLb1EEST_IbLb0EEEEDaSP_SQ_EUlSP_E0_NS1_11comp_targetILNS1_3genE9ELNS1_11target_archE1100ELNS1_3gpuE3ELNS1_3repE0EEENS1_30default_config_static_selectorELNS0_4arch9wavefront6targetE1EEEvT1_,comdat
	.protected	_ZN7rocprim17ROCPRIM_400000_NS6detail17trampoline_kernelINS0_14default_configENS1_20scan_config_selectorItEEZZNS1_9scan_implILNS1_25lookback_scan_determinismE0ELb1ELb1ES3_N6thrust23THRUST_200600_302600_NS6detail15normal_iteratorINS9_10device_ptrItEEEESE_t11max_functorItEtEEDaPvRmT3_T4_T5_mT6_P12ihipStream_tbENKUlT_T0_E_clISt17integral_constantIbLb1EEST_IbLb0EEEEDaSP_SQ_EUlSP_E0_NS1_11comp_targetILNS1_3genE9ELNS1_11target_archE1100ELNS1_3gpuE3ELNS1_3repE0EEENS1_30default_config_static_selectorELNS0_4arch9wavefront6targetE1EEEvT1_ ; -- Begin function _ZN7rocprim17ROCPRIM_400000_NS6detail17trampoline_kernelINS0_14default_configENS1_20scan_config_selectorItEEZZNS1_9scan_implILNS1_25lookback_scan_determinismE0ELb1ELb1ES3_N6thrust23THRUST_200600_302600_NS6detail15normal_iteratorINS9_10device_ptrItEEEESE_t11max_functorItEtEEDaPvRmT3_T4_T5_mT6_P12ihipStream_tbENKUlT_T0_E_clISt17integral_constantIbLb1EEST_IbLb0EEEEDaSP_SQ_EUlSP_E0_NS1_11comp_targetILNS1_3genE9ELNS1_11target_archE1100ELNS1_3gpuE3ELNS1_3repE0EEENS1_30default_config_static_selectorELNS0_4arch9wavefront6targetE1EEEvT1_
	.globl	_ZN7rocprim17ROCPRIM_400000_NS6detail17trampoline_kernelINS0_14default_configENS1_20scan_config_selectorItEEZZNS1_9scan_implILNS1_25lookback_scan_determinismE0ELb1ELb1ES3_N6thrust23THRUST_200600_302600_NS6detail15normal_iteratorINS9_10device_ptrItEEEESE_t11max_functorItEtEEDaPvRmT3_T4_T5_mT6_P12ihipStream_tbENKUlT_T0_E_clISt17integral_constantIbLb1EEST_IbLb0EEEEDaSP_SQ_EUlSP_E0_NS1_11comp_targetILNS1_3genE9ELNS1_11target_archE1100ELNS1_3gpuE3ELNS1_3repE0EEENS1_30default_config_static_selectorELNS0_4arch9wavefront6targetE1EEEvT1_
	.p2align	8
	.type	_ZN7rocprim17ROCPRIM_400000_NS6detail17trampoline_kernelINS0_14default_configENS1_20scan_config_selectorItEEZZNS1_9scan_implILNS1_25lookback_scan_determinismE0ELb1ELb1ES3_N6thrust23THRUST_200600_302600_NS6detail15normal_iteratorINS9_10device_ptrItEEEESE_t11max_functorItEtEEDaPvRmT3_T4_T5_mT6_P12ihipStream_tbENKUlT_T0_E_clISt17integral_constantIbLb1EEST_IbLb0EEEEDaSP_SQ_EUlSP_E0_NS1_11comp_targetILNS1_3genE9ELNS1_11target_archE1100ELNS1_3gpuE3ELNS1_3repE0EEENS1_30default_config_static_selectorELNS0_4arch9wavefront6targetE1EEEvT1_,@function
_ZN7rocprim17ROCPRIM_400000_NS6detail17trampoline_kernelINS0_14default_configENS1_20scan_config_selectorItEEZZNS1_9scan_implILNS1_25lookback_scan_determinismE0ELb1ELb1ES3_N6thrust23THRUST_200600_302600_NS6detail15normal_iteratorINS9_10device_ptrItEEEESE_t11max_functorItEtEEDaPvRmT3_T4_T5_mT6_P12ihipStream_tbENKUlT_T0_E_clISt17integral_constantIbLb1EEST_IbLb0EEEEDaSP_SQ_EUlSP_E0_NS1_11comp_targetILNS1_3genE9ELNS1_11target_archE1100ELNS1_3gpuE3ELNS1_3repE0EEENS1_30default_config_static_selectorELNS0_4arch9wavefront6targetE1EEEvT1_: ; @_ZN7rocprim17ROCPRIM_400000_NS6detail17trampoline_kernelINS0_14default_configENS1_20scan_config_selectorItEEZZNS1_9scan_implILNS1_25lookback_scan_determinismE0ELb1ELb1ES3_N6thrust23THRUST_200600_302600_NS6detail15normal_iteratorINS9_10device_ptrItEEEESE_t11max_functorItEtEEDaPvRmT3_T4_T5_mT6_P12ihipStream_tbENKUlT_T0_E_clISt17integral_constantIbLb1EEST_IbLb0EEEEDaSP_SQ_EUlSP_E0_NS1_11comp_targetILNS1_3genE9ELNS1_11target_archE1100ELNS1_3gpuE3ELNS1_3repE0EEENS1_30default_config_static_selectorELNS0_4arch9wavefront6targetE1EEEvT1_
; %bb.0:
	.section	.rodata,"a",@progbits
	.p2align	6, 0x0
	.amdhsa_kernel _ZN7rocprim17ROCPRIM_400000_NS6detail17trampoline_kernelINS0_14default_configENS1_20scan_config_selectorItEEZZNS1_9scan_implILNS1_25lookback_scan_determinismE0ELb1ELb1ES3_N6thrust23THRUST_200600_302600_NS6detail15normal_iteratorINS9_10device_ptrItEEEESE_t11max_functorItEtEEDaPvRmT3_T4_T5_mT6_P12ihipStream_tbENKUlT_T0_E_clISt17integral_constantIbLb1EEST_IbLb0EEEEDaSP_SQ_EUlSP_E0_NS1_11comp_targetILNS1_3genE9ELNS1_11target_archE1100ELNS1_3gpuE3ELNS1_3repE0EEENS1_30default_config_static_selectorELNS0_4arch9wavefront6targetE1EEEvT1_
		.amdhsa_group_segment_fixed_size 0
		.amdhsa_private_segment_fixed_size 0
		.amdhsa_kernarg_size 32
		.amdhsa_user_sgpr_count 6
		.amdhsa_user_sgpr_private_segment_buffer 1
		.amdhsa_user_sgpr_dispatch_ptr 0
		.amdhsa_user_sgpr_queue_ptr 0
		.amdhsa_user_sgpr_kernarg_segment_ptr 1
		.amdhsa_user_sgpr_dispatch_id 0
		.amdhsa_user_sgpr_flat_scratch_init 0
		.amdhsa_user_sgpr_kernarg_preload_length 0
		.amdhsa_user_sgpr_kernarg_preload_offset 0
		.amdhsa_user_sgpr_private_segment_size 0
		.amdhsa_uses_dynamic_stack 0
		.amdhsa_system_sgpr_private_segment_wavefront_offset 0
		.amdhsa_system_sgpr_workgroup_id_x 1
		.amdhsa_system_sgpr_workgroup_id_y 0
		.amdhsa_system_sgpr_workgroup_id_z 0
		.amdhsa_system_sgpr_workgroup_info 0
		.amdhsa_system_vgpr_workitem_id 0
		.amdhsa_next_free_vgpr 1
		.amdhsa_next_free_sgpr 0
		.amdhsa_accum_offset 4
		.amdhsa_reserve_vcc 0
		.amdhsa_reserve_flat_scratch 0
		.amdhsa_float_round_mode_32 0
		.amdhsa_float_round_mode_16_64 0
		.amdhsa_float_denorm_mode_32 3
		.amdhsa_float_denorm_mode_16_64 3
		.amdhsa_dx10_clamp 1
		.amdhsa_ieee_mode 1
		.amdhsa_fp16_overflow 0
		.amdhsa_tg_split 0
		.amdhsa_exception_fp_ieee_invalid_op 0
		.amdhsa_exception_fp_denorm_src 0
		.amdhsa_exception_fp_ieee_div_zero 0
		.amdhsa_exception_fp_ieee_overflow 0
		.amdhsa_exception_fp_ieee_underflow 0
		.amdhsa_exception_fp_ieee_inexact 0
		.amdhsa_exception_int_div_zero 0
	.end_amdhsa_kernel
	.section	.text._ZN7rocprim17ROCPRIM_400000_NS6detail17trampoline_kernelINS0_14default_configENS1_20scan_config_selectorItEEZZNS1_9scan_implILNS1_25lookback_scan_determinismE0ELb1ELb1ES3_N6thrust23THRUST_200600_302600_NS6detail15normal_iteratorINS9_10device_ptrItEEEESE_t11max_functorItEtEEDaPvRmT3_T4_T5_mT6_P12ihipStream_tbENKUlT_T0_E_clISt17integral_constantIbLb1EEST_IbLb0EEEEDaSP_SQ_EUlSP_E0_NS1_11comp_targetILNS1_3genE9ELNS1_11target_archE1100ELNS1_3gpuE3ELNS1_3repE0EEENS1_30default_config_static_selectorELNS0_4arch9wavefront6targetE1EEEvT1_,"axG",@progbits,_ZN7rocprim17ROCPRIM_400000_NS6detail17trampoline_kernelINS0_14default_configENS1_20scan_config_selectorItEEZZNS1_9scan_implILNS1_25lookback_scan_determinismE0ELb1ELb1ES3_N6thrust23THRUST_200600_302600_NS6detail15normal_iteratorINS9_10device_ptrItEEEESE_t11max_functorItEtEEDaPvRmT3_T4_T5_mT6_P12ihipStream_tbENKUlT_T0_E_clISt17integral_constantIbLb1EEST_IbLb0EEEEDaSP_SQ_EUlSP_E0_NS1_11comp_targetILNS1_3genE9ELNS1_11target_archE1100ELNS1_3gpuE3ELNS1_3repE0EEENS1_30default_config_static_selectorELNS0_4arch9wavefront6targetE1EEEvT1_,comdat
.Lfunc_end2538:
	.size	_ZN7rocprim17ROCPRIM_400000_NS6detail17trampoline_kernelINS0_14default_configENS1_20scan_config_selectorItEEZZNS1_9scan_implILNS1_25lookback_scan_determinismE0ELb1ELb1ES3_N6thrust23THRUST_200600_302600_NS6detail15normal_iteratorINS9_10device_ptrItEEEESE_t11max_functorItEtEEDaPvRmT3_T4_T5_mT6_P12ihipStream_tbENKUlT_T0_E_clISt17integral_constantIbLb1EEST_IbLb0EEEEDaSP_SQ_EUlSP_E0_NS1_11comp_targetILNS1_3genE9ELNS1_11target_archE1100ELNS1_3gpuE3ELNS1_3repE0EEENS1_30default_config_static_selectorELNS0_4arch9wavefront6targetE1EEEvT1_, .Lfunc_end2538-_ZN7rocprim17ROCPRIM_400000_NS6detail17trampoline_kernelINS0_14default_configENS1_20scan_config_selectorItEEZZNS1_9scan_implILNS1_25lookback_scan_determinismE0ELb1ELb1ES3_N6thrust23THRUST_200600_302600_NS6detail15normal_iteratorINS9_10device_ptrItEEEESE_t11max_functorItEtEEDaPvRmT3_T4_T5_mT6_P12ihipStream_tbENKUlT_T0_E_clISt17integral_constantIbLb1EEST_IbLb0EEEEDaSP_SQ_EUlSP_E0_NS1_11comp_targetILNS1_3genE9ELNS1_11target_archE1100ELNS1_3gpuE3ELNS1_3repE0EEENS1_30default_config_static_selectorELNS0_4arch9wavefront6targetE1EEEvT1_
                                        ; -- End function
	.section	.AMDGPU.csdata,"",@progbits
; Kernel info:
; codeLenInByte = 0
; NumSgprs: 4
; NumVgprs: 0
; NumAgprs: 0
; TotalNumVgprs: 0
; ScratchSize: 0
; MemoryBound: 0
; FloatMode: 240
; IeeeMode: 1
; LDSByteSize: 0 bytes/workgroup (compile time only)
; SGPRBlocks: 0
; VGPRBlocks: 0
; NumSGPRsForWavesPerEU: 4
; NumVGPRsForWavesPerEU: 1
; AccumOffset: 4
; Occupancy: 8
; WaveLimiterHint : 0
; COMPUTE_PGM_RSRC2:SCRATCH_EN: 0
; COMPUTE_PGM_RSRC2:USER_SGPR: 6
; COMPUTE_PGM_RSRC2:TRAP_HANDLER: 0
; COMPUTE_PGM_RSRC2:TGID_X_EN: 1
; COMPUTE_PGM_RSRC2:TGID_Y_EN: 0
; COMPUTE_PGM_RSRC2:TGID_Z_EN: 0
; COMPUTE_PGM_RSRC2:TIDIG_COMP_CNT: 0
; COMPUTE_PGM_RSRC3_GFX90A:ACCUM_OFFSET: 0
; COMPUTE_PGM_RSRC3_GFX90A:TG_SPLIT: 0
	.section	.text._ZN7rocprim17ROCPRIM_400000_NS6detail17trampoline_kernelINS0_14default_configENS1_20scan_config_selectorItEEZZNS1_9scan_implILNS1_25lookback_scan_determinismE0ELb1ELb1ES3_N6thrust23THRUST_200600_302600_NS6detail15normal_iteratorINS9_10device_ptrItEEEESE_t11max_functorItEtEEDaPvRmT3_T4_T5_mT6_P12ihipStream_tbENKUlT_T0_E_clISt17integral_constantIbLb1EEST_IbLb0EEEEDaSP_SQ_EUlSP_E0_NS1_11comp_targetILNS1_3genE8ELNS1_11target_archE1030ELNS1_3gpuE2ELNS1_3repE0EEENS1_30default_config_static_selectorELNS0_4arch9wavefront6targetE1EEEvT1_,"axG",@progbits,_ZN7rocprim17ROCPRIM_400000_NS6detail17trampoline_kernelINS0_14default_configENS1_20scan_config_selectorItEEZZNS1_9scan_implILNS1_25lookback_scan_determinismE0ELb1ELb1ES3_N6thrust23THRUST_200600_302600_NS6detail15normal_iteratorINS9_10device_ptrItEEEESE_t11max_functorItEtEEDaPvRmT3_T4_T5_mT6_P12ihipStream_tbENKUlT_T0_E_clISt17integral_constantIbLb1EEST_IbLb0EEEEDaSP_SQ_EUlSP_E0_NS1_11comp_targetILNS1_3genE8ELNS1_11target_archE1030ELNS1_3gpuE2ELNS1_3repE0EEENS1_30default_config_static_selectorELNS0_4arch9wavefront6targetE1EEEvT1_,comdat
	.protected	_ZN7rocprim17ROCPRIM_400000_NS6detail17trampoline_kernelINS0_14default_configENS1_20scan_config_selectorItEEZZNS1_9scan_implILNS1_25lookback_scan_determinismE0ELb1ELb1ES3_N6thrust23THRUST_200600_302600_NS6detail15normal_iteratorINS9_10device_ptrItEEEESE_t11max_functorItEtEEDaPvRmT3_T4_T5_mT6_P12ihipStream_tbENKUlT_T0_E_clISt17integral_constantIbLb1EEST_IbLb0EEEEDaSP_SQ_EUlSP_E0_NS1_11comp_targetILNS1_3genE8ELNS1_11target_archE1030ELNS1_3gpuE2ELNS1_3repE0EEENS1_30default_config_static_selectorELNS0_4arch9wavefront6targetE1EEEvT1_ ; -- Begin function _ZN7rocprim17ROCPRIM_400000_NS6detail17trampoline_kernelINS0_14default_configENS1_20scan_config_selectorItEEZZNS1_9scan_implILNS1_25lookback_scan_determinismE0ELb1ELb1ES3_N6thrust23THRUST_200600_302600_NS6detail15normal_iteratorINS9_10device_ptrItEEEESE_t11max_functorItEtEEDaPvRmT3_T4_T5_mT6_P12ihipStream_tbENKUlT_T0_E_clISt17integral_constantIbLb1EEST_IbLb0EEEEDaSP_SQ_EUlSP_E0_NS1_11comp_targetILNS1_3genE8ELNS1_11target_archE1030ELNS1_3gpuE2ELNS1_3repE0EEENS1_30default_config_static_selectorELNS0_4arch9wavefront6targetE1EEEvT1_
	.globl	_ZN7rocprim17ROCPRIM_400000_NS6detail17trampoline_kernelINS0_14default_configENS1_20scan_config_selectorItEEZZNS1_9scan_implILNS1_25lookback_scan_determinismE0ELb1ELb1ES3_N6thrust23THRUST_200600_302600_NS6detail15normal_iteratorINS9_10device_ptrItEEEESE_t11max_functorItEtEEDaPvRmT3_T4_T5_mT6_P12ihipStream_tbENKUlT_T0_E_clISt17integral_constantIbLb1EEST_IbLb0EEEEDaSP_SQ_EUlSP_E0_NS1_11comp_targetILNS1_3genE8ELNS1_11target_archE1030ELNS1_3gpuE2ELNS1_3repE0EEENS1_30default_config_static_selectorELNS0_4arch9wavefront6targetE1EEEvT1_
	.p2align	8
	.type	_ZN7rocprim17ROCPRIM_400000_NS6detail17trampoline_kernelINS0_14default_configENS1_20scan_config_selectorItEEZZNS1_9scan_implILNS1_25lookback_scan_determinismE0ELb1ELb1ES3_N6thrust23THRUST_200600_302600_NS6detail15normal_iteratorINS9_10device_ptrItEEEESE_t11max_functorItEtEEDaPvRmT3_T4_T5_mT6_P12ihipStream_tbENKUlT_T0_E_clISt17integral_constantIbLb1EEST_IbLb0EEEEDaSP_SQ_EUlSP_E0_NS1_11comp_targetILNS1_3genE8ELNS1_11target_archE1030ELNS1_3gpuE2ELNS1_3repE0EEENS1_30default_config_static_selectorELNS0_4arch9wavefront6targetE1EEEvT1_,@function
_ZN7rocprim17ROCPRIM_400000_NS6detail17trampoline_kernelINS0_14default_configENS1_20scan_config_selectorItEEZZNS1_9scan_implILNS1_25lookback_scan_determinismE0ELb1ELb1ES3_N6thrust23THRUST_200600_302600_NS6detail15normal_iteratorINS9_10device_ptrItEEEESE_t11max_functorItEtEEDaPvRmT3_T4_T5_mT6_P12ihipStream_tbENKUlT_T0_E_clISt17integral_constantIbLb1EEST_IbLb0EEEEDaSP_SQ_EUlSP_E0_NS1_11comp_targetILNS1_3genE8ELNS1_11target_archE1030ELNS1_3gpuE2ELNS1_3repE0EEENS1_30default_config_static_selectorELNS0_4arch9wavefront6targetE1EEEvT1_: ; @_ZN7rocprim17ROCPRIM_400000_NS6detail17trampoline_kernelINS0_14default_configENS1_20scan_config_selectorItEEZZNS1_9scan_implILNS1_25lookback_scan_determinismE0ELb1ELb1ES3_N6thrust23THRUST_200600_302600_NS6detail15normal_iteratorINS9_10device_ptrItEEEESE_t11max_functorItEtEEDaPvRmT3_T4_T5_mT6_P12ihipStream_tbENKUlT_T0_E_clISt17integral_constantIbLb1EEST_IbLb0EEEEDaSP_SQ_EUlSP_E0_NS1_11comp_targetILNS1_3genE8ELNS1_11target_archE1030ELNS1_3gpuE2ELNS1_3repE0EEENS1_30default_config_static_selectorELNS0_4arch9wavefront6targetE1EEEvT1_
; %bb.0:
	.section	.rodata,"a",@progbits
	.p2align	6, 0x0
	.amdhsa_kernel _ZN7rocprim17ROCPRIM_400000_NS6detail17trampoline_kernelINS0_14default_configENS1_20scan_config_selectorItEEZZNS1_9scan_implILNS1_25lookback_scan_determinismE0ELb1ELb1ES3_N6thrust23THRUST_200600_302600_NS6detail15normal_iteratorINS9_10device_ptrItEEEESE_t11max_functorItEtEEDaPvRmT3_T4_T5_mT6_P12ihipStream_tbENKUlT_T0_E_clISt17integral_constantIbLb1EEST_IbLb0EEEEDaSP_SQ_EUlSP_E0_NS1_11comp_targetILNS1_3genE8ELNS1_11target_archE1030ELNS1_3gpuE2ELNS1_3repE0EEENS1_30default_config_static_selectorELNS0_4arch9wavefront6targetE1EEEvT1_
		.amdhsa_group_segment_fixed_size 0
		.amdhsa_private_segment_fixed_size 0
		.amdhsa_kernarg_size 32
		.amdhsa_user_sgpr_count 6
		.amdhsa_user_sgpr_private_segment_buffer 1
		.amdhsa_user_sgpr_dispatch_ptr 0
		.amdhsa_user_sgpr_queue_ptr 0
		.amdhsa_user_sgpr_kernarg_segment_ptr 1
		.amdhsa_user_sgpr_dispatch_id 0
		.amdhsa_user_sgpr_flat_scratch_init 0
		.amdhsa_user_sgpr_kernarg_preload_length 0
		.amdhsa_user_sgpr_kernarg_preload_offset 0
		.amdhsa_user_sgpr_private_segment_size 0
		.amdhsa_uses_dynamic_stack 0
		.amdhsa_system_sgpr_private_segment_wavefront_offset 0
		.amdhsa_system_sgpr_workgroup_id_x 1
		.amdhsa_system_sgpr_workgroup_id_y 0
		.amdhsa_system_sgpr_workgroup_id_z 0
		.amdhsa_system_sgpr_workgroup_info 0
		.amdhsa_system_vgpr_workitem_id 0
		.amdhsa_next_free_vgpr 1
		.amdhsa_next_free_sgpr 0
		.amdhsa_accum_offset 4
		.amdhsa_reserve_vcc 0
		.amdhsa_reserve_flat_scratch 0
		.amdhsa_float_round_mode_32 0
		.amdhsa_float_round_mode_16_64 0
		.amdhsa_float_denorm_mode_32 3
		.amdhsa_float_denorm_mode_16_64 3
		.amdhsa_dx10_clamp 1
		.amdhsa_ieee_mode 1
		.amdhsa_fp16_overflow 0
		.amdhsa_tg_split 0
		.amdhsa_exception_fp_ieee_invalid_op 0
		.amdhsa_exception_fp_denorm_src 0
		.amdhsa_exception_fp_ieee_div_zero 0
		.amdhsa_exception_fp_ieee_overflow 0
		.amdhsa_exception_fp_ieee_underflow 0
		.amdhsa_exception_fp_ieee_inexact 0
		.amdhsa_exception_int_div_zero 0
	.end_amdhsa_kernel
	.section	.text._ZN7rocprim17ROCPRIM_400000_NS6detail17trampoline_kernelINS0_14default_configENS1_20scan_config_selectorItEEZZNS1_9scan_implILNS1_25lookback_scan_determinismE0ELb1ELb1ES3_N6thrust23THRUST_200600_302600_NS6detail15normal_iteratorINS9_10device_ptrItEEEESE_t11max_functorItEtEEDaPvRmT3_T4_T5_mT6_P12ihipStream_tbENKUlT_T0_E_clISt17integral_constantIbLb1EEST_IbLb0EEEEDaSP_SQ_EUlSP_E0_NS1_11comp_targetILNS1_3genE8ELNS1_11target_archE1030ELNS1_3gpuE2ELNS1_3repE0EEENS1_30default_config_static_selectorELNS0_4arch9wavefront6targetE1EEEvT1_,"axG",@progbits,_ZN7rocprim17ROCPRIM_400000_NS6detail17trampoline_kernelINS0_14default_configENS1_20scan_config_selectorItEEZZNS1_9scan_implILNS1_25lookback_scan_determinismE0ELb1ELb1ES3_N6thrust23THRUST_200600_302600_NS6detail15normal_iteratorINS9_10device_ptrItEEEESE_t11max_functorItEtEEDaPvRmT3_T4_T5_mT6_P12ihipStream_tbENKUlT_T0_E_clISt17integral_constantIbLb1EEST_IbLb0EEEEDaSP_SQ_EUlSP_E0_NS1_11comp_targetILNS1_3genE8ELNS1_11target_archE1030ELNS1_3gpuE2ELNS1_3repE0EEENS1_30default_config_static_selectorELNS0_4arch9wavefront6targetE1EEEvT1_,comdat
.Lfunc_end2539:
	.size	_ZN7rocprim17ROCPRIM_400000_NS6detail17trampoline_kernelINS0_14default_configENS1_20scan_config_selectorItEEZZNS1_9scan_implILNS1_25lookback_scan_determinismE0ELb1ELb1ES3_N6thrust23THRUST_200600_302600_NS6detail15normal_iteratorINS9_10device_ptrItEEEESE_t11max_functorItEtEEDaPvRmT3_T4_T5_mT6_P12ihipStream_tbENKUlT_T0_E_clISt17integral_constantIbLb1EEST_IbLb0EEEEDaSP_SQ_EUlSP_E0_NS1_11comp_targetILNS1_3genE8ELNS1_11target_archE1030ELNS1_3gpuE2ELNS1_3repE0EEENS1_30default_config_static_selectorELNS0_4arch9wavefront6targetE1EEEvT1_, .Lfunc_end2539-_ZN7rocprim17ROCPRIM_400000_NS6detail17trampoline_kernelINS0_14default_configENS1_20scan_config_selectorItEEZZNS1_9scan_implILNS1_25lookback_scan_determinismE0ELb1ELb1ES3_N6thrust23THRUST_200600_302600_NS6detail15normal_iteratorINS9_10device_ptrItEEEESE_t11max_functorItEtEEDaPvRmT3_T4_T5_mT6_P12ihipStream_tbENKUlT_T0_E_clISt17integral_constantIbLb1EEST_IbLb0EEEEDaSP_SQ_EUlSP_E0_NS1_11comp_targetILNS1_3genE8ELNS1_11target_archE1030ELNS1_3gpuE2ELNS1_3repE0EEENS1_30default_config_static_selectorELNS0_4arch9wavefront6targetE1EEEvT1_
                                        ; -- End function
	.section	.AMDGPU.csdata,"",@progbits
; Kernel info:
; codeLenInByte = 0
; NumSgprs: 4
; NumVgprs: 0
; NumAgprs: 0
; TotalNumVgprs: 0
; ScratchSize: 0
; MemoryBound: 0
; FloatMode: 240
; IeeeMode: 1
; LDSByteSize: 0 bytes/workgroup (compile time only)
; SGPRBlocks: 0
; VGPRBlocks: 0
; NumSGPRsForWavesPerEU: 4
; NumVGPRsForWavesPerEU: 1
; AccumOffset: 4
; Occupancy: 8
; WaveLimiterHint : 0
; COMPUTE_PGM_RSRC2:SCRATCH_EN: 0
; COMPUTE_PGM_RSRC2:USER_SGPR: 6
; COMPUTE_PGM_RSRC2:TRAP_HANDLER: 0
; COMPUTE_PGM_RSRC2:TGID_X_EN: 1
; COMPUTE_PGM_RSRC2:TGID_Y_EN: 0
; COMPUTE_PGM_RSRC2:TGID_Z_EN: 0
; COMPUTE_PGM_RSRC2:TIDIG_COMP_CNT: 0
; COMPUTE_PGM_RSRC3_GFX90A:ACCUM_OFFSET: 0
; COMPUTE_PGM_RSRC3_GFX90A:TG_SPLIT: 0
	.section	.text._ZN7rocprim17ROCPRIM_400000_NS6detail17trampoline_kernelINS0_14default_configENS1_20scan_config_selectorItEEZZNS1_9scan_implILNS1_25lookback_scan_determinismE0ELb1ELb1ES3_N6thrust23THRUST_200600_302600_NS6detail15normal_iteratorINS9_10device_ptrItEEEESE_t11max_functorItEtEEDaPvRmT3_T4_T5_mT6_P12ihipStream_tbENKUlT_T0_E_clISt17integral_constantIbLb0EEST_IbLb1EEEEDaSP_SQ_EUlSP_E_NS1_11comp_targetILNS1_3genE0ELNS1_11target_archE4294967295ELNS1_3gpuE0ELNS1_3repE0EEENS1_30default_config_static_selectorELNS0_4arch9wavefront6targetE1EEEvT1_,"axG",@progbits,_ZN7rocprim17ROCPRIM_400000_NS6detail17trampoline_kernelINS0_14default_configENS1_20scan_config_selectorItEEZZNS1_9scan_implILNS1_25lookback_scan_determinismE0ELb1ELb1ES3_N6thrust23THRUST_200600_302600_NS6detail15normal_iteratorINS9_10device_ptrItEEEESE_t11max_functorItEtEEDaPvRmT3_T4_T5_mT6_P12ihipStream_tbENKUlT_T0_E_clISt17integral_constantIbLb0EEST_IbLb1EEEEDaSP_SQ_EUlSP_E_NS1_11comp_targetILNS1_3genE0ELNS1_11target_archE4294967295ELNS1_3gpuE0ELNS1_3repE0EEENS1_30default_config_static_selectorELNS0_4arch9wavefront6targetE1EEEvT1_,comdat
	.protected	_ZN7rocprim17ROCPRIM_400000_NS6detail17trampoline_kernelINS0_14default_configENS1_20scan_config_selectorItEEZZNS1_9scan_implILNS1_25lookback_scan_determinismE0ELb1ELb1ES3_N6thrust23THRUST_200600_302600_NS6detail15normal_iteratorINS9_10device_ptrItEEEESE_t11max_functorItEtEEDaPvRmT3_T4_T5_mT6_P12ihipStream_tbENKUlT_T0_E_clISt17integral_constantIbLb0EEST_IbLb1EEEEDaSP_SQ_EUlSP_E_NS1_11comp_targetILNS1_3genE0ELNS1_11target_archE4294967295ELNS1_3gpuE0ELNS1_3repE0EEENS1_30default_config_static_selectorELNS0_4arch9wavefront6targetE1EEEvT1_ ; -- Begin function _ZN7rocprim17ROCPRIM_400000_NS6detail17trampoline_kernelINS0_14default_configENS1_20scan_config_selectorItEEZZNS1_9scan_implILNS1_25lookback_scan_determinismE0ELb1ELb1ES3_N6thrust23THRUST_200600_302600_NS6detail15normal_iteratorINS9_10device_ptrItEEEESE_t11max_functorItEtEEDaPvRmT3_T4_T5_mT6_P12ihipStream_tbENKUlT_T0_E_clISt17integral_constantIbLb0EEST_IbLb1EEEEDaSP_SQ_EUlSP_E_NS1_11comp_targetILNS1_3genE0ELNS1_11target_archE4294967295ELNS1_3gpuE0ELNS1_3repE0EEENS1_30default_config_static_selectorELNS0_4arch9wavefront6targetE1EEEvT1_
	.globl	_ZN7rocprim17ROCPRIM_400000_NS6detail17trampoline_kernelINS0_14default_configENS1_20scan_config_selectorItEEZZNS1_9scan_implILNS1_25lookback_scan_determinismE0ELb1ELb1ES3_N6thrust23THRUST_200600_302600_NS6detail15normal_iteratorINS9_10device_ptrItEEEESE_t11max_functorItEtEEDaPvRmT3_T4_T5_mT6_P12ihipStream_tbENKUlT_T0_E_clISt17integral_constantIbLb0EEST_IbLb1EEEEDaSP_SQ_EUlSP_E_NS1_11comp_targetILNS1_3genE0ELNS1_11target_archE4294967295ELNS1_3gpuE0ELNS1_3repE0EEENS1_30default_config_static_selectorELNS0_4arch9wavefront6targetE1EEEvT1_
	.p2align	8
	.type	_ZN7rocprim17ROCPRIM_400000_NS6detail17trampoline_kernelINS0_14default_configENS1_20scan_config_selectorItEEZZNS1_9scan_implILNS1_25lookback_scan_determinismE0ELb1ELb1ES3_N6thrust23THRUST_200600_302600_NS6detail15normal_iteratorINS9_10device_ptrItEEEESE_t11max_functorItEtEEDaPvRmT3_T4_T5_mT6_P12ihipStream_tbENKUlT_T0_E_clISt17integral_constantIbLb0EEST_IbLb1EEEEDaSP_SQ_EUlSP_E_NS1_11comp_targetILNS1_3genE0ELNS1_11target_archE4294967295ELNS1_3gpuE0ELNS1_3repE0EEENS1_30default_config_static_selectorELNS0_4arch9wavefront6targetE1EEEvT1_,@function
_ZN7rocprim17ROCPRIM_400000_NS6detail17trampoline_kernelINS0_14default_configENS1_20scan_config_selectorItEEZZNS1_9scan_implILNS1_25lookback_scan_determinismE0ELb1ELb1ES3_N6thrust23THRUST_200600_302600_NS6detail15normal_iteratorINS9_10device_ptrItEEEESE_t11max_functorItEtEEDaPvRmT3_T4_T5_mT6_P12ihipStream_tbENKUlT_T0_E_clISt17integral_constantIbLb0EEST_IbLb1EEEEDaSP_SQ_EUlSP_E_NS1_11comp_targetILNS1_3genE0ELNS1_11target_archE4294967295ELNS1_3gpuE0ELNS1_3repE0EEENS1_30default_config_static_selectorELNS0_4arch9wavefront6targetE1EEEvT1_: ; @_ZN7rocprim17ROCPRIM_400000_NS6detail17trampoline_kernelINS0_14default_configENS1_20scan_config_selectorItEEZZNS1_9scan_implILNS1_25lookback_scan_determinismE0ELb1ELb1ES3_N6thrust23THRUST_200600_302600_NS6detail15normal_iteratorINS9_10device_ptrItEEEESE_t11max_functorItEtEEDaPvRmT3_T4_T5_mT6_P12ihipStream_tbENKUlT_T0_E_clISt17integral_constantIbLb0EEST_IbLb1EEEEDaSP_SQ_EUlSP_E_NS1_11comp_targetILNS1_3genE0ELNS1_11target_archE4294967295ELNS1_3gpuE0ELNS1_3repE0EEENS1_30default_config_static_selectorELNS0_4arch9wavefront6targetE1EEEvT1_
; %bb.0:
	.section	.rodata,"a",@progbits
	.p2align	6, 0x0
	.amdhsa_kernel _ZN7rocprim17ROCPRIM_400000_NS6detail17trampoline_kernelINS0_14default_configENS1_20scan_config_selectorItEEZZNS1_9scan_implILNS1_25lookback_scan_determinismE0ELb1ELb1ES3_N6thrust23THRUST_200600_302600_NS6detail15normal_iteratorINS9_10device_ptrItEEEESE_t11max_functorItEtEEDaPvRmT3_T4_T5_mT6_P12ihipStream_tbENKUlT_T0_E_clISt17integral_constantIbLb0EEST_IbLb1EEEEDaSP_SQ_EUlSP_E_NS1_11comp_targetILNS1_3genE0ELNS1_11target_archE4294967295ELNS1_3gpuE0ELNS1_3repE0EEENS1_30default_config_static_selectorELNS0_4arch9wavefront6targetE1EEEvT1_
		.amdhsa_group_segment_fixed_size 0
		.amdhsa_private_segment_fixed_size 0
		.amdhsa_kernarg_size 96
		.amdhsa_user_sgpr_count 6
		.amdhsa_user_sgpr_private_segment_buffer 1
		.amdhsa_user_sgpr_dispatch_ptr 0
		.amdhsa_user_sgpr_queue_ptr 0
		.amdhsa_user_sgpr_kernarg_segment_ptr 1
		.amdhsa_user_sgpr_dispatch_id 0
		.amdhsa_user_sgpr_flat_scratch_init 0
		.amdhsa_user_sgpr_kernarg_preload_length 0
		.amdhsa_user_sgpr_kernarg_preload_offset 0
		.amdhsa_user_sgpr_private_segment_size 0
		.amdhsa_uses_dynamic_stack 0
		.amdhsa_system_sgpr_private_segment_wavefront_offset 0
		.amdhsa_system_sgpr_workgroup_id_x 1
		.amdhsa_system_sgpr_workgroup_id_y 0
		.amdhsa_system_sgpr_workgroup_id_z 0
		.amdhsa_system_sgpr_workgroup_info 0
		.amdhsa_system_vgpr_workitem_id 0
		.amdhsa_next_free_vgpr 1
		.amdhsa_next_free_sgpr 0
		.amdhsa_accum_offset 4
		.amdhsa_reserve_vcc 0
		.amdhsa_reserve_flat_scratch 0
		.amdhsa_float_round_mode_32 0
		.amdhsa_float_round_mode_16_64 0
		.amdhsa_float_denorm_mode_32 3
		.amdhsa_float_denorm_mode_16_64 3
		.amdhsa_dx10_clamp 1
		.amdhsa_ieee_mode 1
		.amdhsa_fp16_overflow 0
		.amdhsa_tg_split 0
		.amdhsa_exception_fp_ieee_invalid_op 0
		.amdhsa_exception_fp_denorm_src 0
		.amdhsa_exception_fp_ieee_div_zero 0
		.amdhsa_exception_fp_ieee_overflow 0
		.amdhsa_exception_fp_ieee_underflow 0
		.amdhsa_exception_fp_ieee_inexact 0
		.amdhsa_exception_int_div_zero 0
	.end_amdhsa_kernel
	.section	.text._ZN7rocprim17ROCPRIM_400000_NS6detail17trampoline_kernelINS0_14default_configENS1_20scan_config_selectorItEEZZNS1_9scan_implILNS1_25lookback_scan_determinismE0ELb1ELb1ES3_N6thrust23THRUST_200600_302600_NS6detail15normal_iteratorINS9_10device_ptrItEEEESE_t11max_functorItEtEEDaPvRmT3_T4_T5_mT6_P12ihipStream_tbENKUlT_T0_E_clISt17integral_constantIbLb0EEST_IbLb1EEEEDaSP_SQ_EUlSP_E_NS1_11comp_targetILNS1_3genE0ELNS1_11target_archE4294967295ELNS1_3gpuE0ELNS1_3repE0EEENS1_30default_config_static_selectorELNS0_4arch9wavefront6targetE1EEEvT1_,"axG",@progbits,_ZN7rocprim17ROCPRIM_400000_NS6detail17trampoline_kernelINS0_14default_configENS1_20scan_config_selectorItEEZZNS1_9scan_implILNS1_25lookback_scan_determinismE0ELb1ELb1ES3_N6thrust23THRUST_200600_302600_NS6detail15normal_iteratorINS9_10device_ptrItEEEESE_t11max_functorItEtEEDaPvRmT3_T4_T5_mT6_P12ihipStream_tbENKUlT_T0_E_clISt17integral_constantIbLb0EEST_IbLb1EEEEDaSP_SQ_EUlSP_E_NS1_11comp_targetILNS1_3genE0ELNS1_11target_archE4294967295ELNS1_3gpuE0ELNS1_3repE0EEENS1_30default_config_static_selectorELNS0_4arch9wavefront6targetE1EEEvT1_,comdat
.Lfunc_end2540:
	.size	_ZN7rocprim17ROCPRIM_400000_NS6detail17trampoline_kernelINS0_14default_configENS1_20scan_config_selectorItEEZZNS1_9scan_implILNS1_25lookback_scan_determinismE0ELb1ELb1ES3_N6thrust23THRUST_200600_302600_NS6detail15normal_iteratorINS9_10device_ptrItEEEESE_t11max_functorItEtEEDaPvRmT3_T4_T5_mT6_P12ihipStream_tbENKUlT_T0_E_clISt17integral_constantIbLb0EEST_IbLb1EEEEDaSP_SQ_EUlSP_E_NS1_11comp_targetILNS1_3genE0ELNS1_11target_archE4294967295ELNS1_3gpuE0ELNS1_3repE0EEENS1_30default_config_static_selectorELNS0_4arch9wavefront6targetE1EEEvT1_, .Lfunc_end2540-_ZN7rocprim17ROCPRIM_400000_NS6detail17trampoline_kernelINS0_14default_configENS1_20scan_config_selectorItEEZZNS1_9scan_implILNS1_25lookback_scan_determinismE0ELb1ELb1ES3_N6thrust23THRUST_200600_302600_NS6detail15normal_iteratorINS9_10device_ptrItEEEESE_t11max_functorItEtEEDaPvRmT3_T4_T5_mT6_P12ihipStream_tbENKUlT_T0_E_clISt17integral_constantIbLb0EEST_IbLb1EEEEDaSP_SQ_EUlSP_E_NS1_11comp_targetILNS1_3genE0ELNS1_11target_archE4294967295ELNS1_3gpuE0ELNS1_3repE0EEENS1_30default_config_static_selectorELNS0_4arch9wavefront6targetE1EEEvT1_
                                        ; -- End function
	.section	.AMDGPU.csdata,"",@progbits
; Kernel info:
; codeLenInByte = 0
; NumSgprs: 4
; NumVgprs: 0
; NumAgprs: 0
; TotalNumVgprs: 0
; ScratchSize: 0
; MemoryBound: 0
; FloatMode: 240
; IeeeMode: 1
; LDSByteSize: 0 bytes/workgroup (compile time only)
; SGPRBlocks: 0
; VGPRBlocks: 0
; NumSGPRsForWavesPerEU: 4
; NumVGPRsForWavesPerEU: 1
; AccumOffset: 4
; Occupancy: 8
; WaveLimiterHint : 0
; COMPUTE_PGM_RSRC2:SCRATCH_EN: 0
; COMPUTE_PGM_RSRC2:USER_SGPR: 6
; COMPUTE_PGM_RSRC2:TRAP_HANDLER: 0
; COMPUTE_PGM_RSRC2:TGID_X_EN: 1
; COMPUTE_PGM_RSRC2:TGID_Y_EN: 0
; COMPUTE_PGM_RSRC2:TGID_Z_EN: 0
; COMPUTE_PGM_RSRC2:TIDIG_COMP_CNT: 0
; COMPUTE_PGM_RSRC3_GFX90A:ACCUM_OFFSET: 0
; COMPUTE_PGM_RSRC3_GFX90A:TG_SPLIT: 0
	.section	.text._ZN7rocprim17ROCPRIM_400000_NS6detail17trampoline_kernelINS0_14default_configENS1_20scan_config_selectorItEEZZNS1_9scan_implILNS1_25lookback_scan_determinismE0ELb1ELb1ES3_N6thrust23THRUST_200600_302600_NS6detail15normal_iteratorINS9_10device_ptrItEEEESE_t11max_functorItEtEEDaPvRmT3_T4_T5_mT6_P12ihipStream_tbENKUlT_T0_E_clISt17integral_constantIbLb0EEST_IbLb1EEEEDaSP_SQ_EUlSP_E_NS1_11comp_targetILNS1_3genE5ELNS1_11target_archE942ELNS1_3gpuE9ELNS1_3repE0EEENS1_30default_config_static_selectorELNS0_4arch9wavefront6targetE1EEEvT1_,"axG",@progbits,_ZN7rocprim17ROCPRIM_400000_NS6detail17trampoline_kernelINS0_14default_configENS1_20scan_config_selectorItEEZZNS1_9scan_implILNS1_25lookback_scan_determinismE0ELb1ELb1ES3_N6thrust23THRUST_200600_302600_NS6detail15normal_iteratorINS9_10device_ptrItEEEESE_t11max_functorItEtEEDaPvRmT3_T4_T5_mT6_P12ihipStream_tbENKUlT_T0_E_clISt17integral_constantIbLb0EEST_IbLb1EEEEDaSP_SQ_EUlSP_E_NS1_11comp_targetILNS1_3genE5ELNS1_11target_archE942ELNS1_3gpuE9ELNS1_3repE0EEENS1_30default_config_static_selectorELNS0_4arch9wavefront6targetE1EEEvT1_,comdat
	.protected	_ZN7rocprim17ROCPRIM_400000_NS6detail17trampoline_kernelINS0_14default_configENS1_20scan_config_selectorItEEZZNS1_9scan_implILNS1_25lookback_scan_determinismE0ELb1ELb1ES3_N6thrust23THRUST_200600_302600_NS6detail15normal_iteratorINS9_10device_ptrItEEEESE_t11max_functorItEtEEDaPvRmT3_T4_T5_mT6_P12ihipStream_tbENKUlT_T0_E_clISt17integral_constantIbLb0EEST_IbLb1EEEEDaSP_SQ_EUlSP_E_NS1_11comp_targetILNS1_3genE5ELNS1_11target_archE942ELNS1_3gpuE9ELNS1_3repE0EEENS1_30default_config_static_selectorELNS0_4arch9wavefront6targetE1EEEvT1_ ; -- Begin function _ZN7rocprim17ROCPRIM_400000_NS6detail17trampoline_kernelINS0_14default_configENS1_20scan_config_selectorItEEZZNS1_9scan_implILNS1_25lookback_scan_determinismE0ELb1ELb1ES3_N6thrust23THRUST_200600_302600_NS6detail15normal_iteratorINS9_10device_ptrItEEEESE_t11max_functorItEtEEDaPvRmT3_T4_T5_mT6_P12ihipStream_tbENKUlT_T0_E_clISt17integral_constantIbLb0EEST_IbLb1EEEEDaSP_SQ_EUlSP_E_NS1_11comp_targetILNS1_3genE5ELNS1_11target_archE942ELNS1_3gpuE9ELNS1_3repE0EEENS1_30default_config_static_selectorELNS0_4arch9wavefront6targetE1EEEvT1_
	.globl	_ZN7rocprim17ROCPRIM_400000_NS6detail17trampoline_kernelINS0_14default_configENS1_20scan_config_selectorItEEZZNS1_9scan_implILNS1_25lookback_scan_determinismE0ELb1ELb1ES3_N6thrust23THRUST_200600_302600_NS6detail15normal_iteratorINS9_10device_ptrItEEEESE_t11max_functorItEtEEDaPvRmT3_T4_T5_mT6_P12ihipStream_tbENKUlT_T0_E_clISt17integral_constantIbLb0EEST_IbLb1EEEEDaSP_SQ_EUlSP_E_NS1_11comp_targetILNS1_3genE5ELNS1_11target_archE942ELNS1_3gpuE9ELNS1_3repE0EEENS1_30default_config_static_selectorELNS0_4arch9wavefront6targetE1EEEvT1_
	.p2align	8
	.type	_ZN7rocprim17ROCPRIM_400000_NS6detail17trampoline_kernelINS0_14default_configENS1_20scan_config_selectorItEEZZNS1_9scan_implILNS1_25lookback_scan_determinismE0ELb1ELb1ES3_N6thrust23THRUST_200600_302600_NS6detail15normal_iteratorINS9_10device_ptrItEEEESE_t11max_functorItEtEEDaPvRmT3_T4_T5_mT6_P12ihipStream_tbENKUlT_T0_E_clISt17integral_constantIbLb0EEST_IbLb1EEEEDaSP_SQ_EUlSP_E_NS1_11comp_targetILNS1_3genE5ELNS1_11target_archE942ELNS1_3gpuE9ELNS1_3repE0EEENS1_30default_config_static_selectorELNS0_4arch9wavefront6targetE1EEEvT1_,@function
_ZN7rocprim17ROCPRIM_400000_NS6detail17trampoline_kernelINS0_14default_configENS1_20scan_config_selectorItEEZZNS1_9scan_implILNS1_25lookback_scan_determinismE0ELb1ELb1ES3_N6thrust23THRUST_200600_302600_NS6detail15normal_iteratorINS9_10device_ptrItEEEESE_t11max_functorItEtEEDaPvRmT3_T4_T5_mT6_P12ihipStream_tbENKUlT_T0_E_clISt17integral_constantIbLb0EEST_IbLb1EEEEDaSP_SQ_EUlSP_E_NS1_11comp_targetILNS1_3genE5ELNS1_11target_archE942ELNS1_3gpuE9ELNS1_3repE0EEENS1_30default_config_static_selectorELNS0_4arch9wavefront6targetE1EEEvT1_: ; @_ZN7rocprim17ROCPRIM_400000_NS6detail17trampoline_kernelINS0_14default_configENS1_20scan_config_selectorItEEZZNS1_9scan_implILNS1_25lookback_scan_determinismE0ELb1ELb1ES3_N6thrust23THRUST_200600_302600_NS6detail15normal_iteratorINS9_10device_ptrItEEEESE_t11max_functorItEtEEDaPvRmT3_T4_T5_mT6_P12ihipStream_tbENKUlT_T0_E_clISt17integral_constantIbLb0EEST_IbLb1EEEEDaSP_SQ_EUlSP_E_NS1_11comp_targetILNS1_3genE5ELNS1_11target_archE942ELNS1_3gpuE9ELNS1_3repE0EEENS1_30default_config_static_selectorELNS0_4arch9wavefront6targetE1EEEvT1_
; %bb.0:
	.section	.rodata,"a",@progbits
	.p2align	6, 0x0
	.amdhsa_kernel _ZN7rocprim17ROCPRIM_400000_NS6detail17trampoline_kernelINS0_14default_configENS1_20scan_config_selectorItEEZZNS1_9scan_implILNS1_25lookback_scan_determinismE0ELb1ELb1ES3_N6thrust23THRUST_200600_302600_NS6detail15normal_iteratorINS9_10device_ptrItEEEESE_t11max_functorItEtEEDaPvRmT3_T4_T5_mT6_P12ihipStream_tbENKUlT_T0_E_clISt17integral_constantIbLb0EEST_IbLb1EEEEDaSP_SQ_EUlSP_E_NS1_11comp_targetILNS1_3genE5ELNS1_11target_archE942ELNS1_3gpuE9ELNS1_3repE0EEENS1_30default_config_static_selectorELNS0_4arch9wavefront6targetE1EEEvT1_
		.amdhsa_group_segment_fixed_size 0
		.amdhsa_private_segment_fixed_size 0
		.amdhsa_kernarg_size 96
		.amdhsa_user_sgpr_count 6
		.amdhsa_user_sgpr_private_segment_buffer 1
		.amdhsa_user_sgpr_dispatch_ptr 0
		.amdhsa_user_sgpr_queue_ptr 0
		.amdhsa_user_sgpr_kernarg_segment_ptr 1
		.amdhsa_user_sgpr_dispatch_id 0
		.amdhsa_user_sgpr_flat_scratch_init 0
		.amdhsa_user_sgpr_kernarg_preload_length 0
		.amdhsa_user_sgpr_kernarg_preload_offset 0
		.amdhsa_user_sgpr_private_segment_size 0
		.amdhsa_uses_dynamic_stack 0
		.amdhsa_system_sgpr_private_segment_wavefront_offset 0
		.amdhsa_system_sgpr_workgroup_id_x 1
		.amdhsa_system_sgpr_workgroup_id_y 0
		.amdhsa_system_sgpr_workgroup_id_z 0
		.amdhsa_system_sgpr_workgroup_info 0
		.amdhsa_system_vgpr_workitem_id 0
		.amdhsa_next_free_vgpr 1
		.amdhsa_next_free_sgpr 0
		.amdhsa_accum_offset 4
		.amdhsa_reserve_vcc 0
		.amdhsa_reserve_flat_scratch 0
		.amdhsa_float_round_mode_32 0
		.amdhsa_float_round_mode_16_64 0
		.amdhsa_float_denorm_mode_32 3
		.amdhsa_float_denorm_mode_16_64 3
		.amdhsa_dx10_clamp 1
		.amdhsa_ieee_mode 1
		.amdhsa_fp16_overflow 0
		.amdhsa_tg_split 0
		.amdhsa_exception_fp_ieee_invalid_op 0
		.amdhsa_exception_fp_denorm_src 0
		.amdhsa_exception_fp_ieee_div_zero 0
		.amdhsa_exception_fp_ieee_overflow 0
		.amdhsa_exception_fp_ieee_underflow 0
		.amdhsa_exception_fp_ieee_inexact 0
		.amdhsa_exception_int_div_zero 0
	.end_amdhsa_kernel
	.section	.text._ZN7rocprim17ROCPRIM_400000_NS6detail17trampoline_kernelINS0_14default_configENS1_20scan_config_selectorItEEZZNS1_9scan_implILNS1_25lookback_scan_determinismE0ELb1ELb1ES3_N6thrust23THRUST_200600_302600_NS6detail15normal_iteratorINS9_10device_ptrItEEEESE_t11max_functorItEtEEDaPvRmT3_T4_T5_mT6_P12ihipStream_tbENKUlT_T0_E_clISt17integral_constantIbLb0EEST_IbLb1EEEEDaSP_SQ_EUlSP_E_NS1_11comp_targetILNS1_3genE5ELNS1_11target_archE942ELNS1_3gpuE9ELNS1_3repE0EEENS1_30default_config_static_selectorELNS0_4arch9wavefront6targetE1EEEvT1_,"axG",@progbits,_ZN7rocprim17ROCPRIM_400000_NS6detail17trampoline_kernelINS0_14default_configENS1_20scan_config_selectorItEEZZNS1_9scan_implILNS1_25lookback_scan_determinismE0ELb1ELb1ES3_N6thrust23THRUST_200600_302600_NS6detail15normal_iteratorINS9_10device_ptrItEEEESE_t11max_functorItEtEEDaPvRmT3_T4_T5_mT6_P12ihipStream_tbENKUlT_T0_E_clISt17integral_constantIbLb0EEST_IbLb1EEEEDaSP_SQ_EUlSP_E_NS1_11comp_targetILNS1_3genE5ELNS1_11target_archE942ELNS1_3gpuE9ELNS1_3repE0EEENS1_30default_config_static_selectorELNS0_4arch9wavefront6targetE1EEEvT1_,comdat
.Lfunc_end2541:
	.size	_ZN7rocprim17ROCPRIM_400000_NS6detail17trampoline_kernelINS0_14default_configENS1_20scan_config_selectorItEEZZNS1_9scan_implILNS1_25lookback_scan_determinismE0ELb1ELb1ES3_N6thrust23THRUST_200600_302600_NS6detail15normal_iteratorINS9_10device_ptrItEEEESE_t11max_functorItEtEEDaPvRmT3_T4_T5_mT6_P12ihipStream_tbENKUlT_T0_E_clISt17integral_constantIbLb0EEST_IbLb1EEEEDaSP_SQ_EUlSP_E_NS1_11comp_targetILNS1_3genE5ELNS1_11target_archE942ELNS1_3gpuE9ELNS1_3repE0EEENS1_30default_config_static_selectorELNS0_4arch9wavefront6targetE1EEEvT1_, .Lfunc_end2541-_ZN7rocprim17ROCPRIM_400000_NS6detail17trampoline_kernelINS0_14default_configENS1_20scan_config_selectorItEEZZNS1_9scan_implILNS1_25lookback_scan_determinismE0ELb1ELb1ES3_N6thrust23THRUST_200600_302600_NS6detail15normal_iteratorINS9_10device_ptrItEEEESE_t11max_functorItEtEEDaPvRmT3_T4_T5_mT6_P12ihipStream_tbENKUlT_T0_E_clISt17integral_constantIbLb0EEST_IbLb1EEEEDaSP_SQ_EUlSP_E_NS1_11comp_targetILNS1_3genE5ELNS1_11target_archE942ELNS1_3gpuE9ELNS1_3repE0EEENS1_30default_config_static_selectorELNS0_4arch9wavefront6targetE1EEEvT1_
                                        ; -- End function
	.section	.AMDGPU.csdata,"",@progbits
; Kernel info:
; codeLenInByte = 0
; NumSgprs: 4
; NumVgprs: 0
; NumAgprs: 0
; TotalNumVgprs: 0
; ScratchSize: 0
; MemoryBound: 0
; FloatMode: 240
; IeeeMode: 1
; LDSByteSize: 0 bytes/workgroup (compile time only)
; SGPRBlocks: 0
; VGPRBlocks: 0
; NumSGPRsForWavesPerEU: 4
; NumVGPRsForWavesPerEU: 1
; AccumOffset: 4
; Occupancy: 8
; WaveLimiterHint : 0
; COMPUTE_PGM_RSRC2:SCRATCH_EN: 0
; COMPUTE_PGM_RSRC2:USER_SGPR: 6
; COMPUTE_PGM_RSRC2:TRAP_HANDLER: 0
; COMPUTE_PGM_RSRC2:TGID_X_EN: 1
; COMPUTE_PGM_RSRC2:TGID_Y_EN: 0
; COMPUTE_PGM_RSRC2:TGID_Z_EN: 0
; COMPUTE_PGM_RSRC2:TIDIG_COMP_CNT: 0
; COMPUTE_PGM_RSRC3_GFX90A:ACCUM_OFFSET: 0
; COMPUTE_PGM_RSRC3_GFX90A:TG_SPLIT: 0
	.section	.text._ZN7rocprim17ROCPRIM_400000_NS6detail17trampoline_kernelINS0_14default_configENS1_20scan_config_selectorItEEZZNS1_9scan_implILNS1_25lookback_scan_determinismE0ELb1ELb1ES3_N6thrust23THRUST_200600_302600_NS6detail15normal_iteratorINS9_10device_ptrItEEEESE_t11max_functorItEtEEDaPvRmT3_T4_T5_mT6_P12ihipStream_tbENKUlT_T0_E_clISt17integral_constantIbLb0EEST_IbLb1EEEEDaSP_SQ_EUlSP_E_NS1_11comp_targetILNS1_3genE4ELNS1_11target_archE910ELNS1_3gpuE8ELNS1_3repE0EEENS1_30default_config_static_selectorELNS0_4arch9wavefront6targetE1EEEvT1_,"axG",@progbits,_ZN7rocprim17ROCPRIM_400000_NS6detail17trampoline_kernelINS0_14default_configENS1_20scan_config_selectorItEEZZNS1_9scan_implILNS1_25lookback_scan_determinismE0ELb1ELb1ES3_N6thrust23THRUST_200600_302600_NS6detail15normal_iteratorINS9_10device_ptrItEEEESE_t11max_functorItEtEEDaPvRmT3_T4_T5_mT6_P12ihipStream_tbENKUlT_T0_E_clISt17integral_constantIbLb0EEST_IbLb1EEEEDaSP_SQ_EUlSP_E_NS1_11comp_targetILNS1_3genE4ELNS1_11target_archE910ELNS1_3gpuE8ELNS1_3repE0EEENS1_30default_config_static_selectorELNS0_4arch9wavefront6targetE1EEEvT1_,comdat
	.protected	_ZN7rocprim17ROCPRIM_400000_NS6detail17trampoline_kernelINS0_14default_configENS1_20scan_config_selectorItEEZZNS1_9scan_implILNS1_25lookback_scan_determinismE0ELb1ELb1ES3_N6thrust23THRUST_200600_302600_NS6detail15normal_iteratorINS9_10device_ptrItEEEESE_t11max_functorItEtEEDaPvRmT3_T4_T5_mT6_P12ihipStream_tbENKUlT_T0_E_clISt17integral_constantIbLb0EEST_IbLb1EEEEDaSP_SQ_EUlSP_E_NS1_11comp_targetILNS1_3genE4ELNS1_11target_archE910ELNS1_3gpuE8ELNS1_3repE0EEENS1_30default_config_static_selectorELNS0_4arch9wavefront6targetE1EEEvT1_ ; -- Begin function _ZN7rocprim17ROCPRIM_400000_NS6detail17trampoline_kernelINS0_14default_configENS1_20scan_config_selectorItEEZZNS1_9scan_implILNS1_25lookback_scan_determinismE0ELb1ELb1ES3_N6thrust23THRUST_200600_302600_NS6detail15normal_iteratorINS9_10device_ptrItEEEESE_t11max_functorItEtEEDaPvRmT3_T4_T5_mT6_P12ihipStream_tbENKUlT_T0_E_clISt17integral_constantIbLb0EEST_IbLb1EEEEDaSP_SQ_EUlSP_E_NS1_11comp_targetILNS1_3genE4ELNS1_11target_archE910ELNS1_3gpuE8ELNS1_3repE0EEENS1_30default_config_static_selectorELNS0_4arch9wavefront6targetE1EEEvT1_
	.globl	_ZN7rocprim17ROCPRIM_400000_NS6detail17trampoline_kernelINS0_14default_configENS1_20scan_config_selectorItEEZZNS1_9scan_implILNS1_25lookback_scan_determinismE0ELb1ELb1ES3_N6thrust23THRUST_200600_302600_NS6detail15normal_iteratorINS9_10device_ptrItEEEESE_t11max_functorItEtEEDaPvRmT3_T4_T5_mT6_P12ihipStream_tbENKUlT_T0_E_clISt17integral_constantIbLb0EEST_IbLb1EEEEDaSP_SQ_EUlSP_E_NS1_11comp_targetILNS1_3genE4ELNS1_11target_archE910ELNS1_3gpuE8ELNS1_3repE0EEENS1_30default_config_static_selectorELNS0_4arch9wavefront6targetE1EEEvT1_
	.p2align	8
	.type	_ZN7rocprim17ROCPRIM_400000_NS6detail17trampoline_kernelINS0_14default_configENS1_20scan_config_selectorItEEZZNS1_9scan_implILNS1_25lookback_scan_determinismE0ELb1ELb1ES3_N6thrust23THRUST_200600_302600_NS6detail15normal_iteratorINS9_10device_ptrItEEEESE_t11max_functorItEtEEDaPvRmT3_T4_T5_mT6_P12ihipStream_tbENKUlT_T0_E_clISt17integral_constantIbLb0EEST_IbLb1EEEEDaSP_SQ_EUlSP_E_NS1_11comp_targetILNS1_3genE4ELNS1_11target_archE910ELNS1_3gpuE8ELNS1_3repE0EEENS1_30default_config_static_selectorELNS0_4arch9wavefront6targetE1EEEvT1_,@function
_ZN7rocprim17ROCPRIM_400000_NS6detail17trampoline_kernelINS0_14default_configENS1_20scan_config_selectorItEEZZNS1_9scan_implILNS1_25lookback_scan_determinismE0ELb1ELb1ES3_N6thrust23THRUST_200600_302600_NS6detail15normal_iteratorINS9_10device_ptrItEEEESE_t11max_functorItEtEEDaPvRmT3_T4_T5_mT6_P12ihipStream_tbENKUlT_T0_E_clISt17integral_constantIbLb0EEST_IbLb1EEEEDaSP_SQ_EUlSP_E_NS1_11comp_targetILNS1_3genE4ELNS1_11target_archE910ELNS1_3gpuE8ELNS1_3repE0EEENS1_30default_config_static_selectorELNS0_4arch9wavefront6targetE1EEEvT1_: ; @_ZN7rocprim17ROCPRIM_400000_NS6detail17trampoline_kernelINS0_14default_configENS1_20scan_config_selectorItEEZZNS1_9scan_implILNS1_25lookback_scan_determinismE0ELb1ELb1ES3_N6thrust23THRUST_200600_302600_NS6detail15normal_iteratorINS9_10device_ptrItEEEESE_t11max_functorItEtEEDaPvRmT3_T4_T5_mT6_P12ihipStream_tbENKUlT_T0_E_clISt17integral_constantIbLb0EEST_IbLb1EEEEDaSP_SQ_EUlSP_E_NS1_11comp_targetILNS1_3genE4ELNS1_11target_archE910ELNS1_3gpuE8ELNS1_3repE0EEENS1_30default_config_static_selectorELNS0_4arch9wavefront6targetE1EEEvT1_
; %bb.0:
	s_load_dword s35, s[4:5], 0x20
	s_load_dwordx2 s[28:29], s[4:5], 0x28
	v_cmp_eq_u32_e64 s[0:1], 0, v0
	s_and_saveexec_b64 s[2:3], s[0:1]
	s_cbranch_execz .LBB2542_4
; %bb.1:
	s_mov_b64 s[8:9], exec
	v_mbcnt_lo_u32_b32 v1, s8, 0
	v_mbcnt_hi_u32_b32 v1, s9, v1
	v_cmp_eq_u32_e32 vcc, 0, v1
                                        ; implicit-def: $vgpr2
	s_and_saveexec_b64 s[6:7], vcc
	s_cbranch_execz .LBB2542_3
; %bb.2:
	s_load_dwordx2 s[10:11], s[4:5], 0x58
	s_bcnt1_i32_b64 s8, s[8:9]
	v_mov_b32_e32 v2, 0
	v_mov_b32_e32 v3, s8
	s_waitcnt lgkmcnt(0)
	global_atomic_add v2, v2, v3, s[10:11] glc
.LBB2542_3:
	s_or_b64 exec, exec, s[6:7]
	s_waitcnt vmcnt(0)
	v_readfirstlane_b32 s6, v2
	v_add_u32_e32 v1, s6, v1
	v_mov_b32_e32 v2, 0
	ds_write_b32 v2, v1
.LBB2542_4:
	s_or_b64 exec, exec, s[2:3]
	s_load_dwordx8 s[20:27], s[4:5], 0x0
	s_load_dword s2, s[4:5], 0x30
	s_load_dwordx8 s[12:19], s[4:5], 0x38
	v_mov_b32_e32 v1, 0
	s_waitcnt lgkmcnt(0)
	; wave barrier
	s_waitcnt lgkmcnt(0)
	ds_read_b32 v1, v1
	s_lshl_b64 s[22:23], s[22:23], 1
	s_add_u32 s36, s20, s22
	s_addc_u32 s37, s21, s23
	s_add_i32 s2, s2, -1
	s_mul_i32 s3, s2, 0x600
	s_sub_u32 s33, s26, s3
	s_waitcnt lgkmcnt(0)
	v_readfirstlane_b32 s38, v1
	s_subb_u32 s34, s27, 0
	s_mul_i32 s4, s38, 0x600
	s_mov_b32 s5, 0
	s_cmp_lg_u32 s38, s2
	s_cselect_b64 s[20:21], -1, 0
	s_lshl_b64 s[26:27], s[4:5], 1
	s_add_u32 s4, s36, s26
	s_addc_u32 s5, s37, s27
	s_mov_b64 s[2:3], -1
	s_and_b64 vcc, exec, s[20:21]
	v_lshlrev_b32_e32 v20, 1, v0
	s_waitcnt lgkmcnt(0)
	; wave barrier
	s_cbranch_vccz .LBB2542_6
; %bb.5:
	v_mov_b32_e32 v1, s5
	v_add_co_u32_e32 v2, vcc, s4, v20
	v_addc_co_u32_e32 v3, vcc, 0, v1, vcc
	flat_load_ushort v1, v[2:3]
	flat_load_ushort v4, v[2:3] offset:128
	flat_load_ushort v5, v[2:3] offset:256
	;; [unrolled: 1-line block ×23, first 2 shown]
	s_mov_b64 s[2:3], 0
	s_waitcnt vmcnt(0) lgkmcnt(0)
	ds_write_b16 v20, v1
	ds_write_b16 v20, v4 offset:128
	ds_write_b16 v20, v5 offset:256
	ds_write_b16 v20, v6 offset:384
	ds_write_b16 v20, v7 offset:512
	ds_write_b16 v20, v8 offset:640
	ds_write_b16 v20, v9 offset:768
	ds_write_b16 v20, v10 offset:896
	ds_write_b16 v20, v11 offset:1024
	ds_write_b16 v20, v12 offset:1152
	ds_write_b16 v20, v13 offset:1280
	ds_write_b16 v20, v14 offset:1408
	ds_write_b16 v20, v15 offset:1536
	ds_write_b16 v20, v16 offset:1664
	ds_write_b16 v20, v17 offset:1792
	ds_write_b16 v20, v18 offset:1920
	ds_write_b16 v20, v19 offset:2048
	ds_write_b16 v20, v21 offset:2176
	ds_write_b16 v20, v22 offset:2304
	ds_write_b16 v20, v23 offset:2432
	ds_write_b16 v20, v24 offset:2560
	ds_write_b16 v20, v25 offset:2688
	ds_write_b16 v20, v26 offset:2816
	ds_write_b16 v20, v27 offset:2944
	s_waitcnt lgkmcnt(0)
	; wave barrier
.LBB2542_6:
	s_andn2_b64 vcc, exec, s[2:3]
	v_cmp_gt_u32_e64 s[2:3], s33, v0
	s_cbranch_vccnz .LBB2542_56
; %bb.7:
	v_pk_mov_b32 v[2:3], s[4:5], s[4:5] op_sel:[0,1]
	flat_load_ushort v1, v[2:3]
	s_waitcnt vmcnt(0) lgkmcnt(0)
	v_mov_b32_e32 v2, v1
	s_and_saveexec_b64 s[6:7], s[2:3]
	s_cbranch_execz .LBB2542_9
; %bb.8:
	v_mov_b32_e32 v3, s5
	v_add_co_u32_e32 v2, vcc, s4, v20
	v_addc_co_u32_e32 v3, vcc, 0, v3, vcc
	flat_load_ushort v2, v[2:3]
.LBB2542_9:
	s_or_b64 exec, exec, s[6:7]
	v_or_b32_e32 v3, 64, v0
	v_cmp_gt_u32_e32 vcc, s33, v3
	v_mov_b32_e32 v3, v1
	s_and_saveexec_b64 s[2:3], vcc
	s_cbranch_execz .LBB2542_11
; %bb.10:
	v_mov_b32_e32 v3, s5
	v_add_co_u32_e32 v4, vcc, s4, v20
	v_addc_co_u32_e32 v5, vcc, 0, v3, vcc
	flat_load_ushort v3, v[4:5] offset:128
.LBB2542_11:
	s_or_b64 exec, exec, s[2:3]
	v_or_b32_e32 v4, 0x80, v0
	v_cmp_gt_u32_e32 vcc, s33, v4
	v_mov_b32_e32 v4, v1
	s_and_saveexec_b64 s[2:3], vcc
	s_cbranch_execz .LBB2542_13
; %bb.12:
	v_mov_b32_e32 v5, s5
	v_add_co_u32_e32 v4, vcc, s4, v20
	v_addc_co_u32_e32 v5, vcc, 0, v5, vcc
	flat_load_ushort v4, v[4:5] offset:256
.LBB2542_13:
	;; [unrolled: 12-line block ×22, first 2 shown]
	s_or_b64 exec, exec, s[2:3]
	v_or_b32_e32 v26, 0x5c0, v0
	v_cmp_gt_u32_e32 vcc, s33, v26
	s_and_saveexec_b64 s[2:3], vcc
	s_cbranch_execz .LBB2542_55
; %bb.54:
	v_mov_b32_e32 v1, s5
	v_add_co_u32_e32 v26, vcc, s4, v20
	v_addc_co_u32_e32 v27, vcc, 0, v1, vcc
	flat_load_ushort v1, v[26:27] offset:2944
.LBB2542_55:
	s_or_b64 exec, exec, s[2:3]
	s_waitcnt vmcnt(0) lgkmcnt(0)
	ds_write_b16 v20, v2
	ds_write_b16 v20, v3 offset:128
	ds_write_b16 v20, v4 offset:256
	;; [unrolled: 1-line block ×23, first 2 shown]
	s_waitcnt lgkmcnt(0)
	; wave barrier
.LBB2542_56:
	v_mul_u32_u24_e32 v21, 24, v0
	v_lshlrev_b32_e32 v22, 1, v21
	s_waitcnt lgkmcnt(0)
	ds_read_b128 v[10:13], v22
	ds_read_b128 v[6:9], v22 offset:16
	ds_read_b128 v[2:5], v22 offset:32
	s_cmp_lg_u32 s38, 0
	v_mbcnt_lo_u32_b32 v33, -1, 0
	s_waitcnt lgkmcnt(2)
	v_lshrrev_b32_e32 v31, 16, v11
	v_max_u16_sdwa v14, v10, v10 dst_sel:DWORD dst_unused:UNUSED_PAD src0_sel:DWORD src1_sel:WORD_1
	v_lshrrev_b32_e32 v30, 16, v12
	v_lshrrev_b32_e32 v29, 16, v13
	s_waitcnt lgkmcnt(1)
	v_lshrrev_b32_e32 v28, 16, v6
	v_lshrrev_b32_e32 v27, 16, v7
	;; [unrolled: 1-line block ×4, first 2 shown]
	s_waitcnt lgkmcnt(0)
	v_lshrrev_b32_e32 v24, 16, v2
	v_lshrrev_b32_e32 v23, 16, v3
	;; [unrolled: 1-line block ×4, first 2 shown]
	v_max3_u16 v34, v14, v11, v31
	v_cmp_eq_u32_e32 vcc, 63, v0
	s_waitcnt lgkmcnt(0)
	; wave barrier
	s_cbranch_scc0 .LBB2542_79
; %bb.57:
	v_max3_u16 v14, v34, v12, v30
	v_max3_u16 v14, v14, v13, v29
	;; [unrolled: 1-line block ×10, first 2 shown]
	v_mbcnt_hi_u32_b32 v15, -1, v33
	v_and_b32_e32 v17, 0xffff, v14
	v_and_b32_e32 v16, 15, v15
	v_cmp_eq_u32_e64 s[2:3], 0, v16
	v_mov_b32_dpp v17, v17 row_shr:1 row_mask:0xf bank_mask:0xf
	v_max_u16_e32 v17, v17, v14
	v_cndmask_b32_e64 v14, v17, v14, s[2:3]
	v_and_b32_e32 v17, 0xffff, v14
	v_cmp_lt_u32_e64 s[2:3], 1, v16
	s_nop 0
	v_mov_b32_dpp v17, v17 row_shr:2 row_mask:0xf bank_mask:0xf
	v_max_u16_e32 v17, v17, v14
	v_cndmask_b32_e64 v14, v14, v17, s[2:3]
	v_and_b32_e32 v17, 0xffff, v14
	v_cmp_lt_u32_e64 s[2:3], 3, v16
	s_nop 0
	;; [unrolled: 6-line block ×3, first 2 shown]
	v_mov_b32_dpp v17, v17 row_shr:8 row_mask:0xf bank_mask:0xf
	v_max_u16_e32 v17, v17, v14
	v_cndmask_b32_e64 v14, v14, v17, s[2:3]
	v_and_b32_e32 v16, 0xffff, v14
	v_and_b32_e32 v17, 16, v15
	v_cmp_eq_u32_e64 s[2:3], 0, v17
	v_mov_b32_dpp v16, v16 row_bcast:15 row_mask:0xf bank_mask:0xf
	v_max_u16_e32 v16, v16, v14
	v_cndmask_b32_e64 v14, v16, v14, s[2:3]
	v_and_b32_e32 v16, 0xffff, v14
	v_cmp_lt_u32_e64 s[2:3], 31, v15
	s_nop 0
	v_mov_b32_dpp v16, v16 row_bcast:31 row_mask:0xf bank_mask:0xf
	v_max_u16_e32 v16, v16, v14
	v_cndmask_b32_e64 v14, v14, v16, s[2:3]
	s_and_saveexec_b64 s[2:3], vcc
	s_cbranch_execz .LBB2542_59
; %bb.58:
	v_mov_b32_e32 v16, 0
	ds_write_b16 v16, v14
.LBB2542_59:
	s_or_b64 exec, exec, s[2:3]
	v_add_u32_e32 v16, -1, v15
	v_and_b32_e32 v17, 64, v15
	v_cmp_lt_i32_e32 vcc, v16, v17
	v_cndmask_b32_e32 v16, v16, v15, vcc
	v_and_b32_e32 v14, 0xffff, v14
	v_lshlrev_b32_e32 v16, 2, v16
	ds_bpermute_b32 v35, v16, v14
	v_cmp_gt_u32_e32 vcc, 64, v0
	s_waitcnt lgkmcnt(0)
	; wave barrier
	s_waitcnt lgkmcnt(0)
	s_and_saveexec_b64 s[30:31], vcc
	s_cbranch_execz .LBB2542_78
; %bb.60:
	v_mov_b32_e32 v17, 0
	ds_read_u16 v36, v17
	s_mov_b32 s7, 0
	v_cmp_eq_u32_e64 s[2:3], 0, v15
	s_and_saveexec_b64 s[4:5], s[2:3]
	s_cbranch_execz .LBB2542_62
; %bb.61:
	s_add_i32 s6, s38, 64
	s_lshl_b64 s[6:7], s[6:7], 2
	s_add_u32 s6, s28, s6
	s_waitcnt lgkmcnt(0)
	v_or_b32_e32 v14, 0x10000, v36
	s_addc_u32 s7, s29, s7
	global_store_dword v17, v14, s[6:7]
.LBB2542_62:
	s_or_b64 exec, exec, s[4:5]
	v_xad_u32 v14, v15, -1, s38
	v_add_u32_e32 v16, 64, v14
	v_lshlrev_b64 v[18:19], 2, v[16:17]
	v_mov_b32_e32 v16, s29
	v_add_co_u32_e32 v18, vcc, s28, v18
	v_addc_co_u32_e32 v19, vcc, v16, v19, vcc
	global_load_dword v49, v[18:19], off glc
	s_waitcnt vmcnt(0)
	v_lshrrev_b32_e32 v38, 16, v49
	v_cmp_eq_u16_sdwa s[6:7], v38, v17 src0_sel:BYTE_0 src1_sel:DWORD
	s_and_saveexec_b64 s[4:5], s[6:7]
	s_cbranch_execz .LBB2542_66
; %bb.63:
	s_mov_b64 s[6:7], 0
	v_mov_b32_e32 v16, 0
.LBB2542_64:                            ; =>This Inner Loop Header: Depth=1
	global_load_dword v49, v[18:19], off glc
	s_waitcnt vmcnt(0)
	v_lshrrev_b32_e32 v38, 16, v49
	v_cmp_ne_u16_sdwa s[8:9], v38, v16 src0_sel:BYTE_0 src1_sel:DWORD
	s_or_b64 s[6:7], s[8:9], s[6:7]
	s_andn2_b64 exec, exec, s[6:7]
	s_cbranch_execnz .LBB2542_64
; %bb.65:
	s_or_b64 exec, exec, s[6:7]
.LBB2542_66:
	s_or_b64 exec, exec, s[4:5]
	v_and_b32_e32 v39, 63, v15
	v_cmp_ne_u32_e32 vcc, 63, v39
	v_mov_b32_e32 v37, 2
	v_addc_co_u32_e32 v40, vcc, 0, v15, vcc
	v_cmp_eq_u16_sdwa s[4:5], v38, v37 src0_sel:BYTE_0 src1_sel:DWORD
	v_lshlrev_b64 v[16:17], v15, -1
	v_and_b32_e32 v41, 0xffff, v49
	v_lshlrev_b32_e32 v40, 2, v40
	v_and_b32_e32 v18, s5, v17
	ds_bpermute_b32 v42, v40, v41
	v_or_b32_e32 v18, 0x80000000, v18
	v_and_b32_e32 v19, s4, v16
	v_ffbl_b32_e32 v18, v18
	v_add_u32_e32 v18, 32, v18
	v_ffbl_b32_e32 v19, v19
	v_min_u32_e32 v18, v19, v18
	s_waitcnt lgkmcnt(0)
	v_max_u16_e32 v19, v42, v49
	v_cmp_lt_u32_e32 vcc, v39, v18
	v_cmp_gt_u32_e64 s[4:5], 62, v39
	v_cndmask_b32_e32 v43, v41, v19, vcc
	v_cndmask_b32_e64 v41, 0, 1, s[4:5]
	v_lshlrev_b32_e32 v41, 1, v41
	v_add_lshl_u32 v41, v41, v15, 2
	ds_bpermute_b32 v44, v41, v43
	v_cndmask_b32_e32 v19, v49, v19, vcc
	v_add_u32_e32 v42, 2, v39
	v_cmp_gt_u32_e64 s[4:5], v42, v18
	v_cmp_gt_u32_e64 s[6:7], 60, v39
	s_waitcnt lgkmcnt(0)
	v_max_u16_e32 v44, v44, v19
	v_cndmask_b32_e64 v45, v44, v43, s[4:5]
	v_cndmask_b32_e64 v43, 0, 1, s[6:7]
	v_lshlrev_b32_e32 v43, 2, v43
	v_add_lshl_u32 v43, v43, v15, 2
	ds_bpermute_b32 v46, v43, v45
	v_cndmask_b32_e64 v19, v44, v19, s[4:5]
	v_add_u32_e32 v44, 4, v39
	v_cmp_gt_u32_e64 s[4:5], v44, v18
	v_cmp_gt_u32_e64 s[6:7], 56, v39
	s_waitcnt lgkmcnt(0)
	v_max_u16_e32 v52, v46, v19
	v_cndmask_b32_e64 v47, v52, v45, s[4:5]
	v_cndmask_b32_e64 v45, 0, 1, s[6:7]
	v_lshlrev_b32_e32 v45, 3, v45
	v_add_lshl_u32 v45, v45, v15, 2
	ds_bpermute_b32 v48, v45, v47
	v_cndmask_b32_e64 v50, v52, v19, s[4:5]
	v_add_u32_e32 v46, 8, v39
	v_cmp_gt_u32_e64 s[6:7], v46, v18
	v_cmp_gt_u32_e64 s[8:9], 48, v39
	s_waitcnt lgkmcnt(0)
	v_max_u16_e32 v53, v48, v50
	v_cndmask_b32_e64 v51, v53, v47, s[6:7]
	v_cndmask_b32_e64 v47, 0, 1, s[8:9]
	v_lshlrev_b32_e32 v47, 4, v47
	v_add_lshl_u32 v47, v47, v15, 2
	ds_bpermute_b32 v54, v47, v51
	v_cmp_gt_u32_e64 s[10:11], 32, v39
	v_cndmask_b32_e64 v55, v53, v50, s[6:7]
	v_add_u32_e32 v48, 16, v39
	v_cndmask_b32_e64 v50, 0, 1, s[10:11]
	s_waitcnt lgkmcnt(0)
	v_max_u16_e32 v54, v54, v55
	v_cmp_gt_u32_e64 s[8:9], v48, v18
	v_lshlrev_b32_e32 v50, 5, v50
	v_cndmask_b32_e64 v51, v54, v51, s[8:9]
	v_add_lshl_u32 v50, v50, v15, 2
	ds_bpermute_b32 v15, v50, v51
	v_cndmask_b32_e32 v19, v49, v19, vcc
	v_cndmask_b32_e64 v19, v52, v19, s[4:5]
	v_add_u32_e32 v51, 32, v39
	v_cndmask_b32_e64 v55, v54, v55, s[8:9]
	v_cndmask_b32_e64 v19, v53, v19, s[6:7]
	s_waitcnt lgkmcnt(0)
	v_max_u16_e32 v15, v15, v55
	v_cndmask_b32_e64 v19, v54, v19, s[8:9]
	v_cmp_gt_u32_e32 vcc, v51, v18
	v_cndmask_b32_e32 v18, v15, v19, vcc
	v_mov_b32_e32 v15, 0
	s_branch .LBB2542_68
.LBB2542_67:                            ;   in Loop: Header=BB2542_68 Depth=1
	s_or_b64 exec, exec, s[4:5]
	v_cmp_eq_u16_sdwa s[4:5], v38, v37 src0_sel:BYTE_0 src1_sel:DWORD
	v_and_b32_e32 v53, 0xffff, v52
	v_and_b32_e32 v18, s5, v17
	ds_bpermute_b32 v54, v40, v53
	v_or_b32_e32 v18, 0x80000000, v18
	v_and_b32_e32 v19, s4, v16
	v_ffbl_b32_e32 v18, v18
	v_add_u32_e32 v18, 32, v18
	v_ffbl_b32_e32 v19, v19
	v_min_u32_e32 v18, v19, v18
	s_waitcnt lgkmcnt(0)
	v_max_u16_e32 v19, v54, v52
	v_cmp_lt_u32_e32 vcc, v39, v18
	v_cndmask_b32_e32 v53, v53, v19, vcc
	ds_bpermute_b32 v54, v41, v53
	v_cndmask_b32_e32 v19, v52, v19, vcc
	v_cmp_gt_u32_e64 s[4:5], v42, v18
	v_cmp_gt_u32_e64 s[6:7], v46, v18
	v_subrev_u32_e32 v14, 64, v14
	s_waitcnt lgkmcnt(0)
	v_max_u16_e32 v54, v54, v19
	v_cndmask_b32_e64 v53, v54, v53, s[4:5]
	ds_bpermute_b32 v55, v43, v53
	v_cndmask_b32_e64 v19, v54, v19, s[4:5]
	v_cmp_gt_u32_e64 s[4:5], v44, v18
	s_waitcnt lgkmcnt(0)
	v_max_u16_e32 v54, v55, v19
	v_cndmask_b32_e64 v53, v54, v53, s[4:5]
	ds_bpermute_b32 v55, v45, v53
	v_cndmask_b32_e64 v56, v54, v19, s[4:5]
	v_cndmask_b32_e32 v19, v52, v19, vcc
	v_cmp_gt_u32_e32 vcc, v48, v18
	v_cndmask_b32_e64 v19, v54, v19, s[4:5]
	s_waitcnt lgkmcnt(0)
	v_max_u16_e32 v55, v55, v56
	v_cndmask_b32_e64 v53, v55, v53, s[6:7]
	ds_bpermute_b32 v57, v47, v53
	v_cndmask_b32_e64 v52, v55, v56, s[6:7]
	v_cndmask_b32_e64 v19, v55, v19, s[6:7]
	s_waitcnt lgkmcnt(0)
	v_max_u16_e32 v56, v57, v52
	v_cndmask_b32_e32 v53, v56, v53, vcc
	ds_bpermute_b32 v53, v50, v53
	v_cndmask_b32_e32 v52, v56, v52, vcc
	v_cndmask_b32_e32 v19, v56, v19, vcc
	v_cmp_gt_u32_e32 vcc, v51, v18
	s_waitcnt lgkmcnt(0)
	v_max_u16_e32 v52, v53, v52
	v_cndmask_b32_e32 v18, v52, v19, vcc
	v_max_u16_e32 v18, v18, v49
.LBB2542_68:                            ; =>This Loop Header: Depth=1
                                        ;     Child Loop BB2542_71 Depth 2
	v_cmp_ne_u16_sdwa s[4:5], v38, v37 src0_sel:BYTE_0 src1_sel:DWORD
	v_cndmask_b32_e64 v19, 0, 1, s[4:5]
	;;#ASMSTART
	;;#ASMEND
	v_cmp_ne_u32_e32 vcc, 0, v19
	s_cmp_lg_u64 vcc, exec
	v_mov_b32_e32 v49, v18
	s_cbranch_scc1 .LBB2542_73
; %bb.69:                               ;   in Loop: Header=BB2542_68 Depth=1
	v_lshlrev_b64 v[18:19], 2, v[14:15]
	v_mov_b32_e32 v38, s29
	v_add_co_u32_e32 v18, vcc, s28, v18
	v_addc_co_u32_e32 v19, vcc, v38, v19, vcc
	global_load_dword v52, v[18:19], off glc
	s_waitcnt vmcnt(0)
	v_lshrrev_b32_e32 v38, 16, v52
	v_cmp_eq_u16_sdwa s[6:7], v38, v15 src0_sel:BYTE_0 src1_sel:DWORD
	s_and_saveexec_b64 s[4:5], s[6:7]
	s_cbranch_execz .LBB2542_67
; %bb.70:                               ;   in Loop: Header=BB2542_68 Depth=1
	s_mov_b64 s[6:7], 0
.LBB2542_71:                            ;   Parent Loop BB2542_68 Depth=1
                                        ; =>  This Inner Loop Header: Depth=2
	global_load_dword v52, v[18:19], off glc
	s_waitcnt vmcnt(0)
	v_lshrrev_b32_e32 v38, 16, v52
	v_cmp_ne_u16_sdwa s[8:9], v38, v15 src0_sel:BYTE_0 src1_sel:DWORD
	s_or_b64 s[6:7], s[8:9], s[6:7]
	s_andn2_b64 exec, exec, s[6:7]
	s_cbranch_execnz .LBB2542_71
; %bb.72:                               ;   in Loop: Header=BB2542_68 Depth=1
	s_or_b64 exec, exec, s[6:7]
	s_branch .LBB2542_67
.LBB2542_73:                            ;   in Loop: Header=BB2542_68 Depth=1
                                        ; implicit-def: $vgpr18
                                        ; implicit-def: $vgpr38
	s_cbranch_execz .LBB2542_68
; %bb.74:
	s_and_saveexec_b64 s[4:5], s[2:3]
	s_cbranch_execz .LBB2542_76
; %bb.75:
	s_add_i32 s2, s38, 64
	s_mov_b32 s3, 0
	s_lshl_b64 s[2:3], s[2:3], 2
	v_max_u16_e32 v14, v49, v36
	s_add_u32 s2, s28, s2
	v_or_b32_e32 v14, 0x20000, v14
	s_addc_u32 s3, s29, s3
	v_mov_b32_e32 v15, 0
	global_store_dword v15, v14, s[2:3]
.LBB2542_76:
	s_or_b64 exec, exec, s[4:5]
	s_and_b64 exec, exec, s[0:1]
	s_cbranch_execz .LBB2542_78
; %bb.77:
	v_mov_b32_e32 v14, 0
	ds_write_b16 v14, v49
.LBB2542_78:
	s_or_b64 exec, exec, s[30:31]
	v_mov_b32_e32 v14, 0
	s_waitcnt lgkmcnt(0)
	; wave barrier
	s_waitcnt lgkmcnt(0)
	ds_read_u16 v14, v14
	s_waitcnt lgkmcnt(0)
	v_max_u16_e32 v15, v14, v35
	v_cndmask_b32_e64 v15, v15, v14, s[0:1]
	v_max_u16_e32 v14, v15, v10
	v_max_u16_sdwa v16, v14, v10 dst_sel:DWORD dst_unused:UNUSED_PAD src0_sel:DWORD src1_sel:WORD_1
	v_max_u16_e32 v17, v16, v11
	v_max_u16_e32 v18, v17, v31
	;; [unrolled: 1-line block ×21, first 2 shown]
	s_branch .LBB2542_87
.LBB2542_79:
                                        ; implicit-def: $vgpr15
                                        ; implicit-def: $vgpr14
                                        ; implicit-def: $vgpr16
                                        ; implicit-def: $vgpr17
                                        ; implicit-def: $vgpr18
                                        ; implicit-def: $vgpr35
                                        ; implicit-def: $vgpr37
                                        ; implicit-def: $vgpr39
                                        ; implicit-def: $vgpr19
                                        ; implicit-def: $vgpr36
                                        ; implicit-def: $vgpr38
                                        ; implicit-def: $vgpr40
                                        ; implicit-def: $vgpr41
                                        ; implicit-def: $vgpr43
                                        ; implicit-def: $vgpr45
                                        ; implicit-def: $vgpr47
                                        ; implicit-def: $vgpr42
                                        ; implicit-def: $vgpr44
                                        ; implicit-def: $vgpr46
                                        ; implicit-def: $vgpr48
                                        ; implicit-def: $vgpr49
                                        ; implicit-def: $vgpr50
                                        ; implicit-def: $vgpr51
                                        ; implicit-def: $vgpr52
	s_cbranch_execz .LBB2542_87
; %bb.80:
	s_cmp_eq_u64 s[16:17], 0
	v_mov_b32_e32 v52, s35
	s_cbranch_scc1 .LBB2542_82
; %bb.81:
	v_mov_b32_e32 v14, 0
	global_load_ushort v16, v14, s[12:13]
	v_mov_b32_e32 v15, s37
	v_add_co_u32_e64 v14, vcc, -2, s36
	v_addc_co_u32_e32 v15, vcc, -1, v15, vcc
	flat_load_ushort v14, v[14:15]
	s_waitcnt vmcnt(0) lgkmcnt(0)
	v_max_u16_e32 v52, v16, v14
.LBB2542_82:
	v_max3_u16 v14, v34, v12, v30
	v_max3_u16 v14, v14, v13, v29
	;; [unrolled: 1-line block ×10, first 2 shown]
	v_mbcnt_hi_u32_b32 v14, -1, v33
	v_and_b32_e32 v17, 0xffff, v15
	v_and_b32_e32 v16, 15, v14
	v_cmp_eq_u32_e32 vcc, 0, v16
	v_mov_b32_dpp v17, v17 row_shr:1 row_mask:0xf bank_mask:0xf
	v_max_u16_e32 v17, v17, v15
	v_cndmask_b32_e32 v15, v17, v15, vcc
	v_and_b32_e32 v17, 0xffff, v15
	v_cmp_lt_u32_e32 vcc, 1, v16
	s_nop 0
	v_mov_b32_dpp v17, v17 row_shr:2 row_mask:0xf bank_mask:0xf
	v_max_u16_e32 v17, v17, v15
	v_cndmask_b32_e32 v15, v15, v17, vcc
	v_and_b32_e32 v17, 0xffff, v15
	v_cmp_lt_u32_e32 vcc, 3, v16
	s_nop 0
	;; [unrolled: 6-line block ×3, first 2 shown]
	v_mov_b32_dpp v17, v17 row_shr:8 row_mask:0xf bank_mask:0xf
	v_max_u16_e32 v17, v17, v15
	v_cndmask_b32_e32 v15, v15, v17, vcc
	v_and_b32_e32 v16, 0xffff, v15
	v_and_b32_e32 v17, 16, v14
	v_cmp_eq_u32_e32 vcc, 0, v17
	v_mov_b32_dpp v16, v16 row_bcast:15 row_mask:0xf bank_mask:0xf
	v_max_u16_e32 v16, v16, v15
	v_cndmask_b32_e32 v15, v16, v15, vcc
	v_and_b32_e32 v16, 0xffff, v15
	v_cmp_lt_u32_e32 vcc, 31, v14
	s_nop 0
	v_mov_b32_dpp v16, v16 row_bcast:31 row_mask:0xf bank_mask:0xf
	v_max_u16_e32 v16, v16, v15
	v_cndmask_b32_e32 v15, v15, v16, vcc
	v_cmp_eq_u32_e32 vcc, 63, v0
	s_and_saveexec_b64 s[2:3], vcc
	s_cbranch_execz .LBB2542_84
; %bb.83:
	v_mov_b32_e32 v16, 0
	ds_write_b16 v16, v15
.LBB2542_84:
	s_or_b64 exec, exec, s[2:3]
	v_add_u32_e32 v16, -1, v14
	v_and_b32_e32 v17, 64, v14
	v_cmp_lt_i32_e32 vcc, v16, v17
	v_cndmask_b32_e32 v16, v16, v14, vcc
	v_max_u16_e32 v15, v52, v15
	v_lshlrev_b32_e32 v16, 2, v16
	ds_bpermute_b32 v15, v16, v15
	v_cmp_eq_u32_e32 vcc, 0, v14
	s_or_b64 vcc, s[0:1], vcc
	s_waitcnt lgkmcnt(0)
	; wave barrier
	s_waitcnt lgkmcnt(0)
	v_cndmask_b32_e32 v15, v15, v52, vcc
	v_max_u16_e32 v14, v15, v10
	v_max_u16_sdwa v16, v14, v10 dst_sel:DWORD dst_unused:UNUSED_PAD src0_sel:DWORD src1_sel:WORD_1
	v_max_u16_e32 v17, v16, v11
	v_max_u16_e32 v18, v17, v31
	;; [unrolled: 1-line block ×20, first 2 shown]
	s_and_saveexec_b64 s[2:3], s[0:1]
	s_cbranch_execz .LBB2542_86
; %bb.85:
	v_mov_b32_e32 v1, 0
	ds_read_u16 v2, v1
	v_mov_b32_e32 v15, v52
	s_waitcnt lgkmcnt(0)
	v_max_u16_e32 v2, v52, v2
	v_or_b32_e32 v2, 0x20000, v2
	global_store_dword v1, v2, s[28:29] offset:256
.LBB2542_86:
	s_or_b64 exec, exec, s[2:3]
	v_max_u16_e32 v52, v51, v5
.LBB2542_87:
	s_add_u32 s0, s24, s22
	s_addc_u32 s1, s25, s23
	s_add_u32 s2, s0, s26
	s_addc_u32 s3, s1, s27
	s_mov_b64 s[0:1], -1
	s_and_b64 vcc, exec, s[20:21]
	s_waitcnt lgkmcnt(0)
	; wave barrier
	s_cbranch_vccz .LBB2542_89
; %bb.88:
	s_mov_b32 s0, 0x5040100
	v_perm_b32 v5, v39, v37, s0
	v_perm_b32 v4, v35, v18, s0
	;; [unrolled: 1-line block ×4, first 2 shown]
	ds_write_b128 v22, v[2:5]
	v_perm_b32 v5, v47, v45, s0
	v_perm_b32 v4, v43, v41, s0
	;; [unrolled: 1-line block ×4, first 2 shown]
	ds_write_b128 v22, v[2:5] offset:16
	v_perm_b32 v5, v52, v51, s0
	v_perm_b32 v4, v50, v49, s0
	;; [unrolled: 1-line block ×4, first 2 shown]
	ds_write_b128 v22, v[2:5] offset:32
	s_waitcnt lgkmcnt(0)
	; wave barrier
	s_waitcnt lgkmcnt(0)
	ds_read_u16 v1, v20
	ds_read_u16 v4, v20 offset:128
	ds_read_u16 v5, v20 offset:256
	;; [unrolled: 1-line block ×23, first 2 shown]
	v_mov_b32_e32 v3, s3
	v_add_co_u32_e32 v2, vcc, s2, v20
	v_addc_co_u32_e32 v3, vcc, 0, v3, vcc
	s_waitcnt lgkmcnt(14)
	flat_store_short v[2:3], v1
	flat_store_short v[2:3], v4 offset:128
	flat_store_short v[2:3], v5 offset:256
	;; [unrolled: 1-line block ×9, first 2 shown]
	s_waitcnt lgkmcnt(0)
	flat_store_short v[2:3], v13 offset:1280
	flat_store_short v[2:3], v23 offset:1408
	;; [unrolled: 1-line block ×14, first 2 shown]
	s_mov_b64 s[0:1], 0
.LBB2542_89:
	s_andn2_b64 vcc, exec, s[0:1]
	s_cbranch_vccnz .LBB2542_146
; %bb.90:
	s_mov_b32 s0, 0x5040100
	v_perm_b32 v5, v39, v37, s0
	v_perm_b32 v4, v35, v18, s0
	;; [unrolled: 1-line block ×4, first 2 shown]
	ds_write_b128 v22, v[2:5]
	v_perm_b32 v5, v47, v45, s0
	v_perm_b32 v4, v43, v41, s0
	;; [unrolled: 1-line block ×4, first 2 shown]
	ds_write_b128 v22, v[2:5] offset:16
	v_perm_b32 v5, v52, v51, s0
	v_perm_b32 v4, v50, v49, s0
	;; [unrolled: 1-line block ×4, first 2 shown]
	s_movk_i32 s0, 0xffd2
	ds_write_b128 v22, v[2:5] offset:32
	v_mad_i32_i24 v2, v0, s0, v22
	s_waitcnt lgkmcnt(0)
	; wave barrier
	s_waitcnt lgkmcnt(0)
	ds_read_u16 v5, v2
	ds_read_u16 v4, v2 offset:128
	ds_read_u16 v7, v2 offset:256
	;; [unrolled: 1-line block ×23, first 2 shown]
	v_mov_b32_e32 v3, s3
	v_add_co_u32_e32 v2, vcc, s2, v20
	v_addc_co_u32_e32 v3, vcc, 0, v3, vcc
	v_mov_b32_e32 v1, 0
	v_cmp_gt_u32_e32 vcc, s33, v0
	s_and_saveexec_b64 s[0:1], vcc
	s_cbranch_execz .LBB2542_92
; %bb.91:
	s_waitcnt lgkmcnt(0)
	flat_store_short v[2:3], v5
.LBB2542_92:
	s_or_b64 exec, exec, s[0:1]
	v_or_b32_e32 v20, 64, v0
	v_cmp_gt_u32_e32 vcc, s33, v20
	s_and_saveexec_b64 s[0:1], vcc
	s_cbranch_execz .LBB2542_94
; %bb.93:
	s_waitcnt lgkmcnt(0)
	flat_store_short v[2:3], v4 offset:128
.LBB2542_94:
	s_or_b64 exec, exec, s[0:1]
	v_or_b32_e32 v20, 0x80, v0
	v_cmp_gt_u32_e32 vcc, s33, v20
	s_and_saveexec_b64 s[0:1], vcc
	s_cbranch_execz .LBB2542_96
; %bb.95:
	s_waitcnt lgkmcnt(0)
	flat_store_short v[2:3], v7 offset:256
.LBB2542_96:
	;; [unrolled: 9-line block ×23, first 2 shown]
	s_or_b64 exec, exec, s[0:1]
	v_cmp_lt_u64_e64 s[0:1], s[18:19], 2
	s_and_b64 vcc, exec, s[0:1]
	s_cbranch_vccnz .LBB2542_146
; %bb.139:
	s_add_u32 s0, s33, -1
	s_addc_u32 s1, s34, -1
	s_add_u32 s2, 0, 0xaaaa0000
	s_addc_u32 s3, 0, 42
	s_add_i32 s3, s3, 0xaaaaa80
	s_mul_hi_u32 s7, s2, 0xffffffe8
	s_sub_i32 s7, s7, s2
	s_mul_i32 s8, s3, 0xffffffe8
	s_mul_i32 s4, s2, 0xffffffe8
	s_add_i32 s7, s7, s8
	s_mul_hi_u32 s5, s3, s4
	s_mul_i32 s6, s3, s4
	s_mul_i32 s9, s2, s7
	s_mul_hi_u32 s4, s2, s4
	s_mul_hi_u32 s8, s2, s7
	s_add_u32 s4, s4, s9
	s_addc_u32 s8, 0, s8
	s_add_u32 s4, s4, s6
	s_mul_hi_u32 s9, s3, s7
	s_addc_u32 s4, s8, s5
	s_addc_u32 s5, s9, 0
	s_mul_i32 s6, s3, s7
	s_add_u32 s4, s4, s6
	v_mov_b32_e32 v2, s4
	s_addc_u32 s5, 0, s5
	v_add_co_u32_e32 v2, vcc, s2, v2
	s_cmp_lg_u64 vcc, 0
	s_addc_u32 s2, s3, s5
	v_readfirstlane_b32 s5, v2
	s_mul_i32 s4, s0, s2
	s_mul_hi_u32 s6, s0, s5
	s_mul_hi_u32 s3, s0, s2
	s_add_u32 s4, s6, s4
	s_addc_u32 s3, 0, s3
	s_mul_hi_u32 s7, s1, s5
	s_mul_i32 s5, s1, s5
	s_add_u32 s4, s4, s5
	s_mul_hi_u32 s6, s1, s2
	s_addc_u32 s3, s3, s7
	s_addc_u32 s4, s6, 0
	s_mul_i32 s2, s1, s2
	s_add_u32 s2, s3, s2
	s_addc_u32 s3, 0, s4
	s_add_u32 s4, s2, 1
	s_addc_u32 s5, s3, 0
	s_add_u32 s6, s2, 2
	s_mul_i32 s8, s3, 24
	s_mul_hi_u32 s9, s2, 24
	s_addc_u32 s7, s3, 0
	s_add_i32 s9, s9, s8
	s_mul_i32 s8, s2, 24
	v_mov_b32_e32 v2, s8
	v_sub_co_u32_e32 v2, vcc, s0, v2
	s_cmp_lg_u64 vcc, 0
	s_subb_u32 s8, s1, s9
	v_subrev_co_u32_e32 v3, vcc, 24, v2
	s_cmp_lg_u64 vcc, 0
	s_subb_u32 s9, s8, 0
	v_readfirstlane_b32 s10, v3
	s_cmp_gt_u32 s10, 23
	s_cselect_b32 s10, -1, 0
	s_cmp_eq_u32 s9, 0
	s_cselect_b32 s9, s10, -1
	s_cmp_lg_u32 s9, 0
	s_cselect_b32 s4, s6, s4
	v_readfirstlane_b32 s6, v2
	s_cselect_b32 s5, s7, s5
	s_cmp_gt_u32 s6, 23
	s_cselect_b32 s6, -1, 0
	s_cmp_eq_u32 s8, 0
	s_cselect_b32 s6, s6, -1
	s_cmp_lg_u32 s6, 0
	s_cselect_b32 s3, s5, s3
	s_cselect_b32 s2, s4, s2
	v_cmp_eq_u64_e32 vcc, s[2:3], v[0:1]
	s_and_saveexec_b64 s[2:3], vcc
	s_cbranch_execz .LBB2542_146
; %bb.140:
	v_mul_hi_u32_u24_e32 v1, 24, v0
	v_mov_b32_e32 v2, s1
	v_sub_co_u32_e32 v0, vcc, s0, v21
	v_subb_co_u32_e32 v1, vcc, v2, v1, vcc
	v_cmp_lt_i64_e32 vcc, 11, v[0:1]
	s_mov_b64 s[0:1], 0
	s_mov_b64 s[8:9], 0
	;; [unrolled: 1-line block ×4, first 2 shown]
	s_and_saveexec_b64 s[2:3], vcc
	s_xor_b64 s[2:3], exec, s[2:3]
	s_cbranch_execnz .LBB2542_147
; %bb.141:
	s_andn2_saveexec_b64 s[2:3], s[2:3]
	s_cbranch_execnz .LBB2542_192
.LBB2542_142:
	s_or_b64 exec, exec, s[2:3]
	s_and_saveexec_b64 s[2:3], s[8:9]
	s_cbranch_execnz .LBB2542_209
.LBB2542_143:
	s_or_b64 exec, exec, s[2:3]
	s_and_saveexec_b64 s[2:3], s[6:7]
	s_cbranch_execnz .LBB2542_210
.LBB2542_144:
	s_or_b64 exec, exec, s[2:3]
	s_and_saveexec_b64 s[2:3], s[4:5]
	s_xor_b64 s[2:3], exec, s[2:3]
	s_cbranch_execnz .LBB2542_211
.LBB2542_145:
	s_or_b64 exec, exec, s[2:3]
	s_and_b64 exec, exec, s[0:1]
	s_cbranch_execnz .LBB2542_212
.LBB2542_146:
	s_endpgm
.LBB2542_147:
	v_cmp_lt_i64_e32 vcc, 17, v[0:1]
	s_and_saveexec_b64 s[10:11], vcc
	s_xor_b64 s[10:11], exec, s[10:11]
	s_cbranch_execz .LBB2542_169
; %bb.148:
	v_cmp_lt_i64_e32 vcc, 20, v[0:1]
                                        ; implicit-def: $vgpr10
	s_and_saveexec_b64 s[12:13], vcc
	s_xor_b64 s[12:13], exec, s[12:13]
	s_cbranch_execz .LBB2542_158
; %bb.149:
	v_cmp_lt_i64_e32 vcc, 21, v[0:1]
	s_mov_b64 s[16:17], 0
                                        ; implicit-def: $vgpr10
	s_and_saveexec_b64 s[4:5], vcc
	s_xor_b64 s[4:5], exec, s[4:5]
	s_cbranch_execz .LBB2542_155
; %bb.150:
	v_cmp_lt_i64_e32 vcc, 22, v[0:1]
	s_and_saveexec_b64 s[16:17], vcc
	s_xor_b64 s[16:17], exec, s[16:17]
	s_cbranch_execz .LBB2542_152
; %bb.151:
	v_mov_b32_e32 v2, 0
	s_waitcnt lgkmcnt(0)
	global_store_short v2, v29, s[14:15]
                                        ; implicit-def: $vgpr28
.LBB2542_152:
	s_or_saveexec_b64 s[16:17], s[16:17]
	s_mov_b64 s[18:19], 0
	s_xor_b64 exec, exec, s[16:17]
; %bb.153:
	s_mov_b64 s[18:19], exec
; %bb.154:
	s_or_b64 exec, exec, s[16:17]
	s_and_b64 s[16:17], s[18:19], exec
	s_waitcnt lgkmcnt(0)
	v_mov_b32_e32 v10, v28
                                        ; implicit-def: $vgpr11
.LBB2542_155:
	s_andn2_saveexec_b64 s[4:5], s[4:5]
; %bb.156:
	s_mov_b64 s[6:7], exec
                                        ; implicit-def: $vgpr10
; %bb.157:
	s_or_b64 exec, exec, s[4:5]
	s_and_b64 s[4:5], s[16:17], exec
	s_and_b64 s[6:7], s[6:7], exec
                                        ; implicit-def: $vgpr26
                                        ; implicit-def: $vgpr12
                                        ; implicit-def: $vgpr23
.LBB2542_158:
	s_andn2_saveexec_b64 s[12:13], s[12:13]
	s_cbranch_execz .LBB2542_168
; %bb.159:
	v_cmp_lt_i64_e32 vcc, 18, v[0:1]
	s_mov_b64 s[16:17], 0
	s_and_saveexec_b64 s[8:9], vcc
	s_xor_b64 s[8:9], exec, s[8:9]
	s_cbranch_execz .LBB2542_165
; %bb.160:
	v_cmp_lt_i64_e32 vcc, 19, v[0:1]
	s_and_saveexec_b64 s[18:19], vcc
	s_xor_b64 s[18:19], exec, s[18:19]
; %bb.161:
	s_mov_b64 s[16:17], exec
                                        ; implicit-def: $vgpr23
; %bb.162:
	s_andn2_saveexec_b64 s[18:19], s[18:19]
	s_cbranch_execz .LBB2542_164
; %bb.163:
	v_mov_b32_e32 v2, 0
	s_waitcnt lgkmcnt(0)
	global_store_short v2, v23, s[14:15]
                                        ; implicit-def: $vgpr12
.LBB2542_164:
	s_or_b64 exec, exec, s[18:19]
	s_and_b64 s[16:17], s[16:17], exec
                                        ; implicit-def: $vgpr26
.LBB2542_165:
	s_andn2_saveexec_b64 s[8:9], s[8:9]
	s_cbranch_execz .LBB2542_167
; %bb.166:
	v_mov_b32_e32 v2, 0
	s_waitcnt lgkmcnt(0)
	global_store_short v2, v26, s[14:15]
                                        ; implicit-def: $vgpr12
.LBB2542_167:
	s_or_b64 exec, exec, s[8:9]
	s_and_b64 s[8:9], s[16:17], exec
                                        ; implicit-def: $vgpr10
                                        ; implicit-def: $vgpr11
.LBB2542_168:
	s_or_b64 exec, exec, s[12:13]
	s_and_b64 s[4:5], s[4:5], exec
	s_and_b64 s[6:7], s[6:7], exec
	;; [unrolled: 1-line block ×3, first 2 shown]
                                        ; implicit-def: $vgpr18
                                        ; implicit-def: $vgpr13
                                        ; implicit-def: $vgpr14
                                        ; implicit-def: $vgpr24
                                        ; implicit-def: $vgpr27
.LBB2542_169:
	s_andn2_saveexec_b64 s[10:11], s[10:11]
	s_cbranch_execz .LBB2542_191
; %bb.170:
	v_cmp_lt_i64_e32 vcc, 14, v[0:1]
	s_mov_b64 s[12:13], s[4:5]
	s_and_saveexec_b64 s[16:17], vcc
	s_xor_b64 s[16:17], exec, s[16:17]
	s_cbranch_execz .LBB2542_180
; %bb.171:
	v_cmp_lt_i64_e32 vcc, 15, v[0:1]
	s_and_saveexec_b64 s[12:13], vcc
	s_xor_b64 s[12:13], exec, s[12:13]
	s_cbranch_execz .LBB2542_177
; %bb.172:
	v_cmp_lt_i64_e32 vcc, 16, v[0:1]
	s_and_saveexec_b64 s[18:19], vcc
	s_xor_b64 s[18:19], exec, s[18:19]
	s_cbranch_execz .LBB2542_174
; %bb.173:
	v_mov_b32_e32 v2, 0
	s_waitcnt lgkmcnt(0)
	global_store_short v2, v27, s[14:15]
                                        ; implicit-def: $vgpr24
.LBB2542_174:
	s_andn2_saveexec_b64 s[18:19], s[18:19]
	s_cbranch_execz .LBB2542_176
; %bb.175:
	v_mov_b32_e32 v2, 0
	s_waitcnt lgkmcnt(0)
	global_store_short v2, v24, s[14:15]
.LBB2542_176:
	s_or_b64 exec, exec, s[18:19]
                                        ; implicit-def: $vgpr10
.LBB2542_177:
	s_or_saveexec_b64 s[12:13], s[12:13]
	s_mov_b64 s[18:19], s[4:5]
	s_xor_b64 exec, exec, s[12:13]
; %bb.178:
	s_or_b64 s[18:19], s[4:5], exec
; %bb.179:
	s_or_b64 exec, exec, s[12:13]
	s_andn2_b64 s[12:13], s[4:5], exec
	s_and_b64 s[18:19], s[18:19], exec
	s_or_b64 s[12:13], s[12:13], s[18:19]
                                        ; implicit-def: $vgpr18
                                        ; implicit-def: $vgpr13
                                        ; implicit-def: $vgpr14
.LBB2542_180:
	s_or_saveexec_b64 s[16:17], s[16:17]
	s_mov_b64 s[18:19], s[6:7]
                                        ; implicit-def: $vgpr11
	s_xor_b64 exec, exec, s[16:17]
	s_cbranch_execz .LBB2542_190
; %bb.181:
	v_cmp_lt_i64_e32 vcc, 12, v[0:1]
	s_mov_b64 s[20:21], s[6:7]
	s_mov_b64 s[22:23], s[12:13]
                                        ; implicit-def: $vgpr10
                                        ; implicit-def: $vgpr11
	s_and_saveexec_b64 s[18:19], vcc
	s_xor_b64 s[18:19], exec, s[18:19]
	s_cbranch_execz .LBB2542_187
; %bb.182:
	v_cmp_lt_i64_e32 vcc, 13, v[0:1]
	s_mov_b64 s[20:21], s[12:13]
	s_and_saveexec_b64 s[22:23], vcc
	s_xor_b64 s[22:23], exec, s[22:23]
; %bb.183:
	s_or_b64 s[20:21], s[12:13], exec
                                        ; implicit-def: $vgpr13
; %bb.184:
	s_or_saveexec_b64 s[22:23], s[22:23]
	s_mov_b64 s[24:25], s[6:7]
	s_xor_b64 exec, exec, s[22:23]
; %bb.185:
	s_or_b64 s[24:25], s[6:7], exec
                                        ; implicit-def: $vgpr14
; %bb.186:
	s_or_b64 exec, exec, s[22:23]
	s_andn2_b64 s[22:23], s[12:13], exec
	s_and_b64 s[20:21], s[20:21], exec
	s_or_b64 s[22:23], s[22:23], s[20:21]
	s_andn2_b64 s[20:21], s[6:7], exec
	s_and_b64 s[24:25], s[24:25], exec
	s_or_b64 s[20:21], s[20:21], s[24:25]
	s_waitcnt lgkmcnt(0)
	v_mov_b32_e32 v10, v14
	v_mov_b32_e32 v11, v13
                                        ; implicit-def: $vgpr18
.LBB2542_187:
	s_andn2_saveexec_b64 s[18:19], s[18:19]
	s_cbranch_execz .LBB2542_189
; %bb.188:
	s_or_b64 s[20:21], s[20:21], exec
                                        ; implicit-def: $vgpr10
	s_waitcnt lgkmcnt(0)
	v_mov_b32_e32 v11, v18
.LBB2542_189:
	s_or_b64 exec, exec, s[18:19]
	s_andn2_b64 s[12:13], s[12:13], exec
	s_and_b64 s[18:19], s[22:23], exec
	s_or_b64 s[12:13], s[12:13], s[18:19]
	s_andn2_b64 s[18:19], s[6:7], exec
	s_and_b64 s[20:21], s[20:21], exec
	s_or_b64 s[18:19], s[18:19], s[20:21]
.LBB2542_190:
	s_or_b64 exec, exec, s[16:17]
	s_andn2_b64 s[4:5], s[4:5], exec
	s_and_b64 s[12:13], s[12:13], exec
	s_or_b64 s[4:5], s[4:5], s[12:13]
	s_andn2_b64 s[6:7], s[6:7], exec
	s_and_b64 s[12:13], s[18:19], exec
	s_or_b64 s[6:7], s[6:7], s[12:13]
                                        ; implicit-def: $vgpr12
.LBB2542_191:
	s_or_b64 exec, exec, s[10:11]
	s_and_b64 s[4:5], s[4:5], exec
	s_and_b64 s[6:7], s[6:7], exec
	;; [unrolled: 1-line block ×3, first 2 shown]
                                        ; implicit-def: $vgpr17
                                        ; implicit-def: $vgpr15
                                        ; implicit-def: $vgpr16
                                        ; implicit-def: $vgpr25
                                        ; implicit-def: $vgpr22
                                        ; implicit-def: $vgpr19
	s_andn2_saveexec_b64 s[2:3], s[2:3]
	s_cbranch_execz .LBB2542_142
.LBB2542_192:
	v_cmp_lt_i64_e32 vcc, 5, v[0:1]
	s_mov_b64 s[12:13], -1
	s_mov_b64 s[10:11], s[8:9]
	s_mov_b64 s[16:17], s[6:7]
	;; [unrolled: 1-line block ×3, first 2 shown]
                                        ; implicit-def: $vgpr10
                                        ; implicit-def: $vgpr11
                                        ; implicit-def: $vgpr12
	s_and_saveexec_b64 s[0:1], vcc
	s_cbranch_execz .LBB2542_208
; %bb.193:
	v_cmp_lt_i64_e32 vcc, 8, v[0:1]
	s_mov_b64 s[10:11], s[8:9]
                                        ; implicit-def: $vgpr12
	s_and_saveexec_b64 s[12:13], vcc
	s_xor_b64 s[12:13], exec, s[12:13]
	s_cbranch_execz .LBB2542_203
; %bb.194:
	v_cmp_lt_i64_e32 vcc, 9, v[0:1]
	s_and_saveexec_b64 s[10:11], vcc
	s_xor_b64 s[10:11], exec, s[10:11]
	s_cbranch_execz .LBB2542_200
; %bb.195:
	v_cmp_lt_i64_e32 vcc, 10, v[0:1]
	s_and_saveexec_b64 s[16:17], vcc
	s_xor_b64 s[16:17], exec, s[16:17]
; %bb.196:
                                        ; implicit-def: $vgpr22
; %bb.197:
	s_andn2_saveexec_b64 s[16:17], s[16:17]
	s_cbranch_execz .LBB2542_199
; %bb.198:
	s_waitcnt lgkmcnt(0)
	v_mov_b32_e32 v19, v22
.LBB2542_199:
	s_or_b64 exec, exec, s[16:17]
                                        ; implicit-def: $vgpr25
.LBB2542_200:
	s_andn2_saveexec_b64 s[10:11], s[10:11]
	s_cbranch_execz .LBB2542_202
; %bb.201:
	s_waitcnt lgkmcnt(0)
	v_mov_b32_e32 v19, v25
.LBB2542_202:
	s_or_b64 exec, exec, s[10:11]
	s_or_b64 s[10:11], s[8:9], exec
	s_waitcnt lgkmcnt(0)
	v_mov_b32_e32 v12, v19
                                        ; implicit-def: $vgpr17
                                        ; implicit-def: $vgpr15
                                        ; implicit-def: $vgpr16
.LBB2542_203:
	s_or_saveexec_b64 s[12:13], s[12:13]
	s_mov_b64 s[16:17], s[6:7]
	s_mov_b64 s[20:21], s[4:5]
                                        ; implicit-def: $vgpr10
                                        ; implicit-def: $vgpr11
	s_xor_b64 exec, exec, s[12:13]
	s_cbranch_execz .LBB2542_207
; %bb.204:
	v_cmp_lt_i64_e32 vcc, 6, v[0:1]
	s_mov_b64 s[20:21], -1
	s_mov_b64 s[18:19], s[10:11]
	s_mov_b64 s[16:17], s[6:7]
	s_and_saveexec_b64 s[22:23], vcc
; %bb.205:
	v_cmp_lt_i64_e32 vcc, 7, v[0:1]
	s_andn2_b64 s[18:19], s[10:11], exec
	s_and_b64 s[24:25], vcc, exec
	s_xor_b64 s[20:21], exec, -1
	s_or_b64 s[16:17], s[6:7], exec
	s_or_b64 s[18:19], s[18:19], s[24:25]
                                        ; implicit-def: $vgpr17
; %bb.206:
	s_or_b64 exec, exec, s[22:23]
	s_andn2_b64 s[22:23], s[4:5], exec
	s_and_b64 s[20:21], s[20:21], exec
	s_or_b64 s[20:21], s[22:23], s[20:21]
	s_andn2_b64 s[22:23], s[6:7], exec
	s_and_b64 s[16:17], s[16:17], exec
	s_andn2_b64 s[10:11], s[10:11], exec
	s_and_b64 s[18:19], s[18:19], exec
	s_or_b64 s[16:17], s[22:23], s[16:17]
	s_or_b64 s[10:11], s[10:11], s[18:19]
	s_waitcnt lgkmcnt(0)
	v_mov_b32_e32 v10, v17
	v_mov_b32_e32 v11, v15
	v_mov_b32_e32 v12, v16
.LBB2542_207:
	s_or_b64 exec, exec, s[12:13]
	s_andn2_b64 s[18:19], s[4:5], exec
	s_and_b64 s[20:21], s[20:21], exec
	s_or_b64 s[18:19], s[18:19], s[20:21]
	s_andn2_b64 s[20:21], s[6:7], exec
	s_and_b64 s[16:17], s[16:17], exec
	s_or_b64 s[16:17], s[20:21], s[16:17]
	s_andn2_b64 s[20:21], s[8:9], exec
	s_and_b64 s[10:11], s[10:11], exec
	s_xor_b64 s[12:13], exec, -1
	s_or_b64 s[10:11], s[20:21], s[10:11]
.LBB2542_208:
	s_or_b64 exec, exec, s[0:1]
	s_and_b64 s[0:1], s[12:13], exec
	s_andn2_b64 s[4:5], s[4:5], exec
	s_and_b64 s[12:13], s[18:19], exec
	s_or_b64 s[4:5], s[4:5], s[12:13]
	s_andn2_b64 s[6:7], s[6:7], exec
	s_and_b64 s[12:13], s[16:17], exec
	s_andn2_b64 s[8:9], s[8:9], exec
	s_and_b64 s[10:11], s[10:11], exec
	s_or_b64 s[6:7], s[6:7], s[12:13]
	s_or_b64 s[8:9], s[8:9], s[10:11]
	s_or_b64 exec, exec, s[2:3]
	s_and_saveexec_b64 s[2:3], s[8:9]
	s_cbranch_execz .LBB2542_143
.LBB2542_209:
	v_mov_b32_e32 v2, 0
	s_andn2_b64 s[6:7], s[6:7], exec
	s_waitcnt lgkmcnt(0)
	global_store_short v2, v12, s[14:15]
                                        ; implicit-def: $vgpr10
                                        ; implicit-def: $vgpr11
	s_or_b64 exec, exec, s[2:3]
	s_and_saveexec_b64 s[2:3], s[6:7]
	s_cbranch_execz .LBB2542_144
.LBB2542_210:
	v_mov_b32_e32 v2, 0
	s_waitcnt lgkmcnt(0)
	global_store_short v2, v11, s[14:15]
                                        ; implicit-def: $vgpr10
	s_or_b64 exec, exec, s[2:3]
	s_and_saveexec_b64 s[2:3], s[4:5]
	s_xor_b64 s[2:3], exec, s[2:3]
	s_cbranch_execz .LBB2542_145
.LBB2542_211:
	v_mov_b32_e32 v2, 0
	s_waitcnt lgkmcnt(0)
	global_store_short v2, v10, s[14:15]
	s_or_b64 exec, exec, s[2:3]
	s_and_b64 exec, exec, s[0:1]
	s_cbranch_execz .LBB2542_146
.LBB2542_212:
	v_cmp_lt_i64_e32 vcc, 2, v[0:1]
	s_and_saveexec_b64 s[0:1], vcc
	s_xor_b64 s[0:1], exec, s[0:1]
	s_cbranch_execz .LBB2542_222
; %bb.213:
	v_cmp_lt_i64_e32 vcc, 3, v[0:1]
	s_and_saveexec_b64 s[2:3], vcc
	s_xor_b64 s[2:3], exec, s[2:3]
	s_cbranch_execz .LBB2542_219
; %bb.214:
	;; [unrolled: 5-line block ×3, first 2 shown]
	v_mov_b32_e32 v0, 0
	s_waitcnt lgkmcnt(0)
	global_store_short v0, v9, s[14:15]
                                        ; implicit-def: $vgpr6
.LBB2542_216:
	s_andn2_saveexec_b64 s[4:5], s[4:5]
	s_cbranch_execz .LBB2542_218
; %bb.217:
	v_mov_b32_e32 v0, 0
	s_waitcnt lgkmcnt(0)
	global_store_short v0, v6, s[14:15]
.LBB2542_218:
	s_or_b64 exec, exec, s[4:5]
                                        ; implicit-def: $vgpr8
.LBB2542_219:
	s_andn2_saveexec_b64 s[2:3], s[2:3]
	s_cbranch_execz .LBB2542_221
; %bb.220:
	v_mov_b32_e32 v0, 0
	s_waitcnt lgkmcnt(0)
	global_store_short v0, v8, s[14:15]
.LBB2542_221:
	s_or_b64 exec, exec, s[2:3]
                                        ; implicit-def: $vgpr0_vgpr1
                                        ; implicit-def: $vgpr7
                                        ; implicit-def: $vgpr4
                                        ; implicit-def: $vgpr5
.LBB2542_222:
	s_andn2_saveexec_b64 s[0:1], s[0:1]
	s_cbranch_execz .LBB2542_146
; %bb.223:
	v_cmp_lt_i64_e32 vcc, 1, v[0:1]
	s_and_saveexec_b64 s[0:1], vcc
	s_xor_b64 s[0:1], exec, s[0:1]
	s_cbranch_execz .LBB2542_225
; %bb.224:
	v_mov_b32_e32 v0, 0
	s_waitcnt lgkmcnt(0)
	global_store_short v0, v7, s[14:15]
                                        ; implicit-def: $vgpr4
                                        ; implicit-def: $vgpr0_vgpr1
                                        ; implicit-def: $vgpr5
.LBB2542_225:
	s_andn2_saveexec_b64 s[0:1], s[0:1]
	s_cbranch_execz .LBB2542_146
; %bb.226:
	v_cmp_ne_u64_e32 vcc, 1, v[0:1]
	s_and_saveexec_b64 s[0:1], vcc
	s_xor_b64 s[0:1], exec, s[0:1]
	s_cbranch_execz .LBB2542_228
; %bb.227:
	v_mov_b32_e32 v0, 0
	s_waitcnt lgkmcnt(0)
	global_store_short v0, v5, s[14:15]
                                        ; implicit-def: $vgpr4
.LBB2542_228:
	s_andn2_saveexec_b64 s[0:1], s[0:1]
	s_cbranch_execz .LBB2542_146
; %bb.229:
	v_mov_b32_e32 v0, 0
	s_waitcnt lgkmcnt(0)
	global_store_short v0, v4, s[14:15]
	s_endpgm
	.section	.rodata,"a",@progbits
	.p2align	6, 0x0
	.amdhsa_kernel _ZN7rocprim17ROCPRIM_400000_NS6detail17trampoline_kernelINS0_14default_configENS1_20scan_config_selectorItEEZZNS1_9scan_implILNS1_25lookback_scan_determinismE0ELb1ELb1ES3_N6thrust23THRUST_200600_302600_NS6detail15normal_iteratorINS9_10device_ptrItEEEESE_t11max_functorItEtEEDaPvRmT3_T4_T5_mT6_P12ihipStream_tbENKUlT_T0_E_clISt17integral_constantIbLb0EEST_IbLb1EEEEDaSP_SQ_EUlSP_E_NS1_11comp_targetILNS1_3genE4ELNS1_11target_archE910ELNS1_3gpuE8ELNS1_3repE0EEENS1_30default_config_static_selectorELNS0_4arch9wavefront6targetE1EEEvT1_
		.amdhsa_group_segment_fixed_size 3072
		.amdhsa_private_segment_fixed_size 0
		.amdhsa_kernarg_size 96
		.amdhsa_user_sgpr_count 6
		.amdhsa_user_sgpr_private_segment_buffer 1
		.amdhsa_user_sgpr_dispatch_ptr 0
		.amdhsa_user_sgpr_queue_ptr 0
		.amdhsa_user_sgpr_kernarg_segment_ptr 1
		.amdhsa_user_sgpr_dispatch_id 0
		.amdhsa_user_sgpr_flat_scratch_init 0
		.amdhsa_user_sgpr_kernarg_preload_length 0
		.amdhsa_user_sgpr_kernarg_preload_offset 0
		.amdhsa_user_sgpr_private_segment_size 0
		.amdhsa_uses_dynamic_stack 0
		.amdhsa_system_sgpr_private_segment_wavefront_offset 0
		.amdhsa_system_sgpr_workgroup_id_x 1
		.amdhsa_system_sgpr_workgroup_id_y 0
		.amdhsa_system_sgpr_workgroup_id_z 0
		.amdhsa_system_sgpr_workgroup_info 0
		.amdhsa_system_vgpr_workitem_id 0
		.amdhsa_next_free_vgpr 58
		.amdhsa_next_free_sgpr 39
		.amdhsa_accum_offset 60
		.amdhsa_reserve_vcc 1
		.amdhsa_reserve_flat_scratch 0
		.amdhsa_float_round_mode_32 0
		.amdhsa_float_round_mode_16_64 0
		.amdhsa_float_denorm_mode_32 3
		.amdhsa_float_denorm_mode_16_64 3
		.amdhsa_dx10_clamp 1
		.amdhsa_ieee_mode 1
		.amdhsa_fp16_overflow 0
		.amdhsa_tg_split 0
		.amdhsa_exception_fp_ieee_invalid_op 0
		.amdhsa_exception_fp_denorm_src 0
		.amdhsa_exception_fp_ieee_div_zero 0
		.amdhsa_exception_fp_ieee_overflow 0
		.amdhsa_exception_fp_ieee_underflow 0
		.amdhsa_exception_fp_ieee_inexact 0
		.amdhsa_exception_int_div_zero 0
	.end_amdhsa_kernel
	.section	.text._ZN7rocprim17ROCPRIM_400000_NS6detail17trampoline_kernelINS0_14default_configENS1_20scan_config_selectorItEEZZNS1_9scan_implILNS1_25lookback_scan_determinismE0ELb1ELb1ES3_N6thrust23THRUST_200600_302600_NS6detail15normal_iteratorINS9_10device_ptrItEEEESE_t11max_functorItEtEEDaPvRmT3_T4_T5_mT6_P12ihipStream_tbENKUlT_T0_E_clISt17integral_constantIbLb0EEST_IbLb1EEEEDaSP_SQ_EUlSP_E_NS1_11comp_targetILNS1_3genE4ELNS1_11target_archE910ELNS1_3gpuE8ELNS1_3repE0EEENS1_30default_config_static_selectorELNS0_4arch9wavefront6targetE1EEEvT1_,"axG",@progbits,_ZN7rocprim17ROCPRIM_400000_NS6detail17trampoline_kernelINS0_14default_configENS1_20scan_config_selectorItEEZZNS1_9scan_implILNS1_25lookback_scan_determinismE0ELb1ELb1ES3_N6thrust23THRUST_200600_302600_NS6detail15normal_iteratorINS9_10device_ptrItEEEESE_t11max_functorItEtEEDaPvRmT3_T4_T5_mT6_P12ihipStream_tbENKUlT_T0_E_clISt17integral_constantIbLb0EEST_IbLb1EEEEDaSP_SQ_EUlSP_E_NS1_11comp_targetILNS1_3genE4ELNS1_11target_archE910ELNS1_3gpuE8ELNS1_3repE0EEENS1_30default_config_static_selectorELNS0_4arch9wavefront6targetE1EEEvT1_,comdat
.Lfunc_end2542:
	.size	_ZN7rocprim17ROCPRIM_400000_NS6detail17trampoline_kernelINS0_14default_configENS1_20scan_config_selectorItEEZZNS1_9scan_implILNS1_25lookback_scan_determinismE0ELb1ELb1ES3_N6thrust23THRUST_200600_302600_NS6detail15normal_iteratorINS9_10device_ptrItEEEESE_t11max_functorItEtEEDaPvRmT3_T4_T5_mT6_P12ihipStream_tbENKUlT_T0_E_clISt17integral_constantIbLb0EEST_IbLb1EEEEDaSP_SQ_EUlSP_E_NS1_11comp_targetILNS1_3genE4ELNS1_11target_archE910ELNS1_3gpuE8ELNS1_3repE0EEENS1_30default_config_static_selectorELNS0_4arch9wavefront6targetE1EEEvT1_, .Lfunc_end2542-_ZN7rocprim17ROCPRIM_400000_NS6detail17trampoline_kernelINS0_14default_configENS1_20scan_config_selectorItEEZZNS1_9scan_implILNS1_25lookback_scan_determinismE0ELb1ELb1ES3_N6thrust23THRUST_200600_302600_NS6detail15normal_iteratorINS9_10device_ptrItEEEESE_t11max_functorItEtEEDaPvRmT3_T4_T5_mT6_P12ihipStream_tbENKUlT_T0_E_clISt17integral_constantIbLb0EEST_IbLb1EEEEDaSP_SQ_EUlSP_E_NS1_11comp_targetILNS1_3genE4ELNS1_11target_archE910ELNS1_3gpuE8ELNS1_3repE0EEENS1_30default_config_static_selectorELNS0_4arch9wavefront6targetE1EEEvT1_
                                        ; -- End function
	.section	.AMDGPU.csdata,"",@progbits
; Kernel info:
; codeLenInByte = 7984
; NumSgprs: 43
; NumVgprs: 58
; NumAgprs: 0
; TotalNumVgprs: 58
; ScratchSize: 0
; MemoryBound: 0
; FloatMode: 240
; IeeeMode: 1
; LDSByteSize: 3072 bytes/workgroup (compile time only)
; SGPRBlocks: 5
; VGPRBlocks: 7
; NumSGPRsForWavesPerEU: 43
; NumVGPRsForWavesPerEU: 58
; AccumOffset: 60
; Occupancy: 6
; WaveLimiterHint : 1
; COMPUTE_PGM_RSRC2:SCRATCH_EN: 0
; COMPUTE_PGM_RSRC2:USER_SGPR: 6
; COMPUTE_PGM_RSRC2:TRAP_HANDLER: 0
; COMPUTE_PGM_RSRC2:TGID_X_EN: 1
; COMPUTE_PGM_RSRC2:TGID_Y_EN: 0
; COMPUTE_PGM_RSRC2:TGID_Z_EN: 0
; COMPUTE_PGM_RSRC2:TIDIG_COMP_CNT: 0
; COMPUTE_PGM_RSRC3_GFX90A:ACCUM_OFFSET: 14
; COMPUTE_PGM_RSRC3_GFX90A:TG_SPLIT: 0
	.section	.text._ZN7rocprim17ROCPRIM_400000_NS6detail17trampoline_kernelINS0_14default_configENS1_20scan_config_selectorItEEZZNS1_9scan_implILNS1_25lookback_scan_determinismE0ELb1ELb1ES3_N6thrust23THRUST_200600_302600_NS6detail15normal_iteratorINS9_10device_ptrItEEEESE_t11max_functorItEtEEDaPvRmT3_T4_T5_mT6_P12ihipStream_tbENKUlT_T0_E_clISt17integral_constantIbLb0EEST_IbLb1EEEEDaSP_SQ_EUlSP_E_NS1_11comp_targetILNS1_3genE3ELNS1_11target_archE908ELNS1_3gpuE7ELNS1_3repE0EEENS1_30default_config_static_selectorELNS0_4arch9wavefront6targetE1EEEvT1_,"axG",@progbits,_ZN7rocprim17ROCPRIM_400000_NS6detail17trampoline_kernelINS0_14default_configENS1_20scan_config_selectorItEEZZNS1_9scan_implILNS1_25lookback_scan_determinismE0ELb1ELb1ES3_N6thrust23THRUST_200600_302600_NS6detail15normal_iteratorINS9_10device_ptrItEEEESE_t11max_functorItEtEEDaPvRmT3_T4_T5_mT6_P12ihipStream_tbENKUlT_T0_E_clISt17integral_constantIbLb0EEST_IbLb1EEEEDaSP_SQ_EUlSP_E_NS1_11comp_targetILNS1_3genE3ELNS1_11target_archE908ELNS1_3gpuE7ELNS1_3repE0EEENS1_30default_config_static_selectorELNS0_4arch9wavefront6targetE1EEEvT1_,comdat
	.protected	_ZN7rocprim17ROCPRIM_400000_NS6detail17trampoline_kernelINS0_14default_configENS1_20scan_config_selectorItEEZZNS1_9scan_implILNS1_25lookback_scan_determinismE0ELb1ELb1ES3_N6thrust23THRUST_200600_302600_NS6detail15normal_iteratorINS9_10device_ptrItEEEESE_t11max_functorItEtEEDaPvRmT3_T4_T5_mT6_P12ihipStream_tbENKUlT_T0_E_clISt17integral_constantIbLb0EEST_IbLb1EEEEDaSP_SQ_EUlSP_E_NS1_11comp_targetILNS1_3genE3ELNS1_11target_archE908ELNS1_3gpuE7ELNS1_3repE0EEENS1_30default_config_static_selectorELNS0_4arch9wavefront6targetE1EEEvT1_ ; -- Begin function _ZN7rocprim17ROCPRIM_400000_NS6detail17trampoline_kernelINS0_14default_configENS1_20scan_config_selectorItEEZZNS1_9scan_implILNS1_25lookback_scan_determinismE0ELb1ELb1ES3_N6thrust23THRUST_200600_302600_NS6detail15normal_iteratorINS9_10device_ptrItEEEESE_t11max_functorItEtEEDaPvRmT3_T4_T5_mT6_P12ihipStream_tbENKUlT_T0_E_clISt17integral_constantIbLb0EEST_IbLb1EEEEDaSP_SQ_EUlSP_E_NS1_11comp_targetILNS1_3genE3ELNS1_11target_archE908ELNS1_3gpuE7ELNS1_3repE0EEENS1_30default_config_static_selectorELNS0_4arch9wavefront6targetE1EEEvT1_
	.globl	_ZN7rocprim17ROCPRIM_400000_NS6detail17trampoline_kernelINS0_14default_configENS1_20scan_config_selectorItEEZZNS1_9scan_implILNS1_25lookback_scan_determinismE0ELb1ELb1ES3_N6thrust23THRUST_200600_302600_NS6detail15normal_iteratorINS9_10device_ptrItEEEESE_t11max_functorItEtEEDaPvRmT3_T4_T5_mT6_P12ihipStream_tbENKUlT_T0_E_clISt17integral_constantIbLb0EEST_IbLb1EEEEDaSP_SQ_EUlSP_E_NS1_11comp_targetILNS1_3genE3ELNS1_11target_archE908ELNS1_3gpuE7ELNS1_3repE0EEENS1_30default_config_static_selectorELNS0_4arch9wavefront6targetE1EEEvT1_
	.p2align	8
	.type	_ZN7rocprim17ROCPRIM_400000_NS6detail17trampoline_kernelINS0_14default_configENS1_20scan_config_selectorItEEZZNS1_9scan_implILNS1_25lookback_scan_determinismE0ELb1ELb1ES3_N6thrust23THRUST_200600_302600_NS6detail15normal_iteratorINS9_10device_ptrItEEEESE_t11max_functorItEtEEDaPvRmT3_T4_T5_mT6_P12ihipStream_tbENKUlT_T0_E_clISt17integral_constantIbLb0EEST_IbLb1EEEEDaSP_SQ_EUlSP_E_NS1_11comp_targetILNS1_3genE3ELNS1_11target_archE908ELNS1_3gpuE7ELNS1_3repE0EEENS1_30default_config_static_selectorELNS0_4arch9wavefront6targetE1EEEvT1_,@function
_ZN7rocprim17ROCPRIM_400000_NS6detail17trampoline_kernelINS0_14default_configENS1_20scan_config_selectorItEEZZNS1_9scan_implILNS1_25lookback_scan_determinismE0ELb1ELb1ES3_N6thrust23THRUST_200600_302600_NS6detail15normal_iteratorINS9_10device_ptrItEEEESE_t11max_functorItEtEEDaPvRmT3_T4_T5_mT6_P12ihipStream_tbENKUlT_T0_E_clISt17integral_constantIbLb0EEST_IbLb1EEEEDaSP_SQ_EUlSP_E_NS1_11comp_targetILNS1_3genE3ELNS1_11target_archE908ELNS1_3gpuE7ELNS1_3repE0EEENS1_30default_config_static_selectorELNS0_4arch9wavefront6targetE1EEEvT1_: ; @_ZN7rocprim17ROCPRIM_400000_NS6detail17trampoline_kernelINS0_14default_configENS1_20scan_config_selectorItEEZZNS1_9scan_implILNS1_25lookback_scan_determinismE0ELb1ELb1ES3_N6thrust23THRUST_200600_302600_NS6detail15normal_iteratorINS9_10device_ptrItEEEESE_t11max_functorItEtEEDaPvRmT3_T4_T5_mT6_P12ihipStream_tbENKUlT_T0_E_clISt17integral_constantIbLb0EEST_IbLb1EEEEDaSP_SQ_EUlSP_E_NS1_11comp_targetILNS1_3genE3ELNS1_11target_archE908ELNS1_3gpuE7ELNS1_3repE0EEENS1_30default_config_static_selectorELNS0_4arch9wavefront6targetE1EEEvT1_
; %bb.0:
	.section	.rodata,"a",@progbits
	.p2align	6, 0x0
	.amdhsa_kernel _ZN7rocprim17ROCPRIM_400000_NS6detail17trampoline_kernelINS0_14default_configENS1_20scan_config_selectorItEEZZNS1_9scan_implILNS1_25lookback_scan_determinismE0ELb1ELb1ES3_N6thrust23THRUST_200600_302600_NS6detail15normal_iteratorINS9_10device_ptrItEEEESE_t11max_functorItEtEEDaPvRmT3_T4_T5_mT6_P12ihipStream_tbENKUlT_T0_E_clISt17integral_constantIbLb0EEST_IbLb1EEEEDaSP_SQ_EUlSP_E_NS1_11comp_targetILNS1_3genE3ELNS1_11target_archE908ELNS1_3gpuE7ELNS1_3repE0EEENS1_30default_config_static_selectorELNS0_4arch9wavefront6targetE1EEEvT1_
		.amdhsa_group_segment_fixed_size 0
		.amdhsa_private_segment_fixed_size 0
		.amdhsa_kernarg_size 96
		.amdhsa_user_sgpr_count 6
		.amdhsa_user_sgpr_private_segment_buffer 1
		.amdhsa_user_sgpr_dispatch_ptr 0
		.amdhsa_user_sgpr_queue_ptr 0
		.amdhsa_user_sgpr_kernarg_segment_ptr 1
		.amdhsa_user_sgpr_dispatch_id 0
		.amdhsa_user_sgpr_flat_scratch_init 0
		.amdhsa_user_sgpr_kernarg_preload_length 0
		.amdhsa_user_sgpr_kernarg_preload_offset 0
		.amdhsa_user_sgpr_private_segment_size 0
		.amdhsa_uses_dynamic_stack 0
		.amdhsa_system_sgpr_private_segment_wavefront_offset 0
		.amdhsa_system_sgpr_workgroup_id_x 1
		.amdhsa_system_sgpr_workgroup_id_y 0
		.amdhsa_system_sgpr_workgroup_id_z 0
		.amdhsa_system_sgpr_workgroup_info 0
		.amdhsa_system_vgpr_workitem_id 0
		.amdhsa_next_free_vgpr 1
		.amdhsa_next_free_sgpr 0
		.amdhsa_accum_offset 4
		.amdhsa_reserve_vcc 0
		.amdhsa_reserve_flat_scratch 0
		.amdhsa_float_round_mode_32 0
		.amdhsa_float_round_mode_16_64 0
		.amdhsa_float_denorm_mode_32 3
		.amdhsa_float_denorm_mode_16_64 3
		.amdhsa_dx10_clamp 1
		.amdhsa_ieee_mode 1
		.amdhsa_fp16_overflow 0
		.amdhsa_tg_split 0
		.amdhsa_exception_fp_ieee_invalid_op 0
		.amdhsa_exception_fp_denorm_src 0
		.amdhsa_exception_fp_ieee_div_zero 0
		.amdhsa_exception_fp_ieee_overflow 0
		.amdhsa_exception_fp_ieee_underflow 0
		.amdhsa_exception_fp_ieee_inexact 0
		.amdhsa_exception_int_div_zero 0
	.end_amdhsa_kernel
	.section	.text._ZN7rocprim17ROCPRIM_400000_NS6detail17trampoline_kernelINS0_14default_configENS1_20scan_config_selectorItEEZZNS1_9scan_implILNS1_25lookback_scan_determinismE0ELb1ELb1ES3_N6thrust23THRUST_200600_302600_NS6detail15normal_iteratorINS9_10device_ptrItEEEESE_t11max_functorItEtEEDaPvRmT3_T4_T5_mT6_P12ihipStream_tbENKUlT_T0_E_clISt17integral_constantIbLb0EEST_IbLb1EEEEDaSP_SQ_EUlSP_E_NS1_11comp_targetILNS1_3genE3ELNS1_11target_archE908ELNS1_3gpuE7ELNS1_3repE0EEENS1_30default_config_static_selectorELNS0_4arch9wavefront6targetE1EEEvT1_,"axG",@progbits,_ZN7rocprim17ROCPRIM_400000_NS6detail17trampoline_kernelINS0_14default_configENS1_20scan_config_selectorItEEZZNS1_9scan_implILNS1_25lookback_scan_determinismE0ELb1ELb1ES3_N6thrust23THRUST_200600_302600_NS6detail15normal_iteratorINS9_10device_ptrItEEEESE_t11max_functorItEtEEDaPvRmT3_T4_T5_mT6_P12ihipStream_tbENKUlT_T0_E_clISt17integral_constantIbLb0EEST_IbLb1EEEEDaSP_SQ_EUlSP_E_NS1_11comp_targetILNS1_3genE3ELNS1_11target_archE908ELNS1_3gpuE7ELNS1_3repE0EEENS1_30default_config_static_selectorELNS0_4arch9wavefront6targetE1EEEvT1_,comdat
.Lfunc_end2543:
	.size	_ZN7rocprim17ROCPRIM_400000_NS6detail17trampoline_kernelINS0_14default_configENS1_20scan_config_selectorItEEZZNS1_9scan_implILNS1_25lookback_scan_determinismE0ELb1ELb1ES3_N6thrust23THRUST_200600_302600_NS6detail15normal_iteratorINS9_10device_ptrItEEEESE_t11max_functorItEtEEDaPvRmT3_T4_T5_mT6_P12ihipStream_tbENKUlT_T0_E_clISt17integral_constantIbLb0EEST_IbLb1EEEEDaSP_SQ_EUlSP_E_NS1_11comp_targetILNS1_3genE3ELNS1_11target_archE908ELNS1_3gpuE7ELNS1_3repE0EEENS1_30default_config_static_selectorELNS0_4arch9wavefront6targetE1EEEvT1_, .Lfunc_end2543-_ZN7rocprim17ROCPRIM_400000_NS6detail17trampoline_kernelINS0_14default_configENS1_20scan_config_selectorItEEZZNS1_9scan_implILNS1_25lookback_scan_determinismE0ELb1ELb1ES3_N6thrust23THRUST_200600_302600_NS6detail15normal_iteratorINS9_10device_ptrItEEEESE_t11max_functorItEtEEDaPvRmT3_T4_T5_mT6_P12ihipStream_tbENKUlT_T0_E_clISt17integral_constantIbLb0EEST_IbLb1EEEEDaSP_SQ_EUlSP_E_NS1_11comp_targetILNS1_3genE3ELNS1_11target_archE908ELNS1_3gpuE7ELNS1_3repE0EEENS1_30default_config_static_selectorELNS0_4arch9wavefront6targetE1EEEvT1_
                                        ; -- End function
	.section	.AMDGPU.csdata,"",@progbits
; Kernel info:
; codeLenInByte = 0
; NumSgprs: 4
; NumVgprs: 0
; NumAgprs: 0
; TotalNumVgprs: 0
; ScratchSize: 0
; MemoryBound: 0
; FloatMode: 240
; IeeeMode: 1
; LDSByteSize: 0 bytes/workgroup (compile time only)
; SGPRBlocks: 0
; VGPRBlocks: 0
; NumSGPRsForWavesPerEU: 4
; NumVGPRsForWavesPerEU: 1
; AccumOffset: 4
; Occupancy: 8
; WaveLimiterHint : 0
; COMPUTE_PGM_RSRC2:SCRATCH_EN: 0
; COMPUTE_PGM_RSRC2:USER_SGPR: 6
; COMPUTE_PGM_RSRC2:TRAP_HANDLER: 0
; COMPUTE_PGM_RSRC2:TGID_X_EN: 1
; COMPUTE_PGM_RSRC2:TGID_Y_EN: 0
; COMPUTE_PGM_RSRC2:TGID_Z_EN: 0
; COMPUTE_PGM_RSRC2:TIDIG_COMP_CNT: 0
; COMPUTE_PGM_RSRC3_GFX90A:ACCUM_OFFSET: 0
; COMPUTE_PGM_RSRC3_GFX90A:TG_SPLIT: 0
	.section	.text._ZN7rocprim17ROCPRIM_400000_NS6detail17trampoline_kernelINS0_14default_configENS1_20scan_config_selectorItEEZZNS1_9scan_implILNS1_25lookback_scan_determinismE0ELb1ELb1ES3_N6thrust23THRUST_200600_302600_NS6detail15normal_iteratorINS9_10device_ptrItEEEESE_t11max_functorItEtEEDaPvRmT3_T4_T5_mT6_P12ihipStream_tbENKUlT_T0_E_clISt17integral_constantIbLb0EEST_IbLb1EEEEDaSP_SQ_EUlSP_E_NS1_11comp_targetILNS1_3genE2ELNS1_11target_archE906ELNS1_3gpuE6ELNS1_3repE0EEENS1_30default_config_static_selectorELNS0_4arch9wavefront6targetE1EEEvT1_,"axG",@progbits,_ZN7rocprim17ROCPRIM_400000_NS6detail17trampoline_kernelINS0_14default_configENS1_20scan_config_selectorItEEZZNS1_9scan_implILNS1_25lookback_scan_determinismE0ELb1ELb1ES3_N6thrust23THRUST_200600_302600_NS6detail15normal_iteratorINS9_10device_ptrItEEEESE_t11max_functorItEtEEDaPvRmT3_T4_T5_mT6_P12ihipStream_tbENKUlT_T0_E_clISt17integral_constantIbLb0EEST_IbLb1EEEEDaSP_SQ_EUlSP_E_NS1_11comp_targetILNS1_3genE2ELNS1_11target_archE906ELNS1_3gpuE6ELNS1_3repE0EEENS1_30default_config_static_selectorELNS0_4arch9wavefront6targetE1EEEvT1_,comdat
	.protected	_ZN7rocprim17ROCPRIM_400000_NS6detail17trampoline_kernelINS0_14default_configENS1_20scan_config_selectorItEEZZNS1_9scan_implILNS1_25lookback_scan_determinismE0ELb1ELb1ES3_N6thrust23THRUST_200600_302600_NS6detail15normal_iteratorINS9_10device_ptrItEEEESE_t11max_functorItEtEEDaPvRmT3_T4_T5_mT6_P12ihipStream_tbENKUlT_T0_E_clISt17integral_constantIbLb0EEST_IbLb1EEEEDaSP_SQ_EUlSP_E_NS1_11comp_targetILNS1_3genE2ELNS1_11target_archE906ELNS1_3gpuE6ELNS1_3repE0EEENS1_30default_config_static_selectorELNS0_4arch9wavefront6targetE1EEEvT1_ ; -- Begin function _ZN7rocprim17ROCPRIM_400000_NS6detail17trampoline_kernelINS0_14default_configENS1_20scan_config_selectorItEEZZNS1_9scan_implILNS1_25lookback_scan_determinismE0ELb1ELb1ES3_N6thrust23THRUST_200600_302600_NS6detail15normal_iteratorINS9_10device_ptrItEEEESE_t11max_functorItEtEEDaPvRmT3_T4_T5_mT6_P12ihipStream_tbENKUlT_T0_E_clISt17integral_constantIbLb0EEST_IbLb1EEEEDaSP_SQ_EUlSP_E_NS1_11comp_targetILNS1_3genE2ELNS1_11target_archE906ELNS1_3gpuE6ELNS1_3repE0EEENS1_30default_config_static_selectorELNS0_4arch9wavefront6targetE1EEEvT1_
	.globl	_ZN7rocprim17ROCPRIM_400000_NS6detail17trampoline_kernelINS0_14default_configENS1_20scan_config_selectorItEEZZNS1_9scan_implILNS1_25lookback_scan_determinismE0ELb1ELb1ES3_N6thrust23THRUST_200600_302600_NS6detail15normal_iteratorINS9_10device_ptrItEEEESE_t11max_functorItEtEEDaPvRmT3_T4_T5_mT6_P12ihipStream_tbENKUlT_T0_E_clISt17integral_constantIbLb0EEST_IbLb1EEEEDaSP_SQ_EUlSP_E_NS1_11comp_targetILNS1_3genE2ELNS1_11target_archE906ELNS1_3gpuE6ELNS1_3repE0EEENS1_30default_config_static_selectorELNS0_4arch9wavefront6targetE1EEEvT1_
	.p2align	8
	.type	_ZN7rocprim17ROCPRIM_400000_NS6detail17trampoline_kernelINS0_14default_configENS1_20scan_config_selectorItEEZZNS1_9scan_implILNS1_25lookback_scan_determinismE0ELb1ELb1ES3_N6thrust23THRUST_200600_302600_NS6detail15normal_iteratorINS9_10device_ptrItEEEESE_t11max_functorItEtEEDaPvRmT3_T4_T5_mT6_P12ihipStream_tbENKUlT_T0_E_clISt17integral_constantIbLb0EEST_IbLb1EEEEDaSP_SQ_EUlSP_E_NS1_11comp_targetILNS1_3genE2ELNS1_11target_archE906ELNS1_3gpuE6ELNS1_3repE0EEENS1_30default_config_static_selectorELNS0_4arch9wavefront6targetE1EEEvT1_,@function
_ZN7rocprim17ROCPRIM_400000_NS6detail17trampoline_kernelINS0_14default_configENS1_20scan_config_selectorItEEZZNS1_9scan_implILNS1_25lookback_scan_determinismE0ELb1ELb1ES3_N6thrust23THRUST_200600_302600_NS6detail15normal_iteratorINS9_10device_ptrItEEEESE_t11max_functorItEtEEDaPvRmT3_T4_T5_mT6_P12ihipStream_tbENKUlT_T0_E_clISt17integral_constantIbLb0EEST_IbLb1EEEEDaSP_SQ_EUlSP_E_NS1_11comp_targetILNS1_3genE2ELNS1_11target_archE906ELNS1_3gpuE6ELNS1_3repE0EEENS1_30default_config_static_selectorELNS0_4arch9wavefront6targetE1EEEvT1_: ; @_ZN7rocprim17ROCPRIM_400000_NS6detail17trampoline_kernelINS0_14default_configENS1_20scan_config_selectorItEEZZNS1_9scan_implILNS1_25lookback_scan_determinismE0ELb1ELb1ES3_N6thrust23THRUST_200600_302600_NS6detail15normal_iteratorINS9_10device_ptrItEEEESE_t11max_functorItEtEEDaPvRmT3_T4_T5_mT6_P12ihipStream_tbENKUlT_T0_E_clISt17integral_constantIbLb0EEST_IbLb1EEEEDaSP_SQ_EUlSP_E_NS1_11comp_targetILNS1_3genE2ELNS1_11target_archE906ELNS1_3gpuE6ELNS1_3repE0EEENS1_30default_config_static_selectorELNS0_4arch9wavefront6targetE1EEEvT1_
; %bb.0:
	.section	.rodata,"a",@progbits
	.p2align	6, 0x0
	.amdhsa_kernel _ZN7rocprim17ROCPRIM_400000_NS6detail17trampoline_kernelINS0_14default_configENS1_20scan_config_selectorItEEZZNS1_9scan_implILNS1_25lookback_scan_determinismE0ELb1ELb1ES3_N6thrust23THRUST_200600_302600_NS6detail15normal_iteratorINS9_10device_ptrItEEEESE_t11max_functorItEtEEDaPvRmT3_T4_T5_mT6_P12ihipStream_tbENKUlT_T0_E_clISt17integral_constantIbLb0EEST_IbLb1EEEEDaSP_SQ_EUlSP_E_NS1_11comp_targetILNS1_3genE2ELNS1_11target_archE906ELNS1_3gpuE6ELNS1_3repE0EEENS1_30default_config_static_selectorELNS0_4arch9wavefront6targetE1EEEvT1_
		.amdhsa_group_segment_fixed_size 0
		.amdhsa_private_segment_fixed_size 0
		.amdhsa_kernarg_size 96
		.amdhsa_user_sgpr_count 6
		.amdhsa_user_sgpr_private_segment_buffer 1
		.amdhsa_user_sgpr_dispatch_ptr 0
		.amdhsa_user_sgpr_queue_ptr 0
		.amdhsa_user_sgpr_kernarg_segment_ptr 1
		.amdhsa_user_sgpr_dispatch_id 0
		.amdhsa_user_sgpr_flat_scratch_init 0
		.amdhsa_user_sgpr_kernarg_preload_length 0
		.amdhsa_user_sgpr_kernarg_preload_offset 0
		.amdhsa_user_sgpr_private_segment_size 0
		.amdhsa_uses_dynamic_stack 0
		.amdhsa_system_sgpr_private_segment_wavefront_offset 0
		.amdhsa_system_sgpr_workgroup_id_x 1
		.amdhsa_system_sgpr_workgroup_id_y 0
		.amdhsa_system_sgpr_workgroup_id_z 0
		.amdhsa_system_sgpr_workgroup_info 0
		.amdhsa_system_vgpr_workitem_id 0
		.amdhsa_next_free_vgpr 1
		.amdhsa_next_free_sgpr 0
		.amdhsa_accum_offset 4
		.amdhsa_reserve_vcc 0
		.amdhsa_reserve_flat_scratch 0
		.amdhsa_float_round_mode_32 0
		.amdhsa_float_round_mode_16_64 0
		.amdhsa_float_denorm_mode_32 3
		.amdhsa_float_denorm_mode_16_64 3
		.amdhsa_dx10_clamp 1
		.amdhsa_ieee_mode 1
		.amdhsa_fp16_overflow 0
		.amdhsa_tg_split 0
		.amdhsa_exception_fp_ieee_invalid_op 0
		.amdhsa_exception_fp_denorm_src 0
		.amdhsa_exception_fp_ieee_div_zero 0
		.amdhsa_exception_fp_ieee_overflow 0
		.amdhsa_exception_fp_ieee_underflow 0
		.amdhsa_exception_fp_ieee_inexact 0
		.amdhsa_exception_int_div_zero 0
	.end_amdhsa_kernel
	.section	.text._ZN7rocprim17ROCPRIM_400000_NS6detail17trampoline_kernelINS0_14default_configENS1_20scan_config_selectorItEEZZNS1_9scan_implILNS1_25lookback_scan_determinismE0ELb1ELb1ES3_N6thrust23THRUST_200600_302600_NS6detail15normal_iteratorINS9_10device_ptrItEEEESE_t11max_functorItEtEEDaPvRmT3_T4_T5_mT6_P12ihipStream_tbENKUlT_T0_E_clISt17integral_constantIbLb0EEST_IbLb1EEEEDaSP_SQ_EUlSP_E_NS1_11comp_targetILNS1_3genE2ELNS1_11target_archE906ELNS1_3gpuE6ELNS1_3repE0EEENS1_30default_config_static_selectorELNS0_4arch9wavefront6targetE1EEEvT1_,"axG",@progbits,_ZN7rocprim17ROCPRIM_400000_NS6detail17trampoline_kernelINS0_14default_configENS1_20scan_config_selectorItEEZZNS1_9scan_implILNS1_25lookback_scan_determinismE0ELb1ELb1ES3_N6thrust23THRUST_200600_302600_NS6detail15normal_iteratorINS9_10device_ptrItEEEESE_t11max_functorItEtEEDaPvRmT3_T4_T5_mT6_P12ihipStream_tbENKUlT_T0_E_clISt17integral_constantIbLb0EEST_IbLb1EEEEDaSP_SQ_EUlSP_E_NS1_11comp_targetILNS1_3genE2ELNS1_11target_archE906ELNS1_3gpuE6ELNS1_3repE0EEENS1_30default_config_static_selectorELNS0_4arch9wavefront6targetE1EEEvT1_,comdat
.Lfunc_end2544:
	.size	_ZN7rocprim17ROCPRIM_400000_NS6detail17trampoline_kernelINS0_14default_configENS1_20scan_config_selectorItEEZZNS1_9scan_implILNS1_25lookback_scan_determinismE0ELb1ELb1ES3_N6thrust23THRUST_200600_302600_NS6detail15normal_iteratorINS9_10device_ptrItEEEESE_t11max_functorItEtEEDaPvRmT3_T4_T5_mT6_P12ihipStream_tbENKUlT_T0_E_clISt17integral_constantIbLb0EEST_IbLb1EEEEDaSP_SQ_EUlSP_E_NS1_11comp_targetILNS1_3genE2ELNS1_11target_archE906ELNS1_3gpuE6ELNS1_3repE0EEENS1_30default_config_static_selectorELNS0_4arch9wavefront6targetE1EEEvT1_, .Lfunc_end2544-_ZN7rocprim17ROCPRIM_400000_NS6detail17trampoline_kernelINS0_14default_configENS1_20scan_config_selectorItEEZZNS1_9scan_implILNS1_25lookback_scan_determinismE0ELb1ELb1ES3_N6thrust23THRUST_200600_302600_NS6detail15normal_iteratorINS9_10device_ptrItEEEESE_t11max_functorItEtEEDaPvRmT3_T4_T5_mT6_P12ihipStream_tbENKUlT_T0_E_clISt17integral_constantIbLb0EEST_IbLb1EEEEDaSP_SQ_EUlSP_E_NS1_11comp_targetILNS1_3genE2ELNS1_11target_archE906ELNS1_3gpuE6ELNS1_3repE0EEENS1_30default_config_static_selectorELNS0_4arch9wavefront6targetE1EEEvT1_
                                        ; -- End function
	.section	.AMDGPU.csdata,"",@progbits
; Kernel info:
; codeLenInByte = 0
; NumSgprs: 4
; NumVgprs: 0
; NumAgprs: 0
; TotalNumVgprs: 0
; ScratchSize: 0
; MemoryBound: 0
; FloatMode: 240
; IeeeMode: 1
; LDSByteSize: 0 bytes/workgroup (compile time only)
; SGPRBlocks: 0
; VGPRBlocks: 0
; NumSGPRsForWavesPerEU: 4
; NumVGPRsForWavesPerEU: 1
; AccumOffset: 4
; Occupancy: 8
; WaveLimiterHint : 0
; COMPUTE_PGM_RSRC2:SCRATCH_EN: 0
; COMPUTE_PGM_RSRC2:USER_SGPR: 6
; COMPUTE_PGM_RSRC2:TRAP_HANDLER: 0
; COMPUTE_PGM_RSRC2:TGID_X_EN: 1
; COMPUTE_PGM_RSRC2:TGID_Y_EN: 0
; COMPUTE_PGM_RSRC2:TGID_Z_EN: 0
; COMPUTE_PGM_RSRC2:TIDIG_COMP_CNT: 0
; COMPUTE_PGM_RSRC3_GFX90A:ACCUM_OFFSET: 0
; COMPUTE_PGM_RSRC3_GFX90A:TG_SPLIT: 0
	.section	.text._ZN7rocprim17ROCPRIM_400000_NS6detail17trampoline_kernelINS0_14default_configENS1_20scan_config_selectorItEEZZNS1_9scan_implILNS1_25lookback_scan_determinismE0ELb1ELb1ES3_N6thrust23THRUST_200600_302600_NS6detail15normal_iteratorINS9_10device_ptrItEEEESE_t11max_functorItEtEEDaPvRmT3_T4_T5_mT6_P12ihipStream_tbENKUlT_T0_E_clISt17integral_constantIbLb0EEST_IbLb1EEEEDaSP_SQ_EUlSP_E_NS1_11comp_targetILNS1_3genE10ELNS1_11target_archE1201ELNS1_3gpuE5ELNS1_3repE0EEENS1_30default_config_static_selectorELNS0_4arch9wavefront6targetE1EEEvT1_,"axG",@progbits,_ZN7rocprim17ROCPRIM_400000_NS6detail17trampoline_kernelINS0_14default_configENS1_20scan_config_selectorItEEZZNS1_9scan_implILNS1_25lookback_scan_determinismE0ELb1ELb1ES3_N6thrust23THRUST_200600_302600_NS6detail15normal_iteratorINS9_10device_ptrItEEEESE_t11max_functorItEtEEDaPvRmT3_T4_T5_mT6_P12ihipStream_tbENKUlT_T0_E_clISt17integral_constantIbLb0EEST_IbLb1EEEEDaSP_SQ_EUlSP_E_NS1_11comp_targetILNS1_3genE10ELNS1_11target_archE1201ELNS1_3gpuE5ELNS1_3repE0EEENS1_30default_config_static_selectorELNS0_4arch9wavefront6targetE1EEEvT1_,comdat
	.protected	_ZN7rocprim17ROCPRIM_400000_NS6detail17trampoline_kernelINS0_14default_configENS1_20scan_config_selectorItEEZZNS1_9scan_implILNS1_25lookback_scan_determinismE0ELb1ELb1ES3_N6thrust23THRUST_200600_302600_NS6detail15normal_iteratorINS9_10device_ptrItEEEESE_t11max_functorItEtEEDaPvRmT3_T4_T5_mT6_P12ihipStream_tbENKUlT_T0_E_clISt17integral_constantIbLb0EEST_IbLb1EEEEDaSP_SQ_EUlSP_E_NS1_11comp_targetILNS1_3genE10ELNS1_11target_archE1201ELNS1_3gpuE5ELNS1_3repE0EEENS1_30default_config_static_selectorELNS0_4arch9wavefront6targetE1EEEvT1_ ; -- Begin function _ZN7rocprim17ROCPRIM_400000_NS6detail17trampoline_kernelINS0_14default_configENS1_20scan_config_selectorItEEZZNS1_9scan_implILNS1_25lookback_scan_determinismE0ELb1ELb1ES3_N6thrust23THRUST_200600_302600_NS6detail15normal_iteratorINS9_10device_ptrItEEEESE_t11max_functorItEtEEDaPvRmT3_T4_T5_mT6_P12ihipStream_tbENKUlT_T0_E_clISt17integral_constantIbLb0EEST_IbLb1EEEEDaSP_SQ_EUlSP_E_NS1_11comp_targetILNS1_3genE10ELNS1_11target_archE1201ELNS1_3gpuE5ELNS1_3repE0EEENS1_30default_config_static_selectorELNS0_4arch9wavefront6targetE1EEEvT1_
	.globl	_ZN7rocprim17ROCPRIM_400000_NS6detail17trampoline_kernelINS0_14default_configENS1_20scan_config_selectorItEEZZNS1_9scan_implILNS1_25lookback_scan_determinismE0ELb1ELb1ES3_N6thrust23THRUST_200600_302600_NS6detail15normal_iteratorINS9_10device_ptrItEEEESE_t11max_functorItEtEEDaPvRmT3_T4_T5_mT6_P12ihipStream_tbENKUlT_T0_E_clISt17integral_constantIbLb0EEST_IbLb1EEEEDaSP_SQ_EUlSP_E_NS1_11comp_targetILNS1_3genE10ELNS1_11target_archE1201ELNS1_3gpuE5ELNS1_3repE0EEENS1_30default_config_static_selectorELNS0_4arch9wavefront6targetE1EEEvT1_
	.p2align	8
	.type	_ZN7rocprim17ROCPRIM_400000_NS6detail17trampoline_kernelINS0_14default_configENS1_20scan_config_selectorItEEZZNS1_9scan_implILNS1_25lookback_scan_determinismE0ELb1ELb1ES3_N6thrust23THRUST_200600_302600_NS6detail15normal_iteratorINS9_10device_ptrItEEEESE_t11max_functorItEtEEDaPvRmT3_T4_T5_mT6_P12ihipStream_tbENKUlT_T0_E_clISt17integral_constantIbLb0EEST_IbLb1EEEEDaSP_SQ_EUlSP_E_NS1_11comp_targetILNS1_3genE10ELNS1_11target_archE1201ELNS1_3gpuE5ELNS1_3repE0EEENS1_30default_config_static_selectorELNS0_4arch9wavefront6targetE1EEEvT1_,@function
_ZN7rocprim17ROCPRIM_400000_NS6detail17trampoline_kernelINS0_14default_configENS1_20scan_config_selectorItEEZZNS1_9scan_implILNS1_25lookback_scan_determinismE0ELb1ELb1ES3_N6thrust23THRUST_200600_302600_NS6detail15normal_iteratorINS9_10device_ptrItEEEESE_t11max_functorItEtEEDaPvRmT3_T4_T5_mT6_P12ihipStream_tbENKUlT_T0_E_clISt17integral_constantIbLb0EEST_IbLb1EEEEDaSP_SQ_EUlSP_E_NS1_11comp_targetILNS1_3genE10ELNS1_11target_archE1201ELNS1_3gpuE5ELNS1_3repE0EEENS1_30default_config_static_selectorELNS0_4arch9wavefront6targetE1EEEvT1_: ; @_ZN7rocprim17ROCPRIM_400000_NS6detail17trampoline_kernelINS0_14default_configENS1_20scan_config_selectorItEEZZNS1_9scan_implILNS1_25lookback_scan_determinismE0ELb1ELb1ES3_N6thrust23THRUST_200600_302600_NS6detail15normal_iteratorINS9_10device_ptrItEEEESE_t11max_functorItEtEEDaPvRmT3_T4_T5_mT6_P12ihipStream_tbENKUlT_T0_E_clISt17integral_constantIbLb0EEST_IbLb1EEEEDaSP_SQ_EUlSP_E_NS1_11comp_targetILNS1_3genE10ELNS1_11target_archE1201ELNS1_3gpuE5ELNS1_3repE0EEENS1_30default_config_static_selectorELNS0_4arch9wavefront6targetE1EEEvT1_
; %bb.0:
	.section	.rodata,"a",@progbits
	.p2align	6, 0x0
	.amdhsa_kernel _ZN7rocprim17ROCPRIM_400000_NS6detail17trampoline_kernelINS0_14default_configENS1_20scan_config_selectorItEEZZNS1_9scan_implILNS1_25lookback_scan_determinismE0ELb1ELb1ES3_N6thrust23THRUST_200600_302600_NS6detail15normal_iteratorINS9_10device_ptrItEEEESE_t11max_functorItEtEEDaPvRmT3_T4_T5_mT6_P12ihipStream_tbENKUlT_T0_E_clISt17integral_constantIbLb0EEST_IbLb1EEEEDaSP_SQ_EUlSP_E_NS1_11comp_targetILNS1_3genE10ELNS1_11target_archE1201ELNS1_3gpuE5ELNS1_3repE0EEENS1_30default_config_static_selectorELNS0_4arch9wavefront6targetE1EEEvT1_
		.amdhsa_group_segment_fixed_size 0
		.amdhsa_private_segment_fixed_size 0
		.amdhsa_kernarg_size 96
		.amdhsa_user_sgpr_count 6
		.amdhsa_user_sgpr_private_segment_buffer 1
		.amdhsa_user_sgpr_dispatch_ptr 0
		.amdhsa_user_sgpr_queue_ptr 0
		.amdhsa_user_sgpr_kernarg_segment_ptr 1
		.amdhsa_user_sgpr_dispatch_id 0
		.amdhsa_user_sgpr_flat_scratch_init 0
		.amdhsa_user_sgpr_kernarg_preload_length 0
		.amdhsa_user_sgpr_kernarg_preload_offset 0
		.amdhsa_user_sgpr_private_segment_size 0
		.amdhsa_uses_dynamic_stack 0
		.amdhsa_system_sgpr_private_segment_wavefront_offset 0
		.amdhsa_system_sgpr_workgroup_id_x 1
		.amdhsa_system_sgpr_workgroup_id_y 0
		.amdhsa_system_sgpr_workgroup_id_z 0
		.amdhsa_system_sgpr_workgroup_info 0
		.amdhsa_system_vgpr_workitem_id 0
		.amdhsa_next_free_vgpr 1
		.amdhsa_next_free_sgpr 0
		.amdhsa_accum_offset 4
		.amdhsa_reserve_vcc 0
		.amdhsa_reserve_flat_scratch 0
		.amdhsa_float_round_mode_32 0
		.amdhsa_float_round_mode_16_64 0
		.amdhsa_float_denorm_mode_32 3
		.amdhsa_float_denorm_mode_16_64 3
		.amdhsa_dx10_clamp 1
		.amdhsa_ieee_mode 1
		.amdhsa_fp16_overflow 0
		.amdhsa_tg_split 0
		.amdhsa_exception_fp_ieee_invalid_op 0
		.amdhsa_exception_fp_denorm_src 0
		.amdhsa_exception_fp_ieee_div_zero 0
		.amdhsa_exception_fp_ieee_overflow 0
		.amdhsa_exception_fp_ieee_underflow 0
		.amdhsa_exception_fp_ieee_inexact 0
		.amdhsa_exception_int_div_zero 0
	.end_amdhsa_kernel
	.section	.text._ZN7rocprim17ROCPRIM_400000_NS6detail17trampoline_kernelINS0_14default_configENS1_20scan_config_selectorItEEZZNS1_9scan_implILNS1_25lookback_scan_determinismE0ELb1ELb1ES3_N6thrust23THRUST_200600_302600_NS6detail15normal_iteratorINS9_10device_ptrItEEEESE_t11max_functorItEtEEDaPvRmT3_T4_T5_mT6_P12ihipStream_tbENKUlT_T0_E_clISt17integral_constantIbLb0EEST_IbLb1EEEEDaSP_SQ_EUlSP_E_NS1_11comp_targetILNS1_3genE10ELNS1_11target_archE1201ELNS1_3gpuE5ELNS1_3repE0EEENS1_30default_config_static_selectorELNS0_4arch9wavefront6targetE1EEEvT1_,"axG",@progbits,_ZN7rocprim17ROCPRIM_400000_NS6detail17trampoline_kernelINS0_14default_configENS1_20scan_config_selectorItEEZZNS1_9scan_implILNS1_25lookback_scan_determinismE0ELb1ELb1ES3_N6thrust23THRUST_200600_302600_NS6detail15normal_iteratorINS9_10device_ptrItEEEESE_t11max_functorItEtEEDaPvRmT3_T4_T5_mT6_P12ihipStream_tbENKUlT_T0_E_clISt17integral_constantIbLb0EEST_IbLb1EEEEDaSP_SQ_EUlSP_E_NS1_11comp_targetILNS1_3genE10ELNS1_11target_archE1201ELNS1_3gpuE5ELNS1_3repE0EEENS1_30default_config_static_selectorELNS0_4arch9wavefront6targetE1EEEvT1_,comdat
.Lfunc_end2545:
	.size	_ZN7rocprim17ROCPRIM_400000_NS6detail17trampoline_kernelINS0_14default_configENS1_20scan_config_selectorItEEZZNS1_9scan_implILNS1_25lookback_scan_determinismE0ELb1ELb1ES3_N6thrust23THRUST_200600_302600_NS6detail15normal_iteratorINS9_10device_ptrItEEEESE_t11max_functorItEtEEDaPvRmT3_T4_T5_mT6_P12ihipStream_tbENKUlT_T0_E_clISt17integral_constantIbLb0EEST_IbLb1EEEEDaSP_SQ_EUlSP_E_NS1_11comp_targetILNS1_3genE10ELNS1_11target_archE1201ELNS1_3gpuE5ELNS1_3repE0EEENS1_30default_config_static_selectorELNS0_4arch9wavefront6targetE1EEEvT1_, .Lfunc_end2545-_ZN7rocprim17ROCPRIM_400000_NS6detail17trampoline_kernelINS0_14default_configENS1_20scan_config_selectorItEEZZNS1_9scan_implILNS1_25lookback_scan_determinismE0ELb1ELb1ES3_N6thrust23THRUST_200600_302600_NS6detail15normal_iteratorINS9_10device_ptrItEEEESE_t11max_functorItEtEEDaPvRmT3_T4_T5_mT6_P12ihipStream_tbENKUlT_T0_E_clISt17integral_constantIbLb0EEST_IbLb1EEEEDaSP_SQ_EUlSP_E_NS1_11comp_targetILNS1_3genE10ELNS1_11target_archE1201ELNS1_3gpuE5ELNS1_3repE0EEENS1_30default_config_static_selectorELNS0_4arch9wavefront6targetE1EEEvT1_
                                        ; -- End function
	.section	.AMDGPU.csdata,"",@progbits
; Kernel info:
; codeLenInByte = 0
; NumSgprs: 4
; NumVgprs: 0
; NumAgprs: 0
; TotalNumVgprs: 0
; ScratchSize: 0
; MemoryBound: 0
; FloatMode: 240
; IeeeMode: 1
; LDSByteSize: 0 bytes/workgroup (compile time only)
; SGPRBlocks: 0
; VGPRBlocks: 0
; NumSGPRsForWavesPerEU: 4
; NumVGPRsForWavesPerEU: 1
; AccumOffset: 4
; Occupancy: 8
; WaveLimiterHint : 0
; COMPUTE_PGM_RSRC2:SCRATCH_EN: 0
; COMPUTE_PGM_RSRC2:USER_SGPR: 6
; COMPUTE_PGM_RSRC2:TRAP_HANDLER: 0
; COMPUTE_PGM_RSRC2:TGID_X_EN: 1
; COMPUTE_PGM_RSRC2:TGID_Y_EN: 0
; COMPUTE_PGM_RSRC2:TGID_Z_EN: 0
; COMPUTE_PGM_RSRC2:TIDIG_COMP_CNT: 0
; COMPUTE_PGM_RSRC3_GFX90A:ACCUM_OFFSET: 0
; COMPUTE_PGM_RSRC3_GFX90A:TG_SPLIT: 0
	.section	.text._ZN7rocprim17ROCPRIM_400000_NS6detail17trampoline_kernelINS0_14default_configENS1_20scan_config_selectorItEEZZNS1_9scan_implILNS1_25lookback_scan_determinismE0ELb1ELb1ES3_N6thrust23THRUST_200600_302600_NS6detail15normal_iteratorINS9_10device_ptrItEEEESE_t11max_functorItEtEEDaPvRmT3_T4_T5_mT6_P12ihipStream_tbENKUlT_T0_E_clISt17integral_constantIbLb0EEST_IbLb1EEEEDaSP_SQ_EUlSP_E_NS1_11comp_targetILNS1_3genE10ELNS1_11target_archE1200ELNS1_3gpuE4ELNS1_3repE0EEENS1_30default_config_static_selectorELNS0_4arch9wavefront6targetE1EEEvT1_,"axG",@progbits,_ZN7rocprim17ROCPRIM_400000_NS6detail17trampoline_kernelINS0_14default_configENS1_20scan_config_selectorItEEZZNS1_9scan_implILNS1_25lookback_scan_determinismE0ELb1ELb1ES3_N6thrust23THRUST_200600_302600_NS6detail15normal_iteratorINS9_10device_ptrItEEEESE_t11max_functorItEtEEDaPvRmT3_T4_T5_mT6_P12ihipStream_tbENKUlT_T0_E_clISt17integral_constantIbLb0EEST_IbLb1EEEEDaSP_SQ_EUlSP_E_NS1_11comp_targetILNS1_3genE10ELNS1_11target_archE1200ELNS1_3gpuE4ELNS1_3repE0EEENS1_30default_config_static_selectorELNS0_4arch9wavefront6targetE1EEEvT1_,comdat
	.protected	_ZN7rocprim17ROCPRIM_400000_NS6detail17trampoline_kernelINS0_14default_configENS1_20scan_config_selectorItEEZZNS1_9scan_implILNS1_25lookback_scan_determinismE0ELb1ELb1ES3_N6thrust23THRUST_200600_302600_NS6detail15normal_iteratorINS9_10device_ptrItEEEESE_t11max_functorItEtEEDaPvRmT3_T4_T5_mT6_P12ihipStream_tbENKUlT_T0_E_clISt17integral_constantIbLb0EEST_IbLb1EEEEDaSP_SQ_EUlSP_E_NS1_11comp_targetILNS1_3genE10ELNS1_11target_archE1200ELNS1_3gpuE4ELNS1_3repE0EEENS1_30default_config_static_selectorELNS0_4arch9wavefront6targetE1EEEvT1_ ; -- Begin function _ZN7rocprim17ROCPRIM_400000_NS6detail17trampoline_kernelINS0_14default_configENS1_20scan_config_selectorItEEZZNS1_9scan_implILNS1_25lookback_scan_determinismE0ELb1ELb1ES3_N6thrust23THRUST_200600_302600_NS6detail15normal_iteratorINS9_10device_ptrItEEEESE_t11max_functorItEtEEDaPvRmT3_T4_T5_mT6_P12ihipStream_tbENKUlT_T0_E_clISt17integral_constantIbLb0EEST_IbLb1EEEEDaSP_SQ_EUlSP_E_NS1_11comp_targetILNS1_3genE10ELNS1_11target_archE1200ELNS1_3gpuE4ELNS1_3repE0EEENS1_30default_config_static_selectorELNS0_4arch9wavefront6targetE1EEEvT1_
	.globl	_ZN7rocprim17ROCPRIM_400000_NS6detail17trampoline_kernelINS0_14default_configENS1_20scan_config_selectorItEEZZNS1_9scan_implILNS1_25lookback_scan_determinismE0ELb1ELb1ES3_N6thrust23THRUST_200600_302600_NS6detail15normal_iteratorINS9_10device_ptrItEEEESE_t11max_functorItEtEEDaPvRmT3_T4_T5_mT6_P12ihipStream_tbENKUlT_T0_E_clISt17integral_constantIbLb0EEST_IbLb1EEEEDaSP_SQ_EUlSP_E_NS1_11comp_targetILNS1_3genE10ELNS1_11target_archE1200ELNS1_3gpuE4ELNS1_3repE0EEENS1_30default_config_static_selectorELNS0_4arch9wavefront6targetE1EEEvT1_
	.p2align	8
	.type	_ZN7rocprim17ROCPRIM_400000_NS6detail17trampoline_kernelINS0_14default_configENS1_20scan_config_selectorItEEZZNS1_9scan_implILNS1_25lookback_scan_determinismE0ELb1ELb1ES3_N6thrust23THRUST_200600_302600_NS6detail15normal_iteratorINS9_10device_ptrItEEEESE_t11max_functorItEtEEDaPvRmT3_T4_T5_mT6_P12ihipStream_tbENKUlT_T0_E_clISt17integral_constantIbLb0EEST_IbLb1EEEEDaSP_SQ_EUlSP_E_NS1_11comp_targetILNS1_3genE10ELNS1_11target_archE1200ELNS1_3gpuE4ELNS1_3repE0EEENS1_30default_config_static_selectorELNS0_4arch9wavefront6targetE1EEEvT1_,@function
_ZN7rocprim17ROCPRIM_400000_NS6detail17trampoline_kernelINS0_14default_configENS1_20scan_config_selectorItEEZZNS1_9scan_implILNS1_25lookback_scan_determinismE0ELb1ELb1ES3_N6thrust23THRUST_200600_302600_NS6detail15normal_iteratorINS9_10device_ptrItEEEESE_t11max_functorItEtEEDaPvRmT3_T4_T5_mT6_P12ihipStream_tbENKUlT_T0_E_clISt17integral_constantIbLb0EEST_IbLb1EEEEDaSP_SQ_EUlSP_E_NS1_11comp_targetILNS1_3genE10ELNS1_11target_archE1200ELNS1_3gpuE4ELNS1_3repE0EEENS1_30default_config_static_selectorELNS0_4arch9wavefront6targetE1EEEvT1_: ; @_ZN7rocprim17ROCPRIM_400000_NS6detail17trampoline_kernelINS0_14default_configENS1_20scan_config_selectorItEEZZNS1_9scan_implILNS1_25lookback_scan_determinismE0ELb1ELb1ES3_N6thrust23THRUST_200600_302600_NS6detail15normal_iteratorINS9_10device_ptrItEEEESE_t11max_functorItEtEEDaPvRmT3_T4_T5_mT6_P12ihipStream_tbENKUlT_T0_E_clISt17integral_constantIbLb0EEST_IbLb1EEEEDaSP_SQ_EUlSP_E_NS1_11comp_targetILNS1_3genE10ELNS1_11target_archE1200ELNS1_3gpuE4ELNS1_3repE0EEENS1_30default_config_static_selectorELNS0_4arch9wavefront6targetE1EEEvT1_
; %bb.0:
	.section	.rodata,"a",@progbits
	.p2align	6, 0x0
	.amdhsa_kernel _ZN7rocprim17ROCPRIM_400000_NS6detail17trampoline_kernelINS0_14default_configENS1_20scan_config_selectorItEEZZNS1_9scan_implILNS1_25lookback_scan_determinismE0ELb1ELb1ES3_N6thrust23THRUST_200600_302600_NS6detail15normal_iteratorINS9_10device_ptrItEEEESE_t11max_functorItEtEEDaPvRmT3_T4_T5_mT6_P12ihipStream_tbENKUlT_T0_E_clISt17integral_constantIbLb0EEST_IbLb1EEEEDaSP_SQ_EUlSP_E_NS1_11comp_targetILNS1_3genE10ELNS1_11target_archE1200ELNS1_3gpuE4ELNS1_3repE0EEENS1_30default_config_static_selectorELNS0_4arch9wavefront6targetE1EEEvT1_
		.amdhsa_group_segment_fixed_size 0
		.amdhsa_private_segment_fixed_size 0
		.amdhsa_kernarg_size 96
		.amdhsa_user_sgpr_count 6
		.amdhsa_user_sgpr_private_segment_buffer 1
		.amdhsa_user_sgpr_dispatch_ptr 0
		.amdhsa_user_sgpr_queue_ptr 0
		.amdhsa_user_sgpr_kernarg_segment_ptr 1
		.amdhsa_user_sgpr_dispatch_id 0
		.amdhsa_user_sgpr_flat_scratch_init 0
		.amdhsa_user_sgpr_kernarg_preload_length 0
		.amdhsa_user_sgpr_kernarg_preload_offset 0
		.amdhsa_user_sgpr_private_segment_size 0
		.amdhsa_uses_dynamic_stack 0
		.amdhsa_system_sgpr_private_segment_wavefront_offset 0
		.amdhsa_system_sgpr_workgroup_id_x 1
		.amdhsa_system_sgpr_workgroup_id_y 0
		.amdhsa_system_sgpr_workgroup_id_z 0
		.amdhsa_system_sgpr_workgroup_info 0
		.amdhsa_system_vgpr_workitem_id 0
		.amdhsa_next_free_vgpr 1
		.amdhsa_next_free_sgpr 0
		.amdhsa_accum_offset 4
		.amdhsa_reserve_vcc 0
		.amdhsa_reserve_flat_scratch 0
		.amdhsa_float_round_mode_32 0
		.amdhsa_float_round_mode_16_64 0
		.amdhsa_float_denorm_mode_32 3
		.amdhsa_float_denorm_mode_16_64 3
		.amdhsa_dx10_clamp 1
		.amdhsa_ieee_mode 1
		.amdhsa_fp16_overflow 0
		.amdhsa_tg_split 0
		.amdhsa_exception_fp_ieee_invalid_op 0
		.amdhsa_exception_fp_denorm_src 0
		.amdhsa_exception_fp_ieee_div_zero 0
		.amdhsa_exception_fp_ieee_overflow 0
		.amdhsa_exception_fp_ieee_underflow 0
		.amdhsa_exception_fp_ieee_inexact 0
		.amdhsa_exception_int_div_zero 0
	.end_amdhsa_kernel
	.section	.text._ZN7rocprim17ROCPRIM_400000_NS6detail17trampoline_kernelINS0_14default_configENS1_20scan_config_selectorItEEZZNS1_9scan_implILNS1_25lookback_scan_determinismE0ELb1ELb1ES3_N6thrust23THRUST_200600_302600_NS6detail15normal_iteratorINS9_10device_ptrItEEEESE_t11max_functorItEtEEDaPvRmT3_T4_T5_mT6_P12ihipStream_tbENKUlT_T0_E_clISt17integral_constantIbLb0EEST_IbLb1EEEEDaSP_SQ_EUlSP_E_NS1_11comp_targetILNS1_3genE10ELNS1_11target_archE1200ELNS1_3gpuE4ELNS1_3repE0EEENS1_30default_config_static_selectorELNS0_4arch9wavefront6targetE1EEEvT1_,"axG",@progbits,_ZN7rocprim17ROCPRIM_400000_NS6detail17trampoline_kernelINS0_14default_configENS1_20scan_config_selectorItEEZZNS1_9scan_implILNS1_25lookback_scan_determinismE0ELb1ELb1ES3_N6thrust23THRUST_200600_302600_NS6detail15normal_iteratorINS9_10device_ptrItEEEESE_t11max_functorItEtEEDaPvRmT3_T4_T5_mT6_P12ihipStream_tbENKUlT_T0_E_clISt17integral_constantIbLb0EEST_IbLb1EEEEDaSP_SQ_EUlSP_E_NS1_11comp_targetILNS1_3genE10ELNS1_11target_archE1200ELNS1_3gpuE4ELNS1_3repE0EEENS1_30default_config_static_selectorELNS0_4arch9wavefront6targetE1EEEvT1_,comdat
.Lfunc_end2546:
	.size	_ZN7rocprim17ROCPRIM_400000_NS6detail17trampoline_kernelINS0_14default_configENS1_20scan_config_selectorItEEZZNS1_9scan_implILNS1_25lookback_scan_determinismE0ELb1ELb1ES3_N6thrust23THRUST_200600_302600_NS6detail15normal_iteratorINS9_10device_ptrItEEEESE_t11max_functorItEtEEDaPvRmT3_T4_T5_mT6_P12ihipStream_tbENKUlT_T0_E_clISt17integral_constantIbLb0EEST_IbLb1EEEEDaSP_SQ_EUlSP_E_NS1_11comp_targetILNS1_3genE10ELNS1_11target_archE1200ELNS1_3gpuE4ELNS1_3repE0EEENS1_30default_config_static_selectorELNS0_4arch9wavefront6targetE1EEEvT1_, .Lfunc_end2546-_ZN7rocprim17ROCPRIM_400000_NS6detail17trampoline_kernelINS0_14default_configENS1_20scan_config_selectorItEEZZNS1_9scan_implILNS1_25lookback_scan_determinismE0ELb1ELb1ES3_N6thrust23THRUST_200600_302600_NS6detail15normal_iteratorINS9_10device_ptrItEEEESE_t11max_functorItEtEEDaPvRmT3_T4_T5_mT6_P12ihipStream_tbENKUlT_T0_E_clISt17integral_constantIbLb0EEST_IbLb1EEEEDaSP_SQ_EUlSP_E_NS1_11comp_targetILNS1_3genE10ELNS1_11target_archE1200ELNS1_3gpuE4ELNS1_3repE0EEENS1_30default_config_static_selectorELNS0_4arch9wavefront6targetE1EEEvT1_
                                        ; -- End function
	.section	.AMDGPU.csdata,"",@progbits
; Kernel info:
; codeLenInByte = 0
; NumSgprs: 4
; NumVgprs: 0
; NumAgprs: 0
; TotalNumVgprs: 0
; ScratchSize: 0
; MemoryBound: 0
; FloatMode: 240
; IeeeMode: 1
; LDSByteSize: 0 bytes/workgroup (compile time only)
; SGPRBlocks: 0
; VGPRBlocks: 0
; NumSGPRsForWavesPerEU: 4
; NumVGPRsForWavesPerEU: 1
; AccumOffset: 4
; Occupancy: 8
; WaveLimiterHint : 0
; COMPUTE_PGM_RSRC2:SCRATCH_EN: 0
; COMPUTE_PGM_RSRC2:USER_SGPR: 6
; COMPUTE_PGM_RSRC2:TRAP_HANDLER: 0
; COMPUTE_PGM_RSRC2:TGID_X_EN: 1
; COMPUTE_PGM_RSRC2:TGID_Y_EN: 0
; COMPUTE_PGM_RSRC2:TGID_Z_EN: 0
; COMPUTE_PGM_RSRC2:TIDIG_COMP_CNT: 0
; COMPUTE_PGM_RSRC3_GFX90A:ACCUM_OFFSET: 0
; COMPUTE_PGM_RSRC3_GFX90A:TG_SPLIT: 0
	.section	.text._ZN7rocprim17ROCPRIM_400000_NS6detail17trampoline_kernelINS0_14default_configENS1_20scan_config_selectorItEEZZNS1_9scan_implILNS1_25lookback_scan_determinismE0ELb1ELb1ES3_N6thrust23THRUST_200600_302600_NS6detail15normal_iteratorINS9_10device_ptrItEEEESE_t11max_functorItEtEEDaPvRmT3_T4_T5_mT6_P12ihipStream_tbENKUlT_T0_E_clISt17integral_constantIbLb0EEST_IbLb1EEEEDaSP_SQ_EUlSP_E_NS1_11comp_targetILNS1_3genE9ELNS1_11target_archE1100ELNS1_3gpuE3ELNS1_3repE0EEENS1_30default_config_static_selectorELNS0_4arch9wavefront6targetE1EEEvT1_,"axG",@progbits,_ZN7rocprim17ROCPRIM_400000_NS6detail17trampoline_kernelINS0_14default_configENS1_20scan_config_selectorItEEZZNS1_9scan_implILNS1_25lookback_scan_determinismE0ELb1ELb1ES3_N6thrust23THRUST_200600_302600_NS6detail15normal_iteratorINS9_10device_ptrItEEEESE_t11max_functorItEtEEDaPvRmT3_T4_T5_mT6_P12ihipStream_tbENKUlT_T0_E_clISt17integral_constantIbLb0EEST_IbLb1EEEEDaSP_SQ_EUlSP_E_NS1_11comp_targetILNS1_3genE9ELNS1_11target_archE1100ELNS1_3gpuE3ELNS1_3repE0EEENS1_30default_config_static_selectorELNS0_4arch9wavefront6targetE1EEEvT1_,comdat
	.protected	_ZN7rocprim17ROCPRIM_400000_NS6detail17trampoline_kernelINS0_14default_configENS1_20scan_config_selectorItEEZZNS1_9scan_implILNS1_25lookback_scan_determinismE0ELb1ELb1ES3_N6thrust23THRUST_200600_302600_NS6detail15normal_iteratorINS9_10device_ptrItEEEESE_t11max_functorItEtEEDaPvRmT3_T4_T5_mT6_P12ihipStream_tbENKUlT_T0_E_clISt17integral_constantIbLb0EEST_IbLb1EEEEDaSP_SQ_EUlSP_E_NS1_11comp_targetILNS1_3genE9ELNS1_11target_archE1100ELNS1_3gpuE3ELNS1_3repE0EEENS1_30default_config_static_selectorELNS0_4arch9wavefront6targetE1EEEvT1_ ; -- Begin function _ZN7rocprim17ROCPRIM_400000_NS6detail17trampoline_kernelINS0_14default_configENS1_20scan_config_selectorItEEZZNS1_9scan_implILNS1_25lookback_scan_determinismE0ELb1ELb1ES3_N6thrust23THRUST_200600_302600_NS6detail15normal_iteratorINS9_10device_ptrItEEEESE_t11max_functorItEtEEDaPvRmT3_T4_T5_mT6_P12ihipStream_tbENKUlT_T0_E_clISt17integral_constantIbLb0EEST_IbLb1EEEEDaSP_SQ_EUlSP_E_NS1_11comp_targetILNS1_3genE9ELNS1_11target_archE1100ELNS1_3gpuE3ELNS1_3repE0EEENS1_30default_config_static_selectorELNS0_4arch9wavefront6targetE1EEEvT1_
	.globl	_ZN7rocprim17ROCPRIM_400000_NS6detail17trampoline_kernelINS0_14default_configENS1_20scan_config_selectorItEEZZNS1_9scan_implILNS1_25lookback_scan_determinismE0ELb1ELb1ES3_N6thrust23THRUST_200600_302600_NS6detail15normal_iteratorINS9_10device_ptrItEEEESE_t11max_functorItEtEEDaPvRmT3_T4_T5_mT6_P12ihipStream_tbENKUlT_T0_E_clISt17integral_constantIbLb0EEST_IbLb1EEEEDaSP_SQ_EUlSP_E_NS1_11comp_targetILNS1_3genE9ELNS1_11target_archE1100ELNS1_3gpuE3ELNS1_3repE0EEENS1_30default_config_static_selectorELNS0_4arch9wavefront6targetE1EEEvT1_
	.p2align	8
	.type	_ZN7rocprim17ROCPRIM_400000_NS6detail17trampoline_kernelINS0_14default_configENS1_20scan_config_selectorItEEZZNS1_9scan_implILNS1_25lookback_scan_determinismE0ELb1ELb1ES3_N6thrust23THRUST_200600_302600_NS6detail15normal_iteratorINS9_10device_ptrItEEEESE_t11max_functorItEtEEDaPvRmT3_T4_T5_mT6_P12ihipStream_tbENKUlT_T0_E_clISt17integral_constantIbLb0EEST_IbLb1EEEEDaSP_SQ_EUlSP_E_NS1_11comp_targetILNS1_3genE9ELNS1_11target_archE1100ELNS1_3gpuE3ELNS1_3repE0EEENS1_30default_config_static_selectorELNS0_4arch9wavefront6targetE1EEEvT1_,@function
_ZN7rocprim17ROCPRIM_400000_NS6detail17trampoline_kernelINS0_14default_configENS1_20scan_config_selectorItEEZZNS1_9scan_implILNS1_25lookback_scan_determinismE0ELb1ELb1ES3_N6thrust23THRUST_200600_302600_NS6detail15normal_iteratorINS9_10device_ptrItEEEESE_t11max_functorItEtEEDaPvRmT3_T4_T5_mT6_P12ihipStream_tbENKUlT_T0_E_clISt17integral_constantIbLb0EEST_IbLb1EEEEDaSP_SQ_EUlSP_E_NS1_11comp_targetILNS1_3genE9ELNS1_11target_archE1100ELNS1_3gpuE3ELNS1_3repE0EEENS1_30default_config_static_selectorELNS0_4arch9wavefront6targetE1EEEvT1_: ; @_ZN7rocprim17ROCPRIM_400000_NS6detail17trampoline_kernelINS0_14default_configENS1_20scan_config_selectorItEEZZNS1_9scan_implILNS1_25lookback_scan_determinismE0ELb1ELb1ES3_N6thrust23THRUST_200600_302600_NS6detail15normal_iteratorINS9_10device_ptrItEEEESE_t11max_functorItEtEEDaPvRmT3_T4_T5_mT6_P12ihipStream_tbENKUlT_T0_E_clISt17integral_constantIbLb0EEST_IbLb1EEEEDaSP_SQ_EUlSP_E_NS1_11comp_targetILNS1_3genE9ELNS1_11target_archE1100ELNS1_3gpuE3ELNS1_3repE0EEENS1_30default_config_static_selectorELNS0_4arch9wavefront6targetE1EEEvT1_
; %bb.0:
	.section	.rodata,"a",@progbits
	.p2align	6, 0x0
	.amdhsa_kernel _ZN7rocprim17ROCPRIM_400000_NS6detail17trampoline_kernelINS0_14default_configENS1_20scan_config_selectorItEEZZNS1_9scan_implILNS1_25lookback_scan_determinismE0ELb1ELb1ES3_N6thrust23THRUST_200600_302600_NS6detail15normal_iteratorINS9_10device_ptrItEEEESE_t11max_functorItEtEEDaPvRmT3_T4_T5_mT6_P12ihipStream_tbENKUlT_T0_E_clISt17integral_constantIbLb0EEST_IbLb1EEEEDaSP_SQ_EUlSP_E_NS1_11comp_targetILNS1_3genE9ELNS1_11target_archE1100ELNS1_3gpuE3ELNS1_3repE0EEENS1_30default_config_static_selectorELNS0_4arch9wavefront6targetE1EEEvT1_
		.amdhsa_group_segment_fixed_size 0
		.amdhsa_private_segment_fixed_size 0
		.amdhsa_kernarg_size 96
		.amdhsa_user_sgpr_count 6
		.amdhsa_user_sgpr_private_segment_buffer 1
		.amdhsa_user_sgpr_dispatch_ptr 0
		.amdhsa_user_sgpr_queue_ptr 0
		.amdhsa_user_sgpr_kernarg_segment_ptr 1
		.amdhsa_user_sgpr_dispatch_id 0
		.amdhsa_user_sgpr_flat_scratch_init 0
		.amdhsa_user_sgpr_kernarg_preload_length 0
		.amdhsa_user_sgpr_kernarg_preload_offset 0
		.amdhsa_user_sgpr_private_segment_size 0
		.amdhsa_uses_dynamic_stack 0
		.amdhsa_system_sgpr_private_segment_wavefront_offset 0
		.amdhsa_system_sgpr_workgroup_id_x 1
		.amdhsa_system_sgpr_workgroup_id_y 0
		.amdhsa_system_sgpr_workgroup_id_z 0
		.amdhsa_system_sgpr_workgroup_info 0
		.amdhsa_system_vgpr_workitem_id 0
		.amdhsa_next_free_vgpr 1
		.amdhsa_next_free_sgpr 0
		.amdhsa_accum_offset 4
		.amdhsa_reserve_vcc 0
		.amdhsa_reserve_flat_scratch 0
		.amdhsa_float_round_mode_32 0
		.amdhsa_float_round_mode_16_64 0
		.amdhsa_float_denorm_mode_32 3
		.amdhsa_float_denorm_mode_16_64 3
		.amdhsa_dx10_clamp 1
		.amdhsa_ieee_mode 1
		.amdhsa_fp16_overflow 0
		.amdhsa_tg_split 0
		.amdhsa_exception_fp_ieee_invalid_op 0
		.amdhsa_exception_fp_denorm_src 0
		.amdhsa_exception_fp_ieee_div_zero 0
		.amdhsa_exception_fp_ieee_overflow 0
		.amdhsa_exception_fp_ieee_underflow 0
		.amdhsa_exception_fp_ieee_inexact 0
		.amdhsa_exception_int_div_zero 0
	.end_amdhsa_kernel
	.section	.text._ZN7rocprim17ROCPRIM_400000_NS6detail17trampoline_kernelINS0_14default_configENS1_20scan_config_selectorItEEZZNS1_9scan_implILNS1_25lookback_scan_determinismE0ELb1ELb1ES3_N6thrust23THRUST_200600_302600_NS6detail15normal_iteratorINS9_10device_ptrItEEEESE_t11max_functorItEtEEDaPvRmT3_T4_T5_mT6_P12ihipStream_tbENKUlT_T0_E_clISt17integral_constantIbLb0EEST_IbLb1EEEEDaSP_SQ_EUlSP_E_NS1_11comp_targetILNS1_3genE9ELNS1_11target_archE1100ELNS1_3gpuE3ELNS1_3repE0EEENS1_30default_config_static_selectorELNS0_4arch9wavefront6targetE1EEEvT1_,"axG",@progbits,_ZN7rocprim17ROCPRIM_400000_NS6detail17trampoline_kernelINS0_14default_configENS1_20scan_config_selectorItEEZZNS1_9scan_implILNS1_25lookback_scan_determinismE0ELb1ELb1ES3_N6thrust23THRUST_200600_302600_NS6detail15normal_iteratorINS9_10device_ptrItEEEESE_t11max_functorItEtEEDaPvRmT3_T4_T5_mT6_P12ihipStream_tbENKUlT_T0_E_clISt17integral_constantIbLb0EEST_IbLb1EEEEDaSP_SQ_EUlSP_E_NS1_11comp_targetILNS1_3genE9ELNS1_11target_archE1100ELNS1_3gpuE3ELNS1_3repE0EEENS1_30default_config_static_selectorELNS0_4arch9wavefront6targetE1EEEvT1_,comdat
.Lfunc_end2547:
	.size	_ZN7rocprim17ROCPRIM_400000_NS6detail17trampoline_kernelINS0_14default_configENS1_20scan_config_selectorItEEZZNS1_9scan_implILNS1_25lookback_scan_determinismE0ELb1ELb1ES3_N6thrust23THRUST_200600_302600_NS6detail15normal_iteratorINS9_10device_ptrItEEEESE_t11max_functorItEtEEDaPvRmT3_T4_T5_mT6_P12ihipStream_tbENKUlT_T0_E_clISt17integral_constantIbLb0EEST_IbLb1EEEEDaSP_SQ_EUlSP_E_NS1_11comp_targetILNS1_3genE9ELNS1_11target_archE1100ELNS1_3gpuE3ELNS1_3repE0EEENS1_30default_config_static_selectorELNS0_4arch9wavefront6targetE1EEEvT1_, .Lfunc_end2547-_ZN7rocprim17ROCPRIM_400000_NS6detail17trampoline_kernelINS0_14default_configENS1_20scan_config_selectorItEEZZNS1_9scan_implILNS1_25lookback_scan_determinismE0ELb1ELb1ES3_N6thrust23THRUST_200600_302600_NS6detail15normal_iteratorINS9_10device_ptrItEEEESE_t11max_functorItEtEEDaPvRmT3_T4_T5_mT6_P12ihipStream_tbENKUlT_T0_E_clISt17integral_constantIbLb0EEST_IbLb1EEEEDaSP_SQ_EUlSP_E_NS1_11comp_targetILNS1_3genE9ELNS1_11target_archE1100ELNS1_3gpuE3ELNS1_3repE0EEENS1_30default_config_static_selectorELNS0_4arch9wavefront6targetE1EEEvT1_
                                        ; -- End function
	.section	.AMDGPU.csdata,"",@progbits
; Kernel info:
; codeLenInByte = 0
; NumSgprs: 4
; NumVgprs: 0
; NumAgprs: 0
; TotalNumVgprs: 0
; ScratchSize: 0
; MemoryBound: 0
; FloatMode: 240
; IeeeMode: 1
; LDSByteSize: 0 bytes/workgroup (compile time only)
; SGPRBlocks: 0
; VGPRBlocks: 0
; NumSGPRsForWavesPerEU: 4
; NumVGPRsForWavesPerEU: 1
; AccumOffset: 4
; Occupancy: 8
; WaveLimiterHint : 0
; COMPUTE_PGM_RSRC2:SCRATCH_EN: 0
; COMPUTE_PGM_RSRC2:USER_SGPR: 6
; COMPUTE_PGM_RSRC2:TRAP_HANDLER: 0
; COMPUTE_PGM_RSRC2:TGID_X_EN: 1
; COMPUTE_PGM_RSRC2:TGID_Y_EN: 0
; COMPUTE_PGM_RSRC2:TGID_Z_EN: 0
; COMPUTE_PGM_RSRC2:TIDIG_COMP_CNT: 0
; COMPUTE_PGM_RSRC3_GFX90A:ACCUM_OFFSET: 0
; COMPUTE_PGM_RSRC3_GFX90A:TG_SPLIT: 0
	.section	.text._ZN7rocprim17ROCPRIM_400000_NS6detail17trampoline_kernelINS0_14default_configENS1_20scan_config_selectorItEEZZNS1_9scan_implILNS1_25lookback_scan_determinismE0ELb1ELb1ES3_N6thrust23THRUST_200600_302600_NS6detail15normal_iteratorINS9_10device_ptrItEEEESE_t11max_functorItEtEEDaPvRmT3_T4_T5_mT6_P12ihipStream_tbENKUlT_T0_E_clISt17integral_constantIbLb0EEST_IbLb1EEEEDaSP_SQ_EUlSP_E_NS1_11comp_targetILNS1_3genE8ELNS1_11target_archE1030ELNS1_3gpuE2ELNS1_3repE0EEENS1_30default_config_static_selectorELNS0_4arch9wavefront6targetE1EEEvT1_,"axG",@progbits,_ZN7rocprim17ROCPRIM_400000_NS6detail17trampoline_kernelINS0_14default_configENS1_20scan_config_selectorItEEZZNS1_9scan_implILNS1_25lookback_scan_determinismE0ELb1ELb1ES3_N6thrust23THRUST_200600_302600_NS6detail15normal_iteratorINS9_10device_ptrItEEEESE_t11max_functorItEtEEDaPvRmT3_T4_T5_mT6_P12ihipStream_tbENKUlT_T0_E_clISt17integral_constantIbLb0EEST_IbLb1EEEEDaSP_SQ_EUlSP_E_NS1_11comp_targetILNS1_3genE8ELNS1_11target_archE1030ELNS1_3gpuE2ELNS1_3repE0EEENS1_30default_config_static_selectorELNS0_4arch9wavefront6targetE1EEEvT1_,comdat
	.protected	_ZN7rocprim17ROCPRIM_400000_NS6detail17trampoline_kernelINS0_14default_configENS1_20scan_config_selectorItEEZZNS1_9scan_implILNS1_25lookback_scan_determinismE0ELb1ELb1ES3_N6thrust23THRUST_200600_302600_NS6detail15normal_iteratorINS9_10device_ptrItEEEESE_t11max_functorItEtEEDaPvRmT3_T4_T5_mT6_P12ihipStream_tbENKUlT_T0_E_clISt17integral_constantIbLb0EEST_IbLb1EEEEDaSP_SQ_EUlSP_E_NS1_11comp_targetILNS1_3genE8ELNS1_11target_archE1030ELNS1_3gpuE2ELNS1_3repE0EEENS1_30default_config_static_selectorELNS0_4arch9wavefront6targetE1EEEvT1_ ; -- Begin function _ZN7rocprim17ROCPRIM_400000_NS6detail17trampoline_kernelINS0_14default_configENS1_20scan_config_selectorItEEZZNS1_9scan_implILNS1_25lookback_scan_determinismE0ELb1ELb1ES3_N6thrust23THRUST_200600_302600_NS6detail15normal_iteratorINS9_10device_ptrItEEEESE_t11max_functorItEtEEDaPvRmT3_T4_T5_mT6_P12ihipStream_tbENKUlT_T0_E_clISt17integral_constantIbLb0EEST_IbLb1EEEEDaSP_SQ_EUlSP_E_NS1_11comp_targetILNS1_3genE8ELNS1_11target_archE1030ELNS1_3gpuE2ELNS1_3repE0EEENS1_30default_config_static_selectorELNS0_4arch9wavefront6targetE1EEEvT1_
	.globl	_ZN7rocprim17ROCPRIM_400000_NS6detail17trampoline_kernelINS0_14default_configENS1_20scan_config_selectorItEEZZNS1_9scan_implILNS1_25lookback_scan_determinismE0ELb1ELb1ES3_N6thrust23THRUST_200600_302600_NS6detail15normal_iteratorINS9_10device_ptrItEEEESE_t11max_functorItEtEEDaPvRmT3_T4_T5_mT6_P12ihipStream_tbENKUlT_T0_E_clISt17integral_constantIbLb0EEST_IbLb1EEEEDaSP_SQ_EUlSP_E_NS1_11comp_targetILNS1_3genE8ELNS1_11target_archE1030ELNS1_3gpuE2ELNS1_3repE0EEENS1_30default_config_static_selectorELNS0_4arch9wavefront6targetE1EEEvT1_
	.p2align	8
	.type	_ZN7rocprim17ROCPRIM_400000_NS6detail17trampoline_kernelINS0_14default_configENS1_20scan_config_selectorItEEZZNS1_9scan_implILNS1_25lookback_scan_determinismE0ELb1ELb1ES3_N6thrust23THRUST_200600_302600_NS6detail15normal_iteratorINS9_10device_ptrItEEEESE_t11max_functorItEtEEDaPvRmT3_T4_T5_mT6_P12ihipStream_tbENKUlT_T0_E_clISt17integral_constantIbLb0EEST_IbLb1EEEEDaSP_SQ_EUlSP_E_NS1_11comp_targetILNS1_3genE8ELNS1_11target_archE1030ELNS1_3gpuE2ELNS1_3repE0EEENS1_30default_config_static_selectorELNS0_4arch9wavefront6targetE1EEEvT1_,@function
_ZN7rocprim17ROCPRIM_400000_NS6detail17trampoline_kernelINS0_14default_configENS1_20scan_config_selectorItEEZZNS1_9scan_implILNS1_25lookback_scan_determinismE0ELb1ELb1ES3_N6thrust23THRUST_200600_302600_NS6detail15normal_iteratorINS9_10device_ptrItEEEESE_t11max_functorItEtEEDaPvRmT3_T4_T5_mT6_P12ihipStream_tbENKUlT_T0_E_clISt17integral_constantIbLb0EEST_IbLb1EEEEDaSP_SQ_EUlSP_E_NS1_11comp_targetILNS1_3genE8ELNS1_11target_archE1030ELNS1_3gpuE2ELNS1_3repE0EEENS1_30default_config_static_selectorELNS0_4arch9wavefront6targetE1EEEvT1_: ; @_ZN7rocprim17ROCPRIM_400000_NS6detail17trampoline_kernelINS0_14default_configENS1_20scan_config_selectorItEEZZNS1_9scan_implILNS1_25lookback_scan_determinismE0ELb1ELb1ES3_N6thrust23THRUST_200600_302600_NS6detail15normal_iteratorINS9_10device_ptrItEEEESE_t11max_functorItEtEEDaPvRmT3_T4_T5_mT6_P12ihipStream_tbENKUlT_T0_E_clISt17integral_constantIbLb0EEST_IbLb1EEEEDaSP_SQ_EUlSP_E_NS1_11comp_targetILNS1_3genE8ELNS1_11target_archE1030ELNS1_3gpuE2ELNS1_3repE0EEENS1_30default_config_static_selectorELNS0_4arch9wavefront6targetE1EEEvT1_
; %bb.0:
	.section	.rodata,"a",@progbits
	.p2align	6, 0x0
	.amdhsa_kernel _ZN7rocprim17ROCPRIM_400000_NS6detail17trampoline_kernelINS0_14default_configENS1_20scan_config_selectorItEEZZNS1_9scan_implILNS1_25lookback_scan_determinismE0ELb1ELb1ES3_N6thrust23THRUST_200600_302600_NS6detail15normal_iteratorINS9_10device_ptrItEEEESE_t11max_functorItEtEEDaPvRmT3_T4_T5_mT6_P12ihipStream_tbENKUlT_T0_E_clISt17integral_constantIbLb0EEST_IbLb1EEEEDaSP_SQ_EUlSP_E_NS1_11comp_targetILNS1_3genE8ELNS1_11target_archE1030ELNS1_3gpuE2ELNS1_3repE0EEENS1_30default_config_static_selectorELNS0_4arch9wavefront6targetE1EEEvT1_
		.amdhsa_group_segment_fixed_size 0
		.amdhsa_private_segment_fixed_size 0
		.amdhsa_kernarg_size 96
		.amdhsa_user_sgpr_count 6
		.amdhsa_user_sgpr_private_segment_buffer 1
		.amdhsa_user_sgpr_dispatch_ptr 0
		.amdhsa_user_sgpr_queue_ptr 0
		.amdhsa_user_sgpr_kernarg_segment_ptr 1
		.amdhsa_user_sgpr_dispatch_id 0
		.amdhsa_user_sgpr_flat_scratch_init 0
		.amdhsa_user_sgpr_kernarg_preload_length 0
		.amdhsa_user_sgpr_kernarg_preload_offset 0
		.amdhsa_user_sgpr_private_segment_size 0
		.amdhsa_uses_dynamic_stack 0
		.amdhsa_system_sgpr_private_segment_wavefront_offset 0
		.amdhsa_system_sgpr_workgroup_id_x 1
		.amdhsa_system_sgpr_workgroup_id_y 0
		.amdhsa_system_sgpr_workgroup_id_z 0
		.amdhsa_system_sgpr_workgroup_info 0
		.amdhsa_system_vgpr_workitem_id 0
		.amdhsa_next_free_vgpr 1
		.amdhsa_next_free_sgpr 0
		.amdhsa_accum_offset 4
		.amdhsa_reserve_vcc 0
		.amdhsa_reserve_flat_scratch 0
		.amdhsa_float_round_mode_32 0
		.amdhsa_float_round_mode_16_64 0
		.amdhsa_float_denorm_mode_32 3
		.amdhsa_float_denorm_mode_16_64 3
		.amdhsa_dx10_clamp 1
		.amdhsa_ieee_mode 1
		.amdhsa_fp16_overflow 0
		.amdhsa_tg_split 0
		.amdhsa_exception_fp_ieee_invalid_op 0
		.amdhsa_exception_fp_denorm_src 0
		.amdhsa_exception_fp_ieee_div_zero 0
		.amdhsa_exception_fp_ieee_overflow 0
		.amdhsa_exception_fp_ieee_underflow 0
		.amdhsa_exception_fp_ieee_inexact 0
		.amdhsa_exception_int_div_zero 0
	.end_amdhsa_kernel
	.section	.text._ZN7rocprim17ROCPRIM_400000_NS6detail17trampoline_kernelINS0_14default_configENS1_20scan_config_selectorItEEZZNS1_9scan_implILNS1_25lookback_scan_determinismE0ELb1ELb1ES3_N6thrust23THRUST_200600_302600_NS6detail15normal_iteratorINS9_10device_ptrItEEEESE_t11max_functorItEtEEDaPvRmT3_T4_T5_mT6_P12ihipStream_tbENKUlT_T0_E_clISt17integral_constantIbLb0EEST_IbLb1EEEEDaSP_SQ_EUlSP_E_NS1_11comp_targetILNS1_3genE8ELNS1_11target_archE1030ELNS1_3gpuE2ELNS1_3repE0EEENS1_30default_config_static_selectorELNS0_4arch9wavefront6targetE1EEEvT1_,"axG",@progbits,_ZN7rocprim17ROCPRIM_400000_NS6detail17trampoline_kernelINS0_14default_configENS1_20scan_config_selectorItEEZZNS1_9scan_implILNS1_25lookback_scan_determinismE0ELb1ELb1ES3_N6thrust23THRUST_200600_302600_NS6detail15normal_iteratorINS9_10device_ptrItEEEESE_t11max_functorItEtEEDaPvRmT3_T4_T5_mT6_P12ihipStream_tbENKUlT_T0_E_clISt17integral_constantIbLb0EEST_IbLb1EEEEDaSP_SQ_EUlSP_E_NS1_11comp_targetILNS1_3genE8ELNS1_11target_archE1030ELNS1_3gpuE2ELNS1_3repE0EEENS1_30default_config_static_selectorELNS0_4arch9wavefront6targetE1EEEvT1_,comdat
.Lfunc_end2548:
	.size	_ZN7rocprim17ROCPRIM_400000_NS6detail17trampoline_kernelINS0_14default_configENS1_20scan_config_selectorItEEZZNS1_9scan_implILNS1_25lookback_scan_determinismE0ELb1ELb1ES3_N6thrust23THRUST_200600_302600_NS6detail15normal_iteratorINS9_10device_ptrItEEEESE_t11max_functorItEtEEDaPvRmT3_T4_T5_mT6_P12ihipStream_tbENKUlT_T0_E_clISt17integral_constantIbLb0EEST_IbLb1EEEEDaSP_SQ_EUlSP_E_NS1_11comp_targetILNS1_3genE8ELNS1_11target_archE1030ELNS1_3gpuE2ELNS1_3repE0EEENS1_30default_config_static_selectorELNS0_4arch9wavefront6targetE1EEEvT1_, .Lfunc_end2548-_ZN7rocprim17ROCPRIM_400000_NS6detail17trampoline_kernelINS0_14default_configENS1_20scan_config_selectorItEEZZNS1_9scan_implILNS1_25lookback_scan_determinismE0ELb1ELb1ES3_N6thrust23THRUST_200600_302600_NS6detail15normal_iteratorINS9_10device_ptrItEEEESE_t11max_functorItEtEEDaPvRmT3_T4_T5_mT6_P12ihipStream_tbENKUlT_T0_E_clISt17integral_constantIbLb0EEST_IbLb1EEEEDaSP_SQ_EUlSP_E_NS1_11comp_targetILNS1_3genE8ELNS1_11target_archE1030ELNS1_3gpuE2ELNS1_3repE0EEENS1_30default_config_static_selectorELNS0_4arch9wavefront6targetE1EEEvT1_
                                        ; -- End function
	.section	.AMDGPU.csdata,"",@progbits
; Kernel info:
; codeLenInByte = 0
; NumSgprs: 4
; NumVgprs: 0
; NumAgprs: 0
; TotalNumVgprs: 0
; ScratchSize: 0
; MemoryBound: 0
; FloatMode: 240
; IeeeMode: 1
; LDSByteSize: 0 bytes/workgroup (compile time only)
; SGPRBlocks: 0
; VGPRBlocks: 0
; NumSGPRsForWavesPerEU: 4
; NumVGPRsForWavesPerEU: 1
; AccumOffset: 4
; Occupancy: 8
; WaveLimiterHint : 0
; COMPUTE_PGM_RSRC2:SCRATCH_EN: 0
; COMPUTE_PGM_RSRC2:USER_SGPR: 6
; COMPUTE_PGM_RSRC2:TRAP_HANDLER: 0
; COMPUTE_PGM_RSRC2:TGID_X_EN: 1
; COMPUTE_PGM_RSRC2:TGID_Y_EN: 0
; COMPUTE_PGM_RSRC2:TGID_Z_EN: 0
; COMPUTE_PGM_RSRC2:TIDIG_COMP_CNT: 0
; COMPUTE_PGM_RSRC3_GFX90A:ACCUM_OFFSET: 0
; COMPUTE_PGM_RSRC3_GFX90A:TG_SPLIT: 0
	.section	.text._ZN7rocprim17ROCPRIM_400000_NS6detail17trampoline_kernelINS0_14default_configENS1_20scan_config_selectorItEEZZNS1_9scan_implILNS1_25lookback_scan_determinismE0ELb1ELb1ES3_N6thrust23THRUST_200600_302600_NS6detail15normal_iteratorINS9_10device_ptrItEEEESE_t11max_functorItEtEEDaPvRmT3_T4_T5_mT6_P12ihipStream_tbENKUlT_T0_E_clISt17integral_constantIbLb0EEST_IbLb1EEEEDaSP_SQ_EUlSP_E0_NS1_11comp_targetILNS1_3genE0ELNS1_11target_archE4294967295ELNS1_3gpuE0ELNS1_3repE0EEENS1_30default_config_static_selectorELNS0_4arch9wavefront6targetE1EEEvT1_,"axG",@progbits,_ZN7rocprim17ROCPRIM_400000_NS6detail17trampoline_kernelINS0_14default_configENS1_20scan_config_selectorItEEZZNS1_9scan_implILNS1_25lookback_scan_determinismE0ELb1ELb1ES3_N6thrust23THRUST_200600_302600_NS6detail15normal_iteratorINS9_10device_ptrItEEEESE_t11max_functorItEtEEDaPvRmT3_T4_T5_mT6_P12ihipStream_tbENKUlT_T0_E_clISt17integral_constantIbLb0EEST_IbLb1EEEEDaSP_SQ_EUlSP_E0_NS1_11comp_targetILNS1_3genE0ELNS1_11target_archE4294967295ELNS1_3gpuE0ELNS1_3repE0EEENS1_30default_config_static_selectorELNS0_4arch9wavefront6targetE1EEEvT1_,comdat
	.protected	_ZN7rocprim17ROCPRIM_400000_NS6detail17trampoline_kernelINS0_14default_configENS1_20scan_config_selectorItEEZZNS1_9scan_implILNS1_25lookback_scan_determinismE0ELb1ELb1ES3_N6thrust23THRUST_200600_302600_NS6detail15normal_iteratorINS9_10device_ptrItEEEESE_t11max_functorItEtEEDaPvRmT3_T4_T5_mT6_P12ihipStream_tbENKUlT_T0_E_clISt17integral_constantIbLb0EEST_IbLb1EEEEDaSP_SQ_EUlSP_E0_NS1_11comp_targetILNS1_3genE0ELNS1_11target_archE4294967295ELNS1_3gpuE0ELNS1_3repE0EEENS1_30default_config_static_selectorELNS0_4arch9wavefront6targetE1EEEvT1_ ; -- Begin function _ZN7rocprim17ROCPRIM_400000_NS6detail17trampoline_kernelINS0_14default_configENS1_20scan_config_selectorItEEZZNS1_9scan_implILNS1_25lookback_scan_determinismE0ELb1ELb1ES3_N6thrust23THRUST_200600_302600_NS6detail15normal_iteratorINS9_10device_ptrItEEEESE_t11max_functorItEtEEDaPvRmT3_T4_T5_mT6_P12ihipStream_tbENKUlT_T0_E_clISt17integral_constantIbLb0EEST_IbLb1EEEEDaSP_SQ_EUlSP_E0_NS1_11comp_targetILNS1_3genE0ELNS1_11target_archE4294967295ELNS1_3gpuE0ELNS1_3repE0EEENS1_30default_config_static_selectorELNS0_4arch9wavefront6targetE1EEEvT1_
	.globl	_ZN7rocprim17ROCPRIM_400000_NS6detail17trampoline_kernelINS0_14default_configENS1_20scan_config_selectorItEEZZNS1_9scan_implILNS1_25lookback_scan_determinismE0ELb1ELb1ES3_N6thrust23THRUST_200600_302600_NS6detail15normal_iteratorINS9_10device_ptrItEEEESE_t11max_functorItEtEEDaPvRmT3_T4_T5_mT6_P12ihipStream_tbENKUlT_T0_E_clISt17integral_constantIbLb0EEST_IbLb1EEEEDaSP_SQ_EUlSP_E0_NS1_11comp_targetILNS1_3genE0ELNS1_11target_archE4294967295ELNS1_3gpuE0ELNS1_3repE0EEENS1_30default_config_static_selectorELNS0_4arch9wavefront6targetE1EEEvT1_
	.p2align	8
	.type	_ZN7rocprim17ROCPRIM_400000_NS6detail17trampoline_kernelINS0_14default_configENS1_20scan_config_selectorItEEZZNS1_9scan_implILNS1_25lookback_scan_determinismE0ELb1ELb1ES3_N6thrust23THRUST_200600_302600_NS6detail15normal_iteratorINS9_10device_ptrItEEEESE_t11max_functorItEtEEDaPvRmT3_T4_T5_mT6_P12ihipStream_tbENKUlT_T0_E_clISt17integral_constantIbLb0EEST_IbLb1EEEEDaSP_SQ_EUlSP_E0_NS1_11comp_targetILNS1_3genE0ELNS1_11target_archE4294967295ELNS1_3gpuE0ELNS1_3repE0EEENS1_30default_config_static_selectorELNS0_4arch9wavefront6targetE1EEEvT1_,@function
_ZN7rocprim17ROCPRIM_400000_NS6detail17trampoline_kernelINS0_14default_configENS1_20scan_config_selectorItEEZZNS1_9scan_implILNS1_25lookback_scan_determinismE0ELb1ELb1ES3_N6thrust23THRUST_200600_302600_NS6detail15normal_iteratorINS9_10device_ptrItEEEESE_t11max_functorItEtEEDaPvRmT3_T4_T5_mT6_P12ihipStream_tbENKUlT_T0_E_clISt17integral_constantIbLb0EEST_IbLb1EEEEDaSP_SQ_EUlSP_E0_NS1_11comp_targetILNS1_3genE0ELNS1_11target_archE4294967295ELNS1_3gpuE0ELNS1_3repE0EEENS1_30default_config_static_selectorELNS0_4arch9wavefront6targetE1EEEvT1_: ; @_ZN7rocprim17ROCPRIM_400000_NS6detail17trampoline_kernelINS0_14default_configENS1_20scan_config_selectorItEEZZNS1_9scan_implILNS1_25lookback_scan_determinismE0ELb1ELb1ES3_N6thrust23THRUST_200600_302600_NS6detail15normal_iteratorINS9_10device_ptrItEEEESE_t11max_functorItEtEEDaPvRmT3_T4_T5_mT6_P12ihipStream_tbENKUlT_T0_E_clISt17integral_constantIbLb0EEST_IbLb1EEEEDaSP_SQ_EUlSP_E0_NS1_11comp_targetILNS1_3genE0ELNS1_11target_archE4294967295ELNS1_3gpuE0ELNS1_3repE0EEENS1_30default_config_static_selectorELNS0_4arch9wavefront6targetE1EEEvT1_
; %bb.0:
	.section	.rodata,"a",@progbits
	.p2align	6, 0x0
	.amdhsa_kernel _ZN7rocprim17ROCPRIM_400000_NS6detail17trampoline_kernelINS0_14default_configENS1_20scan_config_selectorItEEZZNS1_9scan_implILNS1_25lookback_scan_determinismE0ELb1ELb1ES3_N6thrust23THRUST_200600_302600_NS6detail15normal_iteratorINS9_10device_ptrItEEEESE_t11max_functorItEtEEDaPvRmT3_T4_T5_mT6_P12ihipStream_tbENKUlT_T0_E_clISt17integral_constantIbLb0EEST_IbLb1EEEEDaSP_SQ_EUlSP_E0_NS1_11comp_targetILNS1_3genE0ELNS1_11target_archE4294967295ELNS1_3gpuE0ELNS1_3repE0EEENS1_30default_config_static_selectorELNS0_4arch9wavefront6targetE1EEEvT1_
		.amdhsa_group_segment_fixed_size 0
		.amdhsa_private_segment_fixed_size 0
		.amdhsa_kernarg_size 32
		.amdhsa_user_sgpr_count 6
		.amdhsa_user_sgpr_private_segment_buffer 1
		.amdhsa_user_sgpr_dispatch_ptr 0
		.amdhsa_user_sgpr_queue_ptr 0
		.amdhsa_user_sgpr_kernarg_segment_ptr 1
		.amdhsa_user_sgpr_dispatch_id 0
		.amdhsa_user_sgpr_flat_scratch_init 0
		.amdhsa_user_sgpr_kernarg_preload_length 0
		.amdhsa_user_sgpr_kernarg_preload_offset 0
		.amdhsa_user_sgpr_private_segment_size 0
		.amdhsa_uses_dynamic_stack 0
		.amdhsa_system_sgpr_private_segment_wavefront_offset 0
		.amdhsa_system_sgpr_workgroup_id_x 1
		.amdhsa_system_sgpr_workgroup_id_y 0
		.amdhsa_system_sgpr_workgroup_id_z 0
		.amdhsa_system_sgpr_workgroup_info 0
		.amdhsa_system_vgpr_workitem_id 0
		.amdhsa_next_free_vgpr 1
		.amdhsa_next_free_sgpr 0
		.amdhsa_accum_offset 4
		.amdhsa_reserve_vcc 0
		.amdhsa_reserve_flat_scratch 0
		.amdhsa_float_round_mode_32 0
		.amdhsa_float_round_mode_16_64 0
		.amdhsa_float_denorm_mode_32 3
		.amdhsa_float_denorm_mode_16_64 3
		.amdhsa_dx10_clamp 1
		.amdhsa_ieee_mode 1
		.amdhsa_fp16_overflow 0
		.amdhsa_tg_split 0
		.amdhsa_exception_fp_ieee_invalid_op 0
		.amdhsa_exception_fp_denorm_src 0
		.amdhsa_exception_fp_ieee_div_zero 0
		.amdhsa_exception_fp_ieee_overflow 0
		.amdhsa_exception_fp_ieee_underflow 0
		.amdhsa_exception_fp_ieee_inexact 0
		.amdhsa_exception_int_div_zero 0
	.end_amdhsa_kernel
	.section	.text._ZN7rocprim17ROCPRIM_400000_NS6detail17trampoline_kernelINS0_14default_configENS1_20scan_config_selectorItEEZZNS1_9scan_implILNS1_25lookback_scan_determinismE0ELb1ELb1ES3_N6thrust23THRUST_200600_302600_NS6detail15normal_iteratorINS9_10device_ptrItEEEESE_t11max_functorItEtEEDaPvRmT3_T4_T5_mT6_P12ihipStream_tbENKUlT_T0_E_clISt17integral_constantIbLb0EEST_IbLb1EEEEDaSP_SQ_EUlSP_E0_NS1_11comp_targetILNS1_3genE0ELNS1_11target_archE4294967295ELNS1_3gpuE0ELNS1_3repE0EEENS1_30default_config_static_selectorELNS0_4arch9wavefront6targetE1EEEvT1_,"axG",@progbits,_ZN7rocprim17ROCPRIM_400000_NS6detail17trampoline_kernelINS0_14default_configENS1_20scan_config_selectorItEEZZNS1_9scan_implILNS1_25lookback_scan_determinismE0ELb1ELb1ES3_N6thrust23THRUST_200600_302600_NS6detail15normal_iteratorINS9_10device_ptrItEEEESE_t11max_functorItEtEEDaPvRmT3_T4_T5_mT6_P12ihipStream_tbENKUlT_T0_E_clISt17integral_constantIbLb0EEST_IbLb1EEEEDaSP_SQ_EUlSP_E0_NS1_11comp_targetILNS1_3genE0ELNS1_11target_archE4294967295ELNS1_3gpuE0ELNS1_3repE0EEENS1_30default_config_static_selectorELNS0_4arch9wavefront6targetE1EEEvT1_,comdat
.Lfunc_end2549:
	.size	_ZN7rocprim17ROCPRIM_400000_NS6detail17trampoline_kernelINS0_14default_configENS1_20scan_config_selectorItEEZZNS1_9scan_implILNS1_25lookback_scan_determinismE0ELb1ELb1ES3_N6thrust23THRUST_200600_302600_NS6detail15normal_iteratorINS9_10device_ptrItEEEESE_t11max_functorItEtEEDaPvRmT3_T4_T5_mT6_P12ihipStream_tbENKUlT_T0_E_clISt17integral_constantIbLb0EEST_IbLb1EEEEDaSP_SQ_EUlSP_E0_NS1_11comp_targetILNS1_3genE0ELNS1_11target_archE4294967295ELNS1_3gpuE0ELNS1_3repE0EEENS1_30default_config_static_selectorELNS0_4arch9wavefront6targetE1EEEvT1_, .Lfunc_end2549-_ZN7rocprim17ROCPRIM_400000_NS6detail17trampoline_kernelINS0_14default_configENS1_20scan_config_selectorItEEZZNS1_9scan_implILNS1_25lookback_scan_determinismE0ELb1ELb1ES3_N6thrust23THRUST_200600_302600_NS6detail15normal_iteratorINS9_10device_ptrItEEEESE_t11max_functorItEtEEDaPvRmT3_T4_T5_mT6_P12ihipStream_tbENKUlT_T0_E_clISt17integral_constantIbLb0EEST_IbLb1EEEEDaSP_SQ_EUlSP_E0_NS1_11comp_targetILNS1_3genE0ELNS1_11target_archE4294967295ELNS1_3gpuE0ELNS1_3repE0EEENS1_30default_config_static_selectorELNS0_4arch9wavefront6targetE1EEEvT1_
                                        ; -- End function
	.section	.AMDGPU.csdata,"",@progbits
; Kernel info:
; codeLenInByte = 0
; NumSgprs: 4
; NumVgprs: 0
; NumAgprs: 0
; TotalNumVgprs: 0
; ScratchSize: 0
; MemoryBound: 0
; FloatMode: 240
; IeeeMode: 1
; LDSByteSize: 0 bytes/workgroup (compile time only)
; SGPRBlocks: 0
; VGPRBlocks: 0
; NumSGPRsForWavesPerEU: 4
; NumVGPRsForWavesPerEU: 1
; AccumOffset: 4
; Occupancy: 8
; WaveLimiterHint : 0
; COMPUTE_PGM_RSRC2:SCRATCH_EN: 0
; COMPUTE_PGM_RSRC2:USER_SGPR: 6
; COMPUTE_PGM_RSRC2:TRAP_HANDLER: 0
; COMPUTE_PGM_RSRC2:TGID_X_EN: 1
; COMPUTE_PGM_RSRC2:TGID_Y_EN: 0
; COMPUTE_PGM_RSRC2:TGID_Z_EN: 0
; COMPUTE_PGM_RSRC2:TIDIG_COMP_CNT: 0
; COMPUTE_PGM_RSRC3_GFX90A:ACCUM_OFFSET: 0
; COMPUTE_PGM_RSRC3_GFX90A:TG_SPLIT: 0
	.section	.text._ZN7rocprim17ROCPRIM_400000_NS6detail17trampoline_kernelINS0_14default_configENS1_20scan_config_selectorItEEZZNS1_9scan_implILNS1_25lookback_scan_determinismE0ELb1ELb1ES3_N6thrust23THRUST_200600_302600_NS6detail15normal_iteratorINS9_10device_ptrItEEEESE_t11max_functorItEtEEDaPvRmT3_T4_T5_mT6_P12ihipStream_tbENKUlT_T0_E_clISt17integral_constantIbLb0EEST_IbLb1EEEEDaSP_SQ_EUlSP_E0_NS1_11comp_targetILNS1_3genE5ELNS1_11target_archE942ELNS1_3gpuE9ELNS1_3repE0EEENS1_30default_config_static_selectorELNS0_4arch9wavefront6targetE1EEEvT1_,"axG",@progbits,_ZN7rocprim17ROCPRIM_400000_NS6detail17trampoline_kernelINS0_14default_configENS1_20scan_config_selectorItEEZZNS1_9scan_implILNS1_25lookback_scan_determinismE0ELb1ELb1ES3_N6thrust23THRUST_200600_302600_NS6detail15normal_iteratorINS9_10device_ptrItEEEESE_t11max_functorItEtEEDaPvRmT3_T4_T5_mT6_P12ihipStream_tbENKUlT_T0_E_clISt17integral_constantIbLb0EEST_IbLb1EEEEDaSP_SQ_EUlSP_E0_NS1_11comp_targetILNS1_3genE5ELNS1_11target_archE942ELNS1_3gpuE9ELNS1_3repE0EEENS1_30default_config_static_selectorELNS0_4arch9wavefront6targetE1EEEvT1_,comdat
	.protected	_ZN7rocprim17ROCPRIM_400000_NS6detail17trampoline_kernelINS0_14default_configENS1_20scan_config_selectorItEEZZNS1_9scan_implILNS1_25lookback_scan_determinismE0ELb1ELb1ES3_N6thrust23THRUST_200600_302600_NS6detail15normal_iteratorINS9_10device_ptrItEEEESE_t11max_functorItEtEEDaPvRmT3_T4_T5_mT6_P12ihipStream_tbENKUlT_T0_E_clISt17integral_constantIbLb0EEST_IbLb1EEEEDaSP_SQ_EUlSP_E0_NS1_11comp_targetILNS1_3genE5ELNS1_11target_archE942ELNS1_3gpuE9ELNS1_3repE0EEENS1_30default_config_static_selectorELNS0_4arch9wavefront6targetE1EEEvT1_ ; -- Begin function _ZN7rocprim17ROCPRIM_400000_NS6detail17trampoline_kernelINS0_14default_configENS1_20scan_config_selectorItEEZZNS1_9scan_implILNS1_25lookback_scan_determinismE0ELb1ELb1ES3_N6thrust23THRUST_200600_302600_NS6detail15normal_iteratorINS9_10device_ptrItEEEESE_t11max_functorItEtEEDaPvRmT3_T4_T5_mT6_P12ihipStream_tbENKUlT_T0_E_clISt17integral_constantIbLb0EEST_IbLb1EEEEDaSP_SQ_EUlSP_E0_NS1_11comp_targetILNS1_3genE5ELNS1_11target_archE942ELNS1_3gpuE9ELNS1_3repE0EEENS1_30default_config_static_selectorELNS0_4arch9wavefront6targetE1EEEvT1_
	.globl	_ZN7rocprim17ROCPRIM_400000_NS6detail17trampoline_kernelINS0_14default_configENS1_20scan_config_selectorItEEZZNS1_9scan_implILNS1_25lookback_scan_determinismE0ELb1ELb1ES3_N6thrust23THRUST_200600_302600_NS6detail15normal_iteratorINS9_10device_ptrItEEEESE_t11max_functorItEtEEDaPvRmT3_T4_T5_mT6_P12ihipStream_tbENKUlT_T0_E_clISt17integral_constantIbLb0EEST_IbLb1EEEEDaSP_SQ_EUlSP_E0_NS1_11comp_targetILNS1_3genE5ELNS1_11target_archE942ELNS1_3gpuE9ELNS1_3repE0EEENS1_30default_config_static_selectorELNS0_4arch9wavefront6targetE1EEEvT1_
	.p2align	8
	.type	_ZN7rocprim17ROCPRIM_400000_NS6detail17trampoline_kernelINS0_14default_configENS1_20scan_config_selectorItEEZZNS1_9scan_implILNS1_25lookback_scan_determinismE0ELb1ELb1ES3_N6thrust23THRUST_200600_302600_NS6detail15normal_iteratorINS9_10device_ptrItEEEESE_t11max_functorItEtEEDaPvRmT3_T4_T5_mT6_P12ihipStream_tbENKUlT_T0_E_clISt17integral_constantIbLb0EEST_IbLb1EEEEDaSP_SQ_EUlSP_E0_NS1_11comp_targetILNS1_3genE5ELNS1_11target_archE942ELNS1_3gpuE9ELNS1_3repE0EEENS1_30default_config_static_selectorELNS0_4arch9wavefront6targetE1EEEvT1_,@function
_ZN7rocprim17ROCPRIM_400000_NS6detail17trampoline_kernelINS0_14default_configENS1_20scan_config_selectorItEEZZNS1_9scan_implILNS1_25lookback_scan_determinismE0ELb1ELb1ES3_N6thrust23THRUST_200600_302600_NS6detail15normal_iteratorINS9_10device_ptrItEEEESE_t11max_functorItEtEEDaPvRmT3_T4_T5_mT6_P12ihipStream_tbENKUlT_T0_E_clISt17integral_constantIbLb0EEST_IbLb1EEEEDaSP_SQ_EUlSP_E0_NS1_11comp_targetILNS1_3genE5ELNS1_11target_archE942ELNS1_3gpuE9ELNS1_3repE0EEENS1_30default_config_static_selectorELNS0_4arch9wavefront6targetE1EEEvT1_: ; @_ZN7rocprim17ROCPRIM_400000_NS6detail17trampoline_kernelINS0_14default_configENS1_20scan_config_selectorItEEZZNS1_9scan_implILNS1_25lookback_scan_determinismE0ELb1ELb1ES3_N6thrust23THRUST_200600_302600_NS6detail15normal_iteratorINS9_10device_ptrItEEEESE_t11max_functorItEtEEDaPvRmT3_T4_T5_mT6_P12ihipStream_tbENKUlT_T0_E_clISt17integral_constantIbLb0EEST_IbLb1EEEEDaSP_SQ_EUlSP_E0_NS1_11comp_targetILNS1_3genE5ELNS1_11target_archE942ELNS1_3gpuE9ELNS1_3repE0EEENS1_30default_config_static_selectorELNS0_4arch9wavefront6targetE1EEEvT1_
; %bb.0:
	.section	.rodata,"a",@progbits
	.p2align	6, 0x0
	.amdhsa_kernel _ZN7rocprim17ROCPRIM_400000_NS6detail17trampoline_kernelINS0_14default_configENS1_20scan_config_selectorItEEZZNS1_9scan_implILNS1_25lookback_scan_determinismE0ELb1ELb1ES3_N6thrust23THRUST_200600_302600_NS6detail15normal_iteratorINS9_10device_ptrItEEEESE_t11max_functorItEtEEDaPvRmT3_T4_T5_mT6_P12ihipStream_tbENKUlT_T0_E_clISt17integral_constantIbLb0EEST_IbLb1EEEEDaSP_SQ_EUlSP_E0_NS1_11comp_targetILNS1_3genE5ELNS1_11target_archE942ELNS1_3gpuE9ELNS1_3repE0EEENS1_30default_config_static_selectorELNS0_4arch9wavefront6targetE1EEEvT1_
		.amdhsa_group_segment_fixed_size 0
		.amdhsa_private_segment_fixed_size 0
		.amdhsa_kernarg_size 32
		.amdhsa_user_sgpr_count 6
		.amdhsa_user_sgpr_private_segment_buffer 1
		.amdhsa_user_sgpr_dispatch_ptr 0
		.amdhsa_user_sgpr_queue_ptr 0
		.amdhsa_user_sgpr_kernarg_segment_ptr 1
		.amdhsa_user_sgpr_dispatch_id 0
		.amdhsa_user_sgpr_flat_scratch_init 0
		.amdhsa_user_sgpr_kernarg_preload_length 0
		.amdhsa_user_sgpr_kernarg_preload_offset 0
		.amdhsa_user_sgpr_private_segment_size 0
		.amdhsa_uses_dynamic_stack 0
		.amdhsa_system_sgpr_private_segment_wavefront_offset 0
		.amdhsa_system_sgpr_workgroup_id_x 1
		.amdhsa_system_sgpr_workgroup_id_y 0
		.amdhsa_system_sgpr_workgroup_id_z 0
		.amdhsa_system_sgpr_workgroup_info 0
		.amdhsa_system_vgpr_workitem_id 0
		.amdhsa_next_free_vgpr 1
		.amdhsa_next_free_sgpr 0
		.amdhsa_accum_offset 4
		.amdhsa_reserve_vcc 0
		.amdhsa_reserve_flat_scratch 0
		.amdhsa_float_round_mode_32 0
		.amdhsa_float_round_mode_16_64 0
		.amdhsa_float_denorm_mode_32 3
		.amdhsa_float_denorm_mode_16_64 3
		.amdhsa_dx10_clamp 1
		.amdhsa_ieee_mode 1
		.amdhsa_fp16_overflow 0
		.amdhsa_tg_split 0
		.amdhsa_exception_fp_ieee_invalid_op 0
		.amdhsa_exception_fp_denorm_src 0
		.amdhsa_exception_fp_ieee_div_zero 0
		.amdhsa_exception_fp_ieee_overflow 0
		.amdhsa_exception_fp_ieee_underflow 0
		.amdhsa_exception_fp_ieee_inexact 0
		.amdhsa_exception_int_div_zero 0
	.end_amdhsa_kernel
	.section	.text._ZN7rocprim17ROCPRIM_400000_NS6detail17trampoline_kernelINS0_14default_configENS1_20scan_config_selectorItEEZZNS1_9scan_implILNS1_25lookback_scan_determinismE0ELb1ELb1ES3_N6thrust23THRUST_200600_302600_NS6detail15normal_iteratorINS9_10device_ptrItEEEESE_t11max_functorItEtEEDaPvRmT3_T4_T5_mT6_P12ihipStream_tbENKUlT_T0_E_clISt17integral_constantIbLb0EEST_IbLb1EEEEDaSP_SQ_EUlSP_E0_NS1_11comp_targetILNS1_3genE5ELNS1_11target_archE942ELNS1_3gpuE9ELNS1_3repE0EEENS1_30default_config_static_selectorELNS0_4arch9wavefront6targetE1EEEvT1_,"axG",@progbits,_ZN7rocprim17ROCPRIM_400000_NS6detail17trampoline_kernelINS0_14default_configENS1_20scan_config_selectorItEEZZNS1_9scan_implILNS1_25lookback_scan_determinismE0ELb1ELb1ES3_N6thrust23THRUST_200600_302600_NS6detail15normal_iteratorINS9_10device_ptrItEEEESE_t11max_functorItEtEEDaPvRmT3_T4_T5_mT6_P12ihipStream_tbENKUlT_T0_E_clISt17integral_constantIbLb0EEST_IbLb1EEEEDaSP_SQ_EUlSP_E0_NS1_11comp_targetILNS1_3genE5ELNS1_11target_archE942ELNS1_3gpuE9ELNS1_3repE0EEENS1_30default_config_static_selectorELNS0_4arch9wavefront6targetE1EEEvT1_,comdat
.Lfunc_end2550:
	.size	_ZN7rocprim17ROCPRIM_400000_NS6detail17trampoline_kernelINS0_14default_configENS1_20scan_config_selectorItEEZZNS1_9scan_implILNS1_25lookback_scan_determinismE0ELb1ELb1ES3_N6thrust23THRUST_200600_302600_NS6detail15normal_iteratorINS9_10device_ptrItEEEESE_t11max_functorItEtEEDaPvRmT3_T4_T5_mT6_P12ihipStream_tbENKUlT_T0_E_clISt17integral_constantIbLb0EEST_IbLb1EEEEDaSP_SQ_EUlSP_E0_NS1_11comp_targetILNS1_3genE5ELNS1_11target_archE942ELNS1_3gpuE9ELNS1_3repE0EEENS1_30default_config_static_selectorELNS0_4arch9wavefront6targetE1EEEvT1_, .Lfunc_end2550-_ZN7rocprim17ROCPRIM_400000_NS6detail17trampoline_kernelINS0_14default_configENS1_20scan_config_selectorItEEZZNS1_9scan_implILNS1_25lookback_scan_determinismE0ELb1ELb1ES3_N6thrust23THRUST_200600_302600_NS6detail15normal_iteratorINS9_10device_ptrItEEEESE_t11max_functorItEtEEDaPvRmT3_T4_T5_mT6_P12ihipStream_tbENKUlT_T0_E_clISt17integral_constantIbLb0EEST_IbLb1EEEEDaSP_SQ_EUlSP_E0_NS1_11comp_targetILNS1_3genE5ELNS1_11target_archE942ELNS1_3gpuE9ELNS1_3repE0EEENS1_30default_config_static_selectorELNS0_4arch9wavefront6targetE1EEEvT1_
                                        ; -- End function
	.section	.AMDGPU.csdata,"",@progbits
; Kernel info:
; codeLenInByte = 0
; NumSgprs: 4
; NumVgprs: 0
; NumAgprs: 0
; TotalNumVgprs: 0
; ScratchSize: 0
; MemoryBound: 0
; FloatMode: 240
; IeeeMode: 1
; LDSByteSize: 0 bytes/workgroup (compile time only)
; SGPRBlocks: 0
; VGPRBlocks: 0
; NumSGPRsForWavesPerEU: 4
; NumVGPRsForWavesPerEU: 1
; AccumOffset: 4
; Occupancy: 8
; WaveLimiterHint : 0
; COMPUTE_PGM_RSRC2:SCRATCH_EN: 0
; COMPUTE_PGM_RSRC2:USER_SGPR: 6
; COMPUTE_PGM_RSRC2:TRAP_HANDLER: 0
; COMPUTE_PGM_RSRC2:TGID_X_EN: 1
; COMPUTE_PGM_RSRC2:TGID_Y_EN: 0
; COMPUTE_PGM_RSRC2:TGID_Z_EN: 0
; COMPUTE_PGM_RSRC2:TIDIG_COMP_CNT: 0
; COMPUTE_PGM_RSRC3_GFX90A:ACCUM_OFFSET: 0
; COMPUTE_PGM_RSRC3_GFX90A:TG_SPLIT: 0
	.section	.text._ZN7rocprim17ROCPRIM_400000_NS6detail17trampoline_kernelINS0_14default_configENS1_20scan_config_selectorItEEZZNS1_9scan_implILNS1_25lookback_scan_determinismE0ELb1ELb1ES3_N6thrust23THRUST_200600_302600_NS6detail15normal_iteratorINS9_10device_ptrItEEEESE_t11max_functorItEtEEDaPvRmT3_T4_T5_mT6_P12ihipStream_tbENKUlT_T0_E_clISt17integral_constantIbLb0EEST_IbLb1EEEEDaSP_SQ_EUlSP_E0_NS1_11comp_targetILNS1_3genE4ELNS1_11target_archE910ELNS1_3gpuE8ELNS1_3repE0EEENS1_30default_config_static_selectorELNS0_4arch9wavefront6targetE1EEEvT1_,"axG",@progbits,_ZN7rocprim17ROCPRIM_400000_NS6detail17trampoline_kernelINS0_14default_configENS1_20scan_config_selectorItEEZZNS1_9scan_implILNS1_25lookback_scan_determinismE0ELb1ELb1ES3_N6thrust23THRUST_200600_302600_NS6detail15normal_iteratorINS9_10device_ptrItEEEESE_t11max_functorItEtEEDaPvRmT3_T4_T5_mT6_P12ihipStream_tbENKUlT_T0_E_clISt17integral_constantIbLb0EEST_IbLb1EEEEDaSP_SQ_EUlSP_E0_NS1_11comp_targetILNS1_3genE4ELNS1_11target_archE910ELNS1_3gpuE8ELNS1_3repE0EEENS1_30default_config_static_selectorELNS0_4arch9wavefront6targetE1EEEvT1_,comdat
	.protected	_ZN7rocprim17ROCPRIM_400000_NS6detail17trampoline_kernelINS0_14default_configENS1_20scan_config_selectorItEEZZNS1_9scan_implILNS1_25lookback_scan_determinismE0ELb1ELb1ES3_N6thrust23THRUST_200600_302600_NS6detail15normal_iteratorINS9_10device_ptrItEEEESE_t11max_functorItEtEEDaPvRmT3_T4_T5_mT6_P12ihipStream_tbENKUlT_T0_E_clISt17integral_constantIbLb0EEST_IbLb1EEEEDaSP_SQ_EUlSP_E0_NS1_11comp_targetILNS1_3genE4ELNS1_11target_archE910ELNS1_3gpuE8ELNS1_3repE0EEENS1_30default_config_static_selectorELNS0_4arch9wavefront6targetE1EEEvT1_ ; -- Begin function _ZN7rocprim17ROCPRIM_400000_NS6detail17trampoline_kernelINS0_14default_configENS1_20scan_config_selectorItEEZZNS1_9scan_implILNS1_25lookback_scan_determinismE0ELb1ELb1ES3_N6thrust23THRUST_200600_302600_NS6detail15normal_iteratorINS9_10device_ptrItEEEESE_t11max_functorItEtEEDaPvRmT3_T4_T5_mT6_P12ihipStream_tbENKUlT_T0_E_clISt17integral_constantIbLb0EEST_IbLb1EEEEDaSP_SQ_EUlSP_E0_NS1_11comp_targetILNS1_3genE4ELNS1_11target_archE910ELNS1_3gpuE8ELNS1_3repE0EEENS1_30default_config_static_selectorELNS0_4arch9wavefront6targetE1EEEvT1_
	.globl	_ZN7rocprim17ROCPRIM_400000_NS6detail17trampoline_kernelINS0_14default_configENS1_20scan_config_selectorItEEZZNS1_9scan_implILNS1_25lookback_scan_determinismE0ELb1ELb1ES3_N6thrust23THRUST_200600_302600_NS6detail15normal_iteratorINS9_10device_ptrItEEEESE_t11max_functorItEtEEDaPvRmT3_T4_T5_mT6_P12ihipStream_tbENKUlT_T0_E_clISt17integral_constantIbLb0EEST_IbLb1EEEEDaSP_SQ_EUlSP_E0_NS1_11comp_targetILNS1_3genE4ELNS1_11target_archE910ELNS1_3gpuE8ELNS1_3repE0EEENS1_30default_config_static_selectorELNS0_4arch9wavefront6targetE1EEEvT1_
	.p2align	8
	.type	_ZN7rocprim17ROCPRIM_400000_NS6detail17trampoline_kernelINS0_14default_configENS1_20scan_config_selectorItEEZZNS1_9scan_implILNS1_25lookback_scan_determinismE0ELb1ELb1ES3_N6thrust23THRUST_200600_302600_NS6detail15normal_iteratorINS9_10device_ptrItEEEESE_t11max_functorItEtEEDaPvRmT3_T4_T5_mT6_P12ihipStream_tbENKUlT_T0_E_clISt17integral_constantIbLb0EEST_IbLb1EEEEDaSP_SQ_EUlSP_E0_NS1_11comp_targetILNS1_3genE4ELNS1_11target_archE910ELNS1_3gpuE8ELNS1_3repE0EEENS1_30default_config_static_selectorELNS0_4arch9wavefront6targetE1EEEvT1_,@function
_ZN7rocprim17ROCPRIM_400000_NS6detail17trampoline_kernelINS0_14default_configENS1_20scan_config_selectorItEEZZNS1_9scan_implILNS1_25lookback_scan_determinismE0ELb1ELb1ES3_N6thrust23THRUST_200600_302600_NS6detail15normal_iteratorINS9_10device_ptrItEEEESE_t11max_functorItEtEEDaPvRmT3_T4_T5_mT6_P12ihipStream_tbENKUlT_T0_E_clISt17integral_constantIbLb0EEST_IbLb1EEEEDaSP_SQ_EUlSP_E0_NS1_11comp_targetILNS1_3genE4ELNS1_11target_archE910ELNS1_3gpuE8ELNS1_3repE0EEENS1_30default_config_static_selectorELNS0_4arch9wavefront6targetE1EEEvT1_: ; @_ZN7rocprim17ROCPRIM_400000_NS6detail17trampoline_kernelINS0_14default_configENS1_20scan_config_selectorItEEZZNS1_9scan_implILNS1_25lookback_scan_determinismE0ELb1ELb1ES3_N6thrust23THRUST_200600_302600_NS6detail15normal_iteratorINS9_10device_ptrItEEEESE_t11max_functorItEtEEDaPvRmT3_T4_T5_mT6_P12ihipStream_tbENKUlT_T0_E_clISt17integral_constantIbLb0EEST_IbLb1EEEEDaSP_SQ_EUlSP_E0_NS1_11comp_targetILNS1_3genE4ELNS1_11target_archE910ELNS1_3gpuE8ELNS1_3repE0EEENS1_30default_config_static_selectorELNS0_4arch9wavefront6targetE1EEEvT1_
; %bb.0:
	s_load_dwordx4 s[52:55], s[4:5], 0x0
	v_mov_b32_e32 v1, 0
	v_lshlrev_b32_e32 v14, 1, v0
	s_waitcnt lgkmcnt(0)
	global_load_ushort v2, v1, s[52:53]
	v_cmp_gt_u32_e32 vcc, s54, v0
	s_waitcnt vmcnt(0)
	v_mov_b32_e32 v3, v2
	s_and_saveexec_b64 s[0:1], vcc
	s_cbranch_execz .LBB2551_2
; %bb.1:
	global_load_ushort v3, v14, s[52:53]
.LBB2551_2:
	s_or_b64 exec, exec, s[0:1]
	v_or_b32_e32 v1, 64, v0
	v_cmp_gt_u32_e64 s[0:1], s54, v1
	v_mov_b32_e32 v4, v2
	s_and_saveexec_b64 s[2:3], s[0:1]
	s_cbranch_execz .LBB2551_4
; %bb.3:
	global_load_ushort v4, v14, s[52:53] offset:128
.LBB2551_4:
	s_or_b64 exec, exec, s[2:3]
	v_or_b32_e32 v1, 0x80, v0
	v_cmp_gt_u32_e64 s[2:3], s54, v1
	v_mov_b32_e32 v5, v2
	s_and_saveexec_b64 s[6:7], s[2:3]
	s_cbranch_execz .LBB2551_6
; %bb.5:
	global_load_ushort v5, v14, s[52:53] offset:256
.LBB2551_6:
	;; [unrolled: 9-line block ×22, first 2 shown]
	s_or_b64 exec, exec, s[46:47]
	v_or_b32_e32 v1, 0x5c0, v0
	v_cmp_gt_u32_e64 s[46:47], s54, v1
	v_cmp_le_u32_e64 s[50:51], s54, v1
	s_and_saveexec_b64 s[54:55], s[50:51]
	s_xor_b64 s[50:51], exec, s[54:55]
; %bb.47:
	v_mov_b32_e32 v1, 0
; %bb.48:
	s_or_saveexec_b64 s[50:51], s[50:51]
	s_load_dword s33, s[4:5], 0x10
	s_load_dwordx2 s[54:55], s[4:5], 0x18
	s_xor_b64 exec, exec, s[50:51]
	s_cbranch_execz .LBB2551_50
; %bb.49:
	global_load_ushort v2, v14, s[52:53] offset:2944
	v_mov_b32_e32 v1, 0
.LBB2551_50:
	s_or_b64 exec, exec, s[50:51]
	s_waitcnt vmcnt(0)
	ds_write_b16 v14, v3
	ds_write_b16 v14, v4 offset:128
	ds_write_b16 v14, v5 offset:256
	ds_write_b16 v14, v6 offset:384
	ds_write_b16 v14, v7 offset:512
	ds_write_b16 v14, v8 offset:640
	ds_write_b16 v14, v9 offset:768
	ds_write_b16 v14, v10 offset:896
	ds_write_b16 v14, v11 offset:1024
	ds_write_b16 v14, v12 offset:1152
	ds_write_b16 v14, v13 offset:1280
	ds_write_b16 v14, v15 offset:1408
	ds_write_b16 v14, v16 offset:1536
	ds_write_b16 v14, v17 offset:1664
	ds_write_b16 v14, v18 offset:1792
	ds_write_b16 v14, v19 offset:1920
	ds_write_b16 v14, v20 offset:2048
	ds_write_b16 v14, v21 offset:2176
	ds_write_b16 v14, v22 offset:2304
	ds_write_b16 v14, v23 offset:2432
	ds_write_b16 v14, v24 offset:2560
	ds_write_b16 v14, v25 offset:2688
	ds_write_b16 v14, v26 offset:2816
	ds_write_b16 v14, v2 offset:2944
	v_mad_u32_u24 v15, v0, 46, v14
	s_waitcnt lgkmcnt(0)
	; wave barrier
	s_waitcnt lgkmcnt(0)
	ds_read_b128 v[10:13], v15
	ds_read_b128 v[6:9], v15 offset:16
	ds_read_b128 v[2:5], v15 offset:32
	s_waitcnt lgkmcnt(0)
	; wave barrier
	s_waitcnt lgkmcnt(0)
	v_lshrrev_b32_e32 v25, 16, v11
	v_max_u16_sdwa v27, v10, v10 dst_sel:DWORD dst_unused:UNUSED_PAD src0_sel:DWORD src1_sel:WORD_1
	v_lshrrev_b32_e32 v24, 16, v12
	v_max3_u16 v27, v27, v11, v25
	v_lshrrev_b32_e32 v23, 16, v13
	v_max3_u16 v27, v27, v12, v24
	;; [unrolled: 2-line block ×10, first 2 shown]
	v_max3_u16 v27, v27, v5, v26
	v_mbcnt_lo_u32_b32 v26, -1, 0
	v_mbcnt_hi_u32_b32 v26, -1, v26
	v_and_b32_e32 v29, 0xffff, v27
	v_and_b32_e32 v28, 15, v26
	v_cmp_eq_u32_e64 s[4:5], 0, v28
	v_mov_b32_dpp v29, v29 row_shr:1 row_mask:0xf bank_mask:0xf
	v_max_u16_e32 v29, v29, v27
	v_cndmask_b32_e64 v27, v29, v27, s[4:5]
	v_and_b32_e32 v29, 0xffff, v27
	v_cmp_lt_u32_e64 s[4:5], 1, v28
	s_nop 0
	v_mov_b32_dpp v29, v29 row_shr:2 row_mask:0xf bank_mask:0xf
	v_max_u16_e32 v29, v29, v27
	v_cndmask_b32_e64 v27, v27, v29, s[4:5]
	v_and_b32_e32 v29, 0xffff, v27
	v_cmp_lt_u32_e64 s[4:5], 3, v28
	s_nop 0
	;; [unrolled: 6-line block ×3, first 2 shown]
	v_mov_b32_dpp v29, v29 row_shr:8 row_mask:0xf bank_mask:0xf
	v_max_u16_e32 v29, v29, v27
	v_cndmask_b32_e64 v27, v27, v29, s[4:5]
	v_and_b32_e32 v28, 0xffff, v27
	v_and_b32_e32 v29, 16, v26
	v_cmp_eq_u32_e64 s[4:5], 0, v29
	v_mov_b32_dpp v28, v28 row_bcast:15 row_mask:0xf bank_mask:0xf
	v_max_u16_e32 v28, v28, v27
	v_cndmask_b32_e64 v27, v28, v27, s[4:5]
	v_and_b32_e32 v28, 0xffff, v27
	v_cmp_lt_u32_e64 s[4:5], 31, v26
	s_nop 0
	v_mov_b32_dpp v28, v28 row_bcast:31 row_mask:0xf bank_mask:0xf
	v_max_u16_e32 v28, v28, v27
	v_cndmask_b32_e64 v27, v27, v28, s[4:5]
	v_cmp_eq_u32_e64 s[4:5], 63, v0
	s_and_saveexec_b64 s[50:51], s[4:5]
	s_cbranch_execz .LBB2551_52
; %bb.51:
	v_mov_b32_e32 v28, 0
	ds_write_b16 v28, v27
.LBB2551_52:
	s_or_b64 exec, exec, s[50:51]
	v_add_u32_e32 v28, -1, v26
	v_and_b32_e32 v29, 64, v26
	v_cmp_lt_i32_e64 s[4:5], v28, v29
	v_cndmask_b32_e64 v28, v28, v26, s[4:5]
	v_max_u16_e32 v27, s33, v27
	v_lshlrev_b32_e32 v28, 2, v28
	ds_bpermute_b32 v27, v28, v27
	v_cmp_eq_u32_e64 s[4:5], 0, v26
	v_cmp_eq_u32_e64 s[50:51], 0, v0
	v_mov_b32_e32 v26, s33
	s_or_b64 s[4:5], s[50:51], s[4:5]
	s_waitcnt lgkmcnt(0)
	v_cndmask_b32_e64 v26, v27, v26, s[4:5]
	v_max_u16_e32 v27, v26, v10
	v_max_u16_sdwa v10, v27, v10 dst_sel:DWORD dst_unused:UNUSED_PAD src0_sel:DWORD src1_sel:WORD_1
	v_max_u16_e32 v11, v10, v11
	v_max_u16_e32 v25, v11, v25
	;; [unrolled: 1-line block ×20, first 2 shown]
	s_mov_b32 s4, 0x5040100
	v_max_u16_e32 v31, v16, v5
	v_perm_b32 v2, v27, v26, s4
	v_perm_b32 v3, v11, v10, s4
	;; [unrolled: 1-line block ×4, first 2 shown]
	s_waitcnt lgkmcnt(0)
	; wave barrier
	s_waitcnt lgkmcnt(0)
	s_waitcnt lgkmcnt(0)
	; wave barrier
	ds_write_b128 v15, v[2:5]
	v_perm_b32 v2, v6, v23, s4
	v_perm_b32 v3, v7, v22, s4
	v_perm_b32 v4, v8, v21, s4
	v_perm_b32 v5, v9, v20, s4
	ds_write_b128 v15, v[2:5] offset:16
	v_perm_b32 v2, v28, v19, s4
	v_perm_b32 v3, v29, v18, s4
	v_perm_b32 v4, v30, v17, s4
	v_perm_b32 v5, v31, v16, s4
	s_movk_i32 s4, 0xffd2
	ds_write_b128 v15, v[2:5] offset:32
	v_mad_i32_i24 v2, v0, s4, v15
	s_waitcnt lgkmcnt(0)
	; wave barrier
	s_waitcnt lgkmcnt(0)
	ds_read_u16 v25, v2 offset:128
	ds_read_u16 v24, v2 offset:256
	;; [unrolled: 1-line block ×23, first 2 shown]
	v_lshlrev_b64 v[0:1], 1, v[0:1]
	v_mov_b32_e32 v26, s55
	v_add_co_u32_e64 v0, s[4:5], s54, v0
	v_addc_co_u32_e64 v1, s[4:5], v26, v1, s[4:5]
	s_and_saveexec_b64 s[4:5], vcc
	s_cbranch_execnz .LBB2551_77
; %bb.53:
	s_or_b64 exec, exec, s[4:5]
	s_and_saveexec_b64 s[4:5], s[0:1]
	s_cbranch_execnz .LBB2551_78
.LBB2551_54:
	s_or_b64 exec, exec, s[4:5]
	s_and_saveexec_b64 s[0:1], s[2:3]
	s_cbranch_execnz .LBB2551_79
.LBB2551_55:
	s_or_b64 exec, exec, s[0:1]
	s_and_saveexec_b64 s[0:1], s[48:49]
	s_cbranch_execnz .LBB2551_80
.LBB2551_56:
	s_or_b64 exec, exec, s[0:1]
	s_and_saveexec_b64 s[0:1], s[6:7]
	s_cbranch_execnz .LBB2551_81
.LBB2551_57:
	s_or_b64 exec, exec, s[0:1]
	s_and_saveexec_b64 s[0:1], s[8:9]
	s_cbranch_execnz .LBB2551_82
.LBB2551_58:
	s_or_b64 exec, exec, s[0:1]
	s_and_saveexec_b64 s[0:1], s[10:11]
	s_cbranch_execnz .LBB2551_83
.LBB2551_59:
	s_or_b64 exec, exec, s[0:1]
	s_and_saveexec_b64 s[0:1], s[12:13]
	s_cbranch_execnz .LBB2551_84
.LBB2551_60:
	s_or_b64 exec, exec, s[0:1]
	s_and_saveexec_b64 s[0:1], s[14:15]
	s_cbranch_execnz .LBB2551_85
.LBB2551_61:
	s_or_b64 exec, exec, s[0:1]
	s_and_saveexec_b64 s[0:1], s[16:17]
	s_cbranch_execnz .LBB2551_86
.LBB2551_62:
	s_or_b64 exec, exec, s[0:1]
	s_and_saveexec_b64 s[0:1], s[18:19]
	s_cbranch_execnz .LBB2551_87
.LBB2551_63:
	s_or_b64 exec, exec, s[0:1]
	s_and_saveexec_b64 s[0:1], s[20:21]
	s_cbranch_execnz .LBB2551_88
.LBB2551_64:
	s_or_b64 exec, exec, s[0:1]
	s_and_saveexec_b64 s[0:1], s[22:23]
	s_cbranch_execnz .LBB2551_89
.LBB2551_65:
	s_or_b64 exec, exec, s[0:1]
	s_and_saveexec_b64 s[0:1], s[24:25]
	s_cbranch_execnz .LBB2551_90
.LBB2551_66:
	s_or_b64 exec, exec, s[0:1]
	s_and_saveexec_b64 s[0:1], s[26:27]
	s_cbranch_execnz .LBB2551_91
.LBB2551_67:
	s_or_b64 exec, exec, s[0:1]
	s_and_saveexec_b64 s[0:1], s[28:29]
	s_cbranch_execnz .LBB2551_92
.LBB2551_68:
	s_or_b64 exec, exec, s[0:1]
	s_and_saveexec_b64 s[0:1], s[30:31]
	s_cbranch_execnz .LBB2551_93
.LBB2551_69:
	s_or_b64 exec, exec, s[0:1]
	s_and_saveexec_b64 s[0:1], s[34:35]
	s_cbranch_execnz .LBB2551_94
.LBB2551_70:
	s_or_b64 exec, exec, s[0:1]
	s_and_saveexec_b64 s[0:1], s[36:37]
	s_cbranch_execnz .LBB2551_95
.LBB2551_71:
	s_or_b64 exec, exec, s[0:1]
	s_and_saveexec_b64 s[0:1], s[38:39]
	s_cbranch_execnz .LBB2551_96
.LBB2551_72:
	s_or_b64 exec, exec, s[0:1]
	s_and_saveexec_b64 s[0:1], s[40:41]
	s_cbranch_execnz .LBB2551_97
.LBB2551_73:
	s_or_b64 exec, exec, s[0:1]
	s_and_saveexec_b64 s[0:1], s[42:43]
	s_cbranch_execnz .LBB2551_98
.LBB2551_74:
	s_or_b64 exec, exec, s[0:1]
	s_and_saveexec_b64 s[0:1], s[44:45]
	s_cbranch_execnz .LBB2551_99
.LBB2551_75:
	s_or_b64 exec, exec, s[0:1]
	s_and_saveexec_b64 s[0:1], s[46:47]
	s_cbranch_execnz .LBB2551_100
.LBB2551_76:
	s_endpgm
.LBB2551_77:
	ds_read_u16 v14, v14
	s_waitcnt lgkmcnt(0)
	global_store_short v[0:1], v14, off
	s_or_b64 exec, exec, s[4:5]
	s_and_saveexec_b64 s[4:5], s[0:1]
	s_cbranch_execz .LBB2551_54
.LBB2551_78:
	s_waitcnt lgkmcnt(14)
	global_store_short v[0:1], v25, off offset:128
	s_or_b64 exec, exec, s[4:5]
	s_and_saveexec_b64 s[0:1], s[2:3]
	s_cbranch_execz .LBB2551_55
.LBB2551_79:
	s_waitcnt lgkmcnt(14)
	global_store_short v[0:1], v24, off offset:256
	s_or_b64 exec, exec, s[0:1]
	s_and_saveexec_b64 s[0:1], s[48:49]
	s_cbranch_execz .LBB2551_56
.LBB2551_80:
	s_waitcnt lgkmcnt(14)
	global_store_short v[0:1], v23, off offset:384
	s_or_b64 exec, exec, s[0:1]
	s_and_saveexec_b64 s[0:1], s[6:7]
	s_cbranch_execz .LBB2551_57
.LBB2551_81:
	s_waitcnt lgkmcnt(14)
	global_store_short v[0:1], v22, off offset:512
	s_or_b64 exec, exec, s[0:1]
	s_and_saveexec_b64 s[0:1], s[8:9]
	s_cbranch_execz .LBB2551_58
.LBB2551_82:
	s_waitcnt lgkmcnt(14)
	global_store_short v[0:1], v21, off offset:640
	s_or_b64 exec, exec, s[0:1]
	s_and_saveexec_b64 s[0:1], s[10:11]
	s_cbranch_execz .LBB2551_59
.LBB2551_83:
	s_waitcnt lgkmcnt(14)
	global_store_short v[0:1], v20, off offset:768
	s_or_b64 exec, exec, s[0:1]
	s_and_saveexec_b64 s[0:1], s[12:13]
	s_cbranch_execz .LBB2551_60
.LBB2551_84:
	s_waitcnt lgkmcnt(14)
	global_store_short v[0:1], v19, off offset:896
	s_or_b64 exec, exec, s[0:1]
	s_and_saveexec_b64 s[0:1], s[14:15]
	s_cbranch_execz .LBB2551_61
.LBB2551_85:
	s_waitcnt lgkmcnt(14)
	global_store_short v[0:1], v18, off offset:1024
	s_or_b64 exec, exec, s[0:1]
	s_and_saveexec_b64 s[0:1], s[16:17]
	s_cbranch_execz .LBB2551_62
.LBB2551_86:
	s_waitcnt lgkmcnt(14)
	global_store_short v[0:1], v17, off offset:1152
	s_or_b64 exec, exec, s[0:1]
	s_and_saveexec_b64 s[0:1], s[18:19]
	s_cbranch_execz .LBB2551_63
.LBB2551_87:
	s_waitcnt lgkmcnt(13)
	global_store_short v[0:1], v16, off offset:1280
	s_or_b64 exec, exec, s[0:1]
	s_and_saveexec_b64 s[0:1], s[20:21]
	s_cbranch_execz .LBB2551_64
.LBB2551_88:
	s_waitcnt lgkmcnt(12)
	global_store_short v[0:1], v15, off offset:1408
	s_or_b64 exec, exec, s[0:1]
	s_and_saveexec_b64 s[0:1], s[22:23]
	s_cbranch_execz .LBB2551_65
.LBB2551_89:
	s_waitcnt lgkmcnt(11)
	global_store_short v[0:1], v13, off offset:1536
	s_or_b64 exec, exec, s[0:1]
	s_and_saveexec_b64 s[0:1], s[24:25]
	s_cbranch_execz .LBB2551_66
.LBB2551_90:
	s_waitcnt lgkmcnt(10)
	global_store_short v[0:1], v12, off offset:1664
	s_or_b64 exec, exec, s[0:1]
	s_and_saveexec_b64 s[0:1], s[26:27]
	s_cbranch_execz .LBB2551_67
.LBB2551_91:
	s_waitcnt lgkmcnt(9)
	global_store_short v[0:1], v11, off offset:1792
	s_or_b64 exec, exec, s[0:1]
	s_and_saveexec_b64 s[0:1], s[28:29]
	s_cbranch_execz .LBB2551_68
.LBB2551_92:
	s_waitcnt lgkmcnt(8)
	global_store_short v[0:1], v10, off offset:1920
	s_or_b64 exec, exec, s[0:1]
	s_and_saveexec_b64 s[0:1], s[30:31]
	s_cbranch_execz .LBB2551_69
.LBB2551_93:
	s_waitcnt lgkmcnt(1)
	global_store_short v[0:1], v9, off offset:2048
	s_or_b64 exec, exec, s[0:1]
	s_and_saveexec_b64 s[0:1], s[34:35]
	s_cbranch_execz .LBB2551_70
.LBB2551_94:
	s_waitcnt lgkmcnt(7)
	global_store_short v[0:1], v8, off offset:2176
	s_or_b64 exec, exec, s[0:1]
	s_and_saveexec_b64 s[0:1], s[36:37]
	s_cbranch_execz .LBB2551_71
.LBB2551_95:
	s_waitcnt lgkmcnt(6)
	global_store_short v[0:1], v7, off offset:2304
	s_or_b64 exec, exec, s[0:1]
	s_and_saveexec_b64 s[0:1], s[38:39]
	s_cbranch_execz .LBB2551_72
.LBB2551_96:
	s_waitcnt lgkmcnt(5)
	global_store_short v[0:1], v6, off offset:2432
	s_or_b64 exec, exec, s[0:1]
	s_and_saveexec_b64 s[0:1], s[40:41]
	s_cbranch_execz .LBB2551_73
.LBB2551_97:
	s_waitcnt lgkmcnt(4)
	global_store_short v[0:1], v5, off offset:2560
	s_or_b64 exec, exec, s[0:1]
	s_and_saveexec_b64 s[0:1], s[42:43]
	s_cbranch_execz .LBB2551_74
.LBB2551_98:
	s_waitcnt lgkmcnt(3)
	global_store_short v[0:1], v4, off offset:2688
	s_or_b64 exec, exec, s[0:1]
	s_and_saveexec_b64 s[0:1], s[44:45]
	s_cbranch_execz .LBB2551_75
.LBB2551_99:
	s_waitcnt lgkmcnt(2)
	global_store_short v[0:1], v3, off offset:2816
	s_or_b64 exec, exec, s[0:1]
	s_and_saveexec_b64 s[0:1], s[46:47]
	s_cbranch_execz .LBB2551_76
.LBB2551_100:
	s_waitcnt lgkmcnt(0)
	global_store_short v[0:1], v2, off offset:2944
	s_endpgm
	.section	.rodata,"a",@progbits
	.p2align	6, 0x0
	.amdhsa_kernel _ZN7rocprim17ROCPRIM_400000_NS6detail17trampoline_kernelINS0_14default_configENS1_20scan_config_selectorItEEZZNS1_9scan_implILNS1_25lookback_scan_determinismE0ELb1ELb1ES3_N6thrust23THRUST_200600_302600_NS6detail15normal_iteratorINS9_10device_ptrItEEEESE_t11max_functorItEtEEDaPvRmT3_T4_T5_mT6_P12ihipStream_tbENKUlT_T0_E_clISt17integral_constantIbLb0EEST_IbLb1EEEEDaSP_SQ_EUlSP_E0_NS1_11comp_targetILNS1_3genE4ELNS1_11target_archE910ELNS1_3gpuE8ELNS1_3repE0EEENS1_30default_config_static_selectorELNS0_4arch9wavefront6targetE1EEEvT1_
		.amdhsa_group_segment_fixed_size 3072
		.amdhsa_private_segment_fixed_size 0
		.amdhsa_kernarg_size 32
		.amdhsa_user_sgpr_count 6
		.amdhsa_user_sgpr_private_segment_buffer 1
		.amdhsa_user_sgpr_dispatch_ptr 0
		.amdhsa_user_sgpr_queue_ptr 0
		.amdhsa_user_sgpr_kernarg_segment_ptr 1
		.amdhsa_user_sgpr_dispatch_id 0
		.amdhsa_user_sgpr_flat_scratch_init 0
		.amdhsa_user_sgpr_kernarg_preload_length 0
		.amdhsa_user_sgpr_kernarg_preload_offset 0
		.amdhsa_user_sgpr_private_segment_size 0
		.amdhsa_uses_dynamic_stack 0
		.amdhsa_system_sgpr_private_segment_wavefront_offset 0
		.amdhsa_system_sgpr_workgroup_id_x 1
		.amdhsa_system_sgpr_workgroup_id_y 0
		.amdhsa_system_sgpr_workgroup_id_z 0
		.amdhsa_system_sgpr_workgroup_info 0
		.amdhsa_system_vgpr_workitem_id 0
		.amdhsa_next_free_vgpr 32
		.amdhsa_next_free_sgpr 56
		.amdhsa_accum_offset 32
		.amdhsa_reserve_vcc 1
		.amdhsa_reserve_flat_scratch 0
		.amdhsa_float_round_mode_32 0
		.amdhsa_float_round_mode_16_64 0
		.amdhsa_float_denorm_mode_32 3
		.amdhsa_float_denorm_mode_16_64 3
		.amdhsa_dx10_clamp 1
		.amdhsa_ieee_mode 1
		.amdhsa_fp16_overflow 0
		.amdhsa_tg_split 0
		.amdhsa_exception_fp_ieee_invalid_op 0
		.amdhsa_exception_fp_denorm_src 0
		.amdhsa_exception_fp_ieee_div_zero 0
		.amdhsa_exception_fp_ieee_overflow 0
		.amdhsa_exception_fp_ieee_underflow 0
		.amdhsa_exception_fp_ieee_inexact 0
		.amdhsa_exception_int_div_zero 0
	.end_amdhsa_kernel
	.section	.text._ZN7rocprim17ROCPRIM_400000_NS6detail17trampoline_kernelINS0_14default_configENS1_20scan_config_selectorItEEZZNS1_9scan_implILNS1_25lookback_scan_determinismE0ELb1ELb1ES3_N6thrust23THRUST_200600_302600_NS6detail15normal_iteratorINS9_10device_ptrItEEEESE_t11max_functorItEtEEDaPvRmT3_T4_T5_mT6_P12ihipStream_tbENKUlT_T0_E_clISt17integral_constantIbLb0EEST_IbLb1EEEEDaSP_SQ_EUlSP_E0_NS1_11comp_targetILNS1_3genE4ELNS1_11target_archE910ELNS1_3gpuE8ELNS1_3repE0EEENS1_30default_config_static_selectorELNS0_4arch9wavefront6targetE1EEEvT1_,"axG",@progbits,_ZN7rocprim17ROCPRIM_400000_NS6detail17trampoline_kernelINS0_14default_configENS1_20scan_config_selectorItEEZZNS1_9scan_implILNS1_25lookback_scan_determinismE0ELb1ELb1ES3_N6thrust23THRUST_200600_302600_NS6detail15normal_iteratorINS9_10device_ptrItEEEESE_t11max_functorItEtEEDaPvRmT3_T4_T5_mT6_P12ihipStream_tbENKUlT_T0_E_clISt17integral_constantIbLb0EEST_IbLb1EEEEDaSP_SQ_EUlSP_E0_NS1_11comp_targetILNS1_3genE4ELNS1_11target_archE910ELNS1_3gpuE8ELNS1_3repE0EEENS1_30default_config_static_selectorELNS0_4arch9wavefront6targetE1EEEvT1_,comdat
.Lfunc_end2551:
	.size	_ZN7rocprim17ROCPRIM_400000_NS6detail17trampoline_kernelINS0_14default_configENS1_20scan_config_selectorItEEZZNS1_9scan_implILNS1_25lookback_scan_determinismE0ELb1ELb1ES3_N6thrust23THRUST_200600_302600_NS6detail15normal_iteratorINS9_10device_ptrItEEEESE_t11max_functorItEtEEDaPvRmT3_T4_T5_mT6_P12ihipStream_tbENKUlT_T0_E_clISt17integral_constantIbLb0EEST_IbLb1EEEEDaSP_SQ_EUlSP_E0_NS1_11comp_targetILNS1_3genE4ELNS1_11target_archE910ELNS1_3gpuE8ELNS1_3repE0EEENS1_30default_config_static_selectorELNS0_4arch9wavefront6targetE1EEEvT1_, .Lfunc_end2551-_ZN7rocprim17ROCPRIM_400000_NS6detail17trampoline_kernelINS0_14default_configENS1_20scan_config_selectorItEEZZNS1_9scan_implILNS1_25lookback_scan_determinismE0ELb1ELb1ES3_N6thrust23THRUST_200600_302600_NS6detail15normal_iteratorINS9_10device_ptrItEEEESE_t11max_functorItEtEEDaPvRmT3_T4_T5_mT6_P12ihipStream_tbENKUlT_T0_E_clISt17integral_constantIbLb0EEST_IbLb1EEEEDaSP_SQ_EUlSP_E0_NS1_11comp_targetILNS1_3genE4ELNS1_11target_archE910ELNS1_3gpuE8ELNS1_3repE0EEENS1_30default_config_static_selectorELNS0_4arch9wavefront6targetE1EEEvT1_
                                        ; -- End function
	.section	.AMDGPU.csdata,"",@progbits
; Kernel info:
; codeLenInByte = 3096
; NumSgprs: 60
; NumVgprs: 32
; NumAgprs: 0
; TotalNumVgprs: 32
; ScratchSize: 0
; MemoryBound: 0
; FloatMode: 240
; IeeeMode: 1
; LDSByteSize: 3072 bytes/workgroup (compile time only)
; SGPRBlocks: 7
; VGPRBlocks: 3
; NumSGPRsForWavesPerEU: 60
; NumVGPRsForWavesPerEU: 32
; AccumOffset: 32
; Occupancy: 6
; WaveLimiterHint : 0
; COMPUTE_PGM_RSRC2:SCRATCH_EN: 0
; COMPUTE_PGM_RSRC2:USER_SGPR: 6
; COMPUTE_PGM_RSRC2:TRAP_HANDLER: 0
; COMPUTE_PGM_RSRC2:TGID_X_EN: 1
; COMPUTE_PGM_RSRC2:TGID_Y_EN: 0
; COMPUTE_PGM_RSRC2:TGID_Z_EN: 0
; COMPUTE_PGM_RSRC2:TIDIG_COMP_CNT: 0
; COMPUTE_PGM_RSRC3_GFX90A:ACCUM_OFFSET: 7
; COMPUTE_PGM_RSRC3_GFX90A:TG_SPLIT: 0
	.section	.text._ZN7rocprim17ROCPRIM_400000_NS6detail17trampoline_kernelINS0_14default_configENS1_20scan_config_selectorItEEZZNS1_9scan_implILNS1_25lookback_scan_determinismE0ELb1ELb1ES3_N6thrust23THRUST_200600_302600_NS6detail15normal_iteratorINS9_10device_ptrItEEEESE_t11max_functorItEtEEDaPvRmT3_T4_T5_mT6_P12ihipStream_tbENKUlT_T0_E_clISt17integral_constantIbLb0EEST_IbLb1EEEEDaSP_SQ_EUlSP_E0_NS1_11comp_targetILNS1_3genE3ELNS1_11target_archE908ELNS1_3gpuE7ELNS1_3repE0EEENS1_30default_config_static_selectorELNS0_4arch9wavefront6targetE1EEEvT1_,"axG",@progbits,_ZN7rocprim17ROCPRIM_400000_NS6detail17trampoline_kernelINS0_14default_configENS1_20scan_config_selectorItEEZZNS1_9scan_implILNS1_25lookback_scan_determinismE0ELb1ELb1ES3_N6thrust23THRUST_200600_302600_NS6detail15normal_iteratorINS9_10device_ptrItEEEESE_t11max_functorItEtEEDaPvRmT3_T4_T5_mT6_P12ihipStream_tbENKUlT_T0_E_clISt17integral_constantIbLb0EEST_IbLb1EEEEDaSP_SQ_EUlSP_E0_NS1_11comp_targetILNS1_3genE3ELNS1_11target_archE908ELNS1_3gpuE7ELNS1_3repE0EEENS1_30default_config_static_selectorELNS0_4arch9wavefront6targetE1EEEvT1_,comdat
	.protected	_ZN7rocprim17ROCPRIM_400000_NS6detail17trampoline_kernelINS0_14default_configENS1_20scan_config_selectorItEEZZNS1_9scan_implILNS1_25lookback_scan_determinismE0ELb1ELb1ES3_N6thrust23THRUST_200600_302600_NS6detail15normal_iteratorINS9_10device_ptrItEEEESE_t11max_functorItEtEEDaPvRmT3_T4_T5_mT6_P12ihipStream_tbENKUlT_T0_E_clISt17integral_constantIbLb0EEST_IbLb1EEEEDaSP_SQ_EUlSP_E0_NS1_11comp_targetILNS1_3genE3ELNS1_11target_archE908ELNS1_3gpuE7ELNS1_3repE0EEENS1_30default_config_static_selectorELNS0_4arch9wavefront6targetE1EEEvT1_ ; -- Begin function _ZN7rocprim17ROCPRIM_400000_NS6detail17trampoline_kernelINS0_14default_configENS1_20scan_config_selectorItEEZZNS1_9scan_implILNS1_25lookback_scan_determinismE0ELb1ELb1ES3_N6thrust23THRUST_200600_302600_NS6detail15normal_iteratorINS9_10device_ptrItEEEESE_t11max_functorItEtEEDaPvRmT3_T4_T5_mT6_P12ihipStream_tbENKUlT_T0_E_clISt17integral_constantIbLb0EEST_IbLb1EEEEDaSP_SQ_EUlSP_E0_NS1_11comp_targetILNS1_3genE3ELNS1_11target_archE908ELNS1_3gpuE7ELNS1_3repE0EEENS1_30default_config_static_selectorELNS0_4arch9wavefront6targetE1EEEvT1_
	.globl	_ZN7rocprim17ROCPRIM_400000_NS6detail17trampoline_kernelINS0_14default_configENS1_20scan_config_selectorItEEZZNS1_9scan_implILNS1_25lookback_scan_determinismE0ELb1ELb1ES3_N6thrust23THRUST_200600_302600_NS6detail15normal_iteratorINS9_10device_ptrItEEEESE_t11max_functorItEtEEDaPvRmT3_T4_T5_mT6_P12ihipStream_tbENKUlT_T0_E_clISt17integral_constantIbLb0EEST_IbLb1EEEEDaSP_SQ_EUlSP_E0_NS1_11comp_targetILNS1_3genE3ELNS1_11target_archE908ELNS1_3gpuE7ELNS1_3repE0EEENS1_30default_config_static_selectorELNS0_4arch9wavefront6targetE1EEEvT1_
	.p2align	8
	.type	_ZN7rocprim17ROCPRIM_400000_NS6detail17trampoline_kernelINS0_14default_configENS1_20scan_config_selectorItEEZZNS1_9scan_implILNS1_25lookback_scan_determinismE0ELb1ELb1ES3_N6thrust23THRUST_200600_302600_NS6detail15normal_iteratorINS9_10device_ptrItEEEESE_t11max_functorItEtEEDaPvRmT3_T4_T5_mT6_P12ihipStream_tbENKUlT_T0_E_clISt17integral_constantIbLb0EEST_IbLb1EEEEDaSP_SQ_EUlSP_E0_NS1_11comp_targetILNS1_3genE3ELNS1_11target_archE908ELNS1_3gpuE7ELNS1_3repE0EEENS1_30default_config_static_selectorELNS0_4arch9wavefront6targetE1EEEvT1_,@function
_ZN7rocprim17ROCPRIM_400000_NS6detail17trampoline_kernelINS0_14default_configENS1_20scan_config_selectorItEEZZNS1_9scan_implILNS1_25lookback_scan_determinismE0ELb1ELb1ES3_N6thrust23THRUST_200600_302600_NS6detail15normal_iteratorINS9_10device_ptrItEEEESE_t11max_functorItEtEEDaPvRmT3_T4_T5_mT6_P12ihipStream_tbENKUlT_T0_E_clISt17integral_constantIbLb0EEST_IbLb1EEEEDaSP_SQ_EUlSP_E0_NS1_11comp_targetILNS1_3genE3ELNS1_11target_archE908ELNS1_3gpuE7ELNS1_3repE0EEENS1_30default_config_static_selectorELNS0_4arch9wavefront6targetE1EEEvT1_: ; @_ZN7rocprim17ROCPRIM_400000_NS6detail17trampoline_kernelINS0_14default_configENS1_20scan_config_selectorItEEZZNS1_9scan_implILNS1_25lookback_scan_determinismE0ELb1ELb1ES3_N6thrust23THRUST_200600_302600_NS6detail15normal_iteratorINS9_10device_ptrItEEEESE_t11max_functorItEtEEDaPvRmT3_T4_T5_mT6_P12ihipStream_tbENKUlT_T0_E_clISt17integral_constantIbLb0EEST_IbLb1EEEEDaSP_SQ_EUlSP_E0_NS1_11comp_targetILNS1_3genE3ELNS1_11target_archE908ELNS1_3gpuE7ELNS1_3repE0EEENS1_30default_config_static_selectorELNS0_4arch9wavefront6targetE1EEEvT1_
; %bb.0:
	.section	.rodata,"a",@progbits
	.p2align	6, 0x0
	.amdhsa_kernel _ZN7rocprim17ROCPRIM_400000_NS6detail17trampoline_kernelINS0_14default_configENS1_20scan_config_selectorItEEZZNS1_9scan_implILNS1_25lookback_scan_determinismE0ELb1ELb1ES3_N6thrust23THRUST_200600_302600_NS6detail15normal_iteratorINS9_10device_ptrItEEEESE_t11max_functorItEtEEDaPvRmT3_T4_T5_mT6_P12ihipStream_tbENKUlT_T0_E_clISt17integral_constantIbLb0EEST_IbLb1EEEEDaSP_SQ_EUlSP_E0_NS1_11comp_targetILNS1_3genE3ELNS1_11target_archE908ELNS1_3gpuE7ELNS1_3repE0EEENS1_30default_config_static_selectorELNS0_4arch9wavefront6targetE1EEEvT1_
		.amdhsa_group_segment_fixed_size 0
		.amdhsa_private_segment_fixed_size 0
		.amdhsa_kernarg_size 32
		.amdhsa_user_sgpr_count 6
		.amdhsa_user_sgpr_private_segment_buffer 1
		.amdhsa_user_sgpr_dispatch_ptr 0
		.amdhsa_user_sgpr_queue_ptr 0
		.amdhsa_user_sgpr_kernarg_segment_ptr 1
		.amdhsa_user_sgpr_dispatch_id 0
		.amdhsa_user_sgpr_flat_scratch_init 0
		.amdhsa_user_sgpr_kernarg_preload_length 0
		.amdhsa_user_sgpr_kernarg_preload_offset 0
		.amdhsa_user_sgpr_private_segment_size 0
		.amdhsa_uses_dynamic_stack 0
		.amdhsa_system_sgpr_private_segment_wavefront_offset 0
		.amdhsa_system_sgpr_workgroup_id_x 1
		.amdhsa_system_sgpr_workgroup_id_y 0
		.amdhsa_system_sgpr_workgroup_id_z 0
		.amdhsa_system_sgpr_workgroup_info 0
		.amdhsa_system_vgpr_workitem_id 0
		.amdhsa_next_free_vgpr 1
		.amdhsa_next_free_sgpr 0
		.amdhsa_accum_offset 4
		.amdhsa_reserve_vcc 0
		.amdhsa_reserve_flat_scratch 0
		.amdhsa_float_round_mode_32 0
		.amdhsa_float_round_mode_16_64 0
		.amdhsa_float_denorm_mode_32 3
		.amdhsa_float_denorm_mode_16_64 3
		.amdhsa_dx10_clamp 1
		.amdhsa_ieee_mode 1
		.amdhsa_fp16_overflow 0
		.amdhsa_tg_split 0
		.amdhsa_exception_fp_ieee_invalid_op 0
		.amdhsa_exception_fp_denorm_src 0
		.amdhsa_exception_fp_ieee_div_zero 0
		.amdhsa_exception_fp_ieee_overflow 0
		.amdhsa_exception_fp_ieee_underflow 0
		.amdhsa_exception_fp_ieee_inexact 0
		.amdhsa_exception_int_div_zero 0
	.end_amdhsa_kernel
	.section	.text._ZN7rocprim17ROCPRIM_400000_NS6detail17trampoline_kernelINS0_14default_configENS1_20scan_config_selectorItEEZZNS1_9scan_implILNS1_25lookback_scan_determinismE0ELb1ELb1ES3_N6thrust23THRUST_200600_302600_NS6detail15normal_iteratorINS9_10device_ptrItEEEESE_t11max_functorItEtEEDaPvRmT3_T4_T5_mT6_P12ihipStream_tbENKUlT_T0_E_clISt17integral_constantIbLb0EEST_IbLb1EEEEDaSP_SQ_EUlSP_E0_NS1_11comp_targetILNS1_3genE3ELNS1_11target_archE908ELNS1_3gpuE7ELNS1_3repE0EEENS1_30default_config_static_selectorELNS0_4arch9wavefront6targetE1EEEvT1_,"axG",@progbits,_ZN7rocprim17ROCPRIM_400000_NS6detail17trampoline_kernelINS0_14default_configENS1_20scan_config_selectorItEEZZNS1_9scan_implILNS1_25lookback_scan_determinismE0ELb1ELb1ES3_N6thrust23THRUST_200600_302600_NS6detail15normal_iteratorINS9_10device_ptrItEEEESE_t11max_functorItEtEEDaPvRmT3_T4_T5_mT6_P12ihipStream_tbENKUlT_T0_E_clISt17integral_constantIbLb0EEST_IbLb1EEEEDaSP_SQ_EUlSP_E0_NS1_11comp_targetILNS1_3genE3ELNS1_11target_archE908ELNS1_3gpuE7ELNS1_3repE0EEENS1_30default_config_static_selectorELNS0_4arch9wavefront6targetE1EEEvT1_,comdat
.Lfunc_end2552:
	.size	_ZN7rocprim17ROCPRIM_400000_NS6detail17trampoline_kernelINS0_14default_configENS1_20scan_config_selectorItEEZZNS1_9scan_implILNS1_25lookback_scan_determinismE0ELb1ELb1ES3_N6thrust23THRUST_200600_302600_NS6detail15normal_iteratorINS9_10device_ptrItEEEESE_t11max_functorItEtEEDaPvRmT3_T4_T5_mT6_P12ihipStream_tbENKUlT_T0_E_clISt17integral_constantIbLb0EEST_IbLb1EEEEDaSP_SQ_EUlSP_E0_NS1_11comp_targetILNS1_3genE3ELNS1_11target_archE908ELNS1_3gpuE7ELNS1_3repE0EEENS1_30default_config_static_selectorELNS0_4arch9wavefront6targetE1EEEvT1_, .Lfunc_end2552-_ZN7rocprim17ROCPRIM_400000_NS6detail17trampoline_kernelINS0_14default_configENS1_20scan_config_selectorItEEZZNS1_9scan_implILNS1_25lookback_scan_determinismE0ELb1ELb1ES3_N6thrust23THRUST_200600_302600_NS6detail15normal_iteratorINS9_10device_ptrItEEEESE_t11max_functorItEtEEDaPvRmT3_T4_T5_mT6_P12ihipStream_tbENKUlT_T0_E_clISt17integral_constantIbLb0EEST_IbLb1EEEEDaSP_SQ_EUlSP_E0_NS1_11comp_targetILNS1_3genE3ELNS1_11target_archE908ELNS1_3gpuE7ELNS1_3repE0EEENS1_30default_config_static_selectorELNS0_4arch9wavefront6targetE1EEEvT1_
                                        ; -- End function
	.section	.AMDGPU.csdata,"",@progbits
; Kernel info:
; codeLenInByte = 0
; NumSgprs: 4
; NumVgprs: 0
; NumAgprs: 0
; TotalNumVgprs: 0
; ScratchSize: 0
; MemoryBound: 0
; FloatMode: 240
; IeeeMode: 1
; LDSByteSize: 0 bytes/workgroup (compile time only)
; SGPRBlocks: 0
; VGPRBlocks: 0
; NumSGPRsForWavesPerEU: 4
; NumVGPRsForWavesPerEU: 1
; AccumOffset: 4
; Occupancy: 8
; WaveLimiterHint : 0
; COMPUTE_PGM_RSRC2:SCRATCH_EN: 0
; COMPUTE_PGM_RSRC2:USER_SGPR: 6
; COMPUTE_PGM_RSRC2:TRAP_HANDLER: 0
; COMPUTE_PGM_RSRC2:TGID_X_EN: 1
; COMPUTE_PGM_RSRC2:TGID_Y_EN: 0
; COMPUTE_PGM_RSRC2:TGID_Z_EN: 0
; COMPUTE_PGM_RSRC2:TIDIG_COMP_CNT: 0
; COMPUTE_PGM_RSRC3_GFX90A:ACCUM_OFFSET: 0
; COMPUTE_PGM_RSRC3_GFX90A:TG_SPLIT: 0
	.section	.text._ZN7rocprim17ROCPRIM_400000_NS6detail17trampoline_kernelINS0_14default_configENS1_20scan_config_selectorItEEZZNS1_9scan_implILNS1_25lookback_scan_determinismE0ELb1ELb1ES3_N6thrust23THRUST_200600_302600_NS6detail15normal_iteratorINS9_10device_ptrItEEEESE_t11max_functorItEtEEDaPvRmT3_T4_T5_mT6_P12ihipStream_tbENKUlT_T0_E_clISt17integral_constantIbLb0EEST_IbLb1EEEEDaSP_SQ_EUlSP_E0_NS1_11comp_targetILNS1_3genE2ELNS1_11target_archE906ELNS1_3gpuE6ELNS1_3repE0EEENS1_30default_config_static_selectorELNS0_4arch9wavefront6targetE1EEEvT1_,"axG",@progbits,_ZN7rocprim17ROCPRIM_400000_NS6detail17trampoline_kernelINS0_14default_configENS1_20scan_config_selectorItEEZZNS1_9scan_implILNS1_25lookback_scan_determinismE0ELb1ELb1ES3_N6thrust23THRUST_200600_302600_NS6detail15normal_iteratorINS9_10device_ptrItEEEESE_t11max_functorItEtEEDaPvRmT3_T4_T5_mT6_P12ihipStream_tbENKUlT_T0_E_clISt17integral_constantIbLb0EEST_IbLb1EEEEDaSP_SQ_EUlSP_E0_NS1_11comp_targetILNS1_3genE2ELNS1_11target_archE906ELNS1_3gpuE6ELNS1_3repE0EEENS1_30default_config_static_selectorELNS0_4arch9wavefront6targetE1EEEvT1_,comdat
	.protected	_ZN7rocprim17ROCPRIM_400000_NS6detail17trampoline_kernelINS0_14default_configENS1_20scan_config_selectorItEEZZNS1_9scan_implILNS1_25lookback_scan_determinismE0ELb1ELb1ES3_N6thrust23THRUST_200600_302600_NS6detail15normal_iteratorINS9_10device_ptrItEEEESE_t11max_functorItEtEEDaPvRmT3_T4_T5_mT6_P12ihipStream_tbENKUlT_T0_E_clISt17integral_constantIbLb0EEST_IbLb1EEEEDaSP_SQ_EUlSP_E0_NS1_11comp_targetILNS1_3genE2ELNS1_11target_archE906ELNS1_3gpuE6ELNS1_3repE0EEENS1_30default_config_static_selectorELNS0_4arch9wavefront6targetE1EEEvT1_ ; -- Begin function _ZN7rocprim17ROCPRIM_400000_NS6detail17trampoline_kernelINS0_14default_configENS1_20scan_config_selectorItEEZZNS1_9scan_implILNS1_25lookback_scan_determinismE0ELb1ELb1ES3_N6thrust23THRUST_200600_302600_NS6detail15normal_iteratorINS9_10device_ptrItEEEESE_t11max_functorItEtEEDaPvRmT3_T4_T5_mT6_P12ihipStream_tbENKUlT_T0_E_clISt17integral_constantIbLb0EEST_IbLb1EEEEDaSP_SQ_EUlSP_E0_NS1_11comp_targetILNS1_3genE2ELNS1_11target_archE906ELNS1_3gpuE6ELNS1_3repE0EEENS1_30default_config_static_selectorELNS0_4arch9wavefront6targetE1EEEvT1_
	.globl	_ZN7rocprim17ROCPRIM_400000_NS6detail17trampoline_kernelINS0_14default_configENS1_20scan_config_selectorItEEZZNS1_9scan_implILNS1_25lookback_scan_determinismE0ELb1ELb1ES3_N6thrust23THRUST_200600_302600_NS6detail15normal_iteratorINS9_10device_ptrItEEEESE_t11max_functorItEtEEDaPvRmT3_T4_T5_mT6_P12ihipStream_tbENKUlT_T0_E_clISt17integral_constantIbLb0EEST_IbLb1EEEEDaSP_SQ_EUlSP_E0_NS1_11comp_targetILNS1_3genE2ELNS1_11target_archE906ELNS1_3gpuE6ELNS1_3repE0EEENS1_30default_config_static_selectorELNS0_4arch9wavefront6targetE1EEEvT1_
	.p2align	8
	.type	_ZN7rocprim17ROCPRIM_400000_NS6detail17trampoline_kernelINS0_14default_configENS1_20scan_config_selectorItEEZZNS1_9scan_implILNS1_25lookback_scan_determinismE0ELb1ELb1ES3_N6thrust23THRUST_200600_302600_NS6detail15normal_iteratorINS9_10device_ptrItEEEESE_t11max_functorItEtEEDaPvRmT3_T4_T5_mT6_P12ihipStream_tbENKUlT_T0_E_clISt17integral_constantIbLb0EEST_IbLb1EEEEDaSP_SQ_EUlSP_E0_NS1_11comp_targetILNS1_3genE2ELNS1_11target_archE906ELNS1_3gpuE6ELNS1_3repE0EEENS1_30default_config_static_selectorELNS0_4arch9wavefront6targetE1EEEvT1_,@function
_ZN7rocprim17ROCPRIM_400000_NS6detail17trampoline_kernelINS0_14default_configENS1_20scan_config_selectorItEEZZNS1_9scan_implILNS1_25lookback_scan_determinismE0ELb1ELb1ES3_N6thrust23THRUST_200600_302600_NS6detail15normal_iteratorINS9_10device_ptrItEEEESE_t11max_functorItEtEEDaPvRmT3_T4_T5_mT6_P12ihipStream_tbENKUlT_T0_E_clISt17integral_constantIbLb0EEST_IbLb1EEEEDaSP_SQ_EUlSP_E0_NS1_11comp_targetILNS1_3genE2ELNS1_11target_archE906ELNS1_3gpuE6ELNS1_3repE0EEENS1_30default_config_static_selectorELNS0_4arch9wavefront6targetE1EEEvT1_: ; @_ZN7rocprim17ROCPRIM_400000_NS6detail17trampoline_kernelINS0_14default_configENS1_20scan_config_selectorItEEZZNS1_9scan_implILNS1_25lookback_scan_determinismE0ELb1ELb1ES3_N6thrust23THRUST_200600_302600_NS6detail15normal_iteratorINS9_10device_ptrItEEEESE_t11max_functorItEtEEDaPvRmT3_T4_T5_mT6_P12ihipStream_tbENKUlT_T0_E_clISt17integral_constantIbLb0EEST_IbLb1EEEEDaSP_SQ_EUlSP_E0_NS1_11comp_targetILNS1_3genE2ELNS1_11target_archE906ELNS1_3gpuE6ELNS1_3repE0EEENS1_30default_config_static_selectorELNS0_4arch9wavefront6targetE1EEEvT1_
; %bb.0:
	.section	.rodata,"a",@progbits
	.p2align	6, 0x0
	.amdhsa_kernel _ZN7rocprim17ROCPRIM_400000_NS6detail17trampoline_kernelINS0_14default_configENS1_20scan_config_selectorItEEZZNS1_9scan_implILNS1_25lookback_scan_determinismE0ELb1ELb1ES3_N6thrust23THRUST_200600_302600_NS6detail15normal_iteratorINS9_10device_ptrItEEEESE_t11max_functorItEtEEDaPvRmT3_T4_T5_mT6_P12ihipStream_tbENKUlT_T0_E_clISt17integral_constantIbLb0EEST_IbLb1EEEEDaSP_SQ_EUlSP_E0_NS1_11comp_targetILNS1_3genE2ELNS1_11target_archE906ELNS1_3gpuE6ELNS1_3repE0EEENS1_30default_config_static_selectorELNS0_4arch9wavefront6targetE1EEEvT1_
		.amdhsa_group_segment_fixed_size 0
		.amdhsa_private_segment_fixed_size 0
		.amdhsa_kernarg_size 32
		.amdhsa_user_sgpr_count 6
		.amdhsa_user_sgpr_private_segment_buffer 1
		.amdhsa_user_sgpr_dispatch_ptr 0
		.amdhsa_user_sgpr_queue_ptr 0
		.amdhsa_user_sgpr_kernarg_segment_ptr 1
		.amdhsa_user_sgpr_dispatch_id 0
		.amdhsa_user_sgpr_flat_scratch_init 0
		.amdhsa_user_sgpr_kernarg_preload_length 0
		.amdhsa_user_sgpr_kernarg_preload_offset 0
		.amdhsa_user_sgpr_private_segment_size 0
		.amdhsa_uses_dynamic_stack 0
		.amdhsa_system_sgpr_private_segment_wavefront_offset 0
		.amdhsa_system_sgpr_workgroup_id_x 1
		.amdhsa_system_sgpr_workgroup_id_y 0
		.amdhsa_system_sgpr_workgroup_id_z 0
		.amdhsa_system_sgpr_workgroup_info 0
		.amdhsa_system_vgpr_workitem_id 0
		.amdhsa_next_free_vgpr 1
		.amdhsa_next_free_sgpr 0
		.amdhsa_accum_offset 4
		.amdhsa_reserve_vcc 0
		.amdhsa_reserve_flat_scratch 0
		.amdhsa_float_round_mode_32 0
		.amdhsa_float_round_mode_16_64 0
		.amdhsa_float_denorm_mode_32 3
		.amdhsa_float_denorm_mode_16_64 3
		.amdhsa_dx10_clamp 1
		.amdhsa_ieee_mode 1
		.amdhsa_fp16_overflow 0
		.amdhsa_tg_split 0
		.amdhsa_exception_fp_ieee_invalid_op 0
		.amdhsa_exception_fp_denorm_src 0
		.amdhsa_exception_fp_ieee_div_zero 0
		.amdhsa_exception_fp_ieee_overflow 0
		.amdhsa_exception_fp_ieee_underflow 0
		.amdhsa_exception_fp_ieee_inexact 0
		.amdhsa_exception_int_div_zero 0
	.end_amdhsa_kernel
	.section	.text._ZN7rocprim17ROCPRIM_400000_NS6detail17trampoline_kernelINS0_14default_configENS1_20scan_config_selectorItEEZZNS1_9scan_implILNS1_25lookback_scan_determinismE0ELb1ELb1ES3_N6thrust23THRUST_200600_302600_NS6detail15normal_iteratorINS9_10device_ptrItEEEESE_t11max_functorItEtEEDaPvRmT3_T4_T5_mT6_P12ihipStream_tbENKUlT_T0_E_clISt17integral_constantIbLb0EEST_IbLb1EEEEDaSP_SQ_EUlSP_E0_NS1_11comp_targetILNS1_3genE2ELNS1_11target_archE906ELNS1_3gpuE6ELNS1_3repE0EEENS1_30default_config_static_selectorELNS0_4arch9wavefront6targetE1EEEvT1_,"axG",@progbits,_ZN7rocprim17ROCPRIM_400000_NS6detail17trampoline_kernelINS0_14default_configENS1_20scan_config_selectorItEEZZNS1_9scan_implILNS1_25lookback_scan_determinismE0ELb1ELb1ES3_N6thrust23THRUST_200600_302600_NS6detail15normal_iteratorINS9_10device_ptrItEEEESE_t11max_functorItEtEEDaPvRmT3_T4_T5_mT6_P12ihipStream_tbENKUlT_T0_E_clISt17integral_constantIbLb0EEST_IbLb1EEEEDaSP_SQ_EUlSP_E0_NS1_11comp_targetILNS1_3genE2ELNS1_11target_archE906ELNS1_3gpuE6ELNS1_3repE0EEENS1_30default_config_static_selectorELNS0_4arch9wavefront6targetE1EEEvT1_,comdat
.Lfunc_end2553:
	.size	_ZN7rocprim17ROCPRIM_400000_NS6detail17trampoline_kernelINS0_14default_configENS1_20scan_config_selectorItEEZZNS1_9scan_implILNS1_25lookback_scan_determinismE0ELb1ELb1ES3_N6thrust23THRUST_200600_302600_NS6detail15normal_iteratorINS9_10device_ptrItEEEESE_t11max_functorItEtEEDaPvRmT3_T4_T5_mT6_P12ihipStream_tbENKUlT_T0_E_clISt17integral_constantIbLb0EEST_IbLb1EEEEDaSP_SQ_EUlSP_E0_NS1_11comp_targetILNS1_3genE2ELNS1_11target_archE906ELNS1_3gpuE6ELNS1_3repE0EEENS1_30default_config_static_selectorELNS0_4arch9wavefront6targetE1EEEvT1_, .Lfunc_end2553-_ZN7rocprim17ROCPRIM_400000_NS6detail17trampoline_kernelINS0_14default_configENS1_20scan_config_selectorItEEZZNS1_9scan_implILNS1_25lookback_scan_determinismE0ELb1ELb1ES3_N6thrust23THRUST_200600_302600_NS6detail15normal_iteratorINS9_10device_ptrItEEEESE_t11max_functorItEtEEDaPvRmT3_T4_T5_mT6_P12ihipStream_tbENKUlT_T0_E_clISt17integral_constantIbLb0EEST_IbLb1EEEEDaSP_SQ_EUlSP_E0_NS1_11comp_targetILNS1_3genE2ELNS1_11target_archE906ELNS1_3gpuE6ELNS1_3repE0EEENS1_30default_config_static_selectorELNS0_4arch9wavefront6targetE1EEEvT1_
                                        ; -- End function
	.section	.AMDGPU.csdata,"",@progbits
; Kernel info:
; codeLenInByte = 0
; NumSgprs: 4
; NumVgprs: 0
; NumAgprs: 0
; TotalNumVgprs: 0
; ScratchSize: 0
; MemoryBound: 0
; FloatMode: 240
; IeeeMode: 1
; LDSByteSize: 0 bytes/workgroup (compile time only)
; SGPRBlocks: 0
; VGPRBlocks: 0
; NumSGPRsForWavesPerEU: 4
; NumVGPRsForWavesPerEU: 1
; AccumOffset: 4
; Occupancy: 8
; WaveLimiterHint : 0
; COMPUTE_PGM_RSRC2:SCRATCH_EN: 0
; COMPUTE_PGM_RSRC2:USER_SGPR: 6
; COMPUTE_PGM_RSRC2:TRAP_HANDLER: 0
; COMPUTE_PGM_RSRC2:TGID_X_EN: 1
; COMPUTE_PGM_RSRC2:TGID_Y_EN: 0
; COMPUTE_PGM_RSRC2:TGID_Z_EN: 0
; COMPUTE_PGM_RSRC2:TIDIG_COMP_CNT: 0
; COMPUTE_PGM_RSRC3_GFX90A:ACCUM_OFFSET: 0
; COMPUTE_PGM_RSRC3_GFX90A:TG_SPLIT: 0
	.section	.text._ZN7rocprim17ROCPRIM_400000_NS6detail17trampoline_kernelINS0_14default_configENS1_20scan_config_selectorItEEZZNS1_9scan_implILNS1_25lookback_scan_determinismE0ELb1ELb1ES3_N6thrust23THRUST_200600_302600_NS6detail15normal_iteratorINS9_10device_ptrItEEEESE_t11max_functorItEtEEDaPvRmT3_T4_T5_mT6_P12ihipStream_tbENKUlT_T0_E_clISt17integral_constantIbLb0EEST_IbLb1EEEEDaSP_SQ_EUlSP_E0_NS1_11comp_targetILNS1_3genE10ELNS1_11target_archE1201ELNS1_3gpuE5ELNS1_3repE0EEENS1_30default_config_static_selectorELNS0_4arch9wavefront6targetE1EEEvT1_,"axG",@progbits,_ZN7rocprim17ROCPRIM_400000_NS6detail17trampoline_kernelINS0_14default_configENS1_20scan_config_selectorItEEZZNS1_9scan_implILNS1_25lookback_scan_determinismE0ELb1ELb1ES3_N6thrust23THRUST_200600_302600_NS6detail15normal_iteratorINS9_10device_ptrItEEEESE_t11max_functorItEtEEDaPvRmT3_T4_T5_mT6_P12ihipStream_tbENKUlT_T0_E_clISt17integral_constantIbLb0EEST_IbLb1EEEEDaSP_SQ_EUlSP_E0_NS1_11comp_targetILNS1_3genE10ELNS1_11target_archE1201ELNS1_3gpuE5ELNS1_3repE0EEENS1_30default_config_static_selectorELNS0_4arch9wavefront6targetE1EEEvT1_,comdat
	.protected	_ZN7rocprim17ROCPRIM_400000_NS6detail17trampoline_kernelINS0_14default_configENS1_20scan_config_selectorItEEZZNS1_9scan_implILNS1_25lookback_scan_determinismE0ELb1ELb1ES3_N6thrust23THRUST_200600_302600_NS6detail15normal_iteratorINS9_10device_ptrItEEEESE_t11max_functorItEtEEDaPvRmT3_T4_T5_mT6_P12ihipStream_tbENKUlT_T0_E_clISt17integral_constantIbLb0EEST_IbLb1EEEEDaSP_SQ_EUlSP_E0_NS1_11comp_targetILNS1_3genE10ELNS1_11target_archE1201ELNS1_3gpuE5ELNS1_3repE0EEENS1_30default_config_static_selectorELNS0_4arch9wavefront6targetE1EEEvT1_ ; -- Begin function _ZN7rocprim17ROCPRIM_400000_NS6detail17trampoline_kernelINS0_14default_configENS1_20scan_config_selectorItEEZZNS1_9scan_implILNS1_25lookback_scan_determinismE0ELb1ELb1ES3_N6thrust23THRUST_200600_302600_NS6detail15normal_iteratorINS9_10device_ptrItEEEESE_t11max_functorItEtEEDaPvRmT3_T4_T5_mT6_P12ihipStream_tbENKUlT_T0_E_clISt17integral_constantIbLb0EEST_IbLb1EEEEDaSP_SQ_EUlSP_E0_NS1_11comp_targetILNS1_3genE10ELNS1_11target_archE1201ELNS1_3gpuE5ELNS1_3repE0EEENS1_30default_config_static_selectorELNS0_4arch9wavefront6targetE1EEEvT1_
	.globl	_ZN7rocprim17ROCPRIM_400000_NS6detail17trampoline_kernelINS0_14default_configENS1_20scan_config_selectorItEEZZNS1_9scan_implILNS1_25lookback_scan_determinismE0ELb1ELb1ES3_N6thrust23THRUST_200600_302600_NS6detail15normal_iteratorINS9_10device_ptrItEEEESE_t11max_functorItEtEEDaPvRmT3_T4_T5_mT6_P12ihipStream_tbENKUlT_T0_E_clISt17integral_constantIbLb0EEST_IbLb1EEEEDaSP_SQ_EUlSP_E0_NS1_11comp_targetILNS1_3genE10ELNS1_11target_archE1201ELNS1_3gpuE5ELNS1_3repE0EEENS1_30default_config_static_selectorELNS0_4arch9wavefront6targetE1EEEvT1_
	.p2align	8
	.type	_ZN7rocprim17ROCPRIM_400000_NS6detail17trampoline_kernelINS0_14default_configENS1_20scan_config_selectorItEEZZNS1_9scan_implILNS1_25lookback_scan_determinismE0ELb1ELb1ES3_N6thrust23THRUST_200600_302600_NS6detail15normal_iteratorINS9_10device_ptrItEEEESE_t11max_functorItEtEEDaPvRmT3_T4_T5_mT6_P12ihipStream_tbENKUlT_T0_E_clISt17integral_constantIbLb0EEST_IbLb1EEEEDaSP_SQ_EUlSP_E0_NS1_11comp_targetILNS1_3genE10ELNS1_11target_archE1201ELNS1_3gpuE5ELNS1_3repE0EEENS1_30default_config_static_selectorELNS0_4arch9wavefront6targetE1EEEvT1_,@function
_ZN7rocprim17ROCPRIM_400000_NS6detail17trampoline_kernelINS0_14default_configENS1_20scan_config_selectorItEEZZNS1_9scan_implILNS1_25lookback_scan_determinismE0ELb1ELb1ES3_N6thrust23THRUST_200600_302600_NS6detail15normal_iteratorINS9_10device_ptrItEEEESE_t11max_functorItEtEEDaPvRmT3_T4_T5_mT6_P12ihipStream_tbENKUlT_T0_E_clISt17integral_constantIbLb0EEST_IbLb1EEEEDaSP_SQ_EUlSP_E0_NS1_11comp_targetILNS1_3genE10ELNS1_11target_archE1201ELNS1_3gpuE5ELNS1_3repE0EEENS1_30default_config_static_selectorELNS0_4arch9wavefront6targetE1EEEvT1_: ; @_ZN7rocprim17ROCPRIM_400000_NS6detail17trampoline_kernelINS0_14default_configENS1_20scan_config_selectorItEEZZNS1_9scan_implILNS1_25lookback_scan_determinismE0ELb1ELb1ES3_N6thrust23THRUST_200600_302600_NS6detail15normal_iteratorINS9_10device_ptrItEEEESE_t11max_functorItEtEEDaPvRmT3_T4_T5_mT6_P12ihipStream_tbENKUlT_T0_E_clISt17integral_constantIbLb0EEST_IbLb1EEEEDaSP_SQ_EUlSP_E0_NS1_11comp_targetILNS1_3genE10ELNS1_11target_archE1201ELNS1_3gpuE5ELNS1_3repE0EEENS1_30default_config_static_selectorELNS0_4arch9wavefront6targetE1EEEvT1_
; %bb.0:
	.section	.rodata,"a",@progbits
	.p2align	6, 0x0
	.amdhsa_kernel _ZN7rocprim17ROCPRIM_400000_NS6detail17trampoline_kernelINS0_14default_configENS1_20scan_config_selectorItEEZZNS1_9scan_implILNS1_25lookback_scan_determinismE0ELb1ELb1ES3_N6thrust23THRUST_200600_302600_NS6detail15normal_iteratorINS9_10device_ptrItEEEESE_t11max_functorItEtEEDaPvRmT3_T4_T5_mT6_P12ihipStream_tbENKUlT_T0_E_clISt17integral_constantIbLb0EEST_IbLb1EEEEDaSP_SQ_EUlSP_E0_NS1_11comp_targetILNS1_3genE10ELNS1_11target_archE1201ELNS1_3gpuE5ELNS1_3repE0EEENS1_30default_config_static_selectorELNS0_4arch9wavefront6targetE1EEEvT1_
		.amdhsa_group_segment_fixed_size 0
		.amdhsa_private_segment_fixed_size 0
		.amdhsa_kernarg_size 32
		.amdhsa_user_sgpr_count 6
		.amdhsa_user_sgpr_private_segment_buffer 1
		.amdhsa_user_sgpr_dispatch_ptr 0
		.amdhsa_user_sgpr_queue_ptr 0
		.amdhsa_user_sgpr_kernarg_segment_ptr 1
		.amdhsa_user_sgpr_dispatch_id 0
		.amdhsa_user_sgpr_flat_scratch_init 0
		.amdhsa_user_sgpr_kernarg_preload_length 0
		.amdhsa_user_sgpr_kernarg_preload_offset 0
		.amdhsa_user_sgpr_private_segment_size 0
		.amdhsa_uses_dynamic_stack 0
		.amdhsa_system_sgpr_private_segment_wavefront_offset 0
		.amdhsa_system_sgpr_workgroup_id_x 1
		.amdhsa_system_sgpr_workgroup_id_y 0
		.amdhsa_system_sgpr_workgroup_id_z 0
		.amdhsa_system_sgpr_workgroup_info 0
		.amdhsa_system_vgpr_workitem_id 0
		.amdhsa_next_free_vgpr 1
		.amdhsa_next_free_sgpr 0
		.amdhsa_accum_offset 4
		.amdhsa_reserve_vcc 0
		.amdhsa_reserve_flat_scratch 0
		.amdhsa_float_round_mode_32 0
		.amdhsa_float_round_mode_16_64 0
		.amdhsa_float_denorm_mode_32 3
		.amdhsa_float_denorm_mode_16_64 3
		.amdhsa_dx10_clamp 1
		.amdhsa_ieee_mode 1
		.amdhsa_fp16_overflow 0
		.amdhsa_tg_split 0
		.amdhsa_exception_fp_ieee_invalid_op 0
		.amdhsa_exception_fp_denorm_src 0
		.amdhsa_exception_fp_ieee_div_zero 0
		.amdhsa_exception_fp_ieee_overflow 0
		.amdhsa_exception_fp_ieee_underflow 0
		.amdhsa_exception_fp_ieee_inexact 0
		.amdhsa_exception_int_div_zero 0
	.end_amdhsa_kernel
	.section	.text._ZN7rocprim17ROCPRIM_400000_NS6detail17trampoline_kernelINS0_14default_configENS1_20scan_config_selectorItEEZZNS1_9scan_implILNS1_25lookback_scan_determinismE0ELb1ELb1ES3_N6thrust23THRUST_200600_302600_NS6detail15normal_iteratorINS9_10device_ptrItEEEESE_t11max_functorItEtEEDaPvRmT3_T4_T5_mT6_P12ihipStream_tbENKUlT_T0_E_clISt17integral_constantIbLb0EEST_IbLb1EEEEDaSP_SQ_EUlSP_E0_NS1_11comp_targetILNS1_3genE10ELNS1_11target_archE1201ELNS1_3gpuE5ELNS1_3repE0EEENS1_30default_config_static_selectorELNS0_4arch9wavefront6targetE1EEEvT1_,"axG",@progbits,_ZN7rocprim17ROCPRIM_400000_NS6detail17trampoline_kernelINS0_14default_configENS1_20scan_config_selectorItEEZZNS1_9scan_implILNS1_25lookback_scan_determinismE0ELb1ELb1ES3_N6thrust23THRUST_200600_302600_NS6detail15normal_iteratorINS9_10device_ptrItEEEESE_t11max_functorItEtEEDaPvRmT3_T4_T5_mT6_P12ihipStream_tbENKUlT_T0_E_clISt17integral_constantIbLb0EEST_IbLb1EEEEDaSP_SQ_EUlSP_E0_NS1_11comp_targetILNS1_3genE10ELNS1_11target_archE1201ELNS1_3gpuE5ELNS1_3repE0EEENS1_30default_config_static_selectorELNS0_4arch9wavefront6targetE1EEEvT1_,comdat
.Lfunc_end2554:
	.size	_ZN7rocprim17ROCPRIM_400000_NS6detail17trampoline_kernelINS0_14default_configENS1_20scan_config_selectorItEEZZNS1_9scan_implILNS1_25lookback_scan_determinismE0ELb1ELb1ES3_N6thrust23THRUST_200600_302600_NS6detail15normal_iteratorINS9_10device_ptrItEEEESE_t11max_functorItEtEEDaPvRmT3_T4_T5_mT6_P12ihipStream_tbENKUlT_T0_E_clISt17integral_constantIbLb0EEST_IbLb1EEEEDaSP_SQ_EUlSP_E0_NS1_11comp_targetILNS1_3genE10ELNS1_11target_archE1201ELNS1_3gpuE5ELNS1_3repE0EEENS1_30default_config_static_selectorELNS0_4arch9wavefront6targetE1EEEvT1_, .Lfunc_end2554-_ZN7rocprim17ROCPRIM_400000_NS6detail17trampoline_kernelINS0_14default_configENS1_20scan_config_selectorItEEZZNS1_9scan_implILNS1_25lookback_scan_determinismE0ELb1ELb1ES3_N6thrust23THRUST_200600_302600_NS6detail15normal_iteratorINS9_10device_ptrItEEEESE_t11max_functorItEtEEDaPvRmT3_T4_T5_mT6_P12ihipStream_tbENKUlT_T0_E_clISt17integral_constantIbLb0EEST_IbLb1EEEEDaSP_SQ_EUlSP_E0_NS1_11comp_targetILNS1_3genE10ELNS1_11target_archE1201ELNS1_3gpuE5ELNS1_3repE0EEENS1_30default_config_static_selectorELNS0_4arch9wavefront6targetE1EEEvT1_
                                        ; -- End function
	.section	.AMDGPU.csdata,"",@progbits
; Kernel info:
; codeLenInByte = 0
; NumSgprs: 4
; NumVgprs: 0
; NumAgprs: 0
; TotalNumVgprs: 0
; ScratchSize: 0
; MemoryBound: 0
; FloatMode: 240
; IeeeMode: 1
; LDSByteSize: 0 bytes/workgroup (compile time only)
; SGPRBlocks: 0
; VGPRBlocks: 0
; NumSGPRsForWavesPerEU: 4
; NumVGPRsForWavesPerEU: 1
; AccumOffset: 4
; Occupancy: 8
; WaveLimiterHint : 0
; COMPUTE_PGM_RSRC2:SCRATCH_EN: 0
; COMPUTE_PGM_RSRC2:USER_SGPR: 6
; COMPUTE_PGM_RSRC2:TRAP_HANDLER: 0
; COMPUTE_PGM_RSRC2:TGID_X_EN: 1
; COMPUTE_PGM_RSRC2:TGID_Y_EN: 0
; COMPUTE_PGM_RSRC2:TGID_Z_EN: 0
; COMPUTE_PGM_RSRC2:TIDIG_COMP_CNT: 0
; COMPUTE_PGM_RSRC3_GFX90A:ACCUM_OFFSET: 0
; COMPUTE_PGM_RSRC3_GFX90A:TG_SPLIT: 0
	.section	.text._ZN7rocprim17ROCPRIM_400000_NS6detail17trampoline_kernelINS0_14default_configENS1_20scan_config_selectorItEEZZNS1_9scan_implILNS1_25lookback_scan_determinismE0ELb1ELb1ES3_N6thrust23THRUST_200600_302600_NS6detail15normal_iteratorINS9_10device_ptrItEEEESE_t11max_functorItEtEEDaPvRmT3_T4_T5_mT6_P12ihipStream_tbENKUlT_T0_E_clISt17integral_constantIbLb0EEST_IbLb1EEEEDaSP_SQ_EUlSP_E0_NS1_11comp_targetILNS1_3genE10ELNS1_11target_archE1200ELNS1_3gpuE4ELNS1_3repE0EEENS1_30default_config_static_selectorELNS0_4arch9wavefront6targetE1EEEvT1_,"axG",@progbits,_ZN7rocprim17ROCPRIM_400000_NS6detail17trampoline_kernelINS0_14default_configENS1_20scan_config_selectorItEEZZNS1_9scan_implILNS1_25lookback_scan_determinismE0ELb1ELb1ES3_N6thrust23THRUST_200600_302600_NS6detail15normal_iteratorINS9_10device_ptrItEEEESE_t11max_functorItEtEEDaPvRmT3_T4_T5_mT6_P12ihipStream_tbENKUlT_T0_E_clISt17integral_constantIbLb0EEST_IbLb1EEEEDaSP_SQ_EUlSP_E0_NS1_11comp_targetILNS1_3genE10ELNS1_11target_archE1200ELNS1_3gpuE4ELNS1_3repE0EEENS1_30default_config_static_selectorELNS0_4arch9wavefront6targetE1EEEvT1_,comdat
	.protected	_ZN7rocprim17ROCPRIM_400000_NS6detail17trampoline_kernelINS0_14default_configENS1_20scan_config_selectorItEEZZNS1_9scan_implILNS1_25lookback_scan_determinismE0ELb1ELb1ES3_N6thrust23THRUST_200600_302600_NS6detail15normal_iteratorINS9_10device_ptrItEEEESE_t11max_functorItEtEEDaPvRmT3_T4_T5_mT6_P12ihipStream_tbENKUlT_T0_E_clISt17integral_constantIbLb0EEST_IbLb1EEEEDaSP_SQ_EUlSP_E0_NS1_11comp_targetILNS1_3genE10ELNS1_11target_archE1200ELNS1_3gpuE4ELNS1_3repE0EEENS1_30default_config_static_selectorELNS0_4arch9wavefront6targetE1EEEvT1_ ; -- Begin function _ZN7rocprim17ROCPRIM_400000_NS6detail17trampoline_kernelINS0_14default_configENS1_20scan_config_selectorItEEZZNS1_9scan_implILNS1_25lookback_scan_determinismE0ELb1ELb1ES3_N6thrust23THRUST_200600_302600_NS6detail15normal_iteratorINS9_10device_ptrItEEEESE_t11max_functorItEtEEDaPvRmT3_T4_T5_mT6_P12ihipStream_tbENKUlT_T0_E_clISt17integral_constantIbLb0EEST_IbLb1EEEEDaSP_SQ_EUlSP_E0_NS1_11comp_targetILNS1_3genE10ELNS1_11target_archE1200ELNS1_3gpuE4ELNS1_3repE0EEENS1_30default_config_static_selectorELNS0_4arch9wavefront6targetE1EEEvT1_
	.globl	_ZN7rocprim17ROCPRIM_400000_NS6detail17trampoline_kernelINS0_14default_configENS1_20scan_config_selectorItEEZZNS1_9scan_implILNS1_25lookback_scan_determinismE0ELb1ELb1ES3_N6thrust23THRUST_200600_302600_NS6detail15normal_iteratorINS9_10device_ptrItEEEESE_t11max_functorItEtEEDaPvRmT3_T4_T5_mT6_P12ihipStream_tbENKUlT_T0_E_clISt17integral_constantIbLb0EEST_IbLb1EEEEDaSP_SQ_EUlSP_E0_NS1_11comp_targetILNS1_3genE10ELNS1_11target_archE1200ELNS1_3gpuE4ELNS1_3repE0EEENS1_30default_config_static_selectorELNS0_4arch9wavefront6targetE1EEEvT1_
	.p2align	8
	.type	_ZN7rocprim17ROCPRIM_400000_NS6detail17trampoline_kernelINS0_14default_configENS1_20scan_config_selectorItEEZZNS1_9scan_implILNS1_25lookback_scan_determinismE0ELb1ELb1ES3_N6thrust23THRUST_200600_302600_NS6detail15normal_iteratorINS9_10device_ptrItEEEESE_t11max_functorItEtEEDaPvRmT3_T4_T5_mT6_P12ihipStream_tbENKUlT_T0_E_clISt17integral_constantIbLb0EEST_IbLb1EEEEDaSP_SQ_EUlSP_E0_NS1_11comp_targetILNS1_3genE10ELNS1_11target_archE1200ELNS1_3gpuE4ELNS1_3repE0EEENS1_30default_config_static_selectorELNS0_4arch9wavefront6targetE1EEEvT1_,@function
_ZN7rocprim17ROCPRIM_400000_NS6detail17trampoline_kernelINS0_14default_configENS1_20scan_config_selectorItEEZZNS1_9scan_implILNS1_25lookback_scan_determinismE0ELb1ELb1ES3_N6thrust23THRUST_200600_302600_NS6detail15normal_iteratorINS9_10device_ptrItEEEESE_t11max_functorItEtEEDaPvRmT3_T4_T5_mT6_P12ihipStream_tbENKUlT_T0_E_clISt17integral_constantIbLb0EEST_IbLb1EEEEDaSP_SQ_EUlSP_E0_NS1_11comp_targetILNS1_3genE10ELNS1_11target_archE1200ELNS1_3gpuE4ELNS1_3repE0EEENS1_30default_config_static_selectorELNS0_4arch9wavefront6targetE1EEEvT1_: ; @_ZN7rocprim17ROCPRIM_400000_NS6detail17trampoline_kernelINS0_14default_configENS1_20scan_config_selectorItEEZZNS1_9scan_implILNS1_25lookback_scan_determinismE0ELb1ELb1ES3_N6thrust23THRUST_200600_302600_NS6detail15normal_iteratorINS9_10device_ptrItEEEESE_t11max_functorItEtEEDaPvRmT3_T4_T5_mT6_P12ihipStream_tbENKUlT_T0_E_clISt17integral_constantIbLb0EEST_IbLb1EEEEDaSP_SQ_EUlSP_E0_NS1_11comp_targetILNS1_3genE10ELNS1_11target_archE1200ELNS1_3gpuE4ELNS1_3repE0EEENS1_30default_config_static_selectorELNS0_4arch9wavefront6targetE1EEEvT1_
; %bb.0:
	.section	.rodata,"a",@progbits
	.p2align	6, 0x0
	.amdhsa_kernel _ZN7rocprim17ROCPRIM_400000_NS6detail17trampoline_kernelINS0_14default_configENS1_20scan_config_selectorItEEZZNS1_9scan_implILNS1_25lookback_scan_determinismE0ELb1ELb1ES3_N6thrust23THRUST_200600_302600_NS6detail15normal_iteratorINS9_10device_ptrItEEEESE_t11max_functorItEtEEDaPvRmT3_T4_T5_mT6_P12ihipStream_tbENKUlT_T0_E_clISt17integral_constantIbLb0EEST_IbLb1EEEEDaSP_SQ_EUlSP_E0_NS1_11comp_targetILNS1_3genE10ELNS1_11target_archE1200ELNS1_3gpuE4ELNS1_3repE0EEENS1_30default_config_static_selectorELNS0_4arch9wavefront6targetE1EEEvT1_
		.amdhsa_group_segment_fixed_size 0
		.amdhsa_private_segment_fixed_size 0
		.amdhsa_kernarg_size 32
		.amdhsa_user_sgpr_count 6
		.amdhsa_user_sgpr_private_segment_buffer 1
		.amdhsa_user_sgpr_dispatch_ptr 0
		.amdhsa_user_sgpr_queue_ptr 0
		.amdhsa_user_sgpr_kernarg_segment_ptr 1
		.amdhsa_user_sgpr_dispatch_id 0
		.amdhsa_user_sgpr_flat_scratch_init 0
		.amdhsa_user_sgpr_kernarg_preload_length 0
		.amdhsa_user_sgpr_kernarg_preload_offset 0
		.amdhsa_user_sgpr_private_segment_size 0
		.amdhsa_uses_dynamic_stack 0
		.amdhsa_system_sgpr_private_segment_wavefront_offset 0
		.amdhsa_system_sgpr_workgroup_id_x 1
		.amdhsa_system_sgpr_workgroup_id_y 0
		.amdhsa_system_sgpr_workgroup_id_z 0
		.amdhsa_system_sgpr_workgroup_info 0
		.amdhsa_system_vgpr_workitem_id 0
		.amdhsa_next_free_vgpr 1
		.amdhsa_next_free_sgpr 0
		.amdhsa_accum_offset 4
		.amdhsa_reserve_vcc 0
		.amdhsa_reserve_flat_scratch 0
		.amdhsa_float_round_mode_32 0
		.amdhsa_float_round_mode_16_64 0
		.amdhsa_float_denorm_mode_32 3
		.amdhsa_float_denorm_mode_16_64 3
		.amdhsa_dx10_clamp 1
		.amdhsa_ieee_mode 1
		.amdhsa_fp16_overflow 0
		.amdhsa_tg_split 0
		.amdhsa_exception_fp_ieee_invalid_op 0
		.amdhsa_exception_fp_denorm_src 0
		.amdhsa_exception_fp_ieee_div_zero 0
		.amdhsa_exception_fp_ieee_overflow 0
		.amdhsa_exception_fp_ieee_underflow 0
		.amdhsa_exception_fp_ieee_inexact 0
		.amdhsa_exception_int_div_zero 0
	.end_amdhsa_kernel
	.section	.text._ZN7rocprim17ROCPRIM_400000_NS6detail17trampoline_kernelINS0_14default_configENS1_20scan_config_selectorItEEZZNS1_9scan_implILNS1_25lookback_scan_determinismE0ELb1ELb1ES3_N6thrust23THRUST_200600_302600_NS6detail15normal_iteratorINS9_10device_ptrItEEEESE_t11max_functorItEtEEDaPvRmT3_T4_T5_mT6_P12ihipStream_tbENKUlT_T0_E_clISt17integral_constantIbLb0EEST_IbLb1EEEEDaSP_SQ_EUlSP_E0_NS1_11comp_targetILNS1_3genE10ELNS1_11target_archE1200ELNS1_3gpuE4ELNS1_3repE0EEENS1_30default_config_static_selectorELNS0_4arch9wavefront6targetE1EEEvT1_,"axG",@progbits,_ZN7rocprim17ROCPRIM_400000_NS6detail17trampoline_kernelINS0_14default_configENS1_20scan_config_selectorItEEZZNS1_9scan_implILNS1_25lookback_scan_determinismE0ELb1ELb1ES3_N6thrust23THRUST_200600_302600_NS6detail15normal_iteratorINS9_10device_ptrItEEEESE_t11max_functorItEtEEDaPvRmT3_T4_T5_mT6_P12ihipStream_tbENKUlT_T0_E_clISt17integral_constantIbLb0EEST_IbLb1EEEEDaSP_SQ_EUlSP_E0_NS1_11comp_targetILNS1_3genE10ELNS1_11target_archE1200ELNS1_3gpuE4ELNS1_3repE0EEENS1_30default_config_static_selectorELNS0_4arch9wavefront6targetE1EEEvT1_,comdat
.Lfunc_end2555:
	.size	_ZN7rocprim17ROCPRIM_400000_NS6detail17trampoline_kernelINS0_14default_configENS1_20scan_config_selectorItEEZZNS1_9scan_implILNS1_25lookback_scan_determinismE0ELb1ELb1ES3_N6thrust23THRUST_200600_302600_NS6detail15normal_iteratorINS9_10device_ptrItEEEESE_t11max_functorItEtEEDaPvRmT3_T4_T5_mT6_P12ihipStream_tbENKUlT_T0_E_clISt17integral_constantIbLb0EEST_IbLb1EEEEDaSP_SQ_EUlSP_E0_NS1_11comp_targetILNS1_3genE10ELNS1_11target_archE1200ELNS1_3gpuE4ELNS1_3repE0EEENS1_30default_config_static_selectorELNS0_4arch9wavefront6targetE1EEEvT1_, .Lfunc_end2555-_ZN7rocprim17ROCPRIM_400000_NS6detail17trampoline_kernelINS0_14default_configENS1_20scan_config_selectorItEEZZNS1_9scan_implILNS1_25lookback_scan_determinismE0ELb1ELb1ES3_N6thrust23THRUST_200600_302600_NS6detail15normal_iteratorINS9_10device_ptrItEEEESE_t11max_functorItEtEEDaPvRmT3_T4_T5_mT6_P12ihipStream_tbENKUlT_T0_E_clISt17integral_constantIbLb0EEST_IbLb1EEEEDaSP_SQ_EUlSP_E0_NS1_11comp_targetILNS1_3genE10ELNS1_11target_archE1200ELNS1_3gpuE4ELNS1_3repE0EEENS1_30default_config_static_selectorELNS0_4arch9wavefront6targetE1EEEvT1_
                                        ; -- End function
	.section	.AMDGPU.csdata,"",@progbits
; Kernel info:
; codeLenInByte = 0
; NumSgprs: 4
; NumVgprs: 0
; NumAgprs: 0
; TotalNumVgprs: 0
; ScratchSize: 0
; MemoryBound: 0
; FloatMode: 240
; IeeeMode: 1
; LDSByteSize: 0 bytes/workgroup (compile time only)
; SGPRBlocks: 0
; VGPRBlocks: 0
; NumSGPRsForWavesPerEU: 4
; NumVGPRsForWavesPerEU: 1
; AccumOffset: 4
; Occupancy: 8
; WaveLimiterHint : 0
; COMPUTE_PGM_RSRC2:SCRATCH_EN: 0
; COMPUTE_PGM_RSRC2:USER_SGPR: 6
; COMPUTE_PGM_RSRC2:TRAP_HANDLER: 0
; COMPUTE_PGM_RSRC2:TGID_X_EN: 1
; COMPUTE_PGM_RSRC2:TGID_Y_EN: 0
; COMPUTE_PGM_RSRC2:TGID_Z_EN: 0
; COMPUTE_PGM_RSRC2:TIDIG_COMP_CNT: 0
; COMPUTE_PGM_RSRC3_GFX90A:ACCUM_OFFSET: 0
; COMPUTE_PGM_RSRC3_GFX90A:TG_SPLIT: 0
	.section	.text._ZN7rocprim17ROCPRIM_400000_NS6detail17trampoline_kernelINS0_14default_configENS1_20scan_config_selectorItEEZZNS1_9scan_implILNS1_25lookback_scan_determinismE0ELb1ELb1ES3_N6thrust23THRUST_200600_302600_NS6detail15normal_iteratorINS9_10device_ptrItEEEESE_t11max_functorItEtEEDaPvRmT3_T4_T5_mT6_P12ihipStream_tbENKUlT_T0_E_clISt17integral_constantIbLb0EEST_IbLb1EEEEDaSP_SQ_EUlSP_E0_NS1_11comp_targetILNS1_3genE9ELNS1_11target_archE1100ELNS1_3gpuE3ELNS1_3repE0EEENS1_30default_config_static_selectorELNS0_4arch9wavefront6targetE1EEEvT1_,"axG",@progbits,_ZN7rocprim17ROCPRIM_400000_NS6detail17trampoline_kernelINS0_14default_configENS1_20scan_config_selectorItEEZZNS1_9scan_implILNS1_25lookback_scan_determinismE0ELb1ELb1ES3_N6thrust23THRUST_200600_302600_NS6detail15normal_iteratorINS9_10device_ptrItEEEESE_t11max_functorItEtEEDaPvRmT3_T4_T5_mT6_P12ihipStream_tbENKUlT_T0_E_clISt17integral_constantIbLb0EEST_IbLb1EEEEDaSP_SQ_EUlSP_E0_NS1_11comp_targetILNS1_3genE9ELNS1_11target_archE1100ELNS1_3gpuE3ELNS1_3repE0EEENS1_30default_config_static_selectorELNS0_4arch9wavefront6targetE1EEEvT1_,comdat
	.protected	_ZN7rocprim17ROCPRIM_400000_NS6detail17trampoline_kernelINS0_14default_configENS1_20scan_config_selectorItEEZZNS1_9scan_implILNS1_25lookback_scan_determinismE0ELb1ELb1ES3_N6thrust23THRUST_200600_302600_NS6detail15normal_iteratorINS9_10device_ptrItEEEESE_t11max_functorItEtEEDaPvRmT3_T4_T5_mT6_P12ihipStream_tbENKUlT_T0_E_clISt17integral_constantIbLb0EEST_IbLb1EEEEDaSP_SQ_EUlSP_E0_NS1_11comp_targetILNS1_3genE9ELNS1_11target_archE1100ELNS1_3gpuE3ELNS1_3repE0EEENS1_30default_config_static_selectorELNS0_4arch9wavefront6targetE1EEEvT1_ ; -- Begin function _ZN7rocprim17ROCPRIM_400000_NS6detail17trampoline_kernelINS0_14default_configENS1_20scan_config_selectorItEEZZNS1_9scan_implILNS1_25lookback_scan_determinismE0ELb1ELb1ES3_N6thrust23THRUST_200600_302600_NS6detail15normal_iteratorINS9_10device_ptrItEEEESE_t11max_functorItEtEEDaPvRmT3_T4_T5_mT6_P12ihipStream_tbENKUlT_T0_E_clISt17integral_constantIbLb0EEST_IbLb1EEEEDaSP_SQ_EUlSP_E0_NS1_11comp_targetILNS1_3genE9ELNS1_11target_archE1100ELNS1_3gpuE3ELNS1_3repE0EEENS1_30default_config_static_selectorELNS0_4arch9wavefront6targetE1EEEvT1_
	.globl	_ZN7rocprim17ROCPRIM_400000_NS6detail17trampoline_kernelINS0_14default_configENS1_20scan_config_selectorItEEZZNS1_9scan_implILNS1_25lookback_scan_determinismE0ELb1ELb1ES3_N6thrust23THRUST_200600_302600_NS6detail15normal_iteratorINS9_10device_ptrItEEEESE_t11max_functorItEtEEDaPvRmT3_T4_T5_mT6_P12ihipStream_tbENKUlT_T0_E_clISt17integral_constantIbLb0EEST_IbLb1EEEEDaSP_SQ_EUlSP_E0_NS1_11comp_targetILNS1_3genE9ELNS1_11target_archE1100ELNS1_3gpuE3ELNS1_3repE0EEENS1_30default_config_static_selectorELNS0_4arch9wavefront6targetE1EEEvT1_
	.p2align	8
	.type	_ZN7rocprim17ROCPRIM_400000_NS6detail17trampoline_kernelINS0_14default_configENS1_20scan_config_selectorItEEZZNS1_9scan_implILNS1_25lookback_scan_determinismE0ELb1ELb1ES3_N6thrust23THRUST_200600_302600_NS6detail15normal_iteratorINS9_10device_ptrItEEEESE_t11max_functorItEtEEDaPvRmT3_T4_T5_mT6_P12ihipStream_tbENKUlT_T0_E_clISt17integral_constantIbLb0EEST_IbLb1EEEEDaSP_SQ_EUlSP_E0_NS1_11comp_targetILNS1_3genE9ELNS1_11target_archE1100ELNS1_3gpuE3ELNS1_3repE0EEENS1_30default_config_static_selectorELNS0_4arch9wavefront6targetE1EEEvT1_,@function
_ZN7rocprim17ROCPRIM_400000_NS6detail17trampoline_kernelINS0_14default_configENS1_20scan_config_selectorItEEZZNS1_9scan_implILNS1_25lookback_scan_determinismE0ELb1ELb1ES3_N6thrust23THRUST_200600_302600_NS6detail15normal_iteratorINS9_10device_ptrItEEEESE_t11max_functorItEtEEDaPvRmT3_T4_T5_mT6_P12ihipStream_tbENKUlT_T0_E_clISt17integral_constantIbLb0EEST_IbLb1EEEEDaSP_SQ_EUlSP_E0_NS1_11comp_targetILNS1_3genE9ELNS1_11target_archE1100ELNS1_3gpuE3ELNS1_3repE0EEENS1_30default_config_static_selectorELNS0_4arch9wavefront6targetE1EEEvT1_: ; @_ZN7rocprim17ROCPRIM_400000_NS6detail17trampoline_kernelINS0_14default_configENS1_20scan_config_selectorItEEZZNS1_9scan_implILNS1_25lookback_scan_determinismE0ELb1ELb1ES3_N6thrust23THRUST_200600_302600_NS6detail15normal_iteratorINS9_10device_ptrItEEEESE_t11max_functorItEtEEDaPvRmT3_T4_T5_mT6_P12ihipStream_tbENKUlT_T0_E_clISt17integral_constantIbLb0EEST_IbLb1EEEEDaSP_SQ_EUlSP_E0_NS1_11comp_targetILNS1_3genE9ELNS1_11target_archE1100ELNS1_3gpuE3ELNS1_3repE0EEENS1_30default_config_static_selectorELNS0_4arch9wavefront6targetE1EEEvT1_
; %bb.0:
	.section	.rodata,"a",@progbits
	.p2align	6, 0x0
	.amdhsa_kernel _ZN7rocprim17ROCPRIM_400000_NS6detail17trampoline_kernelINS0_14default_configENS1_20scan_config_selectorItEEZZNS1_9scan_implILNS1_25lookback_scan_determinismE0ELb1ELb1ES3_N6thrust23THRUST_200600_302600_NS6detail15normal_iteratorINS9_10device_ptrItEEEESE_t11max_functorItEtEEDaPvRmT3_T4_T5_mT6_P12ihipStream_tbENKUlT_T0_E_clISt17integral_constantIbLb0EEST_IbLb1EEEEDaSP_SQ_EUlSP_E0_NS1_11comp_targetILNS1_3genE9ELNS1_11target_archE1100ELNS1_3gpuE3ELNS1_3repE0EEENS1_30default_config_static_selectorELNS0_4arch9wavefront6targetE1EEEvT1_
		.amdhsa_group_segment_fixed_size 0
		.amdhsa_private_segment_fixed_size 0
		.amdhsa_kernarg_size 32
		.amdhsa_user_sgpr_count 6
		.amdhsa_user_sgpr_private_segment_buffer 1
		.amdhsa_user_sgpr_dispatch_ptr 0
		.amdhsa_user_sgpr_queue_ptr 0
		.amdhsa_user_sgpr_kernarg_segment_ptr 1
		.amdhsa_user_sgpr_dispatch_id 0
		.amdhsa_user_sgpr_flat_scratch_init 0
		.amdhsa_user_sgpr_kernarg_preload_length 0
		.amdhsa_user_sgpr_kernarg_preload_offset 0
		.amdhsa_user_sgpr_private_segment_size 0
		.amdhsa_uses_dynamic_stack 0
		.amdhsa_system_sgpr_private_segment_wavefront_offset 0
		.amdhsa_system_sgpr_workgroup_id_x 1
		.amdhsa_system_sgpr_workgroup_id_y 0
		.amdhsa_system_sgpr_workgroup_id_z 0
		.amdhsa_system_sgpr_workgroup_info 0
		.amdhsa_system_vgpr_workitem_id 0
		.amdhsa_next_free_vgpr 1
		.amdhsa_next_free_sgpr 0
		.amdhsa_accum_offset 4
		.amdhsa_reserve_vcc 0
		.amdhsa_reserve_flat_scratch 0
		.amdhsa_float_round_mode_32 0
		.amdhsa_float_round_mode_16_64 0
		.amdhsa_float_denorm_mode_32 3
		.amdhsa_float_denorm_mode_16_64 3
		.amdhsa_dx10_clamp 1
		.amdhsa_ieee_mode 1
		.amdhsa_fp16_overflow 0
		.amdhsa_tg_split 0
		.amdhsa_exception_fp_ieee_invalid_op 0
		.amdhsa_exception_fp_denorm_src 0
		.amdhsa_exception_fp_ieee_div_zero 0
		.amdhsa_exception_fp_ieee_overflow 0
		.amdhsa_exception_fp_ieee_underflow 0
		.amdhsa_exception_fp_ieee_inexact 0
		.amdhsa_exception_int_div_zero 0
	.end_amdhsa_kernel
	.section	.text._ZN7rocprim17ROCPRIM_400000_NS6detail17trampoline_kernelINS0_14default_configENS1_20scan_config_selectorItEEZZNS1_9scan_implILNS1_25lookback_scan_determinismE0ELb1ELb1ES3_N6thrust23THRUST_200600_302600_NS6detail15normal_iteratorINS9_10device_ptrItEEEESE_t11max_functorItEtEEDaPvRmT3_T4_T5_mT6_P12ihipStream_tbENKUlT_T0_E_clISt17integral_constantIbLb0EEST_IbLb1EEEEDaSP_SQ_EUlSP_E0_NS1_11comp_targetILNS1_3genE9ELNS1_11target_archE1100ELNS1_3gpuE3ELNS1_3repE0EEENS1_30default_config_static_selectorELNS0_4arch9wavefront6targetE1EEEvT1_,"axG",@progbits,_ZN7rocprim17ROCPRIM_400000_NS6detail17trampoline_kernelINS0_14default_configENS1_20scan_config_selectorItEEZZNS1_9scan_implILNS1_25lookback_scan_determinismE0ELb1ELb1ES3_N6thrust23THRUST_200600_302600_NS6detail15normal_iteratorINS9_10device_ptrItEEEESE_t11max_functorItEtEEDaPvRmT3_T4_T5_mT6_P12ihipStream_tbENKUlT_T0_E_clISt17integral_constantIbLb0EEST_IbLb1EEEEDaSP_SQ_EUlSP_E0_NS1_11comp_targetILNS1_3genE9ELNS1_11target_archE1100ELNS1_3gpuE3ELNS1_3repE0EEENS1_30default_config_static_selectorELNS0_4arch9wavefront6targetE1EEEvT1_,comdat
.Lfunc_end2556:
	.size	_ZN7rocprim17ROCPRIM_400000_NS6detail17trampoline_kernelINS0_14default_configENS1_20scan_config_selectorItEEZZNS1_9scan_implILNS1_25lookback_scan_determinismE0ELb1ELb1ES3_N6thrust23THRUST_200600_302600_NS6detail15normal_iteratorINS9_10device_ptrItEEEESE_t11max_functorItEtEEDaPvRmT3_T4_T5_mT6_P12ihipStream_tbENKUlT_T0_E_clISt17integral_constantIbLb0EEST_IbLb1EEEEDaSP_SQ_EUlSP_E0_NS1_11comp_targetILNS1_3genE9ELNS1_11target_archE1100ELNS1_3gpuE3ELNS1_3repE0EEENS1_30default_config_static_selectorELNS0_4arch9wavefront6targetE1EEEvT1_, .Lfunc_end2556-_ZN7rocprim17ROCPRIM_400000_NS6detail17trampoline_kernelINS0_14default_configENS1_20scan_config_selectorItEEZZNS1_9scan_implILNS1_25lookback_scan_determinismE0ELb1ELb1ES3_N6thrust23THRUST_200600_302600_NS6detail15normal_iteratorINS9_10device_ptrItEEEESE_t11max_functorItEtEEDaPvRmT3_T4_T5_mT6_P12ihipStream_tbENKUlT_T0_E_clISt17integral_constantIbLb0EEST_IbLb1EEEEDaSP_SQ_EUlSP_E0_NS1_11comp_targetILNS1_3genE9ELNS1_11target_archE1100ELNS1_3gpuE3ELNS1_3repE0EEENS1_30default_config_static_selectorELNS0_4arch9wavefront6targetE1EEEvT1_
                                        ; -- End function
	.section	.AMDGPU.csdata,"",@progbits
; Kernel info:
; codeLenInByte = 0
; NumSgprs: 4
; NumVgprs: 0
; NumAgprs: 0
; TotalNumVgprs: 0
; ScratchSize: 0
; MemoryBound: 0
; FloatMode: 240
; IeeeMode: 1
; LDSByteSize: 0 bytes/workgroup (compile time only)
; SGPRBlocks: 0
; VGPRBlocks: 0
; NumSGPRsForWavesPerEU: 4
; NumVGPRsForWavesPerEU: 1
; AccumOffset: 4
; Occupancy: 8
; WaveLimiterHint : 0
; COMPUTE_PGM_RSRC2:SCRATCH_EN: 0
; COMPUTE_PGM_RSRC2:USER_SGPR: 6
; COMPUTE_PGM_RSRC2:TRAP_HANDLER: 0
; COMPUTE_PGM_RSRC2:TGID_X_EN: 1
; COMPUTE_PGM_RSRC2:TGID_Y_EN: 0
; COMPUTE_PGM_RSRC2:TGID_Z_EN: 0
; COMPUTE_PGM_RSRC2:TIDIG_COMP_CNT: 0
; COMPUTE_PGM_RSRC3_GFX90A:ACCUM_OFFSET: 0
; COMPUTE_PGM_RSRC3_GFX90A:TG_SPLIT: 0
	.section	.text._ZN7rocprim17ROCPRIM_400000_NS6detail17trampoline_kernelINS0_14default_configENS1_20scan_config_selectorItEEZZNS1_9scan_implILNS1_25lookback_scan_determinismE0ELb1ELb1ES3_N6thrust23THRUST_200600_302600_NS6detail15normal_iteratorINS9_10device_ptrItEEEESE_t11max_functorItEtEEDaPvRmT3_T4_T5_mT6_P12ihipStream_tbENKUlT_T0_E_clISt17integral_constantIbLb0EEST_IbLb1EEEEDaSP_SQ_EUlSP_E0_NS1_11comp_targetILNS1_3genE8ELNS1_11target_archE1030ELNS1_3gpuE2ELNS1_3repE0EEENS1_30default_config_static_selectorELNS0_4arch9wavefront6targetE1EEEvT1_,"axG",@progbits,_ZN7rocprim17ROCPRIM_400000_NS6detail17trampoline_kernelINS0_14default_configENS1_20scan_config_selectorItEEZZNS1_9scan_implILNS1_25lookback_scan_determinismE0ELb1ELb1ES3_N6thrust23THRUST_200600_302600_NS6detail15normal_iteratorINS9_10device_ptrItEEEESE_t11max_functorItEtEEDaPvRmT3_T4_T5_mT6_P12ihipStream_tbENKUlT_T0_E_clISt17integral_constantIbLb0EEST_IbLb1EEEEDaSP_SQ_EUlSP_E0_NS1_11comp_targetILNS1_3genE8ELNS1_11target_archE1030ELNS1_3gpuE2ELNS1_3repE0EEENS1_30default_config_static_selectorELNS0_4arch9wavefront6targetE1EEEvT1_,comdat
	.protected	_ZN7rocprim17ROCPRIM_400000_NS6detail17trampoline_kernelINS0_14default_configENS1_20scan_config_selectorItEEZZNS1_9scan_implILNS1_25lookback_scan_determinismE0ELb1ELb1ES3_N6thrust23THRUST_200600_302600_NS6detail15normal_iteratorINS9_10device_ptrItEEEESE_t11max_functorItEtEEDaPvRmT3_T4_T5_mT6_P12ihipStream_tbENKUlT_T0_E_clISt17integral_constantIbLb0EEST_IbLb1EEEEDaSP_SQ_EUlSP_E0_NS1_11comp_targetILNS1_3genE8ELNS1_11target_archE1030ELNS1_3gpuE2ELNS1_3repE0EEENS1_30default_config_static_selectorELNS0_4arch9wavefront6targetE1EEEvT1_ ; -- Begin function _ZN7rocprim17ROCPRIM_400000_NS6detail17trampoline_kernelINS0_14default_configENS1_20scan_config_selectorItEEZZNS1_9scan_implILNS1_25lookback_scan_determinismE0ELb1ELb1ES3_N6thrust23THRUST_200600_302600_NS6detail15normal_iteratorINS9_10device_ptrItEEEESE_t11max_functorItEtEEDaPvRmT3_T4_T5_mT6_P12ihipStream_tbENKUlT_T0_E_clISt17integral_constantIbLb0EEST_IbLb1EEEEDaSP_SQ_EUlSP_E0_NS1_11comp_targetILNS1_3genE8ELNS1_11target_archE1030ELNS1_3gpuE2ELNS1_3repE0EEENS1_30default_config_static_selectorELNS0_4arch9wavefront6targetE1EEEvT1_
	.globl	_ZN7rocprim17ROCPRIM_400000_NS6detail17trampoline_kernelINS0_14default_configENS1_20scan_config_selectorItEEZZNS1_9scan_implILNS1_25lookback_scan_determinismE0ELb1ELb1ES3_N6thrust23THRUST_200600_302600_NS6detail15normal_iteratorINS9_10device_ptrItEEEESE_t11max_functorItEtEEDaPvRmT3_T4_T5_mT6_P12ihipStream_tbENKUlT_T0_E_clISt17integral_constantIbLb0EEST_IbLb1EEEEDaSP_SQ_EUlSP_E0_NS1_11comp_targetILNS1_3genE8ELNS1_11target_archE1030ELNS1_3gpuE2ELNS1_3repE0EEENS1_30default_config_static_selectorELNS0_4arch9wavefront6targetE1EEEvT1_
	.p2align	8
	.type	_ZN7rocprim17ROCPRIM_400000_NS6detail17trampoline_kernelINS0_14default_configENS1_20scan_config_selectorItEEZZNS1_9scan_implILNS1_25lookback_scan_determinismE0ELb1ELb1ES3_N6thrust23THRUST_200600_302600_NS6detail15normal_iteratorINS9_10device_ptrItEEEESE_t11max_functorItEtEEDaPvRmT3_T4_T5_mT6_P12ihipStream_tbENKUlT_T0_E_clISt17integral_constantIbLb0EEST_IbLb1EEEEDaSP_SQ_EUlSP_E0_NS1_11comp_targetILNS1_3genE8ELNS1_11target_archE1030ELNS1_3gpuE2ELNS1_3repE0EEENS1_30default_config_static_selectorELNS0_4arch9wavefront6targetE1EEEvT1_,@function
_ZN7rocprim17ROCPRIM_400000_NS6detail17trampoline_kernelINS0_14default_configENS1_20scan_config_selectorItEEZZNS1_9scan_implILNS1_25lookback_scan_determinismE0ELb1ELb1ES3_N6thrust23THRUST_200600_302600_NS6detail15normal_iteratorINS9_10device_ptrItEEEESE_t11max_functorItEtEEDaPvRmT3_T4_T5_mT6_P12ihipStream_tbENKUlT_T0_E_clISt17integral_constantIbLb0EEST_IbLb1EEEEDaSP_SQ_EUlSP_E0_NS1_11comp_targetILNS1_3genE8ELNS1_11target_archE1030ELNS1_3gpuE2ELNS1_3repE0EEENS1_30default_config_static_selectorELNS0_4arch9wavefront6targetE1EEEvT1_: ; @_ZN7rocprim17ROCPRIM_400000_NS6detail17trampoline_kernelINS0_14default_configENS1_20scan_config_selectorItEEZZNS1_9scan_implILNS1_25lookback_scan_determinismE0ELb1ELb1ES3_N6thrust23THRUST_200600_302600_NS6detail15normal_iteratorINS9_10device_ptrItEEEESE_t11max_functorItEtEEDaPvRmT3_T4_T5_mT6_P12ihipStream_tbENKUlT_T0_E_clISt17integral_constantIbLb0EEST_IbLb1EEEEDaSP_SQ_EUlSP_E0_NS1_11comp_targetILNS1_3genE8ELNS1_11target_archE1030ELNS1_3gpuE2ELNS1_3repE0EEENS1_30default_config_static_selectorELNS0_4arch9wavefront6targetE1EEEvT1_
; %bb.0:
	.section	.rodata,"a",@progbits
	.p2align	6, 0x0
	.amdhsa_kernel _ZN7rocprim17ROCPRIM_400000_NS6detail17trampoline_kernelINS0_14default_configENS1_20scan_config_selectorItEEZZNS1_9scan_implILNS1_25lookback_scan_determinismE0ELb1ELb1ES3_N6thrust23THRUST_200600_302600_NS6detail15normal_iteratorINS9_10device_ptrItEEEESE_t11max_functorItEtEEDaPvRmT3_T4_T5_mT6_P12ihipStream_tbENKUlT_T0_E_clISt17integral_constantIbLb0EEST_IbLb1EEEEDaSP_SQ_EUlSP_E0_NS1_11comp_targetILNS1_3genE8ELNS1_11target_archE1030ELNS1_3gpuE2ELNS1_3repE0EEENS1_30default_config_static_selectorELNS0_4arch9wavefront6targetE1EEEvT1_
		.amdhsa_group_segment_fixed_size 0
		.amdhsa_private_segment_fixed_size 0
		.amdhsa_kernarg_size 32
		.amdhsa_user_sgpr_count 6
		.amdhsa_user_sgpr_private_segment_buffer 1
		.amdhsa_user_sgpr_dispatch_ptr 0
		.amdhsa_user_sgpr_queue_ptr 0
		.amdhsa_user_sgpr_kernarg_segment_ptr 1
		.amdhsa_user_sgpr_dispatch_id 0
		.amdhsa_user_sgpr_flat_scratch_init 0
		.amdhsa_user_sgpr_kernarg_preload_length 0
		.amdhsa_user_sgpr_kernarg_preload_offset 0
		.amdhsa_user_sgpr_private_segment_size 0
		.amdhsa_uses_dynamic_stack 0
		.amdhsa_system_sgpr_private_segment_wavefront_offset 0
		.amdhsa_system_sgpr_workgroup_id_x 1
		.amdhsa_system_sgpr_workgroup_id_y 0
		.amdhsa_system_sgpr_workgroup_id_z 0
		.amdhsa_system_sgpr_workgroup_info 0
		.amdhsa_system_vgpr_workitem_id 0
		.amdhsa_next_free_vgpr 1
		.amdhsa_next_free_sgpr 0
		.amdhsa_accum_offset 4
		.amdhsa_reserve_vcc 0
		.amdhsa_reserve_flat_scratch 0
		.amdhsa_float_round_mode_32 0
		.amdhsa_float_round_mode_16_64 0
		.amdhsa_float_denorm_mode_32 3
		.amdhsa_float_denorm_mode_16_64 3
		.amdhsa_dx10_clamp 1
		.amdhsa_ieee_mode 1
		.amdhsa_fp16_overflow 0
		.amdhsa_tg_split 0
		.amdhsa_exception_fp_ieee_invalid_op 0
		.amdhsa_exception_fp_denorm_src 0
		.amdhsa_exception_fp_ieee_div_zero 0
		.amdhsa_exception_fp_ieee_overflow 0
		.amdhsa_exception_fp_ieee_underflow 0
		.amdhsa_exception_fp_ieee_inexact 0
		.amdhsa_exception_int_div_zero 0
	.end_amdhsa_kernel
	.section	.text._ZN7rocprim17ROCPRIM_400000_NS6detail17trampoline_kernelINS0_14default_configENS1_20scan_config_selectorItEEZZNS1_9scan_implILNS1_25lookback_scan_determinismE0ELb1ELb1ES3_N6thrust23THRUST_200600_302600_NS6detail15normal_iteratorINS9_10device_ptrItEEEESE_t11max_functorItEtEEDaPvRmT3_T4_T5_mT6_P12ihipStream_tbENKUlT_T0_E_clISt17integral_constantIbLb0EEST_IbLb1EEEEDaSP_SQ_EUlSP_E0_NS1_11comp_targetILNS1_3genE8ELNS1_11target_archE1030ELNS1_3gpuE2ELNS1_3repE0EEENS1_30default_config_static_selectorELNS0_4arch9wavefront6targetE1EEEvT1_,"axG",@progbits,_ZN7rocprim17ROCPRIM_400000_NS6detail17trampoline_kernelINS0_14default_configENS1_20scan_config_selectorItEEZZNS1_9scan_implILNS1_25lookback_scan_determinismE0ELb1ELb1ES3_N6thrust23THRUST_200600_302600_NS6detail15normal_iteratorINS9_10device_ptrItEEEESE_t11max_functorItEtEEDaPvRmT3_T4_T5_mT6_P12ihipStream_tbENKUlT_T0_E_clISt17integral_constantIbLb0EEST_IbLb1EEEEDaSP_SQ_EUlSP_E0_NS1_11comp_targetILNS1_3genE8ELNS1_11target_archE1030ELNS1_3gpuE2ELNS1_3repE0EEENS1_30default_config_static_selectorELNS0_4arch9wavefront6targetE1EEEvT1_,comdat
.Lfunc_end2557:
	.size	_ZN7rocprim17ROCPRIM_400000_NS6detail17trampoline_kernelINS0_14default_configENS1_20scan_config_selectorItEEZZNS1_9scan_implILNS1_25lookback_scan_determinismE0ELb1ELb1ES3_N6thrust23THRUST_200600_302600_NS6detail15normal_iteratorINS9_10device_ptrItEEEESE_t11max_functorItEtEEDaPvRmT3_T4_T5_mT6_P12ihipStream_tbENKUlT_T0_E_clISt17integral_constantIbLb0EEST_IbLb1EEEEDaSP_SQ_EUlSP_E0_NS1_11comp_targetILNS1_3genE8ELNS1_11target_archE1030ELNS1_3gpuE2ELNS1_3repE0EEENS1_30default_config_static_selectorELNS0_4arch9wavefront6targetE1EEEvT1_, .Lfunc_end2557-_ZN7rocprim17ROCPRIM_400000_NS6detail17trampoline_kernelINS0_14default_configENS1_20scan_config_selectorItEEZZNS1_9scan_implILNS1_25lookback_scan_determinismE0ELb1ELb1ES3_N6thrust23THRUST_200600_302600_NS6detail15normal_iteratorINS9_10device_ptrItEEEESE_t11max_functorItEtEEDaPvRmT3_T4_T5_mT6_P12ihipStream_tbENKUlT_T0_E_clISt17integral_constantIbLb0EEST_IbLb1EEEEDaSP_SQ_EUlSP_E0_NS1_11comp_targetILNS1_3genE8ELNS1_11target_archE1030ELNS1_3gpuE2ELNS1_3repE0EEENS1_30default_config_static_selectorELNS0_4arch9wavefront6targetE1EEEvT1_
                                        ; -- End function
	.section	.AMDGPU.csdata,"",@progbits
; Kernel info:
; codeLenInByte = 0
; NumSgprs: 4
; NumVgprs: 0
; NumAgprs: 0
; TotalNumVgprs: 0
; ScratchSize: 0
; MemoryBound: 0
; FloatMode: 240
; IeeeMode: 1
; LDSByteSize: 0 bytes/workgroup (compile time only)
; SGPRBlocks: 0
; VGPRBlocks: 0
; NumSGPRsForWavesPerEU: 4
; NumVGPRsForWavesPerEU: 1
; AccumOffset: 4
; Occupancy: 8
; WaveLimiterHint : 0
; COMPUTE_PGM_RSRC2:SCRATCH_EN: 0
; COMPUTE_PGM_RSRC2:USER_SGPR: 6
; COMPUTE_PGM_RSRC2:TRAP_HANDLER: 0
; COMPUTE_PGM_RSRC2:TGID_X_EN: 1
; COMPUTE_PGM_RSRC2:TGID_Y_EN: 0
; COMPUTE_PGM_RSRC2:TGID_Z_EN: 0
; COMPUTE_PGM_RSRC2:TIDIG_COMP_CNT: 0
; COMPUTE_PGM_RSRC3_GFX90A:ACCUM_OFFSET: 0
; COMPUTE_PGM_RSRC3_GFX90A:TG_SPLIT: 0
	.section	.text._ZN7rocprim17ROCPRIM_400000_NS6detail17trampoline_kernelINS0_14default_configENS1_20scan_config_selectorIxEEZZNS1_9scan_implILNS1_25lookback_scan_determinismE0ELb0ELb0ES3_N6thrust23THRUST_200600_302600_NS6detail15normal_iteratorINS9_10device_ptrIxEEEESE_x11max_functorIxExEEDaPvRmT3_T4_T5_mT6_P12ihipStream_tbENKUlT_T0_E_clISt17integral_constantIbLb0EESU_EEDaSP_SQ_EUlSP_E_NS1_11comp_targetILNS1_3genE0ELNS1_11target_archE4294967295ELNS1_3gpuE0ELNS1_3repE0EEENS1_30default_config_static_selectorELNS0_4arch9wavefront6targetE1EEEvT1_,"axG",@progbits,_ZN7rocprim17ROCPRIM_400000_NS6detail17trampoline_kernelINS0_14default_configENS1_20scan_config_selectorIxEEZZNS1_9scan_implILNS1_25lookback_scan_determinismE0ELb0ELb0ES3_N6thrust23THRUST_200600_302600_NS6detail15normal_iteratorINS9_10device_ptrIxEEEESE_x11max_functorIxExEEDaPvRmT3_T4_T5_mT6_P12ihipStream_tbENKUlT_T0_E_clISt17integral_constantIbLb0EESU_EEDaSP_SQ_EUlSP_E_NS1_11comp_targetILNS1_3genE0ELNS1_11target_archE4294967295ELNS1_3gpuE0ELNS1_3repE0EEENS1_30default_config_static_selectorELNS0_4arch9wavefront6targetE1EEEvT1_,comdat
	.protected	_ZN7rocprim17ROCPRIM_400000_NS6detail17trampoline_kernelINS0_14default_configENS1_20scan_config_selectorIxEEZZNS1_9scan_implILNS1_25lookback_scan_determinismE0ELb0ELb0ES3_N6thrust23THRUST_200600_302600_NS6detail15normal_iteratorINS9_10device_ptrIxEEEESE_x11max_functorIxExEEDaPvRmT3_T4_T5_mT6_P12ihipStream_tbENKUlT_T0_E_clISt17integral_constantIbLb0EESU_EEDaSP_SQ_EUlSP_E_NS1_11comp_targetILNS1_3genE0ELNS1_11target_archE4294967295ELNS1_3gpuE0ELNS1_3repE0EEENS1_30default_config_static_selectorELNS0_4arch9wavefront6targetE1EEEvT1_ ; -- Begin function _ZN7rocprim17ROCPRIM_400000_NS6detail17trampoline_kernelINS0_14default_configENS1_20scan_config_selectorIxEEZZNS1_9scan_implILNS1_25lookback_scan_determinismE0ELb0ELb0ES3_N6thrust23THRUST_200600_302600_NS6detail15normal_iteratorINS9_10device_ptrIxEEEESE_x11max_functorIxExEEDaPvRmT3_T4_T5_mT6_P12ihipStream_tbENKUlT_T0_E_clISt17integral_constantIbLb0EESU_EEDaSP_SQ_EUlSP_E_NS1_11comp_targetILNS1_3genE0ELNS1_11target_archE4294967295ELNS1_3gpuE0ELNS1_3repE0EEENS1_30default_config_static_selectorELNS0_4arch9wavefront6targetE1EEEvT1_
	.globl	_ZN7rocprim17ROCPRIM_400000_NS6detail17trampoline_kernelINS0_14default_configENS1_20scan_config_selectorIxEEZZNS1_9scan_implILNS1_25lookback_scan_determinismE0ELb0ELb0ES3_N6thrust23THRUST_200600_302600_NS6detail15normal_iteratorINS9_10device_ptrIxEEEESE_x11max_functorIxExEEDaPvRmT3_T4_T5_mT6_P12ihipStream_tbENKUlT_T0_E_clISt17integral_constantIbLb0EESU_EEDaSP_SQ_EUlSP_E_NS1_11comp_targetILNS1_3genE0ELNS1_11target_archE4294967295ELNS1_3gpuE0ELNS1_3repE0EEENS1_30default_config_static_selectorELNS0_4arch9wavefront6targetE1EEEvT1_
	.p2align	8
	.type	_ZN7rocprim17ROCPRIM_400000_NS6detail17trampoline_kernelINS0_14default_configENS1_20scan_config_selectorIxEEZZNS1_9scan_implILNS1_25lookback_scan_determinismE0ELb0ELb0ES3_N6thrust23THRUST_200600_302600_NS6detail15normal_iteratorINS9_10device_ptrIxEEEESE_x11max_functorIxExEEDaPvRmT3_T4_T5_mT6_P12ihipStream_tbENKUlT_T0_E_clISt17integral_constantIbLb0EESU_EEDaSP_SQ_EUlSP_E_NS1_11comp_targetILNS1_3genE0ELNS1_11target_archE4294967295ELNS1_3gpuE0ELNS1_3repE0EEENS1_30default_config_static_selectorELNS0_4arch9wavefront6targetE1EEEvT1_,@function
_ZN7rocprim17ROCPRIM_400000_NS6detail17trampoline_kernelINS0_14default_configENS1_20scan_config_selectorIxEEZZNS1_9scan_implILNS1_25lookback_scan_determinismE0ELb0ELb0ES3_N6thrust23THRUST_200600_302600_NS6detail15normal_iteratorINS9_10device_ptrIxEEEESE_x11max_functorIxExEEDaPvRmT3_T4_T5_mT6_P12ihipStream_tbENKUlT_T0_E_clISt17integral_constantIbLb0EESU_EEDaSP_SQ_EUlSP_E_NS1_11comp_targetILNS1_3genE0ELNS1_11target_archE4294967295ELNS1_3gpuE0ELNS1_3repE0EEENS1_30default_config_static_selectorELNS0_4arch9wavefront6targetE1EEEvT1_: ; @_ZN7rocprim17ROCPRIM_400000_NS6detail17trampoline_kernelINS0_14default_configENS1_20scan_config_selectorIxEEZZNS1_9scan_implILNS1_25lookback_scan_determinismE0ELb0ELb0ES3_N6thrust23THRUST_200600_302600_NS6detail15normal_iteratorINS9_10device_ptrIxEEEESE_x11max_functorIxExEEDaPvRmT3_T4_T5_mT6_P12ihipStream_tbENKUlT_T0_E_clISt17integral_constantIbLb0EESU_EEDaSP_SQ_EUlSP_E_NS1_11comp_targetILNS1_3genE0ELNS1_11target_archE4294967295ELNS1_3gpuE0ELNS1_3repE0EEENS1_30default_config_static_selectorELNS0_4arch9wavefront6targetE1EEEvT1_
; %bb.0:
	.section	.rodata,"a",@progbits
	.p2align	6, 0x0
	.amdhsa_kernel _ZN7rocprim17ROCPRIM_400000_NS6detail17trampoline_kernelINS0_14default_configENS1_20scan_config_selectorIxEEZZNS1_9scan_implILNS1_25lookback_scan_determinismE0ELb0ELb0ES3_N6thrust23THRUST_200600_302600_NS6detail15normal_iteratorINS9_10device_ptrIxEEEESE_x11max_functorIxExEEDaPvRmT3_T4_T5_mT6_P12ihipStream_tbENKUlT_T0_E_clISt17integral_constantIbLb0EESU_EEDaSP_SQ_EUlSP_E_NS1_11comp_targetILNS1_3genE0ELNS1_11target_archE4294967295ELNS1_3gpuE0ELNS1_3repE0EEENS1_30default_config_static_selectorELNS0_4arch9wavefront6targetE1EEEvT1_
		.amdhsa_group_segment_fixed_size 0
		.amdhsa_private_segment_fixed_size 0
		.amdhsa_kernarg_size 104
		.amdhsa_user_sgpr_count 6
		.amdhsa_user_sgpr_private_segment_buffer 1
		.amdhsa_user_sgpr_dispatch_ptr 0
		.amdhsa_user_sgpr_queue_ptr 0
		.amdhsa_user_sgpr_kernarg_segment_ptr 1
		.amdhsa_user_sgpr_dispatch_id 0
		.amdhsa_user_sgpr_flat_scratch_init 0
		.amdhsa_user_sgpr_kernarg_preload_length 0
		.amdhsa_user_sgpr_kernarg_preload_offset 0
		.amdhsa_user_sgpr_private_segment_size 0
		.amdhsa_uses_dynamic_stack 0
		.amdhsa_system_sgpr_private_segment_wavefront_offset 0
		.amdhsa_system_sgpr_workgroup_id_x 1
		.amdhsa_system_sgpr_workgroup_id_y 0
		.amdhsa_system_sgpr_workgroup_id_z 0
		.amdhsa_system_sgpr_workgroup_info 0
		.amdhsa_system_vgpr_workitem_id 0
		.amdhsa_next_free_vgpr 1
		.amdhsa_next_free_sgpr 0
		.amdhsa_accum_offset 4
		.amdhsa_reserve_vcc 0
		.amdhsa_reserve_flat_scratch 0
		.amdhsa_float_round_mode_32 0
		.amdhsa_float_round_mode_16_64 0
		.amdhsa_float_denorm_mode_32 3
		.amdhsa_float_denorm_mode_16_64 3
		.amdhsa_dx10_clamp 1
		.amdhsa_ieee_mode 1
		.amdhsa_fp16_overflow 0
		.amdhsa_tg_split 0
		.amdhsa_exception_fp_ieee_invalid_op 0
		.amdhsa_exception_fp_denorm_src 0
		.amdhsa_exception_fp_ieee_div_zero 0
		.amdhsa_exception_fp_ieee_overflow 0
		.amdhsa_exception_fp_ieee_underflow 0
		.amdhsa_exception_fp_ieee_inexact 0
		.amdhsa_exception_int_div_zero 0
	.end_amdhsa_kernel
	.section	.text._ZN7rocprim17ROCPRIM_400000_NS6detail17trampoline_kernelINS0_14default_configENS1_20scan_config_selectorIxEEZZNS1_9scan_implILNS1_25lookback_scan_determinismE0ELb0ELb0ES3_N6thrust23THRUST_200600_302600_NS6detail15normal_iteratorINS9_10device_ptrIxEEEESE_x11max_functorIxExEEDaPvRmT3_T4_T5_mT6_P12ihipStream_tbENKUlT_T0_E_clISt17integral_constantIbLb0EESU_EEDaSP_SQ_EUlSP_E_NS1_11comp_targetILNS1_3genE0ELNS1_11target_archE4294967295ELNS1_3gpuE0ELNS1_3repE0EEENS1_30default_config_static_selectorELNS0_4arch9wavefront6targetE1EEEvT1_,"axG",@progbits,_ZN7rocprim17ROCPRIM_400000_NS6detail17trampoline_kernelINS0_14default_configENS1_20scan_config_selectorIxEEZZNS1_9scan_implILNS1_25lookback_scan_determinismE0ELb0ELb0ES3_N6thrust23THRUST_200600_302600_NS6detail15normal_iteratorINS9_10device_ptrIxEEEESE_x11max_functorIxExEEDaPvRmT3_T4_T5_mT6_P12ihipStream_tbENKUlT_T0_E_clISt17integral_constantIbLb0EESU_EEDaSP_SQ_EUlSP_E_NS1_11comp_targetILNS1_3genE0ELNS1_11target_archE4294967295ELNS1_3gpuE0ELNS1_3repE0EEENS1_30default_config_static_selectorELNS0_4arch9wavefront6targetE1EEEvT1_,comdat
.Lfunc_end2558:
	.size	_ZN7rocprim17ROCPRIM_400000_NS6detail17trampoline_kernelINS0_14default_configENS1_20scan_config_selectorIxEEZZNS1_9scan_implILNS1_25lookback_scan_determinismE0ELb0ELb0ES3_N6thrust23THRUST_200600_302600_NS6detail15normal_iteratorINS9_10device_ptrIxEEEESE_x11max_functorIxExEEDaPvRmT3_T4_T5_mT6_P12ihipStream_tbENKUlT_T0_E_clISt17integral_constantIbLb0EESU_EEDaSP_SQ_EUlSP_E_NS1_11comp_targetILNS1_3genE0ELNS1_11target_archE4294967295ELNS1_3gpuE0ELNS1_3repE0EEENS1_30default_config_static_selectorELNS0_4arch9wavefront6targetE1EEEvT1_, .Lfunc_end2558-_ZN7rocprim17ROCPRIM_400000_NS6detail17trampoline_kernelINS0_14default_configENS1_20scan_config_selectorIxEEZZNS1_9scan_implILNS1_25lookback_scan_determinismE0ELb0ELb0ES3_N6thrust23THRUST_200600_302600_NS6detail15normal_iteratorINS9_10device_ptrIxEEEESE_x11max_functorIxExEEDaPvRmT3_T4_T5_mT6_P12ihipStream_tbENKUlT_T0_E_clISt17integral_constantIbLb0EESU_EEDaSP_SQ_EUlSP_E_NS1_11comp_targetILNS1_3genE0ELNS1_11target_archE4294967295ELNS1_3gpuE0ELNS1_3repE0EEENS1_30default_config_static_selectorELNS0_4arch9wavefront6targetE1EEEvT1_
                                        ; -- End function
	.section	.AMDGPU.csdata,"",@progbits
; Kernel info:
; codeLenInByte = 0
; NumSgprs: 4
; NumVgprs: 0
; NumAgprs: 0
; TotalNumVgprs: 0
; ScratchSize: 0
; MemoryBound: 0
; FloatMode: 240
; IeeeMode: 1
; LDSByteSize: 0 bytes/workgroup (compile time only)
; SGPRBlocks: 0
; VGPRBlocks: 0
; NumSGPRsForWavesPerEU: 4
; NumVGPRsForWavesPerEU: 1
; AccumOffset: 4
; Occupancy: 8
; WaveLimiterHint : 0
; COMPUTE_PGM_RSRC2:SCRATCH_EN: 0
; COMPUTE_PGM_RSRC2:USER_SGPR: 6
; COMPUTE_PGM_RSRC2:TRAP_HANDLER: 0
; COMPUTE_PGM_RSRC2:TGID_X_EN: 1
; COMPUTE_PGM_RSRC2:TGID_Y_EN: 0
; COMPUTE_PGM_RSRC2:TGID_Z_EN: 0
; COMPUTE_PGM_RSRC2:TIDIG_COMP_CNT: 0
; COMPUTE_PGM_RSRC3_GFX90A:ACCUM_OFFSET: 0
; COMPUTE_PGM_RSRC3_GFX90A:TG_SPLIT: 0
	.section	.text._ZN7rocprim17ROCPRIM_400000_NS6detail17trampoline_kernelINS0_14default_configENS1_20scan_config_selectorIxEEZZNS1_9scan_implILNS1_25lookback_scan_determinismE0ELb0ELb0ES3_N6thrust23THRUST_200600_302600_NS6detail15normal_iteratorINS9_10device_ptrIxEEEESE_x11max_functorIxExEEDaPvRmT3_T4_T5_mT6_P12ihipStream_tbENKUlT_T0_E_clISt17integral_constantIbLb0EESU_EEDaSP_SQ_EUlSP_E_NS1_11comp_targetILNS1_3genE5ELNS1_11target_archE942ELNS1_3gpuE9ELNS1_3repE0EEENS1_30default_config_static_selectorELNS0_4arch9wavefront6targetE1EEEvT1_,"axG",@progbits,_ZN7rocprim17ROCPRIM_400000_NS6detail17trampoline_kernelINS0_14default_configENS1_20scan_config_selectorIxEEZZNS1_9scan_implILNS1_25lookback_scan_determinismE0ELb0ELb0ES3_N6thrust23THRUST_200600_302600_NS6detail15normal_iteratorINS9_10device_ptrIxEEEESE_x11max_functorIxExEEDaPvRmT3_T4_T5_mT6_P12ihipStream_tbENKUlT_T0_E_clISt17integral_constantIbLb0EESU_EEDaSP_SQ_EUlSP_E_NS1_11comp_targetILNS1_3genE5ELNS1_11target_archE942ELNS1_3gpuE9ELNS1_3repE0EEENS1_30default_config_static_selectorELNS0_4arch9wavefront6targetE1EEEvT1_,comdat
	.protected	_ZN7rocprim17ROCPRIM_400000_NS6detail17trampoline_kernelINS0_14default_configENS1_20scan_config_selectorIxEEZZNS1_9scan_implILNS1_25lookback_scan_determinismE0ELb0ELb0ES3_N6thrust23THRUST_200600_302600_NS6detail15normal_iteratorINS9_10device_ptrIxEEEESE_x11max_functorIxExEEDaPvRmT3_T4_T5_mT6_P12ihipStream_tbENKUlT_T0_E_clISt17integral_constantIbLb0EESU_EEDaSP_SQ_EUlSP_E_NS1_11comp_targetILNS1_3genE5ELNS1_11target_archE942ELNS1_3gpuE9ELNS1_3repE0EEENS1_30default_config_static_selectorELNS0_4arch9wavefront6targetE1EEEvT1_ ; -- Begin function _ZN7rocprim17ROCPRIM_400000_NS6detail17trampoline_kernelINS0_14default_configENS1_20scan_config_selectorIxEEZZNS1_9scan_implILNS1_25lookback_scan_determinismE0ELb0ELb0ES3_N6thrust23THRUST_200600_302600_NS6detail15normal_iteratorINS9_10device_ptrIxEEEESE_x11max_functorIxExEEDaPvRmT3_T4_T5_mT6_P12ihipStream_tbENKUlT_T0_E_clISt17integral_constantIbLb0EESU_EEDaSP_SQ_EUlSP_E_NS1_11comp_targetILNS1_3genE5ELNS1_11target_archE942ELNS1_3gpuE9ELNS1_3repE0EEENS1_30default_config_static_selectorELNS0_4arch9wavefront6targetE1EEEvT1_
	.globl	_ZN7rocprim17ROCPRIM_400000_NS6detail17trampoline_kernelINS0_14default_configENS1_20scan_config_selectorIxEEZZNS1_9scan_implILNS1_25lookback_scan_determinismE0ELb0ELb0ES3_N6thrust23THRUST_200600_302600_NS6detail15normal_iteratorINS9_10device_ptrIxEEEESE_x11max_functorIxExEEDaPvRmT3_T4_T5_mT6_P12ihipStream_tbENKUlT_T0_E_clISt17integral_constantIbLb0EESU_EEDaSP_SQ_EUlSP_E_NS1_11comp_targetILNS1_3genE5ELNS1_11target_archE942ELNS1_3gpuE9ELNS1_3repE0EEENS1_30default_config_static_selectorELNS0_4arch9wavefront6targetE1EEEvT1_
	.p2align	8
	.type	_ZN7rocprim17ROCPRIM_400000_NS6detail17trampoline_kernelINS0_14default_configENS1_20scan_config_selectorIxEEZZNS1_9scan_implILNS1_25lookback_scan_determinismE0ELb0ELb0ES3_N6thrust23THRUST_200600_302600_NS6detail15normal_iteratorINS9_10device_ptrIxEEEESE_x11max_functorIxExEEDaPvRmT3_T4_T5_mT6_P12ihipStream_tbENKUlT_T0_E_clISt17integral_constantIbLb0EESU_EEDaSP_SQ_EUlSP_E_NS1_11comp_targetILNS1_3genE5ELNS1_11target_archE942ELNS1_3gpuE9ELNS1_3repE0EEENS1_30default_config_static_selectorELNS0_4arch9wavefront6targetE1EEEvT1_,@function
_ZN7rocprim17ROCPRIM_400000_NS6detail17trampoline_kernelINS0_14default_configENS1_20scan_config_selectorIxEEZZNS1_9scan_implILNS1_25lookback_scan_determinismE0ELb0ELb0ES3_N6thrust23THRUST_200600_302600_NS6detail15normal_iteratorINS9_10device_ptrIxEEEESE_x11max_functorIxExEEDaPvRmT3_T4_T5_mT6_P12ihipStream_tbENKUlT_T0_E_clISt17integral_constantIbLb0EESU_EEDaSP_SQ_EUlSP_E_NS1_11comp_targetILNS1_3genE5ELNS1_11target_archE942ELNS1_3gpuE9ELNS1_3repE0EEENS1_30default_config_static_selectorELNS0_4arch9wavefront6targetE1EEEvT1_: ; @_ZN7rocprim17ROCPRIM_400000_NS6detail17trampoline_kernelINS0_14default_configENS1_20scan_config_selectorIxEEZZNS1_9scan_implILNS1_25lookback_scan_determinismE0ELb0ELb0ES3_N6thrust23THRUST_200600_302600_NS6detail15normal_iteratorINS9_10device_ptrIxEEEESE_x11max_functorIxExEEDaPvRmT3_T4_T5_mT6_P12ihipStream_tbENKUlT_T0_E_clISt17integral_constantIbLb0EESU_EEDaSP_SQ_EUlSP_E_NS1_11comp_targetILNS1_3genE5ELNS1_11target_archE942ELNS1_3gpuE9ELNS1_3repE0EEENS1_30default_config_static_selectorELNS0_4arch9wavefront6targetE1EEEvT1_
; %bb.0:
	.section	.rodata,"a",@progbits
	.p2align	6, 0x0
	.amdhsa_kernel _ZN7rocprim17ROCPRIM_400000_NS6detail17trampoline_kernelINS0_14default_configENS1_20scan_config_selectorIxEEZZNS1_9scan_implILNS1_25lookback_scan_determinismE0ELb0ELb0ES3_N6thrust23THRUST_200600_302600_NS6detail15normal_iteratorINS9_10device_ptrIxEEEESE_x11max_functorIxExEEDaPvRmT3_T4_T5_mT6_P12ihipStream_tbENKUlT_T0_E_clISt17integral_constantIbLb0EESU_EEDaSP_SQ_EUlSP_E_NS1_11comp_targetILNS1_3genE5ELNS1_11target_archE942ELNS1_3gpuE9ELNS1_3repE0EEENS1_30default_config_static_selectorELNS0_4arch9wavefront6targetE1EEEvT1_
		.amdhsa_group_segment_fixed_size 0
		.amdhsa_private_segment_fixed_size 0
		.amdhsa_kernarg_size 104
		.amdhsa_user_sgpr_count 6
		.amdhsa_user_sgpr_private_segment_buffer 1
		.amdhsa_user_sgpr_dispatch_ptr 0
		.amdhsa_user_sgpr_queue_ptr 0
		.amdhsa_user_sgpr_kernarg_segment_ptr 1
		.amdhsa_user_sgpr_dispatch_id 0
		.amdhsa_user_sgpr_flat_scratch_init 0
		.amdhsa_user_sgpr_kernarg_preload_length 0
		.amdhsa_user_sgpr_kernarg_preload_offset 0
		.amdhsa_user_sgpr_private_segment_size 0
		.amdhsa_uses_dynamic_stack 0
		.amdhsa_system_sgpr_private_segment_wavefront_offset 0
		.amdhsa_system_sgpr_workgroup_id_x 1
		.amdhsa_system_sgpr_workgroup_id_y 0
		.amdhsa_system_sgpr_workgroup_id_z 0
		.amdhsa_system_sgpr_workgroup_info 0
		.amdhsa_system_vgpr_workitem_id 0
		.amdhsa_next_free_vgpr 1
		.amdhsa_next_free_sgpr 0
		.amdhsa_accum_offset 4
		.amdhsa_reserve_vcc 0
		.amdhsa_reserve_flat_scratch 0
		.amdhsa_float_round_mode_32 0
		.amdhsa_float_round_mode_16_64 0
		.amdhsa_float_denorm_mode_32 3
		.amdhsa_float_denorm_mode_16_64 3
		.amdhsa_dx10_clamp 1
		.amdhsa_ieee_mode 1
		.amdhsa_fp16_overflow 0
		.amdhsa_tg_split 0
		.amdhsa_exception_fp_ieee_invalid_op 0
		.amdhsa_exception_fp_denorm_src 0
		.amdhsa_exception_fp_ieee_div_zero 0
		.amdhsa_exception_fp_ieee_overflow 0
		.amdhsa_exception_fp_ieee_underflow 0
		.amdhsa_exception_fp_ieee_inexact 0
		.amdhsa_exception_int_div_zero 0
	.end_amdhsa_kernel
	.section	.text._ZN7rocprim17ROCPRIM_400000_NS6detail17trampoline_kernelINS0_14default_configENS1_20scan_config_selectorIxEEZZNS1_9scan_implILNS1_25lookback_scan_determinismE0ELb0ELb0ES3_N6thrust23THRUST_200600_302600_NS6detail15normal_iteratorINS9_10device_ptrIxEEEESE_x11max_functorIxExEEDaPvRmT3_T4_T5_mT6_P12ihipStream_tbENKUlT_T0_E_clISt17integral_constantIbLb0EESU_EEDaSP_SQ_EUlSP_E_NS1_11comp_targetILNS1_3genE5ELNS1_11target_archE942ELNS1_3gpuE9ELNS1_3repE0EEENS1_30default_config_static_selectorELNS0_4arch9wavefront6targetE1EEEvT1_,"axG",@progbits,_ZN7rocprim17ROCPRIM_400000_NS6detail17trampoline_kernelINS0_14default_configENS1_20scan_config_selectorIxEEZZNS1_9scan_implILNS1_25lookback_scan_determinismE0ELb0ELb0ES3_N6thrust23THRUST_200600_302600_NS6detail15normal_iteratorINS9_10device_ptrIxEEEESE_x11max_functorIxExEEDaPvRmT3_T4_T5_mT6_P12ihipStream_tbENKUlT_T0_E_clISt17integral_constantIbLb0EESU_EEDaSP_SQ_EUlSP_E_NS1_11comp_targetILNS1_3genE5ELNS1_11target_archE942ELNS1_3gpuE9ELNS1_3repE0EEENS1_30default_config_static_selectorELNS0_4arch9wavefront6targetE1EEEvT1_,comdat
.Lfunc_end2559:
	.size	_ZN7rocprim17ROCPRIM_400000_NS6detail17trampoline_kernelINS0_14default_configENS1_20scan_config_selectorIxEEZZNS1_9scan_implILNS1_25lookback_scan_determinismE0ELb0ELb0ES3_N6thrust23THRUST_200600_302600_NS6detail15normal_iteratorINS9_10device_ptrIxEEEESE_x11max_functorIxExEEDaPvRmT3_T4_T5_mT6_P12ihipStream_tbENKUlT_T0_E_clISt17integral_constantIbLb0EESU_EEDaSP_SQ_EUlSP_E_NS1_11comp_targetILNS1_3genE5ELNS1_11target_archE942ELNS1_3gpuE9ELNS1_3repE0EEENS1_30default_config_static_selectorELNS0_4arch9wavefront6targetE1EEEvT1_, .Lfunc_end2559-_ZN7rocprim17ROCPRIM_400000_NS6detail17trampoline_kernelINS0_14default_configENS1_20scan_config_selectorIxEEZZNS1_9scan_implILNS1_25lookback_scan_determinismE0ELb0ELb0ES3_N6thrust23THRUST_200600_302600_NS6detail15normal_iteratorINS9_10device_ptrIxEEEESE_x11max_functorIxExEEDaPvRmT3_T4_T5_mT6_P12ihipStream_tbENKUlT_T0_E_clISt17integral_constantIbLb0EESU_EEDaSP_SQ_EUlSP_E_NS1_11comp_targetILNS1_3genE5ELNS1_11target_archE942ELNS1_3gpuE9ELNS1_3repE0EEENS1_30default_config_static_selectorELNS0_4arch9wavefront6targetE1EEEvT1_
                                        ; -- End function
	.section	.AMDGPU.csdata,"",@progbits
; Kernel info:
; codeLenInByte = 0
; NumSgprs: 4
; NumVgprs: 0
; NumAgprs: 0
; TotalNumVgprs: 0
; ScratchSize: 0
; MemoryBound: 0
; FloatMode: 240
; IeeeMode: 1
; LDSByteSize: 0 bytes/workgroup (compile time only)
; SGPRBlocks: 0
; VGPRBlocks: 0
; NumSGPRsForWavesPerEU: 4
; NumVGPRsForWavesPerEU: 1
; AccumOffset: 4
; Occupancy: 8
; WaveLimiterHint : 0
; COMPUTE_PGM_RSRC2:SCRATCH_EN: 0
; COMPUTE_PGM_RSRC2:USER_SGPR: 6
; COMPUTE_PGM_RSRC2:TRAP_HANDLER: 0
; COMPUTE_PGM_RSRC2:TGID_X_EN: 1
; COMPUTE_PGM_RSRC2:TGID_Y_EN: 0
; COMPUTE_PGM_RSRC2:TGID_Z_EN: 0
; COMPUTE_PGM_RSRC2:TIDIG_COMP_CNT: 0
; COMPUTE_PGM_RSRC3_GFX90A:ACCUM_OFFSET: 0
; COMPUTE_PGM_RSRC3_GFX90A:TG_SPLIT: 0
	.section	.text._ZN7rocprim17ROCPRIM_400000_NS6detail17trampoline_kernelINS0_14default_configENS1_20scan_config_selectorIxEEZZNS1_9scan_implILNS1_25lookback_scan_determinismE0ELb0ELb0ES3_N6thrust23THRUST_200600_302600_NS6detail15normal_iteratorINS9_10device_ptrIxEEEESE_x11max_functorIxExEEDaPvRmT3_T4_T5_mT6_P12ihipStream_tbENKUlT_T0_E_clISt17integral_constantIbLb0EESU_EEDaSP_SQ_EUlSP_E_NS1_11comp_targetILNS1_3genE4ELNS1_11target_archE910ELNS1_3gpuE8ELNS1_3repE0EEENS1_30default_config_static_selectorELNS0_4arch9wavefront6targetE1EEEvT1_,"axG",@progbits,_ZN7rocprim17ROCPRIM_400000_NS6detail17trampoline_kernelINS0_14default_configENS1_20scan_config_selectorIxEEZZNS1_9scan_implILNS1_25lookback_scan_determinismE0ELb0ELb0ES3_N6thrust23THRUST_200600_302600_NS6detail15normal_iteratorINS9_10device_ptrIxEEEESE_x11max_functorIxExEEDaPvRmT3_T4_T5_mT6_P12ihipStream_tbENKUlT_T0_E_clISt17integral_constantIbLb0EESU_EEDaSP_SQ_EUlSP_E_NS1_11comp_targetILNS1_3genE4ELNS1_11target_archE910ELNS1_3gpuE8ELNS1_3repE0EEENS1_30default_config_static_selectorELNS0_4arch9wavefront6targetE1EEEvT1_,comdat
	.protected	_ZN7rocprim17ROCPRIM_400000_NS6detail17trampoline_kernelINS0_14default_configENS1_20scan_config_selectorIxEEZZNS1_9scan_implILNS1_25lookback_scan_determinismE0ELb0ELb0ES3_N6thrust23THRUST_200600_302600_NS6detail15normal_iteratorINS9_10device_ptrIxEEEESE_x11max_functorIxExEEDaPvRmT3_T4_T5_mT6_P12ihipStream_tbENKUlT_T0_E_clISt17integral_constantIbLb0EESU_EEDaSP_SQ_EUlSP_E_NS1_11comp_targetILNS1_3genE4ELNS1_11target_archE910ELNS1_3gpuE8ELNS1_3repE0EEENS1_30default_config_static_selectorELNS0_4arch9wavefront6targetE1EEEvT1_ ; -- Begin function _ZN7rocprim17ROCPRIM_400000_NS6detail17trampoline_kernelINS0_14default_configENS1_20scan_config_selectorIxEEZZNS1_9scan_implILNS1_25lookback_scan_determinismE0ELb0ELb0ES3_N6thrust23THRUST_200600_302600_NS6detail15normal_iteratorINS9_10device_ptrIxEEEESE_x11max_functorIxExEEDaPvRmT3_T4_T5_mT6_P12ihipStream_tbENKUlT_T0_E_clISt17integral_constantIbLb0EESU_EEDaSP_SQ_EUlSP_E_NS1_11comp_targetILNS1_3genE4ELNS1_11target_archE910ELNS1_3gpuE8ELNS1_3repE0EEENS1_30default_config_static_selectorELNS0_4arch9wavefront6targetE1EEEvT1_
	.globl	_ZN7rocprim17ROCPRIM_400000_NS6detail17trampoline_kernelINS0_14default_configENS1_20scan_config_selectorIxEEZZNS1_9scan_implILNS1_25lookback_scan_determinismE0ELb0ELb0ES3_N6thrust23THRUST_200600_302600_NS6detail15normal_iteratorINS9_10device_ptrIxEEEESE_x11max_functorIxExEEDaPvRmT3_T4_T5_mT6_P12ihipStream_tbENKUlT_T0_E_clISt17integral_constantIbLb0EESU_EEDaSP_SQ_EUlSP_E_NS1_11comp_targetILNS1_3genE4ELNS1_11target_archE910ELNS1_3gpuE8ELNS1_3repE0EEENS1_30default_config_static_selectorELNS0_4arch9wavefront6targetE1EEEvT1_
	.p2align	8
	.type	_ZN7rocprim17ROCPRIM_400000_NS6detail17trampoline_kernelINS0_14default_configENS1_20scan_config_selectorIxEEZZNS1_9scan_implILNS1_25lookback_scan_determinismE0ELb0ELb0ES3_N6thrust23THRUST_200600_302600_NS6detail15normal_iteratorINS9_10device_ptrIxEEEESE_x11max_functorIxExEEDaPvRmT3_T4_T5_mT6_P12ihipStream_tbENKUlT_T0_E_clISt17integral_constantIbLb0EESU_EEDaSP_SQ_EUlSP_E_NS1_11comp_targetILNS1_3genE4ELNS1_11target_archE910ELNS1_3gpuE8ELNS1_3repE0EEENS1_30default_config_static_selectorELNS0_4arch9wavefront6targetE1EEEvT1_,@function
_ZN7rocprim17ROCPRIM_400000_NS6detail17trampoline_kernelINS0_14default_configENS1_20scan_config_selectorIxEEZZNS1_9scan_implILNS1_25lookback_scan_determinismE0ELb0ELb0ES3_N6thrust23THRUST_200600_302600_NS6detail15normal_iteratorINS9_10device_ptrIxEEEESE_x11max_functorIxExEEDaPvRmT3_T4_T5_mT6_P12ihipStream_tbENKUlT_T0_E_clISt17integral_constantIbLb0EESU_EEDaSP_SQ_EUlSP_E_NS1_11comp_targetILNS1_3genE4ELNS1_11target_archE910ELNS1_3gpuE8ELNS1_3repE0EEENS1_30default_config_static_selectorELNS0_4arch9wavefront6targetE1EEEvT1_: ; @_ZN7rocprim17ROCPRIM_400000_NS6detail17trampoline_kernelINS0_14default_configENS1_20scan_config_selectorIxEEZZNS1_9scan_implILNS1_25lookback_scan_determinismE0ELb0ELb0ES3_N6thrust23THRUST_200600_302600_NS6detail15normal_iteratorINS9_10device_ptrIxEEEESE_x11max_functorIxExEEDaPvRmT3_T4_T5_mT6_P12ihipStream_tbENKUlT_T0_E_clISt17integral_constantIbLb0EESU_EEDaSP_SQ_EUlSP_E_NS1_11comp_targetILNS1_3genE4ELNS1_11target_archE910ELNS1_3gpuE8ELNS1_3repE0EEENS1_30default_config_static_selectorELNS0_4arch9wavefront6targetE1EEEvT1_
; %bb.0:
	s_load_dwordx8 s[12:19], s[4:5], 0x0
	s_load_dword s1, s[4:5], 0x38
	s_mul_i32 s0, s6, 0x380
	v_lshlrev_b32_e32 v36, 3, v0
	s_waitcnt lgkmcnt(0)
	s_lshl_b64 s[20:21], s[14:15], 3
	s_add_u32 s2, s12, s20
	s_addc_u32 s3, s13, s21
	s_add_i32 s7, s1, -1
	s_mul_i32 s8, s7, 0x380
	s_sub_u32 s28, s18, s8
	s_subb_u32 s29, s19, 0
	s_mov_b32 s1, 0
	s_cmp_lg_u32 s6, s7
	s_cselect_b64 s[18:19], -1, 0
	s_lshl_b64 s[22:23], s[0:1], 3
	s_add_u32 s2, s2, s22
	s_addc_u32 s3, s3, s23
	s_mov_b64 s[0:1], -1
	s_and_b64 vcc, exec, s[18:19]
	s_cbranch_vccz .LBB2560_2
; %bb.1:
	v_mov_b32_e32 v1, s3
	v_add_co_u32_e32 v2, vcc, s2, v36
	v_addc_co_u32_e32 v3, vcc, 0, v1, vcc
	flat_load_dwordx2 v[4:5], v[2:3]
	flat_load_dwordx2 v[6:7], v[2:3] offset:1024
	flat_load_dwordx2 v[8:9], v[2:3] offset:2048
	;; [unrolled: 1-line block ×3, first 2 shown]
	v_add_co_u32_e32 v2, vcc, 0x1000, v2
	v_addc_co_u32_e32 v3, vcc, 0, v3, vcc
	flat_load_dwordx2 v[12:13], v[2:3]
	flat_load_dwordx2 v[14:15], v[2:3] offset:1024
	flat_load_dwordx2 v[16:17], v[2:3] offset:2048
	s_mov_b64 s[0:1], 0
	s_waitcnt vmcnt(0) lgkmcnt(0)
	ds_write2st64_b64 v36, v[4:5], v[6:7] offset1:2
	ds_write2st64_b64 v36, v[8:9], v[10:11] offset0:4 offset1:6
	ds_write2st64_b64 v36, v[12:13], v[14:15] offset0:8 offset1:10
	ds_write_b64 v36, v[16:17] offset:6144
	s_waitcnt lgkmcnt(0)
	s_barrier
.LBB2560_2:
	s_load_dwordx2 s[24:25], s[4:5], 0x30
	s_andn2_b64 vcc, exec, s[0:1]
	v_cmp_gt_u32_e64 s[0:1], s28, v0
	s_cbranch_vccnz .LBB2560_18
; %bb.3:
	v_pk_mov_b32 v[2:3], s[2:3], s[2:3] op_sel:[0,1]
	flat_load_dwordx2 v[2:3], v[2:3]
	s_waitcnt vmcnt(0) lgkmcnt(0)
	v_mov_b32_e32 v4, v2
	v_mov_b32_e32 v5, v3
	;; [unrolled: 1-line block ×10, first 2 shown]
	v_pk_mov_b32 v[18:19], v[14:15], v[14:15] op_sel:[0,1]
	v_pk_mov_b32 v[16:17], v[12:13], v[12:13] op_sel:[0,1]
	;; [unrolled: 1-line block ×8, first 2 shown]
	s_and_saveexec_b64 s[8:9], s[0:1]
	s_cbranch_execz .LBB2560_5
; %bb.4:
	v_mov_b32_e32 v1, s3
	v_add_co_u32_e32 v4, vcc, s2, v36
	v_addc_co_u32_e32 v5, vcc, 0, v1, vcc
	flat_load_dwordx2 v[20:21], v[4:5]
	v_mov_b32_e32 v4, v2
	v_mov_b32_e32 v5, v3
	;; [unrolled: 1-line block ×10, first 2 shown]
	v_pk_mov_b32 v[18:19], v[14:15], v[14:15] op_sel:[0,1]
	v_pk_mov_b32 v[16:17], v[12:13], v[12:13] op_sel:[0,1]
	;; [unrolled: 1-line block ×8, first 2 shown]
	s_waitcnt vmcnt(0) lgkmcnt(0)
	v_pk_mov_b32 v[2:3], v[20:21], v[20:21] op_sel:[0,1]
.LBB2560_5:
	s_or_b64 exec, exec, s[8:9]
	v_or_b32_e32 v1, 0x80, v0
	v_cmp_gt_u32_e32 vcc, s28, v1
	s_and_saveexec_b64 s[0:1], vcc
	s_cbranch_execz .LBB2560_7
; %bb.6:
	v_mov_b32_e32 v1, s3
	v_add_co_u32_e32 v4, vcc, s2, v36
	v_addc_co_u32_e32 v5, vcc, 0, v1, vcc
	flat_load_dwordx2 v[6:7], v[4:5] offset:1024
.LBB2560_7:
	s_or_b64 exec, exec, s[0:1]
	v_or_b32_e32 v1, 0x100, v0
	v_cmp_gt_u32_e32 vcc, s28, v1
	s_and_saveexec_b64 s[0:1], vcc
	s_cbranch_execz .LBB2560_9
; %bb.8:
	v_mov_b32_e32 v1, s3
	v_add_co_u32_e32 v4, vcc, s2, v36
	v_addc_co_u32_e32 v5, vcc, 0, v1, vcc
	flat_load_dwordx2 v[8:9], v[4:5] offset:2048
.LBB2560_9:
	;; [unrolled: 11-line block ×3, first 2 shown]
	s_or_b64 exec, exec, s[0:1]
	v_or_b32_e32 v1, 0x200, v0
	v_cmp_gt_u32_e32 vcc, s28, v1
	s_and_saveexec_b64 s[0:1], vcc
	s_cbranch_execz .LBB2560_13
; %bb.12:
	v_lshlrev_b32_e32 v1, 3, v1
	v_mov_b32_e32 v5, s3
	v_add_co_u32_e32 v4, vcc, s2, v1
	v_addc_co_u32_e32 v5, vcc, 0, v5, vcc
	flat_load_dwordx2 v[12:13], v[4:5]
.LBB2560_13:
	s_or_b64 exec, exec, s[0:1]
	v_or_b32_e32 v1, 0x280, v0
	v_cmp_gt_u32_e32 vcc, s28, v1
	s_and_saveexec_b64 s[0:1], vcc
	s_cbranch_execz .LBB2560_15
; %bb.14:
	v_lshlrev_b32_e32 v1, 3, v1
	v_mov_b32_e32 v5, s3
	v_add_co_u32_e32 v4, vcc, s2, v1
	v_addc_co_u32_e32 v5, vcc, 0, v5, vcc
	flat_load_dwordx2 v[14:15], v[4:5]
.LBB2560_15:
	;; [unrolled: 12-line block ×3, first 2 shown]
	s_or_b64 exec, exec, s[0:1]
	s_waitcnt vmcnt(0) lgkmcnt(0)
	ds_write2st64_b64 v36, v[2:3], v[6:7] offset1:2
	ds_write2st64_b64 v36, v[8:9], v[10:11] offset0:4 offset1:6
	ds_write2st64_b64 v36, v[12:13], v[14:15] offset0:8 offset1:10
	ds_write_b64 v36, v[16:17] offset:6144
	s_waitcnt lgkmcnt(0)
	s_barrier
.LBB2560_18:
	v_mul_u32_u24_e32 v37, 7, v0
	v_lshlrev_b32_e32 v38, 3, v37
	s_waitcnt lgkmcnt(0)
	ds_read2_b64 v[2:5], v38 offset1:1
	ds_read2_b64 v[10:13], v38 offset0:2 offset1:3
	ds_read2_b64 v[6:9], v38 offset0:4 offset1:5
	ds_read_b64 v[28:29], v38 offset:48
	s_cmp_lg_u32 s6, 0
	v_lshrrev_b32_e32 v1, 5, v0
	v_cmp_gt_u32_e32 vcc, 64, v0
	s_waitcnt lgkmcnt(0)
	s_barrier
	s_cbranch_scc0 .LBB2560_45
; %bb.19:
	v_cmp_gt_i64_e64 s[0:1], v[2:3], v[4:5]
	v_cndmask_b32_e64 v15, v5, v3, s[0:1]
	v_cndmask_b32_e64 v14, v4, v2, s[0:1]
	v_cmp_gt_i64_e64 s[0:1], v[14:15], v[10:11]
	v_cndmask_b32_e64 v15, v11, v15, s[0:1]
	v_cndmask_b32_e64 v14, v10, v14, s[0:1]
	;; [unrolled: 3-line block ×6, first 2 shown]
	v_add_lshl_u32 v14, v1, v0, 3
	ds_write_b64 v14, v[22:23]
	s_waitcnt lgkmcnt(0)
	s_barrier
	s_and_saveexec_b64 s[8:9], vcc
	s_cbranch_execz .LBB2560_23
; %bb.20:
	v_lshlrev_b32_e32 v14, 1, v0
	v_lshrrev_b32_e32 v15, 4, v0
	v_add_lshl_u32 v24, v15, v14, 3
	ds_read2_b64 v[14:17], v24 offset1:1
	v_mbcnt_lo_u32_b32 v18, -1, 0
	v_mbcnt_hi_u32_b32 v25, -1, v18
	v_and_b32_e32 v26, 15, v25
	v_and_b32_e32 v30, 16, v25
	s_waitcnt lgkmcnt(0)
	v_cmp_gt_i64_e64 s[0:1], v[14:15], v[16:17]
	v_cndmask_b32_e64 v17, v17, v15, s[0:1]
	v_cndmask_b32_e64 v16, v16, v14, s[0:1]
	v_cmp_ne_u32_e64 s[2:3], 0, v25
	v_mov_b32_dpp v19, v17 row_shr:1 row_mask:0xf bank_mask:0xf
	v_mov_b32_dpp v18, v16 row_shr:1 row_mask:0xf bank_mask:0xf
	v_cmp_gt_i64_e64 s[0:1], v[18:19], v[16:17]
	v_cndmask_b32_e64 v18, v16, v18, s[0:1]
	v_cndmask_b32_e64 v19, v17, v19, s[0:1]
	v_cmp_eq_u32_e64 s[0:1], 0, v26
	v_cndmask_b32_e64 v19, v19, v17, s[0:1]
	v_cndmask_b32_e64 v18, v18, v16, s[0:1]
	s_nop 0
	v_mov_b32_dpp v21, v19 row_shr:2 row_mask:0xf bank_mask:0xf
	v_mov_b32_dpp v20, v18 row_shr:2 row_mask:0xf bank_mask:0xf
	v_cmp_gt_i64_e64 s[0:1], v[20:21], v[18:19]
	v_cndmask_b32_e64 v20, v18, v20, s[0:1]
	v_cndmask_b32_e64 v21, v19, v21, s[0:1]
	v_cmp_lt_u32_e64 s[0:1], 1, v26
	v_cndmask_b32_e64 v19, v19, v21, s[0:1]
	v_cndmask_b32_e64 v18, v18, v20, s[0:1]
	s_nop 0
	v_mov_b32_dpp v21, v19 row_shr:4 row_mask:0xf bank_mask:0xf
	v_mov_b32_dpp v20, v18 row_shr:4 row_mask:0xf bank_mask:0xf
	v_cmp_gt_i64_e64 s[0:1], v[20:21], v[18:19]
	v_cndmask_b32_e64 v20, v18, v20, s[0:1]
	v_cndmask_b32_e64 v21, v19, v21, s[0:1]
	v_cmp_lt_u32_e64 s[0:1], 3, v26
	;; [unrolled: 9-line block ×3, first 2 shown]
	v_cndmask_b32_e64 v19, v19, v21, s[0:1]
	v_cndmask_b32_e64 v18, v18, v20, s[0:1]
	s_nop 0
	v_mov_b32_dpp v21, v19 row_bcast:15 row_mask:0xf bank_mask:0xf
	v_mov_b32_dpp v20, v18 row_bcast:15 row_mask:0xf bank_mask:0xf
	v_cmp_gt_i64_e64 s[0:1], v[20:21], v[18:19]
	v_cndmask_b32_e64 v26, v19, v21, s[0:1]
	v_cndmask_b32_e64 v27, v18, v20, s[0:1]
	v_cmp_eq_u32_e64 s[0:1], 0, v30
	v_cndmask_b32_e64 v21, v26, v19, s[0:1]
	v_cndmask_b32_e64 v20, v27, v18, s[0:1]
	s_nop 0
	v_mov_b32_dpp v21, v21 row_bcast:31 row_mask:0xf bank_mask:0xf
	v_mov_b32_dpp v20, v20 row_bcast:31 row_mask:0xf bank_mask:0xf
	s_and_saveexec_b64 s[10:11], s[2:3]
; %bb.21:
	v_cndmask_b32_e64 v17, v26, v19, s[0:1]
	v_cndmask_b32_e64 v16, v27, v18, s[0:1]
	v_cmp_lt_u32_e64 s[2:3], 31, v25
	v_cmp_gt_i64_e64 s[0:1], v[20:21], v[16:17]
	s_and_b64 s[0:1], s[2:3], s[0:1]
	v_cndmask_b32_e64 v16, v16, v20, s[0:1]
	v_cndmask_b32_e64 v17, v17, v21, s[0:1]
; %bb.22:
	s_or_b64 exec, exec, s[10:11]
	v_add_u32_e32 v18, -1, v25
	v_and_b32_e32 v19, 64, v25
	v_cmp_lt_i32_e64 s[0:1], v18, v19
	v_cndmask_b32_e64 v18, v18, v25, s[0:1]
	v_lshlrev_b32_e32 v18, 2, v18
	ds_bpermute_b32 v16, v18, v16
	ds_bpermute_b32 v17, v18, v17
	; wave barrier
	s_waitcnt lgkmcnt(0)
	v_cmp_gt_i64_e64 s[0:1], v[16:17], v[14:15]
	v_cndmask_b32_e64 v14, v14, v16, s[0:1]
	v_cndmask_b32_e64 v15, v15, v17, s[0:1]
	v_cmp_eq_u32_e64 s[0:1], 0, v0
	v_cndmask_b32_e64 v15, v15, v23, s[0:1]
	v_cndmask_b32_e64 v14, v14, v22, s[0:1]
	ds_write_b64 v24, v[14:15]
	; wave barrier
	ds_read_b64 v[16:17], v24 offset:8
	s_waitcnt lgkmcnt(0)
	v_cmp_gt_i64_e64 s[0:1], v[14:15], v[16:17]
	v_cndmask_b32_e64 v15, v17, v15, s[0:1]
	v_cndmask_b32_e64 v14, v16, v14, s[0:1]
	ds_write_b64 v24, v[14:15] offset:8
.LBB2560_23:
	s_or_b64 exec, exec, s[8:9]
	v_cmp_eq_u32_e64 s[0:1], 0, v0
	v_cmp_ne_u32_e64 s[2:3], 0, v0
	s_waitcnt lgkmcnt(0)
	s_barrier
	s_and_saveexec_b64 s[8:9], s[2:3]
	s_cbranch_execz .LBB2560_25
; %bb.24:
	v_add_u32_e32 v14, -1, v0
	v_lshrrev_b32_e32 v15, 5, v14
	v_add_lshl_u32 v14, v15, v14, 3
	ds_read_b64 v[22:23], v14
.LBB2560_25:
	s_or_b64 exec, exec, s[8:9]
	s_and_saveexec_b64 s[26:27], vcc
	s_cbranch_execz .LBB2560_44
; %bb.26:
	v_mov_b32_e32 v17, 0
	ds_read_b64 v[14:15], v17 offset:1040
	v_mbcnt_lo_u32_b32 v16, -1, 0
	v_mbcnt_hi_u32_b32 v25, -1, v16
	s_mov_b32 s11, 0
	v_cmp_eq_u32_e64 s[2:3], 0, v25
	s_and_saveexec_b64 s[8:9], s[2:3]
	s_cbranch_execz .LBB2560_28
; %bb.27:
	s_add_i32 s10, s6, 64
	s_lshl_b64 s[10:11], s[10:11], 4
	s_add_u32 s10, s24, s10
	s_addc_u32 s11, s25, s11
	v_mov_b32_e32 v16, 1
	v_pk_mov_b32 v[18:19], s[10:11], s[10:11] op_sel:[0,1]
	s_waitcnt lgkmcnt(0)
	;;#ASMSTART
	global_store_dwordx4 v[18:19], v[14:17] off	
s_waitcnt vmcnt(0)
	;;#ASMEND
.LBB2560_28:
	s_or_b64 exec, exec, s[8:9]
	v_xad_u32 v24, v25, -1, s6
	v_add_u32_e32 v16, 64, v24
	v_lshlrev_b64 v[18:19], 4, v[16:17]
	v_mov_b32_e32 v16, s25
	v_add_co_u32_e32 v26, vcc, s24, v18
	v_addc_co_u32_e32 v27, vcc, v16, v19, vcc
	;;#ASMSTART
	global_load_dwordx4 v[18:21], v[26:27] off glc	
s_waitcnt vmcnt(0)
	;;#ASMEND
	v_and_b32_e32 v16, 0xff, v19
	v_and_b32_e32 v21, 0xff00, v19
	v_or3_b32 v16, 0, v16, v21
	v_or3_b32 v18, v18, 0, 0
	v_and_b32_e32 v21, 0xff000000, v19
	v_and_b32_e32 v19, 0xff0000, v19
	v_or3_b32 v19, v16, v19, v21
	v_or3_b32 v18, v18, 0, 0
	v_cmp_eq_u16_sdwa s[10:11], v20, v17 src0_sel:BYTE_0 src1_sel:DWORD
	s_and_saveexec_b64 s[8:9], s[10:11]
	s_cbranch_execz .LBB2560_32
; %bb.29:
	s_mov_b64 s[10:11], 0
	v_mov_b32_e32 v16, 0
.LBB2560_30:                            ; =>This Inner Loop Header: Depth=1
	;;#ASMSTART
	global_load_dwordx4 v[18:21], v[26:27] off glc	
s_waitcnt vmcnt(0)
	;;#ASMEND
	v_cmp_ne_u16_sdwa s[12:13], v20, v16 src0_sel:BYTE_0 src1_sel:DWORD
	s_or_b64 s[10:11], s[12:13], s[10:11]
	s_andn2_b64 exec, exec, s[10:11]
	s_cbranch_execnz .LBB2560_30
; %bb.31:
	s_or_b64 exec, exec, s[10:11]
.LBB2560_32:
	s_or_b64 exec, exec, s[8:9]
	v_and_b32_e32 v33, 63, v25
	v_cmp_ne_u32_e32 vcc, 63, v33
	v_mov_b32_e32 v32, 2
	v_addc_co_u32_e32 v26, vcc, 0, v25, vcc
	v_cmp_eq_u16_sdwa s[8:9], v20, v32 src0_sel:BYTE_0 src1_sel:DWORD
	v_lshlrev_b64 v[16:17], v25, -1
	v_lshlrev_b32_e32 v34, 2, v26
	v_and_b32_e32 v21, s9, v17
	ds_bpermute_b32 v26, v34, v18
	ds_bpermute_b32 v27, v34, v19
	v_or_b32_e32 v21, 0x80000000, v21
	v_and_b32_e32 v30, s8, v16
	v_ffbl_b32_e32 v21, v21
	v_add_u32_e32 v21, 32, v21
	v_ffbl_b32_e32 v30, v30
	v_min_u32_e32 v21, v30, v21
	s_waitcnt lgkmcnt(0)
	v_cmp_gt_i64_e64 s[8:9], v[26:27], v[18:19]
	v_cmp_lt_u32_e32 vcc, v33, v21
	v_cndmask_b32_e64 v26, v18, v26, s[8:9]
	s_and_b64 s[8:9], vcc, s[8:9]
	v_cndmask_b32_e64 v27, v19, v27, s[8:9]
	v_cmp_gt_u32_e64 s[8:9], 62, v33
	v_cndmask_b32_e64 v30, 0, 1, s[8:9]
	v_lshlrev_b32_e32 v30, 1, v30
	v_cndmask_b32_e32 v26, v18, v26, vcc
	v_add_lshl_u32 v35, v30, v25, 2
	ds_bpermute_b32 v30, v35, v26
	ds_bpermute_b32 v31, v35, v27
	v_add_u32_e32 v39, 2, v33
	v_cmp_gt_u32_e64 s[10:11], 56, v33
	v_add_u32_e32 v41, 4, v33
	v_cndmask_b32_e64 v42, 0, 1, s[10:11]
	s_waitcnt lgkmcnt(0)
	v_cmp_gt_i64_e64 s[8:9], v[30:31], v[26:27]
	v_cndmask_b32_e64 v31, v27, v31, s[8:9]
	v_cndmask_b32_e64 v30, v26, v30, s[8:9]
	v_cmp_gt_u32_e64 s[8:9], v39, v21
	v_cndmask_b32_e64 v26, v30, v26, s[8:9]
	v_cndmask_b32_e64 v27, v31, v27, s[8:9]
	v_cmp_gt_u32_e64 s[8:9], 60, v33
	v_cndmask_b32_e64 v30, 0, 1, s[8:9]
	v_lshlrev_b32_e32 v30, 2, v30
	v_add_lshl_u32 v40, v30, v25, 2
	ds_bpermute_b32 v30, v40, v26
	ds_bpermute_b32 v31, v40, v27
	v_lshlrev_b32_e32 v42, 3, v42
	v_add_lshl_u32 v42, v42, v25, 2
	v_cmp_gt_u32_e64 s[12:13], 48, v33
	v_add_u32_e32 v43, 8, v33
	s_waitcnt lgkmcnt(0)
	v_cmp_gt_i64_e64 s[8:9], v[30:31], v[26:27]
	v_cndmask_b32_e64 v50, v27, v31, s[8:9]
	v_cndmask_b32_e64 v51, v26, v30, s[8:9]
	v_cmp_gt_u32_e64 s[8:9], v41, v21
	v_cndmask_b32_e64 v30, v51, v26, s[8:9]
	v_cndmask_b32_e64 v31, v50, v27, s[8:9]
	ds_bpermute_b32 v44, v42, v30
	ds_bpermute_b32 v45, v42, v31
	v_cmp_gt_u32_e64 s[14:15], 32, v33
	v_cndmask_b32_e32 v19, v19, v27, vcc
	v_cndmask_b32_e32 v18, v18, v26, vcc
	v_cndmask_b32_e64 v18, v51, v18, s[8:9]
	s_waitcnt lgkmcnt(0)
	v_cmp_gt_i64_e64 s[10:11], v[44:45], v[30:31]
	v_cndmask_b32_e64 v53, v30, v44, s[10:11]
	v_cndmask_b32_e64 v44, 0, 1, s[12:13]
	;; [unrolled: 1-line block ×3, first 2 shown]
	v_cmp_gt_u32_e64 s[10:11], v43, v21
	v_lshlrev_b32_e32 v44, 4, v44
	v_cndmask_b32_e64 v30, v53, v30, s[10:11]
	v_cndmask_b32_e64 v31, v52, v31, s[10:11]
	v_add_lshl_u32 v44, v44, v25, 2
	ds_bpermute_b32 v46, v44, v30
	ds_bpermute_b32 v47, v44, v31
	v_add_u32_e32 v45, 16, v33
	v_cndmask_b32_e64 v19, v50, v19, s[8:9]
	v_cndmask_b32_e64 v19, v52, v19, s[10:11]
	;; [unrolled: 1-line block ×3, first 2 shown]
	s_waitcnt lgkmcnt(0)
	v_cmp_gt_i64_e64 s[12:13], v[46:47], v[30:31]
	v_cndmask_b32_e64 v55, v30, v46, s[12:13]
	v_cndmask_b32_e64 v46, 0, 1, s[14:15]
	;; [unrolled: 1-line block ×3, first 2 shown]
	v_cmp_gt_u32_e64 s[12:13], v45, v21
	v_lshlrev_b32_e32 v46, 5, v46
	v_cndmask_b32_e64 v30, v55, v30, s[12:13]
	v_add_lshl_u32 v46, v46, v25, 2
	v_cndmask_b32_e64 v31, v54, v31, s[12:13]
	ds_bpermute_b32 v48, v46, v30
	ds_bpermute_b32 v49, v46, v31
	v_add_u32_e32 v47, 32, v33
	v_cndmask_b32_e64 v18, v55, v18, s[12:13]
	v_cndmask_b32_e64 v19, v54, v19, s[12:13]
	v_cmp_gt_u32_e32 vcc, v47, v21
	s_waitcnt lgkmcnt(0)
	v_cmp_gt_i64_e64 s[14:15], v[48:49], v[30:31]
	v_cndmask_b32_e64 v25, v30, v48, s[14:15]
	v_cndmask_b32_e64 v30, v31, v49, s[14:15]
	v_cndmask_b32_e32 v19, v30, v19, vcc
	v_cndmask_b32_e32 v18, v25, v18, vcc
	v_mov_b32_e32 v25, 0
	s_branch .LBB2560_34
.LBB2560_33:                            ;   in Loop: Header=BB2560_34 Depth=1
	s_or_b64 exec, exec, s[8:9]
	v_cmp_eq_u16_sdwa s[8:9], v20, v32 src0_sel:BYTE_0 src1_sel:DWORD
	v_and_b32_e32 v21, s9, v17
	ds_bpermute_b32 v30, v34, v18
	ds_bpermute_b32 v31, v34, v19
	v_or_b32_e32 v21, 0x80000000, v21
	v_and_b32_e32 v48, s8, v16
	v_ffbl_b32_e32 v21, v21
	v_add_u32_e32 v21, 32, v21
	v_ffbl_b32_e32 v48, v48
	v_min_u32_e32 v21, v48, v21
	s_waitcnt lgkmcnt(0)
	v_cmp_gt_i64_e32 vcc, v[30:31], v[18:19]
	v_cmp_lt_u32_e64 s[8:9], v33, v21
	v_cndmask_b32_e32 v30, v18, v30, vcc
	s_and_b64 vcc, s[8:9], vcc
	v_cndmask_b32_e64 v30, v18, v30, s[8:9]
	v_cndmask_b32_e32 v31, v19, v31, vcc
	ds_bpermute_b32 v48, v35, v30
	ds_bpermute_b32 v49, v35, v31
	v_subrev_u32_e32 v24, 64, v24
	s_waitcnt lgkmcnt(0)
	v_cmp_gt_i64_e32 vcc, v[48:49], v[30:31]
	v_cndmask_b32_e32 v49, v31, v49, vcc
	v_cndmask_b32_e32 v48, v30, v48, vcc
	v_cmp_gt_u32_e32 vcc, v39, v21
	v_cndmask_b32_e32 v30, v48, v30, vcc
	v_cndmask_b32_e32 v31, v49, v31, vcc
	ds_bpermute_b32 v48, v40, v30
	ds_bpermute_b32 v49, v40, v31
	v_cndmask_b32_e64 v19, v19, v31, s[8:9]
	v_cndmask_b32_e64 v18, v18, v30, s[8:9]
	s_waitcnt lgkmcnt(0)
	v_cmp_gt_i64_e32 vcc, v[48:49], v[30:31]
	v_cndmask_b32_e32 v52, v31, v49, vcc
	v_cndmask_b32_e32 v53, v30, v48, vcc
	v_cmp_gt_u32_e32 vcc, v41, v21
	v_cndmask_b32_e32 v48, v53, v30, vcc
	v_cndmask_b32_e32 v49, v52, v31, vcc
	ds_bpermute_b32 v50, v42, v48
	ds_bpermute_b32 v51, v42, v49
	v_cndmask_b32_e32 v18, v53, v18, vcc
	v_cndmask_b32_e32 v19, v52, v19, vcc
	v_cmp_gt_u32_e32 vcc, v47, v21
	s_waitcnt lgkmcnt(0)
	v_cmp_gt_i64_e64 s[10:11], v[50:51], v[48:49]
	v_cndmask_b32_e64 v54, v49, v51, s[10:11]
	v_cndmask_b32_e64 v55, v48, v50, s[10:11]
	v_cmp_gt_u32_e64 s[10:11], v43, v21
	v_cndmask_b32_e64 v48, v55, v48, s[10:11]
	v_cndmask_b32_e64 v49, v54, v49, s[10:11]
	ds_bpermute_b32 v50, v44, v48
	ds_bpermute_b32 v51, v44, v49
	v_cndmask_b32_e64 v19, v54, v19, s[10:11]
	v_cndmask_b32_e64 v18, v55, v18, s[10:11]
	s_waitcnt lgkmcnt(0)
	v_cmp_gt_i64_e64 s[12:13], v[50:51], v[48:49]
	v_cndmask_b32_e64 v56, v49, v51, s[12:13]
	v_cndmask_b32_e64 v57, v48, v50, s[12:13]
	v_cmp_gt_u32_e64 s[12:13], v45, v21
	v_cndmask_b32_e64 v48, v57, v48, s[12:13]
	v_cndmask_b32_e64 v49, v56, v49, s[12:13]
	ds_bpermute_b32 v50, v46, v48
	ds_bpermute_b32 v51, v46, v49
	v_cndmask_b32_e64 v18, v57, v18, s[12:13]
	v_cndmask_b32_e64 v19, v56, v19, s[12:13]
	s_waitcnt lgkmcnt(0)
	v_cmp_gt_i64_e64 s[14:15], v[50:51], v[48:49]
	v_cndmask_b32_e64 v48, v48, v50, s[14:15]
	v_cndmask_b32_e64 v49, v49, v51, s[14:15]
	v_cndmask_b32_e32 v19, v49, v19, vcc
	v_cndmask_b32_e32 v18, v48, v18, vcc
	v_cmp_gt_i64_e32 vcc, v[18:19], v[26:27]
	v_cndmask_b32_e32 v19, v27, v19, vcc
	v_cndmask_b32_e32 v18, v26, v18, vcc
.LBB2560_34:                            ; =>This Loop Header: Depth=1
                                        ;     Child Loop BB2560_37 Depth 2
	v_cmp_ne_u16_sdwa s[8:9], v20, v32 src0_sel:BYTE_0 src1_sel:DWORD
	v_cndmask_b32_e64 v20, 0, 1, s[8:9]
	;;#ASMSTART
	;;#ASMEND
	v_cmp_ne_u32_e32 vcc, 0, v20
	s_cmp_lg_u64 vcc, exec
	v_pk_mov_b32 v[26:27], v[18:19], v[18:19] op_sel:[0,1]
	s_cbranch_scc1 .LBB2560_39
; %bb.35:                               ;   in Loop: Header=BB2560_34 Depth=1
	v_lshlrev_b64 v[18:19], 4, v[24:25]
	v_mov_b32_e32 v20, s25
	v_add_co_u32_e32 v30, vcc, s24, v18
	v_addc_co_u32_e32 v31, vcc, v20, v19, vcc
	;;#ASMSTART
	global_load_dwordx4 v[18:21], v[30:31] off glc	
s_waitcnt vmcnt(0)
	;;#ASMEND
	v_and_b32_e32 v21, 0xff, v19
	v_and_b32_e32 v48, 0xff00, v19
	v_or3_b32 v21, 0, v21, v48
	v_or3_b32 v18, v18, 0, 0
	v_and_b32_e32 v48, 0xff000000, v19
	v_and_b32_e32 v19, 0xff0000, v19
	v_or3_b32 v19, v21, v19, v48
	v_or3_b32 v18, v18, 0, 0
	v_cmp_eq_u16_sdwa s[10:11], v20, v25 src0_sel:BYTE_0 src1_sel:DWORD
	s_and_saveexec_b64 s[8:9], s[10:11]
	s_cbranch_execz .LBB2560_33
; %bb.36:                               ;   in Loop: Header=BB2560_34 Depth=1
	s_mov_b64 s[10:11], 0
.LBB2560_37:                            ;   Parent Loop BB2560_34 Depth=1
                                        ; =>  This Inner Loop Header: Depth=2
	;;#ASMSTART
	global_load_dwordx4 v[18:21], v[30:31] off glc	
s_waitcnt vmcnt(0)
	;;#ASMEND
	v_cmp_ne_u16_sdwa s[12:13], v20, v25 src0_sel:BYTE_0 src1_sel:DWORD
	s_or_b64 s[10:11], s[12:13], s[10:11]
	s_andn2_b64 exec, exec, s[10:11]
	s_cbranch_execnz .LBB2560_37
; %bb.38:                               ;   in Loop: Header=BB2560_34 Depth=1
	s_or_b64 exec, exec, s[10:11]
	s_branch .LBB2560_33
.LBB2560_39:                            ;   in Loop: Header=BB2560_34 Depth=1
                                        ; implicit-def: $vgpr18_vgpr19
                                        ; implicit-def: $vgpr20
	s_cbranch_execz .LBB2560_34
; %bb.40:
	s_and_saveexec_b64 s[8:9], s[2:3]
	s_cbranch_execz .LBB2560_42
; %bb.41:
	s_add_i32 s2, s6, 64
	s_mov_b32 s3, 0
	s_lshl_b64 s[2:3], s[2:3], 4
	s_add_u32 s2, s24, s2
	v_cmp_gt_i64_e32 vcc, v[26:27], v[14:15]
	s_addc_u32 s3, s25, s3
	v_cndmask_b32_e32 v15, v15, v27, vcc
	v_cndmask_b32_e32 v14, v14, v26, vcc
	v_mov_b32_e32 v16, 2
	v_mov_b32_e32 v17, 0
	v_pk_mov_b32 v[18:19], s[2:3], s[2:3] op_sel:[0,1]
	;;#ASMSTART
	global_store_dwordx4 v[18:19], v[14:17] off	
s_waitcnt vmcnt(0)
	;;#ASMEND
.LBB2560_42:
	s_or_b64 exec, exec, s[8:9]
	s_and_b64 exec, exec, s[0:1]
	s_cbranch_execz .LBB2560_44
; %bb.43:
	v_mov_b32_e32 v14, 0
	ds_write_b64 v14, v[26:27]
.LBB2560_44:
	s_or_b64 exec, exec, s[26:27]
	v_mov_b32_e32 v14, 0
	s_waitcnt lgkmcnt(0)
	s_barrier
	ds_read_b64 v[14:15], v14
	v_cmp_gt_i64_e32 vcc, v[22:23], v[2:3]
	v_cndmask_b32_e32 v16, v2, v22, vcc
	v_cndmask_b32_e32 v17, v3, v23, vcc
	v_cndmask_b32_e64 v17, v17, v3, s[0:1]
	v_cndmask_b32_e64 v16, v16, v2, s[0:1]
	s_waitcnt lgkmcnt(0)
	v_cmp_gt_i64_e32 vcc, v[14:15], v[16:17]
	v_cndmask_b32_e32 v25, v17, v15, vcc
	v_cndmask_b32_e32 v24, v16, v14, vcc
	v_cmp_gt_i64_e32 vcc, v[24:25], v[4:5]
	v_cndmask_b32_e32 v31, v5, v25, vcc
	v_cndmask_b32_e32 v30, v4, v24, vcc
	;; [unrolled: 3-line block ×7, first 2 shown]
	s_load_dwordx8 s[4:11], s[4:5], 0x40
	s_branch .LBB2560_59
.LBB2560_45:
                                        ; implicit-def: $vgpr22_vgpr23
                                        ; implicit-def: $vgpr34_vgpr35
                                        ; implicit-def: $vgpr32_vgpr33
                                        ; implicit-def: $vgpr30_vgpr31
                                        ; implicit-def: $vgpr18_vgpr19_vgpr20_vgpr21
                                        ; implicit-def: $vgpr14_vgpr15_vgpr16_vgpr17
                                        ; implicit-def: $vgpr24_vgpr25_vgpr26_vgpr27
	s_load_dwordx8 s[4:11], s[4:5], 0x40
	s_cbranch_execz .LBB2560_59
; %bb.46:
	s_waitcnt lgkmcnt(0)
	s_cmp_lg_u64 s[8:9], 0
	s_cselect_b64 s[2:3], -1, 0
	v_cmp_eq_u32_e64 s[0:1], 0, v0
	v_cmp_ne_u32_e32 vcc, 0, v0
	s_and_b64 s[2:3], s[0:1], s[2:3]
	s_and_saveexec_b64 s[8:9], s[2:3]
	s_cbranch_execz .LBB2560_48
; %bb.47:
	v_mov_b32_e32 v14, 0
	global_load_dwordx2 v[14:15], v14, s[4:5]
	s_waitcnt vmcnt(0)
	v_cmp_gt_i64_e64 s[2:3], v[14:15], v[2:3]
	v_cndmask_b32_e64 v3, v3, v15, s[2:3]
	v_cndmask_b32_e64 v2, v2, v14, s[2:3]
.LBB2560_48:
	s_or_b64 exec, exec, s[8:9]
	v_cmp_gt_i64_e64 s[2:3], v[2:3], v[4:5]
	v_cndmask_b32_e64 v31, v5, v3, s[2:3]
	v_cndmask_b32_e64 v30, v4, v2, s[2:3]
	v_cmp_gt_i64_e64 s[2:3], v[30:31], v[10:11]
	v_cndmask_b32_e64 v15, v11, v31, s[2:3]
	v_cndmask_b32_e64 v14, v10, v30, s[2:3]
	;; [unrolled: 3-line block ×6, first 2 shown]
	v_add_lshl_u32 v1, v1, v0, 3
	v_cmp_gt_u32_e64 s[2:3], 64, v0
	ds_write_b64 v1, v[22:23]
	s_waitcnt lgkmcnt(0)
	s_barrier
	s_and_saveexec_b64 s[8:9], s[2:3]
	s_cbranch_execz .LBB2560_52
; %bb.49:
	v_lshlrev_b32_e32 v1, 1, v0
	v_lshrrev_b32_e32 v16, 4, v0
	v_add_lshl_u32 v1, v16, v1, 3
	ds_read2_b64 v[24:27], v1 offset1:1
	v_mbcnt_lo_u32_b32 v16, -1, 0
	v_mbcnt_hi_u32_b32 v39, -1, v16
	v_and_b32_e32 v40, 15, v39
	v_and_b32_e32 v42, 16, v39
	s_waitcnt lgkmcnt(0)
	v_cmp_gt_i64_e64 s[2:3], v[24:25], v[26:27]
	v_cndmask_b32_e64 v17, v27, v25, s[2:3]
	v_cndmask_b32_e64 v16, v26, v24, s[2:3]
	v_cmp_ne_u32_e64 s[4:5], 0, v39
	v_mov_b32_dpp v21, v17 row_shr:1 row_mask:0xf bank_mask:0xf
	v_mov_b32_dpp v20, v16 row_shr:1 row_mask:0xf bank_mask:0xf
	v_cmp_gt_i64_e64 s[2:3], v[20:21], v[16:17]
	v_cndmask_b32_e64 v20, v16, v20, s[2:3]
	v_cndmask_b32_e64 v21, v17, v21, s[2:3]
	v_cmp_eq_u32_e64 s[2:3], 0, v40
	v_cndmask_b32_e64 v21, v21, v17, s[2:3]
	v_cndmask_b32_e64 v20, v20, v16, s[2:3]
	s_nop 0
	v_mov_b32_dpp v27, v21 row_shr:2 row_mask:0xf bank_mask:0xf
	v_mov_b32_dpp v26, v20 row_shr:2 row_mask:0xf bank_mask:0xf
	v_cmp_gt_i64_e64 s[2:3], v[26:27], v[20:21]
	v_cndmask_b32_e64 v26, v20, v26, s[2:3]
	v_cndmask_b32_e64 v27, v21, v27, s[2:3]
	v_cmp_lt_u32_e64 s[2:3], 1, v40
	v_cndmask_b32_e64 v21, v21, v27, s[2:3]
	v_cndmask_b32_e64 v20, v20, v26, s[2:3]
	s_nop 0
	v_mov_b32_dpp v27, v21 row_shr:4 row_mask:0xf bank_mask:0xf
	v_mov_b32_dpp v26, v20 row_shr:4 row_mask:0xf bank_mask:0xf
	v_cmp_gt_i64_e64 s[2:3], v[26:27], v[20:21]
	v_cndmask_b32_e64 v26, v20, v26, s[2:3]
	v_cndmask_b32_e64 v27, v21, v27, s[2:3]
	v_cmp_lt_u32_e64 s[2:3], 3, v40
	;; [unrolled: 9-line block ×3, first 2 shown]
	v_cndmask_b32_e64 v21, v21, v27, s[2:3]
	v_cndmask_b32_e64 v20, v20, v26, s[2:3]
	s_nop 0
	v_mov_b32_dpp v27, v21 row_bcast:15 row_mask:0xf bank_mask:0xf
	v_mov_b32_dpp v26, v20 row_bcast:15 row_mask:0xf bank_mask:0xf
	v_cmp_gt_i64_e64 s[2:3], v[26:27], v[20:21]
	v_cndmask_b32_e64 v40, v21, v27, s[2:3]
	v_cndmask_b32_e64 v41, v20, v26, s[2:3]
	v_cmp_eq_u32_e64 s[2:3], 0, v42
	v_cndmask_b32_e64 v27, v40, v21, s[2:3]
	v_cndmask_b32_e64 v26, v41, v20, s[2:3]
	s_nop 0
	v_mov_b32_dpp v27, v27 row_bcast:31 row_mask:0xf bank_mask:0xf
	v_mov_b32_dpp v26, v26 row_bcast:31 row_mask:0xf bank_mask:0xf
	s_and_saveexec_b64 s[12:13], s[4:5]
; %bb.50:
	v_cndmask_b32_e64 v17, v40, v21, s[2:3]
	v_cndmask_b32_e64 v16, v41, v20, s[2:3]
	v_cmp_lt_u32_e64 s[4:5], 31, v39
	v_cmp_gt_i64_e64 s[2:3], v[26:27], v[16:17]
	s_and_b64 s[2:3], s[4:5], s[2:3]
	v_cndmask_b32_e64 v16, v16, v26, s[2:3]
	v_cndmask_b32_e64 v17, v17, v27, s[2:3]
; %bb.51:
	s_or_b64 exec, exec, s[12:13]
	v_add_u32_e32 v20, -1, v39
	v_and_b32_e32 v21, 64, v39
	v_cmp_lt_i32_e64 s[2:3], v20, v21
	v_cndmask_b32_e64 v20, v20, v39, s[2:3]
	v_lshlrev_b32_e32 v20, 2, v20
	ds_bpermute_b32 v16, v20, v16
	ds_bpermute_b32 v17, v20, v17
	; wave barrier
	s_waitcnt lgkmcnt(0)
	v_cmp_gt_i64_e64 s[2:3], v[16:17], v[24:25]
	v_cndmask_b32_e64 v16, v24, v16, s[2:3]
	v_cndmask_b32_e64 v17, v25, v17, s[2:3]
	v_cndmask_b32_e64 v17, v17, v23, s[0:1]
	v_cndmask_b32_e64 v16, v16, v22, s[0:1]
	ds_write_b64 v1, v[16:17]
	; wave barrier
	ds_read_b64 v[20:21], v1 offset:8
	s_waitcnt lgkmcnt(0)
	v_cmp_gt_i64_e64 s[0:1], v[16:17], v[20:21]
	v_cndmask_b32_e64 v17, v21, v17, s[0:1]
	v_cndmask_b32_e64 v16, v20, v16, s[0:1]
	ds_write_b64 v1, v[16:17] offset:8
.LBB2560_52:
	s_or_b64 exec, exec, s[8:9]
	v_pk_mov_b32 v[16:17], v[22:23], v[22:23] op_sel:[0,1]
	s_waitcnt lgkmcnt(0)
	s_barrier
	s_and_saveexec_b64 s[0:1], vcc
	s_cbranch_execz .LBB2560_54
; %bb.53:
	v_add_u32_e32 v1, -1, v0
	v_lshrrev_b32_e32 v16, 5, v1
	v_add_lshl_u32 v1, v16, v1, 3
	ds_read_b64 v[16:17], v1
.LBB2560_54:
	s_or_b64 exec, exec, s[0:1]
	s_and_saveexec_b64 s[0:1], vcc
	s_cbranch_execz .LBB2560_56
; %bb.55:
	s_waitcnt lgkmcnt(0)
	v_cmp_gt_i64_e32 vcc, v[16:17], v[2:3]
	v_cndmask_b32_e32 v3, v3, v17, vcc
	v_cndmask_b32_e32 v2, v2, v16, vcc
	v_cmp_gt_i64_e32 vcc, v[2:3], v[4:5]
	v_cndmask_b32_e32 v31, v5, v3, vcc
	v_cndmask_b32_e32 v30, v4, v2, vcc
	;; [unrolled: 3-line block ×7, first 2 shown]
	;;#ASMSTART
	;;#ASMEND
.LBB2560_56:
	s_or_b64 exec, exec, s[0:1]
	s_movk_i32 s0, 0x7f
	v_cmp_eq_u32_e32 vcc, s0, v0
	s_and_saveexec_b64 s[0:1], vcc
	s_cbranch_execz .LBB2560_58
; %bb.57:
	s_add_u32 s2, s24, 0x400
	s_addc_u32 s3, s25, 0
	v_mov_b32_e32 v24, 2
	v_mov_b32_e32 v25, 0
	v_pk_mov_b32 v[4:5], s[2:3], s[2:3] op_sel:[0,1]
	;;#ASMSTART
	global_store_dwordx4 v[4:5], v[22:25] off	
s_waitcnt vmcnt(0)
	;;#ASMEND
.LBB2560_58:
	s_or_b64 exec, exec, s[0:1]
	v_pk_mov_b32 v[24:25], v[2:3], v[2:3] op_sel:[0,1]
.LBB2560_59:
	s_add_u32 s0, s16, s20
	s_addc_u32 s1, s17, s21
	s_add_u32 s2, s0, s22
	s_addc_u32 s3, s1, s23
	s_mov_b64 s[0:1], -1
	s_and_b64 vcc, exec, s[18:19]
	s_waitcnt lgkmcnt(0)
	s_barrier
	s_cbranch_vccz .LBB2560_61
; %bb.60:
	v_mul_u32_u24_e32 v1, 56, v0
	ds_write2_b64 v1, v[24:25], v[30:31] offset1:1
	ds_write2_b64 v1, v[14:15], v[32:33] offset0:2 offset1:3
	ds_write2_b64 v1, v[18:19], v[34:35] offset0:4 offset1:5
	ds_write_b64 v1, v[22:23] offset:48
	v_mul_i32_i24_e32 v1, 0xffffffd0, v0
	v_mad_u32_u24 v1, v0, 56, v1
	s_waitcnt lgkmcnt(0)
	s_barrier
	ds_read2st64_b64 v[2:5], v1 offset1:2
	ds_read2st64_b64 v[6:9], v1 offset0:4 offset1:6
	ds_read2st64_b64 v[10:13], v1 offset0:8 offset1:10
	ds_read_b64 v[16:17], v1 offset:6144
	v_mov_b32_e32 v1, s3
	v_add_co_u32_e32 v20, vcc, s2, v36
	v_addc_co_u32_e32 v21, vcc, 0, v1, vcc
	s_waitcnt lgkmcnt(3)
	flat_store_dwordx2 v[20:21], v[2:3]
	flat_store_dwordx2 v[20:21], v[4:5] offset:1024
	s_waitcnt lgkmcnt(0)
	flat_store_dwordx2 v[20:21], v[6:7] offset:2048
	flat_store_dwordx2 v[20:21], v[8:9] offset:3072
	v_add_co_u32_e32 v2, vcc, 0x1000, v20
	v_addc_co_u32_e32 v3, vcc, 0, v21, vcc
	flat_store_dwordx2 v[2:3], v[10:11]
	flat_store_dwordx2 v[2:3], v[12:13] offset:1024
	flat_store_dwordx2 v[2:3], v[16:17] offset:2048
	s_mov_b64 s[0:1], 0
.LBB2560_61:
	s_andn2_b64 vcc, exec, s[0:1]
	s_cbranch_vccnz .LBB2560_100
; %bb.62:
	s_movk_i32 s0, 0xffd0
	ds_write2_b64 v38, v[24:25], v[30:31] offset1:1
	ds_write2_b64 v38, v[14:15], v[32:33] offset0:2 offset1:3
	ds_write2_b64 v38, v[18:19], v[34:35] offset0:4 offset1:5
	ds_write_b64 v38, v[22:23] offset:48
	v_mad_i32_i24 v14, v0, s0, v38
	s_waitcnt lgkmcnt(0)
	s_barrier
	ds_read2st64_b64 v[2:5], v14 offset1:2
	ds_read2st64_b64 v[6:9], v14 offset0:4 offset1:6
	ds_read2st64_b64 v[10:13], v14 offset0:8 offset1:10
	ds_read_b64 v[14:15], v14 offset:6144
	v_mov_b32_e32 v17, s3
	v_add_co_u32_e32 v16, vcc, s2, v36
	v_addc_co_u32_e32 v17, vcc, 0, v17, vcc
	v_mov_b32_e32 v1, 0
	v_cmp_gt_u32_e32 vcc, s28, v0
	s_and_saveexec_b64 s[0:1], vcc
	s_cbranch_execz .LBB2560_64
; %bb.63:
	s_waitcnt lgkmcnt(0)
	flat_store_dwordx2 v[16:17], v[2:3]
.LBB2560_64:
	s_or_b64 exec, exec, s[0:1]
	v_or_b32_e32 v18, 0x80, v0
	v_cmp_gt_u32_e32 vcc, s28, v18
	s_and_saveexec_b64 s[0:1], vcc
	s_cbranch_execz .LBB2560_66
; %bb.65:
	s_waitcnt lgkmcnt(0)
	flat_store_dwordx2 v[16:17], v[4:5] offset:1024
.LBB2560_66:
	s_or_b64 exec, exec, s[0:1]
	v_or_b32_e32 v18, 0x100, v0
	v_cmp_gt_u32_e32 vcc, s28, v18
	s_and_saveexec_b64 s[0:1], vcc
	s_cbranch_execz .LBB2560_68
; %bb.67:
	s_waitcnt lgkmcnt(0)
	flat_store_dwordx2 v[16:17], v[6:7] offset:2048
.LBB2560_68:
	;; [unrolled: 9-line block ×3, first 2 shown]
	s_or_b64 exec, exec, s[0:1]
	v_or_b32_e32 v18, 0x200, v0
	v_cmp_gt_u32_e32 vcc, s28, v18
	s_and_saveexec_b64 s[0:1], vcc
	s_cbranch_execz .LBB2560_72
; %bb.71:
	v_add_co_u32_e32 v18, vcc, 0x1000, v16
	v_addc_co_u32_e32 v19, vcc, 0, v17, vcc
	s_waitcnt lgkmcnt(0)
	flat_store_dwordx2 v[18:19], v[10:11]
.LBB2560_72:
	s_or_b64 exec, exec, s[0:1]
	v_or_b32_e32 v18, 0x280, v0
	v_cmp_gt_u32_e32 vcc, s28, v18
	s_and_saveexec_b64 s[0:1], vcc
	s_cbranch_execz .LBB2560_74
; %bb.73:
	v_add_co_u32_e32 v18, vcc, 0x1000, v16
	v_addc_co_u32_e32 v19, vcc, 0, v17, vcc
	s_waitcnt lgkmcnt(0)
	flat_store_dwordx2 v[18:19], v[12:13] offset:1024
.LBB2560_74:
	s_or_b64 exec, exec, s[0:1]
	v_or_b32_e32 v18, 0x300, v0
	v_cmp_gt_u32_e32 vcc, s28, v18
	s_and_saveexec_b64 s[0:1], vcc
	s_cbranch_execz .LBB2560_76
; %bb.75:
	v_add_co_u32_e32 v16, vcc, 0x1000, v16
	v_addc_co_u32_e32 v17, vcc, 0, v17, vcc
	s_waitcnt lgkmcnt(0)
	flat_store_dwordx2 v[16:17], v[14:15] offset:2048
.LBB2560_76:
	s_or_b64 exec, exec, s[0:1]
	v_cmp_lt_u64_e64 s[0:1], s[10:11], 2
	s_and_b64 vcc, exec, s[0:1]
	s_cbranch_vccnz .LBB2560_100
; %bb.77:
	s_add_u32 s0, s28, -1
	s_addc_u32 s1, s29, -1
	s_add_u32 s2, 0, 0x92481000
	s_addc_u32 s3, 0, 0x64
	s_add_i32 s3, s3, 0x249248c0
	s_mul_hi_u32 s9, s2, -7
	s_sub_i32 s9, s9, s2
	s_mul_i32 s10, s3, -7
	s_mul_i32 s4, s2, -7
	s_add_i32 s9, s9, s10
	s_mul_hi_u32 s5, s3, s4
	s_mul_i32 s8, s3, s4
	s_mul_i32 s11, s2, s9
	s_mul_hi_u32 s4, s2, s4
	s_mul_hi_u32 s10, s2, s9
	s_add_u32 s4, s4, s11
	s_addc_u32 s10, 0, s10
	s_add_u32 s4, s4, s8
	s_mul_hi_u32 s11, s3, s9
	s_addc_u32 s4, s10, s5
	s_addc_u32 s5, s11, 0
	s_mul_i32 s8, s3, s9
	s_add_u32 s4, s4, s8
	v_mov_b32_e32 v16, s4
	s_addc_u32 s5, 0, s5
	v_add_co_u32_e32 v16, vcc, s2, v16
	s_cmp_lg_u64 vcc, 0
	s_addc_u32 s2, s3, s5
	v_readfirstlane_b32 s5, v16
	s_mul_i32 s4, s0, s2
	s_mul_hi_u32 s8, s0, s5
	s_mul_hi_u32 s3, s0, s2
	s_add_u32 s4, s8, s4
	s_addc_u32 s3, 0, s3
	s_mul_hi_u32 s9, s1, s5
	s_mul_i32 s5, s1, s5
	s_add_u32 s4, s4, s5
	s_mul_hi_u32 s8, s1, s2
	s_addc_u32 s3, s3, s9
	s_addc_u32 s4, s8, 0
	s_mul_i32 s2, s1, s2
	s_add_u32 s2, s3, s2
	s_addc_u32 s3, 0, s4
	s_add_u32 s4, s2, 1
	s_addc_u32 s5, s3, 0
	s_add_u32 s8, s2, 2
	s_mul_i32 s10, s3, 7
	s_mul_hi_u32 s11, s2, 7
	s_addc_u32 s9, s3, 0
	s_add_i32 s11, s11, s10
	s_mul_i32 s10, s2, 7
	v_mov_b32_e32 v16, s10
	v_sub_co_u32_e32 v16, vcc, s0, v16
	s_cmp_lg_u64 vcc, 0
	s_subb_u32 s10, s1, s11
	v_subrev_co_u32_e32 v17, vcc, 7, v16
	s_cmp_lg_u64 vcc, 0
	s_subb_u32 s11, s10, 0
	v_readfirstlane_b32 s12, v17
	s_cmp_gt_u32 s12, 6
	s_cselect_b32 s12, -1, 0
	s_cmp_eq_u32 s11, 0
	s_cselect_b32 s11, s12, -1
	s_cmp_lg_u32 s11, 0
	s_cselect_b32 s4, s8, s4
	v_readfirstlane_b32 s8, v16
	s_cselect_b32 s5, s9, s5
	s_cmp_gt_u32 s8, 6
	s_cselect_b32 s8, -1, 0
	s_cmp_eq_u32 s10, 0
	s_cselect_b32 s8, s8, -1
	s_cmp_lg_u32 s8, 0
	s_cselect_b32 s3, s5, s3
	s_cselect_b32 s2, s4, s2
	v_cmp_eq_u64_e32 vcc, s[2:3], v[0:1]
	s_and_saveexec_b64 s[2:3], vcc
	s_cbranch_execz .LBB2560_100
; %bb.78:
	v_mul_hi_u32_u24_e32 v1, 7, v0
	v_mov_b32_e32 v16, s1
	v_sub_co_u32_e32 v0, vcc, s0, v37
	v_subb_co_u32_e32 v1, vcc, v16, v1, vcc
	v_cmp_lt_i64_e32 vcc, 3, v[0:1]
	s_and_saveexec_b64 s[0:1], vcc
	s_xor_b64 s[0:1], exec, s[0:1]
	s_cbranch_execz .LBB2560_88
; %bb.79:
	v_cmp_lt_i64_e32 vcc, 4, v[0:1]
	s_and_saveexec_b64 s[2:3], vcc
	s_xor_b64 s[2:3], exec, s[2:3]
	s_cbranch_execz .LBB2560_85
; %bb.80:
	;; [unrolled: 5-line block ×3, first 2 shown]
	v_mov_b32_e32 v0, 0
	s_waitcnt lgkmcnt(0)
	global_store_dwordx2 v0, v[14:15], s[6:7]
                                        ; implicit-def: $vgpr10_vgpr11_vgpr12_vgpr13
.LBB2560_82:
	s_andn2_saveexec_b64 s[4:5], s[4:5]
	s_cbranch_execz .LBB2560_84
; %bb.83:
	v_mov_b32_e32 v0, 0
	s_waitcnt lgkmcnt(0)
	global_store_dwordx2 v0, v[12:13], s[6:7]
.LBB2560_84:
	s_or_b64 exec, exec, s[4:5]
                                        ; implicit-def: $vgpr10_vgpr11_vgpr12_vgpr13
.LBB2560_85:
	s_andn2_saveexec_b64 s[2:3], s[2:3]
	s_cbranch_execz .LBB2560_87
; %bb.86:
	v_mov_b32_e32 v0, 0
	s_waitcnt lgkmcnt(0)
	global_store_dwordx2 v0, v[10:11], s[6:7]
.LBB2560_87:
	s_or_b64 exec, exec, s[2:3]
                                        ; implicit-def: $vgpr0_vgpr1
                                        ; implicit-def: $vgpr2_vgpr3_vgpr4_vgpr5
                                        ; implicit-def: $vgpr6_vgpr7_vgpr8_vgpr9
.LBB2560_88:
	s_andn2_saveexec_b64 s[0:1], s[0:1]
	s_cbranch_execz .LBB2560_100
; %bb.89:
	v_cmp_lt_i64_e32 vcc, 1, v[0:1]
	s_and_saveexec_b64 s[0:1], vcc
	s_xor_b64 s[0:1], exec, s[0:1]
	s_cbranch_execz .LBB2560_95
; %bb.90:
	v_cmp_lt_i64_e32 vcc, 2, v[0:1]
	s_and_saveexec_b64 s[2:3], vcc
	s_xor_b64 s[2:3], exec, s[2:3]
	s_cbranch_execz .LBB2560_92
; %bb.91:
	v_mov_b32_e32 v0, 0
	s_waitcnt lgkmcnt(0)
	global_store_dwordx2 v0, v[8:9], s[6:7]
                                        ; implicit-def: $vgpr6_vgpr7_vgpr8_vgpr9
.LBB2560_92:
	s_andn2_saveexec_b64 s[2:3], s[2:3]
	s_cbranch_execz .LBB2560_94
; %bb.93:
	v_mov_b32_e32 v0, 0
	s_waitcnt lgkmcnt(0)
	global_store_dwordx2 v0, v[6:7], s[6:7]
.LBB2560_94:
	s_or_b64 exec, exec, s[2:3]
                                        ; implicit-def: $vgpr2_vgpr3_vgpr4_vgpr5
                                        ; implicit-def: $vgpr0_vgpr1
.LBB2560_95:
	s_andn2_saveexec_b64 s[0:1], s[0:1]
	s_cbranch_execz .LBB2560_100
; %bb.96:
	v_cmp_ne_u64_e32 vcc, 1, v[0:1]
	s_and_saveexec_b64 s[0:1], vcc
	s_xor_b64 s[0:1], exec, s[0:1]
	s_cbranch_execz .LBB2560_98
; %bb.97:
	v_mov_b32_e32 v0, 0
	s_waitcnt lgkmcnt(0)
	global_store_dwordx2 v0, v[2:3], s[6:7]
                                        ; implicit-def: $vgpr2_vgpr3_vgpr4_vgpr5
.LBB2560_98:
	s_andn2_saveexec_b64 s[0:1], s[0:1]
	s_cbranch_execz .LBB2560_100
; %bb.99:
	v_mov_b32_e32 v0, 0
	s_waitcnt lgkmcnt(0)
	global_store_dwordx2 v0, v[4:5], s[6:7]
.LBB2560_100:
	s_endpgm
	.section	.rodata,"a",@progbits
	.p2align	6, 0x0
	.amdhsa_kernel _ZN7rocprim17ROCPRIM_400000_NS6detail17trampoline_kernelINS0_14default_configENS1_20scan_config_selectorIxEEZZNS1_9scan_implILNS1_25lookback_scan_determinismE0ELb0ELb0ES3_N6thrust23THRUST_200600_302600_NS6detail15normal_iteratorINS9_10device_ptrIxEEEESE_x11max_functorIxExEEDaPvRmT3_T4_T5_mT6_P12ihipStream_tbENKUlT_T0_E_clISt17integral_constantIbLb0EESU_EEDaSP_SQ_EUlSP_E_NS1_11comp_targetILNS1_3genE4ELNS1_11target_archE910ELNS1_3gpuE8ELNS1_3repE0EEENS1_30default_config_static_selectorELNS0_4arch9wavefront6targetE1EEEvT1_
		.amdhsa_group_segment_fixed_size 7168
		.amdhsa_private_segment_fixed_size 0
		.amdhsa_kernarg_size 104
		.amdhsa_user_sgpr_count 6
		.amdhsa_user_sgpr_private_segment_buffer 1
		.amdhsa_user_sgpr_dispatch_ptr 0
		.amdhsa_user_sgpr_queue_ptr 0
		.amdhsa_user_sgpr_kernarg_segment_ptr 1
		.amdhsa_user_sgpr_dispatch_id 0
		.amdhsa_user_sgpr_flat_scratch_init 0
		.amdhsa_user_sgpr_kernarg_preload_length 0
		.amdhsa_user_sgpr_kernarg_preload_offset 0
		.amdhsa_user_sgpr_private_segment_size 0
		.amdhsa_uses_dynamic_stack 0
		.amdhsa_system_sgpr_private_segment_wavefront_offset 0
		.amdhsa_system_sgpr_workgroup_id_x 1
		.amdhsa_system_sgpr_workgroup_id_y 0
		.amdhsa_system_sgpr_workgroup_id_z 0
		.amdhsa_system_sgpr_workgroup_info 0
		.amdhsa_system_vgpr_workitem_id 0
		.amdhsa_next_free_vgpr 58
		.amdhsa_next_free_sgpr 30
		.amdhsa_accum_offset 60
		.amdhsa_reserve_vcc 1
		.amdhsa_reserve_flat_scratch 0
		.amdhsa_float_round_mode_32 0
		.amdhsa_float_round_mode_16_64 0
		.amdhsa_float_denorm_mode_32 3
		.amdhsa_float_denorm_mode_16_64 3
		.amdhsa_dx10_clamp 1
		.amdhsa_ieee_mode 1
		.amdhsa_fp16_overflow 0
		.amdhsa_tg_split 0
		.amdhsa_exception_fp_ieee_invalid_op 0
		.amdhsa_exception_fp_denorm_src 0
		.amdhsa_exception_fp_ieee_div_zero 0
		.amdhsa_exception_fp_ieee_overflow 0
		.amdhsa_exception_fp_ieee_underflow 0
		.amdhsa_exception_fp_ieee_inexact 0
		.amdhsa_exception_int_div_zero 0
	.end_amdhsa_kernel
	.section	.text._ZN7rocprim17ROCPRIM_400000_NS6detail17trampoline_kernelINS0_14default_configENS1_20scan_config_selectorIxEEZZNS1_9scan_implILNS1_25lookback_scan_determinismE0ELb0ELb0ES3_N6thrust23THRUST_200600_302600_NS6detail15normal_iteratorINS9_10device_ptrIxEEEESE_x11max_functorIxExEEDaPvRmT3_T4_T5_mT6_P12ihipStream_tbENKUlT_T0_E_clISt17integral_constantIbLb0EESU_EEDaSP_SQ_EUlSP_E_NS1_11comp_targetILNS1_3genE4ELNS1_11target_archE910ELNS1_3gpuE8ELNS1_3repE0EEENS1_30default_config_static_selectorELNS0_4arch9wavefront6targetE1EEEvT1_,"axG",@progbits,_ZN7rocprim17ROCPRIM_400000_NS6detail17trampoline_kernelINS0_14default_configENS1_20scan_config_selectorIxEEZZNS1_9scan_implILNS1_25lookback_scan_determinismE0ELb0ELb0ES3_N6thrust23THRUST_200600_302600_NS6detail15normal_iteratorINS9_10device_ptrIxEEEESE_x11max_functorIxExEEDaPvRmT3_T4_T5_mT6_P12ihipStream_tbENKUlT_T0_E_clISt17integral_constantIbLb0EESU_EEDaSP_SQ_EUlSP_E_NS1_11comp_targetILNS1_3genE4ELNS1_11target_archE910ELNS1_3gpuE8ELNS1_3repE0EEENS1_30default_config_static_selectorELNS0_4arch9wavefront6targetE1EEEvT1_,comdat
.Lfunc_end2560:
	.size	_ZN7rocprim17ROCPRIM_400000_NS6detail17trampoline_kernelINS0_14default_configENS1_20scan_config_selectorIxEEZZNS1_9scan_implILNS1_25lookback_scan_determinismE0ELb0ELb0ES3_N6thrust23THRUST_200600_302600_NS6detail15normal_iteratorINS9_10device_ptrIxEEEESE_x11max_functorIxExEEDaPvRmT3_T4_T5_mT6_P12ihipStream_tbENKUlT_T0_E_clISt17integral_constantIbLb0EESU_EEDaSP_SQ_EUlSP_E_NS1_11comp_targetILNS1_3genE4ELNS1_11target_archE910ELNS1_3gpuE8ELNS1_3repE0EEENS1_30default_config_static_selectorELNS0_4arch9wavefront6targetE1EEEvT1_, .Lfunc_end2560-_ZN7rocprim17ROCPRIM_400000_NS6detail17trampoline_kernelINS0_14default_configENS1_20scan_config_selectorIxEEZZNS1_9scan_implILNS1_25lookback_scan_determinismE0ELb0ELb0ES3_N6thrust23THRUST_200600_302600_NS6detail15normal_iteratorINS9_10device_ptrIxEEEESE_x11max_functorIxExEEDaPvRmT3_T4_T5_mT6_P12ihipStream_tbENKUlT_T0_E_clISt17integral_constantIbLb0EESU_EEDaSP_SQ_EUlSP_E_NS1_11comp_targetILNS1_3genE4ELNS1_11target_archE910ELNS1_3gpuE8ELNS1_3repE0EEENS1_30default_config_static_selectorELNS0_4arch9wavefront6targetE1EEEvT1_
                                        ; -- End function
	.section	.AMDGPU.csdata,"",@progbits
; Kernel info:
; codeLenInByte = 6040
; NumSgprs: 34
; NumVgprs: 58
; NumAgprs: 0
; TotalNumVgprs: 58
; ScratchSize: 0
; MemoryBound: 0
; FloatMode: 240
; IeeeMode: 1
; LDSByteSize: 7168 bytes/workgroup (compile time only)
; SGPRBlocks: 4
; VGPRBlocks: 7
; NumSGPRsForWavesPerEU: 34
; NumVGPRsForWavesPerEU: 58
; AccumOffset: 60
; Occupancy: 5
; WaveLimiterHint : 1
; COMPUTE_PGM_RSRC2:SCRATCH_EN: 0
; COMPUTE_PGM_RSRC2:USER_SGPR: 6
; COMPUTE_PGM_RSRC2:TRAP_HANDLER: 0
; COMPUTE_PGM_RSRC2:TGID_X_EN: 1
; COMPUTE_PGM_RSRC2:TGID_Y_EN: 0
; COMPUTE_PGM_RSRC2:TGID_Z_EN: 0
; COMPUTE_PGM_RSRC2:TIDIG_COMP_CNT: 0
; COMPUTE_PGM_RSRC3_GFX90A:ACCUM_OFFSET: 14
; COMPUTE_PGM_RSRC3_GFX90A:TG_SPLIT: 0
	.section	.text._ZN7rocprim17ROCPRIM_400000_NS6detail17trampoline_kernelINS0_14default_configENS1_20scan_config_selectorIxEEZZNS1_9scan_implILNS1_25lookback_scan_determinismE0ELb0ELb0ES3_N6thrust23THRUST_200600_302600_NS6detail15normal_iteratorINS9_10device_ptrIxEEEESE_x11max_functorIxExEEDaPvRmT3_T4_T5_mT6_P12ihipStream_tbENKUlT_T0_E_clISt17integral_constantIbLb0EESU_EEDaSP_SQ_EUlSP_E_NS1_11comp_targetILNS1_3genE3ELNS1_11target_archE908ELNS1_3gpuE7ELNS1_3repE0EEENS1_30default_config_static_selectorELNS0_4arch9wavefront6targetE1EEEvT1_,"axG",@progbits,_ZN7rocprim17ROCPRIM_400000_NS6detail17trampoline_kernelINS0_14default_configENS1_20scan_config_selectorIxEEZZNS1_9scan_implILNS1_25lookback_scan_determinismE0ELb0ELb0ES3_N6thrust23THRUST_200600_302600_NS6detail15normal_iteratorINS9_10device_ptrIxEEEESE_x11max_functorIxExEEDaPvRmT3_T4_T5_mT6_P12ihipStream_tbENKUlT_T0_E_clISt17integral_constantIbLb0EESU_EEDaSP_SQ_EUlSP_E_NS1_11comp_targetILNS1_3genE3ELNS1_11target_archE908ELNS1_3gpuE7ELNS1_3repE0EEENS1_30default_config_static_selectorELNS0_4arch9wavefront6targetE1EEEvT1_,comdat
	.protected	_ZN7rocprim17ROCPRIM_400000_NS6detail17trampoline_kernelINS0_14default_configENS1_20scan_config_selectorIxEEZZNS1_9scan_implILNS1_25lookback_scan_determinismE0ELb0ELb0ES3_N6thrust23THRUST_200600_302600_NS6detail15normal_iteratorINS9_10device_ptrIxEEEESE_x11max_functorIxExEEDaPvRmT3_T4_T5_mT6_P12ihipStream_tbENKUlT_T0_E_clISt17integral_constantIbLb0EESU_EEDaSP_SQ_EUlSP_E_NS1_11comp_targetILNS1_3genE3ELNS1_11target_archE908ELNS1_3gpuE7ELNS1_3repE0EEENS1_30default_config_static_selectorELNS0_4arch9wavefront6targetE1EEEvT1_ ; -- Begin function _ZN7rocprim17ROCPRIM_400000_NS6detail17trampoline_kernelINS0_14default_configENS1_20scan_config_selectorIxEEZZNS1_9scan_implILNS1_25lookback_scan_determinismE0ELb0ELb0ES3_N6thrust23THRUST_200600_302600_NS6detail15normal_iteratorINS9_10device_ptrIxEEEESE_x11max_functorIxExEEDaPvRmT3_T4_T5_mT6_P12ihipStream_tbENKUlT_T0_E_clISt17integral_constantIbLb0EESU_EEDaSP_SQ_EUlSP_E_NS1_11comp_targetILNS1_3genE3ELNS1_11target_archE908ELNS1_3gpuE7ELNS1_3repE0EEENS1_30default_config_static_selectorELNS0_4arch9wavefront6targetE1EEEvT1_
	.globl	_ZN7rocprim17ROCPRIM_400000_NS6detail17trampoline_kernelINS0_14default_configENS1_20scan_config_selectorIxEEZZNS1_9scan_implILNS1_25lookback_scan_determinismE0ELb0ELb0ES3_N6thrust23THRUST_200600_302600_NS6detail15normal_iteratorINS9_10device_ptrIxEEEESE_x11max_functorIxExEEDaPvRmT3_T4_T5_mT6_P12ihipStream_tbENKUlT_T0_E_clISt17integral_constantIbLb0EESU_EEDaSP_SQ_EUlSP_E_NS1_11comp_targetILNS1_3genE3ELNS1_11target_archE908ELNS1_3gpuE7ELNS1_3repE0EEENS1_30default_config_static_selectorELNS0_4arch9wavefront6targetE1EEEvT1_
	.p2align	8
	.type	_ZN7rocprim17ROCPRIM_400000_NS6detail17trampoline_kernelINS0_14default_configENS1_20scan_config_selectorIxEEZZNS1_9scan_implILNS1_25lookback_scan_determinismE0ELb0ELb0ES3_N6thrust23THRUST_200600_302600_NS6detail15normal_iteratorINS9_10device_ptrIxEEEESE_x11max_functorIxExEEDaPvRmT3_T4_T5_mT6_P12ihipStream_tbENKUlT_T0_E_clISt17integral_constantIbLb0EESU_EEDaSP_SQ_EUlSP_E_NS1_11comp_targetILNS1_3genE3ELNS1_11target_archE908ELNS1_3gpuE7ELNS1_3repE0EEENS1_30default_config_static_selectorELNS0_4arch9wavefront6targetE1EEEvT1_,@function
_ZN7rocprim17ROCPRIM_400000_NS6detail17trampoline_kernelINS0_14default_configENS1_20scan_config_selectorIxEEZZNS1_9scan_implILNS1_25lookback_scan_determinismE0ELb0ELb0ES3_N6thrust23THRUST_200600_302600_NS6detail15normal_iteratorINS9_10device_ptrIxEEEESE_x11max_functorIxExEEDaPvRmT3_T4_T5_mT6_P12ihipStream_tbENKUlT_T0_E_clISt17integral_constantIbLb0EESU_EEDaSP_SQ_EUlSP_E_NS1_11comp_targetILNS1_3genE3ELNS1_11target_archE908ELNS1_3gpuE7ELNS1_3repE0EEENS1_30default_config_static_selectorELNS0_4arch9wavefront6targetE1EEEvT1_: ; @_ZN7rocprim17ROCPRIM_400000_NS6detail17trampoline_kernelINS0_14default_configENS1_20scan_config_selectorIxEEZZNS1_9scan_implILNS1_25lookback_scan_determinismE0ELb0ELb0ES3_N6thrust23THRUST_200600_302600_NS6detail15normal_iteratorINS9_10device_ptrIxEEEESE_x11max_functorIxExEEDaPvRmT3_T4_T5_mT6_P12ihipStream_tbENKUlT_T0_E_clISt17integral_constantIbLb0EESU_EEDaSP_SQ_EUlSP_E_NS1_11comp_targetILNS1_3genE3ELNS1_11target_archE908ELNS1_3gpuE7ELNS1_3repE0EEENS1_30default_config_static_selectorELNS0_4arch9wavefront6targetE1EEEvT1_
; %bb.0:
	.section	.rodata,"a",@progbits
	.p2align	6, 0x0
	.amdhsa_kernel _ZN7rocprim17ROCPRIM_400000_NS6detail17trampoline_kernelINS0_14default_configENS1_20scan_config_selectorIxEEZZNS1_9scan_implILNS1_25lookback_scan_determinismE0ELb0ELb0ES3_N6thrust23THRUST_200600_302600_NS6detail15normal_iteratorINS9_10device_ptrIxEEEESE_x11max_functorIxExEEDaPvRmT3_T4_T5_mT6_P12ihipStream_tbENKUlT_T0_E_clISt17integral_constantIbLb0EESU_EEDaSP_SQ_EUlSP_E_NS1_11comp_targetILNS1_3genE3ELNS1_11target_archE908ELNS1_3gpuE7ELNS1_3repE0EEENS1_30default_config_static_selectorELNS0_4arch9wavefront6targetE1EEEvT1_
		.amdhsa_group_segment_fixed_size 0
		.amdhsa_private_segment_fixed_size 0
		.amdhsa_kernarg_size 104
		.amdhsa_user_sgpr_count 6
		.amdhsa_user_sgpr_private_segment_buffer 1
		.amdhsa_user_sgpr_dispatch_ptr 0
		.amdhsa_user_sgpr_queue_ptr 0
		.amdhsa_user_sgpr_kernarg_segment_ptr 1
		.amdhsa_user_sgpr_dispatch_id 0
		.amdhsa_user_sgpr_flat_scratch_init 0
		.amdhsa_user_sgpr_kernarg_preload_length 0
		.amdhsa_user_sgpr_kernarg_preload_offset 0
		.amdhsa_user_sgpr_private_segment_size 0
		.amdhsa_uses_dynamic_stack 0
		.amdhsa_system_sgpr_private_segment_wavefront_offset 0
		.amdhsa_system_sgpr_workgroup_id_x 1
		.amdhsa_system_sgpr_workgroup_id_y 0
		.amdhsa_system_sgpr_workgroup_id_z 0
		.amdhsa_system_sgpr_workgroup_info 0
		.amdhsa_system_vgpr_workitem_id 0
		.amdhsa_next_free_vgpr 1
		.amdhsa_next_free_sgpr 0
		.amdhsa_accum_offset 4
		.amdhsa_reserve_vcc 0
		.amdhsa_reserve_flat_scratch 0
		.amdhsa_float_round_mode_32 0
		.amdhsa_float_round_mode_16_64 0
		.amdhsa_float_denorm_mode_32 3
		.amdhsa_float_denorm_mode_16_64 3
		.amdhsa_dx10_clamp 1
		.amdhsa_ieee_mode 1
		.amdhsa_fp16_overflow 0
		.amdhsa_tg_split 0
		.amdhsa_exception_fp_ieee_invalid_op 0
		.amdhsa_exception_fp_denorm_src 0
		.amdhsa_exception_fp_ieee_div_zero 0
		.amdhsa_exception_fp_ieee_overflow 0
		.amdhsa_exception_fp_ieee_underflow 0
		.amdhsa_exception_fp_ieee_inexact 0
		.amdhsa_exception_int_div_zero 0
	.end_amdhsa_kernel
	.section	.text._ZN7rocprim17ROCPRIM_400000_NS6detail17trampoline_kernelINS0_14default_configENS1_20scan_config_selectorIxEEZZNS1_9scan_implILNS1_25lookback_scan_determinismE0ELb0ELb0ES3_N6thrust23THRUST_200600_302600_NS6detail15normal_iteratorINS9_10device_ptrIxEEEESE_x11max_functorIxExEEDaPvRmT3_T4_T5_mT6_P12ihipStream_tbENKUlT_T0_E_clISt17integral_constantIbLb0EESU_EEDaSP_SQ_EUlSP_E_NS1_11comp_targetILNS1_3genE3ELNS1_11target_archE908ELNS1_3gpuE7ELNS1_3repE0EEENS1_30default_config_static_selectorELNS0_4arch9wavefront6targetE1EEEvT1_,"axG",@progbits,_ZN7rocprim17ROCPRIM_400000_NS6detail17trampoline_kernelINS0_14default_configENS1_20scan_config_selectorIxEEZZNS1_9scan_implILNS1_25lookback_scan_determinismE0ELb0ELb0ES3_N6thrust23THRUST_200600_302600_NS6detail15normal_iteratorINS9_10device_ptrIxEEEESE_x11max_functorIxExEEDaPvRmT3_T4_T5_mT6_P12ihipStream_tbENKUlT_T0_E_clISt17integral_constantIbLb0EESU_EEDaSP_SQ_EUlSP_E_NS1_11comp_targetILNS1_3genE3ELNS1_11target_archE908ELNS1_3gpuE7ELNS1_3repE0EEENS1_30default_config_static_selectorELNS0_4arch9wavefront6targetE1EEEvT1_,comdat
.Lfunc_end2561:
	.size	_ZN7rocprim17ROCPRIM_400000_NS6detail17trampoline_kernelINS0_14default_configENS1_20scan_config_selectorIxEEZZNS1_9scan_implILNS1_25lookback_scan_determinismE0ELb0ELb0ES3_N6thrust23THRUST_200600_302600_NS6detail15normal_iteratorINS9_10device_ptrIxEEEESE_x11max_functorIxExEEDaPvRmT3_T4_T5_mT6_P12ihipStream_tbENKUlT_T0_E_clISt17integral_constantIbLb0EESU_EEDaSP_SQ_EUlSP_E_NS1_11comp_targetILNS1_3genE3ELNS1_11target_archE908ELNS1_3gpuE7ELNS1_3repE0EEENS1_30default_config_static_selectorELNS0_4arch9wavefront6targetE1EEEvT1_, .Lfunc_end2561-_ZN7rocprim17ROCPRIM_400000_NS6detail17trampoline_kernelINS0_14default_configENS1_20scan_config_selectorIxEEZZNS1_9scan_implILNS1_25lookback_scan_determinismE0ELb0ELb0ES3_N6thrust23THRUST_200600_302600_NS6detail15normal_iteratorINS9_10device_ptrIxEEEESE_x11max_functorIxExEEDaPvRmT3_T4_T5_mT6_P12ihipStream_tbENKUlT_T0_E_clISt17integral_constantIbLb0EESU_EEDaSP_SQ_EUlSP_E_NS1_11comp_targetILNS1_3genE3ELNS1_11target_archE908ELNS1_3gpuE7ELNS1_3repE0EEENS1_30default_config_static_selectorELNS0_4arch9wavefront6targetE1EEEvT1_
                                        ; -- End function
	.section	.AMDGPU.csdata,"",@progbits
; Kernel info:
; codeLenInByte = 0
; NumSgprs: 4
; NumVgprs: 0
; NumAgprs: 0
; TotalNumVgprs: 0
; ScratchSize: 0
; MemoryBound: 0
; FloatMode: 240
; IeeeMode: 1
; LDSByteSize: 0 bytes/workgroup (compile time only)
; SGPRBlocks: 0
; VGPRBlocks: 0
; NumSGPRsForWavesPerEU: 4
; NumVGPRsForWavesPerEU: 1
; AccumOffset: 4
; Occupancy: 8
; WaveLimiterHint : 0
; COMPUTE_PGM_RSRC2:SCRATCH_EN: 0
; COMPUTE_PGM_RSRC2:USER_SGPR: 6
; COMPUTE_PGM_RSRC2:TRAP_HANDLER: 0
; COMPUTE_PGM_RSRC2:TGID_X_EN: 1
; COMPUTE_PGM_RSRC2:TGID_Y_EN: 0
; COMPUTE_PGM_RSRC2:TGID_Z_EN: 0
; COMPUTE_PGM_RSRC2:TIDIG_COMP_CNT: 0
; COMPUTE_PGM_RSRC3_GFX90A:ACCUM_OFFSET: 0
; COMPUTE_PGM_RSRC3_GFX90A:TG_SPLIT: 0
	.section	.text._ZN7rocprim17ROCPRIM_400000_NS6detail17trampoline_kernelINS0_14default_configENS1_20scan_config_selectorIxEEZZNS1_9scan_implILNS1_25lookback_scan_determinismE0ELb0ELb0ES3_N6thrust23THRUST_200600_302600_NS6detail15normal_iteratorINS9_10device_ptrIxEEEESE_x11max_functorIxExEEDaPvRmT3_T4_T5_mT6_P12ihipStream_tbENKUlT_T0_E_clISt17integral_constantIbLb0EESU_EEDaSP_SQ_EUlSP_E_NS1_11comp_targetILNS1_3genE2ELNS1_11target_archE906ELNS1_3gpuE6ELNS1_3repE0EEENS1_30default_config_static_selectorELNS0_4arch9wavefront6targetE1EEEvT1_,"axG",@progbits,_ZN7rocprim17ROCPRIM_400000_NS6detail17trampoline_kernelINS0_14default_configENS1_20scan_config_selectorIxEEZZNS1_9scan_implILNS1_25lookback_scan_determinismE0ELb0ELb0ES3_N6thrust23THRUST_200600_302600_NS6detail15normal_iteratorINS9_10device_ptrIxEEEESE_x11max_functorIxExEEDaPvRmT3_T4_T5_mT6_P12ihipStream_tbENKUlT_T0_E_clISt17integral_constantIbLb0EESU_EEDaSP_SQ_EUlSP_E_NS1_11comp_targetILNS1_3genE2ELNS1_11target_archE906ELNS1_3gpuE6ELNS1_3repE0EEENS1_30default_config_static_selectorELNS0_4arch9wavefront6targetE1EEEvT1_,comdat
	.protected	_ZN7rocprim17ROCPRIM_400000_NS6detail17trampoline_kernelINS0_14default_configENS1_20scan_config_selectorIxEEZZNS1_9scan_implILNS1_25lookback_scan_determinismE0ELb0ELb0ES3_N6thrust23THRUST_200600_302600_NS6detail15normal_iteratorINS9_10device_ptrIxEEEESE_x11max_functorIxExEEDaPvRmT3_T4_T5_mT6_P12ihipStream_tbENKUlT_T0_E_clISt17integral_constantIbLb0EESU_EEDaSP_SQ_EUlSP_E_NS1_11comp_targetILNS1_3genE2ELNS1_11target_archE906ELNS1_3gpuE6ELNS1_3repE0EEENS1_30default_config_static_selectorELNS0_4arch9wavefront6targetE1EEEvT1_ ; -- Begin function _ZN7rocprim17ROCPRIM_400000_NS6detail17trampoline_kernelINS0_14default_configENS1_20scan_config_selectorIxEEZZNS1_9scan_implILNS1_25lookback_scan_determinismE0ELb0ELb0ES3_N6thrust23THRUST_200600_302600_NS6detail15normal_iteratorINS9_10device_ptrIxEEEESE_x11max_functorIxExEEDaPvRmT3_T4_T5_mT6_P12ihipStream_tbENKUlT_T0_E_clISt17integral_constantIbLb0EESU_EEDaSP_SQ_EUlSP_E_NS1_11comp_targetILNS1_3genE2ELNS1_11target_archE906ELNS1_3gpuE6ELNS1_3repE0EEENS1_30default_config_static_selectorELNS0_4arch9wavefront6targetE1EEEvT1_
	.globl	_ZN7rocprim17ROCPRIM_400000_NS6detail17trampoline_kernelINS0_14default_configENS1_20scan_config_selectorIxEEZZNS1_9scan_implILNS1_25lookback_scan_determinismE0ELb0ELb0ES3_N6thrust23THRUST_200600_302600_NS6detail15normal_iteratorINS9_10device_ptrIxEEEESE_x11max_functorIxExEEDaPvRmT3_T4_T5_mT6_P12ihipStream_tbENKUlT_T0_E_clISt17integral_constantIbLb0EESU_EEDaSP_SQ_EUlSP_E_NS1_11comp_targetILNS1_3genE2ELNS1_11target_archE906ELNS1_3gpuE6ELNS1_3repE0EEENS1_30default_config_static_selectorELNS0_4arch9wavefront6targetE1EEEvT1_
	.p2align	8
	.type	_ZN7rocprim17ROCPRIM_400000_NS6detail17trampoline_kernelINS0_14default_configENS1_20scan_config_selectorIxEEZZNS1_9scan_implILNS1_25lookback_scan_determinismE0ELb0ELb0ES3_N6thrust23THRUST_200600_302600_NS6detail15normal_iteratorINS9_10device_ptrIxEEEESE_x11max_functorIxExEEDaPvRmT3_T4_T5_mT6_P12ihipStream_tbENKUlT_T0_E_clISt17integral_constantIbLb0EESU_EEDaSP_SQ_EUlSP_E_NS1_11comp_targetILNS1_3genE2ELNS1_11target_archE906ELNS1_3gpuE6ELNS1_3repE0EEENS1_30default_config_static_selectorELNS0_4arch9wavefront6targetE1EEEvT1_,@function
_ZN7rocprim17ROCPRIM_400000_NS6detail17trampoline_kernelINS0_14default_configENS1_20scan_config_selectorIxEEZZNS1_9scan_implILNS1_25lookback_scan_determinismE0ELb0ELb0ES3_N6thrust23THRUST_200600_302600_NS6detail15normal_iteratorINS9_10device_ptrIxEEEESE_x11max_functorIxExEEDaPvRmT3_T4_T5_mT6_P12ihipStream_tbENKUlT_T0_E_clISt17integral_constantIbLb0EESU_EEDaSP_SQ_EUlSP_E_NS1_11comp_targetILNS1_3genE2ELNS1_11target_archE906ELNS1_3gpuE6ELNS1_3repE0EEENS1_30default_config_static_selectorELNS0_4arch9wavefront6targetE1EEEvT1_: ; @_ZN7rocprim17ROCPRIM_400000_NS6detail17trampoline_kernelINS0_14default_configENS1_20scan_config_selectorIxEEZZNS1_9scan_implILNS1_25lookback_scan_determinismE0ELb0ELb0ES3_N6thrust23THRUST_200600_302600_NS6detail15normal_iteratorINS9_10device_ptrIxEEEESE_x11max_functorIxExEEDaPvRmT3_T4_T5_mT6_P12ihipStream_tbENKUlT_T0_E_clISt17integral_constantIbLb0EESU_EEDaSP_SQ_EUlSP_E_NS1_11comp_targetILNS1_3genE2ELNS1_11target_archE906ELNS1_3gpuE6ELNS1_3repE0EEENS1_30default_config_static_selectorELNS0_4arch9wavefront6targetE1EEEvT1_
; %bb.0:
	.section	.rodata,"a",@progbits
	.p2align	6, 0x0
	.amdhsa_kernel _ZN7rocprim17ROCPRIM_400000_NS6detail17trampoline_kernelINS0_14default_configENS1_20scan_config_selectorIxEEZZNS1_9scan_implILNS1_25lookback_scan_determinismE0ELb0ELb0ES3_N6thrust23THRUST_200600_302600_NS6detail15normal_iteratorINS9_10device_ptrIxEEEESE_x11max_functorIxExEEDaPvRmT3_T4_T5_mT6_P12ihipStream_tbENKUlT_T0_E_clISt17integral_constantIbLb0EESU_EEDaSP_SQ_EUlSP_E_NS1_11comp_targetILNS1_3genE2ELNS1_11target_archE906ELNS1_3gpuE6ELNS1_3repE0EEENS1_30default_config_static_selectorELNS0_4arch9wavefront6targetE1EEEvT1_
		.amdhsa_group_segment_fixed_size 0
		.amdhsa_private_segment_fixed_size 0
		.amdhsa_kernarg_size 104
		.amdhsa_user_sgpr_count 6
		.amdhsa_user_sgpr_private_segment_buffer 1
		.amdhsa_user_sgpr_dispatch_ptr 0
		.amdhsa_user_sgpr_queue_ptr 0
		.amdhsa_user_sgpr_kernarg_segment_ptr 1
		.amdhsa_user_sgpr_dispatch_id 0
		.amdhsa_user_sgpr_flat_scratch_init 0
		.amdhsa_user_sgpr_kernarg_preload_length 0
		.amdhsa_user_sgpr_kernarg_preload_offset 0
		.amdhsa_user_sgpr_private_segment_size 0
		.amdhsa_uses_dynamic_stack 0
		.amdhsa_system_sgpr_private_segment_wavefront_offset 0
		.amdhsa_system_sgpr_workgroup_id_x 1
		.amdhsa_system_sgpr_workgroup_id_y 0
		.amdhsa_system_sgpr_workgroup_id_z 0
		.amdhsa_system_sgpr_workgroup_info 0
		.amdhsa_system_vgpr_workitem_id 0
		.amdhsa_next_free_vgpr 1
		.amdhsa_next_free_sgpr 0
		.amdhsa_accum_offset 4
		.amdhsa_reserve_vcc 0
		.amdhsa_reserve_flat_scratch 0
		.amdhsa_float_round_mode_32 0
		.amdhsa_float_round_mode_16_64 0
		.amdhsa_float_denorm_mode_32 3
		.amdhsa_float_denorm_mode_16_64 3
		.amdhsa_dx10_clamp 1
		.amdhsa_ieee_mode 1
		.amdhsa_fp16_overflow 0
		.amdhsa_tg_split 0
		.amdhsa_exception_fp_ieee_invalid_op 0
		.amdhsa_exception_fp_denorm_src 0
		.amdhsa_exception_fp_ieee_div_zero 0
		.amdhsa_exception_fp_ieee_overflow 0
		.amdhsa_exception_fp_ieee_underflow 0
		.amdhsa_exception_fp_ieee_inexact 0
		.amdhsa_exception_int_div_zero 0
	.end_amdhsa_kernel
	.section	.text._ZN7rocprim17ROCPRIM_400000_NS6detail17trampoline_kernelINS0_14default_configENS1_20scan_config_selectorIxEEZZNS1_9scan_implILNS1_25lookback_scan_determinismE0ELb0ELb0ES3_N6thrust23THRUST_200600_302600_NS6detail15normal_iteratorINS9_10device_ptrIxEEEESE_x11max_functorIxExEEDaPvRmT3_T4_T5_mT6_P12ihipStream_tbENKUlT_T0_E_clISt17integral_constantIbLb0EESU_EEDaSP_SQ_EUlSP_E_NS1_11comp_targetILNS1_3genE2ELNS1_11target_archE906ELNS1_3gpuE6ELNS1_3repE0EEENS1_30default_config_static_selectorELNS0_4arch9wavefront6targetE1EEEvT1_,"axG",@progbits,_ZN7rocprim17ROCPRIM_400000_NS6detail17trampoline_kernelINS0_14default_configENS1_20scan_config_selectorIxEEZZNS1_9scan_implILNS1_25lookback_scan_determinismE0ELb0ELb0ES3_N6thrust23THRUST_200600_302600_NS6detail15normal_iteratorINS9_10device_ptrIxEEEESE_x11max_functorIxExEEDaPvRmT3_T4_T5_mT6_P12ihipStream_tbENKUlT_T0_E_clISt17integral_constantIbLb0EESU_EEDaSP_SQ_EUlSP_E_NS1_11comp_targetILNS1_3genE2ELNS1_11target_archE906ELNS1_3gpuE6ELNS1_3repE0EEENS1_30default_config_static_selectorELNS0_4arch9wavefront6targetE1EEEvT1_,comdat
.Lfunc_end2562:
	.size	_ZN7rocprim17ROCPRIM_400000_NS6detail17trampoline_kernelINS0_14default_configENS1_20scan_config_selectorIxEEZZNS1_9scan_implILNS1_25lookback_scan_determinismE0ELb0ELb0ES3_N6thrust23THRUST_200600_302600_NS6detail15normal_iteratorINS9_10device_ptrIxEEEESE_x11max_functorIxExEEDaPvRmT3_T4_T5_mT6_P12ihipStream_tbENKUlT_T0_E_clISt17integral_constantIbLb0EESU_EEDaSP_SQ_EUlSP_E_NS1_11comp_targetILNS1_3genE2ELNS1_11target_archE906ELNS1_3gpuE6ELNS1_3repE0EEENS1_30default_config_static_selectorELNS0_4arch9wavefront6targetE1EEEvT1_, .Lfunc_end2562-_ZN7rocprim17ROCPRIM_400000_NS6detail17trampoline_kernelINS0_14default_configENS1_20scan_config_selectorIxEEZZNS1_9scan_implILNS1_25lookback_scan_determinismE0ELb0ELb0ES3_N6thrust23THRUST_200600_302600_NS6detail15normal_iteratorINS9_10device_ptrIxEEEESE_x11max_functorIxExEEDaPvRmT3_T4_T5_mT6_P12ihipStream_tbENKUlT_T0_E_clISt17integral_constantIbLb0EESU_EEDaSP_SQ_EUlSP_E_NS1_11comp_targetILNS1_3genE2ELNS1_11target_archE906ELNS1_3gpuE6ELNS1_3repE0EEENS1_30default_config_static_selectorELNS0_4arch9wavefront6targetE1EEEvT1_
                                        ; -- End function
	.section	.AMDGPU.csdata,"",@progbits
; Kernel info:
; codeLenInByte = 0
; NumSgprs: 4
; NumVgprs: 0
; NumAgprs: 0
; TotalNumVgprs: 0
; ScratchSize: 0
; MemoryBound: 0
; FloatMode: 240
; IeeeMode: 1
; LDSByteSize: 0 bytes/workgroup (compile time only)
; SGPRBlocks: 0
; VGPRBlocks: 0
; NumSGPRsForWavesPerEU: 4
; NumVGPRsForWavesPerEU: 1
; AccumOffset: 4
; Occupancy: 8
; WaveLimiterHint : 0
; COMPUTE_PGM_RSRC2:SCRATCH_EN: 0
; COMPUTE_PGM_RSRC2:USER_SGPR: 6
; COMPUTE_PGM_RSRC2:TRAP_HANDLER: 0
; COMPUTE_PGM_RSRC2:TGID_X_EN: 1
; COMPUTE_PGM_RSRC2:TGID_Y_EN: 0
; COMPUTE_PGM_RSRC2:TGID_Z_EN: 0
; COMPUTE_PGM_RSRC2:TIDIG_COMP_CNT: 0
; COMPUTE_PGM_RSRC3_GFX90A:ACCUM_OFFSET: 0
; COMPUTE_PGM_RSRC3_GFX90A:TG_SPLIT: 0
	.section	.text._ZN7rocprim17ROCPRIM_400000_NS6detail17trampoline_kernelINS0_14default_configENS1_20scan_config_selectorIxEEZZNS1_9scan_implILNS1_25lookback_scan_determinismE0ELb0ELb0ES3_N6thrust23THRUST_200600_302600_NS6detail15normal_iteratorINS9_10device_ptrIxEEEESE_x11max_functorIxExEEDaPvRmT3_T4_T5_mT6_P12ihipStream_tbENKUlT_T0_E_clISt17integral_constantIbLb0EESU_EEDaSP_SQ_EUlSP_E_NS1_11comp_targetILNS1_3genE10ELNS1_11target_archE1201ELNS1_3gpuE5ELNS1_3repE0EEENS1_30default_config_static_selectorELNS0_4arch9wavefront6targetE1EEEvT1_,"axG",@progbits,_ZN7rocprim17ROCPRIM_400000_NS6detail17trampoline_kernelINS0_14default_configENS1_20scan_config_selectorIxEEZZNS1_9scan_implILNS1_25lookback_scan_determinismE0ELb0ELb0ES3_N6thrust23THRUST_200600_302600_NS6detail15normal_iteratorINS9_10device_ptrIxEEEESE_x11max_functorIxExEEDaPvRmT3_T4_T5_mT6_P12ihipStream_tbENKUlT_T0_E_clISt17integral_constantIbLb0EESU_EEDaSP_SQ_EUlSP_E_NS1_11comp_targetILNS1_3genE10ELNS1_11target_archE1201ELNS1_3gpuE5ELNS1_3repE0EEENS1_30default_config_static_selectorELNS0_4arch9wavefront6targetE1EEEvT1_,comdat
	.protected	_ZN7rocprim17ROCPRIM_400000_NS6detail17trampoline_kernelINS0_14default_configENS1_20scan_config_selectorIxEEZZNS1_9scan_implILNS1_25lookback_scan_determinismE0ELb0ELb0ES3_N6thrust23THRUST_200600_302600_NS6detail15normal_iteratorINS9_10device_ptrIxEEEESE_x11max_functorIxExEEDaPvRmT3_T4_T5_mT6_P12ihipStream_tbENKUlT_T0_E_clISt17integral_constantIbLb0EESU_EEDaSP_SQ_EUlSP_E_NS1_11comp_targetILNS1_3genE10ELNS1_11target_archE1201ELNS1_3gpuE5ELNS1_3repE0EEENS1_30default_config_static_selectorELNS0_4arch9wavefront6targetE1EEEvT1_ ; -- Begin function _ZN7rocprim17ROCPRIM_400000_NS6detail17trampoline_kernelINS0_14default_configENS1_20scan_config_selectorIxEEZZNS1_9scan_implILNS1_25lookback_scan_determinismE0ELb0ELb0ES3_N6thrust23THRUST_200600_302600_NS6detail15normal_iteratorINS9_10device_ptrIxEEEESE_x11max_functorIxExEEDaPvRmT3_T4_T5_mT6_P12ihipStream_tbENKUlT_T0_E_clISt17integral_constantIbLb0EESU_EEDaSP_SQ_EUlSP_E_NS1_11comp_targetILNS1_3genE10ELNS1_11target_archE1201ELNS1_3gpuE5ELNS1_3repE0EEENS1_30default_config_static_selectorELNS0_4arch9wavefront6targetE1EEEvT1_
	.globl	_ZN7rocprim17ROCPRIM_400000_NS6detail17trampoline_kernelINS0_14default_configENS1_20scan_config_selectorIxEEZZNS1_9scan_implILNS1_25lookback_scan_determinismE0ELb0ELb0ES3_N6thrust23THRUST_200600_302600_NS6detail15normal_iteratorINS9_10device_ptrIxEEEESE_x11max_functorIxExEEDaPvRmT3_T4_T5_mT6_P12ihipStream_tbENKUlT_T0_E_clISt17integral_constantIbLb0EESU_EEDaSP_SQ_EUlSP_E_NS1_11comp_targetILNS1_3genE10ELNS1_11target_archE1201ELNS1_3gpuE5ELNS1_3repE0EEENS1_30default_config_static_selectorELNS0_4arch9wavefront6targetE1EEEvT1_
	.p2align	8
	.type	_ZN7rocprim17ROCPRIM_400000_NS6detail17trampoline_kernelINS0_14default_configENS1_20scan_config_selectorIxEEZZNS1_9scan_implILNS1_25lookback_scan_determinismE0ELb0ELb0ES3_N6thrust23THRUST_200600_302600_NS6detail15normal_iteratorINS9_10device_ptrIxEEEESE_x11max_functorIxExEEDaPvRmT3_T4_T5_mT6_P12ihipStream_tbENKUlT_T0_E_clISt17integral_constantIbLb0EESU_EEDaSP_SQ_EUlSP_E_NS1_11comp_targetILNS1_3genE10ELNS1_11target_archE1201ELNS1_3gpuE5ELNS1_3repE0EEENS1_30default_config_static_selectorELNS0_4arch9wavefront6targetE1EEEvT1_,@function
_ZN7rocprim17ROCPRIM_400000_NS6detail17trampoline_kernelINS0_14default_configENS1_20scan_config_selectorIxEEZZNS1_9scan_implILNS1_25lookback_scan_determinismE0ELb0ELb0ES3_N6thrust23THRUST_200600_302600_NS6detail15normal_iteratorINS9_10device_ptrIxEEEESE_x11max_functorIxExEEDaPvRmT3_T4_T5_mT6_P12ihipStream_tbENKUlT_T0_E_clISt17integral_constantIbLb0EESU_EEDaSP_SQ_EUlSP_E_NS1_11comp_targetILNS1_3genE10ELNS1_11target_archE1201ELNS1_3gpuE5ELNS1_3repE0EEENS1_30default_config_static_selectorELNS0_4arch9wavefront6targetE1EEEvT1_: ; @_ZN7rocprim17ROCPRIM_400000_NS6detail17trampoline_kernelINS0_14default_configENS1_20scan_config_selectorIxEEZZNS1_9scan_implILNS1_25lookback_scan_determinismE0ELb0ELb0ES3_N6thrust23THRUST_200600_302600_NS6detail15normal_iteratorINS9_10device_ptrIxEEEESE_x11max_functorIxExEEDaPvRmT3_T4_T5_mT6_P12ihipStream_tbENKUlT_T0_E_clISt17integral_constantIbLb0EESU_EEDaSP_SQ_EUlSP_E_NS1_11comp_targetILNS1_3genE10ELNS1_11target_archE1201ELNS1_3gpuE5ELNS1_3repE0EEENS1_30default_config_static_selectorELNS0_4arch9wavefront6targetE1EEEvT1_
; %bb.0:
	.section	.rodata,"a",@progbits
	.p2align	6, 0x0
	.amdhsa_kernel _ZN7rocprim17ROCPRIM_400000_NS6detail17trampoline_kernelINS0_14default_configENS1_20scan_config_selectorIxEEZZNS1_9scan_implILNS1_25lookback_scan_determinismE0ELb0ELb0ES3_N6thrust23THRUST_200600_302600_NS6detail15normal_iteratorINS9_10device_ptrIxEEEESE_x11max_functorIxExEEDaPvRmT3_T4_T5_mT6_P12ihipStream_tbENKUlT_T0_E_clISt17integral_constantIbLb0EESU_EEDaSP_SQ_EUlSP_E_NS1_11comp_targetILNS1_3genE10ELNS1_11target_archE1201ELNS1_3gpuE5ELNS1_3repE0EEENS1_30default_config_static_selectorELNS0_4arch9wavefront6targetE1EEEvT1_
		.amdhsa_group_segment_fixed_size 0
		.amdhsa_private_segment_fixed_size 0
		.amdhsa_kernarg_size 104
		.amdhsa_user_sgpr_count 6
		.amdhsa_user_sgpr_private_segment_buffer 1
		.amdhsa_user_sgpr_dispatch_ptr 0
		.amdhsa_user_sgpr_queue_ptr 0
		.amdhsa_user_sgpr_kernarg_segment_ptr 1
		.amdhsa_user_sgpr_dispatch_id 0
		.amdhsa_user_sgpr_flat_scratch_init 0
		.amdhsa_user_sgpr_kernarg_preload_length 0
		.amdhsa_user_sgpr_kernarg_preload_offset 0
		.amdhsa_user_sgpr_private_segment_size 0
		.amdhsa_uses_dynamic_stack 0
		.amdhsa_system_sgpr_private_segment_wavefront_offset 0
		.amdhsa_system_sgpr_workgroup_id_x 1
		.amdhsa_system_sgpr_workgroup_id_y 0
		.amdhsa_system_sgpr_workgroup_id_z 0
		.amdhsa_system_sgpr_workgroup_info 0
		.amdhsa_system_vgpr_workitem_id 0
		.amdhsa_next_free_vgpr 1
		.amdhsa_next_free_sgpr 0
		.amdhsa_accum_offset 4
		.amdhsa_reserve_vcc 0
		.amdhsa_reserve_flat_scratch 0
		.amdhsa_float_round_mode_32 0
		.amdhsa_float_round_mode_16_64 0
		.amdhsa_float_denorm_mode_32 3
		.amdhsa_float_denorm_mode_16_64 3
		.amdhsa_dx10_clamp 1
		.amdhsa_ieee_mode 1
		.amdhsa_fp16_overflow 0
		.amdhsa_tg_split 0
		.amdhsa_exception_fp_ieee_invalid_op 0
		.amdhsa_exception_fp_denorm_src 0
		.amdhsa_exception_fp_ieee_div_zero 0
		.amdhsa_exception_fp_ieee_overflow 0
		.amdhsa_exception_fp_ieee_underflow 0
		.amdhsa_exception_fp_ieee_inexact 0
		.amdhsa_exception_int_div_zero 0
	.end_amdhsa_kernel
	.section	.text._ZN7rocprim17ROCPRIM_400000_NS6detail17trampoline_kernelINS0_14default_configENS1_20scan_config_selectorIxEEZZNS1_9scan_implILNS1_25lookback_scan_determinismE0ELb0ELb0ES3_N6thrust23THRUST_200600_302600_NS6detail15normal_iteratorINS9_10device_ptrIxEEEESE_x11max_functorIxExEEDaPvRmT3_T4_T5_mT6_P12ihipStream_tbENKUlT_T0_E_clISt17integral_constantIbLb0EESU_EEDaSP_SQ_EUlSP_E_NS1_11comp_targetILNS1_3genE10ELNS1_11target_archE1201ELNS1_3gpuE5ELNS1_3repE0EEENS1_30default_config_static_selectorELNS0_4arch9wavefront6targetE1EEEvT1_,"axG",@progbits,_ZN7rocprim17ROCPRIM_400000_NS6detail17trampoline_kernelINS0_14default_configENS1_20scan_config_selectorIxEEZZNS1_9scan_implILNS1_25lookback_scan_determinismE0ELb0ELb0ES3_N6thrust23THRUST_200600_302600_NS6detail15normal_iteratorINS9_10device_ptrIxEEEESE_x11max_functorIxExEEDaPvRmT3_T4_T5_mT6_P12ihipStream_tbENKUlT_T0_E_clISt17integral_constantIbLb0EESU_EEDaSP_SQ_EUlSP_E_NS1_11comp_targetILNS1_3genE10ELNS1_11target_archE1201ELNS1_3gpuE5ELNS1_3repE0EEENS1_30default_config_static_selectorELNS0_4arch9wavefront6targetE1EEEvT1_,comdat
.Lfunc_end2563:
	.size	_ZN7rocprim17ROCPRIM_400000_NS6detail17trampoline_kernelINS0_14default_configENS1_20scan_config_selectorIxEEZZNS1_9scan_implILNS1_25lookback_scan_determinismE0ELb0ELb0ES3_N6thrust23THRUST_200600_302600_NS6detail15normal_iteratorINS9_10device_ptrIxEEEESE_x11max_functorIxExEEDaPvRmT3_T4_T5_mT6_P12ihipStream_tbENKUlT_T0_E_clISt17integral_constantIbLb0EESU_EEDaSP_SQ_EUlSP_E_NS1_11comp_targetILNS1_3genE10ELNS1_11target_archE1201ELNS1_3gpuE5ELNS1_3repE0EEENS1_30default_config_static_selectorELNS0_4arch9wavefront6targetE1EEEvT1_, .Lfunc_end2563-_ZN7rocprim17ROCPRIM_400000_NS6detail17trampoline_kernelINS0_14default_configENS1_20scan_config_selectorIxEEZZNS1_9scan_implILNS1_25lookback_scan_determinismE0ELb0ELb0ES3_N6thrust23THRUST_200600_302600_NS6detail15normal_iteratorINS9_10device_ptrIxEEEESE_x11max_functorIxExEEDaPvRmT3_T4_T5_mT6_P12ihipStream_tbENKUlT_T0_E_clISt17integral_constantIbLb0EESU_EEDaSP_SQ_EUlSP_E_NS1_11comp_targetILNS1_3genE10ELNS1_11target_archE1201ELNS1_3gpuE5ELNS1_3repE0EEENS1_30default_config_static_selectorELNS0_4arch9wavefront6targetE1EEEvT1_
                                        ; -- End function
	.section	.AMDGPU.csdata,"",@progbits
; Kernel info:
; codeLenInByte = 0
; NumSgprs: 4
; NumVgprs: 0
; NumAgprs: 0
; TotalNumVgprs: 0
; ScratchSize: 0
; MemoryBound: 0
; FloatMode: 240
; IeeeMode: 1
; LDSByteSize: 0 bytes/workgroup (compile time only)
; SGPRBlocks: 0
; VGPRBlocks: 0
; NumSGPRsForWavesPerEU: 4
; NumVGPRsForWavesPerEU: 1
; AccumOffset: 4
; Occupancy: 8
; WaveLimiterHint : 0
; COMPUTE_PGM_RSRC2:SCRATCH_EN: 0
; COMPUTE_PGM_RSRC2:USER_SGPR: 6
; COMPUTE_PGM_RSRC2:TRAP_HANDLER: 0
; COMPUTE_PGM_RSRC2:TGID_X_EN: 1
; COMPUTE_PGM_RSRC2:TGID_Y_EN: 0
; COMPUTE_PGM_RSRC2:TGID_Z_EN: 0
; COMPUTE_PGM_RSRC2:TIDIG_COMP_CNT: 0
; COMPUTE_PGM_RSRC3_GFX90A:ACCUM_OFFSET: 0
; COMPUTE_PGM_RSRC3_GFX90A:TG_SPLIT: 0
	.section	.text._ZN7rocprim17ROCPRIM_400000_NS6detail17trampoline_kernelINS0_14default_configENS1_20scan_config_selectorIxEEZZNS1_9scan_implILNS1_25lookback_scan_determinismE0ELb0ELb0ES3_N6thrust23THRUST_200600_302600_NS6detail15normal_iteratorINS9_10device_ptrIxEEEESE_x11max_functorIxExEEDaPvRmT3_T4_T5_mT6_P12ihipStream_tbENKUlT_T0_E_clISt17integral_constantIbLb0EESU_EEDaSP_SQ_EUlSP_E_NS1_11comp_targetILNS1_3genE10ELNS1_11target_archE1200ELNS1_3gpuE4ELNS1_3repE0EEENS1_30default_config_static_selectorELNS0_4arch9wavefront6targetE1EEEvT1_,"axG",@progbits,_ZN7rocprim17ROCPRIM_400000_NS6detail17trampoline_kernelINS0_14default_configENS1_20scan_config_selectorIxEEZZNS1_9scan_implILNS1_25lookback_scan_determinismE0ELb0ELb0ES3_N6thrust23THRUST_200600_302600_NS6detail15normal_iteratorINS9_10device_ptrIxEEEESE_x11max_functorIxExEEDaPvRmT3_T4_T5_mT6_P12ihipStream_tbENKUlT_T0_E_clISt17integral_constantIbLb0EESU_EEDaSP_SQ_EUlSP_E_NS1_11comp_targetILNS1_3genE10ELNS1_11target_archE1200ELNS1_3gpuE4ELNS1_3repE0EEENS1_30default_config_static_selectorELNS0_4arch9wavefront6targetE1EEEvT1_,comdat
	.protected	_ZN7rocprim17ROCPRIM_400000_NS6detail17trampoline_kernelINS0_14default_configENS1_20scan_config_selectorIxEEZZNS1_9scan_implILNS1_25lookback_scan_determinismE0ELb0ELb0ES3_N6thrust23THRUST_200600_302600_NS6detail15normal_iteratorINS9_10device_ptrIxEEEESE_x11max_functorIxExEEDaPvRmT3_T4_T5_mT6_P12ihipStream_tbENKUlT_T0_E_clISt17integral_constantIbLb0EESU_EEDaSP_SQ_EUlSP_E_NS1_11comp_targetILNS1_3genE10ELNS1_11target_archE1200ELNS1_3gpuE4ELNS1_3repE0EEENS1_30default_config_static_selectorELNS0_4arch9wavefront6targetE1EEEvT1_ ; -- Begin function _ZN7rocprim17ROCPRIM_400000_NS6detail17trampoline_kernelINS0_14default_configENS1_20scan_config_selectorIxEEZZNS1_9scan_implILNS1_25lookback_scan_determinismE0ELb0ELb0ES3_N6thrust23THRUST_200600_302600_NS6detail15normal_iteratorINS9_10device_ptrIxEEEESE_x11max_functorIxExEEDaPvRmT3_T4_T5_mT6_P12ihipStream_tbENKUlT_T0_E_clISt17integral_constantIbLb0EESU_EEDaSP_SQ_EUlSP_E_NS1_11comp_targetILNS1_3genE10ELNS1_11target_archE1200ELNS1_3gpuE4ELNS1_3repE0EEENS1_30default_config_static_selectorELNS0_4arch9wavefront6targetE1EEEvT1_
	.globl	_ZN7rocprim17ROCPRIM_400000_NS6detail17trampoline_kernelINS0_14default_configENS1_20scan_config_selectorIxEEZZNS1_9scan_implILNS1_25lookback_scan_determinismE0ELb0ELb0ES3_N6thrust23THRUST_200600_302600_NS6detail15normal_iteratorINS9_10device_ptrIxEEEESE_x11max_functorIxExEEDaPvRmT3_T4_T5_mT6_P12ihipStream_tbENKUlT_T0_E_clISt17integral_constantIbLb0EESU_EEDaSP_SQ_EUlSP_E_NS1_11comp_targetILNS1_3genE10ELNS1_11target_archE1200ELNS1_3gpuE4ELNS1_3repE0EEENS1_30default_config_static_selectorELNS0_4arch9wavefront6targetE1EEEvT1_
	.p2align	8
	.type	_ZN7rocprim17ROCPRIM_400000_NS6detail17trampoline_kernelINS0_14default_configENS1_20scan_config_selectorIxEEZZNS1_9scan_implILNS1_25lookback_scan_determinismE0ELb0ELb0ES3_N6thrust23THRUST_200600_302600_NS6detail15normal_iteratorINS9_10device_ptrIxEEEESE_x11max_functorIxExEEDaPvRmT3_T4_T5_mT6_P12ihipStream_tbENKUlT_T0_E_clISt17integral_constantIbLb0EESU_EEDaSP_SQ_EUlSP_E_NS1_11comp_targetILNS1_3genE10ELNS1_11target_archE1200ELNS1_3gpuE4ELNS1_3repE0EEENS1_30default_config_static_selectorELNS0_4arch9wavefront6targetE1EEEvT1_,@function
_ZN7rocprim17ROCPRIM_400000_NS6detail17trampoline_kernelINS0_14default_configENS1_20scan_config_selectorIxEEZZNS1_9scan_implILNS1_25lookback_scan_determinismE0ELb0ELb0ES3_N6thrust23THRUST_200600_302600_NS6detail15normal_iteratorINS9_10device_ptrIxEEEESE_x11max_functorIxExEEDaPvRmT3_T4_T5_mT6_P12ihipStream_tbENKUlT_T0_E_clISt17integral_constantIbLb0EESU_EEDaSP_SQ_EUlSP_E_NS1_11comp_targetILNS1_3genE10ELNS1_11target_archE1200ELNS1_3gpuE4ELNS1_3repE0EEENS1_30default_config_static_selectorELNS0_4arch9wavefront6targetE1EEEvT1_: ; @_ZN7rocprim17ROCPRIM_400000_NS6detail17trampoline_kernelINS0_14default_configENS1_20scan_config_selectorIxEEZZNS1_9scan_implILNS1_25lookback_scan_determinismE0ELb0ELb0ES3_N6thrust23THRUST_200600_302600_NS6detail15normal_iteratorINS9_10device_ptrIxEEEESE_x11max_functorIxExEEDaPvRmT3_T4_T5_mT6_P12ihipStream_tbENKUlT_T0_E_clISt17integral_constantIbLb0EESU_EEDaSP_SQ_EUlSP_E_NS1_11comp_targetILNS1_3genE10ELNS1_11target_archE1200ELNS1_3gpuE4ELNS1_3repE0EEENS1_30default_config_static_selectorELNS0_4arch9wavefront6targetE1EEEvT1_
; %bb.0:
	.section	.rodata,"a",@progbits
	.p2align	6, 0x0
	.amdhsa_kernel _ZN7rocprim17ROCPRIM_400000_NS6detail17trampoline_kernelINS0_14default_configENS1_20scan_config_selectorIxEEZZNS1_9scan_implILNS1_25lookback_scan_determinismE0ELb0ELb0ES3_N6thrust23THRUST_200600_302600_NS6detail15normal_iteratorINS9_10device_ptrIxEEEESE_x11max_functorIxExEEDaPvRmT3_T4_T5_mT6_P12ihipStream_tbENKUlT_T0_E_clISt17integral_constantIbLb0EESU_EEDaSP_SQ_EUlSP_E_NS1_11comp_targetILNS1_3genE10ELNS1_11target_archE1200ELNS1_3gpuE4ELNS1_3repE0EEENS1_30default_config_static_selectorELNS0_4arch9wavefront6targetE1EEEvT1_
		.amdhsa_group_segment_fixed_size 0
		.amdhsa_private_segment_fixed_size 0
		.amdhsa_kernarg_size 104
		.amdhsa_user_sgpr_count 6
		.amdhsa_user_sgpr_private_segment_buffer 1
		.amdhsa_user_sgpr_dispatch_ptr 0
		.amdhsa_user_sgpr_queue_ptr 0
		.amdhsa_user_sgpr_kernarg_segment_ptr 1
		.amdhsa_user_sgpr_dispatch_id 0
		.amdhsa_user_sgpr_flat_scratch_init 0
		.amdhsa_user_sgpr_kernarg_preload_length 0
		.amdhsa_user_sgpr_kernarg_preload_offset 0
		.amdhsa_user_sgpr_private_segment_size 0
		.amdhsa_uses_dynamic_stack 0
		.amdhsa_system_sgpr_private_segment_wavefront_offset 0
		.amdhsa_system_sgpr_workgroup_id_x 1
		.amdhsa_system_sgpr_workgroup_id_y 0
		.amdhsa_system_sgpr_workgroup_id_z 0
		.amdhsa_system_sgpr_workgroup_info 0
		.amdhsa_system_vgpr_workitem_id 0
		.amdhsa_next_free_vgpr 1
		.amdhsa_next_free_sgpr 0
		.amdhsa_accum_offset 4
		.amdhsa_reserve_vcc 0
		.amdhsa_reserve_flat_scratch 0
		.amdhsa_float_round_mode_32 0
		.amdhsa_float_round_mode_16_64 0
		.amdhsa_float_denorm_mode_32 3
		.amdhsa_float_denorm_mode_16_64 3
		.amdhsa_dx10_clamp 1
		.amdhsa_ieee_mode 1
		.amdhsa_fp16_overflow 0
		.amdhsa_tg_split 0
		.amdhsa_exception_fp_ieee_invalid_op 0
		.amdhsa_exception_fp_denorm_src 0
		.amdhsa_exception_fp_ieee_div_zero 0
		.amdhsa_exception_fp_ieee_overflow 0
		.amdhsa_exception_fp_ieee_underflow 0
		.amdhsa_exception_fp_ieee_inexact 0
		.amdhsa_exception_int_div_zero 0
	.end_amdhsa_kernel
	.section	.text._ZN7rocprim17ROCPRIM_400000_NS6detail17trampoline_kernelINS0_14default_configENS1_20scan_config_selectorIxEEZZNS1_9scan_implILNS1_25lookback_scan_determinismE0ELb0ELb0ES3_N6thrust23THRUST_200600_302600_NS6detail15normal_iteratorINS9_10device_ptrIxEEEESE_x11max_functorIxExEEDaPvRmT3_T4_T5_mT6_P12ihipStream_tbENKUlT_T0_E_clISt17integral_constantIbLb0EESU_EEDaSP_SQ_EUlSP_E_NS1_11comp_targetILNS1_3genE10ELNS1_11target_archE1200ELNS1_3gpuE4ELNS1_3repE0EEENS1_30default_config_static_selectorELNS0_4arch9wavefront6targetE1EEEvT1_,"axG",@progbits,_ZN7rocprim17ROCPRIM_400000_NS6detail17trampoline_kernelINS0_14default_configENS1_20scan_config_selectorIxEEZZNS1_9scan_implILNS1_25lookback_scan_determinismE0ELb0ELb0ES3_N6thrust23THRUST_200600_302600_NS6detail15normal_iteratorINS9_10device_ptrIxEEEESE_x11max_functorIxExEEDaPvRmT3_T4_T5_mT6_P12ihipStream_tbENKUlT_T0_E_clISt17integral_constantIbLb0EESU_EEDaSP_SQ_EUlSP_E_NS1_11comp_targetILNS1_3genE10ELNS1_11target_archE1200ELNS1_3gpuE4ELNS1_3repE0EEENS1_30default_config_static_selectorELNS0_4arch9wavefront6targetE1EEEvT1_,comdat
.Lfunc_end2564:
	.size	_ZN7rocprim17ROCPRIM_400000_NS6detail17trampoline_kernelINS0_14default_configENS1_20scan_config_selectorIxEEZZNS1_9scan_implILNS1_25lookback_scan_determinismE0ELb0ELb0ES3_N6thrust23THRUST_200600_302600_NS6detail15normal_iteratorINS9_10device_ptrIxEEEESE_x11max_functorIxExEEDaPvRmT3_T4_T5_mT6_P12ihipStream_tbENKUlT_T0_E_clISt17integral_constantIbLb0EESU_EEDaSP_SQ_EUlSP_E_NS1_11comp_targetILNS1_3genE10ELNS1_11target_archE1200ELNS1_3gpuE4ELNS1_3repE0EEENS1_30default_config_static_selectorELNS0_4arch9wavefront6targetE1EEEvT1_, .Lfunc_end2564-_ZN7rocprim17ROCPRIM_400000_NS6detail17trampoline_kernelINS0_14default_configENS1_20scan_config_selectorIxEEZZNS1_9scan_implILNS1_25lookback_scan_determinismE0ELb0ELb0ES3_N6thrust23THRUST_200600_302600_NS6detail15normal_iteratorINS9_10device_ptrIxEEEESE_x11max_functorIxExEEDaPvRmT3_T4_T5_mT6_P12ihipStream_tbENKUlT_T0_E_clISt17integral_constantIbLb0EESU_EEDaSP_SQ_EUlSP_E_NS1_11comp_targetILNS1_3genE10ELNS1_11target_archE1200ELNS1_3gpuE4ELNS1_3repE0EEENS1_30default_config_static_selectorELNS0_4arch9wavefront6targetE1EEEvT1_
                                        ; -- End function
	.section	.AMDGPU.csdata,"",@progbits
; Kernel info:
; codeLenInByte = 0
; NumSgprs: 4
; NumVgprs: 0
; NumAgprs: 0
; TotalNumVgprs: 0
; ScratchSize: 0
; MemoryBound: 0
; FloatMode: 240
; IeeeMode: 1
; LDSByteSize: 0 bytes/workgroup (compile time only)
; SGPRBlocks: 0
; VGPRBlocks: 0
; NumSGPRsForWavesPerEU: 4
; NumVGPRsForWavesPerEU: 1
; AccumOffset: 4
; Occupancy: 8
; WaveLimiterHint : 0
; COMPUTE_PGM_RSRC2:SCRATCH_EN: 0
; COMPUTE_PGM_RSRC2:USER_SGPR: 6
; COMPUTE_PGM_RSRC2:TRAP_HANDLER: 0
; COMPUTE_PGM_RSRC2:TGID_X_EN: 1
; COMPUTE_PGM_RSRC2:TGID_Y_EN: 0
; COMPUTE_PGM_RSRC2:TGID_Z_EN: 0
; COMPUTE_PGM_RSRC2:TIDIG_COMP_CNT: 0
; COMPUTE_PGM_RSRC3_GFX90A:ACCUM_OFFSET: 0
; COMPUTE_PGM_RSRC3_GFX90A:TG_SPLIT: 0
	.section	.text._ZN7rocprim17ROCPRIM_400000_NS6detail17trampoline_kernelINS0_14default_configENS1_20scan_config_selectorIxEEZZNS1_9scan_implILNS1_25lookback_scan_determinismE0ELb0ELb0ES3_N6thrust23THRUST_200600_302600_NS6detail15normal_iteratorINS9_10device_ptrIxEEEESE_x11max_functorIxExEEDaPvRmT3_T4_T5_mT6_P12ihipStream_tbENKUlT_T0_E_clISt17integral_constantIbLb0EESU_EEDaSP_SQ_EUlSP_E_NS1_11comp_targetILNS1_3genE9ELNS1_11target_archE1100ELNS1_3gpuE3ELNS1_3repE0EEENS1_30default_config_static_selectorELNS0_4arch9wavefront6targetE1EEEvT1_,"axG",@progbits,_ZN7rocprim17ROCPRIM_400000_NS6detail17trampoline_kernelINS0_14default_configENS1_20scan_config_selectorIxEEZZNS1_9scan_implILNS1_25lookback_scan_determinismE0ELb0ELb0ES3_N6thrust23THRUST_200600_302600_NS6detail15normal_iteratorINS9_10device_ptrIxEEEESE_x11max_functorIxExEEDaPvRmT3_T4_T5_mT6_P12ihipStream_tbENKUlT_T0_E_clISt17integral_constantIbLb0EESU_EEDaSP_SQ_EUlSP_E_NS1_11comp_targetILNS1_3genE9ELNS1_11target_archE1100ELNS1_3gpuE3ELNS1_3repE0EEENS1_30default_config_static_selectorELNS0_4arch9wavefront6targetE1EEEvT1_,comdat
	.protected	_ZN7rocprim17ROCPRIM_400000_NS6detail17trampoline_kernelINS0_14default_configENS1_20scan_config_selectorIxEEZZNS1_9scan_implILNS1_25lookback_scan_determinismE0ELb0ELb0ES3_N6thrust23THRUST_200600_302600_NS6detail15normal_iteratorINS9_10device_ptrIxEEEESE_x11max_functorIxExEEDaPvRmT3_T4_T5_mT6_P12ihipStream_tbENKUlT_T0_E_clISt17integral_constantIbLb0EESU_EEDaSP_SQ_EUlSP_E_NS1_11comp_targetILNS1_3genE9ELNS1_11target_archE1100ELNS1_3gpuE3ELNS1_3repE0EEENS1_30default_config_static_selectorELNS0_4arch9wavefront6targetE1EEEvT1_ ; -- Begin function _ZN7rocprim17ROCPRIM_400000_NS6detail17trampoline_kernelINS0_14default_configENS1_20scan_config_selectorIxEEZZNS1_9scan_implILNS1_25lookback_scan_determinismE0ELb0ELb0ES3_N6thrust23THRUST_200600_302600_NS6detail15normal_iteratorINS9_10device_ptrIxEEEESE_x11max_functorIxExEEDaPvRmT3_T4_T5_mT6_P12ihipStream_tbENKUlT_T0_E_clISt17integral_constantIbLb0EESU_EEDaSP_SQ_EUlSP_E_NS1_11comp_targetILNS1_3genE9ELNS1_11target_archE1100ELNS1_3gpuE3ELNS1_3repE0EEENS1_30default_config_static_selectorELNS0_4arch9wavefront6targetE1EEEvT1_
	.globl	_ZN7rocprim17ROCPRIM_400000_NS6detail17trampoline_kernelINS0_14default_configENS1_20scan_config_selectorIxEEZZNS1_9scan_implILNS1_25lookback_scan_determinismE0ELb0ELb0ES3_N6thrust23THRUST_200600_302600_NS6detail15normal_iteratorINS9_10device_ptrIxEEEESE_x11max_functorIxExEEDaPvRmT3_T4_T5_mT6_P12ihipStream_tbENKUlT_T0_E_clISt17integral_constantIbLb0EESU_EEDaSP_SQ_EUlSP_E_NS1_11comp_targetILNS1_3genE9ELNS1_11target_archE1100ELNS1_3gpuE3ELNS1_3repE0EEENS1_30default_config_static_selectorELNS0_4arch9wavefront6targetE1EEEvT1_
	.p2align	8
	.type	_ZN7rocprim17ROCPRIM_400000_NS6detail17trampoline_kernelINS0_14default_configENS1_20scan_config_selectorIxEEZZNS1_9scan_implILNS1_25lookback_scan_determinismE0ELb0ELb0ES3_N6thrust23THRUST_200600_302600_NS6detail15normal_iteratorINS9_10device_ptrIxEEEESE_x11max_functorIxExEEDaPvRmT3_T4_T5_mT6_P12ihipStream_tbENKUlT_T0_E_clISt17integral_constantIbLb0EESU_EEDaSP_SQ_EUlSP_E_NS1_11comp_targetILNS1_3genE9ELNS1_11target_archE1100ELNS1_3gpuE3ELNS1_3repE0EEENS1_30default_config_static_selectorELNS0_4arch9wavefront6targetE1EEEvT1_,@function
_ZN7rocprim17ROCPRIM_400000_NS6detail17trampoline_kernelINS0_14default_configENS1_20scan_config_selectorIxEEZZNS1_9scan_implILNS1_25lookback_scan_determinismE0ELb0ELb0ES3_N6thrust23THRUST_200600_302600_NS6detail15normal_iteratorINS9_10device_ptrIxEEEESE_x11max_functorIxExEEDaPvRmT3_T4_T5_mT6_P12ihipStream_tbENKUlT_T0_E_clISt17integral_constantIbLb0EESU_EEDaSP_SQ_EUlSP_E_NS1_11comp_targetILNS1_3genE9ELNS1_11target_archE1100ELNS1_3gpuE3ELNS1_3repE0EEENS1_30default_config_static_selectorELNS0_4arch9wavefront6targetE1EEEvT1_: ; @_ZN7rocprim17ROCPRIM_400000_NS6detail17trampoline_kernelINS0_14default_configENS1_20scan_config_selectorIxEEZZNS1_9scan_implILNS1_25lookback_scan_determinismE0ELb0ELb0ES3_N6thrust23THRUST_200600_302600_NS6detail15normal_iteratorINS9_10device_ptrIxEEEESE_x11max_functorIxExEEDaPvRmT3_T4_T5_mT6_P12ihipStream_tbENKUlT_T0_E_clISt17integral_constantIbLb0EESU_EEDaSP_SQ_EUlSP_E_NS1_11comp_targetILNS1_3genE9ELNS1_11target_archE1100ELNS1_3gpuE3ELNS1_3repE0EEENS1_30default_config_static_selectorELNS0_4arch9wavefront6targetE1EEEvT1_
; %bb.0:
	.section	.rodata,"a",@progbits
	.p2align	6, 0x0
	.amdhsa_kernel _ZN7rocprim17ROCPRIM_400000_NS6detail17trampoline_kernelINS0_14default_configENS1_20scan_config_selectorIxEEZZNS1_9scan_implILNS1_25lookback_scan_determinismE0ELb0ELb0ES3_N6thrust23THRUST_200600_302600_NS6detail15normal_iteratorINS9_10device_ptrIxEEEESE_x11max_functorIxExEEDaPvRmT3_T4_T5_mT6_P12ihipStream_tbENKUlT_T0_E_clISt17integral_constantIbLb0EESU_EEDaSP_SQ_EUlSP_E_NS1_11comp_targetILNS1_3genE9ELNS1_11target_archE1100ELNS1_3gpuE3ELNS1_3repE0EEENS1_30default_config_static_selectorELNS0_4arch9wavefront6targetE1EEEvT1_
		.amdhsa_group_segment_fixed_size 0
		.amdhsa_private_segment_fixed_size 0
		.amdhsa_kernarg_size 104
		.amdhsa_user_sgpr_count 6
		.amdhsa_user_sgpr_private_segment_buffer 1
		.amdhsa_user_sgpr_dispatch_ptr 0
		.amdhsa_user_sgpr_queue_ptr 0
		.amdhsa_user_sgpr_kernarg_segment_ptr 1
		.amdhsa_user_sgpr_dispatch_id 0
		.amdhsa_user_sgpr_flat_scratch_init 0
		.amdhsa_user_sgpr_kernarg_preload_length 0
		.amdhsa_user_sgpr_kernarg_preload_offset 0
		.amdhsa_user_sgpr_private_segment_size 0
		.amdhsa_uses_dynamic_stack 0
		.amdhsa_system_sgpr_private_segment_wavefront_offset 0
		.amdhsa_system_sgpr_workgroup_id_x 1
		.amdhsa_system_sgpr_workgroup_id_y 0
		.amdhsa_system_sgpr_workgroup_id_z 0
		.amdhsa_system_sgpr_workgroup_info 0
		.amdhsa_system_vgpr_workitem_id 0
		.amdhsa_next_free_vgpr 1
		.amdhsa_next_free_sgpr 0
		.amdhsa_accum_offset 4
		.amdhsa_reserve_vcc 0
		.amdhsa_reserve_flat_scratch 0
		.amdhsa_float_round_mode_32 0
		.amdhsa_float_round_mode_16_64 0
		.amdhsa_float_denorm_mode_32 3
		.amdhsa_float_denorm_mode_16_64 3
		.amdhsa_dx10_clamp 1
		.amdhsa_ieee_mode 1
		.amdhsa_fp16_overflow 0
		.amdhsa_tg_split 0
		.amdhsa_exception_fp_ieee_invalid_op 0
		.amdhsa_exception_fp_denorm_src 0
		.amdhsa_exception_fp_ieee_div_zero 0
		.amdhsa_exception_fp_ieee_overflow 0
		.amdhsa_exception_fp_ieee_underflow 0
		.amdhsa_exception_fp_ieee_inexact 0
		.amdhsa_exception_int_div_zero 0
	.end_amdhsa_kernel
	.section	.text._ZN7rocprim17ROCPRIM_400000_NS6detail17trampoline_kernelINS0_14default_configENS1_20scan_config_selectorIxEEZZNS1_9scan_implILNS1_25lookback_scan_determinismE0ELb0ELb0ES3_N6thrust23THRUST_200600_302600_NS6detail15normal_iteratorINS9_10device_ptrIxEEEESE_x11max_functorIxExEEDaPvRmT3_T4_T5_mT6_P12ihipStream_tbENKUlT_T0_E_clISt17integral_constantIbLb0EESU_EEDaSP_SQ_EUlSP_E_NS1_11comp_targetILNS1_3genE9ELNS1_11target_archE1100ELNS1_3gpuE3ELNS1_3repE0EEENS1_30default_config_static_selectorELNS0_4arch9wavefront6targetE1EEEvT1_,"axG",@progbits,_ZN7rocprim17ROCPRIM_400000_NS6detail17trampoline_kernelINS0_14default_configENS1_20scan_config_selectorIxEEZZNS1_9scan_implILNS1_25lookback_scan_determinismE0ELb0ELb0ES3_N6thrust23THRUST_200600_302600_NS6detail15normal_iteratorINS9_10device_ptrIxEEEESE_x11max_functorIxExEEDaPvRmT3_T4_T5_mT6_P12ihipStream_tbENKUlT_T0_E_clISt17integral_constantIbLb0EESU_EEDaSP_SQ_EUlSP_E_NS1_11comp_targetILNS1_3genE9ELNS1_11target_archE1100ELNS1_3gpuE3ELNS1_3repE0EEENS1_30default_config_static_selectorELNS0_4arch9wavefront6targetE1EEEvT1_,comdat
.Lfunc_end2565:
	.size	_ZN7rocprim17ROCPRIM_400000_NS6detail17trampoline_kernelINS0_14default_configENS1_20scan_config_selectorIxEEZZNS1_9scan_implILNS1_25lookback_scan_determinismE0ELb0ELb0ES3_N6thrust23THRUST_200600_302600_NS6detail15normal_iteratorINS9_10device_ptrIxEEEESE_x11max_functorIxExEEDaPvRmT3_T4_T5_mT6_P12ihipStream_tbENKUlT_T0_E_clISt17integral_constantIbLb0EESU_EEDaSP_SQ_EUlSP_E_NS1_11comp_targetILNS1_3genE9ELNS1_11target_archE1100ELNS1_3gpuE3ELNS1_3repE0EEENS1_30default_config_static_selectorELNS0_4arch9wavefront6targetE1EEEvT1_, .Lfunc_end2565-_ZN7rocprim17ROCPRIM_400000_NS6detail17trampoline_kernelINS0_14default_configENS1_20scan_config_selectorIxEEZZNS1_9scan_implILNS1_25lookback_scan_determinismE0ELb0ELb0ES3_N6thrust23THRUST_200600_302600_NS6detail15normal_iteratorINS9_10device_ptrIxEEEESE_x11max_functorIxExEEDaPvRmT3_T4_T5_mT6_P12ihipStream_tbENKUlT_T0_E_clISt17integral_constantIbLb0EESU_EEDaSP_SQ_EUlSP_E_NS1_11comp_targetILNS1_3genE9ELNS1_11target_archE1100ELNS1_3gpuE3ELNS1_3repE0EEENS1_30default_config_static_selectorELNS0_4arch9wavefront6targetE1EEEvT1_
                                        ; -- End function
	.section	.AMDGPU.csdata,"",@progbits
; Kernel info:
; codeLenInByte = 0
; NumSgprs: 4
; NumVgprs: 0
; NumAgprs: 0
; TotalNumVgprs: 0
; ScratchSize: 0
; MemoryBound: 0
; FloatMode: 240
; IeeeMode: 1
; LDSByteSize: 0 bytes/workgroup (compile time only)
; SGPRBlocks: 0
; VGPRBlocks: 0
; NumSGPRsForWavesPerEU: 4
; NumVGPRsForWavesPerEU: 1
; AccumOffset: 4
; Occupancy: 8
; WaveLimiterHint : 0
; COMPUTE_PGM_RSRC2:SCRATCH_EN: 0
; COMPUTE_PGM_RSRC2:USER_SGPR: 6
; COMPUTE_PGM_RSRC2:TRAP_HANDLER: 0
; COMPUTE_PGM_RSRC2:TGID_X_EN: 1
; COMPUTE_PGM_RSRC2:TGID_Y_EN: 0
; COMPUTE_PGM_RSRC2:TGID_Z_EN: 0
; COMPUTE_PGM_RSRC2:TIDIG_COMP_CNT: 0
; COMPUTE_PGM_RSRC3_GFX90A:ACCUM_OFFSET: 0
; COMPUTE_PGM_RSRC3_GFX90A:TG_SPLIT: 0
	.section	.text._ZN7rocprim17ROCPRIM_400000_NS6detail17trampoline_kernelINS0_14default_configENS1_20scan_config_selectorIxEEZZNS1_9scan_implILNS1_25lookback_scan_determinismE0ELb0ELb0ES3_N6thrust23THRUST_200600_302600_NS6detail15normal_iteratorINS9_10device_ptrIxEEEESE_x11max_functorIxExEEDaPvRmT3_T4_T5_mT6_P12ihipStream_tbENKUlT_T0_E_clISt17integral_constantIbLb0EESU_EEDaSP_SQ_EUlSP_E_NS1_11comp_targetILNS1_3genE8ELNS1_11target_archE1030ELNS1_3gpuE2ELNS1_3repE0EEENS1_30default_config_static_selectorELNS0_4arch9wavefront6targetE1EEEvT1_,"axG",@progbits,_ZN7rocprim17ROCPRIM_400000_NS6detail17trampoline_kernelINS0_14default_configENS1_20scan_config_selectorIxEEZZNS1_9scan_implILNS1_25lookback_scan_determinismE0ELb0ELb0ES3_N6thrust23THRUST_200600_302600_NS6detail15normal_iteratorINS9_10device_ptrIxEEEESE_x11max_functorIxExEEDaPvRmT3_T4_T5_mT6_P12ihipStream_tbENKUlT_T0_E_clISt17integral_constantIbLb0EESU_EEDaSP_SQ_EUlSP_E_NS1_11comp_targetILNS1_3genE8ELNS1_11target_archE1030ELNS1_3gpuE2ELNS1_3repE0EEENS1_30default_config_static_selectorELNS0_4arch9wavefront6targetE1EEEvT1_,comdat
	.protected	_ZN7rocprim17ROCPRIM_400000_NS6detail17trampoline_kernelINS0_14default_configENS1_20scan_config_selectorIxEEZZNS1_9scan_implILNS1_25lookback_scan_determinismE0ELb0ELb0ES3_N6thrust23THRUST_200600_302600_NS6detail15normal_iteratorINS9_10device_ptrIxEEEESE_x11max_functorIxExEEDaPvRmT3_T4_T5_mT6_P12ihipStream_tbENKUlT_T0_E_clISt17integral_constantIbLb0EESU_EEDaSP_SQ_EUlSP_E_NS1_11comp_targetILNS1_3genE8ELNS1_11target_archE1030ELNS1_3gpuE2ELNS1_3repE0EEENS1_30default_config_static_selectorELNS0_4arch9wavefront6targetE1EEEvT1_ ; -- Begin function _ZN7rocprim17ROCPRIM_400000_NS6detail17trampoline_kernelINS0_14default_configENS1_20scan_config_selectorIxEEZZNS1_9scan_implILNS1_25lookback_scan_determinismE0ELb0ELb0ES3_N6thrust23THRUST_200600_302600_NS6detail15normal_iteratorINS9_10device_ptrIxEEEESE_x11max_functorIxExEEDaPvRmT3_T4_T5_mT6_P12ihipStream_tbENKUlT_T0_E_clISt17integral_constantIbLb0EESU_EEDaSP_SQ_EUlSP_E_NS1_11comp_targetILNS1_3genE8ELNS1_11target_archE1030ELNS1_3gpuE2ELNS1_3repE0EEENS1_30default_config_static_selectorELNS0_4arch9wavefront6targetE1EEEvT1_
	.globl	_ZN7rocprim17ROCPRIM_400000_NS6detail17trampoline_kernelINS0_14default_configENS1_20scan_config_selectorIxEEZZNS1_9scan_implILNS1_25lookback_scan_determinismE0ELb0ELb0ES3_N6thrust23THRUST_200600_302600_NS6detail15normal_iteratorINS9_10device_ptrIxEEEESE_x11max_functorIxExEEDaPvRmT3_T4_T5_mT6_P12ihipStream_tbENKUlT_T0_E_clISt17integral_constantIbLb0EESU_EEDaSP_SQ_EUlSP_E_NS1_11comp_targetILNS1_3genE8ELNS1_11target_archE1030ELNS1_3gpuE2ELNS1_3repE0EEENS1_30default_config_static_selectorELNS0_4arch9wavefront6targetE1EEEvT1_
	.p2align	8
	.type	_ZN7rocprim17ROCPRIM_400000_NS6detail17trampoline_kernelINS0_14default_configENS1_20scan_config_selectorIxEEZZNS1_9scan_implILNS1_25lookback_scan_determinismE0ELb0ELb0ES3_N6thrust23THRUST_200600_302600_NS6detail15normal_iteratorINS9_10device_ptrIxEEEESE_x11max_functorIxExEEDaPvRmT3_T4_T5_mT6_P12ihipStream_tbENKUlT_T0_E_clISt17integral_constantIbLb0EESU_EEDaSP_SQ_EUlSP_E_NS1_11comp_targetILNS1_3genE8ELNS1_11target_archE1030ELNS1_3gpuE2ELNS1_3repE0EEENS1_30default_config_static_selectorELNS0_4arch9wavefront6targetE1EEEvT1_,@function
_ZN7rocprim17ROCPRIM_400000_NS6detail17trampoline_kernelINS0_14default_configENS1_20scan_config_selectorIxEEZZNS1_9scan_implILNS1_25lookback_scan_determinismE0ELb0ELb0ES3_N6thrust23THRUST_200600_302600_NS6detail15normal_iteratorINS9_10device_ptrIxEEEESE_x11max_functorIxExEEDaPvRmT3_T4_T5_mT6_P12ihipStream_tbENKUlT_T0_E_clISt17integral_constantIbLb0EESU_EEDaSP_SQ_EUlSP_E_NS1_11comp_targetILNS1_3genE8ELNS1_11target_archE1030ELNS1_3gpuE2ELNS1_3repE0EEENS1_30default_config_static_selectorELNS0_4arch9wavefront6targetE1EEEvT1_: ; @_ZN7rocprim17ROCPRIM_400000_NS6detail17trampoline_kernelINS0_14default_configENS1_20scan_config_selectorIxEEZZNS1_9scan_implILNS1_25lookback_scan_determinismE0ELb0ELb0ES3_N6thrust23THRUST_200600_302600_NS6detail15normal_iteratorINS9_10device_ptrIxEEEESE_x11max_functorIxExEEDaPvRmT3_T4_T5_mT6_P12ihipStream_tbENKUlT_T0_E_clISt17integral_constantIbLb0EESU_EEDaSP_SQ_EUlSP_E_NS1_11comp_targetILNS1_3genE8ELNS1_11target_archE1030ELNS1_3gpuE2ELNS1_3repE0EEENS1_30default_config_static_selectorELNS0_4arch9wavefront6targetE1EEEvT1_
; %bb.0:
	.section	.rodata,"a",@progbits
	.p2align	6, 0x0
	.amdhsa_kernel _ZN7rocprim17ROCPRIM_400000_NS6detail17trampoline_kernelINS0_14default_configENS1_20scan_config_selectorIxEEZZNS1_9scan_implILNS1_25lookback_scan_determinismE0ELb0ELb0ES3_N6thrust23THRUST_200600_302600_NS6detail15normal_iteratorINS9_10device_ptrIxEEEESE_x11max_functorIxExEEDaPvRmT3_T4_T5_mT6_P12ihipStream_tbENKUlT_T0_E_clISt17integral_constantIbLb0EESU_EEDaSP_SQ_EUlSP_E_NS1_11comp_targetILNS1_3genE8ELNS1_11target_archE1030ELNS1_3gpuE2ELNS1_3repE0EEENS1_30default_config_static_selectorELNS0_4arch9wavefront6targetE1EEEvT1_
		.amdhsa_group_segment_fixed_size 0
		.amdhsa_private_segment_fixed_size 0
		.amdhsa_kernarg_size 104
		.amdhsa_user_sgpr_count 6
		.amdhsa_user_sgpr_private_segment_buffer 1
		.amdhsa_user_sgpr_dispatch_ptr 0
		.amdhsa_user_sgpr_queue_ptr 0
		.amdhsa_user_sgpr_kernarg_segment_ptr 1
		.amdhsa_user_sgpr_dispatch_id 0
		.amdhsa_user_sgpr_flat_scratch_init 0
		.amdhsa_user_sgpr_kernarg_preload_length 0
		.amdhsa_user_sgpr_kernarg_preload_offset 0
		.amdhsa_user_sgpr_private_segment_size 0
		.amdhsa_uses_dynamic_stack 0
		.amdhsa_system_sgpr_private_segment_wavefront_offset 0
		.amdhsa_system_sgpr_workgroup_id_x 1
		.amdhsa_system_sgpr_workgroup_id_y 0
		.amdhsa_system_sgpr_workgroup_id_z 0
		.amdhsa_system_sgpr_workgroup_info 0
		.amdhsa_system_vgpr_workitem_id 0
		.amdhsa_next_free_vgpr 1
		.amdhsa_next_free_sgpr 0
		.amdhsa_accum_offset 4
		.amdhsa_reserve_vcc 0
		.amdhsa_reserve_flat_scratch 0
		.amdhsa_float_round_mode_32 0
		.amdhsa_float_round_mode_16_64 0
		.amdhsa_float_denorm_mode_32 3
		.amdhsa_float_denorm_mode_16_64 3
		.amdhsa_dx10_clamp 1
		.amdhsa_ieee_mode 1
		.amdhsa_fp16_overflow 0
		.amdhsa_tg_split 0
		.amdhsa_exception_fp_ieee_invalid_op 0
		.amdhsa_exception_fp_denorm_src 0
		.amdhsa_exception_fp_ieee_div_zero 0
		.amdhsa_exception_fp_ieee_overflow 0
		.amdhsa_exception_fp_ieee_underflow 0
		.amdhsa_exception_fp_ieee_inexact 0
		.amdhsa_exception_int_div_zero 0
	.end_amdhsa_kernel
	.section	.text._ZN7rocprim17ROCPRIM_400000_NS6detail17trampoline_kernelINS0_14default_configENS1_20scan_config_selectorIxEEZZNS1_9scan_implILNS1_25lookback_scan_determinismE0ELb0ELb0ES3_N6thrust23THRUST_200600_302600_NS6detail15normal_iteratorINS9_10device_ptrIxEEEESE_x11max_functorIxExEEDaPvRmT3_T4_T5_mT6_P12ihipStream_tbENKUlT_T0_E_clISt17integral_constantIbLb0EESU_EEDaSP_SQ_EUlSP_E_NS1_11comp_targetILNS1_3genE8ELNS1_11target_archE1030ELNS1_3gpuE2ELNS1_3repE0EEENS1_30default_config_static_selectorELNS0_4arch9wavefront6targetE1EEEvT1_,"axG",@progbits,_ZN7rocprim17ROCPRIM_400000_NS6detail17trampoline_kernelINS0_14default_configENS1_20scan_config_selectorIxEEZZNS1_9scan_implILNS1_25lookback_scan_determinismE0ELb0ELb0ES3_N6thrust23THRUST_200600_302600_NS6detail15normal_iteratorINS9_10device_ptrIxEEEESE_x11max_functorIxExEEDaPvRmT3_T4_T5_mT6_P12ihipStream_tbENKUlT_T0_E_clISt17integral_constantIbLb0EESU_EEDaSP_SQ_EUlSP_E_NS1_11comp_targetILNS1_3genE8ELNS1_11target_archE1030ELNS1_3gpuE2ELNS1_3repE0EEENS1_30default_config_static_selectorELNS0_4arch9wavefront6targetE1EEEvT1_,comdat
.Lfunc_end2566:
	.size	_ZN7rocprim17ROCPRIM_400000_NS6detail17trampoline_kernelINS0_14default_configENS1_20scan_config_selectorIxEEZZNS1_9scan_implILNS1_25lookback_scan_determinismE0ELb0ELb0ES3_N6thrust23THRUST_200600_302600_NS6detail15normal_iteratorINS9_10device_ptrIxEEEESE_x11max_functorIxExEEDaPvRmT3_T4_T5_mT6_P12ihipStream_tbENKUlT_T0_E_clISt17integral_constantIbLb0EESU_EEDaSP_SQ_EUlSP_E_NS1_11comp_targetILNS1_3genE8ELNS1_11target_archE1030ELNS1_3gpuE2ELNS1_3repE0EEENS1_30default_config_static_selectorELNS0_4arch9wavefront6targetE1EEEvT1_, .Lfunc_end2566-_ZN7rocprim17ROCPRIM_400000_NS6detail17trampoline_kernelINS0_14default_configENS1_20scan_config_selectorIxEEZZNS1_9scan_implILNS1_25lookback_scan_determinismE0ELb0ELb0ES3_N6thrust23THRUST_200600_302600_NS6detail15normal_iteratorINS9_10device_ptrIxEEEESE_x11max_functorIxExEEDaPvRmT3_T4_T5_mT6_P12ihipStream_tbENKUlT_T0_E_clISt17integral_constantIbLb0EESU_EEDaSP_SQ_EUlSP_E_NS1_11comp_targetILNS1_3genE8ELNS1_11target_archE1030ELNS1_3gpuE2ELNS1_3repE0EEENS1_30default_config_static_selectorELNS0_4arch9wavefront6targetE1EEEvT1_
                                        ; -- End function
	.section	.AMDGPU.csdata,"",@progbits
; Kernel info:
; codeLenInByte = 0
; NumSgprs: 4
; NumVgprs: 0
; NumAgprs: 0
; TotalNumVgprs: 0
; ScratchSize: 0
; MemoryBound: 0
; FloatMode: 240
; IeeeMode: 1
; LDSByteSize: 0 bytes/workgroup (compile time only)
; SGPRBlocks: 0
; VGPRBlocks: 0
; NumSGPRsForWavesPerEU: 4
; NumVGPRsForWavesPerEU: 1
; AccumOffset: 4
; Occupancy: 8
; WaveLimiterHint : 0
; COMPUTE_PGM_RSRC2:SCRATCH_EN: 0
; COMPUTE_PGM_RSRC2:USER_SGPR: 6
; COMPUTE_PGM_RSRC2:TRAP_HANDLER: 0
; COMPUTE_PGM_RSRC2:TGID_X_EN: 1
; COMPUTE_PGM_RSRC2:TGID_Y_EN: 0
; COMPUTE_PGM_RSRC2:TGID_Z_EN: 0
; COMPUTE_PGM_RSRC2:TIDIG_COMP_CNT: 0
; COMPUTE_PGM_RSRC3_GFX90A:ACCUM_OFFSET: 0
; COMPUTE_PGM_RSRC3_GFX90A:TG_SPLIT: 0
	.section	.text._ZN7rocprim17ROCPRIM_400000_NS6detail17trampoline_kernelINS0_14default_configENS1_20scan_config_selectorIxEEZZNS1_9scan_implILNS1_25lookback_scan_determinismE0ELb0ELb0ES3_N6thrust23THRUST_200600_302600_NS6detail15normal_iteratorINS9_10device_ptrIxEEEESE_x11max_functorIxExEEDaPvRmT3_T4_T5_mT6_P12ihipStream_tbENKUlT_T0_E_clISt17integral_constantIbLb0EESU_EEDaSP_SQ_EUlSP_E0_NS1_11comp_targetILNS1_3genE0ELNS1_11target_archE4294967295ELNS1_3gpuE0ELNS1_3repE0EEENS1_30default_config_static_selectorELNS0_4arch9wavefront6targetE1EEEvT1_,"axG",@progbits,_ZN7rocprim17ROCPRIM_400000_NS6detail17trampoline_kernelINS0_14default_configENS1_20scan_config_selectorIxEEZZNS1_9scan_implILNS1_25lookback_scan_determinismE0ELb0ELb0ES3_N6thrust23THRUST_200600_302600_NS6detail15normal_iteratorINS9_10device_ptrIxEEEESE_x11max_functorIxExEEDaPvRmT3_T4_T5_mT6_P12ihipStream_tbENKUlT_T0_E_clISt17integral_constantIbLb0EESU_EEDaSP_SQ_EUlSP_E0_NS1_11comp_targetILNS1_3genE0ELNS1_11target_archE4294967295ELNS1_3gpuE0ELNS1_3repE0EEENS1_30default_config_static_selectorELNS0_4arch9wavefront6targetE1EEEvT1_,comdat
	.protected	_ZN7rocprim17ROCPRIM_400000_NS6detail17trampoline_kernelINS0_14default_configENS1_20scan_config_selectorIxEEZZNS1_9scan_implILNS1_25lookback_scan_determinismE0ELb0ELb0ES3_N6thrust23THRUST_200600_302600_NS6detail15normal_iteratorINS9_10device_ptrIxEEEESE_x11max_functorIxExEEDaPvRmT3_T4_T5_mT6_P12ihipStream_tbENKUlT_T0_E_clISt17integral_constantIbLb0EESU_EEDaSP_SQ_EUlSP_E0_NS1_11comp_targetILNS1_3genE0ELNS1_11target_archE4294967295ELNS1_3gpuE0ELNS1_3repE0EEENS1_30default_config_static_selectorELNS0_4arch9wavefront6targetE1EEEvT1_ ; -- Begin function _ZN7rocprim17ROCPRIM_400000_NS6detail17trampoline_kernelINS0_14default_configENS1_20scan_config_selectorIxEEZZNS1_9scan_implILNS1_25lookback_scan_determinismE0ELb0ELb0ES3_N6thrust23THRUST_200600_302600_NS6detail15normal_iteratorINS9_10device_ptrIxEEEESE_x11max_functorIxExEEDaPvRmT3_T4_T5_mT6_P12ihipStream_tbENKUlT_T0_E_clISt17integral_constantIbLb0EESU_EEDaSP_SQ_EUlSP_E0_NS1_11comp_targetILNS1_3genE0ELNS1_11target_archE4294967295ELNS1_3gpuE0ELNS1_3repE0EEENS1_30default_config_static_selectorELNS0_4arch9wavefront6targetE1EEEvT1_
	.globl	_ZN7rocprim17ROCPRIM_400000_NS6detail17trampoline_kernelINS0_14default_configENS1_20scan_config_selectorIxEEZZNS1_9scan_implILNS1_25lookback_scan_determinismE0ELb0ELb0ES3_N6thrust23THRUST_200600_302600_NS6detail15normal_iteratorINS9_10device_ptrIxEEEESE_x11max_functorIxExEEDaPvRmT3_T4_T5_mT6_P12ihipStream_tbENKUlT_T0_E_clISt17integral_constantIbLb0EESU_EEDaSP_SQ_EUlSP_E0_NS1_11comp_targetILNS1_3genE0ELNS1_11target_archE4294967295ELNS1_3gpuE0ELNS1_3repE0EEENS1_30default_config_static_selectorELNS0_4arch9wavefront6targetE1EEEvT1_
	.p2align	8
	.type	_ZN7rocprim17ROCPRIM_400000_NS6detail17trampoline_kernelINS0_14default_configENS1_20scan_config_selectorIxEEZZNS1_9scan_implILNS1_25lookback_scan_determinismE0ELb0ELb0ES3_N6thrust23THRUST_200600_302600_NS6detail15normal_iteratorINS9_10device_ptrIxEEEESE_x11max_functorIxExEEDaPvRmT3_T4_T5_mT6_P12ihipStream_tbENKUlT_T0_E_clISt17integral_constantIbLb0EESU_EEDaSP_SQ_EUlSP_E0_NS1_11comp_targetILNS1_3genE0ELNS1_11target_archE4294967295ELNS1_3gpuE0ELNS1_3repE0EEENS1_30default_config_static_selectorELNS0_4arch9wavefront6targetE1EEEvT1_,@function
_ZN7rocprim17ROCPRIM_400000_NS6detail17trampoline_kernelINS0_14default_configENS1_20scan_config_selectorIxEEZZNS1_9scan_implILNS1_25lookback_scan_determinismE0ELb0ELb0ES3_N6thrust23THRUST_200600_302600_NS6detail15normal_iteratorINS9_10device_ptrIxEEEESE_x11max_functorIxExEEDaPvRmT3_T4_T5_mT6_P12ihipStream_tbENKUlT_T0_E_clISt17integral_constantIbLb0EESU_EEDaSP_SQ_EUlSP_E0_NS1_11comp_targetILNS1_3genE0ELNS1_11target_archE4294967295ELNS1_3gpuE0ELNS1_3repE0EEENS1_30default_config_static_selectorELNS0_4arch9wavefront6targetE1EEEvT1_: ; @_ZN7rocprim17ROCPRIM_400000_NS6detail17trampoline_kernelINS0_14default_configENS1_20scan_config_selectorIxEEZZNS1_9scan_implILNS1_25lookback_scan_determinismE0ELb0ELb0ES3_N6thrust23THRUST_200600_302600_NS6detail15normal_iteratorINS9_10device_ptrIxEEEESE_x11max_functorIxExEEDaPvRmT3_T4_T5_mT6_P12ihipStream_tbENKUlT_T0_E_clISt17integral_constantIbLb0EESU_EEDaSP_SQ_EUlSP_E0_NS1_11comp_targetILNS1_3genE0ELNS1_11target_archE4294967295ELNS1_3gpuE0ELNS1_3repE0EEENS1_30default_config_static_selectorELNS0_4arch9wavefront6targetE1EEEvT1_
; %bb.0:
	.section	.rodata,"a",@progbits
	.p2align	6, 0x0
	.amdhsa_kernel _ZN7rocprim17ROCPRIM_400000_NS6detail17trampoline_kernelINS0_14default_configENS1_20scan_config_selectorIxEEZZNS1_9scan_implILNS1_25lookback_scan_determinismE0ELb0ELb0ES3_N6thrust23THRUST_200600_302600_NS6detail15normal_iteratorINS9_10device_ptrIxEEEESE_x11max_functorIxExEEDaPvRmT3_T4_T5_mT6_P12ihipStream_tbENKUlT_T0_E_clISt17integral_constantIbLb0EESU_EEDaSP_SQ_EUlSP_E0_NS1_11comp_targetILNS1_3genE0ELNS1_11target_archE4294967295ELNS1_3gpuE0ELNS1_3repE0EEENS1_30default_config_static_selectorELNS0_4arch9wavefront6targetE1EEEvT1_
		.amdhsa_group_segment_fixed_size 0
		.amdhsa_private_segment_fixed_size 0
		.amdhsa_kernarg_size 40
		.amdhsa_user_sgpr_count 6
		.amdhsa_user_sgpr_private_segment_buffer 1
		.amdhsa_user_sgpr_dispatch_ptr 0
		.amdhsa_user_sgpr_queue_ptr 0
		.amdhsa_user_sgpr_kernarg_segment_ptr 1
		.amdhsa_user_sgpr_dispatch_id 0
		.amdhsa_user_sgpr_flat_scratch_init 0
		.amdhsa_user_sgpr_kernarg_preload_length 0
		.amdhsa_user_sgpr_kernarg_preload_offset 0
		.amdhsa_user_sgpr_private_segment_size 0
		.amdhsa_uses_dynamic_stack 0
		.amdhsa_system_sgpr_private_segment_wavefront_offset 0
		.amdhsa_system_sgpr_workgroup_id_x 1
		.amdhsa_system_sgpr_workgroup_id_y 0
		.amdhsa_system_sgpr_workgroup_id_z 0
		.amdhsa_system_sgpr_workgroup_info 0
		.amdhsa_system_vgpr_workitem_id 0
		.amdhsa_next_free_vgpr 1
		.amdhsa_next_free_sgpr 0
		.amdhsa_accum_offset 4
		.amdhsa_reserve_vcc 0
		.amdhsa_reserve_flat_scratch 0
		.amdhsa_float_round_mode_32 0
		.amdhsa_float_round_mode_16_64 0
		.amdhsa_float_denorm_mode_32 3
		.amdhsa_float_denorm_mode_16_64 3
		.amdhsa_dx10_clamp 1
		.amdhsa_ieee_mode 1
		.amdhsa_fp16_overflow 0
		.amdhsa_tg_split 0
		.amdhsa_exception_fp_ieee_invalid_op 0
		.amdhsa_exception_fp_denorm_src 0
		.amdhsa_exception_fp_ieee_div_zero 0
		.amdhsa_exception_fp_ieee_overflow 0
		.amdhsa_exception_fp_ieee_underflow 0
		.amdhsa_exception_fp_ieee_inexact 0
		.amdhsa_exception_int_div_zero 0
	.end_amdhsa_kernel
	.section	.text._ZN7rocprim17ROCPRIM_400000_NS6detail17trampoline_kernelINS0_14default_configENS1_20scan_config_selectorIxEEZZNS1_9scan_implILNS1_25lookback_scan_determinismE0ELb0ELb0ES3_N6thrust23THRUST_200600_302600_NS6detail15normal_iteratorINS9_10device_ptrIxEEEESE_x11max_functorIxExEEDaPvRmT3_T4_T5_mT6_P12ihipStream_tbENKUlT_T0_E_clISt17integral_constantIbLb0EESU_EEDaSP_SQ_EUlSP_E0_NS1_11comp_targetILNS1_3genE0ELNS1_11target_archE4294967295ELNS1_3gpuE0ELNS1_3repE0EEENS1_30default_config_static_selectorELNS0_4arch9wavefront6targetE1EEEvT1_,"axG",@progbits,_ZN7rocprim17ROCPRIM_400000_NS6detail17trampoline_kernelINS0_14default_configENS1_20scan_config_selectorIxEEZZNS1_9scan_implILNS1_25lookback_scan_determinismE0ELb0ELb0ES3_N6thrust23THRUST_200600_302600_NS6detail15normal_iteratorINS9_10device_ptrIxEEEESE_x11max_functorIxExEEDaPvRmT3_T4_T5_mT6_P12ihipStream_tbENKUlT_T0_E_clISt17integral_constantIbLb0EESU_EEDaSP_SQ_EUlSP_E0_NS1_11comp_targetILNS1_3genE0ELNS1_11target_archE4294967295ELNS1_3gpuE0ELNS1_3repE0EEENS1_30default_config_static_selectorELNS0_4arch9wavefront6targetE1EEEvT1_,comdat
.Lfunc_end2567:
	.size	_ZN7rocprim17ROCPRIM_400000_NS6detail17trampoline_kernelINS0_14default_configENS1_20scan_config_selectorIxEEZZNS1_9scan_implILNS1_25lookback_scan_determinismE0ELb0ELb0ES3_N6thrust23THRUST_200600_302600_NS6detail15normal_iteratorINS9_10device_ptrIxEEEESE_x11max_functorIxExEEDaPvRmT3_T4_T5_mT6_P12ihipStream_tbENKUlT_T0_E_clISt17integral_constantIbLb0EESU_EEDaSP_SQ_EUlSP_E0_NS1_11comp_targetILNS1_3genE0ELNS1_11target_archE4294967295ELNS1_3gpuE0ELNS1_3repE0EEENS1_30default_config_static_selectorELNS0_4arch9wavefront6targetE1EEEvT1_, .Lfunc_end2567-_ZN7rocprim17ROCPRIM_400000_NS6detail17trampoline_kernelINS0_14default_configENS1_20scan_config_selectorIxEEZZNS1_9scan_implILNS1_25lookback_scan_determinismE0ELb0ELb0ES3_N6thrust23THRUST_200600_302600_NS6detail15normal_iteratorINS9_10device_ptrIxEEEESE_x11max_functorIxExEEDaPvRmT3_T4_T5_mT6_P12ihipStream_tbENKUlT_T0_E_clISt17integral_constantIbLb0EESU_EEDaSP_SQ_EUlSP_E0_NS1_11comp_targetILNS1_3genE0ELNS1_11target_archE4294967295ELNS1_3gpuE0ELNS1_3repE0EEENS1_30default_config_static_selectorELNS0_4arch9wavefront6targetE1EEEvT1_
                                        ; -- End function
	.section	.AMDGPU.csdata,"",@progbits
; Kernel info:
; codeLenInByte = 0
; NumSgprs: 4
; NumVgprs: 0
; NumAgprs: 0
; TotalNumVgprs: 0
; ScratchSize: 0
; MemoryBound: 0
; FloatMode: 240
; IeeeMode: 1
; LDSByteSize: 0 bytes/workgroup (compile time only)
; SGPRBlocks: 0
; VGPRBlocks: 0
; NumSGPRsForWavesPerEU: 4
; NumVGPRsForWavesPerEU: 1
; AccumOffset: 4
; Occupancy: 8
; WaveLimiterHint : 0
; COMPUTE_PGM_RSRC2:SCRATCH_EN: 0
; COMPUTE_PGM_RSRC2:USER_SGPR: 6
; COMPUTE_PGM_RSRC2:TRAP_HANDLER: 0
; COMPUTE_PGM_RSRC2:TGID_X_EN: 1
; COMPUTE_PGM_RSRC2:TGID_Y_EN: 0
; COMPUTE_PGM_RSRC2:TGID_Z_EN: 0
; COMPUTE_PGM_RSRC2:TIDIG_COMP_CNT: 0
; COMPUTE_PGM_RSRC3_GFX90A:ACCUM_OFFSET: 0
; COMPUTE_PGM_RSRC3_GFX90A:TG_SPLIT: 0
	.section	.text._ZN7rocprim17ROCPRIM_400000_NS6detail17trampoline_kernelINS0_14default_configENS1_20scan_config_selectorIxEEZZNS1_9scan_implILNS1_25lookback_scan_determinismE0ELb0ELb0ES3_N6thrust23THRUST_200600_302600_NS6detail15normal_iteratorINS9_10device_ptrIxEEEESE_x11max_functorIxExEEDaPvRmT3_T4_T5_mT6_P12ihipStream_tbENKUlT_T0_E_clISt17integral_constantIbLb0EESU_EEDaSP_SQ_EUlSP_E0_NS1_11comp_targetILNS1_3genE5ELNS1_11target_archE942ELNS1_3gpuE9ELNS1_3repE0EEENS1_30default_config_static_selectorELNS0_4arch9wavefront6targetE1EEEvT1_,"axG",@progbits,_ZN7rocprim17ROCPRIM_400000_NS6detail17trampoline_kernelINS0_14default_configENS1_20scan_config_selectorIxEEZZNS1_9scan_implILNS1_25lookback_scan_determinismE0ELb0ELb0ES3_N6thrust23THRUST_200600_302600_NS6detail15normal_iteratorINS9_10device_ptrIxEEEESE_x11max_functorIxExEEDaPvRmT3_T4_T5_mT6_P12ihipStream_tbENKUlT_T0_E_clISt17integral_constantIbLb0EESU_EEDaSP_SQ_EUlSP_E0_NS1_11comp_targetILNS1_3genE5ELNS1_11target_archE942ELNS1_3gpuE9ELNS1_3repE0EEENS1_30default_config_static_selectorELNS0_4arch9wavefront6targetE1EEEvT1_,comdat
	.protected	_ZN7rocprim17ROCPRIM_400000_NS6detail17trampoline_kernelINS0_14default_configENS1_20scan_config_selectorIxEEZZNS1_9scan_implILNS1_25lookback_scan_determinismE0ELb0ELb0ES3_N6thrust23THRUST_200600_302600_NS6detail15normal_iteratorINS9_10device_ptrIxEEEESE_x11max_functorIxExEEDaPvRmT3_T4_T5_mT6_P12ihipStream_tbENKUlT_T0_E_clISt17integral_constantIbLb0EESU_EEDaSP_SQ_EUlSP_E0_NS1_11comp_targetILNS1_3genE5ELNS1_11target_archE942ELNS1_3gpuE9ELNS1_3repE0EEENS1_30default_config_static_selectorELNS0_4arch9wavefront6targetE1EEEvT1_ ; -- Begin function _ZN7rocprim17ROCPRIM_400000_NS6detail17trampoline_kernelINS0_14default_configENS1_20scan_config_selectorIxEEZZNS1_9scan_implILNS1_25lookback_scan_determinismE0ELb0ELb0ES3_N6thrust23THRUST_200600_302600_NS6detail15normal_iteratorINS9_10device_ptrIxEEEESE_x11max_functorIxExEEDaPvRmT3_T4_T5_mT6_P12ihipStream_tbENKUlT_T0_E_clISt17integral_constantIbLb0EESU_EEDaSP_SQ_EUlSP_E0_NS1_11comp_targetILNS1_3genE5ELNS1_11target_archE942ELNS1_3gpuE9ELNS1_3repE0EEENS1_30default_config_static_selectorELNS0_4arch9wavefront6targetE1EEEvT1_
	.globl	_ZN7rocprim17ROCPRIM_400000_NS6detail17trampoline_kernelINS0_14default_configENS1_20scan_config_selectorIxEEZZNS1_9scan_implILNS1_25lookback_scan_determinismE0ELb0ELb0ES3_N6thrust23THRUST_200600_302600_NS6detail15normal_iteratorINS9_10device_ptrIxEEEESE_x11max_functorIxExEEDaPvRmT3_T4_T5_mT6_P12ihipStream_tbENKUlT_T0_E_clISt17integral_constantIbLb0EESU_EEDaSP_SQ_EUlSP_E0_NS1_11comp_targetILNS1_3genE5ELNS1_11target_archE942ELNS1_3gpuE9ELNS1_3repE0EEENS1_30default_config_static_selectorELNS0_4arch9wavefront6targetE1EEEvT1_
	.p2align	8
	.type	_ZN7rocprim17ROCPRIM_400000_NS6detail17trampoline_kernelINS0_14default_configENS1_20scan_config_selectorIxEEZZNS1_9scan_implILNS1_25lookback_scan_determinismE0ELb0ELb0ES3_N6thrust23THRUST_200600_302600_NS6detail15normal_iteratorINS9_10device_ptrIxEEEESE_x11max_functorIxExEEDaPvRmT3_T4_T5_mT6_P12ihipStream_tbENKUlT_T0_E_clISt17integral_constantIbLb0EESU_EEDaSP_SQ_EUlSP_E0_NS1_11comp_targetILNS1_3genE5ELNS1_11target_archE942ELNS1_3gpuE9ELNS1_3repE0EEENS1_30default_config_static_selectorELNS0_4arch9wavefront6targetE1EEEvT1_,@function
_ZN7rocprim17ROCPRIM_400000_NS6detail17trampoline_kernelINS0_14default_configENS1_20scan_config_selectorIxEEZZNS1_9scan_implILNS1_25lookback_scan_determinismE0ELb0ELb0ES3_N6thrust23THRUST_200600_302600_NS6detail15normal_iteratorINS9_10device_ptrIxEEEESE_x11max_functorIxExEEDaPvRmT3_T4_T5_mT6_P12ihipStream_tbENKUlT_T0_E_clISt17integral_constantIbLb0EESU_EEDaSP_SQ_EUlSP_E0_NS1_11comp_targetILNS1_3genE5ELNS1_11target_archE942ELNS1_3gpuE9ELNS1_3repE0EEENS1_30default_config_static_selectorELNS0_4arch9wavefront6targetE1EEEvT1_: ; @_ZN7rocprim17ROCPRIM_400000_NS6detail17trampoline_kernelINS0_14default_configENS1_20scan_config_selectorIxEEZZNS1_9scan_implILNS1_25lookback_scan_determinismE0ELb0ELb0ES3_N6thrust23THRUST_200600_302600_NS6detail15normal_iteratorINS9_10device_ptrIxEEEESE_x11max_functorIxExEEDaPvRmT3_T4_T5_mT6_P12ihipStream_tbENKUlT_T0_E_clISt17integral_constantIbLb0EESU_EEDaSP_SQ_EUlSP_E0_NS1_11comp_targetILNS1_3genE5ELNS1_11target_archE942ELNS1_3gpuE9ELNS1_3repE0EEENS1_30default_config_static_selectorELNS0_4arch9wavefront6targetE1EEEvT1_
; %bb.0:
	.section	.rodata,"a",@progbits
	.p2align	6, 0x0
	.amdhsa_kernel _ZN7rocprim17ROCPRIM_400000_NS6detail17trampoline_kernelINS0_14default_configENS1_20scan_config_selectorIxEEZZNS1_9scan_implILNS1_25lookback_scan_determinismE0ELb0ELb0ES3_N6thrust23THRUST_200600_302600_NS6detail15normal_iteratorINS9_10device_ptrIxEEEESE_x11max_functorIxExEEDaPvRmT3_T4_T5_mT6_P12ihipStream_tbENKUlT_T0_E_clISt17integral_constantIbLb0EESU_EEDaSP_SQ_EUlSP_E0_NS1_11comp_targetILNS1_3genE5ELNS1_11target_archE942ELNS1_3gpuE9ELNS1_3repE0EEENS1_30default_config_static_selectorELNS0_4arch9wavefront6targetE1EEEvT1_
		.amdhsa_group_segment_fixed_size 0
		.amdhsa_private_segment_fixed_size 0
		.amdhsa_kernarg_size 40
		.amdhsa_user_sgpr_count 6
		.amdhsa_user_sgpr_private_segment_buffer 1
		.amdhsa_user_sgpr_dispatch_ptr 0
		.amdhsa_user_sgpr_queue_ptr 0
		.amdhsa_user_sgpr_kernarg_segment_ptr 1
		.amdhsa_user_sgpr_dispatch_id 0
		.amdhsa_user_sgpr_flat_scratch_init 0
		.amdhsa_user_sgpr_kernarg_preload_length 0
		.amdhsa_user_sgpr_kernarg_preload_offset 0
		.amdhsa_user_sgpr_private_segment_size 0
		.amdhsa_uses_dynamic_stack 0
		.amdhsa_system_sgpr_private_segment_wavefront_offset 0
		.amdhsa_system_sgpr_workgroup_id_x 1
		.amdhsa_system_sgpr_workgroup_id_y 0
		.amdhsa_system_sgpr_workgroup_id_z 0
		.amdhsa_system_sgpr_workgroup_info 0
		.amdhsa_system_vgpr_workitem_id 0
		.amdhsa_next_free_vgpr 1
		.amdhsa_next_free_sgpr 0
		.amdhsa_accum_offset 4
		.amdhsa_reserve_vcc 0
		.amdhsa_reserve_flat_scratch 0
		.amdhsa_float_round_mode_32 0
		.amdhsa_float_round_mode_16_64 0
		.amdhsa_float_denorm_mode_32 3
		.amdhsa_float_denorm_mode_16_64 3
		.amdhsa_dx10_clamp 1
		.amdhsa_ieee_mode 1
		.amdhsa_fp16_overflow 0
		.amdhsa_tg_split 0
		.amdhsa_exception_fp_ieee_invalid_op 0
		.amdhsa_exception_fp_denorm_src 0
		.amdhsa_exception_fp_ieee_div_zero 0
		.amdhsa_exception_fp_ieee_overflow 0
		.amdhsa_exception_fp_ieee_underflow 0
		.amdhsa_exception_fp_ieee_inexact 0
		.amdhsa_exception_int_div_zero 0
	.end_amdhsa_kernel
	.section	.text._ZN7rocprim17ROCPRIM_400000_NS6detail17trampoline_kernelINS0_14default_configENS1_20scan_config_selectorIxEEZZNS1_9scan_implILNS1_25lookback_scan_determinismE0ELb0ELb0ES3_N6thrust23THRUST_200600_302600_NS6detail15normal_iteratorINS9_10device_ptrIxEEEESE_x11max_functorIxExEEDaPvRmT3_T4_T5_mT6_P12ihipStream_tbENKUlT_T0_E_clISt17integral_constantIbLb0EESU_EEDaSP_SQ_EUlSP_E0_NS1_11comp_targetILNS1_3genE5ELNS1_11target_archE942ELNS1_3gpuE9ELNS1_3repE0EEENS1_30default_config_static_selectorELNS0_4arch9wavefront6targetE1EEEvT1_,"axG",@progbits,_ZN7rocprim17ROCPRIM_400000_NS6detail17trampoline_kernelINS0_14default_configENS1_20scan_config_selectorIxEEZZNS1_9scan_implILNS1_25lookback_scan_determinismE0ELb0ELb0ES3_N6thrust23THRUST_200600_302600_NS6detail15normal_iteratorINS9_10device_ptrIxEEEESE_x11max_functorIxExEEDaPvRmT3_T4_T5_mT6_P12ihipStream_tbENKUlT_T0_E_clISt17integral_constantIbLb0EESU_EEDaSP_SQ_EUlSP_E0_NS1_11comp_targetILNS1_3genE5ELNS1_11target_archE942ELNS1_3gpuE9ELNS1_3repE0EEENS1_30default_config_static_selectorELNS0_4arch9wavefront6targetE1EEEvT1_,comdat
.Lfunc_end2568:
	.size	_ZN7rocprim17ROCPRIM_400000_NS6detail17trampoline_kernelINS0_14default_configENS1_20scan_config_selectorIxEEZZNS1_9scan_implILNS1_25lookback_scan_determinismE0ELb0ELb0ES3_N6thrust23THRUST_200600_302600_NS6detail15normal_iteratorINS9_10device_ptrIxEEEESE_x11max_functorIxExEEDaPvRmT3_T4_T5_mT6_P12ihipStream_tbENKUlT_T0_E_clISt17integral_constantIbLb0EESU_EEDaSP_SQ_EUlSP_E0_NS1_11comp_targetILNS1_3genE5ELNS1_11target_archE942ELNS1_3gpuE9ELNS1_3repE0EEENS1_30default_config_static_selectorELNS0_4arch9wavefront6targetE1EEEvT1_, .Lfunc_end2568-_ZN7rocprim17ROCPRIM_400000_NS6detail17trampoline_kernelINS0_14default_configENS1_20scan_config_selectorIxEEZZNS1_9scan_implILNS1_25lookback_scan_determinismE0ELb0ELb0ES3_N6thrust23THRUST_200600_302600_NS6detail15normal_iteratorINS9_10device_ptrIxEEEESE_x11max_functorIxExEEDaPvRmT3_T4_T5_mT6_P12ihipStream_tbENKUlT_T0_E_clISt17integral_constantIbLb0EESU_EEDaSP_SQ_EUlSP_E0_NS1_11comp_targetILNS1_3genE5ELNS1_11target_archE942ELNS1_3gpuE9ELNS1_3repE0EEENS1_30default_config_static_selectorELNS0_4arch9wavefront6targetE1EEEvT1_
                                        ; -- End function
	.section	.AMDGPU.csdata,"",@progbits
; Kernel info:
; codeLenInByte = 0
; NumSgprs: 4
; NumVgprs: 0
; NumAgprs: 0
; TotalNumVgprs: 0
; ScratchSize: 0
; MemoryBound: 0
; FloatMode: 240
; IeeeMode: 1
; LDSByteSize: 0 bytes/workgroup (compile time only)
; SGPRBlocks: 0
; VGPRBlocks: 0
; NumSGPRsForWavesPerEU: 4
; NumVGPRsForWavesPerEU: 1
; AccumOffset: 4
; Occupancy: 8
; WaveLimiterHint : 0
; COMPUTE_PGM_RSRC2:SCRATCH_EN: 0
; COMPUTE_PGM_RSRC2:USER_SGPR: 6
; COMPUTE_PGM_RSRC2:TRAP_HANDLER: 0
; COMPUTE_PGM_RSRC2:TGID_X_EN: 1
; COMPUTE_PGM_RSRC2:TGID_Y_EN: 0
; COMPUTE_PGM_RSRC2:TGID_Z_EN: 0
; COMPUTE_PGM_RSRC2:TIDIG_COMP_CNT: 0
; COMPUTE_PGM_RSRC3_GFX90A:ACCUM_OFFSET: 0
; COMPUTE_PGM_RSRC3_GFX90A:TG_SPLIT: 0
	.section	.text._ZN7rocprim17ROCPRIM_400000_NS6detail17trampoline_kernelINS0_14default_configENS1_20scan_config_selectorIxEEZZNS1_9scan_implILNS1_25lookback_scan_determinismE0ELb0ELb0ES3_N6thrust23THRUST_200600_302600_NS6detail15normal_iteratorINS9_10device_ptrIxEEEESE_x11max_functorIxExEEDaPvRmT3_T4_T5_mT6_P12ihipStream_tbENKUlT_T0_E_clISt17integral_constantIbLb0EESU_EEDaSP_SQ_EUlSP_E0_NS1_11comp_targetILNS1_3genE4ELNS1_11target_archE910ELNS1_3gpuE8ELNS1_3repE0EEENS1_30default_config_static_selectorELNS0_4arch9wavefront6targetE1EEEvT1_,"axG",@progbits,_ZN7rocprim17ROCPRIM_400000_NS6detail17trampoline_kernelINS0_14default_configENS1_20scan_config_selectorIxEEZZNS1_9scan_implILNS1_25lookback_scan_determinismE0ELb0ELb0ES3_N6thrust23THRUST_200600_302600_NS6detail15normal_iteratorINS9_10device_ptrIxEEEESE_x11max_functorIxExEEDaPvRmT3_T4_T5_mT6_P12ihipStream_tbENKUlT_T0_E_clISt17integral_constantIbLb0EESU_EEDaSP_SQ_EUlSP_E0_NS1_11comp_targetILNS1_3genE4ELNS1_11target_archE910ELNS1_3gpuE8ELNS1_3repE0EEENS1_30default_config_static_selectorELNS0_4arch9wavefront6targetE1EEEvT1_,comdat
	.protected	_ZN7rocprim17ROCPRIM_400000_NS6detail17trampoline_kernelINS0_14default_configENS1_20scan_config_selectorIxEEZZNS1_9scan_implILNS1_25lookback_scan_determinismE0ELb0ELb0ES3_N6thrust23THRUST_200600_302600_NS6detail15normal_iteratorINS9_10device_ptrIxEEEESE_x11max_functorIxExEEDaPvRmT3_T4_T5_mT6_P12ihipStream_tbENKUlT_T0_E_clISt17integral_constantIbLb0EESU_EEDaSP_SQ_EUlSP_E0_NS1_11comp_targetILNS1_3genE4ELNS1_11target_archE910ELNS1_3gpuE8ELNS1_3repE0EEENS1_30default_config_static_selectorELNS0_4arch9wavefront6targetE1EEEvT1_ ; -- Begin function _ZN7rocprim17ROCPRIM_400000_NS6detail17trampoline_kernelINS0_14default_configENS1_20scan_config_selectorIxEEZZNS1_9scan_implILNS1_25lookback_scan_determinismE0ELb0ELb0ES3_N6thrust23THRUST_200600_302600_NS6detail15normal_iteratorINS9_10device_ptrIxEEEESE_x11max_functorIxExEEDaPvRmT3_T4_T5_mT6_P12ihipStream_tbENKUlT_T0_E_clISt17integral_constantIbLb0EESU_EEDaSP_SQ_EUlSP_E0_NS1_11comp_targetILNS1_3genE4ELNS1_11target_archE910ELNS1_3gpuE8ELNS1_3repE0EEENS1_30default_config_static_selectorELNS0_4arch9wavefront6targetE1EEEvT1_
	.globl	_ZN7rocprim17ROCPRIM_400000_NS6detail17trampoline_kernelINS0_14default_configENS1_20scan_config_selectorIxEEZZNS1_9scan_implILNS1_25lookback_scan_determinismE0ELb0ELb0ES3_N6thrust23THRUST_200600_302600_NS6detail15normal_iteratorINS9_10device_ptrIxEEEESE_x11max_functorIxExEEDaPvRmT3_T4_T5_mT6_P12ihipStream_tbENKUlT_T0_E_clISt17integral_constantIbLb0EESU_EEDaSP_SQ_EUlSP_E0_NS1_11comp_targetILNS1_3genE4ELNS1_11target_archE910ELNS1_3gpuE8ELNS1_3repE0EEENS1_30default_config_static_selectorELNS0_4arch9wavefront6targetE1EEEvT1_
	.p2align	8
	.type	_ZN7rocprim17ROCPRIM_400000_NS6detail17trampoline_kernelINS0_14default_configENS1_20scan_config_selectorIxEEZZNS1_9scan_implILNS1_25lookback_scan_determinismE0ELb0ELb0ES3_N6thrust23THRUST_200600_302600_NS6detail15normal_iteratorINS9_10device_ptrIxEEEESE_x11max_functorIxExEEDaPvRmT3_T4_T5_mT6_P12ihipStream_tbENKUlT_T0_E_clISt17integral_constantIbLb0EESU_EEDaSP_SQ_EUlSP_E0_NS1_11comp_targetILNS1_3genE4ELNS1_11target_archE910ELNS1_3gpuE8ELNS1_3repE0EEENS1_30default_config_static_selectorELNS0_4arch9wavefront6targetE1EEEvT1_,@function
_ZN7rocprim17ROCPRIM_400000_NS6detail17trampoline_kernelINS0_14default_configENS1_20scan_config_selectorIxEEZZNS1_9scan_implILNS1_25lookback_scan_determinismE0ELb0ELb0ES3_N6thrust23THRUST_200600_302600_NS6detail15normal_iteratorINS9_10device_ptrIxEEEESE_x11max_functorIxExEEDaPvRmT3_T4_T5_mT6_P12ihipStream_tbENKUlT_T0_E_clISt17integral_constantIbLb0EESU_EEDaSP_SQ_EUlSP_E0_NS1_11comp_targetILNS1_3genE4ELNS1_11target_archE910ELNS1_3gpuE8ELNS1_3repE0EEENS1_30default_config_static_selectorELNS0_4arch9wavefront6targetE1EEEvT1_: ; @_ZN7rocprim17ROCPRIM_400000_NS6detail17trampoline_kernelINS0_14default_configENS1_20scan_config_selectorIxEEZZNS1_9scan_implILNS1_25lookback_scan_determinismE0ELb0ELb0ES3_N6thrust23THRUST_200600_302600_NS6detail15normal_iteratorINS9_10device_ptrIxEEEESE_x11max_functorIxExEEDaPvRmT3_T4_T5_mT6_P12ihipStream_tbENKUlT_T0_E_clISt17integral_constantIbLb0EESU_EEDaSP_SQ_EUlSP_E0_NS1_11comp_targetILNS1_3genE4ELNS1_11target_archE910ELNS1_3gpuE8ELNS1_3repE0EEENS1_30default_config_static_selectorELNS0_4arch9wavefront6targetE1EEEvT1_
; %bb.0:
	s_load_dwordx4 s[16:19], s[4:5], 0x0
	v_lshlrev_b32_e32 v36, 3, v0
	s_waitcnt lgkmcnt(0)
	s_load_dwordx2 s[14:15], s[16:17], 0x0
	v_cmp_gt_u32_e32 vcc, s18, v0
	s_waitcnt lgkmcnt(0)
	v_pk_mov_b32 v[2:3], s[14:15], s[14:15] op_sel:[0,1]
	s_and_saveexec_b64 s[0:1], vcc
	s_cbranch_execz .LBB2569_2
; %bb.1:
	global_load_dwordx2 v[2:3], v36, s[16:17]
.LBB2569_2:
	s_or_b64 exec, exec, s[0:1]
	v_or_b32_e32 v1, 0x80, v0
	v_cmp_gt_u32_e64 s[0:1], s18, v1
	v_pk_mov_b32 v[4:5], s[14:15], s[14:15] op_sel:[0,1]
	s_and_saveexec_b64 s[2:3], s[0:1]
	s_cbranch_execz .LBB2569_4
; %bb.3:
	global_load_dwordx2 v[4:5], v36, s[16:17] offset:1024
.LBB2569_4:
	s_or_b64 exec, exec, s[2:3]
	v_or_b32_e32 v1, 0x100, v0
	v_cmp_gt_u32_e64 s[2:3], s18, v1
	v_pk_mov_b32 v[6:7], s[14:15], s[14:15] op_sel:[0,1]
	s_and_saveexec_b64 s[6:7], s[2:3]
	s_cbranch_execz .LBB2569_6
; %bb.5:
	global_load_dwordx2 v[6:7], v36, s[16:17] offset:2048
.LBB2569_6:
	;; [unrolled: 9-line block ×3, first 2 shown]
	s_or_b64 exec, exec, s[6:7]
	v_or_b32_e32 v1, 0x200, v0
	v_cmp_gt_u32_e64 s[6:7], s18, v1
	v_pk_mov_b32 v[10:11], s[14:15], s[14:15] op_sel:[0,1]
	s_and_saveexec_b64 s[8:9], s[6:7]
	s_cbranch_execz .LBB2569_10
; %bb.9:
	v_lshlrev_b32_e32 v1, 3, v1
	global_load_dwordx2 v[10:11], v1, s[16:17]
.LBB2569_10:
	s_or_b64 exec, exec, s[8:9]
	v_or_b32_e32 v1, 0x280, v0
	v_cmp_gt_u32_e64 s[8:9], s18, v1
	v_pk_mov_b32 v[12:13], s[14:15], s[14:15] op_sel:[0,1]
	s_and_saveexec_b64 s[10:11], s[8:9]
	s_cbranch_execz .LBB2569_12
; %bb.11:
	v_lshlrev_b32_e32 v1, 3, v1
	global_load_dwordx2 v[12:13], v1, s[16:17]
.LBB2569_12:
	;; [unrolled: 10-line block ×3, first 2 shown]
	s_or_b64 exec, exec, s[14:15]
	v_mad_u32_u24 v1, v0, 48, v36
	s_waitcnt vmcnt(0)
	ds_write2st64_b64 v36, v[2:3], v[4:5] offset1:2
	ds_write2st64_b64 v36, v[6:7], v[8:9] offset0:4 offset1:6
	ds_write2st64_b64 v36, v[10:11], v[12:13] offset0:8 offset1:10
	ds_write_b64 v36, v[14:15] offset:6144
	s_waitcnt lgkmcnt(0)
	s_barrier
	ds_read2_b64 v[2:5], v1 offset1:1
	ds_read2_b64 v[10:13], v1 offset0:2 offset1:3
	ds_read2_b64 v[6:9], v1 offset0:4 offset1:5
	ds_read_b64 v[26:27], v1 offset:48
	s_load_dwordx2 s[16:17], s[4:5], 0x20
	s_waitcnt lgkmcnt(0)
	v_cmp_gt_i64_e64 s[4:5], v[2:3], v[4:5]
	v_cndmask_b32_e64 v19, v5, v3, s[4:5]
	v_cndmask_b32_e64 v18, v4, v2, s[4:5]
	v_cmp_gt_i64_e64 s[4:5], v[18:19], v[10:11]
	v_cndmask_b32_e64 v21, v11, v19, s[4:5]
	v_cndmask_b32_e64 v20, v10, v18, s[4:5]
	;; [unrolled: 3-line block ×5, first 2 shown]
	v_lshrrev_b32_e32 v14, 2, v0
	v_cmp_gt_i64_e64 s[4:5], v[28:29], v[26:27]
	v_and_b32_e32 v14, 24, v14
	v_cndmask_b32_e64 v31, v27, v29, s[4:5]
	v_cndmask_b32_e64 v30, v26, v28, s[4:5]
	v_add_u32_e32 v14, v36, v14
	v_cmp_gt_u32_e64 s[4:5], 64, v0
	s_barrier
	ds_write_b64 v14, v[30:31]
	s_waitcnt lgkmcnt(0)
	s_barrier
	s_and_saveexec_b64 s[18:19], s[4:5]
	s_cbranch_execz .LBB2569_18
; %bb.15:
	v_lshlrev_b32_e32 v14, 1, v0
	v_lshrrev_b32_e32 v15, 4, v0
	v_add_lshl_u32 v37, v15, v14, 3
	ds_read2_b64 v[14:17], v37 offset1:1
	v_mbcnt_lo_u32_b32 v32, -1, 0
	v_mbcnt_hi_u32_b32 v38, -1, v32
	v_and_b32_e32 v39, 15, v38
	v_and_b32_e32 v41, 16, v38
	s_waitcnt lgkmcnt(0)
	v_cmp_gt_i64_e64 s[4:5], v[14:15], v[16:17]
	v_cndmask_b32_e64 v17, v17, v15, s[4:5]
	v_cndmask_b32_e64 v16, v16, v14, s[4:5]
	v_cmp_ne_u32_e64 s[14:15], 0, v38
	v_mov_b32_dpp v33, v17 row_shr:1 row_mask:0xf bank_mask:0xf
	v_mov_b32_dpp v32, v16 row_shr:1 row_mask:0xf bank_mask:0xf
	v_cmp_gt_i64_e64 s[4:5], v[32:33], v[16:17]
	v_cndmask_b32_e64 v32, v16, v32, s[4:5]
	v_cndmask_b32_e64 v33, v17, v33, s[4:5]
	v_cmp_eq_u32_e64 s[4:5], 0, v39
	v_cndmask_b32_e64 v33, v33, v17, s[4:5]
	v_cndmask_b32_e64 v32, v32, v16, s[4:5]
	s_nop 0
	v_mov_b32_dpp v35, v33 row_shr:2 row_mask:0xf bank_mask:0xf
	v_mov_b32_dpp v34, v32 row_shr:2 row_mask:0xf bank_mask:0xf
	v_cmp_gt_i64_e64 s[4:5], v[34:35], v[32:33]
	v_cndmask_b32_e64 v34, v32, v34, s[4:5]
	v_cndmask_b32_e64 v35, v33, v35, s[4:5]
	v_cmp_lt_u32_e64 s[4:5], 1, v39
	v_cndmask_b32_e64 v33, v33, v35, s[4:5]
	v_cndmask_b32_e64 v32, v32, v34, s[4:5]
	s_nop 0
	v_mov_b32_dpp v35, v33 row_shr:4 row_mask:0xf bank_mask:0xf
	v_mov_b32_dpp v34, v32 row_shr:4 row_mask:0xf bank_mask:0xf
	v_cmp_gt_i64_e64 s[4:5], v[34:35], v[32:33]
	v_cndmask_b32_e64 v34, v32, v34, s[4:5]
	v_cndmask_b32_e64 v35, v33, v35, s[4:5]
	v_cmp_lt_u32_e64 s[4:5], 3, v39
	;; [unrolled: 9-line block ×3, first 2 shown]
	v_cndmask_b32_e64 v33, v33, v35, s[4:5]
	v_cndmask_b32_e64 v32, v32, v34, s[4:5]
	s_nop 0
	v_mov_b32_dpp v35, v33 row_bcast:15 row_mask:0xf bank_mask:0xf
	v_mov_b32_dpp v34, v32 row_bcast:15 row_mask:0xf bank_mask:0xf
	v_cmp_gt_i64_e64 s[4:5], v[34:35], v[32:33]
	v_cndmask_b32_e64 v39, v33, v35, s[4:5]
	v_cndmask_b32_e64 v40, v32, v34, s[4:5]
	v_cmp_eq_u32_e64 s[4:5], 0, v41
	v_cndmask_b32_e64 v35, v39, v33, s[4:5]
	v_cndmask_b32_e64 v34, v40, v32, s[4:5]
	s_nop 0
	v_mov_b32_dpp v35, v35 row_bcast:31 row_mask:0xf bank_mask:0xf
	v_mov_b32_dpp v34, v34 row_bcast:31 row_mask:0xf bank_mask:0xf
	s_and_saveexec_b64 s[20:21], s[14:15]
; %bb.16:
	v_cndmask_b32_e64 v17, v39, v33, s[4:5]
	v_cndmask_b32_e64 v16, v40, v32, s[4:5]
	v_cmp_lt_u32_e64 s[14:15], 31, v38
	v_cmp_gt_i64_e64 s[4:5], v[34:35], v[16:17]
	s_and_b64 s[4:5], s[14:15], s[4:5]
	v_cndmask_b32_e64 v16, v16, v34, s[4:5]
	v_cndmask_b32_e64 v17, v17, v35, s[4:5]
; %bb.17:
	s_or_b64 exec, exec, s[20:21]
	v_add_u32_e32 v32, -1, v38
	v_and_b32_e32 v33, 64, v38
	v_cmp_lt_i32_e64 s[4:5], v32, v33
	v_cndmask_b32_e64 v32, v32, v38, s[4:5]
	v_lshlrev_b32_e32 v32, 2, v32
	ds_bpermute_b32 v16, v32, v16
	ds_bpermute_b32 v17, v32, v17
	; wave barrier
	s_waitcnt lgkmcnt(0)
	v_cmp_gt_i64_e64 s[4:5], v[16:17], v[14:15]
	v_cndmask_b32_e64 v14, v14, v16, s[4:5]
	v_cndmask_b32_e64 v15, v15, v17, s[4:5]
	v_cmp_eq_u32_e64 s[4:5], 0, v0
	v_cndmask_b32_e64 v15, v15, v31, s[4:5]
	v_cndmask_b32_e64 v14, v14, v30, s[4:5]
	ds_write_b64 v37, v[14:15]
	; wave barrier
	ds_read_b64 v[16:17], v37 offset:8
	s_waitcnt lgkmcnt(0)
	v_cmp_gt_i64_e64 s[4:5], v[14:15], v[16:17]
	v_cndmask_b32_e64 v15, v17, v15, s[4:5]
	v_cndmask_b32_e64 v14, v16, v14, s[4:5]
	ds_write_b64 v37, v[14:15] offset:8
.LBB2569_18:
	s_or_b64 exec, exec, s[18:19]
	v_cmp_ne_u32_e64 s[4:5], 0, v0
	v_pk_mov_b32 v[14:15], v[30:31], v[30:31] op_sel:[0,1]
	s_waitcnt lgkmcnt(0)
	s_barrier
	s_and_saveexec_b64 s[14:15], s[4:5]
	s_cbranch_execz .LBB2569_20
; %bb.19:
	v_add_u32_e32 v14, -1, v0
	v_lshrrev_b32_e32 v15, 5, v14
	v_add_lshl_u32 v14, v15, v14, 3
	ds_read_b64 v[14:15], v14
.LBB2569_20:
	s_or_b64 exec, exec, s[14:15]
	s_and_saveexec_b64 s[14:15], s[4:5]
	s_cbranch_execz .LBB2569_22
; %bb.21:
	s_waitcnt lgkmcnt(0)
	v_cmp_gt_i64_e64 s[4:5], v[14:15], v[2:3]
	v_cndmask_b32_e64 v3, v3, v15, s[4:5]
	v_cndmask_b32_e64 v2, v2, v14, s[4:5]
	v_cmp_gt_i64_e64 s[4:5], v[2:3], v[4:5]
	v_cndmask_b32_e64 v19, v5, v3, s[4:5]
	v_cndmask_b32_e64 v18, v4, v2, s[4:5]
	;; [unrolled: 3-line block ×7, first 2 shown]
	;;#ASMSTART
	;;#ASMEND
.LBB2569_22:
	s_or_b64 exec, exec, s[14:15]
	s_movk_i32 s4, 0xffd0
	v_mad_i32_i24 v0, v0, s4, v1
	s_waitcnt lgkmcnt(0)
	s_barrier
	ds_write2_b64 v1, v[2:3], v[18:19] offset1:1
	ds_write2_b64 v1, v[20:21], v[22:23] offset0:2 offset1:3
	ds_write2_b64 v1, v[24:25], v[28:29] offset0:4 offset1:5
	ds_write_b64 v1, v[30:31] offset:48
	s_waitcnt lgkmcnt(0)
	s_barrier
	ds_read2st64_b64 v[8:11], v0 offset0:2 offset1:4
	ds_read2st64_b64 v[4:7], v0 offset0:6 offset1:8
	;; [unrolled: 1-line block ×3, first 2 shown]
	v_mov_b32_e32 v13, s17
	v_add_co_u32_e64 v12, s[4:5], s16, v36
	v_addc_co_u32_e64 v13, s[4:5], 0, v13, s[4:5]
	s_and_saveexec_b64 s[4:5], vcc
	s_cbranch_execnz .LBB2569_30
; %bb.23:
	s_or_b64 exec, exec, s[4:5]
	s_and_saveexec_b64 s[4:5], s[0:1]
	s_cbranch_execnz .LBB2569_31
.LBB2569_24:
	s_or_b64 exec, exec, s[4:5]
	s_and_saveexec_b64 s[0:1], s[2:3]
	s_cbranch_execnz .LBB2569_32
.LBB2569_25:
	s_or_b64 exec, exec, s[0:1]
	s_and_saveexec_b64 s[0:1], s[12:13]
	s_cbranch_execnz .LBB2569_33
.LBB2569_26:
	s_or_b64 exec, exec, s[0:1]
	s_and_saveexec_b64 s[0:1], s[6:7]
	s_cbranch_execnz .LBB2569_34
.LBB2569_27:
	s_or_b64 exec, exec, s[0:1]
	s_and_saveexec_b64 s[0:1], s[8:9]
	s_cbranch_execnz .LBB2569_35
.LBB2569_28:
	s_or_b64 exec, exec, s[0:1]
	s_and_saveexec_b64 s[0:1], s[10:11]
	s_cbranch_execnz .LBB2569_36
.LBB2569_29:
	s_endpgm
.LBB2569_30:
	ds_read_b64 v[14:15], v36
	s_waitcnt lgkmcnt(0)
	global_store_dwordx2 v[12:13], v[14:15], off
	s_or_b64 exec, exec, s[4:5]
	s_and_saveexec_b64 s[4:5], s[0:1]
	s_cbranch_execz .LBB2569_24
.LBB2569_31:
	s_waitcnt lgkmcnt(2)
	global_store_dwordx2 v[12:13], v[8:9], off offset:1024
	s_or_b64 exec, exec, s[4:5]
	s_and_saveexec_b64 s[0:1], s[2:3]
	s_cbranch_execz .LBB2569_25
.LBB2569_32:
	s_waitcnt lgkmcnt(2)
	global_store_dwordx2 v[12:13], v[10:11], off offset:2048
	s_or_b64 exec, exec, s[0:1]
	s_and_saveexec_b64 s[0:1], s[12:13]
	s_cbranch_execz .LBB2569_26
.LBB2569_33:
	s_waitcnt lgkmcnt(1)
	global_store_dwordx2 v[12:13], v[4:5], off offset:3072
	s_or_b64 exec, exec, s[0:1]
	s_and_saveexec_b64 s[0:1], s[6:7]
	s_cbranch_execz .LBB2569_27
.LBB2569_34:
	s_waitcnt lgkmcnt(1)
	v_add_co_u32_e32 v4, vcc, 0x1000, v12
	v_addc_co_u32_e32 v5, vcc, 0, v13, vcc
	global_store_dwordx2 v[4:5], v[6:7], off
	s_or_b64 exec, exec, s[0:1]
	s_and_saveexec_b64 s[0:1], s[8:9]
	s_cbranch_execz .LBB2569_28
.LBB2569_35:
	s_waitcnt lgkmcnt(1)
	v_add_co_u32_e32 v4, vcc, 0x1000, v12
	v_addc_co_u32_e32 v5, vcc, 0, v13, vcc
	s_waitcnt lgkmcnt(0)
	global_store_dwordx2 v[4:5], v[0:1], off offset:1024
	s_or_b64 exec, exec, s[0:1]
	s_and_saveexec_b64 s[0:1], s[10:11]
	s_cbranch_execz .LBB2569_29
.LBB2569_36:
	s_waitcnt lgkmcnt(0)
	v_add_co_u32_e32 v0, vcc, 0x1000, v12
	v_addc_co_u32_e32 v1, vcc, 0, v13, vcc
	global_store_dwordx2 v[0:1], v[2:3], off offset:2048
	s_endpgm
	.section	.rodata,"a",@progbits
	.p2align	6, 0x0
	.amdhsa_kernel _ZN7rocprim17ROCPRIM_400000_NS6detail17trampoline_kernelINS0_14default_configENS1_20scan_config_selectorIxEEZZNS1_9scan_implILNS1_25lookback_scan_determinismE0ELb0ELb0ES3_N6thrust23THRUST_200600_302600_NS6detail15normal_iteratorINS9_10device_ptrIxEEEESE_x11max_functorIxExEEDaPvRmT3_T4_T5_mT6_P12ihipStream_tbENKUlT_T0_E_clISt17integral_constantIbLb0EESU_EEDaSP_SQ_EUlSP_E0_NS1_11comp_targetILNS1_3genE4ELNS1_11target_archE910ELNS1_3gpuE8ELNS1_3repE0EEENS1_30default_config_static_selectorELNS0_4arch9wavefront6targetE1EEEvT1_
		.amdhsa_group_segment_fixed_size 7168
		.amdhsa_private_segment_fixed_size 0
		.amdhsa_kernarg_size 40
		.amdhsa_user_sgpr_count 6
		.amdhsa_user_sgpr_private_segment_buffer 1
		.amdhsa_user_sgpr_dispatch_ptr 0
		.amdhsa_user_sgpr_queue_ptr 0
		.amdhsa_user_sgpr_kernarg_segment_ptr 1
		.amdhsa_user_sgpr_dispatch_id 0
		.amdhsa_user_sgpr_flat_scratch_init 0
		.amdhsa_user_sgpr_kernarg_preload_length 0
		.amdhsa_user_sgpr_kernarg_preload_offset 0
		.amdhsa_user_sgpr_private_segment_size 0
		.amdhsa_uses_dynamic_stack 0
		.amdhsa_system_sgpr_private_segment_wavefront_offset 0
		.amdhsa_system_sgpr_workgroup_id_x 1
		.amdhsa_system_sgpr_workgroup_id_y 0
		.amdhsa_system_sgpr_workgroup_id_z 0
		.amdhsa_system_sgpr_workgroup_info 0
		.amdhsa_system_vgpr_workitem_id 0
		.amdhsa_next_free_vgpr 42
		.amdhsa_next_free_sgpr 22
		.amdhsa_accum_offset 44
		.amdhsa_reserve_vcc 1
		.amdhsa_reserve_flat_scratch 0
		.amdhsa_float_round_mode_32 0
		.amdhsa_float_round_mode_16_64 0
		.amdhsa_float_denorm_mode_32 3
		.amdhsa_float_denorm_mode_16_64 3
		.amdhsa_dx10_clamp 1
		.amdhsa_ieee_mode 1
		.amdhsa_fp16_overflow 0
		.amdhsa_tg_split 0
		.amdhsa_exception_fp_ieee_invalid_op 0
		.amdhsa_exception_fp_denorm_src 0
		.amdhsa_exception_fp_ieee_div_zero 0
		.amdhsa_exception_fp_ieee_overflow 0
		.amdhsa_exception_fp_ieee_underflow 0
		.amdhsa_exception_fp_ieee_inexact 0
		.amdhsa_exception_int_div_zero 0
	.end_amdhsa_kernel
	.section	.text._ZN7rocprim17ROCPRIM_400000_NS6detail17trampoline_kernelINS0_14default_configENS1_20scan_config_selectorIxEEZZNS1_9scan_implILNS1_25lookback_scan_determinismE0ELb0ELb0ES3_N6thrust23THRUST_200600_302600_NS6detail15normal_iteratorINS9_10device_ptrIxEEEESE_x11max_functorIxExEEDaPvRmT3_T4_T5_mT6_P12ihipStream_tbENKUlT_T0_E_clISt17integral_constantIbLb0EESU_EEDaSP_SQ_EUlSP_E0_NS1_11comp_targetILNS1_3genE4ELNS1_11target_archE910ELNS1_3gpuE8ELNS1_3repE0EEENS1_30default_config_static_selectorELNS0_4arch9wavefront6targetE1EEEvT1_,"axG",@progbits,_ZN7rocprim17ROCPRIM_400000_NS6detail17trampoline_kernelINS0_14default_configENS1_20scan_config_selectorIxEEZZNS1_9scan_implILNS1_25lookback_scan_determinismE0ELb0ELb0ES3_N6thrust23THRUST_200600_302600_NS6detail15normal_iteratorINS9_10device_ptrIxEEEESE_x11max_functorIxExEEDaPvRmT3_T4_T5_mT6_P12ihipStream_tbENKUlT_T0_E_clISt17integral_constantIbLb0EESU_EEDaSP_SQ_EUlSP_E0_NS1_11comp_targetILNS1_3genE4ELNS1_11target_archE910ELNS1_3gpuE8ELNS1_3repE0EEENS1_30default_config_static_selectorELNS0_4arch9wavefront6targetE1EEEvT1_,comdat
.Lfunc_end2569:
	.size	_ZN7rocprim17ROCPRIM_400000_NS6detail17trampoline_kernelINS0_14default_configENS1_20scan_config_selectorIxEEZZNS1_9scan_implILNS1_25lookback_scan_determinismE0ELb0ELb0ES3_N6thrust23THRUST_200600_302600_NS6detail15normal_iteratorINS9_10device_ptrIxEEEESE_x11max_functorIxExEEDaPvRmT3_T4_T5_mT6_P12ihipStream_tbENKUlT_T0_E_clISt17integral_constantIbLb0EESU_EEDaSP_SQ_EUlSP_E0_NS1_11comp_targetILNS1_3genE4ELNS1_11target_archE910ELNS1_3gpuE8ELNS1_3repE0EEENS1_30default_config_static_selectorELNS0_4arch9wavefront6targetE1EEEvT1_, .Lfunc_end2569-_ZN7rocprim17ROCPRIM_400000_NS6detail17trampoline_kernelINS0_14default_configENS1_20scan_config_selectorIxEEZZNS1_9scan_implILNS1_25lookback_scan_determinismE0ELb0ELb0ES3_N6thrust23THRUST_200600_302600_NS6detail15normal_iteratorINS9_10device_ptrIxEEEESE_x11max_functorIxExEEDaPvRmT3_T4_T5_mT6_P12ihipStream_tbENKUlT_T0_E_clISt17integral_constantIbLb0EESU_EEDaSP_SQ_EUlSP_E0_NS1_11comp_targetILNS1_3genE4ELNS1_11target_archE910ELNS1_3gpuE8ELNS1_3repE0EEENS1_30default_config_static_selectorELNS0_4arch9wavefront6targetE1EEEvT1_
                                        ; -- End function
	.section	.AMDGPU.csdata,"",@progbits
; Kernel info:
; codeLenInByte = 1916
; NumSgprs: 26
; NumVgprs: 42
; NumAgprs: 0
; TotalNumVgprs: 42
; ScratchSize: 0
; MemoryBound: 0
; FloatMode: 240
; IeeeMode: 1
; LDSByteSize: 7168 bytes/workgroup (compile time only)
; SGPRBlocks: 3
; VGPRBlocks: 5
; NumSGPRsForWavesPerEU: 26
; NumVGPRsForWavesPerEU: 42
; AccumOffset: 44
; Occupancy: 5
; WaveLimiterHint : 0
; COMPUTE_PGM_RSRC2:SCRATCH_EN: 0
; COMPUTE_PGM_RSRC2:USER_SGPR: 6
; COMPUTE_PGM_RSRC2:TRAP_HANDLER: 0
; COMPUTE_PGM_RSRC2:TGID_X_EN: 1
; COMPUTE_PGM_RSRC2:TGID_Y_EN: 0
; COMPUTE_PGM_RSRC2:TGID_Z_EN: 0
; COMPUTE_PGM_RSRC2:TIDIG_COMP_CNT: 0
; COMPUTE_PGM_RSRC3_GFX90A:ACCUM_OFFSET: 10
; COMPUTE_PGM_RSRC3_GFX90A:TG_SPLIT: 0
	.section	.text._ZN7rocprim17ROCPRIM_400000_NS6detail17trampoline_kernelINS0_14default_configENS1_20scan_config_selectorIxEEZZNS1_9scan_implILNS1_25lookback_scan_determinismE0ELb0ELb0ES3_N6thrust23THRUST_200600_302600_NS6detail15normal_iteratorINS9_10device_ptrIxEEEESE_x11max_functorIxExEEDaPvRmT3_T4_T5_mT6_P12ihipStream_tbENKUlT_T0_E_clISt17integral_constantIbLb0EESU_EEDaSP_SQ_EUlSP_E0_NS1_11comp_targetILNS1_3genE3ELNS1_11target_archE908ELNS1_3gpuE7ELNS1_3repE0EEENS1_30default_config_static_selectorELNS0_4arch9wavefront6targetE1EEEvT1_,"axG",@progbits,_ZN7rocprim17ROCPRIM_400000_NS6detail17trampoline_kernelINS0_14default_configENS1_20scan_config_selectorIxEEZZNS1_9scan_implILNS1_25lookback_scan_determinismE0ELb0ELb0ES3_N6thrust23THRUST_200600_302600_NS6detail15normal_iteratorINS9_10device_ptrIxEEEESE_x11max_functorIxExEEDaPvRmT3_T4_T5_mT6_P12ihipStream_tbENKUlT_T0_E_clISt17integral_constantIbLb0EESU_EEDaSP_SQ_EUlSP_E0_NS1_11comp_targetILNS1_3genE3ELNS1_11target_archE908ELNS1_3gpuE7ELNS1_3repE0EEENS1_30default_config_static_selectorELNS0_4arch9wavefront6targetE1EEEvT1_,comdat
	.protected	_ZN7rocprim17ROCPRIM_400000_NS6detail17trampoline_kernelINS0_14default_configENS1_20scan_config_selectorIxEEZZNS1_9scan_implILNS1_25lookback_scan_determinismE0ELb0ELb0ES3_N6thrust23THRUST_200600_302600_NS6detail15normal_iteratorINS9_10device_ptrIxEEEESE_x11max_functorIxExEEDaPvRmT3_T4_T5_mT6_P12ihipStream_tbENKUlT_T0_E_clISt17integral_constantIbLb0EESU_EEDaSP_SQ_EUlSP_E0_NS1_11comp_targetILNS1_3genE3ELNS1_11target_archE908ELNS1_3gpuE7ELNS1_3repE0EEENS1_30default_config_static_selectorELNS0_4arch9wavefront6targetE1EEEvT1_ ; -- Begin function _ZN7rocprim17ROCPRIM_400000_NS6detail17trampoline_kernelINS0_14default_configENS1_20scan_config_selectorIxEEZZNS1_9scan_implILNS1_25lookback_scan_determinismE0ELb0ELb0ES3_N6thrust23THRUST_200600_302600_NS6detail15normal_iteratorINS9_10device_ptrIxEEEESE_x11max_functorIxExEEDaPvRmT3_T4_T5_mT6_P12ihipStream_tbENKUlT_T0_E_clISt17integral_constantIbLb0EESU_EEDaSP_SQ_EUlSP_E0_NS1_11comp_targetILNS1_3genE3ELNS1_11target_archE908ELNS1_3gpuE7ELNS1_3repE0EEENS1_30default_config_static_selectorELNS0_4arch9wavefront6targetE1EEEvT1_
	.globl	_ZN7rocprim17ROCPRIM_400000_NS6detail17trampoline_kernelINS0_14default_configENS1_20scan_config_selectorIxEEZZNS1_9scan_implILNS1_25lookback_scan_determinismE0ELb0ELb0ES3_N6thrust23THRUST_200600_302600_NS6detail15normal_iteratorINS9_10device_ptrIxEEEESE_x11max_functorIxExEEDaPvRmT3_T4_T5_mT6_P12ihipStream_tbENKUlT_T0_E_clISt17integral_constantIbLb0EESU_EEDaSP_SQ_EUlSP_E0_NS1_11comp_targetILNS1_3genE3ELNS1_11target_archE908ELNS1_3gpuE7ELNS1_3repE0EEENS1_30default_config_static_selectorELNS0_4arch9wavefront6targetE1EEEvT1_
	.p2align	8
	.type	_ZN7rocprim17ROCPRIM_400000_NS6detail17trampoline_kernelINS0_14default_configENS1_20scan_config_selectorIxEEZZNS1_9scan_implILNS1_25lookback_scan_determinismE0ELb0ELb0ES3_N6thrust23THRUST_200600_302600_NS6detail15normal_iteratorINS9_10device_ptrIxEEEESE_x11max_functorIxExEEDaPvRmT3_T4_T5_mT6_P12ihipStream_tbENKUlT_T0_E_clISt17integral_constantIbLb0EESU_EEDaSP_SQ_EUlSP_E0_NS1_11comp_targetILNS1_3genE3ELNS1_11target_archE908ELNS1_3gpuE7ELNS1_3repE0EEENS1_30default_config_static_selectorELNS0_4arch9wavefront6targetE1EEEvT1_,@function
_ZN7rocprim17ROCPRIM_400000_NS6detail17trampoline_kernelINS0_14default_configENS1_20scan_config_selectorIxEEZZNS1_9scan_implILNS1_25lookback_scan_determinismE0ELb0ELb0ES3_N6thrust23THRUST_200600_302600_NS6detail15normal_iteratorINS9_10device_ptrIxEEEESE_x11max_functorIxExEEDaPvRmT3_T4_T5_mT6_P12ihipStream_tbENKUlT_T0_E_clISt17integral_constantIbLb0EESU_EEDaSP_SQ_EUlSP_E0_NS1_11comp_targetILNS1_3genE3ELNS1_11target_archE908ELNS1_3gpuE7ELNS1_3repE0EEENS1_30default_config_static_selectorELNS0_4arch9wavefront6targetE1EEEvT1_: ; @_ZN7rocprim17ROCPRIM_400000_NS6detail17trampoline_kernelINS0_14default_configENS1_20scan_config_selectorIxEEZZNS1_9scan_implILNS1_25lookback_scan_determinismE0ELb0ELb0ES3_N6thrust23THRUST_200600_302600_NS6detail15normal_iteratorINS9_10device_ptrIxEEEESE_x11max_functorIxExEEDaPvRmT3_T4_T5_mT6_P12ihipStream_tbENKUlT_T0_E_clISt17integral_constantIbLb0EESU_EEDaSP_SQ_EUlSP_E0_NS1_11comp_targetILNS1_3genE3ELNS1_11target_archE908ELNS1_3gpuE7ELNS1_3repE0EEENS1_30default_config_static_selectorELNS0_4arch9wavefront6targetE1EEEvT1_
; %bb.0:
	.section	.rodata,"a",@progbits
	.p2align	6, 0x0
	.amdhsa_kernel _ZN7rocprim17ROCPRIM_400000_NS6detail17trampoline_kernelINS0_14default_configENS1_20scan_config_selectorIxEEZZNS1_9scan_implILNS1_25lookback_scan_determinismE0ELb0ELb0ES3_N6thrust23THRUST_200600_302600_NS6detail15normal_iteratorINS9_10device_ptrIxEEEESE_x11max_functorIxExEEDaPvRmT3_T4_T5_mT6_P12ihipStream_tbENKUlT_T0_E_clISt17integral_constantIbLb0EESU_EEDaSP_SQ_EUlSP_E0_NS1_11comp_targetILNS1_3genE3ELNS1_11target_archE908ELNS1_3gpuE7ELNS1_3repE0EEENS1_30default_config_static_selectorELNS0_4arch9wavefront6targetE1EEEvT1_
		.amdhsa_group_segment_fixed_size 0
		.amdhsa_private_segment_fixed_size 0
		.amdhsa_kernarg_size 40
		.amdhsa_user_sgpr_count 6
		.amdhsa_user_sgpr_private_segment_buffer 1
		.amdhsa_user_sgpr_dispatch_ptr 0
		.amdhsa_user_sgpr_queue_ptr 0
		.amdhsa_user_sgpr_kernarg_segment_ptr 1
		.amdhsa_user_sgpr_dispatch_id 0
		.amdhsa_user_sgpr_flat_scratch_init 0
		.amdhsa_user_sgpr_kernarg_preload_length 0
		.amdhsa_user_sgpr_kernarg_preload_offset 0
		.amdhsa_user_sgpr_private_segment_size 0
		.amdhsa_uses_dynamic_stack 0
		.amdhsa_system_sgpr_private_segment_wavefront_offset 0
		.amdhsa_system_sgpr_workgroup_id_x 1
		.amdhsa_system_sgpr_workgroup_id_y 0
		.amdhsa_system_sgpr_workgroup_id_z 0
		.amdhsa_system_sgpr_workgroup_info 0
		.amdhsa_system_vgpr_workitem_id 0
		.amdhsa_next_free_vgpr 1
		.amdhsa_next_free_sgpr 0
		.amdhsa_accum_offset 4
		.amdhsa_reserve_vcc 0
		.amdhsa_reserve_flat_scratch 0
		.amdhsa_float_round_mode_32 0
		.amdhsa_float_round_mode_16_64 0
		.amdhsa_float_denorm_mode_32 3
		.amdhsa_float_denorm_mode_16_64 3
		.amdhsa_dx10_clamp 1
		.amdhsa_ieee_mode 1
		.amdhsa_fp16_overflow 0
		.amdhsa_tg_split 0
		.amdhsa_exception_fp_ieee_invalid_op 0
		.amdhsa_exception_fp_denorm_src 0
		.amdhsa_exception_fp_ieee_div_zero 0
		.amdhsa_exception_fp_ieee_overflow 0
		.amdhsa_exception_fp_ieee_underflow 0
		.amdhsa_exception_fp_ieee_inexact 0
		.amdhsa_exception_int_div_zero 0
	.end_amdhsa_kernel
	.section	.text._ZN7rocprim17ROCPRIM_400000_NS6detail17trampoline_kernelINS0_14default_configENS1_20scan_config_selectorIxEEZZNS1_9scan_implILNS1_25lookback_scan_determinismE0ELb0ELb0ES3_N6thrust23THRUST_200600_302600_NS6detail15normal_iteratorINS9_10device_ptrIxEEEESE_x11max_functorIxExEEDaPvRmT3_T4_T5_mT6_P12ihipStream_tbENKUlT_T0_E_clISt17integral_constantIbLb0EESU_EEDaSP_SQ_EUlSP_E0_NS1_11comp_targetILNS1_3genE3ELNS1_11target_archE908ELNS1_3gpuE7ELNS1_3repE0EEENS1_30default_config_static_selectorELNS0_4arch9wavefront6targetE1EEEvT1_,"axG",@progbits,_ZN7rocprim17ROCPRIM_400000_NS6detail17trampoline_kernelINS0_14default_configENS1_20scan_config_selectorIxEEZZNS1_9scan_implILNS1_25lookback_scan_determinismE0ELb0ELb0ES3_N6thrust23THRUST_200600_302600_NS6detail15normal_iteratorINS9_10device_ptrIxEEEESE_x11max_functorIxExEEDaPvRmT3_T4_T5_mT6_P12ihipStream_tbENKUlT_T0_E_clISt17integral_constantIbLb0EESU_EEDaSP_SQ_EUlSP_E0_NS1_11comp_targetILNS1_3genE3ELNS1_11target_archE908ELNS1_3gpuE7ELNS1_3repE0EEENS1_30default_config_static_selectorELNS0_4arch9wavefront6targetE1EEEvT1_,comdat
.Lfunc_end2570:
	.size	_ZN7rocprim17ROCPRIM_400000_NS6detail17trampoline_kernelINS0_14default_configENS1_20scan_config_selectorIxEEZZNS1_9scan_implILNS1_25lookback_scan_determinismE0ELb0ELb0ES3_N6thrust23THRUST_200600_302600_NS6detail15normal_iteratorINS9_10device_ptrIxEEEESE_x11max_functorIxExEEDaPvRmT3_T4_T5_mT6_P12ihipStream_tbENKUlT_T0_E_clISt17integral_constantIbLb0EESU_EEDaSP_SQ_EUlSP_E0_NS1_11comp_targetILNS1_3genE3ELNS1_11target_archE908ELNS1_3gpuE7ELNS1_3repE0EEENS1_30default_config_static_selectorELNS0_4arch9wavefront6targetE1EEEvT1_, .Lfunc_end2570-_ZN7rocprim17ROCPRIM_400000_NS6detail17trampoline_kernelINS0_14default_configENS1_20scan_config_selectorIxEEZZNS1_9scan_implILNS1_25lookback_scan_determinismE0ELb0ELb0ES3_N6thrust23THRUST_200600_302600_NS6detail15normal_iteratorINS9_10device_ptrIxEEEESE_x11max_functorIxExEEDaPvRmT3_T4_T5_mT6_P12ihipStream_tbENKUlT_T0_E_clISt17integral_constantIbLb0EESU_EEDaSP_SQ_EUlSP_E0_NS1_11comp_targetILNS1_3genE3ELNS1_11target_archE908ELNS1_3gpuE7ELNS1_3repE0EEENS1_30default_config_static_selectorELNS0_4arch9wavefront6targetE1EEEvT1_
                                        ; -- End function
	.section	.AMDGPU.csdata,"",@progbits
; Kernel info:
; codeLenInByte = 0
; NumSgprs: 4
; NumVgprs: 0
; NumAgprs: 0
; TotalNumVgprs: 0
; ScratchSize: 0
; MemoryBound: 0
; FloatMode: 240
; IeeeMode: 1
; LDSByteSize: 0 bytes/workgroup (compile time only)
; SGPRBlocks: 0
; VGPRBlocks: 0
; NumSGPRsForWavesPerEU: 4
; NumVGPRsForWavesPerEU: 1
; AccumOffset: 4
; Occupancy: 8
; WaveLimiterHint : 0
; COMPUTE_PGM_RSRC2:SCRATCH_EN: 0
; COMPUTE_PGM_RSRC2:USER_SGPR: 6
; COMPUTE_PGM_RSRC2:TRAP_HANDLER: 0
; COMPUTE_PGM_RSRC2:TGID_X_EN: 1
; COMPUTE_PGM_RSRC2:TGID_Y_EN: 0
; COMPUTE_PGM_RSRC2:TGID_Z_EN: 0
; COMPUTE_PGM_RSRC2:TIDIG_COMP_CNT: 0
; COMPUTE_PGM_RSRC3_GFX90A:ACCUM_OFFSET: 0
; COMPUTE_PGM_RSRC3_GFX90A:TG_SPLIT: 0
	.section	.text._ZN7rocprim17ROCPRIM_400000_NS6detail17trampoline_kernelINS0_14default_configENS1_20scan_config_selectorIxEEZZNS1_9scan_implILNS1_25lookback_scan_determinismE0ELb0ELb0ES3_N6thrust23THRUST_200600_302600_NS6detail15normal_iteratorINS9_10device_ptrIxEEEESE_x11max_functorIxExEEDaPvRmT3_T4_T5_mT6_P12ihipStream_tbENKUlT_T0_E_clISt17integral_constantIbLb0EESU_EEDaSP_SQ_EUlSP_E0_NS1_11comp_targetILNS1_3genE2ELNS1_11target_archE906ELNS1_3gpuE6ELNS1_3repE0EEENS1_30default_config_static_selectorELNS0_4arch9wavefront6targetE1EEEvT1_,"axG",@progbits,_ZN7rocprim17ROCPRIM_400000_NS6detail17trampoline_kernelINS0_14default_configENS1_20scan_config_selectorIxEEZZNS1_9scan_implILNS1_25lookback_scan_determinismE0ELb0ELb0ES3_N6thrust23THRUST_200600_302600_NS6detail15normal_iteratorINS9_10device_ptrIxEEEESE_x11max_functorIxExEEDaPvRmT3_T4_T5_mT6_P12ihipStream_tbENKUlT_T0_E_clISt17integral_constantIbLb0EESU_EEDaSP_SQ_EUlSP_E0_NS1_11comp_targetILNS1_3genE2ELNS1_11target_archE906ELNS1_3gpuE6ELNS1_3repE0EEENS1_30default_config_static_selectorELNS0_4arch9wavefront6targetE1EEEvT1_,comdat
	.protected	_ZN7rocprim17ROCPRIM_400000_NS6detail17trampoline_kernelINS0_14default_configENS1_20scan_config_selectorIxEEZZNS1_9scan_implILNS1_25lookback_scan_determinismE0ELb0ELb0ES3_N6thrust23THRUST_200600_302600_NS6detail15normal_iteratorINS9_10device_ptrIxEEEESE_x11max_functorIxExEEDaPvRmT3_T4_T5_mT6_P12ihipStream_tbENKUlT_T0_E_clISt17integral_constantIbLb0EESU_EEDaSP_SQ_EUlSP_E0_NS1_11comp_targetILNS1_3genE2ELNS1_11target_archE906ELNS1_3gpuE6ELNS1_3repE0EEENS1_30default_config_static_selectorELNS0_4arch9wavefront6targetE1EEEvT1_ ; -- Begin function _ZN7rocprim17ROCPRIM_400000_NS6detail17trampoline_kernelINS0_14default_configENS1_20scan_config_selectorIxEEZZNS1_9scan_implILNS1_25lookback_scan_determinismE0ELb0ELb0ES3_N6thrust23THRUST_200600_302600_NS6detail15normal_iteratorINS9_10device_ptrIxEEEESE_x11max_functorIxExEEDaPvRmT3_T4_T5_mT6_P12ihipStream_tbENKUlT_T0_E_clISt17integral_constantIbLb0EESU_EEDaSP_SQ_EUlSP_E0_NS1_11comp_targetILNS1_3genE2ELNS1_11target_archE906ELNS1_3gpuE6ELNS1_3repE0EEENS1_30default_config_static_selectorELNS0_4arch9wavefront6targetE1EEEvT1_
	.globl	_ZN7rocprim17ROCPRIM_400000_NS6detail17trampoline_kernelINS0_14default_configENS1_20scan_config_selectorIxEEZZNS1_9scan_implILNS1_25lookback_scan_determinismE0ELb0ELb0ES3_N6thrust23THRUST_200600_302600_NS6detail15normal_iteratorINS9_10device_ptrIxEEEESE_x11max_functorIxExEEDaPvRmT3_T4_T5_mT6_P12ihipStream_tbENKUlT_T0_E_clISt17integral_constantIbLb0EESU_EEDaSP_SQ_EUlSP_E0_NS1_11comp_targetILNS1_3genE2ELNS1_11target_archE906ELNS1_3gpuE6ELNS1_3repE0EEENS1_30default_config_static_selectorELNS0_4arch9wavefront6targetE1EEEvT1_
	.p2align	8
	.type	_ZN7rocprim17ROCPRIM_400000_NS6detail17trampoline_kernelINS0_14default_configENS1_20scan_config_selectorIxEEZZNS1_9scan_implILNS1_25lookback_scan_determinismE0ELb0ELb0ES3_N6thrust23THRUST_200600_302600_NS6detail15normal_iteratorINS9_10device_ptrIxEEEESE_x11max_functorIxExEEDaPvRmT3_T4_T5_mT6_P12ihipStream_tbENKUlT_T0_E_clISt17integral_constantIbLb0EESU_EEDaSP_SQ_EUlSP_E0_NS1_11comp_targetILNS1_3genE2ELNS1_11target_archE906ELNS1_3gpuE6ELNS1_3repE0EEENS1_30default_config_static_selectorELNS0_4arch9wavefront6targetE1EEEvT1_,@function
_ZN7rocprim17ROCPRIM_400000_NS6detail17trampoline_kernelINS0_14default_configENS1_20scan_config_selectorIxEEZZNS1_9scan_implILNS1_25lookback_scan_determinismE0ELb0ELb0ES3_N6thrust23THRUST_200600_302600_NS6detail15normal_iteratorINS9_10device_ptrIxEEEESE_x11max_functorIxExEEDaPvRmT3_T4_T5_mT6_P12ihipStream_tbENKUlT_T0_E_clISt17integral_constantIbLb0EESU_EEDaSP_SQ_EUlSP_E0_NS1_11comp_targetILNS1_3genE2ELNS1_11target_archE906ELNS1_3gpuE6ELNS1_3repE0EEENS1_30default_config_static_selectorELNS0_4arch9wavefront6targetE1EEEvT1_: ; @_ZN7rocprim17ROCPRIM_400000_NS6detail17trampoline_kernelINS0_14default_configENS1_20scan_config_selectorIxEEZZNS1_9scan_implILNS1_25lookback_scan_determinismE0ELb0ELb0ES3_N6thrust23THRUST_200600_302600_NS6detail15normal_iteratorINS9_10device_ptrIxEEEESE_x11max_functorIxExEEDaPvRmT3_T4_T5_mT6_P12ihipStream_tbENKUlT_T0_E_clISt17integral_constantIbLb0EESU_EEDaSP_SQ_EUlSP_E0_NS1_11comp_targetILNS1_3genE2ELNS1_11target_archE906ELNS1_3gpuE6ELNS1_3repE0EEENS1_30default_config_static_selectorELNS0_4arch9wavefront6targetE1EEEvT1_
; %bb.0:
	.section	.rodata,"a",@progbits
	.p2align	6, 0x0
	.amdhsa_kernel _ZN7rocprim17ROCPRIM_400000_NS6detail17trampoline_kernelINS0_14default_configENS1_20scan_config_selectorIxEEZZNS1_9scan_implILNS1_25lookback_scan_determinismE0ELb0ELb0ES3_N6thrust23THRUST_200600_302600_NS6detail15normal_iteratorINS9_10device_ptrIxEEEESE_x11max_functorIxExEEDaPvRmT3_T4_T5_mT6_P12ihipStream_tbENKUlT_T0_E_clISt17integral_constantIbLb0EESU_EEDaSP_SQ_EUlSP_E0_NS1_11comp_targetILNS1_3genE2ELNS1_11target_archE906ELNS1_3gpuE6ELNS1_3repE0EEENS1_30default_config_static_selectorELNS0_4arch9wavefront6targetE1EEEvT1_
		.amdhsa_group_segment_fixed_size 0
		.amdhsa_private_segment_fixed_size 0
		.amdhsa_kernarg_size 40
		.amdhsa_user_sgpr_count 6
		.amdhsa_user_sgpr_private_segment_buffer 1
		.amdhsa_user_sgpr_dispatch_ptr 0
		.amdhsa_user_sgpr_queue_ptr 0
		.amdhsa_user_sgpr_kernarg_segment_ptr 1
		.amdhsa_user_sgpr_dispatch_id 0
		.amdhsa_user_sgpr_flat_scratch_init 0
		.amdhsa_user_sgpr_kernarg_preload_length 0
		.amdhsa_user_sgpr_kernarg_preload_offset 0
		.amdhsa_user_sgpr_private_segment_size 0
		.amdhsa_uses_dynamic_stack 0
		.amdhsa_system_sgpr_private_segment_wavefront_offset 0
		.amdhsa_system_sgpr_workgroup_id_x 1
		.amdhsa_system_sgpr_workgroup_id_y 0
		.amdhsa_system_sgpr_workgroup_id_z 0
		.amdhsa_system_sgpr_workgroup_info 0
		.amdhsa_system_vgpr_workitem_id 0
		.amdhsa_next_free_vgpr 1
		.amdhsa_next_free_sgpr 0
		.amdhsa_accum_offset 4
		.amdhsa_reserve_vcc 0
		.amdhsa_reserve_flat_scratch 0
		.amdhsa_float_round_mode_32 0
		.amdhsa_float_round_mode_16_64 0
		.amdhsa_float_denorm_mode_32 3
		.amdhsa_float_denorm_mode_16_64 3
		.amdhsa_dx10_clamp 1
		.amdhsa_ieee_mode 1
		.amdhsa_fp16_overflow 0
		.amdhsa_tg_split 0
		.amdhsa_exception_fp_ieee_invalid_op 0
		.amdhsa_exception_fp_denorm_src 0
		.amdhsa_exception_fp_ieee_div_zero 0
		.amdhsa_exception_fp_ieee_overflow 0
		.amdhsa_exception_fp_ieee_underflow 0
		.amdhsa_exception_fp_ieee_inexact 0
		.amdhsa_exception_int_div_zero 0
	.end_amdhsa_kernel
	.section	.text._ZN7rocprim17ROCPRIM_400000_NS6detail17trampoline_kernelINS0_14default_configENS1_20scan_config_selectorIxEEZZNS1_9scan_implILNS1_25lookback_scan_determinismE0ELb0ELb0ES3_N6thrust23THRUST_200600_302600_NS6detail15normal_iteratorINS9_10device_ptrIxEEEESE_x11max_functorIxExEEDaPvRmT3_T4_T5_mT6_P12ihipStream_tbENKUlT_T0_E_clISt17integral_constantIbLb0EESU_EEDaSP_SQ_EUlSP_E0_NS1_11comp_targetILNS1_3genE2ELNS1_11target_archE906ELNS1_3gpuE6ELNS1_3repE0EEENS1_30default_config_static_selectorELNS0_4arch9wavefront6targetE1EEEvT1_,"axG",@progbits,_ZN7rocprim17ROCPRIM_400000_NS6detail17trampoline_kernelINS0_14default_configENS1_20scan_config_selectorIxEEZZNS1_9scan_implILNS1_25lookback_scan_determinismE0ELb0ELb0ES3_N6thrust23THRUST_200600_302600_NS6detail15normal_iteratorINS9_10device_ptrIxEEEESE_x11max_functorIxExEEDaPvRmT3_T4_T5_mT6_P12ihipStream_tbENKUlT_T0_E_clISt17integral_constantIbLb0EESU_EEDaSP_SQ_EUlSP_E0_NS1_11comp_targetILNS1_3genE2ELNS1_11target_archE906ELNS1_3gpuE6ELNS1_3repE0EEENS1_30default_config_static_selectorELNS0_4arch9wavefront6targetE1EEEvT1_,comdat
.Lfunc_end2571:
	.size	_ZN7rocprim17ROCPRIM_400000_NS6detail17trampoline_kernelINS0_14default_configENS1_20scan_config_selectorIxEEZZNS1_9scan_implILNS1_25lookback_scan_determinismE0ELb0ELb0ES3_N6thrust23THRUST_200600_302600_NS6detail15normal_iteratorINS9_10device_ptrIxEEEESE_x11max_functorIxExEEDaPvRmT3_T4_T5_mT6_P12ihipStream_tbENKUlT_T0_E_clISt17integral_constantIbLb0EESU_EEDaSP_SQ_EUlSP_E0_NS1_11comp_targetILNS1_3genE2ELNS1_11target_archE906ELNS1_3gpuE6ELNS1_3repE0EEENS1_30default_config_static_selectorELNS0_4arch9wavefront6targetE1EEEvT1_, .Lfunc_end2571-_ZN7rocprim17ROCPRIM_400000_NS6detail17trampoline_kernelINS0_14default_configENS1_20scan_config_selectorIxEEZZNS1_9scan_implILNS1_25lookback_scan_determinismE0ELb0ELb0ES3_N6thrust23THRUST_200600_302600_NS6detail15normal_iteratorINS9_10device_ptrIxEEEESE_x11max_functorIxExEEDaPvRmT3_T4_T5_mT6_P12ihipStream_tbENKUlT_T0_E_clISt17integral_constantIbLb0EESU_EEDaSP_SQ_EUlSP_E0_NS1_11comp_targetILNS1_3genE2ELNS1_11target_archE906ELNS1_3gpuE6ELNS1_3repE0EEENS1_30default_config_static_selectorELNS0_4arch9wavefront6targetE1EEEvT1_
                                        ; -- End function
	.section	.AMDGPU.csdata,"",@progbits
; Kernel info:
; codeLenInByte = 0
; NumSgprs: 4
; NumVgprs: 0
; NumAgprs: 0
; TotalNumVgprs: 0
; ScratchSize: 0
; MemoryBound: 0
; FloatMode: 240
; IeeeMode: 1
; LDSByteSize: 0 bytes/workgroup (compile time only)
; SGPRBlocks: 0
; VGPRBlocks: 0
; NumSGPRsForWavesPerEU: 4
; NumVGPRsForWavesPerEU: 1
; AccumOffset: 4
; Occupancy: 8
; WaveLimiterHint : 0
; COMPUTE_PGM_RSRC2:SCRATCH_EN: 0
; COMPUTE_PGM_RSRC2:USER_SGPR: 6
; COMPUTE_PGM_RSRC2:TRAP_HANDLER: 0
; COMPUTE_PGM_RSRC2:TGID_X_EN: 1
; COMPUTE_PGM_RSRC2:TGID_Y_EN: 0
; COMPUTE_PGM_RSRC2:TGID_Z_EN: 0
; COMPUTE_PGM_RSRC2:TIDIG_COMP_CNT: 0
; COMPUTE_PGM_RSRC3_GFX90A:ACCUM_OFFSET: 0
; COMPUTE_PGM_RSRC3_GFX90A:TG_SPLIT: 0
	.section	.text._ZN7rocprim17ROCPRIM_400000_NS6detail17trampoline_kernelINS0_14default_configENS1_20scan_config_selectorIxEEZZNS1_9scan_implILNS1_25lookback_scan_determinismE0ELb0ELb0ES3_N6thrust23THRUST_200600_302600_NS6detail15normal_iteratorINS9_10device_ptrIxEEEESE_x11max_functorIxExEEDaPvRmT3_T4_T5_mT6_P12ihipStream_tbENKUlT_T0_E_clISt17integral_constantIbLb0EESU_EEDaSP_SQ_EUlSP_E0_NS1_11comp_targetILNS1_3genE10ELNS1_11target_archE1201ELNS1_3gpuE5ELNS1_3repE0EEENS1_30default_config_static_selectorELNS0_4arch9wavefront6targetE1EEEvT1_,"axG",@progbits,_ZN7rocprim17ROCPRIM_400000_NS6detail17trampoline_kernelINS0_14default_configENS1_20scan_config_selectorIxEEZZNS1_9scan_implILNS1_25lookback_scan_determinismE0ELb0ELb0ES3_N6thrust23THRUST_200600_302600_NS6detail15normal_iteratorINS9_10device_ptrIxEEEESE_x11max_functorIxExEEDaPvRmT3_T4_T5_mT6_P12ihipStream_tbENKUlT_T0_E_clISt17integral_constantIbLb0EESU_EEDaSP_SQ_EUlSP_E0_NS1_11comp_targetILNS1_3genE10ELNS1_11target_archE1201ELNS1_3gpuE5ELNS1_3repE0EEENS1_30default_config_static_selectorELNS0_4arch9wavefront6targetE1EEEvT1_,comdat
	.protected	_ZN7rocprim17ROCPRIM_400000_NS6detail17trampoline_kernelINS0_14default_configENS1_20scan_config_selectorIxEEZZNS1_9scan_implILNS1_25lookback_scan_determinismE0ELb0ELb0ES3_N6thrust23THRUST_200600_302600_NS6detail15normal_iteratorINS9_10device_ptrIxEEEESE_x11max_functorIxExEEDaPvRmT3_T4_T5_mT6_P12ihipStream_tbENKUlT_T0_E_clISt17integral_constantIbLb0EESU_EEDaSP_SQ_EUlSP_E0_NS1_11comp_targetILNS1_3genE10ELNS1_11target_archE1201ELNS1_3gpuE5ELNS1_3repE0EEENS1_30default_config_static_selectorELNS0_4arch9wavefront6targetE1EEEvT1_ ; -- Begin function _ZN7rocprim17ROCPRIM_400000_NS6detail17trampoline_kernelINS0_14default_configENS1_20scan_config_selectorIxEEZZNS1_9scan_implILNS1_25lookback_scan_determinismE0ELb0ELb0ES3_N6thrust23THRUST_200600_302600_NS6detail15normal_iteratorINS9_10device_ptrIxEEEESE_x11max_functorIxExEEDaPvRmT3_T4_T5_mT6_P12ihipStream_tbENKUlT_T0_E_clISt17integral_constantIbLb0EESU_EEDaSP_SQ_EUlSP_E0_NS1_11comp_targetILNS1_3genE10ELNS1_11target_archE1201ELNS1_3gpuE5ELNS1_3repE0EEENS1_30default_config_static_selectorELNS0_4arch9wavefront6targetE1EEEvT1_
	.globl	_ZN7rocprim17ROCPRIM_400000_NS6detail17trampoline_kernelINS0_14default_configENS1_20scan_config_selectorIxEEZZNS1_9scan_implILNS1_25lookback_scan_determinismE0ELb0ELb0ES3_N6thrust23THRUST_200600_302600_NS6detail15normal_iteratorINS9_10device_ptrIxEEEESE_x11max_functorIxExEEDaPvRmT3_T4_T5_mT6_P12ihipStream_tbENKUlT_T0_E_clISt17integral_constantIbLb0EESU_EEDaSP_SQ_EUlSP_E0_NS1_11comp_targetILNS1_3genE10ELNS1_11target_archE1201ELNS1_3gpuE5ELNS1_3repE0EEENS1_30default_config_static_selectorELNS0_4arch9wavefront6targetE1EEEvT1_
	.p2align	8
	.type	_ZN7rocprim17ROCPRIM_400000_NS6detail17trampoline_kernelINS0_14default_configENS1_20scan_config_selectorIxEEZZNS1_9scan_implILNS1_25lookback_scan_determinismE0ELb0ELb0ES3_N6thrust23THRUST_200600_302600_NS6detail15normal_iteratorINS9_10device_ptrIxEEEESE_x11max_functorIxExEEDaPvRmT3_T4_T5_mT6_P12ihipStream_tbENKUlT_T0_E_clISt17integral_constantIbLb0EESU_EEDaSP_SQ_EUlSP_E0_NS1_11comp_targetILNS1_3genE10ELNS1_11target_archE1201ELNS1_3gpuE5ELNS1_3repE0EEENS1_30default_config_static_selectorELNS0_4arch9wavefront6targetE1EEEvT1_,@function
_ZN7rocprim17ROCPRIM_400000_NS6detail17trampoline_kernelINS0_14default_configENS1_20scan_config_selectorIxEEZZNS1_9scan_implILNS1_25lookback_scan_determinismE0ELb0ELb0ES3_N6thrust23THRUST_200600_302600_NS6detail15normal_iteratorINS9_10device_ptrIxEEEESE_x11max_functorIxExEEDaPvRmT3_T4_T5_mT6_P12ihipStream_tbENKUlT_T0_E_clISt17integral_constantIbLb0EESU_EEDaSP_SQ_EUlSP_E0_NS1_11comp_targetILNS1_3genE10ELNS1_11target_archE1201ELNS1_3gpuE5ELNS1_3repE0EEENS1_30default_config_static_selectorELNS0_4arch9wavefront6targetE1EEEvT1_: ; @_ZN7rocprim17ROCPRIM_400000_NS6detail17trampoline_kernelINS0_14default_configENS1_20scan_config_selectorIxEEZZNS1_9scan_implILNS1_25lookback_scan_determinismE0ELb0ELb0ES3_N6thrust23THRUST_200600_302600_NS6detail15normal_iteratorINS9_10device_ptrIxEEEESE_x11max_functorIxExEEDaPvRmT3_T4_T5_mT6_P12ihipStream_tbENKUlT_T0_E_clISt17integral_constantIbLb0EESU_EEDaSP_SQ_EUlSP_E0_NS1_11comp_targetILNS1_3genE10ELNS1_11target_archE1201ELNS1_3gpuE5ELNS1_3repE0EEENS1_30default_config_static_selectorELNS0_4arch9wavefront6targetE1EEEvT1_
; %bb.0:
	.section	.rodata,"a",@progbits
	.p2align	6, 0x0
	.amdhsa_kernel _ZN7rocprim17ROCPRIM_400000_NS6detail17trampoline_kernelINS0_14default_configENS1_20scan_config_selectorIxEEZZNS1_9scan_implILNS1_25lookback_scan_determinismE0ELb0ELb0ES3_N6thrust23THRUST_200600_302600_NS6detail15normal_iteratorINS9_10device_ptrIxEEEESE_x11max_functorIxExEEDaPvRmT3_T4_T5_mT6_P12ihipStream_tbENKUlT_T0_E_clISt17integral_constantIbLb0EESU_EEDaSP_SQ_EUlSP_E0_NS1_11comp_targetILNS1_3genE10ELNS1_11target_archE1201ELNS1_3gpuE5ELNS1_3repE0EEENS1_30default_config_static_selectorELNS0_4arch9wavefront6targetE1EEEvT1_
		.amdhsa_group_segment_fixed_size 0
		.amdhsa_private_segment_fixed_size 0
		.amdhsa_kernarg_size 40
		.amdhsa_user_sgpr_count 6
		.amdhsa_user_sgpr_private_segment_buffer 1
		.amdhsa_user_sgpr_dispatch_ptr 0
		.amdhsa_user_sgpr_queue_ptr 0
		.amdhsa_user_sgpr_kernarg_segment_ptr 1
		.amdhsa_user_sgpr_dispatch_id 0
		.amdhsa_user_sgpr_flat_scratch_init 0
		.amdhsa_user_sgpr_kernarg_preload_length 0
		.amdhsa_user_sgpr_kernarg_preload_offset 0
		.amdhsa_user_sgpr_private_segment_size 0
		.amdhsa_uses_dynamic_stack 0
		.amdhsa_system_sgpr_private_segment_wavefront_offset 0
		.amdhsa_system_sgpr_workgroup_id_x 1
		.amdhsa_system_sgpr_workgroup_id_y 0
		.amdhsa_system_sgpr_workgroup_id_z 0
		.amdhsa_system_sgpr_workgroup_info 0
		.amdhsa_system_vgpr_workitem_id 0
		.amdhsa_next_free_vgpr 1
		.amdhsa_next_free_sgpr 0
		.amdhsa_accum_offset 4
		.amdhsa_reserve_vcc 0
		.amdhsa_reserve_flat_scratch 0
		.amdhsa_float_round_mode_32 0
		.amdhsa_float_round_mode_16_64 0
		.amdhsa_float_denorm_mode_32 3
		.amdhsa_float_denorm_mode_16_64 3
		.amdhsa_dx10_clamp 1
		.amdhsa_ieee_mode 1
		.amdhsa_fp16_overflow 0
		.amdhsa_tg_split 0
		.amdhsa_exception_fp_ieee_invalid_op 0
		.amdhsa_exception_fp_denorm_src 0
		.amdhsa_exception_fp_ieee_div_zero 0
		.amdhsa_exception_fp_ieee_overflow 0
		.amdhsa_exception_fp_ieee_underflow 0
		.amdhsa_exception_fp_ieee_inexact 0
		.amdhsa_exception_int_div_zero 0
	.end_amdhsa_kernel
	.section	.text._ZN7rocprim17ROCPRIM_400000_NS6detail17trampoline_kernelINS0_14default_configENS1_20scan_config_selectorIxEEZZNS1_9scan_implILNS1_25lookback_scan_determinismE0ELb0ELb0ES3_N6thrust23THRUST_200600_302600_NS6detail15normal_iteratorINS9_10device_ptrIxEEEESE_x11max_functorIxExEEDaPvRmT3_T4_T5_mT6_P12ihipStream_tbENKUlT_T0_E_clISt17integral_constantIbLb0EESU_EEDaSP_SQ_EUlSP_E0_NS1_11comp_targetILNS1_3genE10ELNS1_11target_archE1201ELNS1_3gpuE5ELNS1_3repE0EEENS1_30default_config_static_selectorELNS0_4arch9wavefront6targetE1EEEvT1_,"axG",@progbits,_ZN7rocprim17ROCPRIM_400000_NS6detail17trampoline_kernelINS0_14default_configENS1_20scan_config_selectorIxEEZZNS1_9scan_implILNS1_25lookback_scan_determinismE0ELb0ELb0ES3_N6thrust23THRUST_200600_302600_NS6detail15normal_iteratorINS9_10device_ptrIxEEEESE_x11max_functorIxExEEDaPvRmT3_T4_T5_mT6_P12ihipStream_tbENKUlT_T0_E_clISt17integral_constantIbLb0EESU_EEDaSP_SQ_EUlSP_E0_NS1_11comp_targetILNS1_3genE10ELNS1_11target_archE1201ELNS1_3gpuE5ELNS1_3repE0EEENS1_30default_config_static_selectorELNS0_4arch9wavefront6targetE1EEEvT1_,comdat
.Lfunc_end2572:
	.size	_ZN7rocprim17ROCPRIM_400000_NS6detail17trampoline_kernelINS0_14default_configENS1_20scan_config_selectorIxEEZZNS1_9scan_implILNS1_25lookback_scan_determinismE0ELb0ELb0ES3_N6thrust23THRUST_200600_302600_NS6detail15normal_iteratorINS9_10device_ptrIxEEEESE_x11max_functorIxExEEDaPvRmT3_T4_T5_mT6_P12ihipStream_tbENKUlT_T0_E_clISt17integral_constantIbLb0EESU_EEDaSP_SQ_EUlSP_E0_NS1_11comp_targetILNS1_3genE10ELNS1_11target_archE1201ELNS1_3gpuE5ELNS1_3repE0EEENS1_30default_config_static_selectorELNS0_4arch9wavefront6targetE1EEEvT1_, .Lfunc_end2572-_ZN7rocprim17ROCPRIM_400000_NS6detail17trampoline_kernelINS0_14default_configENS1_20scan_config_selectorIxEEZZNS1_9scan_implILNS1_25lookback_scan_determinismE0ELb0ELb0ES3_N6thrust23THRUST_200600_302600_NS6detail15normal_iteratorINS9_10device_ptrIxEEEESE_x11max_functorIxExEEDaPvRmT3_T4_T5_mT6_P12ihipStream_tbENKUlT_T0_E_clISt17integral_constantIbLb0EESU_EEDaSP_SQ_EUlSP_E0_NS1_11comp_targetILNS1_3genE10ELNS1_11target_archE1201ELNS1_3gpuE5ELNS1_3repE0EEENS1_30default_config_static_selectorELNS0_4arch9wavefront6targetE1EEEvT1_
                                        ; -- End function
	.section	.AMDGPU.csdata,"",@progbits
; Kernel info:
; codeLenInByte = 0
; NumSgprs: 4
; NumVgprs: 0
; NumAgprs: 0
; TotalNumVgprs: 0
; ScratchSize: 0
; MemoryBound: 0
; FloatMode: 240
; IeeeMode: 1
; LDSByteSize: 0 bytes/workgroup (compile time only)
; SGPRBlocks: 0
; VGPRBlocks: 0
; NumSGPRsForWavesPerEU: 4
; NumVGPRsForWavesPerEU: 1
; AccumOffset: 4
; Occupancy: 8
; WaveLimiterHint : 0
; COMPUTE_PGM_RSRC2:SCRATCH_EN: 0
; COMPUTE_PGM_RSRC2:USER_SGPR: 6
; COMPUTE_PGM_RSRC2:TRAP_HANDLER: 0
; COMPUTE_PGM_RSRC2:TGID_X_EN: 1
; COMPUTE_PGM_RSRC2:TGID_Y_EN: 0
; COMPUTE_PGM_RSRC2:TGID_Z_EN: 0
; COMPUTE_PGM_RSRC2:TIDIG_COMP_CNT: 0
; COMPUTE_PGM_RSRC3_GFX90A:ACCUM_OFFSET: 0
; COMPUTE_PGM_RSRC3_GFX90A:TG_SPLIT: 0
	.section	.text._ZN7rocprim17ROCPRIM_400000_NS6detail17trampoline_kernelINS0_14default_configENS1_20scan_config_selectorIxEEZZNS1_9scan_implILNS1_25lookback_scan_determinismE0ELb0ELb0ES3_N6thrust23THRUST_200600_302600_NS6detail15normal_iteratorINS9_10device_ptrIxEEEESE_x11max_functorIxExEEDaPvRmT3_T4_T5_mT6_P12ihipStream_tbENKUlT_T0_E_clISt17integral_constantIbLb0EESU_EEDaSP_SQ_EUlSP_E0_NS1_11comp_targetILNS1_3genE10ELNS1_11target_archE1200ELNS1_3gpuE4ELNS1_3repE0EEENS1_30default_config_static_selectorELNS0_4arch9wavefront6targetE1EEEvT1_,"axG",@progbits,_ZN7rocprim17ROCPRIM_400000_NS6detail17trampoline_kernelINS0_14default_configENS1_20scan_config_selectorIxEEZZNS1_9scan_implILNS1_25lookback_scan_determinismE0ELb0ELb0ES3_N6thrust23THRUST_200600_302600_NS6detail15normal_iteratorINS9_10device_ptrIxEEEESE_x11max_functorIxExEEDaPvRmT3_T4_T5_mT6_P12ihipStream_tbENKUlT_T0_E_clISt17integral_constantIbLb0EESU_EEDaSP_SQ_EUlSP_E0_NS1_11comp_targetILNS1_3genE10ELNS1_11target_archE1200ELNS1_3gpuE4ELNS1_3repE0EEENS1_30default_config_static_selectorELNS0_4arch9wavefront6targetE1EEEvT1_,comdat
	.protected	_ZN7rocprim17ROCPRIM_400000_NS6detail17trampoline_kernelINS0_14default_configENS1_20scan_config_selectorIxEEZZNS1_9scan_implILNS1_25lookback_scan_determinismE0ELb0ELb0ES3_N6thrust23THRUST_200600_302600_NS6detail15normal_iteratorINS9_10device_ptrIxEEEESE_x11max_functorIxExEEDaPvRmT3_T4_T5_mT6_P12ihipStream_tbENKUlT_T0_E_clISt17integral_constantIbLb0EESU_EEDaSP_SQ_EUlSP_E0_NS1_11comp_targetILNS1_3genE10ELNS1_11target_archE1200ELNS1_3gpuE4ELNS1_3repE0EEENS1_30default_config_static_selectorELNS0_4arch9wavefront6targetE1EEEvT1_ ; -- Begin function _ZN7rocprim17ROCPRIM_400000_NS6detail17trampoline_kernelINS0_14default_configENS1_20scan_config_selectorIxEEZZNS1_9scan_implILNS1_25lookback_scan_determinismE0ELb0ELb0ES3_N6thrust23THRUST_200600_302600_NS6detail15normal_iteratorINS9_10device_ptrIxEEEESE_x11max_functorIxExEEDaPvRmT3_T4_T5_mT6_P12ihipStream_tbENKUlT_T0_E_clISt17integral_constantIbLb0EESU_EEDaSP_SQ_EUlSP_E0_NS1_11comp_targetILNS1_3genE10ELNS1_11target_archE1200ELNS1_3gpuE4ELNS1_3repE0EEENS1_30default_config_static_selectorELNS0_4arch9wavefront6targetE1EEEvT1_
	.globl	_ZN7rocprim17ROCPRIM_400000_NS6detail17trampoline_kernelINS0_14default_configENS1_20scan_config_selectorIxEEZZNS1_9scan_implILNS1_25lookback_scan_determinismE0ELb0ELb0ES3_N6thrust23THRUST_200600_302600_NS6detail15normal_iteratorINS9_10device_ptrIxEEEESE_x11max_functorIxExEEDaPvRmT3_T4_T5_mT6_P12ihipStream_tbENKUlT_T0_E_clISt17integral_constantIbLb0EESU_EEDaSP_SQ_EUlSP_E0_NS1_11comp_targetILNS1_3genE10ELNS1_11target_archE1200ELNS1_3gpuE4ELNS1_3repE0EEENS1_30default_config_static_selectorELNS0_4arch9wavefront6targetE1EEEvT1_
	.p2align	8
	.type	_ZN7rocprim17ROCPRIM_400000_NS6detail17trampoline_kernelINS0_14default_configENS1_20scan_config_selectorIxEEZZNS1_9scan_implILNS1_25lookback_scan_determinismE0ELb0ELb0ES3_N6thrust23THRUST_200600_302600_NS6detail15normal_iteratorINS9_10device_ptrIxEEEESE_x11max_functorIxExEEDaPvRmT3_T4_T5_mT6_P12ihipStream_tbENKUlT_T0_E_clISt17integral_constantIbLb0EESU_EEDaSP_SQ_EUlSP_E0_NS1_11comp_targetILNS1_3genE10ELNS1_11target_archE1200ELNS1_3gpuE4ELNS1_3repE0EEENS1_30default_config_static_selectorELNS0_4arch9wavefront6targetE1EEEvT1_,@function
_ZN7rocprim17ROCPRIM_400000_NS6detail17trampoline_kernelINS0_14default_configENS1_20scan_config_selectorIxEEZZNS1_9scan_implILNS1_25lookback_scan_determinismE0ELb0ELb0ES3_N6thrust23THRUST_200600_302600_NS6detail15normal_iteratorINS9_10device_ptrIxEEEESE_x11max_functorIxExEEDaPvRmT3_T4_T5_mT6_P12ihipStream_tbENKUlT_T0_E_clISt17integral_constantIbLb0EESU_EEDaSP_SQ_EUlSP_E0_NS1_11comp_targetILNS1_3genE10ELNS1_11target_archE1200ELNS1_3gpuE4ELNS1_3repE0EEENS1_30default_config_static_selectorELNS0_4arch9wavefront6targetE1EEEvT1_: ; @_ZN7rocprim17ROCPRIM_400000_NS6detail17trampoline_kernelINS0_14default_configENS1_20scan_config_selectorIxEEZZNS1_9scan_implILNS1_25lookback_scan_determinismE0ELb0ELb0ES3_N6thrust23THRUST_200600_302600_NS6detail15normal_iteratorINS9_10device_ptrIxEEEESE_x11max_functorIxExEEDaPvRmT3_T4_T5_mT6_P12ihipStream_tbENKUlT_T0_E_clISt17integral_constantIbLb0EESU_EEDaSP_SQ_EUlSP_E0_NS1_11comp_targetILNS1_3genE10ELNS1_11target_archE1200ELNS1_3gpuE4ELNS1_3repE0EEENS1_30default_config_static_selectorELNS0_4arch9wavefront6targetE1EEEvT1_
; %bb.0:
	.section	.rodata,"a",@progbits
	.p2align	6, 0x0
	.amdhsa_kernel _ZN7rocprim17ROCPRIM_400000_NS6detail17trampoline_kernelINS0_14default_configENS1_20scan_config_selectorIxEEZZNS1_9scan_implILNS1_25lookback_scan_determinismE0ELb0ELb0ES3_N6thrust23THRUST_200600_302600_NS6detail15normal_iteratorINS9_10device_ptrIxEEEESE_x11max_functorIxExEEDaPvRmT3_T4_T5_mT6_P12ihipStream_tbENKUlT_T0_E_clISt17integral_constantIbLb0EESU_EEDaSP_SQ_EUlSP_E0_NS1_11comp_targetILNS1_3genE10ELNS1_11target_archE1200ELNS1_3gpuE4ELNS1_3repE0EEENS1_30default_config_static_selectorELNS0_4arch9wavefront6targetE1EEEvT1_
		.amdhsa_group_segment_fixed_size 0
		.amdhsa_private_segment_fixed_size 0
		.amdhsa_kernarg_size 40
		.amdhsa_user_sgpr_count 6
		.amdhsa_user_sgpr_private_segment_buffer 1
		.amdhsa_user_sgpr_dispatch_ptr 0
		.amdhsa_user_sgpr_queue_ptr 0
		.amdhsa_user_sgpr_kernarg_segment_ptr 1
		.amdhsa_user_sgpr_dispatch_id 0
		.amdhsa_user_sgpr_flat_scratch_init 0
		.amdhsa_user_sgpr_kernarg_preload_length 0
		.amdhsa_user_sgpr_kernarg_preload_offset 0
		.amdhsa_user_sgpr_private_segment_size 0
		.amdhsa_uses_dynamic_stack 0
		.amdhsa_system_sgpr_private_segment_wavefront_offset 0
		.amdhsa_system_sgpr_workgroup_id_x 1
		.amdhsa_system_sgpr_workgroup_id_y 0
		.amdhsa_system_sgpr_workgroup_id_z 0
		.amdhsa_system_sgpr_workgroup_info 0
		.amdhsa_system_vgpr_workitem_id 0
		.amdhsa_next_free_vgpr 1
		.amdhsa_next_free_sgpr 0
		.amdhsa_accum_offset 4
		.amdhsa_reserve_vcc 0
		.amdhsa_reserve_flat_scratch 0
		.amdhsa_float_round_mode_32 0
		.amdhsa_float_round_mode_16_64 0
		.amdhsa_float_denorm_mode_32 3
		.amdhsa_float_denorm_mode_16_64 3
		.amdhsa_dx10_clamp 1
		.amdhsa_ieee_mode 1
		.amdhsa_fp16_overflow 0
		.amdhsa_tg_split 0
		.amdhsa_exception_fp_ieee_invalid_op 0
		.amdhsa_exception_fp_denorm_src 0
		.amdhsa_exception_fp_ieee_div_zero 0
		.amdhsa_exception_fp_ieee_overflow 0
		.amdhsa_exception_fp_ieee_underflow 0
		.amdhsa_exception_fp_ieee_inexact 0
		.amdhsa_exception_int_div_zero 0
	.end_amdhsa_kernel
	.section	.text._ZN7rocprim17ROCPRIM_400000_NS6detail17trampoline_kernelINS0_14default_configENS1_20scan_config_selectorIxEEZZNS1_9scan_implILNS1_25lookback_scan_determinismE0ELb0ELb0ES3_N6thrust23THRUST_200600_302600_NS6detail15normal_iteratorINS9_10device_ptrIxEEEESE_x11max_functorIxExEEDaPvRmT3_T4_T5_mT6_P12ihipStream_tbENKUlT_T0_E_clISt17integral_constantIbLb0EESU_EEDaSP_SQ_EUlSP_E0_NS1_11comp_targetILNS1_3genE10ELNS1_11target_archE1200ELNS1_3gpuE4ELNS1_3repE0EEENS1_30default_config_static_selectorELNS0_4arch9wavefront6targetE1EEEvT1_,"axG",@progbits,_ZN7rocprim17ROCPRIM_400000_NS6detail17trampoline_kernelINS0_14default_configENS1_20scan_config_selectorIxEEZZNS1_9scan_implILNS1_25lookback_scan_determinismE0ELb0ELb0ES3_N6thrust23THRUST_200600_302600_NS6detail15normal_iteratorINS9_10device_ptrIxEEEESE_x11max_functorIxExEEDaPvRmT3_T4_T5_mT6_P12ihipStream_tbENKUlT_T0_E_clISt17integral_constantIbLb0EESU_EEDaSP_SQ_EUlSP_E0_NS1_11comp_targetILNS1_3genE10ELNS1_11target_archE1200ELNS1_3gpuE4ELNS1_3repE0EEENS1_30default_config_static_selectorELNS0_4arch9wavefront6targetE1EEEvT1_,comdat
.Lfunc_end2573:
	.size	_ZN7rocprim17ROCPRIM_400000_NS6detail17trampoline_kernelINS0_14default_configENS1_20scan_config_selectorIxEEZZNS1_9scan_implILNS1_25lookback_scan_determinismE0ELb0ELb0ES3_N6thrust23THRUST_200600_302600_NS6detail15normal_iteratorINS9_10device_ptrIxEEEESE_x11max_functorIxExEEDaPvRmT3_T4_T5_mT6_P12ihipStream_tbENKUlT_T0_E_clISt17integral_constantIbLb0EESU_EEDaSP_SQ_EUlSP_E0_NS1_11comp_targetILNS1_3genE10ELNS1_11target_archE1200ELNS1_3gpuE4ELNS1_3repE0EEENS1_30default_config_static_selectorELNS0_4arch9wavefront6targetE1EEEvT1_, .Lfunc_end2573-_ZN7rocprim17ROCPRIM_400000_NS6detail17trampoline_kernelINS0_14default_configENS1_20scan_config_selectorIxEEZZNS1_9scan_implILNS1_25lookback_scan_determinismE0ELb0ELb0ES3_N6thrust23THRUST_200600_302600_NS6detail15normal_iteratorINS9_10device_ptrIxEEEESE_x11max_functorIxExEEDaPvRmT3_T4_T5_mT6_P12ihipStream_tbENKUlT_T0_E_clISt17integral_constantIbLb0EESU_EEDaSP_SQ_EUlSP_E0_NS1_11comp_targetILNS1_3genE10ELNS1_11target_archE1200ELNS1_3gpuE4ELNS1_3repE0EEENS1_30default_config_static_selectorELNS0_4arch9wavefront6targetE1EEEvT1_
                                        ; -- End function
	.section	.AMDGPU.csdata,"",@progbits
; Kernel info:
; codeLenInByte = 0
; NumSgprs: 4
; NumVgprs: 0
; NumAgprs: 0
; TotalNumVgprs: 0
; ScratchSize: 0
; MemoryBound: 0
; FloatMode: 240
; IeeeMode: 1
; LDSByteSize: 0 bytes/workgroup (compile time only)
; SGPRBlocks: 0
; VGPRBlocks: 0
; NumSGPRsForWavesPerEU: 4
; NumVGPRsForWavesPerEU: 1
; AccumOffset: 4
; Occupancy: 8
; WaveLimiterHint : 0
; COMPUTE_PGM_RSRC2:SCRATCH_EN: 0
; COMPUTE_PGM_RSRC2:USER_SGPR: 6
; COMPUTE_PGM_RSRC2:TRAP_HANDLER: 0
; COMPUTE_PGM_RSRC2:TGID_X_EN: 1
; COMPUTE_PGM_RSRC2:TGID_Y_EN: 0
; COMPUTE_PGM_RSRC2:TGID_Z_EN: 0
; COMPUTE_PGM_RSRC2:TIDIG_COMP_CNT: 0
; COMPUTE_PGM_RSRC3_GFX90A:ACCUM_OFFSET: 0
; COMPUTE_PGM_RSRC3_GFX90A:TG_SPLIT: 0
	.section	.text._ZN7rocprim17ROCPRIM_400000_NS6detail17trampoline_kernelINS0_14default_configENS1_20scan_config_selectorIxEEZZNS1_9scan_implILNS1_25lookback_scan_determinismE0ELb0ELb0ES3_N6thrust23THRUST_200600_302600_NS6detail15normal_iteratorINS9_10device_ptrIxEEEESE_x11max_functorIxExEEDaPvRmT3_T4_T5_mT6_P12ihipStream_tbENKUlT_T0_E_clISt17integral_constantIbLb0EESU_EEDaSP_SQ_EUlSP_E0_NS1_11comp_targetILNS1_3genE9ELNS1_11target_archE1100ELNS1_3gpuE3ELNS1_3repE0EEENS1_30default_config_static_selectorELNS0_4arch9wavefront6targetE1EEEvT1_,"axG",@progbits,_ZN7rocprim17ROCPRIM_400000_NS6detail17trampoline_kernelINS0_14default_configENS1_20scan_config_selectorIxEEZZNS1_9scan_implILNS1_25lookback_scan_determinismE0ELb0ELb0ES3_N6thrust23THRUST_200600_302600_NS6detail15normal_iteratorINS9_10device_ptrIxEEEESE_x11max_functorIxExEEDaPvRmT3_T4_T5_mT6_P12ihipStream_tbENKUlT_T0_E_clISt17integral_constantIbLb0EESU_EEDaSP_SQ_EUlSP_E0_NS1_11comp_targetILNS1_3genE9ELNS1_11target_archE1100ELNS1_3gpuE3ELNS1_3repE0EEENS1_30default_config_static_selectorELNS0_4arch9wavefront6targetE1EEEvT1_,comdat
	.protected	_ZN7rocprim17ROCPRIM_400000_NS6detail17trampoline_kernelINS0_14default_configENS1_20scan_config_selectorIxEEZZNS1_9scan_implILNS1_25lookback_scan_determinismE0ELb0ELb0ES3_N6thrust23THRUST_200600_302600_NS6detail15normal_iteratorINS9_10device_ptrIxEEEESE_x11max_functorIxExEEDaPvRmT3_T4_T5_mT6_P12ihipStream_tbENKUlT_T0_E_clISt17integral_constantIbLb0EESU_EEDaSP_SQ_EUlSP_E0_NS1_11comp_targetILNS1_3genE9ELNS1_11target_archE1100ELNS1_3gpuE3ELNS1_3repE0EEENS1_30default_config_static_selectorELNS0_4arch9wavefront6targetE1EEEvT1_ ; -- Begin function _ZN7rocprim17ROCPRIM_400000_NS6detail17trampoline_kernelINS0_14default_configENS1_20scan_config_selectorIxEEZZNS1_9scan_implILNS1_25lookback_scan_determinismE0ELb0ELb0ES3_N6thrust23THRUST_200600_302600_NS6detail15normal_iteratorINS9_10device_ptrIxEEEESE_x11max_functorIxExEEDaPvRmT3_T4_T5_mT6_P12ihipStream_tbENKUlT_T0_E_clISt17integral_constantIbLb0EESU_EEDaSP_SQ_EUlSP_E0_NS1_11comp_targetILNS1_3genE9ELNS1_11target_archE1100ELNS1_3gpuE3ELNS1_3repE0EEENS1_30default_config_static_selectorELNS0_4arch9wavefront6targetE1EEEvT1_
	.globl	_ZN7rocprim17ROCPRIM_400000_NS6detail17trampoline_kernelINS0_14default_configENS1_20scan_config_selectorIxEEZZNS1_9scan_implILNS1_25lookback_scan_determinismE0ELb0ELb0ES3_N6thrust23THRUST_200600_302600_NS6detail15normal_iteratorINS9_10device_ptrIxEEEESE_x11max_functorIxExEEDaPvRmT3_T4_T5_mT6_P12ihipStream_tbENKUlT_T0_E_clISt17integral_constantIbLb0EESU_EEDaSP_SQ_EUlSP_E0_NS1_11comp_targetILNS1_3genE9ELNS1_11target_archE1100ELNS1_3gpuE3ELNS1_3repE0EEENS1_30default_config_static_selectorELNS0_4arch9wavefront6targetE1EEEvT1_
	.p2align	8
	.type	_ZN7rocprim17ROCPRIM_400000_NS6detail17trampoline_kernelINS0_14default_configENS1_20scan_config_selectorIxEEZZNS1_9scan_implILNS1_25lookback_scan_determinismE0ELb0ELb0ES3_N6thrust23THRUST_200600_302600_NS6detail15normal_iteratorINS9_10device_ptrIxEEEESE_x11max_functorIxExEEDaPvRmT3_T4_T5_mT6_P12ihipStream_tbENKUlT_T0_E_clISt17integral_constantIbLb0EESU_EEDaSP_SQ_EUlSP_E0_NS1_11comp_targetILNS1_3genE9ELNS1_11target_archE1100ELNS1_3gpuE3ELNS1_3repE0EEENS1_30default_config_static_selectorELNS0_4arch9wavefront6targetE1EEEvT1_,@function
_ZN7rocprim17ROCPRIM_400000_NS6detail17trampoline_kernelINS0_14default_configENS1_20scan_config_selectorIxEEZZNS1_9scan_implILNS1_25lookback_scan_determinismE0ELb0ELb0ES3_N6thrust23THRUST_200600_302600_NS6detail15normal_iteratorINS9_10device_ptrIxEEEESE_x11max_functorIxExEEDaPvRmT3_T4_T5_mT6_P12ihipStream_tbENKUlT_T0_E_clISt17integral_constantIbLb0EESU_EEDaSP_SQ_EUlSP_E0_NS1_11comp_targetILNS1_3genE9ELNS1_11target_archE1100ELNS1_3gpuE3ELNS1_3repE0EEENS1_30default_config_static_selectorELNS0_4arch9wavefront6targetE1EEEvT1_: ; @_ZN7rocprim17ROCPRIM_400000_NS6detail17trampoline_kernelINS0_14default_configENS1_20scan_config_selectorIxEEZZNS1_9scan_implILNS1_25lookback_scan_determinismE0ELb0ELb0ES3_N6thrust23THRUST_200600_302600_NS6detail15normal_iteratorINS9_10device_ptrIxEEEESE_x11max_functorIxExEEDaPvRmT3_T4_T5_mT6_P12ihipStream_tbENKUlT_T0_E_clISt17integral_constantIbLb0EESU_EEDaSP_SQ_EUlSP_E0_NS1_11comp_targetILNS1_3genE9ELNS1_11target_archE1100ELNS1_3gpuE3ELNS1_3repE0EEENS1_30default_config_static_selectorELNS0_4arch9wavefront6targetE1EEEvT1_
; %bb.0:
	.section	.rodata,"a",@progbits
	.p2align	6, 0x0
	.amdhsa_kernel _ZN7rocprim17ROCPRIM_400000_NS6detail17trampoline_kernelINS0_14default_configENS1_20scan_config_selectorIxEEZZNS1_9scan_implILNS1_25lookback_scan_determinismE0ELb0ELb0ES3_N6thrust23THRUST_200600_302600_NS6detail15normal_iteratorINS9_10device_ptrIxEEEESE_x11max_functorIxExEEDaPvRmT3_T4_T5_mT6_P12ihipStream_tbENKUlT_T0_E_clISt17integral_constantIbLb0EESU_EEDaSP_SQ_EUlSP_E0_NS1_11comp_targetILNS1_3genE9ELNS1_11target_archE1100ELNS1_3gpuE3ELNS1_3repE0EEENS1_30default_config_static_selectorELNS0_4arch9wavefront6targetE1EEEvT1_
		.amdhsa_group_segment_fixed_size 0
		.amdhsa_private_segment_fixed_size 0
		.amdhsa_kernarg_size 40
		.amdhsa_user_sgpr_count 6
		.amdhsa_user_sgpr_private_segment_buffer 1
		.amdhsa_user_sgpr_dispatch_ptr 0
		.amdhsa_user_sgpr_queue_ptr 0
		.amdhsa_user_sgpr_kernarg_segment_ptr 1
		.amdhsa_user_sgpr_dispatch_id 0
		.amdhsa_user_sgpr_flat_scratch_init 0
		.amdhsa_user_sgpr_kernarg_preload_length 0
		.amdhsa_user_sgpr_kernarg_preload_offset 0
		.amdhsa_user_sgpr_private_segment_size 0
		.amdhsa_uses_dynamic_stack 0
		.amdhsa_system_sgpr_private_segment_wavefront_offset 0
		.amdhsa_system_sgpr_workgroup_id_x 1
		.amdhsa_system_sgpr_workgroup_id_y 0
		.amdhsa_system_sgpr_workgroup_id_z 0
		.amdhsa_system_sgpr_workgroup_info 0
		.amdhsa_system_vgpr_workitem_id 0
		.amdhsa_next_free_vgpr 1
		.amdhsa_next_free_sgpr 0
		.amdhsa_accum_offset 4
		.amdhsa_reserve_vcc 0
		.amdhsa_reserve_flat_scratch 0
		.amdhsa_float_round_mode_32 0
		.amdhsa_float_round_mode_16_64 0
		.amdhsa_float_denorm_mode_32 3
		.amdhsa_float_denorm_mode_16_64 3
		.amdhsa_dx10_clamp 1
		.amdhsa_ieee_mode 1
		.amdhsa_fp16_overflow 0
		.amdhsa_tg_split 0
		.amdhsa_exception_fp_ieee_invalid_op 0
		.amdhsa_exception_fp_denorm_src 0
		.amdhsa_exception_fp_ieee_div_zero 0
		.amdhsa_exception_fp_ieee_overflow 0
		.amdhsa_exception_fp_ieee_underflow 0
		.amdhsa_exception_fp_ieee_inexact 0
		.amdhsa_exception_int_div_zero 0
	.end_amdhsa_kernel
	.section	.text._ZN7rocprim17ROCPRIM_400000_NS6detail17trampoline_kernelINS0_14default_configENS1_20scan_config_selectorIxEEZZNS1_9scan_implILNS1_25lookback_scan_determinismE0ELb0ELb0ES3_N6thrust23THRUST_200600_302600_NS6detail15normal_iteratorINS9_10device_ptrIxEEEESE_x11max_functorIxExEEDaPvRmT3_T4_T5_mT6_P12ihipStream_tbENKUlT_T0_E_clISt17integral_constantIbLb0EESU_EEDaSP_SQ_EUlSP_E0_NS1_11comp_targetILNS1_3genE9ELNS1_11target_archE1100ELNS1_3gpuE3ELNS1_3repE0EEENS1_30default_config_static_selectorELNS0_4arch9wavefront6targetE1EEEvT1_,"axG",@progbits,_ZN7rocprim17ROCPRIM_400000_NS6detail17trampoline_kernelINS0_14default_configENS1_20scan_config_selectorIxEEZZNS1_9scan_implILNS1_25lookback_scan_determinismE0ELb0ELb0ES3_N6thrust23THRUST_200600_302600_NS6detail15normal_iteratorINS9_10device_ptrIxEEEESE_x11max_functorIxExEEDaPvRmT3_T4_T5_mT6_P12ihipStream_tbENKUlT_T0_E_clISt17integral_constantIbLb0EESU_EEDaSP_SQ_EUlSP_E0_NS1_11comp_targetILNS1_3genE9ELNS1_11target_archE1100ELNS1_3gpuE3ELNS1_3repE0EEENS1_30default_config_static_selectorELNS0_4arch9wavefront6targetE1EEEvT1_,comdat
.Lfunc_end2574:
	.size	_ZN7rocprim17ROCPRIM_400000_NS6detail17trampoline_kernelINS0_14default_configENS1_20scan_config_selectorIxEEZZNS1_9scan_implILNS1_25lookback_scan_determinismE0ELb0ELb0ES3_N6thrust23THRUST_200600_302600_NS6detail15normal_iteratorINS9_10device_ptrIxEEEESE_x11max_functorIxExEEDaPvRmT3_T4_T5_mT6_P12ihipStream_tbENKUlT_T0_E_clISt17integral_constantIbLb0EESU_EEDaSP_SQ_EUlSP_E0_NS1_11comp_targetILNS1_3genE9ELNS1_11target_archE1100ELNS1_3gpuE3ELNS1_3repE0EEENS1_30default_config_static_selectorELNS0_4arch9wavefront6targetE1EEEvT1_, .Lfunc_end2574-_ZN7rocprim17ROCPRIM_400000_NS6detail17trampoline_kernelINS0_14default_configENS1_20scan_config_selectorIxEEZZNS1_9scan_implILNS1_25lookback_scan_determinismE0ELb0ELb0ES3_N6thrust23THRUST_200600_302600_NS6detail15normal_iteratorINS9_10device_ptrIxEEEESE_x11max_functorIxExEEDaPvRmT3_T4_T5_mT6_P12ihipStream_tbENKUlT_T0_E_clISt17integral_constantIbLb0EESU_EEDaSP_SQ_EUlSP_E0_NS1_11comp_targetILNS1_3genE9ELNS1_11target_archE1100ELNS1_3gpuE3ELNS1_3repE0EEENS1_30default_config_static_selectorELNS0_4arch9wavefront6targetE1EEEvT1_
                                        ; -- End function
	.section	.AMDGPU.csdata,"",@progbits
; Kernel info:
; codeLenInByte = 0
; NumSgprs: 4
; NumVgprs: 0
; NumAgprs: 0
; TotalNumVgprs: 0
; ScratchSize: 0
; MemoryBound: 0
; FloatMode: 240
; IeeeMode: 1
; LDSByteSize: 0 bytes/workgroup (compile time only)
; SGPRBlocks: 0
; VGPRBlocks: 0
; NumSGPRsForWavesPerEU: 4
; NumVGPRsForWavesPerEU: 1
; AccumOffset: 4
; Occupancy: 8
; WaveLimiterHint : 0
; COMPUTE_PGM_RSRC2:SCRATCH_EN: 0
; COMPUTE_PGM_RSRC2:USER_SGPR: 6
; COMPUTE_PGM_RSRC2:TRAP_HANDLER: 0
; COMPUTE_PGM_RSRC2:TGID_X_EN: 1
; COMPUTE_PGM_RSRC2:TGID_Y_EN: 0
; COMPUTE_PGM_RSRC2:TGID_Z_EN: 0
; COMPUTE_PGM_RSRC2:TIDIG_COMP_CNT: 0
; COMPUTE_PGM_RSRC3_GFX90A:ACCUM_OFFSET: 0
; COMPUTE_PGM_RSRC3_GFX90A:TG_SPLIT: 0
	.section	.text._ZN7rocprim17ROCPRIM_400000_NS6detail17trampoline_kernelINS0_14default_configENS1_20scan_config_selectorIxEEZZNS1_9scan_implILNS1_25lookback_scan_determinismE0ELb0ELb0ES3_N6thrust23THRUST_200600_302600_NS6detail15normal_iteratorINS9_10device_ptrIxEEEESE_x11max_functorIxExEEDaPvRmT3_T4_T5_mT6_P12ihipStream_tbENKUlT_T0_E_clISt17integral_constantIbLb0EESU_EEDaSP_SQ_EUlSP_E0_NS1_11comp_targetILNS1_3genE8ELNS1_11target_archE1030ELNS1_3gpuE2ELNS1_3repE0EEENS1_30default_config_static_selectorELNS0_4arch9wavefront6targetE1EEEvT1_,"axG",@progbits,_ZN7rocprim17ROCPRIM_400000_NS6detail17trampoline_kernelINS0_14default_configENS1_20scan_config_selectorIxEEZZNS1_9scan_implILNS1_25lookback_scan_determinismE0ELb0ELb0ES3_N6thrust23THRUST_200600_302600_NS6detail15normal_iteratorINS9_10device_ptrIxEEEESE_x11max_functorIxExEEDaPvRmT3_T4_T5_mT6_P12ihipStream_tbENKUlT_T0_E_clISt17integral_constantIbLb0EESU_EEDaSP_SQ_EUlSP_E0_NS1_11comp_targetILNS1_3genE8ELNS1_11target_archE1030ELNS1_3gpuE2ELNS1_3repE0EEENS1_30default_config_static_selectorELNS0_4arch9wavefront6targetE1EEEvT1_,comdat
	.protected	_ZN7rocprim17ROCPRIM_400000_NS6detail17trampoline_kernelINS0_14default_configENS1_20scan_config_selectorIxEEZZNS1_9scan_implILNS1_25lookback_scan_determinismE0ELb0ELb0ES3_N6thrust23THRUST_200600_302600_NS6detail15normal_iteratorINS9_10device_ptrIxEEEESE_x11max_functorIxExEEDaPvRmT3_T4_T5_mT6_P12ihipStream_tbENKUlT_T0_E_clISt17integral_constantIbLb0EESU_EEDaSP_SQ_EUlSP_E0_NS1_11comp_targetILNS1_3genE8ELNS1_11target_archE1030ELNS1_3gpuE2ELNS1_3repE0EEENS1_30default_config_static_selectorELNS0_4arch9wavefront6targetE1EEEvT1_ ; -- Begin function _ZN7rocprim17ROCPRIM_400000_NS6detail17trampoline_kernelINS0_14default_configENS1_20scan_config_selectorIxEEZZNS1_9scan_implILNS1_25lookback_scan_determinismE0ELb0ELb0ES3_N6thrust23THRUST_200600_302600_NS6detail15normal_iteratorINS9_10device_ptrIxEEEESE_x11max_functorIxExEEDaPvRmT3_T4_T5_mT6_P12ihipStream_tbENKUlT_T0_E_clISt17integral_constantIbLb0EESU_EEDaSP_SQ_EUlSP_E0_NS1_11comp_targetILNS1_3genE8ELNS1_11target_archE1030ELNS1_3gpuE2ELNS1_3repE0EEENS1_30default_config_static_selectorELNS0_4arch9wavefront6targetE1EEEvT1_
	.globl	_ZN7rocprim17ROCPRIM_400000_NS6detail17trampoline_kernelINS0_14default_configENS1_20scan_config_selectorIxEEZZNS1_9scan_implILNS1_25lookback_scan_determinismE0ELb0ELb0ES3_N6thrust23THRUST_200600_302600_NS6detail15normal_iteratorINS9_10device_ptrIxEEEESE_x11max_functorIxExEEDaPvRmT3_T4_T5_mT6_P12ihipStream_tbENKUlT_T0_E_clISt17integral_constantIbLb0EESU_EEDaSP_SQ_EUlSP_E0_NS1_11comp_targetILNS1_3genE8ELNS1_11target_archE1030ELNS1_3gpuE2ELNS1_3repE0EEENS1_30default_config_static_selectorELNS0_4arch9wavefront6targetE1EEEvT1_
	.p2align	8
	.type	_ZN7rocprim17ROCPRIM_400000_NS6detail17trampoline_kernelINS0_14default_configENS1_20scan_config_selectorIxEEZZNS1_9scan_implILNS1_25lookback_scan_determinismE0ELb0ELb0ES3_N6thrust23THRUST_200600_302600_NS6detail15normal_iteratorINS9_10device_ptrIxEEEESE_x11max_functorIxExEEDaPvRmT3_T4_T5_mT6_P12ihipStream_tbENKUlT_T0_E_clISt17integral_constantIbLb0EESU_EEDaSP_SQ_EUlSP_E0_NS1_11comp_targetILNS1_3genE8ELNS1_11target_archE1030ELNS1_3gpuE2ELNS1_3repE0EEENS1_30default_config_static_selectorELNS0_4arch9wavefront6targetE1EEEvT1_,@function
_ZN7rocprim17ROCPRIM_400000_NS6detail17trampoline_kernelINS0_14default_configENS1_20scan_config_selectorIxEEZZNS1_9scan_implILNS1_25lookback_scan_determinismE0ELb0ELb0ES3_N6thrust23THRUST_200600_302600_NS6detail15normal_iteratorINS9_10device_ptrIxEEEESE_x11max_functorIxExEEDaPvRmT3_T4_T5_mT6_P12ihipStream_tbENKUlT_T0_E_clISt17integral_constantIbLb0EESU_EEDaSP_SQ_EUlSP_E0_NS1_11comp_targetILNS1_3genE8ELNS1_11target_archE1030ELNS1_3gpuE2ELNS1_3repE0EEENS1_30default_config_static_selectorELNS0_4arch9wavefront6targetE1EEEvT1_: ; @_ZN7rocprim17ROCPRIM_400000_NS6detail17trampoline_kernelINS0_14default_configENS1_20scan_config_selectorIxEEZZNS1_9scan_implILNS1_25lookback_scan_determinismE0ELb0ELb0ES3_N6thrust23THRUST_200600_302600_NS6detail15normal_iteratorINS9_10device_ptrIxEEEESE_x11max_functorIxExEEDaPvRmT3_T4_T5_mT6_P12ihipStream_tbENKUlT_T0_E_clISt17integral_constantIbLb0EESU_EEDaSP_SQ_EUlSP_E0_NS1_11comp_targetILNS1_3genE8ELNS1_11target_archE1030ELNS1_3gpuE2ELNS1_3repE0EEENS1_30default_config_static_selectorELNS0_4arch9wavefront6targetE1EEEvT1_
; %bb.0:
	.section	.rodata,"a",@progbits
	.p2align	6, 0x0
	.amdhsa_kernel _ZN7rocprim17ROCPRIM_400000_NS6detail17trampoline_kernelINS0_14default_configENS1_20scan_config_selectorIxEEZZNS1_9scan_implILNS1_25lookback_scan_determinismE0ELb0ELb0ES3_N6thrust23THRUST_200600_302600_NS6detail15normal_iteratorINS9_10device_ptrIxEEEESE_x11max_functorIxExEEDaPvRmT3_T4_T5_mT6_P12ihipStream_tbENKUlT_T0_E_clISt17integral_constantIbLb0EESU_EEDaSP_SQ_EUlSP_E0_NS1_11comp_targetILNS1_3genE8ELNS1_11target_archE1030ELNS1_3gpuE2ELNS1_3repE0EEENS1_30default_config_static_selectorELNS0_4arch9wavefront6targetE1EEEvT1_
		.amdhsa_group_segment_fixed_size 0
		.amdhsa_private_segment_fixed_size 0
		.amdhsa_kernarg_size 40
		.amdhsa_user_sgpr_count 6
		.amdhsa_user_sgpr_private_segment_buffer 1
		.amdhsa_user_sgpr_dispatch_ptr 0
		.amdhsa_user_sgpr_queue_ptr 0
		.amdhsa_user_sgpr_kernarg_segment_ptr 1
		.amdhsa_user_sgpr_dispatch_id 0
		.amdhsa_user_sgpr_flat_scratch_init 0
		.amdhsa_user_sgpr_kernarg_preload_length 0
		.amdhsa_user_sgpr_kernarg_preload_offset 0
		.amdhsa_user_sgpr_private_segment_size 0
		.amdhsa_uses_dynamic_stack 0
		.amdhsa_system_sgpr_private_segment_wavefront_offset 0
		.amdhsa_system_sgpr_workgroup_id_x 1
		.amdhsa_system_sgpr_workgroup_id_y 0
		.amdhsa_system_sgpr_workgroup_id_z 0
		.amdhsa_system_sgpr_workgroup_info 0
		.amdhsa_system_vgpr_workitem_id 0
		.amdhsa_next_free_vgpr 1
		.amdhsa_next_free_sgpr 0
		.amdhsa_accum_offset 4
		.amdhsa_reserve_vcc 0
		.amdhsa_reserve_flat_scratch 0
		.amdhsa_float_round_mode_32 0
		.amdhsa_float_round_mode_16_64 0
		.amdhsa_float_denorm_mode_32 3
		.amdhsa_float_denorm_mode_16_64 3
		.amdhsa_dx10_clamp 1
		.amdhsa_ieee_mode 1
		.amdhsa_fp16_overflow 0
		.amdhsa_tg_split 0
		.amdhsa_exception_fp_ieee_invalid_op 0
		.amdhsa_exception_fp_denorm_src 0
		.amdhsa_exception_fp_ieee_div_zero 0
		.amdhsa_exception_fp_ieee_overflow 0
		.amdhsa_exception_fp_ieee_underflow 0
		.amdhsa_exception_fp_ieee_inexact 0
		.amdhsa_exception_int_div_zero 0
	.end_amdhsa_kernel
	.section	.text._ZN7rocprim17ROCPRIM_400000_NS6detail17trampoline_kernelINS0_14default_configENS1_20scan_config_selectorIxEEZZNS1_9scan_implILNS1_25lookback_scan_determinismE0ELb0ELb0ES3_N6thrust23THRUST_200600_302600_NS6detail15normal_iteratorINS9_10device_ptrIxEEEESE_x11max_functorIxExEEDaPvRmT3_T4_T5_mT6_P12ihipStream_tbENKUlT_T0_E_clISt17integral_constantIbLb0EESU_EEDaSP_SQ_EUlSP_E0_NS1_11comp_targetILNS1_3genE8ELNS1_11target_archE1030ELNS1_3gpuE2ELNS1_3repE0EEENS1_30default_config_static_selectorELNS0_4arch9wavefront6targetE1EEEvT1_,"axG",@progbits,_ZN7rocprim17ROCPRIM_400000_NS6detail17trampoline_kernelINS0_14default_configENS1_20scan_config_selectorIxEEZZNS1_9scan_implILNS1_25lookback_scan_determinismE0ELb0ELb0ES3_N6thrust23THRUST_200600_302600_NS6detail15normal_iteratorINS9_10device_ptrIxEEEESE_x11max_functorIxExEEDaPvRmT3_T4_T5_mT6_P12ihipStream_tbENKUlT_T0_E_clISt17integral_constantIbLb0EESU_EEDaSP_SQ_EUlSP_E0_NS1_11comp_targetILNS1_3genE8ELNS1_11target_archE1030ELNS1_3gpuE2ELNS1_3repE0EEENS1_30default_config_static_selectorELNS0_4arch9wavefront6targetE1EEEvT1_,comdat
.Lfunc_end2575:
	.size	_ZN7rocprim17ROCPRIM_400000_NS6detail17trampoline_kernelINS0_14default_configENS1_20scan_config_selectorIxEEZZNS1_9scan_implILNS1_25lookback_scan_determinismE0ELb0ELb0ES3_N6thrust23THRUST_200600_302600_NS6detail15normal_iteratorINS9_10device_ptrIxEEEESE_x11max_functorIxExEEDaPvRmT3_T4_T5_mT6_P12ihipStream_tbENKUlT_T0_E_clISt17integral_constantIbLb0EESU_EEDaSP_SQ_EUlSP_E0_NS1_11comp_targetILNS1_3genE8ELNS1_11target_archE1030ELNS1_3gpuE2ELNS1_3repE0EEENS1_30default_config_static_selectorELNS0_4arch9wavefront6targetE1EEEvT1_, .Lfunc_end2575-_ZN7rocprim17ROCPRIM_400000_NS6detail17trampoline_kernelINS0_14default_configENS1_20scan_config_selectorIxEEZZNS1_9scan_implILNS1_25lookback_scan_determinismE0ELb0ELb0ES3_N6thrust23THRUST_200600_302600_NS6detail15normal_iteratorINS9_10device_ptrIxEEEESE_x11max_functorIxExEEDaPvRmT3_T4_T5_mT6_P12ihipStream_tbENKUlT_T0_E_clISt17integral_constantIbLb0EESU_EEDaSP_SQ_EUlSP_E0_NS1_11comp_targetILNS1_3genE8ELNS1_11target_archE1030ELNS1_3gpuE2ELNS1_3repE0EEENS1_30default_config_static_selectorELNS0_4arch9wavefront6targetE1EEEvT1_
                                        ; -- End function
	.section	.AMDGPU.csdata,"",@progbits
; Kernel info:
; codeLenInByte = 0
; NumSgprs: 4
; NumVgprs: 0
; NumAgprs: 0
; TotalNumVgprs: 0
; ScratchSize: 0
; MemoryBound: 0
; FloatMode: 240
; IeeeMode: 1
; LDSByteSize: 0 bytes/workgroup (compile time only)
; SGPRBlocks: 0
; VGPRBlocks: 0
; NumSGPRsForWavesPerEU: 4
; NumVGPRsForWavesPerEU: 1
; AccumOffset: 4
; Occupancy: 8
; WaveLimiterHint : 0
; COMPUTE_PGM_RSRC2:SCRATCH_EN: 0
; COMPUTE_PGM_RSRC2:USER_SGPR: 6
; COMPUTE_PGM_RSRC2:TRAP_HANDLER: 0
; COMPUTE_PGM_RSRC2:TGID_X_EN: 1
; COMPUTE_PGM_RSRC2:TGID_Y_EN: 0
; COMPUTE_PGM_RSRC2:TGID_Z_EN: 0
; COMPUTE_PGM_RSRC2:TIDIG_COMP_CNT: 0
; COMPUTE_PGM_RSRC3_GFX90A:ACCUM_OFFSET: 0
; COMPUTE_PGM_RSRC3_GFX90A:TG_SPLIT: 0
	.section	.text._ZN7rocprim17ROCPRIM_400000_NS6detail17trampoline_kernelINS0_14default_configENS1_20scan_config_selectorIxEEZZNS1_9scan_implILNS1_25lookback_scan_determinismE0ELb0ELb0ES3_N6thrust23THRUST_200600_302600_NS6detail15normal_iteratorINS9_10device_ptrIxEEEESE_x11max_functorIxExEEDaPvRmT3_T4_T5_mT6_P12ihipStream_tbENKUlT_T0_E_clISt17integral_constantIbLb1EESU_EEDaSP_SQ_EUlSP_E_NS1_11comp_targetILNS1_3genE0ELNS1_11target_archE4294967295ELNS1_3gpuE0ELNS1_3repE0EEENS1_30default_config_static_selectorELNS0_4arch9wavefront6targetE1EEEvT1_,"axG",@progbits,_ZN7rocprim17ROCPRIM_400000_NS6detail17trampoline_kernelINS0_14default_configENS1_20scan_config_selectorIxEEZZNS1_9scan_implILNS1_25lookback_scan_determinismE0ELb0ELb0ES3_N6thrust23THRUST_200600_302600_NS6detail15normal_iteratorINS9_10device_ptrIxEEEESE_x11max_functorIxExEEDaPvRmT3_T4_T5_mT6_P12ihipStream_tbENKUlT_T0_E_clISt17integral_constantIbLb1EESU_EEDaSP_SQ_EUlSP_E_NS1_11comp_targetILNS1_3genE0ELNS1_11target_archE4294967295ELNS1_3gpuE0ELNS1_3repE0EEENS1_30default_config_static_selectorELNS0_4arch9wavefront6targetE1EEEvT1_,comdat
	.protected	_ZN7rocprim17ROCPRIM_400000_NS6detail17trampoline_kernelINS0_14default_configENS1_20scan_config_selectorIxEEZZNS1_9scan_implILNS1_25lookback_scan_determinismE0ELb0ELb0ES3_N6thrust23THRUST_200600_302600_NS6detail15normal_iteratorINS9_10device_ptrIxEEEESE_x11max_functorIxExEEDaPvRmT3_T4_T5_mT6_P12ihipStream_tbENKUlT_T0_E_clISt17integral_constantIbLb1EESU_EEDaSP_SQ_EUlSP_E_NS1_11comp_targetILNS1_3genE0ELNS1_11target_archE4294967295ELNS1_3gpuE0ELNS1_3repE0EEENS1_30default_config_static_selectorELNS0_4arch9wavefront6targetE1EEEvT1_ ; -- Begin function _ZN7rocprim17ROCPRIM_400000_NS6detail17trampoline_kernelINS0_14default_configENS1_20scan_config_selectorIxEEZZNS1_9scan_implILNS1_25lookback_scan_determinismE0ELb0ELb0ES3_N6thrust23THRUST_200600_302600_NS6detail15normal_iteratorINS9_10device_ptrIxEEEESE_x11max_functorIxExEEDaPvRmT3_T4_T5_mT6_P12ihipStream_tbENKUlT_T0_E_clISt17integral_constantIbLb1EESU_EEDaSP_SQ_EUlSP_E_NS1_11comp_targetILNS1_3genE0ELNS1_11target_archE4294967295ELNS1_3gpuE0ELNS1_3repE0EEENS1_30default_config_static_selectorELNS0_4arch9wavefront6targetE1EEEvT1_
	.globl	_ZN7rocprim17ROCPRIM_400000_NS6detail17trampoline_kernelINS0_14default_configENS1_20scan_config_selectorIxEEZZNS1_9scan_implILNS1_25lookback_scan_determinismE0ELb0ELb0ES3_N6thrust23THRUST_200600_302600_NS6detail15normal_iteratorINS9_10device_ptrIxEEEESE_x11max_functorIxExEEDaPvRmT3_T4_T5_mT6_P12ihipStream_tbENKUlT_T0_E_clISt17integral_constantIbLb1EESU_EEDaSP_SQ_EUlSP_E_NS1_11comp_targetILNS1_3genE0ELNS1_11target_archE4294967295ELNS1_3gpuE0ELNS1_3repE0EEENS1_30default_config_static_selectorELNS0_4arch9wavefront6targetE1EEEvT1_
	.p2align	8
	.type	_ZN7rocprim17ROCPRIM_400000_NS6detail17trampoline_kernelINS0_14default_configENS1_20scan_config_selectorIxEEZZNS1_9scan_implILNS1_25lookback_scan_determinismE0ELb0ELb0ES3_N6thrust23THRUST_200600_302600_NS6detail15normal_iteratorINS9_10device_ptrIxEEEESE_x11max_functorIxExEEDaPvRmT3_T4_T5_mT6_P12ihipStream_tbENKUlT_T0_E_clISt17integral_constantIbLb1EESU_EEDaSP_SQ_EUlSP_E_NS1_11comp_targetILNS1_3genE0ELNS1_11target_archE4294967295ELNS1_3gpuE0ELNS1_3repE0EEENS1_30default_config_static_selectorELNS0_4arch9wavefront6targetE1EEEvT1_,@function
_ZN7rocprim17ROCPRIM_400000_NS6detail17trampoline_kernelINS0_14default_configENS1_20scan_config_selectorIxEEZZNS1_9scan_implILNS1_25lookback_scan_determinismE0ELb0ELb0ES3_N6thrust23THRUST_200600_302600_NS6detail15normal_iteratorINS9_10device_ptrIxEEEESE_x11max_functorIxExEEDaPvRmT3_T4_T5_mT6_P12ihipStream_tbENKUlT_T0_E_clISt17integral_constantIbLb1EESU_EEDaSP_SQ_EUlSP_E_NS1_11comp_targetILNS1_3genE0ELNS1_11target_archE4294967295ELNS1_3gpuE0ELNS1_3repE0EEENS1_30default_config_static_selectorELNS0_4arch9wavefront6targetE1EEEvT1_: ; @_ZN7rocprim17ROCPRIM_400000_NS6detail17trampoline_kernelINS0_14default_configENS1_20scan_config_selectorIxEEZZNS1_9scan_implILNS1_25lookback_scan_determinismE0ELb0ELb0ES3_N6thrust23THRUST_200600_302600_NS6detail15normal_iteratorINS9_10device_ptrIxEEEESE_x11max_functorIxExEEDaPvRmT3_T4_T5_mT6_P12ihipStream_tbENKUlT_T0_E_clISt17integral_constantIbLb1EESU_EEDaSP_SQ_EUlSP_E_NS1_11comp_targetILNS1_3genE0ELNS1_11target_archE4294967295ELNS1_3gpuE0ELNS1_3repE0EEENS1_30default_config_static_selectorELNS0_4arch9wavefront6targetE1EEEvT1_
; %bb.0:
	.section	.rodata,"a",@progbits
	.p2align	6, 0x0
	.amdhsa_kernel _ZN7rocprim17ROCPRIM_400000_NS6detail17trampoline_kernelINS0_14default_configENS1_20scan_config_selectorIxEEZZNS1_9scan_implILNS1_25lookback_scan_determinismE0ELb0ELb0ES3_N6thrust23THRUST_200600_302600_NS6detail15normal_iteratorINS9_10device_ptrIxEEEESE_x11max_functorIxExEEDaPvRmT3_T4_T5_mT6_P12ihipStream_tbENKUlT_T0_E_clISt17integral_constantIbLb1EESU_EEDaSP_SQ_EUlSP_E_NS1_11comp_targetILNS1_3genE0ELNS1_11target_archE4294967295ELNS1_3gpuE0ELNS1_3repE0EEENS1_30default_config_static_selectorELNS0_4arch9wavefront6targetE1EEEvT1_
		.amdhsa_group_segment_fixed_size 0
		.amdhsa_private_segment_fixed_size 0
		.amdhsa_kernarg_size 104
		.amdhsa_user_sgpr_count 6
		.amdhsa_user_sgpr_private_segment_buffer 1
		.amdhsa_user_sgpr_dispatch_ptr 0
		.amdhsa_user_sgpr_queue_ptr 0
		.amdhsa_user_sgpr_kernarg_segment_ptr 1
		.amdhsa_user_sgpr_dispatch_id 0
		.amdhsa_user_sgpr_flat_scratch_init 0
		.amdhsa_user_sgpr_kernarg_preload_length 0
		.amdhsa_user_sgpr_kernarg_preload_offset 0
		.amdhsa_user_sgpr_private_segment_size 0
		.amdhsa_uses_dynamic_stack 0
		.amdhsa_system_sgpr_private_segment_wavefront_offset 0
		.amdhsa_system_sgpr_workgroup_id_x 1
		.amdhsa_system_sgpr_workgroup_id_y 0
		.amdhsa_system_sgpr_workgroup_id_z 0
		.amdhsa_system_sgpr_workgroup_info 0
		.amdhsa_system_vgpr_workitem_id 0
		.amdhsa_next_free_vgpr 1
		.amdhsa_next_free_sgpr 0
		.amdhsa_accum_offset 4
		.amdhsa_reserve_vcc 0
		.amdhsa_reserve_flat_scratch 0
		.amdhsa_float_round_mode_32 0
		.amdhsa_float_round_mode_16_64 0
		.amdhsa_float_denorm_mode_32 3
		.amdhsa_float_denorm_mode_16_64 3
		.amdhsa_dx10_clamp 1
		.amdhsa_ieee_mode 1
		.amdhsa_fp16_overflow 0
		.amdhsa_tg_split 0
		.amdhsa_exception_fp_ieee_invalid_op 0
		.amdhsa_exception_fp_denorm_src 0
		.amdhsa_exception_fp_ieee_div_zero 0
		.amdhsa_exception_fp_ieee_overflow 0
		.amdhsa_exception_fp_ieee_underflow 0
		.amdhsa_exception_fp_ieee_inexact 0
		.amdhsa_exception_int_div_zero 0
	.end_amdhsa_kernel
	.section	.text._ZN7rocprim17ROCPRIM_400000_NS6detail17trampoline_kernelINS0_14default_configENS1_20scan_config_selectorIxEEZZNS1_9scan_implILNS1_25lookback_scan_determinismE0ELb0ELb0ES3_N6thrust23THRUST_200600_302600_NS6detail15normal_iteratorINS9_10device_ptrIxEEEESE_x11max_functorIxExEEDaPvRmT3_T4_T5_mT6_P12ihipStream_tbENKUlT_T0_E_clISt17integral_constantIbLb1EESU_EEDaSP_SQ_EUlSP_E_NS1_11comp_targetILNS1_3genE0ELNS1_11target_archE4294967295ELNS1_3gpuE0ELNS1_3repE0EEENS1_30default_config_static_selectorELNS0_4arch9wavefront6targetE1EEEvT1_,"axG",@progbits,_ZN7rocprim17ROCPRIM_400000_NS6detail17trampoline_kernelINS0_14default_configENS1_20scan_config_selectorIxEEZZNS1_9scan_implILNS1_25lookback_scan_determinismE0ELb0ELb0ES3_N6thrust23THRUST_200600_302600_NS6detail15normal_iteratorINS9_10device_ptrIxEEEESE_x11max_functorIxExEEDaPvRmT3_T4_T5_mT6_P12ihipStream_tbENKUlT_T0_E_clISt17integral_constantIbLb1EESU_EEDaSP_SQ_EUlSP_E_NS1_11comp_targetILNS1_3genE0ELNS1_11target_archE4294967295ELNS1_3gpuE0ELNS1_3repE0EEENS1_30default_config_static_selectorELNS0_4arch9wavefront6targetE1EEEvT1_,comdat
.Lfunc_end2576:
	.size	_ZN7rocprim17ROCPRIM_400000_NS6detail17trampoline_kernelINS0_14default_configENS1_20scan_config_selectorIxEEZZNS1_9scan_implILNS1_25lookback_scan_determinismE0ELb0ELb0ES3_N6thrust23THRUST_200600_302600_NS6detail15normal_iteratorINS9_10device_ptrIxEEEESE_x11max_functorIxExEEDaPvRmT3_T4_T5_mT6_P12ihipStream_tbENKUlT_T0_E_clISt17integral_constantIbLb1EESU_EEDaSP_SQ_EUlSP_E_NS1_11comp_targetILNS1_3genE0ELNS1_11target_archE4294967295ELNS1_3gpuE0ELNS1_3repE0EEENS1_30default_config_static_selectorELNS0_4arch9wavefront6targetE1EEEvT1_, .Lfunc_end2576-_ZN7rocprim17ROCPRIM_400000_NS6detail17trampoline_kernelINS0_14default_configENS1_20scan_config_selectorIxEEZZNS1_9scan_implILNS1_25lookback_scan_determinismE0ELb0ELb0ES3_N6thrust23THRUST_200600_302600_NS6detail15normal_iteratorINS9_10device_ptrIxEEEESE_x11max_functorIxExEEDaPvRmT3_T4_T5_mT6_P12ihipStream_tbENKUlT_T0_E_clISt17integral_constantIbLb1EESU_EEDaSP_SQ_EUlSP_E_NS1_11comp_targetILNS1_3genE0ELNS1_11target_archE4294967295ELNS1_3gpuE0ELNS1_3repE0EEENS1_30default_config_static_selectorELNS0_4arch9wavefront6targetE1EEEvT1_
                                        ; -- End function
	.section	.AMDGPU.csdata,"",@progbits
; Kernel info:
; codeLenInByte = 0
; NumSgprs: 4
; NumVgprs: 0
; NumAgprs: 0
; TotalNumVgprs: 0
; ScratchSize: 0
; MemoryBound: 0
; FloatMode: 240
; IeeeMode: 1
; LDSByteSize: 0 bytes/workgroup (compile time only)
; SGPRBlocks: 0
; VGPRBlocks: 0
; NumSGPRsForWavesPerEU: 4
; NumVGPRsForWavesPerEU: 1
; AccumOffset: 4
; Occupancy: 8
; WaveLimiterHint : 0
; COMPUTE_PGM_RSRC2:SCRATCH_EN: 0
; COMPUTE_PGM_RSRC2:USER_SGPR: 6
; COMPUTE_PGM_RSRC2:TRAP_HANDLER: 0
; COMPUTE_PGM_RSRC2:TGID_X_EN: 1
; COMPUTE_PGM_RSRC2:TGID_Y_EN: 0
; COMPUTE_PGM_RSRC2:TGID_Z_EN: 0
; COMPUTE_PGM_RSRC2:TIDIG_COMP_CNT: 0
; COMPUTE_PGM_RSRC3_GFX90A:ACCUM_OFFSET: 0
; COMPUTE_PGM_RSRC3_GFX90A:TG_SPLIT: 0
	.section	.text._ZN7rocprim17ROCPRIM_400000_NS6detail17trampoline_kernelINS0_14default_configENS1_20scan_config_selectorIxEEZZNS1_9scan_implILNS1_25lookback_scan_determinismE0ELb0ELb0ES3_N6thrust23THRUST_200600_302600_NS6detail15normal_iteratorINS9_10device_ptrIxEEEESE_x11max_functorIxExEEDaPvRmT3_T4_T5_mT6_P12ihipStream_tbENKUlT_T0_E_clISt17integral_constantIbLb1EESU_EEDaSP_SQ_EUlSP_E_NS1_11comp_targetILNS1_3genE5ELNS1_11target_archE942ELNS1_3gpuE9ELNS1_3repE0EEENS1_30default_config_static_selectorELNS0_4arch9wavefront6targetE1EEEvT1_,"axG",@progbits,_ZN7rocprim17ROCPRIM_400000_NS6detail17trampoline_kernelINS0_14default_configENS1_20scan_config_selectorIxEEZZNS1_9scan_implILNS1_25lookback_scan_determinismE0ELb0ELb0ES3_N6thrust23THRUST_200600_302600_NS6detail15normal_iteratorINS9_10device_ptrIxEEEESE_x11max_functorIxExEEDaPvRmT3_T4_T5_mT6_P12ihipStream_tbENKUlT_T0_E_clISt17integral_constantIbLb1EESU_EEDaSP_SQ_EUlSP_E_NS1_11comp_targetILNS1_3genE5ELNS1_11target_archE942ELNS1_3gpuE9ELNS1_3repE0EEENS1_30default_config_static_selectorELNS0_4arch9wavefront6targetE1EEEvT1_,comdat
	.protected	_ZN7rocprim17ROCPRIM_400000_NS6detail17trampoline_kernelINS0_14default_configENS1_20scan_config_selectorIxEEZZNS1_9scan_implILNS1_25lookback_scan_determinismE0ELb0ELb0ES3_N6thrust23THRUST_200600_302600_NS6detail15normal_iteratorINS9_10device_ptrIxEEEESE_x11max_functorIxExEEDaPvRmT3_T4_T5_mT6_P12ihipStream_tbENKUlT_T0_E_clISt17integral_constantIbLb1EESU_EEDaSP_SQ_EUlSP_E_NS1_11comp_targetILNS1_3genE5ELNS1_11target_archE942ELNS1_3gpuE9ELNS1_3repE0EEENS1_30default_config_static_selectorELNS0_4arch9wavefront6targetE1EEEvT1_ ; -- Begin function _ZN7rocprim17ROCPRIM_400000_NS6detail17trampoline_kernelINS0_14default_configENS1_20scan_config_selectorIxEEZZNS1_9scan_implILNS1_25lookback_scan_determinismE0ELb0ELb0ES3_N6thrust23THRUST_200600_302600_NS6detail15normal_iteratorINS9_10device_ptrIxEEEESE_x11max_functorIxExEEDaPvRmT3_T4_T5_mT6_P12ihipStream_tbENKUlT_T0_E_clISt17integral_constantIbLb1EESU_EEDaSP_SQ_EUlSP_E_NS1_11comp_targetILNS1_3genE5ELNS1_11target_archE942ELNS1_3gpuE9ELNS1_3repE0EEENS1_30default_config_static_selectorELNS0_4arch9wavefront6targetE1EEEvT1_
	.globl	_ZN7rocprim17ROCPRIM_400000_NS6detail17trampoline_kernelINS0_14default_configENS1_20scan_config_selectorIxEEZZNS1_9scan_implILNS1_25lookback_scan_determinismE0ELb0ELb0ES3_N6thrust23THRUST_200600_302600_NS6detail15normal_iteratorINS9_10device_ptrIxEEEESE_x11max_functorIxExEEDaPvRmT3_T4_T5_mT6_P12ihipStream_tbENKUlT_T0_E_clISt17integral_constantIbLb1EESU_EEDaSP_SQ_EUlSP_E_NS1_11comp_targetILNS1_3genE5ELNS1_11target_archE942ELNS1_3gpuE9ELNS1_3repE0EEENS1_30default_config_static_selectorELNS0_4arch9wavefront6targetE1EEEvT1_
	.p2align	8
	.type	_ZN7rocprim17ROCPRIM_400000_NS6detail17trampoline_kernelINS0_14default_configENS1_20scan_config_selectorIxEEZZNS1_9scan_implILNS1_25lookback_scan_determinismE0ELb0ELb0ES3_N6thrust23THRUST_200600_302600_NS6detail15normal_iteratorINS9_10device_ptrIxEEEESE_x11max_functorIxExEEDaPvRmT3_T4_T5_mT6_P12ihipStream_tbENKUlT_T0_E_clISt17integral_constantIbLb1EESU_EEDaSP_SQ_EUlSP_E_NS1_11comp_targetILNS1_3genE5ELNS1_11target_archE942ELNS1_3gpuE9ELNS1_3repE0EEENS1_30default_config_static_selectorELNS0_4arch9wavefront6targetE1EEEvT1_,@function
_ZN7rocprim17ROCPRIM_400000_NS6detail17trampoline_kernelINS0_14default_configENS1_20scan_config_selectorIxEEZZNS1_9scan_implILNS1_25lookback_scan_determinismE0ELb0ELb0ES3_N6thrust23THRUST_200600_302600_NS6detail15normal_iteratorINS9_10device_ptrIxEEEESE_x11max_functorIxExEEDaPvRmT3_T4_T5_mT6_P12ihipStream_tbENKUlT_T0_E_clISt17integral_constantIbLb1EESU_EEDaSP_SQ_EUlSP_E_NS1_11comp_targetILNS1_3genE5ELNS1_11target_archE942ELNS1_3gpuE9ELNS1_3repE0EEENS1_30default_config_static_selectorELNS0_4arch9wavefront6targetE1EEEvT1_: ; @_ZN7rocprim17ROCPRIM_400000_NS6detail17trampoline_kernelINS0_14default_configENS1_20scan_config_selectorIxEEZZNS1_9scan_implILNS1_25lookback_scan_determinismE0ELb0ELb0ES3_N6thrust23THRUST_200600_302600_NS6detail15normal_iteratorINS9_10device_ptrIxEEEESE_x11max_functorIxExEEDaPvRmT3_T4_T5_mT6_P12ihipStream_tbENKUlT_T0_E_clISt17integral_constantIbLb1EESU_EEDaSP_SQ_EUlSP_E_NS1_11comp_targetILNS1_3genE5ELNS1_11target_archE942ELNS1_3gpuE9ELNS1_3repE0EEENS1_30default_config_static_selectorELNS0_4arch9wavefront6targetE1EEEvT1_
; %bb.0:
	.section	.rodata,"a",@progbits
	.p2align	6, 0x0
	.amdhsa_kernel _ZN7rocprim17ROCPRIM_400000_NS6detail17trampoline_kernelINS0_14default_configENS1_20scan_config_selectorIxEEZZNS1_9scan_implILNS1_25lookback_scan_determinismE0ELb0ELb0ES3_N6thrust23THRUST_200600_302600_NS6detail15normal_iteratorINS9_10device_ptrIxEEEESE_x11max_functorIxExEEDaPvRmT3_T4_T5_mT6_P12ihipStream_tbENKUlT_T0_E_clISt17integral_constantIbLb1EESU_EEDaSP_SQ_EUlSP_E_NS1_11comp_targetILNS1_3genE5ELNS1_11target_archE942ELNS1_3gpuE9ELNS1_3repE0EEENS1_30default_config_static_selectorELNS0_4arch9wavefront6targetE1EEEvT1_
		.amdhsa_group_segment_fixed_size 0
		.amdhsa_private_segment_fixed_size 0
		.amdhsa_kernarg_size 104
		.amdhsa_user_sgpr_count 6
		.amdhsa_user_sgpr_private_segment_buffer 1
		.amdhsa_user_sgpr_dispatch_ptr 0
		.amdhsa_user_sgpr_queue_ptr 0
		.amdhsa_user_sgpr_kernarg_segment_ptr 1
		.amdhsa_user_sgpr_dispatch_id 0
		.amdhsa_user_sgpr_flat_scratch_init 0
		.amdhsa_user_sgpr_kernarg_preload_length 0
		.amdhsa_user_sgpr_kernarg_preload_offset 0
		.amdhsa_user_sgpr_private_segment_size 0
		.amdhsa_uses_dynamic_stack 0
		.amdhsa_system_sgpr_private_segment_wavefront_offset 0
		.amdhsa_system_sgpr_workgroup_id_x 1
		.amdhsa_system_sgpr_workgroup_id_y 0
		.amdhsa_system_sgpr_workgroup_id_z 0
		.amdhsa_system_sgpr_workgroup_info 0
		.amdhsa_system_vgpr_workitem_id 0
		.amdhsa_next_free_vgpr 1
		.amdhsa_next_free_sgpr 0
		.amdhsa_accum_offset 4
		.amdhsa_reserve_vcc 0
		.amdhsa_reserve_flat_scratch 0
		.amdhsa_float_round_mode_32 0
		.amdhsa_float_round_mode_16_64 0
		.amdhsa_float_denorm_mode_32 3
		.amdhsa_float_denorm_mode_16_64 3
		.amdhsa_dx10_clamp 1
		.amdhsa_ieee_mode 1
		.amdhsa_fp16_overflow 0
		.amdhsa_tg_split 0
		.amdhsa_exception_fp_ieee_invalid_op 0
		.amdhsa_exception_fp_denorm_src 0
		.amdhsa_exception_fp_ieee_div_zero 0
		.amdhsa_exception_fp_ieee_overflow 0
		.amdhsa_exception_fp_ieee_underflow 0
		.amdhsa_exception_fp_ieee_inexact 0
		.amdhsa_exception_int_div_zero 0
	.end_amdhsa_kernel
	.section	.text._ZN7rocprim17ROCPRIM_400000_NS6detail17trampoline_kernelINS0_14default_configENS1_20scan_config_selectorIxEEZZNS1_9scan_implILNS1_25lookback_scan_determinismE0ELb0ELb0ES3_N6thrust23THRUST_200600_302600_NS6detail15normal_iteratorINS9_10device_ptrIxEEEESE_x11max_functorIxExEEDaPvRmT3_T4_T5_mT6_P12ihipStream_tbENKUlT_T0_E_clISt17integral_constantIbLb1EESU_EEDaSP_SQ_EUlSP_E_NS1_11comp_targetILNS1_3genE5ELNS1_11target_archE942ELNS1_3gpuE9ELNS1_3repE0EEENS1_30default_config_static_selectorELNS0_4arch9wavefront6targetE1EEEvT1_,"axG",@progbits,_ZN7rocprim17ROCPRIM_400000_NS6detail17trampoline_kernelINS0_14default_configENS1_20scan_config_selectorIxEEZZNS1_9scan_implILNS1_25lookback_scan_determinismE0ELb0ELb0ES3_N6thrust23THRUST_200600_302600_NS6detail15normal_iteratorINS9_10device_ptrIxEEEESE_x11max_functorIxExEEDaPvRmT3_T4_T5_mT6_P12ihipStream_tbENKUlT_T0_E_clISt17integral_constantIbLb1EESU_EEDaSP_SQ_EUlSP_E_NS1_11comp_targetILNS1_3genE5ELNS1_11target_archE942ELNS1_3gpuE9ELNS1_3repE0EEENS1_30default_config_static_selectorELNS0_4arch9wavefront6targetE1EEEvT1_,comdat
.Lfunc_end2577:
	.size	_ZN7rocprim17ROCPRIM_400000_NS6detail17trampoline_kernelINS0_14default_configENS1_20scan_config_selectorIxEEZZNS1_9scan_implILNS1_25lookback_scan_determinismE0ELb0ELb0ES3_N6thrust23THRUST_200600_302600_NS6detail15normal_iteratorINS9_10device_ptrIxEEEESE_x11max_functorIxExEEDaPvRmT3_T4_T5_mT6_P12ihipStream_tbENKUlT_T0_E_clISt17integral_constantIbLb1EESU_EEDaSP_SQ_EUlSP_E_NS1_11comp_targetILNS1_3genE5ELNS1_11target_archE942ELNS1_3gpuE9ELNS1_3repE0EEENS1_30default_config_static_selectorELNS0_4arch9wavefront6targetE1EEEvT1_, .Lfunc_end2577-_ZN7rocprim17ROCPRIM_400000_NS6detail17trampoline_kernelINS0_14default_configENS1_20scan_config_selectorIxEEZZNS1_9scan_implILNS1_25lookback_scan_determinismE0ELb0ELb0ES3_N6thrust23THRUST_200600_302600_NS6detail15normal_iteratorINS9_10device_ptrIxEEEESE_x11max_functorIxExEEDaPvRmT3_T4_T5_mT6_P12ihipStream_tbENKUlT_T0_E_clISt17integral_constantIbLb1EESU_EEDaSP_SQ_EUlSP_E_NS1_11comp_targetILNS1_3genE5ELNS1_11target_archE942ELNS1_3gpuE9ELNS1_3repE0EEENS1_30default_config_static_selectorELNS0_4arch9wavefront6targetE1EEEvT1_
                                        ; -- End function
	.section	.AMDGPU.csdata,"",@progbits
; Kernel info:
; codeLenInByte = 0
; NumSgprs: 4
; NumVgprs: 0
; NumAgprs: 0
; TotalNumVgprs: 0
; ScratchSize: 0
; MemoryBound: 0
; FloatMode: 240
; IeeeMode: 1
; LDSByteSize: 0 bytes/workgroup (compile time only)
; SGPRBlocks: 0
; VGPRBlocks: 0
; NumSGPRsForWavesPerEU: 4
; NumVGPRsForWavesPerEU: 1
; AccumOffset: 4
; Occupancy: 8
; WaveLimiterHint : 0
; COMPUTE_PGM_RSRC2:SCRATCH_EN: 0
; COMPUTE_PGM_RSRC2:USER_SGPR: 6
; COMPUTE_PGM_RSRC2:TRAP_HANDLER: 0
; COMPUTE_PGM_RSRC2:TGID_X_EN: 1
; COMPUTE_PGM_RSRC2:TGID_Y_EN: 0
; COMPUTE_PGM_RSRC2:TGID_Z_EN: 0
; COMPUTE_PGM_RSRC2:TIDIG_COMP_CNT: 0
; COMPUTE_PGM_RSRC3_GFX90A:ACCUM_OFFSET: 0
; COMPUTE_PGM_RSRC3_GFX90A:TG_SPLIT: 0
	.section	.text._ZN7rocprim17ROCPRIM_400000_NS6detail17trampoline_kernelINS0_14default_configENS1_20scan_config_selectorIxEEZZNS1_9scan_implILNS1_25lookback_scan_determinismE0ELb0ELb0ES3_N6thrust23THRUST_200600_302600_NS6detail15normal_iteratorINS9_10device_ptrIxEEEESE_x11max_functorIxExEEDaPvRmT3_T4_T5_mT6_P12ihipStream_tbENKUlT_T0_E_clISt17integral_constantIbLb1EESU_EEDaSP_SQ_EUlSP_E_NS1_11comp_targetILNS1_3genE4ELNS1_11target_archE910ELNS1_3gpuE8ELNS1_3repE0EEENS1_30default_config_static_selectorELNS0_4arch9wavefront6targetE1EEEvT1_,"axG",@progbits,_ZN7rocprim17ROCPRIM_400000_NS6detail17trampoline_kernelINS0_14default_configENS1_20scan_config_selectorIxEEZZNS1_9scan_implILNS1_25lookback_scan_determinismE0ELb0ELb0ES3_N6thrust23THRUST_200600_302600_NS6detail15normal_iteratorINS9_10device_ptrIxEEEESE_x11max_functorIxExEEDaPvRmT3_T4_T5_mT6_P12ihipStream_tbENKUlT_T0_E_clISt17integral_constantIbLb1EESU_EEDaSP_SQ_EUlSP_E_NS1_11comp_targetILNS1_3genE4ELNS1_11target_archE910ELNS1_3gpuE8ELNS1_3repE0EEENS1_30default_config_static_selectorELNS0_4arch9wavefront6targetE1EEEvT1_,comdat
	.protected	_ZN7rocprim17ROCPRIM_400000_NS6detail17trampoline_kernelINS0_14default_configENS1_20scan_config_selectorIxEEZZNS1_9scan_implILNS1_25lookback_scan_determinismE0ELb0ELb0ES3_N6thrust23THRUST_200600_302600_NS6detail15normal_iteratorINS9_10device_ptrIxEEEESE_x11max_functorIxExEEDaPvRmT3_T4_T5_mT6_P12ihipStream_tbENKUlT_T0_E_clISt17integral_constantIbLb1EESU_EEDaSP_SQ_EUlSP_E_NS1_11comp_targetILNS1_3genE4ELNS1_11target_archE910ELNS1_3gpuE8ELNS1_3repE0EEENS1_30default_config_static_selectorELNS0_4arch9wavefront6targetE1EEEvT1_ ; -- Begin function _ZN7rocprim17ROCPRIM_400000_NS6detail17trampoline_kernelINS0_14default_configENS1_20scan_config_selectorIxEEZZNS1_9scan_implILNS1_25lookback_scan_determinismE0ELb0ELb0ES3_N6thrust23THRUST_200600_302600_NS6detail15normal_iteratorINS9_10device_ptrIxEEEESE_x11max_functorIxExEEDaPvRmT3_T4_T5_mT6_P12ihipStream_tbENKUlT_T0_E_clISt17integral_constantIbLb1EESU_EEDaSP_SQ_EUlSP_E_NS1_11comp_targetILNS1_3genE4ELNS1_11target_archE910ELNS1_3gpuE8ELNS1_3repE0EEENS1_30default_config_static_selectorELNS0_4arch9wavefront6targetE1EEEvT1_
	.globl	_ZN7rocprim17ROCPRIM_400000_NS6detail17trampoline_kernelINS0_14default_configENS1_20scan_config_selectorIxEEZZNS1_9scan_implILNS1_25lookback_scan_determinismE0ELb0ELb0ES3_N6thrust23THRUST_200600_302600_NS6detail15normal_iteratorINS9_10device_ptrIxEEEESE_x11max_functorIxExEEDaPvRmT3_T4_T5_mT6_P12ihipStream_tbENKUlT_T0_E_clISt17integral_constantIbLb1EESU_EEDaSP_SQ_EUlSP_E_NS1_11comp_targetILNS1_3genE4ELNS1_11target_archE910ELNS1_3gpuE8ELNS1_3repE0EEENS1_30default_config_static_selectorELNS0_4arch9wavefront6targetE1EEEvT1_
	.p2align	8
	.type	_ZN7rocprim17ROCPRIM_400000_NS6detail17trampoline_kernelINS0_14default_configENS1_20scan_config_selectorIxEEZZNS1_9scan_implILNS1_25lookback_scan_determinismE0ELb0ELb0ES3_N6thrust23THRUST_200600_302600_NS6detail15normal_iteratorINS9_10device_ptrIxEEEESE_x11max_functorIxExEEDaPvRmT3_T4_T5_mT6_P12ihipStream_tbENKUlT_T0_E_clISt17integral_constantIbLb1EESU_EEDaSP_SQ_EUlSP_E_NS1_11comp_targetILNS1_3genE4ELNS1_11target_archE910ELNS1_3gpuE8ELNS1_3repE0EEENS1_30default_config_static_selectorELNS0_4arch9wavefront6targetE1EEEvT1_,@function
_ZN7rocprim17ROCPRIM_400000_NS6detail17trampoline_kernelINS0_14default_configENS1_20scan_config_selectorIxEEZZNS1_9scan_implILNS1_25lookback_scan_determinismE0ELb0ELb0ES3_N6thrust23THRUST_200600_302600_NS6detail15normal_iteratorINS9_10device_ptrIxEEEESE_x11max_functorIxExEEDaPvRmT3_T4_T5_mT6_P12ihipStream_tbENKUlT_T0_E_clISt17integral_constantIbLb1EESU_EEDaSP_SQ_EUlSP_E_NS1_11comp_targetILNS1_3genE4ELNS1_11target_archE910ELNS1_3gpuE8ELNS1_3repE0EEENS1_30default_config_static_selectorELNS0_4arch9wavefront6targetE1EEEvT1_: ; @_ZN7rocprim17ROCPRIM_400000_NS6detail17trampoline_kernelINS0_14default_configENS1_20scan_config_selectorIxEEZZNS1_9scan_implILNS1_25lookback_scan_determinismE0ELb0ELb0ES3_N6thrust23THRUST_200600_302600_NS6detail15normal_iteratorINS9_10device_ptrIxEEEESE_x11max_functorIxExEEDaPvRmT3_T4_T5_mT6_P12ihipStream_tbENKUlT_T0_E_clISt17integral_constantIbLb1EESU_EEDaSP_SQ_EUlSP_E_NS1_11comp_targetILNS1_3genE4ELNS1_11target_archE910ELNS1_3gpuE8ELNS1_3repE0EEENS1_30default_config_static_selectorELNS0_4arch9wavefront6targetE1EEEvT1_
; %bb.0:
	s_load_dwordx2 s[14:15], s[4:5], 0x30
	v_cmp_ne_u32_e64 s[0:1], 0, v0
	v_cmp_eq_u32_e64 s[2:3], 0, v0
	s_and_saveexec_b64 s[6:7], s[2:3]
	s_cbranch_execz .LBB2578_4
; %bb.1:
	s_mov_b64 s[10:11], exec
	v_mbcnt_lo_u32_b32 v1, s10, 0
	v_mbcnt_hi_u32_b32 v1, s11, v1
	v_cmp_eq_u32_e32 vcc, 0, v1
                                        ; implicit-def: $vgpr2
	s_and_saveexec_b64 s[8:9], vcc
	s_cbranch_execz .LBB2578_3
; %bb.2:
	s_load_dwordx2 s[12:13], s[4:5], 0x60
	s_bcnt1_i32_b64 s10, s[10:11]
	v_mov_b32_e32 v2, 0
	v_mov_b32_e32 v3, s10
	s_waitcnt lgkmcnt(0)
	global_atomic_add v2, v2, v3, s[12:13] glc
.LBB2578_3:
	s_or_b64 exec, exec, s[8:9]
	s_waitcnt vmcnt(0)
	v_readfirstlane_b32 s8, v2
	v_add_u32_e32 v1, s8, v1
	v_mov_b32_e32 v2, 0
	ds_write_b32 v2, v1
.LBB2578_4:
	s_or_b64 exec, exec, s[6:7]
	s_load_dwordx8 s[24:31], s[4:5], 0x0
	s_load_dword s6, s[4:5], 0x38
	s_load_dwordx8 s[16:23], s[4:5], 0x40
	v_mov_b32_e32 v1, 0
	s_waitcnt lgkmcnt(0)
	s_barrier
	ds_read_b32 v1, v1
	s_lshl_b64 s[26:27], s[26:27], 3
	s_add_u32 s7, s24, s26
	s_addc_u32 s8, s25, s27
	s_add_i32 s6, s6, -1
	s_mul_i32 s9, s6, 0x380
	s_sub_u32 s33, s30, s9
	s_waitcnt lgkmcnt(0)
	v_readfirstlane_b32 s37, v1
	s_subb_u32 s36, s31, 0
	s_mul_i32 s4, s37, 0x380
	s_mov_b32 s5, 0
	s_cmp_lg_u32 s37, s6
	s_cselect_b64 s[24:25], -1, 0
	s_lshl_b64 s[30:31], s[4:5], 3
	s_add_u32 s6, s7, s30
	s_addc_u32 s7, s8, s31
	s_mov_b64 s[4:5], -1
	s_and_b64 vcc, exec, s[24:25]
	v_lshlrev_b32_e32 v36, 3, v0
	s_barrier
	s_cbranch_vccz .LBB2578_6
; %bb.5:
	v_mov_b32_e32 v1, s7
	v_add_co_u32_e32 v2, vcc, s6, v36
	v_addc_co_u32_e32 v3, vcc, 0, v1, vcc
	flat_load_dwordx2 v[4:5], v[2:3]
	flat_load_dwordx2 v[6:7], v[2:3] offset:1024
	flat_load_dwordx2 v[8:9], v[2:3] offset:2048
	;; [unrolled: 1-line block ×3, first 2 shown]
	v_add_co_u32_e32 v2, vcc, 0x1000, v2
	v_addc_co_u32_e32 v3, vcc, 0, v3, vcc
	flat_load_dwordx2 v[12:13], v[2:3]
	flat_load_dwordx2 v[14:15], v[2:3] offset:1024
	flat_load_dwordx2 v[16:17], v[2:3] offset:2048
	s_mov_b64 s[4:5], 0
	s_waitcnt vmcnt(0) lgkmcnt(0)
	ds_write2st64_b64 v36, v[4:5], v[6:7] offset1:2
	ds_write2st64_b64 v36, v[8:9], v[10:11] offset0:4 offset1:6
	ds_write2st64_b64 v36, v[12:13], v[14:15] offset0:8 offset1:10
	ds_write_b64 v36, v[16:17] offset:6144
	s_waitcnt lgkmcnt(0)
	s_barrier
.LBB2578_6:
	s_andn2_b64 vcc, exec, s[4:5]
	v_cmp_gt_u32_e64 s[4:5], s33, v0
	s_cbranch_vccnz .LBB2578_22
; %bb.7:
	v_pk_mov_b32 v[2:3], s[6:7], s[6:7] op_sel:[0,1]
	flat_load_dwordx2 v[2:3], v[2:3]
	s_waitcnt vmcnt(0) lgkmcnt(0)
	v_mov_b32_e32 v4, v2
	v_mov_b32_e32 v5, v3
	;; [unrolled: 1-line block ×10, first 2 shown]
	v_pk_mov_b32 v[18:19], v[14:15], v[14:15] op_sel:[0,1]
	v_pk_mov_b32 v[16:17], v[12:13], v[12:13] op_sel:[0,1]
	;; [unrolled: 1-line block ×8, first 2 shown]
	s_and_saveexec_b64 s[8:9], s[4:5]
	s_cbranch_execz .LBB2578_9
; %bb.8:
	v_mov_b32_e32 v1, s7
	v_add_co_u32_e32 v4, vcc, s6, v36
	v_addc_co_u32_e32 v5, vcc, 0, v1, vcc
	flat_load_dwordx2 v[20:21], v[4:5]
	v_mov_b32_e32 v4, v2
	v_mov_b32_e32 v5, v3
	;; [unrolled: 1-line block ×10, first 2 shown]
	v_pk_mov_b32 v[18:19], v[14:15], v[14:15] op_sel:[0,1]
	v_pk_mov_b32 v[16:17], v[12:13], v[12:13] op_sel:[0,1]
	;; [unrolled: 1-line block ×8, first 2 shown]
	s_waitcnt vmcnt(0) lgkmcnt(0)
	v_pk_mov_b32 v[2:3], v[20:21], v[20:21] op_sel:[0,1]
.LBB2578_9:
	s_or_b64 exec, exec, s[8:9]
	v_or_b32_e32 v1, 0x80, v0
	v_cmp_gt_u32_e32 vcc, s33, v1
	s_and_saveexec_b64 s[4:5], vcc
	s_cbranch_execz .LBB2578_11
; %bb.10:
	v_mov_b32_e32 v1, s7
	v_add_co_u32_e32 v4, vcc, s6, v36
	v_addc_co_u32_e32 v5, vcc, 0, v1, vcc
	flat_load_dwordx2 v[6:7], v[4:5] offset:1024
.LBB2578_11:
	s_or_b64 exec, exec, s[4:5]
	v_or_b32_e32 v1, 0x100, v0
	v_cmp_gt_u32_e32 vcc, s33, v1
	s_and_saveexec_b64 s[4:5], vcc
	s_cbranch_execz .LBB2578_13
; %bb.12:
	v_mov_b32_e32 v1, s7
	v_add_co_u32_e32 v4, vcc, s6, v36
	v_addc_co_u32_e32 v5, vcc, 0, v1, vcc
	flat_load_dwordx2 v[8:9], v[4:5] offset:2048
.LBB2578_13:
	;; [unrolled: 11-line block ×3, first 2 shown]
	s_or_b64 exec, exec, s[4:5]
	v_or_b32_e32 v1, 0x200, v0
	v_cmp_gt_u32_e32 vcc, s33, v1
	s_and_saveexec_b64 s[4:5], vcc
	s_cbranch_execz .LBB2578_17
; %bb.16:
	v_lshlrev_b32_e32 v1, 3, v1
	v_mov_b32_e32 v5, s7
	v_add_co_u32_e32 v4, vcc, s6, v1
	v_addc_co_u32_e32 v5, vcc, 0, v5, vcc
	flat_load_dwordx2 v[12:13], v[4:5]
.LBB2578_17:
	s_or_b64 exec, exec, s[4:5]
	v_or_b32_e32 v1, 0x280, v0
	v_cmp_gt_u32_e32 vcc, s33, v1
	s_and_saveexec_b64 s[4:5], vcc
	s_cbranch_execz .LBB2578_19
; %bb.18:
	v_lshlrev_b32_e32 v1, 3, v1
	v_mov_b32_e32 v5, s7
	v_add_co_u32_e32 v4, vcc, s6, v1
	v_addc_co_u32_e32 v5, vcc, 0, v5, vcc
	flat_load_dwordx2 v[14:15], v[4:5]
.LBB2578_19:
	;; [unrolled: 12-line block ×3, first 2 shown]
	s_or_b64 exec, exec, s[4:5]
	s_waitcnt vmcnt(0) lgkmcnt(0)
	ds_write2st64_b64 v36, v[2:3], v[6:7] offset1:2
	ds_write2st64_b64 v36, v[8:9], v[10:11] offset0:4 offset1:6
	ds_write2st64_b64 v36, v[12:13], v[14:15] offset0:8 offset1:10
	ds_write_b64 v36, v[16:17] offset:6144
	s_waitcnt lgkmcnt(0)
	s_barrier
.LBB2578_22:
	v_mul_u32_u24_e32 v37, 7, v0
	v_lshlrev_b32_e32 v38, 3, v37
	ds_read2_b64 v[2:5], v38 offset1:1
	ds_read2_b64 v[10:13], v38 offset0:2 offset1:3
	ds_read2_b64 v[6:9], v38 offset0:4 offset1:5
	ds_read_b64 v[28:29], v38 offset:48
	s_cmp_lg_u32 s37, 0
	v_lshrrev_b32_e32 v1, 5, v0
	v_cmp_gt_u32_e32 vcc, 64, v0
	s_waitcnt lgkmcnt(0)
	s_barrier
	s_cbranch_scc0 .LBB2578_53
; %bb.23:
	v_cmp_gt_i64_e64 s[4:5], v[2:3], v[4:5]
	v_cndmask_b32_e64 v15, v5, v3, s[4:5]
	v_cndmask_b32_e64 v14, v4, v2, s[4:5]
	v_cmp_gt_i64_e64 s[4:5], v[14:15], v[10:11]
	v_cndmask_b32_e64 v15, v11, v15, s[4:5]
	v_cndmask_b32_e64 v14, v10, v14, s[4:5]
	;; [unrolled: 3-line block ×6, first 2 shown]
	v_add_lshl_u32 v14, v1, v0, 3
	ds_write_b64 v14, v[22:23]
	s_waitcnt lgkmcnt(0)
	s_barrier
	s_and_saveexec_b64 s[8:9], vcc
	s_cbranch_execz .LBB2578_27
; %bb.24:
	v_lshlrev_b32_e32 v14, 1, v0
	v_lshrrev_b32_e32 v15, 4, v0
	v_add_lshl_u32 v24, v15, v14, 3
	ds_read2_b64 v[14:17], v24 offset1:1
	v_mbcnt_lo_u32_b32 v18, -1, 0
	v_mbcnt_hi_u32_b32 v25, -1, v18
	v_and_b32_e32 v26, 15, v25
	v_and_b32_e32 v30, 16, v25
	s_waitcnt lgkmcnt(0)
	v_cmp_gt_i64_e64 s[4:5], v[14:15], v[16:17]
	v_cndmask_b32_e64 v17, v17, v15, s[4:5]
	v_cndmask_b32_e64 v16, v16, v14, s[4:5]
	v_cmp_ne_u32_e64 s[6:7], 0, v25
	v_mov_b32_dpp v19, v17 row_shr:1 row_mask:0xf bank_mask:0xf
	v_mov_b32_dpp v18, v16 row_shr:1 row_mask:0xf bank_mask:0xf
	v_cmp_gt_i64_e64 s[4:5], v[18:19], v[16:17]
	v_cndmask_b32_e64 v18, v16, v18, s[4:5]
	v_cndmask_b32_e64 v19, v17, v19, s[4:5]
	v_cmp_eq_u32_e64 s[4:5], 0, v26
	v_cndmask_b32_e64 v19, v19, v17, s[4:5]
	v_cndmask_b32_e64 v18, v18, v16, s[4:5]
	s_nop 0
	v_mov_b32_dpp v21, v19 row_shr:2 row_mask:0xf bank_mask:0xf
	v_mov_b32_dpp v20, v18 row_shr:2 row_mask:0xf bank_mask:0xf
	v_cmp_gt_i64_e64 s[4:5], v[20:21], v[18:19]
	v_cndmask_b32_e64 v20, v18, v20, s[4:5]
	v_cndmask_b32_e64 v21, v19, v21, s[4:5]
	v_cmp_lt_u32_e64 s[4:5], 1, v26
	v_cndmask_b32_e64 v19, v19, v21, s[4:5]
	v_cndmask_b32_e64 v18, v18, v20, s[4:5]
	s_nop 0
	v_mov_b32_dpp v21, v19 row_shr:4 row_mask:0xf bank_mask:0xf
	v_mov_b32_dpp v20, v18 row_shr:4 row_mask:0xf bank_mask:0xf
	v_cmp_gt_i64_e64 s[4:5], v[20:21], v[18:19]
	v_cndmask_b32_e64 v20, v18, v20, s[4:5]
	v_cndmask_b32_e64 v21, v19, v21, s[4:5]
	v_cmp_lt_u32_e64 s[4:5], 3, v26
	;; [unrolled: 9-line block ×3, first 2 shown]
	v_cndmask_b32_e64 v19, v19, v21, s[4:5]
	v_cndmask_b32_e64 v18, v18, v20, s[4:5]
	s_nop 0
	v_mov_b32_dpp v21, v19 row_bcast:15 row_mask:0xf bank_mask:0xf
	v_mov_b32_dpp v20, v18 row_bcast:15 row_mask:0xf bank_mask:0xf
	v_cmp_gt_i64_e64 s[4:5], v[20:21], v[18:19]
	v_cndmask_b32_e64 v26, v19, v21, s[4:5]
	v_cndmask_b32_e64 v27, v18, v20, s[4:5]
	v_cmp_eq_u32_e64 s[4:5], 0, v30
	v_cndmask_b32_e64 v21, v26, v19, s[4:5]
	v_cndmask_b32_e64 v20, v27, v18, s[4:5]
	s_nop 0
	v_mov_b32_dpp v21, v21 row_bcast:31 row_mask:0xf bank_mask:0xf
	v_mov_b32_dpp v20, v20 row_bcast:31 row_mask:0xf bank_mask:0xf
	s_and_saveexec_b64 s[10:11], s[6:7]
; %bb.25:
	v_cndmask_b32_e64 v17, v26, v19, s[4:5]
	v_cndmask_b32_e64 v16, v27, v18, s[4:5]
	v_cmp_lt_u32_e64 s[6:7], 31, v25
	v_cmp_gt_i64_e64 s[4:5], v[20:21], v[16:17]
	s_and_b64 s[4:5], s[6:7], s[4:5]
	v_cndmask_b32_e64 v16, v16, v20, s[4:5]
	v_cndmask_b32_e64 v17, v17, v21, s[4:5]
; %bb.26:
	s_or_b64 exec, exec, s[10:11]
	v_add_u32_e32 v18, -1, v25
	v_and_b32_e32 v19, 64, v25
	v_cmp_lt_i32_e64 s[4:5], v18, v19
	v_cndmask_b32_e64 v18, v18, v25, s[4:5]
	v_lshlrev_b32_e32 v18, 2, v18
	ds_bpermute_b32 v16, v18, v16
	ds_bpermute_b32 v17, v18, v17
	; wave barrier
	s_waitcnt lgkmcnt(0)
	v_cmp_gt_i64_e64 s[4:5], v[16:17], v[14:15]
	v_cndmask_b32_e64 v14, v14, v16, s[4:5]
	v_cndmask_b32_e64 v15, v15, v17, s[4:5]
	;; [unrolled: 1-line block ×4, first 2 shown]
	ds_write_b64 v24, v[14:15]
	; wave barrier
	ds_read_b64 v[16:17], v24 offset:8
	s_waitcnt lgkmcnt(0)
	v_cmp_gt_i64_e64 s[4:5], v[14:15], v[16:17]
	v_cndmask_b32_e64 v15, v17, v15, s[4:5]
	v_cndmask_b32_e64 v14, v16, v14, s[4:5]
	ds_write_b64 v24, v[14:15] offset:8
.LBB2578_27:
	s_or_b64 exec, exec, s[8:9]
	s_waitcnt lgkmcnt(0)
	s_barrier
	s_and_saveexec_b64 s[4:5], s[0:1]
	s_cbranch_execz .LBB2578_29
; %bb.28:
	v_add_u32_e32 v14, -1, v0
	v_lshrrev_b32_e32 v15, 5, v14
	v_add_lshl_u32 v14, v15, v14, 3
	ds_read_b64 v[22:23], v14
.LBB2578_29:
	s_or_b64 exec, exec, s[4:5]
	s_and_saveexec_b64 s[34:35], vcc
	s_cbranch_execz .LBB2578_52
; %bb.30:
	v_mov_b32_e32 v17, 0
	ds_read_b64 v[14:15], v17 offset:1040
	v_mbcnt_lo_u32_b32 v16, -1, 0
	v_mbcnt_hi_u32_b32 v25, -1, v16
	s_mov_b32 s9, 0
	v_cmp_eq_u32_e64 s[4:5], 0, v25
	s_and_saveexec_b64 s[6:7], s[4:5]
	s_cbranch_execz .LBB2578_32
; %bb.31:
	s_add_i32 s8, s37, 64
	s_lshl_b64 s[8:9], s[8:9], 4
	s_add_u32 s8, s14, s8
	s_addc_u32 s9, s15, s9
	v_mov_b32_e32 v16, 1
	v_pk_mov_b32 v[18:19], s[8:9], s[8:9] op_sel:[0,1]
	s_waitcnt lgkmcnt(0)
	;;#ASMSTART
	global_store_dwordx4 v[18:19], v[14:17] off	
s_waitcnt vmcnt(0)
	;;#ASMEND
.LBB2578_32:
	s_or_b64 exec, exec, s[6:7]
	v_xad_u32 v24, v25, -1, s37
	v_add_u32_e32 v16, 64, v24
	v_lshlrev_b64 v[18:19], 4, v[16:17]
	v_mov_b32_e32 v16, s15
	v_add_co_u32_e32 v26, vcc, s14, v18
	v_addc_co_u32_e32 v27, vcc, v16, v19, vcc
	;;#ASMSTART
	global_load_dwordx4 v[18:21], v[26:27] off glc	
s_waitcnt vmcnt(0)
	;;#ASMEND
	v_and_b32_e32 v16, 0xff, v19
	v_and_b32_e32 v21, 0xff00, v19
	v_or3_b32 v16, 0, v16, v21
	v_or3_b32 v18, v18, 0, 0
	v_and_b32_e32 v21, 0xff000000, v19
	v_and_b32_e32 v19, 0xff0000, v19
	v_or3_b32 v19, v16, v19, v21
	v_or3_b32 v18, v18, 0, 0
	v_cmp_eq_u16_sdwa s[8:9], v20, v17 src0_sel:BYTE_0 src1_sel:DWORD
	s_and_saveexec_b64 s[6:7], s[8:9]
	s_cbranch_execz .LBB2578_38
; %bb.33:
	s_mov_b32 s10, 1
	s_mov_b64 s[8:9], 0
	v_mov_b32_e32 v16, 0
.LBB2578_34:                            ; =>This Loop Header: Depth=1
                                        ;     Child Loop BB2578_35 Depth 2
	s_max_u32 s11, s10, 1
.LBB2578_35:                            ;   Parent Loop BB2578_34 Depth=1
                                        ; =>  This Inner Loop Header: Depth=2
	s_add_i32 s11, s11, -1
	s_cmp_eq_u32 s11, 0
	s_sleep 1
	s_cbranch_scc0 .LBB2578_35
; %bb.36:                               ;   in Loop: Header=BB2578_34 Depth=1
	s_cmp_lt_u32 s10, 32
	s_cselect_b64 s[12:13], -1, 0
	s_cmp_lg_u64 s[12:13], 0
	s_addc_u32 s10, s10, 0
	;;#ASMSTART
	global_load_dwordx4 v[18:21], v[26:27] off glc	
s_waitcnt vmcnt(0)
	;;#ASMEND
	v_cmp_ne_u16_sdwa s[12:13], v20, v16 src0_sel:BYTE_0 src1_sel:DWORD
	s_or_b64 s[8:9], s[12:13], s[8:9]
	s_andn2_b64 exec, exec, s[8:9]
	s_cbranch_execnz .LBB2578_34
; %bb.37:
	s_or_b64 exec, exec, s[8:9]
.LBB2578_38:
	s_or_b64 exec, exec, s[6:7]
	v_and_b32_e32 v33, 63, v25
	v_cmp_ne_u32_e32 vcc, 63, v33
	v_mov_b32_e32 v32, 2
	v_addc_co_u32_e32 v26, vcc, 0, v25, vcc
	v_cmp_eq_u16_sdwa s[6:7], v20, v32 src0_sel:BYTE_0 src1_sel:DWORD
	v_lshlrev_b64 v[16:17], v25, -1
	v_lshlrev_b32_e32 v34, 2, v26
	v_and_b32_e32 v21, s7, v17
	ds_bpermute_b32 v26, v34, v18
	ds_bpermute_b32 v27, v34, v19
	v_or_b32_e32 v21, 0x80000000, v21
	v_and_b32_e32 v30, s6, v16
	v_ffbl_b32_e32 v21, v21
	v_add_u32_e32 v21, 32, v21
	v_ffbl_b32_e32 v30, v30
	v_min_u32_e32 v21, v30, v21
	s_waitcnt lgkmcnt(0)
	v_cmp_gt_i64_e64 s[6:7], v[26:27], v[18:19]
	v_cmp_lt_u32_e32 vcc, v33, v21
	v_cndmask_b32_e64 v26, v18, v26, s[6:7]
	s_and_b64 s[6:7], vcc, s[6:7]
	v_cndmask_b32_e64 v27, v19, v27, s[6:7]
	v_cmp_gt_u32_e64 s[6:7], 62, v33
	v_cndmask_b32_e64 v30, 0, 1, s[6:7]
	v_lshlrev_b32_e32 v30, 1, v30
	v_cndmask_b32_e32 v26, v18, v26, vcc
	v_add_lshl_u32 v35, v30, v25, 2
	ds_bpermute_b32 v30, v35, v26
	ds_bpermute_b32 v31, v35, v27
	v_add_u32_e32 v39, 2, v33
	v_cmp_gt_u32_e64 s[8:9], 56, v33
	v_add_u32_e32 v41, 4, v33
	v_cndmask_b32_e64 v42, 0, 1, s[8:9]
	s_waitcnt lgkmcnt(0)
	v_cmp_gt_i64_e64 s[6:7], v[30:31], v[26:27]
	v_cndmask_b32_e64 v31, v27, v31, s[6:7]
	v_cndmask_b32_e64 v30, v26, v30, s[6:7]
	v_cmp_gt_u32_e64 s[6:7], v39, v21
	v_cndmask_b32_e64 v26, v30, v26, s[6:7]
	v_cndmask_b32_e64 v27, v31, v27, s[6:7]
	v_cmp_gt_u32_e64 s[6:7], 60, v33
	v_cndmask_b32_e64 v30, 0, 1, s[6:7]
	v_lshlrev_b32_e32 v30, 2, v30
	v_add_lshl_u32 v40, v30, v25, 2
	ds_bpermute_b32 v30, v40, v26
	ds_bpermute_b32 v31, v40, v27
	v_lshlrev_b32_e32 v42, 3, v42
	v_add_lshl_u32 v42, v42, v25, 2
	v_cmp_gt_u32_e64 s[10:11], 48, v33
	v_add_u32_e32 v43, 8, v33
	s_waitcnt lgkmcnt(0)
	v_cmp_gt_i64_e64 s[6:7], v[30:31], v[26:27]
	v_cndmask_b32_e64 v50, v27, v31, s[6:7]
	v_cndmask_b32_e64 v51, v26, v30, s[6:7]
	v_cmp_gt_u32_e64 s[6:7], v41, v21
	v_cndmask_b32_e64 v30, v51, v26, s[6:7]
	v_cndmask_b32_e64 v31, v50, v27, s[6:7]
	ds_bpermute_b32 v44, v42, v30
	ds_bpermute_b32 v45, v42, v31
	v_cmp_gt_u32_e64 s[12:13], 32, v33
	v_cndmask_b32_e32 v19, v19, v27, vcc
	v_cndmask_b32_e32 v18, v18, v26, vcc
	v_cndmask_b32_e64 v18, v51, v18, s[6:7]
	s_waitcnt lgkmcnt(0)
	v_cmp_gt_i64_e64 s[8:9], v[44:45], v[30:31]
	v_cndmask_b32_e64 v53, v30, v44, s[8:9]
	v_cndmask_b32_e64 v44, 0, 1, s[10:11]
	;; [unrolled: 1-line block ×3, first 2 shown]
	v_cmp_gt_u32_e64 s[8:9], v43, v21
	v_lshlrev_b32_e32 v44, 4, v44
	v_cndmask_b32_e64 v30, v53, v30, s[8:9]
	v_cndmask_b32_e64 v31, v52, v31, s[8:9]
	v_add_lshl_u32 v44, v44, v25, 2
	ds_bpermute_b32 v46, v44, v30
	ds_bpermute_b32 v47, v44, v31
	v_add_u32_e32 v45, 16, v33
	v_cndmask_b32_e64 v19, v50, v19, s[6:7]
	v_cndmask_b32_e64 v19, v52, v19, s[8:9]
	v_cndmask_b32_e64 v18, v53, v18, s[8:9]
	s_waitcnt lgkmcnt(0)
	v_cmp_gt_i64_e64 s[10:11], v[46:47], v[30:31]
	v_cndmask_b32_e64 v55, v30, v46, s[10:11]
	v_cndmask_b32_e64 v46, 0, 1, s[12:13]
	;; [unrolled: 1-line block ×3, first 2 shown]
	v_cmp_gt_u32_e64 s[10:11], v45, v21
	v_lshlrev_b32_e32 v46, 5, v46
	v_cndmask_b32_e64 v30, v55, v30, s[10:11]
	v_add_lshl_u32 v46, v46, v25, 2
	v_cndmask_b32_e64 v31, v54, v31, s[10:11]
	ds_bpermute_b32 v48, v46, v30
	ds_bpermute_b32 v49, v46, v31
	v_add_u32_e32 v47, 32, v33
	v_cndmask_b32_e64 v18, v55, v18, s[10:11]
	v_cndmask_b32_e64 v19, v54, v19, s[10:11]
	v_cmp_gt_u32_e32 vcc, v47, v21
	s_waitcnt lgkmcnt(0)
	v_cmp_gt_i64_e64 s[12:13], v[48:49], v[30:31]
	v_cndmask_b32_e64 v25, v30, v48, s[12:13]
	v_cndmask_b32_e64 v30, v31, v49, s[12:13]
	v_cndmask_b32_e32 v19, v30, v19, vcc
	v_cndmask_b32_e32 v18, v25, v18, vcc
	v_mov_b32_e32 v25, 0
	s_branch .LBB2578_40
.LBB2578_39:                            ;   in Loop: Header=BB2578_40 Depth=1
	s_or_b64 exec, exec, s[6:7]
	v_cmp_eq_u16_sdwa s[6:7], v20, v32 src0_sel:BYTE_0 src1_sel:DWORD
	v_and_b32_e32 v21, s7, v17
	ds_bpermute_b32 v30, v34, v18
	ds_bpermute_b32 v31, v34, v19
	v_or_b32_e32 v21, 0x80000000, v21
	v_and_b32_e32 v48, s6, v16
	v_ffbl_b32_e32 v21, v21
	v_add_u32_e32 v21, 32, v21
	v_ffbl_b32_e32 v48, v48
	v_min_u32_e32 v21, v48, v21
	s_waitcnt lgkmcnt(0)
	v_cmp_gt_i64_e32 vcc, v[30:31], v[18:19]
	v_cmp_lt_u32_e64 s[6:7], v33, v21
	v_cndmask_b32_e32 v30, v18, v30, vcc
	s_and_b64 vcc, s[6:7], vcc
	v_cndmask_b32_e64 v30, v18, v30, s[6:7]
	v_cndmask_b32_e32 v31, v19, v31, vcc
	ds_bpermute_b32 v48, v35, v30
	ds_bpermute_b32 v49, v35, v31
	v_subrev_u32_e32 v24, 64, v24
	s_waitcnt lgkmcnt(0)
	v_cmp_gt_i64_e32 vcc, v[48:49], v[30:31]
	v_cndmask_b32_e32 v49, v31, v49, vcc
	v_cndmask_b32_e32 v48, v30, v48, vcc
	v_cmp_gt_u32_e32 vcc, v39, v21
	v_cndmask_b32_e32 v30, v48, v30, vcc
	v_cndmask_b32_e32 v31, v49, v31, vcc
	ds_bpermute_b32 v48, v40, v30
	ds_bpermute_b32 v49, v40, v31
	v_cndmask_b32_e64 v19, v19, v31, s[6:7]
	v_cndmask_b32_e64 v18, v18, v30, s[6:7]
	s_waitcnt lgkmcnt(0)
	v_cmp_gt_i64_e32 vcc, v[48:49], v[30:31]
	v_cndmask_b32_e32 v52, v31, v49, vcc
	v_cndmask_b32_e32 v53, v30, v48, vcc
	v_cmp_gt_u32_e32 vcc, v41, v21
	v_cndmask_b32_e32 v48, v53, v30, vcc
	v_cndmask_b32_e32 v49, v52, v31, vcc
	ds_bpermute_b32 v50, v42, v48
	ds_bpermute_b32 v51, v42, v49
	v_cndmask_b32_e32 v18, v53, v18, vcc
	v_cndmask_b32_e32 v19, v52, v19, vcc
	v_cmp_gt_u32_e32 vcc, v47, v21
	s_waitcnt lgkmcnt(0)
	v_cmp_gt_i64_e64 s[8:9], v[50:51], v[48:49]
	v_cndmask_b32_e64 v54, v49, v51, s[8:9]
	v_cndmask_b32_e64 v55, v48, v50, s[8:9]
	v_cmp_gt_u32_e64 s[8:9], v43, v21
	v_cndmask_b32_e64 v48, v55, v48, s[8:9]
	v_cndmask_b32_e64 v49, v54, v49, s[8:9]
	ds_bpermute_b32 v50, v44, v48
	ds_bpermute_b32 v51, v44, v49
	v_cndmask_b32_e64 v19, v54, v19, s[8:9]
	v_cndmask_b32_e64 v18, v55, v18, s[8:9]
	s_waitcnt lgkmcnt(0)
	v_cmp_gt_i64_e64 s[10:11], v[50:51], v[48:49]
	v_cndmask_b32_e64 v56, v49, v51, s[10:11]
	v_cndmask_b32_e64 v57, v48, v50, s[10:11]
	v_cmp_gt_u32_e64 s[10:11], v45, v21
	v_cndmask_b32_e64 v48, v57, v48, s[10:11]
	v_cndmask_b32_e64 v49, v56, v49, s[10:11]
	ds_bpermute_b32 v50, v46, v48
	ds_bpermute_b32 v51, v46, v49
	v_cndmask_b32_e64 v18, v57, v18, s[10:11]
	v_cndmask_b32_e64 v19, v56, v19, s[10:11]
	s_waitcnt lgkmcnt(0)
	v_cmp_gt_i64_e64 s[12:13], v[50:51], v[48:49]
	v_cndmask_b32_e64 v48, v48, v50, s[12:13]
	v_cndmask_b32_e64 v49, v49, v51, s[12:13]
	v_cndmask_b32_e32 v19, v49, v19, vcc
	v_cndmask_b32_e32 v18, v48, v18, vcc
	v_cmp_gt_i64_e32 vcc, v[18:19], v[26:27]
	v_cndmask_b32_e32 v19, v27, v19, vcc
	v_cndmask_b32_e32 v18, v26, v18, vcc
.LBB2578_40:                            ; =>This Loop Header: Depth=1
                                        ;     Child Loop BB2578_43 Depth 2
                                        ;       Child Loop BB2578_44 Depth 3
	v_cmp_ne_u16_sdwa s[6:7], v20, v32 src0_sel:BYTE_0 src1_sel:DWORD
	v_cndmask_b32_e64 v20, 0, 1, s[6:7]
	;;#ASMSTART
	;;#ASMEND
	v_cmp_ne_u32_e32 vcc, 0, v20
	s_cmp_lg_u64 vcc, exec
	v_pk_mov_b32 v[26:27], v[18:19], v[18:19] op_sel:[0,1]
	s_cbranch_scc1 .LBB2578_47
; %bb.41:                               ;   in Loop: Header=BB2578_40 Depth=1
	v_lshlrev_b64 v[18:19], 4, v[24:25]
	v_mov_b32_e32 v20, s15
	v_add_co_u32_e32 v30, vcc, s14, v18
	v_addc_co_u32_e32 v31, vcc, v20, v19, vcc
	;;#ASMSTART
	global_load_dwordx4 v[18:21], v[30:31] off glc	
s_waitcnt vmcnt(0)
	;;#ASMEND
	v_and_b32_e32 v21, 0xff, v19
	v_and_b32_e32 v48, 0xff00, v19
	v_or3_b32 v21, 0, v21, v48
	v_or3_b32 v18, v18, 0, 0
	v_and_b32_e32 v48, 0xff000000, v19
	v_and_b32_e32 v19, 0xff0000, v19
	v_or3_b32 v19, v21, v19, v48
	v_or3_b32 v18, v18, 0, 0
	v_cmp_eq_u16_sdwa s[8:9], v20, v25 src0_sel:BYTE_0 src1_sel:DWORD
	s_and_saveexec_b64 s[6:7], s[8:9]
	s_cbranch_execz .LBB2578_39
; %bb.42:                               ;   in Loop: Header=BB2578_40 Depth=1
	s_mov_b32 s10, 1
	s_mov_b64 s[8:9], 0
.LBB2578_43:                            ;   Parent Loop BB2578_40 Depth=1
                                        ; =>  This Loop Header: Depth=2
                                        ;       Child Loop BB2578_44 Depth 3
	s_max_u32 s11, s10, 1
.LBB2578_44:                            ;   Parent Loop BB2578_40 Depth=1
                                        ;     Parent Loop BB2578_43 Depth=2
                                        ; =>    This Inner Loop Header: Depth=3
	s_add_i32 s11, s11, -1
	s_cmp_eq_u32 s11, 0
	s_sleep 1
	s_cbranch_scc0 .LBB2578_44
; %bb.45:                               ;   in Loop: Header=BB2578_43 Depth=2
	s_cmp_lt_u32 s10, 32
	s_cselect_b64 s[12:13], -1, 0
	s_cmp_lg_u64 s[12:13], 0
	s_addc_u32 s10, s10, 0
	;;#ASMSTART
	global_load_dwordx4 v[18:21], v[30:31] off glc	
s_waitcnt vmcnt(0)
	;;#ASMEND
	v_cmp_ne_u16_sdwa s[12:13], v20, v25 src0_sel:BYTE_0 src1_sel:DWORD
	s_or_b64 s[8:9], s[12:13], s[8:9]
	s_andn2_b64 exec, exec, s[8:9]
	s_cbranch_execnz .LBB2578_43
; %bb.46:                               ;   in Loop: Header=BB2578_40 Depth=1
	s_or_b64 exec, exec, s[8:9]
	s_branch .LBB2578_39
.LBB2578_47:                            ;   in Loop: Header=BB2578_40 Depth=1
                                        ; implicit-def: $vgpr18_vgpr19
                                        ; implicit-def: $vgpr20
	s_cbranch_execz .LBB2578_40
; %bb.48:
	s_and_saveexec_b64 s[6:7], s[4:5]
	s_cbranch_execz .LBB2578_50
; %bb.49:
	s_add_i32 s4, s37, 64
	s_mov_b32 s5, 0
	s_lshl_b64 s[4:5], s[4:5], 4
	s_add_u32 s4, s14, s4
	v_cmp_gt_i64_e32 vcc, v[26:27], v[14:15]
	s_addc_u32 s5, s15, s5
	v_cndmask_b32_e32 v15, v15, v27, vcc
	v_cndmask_b32_e32 v14, v14, v26, vcc
	v_mov_b32_e32 v16, 2
	v_mov_b32_e32 v17, 0
	v_pk_mov_b32 v[18:19], s[4:5], s[4:5] op_sel:[0,1]
	;;#ASMSTART
	global_store_dwordx4 v[18:19], v[14:17] off	
s_waitcnt vmcnt(0)
	;;#ASMEND
.LBB2578_50:
	s_or_b64 exec, exec, s[6:7]
	s_and_b64 exec, exec, s[2:3]
	s_cbranch_execz .LBB2578_52
; %bb.51:
	v_mov_b32_e32 v14, 0
	ds_write_b64 v14, v[26:27]
.LBB2578_52:
	s_or_b64 exec, exec, s[34:35]
	v_mov_b32_e32 v14, 0
	s_waitcnt lgkmcnt(0)
	s_barrier
	ds_read_b64 v[14:15], v14
	v_cmp_gt_i64_e32 vcc, v[22:23], v[2:3]
	v_cndmask_b32_e32 v16, v2, v22, vcc
	v_cndmask_b32_e32 v17, v3, v23, vcc
	v_cndmask_b32_e64 v17, v17, v3, s[2:3]
	v_cndmask_b32_e64 v16, v16, v2, s[2:3]
	s_waitcnt lgkmcnt(0)
	v_cmp_gt_i64_e32 vcc, v[14:15], v[16:17]
	v_cndmask_b32_e32 v25, v17, v15, vcc
	v_cndmask_b32_e32 v24, v16, v14, vcc
	v_cmp_gt_i64_e32 vcc, v[24:25], v[4:5]
	v_cndmask_b32_e32 v31, v5, v25, vcc
	v_cndmask_b32_e32 v30, v4, v24, vcc
	;; [unrolled: 3-line block ×7, first 2 shown]
	s_branch .LBB2578_67
.LBB2578_53:
                                        ; implicit-def: $vgpr22_vgpr23
                                        ; implicit-def: $vgpr34_vgpr35
                                        ; implicit-def: $vgpr32_vgpr33
                                        ; implicit-def: $vgpr30_vgpr31
                                        ; implicit-def: $vgpr18_vgpr19_vgpr20_vgpr21
                                        ; implicit-def: $vgpr14_vgpr15_vgpr16_vgpr17
                                        ; implicit-def: $vgpr24_vgpr25_vgpr26_vgpr27
	s_cbranch_execz .LBB2578_67
; %bb.54:
	s_cmp_lg_u64 s[20:21], 0
	s_cselect_b64 s[4:5], -1, 0
	s_and_b64 s[6:7], s[2:3], s[4:5]
	s_and_saveexec_b64 s[4:5], s[6:7]
	s_cbranch_execz .LBB2578_56
; %bb.55:
	v_mov_b32_e32 v14, 0
	global_load_dwordx2 v[14:15], v14, s[16:17]
	s_waitcnt vmcnt(0)
	v_cmp_gt_i64_e32 vcc, v[14:15], v[2:3]
	v_cndmask_b32_e32 v3, v3, v15, vcc
	v_cndmask_b32_e32 v2, v2, v14, vcc
.LBB2578_56:
	s_or_b64 exec, exec, s[4:5]
	v_cmp_gt_i64_e32 vcc, v[2:3], v[4:5]
	v_cndmask_b32_e32 v31, v5, v3, vcc
	v_cndmask_b32_e32 v30, v4, v2, vcc
	v_cmp_gt_i64_e32 vcc, v[30:31], v[10:11]
	v_cndmask_b32_e32 v15, v11, v31, vcc
	v_cndmask_b32_e32 v14, v10, v30, vcc
	;; [unrolled: 3-line block ×6, first 2 shown]
	v_add_lshl_u32 v1, v1, v0, 3
	v_cmp_gt_u32_e32 vcc, 64, v0
	ds_write_b64 v1, v[22:23]
	s_waitcnt lgkmcnt(0)
	s_barrier
	s_and_saveexec_b64 s[6:7], vcc
	s_cbranch_execz .LBB2578_60
; %bb.57:
	v_lshlrev_b32_e32 v1, 1, v0
	v_lshrrev_b32_e32 v16, 4, v0
	v_add_lshl_u32 v1, v16, v1, 3
	ds_read2_b64 v[24:27], v1 offset1:1
	v_mbcnt_lo_u32_b32 v16, -1, 0
	v_mbcnt_hi_u32_b32 v39, -1, v16
	v_and_b32_e32 v40, 15, v39
	v_and_b32_e32 v42, 16, v39
	s_waitcnt lgkmcnt(0)
	v_cmp_gt_i64_e32 vcc, v[24:25], v[26:27]
	v_cndmask_b32_e32 v17, v27, v25, vcc
	v_cndmask_b32_e32 v16, v26, v24, vcc
	v_cmp_ne_u32_e64 s[4:5], 0, v39
	v_mov_b32_dpp v21, v17 row_shr:1 row_mask:0xf bank_mask:0xf
	v_mov_b32_dpp v20, v16 row_shr:1 row_mask:0xf bank_mask:0xf
	v_cmp_gt_i64_e32 vcc, v[20:21], v[16:17]
	v_cndmask_b32_e32 v20, v16, v20, vcc
	v_cndmask_b32_e32 v21, v17, v21, vcc
	v_cmp_eq_u32_e32 vcc, 0, v40
	v_cndmask_b32_e32 v21, v21, v17, vcc
	v_cndmask_b32_e32 v20, v20, v16, vcc
	s_nop 0
	v_mov_b32_dpp v27, v21 row_shr:2 row_mask:0xf bank_mask:0xf
	v_mov_b32_dpp v26, v20 row_shr:2 row_mask:0xf bank_mask:0xf
	v_cmp_gt_i64_e32 vcc, v[26:27], v[20:21]
	v_cndmask_b32_e32 v26, v20, v26, vcc
	v_cndmask_b32_e32 v27, v21, v27, vcc
	v_cmp_lt_u32_e32 vcc, 1, v40
	v_cndmask_b32_e32 v21, v21, v27, vcc
	v_cndmask_b32_e32 v20, v20, v26, vcc
	s_nop 0
	v_mov_b32_dpp v27, v21 row_shr:4 row_mask:0xf bank_mask:0xf
	v_mov_b32_dpp v26, v20 row_shr:4 row_mask:0xf bank_mask:0xf
	v_cmp_gt_i64_e32 vcc, v[26:27], v[20:21]
	v_cndmask_b32_e32 v26, v20, v26, vcc
	v_cndmask_b32_e32 v27, v21, v27, vcc
	v_cmp_lt_u32_e32 vcc, 3, v40
	;; [unrolled: 9-line block ×3, first 2 shown]
	v_cndmask_b32_e32 v21, v21, v27, vcc
	v_cndmask_b32_e32 v20, v20, v26, vcc
	s_nop 0
	v_mov_b32_dpp v27, v21 row_bcast:15 row_mask:0xf bank_mask:0xf
	v_mov_b32_dpp v26, v20 row_bcast:15 row_mask:0xf bank_mask:0xf
	v_cmp_gt_i64_e32 vcc, v[26:27], v[20:21]
	v_cndmask_b32_e32 v40, v21, v27, vcc
	v_cndmask_b32_e32 v41, v20, v26, vcc
	v_cmp_eq_u32_e32 vcc, 0, v42
	v_cndmask_b32_e32 v27, v40, v21, vcc
	v_cndmask_b32_e32 v26, v41, v20, vcc
	s_nop 0
	v_mov_b32_dpp v27, v27 row_bcast:31 row_mask:0xf bank_mask:0xf
	v_mov_b32_dpp v26, v26 row_bcast:31 row_mask:0xf bank_mask:0xf
	s_and_saveexec_b64 s[8:9], s[4:5]
; %bb.58:
	v_cndmask_b32_e32 v17, v40, v21, vcc
	v_cndmask_b32_e32 v16, v41, v20, vcc
	v_cmp_lt_u32_e64 s[4:5], 31, v39
	v_cmp_gt_i64_e32 vcc, v[26:27], v[16:17]
	s_and_b64 vcc, s[4:5], vcc
	v_cndmask_b32_e32 v16, v16, v26, vcc
	v_cndmask_b32_e32 v17, v17, v27, vcc
; %bb.59:
	s_or_b64 exec, exec, s[8:9]
	v_add_u32_e32 v20, -1, v39
	v_and_b32_e32 v21, 64, v39
	v_cmp_lt_i32_e32 vcc, v20, v21
	v_cndmask_b32_e32 v20, v20, v39, vcc
	v_lshlrev_b32_e32 v20, 2, v20
	ds_bpermute_b32 v16, v20, v16
	ds_bpermute_b32 v17, v20, v17
	; wave barrier
	s_waitcnt lgkmcnt(0)
	v_cmp_gt_i64_e32 vcc, v[16:17], v[24:25]
	v_cndmask_b32_e32 v16, v24, v16, vcc
	v_cndmask_b32_e32 v17, v25, v17, vcc
	v_cndmask_b32_e64 v17, v17, v23, s[2:3]
	v_cndmask_b32_e64 v16, v16, v22, s[2:3]
	ds_write_b64 v1, v[16:17]
	; wave barrier
	ds_read_b64 v[20:21], v1 offset:8
	s_waitcnt lgkmcnt(0)
	v_cmp_gt_i64_e32 vcc, v[16:17], v[20:21]
	v_cndmask_b32_e32 v17, v21, v17, vcc
	v_cndmask_b32_e32 v16, v20, v16, vcc
	ds_write_b64 v1, v[16:17] offset:8
.LBB2578_60:
	s_or_b64 exec, exec, s[6:7]
	v_pk_mov_b32 v[16:17], v[22:23], v[22:23] op_sel:[0,1]
	s_waitcnt lgkmcnt(0)
	s_barrier
	s_and_saveexec_b64 s[2:3], s[0:1]
	s_cbranch_execz .LBB2578_62
; %bb.61:
	v_add_u32_e32 v1, -1, v0
	v_lshrrev_b32_e32 v16, 5, v1
	v_add_lshl_u32 v1, v16, v1, 3
	ds_read_b64 v[16:17], v1
.LBB2578_62:
	s_or_b64 exec, exec, s[2:3]
	s_and_saveexec_b64 s[2:3], s[0:1]
	s_cbranch_execz .LBB2578_64
; %bb.63:
	s_waitcnt lgkmcnt(0)
	v_cmp_gt_i64_e32 vcc, v[16:17], v[2:3]
	v_cndmask_b32_e32 v3, v3, v17, vcc
	v_cndmask_b32_e32 v2, v2, v16, vcc
	v_cmp_gt_i64_e32 vcc, v[2:3], v[4:5]
	v_cndmask_b32_e32 v31, v5, v3, vcc
	v_cndmask_b32_e32 v30, v4, v2, vcc
	;; [unrolled: 3-line block ×7, first 2 shown]
	;;#ASMSTART
	;;#ASMEND
.LBB2578_64:
	s_or_b64 exec, exec, s[2:3]
	s_movk_i32 s0, 0x7f
	v_cmp_eq_u32_e32 vcc, s0, v0
	s_and_saveexec_b64 s[0:1], vcc
	s_cbranch_execz .LBB2578_66
; %bb.65:
	s_add_u32 s2, s14, 0x400
	s_addc_u32 s3, s15, 0
	v_mov_b32_e32 v24, 2
	v_mov_b32_e32 v25, 0
	v_pk_mov_b32 v[4:5], s[2:3], s[2:3] op_sel:[0,1]
	;;#ASMSTART
	global_store_dwordx4 v[4:5], v[22:25] off	
s_waitcnt vmcnt(0)
	;;#ASMEND
.LBB2578_66:
	s_or_b64 exec, exec, s[0:1]
	v_pk_mov_b32 v[24:25], v[2:3], v[2:3] op_sel:[0,1]
.LBB2578_67:
	s_add_u32 s0, s28, s26
	s_addc_u32 s1, s29, s27
	s_add_u32 s2, s0, s30
	s_addc_u32 s3, s1, s31
	s_mov_b64 s[0:1], -1
	s_and_b64 vcc, exec, s[24:25]
	s_waitcnt lgkmcnt(0)
	s_barrier
	s_cbranch_vccz .LBB2578_69
; %bb.68:
	v_mul_u32_u24_e32 v1, 56, v0
	ds_write2_b64 v1, v[24:25], v[30:31] offset1:1
	ds_write2_b64 v1, v[14:15], v[32:33] offset0:2 offset1:3
	ds_write2_b64 v1, v[18:19], v[34:35] offset0:4 offset1:5
	ds_write_b64 v1, v[22:23] offset:48
	v_mul_i32_i24_e32 v1, 0xffffffd0, v0
	v_mad_u32_u24 v1, v0, 56, v1
	s_waitcnt lgkmcnt(0)
	s_barrier
	ds_read2st64_b64 v[2:5], v1 offset1:2
	ds_read2st64_b64 v[6:9], v1 offset0:4 offset1:6
	ds_read2st64_b64 v[10:13], v1 offset0:8 offset1:10
	ds_read_b64 v[16:17], v1 offset:6144
	v_mov_b32_e32 v1, s3
	v_add_co_u32_e32 v20, vcc, s2, v36
	v_addc_co_u32_e32 v21, vcc, 0, v1, vcc
	s_waitcnt lgkmcnt(3)
	flat_store_dwordx2 v[20:21], v[2:3]
	flat_store_dwordx2 v[20:21], v[4:5] offset:1024
	s_waitcnt lgkmcnt(0)
	flat_store_dwordx2 v[20:21], v[6:7] offset:2048
	flat_store_dwordx2 v[20:21], v[8:9] offset:3072
	v_add_co_u32_e32 v2, vcc, 0x1000, v20
	v_addc_co_u32_e32 v3, vcc, 0, v21, vcc
	flat_store_dwordx2 v[2:3], v[10:11]
	flat_store_dwordx2 v[2:3], v[12:13] offset:1024
	flat_store_dwordx2 v[2:3], v[16:17] offset:2048
	s_mov_b64 s[0:1], 0
.LBB2578_69:
	s_andn2_b64 vcc, exec, s[0:1]
	s_cbranch_vccnz .LBB2578_108
; %bb.70:
	s_movk_i32 s0, 0xffd0
	ds_write2_b64 v38, v[24:25], v[30:31] offset1:1
	ds_write2_b64 v38, v[14:15], v[32:33] offset0:2 offset1:3
	ds_write2_b64 v38, v[18:19], v[34:35] offset0:4 offset1:5
	ds_write_b64 v38, v[22:23] offset:48
	v_mad_i32_i24 v14, v0, s0, v38
	s_waitcnt lgkmcnt(0)
	s_barrier
	ds_read2st64_b64 v[2:5], v14 offset1:2
	ds_read2st64_b64 v[6:9], v14 offset0:4 offset1:6
	ds_read2st64_b64 v[10:13], v14 offset0:8 offset1:10
	ds_read_b64 v[14:15], v14 offset:6144
	v_mov_b32_e32 v17, s3
	v_add_co_u32_e32 v16, vcc, s2, v36
	v_addc_co_u32_e32 v17, vcc, 0, v17, vcc
	v_mov_b32_e32 v1, 0
	v_cmp_gt_u32_e32 vcc, s33, v0
	s_and_saveexec_b64 s[0:1], vcc
	s_cbranch_execz .LBB2578_72
; %bb.71:
	s_waitcnt lgkmcnt(0)
	flat_store_dwordx2 v[16:17], v[2:3]
.LBB2578_72:
	s_or_b64 exec, exec, s[0:1]
	v_or_b32_e32 v18, 0x80, v0
	v_cmp_gt_u32_e32 vcc, s33, v18
	s_and_saveexec_b64 s[0:1], vcc
	s_cbranch_execz .LBB2578_74
; %bb.73:
	s_waitcnt lgkmcnt(0)
	flat_store_dwordx2 v[16:17], v[4:5] offset:1024
.LBB2578_74:
	s_or_b64 exec, exec, s[0:1]
	v_or_b32_e32 v18, 0x100, v0
	v_cmp_gt_u32_e32 vcc, s33, v18
	s_and_saveexec_b64 s[0:1], vcc
	s_cbranch_execz .LBB2578_76
; %bb.75:
	s_waitcnt lgkmcnt(0)
	flat_store_dwordx2 v[16:17], v[6:7] offset:2048
.LBB2578_76:
	;; [unrolled: 9-line block ×3, first 2 shown]
	s_or_b64 exec, exec, s[0:1]
	v_or_b32_e32 v18, 0x200, v0
	v_cmp_gt_u32_e32 vcc, s33, v18
	s_and_saveexec_b64 s[0:1], vcc
	s_cbranch_execz .LBB2578_80
; %bb.79:
	v_add_co_u32_e32 v18, vcc, 0x1000, v16
	v_addc_co_u32_e32 v19, vcc, 0, v17, vcc
	s_waitcnt lgkmcnt(0)
	flat_store_dwordx2 v[18:19], v[10:11]
.LBB2578_80:
	s_or_b64 exec, exec, s[0:1]
	v_or_b32_e32 v18, 0x280, v0
	v_cmp_gt_u32_e32 vcc, s33, v18
	s_and_saveexec_b64 s[0:1], vcc
	s_cbranch_execz .LBB2578_82
; %bb.81:
	v_add_co_u32_e32 v18, vcc, 0x1000, v16
	v_addc_co_u32_e32 v19, vcc, 0, v17, vcc
	s_waitcnt lgkmcnt(0)
	flat_store_dwordx2 v[18:19], v[12:13] offset:1024
.LBB2578_82:
	s_or_b64 exec, exec, s[0:1]
	v_or_b32_e32 v18, 0x300, v0
	v_cmp_gt_u32_e32 vcc, s33, v18
	s_and_saveexec_b64 s[0:1], vcc
	s_cbranch_execz .LBB2578_84
; %bb.83:
	v_add_co_u32_e32 v16, vcc, 0x1000, v16
	v_addc_co_u32_e32 v17, vcc, 0, v17, vcc
	s_waitcnt lgkmcnt(0)
	flat_store_dwordx2 v[16:17], v[14:15] offset:2048
.LBB2578_84:
	s_or_b64 exec, exec, s[0:1]
	v_cmp_lt_u64_e64 s[0:1], s[22:23], 2
	s_and_b64 vcc, exec, s[0:1]
	s_cbranch_vccnz .LBB2578_108
; %bb.85:
	s_add_u32 s0, s33, -1
	s_addc_u32 s1, s36, -1
	s_add_u32 s2, 0, 0x92481000
	s_addc_u32 s3, 0, 0x64
	s_add_i32 s3, s3, 0x249248c0
	s_mul_hi_u32 s7, s2, -7
	s_sub_i32 s7, s7, s2
	s_mul_i32 s8, s3, -7
	s_mul_i32 s4, s2, -7
	s_add_i32 s7, s7, s8
	s_mul_hi_u32 s5, s3, s4
	s_mul_i32 s6, s3, s4
	s_mul_i32 s9, s2, s7
	s_mul_hi_u32 s4, s2, s4
	s_mul_hi_u32 s8, s2, s7
	s_add_u32 s4, s4, s9
	s_addc_u32 s8, 0, s8
	s_add_u32 s4, s4, s6
	s_mul_hi_u32 s9, s3, s7
	s_addc_u32 s4, s8, s5
	s_addc_u32 s5, s9, 0
	s_mul_i32 s6, s3, s7
	s_add_u32 s4, s4, s6
	v_mov_b32_e32 v16, s4
	s_addc_u32 s5, 0, s5
	v_add_co_u32_e32 v16, vcc, s2, v16
	s_cmp_lg_u64 vcc, 0
	s_addc_u32 s2, s3, s5
	v_readfirstlane_b32 s5, v16
	s_mul_i32 s4, s0, s2
	s_mul_hi_u32 s6, s0, s5
	s_mul_hi_u32 s3, s0, s2
	s_add_u32 s4, s6, s4
	s_addc_u32 s3, 0, s3
	s_mul_hi_u32 s7, s1, s5
	s_mul_i32 s5, s1, s5
	s_add_u32 s4, s4, s5
	s_mul_hi_u32 s6, s1, s2
	s_addc_u32 s3, s3, s7
	s_addc_u32 s4, s6, 0
	s_mul_i32 s2, s1, s2
	s_add_u32 s2, s3, s2
	s_addc_u32 s3, 0, s4
	s_add_u32 s4, s2, 1
	s_addc_u32 s5, s3, 0
	s_add_u32 s6, s2, 2
	s_mul_i32 s8, s3, 7
	s_mul_hi_u32 s9, s2, 7
	s_addc_u32 s7, s3, 0
	s_add_i32 s9, s9, s8
	s_mul_i32 s8, s2, 7
	v_mov_b32_e32 v16, s8
	v_sub_co_u32_e32 v16, vcc, s0, v16
	s_cmp_lg_u64 vcc, 0
	s_subb_u32 s8, s1, s9
	v_subrev_co_u32_e32 v17, vcc, 7, v16
	s_cmp_lg_u64 vcc, 0
	s_subb_u32 s9, s8, 0
	v_readfirstlane_b32 s10, v17
	s_cmp_gt_u32 s10, 6
	s_cselect_b32 s10, -1, 0
	s_cmp_eq_u32 s9, 0
	s_cselect_b32 s9, s10, -1
	s_cmp_lg_u32 s9, 0
	s_cselect_b32 s4, s6, s4
	v_readfirstlane_b32 s6, v16
	s_cselect_b32 s5, s7, s5
	s_cmp_gt_u32 s6, 6
	s_cselect_b32 s6, -1, 0
	s_cmp_eq_u32 s8, 0
	s_cselect_b32 s6, s6, -1
	s_cmp_lg_u32 s6, 0
	s_cselect_b32 s3, s5, s3
	s_cselect_b32 s2, s4, s2
	v_cmp_eq_u64_e32 vcc, s[2:3], v[0:1]
	s_and_saveexec_b64 s[2:3], vcc
	s_cbranch_execz .LBB2578_108
; %bb.86:
	v_mul_hi_u32_u24_e32 v1, 7, v0
	v_mov_b32_e32 v16, s1
	v_sub_co_u32_e32 v0, vcc, s0, v37
	v_subb_co_u32_e32 v1, vcc, v16, v1, vcc
	v_cmp_lt_i64_e32 vcc, 3, v[0:1]
	s_and_saveexec_b64 s[0:1], vcc
	s_xor_b64 s[0:1], exec, s[0:1]
	s_cbranch_execz .LBB2578_96
; %bb.87:
	v_cmp_lt_i64_e32 vcc, 4, v[0:1]
	s_and_saveexec_b64 s[2:3], vcc
	s_xor_b64 s[2:3], exec, s[2:3]
	s_cbranch_execz .LBB2578_93
; %bb.88:
	;; [unrolled: 5-line block ×3, first 2 shown]
	v_mov_b32_e32 v0, 0
	s_waitcnt lgkmcnt(0)
	global_store_dwordx2 v0, v[14:15], s[18:19]
                                        ; implicit-def: $vgpr10_vgpr11_vgpr12_vgpr13
.LBB2578_90:
	s_andn2_saveexec_b64 s[4:5], s[4:5]
	s_cbranch_execz .LBB2578_92
; %bb.91:
	v_mov_b32_e32 v0, 0
	s_waitcnt lgkmcnt(0)
	global_store_dwordx2 v0, v[12:13], s[18:19]
.LBB2578_92:
	s_or_b64 exec, exec, s[4:5]
                                        ; implicit-def: $vgpr10_vgpr11_vgpr12_vgpr13
.LBB2578_93:
	s_andn2_saveexec_b64 s[2:3], s[2:3]
	s_cbranch_execz .LBB2578_95
; %bb.94:
	v_mov_b32_e32 v0, 0
	s_waitcnt lgkmcnt(0)
	global_store_dwordx2 v0, v[10:11], s[18:19]
.LBB2578_95:
	s_or_b64 exec, exec, s[2:3]
                                        ; implicit-def: $vgpr0_vgpr1
                                        ; implicit-def: $vgpr2_vgpr3_vgpr4_vgpr5
                                        ; implicit-def: $vgpr6_vgpr7_vgpr8_vgpr9
.LBB2578_96:
	s_andn2_saveexec_b64 s[0:1], s[0:1]
	s_cbranch_execz .LBB2578_108
; %bb.97:
	v_cmp_lt_i64_e32 vcc, 1, v[0:1]
	s_and_saveexec_b64 s[0:1], vcc
	s_xor_b64 s[0:1], exec, s[0:1]
	s_cbranch_execz .LBB2578_103
; %bb.98:
	v_cmp_lt_i64_e32 vcc, 2, v[0:1]
	s_and_saveexec_b64 s[2:3], vcc
	s_xor_b64 s[2:3], exec, s[2:3]
	s_cbranch_execz .LBB2578_100
; %bb.99:
	v_mov_b32_e32 v0, 0
	s_waitcnt lgkmcnt(0)
	global_store_dwordx2 v0, v[8:9], s[18:19]
                                        ; implicit-def: $vgpr6_vgpr7_vgpr8_vgpr9
.LBB2578_100:
	s_andn2_saveexec_b64 s[2:3], s[2:3]
	s_cbranch_execz .LBB2578_102
; %bb.101:
	v_mov_b32_e32 v0, 0
	s_waitcnt lgkmcnt(0)
	global_store_dwordx2 v0, v[6:7], s[18:19]
.LBB2578_102:
	s_or_b64 exec, exec, s[2:3]
                                        ; implicit-def: $vgpr2_vgpr3_vgpr4_vgpr5
                                        ; implicit-def: $vgpr0_vgpr1
.LBB2578_103:
	s_andn2_saveexec_b64 s[0:1], s[0:1]
	s_cbranch_execz .LBB2578_108
; %bb.104:
	v_cmp_ne_u64_e32 vcc, 1, v[0:1]
	s_and_saveexec_b64 s[0:1], vcc
	s_xor_b64 s[0:1], exec, s[0:1]
	s_cbranch_execz .LBB2578_106
; %bb.105:
	v_mov_b32_e32 v0, 0
	s_waitcnt lgkmcnt(0)
	global_store_dwordx2 v0, v[2:3], s[18:19]
                                        ; implicit-def: $vgpr2_vgpr3_vgpr4_vgpr5
.LBB2578_106:
	s_andn2_saveexec_b64 s[0:1], s[0:1]
	s_cbranch_execz .LBB2578_108
; %bb.107:
	v_mov_b32_e32 v0, 0
	s_waitcnt lgkmcnt(0)
	global_store_dwordx2 v0, v[4:5], s[18:19]
.LBB2578_108:
	s_endpgm
	.section	.rodata,"a",@progbits
	.p2align	6, 0x0
	.amdhsa_kernel _ZN7rocprim17ROCPRIM_400000_NS6detail17trampoline_kernelINS0_14default_configENS1_20scan_config_selectorIxEEZZNS1_9scan_implILNS1_25lookback_scan_determinismE0ELb0ELb0ES3_N6thrust23THRUST_200600_302600_NS6detail15normal_iteratorINS9_10device_ptrIxEEEESE_x11max_functorIxExEEDaPvRmT3_T4_T5_mT6_P12ihipStream_tbENKUlT_T0_E_clISt17integral_constantIbLb1EESU_EEDaSP_SQ_EUlSP_E_NS1_11comp_targetILNS1_3genE4ELNS1_11target_archE910ELNS1_3gpuE8ELNS1_3repE0EEENS1_30default_config_static_selectorELNS0_4arch9wavefront6targetE1EEEvT1_
		.amdhsa_group_segment_fixed_size 7168
		.amdhsa_private_segment_fixed_size 0
		.amdhsa_kernarg_size 104
		.amdhsa_user_sgpr_count 6
		.amdhsa_user_sgpr_private_segment_buffer 1
		.amdhsa_user_sgpr_dispatch_ptr 0
		.amdhsa_user_sgpr_queue_ptr 0
		.amdhsa_user_sgpr_kernarg_segment_ptr 1
		.amdhsa_user_sgpr_dispatch_id 0
		.amdhsa_user_sgpr_flat_scratch_init 0
		.amdhsa_user_sgpr_kernarg_preload_length 0
		.amdhsa_user_sgpr_kernarg_preload_offset 0
		.amdhsa_user_sgpr_private_segment_size 0
		.amdhsa_uses_dynamic_stack 0
		.amdhsa_system_sgpr_private_segment_wavefront_offset 0
		.amdhsa_system_sgpr_workgroup_id_x 1
		.amdhsa_system_sgpr_workgroup_id_y 0
		.amdhsa_system_sgpr_workgroup_id_z 0
		.amdhsa_system_sgpr_workgroup_info 0
		.amdhsa_system_vgpr_workitem_id 0
		.amdhsa_next_free_vgpr 58
		.amdhsa_next_free_sgpr 38
		.amdhsa_accum_offset 60
		.amdhsa_reserve_vcc 1
		.amdhsa_reserve_flat_scratch 0
		.amdhsa_float_round_mode_32 0
		.amdhsa_float_round_mode_16_64 0
		.amdhsa_float_denorm_mode_32 3
		.amdhsa_float_denorm_mode_16_64 3
		.amdhsa_dx10_clamp 1
		.amdhsa_ieee_mode 1
		.amdhsa_fp16_overflow 0
		.amdhsa_tg_split 0
		.amdhsa_exception_fp_ieee_invalid_op 0
		.amdhsa_exception_fp_denorm_src 0
		.amdhsa_exception_fp_ieee_div_zero 0
		.amdhsa_exception_fp_ieee_overflow 0
		.amdhsa_exception_fp_ieee_underflow 0
		.amdhsa_exception_fp_ieee_inexact 0
		.amdhsa_exception_int_div_zero 0
	.end_amdhsa_kernel
	.section	.text._ZN7rocprim17ROCPRIM_400000_NS6detail17trampoline_kernelINS0_14default_configENS1_20scan_config_selectorIxEEZZNS1_9scan_implILNS1_25lookback_scan_determinismE0ELb0ELb0ES3_N6thrust23THRUST_200600_302600_NS6detail15normal_iteratorINS9_10device_ptrIxEEEESE_x11max_functorIxExEEDaPvRmT3_T4_T5_mT6_P12ihipStream_tbENKUlT_T0_E_clISt17integral_constantIbLb1EESU_EEDaSP_SQ_EUlSP_E_NS1_11comp_targetILNS1_3genE4ELNS1_11target_archE910ELNS1_3gpuE8ELNS1_3repE0EEENS1_30default_config_static_selectorELNS0_4arch9wavefront6targetE1EEEvT1_,"axG",@progbits,_ZN7rocprim17ROCPRIM_400000_NS6detail17trampoline_kernelINS0_14default_configENS1_20scan_config_selectorIxEEZZNS1_9scan_implILNS1_25lookback_scan_determinismE0ELb0ELb0ES3_N6thrust23THRUST_200600_302600_NS6detail15normal_iteratorINS9_10device_ptrIxEEEESE_x11max_functorIxExEEDaPvRmT3_T4_T5_mT6_P12ihipStream_tbENKUlT_T0_E_clISt17integral_constantIbLb1EESU_EEDaSP_SQ_EUlSP_E_NS1_11comp_targetILNS1_3genE4ELNS1_11target_archE910ELNS1_3gpuE8ELNS1_3repE0EEENS1_30default_config_static_selectorELNS0_4arch9wavefront6targetE1EEEvT1_,comdat
.Lfunc_end2578:
	.size	_ZN7rocprim17ROCPRIM_400000_NS6detail17trampoline_kernelINS0_14default_configENS1_20scan_config_selectorIxEEZZNS1_9scan_implILNS1_25lookback_scan_determinismE0ELb0ELb0ES3_N6thrust23THRUST_200600_302600_NS6detail15normal_iteratorINS9_10device_ptrIxEEEESE_x11max_functorIxExEEDaPvRmT3_T4_T5_mT6_P12ihipStream_tbENKUlT_T0_E_clISt17integral_constantIbLb1EESU_EEDaSP_SQ_EUlSP_E_NS1_11comp_targetILNS1_3genE4ELNS1_11target_archE910ELNS1_3gpuE8ELNS1_3repE0EEENS1_30default_config_static_selectorELNS0_4arch9wavefront6targetE1EEEvT1_, .Lfunc_end2578-_ZN7rocprim17ROCPRIM_400000_NS6detail17trampoline_kernelINS0_14default_configENS1_20scan_config_selectorIxEEZZNS1_9scan_implILNS1_25lookback_scan_determinismE0ELb0ELb0ES3_N6thrust23THRUST_200600_302600_NS6detail15normal_iteratorINS9_10device_ptrIxEEEESE_x11max_functorIxExEEDaPvRmT3_T4_T5_mT6_P12ihipStream_tbENKUlT_T0_E_clISt17integral_constantIbLb1EESU_EEDaSP_SQ_EUlSP_E_NS1_11comp_targetILNS1_3genE4ELNS1_11target_archE910ELNS1_3gpuE8ELNS1_3repE0EEENS1_30default_config_static_selectorELNS0_4arch9wavefront6targetE1EEEvT1_
                                        ; -- End function
	.section	.AMDGPU.csdata,"",@progbits
; Kernel info:
; codeLenInByte = 5944
; NumSgprs: 42
; NumVgprs: 58
; NumAgprs: 0
; TotalNumVgprs: 58
; ScratchSize: 0
; MemoryBound: 0
; FloatMode: 240
; IeeeMode: 1
; LDSByteSize: 7168 bytes/workgroup (compile time only)
; SGPRBlocks: 5
; VGPRBlocks: 7
; NumSGPRsForWavesPerEU: 42
; NumVGPRsForWavesPerEU: 58
; AccumOffset: 60
; Occupancy: 5
; WaveLimiterHint : 1
; COMPUTE_PGM_RSRC2:SCRATCH_EN: 0
; COMPUTE_PGM_RSRC2:USER_SGPR: 6
; COMPUTE_PGM_RSRC2:TRAP_HANDLER: 0
; COMPUTE_PGM_RSRC2:TGID_X_EN: 1
; COMPUTE_PGM_RSRC2:TGID_Y_EN: 0
; COMPUTE_PGM_RSRC2:TGID_Z_EN: 0
; COMPUTE_PGM_RSRC2:TIDIG_COMP_CNT: 0
; COMPUTE_PGM_RSRC3_GFX90A:ACCUM_OFFSET: 14
; COMPUTE_PGM_RSRC3_GFX90A:TG_SPLIT: 0
	.section	.text._ZN7rocprim17ROCPRIM_400000_NS6detail17trampoline_kernelINS0_14default_configENS1_20scan_config_selectorIxEEZZNS1_9scan_implILNS1_25lookback_scan_determinismE0ELb0ELb0ES3_N6thrust23THRUST_200600_302600_NS6detail15normal_iteratorINS9_10device_ptrIxEEEESE_x11max_functorIxExEEDaPvRmT3_T4_T5_mT6_P12ihipStream_tbENKUlT_T0_E_clISt17integral_constantIbLb1EESU_EEDaSP_SQ_EUlSP_E_NS1_11comp_targetILNS1_3genE3ELNS1_11target_archE908ELNS1_3gpuE7ELNS1_3repE0EEENS1_30default_config_static_selectorELNS0_4arch9wavefront6targetE1EEEvT1_,"axG",@progbits,_ZN7rocprim17ROCPRIM_400000_NS6detail17trampoline_kernelINS0_14default_configENS1_20scan_config_selectorIxEEZZNS1_9scan_implILNS1_25lookback_scan_determinismE0ELb0ELb0ES3_N6thrust23THRUST_200600_302600_NS6detail15normal_iteratorINS9_10device_ptrIxEEEESE_x11max_functorIxExEEDaPvRmT3_T4_T5_mT6_P12ihipStream_tbENKUlT_T0_E_clISt17integral_constantIbLb1EESU_EEDaSP_SQ_EUlSP_E_NS1_11comp_targetILNS1_3genE3ELNS1_11target_archE908ELNS1_3gpuE7ELNS1_3repE0EEENS1_30default_config_static_selectorELNS0_4arch9wavefront6targetE1EEEvT1_,comdat
	.protected	_ZN7rocprim17ROCPRIM_400000_NS6detail17trampoline_kernelINS0_14default_configENS1_20scan_config_selectorIxEEZZNS1_9scan_implILNS1_25lookback_scan_determinismE0ELb0ELb0ES3_N6thrust23THRUST_200600_302600_NS6detail15normal_iteratorINS9_10device_ptrIxEEEESE_x11max_functorIxExEEDaPvRmT3_T4_T5_mT6_P12ihipStream_tbENKUlT_T0_E_clISt17integral_constantIbLb1EESU_EEDaSP_SQ_EUlSP_E_NS1_11comp_targetILNS1_3genE3ELNS1_11target_archE908ELNS1_3gpuE7ELNS1_3repE0EEENS1_30default_config_static_selectorELNS0_4arch9wavefront6targetE1EEEvT1_ ; -- Begin function _ZN7rocprim17ROCPRIM_400000_NS6detail17trampoline_kernelINS0_14default_configENS1_20scan_config_selectorIxEEZZNS1_9scan_implILNS1_25lookback_scan_determinismE0ELb0ELb0ES3_N6thrust23THRUST_200600_302600_NS6detail15normal_iteratorINS9_10device_ptrIxEEEESE_x11max_functorIxExEEDaPvRmT3_T4_T5_mT6_P12ihipStream_tbENKUlT_T0_E_clISt17integral_constantIbLb1EESU_EEDaSP_SQ_EUlSP_E_NS1_11comp_targetILNS1_3genE3ELNS1_11target_archE908ELNS1_3gpuE7ELNS1_3repE0EEENS1_30default_config_static_selectorELNS0_4arch9wavefront6targetE1EEEvT1_
	.globl	_ZN7rocprim17ROCPRIM_400000_NS6detail17trampoline_kernelINS0_14default_configENS1_20scan_config_selectorIxEEZZNS1_9scan_implILNS1_25lookback_scan_determinismE0ELb0ELb0ES3_N6thrust23THRUST_200600_302600_NS6detail15normal_iteratorINS9_10device_ptrIxEEEESE_x11max_functorIxExEEDaPvRmT3_T4_T5_mT6_P12ihipStream_tbENKUlT_T0_E_clISt17integral_constantIbLb1EESU_EEDaSP_SQ_EUlSP_E_NS1_11comp_targetILNS1_3genE3ELNS1_11target_archE908ELNS1_3gpuE7ELNS1_3repE0EEENS1_30default_config_static_selectorELNS0_4arch9wavefront6targetE1EEEvT1_
	.p2align	8
	.type	_ZN7rocprim17ROCPRIM_400000_NS6detail17trampoline_kernelINS0_14default_configENS1_20scan_config_selectorIxEEZZNS1_9scan_implILNS1_25lookback_scan_determinismE0ELb0ELb0ES3_N6thrust23THRUST_200600_302600_NS6detail15normal_iteratorINS9_10device_ptrIxEEEESE_x11max_functorIxExEEDaPvRmT3_T4_T5_mT6_P12ihipStream_tbENKUlT_T0_E_clISt17integral_constantIbLb1EESU_EEDaSP_SQ_EUlSP_E_NS1_11comp_targetILNS1_3genE3ELNS1_11target_archE908ELNS1_3gpuE7ELNS1_3repE0EEENS1_30default_config_static_selectorELNS0_4arch9wavefront6targetE1EEEvT1_,@function
_ZN7rocprim17ROCPRIM_400000_NS6detail17trampoline_kernelINS0_14default_configENS1_20scan_config_selectorIxEEZZNS1_9scan_implILNS1_25lookback_scan_determinismE0ELb0ELb0ES3_N6thrust23THRUST_200600_302600_NS6detail15normal_iteratorINS9_10device_ptrIxEEEESE_x11max_functorIxExEEDaPvRmT3_T4_T5_mT6_P12ihipStream_tbENKUlT_T0_E_clISt17integral_constantIbLb1EESU_EEDaSP_SQ_EUlSP_E_NS1_11comp_targetILNS1_3genE3ELNS1_11target_archE908ELNS1_3gpuE7ELNS1_3repE0EEENS1_30default_config_static_selectorELNS0_4arch9wavefront6targetE1EEEvT1_: ; @_ZN7rocprim17ROCPRIM_400000_NS6detail17trampoline_kernelINS0_14default_configENS1_20scan_config_selectorIxEEZZNS1_9scan_implILNS1_25lookback_scan_determinismE0ELb0ELb0ES3_N6thrust23THRUST_200600_302600_NS6detail15normal_iteratorINS9_10device_ptrIxEEEESE_x11max_functorIxExEEDaPvRmT3_T4_T5_mT6_P12ihipStream_tbENKUlT_T0_E_clISt17integral_constantIbLb1EESU_EEDaSP_SQ_EUlSP_E_NS1_11comp_targetILNS1_3genE3ELNS1_11target_archE908ELNS1_3gpuE7ELNS1_3repE0EEENS1_30default_config_static_selectorELNS0_4arch9wavefront6targetE1EEEvT1_
; %bb.0:
	.section	.rodata,"a",@progbits
	.p2align	6, 0x0
	.amdhsa_kernel _ZN7rocprim17ROCPRIM_400000_NS6detail17trampoline_kernelINS0_14default_configENS1_20scan_config_selectorIxEEZZNS1_9scan_implILNS1_25lookback_scan_determinismE0ELb0ELb0ES3_N6thrust23THRUST_200600_302600_NS6detail15normal_iteratorINS9_10device_ptrIxEEEESE_x11max_functorIxExEEDaPvRmT3_T4_T5_mT6_P12ihipStream_tbENKUlT_T0_E_clISt17integral_constantIbLb1EESU_EEDaSP_SQ_EUlSP_E_NS1_11comp_targetILNS1_3genE3ELNS1_11target_archE908ELNS1_3gpuE7ELNS1_3repE0EEENS1_30default_config_static_selectorELNS0_4arch9wavefront6targetE1EEEvT1_
		.amdhsa_group_segment_fixed_size 0
		.amdhsa_private_segment_fixed_size 0
		.amdhsa_kernarg_size 104
		.amdhsa_user_sgpr_count 6
		.amdhsa_user_sgpr_private_segment_buffer 1
		.amdhsa_user_sgpr_dispatch_ptr 0
		.amdhsa_user_sgpr_queue_ptr 0
		.amdhsa_user_sgpr_kernarg_segment_ptr 1
		.amdhsa_user_sgpr_dispatch_id 0
		.amdhsa_user_sgpr_flat_scratch_init 0
		.amdhsa_user_sgpr_kernarg_preload_length 0
		.amdhsa_user_sgpr_kernarg_preload_offset 0
		.amdhsa_user_sgpr_private_segment_size 0
		.amdhsa_uses_dynamic_stack 0
		.amdhsa_system_sgpr_private_segment_wavefront_offset 0
		.amdhsa_system_sgpr_workgroup_id_x 1
		.amdhsa_system_sgpr_workgroup_id_y 0
		.amdhsa_system_sgpr_workgroup_id_z 0
		.amdhsa_system_sgpr_workgroup_info 0
		.amdhsa_system_vgpr_workitem_id 0
		.amdhsa_next_free_vgpr 1
		.amdhsa_next_free_sgpr 0
		.amdhsa_accum_offset 4
		.amdhsa_reserve_vcc 0
		.amdhsa_reserve_flat_scratch 0
		.amdhsa_float_round_mode_32 0
		.amdhsa_float_round_mode_16_64 0
		.amdhsa_float_denorm_mode_32 3
		.amdhsa_float_denorm_mode_16_64 3
		.amdhsa_dx10_clamp 1
		.amdhsa_ieee_mode 1
		.amdhsa_fp16_overflow 0
		.amdhsa_tg_split 0
		.amdhsa_exception_fp_ieee_invalid_op 0
		.amdhsa_exception_fp_denorm_src 0
		.amdhsa_exception_fp_ieee_div_zero 0
		.amdhsa_exception_fp_ieee_overflow 0
		.amdhsa_exception_fp_ieee_underflow 0
		.amdhsa_exception_fp_ieee_inexact 0
		.amdhsa_exception_int_div_zero 0
	.end_amdhsa_kernel
	.section	.text._ZN7rocprim17ROCPRIM_400000_NS6detail17trampoline_kernelINS0_14default_configENS1_20scan_config_selectorIxEEZZNS1_9scan_implILNS1_25lookback_scan_determinismE0ELb0ELb0ES3_N6thrust23THRUST_200600_302600_NS6detail15normal_iteratorINS9_10device_ptrIxEEEESE_x11max_functorIxExEEDaPvRmT3_T4_T5_mT6_P12ihipStream_tbENKUlT_T0_E_clISt17integral_constantIbLb1EESU_EEDaSP_SQ_EUlSP_E_NS1_11comp_targetILNS1_3genE3ELNS1_11target_archE908ELNS1_3gpuE7ELNS1_3repE0EEENS1_30default_config_static_selectorELNS0_4arch9wavefront6targetE1EEEvT1_,"axG",@progbits,_ZN7rocprim17ROCPRIM_400000_NS6detail17trampoline_kernelINS0_14default_configENS1_20scan_config_selectorIxEEZZNS1_9scan_implILNS1_25lookback_scan_determinismE0ELb0ELb0ES3_N6thrust23THRUST_200600_302600_NS6detail15normal_iteratorINS9_10device_ptrIxEEEESE_x11max_functorIxExEEDaPvRmT3_T4_T5_mT6_P12ihipStream_tbENKUlT_T0_E_clISt17integral_constantIbLb1EESU_EEDaSP_SQ_EUlSP_E_NS1_11comp_targetILNS1_3genE3ELNS1_11target_archE908ELNS1_3gpuE7ELNS1_3repE0EEENS1_30default_config_static_selectorELNS0_4arch9wavefront6targetE1EEEvT1_,comdat
.Lfunc_end2579:
	.size	_ZN7rocprim17ROCPRIM_400000_NS6detail17trampoline_kernelINS0_14default_configENS1_20scan_config_selectorIxEEZZNS1_9scan_implILNS1_25lookback_scan_determinismE0ELb0ELb0ES3_N6thrust23THRUST_200600_302600_NS6detail15normal_iteratorINS9_10device_ptrIxEEEESE_x11max_functorIxExEEDaPvRmT3_T4_T5_mT6_P12ihipStream_tbENKUlT_T0_E_clISt17integral_constantIbLb1EESU_EEDaSP_SQ_EUlSP_E_NS1_11comp_targetILNS1_3genE3ELNS1_11target_archE908ELNS1_3gpuE7ELNS1_3repE0EEENS1_30default_config_static_selectorELNS0_4arch9wavefront6targetE1EEEvT1_, .Lfunc_end2579-_ZN7rocprim17ROCPRIM_400000_NS6detail17trampoline_kernelINS0_14default_configENS1_20scan_config_selectorIxEEZZNS1_9scan_implILNS1_25lookback_scan_determinismE0ELb0ELb0ES3_N6thrust23THRUST_200600_302600_NS6detail15normal_iteratorINS9_10device_ptrIxEEEESE_x11max_functorIxExEEDaPvRmT3_T4_T5_mT6_P12ihipStream_tbENKUlT_T0_E_clISt17integral_constantIbLb1EESU_EEDaSP_SQ_EUlSP_E_NS1_11comp_targetILNS1_3genE3ELNS1_11target_archE908ELNS1_3gpuE7ELNS1_3repE0EEENS1_30default_config_static_selectorELNS0_4arch9wavefront6targetE1EEEvT1_
                                        ; -- End function
	.section	.AMDGPU.csdata,"",@progbits
; Kernel info:
; codeLenInByte = 0
; NumSgprs: 4
; NumVgprs: 0
; NumAgprs: 0
; TotalNumVgprs: 0
; ScratchSize: 0
; MemoryBound: 0
; FloatMode: 240
; IeeeMode: 1
; LDSByteSize: 0 bytes/workgroup (compile time only)
; SGPRBlocks: 0
; VGPRBlocks: 0
; NumSGPRsForWavesPerEU: 4
; NumVGPRsForWavesPerEU: 1
; AccumOffset: 4
; Occupancy: 8
; WaveLimiterHint : 0
; COMPUTE_PGM_RSRC2:SCRATCH_EN: 0
; COMPUTE_PGM_RSRC2:USER_SGPR: 6
; COMPUTE_PGM_RSRC2:TRAP_HANDLER: 0
; COMPUTE_PGM_RSRC2:TGID_X_EN: 1
; COMPUTE_PGM_RSRC2:TGID_Y_EN: 0
; COMPUTE_PGM_RSRC2:TGID_Z_EN: 0
; COMPUTE_PGM_RSRC2:TIDIG_COMP_CNT: 0
; COMPUTE_PGM_RSRC3_GFX90A:ACCUM_OFFSET: 0
; COMPUTE_PGM_RSRC3_GFX90A:TG_SPLIT: 0
	.section	.text._ZN7rocprim17ROCPRIM_400000_NS6detail17trampoline_kernelINS0_14default_configENS1_20scan_config_selectorIxEEZZNS1_9scan_implILNS1_25lookback_scan_determinismE0ELb0ELb0ES3_N6thrust23THRUST_200600_302600_NS6detail15normal_iteratorINS9_10device_ptrIxEEEESE_x11max_functorIxExEEDaPvRmT3_T4_T5_mT6_P12ihipStream_tbENKUlT_T0_E_clISt17integral_constantIbLb1EESU_EEDaSP_SQ_EUlSP_E_NS1_11comp_targetILNS1_3genE2ELNS1_11target_archE906ELNS1_3gpuE6ELNS1_3repE0EEENS1_30default_config_static_selectorELNS0_4arch9wavefront6targetE1EEEvT1_,"axG",@progbits,_ZN7rocprim17ROCPRIM_400000_NS6detail17trampoline_kernelINS0_14default_configENS1_20scan_config_selectorIxEEZZNS1_9scan_implILNS1_25lookback_scan_determinismE0ELb0ELb0ES3_N6thrust23THRUST_200600_302600_NS6detail15normal_iteratorINS9_10device_ptrIxEEEESE_x11max_functorIxExEEDaPvRmT3_T4_T5_mT6_P12ihipStream_tbENKUlT_T0_E_clISt17integral_constantIbLb1EESU_EEDaSP_SQ_EUlSP_E_NS1_11comp_targetILNS1_3genE2ELNS1_11target_archE906ELNS1_3gpuE6ELNS1_3repE0EEENS1_30default_config_static_selectorELNS0_4arch9wavefront6targetE1EEEvT1_,comdat
	.protected	_ZN7rocprim17ROCPRIM_400000_NS6detail17trampoline_kernelINS0_14default_configENS1_20scan_config_selectorIxEEZZNS1_9scan_implILNS1_25lookback_scan_determinismE0ELb0ELb0ES3_N6thrust23THRUST_200600_302600_NS6detail15normal_iteratorINS9_10device_ptrIxEEEESE_x11max_functorIxExEEDaPvRmT3_T4_T5_mT6_P12ihipStream_tbENKUlT_T0_E_clISt17integral_constantIbLb1EESU_EEDaSP_SQ_EUlSP_E_NS1_11comp_targetILNS1_3genE2ELNS1_11target_archE906ELNS1_3gpuE6ELNS1_3repE0EEENS1_30default_config_static_selectorELNS0_4arch9wavefront6targetE1EEEvT1_ ; -- Begin function _ZN7rocprim17ROCPRIM_400000_NS6detail17trampoline_kernelINS0_14default_configENS1_20scan_config_selectorIxEEZZNS1_9scan_implILNS1_25lookback_scan_determinismE0ELb0ELb0ES3_N6thrust23THRUST_200600_302600_NS6detail15normal_iteratorINS9_10device_ptrIxEEEESE_x11max_functorIxExEEDaPvRmT3_T4_T5_mT6_P12ihipStream_tbENKUlT_T0_E_clISt17integral_constantIbLb1EESU_EEDaSP_SQ_EUlSP_E_NS1_11comp_targetILNS1_3genE2ELNS1_11target_archE906ELNS1_3gpuE6ELNS1_3repE0EEENS1_30default_config_static_selectorELNS0_4arch9wavefront6targetE1EEEvT1_
	.globl	_ZN7rocprim17ROCPRIM_400000_NS6detail17trampoline_kernelINS0_14default_configENS1_20scan_config_selectorIxEEZZNS1_9scan_implILNS1_25lookback_scan_determinismE0ELb0ELb0ES3_N6thrust23THRUST_200600_302600_NS6detail15normal_iteratorINS9_10device_ptrIxEEEESE_x11max_functorIxExEEDaPvRmT3_T4_T5_mT6_P12ihipStream_tbENKUlT_T0_E_clISt17integral_constantIbLb1EESU_EEDaSP_SQ_EUlSP_E_NS1_11comp_targetILNS1_3genE2ELNS1_11target_archE906ELNS1_3gpuE6ELNS1_3repE0EEENS1_30default_config_static_selectorELNS0_4arch9wavefront6targetE1EEEvT1_
	.p2align	8
	.type	_ZN7rocprim17ROCPRIM_400000_NS6detail17trampoline_kernelINS0_14default_configENS1_20scan_config_selectorIxEEZZNS1_9scan_implILNS1_25lookback_scan_determinismE0ELb0ELb0ES3_N6thrust23THRUST_200600_302600_NS6detail15normal_iteratorINS9_10device_ptrIxEEEESE_x11max_functorIxExEEDaPvRmT3_T4_T5_mT6_P12ihipStream_tbENKUlT_T0_E_clISt17integral_constantIbLb1EESU_EEDaSP_SQ_EUlSP_E_NS1_11comp_targetILNS1_3genE2ELNS1_11target_archE906ELNS1_3gpuE6ELNS1_3repE0EEENS1_30default_config_static_selectorELNS0_4arch9wavefront6targetE1EEEvT1_,@function
_ZN7rocprim17ROCPRIM_400000_NS6detail17trampoline_kernelINS0_14default_configENS1_20scan_config_selectorIxEEZZNS1_9scan_implILNS1_25lookback_scan_determinismE0ELb0ELb0ES3_N6thrust23THRUST_200600_302600_NS6detail15normal_iteratorINS9_10device_ptrIxEEEESE_x11max_functorIxExEEDaPvRmT3_T4_T5_mT6_P12ihipStream_tbENKUlT_T0_E_clISt17integral_constantIbLb1EESU_EEDaSP_SQ_EUlSP_E_NS1_11comp_targetILNS1_3genE2ELNS1_11target_archE906ELNS1_3gpuE6ELNS1_3repE0EEENS1_30default_config_static_selectorELNS0_4arch9wavefront6targetE1EEEvT1_: ; @_ZN7rocprim17ROCPRIM_400000_NS6detail17trampoline_kernelINS0_14default_configENS1_20scan_config_selectorIxEEZZNS1_9scan_implILNS1_25lookback_scan_determinismE0ELb0ELb0ES3_N6thrust23THRUST_200600_302600_NS6detail15normal_iteratorINS9_10device_ptrIxEEEESE_x11max_functorIxExEEDaPvRmT3_T4_T5_mT6_P12ihipStream_tbENKUlT_T0_E_clISt17integral_constantIbLb1EESU_EEDaSP_SQ_EUlSP_E_NS1_11comp_targetILNS1_3genE2ELNS1_11target_archE906ELNS1_3gpuE6ELNS1_3repE0EEENS1_30default_config_static_selectorELNS0_4arch9wavefront6targetE1EEEvT1_
; %bb.0:
	.section	.rodata,"a",@progbits
	.p2align	6, 0x0
	.amdhsa_kernel _ZN7rocprim17ROCPRIM_400000_NS6detail17trampoline_kernelINS0_14default_configENS1_20scan_config_selectorIxEEZZNS1_9scan_implILNS1_25lookback_scan_determinismE0ELb0ELb0ES3_N6thrust23THRUST_200600_302600_NS6detail15normal_iteratorINS9_10device_ptrIxEEEESE_x11max_functorIxExEEDaPvRmT3_T4_T5_mT6_P12ihipStream_tbENKUlT_T0_E_clISt17integral_constantIbLb1EESU_EEDaSP_SQ_EUlSP_E_NS1_11comp_targetILNS1_3genE2ELNS1_11target_archE906ELNS1_3gpuE6ELNS1_3repE0EEENS1_30default_config_static_selectorELNS0_4arch9wavefront6targetE1EEEvT1_
		.amdhsa_group_segment_fixed_size 0
		.amdhsa_private_segment_fixed_size 0
		.amdhsa_kernarg_size 104
		.amdhsa_user_sgpr_count 6
		.amdhsa_user_sgpr_private_segment_buffer 1
		.amdhsa_user_sgpr_dispatch_ptr 0
		.amdhsa_user_sgpr_queue_ptr 0
		.amdhsa_user_sgpr_kernarg_segment_ptr 1
		.amdhsa_user_sgpr_dispatch_id 0
		.amdhsa_user_sgpr_flat_scratch_init 0
		.amdhsa_user_sgpr_kernarg_preload_length 0
		.amdhsa_user_sgpr_kernarg_preload_offset 0
		.amdhsa_user_sgpr_private_segment_size 0
		.amdhsa_uses_dynamic_stack 0
		.amdhsa_system_sgpr_private_segment_wavefront_offset 0
		.amdhsa_system_sgpr_workgroup_id_x 1
		.amdhsa_system_sgpr_workgroup_id_y 0
		.amdhsa_system_sgpr_workgroup_id_z 0
		.amdhsa_system_sgpr_workgroup_info 0
		.amdhsa_system_vgpr_workitem_id 0
		.amdhsa_next_free_vgpr 1
		.amdhsa_next_free_sgpr 0
		.amdhsa_accum_offset 4
		.amdhsa_reserve_vcc 0
		.amdhsa_reserve_flat_scratch 0
		.amdhsa_float_round_mode_32 0
		.amdhsa_float_round_mode_16_64 0
		.amdhsa_float_denorm_mode_32 3
		.amdhsa_float_denorm_mode_16_64 3
		.amdhsa_dx10_clamp 1
		.amdhsa_ieee_mode 1
		.amdhsa_fp16_overflow 0
		.amdhsa_tg_split 0
		.amdhsa_exception_fp_ieee_invalid_op 0
		.amdhsa_exception_fp_denorm_src 0
		.amdhsa_exception_fp_ieee_div_zero 0
		.amdhsa_exception_fp_ieee_overflow 0
		.amdhsa_exception_fp_ieee_underflow 0
		.amdhsa_exception_fp_ieee_inexact 0
		.amdhsa_exception_int_div_zero 0
	.end_amdhsa_kernel
	.section	.text._ZN7rocprim17ROCPRIM_400000_NS6detail17trampoline_kernelINS0_14default_configENS1_20scan_config_selectorIxEEZZNS1_9scan_implILNS1_25lookback_scan_determinismE0ELb0ELb0ES3_N6thrust23THRUST_200600_302600_NS6detail15normal_iteratorINS9_10device_ptrIxEEEESE_x11max_functorIxExEEDaPvRmT3_T4_T5_mT6_P12ihipStream_tbENKUlT_T0_E_clISt17integral_constantIbLb1EESU_EEDaSP_SQ_EUlSP_E_NS1_11comp_targetILNS1_3genE2ELNS1_11target_archE906ELNS1_3gpuE6ELNS1_3repE0EEENS1_30default_config_static_selectorELNS0_4arch9wavefront6targetE1EEEvT1_,"axG",@progbits,_ZN7rocprim17ROCPRIM_400000_NS6detail17trampoline_kernelINS0_14default_configENS1_20scan_config_selectorIxEEZZNS1_9scan_implILNS1_25lookback_scan_determinismE0ELb0ELb0ES3_N6thrust23THRUST_200600_302600_NS6detail15normal_iteratorINS9_10device_ptrIxEEEESE_x11max_functorIxExEEDaPvRmT3_T4_T5_mT6_P12ihipStream_tbENKUlT_T0_E_clISt17integral_constantIbLb1EESU_EEDaSP_SQ_EUlSP_E_NS1_11comp_targetILNS1_3genE2ELNS1_11target_archE906ELNS1_3gpuE6ELNS1_3repE0EEENS1_30default_config_static_selectorELNS0_4arch9wavefront6targetE1EEEvT1_,comdat
.Lfunc_end2580:
	.size	_ZN7rocprim17ROCPRIM_400000_NS6detail17trampoline_kernelINS0_14default_configENS1_20scan_config_selectorIxEEZZNS1_9scan_implILNS1_25lookback_scan_determinismE0ELb0ELb0ES3_N6thrust23THRUST_200600_302600_NS6detail15normal_iteratorINS9_10device_ptrIxEEEESE_x11max_functorIxExEEDaPvRmT3_T4_T5_mT6_P12ihipStream_tbENKUlT_T0_E_clISt17integral_constantIbLb1EESU_EEDaSP_SQ_EUlSP_E_NS1_11comp_targetILNS1_3genE2ELNS1_11target_archE906ELNS1_3gpuE6ELNS1_3repE0EEENS1_30default_config_static_selectorELNS0_4arch9wavefront6targetE1EEEvT1_, .Lfunc_end2580-_ZN7rocprim17ROCPRIM_400000_NS6detail17trampoline_kernelINS0_14default_configENS1_20scan_config_selectorIxEEZZNS1_9scan_implILNS1_25lookback_scan_determinismE0ELb0ELb0ES3_N6thrust23THRUST_200600_302600_NS6detail15normal_iteratorINS9_10device_ptrIxEEEESE_x11max_functorIxExEEDaPvRmT3_T4_T5_mT6_P12ihipStream_tbENKUlT_T0_E_clISt17integral_constantIbLb1EESU_EEDaSP_SQ_EUlSP_E_NS1_11comp_targetILNS1_3genE2ELNS1_11target_archE906ELNS1_3gpuE6ELNS1_3repE0EEENS1_30default_config_static_selectorELNS0_4arch9wavefront6targetE1EEEvT1_
                                        ; -- End function
	.section	.AMDGPU.csdata,"",@progbits
; Kernel info:
; codeLenInByte = 0
; NumSgprs: 4
; NumVgprs: 0
; NumAgprs: 0
; TotalNumVgprs: 0
; ScratchSize: 0
; MemoryBound: 0
; FloatMode: 240
; IeeeMode: 1
; LDSByteSize: 0 bytes/workgroup (compile time only)
; SGPRBlocks: 0
; VGPRBlocks: 0
; NumSGPRsForWavesPerEU: 4
; NumVGPRsForWavesPerEU: 1
; AccumOffset: 4
; Occupancy: 8
; WaveLimiterHint : 0
; COMPUTE_PGM_RSRC2:SCRATCH_EN: 0
; COMPUTE_PGM_RSRC2:USER_SGPR: 6
; COMPUTE_PGM_RSRC2:TRAP_HANDLER: 0
; COMPUTE_PGM_RSRC2:TGID_X_EN: 1
; COMPUTE_PGM_RSRC2:TGID_Y_EN: 0
; COMPUTE_PGM_RSRC2:TGID_Z_EN: 0
; COMPUTE_PGM_RSRC2:TIDIG_COMP_CNT: 0
; COMPUTE_PGM_RSRC3_GFX90A:ACCUM_OFFSET: 0
; COMPUTE_PGM_RSRC3_GFX90A:TG_SPLIT: 0
	.section	.text._ZN7rocprim17ROCPRIM_400000_NS6detail17trampoline_kernelINS0_14default_configENS1_20scan_config_selectorIxEEZZNS1_9scan_implILNS1_25lookback_scan_determinismE0ELb0ELb0ES3_N6thrust23THRUST_200600_302600_NS6detail15normal_iteratorINS9_10device_ptrIxEEEESE_x11max_functorIxExEEDaPvRmT3_T4_T5_mT6_P12ihipStream_tbENKUlT_T0_E_clISt17integral_constantIbLb1EESU_EEDaSP_SQ_EUlSP_E_NS1_11comp_targetILNS1_3genE10ELNS1_11target_archE1201ELNS1_3gpuE5ELNS1_3repE0EEENS1_30default_config_static_selectorELNS0_4arch9wavefront6targetE1EEEvT1_,"axG",@progbits,_ZN7rocprim17ROCPRIM_400000_NS6detail17trampoline_kernelINS0_14default_configENS1_20scan_config_selectorIxEEZZNS1_9scan_implILNS1_25lookback_scan_determinismE0ELb0ELb0ES3_N6thrust23THRUST_200600_302600_NS6detail15normal_iteratorINS9_10device_ptrIxEEEESE_x11max_functorIxExEEDaPvRmT3_T4_T5_mT6_P12ihipStream_tbENKUlT_T0_E_clISt17integral_constantIbLb1EESU_EEDaSP_SQ_EUlSP_E_NS1_11comp_targetILNS1_3genE10ELNS1_11target_archE1201ELNS1_3gpuE5ELNS1_3repE0EEENS1_30default_config_static_selectorELNS0_4arch9wavefront6targetE1EEEvT1_,comdat
	.protected	_ZN7rocprim17ROCPRIM_400000_NS6detail17trampoline_kernelINS0_14default_configENS1_20scan_config_selectorIxEEZZNS1_9scan_implILNS1_25lookback_scan_determinismE0ELb0ELb0ES3_N6thrust23THRUST_200600_302600_NS6detail15normal_iteratorINS9_10device_ptrIxEEEESE_x11max_functorIxExEEDaPvRmT3_T4_T5_mT6_P12ihipStream_tbENKUlT_T0_E_clISt17integral_constantIbLb1EESU_EEDaSP_SQ_EUlSP_E_NS1_11comp_targetILNS1_3genE10ELNS1_11target_archE1201ELNS1_3gpuE5ELNS1_3repE0EEENS1_30default_config_static_selectorELNS0_4arch9wavefront6targetE1EEEvT1_ ; -- Begin function _ZN7rocprim17ROCPRIM_400000_NS6detail17trampoline_kernelINS0_14default_configENS1_20scan_config_selectorIxEEZZNS1_9scan_implILNS1_25lookback_scan_determinismE0ELb0ELb0ES3_N6thrust23THRUST_200600_302600_NS6detail15normal_iteratorINS9_10device_ptrIxEEEESE_x11max_functorIxExEEDaPvRmT3_T4_T5_mT6_P12ihipStream_tbENKUlT_T0_E_clISt17integral_constantIbLb1EESU_EEDaSP_SQ_EUlSP_E_NS1_11comp_targetILNS1_3genE10ELNS1_11target_archE1201ELNS1_3gpuE5ELNS1_3repE0EEENS1_30default_config_static_selectorELNS0_4arch9wavefront6targetE1EEEvT1_
	.globl	_ZN7rocprim17ROCPRIM_400000_NS6detail17trampoline_kernelINS0_14default_configENS1_20scan_config_selectorIxEEZZNS1_9scan_implILNS1_25lookback_scan_determinismE0ELb0ELb0ES3_N6thrust23THRUST_200600_302600_NS6detail15normal_iteratorINS9_10device_ptrIxEEEESE_x11max_functorIxExEEDaPvRmT3_T4_T5_mT6_P12ihipStream_tbENKUlT_T0_E_clISt17integral_constantIbLb1EESU_EEDaSP_SQ_EUlSP_E_NS1_11comp_targetILNS1_3genE10ELNS1_11target_archE1201ELNS1_3gpuE5ELNS1_3repE0EEENS1_30default_config_static_selectorELNS0_4arch9wavefront6targetE1EEEvT1_
	.p2align	8
	.type	_ZN7rocprim17ROCPRIM_400000_NS6detail17trampoline_kernelINS0_14default_configENS1_20scan_config_selectorIxEEZZNS1_9scan_implILNS1_25lookback_scan_determinismE0ELb0ELb0ES3_N6thrust23THRUST_200600_302600_NS6detail15normal_iteratorINS9_10device_ptrIxEEEESE_x11max_functorIxExEEDaPvRmT3_T4_T5_mT6_P12ihipStream_tbENKUlT_T0_E_clISt17integral_constantIbLb1EESU_EEDaSP_SQ_EUlSP_E_NS1_11comp_targetILNS1_3genE10ELNS1_11target_archE1201ELNS1_3gpuE5ELNS1_3repE0EEENS1_30default_config_static_selectorELNS0_4arch9wavefront6targetE1EEEvT1_,@function
_ZN7rocprim17ROCPRIM_400000_NS6detail17trampoline_kernelINS0_14default_configENS1_20scan_config_selectorIxEEZZNS1_9scan_implILNS1_25lookback_scan_determinismE0ELb0ELb0ES3_N6thrust23THRUST_200600_302600_NS6detail15normal_iteratorINS9_10device_ptrIxEEEESE_x11max_functorIxExEEDaPvRmT3_T4_T5_mT6_P12ihipStream_tbENKUlT_T0_E_clISt17integral_constantIbLb1EESU_EEDaSP_SQ_EUlSP_E_NS1_11comp_targetILNS1_3genE10ELNS1_11target_archE1201ELNS1_3gpuE5ELNS1_3repE0EEENS1_30default_config_static_selectorELNS0_4arch9wavefront6targetE1EEEvT1_: ; @_ZN7rocprim17ROCPRIM_400000_NS6detail17trampoline_kernelINS0_14default_configENS1_20scan_config_selectorIxEEZZNS1_9scan_implILNS1_25lookback_scan_determinismE0ELb0ELb0ES3_N6thrust23THRUST_200600_302600_NS6detail15normal_iteratorINS9_10device_ptrIxEEEESE_x11max_functorIxExEEDaPvRmT3_T4_T5_mT6_P12ihipStream_tbENKUlT_T0_E_clISt17integral_constantIbLb1EESU_EEDaSP_SQ_EUlSP_E_NS1_11comp_targetILNS1_3genE10ELNS1_11target_archE1201ELNS1_3gpuE5ELNS1_3repE0EEENS1_30default_config_static_selectorELNS0_4arch9wavefront6targetE1EEEvT1_
; %bb.0:
	.section	.rodata,"a",@progbits
	.p2align	6, 0x0
	.amdhsa_kernel _ZN7rocprim17ROCPRIM_400000_NS6detail17trampoline_kernelINS0_14default_configENS1_20scan_config_selectorIxEEZZNS1_9scan_implILNS1_25lookback_scan_determinismE0ELb0ELb0ES3_N6thrust23THRUST_200600_302600_NS6detail15normal_iteratorINS9_10device_ptrIxEEEESE_x11max_functorIxExEEDaPvRmT3_T4_T5_mT6_P12ihipStream_tbENKUlT_T0_E_clISt17integral_constantIbLb1EESU_EEDaSP_SQ_EUlSP_E_NS1_11comp_targetILNS1_3genE10ELNS1_11target_archE1201ELNS1_3gpuE5ELNS1_3repE0EEENS1_30default_config_static_selectorELNS0_4arch9wavefront6targetE1EEEvT1_
		.amdhsa_group_segment_fixed_size 0
		.amdhsa_private_segment_fixed_size 0
		.amdhsa_kernarg_size 104
		.amdhsa_user_sgpr_count 6
		.amdhsa_user_sgpr_private_segment_buffer 1
		.amdhsa_user_sgpr_dispatch_ptr 0
		.amdhsa_user_sgpr_queue_ptr 0
		.amdhsa_user_sgpr_kernarg_segment_ptr 1
		.amdhsa_user_sgpr_dispatch_id 0
		.amdhsa_user_sgpr_flat_scratch_init 0
		.amdhsa_user_sgpr_kernarg_preload_length 0
		.amdhsa_user_sgpr_kernarg_preload_offset 0
		.amdhsa_user_sgpr_private_segment_size 0
		.amdhsa_uses_dynamic_stack 0
		.amdhsa_system_sgpr_private_segment_wavefront_offset 0
		.amdhsa_system_sgpr_workgroup_id_x 1
		.amdhsa_system_sgpr_workgroup_id_y 0
		.amdhsa_system_sgpr_workgroup_id_z 0
		.amdhsa_system_sgpr_workgroup_info 0
		.amdhsa_system_vgpr_workitem_id 0
		.amdhsa_next_free_vgpr 1
		.amdhsa_next_free_sgpr 0
		.amdhsa_accum_offset 4
		.amdhsa_reserve_vcc 0
		.amdhsa_reserve_flat_scratch 0
		.amdhsa_float_round_mode_32 0
		.amdhsa_float_round_mode_16_64 0
		.amdhsa_float_denorm_mode_32 3
		.amdhsa_float_denorm_mode_16_64 3
		.amdhsa_dx10_clamp 1
		.amdhsa_ieee_mode 1
		.amdhsa_fp16_overflow 0
		.amdhsa_tg_split 0
		.amdhsa_exception_fp_ieee_invalid_op 0
		.amdhsa_exception_fp_denorm_src 0
		.amdhsa_exception_fp_ieee_div_zero 0
		.amdhsa_exception_fp_ieee_overflow 0
		.amdhsa_exception_fp_ieee_underflow 0
		.amdhsa_exception_fp_ieee_inexact 0
		.amdhsa_exception_int_div_zero 0
	.end_amdhsa_kernel
	.section	.text._ZN7rocprim17ROCPRIM_400000_NS6detail17trampoline_kernelINS0_14default_configENS1_20scan_config_selectorIxEEZZNS1_9scan_implILNS1_25lookback_scan_determinismE0ELb0ELb0ES3_N6thrust23THRUST_200600_302600_NS6detail15normal_iteratorINS9_10device_ptrIxEEEESE_x11max_functorIxExEEDaPvRmT3_T4_T5_mT6_P12ihipStream_tbENKUlT_T0_E_clISt17integral_constantIbLb1EESU_EEDaSP_SQ_EUlSP_E_NS1_11comp_targetILNS1_3genE10ELNS1_11target_archE1201ELNS1_3gpuE5ELNS1_3repE0EEENS1_30default_config_static_selectorELNS0_4arch9wavefront6targetE1EEEvT1_,"axG",@progbits,_ZN7rocprim17ROCPRIM_400000_NS6detail17trampoline_kernelINS0_14default_configENS1_20scan_config_selectorIxEEZZNS1_9scan_implILNS1_25lookback_scan_determinismE0ELb0ELb0ES3_N6thrust23THRUST_200600_302600_NS6detail15normal_iteratorINS9_10device_ptrIxEEEESE_x11max_functorIxExEEDaPvRmT3_T4_T5_mT6_P12ihipStream_tbENKUlT_T0_E_clISt17integral_constantIbLb1EESU_EEDaSP_SQ_EUlSP_E_NS1_11comp_targetILNS1_3genE10ELNS1_11target_archE1201ELNS1_3gpuE5ELNS1_3repE0EEENS1_30default_config_static_selectorELNS0_4arch9wavefront6targetE1EEEvT1_,comdat
.Lfunc_end2581:
	.size	_ZN7rocprim17ROCPRIM_400000_NS6detail17trampoline_kernelINS0_14default_configENS1_20scan_config_selectorIxEEZZNS1_9scan_implILNS1_25lookback_scan_determinismE0ELb0ELb0ES3_N6thrust23THRUST_200600_302600_NS6detail15normal_iteratorINS9_10device_ptrIxEEEESE_x11max_functorIxExEEDaPvRmT3_T4_T5_mT6_P12ihipStream_tbENKUlT_T0_E_clISt17integral_constantIbLb1EESU_EEDaSP_SQ_EUlSP_E_NS1_11comp_targetILNS1_3genE10ELNS1_11target_archE1201ELNS1_3gpuE5ELNS1_3repE0EEENS1_30default_config_static_selectorELNS0_4arch9wavefront6targetE1EEEvT1_, .Lfunc_end2581-_ZN7rocprim17ROCPRIM_400000_NS6detail17trampoline_kernelINS0_14default_configENS1_20scan_config_selectorIxEEZZNS1_9scan_implILNS1_25lookback_scan_determinismE0ELb0ELb0ES3_N6thrust23THRUST_200600_302600_NS6detail15normal_iteratorINS9_10device_ptrIxEEEESE_x11max_functorIxExEEDaPvRmT3_T4_T5_mT6_P12ihipStream_tbENKUlT_T0_E_clISt17integral_constantIbLb1EESU_EEDaSP_SQ_EUlSP_E_NS1_11comp_targetILNS1_3genE10ELNS1_11target_archE1201ELNS1_3gpuE5ELNS1_3repE0EEENS1_30default_config_static_selectorELNS0_4arch9wavefront6targetE1EEEvT1_
                                        ; -- End function
	.section	.AMDGPU.csdata,"",@progbits
; Kernel info:
; codeLenInByte = 0
; NumSgprs: 4
; NumVgprs: 0
; NumAgprs: 0
; TotalNumVgprs: 0
; ScratchSize: 0
; MemoryBound: 0
; FloatMode: 240
; IeeeMode: 1
; LDSByteSize: 0 bytes/workgroup (compile time only)
; SGPRBlocks: 0
; VGPRBlocks: 0
; NumSGPRsForWavesPerEU: 4
; NumVGPRsForWavesPerEU: 1
; AccumOffset: 4
; Occupancy: 8
; WaveLimiterHint : 0
; COMPUTE_PGM_RSRC2:SCRATCH_EN: 0
; COMPUTE_PGM_RSRC2:USER_SGPR: 6
; COMPUTE_PGM_RSRC2:TRAP_HANDLER: 0
; COMPUTE_PGM_RSRC2:TGID_X_EN: 1
; COMPUTE_PGM_RSRC2:TGID_Y_EN: 0
; COMPUTE_PGM_RSRC2:TGID_Z_EN: 0
; COMPUTE_PGM_RSRC2:TIDIG_COMP_CNT: 0
; COMPUTE_PGM_RSRC3_GFX90A:ACCUM_OFFSET: 0
; COMPUTE_PGM_RSRC3_GFX90A:TG_SPLIT: 0
	.section	.text._ZN7rocprim17ROCPRIM_400000_NS6detail17trampoline_kernelINS0_14default_configENS1_20scan_config_selectorIxEEZZNS1_9scan_implILNS1_25lookback_scan_determinismE0ELb0ELb0ES3_N6thrust23THRUST_200600_302600_NS6detail15normal_iteratorINS9_10device_ptrIxEEEESE_x11max_functorIxExEEDaPvRmT3_T4_T5_mT6_P12ihipStream_tbENKUlT_T0_E_clISt17integral_constantIbLb1EESU_EEDaSP_SQ_EUlSP_E_NS1_11comp_targetILNS1_3genE10ELNS1_11target_archE1200ELNS1_3gpuE4ELNS1_3repE0EEENS1_30default_config_static_selectorELNS0_4arch9wavefront6targetE1EEEvT1_,"axG",@progbits,_ZN7rocprim17ROCPRIM_400000_NS6detail17trampoline_kernelINS0_14default_configENS1_20scan_config_selectorIxEEZZNS1_9scan_implILNS1_25lookback_scan_determinismE0ELb0ELb0ES3_N6thrust23THRUST_200600_302600_NS6detail15normal_iteratorINS9_10device_ptrIxEEEESE_x11max_functorIxExEEDaPvRmT3_T4_T5_mT6_P12ihipStream_tbENKUlT_T0_E_clISt17integral_constantIbLb1EESU_EEDaSP_SQ_EUlSP_E_NS1_11comp_targetILNS1_3genE10ELNS1_11target_archE1200ELNS1_3gpuE4ELNS1_3repE0EEENS1_30default_config_static_selectorELNS0_4arch9wavefront6targetE1EEEvT1_,comdat
	.protected	_ZN7rocprim17ROCPRIM_400000_NS6detail17trampoline_kernelINS0_14default_configENS1_20scan_config_selectorIxEEZZNS1_9scan_implILNS1_25lookback_scan_determinismE0ELb0ELb0ES3_N6thrust23THRUST_200600_302600_NS6detail15normal_iteratorINS9_10device_ptrIxEEEESE_x11max_functorIxExEEDaPvRmT3_T4_T5_mT6_P12ihipStream_tbENKUlT_T0_E_clISt17integral_constantIbLb1EESU_EEDaSP_SQ_EUlSP_E_NS1_11comp_targetILNS1_3genE10ELNS1_11target_archE1200ELNS1_3gpuE4ELNS1_3repE0EEENS1_30default_config_static_selectorELNS0_4arch9wavefront6targetE1EEEvT1_ ; -- Begin function _ZN7rocprim17ROCPRIM_400000_NS6detail17trampoline_kernelINS0_14default_configENS1_20scan_config_selectorIxEEZZNS1_9scan_implILNS1_25lookback_scan_determinismE0ELb0ELb0ES3_N6thrust23THRUST_200600_302600_NS6detail15normal_iteratorINS9_10device_ptrIxEEEESE_x11max_functorIxExEEDaPvRmT3_T4_T5_mT6_P12ihipStream_tbENKUlT_T0_E_clISt17integral_constantIbLb1EESU_EEDaSP_SQ_EUlSP_E_NS1_11comp_targetILNS1_3genE10ELNS1_11target_archE1200ELNS1_3gpuE4ELNS1_3repE0EEENS1_30default_config_static_selectorELNS0_4arch9wavefront6targetE1EEEvT1_
	.globl	_ZN7rocprim17ROCPRIM_400000_NS6detail17trampoline_kernelINS0_14default_configENS1_20scan_config_selectorIxEEZZNS1_9scan_implILNS1_25lookback_scan_determinismE0ELb0ELb0ES3_N6thrust23THRUST_200600_302600_NS6detail15normal_iteratorINS9_10device_ptrIxEEEESE_x11max_functorIxExEEDaPvRmT3_T4_T5_mT6_P12ihipStream_tbENKUlT_T0_E_clISt17integral_constantIbLb1EESU_EEDaSP_SQ_EUlSP_E_NS1_11comp_targetILNS1_3genE10ELNS1_11target_archE1200ELNS1_3gpuE4ELNS1_3repE0EEENS1_30default_config_static_selectorELNS0_4arch9wavefront6targetE1EEEvT1_
	.p2align	8
	.type	_ZN7rocprim17ROCPRIM_400000_NS6detail17trampoline_kernelINS0_14default_configENS1_20scan_config_selectorIxEEZZNS1_9scan_implILNS1_25lookback_scan_determinismE0ELb0ELb0ES3_N6thrust23THRUST_200600_302600_NS6detail15normal_iteratorINS9_10device_ptrIxEEEESE_x11max_functorIxExEEDaPvRmT3_T4_T5_mT6_P12ihipStream_tbENKUlT_T0_E_clISt17integral_constantIbLb1EESU_EEDaSP_SQ_EUlSP_E_NS1_11comp_targetILNS1_3genE10ELNS1_11target_archE1200ELNS1_3gpuE4ELNS1_3repE0EEENS1_30default_config_static_selectorELNS0_4arch9wavefront6targetE1EEEvT1_,@function
_ZN7rocprim17ROCPRIM_400000_NS6detail17trampoline_kernelINS0_14default_configENS1_20scan_config_selectorIxEEZZNS1_9scan_implILNS1_25lookback_scan_determinismE0ELb0ELb0ES3_N6thrust23THRUST_200600_302600_NS6detail15normal_iteratorINS9_10device_ptrIxEEEESE_x11max_functorIxExEEDaPvRmT3_T4_T5_mT6_P12ihipStream_tbENKUlT_T0_E_clISt17integral_constantIbLb1EESU_EEDaSP_SQ_EUlSP_E_NS1_11comp_targetILNS1_3genE10ELNS1_11target_archE1200ELNS1_3gpuE4ELNS1_3repE0EEENS1_30default_config_static_selectorELNS0_4arch9wavefront6targetE1EEEvT1_: ; @_ZN7rocprim17ROCPRIM_400000_NS6detail17trampoline_kernelINS0_14default_configENS1_20scan_config_selectorIxEEZZNS1_9scan_implILNS1_25lookback_scan_determinismE0ELb0ELb0ES3_N6thrust23THRUST_200600_302600_NS6detail15normal_iteratorINS9_10device_ptrIxEEEESE_x11max_functorIxExEEDaPvRmT3_T4_T5_mT6_P12ihipStream_tbENKUlT_T0_E_clISt17integral_constantIbLb1EESU_EEDaSP_SQ_EUlSP_E_NS1_11comp_targetILNS1_3genE10ELNS1_11target_archE1200ELNS1_3gpuE4ELNS1_3repE0EEENS1_30default_config_static_selectorELNS0_4arch9wavefront6targetE1EEEvT1_
; %bb.0:
	.section	.rodata,"a",@progbits
	.p2align	6, 0x0
	.amdhsa_kernel _ZN7rocprim17ROCPRIM_400000_NS6detail17trampoline_kernelINS0_14default_configENS1_20scan_config_selectorIxEEZZNS1_9scan_implILNS1_25lookback_scan_determinismE0ELb0ELb0ES3_N6thrust23THRUST_200600_302600_NS6detail15normal_iteratorINS9_10device_ptrIxEEEESE_x11max_functorIxExEEDaPvRmT3_T4_T5_mT6_P12ihipStream_tbENKUlT_T0_E_clISt17integral_constantIbLb1EESU_EEDaSP_SQ_EUlSP_E_NS1_11comp_targetILNS1_3genE10ELNS1_11target_archE1200ELNS1_3gpuE4ELNS1_3repE0EEENS1_30default_config_static_selectorELNS0_4arch9wavefront6targetE1EEEvT1_
		.amdhsa_group_segment_fixed_size 0
		.amdhsa_private_segment_fixed_size 0
		.amdhsa_kernarg_size 104
		.amdhsa_user_sgpr_count 6
		.amdhsa_user_sgpr_private_segment_buffer 1
		.amdhsa_user_sgpr_dispatch_ptr 0
		.amdhsa_user_sgpr_queue_ptr 0
		.amdhsa_user_sgpr_kernarg_segment_ptr 1
		.amdhsa_user_sgpr_dispatch_id 0
		.amdhsa_user_sgpr_flat_scratch_init 0
		.amdhsa_user_sgpr_kernarg_preload_length 0
		.amdhsa_user_sgpr_kernarg_preload_offset 0
		.amdhsa_user_sgpr_private_segment_size 0
		.amdhsa_uses_dynamic_stack 0
		.amdhsa_system_sgpr_private_segment_wavefront_offset 0
		.amdhsa_system_sgpr_workgroup_id_x 1
		.amdhsa_system_sgpr_workgroup_id_y 0
		.amdhsa_system_sgpr_workgroup_id_z 0
		.amdhsa_system_sgpr_workgroup_info 0
		.amdhsa_system_vgpr_workitem_id 0
		.amdhsa_next_free_vgpr 1
		.amdhsa_next_free_sgpr 0
		.amdhsa_accum_offset 4
		.amdhsa_reserve_vcc 0
		.amdhsa_reserve_flat_scratch 0
		.amdhsa_float_round_mode_32 0
		.amdhsa_float_round_mode_16_64 0
		.amdhsa_float_denorm_mode_32 3
		.amdhsa_float_denorm_mode_16_64 3
		.amdhsa_dx10_clamp 1
		.amdhsa_ieee_mode 1
		.amdhsa_fp16_overflow 0
		.amdhsa_tg_split 0
		.amdhsa_exception_fp_ieee_invalid_op 0
		.amdhsa_exception_fp_denorm_src 0
		.amdhsa_exception_fp_ieee_div_zero 0
		.amdhsa_exception_fp_ieee_overflow 0
		.amdhsa_exception_fp_ieee_underflow 0
		.amdhsa_exception_fp_ieee_inexact 0
		.amdhsa_exception_int_div_zero 0
	.end_amdhsa_kernel
	.section	.text._ZN7rocprim17ROCPRIM_400000_NS6detail17trampoline_kernelINS0_14default_configENS1_20scan_config_selectorIxEEZZNS1_9scan_implILNS1_25lookback_scan_determinismE0ELb0ELb0ES3_N6thrust23THRUST_200600_302600_NS6detail15normal_iteratorINS9_10device_ptrIxEEEESE_x11max_functorIxExEEDaPvRmT3_T4_T5_mT6_P12ihipStream_tbENKUlT_T0_E_clISt17integral_constantIbLb1EESU_EEDaSP_SQ_EUlSP_E_NS1_11comp_targetILNS1_3genE10ELNS1_11target_archE1200ELNS1_3gpuE4ELNS1_3repE0EEENS1_30default_config_static_selectorELNS0_4arch9wavefront6targetE1EEEvT1_,"axG",@progbits,_ZN7rocprim17ROCPRIM_400000_NS6detail17trampoline_kernelINS0_14default_configENS1_20scan_config_selectorIxEEZZNS1_9scan_implILNS1_25lookback_scan_determinismE0ELb0ELb0ES3_N6thrust23THRUST_200600_302600_NS6detail15normal_iteratorINS9_10device_ptrIxEEEESE_x11max_functorIxExEEDaPvRmT3_T4_T5_mT6_P12ihipStream_tbENKUlT_T0_E_clISt17integral_constantIbLb1EESU_EEDaSP_SQ_EUlSP_E_NS1_11comp_targetILNS1_3genE10ELNS1_11target_archE1200ELNS1_3gpuE4ELNS1_3repE0EEENS1_30default_config_static_selectorELNS0_4arch9wavefront6targetE1EEEvT1_,comdat
.Lfunc_end2582:
	.size	_ZN7rocprim17ROCPRIM_400000_NS6detail17trampoline_kernelINS0_14default_configENS1_20scan_config_selectorIxEEZZNS1_9scan_implILNS1_25lookback_scan_determinismE0ELb0ELb0ES3_N6thrust23THRUST_200600_302600_NS6detail15normal_iteratorINS9_10device_ptrIxEEEESE_x11max_functorIxExEEDaPvRmT3_T4_T5_mT6_P12ihipStream_tbENKUlT_T0_E_clISt17integral_constantIbLb1EESU_EEDaSP_SQ_EUlSP_E_NS1_11comp_targetILNS1_3genE10ELNS1_11target_archE1200ELNS1_3gpuE4ELNS1_3repE0EEENS1_30default_config_static_selectorELNS0_4arch9wavefront6targetE1EEEvT1_, .Lfunc_end2582-_ZN7rocprim17ROCPRIM_400000_NS6detail17trampoline_kernelINS0_14default_configENS1_20scan_config_selectorIxEEZZNS1_9scan_implILNS1_25lookback_scan_determinismE0ELb0ELb0ES3_N6thrust23THRUST_200600_302600_NS6detail15normal_iteratorINS9_10device_ptrIxEEEESE_x11max_functorIxExEEDaPvRmT3_T4_T5_mT6_P12ihipStream_tbENKUlT_T0_E_clISt17integral_constantIbLb1EESU_EEDaSP_SQ_EUlSP_E_NS1_11comp_targetILNS1_3genE10ELNS1_11target_archE1200ELNS1_3gpuE4ELNS1_3repE0EEENS1_30default_config_static_selectorELNS0_4arch9wavefront6targetE1EEEvT1_
                                        ; -- End function
	.section	.AMDGPU.csdata,"",@progbits
; Kernel info:
; codeLenInByte = 0
; NumSgprs: 4
; NumVgprs: 0
; NumAgprs: 0
; TotalNumVgprs: 0
; ScratchSize: 0
; MemoryBound: 0
; FloatMode: 240
; IeeeMode: 1
; LDSByteSize: 0 bytes/workgroup (compile time only)
; SGPRBlocks: 0
; VGPRBlocks: 0
; NumSGPRsForWavesPerEU: 4
; NumVGPRsForWavesPerEU: 1
; AccumOffset: 4
; Occupancy: 8
; WaveLimiterHint : 0
; COMPUTE_PGM_RSRC2:SCRATCH_EN: 0
; COMPUTE_PGM_RSRC2:USER_SGPR: 6
; COMPUTE_PGM_RSRC2:TRAP_HANDLER: 0
; COMPUTE_PGM_RSRC2:TGID_X_EN: 1
; COMPUTE_PGM_RSRC2:TGID_Y_EN: 0
; COMPUTE_PGM_RSRC2:TGID_Z_EN: 0
; COMPUTE_PGM_RSRC2:TIDIG_COMP_CNT: 0
; COMPUTE_PGM_RSRC3_GFX90A:ACCUM_OFFSET: 0
; COMPUTE_PGM_RSRC3_GFX90A:TG_SPLIT: 0
	.section	.text._ZN7rocprim17ROCPRIM_400000_NS6detail17trampoline_kernelINS0_14default_configENS1_20scan_config_selectorIxEEZZNS1_9scan_implILNS1_25lookback_scan_determinismE0ELb0ELb0ES3_N6thrust23THRUST_200600_302600_NS6detail15normal_iteratorINS9_10device_ptrIxEEEESE_x11max_functorIxExEEDaPvRmT3_T4_T5_mT6_P12ihipStream_tbENKUlT_T0_E_clISt17integral_constantIbLb1EESU_EEDaSP_SQ_EUlSP_E_NS1_11comp_targetILNS1_3genE9ELNS1_11target_archE1100ELNS1_3gpuE3ELNS1_3repE0EEENS1_30default_config_static_selectorELNS0_4arch9wavefront6targetE1EEEvT1_,"axG",@progbits,_ZN7rocprim17ROCPRIM_400000_NS6detail17trampoline_kernelINS0_14default_configENS1_20scan_config_selectorIxEEZZNS1_9scan_implILNS1_25lookback_scan_determinismE0ELb0ELb0ES3_N6thrust23THRUST_200600_302600_NS6detail15normal_iteratorINS9_10device_ptrIxEEEESE_x11max_functorIxExEEDaPvRmT3_T4_T5_mT6_P12ihipStream_tbENKUlT_T0_E_clISt17integral_constantIbLb1EESU_EEDaSP_SQ_EUlSP_E_NS1_11comp_targetILNS1_3genE9ELNS1_11target_archE1100ELNS1_3gpuE3ELNS1_3repE0EEENS1_30default_config_static_selectorELNS0_4arch9wavefront6targetE1EEEvT1_,comdat
	.protected	_ZN7rocprim17ROCPRIM_400000_NS6detail17trampoline_kernelINS0_14default_configENS1_20scan_config_selectorIxEEZZNS1_9scan_implILNS1_25lookback_scan_determinismE0ELb0ELb0ES3_N6thrust23THRUST_200600_302600_NS6detail15normal_iteratorINS9_10device_ptrIxEEEESE_x11max_functorIxExEEDaPvRmT3_T4_T5_mT6_P12ihipStream_tbENKUlT_T0_E_clISt17integral_constantIbLb1EESU_EEDaSP_SQ_EUlSP_E_NS1_11comp_targetILNS1_3genE9ELNS1_11target_archE1100ELNS1_3gpuE3ELNS1_3repE0EEENS1_30default_config_static_selectorELNS0_4arch9wavefront6targetE1EEEvT1_ ; -- Begin function _ZN7rocprim17ROCPRIM_400000_NS6detail17trampoline_kernelINS0_14default_configENS1_20scan_config_selectorIxEEZZNS1_9scan_implILNS1_25lookback_scan_determinismE0ELb0ELb0ES3_N6thrust23THRUST_200600_302600_NS6detail15normal_iteratorINS9_10device_ptrIxEEEESE_x11max_functorIxExEEDaPvRmT3_T4_T5_mT6_P12ihipStream_tbENKUlT_T0_E_clISt17integral_constantIbLb1EESU_EEDaSP_SQ_EUlSP_E_NS1_11comp_targetILNS1_3genE9ELNS1_11target_archE1100ELNS1_3gpuE3ELNS1_3repE0EEENS1_30default_config_static_selectorELNS0_4arch9wavefront6targetE1EEEvT1_
	.globl	_ZN7rocprim17ROCPRIM_400000_NS6detail17trampoline_kernelINS0_14default_configENS1_20scan_config_selectorIxEEZZNS1_9scan_implILNS1_25lookback_scan_determinismE0ELb0ELb0ES3_N6thrust23THRUST_200600_302600_NS6detail15normal_iteratorINS9_10device_ptrIxEEEESE_x11max_functorIxExEEDaPvRmT3_T4_T5_mT6_P12ihipStream_tbENKUlT_T0_E_clISt17integral_constantIbLb1EESU_EEDaSP_SQ_EUlSP_E_NS1_11comp_targetILNS1_3genE9ELNS1_11target_archE1100ELNS1_3gpuE3ELNS1_3repE0EEENS1_30default_config_static_selectorELNS0_4arch9wavefront6targetE1EEEvT1_
	.p2align	8
	.type	_ZN7rocprim17ROCPRIM_400000_NS6detail17trampoline_kernelINS0_14default_configENS1_20scan_config_selectorIxEEZZNS1_9scan_implILNS1_25lookback_scan_determinismE0ELb0ELb0ES3_N6thrust23THRUST_200600_302600_NS6detail15normal_iteratorINS9_10device_ptrIxEEEESE_x11max_functorIxExEEDaPvRmT3_T4_T5_mT6_P12ihipStream_tbENKUlT_T0_E_clISt17integral_constantIbLb1EESU_EEDaSP_SQ_EUlSP_E_NS1_11comp_targetILNS1_3genE9ELNS1_11target_archE1100ELNS1_3gpuE3ELNS1_3repE0EEENS1_30default_config_static_selectorELNS0_4arch9wavefront6targetE1EEEvT1_,@function
_ZN7rocprim17ROCPRIM_400000_NS6detail17trampoline_kernelINS0_14default_configENS1_20scan_config_selectorIxEEZZNS1_9scan_implILNS1_25lookback_scan_determinismE0ELb0ELb0ES3_N6thrust23THRUST_200600_302600_NS6detail15normal_iteratorINS9_10device_ptrIxEEEESE_x11max_functorIxExEEDaPvRmT3_T4_T5_mT6_P12ihipStream_tbENKUlT_T0_E_clISt17integral_constantIbLb1EESU_EEDaSP_SQ_EUlSP_E_NS1_11comp_targetILNS1_3genE9ELNS1_11target_archE1100ELNS1_3gpuE3ELNS1_3repE0EEENS1_30default_config_static_selectorELNS0_4arch9wavefront6targetE1EEEvT1_: ; @_ZN7rocprim17ROCPRIM_400000_NS6detail17trampoline_kernelINS0_14default_configENS1_20scan_config_selectorIxEEZZNS1_9scan_implILNS1_25lookback_scan_determinismE0ELb0ELb0ES3_N6thrust23THRUST_200600_302600_NS6detail15normal_iteratorINS9_10device_ptrIxEEEESE_x11max_functorIxExEEDaPvRmT3_T4_T5_mT6_P12ihipStream_tbENKUlT_T0_E_clISt17integral_constantIbLb1EESU_EEDaSP_SQ_EUlSP_E_NS1_11comp_targetILNS1_3genE9ELNS1_11target_archE1100ELNS1_3gpuE3ELNS1_3repE0EEENS1_30default_config_static_selectorELNS0_4arch9wavefront6targetE1EEEvT1_
; %bb.0:
	.section	.rodata,"a",@progbits
	.p2align	6, 0x0
	.amdhsa_kernel _ZN7rocprim17ROCPRIM_400000_NS6detail17trampoline_kernelINS0_14default_configENS1_20scan_config_selectorIxEEZZNS1_9scan_implILNS1_25lookback_scan_determinismE0ELb0ELb0ES3_N6thrust23THRUST_200600_302600_NS6detail15normal_iteratorINS9_10device_ptrIxEEEESE_x11max_functorIxExEEDaPvRmT3_T4_T5_mT6_P12ihipStream_tbENKUlT_T0_E_clISt17integral_constantIbLb1EESU_EEDaSP_SQ_EUlSP_E_NS1_11comp_targetILNS1_3genE9ELNS1_11target_archE1100ELNS1_3gpuE3ELNS1_3repE0EEENS1_30default_config_static_selectorELNS0_4arch9wavefront6targetE1EEEvT1_
		.amdhsa_group_segment_fixed_size 0
		.amdhsa_private_segment_fixed_size 0
		.amdhsa_kernarg_size 104
		.amdhsa_user_sgpr_count 6
		.amdhsa_user_sgpr_private_segment_buffer 1
		.amdhsa_user_sgpr_dispatch_ptr 0
		.amdhsa_user_sgpr_queue_ptr 0
		.amdhsa_user_sgpr_kernarg_segment_ptr 1
		.amdhsa_user_sgpr_dispatch_id 0
		.amdhsa_user_sgpr_flat_scratch_init 0
		.amdhsa_user_sgpr_kernarg_preload_length 0
		.amdhsa_user_sgpr_kernarg_preload_offset 0
		.amdhsa_user_sgpr_private_segment_size 0
		.amdhsa_uses_dynamic_stack 0
		.amdhsa_system_sgpr_private_segment_wavefront_offset 0
		.amdhsa_system_sgpr_workgroup_id_x 1
		.amdhsa_system_sgpr_workgroup_id_y 0
		.amdhsa_system_sgpr_workgroup_id_z 0
		.amdhsa_system_sgpr_workgroup_info 0
		.amdhsa_system_vgpr_workitem_id 0
		.amdhsa_next_free_vgpr 1
		.amdhsa_next_free_sgpr 0
		.amdhsa_accum_offset 4
		.amdhsa_reserve_vcc 0
		.amdhsa_reserve_flat_scratch 0
		.amdhsa_float_round_mode_32 0
		.amdhsa_float_round_mode_16_64 0
		.amdhsa_float_denorm_mode_32 3
		.amdhsa_float_denorm_mode_16_64 3
		.amdhsa_dx10_clamp 1
		.amdhsa_ieee_mode 1
		.amdhsa_fp16_overflow 0
		.amdhsa_tg_split 0
		.amdhsa_exception_fp_ieee_invalid_op 0
		.amdhsa_exception_fp_denorm_src 0
		.amdhsa_exception_fp_ieee_div_zero 0
		.amdhsa_exception_fp_ieee_overflow 0
		.amdhsa_exception_fp_ieee_underflow 0
		.amdhsa_exception_fp_ieee_inexact 0
		.amdhsa_exception_int_div_zero 0
	.end_amdhsa_kernel
	.section	.text._ZN7rocprim17ROCPRIM_400000_NS6detail17trampoline_kernelINS0_14default_configENS1_20scan_config_selectorIxEEZZNS1_9scan_implILNS1_25lookback_scan_determinismE0ELb0ELb0ES3_N6thrust23THRUST_200600_302600_NS6detail15normal_iteratorINS9_10device_ptrIxEEEESE_x11max_functorIxExEEDaPvRmT3_T4_T5_mT6_P12ihipStream_tbENKUlT_T0_E_clISt17integral_constantIbLb1EESU_EEDaSP_SQ_EUlSP_E_NS1_11comp_targetILNS1_3genE9ELNS1_11target_archE1100ELNS1_3gpuE3ELNS1_3repE0EEENS1_30default_config_static_selectorELNS0_4arch9wavefront6targetE1EEEvT1_,"axG",@progbits,_ZN7rocprim17ROCPRIM_400000_NS6detail17trampoline_kernelINS0_14default_configENS1_20scan_config_selectorIxEEZZNS1_9scan_implILNS1_25lookback_scan_determinismE0ELb0ELb0ES3_N6thrust23THRUST_200600_302600_NS6detail15normal_iteratorINS9_10device_ptrIxEEEESE_x11max_functorIxExEEDaPvRmT3_T4_T5_mT6_P12ihipStream_tbENKUlT_T0_E_clISt17integral_constantIbLb1EESU_EEDaSP_SQ_EUlSP_E_NS1_11comp_targetILNS1_3genE9ELNS1_11target_archE1100ELNS1_3gpuE3ELNS1_3repE0EEENS1_30default_config_static_selectorELNS0_4arch9wavefront6targetE1EEEvT1_,comdat
.Lfunc_end2583:
	.size	_ZN7rocprim17ROCPRIM_400000_NS6detail17trampoline_kernelINS0_14default_configENS1_20scan_config_selectorIxEEZZNS1_9scan_implILNS1_25lookback_scan_determinismE0ELb0ELb0ES3_N6thrust23THRUST_200600_302600_NS6detail15normal_iteratorINS9_10device_ptrIxEEEESE_x11max_functorIxExEEDaPvRmT3_T4_T5_mT6_P12ihipStream_tbENKUlT_T0_E_clISt17integral_constantIbLb1EESU_EEDaSP_SQ_EUlSP_E_NS1_11comp_targetILNS1_3genE9ELNS1_11target_archE1100ELNS1_3gpuE3ELNS1_3repE0EEENS1_30default_config_static_selectorELNS0_4arch9wavefront6targetE1EEEvT1_, .Lfunc_end2583-_ZN7rocprim17ROCPRIM_400000_NS6detail17trampoline_kernelINS0_14default_configENS1_20scan_config_selectorIxEEZZNS1_9scan_implILNS1_25lookback_scan_determinismE0ELb0ELb0ES3_N6thrust23THRUST_200600_302600_NS6detail15normal_iteratorINS9_10device_ptrIxEEEESE_x11max_functorIxExEEDaPvRmT3_T4_T5_mT6_P12ihipStream_tbENKUlT_T0_E_clISt17integral_constantIbLb1EESU_EEDaSP_SQ_EUlSP_E_NS1_11comp_targetILNS1_3genE9ELNS1_11target_archE1100ELNS1_3gpuE3ELNS1_3repE0EEENS1_30default_config_static_selectorELNS0_4arch9wavefront6targetE1EEEvT1_
                                        ; -- End function
	.section	.AMDGPU.csdata,"",@progbits
; Kernel info:
; codeLenInByte = 0
; NumSgprs: 4
; NumVgprs: 0
; NumAgprs: 0
; TotalNumVgprs: 0
; ScratchSize: 0
; MemoryBound: 0
; FloatMode: 240
; IeeeMode: 1
; LDSByteSize: 0 bytes/workgroup (compile time only)
; SGPRBlocks: 0
; VGPRBlocks: 0
; NumSGPRsForWavesPerEU: 4
; NumVGPRsForWavesPerEU: 1
; AccumOffset: 4
; Occupancy: 8
; WaveLimiterHint : 0
; COMPUTE_PGM_RSRC2:SCRATCH_EN: 0
; COMPUTE_PGM_RSRC2:USER_SGPR: 6
; COMPUTE_PGM_RSRC2:TRAP_HANDLER: 0
; COMPUTE_PGM_RSRC2:TGID_X_EN: 1
; COMPUTE_PGM_RSRC2:TGID_Y_EN: 0
; COMPUTE_PGM_RSRC2:TGID_Z_EN: 0
; COMPUTE_PGM_RSRC2:TIDIG_COMP_CNT: 0
; COMPUTE_PGM_RSRC3_GFX90A:ACCUM_OFFSET: 0
; COMPUTE_PGM_RSRC3_GFX90A:TG_SPLIT: 0
	.section	.text._ZN7rocprim17ROCPRIM_400000_NS6detail17trampoline_kernelINS0_14default_configENS1_20scan_config_selectorIxEEZZNS1_9scan_implILNS1_25lookback_scan_determinismE0ELb0ELb0ES3_N6thrust23THRUST_200600_302600_NS6detail15normal_iteratorINS9_10device_ptrIxEEEESE_x11max_functorIxExEEDaPvRmT3_T4_T5_mT6_P12ihipStream_tbENKUlT_T0_E_clISt17integral_constantIbLb1EESU_EEDaSP_SQ_EUlSP_E_NS1_11comp_targetILNS1_3genE8ELNS1_11target_archE1030ELNS1_3gpuE2ELNS1_3repE0EEENS1_30default_config_static_selectorELNS0_4arch9wavefront6targetE1EEEvT1_,"axG",@progbits,_ZN7rocprim17ROCPRIM_400000_NS6detail17trampoline_kernelINS0_14default_configENS1_20scan_config_selectorIxEEZZNS1_9scan_implILNS1_25lookback_scan_determinismE0ELb0ELb0ES3_N6thrust23THRUST_200600_302600_NS6detail15normal_iteratorINS9_10device_ptrIxEEEESE_x11max_functorIxExEEDaPvRmT3_T4_T5_mT6_P12ihipStream_tbENKUlT_T0_E_clISt17integral_constantIbLb1EESU_EEDaSP_SQ_EUlSP_E_NS1_11comp_targetILNS1_3genE8ELNS1_11target_archE1030ELNS1_3gpuE2ELNS1_3repE0EEENS1_30default_config_static_selectorELNS0_4arch9wavefront6targetE1EEEvT1_,comdat
	.protected	_ZN7rocprim17ROCPRIM_400000_NS6detail17trampoline_kernelINS0_14default_configENS1_20scan_config_selectorIxEEZZNS1_9scan_implILNS1_25lookback_scan_determinismE0ELb0ELb0ES3_N6thrust23THRUST_200600_302600_NS6detail15normal_iteratorINS9_10device_ptrIxEEEESE_x11max_functorIxExEEDaPvRmT3_T4_T5_mT6_P12ihipStream_tbENKUlT_T0_E_clISt17integral_constantIbLb1EESU_EEDaSP_SQ_EUlSP_E_NS1_11comp_targetILNS1_3genE8ELNS1_11target_archE1030ELNS1_3gpuE2ELNS1_3repE0EEENS1_30default_config_static_selectorELNS0_4arch9wavefront6targetE1EEEvT1_ ; -- Begin function _ZN7rocprim17ROCPRIM_400000_NS6detail17trampoline_kernelINS0_14default_configENS1_20scan_config_selectorIxEEZZNS1_9scan_implILNS1_25lookback_scan_determinismE0ELb0ELb0ES3_N6thrust23THRUST_200600_302600_NS6detail15normal_iteratorINS9_10device_ptrIxEEEESE_x11max_functorIxExEEDaPvRmT3_T4_T5_mT6_P12ihipStream_tbENKUlT_T0_E_clISt17integral_constantIbLb1EESU_EEDaSP_SQ_EUlSP_E_NS1_11comp_targetILNS1_3genE8ELNS1_11target_archE1030ELNS1_3gpuE2ELNS1_3repE0EEENS1_30default_config_static_selectorELNS0_4arch9wavefront6targetE1EEEvT1_
	.globl	_ZN7rocprim17ROCPRIM_400000_NS6detail17trampoline_kernelINS0_14default_configENS1_20scan_config_selectorIxEEZZNS1_9scan_implILNS1_25lookback_scan_determinismE0ELb0ELb0ES3_N6thrust23THRUST_200600_302600_NS6detail15normal_iteratorINS9_10device_ptrIxEEEESE_x11max_functorIxExEEDaPvRmT3_T4_T5_mT6_P12ihipStream_tbENKUlT_T0_E_clISt17integral_constantIbLb1EESU_EEDaSP_SQ_EUlSP_E_NS1_11comp_targetILNS1_3genE8ELNS1_11target_archE1030ELNS1_3gpuE2ELNS1_3repE0EEENS1_30default_config_static_selectorELNS0_4arch9wavefront6targetE1EEEvT1_
	.p2align	8
	.type	_ZN7rocprim17ROCPRIM_400000_NS6detail17trampoline_kernelINS0_14default_configENS1_20scan_config_selectorIxEEZZNS1_9scan_implILNS1_25lookback_scan_determinismE0ELb0ELb0ES3_N6thrust23THRUST_200600_302600_NS6detail15normal_iteratorINS9_10device_ptrIxEEEESE_x11max_functorIxExEEDaPvRmT3_T4_T5_mT6_P12ihipStream_tbENKUlT_T0_E_clISt17integral_constantIbLb1EESU_EEDaSP_SQ_EUlSP_E_NS1_11comp_targetILNS1_3genE8ELNS1_11target_archE1030ELNS1_3gpuE2ELNS1_3repE0EEENS1_30default_config_static_selectorELNS0_4arch9wavefront6targetE1EEEvT1_,@function
_ZN7rocprim17ROCPRIM_400000_NS6detail17trampoline_kernelINS0_14default_configENS1_20scan_config_selectorIxEEZZNS1_9scan_implILNS1_25lookback_scan_determinismE0ELb0ELb0ES3_N6thrust23THRUST_200600_302600_NS6detail15normal_iteratorINS9_10device_ptrIxEEEESE_x11max_functorIxExEEDaPvRmT3_T4_T5_mT6_P12ihipStream_tbENKUlT_T0_E_clISt17integral_constantIbLb1EESU_EEDaSP_SQ_EUlSP_E_NS1_11comp_targetILNS1_3genE8ELNS1_11target_archE1030ELNS1_3gpuE2ELNS1_3repE0EEENS1_30default_config_static_selectorELNS0_4arch9wavefront6targetE1EEEvT1_: ; @_ZN7rocprim17ROCPRIM_400000_NS6detail17trampoline_kernelINS0_14default_configENS1_20scan_config_selectorIxEEZZNS1_9scan_implILNS1_25lookback_scan_determinismE0ELb0ELb0ES3_N6thrust23THRUST_200600_302600_NS6detail15normal_iteratorINS9_10device_ptrIxEEEESE_x11max_functorIxExEEDaPvRmT3_T4_T5_mT6_P12ihipStream_tbENKUlT_T0_E_clISt17integral_constantIbLb1EESU_EEDaSP_SQ_EUlSP_E_NS1_11comp_targetILNS1_3genE8ELNS1_11target_archE1030ELNS1_3gpuE2ELNS1_3repE0EEENS1_30default_config_static_selectorELNS0_4arch9wavefront6targetE1EEEvT1_
; %bb.0:
	.section	.rodata,"a",@progbits
	.p2align	6, 0x0
	.amdhsa_kernel _ZN7rocprim17ROCPRIM_400000_NS6detail17trampoline_kernelINS0_14default_configENS1_20scan_config_selectorIxEEZZNS1_9scan_implILNS1_25lookback_scan_determinismE0ELb0ELb0ES3_N6thrust23THRUST_200600_302600_NS6detail15normal_iteratorINS9_10device_ptrIxEEEESE_x11max_functorIxExEEDaPvRmT3_T4_T5_mT6_P12ihipStream_tbENKUlT_T0_E_clISt17integral_constantIbLb1EESU_EEDaSP_SQ_EUlSP_E_NS1_11comp_targetILNS1_3genE8ELNS1_11target_archE1030ELNS1_3gpuE2ELNS1_3repE0EEENS1_30default_config_static_selectorELNS0_4arch9wavefront6targetE1EEEvT1_
		.amdhsa_group_segment_fixed_size 0
		.amdhsa_private_segment_fixed_size 0
		.amdhsa_kernarg_size 104
		.amdhsa_user_sgpr_count 6
		.amdhsa_user_sgpr_private_segment_buffer 1
		.amdhsa_user_sgpr_dispatch_ptr 0
		.amdhsa_user_sgpr_queue_ptr 0
		.amdhsa_user_sgpr_kernarg_segment_ptr 1
		.amdhsa_user_sgpr_dispatch_id 0
		.amdhsa_user_sgpr_flat_scratch_init 0
		.amdhsa_user_sgpr_kernarg_preload_length 0
		.amdhsa_user_sgpr_kernarg_preload_offset 0
		.amdhsa_user_sgpr_private_segment_size 0
		.amdhsa_uses_dynamic_stack 0
		.amdhsa_system_sgpr_private_segment_wavefront_offset 0
		.amdhsa_system_sgpr_workgroup_id_x 1
		.amdhsa_system_sgpr_workgroup_id_y 0
		.amdhsa_system_sgpr_workgroup_id_z 0
		.amdhsa_system_sgpr_workgroup_info 0
		.amdhsa_system_vgpr_workitem_id 0
		.amdhsa_next_free_vgpr 1
		.amdhsa_next_free_sgpr 0
		.amdhsa_accum_offset 4
		.amdhsa_reserve_vcc 0
		.amdhsa_reserve_flat_scratch 0
		.amdhsa_float_round_mode_32 0
		.amdhsa_float_round_mode_16_64 0
		.amdhsa_float_denorm_mode_32 3
		.amdhsa_float_denorm_mode_16_64 3
		.amdhsa_dx10_clamp 1
		.amdhsa_ieee_mode 1
		.amdhsa_fp16_overflow 0
		.amdhsa_tg_split 0
		.amdhsa_exception_fp_ieee_invalid_op 0
		.amdhsa_exception_fp_denorm_src 0
		.amdhsa_exception_fp_ieee_div_zero 0
		.amdhsa_exception_fp_ieee_overflow 0
		.amdhsa_exception_fp_ieee_underflow 0
		.amdhsa_exception_fp_ieee_inexact 0
		.amdhsa_exception_int_div_zero 0
	.end_amdhsa_kernel
	.section	.text._ZN7rocprim17ROCPRIM_400000_NS6detail17trampoline_kernelINS0_14default_configENS1_20scan_config_selectorIxEEZZNS1_9scan_implILNS1_25lookback_scan_determinismE0ELb0ELb0ES3_N6thrust23THRUST_200600_302600_NS6detail15normal_iteratorINS9_10device_ptrIxEEEESE_x11max_functorIxExEEDaPvRmT3_T4_T5_mT6_P12ihipStream_tbENKUlT_T0_E_clISt17integral_constantIbLb1EESU_EEDaSP_SQ_EUlSP_E_NS1_11comp_targetILNS1_3genE8ELNS1_11target_archE1030ELNS1_3gpuE2ELNS1_3repE0EEENS1_30default_config_static_selectorELNS0_4arch9wavefront6targetE1EEEvT1_,"axG",@progbits,_ZN7rocprim17ROCPRIM_400000_NS6detail17trampoline_kernelINS0_14default_configENS1_20scan_config_selectorIxEEZZNS1_9scan_implILNS1_25lookback_scan_determinismE0ELb0ELb0ES3_N6thrust23THRUST_200600_302600_NS6detail15normal_iteratorINS9_10device_ptrIxEEEESE_x11max_functorIxExEEDaPvRmT3_T4_T5_mT6_P12ihipStream_tbENKUlT_T0_E_clISt17integral_constantIbLb1EESU_EEDaSP_SQ_EUlSP_E_NS1_11comp_targetILNS1_3genE8ELNS1_11target_archE1030ELNS1_3gpuE2ELNS1_3repE0EEENS1_30default_config_static_selectorELNS0_4arch9wavefront6targetE1EEEvT1_,comdat
.Lfunc_end2584:
	.size	_ZN7rocprim17ROCPRIM_400000_NS6detail17trampoline_kernelINS0_14default_configENS1_20scan_config_selectorIxEEZZNS1_9scan_implILNS1_25lookback_scan_determinismE0ELb0ELb0ES3_N6thrust23THRUST_200600_302600_NS6detail15normal_iteratorINS9_10device_ptrIxEEEESE_x11max_functorIxExEEDaPvRmT3_T4_T5_mT6_P12ihipStream_tbENKUlT_T0_E_clISt17integral_constantIbLb1EESU_EEDaSP_SQ_EUlSP_E_NS1_11comp_targetILNS1_3genE8ELNS1_11target_archE1030ELNS1_3gpuE2ELNS1_3repE0EEENS1_30default_config_static_selectorELNS0_4arch9wavefront6targetE1EEEvT1_, .Lfunc_end2584-_ZN7rocprim17ROCPRIM_400000_NS6detail17trampoline_kernelINS0_14default_configENS1_20scan_config_selectorIxEEZZNS1_9scan_implILNS1_25lookback_scan_determinismE0ELb0ELb0ES3_N6thrust23THRUST_200600_302600_NS6detail15normal_iteratorINS9_10device_ptrIxEEEESE_x11max_functorIxExEEDaPvRmT3_T4_T5_mT6_P12ihipStream_tbENKUlT_T0_E_clISt17integral_constantIbLb1EESU_EEDaSP_SQ_EUlSP_E_NS1_11comp_targetILNS1_3genE8ELNS1_11target_archE1030ELNS1_3gpuE2ELNS1_3repE0EEENS1_30default_config_static_selectorELNS0_4arch9wavefront6targetE1EEEvT1_
                                        ; -- End function
	.section	.AMDGPU.csdata,"",@progbits
; Kernel info:
; codeLenInByte = 0
; NumSgprs: 4
; NumVgprs: 0
; NumAgprs: 0
; TotalNumVgprs: 0
; ScratchSize: 0
; MemoryBound: 0
; FloatMode: 240
; IeeeMode: 1
; LDSByteSize: 0 bytes/workgroup (compile time only)
; SGPRBlocks: 0
; VGPRBlocks: 0
; NumSGPRsForWavesPerEU: 4
; NumVGPRsForWavesPerEU: 1
; AccumOffset: 4
; Occupancy: 8
; WaveLimiterHint : 0
; COMPUTE_PGM_RSRC2:SCRATCH_EN: 0
; COMPUTE_PGM_RSRC2:USER_SGPR: 6
; COMPUTE_PGM_RSRC2:TRAP_HANDLER: 0
; COMPUTE_PGM_RSRC2:TGID_X_EN: 1
; COMPUTE_PGM_RSRC2:TGID_Y_EN: 0
; COMPUTE_PGM_RSRC2:TGID_Z_EN: 0
; COMPUTE_PGM_RSRC2:TIDIG_COMP_CNT: 0
; COMPUTE_PGM_RSRC3_GFX90A:ACCUM_OFFSET: 0
; COMPUTE_PGM_RSRC3_GFX90A:TG_SPLIT: 0
	.section	.text._ZN7rocprim17ROCPRIM_400000_NS6detail17trampoline_kernelINS0_14default_configENS1_20scan_config_selectorIxEEZZNS1_9scan_implILNS1_25lookback_scan_determinismE0ELb0ELb0ES3_N6thrust23THRUST_200600_302600_NS6detail15normal_iteratorINS9_10device_ptrIxEEEESE_x11max_functorIxExEEDaPvRmT3_T4_T5_mT6_P12ihipStream_tbENKUlT_T0_E_clISt17integral_constantIbLb1EESU_EEDaSP_SQ_EUlSP_E0_NS1_11comp_targetILNS1_3genE0ELNS1_11target_archE4294967295ELNS1_3gpuE0ELNS1_3repE0EEENS1_30default_config_static_selectorELNS0_4arch9wavefront6targetE1EEEvT1_,"axG",@progbits,_ZN7rocprim17ROCPRIM_400000_NS6detail17trampoline_kernelINS0_14default_configENS1_20scan_config_selectorIxEEZZNS1_9scan_implILNS1_25lookback_scan_determinismE0ELb0ELb0ES3_N6thrust23THRUST_200600_302600_NS6detail15normal_iteratorINS9_10device_ptrIxEEEESE_x11max_functorIxExEEDaPvRmT3_T4_T5_mT6_P12ihipStream_tbENKUlT_T0_E_clISt17integral_constantIbLb1EESU_EEDaSP_SQ_EUlSP_E0_NS1_11comp_targetILNS1_3genE0ELNS1_11target_archE4294967295ELNS1_3gpuE0ELNS1_3repE0EEENS1_30default_config_static_selectorELNS0_4arch9wavefront6targetE1EEEvT1_,comdat
	.protected	_ZN7rocprim17ROCPRIM_400000_NS6detail17trampoline_kernelINS0_14default_configENS1_20scan_config_selectorIxEEZZNS1_9scan_implILNS1_25lookback_scan_determinismE0ELb0ELb0ES3_N6thrust23THRUST_200600_302600_NS6detail15normal_iteratorINS9_10device_ptrIxEEEESE_x11max_functorIxExEEDaPvRmT3_T4_T5_mT6_P12ihipStream_tbENKUlT_T0_E_clISt17integral_constantIbLb1EESU_EEDaSP_SQ_EUlSP_E0_NS1_11comp_targetILNS1_3genE0ELNS1_11target_archE4294967295ELNS1_3gpuE0ELNS1_3repE0EEENS1_30default_config_static_selectorELNS0_4arch9wavefront6targetE1EEEvT1_ ; -- Begin function _ZN7rocprim17ROCPRIM_400000_NS6detail17trampoline_kernelINS0_14default_configENS1_20scan_config_selectorIxEEZZNS1_9scan_implILNS1_25lookback_scan_determinismE0ELb0ELb0ES3_N6thrust23THRUST_200600_302600_NS6detail15normal_iteratorINS9_10device_ptrIxEEEESE_x11max_functorIxExEEDaPvRmT3_T4_T5_mT6_P12ihipStream_tbENKUlT_T0_E_clISt17integral_constantIbLb1EESU_EEDaSP_SQ_EUlSP_E0_NS1_11comp_targetILNS1_3genE0ELNS1_11target_archE4294967295ELNS1_3gpuE0ELNS1_3repE0EEENS1_30default_config_static_selectorELNS0_4arch9wavefront6targetE1EEEvT1_
	.globl	_ZN7rocprim17ROCPRIM_400000_NS6detail17trampoline_kernelINS0_14default_configENS1_20scan_config_selectorIxEEZZNS1_9scan_implILNS1_25lookback_scan_determinismE0ELb0ELb0ES3_N6thrust23THRUST_200600_302600_NS6detail15normal_iteratorINS9_10device_ptrIxEEEESE_x11max_functorIxExEEDaPvRmT3_T4_T5_mT6_P12ihipStream_tbENKUlT_T0_E_clISt17integral_constantIbLb1EESU_EEDaSP_SQ_EUlSP_E0_NS1_11comp_targetILNS1_3genE0ELNS1_11target_archE4294967295ELNS1_3gpuE0ELNS1_3repE0EEENS1_30default_config_static_selectorELNS0_4arch9wavefront6targetE1EEEvT1_
	.p2align	8
	.type	_ZN7rocprim17ROCPRIM_400000_NS6detail17trampoline_kernelINS0_14default_configENS1_20scan_config_selectorIxEEZZNS1_9scan_implILNS1_25lookback_scan_determinismE0ELb0ELb0ES3_N6thrust23THRUST_200600_302600_NS6detail15normal_iteratorINS9_10device_ptrIxEEEESE_x11max_functorIxExEEDaPvRmT3_T4_T5_mT6_P12ihipStream_tbENKUlT_T0_E_clISt17integral_constantIbLb1EESU_EEDaSP_SQ_EUlSP_E0_NS1_11comp_targetILNS1_3genE0ELNS1_11target_archE4294967295ELNS1_3gpuE0ELNS1_3repE0EEENS1_30default_config_static_selectorELNS0_4arch9wavefront6targetE1EEEvT1_,@function
_ZN7rocprim17ROCPRIM_400000_NS6detail17trampoline_kernelINS0_14default_configENS1_20scan_config_selectorIxEEZZNS1_9scan_implILNS1_25lookback_scan_determinismE0ELb0ELb0ES3_N6thrust23THRUST_200600_302600_NS6detail15normal_iteratorINS9_10device_ptrIxEEEESE_x11max_functorIxExEEDaPvRmT3_T4_T5_mT6_P12ihipStream_tbENKUlT_T0_E_clISt17integral_constantIbLb1EESU_EEDaSP_SQ_EUlSP_E0_NS1_11comp_targetILNS1_3genE0ELNS1_11target_archE4294967295ELNS1_3gpuE0ELNS1_3repE0EEENS1_30default_config_static_selectorELNS0_4arch9wavefront6targetE1EEEvT1_: ; @_ZN7rocprim17ROCPRIM_400000_NS6detail17trampoline_kernelINS0_14default_configENS1_20scan_config_selectorIxEEZZNS1_9scan_implILNS1_25lookback_scan_determinismE0ELb0ELb0ES3_N6thrust23THRUST_200600_302600_NS6detail15normal_iteratorINS9_10device_ptrIxEEEESE_x11max_functorIxExEEDaPvRmT3_T4_T5_mT6_P12ihipStream_tbENKUlT_T0_E_clISt17integral_constantIbLb1EESU_EEDaSP_SQ_EUlSP_E0_NS1_11comp_targetILNS1_3genE0ELNS1_11target_archE4294967295ELNS1_3gpuE0ELNS1_3repE0EEENS1_30default_config_static_selectorELNS0_4arch9wavefront6targetE1EEEvT1_
; %bb.0:
	.section	.rodata,"a",@progbits
	.p2align	6, 0x0
	.amdhsa_kernel _ZN7rocprim17ROCPRIM_400000_NS6detail17trampoline_kernelINS0_14default_configENS1_20scan_config_selectorIxEEZZNS1_9scan_implILNS1_25lookback_scan_determinismE0ELb0ELb0ES3_N6thrust23THRUST_200600_302600_NS6detail15normal_iteratorINS9_10device_ptrIxEEEESE_x11max_functorIxExEEDaPvRmT3_T4_T5_mT6_P12ihipStream_tbENKUlT_T0_E_clISt17integral_constantIbLb1EESU_EEDaSP_SQ_EUlSP_E0_NS1_11comp_targetILNS1_3genE0ELNS1_11target_archE4294967295ELNS1_3gpuE0ELNS1_3repE0EEENS1_30default_config_static_selectorELNS0_4arch9wavefront6targetE1EEEvT1_
		.amdhsa_group_segment_fixed_size 0
		.amdhsa_private_segment_fixed_size 0
		.amdhsa_kernarg_size 40
		.amdhsa_user_sgpr_count 6
		.amdhsa_user_sgpr_private_segment_buffer 1
		.amdhsa_user_sgpr_dispatch_ptr 0
		.amdhsa_user_sgpr_queue_ptr 0
		.amdhsa_user_sgpr_kernarg_segment_ptr 1
		.amdhsa_user_sgpr_dispatch_id 0
		.amdhsa_user_sgpr_flat_scratch_init 0
		.amdhsa_user_sgpr_kernarg_preload_length 0
		.amdhsa_user_sgpr_kernarg_preload_offset 0
		.amdhsa_user_sgpr_private_segment_size 0
		.amdhsa_uses_dynamic_stack 0
		.amdhsa_system_sgpr_private_segment_wavefront_offset 0
		.amdhsa_system_sgpr_workgroup_id_x 1
		.amdhsa_system_sgpr_workgroup_id_y 0
		.amdhsa_system_sgpr_workgroup_id_z 0
		.amdhsa_system_sgpr_workgroup_info 0
		.amdhsa_system_vgpr_workitem_id 0
		.amdhsa_next_free_vgpr 1
		.amdhsa_next_free_sgpr 0
		.amdhsa_accum_offset 4
		.amdhsa_reserve_vcc 0
		.amdhsa_reserve_flat_scratch 0
		.amdhsa_float_round_mode_32 0
		.amdhsa_float_round_mode_16_64 0
		.amdhsa_float_denorm_mode_32 3
		.amdhsa_float_denorm_mode_16_64 3
		.amdhsa_dx10_clamp 1
		.amdhsa_ieee_mode 1
		.amdhsa_fp16_overflow 0
		.amdhsa_tg_split 0
		.amdhsa_exception_fp_ieee_invalid_op 0
		.amdhsa_exception_fp_denorm_src 0
		.amdhsa_exception_fp_ieee_div_zero 0
		.amdhsa_exception_fp_ieee_overflow 0
		.amdhsa_exception_fp_ieee_underflow 0
		.amdhsa_exception_fp_ieee_inexact 0
		.amdhsa_exception_int_div_zero 0
	.end_amdhsa_kernel
	.section	.text._ZN7rocprim17ROCPRIM_400000_NS6detail17trampoline_kernelINS0_14default_configENS1_20scan_config_selectorIxEEZZNS1_9scan_implILNS1_25lookback_scan_determinismE0ELb0ELb0ES3_N6thrust23THRUST_200600_302600_NS6detail15normal_iteratorINS9_10device_ptrIxEEEESE_x11max_functorIxExEEDaPvRmT3_T4_T5_mT6_P12ihipStream_tbENKUlT_T0_E_clISt17integral_constantIbLb1EESU_EEDaSP_SQ_EUlSP_E0_NS1_11comp_targetILNS1_3genE0ELNS1_11target_archE4294967295ELNS1_3gpuE0ELNS1_3repE0EEENS1_30default_config_static_selectorELNS0_4arch9wavefront6targetE1EEEvT1_,"axG",@progbits,_ZN7rocprim17ROCPRIM_400000_NS6detail17trampoline_kernelINS0_14default_configENS1_20scan_config_selectorIxEEZZNS1_9scan_implILNS1_25lookback_scan_determinismE0ELb0ELb0ES3_N6thrust23THRUST_200600_302600_NS6detail15normal_iteratorINS9_10device_ptrIxEEEESE_x11max_functorIxExEEDaPvRmT3_T4_T5_mT6_P12ihipStream_tbENKUlT_T0_E_clISt17integral_constantIbLb1EESU_EEDaSP_SQ_EUlSP_E0_NS1_11comp_targetILNS1_3genE0ELNS1_11target_archE4294967295ELNS1_3gpuE0ELNS1_3repE0EEENS1_30default_config_static_selectorELNS0_4arch9wavefront6targetE1EEEvT1_,comdat
.Lfunc_end2585:
	.size	_ZN7rocprim17ROCPRIM_400000_NS6detail17trampoline_kernelINS0_14default_configENS1_20scan_config_selectorIxEEZZNS1_9scan_implILNS1_25lookback_scan_determinismE0ELb0ELb0ES3_N6thrust23THRUST_200600_302600_NS6detail15normal_iteratorINS9_10device_ptrIxEEEESE_x11max_functorIxExEEDaPvRmT3_T4_T5_mT6_P12ihipStream_tbENKUlT_T0_E_clISt17integral_constantIbLb1EESU_EEDaSP_SQ_EUlSP_E0_NS1_11comp_targetILNS1_3genE0ELNS1_11target_archE4294967295ELNS1_3gpuE0ELNS1_3repE0EEENS1_30default_config_static_selectorELNS0_4arch9wavefront6targetE1EEEvT1_, .Lfunc_end2585-_ZN7rocprim17ROCPRIM_400000_NS6detail17trampoline_kernelINS0_14default_configENS1_20scan_config_selectorIxEEZZNS1_9scan_implILNS1_25lookback_scan_determinismE0ELb0ELb0ES3_N6thrust23THRUST_200600_302600_NS6detail15normal_iteratorINS9_10device_ptrIxEEEESE_x11max_functorIxExEEDaPvRmT3_T4_T5_mT6_P12ihipStream_tbENKUlT_T0_E_clISt17integral_constantIbLb1EESU_EEDaSP_SQ_EUlSP_E0_NS1_11comp_targetILNS1_3genE0ELNS1_11target_archE4294967295ELNS1_3gpuE0ELNS1_3repE0EEENS1_30default_config_static_selectorELNS0_4arch9wavefront6targetE1EEEvT1_
                                        ; -- End function
	.section	.AMDGPU.csdata,"",@progbits
; Kernel info:
; codeLenInByte = 0
; NumSgprs: 4
; NumVgprs: 0
; NumAgprs: 0
; TotalNumVgprs: 0
; ScratchSize: 0
; MemoryBound: 0
; FloatMode: 240
; IeeeMode: 1
; LDSByteSize: 0 bytes/workgroup (compile time only)
; SGPRBlocks: 0
; VGPRBlocks: 0
; NumSGPRsForWavesPerEU: 4
; NumVGPRsForWavesPerEU: 1
; AccumOffset: 4
; Occupancy: 8
; WaveLimiterHint : 0
; COMPUTE_PGM_RSRC2:SCRATCH_EN: 0
; COMPUTE_PGM_RSRC2:USER_SGPR: 6
; COMPUTE_PGM_RSRC2:TRAP_HANDLER: 0
; COMPUTE_PGM_RSRC2:TGID_X_EN: 1
; COMPUTE_PGM_RSRC2:TGID_Y_EN: 0
; COMPUTE_PGM_RSRC2:TGID_Z_EN: 0
; COMPUTE_PGM_RSRC2:TIDIG_COMP_CNT: 0
; COMPUTE_PGM_RSRC3_GFX90A:ACCUM_OFFSET: 0
; COMPUTE_PGM_RSRC3_GFX90A:TG_SPLIT: 0
	.section	.text._ZN7rocprim17ROCPRIM_400000_NS6detail17trampoline_kernelINS0_14default_configENS1_20scan_config_selectorIxEEZZNS1_9scan_implILNS1_25lookback_scan_determinismE0ELb0ELb0ES3_N6thrust23THRUST_200600_302600_NS6detail15normal_iteratorINS9_10device_ptrIxEEEESE_x11max_functorIxExEEDaPvRmT3_T4_T5_mT6_P12ihipStream_tbENKUlT_T0_E_clISt17integral_constantIbLb1EESU_EEDaSP_SQ_EUlSP_E0_NS1_11comp_targetILNS1_3genE5ELNS1_11target_archE942ELNS1_3gpuE9ELNS1_3repE0EEENS1_30default_config_static_selectorELNS0_4arch9wavefront6targetE1EEEvT1_,"axG",@progbits,_ZN7rocprim17ROCPRIM_400000_NS6detail17trampoline_kernelINS0_14default_configENS1_20scan_config_selectorIxEEZZNS1_9scan_implILNS1_25lookback_scan_determinismE0ELb0ELb0ES3_N6thrust23THRUST_200600_302600_NS6detail15normal_iteratorINS9_10device_ptrIxEEEESE_x11max_functorIxExEEDaPvRmT3_T4_T5_mT6_P12ihipStream_tbENKUlT_T0_E_clISt17integral_constantIbLb1EESU_EEDaSP_SQ_EUlSP_E0_NS1_11comp_targetILNS1_3genE5ELNS1_11target_archE942ELNS1_3gpuE9ELNS1_3repE0EEENS1_30default_config_static_selectorELNS0_4arch9wavefront6targetE1EEEvT1_,comdat
	.protected	_ZN7rocprim17ROCPRIM_400000_NS6detail17trampoline_kernelINS0_14default_configENS1_20scan_config_selectorIxEEZZNS1_9scan_implILNS1_25lookback_scan_determinismE0ELb0ELb0ES3_N6thrust23THRUST_200600_302600_NS6detail15normal_iteratorINS9_10device_ptrIxEEEESE_x11max_functorIxExEEDaPvRmT3_T4_T5_mT6_P12ihipStream_tbENKUlT_T0_E_clISt17integral_constantIbLb1EESU_EEDaSP_SQ_EUlSP_E0_NS1_11comp_targetILNS1_3genE5ELNS1_11target_archE942ELNS1_3gpuE9ELNS1_3repE0EEENS1_30default_config_static_selectorELNS0_4arch9wavefront6targetE1EEEvT1_ ; -- Begin function _ZN7rocprim17ROCPRIM_400000_NS6detail17trampoline_kernelINS0_14default_configENS1_20scan_config_selectorIxEEZZNS1_9scan_implILNS1_25lookback_scan_determinismE0ELb0ELb0ES3_N6thrust23THRUST_200600_302600_NS6detail15normal_iteratorINS9_10device_ptrIxEEEESE_x11max_functorIxExEEDaPvRmT3_T4_T5_mT6_P12ihipStream_tbENKUlT_T0_E_clISt17integral_constantIbLb1EESU_EEDaSP_SQ_EUlSP_E0_NS1_11comp_targetILNS1_3genE5ELNS1_11target_archE942ELNS1_3gpuE9ELNS1_3repE0EEENS1_30default_config_static_selectorELNS0_4arch9wavefront6targetE1EEEvT1_
	.globl	_ZN7rocprim17ROCPRIM_400000_NS6detail17trampoline_kernelINS0_14default_configENS1_20scan_config_selectorIxEEZZNS1_9scan_implILNS1_25lookback_scan_determinismE0ELb0ELb0ES3_N6thrust23THRUST_200600_302600_NS6detail15normal_iteratorINS9_10device_ptrIxEEEESE_x11max_functorIxExEEDaPvRmT3_T4_T5_mT6_P12ihipStream_tbENKUlT_T0_E_clISt17integral_constantIbLb1EESU_EEDaSP_SQ_EUlSP_E0_NS1_11comp_targetILNS1_3genE5ELNS1_11target_archE942ELNS1_3gpuE9ELNS1_3repE0EEENS1_30default_config_static_selectorELNS0_4arch9wavefront6targetE1EEEvT1_
	.p2align	8
	.type	_ZN7rocprim17ROCPRIM_400000_NS6detail17trampoline_kernelINS0_14default_configENS1_20scan_config_selectorIxEEZZNS1_9scan_implILNS1_25lookback_scan_determinismE0ELb0ELb0ES3_N6thrust23THRUST_200600_302600_NS6detail15normal_iteratorINS9_10device_ptrIxEEEESE_x11max_functorIxExEEDaPvRmT3_T4_T5_mT6_P12ihipStream_tbENKUlT_T0_E_clISt17integral_constantIbLb1EESU_EEDaSP_SQ_EUlSP_E0_NS1_11comp_targetILNS1_3genE5ELNS1_11target_archE942ELNS1_3gpuE9ELNS1_3repE0EEENS1_30default_config_static_selectorELNS0_4arch9wavefront6targetE1EEEvT1_,@function
_ZN7rocprim17ROCPRIM_400000_NS6detail17trampoline_kernelINS0_14default_configENS1_20scan_config_selectorIxEEZZNS1_9scan_implILNS1_25lookback_scan_determinismE0ELb0ELb0ES3_N6thrust23THRUST_200600_302600_NS6detail15normal_iteratorINS9_10device_ptrIxEEEESE_x11max_functorIxExEEDaPvRmT3_T4_T5_mT6_P12ihipStream_tbENKUlT_T0_E_clISt17integral_constantIbLb1EESU_EEDaSP_SQ_EUlSP_E0_NS1_11comp_targetILNS1_3genE5ELNS1_11target_archE942ELNS1_3gpuE9ELNS1_3repE0EEENS1_30default_config_static_selectorELNS0_4arch9wavefront6targetE1EEEvT1_: ; @_ZN7rocprim17ROCPRIM_400000_NS6detail17trampoline_kernelINS0_14default_configENS1_20scan_config_selectorIxEEZZNS1_9scan_implILNS1_25lookback_scan_determinismE0ELb0ELb0ES3_N6thrust23THRUST_200600_302600_NS6detail15normal_iteratorINS9_10device_ptrIxEEEESE_x11max_functorIxExEEDaPvRmT3_T4_T5_mT6_P12ihipStream_tbENKUlT_T0_E_clISt17integral_constantIbLb1EESU_EEDaSP_SQ_EUlSP_E0_NS1_11comp_targetILNS1_3genE5ELNS1_11target_archE942ELNS1_3gpuE9ELNS1_3repE0EEENS1_30default_config_static_selectorELNS0_4arch9wavefront6targetE1EEEvT1_
; %bb.0:
	.section	.rodata,"a",@progbits
	.p2align	6, 0x0
	.amdhsa_kernel _ZN7rocprim17ROCPRIM_400000_NS6detail17trampoline_kernelINS0_14default_configENS1_20scan_config_selectorIxEEZZNS1_9scan_implILNS1_25lookback_scan_determinismE0ELb0ELb0ES3_N6thrust23THRUST_200600_302600_NS6detail15normal_iteratorINS9_10device_ptrIxEEEESE_x11max_functorIxExEEDaPvRmT3_T4_T5_mT6_P12ihipStream_tbENKUlT_T0_E_clISt17integral_constantIbLb1EESU_EEDaSP_SQ_EUlSP_E0_NS1_11comp_targetILNS1_3genE5ELNS1_11target_archE942ELNS1_3gpuE9ELNS1_3repE0EEENS1_30default_config_static_selectorELNS0_4arch9wavefront6targetE1EEEvT1_
		.amdhsa_group_segment_fixed_size 0
		.amdhsa_private_segment_fixed_size 0
		.amdhsa_kernarg_size 40
		.amdhsa_user_sgpr_count 6
		.amdhsa_user_sgpr_private_segment_buffer 1
		.amdhsa_user_sgpr_dispatch_ptr 0
		.amdhsa_user_sgpr_queue_ptr 0
		.amdhsa_user_sgpr_kernarg_segment_ptr 1
		.amdhsa_user_sgpr_dispatch_id 0
		.amdhsa_user_sgpr_flat_scratch_init 0
		.amdhsa_user_sgpr_kernarg_preload_length 0
		.amdhsa_user_sgpr_kernarg_preload_offset 0
		.amdhsa_user_sgpr_private_segment_size 0
		.amdhsa_uses_dynamic_stack 0
		.amdhsa_system_sgpr_private_segment_wavefront_offset 0
		.amdhsa_system_sgpr_workgroup_id_x 1
		.amdhsa_system_sgpr_workgroup_id_y 0
		.amdhsa_system_sgpr_workgroup_id_z 0
		.amdhsa_system_sgpr_workgroup_info 0
		.amdhsa_system_vgpr_workitem_id 0
		.amdhsa_next_free_vgpr 1
		.amdhsa_next_free_sgpr 0
		.amdhsa_accum_offset 4
		.amdhsa_reserve_vcc 0
		.amdhsa_reserve_flat_scratch 0
		.amdhsa_float_round_mode_32 0
		.amdhsa_float_round_mode_16_64 0
		.amdhsa_float_denorm_mode_32 3
		.amdhsa_float_denorm_mode_16_64 3
		.amdhsa_dx10_clamp 1
		.amdhsa_ieee_mode 1
		.amdhsa_fp16_overflow 0
		.amdhsa_tg_split 0
		.amdhsa_exception_fp_ieee_invalid_op 0
		.amdhsa_exception_fp_denorm_src 0
		.amdhsa_exception_fp_ieee_div_zero 0
		.amdhsa_exception_fp_ieee_overflow 0
		.amdhsa_exception_fp_ieee_underflow 0
		.amdhsa_exception_fp_ieee_inexact 0
		.amdhsa_exception_int_div_zero 0
	.end_amdhsa_kernel
	.section	.text._ZN7rocprim17ROCPRIM_400000_NS6detail17trampoline_kernelINS0_14default_configENS1_20scan_config_selectorIxEEZZNS1_9scan_implILNS1_25lookback_scan_determinismE0ELb0ELb0ES3_N6thrust23THRUST_200600_302600_NS6detail15normal_iteratorINS9_10device_ptrIxEEEESE_x11max_functorIxExEEDaPvRmT3_T4_T5_mT6_P12ihipStream_tbENKUlT_T0_E_clISt17integral_constantIbLb1EESU_EEDaSP_SQ_EUlSP_E0_NS1_11comp_targetILNS1_3genE5ELNS1_11target_archE942ELNS1_3gpuE9ELNS1_3repE0EEENS1_30default_config_static_selectorELNS0_4arch9wavefront6targetE1EEEvT1_,"axG",@progbits,_ZN7rocprim17ROCPRIM_400000_NS6detail17trampoline_kernelINS0_14default_configENS1_20scan_config_selectorIxEEZZNS1_9scan_implILNS1_25lookback_scan_determinismE0ELb0ELb0ES3_N6thrust23THRUST_200600_302600_NS6detail15normal_iteratorINS9_10device_ptrIxEEEESE_x11max_functorIxExEEDaPvRmT3_T4_T5_mT6_P12ihipStream_tbENKUlT_T0_E_clISt17integral_constantIbLb1EESU_EEDaSP_SQ_EUlSP_E0_NS1_11comp_targetILNS1_3genE5ELNS1_11target_archE942ELNS1_3gpuE9ELNS1_3repE0EEENS1_30default_config_static_selectorELNS0_4arch9wavefront6targetE1EEEvT1_,comdat
.Lfunc_end2586:
	.size	_ZN7rocprim17ROCPRIM_400000_NS6detail17trampoline_kernelINS0_14default_configENS1_20scan_config_selectorIxEEZZNS1_9scan_implILNS1_25lookback_scan_determinismE0ELb0ELb0ES3_N6thrust23THRUST_200600_302600_NS6detail15normal_iteratorINS9_10device_ptrIxEEEESE_x11max_functorIxExEEDaPvRmT3_T4_T5_mT6_P12ihipStream_tbENKUlT_T0_E_clISt17integral_constantIbLb1EESU_EEDaSP_SQ_EUlSP_E0_NS1_11comp_targetILNS1_3genE5ELNS1_11target_archE942ELNS1_3gpuE9ELNS1_3repE0EEENS1_30default_config_static_selectorELNS0_4arch9wavefront6targetE1EEEvT1_, .Lfunc_end2586-_ZN7rocprim17ROCPRIM_400000_NS6detail17trampoline_kernelINS0_14default_configENS1_20scan_config_selectorIxEEZZNS1_9scan_implILNS1_25lookback_scan_determinismE0ELb0ELb0ES3_N6thrust23THRUST_200600_302600_NS6detail15normal_iteratorINS9_10device_ptrIxEEEESE_x11max_functorIxExEEDaPvRmT3_T4_T5_mT6_P12ihipStream_tbENKUlT_T0_E_clISt17integral_constantIbLb1EESU_EEDaSP_SQ_EUlSP_E0_NS1_11comp_targetILNS1_3genE5ELNS1_11target_archE942ELNS1_3gpuE9ELNS1_3repE0EEENS1_30default_config_static_selectorELNS0_4arch9wavefront6targetE1EEEvT1_
                                        ; -- End function
	.section	.AMDGPU.csdata,"",@progbits
; Kernel info:
; codeLenInByte = 0
; NumSgprs: 4
; NumVgprs: 0
; NumAgprs: 0
; TotalNumVgprs: 0
; ScratchSize: 0
; MemoryBound: 0
; FloatMode: 240
; IeeeMode: 1
; LDSByteSize: 0 bytes/workgroup (compile time only)
; SGPRBlocks: 0
; VGPRBlocks: 0
; NumSGPRsForWavesPerEU: 4
; NumVGPRsForWavesPerEU: 1
; AccumOffset: 4
; Occupancy: 8
; WaveLimiterHint : 0
; COMPUTE_PGM_RSRC2:SCRATCH_EN: 0
; COMPUTE_PGM_RSRC2:USER_SGPR: 6
; COMPUTE_PGM_RSRC2:TRAP_HANDLER: 0
; COMPUTE_PGM_RSRC2:TGID_X_EN: 1
; COMPUTE_PGM_RSRC2:TGID_Y_EN: 0
; COMPUTE_PGM_RSRC2:TGID_Z_EN: 0
; COMPUTE_PGM_RSRC2:TIDIG_COMP_CNT: 0
; COMPUTE_PGM_RSRC3_GFX90A:ACCUM_OFFSET: 0
; COMPUTE_PGM_RSRC3_GFX90A:TG_SPLIT: 0
	.section	.text._ZN7rocprim17ROCPRIM_400000_NS6detail17trampoline_kernelINS0_14default_configENS1_20scan_config_selectorIxEEZZNS1_9scan_implILNS1_25lookback_scan_determinismE0ELb0ELb0ES3_N6thrust23THRUST_200600_302600_NS6detail15normal_iteratorINS9_10device_ptrIxEEEESE_x11max_functorIxExEEDaPvRmT3_T4_T5_mT6_P12ihipStream_tbENKUlT_T0_E_clISt17integral_constantIbLb1EESU_EEDaSP_SQ_EUlSP_E0_NS1_11comp_targetILNS1_3genE4ELNS1_11target_archE910ELNS1_3gpuE8ELNS1_3repE0EEENS1_30default_config_static_selectorELNS0_4arch9wavefront6targetE1EEEvT1_,"axG",@progbits,_ZN7rocprim17ROCPRIM_400000_NS6detail17trampoline_kernelINS0_14default_configENS1_20scan_config_selectorIxEEZZNS1_9scan_implILNS1_25lookback_scan_determinismE0ELb0ELb0ES3_N6thrust23THRUST_200600_302600_NS6detail15normal_iteratorINS9_10device_ptrIxEEEESE_x11max_functorIxExEEDaPvRmT3_T4_T5_mT6_P12ihipStream_tbENKUlT_T0_E_clISt17integral_constantIbLb1EESU_EEDaSP_SQ_EUlSP_E0_NS1_11comp_targetILNS1_3genE4ELNS1_11target_archE910ELNS1_3gpuE8ELNS1_3repE0EEENS1_30default_config_static_selectorELNS0_4arch9wavefront6targetE1EEEvT1_,comdat
	.protected	_ZN7rocprim17ROCPRIM_400000_NS6detail17trampoline_kernelINS0_14default_configENS1_20scan_config_selectorIxEEZZNS1_9scan_implILNS1_25lookback_scan_determinismE0ELb0ELb0ES3_N6thrust23THRUST_200600_302600_NS6detail15normal_iteratorINS9_10device_ptrIxEEEESE_x11max_functorIxExEEDaPvRmT3_T4_T5_mT6_P12ihipStream_tbENKUlT_T0_E_clISt17integral_constantIbLb1EESU_EEDaSP_SQ_EUlSP_E0_NS1_11comp_targetILNS1_3genE4ELNS1_11target_archE910ELNS1_3gpuE8ELNS1_3repE0EEENS1_30default_config_static_selectorELNS0_4arch9wavefront6targetE1EEEvT1_ ; -- Begin function _ZN7rocprim17ROCPRIM_400000_NS6detail17trampoline_kernelINS0_14default_configENS1_20scan_config_selectorIxEEZZNS1_9scan_implILNS1_25lookback_scan_determinismE0ELb0ELb0ES3_N6thrust23THRUST_200600_302600_NS6detail15normal_iteratorINS9_10device_ptrIxEEEESE_x11max_functorIxExEEDaPvRmT3_T4_T5_mT6_P12ihipStream_tbENKUlT_T0_E_clISt17integral_constantIbLb1EESU_EEDaSP_SQ_EUlSP_E0_NS1_11comp_targetILNS1_3genE4ELNS1_11target_archE910ELNS1_3gpuE8ELNS1_3repE0EEENS1_30default_config_static_selectorELNS0_4arch9wavefront6targetE1EEEvT1_
	.globl	_ZN7rocprim17ROCPRIM_400000_NS6detail17trampoline_kernelINS0_14default_configENS1_20scan_config_selectorIxEEZZNS1_9scan_implILNS1_25lookback_scan_determinismE0ELb0ELb0ES3_N6thrust23THRUST_200600_302600_NS6detail15normal_iteratorINS9_10device_ptrIxEEEESE_x11max_functorIxExEEDaPvRmT3_T4_T5_mT6_P12ihipStream_tbENKUlT_T0_E_clISt17integral_constantIbLb1EESU_EEDaSP_SQ_EUlSP_E0_NS1_11comp_targetILNS1_3genE4ELNS1_11target_archE910ELNS1_3gpuE8ELNS1_3repE0EEENS1_30default_config_static_selectorELNS0_4arch9wavefront6targetE1EEEvT1_
	.p2align	8
	.type	_ZN7rocprim17ROCPRIM_400000_NS6detail17trampoline_kernelINS0_14default_configENS1_20scan_config_selectorIxEEZZNS1_9scan_implILNS1_25lookback_scan_determinismE0ELb0ELb0ES3_N6thrust23THRUST_200600_302600_NS6detail15normal_iteratorINS9_10device_ptrIxEEEESE_x11max_functorIxExEEDaPvRmT3_T4_T5_mT6_P12ihipStream_tbENKUlT_T0_E_clISt17integral_constantIbLb1EESU_EEDaSP_SQ_EUlSP_E0_NS1_11comp_targetILNS1_3genE4ELNS1_11target_archE910ELNS1_3gpuE8ELNS1_3repE0EEENS1_30default_config_static_selectorELNS0_4arch9wavefront6targetE1EEEvT1_,@function
_ZN7rocprim17ROCPRIM_400000_NS6detail17trampoline_kernelINS0_14default_configENS1_20scan_config_selectorIxEEZZNS1_9scan_implILNS1_25lookback_scan_determinismE0ELb0ELb0ES3_N6thrust23THRUST_200600_302600_NS6detail15normal_iteratorINS9_10device_ptrIxEEEESE_x11max_functorIxExEEDaPvRmT3_T4_T5_mT6_P12ihipStream_tbENKUlT_T0_E_clISt17integral_constantIbLb1EESU_EEDaSP_SQ_EUlSP_E0_NS1_11comp_targetILNS1_3genE4ELNS1_11target_archE910ELNS1_3gpuE8ELNS1_3repE0EEENS1_30default_config_static_selectorELNS0_4arch9wavefront6targetE1EEEvT1_: ; @_ZN7rocprim17ROCPRIM_400000_NS6detail17trampoline_kernelINS0_14default_configENS1_20scan_config_selectorIxEEZZNS1_9scan_implILNS1_25lookback_scan_determinismE0ELb0ELb0ES3_N6thrust23THRUST_200600_302600_NS6detail15normal_iteratorINS9_10device_ptrIxEEEESE_x11max_functorIxExEEDaPvRmT3_T4_T5_mT6_P12ihipStream_tbENKUlT_T0_E_clISt17integral_constantIbLb1EESU_EEDaSP_SQ_EUlSP_E0_NS1_11comp_targetILNS1_3genE4ELNS1_11target_archE910ELNS1_3gpuE8ELNS1_3repE0EEENS1_30default_config_static_selectorELNS0_4arch9wavefront6targetE1EEEvT1_
; %bb.0:
	s_load_dwordx4 s[16:19], s[4:5], 0x0
	v_lshlrev_b32_e32 v36, 3, v0
	s_waitcnt lgkmcnt(0)
	s_load_dwordx2 s[14:15], s[16:17], 0x0
	v_cmp_gt_u32_e32 vcc, s18, v0
	s_waitcnt lgkmcnt(0)
	v_pk_mov_b32 v[2:3], s[14:15], s[14:15] op_sel:[0,1]
	s_and_saveexec_b64 s[0:1], vcc
	s_cbranch_execz .LBB2587_2
; %bb.1:
	global_load_dwordx2 v[2:3], v36, s[16:17]
.LBB2587_2:
	s_or_b64 exec, exec, s[0:1]
	v_or_b32_e32 v1, 0x80, v0
	v_cmp_gt_u32_e64 s[0:1], s18, v1
	v_pk_mov_b32 v[4:5], s[14:15], s[14:15] op_sel:[0,1]
	s_and_saveexec_b64 s[2:3], s[0:1]
	s_cbranch_execz .LBB2587_4
; %bb.3:
	global_load_dwordx2 v[4:5], v36, s[16:17] offset:1024
.LBB2587_4:
	s_or_b64 exec, exec, s[2:3]
	v_or_b32_e32 v1, 0x100, v0
	v_cmp_gt_u32_e64 s[2:3], s18, v1
	v_pk_mov_b32 v[6:7], s[14:15], s[14:15] op_sel:[0,1]
	s_and_saveexec_b64 s[6:7], s[2:3]
	s_cbranch_execz .LBB2587_6
; %bb.5:
	global_load_dwordx2 v[6:7], v36, s[16:17] offset:2048
.LBB2587_6:
	;; [unrolled: 9-line block ×3, first 2 shown]
	s_or_b64 exec, exec, s[6:7]
	v_or_b32_e32 v1, 0x200, v0
	v_cmp_gt_u32_e64 s[6:7], s18, v1
	v_pk_mov_b32 v[10:11], s[14:15], s[14:15] op_sel:[0,1]
	s_and_saveexec_b64 s[8:9], s[6:7]
	s_cbranch_execz .LBB2587_10
; %bb.9:
	v_lshlrev_b32_e32 v1, 3, v1
	global_load_dwordx2 v[10:11], v1, s[16:17]
.LBB2587_10:
	s_or_b64 exec, exec, s[8:9]
	v_or_b32_e32 v1, 0x280, v0
	v_cmp_gt_u32_e64 s[8:9], s18, v1
	v_pk_mov_b32 v[12:13], s[14:15], s[14:15] op_sel:[0,1]
	s_and_saveexec_b64 s[10:11], s[8:9]
	s_cbranch_execz .LBB2587_12
; %bb.11:
	v_lshlrev_b32_e32 v1, 3, v1
	global_load_dwordx2 v[12:13], v1, s[16:17]
.LBB2587_12:
	;; [unrolled: 10-line block ×3, first 2 shown]
	s_or_b64 exec, exec, s[14:15]
	v_mad_u32_u24 v1, v0, 48, v36
	s_waitcnt vmcnt(0)
	ds_write2st64_b64 v36, v[2:3], v[4:5] offset1:2
	ds_write2st64_b64 v36, v[6:7], v[8:9] offset0:4 offset1:6
	ds_write2st64_b64 v36, v[10:11], v[12:13] offset0:8 offset1:10
	ds_write_b64 v36, v[14:15] offset:6144
	s_waitcnt lgkmcnt(0)
	s_barrier
	ds_read2_b64 v[2:5], v1 offset1:1
	ds_read2_b64 v[10:13], v1 offset0:2 offset1:3
	ds_read2_b64 v[6:9], v1 offset0:4 offset1:5
	ds_read_b64 v[26:27], v1 offset:48
	s_load_dwordx2 s[16:17], s[4:5], 0x20
	s_waitcnt lgkmcnt(0)
	v_cmp_gt_i64_e64 s[4:5], v[2:3], v[4:5]
	v_cndmask_b32_e64 v19, v5, v3, s[4:5]
	v_cndmask_b32_e64 v18, v4, v2, s[4:5]
	v_cmp_gt_i64_e64 s[4:5], v[18:19], v[10:11]
	v_cndmask_b32_e64 v21, v11, v19, s[4:5]
	v_cndmask_b32_e64 v20, v10, v18, s[4:5]
	;; [unrolled: 3-line block ×5, first 2 shown]
	v_lshrrev_b32_e32 v14, 2, v0
	v_cmp_gt_i64_e64 s[4:5], v[28:29], v[26:27]
	v_and_b32_e32 v14, 24, v14
	v_cndmask_b32_e64 v31, v27, v29, s[4:5]
	v_cndmask_b32_e64 v30, v26, v28, s[4:5]
	v_add_u32_e32 v14, v36, v14
	v_cmp_gt_u32_e64 s[4:5], 64, v0
	s_barrier
	ds_write_b64 v14, v[30:31]
	s_waitcnt lgkmcnt(0)
	s_barrier
	s_and_saveexec_b64 s[18:19], s[4:5]
	s_cbranch_execz .LBB2587_18
; %bb.15:
	v_lshlrev_b32_e32 v14, 1, v0
	v_lshrrev_b32_e32 v15, 4, v0
	v_add_lshl_u32 v37, v15, v14, 3
	ds_read2_b64 v[14:17], v37 offset1:1
	v_mbcnt_lo_u32_b32 v32, -1, 0
	v_mbcnt_hi_u32_b32 v38, -1, v32
	v_and_b32_e32 v39, 15, v38
	v_and_b32_e32 v41, 16, v38
	s_waitcnt lgkmcnt(0)
	v_cmp_gt_i64_e64 s[4:5], v[14:15], v[16:17]
	v_cndmask_b32_e64 v17, v17, v15, s[4:5]
	v_cndmask_b32_e64 v16, v16, v14, s[4:5]
	v_cmp_ne_u32_e64 s[14:15], 0, v38
	v_mov_b32_dpp v33, v17 row_shr:1 row_mask:0xf bank_mask:0xf
	v_mov_b32_dpp v32, v16 row_shr:1 row_mask:0xf bank_mask:0xf
	v_cmp_gt_i64_e64 s[4:5], v[32:33], v[16:17]
	v_cndmask_b32_e64 v32, v16, v32, s[4:5]
	v_cndmask_b32_e64 v33, v17, v33, s[4:5]
	v_cmp_eq_u32_e64 s[4:5], 0, v39
	v_cndmask_b32_e64 v33, v33, v17, s[4:5]
	v_cndmask_b32_e64 v32, v32, v16, s[4:5]
	s_nop 0
	v_mov_b32_dpp v35, v33 row_shr:2 row_mask:0xf bank_mask:0xf
	v_mov_b32_dpp v34, v32 row_shr:2 row_mask:0xf bank_mask:0xf
	v_cmp_gt_i64_e64 s[4:5], v[34:35], v[32:33]
	v_cndmask_b32_e64 v34, v32, v34, s[4:5]
	v_cndmask_b32_e64 v35, v33, v35, s[4:5]
	v_cmp_lt_u32_e64 s[4:5], 1, v39
	v_cndmask_b32_e64 v33, v33, v35, s[4:5]
	v_cndmask_b32_e64 v32, v32, v34, s[4:5]
	s_nop 0
	v_mov_b32_dpp v35, v33 row_shr:4 row_mask:0xf bank_mask:0xf
	v_mov_b32_dpp v34, v32 row_shr:4 row_mask:0xf bank_mask:0xf
	v_cmp_gt_i64_e64 s[4:5], v[34:35], v[32:33]
	v_cndmask_b32_e64 v34, v32, v34, s[4:5]
	v_cndmask_b32_e64 v35, v33, v35, s[4:5]
	v_cmp_lt_u32_e64 s[4:5], 3, v39
	;; [unrolled: 9-line block ×3, first 2 shown]
	v_cndmask_b32_e64 v33, v33, v35, s[4:5]
	v_cndmask_b32_e64 v32, v32, v34, s[4:5]
	s_nop 0
	v_mov_b32_dpp v35, v33 row_bcast:15 row_mask:0xf bank_mask:0xf
	v_mov_b32_dpp v34, v32 row_bcast:15 row_mask:0xf bank_mask:0xf
	v_cmp_gt_i64_e64 s[4:5], v[34:35], v[32:33]
	v_cndmask_b32_e64 v39, v33, v35, s[4:5]
	v_cndmask_b32_e64 v40, v32, v34, s[4:5]
	v_cmp_eq_u32_e64 s[4:5], 0, v41
	v_cndmask_b32_e64 v35, v39, v33, s[4:5]
	v_cndmask_b32_e64 v34, v40, v32, s[4:5]
	s_nop 0
	v_mov_b32_dpp v35, v35 row_bcast:31 row_mask:0xf bank_mask:0xf
	v_mov_b32_dpp v34, v34 row_bcast:31 row_mask:0xf bank_mask:0xf
	s_and_saveexec_b64 s[20:21], s[14:15]
; %bb.16:
	v_cndmask_b32_e64 v17, v39, v33, s[4:5]
	v_cndmask_b32_e64 v16, v40, v32, s[4:5]
	v_cmp_lt_u32_e64 s[14:15], 31, v38
	v_cmp_gt_i64_e64 s[4:5], v[34:35], v[16:17]
	s_and_b64 s[4:5], s[14:15], s[4:5]
	v_cndmask_b32_e64 v16, v16, v34, s[4:5]
	v_cndmask_b32_e64 v17, v17, v35, s[4:5]
; %bb.17:
	s_or_b64 exec, exec, s[20:21]
	v_add_u32_e32 v32, -1, v38
	v_and_b32_e32 v33, 64, v38
	v_cmp_lt_i32_e64 s[4:5], v32, v33
	v_cndmask_b32_e64 v32, v32, v38, s[4:5]
	v_lshlrev_b32_e32 v32, 2, v32
	ds_bpermute_b32 v16, v32, v16
	ds_bpermute_b32 v17, v32, v17
	; wave barrier
	s_waitcnt lgkmcnt(0)
	v_cmp_gt_i64_e64 s[4:5], v[16:17], v[14:15]
	v_cndmask_b32_e64 v14, v14, v16, s[4:5]
	v_cndmask_b32_e64 v15, v15, v17, s[4:5]
	v_cmp_eq_u32_e64 s[4:5], 0, v0
	v_cndmask_b32_e64 v15, v15, v31, s[4:5]
	v_cndmask_b32_e64 v14, v14, v30, s[4:5]
	ds_write_b64 v37, v[14:15]
	; wave barrier
	ds_read_b64 v[16:17], v37 offset:8
	s_waitcnt lgkmcnt(0)
	v_cmp_gt_i64_e64 s[4:5], v[14:15], v[16:17]
	v_cndmask_b32_e64 v15, v17, v15, s[4:5]
	v_cndmask_b32_e64 v14, v16, v14, s[4:5]
	ds_write_b64 v37, v[14:15] offset:8
.LBB2587_18:
	s_or_b64 exec, exec, s[18:19]
	v_cmp_ne_u32_e64 s[4:5], 0, v0
	v_pk_mov_b32 v[14:15], v[30:31], v[30:31] op_sel:[0,1]
	s_waitcnt lgkmcnt(0)
	s_barrier
	s_and_saveexec_b64 s[14:15], s[4:5]
	s_cbranch_execz .LBB2587_20
; %bb.19:
	v_add_u32_e32 v14, -1, v0
	v_lshrrev_b32_e32 v15, 5, v14
	v_add_lshl_u32 v14, v15, v14, 3
	ds_read_b64 v[14:15], v14
.LBB2587_20:
	s_or_b64 exec, exec, s[14:15]
	s_and_saveexec_b64 s[14:15], s[4:5]
	s_cbranch_execz .LBB2587_22
; %bb.21:
	s_waitcnt lgkmcnt(0)
	v_cmp_gt_i64_e64 s[4:5], v[14:15], v[2:3]
	v_cndmask_b32_e64 v3, v3, v15, s[4:5]
	v_cndmask_b32_e64 v2, v2, v14, s[4:5]
	v_cmp_gt_i64_e64 s[4:5], v[2:3], v[4:5]
	v_cndmask_b32_e64 v19, v5, v3, s[4:5]
	v_cndmask_b32_e64 v18, v4, v2, s[4:5]
	;; [unrolled: 3-line block ×7, first 2 shown]
	;;#ASMSTART
	;;#ASMEND
.LBB2587_22:
	s_or_b64 exec, exec, s[14:15]
	s_movk_i32 s4, 0xffd0
	v_mad_i32_i24 v0, v0, s4, v1
	s_waitcnt lgkmcnt(0)
	s_barrier
	ds_write2_b64 v1, v[2:3], v[18:19] offset1:1
	ds_write2_b64 v1, v[20:21], v[22:23] offset0:2 offset1:3
	ds_write2_b64 v1, v[24:25], v[28:29] offset0:4 offset1:5
	ds_write_b64 v1, v[30:31] offset:48
	s_waitcnt lgkmcnt(0)
	s_barrier
	ds_read2st64_b64 v[8:11], v0 offset0:2 offset1:4
	ds_read2st64_b64 v[4:7], v0 offset0:6 offset1:8
	;; [unrolled: 1-line block ×3, first 2 shown]
	v_mov_b32_e32 v13, s17
	v_add_co_u32_e64 v12, s[4:5], s16, v36
	v_addc_co_u32_e64 v13, s[4:5], 0, v13, s[4:5]
	s_and_saveexec_b64 s[4:5], vcc
	s_cbranch_execnz .LBB2587_30
; %bb.23:
	s_or_b64 exec, exec, s[4:5]
	s_and_saveexec_b64 s[4:5], s[0:1]
	s_cbranch_execnz .LBB2587_31
.LBB2587_24:
	s_or_b64 exec, exec, s[4:5]
	s_and_saveexec_b64 s[0:1], s[2:3]
	s_cbranch_execnz .LBB2587_32
.LBB2587_25:
	s_or_b64 exec, exec, s[0:1]
	s_and_saveexec_b64 s[0:1], s[12:13]
	s_cbranch_execnz .LBB2587_33
.LBB2587_26:
	s_or_b64 exec, exec, s[0:1]
	s_and_saveexec_b64 s[0:1], s[6:7]
	s_cbranch_execnz .LBB2587_34
.LBB2587_27:
	s_or_b64 exec, exec, s[0:1]
	s_and_saveexec_b64 s[0:1], s[8:9]
	s_cbranch_execnz .LBB2587_35
.LBB2587_28:
	s_or_b64 exec, exec, s[0:1]
	s_and_saveexec_b64 s[0:1], s[10:11]
	s_cbranch_execnz .LBB2587_36
.LBB2587_29:
	s_endpgm
.LBB2587_30:
	ds_read_b64 v[14:15], v36
	s_waitcnt lgkmcnt(0)
	global_store_dwordx2 v[12:13], v[14:15], off
	s_or_b64 exec, exec, s[4:5]
	s_and_saveexec_b64 s[4:5], s[0:1]
	s_cbranch_execz .LBB2587_24
.LBB2587_31:
	s_waitcnt lgkmcnt(2)
	global_store_dwordx2 v[12:13], v[8:9], off offset:1024
	s_or_b64 exec, exec, s[4:5]
	s_and_saveexec_b64 s[0:1], s[2:3]
	s_cbranch_execz .LBB2587_25
.LBB2587_32:
	s_waitcnt lgkmcnt(2)
	global_store_dwordx2 v[12:13], v[10:11], off offset:2048
	s_or_b64 exec, exec, s[0:1]
	s_and_saveexec_b64 s[0:1], s[12:13]
	s_cbranch_execz .LBB2587_26
.LBB2587_33:
	s_waitcnt lgkmcnt(1)
	global_store_dwordx2 v[12:13], v[4:5], off offset:3072
	s_or_b64 exec, exec, s[0:1]
	s_and_saveexec_b64 s[0:1], s[6:7]
	s_cbranch_execz .LBB2587_27
.LBB2587_34:
	s_waitcnt lgkmcnt(1)
	v_add_co_u32_e32 v4, vcc, 0x1000, v12
	v_addc_co_u32_e32 v5, vcc, 0, v13, vcc
	global_store_dwordx2 v[4:5], v[6:7], off
	s_or_b64 exec, exec, s[0:1]
	s_and_saveexec_b64 s[0:1], s[8:9]
	s_cbranch_execz .LBB2587_28
.LBB2587_35:
	s_waitcnt lgkmcnt(1)
	v_add_co_u32_e32 v4, vcc, 0x1000, v12
	v_addc_co_u32_e32 v5, vcc, 0, v13, vcc
	s_waitcnt lgkmcnt(0)
	global_store_dwordx2 v[4:5], v[0:1], off offset:1024
	s_or_b64 exec, exec, s[0:1]
	s_and_saveexec_b64 s[0:1], s[10:11]
	s_cbranch_execz .LBB2587_29
.LBB2587_36:
	s_waitcnt lgkmcnt(0)
	v_add_co_u32_e32 v0, vcc, 0x1000, v12
	v_addc_co_u32_e32 v1, vcc, 0, v13, vcc
	global_store_dwordx2 v[0:1], v[2:3], off offset:2048
	s_endpgm
	.section	.rodata,"a",@progbits
	.p2align	6, 0x0
	.amdhsa_kernel _ZN7rocprim17ROCPRIM_400000_NS6detail17trampoline_kernelINS0_14default_configENS1_20scan_config_selectorIxEEZZNS1_9scan_implILNS1_25lookback_scan_determinismE0ELb0ELb0ES3_N6thrust23THRUST_200600_302600_NS6detail15normal_iteratorINS9_10device_ptrIxEEEESE_x11max_functorIxExEEDaPvRmT3_T4_T5_mT6_P12ihipStream_tbENKUlT_T0_E_clISt17integral_constantIbLb1EESU_EEDaSP_SQ_EUlSP_E0_NS1_11comp_targetILNS1_3genE4ELNS1_11target_archE910ELNS1_3gpuE8ELNS1_3repE0EEENS1_30default_config_static_selectorELNS0_4arch9wavefront6targetE1EEEvT1_
		.amdhsa_group_segment_fixed_size 7168
		.amdhsa_private_segment_fixed_size 0
		.amdhsa_kernarg_size 40
		.amdhsa_user_sgpr_count 6
		.amdhsa_user_sgpr_private_segment_buffer 1
		.amdhsa_user_sgpr_dispatch_ptr 0
		.amdhsa_user_sgpr_queue_ptr 0
		.amdhsa_user_sgpr_kernarg_segment_ptr 1
		.amdhsa_user_sgpr_dispatch_id 0
		.amdhsa_user_sgpr_flat_scratch_init 0
		.amdhsa_user_sgpr_kernarg_preload_length 0
		.amdhsa_user_sgpr_kernarg_preload_offset 0
		.amdhsa_user_sgpr_private_segment_size 0
		.amdhsa_uses_dynamic_stack 0
		.amdhsa_system_sgpr_private_segment_wavefront_offset 0
		.amdhsa_system_sgpr_workgroup_id_x 1
		.amdhsa_system_sgpr_workgroup_id_y 0
		.amdhsa_system_sgpr_workgroup_id_z 0
		.amdhsa_system_sgpr_workgroup_info 0
		.amdhsa_system_vgpr_workitem_id 0
		.amdhsa_next_free_vgpr 42
		.amdhsa_next_free_sgpr 22
		.amdhsa_accum_offset 44
		.amdhsa_reserve_vcc 1
		.amdhsa_reserve_flat_scratch 0
		.amdhsa_float_round_mode_32 0
		.amdhsa_float_round_mode_16_64 0
		.amdhsa_float_denorm_mode_32 3
		.amdhsa_float_denorm_mode_16_64 3
		.amdhsa_dx10_clamp 1
		.amdhsa_ieee_mode 1
		.amdhsa_fp16_overflow 0
		.amdhsa_tg_split 0
		.amdhsa_exception_fp_ieee_invalid_op 0
		.amdhsa_exception_fp_denorm_src 0
		.amdhsa_exception_fp_ieee_div_zero 0
		.amdhsa_exception_fp_ieee_overflow 0
		.amdhsa_exception_fp_ieee_underflow 0
		.amdhsa_exception_fp_ieee_inexact 0
		.amdhsa_exception_int_div_zero 0
	.end_amdhsa_kernel
	.section	.text._ZN7rocprim17ROCPRIM_400000_NS6detail17trampoline_kernelINS0_14default_configENS1_20scan_config_selectorIxEEZZNS1_9scan_implILNS1_25lookback_scan_determinismE0ELb0ELb0ES3_N6thrust23THRUST_200600_302600_NS6detail15normal_iteratorINS9_10device_ptrIxEEEESE_x11max_functorIxExEEDaPvRmT3_T4_T5_mT6_P12ihipStream_tbENKUlT_T0_E_clISt17integral_constantIbLb1EESU_EEDaSP_SQ_EUlSP_E0_NS1_11comp_targetILNS1_3genE4ELNS1_11target_archE910ELNS1_3gpuE8ELNS1_3repE0EEENS1_30default_config_static_selectorELNS0_4arch9wavefront6targetE1EEEvT1_,"axG",@progbits,_ZN7rocprim17ROCPRIM_400000_NS6detail17trampoline_kernelINS0_14default_configENS1_20scan_config_selectorIxEEZZNS1_9scan_implILNS1_25lookback_scan_determinismE0ELb0ELb0ES3_N6thrust23THRUST_200600_302600_NS6detail15normal_iteratorINS9_10device_ptrIxEEEESE_x11max_functorIxExEEDaPvRmT3_T4_T5_mT6_P12ihipStream_tbENKUlT_T0_E_clISt17integral_constantIbLb1EESU_EEDaSP_SQ_EUlSP_E0_NS1_11comp_targetILNS1_3genE4ELNS1_11target_archE910ELNS1_3gpuE8ELNS1_3repE0EEENS1_30default_config_static_selectorELNS0_4arch9wavefront6targetE1EEEvT1_,comdat
.Lfunc_end2587:
	.size	_ZN7rocprim17ROCPRIM_400000_NS6detail17trampoline_kernelINS0_14default_configENS1_20scan_config_selectorIxEEZZNS1_9scan_implILNS1_25lookback_scan_determinismE0ELb0ELb0ES3_N6thrust23THRUST_200600_302600_NS6detail15normal_iteratorINS9_10device_ptrIxEEEESE_x11max_functorIxExEEDaPvRmT3_T4_T5_mT6_P12ihipStream_tbENKUlT_T0_E_clISt17integral_constantIbLb1EESU_EEDaSP_SQ_EUlSP_E0_NS1_11comp_targetILNS1_3genE4ELNS1_11target_archE910ELNS1_3gpuE8ELNS1_3repE0EEENS1_30default_config_static_selectorELNS0_4arch9wavefront6targetE1EEEvT1_, .Lfunc_end2587-_ZN7rocprim17ROCPRIM_400000_NS6detail17trampoline_kernelINS0_14default_configENS1_20scan_config_selectorIxEEZZNS1_9scan_implILNS1_25lookback_scan_determinismE0ELb0ELb0ES3_N6thrust23THRUST_200600_302600_NS6detail15normal_iteratorINS9_10device_ptrIxEEEESE_x11max_functorIxExEEDaPvRmT3_T4_T5_mT6_P12ihipStream_tbENKUlT_T0_E_clISt17integral_constantIbLb1EESU_EEDaSP_SQ_EUlSP_E0_NS1_11comp_targetILNS1_3genE4ELNS1_11target_archE910ELNS1_3gpuE8ELNS1_3repE0EEENS1_30default_config_static_selectorELNS0_4arch9wavefront6targetE1EEEvT1_
                                        ; -- End function
	.section	.AMDGPU.csdata,"",@progbits
; Kernel info:
; codeLenInByte = 1916
; NumSgprs: 26
; NumVgprs: 42
; NumAgprs: 0
; TotalNumVgprs: 42
; ScratchSize: 0
; MemoryBound: 0
; FloatMode: 240
; IeeeMode: 1
; LDSByteSize: 7168 bytes/workgroup (compile time only)
; SGPRBlocks: 3
; VGPRBlocks: 5
; NumSGPRsForWavesPerEU: 26
; NumVGPRsForWavesPerEU: 42
; AccumOffset: 44
; Occupancy: 5
; WaveLimiterHint : 0
; COMPUTE_PGM_RSRC2:SCRATCH_EN: 0
; COMPUTE_PGM_RSRC2:USER_SGPR: 6
; COMPUTE_PGM_RSRC2:TRAP_HANDLER: 0
; COMPUTE_PGM_RSRC2:TGID_X_EN: 1
; COMPUTE_PGM_RSRC2:TGID_Y_EN: 0
; COMPUTE_PGM_RSRC2:TGID_Z_EN: 0
; COMPUTE_PGM_RSRC2:TIDIG_COMP_CNT: 0
; COMPUTE_PGM_RSRC3_GFX90A:ACCUM_OFFSET: 10
; COMPUTE_PGM_RSRC3_GFX90A:TG_SPLIT: 0
	.section	.text._ZN7rocprim17ROCPRIM_400000_NS6detail17trampoline_kernelINS0_14default_configENS1_20scan_config_selectorIxEEZZNS1_9scan_implILNS1_25lookback_scan_determinismE0ELb0ELb0ES3_N6thrust23THRUST_200600_302600_NS6detail15normal_iteratorINS9_10device_ptrIxEEEESE_x11max_functorIxExEEDaPvRmT3_T4_T5_mT6_P12ihipStream_tbENKUlT_T0_E_clISt17integral_constantIbLb1EESU_EEDaSP_SQ_EUlSP_E0_NS1_11comp_targetILNS1_3genE3ELNS1_11target_archE908ELNS1_3gpuE7ELNS1_3repE0EEENS1_30default_config_static_selectorELNS0_4arch9wavefront6targetE1EEEvT1_,"axG",@progbits,_ZN7rocprim17ROCPRIM_400000_NS6detail17trampoline_kernelINS0_14default_configENS1_20scan_config_selectorIxEEZZNS1_9scan_implILNS1_25lookback_scan_determinismE0ELb0ELb0ES3_N6thrust23THRUST_200600_302600_NS6detail15normal_iteratorINS9_10device_ptrIxEEEESE_x11max_functorIxExEEDaPvRmT3_T4_T5_mT6_P12ihipStream_tbENKUlT_T0_E_clISt17integral_constantIbLb1EESU_EEDaSP_SQ_EUlSP_E0_NS1_11comp_targetILNS1_3genE3ELNS1_11target_archE908ELNS1_3gpuE7ELNS1_3repE0EEENS1_30default_config_static_selectorELNS0_4arch9wavefront6targetE1EEEvT1_,comdat
	.protected	_ZN7rocprim17ROCPRIM_400000_NS6detail17trampoline_kernelINS0_14default_configENS1_20scan_config_selectorIxEEZZNS1_9scan_implILNS1_25lookback_scan_determinismE0ELb0ELb0ES3_N6thrust23THRUST_200600_302600_NS6detail15normal_iteratorINS9_10device_ptrIxEEEESE_x11max_functorIxExEEDaPvRmT3_T4_T5_mT6_P12ihipStream_tbENKUlT_T0_E_clISt17integral_constantIbLb1EESU_EEDaSP_SQ_EUlSP_E0_NS1_11comp_targetILNS1_3genE3ELNS1_11target_archE908ELNS1_3gpuE7ELNS1_3repE0EEENS1_30default_config_static_selectorELNS0_4arch9wavefront6targetE1EEEvT1_ ; -- Begin function _ZN7rocprim17ROCPRIM_400000_NS6detail17trampoline_kernelINS0_14default_configENS1_20scan_config_selectorIxEEZZNS1_9scan_implILNS1_25lookback_scan_determinismE0ELb0ELb0ES3_N6thrust23THRUST_200600_302600_NS6detail15normal_iteratorINS9_10device_ptrIxEEEESE_x11max_functorIxExEEDaPvRmT3_T4_T5_mT6_P12ihipStream_tbENKUlT_T0_E_clISt17integral_constantIbLb1EESU_EEDaSP_SQ_EUlSP_E0_NS1_11comp_targetILNS1_3genE3ELNS1_11target_archE908ELNS1_3gpuE7ELNS1_3repE0EEENS1_30default_config_static_selectorELNS0_4arch9wavefront6targetE1EEEvT1_
	.globl	_ZN7rocprim17ROCPRIM_400000_NS6detail17trampoline_kernelINS0_14default_configENS1_20scan_config_selectorIxEEZZNS1_9scan_implILNS1_25lookback_scan_determinismE0ELb0ELb0ES3_N6thrust23THRUST_200600_302600_NS6detail15normal_iteratorINS9_10device_ptrIxEEEESE_x11max_functorIxExEEDaPvRmT3_T4_T5_mT6_P12ihipStream_tbENKUlT_T0_E_clISt17integral_constantIbLb1EESU_EEDaSP_SQ_EUlSP_E0_NS1_11comp_targetILNS1_3genE3ELNS1_11target_archE908ELNS1_3gpuE7ELNS1_3repE0EEENS1_30default_config_static_selectorELNS0_4arch9wavefront6targetE1EEEvT1_
	.p2align	8
	.type	_ZN7rocprim17ROCPRIM_400000_NS6detail17trampoline_kernelINS0_14default_configENS1_20scan_config_selectorIxEEZZNS1_9scan_implILNS1_25lookback_scan_determinismE0ELb0ELb0ES3_N6thrust23THRUST_200600_302600_NS6detail15normal_iteratorINS9_10device_ptrIxEEEESE_x11max_functorIxExEEDaPvRmT3_T4_T5_mT6_P12ihipStream_tbENKUlT_T0_E_clISt17integral_constantIbLb1EESU_EEDaSP_SQ_EUlSP_E0_NS1_11comp_targetILNS1_3genE3ELNS1_11target_archE908ELNS1_3gpuE7ELNS1_3repE0EEENS1_30default_config_static_selectorELNS0_4arch9wavefront6targetE1EEEvT1_,@function
_ZN7rocprim17ROCPRIM_400000_NS6detail17trampoline_kernelINS0_14default_configENS1_20scan_config_selectorIxEEZZNS1_9scan_implILNS1_25lookback_scan_determinismE0ELb0ELb0ES3_N6thrust23THRUST_200600_302600_NS6detail15normal_iteratorINS9_10device_ptrIxEEEESE_x11max_functorIxExEEDaPvRmT3_T4_T5_mT6_P12ihipStream_tbENKUlT_T0_E_clISt17integral_constantIbLb1EESU_EEDaSP_SQ_EUlSP_E0_NS1_11comp_targetILNS1_3genE3ELNS1_11target_archE908ELNS1_3gpuE7ELNS1_3repE0EEENS1_30default_config_static_selectorELNS0_4arch9wavefront6targetE1EEEvT1_: ; @_ZN7rocprim17ROCPRIM_400000_NS6detail17trampoline_kernelINS0_14default_configENS1_20scan_config_selectorIxEEZZNS1_9scan_implILNS1_25lookback_scan_determinismE0ELb0ELb0ES3_N6thrust23THRUST_200600_302600_NS6detail15normal_iteratorINS9_10device_ptrIxEEEESE_x11max_functorIxExEEDaPvRmT3_T4_T5_mT6_P12ihipStream_tbENKUlT_T0_E_clISt17integral_constantIbLb1EESU_EEDaSP_SQ_EUlSP_E0_NS1_11comp_targetILNS1_3genE3ELNS1_11target_archE908ELNS1_3gpuE7ELNS1_3repE0EEENS1_30default_config_static_selectorELNS0_4arch9wavefront6targetE1EEEvT1_
; %bb.0:
	.section	.rodata,"a",@progbits
	.p2align	6, 0x0
	.amdhsa_kernel _ZN7rocprim17ROCPRIM_400000_NS6detail17trampoline_kernelINS0_14default_configENS1_20scan_config_selectorIxEEZZNS1_9scan_implILNS1_25lookback_scan_determinismE0ELb0ELb0ES3_N6thrust23THRUST_200600_302600_NS6detail15normal_iteratorINS9_10device_ptrIxEEEESE_x11max_functorIxExEEDaPvRmT3_T4_T5_mT6_P12ihipStream_tbENKUlT_T0_E_clISt17integral_constantIbLb1EESU_EEDaSP_SQ_EUlSP_E0_NS1_11comp_targetILNS1_3genE3ELNS1_11target_archE908ELNS1_3gpuE7ELNS1_3repE0EEENS1_30default_config_static_selectorELNS0_4arch9wavefront6targetE1EEEvT1_
		.amdhsa_group_segment_fixed_size 0
		.amdhsa_private_segment_fixed_size 0
		.amdhsa_kernarg_size 40
		.amdhsa_user_sgpr_count 6
		.amdhsa_user_sgpr_private_segment_buffer 1
		.amdhsa_user_sgpr_dispatch_ptr 0
		.amdhsa_user_sgpr_queue_ptr 0
		.amdhsa_user_sgpr_kernarg_segment_ptr 1
		.amdhsa_user_sgpr_dispatch_id 0
		.amdhsa_user_sgpr_flat_scratch_init 0
		.amdhsa_user_sgpr_kernarg_preload_length 0
		.amdhsa_user_sgpr_kernarg_preload_offset 0
		.amdhsa_user_sgpr_private_segment_size 0
		.amdhsa_uses_dynamic_stack 0
		.amdhsa_system_sgpr_private_segment_wavefront_offset 0
		.amdhsa_system_sgpr_workgroup_id_x 1
		.amdhsa_system_sgpr_workgroup_id_y 0
		.amdhsa_system_sgpr_workgroup_id_z 0
		.amdhsa_system_sgpr_workgroup_info 0
		.amdhsa_system_vgpr_workitem_id 0
		.amdhsa_next_free_vgpr 1
		.amdhsa_next_free_sgpr 0
		.amdhsa_accum_offset 4
		.amdhsa_reserve_vcc 0
		.amdhsa_reserve_flat_scratch 0
		.amdhsa_float_round_mode_32 0
		.amdhsa_float_round_mode_16_64 0
		.amdhsa_float_denorm_mode_32 3
		.amdhsa_float_denorm_mode_16_64 3
		.amdhsa_dx10_clamp 1
		.amdhsa_ieee_mode 1
		.amdhsa_fp16_overflow 0
		.amdhsa_tg_split 0
		.amdhsa_exception_fp_ieee_invalid_op 0
		.amdhsa_exception_fp_denorm_src 0
		.amdhsa_exception_fp_ieee_div_zero 0
		.amdhsa_exception_fp_ieee_overflow 0
		.amdhsa_exception_fp_ieee_underflow 0
		.amdhsa_exception_fp_ieee_inexact 0
		.amdhsa_exception_int_div_zero 0
	.end_amdhsa_kernel
	.section	.text._ZN7rocprim17ROCPRIM_400000_NS6detail17trampoline_kernelINS0_14default_configENS1_20scan_config_selectorIxEEZZNS1_9scan_implILNS1_25lookback_scan_determinismE0ELb0ELb0ES3_N6thrust23THRUST_200600_302600_NS6detail15normal_iteratorINS9_10device_ptrIxEEEESE_x11max_functorIxExEEDaPvRmT3_T4_T5_mT6_P12ihipStream_tbENKUlT_T0_E_clISt17integral_constantIbLb1EESU_EEDaSP_SQ_EUlSP_E0_NS1_11comp_targetILNS1_3genE3ELNS1_11target_archE908ELNS1_3gpuE7ELNS1_3repE0EEENS1_30default_config_static_selectorELNS0_4arch9wavefront6targetE1EEEvT1_,"axG",@progbits,_ZN7rocprim17ROCPRIM_400000_NS6detail17trampoline_kernelINS0_14default_configENS1_20scan_config_selectorIxEEZZNS1_9scan_implILNS1_25lookback_scan_determinismE0ELb0ELb0ES3_N6thrust23THRUST_200600_302600_NS6detail15normal_iteratorINS9_10device_ptrIxEEEESE_x11max_functorIxExEEDaPvRmT3_T4_T5_mT6_P12ihipStream_tbENKUlT_T0_E_clISt17integral_constantIbLb1EESU_EEDaSP_SQ_EUlSP_E0_NS1_11comp_targetILNS1_3genE3ELNS1_11target_archE908ELNS1_3gpuE7ELNS1_3repE0EEENS1_30default_config_static_selectorELNS0_4arch9wavefront6targetE1EEEvT1_,comdat
.Lfunc_end2588:
	.size	_ZN7rocprim17ROCPRIM_400000_NS6detail17trampoline_kernelINS0_14default_configENS1_20scan_config_selectorIxEEZZNS1_9scan_implILNS1_25lookback_scan_determinismE0ELb0ELb0ES3_N6thrust23THRUST_200600_302600_NS6detail15normal_iteratorINS9_10device_ptrIxEEEESE_x11max_functorIxExEEDaPvRmT3_T4_T5_mT6_P12ihipStream_tbENKUlT_T0_E_clISt17integral_constantIbLb1EESU_EEDaSP_SQ_EUlSP_E0_NS1_11comp_targetILNS1_3genE3ELNS1_11target_archE908ELNS1_3gpuE7ELNS1_3repE0EEENS1_30default_config_static_selectorELNS0_4arch9wavefront6targetE1EEEvT1_, .Lfunc_end2588-_ZN7rocprim17ROCPRIM_400000_NS6detail17trampoline_kernelINS0_14default_configENS1_20scan_config_selectorIxEEZZNS1_9scan_implILNS1_25lookback_scan_determinismE0ELb0ELb0ES3_N6thrust23THRUST_200600_302600_NS6detail15normal_iteratorINS9_10device_ptrIxEEEESE_x11max_functorIxExEEDaPvRmT3_T4_T5_mT6_P12ihipStream_tbENKUlT_T0_E_clISt17integral_constantIbLb1EESU_EEDaSP_SQ_EUlSP_E0_NS1_11comp_targetILNS1_3genE3ELNS1_11target_archE908ELNS1_3gpuE7ELNS1_3repE0EEENS1_30default_config_static_selectorELNS0_4arch9wavefront6targetE1EEEvT1_
                                        ; -- End function
	.section	.AMDGPU.csdata,"",@progbits
; Kernel info:
; codeLenInByte = 0
; NumSgprs: 4
; NumVgprs: 0
; NumAgprs: 0
; TotalNumVgprs: 0
; ScratchSize: 0
; MemoryBound: 0
; FloatMode: 240
; IeeeMode: 1
; LDSByteSize: 0 bytes/workgroup (compile time only)
; SGPRBlocks: 0
; VGPRBlocks: 0
; NumSGPRsForWavesPerEU: 4
; NumVGPRsForWavesPerEU: 1
; AccumOffset: 4
; Occupancy: 8
; WaveLimiterHint : 0
; COMPUTE_PGM_RSRC2:SCRATCH_EN: 0
; COMPUTE_PGM_RSRC2:USER_SGPR: 6
; COMPUTE_PGM_RSRC2:TRAP_HANDLER: 0
; COMPUTE_PGM_RSRC2:TGID_X_EN: 1
; COMPUTE_PGM_RSRC2:TGID_Y_EN: 0
; COMPUTE_PGM_RSRC2:TGID_Z_EN: 0
; COMPUTE_PGM_RSRC2:TIDIG_COMP_CNT: 0
; COMPUTE_PGM_RSRC3_GFX90A:ACCUM_OFFSET: 0
; COMPUTE_PGM_RSRC3_GFX90A:TG_SPLIT: 0
	.section	.text._ZN7rocprim17ROCPRIM_400000_NS6detail17trampoline_kernelINS0_14default_configENS1_20scan_config_selectorIxEEZZNS1_9scan_implILNS1_25lookback_scan_determinismE0ELb0ELb0ES3_N6thrust23THRUST_200600_302600_NS6detail15normal_iteratorINS9_10device_ptrIxEEEESE_x11max_functorIxExEEDaPvRmT3_T4_T5_mT6_P12ihipStream_tbENKUlT_T0_E_clISt17integral_constantIbLb1EESU_EEDaSP_SQ_EUlSP_E0_NS1_11comp_targetILNS1_3genE2ELNS1_11target_archE906ELNS1_3gpuE6ELNS1_3repE0EEENS1_30default_config_static_selectorELNS0_4arch9wavefront6targetE1EEEvT1_,"axG",@progbits,_ZN7rocprim17ROCPRIM_400000_NS6detail17trampoline_kernelINS0_14default_configENS1_20scan_config_selectorIxEEZZNS1_9scan_implILNS1_25lookback_scan_determinismE0ELb0ELb0ES3_N6thrust23THRUST_200600_302600_NS6detail15normal_iteratorINS9_10device_ptrIxEEEESE_x11max_functorIxExEEDaPvRmT3_T4_T5_mT6_P12ihipStream_tbENKUlT_T0_E_clISt17integral_constantIbLb1EESU_EEDaSP_SQ_EUlSP_E0_NS1_11comp_targetILNS1_3genE2ELNS1_11target_archE906ELNS1_3gpuE6ELNS1_3repE0EEENS1_30default_config_static_selectorELNS0_4arch9wavefront6targetE1EEEvT1_,comdat
	.protected	_ZN7rocprim17ROCPRIM_400000_NS6detail17trampoline_kernelINS0_14default_configENS1_20scan_config_selectorIxEEZZNS1_9scan_implILNS1_25lookback_scan_determinismE0ELb0ELb0ES3_N6thrust23THRUST_200600_302600_NS6detail15normal_iteratorINS9_10device_ptrIxEEEESE_x11max_functorIxExEEDaPvRmT3_T4_T5_mT6_P12ihipStream_tbENKUlT_T0_E_clISt17integral_constantIbLb1EESU_EEDaSP_SQ_EUlSP_E0_NS1_11comp_targetILNS1_3genE2ELNS1_11target_archE906ELNS1_3gpuE6ELNS1_3repE0EEENS1_30default_config_static_selectorELNS0_4arch9wavefront6targetE1EEEvT1_ ; -- Begin function _ZN7rocprim17ROCPRIM_400000_NS6detail17trampoline_kernelINS0_14default_configENS1_20scan_config_selectorIxEEZZNS1_9scan_implILNS1_25lookback_scan_determinismE0ELb0ELb0ES3_N6thrust23THRUST_200600_302600_NS6detail15normal_iteratorINS9_10device_ptrIxEEEESE_x11max_functorIxExEEDaPvRmT3_T4_T5_mT6_P12ihipStream_tbENKUlT_T0_E_clISt17integral_constantIbLb1EESU_EEDaSP_SQ_EUlSP_E0_NS1_11comp_targetILNS1_3genE2ELNS1_11target_archE906ELNS1_3gpuE6ELNS1_3repE0EEENS1_30default_config_static_selectorELNS0_4arch9wavefront6targetE1EEEvT1_
	.globl	_ZN7rocprim17ROCPRIM_400000_NS6detail17trampoline_kernelINS0_14default_configENS1_20scan_config_selectorIxEEZZNS1_9scan_implILNS1_25lookback_scan_determinismE0ELb0ELb0ES3_N6thrust23THRUST_200600_302600_NS6detail15normal_iteratorINS9_10device_ptrIxEEEESE_x11max_functorIxExEEDaPvRmT3_T4_T5_mT6_P12ihipStream_tbENKUlT_T0_E_clISt17integral_constantIbLb1EESU_EEDaSP_SQ_EUlSP_E0_NS1_11comp_targetILNS1_3genE2ELNS1_11target_archE906ELNS1_3gpuE6ELNS1_3repE0EEENS1_30default_config_static_selectorELNS0_4arch9wavefront6targetE1EEEvT1_
	.p2align	8
	.type	_ZN7rocprim17ROCPRIM_400000_NS6detail17trampoline_kernelINS0_14default_configENS1_20scan_config_selectorIxEEZZNS1_9scan_implILNS1_25lookback_scan_determinismE0ELb0ELb0ES3_N6thrust23THRUST_200600_302600_NS6detail15normal_iteratorINS9_10device_ptrIxEEEESE_x11max_functorIxExEEDaPvRmT3_T4_T5_mT6_P12ihipStream_tbENKUlT_T0_E_clISt17integral_constantIbLb1EESU_EEDaSP_SQ_EUlSP_E0_NS1_11comp_targetILNS1_3genE2ELNS1_11target_archE906ELNS1_3gpuE6ELNS1_3repE0EEENS1_30default_config_static_selectorELNS0_4arch9wavefront6targetE1EEEvT1_,@function
_ZN7rocprim17ROCPRIM_400000_NS6detail17trampoline_kernelINS0_14default_configENS1_20scan_config_selectorIxEEZZNS1_9scan_implILNS1_25lookback_scan_determinismE0ELb0ELb0ES3_N6thrust23THRUST_200600_302600_NS6detail15normal_iteratorINS9_10device_ptrIxEEEESE_x11max_functorIxExEEDaPvRmT3_T4_T5_mT6_P12ihipStream_tbENKUlT_T0_E_clISt17integral_constantIbLb1EESU_EEDaSP_SQ_EUlSP_E0_NS1_11comp_targetILNS1_3genE2ELNS1_11target_archE906ELNS1_3gpuE6ELNS1_3repE0EEENS1_30default_config_static_selectorELNS0_4arch9wavefront6targetE1EEEvT1_: ; @_ZN7rocprim17ROCPRIM_400000_NS6detail17trampoline_kernelINS0_14default_configENS1_20scan_config_selectorIxEEZZNS1_9scan_implILNS1_25lookback_scan_determinismE0ELb0ELb0ES3_N6thrust23THRUST_200600_302600_NS6detail15normal_iteratorINS9_10device_ptrIxEEEESE_x11max_functorIxExEEDaPvRmT3_T4_T5_mT6_P12ihipStream_tbENKUlT_T0_E_clISt17integral_constantIbLb1EESU_EEDaSP_SQ_EUlSP_E0_NS1_11comp_targetILNS1_3genE2ELNS1_11target_archE906ELNS1_3gpuE6ELNS1_3repE0EEENS1_30default_config_static_selectorELNS0_4arch9wavefront6targetE1EEEvT1_
; %bb.0:
	.section	.rodata,"a",@progbits
	.p2align	6, 0x0
	.amdhsa_kernel _ZN7rocprim17ROCPRIM_400000_NS6detail17trampoline_kernelINS0_14default_configENS1_20scan_config_selectorIxEEZZNS1_9scan_implILNS1_25lookback_scan_determinismE0ELb0ELb0ES3_N6thrust23THRUST_200600_302600_NS6detail15normal_iteratorINS9_10device_ptrIxEEEESE_x11max_functorIxExEEDaPvRmT3_T4_T5_mT6_P12ihipStream_tbENKUlT_T0_E_clISt17integral_constantIbLb1EESU_EEDaSP_SQ_EUlSP_E0_NS1_11comp_targetILNS1_3genE2ELNS1_11target_archE906ELNS1_3gpuE6ELNS1_3repE0EEENS1_30default_config_static_selectorELNS0_4arch9wavefront6targetE1EEEvT1_
		.amdhsa_group_segment_fixed_size 0
		.amdhsa_private_segment_fixed_size 0
		.amdhsa_kernarg_size 40
		.amdhsa_user_sgpr_count 6
		.amdhsa_user_sgpr_private_segment_buffer 1
		.amdhsa_user_sgpr_dispatch_ptr 0
		.amdhsa_user_sgpr_queue_ptr 0
		.amdhsa_user_sgpr_kernarg_segment_ptr 1
		.amdhsa_user_sgpr_dispatch_id 0
		.amdhsa_user_sgpr_flat_scratch_init 0
		.amdhsa_user_sgpr_kernarg_preload_length 0
		.amdhsa_user_sgpr_kernarg_preload_offset 0
		.amdhsa_user_sgpr_private_segment_size 0
		.amdhsa_uses_dynamic_stack 0
		.amdhsa_system_sgpr_private_segment_wavefront_offset 0
		.amdhsa_system_sgpr_workgroup_id_x 1
		.amdhsa_system_sgpr_workgroup_id_y 0
		.amdhsa_system_sgpr_workgroup_id_z 0
		.amdhsa_system_sgpr_workgroup_info 0
		.amdhsa_system_vgpr_workitem_id 0
		.amdhsa_next_free_vgpr 1
		.amdhsa_next_free_sgpr 0
		.amdhsa_accum_offset 4
		.amdhsa_reserve_vcc 0
		.amdhsa_reserve_flat_scratch 0
		.amdhsa_float_round_mode_32 0
		.amdhsa_float_round_mode_16_64 0
		.amdhsa_float_denorm_mode_32 3
		.amdhsa_float_denorm_mode_16_64 3
		.amdhsa_dx10_clamp 1
		.amdhsa_ieee_mode 1
		.amdhsa_fp16_overflow 0
		.amdhsa_tg_split 0
		.amdhsa_exception_fp_ieee_invalid_op 0
		.amdhsa_exception_fp_denorm_src 0
		.amdhsa_exception_fp_ieee_div_zero 0
		.amdhsa_exception_fp_ieee_overflow 0
		.amdhsa_exception_fp_ieee_underflow 0
		.amdhsa_exception_fp_ieee_inexact 0
		.amdhsa_exception_int_div_zero 0
	.end_amdhsa_kernel
	.section	.text._ZN7rocprim17ROCPRIM_400000_NS6detail17trampoline_kernelINS0_14default_configENS1_20scan_config_selectorIxEEZZNS1_9scan_implILNS1_25lookback_scan_determinismE0ELb0ELb0ES3_N6thrust23THRUST_200600_302600_NS6detail15normal_iteratorINS9_10device_ptrIxEEEESE_x11max_functorIxExEEDaPvRmT3_T4_T5_mT6_P12ihipStream_tbENKUlT_T0_E_clISt17integral_constantIbLb1EESU_EEDaSP_SQ_EUlSP_E0_NS1_11comp_targetILNS1_3genE2ELNS1_11target_archE906ELNS1_3gpuE6ELNS1_3repE0EEENS1_30default_config_static_selectorELNS0_4arch9wavefront6targetE1EEEvT1_,"axG",@progbits,_ZN7rocprim17ROCPRIM_400000_NS6detail17trampoline_kernelINS0_14default_configENS1_20scan_config_selectorIxEEZZNS1_9scan_implILNS1_25lookback_scan_determinismE0ELb0ELb0ES3_N6thrust23THRUST_200600_302600_NS6detail15normal_iteratorINS9_10device_ptrIxEEEESE_x11max_functorIxExEEDaPvRmT3_T4_T5_mT6_P12ihipStream_tbENKUlT_T0_E_clISt17integral_constantIbLb1EESU_EEDaSP_SQ_EUlSP_E0_NS1_11comp_targetILNS1_3genE2ELNS1_11target_archE906ELNS1_3gpuE6ELNS1_3repE0EEENS1_30default_config_static_selectorELNS0_4arch9wavefront6targetE1EEEvT1_,comdat
.Lfunc_end2589:
	.size	_ZN7rocprim17ROCPRIM_400000_NS6detail17trampoline_kernelINS0_14default_configENS1_20scan_config_selectorIxEEZZNS1_9scan_implILNS1_25lookback_scan_determinismE0ELb0ELb0ES3_N6thrust23THRUST_200600_302600_NS6detail15normal_iteratorINS9_10device_ptrIxEEEESE_x11max_functorIxExEEDaPvRmT3_T4_T5_mT6_P12ihipStream_tbENKUlT_T0_E_clISt17integral_constantIbLb1EESU_EEDaSP_SQ_EUlSP_E0_NS1_11comp_targetILNS1_3genE2ELNS1_11target_archE906ELNS1_3gpuE6ELNS1_3repE0EEENS1_30default_config_static_selectorELNS0_4arch9wavefront6targetE1EEEvT1_, .Lfunc_end2589-_ZN7rocprim17ROCPRIM_400000_NS6detail17trampoline_kernelINS0_14default_configENS1_20scan_config_selectorIxEEZZNS1_9scan_implILNS1_25lookback_scan_determinismE0ELb0ELb0ES3_N6thrust23THRUST_200600_302600_NS6detail15normal_iteratorINS9_10device_ptrIxEEEESE_x11max_functorIxExEEDaPvRmT3_T4_T5_mT6_P12ihipStream_tbENKUlT_T0_E_clISt17integral_constantIbLb1EESU_EEDaSP_SQ_EUlSP_E0_NS1_11comp_targetILNS1_3genE2ELNS1_11target_archE906ELNS1_3gpuE6ELNS1_3repE0EEENS1_30default_config_static_selectorELNS0_4arch9wavefront6targetE1EEEvT1_
                                        ; -- End function
	.section	.AMDGPU.csdata,"",@progbits
; Kernel info:
; codeLenInByte = 0
; NumSgprs: 4
; NumVgprs: 0
; NumAgprs: 0
; TotalNumVgprs: 0
; ScratchSize: 0
; MemoryBound: 0
; FloatMode: 240
; IeeeMode: 1
; LDSByteSize: 0 bytes/workgroup (compile time only)
; SGPRBlocks: 0
; VGPRBlocks: 0
; NumSGPRsForWavesPerEU: 4
; NumVGPRsForWavesPerEU: 1
; AccumOffset: 4
; Occupancy: 8
; WaveLimiterHint : 0
; COMPUTE_PGM_RSRC2:SCRATCH_EN: 0
; COMPUTE_PGM_RSRC2:USER_SGPR: 6
; COMPUTE_PGM_RSRC2:TRAP_HANDLER: 0
; COMPUTE_PGM_RSRC2:TGID_X_EN: 1
; COMPUTE_PGM_RSRC2:TGID_Y_EN: 0
; COMPUTE_PGM_RSRC2:TGID_Z_EN: 0
; COMPUTE_PGM_RSRC2:TIDIG_COMP_CNT: 0
; COMPUTE_PGM_RSRC3_GFX90A:ACCUM_OFFSET: 0
; COMPUTE_PGM_RSRC3_GFX90A:TG_SPLIT: 0
	.section	.text._ZN7rocprim17ROCPRIM_400000_NS6detail17trampoline_kernelINS0_14default_configENS1_20scan_config_selectorIxEEZZNS1_9scan_implILNS1_25lookback_scan_determinismE0ELb0ELb0ES3_N6thrust23THRUST_200600_302600_NS6detail15normal_iteratorINS9_10device_ptrIxEEEESE_x11max_functorIxExEEDaPvRmT3_T4_T5_mT6_P12ihipStream_tbENKUlT_T0_E_clISt17integral_constantIbLb1EESU_EEDaSP_SQ_EUlSP_E0_NS1_11comp_targetILNS1_3genE10ELNS1_11target_archE1201ELNS1_3gpuE5ELNS1_3repE0EEENS1_30default_config_static_selectorELNS0_4arch9wavefront6targetE1EEEvT1_,"axG",@progbits,_ZN7rocprim17ROCPRIM_400000_NS6detail17trampoline_kernelINS0_14default_configENS1_20scan_config_selectorIxEEZZNS1_9scan_implILNS1_25lookback_scan_determinismE0ELb0ELb0ES3_N6thrust23THRUST_200600_302600_NS6detail15normal_iteratorINS9_10device_ptrIxEEEESE_x11max_functorIxExEEDaPvRmT3_T4_T5_mT6_P12ihipStream_tbENKUlT_T0_E_clISt17integral_constantIbLb1EESU_EEDaSP_SQ_EUlSP_E0_NS1_11comp_targetILNS1_3genE10ELNS1_11target_archE1201ELNS1_3gpuE5ELNS1_3repE0EEENS1_30default_config_static_selectorELNS0_4arch9wavefront6targetE1EEEvT1_,comdat
	.protected	_ZN7rocprim17ROCPRIM_400000_NS6detail17trampoline_kernelINS0_14default_configENS1_20scan_config_selectorIxEEZZNS1_9scan_implILNS1_25lookback_scan_determinismE0ELb0ELb0ES3_N6thrust23THRUST_200600_302600_NS6detail15normal_iteratorINS9_10device_ptrIxEEEESE_x11max_functorIxExEEDaPvRmT3_T4_T5_mT6_P12ihipStream_tbENKUlT_T0_E_clISt17integral_constantIbLb1EESU_EEDaSP_SQ_EUlSP_E0_NS1_11comp_targetILNS1_3genE10ELNS1_11target_archE1201ELNS1_3gpuE5ELNS1_3repE0EEENS1_30default_config_static_selectorELNS0_4arch9wavefront6targetE1EEEvT1_ ; -- Begin function _ZN7rocprim17ROCPRIM_400000_NS6detail17trampoline_kernelINS0_14default_configENS1_20scan_config_selectorIxEEZZNS1_9scan_implILNS1_25lookback_scan_determinismE0ELb0ELb0ES3_N6thrust23THRUST_200600_302600_NS6detail15normal_iteratorINS9_10device_ptrIxEEEESE_x11max_functorIxExEEDaPvRmT3_T4_T5_mT6_P12ihipStream_tbENKUlT_T0_E_clISt17integral_constantIbLb1EESU_EEDaSP_SQ_EUlSP_E0_NS1_11comp_targetILNS1_3genE10ELNS1_11target_archE1201ELNS1_3gpuE5ELNS1_3repE0EEENS1_30default_config_static_selectorELNS0_4arch9wavefront6targetE1EEEvT1_
	.globl	_ZN7rocprim17ROCPRIM_400000_NS6detail17trampoline_kernelINS0_14default_configENS1_20scan_config_selectorIxEEZZNS1_9scan_implILNS1_25lookback_scan_determinismE0ELb0ELb0ES3_N6thrust23THRUST_200600_302600_NS6detail15normal_iteratorINS9_10device_ptrIxEEEESE_x11max_functorIxExEEDaPvRmT3_T4_T5_mT6_P12ihipStream_tbENKUlT_T0_E_clISt17integral_constantIbLb1EESU_EEDaSP_SQ_EUlSP_E0_NS1_11comp_targetILNS1_3genE10ELNS1_11target_archE1201ELNS1_3gpuE5ELNS1_3repE0EEENS1_30default_config_static_selectorELNS0_4arch9wavefront6targetE1EEEvT1_
	.p2align	8
	.type	_ZN7rocprim17ROCPRIM_400000_NS6detail17trampoline_kernelINS0_14default_configENS1_20scan_config_selectorIxEEZZNS1_9scan_implILNS1_25lookback_scan_determinismE0ELb0ELb0ES3_N6thrust23THRUST_200600_302600_NS6detail15normal_iteratorINS9_10device_ptrIxEEEESE_x11max_functorIxExEEDaPvRmT3_T4_T5_mT6_P12ihipStream_tbENKUlT_T0_E_clISt17integral_constantIbLb1EESU_EEDaSP_SQ_EUlSP_E0_NS1_11comp_targetILNS1_3genE10ELNS1_11target_archE1201ELNS1_3gpuE5ELNS1_3repE0EEENS1_30default_config_static_selectorELNS0_4arch9wavefront6targetE1EEEvT1_,@function
_ZN7rocprim17ROCPRIM_400000_NS6detail17trampoline_kernelINS0_14default_configENS1_20scan_config_selectorIxEEZZNS1_9scan_implILNS1_25lookback_scan_determinismE0ELb0ELb0ES3_N6thrust23THRUST_200600_302600_NS6detail15normal_iteratorINS9_10device_ptrIxEEEESE_x11max_functorIxExEEDaPvRmT3_T4_T5_mT6_P12ihipStream_tbENKUlT_T0_E_clISt17integral_constantIbLb1EESU_EEDaSP_SQ_EUlSP_E0_NS1_11comp_targetILNS1_3genE10ELNS1_11target_archE1201ELNS1_3gpuE5ELNS1_3repE0EEENS1_30default_config_static_selectorELNS0_4arch9wavefront6targetE1EEEvT1_: ; @_ZN7rocprim17ROCPRIM_400000_NS6detail17trampoline_kernelINS0_14default_configENS1_20scan_config_selectorIxEEZZNS1_9scan_implILNS1_25lookback_scan_determinismE0ELb0ELb0ES3_N6thrust23THRUST_200600_302600_NS6detail15normal_iteratorINS9_10device_ptrIxEEEESE_x11max_functorIxExEEDaPvRmT3_T4_T5_mT6_P12ihipStream_tbENKUlT_T0_E_clISt17integral_constantIbLb1EESU_EEDaSP_SQ_EUlSP_E0_NS1_11comp_targetILNS1_3genE10ELNS1_11target_archE1201ELNS1_3gpuE5ELNS1_3repE0EEENS1_30default_config_static_selectorELNS0_4arch9wavefront6targetE1EEEvT1_
; %bb.0:
	.section	.rodata,"a",@progbits
	.p2align	6, 0x0
	.amdhsa_kernel _ZN7rocprim17ROCPRIM_400000_NS6detail17trampoline_kernelINS0_14default_configENS1_20scan_config_selectorIxEEZZNS1_9scan_implILNS1_25lookback_scan_determinismE0ELb0ELb0ES3_N6thrust23THRUST_200600_302600_NS6detail15normal_iteratorINS9_10device_ptrIxEEEESE_x11max_functorIxExEEDaPvRmT3_T4_T5_mT6_P12ihipStream_tbENKUlT_T0_E_clISt17integral_constantIbLb1EESU_EEDaSP_SQ_EUlSP_E0_NS1_11comp_targetILNS1_3genE10ELNS1_11target_archE1201ELNS1_3gpuE5ELNS1_3repE0EEENS1_30default_config_static_selectorELNS0_4arch9wavefront6targetE1EEEvT1_
		.amdhsa_group_segment_fixed_size 0
		.amdhsa_private_segment_fixed_size 0
		.amdhsa_kernarg_size 40
		.amdhsa_user_sgpr_count 6
		.amdhsa_user_sgpr_private_segment_buffer 1
		.amdhsa_user_sgpr_dispatch_ptr 0
		.amdhsa_user_sgpr_queue_ptr 0
		.amdhsa_user_sgpr_kernarg_segment_ptr 1
		.amdhsa_user_sgpr_dispatch_id 0
		.amdhsa_user_sgpr_flat_scratch_init 0
		.amdhsa_user_sgpr_kernarg_preload_length 0
		.amdhsa_user_sgpr_kernarg_preload_offset 0
		.amdhsa_user_sgpr_private_segment_size 0
		.amdhsa_uses_dynamic_stack 0
		.amdhsa_system_sgpr_private_segment_wavefront_offset 0
		.amdhsa_system_sgpr_workgroup_id_x 1
		.amdhsa_system_sgpr_workgroup_id_y 0
		.amdhsa_system_sgpr_workgroup_id_z 0
		.amdhsa_system_sgpr_workgroup_info 0
		.amdhsa_system_vgpr_workitem_id 0
		.amdhsa_next_free_vgpr 1
		.amdhsa_next_free_sgpr 0
		.amdhsa_accum_offset 4
		.amdhsa_reserve_vcc 0
		.amdhsa_reserve_flat_scratch 0
		.amdhsa_float_round_mode_32 0
		.amdhsa_float_round_mode_16_64 0
		.amdhsa_float_denorm_mode_32 3
		.amdhsa_float_denorm_mode_16_64 3
		.amdhsa_dx10_clamp 1
		.amdhsa_ieee_mode 1
		.amdhsa_fp16_overflow 0
		.amdhsa_tg_split 0
		.amdhsa_exception_fp_ieee_invalid_op 0
		.amdhsa_exception_fp_denorm_src 0
		.amdhsa_exception_fp_ieee_div_zero 0
		.amdhsa_exception_fp_ieee_overflow 0
		.amdhsa_exception_fp_ieee_underflow 0
		.amdhsa_exception_fp_ieee_inexact 0
		.amdhsa_exception_int_div_zero 0
	.end_amdhsa_kernel
	.section	.text._ZN7rocprim17ROCPRIM_400000_NS6detail17trampoline_kernelINS0_14default_configENS1_20scan_config_selectorIxEEZZNS1_9scan_implILNS1_25lookback_scan_determinismE0ELb0ELb0ES3_N6thrust23THRUST_200600_302600_NS6detail15normal_iteratorINS9_10device_ptrIxEEEESE_x11max_functorIxExEEDaPvRmT3_T4_T5_mT6_P12ihipStream_tbENKUlT_T0_E_clISt17integral_constantIbLb1EESU_EEDaSP_SQ_EUlSP_E0_NS1_11comp_targetILNS1_3genE10ELNS1_11target_archE1201ELNS1_3gpuE5ELNS1_3repE0EEENS1_30default_config_static_selectorELNS0_4arch9wavefront6targetE1EEEvT1_,"axG",@progbits,_ZN7rocprim17ROCPRIM_400000_NS6detail17trampoline_kernelINS0_14default_configENS1_20scan_config_selectorIxEEZZNS1_9scan_implILNS1_25lookback_scan_determinismE0ELb0ELb0ES3_N6thrust23THRUST_200600_302600_NS6detail15normal_iteratorINS9_10device_ptrIxEEEESE_x11max_functorIxExEEDaPvRmT3_T4_T5_mT6_P12ihipStream_tbENKUlT_T0_E_clISt17integral_constantIbLb1EESU_EEDaSP_SQ_EUlSP_E0_NS1_11comp_targetILNS1_3genE10ELNS1_11target_archE1201ELNS1_3gpuE5ELNS1_3repE0EEENS1_30default_config_static_selectorELNS0_4arch9wavefront6targetE1EEEvT1_,comdat
.Lfunc_end2590:
	.size	_ZN7rocprim17ROCPRIM_400000_NS6detail17trampoline_kernelINS0_14default_configENS1_20scan_config_selectorIxEEZZNS1_9scan_implILNS1_25lookback_scan_determinismE0ELb0ELb0ES3_N6thrust23THRUST_200600_302600_NS6detail15normal_iteratorINS9_10device_ptrIxEEEESE_x11max_functorIxExEEDaPvRmT3_T4_T5_mT6_P12ihipStream_tbENKUlT_T0_E_clISt17integral_constantIbLb1EESU_EEDaSP_SQ_EUlSP_E0_NS1_11comp_targetILNS1_3genE10ELNS1_11target_archE1201ELNS1_3gpuE5ELNS1_3repE0EEENS1_30default_config_static_selectorELNS0_4arch9wavefront6targetE1EEEvT1_, .Lfunc_end2590-_ZN7rocprim17ROCPRIM_400000_NS6detail17trampoline_kernelINS0_14default_configENS1_20scan_config_selectorIxEEZZNS1_9scan_implILNS1_25lookback_scan_determinismE0ELb0ELb0ES3_N6thrust23THRUST_200600_302600_NS6detail15normal_iteratorINS9_10device_ptrIxEEEESE_x11max_functorIxExEEDaPvRmT3_T4_T5_mT6_P12ihipStream_tbENKUlT_T0_E_clISt17integral_constantIbLb1EESU_EEDaSP_SQ_EUlSP_E0_NS1_11comp_targetILNS1_3genE10ELNS1_11target_archE1201ELNS1_3gpuE5ELNS1_3repE0EEENS1_30default_config_static_selectorELNS0_4arch9wavefront6targetE1EEEvT1_
                                        ; -- End function
	.section	.AMDGPU.csdata,"",@progbits
; Kernel info:
; codeLenInByte = 0
; NumSgprs: 4
; NumVgprs: 0
; NumAgprs: 0
; TotalNumVgprs: 0
; ScratchSize: 0
; MemoryBound: 0
; FloatMode: 240
; IeeeMode: 1
; LDSByteSize: 0 bytes/workgroup (compile time only)
; SGPRBlocks: 0
; VGPRBlocks: 0
; NumSGPRsForWavesPerEU: 4
; NumVGPRsForWavesPerEU: 1
; AccumOffset: 4
; Occupancy: 8
; WaveLimiterHint : 0
; COMPUTE_PGM_RSRC2:SCRATCH_EN: 0
; COMPUTE_PGM_RSRC2:USER_SGPR: 6
; COMPUTE_PGM_RSRC2:TRAP_HANDLER: 0
; COMPUTE_PGM_RSRC2:TGID_X_EN: 1
; COMPUTE_PGM_RSRC2:TGID_Y_EN: 0
; COMPUTE_PGM_RSRC2:TGID_Z_EN: 0
; COMPUTE_PGM_RSRC2:TIDIG_COMP_CNT: 0
; COMPUTE_PGM_RSRC3_GFX90A:ACCUM_OFFSET: 0
; COMPUTE_PGM_RSRC3_GFX90A:TG_SPLIT: 0
	.section	.text._ZN7rocprim17ROCPRIM_400000_NS6detail17trampoline_kernelINS0_14default_configENS1_20scan_config_selectorIxEEZZNS1_9scan_implILNS1_25lookback_scan_determinismE0ELb0ELb0ES3_N6thrust23THRUST_200600_302600_NS6detail15normal_iteratorINS9_10device_ptrIxEEEESE_x11max_functorIxExEEDaPvRmT3_T4_T5_mT6_P12ihipStream_tbENKUlT_T0_E_clISt17integral_constantIbLb1EESU_EEDaSP_SQ_EUlSP_E0_NS1_11comp_targetILNS1_3genE10ELNS1_11target_archE1200ELNS1_3gpuE4ELNS1_3repE0EEENS1_30default_config_static_selectorELNS0_4arch9wavefront6targetE1EEEvT1_,"axG",@progbits,_ZN7rocprim17ROCPRIM_400000_NS6detail17trampoline_kernelINS0_14default_configENS1_20scan_config_selectorIxEEZZNS1_9scan_implILNS1_25lookback_scan_determinismE0ELb0ELb0ES3_N6thrust23THRUST_200600_302600_NS6detail15normal_iteratorINS9_10device_ptrIxEEEESE_x11max_functorIxExEEDaPvRmT3_T4_T5_mT6_P12ihipStream_tbENKUlT_T0_E_clISt17integral_constantIbLb1EESU_EEDaSP_SQ_EUlSP_E0_NS1_11comp_targetILNS1_3genE10ELNS1_11target_archE1200ELNS1_3gpuE4ELNS1_3repE0EEENS1_30default_config_static_selectorELNS0_4arch9wavefront6targetE1EEEvT1_,comdat
	.protected	_ZN7rocprim17ROCPRIM_400000_NS6detail17trampoline_kernelINS0_14default_configENS1_20scan_config_selectorIxEEZZNS1_9scan_implILNS1_25lookback_scan_determinismE0ELb0ELb0ES3_N6thrust23THRUST_200600_302600_NS6detail15normal_iteratorINS9_10device_ptrIxEEEESE_x11max_functorIxExEEDaPvRmT3_T4_T5_mT6_P12ihipStream_tbENKUlT_T0_E_clISt17integral_constantIbLb1EESU_EEDaSP_SQ_EUlSP_E0_NS1_11comp_targetILNS1_3genE10ELNS1_11target_archE1200ELNS1_3gpuE4ELNS1_3repE0EEENS1_30default_config_static_selectorELNS0_4arch9wavefront6targetE1EEEvT1_ ; -- Begin function _ZN7rocprim17ROCPRIM_400000_NS6detail17trampoline_kernelINS0_14default_configENS1_20scan_config_selectorIxEEZZNS1_9scan_implILNS1_25lookback_scan_determinismE0ELb0ELb0ES3_N6thrust23THRUST_200600_302600_NS6detail15normal_iteratorINS9_10device_ptrIxEEEESE_x11max_functorIxExEEDaPvRmT3_T4_T5_mT6_P12ihipStream_tbENKUlT_T0_E_clISt17integral_constantIbLb1EESU_EEDaSP_SQ_EUlSP_E0_NS1_11comp_targetILNS1_3genE10ELNS1_11target_archE1200ELNS1_3gpuE4ELNS1_3repE0EEENS1_30default_config_static_selectorELNS0_4arch9wavefront6targetE1EEEvT1_
	.globl	_ZN7rocprim17ROCPRIM_400000_NS6detail17trampoline_kernelINS0_14default_configENS1_20scan_config_selectorIxEEZZNS1_9scan_implILNS1_25lookback_scan_determinismE0ELb0ELb0ES3_N6thrust23THRUST_200600_302600_NS6detail15normal_iteratorINS9_10device_ptrIxEEEESE_x11max_functorIxExEEDaPvRmT3_T4_T5_mT6_P12ihipStream_tbENKUlT_T0_E_clISt17integral_constantIbLb1EESU_EEDaSP_SQ_EUlSP_E0_NS1_11comp_targetILNS1_3genE10ELNS1_11target_archE1200ELNS1_3gpuE4ELNS1_3repE0EEENS1_30default_config_static_selectorELNS0_4arch9wavefront6targetE1EEEvT1_
	.p2align	8
	.type	_ZN7rocprim17ROCPRIM_400000_NS6detail17trampoline_kernelINS0_14default_configENS1_20scan_config_selectorIxEEZZNS1_9scan_implILNS1_25lookback_scan_determinismE0ELb0ELb0ES3_N6thrust23THRUST_200600_302600_NS6detail15normal_iteratorINS9_10device_ptrIxEEEESE_x11max_functorIxExEEDaPvRmT3_T4_T5_mT6_P12ihipStream_tbENKUlT_T0_E_clISt17integral_constantIbLb1EESU_EEDaSP_SQ_EUlSP_E0_NS1_11comp_targetILNS1_3genE10ELNS1_11target_archE1200ELNS1_3gpuE4ELNS1_3repE0EEENS1_30default_config_static_selectorELNS0_4arch9wavefront6targetE1EEEvT1_,@function
_ZN7rocprim17ROCPRIM_400000_NS6detail17trampoline_kernelINS0_14default_configENS1_20scan_config_selectorIxEEZZNS1_9scan_implILNS1_25lookback_scan_determinismE0ELb0ELb0ES3_N6thrust23THRUST_200600_302600_NS6detail15normal_iteratorINS9_10device_ptrIxEEEESE_x11max_functorIxExEEDaPvRmT3_T4_T5_mT6_P12ihipStream_tbENKUlT_T0_E_clISt17integral_constantIbLb1EESU_EEDaSP_SQ_EUlSP_E0_NS1_11comp_targetILNS1_3genE10ELNS1_11target_archE1200ELNS1_3gpuE4ELNS1_3repE0EEENS1_30default_config_static_selectorELNS0_4arch9wavefront6targetE1EEEvT1_: ; @_ZN7rocprim17ROCPRIM_400000_NS6detail17trampoline_kernelINS0_14default_configENS1_20scan_config_selectorIxEEZZNS1_9scan_implILNS1_25lookback_scan_determinismE0ELb0ELb0ES3_N6thrust23THRUST_200600_302600_NS6detail15normal_iteratorINS9_10device_ptrIxEEEESE_x11max_functorIxExEEDaPvRmT3_T4_T5_mT6_P12ihipStream_tbENKUlT_T0_E_clISt17integral_constantIbLb1EESU_EEDaSP_SQ_EUlSP_E0_NS1_11comp_targetILNS1_3genE10ELNS1_11target_archE1200ELNS1_3gpuE4ELNS1_3repE0EEENS1_30default_config_static_selectorELNS0_4arch9wavefront6targetE1EEEvT1_
; %bb.0:
	.section	.rodata,"a",@progbits
	.p2align	6, 0x0
	.amdhsa_kernel _ZN7rocprim17ROCPRIM_400000_NS6detail17trampoline_kernelINS0_14default_configENS1_20scan_config_selectorIxEEZZNS1_9scan_implILNS1_25lookback_scan_determinismE0ELb0ELb0ES3_N6thrust23THRUST_200600_302600_NS6detail15normal_iteratorINS9_10device_ptrIxEEEESE_x11max_functorIxExEEDaPvRmT3_T4_T5_mT6_P12ihipStream_tbENKUlT_T0_E_clISt17integral_constantIbLb1EESU_EEDaSP_SQ_EUlSP_E0_NS1_11comp_targetILNS1_3genE10ELNS1_11target_archE1200ELNS1_3gpuE4ELNS1_3repE0EEENS1_30default_config_static_selectorELNS0_4arch9wavefront6targetE1EEEvT1_
		.amdhsa_group_segment_fixed_size 0
		.amdhsa_private_segment_fixed_size 0
		.amdhsa_kernarg_size 40
		.amdhsa_user_sgpr_count 6
		.amdhsa_user_sgpr_private_segment_buffer 1
		.amdhsa_user_sgpr_dispatch_ptr 0
		.amdhsa_user_sgpr_queue_ptr 0
		.amdhsa_user_sgpr_kernarg_segment_ptr 1
		.amdhsa_user_sgpr_dispatch_id 0
		.amdhsa_user_sgpr_flat_scratch_init 0
		.amdhsa_user_sgpr_kernarg_preload_length 0
		.amdhsa_user_sgpr_kernarg_preload_offset 0
		.amdhsa_user_sgpr_private_segment_size 0
		.amdhsa_uses_dynamic_stack 0
		.amdhsa_system_sgpr_private_segment_wavefront_offset 0
		.amdhsa_system_sgpr_workgroup_id_x 1
		.amdhsa_system_sgpr_workgroup_id_y 0
		.amdhsa_system_sgpr_workgroup_id_z 0
		.amdhsa_system_sgpr_workgroup_info 0
		.amdhsa_system_vgpr_workitem_id 0
		.amdhsa_next_free_vgpr 1
		.amdhsa_next_free_sgpr 0
		.amdhsa_accum_offset 4
		.amdhsa_reserve_vcc 0
		.amdhsa_reserve_flat_scratch 0
		.amdhsa_float_round_mode_32 0
		.amdhsa_float_round_mode_16_64 0
		.amdhsa_float_denorm_mode_32 3
		.amdhsa_float_denorm_mode_16_64 3
		.amdhsa_dx10_clamp 1
		.amdhsa_ieee_mode 1
		.amdhsa_fp16_overflow 0
		.amdhsa_tg_split 0
		.amdhsa_exception_fp_ieee_invalid_op 0
		.amdhsa_exception_fp_denorm_src 0
		.amdhsa_exception_fp_ieee_div_zero 0
		.amdhsa_exception_fp_ieee_overflow 0
		.amdhsa_exception_fp_ieee_underflow 0
		.amdhsa_exception_fp_ieee_inexact 0
		.amdhsa_exception_int_div_zero 0
	.end_amdhsa_kernel
	.section	.text._ZN7rocprim17ROCPRIM_400000_NS6detail17trampoline_kernelINS0_14default_configENS1_20scan_config_selectorIxEEZZNS1_9scan_implILNS1_25lookback_scan_determinismE0ELb0ELb0ES3_N6thrust23THRUST_200600_302600_NS6detail15normal_iteratorINS9_10device_ptrIxEEEESE_x11max_functorIxExEEDaPvRmT3_T4_T5_mT6_P12ihipStream_tbENKUlT_T0_E_clISt17integral_constantIbLb1EESU_EEDaSP_SQ_EUlSP_E0_NS1_11comp_targetILNS1_3genE10ELNS1_11target_archE1200ELNS1_3gpuE4ELNS1_3repE0EEENS1_30default_config_static_selectorELNS0_4arch9wavefront6targetE1EEEvT1_,"axG",@progbits,_ZN7rocprim17ROCPRIM_400000_NS6detail17trampoline_kernelINS0_14default_configENS1_20scan_config_selectorIxEEZZNS1_9scan_implILNS1_25lookback_scan_determinismE0ELb0ELb0ES3_N6thrust23THRUST_200600_302600_NS6detail15normal_iteratorINS9_10device_ptrIxEEEESE_x11max_functorIxExEEDaPvRmT3_T4_T5_mT6_P12ihipStream_tbENKUlT_T0_E_clISt17integral_constantIbLb1EESU_EEDaSP_SQ_EUlSP_E0_NS1_11comp_targetILNS1_3genE10ELNS1_11target_archE1200ELNS1_3gpuE4ELNS1_3repE0EEENS1_30default_config_static_selectorELNS0_4arch9wavefront6targetE1EEEvT1_,comdat
.Lfunc_end2591:
	.size	_ZN7rocprim17ROCPRIM_400000_NS6detail17trampoline_kernelINS0_14default_configENS1_20scan_config_selectorIxEEZZNS1_9scan_implILNS1_25lookback_scan_determinismE0ELb0ELb0ES3_N6thrust23THRUST_200600_302600_NS6detail15normal_iteratorINS9_10device_ptrIxEEEESE_x11max_functorIxExEEDaPvRmT3_T4_T5_mT6_P12ihipStream_tbENKUlT_T0_E_clISt17integral_constantIbLb1EESU_EEDaSP_SQ_EUlSP_E0_NS1_11comp_targetILNS1_3genE10ELNS1_11target_archE1200ELNS1_3gpuE4ELNS1_3repE0EEENS1_30default_config_static_selectorELNS0_4arch9wavefront6targetE1EEEvT1_, .Lfunc_end2591-_ZN7rocprim17ROCPRIM_400000_NS6detail17trampoline_kernelINS0_14default_configENS1_20scan_config_selectorIxEEZZNS1_9scan_implILNS1_25lookback_scan_determinismE0ELb0ELb0ES3_N6thrust23THRUST_200600_302600_NS6detail15normal_iteratorINS9_10device_ptrIxEEEESE_x11max_functorIxExEEDaPvRmT3_T4_T5_mT6_P12ihipStream_tbENKUlT_T0_E_clISt17integral_constantIbLb1EESU_EEDaSP_SQ_EUlSP_E0_NS1_11comp_targetILNS1_3genE10ELNS1_11target_archE1200ELNS1_3gpuE4ELNS1_3repE0EEENS1_30default_config_static_selectorELNS0_4arch9wavefront6targetE1EEEvT1_
                                        ; -- End function
	.section	.AMDGPU.csdata,"",@progbits
; Kernel info:
; codeLenInByte = 0
; NumSgprs: 4
; NumVgprs: 0
; NumAgprs: 0
; TotalNumVgprs: 0
; ScratchSize: 0
; MemoryBound: 0
; FloatMode: 240
; IeeeMode: 1
; LDSByteSize: 0 bytes/workgroup (compile time only)
; SGPRBlocks: 0
; VGPRBlocks: 0
; NumSGPRsForWavesPerEU: 4
; NumVGPRsForWavesPerEU: 1
; AccumOffset: 4
; Occupancy: 8
; WaveLimiterHint : 0
; COMPUTE_PGM_RSRC2:SCRATCH_EN: 0
; COMPUTE_PGM_RSRC2:USER_SGPR: 6
; COMPUTE_PGM_RSRC2:TRAP_HANDLER: 0
; COMPUTE_PGM_RSRC2:TGID_X_EN: 1
; COMPUTE_PGM_RSRC2:TGID_Y_EN: 0
; COMPUTE_PGM_RSRC2:TGID_Z_EN: 0
; COMPUTE_PGM_RSRC2:TIDIG_COMP_CNT: 0
; COMPUTE_PGM_RSRC3_GFX90A:ACCUM_OFFSET: 0
; COMPUTE_PGM_RSRC3_GFX90A:TG_SPLIT: 0
	.section	.text._ZN7rocprim17ROCPRIM_400000_NS6detail17trampoline_kernelINS0_14default_configENS1_20scan_config_selectorIxEEZZNS1_9scan_implILNS1_25lookback_scan_determinismE0ELb0ELb0ES3_N6thrust23THRUST_200600_302600_NS6detail15normal_iteratorINS9_10device_ptrIxEEEESE_x11max_functorIxExEEDaPvRmT3_T4_T5_mT6_P12ihipStream_tbENKUlT_T0_E_clISt17integral_constantIbLb1EESU_EEDaSP_SQ_EUlSP_E0_NS1_11comp_targetILNS1_3genE9ELNS1_11target_archE1100ELNS1_3gpuE3ELNS1_3repE0EEENS1_30default_config_static_selectorELNS0_4arch9wavefront6targetE1EEEvT1_,"axG",@progbits,_ZN7rocprim17ROCPRIM_400000_NS6detail17trampoline_kernelINS0_14default_configENS1_20scan_config_selectorIxEEZZNS1_9scan_implILNS1_25lookback_scan_determinismE0ELb0ELb0ES3_N6thrust23THRUST_200600_302600_NS6detail15normal_iteratorINS9_10device_ptrIxEEEESE_x11max_functorIxExEEDaPvRmT3_T4_T5_mT6_P12ihipStream_tbENKUlT_T0_E_clISt17integral_constantIbLb1EESU_EEDaSP_SQ_EUlSP_E0_NS1_11comp_targetILNS1_3genE9ELNS1_11target_archE1100ELNS1_3gpuE3ELNS1_3repE0EEENS1_30default_config_static_selectorELNS0_4arch9wavefront6targetE1EEEvT1_,comdat
	.protected	_ZN7rocprim17ROCPRIM_400000_NS6detail17trampoline_kernelINS0_14default_configENS1_20scan_config_selectorIxEEZZNS1_9scan_implILNS1_25lookback_scan_determinismE0ELb0ELb0ES3_N6thrust23THRUST_200600_302600_NS6detail15normal_iteratorINS9_10device_ptrIxEEEESE_x11max_functorIxExEEDaPvRmT3_T4_T5_mT6_P12ihipStream_tbENKUlT_T0_E_clISt17integral_constantIbLb1EESU_EEDaSP_SQ_EUlSP_E0_NS1_11comp_targetILNS1_3genE9ELNS1_11target_archE1100ELNS1_3gpuE3ELNS1_3repE0EEENS1_30default_config_static_selectorELNS0_4arch9wavefront6targetE1EEEvT1_ ; -- Begin function _ZN7rocprim17ROCPRIM_400000_NS6detail17trampoline_kernelINS0_14default_configENS1_20scan_config_selectorIxEEZZNS1_9scan_implILNS1_25lookback_scan_determinismE0ELb0ELb0ES3_N6thrust23THRUST_200600_302600_NS6detail15normal_iteratorINS9_10device_ptrIxEEEESE_x11max_functorIxExEEDaPvRmT3_T4_T5_mT6_P12ihipStream_tbENKUlT_T0_E_clISt17integral_constantIbLb1EESU_EEDaSP_SQ_EUlSP_E0_NS1_11comp_targetILNS1_3genE9ELNS1_11target_archE1100ELNS1_3gpuE3ELNS1_3repE0EEENS1_30default_config_static_selectorELNS0_4arch9wavefront6targetE1EEEvT1_
	.globl	_ZN7rocprim17ROCPRIM_400000_NS6detail17trampoline_kernelINS0_14default_configENS1_20scan_config_selectorIxEEZZNS1_9scan_implILNS1_25lookback_scan_determinismE0ELb0ELb0ES3_N6thrust23THRUST_200600_302600_NS6detail15normal_iteratorINS9_10device_ptrIxEEEESE_x11max_functorIxExEEDaPvRmT3_T4_T5_mT6_P12ihipStream_tbENKUlT_T0_E_clISt17integral_constantIbLb1EESU_EEDaSP_SQ_EUlSP_E0_NS1_11comp_targetILNS1_3genE9ELNS1_11target_archE1100ELNS1_3gpuE3ELNS1_3repE0EEENS1_30default_config_static_selectorELNS0_4arch9wavefront6targetE1EEEvT1_
	.p2align	8
	.type	_ZN7rocprim17ROCPRIM_400000_NS6detail17trampoline_kernelINS0_14default_configENS1_20scan_config_selectorIxEEZZNS1_9scan_implILNS1_25lookback_scan_determinismE0ELb0ELb0ES3_N6thrust23THRUST_200600_302600_NS6detail15normal_iteratorINS9_10device_ptrIxEEEESE_x11max_functorIxExEEDaPvRmT3_T4_T5_mT6_P12ihipStream_tbENKUlT_T0_E_clISt17integral_constantIbLb1EESU_EEDaSP_SQ_EUlSP_E0_NS1_11comp_targetILNS1_3genE9ELNS1_11target_archE1100ELNS1_3gpuE3ELNS1_3repE0EEENS1_30default_config_static_selectorELNS0_4arch9wavefront6targetE1EEEvT1_,@function
_ZN7rocprim17ROCPRIM_400000_NS6detail17trampoline_kernelINS0_14default_configENS1_20scan_config_selectorIxEEZZNS1_9scan_implILNS1_25lookback_scan_determinismE0ELb0ELb0ES3_N6thrust23THRUST_200600_302600_NS6detail15normal_iteratorINS9_10device_ptrIxEEEESE_x11max_functorIxExEEDaPvRmT3_T4_T5_mT6_P12ihipStream_tbENKUlT_T0_E_clISt17integral_constantIbLb1EESU_EEDaSP_SQ_EUlSP_E0_NS1_11comp_targetILNS1_3genE9ELNS1_11target_archE1100ELNS1_3gpuE3ELNS1_3repE0EEENS1_30default_config_static_selectorELNS0_4arch9wavefront6targetE1EEEvT1_: ; @_ZN7rocprim17ROCPRIM_400000_NS6detail17trampoline_kernelINS0_14default_configENS1_20scan_config_selectorIxEEZZNS1_9scan_implILNS1_25lookback_scan_determinismE0ELb0ELb0ES3_N6thrust23THRUST_200600_302600_NS6detail15normal_iteratorINS9_10device_ptrIxEEEESE_x11max_functorIxExEEDaPvRmT3_T4_T5_mT6_P12ihipStream_tbENKUlT_T0_E_clISt17integral_constantIbLb1EESU_EEDaSP_SQ_EUlSP_E0_NS1_11comp_targetILNS1_3genE9ELNS1_11target_archE1100ELNS1_3gpuE3ELNS1_3repE0EEENS1_30default_config_static_selectorELNS0_4arch9wavefront6targetE1EEEvT1_
; %bb.0:
	.section	.rodata,"a",@progbits
	.p2align	6, 0x0
	.amdhsa_kernel _ZN7rocprim17ROCPRIM_400000_NS6detail17trampoline_kernelINS0_14default_configENS1_20scan_config_selectorIxEEZZNS1_9scan_implILNS1_25lookback_scan_determinismE0ELb0ELb0ES3_N6thrust23THRUST_200600_302600_NS6detail15normal_iteratorINS9_10device_ptrIxEEEESE_x11max_functorIxExEEDaPvRmT3_T4_T5_mT6_P12ihipStream_tbENKUlT_T0_E_clISt17integral_constantIbLb1EESU_EEDaSP_SQ_EUlSP_E0_NS1_11comp_targetILNS1_3genE9ELNS1_11target_archE1100ELNS1_3gpuE3ELNS1_3repE0EEENS1_30default_config_static_selectorELNS0_4arch9wavefront6targetE1EEEvT1_
		.amdhsa_group_segment_fixed_size 0
		.amdhsa_private_segment_fixed_size 0
		.amdhsa_kernarg_size 40
		.amdhsa_user_sgpr_count 6
		.amdhsa_user_sgpr_private_segment_buffer 1
		.amdhsa_user_sgpr_dispatch_ptr 0
		.amdhsa_user_sgpr_queue_ptr 0
		.amdhsa_user_sgpr_kernarg_segment_ptr 1
		.amdhsa_user_sgpr_dispatch_id 0
		.amdhsa_user_sgpr_flat_scratch_init 0
		.amdhsa_user_sgpr_kernarg_preload_length 0
		.amdhsa_user_sgpr_kernarg_preload_offset 0
		.amdhsa_user_sgpr_private_segment_size 0
		.amdhsa_uses_dynamic_stack 0
		.amdhsa_system_sgpr_private_segment_wavefront_offset 0
		.amdhsa_system_sgpr_workgroup_id_x 1
		.amdhsa_system_sgpr_workgroup_id_y 0
		.amdhsa_system_sgpr_workgroup_id_z 0
		.amdhsa_system_sgpr_workgroup_info 0
		.amdhsa_system_vgpr_workitem_id 0
		.amdhsa_next_free_vgpr 1
		.amdhsa_next_free_sgpr 0
		.amdhsa_accum_offset 4
		.amdhsa_reserve_vcc 0
		.amdhsa_reserve_flat_scratch 0
		.amdhsa_float_round_mode_32 0
		.amdhsa_float_round_mode_16_64 0
		.amdhsa_float_denorm_mode_32 3
		.amdhsa_float_denorm_mode_16_64 3
		.amdhsa_dx10_clamp 1
		.amdhsa_ieee_mode 1
		.amdhsa_fp16_overflow 0
		.amdhsa_tg_split 0
		.amdhsa_exception_fp_ieee_invalid_op 0
		.amdhsa_exception_fp_denorm_src 0
		.amdhsa_exception_fp_ieee_div_zero 0
		.amdhsa_exception_fp_ieee_overflow 0
		.amdhsa_exception_fp_ieee_underflow 0
		.amdhsa_exception_fp_ieee_inexact 0
		.amdhsa_exception_int_div_zero 0
	.end_amdhsa_kernel
	.section	.text._ZN7rocprim17ROCPRIM_400000_NS6detail17trampoline_kernelINS0_14default_configENS1_20scan_config_selectorIxEEZZNS1_9scan_implILNS1_25lookback_scan_determinismE0ELb0ELb0ES3_N6thrust23THRUST_200600_302600_NS6detail15normal_iteratorINS9_10device_ptrIxEEEESE_x11max_functorIxExEEDaPvRmT3_T4_T5_mT6_P12ihipStream_tbENKUlT_T0_E_clISt17integral_constantIbLb1EESU_EEDaSP_SQ_EUlSP_E0_NS1_11comp_targetILNS1_3genE9ELNS1_11target_archE1100ELNS1_3gpuE3ELNS1_3repE0EEENS1_30default_config_static_selectorELNS0_4arch9wavefront6targetE1EEEvT1_,"axG",@progbits,_ZN7rocprim17ROCPRIM_400000_NS6detail17trampoline_kernelINS0_14default_configENS1_20scan_config_selectorIxEEZZNS1_9scan_implILNS1_25lookback_scan_determinismE0ELb0ELb0ES3_N6thrust23THRUST_200600_302600_NS6detail15normal_iteratorINS9_10device_ptrIxEEEESE_x11max_functorIxExEEDaPvRmT3_T4_T5_mT6_P12ihipStream_tbENKUlT_T0_E_clISt17integral_constantIbLb1EESU_EEDaSP_SQ_EUlSP_E0_NS1_11comp_targetILNS1_3genE9ELNS1_11target_archE1100ELNS1_3gpuE3ELNS1_3repE0EEENS1_30default_config_static_selectorELNS0_4arch9wavefront6targetE1EEEvT1_,comdat
.Lfunc_end2592:
	.size	_ZN7rocprim17ROCPRIM_400000_NS6detail17trampoline_kernelINS0_14default_configENS1_20scan_config_selectorIxEEZZNS1_9scan_implILNS1_25lookback_scan_determinismE0ELb0ELb0ES3_N6thrust23THRUST_200600_302600_NS6detail15normal_iteratorINS9_10device_ptrIxEEEESE_x11max_functorIxExEEDaPvRmT3_T4_T5_mT6_P12ihipStream_tbENKUlT_T0_E_clISt17integral_constantIbLb1EESU_EEDaSP_SQ_EUlSP_E0_NS1_11comp_targetILNS1_3genE9ELNS1_11target_archE1100ELNS1_3gpuE3ELNS1_3repE0EEENS1_30default_config_static_selectorELNS0_4arch9wavefront6targetE1EEEvT1_, .Lfunc_end2592-_ZN7rocprim17ROCPRIM_400000_NS6detail17trampoline_kernelINS0_14default_configENS1_20scan_config_selectorIxEEZZNS1_9scan_implILNS1_25lookback_scan_determinismE0ELb0ELb0ES3_N6thrust23THRUST_200600_302600_NS6detail15normal_iteratorINS9_10device_ptrIxEEEESE_x11max_functorIxExEEDaPvRmT3_T4_T5_mT6_P12ihipStream_tbENKUlT_T0_E_clISt17integral_constantIbLb1EESU_EEDaSP_SQ_EUlSP_E0_NS1_11comp_targetILNS1_3genE9ELNS1_11target_archE1100ELNS1_3gpuE3ELNS1_3repE0EEENS1_30default_config_static_selectorELNS0_4arch9wavefront6targetE1EEEvT1_
                                        ; -- End function
	.section	.AMDGPU.csdata,"",@progbits
; Kernel info:
; codeLenInByte = 0
; NumSgprs: 4
; NumVgprs: 0
; NumAgprs: 0
; TotalNumVgprs: 0
; ScratchSize: 0
; MemoryBound: 0
; FloatMode: 240
; IeeeMode: 1
; LDSByteSize: 0 bytes/workgroup (compile time only)
; SGPRBlocks: 0
; VGPRBlocks: 0
; NumSGPRsForWavesPerEU: 4
; NumVGPRsForWavesPerEU: 1
; AccumOffset: 4
; Occupancy: 8
; WaveLimiterHint : 0
; COMPUTE_PGM_RSRC2:SCRATCH_EN: 0
; COMPUTE_PGM_RSRC2:USER_SGPR: 6
; COMPUTE_PGM_RSRC2:TRAP_HANDLER: 0
; COMPUTE_PGM_RSRC2:TGID_X_EN: 1
; COMPUTE_PGM_RSRC2:TGID_Y_EN: 0
; COMPUTE_PGM_RSRC2:TGID_Z_EN: 0
; COMPUTE_PGM_RSRC2:TIDIG_COMP_CNT: 0
; COMPUTE_PGM_RSRC3_GFX90A:ACCUM_OFFSET: 0
; COMPUTE_PGM_RSRC3_GFX90A:TG_SPLIT: 0
	.section	.text._ZN7rocprim17ROCPRIM_400000_NS6detail17trampoline_kernelINS0_14default_configENS1_20scan_config_selectorIxEEZZNS1_9scan_implILNS1_25lookback_scan_determinismE0ELb0ELb0ES3_N6thrust23THRUST_200600_302600_NS6detail15normal_iteratorINS9_10device_ptrIxEEEESE_x11max_functorIxExEEDaPvRmT3_T4_T5_mT6_P12ihipStream_tbENKUlT_T0_E_clISt17integral_constantIbLb1EESU_EEDaSP_SQ_EUlSP_E0_NS1_11comp_targetILNS1_3genE8ELNS1_11target_archE1030ELNS1_3gpuE2ELNS1_3repE0EEENS1_30default_config_static_selectorELNS0_4arch9wavefront6targetE1EEEvT1_,"axG",@progbits,_ZN7rocprim17ROCPRIM_400000_NS6detail17trampoline_kernelINS0_14default_configENS1_20scan_config_selectorIxEEZZNS1_9scan_implILNS1_25lookback_scan_determinismE0ELb0ELb0ES3_N6thrust23THRUST_200600_302600_NS6detail15normal_iteratorINS9_10device_ptrIxEEEESE_x11max_functorIxExEEDaPvRmT3_T4_T5_mT6_P12ihipStream_tbENKUlT_T0_E_clISt17integral_constantIbLb1EESU_EEDaSP_SQ_EUlSP_E0_NS1_11comp_targetILNS1_3genE8ELNS1_11target_archE1030ELNS1_3gpuE2ELNS1_3repE0EEENS1_30default_config_static_selectorELNS0_4arch9wavefront6targetE1EEEvT1_,comdat
	.protected	_ZN7rocprim17ROCPRIM_400000_NS6detail17trampoline_kernelINS0_14default_configENS1_20scan_config_selectorIxEEZZNS1_9scan_implILNS1_25lookback_scan_determinismE0ELb0ELb0ES3_N6thrust23THRUST_200600_302600_NS6detail15normal_iteratorINS9_10device_ptrIxEEEESE_x11max_functorIxExEEDaPvRmT3_T4_T5_mT6_P12ihipStream_tbENKUlT_T0_E_clISt17integral_constantIbLb1EESU_EEDaSP_SQ_EUlSP_E0_NS1_11comp_targetILNS1_3genE8ELNS1_11target_archE1030ELNS1_3gpuE2ELNS1_3repE0EEENS1_30default_config_static_selectorELNS0_4arch9wavefront6targetE1EEEvT1_ ; -- Begin function _ZN7rocprim17ROCPRIM_400000_NS6detail17trampoline_kernelINS0_14default_configENS1_20scan_config_selectorIxEEZZNS1_9scan_implILNS1_25lookback_scan_determinismE0ELb0ELb0ES3_N6thrust23THRUST_200600_302600_NS6detail15normal_iteratorINS9_10device_ptrIxEEEESE_x11max_functorIxExEEDaPvRmT3_T4_T5_mT6_P12ihipStream_tbENKUlT_T0_E_clISt17integral_constantIbLb1EESU_EEDaSP_SQ_EUlSP_E0_NS1_11comp_targetILNS1_3genE8ELNS1_11target_archE1030ELNS1_3gpuE2ELNS1_3repE0EEENS1_30default_config_static_selectorELNS0_4arch9wavefront6targetE1EEEvT1_
	.globl	_ZN7rocprim17ROCPRIM_400000_NS6detail17trampoline_kernelINS0_14default_configENS1_20scan_config_selectorIxEEZZNS1_9scan_implILNS1_25lookback_scan_determinismE0ELb0ELb0ES3_N6thrust23THRUST_200600_302600_NS6detail15normal_iteratorINS9_10device_ptrIxEEEESE_x11max_functorIxExEEDaPvRmT3_T4_T5_mT6_P12ihipStream_tbENKUlT_T0_E_clISt17integral_constantIbLb1EESU_EEDaSP_SQ_EUlSP_E0_NS1_11comp_targetILNS1_3genE8ELNS1_11target_archE1030ELNS1_3gpuE2ELNS1_3repE0EEENS1_30default_config_static_selectorELNS0_4arch9wavefront6targetE1EEEvT1_
	.p2align	8
	.type	_ZN7rocprim17ROCPRIM_400000_NS6detail17trampoline_kernelINS0_14default_configENS1_20scan_config_selectorIxEEZZNS1_9scan_implILNS1_25lookback_scan_determinismE0ELb0ELb0ES3_N6thrust23THRUST_200600_302600_NS6detail15normal_iteratorINS9_10device_ptrIxEEEESE_x11max_functorIxExEEDaPvRmT3_T4_T5_mT6_P12ihipStream_tbENKUlT_T0_E_clISt17integral_constantIbLb1EESU_EEDaSP_SQ_EUlSP_E0_NS1_11comp_targetILNS1_3genE8ELNS1_11target_archE1030ELNS1_3gpuE2ELNS1_3repE0EEENS1_30default_config_static_selectorELNS0_4arch9wavefront6targetE1EEEvT1_,@function
_ZN7rocprim17ROCPRIM_400000_NS6detail17trampoline_kernelINS0_14default_configENS1_20scan_config_selectorIxEEZZNS1_9scan_implILNS1_25lookback_scan_determinismE0ELb0ELb0ES3_N6thrust23THRUST_200600_302600_NS6detail15normal_iteratorINS9_10device_ptrIxEEEESE_x11max_functorIxExEEDaPvRmT3_T4_T5_mT6_P12ihipStream_tbENKUlT_T0_E_clISt17integral_constantIbLb1EESU_EEDaSP_SQ_EUlSP_E0_NS1_11comp_targetILNS1_3genE8ELNS1_11target_archE1030ELNS1_3gpuE2ELNS1_3repE0EEENS1_30default_config_static_selectorELNS0_4arch9wavefront6targetE1EEEvT1_: ; @_ZN7rocprim17ROCPRIM_400000_NS6detail17trampoline_kernelINS0_14default_configENS1_20scan_config_selectorIxEEZZNS1_9scan_implILNS1_25lookback_scan_determinismE0ELb0ELb0ES3_N6thrust23THRUST_200600_302600_NS6detail15normal_iteratorINS9_10device_ptrIxEEEESE_x11max_functorIxExEEDaPvRmT3_T4_T5_mT6_P12ihipStream_tbENKUlT_T0_E_clISt17integral_constantIbLb1EESU_EEDaSP_SQ_EUlSP_E0_NS1_11comp_targetILNS1_3genE8ELNS1_11target_archE1030ELNS1_3gpuE2ELNS1_3repE0EEENS1_30default_config_static_selectorELNS0_4arch9wavefront6targetE1EEEvT1_
; %bb.0:
	.section	.rodata,"a",@progbits
	.p2align	6, 0x0
	.amdhsa_kernel _ZN7rocprim17ROCPRIM_400000_NS6detail17trampoline_kernelINS0_14default_configENS1_20scan_config_selectorIxEEZZNS1_9scan_implILNS1_25lookback_scan_determinismE0ELb0ELb0ES3_N6thrust23THRUST_200600_302600_NS6detail15normal_iteratorINS9_10device_ptrIxEEEESE_x11max_functorIxExEEDaPvRmT3_T4_T5_mT6_P12ihipStream_tbENKUlT_T0_E_clISt17integral_constantIbLb1EESU_EEDaSP_SQ_EUlSP_E0_NS1_11comp_targetILNS1_3genE8ELNS1_11target_archE1030ELNS1_3gpuE2ELNS1_3repE0EEENS1_30default_config_static_selectorELNS0_4arch9wavefront6targetE1EEEvT1_
		.amdhsa_group_segment_fixed_size 0
		.amdhsa_private_segment_fixed_size 0
		.amdhsa_kernarg_size 40
		.amdhsa_user_sgpr_count 6
		.amdhsa_user_sgpr_private_segment_buffer 1
		.amdhsa_user_sgpr_dispatch_ptr 0
		.amdhsa_user_sgpr_queue_ptr 0
		.amdhsa_user_sgpr_kernarg_segment_ptr 1
		.amdhsa_user_sgpr_dispatch_id 0
		.amdhsa_user_sgpr_flat_scratch_init 0
		.amdhsa_user_sgpr_kernarg_preload_length 0
		.amdhsa_user_sgpr_kernarg_preload_offset 0
		.amdhsa_user_sgpr_private_segment_size 0
		.amdhsa_uses_dynamic_stack 0
		.amdhsa_system_sgpr_private_segment_wavefront_offset 0
		.amdhsa_system_sgpr_workgroup_id_x 1
		.amdhsa_system_sgpr_workgroup_id_y 0
		.amdhsa_system_sgpr_workgroup_id_z 0
		.amdhsa_system_sgpr_workgroup_info 0
		.amdhsa_system_vgpr_workitem_id 0
		.amdhsa_next_free_vgpr 1
		.amdhsa_next_free_sgpr 0
		.amdhsa_accum_offset 4
		.amdhsa_reserve_vcc 0
		.amdhsa_reserve_flat_scratch 0
		.amdhsa_float_round_mode_32 0
		.amdhsa_float_round_mode_16_64 0
		.amdhsa_float_denorm_mode_32 3
		.amdhsa_float_denorm_mode_16_64 3
		.amdhsa_dx10_clamp 1
		.amdhsa_ieee_mode 1
		.amdhsa_fp16_overflow 0
		.amdhsa_tg_split 0
		.amdhsa_exception_fp_ieee_invalid_op 0
		.amdhsa_exception_fp_denorm_src 0
		.amdhsa_exception_fp_ieee_div_zero 0
		.amdhsa_exception_fp_ieee_overflow 0
		.amdhsa_exception_fp_ieee_underflow 0
		.amdhsa_exception_fp_ieee_inexact 0
		.amdhsa_exception_int_div_zero 0
	.end_amdhsa_kernel
	.section	.text._ZN7rocprim17ROCPRIM_400000_NS6detail17trampoline_kernelINS0_14default_configENS1_20scan_config_selectorIxEEZZNS1_9scan_implILNS1_25lookback_scan_determinismE0ELb0ELb0ES3_N6thrust23THRUST_200600_302600_NS6detail15normal_iteratorINS9_10device_ptrIxEEEESE_x11max_functorIxExEEDaPvRmT3_T4_T5_mT6_P12ihipStream_tbENKUlT_T0_E_clISt17integral_constantIbLb1EESU_EEDaSP_SQ_EUlSP_E0_NS1_11comp_targetILNS1_3genE8ELNS1_11target_archE1030ELNS1_3gpuE2ELNS1_3repE0EEENS1_30default_config_static_selectorELNS0_4arch9wavefront6targetE1EEEvT1_,"axG",@progbits,_ZN7rocprim17ROCPRIM_400000_NS6detail17trampoline_kernelINS0_14default_configENS1_20scan_config_selectorIxEEZZNS1_9scan_implILNS1_25lookback_scan_determinismE0ELb0ELb0ES3_N6thrust23THRUST_200600_302600_NS6detail15normal_iteratorINS9_10device_ptrIxEEEESE_x11max_functorIxExEEDaPvRmT3_T4_T5_mT6_P12ihipStream_tbENKUlT_T0_E_clISt17integral_constantIbLb1EESU_EEDaSP_SQ_EUlSP_E0_NS1_11comp_targetILNS1_3genE8ELNS1_11target_archE1030ELNS1_3gpuE2ELNS1_3repE0EEENS1_30default_config_static_selectorELNS0_4arch9wavefront6targetE1EEEvT1_,comdat
.Lfunc_end2593:
	.size	_ZN7rocprim17ROCPRIM_400000_NS6detail17trampoline_kernelINS0_14default_configENS1_20scan_config_selectorIxEEZZNS1_9scan_implILNS1_25lookback_scan_determinismE0ELb0ELb0ES3_N6thrust23THRUST_200600_302600_NS6detail15normal_iteratorINS9_10device_ptrIxEEEESE_x11max_functorIxExEEDaPvRmT3_T4_T5_mT6_P12ihipStream_tbENKUlT_T0_E_clISt17integral_constantIbLb1EESU_EEDaSP_SQ_EUlSP_E0_NS1_11comp_targetILNS1_3genE8ELNS1_11target_archE1030ELNS1_3gpuE2ELNS1_3repE0EEENS1_30default_config_static_selectorELNS0_4arch9wavefront6targetE1EEEvT1_, .Lfunc_end2593-_ZN7rocprim17ROCPRIM_400000_NS6detail17trampoline_kernelINS0_14default_configENS1_20scan_config_selectorIxEEZZNS1_9scan_implILNS1_25lookback_scan_determinismE0ELb0ELb0ES3_N6thrust23THRUST_200600_302600_NS6detail15normal_iteratorINS9_10device_ptrIxEEEESE_x11max_functorIxExEEDaPvRmT3_T4_T5_mT6_P12ihipStream_tbENKUlT_T0_E_clISt17integral_constantIbLb1EESU_EEDaSP_SQ_EUlSP_E0_NS1_11comp_targetILNS1_3genE8ELNS1_11target_archE1030ELNS1_3gpuE2ELNS1_3repE0EEENS1_30default_config_static_selectorELNS0_4arch9wavefront6targetE1EEEvT1_
                                        ; -- End function
	.section	.AMDGPU.csdata,"",@progbits
; Kernel info:
; codeLenInByte = 0
; NumSgprs: 4
; NumVgprs: 0
; NumAgprs: 0
; TotalNumVgprs: 0
; ScratchSize: 0
; MemoryBound: 0
; FloatMode: 240
; IeeeMode: 1
; LDSByteSize: 0 bytes/workgroup (compile time only)
; SGPRBlocks: 0
; VGPRBlocks: 0
; NumSGPRsForWavesPerEU: 4
; NumVGPRsForWavesPerEU: 1
; AccumOffset: 4
; Occupancy: 8
; WaveLimiterHint : 0
; COMPUTE_PGM_RSRC2:SCRATCH_EN: 0
; COMPUTE_PGM_RSRC2:USER_SGPR: 6
; COMPUTE_PGM_RSRC2:TRAP_HANDLER: 0
; COMPUTE_PGM_RSRC2:TGID_X_EN: 1
; COMPUTE_PGM_RSRC2:TGID_Y_EN: 0
; COMPUTE_PGM_RSRC2:TGID_Z_EN: 0
; COMPUTE_PGM_RSRC2:TIDIG_COMP_CNT: 0
; COMPUTE_PGM_RSRC3_GFX90A:ACCUM_OFFSET: 0
; COMPUTE_PGM_RSRC3_GFX90A:TG_SPLIT: 0
	.section	.text._ZN7rocprim17ROCPRIM_400000_NS6detail17trampoline_kernelINS0_14default_configENS1_20scan_config_selectorIxEEZZNS1_9scan_implILNS1_25lookback_scan_determinismE0ELb0ELb0ES3_N6thrust23THRUST_200600_302600_NS6detail15normal_iteratorINS9_10device_ptrIxEEEESE_x11max_functorIxExEEDaPvRmT3_T4_T5_mT6_P12ihipStream_tbENKUlT_T0_E_clISt17integral_constantIbLb1EEST_IbLb0EEEEDaSP_SQ_EUlSP_E_NS1_11comp_targetILNS1_3genE0ELNS1_11target_archE4294967295ELNS1_3gpuE0ELNS1_3repE0EEENS1_30default_config_static_selectorELNS0_4arch9wavefront6targetE1EEEvT1_,"axG",@progbits,_ZN7rocprim17ROCPRIM_400000_NS6detail17trampoline_kernelINS0_14default_configENS1_20scan_config_selectorIxEEZZNS1_9scan_implILNS1_25lookback_scan_determinismE0ELb0ELb0ES3_N6thrust23THRUST_200600_302600_NS6detail15normal_iteratorINS9_10device_ptrIxEEEESE_x11max_functorIxExEEDaPvRmT3_T4_T5_mT6_P12ihipStream_tbENKUlT_T0_E_clISt17integral_constantIbLb1EEST_IbLb0EEEEDaSP_SQ_EUlSP_E_NS1_11comp_targetILNS1_3genE0ELNS1_11target_archE4294967295ELNS1_3gpuE0ELNS1_3repE0EEENS1_30default_config_static_selectorELNS0_4arch9wavefront6targetE1EEEvT1_,comdat
	.protected	_ZN7rocprim17ROCPRIM_400000_NS6detail17trampoline_kernelINS0_14default_configENS1_20scan_config_selectorIxEEZZNS1_9scan_implILNS1_25lookback_scan_determinismE0ELb0ELb0ES3_N6thrust23THRUST_200600_302600_NS6detail15normal_iteratorINS9_10device_ptrIxEEEESE_x11max_functorIxExEEDaPvRmT3_T4_T5_mT6_P12ihipStream_tbENKUlT_T0_E_clISt17integral_constantIbLb1EEST_IbLb0EEEEDaSP_SQ_EUlSP_E_NS1_11comp_targetILNS1_3genE0ELNS1_11target_archE4294967295ELNS1_3gpuE0ELNS1_3repE0EEENS1_30default_config_static_selectorELNS0_4arch9wavefront6targetE1EEEvT1_ ; -- Begin function _ZN7rocprim17ROCPRIM_400000_NS6detail17trampoline_kernelINS0_14default_configENS1_20scan_config_selectorIxEEZZNS1_9scan_implILNS1_25lookback_scan_determinismE0ELb0ELb0ES3_N6thrust23THRUST_200600_302600_NS6detail15normal_iteratorINS9_10device_ptrIxEEEESE_x11max_functorIxExEEDaPvRmT3_T4_T5_mT6_P12ihipStream_tbENKUlT_T0_E_clISt17integral_constantIbLb1EEST_IbLb0EEEEDaSP_SQ_EUlSP_E_NS1_11comp_targetILNS1_3genE0ELNS1_11target_archE4294967295ELNS1_3gpuE0ELNS1_3repE0EEENS1_30default_config_static_selectorELNS0_4arch9wavefront6targetE1EEEvT1_
	.globl	_ZN7rocprim17ROCPRIM_400000_NS6detail17trampoline_kernelINS0_14default_configENS1_20scan_config_selectorIxEEZZNS1_9scan_implILNS1_25lookback_scan_determinismE0ELb0ELb0ES3_N6thrust23THRUST_200600_302600_NS6detail15normal_iteratorINS9_10device_ptrIxEEEESE_x11max_functorIxExEEDaPvRmT3_T4_T5_mT6_P12ihipStream_tbENKUlT_T0_E_clISt17integral_constantIbLb1EEST_IbLb0EEEEDaSP_SQ_EUlSP_E_NS1_11comp_targetILNS1_3genE0ELNS1_11target_archE4294967295ELNS1_3gpuE0ELNS1_3repE0EEENS1_30default_config_static_selectorELNS0_4arch9wavefront6targetE1EEEvT1_
	.p2align	8
	.type	_ZN7rocprim17ROCPRIM_400000_NS6detail17trampoline_kernelINS0_14default_configENS1_20scan_config_selectorIxEEZZNS1_9scan_implILNS1_25lookback_scan_determinismE0ELb0ELb0ES3_N6thrust23THRUST_200600_302600_NS6detail15normal_iteratorINS9_10device_ptrIxEEEESE_x11max_functorIxExEEDaPvRmT3_T4_T5_mT6_P12ihipStream_tbENKUlT_T0_E_clISt17integral_constantIbLb1EEST_IbLb0EEEEDaSP_SQ_EUlSP_E_NS1_11comp_targetILNS1_3genE0ELNS1_11target_archE4294967295ELNS1_3gpuE0ELNS1_3repE0EEENS1_30default_config_static_selectorELNS0_4arch9wavefront6targetE1EEEvT1_,@function
_ZN7rocprim17ROCPRIM_400000_NS6detail17trampoline_kernelINS0_14default_configENS1_20scan_config_selectorIxEEZZNS1_9scan_implILNS1_25lookback_scan_determinismE0ELb0ELb0ES3_N6thrust23THRUST_200600_302600_NS6detail15normal_iteratorINS9_10device_ptrIxEEEESE_x11max_functorIxExEEDaPvRmT3_T4_T5_mT6_P12ihipStream_tbENKUlT_T0_E_clISt17integral_constantIbLb1EEST_IbLb0EEEEDaSP_SQ_EUlSP_E_NS1_11comp_targetILNS1_3genE0ELNS1_11target_archE4294967295ELNS1_3gpuE0ELNS1_3repE0EEENS1_30default_config_static_selectorELNS0_4arch9wavefront6targetE1EEEvT1_: ; @_ZN7rocprim17ROCPRIM_400000_NS6detail17trampoline_kernelINS0_14default_configENS1_20scan_config_selectorIxEEZZNS1_9scan_implILNS1_25lookback_scan_determinismE0ELb0ELb0ES3_N6thrust23THRUST_200600_302600_NS6detail15normal_iteratorINS9_10device_ptrIxEEEESE_x11max_functorIxExEEDaPvRmT3_T4_T5_mT6_P12ihipStream_tbENKUlT_T0_E_clISt17integral_constantIbLb1EEST_IbLb0EEEEDaSP_SQ_EUlSP_E_NS1_11comp_targetILNS1_3genE0ELNS1_11target_archE4294967295ELNS1_3gpuE0ELNS1_3repE0EEENS1_30default_config_static_selectorELNS0_4arch9wavefront6targetE1EEEvT1_
; %bb.0:
	.section	.rodata,"a",@progbits
	.p2align	6, 0x0
	.amdhsa_kernel _ZN7rocprim17ROCPRIM_400000_NS6detail17trampoline_kernelINS0_14default_configENS1_20scan_config_selectorIxEEZZNS1_9scan_implILNS1_25lookback_scan_determinismE0ELb0ELb0ES3_N6thrust23THRUST_200600_302600_NS6detail15normal_iteratorINS9_10device_ptrIxEEEESE_x11max_functorIxExEEDaPvRmT3_T4_T5_mT6_P12ihipStream_tbENKUlT_T0_E_clISt17integral_constantIbLb1EEST_IbLb0EEEEDaSP_SQ_EUlSP_E_NS1_11comp_targetILNS1_3genE0ELNS1_11target_archE4294967295ELNS1_3gpuE0ELNS1_3repE0EEENS1_30default_config_static_selectorELNS0_4arch9wavefront6targetE1EEEvT1_
		.amdhsa_group_segment_fixed_size 0
		.amdhsa_private_segment_fixed_size 0
		.amdhsa_kernarg_size 104
		.amdhsa_user_sgpr_count 6
		.amdhsa_user_sgpr_private_segment_buffer 1
		.amdhsa_user_sgpr_dispatch_ptr 0
		.amdhsa_user_sgpr_queue_ptr 0
		.amdhsa_user_sgpr_kernarg_segment_ptr 1
		.amdhsa_user_sgpr_dispatch_id 0
		.amdhsa_user_sgpr_flat_scratch_init 0
		.amdhsa_user_sgpr_kernarg_preload_length 0
		.amdhsa_user_sgpr_kernarg_preload_offset 0
		.amdhsa_user_sgpr_private_segment_size 0
		.amdhsa_uses_dynamic_stack 0
		.amdhsa_system_sgpr_private_segment_wavefront_offset 0
		.amdhsa_system_sgpr_workgroup_id_x 1
		.amdhsa_system_sgpr_workgroup_id_y 0
		.amdhsa_system_sgpr_workgroup_id_z 0
		.amdhsa_system_sgpr_workgroup_info 0
		.amdhsa_system_vgpr_workitem_id 0
		.amdhsa_next_free_vgpr 1
		.amdhsa_next_free_sgpr 0
		.amdhsa_accum_offset 4
		.amdhsa_reserve_vcc 0
		.amdhsa_reserve_flat_scratch 0
		.amdhsa_float_round_mode_32 0
		.amdhsa_float_round_mode_16_64 0
		.amdhsa_float_denorm_mode_32 3
		.amdhsa_float_denorm_mode_16_64 3
		.amdhsa_dx10_clamp 1
		.amdhsa_ieee_mode 1
		.amdhsa_fp16_overflow 0
		.amdhsa_tg_split 0
		.amdhsa_exception_fp_ieee_invalid_op 0
		.amdhsa_exception_fp_denorm_src 0
		.amdhsa_exception_fp_ieee_div_zero 0
		.amdhsa_exception_fp_ieee_overflow 0
		.amdhsa_exception_fp_ieee_underflow 0
		.amdhsa_exception_fp_ieee_inexact 0
		.amdhsa_exception_int_div_zero 0
	.end_amdhsa_kernel
	.section	.text._ZN7rocprim17ROCPRIM_400000_NS6detail17trampoline_kernelINS0_14default_configENS1_20scan_config_selectorIxEEZZNS1_9scan_implILNS1_25lookback_scan_determinismE0ELb0ELb0ES3_N6thrust23THRUST_200600_302600_NS6detail15normal_iteratorINS9_10device_ptrIxEEEESE_x11max_functorIxExEEDaPvRmT3_T4_T5_mT6_P12ihipStream_tbENKUlT_T0_E_clISt17integral_constantIbLb1EEST_IbLb0EEEEDaSP_SQ_EUlSP_E_NS1_11comp_targetILNS1_3genE0ELNS1_11target_archE4294967295ELNS1_3gpuE0ELNS1_3repE0EEENS1_30default_config_static_selectorELNS0_4arch9wavefront6targetE1EEEvT1_,"axG",@progbits,_ZN7rocprim17ROCPRIM_400000_NS6detail17trampoline_kernelINS0_14default_configENS1_20scan_config_selectorIxEEZZNS1_9scan_implILNS1_25lookback_scan_determinismE0ELb0ELb0ES3_N6thrust23THRUST_200600_302600_NS6detail15normal_iteratorINS9_10device_ptrIxEEEESE_x11max_functorIxExEEDaPvRmT3_T4_T5_mT6_P12ihipStream_tbENKUlT_T0_E_clISt17integral_constantIbLb1EEST_IbLb0EEEEDaSP_SQ_EUlSP_E_NS1_11comp_targetILNS1_3genE0ELNS1_11target_archE4294967295ELNS1_3gpuE0ELNS1_3repE0EEENS1_30default_config_static_selectorELNS0_4arch9wavefront6targetE1EEEvT1_,comdat
.Lfunc_end2594:
	.size	_ZN7rocprim17ROCPRIM_400000_NS6detail17trampoline_kernelINS0_14default_configENS1_20scan_config_selectorIxEEZZNS1_9scan_implILNS1_25lookback_scan_determinismE0ELb0ELb0ES3_N6thrust23THRUST_200600_302600_NS6detail15normal_iteratorINS9_10device_ptrIxEEEESE_x11max_functorIxExEEDaPvRmT3_T4_T5_mT6_P12ihipStream_tbENKUlT_T0_E_clISt17integral_constantIbLb1EEST_IbLb0EEEEDaSP_SQ_EUlSP_E_NS1_11comp_targetILNS1_3genE0ELNS1_11target_archE4294967295ELNS1_3gpuE0ELNS1_3repE0EEENS1_30default_config_static_selectorELNS0_4arch9wavefront6targetE1EEEvT1_, .Lfunc_end2594-_ZN7rocprim17ROCPRIM_400000_NS6detail17trampoline_kernelINS0_14default_configENS1_20scan_config_selectorIxEEZZNS1_9scan_implILNS1_25lookback_scan_determinismE0ELb0ELb0ES3_N6thrust23THRUST_200600_302600_NS6detail15normal_iteratorINS9_10device_ptrIxEEEESE_x11max_functorIxExEEDaPvRmT3_T4_T5_mT6_P12ihipStream_tbENKUlT_T0_E_clISt17integral_constantIbLb1EEST_IbLb0EEEEDaSP_SQ_EUlSP_E_NS1_11comp_targetILNS1_3genE0ELNS1_11target_archE4294967295ELNS1_3gpuE0ELNS1_3repE0EEENS1_30default_config_static_selectorELNS0_4arch9wavefront6targetE1EEEvT1_
                                        ; -- End function
	.section	.AMDGPU.csdata,"",@progbits
; Kernel info:
; codeLenInByte = 0
; NumSgprs: 4
; NumVgprs: 0
; NumAgprs: 0
; TotalNumVgprs: 0
; ScratchSize: 0
; MemoryBound: 0
; FloatMode: 240
; IeeeMode: 1
; LDSByteSize: 0 bytes/workgroup (compile time only)
; SGPRBlocks: 0
; VGPRBlocks: 0
; NumSGPRsForWavesPerEU: 4
; NumVGPRsForWavesPerEU: 1
; AccumOffset: 4
; Occupancy: 8
; WaveLimiterHint : 0
; COMPUTE_PGM_RSRC2:SCRATCH_EN: 0
; COMPUTE_PGM_RSRC2:USER_SGPR: 6
; COMPUTE_PGM_RSRC2:TRAP_HANDLER: 0
; COMPUTE_PGM_RSRC2:TGID_X_EN: 1
; COMPUTE_PGM_RSRC2:TGID_Y_EN: 0
; COMPUTE_PGM_RSRC2:TGID_Z_EN: 0
; COMPUTE_PGM_RSRC2:TIDIG_COMP_CNT: 0
; COMPUTE_PGM_RSRC3_GFX90A:ACCUM_OFFSET: 0
; COMPUTE_PGM_RSRC3_GFX90A:TG_SPLIT: 0
	.section	.text._ZN7rocprim17ROCPRIM_400000_NS6detail17trampoline_kernelINS0_14default_configENS1_20scan_config_selectorIxEEZZNS1_9scan_implILNS1_25lookback_scan_determinismE0ELb0ELb0ES3_N6thrust23THRUST_200600_302600_NS6detail15normal_iteratorINS9_10device_ptrIxEEEESE_x11max_functorIxExEEDaPvRmT3_T4_T5_mT6_P12ihipStream_tbENKUlT_T0_E_clISt17integral_constantIbLb1EEST_IbLb0EEEEDaSP_SQ_EUlSP_E_NS1_11comp_targetILNS1_3genE5ELNS1_11target_archE942ELNS1_3gpuE9ELNS1_3repE0EEENS1_30default_config_static_selectorELNS0_4arch9wavefront6targetE1EEEvT1_,"axG",@progbits,_ZN7rocprim17ROCPRIM_400000_NS6detail17trampoline_kernelINS0_14default_configENS1_20scan_config_selectorIxEEZZNS1_9scan_implILNS1_25lookback_scan_determinismE0ELb0ELb0ES3_N6thrust23THRUST_200600_302600_NS6detail15normal_iteratorINS9_10device_ptrIxEEEESE_x11max_functorIxExEEDaPvRmT3_T4_T5_mT6_P12ihipStream_tbENKUlT_T0_E_clISt17integral_constantIbLb1EEST_IbLb0EEEEDaSP_SQ_EUlSP_E_NS1_11comp_targetILNS1_3genE5ELNS1_11target_archE942ELNS1_3gpuE9ELNS1_3repE0EEENS1_30default_config_static_selectorELNS0_4arch9wavefront6targetE1EEEvT1_,comdat
	.protected	_ZN7rocprim17ROCPRIM_400000_NS6detail17trampoline_kernelINS0_14default_configENS1_20scan_config_selectorIxEEZZNS1_9scan_implILNS1_25lookback_scan_determinismE0ELb0ELb0ES3_N6thrust23THRUST_200600_302600_NS6detail15normal_iteratorINS9_10device_ptrIxEEEESE_x11max_functorIxExEEDaPvRmT3_T4_T5_mT6_P12ihipStream_tbENKUlT_T0_E_clISt17integral_constantIbLb1EEST_IbLb0EEEEDaSP_SQ_EUlSP_E_NS1_11comp_targetILNS1_3genE5ELNS1_11target_archE942ELNS1_3gpuE9ELNS1_3repE0EEENS1_30default_config_static_selectorELNS0_4arch9wavefront6targetE1EEEvT1_ ; -- Begin function _ZN7rocprim17ROCPRIM_400000_NS6detail17trampoline_kernelINS0_14default_configENS1_20scan_config_selectorIxEEZZNS1_9scan_implILNS1_25lookback_scan_determinismE0ELb0ELb0ES3_N6thrust23THRUST_200600_302600_NS6detail15normal_iteratorINS9_10device_ptrIxEEEESE_x11max_functorIxExEEDaPvRmT3_T4_T5_mT6_P12ihipStream_tbENKUlT_T0_E_clISt17integral_constantIbLb1EEST_IbLb0EEEEDaSP_SQ_EUlSP_E_NS1_11comp_targetILNS1_3genE5ELNS1_11target_archE942ELNS1_3gpuE9ELNS1_3repE0EEENS1_30default_config_static_selectorELNS0_4arch9wavefront6targetE1EEEvT1_
	.globl	_ZN7rocprim17ROCPRIM_400000_NS6detail17trampoline_kernelINS0_14default_configENS1_20scan_config_selectorIxEEZZNS1_9scan_implILNS1_25lookback_scan_determinismE0ELb0ELb0ES3_N6thrust23THRUST_200600_302600_NS6detail15normal_iteratorINS9_10device_ptrIxEEEESE_x11max_functorIxExEEDaPvRmT3_T4_T5_mT6_P12ihipStream_tbENKUlT_T0_E_clISt17integral_constantIbLb1EEST_IbLb0EEEEDaSP_SQ_EUlSP_E_NS1_11comp_targetILNS1_3genE5ELNS1_11target_archE942ELNS1_3gpuE9ELNS1_3repE0EEENS1_30default_config_static_selectorELNS0_4arch9wavefront6targetE1EEEvT1_
	.p2align	8
	.type	_ZN7rocprim17ROCPRIM_400000_NS6detail17trampoline_kernelINS0_14default_configENS1_20scan_config_selectorIxEEZZNS1_9scan_implILNS1_25lookback_scan_determinismE0ELb0ELb0ES3_N6thrust23THRUST_200600_302600_NS6detail15normal_iteratorINS9_10device_ptrIxEEEESE_x11max_functorIxExEEDaPvRmT3_T4_T5_mT6_P12ihipStream_tbENKUlT_T0_E_clISt17integral_constantIbLb1EEST_IbLb0EEEEDaSP_SQ_EUlSP_E_NS1_11comp_targetILNS1_3genE5ELNS1_11target_archE942ELNS1_3gpuE9ELNS1_3repE0EEENS1_30default_config_static_selectorELNS0_4arch9wavefront6targetE1EEEvT1_,@function
_ZN7rocprim17ROCPRIM_400000_NS6detail17trampoline_kernelINS0_14default_configENS1_20scan_config_selectorIxEEZZNS1_9scan_implILNS1_25lookback_scan_determinismE0ELb0ELb0ES3_N6thrust23THRUST_200600_302600_NS6detail15normal_iteratorINS9_10device_ptrIxEEEESE_x11max_functorIxExEEDaPvRmT3_T4_T5_mT6_P12ihipStream_tbENKUlT_T0_E_clISt17integral_constantIbLb1EEST_IbLb0EEEEDaSP_SQ_EUlSP_E_NS1_11comp_targetILNS1_3genE5ELNS1_11target_archE942ELNS1_3gpuE9ELNS1_3repE0EEENS1_30default_config_static_selectorELNS0_4arch9wavefront6targetE1EEEvT1_: ; @_ZN7rocprim17ROCPRIM_400000_NS6detail17trampoline_kernelINS0_14default_configENS1_20scan_config_selectorIxEEZZNS1_9scan_implILNS1_25lookback_scan_determinismE0ELb0ELb0ES3_N6thrust23THRUST_200600_302600_NS6detail15normal_iteratorINS9_10device_ptrIxEEEESE_x11max_functorIxExEEDaPvRmT3_T4_T5_mT6_P12ihipStream_tbENKUlT_T0_E_clISt17integral_constantIbLb1EEST_IbLb0EEEEDaSP_SQ_EUlSP_E_NS1_11comp_targetILNS1_3genE5ELNS1_11target_archE942ELNS1_3gpuE9ELNS1_3repE0EEENS1_30default_config_static_selectorELNS0_4arch9wavefront6targetE1EEEvT1_
; %bb.0:
	.section	.rodata,"a",@progbits
	.p2align	6, 0x0
	.amdhsa_kernel _ZN7rocprim17ROCPRIM_400000_NS6detail17trampoline_kernelINS0_14default_configENS1_20scan_config_selectorIxEEZZNS1_9scan_implILNS1_25lookback_scan_determinismE0ELb0ELb0ES3_N6thrust23THRUST_200600_302600_NS6detail15normal_iteratorINS9_10device_ptrIxEEEESE_x11max_functorIxExEEDaPvRmT3_T4_T5_mT6_P12ihipStream_tbENKUlT_T0_E_clISt17integral_constantIbLb1EEST_IbLb0EEEEDaSP_SQ_EUlSP_E_NS1_11comp_targetILNS1_3genE5ELNS1_11target_archE942ELNS1_3gpuE9ELNS1_3repE0EEENS1_30default_config_static_selectorELNS0_4arch9wavefront6targetE1EEEvT1_
		.amdhsa_group_segment_fixed_size 0
		.amdhsa_private_segment_fixed_size 0
		.amdhsa_kernarg_size 104
		.amdhsa_user_sgpr_count 6
		.amdhsa_user_sgpr_private_segment_buffer 1
		.amdhsa_user_sgpr_dispatch_ptr 0
		.amdhsa_user_sgpr_queue_ptr 0
		.amdhsa_user_sgpr_kernarg_segment_ptr 1
		.amdhsa_user_sgpr_dispatch_id 0
		.amdhsa_user_sgpr_flat_scratch_init 0
		.amdhsa_user_sgpr_kernarg_preload_length 0
		.amdhsa_user_sgpr_kernarg_preload_offset 0
		.amdhsa_user_sgpr_private_segment_size 0
		.amdhsa_uses_dynamic_stack 0
		.amdhsa_system_sgpr_private_segment_wavefront_offset 0
		.amdhsa_system_sgpr_workgroup_id_x 1
		.amdhsa_system_sgpr_workgroup_id_y 0
		.amdhsa_system_sgpr_workgroup_id_z 0
		.amdhsa_system_sgpr_workgroup_info 0
		.amdhsa_system_vgpr_workitem_id 0
		.amdhsa_next_free_vgpr 1
		.amdhsa_next_free_sgpr 0
		.amdhsa_accum_offset 4
		.amdhsa_reserve_vcc 0
		.amdhsa_reserve_flat_scratch 0
		.amdhsa_float_round_mode_32 0
		.amdhsa_float_round_mode_16_64 0
		.amdhsa_float_denorm_mode_32 3
		.amdhsa_float_denorm_mode_16_64 3
		.amdhsa_dx10_clamp 1
		.amdhsa_ieee_mode 1
		.amdhsa_fp16_overflow 0
		.amdhsa_tg_split 0
		.amdhsa_exception_fp_ieee_invalid_op 0
		.amdhsa_exception_fp_denorm_src 0
		.amdhsa_exception_fp_ieee_div_zero 0
		.amdhsa_exception_fp_ieee_overflow 0
		.amdhsa_exception_fp_ieee_underflow 0
		.amdhsa_exception_fp_ieee_inexact 0
		.amdhsa_exception_int_div_zero 0
	.end_amdhsa_kernel
	.section	.text._ZN7rocprim17ROCPRIM_400000_NS6detail17trampoline_kernelINS0_14default_configENS1_20scan_config_selectorIxEEZZNS1_9scan_implILNS1_25lookback_scan_determinismE0ELb0ELb0ES3_N6thrust23THRUST_200600_302600_NS6detail15normal_iteratorINS9_10device_ptrIxEEEESE_x11max_functorIxExEEDaPvRmT3_T4_T5_mT6_P12ihipStream_tbENKUlT_T0_E_clISt17integral_constantIbLb1EEST_IbLb0EEEEDaSP_SQ_EUlSP_E_NS1_11comp_targetILNS1_3genE5ELNS1_11target_archE942ELNS1_3gpuE9ELNS1_3repE0EEENS1_30default_config_static_selectorELNS0_4arch9wavefront6targetE1EEEvT1_,"axG",@progbits,_ZN7rocprim17ROCPRIM_400000_NS6detail17trampoline_kernelINS0_14default_configENS1_20scan_config_selectorIxEEZZNS1_9scan_implILNS1_25lookback_scan_determinismE0ELb0ELb0ES3_N6thrust23THRUST_200600_302600_NS6detail15normal_iteratorINS9_10device_ptrIxEEEESE_x11max_functorIxExEEDaPvRmT3_T4_T5_mT6_P12ihipStream_tbENKUlT_T0_E_clISt17integral_constantIbLb1EEST_IbLb0EEEEDaSP_SQ_EUlSP_E_NS1_11comp_targetILNS1_3genE5ELNS1_11target_archE942ELNS1_3gpuE9ELNS1_3repE0EEENS1_30default_config_static_selectorELNS0_4arch9wavefront6targetE1EEEvT1_,comdat
.Lfunc_end2595:
	.size	_ZN7rocprim17ROCPRIM_400000_NS6detail17trampoline_kernelINS0_14default_configENS1_20scan_config_selectorIxEEZZNS1_9scan_implILNS1_25lookback_scan_determinismE0ELb0ELb0ES3_N6thrust23THRUST_200600_302600_NS6detail15normal_iteratorINS9_10device_ptrIxEEEESE_x11max_functorIxExEEDaPvRmT3_T4_T5_mT6_P12ihipStream_tbENKUlT_T0_E_clISt17integral_constantIbLb1EEST_IbLb0EEEEDaSP_SQ_EUlSP_E_NS1_11comp_targetILNS1_3genE5ELNS1_11target_archE942ELNS1_3gpuE9ELNS1_3repE0EEENS1_30default_config_static_selectorELNS0_4arch9wavefront6targetE1EEEvT1_, .Lfunc_end2595-_ZN7rocprim17ROCPRIM_400000_NS6detail17trampoline_kernelINS0_14default_configENS1_20scan_config_selectorIxEEZZNS1_9scan_implILNS1_25lookback_scan_determinismE0ELb0ELb0ES3_N6thrust23THRUST_200600_302600_NS6detail15normal_iteratorINS9_10device_ptrIxEEEESE_x11max_functorIxExEEDaPvRmT3_T4_T5_mT6_P12ihipStream_tbENKUlT_T0_E_clISt17integral_constantIbLb1EEST_IbLb0EEEEDaSP_SQ_EUlSP_E_NS1_11comp_targetILNS1_3genE5ELNS1_11target_archE942ELNS1_3gpuE9ELNS1_3repE0EEENS1_30default_config_static_selectorELNS0_4arch9wavefront6targetE1EEEvT1_
                                        ; -- End function
	.section	.AMDGPU.csdata,"",@progbits
; Kernel info:
; codeLenInByte = 0
; NumSgprs: 4
; NumVgprs: 0
; NumAgprs: 0
; TotalNumVgprs: 0
; ScratchSize: 0
; MemoryBound: 0
; FloatMode: 240
; IeeeMode: 1
; LDSByteSize: 0 bytes/workgroup (compile time only)
; SGPRBlocks: 0
; VGPRBlocks: 0
; NumSGPRsForWavesPerEU: 4
; NumVGPRsForWavesPerEU: 1
; AccumOffset: 4
; Occupancy: 8
; WaveLimiterHint : 0
; COMPUTE_PGM_RSRC2:SCRATCH_EN: 0
; COMPUTE_PGM_RSRC2:USER_SGPR: 6
; COMPUTE_PGM_RSRC2:TRAP_HANDLER: 0
; COMPUTE_PGM_RSRC2:TGID_X_EN: 1
; COMPUTE_PGM_RSRC2:TGID_Y_EN: 0
; COMPUTE_PGM_RSRC2:TGID_Z_EN: 0
; COMPUTE_PGM_RSRC2:TIDIG_COMP_CNT: 0
; COMPUTE_PGM_RSRC3_GFX90A:ACCUM_OFFSET: 0
; COMPUTE_PGM_RSRC3_GFX90A:TG_SPLIT: 0
	.section	.text._ZN7rocprim17ROCPRIM_400000_NS6detail17trampoline_kernelINS0_14default_configENS1_20scan_config_selectorIxEEZZNS1_9scan_implILNS1_25lookback_scan_determinismE0ELb0ELb0ES3_N6thrust23THRUST_200600_302600_NS6detail15normal_iteratorINS9_10device_ptrIxEEEESE_x11max_functorIxExEEDaPvRmT3_T4_T5_mT6_P12ihipStream_tbENKUlT_T0_E_clISt17integral_constantIbLb1EEST_IbLb0EEEEDaSP_SQ_EUlSP_E_NS1_11comp_targetILNS1_3genE4ELNS1_11target_archE910ELNS1_3gpuE8ELNS1_3repE0EEENS1_30default_config_static_selectorELNS0_4arch9wavefront6targetE1EEEvT1_,"axG",@progbits,_ZN7rocprim17ROCPRIM_400000_NS6detail17trampoline_kernelINS0_14default_configENS1_20scan_config_selectorIxEEZZNS1_9scan_implILNS1_25lookback_scan_determinismE0ELb0ELb0ES3_N6thrust23THRUST_200600_302600_NS6detail15normal_iteratorINS9_10device_ptrIxEEEESE_x11max_functorIxExEEDaPvRmT3_T4_T5_mT6_P12ihipStream_tbENKUlT_T0_E_clISt17integral_constantIbLb1EEST_IbLb0EEEEDaSP_SQ_EUlSP_E_NS1_11comp_targetILNS1_3genE4ELNS1_11target_archE910ELNS1_3gpuE8ELNS1_3repE0EEENS1_30default_config_static_selectorELNS0_4arch9wavefront6targetE1EEEvT1_,comdat
	.protected	_ZN7rocprim17ROCPRIM_400000_NS6detail17trampoline_kernelINS0_14default_configENS1_20scan_config_selectorIxEEZZNS1_9scan_implILNS1_25lookback_scan_determinismE0ELb0ELb0ES3_N6thrust23THRUST_200600_302600_NS6detail15normal_iteratorINS9_10device_ptrIxEEEESE_x11max_functorIxExEEDaPvRmT3_T4_T5_mT6_P12ihipStream_tbENKUlT_T0_E_clISt17integral_constantIbLb1EEST_IbLb0EEEEDaSP_SQ_EUlSP_E_NS1_11comp_targetILNS1_3genE4ELNS1_11target_archE910ELNS1_3gpuE8ELNS1_3repE0EEENS1_30default_config_static_selectorELNS0_4arch9wavefront6targetE1EEEvT1_ ; -- Begin function _ZN7rocprim17ROCPRIM_400000_NS6detail17trampoline_kernelINS0_14default_configENS1_20scan_config_selectorIxEEZZNS1_9scan_implILNS1_25lookback_scan_determinismE0ELb0ELb0ES3_N6thrust23THRUST_200600_302600_NS6detail15normal_iteratorINS9_10device_ptrIxEEEESE_x11max_functorIxExEEDaPvRmT3_T4_T5_mT6_P12ihipStream_tbENKUlT_T0_E_clISt17integral_constantIbLb1EEST_IbLb0EEEEDaSP_SQ_EUlSP_E_NS1_11comp_targetILNS1_3genE4ELNS1_11target_archE910ELNS1_3gpuE8ELNS1_3repE0EEENS1_30default_config_static_selectorELNS0_4arch9wavefront6targetE1EEEvT1_
	.globl	_ZN7rocprim17ROCPRIM_400000_NS6detail17trampoline_kernelINS0_14default_configENS1_20scan_config_selectorIxEEZZNS1_9scan_implILNS1_25lookback_scan_determinismE0ELb0ELb0ES3_N6thrust23THRUST_200600_302600_NS6detail15normal_iteratorINS9_10device_ptrIxEEEESE_x11max_functorIxExEEDaPvRmT3_T4_T5_mT6_P12ihipStream_tbENKUlT_T0_E_clISt17integral_constantIbLb1EEST_IbLb0EEEEDaSP_SQ_EUlSP_E_NS1_11comp_targetILNS1_3genE4ELNS1_11target_archE910ELNS1_3gpuE8ELNS1_3repE0EEENS1_30default_config_static_selectorELNS0_4arch9wavefront6targetE1EEEvT1_
	.p2align	8
	.type	_ZN7rocprim17ROCPRIM_400000_NS6detail17trampoline_kernelINS0_14default_configENS1_20scan_config_selectorIxEEZZNS1_9scan_implILNS1_25lookback_scan_determinismE0ELb0ELb0ES3_N6thrust23THRUST_200600_302600_NS6detail15normal_iteratorINS9_10device_ptrIxEEEESE_x11max_functorIxExEEDaPvRmT3_T4_T5_mT6_P12ihipStream_tbENKUlT_T0_E_clISt17integral_constantIbLb1EEST_IbLb0EEEEDaSP_SQ_EUlSP_E_NS1_11comp_targetILNS1_3genE4ELNS1_11target_archE910ELNS1_3gpuE8ELNS1_3repE0EEENS1_30default_config_static_selectorELNS0_4arch9wavefront6targetE1EEEvT1_,@function
_ZN7rocprim17ROCPRIM_400000_NS6detail17trampoline_kernelINS0_14default_configENS1_20scan_config_selectorIxEEZZNS1_9scan_implILNS1_25lookback_scan_determinismE0ELb0ELb0ES3_N6thrust23THRUST_200600_302600_NS6detail15normal_iteratorINS9_10device_ptrIxEEEESE_x11max_functorIxExEEDaPvRmT3_T4_T5_mT6_P12ihipStream_tbENKUlT_T0_E_clISt17integral_constantIbLb1EEST_IbLb0EEEEDaSP_SQ_EUlSP_E_NS1_11comp_targetILNS1_3genE4ELNS1_11target_archE910ELNS1_3gpuE8ELNS1_3repE0EEENS1_30default_config_static_selectorELNS0_4arch9wavefront6targetE1EEEvT1_: ; @_ZN7rocprim17ROCPRIM_400000_NS6detail17trampoline_kernelINS0_14default_configENS1_20scan_config_selectorIxEEZZNS1_9scan_implILNS1_25lookback_scan_determinismE0ELb0ELb0ES3_N6thrust23THRUST_200600_302600_NS6detail15normal_iteratorINS9_10device_ptrIxEEEESE_x11max_functorIxExEEDaPvRmT3_T4_T5_mT6_P12ihipStream_tbENKUlT_T0_E_clISt17integral_constantIbLb1EEST_IbLb0EEEEDaSP_SQ_EUlSP_E_NS1_11comp_targetILNS1_3genE4ELNS1_11target_archE910ELNS1_3gpuE8ELNS1_3repE0EEENS1_30default_config_static_selectorELNS0_4arch9wavefront6targetE1EEEvT1_
; %bb.0:
	s_load_dwordx8 s[12:19], s[4:5], 0x0
	s_load_dword s1, s[4:5], 0x38
	s_mul_i32 s0, s6, 0x380
	v_lshlrev_b32_e32 v36, 3, v0
	s_waitcnt lgkmcnt(0)
	s_lshl_b64 s[20:21], s[14:15], 3
	s_add_u32 s2, s12, s20
	s_addc_u32 s3, s13, s21
	s_add_i32 s7, s1, -1
	s_mul_i32 s8, s7, 0x380
	s_sub_u32 s28, s18, s8
	s_subb_u32 s29, s19, 0
	s_mov_b32 s1, 0
	s_cmp_lg_u32 s6, s7
	s_cselect_b64 s[18:19], -1, 0
	s_lshl_b64 s[22:23], s[0:1], 3
	s_add_u32 s2, s2, s22
	s_addc_u32 s3, s3, s23
	s_mov_b64 s[0:1], -1
	s_and_b64 vcc, exec, s[18:19]
	s_cbranch_vccz .LBB2596_2
; %bb.1:
	v_mov_b32_e32 v1, s3
	v_add_co_u32_e32 v2, vcc, s2, v36
	v_addc_co_u32_e32 v3, vcc, 0, v1, vcc
	flat_load_dwordx2 v[4:5], v[2:3]
	flat_load_dwordx2 v[6:7], v[2:3] offset:1024
	flat_load_dwordx2 v[8:9], v[2:3] offset:2048
	;; [unrolled: 1-line block ×3, first 2 shown]
	v_add_co_u32_e32 v2, vcc, 0x1000, v2
	v_addc_co_u32_e32 v3, vcc, 0, v3, vcc
	flat_load_dwordx2 v[12:13], v[2:3]
	flat_load_dwordx2 v[14:15], v[2:3] offset:1024
	flat_load_dwordx2 v[16:17], v[2:3] offset:2048
	s_mov_b64 s[0:1], 0
	s_waitcnt vmcnt(0) lgkmcnt(0)
	ds_write2st64_b64 v36, v[4:5], v[6:7] offset1:2
	ds_write2st64_b64 v36, v[8:9], v[10:11] offset0:4 offset1:6
	ds_write2st64_b64 v36, v[12:13], v[14:15] offset0:8 offset1:10
	ds_write_b64 v36, v[16:17] offset:6144
	s_waitcnt lgkmcnt(0)
	s_barrier
.LBB2596_2:
	s_load_dwordx2 s[24:25], s[4:5], 0x30
	s_andn2_b64 vcc, exec, s[0:1]
	v_cmp_gt_u32_e64 s[0:1], s28, v0
	s_cbranch_vccnz .LBB2596_18
; %bb.3:
	v_pk_mov_b32 v[2:3], s[2:3], s[2:3] op_sel:[0,1]
	flat_load_dwordx2 v[2:3], v[2:3]
	s_waitcnt vmcnt(0) lgkmcnt(0)
	v_mov_b32_e32 v4, v2
	v_mov_b32_e32 v5, v3
	;; [unrolled: 1-line block ×10, first 2 shown]
	v_pk_mov_b32 v[18:19], v[14:15], v[14:15] op_sel:[0,1]
	v_pk_mov_b32 v[16:17], v[12:13], v[12:13] op_sel:[0,1]
	;; [unrolled: 1-line block ×8, first 2 shown]
	s_and_saveexec_b64 s[8:9], s[0:1]
	s_cbranch_execz .LBB2596_5
; %bb.4:
	v_mov_b32_e32 v1, s3
	v_add_co_u32_e32 v4, vcc, s2, v36
	v_addc_co_u32_e32 v5, vcc, 0, v1, vcc
	flat_load_dwordx2 v[20:21], v[4:5]
	v_mov_b32_e32 v4, v2
	v_mov_b32_e32 v5, v3
	;; [unrolled: 1-line block ×10, first 2 shown]
	v_pk_mov_b32 v[18:19], v[14:15], v[14:15] op_sel:[0,1]
	v_pk_mov_b32 v[16:17], v[12:13], v[12:13] op_sel:[0,1]
	v_pk_mov_b32 v[14:15], v[10:11], v[10:11] op_sel:[0,1]
	v_pk_mov_b32 v[12:13], v[8:9], v[8:9] op_sel:[0,1]
	v_pk_mov_b32 v[10:11], v[6:7], v[6:7] op_sel:[0,1]
	v_pk_mov_b32 v[8:9], v[4:5], v[4:5] op_sel:[0,1]
	v_pk_mov_b32 v[6:7], v[2:3], v[2:3] op_sel:[0,1]
	v_pk_mov_b32 v[4:5], v[0:1], v[0:1] op_sel:[0,1]
	s_waitcnt vmcnt(0) lgkmcnt(0)
	v_pk_mov_b32 v[2:3], v[20:21], v[20:21] op_sel:[0,1]
.LBB2596_5:
	s_or_b64 exec, exec, s[8:9]
	v_or_b32_e32 v1, 0x80, v0
	v_cmp_gt_u32_e32 vcc, s28, v1
	s_and_saveexec_b64 s[0:1], vcc
	s_cbranch_execz .LBB2596_7
; %bb.6:
	v_mov_b32_e32 v1, s3
	v_add_co_u32_e32 v4, vcc, s2, v36
	v_addc_co_u32_e32 v5, vcc, 0, v1, vcc
	flat_load_dwordx2 v[6:7], v[4:5] offset:1024
.LBB2596_7:
	s_or_b64 exec, exec, s[0:1]
	v_or_b32_e32 v1, 0x100, v0
	v_cmp_gt_u32_e32 vcc, s28, v1
	s_and_saveexec_b64 s[0:1], vcc
	s_cbranch_execz .LBB2596_9
; %bb.8:
	v_mov_b32_e32 v1, s3
	v_add_co_u32_e32 v4, vcc, s2, v36
	v_addc_co_u32_e32 v5, vcc, 0, v1, vcc
	flat_load_dwordx2 v[8:9], v[4:5] offset:2048
.LBB2596_9:
	;; [unrolled: 11-line block ×3, first 2 shown]
	s_or_b64 exec, exec, s[0:1]
	v_or_b32_e32 v1, 0x200, v0
	v_cmp_gt_u32_e32 vcc, s28, v1
	s_and_saveexec_b64 s[0:1], vcc
	s_cbranch_execz .LBB2596_13
; %bb.12:
	v_lshlrev_b32_e32 v1, 3, v1
	v_mov_b32_e32 v5, s3
	v_add_co_u32_e32 v4, vcc, s2, v1
	v_addc_co_u32_e32 v5, vcc, 0, v5, vcc
	flat_load_dwordx2 v[12:13], v[4:5]
.LBB2596_13:
	s_or_b64 exec, exec, s[0:1]
	v_or_b32_e32 v1, 0x280, v0
	v_cmp_gt_u32_e32 vcc, s28, v1
	s_and_saveexec_b64 s[0:1], vcc
	s_cbranch_execz .LBB2596_15
; %bb.14:
	v_lshlrev_b32_e32 v1, 3, v1
	v_mov_b32_e32 v5, s3
	v_add_co_u32_e32 v4, vcc, s2, v1
	v_addc_co_u32_e32 v5, vcc, 0, v5, vcc
	flat_load_dwordx2 v[14:15], v[4:5]
.LBB2596_15:
	;; [unrolled: 12-line block ×3, first 2 shown]
	s_or_b64 exec, exec, s[0:1]
	s_waitcnt vmcnt(0) lgkmcnt(0)
	ds_write2st64_b64 v36, v[2:3], v[6:7] offset1:2
	ds_write2st64_b64 v36, v[8:9], v[10:11] offset0:4 offset1:6
	ds_write2st64_b64 v36, v[12:13], v[14:15] offset0:8 offset1:10
	ds_write_b64 v36, v[16:17] offset:6144
	s_waitcnt lgkmcnt(0)
	s_barrier
.LBB2596_18:
	v_mul_u32_u24_e32 v37, 7, v0
	v_lshlrev_b32_e32 v38, 3, v37
	s_waitcnt lgkmcnt(0)
	ds_read2_b64 v[2:5], v38 offset1:1
	ds_read2_b64 v[10:13], v38 offset0:2 offset1:3
	ds_read2_b64 v[6:9], v38 offset0:4 offset1:5
	ds_read_b64 v[28:29], v38 offset:48
	s_cmp_lg_u32 s6, 0
	v_lshrrev_b32_e32 v1, 5, v0
	v_cmp_gt_u32_e32 vcc, 64, v0
	s_waitcnt lgkmcnt(0)
	s_barrier
	s_cbranch_scc0 .LBB2596_49
; %bb.19:
	v_cmp_gt_i64_e64 s[0:1], v[2:3], v[4:5]
	v_cndmask_b32_e64 v15, v5, v3, s[0:1]
	v_cndmask_b32_e64 v14, v4, v2, s[0:1]
	v_cmp_gt_i64_e64 s[0:1], v[14:15], v[10:11]
	v_cndmask_b32_e64 v15, v11, v15, s[0:1]
	v_cndmask_b32_e64 v14, v10, v14, s[0:1]
	;; [unrolled: 3-line block ×6, first 2 shown]
	v_add_lshl_u32 v14, v1, v0, 3
	ds_write_b64 v14, v[22:23]
	s_waitcnt lgkmcnt(0)
	s_barrier
	s_and_saveexec_b64 s[8:9], vcc
	s_cbranch_execz .LBB2596_23
; %bb.20:
	v_lshlrev_b32_e32 v14, 1, v0
	v_lshrrev_b32_e32 v15, 4, v0
	v_add_lshl_u32 v24, v15, v14, 3
	ds_read2_b64 v[14:17], v24 offset1:1
	v_mbcnt_lo_u32_b32 v18, -1, 0
	v_mbcnt_hi_u32_b32 v25, -1, v18
	v_and_b32_e32 v26, 15, v25
	v_and_b32_e32 v30, 16, v25
	s_waitcnt lgkmcnt(0)
	v_cmp_gt_i64_e64 s[0:1], v[14:15], v[16:17]
	v_cndmask_b32_e64 v17, v17, v15, s[0:1]
	v_cndmask_b32_e64 v16, v16, v14, s[0:1]
	v_cmp_ne_u32_e64 s[2:3], 0, v25
	v_mov_b32_dpp v19, v17 row_shr:1 row_mask:0xf bank_mask:0xf
	v_mov_b32_dpp v18, v16 row_shr:1 row_mask:0xf bank_mask:0xf
	v_cmp_gt_i64_e64 s[0:1], v[18:19], v[16:17]
	v_cndmask_b32_e64 v18, v16, v18, s[0:1]
	v_cndmask_b32_e64 v19, v17, v19, s[0:1]
	v_cmp_eq_u32_e64 s[0:1], 0, v26
	v_cndmask_b32_e64 v19, v19, v17, s[0:1]
	v_cndmask_b32_e64 v18, v18, v16, s[0:1]
	s_nop 0
	v_mov_b32_dpp v21, v19 row_shr:2 row_mask:0xf bank_mask:0xf
	v_mov_b32_dpp v20, v18 row_shr:2 row_mask:0xf bank_mask:0xf
	v_cmp_gt_i64_e64 s[0:1], v[20:21], v[18:19]
	v_cndmask_b32_e64 v20, v18, v20, s[0:1]
	v_cndmask_b32_e64 v21, v19, v21, s[0:1]
	v_cmp_lt_u32_e64 s[0:1], 1, v26
	v_cndmask_b32_e64 v19, v19, v21, s[0:1]
	v_cndmask_b32_e64 v18, v18, v20, s[0:1]
	s_nop 0
	v_mov_b32_dpp v21, v19 row_shr:4 row_mask:0xf bank_mask:0xf
	v_mov_b32_dpp v20, v18 row_shr:4 row_mask:0xf bank_mask:0xf
	v_cmp_gt_i64_e64 s[0:1], v[20:21], v[18:19]
	v_cndmask_b32_e64 v20, v18, v20, s[0:1]
	v_cndmask_b32_e64 v21, v19, v21, s[0:1]
	v_cmp_lt_u32_e64 s[0:1], 3, v26
	;; [unrolled: 9-line block ×3, first 2 shown]
	v_cndmask_b32_e64 v19, v19, v21, s[0:1]
	v_cndmask_b32_e64 v18, v18, v20, s[0:1]
	s_nop 0
	v_mov_b32_dpp v21, v19 row_bcast:15 row_mask:0xf bank_mask:0xf
	v_mov_b32_dpp v20, v18 row_bcast:15 row_mask:0xf bank_mask:0xf
	v_cmp_gt_i64_e64 s[0:1], v[20:21], v[18:19]
	v_cndmask_b32_e64 v26, v19, v21, s[0:1]
	v_cndmask_b32_e64 v27, v18, v20, s[0:1]
	v_cmp_eq_u32_e64 s[0:1], 0, v30
	v_cndmask_b32_e64 v21, v26, v19, s[0:1]
	v_cndmask_b32_e64 v20, v27, v18, s[0:1]
	s_nop 0
	v_mov_b32_dpp v21, v21 row_bcast:31 row_mask:0xf bank_mask:0xf
	v_mov_b32_dpp v20, v20 row_bcast:31 row_mask:0xf bank_mask:0xf
	s_and_saveexec_b64 s[10:11], s[2:3]
; %bb.21:
	v_cndmask_b32_e64 v17, v26, v19, s[0:1]
	v_cndmask_b32_e64 v16, v27, v18, s[0:1]
	v_cmp_lt_u32_e64 s[2:3], 31, v25
	v_cmp_gt_i64_e64 s[0:1], v[20:21], v[16:17]
	s_and_b64 s[0:1], s[2:3], s[0:1]
	v_cndmask_b32_e64 v16, v16, v20, s[0:1]
	v_cndmask_b32_e64 v17, v17, v21, s[0:1]
; %bb.22:
	s_or_b64 exec, exec, s[10:11]
	v_add_u32_e32 v18, -1, v25
	v_and_b32_e32 v19, 64, v25
	v_cmp_lt_i32_e64 s[0:1], v18, v19
	v_cndmask_b32_e64 v18, v18, v25, s[0:1]
	v_lshlrev_b32_e32 v18, 2, v18
	ds_bpermute_b32 v16, v18, v16
	ds_bpermute_b32 v17, v18, v17
	; wave barrier
	s_waitcnt lgkmcnt(0)
	v_cmp_gt_i64_e64 s[0:1], v[16:17], v[14:15]
	v_cndmask_b32_e64 v14, v14, v16, s[0:1]
	v_cndmask_b32_e64 v15, v15, v17, s[0:1]
	v_cmp_eq_u32_e64 s[0:1], 0, v0
	v_cndmask_b32_e64 v15, v15, v23, s[0:1]
	v_cndmask_b32_e64 v14, v14, v22, s[0:1]
	ds_write_b64 v24, v[14:15]
	; wave barrier
	ds_read_b64 v[16:17], v24 offset:8
	s_waitcnt lgkmcnt(0)
	v_cmp_gt_i64_e64 s[0:1], v[14:15], v[16:17]
	v_cndmask_b32_e64 v15, v17, v15, s[0:1]
	v_cndmask_b32_e64 v14, v16, v14, s[0:1]
	ds_write_b64 v24, v[14:15] offset:8
.LBB2596_23:
	s_or_b64 exec, exec, s[8:9]
	v_cmp_eq_u32_e64 s[0:1], 0, v0
	v_cmp_ne_u32_e64 s[2:3], 0, v0
	s_waitcnt lgkmcnt(0)
	s_barrier
	s_and_saveexec_b64 s[8:9], s[2:3]
	s_cbranch_execz .LBB2596_25
; %bb.24:
	v_add_u32_e32 v14, -1, v0
	v_lshrrev_b32_e32 v15, 5, v14
	v_add_lshl_u32 v14, v15, v14, 3
	ds_read_b64 v[22:23], v14
.LBB2596_25:
	s_or_b64 exec, exec, s[8:9]
	s_and_saveexec_b64 s[26:27], vcc
	s_cbranch_execz .LBB2596_48
; %bb.26:
	v_mov_b32_e32 v17, 0
	ds_read_b64 v[14:15], v17 offset:1040
	v_mbcnt_lo_u32_b32 v16, -1, 0
	v_mbcnt_hi_u32_b32 v25, -1, v16
	s_mov_b32 s11, 0
	v_cmp_eq_u32_e64 s[2:3], 0, v25
	s_and_saveexec_b64 s[8:9], s[2:3]
	s_cbranch_execz .LBB2596_28
; %bb.27:
	s_add_i32 s10, s6, 64
	s_lshl_b64 s[10:11], s[10:11], 4
	s_add_u32 s10, s24, s10
	s_addc_u32 s11, s25, s11
	v_mov_b32_e32 v16, 1
	v_pk_mov_b32 v[18:19], s[10:11], s[10:11] op_sel:[0,1]
	s_waitcnt lgkmcnt(0)
	;;#ASMSTART
	global_store_dwordx4 v[18:19], v[14:17] off	
s_waitcnt vmcnt(0)
	;;#ASMEND
.LBB2596_28:
	s_or_b64 exec, exec, s[8:9]
	v_xad_u32 v24, v25, -1, s6
	v_add_u32_e32 v16, 64, v24
	v_lshlrev_b64 v[18:19], 4, v[16:17]
	v_mov_b32_e32 v16, s25
	v_add_co_u32_e32 v26, vcc, s24, v18
	v_addc_co_u32_e32 v27, vcc, v16, v19, vcc
	;;#ASMSTART
	global_load_dwordx4 v[18:21], v[26:27] off glc	
s_waitcnt vmcnt(0)
	;;#ASMEND
	v_and_b32_e32 v16, 0xff, v19
	v_and_b32_e32 v21, 0xff00, v19
	v_or3_b32 v16, 0, v16, v21
	v_or3_b32 v18, v18, 0, 0
	v_and_b32_e32 v21, 0xff000000, v19
	v_and_b32_e32 v19, 0xff0000, v19
	v_or3_b32 v19, v16, v19, v21
	v_or3_b32 v18, v18, 0, 0
	v_cmp_eq_u16_sdwa s[10:11], v20, v17 src0_sel:BYTE_0 src1_sel:DWORD
	s_and_saveexec_b64 s[8:9], s[10:11]
	s_cbranch_execz .LBB2596_34
; %bb.29:
	s_mov_b32 s7, 1
	s_mov_b64 s[10:11], 0
	v_mov_b32_e32 v16, 0
.LBB2596_30:                            ; =>This Loop Header: Depth=1
                                        ;     Child Loop BB2596_31 Depth 2
	s_max_u32 s12, s7, 1
.LBB2596_31:                            ;   Parent Loop BB2596_30 Depth=1
                                        ; =>  This Inner Loop Header: Depth=2
	s_add_i32 s12, s12, -1
	s_cmp_eq_u32 s12, 0
	s_sleep 1
	s_cbranch_scc0 .LBB2596_31
; %bb.32:                               ;   in Loop: Header=BB2596_30 Depth=1
	s_cmp_lt_u32 s7, 32
	s_cselect_b64 s[12:13], -1, 0
	s_cmp_lg_u64 s[12:13], 0
	s_addc_u32 s7, s7, 0
	;;#ASMSTART
	global_load_dwordx4 v[18:21], v[26:27] off glc	
s_waitcnt vmcnt(0)
	;;#ASMEND
	v_cmp_ne_u16_sdwa s[12:13], v20, v16 src0_sel:BYTE_0 src1_sel:DWORD
	s_or_b64 s[10:11], s[12:13], s[10:11]
	s_andn2_b64 exec, exec, s[10:11]
	s_cbranch_execnz .LBB2596_30
; %bb.33:
	s_or_b64 exec, exec, s[10:11]
.LBB2596_34:
	s_or_b64 exec, exec, s[8:9]
	v_and_b32_e32 v33, 63, v25
	v_cmp_ne_u32_e32 vcc, 63, v33
	v_mov_b32_e32 v32, 2
	v_addc_co_u32_e32 v26, vcc, 0, v25, vcc
	v_cmp_eq_u16_sdwa s[8:9], v20, v32 src0_sel:BYTE_0 src1_sel:DWORD
	v_lshlrev_b64 v[16:17], v25, -1
	v_lshlrev_b32_e32 v34, 2, v26
	v_and_b32_e32 v21, s9, v17
	ds_bpermute_b32 v26, v34, v18
	ds_bpermute_b32 v27, v34, v19
	v_or_b32_e32 v21, 0x80000000, v21
	v_and_b32_e32 v30, s8, v16
	v_ffbl_b32_e32 v21, v21
	v_add_u32_e32 v21, 32, v21
	v_ffbl_b32_e32 v30, v30
	v_min_u32_e32 v21, v30, v21
	s_waitcnt lgkmcnt(0)
	v_cmp_gt_i64_e64 s[8:9], v[26:27], v[18:19]
	v_cmp_lt_u32_e32 vcc, v33, v21
	v_cndmask_b32_e64 v26, v18, v26, s[8:9]
	s_and_b64 s[8:9], vcc, s[8:9]
	v_cndmask_b32_e64 v27, v19, v27, s[8:9]
	v_cmp_gt_u32_e64 s[8:9], 62, v33
	v_cndmask_b32_e64 v30, 0, 1, s[8:9]
	v_lshlrev_b32_e32 v30, 1, v30
	v_cndmask_b32_e32 v26, v18, v26, vcc
	v_add_lshl_u32 v35, v30, v25, 2
	ds_bpermute_b32 v30, v35, v26
	ds_bpermute_b32 v31, v35, v27
	v_add_u32_e32 v39, 2, v33
	v_cmp_gt_u32_e64 s[10:11], 56, v33
	v_add_u32_e32 v41, 4, v33
	v_cndmask_b32_e64 v42, 0, 1, s[10:11]
	s_waitcnt lgkmcnt(0)
	v_cmp_gt_i64_e64 s[8:9], v[30:31], v[26:27]
	v_cndmask_b32_e64 v31, v27, v31, s[8:9]
	v_cndmask_b32_e64 v30, v26, v30, s[8:9]
	v_cmp_gt_u32_e64 s[8:9], v39, v21
	v_cndmask_b32_e64 v26, v30, v26, s[8:9]
	v_cndmask_b32_e64 v27, v31, v27, s[8:9]
	v_cmp_gt_u32_e64 s[8:9], 60, v33
	v_cndmask_b32_e64 v30, 0, 1, s[8:9]
	v_lshlrev_b32_e32 v30, 2, v30
	v_add_lshl_u32 v40, v30, v25, 2
	ds_bpermute_b32 v30, v40, v26
	ds_bpermute_b32 v31, v40, v27
	v_lshlrev_b32_e32 v42, 3, v42
	v_add_lshl_u32 v42, v42, v25, 2
	v_cmp_gt_u32_e64 s[12:13], 48, v33
	v_add_u32_e32 v43, 8, v33
	s_waitcnt lgkmcnt(0)
	v_cmp_gt_i64_e64 s[8:9], v[30:31], v[26:27]
	v_cndmask_b32_e64 v50, v27, v31, s[8:9]
	v_cndmask_b32_e64 v51, v26, v30, s[8:9]
	v_cmp_gt_u32_e64 s[8:9], v41, v21
	v_cndmask_b32_e64 v30, v51, v26, s[8:9]
	v_cndmask_b32_e64 v31, v50, v27, s[8:9]
	ds_bpermute_b32 v44, v42, v30
	ds_bpermute_b32 v45, v42, v31
	v_cmp_gt_u32_e64 s[14:15], 32, v33
	v_cndmask_b32_e32 v19, v19, v27, vcc
	v_cndmask_b32_e32 v18, v18, v26, vcc
	v_cndmask_b32_e64 v18, v51, v18, s[8:9]
	s_waitcnt lgkmcnt(0)
	v_cmp_gt_i64_e64 s[10:11], v[44:45], v[30:31]
	v_cndmask_b32_e64 v53, v30, v44, s[10:11]
	v_cndmask_b32_e64 v44, 0, 1, s[12:13]
	;; [unrolled: 1-line block ×3, first 2 shown]
	v_cmp_gt_u32_e64 s[10:11], v43, v21
	v_lshlrev_b32_e32 v44, 4, v44
	v_cndmask_b32_e64 v30, v53, v30, s[10:11]
	v_cndmask_b32_e64 v31, v52, v31, s[10:11]
	v_add_lshl_u32 v44, v44, v25, 2
	ds_bpermute_b32 v46, v44, v30
	ds_bpermute_b32 v47, v44, v31
	v_add_u32_e32 v45, 16, v33
	v_cndmask_b32_e64 v19, v50, v19, s[8:9]
	v_cndmask_b32_e64 v19, v52, v19, s[10:11]
	v_cndmask_b32_e64 v18, v53, v18, s[10:11]
	s_waitcnt lgkmcnt(0)
	v_cmp_gt_i64_e64 s[12:13], v[46:47], v[30:31]
	v_cndmask_b32_e64 v55, v30, v46, s[12:13]
	v_cndmask_b32_e64 v46, 0, 1, s[14:15]
	v_cndmask_b32_e64 v54, v31, v47, s[12:13]
	v_cmp_gt_u32_e64 s[12:13], v45, v21
	v_lshlrev_b32_e32 v46, 5, v46
	v_cndmask_b32_e64 v30, v55, v30, s[12:13]
	v_add_lshl_u32 v46, v46, v25, 2
	v_cndmask_b32_e64 v31, v54, v31, s[12:13]
	ds_bpermute_b32 v48, v46, v30
	ds_bpermute_b32 v49, v46, v31
	v_add_u32_e32 v47, 32, v33
	v_cndmask_b32_e64 v18, v55, v18, s[12:13]
	v_cndmask_b32_e64 v19, v54, v19, s[12:13]
	v_cmp_gt_u32_e32 vcc, v47, v21
	s_waitcnt lgkmcnt(0)
	v_cmp_gt_i64_e64 s[14:15], v[48:49], v[30:31]
	v_cndmask_b32_e64 v25, v30, v48, s[14:15]
	v_cndmask_b32_e64 v30, v31, v49, s[14:15]
	v_cndmask_b32_e32 v19, v30, v19, vcc
	v_cndmask_b32_e32 v18, v25, v18, vcc
	v_mov_b32_e32 v25, 0
	s_branch .LBB2596_36
.LBB2596_35:                            ;   in Loop: Header=BB2596_36 Depth=1
	s_or_b64 exec, exec, s[8:9]
	v_cmp_eq_u16_sdwa s[8:9], v20, v32 src0_sel:BYTE_0 src1_sel:DWORD
	v_and_b32_e32 v21, s9, v17
	ds_bpermute_b32 v30, v34, v18
	ds_bpermute_b32 v31, v34, v19
	v_or_b32_e32 v21, 0x80000000, v21
	v_and_b32_e32 v48, s8, v16
	v_ffbl_b32_e32 v21, v21
	v_add_u32_e32 v21, 32, v21
	v_ffbl_b32_e32 v48, v48
	v_min_u32_e32 v21, v48, v21
	s_waitcnt lgkmcnt(0)
	v_cmp_gt_i64_e32 vcc, v[30:31], v[18:19]
	v_cmp_lt_u32_e64 s[8:9], v33, v21
	v_cndmask_b32_e32 v30, v18, v30, vcc
	s_and_b64 vcc, s[8:9], vcc
	v_cndmask_b32_e64 v30, v18, v30, s[8:9]
	v_cndmask_b32_e32 v31, v19, v31, vcc
	ds_bpermute_b32 v48, v35, v30
	ds_bpermute_b32 v49, v35, v31
	v_subrev_u32_e32 v24, 64, v24
	s_waitcnt lgkmcnt(0)
	v_cmp_gt_i64_e32 vcc, v[48:49], v[30:31]
	v_cndmask_b32_e32 v49, v31, v49, vcc
	v_cndmask_b32_e32 v48, v30, v48, vcc
	v_cmp_gt_u32_e32 vcc, v39, v21
	v_cndmask_b32_e32 v30, v48, v30, vcc
	v_cndmask_b32_e32 v31, v49, v31, vcc
	ds_bpermute_b32 v48, v40, v30
	ds_bpermute_b32 v49, v40, v31
	v_cndmask_b32_e64 v19, v19, v31, s[8:9]
	v_cndmask_b32_e64 v18, v18, v30, s[8:9]
	s_waitcnt lgkmcnt(0)
	v_cmp_gt_i64_e32 vcc, v[48:49], v[30:31]
	v_cndmask_b32_e32 v52, v31, v49, vcc
	v_cndmask_b32_e32 v53, v30, v48, vcc
	v_cmp_gt_u32_e32 vcc, v41, v21
	v_cndmask_b32_e32 v48, v53, v30, vcc
	v_cndmask_b32_e32 v49, v52, v31, vcc
	ds_bpermute_b32 v50, v42, v48
	ds_bpermute_b32 v51, v42, v49
	v_cndmask_b32_e32 v18, v53, v18, vcc
	v_cndmask_b32_e32 v19, v52, v19, vcc
	v_cmp_gt_u32_e32 vcc, v47, v21
	s_waitcnt lgkmcnt(0)
	v_cmp_gt_i64_e64 s[10:11], v[50:51], v[48:49]
	v_cndmask_b32_e64 v54, v49, v51, s[10:11]
	v_cndmask_b32_e64 v55, v48, v50, s[10:11]
	v_cmp_gt_u32_e64 s[10:11], v43, v21
	v_cndmask_b32_e64 v48, v55, v48, s[10:11]
	v_cndmask_b32_e64 v49, v54, v49, s[10:11]
	ds_bpermute_b32 v50, v44, v48
	ds_bpermute_b32 v51, v44, v49
	v_cndmask_b32_e64 v19, v54, v19, s[10:11]
	v_cndmask_b32_e64 v18, v55, v18, s[10:11]
	s_waitcnt lgkmcnt(0)
	v_cmp_gt_i64_e64 s[12:13], v[50:51], v[48:49]
	v_cndmask_b32_e64 v56, v49, v51, s[12:13]
	v_cndmask_b32_e64 v57, v48, v50, s[12:13]
	v_cmp_gt_u32_e64 s[12:13], v45, v21
	v_cndmask_b32_e64 v48, v57, v48, s[12:13]
	v_cndmask_b32_e64 v49, v56, v49, s[12:13]
	ds_bpermute_b32 v50, v46, v48
	ds_bpermute_b32 v51, v46, v49
	v_cndmask_b32_e64 v18, v57, v18, s[12:13]
	v_cndmask_b32_e64 v19, v56, v19, s[12:13]
	s_waitcnt lgkmcnt(0)
	v_cmp_gt_i64_e64 s[14:15], v[50:51], v[48:49]
	v_cndmask_b32_e64 v48, v48, v50, s[14:15]
	v_cndmask_b32_e64 v49, v49, v51, s[14:15]
	v_cndmask_b32_e32 v19, v49, v19, vcc
	v_cndmask_b32_e32 v18, v48, v18, vcc
	v_cmp_gt_i64_e32 vcc, v[18:19], v[26:27]
	v_cndmask_b32_e32 v19, v27, v19, vcc
	v_cndmask_b32_e32 v18, v26, v18, vcc
.LBB2596_36:                            ; =>This Loop Header: Depth=1
                                        ;     Child Loop BB2596_39 Depth 2
                                        ;       Child Loop BB2596_40 Depth 3
	v_cmp_ne_u16_sdwa s[8:9], v20, v32 src0_sel:BYTE_0 src1_sel:DWORD
	v_cndmask_b32_e64 v20, 0, 1, s[8:9]
	;;#ASMSTART
	;;#ASMEND
	v_cmp_ne_u32_e32 vcc, 0, v20
	s_cmp_lg_u64 vcc, exec
	v_pk_mov_b32 v[26:27], v[18:19], v[18:19] op_sel:[0,1]
	s_cbranch_scc1 .LBB2596_43
; %bb.37:                               ;   in Loop: Header=BB2596_36 Depth=1
	v_lshlrev_b64 v[18:19], 4, v[24:25]
	v_mov_b32_e32 v20, s25
	v_add_co_u32_e32 v30, vcc, s24, v18
	v_addc_co_u32_e32 v31, vcc, v20, v19, vcc
	;;#ASMSTART
	global_load_dwordx4 v[18:21], v[30:31] off glc	
s_waitcnt vmcnt(0)
	;;#ASMEND
	v_and_b32_e32 v21, 0xff, v19
	v_and_b32_e32 v48, 0xff00, v19
	v_or3_b32 v21, 0, v21, v48
	v_or3_b32 v18, v18, 0, 0
	v_and_b32_e32 v48, 0xff000000, v19
	v_and_b32_e32 v19, 0xff0000, v19
	v_or3_b32 v19, v21, v19, v48
	v_or3_b32 v18, v18, 0, 0
	v_cmp_eq_u16_sdwa s[10:11], v20, v25 src0_sel:BYTE_0 src1_sel:DWORD
	s_and_saveexec_b64 s[8:9], s[10:11]
	s_cbranch_execz .LBB2596_35
; %bb.38:                               ;   in Loop: Header=BB2596_36 Depth=1
	s_mov_b32 s7, 1
	s_mov_b64 s[10:11], 0
.LBB2596_39:                            ;   Parent Loop BB2596_36 Depth=1
                                        ; =>  This Loop Header: Depth=2
                                        ;       Child Loop BB2596_40 Depth 3
	s_max_u32 s12, s7, 1
.LBB2596_40:                            ;   Parent Loop BB2596_36 Depth=1
                                        ;     Parent Loop BB2596_39 Depth=2
                                        ; =>    This Inner Loop Header: Depth=3
	s_add_i32 s12, s12, -1
	s_cmp_eq_u32 s12, 0
	s_sleep 1
	s_cbranch_scc0 .LBB2596_40
; %bb.41:                               ;   in Loop: Header=BB2596_39 Depth=2
	s_cmp_lt_u32 s7, 32
	s_cselect_b64 s[12:13], -1, 0
	s_cmp_lg_u64 s[12:13], 0
	s_addc_u32 s7, s7, 0
	;;#ASMSTART
	global_load_dwordx4 v[18:21], v[30:31] off glc	
s_waitcnt vmcnt(0)
	;;#ASMEND
	v_cmp_ne_u16_sdwa s[12:13], v20, v25 src0_sel:BYTE_0 src1_sel:DWORD
	s_or_b64 s[10:11], s[12:13], s[10:11]
	s_andn2_b64 exec, exec, s[10:11]
	s_cbranch_execnz .LBB2596_39
; %bb.42:                               ;   in Loop: Header=BB2596_36 Depth=1
	s_or_b64 exec, exec, s[10:11]
	s_branch .LBB2596_35
.LBB2596_43:                            ;   in Loop: Header=BB2596_36 Depth=1
                                        ; implicit-def: $vgpr18_vgpr19
                                        ; implicit-def: $vgpr20
	s_cbranch_execz .LBB2596_36
; %bb.44:
	s_and_saveexec_b64 s[8:9], s[2:3]
	s_cbranch_execz .LBB2596_46
; %bb.45:
	s_add_i32 s2, s6, 64
	s_mov_b32 s3, 0
	s_lshl_b64 s[2:3], s[2:3], 4
	s_add_u32 s2, s24, s2
	v_cmp_gt_i64_e32 vcc, v[26:27], v[14:15]
	s_addc_u32 s3, s25, s3
	v_cndmask_b32_e32 v15, v15, v27, vcc
	v_cndmask_b32_e32 v14, v14, v26, vcc
	v_mov_b32_e32 v16, 2
	v_mov_b32_e32 v17, 0
	v_pk_mov_b32 v[18:19], s[2:3], s[2:3] op_sel:[0,1]
	;;#ASMSTART
	global_store_dwordx4 v[18:19], v[14:17] off	
s_waitcnt vmcnt(0)
	;;#ASMEND
.LBB2596_46:
	s_or_b64 exec, exec, s[8:9]
	s_and_b64 exec, exec, s[0:1]
	s_cbranch_execz .LBB2596_48
; %bb.47:
	v_mov_b32_e32 v14, 0
	ds_write_b64 v14, v[26:27]
.LBB2596_48:
	s_or_b64 exec, exec, s[26:27]
	v_mov_b32_e32 v14, 0
	s_waitcnt lgkmcnt(0)
	s_barrier
	ds_read_b64 v[14:15], v14
	v_cmp_gt_i64_e32 vcc, v[22:23], v[2:3]
	v_cndmask_b32_e32 v16, v2, v22, vcc
	v_cndmask_b32_e32 v17, v3, v23, vcc
	v_cndmask_b32_e64 v17, v17, v3, s[0:1]
	v_cndmask_b32_e64 v16, v16, v2, s[0:1]
	s_waitcnt lgkmcnt(0)
	v_cmp_gt_i64_e32 vcc, v[14:15], v[16:17]
	v_cndmask_b32_e32 v25, v17, v15, vcc
	v_cndmask_b32_e32 v24, v16, v14, vcc
	v_cmp_gt_i64_e32 vcc, v[24:25], v[4:5]
	v_cndmask_b32_e32 v31, v5, v25, vcc
	v_cndmask_b32_e32 v30, v4, v24, vcc
	;; [unrolled: 3-line block ×7, first 2 shown]
	s_load_dwordx8 s[4:11], s[4:5], 0x40
	s_branch .LBB2596_63
.LBB2596_49:
                                        ; implicit-def: $vgpr22_vgpr23
                                        ; implicit-def: $vgpr34_vgpr35
                                        ; implicit-def: $vgpr32_vgpr33
                                        ; implicit-def: $vgpr30_vgpr31
                                        ; implicit-def: $vgpr18_vgpr19_vgpr20_vgpr21
                                        ; implicit-def: $vgpr14_vgpr15_vgpr16_vgpr17
                                        ; implicit-def: $vgpr24_vgpr25_vgpr26_vgpr27
	s_load_dwordx8 s[4:11], s[4:5], 0x40
	s_cbranch_execz .LBB2596_63
; %bb.50:
	s_waitcnt lgkmcnt(0)
	s_cmp_lg_u64 s[8:9], 0
	s_cselect_b64 s[2:3], -1, 0
	v_cmp_eq_u32_e64 s[0:1], 0, v0
	v_cmp_ne_u32_e32 vcc, 0, v0
	s_and_b64 s[2:3], s[0:1], s[2:3]
	s_and_saveexec_b64 s[8:9], s[2:3]
	s_cbranch_execz .LBB2596_52
; %bb.51:
	v_mov_b32_e32 v14, 0
	global_load_dwordx2 v[14:15], v14, s[4:5]
	s_waitcnt vmcnt(0)
	v_cmp_gt_i64_e64 s[2:3], v[14:15], v[2:3]
	v_cndmask_b32_e64 v3, v3, v15, s[2:3]
	v_cndmask_b32_e64 v2, v2, v14, s[2:3]
.LBB2596_52:
	s_or_b64 exec, exec, s[8:9]
	v_cmp_gt_i64_e64 s[2:3], v[2:3], v[4:5]
	v_cndmask_b32_e64 v31, v5, v3, s[2:3]
	v_cndmask_b32_e64 v30, v4, v2, s[2:3]
	v_cmp_gt_i64_e64 s[2:3], v[30:31], v[10:11]
	v_cndmask_b32_e64 v15, v11, v31, s[2:3]
	v_cndmask_b32_e64 v14, v10, v30, s[2:3]
	;; [unrolled: 3-line block ×6, first 2 shown]
	v_add_lshl_u32 v1, v1, v0, 3
	v_cmp_gt_u32_e64 s[2:3], 64, v0
	ds_write_b64 v1, v[22:23]
	s_waitcnt lgkmcnt(0)
	s_barrier
	s_and_saveexec_b64 s[8:9], s[2:3]
	s_cbranch_execz .LBB2596_56
; %bb.53:
	v_lshlrev_b32_e32 v1, 1, v0
	v_lshrrev_b32_e32 v16, 4, v0
	v_add_lshl_u32 v1, v16, v1, 3
	ds_read2_b64 v[24:27], v1 offset1:1
	v_mbcnt_lo_u32_b32 v16, -1, 0
	v_mbcnt_hi_u32_b32 v39, -1, v16
	v_and_b32_e32 v40, 15, v39
	v_and_b32_e32 v42, 16, v39
	s_waitcnt lgkmcnt(0)
	v_cmp_gt_i64_e64 s[2:3], v[24:25], v[26:27]
	v_cndmask_b32_e64 v17, v27, v25, s[2:3]
	v_cndmask_b32_e64 v16, v26, v24, s[2:3]
	v_cmp_ne_u32_e64 s[4:5], 0, v39
	v_mov_b32_dpp v21, v17 row_shr:1 row_mask:0xf bank_mask:0xf
	v_mov_b32_dpp v20, v16 row_shr:1 row_mask:0xf bank_mask:0xf
	v_cmp_gt_i64_e64 s[2:3], v[20:21], v[16:17]
	v_cndmask_b32_e64 v20, v16, v20, s[2:3]
	v_cndmask_b32_e64 v21, v17, v21, s[2:3]
	v_cmp_eq_u32_e64 s[2:3], 0, v40
	v_cndmask_b32_e64 v21, v21, v17, s[2:3]
	v_cndmask_b32_e64 v20, v20, v16, s[2:3]
	s_nop 0
	v_mov_b32_dpp v27, v21 row_shr:2 row_mask:0xf bank_mask:0xf
	v_mov_b32_dpp v26, v20 row_shr:2 row_mask:0xf bank_mask:0xf
	v_cmp_gt_i64_e64 s[2:3], v[26:27], v[20:21]
	v_cndmask_b32_e64 v26, v20, v26, s[2:3]
	v_cndmask_b32_e64 v27, v21, v27, s[2:3]
	v_cmp_lt_u32_e64 s[2:3], 1, v40
	v_cndmask_b32_e64 v21, v21, v27, s[2:3]
	v_cndmask_b32_e64 v20, v20, v26, s[2:3]
	s_nop 0
	v_mov_b32_dpp v27, v21 row_shr:4 row_mask:0xf bank_mask:0xf
	v_mov_b32_dpp v26, v20 row_shr:4 row_mask:0xf bank_mask:0xf
	v_cmp_gt_i64_e64 s[2:3], v[26:27], v[20:21]
	v_cndmask_b32_e64 v26, v20, v26, s[2:3]
	v_cndmask_b32_e64 v27, v21, v27, s[2:3]
	v_cmp_lt_u32_e64 s[2:3], 3, v40
	;; [unrolled: 9-line block ×3, first 2 shown]
	v_cndmask_b32_e64 v21, v21, v27, s[2:3]
	v_cndmask_b32_e64 v20, v20, v26, s[2:3]
	s_nop 0
	v_mov_b32_dpp v27, v21 row_bcast:15 row_mask:0xf bank_mask:0xf
	v_mov_b32_dpp v26, v20 row_bcast:15 row_mask:0xf bank_mask:0xf
	v_cmp_gt_i64_e64 s[2:3], v[26:27], v[20:21]
	v_cndmask_b32_e64 v40, v21, v27, s[2:3]
	v_cndmask_b32_e64 v41, v20, v26, s[2:3]
	v_cmp_eq_u32_e64 s[2:3], 0, v42
	v_cndmask_b32_e64 v27, v40, v21, s[2:3]
	v_cndmask_b32_e64 v26, v41, v20, s[2:3]
	s_nop 0
	v_mov_b32_dpp v27, v27 row_bcast:31 row_mask:0xf bank_mask:0xf
	v_mov_b32_dpp v26, v26 row_bcast:31 row_mask:0xf bank_mask:0xf
	s_and_saveexec_b64 s[12:13], s[4:5]
; %bb.54:
	v_cndmask_b32_e64 v17, v40, v21, s[2:3]
	v_cndmask_b32_e64 v16, v41, v20, s[2:3]
	v_cmp_lt_u32_e64 s[4:5], 31, v39
	v_cmp_gt_i64_e64 s[2:3], v[26:27], v[16:17]
	s_and_b64 s[2:3], s[4:5], s[2:3]
	v_cndmask_b32_e64 v16, v16, v26, s[2:3]
	v_cndmask_b32_e64 v17, v17, v27, s[2:3]
; %bb.55:
	s_or_b64 exec, exec, s[12:13]
	v_add_u32_e32 v20, -1, v39
	v_and_b32_e32 v21, 64, v39
	v_cmp_lt_i32_e64 s[2:3], v20, v21
	v_cndmask_b32_e64 v20, v20, v39, s[2:3]
	v_lshlrev_b32_e32 v20, 2, v20
	ds_bpermute_b32 v16, v20, v16
	ds_bpermute_b32 v17, v20, v17
	; wave barrier
	s_waitcnt lgkmcnt(0)
	v_cmp_gt_i64_e64 s[2:3], v[16:17], v[24:25]
	v_cndmask_b32_e64 v16, v24, v16, s[2:3]
	v_cndmask_b32_e64 v17, v25, v17, s[2:3]
	;; [unrolled: 1-line block ×4, first 2 shown]
	ds_write_b64 v1, v[16:17]
	; wave barrier
	ds_read_b64 v[20:21], v1 offset:8
	s_waitcnt lgkmcnt(0)
	v_cmp_gt_i64_e64 s[0:1], v[16:17], v[20:21]
	v_cndmask_b32_e64 v17, v21, v17, s[0:1]
	v_cndmask_b32_e64 v16, v20, v16, s[0:1]
	ds_write_b64 v1, v[16:17] offset:8
.LBB2596_56:
	s_or_b64 exec, exec, s[8:9]
	v_pk_mov_b32 v[16:17], v[22:23], v[22:23] op_sel:[0,1]
	s_waitcnt lgkmcnt(0)
	s_barrier
	s_and_saveexec_b64 s[0:1], vcc
	s_cbranch_execz .LBB2596_58
; %bb.57:
	v_add_u32_e32 v1, -1, v0
	v_lshrrev_b32_e32 v16, 5, v1
	v_add_lshl_u32 v1, v16, v1, 3
	ds_read_b64 v[16:17], v1
.LBB2596_58:
	s_or_b64 exec, exec, s[0:1]
	s_and_saveexec_b64 s[0:1], vcc
	s_cbranch_execz .LBB2596_60
; %bb.59:
	s_waitcnt lgkmcnt(0)
	v_cmp_gt_i64_e32 vcc, v[16:17], v[2:3]
	v_cndmask_b32_e32 v3, v3, v17, vcc
	v_cndmask_b32_e32 v2, v2, v16, vcc
	v_cmp_gt_i64_e32 vcc, v[2:3], v[4:5]
	v_cndmask_b32_e32 v31, v5, v3, vcc
	v_cndmask_b32_e32 v30, v4, v2, vcc
	;; [unrolled: 3-line block ×7, first 2 shown]
	;;#ASMSTART
	;;#ASMEND
.LBB2596_60:
	s_or_b64 exec, exec, s[0:1]
	s_movk_i32 s0, 0x7f
	v_cmp_eq_u32_e32 vcc, s0, v0
	s_and_saveexec_b64 s[0:1], vcc
	s_cbranch_execz .LBB2596_62
; %bb.61:
	s_add_u32 s2, s24, 0x400
	s_addc_u32 s3, s25, 0
	v_mov_b32_e32 v24, 2
	v_mov_b32_e32 v25, 0
	v_pk_mov_b32 v[4:5], s[2:3], s[2:3] op_sel:[0,1]
	;;#ASMSTART
	global_store_dwordx4 v[4:5], v[22:25] off	
s_waitcnt vmcnt(0)
	;;#ASMEND
.LBB2596_62:
	s_or_b64 exec, exec, s[0:1]
	v_pk_mov_b32 v[24:25], v[2:3], v[2:3] op_sel:[0,1]
.LBB2596_63:
	s_add_u32 s0, s16, s20
	s_addc_u32 s1, s17, s21
	s_add_u32 s2, s0, s22
	s_addc_u32 s3, s1, s23
	s_mov_b64 s[0:1], -1
	s_and_b64 vcc, exec, s[18:19]
	s_waitcnt lgkmcnt(0)
	s_barrier
	s_cbranch_vccz .LBB2596_65
; %bb.64:
	v_mul_u32_u24_e32 v1, 56, v0
	ds_write2_b64 v1, v[24:25], v[30:31] offset1:1
	ds_write2_b64 v1, v[14:15], v[32:33] offset0:2 offset1:3
	ds_write2_b64 v1, v[18:19], v[34:35] offset0:4 offset1:5
	ds_write_b64 v1, v[22:23] offset:48
	v_mul_i32_i24_e32 v1, 0xffffffd0, v0
	v_mad_u32_u24 v1, v0, 56, v1
	s_waitcnt lgkmcnt(0)
	s_barrier
	ds_read2st64_b64 v[2:5], v1 offset1:2
	ds_read2st64_b64 v[6:9], v1 offset0:4 offset1:6
	ds_read2st64_b64 v[10:13], v1 offset0:8 offset1:10
	ds_read_b64 v[16:17], v1 offset:6144
	v_mov_b32_e32 v1, s3
	v_add_co_u32_e32 v20, vcc, s2, v36
	v_addc_co_u32_e32 v21, vcc, 0, v1, vcc
	s_waitcnt lgkmcnt(3)
	flat_store_dwordx2 v[20:21], v[2:3]
	flat_store_dwordx2 v[20:21], v[4:5] offset:1024
	s_waitcnt lgkmcnt(0)
	flat_store_dwordx2 v[20:21], v[6:7] offset:2048
	flat_store_dwordx2 v[20:21], v[8:9] offset:3072
	v_add_co_u32_e32 v2, vcc, 0x1000, v20
	v_addc_co_u32_e32 v3, vcc, 0, v21, vcc
	flat_store_dwordx2 v[2:3], v[10:11]
	flat_store_dwordx2 v[2:3], v[12:13] offset:1024
	flat_store_dwordx2 v[2:3], v[16:17] offset:2048
	s_mov_b64 s[0:1], 0
.LBB2596_65:
	s_andn2_b64 vcc, exec, s[0:1]
	s_cbranch_vccnz .LBB2596_104
; %bb.66:
	s_movk_i32 s0, 0xffd0
	ds_write2_b64 v38, v[24:25], v[30:31] offset1:1
	ds_write2_b64 v38, v[14:15], v[32:33] offset0:2 offset1:3
	ds_write2_b64 v38, v[18:19], v[34:35] offset0:4 offset1:5
	ds_write_b64 v38, v[22:23] offset:48
	v_mad_i32_i24 v14, v0, s0, v38
	s_waitcnt lgkmcnt(0)
	s_barrier
	ds_read2st64_b64 v[2:5], v14 offset1:2
	ds_read2st64_b64 v[6:9], v14 offset0:4 offset1:6
	ds_read2st64_b64 v[10:13], v14 offset0:8 offset1:10
	ds_read_b64 v[14:15], v14 offset:6144
	v_mov_b32_e32 v17, s3
	v_add_co_u32_e32 v16, vcc, s2, v36
	v_addc_co_u32_e32 v17, vcc, 0, v17, vcc
	v_mov_b32_e32 v1, 0
	v_cmp_gt_u32_e32 vcc, s28, v0
	s_and_saveexec_b64 s[0:1], vcc
	s_cbranch_execz .LBB2596_68
; %bb.67:
	s_waitcnt lgkmcnt(0)
	flat_store_dwordx2 v[16:17], v[2:3]
.LBB2596_68:
	s_or_b64 exec, exec, s[0:1]
	v_or_b32_e32 v18, 0x80, v0
	v_cmp_gt_u32_e32 vcc, s28, v18
	s_and_saveexec_b64 s[0:1], vcc
	s_cbranch_execz .LBB2596_70
; %bb.69:
	s_waitcnt lgkmcnt(0)
	flat_store_dwordx2 v[16:17], v[4:5] offset:1024
.LBB2596_70:
	s_or_b64 exec, exec, s[0:1]
	v_or_b32_e32 v18, 0x100, v0
	v_cmp_gt_u32_e32 vcc, s28, v18
	s_and_saveexec_b64 s[0:1], vcc
	s_cbranch_execz .LBB2596_72
; %bb.71:
	s_waitcnt lgkmcnt(0)
	flat_store_dwordx2 v[16:17], v[6:7] offset:2048
.LBB2596_72:
	;; [unrolled: 9-line block ×3, first 2 shown]
	s_or_b64 exec, exec, s[0:1]
	v_or_b32_e32 v18, 0x200, v0
	v_cmp_gt_u32_e32 vcc, s28, v18
	s_and_saveexec_b64 s[0:1], vcc
	s_cbranch_execz .LBB2596_76
; %bb.75:
	v_add_co_u32_e32 v18, vcc, 0x1000, v16
	v_addc_co_u32_e32 v19, vcc, 0, v17, vcc
	s_waitcnt lgkmcnt(0)
	flat_store_dwordx2 v[18:19], v[10:11]
.LBB2596_76:
	s_or_b64 exec, exec, s[0:1]
	v_or_b32_e32 v18, 0x280, v0
	v_cmp_gt_u32_e32 vcc, s28, v18
	s_and_saveexec_b64 s[0:1], vcc
	s_cbranch_execz .LBB2596_78
; %bb.77:
	v_add_co_u32_e32 v18, vcc, 0x1000, v16
	v_addc_co_u32_e32 v19, vcc, 0, v17, vcc
	s_waitcnt lgkmcnt(0)
	flat_store_dwordx2 v[18:19], v[12:13] offset:1024
.LBB2596_78:
	s_or_b64 exec, exec, s[0:1]
	v_or_b32_e32 v18, 0x300, v0
	v_cmp_gt_u32_e32 vcc, s28, v18
	s_and_saveexec_b64 s[0:1], vcc
	s_cbranch_execz .LBB2596_80
; %bb.79:
	v_add_co_u32_e32 v16, vcc, 0x1000, v16
	v_addc_co_u32_e32 v17, vcc, 0, v17, vcc
	s_waitcnt lgkmcnt(0)
	flat_store_dwordx2 v[16:17], v[14:15] offset:2048
.LBB2596_80:
	s_or_b64 exec, exec, s[0:1]
	v_cmp_lt_u64_e64 s[0:1], s[10:11], 2
	s_and_b64 vcc, exec, s[0:1]
	s_cbranch_vccnz .LBB2596_104
; %bb.81:
	s_add_u32 s0, s28, -1
	s_addc_u32 s1, s29, -1
	s_add_u32 s2, 0, 0x92481000
	s_addc_u32 s3, 0, 0x64
	s_add_i32 s3, s3, 0x249248c0
	s_mul_hi_u32 s9, s2, -7
	s_sub_i32 s9, s9, s2
	s_mul_i32 s10, s3, -7
	s_mul_i32 s4, s2, -7
	s_add_i32 s9, s9, s10
	s_mul_hi_u32 s5, s3, s4
	s_mul_i32 s8, s3, s4
	s_mul_i32 s11, s2, s9
	s_mul_hi_u32 s4, s2, s4
	s_mul_hi_u32 s10, s2, s9
	s_add_u32 s4, s4, s11
	s_addc_u32 s10, 0, s10
	s_add_u32 s4, s4, s8
	s_mul_hi_u32 s11, s3, s9
	s_addc_u32 s4, s10, s5
	s_addc_u32 s5, s11, 0
	s_mul_i32 s8, s3, s9
	s_add_u32 s4, s4, s8
	v_mov_b32_e32 v16, s4
	s_addc_u32 s5, 0, s5
	v_add_co_u32_e32 v16, vcc, s2, v16
	s_cmp_lg_u64 vcc, 0
	s_addc_u32 s2, s3, s5
	v_readfirstlane_b32 s5, v16
	s_mul_i32 s4, s0, s2
	s_mul_hi_u32 s8, s0, s5
	s_mul_hi_u32 s3, s0, s2
	s_add_u32 s4, s8, s4
	s_addc_u32 s3, 0, s3
	s_mul_hi_u32 s9, s1, s5
	s_mul_i32 s5, s1, s5
	s_add_u32 s4, s4, s5
	s_mul_hi_u32 s8, s1, s2
	s_addc_u32 s3, s3, s9
	s_addc_u32 s4, s8, 0
	s_mul_i32 s2, s1, s2
	s_add_u32 s2, s3, s2
	s_addc_u32 s3, 0, s4
	s_add_u32 s4, s2, 1
	s_addc_u32 s5, s3, 0
	s_add_u32 s8, s2, 2
	s_mul_i32 s10, s3, 7
	s_mul_hi_u32 s11, s2, 7
	s_addc_u32 s9, s3, 0
	s_add_i32 s11, s11, s10
	s_mul_i32 s10, s2, 7
	v_mov_b32_e32 v16, s10
	v_sub_co_u32_e32 v16, vcc, s0, v16
	s_cmp_lg_u64 vcc, 0
	s_subb_u32 s10, s1, s11
	v_subrev_co_u32_e32 v17, vcc, 7, v16
	s_cmp_lg_u64 vcc, 0
	s_subb_u32 s11, s10, 0
	v_readfirstlane_b32 s12, v17
	s_cmp_gt_u32 s12, 6
	s_cselect_b32 s12, -1, 0
	s_cmp_eq_u32 s11, 0
	s_cselect_b32 s11, s12, -1
	s_cmp_lg_u32 s11, 0
	s_cselect_b32 s4, s8, s4
	v_readfirstlane_b32 s8, v16
	s_cselect_b32 s5, s9, s5
	s_cmp_gt_u32 s8, 6
	s_cselect_b32 s8, -1, 0
	s_cmp_eq_u32 s10, 0
	s_cselect_b32 s8, s8, -1
	s_cmp_lg_u32 s8, 0
	s_cselect_b32 s3, s5, s3
	s_cselect_b32 s2, s4, s2
	v_cmp_eq_u64_e32 vcc, s[2:3], v[0:1]
	s_and_saveexec_b64 s[2:3], vcc
	s_cbranch_execz .LBB2596_104
; %bb.82:
	v_mul_hi_u32_u24_e32 v1, 7, v0
	v_mov_b32_e32 v16, s1
	v_sub_co_u32_e32 v0, vcc, s0, v37
	v_subb_co_u32_e32 v1, vcc, v16, v1, vcc
	v_cmp_lt_i64_e32 vcc, 3, v[0:1]
	s_and_saveexec_b64 s[0:1], vcc
	s_xor_b64 s[0:1], exec, s[0:1]
	s_cbranch_execz .LBB2596_92
; %bb.83:
	v_cmp_lt_i64_e32 vcc, 4, v[0:1]
	s_and_saveexec_b64 s[2:3], vcc
	s_xor_b64 s[2:3], exec, s[2:3]
	s_cbranch_execz .LBB2596_89
; %bb.84:
	;; [unrolled: 5-line block ×3, first 2 shown]
	v_mov_b32_e32 v0, 0
	s_waitcnt lgkmcnt(0)
	global_store_dwordx2 v0, v[14:15], s[6:7]
                                        ; implicit-def: $vgpr10_vgpr11_vgpr12_vgpr13
.LBB2596_86:
	s_andn2_saveexec_b64 s[4:5], s[4:5]
	s_cbranch_execz .LBB2596_88
; %bb.87:
	v_mov_b32_e32 v0, 0
	s_waitcnt lgkmcnt(0)
	global_store_dwordx2 v0, v[12:13], s[6:7]
.LBB2596_88:
	s_or_b64 exec, exec, s[4:5]
                                        ; implicit-def: $vgpr10_vgpr11_vgpr12_vgpr13
.LBB2596_89:
	s_andn2_saveexec_b64 s[2:3], s[2:3]
	s_cbranch_execz .LBB2596_91
; %bb.90:
	v_mov_b32_e32 v0, 0
	s_waitcnt lgkmcnt(0)
	global_store_dwordx2 v0, v[10:11], s[6:7]
.LBB2596_91:
	s_or_b64 exec, exec, s[2:3]
                                        ; implicit-def: $vgpr0_vgpr1
                                        ; implicit-def: $vgpr2_vgpr3_vgpr4_vgpr5
                                        ; implicit-def: $vgpr6_vgpr7_vgpr8_vgpr9
.LBB2596_92:
	s_andn2_saveexec_b64 s[0:1], s[0:1]
	s_cbranch_execz .LBB2596_104
; %bb.93:
	v_cmp_lt_i64_e32 vcc, 1, v[0:1]
	s_and_saveexec_b64 s[0:1], vcc
	s_xor_b64 s[0:1], exec, s[0:1]
	s_cbranch_execz .LBB2596_99
; %bb.94:
	v_cmp_lt_i64_e32 vcc, 2, v[0:1]
	s_and_saveexec_b64 s[2:3], vcc
	s_xor_b64 s[2:3], exec, s[2:3]
	s_cbranch_execz .LBB2596_96
; %bb.95:
	v_mov_b32_e32 v0, 0
	s_waitcnt lgkmcnt(0)
	global_store_dwordx2 v0, v[8:9], s[6:7]
                                        ; implicit-def: $vgpr6_vgpr7_vgpr8_vgpr9
.LBB2596_96:
	s_andn2_saveexec_b64 s[2:3], s[2:3]
	s_cbranch_execz .LBB2596_98
; %bb.97:
	v_mov_b32_e32 v0, 0
	s_waitcnt lgkmcnt(0)
	global_store_dwordx2 v0, v[6:7], s[6:7]
.LBB2596_98:
	s_or_b64 exec, exec, s[2:3]
                                        ; implicit-def: $vgpr2_vgpr3_vgpr4_vgpr5
                                        ; implicit-def: $vgpr0_vgpr1
.LBB2596_99:
	s_andn2_saveexec_b64 s[0:1], s[0:1]
	s_cbranch_execz .LBB2596_104
; %bb.100:
	v_cmp_ne_u64_e32 vcc, 1, v[0:1]
	s_and_saveexec_b64 s[0:1], vcc
	s_xor_b64 s[0:1], exec, s[0:1]
	s_cbranch_execz .LBB2596_102
; %bb.101:
	v_mov_b32_e32 v0, 0
	s_waitcnt lgkmcnt(0)
	global_store_dwordx2 v0, v[2:3], s[6:7]
                                        ; implicit-def: $vgpr2_vgpr3_vgpr4_vgpr5
.LBB2596_102:
	s_andn2_saveexec_b64 s[0:1], s[0:1]
	s_cbranch_execz .LBB2596_104
; %bb.103:
	v_mov_b32_e32 v0, 0
	s_waitcnt lgkmcnt(0)
	global_store_dwordx2 v0, v[4:5], s[6:7]
.LBB2596_104:
	s_endpgm
	.section	.rodata,"a",@progbits
	.p2align	6, 0x0
	.amdhsa_kernel _ZN7rocprim17ROCPRIM_400000_NS6detail17trampoline_kernelINS0_14default_configENS1_20scan_config_selectorIxEEZZNS1_9scan_implILNS1_25lookback_scan_determinismE0ELb0ELb0ES3_N6thrust23THRUST_200600_302600_NS6detail15normal_iteratorINS9_10device_ptrIxEEEESE_x11max_functorIxExEEDaPvRmT3_T4_T5_mT6_P12ihipStream_tbENKUlT_T0_E_clISt17integral_constantIbLb1EEST_IbLb0EEEEDaSP_SQ_EUlSP_E_NS1_11comp_targetILNS1_3genE4ELNS1_11target_archE910ELNS1_3gpuE8ELNS1_3repE0EEENS1_30default_config_static_selectorELNS0_4arch9wavefront6targetE1EEEvT1_
		.amdhsa_group_segment_fixed_size 7168
		.amdhsa_private_segment_fixed_size 0
		.amdhsa_kernarg_size 104
		.amdhsa_user_sgpr_count 6
		.amdhsa_user_sgpr_private_segment_buffer 1
		.amdhsa_user_sgpr_dispatch_ptr 0
		.amdhsa_user_sgpr_queue_ptr 0
		.amdhsa_user_sgpr_kernarg_segment_ptr 1
		.amdhsa_user_sgpr_dispatch_id 0
		.amdhsa_user_sgpr_flat_scratch_init 0
		.amdhsa_user_sgpr_kernarg_preload_length 0
		.amdhsa_user_sgpr_kernarg_preload_offset 0
		.amdhsa_user_sgpr_private_segment_size 0
		.amdhsa_uses_dynamic_stack 0
		.amdhsa_system_sgpr_private_segment_wavefront_offset 0
		.amdhsa_system_sgpr_workgroup_id_x 1
		.amdhsa_system_sgpr_workgroup_id_y 0
		.amdhsa_system_sgpr_workgroup_id_z 0
		.amdhsa_system_sgpr_workgroup_info 0
		.amdhsa_system_vgpr_workitem_id 0
		.amdhsa_next_free_vgpr 58
		.amdhsa_next_free_sgpr 30
		.amdhsa_accum_offset 60
		.amdhsa_reserve_vcc 1
		.amdhsa_reserve_flat_scratch 0
		.amdhsa_float_round_mode_32 0
		.amdhsa_float_round_mode_16_64 0
		.amdhsa_float_denorm_mode_32 3
		.amdhsa_float_denorm_mode_16_64 3
		.amdhsa_dx10_clamp 1
		.amdhsa_ieee_mode 1
		.amdhsa_fp16_overflow 0
		.amdhsa_tg_split 0
		.amdhsa_exception_fp_ieee_invalid_op 0
		.amdhsa_exception_fp_denorm_src 0
		.amdhsa_exception_fp_ieee_div_zero 0
		.amdhsa_exception_fp_ieee_overflow 0
		.amdhsa_exception_fp_ieee_underflow 0
		.amdhsa_exception_fp_ieee_inexact 0
		.amdhsa_exception_int_div_zero 0
	.end_amdhsa_kernel
	.section	.text._ZN7rocprim17ROCPRIM_400000_NS6detail17trampoline_kernelINS0_14default_configENS1_20scan_config_selectorIxEEZZNS1_9scan_implILNS1_25lookback_scan_determinismE0ELb0ELb0ES3_N6thrust23THRUST_200600_302600_NS6detail15normal_iteratorINS9_10device_ptrIxEEEESE_x11max_functorIxExEEDaPvRmT3_T4_T5_mT6_P12ihipStream_tbENKUlT_T0_E_clISt17integral_constantIbLb1EEST_IbLb0EEEEDaSP_SQ_EUlSP_E_NS1_11comp_targetILNS1_3genE4ELNS1_11target_archE910ELNS1_3gpuE8ELNS1_3repE0EEENS1_30default_config_static_selectorELNS0_4arch9wavefront6targetE1EEEvT1_,"axG",@progbits,_ZN7rocprim17ROCPRIM_400000_NS6detail17trampoline_kernelINS0_14default_configENS1_20scan_config_selectorIxEEZZNS1_9scan_implILNS1_25lookback_scan_determinismE0ELb0ELb0ES3_N6thrust23THRUST_200600_302600_NS6detail15normal_iteratorINS9_10device_ptrIxEEEESE_x11max_functorIxExEEDaPvRmT3_T4_T5_mT6_P12ihipStream_tbENKUlT_T0_E_clISt17integral_constantIbLb1EEST_IbLb0EEEEDaSP_SQ_EUlSP_E_NS1_11comp_targetILNS1_3genE4ELNS1_11target_archE910ELNS1_3gpuE8ELNS1_3repE0EEENS1_30default_config_static_selectorELNS0_4arch9wavefront6targetE1EEEvT1_,comdat
.Lfunc_end2596:
	.size	_ZN7rocprim17ROCPRIM_400000_NS6detail17trampoline_kernelINS0_14default_configENS1_20scan_config_selectorIxEEZZNS1_9scan_implILNS1_25lookback_scan_determinismE0ELb0ELb0ES3_N6thrust23THRUST_200600_302600_NS6detail15normal_iteratorINS9_10device_ptrIxEEEESE_x11max_functorIxExEEDaPvRmT3_T4_T5_mT6_P12ihipStream_tbENKUlT_T0_E_clISt17integral_constantIbLb1EEST_IbLb0EEEEDaSP_SQ_EUlSP_E_NS1_11comp_targetILNS1_3genE4ELNS1_11target_archE910ELNS1_3gpuE8ELNS1_3repE0EEENS1_30default_config_static_selectorELNS0_4arch9wavefront6targetE1EEEvT1_, .Lfunc_end2596-_ZN7rocprim17ROCPRIM_400000_NS6detail17trampoline_kernelINS0_14default_configENS1_20scan_config_selectorIxEEZZNS1_9scan_implILNS1_25lookback_scan_determinismE0ELb0ELb0ES3_N6thrust23THRUST_200600_302600_NS6detail15normal_iteratorINS9_10device_ptrIxEEEESE_x11max_functorIxExEEDaPvRmT3_T4_T5_mT6_P12ihipStream_tbENKUlT_T0_E_clISt17integral_constantIbLb1EEST_IbLb0EEEEDaSP_SQ_EUlSP_E_NS1_11comp_targetILNS1_3genE4ELNS1_11target_archE910ELNS1_3gpuE8ELNS1_3repE0EEENS1_30default_config_static_selectorELNS0_4arch9wavefront6targetE1EEEvT1_
                                        ; -- End function
	.section	.AMDGPU.csdata,"",@progbits
; Kernel info:
; codeLenInByte = 6120
; NumSgprs: 34
; NumVgprs: 58
; NumAgprs: 0
; TotalNumVgprs: 58
; ScratchSize: 0
; MemoryBound: 0
; FloatMode: 240
; IeeeMode: 1
; LDSByteSize: 7168 bytes/workgroup (compile time only)
; SGPRBlocks: 4
; VGPRBlocks: 7
; NumSGPRsForWavesPerEU: 34
; NumVGPRsForWavesPerEU: 58
; AccumOffset: 60
; Occupancy: 5
; WaveLimiterHint : 1
; COMPUTE_PGM_RSRC2:SCRATCH_EN: 0
; COMPUTE_PGM_RSRC2:USER_SGPR: 6
; COMPUTE_PGM_RSRC2:TRAP_HANDLER: 0
; COMPUTE_PGM_RSRC2:TGID_X_EN: 1
; COMPUTE_PGM_RSRC2:TGID_Y_EN: 0
; COMPUTE_PGM_RSRC2:TGID_Z_EN: 0
; COMPUTE_PGM_RSRC2:TIDIG_COMP_CNT: 0
; COMPUTE_PGM_RSRC3_GFX90A:ACCUM_OFFSET: 14
; COMPUTE_PGM_RSRC3_GFX90A:TG_SPLIT: 0
	.section	.text._ZN7rocprim17ROCPRIM_400000_NS6detail17trampoline_kernelINS0_14default_configENS1_20scan_config_selectorIxEEZZNS1_9scan_implILNS1_25lookback_scan_determinismE0ELb0ELb0ES3_N6thrust23THRUST_200600_302600_NS6detail15normal_iteratorINS9_10device_ptrIxEEEESE_x11max_functorIxExEEDaPvRmT3_T4_T5_mT6_P12ihipStream_tbENKUlT_T0_E_clISt17integral_constantIbLb1EEST_IbLb0EEEEDaSP_SQ_EUlSP_E_NS1_11comp_targetILNS1_3genE3ELNS1_11target_archE908ELNS1_3gpuE7ELNS1_3repE0EEENS1_30default_config_static_selectorELNS0_4arch9wavefront6targetE1EEEvT1_,"axG",@progbits,_ZN7rocprim17ROCPRIM_400000_NS6detail17trampoline_kernelINS0_14default_configENS1_20scan_config_selectorIxEEZZNS1_9scan_implILNS1_25lookback_scan_determinismE0ELb0ELb0ES3_N6thrust23THRUST_200600_302600_NS6detail15normal_iteratorINS9_10device_ptrIxEEEESE_x11max_functorIxExEEDaPvRmT3_T4_T5_mT6_P12ihipStream_tbENKUlT_T0_E_clISt17integral_constantIbLb1EEST_IbLb0EEEEDaSP_SQ_EUlSP_E_NS1_11comp_targetILNS1_3genE3ELNS1_11target_archE908ELNS1_3gpuE7ELNS1_3repE0EEENS1_30default_config_static_selectorELNS0_4arch9wavefront6targetE1EEEvT1_,comdat
	.protected	_ZN7rocprim17ROCPRIM_400000_NS6detail17trampoline_kernelINS0_14default_configENS1_20scan_config_selectorIxEEZZNS1_9scan_implILNS1_25lookback_scan_determinismE0ELb0ELb0ES3_N6thrust23THRUST_200600_302600_NS6detail15normal_iteratorINS9_10device_ptrIxEEEESE_x11max_functorIxExEEDaPvRmT3_T4_T5_mT6_P12ihipStream_tbENKUlT_T0_E_clISt17integral_constantIbLb1EEST_IbLb0EEEEDaSP_SQ_EUlSP_E_NS1_11comp_targetILNS1_3genE3ELNS1_11target_archE908ELNS1_3gpuE7ELNS1_3repE0EEENS1_30default_config_static_selectorELNS0_4arch9wavefront6targetE1EEEvT1_ ; -- Begin function _ZN7rocprim17ROCPRIM_400000_NS6detail17trampoline_kernelINS0_14default_configENS1_20scan_config_selectorIxEEZZNS1_9scan_implILNS1_25lookback_scan_determinismE0ELb0ELb0ES3_N6thrust23THRUST_200600_302600_NS6detail15normal_iteratorINS9_10device_ptrIxEEEESE_x11max_functorIxExEEDaPvRmT3_T4_T5_mT6_P12ihipStream_tbENKUlT_T0_E_clISt17integral_constantIbLb1EEST_IbLb0EEEEDaSP_SQ_EUlSP_E_NS1_11comp_targetILNS1_3genE3ELNS1_11target_archE908ELNS1_3gpuE7ELNS1_3repE0EEENS1_30default_config_static_selectorELNS0_4arch9wavefront6targetE1EEEvT1_
	.globl	_ZN7rocprim17ROCPRIM_400000_NS6detail17trampoline_kernelINS0_14default_configENS1_20scan_config_selectorIxEEZZNS1_9scan_implILNS1_25lookback_scan_determinismE0ELb0ELb0ES3_N6thrust23THRUST_200600_302600_NS6detail15normal_iteratorINS9_10device_ptrIxEEEESE_x11max_functorIxExEEDaPvRmT3_T4_T5_mT6_P12ihipStream_tbENKUlT_T0_E_clISt17integral_constantIbLb1EEST_IbLb0EEEEDaSP_SQ_EUlSP_E_NS1_11comp_targetILNS1_3genE3ELNS1_11target_archE908ELNS1_3gpuE7ELNS1_3repE0EEENS1_30default_config_static_selectorELNS0_4arch9wavefront6targetE1EEEvT1_
	.p2align	8
	.type	_ZN7rocprim17ROCPRIM_400000_NS6detail17trampoline_kernelINS0_14default_configENS1_20scan_config_selectorIxEEZZNS1_9scan_implILNS1_25lookback_scan_determinismE0ELb0ELb0ES3_N6thrust23THRUST_200600_302600_NS6detail15normal_iteratorINS9_10device_ptrIxEEEESE_x11max_functorIxExEEDaPvRmT3_T4_T5_mT6_P12ihipStream_tbENKUlT_T0_E_clISt17integral_constantIbLb1EEST_IbLb0EEEEDaSP_SQ_EUlSP_E_NS1_11comp_targetILNS1_3genE3ELNS1_11target_archE908ELNS1_3gpuE7ELNS1_3repE0EEENS1_30default_config_static_selectorELNS0_4arch9wavefront6targetE1EEEvT1_,@function
_ZN7rocprim17ROCPRIM_400000_NS6detail17trampoline_kernelINS0_14default_configENS1_20scan_config_selectorIxEEZZNS1_9scan_implILNS1_25lookback_scan_determinismE0ELb0ELb0ES3_N6thrust23THRUST_200600_302600_NS6detail15normal_iteratorINS9_10device_ptrIxEEEESE_x11max_functorIxExEEDaPvRmT3_T4_T5_mT6_P12ihipStream_tbENKUlT_T0_E_clISt17integral_constantIbLb1EEST_IbLb0EEEEDaSP_SQ_EUlSP_E_NS1_11comp_targetILNS1_3genE3ELNS1_11target_archE908ELNS1_3gpuE7ELNS1_3repE0EEENS1_30default_config_static_selectorELNS0_4arch9wavefront6targetE1EEEvT1_: ; @_ZN7rocprim17ROCPRIM_400000_NS6detail17trampoline_kernelINS0_14default_configENS1_20scan_config_selectorIxEEZZNS1_9scan_implILNS1_25lookback_scan_determinismE0ELb0ELb0ES3_N6thrust23THRUST_200600_302600_NS6detail15normal_iteratorINS9_10device_ptrIxEEEESE_x11max_functorIxExEEDaPvRmT3_T4_T5_mT6_P12ihipStream_tbENKUlT_T0_E_clISt17integral_constantIbLb1EEST_IbLb0EEEEDaSP_SQ_EUlSP_E_NS1_11comp_targetILNS1_3genE3ELNS1_11target_archE908ELNS1_3gpuE7ELNS1_3repE0EEENS1_30default_config_static_selectorELNS0_4arch9wavefront6targetE1EEEvT1_
; %bb.0:
	.section	.rodata,"a",@progbits
	.p2align	6, 0x0
	.amdhsa_kernel _ZN7rocprim17ROCPRIM_400000_NS6detail17trampoline_kernelINS0_14default_configENS1_20scan_config_selectorIxEEZZNS1_9scan_implILNS1_25lookback_scan_determinismE0ELb0ELb0ES3_N6thrust23THRUST_200600_302600_NS6detail15normal_iteratorINS9_10device_ptrIxEEEESE_x11max_functorIxExEEDaPvRmT3_T4_T5_mT6_P12ihipStream_tbENKUlT_T0_E_clISt17integral_constantIbLb1EEST_IbLb0EEEEDaSP_SQ_EUlSP_E_NS1_11comp_targetILNS1_3genE3ELNS1_11target_archE908ELNS1_3gpuE7ELNS1_3repE0EEENS1_30default_config_static_selectorELNS0_4arch9wavefront6targetE1EEEvT1_
		.amdhsa_group_segment_fixed_size 0
		.amdhsa_private_segment_fixed_size 0
		.amdhsa_kernarg_size 104
		.amdhsa_user_sgpr_count 6
		.amdhsa_user_sgpr_private_segment_buffer 1
		.amdhsa_user_sgpr_dispatch_ptr 0
		.amdhsa_user_sgpr_queue_ptr 0
		.amdhsa_user_sgpr_kernarg_segment_ptr 1
		.amdhsa_user_sgpr_dispatch_id 0
		.amdhsa_user_sgpr_flat_scratch_init 0
		.amdhsa_user_sgpr_kernarg_preload_length 0
		.amdhsa_user_sgpr_kernarg_preload_offset 0
		.amdhsa_user_sgpr_private_segment_size 0
		.amdhsa_uses_dynamic_stack 0
		.amdhsa_system_sgpr_private_segment_wavefront_offset 0
		.amdhsa_system_sgpr_workgroup_id_x 1
		.amdhsa_system_sgpr_workgroup_id_y 0
		.amdhsa_system_sgpr_workgroup_id_z 0
		.amdhsa_system_sgpr_workgroup_info 0
		.amdhsa_system_vgpr_workitem_id 0
		.amdhsa_next_free_vgpr 1
		.amdhsa_next_free_sgpr 0
		.amdhsa_accum_offset 4
		.amdhsa_reserve_vcc 0
		.amdhsa_reserve_flat_scratch 0
		.amdhsa_float_round_mode_32 0
		.amdhsa_float_round_mode_16_64 0
		.amdhsa_float_denorm_mode_32 3
		.amdhsa_float_denorm_mode_16_64 3
		.amdhsa_dx10_clamp 1
		.amdhsa_ieee_mode 1
		.amdhsa_fp16_overflow 0
		.amdhsa_tg_split 0
		.amdhsa_exception_fp_ieee_invalid_op 0
		.amdhsa_exception_fp_denorm_src 0
		.amdhsa_exception_fp_ieee_div_zero 0
		.amdhsa_exception_fp_ieee_overflow 0
		.amdhsa_exception_fp_ieee_underflow 0
		.amdhsa_exception_fp_ieee_inexact 0
		.amdhsa_exception_int_div_zero 0
	.end_amdhsa_kernel
	.section	.text._ZN7rocprim17ROCPRIM_400000_NS6detail17trampoline_kernelINS0_14default_configENS1_20scan_config_selectorIxEEZZNS1_9scan_implILNS1_25lookback_scan_determinismE0ELb0ELb0ES3_N6thrust23THRUST_200600_302600_NS6detail15normal_iteratorINS9_10device_ptrIxEEEESE_x11max_functorIxExEEDaPvRmT3_T4_T5_mT6_P12ihipStream_tbENKUlT_T0_E_clISt17integral_constantIbLb1EEST_IbLb0EEEEDaSP_SQ_EUlSP_E_NS1_11comp_targetILNS1_3genE3ELNS1_11target_archE908ELNS1_3gpuE7ELNS1_3repE0EEENS1_30default_config_static_selectorELNS0_4arch9wavefront6targetE1EEEvT1_,"axG",@progbits,_ZN7rocprim17ROCPRIM_400000_NS6detail17trampoline_kernelINS0_14default_configENS1_20scan_config_selectorIxEEZZNS1_9scan_implILNS1_25lookback_scan_determinismE0ELb0ELb0ES3_N6thrust23THRUST_200600_302600_NS6detail15normal_iteratorINS9_10device_ptrIxEEEESE_x11max_functorIxExEEDaPvRmT3_T4_T5_mT6_P12ihipStream_tbENKUlT_T0_E_clISt17integral_constantIbLb1EEST_IbLb0EEEEDaSP_SQ_EUlSP_E_NS1_11comp_targetILNS1_3genE3ELNS1_11target_archE908ELNS1_3gpuE7ELNS1_3repE0EEENS1_30default_config_static_selectorELNS0_4arch9wavefront6targetE1EEEvT1_,comdat
.Lfunc_end2597:
	.size	_ZN7rocprim17ROCPRIM_400000_NS6detail17trampoline_kernelINS0_14default_configENS1_20scan_config_selectorIxEEZZNS1_9scan_implILNS1_25lookback_scan_determinismE0ELb0ELb0ES3_N6thrust23THRUST_200600_302600_NS6detail15normal_iteratorINS9_10device_ptrIxEEEESE_x11max_functorIxExEEDaPvRmT3_T4_T5_mT6_P12ihipStream_tbENKUlT_T0_E_clISt17integral_constantIbLb1EEST_IbLb0EEEEDaSP_SQ_EUlSP_E_NS1_11comp_targetILNS1_3genE3ELNS1_11target_archE908ELNS1_3gpuE7ELNS1_3repE0EEENS1_30default_config_static_selectorELNS0_4arch9wavefront6targetE1EEEvT1_, .Lfunc_end2597-_ZN7rocprim17ROCPRIM_400000_NS6detail17trampoline_kernelINS0_14default_configENS1_20scan_config_selectorIxEEZZNS1_9scan_implILNS1_25lookback_scan_determinismE0ELb0ELb0ES3_N6thrust23THRUST_200600_302600_NS6detail15normal_iteratorINS9_10device_ptrIxEEEESE_x11max_functorIxExEEDaPvRmT3_T4_T5_mT6_P12ihipStream_tbENKUlT_T0_E_clISt17integral_constantIbLb1EEST_IbLb0EEEEDaSP_SQ_EUlSP_E_NS1_11comp_targetILNS1_3genE3ELNS1_11target_archE908ELNS1_3gpuE7ELNS1_3repE0EEENS1_30default_config_static_selectorELNS0_4arch9wavefront6targetE1EEEvT1_
                                        ; -- End function
	.section	.AMDGPU.csdata,"",@progbits
; Kernel info:
; codeLenInByte = 0
; NumSgprs: 4
; NumVgprs: 0
; NumAgprs: 0
; TotalNumVgprs: 0
; ScratchSize: 0
; MemoryBound: 0
; FloatMode: 240
; IeeeMode: 1
; LDSByteSize: 0 bytes/workgroup (compile time only)
; SGPRBlocks: 0
; VGPRBlocks: 0
; NumSGPRsForWavesPerEU: 4
; NumVGPRsForWavesPerEU: 1
; AccumOffset: 4
; Occupancy: 8
; WaveLimiterHint : 0
; COMPUTE_PGM_RSRC2:SCRATCH_EN: 0
; COMPUTE_PGM_RSRC2:USER_SGPR: 6
; COMPUTE_PGM_RSRC2:TRAP_HANDLER: 0
; COMPUTE_PGM_RSRC2:TGID_X_EN: 1
; COMPUTE_PGM_RSRC2:TGID_Y_EN: 0
; COMPUTE_PGM_RSRC2:TGID_Z_EN: 0
; COMPUTE_PGM_RSRC2:TIDIG_COMP_CNT: 0
; COMPUTE_PGM_RSRC3_GFX90A:ACCUM_OFFSET: 0
; COMPUTE_PGM_RSRC3_GFX90A:TG_SPLIT: 0
	.section	.text._ZN7rocprim17ROCPRIM_400000_NS6detail17trampoline_kernelINS0_14default_configENS1_20scan_config_selectorIxEEZZNS1_9scan_implILNS1_25lookback_scan_determinismE0ELb0ELb0ES3_N6thrust23THRUST_200600_302600_NS6detail15normal_iteratorINS9_10device_ptrIxEEEESE_x11max_functorIxExEEDaPvRmT3_T4_T5_mT6_P12ihipStream_tbENKUlT_T0_E_clISt17integral_constantIbLb1EEST_IbLb0EEEEDaSP_SQ_EUlSP_E_NS1_11comp_targetILNS1_3genE2ELNS1_11target_archE906ELNS1_3gpuE6ELNS1_3repE0EEENS1_30default_config_static_selectorELNS0_4arch9wavefront6targetE1EEEvT1_,"axG",@progbits,_ZN7rocprim17ROCPRIM_400000_NS6detail17trampoline_kernelINS0_14default_configENS1_20scan_config_selectorIxEEZZNS1_9scan_implILNS1_25lookback_scan_determinismE0ELb0ELb0ES3_N6thrust23THRUST_200600_302600_NS6detail15normal_iteratorINS9_10device_ptrIxEEEESE_x11max_functorIxExEEDaPvRmT3_T4_T5_mT6_P12ihipStream_tbENKUlT_T0_E_clISt17integral_constantIbLb1EEST_IbLb0EEEEDaSP_SQ_EUlSP_E_NS1_11comp_targetILNS1_3genE2ELNS1_11target_archE906ELNS1_3gpuE6ELNS1_3repE0EEENS1_30default_config_static_selectorELNS0_4arch9wavefront6targetE1EEEvT1_,comdat
	.protected	_ZN7rocprim17ROCPRIM_400000_NS6detail17trampoline_kernelINS0_14default_configENS1_20scan_config_selectorIxEEZZNS1_9scan_implILNS1_25lookback_scan_determinismE0ELb0ELb0ES3_N6thrust23THRUST_200600_302600_NS6detail15normal_iteratorINS9_10device_ptrIxEEEESE_x11max_functorIxExEEDaPvRmT3_T4_T5_mT6_P12ihipStream_tbENKUlT_T0_E_clISt17integral_constantIbLb1EEST_IbLb0EEEEDaSP_SQ_EUlSP_E_NS1_11comp_targetILNS1_3genE2ELNS1_11target_archE906ELNS1_3gpuE6ELNS1_3repE0EEENS1_30default_config_static_selectorELNS0_4arch9wavefront6targetE1EEEvT1_ ; -- Begin function _ZN7rocprim17ROCPRIM_400000_NS6detail17trampoline_kernelINS0_14default_configENS1_20scan_config_selectorIxEEZZNS1_9scan_implILNS1_25lookback_scan_determinismE0ELb0ELb0ES3_N6thrust23THRUST_200600_302600_NS6detail15normal_iteratorINS9_10device_ptrIxEEEESE_x11max_functorIxExEEDaPvRmT3_T4_T5_mT6_P12ihipStream_tbENKUlT_T0_E_clISt17integral_constantIbLb1EEST_IbLb0EEEEDaSP_SQ_EUlSP_E_NS1_11comp_targetILNS1_3genE2ELNS1_11target_archE906ELNS1_3gpuE6ELNS1_3repE0EEENS1_30default_config_static_selectorELNS0_4arch9wavefront6targetE1EEEvT1_
	.globl	_ZN7rocprim17ROCPRIM_400000_NS6detail17trampoline_kernelINS0_14default_configENS1_20scan_config_selectorIxEEZZNS1_9scan_implILNS1_25lookback_scan_determinismE0ELb0ELb0ES3_N6thrust23THRUST_200600_302600_NS6detail15normal_iteratorINS9_10device_ptrIxEEEESE_x11max_functorIxExEEDaPvRmT3_T4_T5_mT6_P12ihipStream_tbENKUlT_T0_E_clISt17integral_constantIbLb1EEST_IbLb0EEEEDaSP_SQ_EUlSP_E_NS1_11comp_targetILNS1_3genE2ELNS1_11target_archE906ELNS1_3gpuE6ELNS1_3repE0EEENS1_30default_config_static_selectorELNS0_4arch9wavefront6targetE1EEEvT1_
	.p2align	8
	.type	_ZN7rocprim17ROCPRIM_400000_NS6detail17trampoline_kernelINS0_14default_configENS1_20scan_config_selectorIxEEZZNS1_9scan_implILNS1_25lookback_scan_determinismE0ELb0ELb0ES3_N6thrust23THRUST_200600_302600_NS6detail15normal_iteratorINS9_10device_ptrIxEEEESE_x11max_functorIxExEEDaPvRmT3_T4_T5_mT6_P12ihipStream_tbENKUlT_T0_E_clISt17integral_constantIbLb1EEST_IbLb0EEEEDaSP_SQ_EUlSP_E_NS1_11comp_targetILNS1_3genE2ELNS1_11target_archE906ELNS1_3gpuE6ELNS1_3repE0EEENS1_30default_config_static_selectorELNS0_4arch9wavefront6targetE1EEEvT1_,@function
_ZN7rocprim17ROCPRIM_400000_NS6detail17trampoline_kernelINS0_14default_configENS1_20scan_config_selectorIxEEZZNS1_9scan_implILNS1_25lookback_scan_determinismE0ELb0ELb0ES3_N6thrust23THRUST_200600_302600_NS6detail15normal_iteratorINS9_10device_ptrIxEEEESE_x11max_functorIxExEEDaPvRmT3_T4_T5_mT6_P12ihipStream_tbENKUlT_T0_E_clISt17integral_constantIbLb1EEST_IbLb0EEEEDaSP_SQ_EUlSP_E_NS1_11comp_targetILNS1_3genE2ELNS1_11target_archE906ELNS1_3gpuE6ELNS1_3repE0EEENS1_30default_config_static_selectorELNS0_4arch9wavefront6targetE1EEEvT1_: ; @_ZN7rocprim17ROCPRIM_400000_NS6detail17trampoline_kernelINS0_14default_configENS1_20scan_config_selectorIxEEZZNS1_9scan_implILNS1_25lookback_scan_determinismE0ELb0ELb0ES3_N6thrust23THRUST_200600_302600_NS6detail15normal_iteratorINS9_10device_ptrIxEEEESE_x11max_functorIxExEEDaPvRmT3_T4_T5_mT6_P12ihipStream_tbENKUlT_T0_E_clISt17integral_constantIbLb1EEST_IbLb0EEEEDaSP_SQ_EUlSP_E_NS1_11comp_targetILNS1_3genE2ELNS1_11target_archE906ELNS1_3gpuE6ELNS1_3repE0EEENS1_30default_config_static_selectorELNS0_4arch9wavefront6targetE1EEEvT1_
; %bb.0:
	.section	.rodata,"a",@progbits
	.p2align	6, 0x0
	.amdhsa_kernel _ZN7rocprim17ROCPRIM_400000_NS6detail17trampoline_kernelINS0_14default_configENS1_20scan_config_selectorIxEEZZNS1_9scan_implILNS1_25lookback_scan_determinismE0ELb0ELb0ES3_N6thrust23THRUST_200600_302600_NS6detail15normal_iteratorINS9_10device_ptrIxEEEESE_x11max_functorIxExEEDaPvRmT3_T4_T5_mT6_P12ihipStream_tbENKUlT_T0_E_clISt17integral_constantIbLb1EEST_IbLb0EEEEDaSP_SQ_EUlSP_E_NS1_11comp_targetILNS1_3genE2ELNS1_11target_archE906ELNS1_3gpuE6ELNS1_3repE0EEENS1_30default_config_static_selectorELNS0_4arch9wavefront6targetE1EEEvT1_
		.amdhsa_group_segment_fixed_size 0
		.amdhsa_private_segment_fixed_size 0
		.amdhsa_kernarg_size 104
		.amdhsa_user_sgpr_count 6
		.amdhsa_user_sgpr_private_segment_buffer 1
		.amdhsa_user_sgpr_dispatch_ptr 0
		.amdhsa_user_sgpr_queue_ptr 0
		.amdhsa_user_sgpr_kernarg_segment_ptr 1
		.amdhsa_user_sgpr_dispatch_id 0
		.amdhsa_user_sgpr_flat_scratch_init 0
		.amdhsa_user_sgpr_kernarg_preload_length 0
		.amdhsa_user_sgpr_kernarg_preload_offset 0
		.amdhsa_user_sgpr_private_segment_size 0
		.amdhsa_uses_dynamic_stack 0
		.amdhsa_system_sgpr_private_segment_wavefront_offset 0
		.amdhsa_system_sgpr_workgroup_id_x 1
		.amdhsa_system_sgpr_workgroup_id_y 0
		.amdhsa_system_sgpr_workgroup_id_z 0
		.amdhsa_system_sgpr_workgroup_info 0
		.amdhsa_system_vgpr_workitem_id 0
		.amdhsa_next_free_vgpr 1
		.amdhsa_next_free_sgpr 0
		.amdhsa_accum_offset 4
		.amdhsa_reserve_vcc 0
		.amdhsa_reserve_flat_scratch 0
		.amdhsa_float_round_mode_32 0
		.amdhsa_float_round_mode_16_64 0
		.amdhsa_float_denorm_mode_32 3
		.amdhsa_float_denorm_mode_16_64 3
		.amdhsa_dx10_clamp 1
		.amdhsa_ieee_mode 1
		.amdhsa_fp16_overflow 0
		.amdhsa_tg_split 0
		.amdhsa_exception_fp_ieee_invalid_op 0
		.amdhsa_exception_fp_denorm_src 0
		.amdhsa_exception_fp_ieee_div_zero 0
		.amdhsa_exception_fp_ieee_overflow 0
		.amdhsa_exception_fp_ieee_underflow 0
		.amdhsa_exception_fp_ieee_inexact 0
		.amdhsa_exception_int_div_zero 0
	.end_amdhsa_kernel
	.section	.text._ZN7rocprim17ROCPRIM_400000_NS6detail17trampoline_kernelINS0_14default_configENS1_20scan_config_selectorIxEEZZNS1_9scan_implILNS1_25lookback_scan_determinismE0ELb0ELb0ES3_N6thrust23THRUST_200600_302600_NS6detail15normal_iteratorINS9_10device_ptrIxEEEESE_x11max_functorIxExEEDaPvRmT3_T4_T5_mT6_P12ihipStream_tbENKUlT_T0_E_clISt17integral_constantIbLb1EEST_IbLb0EEEEDaSP_SQ_EUlSP_E_NS1_11comp_targetILNS1_3genE2ELNS1_11target_archE906ELNS1_3gpuE6ELNS1_3repE0EEENS1_30default_config_static_selectorELNS0_4arch9wavefront6targetE1EEEvT1_,"axG",@progbits,_ZN7rocprim17ROCPRIM_400000_NS6detail17trampoline_kernelINS0_14default_configENS1_20scan_config_selectorIxEEZZNS1_9scan_implILNS1_25lookback_scan_determinismE0ELb0ELb0ES3_N6thrust23THRUST_200600_302600_NS6detail15normal_iteratorINS9_10device_ptrIxEEEESE_x11max_functorIxExEEDaPvRmT3_T4_T5_mT6_P12ihipStream_tbENKUlT_T0_E_clISt17integral_constantIbLb1EEST_IbLb0EEEEDaSP_SQ_EUlSP_E_NS1_11comp_targetILNS1_3genE2ELNS1_11target_archE906ELNS1_3gpuE6ELNS1_3repE0EEENS1_30default_config_static_selectorELNS0_4arch9wavefront6targetE1EEEvT1_,comdat
.Lfunc_end2598:
	.size	_ZN7rocprim17ROCPRIM_400000_NS6detail17trampoline_kernelINS0_14default_configENS1_20scan_config_selectorIxEEZZNS1_9scan_implILNS1_25lookback_scan_determinismE0ELb0ELb0ES3_N6thrust23THRUST_200600_302600_NS6detail15normal_iteratorINS9_10device_ptrIxEEEESE_x11max_functorIxExEEDaPvRmT3_T4_T5_mT6_P12ihipStream_tbENKUlT_T0_E_clISt17integral_constantIbLb1EEST_IbLb0EEEEDaSP_SQ_EUlSP_E_NS1_11comp_targetILNS1_3genE2ELNS1_11target_archE906ELNS1_3gpuE6ELNS1_3repE0EEENS1_30default_config_static_selectorELNS0_4arch9wavefront6targetE1EEEvT1_, .Lfunc_end2598-_ZN7rocprim17ROCPRIM_400000_NS6detail17trampoline_kernelINS0_14default_configENS1_20scan_config_selectorIxEEZZNS1_9scan_implILNS1_25lookback_scan_determinismE0ELb0ELb0ES3_N6thrust23THRUST_200600_302600_NS6detail15normal_iteratorINS9_10device_ptrIxEEEESE_x11max_functorIxExEEDaPvRmT3_T4_T5_mT6_P12ihipStream_tbENKUlT_T0_E_clISt17integral_constantIbLb1EEST_IbLb0EEEEDaSP_SQ_EUlSP_E_NS1_11comp_targetILNS1_3genE2ELNS1_11target_archE906ELNS1_3gpuE6ELNS1_3repE0EEENS1_30default_config_static_selectorELNS0_4arch9wavefront6targetE1EEEvT1_
                                        ; -- End function
	.section	.AMDGPU.csdata,"",@progbits
; Kernel info:
; codeLenInByte = 0
; NumSgprs: 4
; NumVgprs: 0
; NumAgprs: 0
; TotalNumVgprs: 0
; ScratchSize: 0
; MemoryBound: 0
; FloatMode: 240
; IeeeMode: 1
; LDSByteSize: 0 bytes/workgroup (compile time only)
; SGPRBlocks: 0
; VGPRBlocks: 0
; NumSGPRsForWavesPerEU: 4
; NumVGPRsForWavesPerEU: 1
; AccumOffset: 4
; Occupancy: 8
; WaveLimiterHint : 0
; COMPUTE_PGM_RSRC2:SCRATCH_EN: 0
; COMPUTE_PGM_RSRC2:USER_SGPR: 6
; COMPUTE_PGM_RSRC2:TRAP_HANDLER: 0
; COMPUTE_PGM_RSRC2:TGID_X_EN: 1
; COMPUTE_PGM_RSRC2:TGID_Y_EN: 0
; COMPUTE_PGM_RSRC2:TGID_Z_EN: 0
; COMPUTE_PGM_RSRC2:TIDIG_COMP_CNT: 0
; COMPUTE_PGM_RSRC3_GFX90A:ACCUM_OFFSET: 0
; COMPUTE_PGM_RSRC3_GFX90A:TG_SPLIT: 0
	.section	.text._ZN7rocprim17ROCPRIM_400000_NS6detail17trampoline_kernelINS0_14default_configENS1_20scan_config_selectorIxEEZZNS1_9scan_implILNS1_25lookback_scan_determinismE0ELb0ELb0ES3_N6thrust23THRUST_200600_302600_NS6detail15normal_iteratorINS9_10device_ptrIxEEEESE_x11max_functorIxExEEDaPvRmT3_T4_T5_mT6_P12ihipStream_tbENKUlT_T0_E_clISt17integral_constantIbLb1EEST_IbLb0EEEEDaSP_SQ_EUlSP_E_NS1_11comp_targetILNS1_3genE10ELNS1_11target_archE1201ELNS1_3gpuE5ELNS1_3repE0EEENS1_30default_config_static_selectorELNS0_4arch9wavefront6targetE1EEEvT1_,"axG",@progbits,_ZN7rocprim17ROCPRIM_400000_NS6detail17trampoline_kernelINS0_14default_configENS1_20scan_config_selectorIxEEZZNS1_9scan_implILNS1_25lookback_scan_determinismE0ELb0ELb0ES3_N6thrust23THRUST_200600_302600_NS6detail15normal_iteratorINS9_10device_ptrIxEEEESE_x11max_functorIxExEEDaPvRmT3_T4_T5_mT6_P12ihipStream_tbENKUlT_T0_E_clISt17integral_constantIbLb1EEST_IbLb0EEEEDaSP_SQ_EUlSP_E_NS1_11comp_targetILNS1_3genE10ELNS1_11target_archE1201ELNS1_3gpuE5ELNS1_3repE0EEENS1_30default_config_static_selectorELNS0_4arch9wavefront6targetE1EEEvT1_,comdat
	.protected	_ZN7rocprim17ROCPRIM_400000_NS6detail17trampoline_kernelINS0_14default_configENS1_20scan_config_selectorIxEEZZNS1_9scan_implILNS1_25lookback_scan_determinismE0ELb0ELb0ES3_N6thrust23THRUST_200600_302600_NS6detail15normal_iteratorINS9_10device_ptrIxEEEESE_x11max_functorIxExEEDaPvRmT3_T4_T5_mT6_P12ihipStream_tbENKUlT_T0_E_clISt17integral_constantIbLb1EEST_IbLb0EEEEDaSP_SQ_EUlSP_E_NS1_11comp_targetILNS1_3genE10ELNS1_11target_archE1201ELNS1_3gpuE5ELNS1_3repE0EEENS1_30default_config_static_selectorELNS0_4arch9wavefront6targetE1EEEvT1_ ; -- Begin function _ZN7rocprim17ROCPRIM_400000_NS6detail17trampoline_kernelINS0_14default_configENS1_20scan_config_selectorIxEEZZNS1_9scan_implILNS1_25lookback_scan_determinismE0ELb0ELb0ES3_N6thrust23THRUST_200600_302600_NS6detail15normal_iteratorINS9_10device_ptrIxEEEESE_x11max_functorIxExEEDaPvRmT3_T4_T5_mT6_P12ihipStream_tbENKUlT_T0_E_clISt17integral_constantIbLb1EEST_IbLb0EEEEDaSP_SQ_EUlSP_E_NS1_11comp_targetILNS1_3genE10ELNS1_11target_archE1201ELNS1_3gpuE5ELNS1_3repE0EEENS1_30default_config_static_selectorELNS0_4arch9wavefront6targetE1EEEvT1_
	.globl	_ZN7rocprim17ROCPRIM_400000_NS6detail17trampoline_kernelINS0_14default_configENS1_20scan_config_selectorIxEEZZNS1_9scan_implILNS1_25lookback_scan_determinismE0ELb0ELb0ES3_N6thrust23THRUST_200600_302600_NS6detail15normal_iteratorINS9_10device_ptrIxEEEESE_x11max_functorIxExEEDaPvRmT3_T4_T5_mT6_P12ihipStream_tbENKUlT_T0_E_clISt17integral_constantIbLb1EEST_IbLb0EEEEDaSP_SQ_EUlSP_E_NS1_11comp_targetILNS1_3genE10ELNS1_11target_archE1201ELNS1_3gpuE5ELNS1_3repE0EEENS1_30default_config_static_selectorELNS0_4arch9wavefront6targetE1EEEvT1_
	.p2align	8
	.type	_ZN7rocprim17ROCPRIM_400000_NS6detail17trampoline_kernelINS0_14default_configENS1_20scan_config_selectorIxEEZZNS1_9scan_implILNS1_25lookback_scan_determinismE0ELb0ELb0ES3_N6thrust23THRUST_200600_302600_NS6detail15normal_iteratorINS9_10device_ptrIxEEEESE_x11max_functorIxExEEDaPvRmT3_T4_T5_mT6_P12ihipStream_tbENKUlT_T0_E_clISt17integral_constantIbLb1EEST_IbLb0EEEEDaSP_SQ_EUlSP_E_NS1_11comp_targetILNS1_3genE10ELNS1_11target_archE1201ELNS1_3gpuE5ELNS1_3repE0EEENS1_30default_config_static_selectorELNS0_4arch9wavefront6targetE1EEEvT1_,@function
_ZN7rocprim17ROCPRIM_400000_NS6detail17trampoline_kernelINS0_14default_configENS1_20scan_config_selectorIxEEZZNS1_9scan_implILNS1_25lookback_scan_determinismE0ELb0ELb0ES3_N6thrust23THRUST_200600_302600_NS6detail15normal_iteratorINS9_10device_ptrIxEEEESE_x11max_functorIxExEEDaPvRmT3_T4_T5_mT6_P12ihipStream_tbENKUlT_T0_E_clISt17integral_constantIbLb1EEST_IbLb0EEEEDaSP_SQ_EUlSP_E_NS1_11comp_targetILNS1_3genE10ELNS1_11target_archE1201ELNS1_3gpuE5ELNS1_3repE0EEENS1_30default_config_static_selectorELNS0_4arch9wavefront6targetE1EEEvT1_: ; @_ZN7rocprim17ROCPRIM_400000_NS6detail17trampoline_kernelINS0_14default_configENS1_20scan_config_selectorIxEEZZNS1_9scan_implILNS1_25lookback_scan_determinismE0ELb0ELb0ES3_N6thrust23THRUST_200600_302600_NS6detail15normal_iteratorINS9_10device_ptrIxEEEESE_x11max_functorIxExEEDaPvRmT3_T4_T5_mT6_P12ihipStream_tbENKUlT_T0_E_clISt17integral_constantIbLb1EEST_IbLb0EEEEDaSP_SQ_EUlSP_E_NS1_11comp_targetILNS1_3genE10ELNS1_11target_archE1201ELNS1_3gpuE5ELNS1_3repE0EEENS1_30default_config_static_selectorELNS0_4arch9wavefront6targetE1EEEvT1_
; %bb.0:
	.section	.rodata,"a",@progbits
	.p2align	6, 0x0
	.amdhsa_kernel _ZN7rocprim17ROCPRIM_400000_NS6detail17trampoline_kernelINS0_14default_configENS1_20scan_config_selectorIxEEZZNS1_9scan_implILNS1_25lookback_scan_determinismE0ELb0ELb0ES3_N6thrust23THRUST_200600_302600_NS6detail15normal_iteratorINS9_10device_ptrIxEEEESE_x11max_functorIxExEEDaPvRmT3_T4_T5_mT6_P12ihipStream_tbENKUlT_T0_E_clISt17integral_constantIbLb1EEST_IbLb0EEEEDaSP_SQ_EUlSP_E_NS1_11comp_targetILNS1_3genE10ELNS1_11target_archE1201ELNS1_3gpuE5ELNS1_3repE0EEENS1_30default_config_static_selectorELNS0_4arch9wavefront6targetE1EEEvT1_
		.amdhsa_group_segment_fixed_size 0
		.amdhsa_private_segment_fixed_size 0
		.amdhsa_kernarg_size 104
		.amdhsa_user_sgpr_count 6
		.amdhsa_user_sgpr_private_segment_buffer 1
		.amdhsa_user_sgpr_dispatch_ptr 0
		.amdhsa_user_sgpr_queue_ptr 0
		.amdhsa_user_sgpr_kernarg_segment_ptr 1
		.amdhsa_user_sgpr_dispatch_id 0
		.amdhsa_user_sgpr_flat_scratch_init 0
		.amdhsa_user_sgpr_kernarg_preload_length 0
		.amdhsa_user_sgpr_kernarg_preload_offset 0
		.amdhsa_user_sgpr_private_segment_size 0
		.amdhsa_uses_dynamic_stack 0
		.amdhsa_system_sgpr_private_segment_wavefront_offset 0
		.amdhsa_system_sgpr_workgroup_id_x 1
		.amdhsa_system_sgpr_workgroup_id_y 0
		.amdhsa_system_sgpr_workgroup_id_z 0
		.amdhsa_system_sgpr_workgroup_info 0
		.amdhsa_system_vgpr_workitem_id 0
		.amdhsa_next_free_vgpr 1
		.amdhsa_next_free_sgpr 0
		.amdhsa_accum_offset 4
		.amdhsa_reserve_vcc 0
		.amdhsa_reserve_flat_scratch 0
		.amdhsa_float_round_mode_32 0
		.amdhsa_float_round_mode_16_64 0
		.amdhsa_float_denorm_mode_32 3
		.amdhsa_float_denorm_mode_16_64 3
		.amdhsa_dx10_clamp 1
		.amdhsa_ieee_mode 1
		.amdhsa_fp16_overflow 0
		.amdhsa_tg_split 0
		.amdhsa_exception_fp_ieee_invalid_op 0
		.amdhsa_exception_fp_denorm_src 0
		.amdhsa_exception_fp_ieee_div_zero 0
		.amdhsa_exception_fp_ieee_overflow 0
		.amdhsa_exception_fp_ieee_underflow 0
		.amdhsa_exception_fp_ieee_inexact 0
		.amdhsa_exception_int_div_zero 0
	.end_amdhsa_kernel
	.section	.text._ZN7rocprim17ROCPRIM_400000_NS6detail17trampoline_kernelINS0_14default_configENS1_20scan_config_selectorIxEEZZNS1_9scan_implILNS1_25lookback_scan_determinismE0ELb0ELb0ES3_N6thrust23THRUST_200600_302600_NS6detail15normal_iteratorINS9_10device_ptrIxEEEESE_x11max_functorIxExEEDaPvRmT3_T4_T5_mT6_P12ihipStream_tbENKUlT_T0_E_clISt17integral_constantIbLb1EEST_IbLb0EEEEDaSP_SQ_EUlSP_E_NS1_11comp_targetILNS1_3genE10ELNS1_11target_archE1201ELNS1_3gpuE5ELNS1_3repE0EEENS1_30default_config_static_selectorELNS0_4arch9wavefront6targetE1EEEvT1_,"axG",@progbits,_ZN7rocprim17ROCPRIM_400000_NS6detail17trampoline_kernelINS0_14default_configENS1_20scan_config_selectorIxEEZZNS1_9scan_implILNS1_25lookback_scan_determinismE0ELb0ELb0ES3_N6thrust23THRUST_200600_302600_NS6detail15normal_iteratorINS9_10device_ptrIxEEEESE_x11max_functorIxExEEDaPvRmT3_T4_T5_mT6_P12ihipStream_tbENKUlT_T0_E_clISt17integral_constantIbLb1EEST_IbLb0EEEEDaSP_SQ_EUlSP_E_NS1_11comp_targetILNS1_3genE10ELNS1_11target_archE1201ELNS1_3gpuE5ELNS1_3repE0EEENS1_30default_config_static_selectorELNS0_4arch9wavefront6targetE1EEEvT1_,comdat
.Lfunc_end2599:
	.size	_ZN7rocprim17ROCPRIM_400000_NS6detail17trampoline_kernelINS0_14default_configENS1_20scan_config_selectorIxEEZZNS1_9scan_implILNS1_25lookback_scan_determinismE0ELb0ELb0ES3_N6thrust23THRUST_200600_302600_NS6detail15normal_iteratorINS9_10device_ptrIxEEEESE_x11max_functorIxExEEDaPvRmT3_T4_T5_mT6_P12ihipStream_tbENKUlT_T0_E_clISt17integral_constantIbLb1EEST_IbLb0EEEEDaSP_SQ_EUlSP_E_NS1_11comp_targetILNS1_3genE10ELNS1_11target_archE1201ELNS1_3gpuE5ELNS1_3repE0EEENS1_30default_config_static_selectorELNS0_4arch9wavefront6targetE1EEEvT1_, .Lfunc_end2599-_ZN7rocprim17ROCPRIM_400000_NS6detail17trampoline_kernelINS0_14default_configENS1_20scan_config_selectorIxEEZZNS1_9scan_implILNS1_25lookback_scan_determinismE0ELb0ELb0ES3_N6thrust23THRUST_200600_302600_NS6detail15normal_iteratorINS9_10device_ptrIxEEEESE_x11max_functorIxExEEDaPvRmT3_T4_T5_mT6_P12ihipStream_tbENKUlT_T0_E_clISt17integral_constantIbLb1EEST_IbLb0EEEEDaSP_SQ_EUlSP_E_NS1_11comp_targetILNS1_3genE10ELNS1_11target_archE1201ELNS1_3gpuE5ELNS1_3repE0EEENS1_30default_config_static_selectorELNS0_4arch9wavefront6targetE1EEEvT1_
                                        ; -- End function
	.section	.AMDGPU.csdata,"",@progbits
; Kernel info:
; codeLenInByte = 0
; NumSgprs: 4
; NumVgprs: 0
; NumAgprs: 0
; TotalNumVgprs: 0
; ScratchSize: 0
; MemoryBound: 0
; FloatMode: 240
; IeeeMode: 1
; LDSByteSize: 0 bytes/workgroup (compile time only)
; SGPRBlocks: 0
; VGPRBlocks: 0
; NumSGPRsForWavesPerEU: 4
; NumVGPRsForWavesPerEU: 1
; AccumOffset: 4
; Occupancy: 8
; WaveLimiterHint : 0
; COMPUTE_PGM_RSRC2:SCRATCH_EN: 0
; COMPUTE_PGM_RSRC2:USER_SGPR: 6
; COMPUTE_PGM_RSRC2:TRAP_HANDLER: 0
; COMPUTE_PGM_RSRC2:TGID_X_EN: 1
; COMPUTE_PGM_RSRC2:TGID_Y_EN: 0
; COMPUTE_PGM_RSRC2:TGID_Z_EN: 0
; COMPUTE_PGM_RSRC2:TIDIG_COMP_CNT: 0
; COMPUTE_PGM_RSRC3_GFX90A:ACCUM_OFFSET: 0
; COMPUTE_PGM_RSRC3_GFX90A:TG_SPLIT: 0
	.section	.text._ZN7rocprim17ROCPRIM_400000_NS6detail17trampoline_kernelINS0_14default_configENS1_20scan_config_selectorIxEEZZNS1_9scan_implILNS1_25lookback_scan_determinismE0ELb0ELb0ES3_N6thrust23THRUST_200600_302600_NS6detail15normal_iteratorINS9_10device_ptrIxEEEESE_x11max_functorIxExEEDaPvRmT3_T4_T5_mT6_P12ihipStream_tbENKUlT_T0_E_clISt17integral_constantIbLb1EEST_IbLb0EEEEDaSP_SQ_EUlSP_E_NS1_11comp_targetILNS1_3genE10ELNS1_11target_archE1200ELNS1_3gpuE4ELNS1_3repE0EEENS1_30default_config_static_selectorELNS0_4arch9wavefront6targetE1EEEvT1_,"axG",@progbits,_ZN7rocprim17ROCPRIM_400000_NS6detail17trampoline_kernelINS0_14default_configENS1_20scan_config_selectorIxEEZZNS1_9scan_implILNS1_25lookback_scan_determinismE0ELb0ELb0ES3_N6thrust23THRUST_200600_302600_NS6detail15normal_iteratorINS9_10device_ptrIxEEEESE_x11max_functorIxExEEDaPvRmT3_T4_T5_mT6_P12ihipStream_tbENKUlT_T0_E_clISt17integral_constantIbLb1EEST_IbLb0EEEEDaSP_SQ_EUlSP_E_NS1_11comp_targetILNS1_3genE10ELNS1_11target_archE1200ELNS1_3gpuE4ELNS1_3repE0EEENS1_30default_config_static_selectorELNS0_4arch9wavefront6targetE1EEEvT1_,comdat
	.protected	_ZN7rocprim17ROCPRIM_400000_NS6detail17trampoline_kernelINS0_14default_configENS1_20scan_config_selectorIxEEZZNS1_9scan_implILNS1_25lookback_scan_determinismE0ELb0ELb0ES3_N6thrust23THRUST_200600_302600_NS6detail15normal_iteratorINS9_10device_ptrIxEEEESE_x11max_functorIxExEEDaPvRmT3_T4_T5_mT6_P12ihipStream_tbENKUlT_T0_E_clISt17integral_constantIbLb1EEST_IbLb0EEEEDaSP_SQ_EUlSP_E_NS1_11comp_targetILNS1_3genE10ELNS1_11target_archE1200ELNS1_3gpuE4ELNS1_3repE0EEENS1_30default_config_static_selectorELNS0_4arch9wavefront6targetE1EEEvT1_ ; -- Begin function _ZN7rocprim17ROCPRIM_400000_NS6detail17trampoline_kernelINS0_14default_configENS1_20scan_config_selectorIxEEZZNS1_9scan_implILNS1_25lookback_scan_determinismE0ELb0ELb0ES3_N6thrust23THRUST_200600_302600_NS6detail15normal_iteratorINS9_10device_ptrIxEEEESE_x11max_functorIxExEEDaPvRmT3_T4_T5_mT6_P12ihipStream_tbENKUlT_T0_E_clISt17integral_constantIbLb1EEST_IbLb0EEEEDaSP_SQ_EUlSP_E_NS1_11comp_targetILNS1_3genE10ELNS1_11target_archE1200ELNS1_3gpuE4ELNS1_3repE0EEENS1_30default_config_static_selectorELNS0_4arch9wavefront6targetE1EEEvT1_
	.globl	_ZN7rocprim17ROCPRIM_400000_NS6detail17trampoline_kernelINS0_14default_configENS1_20scan_config_selectorIxEEZZNS1_9scan_implILNS1_25lookback_scan_determinismE0ELb0ELb0ES3_N6thrust23THRUST_200600_302600_NS6detail15normal_iteratorINS9_10device_ptrIxEEEESE_x11max_functorIxExEEDaPvRmT3_T4_T5_mT6_P12ihipStream_tbENKUlT_T0_E_clISt17integral_constantIbLb1EEST_IbLb0EEEEDaSP_SQ_EUlSP_E_NS1_11comp_targetILNS1_3genE10ELNS1_11target_archE1200ELNS1_3gpuE4ELNS1_3repE0EEENS1_30default_config_static_selectorELNS0_4arch9wavefront6targetE1EEEvT1_
	.p2align	8
	.type	_ZN7rocprim17ROCPRIM_400000_NS6detail17trampoline_kernelINS0_14default_configENS1_20scan_config_selectorIxEEZZNS1_9scan_implILNS1_25lookback_scan_determinismE0ELb0ELb0ES3_N6thrust23THRUST_200600_302600_NS6detail15normal_iteratorINS9_10device_ptrIxEEEESE_x11max_functorIxExEEDaPvRmT3_T4_T5_mT6_P12ihipStream_tbENKUlT_T0_E_clISt17integral_constantIbLb1EEST_IbLb0EEEEDaSP_SQ_EUlSP_E_NS1_11comp_targetILNS1_3genE10ELNS1_11target_archE1200ELNS1_3gpuE4ELNS1_3repE0EEENS1_30default_config_static_selectorELNS0_4arch9wavefront6targetE1EEEvT1_,@function
_ZN7rocprim17ROCPRIM_400000_NS6detail17trampoline_kernelINS0_14default_configENS1_20scan_config_selectorIxEEZZNS1_9scan_implILNS1_25lookback_scan_determinismE0ELb0ELb0ES3_N6thrust23THRUST_200600_302600_NS6detail15normal_iteratorINS9_10device_ptrIxEEEESE_x11max_functorIxExEEDaPvRmT3_T4_T5_mT6_P12ihipStream_tbENKUlT_T0_E_clISt17integral_constantIbLb1EEST_IbLb0EEEEDaSP_SQ_EUlSP_E_NS1_11comp_targetILNS1_3genE10ELNS1_11target_archE1200ELNS1_3gpuE4ELNS1_3repE0EEENS1_30default_config_static_selectorELNS0_4arch9wavefront6targetE1EEEvT1_: ; @_ZN7rocprim17ROCPRIM_400000_NS6detail17trampoline_kernelINS0_14default_configENS1_20scan_config_selectorIxEEZZNS1_9scan_implILNS1_25lookback_scan_determinismE0ELb0ELb0ES3_N6thrust23THRUST_200600_302600_NS6detail15normal_iteratorINS9_10device_ptrIxEEEESE_x11max_functorIxExEEDaPvRmT3_T4_T5_mT6_P12ihipStream_tbENKUlT_T0_E_clISt17integral_constantIbLb1EEST_IbLb0EEEEDaSP_SQ_EUlSP_E_NS1_11comp_targetILNS1_3genE10ELNS1_11target_archE1200ELNS1_3gpuE4ELNS1_3repE0EEENS1_30default_config_static_selectorELNS0_4arch9wavefront6targetE1EEEvT1_
; %bb.0:
	.section	.rodata,"a",@progbits
	.p2align	6, 0x0
	.amdhsa_kernel _ZN7rocprim17ROCPRIM_400000_NS6detail17trampoline_kernelINS0_14default_configENS1_20scan_config_selectorIxEEZZNS1_9scan_implILNS1_25lookback_scan_determinismE0ELb0ELb0ES3_N6thrust23THRUST_200600_302600_NS6detail15normal_iteratorINS9_10device_ptrIxEEEESE_x11max_functorIxExEEDaPvRmT3_T4_T5_mT6_P12ihipStream_tbENKUlT_T0_E_clISt17integral_constantIbLb1EEST_IbLb0EEEEDaSP_SQ_EUlSP_E_NS1_11comp_targetILNS1_3genE10ELNS1_11target_archE1200ELNS1_3gpuE4ELNS1_3repE0EEENS1_30default_config_static_selectorELNS0_4arch9wavefront6targetE1EEEvT1_
		.amdhsa_group_segment_fixed_size 0
		.amdhsa_private_segment_fixed_size 0
		.amdhsa_kernarg_size 104
		.amdhsa_user_sgpr_count 6
		.amdhsa_user_sgpr_private_segment_buffer 1
		.amdhsa_user_sgpr_dispatch_ptr 0
		.amdhsa_user_sgpr_queue_ptr 0
		.amdhsa_user_sgpr_kernarg_segment_ptr 1
		.amdhsa_user_sgpr_dispatch_id 0
		.amdhsa_user_sgpr_flat_scratch_init 0
		.amdhsa_user_sgpr_kernarg_preload_length 0
		.amdhsa_user_sgpr_kernarg_preload_offset 0
		.amdhsa_user_sgpr_private_segment_size 0
		.amdhsa_uses_dynamic_stack 0
		.amdhsa_system_sgpr_private_segment_wavefront_offset 0
		.amdhsa_system_sgpr_workgroup_id_x 1
		.amdhsa_system_sgpr_workgroup_id_y 0
		.amdhsa_system_sgpr_workgroup_id_z 0
		.amdhsa_system_sgpr_workgroup_info 0
		.amdhsa_system_vgpr_workitem_id 0
		.amdhsa_next_free_vgpr 1
		.amdhsa_next_free_sgpr 0
		.amdhsa_accum_offset 4
		.amdhsa_reserve_vcc 0
		.amdhsa_reserve_flat_scratch 0
		.amdhsa_float_round_mode_32 0
		.amdhsa_float_round_mode_16_64 0
		.amdhsa_float_denorm_mode_32 3
		.amdhsa_float_denorm_mode_16_64 3
		.amdhsa_dx10_clamp 1
		.amdhsa_ieee_mode 1
		.amdhsa_fp16_overflow 0
		.amdhsa_tg_split 0
		.amdhsa_exception_fp_ieee_invalid_op 0
		.amdhsa_exception_fp_denorm_src 0
		.amdhsa_exception_fp_ieee_div_zero 0
		.amdhsa_exception_fp_ieee_overflow 0
		.amdhsa_exception_fp_ieee_underflow 0
		.amdhsa_exception_fp_ieee_inexact 0
		.amdhsa_exception_int_div_zero 0
	.end_amdhsa_kernel
	.section	.text._ZN7rocprim17ROCPRIM_400000_NS6detail17trampoline_kernelINS0_14default_configENS1_20scan_config_selectorIxEEZZNS1_9scan_implILNS1_25lookback_scan_determinismE0ELb0ELb0ES3_N6thrust23THRUST_200600_302600_NS6detail15normal_iteratorINS9_10device_ptrIxEEEESE_x11max_functorIxExEEDaPvRmT3_T4_T5_mT6_P12ihipStream_tbENKUlT_T0_E_clISt17integral_constantIbLb1EEST_IbLb0EEEEDaSP_SQ_EUlSP_E_NS1_11comp_targetILNS1_3genE10ELNS1_11target_archE1200ELNS1_3gpuE4ELNS1_3repE0EEENS1_30default_config_static_selectorELNS0_4arch9wavefront6targetE1EEEvT1_,"axG",@progbits,_ZN7rocprim17ROCPRIM_400000_NS6detail17trampoline_kernelINS0_14default_configENS1_20scan_config_selectorIxEEZZNS1_9scan_implILNS1_25lookback_scan_determinismE0ELb0ELb0ES3_N6thrust23THRUST_200600_302600_NS6detail15normal_iteratorINS9_10device_ptrIxEEEESE_x11max_functorIxExEEDaPvRmT3_T4_T5_mT6_P12ihipStream_tbENKUlT_T0_E_clISt17integral_constantIbLb1EEST_IbLb0EEEEDaSP_SQ_EUlSP_E_NS1_11comp_targetILNS1_3genE10ELNS1_11target_archE1200ELNS1_3gpuE4ELNS1_3repE0EEENS1_30default_config_static_selectorELNS0_4arch9wavefront6targetE1EEEvT1_,comdat
.Lfunc_end2600:
	.size	_ZN7rocprim17ROCPRIM_400000_NS6detail17trampoline_kernelINS0_14default_configENS1_20scan_config_selectorIxEEZZNS1_9scan_implILNS1_25lookback_scan_determinismE0ELb0ELb0ES3_N6thrust23THRUST_200600_302600_NS6detail15normal_iteratorINS9_10device_ptrIxEEEESE_x11max_functorIxExEEDaPvRmT3_T4_T5_mT6_P12ihipStream_tbENKUlT_T0_E_clISt17integral_constantIbLb1EEST_IbLb0EEEEDaSP_SQ_EUlSP_E_NS1_11comp_targetILNS1_3genE10ELNS1_11target_archE1200ELNS1_3gpuE4ELNS1_3repE0EEENS1_30default_config_static_selectorELNS0_4arch9wavefront6targetE1EEEvT1_, .Lfunc_end2600-_ZN7rocprim17ROCPRIM_400000_NS6detail17trampoline_kernelINS0_14default_configENS1_20scan_config_selectorIxEEZZNS1_9scan_implILNS1_25lookback_scan_determinismE0ELb0ELb0ES3_N6thrust23THRUST_200600_302600_NS6detail15normal_iteratorINS9_10device_ptrIxEEEESE_x11max_functorIxExEEDaPvRmT3_T4_T5_mT6_P12ihipStream_tbENKUlT_T0_E_clISt17integral_constantIbLb1EEST_IbLb0EEEEDaSP_SQ_EUlSP_E_NS1_11comp_targetILNS1_3genE10ELNS1_11target_archE1200ELNS1_3gpuE4ELNS1_3repE0EEENS1_30default_config_static_selectorELNS0_4arch9wavefront6targetE1EEEvT1_
                                        ; -- End function
	.section	.AMDGPU.csdata,"",@progbits
; Kernel info:
; codeLenInByte = 0
; NumSgprs: 4
; NumVgprs: 0
; NumAgprs: 0
; TotalNumVgprs: 0
; ScratchSize: 0
; MemoryBound: 0
; FloatMode: 240
; IeeeMode: 1
; LDSByteSize: 0 bytes/workgroup (compile time only)
; SGPRBlocks: 0
; VGPRBlocks: 0
; NumSGPRsForWavesPerEU: 4
; NumVGPRsForWavesPerEU: 1
; AccumOffset: 4
; Occupancy: 8
; WaveLimiterHint : 0
; COMPUTE_PGM_RSRC2:SCRATCH_EN: 0
; COMPUTE_PGM_RSRC2:USER_SGPR: 6
; COMPUTE_PGM_RSRC2:TRAP_HANDLER: 0
; COMPUTE_PGM_RSRC2:TGID_X_EN: 1
; COMPUTE_PGM_RSRC2:TGID_Y_EN: 0
; COMPUTE_PGM_RSRC2:TGID_Z_EN: 0
; COMPUTE_PGM_RSRC2:TIDIG_COMP_CNT: 0
; COMPUTE_PGM_RSRC3_GFX90A:ACCUM_OFFSET: 0
; COMPUTE_PGM_RSRC3_GFX90A:TG_SPLIT: 0
	.section	.text._ZN7rocprim17ROCPRIM_400000_NS6detail17trampoline_kernelINS0_14default_configENS1_20scan_config_selectorIxEEZZNS1_9scan_implILNS1_25lookback_scan_determinismE0ELb0ELb0ES3_N6thrust23THRUST_200600_302600_NS6detail15normal_iteratorINS9_10device_ptrIxEEEESE_x11max_functorIxExEEDaPvRmT3_T4_T5_mT6_P12ihipStream_tbENKUlT_T0_E_clISt17integral_constantIbLb1EEST_IbLb0EEEEDaSP_SQ_EUlSP_E_NS1_11comp_targetILNS1_3genE9ELNS1_11target_archE1100ELNS1_3gpuE3ELNS1_3repE0EEENS1_30default_config_static_selectorELNS0_4arch9wavefront6targetE1EEEvT1_,"axG",@progbits,_ZN7rocprim17ROCPRIM_400000_NS6detail17trampoline_kernelINS0_14default_configENS1_20scan_config_selectorIxEEZZNS1_9scan_implILNS1_25lookback_scan_determinismE0ELb0ELb0ES3_N6thrust23THRUST_200600_302600_NS6detail15normal_iteratorINS9_10device_ptrIxEEEESE_x11max_functorIxExEEDaPvRmT3_T4_T5_mT6_P12ihipStream_tbENKUlT_T0_E_clISt17integral_constantIbLb1EEST_IbLb0EEEEDaSP_SQ_EUlSP_E_NS1_11comp_targetILNS1_3genE9ELNS1_11target_archE1100ELNS1_3gpuE3ELNS1_3repE0EEENS1_30default_config_static_selectorELNS0_4arch9wavefront6targetE1EEEvT1_,comdat
	.protected	_ZN7rocprim17ROCPRIM_400000_NS6detail17trampoline_kernelINS0_14default_configENS1_20scan_config_selectorIxEEZZNS1_9scan_implILNS1_25lookback_scan_determinismE0ELb0ELb0ES3_N6thrust23THRUST_200600_302600_NS6detail15normal_iteratorINS9_10device_ptrIxEEEESE_x11max_functorIxExEEDaPvRmT3_T4_T5_mT6_P12ihipStream_tbENKUlT_T0_E_clISt17integral_constantIbLb1EEST_IbLb0EEEEDaSP_SQ_EUlSP_E_NS1_11comp_targetILNS1_3genE9ELNS1_11target_archE1100ELNS1_3gpuE3ELNS1_3repE0EEENS1_30default_config_static_selectorELNS0_4arch9wavefront6targetE1EEEvT1_ ; -- Begin function _ZN7rocprim17ROCPRIM_400000_NS6detail17trampoline_kernelINS0_14default_configENS1_20scan_config_selectorIxEEZZNS1_9scan_implILNS1_25lookback_scan_determinismE0ELb0ELb0ES3_N6thrust23THRUST_200600_302600_NS6detail15normal_iteratorINS9_10device_ptrIxEEEESE_x11max_functorIxExEEDaPvRmT3_T4_T5_mT6_P12ihipStream_tbENKUlT_T0_E_clISt17integral_constantIbLb1EEST_IbLb0EEEEDaSP_SQ_EUlSP_E_NS1_11comp_targetILNS1_3genE9ELNS1_11target_archE1100ELNS1_3gpuE3ELNS1_3repE0EEENS1_30default_config_static_selectorELNS0_4arch9wavefront6targetE1EEEvT1_
	.globl	_ZN7rocprim17ROCPRIM_400000_NS6detail17trampoline_kernelINS0_14default_configENS1_20scan_config_selectorIxEEZZNS1_9scan_implILNS1_25lookback_scan_determinismE0ELb0ELb0ES3_N6thrust23THRUST_200600_302600_NS6detail15normal_iteratorINS9_10device_ptrIxEEEESE_x11max_functorIxExEEDaPvRmT3_T4_T5_mT6_P12ihipStream_tbENKUlT_T0_E_clISt17integral_constantIbLb1EEST_IbLb0EEEEDaSP_SQ_EUlSP_E_NS1_11comp_targetILNS1_3genE9ELNS1_11target_archE1100ELNS1_3gpuE3ELNS1_3repE0EEENS1_30default_config_static_selectorELNS0_4arch9wavefront6targetE1EEEvT1_
	.p2align	8
	.type	_ZN7rocprim17ROCPRIM_400000_NS6detail17trampoline_kernelINS0_14default_configENS1_20scan_config_selectorIxEEZZNS1_9scan_implILNS1_25lookback_scan_determinismE0ELb0ELb0ES3_N6thrust23THRUST_200600_302600_NS6detail15normal_iteratorINS9_10device_ptrIxEEEESE_x11max_functorIxExEEDaPvRmT3_T4_T5_mT6_P12ihipStream_tbENKUlT_T0_E_clISt17integral_constantIbLb1EEST_IbLb0EEEEDaSP_SQ_EUlSP_E_NS1_11comp_targetILNS1_3genE9ELNS1_11target_archE1100ELNS1_3gpuE3ELNS1_3repE0EEENS1_30default_config_static_selectorELNS0_4arch9wavefront6targetE1EEEvT1_,@function
_ZN7rocprim17ROCPRIM_400000_NS6detail17trampoline_kernelINS0_14default_configENS1_20scan_config_selectorIxEEZZNS1_9scan_implILNS1_25lookback_scan_determinismE0ELb0ELb0ES3_N6thrust23THRUST_200600_302600_NS6detail15normal_iteratorINS9_10device_ptrIxEEEESE_x11max_functorIxExEEDaPvRmT3_T4_T5_mT6_P12ihipStream_tbENKUlT_T0_E_clISt17integral_constantIbLb1EEST_IbLb0EEEEDaSP_SQ_EUlSP_E_NS1_11comp_targetILNS1_3genE9ELNS1_11target_archE1100ELNS1_3gpuE3ELNS1_3repE0EEENS1_30default_config_static_selectorELNS0_4arch9wavefront6targetE1EEEvT1_: ; @_ZN7rocprim17ROCPRIM_400000_NS6detail17trampoline_kernelINS0_14default_configENS1_20scan_config_selectorIxEEZZNS1_9scan_implILNS1_25lookback_scan_determinismE0ELb0ELb0ES3_N6thrust23THRUST_200600_302600_NS6detail15normal_iteratorINS9_10device_ptrIxEEEESE_x11max_functorIxExEEDaPvRmT3_T4_T5_mT6_P12ihipStream_tbENKUlT_T0_E_clISt17integral_constantIbLb1EEST_IbLb0EEEEDaSP_SQ_EUlSP_E_NS1_11comp_targetILNS1_3genE9ELNS1_11target_archE1100ELNS1_3gpuE3ELNS1_3repE0EEENS1_30default_config_static_selectorELNS0_4arch9wavefront6targetE1EEEvT1_
; %bb.0:
	.section	.rodata,"a",@progbits
	.p2align	6, 0x0
	.amdhsa_kernel _ZN7rocprim17ROCPRIM_400000_NS6detail17trampoline_kernelINS0_14default_configENS1_20scan_config_selectorIxEEZZNS1_9scan_implILNS1_25lookback_scan_determinismE0ELb0ELb0ES3_N6thrust23THRUST_200600_302600_NS6detail15normal_iteratorINS9_10device_ptrIxEEEESE_x11max_functorIxExEEDaPvRmT3_T4_T5_mT6_P12ihipStream_tbENKUlT_T0_E_clISt17integral_constantIbLb1EEST_IbLb0EEEEDaSP_SQ_EUlSP_E_NS1_11comp_targetILNS1_3genE9ELNS1_11target_archE1100ELNS1_3gpuE3ELNS1_3repE0EEENS1_30default_config_static_selectorELNS0_4arch9wavefront6targetE1EEEvT1_
		.amdhsa_group_segment_fixed_size 0
		.amdhsa_private_segment_fixed_size 0
		.amdhsa_kernarg_size 104
		.amdhsa_user_sgpr_count 6
		.amdhsa_user_sgpr_private_segment_buffer 1
		.amdhsa_user_sgpr_dispatch_ptr 0
		.amdhsa_user_sgpr_queue_ptr 0
		.amdhsa_user_sgpr_kernarg_segment_ptr 1
		.amdhsa_user_sgpr_dispatch_id 0
		.amdhsa_user_sgpr_flat_scratch_init 0
		.amdhsa_user_sgpr_kernarg_preload_length 0
		.amdhsa_user_sgpr_kernarg_preload_offset 0
		.amdhsa_user_sgpr_private_segment_size 0
		.amdhsa_uses_dynamic_stack 0
		.amdhsa_system_sgpr_private_segment_wavefront_offset 0
		.amdhsa_system_sgpr_workgroup_id_x 1
		.amdhsa_system_sgpr_workgroup_id_y 0
		.amdhsa_system_sgpr_workgroup_id_z 0
		.amdhsa_system_sgpr_workgroup_info 0
		.amdhsa_system_vgpr_workitem_id 0
		.amdhsa_next_free_vgpr 1
		.amdhsa_next_free_sgpr 0
		.amdhsa_accum_offset 4
		.amdhsa_reserve_vcc 0
		.amdhsa_reserve_flat_scratch 0
		.amdhsa_float_round_mode_32 0
		.amdhsa_float_round_mode_16_64 0
		.amdhsa_float_denorm_mode_32 3
		.amdhsa_float_denorm_mode_16_64 3
		.amdhsa_dx10_clamp 1
		.amdhsa_ieee_mode 1
		.amdhsa_fp16_overflow 0
		.amdhsa_tg_split 0
		.amdhsa_exception_fp_ieee_invalid_op 0
		.amdhsa_exception_fp_denorm_src 0
		.amdhsa_exception_fp_ieee_div_zero 0
		.amdhsa_exception_fp_ieee_overflow 0
		.amdhsa_exception_fp_ieee_underflow 0
		.amdhsa_exception_fp_ieee_inexact 0
		.amdhsa_exception_int_div_zero 0
	.end_amdhsa_kernel
	.section	.text._ZN7rocprim17ROCPRIM_400000_NS6detail17trampoline_kernelINS0_14default_configENS1_20scan_config_selectorIxEEZZNS1_9scan_implILNS1_25lookback_scan_determinismE0ELb0ELb0ES3_N6thrust23THRUST_200600_302600_NS6detail15normal_iteratorINS9_10device_ptrIxEEEESE_x11max_functorIxExEEDaPvRmT3_T4_T5_mT6_P12ihipStream_tbENKUlT_T0_E_clISt17integral_constantIbLb1EEST_IbLb0EEEEDaSP_SQ_EUlSP_E_NS1_11comp_targetILNS1_3genE9ELNS1_11target_archE1100ELNS1_3gpuE3ELNS1_3repE0EEENS1_30default_config_static_selectorELNS0_4arch9wavefront6targetE1EEEvT1_,"axG",@progbits,_ZN7rocprim17ROCPRIM_400000_NS6detail17trampoline_kernelINS0_14default_configENS1_20scan_config_selectorIxEEZZNS1_9scan_implILNS1_25lookback_scan_determinismE0ELb0ELb0ES3_N6thrust23THRUST_200600_302600_NS6detail15normal_iteratorINS9_10device_ptrIxEEEESE_x11max_functorIxExEEDaPvRmT3_T4_T5_mT6_P12ihipStream_tbENKUlT_T0_E_clISt17integral_constantIbLb1EEST_IbLb0EEEEDaSP_SQ_EUlSP_E_NS1_11comp_targetILNS1_3genE9ELNS1_11target_archE1100ELNS1_3gpuE3ELNS1_3repE0EEENS1_30default_config_static_selectorELNS0_4arch9wavefront6targetE1EEEvT1_,comdat
.Lfunc_end2601:
	.size	_ZN7rocprim17ROCPRIM_400000_NS6detail17trampoline_kernelINS0_14default_configENS1_20scan_config_selectorIxEEZZNS1_9scan_implILNS1_25lookback_scan_determinismE0ELb0ELb0ES3_N6thrust23THRUST_200600_302600_NS6detail15normal_iteratorINS9_10device_ptrIxEEEESE_x11max_functorIxExEEDaPvRmT3_T4_T5_mT6_P12ihipStream_tbENKUlT_T0_E_clISt17integral_constantIbLb1EEST_IbLb0EEEEDaSP_SQ_EUlSP_E_NS1_11comp_targetILNS1_3genE9ELNS1_11target_archE1100ELNS1_3gpuE3ELNS1_3repE0EEENS1_30default_config_static_selectorELNS0_4arch9wavefront6targetE1EEEvT1_, .Lfunc_end2601-_ZN7rocprim17ROCPRIM_400000_NS6detail17trampoline_kernelINS0_14default_configENS1_20scan_config_selectorIxEEZZNS1_9scan_implILNS1_25lookback_scan_determinismE0ELb0ELb0ES3_N6thrust23THRUST_200600_302600_NS6detail15normal_iteratorINS9_10device_ptrIxEEEESE_x11max_functorIxExEEDaPvRmT3_T4_T5_mT6_P12ihipStream_tbENKUlT_T0_E_clISt17integral_constantIbLb1EEST_IbLb0EEEEDaSP_SQ_EUlSP_E_NS1_11comp_targetILNS1_3genE9ELNS1_11target_archE1100ELNS1_3gpuE3ELNS1_3repE0EEENS1_30default_config_static_selectorELNS0_4arch9wavefront6targetE1EEEvT1_
                                        ; -- End function
	.section	.AMDGPU.csdata,"",@progbits
; Kernel info:
; codeLenInByte = 0
; NumSgprs: 4
; NumVgprs: 0
; NumAgprs: 0
; TotalNumVgprs: 0
; ScratchSize: 0
; MemoryBound: 0
; FloatMode: 240
; IeeeMode: 1
; LDSByteSize: 0 bytes/workgroup (compile time only)
; SGPRBlocks: 0
; VGPRBlocks: 0
; NumSGPRsForWavesPerEU: 4
; NumVGPRsForWavesPerEU: 1
; AccumOffset: 4
; Occupancy: 8
; WaveLimiterHint : 0
; COMPUTE_PGM_RSRC2:SCRATCH_EN: 0
; COMPUTE_PGM_RSRC2:USER_SGPR: 6
; COMPUTE_PGM_RSRC2:TRAP_HANDLER: 0
; COMPUTE_PGM_RSRC2:TGID_X_EN: 1
; COMPUTE_PGM_RSRC2:TGID_Y_EN: 0
; COMPUTE_PGM_RSRC2:TGID_Z_EN: 0
; COMPUTE_PGM_RSRC2:TIDIG_COMP_CNT: 0
; COMPUTE_PGM_RSRC3_GFX90A:ACCUM_OFFSET: 0
; COMPUTE_PGM_RSRC3_GFX90A:TG_SPLIT: 0
	.section	.text._ZN7rocprim17ROCPRIM_400000_NS6detail17trampoline_kernelINS0_14default_configENS1_20scan_config_selectorIxEEZZNS1_9scan_implILNS1_25lookback_scan_determinismE0ELb0ELb0ES3_N6thrust23THRUST_200600_302600_NS6detail15normal_iteratorINS9_10device_ptrIxEEEESE_x11max_functorIxExEEDaPvRmT3_T4_T5_mT6_P12ihipStream_tbENKUlT_T0_E_clISt17integral_constantIbLb1EEST_IbLb0EEEEDaSP_SQ_EUlSP_E_NS1_11comp_targetILNS1_3genE8ELNS1_11target_archE1030ELNS1_3gpuE2ELNS1_3repE0EEENS1_30default_config_static_selectorELNS0_4arch9wavefront6targetE1EEEvT1_,"axG",@progbits,_ZN7rocprim17ROCPRIM_400000_NS6detail17trampoline_kernelINS0_14default_configENS1_20scan_config_selectorIxEEZZNS1_9scan_implILNS1_25lookback_scan_determinismE0ELb0ELb0ES3_N6thrust23THRUST_200600_302600_NS6detail15normal_iteratorINS9_10device_ptrIxEEEESE_x11max_functorIxExEEDaPvRmT3_T4_T5_mT6_P12ihipStream_tbENKUlT_T0_E_clISt17integral_constantIbLb1EEST_IbLb0EEEEDaSP_SQ_EUlSP_E_NS1_11comp_targetILNS1_3genE8ELNS1_11target_archE1030ELNS1_3gpuE2ELNS1_3repE0EEENS1_30default_config_static_selectorELNS0_4arch9wavefront6targetE1EEEvT1_,comdat
	.protected	_ZN7rocprim17ROCPRIM_400000_NS6detail17trampoline_kernelINS0_14default_configENS1_20scan_config_selectorIxEEZZNS1_9scan_implILNS1_25lookback_scan_determinismE0ELb0ELb0ES3_N6thrust23THRUST_200600_302600_NS6detail15normal_iteratorINS9_10device_ptrIxEEEESE_x11max_functorIxExEEDaPvRmT3_T4_T5_mT6_P12ihipStream_tbENKUlT_T0_E_clISt17integral_constantIbLb1EEST_IbLb0EEEEDaSP_SQ_EUlSP_E_NS1_11comp_targetILNS1_3genE8ELNS1_11target_archE1030ELNS1_3gpuE2ELNS1_3repE0EEENS1_30default_config_static_selectorELNS0_4arch9wavefront6targetE1EEEvT1_ ; -- Begin function _ZN7rocprim17ROCPRIM_400000_NS6detail17trampoline_kernelINS0_14default_configENS1_20scan_config_selectorIxEEZZNS1_9scan_implILNS1_25lookback_scan_determinismE0ELb0ELb0ES3_N6thrust23THRUST_200600_302600_NS6detail15normal_iteratorINS9_10device_ptrIxEEEESE_x11max_functorIxExEEDaPvRmT3_T4_T5_mT6_P12ihipStream_tbENKUlT_T0_E_clISt17integral_constantIbLb1EEST_IbLb0EEEEDaSP_SQ_EUlSP_E_NS1_11comp_targetILNS1_3genE8ELNS1_11target_archE1030ELNS1_3gpuE2ELNS1_3repE0EEENS1_30default_config_static_selectorELNS0_4arch9wavefront6targetE1EEEvT1_
	.globl	_ZN7rocprim17ROCPRIM_400000_NS6detail17trampoline_kernelINS0_14default_configENS1_20scan_config_selectorIxEEZZNS1_9scan_implILNS1_25lookback_scan_determinismE0ELb0ELb0ES3_N6thrust23THRUST_200600_302600_NS6detail15normal_iteratorINS9_10device_ptrIxEEEESE_x11max_functorIxExEEDaPvRmT3_T4_T5_mT6_P12ihipStream_tbENKUlT_T0_E_clISt17integral_constantIbLb1EEST_IbLb0EEEEDaSP_SQ_EUlSP_E_NS1_11comp_targetILNS1_3genE8ELNS1_11target_archE1030ELNS1_3gpuE2ELNS1_3repE0EEENS1_30default_config_static_selectorELNS0_4arch9wavefront6targetE1EEEvT1_
	.p2align	8
	.type	_ZN7rocprim17ROCPRIM_400000_NS6detail17trampoline_kernelINS0_14default_configENS1_20scan_config_selectorIxEEZZNS1_9scan_implILNS1_25lookback_scan_determinismE0ELb0ELb0ES3_N6thrust23THRUST_200600_302600_NS6detail15normal_iteratorINS9_10device_ptrIxEEEESE_x11max_functorIxExEEDaPvRmT3_T4_T5_mT6_P12ihipStream_tbENKUlT_T0_E_clISt17integral_constantIbLb1EEST_IbLb0EEEEDaSP_SQ_EUlSP_E_NS1_11comp_targetILNS1_3genE8ELNS1_11target_archE1030ELNS1_3gpuE2ELNS1_3repE0EEENS1_30default_config_static_selectorELNS0_4arch9wavefront6targetE1EEEvT1_,@function
_ZN7rocprim17ROCPRIM_400000_NS6detail17trampoline_kernelINS0_14default_configENS1_20scan_config_selectorIxEEZZNS1_9scan_implILNS1_25lookback_scan_determinismE0ELb0ELb0ES3_N6thrust23THRUST_200600_302600_NS6detail15normal_iteratorINS9_10device_ptrIxEEEESE_x11max_functorIxExEEDaPvRmT3_T4_T5_mT6_P12ihipStream_tbENKUlT_T0_E_clISt17integral_constantIbLb1EEST_IbLb0EEEEDaSP_SQ_EUlSP_E_NS1_11comp_targetILNS1_3genE8ELNS1_11target_archE1030ELNS1_3gpuE2ELNS1_3repE0EEENS1_30default_config_static_selectorELNS0_4arch9wavefront6targetE1EEEvT1_: ; @_ZN7rocprim17ROCPRIM_400000_NS6detail17trampoline_kernelINS0_14default_configENS1_20scan_config_selectorIxEEZZNS1_9scan_implILNS1_25lookback_scan_determinismE0ELb0ELb0ES3_N6thrust23THRUST_200600_302600_NS6detail15normal_iteratorINS9_10device_ptrIxEEEESE_x11max_functorIxExEEDaPvRmT3_T4_T5_mT6_P12ihipStream_tbENKUlT_T0_E_clISt17integral_constantIbLb1EEST_IbLb0EEEEDaSP_SQ_EUlSP_E_NS1_11comp_targetILNS1_3genE8ELNS1_11target_archE1030ELNS1_3gpuE2ELNS1_3repE0EEENS1_30default_config_static_selectorELNS0_4arch9wavefront6targetE1EEEvT1_
; %bb.0:
	.section	.rodata,"a",@progbits
	.p2align	6, 0x0
	.amdhsa_kernel _ZN7rocprim17ROCPRIM_400000_NS6detail17trampoline_kernelINS0_14default_configENS1_20scan_config_selectorIxEEZZNS1_9scan_implILNS1_25lookback_scan_determinismE0ELb0ELb0ES3_N6thrust23THRUST_200600_302600_NS6detail15normal_iteratorINS9_10device_ptrIxEEEESE_x11max_functorIxExEEDaPvRmT3_T4_T5_mT6_P12ihipStream_tbENKUlT_T0_E_clISt17integral_constantIbLb1EEST_IbLb0EEEEDaSP_SQ_EUlSP_E_NS1_11comp_targetILNS1_3genE8ELNS1_11target_archE1030ELNS1_3gpuE2ELNS1_3repE0EEENS1_30default_config_static_selectorELNS0_4arch9wavefront6targetE1EEEvT1_
		.amdhsa_group_segment_fixed_size 0
		.amdhsa_private_segment_fixed_size 0
		.amdhsa_kernarg_size 104
		.amdhsa_user_sgpr_count 6
		.amdhsa_user_sgpr_private_segment_buffer 1
		.amdhsa_user_sgpr_dispatch_ptr 0
		.amdhsa_user_sgpr_queue_ptr 0
		.amdhsa_user_sgpr_kernarg_segment_ptr 1
		.amdhsa_user_sgpr_dispatch_id 0
		.amdhsa_user_sgpr_flat_scratch_init 0
		.amdhsa_user_sgpr_kernarg_preload_length 0
		.amdhsa_user_sgpr_kernarg_preload_offset 0
		.amdhsa_user_sgpr_private_segment_size 0
		.amdhsa_uses_dynamic_stack 0
		.amdhsa_system_sgpr_private_segment_wavefront_offset 0
		.amdhsa_system_sgpr_workgroup_id_x 1
		.amdhsa_system_sgpr_workgroup_id_y 0
		.amdhsa_system_sgpr_workgroup_id_z 0
		.amdhsa_system_sgpr_workgroup_info 0
		.amdhsa_system_vgpr_workitem_id 0
		.amdhsa_next_free_vgpr 1
		.amdhsa_next_free_sgpr 0
		.amdhsa_accum_offset 4
		.amdhsa_reserve_vcc 0
		.amdhsa_reserve_flat_scratch 0
		.amdhsa_float_round_mode_32 0
		.amdhsa_float_round_mode_16_64 0
		.amdhsa_float_denorm_mode_32 3
		.amdhsa_float_denorm_mode_16_64 3
		.amdhsa_dx10_clamp 1
		.amdhsa_ieee_mode 1
		.amdhsa_fp16_overflow 0
		.amdhsa_tg_split 0
		.amdhsa_exception_fp_ieee_invalid_op 0
		.amdhsa_exception_fp_denorm_src 0
		.amdhsa_exception_fp_ieee_div_zero 0
		.amdhsa_exception_fp_ieee_overflow 0
		.amdhsa_exception_fp_ieee_underflow 0
		.amdhsa_exception_fp_ieee_inexact 0
		.amdhsa_exception_int_div_zero 0
	.end_amdhsa_kernel
	.section	.text._ZN7rocprim17ROCPRIM_400000_NS6detail17trampoline_kernelINS0_14default_configENS1_20scan_config_selectorIxEEZZNS1_9scan_implILNS1_25lookback_scan_determinismE0ELb0ELb0ES3_N6thrust23THRUST_200600_302600_NS6detail15normal_iteratorINS9_10device_ptrIxEEEESE_x11max_functorIxExEEDaPvRmT3_T4_T5_mT6_P12ihipStream_tbENKUlT_T0_E_clISt17integral_constantIbLb1EEST_IbLb0EEEEDaSP_SQ_EUlSP_E_NS1_11comp_targetILNS1_3genE8ELNS1_11target_archE1030ELNS1_3gpuE2ELNS1_3repE0EEENS1_30default_config_static_selectorELNS0_4arch9wavefront6targetE1EEEvT1_,"axG",@progbits,_ZN7rocprim17ROCPRIM_400000_NS6detail17trampoline_kernelINS0_14default_configENS1_20scan_config_selectorIxEEZZNS1_9scan_implILNS1_25lookback_scan_determinismE0ELb0ELb0ES3_N6thrust23THRUST_200600_302600_NS6detail15normal_iteratorINS9_10device_ptrIxEEEESE_x11max_functorIxExEEDaPvRmT3_T4_T5_mT6_P12ihipStream_tbENKUlT_T0_E_clISt17integral_constantIbLb1EEST_IbLb0EEEEDaSP_SQ_EUlSP_E_NS1_11comp_targetILNS1_3genE8ELNS1_11target_archE1030ELNS1_3gpuE2ELNS1_3repE0EEENS1_30default_config_static_selectorELNS0_4arch9wavefront6targetE1EEEvT1_,comdat
.Lfunc_end2602:
	.size	_ZN7rocprim17ROCPRIM_400000_NS6detail17trampoline_kernelINS0_14default_configENS1_20scan_config_selectorIxEEZZNS1_9scan_implILNS1_25lookback_scan_determinismE0ELb0ELb0ES3_N6thrust23THRUST_200600_302600_NS6detail15normal_iteratorINS9_10device_ptrIxEEEESE_x11max_functorIxExEEDaPvRmT3_T4_T5_mT6_P12ihipStream_tbENKUlT_T0_E_clISt17integral_constantIbLb1EEST_IbLb0EEEEDaSP_SQ_EUlSP_E_NS1_11comp_targetILNS1_3genE8ELNS1_11target_archE1030ELNS1_3gpuE2ELNS1_3repE0EEENS1_30default_config_static_selectorELNS0_4arch9wavefront6targetE1EEEvT1_, .Lfunc_end2602-_ZN7rocprim17ROCPRIM_400000_NS6detail17trampoline_kernelINS0_14default_configENS1_20scan_config_selectorIxEEZZNS1_9scan_implILNS1_25lookback_scan_determinismE0ELb0ELb0ES3_N6thrust23THRUST_200600_302600_NS6detail15normal_iteratorINS9_10device_ptrIxEEEESE_x11max_functorIxExEEDaPvRmT3_T4_T5_mT6_P12ihipStream_tbENKUlT_T0_E_clISt17integral_constantIbLb1EEST_IbLb0EEEEDaSP_SQ_EUlSP_E_NS1_11comp_targetILNS1_3genE8ELNS1_11target_archE1030ELNS1_3gpuE2ELNS1_3repE0EEENS1_30default_config_static_selectorELNS0_4arch9wavefront6targetE1EEEvT1_
                                        ; -- End function
	.section	.AMDGPU.csdata,"",@progbits
; Kernel info:
; codeLenInByte = 0
; NumSgprs: 4
; NumVgprs: 0
; NumAgprs: 0
; TotalNumVgprs: 0
; ScratchSize: 0
; MemoryBound: 0
; FloatMode: 240
; IeeeMode: 1
; LDSByteSize: 0 bytes/workgroup (compile time only)
; SGPRBlocks: 0
; VGPRBlocks: 0
; NumSGPRsForWavesPerEU: 4
; NumVGPRsForWavesPerEU: 1
; AccumOffset: 4
; Occupancy: 8
; WaveLimiterHint : 0
; COMPUTE_PGM_RSRC2:SCRATCH_EN: 0
; COMPUTE_PGM_RSRC2:USER_SGPR: 6
; COMPUTE_PGM_RSRC2:TRAP_HANDLER: 0
; COMPUTE_PGM_RSRC2:TGID_X_EN: 1
; COMPUTE_PGM_RSRC2:TGID_Y_EN: 0
; COMPUTE_PGM_RSRC2:TGID_Z_EN: 0
; COMPUTE_PGM_RSRC2:TIDIG_COMP_CNT: 0
; COMPUTE_PGM_RSRC3_GFX90A:ACCUM_OFFSET: 0
; COMPUTE_PGM_RSRC3_GFX90A:TG_SPLIT: 0
	.section	.text._ZN7rocprim17ROCPRIM_400000_NS6detail17trampoline_kernelINS0_14default_configENS1_20scan_config_selectorIxEEZZNS1_9scan_implILNS1_25lookback_scan_determinismE0ELb0ELb0ES3_N6thrust23THRUST_200600_302600_NS6detail15normal_iteratorINS9_10device_ptrIxEEEESE_x11max_functorIxExEEDaPvRmT3_T4_T5_mT6_P12ihipStream_tbENKUlT_T0_E_clISt17integral_constantIbLb1EEST_IbLb0EEEEDaSP_SQ_EUlSP_E0_NS1_11comp_targetILNS1_3genE0ELNS1_11target_archE4294967295ELNS1_3gpuE0ELNS1_3repE0EEENS1_30default_config_static_selectorELNS0_4arch9wavefront6targetE1EEEvT1_,"axG",@progbits,_ZN7rocprim17ROCPRIM_400000_NS6detail17trampoline_kernelINS0_14default_configENS1_20scan_config_selectorIxEEZZNS1_9scan_implILNS1_25lookback_scan_determinismE0ELb0ELb0ES3_N6thrust23THRUST_200600_302600_NS6detail15normal_iteratorINS9_10device_ptrIxEEEESE_x11max_functorIxExEEDaPvRmT3_T4_T5_mT6_P12ihipStream_tbENKUlT_T0_E_clISt17integral_constantIbLb1EEST_IbLb0EEEEDaSP_SQ_EUlSP_E0_NS1_11comp_targetILNS1_3genE0ELNS1_11target_archE4294967295ELNS1_3gpuE0ELNS1_3repE0EEENS1_30default_config_static_selectorELNS0_4arch9wavefront6targetE1EEEvT1_,comdat
	.protected	_ZN7rocprim17ROCPRIM_400000_NS6detail17trampoline_kernelINS0_14default_configENS1_20scan_config_selectorIxEEZZNS1_9scan_implILNS1_25lookback_scan_determinismE0ELb0ELb0ES3_N6thrust23THRUST_200600_302600_NS6detail15normal_iteratorINS9_10device_ptrIxEEEESE_x11max_functorIxExEEDaPvRmT3_T4_T5_mT6_P12ihipStream_tbENKUlT_T0_E_clISt17integral_constantIbLb1EEST_IbLb0EEEEDaSP_SQ_EUlSP_E0_NS1_11comp_targetILNS1_3genE0ELNS1_11target_archE4294967295ELNS1_3gpuE0ELNS1_3repE0EEENS1_30default_config_static_selectorELNS0_4arch9wavefront6targetE1EEEvT1_ ; -- Begin function _ZN7rocprim17ROCPRIM_400000_NS6detail17trampoline_kernelINS0_14default_configENS1_20scan_config_selectorIxEEZZNS1_9scan_implILNS1_25lookback_scan_determinismE0ELb0ELb0ES3_N6thrust23THRUST_200600_302600_NS6detail15normal_iteratorINS9_10device_ptrIxEEEESE_x11max_functorIxExEEDaPvRmT3_T4_T5_mT6_P12ihipStream_tbENKUlT_T0_E_clISt17integral_constantIbLb1EEST_IbLb0EEEEDaSP_SQ_EUlSP_E0_NS1_11comp_targetILNS1_3genE0ELNS1_11target_archE4294967295ELNS1_3gpuE0ELNS1_3repE0EEENS1_30default_config_static_selectorELNS0_4arch9wavefront6targetE1EEEvT1_
	.globl	_ZN7rocprim17ROCPRIM_400000_NS6detail17trampoline_kernelINS0_14default_configENS1_20scan_config_selectorIxEEZZNS1_9scan_implILNS1_25lookback_scan_determinismE0ELb0ELb0ES3_N6thrust23THRUST_200600_302600_NS6detail15normal_iteratorINS9_10device_ptrIxEEEESE_x11max_functorIxExEEDaPvRmT3_T4_T5_mT6_P12ihipStream_tbENKUlT_T0_E_clISt17integral_constantIbLb1EEST_IbLb0EEEEDaSP_SQ_EUlSP_E0_NS1_11comp_targetILNS1_3genE0ELNS1_11target_archE4294967295ELNS1_3gpuE0ELNS1_3repE0EEENS1_30default_config_static_selectorELNS0_4arch9wavefront6targetE1EEEvT1_
	.p2align	8
	.type	_ZN7rocprim17ROCPRIM_400000_NS6detail17trampoline_kernelINS0_14default_configENS1_20scan_config_selectorIxEEZZNS1_9scan_implILNS1_25lookback_scan_determinismE0ELb0ELb0ES3_N6thrust23THRUST_200600_302600_NS6detail15normal_iteratorINS9_10device_ptrIxEEEESE_x11max_functorIxExEEDaPvRmT3_T4_T5_mT6_P12ihipStream_tbENKUlT_T0_E_clISt17integral_constantIbLb1EEST_IbLb0EEEEDaSP_SQ_EUlSP_E0_NS1_11comp_targetILNS1_3genE0ELNS1_11target_archE4294967295ELNS1_3gpuE0ELNS1_3repE0EEENS1_30default_config_static_selectorELNS0_4arch9wavefront6targetE1EEEvT1_,@function
_ZN7rocprim17ROCPRIM_400000_NS6detail17trampoline_kernelINS0_14default_configENS1_20scan_config_selectorIxEEZZNS1_9scan_implILNS1_25lookback_scan_determinismE0ELb0ELb0ES3_N6thrust23THRUST_200600_302600_NS6detail15normal_iteratorINS9_10device_ptrIxEEEESE_x11max_functorIxExEEDaPvRmT3_T4_T5_mT6_P12ihipStream_tbENKUlT_T0_E_clISt17integral_constantIbLb1EEST_IbLb0EEEEDaSP_SQ_EUlSP_E0_NS1_11comp_targetILNS1_3genE0ELNS1_11target_archE4294967295ELNS1_3gpuE0ELNS1_3repE0EEENS1_30default_config_static_selectorELNS0_4arch9wavefront6targetE1EEEvT1_: ; @_ZN7rocprim17ROCPRIM_400000_NS6detail17trampoline_kernelINS0_14default_configENS1_20scan_config_selectorIxEEZZNS1_9scan_implILNS1_25lookback_scan_determinismE0ELb0ELb0ES3_N6thrust23THRUST_200600_302600_NS6detail15normal_iteratorINS9_10device_ptrIxEEEESE_x11max_functorIxExEEDaPvRmT3_T4_T5_mT6_P12ihipStream_tbENKUlT_T0_E_clISt17integral_constantIbLb1EEST_IbLb0EEEEDaSP_SQ_EUlSP_E0_NS1_11comp_targetILNS1_3genE0ELNS1_11target_archE4294967295ELNS1_3gpuE0ELNS1_3repE0EEENS1_30default_config_static_selectorELNS0_4arch9wavefront6targetE1EEEvT1_
; %bb.0:
	.section	.rodata,"a",@progbits
	.p2align	6, 0x0
	.amdhsa_kernel _ZN7rocprim17ROCPRIM_400000_NS6detail17trampoline_kernelINS0_14default_configENS1_20scan_config_selectorIxEEZZNS1_9scan_implILNS1_25lookback_scan_determinismE0ELb0ELb0ES3_N6thrust23THRUST_200600_302600_NS6detail15normal_iteratorINS9_10device_ptrIxEEEESE_x11max_functorIxExEEDaPvRmT3_T4_T5_mT6_P12ihipStream_tbENKUlT_T0_E_clISt17integral_constantIbLb1EEST_IbLb0EEEEDaSP_SQ_EUlSP_E0_NS1_11comp_targetILNS1_3genE0ELNS1_11target_archE4294967295ELNS1_3gpuE0ELNS1_3repE0EEENS1_30default_config_static_selectorELNS0_4arch9wavefront6targetE1EEEvT1_
		.amdhsa_group_segment_fixed_size 0
		.amdhsa_private_segment_fixed_size 0
		.amdhsa_kernarg_size 40
		.amdhsa_user_sgpr_count 6
		.amdhsa_user_sgpr_private_segment_buffer 1
		.amdhsa_user_sgpr_dispatch_ptr 0
		.amdhsa_user_sgpr_queue_ptr 0
		.amdhsa_user_sgpr_kernarg_segment_ptr 1
		.amdhsa_user_sgpr_dispatch_id 0
		.amdhsa_user_sgpr_flat_scratch_init 0
		.amdhsa_user_sgpr_kernarg_preload_length 0
		.amdhsa_user_sgpr_kernarg_preload_offset 0
		.amdhsa_user_sgpr_private_segment_size 0
		.amdhsa_uses_dynamic_stack 0
		.amdhsa_system_sgpr_private_segment_wavefront_offset 0
		.amdhsa_system_sgpr_workgroup_id_x 1
		.amdhsa_system_sgpr_workgroup_id_y 0
		.amdhsa_system_sgpr_workgroup_id_z 0
		.amdhsa_system_sgpr_workgroup_info 0
		.amdhsa_system_vgpr_workitem_id 0
		.amdhsa_next_free_vgpr 1
		.amdhsa_next_free_sgpr 0
		.amdhsa_accum_offset 4
		.amdhsa_reserve_vcc 0
		.amdhsa_reserve_flat_scratch 0
		.amdhsa_float_round_mode_32 0
		.amdhsa_float_round_mode_16_64 0
		.amdhsa_float_denorm_mode_32 3
		.amdhsa_float_denorm_mode_16_64 3
		.amdhsa_dx10_clamp 1
		.amdhsa_ieee_mode 1
		.amdhsa_fp16_overflow 0
		.amdhsa_tg_split 0
		.amdhsa_exception_fp_ieee_invalid_op 0
		.amdhsa_exception_fp_denorm_src 0
		.amdhsa_exception_fp_ieee_div_zero 0
		.amdhsa_exception_fp_ieee_overflow 0
		.amdhsa_exception_fp_ieee_underflow 0
		.amdhsa_exception_fp_ieee_inexact 0
		.amdhsa_exception_int_div_zero 0
	.end_amdhsa_kernel
	.section	.text._ZN7rocprim17ROCPRIM_400000_NS6detail17trampoline_kernelINS0_14default_configENS1_20scan_config_selectorIxEEZZNS1_9scan_implILNS1_25lookback_scan_determinismE0ELb0ELb0ES3_N6thrust23THRUST_200600_302600_NS6detail15normal_iteratorINS9_10device_ptrIxEEEESE_x11max_functorIxExEEDaPvRmT3_T4_T5_mT6_P12ihipStream_tbENKUlT_T0_E_clISt17integral_constantIbLb1EEST_IbLb0EEEEDaSP_SQ_EUlSP_E0_NS1_11comp_targetILNS1_3genE0ELNS1_11target_archE4294967295ELNS1_3gpuE0ELNS1_3repE0EEENS1_30default_config_static_selectorELNS0_4arch9wavefront6targetE1EEEvT1_,"axG",@progbits,_ZN7rocprim17ROCPRIM_400000_NS6detail17trampoline_kernelINS0_14default_configENS1_20scan_config_selectorIxEEZZNS1_9scan_implILNS1_25lookback_scan_determinismE0ELb0ELb0ES3_N6thrust23THRUST_200600_302600_NS6detail15normal_iteratorINS9_10device_ptrIxEEEESE_x11max_functorIxExEEDaPvRmT3_T4_T5_mT6_P12ihipStream_tbENKUlT_T0_E_clISt17integral_constantIbLb1EEST_IbLb0EEEEDaSP_SQ_EUlSP_E0_NS1_11comp_targetILNS1_3genE0ELNS1_11target_archE4294967295ELNS1_3gpuE0ELNS1_3repE0EEENS1_30default_config_static_selectorELNS0_4arch9wavefront6targetE1EEEvT1_,comdat
.Lfunc_end2603:
	.size	_ZN7rocprim17ROCPRIM_400000_NS6detail17trampoline_kernelINS0_14default_configENS1_20scan_config_selectorIxEEZZNS1_9scan_implILNS1_25lookback_scan_determinismE0ELb0ELb0ES3_N6thrust23THRUST_200600_302600_NS6detail15normal_iteratorINS9_10device_ptrIxEEEESE_x11max_functorIxExEEDaPvRmT3_T4_T5_mT6_P12ihipStream_tbENKUlT_T0_E_clISt17integral_constantIbLb1EEST_IbLb0EEEEDaSP_SQ_EUlSP_E0_NS1_11comp_targetILNS1_3genE0ELNS1_11target_archE4294967295ELNS1_3gpuE0ELNS1_3repE0EEENS1_30default_config_static_selectorELNS0_4arch9wavefront6targetE1EEEvT1_, .Lfunc_end2603-_ZN7rocprim17ROCPRIM_400000_NS6detail17trampoline_kernelINS0_14default_configENS1_20scan_config_selectorIxEEZZNS1_9scan_implILNS1_25lookback_scan_determinismE0ELb0ELb0ES3_N6thrust23THRUST_200600_302600_NS6detail15normal_iteratorINS9_10device_ptrIxEEEESE_x11max_functorIxExEEDaPvRmT3_T4_T5_mT6_P12ihipStream_tbENKUlT_T0_E_clISt17integral_constantIbLb1EEST_IbLb0EEEEDaSP_SQ_EUlSP_E0_NS1_11comp_targetILNS1_3genE0ELNS1_11target_archE4294967295ELNS1_3gpuE0ELNS1_3repE0EEENS1_30default_config_static_selectorELNS0_4arch9wavefront6targetE1EEEvT1_
                                        ; -- End function
	.section	.AMDGPU.csdata,"",@progbits
; Kernel info:
; codeLenInByte = 0
; NumSgprs: 4
; NumVgprs: 0
; NumAgprs: 0
; TotalNumVgprs: 0
; ScratchSize: 0
; MemoryBound: 0
; FloatMode: 240
; IeeeMode: 1
; LDSByteSize: 0 bytes/workgroup (compile time only)
; SGPRBlocks: 0
; VGPRBlocks: 0
; NumSGPRsForWavesPerEU: 4
; NumVGPRsForWavesPerEU: 1
; AccumOffset: 4
; Occupancy: 8
; WaveLimiterHint : 0
; COMPUTE_PGM_RSRC2:SCRATCH_EN: 0
; COMPUTE_PGM_RSRC2:USER_SGPR: 6
; COMPUTE_PGM_RSRC2:TRAP_HANDLER: 0
; COMPUTE_PGM_RSRC2:TGID_X_EN: 1
; COMPUTE_PGM_RSRC2:TGID_Y_EN: 0
; COMPUTE_PGM_RSRC2:TGID_Z_EN: 0
; COMPUTE_PGM_RSRC2:TIDIG_COMP_CNT: 0
; COMPUTE_PGM_RSRC3_GFX90A:ACCUM_OFFSET: 0
; COMPUTE_PGM_RSRC3_GFX90A:TG_SPLIT: 0
	.section	.text._ZN7rocprim17ROCPRIM_400000_NS6detail17trampoline_kernelINS0_14default_configENS1_20scan_config_selectorIxEEZZNS1_9scan_implILNS1_25lookback_scan_determinismE0ELb0ELb0ES3_N6thrust23THRUST_200600_302600_NS6detail15normal_iteratorINS9_10device_ptrIxEEEESE_x11max_functorIxExEEDaPvRmT3_T4_T5_mT6_P12ihipStream_tbENKUlT_T0_E_clISt17integral_constantIbLb1EEST_IbLb0EEEEDaSP_SQ_EUlSP_E0_NS1_11comp_targetILNS1_3genE5ELNS1_11target_archE942ELNS1_3gpuE9ELNS1_3repE0EEENS1_30default_config_static_selectorELNS0_4arch9wavefront6targetE1EEEvT1_,"axG",@progbits,_ZN7rocprim17ROCPRIM_400000_NS6detail17trampoline_kernelINS0_14default_configENS1_20scan_config_selectorIxEEZZNS1_9scan_implILNS1_25lookback_scan_determinismE0ELb0ELb0ES3_N6thrust23THRUST_200600_302600_NS6detail15normal_iteratorINS9_10device_ptrIxEEEESE_x11max_functorIxExEEDaPvRmT3_T4_T5_mT6_P12ihipStream_tbENKUlT_T0_E_clISt17integral_constantIbLb1EEST_IbLb0EEEEDaSP_SQ_EUlSP_E0_NS1_11comp_targetILNS1_3genE5ELNS1_11target_archE942ELNS1_3gpuE9ELNS1_3repE0EEENS1_30default_config_static_selectorELNS0_4arch9wavefront6targetE1EEEvT1_,comdat
	.protected	_ZN7rocprim17ROCPRIM_400000_NS6detail17trampoline_kernelINS0_14default_configENS1_20scan_config_selectorIxEEZZNS1_9scan_implILNS1_25lookback_scan_determinismE0ELb0ELb0ES3_N6thrust23THRUST_200600_302600_NS6detail15normal_iteratorINS9_10device_ptrIxEEEESE_x11max_functorIxExEEDaPvRmT3_T4_T5_mT6_P12ihipStream_tbENKUlT_T0_E_clISt17integral_constantIbLb1EEST_IbLb0EEEEDaSP_SQ_EUlSP_E0_NS1_11comp_targetILNS1_3genE5ELNS1_11target_archE942ELNS1_3gpuE9ELNS1_3repE0EEENS1_30default_config_static_selectorELNS0_4arch9wavefront6targetE1EEEvT1_ ; -- Begin function _ZN7rocprim17ROCPRIM_400000_NS6detail17trampoline_kernelINS0_14default_configENS1_20scan_config_selectorIxEEZZNS1_9scan_implILNS1_25lookback_scan_determinismE0ELb0ELb0ES3_N6thrust23THRUST_200600_302600_NS6detail15normal_iteratorINS9_10device_ptrIxEEEESE_x11max_functorIxExEEDaPvRmT3_T4_T5_mT6_P12ihipStream_tbENKUlT_T0_E_clISt17integral_constantIbLb1EEST_IbLb0EEEEDaSP_SQ_EUlSP_E0_NS1_11comp_targetILNS1_3genE5ELNS1_11target_archE942ELNS1_3gpuE9ELNS1_3repE0EEENS1_30default_config_static_selectorELNS0_4arch9wavefront6targetE1EEEvT1_
	.globl	_ZN7rocprim17ROCPRIM_400000_NS6detail17trampoline_kernelINS0_14default_configENS1_20scan_config_selectorIxEEZZNS1_9scan_implILNS1_25lookback_scan_determinismE0ELb0ELb0ES3_N6thrust23THRUST_200600_302600_NS6detail15normal_iteratorINS9_10device_ptrIxEEEESE_x11max_functorIxExEEDaPvRmT3_T4_T5_mT6_P12ihipStream_tbENKUlT_T0_E_clISt17integral_constantIbLb1EEST_IbLb0EEEEDaSP_SQ_EUlSP_E0_NS1_11comp_targetILNS1_3genE5ELNS1_11target_archE942ELNS1_3gpuE9ELNS1_3repE0EEENS1_30default_config_static_selectorELNS0_4arch9wavefront6targetE1EEEvT1_
	.p2align	8
	.type	_ZN7rocprim17ROCPRIM_400000_NS6detail17trampoline_kernelINS0_14default_configENS1_20scan_config_selectorIxEEZZNS1_9scan_implILNS1_25lookback_scan_determinismE0ELb0ELb0ES3_N6thrust23THRUST_200600_302600_NS6detail15normal_iteratorINS9_10device_ptrIxEEEESE_x11max_functorIxExEEDaPvRmT3_T4_T5_mT6_P12ihipStream_tbENKUlT_T0_E_clISt17integral_constantIbLb1EEST_IbLb0EEEEDaSP_SQ_EUlSP_E0_NS1_11comp_targetILNS1_3genE5ELNS1_11target_archE942ELNS1_3gpuE9ELNS1_3repE0EEENS1_30default_config_static_selectorELNS0_4arch9wavefront6targetE1EEEvT1_,@function
_ZN7rocprim17ROCPRIM_400000_NS6detail17trampoline_kernelINS0_14default_configENS1_20scan_config_selectorIxEEZZNS1_9scan_implILNS1_25lookback_scan_determinismE0ELb0ELb0ES3_N6thrust23THRUST_200600_302600_NS6detail15normal_iteratorINS9_10device_ptrIxEEEESE_x11max_functorIxExEEDaPvRmT3_T4_T5_mT6_P12ihipStream_tbENKUlT_T0_E_clISt17integral_constantIbLb1EEST_IbLb0EEEEDaSP_SQ_EUlSP_E0_NS1_11comp_targetILNS1_3genE5ELNS1_11target_archE942ELNS1_3gpuE9ELNS1_3repE0EEENS1_30default_config_static_selectorELNS0_4arch9wavefront6targetE1EEEvT1_: ; @_ZN7rocprim17ROCPRIM_400000_NS6detail17trampoline_kernelINS0_14default_configENS1_20scan_config_selectorIxEEZZNS1_9scan_implILNS1_25lookback_scan_determinismE0ELb0ELb0ES3_N6thrust23THRUST_200600_302600_NS6detail15normal_iteratorINS9_10device_ptrIxEEEESE_x11max_functorIxExEEDaPvRmT3_T4_T5_mT6_P12ihipStream_tbENKUlT_T0_E_clISt17integral_constantIbLb1EEST_IbLb0EEEEDaSP_SQ_EUlSP_E0_NS1_11comp_targetILNS1_3genE5ELNS1_11target_archE942ELNS1_3gpuE9ELNS1_3repE0EEENS1_30default_config_static_selectorELNS0_4arch9wavefront6targetE1EEEvT1_
; %bb.0:
	.section	.rodata,"a",@progbits
	.p2align	6, 0x0
	.amdhsa_kernel _ZN7rocprim17ROCPRIM_400000_NS6detail17trampoline_kernelINS0_14default_configENS1_20scan_config_selectorIxEEZZNS1_9scan_implILNS1_25lookback_scan_determinismE0ELb0ELb0ES3_N6thrust23THRUST_200600_302600_NS6detail15normal_iteratorINS9_10device_ptrIxEEEESE_x11max_functorIxExEEDaPvRmT3_T4_T5_mT6_P12ihipStream_tbENKUlT_T0_E_clISt17integral_constantIbLb1EEST_IbLb0EEEEDaSP_SQ_EUlSP_E0_NS1_11comp_targetILNS1_3genE5ELNS1_11target_archE942ELNS1_3gpuE9ELNS1_3repE0EEENS1_30default_config_static_selectorELNS0_4arch9wavefront6targetE1EEEvT1_
		.amdhsa_group_segment_fixed_size 0
		.amdhsa_private_segment_fixed_size 0
		.amdhsa_kernarg_size 40
		.amdhsa_user_sgpr_count 6
		.amdhsa_user_sgpr_private_segment_buffer 1
		.amdhsa_user_sgpr_dispatch_ptr 0
		.amdhsa_user_sgpr_queue_ptr 0
		.amdhsa_user_sgpr_kernarg_segment_ptr 1
		.amdhsa_user_sgpr_dispatch_id 0
		.amdhsa_user_sgpr_flat_scratch_init 0
		.amdhsa_user_sgpr_kernarg_preload_length 0
		.amdhsa_user_sgpr_kernarg_preload_offset 0
		.amdhsa_user_sgpr_private_segment_size 0
		.amdhsa_uses_dynamic_stack 0
		.amdhsa_system_sgpr_private_segment_wavefront_offset 0
		.amdhsa_system_sgpr_workgroup_id_x 1
		.amdhsa_system_sgpr_workgroup_id_y 0
		.amdhsa_system_sgpr_workgroup_id_z 0
		.amdhsa_system_sgpr_workgroup_info 0
		.amdhsa_system_vgpr_workitem_id 0
		.amdhsa_next_free_vgpr 1
		.amdhsa_next_free_sgpr 0
		.amdhsa_accum_offset 4
		.amdhsa_reserve_vcc 0
		.amdhsa_reserve_flat_scratch 0
		.amdhsa_float_round_mode_32 0
		.amdhsa_float_round_mode_16_64 0
		.amdhsa_float_denorm_mode_32 3
		.amdhsa_float_denorm_mode_16_64 3
		.amdhsa_dx10_clamp 1
		.amdhsa_ieee_mode 1
		.amdhsa_fp16_overflow 0
		.amdhsa_tg_split 0
		.amdhsa_exception_fp_ieee_invalid_op 0
		.amdhsa_exception_fp_denorm_src 0
		.amdhsa_exception_fp_ieee_div_zero 0
		.amdhsa_exception_fp_ieee_overflow 0
		.amdhsa_exception_fp_ieee_underflow 0
		.amdhsa_exception_fp_ieee_inexact 0
		.amdhsa_exception_int_div_zero 0
	.end_amdhsa_kernel
	.section	.text._ZN7rocprim17ROCPRIM_400000_NS6detail17trampoline_kernelINS0_14default_configENS1_20scan_config_selectorIxEEZZNS1_9scan_implILNS1_25lookback_scan_determinismE0ELb0ELb0ES3_N6thrust23THRUST_200600_302600_NS6detail15normal_iteratorINS9_10device_ptrIxEEEESE_x11max_functorIxExEEDaPvRmT3_T4_T5_mT6_P12ihipStream_tbENKUlT_T0_E_clISt17integral_constantIbLb1EEST_IbLb0EEEEDaSP_SQ_EUlSP_E0_NS1_11comp_targetILNS1_3genE5ELNS1_11target_archE942ELNS1_3gpuE9ELNS1_3repE0EEENS1_30default_config_static_selectorELNS0_4arch9wavefront6targetE1EEEvT1_,"axG",@progbits,_ZN7rocprim17ROCPRIM_400000_NS6detail17trampoline_kernelINS0_14default_configENS1_20scan_config_selectorIxEEZZNS1_9scan_implILNS1_25lookback_scan_determinismE0ELb0ELb0ES3_N6thrust23THRUST_200600_302600_NS6detail15normal_iteratorINS9_10device_ptrIxEEEESE_x11max_functorIxExEEDaPvRmT3_T4_T5_mT6_P12ihipStream_tbENKUlT_T0_E_clISt17integral_constantIbLb1EEST_IbLb0EEEEDaSP_SQ_EUlSP_E0_NS1_11comp_targetILNS1_3genE5ELNS1_11target_archE942ELNS1_3gpuE9ELNS1_3repE0EEENS1_30default_config_static_selectorELNS0_4arch9wavefront6targetE1EEEvT1_,comdat
.Lfunc_end2604:
	.size	_ZN7rocprim17ROCPRIM_400000_NS6detail17trampoline_kernelINS0_14default_configENS1_20scan_config_selectorIxEEZZNS1_9scan_implILNS1_25lookback_scan_determinismE0ELb0ELb0ES3_N6thrust23THRUST_200600_302600_NS6detail15normal_iteratorINS9_10device_ptrIxEEEESE_x11max_functorIxExEEDaPvRmT3_T4_T5_mT6_P12ihipStream_tbENKUlT_T0_E_clISt17integral_constantIbLb1EEST_IbLb0EEEEDaSP_SQ_EUlSP_E0_NS1_11comp_targetILNS1_3genE5ELNS1_11target_archE942ELNS1_3gpuE9ELNS1_3repE0EEENS1_30default_config_static_selectorELNS0_4arch9wavefront6targetE1EEEvT1_, .Lfunc_end2604-_ZN7rocprim17ROCPRIM_400000_NS6detail17trampoline_kernelINS0_14default_configENS1_20scan_config_selectorIxEEZZNS1_9scan_implILNS1_25lookback_scan_determinismE0ELb0ELb0ES3_N6thrust23THRUST_200600_302600_NS6detail15normal_iteratorINS9_10device_ptrIxEEEESE_x11max_functorIxExEEDaPvRmT3_T4_T5_mT6_P12ihipStream_tbENKUlT_T0_E_clISt17integral_constantIbLb1EEST_IbLb0EEEEDaSP_SQ_EUlSP_E0_NS1_11comp_targetILNS1_3genE5ELNS1_11target_archE942ELNS1_3gpuE9ELNS1_3repE0EEENS1_30default_config_static_selectorELNS0_4arch9wavefront6targetE1EEEvT1_
                                        ; -- End function
	.section	.AMDGPU.csdata,"",@progbits
; Kernel info:
; codeLenInByte = 0
; NumSgprs: 4
; NumVgprs: 0
; NumAgprs: 0
; TotalNumVgprs: 0
; ScratchSize: 0
; MemoryBound: 0
; FloatMode: 240
; IeeeMode: 1
; LDSByteSize: 0 bytes/workgroup (compile time only)
; SGPRBlocks: 0
; VGPRBlocks: 0
; NumSGPRsForWavesPerEU: 4
; NumVGPRsForWavesPerEU: 1
; AccumOffset: 4
; Occupancy: 8
; WaveLimiterHint : 0
; COMPUTE_PGM_RSRC2:SCRATCH_EN: 0
; COMPUTE_PGM_RSRC2:USER_SGPR: 6
; COMPUTE_PGM_RSRC2:TRAP_HANDLER: 0
; COMPUTE_PGM_RSRC2:TGID_X_EN: 1
; COMPUTE_PGM_RSRC2:TGID_Y_EN: 0
; COMPUTE_PGM_RSRC2:TGID_Z_EN: 0
; COMPUTE_PGM_RSRC2:TIDIG_COMP_CNT: 0
; COMPUTE_PGM_RSRC3_GFX90A:ACCUM_OFFSET: 0
; COMPUTE_PGM_RSRC3_GFX90A:TG_SPLIT: 0
	.section	.text._ZN7rocprim17ROCPRIM_400000_NS6detail17trampoline_kernelINS0_14default_configENS1_20scan_config_selectorIxEEZZNS1_9scan_implILNS1_25lookback_scan_determinismE0ELb0ELb0ES3_N6thrust23THRUST_200600_302600_NS6detail15normal_iteratorINS9_10device_ptrIxEEEESE_x11max_functorIxExEEDaPvRmT3_T4_T5_mT6_P12ihipStream_tbENKUlT_T0_E_clISt17integral_constantIbLb1EEST_IbLb0EEEEDaSP_SQ_EUlSP_E0_NS1_11comp_targetILNS1_3genE4ELNS1_11target_archE910ELNS1_3gpuE8ELNS1_3repE0EEENS1_30default_config_static_selectorELNS0_4arch9wavefront6targetE1EEEvT1_,"axG",@progbits,_ZN7rocprim17ROCPRIM_400000_NS6detail17trampoline_kernelINS0_14default_configENS1_20scan_config_selectorIxEEZZNS1_9scan_implILNS1_25lookback_scan_determinismE0ELb0ELb0ES3_N6thrust23THRUST_200600_302600_NS6detail15normal_iteratorINS9_10device_ptrIxEEEESE_x11max_functorIxExEEDaPvRmT3_T4_T5_mT6_P12ihipStream_tbENKUlT_T0_E_clISt17integral_constantIbLb1EEST_IbLb0EEEEDaSP_SQ_EUlSP_E0_NS1_11comp_targetILNS1_3genE4ELNS1_11target_archE910ELNS1_3gpuE8ELNS1_3repE0EEENS1_30default_config_static_selectorELNS0_4arch9wavefront6targetE1EEEvT1_,comdat
	.protected	_ZN7rocprim17ROCPRIM_400000_NS6detail17trampoline_kernelINS0_14default_configENS1_20scan_config_selectorIxEEZZNS1_9scan_implILNS1_25lookback_scan_determinismE0ELb0ELb0ES3_N6thrust23THRUST_200600_302600_NS6detail15normal_iteratorINS9_10device_ptrIxEEEESE_x11max_functorIxExEEDaPvRmT3_T4_T5_mT6_P12ihipStream_tbENKUlT_T0_E_clISt17integral_constantIbLb1EEST_IbLb0EEEEDaSP_SQ_EUlSP_E0_NS1_11comp_targetILNS1_3genE4ELNS1_11target_archE910ELNS1_3gpuE8ELNS1_3repE0EEENS1_30default_config_static_selectorELNS0_4arch9wavefront6targetE1EEEvT1_ ; -- Begin function _ZN7rocprim17ROCPRIM_400000_NS6detail17trampoline_kernelINS0_14default_configENS1_20scan_config_selectorIxEEZZNS1_9scan_implILNS1_25lookback_scan_determinismE0ELb0ELb0ES3_N6thrust23THRUST_200600_302600_NS6detail15normal_iteratorINS9_10device_ptrIxEEEESE_x11max_functorIxExEEDaPvRmT3_T4_T5_mT6_P12ihipStream_tbENKUlT_T0_E_clISt17integral_constantIbLb1EEST_IbLb0EEEEDaSP_SQ_EUlSP_E0_NS1_11comp_targetILNS1_3genE4ELNS1_11target_archE910ELNS1_3gpuE8ELNS1_3repE0EEENS1_30default_config_static_selectorELNS0_4arch9wavefront6targetE1EEEvT1_
	.globl	_ZN7rocprim17ROCPRIM_400000_NS6detail17trampoline_kernelINS0_14default_configENS1_20scan_config_selectorIxEEZZNS1_9scan_implILNS1_25lookback_scan_determinismE0ELb0ELb0ES3_N6thrust23THRUST_200600_302600_NS6detail15normal_iteratorINS9_10device_ptrIxEEEESE_x11max_functorIxExEEDaPvRmT3_T4_T5_mT6_P12ihipStream_tbENKUlT_T0_E_clISt17integral_constantIbLb1EEST_IbLb0EEEEDaSP_SQ_EUlSP_E0_NS1_11comp_targetILNS1_3genE4ELNS1_11target_archE910ELNS1_3gpuE8ELNS1_3repE0EEENS1_30default_config_static_selectorELNS0_4arch9wavefront6targetE1EEEvT1_
	.p2align	8
	.type	_ZN7rocprim17ROCPRIM_400000_NS6detail17trampoline_kernelINS0_14default_configENS1_20scan_config_selectorIxEEZZNS1_9scan_implILNS1_25lookback_scan_determinismE0ELb0ELb0ES3_N6thrust23THRUST_200600_302600_NS6detail15normal_iteratorINS9_10device_ptrIxEEEESE_x11max_functorIxExEEDaPvRmT3_T4_T5_mT6_P12ihipStream_tbENKUlT_T0_E_clISt17integral_constantIbLb1EEST_IbLb0EEEEDaSP_SQ_EUlSP_E0_NS1_11comp_targetILNS1_3genE4ELNS1_11target_archE910ELNS1_3gpuE8ELNS1_3repE0EEENS1_30default_config_static_selectorELNS0_4arch9wavefront6targetE1EEEvT1_,@function
_ZN7rocprim17ROCPRIM_400000_NS6detail17trampoline_kernelINS0_14default_configENS1_20scan_config_selectorIxEEZZNS1_9scan_implILNS1_25lookback_scan_determinismE0ELb0ELb0ES3_N6thrust23THRUST_200600_302600_NS6detail15normal_iteratorINS9_10device_ptrIxEEEESE_x11max_functorIxExEEDaPvRmT3_T4_T5_mT6_P12ihipStream_tbENKUlT_T0_E_clISt17integral_constantIbLb1EEST_IbLb0EEEEDaSP_SQ_EUlSP_E0_NS1_11comp_targetILNS1_3genE4ELNS1_11target_archE910ELNS1_3gpuE8ELNS1_3repE0EEENS1_30default_config_static_selectorELNS0_4arch9wavefront6targetE1EEEvT1_: ; @_ZN7rocprim17ROCPRIM_400000_NS6detail17trampoline_kernelINS0_14default_configENS1_20scan_config_selectorIxEEZZNS1_9scan_implILNS1_25lookback_scan_determinismE0ELb0ELb0ES3_N6thrust23THRUST_200600_302600_NS6detail15normal_iteratorINS9_10device_ptrIxEEEESE_x11max_functorIxExEEDaPvRmT3_T4_T5_mT6_P12ihipStream_tbENKUlT_T0_E_clISt17integral_constantIbLb1EEST_IbLb0EEEEDaSP_SQ_EUlSP_E0_NS1_11comp_targetILNS1_3genE4ELNS1_11target_archE910ELNS1_3gpuE8ELNS1_3repE0EEENS1_30default_config_static_selectorELNS0_4arch9wavefront6targetE1EEEvT1_
; %bb.0:
	s_load_dwordx4 s[16:19], s[4:5], 0x0
	v_lshlrev_b32_e32 v36, 3, v0
	s_waitcnt lgkmcnt(0)
	s_load_dwordx2 s[14:15], s[16:17], 0x0
	v_cmp_gt_u32_e32 vcc, s18, v0
	s_waitcnt lgkmcnt(0)
	v_pk_mov_b32 v[2:3], s[14:15], s[14:15] op_sel:[0,1]
	s_and_saveexec_b64 s[0:1], vcc
	s_cbranch_execz .LBB2605_2
; %bb.1:
	global_load_dwordx2 v[2:3], v36, s[16:17]
.LBB2605_2:
	s_or_b64 exec, exec, s[0:1]
	v_or_b32_e32 v1, 0x80, v0
	v_cmp_gt_u32_e64 s[0:1], s18, v1
	v_pk_mov_b32 v[4:5], s[14:15], s[14:15] op_sel:[0,1]
	s_and_saveexec_b64 s[2:3], s[0:1]
	s_cbranch_execz .LBB2605_4
; %bb.3:
	global_load_dwordx2 v[4:5], v36, s[16:17] offset:1024
.LBB2605_4:
	s_or_b64 exec, exec, s[2:3]
	v_or_b32_e32 v1, 0x100, v0
	v_cmp_gt_u32_e64 s[2:3], s18, v1
	v_pk_mov_b32 v[6:7], s[14:15], s[14:15] op_sel:[0,1]
	s_and_saveexec_b64 s[6:7], s[2:3]
	s_cbranch_execz .LBB2605_6
; %bb.5:
	global_load_dwordx2 v[6:7], v36, s[16:17] offset:2048
.LBB2605_6:
	;; [unrolled: 9-line block ×3, first 2 shown]
	s_or_b64 exec, exec, s[6:7]
	v_or_b32_e32 v1, 0x200, v0
	v_cmp_gt_u32_e64 s[6:7], s18, v1
	v_pk_mov_b32 v[10:11], s[14:15], s[14:15] op_sel:[0,1]
	s_and_saveexec_b64 s[8:9], s[6:7]
	s_cbranch_execz .LBB2605_10
; %bb.9:
	v_lshlrev_b32_e32 v1, 3, v1
	global_load_dwordx2 v[10:11], v1, s[16:17]
.LBB2605_10:
	s_or_b64 exec, exec, s[8:9]
	v_or_b32_e32 v1, 0x280, v0
	v_cmp_gt_u32_e64 s[8:9], s18, v1
	v_pk_mov_b32 v[12:13], s[14:15], s[14:15] op_sel:[0,1]
	s_and_saveexec_b64 s[10:11], s[8:9]
	s_cbranch_execz .LBB2605_12
; %bb.11:
	v_lshlrev_b32_e32 v1, 3, v1
	global_load_dwordx2 v[12:13], v1, s[16:17]
.LBB2605_12:
	;; [unrolled: 10-line block ×3, first 2 shown]
	s_or_b64 exec, exec, s[14:15]
	v_mad_u32_u24 v1, v0, 48, v36
	s_waitcnt vmcnt(0)
	ds_write2st64_b64 v36, v[2:3], v[4:5] offset1:2
	ds_write2st64_b64 v36, v[6:7], v[8:9] offset0:4 offset1:6
	ds_write2st64_b64 v36, v[10:11], v[12:13] offset0:8 offset1:10
	ds_write_b64 v36, v[14:15] offset:6144
	s_waitcnt lgkmcnt(0)
	s_barrier
	ds_read2_b64 v[2:5], v1 offset1:1
	ds_read2_b64 v[10:13], v1 offset0:2 offset1:3
	ds_read2_b64 v[6:9], v1 offset0:4 offset1:5
	ds_read_b64 v[26:27], v1 offset:48
	s_load_dwordx2 s[16:17], s[4:5], 0x20
	s_waitcnt lgkmcnt(0)
	v_cmp_gt_i64_e64 s[4:5], v[2:3], v[4:5]
	v_cndmask_b32_e64 v19, v5, v3, s[4:5]
	v_cndmask_b32_e64 v18, v4, v2, s[4:5]
	v_cmp_gt_i64_e64 s[4:5], v[18:19], v[10:11]
	v_cndmask_b32_e64 v21, v11, v19, s[4:5]
	v_cndmask_b32_e64 v20, v10, v18, s[4:5]
	;; [unrolled: 3-line block ×5, first 2 shown]
	v_lshrrev_b32_e32 v14, 2, v0
	v_cmp_gt_i64_e64 s[4:5], v[28:29], v[26:27]
	v_and_b32_e32 v14, 24, v14
	v_cndmask_b32_e64 v31, v27, v29, s[4:5]
	v_cndmask_b32_e64 v30, v26, v28, s[4:5]
	v_add_u32_e32 v14, v36, v14
	v_cmp_gt_u32_e64 s[4:5], 64, v0
	s_barrier
	ds_write_b64 v14, v[30:31]
	s_waitcnt lgkmcnt(0)
	s_barrier
	s_and_saveexec_b64 s[18:19], s[4:5]
	s_cbranch_execz .LBB2605_18
; %bb.15:
	v_lshlrev_b32_e32 v14, 1, v0
	v_lshrrev_b32_e32 v15, 4, v0
	v_add_lshl_u32 v37, v15, v14, 3
	ds_read2_b64 v[14:17], v37 offset1:1
	v_mbcnt_lo_u32_b32 v32, -1, 0
	v_mbcnt_hi_u32_b32 v38, -1, v32
	v_and_b32_e32 v39, 15, v38
	v_and_b32_e32 v41, 16, v38
	s_waitcnt lgkmcnt(0)
	v_cmp_gt_i64_e64 s[4:5], v[14:15], v[16:17]
	v_cndmask_b32_e64 v17, v17, v15, s[4:5]
	v_cndmask_b32_e64 v16, v16, v14, s[4:5]
	v_cmp_ne_u32_e64 s[14:15], 0, v38
	v_mov_b32_dpp v33, v17 row_shr:1 row_mask:0xf bank_mask:0xf
	v_mov_b32_dpp v32, v16 row_shr:1 row_mask:0xf bank_mask:0xf
	v_cmp_gt_i64_e64 s[4:5], v[32:33], v[16:17]
	v_cndmask_b32_e64 v32, v16, v32, s[4:5]
	v_cndmask_b32_e64 v33, v17, v33, s[4:5]
	v_cmp_eq_u32_e64 s[4:5], 0, v39
	v_cndmask_b32_e64 v33, v33, v17, s[4:5]
	v_cndmask_b32_e64 v32, v32, v16, s[4:5]
	s_nop 0
	v_mov_b32_dpp v35, v33 row_shr:2 row_mask:0xf bank_mask:0xf
	v_mov_b32_dpp v34, v32 row_shr:2 row_mask:0xf bank_mask:0xf
	v_cmp_gt_i64_e64 s[4:5], v[34:35], v[32:33]
	v_cndmask_b32_e64 v34, v32, v34, s[4:5]
	v_cndmask_b32_e64 v35, v33, v35, s[4:5]
	v_cmp_lt_u32_e64 s[4:5], 1, v39
	v_cndmask_b32_e64 v33, v33, v35, s[4:5]
	v_cndmask_b32_e64 v32, v32, v34, s[4:5]
	s_nop 0
	v_mov_b32_dpp v35, v33 row_shr:4 row_mask:0xf bank_mask:0xf
	v_mov_b32_dpp v34, v32 row_shr:4 row_mask:0xf bank_mask:0xf
	v_cmp_gt_i64_e64 s[4:5], v[34:35], v[32:33]
	v_cndmask_b32_e64 v34, v32, v34, s[4:5]
	v_cndmask_b32_e64 v35, v33, v35, s[4:5]
	v_cmp_lt_u32_e64 s[4:5], 3, v39
	;; [unrolled: 9-line block ×3, first 2 shown]
	v_cndmask_b32_e64 v33, v33, v35, s[4:5]
	v_cndmask_b32_e64 v32, v32, v34, s[4:5]
	s_nop 0
	v_mov_b32_dpp v35, v33 row_bcast:15 row_mask:0xf bank_mask:0xf
	v_mov_b32_dpp v34, v32 row_bcast:15 row_mask:0xf bank_mask:0xf
	v_cmp_gt_i64_e64 s[4:5], v[34:35], v[32:33]
	v_cndmask_b32_e64 v39, v33, v35, s[4:5]
	v_cndmask_b32_e64 v40, v32, v34, s[4:5]
	v_cmp_eq_u32_e64 s[4:5], 0, v41
	v_cndmask_b32_e64 v35, v39, v33, s[4:5]
	v_cndmask_b32_e64 v34, v40, v32, s[4:5]
	s_nop 0
	v_mov_b32_dpp v35, v35 row_bcast:31 row_mask:0xf bank_mask:0xf
	v_mov_b32_dpp v34, v34 row_bcast:31 row_mask:0xf bank_mask:0xf
	s_and_saveexec_b64 s[20:21], s[14:15]
; %bb.16:
	v_cndmask_b32_e64 v17, v39, v33, s[4:5]
	v_cndmask_b32_e64 v16, v40, v32, s[4:5]
	v_cmp_lt_u32_e64 s[14:15], 31, v38
	v_cmp_gt_i64_e64 s[4:5], v[34:35], v[16:17]
	s_and_b64 s[4:5], s[14:15], s[4:5]
	v_cndmask_b32_e64 v16, v16, v34, s[4:5]
	v_cndmask_b32_e64 v17, v17, v35, s[4:5]
; %bb.17:
	s_or_b64 exec, exec, s[20:21]
	v_add_u32_e32 v32, -1, v38
	v_and_b32_e32 v33, 64, v38
	v_cmp_lt_i32_e64 s[4:5], v32, v33
	v_cndmask_b32_e64 v32, v32, v38, s[4:5]
	v_lshlrev_b32_e32 v32, 2, v32
	ds_bpermute_b32 v16, v32, v16
	ds_bpermute_b32 v17, v32, v17
	; wave barrier
	s_waitcnt lgkmcnt(0)
	v_cmp_gt_i64_e64 s[4:5], v[16:17], v[14:15]
	v_cndmask_b32_e64 v14, v14, v16, s[4:5]
	v_cndmask_b32_e64 v15, v15, v17, s[4:5]
	v_cmp_eq_u32_e64 s[4:5], 0, v0
	v_cndmask_b32_e64 v15, v15, v31, s[4:5]
	v_cndmask_b32_e64 v14, v14, v30, s[4:5]
	ds_write_b64 v37, v[14:15]
	; wave barrier
	ds_read_b64 v[16:17], v37 offset:8
	s_waitcnt lgkmcnt(0)
	v_cmp_gt_i64_e64 s[4:5], v[14:15], v[16:17]
	v_cndmask_b32_e64 v15, v17, v15, s[4:5]
	v_cndmask_b32_e64 v14, v16, v14, s[4:5]
	ds_write_b64 v37, v[14:15] offset:8
.LBB2605_18:
	s_or_b64 exec, exec, s[18:19]
	v_cmp_ne_u32_e64 s[4:5], 0, v0
	v_pk_mov_b32 v[14:15], v[30:31], v[30:31] op_sel:[0,1]
	s_waitcnt lgkmcnt(0)
	s_barrier
	s_and_saveexec_b64 s[14:15], s[4:5]
	s_cbranch_execz .LBB2605_20
; %bb.19:
	v_add_u32_e32 v14, -1, v0
	v_lshrrev_b32_e32 v15, 5, v14
	v_add_lshl_u32 v14, v15, v14, 3
	ds_read_b64 v[14:15], v14
.LBB2605_20:
	s_or_b64 exec, exec, s[14:15]
	s_and_saveexec_b64 s[14:15], s[4:5]
	s_cbranch_execz .LBB2605_22
; %bb.21:
	s_waitcnt lgkmcnt(0)
	v_cmp_gt_i64_e64 s[4:5], v[14:15], v[2:3]
	v_cndmask_b32_e64 v3, v3, v15, s[4:5]
	v_cndmask_b32_e64 v2, v2, v14, s[4:5]
	v_cmp_gt_i64_e64 s[4:5], v[2:3], v[4:5]
	v_cndmask_b32_e64 v19, v5, v3, s[4:5]
	v_cndmask_b32_e64 v18, v4, v2, s[4:5]
	;; [unrolled: 3-line block ×7, first 2 shown]
	;;#ASMSTART
	;;#ASMEND
.LBB2605_22:
	s_or_b64 exec, exec, s[14:15]
	s_movk_i32 s4, 0xffd0
	v_mad_i32_i24 v0, v0, s4, v1
	s_waitcnt lgkmcnt(0)
	s_barrier
	ds_write2_b64 v1, v[2:3], v[18:19] offset1:1
	ds_write2_b64 v1, v[20:21], v[22:23] offset0:2 offset1:3
	ds_write2_b64 v1, v[24:25], v[28:29] offset0:4 offset1:5
	ds_write_b64 v1, v[30:31] offset:48
	s_waitcnt lgkmcnt(0)
	s_barrier
	ds_read2st64_b64 v[8:11], v0 offset0:2 offset1:4
	ds_read2st64_b64 v[4:7], v0 offset0:6 offset1:8
	;; [unrolled: 1-line block ×3, first 2 shown]
	v_mov_b32_e32 v13, s17
	v_add_co_u32_e64 v12, s[4:5], s16, v36
	v_addc_co_u32_e64 v13, s[4:5], 0, v13, s[4:5]
	s_and_saveexec_b64 s[4:5], vcc
	s_cbranch_execnz .LBB2605_30
; %bb.23:
	s_or_b64 exec, exec, s[4:5]
	s_and_saveexec_b64 s[4:5], s[0:1]
	s_cbranch_execnz .LBB2605_31
.LBB2605_24:
	s_or_b64 exec, exec, s[4:5]
	s_and_saveexec_b64 s[0:1], s[2:3]
	s_cbranch_execnz .LBB2605_32
.LBB2605_25:
	s_or_b64 exec, exec, s[0:1]
	s_and_saveexec_b64 s[0:1], s[12:13]
	s_cbranch_execnz .LBB2605_33
.LBB2605_26:
	s_or_b64 exec, exec, s[0:1]
	s_and_saveexec_b64 s[0:1], s[6:7]
	s_cbranch_execnz .LBB2605_34
.LBB2605_27:
	s_or_b64 exec, exec, s[0:1]
	s_and_saveexec_b64 s[0:1], s[8:9]
	s_cbranch_execnz .LBB2605_35
.LBB2605_28:
	s_or_b64 exec, exec, s[0:1]
	s_and_saveexec_b64 s[0:1], s[10:11]
	s_cbranch_execnz .LBB2605_36
.LBB2605_29:
	s_endpgm
.LBB2605_30:
	ds_read_b64 v[14:15], v36
	s_waitcnt lgkmcnt(0)
	global_store_dwordx2 v[12:13], v[14:15], off
	s_or_b64 exec, exec, s[4:5]
	s_and_saveexec_b64 s[4:5], s[0:1]
	s_cbranch_execz .LBB2605_24
.LBB2605_31:
	s_waitcnt lgkmcnt(2)
	global_store_dwordx2 v[12:13], v[8:9], off offset:1024
	s_or_b64 exec, exec, s[4:5]
	s_and_saveexec_b64 s[0:1], s[2:3]
	s_cbranch_execz .LBB2605_25
.LBB2605_32:
	s_waitcnt lgkmcnt(2)
	global_store_dwordx2 v[12:13], v[10:11], off offset:2048
	s_or_b64 exec, exec, s[0:1]
	s_and_saveexec_b64 s[0:1], s[12:13]
	s_cbranch_execz .LBB2605_26
.LBB2605_33:
	s_waitcnt lgkmcnt(1)
	global_store_dwordx2 v[12:13], v[4:5], off offset:3072
	s_or_b64 exec, exec, s[0:1]
	s_and_saveexec_b64 s[0:1], s[6:7]
	s_cbranch_execz .LBB2605_27
.LBB2605_34:
	s_waitcnt lgkmcnt(1)
	v_add_co_u32_e32 v4, vcc, 0x1000, v12
	v_addc_co_u32_e32 v5, vcc, 0, v13, vcc
	global_store_dwordx2 v[4:5], v[6:7], off
	s_or_b64 exec, exec, s[0:1]
	s_and_saveexec_b64 s[0:1], s[8:9]
	s_cbranch_execz .LBB2605_28
.LBB2605_35:
	s_waitcnt lgkmcnt(1)
	v_add_co_u32_e32 v4, vcc, 0x1000, v12
	v_addc_co_u32_e32 v5, vcc, 0, v13, vcc
	s_waitcnt lgkmcnt(0)
	global_store_dwordx2 v[4:5], v[0:1], off offset:1024
	s_or_b64 exec, exec, s[0:1]
	s_and_saveexec_b64 s[0:1], s[10:11]
	s_cbranch_execz .LBB2605_29
.LBB2605_36:
	s_waitcnt lgkmcnt(0)
	v_add_co_u32_e32 v0, vcc, 0x1000, v12
	v_addc_co_u32_e32 v1, vcc, 0, v13, vcc
	global_store_dwordx2 v[0:1], v[2:3], off offset:2048
	s_endpgm
	.section	.rodata,"a",@progbits
	.p2align	6, 0x0
	.amdhsa_kernel _ZN7rocprim17ROCPRIM_400000_NS6detail17trampoline_kernelINS0_14default_configENS1_20scan_config_selectorIxEEZZNS1_9scan_implILNS1_25lookback_scan_determinismE0ELb0ELb0ES3_N6thrust23THRUST_200600_302600_NS6detail15normal_iteratorINS9_10device_ptrIxEEEESE_x11max_functorIxExEEDaPvRmT3_T4_T5_mT6_P12ihipStream_tbENKUlT_T0_E_clISt17integral_constantIbLb1EEST_IbLb0EEEEDaSP_SQ_EUlSP_E0_NS1_11comp_targetILNS1_3genE4ELNS1_11target_archE910ELNS1_3gpuE8ELNS1_3repE0EEENS1_30default_config_static_selectorELNS0_4arch9wavefront6targetE1EEEvT1_
		.amdhsa_group_segment_fixed_size 7168
		.amdhsa_private_segment_fixed_size 0
		.amdhsa_kernarg_size 40
		.amdhsa_user_sgpr_count 6
		.amdhsa_user_sgpr_private_segment_buffer 1
		.amdhsa_user_sgpr_dispatch_ptr 0
		.amdhsa_user_sgpr_queue_ptr 0
		.amdhsa_user_sgpr_kernarg_segment_ptr 1
		.amdhsa_user_sgpr_dispatch_id 0
		.amdhsa_user_sgpr_flat_scratch_init 0
		.amdhsa_user_sgpr_kernarg_preload_length 0
		.amdhsa_user_sgpr_kernarg_preload_offset 0
		.amdhsa_user_sgpr_private_segment_size 0
		.amdhsa_uses_dynamic_stack 0
		.amdhsa_system_sgpr_private_segment_wavefront_offset 0
		.amdhsa_system_sgpr_workgroup_id_x 1
		.amdhsa_system_sgpr_workgroup_id_y 0
		.amdhsa_system_sgpr_workgroup_id_z 0
		.amdhsa_system_sgpr_workgroup_info 0
		.amdhsa_system_vgpr_workitem_id 0
		.amdhsa_next_free_vgpr 42
		.amdhsa_next_free_sgpr 22
		.amdhsa_accum_offset 44
		.amdhsa_reserve_vcc 1
		.amdhsa_reserve_flat_scratch 0
		.amdhsa_float_round_mode_32 0
		.amdhsa_float_round_mode_16_64 0
		.amdhsa_float_denorm_mode_32 3
		.amdhsa_float_denorm_mode_16_64 3
		.amdhsa_dx10_clamp 1
		.amdhsa_ieee_mode 1
		.amdhsa_fp16_overflow 0
		.amdhsa_tg_split 0
		.amdhsa_exception_fp_ieee_invalid_op 0
		.amdhsa_exception_fp_denorm_src 0
		.amdhsa_exception_fp_ieee_div_zero 0
		.amdhsa_exception_fp_ieee_overflow 0
		.amdhsa_exception_fp_ieee_underflow 0
		.amdhsa_exception_fp_ieee_inexact 0
		.amdhsa_exception_int_div_zero 0
	.end_amdhsa_kernel
	.section	.text._ZN7rocprim17ROCPRIM_400000_NS6detail17trampoline_kernelINS0_14default_configENS1_20scan_config_selectorIxEEZZNS1_9scan_implILNS1_25lookback_scan_determinismE0ELb0ELb0ES3_N6thrust23THRUST_200600_302600_NS6detail15normal_iteratorINS9_10device_ptrIxEEEESE_x11max_functorIxExEEDaPvRmT3_T4_T5_mT6_P12ihipStream_tbENKUlT_T0_E_clISt17integral_constantIbLb1EEST_IbLb0EEEEDaSP_SQ_EUlSP_E0_NS1_11comp_targetILNS1_3genE4ELNS1_11target_archE910ELNS1_3gpuE8ELNS1_3repE0EEENS1_30default_config_static_selectorELNS0_4arch9wavefront6targetE1EEEvT1_,"axG",@progbits,_ZN7rocprim17ROCPRIM_400000_NS6detail17trampoline_kernelINS0_14default_configENS1_20scan_config_selectorIxEEZZNS1_9scan_implILNS1_25lookback_scan_determinismE0ELb0ELb0ES3_N6thrust23THRUST_200600_302600_NS6detail15normal_iteratorINS9_10device_ptrIxEEEESE_x11max_functorIxExEEDaPvRmT3_T4_T5_mT6_P12ihipStream_tbENKUlT_T0_E_clISt17integral_constantIbLb1EEST_IbLb0EEEEDaSP_SQ_EUlSP_E0_NS1_11comp_targetILNS1_3genE4ELNS1_11target_archE910ELNS1_3gpuE8ELNS1_3repE0EEENS1_30default_config_static_selectorELNS0_4arch9wavefront6targetE1EEEvT1_,comdat
.Lfunc_end2605:
	.size	_ZN7rocprim17ROCPRIM_400000_NS6detail17trampoline_kernelINS0_14default_configENS1_20scan_config_selectorIxEEZZNS1_9scan_implILNS1_25lookback_scan_determinismE0ELb0ELb0ES3_N6thrust23THRUST_200600_302600_NS6detail15normal_iteratorINS9_10device_ptrIxEEEESE_x11max_functorIxExEEDaPvRmT3_T4_T5_mT6_P12ihipStream_tbENKUlT_T0_E_clISt17integral_constantIbLb1EEST_IbLb0EEEEDaSP_SQ_EUlSP_E0_NS1_11comp_targetILNS1_3genE4ELNS1_11target_archE910ELNS1_3gpuE8ELNS1_3repE0EEENS1_30default_config_static_selectorELNS0_4arch9wavefront6targetE1EEEvT1_, .Lfunc_end2605-_ZN7rocprim17ROCPRIM_400000_NS6detail17trampoline_kernelINS0_14default_configENS1_20scan_config_selectorIxEEZZNS1_9scan_implILNS1_25lookback_scan_determinismE0ELb0ELb0ES3_N6thrust23THRUST_200600_302600_NS6detail15normal_iteratorINS9_10device_ptrIxEEEESE_x11max_functorIxExEEDaPvRmT3_T4_T5_mT6_P12ihipStream_tbENKUlT_T0_E_clISt17integral_constantIbLb1EEST_IbLb0EEEEDaSP_SQ_EUlSP_E0_NS1_11comp_targetILNS1_3genE4ELNS1_11target_archE910ELNS1_3gpuE8ELNS1_3repE0EEENS1_30default_config_static_selectorELNS0_4arch9wavefront6targetE1EEEvT1_
                                        ; -- End function
	.section	.AMDGPU.csdata,"",@progbits
; Kernel info:
; codeLenInByte = 1916
; NumSgprs: 26
; NumVgprs: 42
; NumAgprs: 0
; TotalNumVgprs: 42
; ScratchSize: 0
; MemoryBound: 0
; FloatMode: 240
; IeeeMode: 1
; LDSByteSize: 7168 bytes/workgroup (compile time only)
; SGPRBlocks: 3
; VGPRBlocks: 5
; NumSGPRsForWavesPerEU: 26
; NumVGPRsForWavesPerEU: 42
; AccumOffset: 44
; Occupancy: 5
; WaveLimiterHint : 0
; COMPUTE_PGM_RSRC2:SCRATCH_EN: 0
; COMPUTE_PGM_RSRC2:USER_SGPR: 6
; COMPUTE_PGM_RSRC2:TRAP_HANDLER: 0
; COMPUTE_PGM_RSRC2:TGID_X_EN: 1
; COMPUTE_PGM_RSRC2:TGID_Y_EN: 0
; COMPUTE_PGM_RSRC2:TGID_Z_EN: 0
; COMPUTE_PGM_RSRC2:TIDIG_COMP_CNT: 0
; COMPUTE_PGM_RSRC3_GFX90A:ACCUM_OFFSET: 10
; COMPUTE_PGM_RSRC3_GFX90A:TG_SPLIT: 0
	.section	.text._ZN7rocprim17ROCPRIM_400000_NS6detail17trampoline_kernelINS0_14default_configENS1_20scan_config_selectorIxEEZZNS1_9scan_implILNS1_25lookback_scan_determinismE0ELb0ELb0ES3_N6thrust23THRUST_200600_302600_NS6detail15normal_iteratorINS9_10device_ptrIxEEEESE_x11max_functorIxExEEDaPvRmT3_T4_T5_mT6_P12ihipStream_tbENKUlT_T0_E_clISt17integral_constantIbLb1EEST_IbLb0EEEEDaSP_SQ_EUlSP_E0_NS1_11comp_targetILNS1_3genE3ELNS1_11target_archE908ELNS1_3gpuE7ELNS1_3repE0EEENS1_30default_config_static_selectorELNS0_4arch9wavefront6targetE1EEEvT1_,"axG",@progbits,_ZN7rocprim17ROCPRIM_400000_NS6detail17trampoline_kernelINS0_14default_configENS1_20scan_config_selectorIxEEZZNS1_9scan_implILNS1_25lookback_scan_determinismE0ELb0ELb0ES3_N6thrust23THRUST_200600_302600_NS6detail15normal_iteratorINS9_10device_ptrIxEEEESE_x11max_functorIxExEEDaPvRmT3_T4_T5_mT6_P12ihipStream_tbENKUlT_T0_E_clISt17integral_constantIbLb1EEST_IbLb0EEEEDaSP_SQ_EUlSP_E0_NS1_11comp_targetILNS1_3genE3ELNS1_11target_archE908ELNS1_3gpuE7ELNS1_3repE0EEENS1_30default_config_static_selectorELNS0_4arch9wavefront6targetE1EEEvT1_,comdat
	.protected	_ZN7rocprim17ROCPRIM_400000_NS6detail17trampoline_kernelINS0_14default_configENS1_20scan_config_selectorIxEEZZNS1_9scan_implILNS1_25lookback_scan_determinismE0ELb0ELb0ES3_N6thrust23THRUST_200600_302600_NS6detail15normal_iteratorINS9_10device_ptrIxEEEESE_x11max_functorIxExEEDaPvRmT3_T4_T5_mT6_P12ihipStream_tbENKUlT_T0_E_clISt17integral_constantIbLb1EEST_IbLb0EEEEDaSP_SQ_EUlSP_E0_NS1_11comp_targetILNS1_3genE3ELNS1_11target_archE908ELNS1_3gpuE7ELNS1_3repE0EEENS1_30default_config_static_selectorELNS0_4arch9wavefront6targetE1EEEvT1_ ; -- Begin function _ZN7rocprim17ROCPRIM_400000_NS6detail17trampoline_kernelINS0_14default_configENS1_20scan_config_selectorIxEEZZNS1_9scan_implILNS1_25lookback_scan_determinismE0ELb0ELb0ES3_N6thrust23THRUST_200600_302600_NS6detail15normal_iteratorINS9_10device_ptrIxEEEESE_x11max_functorIxExEEDaPvRmT3_T4_T5_mT6_P12ihipStream_tbENKUlT_T0_E_clISt17integral_constantIbLb1EEST_IbLb0EEEEDaSP_SQ_EUlSP_E0_NS1_11comp_targetILNS1_3genE3ELNS1_11target_archE908ELNS1_3gpuE7ELNS1_3repE0EEENS1_30default_config_static_selectorELNS0_4arch9wavefront6targetE1EEEvT1_
	.globl	_ZN7rocprim17ROCPRIM_400000_NS6detail17trampoline_kernelINS0_14default_configENS1_20scan_config_selectorIxEEZZNS1_9scan_implILNS1_25lookback_scan_determinismE0ELb0ELb0ES3_N6thrust23THRUST_200600_302600_NS6detail15normal_iteratorINS9_10device_ptrIxEEEESE_x11max_functorIxExEEDaPvRmT3_T4_T5_mT6_P12ihipStream_tbENKUlT_T0_E_clISt17integral_constantIbLb1EEST_IbLb0EEEEDaSP_SQ_EUlSP_E0_NS1_11comp_targetILNS1_3genE3ELNS1_11target_archE908ELNS1_3gpuE7ELNS1_3repE0EEENS1_30default_config_static_selectorELNS0_4arch9wavefront6targetE1EEEvT1_
	.p2align	8
	.type	_ZN7rocprim17ROCPRIM_400000_NS6detail17trampoline_kernelINS0_14default_configENS1_20scan_config_selectorIxEEZZNS1_9scan_implILNS1_25lookback_scan_determinismE0ELb0ELb0ES3_N6thrust23THRUST_200600_302600_NS6detail15normal_iteratorINS9_10device_ptrIxEEEESE_x11max_functorIxExEEDaPvRmT3_T4_T5_mT6_P12ihipStream_tbENKUlT_T0_E_clISt17integral_constantIbLb1EEST_IbLb0EEEEDaSP_SQ_EUlSP_E0_NS1_11comp_targetILNS1_3genE3ELNS1_11target_archE908ELNS1_3gpuE7ELNS1_3repE0EEENS1_30default_config_static_selectorELNS0_4arch9wavefront6targetE1EEEvT1_,@function
_ZN7rocprim17ROCPRIM_400000_NS6detail17trampoline_kernelINS0_14default_configENS1_20scan_config_selectorIxEEZZNS1_9scan_implILNS1_25lookback_scan_determinismE0ELb0ELb0ES3_N6thrust23THRUST_200600_302600_NS6detail15normal_iteratorINS9_10device_ptrIxEEEESE_x11max_functorIxExEEDaPvRmT3_T4_T5_mT6_P12ihipStream_tbENKUlT_T0_E_clISt17integral_constantIbLb1EEST_IbLb0EEEEDaSP_SQ_EUlSP_E0_NS1_11comp_targetILNS1_3genE3ELNS1_11target_archE908ELNS1_3gpuE7ELNS1_3repE0EEENS1_30default_config_static_selectorELNS0_4arch9wavefront6targetE1EEEvT1_: ; @_ZN7rocprim17ROCPRIM_400000_NS6detail17trampoline_kernelINS0_14default_configENS1_20scan_config_selectorIxEEZZNS1_9scan_implILNS1_25lookback_scan_determinismE0ELb0ELb0ES3_N6thrust23THRUST_200600_302600_NS6detail15normal_iteratorINS9_10device_ptrIxEEEESE_x11max_functorIxExEEDaPvRmT3_T4_T5_mT6_P12ihipStream_tbENKUlT_T0_E_clISt17integral_constantIbLb1EEST_IbLb0EEEEDaSP_SQ_EUlSP_E0_NS1_11comp_targetILNS1_3genE3ELNS1_11target_archE908ELNS1_3gpuE7ELNS1_3repE0EEENS1_30default_config_static_selectorELNS0_4arch9wavefront6targetE1EEEvT1_
; %bb.0:
	.section	.rodata,"a",@progbits
	.p2align	6, 0x0
	.amdhsa_kernel _ZN7rocprim17ROCPRIM_400000_NS6detail17trampoline_kernelINS0_14default_configENS1_20scan_config_selectorIxEEZZNS1_9scan_implILNS1_25lookback_scan_determinismE0ELb0ELb0ES3_N6thrust23THRUST_200600_302600_NS6detail15normal_iteratorINS9_10device_ptrIxEEEESE_x11max_functorIxExEEDaPvRmT3_T4_T5_mT6_P12ihipStream_tbENKUlT_T0_E_clISt17integral_constantIbLb1EEST_IbLb0EEEEDaSP_SQ_EUlSP_E0_NS1_11comp_targetILNS1_3genE3ELNS1_11target_archE908ELNS1_3gpuE7ELNS1_3repE0EEENS1_30default_config_static_selectorELNS0_4arch9wavefront6targetE1EEEvT1_
		.amdhsa_group_segment_fixed_size 0
		.amdhsa_private_segment_fixed_size 0
		.amdhsa_kernarg_size 40
		.amdhsa_user_sgpr_count 6
		.amdhsa_user_sgpr_private_segment_buffer 1
		.amdhsa_user_sgpr_dispatch_ptr 0
		.amdhsa_user_sgpr_queue_ptr 0
		.amdhsa_user_sgpr_kernarg_segment_ptr 1
		.amdhsa_user_sgpr_dispatch_id 0
		.amdhsa_user_sgpr_flat_scratch_init 0
		.amdhsa_user_sgpr_kernarg_preload_length 0
		.amdhsa_user_sgpr_kernarg_preload_offset 0
		.amdhsa_user_sgpr_private_segment_size 0
		.amdhsa_uses_dynamic_stack 0
		.amdhsa_system_sgpr_private_segment_wavefront_offset 0
		.amdhsa_system_sgpr_workgroup_id_x 1
		.amdhsa_system_sgpr_workgroup_id_y 0
		.amdhsa_system_sgpr_workgroup_id_z 0
		.amdhsa_system_sgpr_workgroup_info 0
		.amdhsa_system_vgpr_workitem_id 0
		.amdhsa_next_free_vgpr 1
		.amdhsa_next_free_sgpr 0
		.amdhsa_accum_offset 4
		.amdhsa_reserve_vcc 0
		.amdhsa_reserve_flat_scratch 0
		.amdhsa_float_round_mode_32 0
		.amdhsa_float_round_mode_16_64 0
		.amdhsa_float_denorm_mode_32 3
		.amdhsa_float_denorm_mode_16_64 3
		.amdhsa_dx10_clamp 1
		.amdhsa_ieee_mode 1
		.amdhsa_fp16_overflow 0
		.amdhsa_tg_split 0
		.amdhsa_exception_fp_ieee_invalid_op 0
		.amdhsa_exception_fp_denorm_src 0
		.amdhsa_exception_fp_ieee_div_zero 0
		.amdhsa_exception_fp_ieee_overflow 0
		.amdhsa_exception_fp_ieee_underflow 0
		.amdhsa_exception_fp_ieee_inexact 0
		.amdhsa_exception_int_div_zero 0
	.end_amdhsa_kernel
	.section	.text._ZN7rocprim17ROCPRIM_400000_NS6detail17trampoline_kernelINS0_14default_configENS1_20scan_config_selectorIxEEZZNS1_9scan_implILNS1_25lookback_scan_determinismE0ELb0ELb0ES3_N6thrust23THRUST_200600_302600_NS6detail15normal_iteratorINS9_10device_ptrIxEEEESE_x11max_functorIxExEEDaPvRmT3_T4_T5_mT6_P12ihipStream_tbENKUlT_T0_E_clISt17integral_constantIbLb1EEST_IbLb0EEEEDaSP_SQ_EUlSP_E0_NS1_11comp_targetILNS1_3genE3ELNS1_11target_archE908ELNS1_3gpuE7ELNS1_3repE0EEENS1_30default_config_static_selectorELNS0_4arch9wavefront6targetE1EEEvT1_,"axG",@progbits,_ZN7rocprim17ROCPRIM_400000_NS6detail17trampoline_kernelINS0_14default_configENS1_20scan_config_selectorIxEEZZNS1_9scan_implILNS1_25lookback_scan_determinismE0ELb0ELb0ES3_N6thrust23THRUST_200600_302600_NS6detail15normal_iteratorINS9_10device_ptrIxEEEESE_x11max_functorIxExEEDaPvRmT3_T4_T5_mT6_P12ihipStream_tbENKUlT_T0_E_clISt17integral_constantIbLb1EEST_IbLb0EEEEDaSP_SQ_EUlSP_E0_NS1_11comp_targetILNS1_3genE3ELNS1_11target_archE908ELNS1_3gpuE7ELNS1_3repE0EEENS1_30default_config_static_selectorELNS0_4arch9wavefront6targetE1EEEvT1_,comdat
.Lfunc_end2606:
	.size	_ZN7rocprim17ROCPRIM_400000_NS6detail17trampoline_kernelINS0_14default_configENS1_20scan_config_selectorIxEEZZNS1_9scan_implILNS1_25lookback_scan_determinismE0ELb0ELb0ES3_N6thrust23THRUST_200600_302600_NS6detail15normal_iteratorINS9_10device_ptrIxEEEESE_x11max_functorIxExEEDaPvRmT3_T4_T5_mT6_P12ihipStream_tbENKUlT_T0_E_clISt17integral_constantIbLb1EEST_IbLb0EEEEDaSP_SQ_EUlSP_E0_NS1_11comp_targetILNS1_3genE3ELNS1_11target_archE908ELNS1_3gpuE7ELNS1_3repE0EEENS1_30default_config_static_selectorELNS0_4arch9wavefront6targetE1EEEvT1_, .Lfunc_end2606-_ZN7rocprim17ROCPRIM_400000_NS6detail17trampoline_kernelINS0_14default_configENS1_20scan_config_selectorIxEEZZNS1_9scan_implILNS1_25lookback_scan_determinismE0ELb0ELb0ES3_N6thrust23THRUST_200600_302600_NS6detail15normal_iteratorINS9_10device_ptrIxEEEESE_x11max_functorIxExEEDaPvRmT3_T4_T5_mT6_P12ihipStream_tbENKUlT_T0_E_clISt17integral_constantIbLb1EEST_IbLb0EEEEDaSP_SQ_EUlSP_E0_NS1_11comp_targetILNS1_3genE3ELNS1_11target_archE908ELNS1_3gpuE7ELNS1_3repE0EEENS1_30default_config_static_selectorELNS0_4arch9wavefront6targetE1EEEvT1_
                                        ; -- End function
	.section	.AMDGPU.csdata,"",@progbits
; Kernel info:
; codeLenInByte = 0
; NumSgprs: 4
; NumVgprs: 0
; NumAgprs: 0
; TotalNumVgprs: 0
; ScratchSize: 0
; MemoryBound: 0
; FloatMode: 240
; IeeeMode: 1
; LDSByteSize: 0 bytes/workgroup (compile time only)
; SGPRBlocks: 0
; VGPRBlocks: 0
; NumSGPRsForWavesPerEU: 4
; NumVGPRsForWavesPerEU: 1
; AccumOffset: 4
; Occupancy: 8
; WaveLimiterHint : 0
; COMPUTE_PGM_RSRC2:SCRATCH_EN: 0
; COMPUTE_PGM_RSRC2:USER_SGPR: 6
; COMPUTE_PGM_RSRC2:TRAP_HANDLER: 0
; COMPUTE_PGM_RSRC2:TGID_X_EN: 1
; COMPUTE_PGM_RSRC2:TGID_Y_EN: 0
; COMPUTE_PGM_RSRC2:TGID_Z_EN: 0
; COMPUTE_PGM_RSRC2:TIDIG_COMP_CNT: 0
; COMPUTE_PGM_RSRC3_GFX90A:ACCUM_OFFSET: 0
; COMPUTE_PGM_RSRC3_GFX90A:TG_SPLIT: 0
	.section	.text._ZN7rocprim17ROCPRIM_400000_NS6detail17trampoline_kernelINS0_14default_configENS1_20scan_config_selectorIxEEZZNS1_9scan_implILNS1_25lookback_scan_determinismE0ELb0ELb0ES3_N6thrust23THRUST_200600_302600_NS6detail15normal_iteratorINS9_10device_ptrIxEEEESE_x11max_functorIxExEEDaPvRmT3_T4_T5_mT6_P12ihipStream_tbENKUlT_T0_E_clISt17integral_constantIbLb1EEST_IbLb0EEEEDaSP_SQ_EUlSP_E0_NS1_11comp_targetILNS1_3genE2ELNS1_11target_archE906ELNS1_3gpuE6ELNS1_3repE0EEENS1_30default_config_static_selectorELNS0_4arch9wavefront6targetE1EEEvT1_,"axG",@progbits,_ZN7rocprim17ROCPRIM_400000_NS6detail17trampoline_kernelINS0_14default_configENS1_20scan_config_selectorIxEEZZNS1_9scan_implILNS1_25lookback_scan_determinismE0ELb0ELb0ES3_N6thrust23THRUST_200600_302600_NS6detail15normal_iteratorINS9_10device_ptrIxEEEESE_x11max_functorIxExEEDaPvRmT3_T4_T5_mT6_P12ihipStream_tbENKUlT_T0_E_clISt17integral_constantIbLb1EEST_IbLb0EEEEDaSP_SQ_EUlSP_E0_NS1_11comp_targetILNS1_3genE2ELNS1_11target_archE906ELNS1_3gpuE6ELNS1_3repE0EEENS1_30default_config_static_selectorELNS0_4arch9wavefront6targetE1EEEvT1_,comdat
	.protected	_ZN7rocprim17ROCPRIM_400000_NS6detail17trampoline_kernelINS0_14default_configENS1_20scan_config_selectorIxEEZZNS1_9scan_implILNS1_25lookback_scan_determinismE0ELb0ELb0ES3_N6thrust23THRUST_200600_302600_NS6detail15normal_iteratorINS9_10device_ptrIxEEEESE_x11max_functorIxExEEDaPvRmT3_T4_T5_mT6_P12ihipStream_tbENKUlT_T0_E_clISt17integral_constantIbLb1EEST_IbLb0EEEEDaSP_SQ_EUlSP_E0_NS1_11comp_targetILNS1_3genE2ELNS1_11target_archE906ELNS1_3gpuE6ELNS1_3repE0EEENS1_30default_config_static_selectorELNS0_4arch9wavefront6targetE1EEEvT1_ ; -- Begin function _ZN7rocprim17ROCPRIM_400000_NS6detail17trampoline_kernelINS0_14default_configENS1_20scan_config_selectorIxEEZZNS1_9scan_implILNS1_25lookback_scan_determinismE0ELb0ELb0ES3_N6thrust23THRUST_200600_302600_NS6detail15normal_iteratorINS9_10device_ptrIxEEEESE_x11max_functorIxExEEDaPvRmT3_T4_T5_mT6_P12ihipStream_tbENKUlT_T0_E_clISt17integral_constantIbLb1EEST_IbLb0EEEEDaSP_SQ_EUlSP_E0_NS1_11comp_targetILNS1_3genE2ELNS1_11target_archE906ELNS1_3gpuE6ELNS1_3repE0EEENS1_30default_config_static_selectorELNS0_4arch9wavefront6targetE1EEEvT1_
	.globl	_ZN7rocprim17ROCPRIM_400000_NS6detail17trampoline_kernelINS0_14default_configENS1_20scan_config_selectorIxEEZZNS1_9scan_implILNS1_25lookback_scan_determinismE0ELb0ELb0ES3_N6thrust23THRUST_200600_302600_NS6detail15normal_iteratorINS9_10device_ptrIxEEEESE_x11max_functorIxExEEDaPvRmT3_T4_T5_mT6_P12ihipStream_tbENKUlT_T0_E_clISt17integral_constantIbLb1EEST_IbLb0EEEEDaSP_SQ_EUlSP_E0_NS1_11comp_targetILNS1_3genE2ELNS1_11target_archE906ELNS1_3gpuE6ELNS1_3repE0EEENS1_30default_config_static_selectorELNS0_4arch9wavefront6targetE1EEEvT1_
	.p2align	8
	.type	_ZN7rocprim17ROCPRIM_400000_NS6detail17trampoline_kernelINS0_14default_configENS1_20scan_config_selectorIxEEZZNS1_9scan_implILNS1_25lookback_scan_determinismE0ELb0ELb0ES3_N6thrust23THRUST_200600_302600_NS6detail15normal_iteratorINS9_10device_ptrIxEEEESE_x11max_functorIxExEEDaPvRmT3_T4_T5_mT6_P12ihipStream_tbENKUlT_T0_E_clISt17integral_constantIbLb1EEST_IbLb0EEEEDaSP_SQ_EUlSP_E0_NS1_11comp_targetILNS1_3genE2ELNS1_11target_archE906ELNS1_3gpuE6ELNS1_3repE0EEENS1_30default_config_static_selectorELNS0_4arch9wavefront6targetE1EEEvT1_,@function
_ZN7rocprim17ROCPRIM_400000_NS6detail17trampoline_kernelINS0_14default_configENS1_20scan_config_selectorIxEEZZNS1_9scan_implILNS1_25lookback_scan_determinismE0ELb0ELb0ES3_N6thrust23THRUST_200600_302600_NS6detail15normal_iteratorINS9_10device_ptrIxEEEESE_x11max_functorIxExEEDaPvRmT3_T4_T5_mT6_P12ihipStream_tbENKUlT_T0_E_clISt17integral_constantIbLb1EEST_IbLb0EEEEDaSP_SQ_EUlSP_E0_NS1_11comp_targetILNS1_3genE2ELNS1_11target_archE906ELNS1_3gpuE6ELNS1_3repE0EEENS1_30default_config_static_selectorELNS0_4arch9wavefront6targetE1EEEvT1_: ; @_ZN7rocprim17ROCPRIM_400000_NS6detail17trampoline_kernelINS0_14default_configENS1_20scan_config_selectorIxEEZZNS1_9scan_implILNS1_25lookback_scan_determinismE0ELb0ELb0ES3_N6thrust23THRUST_200600_302600_NS6detail15normal_iteratorINS9_10device_ptrIxEEEESE_x11max_functorIxExEEDaPvRmT3_T4_T5_mT6_P12ihipStream_tbENKUlT_T0_E_clISt17integral_constantIbLb1EEST_IbLb0EEEEDaSP_SQ_EUlSP_E0_NS1_11comp_targetILNS1_3genE2ELNS1_11target_archE906ELNS1_3gpuE6ELNS1_3repE0EEENS1_30default_config_static_selectorELNS0_4arch9wavefront6targetE1EEEvT1_
; %bb.0:
	.section	.rodata,"a",@progbits
	.p2align	6, 0x0
	.amdhsa_kernel _ZN7rocprim17ROCPRIM_400000_NS6detail17trampoline_kernelINS0_14default_configENS1_20scan_config_selectorIxEEZZNS1_9scan_implILNS1_25lookback_scan_determinismE0ELb0ELb0ES3_N6thrust23THRUST_200600_302600_NS6detail15normal_iteratorINS9_10device_ptrIxEEEESE_x11max_functorIxExEEDaPvRmT3_T4_T5_mT6_P12ihipStream_tbENKUlT_T0_E_clISt17integral_constantIbLb1EEST_IbLb0EEEEDaSP_SQ_EUlSP_E0_NS1_11comp_targetILNS1_3genE2ELNS1_11target_archE906ELNS1_3gpuE6ELNS1_3repE0EEENS1_30default_config_static_selectorELNS0_4arch9wavefront6targetE1EEEvT1_
		.amdhsa_group_segment_fixed_size 0
		.amdhsa_private_segment_fixed_size 0
		.amdhsa_kernarg_size 40
		.amdhsa_user_sgpr_count 6
		.amdhsa_user_sgpr_private_segment_buffer 1
		.amdhsa_user_sgpr_dispatch_ptr 0
		.amdhsa_user_sgpr_queue_ptr 0
		.amdhsa_user_sgpr_kernarg_segment_ptr 1
		.amdhsa_user_sgpr_dispatch_id 0
		.amdhsa_user_sgpr_flat_scratch_init 0
		.amdhsa_user_sgpr_kernarg_preload_length 0
		.amdhsa_user_sgpr_kernarg_preload_offset 0
		.amdhsa_user_sgpr_private_segment_size 0
		.amdhsa_uses_dynamic_stack 0
		.amdhsa_system_sgpr_private_segment_wavefront_offset 0
		.amdhsa_system_sgpr_workgroup_id_x 1
		.amdhsa_system_sgpr_workgroup_id_y 0
		.amdhsa_system_sgpr_workgroup_id_z 0
		.amdhsa_system_sgpr_workgroup_info 0
		.amdhsa_system_vgpr_workitem_id 0
		.amdhsa_next_free_vgpr 1
		.amdhsa_next_free_sgpr 0
		.amdhsa_accum_offset 4
		.amdhsa_reserve_vcc 0
		.amdhsa_reserve_flat_scratch 0
		.amdhsa_float_round_mode_32 0
		.amdhsa_float_round_mode_16_64 0
		.amdhsa_float_denorm_mode_32 3
		.amdhsa_float_denorm_mode_16_64 3
		.amdhsa_dx10_clamp 1
		.amdhsa_ieee_mode 1
		.amdhsa_fp16_overflow 0
		.amdhsa_tg_split 0
		.amdhsa_exception_fp_ieee_invalid_op 0
		.amdhsa_exception_fp_denorm_src 0
		.amdhsa_exception_fp_ieee_div_zero 0
		.amdhsa_exception_fp_ieee_overflow 0
		.amdhsa_exception_fp_ieee_underflow 0
		.amdhsa_exception_fp_ieee_inexact 0
		.amdhsa_exception_int_div_zero 0
	.end_amdhsa_kernel
	.section	.text._ZN7rocprim17ROCPRIM_400000_NS6detail17trampoline_kernelINS0_14default_configENS1_20scan_config_selectorIxEEZZNS1_9scan_implILNS1_25lookback_scan_determinismE0ELb0ELb0ES3_N6thrust23THRUST_200600_302600_NS6detail15normal_iteratorINS9_10device_ptrIxEEEESE_x11max_functorIxExEEDaPvRmT3_T4_T5_mT6_P12ihipStream_tbENKUlT_T0_E_clISt17integral_constantIbLb1EEST_IbLb0EEEEDaSP_SQ_EUlSP_E0_NS1_11comp_targetILNS1_3genE2ELNS1_11target_archE906ELNS1_3gpuE6ELNS1_3repE0EEENS1_30default_config_static_selectorELNS0_4arch9wavefront6targetE1EEEvT1_,"axG",@progbits,_ZN7rocprim17ROCPRIM_400000_NS6detail17trampoline_kernelINS0_14default_configENS1_20scan_config_selectorIxEEZZNS1_9scan_implILNS1_25lookback_scan_determinismE0ELb0ELb0ES3_N6thrust23THRUST_200600_302600_NS6detail15normal_iteratorINS9_10device_ptrIxEEEESE_x11max_functorIxExEEDaPvRmT3_T4_T5_mT6_P12ihipStream_tbENKUlT_T0_E_clISt17integral_constantIbLb1EEST_IbLb0EEEEDaSP_SQ_EUlSP_E0_NS1_11comp_targetILNS1_3genE2ELNS1_11target_archE906ELNS1_3gpuE6ELNS1_3repE0EEENS1_30default_config_static_selectorELNS0_4arch9wavefront6targetE1EEEvT1_,comdat
.Lfunc_end2607:
	.size	_ZN7rocprim17ROCPRIM_400000_NS6detail17trampoline_kernelINS0_14default_configENS1_20scan_config_selectorIxEEZZNS1_9scan_implILNS1_25lookback_scan_determinismE0ELb0ELb0ES3_N6thrust23THRUST_200600_302600_NS6detail15normal_iteratorINS9_10device_ptrIxEEEESE_x11max_functorIxExEEDaPvRmT3_T4_T5_mT6_P12ihipStream_tbENKUlT_T0_E_clISt17integral_constantIbLb1EEST_IbLb0EEEEDaSP_SQ_EUlSP_E0_NS1_11comp_targetILNS1_3genE2ELNS1_11target_archE906ELNS1_3gpuE6ELNS1_3repE0EEENS1_30default_config_static_selectorELNS0_4arch9wavefront6targetE1EEEvT1_, .Lfunc_end2607-_ZN7rocprim17ROCPRIM_400000_NS6detail17trampoline_kernelINS0_14default_configENS1_20scan_config_selectorIxEEZZNS1_9scan_implILNS1_25lookback_scan_determinismE0ELb0ELb0ES3_N6thrust23THRUST_200600_302600_NS6detail15normal_iteratorINS9_10device_ptrIxEEEESE_x11max_functorIxExEEDaPvRmT3_T4_T5_mT6_P12ihipStream_tbENKUlT_T0_E_clISt17integral_constantIbLb1EEST_IbLb0EEEEDaSP_SQ_EUlSP_E0_NS1_11comp_targetILNS1_3genE2ELNS1_11target_archE906ELNS1_3gpuE6ELNS1_3repE0EEENS1_30default_config_static_selectorELNS0_4arch9wavefront6targetE1EEEvT1_
                                        ; -- End function
	.section	.AMDGPU.csdata,"",@progbits
; Kernel info:
; codeLenInByte = 0
; NumSgprs: 4
; NumVgprs: 0
; NumAgprs: 0
; TotalNumVgprs: 0
; ScratchSize: 0
; MemoryBound: 0
; FloatMode: 240
; IeeeMode: 1
; LDSByteSize: 0 bytes/workgroup (compile time only)
; SGPRBlocks: 0
; VGPRBlocks: 0
; NumSGPRsForWavesPerEU: 4
; NumVGPRsForWavesPerEU: 1
; AccumOffset: 4
; Occupancy: 8
; WaveLimiterHint : 0
; COMPUTE_PGM_RSRC2:SCRATCH_EN: 0
; COMPUTE_PGM_RSRC2:USER_SGPR: 6
; COMPUTE_PGM_RSRC2:TRAP_HANDLER: 0
; COMPUTE_PGM_RSRC2:TGID_X_EN: 1
; COMPUTE_PGM_RSRC2:TGID_Y_EN: 0
; COMPUTE_PGM_RSRC2:TGID_Z_EN: 0
; COMPUTE_PGM_RSRC2:TIDIG_COMP_CNT: 0
; COMPUTE_PGM_RSRC3_GFX90A:ACCUM_OFFSET: 0
; COMPUTE_PGM_RSRC3_GFX90A:TG_SPLIT: 0
	.section	.text._ZN7rocprim17ROCPRIM_400000_NS6detail17trampoline_kernelINS0_14default_configENS1_20scan_config_selectorIxEEZZNS1_9scan_implILNS1_25lookback_scan_determinismE0ELb0ELb0ES3_N6thrust23THRUST_200600_302600_NS6detail15normal_iteratorINS9_10device_ptrIxEEEESE_x11max_functorIxExEEDaPvRmT3_T4_T5_mT6_P12ihipStream_tbENKUlT_T0_E_clISt17integral_constantIbLb1EEST_IbLb0EEEEDaSP_SQ_EUlSP_E0_NS1_11comp_targetILNS1_3genE10ELNS1_11target_archE1201ELNS1_3gpuE5ELNS1_3repE0EEENS1_30default_config_static_selectorELNS0_4arch9wavefront6targetE1EEEvT1_,"axG",@progbits,_ZN7rocprim17ROCPRIM_400000_NS6detail17trampoline_kernelINS0_14default_configENS1_20scan_config_selectorIxEEZZNS1_9scan_implILNS1_25lookback_scan_determinismE0ELb0ELb0ES3_N6thrust23THRUST_200600_302600_NS6detail15normal_iteratorINS9_10device_ptrIxEEEESE_x11max_functorIxExEEDaPvRmT3_T4_T5_mT6_P12ihipStream_tbENKUlT_T0_E_clISt17integral_constantIbLb1EEST_IbLb0EEEEDaSP_SQ_EUlSP_E0_NS1_11comp_targetILNS1_3genE10ELNS1_11target_archE1201ELNS1_3gpuE5ELNS1_3repE0EEENS1_30default_config_static_selectorELNS0_4arch9wavefront6targetE1EEEvT1_,comdat
	.protected	_ZN7rocprim17ROCPRIM_400000_NS6detail17trampoline_kernelINS0_14default_configENS1_20scan_config_selectorIxEEZZNS1_9scan_implILNS1_25lookback_scan_determinismE0ELb0ELb0ES3_N6thrust23THRUST_200600_302600_NS6detail15normal_iteratorINS9_10device_ptrIxEEEESE_x11max_functorIxExEEDaPvRmT3_T4_T5_mT6_P12ihipStream_tbENKUlT_T0_E_clISt17integral_constantIbLb1EEST_IbLb0EEEEDaSP_SQ_EUlSP_E0_NS1_11comp_targetILNS1_3genE10ELNS1_11target_archE1201ELNS1_3gpuE5ELNS1_3repE0EEENS1_30default_config_static_selectorELNS0_4arch9wavefront6targetE1EEEvT1_ ; -- Begin function _ZN7rocprim17ROCPRIM_400000_NS6detail17trampoline_kernelINS0_14default_configENS1_20scan_config_selectorIxEEZZNS1_9scan_implILNS1_25lookback_scan_determinismE0ELb0ELb0ES3_N6thrust23THRUST_200600_302600_NS6detail15normal_iteratorINS9_10device_ptrIxEEEESE_x11max_functorIxExEEDaPvRmT3_T4_T5_mT6_P12ihipStream_tbENKUlT_T0_E_clISt17integral_constantIbLb1EEST_IbLb0EEEEDaSP_SQ_EUlSP_E0_NS1_11comp_targetILNS1_3genE10ELNS1_11target_archE1201ELNS1_3gpuE5ELNS1_3repE0EEENS1_30default_config_static_selectorELNS0_4arch9wavefront6targetE1EEEvT1_
	.globl	_ZN7rocprim17ROCPRIM_400000_NS6detail17trampoline_kernelINS0_14default_configENS1_20scan_config_selectorIxEEZZNS1_9scan_implILNS1_25lookback_scan_determinismE0ELb0ELb0ES3_N6thrust23THRUST_200600_302600_NS6detail15normal_iteratorINS9_10device_ptrIxEEEESE_x11max_functorIxExEEDaPvRmT3_T4_T5_mT6_P12ihipStream_tbENKUlT_T0_E_clISt17integral_constantIbLb1EEST_IbLb0EEEEDaSP_SQ_EUlSP_E0_NS1_11comp_targetILNS1_3genE10ELNS1_11target_archE1201ELNS1_3gpuE5ELNS1_3repE0EEENS1_30default_config_static_selectorELNS0_4arch9wavefront6targetE1EEEvT1_
	.p2align	8
	.type	_ZN7rocprim17ROCPRIM_400000_NS6detail17trampoline_kernelINS0_14default_configENS1_20scan_config_selectorIxEEZZNS1_9scan_implILNS1_25lookback_scan_determinismE0ELb0ELb0ES3_N6thrust23THRUST_200600_302600_NS6detail15normal_iteratorINS9_10device_ptrIxEEEESE_x11max_functorIxExEEDaPvRmT3_T4_T5_mT6_P12ihipStream_tbENKUlT_T0_E_clISt17integral_constantIbLb1EEST_IbLb0EEEEDaSP_SQ_EUlSP_E0_NS1_11comp_targetILNS1_3genE10ELNS1_11target_archE1201ELNS1_3gpuE5ELNS1_3repE0EEENS1_30default_config_static_selectorELNS0_4arch9wavefront6targetE1EEEvT1_,@function
_ZN7rocprim17ROCPRIM_400000_NS6detail17trampoline_kernelINS0_14default_configENS1_20scan_config_selectorIxEEZZNS1_9scan_implILNS1_25lookback_scan_determinismE0ELb0ELb0ES3_N6thrust23THRUST_200600_302600_NS6detail15normal_iteratorINS9_10device_ptrIxEEEESE_x11max_functorIxExEEDaPvRmT3_T4_T5_mT6_P12ihipStream_tbENKUlT_T0_E_clISt17integral_constantIbLb1EEST_IbLb0EEEEDaSP_SQ_EUlSP_E0_NS1_11comp_targetILNS1_3genE10ELNS1_11target_archE1201ELNS1_3gpuE5ELNS1_3repE0EEENS1_30default_config_static_selectorELNS0_4arch9wavefront6targetE1EEEvT1_: ; @_ZN7rocprim17ROCPRIM_400000_NS6detail17trampoline_kernelINS0_14default_configENS1_20scan_config_selectorIxEEZZNS1_9scan_implILNS1_25lookback_scan_determinismE0ELb0ELb0ES3_N6thrust23THRUST_200600_302600_NS6detail15normal_iteratorINS9_10device_ptrIxEEEESE_x11max_functorIxExEEDaPvRmT3_T4_T5_mT6_P12ihipStream_tbENKUlT_T0_E_clISt17integral_constantIbLb1EEST_IbLb0EEEEDaSP_SQ_EUlSP_E0_NS1_11comp_targetILNS1_3genE10ELNS1_11target_archE1201ELNS1_3gpuE5ELNS1_3repE0EEENS1_30default_config_static_selectorELNS0_4arch9wavefront6targetE1EEEvT1_
; %bb.0:
	.section	.rodata,"a",@progbits
	.p2align	6, 0x0
	.amdhsa_kernel _ZN7rocprim17ROCPRIM_400000_NS6detail17trampoline_kernelINS0_14default_configENS1_20scan_config_selectorIxEEZZNS1_9scan_implILNS1_25lookback_scan_determinismE0ELb0ELb0ES3_N6thrust23THRUST_200600_302600_NS6detail15normal_iteratorINS9_10device_ptrIxEEEESE_x11max_functorIxExEEDaPvRmT3_T4_T5_mT6_P12ihipStream_tbENKUlT_T0_E_clISt17integral_constantIbLb1EEST_IbLb0EEEEDaSP_SQ_EUlSP_E0_NS1_11comp_targetILNS1_3genE10ELNS1_11target_archE1201ELNS1_3gpuE5ELNS1_3repE0EEENS1_30default_config_static_selectorELNS0_4arch9wavefront6targetE1EEEvT1_
		.amdhsa_group_segment_fixed_size 0
		.amdhsa_private_segment_fixed_size 0
		.amdhsa_kernarg_size 40
		.amdhsa_user_sgpr_count 6
		.amdhsa_user_sgpr_private_segment_buffer 1
		.amdhsa_user_sgpr_dispatch_ptr 0
		.amdhsa_user_sgpr_queue_ptr 0
		.amdhsa_user_sgpr_kernarg_segment_ptr 1
		.amdhsa_user_sgpr_dispatch_id 0
		.amdhsa_user_sgpr_flat_scratch_init 0
		.amdhsa_user_sgpr_kernarg_preload_length 0
		.amdhsa_user_sgpr_kernarg_preload_offset 0
		.amdhsa_user_sgpr_private_segment_size 0
		.amdhsa_uses_dynamic_stack 0
		.amdhsa_system_sgpr_private_segment_wavefront_offset 0
		.amdhsa_system_sgpr_workgroup_id_x 1
		.amdhsa_system_sgpr_workgroup_id_y 0
		.amdhsa_system_sgpr_workgroup_id_z 0
		.amdhsa_system_sgpr_workgroup_info 0
		.amdhsa_system_vgpr_workitem_id 0
		.amdhsa_next_free_vgpr 1
		.amdhsa_next_free_sgpr 0
		.amdhsa_accum_offset 4
		.amdhsa_reserve_vcc 0
		.amdhsa_reserve_flat_scratch 0
		.amdhsa_float_round_mode_32 0
		.amdhsa_float_round_mode_16_64 0
		.amdhsa_float_denorm_mode_32 3
		.amdhsa_float_denorm_mode_16_64 3
		.amdhsa_dx10_clamp 1
		.amdhsa_ieee_mode 1
		.amdhsa_fp16_overflow 0
		.amdhsa_tg_split 0
		.amdhsa_exception_fp_ieee_invalid_op 0
		.amdhsa_exception_fp_denorm_src 0
		.amdhsa_exception_fp_ieee_div_zero 0
		.amdhsa_exception_fp_ieee_overflow 0
		.amdhsa_exception_fp_ieee_underflow 0
		.amdhsa_exception_fp_ieee_inexact 0
		.amdhsa_exception_int_div_zero 0
	.end_amdhsa_kernel
	.section	.text._ZN7rocprim17ROCPRIM_400000_NS6detail17trampoline_kernelINS0_14default_configENS1_20scan_config_selectorIxEEZZNS1_9scan_implILNS1_25lookback_scan_determinismE0ELb0ELb0ES3_N6thrust23THRUST_200600_302600_NS6detail15normal_iteratorINS9_10device_ptrIxEEEESE_x11max_functorIxExEEDaPvRmT3_T4_T5_mT6_P12ihipStream_tbENKUlT_T0_E_clISt17integral_constantIbLb1EEST_IbLb0EEEEDaSP_SQ_EUlSP_E0_NS1_11comp_targetILNS1_3genE10ELNS1_11target_archE1201ELNS1_3gpuE5ELNS1_3repE0EEENS1_30default_config_static_selectorELNS0_4arch9wavefront6targetE1EEEvT1_,"axG",@progbits,_ZN7rocprim17ROCPRIM_400000_NS6detail17trampoline_kernelINS0_14default_configENS1_20scan_config_selectorIxEEZZNS1_9scan_implILNS1_25lookback_scan_determinismE0ELb0ELb0ES3_N6thrust23THRUST_200600_302600_NS6detail15normal_iteratorINS9_10device_ptrIxEEEESE_x11max_functorIxExEEDaPvRmT3_T4_T5_mT6_P12ihipStream_tbENKUlT_T0_E_clISt17integral_constantIbLb1EEST_IbLb0EEEEDaSP_SQ_EUlSP_E0_NS1_11comp_targetILNS1_3genE10ELNS1_11target_archE1201ELNS1_3gpuE5ELNS1_3repE0EEENS1_30default_config_static_selectorELNS0_4arch9wavefront6targetE1EEEvT1_,comdat
.Lfunc_end2608:
	.size	_ZN7rocprim17ROCPRIM_400000_NS6detail17trampoline_kernelINS0_14default_configENS1_20scan_config_selectorIxEEZZNS1_9scan_implILNS1_25lookback_scan_determinismE0ELb0ELb0ES3_N6thrust23THRUST_200600_302600_NS6detail15normal_iteratorINS9_10device_ptrIxEEEESE_x11max_functorIxExEEDaPvRmT3_T4_T5_mT6_P12ihipStream_tbENKUlT_T0_E_clISt17integral_constantIbLb1EEST_IbLb0EEEEDaSP_SQ_EUlSP_E0_NS1_11comp_targetILNS1_3genE10ELNS1_11target_archE1201ELNS1_3gpuE5ELNS1_3repE0EEENS1_30default_config_static_selectorELNS0_4arch9wavefront6targetE1EEEvT1_, .Lfunc_end2608-_ZN7rocprim17ROCPRIM_400000_NS6detail17trampoline_kernelINS0_14default_configENS1_20scan_config_selectorIxEEZZNS1_9scan_implILNS1_25lookback_scan_determinismE0ELb0ELb0ES3_N6thrust23THRUST_200600_302600_NS6detail15normal_iteratorINS9_10device_ptrIxEEEESE_x11max_functorIxExEEDaPvRmT3_T4_T5_mT6_P12ihipStream_tbENKUlT_T0_E_clISt17integral_constantIbLb1EEST_IbLb0EEEEDaSP_SQ_EUlSP_E0_NS1_11comp_targetILNS1_3genE10ELNS1_11target_archE1201ELNS1_3gpuE5ELNS1_3repE0EEENS1_30default_config_static_selectorELNS0_4arch9wavefront6targetE1EEEvT1_
                                        ; -- End function
	.section	.AMDGPU.csdata,"",@progbits
; Kernel info:
; codeLenInByte = 0
; NumSgprs: 4
; NumVgprs: 0
; NumAgprs: 0
; TotalNumVgprs: 0
; ScratchSize: 0
; MemoryBound: 0
; FloatMode: 240
; IeeeMode: 1
; LDSByteSize: 0 bytes/workgroup (compile time only)
; SGPRBlocks: 0
; VGPRBlocks: 0
; NumSGPRsForWavesPerEU: 4
; NumVGPRsForWavesPerEU: 1
; AccumOffset: 4
; Occupancy: 8
; WaveLimiterHint : 0
; COMPUTE_PGM_RSRC2:SCRATCH_EN: 0
; COMPUTE_PGM_RSRC2:USER_SGPR: 6
; COMPUTE_PGM_RSRC2:TRAP_HANDLER: 0
; COMPUTE_PGM_RSRC2:TGID_X_EN: 1
; COMPUTE_PGM_RSRC2:TGID_Y_EN: 0
; COMPUTE_PGM_RSRC2:TGID_Z_EN: 0
; COMPUTE_PGM_RSRC2:TIDIG_COMP_CNT: 0
; COMPUTE_PGM_RSRC3_GFX90A:ACCUM_OFFSET: 0
; COMPUTE_PGM_RSRC3_GFX90A:TG_SPLIT: 0
	.section	.text._ZN7rocprim17ROCPRIM_400000_NS6detail17trampoline_kernelINS0_14default_configENS1_20scan_config_selectorIxEEZZNS1_9scan_implILNS1_25lookback_scan_determinismE0ELb0ELb0ES3_N6thrust23THRUST_200600_302600_NS6detail15normal_iteratorINS9_10device_ptrIxEEEESE_x11max_functorIxExEEDaPvRmT3_T4_T5_mT6_P12ihipStream_tbENKUlT_T0_E_clISt17integral_constantIbLb1EEST_IbLb0EEEEDaSP_SQ_EUlSP_E0_NS1_11comp_targetILNS1_3genE10ELNS1_11target_archE1200ELNS1_3gpuE4ELNS1_3repE0EEENS1_30default_config_static_selectorELNS0_4arch9wavefront6targetE1EEEvT1_,"axG",@progbits,_ZN7rocprim17ROCPRIM_400000_NS6detail17trampoline_kernelINS0_14default_configENS1_20scan_config_selectorIxEEZZNS1_9scan_implILNS1_25lookback_scan_determinismE0ELb0ELb0ES3_N6thrust23THRUST_200600_302600_NS6detail15normal_iteratorINS9_10device_ptrIxEEEESE_x11max_functorIxExEEDaPvRmT3_T4_T5_mT6_P12ihipStream_tbENKUlT_T0_E_clISt17integral_constantIbLb1EEST_IbLb0EEEEDaSP_SQ_EUlSP_E0_NS1_11comp_targetILNS1_3genE10ELNS1_11target_archE1200ELNS1_3gpuE4ELNS1_3repE0EEENS1_30default_config_static_selectorELNS0_4arch9wavefront6targetE1EEEvT1_,comdat
	.protected	_ZN7rocprim17ROCPRIM_400000_NS6detail17trampoline_kernelINS0_14default_configENS1_20scan_config_selectorIxEEZZNS1_9scan_implILNS1_25lookback_scan_determinismE0ELb0ELb0ES3_N6thrust23THRUST_200600_302600_NS6detail15normal_iteratorINS9_10device_ptrIxEEEESE_x11max_functorIxExEEDaPvRmT3_T4_T5_mT6_P12ihipStream_tbENKUlT_T0_E_clISt17integral_constantIbLb1EEST_IbLb0EEEEDaSP_SQ_EUlSP_E0_NS1_11comp_targetILNS1_3genE10ELNS1_11target_archE1200ELNS1_3gpuE4ELNS1_3repE0EEENS1_30default_config_static_selectorELNS0_4arch9wavefront6targetE1EEEvT1_ ; -- Begin function _ZN7rocprim17ROCPRIM_400000_NS6detail17trampoline_kernelINS0_14default_configENS1_20scan_config_selectorIxEEZZNS1_9scan_implILNS1_25lookback_scan_determinismE0ELb0ELb0ES3_N6thrust23THRUST_200600_302600_NS6detail15normal_iteratorINS9_10device_ptrIxEEEESE_x11max_functorIxExEEDaPvRmT3_T4_T5_mT6_P12ihipStream_tbENKUlT_T0_E_clISt17integral_constantIbLb1EEST_IbLb0EEEEDaSP_SQ_EUlSP_E0_NS1_11comp_targetILNS1_3genE10ELNS1_11target_archE1200ELNS1_3gpuE4ELNS1_3repE0EEENS1_30default_config_static_selectorELNS0_4arch9wavefront6targetE1EEEvT1_
	.globl	_ZN7rocprim17ROCPRIM_400000_NS6detail17trampoline_kernelINS0_14default_configENS1_20scan_config_selectorIxEEZZNS1_9scan_implILNS1_25lookback_scan_determinismE0ELb0ELb0ES3_N6thrust23THRUST_200600_302600_NS6detail15normal_iteratorINS9_10device_ptrIxEEEESE_x11max_functorIxExEEDaPvRmT3_T4_T5_mT6_P12ihipStream_tbENKUlT_T0_E_clISt17integral_constantIbLb1EEST_IbLb0EEEEDaSP_SQ_EUlSP_E0_NS1_11comp_targetILNS1_3genE10ELNS1_11target_archE1200ELNS1_3gpuE4ELNS1_3repE0EEENS1_30default_config_static_selectorELNS0_4arch9wavefront6targetE1EEEvT1_
	.p2align	8
	.type	_ZN7rocprim17ROCPRIM_400000_NS6detail17trampoline_kernelINS0_14default_configENS1_20scan_config_selectorIxEEZZNS1_9scan_implILNS1_25lookback_scan_determinismE0ELb0ELb0ES3_N6thrust23THRUST_200600_302600_NS6detail15normal_iteratorINS9_10device_ptrIxEEEESE_x11max_functorIxExEEDaPvRmT3_T4_T5_mT6_P12ihipStream_tbENKUlT_T0_E_clISt17integral_constantIbLb1EEST_IbLb0EEEEDaSP_SQ_EUlSP_E0_NS1_11comp_targetILNS1_3genE10ELNS1_11target_archE1200ELNS1_3gpuE4ELNS1_3repE0EEENS1_30default_config_static_selectorELNS0_4arch9wavefront6targetE1EEEvT1_,@function
_ZN7rocprim17ROCPRIM_400000_NS6detail17trampoline_kernelINS0_14default_configENS1_20scan_config_selectorIxEEZZNS1_9scan_implILNS1_25lookback_scan_determinismE0ELb0ELb0ES3_N6thrust23THRUST_200600_302600_NS6detail15normal_iteratorINS9_10device_ptrIxEEEESE_x11max_functorIxExEEDaPvRmT3_T4_T5_mT6_P12ihipStream_tbENKUlT_T0_E_clISt17integral_constantIbLb1EEST_IbLb0EEEEDaSP_SQ_EUlSP_E0_NS1_11comp_targetILNS1_3genE10ELNS1_11target_archE1200ELNS1_3gpuE4ELNS1_3repE0EEENS1_30default_config_static_selectorELNS0_4arch9wavefront6targetE1EEEvT1_: ; @_ZN7rocprim17ROCPRIM_400000_NS6detail17trampoline_kernelINS0_14default_configENS1_20scan_config_selectorIxEEZZNS1_9scan_implILNS1_25lookback_scan_determinismE0ELb0ELb0ES3_N6thrust23THRUST_200600_302600_NS6detail15normal_iteratorINS9_10device_ptrIxEEEESE_x11max_functorIxExEEDaPvRmT3_T4_T5_mT6_P12ihipStream_tbENKUlT_T0_E_clISt17integral_constantIbLb1EEST_IbLb0EEEEDaSP_SQ_EUlSP_E0_NS1_11comp_targetILNS1_3genE10ELNS1_11target_archE1200ELNS1_3gpuE4ELNS1_3repE0EEENS1_30default_config_static_selectorELNS0_4arch9wavefront6targetE1EEEvT1_
; %bb.0:
	.section	.rodata,"a",@progbits
	.p2align	6, 0x0
	.amdhsa_kernel _ZN7rocprim17ROCPRIM_400000_NS6detail17trampoline_kernelINS0_14default_configENS1_20scan_config_selectorIxEEZZNS1_9scan_implILNS1_25lookback_scan_determinismE0ELb0ELb0ES3_N6thrust23THRUST_200600_302600_NS6detail15normal_iteratorINS9_10device_ptrIxEEEESE_x11max_functorIxExEEDaPvRmT3_T4_T5_mT6_P12ihipStream_tbENKUlT_T0_E_clISt17integral_constantIbLb1EEST_IbLb0EEEEDaSP_SQ_EUlSP_E0_NS1_11comp_targetILNS1_3genE10ELNS1_11target_archE1200ELNS1_3gpuE4ELNS1_3repE0EEENS1_30default_config_static_selectorELNS0_4arch9wavefront6targetE1EEEvT1_
		.amdhsa_group_segment_fixed_size 0
		.amdhsa_private_segment_fixed_size 0
		.amdhsa_kernarg_size 40
		.amdhsa_user_sgpr_count 6
		.amdhsa_user_sgpr_private_segment_buffer 1
		.amdhsa_user_sgpr_dispatch_ptr 0
		.amdhsa_user_sgpr_queue_ptr 0
		.amdhsa_user_sgpr_kernarg_segment_ptr 1
		.amdhsa_user_sgpr_dispatch_id 0
		.amdhsa_user_sgpr_flat_scratch_init 0
		.amdhsa_user_sgpr_kernarg_preload_length 0
		.amdhsa_user_sgpr_kernarg_preload_offset 0
		.amdhsa_user_sgpr_private_segment_size 0
		.amdhsa_uses_dynamic_stack 0
		.amdhsa_system_sgpr_private_segment_wavefront_offset 0
		.amdhsa_system_sgpr_workgroup_id_x 1
		.amdhsa_system_sgpr_workgroup_id_y 0
		.amdhsa_system_sgpr_workgroup_id_z 0
		.amdhsa_system_sgpr_workgroup_info 0
		.amdhsa_system_vgpr_workitem_id 0
		.amdhsa_next_free_vgpr 1
		.amdhsa_next_free_sgpr 0
		.amdhsa_accum_offset 4
		.amdhsa_reserve_vcc 0
		.amdhsa_reserve_flat_scratch 0
		.amdhsa_float_round_mode_32 0
		.amdhsa_float_round_mode_16_64 0
		.amdhsa_float_denorm_mode_32 3
		.amdhsa_float_denorm_mode_16_64 3
		.amdhsa_dx10_clamp 1
		.amdhsa_ieee_mode 1
		.amdhsa_fp16_overflow 0
		.amdhsa_tg_split 0
		.amdhsa_exception_fp_ieee_invalid_op 0
		.amdhsa_exception_fp_denorm_src 0
		.amdhsa_exception_fp_ieee_div_zero 0
		.amdhsa_exception_fp_ieee_overflow 0
		.amdhsa_exception_fp_ieee_underflow 0
		.amdhsa_exception_fp_ieee_inexact 0
		.amdhsa_exception_int_div_zero 0
	.end_amdhsa_kernel
	.section	.text._ZN7rocprim17ROCPRIM_400000_NS6detail17trampoline_kernelINS0_14default_configENS1_20scan_config_selectorIxEEZZNS1_9scan_implILNS1_25lookback_scan_determinismE0ELb0ELb0ES3_N6thrust23THRUST_200600_302600_NS6detail15normal_iteratorINS9_10device_ptrIxEEEESE_x11max_functorIxExEEDaPvRmT3_T4_T5_mT6_P12ihipStream_tbENKUlT_T0_E_clISt17integral_constantIbLb1EEST_IbLb0EEEEDaSP_SQ_EUlSP_E0_NS1_11comp_targetILNS1_3genE10ELNS1_11target_archE1200ELNS1_3gpuE4ELNS1_3repE0EEENS1_30default_config_static_selectorELNS0_4arch9wavefront6targetE1EEEvT1_,"axG",@progbits,_ZN7rocprim17ROCPRIM_400000_NS6detail17trampoline_kernelINS0_14default_configENS1_20scan_config_selectorIxEEZZNS1_9scan_implILNS1_25lookback_scan_determinismE0ELb0ELb0ES3_N6thrust23THRUST_200600_302600_NS6detail15normal_iteratorINS9_10device_ptrIxEEEESE_x11max_functorIxExEEDaPvRmT3_T4_T5_mT6_P12ihipStream_tbENKUlT_T0_E_clISt17integral_constantIbLb1EEST_IbLb0EEEEDaSP_SQ_EUlSP_E0_NS1_11comp_targetILNS1_3genE10ELNS1_11target_archE1200ELNS1_3gpuE4ELNS1_3repE0EEENS1_30default_config_static_selectorELNS0_4arch9wavefront6targetE1EEEvT1_,comdat
.Lfunc_end2609:
	.size	_ZN7rocprim17ROCPRIM_400000_NS6detail17trampoline_kernelINS0_14default_configENS1_20scan_config_selectorIxEEZZNS1_9scan_implILNS1_25lookback_scan_determinismE0ELb0ELb0ES3_N6thrust23THRUST_200600_302600_NS6detail15normal_iteratorINS9_10device_ptrIxEEEESE_x11max_functorIxExEEDaPvRmT3_T4_T5_mT6_P12ihipStream_tbENKUlT_T0_E_clISt17integral_constantIbLb1EEST_IbLb0EEEEDaSP_SQ_EUlSP_E0_NS1_11comp_targetILNS1_3genE10ELNS1_11target_archE1200ELNS1_3gpuE4ELNS1_3repE0EEENS1_30default_config_static_selectorELNS0_4arch9wavefront6targetE1EEEvT1_, .Lfunc_end2609-_ZN7rocprim17ROCPRIM_400000_NS6detail17trampoline_kernelINS0_14default_configENS1_20scan_config_selectorIxEEZZNS1_9scan_implILNS1_25lookback_scan_determinismE0ELb0ELb0ES3_N6thrust23THRUST_200600_302600_NS6detail15normal_iteratorINS9_10device_ptrIxEEEESE_x11max_functorIxExEEDaPvRmT3_T4_T5_mT6_P12ihipStream_tbENKUlT_T0_E_clISt17integral_constantIbLb1EEST_IbLb0EEEEDaSP_SQ_EUlSP_E0_NS1_11comp_targetILNS1_3genE10ELNS1_11target_archE1200ELNS1_3gpuE4ELNS1_3repE0EEENS1_30default_config_static_selectorELNS0_4arch9wavefront6targetE1EEEvT1_
                                        ; -- End function
	.section	.AMDGPU.csdata,"",@progbits
; Kernel info:
; codeLenInByte = 0
; NumSgprs: 4
; NumVgprs: 0
; NumAgprs: 0
; TotalNumVgprs: 0
; ScratchSize: 0
; MemoryBound: 0
; FloatMode: 240
; IeeeMode: 1
; LDSByteSize: 0 bytes/workgroup (compile time only)
; SGPRBlocks: 0
; VGPRBlocks: 0
; NumSGPRsForWavesPerEU: 4
; NumVGPRsForWavesPerEU: 1
; AccumOffset: 4
; Occupancy: 8
; WaveLimiterHint : 0
; COMPUTE_PGM_RSRC2:SCRATCH_EN: 0
; COMPUTE_PGM_RSRC2:USER_SGPR: 6
; COMPUTE_PGM_RSRC2:TRAP_HANDLER: 0
; COMPUTE_PGM_RSRC2:TGID_X_EN: 1
; COMPUTE_PGM_RSRC2:TGID_Y_EN: 0
; COMPUTE_PGM_RSRC2:TGID_Z_EN: 0
; COMPUTE_PGM_RSRC2:TIDIG_COMP_CNT: 0
; COMPUTE_PGM_RSRC3_GFX90A:ACCUM_OFFSET: 0
; COMPUTE_PGM_RSRC3_GFX90A:TG_SPLIT: 0
	.section	.text._ZN7rocprim17ROCPRIM_400000_NS6detail17trampoline_kernelINS0_14default_configENS1_20scan_config_selectorIxEEZZNS1_9scan_implILNS1_25lookback_scan_determinismE0ELb0ELb0ES3_N6thrust23THRUST_200600_302600_NS6detail15normal_iteratorINS9_10device_ptrIxEEEESE_x11max_functorIxExEEDaPvRmT3_T4_T5_mT6_P12ihipStream_tbENKUlT_T0_E_clISt17integral_constantIbLb1EEST_IbLb0EEEEDaSP_SQ_EUlSP_E0_NS1_11comp_targetILNS1_3genE9ELNS1_11target_archE1100ELNS1_3gpuE3ELNS1_3repE0EEENS1_30default_config_static_selectorELNS0_4arch9wavefront6targetE1EEEvT1_,"axG",@progbits,_ZN7rocprim17ROCPRIM_400000_NS6detail17trampoline_kernelINS0_14default_configENS1_20scan_config_selectorIxEEZZNS1_9scan_implILNS1_25lookback_scan_determinismE0ELb0ELb0ES3_N6thrust23THRUST_200600_302600_NS6detail15normal_iteratorINS9_10device_ptrIxEEEESE_x11max_functorIxExEEDaPvRmT3_T4_T5_mT6_P12ihipStream_tbENKUlT_T0_E_clISt17integral_constantIbLb1EEST_IbLb0EEEEDaSP_SQ_EUlSP_E0_NS1_11comp_targetILNS1_3genE9ELNS1_11target_archE1100ELNS1_3gpuE3ELNS1_3repE0EEENS1_30default_config_static_selectorELNS0_4arch9wavefront6targetE1EEEvT1_,comdat
	.protected	_ZN7rocprim17ROCPRIM_400000_NS6detail17trampoline_kernelINS0_14default_configENS1_20scan_config_selectorIxEEZZNS1_9scan_implILNS1_25lookback_scan_determinismE0ELb0ELb0ES3_N6thrust23THRUST_200600_302600_NS6detail15normal_iteratorINS9_10device_ptrIxEEEESE_x11max_functorIxExEEDaPvRmT3_T4_T5_mT6_P12ihipStream_tbENKUlT_T0_E_clISt17integral_constantIbLb1EEST_IbLb0EEEEDaSP_SQ_EUlSP_E0_NS1_11comp_targetILNS1_3genE9ELNS1_11target_archE1100ELNS1_3gpuE3ELNS1_3repE0EEENS1_30default_config_static_selectorELNS0_4arch9wavefront6targetE1EEEvT1_ ; -- Begin function _ZN7rocprim17ROCPRIM_400000_NS6detail17trampoline_kernelINS0_14default_configENS1_20scan_config_selectorIxEEZZNS1_9scan_implILNS1_25lookback_scan_determinismE0ELb0ELb0ES3_N6thrust23THRUST_200600_302600_NS6detail15normal_iteratorINS9_10device_ptrIxEEEESE_x11max_functorIxExEEDaPvRmT3_T4_T5_mT6_P12ihipStream_tbENKUlT_T0_E_clISt17integral_constantIbLb1EEST_IbLb0EEEEDaSP_SQ_EUlSP_E0_NS1_11comp_targetILNS1_3genE9ELNS1_11target_archE1100ELNS1_3gpuE3ELNS1_3repE0EEENS1_30default_config_static_selectorELNS0_4arch9wavefront6targetE1EEEvT1_
	.globl	_ZN7rocprim17ROCPRIM_400000_NS6detail17trampoline_kernelINS0_14default_configENS1_20scan_config_selectorIxEEZZNS1_9scan_implILNS1_25lookback_scan_determinismE0ELb0ELb0ES3_N6thrust23THRUST_200600_302600_NS6detail15normal_iteratorINS9_10device_ptrIxEEEESE_x11max_functorIxExEEDaPvRmT3_T4_T5_mT6_P12ihipStream_tbENKUlT_T0_E_clISt17integral_constantIbLb1EEST_IbLb0EEEEDaSP_SQ_EUlSP_E0_NS1_11comp_targetILNS1_3genE9ELNS1_11target_archE1100ELNS1_3gpuE3ELNS1_3repE0EEENS1_30default_config_static_selectorELNS0_4arch9wavefront6targetE1EEEvT1_
	.p2align	8
	.type	_ZN7rocprim17ROCPRIM_400000_NS6detail17trampoline_kernelINS0_14default_configENS1_20scan_config_selectorIxEEZZNS1_9scan_implILNS1_25lookback_scan_determinismE0ELb0ELb0ES3_N6thrust23THRUST_200600_302600_NS6detail15normal_iteratorINS9_10device_ptrIxEEEESE_x11max_functorIxExEEDaPvRmT3_T4_T5_mT6_P12ihipStream_tbENKUlT_T0_E_clISt17integral_constantIbLb1EEST_IbLb0EEEEDaSP_SQ_EUlSP_E0_NS1_11comp_targetILNS1_3genE9ELNS1_11target_archE1100ELNS1_3gpuE3ELNS1_3repE0EEENS1_30default_config_static_selectorELNS0_4arch9wavefront6targetE1EEEvT1_,@function
_ZN7rocprim17ROCPRIM_400000_NS6detail17trampoline_kernelINS0_14default_configENS1_20scan_config_selectorIxEEZZNS1_9scan_implILNS1_25lookback_scan_determinismE0ELb0ELb0ES3_N6thrust23THRUST_200600_302600_NS6detail15normal_iteratorINS9_10device_ptrIxEEEESE_x11max_functorIxExEEDaPvRmT3_T4_T5_mT6_P12ihipStream_tbENKUlT_T0_E_clISt17integral_constantIbLb1EEST_IbLb0EEEEDaSP_SQ_EUlSP_E0_NS1_11comp_targetILNS1_3genE9ELNS1_11target_archE1100ELNS1_3gpuE3ELNS1_3repE0EEENS1_30default_config_static_selectorELNS0_4arch9wavefront6targetE1EEEvT1_: ; @_ZN7rocprim17ROCPRIM_400000_NS6detail17trampoline_kernelINS0_14default_configENS1_20scan_config_selectorIxEEZZNS1_9scan_implILNS1_25lookback_scan_determinismE0ELb0ELb0ES3_N6thrust23THRUST_200600_302600_NS6detail15normal_iteratorINS9_10device_ptrIxEEEESE_x11max_functorIxExEEDaPvRmT3_T4_T5_mT6_P12ihipStream_tbENKUlT_T0_E_clISt17integral_constantIbLb1EEST_IbLb0EEEEDaSP_SQ_EUlSP_E0_NS1_11comp_targetILNS1_3genE9ELNS1_11target_archE1100ELNS1_3gpuE3ELNS1_3repE0EEENS1_30default_config_static_selectorELNS0_4arch9wavefront6targetE1EEEvT1_
; %bb.0:
	.section	.rodata,"a",@progbits
	.p2align	6, 0x0
	.amdhsa_kernel _ZN7rocprim17ROCPRIM_400000_NS6detail17trampoline_kernelINS0_14default_configENS1_20scan_config_selectorIxEEZZNS1_9scan_implILNS1_25lookback_scan_determinismE0ELb0ELb0ES3_N6thrust23THRUST_200600_302600_NS6detail15normal_iteratorINS9_10device_ptrIxEEEESE_x11max_functorIxExEEDaPvRmT3_T4_T5_mT6_P12ihipStream_tbENKUlT_T0_E_clISt17integral_constantIbLb1EEST_IbLb0EEEEDaSP_SQ_EUlSP_E0_NS1_11comp_targetILNS1_3genE9ELNS1_11target_archE1100ELNS1_3gpuE3ELNS1_3repE0EEENS1_30default_config_static_selectorELNS0_4arch9wavefront6targetE1EEEvT1_
		.amdhsa_group_segment_fixed_size 0
		.amdhsa_private_segment_fixed_size 0
		.amdhsa_kernarg_size 40
		.amdhsa_user_sgpr_count 6
		.amdhsa_user_sgpr_private_segment_buffer 1
		.amdhsa_user_sgpr_dispatch_ptr 0
		.amdhsa_user_sgpr_queue_ptr 0
		.amdhsa_user_sgpr_kernarg_segment_ptr 1
		.amdhsa_user_sgpr_dispatch_id 0
		.amdhsa_user_sgpr_flat_scratch_init 0
		.amdhsa_user_sgpr_kernarg_preload_length 0
		.amdhsa_user_sgpr_kernarg_preload_offset 0
		.amdhsa_user_sgpr_private_segment_size 0
		.amdhsa_uses_dynamic_stack 0
		.amdhsa_system_sgpr_private_segment_wavefront_offset 0
		.amdhsa_system_sgpr_workgroup_id_x 1
		.amdhsa_system_sgpr_workgroup_id_y 0
		.amdhsa_system_sgpr_workgroup_id_z 0
		.amdhsa_system_sgpr_workgroup_info 0
		.amdhsa_system_vgpr_workitem_id 0
		.amdhsa_next_free_vgpr 1
		.amdhsa_next_free_sgpr 0
		.amdhsa_accum_offset 4
		.amdhsa_reserve_vcc 0
		.amdhsa_reserve_flat_scratch 0
		.amdhsa_float_round_mode_32 0
		.amdhsa_float_round_mode_16_64 0
		.amdhsa_float_denorm_mode_32 3
		.amdhsa_float_denorm_mode_16_64 3
		.amdhsa_dx10_clamp 1
		.amdhsa_ieee_mode 1
		.amdhsa_fp16_overflow 0
		.amdhsa_tg_split 0
		.amdhsa_exception_fp_ieee_invalid_op 0
		.amdhsa_exception_fp_denorm_src 0
		.amdhsa_exception_fp_ieee_div_zero 0
		.amdhsa_exception_fp_ieee_overflow 0
		.amdhsa_exception_fp_ieee_underflow 0
		.amdhsa_exception_fp_ieee_inexact 0
		.amdhsa_exception_int_div_zero 0
	.end_amdhsa_kernel
	.section	.text._ZN7rocprim17ROCPRIM_400000_NS6detail17trampoline_kernelINS0_14default_configENS1_20scan_config_selectorIxEEZZNS1_9scan_implILNS1_25lookback_scan_determinismE0ELb0ELb0ES3_N6thrust23THRUST_200600_302600_NS6detail15normal_iteratorINS9_10device_ptrIxEEEESE_x11max_functorIxExEEDaPvRmT3_T4_T5_mT6_P12ihipStream_tbENKUlT_T0_E_clISt17integral_constantIbLb1EEST_IbLb0EEEEDaSP_SQ_EUlSP_E0_NS1_11comp_targetILNS1_3genE9ELNS1_11target_archE1100ELNS1_3gpuE3ELNS1_3repE0EEENS1_30default_config_static_selectorELNS0_4arch9wavefront6targetE1EEEvT1_,"axG",@progbits,_ZN7rocprim17ROCPRIM_400000_NS6detail17trampoline_kernelINS0_14default_configENS1_20scan_config_selectorIxEEZZNS1_9scan_implILNS1_25lookback_scan_determinismE0ELb0ELb0ES3_N6thrust23THRUST_200600_302600_NS6detail15normal_iteratorINS9_10device_ptrIxEEEESE_x11max_functorIxExEEDaPvRmT3_T4_T5_mT6_P12ihipStream_tbENKUlT_T0_E_clISt17integral_constantIbLb1EEST_IbLb0EEEEDaSP_SQ_EUlSP_E0_NS1_11comp_targetILNS1_3genE9ELNS1_11target_archE1100ELNS1_3gpuE3ELNS1_3repE0EEENS1_30default_config_static_selectorELNS0_4arch9wavefront6targetE1EEEvT1_,comdat
.Lfunc_end2610:
	.size	_ZN7rocprim17ROCPRIM_400000_NS6detail17trampoline_kernelINS0_14default_configENS1_20scan_config_selectorIxEEZZNS1_9scan_implILNS1_25lookback_scan_determinismE0ELb0ELb0ES3_N6thrust23THRUST_200600_302600_NS6detail15normal_iteratorINS9_10device_ptrIxEEEESE_x11max_functorIxExEEDaPvRmT3_T4_T5_mT6_P12ihipStream_tbENKUlT_T0_E_clISt17integral_constantIbLb1EEST_IbLb0EEEEDaSP_SQ_EUlSP_E0_NS1_11comp_targetILNS1_3genE9ELNS1_11target_archE1100ELNS1_3gpuE3ELNS1_3repE0EEENS1_30default_config_static_selectorELNS0_4arch9wavefront6targetE1EEEvT1_, .Lfunc_end2610-_ZN7rocprim17ROCPRIM_400000_NS6detail17trampoline_kernelINS0_14default_configENS1_20scan_config_selectorIxEEZZNS1_9scan_implILNS1_25lookback_scan_determinismE0ELb0ELb0ES3_N6thrust23THRUST_200600_302600_NS6detail15normal_iteratorINS9_10device_ptrIxEEEESE_x11max_functorIxExEEDaPvRmT3_T4_T5_mT6_P12ihipStream_tbENKUlT_T0_E_clISt17integral_constantIbLb1EEST_IbLb0EEEEDaSP_SQ_EUlSP_E0_NS1_11comp_targetILNS1_3genE9ELNS1_11target_archE1100ELNS1_3gpuE3ELNS1_3repE0EEENS1_30default_config_static_selectorELNS0_4arch9wavefront6targetE1EEEvT1_
                                        ; -- End function
	.section	.AMDGPU.csdata,"",@progbits
; Kernel info:
; codeLenInByte = 0
; NumSgprs: 4
; NumVgprs: 0
; NumAgprs: 0
; TotalNumVgprs: 0
; ScratchSize: 0
; MemoryBound: 0
; FloatMode: 240
; IeeeMode: 1
; LDSByteSize: 0 bytes/workgroup (compile time only)
; SGPRBlocks: 0
; VGPRBlocks: 0
; NumSGPRsForWavesPerEU: 4
; NumVGPRsForWavesPerEU: 1
; AccumOffset: 4
; Occupancy: 8
; WaveLimiterHint : 0
; COMPUTE_PGM_RSRC2:SCRATCH_EN: 0
; COMPUTE_PGM_RSRC2:USER_SGPR: 6
; COMPUTE_PGM_RSRC2:TRAP_HANDLER: 0
; COMPUTE_PGM_RSRC2:TGID_X_EN: 1
; COMPUTE_PGM_RSRC2:TGID_Y_EN: 0
; COMPUTE_PGM_RSRC2:TGID_Z_EN: 0
; COMPUTE_PGM_RSRC2:TIDIG_COMP_CNT: 0
; COMPUTE_PGM_RSRC3_GFX90A:ACCUM_OFFSET: 0
; COMPUTE_PGM_RSRC3_GFX90A:TG_SPLIT: 0
	.section	.text._ZN7rocprim17ROCPRIM_400000_NS6detail17trampoline_kernelINS0_14default_configENS1_20scan_config_selectorIxEEZZNS1_9scan_implILNS1_25lookback_scan_determinismE0ELb0ELb0ES3_N6thrust23THRUST_200600_302600_NS6detail15normal_iteratorINS9_10device_ptrIxEEEESE_x11max_functorIxExEEDaPvRmT3_T4_T5_mT6_P12ihipStream_tbENKUlT_T0_E_clISt17integral_constantIbLb1EEST_IbLb0EEEEDaSP_SQ_EUlSP_E0_NS1_11comp_targetILNS1_3genE8ELNS1_11target_archE1030ELNS1_3gpuE2ELNS1_3repE0EEENS1_30default_config_static_selectorELNS0_4arch9wavefront6targetE1EEEvT1_,"axG",@progbits,_ZN7rocprim17ROCPRIM_400000_NS6detail17trampoline_kernelINS0_14default_configENS1_20scan_config_selectorIxEEZZNS1_9scan_implILNS1_25lookback_scan_determinismE0ELb0ELb0ES3_N6thrust23THRUST_200600_302600_NS6detail15normal_iteratorINS9_10device_ptrIxEEEESE_x11max_functorIxExEEDaPvRmT3_T4_T5_mT6_P12ihipStream_tbENKUlT_T0_E_clISt17integral_constantIbLb1EEST_IbLb0EEEEDaSP_SQ_EUlSP_E0_NS1_11comp_targetILNS1_3genE8ELNS1_11target_archE1030ELNS1_3gpuE2ELNS1_3repE0EEENS1_30default_config_static_selectorELNS0_4arch9wavefront6targetE1EEEvT1_,comdat
	.protected	_ZN7rocprim17ROCPRIM_400000_NS6detail17trampoline_kernelINS0_14default_configENS1_20scan_config_selectorIxEEZZNS1_9scan_implILNS1_25lookback_scan_determinismE0ELb0ELb0ES3_N6thrust23THRUST_200600_302600_NS6detail15normal_iteratorINS9_10device_ptrIxEEEESE_x11max_functorIxExEEDaPvRmT3_T4_T5_mT6_P12ihipStream_tbENKUlT_T0_E_clISt17integral_constantIbLb1EEST_IbLb0EEEEDaSP_SQ_EUlSP_E0_NS1_11comp_targetILNS1_3genE8ELNS1_11target_archE1030ELNS1_3gpuE2ELNS1_3repE0EEENS1_30default_config_static_selectorELNS0_4arch9wavefront6targetE1EEEvT1_ ; -- Begin function _ZN7rocprim17ROCPRIM_400000_NS6detail17trampoline_kernelINS0_14default_configENS1_20scan_config_selectorIxEEZZNS1_9scan_implILNS1_25lookback_scan_determinismE0ELb0ELb0ES3_N6thrust23THRUST_200600_302600_NS6detail15normal_iteratorINS9_10device_ptrIxEEEESE_x11max_functorIxExEEDaPvRmT3_T4_T5_mT6_P12ihipStream_tbENKUlT_T0_E_clISt17integral_constantIbLb1EEST_IbLb0EEEEDaSP_SQ_EUlSP_E0_NS1_11comp_targetILNS1_3genE8ELNS1_11target_archE1030ELNS1_3gpuE2ELNS1_3repE0EEENS1_30default_config_static_selectorELNS0_4arch9wavefront6targetE1EEEvT1_
	.globl	_ZN7rocprim17ROCPRIM_400000_NS6detail17trampoline_kernelINS0_14default_configENS1_20scan_config_selectorIxEEZZNS1_9scan_implILNS1_25lookback_scan_determinismE0ELb0ELb0ES3_N6thrust23THRUST_200600_302600_NS6detail15normal_iteratorINS9_10device_ptrIxEEEESE_x11max_functorIxExEEDaPvRmT3_T4_T5_mT6_P12ihipStream_tbENKUlT_T0_E_clISt17integral_constantIbLb1EEST_IbLb0EEEEDaSP_SQ_EUlSP_E0_NS1_11comp_targetILNS1_3genE8ELNS1_11target_archE1030ELNS1_3gpuE2ELNS1_3repE0EEENS1_30default_config_static_selectorELNS0_4arch9wavefront6targetE1EEEvT1_
	.p2align	8
	.type	_ZN7rocprim17ROCPRIM_400000_NS6detail17trampoline_kernelINS0_14default_configENS1_20scan_config_selectorIxEEZZNS1_9scan_implILNS1_25lookback_scan_determinismE0ELb0ELb0ES3_N6thrust23THRUST_200600_302600_NS6detail15normal_iteratorINS9_10device_ptrIxEEEESE_x11max_functorIxExEEDaPvRmT3_T4_T5_mT6_P12ihipStream_tbENKUlT_T0_E_clISt17integral_constantIbLb1EEST_IbLb0EEEEDaSP_SQ_EUlSP_E0_NS1_11comp_targetILNS1_3genE8ELNS1_11target_archE1030ELNS1_3gpuE2ELNS1_3repE0EEENS1_30default_config_static_selectorELNS0_4arch9wavefront6targetE1EEEvT1_,@function
_ZN7rocprim17ROCPRIM_400000_NS6detail17trampoline_kernelINS0_14default_configENS1_20scan_config_selectorIxEEZZNS1_9scan_implILNS1_25lookback_scan_determinismE0ELb0ELb0ES3_N6thrust23THRUST_200600_302600_NS6detail15normal_iteratorINS9_10device_ptrIxEEEESE_x11max_functorIxExEEDaPvRmT3_T4_T5_mT6_P12ihipStream_tbENKUlT_T0_E_clISt17integral_constantIbLb1EEST_IbLb0EEEEDaSP_SQ_EUlSP_E0_NS1_11comp_targetILNS1_3genE8ELNS1_11target_archE1030ELNS1_3gpuE2ELNS1_3repE0EEENS1_30default_config_static_selectorELNS0_4arch9wavefront6targetE1EEEvT1_: ; @_ZN7rocprim17ROCPRIM_400000_NS6detail17trampoline_kernelINS0_14default_configENS1_20scan_config_selectorIxEEZZNS1_9scan_implILNS1_25lookback_scan_determinismE0ELb0ELb0ES3_N6thrust23THRUST_200600_302600_NS6detail15normal_iteratorINS9_10device_ptrIxEEEESE_x11max_functorIxExEEDaPvRmT3_T4_T5_mT6_P12ihipStream_tbENKUlT_T0_E_clISt17integral_constantIbLb1EEST_IbLb0EEEEDaSP_SQ_EUlSP_E0_NS1_11comp_targetILNS1_3genE8ELNS1_11target_archE1030ELNS1_3gpuE2ELNS1_3repE0EEENS1_30default_config_static_selectorELNS0_4arch9wavefront6targetE1EEEvT1_
; %bb.0:
	.section	.rodata,"a",@progbits
	.p2align	6, 0x0
	.amdhsa_kernel _ZN7rocprim17ROCPRIM_400000_NS6detail17trampoline_kernelINS0_14default_configENS1_20scan_config_selectorIxEEZZNS1_9scan_implILNS1_25lookback_scan_determinismE0ELb0ELb0ES3_N6thrust23THRUST_200600_302600_NS6detail15normal_iteratorINS9_10device_ptrIxEEEESE_x11max_functorIxExEEDaPvRmT3_T4_T5_mT6_P12ihipStream_tbENKUlT_T0_E_clISt17integral_constantIbLb1EEST_IbLb0EEEEDaSP_SQ_EUlSP_E0_NS1_11comp_targetILNS1_3genE8ELNS1_11target_archE1030ELNS1_3gpuE2ELNS1_3repE0EEENS1_30default_config_static_selectorELNS0_4arch9wavefront6targetE1EEEvT1_
		.amdhsa_group_segment_fixed_size 0
		.amdhsa_private_segment_fixed_size 0
		.amdhsa_kernarg_size 40
		.amdhsa_user_sgpr_count 6
		.amdhsa_user_sgpr_private_segment_buffer 1
		.amdhsa_user_sgpr_dispatch_ptr 0
		.amdhsa_user_sgpr_queue_ptr 0
		.amdhsa_user_sgpr_kernarg_segment_ptr 1
		.amdhsa_user_sgpr_dispatch_id 0
		.amdhsa_user_sgpr_flat_scratch_init 0
		.amdhsa_user_sgpr_kernarg_preload_length 0
		.amdhsa_user_sgpr_kernarg_preload_offset 0
		.amdhsa_user_sgpr_private_segment_size 0
		.amdhsa_uses_dynamic_stack 0
		.amdhsa_system_sgpr_private_segment_wavefront_offset 0
		.amdhsa_system_sgpr_workgroup_id_x 1
		.amdhsa_system_sgpr_workgroup_id_y 0
		.amdhsa_system_sgpr_workgroup_id_z 0
		.amdhsa_system_sgpr_workgroup_info 0
		.amdhsa_system_vgpr_workitem_id 0
		.amdhsa_next_free_vgpr 1
		.amdhsa_next_free_sgpr 0
		.amdhsa_accum_offset 4
		.amdhsa_reserve_vcc 0
		.amdhsa_reserve_flat_scratch 0
		.amdhsa_float_round_mode_32 0
		.amdhsa_float_round_mode_16_64 0
		.amdhsa_float_denorm_mode_32 3
		.amdhsa_float_denorm_mode_16_64 3
		.amdhsa_dx10_clamp 1
		.amdhsa_ieee_mode 1
		.amdhsa_fp16_overflow 0
		.amdhsa_tg_split 0
		.amdhsa_exception_fp_ieee_invalid_op 0
		.amdhsa_exception_fp_denorm_src 0
		.amdhsa_exception_fp_ieee_div_zero 0
		.amdhsa_exception_fp_ieee_overflow 0
		.amdhsa_exception_fp_ieee_underflow 0
		.amdhsa_exception_fp_ieee_inexact 0
		.amdhsa_exception_int_div_zero 0
	.end_amdhsa_kernel
	.section	.text._ZN7rocprim17ROCPRIM_400000_NS6detail17trampoline_kernelINS0_14default_configENS1_20scan_config_selectorIxEEZZNS1_9scan_implILNS1_25lookback_scan_determinismE0ELb0ELb0ES3_N6thrust23THRUST_200600_302600_NS6detail15normal_iteratorINS9_10device_ptrIxEEEESE_x11max_functorIxExEEDaPvRmT3_T4_T5_mT6_P12ihipStream_tbENKUlT_T0_E_clISt17integral_constantIbLb1EEST_IbLb0EEEEDaSP_SQ_EUlSP_E0_NS1_11comp_targetILNS1_3genE8ELNS1_11target_archE1030ELNS1_3gpuE2ELNS1_3repE0EEENS1_30default_config_static_selectorELNS0_4arch9wavefront6targetE1EEEvT1_,"axG",@progbits,_ZN7rocprim17ROCPRIM_400000_NS6detail17trampoline_kernelINS0_14default_configENS1_20scan_config_selectorIxEEZZNS1_9scan_implILNS1_25lookback_scan_determinismE0ELb0ELb0ES3_N6thrust23THRUST_200600_302600_NS6detail15normal_iteratorINS9_10device_ptrIxEEEESE_x11max_functorIxExEEDaPvRmT3_T4_T5_mT6_P12ihipStream_tbENKUlT_T0_E_clISt17integral_constantIbLb1EEST_IbLb0EEEEDaSP_SQ_EUlSP_E0_NS1_11comp_targetILNS1_3genE8ELNS1_11target_archE1030ELNS1_3gpuE2ELNS1_3repE0EEENS1_30default_config_static_selectorELNS0_4arch9wavefront6targetE1EEEvT1_,comdat
.Lfunc_end2611:
	.size	_ZN7rocprim17ROCPRIM_400000_NS6detail17trampoline_kernelINS0_14default_configENS1_20scan_config_selectorIxEEZZNS1_9scan_implILNS1_25lookback_scan_determinismE0ELb0ELb0ES3_N6thrust23THRUST_200600_302600_NS6detail15normal_iteratorINS9_10device_ptrIxEEEESE_x11max_functorIxExEEDaPvRmT3_T4_T5_mT6_P12ihipStream_tbENKUlT_T0_E_clISt17integral_constantIbLb1EEST_IbLb0EEEEDaSP_SQ_EUlSP_E0_NS1_11comp_targetILNS1_3genE8ELNS1_11target_archE1030ELNS1_3gpuE2ELNS1_3repE0EEENS1_30default_config_static_selectorELNS0_4arch9wavefront6targetE1EEEvT1_, .Lfunc_end2611-_ZN7rocprim17ROCPRIM_400000_NS6detail17trampoline_kernelINS0_14default_configENS1_20scan_config_selectorIxEEZZNS1_9scan_implILNS1_25lookback_scan_determinismE0ELb0ELb0ES3_N6thrust23THRUST_200600_302600_NS6detail15normal_iteratorINS9_10device_ptrIxEEEESE_x11max_functorIxExEEDaPvRmT3_T4_T5_mT6_P12ihipStream_tbENKUlT_T0_E_clISt17integral_constantIbLb1EEST_IbLb0EEEEDaSP_SQ_EUlSP_E0_NS1_11comp_targetILNS1_3genE8ELNS1_11target_archE1030ELNS1_3gpuE2ELNS1_3repE0EEENS1_30default_config_static_selectorELNS0_4arch9wavefront6targetE1EEEvT1_
                                        ; -- End function
	.section	.AMDGPU.csdata,"",@progbits
; Kernel info:
; codeLenInByte = 0
; NumSgprs: 4
; NumVgprs: 0
; NumAgprs: 0
; TotalNumVgprs: 0
; ScratchSize: 0
; MemoryBound: 0
; FloatMode: 240
; IeeeMode: 1
; LDSByteSize: 0 bytes/workgroup (compile time only)
; SGPRBlocks: 0
; VGPRBlocks: 0
; NumSGPRsForWavesPerEU: 4
; NumVGPRsForWavesPerEU: 1
; AccumOffset: 4
; Occupancy: 8
; WaveLimiterHint : 0
; COMPUTE_PGM_RSRC2:SCRATCH_EN: 0
; COMPUTE_PGM_RSRC2:USER_SGPR: 6
; COMPUTE_PGM_RSRC2:TRAP_HANDLER: 0
; COMPUTE_PGM_RSRC2:TGID_X_EN: 1
; COMPUTE_PGM_RSRC2:TGID_Y_EN: 0
; COMPUTE_PGM_RSRC2:TGID_Z_EN: 0
; COMPUTE_PGM_RSRC2:TIDIG_COMP_CNT: 0
; COMPUTE_PGM_RSRC3_GFX90A:ACCUM_OFFSET: 0
; COMPUTE_PGM_RSRC3_GFX90A:TG_SPLIT: 0
	.section	.text._ZN7rocprim17ROCPRIM_400000_NS6detail17trampoline_kernelINS0_14default_configENS1_20scan_config_selectorIxEEZZNS1_9scan_implILNS1_25lookback_scan_determinismE0ELb0ELb0ES3_N6thrust23THRUST_200600_302600_NS6detail15normal_iteratorINS9_10device_ptrIxEEEESE_x11max_functorIxExEEDaPvRmT3_T4_T5_mT6_P12ihipStream_tbENKUlT_T0_E_clISt17integral_constantIbLb0EEST_IbLb1EEEEDaSP_SQ_EUlSP_E_NS1_11comp_targetILNS1_3genE0ELNS1_11target_archE4294967295ELNS1_3gpuE0ELNS1_3repE0EEENS1_30default_config_static_selectorELNS0_4arch9wavefront6targetE1EEEvT1_,"axG",@progbits,_ZN7rocprim17ROCPRIM_400000_NS6detail17trampoline_kernelINS0_14default_configENS1_20scan_config_selectorIxEEZZNS1_9scan_implILNS1_25lookback_scan_determinismE0ELb0ELb0ES3_N6thrust23THRUST_200600_302600_NS6detail15normal_iteratorINS9_10device_ptrIxEEEESE_x11max_functorIxExEEDaPvRmT3_T4_T5_mT6_P12ihipStream_tbENKUlT_T0_E_clISt17integral_constantIbLb0EEST_IbLb1EEEEDaSP_SQ_EUlSP_E_NS1_11comp_targetILNS1_3genE0ELNS1_11target_archE4294967295ELNS1_3gpuE0ELNS1_3repE0EEENS1_30default_config_static_selectorELNS0_4arch9wavefront6targetE1EEEvT1_,comdat
	.protected	_ZN7rocprim17ROCPRIM_400000_NS6detail17trampoline_kernelINS0_14default_configENS1_20scan_config_selectorIxEEZZNS1_9scan_implILNS1_25lookback_scan_determinismE0ELb0ELb0ES3_N6thrust23THRUST_200600_302600_NS6detail15normal_iteratorINS9_10device_ptrIxEEEESE_x11max_functorIxExEEDaPvRmT3_T4_T5_mT6_P12ihipStream_tbENKUlT_T0_E_clISt17integral_constantIbLb0EEST_IbLb1EEEEDaSP_SQ_EUlSP_E_NS1_11comp_targetILNS1_3genE0ELNS1_11target_archE4294967295ELNS1_3gpuE0ELNS1_3repE0EEENS1_30default_config_static_selectorELNS0_4arch9wavefront6targetE1EEEvT1_ ; -- Begin function _ZN7rocprim17ROCPRIM_400000_NS6detail17trampoline_kernelINS0_14default_configENS1_20scan_config_selectorIxEEZZNS1_9scan_implILNS1_25lookback_scan_determinismE0ELb0ELb0ES3_N6thrust23THRUST_200600_302600_NS6detail15normal_iteratorINS9_10device_ptrIxEEEESE_x11max_functorIxExEEDaPvRmT3_T4_T5_mT6_P12ihipStream_tbENKUlT_T0_E_clISt17integral_constantIbLb0EEST_IbLb1EEEEDaSP_SQ_EUlSP_E_NS1_11comp_targetILNS1_3genE0ELNS1_11target_archE4294967295ELNS1_3gpuE0ELNS1_3repE0EEENS1_30default_config_static_selectorELNS0_4arch9wavefront6targetE1EEEvT1_
	.globl	_ZN7rocprim17ROCPRIM_400000_NS6detail17trampoline_kernelINS0_14default_configENS1_20scan_config_selectorIxEEZZNS1_9scan_implILNS1_25lookback_scan_determinismE0ELb0ELb0ES3_N6thrust23THRUST_200600_302600_NS6detail15normal_iteratorINS9_10device_ptrIxEEEESE_x11max_functorIxExEEDaPvRmT3_T4_T5_mT6_P12ihipStream_tbENKUlT_T0_E_clISt17integral_constantIbLb0EEST_IbLb1EEEEDaSP_SQ_EUlSP_E_NS1_11comp_targetILNS1_3genE0ELNS1_11target_archE4294967295ELNS1_3gpuE0ELNS1_3repE0EEENS1_30default_config_static_selectorELNS0_4arch9wavefront6targetE1EEEvT1_
	.p2align	8
	.type	_ZN7rocprim17ROCPRIM_400000_NS6detail17trampoline_kernelINS0_14default_configENS1_20scan_config_selectorIxEEZZNS1_9scan_implILNS1_25lookback_scan_determinismE0ELb0ELb0ES3_N6thrust23THRUST_200600_302600_NS6detail15normal_iteratorINS9_10device_ptrIxEEEESE_x11max_functorIxExEEDaPvRmT3_T4_T5_mT6_P12ihipStream_tbENKUlT_T0_E_clISt17integral_constantIbLb0EEST_IbLb1EEEEDaSP_SQ_EUlSP_E_NS1_11comp_targetILNS1_3genE0ELNS1_11target_archE4294967295ELNS1_3gpuE0ELNS1_3repE0EEENS1_30default_config_static_selectorELNS0_4arch9wavefront6targetE1EEEvT1_,@function
_ZN7rocprim17ROCPRIM_400000_NS6detail17trampoline_kernelINS0_14default_configENS1_20scan_config_selectorIxEEZZNS1_9scan_implILNS1_25lookback_scan_determinismE0ELb0ELb0ES3_N6thrust23THRUST_200600_302600_NS6detail15normal_iteratorINS9_10device_ptrIxEEEESE_x11max_functorIxExEEDaPvRmT3_T4_T5_mT6_P12ihipStream_tbENKUlT_T0_E_clISt17integral_constantIbLb0EEST_IbLb1EEEEDaSP_SQ_EUlSP_E_NS1_11comp_targetILNS1_3genE0ELNS1_11target_archE4294967295ELNS1_3gpuE0ELNS1_3repE0EEENS1_30default_config_static_selectorELNS0_4arch9wavefront6targetE1EEEvT1_: ; @_ZN7rocprim17ROCPRIM_400000_NS6detail17trampoline_kernelINS0_14default_configENS1_20scan_config_selectorIxEEZZNS1_9scan_implILNS1_25lookback_scan_determinismE0ELb0ELb0ES3_N6thrust23THRUST_200600_302600_NS6detail15normal_iteratorINS9_10device_ptrIxEEEESE_x11max_functorIxExEEDaPvRmT3_T4_T5_mT6_P12ihipStream_tbENKUlT_T0_E_clISt17integral_constantIbLb0EEST_IbLb1EEEEDaSP_SQ_EUlSP_E_NS1_11comp_targetILNS1_3genE0ELNS1_11target_archE4294967295ELNS1_3gpuE0ELNS1_3repE0EEENS1_30default_config_static_selectorELNS0_4arch9wavefront6targetE1EEEvT1_
; %bb.0:
	.section	.rodata,"a",@progbits
	.p2align	6, 0x0
	.amdhsa_kernel _ZN7rocprim17ROCPRIM_400000_NS6detail17trampoline_kernelINS0_14default_configENS1_20scan_config_selectorIxEEZZNS1_9scan_implILNS1_25lookback_scan_determinismE0ELb0ELb0ES3_N6thrust23THRUST_200600_302600_NS6detail15normal_iteratorINS9_10device_ptrIxEEEESE_x11max_functorIxExEEDaPvRmT3_T4_T5_mT6_P12ihipStream_tbENKUlT_T0_E_clISt17integral_constantIbLb0EEST_IbLb1EEEEDaSP_SQ_EUlSP_E_NS1_11comp_targetILNS1_3genE0ELNS1_11target_archE4294967295ELNS1_3gpuE0ELNS1_3repE0EEENS1_30default_config_static_selectorELNS0_4arch9wavefront6targetE1EEEvT1_
		.amdhsa_group_segment_fixed_size 0
		.amdhsa_private_segment_fixed_size 0
		.amdhsa_kernarg_size 104
		.amdhsa_user_sgpr_count 6
		.amdhsa_user_sgpr_private_segment_buffer 1
		.amdhsa_user_sgpr_dispatch_ptr 0
		.amdhsa_user_sgpr_queue_ptr 0
		.amdhsa_user_sgpr_kernarg_segment_ptr 1
		.amdhsa_user_sgpr_dispatch_id 0
		.amdhsa_user_sgpr_flat_scratch_init 0
		.amdhsa_user_sgpr_kernarg_preload_length 0
		.amdhsa_user_sgpr_kernarg_preload_offset 0
		.amdhsa_user_sgpr_private_segment_size 0
		.amdhsa_uses_dynamic_stack 0
		.amdhsa_system_sgpr_private_segment_wavefront_offset 0
		.amdhsa_system_sgpr_workgroup_id_x 1
		.amdhsa_system_sgpr_workgroup_id_y 0
		.amdhsa_system_sgpr_workgroup_id_z 0
		.amdhsa_system_sgpr_workgroup_info 0
		.amdhsa_system_vgpr_workitem_id 0
		.amdhsa_next_free_vgpr 1
		.amdhsa_next_free_sgpr 0
		.amdhsa_accum_offset 4
		.amdhsa_reserve_vcc 0
		.amdhsa_reserve_flat_scratch 0
		.amdhsa_float_round_mode_32 0
		.amdhsa_float_round_mode_16_64 0
		.amdhsa_float_denorm_mode_32 3
		.amdhsa_float_denorm_mode_16_64 3
		.amdhsa_dx10_clamp 1
		.amdhsa_ieee_mode 1
		.amdhsa_fp16_overflow 0
		.amdhsa_tg_split 0
		.amdhsa_exception_fp_ieee_invalid_op 0
		.amdhsa_exception_fp_denorm_src 0
		.amdhsa_exception_fp_ieee_div_zero 0
		.amdhsa_exception_fp_ieee_overflow 0
		.amdhsa_exception_fp_ieee_underflow 0
		.amdhsa_exception_fp_ieee_inexact 0
		.amdhsa_exception_int_div_zero 0
	.end_amdhsa_kernel
	.section	.text._ZN7rocprim17ROCPRIM_400000_NS6detail17trampoline_kernelINS0_14default_configENS1_20scan_config_selectorIxEEZZNS1_9scan_implILNS1_25lookback_scan_determinismE0ELb0ELb0ES3_N6thrust23THRUST_200600_302600_NS6detail15normal_iteratorINS9_10device_ptrIxEEEESE_x11max_functorIxExEEDaPvRmT3_T4_T5_mT6_P12ihipStream_tbENKUlT_T0_E_clISt17integral_constantIbLb0EEST_IbLb1EEEEDaSP_SQ_EUlSP_E_NS1_11comp_targetILNS1_3genE0ELNS1_11target_archE4294967295ELNS1_3gpuE0ELNS1_3repE0EEENS1_30default_config_static_selectorELNS0_4arch9wavefront6targetE1EEEvT1_,"axG",@progbits,_ZN7rocprim17ROCPRIM_400000_NS6detail17trampoline_kernelINS0_14default_configENS1_20scan_config_selectorIxEEZZNS1_9scan_implILNS1_25lookback_scan_determinismE0ELb0ELb0ES3_N6thrust23THRUST_200600_302600_NS6detail15normal_iteratorINS9_10device_ptrIxEEEESE_x11max_functorIxExEEDaPvRmT3_T4_T5_mT6_P12ihipStream_tbENKUlT_T0_E_clISt17integral_constantIbLb0EEST_IbLb1EEEEDaSP_SQ_EUlSP_E_NS1_11comp_targetILNS1_3genE0ELNS1_11target_archE4294967295ELNS1_3gpuE0ELNS1_3repE0EEENS1_30default_config_static_selectorELNS0_4arch9wavefront6targetE1EEEvT1_,comdat
.Lfunc_end2612:
	.size	_ZN7rocprim17ROCPRIM_400000_NS6detail17trampoline_kernelINS0_14default_configENS1_20scan_config_selectorIxEEZZNS1_9scan_implILNS1_25lookback_scan_determinismE0ELb0ELb0ES3_N6thrust23THRUST_200600_302600_NS6detail15normal_iteratorINS9_10device_ptrIxEEEESE_x11max_functorIxExEEDaPvRmT3_T4_T5_mT6_P12ihipStream_tbENKUlT_T0_E_clISt17integral_constantIbLb0EEST_IbLb1EEEEDaSP_SQ_EUlSP_E_NS1_11comp_targetILNS1_3genE0ELNS1_11target_archE4294967295ELNS1_3gpuE0ELNS1_3repE0EEENS1_30default_config_static_selectorELNS0_4arch9wavefront6targetE1EEEvT1_, .Lfunc_end2612-_ZN7rocprim17ROCPRIM_400000_NS6detail17trampoline_kernelINS0_14default_configENS1_20scan_config_selectorIxEEZZNS1_9scan_implILNS1_25lookback_scan_determinismE0ELb0ELb0ES3_N6thrust23THRUST_200600_302600_NS6detail15normal_iteratorINS9_10device_ptrIxEEEESE_x11max_functorIxExEEDaPvRmT3_T4_T5_mT6_P12ihipStream_tbENKUlT_T0_E_clISt17integral_constantIbLb0EEST_IbLb1EEEEDaSP_SQ_EUlSP_E_NS1_11comp_targetILNS1_3genE0ELNS1_11target_archE4294967295ELNS1_3gpuE0ELNS1_3repE0EEENS1_30default_config_static_selectorELNS0_4arch9wavefront6targetE1EEEvT1_
                                        ; -- End function
	.section	.AMDGPU.csdata,"",@progbits
; Kernel info:
; codeLenInByte = 0
; NumSgprs: 4
; NumVgprs: 0
; NumAgprs: 0
; TotalNumVgprs: 0
; ScratchSize: 0
; MemoryBound: 0
; FloatMode: 240
; IeeeMode: 1
; LDSByteSize: 0 bytes/workgroup (compile time only)
; SGPRBlocks: 0
; VGPRBlocks: 0
; NumSGPRsForWavesPerEU: 4
; NumVGPRsForWavesPerEU: 1
; AccumOffset: 4
; Occupancy: 8
; WaveLimiterHint : 0
; COMPUTE_PGM_RSRC2:SCRATCH_EN: 0
; COMPUTE_PGM_RSRC2:USER_SGPR: 6
; COMPUTE_PGM_RSRC2:TRAP_HANDLER: 0
; COMPUTE_PGM_RSRC2:TGID_X_EN: 1
; COMPUTE_PGM_RSRC2:TGID_Y_EN: 0
; COMPUTE_PGM_RSRC2:TGID_Z_EN: 0
; COMPUTE_PGM_RSRC2:TIDIG_COMP_CNT: 0
; COMPUTE_PGM_RSRC3_GFX90A:ACCUM_OFFSET: 0
; COMPUTE_PGM_RSRC3_GFX90A:TG_SPLIT: 0
	.section	.text._ZN7rocprim17ROCPRIM_400000_NS6detail17trampoline_kernelINS0_14default_configENS1_20scan_config_selectorIxEEZZNS1_9scan_implILNS1_25lookback_scan_determinismE0ELb0ELb0ES3_N6thrust23THRUST_200600_302600_NS6detail15normal_iteratorINS9_10device_ptrIxEEEESE_x11max_functorIxExEEDaPvRmT3_T4_T5_mT6_P12ihipStream_tbENKUlT_T0_E_clISt17integral_constantIbLb0EEST_IbLb1EEEEDaSP_SQ_EUlSP_E_NS1_11comp_targetILNS1_3genE5ELNS1_11target_archE942ELNS1_3gpuE9ELNS1_3repE0EEENS1_30default_config_static_selectorELNS0_4arch9wavefront6targetE1EEEvT1_,"axG",@progbits,_ZN7rocprim17ROCPRIM_400000_NS6detail17trampoline_kernelINS0_14default_configENS1_20scan_config_selectorIxEEZZNS1_9scan_implILNS1_25lookback_scan_determinismE0ELb0ELb0ES3_N6thrust23THRUST_200600_302600_NS6detail15normal_iteratorINS9_10device_ptrIxEEEESE_x11max_functorIxExEEDaPvRmT3_T4_T5_mT6_P12ihipStream_tbENKUlT_T0_E_clISt17integral_constantIbLb0EEST_IbLb1EEEEDaSP_SQ_EUlSP_E_NS1_11comp_targetILNS1_3genE5ELNS1_11target_archE942ELNS1_3gpuE9ELNS1_3repE0EEENS1_30default_config_static_selectorELNS0_4arch9wavefront6targetE1EEEvT1_,comdat
	.protected	_ZN7rocprim17ROCPRIM_400000_NS6detail17trampoline_kernelINS0_14default_configENS1_20scan_config_selectorIxEEZZNS1_9scan_implILNS1_25lookback_scan_determinismE0ELb0ELb0ES3_N6thrust23THRUST_200600_302600_NS6detail15normal_iteratorINS9_10device_ptrIxEEEESE_x11max_functorIxExEEDaPvRmT3_T4_T5_mT6_P12ihipStream_tbENKUlT_T0_E_clISt17integral_constantIbLb0EEST_IbLb1EEEEDaSP_SQ_EUlSP_E_NS1_11comp_targetILNS1_3genE5ELNS1_11target_archE942ELNS1_3gpuE9ELNS1_3repE0EEENS1_30default_config_static_selectorELNS0_4arch9wavefront6targetE1EEEvT1_ ; -- Begin function _ZN7rocprim17ROCPRIM_400000_NS6detail17trampoline_kernelINS0_14default_configENS1_20scan_config_selectorIxEEZZNS1_9scan_implILNS1_25lookback_scan_determinismE0ELb0ELb0ES3_N6thrust23THRUST_200600_302600_NS6detail15normal_iteratorINS9_10device_ptrIxEEEESE_x11max_functorIxExEEDaPvRmT3_T4_T5_mT6_P12ihipStream_tbENKUlT_T0_E_clISt17integral_constantIbLb0EEST_IbLb1EEEEDaSP_SQ_EUlSP_E_NS1_11comp_targetILNS1_3genE5ELNS1_11target_archE942ELNS1_3gpuE9ELNS1_3repE0EEENS1_30default_config_static_selectorELNS0_4arch9wavefront6targetE1EEEvT1_
	.globl	_ZN7rocprim17ROCPRIM_400000_NS6detail17trampoline_kernelINS0_14default_configENS1_20scan_config_selectorIxEEZZNS1_9scan_implILNS1_25lookback_scan_determinismE0ELb0ELb0ES3_N6thrust23THRUST_200600_302600_NS6detail15normal_iteratorINS9_10device_ptrIxEEEESE_x11max_functorIxExEEDaPvRmT3_T4_T5_mT6_P12ihipStream_tbENKUlT_T0_E_clISt17integral_constantIbLb0EEST_IbLb1EEEEDaSP_SQ_EUlSP_E_NS1_11comp_targetILNS1_3genE5ELNS1_11target_archE942ELNS1_3gpuE9ELNS1_3repE0EEENS1_30default_config_static_selectorELNS0_4arch9wavefront6targetE1EEEvT1_
	.p2align	8
	.type	_ZN7rocprim17ROCPRIM_400000_NS6detail17trampoline_kernelINS0_14default_configENS1_20scan_config_selectorIxEEZZNS1_9scan_implILNS1_25lookback_scan_determinismE0ELb0ELb0ES3_N6thrust23THRUST_200600_302600_NS6detail15normal_iteratorINS9_10device_ptrIxEEEESE_x11max_functorIxExEEDaPvRmT3_T4_T5_mT6_P12ihipStream_tbENKUlT_T0_E_clISt17integral_constantIbLb0EEST_IbLb1EEEEDaSP_SQ_EUlSP_E_NS1_11comp_targetILNS1_3genE5ELNS1_11target_archE942ELNS1_3gpuE9ELNS1_3repE0EEENS1_30default_config_static_selectorELNS0_4arch9wavefront6targetE1EEEvT1_,@function
_ZN7rocprim17ROCPRIM_400000_NS6detail17trampoline_kernelINS0_14default_configENS1_20scan_config_selectorIxEEZZNS1_9scan_implILNS1_25lookback_scan_determinismE0ELb0ELb0ES3_N6thrust23THRUST_200600_302600_NS6detail15normal_iteratorINS9_10device_ptrIxEEEESE_x11max_functorIxExEEDaPvRmT3_T4_T5_mT6_P12ihipStream_tbENKUlT_T0_E_clISt17integral_constantIbLb0EEST_IbLb1EEEEDaSP_SQ_EUlSP_E_NS1_11comp_targetILNS1_3genE5ELNS1_11target_archE942ELNS1_3gpuE9ELNS1_3repE0EEENS1_30default_config_static_selectorELNS0_4arch9wavefront6targetE1EEEvT1_: ; @_ZN7rocprim17ROCPRIM_400000_NS6detail17trampoline_kernelINS0_14default_configENS1_20scan_config_selectorIxEEZZNS1_9scan_implILNS1_25lookback_scan_determinismE0ELb0ELb0ES3_N6thrust23THRUST_200600_302600_NS6detail15normal_iteratorINS9_10device_ptrIxEEEESE_x11max_functorIxExEEDaPvRmT3_T4_T5_mT6_P12ihipStream_tbENKUlT_T0_E_clISt17integral_constantIbLb0EEST_IbLb1EEEEDaSP_SQ_EUlSP_E_NS1_11comp_targetILNS1_3genE5ELNS1_11target_archE942ELNS1_3gpuE9ELNS1_3repE0EEENS1_30default_config_static_selectorELNS0_4arch9wavefront6targetE1EEEvT1_
; %bb.0:
	.section	.rodata,"a",@progbits
	.p2align	6, 0x0
	.amdhsa_kernel _ZN7rocprim17ROCPRIM_400000_NS6detail17trampoline_kernelINS0_14default_configENS1_20scan_config_selectorIxEEZZNS1_9scan_implILNS1_25lookback_scan_determinismE0ELb0ELb0ES3_N6thrust23THRUST_200600_302600_NS6detail15normal_iteratorINS9_10device_ptrIxEEEESE_x11max_functorIxExEEDaPvRmT3_T4_T5_mT6_P12ihipStream_tbENKUlT_T0_E_clISt17integral_constantIbLb0EEST_IbLb1EEEEDaSP_SQ_EUlSP_E_NS1_11comp_targetILNS1_3genE5ELNS1_11target_archE942ELNS1_3gpuE9ELNS1_3repE0EEENS1_30default_config_static_selectorELNS0_4arch9wavefront6targetE1EEEvT1_
		.amdhsa_group_segment_fixed_size 0
		.amdhsa_private_segment_fixed_size 0
		.amdhsa_kernarg_size 104
		.amdhsa_user_sgpr_count 6
		.amdhsa_user_sgpr_private_segment_buffer 1
		.amdhsa_user_sgpr_dispatch_ptr 0
		.amdhsa_user_sgpr_queue_ptr 0
		.amdhsa_user_sgpr_kernarg_segment_ptr 1
		.amdhsa_user_sgpr_dispatch_id 0
		.amdhsa_user_sgpr_flat_scratch_init 0
		.amdhsa_user_sgpr_kernarg_preload_length 0
		.amdhsa_user_sgpr_kernarg_preload_offset 0
		.amdhsa_user_sgpr_private_segment_size 0
		.amdhsa_uses_dynamic_stack 0
		.amdhsa_system_sgpr_private_segment_wavefront_offset 0
		.amdhsa_system_sgpr_workgroup_id_x 1
		.amdhsa_system_sgpr_workgroup_id_y 0
		.amdhsa_system_sgpr_workgroup_id_z 0
		.amdhsa_system_sgpr_workgroup_info 0
		.amdhsa_system_vgpr_workitem_id 0
		.amdhsa_next_free_vgpr 1
		.amdhsa_next_free_sgpr 0
		.amdhsa_accum_offset 4
		.amdhsa_reserve_vcc 0
		.amdhsa_reserve_flat_scratch 0
		.amdhsa_float_round_mode_32 0
		.amdhsa_float_round_mode_16_64 0
		.amdhsa_float_denorm_mode_32 3
		.amdhsa_float_denorm_mode_16_64 3
		.amdhsa_dx10_clamp 1
		.amdhsa_ieee_mode 1
		.amdhsa_fp16_overflow 0
		.amdhsa_tg_split 0
		.amdhsa_exception_fp_ieee_invalid_op 0
		.amdhsa_exception_fp_denorm_src 0
		.amdhsa_exception_fp_ieee_div_zero 0
		.amdhsa_exception_fp_ieee_overflow 0
		.amdhsa_exception_fp_ieee_underflow 0
		.amdhsa_exception_fp_ieee_inexact 0
		.amdhsa_exception_int_div_zero 0
	.end_amdhsa_kernel
	.section	.text._ZN7rocprim17ROCPRIM_400000_NS6detail17trampoline_kernelINS0_14default_configENS1_20scan_config_selectorIxEEZZNS1_9scan_implILNS1_25lookback_scan_determinismE0ELb0ELb0ES3_N6thrust23THRUST_200600_302600_NS6detail15normal_iteratorINS9_10device_ptrIxEEEESE_x11max_functorIxExEEDaPvRmT3_T4_T5_mT6_P12ihipStream_tbENKUlT_T0_E_clISt17integral_constantIbLb0EEST_IbLb1EEEEDaSP_SQ_EUlSP_E_NS1_11comp_targetILNS1_3genE5ELNS1_11target_archE942ELNS1_3gpuE9ELNS1_3repE0EEENS1_30default_config_static_selectorELNS0_4arch9wavefront6targetE1EEEvT1_,"axG",@progbits,_ZN7rocprim17ROCPRIM_400000_NS6detail17trampoline_kernelINS0_14default_configENS1_20scan_config_selectorIxEEZZNS1_9scan_implILNS1_25lookback_scan_determinismE0ELb0ELb0ES3_N6thrust23THRUST_200600_302600_NS6detail15normal_iteratorINS9_10device_ptrIxEEEESE_x11max_functorIxExEEDaPvRmT3_T4_T5_mT6_P12ihipStream_tbENKUlT_T0_E_clISt17integral_constantIbLb0EEST_IbLb1EEEEDaSP_SQ_EUlSP_E_NS1_11comp_targetILNS1_3genE5ELNS1_11target_archE942ELNS1_3gpuE9ELNS1_3repE0EEENS1_30default_config_static_selectorELNS0_4arch9wavefront6targetE1EEEvT1_,comdat
.Lfunc_end2613:
	.size	_ZN7rocprim17ROCPRIM_400000_NS6detail17trampoline_kernelINS0_14default_configENS1_20scan_config_selectorIxEEZZNS1_9scan_implILNS1_25lookback_scan_determinismE0ELb0ELb0ES3_N6thrust23THRUST_200600_302600_NS6detail15normal_iteratorINS9_10device_ptrIxEEEESE_x11max_functorIxExEEDaPvRmT3_T4_T5_mT6_P12ihipStream_tbENKUlT_T0_E_clISt17integral_constantIbLb0EEST_IbLb1EEEEDaSP_SQ_EUlSP_E_NS1_11comp_targetILNS1_3genE5ELNS1_11target_archE942ELNS1_3gpuE9ELNS1_3repE0EEENS1_30default_config_static_selectorELNS0_4arch9wavefront6targetE1EEEvT1_, .Lfunc_end2613-_ZN7rocprim17ROCPRIM_400000_NS6detail17trampoline_kernelINS0_14default_configENS1_20scan_config_selectorIxEEZZNS1_9scan_implILNS1_25lookback_scan_determinismE0ELb0ELb0ES3_N6thrust23THRUST_200600_302600_NS6detail15normal_iteratorINS9_10device_ptrIxEEEESE_x11max_functorIxExEEDaPvRmT3_T4_T5_mT6_P12ihipStream_tbENKUlT_T0_E_clISt17integral_constantIbLb0EEST_IbLb1EEEEDaSP_SQ_EUlSP_E_NS1_11comp_targetILNS1_3genE5ELNS1_11target_archE942ELNS1_3gpuE9ELNS1_3repE0EEENS1_30default_config_static_selectorELNS0_4arch9wavefront6targetE1EEEvT1_
                                        ; -- End function
	.section	.AMDGPU.csdata,"",@progbits
; Kernel info:
; codeLenInByte = 0
; NumSgprs: 4
; NumVgprs: 0
; NumAgprs: 0
; TotalNumVgprs: 0
; ScratchSize: 0
; MemoryBound: 0
; FloatMode: 240
; IeeeMode: 1
; LDSByteSize: 0 bytes/workgroup (compile time only)
; SGPRBlocks: 0
; VGPRBlocks: 0
; NumSGPRsForWavesPerEU: 4
; NumVGPRsForWavesPerEU: 1
; AccumOffset: 4
; Occupancy: 8
; WaveLimiterHint : 0
; COMPUTE_PGM_RSRC2:SCRATCH_EN: 0
; COMPUTE_PGM_RSRC2:USER_SGPR: 6
; COMPUTE_PGM_RSRC2:TRAP_HANDLER: 0
; COMPUTE_PGM_RSRC2:TGID_X_EN: 1
; COMPUTE_PGM_RSRC2:TGID_Y_EN: 0
; COMPUTE_PGM_RSRC2:TGID_Z_EN: 0
; COMPUTE_PGM_RSRC2:TIDIG_COMP_CNT: 0
; COMPUTE_PGM_RSRC3_GFX90A:ACCUM_OFFSET: 0
; COMPUTE_PGM_RSRC3_GFX90A:TG_SPLIT: 0
	.section	.text._ZN7rocprim17ROCPRIM_400000_NS6detail17trampoline_kernelINS0_14default_configENS1_20scan_config_selectorIxEEZZNS1_9scan_implILNS1_25lookback_scan_determinismE0ELb0ELb0ES3_N6thrust23THRUST_200600_302600_NS6detail15normal_iteratorINS9_10device_ptrIxEEEESE_x11max_functorIxExEEDaPvRmT3_T4_T5_mT6_P12ihipStream_tbENKUlT_T0_E_clISt17integral_constantIbLb0EEST_IbLb1EEEEDaSP_SQ_EUlSP_E_NS1_11comp_targetILNS1_3genE4ELNS1_11target_archE910ELNS1_3gpuE8ELNS1_3repE0EEENS1_30default_config_static_selectorELNS0_4arch9wavefront6targetE1EEEvT1_,"axG",@progbits,_ZN7rocprim17ROCPRIM_400000_NS6detail17trampoline_kernelINS0_14default_configENS1_20scan_config_selectorIxEEZZNS1_9scan_implILNS1_25lookback_scan_determinismE0ELb0ELb0ES3_N6thrust23THRUST_200600_302600_NS6detail15normal_iteratorINS9_10device_ptrIxEEEESE_x11max_functorIxExEEDaPvRmT3_T4_T5_mT6_P12ihipStream_tbENKUlT_T0_E_clISt17integral_constantIbLb0EEST_IbLb1EEEEDaSP_SQ_EUlSP_E_NS1_11comp_targetILNS1_3genE4ELNS1_11target_archE910ELNS1_3gpuE8ELNS1_3repE0EEENS1_30default_config_static_selectorELNS0_4arch9wavefront6targetE1EEEvT1_,comdat
	.protected	_ZN7rocprim17ROCPRIM_400000_NS6detail17trampoline_kernelINS0_14default_configENS1_20scan_config_selectorIxEEZZNS1_9scan_implILNS1_25lookback_scan_determinismE0ELb0ELb0ES3_N6thrust23THRUST_200600_302600_NS6detail15normal_iteratorINS9_10device_ptrIxEEEESE_x11max_functorIxExEEDaPvRmT3_T4_T5_mT6_P12ihipStream_tbENKUlT_T0_E_clISt17integral_constantIbLb0EEST_IbLb1EEEEDaSP_SQ_EUlSP_E_NS1_11comp_targetILNS1_3genE4ELNS1_11target_archE910ELNS1_3gpuE8ELNS1_3repE0EEENS1_30default_config_static_selectorELNS0_4arch9wavefront6targetE1EEEvT1_ ; -- Begin function _ZN7rocprim17ROCPRIM_400000_NS6detail17trampoline_kernelINS0_14default_configENS1_20scan_config_selectorIxEEZZNS1_9scan_implILNS1_25lookback_scan_determinismE0ELb0ELb0ES3_N6thrust23THRUST_200600_302600_NS6detail15normal_iteratorINS9_10device_ptrIxEEEESE_x11max_functorIxExEEDaPvRmT3_T4_T5_mT6_P12ihipStream_tbENKUlT_T0_E_clISt17integral_constantIbLb0EEST_IbLb1EEEEDaSP_SQ_EUlSP_E_NS1_11comp_targetILNS1_3genE4ELNS1_11target_archE910ELNS1_3gpuE8ELNS1_3repE0EEENS1_30default_config_static_selectorELNS0_4arch9wavefront6targetE1EEEvT1_
	.globl	_ZN7rocprim17ROCPRIM_400000_NS6detail17trampoline_kernelINS0_14default_configENS1_20scan_config_selectorIxEEZZNS1_9scan_implILNS1_25lookback_scan_determinismE0ELb0ELb0ES3_N6thrust23THRUST_200600_302600_NS6detail15normal_iteratorINS9_10device_ptrIxEEEESE_x11max_functorIxExEEDaPvRmT3_T4_T5_mT6_P12ihipStream_tbENKUlT_T0_E_clISt17integral_constantIbLb0EEST_IbLb1EEEEDaSP_SQ_EUlSP_E_NS1_11comp_targetILNS1_3genE4ELNS1_11target_archE910ELNS1_3gpuE8ELNS1_3repE0EEENS1_30default_config_static_selectorELNS0_4arch9wavefront6targetE1EEEvT1_
	.p2align	8
	.type	_ZN7rocprim17ROCPRIM_400000_NS6detail17trampoline_kernelINS0_14default_configENS1_20scan_config_selectorIxEEZZNS1_9scan_implILNS1_25lookback_scan_determinismE0ELb0ELb0ES3_N6thrust23THRUST_200600_302600_NS6detail15normal_iteratorINS9_10device_ptrIxEEEESE_x11max_functorIxExEEDaPvRmT3_T4_T5_mT6_P12ihipStream_tbENKUlT_T0_E_clISt17integral_constantIbLb0EEST_IbLb1EEEEDaSP_SQ_EUlSP_E_NS1_11comp_targetILNS1_3genE4ELNS1_11target_archE910ELNS1_3gpuE8ELNS1_3repE0EEENS1_30default_config_static_selectorELNS0_4arch9wavefront6targetE1EEEvT1_,@function
_ZN7rocprim17ROCPRIM_400000_NS6detail17trampoline_kernelINS0_14default_configENS1_20scan_config_selectorIxEEZZNS1_9scan_implILNS1_25lookback_scan_determinismE0ELb0ELb0ES3_N6thrust23THRUST_200600_302600_NS6detail15normal_iteratorINS9_10device_ptrIxEEEESE_x11max_functorIxExEEDaPvRmT3_T4_T5_mT6_P12ihipStream_tbENKUlT_T0_E_clISt17integral_constantIbLb0EEST_IbLb1EEEEDaSP_SQ_EUlSP_E_NS1_11comp_targetILNS1_3genE4ELNS1_11target_archE910ELNS1_3gpuE8ELNS1_3repE0EEENS1_30default_config_static_selectorELNS0_4arch9wavefront6targetE1EEEvT1_: ; @_ZN7rocprim17ROCPRIM_400000_NS6detail17trampoline_kernelINS0_14default_configENS1_20scan_config_selectorIxEEZZNS1_9scan_implILNS1_25lookback_scan_determinismE0ELb0ELb0ES3_N6thrust23THRUST_200600_302600_NS6detail15normal_iteratorINS9_10device_ptrIxEEEESE_x11max_functorIxExEEDaPvRmT3_T4_T5_mT6_P12ihipStream_tbENKUlT_T0_E_clISt17integral_constantIbLb0EEST_IbLb1EEEEDaSP_SQ_EUlSP_E_NS1_11comp_targetILNS1_3genE4ELNS1_11target_archE910ELNS1_3gpuE8ELNS1_3repE0EEENS1_30default_config_static_selectorELNS0_4arch9wavefront6targetE1EEEvT1_
; %bb.0:
	s_load_dwordx2 s[14:15], s[4:5], 0x30
	v_cmp_ne_u32_e64 s[0:1], 0, v0
	v_cmp_eq_u32_e64 s[2:3], 0, v0
	s_and_saveexec_b64 s[6:7], s[2:3]
	s_cbranch_execz .LBB2614_4
; %bb.1:
	s_mov_b64 s[10:11], exec
	v_mbcnt_lo_u32_b32 v1, s10, 0
	v_mbcnt_hi_u32_b32 v1, s11, v1
	v_cmp_eq_u32_e32 vcc, 0, v1
                                        ; implicit-def: $vgpr2
	s_and_saveexec_b64 s[8:9], vcc
	s_cbranch_execz .LBB2614_3
; %bb.2:
	s_load_dwordx2 s[12:13], s[4:5], 0x60
	s_bcnt1_i32_b64 s10, s[10:11]
	v_mov_b32_e32 v2, 0
	v_mov_b32_e32 v3, s10
	s_waitcnt lgkmcnt(0)
	global_atomic_add v2, v2, v3, s[12:13] glc
.LBB2614_3:
	s_or_b64 exec, exec, s[8:9]
	s_waitcnt vmcnt(0)
	v_readfirstlane_b32 s8, v2
	v_add_u32_e32 v1, s8, v1
	v_mov_b32_e32 v2, 0
	ds_write_b32 v2, v1
.LBB2614_4:
	s_or_b64 exec, exec, s[6:7]
	s_load_dwordx8 s[24:31], s[4:5], 0x0
	s_load_dword s6, s[4:5], 0x38
	s_load_dwordx8 s[16:23], s[4:5], 0x40
	v_mov_b32_e32 v1, 0
	s_waitcnt lgkmcnt(0)
	s_barrier
	ds_read_b32 v1, v1
	s_lshl_b64 s[26:27], s[26:27], 3
	s_add_u32 s7, s24, s26
	s_addc_u32 s8, s25, s27
	s_add_i32 s6, s6, -1
	s_mul_i32 s9, s6, 0x380
	s_sub_u32 s33, s30, s9
	s_waitcnt lgkmcnt(0)
	v_readfirstlane_b32 s37, v1
	s_subb_u32 s36, s31, 0
	s_mul_i32 s4, s37, 0x380
	s_mov_b32 s5, 0
	s_cmp_lg_u32 s37, s6
	s_cselect_b64 s[24:25], -1, 0
	s_lshl_b64 s[30:31], s[4:5], 3
	s_add_u32 s6, s7, s30
	s_addc_u32 s7, s8, s31
	s_mov_b64 s[4:5], -1
	s_and_b64 vcc, exec, s[24:25]
	v_lshlrev_b32_e32 v36, 3, v0
	s_barrier
	s_cbranch_vccz .LBB2614_6
; %bb.5:
	v_mov_b32_e32 v1, s7
	v_add_co_u32_e32 v2, vcc, s6, v36
	v_addc_co_u32_e32 v3, vcc, 0, v1, vcc
	flat_load_dwordx2 v[4:5], v[2:3]
	flat_load_dwordx2 v[6:7], v[2:3] offset:1024
	flat_load_dwordx2 v[8:9], v[2:3] offset:2048
	;; [unrolled: 1-line block ×3, first 2 shown]
	v_add_co_u32_e32 v2, vcc, 0x1000, v2
	v_addc_co_u32_e32 v3, vcc, 0, v3, vcc
	flat_load_dwordx2 v[12:13], v[2:3]
	flat_load_dwordx2 v[14:15], v[2:3] offset:1024
	flat_load_dwordx2 v[16:17], v[2:3] offset:2048
	s_mov_b64 s[4:5], 0
	s_waitcnt vmcnt(0) lgkmcnt(0)
	ds_write2st64_b64 v36, v[4:5], v[6:7] offset1:2
	ds_write2st64_b64 v36, v[8:9], v[10:11] offset0:4 offset1:6
	ds_write2st64_b64 v36, v[12:13], v[14:15] offset0:8 offset1:10
	ds_write_b64 v36, v[16:17] offset:6144
	s_waitcnt lgkmcnt(0)
	s_barrier
.LBB2614_6:
	s_andn2_b64 vcc, exec, s[4:5]
	v_cmp_gt_u32_e64 s[4:5], s33, v0
	s_cbranch_vccnz .LBB2614_22
; %bb.7:
	v_pk_mov_b32 v[2:3], s[6:7], s[6:7] op_sel:[0,1]
	flat_load_dwordx2 v[2:3], v[2:3]
	s_waitcnt vmcnt(0) lgkmcnt(0)
	v_mov_b32_e32 v4, v2
	v_mov_b32_e32 v5, v3
	;; [unrolled: 1-line block ×10, first 2 shown]
	v_pk_mov_b32 v[18:19], v[14:15], v[14:15] op_sel:[0,1]
	v_pk_mov_b32 v[16:17], v[12:13], v[12:13] op_sel:[0,1]
	;; [unrolled: 1-line block ×8, first 2 shown]
	s_and_saveexec_b64 s[8:9], s[4:5]
	s_cbranch_execz .LBB2614_9
; %bb.8:
	v_mov_b32_e32 v1, s7
	v_add_co_u32_e32 v4, vcc, s6, v36
	v_addc_co_u32_e32 v5, vcc, 0, v1, vcc
	flat_load_dwordx2 v[20:21], v[4:5]
	v_mov_b32_e32 v4, v2
	v_mov_b32_e32 v5, v3
	;; [unrolled: 1-line block ×10, first 2 shown]
	v_pk_mov_b32 v[18:19], v[14:15], v[14:15] op_sel:[0,1]
	v_pk_mov_b32 v[16:17], v[12:13], v[12:13] op_sel:[0,1]
	;; [unrolled: 1-line block ×8, first 2 shown]
	s_waitcnt vmcnt(0) lgkmcnt(0)
	v_pk_mov_b32 v[2:3], v[20:21], v[20:21] op_sel:[0,1]
.LBB2614_9:
	s_or_b64 exec, exec, s[8:9]
	v_or_b32_e32 v1, 0x80, v0
	v_cmp_gt_u32_e32 vcc, s33, v1
	s_and_saveexec_b64 s[4:5], vcc
	s_cbranch_execz .LBB2614_11
; %bb.10:
	v_mov_b32_e32 v1, s7
	v_add_co_u32_e32 v4, vcc, s6, v36
	v_addc_co_u32_e32 v5, vcc, 0, v1, vcc
	flat_load_dwordx2 v[6:7], v[4:5] offset:1024
.LBB2614_11:
	s_or_b64 exec, exec, s[4:5]
	v_or_b32_e32 v1, 0x100, v0
	v_cmp_gt_u32_e32 vcc, s33, v1
	s_and_saveexec_b64 s[4:5], vcc
	s_cbranch_execz .LBB2614_13
; %bb.12:
	v_mov_b32_e32 v1, s7
	v_add_co_u32_e32 v4, vcc, s6, v36
	v_addc_co_u32_e32 v5, vcc, 0, v1, vcc
	flat_load_dwordx2 v[8:9], v[4:5] offset:2048
.LBB2614_13:
	;; [unrolled: 11-line block ×3, first 2 shown]
	s_or_b64 exec, exec, s[4:5]
	v_or_b32_e32 v1, 0x200, v0
	v_cmp_gt_u32_e32 vcc, s33, v1
	s_and_saveexec_b64 s[4:5], vcc
	s_cbranch_execz .LBB2614_17
; %bb.16:
	v_lshlrev_b32_e32 v1, 3, v1
	v_mov_b32_e32 v5, s7
	v_add_co_u32_e32 v4, vcc, s6, v1
	v_addc_co_u32_e32 v5, vcc, 0, v5, vcc
	flat_load_dwordx2 v[12:13], v[4:5]
.LBB2614_17:
	s_or_b64 exec, exec, s[4:5]
	v_or_b32_e32 v1, 0x280, v0
	v_cmp_gt_u32_e32 vcc, s33, v1
	s_and_saveexec_b64 s[4:5], vcc
	s_cbranch_execz .LBB2614_19
; %bb.18:
	v_lshlrev_b32_e32 v1, 3, v1
	v_mov_b32_e32 v5, s7
	v_add_co_u32_e32 v4, vcc, s6, v1
	v_addc_co_u32_e32 v5, vcc, 0, v5, vcc
	flat_load_dwordx2 v[14:15], v[4:5]
.LBB2614_19:
	;; [unrolled: 12-line block ×3, first 2 shown]
	s_or_b64 exec, exec, s[4:5]
	s_waitcnt vmcnt(0) lgkmcnt(0)
	ds_write2st64_b64 v36, v[2:3], v[6:7] offset1:2
	ds_write2st64_b64 v36, v[8:9], v[10:11] offset0:4 offset1:6
	ds_write2st64_b64 v36, v[12:13], v[14:15] offset0:8 offset1:10
	ds_write_b64 v36, v[16:17] offset:6144
	s_waitcnt lgkmcnt(0)
	s_barrier
.LBB2614_22:
	v_mul_u32_u24_e32 v37, 7, v0
	v_lshlrev_b32_e32 v38, 3, v37
	ds_read2_b64 v[2:5], v38 offset1:1
	ds_read2_b64 v[10:13], v38 offset0:2 offset1:3
	ds_read2_b64 v[6:9], v38 offset0:4 offset1:5
	ds_read_b64 v[28:29], v38 offset:48
	s_cmp_lg_u32 s37, 0
	v_lshrrev_b32_e32 v1, 5, v0
	v_cmp_gt_u32_e32 vcc, 64, v0
	s_waitcnt lgkmcnt(0)
	s_barrier
	s_cbranch_scc0 .LBB2614_49
; %bb.23:
	v_cmp_gt_i64_e64 s[4:5], v[2:3], v[4:5]
	v_cndmask_b32_e64 v15, v5, v3, s[4:5]
	v_cndmask_b32_e64 v14, v4, v2, s[4:5]
	v_cmp_gt_i64_e64 s[4:5], v[14:15], v[10:11]
	v_cndmask_b32_e64 v15, v11, v15, s[4:5]
	v_cndmask_b32_e64 v14, v10, v14, s[4:5]
	;; [unrolled: 3-line block ×6, first 2 shown]
	v_add_lshl_u32 v14, v1, v0, 3
	ds_write_b64 v14, v[22:23]
	s_waitcnt lgkmcnt(0)
	s_barrier
	s_and_saveexec_b64 s[8:9], vcc
	s_cbranch_execz .LBB2614_27
; %bb.24:
	v_lshlrev_b32_e32 v14, 1, v0
	v_lshrrev_b32_e32 v15, 4, v0
	v_add_lshl_u32 v24, v15, v14, 3
	ds_read2_b64 v[14:17], v24 offset1:1
	v_mbcnt_lo_u32_b32 v18, -1, 0
	v_mbcnt_hi_u32_b32 v25, -1, v18
	v_and_b32_e32 v26, 15, v25
	v_and_b32_e32 v30, 16, v25
	s_waitcnt lgkmcnt(0)
	v_cmp_gt_i64_e64 s[4:5], v[14:15], v[16:17]
	v_cndmask_b32_e64 v17, v17, v15, s[4:5]
	v_cndmask_b32_e64 v16, v16, v14, s[4:5]
	v_cmp_ne_u32_e64 s[6:7], 0, v25
	v_mov_b32_dpp v19, v17 row_shr:1 row_mask:0xf bank_mask:0xf
	v_mov_b32_dpp v18, v16 row_shr:1 row_mask:0xf bank_mask:0xf
	v_cmp_gt_i64_e64 s[4:5], v[18:19], v[16:17]
	v_cndmask_b32_e64 v18, v16, v18, s[4:5]
	v_cndmask_b32_e64 v19, v17, v19, s[4:5]
	v_cmp_eq_u32_e64 s[4:5], 0, v26
	v_cndmask_b32_e64 v19, v19, v17, s[4:5]
	v_cndmask_b32_e64 v18, v18, v16, s[4:5]
	s_nop 0
	v_mov_b32_dpp v21, v19 row_shr:2 row_mask:0xf bank_mask:0xf
	v_mov_b32_dpp v20, v18 row_shr:2 row_mask:0xf bank_mask:0xf
	v_cmp_gt_i64_e64 s[4:5], v[20:21], v[18:19]
	v_cndmask_b32_e64 v20, v18, v20, s[4:5]
	v_cndmask_b32_e64 v21, v19, v21, s[4:5]
	v_cmp_lt_u32_e64 s[4:5], 1, v26
	v_cndmask_b32_e64 v19, v19, v21, s[4:5]
	v_cndmask_b32_e64 v18, v18, v20, s[4:5]
	s_nop 0
	v_mov_b32_dpp v21, v19 row_shr:4 row_mask:0xf bank_mask:0xf
	v_mov_b32_dpp v20, v18 row_shr:4 row_mask:0xf bank_mask:0xf
	v_cmp_gt_i64_e64 s[4:5], v[20:21], v[18:19]
	v_cndmask_b32_e64 v20, v18, v20, s[4:5]
	v_cndmask_b32_e64 v21, v19, v21, s[4:5]
	v_cmp_lt_u32_e64 s[4:5], 3, v26
	;; [unrolled: 9-line block ×3, first 2 shown]
	v_cndmask_b32_e64 v19, v19, v21, s[4:5]
	v_cndmask_b32_e64 v18, v18, v20, s[4:5]
	s_nop 0
	v_mov_b32_dpp v21, v19 row_bcast:15 row_mask:0xf bank_mask:0xf
	v_mov_b32_dpp v20, v18 row_bcast:15 row_mask:0xf bank_mask:0xf
	v_cmp_gt_i64_e64 s[4:5], v[20:21], v[18:19]
	v_cndmask_b32_e64 v26, v19, v21, s[4:5]
	v_cndmask_b32_e64 v27, v18, v20, s[4:5]
	v_cmp_eq_u32_e64 s[4:5], 0, v30
	v_cndmask_b32_e64 v21, v26, v19, s[4:5]
	v_cndmask_b32_e64 v20, v27, v18, s[4:5]
	s_nop 0
	v_mov_b32_dpp v21, v21 row_bcast:31 row_mask:0xf bank_mask:0xf
	v_mov_b32_dpp v20, v20 row_bcast:31 row_mask:0xf bank_mask:0xf
	s_and_saveexec_b64 s[10:11], s[6:7]
; %bb.25:
	v_cndmask_b32_e64 v17, v26, v19, s[4:5]
	v_cndmask_b32_e64 v16, v27, v18, s[4:5]
	v_cmp_lt_u32_e64 s[6:7], 31, v25
	v_cmp_gt_i64_e64 s[4:5], v[20:21], v[16:17]
	s_and_b64 s[4:5], s[6:7], s[4:5]
	v_cndmask_b32_e64 v16, v16, v20, s[4:5]
	v_cndmask_b32_e64 v17, v17, v21, s[4:5]
; %bb.26:
	s_or_b64 exec, exec, s[10:11]
	v_add_u32_e32 v18, -1, v25
	v_and_b32_e32 v19, 64, v25
	v_cmp_lt_i32_e64 s[4:5], v18, v19
	v_cndmask_b32_e64 v18, v18, v25, s[4:5]
	v_lshlrev_b32_e32 v18, 2, v18
	ds_bpermute_b32 v16, v18, v16
	ds_bpermute_b32 v17, v18, v17
	; wave barrier
	s_waitcnt lgkmcnt(0)
	v_cmp_gt_i64_e64 s[4:5], v[16:17], v[14:15]
	v_cndmask_b32_e64 v14, v14, v16, s[4:5]
	v_cndmask_b32_e64 v15, v15, v17, s[4:5]
	;; [unrolled: 1-line block ×4, first 2 shown]
	ds_write_b64 v24, v[14:15]
	; wave barrier
	ds_read_b64 v[16:17], v24 offset:8
	s_waitcnt lgkmcnt(0)
	v_cmp_gt_i64_e64 s[4:5], v[14:15], v[16:17]
	v_cndmask_b32_e64 v15, v17, v15, s[4:5]
	v_cndmask_b32_e64 v14, v16, v14, s[4:5]
	ds_write_b64 v24, v[14:15] offset:8
.LBB2614_27:
	s_or_b64 exec, exec, s[8:9]
	s_waitcnt lgkmcnt(0)
	s_barrier
	s_and_saveexec_b64 s[4:5], s[0:1]
	s_cbranch_execz .LBB2614_29
; %bb.28:
	v_add_u32_e32 v14, -1, v0
	v_lshrrev_b32_e32 v15, 5, v14
	v_add_lshl_u32 v14, v15, v14, 3
	ds_read_b64 v[22:23], v14
.LBB2614_29:
	s_or_b64 exec, exec, s[4:5]
	s_and_saveexec_b64 s[34:35], vcc
	s_cbranch_execz .LBB2614_48
; %bb.30:
	v_mov_b32_e32 v17, 0
	ds_read_b64 v[14:15], v17 offset:1040
	v_mbcnt_lo_u32_b32 v16, -1, 0
	v_mbcnt_hi_u32_b32 v25, -1, v16
	s_mov_b32 s9, 0
	v_cmp_eq_u32_e64 s[4:5], 0, v25
	s_and_saveexec_b64 s[6:7], s[4:5]
	s_cbranch_execz .LBB2614_32
; %bb.31:
	s_add_i32 s8, s37, 64
	s_lshl_b64 s[8:9], s[8:9], 4
	s_add_u32 s8, s14, s8
	s_addc_u32 s9, s15, s9
	v_mov_b32_e32 v16, 1
	v_pk_mov_b32 v[18:19], s[8:9], s[8:9] op_sel:[0,1]
	s_waitcnt lgkmcnt(0)
	;;#ASMSTART
	global_store_dwordx4 v[18:19], v[14:17] off	
s_waitcnt vmcnt(0)
	;;#ASMEND
.LBB2614_32:
	s_or_b64 exec, exec, s[6:7]
	v_xad_u32 v24, v25, -1, s37
	v_add_u32_e32 v16, 64, v24
	v_lshlrev_b64 v[18:19], 4, v[16:17]
	v_mov_b32_e32 v16, s15
	v_add_co_u32_e32 v26, vcc, s14, v18
	v_addc_co_u32_e32 v27, vcc, v16, v19, vcc
	;;#ASMSTART
	global_load_dwordx4 v[18:21], v[26:27] off glc	
s_waitcnt vmcnt(0)
	;;#ASMEND
	v_and_b32_e32 v16, 0xff, v19
	v_and_b32_e32 v21, 0xff00, v19
	v_or3_b32 v16, 0, v16, v21
	v_or3_b32 v18, v18, 0, 0
	v_and_b32_e32 v21, 0xff000000, v19
	v_and_b32_e32 v19, 0xff0000, v19
	v_or3_b32 v19, v16, v19, v21
	v_or3_b32 v18, v18, 0, 0
	v_cmp_eq_u16_sdwa s[8:9], v20, v17 src0_sel:BYTE_0 src1_sel:DWORD
	s_and_saveexec_b64 s[6:7], s[8:9]
	s_cbranch_execz .LBB2614_36
; %bb.33:
	s_mov_b64 s[8:9], 0
	v_mov_b32_e32 v16, 0
.LBB2614_34:                            ; =>This Inner Loop Header: Depth=1
	;;#ASMSTART
	global_load_dwordx4 v[18:21], v[26:27] off glc	
s_waitcnt vmcnt(0)
	;;#ASMEND
	v_cmp_ne_u16_sdwa s[10:11], v20, v16 src0_sel:BYTE_0 src1_sel:DWORD
	s_or_b64 s[8:9], s[10:11], s[8:9]
	s_andn2_b64 exec, exec, s[8:9]
	s_cbranch_execnz .LBB2614_34
; %bb.35:
	s_or_b64 exec, exec, s[8:9]
.LBB2614_36:
	s_or_b64 exec, exec, s[6:7]
	v_and_b32_e32 v33, 63, v25
	v_cmp_ne_u32_e32 vcc, 63, v33
	v_mov_b32_e32 v32, 2
	v_addc_co_u32_e32 v26, vcc, 0, v25, vcc
	v_cmp_eq_u16_sdwa s[6:7], v20, v32 src0_sel:BYTE_0 src1_sel:DWORD
	v_lshlrev_b64 v[16:17], v25, -1
	v_lshlrev_b32_e32 v34, 2, v26
	v_and_b32_e32 v21, s7, v17
	ds_bpermute_b32 v26, v34, v18
	ds_bpermute_b32 v27, v34, v19
	v_or_b32_e32 v21, 0x80000000, v21
	v_and_b32_e32 v30, s6, v16
	v_ffbl_b32_e32 v21, v21
	v_add_u32_e32 v21, 32, v21
	v_ffbl_b32_e32 v30, v30
	v_min_u32_e32 v21, v30, v21
	s_waitcnt lgkmcnt(0)
	v_cmp_gt_i64_e64 s[6:7], v[26:27], v[18:19]
	v_cmp_lt_u32_e32 vcc, v33, v21
	v_cndmask_b32_e64 v26, v18, v26, s[6:7]
	s_and_b64 s[6:7], vcc, s[6:7]
	v_cndmask_b32_e64 v27, v19, v27, s[6:7]
	v_cmp_gt_u32_e64 s[6:7], 62, v33
	v_cndmask_b32_e64 v30, 0, 1, s[6:7]
	v_lshlrev_b32_e32 v30, 1, v30
	v_cndmask_b32_e32 v26, v18, v26, vcc
	v_add_lshl_u32 v35, v30, v25, 2
	ds_bpermute_b32 v30, v35, v26
	ds_bpermute_b32 v31, v35, v27
	v_add_u32_e32 v39, 2, v33
	v_cmp_gt_u32_e64 s[8:9], 56, v33
	v_add_u32_e32 v41, 4, v33
	v_cndmask_b32_e64 v42, 0, 1, s[8:9]
	s_waitcnt lgkmcnt(0)
	v_cmp_gt_i64_e64 s[6:7], v[30:31], v[26:27]
	v_cndmask_b32_e64 v31, v27, v31, s[6:7]
	v_cndmask_b32_e64 v30, v26, v30, s[6:7]
	v_cmp_gt_u32_e64 s[6:7], v39, v21
	v_cndmask_b32_e64 v26, v30, v26, s[6:7]
	v_cndmask_b32_e64 v27, v31, v27, s[6:7]
	v_cmp_gt_u32_e64 s[6:7], 60, v33
	v_cndmask_b32_e64 v30, 0, 1, s[6:7]
	v_lshlrev_b32_e32 v30, 2, v30
	v_add_lshl_u32 v40, v30, v25, 2
	ds_bpermute_b32 v30, v40, v26
	ds_bpermute_b32 v31, v40, v27
	v_lshlrev_b32_e32 v42, 3, v42
	v_add_lshl_u32 v42, v42, v25, 2
	v_cmp_gt_u32_e64 s[10:11], 48, v33
	v_add_u32_e32 v43, 8, v33
	s_waitcnt lgkmcnt(0)
	v_cmp_gt_i64_e64 s[6:7], v[30:31], v[26:27]
	v_cndmask_b32_e64 v50, v27, v31, s[6:7]
	v_cndmask_b32_e64 v51, v26, v30, s[6:7]
	v_cmp_gt_u32_e64 s[6:7], v41, v21
	v_cndmask_b32_e64 v30, v51, v26, s[6:7]
	v_cndmask_b32_e64 v31, v50, v27, s[6:7]
	ds_bpermute_b32 v44, v42, v30
	ds_bpermute_b32 v45, v42, v31
	v_cmp_gt_u32_e64 s[12:13], 32, v33
	v_cndmask_b32_e32 v19, v19, v27, vcc
	v_cndmask_b32_e32 v18, v18, v26, vcc
	v_cndmask_b32_e64 v18, v51, v18, s[6:7]
	s_waitcnt lgkmcnt(0)
	v_cmp_gt_i64_e64 s[8:9], v[44:45], v[30:31]
	v_cndmask_b32_e64 v53, v30, v44, s[8:9]
	v_cndmask_b32_e64 v44, 0, 1, s[10:11]
	;; [unrolled: 1-line block ×3, first 2 shown]
	v_cmp_gt_u32_e64 s[8:9], v43, v21
	v_lshlrev_b32_e32 v44, 4, v44
	v_cndmask_b32_e64 v30, v53, v30, s[8:9]
	v_cndmask_b32_e64 v31, v52, v31, s[8:9]
	v_add_lshl_u32 v44, v44, v25, 2
	ds_bpermute_b32 v46, v44, v30
	ds_bpermute_b32 v47, v44, v31
	v_add_u32_e32 v45, 16, v33
	v_cndmask_b32_e64 v19, v50, v19, s[6:7]
	v_cndmask_b32_e64 v19, v52, v19, s[8:9]
	;; [unrolled: 1-line block ×3, first 2 shown]
	s_waitcnt lgkmcnt(0)
	v_cmp_gt_i64_e64 s[10:11], v[46:47], v[30:31]
	v_cndmask_b32_e64 v55, v30, v46, s[10:11]
	v_cndmask_b32_e64 v46, 0, 1, s[12:13]
	;; [unrolled: 1-line block ×3, first 2 shown]
	v_cmp_gt_u32_e64 s[10:11], v45, v21
	v_lshlrev_b32_e32 v46, 5, v46
	v_cndmask_b32_e64 v30, v55, v30, s[10:11]
	v_add_lshl_u32 v46, v46, v25, 2
	v_cndmask_b32_e64 v31, v54, v31, s[10:11]
	ds_bpermute_b32 v48, v46, v30
	ds_bpermute_b32 v49, v46, v31
	v_add_u32_e32 v47, 32, v33
	v_cndmask_b32_e64 v18, v55, v18, s[10:11]
	v_cndmask_b32_e64 v19, v54, v19, s[10:11]
	v_cmp_gt_u32_e32 vcc, v47, v21
	s_waitcnt lgkmcnt(0)
	v_cmp_gt_i64_e64 s[12:13], v[48:49], v[30:31]
	v_cndmask_b32_e64 v25, v30, v48, s[12:13]
	v_cndmask_b32_e64 v30, v31, v49, s[12:13]
	v_cndmask_b32_e32 v19, v30, v19, vcc
	v_cndmask_b32_e32 v18, v25, v18, vcc
	v_mov_b32_e32 v25, 0
	s_branch .LBB2614_38
.LBB2614_37:                            ;   in Loop: Header=BB2614_38 Depth=1
	s_or_b64 exec, exec, s[6:7]
	v_cmp_eq_u16_sdwa s[6:7], v20, v32 src0_sel:BYTE_0 src1_sel:DWORD
	v_and_b32_e32 v21, s7, v17
	ds_bpermute_b32 v30, v34, v18
	ds_bpermute_b32 v31, v34, v19
	v_or_b32_e32 v21, 0x80000000, v21
	v_and_b32_e32 v48, s6, v16
	v_ffbl_b32_e32 v21, v21
	v_add_u32_e32 v21, 32, v21
	v_ffbl_b32_e32 v48, v48
	v_min_u32_e32 v21, v48, v21
	s_waitcnt lgkmcnt(0)
	v_cmp_gt_i64_e32 vcc, v[30:31], v[18:19]
	v_cmp_lt_u32_e64 s[6:7], v33, v21
	v_cndmask_b32_e32 v30, v18, v30, vcc
	s_and_b64 vcc, s[6:7], vcc
	v_cndmask_b32_e64 v30, v18, v30, s[6:7]
	v_cndmask_b32_e32 v31, v19, v31, vcc
	ds_bpermute_b32 v48, v35, v30
	ds_bpermute_b32 v49, v35, v31
	v_subrev_u32_e32 v24, 64, v24
	s_waitcnt lgkmcnt(0)
	v_cmp_gt_i64_e32 vcc, v[48:49], v[30:31]
	v_cndmask_b32_e32 v49, v31, v49, vcc
	v_cndmask_b32_e32 v48, v30, v48, vcc
	v_cmp_gt_u32_e32 vcc, v39, v21
	v_cndmask_b32_e32 v30, v48, v30, vcc
	v_cndmask_b32_e32 v31, v49, v31, vcc
	ds_bpermute_b32 v48, v40, v30
	ds_bpermute_b32 v49, v40, v31
	v_cndmask_b32_e64 v19, v19, v31, s[6:7]
	v_cndmask_b32_e64 v18, v18, v30, s[6:7]
	s_waitcnt lgkmcnt(0)
	v_cmp_gt_i64_e32 vcc, v[48:49], v[30:31]
	v_cndmask_b32_e32 v52, v31, v49, vcc
	v_cndmask_b32_e32 v53, v30, v48, vcc
	v_cmp_gt_u32_e32 vcc, v41, v21
	v_cndmask_b32_e32 v48, v53, v30, vcc
	v_cndmask_b32_e32 v49, v52, v31, vcc
	ds_bpermute_b32 v50, v42, v48
	ds_bpermute_b32 v51, v42, v49
	v_cndmask_b32_e32 v18, v53, v18, vcc
	v_cndmask_b32_e32 v19, v52, v19, vcc
	v_cmp_gt_u32_e32 vcc, v47, v21
	s_waitcnt lgkmcnt(0)
	v_cmp_gt_i64_e64 s[8:9], v[50:51], v[48:49]
	v_cndmask_b32_e64 v54, v49, v51, s[8:9]
	v_cndmask_b32_e64 v55, v48, v50, s[8:9]
	v_cmp_gt_u32_e64 s[8:9], v43, v21
	v_cndmask_b32_e64 v48, v55, v48, s[8:9]
	v_cndmask_b32_e64 v49, v54, v49, s[8:9]
	ds_bpermute_b32 v50, v44, v48
	ds_bpermute_b32 v51, v44, v49
	v_cndmask_b32_e64 v19, v54, v19, s[8:9]
	v_cndmask_b32_e64 v18, v55, v18, s[8:9]
	s_waitcnt lgkmcnt(0)
	v_cmp_gt_i64_e64 s[10:11], v[50:51], v[48:49]
	v_cndmask_b32_e64 v56, v49, v51, s[10:11]
	v_cndmask_b32_e64 v57, v48, v50, s[10:11]
	v_cmp_gt_u32_e64 s[10:11], v45, v21
	v_cndmask_b32_e64 v48, v57, v48, s[10:11]
	v_cndmask_b32_e64 v49, v56, v49, s[10:11]
	ds_bpermute_b32 v50, v46, v48
	ds_bpermute_b32 v51, v46, v49
	v_cndmask_b32_e64 v18, v57, v18, s[10:11]
	v_cndmask_b32_e64 v19, v56, v19, s[10:11]
	s_waitcnt lgkmcnt(0)
	v_cmp_gt_i64_e64 s[12:13], v[50:51], v[48:49]
	v_cndmask_b32_e64 v48, v48, v50, s[12:13]
	v_cndmask_b32_e64 v49, v49, v51, s[12:13]
	v_cndmask_b32_e32 v19, v49, v19, vcc
	v_cndmask_b32_e32 v18, v48, v18, vcc
	v_cmp_gt_i64_e32 vcc, v[18:19], v[26:27]
	v_cndmask_b32_e32 v19, v27, v19, vcc
	v_cndmask_b32_e32 v18, v26, v18, vcc
.LBB2614_38:                            ; =>This Loop Header: Depth=1
                                        ;     Child Loop BB2614_41 Depth 2
	v_cmp_ne_u16_sdwa s[6:7], v20, v32 src0_sel:BYTE_0 src1_sel:DWORD
	v_cndmask_b32_e64 v20, 0, 1, s[6:7]
	;;#ASMSTART
	;;#ASMEND
	v_cmp_ne_u32_e32 vcc, 0, v20
	s_cmp_lg_u64 vcc, exec
	v_pk_mov_b32 v[26:27], v[18:19], v[18:19] op_sel:[0,1]
	s_cbranch_scc1 .LBB2614_43
; %bb.39:                               ;   in Loop: Header=BB2614_38 Depth=1
	v_lshlrev_b64 v[18:19], 4, v[24:25]
	v_mov_b32_e32 v20, s15
	v_add_co_u32_e32 v30, vcc, s14, v18
	v_addc_co_u32_e32 v31, vcc, v20, v19, vcc
	;;#ASMSTART
	global_load_dwordx4 v[18:21], v[30:31] off glc	
s_waitcnt vmcnt(0)
	;;#ASMEND
	v_and_b32_e32 v21, 0xff, v19
	v_and_b32_e32 v48, 0xff00, v19
	v_or3_b32 v21, 0, v21, v48
	v_or3_b32 v18, v18, 0, 0
	v_and_b32_e32 v48, 0xff000000, v19
	v_and_b32_e32 v19, 0xff0000, v19
	v_or3_b32 v19, v21, v19, v48
	v_or3_b32 v18, v18, 0, 0
	v_cmp_eq_u16_sdwa s[8:9], v20, v25 src0_sel:BYTE_0 src1_sel:DWORD
	s_and_saveexec_b64 s[6:7], s[8:9]
	s_cbranch_execz .LBB2614_37
; %bb.40:                               ;   in Loop: Header=BB2614_38 Depth=1
	s_mov_b64 s[8:9], 0
.LBB2614_41:                            ;   Parent Loop BB2614_38 Depth=1
                                        ; =>  This Inner Loop Header: Depth=2
	;;#ASMSTART
	global_load_dwordx4 v[18:21], v[30:31] off glc	
s_waitcnt vmcnt(0)
	;;#ASMEND
	v_cmp_ne_u16_sdwa s[10:11], v20, v25 src0_sel:BYTE_0 src1_sel:DWORD
	s_or_b64 s[8:9], s[10:11], s[8:9]
	s_andn2_b64 exec, exec, s[8:9]
	s_cbranch_execnz .LBB2614_41
; %bb.42:                               ;   in Loop: Header=BB2614_38 Depth=1
	s_or_b64 exec, exec, s[8:9]
	s_branch .LBB2614_37
.LBB2614_43:                            ;   in Loop: Header=BB2614_38 Depth=1
                                        ; implicit-def: $vgpr18_vgpr19
                                        ; implicit-def: $vgpr20
	s_cbranch_execz .LBB2614_38
; %bb.44:
	s_and_saveexec_b64 s[6:7], s[4:5]
	s_cbranch_execz .LBB2614_46
; %bb.45:
	s_add_i32 s4, s37, 64
	s_mov_b32 s5, 0
	s_lshl_b64 s[4:5], s[4:5], 4
	s_add_u32 s4, s14, s4
	v_cmp_gt_i64_e32 vcc, v[26:27], v[14:15]
	s_addc_u32 s5, s15, s5
	v_cndmask_b32_e32 v15, v15, v27, vcc
	v_cndmask_b32_e32 v14, v14, v26, vcc
	v_mov_b32_e32 v16, 2
	v_mov_b32_e32 v17, 0
	v_pk_mov_b32 v[18:19], s[4:5], s[4:5] op_sel:[0,1]
	;;#ASMSTART
	global_store_dwordx4 v[18:19], v[14:17] off	
s_waitcnt vmcnt(0)
	;;#ASMEND
.LBB2614_46:
	s_or_b64 exec, exec, s[6:7]
	s_and_b64 exec, exec, s[2:3]
	s_cbranch_execz .LBB2614_48
; %bb.47:
	v_mov_b32_e32 v14, 0
	ds_write_b64 v14, v[26:27]
.LBB2614_48:
	s_or_b64 exec, exec, s[34:35]
	v_mov_b32_e32 v14, 0
	s_waitcnt lgkmcnt(0)
	s_barrier
	ds_read_b64 v[14:15], v14
	v_cmp_gt_i64_e32 vcc, v[22:23], v[2:3]
	v_cndmask_b32_e32 v16, v2, v22, vcc
	v_cndmask_b32_e32 v17, v3, v23, vcc
	v_cndmask_b32_e64 v17, v17, v3, s[2:3]
	v_cndmask_b32_e64 v16, v16, v2, s[2:3]
	s_waitcnt lgkmcnt(0)
	v_cmp_gt_i64_e32 vcc, v[14:15], v[16:17]
	v_cndmask_b32_e32 v25, v17, v15, vcc
	v_cndmask_b32_e32 v24, v16, v14, vcc
	v_cmp_gt_i64_e32 vcc, v[24:25], v[4:5]
	v_cndmask_b32_e32 v31, v5, v25, vcc
	v_cndmask_b32_e32 v30, v4, v24, vcc
	;; [unrolled: 3-line block ×7, first 2 shown]
	s_branch .LBB2614_63
.LBB2614_49:
                                        ; implicit-def: $vgpr22_vgpr23
                                        ; implicit-def: $vgpr34_vgpr35
                                        ; implicit-def: $vgpr32_vgpr33
                                        ; implicit-def: $vgpr30_vgpr31
                                        ; implicit-def: $vgpr18_vgpr19_vgpr20_vgpr21
                                        ; implicit-def: $vgpr14_vgpr15_vgpr16_vgpr17
                                        ; implicit-def: $vgpr24_vgpr25_vgpr26_vgpr27
	s_cbranch_execz .LBB2614_63
; %bb.50:
	s_cmp_lg_u64 s[20:21], 0
	s_cselect_b64 s[4:5], -1, 0
	s_and_b64 s[6:7], s[2:3], s[4:5]
	s_and_saveexec_b64 s[4:5], s[6:7]
	s_cbranch_execz .LBB2614_52
; %bb.51:
	v_mov_b32_e32 v14, 0
	global_load_dwordx2 v[14:15], v14, s[16:17]
	s_waitcnt vmcnt(0)
	v_cmp_gt_i64_e32 vcc, v[14:15], v[2:3]
	v_cndmask_b32_e32 v3, v3, v15, vcc
	v_cndmask_b32_e32 v2, v2, v14, vcc
.LBB2614_52:
	s_or_b64 exec, exec, s[4:5]
	v_cmp_gt_i64_e32 vcc, v[2:3], v[4:5]
	v_cndmask_b32_e32 v31, v5, v3, vcc
	v_cndmask_b32_e32 v30, v4, v2, vcc
	v_cmp_gt_i64_e32 vcc, v[30:31], v[10:11]
	v_cndmask_b32_e32 v15, v11, v31, vcc
	v_cndmask_b32_e32 v14, v10, v30, vcc
	;; [unrolled: 3-line block ×6, first 2 shown]
	v_add_lshl_u32 v1, v1, v0, 3
	v_cmp_gt_u32_e32 vcc, 64, v0
	ds_write_b64 v1, v[22:23]
	s_waitcnt lgkmcnt(0)
	s_barrier
	s_and_saveexec_b64 s[6:7], vcc
	s_cbranch_execz .LBB2614_56
; %bb.53:
	v_lshlrev_b32_e32 v1, 1, v0
	v_lshrrev_b32_e32 v16, 4, v0
	v_add_lshl_u32 v1, v16, v1, 3
	ds_read2_b64 v[24:27], v1 offset1:1
	v_mbcnt_lo_u32_b32 v16, -1, 0
	v_mbcnt_hi_u32_b32 v39, -1, v16
	v_and_b32_e32 v40, 15, v39
	v_and_b32_e32 v42, 16, v39
	s_waitcnt lgkmcnt(0)
	v_cmp_gt_i64_e32 vcc, v[24:25], v[26:27]
	v_cndmask_b32_e32 v17, v27, v25, vcc
	v_cndmask_b32_e32 v16, v26, v24, vcc
	v_cmp_ne_u32_e64 s[4:5], 0, v39
	v_mov_b32_dpp v21, v17 row_shr:1 row_mask:0xf bank_mask:0xf
	v_mov_b32_dpp v20, v16 row_shr:1 row_mask:0xf bank_mask:0xf
	v_cmp_gt_i64_e32 vcc, v[20:21], v[16:17]
	v_cndmask_b32_e32 v20, v16, v20, vcc
	v_cndmask_b32_e32 v21, v17, v21, vcc
	v_cmp_eq_u32_e32 vcc, 0, v40
	v_cndmask_b32_e32 v21, v21, v17, vcc
	v_cndmask_b32_e32 v20, v20, v16, vcc
	s_nop 0
	v_mov_b32_dpp v27, v21 row_shr:2 row_mask:0xf bank_mask:0xf
	v_mov_b32_dpp v26, v20 row_shr:2 row_mask:0xf bank_mask:0xf
	v_cmp_gt_i64_e32 vcc, v[26:27], v[20:21]
	v_cndmask_b32_e32 v26, v20, v26, vcc
	v_cndmask_b32_e32 v27, v21, v27, vcc
	v_cmp_lt_u32_e32 vcc, 1, v40
	v_cndmask_b32_e32 v21, v21, v27, vcc
	v_cndmask_b32_e32 v20, v20, v26, vcc
	s_nop 0
	v_mov_b32_dpp v27, v21 row_shr:4 row_mask:0xf bank_mask:0xf
	v_mov_b32_dpp v26, v20 row_shr:4 row_mask:0xf bank_mask:0xf
	v_cmp_gt_i64_e32 vcc, v[26:27], v[20:21]
	v_cndmask_b32_e32 v26, v20, v26, vcc
	v_cndmask_b32_e32 v27, v21, v27, vcc
	v_cmp_lt_u32_e32 vcc, 3, v40
	;; [unrolled: 9-line block ×3, first 2 shown]
	v_cndmask_b32_e32 v21, v21, v27, vcc
	v_cndmask_b32_e32 v20, v20, v26, vcc
	s_nop 0
	v_mov_b32_dpp v27, v21 row_bcast:15 row_mask:0xf bank_mask:0xf
	v_mov_b32_dpp v26, v20 row_bcast:15 row_mask:0xf bank_mask:0xf
	v_cmp_gt_i64_e32 vcc, v[26:27], v[20:21]
	v_cndmask_b32_e32 v40, v21, v27, vcc
	v_cndmask_b32_e32 v41, v20, v26, vcc
	v_cmp_eq_u32_e32 vcc, 0, v42
	v_cndmask_b32_e32 v27, v40, v21, vcc
	v_cndmask_b32_e32 v26, v41, v20, vcc
	s_nop 0
	v_mov_b32_dpp v27, v27 row_bcast:31 row_mask:0xf bank_mask:0xf
	v_mov_b32_dpp v26, v26 row_bcast:31 row_mask:0xf bank_mask:0xf
	s_and_saveexec_b64 s[8:9], s[4:5]
; %bb.54:
	v_cndmask_b32_e32 v17, v40, v21, vcc
	v_cndmask_b32_e32 v16, v41, v20, vcc
	v_cmp_lt_u32_e64 s[4:5], 31, v39
	v_cmp_gt_i64_e32 vcc, v[26:27], v[16:17]
	s_and_b64 vcc, s[4:5], vcc
	v_cndmask_b32_e32 v16, v16, v26, vcc
	v_cndmask_b32_e32 v17, v17, v27, vcc
; %bb.55:
	s_or_b64 exec, exec, s[8:9]
	v_add_u32_e32 v20, -1, v39
	v_and_b32_e32 v21, 64, v39
	v_cmp_lt_i32_e32 vcc, v20, v21
	v_cndmask_b32_e32 v20, v20, v39, vcc
	v_lshlrev_b32_e32 v20, 2, v20
	ds_bpermute_b32 v16, v20, v16
	ds_bpermute_b32 v17, v20, v17
	; wave barrier
	s_waitcnt lgkmcnt(0)
	v_cmp_gt_i64_e32 vcc, v[16:17], v[24:25]
	v_cndmask_b32_e32 v16, v24, v16, vcc
	v_cndmask_b32_e32 v17, v25, v17, vcc
	v_cndmask_b32_e64 v17, v17, v23, s[2:3]
	v_cndmask_b32_e64 v16, v16, v22, s[2:3]
	ds_write_b64 v1, v[16:17]
	; wave barrier
	ds_read_b64 v[20:21], v1 offset:8
	s_waitcnt lgkmcnt(0)
	v_cmp_gt_i64_e32 vcc, v[16:17], v[20:21]
	v_cndmask_b32_e32 v17, v21, v17, vcc
	v_cndmask_b32_e32 v16, v20, v16, vcc
	ds_write_b64 v1, v[16:17] offset:8
.LBB2614_56:
	s_or_b64 exec, exec, s[6:7]
	v_pk_mov_b32 v[16:17], v[22:23], v[22:23] op_sel:[0,1]
	s_waitcnt lgkmcnt(0)
	s_barrier
	s_and_saveexec_b64 s[2:3], s[0:1]
	s_cbranch_execz .LBB2614_58
; %bb.57:
	v_add_u32_e32 v1, -1, v0
	v_lshrrev_b32_e32 v16, 5, v1
	v_add_lshl_u32 v1, v16, v1, 3
	ds_read_b64 v[16:17], v1
.LBB2614_58:
	s_or_b64 exec, exec, s[2:3]
	s_and_saveexec_b64 s[2:3], s[0:1]
	s_cbranch_execz .LBB2614_60
; %bb.59:
	s_waitcnt lgkmcnt(0)
	v_cmp_gt_i64_e32 vcc, v[16:17], v[2:3]
	v_cndmask_b32_e32 v3, v3, v17, vcc
	v_cndmask_b32_e32 v2, v2, v16, vcc
	v_cmp_gt_i64_e32 vcc, v[2:3], v[4:5]
	v_cndmask_b32_e32 v31, v5, v3, vcc
	v_cndmask_b32_e32 v30, v4, v2, vcc
	;; [unrolled: 3-line block ×7, first 2 shown]
	;;#ASMSTART
	;;#ASMEND
.LBB2614_60:
	s_or_b64 exec, exec, s[2:3]
	s_movk_i32 s0, 0x7f
	v_cmp_eq_u32_e32 vcc, s0, v0
	s_and_saveexec_b64 s[0:1], vcc
	s_cbranch_execz .LBB2614_62
; %bb.61:
	s_add_u32 s2, s14, 0x400
	s_addc_u32 s3, s15, 0
	v_mov_b32_e32 v24, 2
	v_mov_b32_e32 v25, 0
	v_pk_mov_b32 v[4:5], s[2:3], s[2:3] op_sel:[0,1]
	;;#ASMSTART
	global_store_dwordx4 v[4:5], v[22:25] off	
s_waitcnt vmcnt(0)
	;;#ASMEND
.LBB2614_62:
	s_or_b64 exec, exec, s[0:1]
	v_pk_mov_b32 v[24:25], v[2:3], v[2:3] op_sel:[0,1]
.LBB2614_63:
	s_add_u32 s0, s28, s26
	s_addc_u32 s1, s29, s27
	s_add_u32 s2, s0, s30
	s_addc_u32 s3, s1, s31
	s_mov_b64 s[0:1], -1
	s_and_b64 vcc, exec, s[24:25]
	s_waitcnt lgkmcnt(0)
	s_barrier
	s_cbranch_vccz .LBB2614_65
; %bb.64:
	v_mul_u32_u24_e32 v1, 56, v0
	ds_write2_b64 v1, v[24:25], v[30:31] offset1:1
	ds_write2_b64 v1, v[14:15], v[32:33] offset0:2 offset1:3
	ds_write2_b64 v1, v[18:19], v[34:35] offset0:4 offset1:5
	ds_write_b64 v1, v[22:23] offset:48
	v_mul_i32_i24_e32 v1, 0xffffffd0, v0
	v_mad_u32_u24 v1, v0, 56, v1
	s_waitcnt lgkmcnt(0)
	s_barrier
	ds_read2st64_b64 v[2:5], v1 offset1:2
	ds_read2st64_b64 v[6:9], v1 offset0:4 offset1:6
	ds_read2st64_b64 v[10:13], v1 offset0:8 offset1:10
	ds_read_b64 v[16:17], v1 offset:6144
	v_mov_b32_e32 v1, s3
	v_add_co_u32_e32 v20, vcc, s2, v36
	v_addc_co_u32_e32 v21, vcc, 0, v1, vcc
	s_waitcnt lgkmcnt(3)
	flat_store_dwordx2 v[20:21], v[2:3]
	flat_store_dwordx2 v[20:21], v[4:5] offset:1024
	s_waitcnt lgkmcnt(0)
	flat_store_dwordx2 v[20:21], v[6:7] offset:2048
	flat_store_dwordx2 v[20:21], v[8:9] offset:3072
	v_add_co_u32_e32 v2, vcc, 0x1000, v20
	v_addc_co_u32_e32 v3, vcc, 0, v21, vcc
	flat_store_dwordx2 v[2:3], v[10:11]
	flat_store_dwordx2 v[2:3], v[12:13] offset:1024
	flat_store_dwordx2 v[2:3], v[16:17] offset:2048
	s_mov_b64 s[0:1], 0
.LBB2614_65:
	s_andn2_b64 vcc, exec, s[0:1]
	s_cbranch_vccnz .LBB2614_104
; %bb.66:
	s_movk_i32 s0, 0xffd0
	ds_write2_b64 v38, v[24:25], v[30:31] offset1:1
	ds_write2_b64 v38, v[14:15], v[32:33] offset0:2 offset1:3
	ds_write2_b64 v38, v[18:19], v[34:35] offset0:4 offset1:5
	ds_write_b64 v38, v[22:23] offset:48
	v_mad_i32_i24 v14, v0, s0, v38
	s_waitcnt lgkmcnt(0)
	s_barrier
	ds_read2st64_b64 v[2:5], v14 offset1:2
	ds_read2st64_b64 v[6:9], v14 offset0:4 offset1:6
	ds_read2st64_b64 v[10:13], v14 offset0:8 offset1:10
	ds_read_b64 v[14:15], v14 offset:6144
	v_mov_b32_e32 v17, s3
	v_add_co_u32_e32 v16, vcc, s2, v36
	v_addc_co_u32_e32 v17, vcc, 0, v17, vcc
	v_mov_b32_e32 v1, 0
	v_cmp_gt_u32_e32 vcc, s33, v0
	s_and_saveexec_b64 s[0:1], vcc
	s_cbranch_execz .LBB2614_68
; %bb.67:
	s_waitcnt lgkmcnt(0)
	flat_store_dwordx2 v[16:17], v[2:3]
.LBB2614_68:
	s_or_b64 exec, exec, s[0:1]
	v_or_b32_e32 v18, 0x80, v0
	v_cmp_gt_u32_e32 vcc, s33, v18
	s_and_saveexec_b64 s[0:1], vcc
	s_cbranch_execz .LBB2614_70
; %bb.69:
	s_waitcnt lgkmcnt(0)
	flat_store_dwordx2 v[16:17], v[4:5] offset:1024
.LBB2614_70:
	s_or_b64 exec, exec, s[0:1]
	v_or_b32_e32 v18, 0x100, v0
	v_cmp_gt_u32_e32 vcc, s33, v18
	s_and_saveexec_b64 s[0:1], vcc
	s_cbranch_execz .LBB2614_72
; %bb.71:
	s_waitcnt lgkmcnt(0)
	flat_store_dwordx2 v[16:17], v[6:7] offset:2048
.LBB2614_72:
	;; [unrolled: 9-line block ×3, first 2 shown]
	s_or_b64 exec, exec, s[0:1]
	v_or_b32_e32 v18, 0x200, v0
	v_cmp_gt_u32_e32 vcc, s33, v18
	s_and_saveexec_b64 s[0:1], vcc
	s_cbranch_execz .LBB2614_76
; %bb.75:
	v_add_co_u32_e32 v18, vcc, 0x1000, v16
	v_addc_co_u32_e32 v19, vcc, 0, v17, vcc
	s_waitcnt lgkmcnt(0)
	flat_store_dwordx2 v[18:19], v[10:11]
.LBB2614_76:
	s_or_b64 exec, exec, s[0:1]
	v_or_b32_e32 v18, 0x280, v0
	v_cmp_gt_u32_e32 vcc, s33, v18
	s_and_saveexec_b64 s[0:1], vcc
	s_cbranch_execz .LBB2614_78
; %bb.77:
	v_add_co_u32_e32 v18, vcc, 0x1000, v16
	v_addc_co_u32_e32 v19, vcc, 0, v17, vcc
	s_waitcnt lgkmcnt(0)
	flat_store_dwordx2 v[18:19], v[12:13] offset:1024
.LBB2614_78:
	s_or_b64 exec, exec, s[0:1]
	v_or_b32_e32 v18, 0x300, v0
	v_cmp_gt_u32_e32 vcc, s33, v18
	s_and_saveexec_b64 s[0:1], vcc
	s_cbranch_execz .LBB2614_80
; %bb.79:
	v_add_co_u32_e32 v16, vcc, 0x1000, v16
	v_addc_co_u32_e32 v17, vcc, 0, v17, vcc
	s_waitcnt lgkmcnt(0)
	flat_store_dwordx2 v[16:17], v[14:15] offset:2048
.LBB2614_80:
	s_or_b64 exec, exec, s[0:1]
	v_cmp_lt_u64_e64 s[0:1], s[22:23], 2
	s_and_b64 vcc, exec, s[0:1]
	s_cbranch_vccnz .LBB2614_104
; %bb.81:
	s_add_u32 s0, s33, -1
	s_addc_u32 s1, s36, -1
	s_add_u32 s2, 0, 0x92481000
	s_addc_u32 s3, 0, 0x64
	s_add_i32 s3, s3, 0x249248c0
	s_mul_hi_u32 s7, s2, -7
	s_sub_i32 s7, s7, s2
	s_mul_i32 s8, s3, -7
	s_mul_i32 s4, s2, -7
	s_add_i32 s7, s7, s8
	s_mul_hi_u32 s5, s3, s4
	s_mul_i32 s6, s3, s4
	s_mul_i32 s9, s2, s7
	s_mul_hi_u32 s4, s2, s4
	s_mul_hi_u32 s8, s2, s7
	s_add_u32 s4, s4, s9
	s_addc_u32 s8, 0, s8
	s_add_u32 s4, s4, s6
	s_mul_hi_u32 s9, s3, s7
	s_addc_u32 s4, s8, s5
	s_addc_u32 s5, s9, 0
	s_mul_i32 s6, s3, s7
	s_add_u32 s4, s4, s6
	v_mov_b32_e32 v16, s4
	s_addc_u32 s5, 0, s5
	v_add_co_u32_e32 v16, vcc, s2, v16
	s_cmp_lg_u64 vcc, 0
	s_addc_u32 s2, s3, s5
	v_readfirstlane_b32 s5, v16
	s_mul_i32 s4, s0, s2
	s_mul_hi_u32 s6, s0, s5
	s_mul_hi_u32 s3, s0, s2
	s_add_u32 s4, s6, s4
	s_addc_u32 s3, 0, s3
	s_mul_hi_u32 s7, s1, s5
	s_mul_i32 s5, s1, s5
	s_add_u32 s4, s4, s5
	s_mul_hi_u32 s6, s1, s2
	s_addc_u32 s3, s3, s7
	s_addc_u32 s4, s6, 0
	s_mul_i32 s2, s1, s2
	s_add_u32 s2, s3, s2
	s_addc_u32 s3, 0, s4
	s_add_u32 s4, s2, 1
	s_addc_u32 s5, s3, 0
	s_add_u32 s6, s2, 2
	s_mul_i32 s8, s3, 7
	s_mul_hi_u32 s9, s2, 7
	s_addc_u32 s7, s3, 0
	s_add_i32 s9, s9, s8
	s_mul_i32 s8, s2, 7
	v_mov_b32_e32 v16, s8
	v_sub_co_u32_e32 v16, vcc, s0, v16
	s_cmp_lg_u64 vcc, 0
	s_subb_u32 s8, s1, s9
	v_subrev_co_u32_e32 v17, vcc, 7, v16
	s_cmp_lg_u64 vcc, 0
	s_subb_u32 s9, s8, 0
	v_readfirstlane_b32 s10, v17
	s_cmp_gt_u32 s10, 6
	s_cselect_b32 s10, -1, 0
	s_cmp_eq_u32 s9, 0
	s_cselect_b32 s9, s10, -1
	s_cmp_lg_u32 s9, 0
	s_cselect_b32 s4, s6, s4
	v_readfirstlane_b32 s6, v16
	s_cselect_b32 s5, s7, s5
	s_cmp_gt_u32 s6, 6
	s_cselect_b32 s6, -1, 0
	s_cmp_eq_u32 s8, 0
	s_cselect_b32 s6, s6, -1
	s_cmp_lg_u32 s6, 0
	s_cselect_b32 s3, s5, s3
	s_cselect_b32 s2, s4, s2
	v_cmp_eq_u64_e32 vcc, s[2:3], v[0:1]
	s_and_saveexec_b64 s[2:3], vcc
	s_cbranch_execz .LBB2614_104
; %bb.82:
	v_mul_hi_u32_u24_e32 v1, 7, v0
	v_mov_b32_e32 v16, s1
	v_sub_co_u32_e32 v0, vcc, s0, v37
	v_subb_co_u32_e32 v1, vcc, v16, v1, vcc
	v_cmp_lt_i64_e32 vcc, 3, v[0:1]
	s_and_saveexec_b64 s[0:1], vcc
	s_xor_b64 s[0:1], exec, s[0:1]
	s_cbranch_execz .LBB2614_92
; %bb.83:
	v_cmp_lt_i64_e32 vcc, 4, v[0:1]
	s_and_saveexec_b64 s[2:3], vcc
	s_xor_b64 s[2:3], exec, s[2:3]
	s_cbranch_execz .LBB2614_89
; %bb.84:
	;; [unrolled: 5-line block ×3, first 2 shown]
	v_mov_b32_e32 v0, 0
	s_waitcnt lgkmcnt(0)
	global_store_dwordx2 v0, v[14:15], s[18:19]
                                        ; implicit-def: $vgpr10_vgpr11_vgpr12_vgpr13
.LBB2614_86:
	s_andn2_saveexec_b64 s[4:5], s[4:5]
	s_cbranch_execz .LBB2614_88
; %bb.87:
	v_mov_b32_e32 v0, 0
	s_waitcnt lgkmcnt(0)
	global_store_dwordx2 v0, v[12:13], s[18:19]
.LBB2614_88:
	s_or_b64 exec, exec, s[4:5]
                                        ; implicit-def: $vgpr10_vgpr11_vgpr12_vgpr13
.LBB2614_89:
	s_andn2_saveexec_b64 s[2:3], s[2:3]
	s_cbranch_execz .LBB2614_91
; %bb.90:
	v_mov_b32_e32 v0, 0
	s_waitcnt lgkmcnt(0)
	global_store_dwordx2 v0, v[10:11], s[18:19]
.LBB2614_91:
	s_or_b64 exec, exec, s[2:3]
                                        ; implicit-def: $vgpr0_vgpr1
                                        ; implicit-def: $vgpr2_vgpr3_vgpr4_vgpr5
                                        ; implicit-def: $vgpr6_vgpr7_vgpr8_vgpr9
.LBB2614_92:
	s_andn2_saveexec_b64 s[0:1], s[0:1]
	s_cbranch_execz .LBB2614_104
; %bb.93:
	v_cmp_lt_i64_e32 vcc, 1, v[0:1]
	s_and_saveexec_b64 s[0:1], vcc
	s_xor_b64 s[0:1], exec, s[0:1]
	s_cbranch_execz .LBB2614_99
; %bb.94:
	v_cmp_lt_i64_e32 vcc, 2, v[0:1]
	s_and_saveexec_b64 s[2:3], vcc
	s_xor_b64 s[2:3], exec, s[2:3]
	s_cbranch_execz .LBB2614_96
; %bb.95:
	v_mov_b32_e32 v0, 0
	s_waitcnt lgkmcnt(0)
	global_store_dwordx2 v0, v[8:9], s[18:19]
                                        ; implicit-def: $vgpr6_vgpr7_vgpr8_vgpr9
.LBB2614_96:
	s_andn2_saveexec_b64 s[2:3], s[2:3]
	s_cbranch_execz .LBB2614_98
; %bb.97:
	v_mov_b32_e32 v0, 0
	s_waitcnt lgkmcnt(0)
	global_store_dwordx2 v0, v[6:7], s[18:19]
.LBB2614_98:
	s_or_b64 exec, exec, s[2:3]
                                        ; implicit-def: $vgpr2_vgpr3_vgpr4_vgpr5
                                        ; implicit-def: $vgpr0_vgpr1
.LBB2614_99:
	s_andn2_saveexec_b64 s[0:1], s[0:1]
	s_cbranch_execz .LBB2614_104
; %bb.100:
	v_cmp_ne_u64_e32 vcc, 1, v[0:1]
	s_and_saveexec_b64 s[0:1], vcc
	s_xor_b64 s[0:1], exec, s[0:1]
	s_cbranch_execz .LBB2614_102
; %bb.101:
	v_mov_b32_e32 v0, 0
	s_waitcnt lgkmcnt(0)
	global_store_dwordx2 v0, v[2:3], s[18:19]
                                        ; implicit-def: $vgpr2_vgpr3_vgpr4_vgpr5
.LBB2614_102:
	s_andn2_saveexec_b64 s[0:1], s[0:1]
	s_cbranch_execz .LBB2614_104
; %bb.103:
	v_mov_b32_e32 v0, 0
	s_waitcnt lgkmcnt(0)
	global_store_dwordx2 v0, v[4:5], s[18:19]
.LBB2614_104:
	s_endpgm
	.section	.rodata,"a",@progbits
	.p2align	6, 0x0
	.amdhsa_kernel _ZN7rocprim17ROCPRIM_400000_NS6detail17trampoline_kernelINS0_14default_configENS1_20scan_config_selectorIxEEZZNS1_9scan_implILNS1_25lookback_scan_determinismE0ELb0ELb0ES3_N6thrust23THRUST_200600_302600_NS6detail15normal_iteratorINS9_10device_ptrIxEEEESE_x11max_functorIxExEEDaPvRmT3_T4_T5_mT6_P12ihipStream_tbENKUlT_T0_E_clISt17integral_constantIbLb0EEST_IbLb1EEEEDaSP_SQ_EUlSP_E_NS1_11comp_targetILNS1_3genE4ELNS1_11target_archE910ELNS1_3gpuE8ELNS1_3repE0EEENS1_30default_config_static_selectorELNS0_4arch9wavefront6targetE1EEEvT1_
		.amdhsa_group_segment_fixed_size 7168
		.amdhsa_private_segment_fixed_size 0
		.amdhsa_kernarg_size 104
		.amdhsa_user_sgpr_count 6
		.amdhsa_user_sgpr_private_segment_buffer 1
		.amdhsa_user_sgpr_dispatch_ptr 0
		.amdhsa_user_sgpr_queue_ptr 0
		.amdhsa_user_sgpr_kernarg_segment_ptr 1
		.amdhsa_user_sgpr_dispatch_id 0
		.amdhsa_user_sgpr_flat_scratch_init 0
		.amdhsa_user_sgpr_kernarg_preload_length 0
		.amdhsa_user_sgpr_kernarg_preload_offset 0
		.amdhsa_user_sgpr_private_segment_size 0
		.amdhsa_uses_dynamic_stack 0
		.amdhsa_system_sgpr_private_segment_wavefront_offset 0
		.amdhsa_system_sgpr_workgroup_id_x 1
		.amdhsa_system_sgpr_workgroup_id_y 0
		.amdhsa_system_sgpr_workgroup_id_z 0
		.amdhsa_system_sgpr_workgroup_info 0
		.amdhsa_system_vgpr_workitem_id 0
		.amdhsa_next_free_vgpr 58
		.amdhsa_next_free_sgpr 38
		.amdhsa_accum_offset 60
		.amdhsa_reserve_vcc 1
		.amdhsa_reserve_flat_scratch 0
		.amdhsa_float_round_mode_32 0
		.amdhsa_float_round_mode_16_64 0
		.amdhsa_float_denorm_mode_32 3
		.amdhsa_float_denorm_mode_16_64 3
		.amdhsa_dx10_clamp 1
		.amdhsa_ieee_mode 1
		.amdhsa_fp16_overflow 0
		.amdhsa_tg_split 0
		.amdhsa_exception_fp_ieee_invalid_op 0
		.amdhsa_exception_fp_denorm_src 0
		.amdhsa_exception_fp_ieee_div_zero 0
		.amdhsa_exception_fp_ieee_overflow 0
		.amdhsa_exception_fp_ieee_underflow 0
		.amdhsa_exception_fp_ieee_inexact 0
		.amdhsa_exception_int_div_zero 0
	.end_amdhsa_kernel
	.section	.text._ZN7rocprim17ROCPRIM_400000_NS6detail17trampoline_kernelINS0_14default_configENS1_20scan_config_selectorIxEEZZNS1_9scan_implILNS1_25lookback_scan_determinismE0ELb0ELb0ES3_N6thrust23THRUST_200600_302600_NS6detail15normal_iteratorINS9_10device_ptrIxEEEESE_x11max_functorIxExEEDaPvRmT3_T4_T5_mT6_P12ihipStream_tbENKUlT_T0_E_clISt17integral_constantIbLb0EEST_IbLb1EEEEDaSP_SQ_EUlSP_E_NS1_11comp_targetILNS1_3genE4ELNS1_11target_archE910ELNS1_3gpuE8ELNS1_3repE0EEENS1_30default_config_static_selectorELNS0_4arch9wavefront6targetE1EEEvT1_,"axG",@progbits,_ZN7rocprim17ROCPRIM_400000_NS6detail17trampoline_kernelINS0_14default_configENS1_20scan_config_selectorIxEEZZNS1_9scan_implILNS1_25lookback_scan_determinismE0ELb0ELb0ES3_N6thrust23THRUST_200600_302600_NS6detail15normal_iteratorINS9_10device_ptrIxEEEESE_x11max_functorIxExEEDaPvRmT3_T4_T5_mT6_P12ihipStream_tbENKUlT_T0_E_clISt17integral_constantIbLb0EEST_IbLb1EEEEDaSP_SQ_EUlSP_E_NS1_11comp_targetILNS1_3genE4ELNS1_11target_archE910ELNS1_3gpuE8ELNS1_3repE0EEENS1_30default_config_static_selectorELNS0_4arch9wavefront6targetE1EEEvT1_,comdat
.Lfunc_end2614:
	.size	_ZN7rocprim17ROCPRIM_400000_NS6detail17trampoline_kernelINS0_14default_configENS1_20scan_config_selectorIxEEZZNS1_9scan_implILNS1_25lookback_scan_determinismE0ELb0ELb0ES3_N6thrust23THRUST_200600_302600_NS6detail15normal_iteratorINS9_10device_ptrIxEEEESE_x11max_functorIxExEEDaPvRmT3_T4_T5_mT6_P12ihipStream_tbENKUlT_T0_E_clISt17integral_constantIbLb0EEST_IbLb1EEEEDaSP_SQ_EUlSP_E_NS1_11comp_targetILNS1_3genE4ELNS1_11target_archE910ELNS1_3gpuE8ELNS1_3repE0EEENS1_30default_config_static_selectorELNS0_4arch9wavefront6targetE1EEEvT1_, .Lfunc_end2614-_ZN7rocprim17ROCPRIM_400000_NS6detail17trampoline_kernelINS0_14default_configENS1_20scan_config_selectorIxEEZZNS1_9scan_implILNS1_25lookback_scan_determinismE0ELb0ELb0ES3_N6thrust23THRUST_200600_302600_NS6detail15normal_iteratorINS9_10device_ptrIxEEEESE_x11max_functorIxExEEDaPvRmT3_T4_T5_mT6_P12ihipStream_tbENKUlT_T0_E_clISt17integral_constantIbLb0EEST_IbLb1EEEEDaSP_SQ_EUlSP_E_NS1_11comp_targetILNS1_3genE4ELNS1_11target_archE910ELNS1_3gpuE8ELNS1_3repE0EEENS1_30default_config_static_selectorELNS0_4arch9wavefront6targetE1EEEvT1_
                                        ; -- End function
	.section	.AMDGPU.csdata,"",@progbits
; Kernel info:
; codeLenInByte = 5864
; NumSgprs: 42
; NumVgprs: 58
; NumAgprs: 0
; TotalNumVgprs: 58
; ScratchSize: 0
; MemoryBound: 0
; FloatMode: 240
; IeeeMode: 1
; LDSByteSize: 7168 bytes/workgroup (compile time only)
; SGPRBlocks: 5
; VGPRBlocks: 7
; NumSGPRsForWavesPerEU: 42
; NumVGPRsForWavesPerEU: 58
; AccumOffset: 60
; Occupancy: 5
; WaveLimiterHint : 1
; COMPUTE_PGM_RSRC2:SCRATCH_EN: 0
; COMPUTE_PGM_RSRC2:USER_SGPR: 6
; COMPUTE_PGM_RSRC2:TRAP_HANDLER: 0
; COMPUTE_PGM_RSRC2:TGID_X_EN: 1
; COMPUTE_PGM_RSRC2:TGID_Y_EN: 0
; COMPUTE_PGM_RSRC2:TGID_Z_EN: 0
; COMPUTE_PGM_RSRC2:TIDIG_COMP_CNT: 0
; COMPUTE_PGM_RSRC3_GFX90A:ACCUM_OFFSET: 14
; COMPUTE_PGM_RSRC3_GFX90A:TG_SPLIT: 0
	.section	.text._ZN7rocprim17ROCPRIM_400000_NS6detail17trampoline_kernelINS0_14default_configENS1_20scan_config_selectorIxEEZZNS1_9scan_implILNS1_25lookback_scan_determinismE0ELb0ELb0ES3_N6thrust23THRUST_200600_302600_NS6detail15normal_iteratorINS9_10device_ptrIxEEEESE_x11max_functorIxExEEDaPvRmT3_T4_T5_mT6_P12ihipStream_tbENKUlT_T0_E_clISt17integral_constantIbLb0EEST_IbLb1EEEEDaSP_SQ_EUlSP_E_NS1_11comp_targetILNS1_3genE3ELNS1_11target_archE908ELNS1_3gpuE7ELNS1_3repE0EEENS1_30default_config_static_selectorELNS0_4arch9wavefront6targetE1EEEvT1_,"axG",@progbits,_ZN7rocprim17ROCPRIM_400000_NS6detail17trampoline_kernelINS0_14default_configENS1_20scan_config_selectorIxEEZZNS1_9scan_implILNS1_25lookback_scan_determinismE0ELb0ELb0ES3_N6thrust23THRUST_200600_302600_NS6detail15normal_iteratorINS9_10device_ptrIxEEEESE_x11max_functorIxExEEDaPvRmT3_T4_T5_mT6_P12ihipStream_tbENKUlT_T0_E_clISt17integral_constantIbLb0EEST_IbLb1EEEEDaSP_SQ_EUlSP_E_NS1_11comp_targetILNS1_3genE3ELNS1_11target_archE908ELNS1_3gpuE7ELNS1_3repE0EEENS1_30default_config_static_selectorELNS0_4arch9wavefront6targetE1EEEvT1_,comdat
	.protected	_ZN7rocprim17ROCPRIM_400000_NS6detail17trampoline_kernelINS0_14default_configENS1_20scan_config_selectorIxEEZZNS1_9scan_implILNS1_25lookback_scan_determinismE0ELb0ELb0ES3_N6thrust23THRUST_200600_302600_NS6detail15normal_iteratorINS9_10device_ptrIxEEEESE_x11max_functorIxExEEDaPvRmT3_T4_T5_mT6_P12ihipStream_tbENKUlT_T0_E_clISt17integral_constantIbLb0EEST_IbLb1EEEEDaSP_SQ_EUlSP_E_NS1_11comp_targetILNS1_3genE3ELNS1_11target_archE908ELNS1_3gpuE7ELNS1_3repE0EEENS1_30default_config_static_selectorELNS0_4arch9wavefront6targetE1EEEvT1_ ; -- Begin function _ZN7rocprim17ROCPRIM_400000_NS6detail17trampoline_kernelINS0_14default_configENS1_20scan_config_selectorIxEEZZNS1_9scan_implILNS1_25lookback_scan_determinismE0ELb0ELb0ES3_N6thrust23THRUST_200600_302600_NS6detail15normal_iteratorINS9_10device_ptrIxEEEESE_x11max_functorIxExEEDaPvRmT3_T4_T5_mT6_P12ihipStream_tbENKUlT_T0_E_clISt17integral_constantIbLb0EEST_IbLb1EEEEDaSP_SQ_EUlSP_E_NS1_11comp_targetILNS1_3genE3ELNS1_11target_archE908ELNS1_3gpuE7ELNS1_3repE0EEENS1_30default_config_static_selectorELNS0_4arch9wavefront6targetE1EEEvT1_
	.globl	_ZN7rocprim17ROCPRIM_400000_NS6detail17trampoline_kernelINS0_14default_configENS1_20scan_config_selectorIxEEZZNS1_9scan_implILNS1_25lookback_scan_determinismE0ELb0ELb0ES3_N6thrust23THRUST_200600_302600_NS6detail15normal_iteratorINS9_10device_ptrIxEEEESE_x11max_functorIxExEEDaPvRmT3_T4_T5_mT6_P12ihipStream_tbENKUlT_T0_E_clISt17integral_constantIbLb0EEST_IbLb1EEEEDaSP_SQ_EUlSP_E_NS1_11comp_targetILNS1_3genE3ELNS1_11target_archE908ELNS1_3gpuE7ELNS1_3repE0EEENS1_30default_config_static_selectorELNS0_4arch9wavefront6targetE1EEEvT1_
	.p2align	8
	.type	_ZN7rocprim17ROCPRIM_400000_NS6detail17trampoline_kernelINS0_14default_configENS1_20scan_config_selectorIxEEZZNS1_9scan_implILNS1_25lookback_scan_determinismE0ELb0ELb0ES3_N6thrust23THRUST_200600_302600_NS6detail15normal_iteratorINS9_10device_ptrIxEEEESE_x11max_functorIxExEEDaPvRmT3_T4_T5_mT6_P12ihipStream_tbENKUlT_T0_E_clISt17integral_constantIbLb0EEST_IbLb1EEEEDaSP_SQ_EUlSP_E_NS1_11comp_targetILNS1_3genE3ELNS1_11target_archE908ELNS1_3gpuE7ELNS1_3repE0EEENS1_30default_config_static_selectorELNS0_4arch9wavefront6targetE1EEEvT1_,@function
_ZN7rocprim17ROCPRIM_400000_NS6detail17trampoline_kernelINS0_14default_configENS1_20scan_config_selectorIxEEZZNS1_9scan_implILNS1_25lookback_scan_determinismE0ELb0ELb0ES3_N6thrust23THRUST_200600_302600_NS6detail15normal_iteratorINS9_10device_ptrIxEEEESE_x11max_functorIxExEEDaPvRmT3_T4_T5_mT6_P12ihipStream_tbENKUlT_T0_E_clISt17integral_constantIbLb0EEST_IbLb1EEEEDaSP_SQ_EUlSP_E_NS1_11comp_targetILNS1_3genE3ELNS1_11target_archE908ELNS1_3gpuE7ELNS1_3repE0EEENS1_30default_config_static_selectorELNS0_4arch9wavefront6targetE1EEEvT1_: ; @_ZN7rocprim17ROCPRIM_400000_NS6detail17trampoline_kernelINS0_14default_configENS1_20scan_config_selectorIxEEZZNS1_9scan_implILNS1_25lookback_scan_determinismE0ELb0ELb0ES3_N6thrust23THRUST_200600_302600_NS6detail15normal_iteratorINS9_10device_ptrIxEEEESE_x11max_functorIxExEEDaPvRmT3_T4_T5_mT6_P12ihipStream_tbENKUlT_T0_E_clISt17integral_constantIbLb0EEST_IbLb1EEEEDaSP_SQ_EUlSP_E_NS1_11comp_targetILNS1_3genE3ELNS1_11target_archE908ELNS1_3gpuE7ELNS1_3repE0EEENS1_30default_config_static_selectorELNS0_4arch9wavefront6targetE1EEEvT1_
; %bb.0:
	.section	.rodata,"a",@progbits
	.p2align	6, 0x0
	.amdhsa_kernel _ZN7rocprim17ROCPRIM_400000_NS6detail17trampoline_kernelINS0_14default_configENS1_20scan_config_selectorIxEEZZNS1_9scan_implILNS1_25lookback_scan_determinismE0ELb0ELb0ES3_N6thrust23THRUST_200600_302600_NS6detail15normal_iteratorINS9_10device_ptrIxEEEESE_x11max_functorIxExEEDaPvRmT3_T4_T5_mT6_P12ihipStream_tbENKUlT_T0_E_clISt17integral_constantIbLb0EEST_IbLb1EEEEDaSP_SQ_EUlSP_E_NS1_11comp_targetILNS1_3genE3ELNS1_11target_archE908ELNS1_3gpuE7ELNS1_3repE0EEENS1_30default_config_static_selectorELNS0_4arch9wavefront6targetE1EEEvT1_
		.amdhsa_group_segment_fixed_size 0
		.amdhsa_private_segment_fixed_size 0
		.amdhsa_kernarg_size 104
		.amdhsa_user_sgpr_count 6
		.amdhsa_user_sgpr_private_segment_buffer 1
		.amdhsa_user_sgpr_dispatch_ptr 0
		.amdhsa_user_sgpr_queue_ptr 0
		.amdhsa_user_sgpr_kernarg_segment_ptr 1
		.amdhsa_user_sgpr_dispatch_id 0
		.amdhsa_user_sgpr_flat_scratch_init 0
		.amdhsa_user_sgpr_kernarg_preload_length 0
		.amdhsa_user_sgpr_kernarg_preload_offset 0
		.amdhsa_user_sgpr_private_segment_size 0
		.amdhsa_uses_dynamic_stack 0
		.amdhsa_system_sgpr_private_segment_wavefront_offset 0
		.amdhsa_system_sgpr_workgroup_id_x 1
		.amdhsa_system_sgpr_workgroup_id_y 0
		.amdhsa_system_sgpr_workgroup_id_z 0
		.amdhsa_system_sgpr_workgroup_info 0
		.amdhsa_system_vgpr_workitem_id 0
		.amdhsa_next_free_vgpr 1
		.amdhsa_next_free_sgpr 0
		.amdhsa_accum_offset 4
		.amdhsa_reserve_vcc 0
		.amdhsa_reserve_flat_scratch 0
		.amdhsa_float_round_mode_32 0
		.amdhsa_float_round_mode_16_64 0
		.amdhsa_float_denorm_mode_32 3
		.amdhsa_float_denorm_mode_16_64 3
		.amdhsa_dx10_clamp 1
		.amdhsa_ieee_mode 1
		.amdhsa_fp16_overflow 0
		.amdhsa_tg_split 0
		.amdhsa_exception_fp_ieee_invalid_op 0
		.amdhsa_exception_fp_denorm_src 0
		.amdhsa_exception_fp_ieee_div_zero 0
		.amdhsa_exception_fp_ieee_overflow 0
		.amdhsa_exception_fp_ieee_underflow 0
		.amdhsa_exception_fp_ieee_inexact 0
		.amdhsa_exception_int_div_zero 0
	.end_amdhsa_kernel
	.section	.text._ZN7rocprim17ROCPRIM_400000_NS6detail17trampoline_kernelINS0_14default_configENS1_20scan_config_selectorIxEEZZNS1_9scan_implILNS1_25lookback_scan_determinismE0ELb0ELb0ES3_N6thrust23THRUST_200600_302600_NS6detail15normal_iteratorINS9_10device_ptrIxEEEESE_x11max_functorIxExEEDaPvRmT3_T4_T5_mT6_P12ihipStream_tbENKUlT_T0_E_clISt17integral_constantIbLb0EEST_IbLb1EEEEDaSP_SQ_EUlSP_E_NS1_11comp_targetILNS1_3genE3ELNS1_11target_archE908ELNS1_3gpuE7ELNS1_3repE0EEENS1_30default_config_static_selectorELNS0_4arch9wavefront6targetE1EEEvT1_,"axG",@progbits,_ZN7rocprim17ROCPRIM_400000_NS6detail17trampoline_kernelINS0_14default_configENS1_20scan_config_selectorIxEEZZNS1_9scan_implILNS1_25lookback_scan_determinismE0ELb0ELb0ES3_N6thrust23THRUST_200600_302600_NS6detail15normal_iteratorINS9_10device_ptrIxEEEESE_x11max_functorIxExEEDaPvRmT3_T4_T5_mT6_P12ihipStream_tbENKUlT_T0_E_clISt17integral_constantIbLb0EEST_IbLb1EEEEDaSP_SQ_EUlSP_E_NS1_11comp_targetILNS1_3genE3ELNS1_11target_archE908ELNS1_3gpuE7ELNS1_3repE0EEENS1_30default_config_static_selectorELNS0_4arch9wavefront6targetE1EEEvT1_,comdat
.Lfunc_end2615:
	.size	_ZN7rocprim17ROCPRIM_400000_NS6detail17trampoline_kernelINS0_14default_configENS1_20scan_config_selectorIxEEZZNS1_9scan_implILNS1_25lookback_scan_determinismE0ELb0ELb0ES3_N6thrust23THRUST_200600_302600_NS6detail15normal_iteratorINS9_10device_ptrIxEEEESE_x11max_functorIxExEEDaPvRmT3_T4_T5_mT6_P12ihipStream_tbENKUlT_T0_E_clISt17integral_constantIbLb0EEST_IbLb1EEEEDaSP_SQ_EUlSP_E_NS1_11comp_targetILNS1_3genE3ELNS1_11target_archE908ELNS1_3gpuE7ELNS1_3repE0EEENS1_30default_config_static_selectorELNS0_4arch9wavefront6targetE1EEEvT1_, .Lfunc_end2615-_ZN7rocprim17ROCPRIM_400000_NS6detail17trampoline_kernelINS0_14default_configENS1_20scan_config_selectorIxEEZZNS1_9scan_implILNS1_25lookback_scan_determinismE0ELb0ELb0ES3_N6thrust23THRUST_200600_302600_NS6detail15normal_iteratorINS9_10device_ptrIxEEEESE_x11max_functorIxExEEDaPvRmT3_T4_T5_mT6_P12ihipStream_tbENKUlT_T0_E_clISt17integral_constantIbLb0EEST_IbLb1EEEEDaSP_SQ_EUlSP_E_NS1_11comp_targetILNS1_3genE3ELNS1_11target_archE908ELNS1_3gpuE7ELNS1_3repE0EEENS1_30default_config_static_selectorELNS0_4arch9wavefront6targetE1EEEvT1_
                                        ; -- End function
	.section	.AMDGPU.csdata,"",@progbits
; Kernel info:
; codeLenInByte = 0
; NumSgprs: 4
; NumVgprs: 0
; NumAgprs: 0
; TotalNumVgprs: 0
; ScratchSize: 0
; MemoryBound: 0
; FloatMode: 240
; IeeeMode: 1
; LDSByteSize: 0 bytes/workgroup (compile time only)
; SGPRBlocks: 0
; VGPRBlocks: 0
; NumSGPRsForWavesPerEU: 4
; NumVGPRsForWavesPerEU: 1
; AccumOffset: 4
; Occupancy: 8
; WaveLimiterHint : 0
; COMPUTE_PGM_RSRC2:SCRATCH_EN: 0
; COMPUTE_PGM_RSRC2:USER_SGPR: 6
; COMPUTE_PGM_RSRC2:TRAP_HANDLER: 0
; COMPUTE_PGM_RSRC2:TGID_X_EN: 1
; COMPUTE_PGM_RSRC2:TGID_Y_EN: 0
; COMPUTE_PGM_RSRC2:TGID_Z_EN: 0
; COMPUTE_PGM_RSRC2:TIDIG_COMP_CNT: 0
; COMPUTE_PGM_RSRC3_GFX90A:ACCUM_OFFSET: 0
; COMPUTE_PGM_RSRC3_GFX90A:TG_SPLIT: 0
	.section	.text._ZN7rocprim17ROCPRIM_400000_NS6detail17trampoline_kernelINS0_14default_configENS1_20scan_config_selectorIxEEZZNS1_9scan_implILNS1_25lookback_scan_determinismE0ELb0ELb0ES3_N6thrust23THRUST_200600_302600_NS6detail15normal_iteratorINS9_10device_ptrIxEEEESE_x11max_functorIxExEEDaPvRmT3_T4_T5_mT6_P12ihipStream_tbENKUlT_T0_E_clISt17integral_constantIbLb0EEST_IbLb1EEEEDaSP_SQ_EUlSP_E_NS1_11comp_targetILNS1_3genE2ELNS1_11target_archE906ELNS1_3gpuE6ELNS1_3repE0EEENS1_30default_config_static_selectorELNS0_4arch9wavefront6targetE1EEEvT1_,"axG",@progbits,_ZN7rocprim17ROCPRIM_400000_NS6detail17trampoline_kernelINS0_14default_configENS1_20scan_config_selectorIxEEZZNS1_9scan_implILNS1_25lookback_scan_determinismE0ELb0ELb0ES3_N6thrust23THRUST_200600_302600_NS6detail15normal_iteratorINS9_10device_ptrIxEEEESE_x11max_functorIxExEEDaPvRmT3_T4_T5_mT6_P12ihipStream_tbENKUlT_T0_E_clISt17integral_constantIbLb0EEST_IbLb1EEEEDaSP_SQ_EUlSP_E_NS1_11comp_targetILNS1_3genE2ELNS1_11target_archE906ELNS1_3gpuE6ELNS1_3repE0EEENS1_30default_config_static_selectorELNS0_4arch9wavefront6targetE1EEEvT1_,comdat
	.protected	_ZN7rocprim17ROCPRIM_400000_NS6detail17trampoline_kernelINS0_14default_configENS1_20scan_config_selectorIxEEZZNS1_9scan_implILNS1_25lookback_scan_determinismE0ELb0ELb0ES3_N6thrust23THRUST_200600_302600_NS6detail15normal_iteratorINS9_10device_ptrIxEEEESE_x11max_functorIxExEEDaPvRmT3_T4_T5_mT6_P12ihipStream_tbENKUlT_T0_E_clISt17integral_constantIbLb0EEST_IbLb1EEEEDaSP_SQ_EUlSP_E_NS1_11comp_targetILNS1_3genE2ELNS1_11target_archE906ELNS1_3gpuE6ELNS1_3repE0EEENS1_30default_config_static_selectorELNS0_4arch9wavefront6targetE1EEEvT1_ ; -- Begin function _ZN7rocprim17ROCPRIM_400000_NS6detail17trampoline_kernelINS0_14default_configENS1_20scan_config_selectorIxEEZZNS1_9scan_implILNS1_25lookback_scan_determinismE0ELb0ELb0ES3_N6thrust23THRUST_200600_302600_NS6detail15normal_iteratorINS9_10device_ptrIxEEEESE_x11max_functorIxExEEDaPvRmT3_T4_T5_mT6_P12ihipStream_tbENKUlT_T0_E_clISt17integral_constantIbLb0EEST_IbLb1EEEEDaSP_SQ_EUlSP_E_NS1_11comp_targetILNS1_3genE2ELNS1_11target_archE906ELNS1_3gpuE6ELNS1_3repE0EEENS1_30default_config_static_selectorELNS0_4arch9wavefront6targetE1EEEvT1_
	.globl	_ZN7rocprim17ROCPRIM_400000_NS6detail17trampoline_kernelINS0_14default_configENS1_20scan_config_selectorIxEEZZNS1_9scan_implILNS1_25lookback_scan_determinismE0ELb0ELb0ES3_N6thrust23THRUST_200600_302600_NS6detail15normal_iteratorINS9_10device_ptrIxEEEESE_x11max_functorIxExEEDaPvRmT3_T4_T5_mT6_P12ihipStream_tbENKUlT_T0_E_clISt17integral_constantIbLb0EEST_IbLb1EEEEDaSP_SQ_EUlSP_E_NS1_11comp_targetILNS1_3genE2ELNS1_11target_archE906ELNS1_3gpuE6ELNS1_3repE0EEENS1_30default_config_static_selectorELNS0_4arch9wavefront6targetE1EEEvT1_
	.p2align	8
	.type	_ZN7rocprim17ROCPRIM_400000_NS6detail17trampoline_kernelINS0_14default_configENS1_20scan_config_selectorIxEEZZNS1_9scan_implILNS1_25lookback_scan_determinismE0ELb0ELb0ES3_N6thrust23THRUST_200600_302600_NS6detail15normal_iteratorINS9_10device_ptrIxEEEESE_x11max_functorIxExEEDaPvRmT3_T4_T5_mT6_P12ihipStream_tbENKUlT_T0_E_clISt17integral_constantIbLb0EEST_IbLb1EEEEDaSP_SQ_EUlSP_E_NS1_11comp_targetILNS1_3genE2ELNS1_11target_archE906ELNS1_3gpuE6ELNS1_3repE0EEENS1_30default_config_static_selectorELNS0_4arch9wavefront6targetE1EEEvT1_,@function
_ZN7rocprim17ROCPRIM_400000_NS6detail17trampoline_kernelINS0_14default_configENS1_20scan_config_selectorIxEEZZNS1_9scan_implILNS1_25lookback_scan_determinismE0ELb0ELb0ES3_N6thrust23THRUST_200600_302600_NS6detail15normal_iteratorINS9_10device_ptrIxEEEESE_x11max_functorIxExEEDaPvRmT3_T4_T5_mT6_P12ihipStream_tbENKUlT_T0_E_clISt17integral_constantIbLb0EEST_IbLb1EEEEDaSP_SQ_EUlSP_E_NS1_11comp_targetILNS1_3genE2ELNS1_11target_archE906ELNS1_3gpuE6ELNS1_3repE0EEENS1_30default_config_static_selectorELNS0_4arch9wavefront6targetE1EEEvT1_: ; @_ZN7rocprim17ROCPRIM_400000_NS6detail17trampoline_kernelINS0_14default_configENS1_20scan_config_selectorIxEEZZNS1_9scan_implILNS1_25lookback_scan_determinismE0ELb0ELb0ES3_N6thrust23THRUST_200600_302600_NS6detail15normal_iteratorINS9_10device_ptrIxEEEESE_x11max_functorIxExEEDaPvRmT3_T4_T5_mT6_P12ihipStream_tbENKUlT_T0_E_clISt17integral_constantIbLb0EEST_IbLb1EEEEDaSP_SQ_EUlSP_E_NS1_11comp_targetILNS1_3genE2ELNS1_11target_archE906ELNS1_3gpuE6ELNS1_3repE0EEENS1_30default_config_static_selectorELNS0_4arch9wavefront6targetE1EEEvT1_
; %bb.0:
	.section	.rodata,"a",@progbits
	.p2align	6, 0x0
	.amdhsa_kernel _ZN7rocprim17ROCPRIM_400000_NS6detail17trampoline_kernelINS0_14default_configENS1_20scan_config_selectorIxEEZZNS1_9scan_implILNS1_25lookback_scan_determinismE0ELb0ELb0ES3_N6thrust23THRUST_200600_302600_NS6detail15normal_iteratorINS9_10device_ptrIxEEEESE_x11max_functorIxExEEDaPvRmT3_T4_T5_mT6_P12ihipStream_tbENKUlT_T0_E_clISt17integral_constantIbLb0EEST_IbLb1EEEEDaSP_SQ_EUlSP_E_NS1_11comp_targetILNS1_3genE2ELNS1_11target_archE906ELNS1_3gpuE6ELNS1_3repE0EEENS1_30default_config_static_selectorELNS0_4arch9wavefront6targetE1EEEvT1_
		.amdhsa_group_segment_fixed_size 0
		.amdhsa_private_segment_fixed_size 0
		.amdhsa_kernarg_size 104
		.amdhsa_user_sgpr_count 6
		.amdhsa_user_sgpr_private_segment_buffer 1
		.amdhsa_user_sgpr_dispatch_ptr 0
		.amdhsa_user_sgpr_queue_ptr 0
		.amdhsa_user_sgpr_kernarg_segment_ptr 1
		.amdhsa_user_sgpr_dispatch_id 0
		.amdhsa_user_sgpr_flat_scratch_init 0
		.amdhsa_user_sgpr_kernarg_preload_length 0
		.amdhsa_user_sgpr_kernarg_preload_offset 0
		.amdhsa_user_sgpr_private_segment_size 0
		.amdhsa_uses_dynamic_stack 0
		.amdhsa_system_sgpr_private_segment_wavefront_offset 0
		.amdhsa_system_sgpr_workgroup_id_x 1
		.amdhsa_system_sgpr_workgroup_id_y 0
		.amdhsa_system_sgpr_workgroup_id_z 0
		.amdhsa_system_sgpr_workgroup_info 0
		.amdhsa_system_vgpr_workitem_id 0
		.amdhsa_next_free_vgpr 1
		.amdhsa_next_free_sgpr 0
		.amdhsa_accum_offset 4
		.amdhsa_reserve_vcc 0
		.amdhsa_reserve_flat_scratch 0
		.amdhsa_float_round_mode_32 0
		.amdhsa_float_round_mode_16_64 0
		.amdhsa_float_denorm_mode_32 3
		.amdhsa_float_denorm_mode_16_64 3
		.amdhsa_dx10_clamp 1
		.amdhsa_ieee_mode 1
		.amdhsa_fp16_overflow 0
		.amdhsa_tg_split 0
		.amdhsa_exception_fp_ieee_invalid_op 0
		.amdhsa_exception_fp_denorm_src 0
		.amdhsa_exception_fp_ieee_div_zero 0
		.amdhsa_exception_fp_ieee_overflow 0
		.amdhsa_exception_fp_ieee_underflow 0
		.amdhsa_exception_fp_ieee_inexact 0
		.amdhsa_exception_int_div_zero 0
	.end_amdhsa_kernel
	.section	.text._ZN7rocprim17ROCPRIM_400000_NS6detail17trampoline_kernelINS0_14default_configENS1_20scan_config_selectorIxEEZZNS1_9scan_implILNS1_25lookback_scan_determinismE0ELb0ELb0ES3_N6thrust23THRUST_200600_302600_NS6detail15normal_iteratorINS9_10device_ptrIxEEEESE_x11max_functorIxExEEDaPvRmT3_T4_T5_mT6_P12ihipStream_tbENKUlT_T0_E_clISt17integral_constantIbLb0EEST_IbLb1EEEEDaSP_SQ_EUlSP_E_NS1_11comp_targetILNS1_3genE2ELNS1_11target_archE906ELNS1_3gpuE6ELNS1_3repE0EEENS1_30default_config_static_selectorELNS0_4arch9wavefront6targetE1EEEvT1_,"axG",@progbits,_ZN7rocprim17ROCPRIM_400000_NS6detail17trampoline_kernelINS0_14default_configENS1_20scan_config_selectorIxEEZZNS1_9scan_implILNS1_25lookback_scan_determinismE0ELb0ELb0ES3_N6thrust23THRUST_200600_302600_NS6detail15normal_iteratorINS9_10device_ptrIxEEEESE_x11max_functorIxExEEDaPvRmT3_T4_T5_mT6_P12ihipStream_tbENKUlT_T0_E_clISt17integral_constantIbLb0EEST_IbLb1EEEEDaSP_SQ_EUlSP_E_NS1_11comp_targetILNS1_3genE2ELNS1_11target_archE906ELNS1_3gpuE6ELNS1_3repE0EEENS1_30default_config_static_selectorELNS0_4arch9wavefront6targetE1EEEvT1_,comdat
.Lfunc_end2616:
	.size	_ZN7rocprim17ROCPRIM_400000_NS6detail17trampoline_kernelINS0_14default_configENS1_20scan_config_selectorIxEEZZNS1_9scan_implILNS1_25lookback_scan_determinismE0ELb0ELb0ES3_N6thrust23THRUST_200600_302600_NS6detail15normal_iteratorINS9_10device_ptrIxEEEESE_x11max_functorIxExEEDaPvRmT3_T4_T5_mT6_P12ihipStream_tbENKUlT_T0_E_clISt17integral_constantIbLb0EEST_IbLb1EEEEDaSP_SQ_EUlSP_E_NS1_11comp_targetILNS1_3genE2ELNS1_11target_archE906ELNS1_3gpuE6ELNS1_3repE0EEENS1_30default_config_static_selectorELNS0_4arch9wavefront6targetE1EEEvT1_, .Lfunc_end2616-_ZN7rocprim17ROCPRIM_400000_NS6detail17trampoline_kernelINS0_14default_configENS1_20scan_config_selectorIxEEZZNS1_9scan_implILNS1_25lookback_scan_determinismE0ELb0ELb0ES3_N6thrust23THRUST_200600_302600_NS6detail15normal_iteratorINS9_10device_ptrIxEEEESE_x11max_functorIxExEEDaPvRmT3_T4_T5_mT6_P12ihipStream_tbENKUlT_T0_E_clISt17integral_constantIbLb0EEST_IbLb1EEEEDaSP_SQ_EUlSP_E_NS1_11comp_targetILNS1_3genE2ELNS1_11target_archE906ELNS1_3gpuE6ELNS1_3repE0EEENS1_30default_config_static_selectorELNS0_4arch9wavefront6targetE1EEEvT1_
                                        ; -- End function
	.section	.AMDGPU.csdata,"",@progbits
; Kernel info:
; codeLenInByte = 0
; NumSgprs: 4
; NumVgprs: 0
; NumAgprs: 0
; TotalNumVgprs: 0
; ScratchSize: 0
; MemoryBound: 0
; FloatMode: 240
; IeeeMode: 1
; LDSByteSize: 0 bytes/workgroup (compile time only)
; SGPRBlocks: 0
; VGPRBlocks: 0
; NumSGPRsForWavesPerEU: 4
; NumVGPRsForWavesPerEU: 1
; AccumOffset: 4
; Occupancy: 8
; WaveLimiterHint : 0
; COMPUTE_PGM_RSRC2:SCRATCH_EN: 0
; COMPUTE_PGM_RSRC2:USER_SGPR: 6
; COMPUTE_PGM_RSRC2:TRAP_HANDLER: 0
; COMPUTE_PGM_RSRC2:TGID_X_EN: 1
; COMPUTE_PGM_RSRC2:TGID_Y_EN: 0
; COMPUTE_PGM_RSRC2:TGID_Z_EN: 0
; COMPUTE_PGM_RSRC2:TIDIG_COMP_CNT: 0
; COMPUTE_PGM_RSRC3_GFX90A:ACCUM_OFFSET: 0
; COMPUTE_PGM_RSRC3_GFX90A:TG_SPLIT: 0
	.section	.text._ZN7rocprim17ROCPRIM_400000_NS6detail17trampoline_kernelINS0_14default_configENS1_20scan_config_selectorIxEEZZNS1_9scan_implILNS1_25lookback_scan_determinismE0ELb0ELb0ES3_N6thrust23THRUST_200600_302600_NS6detail15normal_iteratorINS9_10device_ptrIxEEEESE_x11max_functorIxExEEDaPvRmT3_T4_T5_mT6_P12ihipStream_tbENKUlT_T0_E_clISt17integral_constantIbLb0EEST_IbLb1EEEEDaSP_SQ_EUlSP_E_NS1_11comp_targetILNS1_3genE10ELNS1_11target_archE1201ELNS1_3gpuE5ELNS1_3repE0EEENS1_30default_config_static_selectorELNS0_4arch9wavefront6targetE1EEEvT1_,"axG",@progbits,_ZN7rocprim17ROCPRIM_400000_NS6detail17trampoline_kernelINS0_14default_configENS1_20scan_config_selectorIxEEZZNS1_9scan_implILNS1_25lookback_scan_determinismE0ELb0ELb0ES3_N6thrust23THRUST_200600_302600_NS6detail15normal_iteratorINS9_10device_ptrIxEEEESE_x11max_functorIxExEEDaPvRmT3_T4_T5_mT6_P12ihipStream_tbENKUlT_T0_E_clISt17integral_constantIbLb0EEST_IbLb1EEEEDaSP_SQ_EUlSP_E_NS1_11comp_targetILNS1_3genE10ELNS1_11target_archE1201ELNS1_3gpuE5ELNS1_3repE0EEENS1_30default_config_static_selectorELNS0_4arch9wavefront6targetE1EEEvT1_,comdat
	.protected	_ZN7rocprim17ROCPRIM_400000_NS6detail17trampoline_kernelINS0_14default_configENS1_20scan_config_selectorIxEEZZNS1_9scan_implILNS1_25lookback_scan_determinismE0ELb0ELb0ES3_N6thrust23THRUST_200600_302600_NS6detail15normal_iteratorINS9_10device_ptrIxEEEESE_x11max_functorIxExEEDaPvRmT3_T4_T5_mT6_P12ihipStream_tbENKUlT_T0_E_clISt17integral_constantIbLb0EEST_IbLb1EEEEDaSP_SQ_EUlSP_E_NS1_11comp_targetILNS1_3genE10ELNS1_11target_archE1201ELNS1_3gpuE5ELNS1_3repE0EEENS1_30default_config_static_selectorELNS0_4arch9wavefront6targetE1EEEvT1_ ; -- Begin function _ZN7rocprim17ROCPRIM_400000_NS6detail17trampoline_kernelINS0_14default_configENS1_20scan_config_selectorIxEEZZNS1_9scan_implILNS1_25lookback_scan_determinismE0ELb0ELb0ES3_N6thrust23THRUST_200600_302600_NS6detail15normal_iteratorINS9_10device_ptrIxEEEESE_x11max_functorIxExEEDaPvRmT3_T4_T5_mT6_P12ihipStream_tbENKUlT_T0_E_clISt17integral_constantIbLb0EEST_IbLb1EEEEDaSP_SQ_EUlSP_E_NS1_11comp_targetILNS1_3genE10ELNS1_11target_archE1201ELNS1_3gpuE5ELNS1_3repE0EEENS1_30default_config_static_selectorELNS0_4arch9wavefront6targetE1EEEvT1_
	.globl	_ZN7rocprim17ROCPRIM_400000_NS6detail17trampoline_kernelINS0_14default_configENS1_20scan_config_selectorIxEEZZNS1_9scan_implILNS1_25lookback_scan_determinismE0ELb0ELb0ES3_N6thrust23THRUST_200600_302600_NS6detail15normal_iteratorINS9_10device_ptrIxEEEESE_x11max_functorIxExEEDaPvRmT3_T4_T5_mT6_P12ihipStream_tbENKUlT_T0_E_clISt17integral_constantIbLb0EEST_IbLb1EEEEDaSP_SQ_EUlSP_E_NS1_11comp_targetILNS1_3genE10ELNS1_11target_archE1201ELNS1_3gpuE5ELNS1_3repE0EEENS1_30default_config_static_selectorELNS0_4arch9wavefront6targetE1EEEvT1_
	.p2align	8
	.type	_ZN7rocprim17ROCPRIM_400000_NS6detail17trampoline_kernelINS0_14default_configENS1_20scan_config_selectorIxEEZZNS1_9scan_implILNS1_25lookback_scan_determinismE0ELb0ELb0ES3_N6thrust23THRUST_200600_302600_NS6detail15normal_iteratorINS9_10device_ptrIxEEEESE_x11max_functorIxExEEDaPvRmT3_T4_T5_mT6_P12ihipStream_tbENKUlT_T0_E_clISt17integral_constantIbLb0EEST_IbLb1EEEEDaSP_SQ_EUlSP_E_NS1_11comp_targetILNS1_3genE10ELNS1_11target_archE1201ELNS1_3gpuE5ELNS1_3repE0EEENS1_30default_config_static_selectorELNS0_4arch9wavefront6targetE1EEEvT1_,@function
_ZN7rocprim17ROCPRIM_400000_NS6detail17trampoline_kernelINS0_14default_configENS1_20scan_config_selectorIxEEZZNS1_9scan_implILNS1_25lookback_scan_determinismE0ELb0ELb0ES3_N6thrust23THRUST_200600_302600_NS6detail15normal_iteratorINS9_10device_ptrIxEEEESE_x11max_functorIxExEEDaPvRmT3_T4_T5_mT6_P12ihipStream_tbENKUlT_T0_E_clISt17integral_constantIbLb0EEST_IbLb1EEEEDaSP_SQ_EUlSP_E_NS1_11comp_targetILNS1_3genE10ELNS1_11target_archE1201ELNS1_3gpuE5ELNS1_3repE0EEENS1_30default_config_static_selectorELNS0_4arch9wavefront6targetE1EEEvT1_: ; @_ZN7rocprim17ROCPRIM_400000_NS6detail17trampoline_kernelINS0_14default_configENS1_20scan_config_selectorIxEEZZNS1_9scan_implILNS1_25lookback_scan_determinismE0ELb0ELb0ES3_N6thrust23THRUST_200600_302600_NS6detail15normal_iteratorINS9_10device_ptrIxEEEESE_x11max_functorIxExEEDaPvRmT3_T4_T5_mT6_P12ihipStream_tbENKUlT_T0_E_clISt17integral_constantIbLb0EEST_IbLb1EEEEDaSP_SQ_EUlSP_E_NS1_11comp_targetILNS1_3genE10ELNS1_11target_archE1201ELNS1_3gpuE5ELNS1_3repE0EEENS1_30default_config_static_selectorELNS0_4arch9wavefront6targetE1EEEvT1_
; %bb.0:
	.section	.rodata,"a",@progbits
	.p2align	6, 0x0
	.amdhsa_kernel _ZN7rocprim17ROCPRIM_400000_NS6detail17trampoline_kernelINS0_14default_configENS1_20scan_config_selectorIxEEZZNS1_9scan_implILNS1_25lookback_scan_determinismE0ELb0ELb0ES3_N6thrust23THRUST_200600_302600_NS6detail15normal_iteratorINS9_10device_ptrIxEEEESE_x11max_functorIxExEEDaPvRmT3_T4_T5_mT6_P12ihipStream_tbENKUlT_T0_E_clISt17integral_constantIbLb0EEST_IbLb1EEEEDaSP_SQ_EUlSP_E_NS1_11comp_targetILNS1_3genE10ELNS1_11target_archE1201ELNS1_3gpuE5ELNS1_3repE0EEENS1_30default_config_static_selectorELNS0_4arch9wavefront6targetE1EEEvT1_
		.amdhsa_group_segment_fixed_size 0
		.amdhsa_private_segment_fixed_size 0
		.amdhsa_kernarg_size 104
		.amdhsa_user_sgpr_count 6
		.amdhsa_user_sgpr_private_segment_buffer 1
		.amdhsa_user_sgpr_dispatch_ptr 0
		.amdhsa_user_sgpr_queue_ptr 0
		.amdhsa_user_sgpr_kernarg_segment_ptr 1
		.amdhsa_user_sgpr_dispatch_id 0
		.amdhsa_user_sgpr_flat_scratch_init 0
		.amdhsa_user_sgpr_kernarg_preload_length 0
		.amdhsa_user_sgpr_kernarg_preload_offset 0
		.amdhsa_user_sgpr_private_segment_size 0
		.amdhsa_uses_dynamic_stack 0
		.amdhsa_system_sgpr_private_segment_wavefront_offset 0
		.amdhsa_system_sgpr_workgroup_id_x 1
		.amdhsa_system_sgpr_workgroup_id_y 0
		.amdhsa_system_sgpr_workgroup_id_z 0
		.amdhsa_system_sgpr_workgroup_info 0
		.amdhsa_system_vgpr_workitem_id 0
		.amdhsa_next_free_vgpr 1
		.amdhsa_next_free_sgpr 0
		.amdhsa_accum_offset 4
		.amdhsa_reserve_vcc 0
		.amdhsa_reserve_flat_scratch 0
		.amdhsa_float_round_mode_32 0
		.amdhsa_float_round_mode_16_64 0
		.amdhsa_float_denorm_mode_32 3
		.amdhsa_float_denorm_mode_16_64 3
		.amdhsa_dx10_clamp 1
		.amdhsa_ieee_mode 1
		.amdhsa_fp16_overflow 0
		.amdhsa_tg_split 0
		.amdhsa_exception_fp_ieee_invalid_op 0
		.amdhsa_exception_fp_denorm_src 0
		.amdhsa_exception_fp_ieee_div_zero 0
		.amdhsa_exception_fp_ieee_overflow 0
		.amdhsa_exception_fp_ieee_underflow 0
		.amdhsa_exception_fp_ieee_inexact 0
		.amdhsa_exception_int_div_zero 0
	.end_amdhsa_kernel
	.section	.text._ZN7rocprim17ROCPRIM_400000_NS6detail17trampoline_kernelINS0_14default_configENS1_20scan_config_selectorIxEEZZNS1_9scan_implILNS1_25lookback_scan_determinismE0ELb0ELb0ES3_N6thrust23THRUST_200600_302600_NS6detail15normal_iteratorINS9_10device_ptrIxEEEESE_x11max_functorIxExEEDaPvRmT3_T4_T5_mT6_P12ihipStream_tbENKUlT_T0_E_clISt17integral_constantIbLb0EEST_IbLb1EEEEDaSP_SQ_EUlSP_E_NS1_11comp_targetILNS1_3genE10ELNS1_11target_archE1201ELNS1_3gpuE5ELNS1_3repE0EEENS1_30default_config_static_selectorELNS0_4arch9wavefront6targetE1EEEvT1_,"axG",@progbits,_ZN7rocprim17ROCPRIM_400000_NS6detail17trampoline_kernelINS0_14default_configENS1_20scan_config_selectorIxEEZZNS1_9scan_implILNS1_25lookback_scan_determinismE0ELb0ELb0ES3_N6thrust23THRUST_200600_302600_NS6detail15normal_iteratorINS9_10device_ptrIxEEEESE_x11max_functorIxExEEDaPvRmT3_T4_T5_mT6_P12ihipStream_tbENKUlT_T0_E_clISt17integral_constantIbLb0EEST_IbLb1EEEEDaSP_SQ_EUlSP_E_NS1_11comp_targetILNS1_3genE10ELNS1_11target_archE1201ELNS1_3gpuE5ELNS1_3repE0EEENS1_30default_config_static_selectorELNS0_4arch9wavefront6targetE1EEEvT1_,comdat
.Lfunc_end2617:
	.size	_ZN7rocprim17ROCPRIM_400000_NS6detail17trampoline_kernelINS0_14default_configENS1_20scan_config_selectorIxEEZZNS1_9scan_implILNS1_25lookback_scan_determinismE0ELb0ELb0ES3_N6thrust23THRUST_200600_302600_NS6detail15normal_iteratorINS9_10device_ptrIxEEEESE_x11max_functorIxExEEDaPvRmT3_T4_T5_mT6_P12ihipStream_tbENKUlT_T0_E_clISt17integral_constantIbLb0EEST_IbLb1EEEEDaSP_SQ_EUlSP_E_NS1_11comp_targetILNS1_3genE10ELNS1_11target_archE1201ELNS1_3gpuE5ELNS1_3repE0EEENS1_30default_config_static_selectorELNS0_4arch9wavefront6targetE1EEEvT1_, .Lfunc_end2617-_ZN7rocprim17ROCPRIM_400000_NS6detail17trampoline_kernelINS0_14default_configENS1_20scan_config_selectorIxEEZZNS1_9scan_implILNS1_25lookback_scan_determinismE0ELb0ELb0ES3_N6thrust23THRUST_200600_302600_NS6detail15normal_iteratorINS9_10device_ptrIxEEEESE_x11max_functorIxExEEDaPvRmT3_T4_T5_mT6_P12ihipStream_tbENKUlT_T0_E_clISt17integral_constantIbLb0EEST_IbLb1EEEEDaSP_SQ_EUlSP_E_NS1_11comp_targetILNS1_3genE10ELNS1_11target_archE1201ELNS1_3gpuE5ELNS1_3repE0EEENS1_30default_config_static_selectorELNS0_4arch9wavefront6targetE1EEEvT1_
                                        ; -- End function
	.section	.AMDGPU.csdata,"",@progbits
; Kernel info:
; codeLenInByte = 0
; NumSgprs: 4
; NumVgprs: 0
; NumAgprs: 0
; TotalNumVgprs: 0
; ScratchSize: 0
; MemoryBound: 0
; FloatMode: 240
; IeeeMode: 1
; LDSByteSize: 0 bytes/workgroup (compile time only)
; SGPRBlocks: 0
; VGPRBlocks: 0
; NumSGPRsForWavesPerEU: 4
; NumVGPRsForWavesPerEU: 1
; AccumOffset: 4
; Occupancy: 8
; WaveLimiterHint : 0
; COMPUTE_PGM_RSRC2:SCRATCH_EN: 0
; COMPUTE_PGM_RSRC2:USER_SGPR: 6
; COMPUTE_PGM_RSRC2:TRAP_HANDLER: 0
; COMPUTE_PGM_RSRC2:TGID_X_EN: 1
; COMPUTE_PGM_RSRC2:TGID_Y_EN: 0
; COMPUTE_PGM_RSRC2:TGID_Z_EN: 0
; COMPUTE_PGM_RSRC2:TIDIG_COMP_CNT: 0
; COMPUTE_PGM_RSRC3_GFX90A:ACCUM_OFFSET: 0
; COMPUTE_PGM_RSRC3_GFX90A:TG_SPLIT: 0
	.section	.text._ZN7rocprim17ROCPRIM_400000_NS6detail17trampoline_kernelINS0_14default_configENS1_20scan_config_selectorIxEEZZNS1_9scan_implILNS1_25lookback_scan_determinismE0ELb0ELb0ES3_N6thrust23THRUST_200600_302600_NS6detail15normal_iteratorINS9_10device_ptrIxEEEESE_x11max_functorIxExEEDaPvRmT3_T4_T5_mT6_P12ihipStream_tbENKUlT_T0_E_clISt17integral_constantIbLb0EEST_IbLb1EEEEDaSP_SQ_EUlSP_E_NS1_11comp_targetILNS1_3genE10ELNS1_11target_archE1200ELNS1_3gpuE4ELNS1_3repE0EEENS1_30default_config_static_selectorELNS0_4arch9wavefront6targetE1EEEvT1_,"axG",@progbits,_ZN7rocprim17ROCPRIM_400000_NS6detail17trampoline_kernelINS0_14default_configENS1_20scan_config_selectorIxEEZZNS1_9scan_implILNS1_25lookback_scan_determinismE0ELb0ELb0ES3_N6thrust23THRUST_200600_302600_NS6detail15normal_iteratorINS9_10device_ptrIxEEEESE_x11max_functorIxExEEDaPvRmT3_T4_T5_mT6_P12ihipStream_tbENKUlT_T0_E_clISt17integral_constantIbLb0EEST_IbLb1EEEEDaSP_SQ_EUlSP_E_NS1_11comp_targetILNS1_3genE10ELNS1_11target_archE1200ELNS1_3gpuE4ELNS1_3repE0EEENS1_30default_config_static_selectorELNS0_4arch9wavefront6targetE1EEEvT1_,comdat
	.protected	_ZN7rocprim17ROCPRIM_400000_NS6detail17trampoline_kernelINS0_14default_configENS1_20scan_config_selectorIxEEZZNS1_9scan_implILNS1_25lookback_scan_determinismE0ELb0ELb0ES3_N6thrust23THRUST_200600_302600_NS6detail15normal_iteratorINS9_10device_ptrIxEEEESE_x11max_functorIxExEEDaPvRmT3_T4_T5_mT6_P12ihipStream_tbENKUlT_T0_E_clISt17integral_constantIbLb0EEST_IbLb1EEEEDaSP_SQ_EUlSP_E_NS1_11comp_targetILNS1_3genE10ELNS1_11target_archE1200ELNS1_3gpuE4ELNS1_3repE0EEENS1_30default_config_static_selectorELNS0_4arch9wavefront6targetE1EEEvT1_ ; -- Begin function _ZN7rocprim17ROCPRIM_400000_NS6detail17trampoline_kernelINS0_14default_configENS1_20scan_config_selectorIxEEZZNS1_9scan_implILNS1_25lookback_scan_determinismE0ELb0ELb0ES3_N6thrust23THRUST_200600_302600_NS6detail15normal_iteratorINS9_10device_ptrIxEEEESE_x11max_functorIxExEEDaPvRmT3_T4_T5_mT6_P12ihipStream_tbENKUlT_T0_E_clISt17integral_constantIbLb0EEST_IbLb1EEEEDaSP_SQ_EUlSP_E_NS1_11comp_targetILNS1_3genE10ELNS1_11target_archE1200ELNS1_3gpuE4ELNS1_3repE0EEENS1_30default_config_static_selectorELNS0_4arch9wavefront6targetE1EEEvT1_
	.globl	_ZN7rocprim17ROCPRIM_400000_NS6detail17trampoline_kernelINS0_14default_configENS1_20scan_config_selectorIxEEZZNS1_9scan_implILNS1_25lookback_scan_determinismE0ELb0ELb0ES3_N6thrust23THRUST_200600_302600_NS6detail15normal_iteratorINS9_10device_ptrIxEEEESE_x11max_functorIxExEEDaPvRmT3_T4_T5_mT6_P12ihipStream_tbENKUlT_T0_E_clISt17integral_constantIbLb0EEST_IbLb1EEEEDaSP_SQ_EUlSP_E_NS1_11comp_targetILNS1_3genE10ELNS1_11target_archE1200ELNS1_3gpuE4ELNS1_3repE0EEENS1_30default_config_static_selectorELNS0_4arch9wavefront6targetE1EEEvT1_
	.p2align	8
	.type	_ZN7rocprim17ROCPRIM_400000_NS6detail17trampoline_kernelINS0_14default_configENS1_20scan_config_selectorIxEEZZNS1_9scan_implILNS1_25lookback_scan_determinismE0ELb0ELb0ES3_N6thrust23THRUST_200600_302600_NS6detail15normal_iteratorINS9_10device_ptrIxEEEESE_x11max_functorIxExEEDaPvRmT3_T4_T5_mT6_P12ihipStream_tbENKUlT_T0_E_clISt17integral_constantIbLb0EEST_IbLb1EEEEDaSP_SQ_EUlSP_E_NS1_11comp_targetILNS1_3genE10ELNS1_11target_archE1200ELNS1_3gpuE4ELNS1_3repE0EEENS1_30default_config_static_selectorELNS0_4arch9wavefront6targetE1EEEvT1_,@function
_ZN7rocprim17ROCPRIM_400000_NS6detail17trampoline_kernelINS0_14default_configENS1_20scan_config_selectorIxEEZZNS1_9scan_implILNS1_25lookback_scan_determinismE0ELb0ELb0ES3_N6thrust23THRUST_200600_302600_NS6detail15normal_iteratorINS9_10device_ptrIxEEEESE_x11max_functorIxExEEDaPvRmT3_T4_T5_mT6_P12ihipStream_tbENKUlT_T0_E_clISt17integral_constantIbLb0EEST_IbLb1EEEEDaSP_SQ_EUlSP_E_NS1_11comp_targetILNS1_3genE10ELNS1_11target_archE1200ELNS1_3gpuE4ELNS1_3repE0EEENS1_30default_config_static_selectorELNS0_4arch9wavefront6targetE1EEEvT1_: ; @_ZN7rocprim17ROCPRIM_400000_NS6detail17trampoline_kernelINS0_14default_configENS1_20scan_config_selectorIxEEZZNS1_9scan_implILNS1_25lookback_scan_determinismE0ELb0ELb0ES3_N6thrust23THRUST_200600_302600_NS6detail15normal_iteratorINS9_10device_ptrIxEEEESE_x11max_functorIxExEEDaPvRmT3_T4_T5_mT6_P12ihipStream_tbENKUlT_T0_E_clISt17integral_constantIbLb0EEST_IbLb1EEEEDaSP_SQ_EUlSP_E_NS1_11comp_targetILNS1_3genE10ELNS1_11target_archE1200ELNS1_3gpuE4ELNS1_3repE0EEENS1_30default_config_static_selectorELNS0_4arch9wavefront6targetE1EEEvT1_
; %bb.0:
	.section	.rodata,"a",@progbits
	.p2align	6, 0x0
	.amdhsa_kernel _ZN7rocprim17ROCPRIM_400000_NS6detail17trampoline_kernelINS0_14default_configENS1_20scan_config_selectorIxEEZZNS1_9scan_implILNS1_25lookback_scan_determinismE0ELb0ELb0ES3_N6thrust23THRUST_200600_302600_NS6detail15normal_iteratorINS9_10device_ptrIxEEEESE_x11max_functorIxExEEDaPvRmT3_T4_T5_mT6_P12ihipStream_tbENKUlT_T0_E_clISt17integral_constantIbLb0EEST_IbLb1EEEEDaSP_SQ_EUlSP_E_NS1_11comp_targetILNS1_3genE10ELNS1_11target_archE1200ELNS1_3gpuE4ELNS1_3repE0EEENS1_30default_config_static_selectorELNS0_4arch9wavefront6targetE1EEEvT1_
		.amdhsa_group_segment_fixed_size 0
		.amdhsa_private_segment_fixed_size 0
		.amdhsa_kernarg_size 104
		.amdhsa_user_sgpr_count 6
		.amdhsa_user_sgpr_private_segment_buffer 1
		.amdhsa_user_sgpr_dispatch_ptr 0
		.amdhsa_user_sgpr_queue_ptr 0
		.amdhsa_user_sgpr_kernarg_segment_ptr 1
		.amdhsa_user_sgpr_dispatch_id 0
		.amdhsa_user_sgpr_flat_scratch_init 0
		.amdhsa_user_sgpr_kernarg_preload_length 0
		.amdhsa_user_sgpr_kernarg_preload_offset 0
		.amdhsa_user_sgpr_private_segment_size 0
		.amdhsa_uses_dynamic_stack 0
		.amdhsa_system_sgpr_private_segment_wavefront_offset 0
		.amdhsa_system_sgpr_workgroup_id_x 1
		.amdhsa_system_sgpr_workgroup_id_y 0
		.amdhsa_system_sgpr_workgroup_id_z 0
		.amdhsa_system_sgpr_workgroup_info 0
		.amdhsa_system_vgpr_workitem_id 0
		.amdhsa_next_free_vgpr 1
		.amdhsa_next_free_sgpr 0
		.amdhsa_accum_offset 4
		.amdhsa_reserve_vcc 0
		.amdhsa_reserve_flat_scratch 0
		.amdhsa_float_round_mode_32 0
		.amdhsa_float_round_mode_16_64 0
		.amdhsa_float_denorm_mode_32 3
		.amdhsa_float_denorm_mode_16_64 3
		.amdhsa_dx10_clamp 1
		.amdhsa_ieee_mode 1
		.amdhsa_fp16_overflow 0
		.amdhsa_tg_split 0
		.amdhsa_exception_fp_ieee_invalid_op 0
		.amdhsa_exception_fp_denorm_src 0
		.amdhsa_exception_fp_ieee_div_zero 0
		.amdhsa_exception_fp_ieee_overflow 0
		.amdhsa_exception_fp_ieee_underflow 0
		.amdhsa_exception_fp_ieee_inexact 0
		.amdhsa_exception_int_div_zero 0
	.end_amdhsa_kernel
	.section	.text._ZN7rocprim17ROCPRIM_400000_NS6detail17trampoline_kernelINS0_14default_configENS1_20scan_config_selectorIxEEZZNS1_9scan_implILNS1_25lookback_scan_determinismE0ELb0ELb0ES3_N6thrust23THRUST_200600_302600_NS6detail15normal_iteratorINS9_10device_ptrIxEEEESE_x11max_functorIxExEEDaPvRmT3_T4_T5_mT6_P12ihipStream_tbENKUlT_T0_E_clISt17integral_constantIbLb0EEST_IbLb1EEEEDaSP_SQ_EUlSP_E_NS1_11comp_targetILNS1_3genE10ELNS1_11target_archE1200ELNS1_3gpuE4ELNS1_3repE0EEENS1_30default_config_static_selectorELNS0_4arch9wavefront6targetE1EEEvT1_,"axG",@progbits,_ZN7rocprim17ROCPRIM_400000_NS6detail17trampoline_kernelINS0_14default_configENS1_20scan_config_selectorIxEEZZNS1_9scan_implILNS1_25lookback_scan_determinismE0ELb0ELb0ES3_N6thrust23THRUST_200600_302600_NS6detail15normal_iteratorINS9_10device_ptrIxEEEESE_x11max_functorIxExEEDaPvRmT3_T4_T5_mT6_P12ihipStream_tbENKUlT_T0_E_clISt17integral_constantIbLb0EEST_IbLb1EEEEDaSP_SQ_EUlSP_E_NS1_11comp_targetILNS1_3genE10ELNS1_11target_archE1200ELNS1_3gpuE4ELNS1_3repE0EEENS1_30default_config_static_selectorELNS0_4arch9wavefront6targetE1EEEvT1_,comdat
.Lfunc_end2618:
	.size	_ZN7rocprim17ROCPRIM_400000_NS6detail17trampoline_kernelINS0_14default_configENS1_20scan_config_selectorIxEEZZNS1_9scan_implILNS1_25lookback_scan_determinismE0ELb0ELb0ES3_N6thrust23THRUST_200600_302600_NS6detail15normal_iteratorINS9_10device_ptrIxEEEESE_x11max_functorIxExEEDaPvRmT3_T4_T5_mT6_P12ihipStream_tbENKUlT_T0_E_clISt17integral_constantIbLb0EEST_IbLb1EEEEDaSP_SQ_EUlSP_E_NS1_11comp_targetILNS1_3genE10ELNS1_11target_archE1200ELNS1_3gpuE4ELNS1_3repE0EEENS1_30default_config_static_selectorELNS0_4arch9wavefront6targetE1EEEvT1_, .Lfunc_end2618-_ZN7rocprim17ROCPRIM_400000_NS6detail17trampoline_kernelINS0_14default_configENS1_20scan_config_selectorIxEEZZNS1_9scan_implILNS1_25lookback_scan_determinismE0ELb0ELb0ES3_N6thrust23THRUST_200600_302600_NS6detail15normal_iteratorINS9_10device_ptrIxEEEESE_x11max_functorIxExEEDaPvRmT3_T4_T5_mT6_P12ihipStream_tbENKUlT_T0_E_clISt17integral_constantIbLb0EEST_IbLb1EEEEDaSP_SQ_EUlSP_E_NS1_11comp_targetILNS1_3genE10ELNS1_11target_archE1200ELNS1_3gpuE4ELNS1_3repE0EEENS1_30default_config_static_selectorELNS0_4arch9wavefront6targetE1EEEvT1_
                                        ; -- End function
	.section	.AMDGPU.csdata,"",@progbits
; Kernel info:
; codeLenInByte = 0
; NumSgprs: 4
; NumVgprs: 0
; NumAgprs: 0
; TotalNumVgprs: 0
; ScratchSize: 0
; MemoryBound: 0
; FloatMode: 240
; IeeeMode: 1
; LDSByteSize: 0 bytes/workgroup (compile time only)
; SGPRBlocks: 0
; VGPRBlocks: 0
; NumSGPRsForWavesPerEU: 4
; NumVGPRsForWavesPerEU: 1
; AccumOffset: 4
; Occupancy: 8
; WaveLimiterHint : 0
; COMPUTE_PGM_RSRC2:SCRATCH_EN: 0
; COMPUTE_PGM_RSRC2:USER_SGPR: 6
; COMPUTE_PGM_RSRC2:TRAP_HANDLER: 0
; COMPUTE_PGM_RSRC2:TGID_X_EN: 1
; COMPUTE_PGM_RSRC2:TGID_Y_EN: 0
; COMPUTE_PGM_RSRC2:TGID_Z_EN: 0
; COMPUTE_PGM_RSRC2:TIDIG_COMP_CNT: 0
; COMPUTE_PGM_RSRC3_GFX90A:ACCUM_OFFSET: 0
; COMPUTE_PGM_RSRC3_GFX90A:TG_SPLIT: 0
	.section	.text._ZN7rocprim17ROCPRIM_400000_NS6detail17trampoline_kernelINS0_14default_configENS1_20scan_config_selectorIxEEZZNS1_9scan_implILNS1_25lookback_scan_determinismE0ELb0ELb0ES3_N6thrust23THRUST_200600_302600_NS6detail15normal_iteratorINS9_10device_ptrIxEEEESE_x11max_functorIxExEEDaPvRmT3_T4_T5_mT6_P12ihipStream_tbENKUlT_T0_E_clISt17integral_constantIbLb0EEST_IbLb1EEEEDaSP_SQ_EUlSP_E_NS1_11comp_targetILNS1_3genE9ELNS1_11target_archE1100ELNS1_3gpuE3ELNS1_3repE0EEENS1_30default_config_static_selectorELNS0_4arch9wavefront6targetE1EEEvT1_,"axG",@progbits,_ZN7rocprim17ROCPRIM_400000_NS6detail17trampoline_kernelINS0_14default_configENS1_20scan_config_selectorIxEEZZNS1_9scan_implILNS1_25lookback_scan_determinismE0ELb0ELb0ES3_N6thrust23THRUST_200600_302600_NS6detail15normal_iteratorINS9_10device_ptrIxEEEESE_x11max_functorIxExEEDaPvRmT3_T4_T5_mT6_P12ihipStream_tbENKUlT_T0_E_clISt17integral_constantIbLb0EEST_IbLb1EEEEDaSP_SQ_EUlSP_E_NS1_11comp_targetILNS1_3genE9ELNS1_11target_archE1100ELNS1_3gpuE3ELNS1_3repE0EEENS1_30default_config_static_selectorELNS0_4arch9wavefront6targetE1EEEvT1_,comdat
	.protected	_ZN7rocprim17ROCPRIM_400000_NS6detail17trampoline_kernelINS0_14default_configENS1_20scan_config_selectorIxEEZZNS1_9scan_implILNS1_25lookback_scan_determinismE0ELb0ELb0ES3_N6thrust23THRUST_200600_302600_NS6detail15normal_iteratorINS9_10device_ptrIxEEEESE_x11max_functorIxExEEDaPvRmT3_T4_T5_mT6_P12ihipStream_tbENKUlT_T0_E_clISt17integral_constantIbLb0EEST_IbLb1EEEEDaSP_SQ_EUlSP_E_NS1_11comp_targetILNS1_3genE9ELNS1_11target_archE1100ELNS1_3gpuE3ELNS1_3repE0EEENS1_30default_config_static_selectorELNS0_4arch9wavefront6targetE1EEEvT1_ ; -- Begin function _ZN7rocprim17ROCPRIM_400000_NS6detail17trampoline_kernelINS0_14default_configENS1_20scan_config_selectorIxEEZZNS1_9scan_implILNS1_25lookback_scan_determinismE0ELb0ELb0ES3_N6thrust23THRUST_200600_302600_NS6detail15normal_iteratorINS9_10device_ptrIxEEEESE_x11max_functorIxExEEDaPvRmT3_T4_T5_mT6_P12ihipStream_tbENKUlT_T0_E_clISt17integral_constantIbLb0EEST_IbLb1EEEEDaSP_SQ_EUlSP_E_NS1_11comp_targetILNS1_3genE9ELNS1_11target_archE1100ELNS1_3gpuE3ELNS1_3repE0EEENS1_30default_config_static_selectorELNS0_4arch9wavefront6targetE1EEEvT1_
	.globl	_ZN7rocprim17ROCPRIM_400000_NS6detail17trampoline_kernelINS0_14default_configENS1_20scan_config_selectorIxEEZZNS1_9scan_implILNS1_25lookback_scan_determinismE0ELb0ELb0ES3_N6thrust23THRUST_200600_302600_NS6detail15normal_iteratorINS9_10device_ptrIxEEEESE_x11max_functorIxExEEDaPvRmT3_T4_T5_mT6_P12ihipStream_tbENKUlT_T0_E_clISt17integral_constantIbLb0EEST_IbLb1EEEEDaSP_SQ_EUlSP_E_NS1_11comp_targetILNS1_3genE9ELNS1_11target_archE1100ELNS1_3gpuE3ELNS1_3repE0EEENS1_30default_config_static_selectorELNS0_4arch9wavefront6targetE1EEEvT1_
	.p2align	8
	.type	_ZN7rocprim17ROCPRIM_400000_NS6detail17trampoline_kernelINS0_14default_configENS1_20scan_config_selectorIxEEZZNS1_9scan_implILNS1_25lookback_scan_determinismE0ELb0ELb0ES3_N6thrust23THRUST_200600_302600_NS6detail15normal_iteratorINS9_10device_ptrIxEEEESE_x11max_functorIxExEEDaPvRmT3_T4_T5_mT6_P12ihipStream_tbENKUlT_T0_E_clISt17integral_constantIbLb0EEST_IbLb1EEEEDaSP_SQ_EUlSP_E_NS1_11comp_targetILNS1_3genE9ELNS1_11target_archE1100ELNS1_3gpuE3ELNS1_3repE0EEENS1_30default_config_static_selectorELNS0_4arch9wavefront6targetE1EEEvT1_,@function
_ZN7rocprim17ROCPRIM_400000_NS6detail17trampoline_kernelINS0_14default_configENS1_20scan_config_selectorIxEEZZNS1_9scan_implILNS1_25lookback_scan_determinismE0ELb0ELb0ES3_N6thrust23THRUST_200600_302600_NS6detail15normal_iteratorINS9_10device_ptrIxEEEESE_x11max_functorIxExEEDaPvRmT3_T4_T5_mT6_P12ihipStream_tbENKUlT_T0_E_clISt17integral_constantIbLb0EEST_IbLb1EEEEDaSP_SQ_EUlSP_E_NS1_11comp_targetILNS1_3genE9ELNS1_11target_archE1100ELNS1_3gpuE3ELNS1_3repE0EEENS1_30default_config_static_selectorELNS0_4arch9wavefront6targetE1EEEvT1_: ; @_ZN7rocprim17ROCPRIM_400000_NS6detail17trampoline_kernelINS0_14default_configENS1_20scan_config_selectorIxEEZZNS1_9scan_implILNS1_25lookback_scan_determinismE0ELb0ELb0ES3_N6thrust23THRUST_200600_302600_NS6detail15normal_iteratorINS9_10device_ptrIxEEEESE_x11max_functorIxExEEDaPvRmT3_T4_T5_mT6_P12ihipStream_tbENKUlT_T0_E_clISt17integral_constantIbLb0EEST_IbLb1EEEEDaSP_SQ_EUlSP_E_NS1_11comp_targetILNS1_3genE9ELNS1_11target_archE1100ELNS1_3gpuE3ELNS1_3repE0EEENS1_30default_config_static_selectorELNS0_4arch9wavefront6targetE1EEEvT1_
; %bb.0:
	.section	.rodata,"a",@progbits
	.p2align	6, 0x0
	.amdhsa_kernel _ZN7rocprim17ROCPRIM_400000_NS6detail17trampoline_kernelINS0_14default_configENS1_20scan_config_selectorIxEEZZNS1_9scan_implILNS1_25lookback_scan_determinismE0ELb0ELb0ES3_N6thrust23THRUST_200600_302600_NS6detail15normal_iteratorINS9_10device_ptrIxEEEESE_x11max_functorIxExEEDaPvRmT3_T4_T5_mT6_P12ihipStream_tbENKUlT_T0_E_clISt17integral_constantIbLb0EEST_IbLb1EEEEDaSP_SQ_EUlSP_E_NS1_11comp_targetILNS1_3genE9ELNS1_11target_archE1100ELNS1_3gpuE3ELNS1_3repE0EEENS1_30default_config_static_selectorELNS0_4arch9wavefront6targetE1EEEvT1_
		.amdhsa_group_segment_fixed_size 0
		.amdhsa_private_segment_fixed_size 0
		.amdhsa_kernarg_size 104
		.amdhsa_user_sgpr_count 6
		.amdhsa_user_sgpr_private_segment_buffer 1
		.amdhsa_user_sgpr_dispatch_ptr 0
		.amdhsa_user_sgpr_queue_ptr 0
		.amdhsa_user_sgpr_kernarg_segment_ptr 1
		.amdhsa_user_sgpr_dispatch_id 0
		.amdhsa_user_sgpr_flat_scratch_init 0
		.amdhsa_user_sgpr_kernarg_preload_length 0
		.amdhsa_user_sgpr_kernarg_preload_offset 0
		.amdhsa_user_sgpr_private_segment_size 0
		.amdhsa_uses_dynamic_stack 0
		.amdhsa_system_sgpr_private_segment_wavefront_offset 0
		.amdhsa_system_sgpr_workgroup_id_x 1
		.amdhsa_system_sgpr_workgroup_id_y 0
		.amdhsa_system_sgpr_workgroup_id_z 0
		.amdhsa_system_sgpr_workgroup_info 0
		.amdhsa_system_vgpr_workitem_id 0
		.amdhsa_next_free_vgpr 1
		.amdhsa_next_free_sgpr 0
		.amdhsa_accum_offset 4
		.amdhsa_reserve_vcc 0
		.amdhsa_reserve_flat_scratch 0
		.amdhsa_float_round_mode_32 0
		.amdhsa_float_round_mode_16_64 0
		.amdhsa_float_denorm_mode_32 3
		.amdhsa_float_denorm_mode_16_64 3
		.amdhsa_dx10_clamp 1
		.amdhsa_ieee_mode 1
		.amdhsa_fp16_overflow 0
		.amdhsa_tg_split 0
		.amdhsa_exception_fp_ieee_invalid_op 0
		.amdhsa_exception_fp_denorm_src 0
		.amdhsa_exception_fp_ieee_div_zero 0
		.amdhsa_exception_fp_ieee_overflow 0
		.amdhsa_exception_fp_ieee_underflow 0
		.amdhsa_exception_fp_ieee_inexact 0
		.amdhsa_exception_int_div_zero 0
	.end_amdhsa_kernel
	.section	.text._ZN7rocprim17ROCPRIM_400000_NS6detail17trampoline_kernelINS0_14default_configENS1_20scan_config_selectorIxEEZZNS1_9scan_implILNS1_25lookback_scan_determinismE0ELb0ELb0ES3_N6thrust23THRUST_200600_302600_NS6detail15normal_iteratorINS9_10device_ptrIxEEEESE_x11max_functorIxExEEDaPvRmT3_T4_T5_mT6_P12ihipStream_tbENKUlT_T0_E_clISt17integral_constantIbLb0EEST_IbLb1EEEEDaSP_SQ_EUlSP_E_NS1_11comp_targetILNS1_3genE9ELNS1_11target_archE1100ELNS1_3gpuE3ELNS1_3repE0EEENS1_30default_config_static_selectorELNS0_4arch9wavefront6targetE1EEEvT1_,"axG",@progbits,_ZN7rocprim17ROCPRIM_400000_NS6detail17trampoline_kernelINS0_14default_configENS1_20scan_config_selectorIxEEZZNS1_9scan_implILNS1_25lookback_scan_determinismE0ELb0ELb0ES3_N6thrust23THRUST_200600_302600_NS6detail15normal_iteratorINS9_10device_ptrIxEEEESE_x11max_functorIxExEEDaPvRmT3_T4_T5_mT6_P12ihipStream_tbENKUlT_T0_E_clISt17integral_constantIbLb0EEST_IbLb1EEEEDaSP_SQ_EUlSP_E_NS1_11comp_targetILNS1_3genE9ELNS1_11target_archE1100ELNS1_3gpuE3ELNS1_3repE0EEENS1_30default_config_static_selectorELNS0_4arch9wavefront6targetE1EEEvT1_,comdat
.Lfunc_end2619:
	.size	_ZN7rocprim17ROCPRIM_400000_NS6detail17trampoline_kernelINS0_14default_configENS1_20scan_config_selectorIxEEZZNS1_9scan_implILNS1_25lookback_scan_determinismE0ELb0ELb0ES3_N6thrust23THRUST_200600_302600_NS6detail15normal_iteratorINS9_10device_ptrIxEEEESE_x11max_functorIxExEEDaPvRmT3_T4_T5_mT6_P12ihipStream_tbENKUlT_T0_E_clISt17integral_constantIbLb0EEST_IbLb1EEEEDaSP_SQ_EUlSP_E_NS1_11comp_targetILNS1_3genE9ELNS1_11target_archE1100ELNS1_3gpuE3ELNS1_3repE0EEENS1_30default_config_static_selectorELNS0_4arch9wavefront6targetE1EEEvT1_, .Lfunc_end2619-_ZN7rocprim17ROCPRIM_400000_NS6detail17trampoline_kernelINS0_14default_configENS1_20scan_config_selectorIxEEZZNS1_9scan_implILNS1_25lookback_scan_determinismE0ELb0ELb0ES3_N6thrust23THRUST_200600_302600_NS6detail15normal_iteratorINS9_10device_ptrIxEEEESE_x11max_functorIxExEEDaPvRmT3_T4_T5_mT6_P12ihipStream_tbENKUlT_T0_E_clISt17integral_constantIbLb0EEST_IbLb1EEEEDaSP_SQ_EUlSP_E_NS1_11comp_targetILNS1_3genE9ELNS1_11target_archE1100ELNS1_3gpuE3ELNS1_3repE0EEENS1_30default_config_static_selectorELNS0_4arch9wavefront6targetE1EEEvT1_
                                        ; -- End function
	.section	.AMDGPU.csdata,"",@progbits
; Kernel info:
; codeLenInByte = 0
; NumSgprs: 4
; NumVgprs: 0
; NumAgprs: 0
; TotalNumVgprs: 0
; ScratchSize: 0
; MemoryBound: 0
; FloatMode: 240
; IeeeMode: 1
; LDSByteSize: 0 bytes/workgroup (compile time only)
; SGPRBlocks: 0
; VGPRBlocks: 0
; NumSGPRsForWavesPerEU: 4
; NumVGPRsForWavesPerEU: 1
; AccumOffset: 4
; Occupancy: 8
; WaveLimiterHint : 0
; COMPUTE_PGM_RSRC2:SCRATCH_EN: 0
; COMPUTE_PGM_RSRC2:USER_SGPR: 6
; COMPUTE_PGM_RSRC2:TRAP_HANDLER: 0
; COMPUTE_PGM_RSRC2:TGID_X_EN: 1
; COMPUTE_PGM_RSRC2:TGID_Y_EN: 0
; COMPUTE_PGM_RSRC2:TGID_Z_EN: 0
; COMPUTE_PGM_RSRC2:TIDIG_COMP_CNT: 0
; COMPUTE_PGM_RSRC3_GFX90A:ACCUM_OFFSET: 0
; COMPUTE_PGM_RSRC3_GFX90A:TG_SPLIT: 0
	.section	.text._ZN7rocprim17ROCPRIM_400000_NS6detail17trampoline_kernelINS0_14default_configENS1_20scan_config_selectorIxEEZZNS1_9scan_implILNS1_25lookback_scan_determinismE0ELb0ELb0ES3_N6thrust23THRUST_200600_302600_NS6detail15normal_iteratorINS9_10device_ptrIxEEEESE_x11max_functorIxExEEDaPvRmT3_T4_T5_mT6_P12ihipStream_tbENKUlT_T0_E_clISt17integral_constantIbLb0EEST_IbLb1EEEEDaSP_SQ_EUlSP_E_NS1_11comp_targetILNS1_3genE8ELNS1_11target_archE1030ELNS1_3gpuE2ELNS1_3repE0EEENS1_30default_config_static_selectorELNS0_4arch9wavefront6targetE1EEEvT1_,"axG",@progbits,_ZN7rocprim17ROCPRIM_400000_NS6detail17trampoline_kernelINS0_14default_configENS1_20scan_config_selectorIxEEZZNS1_9scan_implILNS1_25lookback_scan_determinismE0ELb0ELb0ES3_N6thrust23THRUST_200600_302600_NS6detail15normal_iteratorINS9_10device_ptrIxEEEESE_x11max_functorIxExEEDaPvRmT3_T4_T5_mT6_P12ihipStream_tbENKUlT_T0_E_clISt17integral_constantIbLb0EEST_IbLb1EEEEDaSP_SQ_EUlSP_E_NS1_11comp_targetILNS1_3genE8ELNS1_11target_archE1030ELNS1_3gpuE2ELNS1_3repE0EEENS1_30default_config_static_selectorELNS0_4arch9wavefront6targetE1EEEvT1_,comdat
	.protected	_ZN7rocprim17ROCPRIM_400000_NS6detail17trampoline_kernelINS0_14default_configENS1_20scan_config_selectorIxEEZZNS1_9scan_implILNS1_25lookback_scan_determinismE0ELb0ELb0ES3_N6thrust23THRUST_200600_302600_NS6detail15normal_iteratorINS9_10device_ptrIxEEEESE_x11max_functorIxExEEDaPvRmT3_T4_T5_mT6_P12ihipStream_tbENKUlT_T0_E_clISt17integral_constantIbLb0EEST_IbLb1EEEEDaSP_SQ_EUlSP_E_NS1_11comp_targetILNS1_3genE8ELNS1_11target_archE1030ELNS1_3gpuE2ELNS1_3repE0EEENS1_30default_config_static_selectorELNS0_4arch9wavefront6targetE1EEEvT1_ ; -- Begin function _ZN7rocprim17ROCPRIM_400000_NS6detail17trampoline_kernelINS0_14default_configENS1_20scan_config_selectorIxEEZZNS1_9scan_implILNS1_25lookback_scan_determinismE0ELb0ELb0ES3_N6thrust23THRUST_200600_302600_NS6detail15normal_iteratorINS9_10device_ptrIxEEEESE_x11max_functorIxExEEDaPvRmT3_T4_T5_mT6_P12ihipStream_tbENKUlT_T0_E_clISt17integral_constantIbLb0EEST_IbLb1EEEEDaSP_SQ_EUlSP_E_NS1_11comp_targetILNS1_3genE8ELNS1_11target_archE1030ELNS1_3gpuE2ELNS1_3repE0EEENS1_30default_config_static_selectorELNS0_4arch9wavefront6targetE1EEEvT1_
	.globl	_ZN7rocprim17ROCPRIM_400000_NS6detail17trampoline_kernelINS0_14default_configENS1_20scan_config_selectorIxEEZZNS1_9scan_implILNS1_25lookback_scan_determinismE0ELb0ELb0ES3_N6thrust23THRUST_200600_302600_NS6detail15normal_iteratorINS9_10device_ptrIxEEEESE_x11max_functorIxExEEDaPvRmT3_T4_T5_mT6_P12ihipStream_tbENKUlT_T0_E_clISt17integral_constantIbLb0EEST_IbLb1EEEEDaSP_SQ_EUlSP_E_NS1_11comp_targetILNS1_3genE8ELNS1_11target_archE1030ELNS1_3gpuE2ELNS1_3repE0EEENS1_30default_config_static_selectorELNS0_4arch9wavefront6targetE1EEEvT1_
	.p2align	8
	.type	_ZN7rocprim17ROCPRIM_400000_NS6detail17trampoline_kernelINS0_14default_configENS1_20scan_config_selectorIxEEZZNS1_9scan_implILNS1_25lookback_scan_determinismE0ELb0ELb0ES3_N6thrust23THRUST_200600_302600_NS6detail15normal_iteratorINS9_10device_ptrIxEEEESE_x11max_functorIxExEEDaPvRmT3_T4_T5_mT6_P12ihipStream_tbENKUlT_T0_E_clISt17integral_constantIbLb0EEST_IbLb1EEEEDaSP_SQ_EUlSP_E_NS1_11comp_targetILNS1_3genE8ELNS1_11target_archE1030ELNS1_3gpuE2ELNS1_3repE0EEENS1_30default_config_static_selectorELNS0_4arch9wavefront6targetE1EEEvT1_,@function
_ZN7rocprim17ROCPRIM_400000_NS6detail17trampoline_kernelINS0_14default_configENS1_20scan_config_selectorIxEEZZNS1_9scan_implILNS1_25lookback_scan_determinismE0ELb0ELb0ES3_N6thrust23THRUST_200600_302600_NS6detail15normal_iteratorINS9_10device_ptrIxEEEESE_x11max_functorIxExEEDaPvRmT3_T4_T5_mT6_P12ihipStream_tbENKUlT_T0_E_clISt17integral_constantIbLb0EEST_IbLb1EEEEDaSP_SQ_EUlSP_E_NS1_11comp_targetILNS1_3genE8ELNS1_11target_archE1030ELNS1_3gpuE2ELNS1_3repE0EEENS1_30default_config_static_selectorELNS0_4arch9wavefront6targetE1EEEvT1_: ; @_ZN7rocprim17ROCPRIM_400000_NS6detail17trampoline_kernelINS0_14default_configENS1_20scan_config_selectorIxEEZZNS1_9scan_implILNS1_25lookback_scan_determinismE0ELb0ELb0ES3_N6thrust23THRUST_200600_302600_NS6detail15normal_iteratorINS9_10device_ptrIxEEEESE_x11max_functorIxExEEDaPvRmT3_T4_T5_mT6_P12ihipStream_tbENKUlT_T0_E_clISt17integral_constantIbLb0EEST_IbLb1EEEEDaSP_SQ_EUlSP_E_NS1_11comp_targetILNS1_3genE8ELNS1_11target_archE1030ELNS1_3gpuE2ELNS1_3repE0EEENS1_30default_config_static_selectorELNS0_4arch9wavefront6targetE1EEEvT1_
; %bb.0:
	.section	.rodata,"a",@progbits
	.p2align	6, 0x0
	.amdhsa_kernel _ZN7rocprim17ROCPRIM_400000_NS6detail17trampoline_kernelINS0_14default_configENS1_20scan_config_selectorIxEEZZNS1_9scan_implILNS1_25lookback_scan_determinismE0ELb0ELb0ES3_N6thrust23THRUST_200600_302600_NS6detail15normal_iteratorINS9_10device_ptrIxEEEESE_x11max_functorIxExEEDaPvRmT3_T4_T5_mT6_P12ihipStream_tbENKUlT_T0_E_clISt17integral_constantIbLb0EEST_IbLb1EEEEDaSP_SQ_EUlSP_E_NS1_11comp_targetILNS1_3genE8ELNS1_11target_archE1030ELNS1_3gpuE2ELNS1_3repE0EEENS1_30default_config_static_selectorELNS0_4arch9wavefront6targetE1EEEvT1_
		.amdhsa_group_segment_fixed_size 0
		.amdhsa_private_segment_fixed_size 0
		.amdhsa_kernarg_size 104
		.amdhsa_user_sgpr_count 6
		.amdhsa_user_sgpr_private_segment_buffer 1
		.amdhsa_user_sgpr_dispatch_ptr 0
		.amdhsa_user_sgpr_queue_ptr 0
		.amdhsa_user_sgpr_kernarg_segment_ptr 1
		.amdhsa_user_sgpr_dispatch_id 0
		.amdhsa_user_sgpr_flat_scratch_init 0
		.amdhsa_user_sgpr_kernarg_preload_length 0
		.amdhsa_user_sgpr_kernarg_preload_offset 0
		.amdhsa_user_sgpr_private_segment_size 0
		.amdhsa_uses_dynamic_stack 0
		.amdhsa_system_sgpr_private_segment_wavefront_offset 0
		.amdhsa_system_sgpr_workgroup_id_x 1
		.amdhsa_system_sgpr_workgroup_id_y 0
		.amdhsa_system_sgpr_workgroup_id_z 0
		.amdhsa_system_sgpr_workgroup_info 0
		.amdhsa_system_vgpr_workitem_id 0
		.amdhsa_next_free_vgpr 1
		.amdhsa_next_free_sgpr 0
		.amdhsa_accum_offset 4
		.amdhsa_reserve_vcc 0
		.amdhsa_reserve_flat_scratch 0
		.amdhsa_float_round_mode_32 0
		.amdhsa_float_round_mode_16_64 0
		.amdhsa_float_denorm_mode_32 3
		.amdhsa_float_denorm_mode_16_64 3
		.amdhsa_dx10_clamp 1
		.amdhsa_ieee_mode 1
		.amdhsa_fp16_overflow 0
		.amdhsa_tg_split 0
		.amdhsa_exception_fp_ieee_invalid_op 0
		.amdhsa_exception_fp_denorm_src 0
		.amdhsa_exception_fp_ieee_div_zero 0
		.amdhsa_exception_fp_ieee_overflow 0
		.amdhsa_exception_fp_ieee_underflow 0
		.amdhsa_exception_fp_ieee_inexact 0
		.amdhsa_exception_int_div_zero 0
	.end_amdhsa_kernel
	.section	.text._ZN7rocprim17ROCPRIM_400000_NS6detail17trampoline_kernelINS0_14default_configENS1_20scan_config_selectorIxEEZZNS1_9scan_implILNS1_25lookback_scan_determinismE0ELb0ELb0ES3_N6thrust23THRUST_200600_302600_NS6detail15normal_iteratorINS9_10device_ptrIxEEEESE_x11max_functorIxExEEDaPvRmT3_T4_T5_mT6_P12ihipStream_tbENKUlT_T0_E_clISt17integral_constantIbLb0EEST_IbLb1EEEEDaSP_SQ_EUlSP_E_NS1_11comp_targetILNS1_3genE8ELNS1_11target_archE1030ELNS1_3gpuE2ELNS1_3repE0EEENS1_30default_config_static_selectorELNS0_4arch9wavefront6targetE1EEEvT1_,"axG",@progbits,_ZN7rocprim17ROCPRIM_400000_NS6detail17trampoline_kernelINS0_14default_configENS1_20scan_config_selectorIxEEZZNS1_9scan_implILNS1_25lookback_scan_determinismE0ELb0ELb0ES3_N6thrust23THRUST_200600_302600_NS6detail15normal_iteratorINS9_10device_ptrIxEEEESE_x11max_functorIxExEEDaPvRmT3_T4_T5_mT6_P12ihipStream_tbENKUlT_T0_E_clISt17integral_constantIbLb0EEST_IbLb1EEEEDaSP_SQ_EUlSP_E_NS1_11comp_targetILNS1_3genE8ELNS1_11target_archE1030ELNS1_3gpuE2ELNS1_3repE0EEENS1_30default_config_static_selectorELNS0_4arch9wavefront6targetE1EEEvT1_,comdat
.Lfunc_end2620:
	.size	_ZN7rocprim17ROCPRIM_400000_NS6detail17trampoline_kernelINS0_14default_configENS1_20scan_config_selectorIxEEZZNS1_9scan_implILNS1_25lookback_scan_determinismE0ELb0ELb0ES3_N6thrust23THRUST_200600_302600_NS6detail15normal_iteratorINS9_10device_ptrIxEEEESE_x11max_functorIxExEEDaPvRmT3_T4_T5_mT6_P12ihipStream_tbENKUlT_T0_E_clISt17integral_constantIbLb0EEST_IbLb1EEEEDaSP_SQ_EUlSP_E_NS1_11comp_targetILNS1_3genE8ELNS1_11target_archE1030ELNS1_3gpuE2ELNS1_3repE0EEENS1_30default_config_static_selectorELNS0_4arch9wavefront6targetE1EEEvT1_, .Lfunc_end2620-_ZN7rocprim17ROCPRIM_400000_NS6detail17trampoline_kernelINS0_14default_configENS1_20scan_config_selectorIxEEZZNS1_9scan_implILNS1_25lookback_scan_determinismE0ELb0ELb0ES3_N6thrust23THRUST_200600_302600_NS6detail15normal_iteratorINS9_10device_ptrIxEEEESE_x11max_functorIxExEEDaPvRmT3_T4_T5_mT6_P12ihipStream_tbENKUlT_T0_E_clISt17integral_constantIbLb0EEST_IbLb1EEEEDaSP_SQ_EUlSP_E_NS1_11comp_targetILNS1_3genE8ELNS1_11target_archE1030ELNS1_3gpuE2ELNS1_3repE0EEENS1_30default_config_static_selectorELNS0_4arch9wavefront6targetE1EEEvT1_
                                        ; -- End function
	.section	.AMDGPU.csdata,"",@progbits
; Kernel info:
; codeLenInByte = 0
; NumSgprs: 4
; NumVgprs: 0
; NumAgprs: 0
; TotalNumVgprs: 0
; ScratchSize: 0
; MemoryBound: 0
; FloatMode: 240
; IeeeMode: 1
; LDSByteSize: 0 bytes/workgroup (compile time only)
; SGPRBlocks: 0
; VGPRBlocks: 0
; NumSGPRsForWavesPerEU: 4
; NumVGPRsForWavesPerEU: 1
; AccumOffset: 4
; Occupancy: 8
; WaveLimiterHint : 0
; COMPUTE_PGM_RSRC2:SCRATCH_EN: 0
; COMPUTE_PGM_RSRC2:USER_SGPR: 6
; COMPUTE_PGM_RSRC2:TRAP_HANDLER: 0
; COMPUTE_PGM_RSRC2:TGID_X_EN: 1
; COMPUTE_PGM_RSRC2:TGID_Y_EN: 0
; COMPUTE_PGM_RSRC2:TGID_Z_EN: 0
; COMPUTE_PGM_RSRC2:TIDIG_COMP_CNT: 0
; COMPUTE_PGM_RSRC3_GFX90A:ACCUM_OFFSET: 0
; COMPUTE_PGM_RSRC3_GFX90A:TG_SPLIT: 0
	.section	.text._ZN7rocprim17ROCPRIM_400000_NS6detail17trampoline_kernelINS0_14default_configENS1_20scan_config_selectorIxEEZZNS1_9scan_implILNS1_25lookback_scan_determinismE0ELb0ELb0ES3_N6thrust23THRUST_200600_302600_NS6detail15normal_iteratorINS9_10device_ptrIxEEEESE_x11max_functorIxExEEDaPvRmT3_T4_T5_mT6_P12ihipStream_tbENKUlT_T0_E_clISt17integral_constantIbLb0EEST_IbLb1EEEEDaSP_SQ_EUlSP_E0_NS1_11comp_targetILNS1_3genE0ELNS1_11target_archE4294967295ELNS1_3gpuE0ELNS1_3repE0EEENS1_30default_config_static_selectorELNS0_4arch9wavefront6targetE1EEEvT1_,"axG",@progbits,_ZN7rocprim17ROCPRIM_400000_NS6detail17trampoline_kernelINS0_14default_configENS1_20scan_config_selectorIxEEZZNS1_9scan_implILNS1_25lookback_scan_determinismE0ELb0ELb0ES3_N6thrust23THRUST_200600_302600_NS6detail15normal_iteratorINS9_10device_ptrIxEEEESE_x11max_functorIxExEEDaPvRmT3_T4_T5_mT6_P12ihipStream_tbENKUlT_T0_E_clISt17integral_constantIbLb0EEST_IbLb1EEEEDaSP_SQ_EUlSP_E0_NS1_11comp_targetILNS1_3genE0ELNS1_11target_archE4294967295ELNS1_3gpuE0ELNS1_3repE0EEENS1_30default_config_static_selectorELNS0_4arch9wavefront6targetE1EEEvT1_,comdat
	.protected	_ZN7rocprim17ROCPRIM_400000_NS6detail17trampoline_kernelINS0_14default_configENS1_20scan_config_selectorIxEEZZNS1_9scan_implILNS1_25lookback_scan_determinismE0ELb0ELb0ES3_N6thrust23THRUST_200600_302600_NS6detail15normal_iteratorINS9_10device_ptrIxEEEESE_x11max_functorIxExEEDaPvRmT3_T4_T5_mT6_P12ihipStream_tbENKUlT_T0_E_clISt17integral_constantIbLb0EEST_IbLb1EEEEDaSP_SQ_EUlSP_E0_NS1_11comp_targetILNS1_3genE0ELNS1_11target_archE4294967295ELNS1_3gpuE0ELNS1_3repE0EEENS1_30default_config_static_selectorELNS0_4arch9wavefront6targetE1EEEvT1_ ; -- Begin function _ZN7rocprim17ROCPRIM_400000_NS6detail17trampoline_kernelINS0_14default_configENS1_20scan_config_selectorIxEEZZNS1_9scan_implILNS1_25lookback_scan_determinismE0ELb0ELb0ES3_N6thrust23THRUST_200600_302600_NS6detail15normal_iteratorINS9_10device_ptrIxEEEESE_x11max_functorIxExEEDaPvRmT3_T4_T5_mT6_P12ihipStream_tbENKUlT_T0_E_clISt17integral_constantIbLb0EEST_IbLb1EEEEDaSP_SQ_EUlSP_E0_NS1_11comp_targetILNS1_3genE0ELNS1_11target_archE4294967295ELNS1_3gpuE0ELNS1_3repE0EEENS1_30default_config_static_selectorELNS0_4arch9wavefront6targetE1EEEvT1_
	.globl	_ZN7rocprim17ROCPRIM_400000_NS6detail17trampoline_kernelINS0_14default_configENS1_20scan_config_selectorIxEEZZNS1_9scan_implILNS1_25lookback_scan_determinismE0ELb0ELb0ES3_N6thrust23THRUST_200600_302600_NS6detail15normal_iteratorINS9_10device_ptrIxEEEESE_x11max_functorIxExEEDaPvRmT3_T4_T5_mT6_P12ihipStream_tbENKUlT_T0_E_clISt17integral_constantIbLb0EEST_IbLb1EEEEDaSP_SQ_EUlSP_E0_NS1_11comp_targetILNS1_3genE0ELNS1_11target_archE4294967295ELNS1_3gpuE0ELNS1_3repE0EEENS1_30default_config_static_selectorELNS0_4arch9wavefront6targetE1EEEvT1_
	.p2align	8
	.type	_ZN7rocprim17ROCPRIM_400000_NS6detail17trampoline_kernelINS0_14default_configENS1_20scan_config_selectorIxEEZZNS1_9scan_implILNS1_25lookback_scan_determinismE0ELb0ELb0ES3_N6thrust23THRUST_200600_302600_NS6detail15normal_iteratorINS9_10device_ptrIxEEEESE_x11max_functorIxExEEDaPvRmT3_T4_T5_mT6_P12ihipStream_tbENKUlT_T0_E_clISt17integral_constantIbLb0EEST_IbLb1EEEEDaSP_SQ_EUlSP_E0_NS1_11comp_targetILNS1_3genE0ELNS1_11target_archE4294967295ELNS1_3gpuE0ELNS1_3repE0EEENS1_30default_config_static_selectorELNS0_4arch9wavefront6targetE1EEEvT1_,@function
_ZN7rocprim17ROCPRIM_400000_NS6detail17trampoline_kernelINS0_14default_configENS1_20scan_config_selectorIxEEZZNS1_9scan_implILNS1_25lookback_scan_determinismE0ELb0ELb0ES3_N6thrust23THRUST_200600_302600_NS6detail15normal_iteratorINS9_10device_ptrIxEEEESE_x11max_functorIxExEEDaPvRmT3_T4_T5_mT6_P12ihipStream_tbENKUlT_T0_E_clISt17integral_constantIbLb0EEST_IbLb1EEEEDaSP_SQ_EUlSP_E0_NS1_11comp_targetILNS1_3genE0ELNS1_11target_archE4294967295ELNS1_3gpuE0ELNS1_3repE0EEENS1_30default_config_static_selectorELNS0_4arch9wavefront6targetE1EEEvT1_: ; @_ZN7rocprim17ROCPRIM_400000_NS6detail17trampoline_kernelINS0_14default_configENS1_20scan_config_selectorIxEEZZNS1_9scan_implILNS1_25lookback_scan_determinismE0ELb0ELb0ES3_N6thrust23THRUST_200600_302600_NS6detail15normal_iteratorINS9_10device_ptrIxEEEESE_x11max_functorIxExEEDaPvRmT3_T4_T5_mT6_P12ihipStream_tbENKUlT_T0_E_clISt17integral_constantIbLb0EEST_IbLb1EEEEDaSP_SQ_EUlSP_E0_NS1_11comp_targetILNS1_3genE0ELNS1_11target_archE4294967295ELNS1_3gpuE0ELNS1_3repE0EEENS1_30default_config_static_selectorELNS0_4arch9wavefront6targetE1EEEvT1_
; %bb.0:
	.section	.rodata,"a",@progbits
	.p2align	6, 0x0
	.amdhsa_kernel _ZN7rocprim17ROCPRIM_400000_NS6detail17trampoline_kernelINS0_14default_configENS1_20scan_config_selectorIxEEZZNS1_9scan_implILNS1_25lookback_scan_determinismE0ELb0ELb0ES3_N6thrust23THRUST_200600_302600_NS6detail15normal_iteratorINS9_10device_ptrIxEEEESE_x11max_functorIxExEEDaPvRmT3_T4_T5_mT6_P12ihipStream_tbENKUlT_T0_E_clISt17integral_constantIbLb0EEST_IbLb1EEEEDaSP_SQ_EUlSP_E0_NS1_11comp_targetILNS1_3genE0ELNS1_11target_archE4294967295ELNS1_3gpuE0ELNS1_3repE0EEENS1_30default_config_static_selectorELNS0_4arch9wavefront6targetE1EEEvT1_
		.amdhsa_group_segment_fixed_size 0
		.amdhsa_private_segment_fixed_size 0
		.amdhsa_kernarg_size 40
		.amdhsa_user_sgpr_count 6
		.amdhsa_user_sgpr_private_segment_buffer 1
		.amdhsa_user_sgpr_dispatch_ptr 0
		.amdhsa_user_sgpr_queue_ptr 0
		.amdhsa_user_sgpr_kernarg_segment_ptr 1
		.amdhsa_user_sgpr_dispatch_id 0
		.amdhsa_user_sgpr_flat_scratch_init 0
		.amdhsa_user_sgpr_kernarg_preload_length 0
		.amdhsa_user_sgpr_kernarg_preload_offset 0
		.amdhsa_user_sgpr_private_segment_size 0
		.amdhsa_uses_dynamic_stack 0
		.amdhsa_system_sgpr_private_segment_wavefront_offset 0
		.amdhsa_system_sgpr_workgroup_id_x 1
		.amdhsa_system_sgpr_workgroup_id_y 0
		.amdhsa_system_sgpr_workgroup_id_z 0
		.amdhsa_system_sgpr_workgroup_info 0
		.amdhsa_system_vgpr_workitem_id 0
		.amdhsa_next_free_vgpr 1
		.amdhsa_next_free_sgpr 0
		.amdhsa_accum_offset 4
		.amdhsa_reserve_vcc 0
		.amdhsa_reserve_flat_scratch 0
		.amdhsa_float_round_mode_32 0
		.amdhsa_float_round_mode_16_64 0
		.amdhsa_float_denorm_mode_32 3
		.amdhsa_float_denorm_mode_16_64 3
		.amdhsa_dx10_clamp 1
		.amdhsa_ieee_mode 1
		.amdhsa_fp16_overflow 0
		.amdhsa_tg_split 0
		.amdhsa_exception_fp_ieee_invalid_op 0
		.amdhsa_exception_fp_denorm_src 0
		.amdhsa_exception_fp_ieee_div_zero 0
		.amdhsa_exception_fp_ieee_overflow 0
		.amdhsa_exception_fp_ieee_underflow 0
		.amdhsa_exception_fp_ieee_inexact 0
		.amdhsa_exception_int_div_zero 0
	.end_amdhsa_kernel
	.section	.text._ZN7rocprim17ROCPRIM_400000_NS6detail17trampoline_kernelINS0_14default_configENS1_20scan_config_selectorIxEEZZNS1_9scan_implILNS1_25lookback_scan_determinismE0ELb0ELb0ES3_N6thrust23THRUST_200600_302600_NS6detail15normal_iteratorINS9_10device_ptrIxEEEESE_x11max_functorIxExEEDaPvRmT3_T4_T5_mT6_P12ihipStream_tbENKUlT_T0_E_clISt17integral_constantIbLb0EEST_IbLb1EEEEDaSP_SQ_EUlSP_E0_NS1_11comp_targetILNS1_3genE0ELNS1_11target_archE4294967295ELNS1_3gpuE0ELNS1_3repE0EEENS1_30default_config_static_selectorELNS0_4arch9wavefront6targetE1EEEvT1_,"axG",@progbits,_ZN7rocprim17ROCPRIM_400000_NS6detail17trampoline_kernelINS0_14default_configENS1_20scan_config_selectorIxEEZZNS1_9scan_implILNS1_25lookback_scan_determinismE0ELb0ELb0ES3_N6thrust23THRUST_200600_302600_NS6detail15normal_iteratorINS9_10device_ptrIxEEEESE_x11max_functorIxExEEDaPvRmT3_T4_T5_mT6_P12ihipStream_tbENKUlT_T0_E_clISt17integral_constantIbLb0EEST_IbLb1EEEEDaSP_SQ_EUlSP_E0_NS1_11comp_targetILNS1_3genE0ELNS1_11target_archE4294967295ELNS1_3gpuE0ELNS1_3repE0EEENS1_30default_config_static_selectorELNS0_4arch9wavefront6targetE1EEEvT1_,comdat
.Lfunc_end2621:
	.size	_ZN7rocprim17ROCPRIM_400000_NS6detail17trampoline_kernelINS0_14default_configENS1_20scan_config_selectorIxEEZZNS1_9scan_implILNS1_25lookback_scan_determinismE0ELb0ELb0ES3_N6thrust23THRUST_200600_302600_NS6detail15normal_iteratorINS9_10device_ptrIxEEEESE_x11max_functorIxExEEDaPvRmT3_T4_T5_mT6_P12ihipStream_tbENKUlT_T0_E_clISt17integral_constantIbLb0EEST_IbLb1EEEEDaSP_SQ_EUlSP_E0_NS1_11comp_targetILNS1_3genE0ELNS1_11target_archE4294967295ELNS1_3gpuE0ELNS1_3repE0EEENS1_30default_config_static_selectorELNS0_4arch9wavefront6targetE1EEEvT1_, .Lfunc_end2621-_ZN7rocprim17ROCPRIM_400000_NS6detail17trampoline_kernelINS0_14default_configENS1_20scan_config_selectorIxEEZZNS1_9scan_implILNS1_25lookback_scan_determinismE0ELb0ELb0ES3_N6thrust23THRUST_200600_302600_NS6detail15normal_iteratorINS9_10device_ptrIxEEEESE_x11max_functorIxExEEDaPvRmT3_T4_T5_mT6_P12ihipStream_tbENKUlT_T0_E_clISt17integral_constantIbLb0EEST_IbLb1EEEEDaSP_SQ_EUlSP_E0_NS1_11comp_targetILNS1_3genE0ELNS1_11target_archE4294967295ELNS1_3gpuE0ELNS1_3repE0EEENS1_30default_config_static_selectorELNS0_4arch9wavefront6targetE1EEEvT1_
                                        ; -- End function
	.section	.AMDGPU.csdata,"",@progbits
; Kernel info:
; codeLenInByte = 0
; NumSgprs: 4
; NumVgprs: 0
; NumAgprs: 0
; TotalNumVgprs: 0
; ScratchSize: 0
; MemoryBound: 0
; FloatMode: 240
; IeeeMode: 1
; LDSByteSize: 0 bytes/workgroup (compile time only)
; SGPRBlocks: 0
; VGPRBlocks: 0
; NumSGPRsForWavesPerEU: 4
; NumVGPRsForWavesPerEU: 1
; AccumOffset: 4
; Occupancy: 8
; WaveLimiterHint : 0
; COMPUTE_PGM_RSRC2:SCRATCH_EN: 0
; COMPUTE_PGM_RSRC2:USER_SGPR: 6
; COMPUTE_PGM_RSRC2:TRAP_HANDLER: 0
; COMPUTE_PGM_RSRC2:TGID_X_EN: 1
; COMPUTE_PGM_RSRC2:TGID_Y_EN: 0
; COMPUTE_PGM_RSRC2:TGID_Z_EN: 0
; COMPUTE_PGM_RSRC2:TIDIG_COMP_CNT: 0
; COMPUTE_PGM_RSRC3_GFX90A:ACCUM_OFFSET: 0
; COMPUTE_PGM_RSRC3_GFX90A:TG_SPLIT: 0
	.section	.text._ZN7rocprim17ROCPRIM_400000_NS6detail17trampoline_kernelINS0_14default_configENS1_20scan_config_selectorIxEEZZNS1_9scan_implILNS1_25lookback_scan_determinismE0ELb0ELb0ES3_N6thrust23THRUST_200600_302600_NS6detail15normal_iteratorINS9_10device_ptrIxEEEESE_x11max_functorIxExEEDaPvRmT3_T4_T5_mT6_P12ihipStream_tbENKUlT_T0_E_clISt17integral_constantIbLb0EEST_IbLb1EEEEDaSP_SQ_EUlSP_E0_NS1_11comp_targetILNS1_3genE5ELNS1_11target_archE942ELNS1_3gpuE9ELNS1_3repE0EEENS1_30default_config_static_selectorELNS0_4arch9wavefront6targetE1EEEvT1_,"axG",@progbits,_ZN7rocprim17ROCPRIM_400000_NS6detail17trampoline_kernelINS0_14default_configENS1_20scan_config_selectorIxEEZZNS1_9scan_implILNS1_25lookback_scan_determinismE0ELb0ELb0ES3_N6thrust23THRUST_200600_302600_NS6detail15normal_iteratorINS9_10device_ptrIxEEEESE_x11max_functorIxExEEDaPvRmT3_T4_T5_mT6_P12ihipStream_tbENKUlT_T0_E_clISt17integral_constantIbLb0EEST_IbLb1EEEEDaSP_SQ_EUlSP_E0_NS1_11comp_targetILNS1_3genE5ELNS1_11target_archE942ELNS1_3gpuE9ELNS1_3repE0EEENS1_30default_config_static_selectorELNS0_4arch9wavefront6targetE1EEEvT1_,comdat
	.protected	_ZN7rocprim17ROCPRIM_400000_NS6detail17trampoline_kernelINS0_14default_configENS1_20scan_config_selectorIxEEZZNS1_9scan_implILNS1_25lookback_scan_determinismE0ELb0ELb0ES3_N6thrust23THRUST_200600_302600_NS6detail15normal_iteratorINS9_10device_ptrIxEEEESE_x11max_functorIxExEEDaPvRmT3_T4_T5_mT6_P12ihipStream_tbENKUlT_T0_E_clISt17integral_constantIbLb0EEST_IbLb1EEEEDaSP_SQ_EUlSP_E0_NS1_11comp_targetILNS1_3genE5ELNS1_11target_archE942ELNS1_3gpuE9ELNS1_3repE0EEENS1_30default_config_static_selectorELNS0_4arch9wavefront6targetE1EEEvT1_ ; -- Begin function _ZN7rocprim17ROCPRIM_400000_NS6detail17trampoline_kernelINS0_14default_configENS1_20scan_config_selectorIxEEZZNS1_9scan_implILNS1_25lookback_scan_determinismE0ELb0ELb0ES3_N6thrust23THRUST_200600_302600_NS6detail15normal_iteratorINS9_10device_ptrIxEEEESE_x11max_functorIxExEEDaPvRmT3_T4_T5_mT6_P12ihipStream_tbENKUlT_T0_E_clISt17integral_constantIbLb0EEST_IbLb1EEEEDaSP_SQ_EUlSP_E0_NS1_11comp_targetILNS1_3genE5ELNS1_11target_archE942ELNS1_3gpuE9ELNS1_3repE0EEENS1_30default_config_static_selectorELNS0_4arch9wavefront6targetE1EEEvT1_
	.globl	_ZN7rocprim17ROCPRIM_400000_NS6detail17trampoline_kernelINS0_14default_configENS1_20scan_config_selectorIxEEZZNS1_9scan_implILNS1_25lookback_scan_determinismE0ELb0ELb0ES3_N6thrust23THRUST_200600_302600_NS6detail15normal_iteratorINS9_10device_ptrIxEEEESE_x11max_functorIxExEEDaPvRmT3_T4_T5_mT6_P12ihipStream_tbENKUlT_T0_E_clISt17integral_constantIbLb0EEST_IbLb1EEEEDaSP_SQ_EUlSP_E0_NS1_11comp_targetILNS1_3genE5ELNS1_11target_archE942ELNS1_3gpuE9ELNS1_3repE0EEENS1_30default_config_static_selectorELNS0_4arch9wavefront6targetE1EEEvT1_
	.p2align	8
	.type	_ZN7rocprim17ROCPRIM_400000_NS6detail17trampoline_kernelINS0_14default_configENS1_20scan_config_selectorIxEEZZNS1_9scan_implILNS1_25lookback_scan_determinismE0ELb0ELb0ES3_N6thrust23THRUST_200600_302600_NS6detail15normal_iteratorINS9_10device_ptrIxEEEESE_x11max_functorIxExEEDaPvRmT3_T4_T5_mT6_P12ihipStream_tbENKUlT_T0_E_clISt17integral_constantIbLb0EEST_IbLb1EEEEDaSP_SQ_EUlSP_E0_NS1_11comp_targetILNS1_3genE5ELNS1_11target_archE942ELNS1_3gpuE9ELNS1_3repE0EEENS1_30default_config_static_selectorELNS0_4arch9wavefront6targetE1EEEvT1_,@function
_ZN7rocprim17ROCPRIM_400000_NS6detail17trampoline_kernelINS0_14default_configENS1_20scan_config_selectorIxEEZZNS1_9scan_implILNS1_25lookback_scan_determinismE0ELb0ELb0ES3_N6thrust23THRUST_200600_302600_NS6detail15normal_iteratorINS9_10device_ptrIxEEEESE_x11max_functorIxExEEDaPvRmT3_T4_T5_mT6_P12ihipStream_tbENKUlT_T0_E_clISt17integral_constantIbLb0EEST_IbLb1EEEEDaSP_SQ_EUlSP_E0_NS1_11comp_targetILNS1_3genE5ELNS1_11target_archE942ELNS1_3gpuE9ELNS1_3repE0EEENS1_30default_config_static_selectorELNS0_4arch9wavefront6targetE1EEEvT1_: ; @_ZN7rocprim17ROCPRIM_400000_NS6detail17trampoline_kernelINS0_14default_configENS1_20scan_config_selectorIxEEZZNS1_9scan_implILNS1_25lookback_scan_determinismE0ELb0ELb0ES3_N6thrust23THRUST_200600_302600_NS6detail15normal_iteratorINS9_10device_ptrIxEEEESE_x11max_functorIxExEEDaPvRmT3_T4_T5_mT6_P12ihipStream_tbENKUlT_T0_E_clISt17integral_constantIbLb0EEST_IbLb1EEEEDaSP_SQ_EUlSP_E0_NS1_11comp_targetILNS1_3genE5ELNS1_11target_archE942ELNS1_3gpuE9ELNS1_3repE0EEENS1_30default_config_static_selectorELNS0_4arch9wavefront6targetE1EEEvT1_
; %bb.0:
	.section	.rodata,"a",@progbits
	.p2align	6, 0x0
	.amdhsa_kernel _ZN7rocprim17ROCPRIM_400000_NS6detail17trampoline_kernelINS0_14default_configENS1_20scan_config_selectorIxEEZZNS1_9scan_implILNS1_25lookback_scan_determinismE0ELb0ELb0ES3_N6thrust23THRUST_200600_302600_NS6detail15normal_iteratorINS9_10device_ptrIxEEEESE_x11max_functorIxExEEDaPvRmT3_T4_T5_mT6_P12ihipStream_tbENKUlT_T0_E_clISt17integral_constantIbLb0EEST_IbLb1EEEEDaSP_SQ_EUlSP_E0_NS1_11comp_targetILNS1_3genE5ELNS1_11target_archE942ELNS1_3gpuE9ELNS1_3repE0EEENS1_30default_config_static_selectorELNS0_4arch9wavefront6targetE1EEEvT1_
		.amdhsa_group_segment_fixed_size 0
		.amdhsa_private_segment_fixed_size 0
		.amdhsa_kernarg_size 40
		.amdhsa_user_sgpr_count 6
		.amdhsa_user_sgpr_private_segment_buffer 1
		.amdhsa_user_sgpr_dispatch_ptr 0
		.amdhsa_user_sgpr_queue_ptr 0
		.amdhsa_user_sgpr_kernarg_segment_ptr 1
		.amdhsa_user_sgpr_dispatch_id 0
		.amdhsa_user_sgpr_flat_scratch_init 0
		.amdhsa_user_sgpr_kernarg_preload_length 0
		.amdhsa_user_sgpr_kernarg_preload_offset 0
		.amdhsa_user_sgpr_private_segment_size 0
		.amdhsa_uses_dynamic_stack 0
		.amdhsa_system_sgpr_private_segment_wavefront_offset 0
		.amdhsa_system_sgpr_workgroup_id_x 1
		.amdhsa_system_sgpr_workgroup_id_y 0
		.amdhsa_system_sgpr_workgroup_id_z 0
		.amdhsa_system_sgpr_workgroup_info 0
		.amdhsa_system_vgpr_workitem_id 0
		.amdhsa_next_free_vgpr 1
		.amdhsa_next_free_sgpr 0
		.amdhsa_accum_offset 4
		.amdhsa_reserve_vcc 0
		.amdhsa_reserve_flat_scratch 0
		.amdhsa_float_round_mode_32 0
		.amdhsa_float_round_mode_16_64 0
		.amdhsa_float_denorm_mode_32 3
		.amdhsa_float_denorm_mode_16_64 3
		.amdhsa_dx10_clamp 1
		.amdhsa_ieee_mode 1
		.amdhsa_fp16_overflow 0
		.amdhsa_tg_split 0
		.amdhsa_exception_fp_ieee_invalid_op 0
		.amdhsa_exception_fp_denorm_src 0
		.amdhsa_exception_fp_ieee_div_zero 0
		.amdhsa_exception_fp_ieee_overflow 0
		.amdhsa_exception_fp_ieee_underflow 0
		.amdhsa_exception_fp_ieee_inexact 0
		.amdhsa_exception_int_div_zero 0
	.end_amdhsa_kernel
	.section	.text._ZN7rocprim17ROCPRIM_400000_NS6detail17trampoline_kernelINS0_14default_configENS1_20scan_config_selectorIxEEZZNS1_9scan_implILNS1_25lookback_scan_determinismE0ELb0ELb0ES3_N6thrust23THRUST_200600_302600_NS6detail15normal_iteratorINS9_10device_ptrIxEEEESE_x11max_functorIxExEEDaPvRmT3_T4_T5_mT6_P12ihipStream_tbENKUlT_T0_E_clISt17integral_constantIbLb0EEST_IbLb1EEEEDaSP_SQ_EUlSP_E0_NS1_11comp_targetILNS1_3genE5ELNS1_11target_archE942ELNS1_3gpuE9ELNS1_3repE0EEENS1_30default_config_static_selectorELNS0_4arch9wavefront6targetE1EEEvT1_,"axG",@progbits,_ZN7rocprim17ROCPRIM_400000_NS6detail17trampoline_kernelINS0_14default_configENS1_20scan_config_selectorIxEEZZNS1_9scan_implILNS1_25lookback_scan_determinismE0ELb0ELb0ES3_N6thrust23THRUST_200600_302600_NS6detail15normal_iteratorINS9_10device_ptrIxEEEESE_x11max_functorIxExEEDaPvRmT3_T4_T5_mT6_P12ihipStream_tbENKUlT_T0_E_clISt17integral_constantIbLb0EEST_IbLb1EEEEDaSP_SQ_EUlSP_E0_NS1_11comp_targetILNS1_3genE5ELNS1_11target_archE942ELNS1_3gpuE9ELNS1_3repE0EEENS1_30default_config_static_selectorELNS0_4arch9wavefront6targetE1EEEvT1_,comdat
.Lfunc_end2622:
	.size	_ZN7rocprim17ROCPRIM_400000_NS6detail17trampoline_kernelINS0_14default_configENS1_20scan_config_selectorIxEEZZNS1_9scan_implILNS1_25lookback_scan_determinismE0ELb0ELb0ES3_N6thrust23THRUST_200600_302600_NS6detail15normal_iteratorINS9_10device_ptrIxEEEESE_x11max_functorIxExEEDaPvRmT3_T4_T5_mT6_P12ihipStream_tbENKUlT_T0_E_clISt17integral_constantIbLb0EEST_IbLb1EEEEDaSP_SQ_EUlSP_E0_NS1_11comp_targetILNS1_3genE5ELNS1_11target_archE942ELNS1_3gpuE9ELNS1_3repE0EEENS1_30default_config_static_selectorELNS0_4arch9wavefront6targetE1EEEvT1_, .Lfunc_end2622-_ZN7rocprim17ROCPRIM_400000_NS6detail17trampoline_kernelINS0_14default_configENS1_20scan_config_selectorIxEEZZNS1_9scan_implILNS1_25lookback_scan_determinismE0ELb0ELb0ES3_N6thrust23THRUST_200600_302600_NS6detail15normal_iteratorINS9_10device_ptrIxEEEESE_x11max_functorIxExEEDaPvRmT3_T4_T5_mT6_P12ihipStream_tbENKUlT_T0_E_clISt17integral_constantIbLb0EEST_IbLb1EEEEDaSP_SQ_EUlSP_E0_NS1_11comp_targetILNS1_3genE5ELNS1_11target_archE942ELNS1_3gpuE9ELNS1_3repE0EEENS1_30default_config_static_selectorELNS0_4arch9wavefront6targetE1EEEvT1_
                                        ; -- End function
	.section	.AMDGPU.csdata,"",@progbits
; Kernel info:
; codeLenInByte = 0
; NumSgprs: 4
; NumVgprs: 0
; NumAgprs: 0
; TotalNumVgprs: 0
; ScratchSize: 0
; MemoryBound: 0
; FloatMode: 240
; IeeeMode: 1
; LDSByteSize: 0 bytes/workgroup (compile time only)
; SGPRBlocks: 0
; VGPRBlocks: 0
; NumSGPRsForWavesPerEU: 4
; NumVGPRsForWavesPerEU: 1
; AccumOffset: 4
; Occupancy: 8
; WaveLimiterHint : 0
; COMPUTE_PGM_RSRC2:SCRATCH_EN: 0
; COMPUTE_PGM_RSRC2:USER_SGPR: 6
; COMPUTE_PGM_RSRC2:TRAP_HANDLER: 0
; COMPUTE_PGM_RSRC2:TGID_X_EN: 1
; COMPUTE_PGM_RSRC2:TGID_Y_EN: 0
; COMPUTE_PGM_RSRC2:TGID_Z_EN: 0
; COMPUTE_PGM_RSRC2:TIDIG_COMP_CNT: 0
; COMPUTE_PGM_RSRC3_GFX90A:ACCUM_OFFSET: 0
; COMPUTE_PGM_RSRC3_GFX90A:TG_SPLIT: 0
	.section	.text._ZN7rocprim17ROCPRIM_400000_NS6detail17trampoline_kernelINS0_14default_configENS1_20scan_config_selectorIxEEZZNS1_9scan_implILNS1_25lookback_scan_determinismE0ELb0ELb0ES3_N6thrust23THRUST_200600_302600_NS6detail15normal_iteratorINS9_10device_ptrIxEEEESE_x11max_functorIxExEEDaPvRmT3_T4_T5_mT6_P12ihipStream_tbENKUlT_T0_E_clISt17integral_constantIbLb0EEST_IbLb1EEEEDaSP_SQ_EUlSP_E0_NS1_11comp_targetILNS1_3genE4ELNS1_11target_archE910ELNS1_3gpuE8ELNS1_3repE0EEENS1_30default_config_static_selectorELNS0_4arch9wavefront6targetE1EEEvT1_,"axG",@progbits,_ZN7rocprim17ROCPRIM_400000_NS6detail17trampoline_kernelINS0_14default_configENS1_20scan_config_selectorIxEEZZNS1_9scan_implILNS1_25lookback_scan_determinismE0ELb0ELb0ES3_N6thrust23THRUST_200600_302600_NS6detail15normal_iteratorINS9_10device_ptrIxEEEESE_x11max_functorIxExEEDaPvRmT3_T4_T5_mT6_P12ihipStream_tbENKUlT_T0_E_clISt17integral_constantIbLb0EEST_IbLb1EEEEDaSP_SQ_EUlSP_E0_NS1_11comp_targetILNS1_3genE4ELNS1_11target_archE910ELNS1_3gpuE8ELNS1_3repE0EEENS1_30default_config_static_selectorELNS0_4arch9wavefront6targetE1EEEvT1_,comdat
	.protected	_ZN7rocprim17ROCPRIM_400000_NS6detail17trampoline_kernelINS0_14default_configENS1_20scan_config_selectorIxEEZZNS1_9scan_implILNS1_25lookback_scan_determinismE0ELb0ELb0ES3_N6thrust23THRUST_200600_302600_NS6detail15normal_iteratorINS9_10device_ptrIxEEEESE_x11max_functorIxExEEDaPvRmT3_T4_T5_mT6_P12ihipStream_tbENKUlT_T0_E_clISt17integral_constantIbLb0EEST_IbLb1EEEEDaSP_SQ_EUlSP_E0_NS1_11comp_targetILNS1_3genE4ELNS1_11target_archE910ELNS1_3gpuE8ELNS1_3repE0EEENS1_30default_config_static_selectorELNS0_4arch9wavefront6targetE1EEEvT1_ ; -- Begin function _ZN7rocprim17ROCPRIM_400000_NS6detail17trampoline_kernelINS0_14default_configENS1_20scan_config_selectorIxEEZZNS1_9scan_implILNS1_25lookback_scan_determinismE0ELb0ELb0ES3_N6thrust23THRUST_200600_302600_NS6detail15normal_iteratorINS9_10device_ptrIxEEEESE_x11max_functorIxExEEDaPvRmT3_T4_T5_mT6_P12ihipStream_tbENKUlT_T0_E_clISt17integral_constantIbLb0EEST_IbLb1EEEEDaSP_SQ_EUlSP_E0_NS1_11comp_targetILNS1_3genE4ELNS1_11target_archE910ELNS1_3gpuE8ELNS1_3repE0EEENS1_30default_config_static_selectorELNS0_4arch9wavefront6targetE1EEEvT1_
	.globl	_ZN7rocprim17ROCPRIM_400000_NS6detail17trampoline_kernelINS0_14default_configENS1_20scan_config_selectorIxEEZZNS1_9scan_implILNS1_25lookback_scan_determinismE0ELb0ELb0ES3_N6thrust23THRUST_200600_302600_NS6detail15normal_iteratorINS9_10device_ptrIxEEEESE_x11max_functorIxExEEDaPvRmT3_T4_T5_mT6_P12ihipStream_tbENKUlT_T0_E_clISt17integral_constantIbLb0EEST_IbLb1EEEEDaSP_SQ_EUlSP_E0_NS1_11comp_targetILNS1_3genE4ELNS1_11target_archE910ELNS1_3gpuE8ELNS1_3repE0EEENS1_30default_config_static_selectorELNS0_4arch9wavefront6targetE1EEEvT1_
	.p2align	8
	.type	_ZN7rocprim17ROCPRIM_400000_NS6detail17trampoline_kernelINS0_14default_configENS1_20scan_config_selectorIxEEZZNS1_9scan_implILNS1_25lookback_scan_determinismE0ELb0ELb0ES3_N6thrust23THRUST_200600_302600_NS6detail15normal_iteratorINS9_10device_ptrIxEEEESE_x11max_functorIxExEEDaPvRmT3_T4_T5_mT6_P12ihipStream_tbENKUlT_T0_E_clISt17integral_constantIbLb0EEST_IbLb1EEEEDaSP_SQ_EUlSP_E0_NS1_11comp_targetILNS1_3genE4ELNS1_11target_archE910ELNS1_3gpuE8ELNS1_3repE0EEENS1_30default_config_static_selectorELNS0_4arch9wavefront6targetE1EEEvT1_,@function
_ZN7rocprim17ROCPRIM_400000_NS6detail17trampoline_kernelINS0_14default_configENS1_20scan_config_selectorIxEEZZNS1_9scan_implILNS1_25lookback_scan_determinismE0ELb0ELb0ES3_N6thrust23THRUST_200600_302600_NS6detail15normal_iteratorINS9_10device_ptrIxEEEESE_x11max_functorIxExEEDaPvRmT3_T4_T5_mT6_P12ihipStream_tbENKUlT_T0_E_clISt17integral_constantIbLb0EEST_IbLb1EEEEDaSP_SQ_EUlSP_E0_NS1_11comp_targetILNS1_3genE4ELNS1_11target_archE910ELNS1_3gpuE8ELNS1_3repE0EEENS1_30default_config_static_selectorELNS0_4arch9wavefront6targetE1EEEvT1_: ; @_ZN7rocprim17ROCPRIM_400000_NS6detail17trampoline_kernelINS0_14default_configENS1_20scan_config_selectorIxEEZZNS1_9scan_implILNS1_25lookback_scan_determinismE0ELb0ELb0ES3_N6thrust23THRUST_200600_302600_NS6detail15normal_iteratorINS9_10device_ptrIxEEEESE_x11max_functorIxExEEDaPvRmT3_T4_T5_mT6_P12ihipStream_tbENKUlT_T0_E_clISt17integral_constantIbLb0EEST_IbLb1EEEEDaSP_SQ_EUlSP_E0_NS1_11comp_targetILNS1_3genE4ELNS1_11target_archE910ELNS1_3gpuE8ELNS1_3repE0EEENS1_30default_config_static_selectorELNS0_4arch9wavefront6targetE1EEEvT1_
; %bb.0:
	s_load_dwordx4 s[16:19], s[4:5], 0x0
	v_lshlrev_b32_e32 v36, 3, v0
	s_waitcnt lgkmcnt(0)
	s_load_dwordx2 s[14:15], s[16:17], 0x0
	v_cmp_gt_u32_e32 vcc, s18, v0
	s_waitcnt lgkmcnt(0)
	v_pk_mov_b32 v[2:3], s[14:15], s[14:15] op_sel:[0,1]
	s_and_saveexec_b64 s[0:1], vcc
	s_cbranch_execz .LBB2623_2
; %bb.1:
	global_load_dwordx2 v[2:3], v36, s[16:17]
.LBB2623_2:
	s_or_b64 exec, exec, s[0:1]
	v_or_b32_e32 v1, 0x80, v0
	v_cmp_gt_u32_e64 s[0:1], s18, v1
	v_pk_mov_b32 v[4:5], s[14:15], s[14:15] op_sel:[0,1]
	s_and_saveexec_b64 s[2:3], s[0:1]
	s_cbranch_execz .LBB2623_4
; %bb.3:
	global_load_dwordx2 v[4:5], v36, s[16:17] offset:1024
.LBB2623_4:
	s_or_b64 exec, exec, s[2:3]
	v_or_b32_e32 v1, 0x100, v0
	v_cmp_gt_u32_e64 s[2:3], s18, v1
	v_pk_mov_b32 v[6:7], s[14:15], s[14:15] op_sel:[0,1]
	s_and_saveexec_b64 s[6:7], s[2:3]
	s_cbranch_execz .LBB2623_6
; %bb.5:
	global_load_dwordx2 v[6:7], v36, s[16:17] offset:2048
.LBB2623_6:
	;; [unrolled: 9-line block ×3, first 2 shown]
	s_or_b64 exec, exec, s[6:7]
	v_or_b32_e32 v1, 0x200, v0
	v_cmp_gt_u32_e64 s[6:7], s18, v1
	v_pk_mov_b32 v[10:11], s[14:15], s[14:15] op_sel:[0,1]
	s_and_saveexec_b64 s[8:9], s[6:7]
	s_cbranch_execz .LBB2623_10
; %bb.9:
	v_lshlrev_b32_e32 v1, 3, v1
	global_load_dwordx2 v[10:11], v1, s[16:17]
.LBB2623_10:
	s_or_b64 exec, exec, s[8:9]
	v_or_b32_e32 v1, 0x280, v0
	v_cmp_gt_u32_e64 s[8:9], s18, v1
	v_pk_mov_b32 v[12:13], s[14:15], s[14:15] op_sel:[0,1]
	s_and_saveexec_b64 s[10:11], s[8:9]
	s_cbranch_execz .LBB2623_12
; %bb.11:
	v_lshlrev_b32_e32 v1, 3, v1
	global_load_dwordx2 v[12:13], v1, s[16:17]
.LBB2623_12:
	;; [unrolled: 10-line block ×3, first 2 shown]
	s_or_b64 exec, exec, s[14:15]
	v_mad_u32_u24 v1, v0, 48, v36
	s_waitcnt vmcnt(0)
	ds_write2st64_b64 v36, v[2:3], v[4:5] offset1:2
	ds_write2st64_b64 v36, v[6:7], v[8:9] offset0:4 offset1:6
	ds_write2st64_b64 v36, v[10:11], v[12:13] offset0:8 offset1:10
	ds_write_b64 v36, v[14:15] offset:6144
	s_waitcnt lgkmcnt(0)
	s_barrier
	ds_read2_b64 v[2:5], v1 offset1:1
	ds_read2_b64 v[10:13], v1 offset0:2 offset1:3
	ds_read2_b64 v[6:9], v1 offset0:4 offset1:5
	ds_read_b64 v[26:27], v1 offset:48
	s_load_dwordx2 s[16:17], s[4:5], 0x20
	s_waitcnt lgkmcnt(0)
	v_cmp_gt_i64_e64 s[4:5], v[2:3], v[4:5]
	v_cndmask_b32_e64 v19, v5, v3, s[4:5]
	v_cndmask_b32_e64 v18, v4, v2, s[4:5]
	v_cmp_gt_i64_e64 s[4:5], v[18:19], v[10:11]
	v_cndmask_b32_e64 v21, v11, v19, s[4:5]
	v_cndmask_b32_e64 v20, v10, v18, s[4:5]
	;; [unrolled: 3-line block ×5, first 2 shown]
	v_lshrrev_b32_e32 v14, 2, v0
	v_cmp_gt_i64_e64 s[4:5], v[28:29], v[26:27]
	v_and_b32_e32 v14, 24, v14
	v_cndmask_b32_e64 v31, v27, v29, s[4:5]
	v_cndmask_b32_e64 v30, v26, v28, s[4:5]
	v_add_u32_e32 v14, v36, v14
	v_cmp_gt_u32_e64 s[4:5], 64, v0
	s_barrier
	ds_write_b64 v14, v[30:31]
	s_waitcnt lgkmcnt(0)
	s_barrier
	s_and_saveexec_b64 s[18:19], s[4:5]
	s_cbranch_execz .LBB2623_18
; %bb.15:
	v_lshlrev_b32_e32 v14, 1, v0
	v_lshrrev_b32_e32 v15, 4, v0
	v_add_lshl_u32 v37, v15, v14, 3
	ds_read2_b64 v[14:17], v37 offset1:1
	v_mbcnt_lo_u32_b32 v32, -1, 0
	v_mbcnt_hi_u32_b32 v38, -1, v32
	v_and_b32_e32 v39, 15, v38
	v_and_b32_e32 v41, 16, v38
	s_waitcnt lgkmcnt(0)
	v_cmp_gt_i64_e64 s[4:5], v[14:15], v[16:17]
	v_cndmask_b32_e64 v17, v17, v15, s[4:5]
	v_cndmask_b32_e64 v16, v16, v14, s[4:5]
	v_cmp_ne_u32_e64 s[14:15], 0, v38
	v_mov_b32_dpp v33, v17 row_shr:1 row_mask:0xf bank_mask:0xf
	v_mov_b32_dpp v32, v16 row_shr:1 row_mask:0xf bank_mask:0xf
	v_cmp_gt_i64_e64 s[4:5], v[32:33], v[16:17]
	v_cndmask_b32_e64 v32, v16, v32, s[4:5]
	v_cndmask_b32_e64 v33, v17, v33, s[4:5]
	v_cmp_eq_u32_e64 s[4:5], 0, v39
	v_cndmask_b32_e64 v33, v33, v17, s[4:5]
	v_cndmask_b32_e64 v32, v32, v16, s[4:5]
	s_nop 0
	v_mov_b32_dpp v35, v33 row_shr:2 row_mask:0xf bank_mask:0xf
	v_mov_b32_dpp v34, v32 row_shr:2 row_mask:0xf bank_mask:0xf
	v_cmp_gt_i64_e64 s[4:5], v[34:35], v[32:33]
	v_cndmask_b32_e64 v34, v32, v34, s[4:5]
	v_cndmask_b32_e64 v35, v33, v35, s[4:5]
	v_cmp_lt_u32_e64 s[4:5], 1, v39
	v_cndmask_b32_e64 v33, v33, v35, s[4:5]
	v_cndmask_b32_e64 v32, v32, v34, s[4:5]
	s_nop 0
	v_mov_b32_dpp v35, v33 row_shr:4 row_mask:0xf bank_mask:0xf
	v_mov_b32_dpp v34, v32 row_shr:4 row_mask:0xf bank_mask:0xf
	v_cmp_gt_i64_e64 s[4:5], v[34:35], v[32:33]
	v_cndmask_b32_e64 v34, v32, v34, s[4:5]
	v_cndmask_b32_e64 v35, v33, v35, s[4:5]
	v_cmp_lt_u32_e64 s[4:5], 3, v39
	;; [unrolled: 9-line block ×3, first 2 shown]
	v_cndmask_b32_e64 v33, v33, v35, s[4:5]
	v_cndmask_b32_e64 v32, v32, v34, s[4:5]
	s_nop 0
	v_mov_b32_dpp v35, v33 row_bcast:15 row_mask:0xf bank_mask:0xf
	v_mov_b32_dpp v34, v32 row_bcast:15 row_mask:0xf bank_mask:0xf
	v_cmp_gt_i64_e64 s[4:5], v[34:35], v[32:33]
	v_cndmask_b32_e64 v39, v33, v35, s[4:5]
	v_cndmask_b32_e64 v40, v32, v34, s[4:5]
	v_cmp_eq_u32_e64 s[4:5], 0, v41
	v_cndmask_b32_e64 v35, v39, v33, s[4:5]
	v_cndmask_b32_e64 v34, v40, v32, s[4:5]
	s_nop 0
	v_mov_b32_dpp v35, v35 row_bcast:31 row_mask:0xf bank_mask:0xf
	v_mov_b32_dpp v34, v34 row_bcast:31 row_mask:0xf bank_mask:0xf
	s_and_saveexec_b64 s[20:21], s[14:15]
; %bb.16:
	v_cndmask_b32_e64 v17, v39, v33, s[4:5]
	v_cndmask_b32_e64 v16, v40, v32, s[4:5]
	v_cmp_lt_u32_e64 s[14:15], 31, v38
	v_cmp_gt_i64_e64 s[4:5], v[34:35], v[16:17]
	s_and_b64 s[4:5], s[14:15], s[4:5]
	v_cndmask_b32_e64 v16, v16, v34, s[4:5]
	v_cndmask_b32_e64 v17, v17, v35, s[4:5]
; %bb.17:
	s_or_b64 exec, exec, s[20:21]
	v_add_u32_e32 v32, -1, v38
	v_and_b32_e32 v33, 64, v38
	v_cmp_lt_i32_e64 s[4:5], v32, v33
	v_cndmask_b32_e64 v32, v32, v38, s[4:5]
	v_lshlrev_b32_e32 v32, 2, v32
	ds_bpermute_b32 v16, v32, v16
	ds_bpermute_b32 v17, v32, v17
	; wave barrier
	s_waitcnt lgkmcnt(0)
	v_cmp_gt_i64_e64 s[4:5], v[16:17], v[14:15]
	v_cndmask_b32_e64 v14, v14, v16, s[4:5]
	v_cndmask_b32_e64 v15, v15, v17, s[4:5]
	v_cmp_eq_u32_e64 s[4:5], 0, v0
	v_cndmask_b32_e64 v15, v15, v31, s[4:5]
	v_cndmask_b32_e64 v14, v14, v30, s[4:5]
	ds_write_b64 v37, v[14:15]
	; wave barrier
	ds_read_b64 v[16:17], v37 offset:8
	s_waitcnt lgkmcnt(0)
	v_cmp_gt_i64_e64 s[4:5], v[14:15], v[16:17]
	v_cndmask_b32_e64 v15, v17, v15, s[4:5]
	v_cndmask_b32_e64 v14, v16, v14, s[4:5]
	ds_write_b64 v37, v[14:15] offset:8
.LBB2623_18:
	s_or_b64 exec, exec, s[18:19]
	v_cmp_ne_u32_e64 s[4:5], 0, v0
	v_pk_mov_b32 v[14:15], v[30:31], v[30:31] op_sel:[0,1]
	s_waitcnt lgkmcnt(0)
	s_barrier
	s_and_saveexec_b64 s[14:15], s[4:5]
	s_cbranch_execz .LBB2623_20
; %bb.19:
	v_add_u32_e32 v14, -1, v0
	v_lshrrev_b32_e32 v15, 5, v14
	v_add_lshl_u32 v14, v15, v14, 3
	ds_read_b64 v[14:15], v14
.LBB2623_20:
	s_or_b64 exec, exec, s[14:15]
	s_and_saveexec_b64 s[14:15], s[4:5]
	s_cbranch_execz .LBB2623_22
; %bb.21:
	s_waitcnt lgkmcnt(0)
	v_cmp_gt_i64_e64 s[4:5], v[14:15], v[2:3]
	v_cndmask_b32_e64 v3, v3, v15, s[4:5]
	v_cndmask_b32_e64 v2, v2, v14, s[4:5]
	v_cmp_gt_i64_e64 s[4:5], v[2:3], v[4:5]
	v_cndmask_b32_e64 v19, v5, v3, s[4:5]
	v_cndmask_b32_e64 v18, v4, v2, s[4:5]
	;; [unrolled: 3-line block ×7, first 2 shown]
	;;#ASMSTART
	;;#ASMEND
.LBB2623_22:
	s_or_b64 exec, exec, s[14:15]
	s_movk_i32 s4, 0xffd0
	v_mad_i32_i24 v0, v0, s4, v1
	s_waitcnt lgkmcnt(0)
	s_barrier
	ds_write2_b64 v1, v[2:3], v[18:19] offset1:1
	ds_write2_b64 v1, v[20:21], v[22:23] offset0:2 offset1:3
	ds_write2_b64 v1, v[24:25], v[28:29] offset0:4 offset1:5
	ds_write_b64 v1, v[30:31] offset:48
	s_waitcnt lgkmcnt(0)
	s_barrier
	ds_read2st64_b64 v[8:11], v0 offset0:2 offset1:4
	ds_read2st64_b64 v[4:7], v0 offset0:6 offset1:8
	;; [unrolled: 1-line block ×3, first 2 shown]
	v_mov_b32_e32 v13, s17
	v_add_co_u32_e64 v12, s[4:5], s16, v36
	v_addc_co_u32_e64 v13, s[4:5], 0, v13, s[4:5]
	s_and_saveexec_b64 s[4:5], vcc
	s_cbranch_execnz .LBB2623_30
; %bb.23:
	s_or_b64 exec, exec, s[4:5]
	s_and_saveexec_b64 s[4:5], s[0:1]
	s_cbranch_execnz .LBB2623_31
.LBB2623_24:
	s_or_b64 exec, exec, s[4:5]
	s_and_saveexec_b64 s[0:1], s[2:3]
	s_cbranch_execnz .LBB2623_32
.LBB2623_25:
	s_or_b64 exec, exec, s[0:1]
	s_and_saveexec_b64 s[0:1], s[12:13]
	s_cbranch_execnz .LBB2623_33
.LBB2623_26:
	s_or_b64 exec, exec, s[0:1]
	s_and_saveexec_b64 s[0:1], s[6:7]
	s_cbranch_execnz .LBB2623_34
.LBB2623_27:
	s_or_b64 exec, exec, s[0:1]
	s_and_saveexec_b64 s[0:1], s[8:9]
	s_cbranch_execnz .LBB2623_35
.LBB2623_28:
	s_or_b64 exec, exec, s[0:1]
	s_and_saveexec_b64 s[0:1], s[10:11]
	s_cbranch_execnz .LBB2623_36
.LBB2623_29:
	s_endpgm
.LBB2623_30:
	ds_read_b64 v[14:15], v36
	s_waitcnt lgkmcnt(0)
	global_store_dwordx2 v[12:13], v[14:15], off
	s_or_b64 exec, exec, s[4:5]
	s_and_saveexec_b64 s[4:5], s[0:1]
	s_cbranch_execz .LBB2623_24
.LBB2623_31:
	s_waitcnt lgkmcnt(2)
	global_store_dwordx2 v[12:13], v[8:9], off offset:1024
	s_or_b64 exec, exec, s[4:5]
	s_and_saveexec_b64 s[0:1], s[2:3]
	s_cbranch_execz .LBB2623_25
.LBB2623_32:
	s_waitcnt lgkmcnt(2)
	global_store_dwordx2 v[12:13], v[10:11], off offset:2048
	s_or_b64 exec, exec, s[0:1]
	s_and_saveexec_b64 s[0:1], s[12:13]
	s_cbranch_execz .LBB2623_26
.LBB2623_33:
	s_waitcnt lgkmcnt(1)
	global_store_dwordx2 v[12:13], v[4:5], off offset:3072
	s_or_b64 exec, exec, s[0:1]
	s_and_saveexec_b64 s[0:1], s[6:7]
	s_cbranch_execz .LBB2623_27
.LBB2623_34:
	s_waitcnt lgkmcnt(1)
	v_add_co_u32_e32 v4, vcc, 0x1000, v12
	v_addc_co_u32_e32 v5, vcc, 0, v13, vcc
	global_store_dwordx2 v[4:5], v[6:7], off
	s_or_b64 exec, exec, s[0:1]
	s_and_saveexec_b64 s[0:1], s[8:9]
	s_cbranch_execz .LBB2623_28
.LBB2623_35:
	s_waitcnt lgkmcnt(1)
	v_add_co_u32_e32 v4, vcc, 0x1000, v12
	v_addc_co_u32_e32 v5, vcc, 0, v13, vcc
	s_waitcnt lgkmcnt(0)
	global_store_dwordx2 v[4:5], v[0:1], off offset:1024
	s_or_b64 exec, exec, s[0:1]
	s_and_saveexec_b64 s[0:1], s[10:11]
	s_cbranch_execz .LBB2623_29
.LBB2623_36:
	s_waitcnt lgkmcnt(0)
	v_add_co_u32_e32 v0, vcc, 0x1000, v12
	v_addc_co_u32_e32 v1, vcc, 0, v13, vcc
	global_store_dwordx2 v[0:1], v[2:3], off offset:2048
	s_endpgm
	.section	.rodata,"a",@progbits
	.p2align	6, 0x0
	.amdhsa_kernel _ZN7rocprim17ROCPRIM_400000_NS6detail17trampoline_kernelINS0_14default_configENS1_20scan_config_selectorIxEEZZNS1_9scan_implILNS1_25lookback_scan_determinismE0ELb0ELb0ES3_N6thrust23THRUST_200600_302600_NS6detail15normal_iteratorINS9_10device_ptrIxEEEESE_x11max_functorIxExEEDaPvRmT3_T4_T5_mT6_P12ihipStream_tbENKUlT_T0_E_clISt17integral_constantIbLb0EEST_IbLb1EEEEDaSP_SQ_EUlSP_E0_NS1_11comp_targetILNS1_3genE4ELNS1_11target_archE910ELNS1_3gpuE8ELNS1_3repE0EEENS1_30default_config_static_selectorELNS0_4arch9wavefront6targetE1EEEvT1_
		.amdhsa_group_segment_fixed_size 7168
		.amdhsa_private_segment_fixed_size 0
		.amdhsa_kernarg_size 40
		.amdhsa_user_sgpr_count 6
		.amdhsa_user_sgpr_private_segment_buffer 1
		.amdhsa_user_sgpr_dispatch_ptr 0
		.amdhsa_user_sgpr_queue_ptr 0
		.amdhsa_user_sgpr_kernarg_segment_ptr 1
		.amdhsa_user_sgpr_dispatch_id 0
		.amdhsa_user_sgpr_flat_scratch_init 0
		.amdhsa_user_sgpr_kernarg_preload_length 0
		.amdhsa_user_sgpr_kernarg_preload_offset 0
		.amdhsa_user_sgpr_private_segment_size 0
		.amdhsa_uses_dynamic_stack 0
		.amdhsa_system_sgpr_private_segment_wavefront_offset 0
		.amdhsa_system_sgpr_workgroup_id_x 1
		.amdhsa_system_sgpr_workgroup_id_y 0
		.amdhsa_system_sgpr_workgroup_id_z 0
		.amdhsa_system_sgpr_workgroup_info 0
		.amdhsa_system_vgpr_workitem_id 0
		.amdhsa_next_free_vgpr 42
		.amdhsa_next_free_sgpr 22
		.amdhsa_accum_offset 44
		.amdhsa_reserve_vcc 1
		.amdhsa_reserve_flat_scratch 0
		.amdhsa_float_round_mode_32 0
		.amdhsa_float_round_mode_16_64 0
		.amdhsa_float_denorm_mode_32 3
		.amdhsa_float_denorm_mode_16_64 3
		.amdhsa_dx10_clamp 1
		.amdhsa_ieee_mode 1
		.amdhsa_fp16_overflow 0
		.amdhsa_tg_split 0
		.amdhsa_exception_fp_ieee_invalid_op 0
		.amdhsa_exception_fp_denorm_src 0
		.amdhsa_exception_fp_ieee_div_zero 0
		.amdhsa_exception_fp_ieee_overflow 0
		.amdhsa_exception_fp_ieee_underflow 0
		.amdhsa_exception_fp_ieee_inexact 0
		.amdhsa_exception_int_div_zero 0
	.end_amdhsa_kernel
	.section	.text._ZN7rocprim17ROCPRIM_400000_NS6detail17trampoline_kernelINS0_14default_configENS1_20scan_config_selectorIxEEZZNS1_9scan_implILNS1_25lookback_scan_determinismE0ELb0ELb0ES3_N6thrust23THRUST_200600_302600_NS6detail15normal_iteratorINS9_10device_ptrIxEEEESE_x11max_functorIxExEEDaPvRmT3_T4_T5_mT6_P12ihipStream_tbENKUlT_T0_E_clISt17integral_constantIbLb0EEST_IbLb1EEEEDaSP_SQ_EUlSP_E0_NS1_11comp_targetILNS1_3genE4ELNS1_11target_archE910ELNS1_3gpuE8ELNS1_3repE0EEENS1_30default_config_static_selectorELNS0_4arch9wavefront6targetE1EEEvT1_,"axG",@progbits,_ZN7rocprim17ROCPRIM_400000_NS6detail17trampoline_kernelINS0_14default_configENS1_20scan_config_selectorIxEEZZNS1_9scan_implILNS1_25lookback_scan_determinismE0ELb0ELb0ES3_N6thrust23THRUST_200600_302600_NS6detail15normal_iteratorINS9_10device_ptrIxEEEESE_x11max_functorIxExEEDaPvRmT3_T4_T5_mT6_P12ihipStream_tbENKUlT_T0_E_clISt17integral_constantIbLb0EEST_IbLb1EEEEDaSP_SQ_EUlSP_E0_NS1_11comp_targetILNS1_3genE4ELNS1_11target_archE910ELNS1_3gpuE8ELNS1_3repE0EEENS1_30default_config_static_selectorELNS0_4arch9wavefront6targetE1EEEvT1_,comdat
.Lfunc_end2623:
	.size	_ZN7rocprim17ROCPRIM_400000_NS6detail17trampoline_kernelINS0_14default_configENS1_20scan_config_selectorIxEEZZNS1_9scan_implILNS1_25lookback_scan_determinismE0ELb0ELb0ES3_N6thrust23THRUST_200600_302600_NS6detail15normal_iteratorINS9_10device_ptrIxEEEESE_x11max_functorIxExEEDaPvRmT3_T4_T5_mT6_P12ihipStream_tbENKUlT_T0_E_clISt17integral_constantIbLb0EEST_IbLb1EEEEDaSP_SQ_EUlSP_E0_NS1_11comp_targetILNS1_3genE4ELNS1_11target_archE910ELNS1_3gpuE8ELNS1_3repE0EEENS1_30default_config_static_selectorELNS0_4arch9wavefront6targetE1EEEvT1_, .Lfunc_end2623-_ZN7rocprim17ROCPRIM_400000_NS6detail17trampoline_kernelINS0_14default_configENS1_20scan_config_selectorIxEEZZNS1_9scan_implILNS1_25lookback_scan_determinismE0ELb0ELb0ES3_N6thrust23THRUST_200600_302600_NS6detail15normal_iteratorINS9_10device_ptrIxEEEESE_x11max_functorIxExEEDaPvRmT3_T4_T5_mT6_P12ihipStream_tbENKUlT_T0_E_clISt17integral_constantIbLb0EEST_IbLb1EEEEDaSP_SQ_EUlSP_E0_NS1_11comp_targetILNS1_3genE4ELNS1_11target_archE910ELNS1_3gpuE8ELNS1_3repE0EEENS1_30default_config_static_selectorELNS0_4arch9wavefront6targetE1EEEvT1_
                                        ; -- End function
	.section	.AMDGPU.csdata,"",@progbits
; Kernel info:
; codeLenInByte = 1916
; NumSgprs: 26
; NumVgprs: 42
; NumAgprs: 0
; TotalNumVgprs: 42
; ScratchSize: 0
; MemoryBound: 0
; FloatMode: 240
; IeeeMode: 1
; LDSByteSize: 7168 bytes/workgroup (compile time only)
; SGPRBlocks: 3
; VGPRBlocks: 5
; NumSGPRsForWavesPerEU: 26
; NumVGPRsForWavesPerEU: 42
; AccumOffset: 44
; Occupancy: 5
; WaveLimiterHint : 0
; COMPUTE_PGM_RSRC2:SCRATCH_EN: 0
; COMPUTE_PGM_RSRC2:USER_SGPR: 6
; COMPUTE_PGM_RSRC2:TRAP_HANDLER: 0
; COMPUTE_PGM_RSRC2:TGID_X_EN: 1
; COMPUTE_PGM_RSRC2:TGID_Y_EN: 0
; COMPUTE_PGM_RSRC2:TGID_Z_EN: 0
; COMPUTE_PGM_RSRC2:TIDIG_COMP_CNT: 0
; COMPUTE_PGM_RSRC3_GFX90A:ACCUM_OFFSET: 10
; COMPUTE_PGM_RSRC3_GFX90A:TG_SPLIT: 0
	.section	.text._ZN7rocprim17ROCPRIM_400000_NS6detail17trampoline_kernelINS0_14default_configENS1_20scan_config_selectorIxEEZZNS1_9scan_implILNS1_25lookback_scan_determinismE0ELb0ELb0ES3_N6thrust23THRUST_200600_302600_NS6detail15normal_iteratorINS9_10device_ptrIxEEEESE_x11max_functorIxExEEDaPvRmT3_T4_T5_mT6_P12ihipStream_tbENKUlT_T0_E_clISt17integral_constantIbLb0EEST_IbLb1EEEEDaSP_SQ_EUlSP_E0_NS1_11comp_targetILNS1_3genE3ELNS1_11target_archE908ELNS1_3gpuE7ELNS1_3repE0EEENS1_30default_config_static_selectorELNS0_4arch9wavefront6targetE1EEEvT1_,"axG",@progbits,_ZN7rocprim17ROCPRIM_400000_NS6detail17trampoline_kernelINS0_14default_configENS1_20scan_config_selectorIxEEZZNS1_9scan_implILNS1_25lookback_scan_determinismE0ELb0ELb0ES3_N6thrust23THRUST_200600_302600_NS6detail15normal_iteratorINS9_10device_ptrIxEEEESE_x11max_functorIxExEEDaPvRmT3_T4_T5_mT6_P12ihipStream_tbENKUlT_T0_E_clISt17integral_constantIbLb0EEST_IbLb1EEEEDaSP_SQ_EUlSP_E0_NS1_11comp_targetILNS1_3genE3ELNS1_11target_archE908ELNS1_3gpuE7ELNS1_3repE0EEENS1_30default_config_static_selectorELNS0_4arch9wavefront6targetE1EEEvT1_,comdat
	.protected	_ZN7rocprim17ROCPRIM_400000_NS6detail17trampoline_kernelINS0_14default_configENS1_20scan_config_selectorIxEEZZNS1_9scan_implILNS1_25lookback_scan_determinismE0ELb0ELb0ES3_N6thrust23THRUST_200600_302600_NS6detail15normal_iteratorINS9_10device_ptrIxEEEESE_x11max_functorIxExEEDaPvRmT3_T4_T5_mT6_P12ihipStream_tbENKUlT_T0_E_clISt17integral_constantIbLb0EEST_IbLb1EEEEDaSP_SQ_EUlSP_E0_NS1_11comp_targetILNS1_3genE3ELNS1_11target_archE908ELNS1_3gpuE7ELNS1_3repE0EEENS1_30default_config_static_selectorELNS0_4arch9wavefront6targetE1EEEvT1_ ; -- Begin function _ZN7rocprim17ROCPRIM_400000_NS6detail17trampoline_kernelINS0_14default_configENS1_20scan_config_selectorIxEEZZNS1_9scan_implILNS1_25lookback_scan_determinismE0ELb0ELb0ES3_N6thrust23THRUST_200600_302600_NS6detail15normal_iteratorINS9_10device_ptrIxEEEESE_x11max_functorIxExEEDaPvRmT3_T4_T5_mT6_P12ihipStream_tbENKUlT_T0_E_clISt17integral_constantIbLb0EEST_IbLb1EEEEDaSP_SQ_EUlSP_E0_NS1_11comp_targetILNS1_3genE3ELNS1_11target_archE908ELNS1_3gpuE7ELNS1_3repE0EEENS1_30default_config_static_selectorELNS0_4arch9wavefront6targetE1EEEvT1_
	.globl	_ZN7rocprim17ROCPRIM_400000_NS6detail17trampoline_kernelINS0_14default_configENS1_20scan_config_selectorIxEEZZNS1_9scan_implILNS1_25lookback_scan_determinismE0ELb0ELb0ES3_N6thrust23THRUST_200600_302600_NS6detail15normal_iteratorINS9_10device_ptrIxEEEESE_x11max_functorIxExEEDaPvRmT3_T4_T5_mT6_P12ihipStream_tbENKUlT_T0_E_clISt17integral_constantIbLb0EEST_IbLb1EEEEDaSP_SQ_EUlSP_E0_NS1_11comp_targetILNS1_3genE3ELNS1_11target_archE908ELNS1_3gpuE7ELNS1_3repE0EEENS1_30default_config_static_selectorELNS0_4arch9wavefront6targetE1EEEvT1_
	.p2align	8
	.type	_ZN7rocprim17ROCPRIM_400000_NS6detail17trampoline_kernelINS0_14default_configENS1_20scan_config_selectorIxEEZZNS1_9scan_implILNS1_25lookback_scan_determinismE0ELb0ELb0ES3_N6thrust23THRUST_200600_302600_NS6detail15normal_iteratorINS9_10device_ptrIxEEEESE_x11max_functorIxExEEDaPvRmT3_T4_T5_mT6_P12ihipStream_tbENKUlT_T0_E_clISt17integral_constantIbLb0EEST_IbLb1EEEEDaSP_SQ_EUlSP_E0_NS1_11comp_targetILNS1_3genE3ELNS1_11target_archE908ELNS1_3gpuE7ELNS1_3repE0EEENS1_30default_config_static_selectorELNS0_4arch9wavefront6targetE1EEEvT1_,@function
_ZN7rocprim17ROCPRIM_400000_NS6detail17trampoline_kernelINS0_14default_configENS1_20scan_config_selectorIxEEZZNS1_9scan_implILNS1_25lookback_scan_determinismE0ELb0ELb0ES3_N6thrust23THRUST_200600_302600_NS6detail15normal_iteratorINS9_10device_ptrIxEEEESE_x11max_functorIxExEEDaPvRmT3_T4_T5_mT6_P12ihipStream_tbENKUlT_T0_E_clISt17integral_constantIbLb0EEST_IbLb1EEEEDaSP_SQ_EUlSP_E0_NS1_11comp_targetILNS1_3genE3ELNS1_11target_archE908ELNS1_3gpuE7ELNS1_3repE0EEENS1_30default_config_static_selectorELNS0_4arch9wavefront6targetE1EEEvT1_: ; @_ZN7rocprim17ROCPRIM_400000_NS6detail17trampoline_kernelINS0_14default_configENS1_20scan_config_selectorIxEEZZNS1_9scan_implILNS1_25lookback_scan_determinismE0ELb0ELb0ES3_N6thrust23THRUST_200600_302600_NS6detail15normal_iteratorINS9_10device_ptrIxEEEESE_x11max_functorIxExEEDaPvRmT3_T4_T5_mT6_P12ihipStream_tbENKUlT_T0_E_clISt17integral_constantIbLb0EEST_IbLb1EEEEDaSP_SQ_EUlSP_E0_NS1_11comp_targetILNS1_3genE3ELNS1_11target_archE908ELNS1_3gpuE7ELNS1_3repE0EEENS1_30default_config_static_selectorELNS0_4arch9wavefront6targetE1EEEvT1_
; %bb.0:
	.section	.rodata,"a",@progbits
	.p2align	6, 0x0
	.amdhsa_kernel _ZN7rocprim17ROCPRIM_400000_NS6detail17trampoline_kernelINS0_14default_configENS1_20scan_config_selectorIxEEZZNS1_9scan_implILNS1_25lookback_scan_determinismE0ELb0ELb0ES3_N6thrust23THRUST_200600_302600_NS6detail15normal_iteratorINS9_10device_ptrIxEEEESE_x11max_functorIxExEEDaPvRmT3_T4_T5_mT6_P12ihipStream_tbENKUlT_T0_E_clISt17integral_constantIbLb0EEST_IbLb1EEEEDaSP_SQ_EUlSP_E0_NS1_11comp_targetILNS1_3genE3ELNS1_11target_archE908ELNS1_3gpuE7ELNS1_3repE0EEENS1_30default_config_static_selectorELNS0_4arch9wavefront6targetE1EEEvT1_
		.amdhsa_group_segment_fixed_size 0
		.amdhsa_private_segment_fixed_size 0
		.amdhsa_kernarg_size 40
		.amdhsa_user_sgpr_count 6
		.amdhsa_user_sgpr_private_segment_buffer 1
		.amdhsa_user_sgpr_dispatch_ptr 0
		.amdhsa_user_sgpr_queue_ptr 0
		.amdhsa_user_sgpr_kernarg_segment_ptr 1
		.amdhsa_user_sgpr_dispatch_id 0
		.amdhsa_user_sgpr_flat_scratch_init 0
		.amdhsa_user_sgpr_kernarg_preload_length 0
		.amdhsa_user_sgpr_kernarg_preload_offset 0
		.amdhsa_user_sgpr_private_segment_size 0
		.amdhsa_uses_dynamic_stack 0
		.amdhsa_system_sgpr_private_segment_wavefront_offset 0
		.amdhsa_system_sgpr_workgroup_id_x 1
		.amdhsa_system_sgpr_workgroup_id_y 0
		.amdhsa_system_sgpr_workgroup_id_z 0
		.amdhsa_system_sgpr_workgroup_info 0
		.amdhsa_system_vgpr_workitem_id 0
		.amdhsa_next_free_vgpr 1
		.amdhsa_next_free_sgpr 0
		.amdhsa_accum_offset 4
		.amdhsa_reserve_vcc 0
		.amdhsa_reserve_flat_scratch 0
		.amdhsa_float_round_mode_32 0
		.amdhsa_float_round_mode_16_64 0
		.amdhsa_float_denorm_mode_32 3
		.amdhsa_float_denorm_mode_16_64 3
		.amdhsa_dx10_clamp 1
		.amdhsa_ieee_mode 1
		.amdhsa_fp16_overflow 0
		.amdhsa_tg_split 0
		.amdhsa_exception_fp_ieee_invalid_op 0
		.amdhsa_exception_fp_denorm_src 0
		.amdhsa_exception_fp_ieee_div_zero 0
		.amdhsa_exception_fp_ieee_overflow 0
		.amdhsa_exception_fp_ieee_underflow 0
		.amdhsa_exception_fp_ieee_inexact 0
		.amdhsa_exception_int_div_zero 0
	.end_amdhsa_kernel
	.section	.text._ZN7rocprim17ROCPRIM_400000_NS6detail17trampoline_kernelINS0_14default_configENS1_20scan_config_selectorIxEEZZNS1_9scan_implILNS1_25lookback_scan_determinismE0ELb0ELb0ES3_N6thrust23THRUST_200600_302600_NS6detail15normal_iteratorINS9_10device_ptrIxEEEESE_x11max_functorIxExEEDaPvRmT3_T4_T5_mT6_P12ihipStream_tbENKUlT_T0_E_clISt17integral_constantIbLb0EEST_IbLb1EEEEDaSP_SQ_EUlSP_E0_NS1_11comp_targetILNS1_3genE3ELNS1_11target_archE908ELNS1_3gpuE7ELNS1_3repE0EEENS1_30default_config_static_selectorELNS0_4arch9wavefront6targetE1EEEvT1_,"axG",@progbits,_ZN7rocprim17ROCPRIM_400000_NS6detail17trampoline_kernelINS0_14default_configENS1_20scan_config_selectorIxEEZZNS1_9scan_implILNS1_25lookback_scan_determinismE0ELb0ELb0ES3_N6thrust23THRUST_200600_302600_NS6detail15normal_iteratorINS9_10device_ptrIxEEEESE_x11max_functorIxExEEDaPvRmT3_T4_T5_mT6_P12ihipStream_tbENKUlT_T0_E_clISt17integral_constantIbLb0EEST_IbLb1EEEEDaSP_SQ_EUlSP_E0_NS1_11comp_targetILNS1_3genE3ELNS1_11target_archE908ELNS1_3gpuE7ELNS1_3repE0EEENS1_30default_config_static_selectorELNS0_4arch9wavefront6targetE1EEEvT1_,comdat
.Lfunc_end2624:
	.size	_ZN7rocprim17ROCPRIM_400000_NS6detail17trampoline_kernelINS0_14default_configENS1_20scan_config_selectorIxEEZZNS1_9scan_implILNS1_25lookback_scan_determinismE0ELb0ELb0ES3_N6thrust23THRUST_200600_302600_NS6detail15normal_iteratorINS9_10device_ptrIxEEEESE_x11max_functorIxExEEDaPvRmT3_T4_T5_mT6_P12ihipStream_tbENKUlT_T0_E_clISt17integral_constantIbLb0EEST_IbLb1EEEEDaSP_SQ_EUlSP_E0_NS1_11comp_targetILNS1_3genE3ELNS1_11target_archE908ELNS1_3gpuE7ELNS1_3repE0EEENS1_30default_config_static_selectorELNS0_4arch9wavefront6targetE1EEEvT1_, .Lfunc_end2624-_ZN7rocprim17ROCPRIM_400000_NS6detail17trampoline_kernelINS0_14default_configENS1_20scan_config_selectorIxEEZZNS1_9scan_implILNS1_25lookback_scan_determinismE0ELb0ELb0ES3_N6thrust23THRUST_200600_302600_NS6detail15normal_iteratorINS9_10device_ptrIxEEEESE_x11max_functorIxExEEDaPvRmT3_T4_T5_mT6_P12ihipStream_tbENKUlT_T0_E_clISt17integral_constantIbLb0EEST_IbLb1EEEEDaSP_SQ_EUlSP_E0_NS1_11comp_targetILNS1_3genE3ELNS1_11target_archE908ELNS1_3gpuE7ELNS1_3repE0EEENS1_30default_config_static_selectorELNS0_4arch9wavefront6targetE1EEEvT1_
                                        ; -- End function
	.section	.AMDGPU.csdata,"",@progbits
; Kernel info:
; codeLenInByte = 0
; NumSgprs: 4
; NumVgprs: 0
; NumAgprs: 0
; TotalNumVgprs: 0
; ScratchSize: 0
; MemoryBound: 0
; FloatMode: 240
; IeeeMode: 1
; LDSByteSize: 0 bytes/workgroup (compile time only)
; SGPRBlocks: 0
; VGPRBlocks: 0
; NumSGPRsForWavesPerEU: 4
; NumVGPRsForWavesPerEU: 1
; AccumOffset: 4
; Occupancy: 8
; WaveLimiterHint : 0
; COMPUTE_PGM_RSRC2:SCRATCH_EN: 0
; COMPUTE_PGM_RSRC2:USER_SGPR: 6
; COMPUTE_PGM_RSRC2:TRAP_HANDLER: 0
; COMPUTE_PGM_RSRC2:TGID_X_EN: 1
; COMPUTE_PGM_RSRC2:TGID_Y_EN: 0
; COMPUTE_PGM_RSRC2:TGID_Z_EN: 0
; COMPUTE_PGM_RSRC2:TIDIG_COMP_CNT: 0
; COMPUTE_PGM_RSRC3_GFX90A:ACCUM_OFFSET: 0
; COMPUTE_PGM_RSRC3_GFX90A:TG_SPLIT: 0
	.section	.text._ZN7rocprim17ROCPRIM_400000_NS6detail17trampoline_kernelINS0_14default_configENS1_20scan_config_selectorIxEEZZNS1_9scan_implILNS1_25lookback_scan_determinismE0ELb0ELb0ES3_N6thrust23THRUST_200600_302600_NS6detail15normal_iteratorINS9_10device_ptrIxEEEESE_x11max_functorIxExEEDaPvRmT3_T4_T5_mT6_P12ihipStream_tbENKUlT_T0_E_clISt17integral_constantIbLb0EEST_IbLb1EEEEDaSP_SQ_EUlSP_E0_NS1_11comp_targetILNS1_3genE2ELNS1_11target_archE906ELNS1_3gpuE6ELNS1_3repE0EEENS1_30default_config_static_selectorELNS0_4arch9wavefront6targetE1EEEvT1_,"axG",@progbits,_ZN7rocprim17ROCPRIM_400000_NS6detail17trampoline_kernelINS0_14default_configENS1_20scan_config_selectorIxEEZZNS1_9scan_implILNS1_25lookback_scan_determinismE0ELb0ELb0ES3_N6thrust23THRUST_200600_302600_NS6detail15normal_iteratorINS9_10device_ptrIxEEEESE_x11max_functorIxExEEDaPvRmT3_T4_T5_mT6_P12ihipStream_tbENKUlT_T0_E_clISt17integral_constantIbLb0EEST_IbLb1EEEEDaSP_SQ_EUlSP_E0_NS1_11comp_targetILNS1_3genE2ELNS1_11target_archE906ELNS1_3gpuE6ELNS1_3repE0EEENS1_30default_config_static_selectorELNS0_4arch9wavefront6targetE1EEEvT1_,comdat
	.protected	_ZN7rocprim17ROCPRIM_400000_NS6detail17trampoline_kernelINS0_14default_configENS1_20scan_config_selectorIxEEZZNS1_9scan_implILNS1_25lookback_scan_determinismE0ELb0ELb0ES3_N6thrust23THRUST_200600_302600_NS6detail15normal_iteratorINS9_10device_ptrIxEEEESE_x11max_functorIxExEEDaPvRmT3_T4_T5_mT6_P12ihipStream_tbENKUlT_T0_E_clISt17integral_constantIbLb0EEST_IbLb1EEEEDaSP_SQ_EUlSP_E0_NS1_11comp_targetILNS1_3genE2ELNS1_11target_archE906ELNS1_3gpuE6ELNS1_3repE0EEENS1_30default_config_static_selectorELNS0_4arch9wavefront6targetE1EEEvT1_ ; -- Begin function _ZN7rocprim17ROCPRIM_400000_NS6detail17trampoline_kernelINS0_14default_configENS1_20scan_config_selectorIxEEZZNS1_9scan_implILNS1_25lookback_scan_determinismE0ELb0ELb0ES3_N6thrust23THRUST_200600_302600_NS6detail15normal_iteratorINS9_10device_ptrIxEEEESE_x11max_functorIxExEEDaPvRmT3_T4_T5_mT6_P12ihipStream_tbENKUlT_T0_E_clISt17integral_constantIbLb0EEST_IbLb1EEEEDaSP_SQ_EUlSP_E0_NS1_11comp_targetILNS1_3genE2ELNS1_11target_archE906ELNS1_3gpuE6ELNS1_3repE0EEENS1_30default_config_static_selectorELNS0_4arch9wavefront6targetE1EEEvT1_
	.globl	_ZN7rocprim17ROCPRIM_400000_NS6detail17trampoline_kernelINS0_14default_configENS1_20scan_config_selectorIxEEZZNS1_9scan_implILNS1_25lookback_scan_determinismE0ELb0ELb0ES3_N6thrust23THRUST_200600_302600_NS6detail15normal_iteratorINS9_10device_ptrIxEEEESE_x11max_functorIxExEEDaPvRmT3_T4_T5_mT6_P12ihipStream_tbENKUlT_T0_E_clISt17integral_constantIbLb0EEST_IbLb1EEEEDaSP_SQ_EUlSP_E0_NS1_11comp_targetILNS1_3genE2ELNS1_11target_archE906ELNS1_3gpuE6ELNS1_3repE0EEENS1_30default_config_static_selectorELNS0_4arch9wavefront6targetE1EEEvT1_
	.p2align	8
	.type	_ZN7rocprim17ROCPRIM_400000_NS6detail17trampoline_kernelINS0_14default_configENS1_20scan_config_selectorIxEEZZNS1_9scan_implILNS1_25lookback_scan_determinismE0ELb0ELb0ES3_N6thrust23THRUST_200600_302600_NS6detail15normal_iteratorINS9_10device_ptrIxEEEESE_x11max_functorIxExEEDaPvRmT3_T4_T5_mT6_P12ihipStream_tbENKUlT_T0_E_clISt17integral_constantIbLb0EEST_IbLb1EEEEDaSP_SQ_EUlSP_E0_NS1_11comp_targetILNS1_3genE2ELNS1_11target_archE906ELNS1_3gpuE6ELNS1_3repE0EEENS1_30default_config_static_selectorELNS0_4arch9wavefront6targetE1EEEvT1_,@function
_ZN7rocprim17ROCPRIM_400000_NS6detail17trampoline_kernelINS0_14default_configENS1_20scan_config_selectorIxEEZZNS1_9scan_implILNS1_25lookback_scan_determinismE0ELb0ELb0ES3_N6thrust23THRUST_200600_302600_NS6detail15normal_iteratorINS9_10device_ptrIxEEEESE_x11max_functorIxExEEDaPvRmT3_T4_T5_mT6_P12ihipStream_tbENKUlT_T0_E_clISt17integral_constantIbLb0EEST_IbLb1EEEEDaSP_SQ_EUlSP_E0_NS1_11comp_targetILNS1_3genE2ELNS1_11target_archE906ELNS1_3gpuE6ELNS1_3repE0EEENS1_30default_config_static_selectorELNS0_4arch9wavefront6targetE1EEEvT1_: ; @_ZN7rocprim17ROCPRIM_400000_NS6detail17trampoline_kernelINS0_14default_configENS1_20scan_config_selectorIxEEZZNS1_9scan_implILNS1_25lookback_scan_determinismE0ELb0ELb0ES3_N6thrust23THRUST_200600_302600_NS6detail15normal_iteratorINS9_10device_ptrIxEEEESE_x11max_functorIxExEEDaPvRmT3_T4_T5_mT6_P12ihipStream_tbENKUlT_T0_E_clISt17integral_constantIbLb0EEST_IbLb1EEEEDaSP_SQ_EUlSP_E0_NS1_11comp_targetILNS1_3genE2ELNS1_11target_archE906ELNS1_3gpuE6ELNS1_3repE0EEENS1_30default_config_static_selectorELNS0_4arch9wavefront6targetE1EEEvT1_
; %bb.0:
	.section	.rodata,"a",@progbits
	.p2align	6, 0x0
	.amdhsa_kernel _ZN7rocprim17ROCPRIM_400000_NS6detail17trampoline_kernelINS0_14default_configENS1_20scan_config_selectorIxEEZZNS1_9scan_implILNS1_25lookback_scan_determinismE0ELb0ELb0ES3_N6thrust23THRUST_200600_302600_NS6detail15normal_iteratorINS9_10device_ptrIxEEEESE_x11max_functorIxExEEDaPvRmT3_T4_T5_mT6_P12ihipStream_tbENKUlT_T0_E_clISt17integral_constantIbLb0EEST_IbLb1EEEEDaSP_SQ_EUlSP_E0_NS1_11comp_targetILNS1_3genE2ELNS1_11target_archE906ELNS1_3gpuE6ELNS1_3repE0EEENS1_30default_config_static_selectorELNS0_4arch9wavefront6targetE1EEEvT1_
		.amdhsa_group_segment_fixed_size 0
		.amdhsa_private_segment_fixed_size 0
		.amdhsa_kernarg_size 40
		.amdhsa_user_sgpr_count 6
		.amdhsa_user_sgpr_private_segment_buffer 1
		.amdhsa_user_sgpr_dispatch_ptr 0
		.amdhsa_user_sgpr_queue_ptr 0
		.amdhsa_user_sgpr_kernarg_segment_ptr 1
		.amdhsa_user_sgpr_dispatch_id 0
		.amdhsa_user_sgpr_flat_scratch_init 0
		.amdhsa_user_sgpr_kernarg_preload_length 0
		.amdhsa_user_sgpr_kernarg_preload_offset 0
		.amdhsa_user_sgpr_private_segment_size 0
		.amdhsa_uses_dynamic_stack 0
		.amdhsa_system_sgpr_private_segment_wavefront_offset 0
		.amdhsa_system_sgpr_workgroup_id_x 1
		.amdhsa_system_sgpr_workgroup_id_y 0
		.amdhsa_system_sgpr_workgroup_id_z 0
		.amdhsa_system_sgpr_workgroup_info 0
		.amdhsa_system_vgpr_workitem_id 0
		.amdhsa_next_free_vgpr 1
		.amdhsa_next_free_sgpr 0
		.amdhsa_accum_offset 4
		.amdhsa_reserve_vcc 0
		.amdhsa_reserve_flat_scratch 0
		.amdhsa_float_round_mode_32 0
		.amdhsa_float_round_mode_16_64 0
		.amdhsa_float_denorm_mode_32 3
		.amdhsa_float_denorm_mode_16_64 3
		.amdhsa_dx10_clamp 1
		.amdhsa_ieee_mode 1
		.amdhsa_fp16_overflow 0
		.amdhsa_tg_split 0
		.amdhsa_exception_fp_ieee_invalid_op 0
		.amdhsa_exception_fp_denorm_src 0
		.amdhsa_exception_fp_ieee_div_zero 0
		.amdhsa_exception_fp_ieee_overflow 0
		.amdhsa_exception_fp_ieee_underflow 0
		.amdhsa_exception_fp_ieee_inexact 0
		.amdhsa_exception_int_div_zero 0
	.end_amdhsa_kernel
	.section	.text._ZN7rocprim17ROCPRIM_400000_NS6detail17trampoline_kernelINS0_14default_configENS1_20scan_config_selectorIxEEZZNS1_9scan_implILNS1_25lookback_scan_determinismE0ELb0ELb0ES3_N6thrust23THRUST_200600_302600_NS6detail15normal_iteratorINS9_10device_ptrIxEEEESE_x11max_functorIxExEEDaPvRmT3_T4_T5_mT6_P12ihipStream_tbENKUlT_T0_E_clISt17integral_constantIbLb0EEST_IbLb1EEEEDaSP_SQ_EUlSP_E0_NS1_11comp_targetILNS1_3genE2ELNS1_11target_archE906ELNS1_3gpuE6ELNS1_3repE0EEENS1_30default_config_static_selectorELNS0_4arch9wavefront6targetE1EEEvT1_,"axG",@progbits,_ZN7rocprim17ROCPRIM_400000_NS6detail17trampoline_kernelINS0_14default_configENS1_20scan_config_selectorIxEEZZNS1_9scan_implILNS1_25lookback_scan_determinismE0ELb0ELb0ES3_N6thrust23THRUST_200600_302600_NS6detail15normal_iteratorINS9_10device_ptrIxEEEESE_x11max_functorIxExEEDaPvRmT3_T4_T5_mT6_P12ihipStream_tbENKUlT_T0_E_clISt17integral_constantIbLb0EEST_IbLb1EEEEDaSP_SQ_EUlSP_E0_NS1_11comp_targetILNS1_3genE2ELNS1_11target_archE906ELNS1_3gpuE6ELNS1_3repE0EEENS1_30default_config_static_selectorELNS0_4arch9wavefront6targetE1EEEvT1_,comdat
.Lfunc_end2625:
	.size	_ZN7rocprim17ROCPRIM_400000_NS6detail17trampoline_kernelINS0_14default_configENS1_20scan_config_selectorIxEEZZNS1_9scan_implILNS1_25lookback_scan_determinismE0ELb0ELb0ES3_N6thrust23THRUST_200600_302600_NS6detail15normal_iteratorINS9_10device_ptrIxEEEESE_x11max_functorIxExEEDaPvRmT3_T4_T5_mT6_P12ihipStream_tbENKUlT_T0_E_clISt17integral_constantIbLb0EEST_IbLb1EEEEDaSP_SQ_EUlSP_E0_NS1_11comp_targetILNS1_3genE2ELNS1_11target_archE906ELNS1_3gpuE6ELNS1_3repE0EEENS1_30default_config_static_selectorELNS0_4arch9wavefront6targetE1EEEvT1_, .Lfunc_end2625-_ZN7rocprim17ROCPRIM_400000_NS6detail17trampoline_kernelINS0_14default_configENS1_20scan_config_selectorIxEEZZNS1_9scan_implILNS1_25lookback_scan_determinismE0ELb0ELb0ES3_N6thrust23THRUST_200600_302600_NS6detail15normal_iteratorINS9_10device_ptrIxEEEESE_x11max_functorIxExEEDaPvRmT3_T4_T5_mT6_P12ihipStream_tbENKUlT_T0_E_clISt17integral_constantIbLb0EEST_IbLb1EEEEDaSP_SQ_EUlSP_E0_NS1_11comp_targetILNS1_3genE2ELNS1_11target_archE906ELNS1_3gpuE6ELNS1_3repE0EEENS1_30default_config_static_selectorELNS0_4arch9wavefront6targetE1EEEvT1_
                                        ; -- End function
	.section	.AMDGPU.csdata,"",@progbits
; Kernel info:
; codeLenInByte = 0
; NumSgprs: 4
; NumVgprs: 0
; NumAgprs: 0
; TotalNumVgprs: 0
; ScratchSize: 0
; MemoryBound: 0
; FloatMode: 240
; IeeeMode: 1
; LDSByteSize: 0 bytes/workgroup (compile time only)
; SGPRBlocks: 0
; VGPRBlocks: 0
; NumSGPRsForWavesPerEU: 4
; NumVGPRsForWavesPerEU: 1
; AccumOffset: 4
; Occupancy: 8
; WaveLimiterHint : 0
; COMPUTE_PGM_RSRC2:SCRATCH_EN: 0
; COMPUTE_PGM_RSRC2:USER_SGPR: 6
; COMPUTE_PGM_RSRC2:TRAP_HANDLER: 0
; COMPUTE_PGM_RSRC2:TGID_X_EN: 1
; COMPUTE_PGM_RSRC2:TGID_Y_EN: 0
; COMPUTE_PGM_RSRC2:TGID_Z_EN: 0
; COMPUTE_PGM_RSRC2:TIDIG_COMP_CNT: 0
; COMPUTE_PGM_RSRC3_GFX90A:ACCUM_OFFSET: 0
; COMPUTE_PGM_RSRC3_GFX90A:TG_SPLIT: 0
	.section	.text._ZN7rocprim17ROCPRIM_400000_NS6detail17trampoline_kernelINS0_14default_configENS1_20scan_config_selectorIxEEZZNS1_9scan_implILNS1_25lookback_scan_determinismE0ELb0ELb0ES3_N6thrust23THRUST_200600_302600_NS6detail15normal_iteratorINS9_10device_ptrIxEEEESE_x11max_functorIxExEEDaPvRmT3_T4_T5_mT6_P12ihipStream_tbENKUlT_T0_E_clISt17integral_constantIbLb0EEST_IbLb1EEEEDaSP_SQ_EUlSP_E0_NS1_11comp_targetILNS1_3genE10ELNS1_11target_archE1201ELNS1_3gpuE5ELNS1_3repE0EEENS1_30default_config_static_selectorELNS0_4arch9wavefront6targetE1EEEvT1_,"axG",@progbits,_ZN7rocprim17ROCPRIM_400000_NS6detail17trampoline_kernelINS0_14default_configENS1_20scan_config_selectorIxEEZZNS1_9scan_implILNS1_25lookback_scan_determinismE0ELb0ELb0ES3_N6thrust23THRUST_200600_302600_NS6detail15normal_iteratorINS9_10device_ptrIxEEEESE_x11max_functorIxExEEDaPvRmT3_T4_T5_mT6_P12ihipStream_tbENKUlT_T0_E_clISt17integral_constantIbLb0EEST_IbLb1EEEEDaSP_SQ_EUlSP_E0_NS1_11comp_targetILNS1_3genE10ELNS1_11target_archE1201ELNS1_3gpuE5ELNS1_3repE0EEENS1_30default_config_static_selectorELNS0_4arch9wavefront6targetE1EEEvT1_,comdat
	.protected	_ZN7rocprim17ROCPRIM_400000_NS6detail17trampoline_kernelINS0_14default_configENS1_20scan_config_selectorIxEEZZNS1_9scan_implILNS1_25lookback_scan_determinismE0ELb0ELb0ES3_N6thrust23THRUST_200600_302600_NS6detail15normal_iteratorINS9_10device_ptrIxEEEESE_x11max_functorIxExEEDaPvRmT3_T4_T5_mT6_P12ihipStream_tbENKUlT_T0_E_clISt17integral_constantIbLb0EEST_IbLb1EEEEDaSP_SQ_EUlSP_E0_NS1_11comp_targetILNS1_3genE10ELNS1_11target_archE1201ELNS1_3gpuE5ELNS1_3repE0EEENS1_30default_config_static_selectorELNS0_4arch9wavefront6targetE1EEEvT1_ ; -- Begin function _ZN7rocprim17ROCPRIM_400000_NS6detail17trampoline_kernelINS0_14default_configENS1_20scan_config_selectorIxEEZZNS1_9scan_implILNS1_25lookback_scan_determinismE0ELb0ELb0ES3_N6thrust23THRUST_200600_302600_NS6detail15normal_iteratorINS9_10device_ptrIxEEEESE_x11max_functorIxExEEDaPvRmT3_T4_T5_mT6_P12ihipStream_tbENKUlT_T0_E_clISt17integral_constantIbLb0EEST_IbLb1EEEEDaSP_SQ_EUlSP_E0_NS1_11comp_targetILNS1_3genE10ELNS1_11target_archE1201ELNS1_3gpuE5ELNS1_3repE0EEENS1_30default_config_static_selectorELNS0_4arch9wavefront6targetE1EEEvT1_
	.globl	_ZN7rocprim17ROCPRIM_400000_NS6detail17trampoline_kernelINS0_14default_configENS1_20scan_config_selectorIxEEZZNS1_9scan_implILNS1_25lookback_scan_determinismE0ELb0ELb0ES3_N6thrust23THRUST_200600_302600_NS6detail15normal_iteratorINS9_10device_ptrIxEEEESE_x11max_functorIxExEEDaPvRmT3_T4_T5_mT6_P12ihipStream_tbENKUlT_T0_E_clISt17integral_constantIbLb0EEST_IbLb1EEEEDaSP_SQ_EUlSP_E0_NS1_11comp_targetILNS1_3genE10ELNS1_11target_archE1201ELNS1_3gpuE5ELNS1_3repE0EEENS1_30default_config_static_selectorELNS0_4arch9wavefront6targetE1EEEvT1_
	.p2align	8
	.type	_ZN7rocprim17ROCPRIM_400000_NS6detail17trampoline_kernelINS0_14default_configENS1_20scan_config_selectorIxEEZZNS1_9scan_implILNS1_25lookback_scan_determinismE0ELb0ELb0ES3_N6thrust23THRUST_200600_302600_NS6detail15normal_iteratorINS9_10device_ptrIxEEEESE_x11max_functorIxExEEDaPvRmT3_T4_T5_mT6_P12ihipStream_tbENKUlT_T0_E_clISt17integral_constantIbLb0EEST_IbLb1EEEEDaSP_SQ_EUlSP_E0_NS1_11comp_targetILNS1_3genE10ELNS1_11target_archE1201ELNS1_3gpuE5ELNS1_3repE0EEENS1_30default_config_static_selectorELNS0_4arch9wavefront6targetE1EEEvT1_,@function
_ZN7rocprim17ROCPRIM_400000_NS6detail17trampoline_kernelINS0_14default_configENS1_20scan_config_selectorIxEEZZNS1_9scan_implILNS1_25lookback_scan_determinismE0ELb0ELb0ES3_N6thrust23THRUST_200600_302600_NS6detail15normal_iteratorINS9_10device_ptrIxEEEESE_x11max_functorIxExEEDaPvRmT3_T4_T5_mT6_P12ihipStream_tbENKUlT_T0_E_clISt17integral_constantIbLb0EEST_IbLb1EEEEDaSP_SQ_EUlSP_E0_NS1_11comp_targetILNS1_3genE10ELNS1_11target_archE1201ELNS1_3gpuE5ELNS1_3repE0EEENS1_30default_config_static_selectorELNS0_4arch9wavefront6targetE1EEEvT1_: ; @_ZN7rocprim17ROCPRIM_400000_NS6detail17trampoline_kernelINS0_14default_configENS1_20scan_config_selectorIxEEZZNS1_9scan_implILNS1_25lookback_scan_determinismE0ELb0ELb0ES3_N6thrust23THRUST_200600_302600_NS6detail15normal_iteratorINS9_10device_ptrIxEEEESE_x11max_functorIxExEEDaPvRmT3_T4_T5_mT6_P12ihipStream_tbENKUlT_T0_E_clISt17integral_constantIbLb0EEST_IbLb1EEEEDaSP_SQ_EUlSP_E0_NS1_11comp_targetILNS1_3genE10ELNS1_11target_archE1201ELNS1_3gpuE5ELNS1_3repE0EEENS1_30default_config_static_selectorELNS0_4arch9wavefront6targetE1EEEvT1_
; %bb.0:
	.section	.rodata,"a",@progbits
	.p2align	6, 0x0
	.amdhsa_kernel _ZN7rocprim17ROCPRIM_400000_NS6detail17trampoline_kernelINS0_14default_configENS1_20scan_config_selectorIxEEZZNS1_9scan_implILNS1_25lookback_scan_determinismE0ELb0ELb0ES3_N6thrust23THRUST_200600_302600_NS6detail15normal_iteratorINS9_10device_ptrIxEEEESE_x11max_functorIxExEEDaPvRmT3_T4_T5_mT6_P12ihipStream_tbENKUlT_T0_E_clISt17integral_constantIbLb0EEST_IbLb1EEEEDaSP_SQ_EUlSP_E0_NS1_11comp_targetILNS1_3genE10ELNS1_11target_archE1201ELNS1_3gpuE5ELNS1_3repE0EEENS1_30default_config_static_selectorELNS0_4arch9wavefront6targetE1EEEvT1_
		.amdhsa_group_segment_fixed_size 0
		.amdhsa_private_segment_fixed_size 0
		.amdhsa_kernarg_size 40
		.amdhsa_user_sgpr_count 6
		.amdhsa_user_sgpr_private_segment_buffer 1
		.amdhsa_user_sgpr_dispatch_ptr 0
		.amdhsa_user_sgpr_queue_ptr 0
		.amdhsa_user_sgpr_kernarg_segment_ptr 1
		.amdhsa_user_sgpr_dispatch_id 0
		.amdhsa_user_sgpr_flat_scratch_init 0
		.amdhsa_user_sgpr_kernarg_preload_length 0
		.amdhsa_user_sgpr_kernarg_preload_offset 0
		.amdhsa_user_sgpr_private_segment_size 0
		.amdhsa_uses_dynamic_stack 0
		.amdhsa_system_sgpr_private_segment_wavefront_offset 0
		.amdhsa_system_sgpr_workgroup_id_x 1
		.amdhsa_system_sgpr_workgroup_id_y 0
		.amdhsa_system_sgpr_workgroup_id_z 0
		.amdhsa_system_sgpr_workgroup_info 0
		.amdhsa_system_vgpr_workitem_id 0
		.amdhsa_next_free_vgpr 1
		.amdhsa_next_free_sgpr 0
		.amdhsa_accum_offset 4
		.amdhsa_reserve_vcc 0
		.amdhsa_reserve_flat_scratch 0
		.amdhsa_float_round_mode_32 0
		.amdhsa_float_round_mode_16_64 0
		.amdhsa_float_denorm_mode_32 3
		.amdhsa_float_denorm_mode_16_64 3
		.amdhsa_dx10_clamp 1
		.amdhsa_ieee_mode 1
		.amdhsa_fp16_overflow 0
		.amdhsa_tg_split 0
		.amdhsa_exception_fp_ieee_invalid_op 0
		.amdhsa_exception_fp_denorm_src 0
		.amdhsa_exception_fp_ieee_div_zero 0
		.amdhsa_exception_fp_ieee_overflow 0
		.amdhsa_exception_fp_ieee_underflow 0
		.amdhsa_exception_fp_ieee_inexact 0
		.amdhsa_exception_int_div_zero 0
	.end_amdhsa_kernel
	.section	.text._ZN7rocprim17ROCPRIM_400000_NS6detail17trampoline_kernelINS0_14default_configENS1_20scan_config_selectorIxEEZZNS1_9scan_implILNS1_25lookback_scan_determinismE0ELb0ELb0ES3_N6thrust23THRUST_200600_302600_NS6detail15normal_iteratorINS9_10device_ptrIxEEEESE_x11max_functorIxExEEDaPvRmT3_T4_T5_mT6_P12ihipStream_tbENKUlT_T0_E_clISt17integral_constantIbLb0EEST_IbLb1EEEEDaSP_SQ_EUlSP_E0_NS1_11comp_targetILNS1_3genE10ELNS1_11target_archE1201ELNS1_3gpuE5ELNS1_3repE0EEENS1_30default_config_static_selectorELNS0_4arch9wavefront6targetE1EEEvT1_,"axG",@progbits,_ZN7rocprim17ROCPRIM_400000_NS6detail17trampoline_kernelINS0_14default_configENS1_20scan_config_selectorIxEEZZNS1_9scan_implILNS1_25lookback_scan_determinismE0ELb0ELb0ES3_N6thrust23THRUST_200600_302600_NS6detail15normal_iteratorINS9_10device_ptrIxEEEESE_x11max_functorIxExEEDaPvRmT3_T4_T5_mT6_P12ihipStream_tbENKUlT_T0_E_clISt17integral_constantIbLb0EEST_IbLb1EEEEDaSP_SQ_EUlSP_E0_NS1_11comp_targetILNS1_3genE10ELNS1_11target_archE1201ELNS1_3gpuE5ELNS1_3repE0EEENS1_30default_config_static_selectorELNS0_4arch9wavefront6targetE1EEEvT1_,comdat
.Lfunc_end2626:
	.size	_ZN7rocprim17ROCPRIM_400000_NS6detail17trampoline_kernelINS0_14default_configENS1_20scan_config_selectorIxEEZZNS1_9scan_implILNS1_25lookback_scan_determinismE0ELb0ELb0ES3_N6thrust23THRUST_200600_302600_NS6detail15normal_iteratorINS9_10device_ptrIxEEEESE_x11max_functorIxExEEDaPvRmT3_T4_T5_mT6_P12ihipStream_tbENKUlT_T0_E_clISt17integral_constantIbLb0EEST_IbLb1EEEEDaSP_SQ_EUlSP_E0_NS1_11comp_targetILNS1_3genE10ELNS1_11target_archE1201ELNS1_3gpuE5ELNS1_3repE0EEENS1_30default_config_static_selectorELNS0_4arch9wavefront6targetE1EEEvT1_, .Lfunc_end2626-_ZN7rocprim17ROCPRIM_400000_NS6detail17trampoline_kernelINS0_14default_configENS1_20scan_config_selectorIxEEZZNS1_9scan_implILNS1_25lookback_scan_determinismE0ELb0ELb0ES3_N6thrust23THRUST_200600_302600_NS6detail15normal_iteratorINS9_10device_ptrIxEEEESE_x11max_functorIxExEEDaPvRmT3_T4_T5_mT6_P12ihipStream_tbENKUlT_T0_E_clISt17integral_constantIbLb0EEST_IbLb1EEEEDaSP_SQ_EUlSP_E0_NS1_11comp_targetILNS1_3genE10ELNS1_11target_archE1201ELNS1_3gpuE5ELNS1_3repE0EEENS1_30default_config_static_selectorELNS0_4arch9wavefront6targetE1EEEvT1_
                                        ; -- End function
	.section	.AMDGPU.csdata,"",@progbits
; Kernel info:
; codeLenInByte = 0
; NumSgprs: 4
; NumVgprs: 0
; NumAgprs: 0
; TotalNumVgprs: 0
; ScratchSize: 0
; MemoryBound: 0
; FloatMode: 240
; IeeeMode: 1
; LDSByteSize: 0 bytes/workgroup (compile time only)
; SGPRBlocks: 0
; VGPRBlocks: 0
; NumSGPRsForWavesPerEU: 4
; NumVGPRsForWavesPerEU: 1
; AccumOffset: 4
; Occupancy: 8
; WaveLimiterHint : 0
; COMPUTE_PGM_RSRC2:SCRATCH_EN: 0
; COMPUTE_PGM_RSRC2:USER_SGPR: 6
; COMPUTE_PGM_RSRC2:TRAP_HANDLER: 0
; COMPUTE_PGM_RSRC2:TGID_X_EN: 1
; COMPUTE_PGM_RSRC2:TGID_Y_EN: 0
; COMPUTE_PGM_RSRC2:TGID_Z_EN: 0
; COMPUTE_PGM_RSRC2:TIDIG_COMP_CNT: 0
; COMPUTE_PGM_RSRC3_GFX90A:ACCUM_OFFSET: 0
; COMPUTE_PGM_RSRC3_GFX90A:TG_SPLIT: 0
	.section	.text._ZN7rocprim17ROCPRIM_400000_NS6detail17trampoline_kernelINS0_14default_configENS1_20scan_config_selectorIxEEZZNS1_9scan_implILNS1_25lookback_scan_determinismE0ELb0ELb0ES3_N6thrust23THRUST_200600_302600_NS6detail15normal_iteratorINS9_10device_ptrIxEEEESE_x11max_functorIxExEEDaPvRmT3_T4_T5_mT6_P12ihipStream_tbENKUlT_T0_E_clISt17integral_constantIbLb0EEST_IbLb1EEEEDaSP_SQ_EUlSP_E0_NS1_11comp_targetILNS1_3genE10ELNS1_11target_archE1200ELNS1_3gpuE4ELNS1_3repE0EEENS1_30default_config_static_selectorELNS0_4arch9wavefront6targetE1EEEvT1_,"axG",@progbits,_ZN7rocprim17ROCPRIM_400000_NS6detail17trampoline_kernelINS0_14default_configENS1_20scan_config_selectorIxEEZZNS1_9scan_implILNS1_25lookback_scan_determinismE0ELb0ELb0ES3_N6thrust23THRUST_200600_302600_NS6detail15normal_iteratorINS9_10device_ptrIxEEEESE_x11max_functorIxExEEDaPvRmT3_T4_T5_mT6_P12ihipStream_tbENKUlT_T0_E_clISt17integral_constantIbLb0EEST_IbLb1EEEEDaSP_SQ_EUlSP_E0_NS1_11comp_targetILNS1_3genE10ELNS1_11target_archE1200ELNS1_3gpuE4ELNS1_3repE0EEENS1_30default_config_static_selectorELNS0_4arch9wavefront6targetE1EEEvT1_,comdat
	.protected	_ZN7rocprim17ROCPRIM_400000_NS6detail17trampoline_kernelINS0_14default_configENS1_20scan_config_selectorIxEEZZNS1_9scan_implILNS1_25lookback_scan_determinismE0ELb0ELb0ES3_N6thrust23THRUST_200600_302600_NS6detail15normal_iteratorINS9_10device_ptrIxEEEESE_x11max_functorIxExEEDaPvRmT3_T4_T5_mT6_P12ihipStream_tbENKUlT_T0_E_clISt17integral_constantIbLb0EEST_IbLb1EEEEDaSP_SQ_EUlSP_E0_NS1_11comp_targetILNS1_3genE10ELNS1_11target_archE1200ELNS1_3gpuE4ELNS1_3repE0EEENS1_30default_config_static_selectorELNS0_4arch9wavefront6targetE1EEEvT1_ ; -- Begin function _ZN7rocprim17ROCPRIM_400000_NS6detail17trampoline_kernelINS0_14default_configENS1_20scan_config_selectorIxEEZZNS1_9scan_implILNS1_25lookback_scan_determinismE0ELb0ELb0ES3_N6thrust23THRUST_200600_302600_NS6detail15normal_iteratorINS9_10device_ptrIxEEEESE_x11max_functorIxExEEDaPvRmT3_T4_T5_mT6_P12ihipStream_tbENKUlT_T0_E_clISt17integral_constantIbLb0EEST_IbLb1EEEEDaSP_SQ_EUlSP_E0_NS1_11comp_targetILNS1_3genE10ELNS1_11target_archE1200ELNS1_3gpuE4ELNS1_3repE0EEENS1_30default_config_static_selectorELNS0_4arch9wavefront6targetE1EEEvT1_
	.globl	_ZN7rocprim17ROCPRIM_400000_NS6detail17trampoline_kernelINS0_14default_configENS1_20scan_config_selectorIxEEZZNS1_9scan_implILNS1_25lookback_scan_determinismE0ELb0ELb0ES3_N6thrust23THRUST_200600_302600_NS6detail15normal_iteratorINS9_10device_ptrIxEEEESE_x11max_functorIxExEEDaPvRmT3_T4_T5_mT6_P12ihipStream_tbENKUlT_T0_E_clISt17integral_constantIbLb0EEST_IbLb1EEEEDaSP_SQ_EUlSP_E0_NS1_11comp_targetILNS1_3genE10ELNS1_11target_archE1200ELNS1_3gpuE4ELNS1_3repE0EEENS1_30default_config_static_selectorELNS0_4arch9wavefront6targetE1EEEvT1_
	.p2align	8
	.type	_ZN7rocprim17ROCPRIM_400000_NS6detail17trampoline_kernelINS0_14default_configENS1_20scan_config_selectorIxEEZZNS1_9scan_implILNS1_25lookback_scan_determinismE0ELb0ELb0ES3_N6thrust23THRUST_200600_302600_NS6detail15normal_iteratorINS9_10device_ptrIxEEEESE_x11max_functorIxExEEDaPvRmT3_T4_T5_mT6_P12ihipStream_tbENKUlT_T0_E_clISt17integral_constantIbLb0EEST_IbLb1EEEEDaSP_SQ_EUlSP_E0_NS1_11comp_targetILNS1_3genE10ELNS1_11target_archE1200ELNS1_3gpuE4ELNS1_3repE0EEENS1_30default_config_static_selectorELNS0_4arch9wavefront6targetE1EEEvT1_,@function
_ZN7rocprim17ROCPRIM_400000_NS6detail17trampoline_kernelINS0_14default_configENS1_20scan_config_selectorIxEEZZNS1_9scan_implILNS1_25lookback_scan_determinismE0ELb0ELb0ES3_N6thrust23THRUST_200600_302600_NS6detail15normal_iteratorINS9_10device_ptrIxEEEESE_x11max_functorIxExEEDaPvRmT3_T4_T5_mT6_P12ihipStream_tbENKUlT_T0_E_clISt17integral_constantIbLb0EEST_IbLb1EEEEDaSP_SQ_EUlSP_E0_NS1_11comp_targetILNS1_3genE10ELNS1_11target_archE1200ELNS1_3gpuE4ELNS1_3repE0EEENS1_30default_config_static_selectorELNS0_4arch9wavefront6targetE1EEEvT1_: ; @_ZN7rocprim17ROCPRIM_400000_NS6detail17trampoline_kernelINS0_14default_configENS1_20scan_config_selectorIxEEZZNS1_9scan_implILNS1_25lookback_scan_determinismE0ELb0ELb0ES3_N6thrust23THRUST_200600_302600_NS6detail15normal_iteratorINS9_10device_ptrIxEEEESE_x11max_functorIxExEEDaPvRmT3_T4_T5_mT6_P12ihipStream_tbENKUlT_T0_E_clISt17integral_constantIbLb0EEST_IbLb1EEEEDaSP_SQ_EUlSP_E0_NS1_11comp_targetILNS1_3genE10ELNS1_11target_archE1200ELNS1_3gpuE4ELNS1_3repE0EEENS1_30default_config_static_selectorELNS0_4arch9wavefront6targetE1EEEvT1_
; %bb.0:
	.section	.rodata,"a",@progbits
	.p2align	6, 0x0
	.amdhsa_kernel _ZN7rocprim17ROCPRIM_400000_NS6detail17trampoline_kernelINS0_14default_configENS1_20scan_config_selectorIxEEZZNS1_9scan_implILNS1_25lookback_scan_determinismE0ELb0ELb0ES3_N6thrust23THRUST_200600_302600_NS6detail15normal_iteratorINS9_10device_ptrIxEEEESE_x11max_functorIxExEEDaPvRmT3_T4_T5_mT6_P12ihipStream_tbENKUlT_T0_E_clISt17integral_constantIbLb0EEST_IbLb1EEEEDaSP_SQ_EUlSP_E0_NS1_11comp_targetILNS1_3genE10ELNS1_11target_archE1200ELNS1_3gpuE4ELNS1_3repE0EEENS1_30default_config_static_selectorELNS0_4arch9wavefront6targetE1EEEvT1_
		.amdhsa_group_segment_fixed_size 0
		.amdhsa_private_segment_fixed_size 0
		.amdhsa_kernarg_size 40
		.amdhsa_user_sgpr_count 6
		.amdhsa_user_sgpr_private_segment_buffer 1
		.amdhsa_user_sgpr_dispatch_ptr 0
		.amdhsa_user_sgpr_queue_ptr 0
		.amdhsa_user_sgpr_kernarg_segment_ptr 1
		.amdhsa_user_sgpr_dispatch_id 0
		.amdhsa_user_sgpr_flat_scratch_init 0
		.amdhsa_user_sgpr_kernarg_preload_length 0
		.amdhsa_user_sgpr_kernarg_preload_offset 0
		.amdhsa_user_sgpr_private_segment_size 0
		.amdhsa_uses_dynamic_stack 0
		.amdhsa_system_sgpr_private_segment_wavefront_offset 0
		.amdhsa_system_sgpr_workgroup_id_x 1
		.amdhsa_system_sgpr_workgroup_id_y 0
		.amdhsa_system_sgpr_workgroup_id_z 0
		.amdhsa_system_sgpr_workgroup_info 0
		.amdhsa_system_vgpr_workitem_id 0
		.amdhsa_next_free_vgpr 1
		.amdhsa_next_free_sgpr 0
		.amdhsa_accum_offset 4
		.amdhsa_reserve_vcc 0
		.amdhsa_reserve_flat_scratch 0
		.amdhsa_float_round_mode_32 0
		.amdhsa_float_round_mode_16_64 0
		.amdhsa_float_denorm_mode_32 3
		.amdhsa_float_denorm_mode_16_64 3
		.amdhsa_dx10_clamp 1
		.amdhsa_ieee_mode 1
		.amdhsa_fp16_overflow 0
		.amdhsa_tg_split 0
		.amdhsa_exception_fp_ieee_invalid_op 0
		.amdhsa_exception_fp_denorm_src 0
		.amdhsa_exception_fp_ieee_div_zero 0
		.amdhsa_exception_fp_ieee_overflow 0
		.amdhsa_exception_fp_ieee_underflow 0
		.amdhsa_exception_fp_ieee_inexact 0
		.amdhsa_exception_int_div_zero 0
	.end_amdhsa_kernel
	.section	.text._ZN7rocprim17ROCPRIM_400000_NS6detail17trampoline_kernelINS0_14default_configENS1_20scan_config_selectorIxEEZZNS1_9scan_implILNS1_25lookback_scan_determinismE0ELb0ELb0ES3_N6thrust23THRUST_200600_302600_NS6detail15normal_iteratorINS9_10device_ptrIxEEEESE_x11max_functorIxExEEDaPvRmT3_T4_T5_mT6_P12ihipStream_tbENKUlT_T0_E_clISt17integral_constantIbLb0EEST_IbLb1EEEEDaSP_SQ_EUlSP_E0_NS1_11comp_targetILNS1_3genE10ELNS1_11target_archE1200ELNS1_3gpuE4ELNS1_3repE0EEENS1_30default_config_static_selectorELNS0_4arch9wavefront6targetE1EEEvT1_,"axG",@progbits,_ZN7rocprim17ROCPRIM_400000_NS6detail17trampoline_kernelINS0_14default_configENS1_20scan_config_selectorIxEEZZNS1_9scan_implILNS1_25lookback_scan_determinismE0ELb0ELb0ES3_N6thrust23THRUST_200600_302600_NS6detail15normal_iteratorINS9_10device_ptrIxEEEESE_x11max_functorIxExEEDaPvRmT3_T4_T5_mT6_P12ihipStream_tbENKUlT_T0_E_clISt17integral_constantIbLb0EEST_IbLb1EEEEDaSP_SQ_EUlSP_E0_NS1_11comp_targetILNS1_3genE10ELNS1_11target_archE1200ELNS1_3gpuE4ELNS1_3repE0EEENS1_30default_config_static_selectorELNS0_4arch9wavefront6targetE1EEEvT1_,comdat
.Lfunc_end2627:
	.size	_ZN7rocprim17ROCPRIM_400000_NS6detail17trampoline_kernelINS0_14default_configENS1_20scan_config_selectorIxEEZZNS1_9scan_implILNS1_25lookback_scan_determinismE0ELb0ELb0ES3_N6thrust23THRUST_200600_302600_NS6detail15normal_iteratorINS9_10device_ptrIxEEEESE_x11max_functorIxExEEDaPvRmT3_T4_T5_mT6_P12ihipStream_tbENKUlT_T0_E_clISt17integral_constantIbLb0EEST_IbLb1EEEEDaSP_SQ_EUlSP_E0_NS1_11comp_targetILNS1_3genE10ELNS1_11target_archE1200ELNS1_3gpuE4ELNS1_3repE0EEENS1_30default_config_static_selectorELNS0_4arch9wavefront6targetE1EEEvT1_, .Lfunc_end2627-_ZN7rocprim17ROCPRIM_400000_NS6detail17trampoline_kernelINS0_14default_configENS1_20scan_config_selectorIxEEZZNS1_9scan_implILNS1_25lookback_scan_determinismE0ELb0ELb0ES3_N6thrust23THRUST_200600_302600_NS6detail15normal_iteratorINS9_10device_ptrIxEEEESE_x11max_functorIxExEEDaPvRmT3_T4_T5_mT6_P12ihipStream_tbENKUlT_T0_E_clISt17integral_constantIbLb0EEST_IbLb1EEEEDaSP_SQ_EUlSP_E0_NS1_11comp_targetILNS1_3genE10ELNS1_11target_archE1200ELNS1_3gpuE4ELNS1_3repE0EEENS1_30default_config_static_selectorELNS0_4arch9wavefront6targetE1EEEvT1_
                                        ; -- End function
	.section	.AMDGPU.csdata,"",@progbits
; Kernel info:
; codeLenInByte = 0
; NumSgprs: 4
; NumVgprs: 0
; NumAgprs: 0
; TotalNumVgprs: 0
; ScratchSize: 0
; MemoryBound: 0
; FloatMode: 240
; IeeeMode: 1
; LDSByteSize: 0 bytes/workgroup (compile time only)
; SGPRBlocks: 0
; VGPRBlocks: 0
; NumSGPRsForWavesPerEU: 4
; NumVGPRsForWavesPerEU: 1
; AccumOffset: 4
; Occupancy: 8
; WaveLimiterHint : 0
; COMPUTE_PGM_RSRC2:SCRATCH_EN: 0
; COMPUTE_PGM_RSRC2:USER_SGPR: 6
; COMPUTE_PGM_RSRC2:TRAP_HANDLER: 0
; COMPUTE_PGM_RSRC2:TGID_X_EN: 1
; COMPUTE_PGM_RSRC2:TGID_Y_EN: 0
; COMPUTE_PGM_RSRC2:TGID_Z_EN: 0
; COMPUTE_PGM_RSRC2:TIDIG_COMP_CNT: 0
; COMPUTE_PGM_RSRC3_GFX90A:ACCUM_OFFSET: 0
; COMPUTE_PGM_RSRC3_GFX90A:TG_SPLIT: 0
	.section	.text._ZN7rocprim17ROCPRIM_400000_NS6detail17trampoline_kernelINS0_14default_configENS1_20scan_config_selectorIxEEZZNS1_9scan_implILNS1_25lookback_scan_determinismE0ELb0ELb0ES3_N6thrust23THRUST_200600_302600_NS6detail15normal_iteratorINS9_10device_ptrIxEEEESE_x11max_functorIxExEEDaPvRmT3_T4_T5_mT6_P12ihipStream_tbENKUlT_T0_E_clISt17integral_constantIbLb0EEST_IbLb1EEEEDaSP_SQ_EUlSP_E0_NS1_11comp_targetILNS1_3genE9ELNS1_11target_archE1100ELNS1_3gpuE3ELNS1_3repE0EEENS1_30default_config_static_selectorELNS0_4arch9wavefront6targetE1EEEvT1_,"axG",@progbits,_ZN7rocprim17ROCPRIM_400000_NS6detail17trampoline_kernelINS0_14default_configENS1_20scan_config_selectorIxEEZZNS1_9scan_implILNS1_25lookback_scan_determinismE0ELb0ELb0ES3_N6thrust23THRUST_200600_302600_NS6detail15normal_iteratorINS9_10device_ptrIxEEEESE_x11max_functorIxExEEDaPvRmT3_T4_T5_mT6_P12ihipStream_tbENKUlT_T0_E_clISt17integral_constantIbLb0EEST_IbLb1EEEEDaSP_SQ_EUlSP_E0_NS1_11comp_targetILNS1_3genE9ELNS1_11target_archE1100ELNS1_3gpuE3ELNS1_3repE0EEENS1_30default_config_static_selectorELNS0_4arch9wavefront6targetE1EEEvT1_,comdat
	.protected	_ZN7rocprim17ROCPRIM_400000_NS6detail17trampoline_kernelINS0_14default_configENS1_20scan_config_selectorIxEEZZNS1_9scan_implILNS1_25lookback_scan_determinismE0ELb0ELb0ES3_N6thrust23THRUST_200600_302600_NS6detail15normal_iteratorINS9_10device_ptrIxEEEESE_x11max_functorIxExEEDaPvRmT3_T4_T5_mT6_P12ihipStream_tbENKUlT_T0_E_clISt17integral_constantIbLb0EEST_IbLb1EEEEDaSP_SQ_EUlSP_E0_NS1_11comp_targetILNS1_3genE9ELNS1_11target_archE1100ELNS1_3gpuE3ELNS1_3repE0EEENS1_30default_config_static_selectorELNS0_4arch9wavefront6targetE1EEEvT1_ ; -- Begin function _ZN7rocprim17ROCPRIM_400000_NS6detail17trampoline_kernelINS0_14default_configENS1_20scan_config_selectorIxEEZZNS1_9scan_implILNS1_25lookback_scan_determinismE0ELb0ELb0ES3_N6thrust23THRUST_200600_302600_NS6detail15normal_iteratorINS9_10device_ptrIxEEEESE_x11max_functorIxExEEDaPvRmT3_T4_T5_mT6_P12ihipStream_tbENKUlT_T0_E_clISt17integral_constantIbLb0EEST_IbLb1EEEEDaSP_SQ_EUlSP_E0_NS1_11comp_targetILNS1_3genE9ELNS1_11target_archE1100ELNS1_3gpuE3ELNS1_3repE0EEENS1_30default_config_static_selectorELNS0_4arch9wavefront6targetE1EEEvT1_
	.globl	_ZN7rocprim17ROCPRIM_400000_NS6detail17trampoline_kernelINS0_14default_configENS1_20scan_config_selectorIxEEZZNS1_9scan_implILNS1_25lookback_scan_determinismE0ELb0ELb0ES3_N6thrust23THRUST_200600_302600_NS6detail15normal_iteratorINS9_10device_ptrIxEEEESE_x11max_functorIxExEEDaPvRmT3_T4_T5_mT6_P12ihipStream_tbENKUlT_T0_E_clISt17integral_constantIbLb0EEST_IbLb1EEEEDaSP_SQ_EUlSP_E0_NS1_11comp_targetILNS1_3genE9ELNS1_11target_archE1100ELNS1_3gpuE3ELNS1_3repE0EEENS1_30default_config_static_selectorELNS0_4arch9wavefront6targetE1EEEvT1_
	.p2align	8
	.type	_ZN7rocprim17ROCPRIM_400000_NS6detail17trampoline_kernelINS0_14default_configENS1_20scan_config_selectorIxEEZZNS1_9scan_implILNS1_25lookback_scan_determinismE0ELb0ELb0ES3_N6thrust23THRUST_200600_302600_NS6detail15normal_iteratorINS9_10device_ptrIxEEEESE_x11max_functorIxExEEDaPvRmT3_T4_T5_mT6_P12ihipStream_tbENKUlT_T0_E_clISt17integral_constantIbLb0EEST_IbLb1EEEEDaSP_SQ_EUlSP_E0_NS1_11comp_targetILNS1_3genE9ELNS1_11target_archE1100ELNS1_3gpuE3ELNS1_3repE0EEENS1_30default_config_static_selectorELNS0_4arch9wavefront6targetE1EEEvT1_,@function
_ZN7rocprim17ROCPRIM_400000_NS6detail17trampoline_kernelINS0_14default_configENS1_20scan_config_selectorIxEEZZNS1_9scan_implILNS1_25lookback_scan_determinismE0ELb0ELb0ES3_N6thrust23THRUST_200600_302600_NS6detail15normal_iteratorINS9_10device_ptrIxEEEESE_x11max_functorIxExEEDaPvRmT3_T4_T5_mT6_P12ihipStream_tbENKUlT_T0_E_clISt17integral_constantIbLb0EEST_IbLb1EEEEDaSP_SQ_EUlSP_E0_NS1_11comp_targetILNS1_3genE9ELNS1_11target_archE1100ELNS1_3gpuE3ELNS1_3repE0EEENS1_30default_config_static_selectorELNS0_4arch9wavefront6targetE1EEEvT1_: ; @_ZN7rocprim17ROCPRIM_400000_NS6detail17trampoline_kernelINS0_14default_configENS1_20scan_config_selectorIxEEZZNS1_9scan_implILNS1_25lookback_scan_determinismE0ELb0ELb0ES3_N6thrust23THRUST_200600_302600_NS6detail15normal_iteratorINS9_10device_ptrIxEEEESE_x11max_functorIxExEEDaPvRmT3_T4_T5_mT6_P12ihipStream_tbENKUlT_T0_E_clISt17integral_constantIbLb0EEST_IbLb1EEEEDaSP_SQ_EUlSP_E0_NS1_11comp_targetILNS1_3genE9ELNS1_11target_archE1100ELNS1_3gpuE3ELNS1_3repE0EEENS1_30default_config_static_selectorELNS0_4arch9wavefront6targetE1EEEvT1_
; %bb.0:
	.section	.rodata,"a",@progbits
	.p2align	6, 0x0
	.amdhsa_kernel _ZN7rocprim17ROCPRIM_400000_NS6detail17trampoline_kernelINS0_14default_configENS1_20scan_config_selectorIxEEZZNS1_9scan_implILNS1_25lookback_scan_determinismE0ELb0ELb0ES3_N6thrust23THRUST_200600_302600_NS6detail15normal_iteratorINS9_10device_ptrIxEEEESE_x11max_functorIxExEEDaPvRmT3_T4_T5_mT6_P12ihipStream_tbENKUlT_T0_E_clISt17integral_constantIbLb0EEST_IbLb1EEEEDaSP_SQ_EUlSP_E0_NS1_11comp_targetILNS1_3genE9ELNS1_11target_archE1100ELNS1_3gpuE3ELNS1_3repE0EEENS1_30default_config_static_selectorELNS0_4arch9wavefront6targetE1EEEvT1_
		.amdhsa_group_segment_fixed_size 0
		.amdhsa_private_segment_fixed_size 0
		.amdhsa_kernarg_size 40
		.amdhsa_user_sgpr_count 6
		.amdhsa_user_sgpr_private_segment_buffer 1
		.amdhsa_user_sgpr_dispatch_ptr 0
		.amdhsa_user_sgpr_queue_ptr 0
		.amdhsa_user_sgpr_kernarg_segment_ptr 1
		.amdhsa_user_sgpr_dispatch_id 0
		.amdhsa_user_sgpr_flat_scratch_init 0
		.amdhsa_user_sgpr_kernarg_preload_length 0
		.amdhsa_user_sgpr_kernarg_preload_offset 0
		.amdhsa_user_sgpr_private_segment_size 0
		.amdhsa_uses_dynamic_stack 0
		.amdhsa_system_sgpr_private_segment_wavefront_offset 0
		.amdhsa_system_sgpr_workgroup_id_x 1
		.amdhsa_system_sgpr_workgroup_id_y 0
		.amdhsa_system_sgpr_workgroup_id_z 0
		.amdhsa_system_sgpr_workgroup_info 0
		.amdhsa_system_vgpr_workitem_id 0
		.amdhsa_next_free_vgpr 1
		.amdhsa_next_free_sgpr 0
		.amdhsa_accum_offset 4
		.amdhsa_reserve_vcc 0
		.amdhsa_reserve_flat_scratch 0
		.amdhsa_float_round_mode_32 0
		.amdhsa_float_round_mode_16_64 0
		.amdhsa_float_denorm_mode_32 3
		.amdhsa_float_denorm_mode_16_64 3
		.amdhsa_dx10_clamp 1
		.amdhsa_ieee_mode 1
		.amdhsa_fp16_overflow 0
		.amdhsa_tg_split 0
		.amdhsa_exception_fp_ieee_invalid_op 0
		.amdhsa_exception_fp_denorm_src 0
		.amdhsa_exception_fp_ieee_div_zero 0
		.amdhsa_exception_fp_ieee_overflow 0
		.amdhsa_exception_fp_ieee_underflow 0
		.amdhsa_exception_fp_ieee_inexact 0
		.amdhsa_exception_int_div_zero 0
	.end_amdhsa_kernel
	.section	.text._ZN7rocprim17ROCPRIM_400000_NS6detail17trampoline_kernelINS0_14default_configENS1_20scan_config_selectorIxEEZZNS1_9scan_implILNS1_25lookback_scan_determinismE0ELb0ELb0ES3_N6thrust23THRUST_200600_302600_NS6detail15normal_iteratorINS9_10device_ptrIxEEEESE_x11max_functorIxExEEDaPvRmT3_T4_T5_mT6_P12ihipStream_tbENKUlT_T0_E_clISt17integral_constantIbLb0EEST_IbLb1EEEEDaSP_SQ_EUlSP_E0_NS1_11comp_targetILNS1_3genE9ELNS1_11target_archE1100ELNS1_3gpuE3ELNS1_3repE0EEENS1_30default_config_static_selectorELNS0_4arch9wavefront6targetE1EEEvT1_,"axG",@progbits,_ZN7rocprim17ROCPRIM_400000_NS6detail17trampoline_kernelINS0_14default_configENS1_20scan_config_selectorIxEEZZNS1_9scan_implILNS1_25lookback_scan_determinismE0ELb0ELb0ES3_N6thrust23THRUST_200600_302600_NS6detail15normal_iteratorINS9_10device_ptrIxEEEESE_x11max_functorIxExEEDaPvRmT3_T4_T5_mT6_P12ihipStream_tbENKUlT_T0_E_clISt17integral_constantIbLb0EEST_IbLb1EEEEDaSP_SQ_EUlSP_E0_NS1_11comp_targetILNS1_3genE9ELNS1_11target_archE1100ELNS1_3gpuE3ELNS1_3repE0EEENS1_30default_config_static_selectorELNS0_4arch9wavefront6targetE1EEEvT1_,comdat
.Lfunc_end2628:
	.size	_ZN7rocprim17ROCPRIM_400000_NS6detail17trampoline_kernelINS0_14default_configENS1_20scan_config_selectorIxEEZZNS1_9scan_implILNS1_25lookback_scan_determinismE0ELb0ELb0ES3_N6thrust23THRUST_200600_302600_NS6detail15normal_iteratorINS9_10device_ptrIxEEEESE_x11max_functorIxExEEDaPvRmT3_T4_T5_mT6_P12ihipStream_tbENKUlT_T0_E_clISt17integral_constantIbLb0EEST_IbLb1EEEEDaSP_SQ_EUlSP_E0_NS1_11comp_targetILNS1_3genE9ELNS1_11target_archE1100ELNS1_3gpuE3ELNS1_3repE0EEENS1_30default_config_static_selectorELNS0_4arch9wavefront6targetE1EEEvT1_, .Lfunc_end2628-_ZN7rocprim17ROCPRIM_400000_NS6detail17trampoline_kernelINS0_14default_configENS1_20scan_config_selectorIxEEZZNS1_9scan_implILNS1_25lookback_scan_determinismE0ELb0ELb0ES3_N6thrust23THRUST_200600_302600_NS6detail15normal_iteratorINS9_10device_ptrIxEEEESE_x11max_functorIxExEEDaPvRmT3_T4_T5_mT6_P12ihipStream_tbENKUlT_T0_E_clISt17integral_constantIbLb0EEST_IbLb1EEEEDaSP_SQ_EUlSP_E0_NS1_11comp_targetILNS1_3genE9ELNS1_11target_archE1100ELNS1_3gpuE3ELNS1_3repE0EEENS1_30default_config_static_selectorELNS0_4arch9wavefront6targetE1EEEvT1_
                                        ; -- End function
	.section	.AMDGPU.csdata,"",@progbits
; Kernel info:
; codeLenInByte = 0
; NumSgprs: 4
; NumVgprs: 0
; NumAgprs: 0
; TotalNumVgprs: 0
; ScratchSize: 0
; MemoryBound: 0
; FloatMode: 240
; IeeeMode: 1
; LDSByteSize: 0 bytes/workgroup (compile time only)
; SGPRBlocks: 0
; VGPRBlocks: 0
; NumSGPRsForWavesPerEU: 4
; NumVGPRsForWavesPerEU: 1
; AccumOffset: 4
; Occupancy: 8
; WaveLimiterHint : 0
; COMPUTE_PGM_RSRC2:SCRATCH_EN: 0
; COMPUTE_PGM_RSRC2:USER_SGPR: 6
; COMPUTE_PGM_RSRC2:TRAP_HANDLER: 0
; COMPUTE_PGM_RSRC2:TGID_X_EN: 1
; COMPUTE_PGM_RSRC2:TGID_Y_EN: 0
; COMPUTE_PGM_RSRC2:TGID_Z_EN: 0
; COMPUTE_PGM_RSRC2:TIDIG_COMP_CNT: 0
; COMPUTE_PGM_RSRC3_GFX90A:ACCUM_OFFSET: 0
; COMPUTE_PGM_RSRC3_GFX90A:TG_SPLIT: 0
	.section	.text._ZN7rocprim17ROCPRIM_400000_NS6detail17trampoline_kernelINS0_14default_configENS1_20scan_config_selectorIxEEZZNS1_9scan_implILNS1_25lookback_scan_determinismE0ELb0ELb0ES3_N6thrust23THRUST_200600_302600_NS6detail15normal_iteratorINS9_10device_ptrIxEEEESE_x11max_functorIxExEEDaPvRmT3_T4_T5_mT6_P12ihipStream_tbENKUlT_T0_E_clISt17integral_constantIbLb0EEST_IbLb1EEEEDaSP_SQ_EUlSP_E0_NS1_11comp_targetILNS1_3genE8ELNS1_11target_archE1030ELNS1_3gpuE2ELNS1_3repE0EEENS1_30default_config_static_selectorELNS0_4arch9wavefront6targetE1EEEvT1_,"axG",@progbits,_ZN7rocprim17ROCPRIM_400000_NS6detail17trampoline_kernelINS0_14default_configENS1_20scan_config_selectorIxEEZZNS1_9scan_implILNS1_25lookback_scan_determinismE0ELb0ELb0ES3_N6thrust23THRUST_200600_302600_NS6detail15normal_iteratorINS9_10device_ptrIxEEEESE_x11max_functorIxExEEDaPvRmT3_T4_T5_mT6_P12ihipStream_tbENKUlT_T0_E_clISt17integral_constantIbLb0EEST_IbLb1EEEEDaSP_SQ_EUlSP_E0_NS1_11comp_targetILNS1_3genE8ELNS1_11target_archE1030ELNS1_3gpuE2ELNS1_3repE0EEENS1_30default_config_static_selectorELNS0_4arch9wavefront6targetE1EEEvT1_,comdat
	.protected	_ZN7rocprim17ROCPRIM_400000_NS6detail17trampoline_kernelINS0_14default_configENS1_20scan_config_selectorIxEEZZNS1_9scan_implILNS1_25lookback_scan_determinismE0ELb0ELb0ES3_N6thrust23THRUST_200600_302600_NS6detail15normal_iteratorINS9_10device_ptrIxEEEESE_x11max_functorIxExEEDaPvRmT3_T4_T5_mT6_P12ihipStream_tbENKUlT_T0_E_clISt17integral_constantIbLb0EEST_IbLb1EEEEDaSP_SQ_EUlSP_E0_NS1_11comp_targetILNS1_3genE8ELNS1_11target_archE1030ELNS1_3gpuE2ELNS1_3repE0EEENS1_30default_config_static_selectorELNS0_4arch9wavefront6targetE1EEEvT1_ ; -- Begin function _ZN7rocprim17ROCPRIM_400000_NS6detail17trampoline_kernelINS0_14default_configENS1_20scan_config_selectorIxEEZZNS1_9scan_implILNS1_25lookback_scan_determinismE0ELb0ELb0ES3_N6thrust23THRUST_200600_302600_NS6detail15normal_iteratorINS9_10device_ptrIxEEEESE_x11max_functorIxExEEDaPvRmT3_T4_T5_mT6_P12ihipStream_tbENKUlT_T0_E_clISt17integral_constantIbLb0EEST_IbLb1EEEEDaSP_SQ_EUlSP_E0_NS1_11comp_targetILNS1_3genE8ELNS1_11target_archE1030ELNS1_3gpuE2ELNS1_3repE0EEENS1_30default_config_static_selectorELNS0_4arch9wavefront6targetE1EEEvT1_
	.globl	_ZN7rocprim17ROCPRIM_400000_NS6detail17trampoline_kernelINS0_14default_configENS1_20scan_config_selectorIxEEZZNS1_9scan_implILNS1_25lookback_scan_determinismE0ELb0ELb0ES3_N6thrust23THRUST_200600_302600_NS6detail15normal_iteratorINS9_10device_ptrIxEEEESE_x11max_functorIxExEEDaPvRmT3_T4_T5_mT6_P12ihipStream_tbENKUlT_T0_E_clISt17integral_constantIbLb0EEST_IbLb1EEEEDaSP_SQ_EUlSP_E0_NS1_11comp_targetILNS1_3genE8ELNS1_11target_archE1030ELNS1_3gpuE2ELNS1_3repE0EEENS1_30default_config_static_selectorELNS0_4arch9wavefront6targetE1EEEvT1_
	.p2align	8
	.type	_ZN7rocprim17ROCPRIM_400000_NS6detail17trampoline_kernelINS0_14default_configENS1_20scan_config_selectorIxEEZZNS1_9scan_implILNS1_25lookback_scan_determinismE0ELb0ELb0ES3_N6thrust23THRUST_200600_302600_NS6detail15normal_iteratorINS9_10device_ptrIxEEEESE_x11max_functorIxExEEDaPvRmT3_T4_T5_mT6_P12ihipStream_tbENKUlT_T0_E_clISt17integral_constantIbLb0EEST_IbLb1EEEEDaSP_SQ_EUlSP_E0_NS1_11comp_targetILNS1_3genE8ELNS1_11target_archE1030ELNS1_3gpuE2ELNS1_3repE0EEENS1_30default_config_static_selectorELNS0_4arch9wavefront6targetE1EEEvT1_,@function
_ZN7rocprim17ROCPRIM_400000_NS6detail17trampoline_kernelINS0_14default_configENS1_20scan_config_selectorIxEEZZNS1_9scan_implILNS1_25lookback_scan_determinismE0ELb0ELb0ES3_N6thrust23THRUST_200600_302600_NS6detail15normal_iteratorINS9_10device_ptrIxEEEESE_x11max_functorIxExEEDaPvRmT3_T4_T5_mT6_P12ihipStream_tbENKUlT_T0_E_clISt17integral_constantIbLb0EEST_IbLb1EEEEDaSP_SQ_EUlSP_E0_NS1_11comp_targetILNS1_3genE8ELNS1_11target_archE1030ELNS1_3gpuE2ELNS1_3repE0EEENS1_30default_config_static_selectorELNS0_4arch9wavefront6targetE1EEEvT1_: ; @_ZN7rocprim17ROCPRIM_400000_NS6detail17trampoline_kernelINS0_14default_configENS1_20scan_config_selectorIxEEZZNS1_9scan_implILNS1_25lookback_scan_determinismE0ELb0ELb0ES3_N6thrust23THRUST_200600_302600_NS6detail15normal_iteratorINS9_10device_ptrIxEEEESE_x11max_functorIxExEEDaPvRmT3_T4_T5_mT6_P12ihipStream_tbENKUlT_T0_E_clISt17integral_constantIbLb0EEST_IbLb1EEEEDaSP_SQ_EUlSP_E0_NS1_11comp_targetILNS1_3genE8ELNS1_11target_archE1030ELNS1_3gpuE2ELNS1_3repE0EEENS1_30default_config_static_selectorELNS0_4arch9wavefront6targetE1EEEvT1_
; %bb.0:
	.section	.rodata,"a",@progbits
	.p2align	6, 0x0
	.amdhsa_kernel _ZN7rocprim17ROCPRIM_400000_NS6detail17trampoline_kernelINS0_14default_configENS1_20scan_config_selectorIxEEZZNS1_9scan_implILNS1_25lookback_scan_determinismE0ELb0ELb0ES3_N6thrust23THRUST_200600_302600_NS6detail15normal_iteratorINS9_10device_ptrIxEEEESE_x11max_functorIxExEEDaPvRmT3_T4_T5_mT6_P12ihipStream_tbENKUlT_T0_E_clISt17integral_constantIbLb0EEST_IbLb1EEEEDaSP_SQ_EUlSP_E0_NS1_11comp_targetILNS1_3genE8ELNS1_11target_archE1030ELNS1_3gpuE2ELNS1_3repE0EEENS1_30default_config_static_selectorELNS0_4arch9wavefront6targetE1EEEvT1_
		.amdhsa_group_segment_fixed_size 0
		.amdhsa_private_segment_fixed_size 0
		.amdhsa_kernarg_size 40
		.amdhsa_user_sgpr_count 6
		.amdhsa_user_sgpr_private_segment_buffer 1
		.amdhsa_user_sgpr_dispatch_ptr 0
		.amdhsa_user_sgpr_queue_ptr 0
		.amdhsa_user_sgpr_kernarg_segment_ptr 1
		.amdhsa_user_sgpr_dispatch_id 0
		.amdhsa_user_sgpr_flat_scratch_init 0
		.amdhsa_user_sgpr_kernarg_preload_length 0
		.amdhsa_user_sgpr_kernarg_preload_offset 0
		.amdhsa_user_sgpr_private_segment_size 0
		.amdhsa_uses_dynamic_stack 0
		.amdhsa_system_sgpr_private_segment_wavefront_offset 0
		.amdhsa_system_sgpr_workgroup_id_x 1
		.amdhsa_system_sgpr_workgroup_id_y 0
		.amdhsa_system_sgpr_workgroup_id_z 0
		.amdhsa_system_sgpr_workgroup_info 0
		.amdhsa_system_vgpr_workitem_id 0
		.amdhsa_next_free_vgpr 1
		.amdhsa_next_free_sgpr 0
		.amdhsa_accum_offset 4
		.amdhsa_reserve_vcc 0
		.amdhsa_reserve_flat_scratch 0
		.amdhsa_float_round_mode_32 0
		.amdhsa_float_round_mode_16_64 0
		.amdhsa_float_denorm_mode_32 3
		.amdhsa_float_denorm_mode_16_64 3
		.amdhsa_dx10_clamp 1
		.amdhsa_ieee_mode 1
		.amdhsa_fp16_overflow 0
		.amdhsa_tg_split 0
		.amdhsa_exception_fp_ieee_invalid_op 0
		.amdhsa_exception_fp_denorm_src 0
		.amdhsa_exception_fp_ieee_div_zero 0
		.amdhsa_exception_fp_ieee_overflow 0
		.amdhsa_exception_fp_ieee_underflow 0
		.amdhsa_exception_fp_ieee_inexact 0
		.amdhsa_exception_int_div_zero 0
	.end_amdhsa_kernel
	.section	.text._ZN7rocprim17ROCPRIM_400000_NS6detail17trampoline_kernelINS0_14default_configENS1_20scan_config_selectorIxEEZZNS1_9scan_implILNS1_25lookback_scan_determinismE0ELb0ELb0ES3_N6thrust23THRUST_200600_302600_NS6detail15normal_iteratorINS9_10device_ptrIxEEEESE_x11max_functorIxExEEDaPvRmT3_T4_T5_mT6_P12ihipStream_tbENKUlT_T0_E_clISt17integral_constantIbLb0EEST_IbLb1EEEEDaSP_SQ_EUlSP_E0_NS1_11comp_targetILNS1_3genE8ELNS1_11target_archE1030ELNS1_3gpuE2ELNS1_3repE0EEENS1_30default_config_static_selectorELNS0_4arch9wavefront6targetE1EEEvT1_,"axG",@progbits,_ZN7rocprim17ROCPRIM_400000_NS6detail17trampoline_kernelINS0_14default_configENS1_20scan_config_selectorIxEEZZNS1_9scan_implILNS1_25lookback_scan_determinismE0ELb0ELb0ES3_N6thrust23THRUST_200600_302600_NS6detail15normal_iteratorINS9_10device_ptrIxEEEESE_x11max_functorIxExEEDaPvRmT3_T4_T5_mT6_P12ihipStream_tbENKUlT_T0_E_clISt17integral_constantIbLb0EEST_IbLb1EEEEDaSP_SQ_EUlSP_E0_NS1_11comp_targetILNS1_3genE8ELNS1_11target_archE1030ELNS1_3gpuE2ELNS1_3repE0EEENS1_30default_config_static_selectorELNS0_4arch9wavefront6targetE1EEEvT1_,comdat
.Lfunc_end2629:
	.size	_ZN7rocprim17ROCPRIM_400000_NS6detail17trampoline_kernelINS0_14default_configENS1_20scan_config_selectorIxEEZZNS1_9scan_implILNS1_25lookback_scan_determinismE0ELb0ELb0ES3_N6thrust23THRUST_200600_302600_NS6detail15normal_iteratorINS9_10device_ptrIxEEEESE_x11max_functorIxExEEDaPvRmT3_T4_T5_mT6_P12ihipStream_tbENKUlT_T0_E_clISt17integral_constantIbLb0EEST_IbLb1EEEEDaSP_SQ_EUlSP_E0_NS1_11comp_targetILNS1_3genE8ELNS1_11target_archE1030ELNS1_3gpuE2ELNS1_3repE0EEENS1_30default_config_static_selectorELNS0_4arch9wavefront6targetE1EEEvT1_, .Lfunc_end2629-_ZN7rocprim17ROCPRIM_400000_NS6detail17trampoline_kernelINS0_14default_configENS1_20scan_config_selectorIxEEZZNS1_9scan_implILNS1_25lookback_scan_determinismE0ELb0ELb0ES3_N6thrust23THRUST_200600_302600_NS6detail15normal_iteratorINS9_10device_ptrIxEEEESE_x11max_functorIxExEEDaPvRmT3_T4_T5_mT6_P12ihipStream_tbENKUlT_T0_E_clISt17integral_constantIbLb0EEST_IbLb1EEEEDaSP_SQ_EUlSP_E0_NS1_11comp_targetILNS1_3genE8ELNS1_11target_archE1030ELNS1_3gpuE2ELNS1_3repE0EEENS1_30default_config_static_selectorELNS0_4arch9wavefront6targetE1EEEvT1_
                                        ; -- End function
	.section	.AMDGPU.csdata,"",@progbits
; Kernel info:
; codeLenInByte = 0
; NumSgprs: 4
; NumVgprs: 0
; NumAgprs: 0
; TotalNumVgprs: 0
; ScratchSize: 0
; MemoryBound: 0
; FloatMode: 240
; IeeeMode: 1
; LDSByteSize: 0 bytes/workgroup (compile time only)
; SGPRBlocks: 0
; VGPRBlocks: 0
; NumSGPRsForWavesPerEU: 4
; NumVGPRsForWavesPerEU: 1
; AccumOffset: 4
; Occupancy: 8
; WaveLimiterHint : 0
; COMPUTE_PGM_RSRC2:SCRATCH_EN: 0
; COMPUTE_PGM_RSRC2:USER_SGPR: 6
; COMPUTE_PGM_RSRC2:TRAP_HANDLER: 0
; COMPUTE_PGM_RSRC2:TGID_X_EN: 1
; COMPUTE_PGM_RSRC2:TGID_Y_EN: 0
; COMPUTE_PGM_RSRC2:TGID_Z_EN: 0
; COMPUTE_PGM_RSRC2:TIDIG_COMP_CNT: 0
; COMPUTE_PGM_RSRC3_GFX90A:ACCUM_OFFSET: 0
; COMPUTE_PGM_RSRC3_GFX90A:TG_SPLIT: 0
	.section	.text._ZN7rocprim17ROCPRIM_400000_NS6detail17trampoline_kernelINS0_14default_configENS1_20scan_config_selectorIxEEZZNS1_9scan_implILNS1_25lookback_scan_determinismE0ELb1ELb1ES3_N6thrust23THRUST_200600_302600_NS6detail15normal_iteratorINS9_10device_ptrIxEEEESE_x11max_functorIxExEEDaPvRmT3_T4_T5_mT6_P12ihipStream_tbENKUlT_T0_E_clISt17integral_constantIbLb0EESU_EEDaSP_SQ_EUlSP_E_NS1_11comp_targetILNS1_3genE0ELNS1_11target_archE4294967295ELNS1_3gpuE0ELNS1_3repE0EEENS1_30default_config_static_selectorELNS0_4arch9wavefront6targetE1EEEvT1_,"axG",@progbits,_ZN7rocprim17ROCPRIM_400000_NS6detail17trampoline_kernelINS0_14default_configENS1_20scan_config_selectorIxEEZZNS1_9scan_implILNS1_25lookback_scan_determinismE0ELb1ELb1ES3_N6thrust23THRUST_200600_302600_NS6detail15normal_iteratorINS9_10device_ptrIxEEEESE_x11max_functorIxExEEDaPvRmT3_T4_T5_mT6_P12ihipStream_tbENKUlT_T0_E_clISt17integral_constantIbLb0EESU_EEDaSP_SQ_EUlSP_E_NS1_11comp_targetILNS1_3genE0ELNS1_11target_archE4294967295ELNS1_3gpuE0ELNS1_3repE0EEENS1_30default_config_static_selectorELNS0_4arch9wavefront6targetE1EEEvT1_,comdat
	.protected	_ZN7rocprim17ROCPRIM_400000_NS6detail17trampoline_kernelINS0_14default_configENS1_20scan_config_selectorIxEEZZNS1_9scan_implILNS1_25lookback_scan_determinismE0ELb1ELb1ES3_N6thrust23THRUST_200600_302600_NS6detail15normal_iteratorINS9_10device_ptrIxEEEESE_x11max_functorIxExEEDaPvRmT3_T4_T5_mT6_P12ihipStream_tbENKUlT_T0_E_clISt17integral_constantIbLb0EESU_EEDaSP_SQ_EUlSP_E_NS1_11comp_targetILNS1_3genE0ELNS1_11target_archE4294967295ELNS1_3gpuE0ELNS1_3repE0EEENS1_30default_config_static_selectorELNS0_4arch9wavefront6targetE1EEEvT1_ ; -- Begin function _ZN7rocprim17ROCPRIM_400000_NS6detail17trampoline_kernelINS0_14default_configENS1_20scan_config_selectorIxEEZZNS1_9scan_implILNS1_25lookback_scan_determinismE0ELb1ELb1ES3_N6thrust23THRUST_200600_302600_NS6detail15normal_iteratorINS9_10device_ptrIxEEEESE_x11max_functorIxExEEDaPvRmT3_T4_T5_mT6_P12ihipStream_tbENKUlT_T0_E_clISt17integral_constantIbLb0EESU_EEDaSP_SQ_EUlSP_E_NS1_11comp_targetILNS1_3genE0ELNS1_11target_archE4294967295ELNS1_3gpuE0ELNS1_3repE0EEENS1_30default_config_static_selectorELNS0_4arch9wavefront6targetE1EEEvT1_
	.globl	_ZN7rocprim17ROCPRIM_400000_NS6detail17trampoline_kernelINS0_14default_configENS1_20scan_config_selectorIxEEZZNS1_9scan_implILNS1_25lookback_scan_determinismE0ELb1ELb1ES3_N6thrust23THRUST_200600_302600_NS6detail15normal_iteratorINS9_10device_ptrIxEEEESE_x11max_functorIxExEEDaPvRmT3_T4_T5_mT6_P12ihipStream_tbENKUlT_T0_E_clISt17integral_constantIbLb0EESU_EEDaSP_SQ_EUlSP_E_NS1_11comp_targetILNS1_3genE0ELNS1_11target_archE4294967295ELNS1_3gpuE0ELNS1_3repE0EEENS1_30default_config_static_selectorELNS0_4arch9wavefront6targetE1EEEvT1_
	.p2align	8
	.type	_ZN7rocprim17ROCPRIM_400000_NS6detail17trampoline_kernelINS0_14default_configENS1_20scan_config_selectorIxEEZZNS1_9scan_implILNS1_25lookback_scan_determinismE0ELb1ELb1ES3_N6thrust23THRUST_200600_302600_NS6detail15normal_iteratorINS9_10device_ptrIxEEEESE_x11max_functorIxExEEDaPvRmT3_T4_T5_mT6_P12ihipStream_tbENKUlT_T0_E_clISt17integral_constantIbLb0EESU_EEDaSP_SQ_EUlSP_E_NS1_11comp_targetILNS1_3genE0ELNS1_11target_archE4294967295ELNS1_3gpuE0ELNS1_3repE0EEENS1_30default_config_static_selectorELNS0_4arch9wavefront6targetE1EEEvT1_,@function
_ZN7rocprim17ROCPRIM_400000_NS6detail17trampoline_kernelINS0_14default_configENS1_20scan_config_selectorIxEEZZNS1_9scan_implILNS1_25lookback_scan_determinismE0ELb1ELb1ES3_N6thrust23THRUST_200600_302600_NS6detail15normal_iteratorINS9_10device_ptrIxEEEESE_x11max_functorIxExEEDaPvRmT3_T4_T5_mT6_P12ihipStream_tbENKUlT_T0_E_clISt17integral_constantIbLb0EESU_EEDaSP_SQ_EUlSP_E_NS1_11comp_targetILNS1_3genE0ELNS1_11target_archE4294967295ELNS1_3gpuE0ELNS1_3repE0EEENS1_30default_config_static_selectorELNS0_4arch9wavefront6targetE1EEEvT1_: ; @_ZN7rocprim17ROCPRIM_400000_NS6detail17trampoline_kernelINS0_14default_configENS1_20scan_config_selectorIxEEZZNS1_9scan_implILNS1_25lookback_scan_determinismE0ELb1ELb1ES3_N6thrust23THRUST_200600_302600_NS6detail15normal_iteratorINS9_10device_ptrIxEEEESE_x11max_functorIxExEEDaPvRmT3_T4_T5_mT6_P12ihipStream_tbENKUlT_T0_E_clISt17integral_constantIbLb0EESU_EEDaSP_SQ_EUlSP_E_NS1_11comp_targetILNS1_3genE0ELNS1_11target_archE4294967295ELNS1_3gpuE0ELNS1_3repE0EEENS1_30default_config_static_selectorELNS0_4arch9wavefront6targetE1EEEvT1_
; %bb.0:
	.section	.rodata,"a",@progbits
	.p2align	6, 0x0
	.amdhsa_kernel _ZN7rocprim17ROCPRIM_400000_NS6detail17trampoline_kernelINS0_14default_configENS1_20scan_config_selectorIxEEZZNS1_9scan_implILNS1_25lookback_scan_determinismE0ELb1ELb1ES3_N6thrust23THRUST_200600_302600_NS6detail15normal_iteratorINS9_10device_ptrIxEEEESE_x11max_functorIxExEEDaPvRmT3_T4_T5_mT6_P12ihipStream_tbENKUlT_T0_E_clISt17integral_constantIbLb0EESU_EEDaSP_SQ_EUlSP_E_NS1_11comp_targetILNS1_3genE0ELNS1_11target_archE4294967295ELNS1_3gpuE0ELNS1_3repE0EEENS1_30default_config_static_selectorELNS0_4arch9wavefront6targetE1EEEvT1_
		.amdhsa_group_segment_fixed_size 0
		.amdhsa_private_segment_fixed_size 0
		.amdhsa_kernarg_size 104
		.amdhsa_user_sgpr_count 6
		.amdhsa_user_sgpr_private_segment_buffer 1
		.amdhsa_user_sgpr_dispatch_ptr 0
		.amdhsa_user_sgpr_queue_ptr 0
		.amdhsa_user_sgpr_kernarg_segment_ptr 1
		.amdhsa_user_sgpr_dispatch_id 0
		.amdhsa_user_sgpr_flat_scratch_init 0
		.amdhsa_user_sgpr_kernarg_preload_length 0
		.amdhsa_user_sgpr_kernarg_preload_offset 0
		.amdhsa_user_sgpr_private_segment_size 0
		.amdhsa_uses_dynamic_stack 0
		.amdhsa_system_sgpr_private_segment_wavefront_offset 0
		.amdhsa_system_sgpr_workgroup_id_x 1
		.amdhsa_system_sgpr_workgroup_id_y 0
		.amdhsa_system_sgpr_workgroup_id_z 0
		.amdhsa_system_sgpr_workgroup_info 0
		.amdhsa_system_vgpr_workitem_id 0
		.amdhsa_next_free_vgpr 1
		.amdhsa_next_free_sgpr 0
		.amdhsa_accum_offset 4
		.amdhsa_reserve_vcc 0
		.amdhsa_reserve_flat_scratch 0
		.amdhsa_float_round_mode_32 0
		.amdhsa_float_round_mode_16_64 0
		.amdhsa_float_denorm_mode_32 3
		.amdhsa_float_denorm_mode_16_64 3
		.amdhsa_dx10_clamp 1
		.amdhsa_ieee_mode 1
		.amdhsa_fp16_overflow 0
		.amdhsa_tg_split 0
		.amdhsa_exception_fp_ieee_invalid_op 0
		.amdhsa_exception_fp_denorm_src 0
		.amdhsa_exception_fp_ieee_div_zero 0
		.amdhsa_exception_fp_ieee_overflow 0
		.amdhsa_exception_fp_ieee_underflow 0
		.amdhsa_exception_fp_ieee_inexact 0
		.amdhsa_exception_int_div_zero 0
	.end_amdhsa_kernel
	.section	.text._ZN7rocprim17ROCPRIM_400000_NS6detail17trampoline_kernelINS0_14default_configENS1_20scan_config_selectorIxEEZZNS1_9scan_implILNS1_25lookback_scan_determinismE0ELb1ELb1ES3_N6thrust23THRUST_200600_302600_NS6detail15normal_iteratorINS9_10device_ptrIxEEEESE_x11max_functorIxExEEDaPvRmT3_T4_T5_mT6_P12ihipStream_tbENKUlT_T0_E_clISt17integral_constantIbLb0EESU_EEDaSP_SQ_EUlSP_E_NS1_11comp_targetILNS1_3genE0ELNS1_11target_archE4294967295ELNS1_3gpuE0ELNS1_3repE0EEENS1_30default_config_static_selectorELNS0_4arch9wavefront6targetE1EEEvT1_,"axG",@progbits,_ZN7rocprim17ROCPRIM_400000_NS6detail17trampoline_kernelINS0_14default_configENS1_20scan_config_selectorIxEEZZNS1_9scan_implILNS1_25lookback_scan_determinismE0ELb1ELb1ES3_N6thrust23THRUST_200600_302600_NS6detail15normal_iteratorINS9_10device_ptrIxEEEESE_x11max_functorIxExEEDaPvRmT3_T4_T5_mT6_P12ihipStream_tbENKUlT_T0_E_clISt17integral_constantIbLb0EESU_EEDaSP_SQ_EUlSP_E_NS1_11comp_targetILNS1_3genE0ELNS1_11target_archE4294967295ELNS1_3gpuE0ELNS1_3repE0EEENS1_30default_config_static_selectorELNS0_4arch9wavefront6targetE1EEEvT1_,comdat
.Lfunc_end2630:
	.size	_ZN7rocprim17ROCPRIM_400000_NS6detail17trampoline_kernelINS0_14default_configENS1_20scan_config_selectorIxEEZZNS1_9scan_implILNS1_25lookback_scan_determinismE0ELb1ELb1ES3_N6thrust23THRUST_200600_302600_NS6detail15normal_iteratorINS9_10device_ptrIxEEEESE_x11max_functorIxExEEDaPvRmT3_T4_T5_mT6_P12ihipStream_tbENKUlT_T0_E_clISt17integral_constantIbLb0EESU_EEDaSP_SQ_EUlSP_E_NS1_11comp_targetILNS1_3genE0ELNS1_11target_archE4294967295ELNS1_3gpuE0ELNS1_3repE0EEENS1_30default_config_static_selectorELNS0_4arch9wavefront6targetE1EEEvT1_, .Lfunc_end2630-_ZN7rocprim17ROCPRIM_400000_NS6detail17trampoline_kernelINS0_14default_configENS1_20scan_config_selectorIxEEZZNS1_9scan_implILNS1_25lookback_scan_determinismE0ELb1ELb1ES3_N6thrust23THRUST_200600_302600_NS6detail15normal_iteratorINS9_10device_ptrIxEEEESE_x11max_functorIxExEEDaPvRmT3_T4_T5_mT6_P12ihipStream_tbENKUlT_T0_E_clISt17integral_constantIbLb0EESU_EEDaSP_SQ_EUlSP_E_NS1_11comp_targetILNS1_3genE0ELNS1_11target_archE4294967295ELNS1_3gpuE0ELNS1_3repE0EEENS1_30default_config_static_selectorELNS0_4arch9wavefront6targetE1EEEvT1_
                                        ; -- End function
	.section	.AMDGPU.csdata,"",@progbits
; Kernel info:
; codeLenInByte = 0
; NumSgprs: 4
; NumVgprs: 0
; NumAgprs: 0
; TotalNumVgprs: 0
; ScratchSize: 0
; MemoryBound: 0
; FloatMode: 240
; IeeeMode: 1
; LDSByteSize: 0 bytes/workgroup (compile time only)
; SGPRBlocks: 0
; VGPRBlocks: 0
; NumSGPRsForWavesPerEU: 4
; NumVGPRsForWavesPerEU: 1
; AccumOffset: 4
; Occupancy: 8
; WaveLimiterHint : 0
; COMPUTE_PGM_RSRC2:SCRATCH_EN: 0
; COMPUTE_PGM_RSRC2:USER_SGPR: 6
; COMPUTE_PGM_RSRC2:TRAP_HANDLER: 0
; COMPUTE_PGM_RSRC2:TGID_X_EN: 1
; COMPUTE_PGM_RSRC2:TGID_Y_EN: 0
; COMPUTE_PGM_RSRC2:TGID_Z_EN: 0
; COMPUTE_PGM_RSRC2:TIDIG_COMP_CNT: 0
; COMPUTE_PGM_RSRC3_GFX90A:ACCUM_OFFSET: 0
; COMPUTE_PGM_RSRC3_GFX90A:TG_SPLIT: 0
	.section	.text._ZN7rocprim17ROCPRIM_400000_NS6detail17trampoline_kernelINS0_14default_configENS1_20scan_config_selectorIxEEZZNS1_9scan_implILNS1_25lookback_scan_determinismE0ELb1ELb1ES3_N6thrust23THRUST_200600_302600_NS6detail15normal_iteratorINS9_10device_ptrIxEEEESE_x11max_functorIxExEEDaPvRmT3_T4_T5_mT6_P12ihipStream_tbENKUlT_T0_E_clISt17integral_constantIbLb0EESU_EEDaSP_SQ_EUlSP_E_NS1_11comp_targetILNS1_3genE5ELNS1_11target_archE942ELNS1_3gpuE9ELNS1_3repE0EEENS1_30default_config_static_selectorELNS0_4arch9wavefront6targetE1EEEvT1_,"axG",@progbits,_ZN7rocprim17ROCPRIM_400000_NS6detail17trampoline_kernelINS0_14default_configENS1_20scan_config_selectorIxEEZZNS1_9scan_implILNS1_25lookback_scan_determinismE0ELb1ELb1ES3_N6thrust23THRUST_200600_302600_NS6detail15normal_iteratorINS9_10device_ptrIxEEEESE_x11max_functorIxExEEDaPvRmT3_T4_T5_mT6_P12ihipStream_tbENKUlT_T0_E_clISt17integral_constantIbLb0EESU_EEDaSP_SQ_EUlSP_E_NS1_11comp_targetILNS1_3genE5ELNS1_11target_archE942ELNS1_3gpuE9ELNS1_3repE0EEENS1_30default_config_static_selectorELNS0_4arch9wavefront6targetE1EEEvT1_,comdat
	.protected	_ZN7rocprim17ROCPRIM_400000_NS6detail17trampoline_kernelINS0_14default_configENS1_20scan_config_selectorIxEEZZNS1_9scan_implILNS1_25lookback_scan_determinismE0ELb1ELb1ES3_N6thrust23THRUST_200600_302600_NS6detail15normal_iteratorINS9_10device_ptrIxEEEESE_x11max_functorIxExEEDaPvRmT3_T4_T5_mT6_P12ihipStream_tbENKUlT_T0_E_clISt17integral_constantIbLb0EESU_EEDaSP_SQ_EUlSP_E_NS1_11comp_targetILNS1_3genE5ELNS1_11target_archE942ELNS1_3gpuE9ELNS1_3repE0EEENS1_30default_config_static_selectorELNS0_4arch9wavefront6targetE1EEEvT1_ ; -- Begin function _ZN7rocprim17ROCPRIM_400000_NS6detail17trampoline_kernelINS0_14default_configENS1_20scan_config_selectorIxEEZZNS1_9scan_implILNS1_25lookback_scan_determinismE0ELb1ELb1ES3_N6thrust23THRUST_200600_302600_NS6detail15normal_iteratorINS9_10device_ptrIxEEEESE_x11max_functorIxExEEDaPvRmT3_T4_T5_mT6_P12ihipStream_tbENKUlT_T0_E_clISt17integral_constantIbLb0EESU_EEDaSP_SQ_EUlSP_E_NS1_11comp_targetILNS1_3genE5ELNS1_11target_archE942ELNS1_3gpuE9ELNS1_3repE0EEENS1_30default_config_static_selectorELNS0_4arch9wavefront6targetE1EEEvT1_
	.globl	_ZN7rocprim17ROCPRIM_400000_NS6detail17trampoline_kernelINS0_14default_configENS1_20scan_config_selectorIxEEZZNS1_9scan_implILNS1_25lookback_scan_determinismE0ELb1ELb1ES3_N6thrust23THRUST_200600_302600_NS6detail15normal_iteratorINS9_10device_ptrIxEEEESE_x11max_functorIxExEEDaPvRmT3_T4_T5_mT6_P12ihipStream_tbENKUlT_T0_E_clISt17integral_constantIbLb0EESU_EEDaSP_SQ_EUlSP_E_NS1_11comp_targetILNS1_3genE5ELNS1_11target_archE942ELNS1_3gpuE9ELNS1_3repE0EEENS1_30default_config_static_selectorELNS0_4arch9wavefront6targetE1EEEvT1_
	.p2align	8
	.type	_ZN7rocprim17ROCPRIM_400000_NS6detail17trampoline_kernelINS0_14default_configENS1_20scan_config_selectorIxEEZZNS1_9scan_implILNS1_25lookback_scan_determinismE0ELb1ELb1ES3_N6thrust23THRUST_200600_302600_NS6detail15normal_iteratorINS9_10device_ptrIxEEEESE_x11max_functorIxExEEDaPvRmT3_T4_T5_mT6_P12ihipStream_tbENKUlT_T0_E_clISt17integral_constantIbLb0EESU_EEDaSP_SQ_EUlSP_E_NS1_11comp_targetILNS1_3genE5ELNS1_11target_archE942ELNS1_3gpuE9ELNS1_3repE0EEENS1_30default_config_static_selectorELNS0_4arch9wavefront6targetE1EEEvT1_,@function
_ZN7rocprim17ROCPRIM_400000_NS6detail17trampoline_kernelINS0_14default_configENS1_20scan_config_selectorIxEEZZNS1_9scan_implILNS1_25lookback_scan_determinismE0ELb1ELb1ES3_N6thrust23THRUST_200600_302600_NS6detail15normal_iteratorINS9_10device_ptrIxEEEESE_x11max_functorIxExEEDaPvRmT3_T4_T5_mT6_P12ihipStream_tbENKUlT_T0_E_clISt17integral_constantIbLb0EESU_EEDaSP_SQ_EUlSP_E_NS1_11comp_targetILNS1_3genE5ELNS1_11target_archE942ELNS1_3gpuE9ELNS1_3repE0EEENS1_30default_config_static_selectorELNS0_4arch9wavefront6targetE1EEEvT1_: ; @_ZN7rocprim17ROCPRIM_400000_NS6detail17trampoline_kernelINS0_14default_configENS1_20scan_config_selectorIxEEZZNS1_9scan_implILNS1_25lookback_scan_determinismE0ELb1ELb1ES3_N6thrust23THRUST_200600_302600_NS6detail15normal_iteratorINS9_10device_ptrIxEEEESE_x11max_functorIxExEEDaPvRmT3_T4_T5_mT6_P12ihipStream_tbENKUlT_T0_E_clISt17integral_constantIbLb0EESU_EEDaSP_SQ_EUlSP_E_NS1_11comp_targetILNS1_3genE5ELNS1_11target_archE942ELNS1_3gpuE9ELNS1_3repE0EEENS1_30default_config_static_selectorELNS0_4arch9wavefront6targetE1EEEvT1_
; %bb.0:
	.section	.rodata,"a",@progbits
	.p2align	6, 0x0
	.amdhsa_kernel _ZN7rocprim17ROCPRIM_400000_NS6detail17trampoline_kernelINS0_14default_configENS1_20scan_config_selectorIxEEZZNS1_9scan_implILNS1_25lookback_scan_determinismE0ELb1ELb1ES3_N6thrust23THRUST_200600_302600_NS6detail15normal_iteratorINS9_10device_ptrIxEEEESE_x11max_functorIxExEEDaPvRmT3_T4_T5_mT6_P12ihipStream_tbENKUlT_T0_E_clISt17integral_constantIbLb0EESU_EEDaSP_SQ_EUlSP_E_NS1_11comp_targetILNS1_3genE5ELNS1_11target_archE942ELNS1_3gpuE9ELNS1_3repE0EEENS1_30default_config_static_selectorELNS0_4arch9wavefront6targetE1EEEvT1_
		.amdhsa_group_segment_fixed_size 0
		.amdhsa_private_segment_fixed_size 0
		.amdhsa_kernarg_size 104
		.amdhsa_user_sgpr_count 6
		.amdhsa_user_sgpr_private_segment_buffer 1
		.amdhsa_user_sgpr_dispatch_ptr 0
		.amdhsa_user_sgpr_queue_ptr 0
		.amdhsa_user_sgpr_kernarg_segment_ptr 1
		.amdhsa_user_sgpr_dispatch_id 0
		.amdhsa_user_sgpr_flat_scratch_init 0
		.amdhsa_user_sgpr_kernarg_preload_length 0
		.amdhsa_user_sgpr_kernarg_preload_offset 0
		.amdhsa_user_sgpr_private_segment_size 0
		.amdhsa_uses_dynamic_stack 0
		.amdhsa_system_sgpr_private_segment_wavefront_offset 0
		.amdhsa_system_sgpr_workgroup_id_x 1
		.amdhsa_system_sgpr_workgroup_id_y 0
		.amdhsa_system_sgpr_workgroup_id_z 0
		.amdhsa_system_sgpr_workgroup_info 0
		.amdhsa_system_vgpr_workitem_id 0
		.amdhsa_next_free_vgpr 1
		.amdhsa_next_free_sgpr 0
		.amdhsa_accum_offset 4
		.amdhsa_reserve_vcc 0
		.amdhsa_reserve_flat_scratch 0
		.amdhsa_float_round_mode_32 0
		.amdhsa_float_round_mode_16_64 0
		.amdhsa_float_denorm_mode_32 3
		.amdhsa_float_denorm_mode_16_64 3
		.amdhsa_dx10_clamp 1
		.amdhsa_ieee_mode 1
		.amdhsa_fp16_overflow 0
		.amdhsa_tg_split 0
		.amdhsa_exception_fp_ieee_invalid_op 0
		.amdhsa_exception_fp_denorm_src 0
		.amdhsa_exception_fp_ieee_div_zero 0
		.amdhsa_exception_fp_ieee_overflow 0
		.amdhsa_exception_fp_ieee_underflow 0
		.amdhsa_exception_fp_ieee_inexact 0
		.amdhsa_exception_int_div_zero 0
	.end_amdhsa_kernel
	.section	.text._ZN7rocprim17ROCPRIM_400000_NS6detail17trampoline_kernelINS0_14default_configENS1_20scan_config_selectorIxEEZZNS1_9scan_implILNS1_25lookback_scan_determinismE0ELb1ELb1ES3_N6thrust23THRUST_200600_302600_NS6detail15normal_iteratorINS9_10device_ptrIxEEEESE_x11max_functorIxExEEDaPvRmT3_T4_T5_mT6_P12ihipStream_tbENKUlT_T0_E_clISt17integral_constantIbLb0EESU_EEDaSP_SQ_EUlSP_E_NS1_11comp_targetILNS1_3genE5ELNS1_11target_archE942ELNS1_3gpuE9ELNS1_3repE0EEENS1_30default_config_static_selectorELNS0_4arch9wavefront6targetE1EEEvT1_,"axG",@progbits,_ZN7rocprim17ROCPRIM_400000_NS6detail17trampoline_kernelINS0_14default_configENS1_20scan_config_selectorIxEEZZNS1_9scan_implILNS1_25lookback_scan_determinismE0ELb1ELb1ES3_N6thrust23THRUST_200600_302600_NS6detail15normal_iteratorINS9_10device_ptrIxEEEESE_x11max_functorIxExEEDaPvRmT3_T4_T5_mT6_P12ihipStream_tbENKUlT_T0_E_clISt17integral_constantIbLb0EESU_EEDaSP_SQ_EUlSP_E_NS1_11comp_targetILNS1_3genE5ELNS1_11target_archE942ELNS1_3gpuE9ELNS1_3repE0EEENS1_30default_config_static_selectorELNS0_4arch9wavefront6targetE1EEEvT1_,comdat
.Lfunc_end2631:
	.size	_ZN7rocprim17ROCPRIM_400000_NS6detail17trampoline_kernelINS0_14default_configENS1_20scan_config_selectorIxEEZZNS1_9scan_implILNS1_25lookback_scan_determinismE0ELb1ELb1ES3_N6thrust23THRUST_200600_302600_NS6detail15normal_iteratorINS9_10device_ptrIxEEEESE_x11max_functorIxExEEDaPvRmT3_T4_T5_mT6_P12ihipStream_tbENKUlT_T0_E_clISt17integral_constantIbLb0EESU_EEDaSP_SQ_EUlSP_E_NS1_11comp_targetILNS1_3genE5ELNS1_11target_archE942ELNS1_3gpuE9ELNS1_3repE0EEENS1_30default_config_static_selectorELNS0_4arch9wavefront6targetE1EEEvT1_, .Lfunc_end2631-_ZN7rocprim17ROCPRIM_400000_NS6detail17trampoline_kernelINS0_14default_configENS1_20scan_config_selectorIxEEZZNS1_9scan_implILNS1_25lookback_scan_determinismE0ELb1ELb1ES3_N6thrust23THRUST_200600_302600_NS6detail15normal_iteratorINS9_10device_ptrIxEEEESE_x11max_functorIxExEEDaPvRmT3_T4_T5_mT6_P12ihipStream_tbENKUlT_T0_E_clISt17integral_constantIbLb0EESU_EEDaSP_SQ_EUlSP_E_NS1_11comp_targetILNS1_3genE5ELNS1_11target_archE942ELNS1_3gpuE9ELNS1_3repE0EEENS1_30default_config_static_selectorELNS0_4arch9wavefront6targetE1EEEvT1_
                                        ; -- End function
	.section	.AMDGPU.csdata,"",@progbits
; Kernel info:
; codeLenInByte = 0
; NumSgprs: 4
; NumVgprs: 0
; NumAgprs: 0
; TotalNumVgprs: 0
; ScratchSize: 0
; MemoryBound: 0
; FloatMode: 240
; IeeeMode: 1
; LDSByteSize: 0 bytes/workgroup (compile time only)
; SGPRBlocks: 0
; VGPRBlocks: 0
; NumSGPRsForWavesPerEU: 4
; NumVGPRsForWavesPerEU: 1
; AccumOffset: 4
; Occupancy: 8
; WaveLimiterHint : 0
; COMPUTE_PGM_RSRC2:SCRATCH_EN: 0
; COMPUTE_PGM_RSRC2:USER_SGPR: 6
; COMPUTE_PGM_RSRC2:TRAP_HANDLER: 0
; COMPUTE_PGM_RSRC2:TGID_X_EN: 1
; COMPUTE_PGM_RSRC2:TGID_Y_EN: 0
; COMPUTE_PGM_RSRC2:TGID_Z_EN: 0
; COMPUTE_PGM_RSRC2:TIDIG_COMP_CNT: 0
; COMPUTE_PGM_RSRC3_GFX90A:ACCUM_OFFSET: 0
; COMPUTE_PGM_RSRC3_GFX90A:TG_SPLIT: 0
	.section	.text._ZN7rocprim17ROCPRIM_400000_NS6detail17trampoline_kernelINS0_14default_configENS1_20scan_config_selectorIxEEZZNS1_9scan_implILNS1_25lookback_scan_determinismE0ELb1ELb1ES3_N6thrust23THRUST_200600_302600_NS6detail15normal_iteratorINS9_10device_ptrIxEEEESE_x11max_functorIxExEEDaPvRmT3_T4_T5_mT6_P12ihipStream_tbENKUlT_T0_E_clISt17integral_constantIbLb0EESU_EEDaSP_SQ_EUlSP_E_NS1_11comp_targetILNS1_3genE4ELNS1_11target_archE910ELNS1_3gpuE8ELNS1_3repE0EEENS1_30default_config_static_selectorELNS0_4arch9wavefront6targetE1EEEvT1_,"axG",@progbits,_ZN7rocprim17ROCPRIM_400000_NS6detail17trampoline_kernelINS0_14default_configENS1_20scan_config_selectorIxEEZZNS1_9scan_implILNS1_25lookback_scan_determinismE0ELb1ELb1ES3_N6thrust23THRUST_200600_302600_NS6detail15normal_iteratorINS9_10device_ptrIxEEEESE_x11max_functorIxExEEDaPvRmT3_T4_T5_mT6_P12ihipStream_tbENKUlT_T0_E_clISt17integral_constantIbLb0EESU_EEDaSP_SQ_EUlSP_E_NS1_11comp_targetILNS1_3genE4ELNS1_11target_archE910ELNS1_3gpuE8ELNS1_3repE0EEENS1_30default_config_static_selectorELNS0_4arch9wavefront6targetE1EEEvT1_,comdat
	.protected	_ZN7rocprim17ROCPRIM_400000_NS6detail17trampoline_kernelINS0_14default_configENS1_20scan_config_selectorIxEEZZNS1_9scan_implILNS1_25lookback_scan_determinismE0ELb1ELb1ES3_N6thrust23THRUST_200600_302600_NS6detail15normal_iteratorINS9_10device_ptrIxEEEESE_x11max_functorIxExEEDaPvRmT3_T4_T5_mT6_P12ihipStream_tbENKUlT_T0_E_clISt17integral_constantIbLb0EESU_EEDaSP_SQ_EUlSP_E_NS1_11comp_targetILNS1_3genE4ELNS1_11target_archE910ELNS1_3gpuE8ELNS1_3repE0EEENS1_30default_config_static_selectorELNS0_4arch9wavefront6targetE1EEEvT1_ ; -- Begin function _ZN7rocprim17ROCPRIM_400000_NS6detail17trampoline_kernelINS0_14default_configENS1_20scan_config_selectorIxEEZZNS1_9scan_implILNS1_25lookback_scan_determinismE0ELb1ELb1ES3_N6thrust23THRUST_200600_302600_NS6detail15normal_iteratorINS9_10device_ptrIxEEEESE_x11max_functorIxExEEDaPvRmT3_T4_T5_mT6_P12ihipStream_tbENKUlT_T0_E_clISt17integral_constantIbLb0EESU_EEDaSP_SQ_EUlSP_E_NS1_11comp_targetILNS1_3genE4ELNS1_11target_archE910ELNS1_3gpuE8ELNS1_3repE0EEENS1_30default_config_static_selectorELNS0_4arch9wavefront6targetE1EEEvT1_
	.globl	_ZN7rocprim17ROCPRIM_400000_NS6detail17trampoline_kernelINS0_14default_configENS1_20scan_config_selectorIxEEZZNS1_9scan_implILNS1_25lookback_scan_determinismE0ELb1ELb1ES3_N6thrust23THRUST_200600_302600_NS6detail15normal_iteratorINS9_10device_ptrIxEEEESE_x11max_functorIxExEEDaPvRmT3_T4_T5_mT6_P12ihipStream_tbENKUlT_T0_E_clISt17integral_constantIbLb0EESU_EEDaSP_SQ_EUlSP_E_NS1_11comp_targetILNS1_3genE4ELNS1_11target_archE910ELNS1_3gpuE8ELNS1_3repE0EEENS1_30default_config_static_selectorELNS0_4arch9wavefront6targetE1EEEvT1_
	.p2align	8
	.type	_ZN7rocprim17ROCPRIM_400000_NS6detail17trampoline_kernelINS0_14default_configENS1_20scan_config_selectorIxEEZZNS1_9scan_implILNS1_25lookback_scan_determinismE0ELb1ELb1ES3_N6thrust23THRUST_200600_302600_NS6detail15normal_iteratorINS9_10device_ptrIxEEEESE_x11max_functorIxExEEDaPvRmT3_T4_T5_mT6_P12ihipStream_tbENKUlT_T0_E_clISt17integral_constantIbLb0EESU_EEDaSP_SQ_EUlSP_E_NS1_11comp_targetILNS1_3genE4ELNS1_11target_archE910ELNS1_3gpuE8ELNS1_3repE0EEENS1_30default_config_static_selectorELNS0_4arch9wavefront6targetE1EEEvT1_,@function
_ZN7rocprim17ROCPRIM_400000_NS6detail17trampoline_kernelINS0_14default_configENS1_20scan_config_selectorIxEEZZNS1_9scan_implILNS1_25lookback_scan_determinismE0ELb1ELb1ES3_N6thrust23THRUST_200600_302600_NS6detail15normal_iteratorINS9_10device_ptrIxEEEESE_x11max_functorIxExEEDaPvRmT3_T4_T5_mT6_P12ihipStream_tbENKUlT_T0_E_clISt17integral_constantIbLb0EESU_EEDaSP_SQ_EUlSP_E_NS1_11comp_targetILNS1_3genE4ELNS1_11target_archE910ELNS1_3gpuE8ELNS1_3repE0EEENS1_30default_config_static_selectorELNS0_4arch9wavefront6targetE1EEEvT1_: ; @_ZN7rocprim17ROCPRIM_400000_NS6detail17trampoline_kernelINS0_14default_configENS1_20scan_config_selectorIxEEZZNS1_9scan_implILNS1_25lookback_scan_determinismE0ELb1ELb1ES3_N6thrust23THRUST_200600_302600_NS6detail15normal_iteratorINS9_10device_ptrIxEEEESE_x11max_functorIxExEEDaPvRmT3_T4_T5_mT6_P12ihipStream_tbENKUlT_T0_E_clISt17integral_constantIbLb0EESU_EEDaSP_SQ_EUlSP_E_NS1_11comp_targetILNS1_3genE4ELNS1_11target_archE910ELNS1_3gpuE8ELNS1_3repE0EEENS1_30default_config_static_selectorELNS0_4arch9wavefront6targetE1EEEvT1_
; %bb.0:
	s_load_dwordx8 s[12:19], s[4:5], 0x0
	s_load_dword s1, s[4:5], 0x38
	s_mul_i32 s0, s6, 0x380
	v_lshlrev_b32_e32 v36, 3, v0
	s_waitcnt lgkmcnt(0)
	s_lshl_b64 s[20:21], s[14:15], 3
	s_add_u32 s33, s12, s20
	s_addc_u32 s34, s13, s21
	s_add_i32 s2, s1, -1
	s_mul_i32 s3, s2, 0x380
	s_sub_u32 s30, s18, s3
	s_subb_u32 s31, s19, 0
	s_mov_b32 s1, 0
	s_cmp_lg_u32 s6, s2
	s_cselect_b64 s[18:19], -1, 0
	s_lshl_b64 s[22:23], s[0:1], 3
	s_add_u32 s2, s33, s22
	s_addc_u32 s3, s34, s23
	s_mov_b64 s[0:1], -1
	s_and_b64 vcc, exec, s[18:19]
	s_cbranch_vccz .LBB2632_2
; %bb.1:
	v_mov_b32_e32 v1, s3
	v_add_co_u32_e32 v2, vcc, s2, v36
	v_addc_co_u32_e32 v3, vcc, 0, v1, vcc
	flat_load_dwordx2 v[4:5], v[2:3]
	flat_load_dwordx2 v[6:7], v[2:3] offset:1024
	flat_load_dwordx2 v[8:9], v[2:3] offset:2048
	;; [unrolled: 1-line block ×3, first 2 shown]
	v_add_co_u32_e32 v2, vcc, 0x1000, v2
	v_addc_co_u32_e32 v3, vcc, 0, v3, vcc
	flat_load_dwordx2 v[12:13], v[2:3]
	flat_load_dwordx2 v[14:15], v[2:3] offset:1024
	flat_load_dwordx2 v[16:17], v[2:3] offset:2048
	s_mov_b64 s[0:1], 0
	s_waitcnt vmcnt(0) lgkmcnt(0)
	ds_write2st64_b64 v36, v[4:5], v[6:7] offset1:2
	ds_write2st64_b64 v36, v[8:9], v[10:11] offset0:4 offset1:6
	ds_write2st64_b64 v36, v[12:13], v[14:15] offset0:8 offset1:10
	ds_write_b64 v36, v[16:17] offset:6144
	s_waitcnt lgkmcnt(0)
	s_barrier
.LBB2632_2:
	s_load_dwordx2 s[26:27], s[4:5], 0x20
	s_load_dwordx2 s[24:25], s[4:5], 0x30
	s_andn2_b64 vcc, exec, s[0:1]
	v_cmp_gt_u32_e64 s[0:1], s30, v0
	s_cbranch_vccnz .LBB2632_18
; %bb.3:
	v_pk_mov_b32 v[2:3], s[2:3], s[2:3] op_sel:[0,1]
	flat_load_dwordx2 v[2:3], v[2:3]
	s_waitcnt vmcnt(0) lgkmcnt(0)
	v_mov_b32_e32 v4, v2
	v_mov_b32_e32 v5, v3
	;; [unrolled: 1-line block ×10, first 2 shown]
	v_pk_mov_b32 v[18:19], v[14:15], v[14:15] op_sel:[0,1]
	v_pk_mov_b32 v[16:17], v[12:13], v[12:13] op_sel:[0,1]
	;; [unrolled: 1-line block ×8, first 2 shown]
	s_and_saveexec_b64 s[8:9], s[0:1]
	s_cbranch_execz .LBB2632_5
; %bb.4:
	v_mov_b32_e32 v1, s3
	v_add_co_u32_e32 v4, vcc, s2, v36
	v_addc_co_u32_e32 v5, vcc, 0, v1, vcc
	flat_load_dwordx2 v[20:21], v[4:5]
	v_mov_b32_e32 v4, v2
	v_mov_b32_e32 v5, v3
	;; [unrolled: 1-line block ×10, first 2 shown]
	v_pk_mov_b32 v[18:19], v[14:15], v[14:15] op_sel:[0,1]
	v_pk_mov_b32 v[16:17], v[12:13], v[12:13] op_sel:[0,1]
	;; [unrolled: 1-line block ×8, first 2 shown]
	s_waitcnt vmcnt(0) lgkmcnt(0)
	v_pk_mov_b32 v[2:3], v[20:21], v[20:21] op_sel:[0,1]
.LBB2632_5:
	s_or_b64 exec, exec, s[8:9]
	v_or_b32_e32 v1, 0x80, v0
	v_cmp_gt_u32_e32 vcc, s30, v1
	s_and_saveexec_b64 s[0:1], vcc
	s_cbranch_execz .LBB2632_7
; %bb.6:
	v_mov_b32_e32 v1, s3
	v_add_co_u32_e32 v4, vcc, s2, v36
	v_addc_co_u32_e32 v5, vcc, 0, v1, vcc
	flat_load_dwordx2 v[6:7], v[4:5] offset:1024
.LBB2632_7:
	s_or_b64 exec, exec, s[0:1]
	v_or_b32_e32 v1, 0x100, v0
	v_cmp_gt_u32_e32 vcc, s30, v1
	s_and_saveexec_b64 s[0:1], vcc
	s_cbranch_execz .LBB2632_9
; %bb.8:
	v_mov_b32_e32 v1, s3
	v_add_co_u32_e32 v4, vcc, s2, v36
	v_addc_co_u32_e32 v5, vcc, 0, v1, vcc
	flat_load_dwordx2 v[8:9], v[4:5] offset:2048
.LBB2632_9:
	;; [unrolled: 11-line block ×3, first 2 shown]
	s_or_b64 exec, exec, s[0:1]
	v_or_b32_e32 v1, 0x200, v0
	v_cmp_gt_u32_e32 vcc, s30, v1
	s_and_saveexec_b64 s[0:1], vcc
	s_cbranch_execz .LBB2632_13
; %bb.12:
	v_lshlrev_b32_e32 v1, 3, v1
	v_mov_b32_e32 v5, s3
	v_add_co_u32_e32 v4, vcc, s2, v1
	v_addc_co_u32_e32 v5, vcc, 0, v5, vcc
	flat_load_dwordx2 v[12:13], v[4:5]
.LBB2632_13:
	s_or_b64 exec, exec, s[0:1]
	v_or_b32_e32 v1, 0x280, v0
	v_cmp_gt_u32_e32 vcc, s30, v1
	s_and_saveexec_b64 s[0:1], vcc
	s_cbranch_execz .LBB2632_15
; %bb.14:
	v_lshlrev_b32_e32 v1, 3, v1
	v_mov_b32_e32 v5, s3
	v_add_co_u32_e32 v4, vcc, s2, v1
	v_addc_co_u32_e32 v5, vcc, 0, v5, vcc
	flat_load_dwordx2 v[14:15], v[4:5]
.LBB2632_15:
	;; [unrolled: 12-line block ×3, first 2 shown]
	s_or_b64 exec, exec, s[0:1]
	s_waitcnt vmcnt(0) lgkmcnt(0)
	ds_write2st64_b64 v36, v[2:3], v[6:7] offset1:2
	ds_write2st64_b64 v36, v[8:9], v[10:11] offset0:4 offset1:6
	ds_write2st64_b64 v36, v[12:13], v[14:15] offset0:8 offset1:10
	ds_write_b64 v36, v[16:17] offset:6144
	s_waitcnt lgkmcnt(0)
	s_barrier
.LBB2632_18:
	v_mul_u32_u24_e32 v37, 7, v0
	v_lshlrev_b32_e32 v38, 3, v37
	s_waitcnt lgkmcnt(0)
	ds_read2_b64 v[10:13], v38 offset1:1
	ds_read2_b64 v[6:9], v38 offset0:2 offset1:3
	ds_read2_b64 v[2:5], v38 offset0:4 offset1:5
	ds_read_b64 v[26:27], v38 offset:48
	s_cmp_lg_u32 s6, 0
	s_waitcnt lgkmcnt(3)
	v_cmp_gt_i64_e64 s[0:1], v[10:11], v[12:13]
	v_lshrrev_b32_e32 v1, 5, v0
	v_cmp_gt_u32_e32 vcc, 64, v0
	s_waitcnt lgkmcnt(0)
	s_barrier
	s_cbranch_scc0 .LBB2632_45
; %bb.19:
	v_cndmask_b32_e64 v15, v13, v11, s[0:1]
	v_cndmask_b32_e64 v14, v12, v10, s[0:1]
	v_cmp_gt_i64_e64 s[0:1], v[14:15], v[6:7]
	v_cndmask_b32_e64 v15, v7, v15, s[0:1]
	v_cndmask_b32_e64 v14, v6, v14, s[0:1]
	v_cmp_gt_i64_e64 s[0:1], v[14:15], v[8:9]
	;; [unrolled: 3-line block ×5, first 2 shown]
	v_cndmask_b32_e64 v23, v27, v15, s[0:1]
	v_cndmask_b32_e64 v22, v26, v14, s[0:1]
	v_add_lshl_u32 v14, v1, v0, 3
	ds_write_b64 v14, v[22:23]
	s_waitcnt lgkmcnt(0)
	s_barrier
	s_and_saveexec_b64 s[8:9], vcc
	s_cbranch_execz .LBB2632_23
; %bb.20:
	v_lshlrev_b32_e32 v14, 1, v0
	v_lshrrev_b32_e32 v15, 4, v0
	v_add_lshl_u32 v24, v15, v14, 3
	ds_read2_b64 v[14:17], v24 offset1:1
	v_mbcnt_lo_u32_b32 v18, -1, 0
	v_mbcnt_hi_u32_b32 v25, -1, v18
	v_and_b32_e32 v28, 15, v25
	v_and_b32_e32 v30, 16, v25
	s_waitcnt lgkmcnt(0)
	v_cmp_gt_i64_e64 s[0:1], v[14:15], v[16:17]
	v_cndmask_b32_e64 v17, v17, v15, s[0:1]
	v_cndmask_b32_e64 v16, v16, v14, s[0:1]
	v_cmp_ne_u32_e64 s[2:3], 0, v25
	v_mov_b32_dpp v19, v17 row_shr:1 row_mask:0xf bank_mask:0xf
	v_mov_b32_dpp v18, v16 row_shr:1 row_mask:0xf bank_mask:0xf
	v_cmp_gt_i64_e64 s[0:1], v[18:19], v[16:17]
	v_cndmask_b32_e64 v18, v16, v18, s[0:1]
	v_cndmask_b32_e64 v19, v17, v19, s[0:1]
	v_cmp_eq_u32_e64 s[0:1], 0, v28
	v_cndmask_b32_e64 v19, v19, v17, s[0:1]
	v_cndmask_b32_e64 v18, v18, v16, s[0:1]
	s_nop 0
	v_mov_b32_dpp v21, v19 row_shr:2 row_mask:0xf bank_mask:0xf
	v_mov_b32_dpp v20, v18 row_shr:2 row_mask:0xf bank_mask:0xf
	v_cmp_gt_i64_e64 s[0:1], v[20:21], v[18:19]
	v_cndmask_b32_e64 v20, v18, v20, s[0:1]
	v_cndmask_b32_e64 v21, v19, v21, s[0:1]
	v_cmp_lt_u32_e64 s[0:1], 1, v28
	v_cndmask_b32_e64 v19, v19, v21, s[0:1]
	v_cndmask_b32_e64 v18, v18, v20, s[0:1]
	s_nop 0
	v_mov_b32_dpp v21, v19 row_shr:4 row_mask:0xf bank_mask:0xf
	v_mov_b32_dpp v20, v18 row_shr:4 row_mask:0xf bank_mask:0xf
	v_cmp_gt_i64_e64 s[0:1], v[20:21], v[18:19]
	v_cndmask_b32_e64 v20, v18, v20, s[0:1]
	v_cndmask_b32_e64 v21, v19, v21, s[0:1]
	v_cmp_lt_u32_e64 s[0:1], 3, v28
	;; [unrolled: 9-line block ×3, first 2 shown]
	v_cndmask_b32_e64 v19, v19, v21, s[0:1]
	v_cndmask_b32_e64 v18, v18, v20, s[0:1]
	s_nop 0
	v_mov_b32_dpp v21, v19 row_bcast:15 row_mask:0xf bank_mask:0xf
	v_mov_b32_dpp v20, v18 row_bcast:15 row_mask:0xf bank_mask:0xf
	v_cmp_gt_i64_e64 s[0:1], v[20:21], v[18:19]
	v_cndmask_b32_e64 v28, v19, v21, s[0:1]
	v_cndmask_b32_e64 v29, v18, v20, s[0:1]
	v_cmp_eq_u32_e64 s[0:1], 0, v30
	v_cndmask_b32_e64 v21, v28, v19, s[0:1]
	v_cndmask_b32_e64 v20, v29, v18, s[0:1]
	s_nop 0
	v_mov_b32_dpp v21, v21 row_bcast:31 row_mask:0xf bank_mask:0xf
	v_mov_b32_dpp v20, v20 row_bcast:31 row_mask:0xf bank_mask:0xf
	s_and_saveexec_b64 s[10:11], s[2:3]
; %bb.21:
	v_cndmask_b32_e64 v17, v28, v19, s[0:1]
	v_cndmask_b32_e64 v16, v29, v18, s[0:1]
	v_cmp_lt_u32_e64 s[2:3], 31, v25
	v_cmp_gt_i64_e64 s[0:1], v[20:21], v[16:17]
	s_and_b64 s[0:1], s[2:3], s[0:1]
	v_cndmask_b32_e64 v16, v16, v20, s[0:1]
	v_cndmask_b32_e64 v17, v17, v21, s[0:1]
; %bb.22:
	s_or_b64 exec, exec, s[10:11]
	v_add_u32_e32 v18, -1, v25
	v_and_b32_e32 v19, 64, v25
	v_cmp_lt_i32_e64 s[0:1], v18, v19
	v_cndmask_b32_e64 v18, v18, v25, s[0:1]
	v_lshlrev_b32_e32 v18, 2, v18
	ds_bpermute_b32 v16, v18, v16
	ds_bpermute_b32 v17, v18, v17
	; wave barrier
	s_waitcnt lgkmcnt(0)
	v_cmp_gt_i64_e64 s[0:1], v[16:17], v[14:15]
	v_cndmask_b32_e64 v14, v14, v16, s[0:1]
	v_cndmask_b32_e64 v15, v15, v17, s[0:1]
	v_cmp_eq_u32_e64 s[0:1], 0, v0
	v_cndmask_b32_e64 v15, v15, v23, s[0:1]
	v_cndmask_b32_e64 v14, v14, v22, s[0:1]
	ds_write_b64 v24, v[14:15]
	; wave barrier
	ds_read_b64 v[16:17], v24 offset:8
	s_waitcnt lgkmcnt(0)
	v_cmp_gt_i64_e64 s[0:1], v[14:15], v[16:17]
	v_cndmask_b32_e64 v15, v17, v15, s[0:1]
	v_cndmask_b32_e64 v14, v16, v14, s[0:1]
	ds_write_b64 v24, v[14:15] offset:8
.LBB2632_23:
	s_or_b64 exec, exec, s[8:9]
	v_cmp_eq_u32_e64 s[0:1], 0, v0
	v_cmp_ne_u32_e64 s[2:3], 0, v0
	s_waitcnt lgkmcnt(0)
	s_barrier
	s_and_saveexec_b64 s[8:9], s[2:3]
	s_cbranch_execz .LBB2632_25
; %bb.24:
	v_add_u32_e32 v14, -1, v0
	v_lshrrev_b32_e32 v15, 5, v14
	v_add_lshl_u32 v14, v15, v14, 3
	ds_read_b64 v[22:23], v14
.LBB2632_25:
	s_or_b64 exec, exec, s[8:9]
	s_and_saveexec_b64 s[28:29], vcc
	s_cbranch_execz .LBB2632_44
; %bb.26:
	v_mov_b32_e32 v17, 0
	ds_read_b64 v[14:15], v17 offset:1040
	v_mbcnt_lo_u32_b32 v16, -1, 0
	v_mbcnt_hi_u32_b32 v25, -1, v16
	s_mov_b32 s11, 0
	v_cmp_eq_u32_e64 s[2:3], 0, v25
	s_and_saveexec_b64 s[8:9], s[2:3]
	s_cbranch_execz .LBB2632_28
; %bb.27:
	s_add_i32 s10, s6, 64
	s_lshl_b64 s[10:11], s[10:11], 4
	s_add_u32 s10, s24, s10
	s_addc_u32 s11, s25, s11
	v_mov_b32_e32 v16, 1
	v_pk_mov_b32 v[18:19], s[10:11], s[10:11] op_sel:[0,1]
	s_waitcnt lgkmcnt(0)
	;;#ASMSTART
	global_store_dwordx4 v[18:19], v[14:17] off	
s_waitcnt vmcnt(0)
	;;#ASMEND
.LBB2632_28:
	s_or_b64 exec, exec, s[8:9]
	v_xad_u32 v24, v25, -1, s6
	v_add_u32_e32 v16, 64, v24
	v_lshlrev_b64 v[18:19], 4, v[16:17]
	v_mov_b32_e32 v16, s25
	v_add_co_u32_e32 v28, vcc, s24, v18
	v_addc_co_u32_e32 v29, vcc, v16, v19, vcc
	;;#ASMSTART
	global_load_dwordx4 v[18:21], v[28:29] off glc	
s_waitcnt vmcnt(0)
	;;#ASMEND
	v_and_b32_e32 v16, 0xff, v19
	v_and_b32_e32 v21, 0xff00, v19
	v_or3_b32 v16, 0, v16, v21
	v_or3_b32 v18, v18, 0, 0
	v_and_b32_e32 v21, 0xff000000, v19
	v_and_b32_e32 v19, 0xff0000, v19
	v_or3_b32 v19, v16, v19, v21
	v_or3_b32 v18, v18, 0, 0
	v_cmp_eq_u16_sdwa s[10:11], v20, v17 src0_sel:BYTE_0 src1_sel:DWORD
	s_and_saveexec_b64 s[8:9], s[10:11]
	s_cbranch_execz .LBB2632_32
; %bb.29:
	s_mov_b64 s[10:11], 0
	v_mov_b32_e32 v16, 0
.LBB2632_30:                            ; =>This Inner Loop Header: Depth=1
	;;#ASMSTART
	global_load_dwordx4 v[18:21], v[28:29] off glc	
s_waitcnt vmcnt(0)
	;;#ASMEND
	v_cmp_ne_u16_sdwa s[12:13], v20, v16 src0_sel:BYTE_0 src1_sel:DWORD
	s_or_b64 s[10:11], s[12:13], s[10:11]
	s_andn2_b64 exec, exec, s[10:11]
	s_cbranch_execnz .LBB2632_30
; %bb.31:
	s_or_b64 exec, exec, s[10:11]
.LBB2632_32:
	s_or_b64 exec, exec, s[8:9]
	v_and_b32_e32 v33, 63, v25
	v_cmp_ne_u32_e32 vcc, 63, v33
	v_mov_b32_e32 v32, 2
	v_addc_co_u32_e32 v28, vcc, 0, v25, vcc
	v_cmp_eq_u16_sdwa s[8:9], v20, v32 src0_sel:BYTE_0 src1_sel:DWORD
	v_lshlrev_b64 v[16:17], v25, -1
	v_lshlrev_b32_e32 v34, 2, v28
	v_and_b32_e32 v21, s9, v17
	ds_bpermute_b32 v28, v34, v18
	ds_bpermute_b32 v29, v34, v19
	v_or_b32_e32 v21, 0x80000000, v21
	v_and_b32_e32 v30, s8, v16
	v_ffbl_b32_e32 v21, v21
	v_add_u32_e32 v21, 32, v21
	v_ffbl_b32_e32 v30, v30
	v_min_u32_e32 v21, v30, v21
	s_waitcnt lgkmcnt(0)
	v_cmp_gt_i64_e64 s[8:9], v[28:29], v[18:19]
	v_cmp_lt_u32_e32 vcc, v33, v21
	v_cndmask_b32_e64 v28, v18, v28, s[8:9]
	s_and_b64 s[8:9], vcc, s[8:9]
	v_cndmask_b32_e64 v29, v19, v29, s[8:9]
	v_cmp_gt_u32_e64 s[8:9], 62, v33
	v_cndmask_b32_e64 v30, 0, 1, s[8:9]
	v_lshlrev_b32_e32 v30, 1, v30
	v_cndmask_b32_e32 v28, v18, v28, vcc
	v_add_lshl_u32 v35, v30, v25, 2
	ds_bpermute_b32 v30, v35, v28
	ds_bpermute_b32 v31, v35, v29
	v_add_u32_e32 v39, 2, v33
	v_cmp_gt_u32_e64 s[10:11], 56, v33
	v_add_u32_e32 v41, 4, v33
	v_cndmask_b32_e64 v42, 0, 1, s[10:11]
	s_waitcnt lgkmcnt(0)
	v_cmp_gt_i64_e64 s[8:9], v[30:31], v[28:29]
	v_cndmask_b32_e64 v31, v29, v31, s[8:9]
	v_cndmask_b32_e64 v30, v28, v30, s[8:9]
	v_cmp_gt_u32_e64 s[8:9], v39, v21
	v_cndmask_b32_e64 v28, v30, v28, s[8:9]
	v_cndmask_b32_e64 v29, v31, v29, s[8:9]
	v_cmp_gt_u32_e64 s[8:9], 60, v33
	v_cndmask_b32_e64 v30, 0, 1, s[8:9]
	v_lshlrev_b32_e32 v30, 2, v30
	v_add_lshl_u32 v40, v30, v25, 2
	ds_bpermute_b32 v30, v40, v28
	ds_bpermute_b32 v31, v40, v29
	v_lshlrev_b32_e32 v42, 3, v42
	v_add_lshl_u32 v42, v42, v25, 2
	v_cmp_gt_u32_e64 s[12:13], 48, v33
	v_add_u32_e32 v43, 8, v33
	s_waitcnt lgkmcnt(0)
	v_cmp_gt_i64_e64 s[8:9], v[30:31], v[28:29]
	v_cndmask_b32_e64 v50, v29, v31, s[8:9]
	v_cndmask_b32_e64 v51, v28, v30, s[8:9]
	v_cmp_gt_u32_e64 s[8:9], v41, v21
	v_cndmask_b32_e64 v30, v51, v28, s[8:9]
	v_cndmask_b32_e64 v31, v50, v29, s[8:9]
	ds_bpermute_b32 v44, v42, v30
	ds_bpermute_b32 v45, v42, v31
	v_cmp_gt_u32_e64 s[14:15], 32, v33
	v_cndmask_b32_e32 v19, v19, v29, vcc
	v_cndmask_b32_e32 v18, v18, v28, vcc
	v_cndmask_b32_e64 v18, v51, v18, s[8:9]
	s_waitcnt lgkmcnt(0)
	v_cmp_gt_i64_e64 s[10:11], v[44:45], v[30:31]
	v_cndmask_b32_e64 v53, v30, v44, s[10:11]
	v_cndmask_b32_e64 v44, 0, 1, s[12:13]
	;; [unrolled: 1-line block ×3, first 2 shown]
	v_cmp_gt_u32_e64 s[10:11], v43, v21
	v_lshlrev_b32_e32 v44, 4, v44
	v_cndmask_b32_e64 v30, v53, v30, s[10:11]
	v_cndmask_b32_e64 v31, v52, v31, s[10:11]
	v_add_lshl_u32 v44, v44, v25, 2
	ds_bpermute_b32 v46, v44, v30
	ds_bpermute_b32 v47, v44, v31
	v_add_u32_e32 v45, 16, v33
	v_cndmask_b32_e64 v19, v50, v19, s[8:9]
	v_cndmask_b32_e64 v19, v52, v19, s[10:11]
	;; [unrolled: 1-line block ×3, first 2 shown]
	s_waitcnt lgkmcnt(0)
	v_cmp_gt_i64_e64 s[12:13], v[46:47], v[30:31]
	v_cndmask_b32_e64 v55, v30, v46, s[12:13]
	v_cndmask_b32_e64 v46, 0, 1, s[14:15]
	;; [unrolled: 1-line block ×3, first 2 shown]
	v_cmp_gt_u32_e64 s[12:13], v45, v21
	v_lshlrev_b32_e32 v46, 5, v46
	v_cndmask_b32_e64 v30, v55, v30, s[12:13]
	v_add_lshl_u32 v46, v46, v25, 2
	v_cndmask_b32_e64 v31, v54, v31, s[12:13]
	ds_bpermute_b32 v48, v46, v30
	ds_bpermute_b32 v49, v46, v31
	v_add_u32_e32 v47, 32, v33
	v_cndmask_b32_e64 v18, v55, v18, s[12:13]
	v_cndmask_b32_e64 v19, v54, v19, s[12:13]
	v_cmp_gt_u32_e32 vcc, v47, v21
	s_waitcnt lgkmcnt(0)
	v_cmp_gt_i64_e64 s[14:15], v[48:49], v[30:31]
	v_cndmask_b32_e64 v25, v30, v48, s[14:15]
	v_cndmask_b32_e64 v30, v31, v49, s[14:15]
	v_cndmask_b32_e32 v19, v30, v19, vcc
	v_cndmask_b32_e32 v18, v25, v18, vcc
	v_mov_b32_e32 v25, 0
	s_branch .LBB2632_34
.LBB2632_33:                            ;   in Loop: Header=BB2632_34 Depth=1
	s_or_b64 exec, exec, s[8:9]
	v_cmp_eq_u16_sdwa s[8:9], v20, v32 src0_sel:BYTE_0 src1_sel:DWORD
	v_and_b32_e32 v21, s9, v17
	ds_bpermute_b32 v30, v34, v18
	ds_bpermute_b32 v31, v34, v19
	v_or_b32_e32 v21, 0x80000000, v21
	v_and_b32_e32 v48, s8, v16
	v_ffbl_b32_e32 v21, v21
	v_add_u32_e32 v21, 32, v21
	v_ffbl_b32_e32 v48, v48
	v_min_u32_e32 v21, v48, v21
	s_waitcnt lgkmcnt(0)
	v_cmp_gt_i64_e32 vcc, v[30:31], v[18:19]
	v_cmp_lt_u32_e64 s[8:9], v33, v21
	v_cndmask_b32_e32 v30, v18, v30, vcc
	s_and_b64 vcc, s[8:9], vcc
	v_cndmask_b32_e64 v30, v18, v30, s[8:9]
	v_cndmask_b32_e32 v31, v19, v31, vcc
	ds_bpermute_b32 v48, v35, v30
	ds_bpermute_b32 v49, v35, v31
	v_subrev_u32_e32 v24, 64, v24
	s_waitcnt lgkmcnt(0)
	v_cmp_gt_i64_e32 vcc, v[48:49], v[30:31]
	v_cndmask_b32_e32 v49, v31, v49, vcc
	v_cndmask_b32_e32 v48, v30, v48, vcc
	v_cmp_gt_u32_e32 vcc, v39, v21
	v_cndmask_b32_e32 v30, v48, v30, vcc
	v_cndmask_b32_e32 v31, v49, v31, vcc
	ds_bpermute_b32 v48, v40, v30
	ds_bpermute_b32 v49, v40, v31
	v_cndmask_b32_e64 v19, v19, v31, s[8:9]
	v_cndmask_b32_e64 v18, v18, v30, s[8:9]
	s_waitcnt lgkmcnt(0)
	v_cmp_gt_i64_e32 vcc, v[48:49], v[30:31]
	v_cndmask_b32_e32 v52, v31, v49, vcc
	v_cndmask_b32_e32 v53, v30, v48, vcc
	v_cmp_gt_u32_e32 vcc, v41, v21
	v_cndmask_b32_e32 v48, v53, v30, vcc
	v_cndmask_b32_e32 v49, v52, v31, vcc
	ds_bpermute_b32 v50, v42, v48
	ds_bpermute_b32 v51, v42, v49
	v_cndmask_b32_e32 v18, v53, v18, vcc
	v_cndmask_b32_e32 v19, v52, v19, vcc
	v_cmp_gt_u32_e32 vcc, v47, v21
	s_waitcnt lgkmcnt(0)
	v_cmp_gt_i64_e64 s[10:11], v[50:51], v[48:49]
	v_cndmask_b32_e64 v54, v49, v51, s[10:11]
	v_cndmask_b32_e64 v55, v48, v50, s[10:11]
	v_cmp_gt_u32_e64 s[10:11], v43, v21
	v_cndmask_b32_e64 v48, v55, v48, s[10:11]
	v_cndmask_b32_e64 v49, v54, v49, s[10:11]
	ds_bpermute_b32 v50, v44, v48
	ds_bpermute_b32 v51, v44, v49
	v_cndmask_b32_e64 v19, v54, v19, s[10:11]
	v_cndmask_b32_e64 v18, v55, v18, s[10:11]
	s_waitcnt lgkmcnt(0)
	v_cmp_gt_i64_e64 s[12:13], v[50:51], v[48:49]
	v_cndmask_b32_e64 v56, v49, v51, s[12:13]
	v_cndmask_b32_e64 v57, v48, v50, s[12:13]
	v_cmp_gt_u32_e64 s[12:13], v45, v21
	v_cndmask_b32_e64 v48, v57, v48, s[12:13]
	v_cndmask_b32_e64 v49, v56, v49, s[12:13]
	ds_bpermute_b32 v50, v46, v48
	ds_bpermute_b32 v51, v46, v49
	v_cndmask_b32_e64 v18, v57, v18, s[12:13]
	v_cndmask_b32_e64 v19, v56, v19, s[12:13]
	s_waitcnt lgkmcnt(0)
	v_cmp_gt_i64_e64 s[14:15], v[50:51], v[48:49]
	v_cndmask_b32_e64 v48, v48, v50, s[14:15]
	v_cndmask_b32_e64 v49, v49, v51, s[14:15]
	v_cndmask_b32_e32 v19, v49, v19, vcc
	v_cndmask_b32_e32 v18, v48, v18, vcc
	v_cmp_gt_i64_e32 vcc, v[18:19], v[28:29]
	v_cndmask_b32_e32 v19, v29, v19, vcc
	v_cndmask_b32_e32 v18, v28, v18, vcc
.LBB2632_34:                            ; =>This Loop Header: Depth=1
                                        ;     Child Loop BB2632_37 Depth 2
	v_cmp_ne_u16_sdwa s[8:9], v20, v32 src0_sel:BYTE_0 src1_sel:DWORD
	v_cndmask_b32_e64 v20, 0, 1, s[8:9]
	;;#ASMSTART
	;;#ASMEND
	v_cmp_ne_u32_e32 vcc, 0, v20
	s_cmp_lg_u64 vcc, exec
	v_pk_mov_b32 v[28:29], v[18:19], v[18:19] op_sel:[0,1]
	s_cbranch_scc1 .LBB2632_39
; %bb.35:                               ;   in Loop: Header=BB2632_34 Depth=1
	v_lshlrev_b64 v[18:19], 4, v[24:25]
	v_mov_b32_e32 v20, s25
	v_add_co_u32_e32 v30, vcc, s24, v18
	v_addc_co_u32_e32 v31, vcc, v20, v19, vcc
	;;#ASMSTART
	global_load_dwordx4 v[18:21], v[30:31] off glc	
s_waitcnt vmcnt(0)
	;;#ASMEND
	v_and_b32_e32 v21, 0xff, v19
	v_and_b32_e32 v48, 0xff00, v19
	v_or3_b32 v21, 0, v21, v48
	v_or3_b32 v18, v18, 0, 0
	v_and_b32_e32 v48, 0xff000000, v19
	v_and_b32_e32 v19, 0xff0000, v19
	v_or3_b32 v19, v21, v19, v48
	v_or3_b32 v18, v18, 0, 0
	v_cmp_eq_u16_sdwa s[10:11], v20, v25 src0_sel:BYTE_0 src1_sel:DWORD
	s_and_saveexec_b64 s[8:9], s[10:11]
	s_cbranch_execz .LBB2632_33
; %bb.36:                               ;   in Loop: Header=BB2632_34 Depth=1
	s_mov_b64 s[10:11], 0
.LBB2632_37:                            ;   Parent Loop BB2632_34 Depth=1
                                        ; =>  This Inner Loop Header: Depth=2
	;;#ASMSTART
	global_load_dwordx4 v[18:21], v[30:31] off glc	
s_waitcnt vmcnt(0)
	;;#ASMEND
	v_cmp_ne_u16_sdwa s[12:13], v20, v25 src0_sel:BYTE_0 src1_sel:DWORD
	s_or_b64 s[10:11], s[12:13], s[10:11]
	s_andn2_b64 exec, exec, s[10:11]
	s_cbranch_execnz .LBB2632_37
; %bb.38:                               ;   in Loop: Header=BB2632_34 Depth=1
	s_or_b64 exec, exec, s[10:11]
	s_branch .LBB2632_33
.LBB2632_39:                            ;   in Loop: Header=BB2632_34 Depth=1
                                        ; implicit-def: $vgpr18_vgpr19
                                        ; implicit-def: $vgpr20
	s_cbranch_execz .LBB2632_34
; %bb.40:
	s_and_saveexec_b64 s[8:9], s[2:3]
	s_cbranch_execz .LBB2632_42
; %bb.41:
	s_add_i32 s2, s6, 64
	s_mov_b32 s3, 0
	s_lshl_b64 s[2:3], s[2:3], 4
	s_add_u32 s2, s24, s2
	v_cmp_gt_i64_e32 vcc, v[28:29], v[14:15]
	s_addc_u32 s3, s25, s3
	v_cndmask_b32_e32 v15, v15, v29, vcc
	v_cndmask_b32_e32 v14, v14, v28, vcc
	v_mov_b32_e32 v16, 2
	v_mov_b32_e32 v17, 0
	v_pk_mov_b32 v[18:19], s[2:3], s[2:3] op_sel:[0,1]
	;;#ASMSTART
	global_store_dwordx4 v[18:19], v[14:17] off	
s_waitcnt vmcnt(0)
	;;#ASMEND
.LBB2632_42:
	s_or_b64 exec, exec, s[8:9]
	s_and_b64 exec, exec, s[0:1]
	s_cbranch_execz .LBB2632_44
; %bb.43:
	v_mov_b32_e32 v14, 0
	ds_write_b64 v14, v[28:29]
.LBB2632_44:
	s_or_b64 exec, exec, s[28:29]
	v_mov_b32_e32 v14, 0
	s_waitcnt lgkmcnt(0)
	s_barrier
	ds_read_b64 v[14:15], v14
	s_waitcnt lgkmcnt(0)
	v_cmp_gt_i64_e32 vcc, v[14:15], v[22:23]
	v_cndmask_b32_e32 v16, v22, v14, vcc
	v_cndmask_b32_e32 v17, v23, v15, vcc
	v_cndmask_b32_e64 v15, v17, v15, s[0:1]
	v_cndmask_b32_e64 v14, v16, v14, s[0:1]
	v_cmp_gt_i64_e32 vcc, v[14:15], v[10:11]
	v_cndmask_b32_e32 v29, v11, v15, vcc
	v_cndmask_b32_e32 v28, v10, v14, vcc
	v_cmp_gt_i64_e32 vcc, v[28:29], v[12:13]
	v_cndmask_b32_e32 v19, v13, v29, vcc
	v_cndmask_b32_e32 v18, v12, v28, vcc
	;; [unrolled: 3-line block ×6, first 2 shown]
	s_load_dwordx8 s[0:7], s[4:5], 0x40
	s_branch .LBB2632_57
.LBB2632_45:
                                        ; implicit-def: $vgpr34_vgpr35
                                        ; implicit-def: $vgpr32_vgpr33
                                        ; implicit-def: $vgpr30_vgpr31
                                        ; implicit-def: $vgpr28_vgpr29
                                        ; implicit-def: $vgpr22_vgpr23_vgpr24_vgpr25
                                        ; implicit-def: $vgpr18_vgpr19_vgpr20_vgpr21
                                        ; implicit-def: $vgpr14_vgpr15_vgpr16_vgpr17
	s_load_dwordx8 s[0:7], s[4:5], 0x40
	s_cbranch_execz .LBB2632_57
; %bb.46:
	s_waitcnt lgkmcnt(0)
	s_cmp_eq_u64 s[4:5], 0
	v_pk_mov_b32 v[20:21], s[26:27], s[26:27] op_sel:[0,1]
	s_cbranch_scc1 .LBB2632_48
; %bb.47:
	v_mov_b32_e32 v17, s34
	v_add_co_u32_e64 v16, vcc, -8, s33
	v_mov_b32_e32 v14, 0
	v_addc_co_u32_e32 v17, vcc, -1, v17, vcc
	global_load_dwordx2 v[14:15], v14, s[0:1]
	s_nop 0
	flat_load_dwordx2 v[16:17], v[16:17]
	s_waitcnt vmcnt(0) lgkmcnt(0)
	v_cmp_gt_i64_e32 vcc, v[14:15], v[16:17]
	v_cndmask_b32_e32 v21, v17, v15, vcc
	v_cndmask_b32_e32 v20, v16, v14, vcc
.LBB2632_48:
	v_cmp_gt_i64_e32 vcc, v[10:11], v[12:13]
	v_cndmask_b32_e32 v15, v13, v11, vcc
	v_cndmask_b32_e32 v14, v12, v10, vcc
	v_cmp_gt_i64_e32 vcc, v[14:15], v[6:7]
	v_cndmask_b32_e32 v15, v7, v15, vcc
	v_cndmask_b32_e32 v14, v6, v14, vcc
	;; [unrolled: 3-line block ×6, first 2 shown]
	v_add_lshl_u32 v1, v1, v0, 3
	v_cmp_gt_u32_e32 vcc, 64, v0
	ds_write_b64 v1, v[18:19]
	s_waitcnt lgkmcnt(0)
	s_barrier
	s_and_saveexec_b64 s[4:5], vcc
	s_cbranch_execz .LBB2632_52
; %bb.49:
	v_lshlrev_b32_e32 v1, 1, v0
	v_lshrrev_b32_e32 v14, 4, v0
	v_add_lshl_u32 v1, v14, v1, 3
	ds_read2_b64 v[14:17], v1 offset1:1
	v_mbcnt_lo_u32_b32 v22, -1, 0
	v_mbcnt_hi_u32_b32 v26, -1, v22
	v_and_b32_e32 v27, 15, v26
	v_and_b32_e32 v29, 16, v26
	s_waitcnt lgkmcnt(0)
	v_cmp_gt_i64_e32 vcc, v[14:15], v[16:17]
	v_cndmask_b32_e32 v17, v17, v15, vcc
	v_cndmask_b32_e32 v16, v16, v14, vcc
	v_cmp_ne_u32_e64 s[0:1], 0, v26
	v_mov_b32_dpp v23, v17 row_shr:1 row_mask:0xf bank_mask:0xf
	v_mov_b32_dpp v22, v16 row_shr:1 row_mask:0xf bank_mask:0xf
	v_cmp_gt_i64_e32 vcc, v[22:23], v[16:17]
	v_cndmask_b32_e32 v22, v16, v22, vcc
	v_cndmask_b32_e32 v23, v17, v23, vcc
	v_cmp_eq_u32_e32 vcc, 0, v27
	v_cndmask_b32_e32 v23, v23, v17, vcc
	v_cndmask_b32_e32 v22, v22, v16, vcc
	s_nop 0
	v_mov_b32_dpp v25, v23 row_shr:2 row_mask:0xf bank_mask:0xf
	v_mov_b32_dpp v24, v22 row_shr:2 row_mask:0xf bank_mask:0xf
	v_cmp_gt_i64_e32 vcc, v[24:25], v[22:23]
	v_cndmask_b32_e32 v24, v22, v24, vcc
	v_cndmask_b32_e32 v25, v23, v25, vcc
	v_cmp_lt_u32_e32 vcc, 1, v27
	v_cndmask_b32_e32 v23, v23, v25, vcc
	v_cndmask_b32_e32 v22, v22, v24, vcc
	s_nop 0
	v_mov_b32_dpp v25, v23 row_shr:4 row_mask:0xf bank_mask:0xf
	v_mov_b32_dpp v24, v22 row_shr:4 row_mask:0xf bank_mask:0xf
	v_cmp_gt_i64_e32 vcc, v[24:25], v[22:23]
	v_cndmask_b32_e32 v24, v22, v24, vcc
	v_cndmask_b32_e32 v25, v23, v25, vcc
	v_cmp_lt_u32_e32 vcc, 3, v27
	;; [unrolled: 9-line block ×3, first 2 shown]
	v_cndmask_b32_e32 v23, v23, v25, vcc
	v_cndmask_b32_e32 v22, v22, v24, vcc
	s_nop 0
	v_mov_b32_dpp v25, v23 row_bcast:15 row_mask:0xf bank_mask:0xf
	v_mov_b32_dpp v24, v22 row_bcast:15 row_mask:0xf bank_mask:0xf
	v_cmp_gt_i64_e32 vcc, v[24:25], v[22:23]
	v_cndmask_b32_e32 v27, v23, v25, vcc
	v_cndmask_b32_e32 v28, v22, v24, vcc
	v_cmp_eq_u32_e32 vcc, 0, v29
	v_cndmask_b32_e32 v25, v27, v23, vcc
	v_cndmask_b32_e32 v24, v28, v22, vcc
	s_nop 0
	v_mov_b32_dpp v25, v25 row_bcast:31 row_mask:0xf bank_mask:0xf
	v_mov_b32_dpp v24, v24 row_bcast:31 row_mask:0xf bank_mask:0xf
	s_and_saveexec_b64 s[8:9], s[0:1]
; %bb.50:
	v_cndmask_b32_e32 v17, v27, v23, vcc
	v_cndmask_b32_e32 v16, v28, v22, vcc
	v_cmp_lt_u32_e64 s[0:1], 31, v26
	v_cmp_gt_i64_e32 vcc, v[24:25], v[16:17]
	s_and_b64 vcc, s[0:1], vcc
	v_cndmask_b32_e32 v16, v16, v24, vcc
	v_cndmask_b32_e32 v17, v17, v25, vcc
; %bb.51:
	s_or_b64 exec, exec, s[8:9]
	v_add_u32_e32 v22, -1, v26
	v_and_b32_e32 v23, 64, v26
	v_cmp_lt_i32_e32 vcc, v22, v23
	v_cndmask_b32_e32 v22, v22, v26, vcc
	v_lshlrev_b32_e32 v22, 2, v22
	ds_bpermute_b32 v16, v22, v16
	ds_bpermute_b32 v17, v22, v17
	; wave barrier
	s_waitcnt lgkmcnt(0)
	v_cmp_gt_i64_e32 vcc, v[16:17], v[14:15]
	v_cndmask_b32_e32 v14, v14, v16, vcc
	v_cndmask_b32_e32 v15, v15, v17, vcc
	v_cmp_eq_u32_e32 vcc, 0, v0
	v_cndmask_b32_e32 v15, v15, v19, vcc
	v_cndmask_b32_e32 v14, v14, v18, vcc
	ds_write_b64 v1, v[14:15]
	; wave barrier
	ds_read_b64 v[16:17], v1 offset:8
	s_waitcnt lgkmcnt(0)
	v_cmp_gt_i64_e32 vcc, v[14:15], v[16:17]
	v_cndmask_b32_e32 v15, v17, v15, vcc
	v_cndmask_b32_e32 v14, v16, v14, vcc
	ds_write_b64 v1, v[14:15] offset:8
.LBB2632_52:
	s_or_b64 exec, exec, s[4:5]
	v_cmp_eq_u32_e32 vcc, 0, v0
	v_cmp_ne_u32_e64 s[0:1], 0, v0
	v_pk_mov_b32 v[14:15], v[20:21], v[20:21] op_sel:[0,1]
	s_waitcnt lgkmcnt(0)
	s_barrier
	s_and_saveexec_b64 s[4:5], s[0:1]
	s_cbranch_execz .LBB2632_54
; %bb.53:
	v_add_u32_e32 v1, -1, v0
	v_lshrrev_b32_e32 v14, 5, v1
	v_add_lshl_u32 v1, v14, v1, 3
	ds_read_b64 v[14:15], v1
	s_waitcnt lgkmcnt(0)
	v_cmp_gt_i64_e64 s[0:1], v[20:21], v[14:15]
	v_cndmask_b32_e64 v15, v15, v21, s[0:1]
	v_cndmask_b32_e64 v14, v14, v20, s[0:1]
.LBB2632_54:
	s_or_b64 exec, exec, s[4:5]
	v_cmp_gt_i64_e64 s[0:1], v[14:15], v[10:11]
	v_cndmask_b32_e64 v29, v11, v15, s[0:1]
	v_cndmask_b32_e64 v28, v10, v14, s[0:1]
	v_cmp_gt_i64_e64 s[0:1], v[28:29], v[12:13]
	v_cndmask_b32_e64 v19, v13, v29, s[0:1]
	v_cndmask_b32_e64 v18, v12, v28, s[0:1]
	;; [unrolled: 3-line block ×6, first 2 shown]
	s_and_saveexec_b64 s[0:1], vcc
	s_cbranch_execz .LBB2632_56
; %bb.55:
	v_mov_b32_e32 v5, 0
	ds_read_b64 v[2:3], v5 offset:1040
	s_add_u32 s4, s24, 0x400
	s_addc_u32 s5, s25, 0
	v_mov_b32_e32 v4, 2
	v_pk_mov_b32 v[6:7], s[4:5], s[4:5] op_sel:[0,1]
	s_waitcnt lgkmcnt(0)
	v_cmp_gt_i64_e32 vcc, v[20:21], v[2:3]
	v_cndmask_b32_e32 v3, v3, v21, vcc
	v_cndmask_b32_e32 v2, v2, v20, vcc
	;;#ASMSTART
	global_store_dwordx4 v[6:7], v[2:5] off	
s_waitcnt vmcnt(0)
	;;#ASMEND
.LBB2632_56:
	s_or_b64 exec, exec, s[0:1]
.LBB2632_57:
	s_waitcnt lgkmcnt(0)
	s_add_u32 s0, s16, s20
	s_addc_u32 s1, s17, s21
	s_add_u32 s4, s0, s22
	s_addc_u32 s5, s1, s23
	s_mov_b64 s[0:1], -1
	s_and_b64 vcc, exec, s[18:19]
	s_barrier
	s_cbranch_vccz .LBB2632_59
; %bb.58:
	v_mul_u32_u24_e32 v1, 56, v0
	ds_write2_b64 v1, v[14:15], v[28:29] offset1:1
	ds_write2_b64 v1, v[18:19], v[30:31] offset0:2 offset1:3
	ds_write2_b64 v1, v[22:23], v[32:33] offset0:4 offset1:5
	ds_write_b64 v1, v[34:35] offset:48
	v_mul_i32_i24_e32 v1, 0xffffffd0, v0
	v_mad_u32_u24 v1, v0, 56, v1
	s_waitcnt lgkmcnt(0)
	s_barrier
	ds_read2st64_b64 v[2:5], v1 offset1:2
	ds_read2st64_b64 v[6:9], v1 offset0:4 offset1:6
	ds_read2st64_b64 v[10:13], v1 offset0:8 offset1:10
	ds_read_b64 v[16:17], v1 offset:6144
	v_mov_b32_e32 v1, s5
	v_add_co_u32_e32 v20, vcc, s4, v36
	v_addc_co_u32_e32 v21, vcc, 0, v1, vcc
	s_waitcnt lgkmcnt(3)
	flat_store_dwordx2 v[20:21], v[2:3]
	flat_store_dwordx2 v[20:21], v[4:5] offset:1024
	s_waitcnt lgkmcnt(0)
	flat_store_dwordx2 v[20:21], v[6:7] offset:2048
	flat_store_dwordx2 v[20:21], v[8:9] offset:3072
	v_add_co_u32_e32 v2, vcc, 0x1000, v20
	v_addc_co_u32_e32 v3, vcc, 0, v21, vcc
	flat_store_dwordx2 v[2:3], v[10:11]
	flat_store_dwordx2 v[2:3], v[12:13] offset:1024
	flat_store_dwordx2 v[2:3], v[16:17] offset:2048
	s_mov_b64 s[0:1], 0
.LBB2632_59:
	s_andn2_b64 vcc, exec, s[0:1]
	s_cbranch_vccnz .LBB2632_98
; %bb.60:
	s_movk_i32 s0, 0xffd0
	ds_write2_b64 v38, v[14:15], v[28:29] offset1:1
	ds_write2_b64 v38, v[18:19], v[30:31] offset0:2 offset1:3
	ds_write2_b64 v38, v[22:23], v[32:33] offset0:4 offset1:5
	ds_write_b64 v38, v[34:35] offset:48
	v_mad_i32_i24 v14, v0, s0, v38
	s_waitcnt lgkmcnt(0)
	s_barrier
	ds_read2st64_b64 v[2:5], v14 offset1:2
	ds_read2st64_b64 v[6:9], v14 offset0:4 offset1:6
	ds_read2st64_b64 v[10:13], v14 offset0:8 offset1:10
	ds_read_b64 v[14:15], v14 offset:6144
	v_mov_b32_e32 v17, s5
	v_add_co_u32_e32 v16, vcc, s4, v36
	v_addc_co_u32_e32 v17, vcc, 0, v17, vcc
	v_mov_b32_e32 v1, 0
	v_cmp_gt_u32_e32 vcc, s30, v0
	s_and_saveexec_b64 s[0:1], vcc
	s_cbranch_execz .LBB2632_62
; %bb.61:
	s_waitcnt lgkmcnt(0)
	flat_store_dwordx2 v[16:17], v[2:3]
.LBB2632_62:
	s_or_b64 exec, exec, s[0:1]
	v_or_b32_e32 v18, 0x80, v0
	v_cmp_gt_u32_e32 vcc, s30, v18
	s_and_saveexec_b64 s[0:1], vcc
	s_cbranch_execz .LBB2632_64
; %bb.63:
	s_waitcnt lgkmcnt(0)
	flat_store_dwordx2 v[16:17], v[4:5] offset:1024
.LBB2632_64:
	s_or_b64 exec, exec, s[0:1]
	v_or_b32_e32 v18, 0x100, v0
	v_cmp_gt_u32_e32 vcc, s30, v18
	s_and_saveexec_b64 s[0:1], vcc
	s_cbranch_execz .LBB2632_66
; %bb.65:
	s_waitcnt lgkmcnt(0)
	flat_store_dwordx2 v[16:17], v[6:7] offset:2048
.LBB2632_66:
	;; [unrolled: 9-line block ×3, first 2 shown]
	s_or_b64 exec, exec, s[0:1]
	v_or_b32_e32 v18, 0x200, v0
	v_cmp_gt_u32_e32 vcc, s30, v18
	s_and_saveexec_b64 s[0:1], vcc
	s_cbranch_execz .LBB2632_70
; %bb.69:
	v_add_co_u32_e32 v18, vcc, 0x1000, v16
	v_addc_co_u32_e32 v19, vcc, 0, v17, vcc
	s_waitcnt lgkmcnt(0)
	flat_store_dwordx2 v[18:19], v[10:11]
.LBB2632_70:
	s_or_b64 exec, exec, s[0:1]
	v_or_b32_e32 v18, 0x280, v0
	v_cmp_gt_u32_e32 vcc, s30, v18
	s_and_saveexec_b64 s[0:1], vcc
	s_cbranch_execz .LBB2632_72
; %bb.71:
	v_add_co_u32_e32 v18, vcc, 0x1000, v16
	v_addc_co_u32_e32 v19, vcc, 0, v17, vcc
	s_waitcnt lgkmcnt(0)
	flat_store_dwordx2 v[18:19], v[12:13] offset:1024
.LBB2632_72:
	s_or_b64 exec, exec, s[0:1]
	v_or_b32_e32 v18, 0x300, v0
	v_cmp_gt_u32_e32 vcc, s30, v18
	s_and_saveexec_b64 s[0:1], vcc
	s_cbranch_execz .LBB2632_74
; %bb.73:
	v_add_co_u32_e32 v16, vcc, 0x1000, v16
	v_addc_co_u32_e32 v17, vcc, 0, v17, vcc
	s_waitcnt lgkmcnt(0)
	flat_store_dwordx2 v[16:17], v[14:15] offset:2048
.LBB2632_74:
	s_or_b64 exec, exec, s[0:1]
	v_cmp_lt_u64_e64 s[0:1], s[6:7], 2
	s_and_b64 vcc, exec, s[0:1]
	s_cbranch_vccnz .LBB2632_98
; %bb.75:
	s_add_u32 s0, s30, -1
	s_addc_u32 s1, s31, -1
	s_add_u32 s4, 0, 0x92481000
	s_addc_u32 s5, 0, 0x64
	s_add_i32 s5, s5, 0x249248c0
	s_mul_hi_u32 s9, s4, -7
	s_sub_i32 s9, s9, s4
	s_mul_i32 s10, s5, -7
	s_mul_i32 s6, s4, -7
	s_add_i32 s9, s9, s10
	s_mul_hi_u32 s7, s5, s6
	s_mul_i32 s8, s5, s6
	s_mul_i32 s11, s4, s9
	s_mul_hi_u32 s6, s4, s6
	s_mul_hi_u32 s10, s4, s9
	s_add_u32 s6, s6, s11
	s_addc_u32 s10, 0, s10
	s_add_u32 s6, s6, s8
	s_mul_hi_u32 s11, s5, s9
	s_addc_u32 s6, s10, s7
	s_addc_u32 s7, s11, 0
	s_mul_i32 s8, s5, s9
	s_add_u32 s6, s6, s8
	v_mov_b32_e32 v16, s6
	s_addc_u32 s7, 0, s7
	v_add_co_u32_e32 v16, vcc, s4, v16
	s_cmp_lg_u64 vcc, 0
	s_addc_u32 s4, s5, s7
	v_readfirstlane_b32 s7, v16
	s_mul_i32 s6, s0, s4
	s_mul_hi_u32 s8, s0, s7
	s_mul_hi_u32 s5, s0, s4
	s_add_u32 s6, s8, s6
	s_addc_u32 s5, 0, s5
	s_mul_hi_u32 s9, s1, s7
	s_mul_i32 s7, s1, s7
	s_add_u32 s6, s6, s7
	s_mul_hi_u32 s8, s1, s4
	s_addc_u32 s5, s5, s9
	s_addc_u32 s6, s8, 0
	s_mul_i32 s4, s1, s4
	s_add_u32 s4, s5, s4
	s_addc_u32 s5, 0, s6
	s_add_u32 s6, s4, 1
	s_addc_u32 s7, s5, 0
	s_add_u32 s8, s4, 2
	s_mul_i32 s10, s5, 7
	s_mul_hi_u32 s11, s4, 7
	s_addc_u32 s9, s5, 0
	s_add_i32 s11, s11, s10
	s_mul_i32 s10, s4, 7
	v_mov_b32_e32 v16, s10
	v_sub_co_u32_e32 v16, vcc, s0, v16
	s_cmp_lg_u64 vcc, 0
	s_subb_u32 s10, s1, s11
	v_subrev_co_u32_e32 v17, vcc, 7, v16
	s_cmp_lg_u64 vcc, 0
	s_subb_u32 s11, s10, 0
	v_readfirstlane_b32 s12, v17
	s_cmp_gt_u32 s12, 6
	s_cselect_b32 s12, -1, 0
	s_cmp_eq_u32 s11, 0
	s_cselect_b32 s11, s12, -1
	s_cmp_lg_u32 s11, 0
	s_cselect_b32 s6, s8, s6
	v_readfirstlane_b32 s8, v16
	s_cselect_b32 s7, s9, s7
	s_cmp_gt_u32 s8, 6
	s_cselect_b32 s8, -1, 0
	s_cmp_eq_u32 s10, 0
	s_cselect_b32 s8, s8, -1
	s_cmp_lg_u32 s8, 0
	s_cselect_b32 s5, s7, s5
	s_cselect_b32 s4, s6, s4
	v_cmp_eq_u64_e32 vcc, s[4:5], v[0:1]
	s_and_saveexec_b64 s[4:5], vcc
	s_cbranch_execz .LBB2632_98
; %bb.76:
	v_mul_hi_u32_u24_e32 v1, 7, v0
	v_mov_b32_e32 v16, s1
	v_sub_co_u32_e32 v0, vcc, s0, v37
	v_subb_co_u32_e32 v1, vcc, v16, v1, vcc
	v_cmp_lt_i64_e32 vcc, 3, v[0:1]
	s_and_saveexec_b64 s[0:1], vcc
	s_xor_b64 s[0:1], exec, s[0:1]
	s_cbranch_execz .LBB2632_86
; %bb.77:
	v_cmp_lt_i64_e32 vcc, 4, v[0:1]
	s_and_saveexec_b64 s[4:5], vcc
	s_xor_b64 s[4:5], exec, s[4:5]
	s_cbranch_execz .LBB2632_83
; %bb.78:
	v_cmp_lt_i64_e32 vcc, 5, v[0:1]
	s_and_saveexec_b64 s[6:7], vcc
	s_xor_b64 s[6:7], exec, s[6:7]
	s_cbranch_execz .LBB2632_80
; %bb.79:
	v_mov_b32_e32 v0, 0
	s_waitcnt lgkmcnt(0)
	global_store_dwordx2 v0, v[14:15], s[2:3]
                                        ; implicit-def: $vgpr10_vgpr11_vgpr12_vgpr13
.LBB2632_80:
	s_andn2_saveexec_b64 s[6:7], s[6:7]
	s_cbranch_execz .LBB2632_82
; %bb.81:
	v_mov_b32_e32 v0, 0
	s_waitcnt lgkmcnt(0)
	global_store_dwordx2 v0, v[12:13], s[2:3]
.LBB2632_82:
	s_or_b64 exec, exec, s[6:7]
                                        ; implicit-def: $vgpr10_vgpr11_vgpr12_vgpr13
.LBB2632_83:
	s_andn2_saveexec_b64 s[4:5], s[4:5]
	s_cbranch_execz .LBB2632_85
; %bb.84:
	v_mov_b32_e32 v0, 0
	s_waitcnt lgkmcnt(0)
	global_store_dwordx2 v0, v[10:11], s[2:3]
.LBB2632_85:
	s_or_b64 exec, exec, s[4:5]
                                        ; implicit-def: $vgpr0_vgpr1
                                        ; implicit-def: $vgpr2_vgpr3_vgpr4_vgpr5
                                        ; implicit-def: $vgpr6_vgpr7_vgpr8_vgpr9
.LBB2632_86:
	s_andn2_saveexec_b64 s[0:1], s[0:1]
	s_cbranch_execz .LBB2632_98
; %bb.87:
	v_cmp_lt_i64_e32 vcc, 1, v[0:1]
	s_and_saveexec_b64 s[0:1], vcc
	s_xor_b64 s[0:1], exec, s[0:1]
	s_cbranch_execz .LBB2632_93
; %bb.88:
	v_cmp_lt_i64_e32 vcc, 2, v[0:1]
	s_and_saveexec_b64 s[4:5], vcc
	s_xor_b64 s[4:5], exec, s[4:5]
	s_cbranch_execz .LBB2632_90
; %bb.89:
	v_mov_b32_e32 v0, 0
	s_waitcnt lgkmcnt(0)
	global_store_dwordx2 v0, v[8:9], s[2:3]
                                        ; implicit-def: $vgpr6_vgpr7_vgpr8_vgpr9
.LBB2632_90:
	s_andn2_saveexec_b64 s[4:5], s[4:5]
	s_cbranch_execz .LBB2632_92
; %bb.91:
	v_mov_b32_e32 v0, 0
	s_waitcnt lgkmcnt(0)
	global_store_dwordx2 v0, v[6:7], s[2:3]
.LBB2632_92:
	s_or_b64 exec, exec, s[4:5]
                                        ; implicit-def: $vgpr2_vgpr3_vgpr4_vgpr5
                                        ; implicit-def: $vgpr0_vgpr1
.LBB2632_93:
	s_andn2_saveexec_b64 s[0:1], s[0:1]
	s_cbranch_execz .LBB2632_98
; %bb.94:
	v_cmp_ne_u64_e32 vcc, 1, v[0:1]
	s_and_saveexec_b64 s[0:1], vcc
	s_xor_b64 s[0:1], exec, s[0:1]
	s_cbranch_execz .LBB2632_96
; %bb.95:
	v_mov_b32_e32 v0, 0
	s_waitcnt lgkmcnt(0)
	global_store_dwordx2 v0, v[2:3], s[2:3]
                                        ; implicit-def: $vgpr2_vgpr3_vgpr4_vgpr5
.LBB2632_96:
	s_andn2_saveexec_b64 s[0:1], s[0:1]
	s_cbranch_execz .LBB2632_98
; %bb.97:
	v_mov_b32_e32 v0, 0
	s_waitcnt lgkmcnt(0)
	global_store_dwordx2 v0, v[4:5], s[2:3]
.LBB2632_98:
	s_endpgm
	.section	.rodata,"a",@progbits
	.p2align	6, 0x0
	.amdhsa_kernel _ZN7rocprim17ROCPRIM_400000_NS6detail17trampoline_kernelINS0_14default_configENS1_20scan_config_selectorIxEEZZNS1_9scan_implILNS1_25lookback_scan_determinismE0ELb1ELb1ES3_N6thrust23THRUST_200600_302600_NS6detail15normal_iteratorINS9_10device_ptrIxEEEESE_x11max_functorIxExEEDaPvRmT3_T4_T5_mT6_P12ihipStream_tbENKUlT_T0_E_clISt17integral_constantIbLb0EESU_EEDaSP_SQ_EUlSP_E_NS1_11comp_targetILNS1_3genE4ELNS1_11target_archE910ELNS1_3gpuE8ELNS1_3repE0EEENS1_30default_config_static_selectorELNS0_4arch9wavefront6targetE1EEEvT1_
		.amdhsa_group_segment_fixed_size 7168
		.amdhsa_private_segment_fixed_size 0
		.amdhsa_kernarg_size 104
		.amdhsa_user_sgpr_count 6
		.amdhsa_user_sgpr_private_segment_buffer 1
		.amdhsa_user_sgpr_dispatch_ptr 0
		.amdhsa_user_sgpr_queue_ptr 0
		.amdhsa_user_sgpr_kernarg_segment_ptr 1
		.amdhsa_user_sgpr_dispatch_id 0
		.amdhsa_user_sgpr_flat_scratch_init 0
		.amdhsa_user_sgpr_kernarg_preload_length 0
		.amdhsa_user_sgpr_kernarg_preload_offset 0
		.amdhsa_user_sgpr_private_segment_size 0
		.amdhsa_uses_dynamic_stack 0
		.amdhsa_system_sgpr_private_segment_wavefront_offset 0
		.amdhsa_system_sgpr_workgroup_id_x 1
		.amdhsa_system_sgpr_workgroup_id_y 0
		.amdhsa_system_sgpr_workgroup_id_z 0
		.amdhsa_system_sgpr_workgroup_info 0
		.amdhsa_system_vgpr_workitem_id 0
		.amdhsa_next_free_vgpr 58
		.amdhsa_next_free_sgpr 35
		.amdhsa_accum_offset 60
		.amdhsa_reserve_vcc 1
		.amdhsa_reserve_flat_scratch 0
		.amdhsa_float_round_mode_32 0
		.amdhsa_float_round_mode_16_64 0
		.amdhsa_float_denorm_mode_32 3
		.amdhsa_float_denorm_mode_16_64 3
		.amdhsa_dx10_clamp 1
		.amdhsa_ieee_mode 1
		.amdhsa_fp16_overflow 0
		.amdhsa_tg_split 0
		.amdhsa_exception_fp_ieee_invalid_op 0
		.amdhsa_exception_fp_denorm_src 0
		.amdhsa_exception_fp_ieee_div_zero 0
		.amdhsa_exception_fp_ieee_overflow 0
		.amdhsa_exception_fp_ieee_underflow 0
		.amdhsa_exception_fp_ieee_inexact 0
		.amdhsa_exception_int_div_zero 0
	.end_amdhsa_kernel
	.section	.text._ZN7rocprim17ROCPRIM_400000_NS6detail17trampoline_kernelINS0_14default_configENS1_20scan_config_selectorIxEEZZNS1_9scan_implILNS1_25lookback_scan_determinismE0ELb1ELb1ES3_N6thrust23THRUST_200600_302600_NS6detail15normal_iteratorINS9_10device_ptrIxEEEESE_x11max_functorIxExEEDaPvRmT3_T4_T5_mT6_P12ihipStream_tbENKUlT_T0_E_clISt17integral_constantIbLb0EESU_EEDaSP_SQ_EUlSP_E_NS1_11comp_targetILNS1_3genE4ELNS1_11target_archE910ELNS1_3gpuE8ELNS1_3repE0EEENS1_30default_config_static_selectorELNS0_4arch9wavefront6targetE1EEEvT1_,"axG",@progbits,_ZN7rocprim17ROCPRIM_400000_NS6detail17trampoline_kernelINS0_14default_configENS1_20scan_config_selectorIxEEZZNS1_9scan_implILNS1_25lookback_scan_determinismE0ELb1ELb1ES3_N6thrust23THRUST_200600_302600_NS6detail15normal_iteratorINS9_10device_ptrIxEEEESE_x11max_functorIxExEEDaPvRmT3_T4_T5_mT6_P12ihipStream_tbENKUlT_T0_E_clISt17integral_constantIbLb0EESU_EEDaSP_SQ_EUlSP_E_NS1_11comp_targetILNS1_3genE4ELNS1_11target_archE910ELNS1_3gpuE8ELNS1_3repE0EEENS1_30default_config_static_selectorELNS0_4arch9wavefront6targetE1EEEvT1_,comdat
.Lfunc_end2632:
	.size	_ZN7rocprim17ROCPRIM_400000_NS6detail17trampoline_kernelINS0_14default_configENS1_20scan_config_selectorIxEEZZNS1_9scan_implILNS1_25lookback_scan_determinismE0ELb1ELb1ES3_N6thrust23THRUST_200600_302600_NS6detail15normal_iteratorINS9_10device_ptrIxEEEESE_x11max_functorIxExEEDaPvRmT3_T4_T5_mT6_P12ihipStream_tbENKUlT_T0_E_clISt17integral_constantIbLb0EESU_EEDaSP_SQ_EUlSP_E_NS1_11comp_targetILNS1_3genE4ELNS1_11target_archE910ELNS1_3gpuE8ELNS1_3repE0EEENS1_30default_config_static_selectorELNS0_4arch9wavefront6targetE1EEEvT1_, .Lfunc_end2632-_ZN7rocprim17ROCPRIM_400000_NS6detail17trampoline_kernelINS0_14default_configENS1_20scan_config_selectorIxEEZZNS1_9scan_implILNS1_25lookback_scan_determinismE0ELb1ELb1ES3_N6thrust23THRUST_200600_302600_NS6detail15normal_iteratorINS9_10device_ptrIxEEEESE_x11max_functorIxExEEDaPvRmT3_T4_T5_mT6_P12ihipStream_tbENKUlT_T0_E_clISt17integral_constantIbLb0EESU_EEDaSP_SQ_EUlSP_E_NS1_11comp_targetILNS1_3genE4ELNS1_11target_archE910ELNS1_3gpuE8ELNS1_3repE0EEENS1_30default_config_static_selectorELNS0_4arch9wavefront6targetE1EEEvT1_
                                        ; -- End function
	.section	.AMDGPU.csdata,"",@progbits
; Kernel info:
; codeLenInByte = 5864
; NumSgprs: 39
; NumVgprs: 58
; NumAgprs: 0
; TotalNumVgprs: 58
; ScratchSize: 0
; MemoryBound: 0
; FloatMode: 240
; IeeeMode: 1
; LDSByteSize: 7168 bytes/workgroup (compile time only)
; SGPRBlocks: 4
; VGPRBlocks: 7
; NumSGPRsForWavesPerEU: 39
; NumVGPRsForWavesPerEU: 58
; AccumOffset: 60
; Occupancy: 5
; WaveLimiterHint : 1
; COMPUTE_PGM_RSRC2:SCRATCH_EN: 0
; COMPUTE_PGM_RSRC2:USER_SGPR: 6
; COMPUTE_PGM_RSRC2:TRAP_HANDLER: 0
; COMPUTE_PGM_RSRC2:TGID_X_EN: 1
; COMPUTE_PGM_RSRC2:TGID_Y_EN: 0
; COMPUTE_PGM_RSRC2:TGID_Z_EN: 0
; COMPUTE_PGM_RSRC2:TIDIG_COMP_CNT: 0
; COMPUTE_PGM_RSRC3_GFX90A:ACCUM_OFFSET: 14
; COMPUTE_PGM_RSRC3_GFX90A:TG_SPLIT: 0
	.section	.text._ZN7rocprim17ROCPRIM_400000_NS6detail17trampoline_kernelINS0_14default_configENS1_20scan_config_selectorIxEEZZNS1_9scan_implILNS1_25lookback_scan_determinismE0ELb1ELb1ES3_N6thrust23THRUST_200600_302600_NS6detail15normal_iteratorINS9_10device_ptrIxEEEESE_x11max_functorIxExEEDaPvRmT3_T4_T5_mT6_P12ihipStream_tbENKUlT_T0_E_clISt17integral_constantIbLb0EESU_EEDaSP_SQ_EUlSP_E_NS1_11comp_targetILNS1_3genE3ELNS1_11target_archE908ELNS1_3gpuE7ELNS1_3repE0EEENS1_30default_config_static_selectorELNS0_4arch9wavefront6targetE1EEEvT1_,"axG",@progbits,_ZN7rocprim17ROCPRIM_400000_NS6detail17trampoline_kernelINS0_14default_configENS1_20scan_config_selectorIxEEZZNS1_9scan_implILNS1_25lookback_scan_determinismE0ELb1ELb1ES3_N6thrust23THRUST_200600_302600_NS6detail15normal_iteratorINS9_10device_ptrIxEEEESE_x11max_functorIxExEEDaPvRmT3_T4_T5_mT6_P12ihipStream_tbENKUlT_T0_E_clISt17integral_constantIbLb0EESU_EEDaSP_SQ_EUlSP_E_NS1_11comp_targetILNS1_3genE3ELNS1_11target_archE908ELNS1_3gpuE7ELNS1_3repE0EEENS1_30default_config_static_selectorELNS0_4arch9wavefront6targetE1EEEvT1_,comdat
	.protected	_ZN7rocprim17ROCPRIM_400000_NS6detail17trampoline_kernelINS0_14default_configENS1_20scan_config_selectorIxEEZZNS1_9scan_implILNS1_25lookback_scan_determinismE0ELb1ELb1ES3_N6thrust23THRUST_200600_302600_NS6detail15normal_iteratorINS9_10device_ptrIxEEEESE_x11max_functorIxExEEDaPvRmT3_T4_T5_mT6_P12ihipStream_tbENKUlT_T0_E_clISt17integral_constantIbLb0EESU_EEDaSP_SQ_EUlSP_E_NS1_11comp_targetILNS1_3genE3ELNS1_11target_archE908ELNS1_3gpuE7ELNS1_3repE0EEENS1_30default_config_static_selectorELNS0_4arch9wavefront6targetE1EEEvT1_ ; -- Begin function _ZN7rocprim17ROCPRIM_400000_NS6detail17trampoline_kernelINS0_14default_configENS1_20scan_config_selectorIxEEZZNS1_9scan_implILNS1_25lookback_scan_determinismE0ELb1ELb1ES3_N6thrust23THRUST_200600_302600_NS6detail15normal_iteratorINS9_10device_ptrIxEEEESE_x11max_functorIxExEEDaPvRmT3_T4_T5_mT6_P12ihipStream_tbENKUlT_T0_E_clISt17integral_constantIbLb0EESU_EEDaSP_SQ_EUlSP_E_NS1_11comp_targetILNS1_3genE3ELNS1_11target_archE908ELNS1_3gpuE7ELNS1_3repE0EEENS1_30default_config_static_selectorELNS0_4arch9wavefront6targetE1EEEvT1_
	.globl	_ZN7rocprim17ROCPRIM_400000_NS6detail17trampoline_kernelINS0_14default_configENS1_20scan_config_selectorIxEEZZNS1_9scan_implILNS1_25lookback_scan_determinismE0ELb1ELb1ES3_N6thrust23THRUST_200600_302600_NS6detail15normal_iteratorINS9_10device_ptrIxEEEESE_x11max_functorIxExEEDaPvRmT3_T4_T5_mT6_P12ihipStream_tbENKUlT_T0_E_clISt17integral_constantIbLb0EESU_EEDaSP_SQ_EUlSP_E_NS1_11comp_targetILNS1_3genE3ELNS1_11target_archE908ELNS1_3gpuE7ELNS1_3repE0EEENS1_30default_config_static_selectorELNS0_4arch9wavefront6targetE1EEEvT1_
	.p2align	8
	.type	_ZN7rocprim17ROCPRIM_400000_NS6detail17trampoline_kernelINS0_14default_configENS1_20scan_config_selectorIxEEZZNS1_9scan_implILNS1_25lookback_scan_determinismE0ELb1ELb1ES3_N6thrust23THRUST_200600_302600_NS6detail15normal_iteratorINS9_10device_ptrIxEEEESE_x11max_functorIxExEEDaPvRmT3_T4_T5_mT6_P12ihipStream_tbENKUlT_T0_E_clISt17integral_constantIbLb0EESU_EEDaSP_SQ_EUlSP_E_NS1_11comp_targetILNS1_3genE3ELNS1_11target_archE908ELNS1_3gpuE7ELNS1_3repE0EEENS1_30default_config_static_selectorELNS0_4arch9wavefront6targetE1EEEvT1_,@function
_ZN7rocprim17ROCPRIM_400000_NS6detail17trampoline_kernelINS0_14default_configENS1_20scan_config_selectorIxEEZZNS1_9scan_implILNS1_25lookback_scan_determinismE0ELb1ELb1ES3_N6thrust23THRUST_200600_302600_NS6detail15normal_iteratorINS9_10device_ptrIxEEEESE_x11max_functorIxExEEDaPvRmT3_T4_T5_mT6_P12ihipStream_tbENKUlT_T0_E_clISt17integral_constantIbLb0EESU_EEDaSP_SQ_EUlSP_E_NS1_11comp_targetILNS1_3genE3ELNS1_11target_archE908ELNS1_3gpuE7ELNS1_3repE0EEENS1_30default_config_static_selectorELNS0_4arch9wavefront6targetE1EEEvT1_: ; @_ZN7rocprim17ROCPRIM_400000_NS6detail17trampoline_kernelINS0_14default_configENS1_20scan_config_selectorIxEEZZNS1_9scan_implILNS1_25lookback_scan_determinismE0ELb1ELb1ES3_N6thrust23THRUST_200600_302600_NS6detail15normal_iteratorINS9_10device_ptrIxEEEESE_x11max_functorIxExEEDaPvRmT3_T4_T5_mT6_P12ihipStream_tbENKUlT_T0_E_clISt17integral_constantIbLb0EESU_EEDaSP_SQ_EUlSP_E_NS1_11comp_targetILNS1_3genE3ELNS1_11target_archE908ELNS1_3gpuE7ELNS1_3repE0EEENS1_30default_config_static_selectorELNS0_4arch9wavefront6targetE1EEEvT1_
; %bb.0:
	.section	.rodata,"a",@progbits
	.p2align	6, 0x0
	.amdhsa_kernel _ZN7rocprim17ROCPRIM_400000_NS6detail17trampoline_kernelINS0_14default_configENS1_20scan_config_selectorIxEEZZNS1_9scan_implILNS1_25lookback_scan_determinismE0ELb1ELb1ES3_N6thrust23THRUST_200600_302600_NS6detail15normal_iteratorINS9_10device_ptrIxEEEESE_x11max_functorIxExEEDaPvRmT3_T4_T5_mT6_P12ihipStream_tbENKUlT_T0_E_clISt17integral_constantIbLb0EESU_EEDaSP_SQ_EUlSP_E_NS1_11comp_targetILNS1_3genE3ELNS1_11target_archE908ELNS1_3gpuE7ELNS1_3repE0EEENS1_30default_config_static_selectorELNS0_4arch9wavefront6targetE1EEEvT1_
		.amdhsa_group_segment_fixed_size 0
		.amdhsa_private_segment_fixed_size 0
		.amdhsa_kernarg_size 104
		.amdhsa_user_sgpr_count 6
		.amdhsa_user_sgpr_private_segment_buffer 1
		.amdhsa_user_sgpr_dispatch_ptr 0
		.amdhsa_user_sgpr_queue_ptr 0
		.amdhsa_user_sgpr_kernarg_segment_ptr 1
		.amdhsa_user_sgpr_dispatch_id 0
		.amdhsa_user_sgpr_flat_scratch_init 0
		.amdhsa_user_sgpr_kernarg_preload_length 0
		.amdhsa_user_sgpr_kernarg_preload_offset 0
		.amdhsa_user_sgpr_private_segment_size 0
		.amdhsa_uses_dynamic_stack 0
		.amdhsa_system_sgpr_private_segment_wavefront_offset 0
		.amdhsa_system_sgpr_workgroup_id_x 1
		.amdhsa_system_sgpr_workgroup_id_y 0
		.amdhsa_system_sgpr_workgroup_id_z 0
		.amdhsa_system_sgpr_workgroup_info 0
		.amdhsa_system_vgpr_workitem_id 0
		.amdhsa_next_free_vgpr 1
		.amdhsa_next_free_sgpr 0
		.amdhsa_accum_offset 4
		.amdhsa_reserve_vcc 0
		.amdhsa_reserve_flat_scratch 0
		.amdhsa_float_round_mode_32 0
		.amdhsa_float_round_mode_16_64 0
		.amdhsa_float_denorm_mode_32 3
		.amdhsa_float_denorm_mode_16_64 3
		.amdhsa_dx10_clamp 1
		.amdhsa_ieee_mode 1
		.amdhsa_fp16_overflow 0
		.amdhsa_tg_split 0
		.amdhsa_exception_fp_ieee_invalid_op 0
		.amdhsa_exception_fp_denorm_src 0
		.amdhsa_exception_fp_ieee_div_zero 0
		.amdhsa_exception_fp_ieee_overflow 0
		.amdhsa_exception_fp_ieee_underflow 0
		.amdhsa_exception_fp_ieee_inexact 0
		.amdhsa_exception_int_div_zero 0
	.end_amdhsa_kernel
	.section	.text._ZN7rocprim17ROCPRIM_400000_NS6detail17trampoline_kernelINS0_14default_configENS1_20scan_config_selectorIxEEZZNS1_9scan_implILNS1_25lookback_scan_determinismE0ELb1ELb1ES3_N6thrust23THRUST_200600_302600_NS6detail15normal_iteratorINS9_10device_ptrIxEEEESE_x11max_functorIxExEEDaPvRmT3_T4_T5_mT6_P12ihipStream_tbENKUlT_T0_E_clISt17integral_constantIbLb0EESU_EEDaSP_SQ_EUlSP_E_NS1_11comp_targetILNS1_3genE3ELNS1_11target_archE908ELNS1_3gpuE7ELNS1_3repE0EEENS1_30default_config_static_selectorELNS0_4arch9wavefront6targetE1EEEvT1_,"axG",@progbits,_ZN7rocprim17ROCPRIM_400000_NS6detail17trampoline_kernelINS0_14default_configENS1_20scan_config_selectorIxEEZZNS1_9scan_implILNS1_25lookback_scan_determinismE0ELb1ELb1ES3_N6thrust23THRUST_200600_302600_NS6detail15normal_iteratorINS9_10device_ptrIxEEEESE_x11max_functorIxExEEDaPvRmT3_T4_T5_mT6_P12ihipStream_tbENKUlT_T0_E_clISt17integral_constantIbLb0EESU_EEDaSP_SQ_EUlSP_E_NS1_11comp_targetILNS1_3genE3ELNS1_11target_archE908ELNS1_3gpuE7ELNS1_3repE0EEENS1_30default_config_static_selectorELNS0_4arch9wavefront6targetE1EEEvT1_,comdat
.Lfunc_end2633:
	.size	_ZN7rocprim17ROCPRIM_400000_NS6detail17trampoline_kernelINS0_14default_configENS1_20scan_config_selectorIxEEZZNS1_9scan_implILNS1_25lookback_scan_determinismE0ELb1ELb1ES3_N6thrust23THRUST_200600_302600_NS6detail15normal_iteratorINS9_10device_ptrIxEEEESE_x11max_functorIxExEEDaPvRmT3_T4_T5_mT6_P12ihipStream_tbENKUlT_T0_E_clISt17integral_constantIbLb0EESU_EEDaSP_SQ_EUlSP_E_NS1_11comp_targetILNS1_3genE3ELNS1_11target_archE908ELNS1_3gpuE7ELNS1_3repE0EEENS1_30default_config_static_selectorELNS0_4arch9wavefront6targetE1EEEvT1_, .Lfunc_end2633-_ZN7rocprim17ROCPRIM_400000_NS6detail17trampoline_kernelINS0_14default_configENS1_20scan_config_selectorIxEEZZNS1_9scan_implILNS1_25lookback_scan_determinismE0ELb1ELb1ES3_N6thrust23THRUST_200600_302600_NS6detail15normal_iteratorINS9_10device_ptrIxEEEESE_x11max_functorIxExEEDaPvRmT3_T4_T5_mT6_P12ihipStream_tbENKUlT_T0_E_clISt17integral_constantIbLb0EESU_EEDaSP_SQ_EUlSP_E_NS1_11comp_targetILNS1_3genE3ELNS1_11target_archE908ELNS1_3gpuE7ELNS1_3repE0EEENS1_30default_config_static_selectorELNS0_4arch9wavefront6targetE1EEEvT1_
                                        ; -- End function
	.section	.AMDGPU.csdata,"",@progbits
; Kernel info:
; codeLenInByte = 0
; NumSgprs: 4
; NumVgprs: 0
; NumAgprs: 0
; TotalNumVgprs: 0
; ScratchSize: 0
; MemoryBound: 0
; FloatMode: 240
; IeeeMode: 1
; LDSByteSize: 0 bytes/workgroup (compile time only)
; SGPRBlocks: 0
; VGPRBlocks: 0
; NumSGPRsForWavesPerEU: 4
; NumVGPRsForWavesPerEU: 1
; AccumOffset: 4
; Occupancy: 8
; WaveLimiterHint : 0
; COMPUTE_PGM_RSRC2:SCRATCH_EN: 0
; COMPUTE_PGM_RSRC2:USER_SGPR: 6
; COMPUTE_PGM_RSRC2:TRAP_HANDLER: 0
; COMPUTE_PGM_RSRC2:TGID_X_EN: 1
; COMPUTE_PGM_RSRC2:TGID_Y_EN: 0
; COMPUTE_PGM_RSRC2:TGID_Z_EN: 0
; COMPUTE_PGM_RSRC2:TIDIG_COMP_CNT: 0
; COMPUTE_PGM_RSRC3_GFX90A:ACCUM_OFFSET: 0
; COMPUTE_PGM_RSRC3_GFX90A:TG_SPLIT: 0
	.section	.text._ZN7rocprim17ROCPRIM_400000_NS6detail17trampoline_kernelINS0_14default_configENS1_20scan_config_selectorIxEEZZNS1_9scan_implILNS1_25lookback_scan_determinismE0ELb1ELb1ES3_N6thrust23THRUST_200600_302600_NS6detail15normal_iteratorINS9_10device_ptrIxEEEESE_x11max_functorIxExEEDaPvRmT3_T4_T5_mT6_P12ihipStream_tbENKUlT_T0_E_clISt17integral_constantIbLb0EESU_EEDaSP_SQ_EUlSP_E_NS1_11comp_targetILNS1_3genE2ELNS1_11target_archE906ELNS1_3gpuE6ELNS1_3repE0EEENS1_30default_config_static_selectorELNS0_4arch9wavefront6targetE1EEEvT1_,"axG",@progbits,_ZN7rocprim17ROCPRIM_400000_NS6detail17trampoline_kernelINS0_14default_configENS1_20scan_config_selectorIxEEZZNS1_9scan_implILNS1_25lookback_scan_determinismE0ELb1ELb1ES3_N6thrust23THRUST_200600_302600_NS6detail15normal_iteratorINS9_10device_ptrIxEEEESE_x11max_functorIxExEEDaPvRmT3_T4_T5_mT6_P12ihipStream_tbENKUlT_T0_E_clISt17integral_constantIbLb0EESU_EEDaSP_SQ_EUlSP_E_NS1_11comp_targetILNS1_3genE2ELNS1_11target_archE906ELNS1_3gpuE6ELNS1_3repE0EEENS1_30default_config_static_selectorELNS0_4arch9wavefront6targetE1EEEvT1_,comdat
	.protected	_ZN7rocprim17ROCPRIM_400000_NS6detail17trampoline_kernelINS0_14default_configENS1_20scan_config_selectorIxEEZZNS1_9scan_implILNS1_25lookback_scan_determinismE0ELb1ELb1ES3_N6thrust23THRUST_200600_302600_NS6detail15normal_iteratorINS9_10device_ptrIxEEEESE_x11max_functorIxExEEDaPvRmT3_T4_T5_mT6_P12ihipStream_tbENKUlT_T0_E_clISt17integral_constantIbLb0EESU_EEDaSP_SQ_EUlSP_E_NS1_11comp_targetILNS1_3genE2ELNS1_11target_archE906ELNS1_3gpuE6ELNS1_3repE0EEENS1_30default_config_static_selectorELNS0_4arch9wavefront6targetE1EEEvT1_ ; -- Begin function _ZN7rocprim17ROCPRIM_400000_NS6detail17trampoline_kernelINS0_14default_configENS1_20scan_config_selectorIxEEZZNS1_9scan_implILNS1_25lookback_scan_determinismE0ELb1ELb1ES3_N6thrust23THRUST_200600_302600_NS6detail15normal_iteratorINS9_10device_ptrIxEEEESE_x11max_functorIxExEEDaPvRmT3_T4_T5_mT6_P12ihipStream_tbENKUlT_T0_E_clISt17integral_constantIbLb0EESU_EEDaSP_SQ_EUlSP_E_NS1_11comp_targetILNS1_3genE2ELNS1_11target_archE906ELNS1_3gpuE6ELNS1_3repE0EEENS1_30default_config_static_selectorELNS0_4arch9wavefront6targetE1EEEvT1_
	.globl	_ZN7rocprim17ROCPRIM_400000_NS6detail17trampoline_kernelINS0_14default_configENS1_20scan_config_selectorIxEEZZNS1_9scan_implILNS1_25lookback_scan_determinismE0ELb1ELb1ES3_N6thrust23THRUST_200600_302600_NS6detail15normal_iteratorINS9_10device_ptrIxEEEESE_x11max_functorIxExEEDaPvRmT3_T4_T5_mT6_P12ihipStream_tbENKUlT_T0_E_clISt17integral_constantIbLb0EESU_EEDaSP_SQ_EUlSP_E_NS1_11comp_targetILNS1_3genE2ELNS1_11target_archE906ELNS1_3gpuE6ELNS1_3repE0EEENS1_30default_config_static_selectorELNS0_4arch9wavefront6targetE1EEEvT1_
	.p2align	8
	.type	_ZN7rocprim17ROCPRIM_400000_NS6detail17trampoline_kernelINS0_14default_configENS1_20scan_config_selectorIxEEZZNS1_9scan_implILNS1_25lookback_scan_determinismE0ELb1ELb1ES3_N6thrust23THRUST_200600_302600_NS6detail15normal_iteratorINS9_10device_ptrIxEEEESE_x11max_functorIxExEEDaPvRmT3_T4_T5_mT6_P12ihipStream_tbENKUlT_T0_E_clISt17integral_constantIbLb0EESU_EEDaSP_SQ_EUlSP_E_NS1_11comp_targetILNS1_3genE2ELNS1_11target_archE906ELNS1_3gpuE6ELNS1_3repE0EEENS1_30default_config_static_selectorELNS0_4arch9wavefront6targetE1EEEvT1_,@function
_ZN7rocprim17ROCPRIM_400000_NS6detail17trampoline_kernelINS0_14default_configENS1_20scan_config_selectorIxEEZZNS1_9scan_implILNS1_25lookback_scan_determinismE0ELb1ELb1ES3_N6thrust23THRUST_200600_302600_NS6detail15normal_iteratorINS9_10device_ptrIxEEEESE_x11max_functorIxExEEDaPvRmT3_T4_T5_mT6_P12ihipStream_tbENKUlT_T0_E_clISt17integral_constantIbLb0EESU_EEDaSP_SQ_EUlSP_E_NS1_11comp_targetILNS1_3genE2ELNS1_11target_archE906ELNS1_3gpuE6ELNS1_3repE0EEENS1_30default_config_static_selectorELNS0_4arch9wavefront6targetE1EEEvT1_: ; @_ZN7rocprim17ROCPRIM_400000_NS6detail17trampoline_kernelINS0_14default_configENS1_20scan_config_selectorIxEEZZNS1_9scan_implILNS1_25lookback_scan_determinismE0ELb1ELb1ES3_N6thrust23THRUST_200600_302600_NS6detail15normal_iteratorINS9_10device_ptrIxEEEESE_x11max_functorIxExEEDaPvRmT3_T4_T5_mT6_P12ihipStream_tbENKUlT_T0_E_clISt17integral_constantIbLb0EESU_EEDaSP_SQ_EUlSP_E_NS1_11comp_targetILNS1_3genE2ELNS1_11target_archE906ELNS1_3gpuE6ELNS1_3repE0EEENS1_30default_config_static_selectorELNS0_4arch9wavefront6targetE1EEEvT1_
; %bb.0:
	.section	.rodata,"a",@progbits
	.p2align	6, 0x0
	.amdhsa_kernel _ZN7rocprim17ROCPRIM_400000_NS6detail17trampoline_kernelINS0_14default_configENS1_20scan_config_selectorIxEEZZNS1_9scan_implILNS1_25lookback_scan_determinismE0ELb1ELb1ES3_N6thrust23THRUST_200600_302600_NS6detail15normal_iteratorINS9_10device_ptrIxEEEESE_x11max_functorIxExEEDaPvRmT3_T4_T5_mT6_P12ihipStream_tbENKUlT_T0_E_clISt17integral_constantIbLb0EESU_EEDaSP_SQ_EUlSP_E_NS1_11comp_targetILNS1_3genE2ELNS1_11target_archE906ELNS1_3gpuE6ELNS1_3repE0EEENS1_30default_config_static_selectorELNS0_4arch9wavefront6targetE1EEEvT1_
		.amdhsa_group_segment_fixed_size 0
		.amdhsa_private_segment_fixed_size 0
		.amdhsa_kernarg_size 104
		.amdhsa_user_sgpr_count 6
		.amdhsa_user_sgpr_private_segment_buffer 1
		.amdhsa_user_sgpr_dispatch_ptr 0
		.amdhsa_user_sgpr_queue_ptr 0
		.amdhsa_user_sgpr_kernarg_segment_ptr 1
		.amdhsa_user_sgpr_dispatch_id 0
		.amdhsa_user_sgpr_flat_scratch_init 0
		.amdhsa_user_sgpr_kernarg_preload_length 0
		.amdhsa_user_sgpr_kernarg_preload_offset 0
		.amdhsa_user_sgpr_private_segment_size 0
		.amdhsa_uses_dynamic_stack 0
		.amdhsa_system_sgpr_private_segment_wavefront_offset 0
		.amdhsa_system_sgpr_workgroup_id_x 1
		.amdhsa_system_sgpr_workgroup_id_y 0
		.amdhsa_system_sgpr_workgroup_id_z 0
		.amdhsa_system_sgpr_workgroup_info 0
		.amdhsa_system_vgpr_workitem_id 0
		.amdhsa_next_free_vgpr 1
		.amdhsa_next_free_sgpr 0
		.amdhsa_accum_offset 4
		.amdhsa_reserve_vcc 0
		.amdhsa_reserve_flat_scratch 0
		.amdhsa_float_round_mode_32 0
		.amdhsa_float_round_mode_16_64 0
		.amdhsa_float_denorm_mode_32 3
		.amdhsa_float_denorm_mode_16_64 3
		.amdhsa_dx10_clamp 1
		.amdhsa_ieee_mode 1
		.amdhsa_fp16_overflow 0
		.amdhsa_tg_split 0
		.amdhsa_exception_fp_ieee_invalid_op 0
		.amdhsa_exception_fp_denorm_src 0
		.amdhsa_exception_fp_ieee_div_zero 0
		.amdhsa_exception_fp_ieee_overflow 0
		.amdhsa_exception_fp_ieee_underflow 0
		.amdhsa_exception_fp_ieee_inexact 0
		.amdhsa_exception_int_div_zero 0
	.end_amdhsa_kernel
	.section	.text._ZN7rocprim17ROCPRIM_400000_NS6detail17trampoline_kernelINS0_14default_configENS1_20scan_config_selectorIxEEZZNS1_9scan_implILNS1_25lookback_scan_determinismE0ELb1ELb1ES3_N6thrust23THRUST_200600_302600_NS6detail15normal_iteratorINS9_10device_ptrIxEEEESE_x11max_functorIxExEEDaPvRmT3_T4_T5_mT6_P12ihipStream_tbENKUlT_T0_E_clISt17integral_constantIbLb0EESU_EEDaSP_SQ_EUlSP_E_NS1_11comp_targetILNS1_3genE2ELNS1_11target_archE906ELNS1_3gpuE6ELNS1_3repE0EEENS1_30default_config_static_selectorELNS0_4arch9wavefront6targetE1EEEvT1_,"axG",@progbits,_ZN7rocprim17ROCPRIM_400000_NS6detail17trampoline_kernelINS0_14default_configENS1_20scan_config_selectorIxEEZZNS1_9scan_implILNS1_25lookback_scan_determinismE0ELb1ELb1ES3_N6thrust23THRUST_200600_302600_NS6detail15normal_iteratorINS9_10device_ptrIxEEEESE_x11max_functorIxExEEDaPvRmT3_T4_T5_mT6_P12ihipStream_tbENKUlT_T0_E_clISt17integral_constantIbLb0EESU_EEDaSP_SQ_EUlSP_E_NS1_11comp_targetILNS1_3genE2ELNS1_11target_archE906ELNS1_3gpuE6ELNS1_3repE0EEENS1_30default_config_static_selectorELNS0_4arch9wavefront6targetE1EEEvT1_,comdat
.Lfunc_end2634:
	.size	_ZN7rocprim17ROCPRIM_400000_NS6detail17trampoline_kernelINS0_14default_configENS1_20scan_config_selectorIxEEZZNS1_9scan_implILNS1_25lookback_scan_determinismE0ELb1ELb1ES3_N6thrust23THRUST_200600_302600_NS6detail15normal_iteratorINS9_10device_ptrIxEEEESE_x11max_functorIxExEEDaPvRmT3_T4_T5_mT6_P12ihipStream_tbENKUlT_T0_E_clISt17integral_constantIbLb0EESU_EEDaSP_SQ_EUlSP_E_NS1_11comp_targetILNS1_3genE2ELNS1_11target_archE906ELNS1_3gpuE6ELNS1_3repE0EEENS1_30default_config_static_selectorELNS0_4arch9wavefront6targetE1EEEvT1_, .Lfunc_end2634-_ZN7rocprim17ROCPRIM_400000_NS6detail17trampoline_kernelINS0_14default_configENS1_20scan_config_selectorIxEEZZNS1_9scan_implILNS1_25lookback_scan_determinismE0ELb1ELb1ES3_N6thrust23THRUST_200600_302600_NS6detail15normal_iteratorINS9_10device_ptrIxEEEESE_x11max_functorIxExEEDaPvRmT3_T4_T5_mT6_P12ihipStream_tbENKUlT_T0_E_clISt17integral_constantIbLb0EESU_EEDaSP_SQ_EUlSP_E_NS1_11comp_targetILNS1_3genE2ELNS1_11target_archE906ELNS1_3gpuE6ELNS1_3repE0EEENS1_30default_config_static_selectorELNS0_4arch9wavefront6targetE1EEEvT1_
                                        ; -- End function
	.section	.AMDGPU.csdata,"",@progbits
; Kernel info:
; codeLenInByte = 0
; NumSgprs: 4
; NumVgprs: 0
; NumAgprs: 0
; TotalNumVgprs: 0
; ScratchSize: 0
; MemoryBound: 0
; FloatMode: 240
; IeeeMode: 1
; LDSByteSize: 0 bytes/workgroup (compile time only)
; SGPRBlocks: 0
; VGPRBlocks: 0
; NumSGPRsForWavesPerEU: 4
; NumVGPRsForWavesPerEU: 1
; AccumOffset: 4
; Occupancy: 8
; WaveLimiterHint : 0
; COMPUTE_PGM_RSRC2:SCRATCH_EN: 0
; COMPUTE_PGM_RSRC2:USER_SGPR: 6
; COMPUTE_PGM_RSRC2:TRAP_HANDLER: 0
; COMPUTE_PGM_RSRC2:TGID_X_EN: 1
; COMPUTE_PGM_RSRC2:TGID_Y_EN: 0
; COMPUTE_PGM_RSRC2:TGID_Z_EN: 0
; COMPUTE_PGM_RSRC2:TIDIG_COMP_CNT: 0
; COMPUTE_PGM_RSRC3_GFX90A:ACCUM_OFFSET: 0
; COMPUTE_PGM_RSRC3_GFX90A:TG_SPLIT: 0
	.section	.text._ZN7rocprim17ROCPRIM_400000_NS6detail17trampoline_kernelINS0_14default_configENS1_20scan_config_selectorIxEEZZNS1_9scan_implILNS1_25lookback_scan_determinismE0ELb1ELb1ES3_N6thrust23THRUST_200600_302600_NS6detail15normal_iteratorINS9_10device_ptrIxEEEESE_x11max_functorIxExEEDaPvRmT3_T4_T5_mT6_P12ihipStream_tbENKUlT_T0_E_clISt17integral_constantIbLb0EESU_EEDaSP_SQ_EUlSP_E_NS1_11comp_targetILNS1_3genE10ELNS1_11target_archE1201ELNS1_3gpuE5ELNS1_3repE0EEENS1_30default_config_static_selectorELNS0_4arch9wavefront6targetE1EEEvT1_,"axG",@progbits,_ZN7rocprim17ROCPRIM_400000_NS6detail17trampoline_kernelINS0_14default_configENS1_20scan_config_selectorIxEEZZNS1_9scan_implILNS1_25lookback_scan_determinismE0ELb1ELb1ES3_N6thrust23THRUST_200600_302600_NS6detail15normal_iteratorINS9_10device_ptrIxEEEESE_x11max_functorIxExEEDaPvRmT3_T4_T5_mT6_P12ihipStream_tbENKUlT_T0_E_clISt17integral_constantIbLb0EESU_EEDaSP_SQ_EUlSP_E_NS1_11comp_targetILNS1_3genE10ELNS1_11target_archE1201ELNS1_3gpuE5ELNS1_3repE0EEENS1_30default_config_static_selectorELNS0_4arch9wavefront6targetE1EEEvT1_,comdat
	.protected	_ZN7rocprim17ROCPRIM_400000_NS6detail17trampoline_kernelINS0_14default_configENS1_20scan_config_selectorIxEEZZNS1_9scan_implILNS1_25lookback_scan_determinismE0ELb1ELb1ES3_N6thrust23THRUST_200600_302600_NS6detail15normal_iteratorINS9_10device_ptrIxEEEESE_x11max_functorIxExEEDaPvRmT3_T4_T5_mT6_P12ihipStream_tbENKUlT_T0_E_clISt17integral_constantIbLb0EESU_EEDaSP_SQ_EUlSP_E_NS1_11comp_targetILNS1_3genE10ELNS1_11target_archE1201ELNS1_3gpuE5ELNS1_3repE0EEENS1_30default_config_static_selectorELNS0_4arch9wavefront6targetE1EEEvT1_ ; -- Begin function _ZN7rocprim17ROCPRIM_400000_NS6detail17trampoline_kernelINS0_14default_configENS1_20scan_config_selectorIxEEZZNS1_9scan_implILNS1_25lookback_scan_determinismE0ELb1ELb1ES3_N6thrust23THRUST_200600_302600_NS6detail15normal_iteratorINS9_10device_ptrIxEEEESE_x11max_functorIxExEEDaPvRmT3_T4_T5_mT6_P12ihipStream_tbENKUlT_T0_E_clISt17integral_constantIbLb0EESU_EEDaSP_SQ_EUlSP_E_NS1_11comp_targetILNS1_3genE10ELNS1_11target_archE1201ELNS1_3gpuE5ELNS1_3repE0EEENS1_30default_config_static_selectorELNS0_4arch9wavefront6targetE1EEEvT1_
	.globl	_ZN7rocprim17ROCPRIM_400000_NS6detail17trampoline_kernelINS0_14default_configENS1_20scan_config_selectorIxEEZZNS1_9scan_implILNS1_25lookback_scan_determinismE0ELb1ELb1ES3_N6thrust23THRUST_200600_302600_NS6detail15normal_iteratorINS9_10device_ptrIxEEEESE_x11max_functorIxExEEDaPvRmT3_T4_T5_mT6_P12ihipStream_tbENKUlT_T0_E_clISt17integral_constantIbLb0EESU_EEDaSP_SQ_EUlSP_E_NS1_11comp_targetILNS1_3genE10ELNS1_11target_archE1201ELNS1_3gpuE5ELNS1_3repE0EEENS1_30default_config_static_selectorELNS0_4arch9wavefront6targetE1EEEvT1_
	.p2align	8
	.type	_ZN7rocprim17ROCPRIM_400000_NS6detail17trampoline_kernelINS0_14default_configENS1_20scan_config_selectorIxEEZZNS1_9scan_implILNS1_25lookback_scan_determinismE0ELb1ELb1ES3_N6thrust23THRUST_200600_302600_NS6detail15normal_iteratorINS9_10device_ptrIxEEEESE_x11max_functorIxExEEDaPvRmT3_T4_T5_mT6_P12ihipStream_tbENKUlT_T0_E_clISt17integral_constantIbLb0EESU_EEDaSP_SQ_EUlSP_E_NS1_11comp_targetILNS1_3genE10ELNS1_11target_archE1201ELNS1_3gpuE5ELNS1_3repE0EEENS1_30default_config_static_selectorELNS0_4arch9wavefront6targetE1EEEvT1_,@function
_ZN7rocprim17ROCPRIM_400000_NS6detail17trampoline_kernelINS0_14default_configENS1_20scan_config_selectorIxEEZZNS1_9scan_implILNS1_25lookback_scan_determinismE0ELb1ELb1ES3_N6thrust23THRUST_200600_302600_NS6detail15normal_iteratorINS9_10device_ptrIxEEEESE_x11max_functorIxExEEDaPvRmT3_T4_T5_mT6_P12ihipStream_tbENKUlT_T0_E_clISt17integral_constantIbLb0EESU_EEDaSP_SQ_EUlSP_E_NS1_11comp_targetILNS1_3genE10ELNS1_11target_archE1201ELNS1_3gpuE5ELNS1_3repE0EEENS1_30default_config_static_selectorELNS0_4arch9wavefront6targetE1EEEvT1_: ; @_ZN7rocprim17ROCPRIM_400000_NS6detail17trampoline_kernelINS0_14default_configENS1_20scan_config_selectorIxEEZZNS1_9scan_implILNS1_25lookback_scan_determinismE0ELb1ELb1ES3_N6thrust23THRUST_200600_302600_NS6detail15normal_iteratorINS9_10device_ptrIxEEEESE_x11max_functorIxExEEDaPvRmT3_T4_T5_mT6_P12ihipStream_tbENKUlT_T0_E_clISt17integral_constantIbLb0EESU_EEDaSP_SQ_EUlSP_E_NS1_11comp_targetILNS1_3genE10ELNS1_11target_archE1201ELNS1_3gpuE5ELNS1_3repE0EEENS1_30default_config_static_selectorELNS0_4arch9wavefront6targetE1EEEvT1_
; %bb.0:
	.section	.rodata,"a",@progbits
	.p2align	6, 0x0
	.amdhsa_kernel _ZN7rocprim17ROCPRIM_400000_NS6detail17trampoline_kernelINS0_14default_configENS1_20scan_config_selectorIxEEZZNS1_9scan_implILNS1_25lookback_scan_determinismE0ELb1ELb1ES3_N6thrust23THRUST_200600_302600_NS6detail15normal_iteratorINS9_10device_ptrIxEEEESE_x11max_functorIxExEEDaPvRmT3_T4_T5_mT6_P12ihipStream_tbENKUlT_T0_E_clISt17integral_constantIbLb0EESU_EEDaSP_SQ_EUlSP_E_NS1_11comp_targetILNS1_3genE10ELNS1_11target_archE1201ELNS1_3gpuE5ELNS1_3repE0EEENS1_30default_config_static_selectorELNS0_4arch9wavefront6targetE1EEEvT1_
		.amdhsa_group_segment_fixed_size 0
		.amdhsa_private_segment_fixed_size 0
		.amdhsa_kernarg_size 104
		.amdhsa_user_sgpr_count 6
		.amdhsa_user_sgpr_private_segment_buffer 1
		.amdhsa_user_sgpr_dispatch_ptr 0
		.amdhsa_user_sgpr_queue_ptr 0
		.amdhsa_user_sgpr_kernarg_segment_ptr 1
		.amdhsa_user_sgpr_dispatch_id 0
		.amdhsa_user_sgpr_flat_scratch_init 0
		.amdhsa_user_sgpr_kernarg_preload_length 0
		.amdhsa_user_sgpr_kernarg_preload_offset 0
		.amdhsa_user_sgpr_private_segment_size 0
		.amdhsa_uses_dynamic_stack 0
		.amdhsa_system_sgpr_private_segment_wavefront_offset 0
		.amdhsa_system_sgpr_workgroup_id_x 1
		.amdhsa_system_sgpr_workgroup_id_y 0
		.amdhsa_system_sgpr_workgroup_id_z 0
		.amdhsa_system_sgpr_workgroup_info 0
		.amdhsa_system_vgpr_workitem_id 0
		.amdhsa_next_free_vgpr 1
		.amdhsa_next_free_sgpr 0
		.amdhsa_accum_offset 4
		.amdhsa_reserve_vcc 0
		.amdhsa_reserve_flat_scratch 0
		.amdhsa_float_round_mode_32 0
		.amdhsa_float_round_mode_16_64 0
		.amdhsa_float_denorm_mode_32 3
		.amdhsa_float_denorm_mode_16_64 3
		.amdhsa_dx10_clamp 1
		.amdhsa_ieee_mode 1
		.amdhsa_fp16_overflow 0
		.amdhsa_tg_split 0
		.amdhsa_exception_fp_ieee_invalid_op 0
		.amdhsa_exception_fp_denorm_src 0
		.amdhsa_exception_fp_ieee_div_zero 0
		.amdhsa_exception_fp_ieee_overflow 0
		.amdhsa_exception_fp_ieee_underflow 0
		.amdhsa_exception_fp_ieee_inexact 0
		.amdhsa_exception_int_div_zero 0
	.end_amdhsa_kernel
	.section	.text._ZN7rocprim17ROCPRIM_400000_NS6detail17trampoline_kernelINS0_14default_configENS1_20scan_config_selectorIxEEZZNS1_9scan_implILNS1_25lookback_scan_determinismE0ELb1ELb1ES3_N6thrust23THRUST_200600_302600_NS6detail15normal_iteratorINS9_10device_ptrIxEEEESE_x11max_functorIxExEEDaPvRmT3_T4_T5_mT6_P12ihipStream_tbENKUlT_T0_E_clISt17integral_constantIbLb0EESU_EEDaSP_SQ_EUlSP_E_NS1_11comp_targetILNS1_3genE10ELNS1_11target_archE1201ELNS1_3gpuE5ELNS1_3repE0EEENS1_30default_config_static_selectorELNS0_4arch9wavefront6targetE1EEEvT1_,"axG",@progbits,_ZN7rocprim17ROCPRIM_400000_NS6detail17trampoline_kernelINS0_14default_configENS1_20scan_config_selectorIxEEZZNS1_9scan_implILNS1_25lookback_scan_determinismE0ELb1ELb1ES3_N6thrust23THRUST_200600_302600_NS6detail15normal_iteratorINS9_10device_ptrIxEEEESE_x11max_functorIxExEEDaPvRmT3_T4_T5_mT6_P12ihipStream_tbENKUlT_T0_E_clISt17integral_constantIbLb0EESU_EEDaSP_SQ_EUlSP_E_NS1_11comp_targetILNS1_3genE10ELNS1_11target_archE1201ELNS1_3gpuE5ELNS1_3repE0EEENS1_30default_config_static_selectorELNS0_4arch9wavefront6targetE1EEEvT1_,comdat
.Lfunc_end2635:
	.size	_ZN7rocprim17ROCPRIM_400000_NS6detail17trampoline_kernelINS0_14default_configENS1_20scan_config_selectorIxEEZZNS1_9scan_implILNS1_25lookback_scan_determinismE0ELb1ELb1ES3_N6thrust23THRUST_200600_302600_NS6detail15normal_iteratorINS9_10device_ptrIxEEEESE_x11max_functorIxExEEDaPvRmT3_T4_T5_mT6_P12ihipStream_tbENKUlT_T0_E_clISt17integral_constantIbLb0EESU_EEDaSP_SQ_EUlSP_E_NS1_11comp_targetILNS1_3genE10ELNS1_11target_archE1201ELNS1_3gpuE5ELNS1_3repE0EEENS1_30default_config_static_selectorELNS0_4arch9wavefront6targetE1EEEvT1_, .Lfunc_end2635-_ZN7rocprim17ROCPRIM_400000_NS6detail17trampoline_kernelINS0_14default_configENS1_20scan_config_selectorIxEEZZNS1_9scan_implILNS1_25lookback_scan_determinismE0ELb1ELb1ES3_N6thrust23THRUST_200600_302600_NS6detail15normal_iteratorINS9_10device_ptrIxEEEESE_x11max_functorIxExEEDaPvRmT3_T4_T5_mT6_P12ihipStream_tbENKUlT_T0_E_clISt17integral_constantIbLb0EESU_EEDaSP_SQ_EUlSP_E_NS1_11comp_targetILNS1_3genE10ELNS1_11target_archE1201ELNS1_3gpuE5ELNS1_3repE0EEENS1_30default_config_static_selectorELNS0_4arch9wavefront6targetE1EEEvT1_
                                        ; -- End function
	.section	.AMDGPU.csdata,"",@progbits
; Kernel info:
; codeLenInByte = 0
; NumSgprs: 4
; NumVgprs: 0
; NumAgprs: 0
; TotalNumVgprs: 0
; ScratchSize: 0
; MemoryBound: 0
; FloatMode: 240
; IeeeMode: 1
; LDSByteSize: 0 bytes/workgroup (compile time only)
; SGPRBlocks: 0
; VGPRBlocks: 0
; NumSGPRsForWavesPerEU: 4
; NumVGPRsForWavesPerEU: 1
; AccumOffset: 4
; Occupancy: 8
; WaveLimiterHint : 0
; COMPUTE_PGM_RSRC2:SCRATCH_EN: 0
; COMPUTE_PGM_RSRC2:USER_SGPR: 6
; COMPUTE_PGM_RSRC2:TRAP_HANDLER: 0
; COMPUTE_PGM_RSRC2:TGID_X_EN: 1
; COMPUTE_PGM_RSRC2:TGID_Y_EN: 0
; COMPUTE_PGM_RSRC2:TGID_Z_EN: 0
; COMPUTE_PGM_RSRC2:TIDIG_COMP_CNT: 0
; COMPUTE_PGM_RSRC3_GFX90A:ACCUM_OFFSET: 0
; COMPUTE_PGM_RSRC3_GFX90A:TG_SPLIT: 0
	.section	.text._ZN7rocprim17ROCPRIM_400000_NS6detail17trampoline_kernelINS0_14default_configENS1_20scan_config_selectorIxEEZZNS1_9scan_implILNS1_25lookback_scan_determinismE0ELb1ELb1ES3_N6thrust23THRUST_200600_302600_NS6detail15normal_iteratorINS9_10device_ptrIxEEEESE_x11max_functorIxExEEDaPvRmT3_T4_T5_mT6_P12ihipStream_tbENKUlT_T0_E_clISt17integral_constantIbLb0EESU_EEDaSP_SQ_EUlSP_E_NS1_11comp_targetILNS1_3genE10ELNS1_11target_archE1200ELNS1_3gpuE4ELNS1_3repE0EEENS1_30default_config_static_selectorELNS0_4arch9wavefront6targetE1EEEvT1_,"axG",@progbits,_ZN7rocprim17ROCPRIM_400000_NS6detail17trampoline_kernelINS0_14default_configENS1_20scan_config_selectorIxEEZZNS1_9scan_implILNS1_25lookback_scan_determinismE0ELb1ELb1ES3_N6thrust23THRUST_200600_302600_NS6detail15normal_iteratorINS9_10device_ptrIxEEEESE_x11max_functorIxExEEDaPvRmT3_T4_T5_mT6_P12ihipStream_tbENKUlT_T0_E_clISt17integral_constantIbLb0EESU_EEDaSP_SQ_EUlSP_E_NS1_11comp_targetILNS1_3genE10ELNS1_11target_archE1200ELNS1_3gpuE4ELNS1_3repE0EEENS1_30default_config_static_selectorELNS0_4arch9wavefront6targetE1EEEvT1_,comdat
	.protected	_ZN7rocprim17ROCPRIM_400000_NS6detail17trampoline_kernelINS0_14default_configENS1_20scan_config_selectorIxEEZZNS1_9scan_implILNS1_25lookback_scan_determinismE0ELb1ELb1ES3_N6thrust23THRUST_200600_302600_NS6detail15normal_iteratorINS9_10device_ptrIxEEEESE_x11max_functorIxExEEDaPvRmT3_T4_T5_mT6_P12ihipStream_tbENKUlT_T0_E_clISt17integral_constantIbLb0EESU_EEDaSP_SQ_EUlSP_E_NS1_11comp_targetILNS1_3genE10ELNS1_11target_archE1200ELNS1_3gpuE4ELNS1_3repE0EEENS1_30default_config_static_selectorELNS0_4arch9wavefront6targetE1EEEvT1_ ; -- Begin function _ZN7rocprim17ROCPRIM_400000_NS6detail17trampoline_kernelINS0_14default_configENS1_20scan_config_selectorIxEEZZNS1_9scan_implILNS1_25lookback_scan_determinismE0ELb1ELb1ES3_N6thrust23THRUST_200600_302600_NS6detail15normal_iteratorINS9_10device_ptrIxEEEESE_x11max_functorIxExEEDaPvRmT3_T4_T5_mT6_P12ihipStream_tbENKUlT_T0_E_clISt17integral_constantIbLb0EESU_EEDaSP_SQ_EUlSP_E_NS1_11comp_targetILNS1_3genE10ELNS1_11target_archE1200ELNS1_3gpuE4ELNS1_3repE0EEENS1_30default_config_static_selectorELNS0_4arch9wavefront6targetE1EEEvT1_
	.globl	_ZN7rocprim17ROCPRIM_400000_NS6detail17trampoline_kernelINS0_14default_configENS1_20scan_config_selectorIxEEZZNS1_9scan_implILNS1_25lookback_scan_determinismE0ELb1ELb1ES3_N6thrust23THRUST_200600_302600_NS6detail15normal_iteratorINS9_10device_ptrIxEEEESE_x11max_functorIxExEEDaPvRmT3_T4_T5_mT6_P12ihipStream_tbENKUlT_T0_E_clISt17integral_constantIbLb0EESU_EEDaSP_SQ_EUlSP_E_NS1_11comp_targetILNS1_3genE10ELNS1_11target_archE1200ELNS1_3gpuE4ELNS1_3repE0EEENS1_30default_config_static_selectorELNS0_4arch9wavefront6targetE1EEEvT1_
	.p2align	8
	.type	_ZN7rocprim17ROCPRIM_400000_NS6detail17trampoline_kernelINS0_14default_configENS1_20scan_config_selectorIxEEZZNS1_9scan_implILNS1_25lookback_scan_determinismE0ELb1ELb1ES3_N6thrust23THRUST_200600_302600_NS6detail15normal_iteratorINS9_10device_ptrIxEEEESE_x11max_functorIxExEEDaPvRmT3_T4_T5_mT6_P12ihipStream_tbENKUlT_T0_E_clISt17integral_constantIbLb0EESU_EEDaSP_SQ_EUlSP_E_NS1_11comp_targetILNS1_3genE10ELNS1_11target_archE1200ELNS1_3gpuE4ELNS1_3repE0EEENS1_30default_config_static_selectorELNS0_4arch9wavefront6targetE1EEEvT1_,@function
_ZN7rocprim17ROCPRIM_400000_NS6detail17trampoline_kernelINS0_14default_configENS1_20scan_config_selectorIxEEZZNS1_9scan_implILNS1_25lookback_scan_determinismE0ELb1ELb1ES3_N6thrust23THRUST_200600_302600_NS6detail15normal_iteratorINS9_10device_ptrIxEEEESE_x11max_functorIxExEEDaPvRmT3_T4_T5_mT6_P12ihipStream_tbENKUlT_T0_E_clISt17integral_constantIbLb0EESU_EEDaSP_SQ_EUlSP_E_NS1_11comp_targetILNS1_3genE10ELNS1_11target_archE1200ELNS1_3gpuE4ELNS1_3repE0EEENS1_30default_config_static_selectorELNS0_4arch9wavefront6targetE1EEEvT1_: ; @_ZN7rocprim17ROCPRIM_400000_NS6detail17trampoline_kernelINS0_14default_configENS1_20scan_config_selectorIxEEZZNS1_9scan_implILNS1_25lookback_scan_determinismE0ELb1ELb1ES3_N6thrust23THRUST_200600_302600_NS6detail15normal_iteratorINS9_10device_ptrIxEEEESE_x11max_functorIxExEEDaPvRmT3_T4_T5_mT6_P12ihipStream_tbENKUlT_T0_E_clISt17integral_constantIbLb0EESU_EEDaSP_SQ_EUlSP_E_NS1_11comp_targetILNS1_3genE10ELNS1_11target_archE1200ELNS1_3gpuE4ELNS1_3repE0EEENS1_30default_config_static_selectorELNS0_4arch9wavefront6targetE1EEEvT1_
; %bb.0:
	.section	.rodata,"a",@progbits
	.p2align	6, 0x0
	.amdhsa_kernel _ZN7rocprim17ROCPRIM_400000_NS6detail17trampoline_kernelINS0_14default_configENS1_20scan_config_selectorIxEEZZNS1_9scan_implILNS1_25lookback_scan_determinismE0ELb1ELb1ES3_N6thrust23THRUST_200600_302600_NS6detail15normal_iteratorINS9_10device_ptrIxEEEESE_x11max_functorIxExEEDaPvRmT3_T4_T5_mT6_P12ihipStream_tbENKUlT_T0_E_clISt17integral_constantIbLb0EESU_EEDaSP_SQ_EUlSP_E_NS1_11comp_targetILNS1_3genE10ELNS1_11target_archE1200ELNS1_3gpuE4ELNS1_3repE0EEENS1_30default_config_static_selectorELNS0_4arch9wavefront6targetE1EEEvT1_
		.amdhsa_group_segment_fixed_size 0
		.amdhsa_private_segment_fixed_size 0
		.amdhsa_kernarg_size 104
		.amdhsa_user_sgpr_count 6
		.amdhsa_user_sgpr_private_segment_buffer 1
		.amdhsa_user_sgpr_dispatch_ptr 0
		.amdhsa_user_sgpr_queue_ptr 0
		.amdhsa_user_sgpr_kernarg_segment_ptr 1
		.amdhsa_user_sgpr_dispatch_id 0
		.amdhsa_user_sgpr_flat_scratch_init 0
		.amdhsa_user_sgpr_kernarg_preload_length 0
		.amdhsa_user_sgpr_kernarg_preload_offset 0
		.amdhsa_user_sgpr_private_segment_size 0
		.amdhsa_uses_dynamic_stack 0
		.amdhsa_system_sgpr_private_segment_wavefront_offset 0
		.amdhsa_system_sgpr_workgroup_id_x 1
		.amdhsa_system_sgpr_workgroup_id_y 0
		.amdhsa_system_sgpr_workgroup_id_z 0
		.amdhsa_system_sgpr_workgroup_info 0
		.amdhsa_system_vgpr_workitem_id 0
		.amdhsa_next_free_vgpr 1
		.amdhsa_next_free_sgpr 0
		.amdhsa_accum_offset 4
		.amdhsa_reserve_vcc 0
		.amdhsa_reserve_flat_scratch 0
		.amdhsa_float_round_mode_32 0
		.amdhsa_float_round_mode_16_64 0
		.amdhsa_float_denorm_mode_32 3
		.amdhsa_float_denorm_mode_16_64 3
		.amdhsa_dx10_clamp 1
		.amdhsa_ieee_mode 1
		.amdhsa_fp16_overflow 0
		.amdhsa_tg_split 0
		.amdhsa_exception_fp_ieee_invalid_op 0
		.amdhsa_exception_fp_denorm_src 0
		.amdhsa_exception_fp_ieee_div_zero 0
		.amdhsa_exception_fp_ieee_overflow 0
		.amdhsa_exception_fp_ieee_underflow 0
		.amdhsa_exception_fp_ieee_inexact 0
		.amdhsa_exception_int_div_zero 0
	.end_amdhsa_kernel
	.section	.text._ZN7rocprim17ROCPRIM_400000_NS6detail17trampoline_kernelINS0_14default_configENS1_20scan_config_selectorIxEEZZNS1_9scan_implILNS1_25lookback_scan_determinismE0ELb1ELb1ES3_N6thrust23THRUST_200600_302600_NS6detail15normal_iteratorINS9_10device_ptrIxEEEESE_x11max_functorIxExEEDaPvRmT3_T4_T5_mT6_P12ihipStream_tbENKUlT_T0_E_clISt17integral_constantIbLb0EESU_EEDaSP_SQ_EUlSP_E_NS1_11comp_targetILNS1_3genE10ELNS1_11target_archE1200ELNS1_3gpuE4ELNS1_3repE0EEENS1_30default_config_static_selectorELNS0_4arch9wavefront6targetE1EEEvT1_,"axG",@progbits,_ZN7rocprim17ROCPRIM_400000_NS6detail17trampoline_kernelINS0_14default_configENS1_20scan_config_selectorIxEEZZNS1_9scan_implILNS1_25lookback_scan_determinismE0ELb1ELb1ES3_N6thrust23THRUST_200600_302600_NS6detail15normal_iteratorINS9_10device_ptrIxEEEESE_x11max_functorIxExEEDaPvRmT3_T4_T5_mT6_P12ihipStream_tbENKUlT_T0_E_clISt17integral_constantIbLb0EESU_EEDaSP_SQ_EUlSP_E_NS1_11comp_targetILNS1_3genE10ELNS1_11target_archE1200ELNS1_3gpuE4ELNS1_3repE0EEENS1_30default_config_static_selectorELNS0_4arch9wavefront6targetE1EEEvT1_,comdat
.Lfunc_end2636:
	.size	_ZN7rocprim17ROCPRIM_400000_NS6detail17trampoline_kernelINS0_14default_configENS1_20scan_config_selectorIxEEZZNS1_9scan_implILNS1_25lookback_scan_determinismE0ELb1ELb1ES3_N6thrust23THRUST_200600_302600_NS6detail15normal_iteratorINS9_10device_ptrIxEEEESE_x11max_functorIxExEEDaPvRmT3_T4_T5_mT6_P12ihipStream_tbENKUlT_T0_E_clISt17integral_constantIbLb0EESU_EEDaSP_SQ_EUlSP_E_NS1_11comp_targetILNS1_3genE10ELNS1_11target_archE1200ELNS1_3gpuE4ELNS1_3repE0EEENS1_30default_config_static_selectorELNS0_4arch9wavefront6targetE1EEEvT1_, .Lfunc_end2636-_ZN7rocprim17ROCPRIM_400000_NS6detail17trampoline_kernelINS0_14default_configENS1_20scan_config_selectorIxEEZZNS1_9scan_implILNS1_25lookback_scan_determinismE0ELb1ELb1ES3_N6thrust23THRUST_200600_302600_NS6detail15normal_iteratorINS9_10device_ptrIxEEEESE_x11max_functorIxExEEDaPvRmT3_T4_T5_mT6_P12ihipStream_tbENKUlT_T0_E_clISt17integral_constantIbLb0EESU_EEDaSP_SQ_EUlSP_E_NS1_11comp_targetILNS1_3genE10ELNS1_11target_archE1200ELNS1_3gpuE4ELNS1_3repE0EEENS1_30default_config_static_selectorELNS0_4arch9wavefront6targetE1EEEvT1_
                                        ; -- End function
	.section	.AMDGPU.csdata,"",@progbits
; Kernel info:
; codeLenInByte = 0
; NumSgprs: 4
; NumVgprs: 0
; NumAgprs: 0
; TotalNumVgprs: 0
; ScratchSize: 0
; MemoryBound: 0
; FloatMode: 240
; IeeeMode: 1
; LDSByteSize: 0 bytes/workgroup (compile time only)
; SGPRBlocks: 0
; VGPRBlocks: 0
; NumSGPRsForWavesPerEU: 4
; NumVGPRsForWavesPerEU: 1
; AccumOffset: 4
; Occupancy: 8
; WaveLimiterHint : 0
; COMPUTE_PGM_RSRC2:SCRATCH_EN: 0
; COMPUTE_PGM_RSRC2:USER_SGPR: 6
; COMPUTE_PGM_RSRC2:TRAP_HANDLER: 0
; COMPUTE_PGM_RSRC2:TGID_X_EN: 1
; COMPUTE_PGM_RSRC2:TGID_Y_EN: 0
; COMPUTE_PGM_RSRC2:TGID_Z_EN: 0
; COMPUTE_PGM_RSRC2:TIDIG_COMP_CNT: 0
; COMPUTE_PGM_RSRC3_GFX90A:ACCUM_OFFSET: 0
; COMPUTE_PGM_RSRC3_GFX90A:TG_SPLIT: 0
	.section	.text._ZN7rocprim17ROCPRIM_400000_NS6detail17trampoline_kernelINS0_14default_configENS1_20scan_config_selectorIxEEZZNS1_9scan_implILNS1_25lookback_scan_determinismE0ELb1ELb1ES3_N6thrust23THRUST_200600_302600_NS6detail15normal_iteratorINS9_10device_ptrIxEEEESE_x11max_functorIxExEEDaPvRmT3_T4_T5_mT6_P12ihipStream_tbENKUlT_T0_E_clISt17integral_constantIbLb0EESU_EEDaSP_SQ_EUlSP_E_NS1_11comp_targetILNS1_3genE9ELNS1_11target_archE1100ELNS1_3gpuE3ELNS1_3repE0EEENS1_30default_config_static_selectorELNS0_4arch9wavefront6targetE1EEEvT1_,"axG",@progbits,_ZN7rocprim17ROCPRIM_400000_NS6detail17trampoline_kernelINS0_14default_configENS1_20scan_config_selectorIxEEZZNS1_9scan_implILNS1_25lookback_scan_determinismE0ELb1ELb1ES3_N6thrust23THRUST_200600_302600_NS6detail15normal_iteratorINS9_10device_ptrIxEEEESE_x11max_functorIxExEEDaPvRmT3_T4_T5_mT6_P12ihipStream_tbENKUlT_T0_E_clISt17integral_constantIbLb0EESU_EEDaSP_SQ_EUlSP_E_NS1_11comp_targetILNS1_3genE9ELNS1_11target_archE1100ELNS1_3gpuE3ELNS1_3repE0EEENS1_30default_config_static_selectorELNS0_4arch9wavefront6targetE1EEEvT1_,comdat
	.protected	_ZN7rocprim17ROCPRIM_400000_NS6detail17trampoline_kernelINS0_14default_configENS1_20scan_config_selectorIxEEZZNS1_9scan_implILNS1_25lookback_scan_determinismE0ELb1ELb1ES3_N6thrust23THRUST_200600_302600_NS6detail15normal_iteratorINS9_10device_ptrIxEEEESE_x11max_functorIxExEEDaPvRmT3_T4_T5_mT6_P12ihipStream_tbENKUlT_T0_E_clISt17integral_constantIbLb0EESU_EEDaSP_SQ_EUlSP_E_NS1_11comp_targetILNS1_3genE9ELNS1_11target_archE1100ELNS1_3gpuE3ELNS1_3repE0EEENS1_30default_config_static_selectorELNS0_4arch9wavefront6targetE1EEEvT1_ ; -- Begin function _ZN7rocprim17ROCPRIM_400000_NS6detail17trampoline_kernelINS0_14default_configENS1_20scan_config_selectorIxEEZZNS1_9scan_implILNS1_25lookback_scan_determinismE0ELb1ELb1ES3_N6thrust23THRUST_200600_302600_NS6detail15normal_iteratorINS9_10device_ptrIxEEEESE_x11max_functorIxExEEDaPvRmT3_T4_T5_mT6_P12ihipStream_tbENKUlT_T0_E_clISt17integral_constantIbLb0EESU_EEDaSP_SQ_EUlSP_E_NS1_11comp_targetILNS1_3genE9ELNS1_11target_archE1100ELNS1_3gpuE3ELNS1_3repE0EEENS1_30default_config_static_selectorELNS0_4arch9wavefront6targetE1EEEvT1_
	.globl	_ZN7rocprim17ROCPRIM_400000_NS6detail17trampoline_kernelINS0_14default_configENS1_20scan_config_selectorIxEEZZNS1_9scan_implILNS1_25lookback_scan_determinismE0ELb1ELb1ES3_N6thrust23THRUST_200600_302600_NS6detail15normal_iteratorINS9_10device_ptrIxEEEESE_x11max_functorIxExEEDaPvRmT3_T4_T5_mT6_P12ihipStream_tbENKUlT_T0_E_clISt17integral_constantIbLb0EESU_EEDaSP_SQ_EUlSP_E_NS1_11comp_targetILNS1_3genE9ELNS1_11target_archE1100ELNS1_3gpuE3ELNS1_3repE0EEENS1_30default_config_static_selectorELNS0_4arch9wavefront6targetE1EEEvT1_
	.p2align	8
	.type	_ZN7rocprim17ROCPRIM_400000_NS6detail17trampoline_kernelINS0_14default_configENS1_20scan_config_selectorIxEEZZNS1_9scan_implILNS1_25lookback_scan_determinismE0ELb1ELb1ES3_N6thrust23THRUST_200600_302600_NS6detail15normal_iteratorINS9_10device_ptrIxEEEESE_x11max_functorIxExEEDaPvRmT3_T4_T5_mT6_P12ihipStream_tbENKUlT_T0_E_clISt17integral_constantIbLb0EESU_EEDaSP_SQ_EUlSP_E_NS1_11comp_targetILNS1_3genE9ELNS1_11target_archE1100ELNS1_3gpuE3ELNS1_3repE0EEENS1_30default_config_static_selectorELNS0_4arch9wavefront6targetE1EEEvT1_,@function
_ZN7rocprim17ROCPRIM_400000_NS6detail17trampoline_kernelINS0_14default_configENS1_20scan_config_selectorIxEEZZNS1_9scan_implILNS1_25lookback_scan_determinismE0ELb1ELb1ES3_N6thrust23THRUST_200600_302600_NS6detail15normal_iteratorINS9_10device_ptrIxEEEESE_x11max_functorIxExEEDaPvRmT3_T4_T5_mT6_P12ihipStream_tbENKUlT_T0_E_clISt17integral_constantIbLb0EESU_EEDaSP_SQ_EUlSP_E_NS1_11comp_targetILNS1_3genE9ELNS1_11target_archE1100ELNS1_3gpuE3ELNS1_3repE0EEENS1_30default_config_static_selectorELNS0_4arch9wavefront6targetE1EEEvT1_: ; @_ZN7rocprim17ROCPRIM_400000_NS6detail17trampoline_kernelINS0_14default_configENS1_20scan_config_selectorIxEEZZNS1_9scan_implILNS1_25lookback_scan_determinismE0ELb1ELb1ES3_N6thrust23THRUST_200600_302600_NS6detail15normal_iteratorINS9_10device_ptrIxEEEESE_x11max_functorIxExEEDaPvRmT3_T4_T5_mT6_P12ihipStream_tbENKUlT_T0_E_clISt17integral_constantIbLb0EESU_EEDaSP_SQ_EUlSP_E_NS1_11comp_targetILNS1_3genE9ELNS1_11target_archE1100ELNS1_3gpuE3ELNS1_3repE0EEENS1_30default_config_static_selectorELNS0_4arch9wavefront6targetE1EEEvT1_
; %bb.0:
	.section	.rodata,"a",@progbits
	.p2align	6, 0x0
	.amdhsa_kernel _ZN7rocprim17ROCPRIM_400000_NS6detail17trampoline_kernelINS0_14default_configENS1_20scan_config_selectorIxEEZZNS1_9scan_implILNS1_25lookback_scan_determinismE0ELb1ELb1ES3_N6thrust23THRUST_200600_302600_NS6detail15normal_iteratorINS9_10device_ptrIxEEEESE_x11max_functorIxExEEDaPvRmT3_T4_T5_mT6_P12ihipStream_tbENKUlT_T0_E_clISt17integral_constantIbLb0EESU_EEDaSP_SQ_EUlSP_E_NS1_11comp_targetILNS1_3genE9ELNS1_11target_archE1100ELNS1_3gpuE3ELNS1_3repE0EEENS1_30default_config_static_selectorELNS0_4arch9wavefront6targetE1EEEvT1_
		.amdhsa_group_segment_fixed_size 0
		.amdhsa_private_segment_fixed_size 0
		.amdhsa_kernarg_size 104
		.amdhsa_user_sgpr_count 6
		.amdhsa_user_sgpr_private_segment_buffer 1
		.amdhsa_user_sgpr_dispatch_ptr 0
		.amdhsa_user_sgpr_queue_ptr 0
		.amdhsa_user_sgpr_kernarg_segment_ptr 1
		.amdhsa_user_sgpr_dispatch_id 0
		.amdhsa_user_sgpr_flat_scratch_init 0
		.amdhsa_user_sgpr_kernarg_preload_length 0
		.amdhsa_user_sgpr_kernarg_preload_offset 0
		.amdhsa_user_sgpr_private_segment_size 0
		.amdhsa_uses_dynamic_stack 0
		.amdhsa_system_sgpr_private_segment_wavefront_offset 0
		.amdhsa_system_sgpr_workgroup_id_x 1
		.amdhsa_system_sgpr_workgroup_id_y 0
		.amdhsa_system_sgpr_workgroup_id_z 0
		.amdhsa_system_sgpr_workgroup_info 0
		.amdhsa_system_vgpr_workitem_id 0
		.amdhsa_next_free_vgpr 1
		.amdhsa_next_free_sgpr 0
		.amdhsa_accum_offset 4
		.amdhsa_reserve_vcc 0
		.amdhsa_reserve_flat_scratch 0
		.amdhsa_float_round_mode_32 0
		.amdhsa_float_round_mode_16_64 0
		.amdhsa_float_denorm_mode_32 3
		.amdhsa_float_denorm_mode_16_64 3
		.amdhsa_dx10_clamp 1
		.amdhsa_ieee_mode 1
		.amdhsa_fp16_overflow 0
		.amdhsa_tg_split 0
		.amdhsa_exception_fp_ieee_invalid_op 0
		.amdhsa_exception_fp_denorm_src 0
		.amdhsa_exception_fp_ieee_div_zero 0
		.amdhsa_exception_fp_ieee_overflow 0
		.amdhsa_exception_fp_ieee_underflow 0
		.amdhsa_exception_fp_ieee_inexact 0
		.amdhsa_exception_int_div_zero 0
	.end_amdhsa_kernel
	.section	.text._ZN7rocprim17ROCPRIM_400000_NS6detail17trampoline_kernelINS0_14default_configENS1_20scan_config_selectorIxEEZZNS1_9scan_implILNS1_25lookback_scan_determinismE0ELb1ELb1ES3_N6thrust23THRUST_200600_302600_NS6detail15normal_iteratorINS9_10device_ptrIxEEEESE_x11max_functorIxExEEDaPvRmT3_T4_T5_mT6_P12ihipStream_tbENKUlT_T0_E_clISt17integral_constantIbLb0EESU_EEDaSP_SQ_EUlSP_E_NS1_11comp_targetILNS1_3genE9ELNS1_11target_archE1100ELNS1_3gpuE3ELNS1_3repE0EEENS1_30default_config_static_selectorELNS0_4arch9wavefront6targetE1EEEvT1_,"axG",@progbits,_ZN7rocprim17ROCPRIM_400000_NS6detail17trampoline_kernelINS0_14default_configENS1_20scan_config_selectorIxEEZZNS1_9scan_implILNS1_25lookback_scan_determinismE0ELb1ELb1ES3_N6thrust23THRUST_200600_302600_NS6detail15normal_iteratorINS9_10device_ptrIxEEEESE_x11max_functorIxExEEDaPvRmT3_T4_T5_mT6_P12ihipStream_tbENKUlT_T0_E_clISt17integral_constantIbLb0EESU_EEDaSP_SQ_EUlSP_E_NS1_11comp_targetILNS1_3genE9ELNS1_11target_archE1100ELNS1_3gpuE3ELNS1_3repE0EEENS1_30default_config_static_selectorELNS0_4arch9wavefront6targetE1EEEvT1_,comdat
.Lfunc_end2637:
	.size	_ZN7rocprim17ROCPRIM_400000_NS6detail17trampoline_kernelINS0_14default_configENS1_20scan_config_selectorIxEEZZNS1_9scan_implILNS1_25lookback_scan_determinismE0ELb1ELb1ES3_N6thrust23THRUST_200600_302600_NS6detail15normal_iteratorINS9_10device_ptrIxEEEESE_x11max_functorIxExEEDaPvRmT3_T4_T5_mT6_P12ihipStream_tbENKUlT_T0_E_clISt17integral_constantIbLb0EESU_EEDaSP_SQ_EUlSP_E_NS1_11comp_targetILNS1_3genE9ELNS1_11target_archE1100ELNS1_3gpuE3ELNS1_3repE0EEENS1_30default_config_static_selectorELNS0_4arch9wavefront6targetE1EEEvT1_, .Lfunc_end2637-_ZN7rocprim17ROCPRIM_400000_NS6detail17trampoline_kernelINS0_14default_configENS1_20scan_config_selectorIxEEZZNS1_9scan_implILNS1_25lookback_scan_determinismE0ELb1ELb1ES3_N6thrust23THRUST_200600_302600_NS6detail15normal_iteratorINS9_10device_ptrIxEEEESE_x11max_functorIxExEEDaPvRmT3_T4_T5_mT6_P12ihipStream_tbENKUlT_T0_E_clISt17integral_constantIbLb0EESU_EEDaSP_SQ_EUlSP_E_NS1_11comp_targetILNS1_3genE9ELNS1_11target_archE1100ELNS1_3gpuE3ELNS1_3repE0EEENS1_30default_config_static_selectorELNS0_4arch9wavefront6targetE1EEEvT1_
                                        ; -- End function
	.section	.AMDGPU.csdata,"",@progbits
; Kernel info:
; codeLenInByte = 0
; NumSgprs: 4
; NumVgprs: 0
; NumAgprs: 0
; TotalNumVgprs: 0
; ScratchSize: 0
; MemoryBound: 0
; FloatMode: 240
; IeeeMode: 1
; LDSByteSize: 0 bytes/workgroup (compile time only)
; SGPRBlocks: 0
; VGPRBlocks: 0
; NumSGPRsForWavesPerEU: 4
; NumVGPRsForWavesPerEU: 1
; AccumOffset: 4
; Occupancy: 8
; WaveLimiterHint : 0
; COMPUTE_PGM_RSRC2:SCRATCH_EN: 0
; COMPUTE_PGM_RSRC2:USER_SGPR: 6
; COMPUTE_PGM_RSRC2:TRAP_HANDLER: 0
; COMPUTE_PGM_RSRC2:TGID_X_EN: 1
; COMPUTE_PGM_RSRC2:TGID_Y_EN: 0
; COMPUTE_PGM_RSRC2:TGID_Z_EN: 0
; COMPUTE_PGM_RSRC2:TIDIG_COMP_CNT: 0
; COMPUTE_PGM_RSRC3_GFX90A:ACCUM_OFFSET: 0
; COMPUTE_PGM_RSRC3_GFX90A:TG_SPLIT: 0
	.section	.text._ZN7rocprim17ROCPRIM_400000_NS6detail17trampoline_kernelINS0_14default_configENS1_20scan_config_selectorIxEEZZNS1_9scan_implILNS1_25lookback_scan_determinismE0ELb1ELb1ES3_N6thrust23THRUST_200600_302600_NS6detail15normal_iteratorINS9_10device_ptrIxEEEESE_x11max_functorIxExEEDaPvRmT3_T4_T5_mT6_P12ihipStream_tbENKUlT_T0_E_clISt17integral_constantIbLb0EESU_EEDaSP_SQ_EUlSP_E_NS1_11comp_targetILNS1_3genE8ELNS1_11target_archE1030ELNS1_3gpuE2ELNS1_3repE0EEENS1_30default_config_static_selectorELNS0_4arch9wavefront6targetE1EEEvT1_,"axG",@progbits,_ZN7rocprim17ROCPRIM_400000_NS6detail17trampoline_kernelINS0_14default_configENS1_20scan_config_selectorIxEEZZNS1_9scan_implILNS1_25lookback_scan_determinismE0ELb1ELb1ES3_N6thrust23THRUST_200600_302600_NS6detail15normal_iteratorINS9_10device_ptrIxEEEESE_x11max_functorIxExEEDaPvRmT3_T4_T5_mT6_P12ihipStream_tbENKUlT_T0_E_clISt17integral_constantIbLb0EESU_EEDaSP_SQ_EUlSP_E_NS1_11comp_targetILNS1_3genE8ELNS1_11target_archE1030ELNS1_3gpuE2ELNS1_3repE0EEENS1_30default_config_static_selectorELNS0_4arch9wavefront6targetE1EEEvT1_,comdat
	.protected	_ZN7rocprim17ROCPRIM_400000_NS6detail17trampoline_kernelINS0_14default_configENS1_20scan_config_selectorIxEEZZNS1_9scan_implILNS1_25lookback_scan_determinismE0ELb1ELb1ES3_N6thrust23THRUST_200600_302600_NS6detail15normal_iteratorINS9_10device_ptrIxEEEESE_x11max_functorIxExEEDaPvRmT3_T4_T5_mT6_P12ihipStream_tbENKUlT_T0_E_clISt17integral_constantIbLb0EESU_EEDaSP_SQ_EUlSP_E_NS1_11comp_targetILNS1_3genE8ELNS1_11target_archE1030ELNS1_3gpuE2ELNS1_3repE0EEENS1_30default_config_static_selectorELNS0_4arch9wavefront6targetE1EEEvT1_ ; -- Begin function _ZN7rocprim17ROCPRIM_400000_NS6detail17trampoline_kernelINS0_14default_configENS1_20scan_config_selectorIxEEZZNS1_9scan_implILNS1_25lookback_scan_determinismE0ELb1ELb1ES3_N6thrust23THRUST_200600_302600_NS6detail15normal_iteratorINS9_10device_ptrIxEEEESE_x11max_functorIxExEEDaPvRmT3_T4_T5_mT6_P12ihipStream_tbENKUlT_T0_E_clISt17integral_constantIbLb0EESU_EEDaSP_SQ_EUlSP_E_NS1_11comp_targetILNS1_3genE8ELNS1_11target_archE1030ELNS1_3gpuE2ELNS1_3repE0EEENS1_30default_config_static_selectorELNS0_4arch9wavefront6targetE1EEEvT1_
	.globl	_ZN7rocprim17ROCPRIM_400000_NS6detail17trampoline_kernelINS0_14default_configENS1_20scan_config_selectorIxEEZZNS1_9scan_implILNS1_25lookback_scan_determinismE0ELb1ELb1ES3_N6thrust23THRUST_200600_302600_NS6detail15normal_iteratorINS9_10device_ptrIxEEEESE_x11max_functorIxExEEDaPvRmT3_T4_T5_mT6_P12ihipStream_tbENKUlT_T0_E_clISt17integral_constantIbLb0EESU_EEDaSP_SQ_EUlSP_E_NS1_11comp_targetILNS1_3genE8ELNS1_11target_archE1030ELNS1_3gpuE2ELNS1_3repE0EEENS1_30default_config_static_selectorELNS0_4arch9wavefront6targetE1EEEvT1_
	.p2align	8
	.type	_ZN7rocprim17ROCPRIM_400000_NS6detail17trampoline_kernelINS0_14default_configENS1_20scan_config_selectorIxEEZZNS1_9scan_implILNS1_25lookback_scan_determinismE0ELb1ELb1ES3_N6thrust23THRUST_200600_302600_NS6detail15normal_iteratorINS9_10device_ptrIxEEEESE_x11max_functorIxExEEDaPvRmT3_T4_T5_mT6_P12ihipStream_tbENKUlT_T0_E_clISt17integral_constantIbLb0EESU_EEDaSP_SQ_EUlSP_E_NS1_11comp_targetILNS1_3genE8ELNS1_11target_archE1030ELNS1_3gpuE2ELNS1_3repE0EEENS1_30default_config_static_selectorELNS0_4arch9wavefront6targetE1EEEvT1_,@function
_ZN7rocprim17ROCPRIM_400000_NS6detail17trampoline_kernelINS0_14default_configENS1_20scan_config_selectorIxEEZZNS1_9scan_implILNS1_25lookback_scan_determinismE0ELb1ELb1ES3_N6thrust23THRUST_200600_302600_NS6detail15normal_iteratorINS9_10device_ptrIxEEEESE_x11max_functorIxExEEDaPvRmT3_T4_T5_mT6_P12ihipStream_tbENKUlT_T0_E_clISt17integral_constantIbLb0EESU_EEDaSP_SQ_EUlSP_E_NS1_11comp_targetILNS1_3genE8ELNS1_11target_archE1030ELNS1_3gpuE2ELNS1_3repE0EEENS1_30default_config_static_selectorELNS0_4arch9wavefront6targetE1EEEvT1_: ; @_ZN7rocprim17ROCPRIM_400000_NS6detail17trampoline_kernelINS0_14default_configENS1_20scan_config_selectorIxEEZZNS1_9scan_implILNS1_25lookback_scan_determinismE0ELb1ELb1ES3_N6thrust23THRUST_200600_302600_NS6detail15normal_iteratorINS9_10device_ptrIxEEEESE_x11max_functorIxExEEDaPvRmT3_T4_T5_mT6_P12ihipStream_tbENKUlT_T0_E_clISt17integral_constantIbLb0EESU_EEDaSP_SQ_EUlSP_E_NS1_11comp_targetILNS1_3genE8ELNS1_11target_archE1030ELNS1_3gpuE2ELNS1_3repE0EEENS1_30default_config_static_selectorELNS0_4arch9wavefront6targetE1EEEvT1_
; %bb.0:
	.section	.rodata,"a",@progbits
	.p2align	6, 0x0
	.amdhsa_kernel _ZN7rocprim17ROCPRIM_400000_NS6detail17trampoline_kernelINS0_14default_configENS1_20scan_config_selectorIxEEZZNS1_9scan_implILNS1_25lookback_scan_determinismE0ELb1ELb1ES3_N6thrust23THRUST_200600_302600_NS6detail15normal_iteratorINS9_10device_ptrIxEEEESE_x11max_functorIxExEEDaPvRmT3_T4_T5_mT6_P12ihipStream_tbENKUlT_T0_E_clISt17integral_constantIbLb0EESU_EEDaSP_SQ_EUlSP_E_NS1_11comp_targetILNS1_3genE8ELNS1_11target_archE1030ELNS1_3gpuE2ELNS1_3repE0EEENS1_30default_config_static_selectorELNS0_4arch9wavefront6targetE1EEEvT1_
		.amdhsa_group_segment_fixed_size 0
		.amdhsa_private_segment_fixed_size 0
		.amdhsa_kernarg_size 104
		.amdhsa_user_sgpr_count 6
		.amdhsa_user_sgpr_private_segment_buffer 1
		.amdhsa_user_sgpr_dispatch_ptr 0
		.amdhsa_user_sgpr_queue_ptr 0
		.amdhsa_user_sgpr_kernarg_segment_ptr 1
		.amdhsa_user_sgpr_dispatch_id 0
		.amdhsa_user_sgpr_flat_scratch_init 0
		.amdhsa_user_sgpr_kernarg_preload_length 0
		.amdhsa_user_sgpr_kernarg_preload_offset 0
		.amdhsa_user_sgpr_private_segment_size 0
		.amdhsa_uses_dynamic_stack 0
		.amdhsa_system_sgpr_private_segment_wavefront_offset 0
		.amdhsa_system_sgpr_workgroup_id_x 1
		.amdhsa_system_sgpr_workgroup_id_y 0
		.amdhsa_system_sgpr_workgroup_id_z 0
		.amdhsa_system_sgpr_workgroup_info 0
		.amdhsa_system_vgpr_workitem_id 0
		.amdhsa_next_free_vgpr 1
		.amdhsa_next_free_sgpr 0
		.amdhsa_accum_offset 4
		.amdhsa_reserve_vcc 0
		.amdhsa_reserve_flat_scratch 0
		.amdhsa_float_round_mode_32 0
		.amdhsa_float_round_mode_16_64 0
		.amdhsa_float_denorm_mode_32 3
		.amdhsa_float_denorm_mode_16_64 3
		.amdhsa_dx10_clamp 1
		.amdhsa_ieee_mode 1
		.amdhsa_fp16_overflow 0
		.amdhsa_tg_split 0
		.amdhsa_exception_fp_ieee_invalid_op 0
		.amdhsa_exception_fp_denorm_src 0
		.amdhsa_exception_fp_ieee_div_zero 0
		.amdhsa_exception_fp_ieee_overflow 0
		.amdhsa_exception_fp_ieee_underflow 0
		.amdhsa_exception_fp_ieee_inexact 0
		.amdhsa_exception_int_div_zero 0
	.end_amdhsa_kernel
	.section	.text._ZN7rocprim17ROCPRIM_400000_NS6detail17trampoline_kernelINS0_14default_configENS1_20scan_config_selectorIxEEZZNS1_9scan_implILNS1_25lookback_scan_determinismE0ELb1ELb1ES3_N6thrust23THRUST_200600_302600_NS6detail15normal_iteratorINS9_10device_ptrIxEEEESE_x11max_functorIxExEEDaPvRmT3_T4_T5_mT6_P12ihipStream_tbENKUlT_T0_E_clISt17integral_constantIbLb0EESU_EEDaSP_SQ_EUlSP_E_NS1_11comp_targetILNS1_3genE8ELNS1_11target_archE1030ELNS1_3gpuE2ELNS1_3repE0EEENS1_30default_config_static_selectorELNS0_4arch9wavefront6targetE1EEEvT1_,"axG",@progbits,_ZN7rocprim17ROCPRIM_400000_NS6detail17trampoline_kernelINS0_14default_configENS1_20scan_config_selectorIxEEZZNS1_9scan_implILNS1_25lookback_scan_determinismE0ELb1ELb1ES3_N6thrust23THRUST_200600_302600_NS6detail15normal_iteratorINS9_10device_ptrIxEEEESE_x11max_functorIxExEEDaPvRmT3_T4_T5_mT6_P12ihipStream_tbENKUlT_T0_E_clISt17integral_constantIbLb0EESU_EEDaSP_SQ_EUlSP_E_NS1_11comp_targetILNS1_3genE8ELNS1_11target_archE1030ELNS1_3gpuE2ELNS1_3repE0EEENS1_30default_config_static_selectorELNS0_4arch9wavefront6targetE1EEEvT1_,comdat
.Lfunc_end2638:
	.size	_ZN7rocprim17ROCPRIM_400000_NS6detail17trampoline_kernelINS0_14default_configENS1_20scan_config_selectorIxEEZZNS1_9scan_implILNS1_25lookback_scan_determinismE0ELb1ELb1ES3_N6thrust23THRUST_200600_302600_NS6detail15normal_iteratorINS9_10device_ptrIxEEEESE_x11max_functorIxExEEDaPvRmT3_T4_T5_mT6_P12ihipStream_tbENKUlT_T0_E_clISt17integral_constantIbLb0EESU_EEDaSP_SQ_EUlSP_E_NS1_11comp_targetILNS1_3genE8ELNS1_11target_archE1030ELNS1_3gpuE2ELNS1_3repE0EEENS1_30default_config_static_selectorELNS0_4arch9wavefront6targetE1EEEvT1_, .Lfunc_end2638-_ZN7rocprim17ROCPRIM_400000_NS6detail17trampoline_kernelINS0_14default_configENS1_20scan_config_selectorIxEEZZNS1_9scan_implILNS1_25lookback_scan_determinismE0ELb1ELb1ES3_N6thrust23THRUST_200600_302600_NS6detail15normal_iteratorINS9_10device_ptrIxEEEESE_x11max_functorIxExEEDaPvRmT3_T4_T5_mT6_P12ihipStream_tbENKUlT_T0_E_clISt17integral_constantIbLb0EESU_EEDaSP_SQ_EUlSP_E_NS1_11comp_targetILNS1_3genE8ELNS1_11target_archE1030ELNS1_3gpuE2ELNS1_3repE0EEENS1_30default_config_static_selectorELNS0_4arch9wavefront6targetE1EEEvT1_
                                        ; -- End function
	.section	.AMDGPU.csdata,"",@progbits
; Kernel info:
; codeLenInByte = 0
; NumSgprs: 4
; NumVgprs: 0
; NumAgprs: 0
; TotalNumVgprs: 0
; ScratchSize: 0
; MemoryBound: 0
; FloatMode: 240
; IeeeMode: 1
; LDSByteSize: 0 bytes/workgroup (compile time only)
; SGPRBlocks: 0
; VGPRBlocks: 0
; NumSGPRsForWavesPerEU: 4
; NumVGPRsForWavesPerEU: 1
; AccumOffset: 4
; Occupancy: 8
; WaveLimiterHint : 0
; COMPUTE_PGM_RSRC2:SCRATCH_EN: 0
; COMPUTE_PGM_RSRC2:USER_SGPR: 6
; COMPUTE_PGM_RSRC2:TRAP_HANDLER: 0
; COMPUTE_PGM_RSRC2:TGID_X_EN: 1
; COMPUTE_PGM_RSRC2:TGID_Y_EN: 0
; COMPUTE_PGM_RSRC2:TGID_Z_EN: 0
; COMPUTE_PGM_RSRC2:TIDIG_COMP_CNT: 0
; COMPUTE_PGM_RSRC3_GFX90A:ACCUM_OFFSET: 0
; COMPUTE_PGM_RSRC3_GFX90A:TG_SPLIT: 0
	.section	.text._ZN7rocprim17ROCPRIM_400000_NS6detail17trampoline_kernelINS0_14default_configENS1_20scan_config_selectorIxEEZZNS1_9scan_implILNS1_25lookback_scan_determinismE0ELb1ELb1ES3_N6thrust23THRUST_200600_302600_NS6detail15normal_iteratorINS9_10device_ptrIxEEEESE_x11max_functorIxExEEDaPvRmT3_T4_T5_mT6_P12ihipStream_tbENKUlT_T0_E_clISt17integral_constantIbLb0EESU_EEDaSP_SQ_EUlSP_E0_NS1_11comp_targetILNS1_3genE0ELNS1_11target_archE4294967295ELNS1_3gpuE0ELNS1_3repE0EEENS1_30default_config_static_selectorELNS0_4arch9wavefront6targetE1EEEvT1_,"axG",@progbits,_ZN7rocprim17ROCPRIM_400000_NS6detail17trampoline_kernelINS0_14default_configENS1_20scan_config_selectorIxEEZZNS1_9scan_implILNS1_25lookback_scan_determinismE0ELb1ELb1ES3_N6thrust23THRUST_200600_302600_NS6detail15normal_iteratorINS9_10device_ptrIxEEEESE_x11max_functorIxExEEDaPvRmT3_T4_T5_mT6_P12ihipStream_tbENKUlT_T0_E_clISt17integral_constantIbLb0EESU_EEDaSP_SQ_EUlSP_E0_NS1_11comp_targetILNS1_3genE0ELNS1_11target_archE4294967295ELNS1_3gpuE0ELNS1_3repE0EEENS1_30default_config_static_selectorELNS0_4arch9wavefront6targetE1EEEvT1_,comdat
	.protected	_ZN7rocprim17ROCPRIM_400000_NS6detail17trampoline_kernelINS0_14default_configENS1_20scan_config_selectorIxEEZZNS1_9scan_implILNS1_25lookback_scan_determinismE0ELb1ELb1ES3_N6thrust23THRUST_200600_302600_NS6detail15normal_iteratorINS9_10device_ptrIxEEEESE_x11max_functorIxExEEDaPvRmT3_T4_T5_mT6_P12ihipStream_tbENKUlT_T0_E_clISt17integral_constantIbLb0EESU_EEDaSP_SQ_EUlSP_E0_NS1_11comp_targetILNS1_3genE0ELNS1_11target_archE4294967295ELNS1_3gpuE0ELNS1_3repE0EEENS1_30default_config_static_selectorELNS0_4arch9wavefront6targetE1EEEvT1_ ; -- Begin function _ZN7rocprim17ROCPRIM_400000_NS6detail17trampoline_kernelINS0_14default_configENS1_20scan_config_selectorIxEEZZNS1_9scan_implILNS1_25lookback_scan_determinismE0ELb1ELb1ES3_N6thrust23THRUST_200600_302600_NS6detail15normal_iteratorINS9_10device_ptrIxEEEESE_x11max_functorIxExEEDaPvRmT3_T4_T5_mT6_P12ihipStream_tbENKUlT_T0_E_clISt17integral_constantIbLb0EESU_EEDaSP_SQ_EUlSP_E0_NS1_11comp_targetILNS1_3genE0ELNS1_11target_archE4294967295ELNS1_3gpuE0ELNS1_3repE0EEENS1_30default_config_static_selectorELNS0_4arch9wavefront6targetE1EEEvT1_
	.globl	_ZN7rocprim17ROCPRIM_400000_NS6detail17trampoline_kernelINS0_14default_configENS1_20scan_config_selectorIxEEZZNS1_9scan_implILNS1_25lookback_scan_determinismE0ELb1ELb1ES3_N6thrust23THRUST_200600_302600_NS6detail15normal_iteratorINS9_10device_ptrIxEEEESE_x11max_functorIxExEEDaPvRmT3_T4_T5_mT6_P12ihipStream_tbENKUlT_T0_E_clISt17integral_constantIbLb0EESU_EEDaSP_SQ_EUlSP_E0_NS1_11comp_targetILNS1_3genE0ELNS1_11target_archE4294967295ELNS1_3gpuE0ELNS1_3repE0EEENS1_30default_config_static_selectorELNS0_4arch9wavefront6targetE1EEEvT1_
	.p2align	8
	.type	_ZN7rocprim17ROCPRIM_400000_NS6detail17trampoline_kernelINS0_14default_configENS1_20scan_config_selectorIxEEZZNS1_9scan_implILNS1_25lookback_scan_determinismE0ELb1ELb1ES3_N6thrust23THRUST_200600_302600_NS6detail15normal_iteratorINS9_10device_ptrIxEEEESE_x11max_functorIxExEEDaPvRmT3_T4_T5_mT6_P12ihipStream_tbENKUlT_T0_E_clISt17integral_constantIbLb0EESU_EEDaSP_SQ_EUlSP_E0_NS1_11comp_targetILNS1_3genE0ELNS1_11target_archE4294967295ELNS1_3gpuE0ELNS1_3repE0EEENS1_30default_config_static_selectorELNS0_4arch9wavefront6targetE1EEEvT1_,@function
_ZN7rocprim17ROCPRIM_400000_NS6detail17trampoline_kernelINS0_14default_configENS1_20scan_config_selectorIxEEZZNS1_9scan_implILNS1_25lookback_scan_determinismE0ELb1ELb1ES3_N6thrust23THRUST_200600_302600_NS6detail15normal_iteratorINS9_10device_ptrIxEEEESE_x11max_functorIxExEEDaPvRmT3_T4_T5_mT6_P12ihipStream_tbENKUlT_T0_E_clISt17integral_constantIbLb0EESU_EEDaSP_SQ_EUlSP_E0_NS1_11comp_targetILNS1_3genE0ELNS1_11target_archE4294967295ELNS1_3gpuE0ELNS1_3repE0EEENS1_30default_config_static_selectorELNS0_4arch9wavefront6targetE1EEEvT1_: ; @_ZN7rocprim17ROCPRIM_400000_NS6detail17trampoline_kernelINS0_14default_configENS1_20scan_config_selectorIxEEZZNS1_9scan_implILNS1_25lookback_scan_determinismE0ELb1ELb1ES3_N6thrust23THRUST_200600_302600_NS6detail15normal_iteratorINS9_10device_ptrIxEEEESE_x11max_functorIxExEEDaPvRmT3_T4_T5_mT6_P12ihipStream_tbENKUlT_T0_E_clISt17integral_constantIbLb0EESU_EEDaSP_SQ_EUlSP_E0_NS1_11comp_targetILNS1_3genE0ELNS1_11target_archE4294967295ELNS1_3gpuE0ELNS1_3repE0EEENS1_30default_config_static_selectorELNS0_4arch9wavefront6targetE1EEEvT1_
; %bb.0:
	.section	.rodata,"a",@progbits
	.p2align	6, 0x0
	.amdhsa_kernel _ZN7rocprim17ROCPRIM_400000_NS6detail17trampoline_kernelINS0_14default_configENS1_20scan_config_selectorIxEEZZNS1_9scan_implILNS1_25lookback_scan_determinismE0ELb1ELb1ES3_N6thrust23THRUST_200600_302600_NS6detail15normal_iteratorINS9_10device_ptrIxEEEESE_x11max_functorIxExEEDaPvRmT3_T4_T5_mT6_P12ihipStream_tbENKUlT_T0_E_clISt17integral_constantIbLb0EESU_EEDaSP_SQ_EUlSP_E0_NS1_11comp_targetILNS1_3genE0ELNS1_11target_archE4294967295ELNS1_3gpuE0ELNS1_3repE0EEENS1_30default_config_static_selectorELNS0_4arch9wavefront6targetE1EEEvT1_
		.amdhsa_group_segment_fixed_size 0
		.amdhsa_private_segment_fixed_size 0
		.amdhsa_kernarg_size 40
		.amdhsa_user_sgpr_count 6
		.amdhsa_user_sgpr_private_segment_buffer 1
		.amdhsa_user_sgpr_dispatch_ptr 0
		.amdhsa_user_sgpr_queue_ptr 0
		.amdhsa_user_sgpr_kernarg_segment_ptr 1
		.amdhsa_user_sgpr_dispatch_id 0
		.amdhsa_user_sgpr_flat_scratch_init 0
		.amdhsa_user_sgpr_kernarg_preload_length 0
		.amdhsa_user_sgpr_kernarg_preload_offset 0
		.amdhsa_user_sgpr_private_segment_size 0
		.amdhsa_uses_dynamic_stack 0
		.amdhsa_system_sgpr_private_segment_wavefront_offset 0
		.amdhsa_system_sgpr_workgroup_id_x 1
		.amdhsa_system_sgpr_workgroup_id_y 0
		.amdhsa_system_sgpr_workgroup_id_z 0
		.amdhsa_system_sgpr_workgroup_info 0
		.amdhsa_system_vgpr_workitem_id 0
		.amdhsa_next_free_vgpr 1
		.amdhsa_next_free_sgpr 0
		.amdhsa_accum_offset 4
		.amdhsa_reserve_vcc 0
		.amdhsa_reserve_flat_scratch 0
		.amdhsa_float_round_mode_32 0
		.amdhsa_float_round_mode_16_64 0
		.amdhsa_float_denorm_mode_32 3
		.amdhsa_float_denorm_mode_16_64 3
		.amdhsa_dx10_clamp 1
		.amdhsa_ieee_mode 1
		.amdhsa_fp16_overflow 0
		.amdhsa_tg_split 0
		.amdhsa_exception_fp_ieee_invalid_op 0
		.amdhsa_exception_fp_denorm_src 0
		.amdhsa_exception_fp_ieee_div_zero 0
		.amdhsa_exception_fp_ieee_overflow 0
		.amdhsa_exception_fp_ieee_underflow 0
		.amdhsa_exception_fp_ieee_inexact 0
		.amdhsa_exception_int_div_zero 0
	.end_amdhsa_kernel
	.section	.text._ZN7rocprim17ROCPRIM_400000_NS6detail17trampoline_kernelINS0_14default_configENS1_20scan_config_selectorIxEEZZNS1_9scan_implILNS1_25lookback_scan_determinismE0ELb1ELb1ES3_N6thrust23THRUST_200600_302600_NS6detail15normal_iteratorINS9_10device_ptrIxEEEESE_x11max_functorIxExEEDaPvRmT3_T4_T5_mT6_P12ihipStream_tbENKUlT_T0_E_clISt17integral_constantIbLb0EESU_EEDaSP_SQ_EUlSP_E0_NS1_11comp_targetILNS1_3genE0ELNS1_11target_archE4294967295ELNS1_3gpuE0ELNS1_3repE0EEENS1_30default_config_static_selectorELNS0_4arch9wavefront6targetE1EEEvT1_,"axG",@progbits,_ZN7rocprim17ROCPRIM_400000_NS6detail17trampoline_kernelINS0_14default_configENS1_20scan_config_selectorIxEEZZNS1_9scan_implILNS1_25lookback_scan_determinismE0ELb1ELb1ES3_N6thrust23THRUST_200600_302600_NS6detail15normal_iteratorINS9_10device_ptrIxEEEESE_x11max_functorIxExEEDaPvRmT3_T4_T5_mT6_P12ihipStream_tbENKUlT_T0_E_clISt17integral_constantIbLb0EESU_EEDaSP_SQ_EUlSP_E0_NS1_11comp_targetILNS1_3genE0ELNS1_11target_archE4294967295ELNS1_3gpuE0ELNS1_3repE0EEENS1_30default_config_static_selectorELNS0_4arch9wavefront6targetE1EEEvT1_,comdat
.Lfunc_end2639:
	.size	_ZN7rocprim17ROCPRIM_400000_NS6detail17trampoline_kernelINS0_14default_configENS1_20scan_config_selectorIxEEZZNS1_9scan_implILNS1_25lookback_scan_determinismE0ELb1ELb1ES3_N6thrust23THRUST_200600_302600_NS6detail15normal_iteratorINS9_10device_ptrIxEEEESE_x11max_functorIxExEEDaPvRmT3_T4_T5_mT6_P12ihipStream_tbENKUlT_T0_E_clISt17integral_constantIbLb0EESU_EEDaSP_SQ_EUlSP_E0_NS1_11comp_targetILNS1_3genE0ELNS1_11target_archE4294967295ELNS1_3gpuE0ELNS1_3repE0EEENS1_30default_config_static_selectorELNS0_4arch9wavefront6targetE1EEEvT1_, .Lfunc_end2639-_ZN7rocprim17ROCPRIM_400000_NS6detail17trampoline_kernelINS0_14default_configENS1_20scan_config_selectorIxEEZZNS1_9scan_implILNS1_25lookback_scan_determinismE0ELb1ELb1ES3_N6thrust23THRUST_200600_302600_NS6detail15normal_iteratorINS9_10device_ptrIxEEEESE_x11max_functorIxExEEDaPvRmT3_T4_T5_mT6_P12ihipStream_tbENKUlT_T0_E_clISt17integral_constantIbLb0EESU_EEDaSP_SQ_EUlSP_E0_NS1_11comp_targetILNS1_3genE0ELNS1_11target_archE4294967295ELNS1_3gpuE0ELNS1_3repE0EEENS1_30default_config_static_selectorELNS0_4arch9wavefront6targetE1EEEvT1_
                                        ; -- End function
	.section	.AMDGPU.csdata,"",@progbits
; Kernel info:
; codeLenInByte = 0
; NumSgprs: 4
; NumVgprs: 0
; NumAgprs: 0
; TotalNumVgprs: 0
; ScratchSize: 0
; MemoryBound: 0
; FloatMode: 240
; IeeeMode: 1
; LDSByteSize: 0 bytes/workgroup (compile time only)
; SGPRBlocks: 0
; VGPRBlocks: 0
; NumSGPRsForWavesPerEU: 4
; NumVGPRsForWavesPerEU: 1
; AccumOffset: 4
; Occupancy: 8
; WaveLimiterHint : 0
; COMPUTE_PGM_RSRC2:SCRATCH_EN: 0
; COMPUTE_PGM_RSRC2:USER_SGPR: 6
; COMPUTE_PGM_RSRC2:TRAP_HANDLER: 0
; COMPUTE_PGM_RSRC2:TGID_X_EN: 1
; COMPUTE_PGM_RSRC2:TGID_Y_EN: 0
; COMPUTE_PGM_RSRC2:TGID_Z_EN: 0
; COMPUTE_PGM_RSRC2:TIDIG_COMP_CNT: 0
; COMPUTE_PGM_RSRC3_GFX90A:ACCUM_OFFSET: 0
; COMPUTE_PGM_RSRC3_GFX90A:TG_SPLIT: 0
	.section	.text._ZN7rocprim17ROCPRIM_400000_NS6detail17trampoline_kernelINS0_14default_configENS1_20scan_config_selectorIxEEZZNS1_9scan_implILNS1_25lookback_scan_determinismE0ELb1ELb1ES3_N6thrust23THRUST_200600_302600_NS6detail15normal_iteratorINS9_10device_ptrIxEEEESE_x11max_functorIxExEEDaPvRmT3_T4_T5_mT6_P12ihipStream_tbENKUlT_T0_E_clISt17integral_constantIbLb0EESU_EEDaSP_SQ_EUlSP_E0_NS1_11comp_targetILNS1_3genE5ELNS1_11target_archE942ELNS1_3gpuE9ELNS1_3repE0EEENS1_30default_config_static_selectorELNS0_4arch9wavefront6targetE1EEEvT1_,"axG",@progbits,_ZN7rocprim17ROCPRIM_400000_NS6detail17trampoline_kernelINS0_14default_configENS1_20scan_config_selectorIxEEZZNS1_9scan_implILNS1_25lookback_scan_determinismE0ELb1ELb1ES3_N6thrust23THRUST_200600_302600_NS6detail15normal_iteratorINS9_10device_ptrIxEEEESE_x11max_functorIxExEEDaPvRmT3_T4_T5_mT6_P12ihipStream_tbENKUlT_T0_E_clISt17integral_constantIbLb0EESU_EEDaSP_SQ_EUlSP_E0_NS1_11comp_targetILNS1_3genE5ELNS1_11target_archE942ELNS1_3gpuE9ELNS1_3repE0EEENS1_30default_config_static_selectorELNS0_4arch9wavefront6targetE1EEEvT1_,comdat
	.protected	_ZN7rocprim17ROCPRIM_400000_NS6detail17trampoline_kernelINS0_14default_configENS1_20scan_config_selectorIxEEZZNS1_9scan_implILNS1_25lookback_scan_determinismE0ELb1ELb1ES3_N6thrust23THRUST_200600_302600_NS6detail15normal_iteratorINS9_10device_ptrIxEEEESE_x11max_functorIxExEEDaPvRmT3_T4_T5_mT6_P12ihipStream_tbENKUlT_T0_E_clISt17integral_constantIbLb0EESU_EEDaSP_SQ_EUlSP_E0_NS1_11comp_targetILNS1_3genE5ELNS1_11target_archE942ELNS1_3gpuE9ELNS1_3repE0EEENS1_30default_config_static_selectorELNS0_4arch9wavefront6targetE1EEEvT1_ ; -- Begin function _ZN7rocprim17ROCPRIM_400000_NS6detail17trampoline_kernelINS0_14default_configENS1_20scan_config_selectorIxEEZZNS1_9scan_implILNS1_25lookback_scan_determinismE0ELb1ELb1ES3_N6thrust23THRUST_200600_302600_NS6detail15normal_iteratorINS9_10device_ptrIxEEEESE_x11max_functorIxExEEDaPvRmT3_T4_T5_mT6_P12ihipStream_tbENKUlT_T0_E_clISt17integral_constantIbLb0EESU_EEDaSP_SQ_EUlSP_E0_NS1_11comp_targetILNS1_3genE5ELNS1_11target_archE942ELNS1_3gpuE9ELNS1_3repE0EEENS1_30default_config_static_selectorELNS0_4arch9wavefront6targetE1EEEvT1_
	.globl	_ZN7rocprim17ROCPRIM_400000_NS6detail17trampoline_kernelINS0_14default_configENS1_20scan_config_selectorIxEEZZNS1_9scan_implILNS1_25lookback_scan_determinismE0ELb1ELb1ES3_N6thrust23THRUST_200600_302600_NS6detail15normal_iteratorINS9_10device_ptrIxEEEESE_x11max_functorIxExEEDaPvRmT3_T4_T5_mT6_P12ihipStream_tbENKUlT_T0_E_clISt17integral_constantIbLb0EESU_EEDaSP_SQ_EUlSP_E0_NS1_11comp_targetILNS1_3genE5ELNS1_11target_archE942ELNS1_3gpuE9ELNS1_3repE0EEENS1_30default_config_static_selectorELNS0_4arch9wavefront6targetE1EEEvT1_
	.p2align	8
	.type	_ZN7rocprim17ROCPRIM_400000_NS6detail17trampoline_kernelINS0_14default_configENS1_20scan_config_selectorIxEEZZNS1_9scan_implILNS1_25lookback_scan_determinismE0ELb1ELb1ES3_N6thrust23THRUST_200600_302600_NS6detail15normal_iteratorINS9_10device_ptrIxEEEESE_x11max_functorIxExEEDaPvRmT3_T4_T5_mT6_P12ihipStream_tbENKUlT_T0_E_clISt17integral_constantIbLb0EESU_EEDaSP_SQ_EUlSP_E0_NS1_11comp_targetILNS1_3genE5ELNS1_11target_archE942ELNS1_3gpuE9ELNS1_3repE0EEENS1_30default_config_static_selectorELNS0_4arch9wavefront6targetE1EEEvT1_,@function
_ZN7rocprim17ROCPRIM_400000_NS6detail17trampoline_kernelINS0_14default_configENS1_20scan_config_selectorIxEEZZNS1_9scan_implILNS1_25lookback_scan_determinismE0ELb1ELb1ES3_N6thrust23THRUST_200600_302600_NS6detail15normal_iteratorINS9_10device_ptrIxEEEESE_x11max_functorIxExEEDaPvRmT3_T4_T5_mT6_P12ihipStream_tbENKUlT_T0_E_clISt17integral_constantIbLb0EESU_EEDaSP_SQ_EUlSP_E0_NS1_11comp_targetILNS1_3genE5ELNS1_11target_archE942ELNS1_3gpuE9ELNS1_3repE0EEENS1_30default_config_static_selectorELNS0_4arch9wavefront6targetE1EEEvT1_: ; @_ZN7rocprim17ROCPRIM_400000_NS6detail17trampoline_kernelINS0_14default_configENS1_20scan_config_selectorIxEEZZNS1_9scan_implILNS1_25lookback_scan_determinismE0ELb1ELb1ES3_N6thrust23THRUST_200600_302600_NS6detail15normal_iteratorINS9_10device_ptrIxEEEESE_x11max_functorIxExEEDaPvRmT3_T4_T5_mT6_P12ihipStream_tbENKUlT_T0_E_clISt17integral_constantIbLb0EESU_EEDaSP_SQ_EUlSP_E0_NS1_11comp_targetILNS1_3genE5ELNS1_11target_archE942ELNS1_3gpuE9ELNS1_3repE0EEENS1_30default_config_static_selectorELNS0_4arch9wavefront6targetE1EEEvT1_
; %bb.0:
	.section	.rodata,"a",@progbits
	.p2align	6, 0x0
	.amdhsa_kernel _ZN7rocprim17ROCPRIM_400000_NS6detail17trampoline_kernelINS0_14default_configENS1_20scan_config_selectorIxEEZZNS1_9scan_implILNS1_25lookback_scan_determinismE0ELb1ELb1ES3_N6thrust23THRUST_200600_302600_NS6detail15normal_iteratorINS9_10device_ptrIxEEEESE_x11max_functorIxExEEDaPvRmT3_T4_T5_mT6_P12ihipStream_tbENKUlT_T0_E_clISt17integral_constantIbLb0EESU_EEDaSP_SQ_EUlSP_E0_NS1_11comp_targetILNS1_3genE5ELNS1_11target_archE942ELNS1_3gpuE9ELNS1_3repE0EEENS1_30default_config_static_selectorELNS0_4arch9wavefront6targetE1EEEvT1_
		.amdhsa_group_segment_fixed_size 0
		.amdhsa_private_segment_fixed_size 0
		.amdhsa_kernarg_size 40
		.amdhsa_user_sgpr_count 6
		.amdhsa_user_sgpr_private_segment_buffer 1
		.amdhsa_user_sgpr_dispatch_ptr 0
		.amdhsa_user_sgpr_queue_ptr 0
		.amdhsa_user_sgpr_kernarg_segment_ptr 1
		.amdhsa_user_sgpr_dispatch_id 0
		.amdhsa_user_sgpr_flat_scratch_init 0
		.amdhsa_user_sgpr_kernarg_preload_length 0
		.amdhsa_user_sgpr_kernarg_preload_offset 0
		.amdhsa_user_sgpr_private_segment_size 0
		.amdhsa_uses_dynamic_stack 0
		.amdhsa_system_sgpr_private_segment_wavefront_offset 0
		.amdhsa_system_sgpr_workgroup_id_x 1
		.amdhsa_system_sgpr_workgroup_id_y 0
		.amdhsa_system_sgpr_workgroup_id_z 0
		.amdhsa_system_sgpr_workgroup_info 0
		.amdhsa_system_vgpr_workitem_id 0
		.amdhsa_next_free_vgpr 1
		.amdhsa_next_free_sgpr 0
		.amdhsa_accum_offset 4
		.amdhsa_reserve_vcc 0
		.amdhsa_reserve_flat_scratch 0
		.amdhsa_float_round_mode_32 0
		.amdhsa_float_round_mode_16_64 0
		.amdhsa_float_denorm_mode_32 3
		.amdhsa_float_denorm_mode_16_64 3
		.amdhsa_dx10_clamp 1
		.amdhsa_ieee_mode 1
		.amdhsa_fp16_overflow 0
		.amdhsa_tg_split 0
		.amdhsa_exception_fp_ieee_invalid_op 0
		.amdhsa_exception_fp_denorm_src 0
		.amdhsa_exception_fp_ieee_div_zero 0
		.amdhsa_exception_fp_ieee_overflow 0
		.amdhsa_exception_fp_ieee_underflow 0
		.amdhsa_exception_fp_ieee_inexact 0
		.amdhsa_exception_int_div_zero 0
	.end_amdhsa_kernel
	.section	.text._ZN7rocprim17ROCPRIM_400000_NS6detail17trampoline_kernelINS0_14default_configENS1_20scan_config_selectorIxEEZZNS1_9scan_implILNS1_25lookback_scan_determinismE0ELb1ELb1ES3_N6thrust23THRUST_200600_302600_NS6detail15normal_iteratorINS9_10device_ptrIxEEEESE_x11max_functorIxExEEDaPvRmT3_T4_T5_mT6_P12ihipStream_tbENKUlT_T0_E_clISt17integral_constantIbLb0EESU_EEDaSP_SQ_EUlSP_E0_NS1_11comp_targetILNS1_3genE5ELNS1_11target_archE942ELNS1_3gpuE9ELNS1_3repE0EEENS1_30default_config_static_selectorELNS0_4arch9wavefront6targetE1EEEvT1_,"axG",@progbits,_ZN7rocprim17ROCPRIM_400000_NS6detail17trampoline_kernelINS0_14default_configENS1_20scan_config_selectorIxEEZZNS1_9scan_implILNS1_25lookback_scan_determinismE0ELb1ELb1ES3_N6thrust23THRUST_200600_302600_NS6detail15normal_iteratorINS9_10device_ptrIxEEEESE_x11max_functorIxExEEDaPvRmT3_T4_T5_mT6_P12ihipStream_tbENKUlT_T0_E_clISt17integral_constantIbLb0EESU_EEDaSP_SQ_EUlSP_E0_NS1_11comp_targetILNS1_3genE5ELNS1_11target_archE942ELNS1_3gpuE9ELNS1_3repE0EEENS1_30default_config_static_selectorELNS0_4arch9wavefront6targetE1EEEvT1_,comdat
.Lfunc_end2640:
	.size	_ZN7rocprim17ROCPRIM_400000_NS6detail17trampoline_kernelINS0_14default_configENS1_20scan_config_selectorIxEEZZNS1_9scan_implILNS1_25lookback_scan_determinismE0ELb1ELb1ES3_N6thrust23THRUST_200600_302600_NS6detail15normal_iteratorINS9_10device_ptrIxEEEESE_x11max_functorIxExEEDaPvRmT3_T4_T5_mT6_P12ihipStream_tbENKUlT_T0_E_clISt17integral_constantIbLb0EESU_EEDaSP_SQ_EUlSP_E0_NS1_11comp_targetILNS1_3genE5ELNS1_11target_archE942ELNS1_3gpuE9ELNS1_3repE0EEENS1_30default_config_static_selectorELNS0_4arch9wavefront6targetE1EEEvT1_, .Lfunc_end2640-_ZN7rocprim17ROCPRIM_400000_NS6detail17trampoline_kernelINS0_14default_configENS1_20scan_config_selectorIxEEZZNS1_9scan_implILNS1_25lookback_scan_determinismE0ELb1ELb1ES3_N6thrust23THRUST_200600_302600_NS6detail15normal_iteratorINS9_10device_ptrIxEEEESE_x11max_functorIxExEEDaPvRmT3_T4_T5_mT6_P12ihipStream_tbENKUlT_T0_E_clISt17integral_constantIbLb0EESU_EEDaSP_SQ_EUlSP_E0_NS1_11comp_targetILNS1_3genE5ELNS1_11target_archE942ELNS1_3gpuE9ELNS1_3repE0EEENS1_30default_config_static_selectorELNS0_4arch9wavefront6targetE1EEEvT1_
                                        ; -- End function
	.section	.AMDGPU.csdata,"",@progbits
; Kernel info:
; codeLenInByte = 0
; NumSgprs: 4
; NumVgprs: 0
; NumAgprs: 0
; TotalNumVgprs: 0
; ScratchSize: 0
; MemoryBound: 0
; FloatMode: 240
; IeeeMode: 1
; LDSByteSize: 0 bytes/workgroup (compile time only)
; SGPRBlocks: 0
; VGPRBlocks: 0
; NumSGPRsForWavesPerEU: 4
; NumVGPRsForWavesPerEU: 1
; AccumOffset: 4
; Occupancy: 8
; WaveLimiterHint : 0
; COMPUTE_PGM_RSRC2:SCRATCH_EN: 0
; COMPUTE_PGM_RSRC2:USER_SGPR: 6
; COMPUTE_PGM_RSRC2:TRAP_HANDLER: 0
; COMPUTE_PGM_RSRC2:TGID_X_EN: 1
; COMPUTE_PGM_RSRC2:TGID_Y_EN: 0
; COMPUTE_PGM_RSRC2:TGID_Z_EN: 0
; COMPUTE_PGM_RSRC2:TIDIG_COMP_CNT: 0
; COMPUTE_PGM_RSRC3_GFX90A:ACCUM_OFFSET: 0
; COMPUTE_PGM_RSRC3_GFX90A:TG_SPLIT: 0
	.section	.text._ZN7rocprim17ROCPRIM_400000_NS6detail17trampoline_kernelINS0_14default_configENS1_20scan_config_selectorIxEEZZNS1_9scan_implILNS1_25lookback_scan_determinismE0ELb1ELb1ES3_N6thrust23THRUST_200600_302600_NS6detail15normal_iteratorINS9_10device_ptrIxEEEESE_x11max_functorIxExEEDaPvRmT3_T4_T5_mT6_P12ihipStream_tbENKUlT_T0_E_clISt17integral_constantIbLb0EESU_EEDaSP_SQ_EUlSP_E0_NS1_11comp_targetILNS1_3genE4ELNS1_11target_archE910ELNS1_3gpuE8ELNS1_3repE0EEENS1_30default_config_static_selectorELNS0_4arch9wavefront6targetE1EEEvT1_,"axG",@progbits,_ZN7rocprim17ROCPRIM_400000_NS6detail17trampoline_kernelINS0_14default_configENS1_20scan_config_selectorIxEEZZNS1_9scan_implILNS1_25lookback_scan_determinismE0ELb1ELb1ES3_N6thrust23THRUST_200600_302600_NS6detail15normal_iteratorINS9_10device_ptrIxEEEESE_x11max_functorIxExEEDaPvRmT3_T4_T5_mT6_P12ihipStream_tbENKUlT_T0_E_clISt17integral_constantIbLb0EESU_EEDaSP_SQ_EUlSP_E0_NS1_11comp_targetILNS1_3genE4ELNS1_11target_archE910ELNS1_3gpuE8ELNS1_3repE0EEENS1_30default_config_static_selectorELNS0_4arch9wavefront6targetE1EEEvT1_,comdat
	.protected	_ZN7rocprim17ROCPRIM_400000_NS6detail17trampoline_kernelINS0_14default_configENS1_20scan_config_selectorIxEEZZNS1_9scan_implILNS1_25lookback_scan_determinismE0ELb1ELb1ES3_N6thrust23THRUST_200600_302600_NS6detail15normal_iteratorINS9_10device_ptrIxEEEESE_x11max_functorIxExEEDaPvRmT3_T4_T5_mT6_P12ihipStream_tbENKUlT_T0_E_clISt17integral_constantIbLb0EESU_EEDaSP_SQ_EUlSP_E0_NS1_11comp_targetILNS1_3genE4ELNS1_11target_archE910ELNS1_3gpuE8ELNS1_3repE0EEENS1_30default_config_static_selectorELNS0_4arch9wavefront6targetE1EEEvT1_ ; -- Begin function _ZN7rocprim17ROCPRIM_400000_NS6detail17trampoline_kernelINS0_14default_configENS1_20scan_config_selectorIxEEZZNS1_9scan_implILNS1_25lookback_scan_determinismE0ELb1ELb1ES3_N6thrust23THRUST_200600_302600_NS6detail15normal_iteratorINS9_10device_ptrIxEEEESE_x11max_functorIxExEEDaPvRmT3_T4_T5_mT6_P12ihipStream_tbENKUlT_T0_E_clISt17integral_constantIbLb0EESU_EEDaSP_SQ_EUlSP_E0_NS1_11comp_targetILNS1_3genE4ELNS1_11target_archE910ELNS1_3gpuE8ELNS1_3repE0EEENS1_30default_config_static_selectorELNS0_4arch9wavefront6targetE1EEEvT1_
	.globl	_ZN7rocprim17ROCPRIM_400000_NS6detail17trampoline_kernelINS0_14default_configENS1_20scan_config_selectorIxEEZZNS1_9scan_implILNS1_25lookback_scan_determinismE0ELb1ELb1ES3_N6thrust23THRUST_200600_302600_NS6detail15normal_iteratorINS9_10device_ptrIxEEEESE_x11max_functorIxExEEDaPvRmT3_T4_T5_mT6_P12ihipStream_tbENKUlT_T0_E_clISt17integral_constantIbLb0EESU_EEDaSP_SQ_EUlSP_E0_NS1_11comp_targetILNS1_3genE4ELNS1_11target_archE910ELNS1_3gpuE8ELNS1_3repE0EEENS1_30default_config_static_selectorELNS0_4arch9wavefront6targetE1EEEvT1_
	.p2align	8
	.type	_ZN7rocprim17ROCPRIM_400000_NS6detail17trampoline_kernelINS0_14default_configENS1_20scan_config_selectorIxEEZZNS1_9scan_implILNS1_25lookback_scan_determinismE0ELb1ELb1ES3_N6thrust23THRUST_200600_302600_NS6detail15normal_iteratorINS9_10device_ptrIxEEEESE_x11max_functorIxExEEDaPvRmT3_T4_T5_mT6_P12ihipStream_tbENKUlT_T0_E_clISt17integral_constantIbLb0EESU_EEDaSP_SQ_EUlSP_E0_NS1_11comp_targetILNS1_3genE4ELNS1_11target_archE910ELNS1_3gpuE8ELNS1_3repE0EEENS1_30default_config_static_selectorELNS0_4arch9wavefront6targetE1EEEvT1_,@function
_ZN7rocprim17ROCPRIM_400000_NS6detail17trampoline_kernelINS0_14default_configENS1_20scan_config_selectorIxEEZZNS1_9scan_implILNS1_25lookback_scan_determinismE0ELb1ELb1ES3_N6thrust23THRUST_200600_302600_NS6detail15normal_iteratorINS9_10device_ptrIxEEEESE_x11max_functorIxExEEDaPvRmT3_T4_T5_mT6_P12ihipStream_tbENKUlT_T0_E_clISt17integral_constantIbLb0EESU_EEDaSP_SQ_EUlSP_E0_NS1_11comp_targetILNS1_3genE4ELNS1_11target_archE910ELNS1_3gpuE8ELNS1_3repE0EEENS1_30default_config_static_selectorELNS0_4arch9wavefront6targetE1EEEvT1_: ; @_ZN7rocprim17ROCPRIM_400000_NS6detail17trampoline_kernelINS0_14default_configENS1_20scan_config_selectorIxEEZZNS1_9scan_implILNS1_25lookback_scan_determinismE0ELb1ELb1ES3_N6thrust23THRUST_200600_302600_NS6detail15normal_iteratorINS9_10device_ptrIxEEEESE_x11max_functorIxExEEDaPvRmT3_T4_T5_mT6_P12ihipStream_tbENKUlT_T0_E_clISt17integral_constantIbLb0EESU_EEDaSP_SQ_EUlSP_E0_NS1_11comp_targetILNS1_3genE4ELNS1_11target_archE910ELNS1_3gpuE8ELNS1_3repE0EEENS1_30default_config_static_selectorELNS0_4arch9wavefront6targetE1EEEvT1_
; %bb.0:
	s_load_dwordx4 s[16:19], s[4:5], 0x0
	v_lshlrev_b32_e32 v24, 3, v0
	s_waitcnt lgkmcnt(0)
	s_load_dwordx2 s[14:15], s[16:17], 0x0
	v_cmp_gt_u32_e32 vcc, s18, v0
	s_waitcnt lgkmcnt(0)
	v_pk_mov_b32 v[2:3], s[14:15], s[14:15] op_sel:[0,1]
	s_and_saveexec_b64 s[0:1], vcc
	s_cbranch_execz .LBB2641_2
; %bb.1:
	global_load_dwordx2 v[2:3], v24, s[16:17]
.LBB2641_2:
	s_or_b64 exec, exec, s[0:1]
	v_or_b32_e32 v1, 0x80, v0
	v_cmp_gt_u32_e64 s[0:1], s18, v1
	v_pk_mov_b32 v[4:5], s[14:15], s[14:15] op_sel:[0,1]
	s_and_saveexec_b64 s[2:3], s[0:1]
	s_cbranch_execz .LBB2641_4
; %bb.3:
	global_load_dwordx2 v[4:5], v24, s[16:17] offset:1024
.LBB2641_4:
	s_or_b64 exec, exec, s[2:3]
	v_or_b32_e32 v1, 0x100, v0
	v_cmp_gt_u32_e64 s[2:3], s18, v1
	v_pk_mov_b32 v[6:7], s[14:15], s[14:15] op_sel:[0,1]
	s_and_saveexec_b64 s[6:7], s[2:3]
	s_cbranch_execz .LBB2641_6
; %bb.5:
	global_load_dwordx2 v[6:7], v24, s[16:17] offset:2048
.LBB2641_6:
	s_or_b64 exec, exec, s[6:7]
	v_or_b32_e32 v1, 0x180, v0
	v_cmp_gt_u32_e64 s[12:13], s18, v1
	v_pk_mov_b32 v[8:9], s[14:15], s[14:15] op_sel:[0,1]
	s_and_saveexec_b64 s[6:7], s[12:13]
	s_cbranch_execz .LBB2641_8
; %bb.7:
	global_load_dwordx2 v[8:9], v24, s[16:17] offset:3072
.LBB2641_8:
	s_or_b64 exec, exec, s[6:7]
	v_or_b32_e32 v1, 0x200, v0
	v_cmp_gt_u32_e64 s[6:7], s18, v1
	v_pk_mov_b32 v[10:11], s[14:15], s[14:15] op_sel:[0,1]
	s_and_saveexec_b64 s[8:9], s[6:7]
	s_cbranch_execz .LBB2641_10
; %bb.9:
	v_lshlrev_b32_e32 v1, 3, v1
	global_load_dwordx2 v[10:11], v1, s[16:17]
.LBB2641_10:
	s_or_b64 exec, exec, s[8:9]
	v_or_b32_e32 v1, 0x280, v0
	v_cmp_gt_u32_e64 s[8:9], s18, v1
	v_pk_mov_b32 v[12:13], s[14:15], s[14:15] op_sel:[0,1]
	s_and_saveexec_b64 s[10:11], s[8:9]
	s_cbranch_execz .LBB2641_12
; %bb.11:
	v_lshlrev_b32_e32 v1, 3, v1
	global_load_dwordx2 v[12:13], v1, s[16:17]
.LBB2641_12:
	s_or_b64 exec, exec, s[10:11]
	s_load_dwordx2 s[20:21], s[4:5], 0x10
	v_or_b32_e32 v1, 0x300, v0
	v_cmp_gt_u32_e64 s[10:11], s18, v1
	v_pk_mov_b32 v[14:15], s[14:15], s[14:15] op_sel:[0,1]
	s_and_saveexec_b64 s[14:15], s[10:11]
	s_cbranch_execz .LBB2641_14
; %bb.13:
	v_lshlrev_b32_e32 v1, 3, v1
	global_load_dwordx2 v[14:15], v1, s[16:17]
.LBB2641_14:
	s_or_b64 exec, exec, s[14:15]
	v_mad_u32_u24 v1, v0, 48, v24
	s_waitcnt vmcnt(0)
	ds_write2st64_b64 v24, v[2:3], v[4:5] offset1:2
	ds_write2st64_b64 v24, v[6:7], v[8:9] offset0:4 offset1:6
	ds_write2st64_b64 v24, v[10:11], v[12:13] offset0:8 offset1:10
	ds_write_b64 v24, v[14:15] offset:6144
	s_waitcnt lgkmcnt(0)
	s_barrier
	ds_read2_b64 v[10:13], v1 offset1:1
	ds_read2_b64 v[6:9], v1 offset0:2 offset1:3
	ds_read2_b64 v[2:5], v1 offset0:4 offset1:5
	ds_read_b64 v[14:15], v1 offset:48
	s_load_dwordx2 s[16:17], s[4:5], 0x20
	s_waitcnt lgkmcnt(0)
	v_cmp_gt_i64_e64 s[4:5], v[10:11], v[12:13]
	v_cndmask_b32_e64 v17, v13, v11, s[4:5]
	v_cndmask_b32_e64 v16, v12, v10, s[4:5]
	v_cmp_gt_i64_e64 s[4:5], v[16:17], v[6:7]
	v_cndmask_b32_e64 v17, v7, v17, s[4:5]
	v_cndmask_b32_e64 v16, v6, v16, s[4:5]
	;; [unrolled: 3-line block ×5, first 2 shown]
	v_cmp_gt_i64_e64 s[4:5], v[16:17], v[14:15]
	v_cndmask_b32_e64 v18, v14, v16, s[4:5]
	v_lshrrev_b32_e32 v14, 2, v0
	v_and_b32_e32 v14, 24, v14
	v_cndmask_b32_e64 v19, v15, v17, s[4:5]
	v_add_u32_e32 v14, v24, v14
	v_cmp_gt_u32_e64 s[4:5], 64, v0
	s_barrier
	ds_write_b64 v14, v[18:19]
	s_waitcnt lgkmcnt(0)
	s_barrier
	s_and_saveexec_b64 s[18:19], s[4:5]
	s_cbranch_execz .LBB2641_18
; %bb.15:
	v_lshlrev_b32_e32 v14, 1, v0
	v_lshrrev_b32_e32 v15, 4, v0
	v_add_lshl_u32 v25, v15, v14, 3
	ds_read2_b64 v[14:17], v25 offset1:1
	v_mbcnt_lo_u32_b32 v20, -1, 0
	v_mbcnt_hi_u32_b32 v26, -1, v20
	v_and_b32_e32 v27, 15, v26
	v_and_b32_e32 v29, 16, v26
	s_waitcnt lgkmcnt(0)
	v_cmp_gt_i64_e64 s[4:5], v[14:15], v[16:17]
	v_cndmask_b32_e64 v17, v17, v15, s[4:5]
	v_cndmask_b32_e64 v16, v16, v14, s[4:5]
	v_cmp_ne_u32_e64 s[14:15], 0, v26
	v_mov_b32_dpp v21, v17 row_shr:1 row_mask:0xf bank_mask:0xf
	v_mov_b32_dpp v20, v16 row_shr:1 row_mask:0xf bank_mask:0xf
	v_cmp_gt_i64_e64 s[4:5], v[20:21], v[16:17]
	v_cndmask_b32_e64 v20, v16, v20, s[4:5]
	v_cndmask_b32_e64 v21, v17, v21, s[4:5]
	v_cmp_eq_u32_e64 s[4:5], 0, v27
	v_cndmask_b32_e64 v21, v21, v17, s[4:5]
	v_cndmask_b32_e64 v20, v20, v16, s[4:5]
	s_nop 0
	v_mov_b32_dpp v23, v21 row_shr:2 row_mask:0xf bank_mask:0xf
	v_mov_b32_dpp v22, v20 row_shr:2 row_mask:0xf bank_mask:0xf
	v_cmp_gt_i64_e64 s[4:5], v[22:23], v[20:21]
	v_cndmask_b32_e64 v22, v20, v22, s[4:5]
	v_cndmask_b32_e64 v23, v21, v23, s[4:5]
	v_cmp_lt_u32_e64 s[4:5], 1, v27
	v_cndmask_b32_e64 v21, v21, v23, s[4:5]
	v_cndmask_b32_e64 v20, v20, v22, s[4:5]
	s_nop 0
	v_mov_b32_dpp v23, v21 row_shr:4 row_mask:0xf bank_mask:0xf
	v_mov_b32_dpp v22, v20 row_shr:4 row_mask:0xf bank_mask:0xf
	v_cmp_gt_i64_e64 s[4:5], v[22:23], v[20:21]
	v_cndmask_b32_e64 v22, v20, v22, s[4:5]
	v_cndmask_b32_e64 v23, v21, v23, s[4:5]
	v_cmp_lt_u32_e64 s[4:5], 3, v27
	;; [unrolled: 9-line block ×3, first 2 shown]
	v_cndmask_b32_e64 v21, v21, v23, s[4:5]
	v_cndmask_b32_e64 v20, v20, v22, s[4:5]
	s_nop 0
	v_mov_b32_dpp v23, v21 row_bcast:15 row_mask:0xf bank_mask:0xf
	v_mov_b32_dpp v22, v20 row_bcast:15 row_mask:0xf bank_mask:0xf
	v_cmp_gt_i64_e64 s[4:5], v[22:23], v[20:21]
	v_cndmask_b32_e64 v27, v21, v23, s[4:5]
	v_cndmask_b32_e64 v28, v20, v22, s[4:5]
	v_cmp_eq_u32_e64 s[4:5], 0, v29
	v_cndmask_b32_e64 v23, v27, v21, s[4:5]
	v_cndmask_b32_e64 v22, v28, v20, s[4:5]
	s_nop 0
	v_mov_b32_dpp v23, v23 row_bcast:31 row_mask:0xf bank_mask:0xf
	v_mov_b32_dpp v22, v22 row_bcast:31 row_mask:0xf bank_mask:0xf
	s_and_saveexec_b64 s[22:23], s[14:15]
; %bb.16:
	v_cndmask_b32_e64 v17, v27, v21, s[4:5]
	v_cndmask_b32_e64 v16, v28, v20, s[4:5]
	v_cmp_lt_u32_e64 s[14:15], 31, v26
	v_cmp_gt_i64_e64 s[4:5], v[22:23], v[16:17]
	s_and_b64 s[4:5], s[14:15], s[4:5]
	v_cndmask_b32_e64 v16, v16, v22, s[4:5]
	v_cndmask_b32_e64 v17, v17, v23, s[4:5]
; %bb.17:
	s_or_b64 exec, exec, s[22:23]
	v_add_u32_e32 v20, -1, v26
	v_and_b32_e32 v21, 64, v26
	v_cmp_lt_i32_e64 s[4:5], v20, v21
	v_cndmask_b32_e64 v20, v20, v26, s[4:5]
	v_lshlrev_b32_e32 v20, 2, v20
	ds_bpermute_b32 v16, v20, v16
	ds_bpermute_b32 v17, v20, v17
	; wave barrier
	s_waitcnt lgkmcnt(0)
	v_cmp_gt_i64_e64 s[4:5], v[16:17], v[14:15]
	v_cndmask_b32_e64 v14, v14, v16, s[4:5]
	v_cndmask_b32_e64 v15, v15, v17, s[4:5]
	v_cmp_eq_u32_e64 s[4:5], 0, v0
	v_cndmask_b32_e64 v15, v15, v19, s[4:5]
	v_cndmask_b32_e64 v14, v14, v18, s[4:5]
	ds_write_b64 v25, v[14:15]
	; wave barrier
	ds_read_b64 v[16:17], v25 offset:8
	s_waitcnt lgkmcnt(0)
	v_cmp_gt_i64_e64 s[4:5], v[14:15], v[16:17]
	v_cndmask_b32_e64 v15, v17, v15, s[4:5]
	v_cndmask_b32_e64 v14, v16, v14, s[4:5]
	ds_write_b64 v25, v[14:15] offset:8
.LBB2641_18:
	s_or_b64 exec, exec, s[18:19]
	v_cmp_ne_u32_e64 s[4:5], 0, v0
	v_pk_mov_b32 v[14:15], s[20:21], s[20:21] op_sel:[0,1]
	s_waitcnt lgkmcnt(0)
	s_barrier
	s_and_saveexec_b64 s[14:15], s[4:5]
	s_cbranch_execz .LBB2641_20
; %bb.19:
	v_add_u32_e32 v14, -1, v0
	v_lshrrev_b32_e32 v15, 5, v14
	v_add_lshl_u32 v14, v15, v14, 3
	ds_read_b64 v[14:15], v14
	v_mov_b32_e32 v16, s21
	s_waitcnt lgkmcnt(0)
	v_cmp_gt_i64_e64 s[4:5], s[20:21], v[14:15]
	v_cndmask_b32_e64 v15, v15, v16, s[4:5]
	v_mov_b32_e32 v16, s20
	v_cndmask_b32_e64 v14, v14, v16, s[4:5]
.LBB2641_20:
	s_or_b64 exec, exec, s[14:15]
	v_cmp_gt_i64_e64 s[4:5], v[14:15], v[10:11]
	v_cndmask_b32_e64 v11, v11, v15, s[4:5]
	v_cndmask_b32_e64 v10, v10, v14, s[4:5]
	v_cmp_gt_i64_e64 s[4:5], v[10:11], v[12:13]
	v_cndmask_b32_e64 v13, v13, v11, s[4:5]
	v_cndmask_b32_e64 v12, v12, v10, s[4:5]
	;; [unrolled: 3-line block ×6, first 2 shown]
	s_movk_i32 s4, 0xffd0
	v_mad_i32_i24 v0, v0, s4, v1
	s_barrier
	ds_write2_b64 v1, v[14:15], v[10:11] offset1:1
	ds_write2_b64 v1, v[12:13], v[6:7] offset0:2 offset1:3
	ds_write2_b64 v1, v[8:9], v[2:3] offset0:4 offset1:5
	ds_write_b64 v1, v[4:5] offset:48
	s_waitcnt lgkmcnt(0)
	s_barrier
	ds_read2st64_b64 v[8:11], v0 offset0:2 offset1:4
	ds_read2st64_b64 v[4:7], v0 offset0:6 offset1:8
	;; [unrolled: 1-line block ×3, first 2 shown]
	v_mov_b32_e32 v13, s17
	v_add_co_u32_e64 v12, s[4:5], s16, v24
	v_addc_co_u32_e64 v13, s[4:5], 0, v13, s[4:5]
	s_and_saveexec_b64 s[4:5], vcc
	s_cbranch_execnz .LBB2641_28
; %bb.21:
	s_or_b64 exec, exec, s[4:5]
	s_and_saveexec_b64 s[4:5], s[0:1]
	s_cbranch_execnz .LBB2641_29
.LBB2641_22:
	s_or_b64 exec, exec, s[4:5]
	s_and_saveexec_b64 s[0:1], s[2:3]
	s_cbranch_execnz .LBB2641_30
.LBB2641_23:
	s_or_b64 exec, exec, s[0:1]
	s_and_saveexec_b64 s[0:1], s[12:13]
	s_cbranch_execnz .LBB2641_31
.LBB2641_24:
	s_or_b64 exec, exec, s[0:1]
	s_and_saveexec_b64 s[0:1], s[6:7]
	s_cbranch_execnz .LBB2641_32
.LBB2641_25:
	s_or_b64 exec, exec, s[0:1]
	s_and_saveexec_b64 s[0:1], s[8:9]
	s_cbranch_execnz .LBB2641_33
.LBB2641_26:
	s_or_b64 exec, exec, s[0:1]
	s_and_saveexec_b64 s[0:1], s[10:11]
	s_cbranch_execnz .LBB2641_34
.LBB2641_27:
	s_endpgm
.LBB2641_28:
	ds_read_b64 v[14:15], v24
	s_waitcnt lgkmcnt(0)
	global_store_dwordx2 v[12:13], v[14:15], off
	s_or_b64 exec, exec, s[4:5]
	s_and_saveexec_b64 s[4:5], s[0:1]
	s_cbranch_execz .LBB2641_22
.LBB2641_29:
	s_waitcnt lgkmcnt(2)
	global_store_dwordx2 v[12:13], v[8:9], off offset:1024
	s_or_b64 exec, exec, s[4:5]
	s_and_saveexec_b64 s[0:1], s[2:3]
	s_cbranch_execz .LBB2641_23
.LBB2641_30:
	s_waitcnt lgkmcnt(2)
	global_store_dwordx2 v[12:13], v[10:11], off offset:2048
	s_or_b64 exec, exec, s[0:1]
	s_and_saveexec_b64 s[0:1], s[12:13]
	s_cbranch_execz .LBB2641_24
.LBB2641_31:
	s_waitcnt lgkmcnt(1)
	global_store_dwordx2 v[12:13], v[4:5], off offset:3072
	s_or_b64 exec, exec, s[0:1]
	s_and_saveexec_b64 s[0:1], s[6:7]
	s_cbranch_execz .LBB2641_25
.LBB2641_32:
	s_waitcnt lgkmcnt(1)
	v_add_co_u32_e32 v4, vcc, 0x1000, v12
	v_addc_co_u32_e32 v5, vcc, 0, v13, vcc
	global_store_dwordx2 v[4:5], v[6:7], off
	s_or_b64 exec, exec, s[0:1]
	s_and_saveexec_b64 s[0:1], s[8:9]
	s_cbranch_execz .LBB2641_26
.LBB2641_33:
	s_waitcnt lgkmcnt(1)
	v_add_co_u32_e32 v4, vcc, 0x1000, v12
	v_addc_co_u32_e32 v5, vcc, 0, v13, vcc
	s_waitcnt lgkmcnt(0)
	global_store_dwordx2 v[4:5], v[0:1], off offset:1024
	s_or_b64 exec, exec, s[0:1]
	s_and_saveexec_b64 s[0:1], s[10:11]
	s_cbranch_execz .LBB2641_27
.LBB2641_34:
	s_waitcnt lgkmcnt(0)
	v_add_co_u32_e32 v0, vcc, 0x1000, v12
	v_addc_co_u32_e32 v1, vcc, 0, v13, vcc
	global_store_dwordx2 v[0:1], v[2:3], off offset:2048
	s_endpgm
	.section	.rodata,"a",@progbits
	.p2align	6, 0x0
	.amdhsa_kernel _ZN7rocprim17ROCPRIM_400000_NS6detail17trampoline_kernelINS0_14default_configENS1_20scan_config_selectorIxEEZZNS1_9scan_implILNS1_25lookback_scan_determinismE0ELb1ELb1ES3_N6thrust23THRUST_200600_302600_NS6detail15normal_iteratorINS9_10device_ptrIxEEEESE_x11max_functorIxExEEDaPvRmT3_T4_T5_mT6_P12ihipStream_tbENKUlT_T0_E_clISt17integral_constantIbLb0EESU_EEDaSP_SQ_EUlSP_E0_NS1_11comp_targetILNS1_3genE4ELNS1_11target_archE910ELNS1_3gpuE8ELNS1_3repE0EEENS1_30default_config_static_selectorELNS0_4arch9wavefront6targetE1EEEvT1_
		.amdhsa_group_segment_fixed_size 7168
		.amdhsa_private_segment_fixed_size 0
		.amdhsa_kernarg_size 40
		.amdhsa_user_sgpr_count 6
		.amdhsa_user_sgpr_private_segment_buffer 1
		.amdhsa_user_sgpr_dispatch_ptr 0
		.amdhsa_user_sgpr_queue_ptr 0
		.amdhsa_user_sgpr_kernarg_segment_ptr 1
		.amdhsa_user_sgpr_dispatch_id 0
		.amdhsa_user_sgpr_flat_scratch_init 0
		.amdhsa_user_sgpr_kernarg_preload_length 0
		.amdhsa_user_sgpr_kernarg_preload_offset 0
		.amdhsa_user_sgpr_private_segment_size 0
		.amdhsa_uses_dynamic_stack 0
		.amdhsa_system_sgpr_private_segment_wavefront_offset 0
		.amdhsa_system_sgpr_workgroup_id_x 1
		.amdhsa_system_sgpr_workgroup_id_y 0
		.amdhsa_system_sgpr_workgroup_id_z 0
		.amdhsa_system_sgpr_workgroup_info 0
		.amdhsa_system_vgpr_workitem_id 0
		.amdhsa_next_free_vgpr 30
		.amdhsa_next_free_sgpr 24
		.amdhsa_accum_offset 32
		.amdhsa_reserve_vcc 1
		.amdhsa_reserve_flat_scratch 0
		.amdhsa_float_round_mode_32 0
		.amdhsa_float_round_mode_16_64 0
		.amdhsa_float_denorm_mode_32 3
		.amdhsa_float_denorm_mode_16_64 3
		.amdhsa_dx10_clamp 1
		.amdhsa_ieee_mode 1
		.amdhsa_fp16_overflow 0
		.amdhsa_tg_split 0
		.amdhsa_exception_fp_ieee_invalid_op 0
		.amdhsa_exception_fp_denorm_src 0
		.amdhsa_exception_fp_ieee_div_zero 0
		.amdhsa_exception_fp_ieee_overflow 0
		.amdhsa_exception_fp_ieee_underflow 0
		.amdhsa_exception_fp_ieee_inexact 0
		.amdhsa_exception_int_div_zero 0
	.end_amdhsa_kernel
	.section	.text._ZN7rocprim17ROCPRIM_400000_NS6detail17trampoline_kernelINS0_14default_configENS1_20scan_config_selectorIxEEZZNS1_9scan_implILNS1_25lookback_scan_determinismE0ELb1ELb1ES3_N6thrust23THRUST_200600_302600_NS6detail15normal_iteratorINS9_10device_ptrIxEEEESE_x11max_functorIxExEEDaPvRmT3_T4_T5_mT6_P12ihipStream_tbENKUlT_T0_E_clISt17integral_constantIbLb0EESU_EEDaSP_SQ_EUlSP_E0_NS1_11comp_targetILNS1_3genE4ELNS1_11target_archE910ELNS1_3gpuE8ELNS1_3repE0EEENS1_30default_config_static_selectorELNS0_4arch9wavefront6targetE1EEEvT1_,"axG",@progbits,_ZN7rocprim17ROCPRIM_400000_NS6detail17trampoline_kernelINS0_14default_configENS1_20scan_config_selectorIxEEZZNS1_9scan_implILNS1_25lookback_scan_determinismE0ELb1ELb1ES3_N6thrust23THRUST_200600_302600_NS6detail15normal_iteratorINS9_10device_ptrIxEEEESE_x11max_functorIxExEEDaPvRmT3_T4_T5_mT6_P12ihipStream_tbENKUlT_T0_E_clISt17integral_constantIbLb0EESU_EEDaSP_SQ_EUlSP_E0_NS1_11comp_targetILNS1_3genE4ELNS1_11target_archE910ELNS1_3gpuE8ELNS1_3repE0EEENS1_30default_config_static_selectorELNS0_4arch9wavefront6targetE1EEEvT1_,comdat
.Lfunc_end2641:
	.size	_ZN7rocprim17ROCPRIM_400000_NS6detail17trampoline_kernelINS0_14default_configENS1_20scan_config_selectorIxEEZZNS1_9scan_implILNS1_25lookback_scan_determinismE0ELb1ELb1ES3_N6thrust23THRUST_200600_302600_NS6detail15normal_iteratorINS9_10device_ptrIxEEEESE_x11max_functorIxExEEDaPvRmT3_T4_T5_mT6_P12ihipStream_tbENKUlT_T0_E_clISt17integral_constantIbLb0EESU_EEDaSP_SQ_EUlSP_E0_NS1_11comp_targetILNS1_3genE4ELNS1_11target_archE910ELNS1_3gpuE8ELNS1_3repE0EEENS1_30default_config_static_selectorELNS0_4arch9wavefront6targetE1EEEvT1_, .Lfunc_end2641-_ZN7rocprim17ROCPRIM_400000_NS6detail17trampoline_kernelINS0_14default_configENS1_20scan_config_selectorIxEEZZNS1_9scan_implILNS1_25lookback_scan_determinismE0ELb1ELb1ES3_N6thrust23THRUST_200600_302600_NS6detail15normal_iteratorINS9_10device_ptrIxEEEESE_x11max_functorIxExEEDaPvRmT3_T4_T5_mT6_P12ihipStream_tbENKUlT_T0_E_clISt17integral_constantIbLb0EESU_EEDaSP_SQ_EUlSP_E0_NS1_11comp_targetILNS1_3genE4ELNS1_11target_archE910ELNS1_3gpuE8ELNS1_3repE0EEENS1_30default_config_static_selectorELNS0_4arch9wavefront6targetE1EEEvT1_
                                        ; -- End function
	.section	.AMDGPU.csdata,"",@progbits
; Kernel info:
; codeLenInByte = 1916
; NumSgprs: 28
; NumVgprs: 30
; NumAgprs: 0
; TotalNumVgprs: 30
; ScratchSize: 0
; MemoryBound: 0
; FloatMode: 240
; IeeeMode: 1
; LDSByteSize: 7168 bytes/workgroup (compile time only)
; SGPRBlocks: 3
; VGPRBlocks: 3
; NumSGPRsForWavesPerEU: 28
; NumVGPRsForWavesPerEU: 30
; AccumOffset: 32
; Occupancy: 5
; WaveLimiterHint : 0
; COMPUTE_PGM_RSRC2:SCRATCH_EN: 0
; COMPUTE_PGM_RSRC2:USER_SGPR: 6
; COMPUTE_PGM_RSRC2:TRAP_HANDLER: 0
; COMPUTE_PGM_RSRC2:TGID_X_EN: 1
; COMPUTE_PGM_RSRC2:TGID_Y_EN: 0
; COMPUTE_PGM_RSRC2:TGID_Z_EN: 0
; COMPUTE_PGM_RSRC2:TIDIG_COMP_CNT: 0
; COMPUTE_PGM_RSRC3_GFX90A:ACCUM_OFFSET: 7
; COMPUTE_PGM_RSRC3_GFX90A:TG_SPLIT: 0
	.section	.text._ZN7rocprim17ROCPRIM_400000_NS6detail17trampoline_kernelINS0_14default_configENS1_20scan_config_selectorIxEEZZNS1_9scan_implILNS1_25lookback_scan_determinismE0ELb1ELb1ES3_N6thrust23THRUST_200600_302600_NS6detail15normal_iteratorINS9_10device_ptrIxEEEESE_x11max_functorIxExEEDaPvRmT3_T4_T5_mT6_P12ihipStream_tbENKUlT_T0_E_clISt17integral_constantIbLb0EESU_EEDaSP_SQ_EUlSP_E0_NS1_11comp_targetILNS1_3genE3ELNS1_11target_archE908ELNS1_3gpuE7ELNS1_3repE0EEENS1_30default_config_static_selectorELNS0_4arch9wavefront6targetE1EEEvT1_,"axG",@progbits,_ZN7rocprim17ROCPRIM_400000_NS6detail17trampoline_kernelINS0_14default_configENS1_20scan_config_selectorIxEEZZNS1_9scan_implILNS1_25lookback_scan_determinismE0ELb1ELb1ES3_N6thrust23THRUST_200600_302600_NS6detail15normal_iteratorINS9_10device_ptrIxEEEESE_x11max_functorIxExEEDaPvRmT3_T4_T5_mT6_P12ihipStream_tbENKUlT_T0_E_clISt17integral_constantIbLb0EESU_EEDaSP_SQ_EUlSP_E0_NS1_11comp_targetILNS1_3genE3ELNS1_11target_archE908ELNS1_3gpuE7ELNS1_3repE0EEENS1_30default_config_static_selectorELNS0_4arch9wavefront6targetE1EEEvT1_,comdat
	.protected	_ZN7rocprim17ROCPRIM_400000_NS6detail17trampoline_kernelINS0_14default_configENS1_20scan_config_selectorIxEEZZNS1_9scan_implILNS1_25lookback_scan_determinismE0ELb1ELb1ES3_N6thrust23THRUST_200600_302600_NS6detail15normal_iteratorINS9_10device_ptrIxEEEESE_x11max_functorIxExEEDaPvRmT3_T4_T5_mT6_P12ihipStream_tbENKUlT_T0_E_clISt17integral_constantIbLb0EESU_EEDaSP_SQ_EUlSP_E0_NS1_11comp_targetILNS1_3genE3ELNS1_11target_archE908ELNS1_3gpuE7ELNS1_3repE0EEENS1_30default_config_static_selectorELNS0_4arch9wavefront6targetE1EEEvT1_ ; -- Begin function _ZN7rocprim17ROCPRIM_400000_NS6detail17trampoline_kernelINS0_14default_configENS1_20scan_config_selectorIxEEZZNS1_9scan_implILNS1_25lookback_scan_determinismE0ELb1ELb1ES3_N6thrust23THRUST_200600_302600_NS6detail15normal_iteratorINS9_10device_ptrIxEEEESE_x11max_functorIxExEEDaPvRmT3_T4_T5_mT6_P12ihipStream_tbENKUlT_T0_E_clISt17integral_constantIbLb0EESU_EEDaSP_SQ_EUlSP_E0_NS1_11comp_targetILNS1_3genE3ELNS1_11target_archE908ELNS1_3gpuE7ELNS1_3repE0EEENS1_30default_config_static_selectorELNS0_4arch9wavefront6targetE1EEEvT1_
	.globl	_ZN7rocprim17ROCPRIM_400000_NS6detail17trampoline_kernelINS0_14default_configENS1_20scan_config_selectorIxEEZZNS1_9scan_implILNS1_25lookback_scan_determinismE0ELb1ELb1ES3_N6thrust23THRUST_200600_302600_NS6detail15normal_iteratorINS9_10device_ptrIxEEEESE_x11max_functorIxExEEDaPvRmT3_T4_T5_mT6_P12ihipStream_tbENKUlT_T0_E_clISt17integral_constantIbLb0EESU_EEDaSP_SQ_EUlSP_E0_NS1_11comp_targetILNS1_3genE3ELNS1_11target_archE908ELNS1_3gpuE7ELNS1_3repE0EEENS1_30default_config_static_selectorELNS0_4arch9wavefront6targetE1EEEvT1_
	.p2align	8
	.type	_ZN7rocprim17ROCPRIM_400000_NS6detail17trampoline_kernelINS0_14default_configENS1_20scan_config_selectorIxEEZZNS1_9scan_implILNS1_25lookback_scan_determinismE0ELb1ELb1ES3_N6thrust23THRUST_200600_302600_NS6detail15normal_iteratorINS9_10device_ptrIxEEEESE_x11max_functorIxExEEDaPvRmT3_T4_T5_mT6_P12ihipStream_tbENKUlT_T0_E_clISt17integral_constantIbLb0EESU_EEDaSP_SQ_EUlSP_E0_NS1_11comp_targetILNS1_3genE3ELNS1_11target_archE908ELNS1_3gpuE7ELNS1_3repE0EEENS1_30default_config_static_selectorELNS0_4arch9wavefront6targetE1EEEvT1_,@function
_ZN7rocprim17ROCPRIM_400000_NS6detail17trampoline_kernelINS0_14default_configENS1_20scan_config_selectorIxEEZZNS1_9scan_implILNS1_25lookback_scan_determinismE0ELb1ELb1ES3_N6thrust23THRUST_200600_302600_NS6detail15normal_iteratorINS9_10device_ptrIxEEEESE_x11max_functorIxExEEDaPvRmT3_T4_T5_mT6_P12ihipStream_tbENKUlT_T0_E_clISt17integral_constantIbLb0EESU_EEDaSP_SQ_EUlSP_E0_NS1_11comp_targetILNS1_3genE3ELNS1_11target_archE908ELNS1_3gpuE7ELNS1_3repE0EEENS1_30default_config_static_selectorELNS0_4arch9wavefront6targetE1EEEvT1_: ; @_ZN7rocprim17ROCPRIM_400000_NS6detail17trampoline_kernelINS0_14default_configENS1_20scan_config_selectorIxEEZZNS1_9scan_implILNS1_25lookback_scan_determinismE0ELb1ELb1ES3_N6thrust23THRUST_200600_302600_NS6detail15normal_iteratorINS9_10device_ptrIxEEEESE_x11max_functorIxExEEDaPvRmT3_T4_T5_mT6_P12ihipStream_tbENKUlT_T0_E_clISt17integral_constantIbLb0EESU_EEDaSP_SQ_EUlSP_E0_NS1_11comp_targetILNS1_3genE3ELNS1_11target_archE908ELNS1_3gpuE7ELNS1_3repE0EEENS1_30default_config_static_selectorELNS0_4arch9wavefront6targetE1EEEvT1_
; %bb.0:
	.section	.rodata,"a",@progbits
	.p2align	6, 0x0
	.amdhsa_kernel _ZN7rocprim17ROCPRIM_400000_NS6detail17trampoline_kernelINS0_14default_configENS1_20scan_config_selectorIxEEZZNS1_9scan_implILNS1_25lookback_scan_determinismE0ELb1ELb1ES3_N6thrust23THRUST_200600_302600_NS6detail15normal_iteratorINS9_10device_ptrIxEEEESE_x11max_functorIxExEEDaPvRmT3_T4_T5_mT6_P12ihipStream_tbENKUlT_T0_E_clISt17integral_constantIbLb0EESU_EEDaSP_SQ_EUlSP_E0_NS1_11comp_targetILNS1_3genE3ELNS1_11target_archE908ELNS1_3gpuE7ELNS1_3repE0EEENS1_30default_config_static_selectorELNS0_4arch9wavefront6targetE1EEEvT1_
		.amdhsa_group_segment_fixed_size 0
		.amdhsa_private_segment_fixed_size 0
		.amdhsa_kernarg_size 40
		.amdhsa_user_sgpr_count 6
		.amdhsa_user_sgpr_private_segment_buffer 1
		.amdhsa_user_sgpr_dispatch_ptr 0
		.amdhsa_user_sgpr_queue_ptr 0
		.amdhsa_user_sgpr_kernarg_segment_ptr 1
		.amdhsa_user_sgpr_dispatch_id 0
		.amdhsa_user_sgpr_flat_scratch_init 0
		.amdhsa_user_sgpr_kernarg_preload_length 0
		.amdhsa_user_sgpr_kernarg_preload_offset 0
		.amdhsa_user_sgpr_private_segment_size 0
		.amdhsa_uses_dynamic_stack 0
		.amdhsa_system_sgpr_private_segment_wavefront_offset 0
		.amdhsa_system_sgpr_workgroup_id_x 1
		.amdhsa_system_sgpr_workgroup_id_y 0
		.amdhsa_system_sgpr_workgroup_id_z 0
		.amdhsa_system_sgpr_workgroup_info 0
		.amdhsa_system_vgpr_workitem_id 0
		.amdhsa_next_free_vgpr 1
		.amdhsa_next_free_sgpr 0
		.amdhsa_accum_offset 4
		.amdhsa_reserve_vcc 0
		.amdhsa_reserve_flat_scratch 0
		.amdhsa_float_round_mode_32 0
		.amdhsa_float_round_mode_16_64 0
		.amdhsa_float_denorm_mode_32 3
		.amdhsa_float_denorm_mode_16_64 3
		.amdhsa_dx10_clamp 1
		.amdhsa_ieee_mode 1
		.amdhsa_fp16_overflow 0
		.amdhsa_tg_split 0
		.amdhsa_exception_fp_ieee_invalid_op 0
		.amdhsa_exception_fp_denorm_src 0
		.amdhsa_exception_fp_ieee_div_zero 0
		.amdhsa_exception_fp_ieee_overflow 0
		.amdhsa_exception_fp_ieee_underflow 0
		.amdhsa_exception_fp_ieee_inexact 0
		.amdhsa_exception_int_div_zero 0
	.end_amdhsa_kernel
	.section	.text._ZN7rocprim17ROCPRIM_400000_NS6detail17trampoline_kernelINS0_14default_configENS1_20scan_config_selectorIxEEZZNS1_9scan_implILNS1_25lookback_scan_determinismE0ELb1ELb1ES3_N6thrust23THRUST_200600_302600_NS6detail15normal_iteratorINS9_10device_ptrIxEEEESE_x11max_functorIxExEEDaPvRmT3_T4_T5_mT6_P12ihipStream_tbENKUlT_T0_E_clISt17integral_constantIbLb0EESU_EEDaSP_SQ_EUlSP_E0_NS1_11comp_targetILNS1_3genE3ELNS1_11target_archE908ELNS1_3gpuE7ELNS1_3repE0EEENS1_30default_config_static_selectorELNS0_4arch9wavefront6targetE1EEEvT1_,"axG",@progbits,_ZN7rocprim17ROCPRIM_400000_NS6detail17trampoline_kernelINS0_14default_configENS1_20scan_config_selectorIxEEZZNS1_9scan_implILNS1_25lookback_scan_determinismE0ELb1ELb1ES3_N6thrust23THRUST_200600_302600_NS6detail15normal_iteratorINS9_10device_ptrIxEEEESE_x11max_functorIxExEEDaPvRmT3_T4_T5_mT6_P12ihipStream_tbENKUlT_T0_E_clISt17integral_constantIbLb0EESU_EEDaSP_SQ_EUlSP_E0_NS1_11comp_targetILNS1_3genE3ELNS1_11target_archE908ELNS1_3gpuE7ELNS1_3repE0EEENS1_30default_config_static_selectorELNS0_4arch9wavefront6targetE1EEEvT1_,comdat
.Lfunc_end2642:
	.size	_ZN7rocprim17ROCPRIM_400000_NS6detail17trampoline_kernelINS0_14default_configENS1_20scan_config_selectorIxEEZZNS1_9scan_implILNS1_25lookback_scan_determinismE0ELb1ELb1ES3_N6thrust23THRUST_200600_302600_NS6detail15normal_iteratorINS9_10device_ptrIxEEEESE_x11max_functorIxExEEDaPvRmT3_T4_T5_mT6_P12ihipStream_tbENKUlT_T0_E_clISt17integral_constantIbLb0EESU_EEDaSP_SQ_EUlSP_E0_NS1_11comp_targetILNS1_3genE3ELNS1_11target_archE908ELNS1_3gpuE7ELNS1_3repE0EEENS1_30default_config_static_selectorELNS0_4arch9wavefront6targetE1EEEvT1_, .Lfunc_end2642-_ZN7rocprim17ROCPRIM_400000_NS6detail17trampoline_kernelINS0_14default_configENS1_20scan_config_selectorIxEEZZNS1_9scan_implILNS1_25lookback_scan_determinismE0ELb1ELb1ES3_N6thrust23THRUST_200600_302600_NS6detail15normal_iteratorINS9_10device_ptrIxEEEESE_x11max_functorIxExEEDaPvRmT3_T4_T5_mT6_P12ihipStream_tbENKUlT_T0_E_clISt17integral_constantIbLb0EESU_EEDaSP_SQ_EUlSP_E0_NS1_11comp_targetILNS1_3genE3ELNS1_11target_archE908ELNS1_3gpuE7ELNS1_3repE0EEENS1_30default_config_static_selectorELNS0_4arch9wavefront6targetE1EEEvT1_
                                        ; -- End function
	.section	.AMDGPU.csdata,"",@progbits
; Kernel info:
; codeLenInByte = 0
; NumSgprs: 4
; NumVgprs: 0
; NumAgprs: 0
; TotalNumVgprs: 0
; ScratchSize: 0
; MemoryBound: 0
; FloatMode: 240
; IeeeMode: 1
; LDSByteSize: 0 bytes/workgroup (compile time only)
; SGPRBlocks: 0
; VGPRBlocks: 0
; NumSGPRsForWavesPerEU: 4
; NumVGPRsForWavesPerEU: 1
; AccumOffset: 4
; Occupancy: 8
; WaveLimiterHint : 0
; COMPUTE_PGM_RSRC2:SCRATCH_EN: 0
; COMPUTE_PGM_RSRC2:USER_SGPR: 6
; COMPUTE_PGM_RSRC2:TRAP_HANDLER: 0
; COMPUTE_PGM_RSRC2:TGID_X_EN: 1
; COMPUTE_PGM_RSRC2:TGID_Y_EN: 0
; COMPUTE_PGM_RSRC2:TGID_Z_EN: 0
; COMPUTE_PGM_RSRC2:TIDIG_COMP_CNT: 0
; COMPUTE_PGM_RSRC3_GFX90A:ACCUM_OFFSET: 0
; COMPUTE_PGM_RSRC3_GFX90A:TG_SPLIT: 0
	.section	.text._ZN7rocprim17ROCPRIM_400000_NS6detail17trampoline_kernelINS0_14default_configENS1_20scan_config_selectorIxEEZZNS1_9scan_implILNS1_25lookback_scan_determinismE0ELb1ELb1ES3_N6thrust23THRUST_200600_302600_NS6detail15normal_iteratorINS9_10device_ptrIxEEEESE_x11max_functorIxExEEDaPvRmT3_T4_T5_mT6_P12ihipStream_tbENKUlT_T0_E_clISt17integral_constantIbLb0EESU_EEDaSP_SQ_EUlSP_E0_NS1_11comp_targetILNS1_3genE2ELNS1_11target_archE906ELNS1_3gpuE6ELNS1_3repE0EEENS1_30default_config_static_selectorELNS0_4arch9wavefront6targetE1EEEvT1_,"axG",@progbits,_ZN7rocprim17ROCPRIM_400000_NS6detail17trampoline_kernelINS0_14default_configENS1_20scan_config_selectorIxEEZZNS1_9scan_implILNS1_25lookback_scan_determinismE0ELb1ELb1ES3_N6thrust23THRUST_200600_302600_NS6detail15normal_iteratorINS9_10device_ptrIxEEEESE_x11max_functorIxExEEDaPvRmT3_T4_T5_mT6_P12ihipStream_tbENKUlT_T0_E_clISt17integral_constantIbLb0EESU_EEDaSP_SQ_EUlSP_E0_NS1_11comp_targetILNS1_3genE2ELNS1_11target_archE906ELNS1_3gpuE6ELNS1_3repE0EEENS1_30default_config_static_selectorELNS0_4arch9wavefront6targetE1EEEvT1_,comdat
	.protected	_ZN7rocprim17ROCPRIM_400000_NS6detail17trampoline_kernelINS0_14default_configENS1_20scan_config_selectorIxEEZZNS1_9scan_implILNS1_25lookback_scan_determinismE0ELb1ELb1ES3_N6thrust23THRUST_200600_302600_NS6detail15normal_iteratorINS9_10device_ptrIxEEEESE_x11max_functorIxExEEDaPvRmT3_T4_T5_mT6_P12ihipStream_tbENKUlT_T0_E_clISt17integral_constantIbLb0EESU_EEDaSP_SQ_EUlSP_E0_NS1_11comp_targetILNS1_3genE2ELNS1_11target_archE906ELNS1_3gpuE6ELNS1_3repE0EEENS1_30default_config_static_selectorELNS0_4arch9wavefront6targetE1EEEvT1_ ; -- Begin function _ZN7rocprim17ROCPRIM_400000_NS6detail17trampoline_kernelINS0_14default_configENS1_20scan_config_selectorIxEEZZNS1_9scan_implILNS1_25lookback_scan_determinismE0ELb1ELb1ES3_N6thrust23THRUST_200600_302600_NS6detail15normal_iteratorINS9_10device_ptrIxEEEESE_x11max_functorIxExEEDaPvRmT3_T4_T5_mT6_P12ihipStream_tbENKUlT_T0_E_clISt17integral_constantIbLb0EESU_EEDaSP_SQ_EUlSP_E0_NS1_11comp_targetILNS1_3genE2ELNS1_11target_archE906ELNS1_3gpuE6ELNS1_3repE0EEENS1_30default_config_static_selectorELNS0_4arch9wavefront6targetE1EEEvT1_
	.globl	_ZN7rocprim17ROCPRIM_400000_NS6detail17trampoline_kernelINS0_14default_configENS1_20scan_config_selectorIxEEZZNS1_9scan_implILNS1_25lookback_scan_determinismE0ELb1ELb1ES3_N6thrust23THRUST_200600_302600_NS6detail15normal_iteratorINS9_10device_ptrIxEEEESE_x11max_functorIxExEEDaPvRmT3_T4_T5_mT6_P12ihipStream_tbENKUlT_T0_E_clISt17integral_constantIbLb0EESU_EEDaSP_SQ_EUlSP_E0_NS1_11comp_targetILNS1_3genE2ELNS1_11target_archE906ELNS1_3gpuE6ELNS1_3repE0EEENS1_30default_config_static_selectorELNS0_4arch9wavefront6targetE1EEEvT1_
	.p2align	8
	.type	_ZN7rocprim17ROCPRIM_400000_NS6detail17trampoline_kernelINS0_14default_configENS1_20scan_config_selectorIxEEZZNS1_9scan_implILNS1_25lookback_scan_determinismE0ELb1ELb1ES3_N6thrust23THRUST_200600_302600_NS6detail15normal_iteratorINS9_10device_ptrIxEEEESE_x11max_functorIxExEEDaPvRmT3_T4_T5_mT6_P12ihipStream_tbENKUlT_T0_E_clISt17integral_constantIbLb0EESU_EEDaSP_SQ_EUlSP_E0_NS1_11comp_targetILNS1_3genE2ELNS1_11target_archE906ELNS1_3gpuE6ELNS1_3repE0EEENS1_30default_config_static_selectorELNS0_4arch9wavefront6targetE1EEEvT1_,@function
_ZN7rocprim17ROCPRIM_400000_NS6detail17trampoline_kernelINS0_14default_configENS1_20scan_config_selectorIxEEZZNS1_9scan_implILNS1_25lookback_scan_determinismE0ELb1ELb1ES3_N6thrust23THRUST_200600_302600_NS6detail15normal_iteratorINS9_10device_ptrIxEEEESE_x11max_functorIxExEEDaPvRmT3_T4_T5_mT6_P12ihipStream_tbENKUlT_T0_E_clISt17integral_constantIbLb0EESU_EEDaSP_SQ_EUlSP_E0_NS1_11comp_targetILNS1_3genE2ELNS1_11target_archE906ELNS1_3gpuE6ELNS1_3repE0EEENS1_30default_config_static_selectorELNS0_4arch9wavefront6targetE1EEEvT1_: ; @_ZN7rocprim17ROCPRIM_400000_NS6detail17trampoline_kernelINS0_14default_configENS1_20scan_config_selectorIxEEZZNS1_9scan_implILNS1_25lookback_scan_determinismE0ELb1ELb1ES3_N6thrust23THRUST_200600_302600_NS6detail15normal_iteratorINS9_10device_ptrIxEEEESE_x11max_functorIxExEEDaPvRmT3_T4_T5_mT6_P12ihipStream_tbENKUlT_T0_E_clISt17integral_constantIbLb0EESU_EEDaSP_SQ_EUlSP_E0_NS1_11comp_targetILNS1_3genE2ELNS1_11target_archE906ELNS1_3gpuE6ELNS1_3repE0EEENS1_30default_config_static_selectorELNS0_4arch9wavefront6targetE1EEEvT1_
; %bb.0:
	.section	.rodata,"a",@progbits
	.p2align	6, 0x0
	.amdhsa_kernel _ZN7rocprim17ROCPRIM_400000_NS6detail17trampoline_kernelINS0_14default_configENS1_20scan_config_selectorIxEEZZNS1_9scan_implILNS1_25lookback_scan_determinismE0ELb1ELb1ES3_N6thrust23THRUST_200600_302600_NS6detail15normal_iteratorINS9_10device_ptrIxEEEESE_x11max_functorIxExEEDaPvRmT3_T4_T5_mT6_P12ihipStream_tbENKUlT_T0_E_clISt17integral_constantIbLb0EESU_EEDaSP_SQ_EUlSP_E0_NS1_11comp_targetILNS1_3genE2ELNS1_11target_archE906ELNS1_3gpuE6ELNS1_3repE0EEENS1_30default_config_static_selectorELNS0_4arch9wavefront6targetE1EEEvT1_
		.amdhsa_group_segment_fixed_size 0
		.amdhsa_private_segment_fixed_size 0
		.amdhsa_kernarg_size 40
		.amdhsa_user_sgpr_count 6
		.amdhsa_user_sgpr_private_segment_buffer 1
		.amdhsa_user_sgpr_dispatch_ptr 0
		.amdhsa_user_sgpr_queue_ptr 0
		.amdhsa_user_sgpr_kernarg_segment_ptr 1
		.amdhsa_user_sgpr_dispatch_id 0
		.amdhsa_user_sgpr_flat_scratch_init 0
		.amdhsa_user_sgpr_kernarg_preload_length 0
		.amdhsa_user_sgpr_kernarg_preload_offset 0
		.amdhsa_user_sgpr_private_segment_size 0
		.amdhsa_uses_dynamic_stack 0
		.amdhsa_system_sgpr_private_segment_wavefront_offset 0
		.amdhsa_system_sgpr_workgroup_id_x 1
		.amdhsa_system_sgpr_workgroup_id_y 0
		.amdhsa_system_sgpr_workgroup_id_z 0
		.amdhsa_system_sgpr_workgroup_info 0
		.amdhsa_system_vgpr_workitem_id 0
		.amdhsa_next_free_vgpr 1
		.amdhsa_next_free_sgpr 0
		.amdhsa_accum_offset 4
		.amdhsa_reserve_vcc 0
		.amdhsa_reserve_flat_scratch 0
		.amdhsa_float_round_mode_32 0
		.amdhsa_float_round_mode_16_64 0
		.amdhsa_float_denorm_mode_32 3
		.amdhsa_float_denorm_mode_16_64 3
		.amdhsa_dx10_clamp 1
		.amdhsa_ieee_mode 1
		.amdhsa_fp16_overflow 0
		.amdhsa_tg_split 0
		.amdhsa_exception_fp_ieee_invalid_op 0
		.amdhsa_exception_fp_denorm_src 0
		.amdhsa_exception_fp_ieee_div_zero 0
		.amdhsa_exception_fp_ieee_overflow 0
		.amdhsa_exception_fp_ieee_underflow 0
		.amdhsa_exception_fp_ieee_inexact 0
		.amdhsa_exception_int_div_zero 0
	.end_amdhsa_kernel
	.section	.text._ZN7rocprim17ROCPRIM_400000_NS6detail17trampoline_kernelINS0_14default_configENS1_20scan_config_selectorIxEEZZNS1_9scan_implILNS1_25lookback_scan_determinismE0ELb1ELb1ES3_N6thrust23THRUST_200600_302600_NS6detail15normal_iteratorINS9_10device_ptrIxEEEESE_x11max_functorIxExEEDaPvRmT3_T4_T5_mT6_P12ihipStream_tbENKUlT_T0_E_clISt17integral_constantIbLb0EESU_EEDaSP_SQ_EUlSP_E0_NS1_11comp_targetILNS1_3genE2ELNS1_11target_archE906ELNS1_3gpuE6ELNS1_3repE0EEENS1_30default_config_static_selectorELNS0_4arch9wavefront6targetE1EEEvT1_,"axG",@progbits,_ZN7rocprim17ROCPRIM_400000_NS6detail17trampoline_kernelINS0_14default_configENS1_20scan_config_selectorIxEEZZNS1_9scan_implILNS1_25lookback_scan_determinismE0ELb1ELb1ES3_N6thrust23THRUST_200600_302600_NS6detail15normal_iteratorINS9_10device_ptrIxEEEESE_x11max_functorIxExEEDaPvRmT3_T4_T5_mT6_P12ihipStream_tbENKUlT_T0_E_clISt17integral_constantIbLb0EESU_EEDaSP_SQ_EUlSP_E0_NS1_11comp_targetILNS1_3genE2ELNS1_11target_archE906ELNS1_3gpuE6ELNS1_3repE0EEENS1_30default_config_static_selectorELNS0_4arch9wavefront6targetE1EEEvT1_,comdat
.Lfunc_end2643:
	.size	_ZN7rocprim17ROCPRIM_400000_NS6detail17trampoline_kernelINS0_14default_configENS1_20scan_config_selectorIxEEZZNS1_9scan_implILNS1_25lookback_scan_determinismE0ELb1ELb1ES3_N6thrust23THRUST_200600_302600_NS6detail15normal_iteratorINS9_10device_ptrIxEEEESE_x11max_functorIxExEEDaPvRmT3_T4_T5_mT6_P12ihipStream_tbENKUlT_T0_E_clISt17integral_constantIbLb0EESU_EEDaSP_SQ_EUlSP_E0_NS1_11comp_targetILNS1_3genE2ELNS1_11target_archE906ELNS1_3gpuE6ELNS1_3repE0EEENS1_30default_config_static_selectorELNS0_4arch9wavefront6targetE1EEEvT1_, .Lfunc_end2643-_ZN7rocprim17ROCPRIM_400000_NS6detail17trampoline_kernelINS0_14default_configENS1_20scan_config_selectorIxEEZZNS1_9scan_implILNS1_25lookback_scan_determinismE0ELb1ELb1ES3_N6thrust23THRUST_200600_302600_NS6detail15normal_iteratorINS9_10device_ptrIxEEEESE_x11max_functorIxExEEDaPvRmT3_T4_T5_mT6_P12ihipStream_tbENKUlT_T0_E_clISt17integral_constantIbLb0EESU_EEDaSP_SQ_EUlSP_E0_NS1_11comp_targetILNS1_3genE2ELNS1_11target_archE906ELNS1_3gpuE6ELNS1_3repE0EEENS1_30default_config_static_selectorELNS0_4arch9wavefront6targetE1EEEvT1_
                                        ; -- End function
	.section	.AMDGPU.csdata,"",@progbits
; Kernel info:
; codeLenInByte = 0
; NumSgprs: 4
; NumVgprs: 0
; NumAgprs: 0
; TotalNumVgprs: 0
; ScratchSize: 0
; MemoryBound: 0
; FloatMode: 240
; IeeeMode: 1
; LDSByteSize: 0 bytes/workgroup (compile time only)
; SGPRBlocks: 0
; VGPRBlocks: 0
; NumSGPRsForWavesPerEU: 4
; NumVGPRsForWavesPerEU: 1
; AccumOffset: 4
; Occupancy: 8
; WaveLimiterHint : 0
; COMPUTE_PGM_RSRC2:SCRATCH_EN: 0
; COMPUTE_PGM_RSRC2:USER_SGPR: 6
; COMPUTE_PGM_RSRC2:TRAP_HANDLER: 0
; COMPUTE_PGM_RSRC2:TGID_X_EN: 1
; COMPUTE_PGM_RSRC2:TGID_Y_EN: 0
; COMPUTE_PGM_RSRC2:TGID_Z_EN: 0
; COMPUTE_PGM_RSRC2:TIDIG_COMP_CNT: 0
; COMPUTE_PGM_RSRC3_GFX90A:ACCUM_OFFSET: 0
; COMPUTE_PGM_RSRC3_GFX90A:TG_SPLIT: 0
	.section	.text._ZN7rocprim17ROCPRIM_400000_NS6detail17trampoline_kernelINS0_14default_configENS1_20scan_config_selectorIxEEZZNS1_9scan_implILNS1_25lookback_scan_determinismE0ELb1ELb1ES3_N6thrust23THRUST_200600_302600_NS6detail15normal_iteratorINS9_10device_ptrIxEEEESE_x11max_functorIxExEEDaPvRmT3_T4_T5_mT6_P12ihipStream_tbENKUlT_T0_E_clISt17integral_constantIbLb0EESU_EEDaSP_SQ_EUlSP_E0_NS1_11comp_targetILNS1_3genE10ELNS1_11target_archE1201ELNS1_3gpuE5ELNS1_3repE0EEENS1_30default_config_static_selectorELNS0_4arch9wavefront6targetE1EEEvT1_,"axG",@progbits,_ZN7rocprim17ROCPRIM_400000_NS6detail17trampoline_kernelINS0_14default_configENS1_20scan_config_selectorIxEEZZNS1_9scan_implILNS1_25lookback_scan_determinismE0ELb1ELb1ES3_N6thrust23THRUST_200600_302600_NS6detail15normal_iteratorINS9_10device_ptrIxEEEESE_x11max_functorIxExEEDaPvRmT3_T4_T5_mT6_P12ihipStream_tbENKUlT_T0_E_clISt17integral_constantIbLb0EESU_EEDaSP_SQ_EUlSP_E0_NS1_11comp_targetILNS1_3genE10ELNS1_11target_archE1201ELNS1_3gpuE5ELNS1_3repE0EEENS1_30default_config_static_selectorELNS0_4arch9wavefront6targetE1EEEvT1_,comdat
	.protected	_ZN7rocprim17ROCPRIM_400000_NS6detail17trampoline_kernelINS0_14default_configENS1_20scan_config_selectorIxEEZZNS1_9scan_implILNS1_25lookback_scan_determinismE0ELb1ELb1ES3_N6thrust23THRUST_200600_302600_NS6detail15normal_iteratorINS9_10device_ptrIxEEEESE_x11max_functorIxExEEDaPvRmT3_T4_T5_mT6_P12ihipStream_tbENKUlT_T0_E_clISt17integral_constantIbLb0EESU_EEDaSP_SQ_EUlSP_E0_NS1_11comp_targetILNS1_3genE10ELNS1_11target_archE1201ELNS1_3gpuE5ELNS1_3repE0EEENS1_30default_config_static_selectorELNS0_4arch9wavefront6targetE1EEEvT1_ ; -- Begin function _ZN7rocprim17ROCPRIM_400000_NS6detail17trampoline_kernelINS0_14default_configENS1_20scan_config_selectorIxEEZZNS1_9scan_implILNS1_25lookback_scan_determinismE0ELb1ELb1ES3_N6thrust23THRUST_200600_302600_NS6detail15normal_iteratorINS9_10device_ptrIxEEEESE_x11max_functorIxExEEDaPvRmT3_T4_T5_mT6_P12ihipStream_tbENKUlT_T0_E_clISt17integral_constantIbLb0EESU_EEDaSP_SQ_EUlSP_E0_NS1_11comp_targetILNS1_3genE10ELNS1_11target_archE1201ELNS1_3gpuE5ELNS1_3repE0EEENS1_30default_config_static_selectorELNS0_4arch9wavefront6targetE1EEEvT1_
	.globl	_ZN7rocprim17ROCPRIM_400000_NS6detail17trampoline_kernelINS0_14default_configENS1_20scan_config_selectorIxEEZZNS1_9scan_implILNS1_25lookback_scan_determinismE0ELb1ELb1ES3_N6thrust23THRUST_200600_302600_NS6detail15normal_iteratorINS9_10device_ptrIxEEEESE_x11max_functorIxExEEDaPvRmT3_T4_T5_mT6_P12ihipStream_tbENKUlT_T0_E_clISt17integral_constantIbLb0EESU_EEDaSP_SQ_EUlSP_E0_NS1_11comp_targetILNS1_3genE10ELNS1_11target_archE1201ELNS1_3gpuE5ELNS1_3repE0EEENS1_30default_config_static_selectorELNS0_4arch9wavefront6targetE1EEEvT1_
	.p2align	8
	.type	_ZN7rocprim17ROCPRIM_400000_NS6detail17trampoline_kernelINS0_14default_configENS1_20scan_config_selectorIxEEZZNS1_9scan_implILNS1_25lookback_scan_determinismE0ELb1ELb1ES3_N6thrust23THRUST_200600_302600_NS6detail15normal_iteratorINS9_10device_ptrIxEEEESE_x11max_functorIxExEEDaPvRmT3_T4_T5_mT6_P12ihipStream_tbENKUlT_T0_E_clISt17integral_constantIbLb0EESU_EEDaSP_SQ_EUlSP_E0_NS1_11comp_targetILNS1_3genE10ELNS1_11target_archE1201ELNS1_3gpuE5ELNS1_3repE0EEENS1_30default_config_static_selectorELNS0_4arch9wavefront6targetE1EEEvT1_,@function
_ZN7rocprim17ROCPRIM_400000_NS6detail17trampoline_kernelINS0_14default_configENS1_20scan_config_selectorIxEEZZNS1_9scan_implILNS1_25lookback_scan_determinismE0ELb1ELb1ES3_N6thrust23THRUST_200600_302600_NS6detail15normal_iteratorINS9_10device_ptrIxEEEESE_x11max_functorIxExEEDaPvRmT3_T4_T5_mT6_P12ihipStream_tbENKUlT_T0_E_clISt17integral_constantIbLb0EESU_EEDaSP_SQ_EUlSP_E0_NS1_11comp_targetILNS1_3genE10ELNS1_11target_archE1201ELNS1_3gpuE5ELNS1_3repE0EEENS1_30default_config_static_selectorELNS0_4arch9wavefront6targetE1EEEvT1_: ; @_ZN7rocprim17ROCPRIM_400000_NS6detail17trampoline_kernelINS0_14default_configENS1_20scan_config_selectorIxEEZZNS1_9scan_implILNS1_25lookback_scan_determinismE0ELb1ELb1ES3_N6thrust23THRUST_200600_302600_NS6detail15normal_iteratorINS9_10device_ptrIxEEEESE_x11max_functorIxExEEDaPvRmT3_T4_T5_mT6_P12ihipStream_tbENKUlT_T0_E_clISt17integral_constantIbLb0EESU_EEDaSP_SQ_EUlSP_E0_NS1_11comp_targetILNS1_3genE10ELNS1_11target_archE1201ELNS1_3gpuE5ELNS1_3repE0EEENS1_30default_config_static_selectorELNS0_4arch9wavefront6targetE1EEEvT1_
; %bb.0:
	.section	.rodata,"a",@progbits
	.p2align	6, 0x0
	.amdhsa_kernel _ZN7rocprim17ROCPRIM_400000_NS6detail17trampoline_kernelINS0_14default_configENS1_20scan_config_selectorIxEEZZNS1_9scan_implILNS1_25lookback_scan_determinismE0ELb1ELb1ES3_N6thrust23THRUST_200600_302600_NS6detail15normal_iteratorINS9_10device_ptrIxEEEESE_x11max_functorIxExEEDaPvRmT3_T4_T5_mT6_P12ihipStream_tbENKUlT_T0_E_clISt17integral_constantIbLb0EESU_EEDaSP_SQ_EUlSP_E0_NS1_11comp_targetILNS1_3genE10ELNS1_11target_archE1201ELNS1_3gpuE5ELNS1_3repE0EEENS1_30default_config_static_selectorELNS0_4arch9wavefront6targetE1EEEvT1_
		.amdhsa_group_segment_fixed_size 0
		.amdhsa_private_segment_fixed_size 0
		.amdhsa_kernarg_size 40
		.amdhsa_user_sgpr_count 6
		.amdhsa_user_sgpr_private_segment_buffer 1
		.amdhsa_user_sgpr_dispatch_ptr 0
		.amdhsa_user_sgpr_queue_ptr 0
		.amdhsa_user_sgpr_kernarg_segment_ptr 1
		.amdhsa_user_sgpr_dispatch_id 0
		.amdhsa_user_sgpr_flat_scratch_init 0
		.amdhsa_user_sgpr_kernarg_preload_length 0
		.amdhsa_user_sgpr_kernarg_preload_offset 0
		.amdhsa_user_sgpr_private_segment_size 0
		.amdhsa_uses_dynamic_stack 0
		.amdhsa_system_sgpr_private_segment_wavefront_offset 0
		.amdhsa_system_sgpr_workgroup_id_x 1
		.amdhsa_system_sgpr_workgroup_id_y 0
		.amdhsa_system_sgpr_workgroup_id_z 0
		.amdhsa_system_sgpr_workgroup_info 0
		.amdhsa_system_vgpr_workitem_id 0
		.amdhsa_next_free_vgpr 1
		.amdhsa_next_free_sgpr 0
		.amdhsa_accum_offset 4
		.amdhsa_reserve_vcc 0
		.amdhsa_reserve_flat_scratch 0
		.amdhsa_float_round_mode_32 0
		.amdhsa_float_round_mode_16_64 0
		.amdhsa_float_denorm_mode_32 3
		.amdhsa_float_denorm_mode_16_64 3
		.amdhsa_dx10_clamp 1
		.amdhsa_ieee_mode 1
		.amdhsa_fp16_overflow 0
		.amdhsa_tg_split 0
		.amdhsa_exception_fp_ieee_invalid_op 0
		.amdhsa_exception_fp_denorm_src 0
		.amdhsa_exception_fp_ieee_div_zero 0
		.amdhsa_exception_fp_ieee_overflow 0
		.amdhsa_exception_fp_ieee_underflow 0
		.amdhsa_exception_fp_ieee_inexact 0
		.amdhsa_exception_int_div_zero 0
	.end_amdhsa_kernel
	.section	.text._ZN7rocprim17ROCPRIM_400000_NS6detail17trampoline_kernelINS0_14default_configENS1_20scan_config_selectorIxEEZZNS1_9scan_implILNS1_25lookback_scan_determinismE0ELb1ELb1ES3_N6thrust23THRUST_200600_302600_NS6detail15normal_iteratorINS9_10device_ptrIxEEEESE_x11max_functorIxExEEDaPvRmT3_T4_T5_mT6_P12ihipStream_tbENKUlT_T0_E_clISt17integral_constantIbLb0EESU_EEDaSP_SQ_EUlSP_E0_NS1_11comp_targetILNS1_3genE10ELNS1_11target_archE1201ELNS1_3gpuE5ELNS1_3repE0EEENS1_30default_config_static_selectorELNS0_4arch9wavefront6targetE1EEEvT1_,"axG",@progbits,_ZN7rocprim17ROCPRIM_400000_NS6detail17trampoline_kernelINS0_14default_configENS1_20scan_config_selectorIxEEZZNS1_9scan_implILNS1_25lookback_scan_determinismE0ELb1ELb1ES3_N6thrust23THRUST_200600_302600_NS6detail15normal_iteratorINS9_10device_ptrIxEEEESE_x11max_functorIxExEEDaPvRmT3_T4_T5_mT6_P12ihipStream_tbENKUlT_T0_E_clISt17integral_constantIbLb0EESU_EEDaSP_SQ_EUlSP_E0_NS1_11comp_targetILNS1_3genE10ELNS1_11target_archE1201ELNS1_3gpuE5ELNS1_3repE0EEENS1_30default_config_static_selectorELNS0_4arch9wavefront6targetE1EEEvT1_,comdat
.Lfunc_end2644:
	.size	_ZN7rocprim17ROCPRIM_400000_NS6detail17trampoline_kernelINS0_14default_configENS1_20scan_config_selectorIxEEZZNS1_9scan_implILNS1_25lookback_scan_determinismE0ELb1ELb1ES3_N6thrust23THRUST_200600_302600_NS6detail15normal_iteratorINS9_10device_ptrIxEEEESE_x11max_functorIxExEEDaPvRmT3_T4_T5_mT6_P12ihipStream_tbENKUlT_T0_E_clISt17integral_constantIbLb0EESU_EEDaSP_SQ_EUlSP_E0_NS1_11comp_targetILNS1_3genE10ELNS1_11target_archE1201ELNS1_3gpuE5ELNS1_3repE0EEENS1_30default_config_static_selectorELNS0_4arch9wavefront6targetE1EEEvT1_, .Lfunc_end2644-_ZN7rocprim17ROCPRIM_400000_NS6detail17trampoline_kernelINS0_14default_configENS1_20scan_config_selectorIxEEZZNS1_9scan_implILNS1_25lookback_scan_determinismE0ELb1ELb1ES3_N6thrust23THRUST_200600_302600_NS6detail15normal_iteratorINS9_10device_ptrIxEEEESE_x11max_functorIxExEEDaPvRmT3_T4_T5_mT6_P12ihipStream_tbENKUlT_T0_E_clISt17integral_constantIbLb0EESU_EEDaSP_SQ_EUlSP_E0_NS1_11comp_targetILNS1_3genE10ELNS1_11target_archE1201ELNS1_3gpuE5ELNS1_3repE0EEENS1_30default_config_static_selectorELNS0_4arch9wavefront6targetE1EEEvT1_
                                        ; -- End function
	.section	.AMDGPU.csdata,"",@progbits
; Kernel info:
; codeLenInByte = 0
; NumSgprs: 4
; NumVgprs: 0
; NumAgprs: 0
; TotalNumVgprs: 0
; ScratchSize: 0
; MemoryBound: 0
; FloatMode: 240
; IeeeMode: 1
; LDSByteSize: 0 bytes/workgroup (compile time only)
; SGPRBlocks: 0
; VGPRBlocks: 0
; NumSGPRsForWavesPerEU: 4
; NumVGPRsForWavesPerEU: 1
; AccumOffset: 4
; Occupancy: 8
; WaveLimiterHint : 0
; COMPUTE_PGM_RSRC2:SCRATCH_EN: 0
; COMPUTE_PGM_RSRC2:USER_SGPR: 6
; COMPUTE_PGM_RSRC2:TRAP_HANDLER: 0
; COMPUTE_PGM_RSRC2:TGID_X_EN: 1
; COMPUTE_PGM_RSRC2:TGID_Y_EN: 0
; COMPUTE_PGM_RSRC2:TGID_Z_EN: 0
; COMPUTE_PGM_RSRC2:TIDIG_COMP_CNT: 0
; COMPUTE_PGM_RSRC3_GFX90A:ACCUM_OFFSET: 0
; COMPUTE_PGM_RSRC3_GFX90A:TG_SPLIT: 0
	.section	.text._ZN7rocprim17ROCPRIM_400000_NS6detail17trampoline_kernelINS0_14default_configENS1_20scan_config_selectorIxEEZZNS1_9scan_implILNS1_25lookback_scan_determinismE0ELb1ELb1ES3_N6thrust23THRUST_200600_302600_NS6detail15normal_iteratorINS9_10device_ptrIxEEEESE_x11max_functorIxExEEDaPvRmT3_T4_T5_mT6_P12ihipStream_tbENKUlT_T0_E_clISt17integral_constantIbLb0EESU_EEDaSP_SQ_EUlSP_E0_NS1_11comp_targetILNS1_3genE10ELNS1_11target_archE1200ELNS1_3gpuE4ELNS1_3repE0EEENS1_30default_config_static_selectorELNS0_4arch9wavefront6targetE1EEEvT1_,"axG",@progbits,_ZN7rocprim17ROCPRIM_400000_NS6detail17trampoline_kernelINS0_14default_configENS1_20scan_config_selectorIxEEZZNS1_9scan_implILNS1_25lookback_scan_determinismE0ELb1ELb1ES3_N6thrust23THRUST_200600_302600_NS6detail15normal_iteratorINS9_10device_ptrIxEEEESE_x11max_functorIxExEEDaPvRmT3_T4_T5_mT6_P12ihipStream_tbENKUlT_T0_E_clISt17integral_constantIbLb0EESU_EEDaSP_SQ_EUlSP_E0_NS1_11comp_targetILNS1_3genE10ELNS1_11target_archE1200ELNS1_3gpuE4ELNS1_3repE0EEENS1_30default_config_static_selectorELNS0_4arch9wavefront6targetE1EEEvT1_,comdat
	.protected	_ZN7rocprim17ROCPRIM_400000_NS6detail17trampoline_kernelINS0_14default_configENS1_20scan_config_selectorIxEEZZNS1_9scan_implILNS1_25lookback_scan_determinismE0ELb1ELb1ES3_N6thrust23THRUST_200600_302600_NS6detail15normal_iteratorINS9_10device_ptrIxEEEESE_x11max_functorIxExEEDaPvRmT3_T4_T5_mT6_P12ihipStream_tbENKUlT_T0_E_clISt17integral_constantIbLb0EESU_EEDaSP_SQ_EUlSP_E0_NS1_11comp_targetILNS1_3genE10ELNS1_11target_archE1200ELNS1_3gpuE4ELNS1_3repE0EEENS1_30default_config_static_selectorELNS0_4arch9wavefront6targetE1EEEvT1_ ; -- Begin function _ZN7rocprim17ROCPRIM_400000_NS6detail17trampoline_kernelINS0_14default_configENS1_20scan_config_selectorIxEEZZNS1_9scan_implILNS1_25lookback_scan_determinismE0ELb1ELb1ES3_N6thrust23THRUST_200600_302600_NS6detail15normal_iteratorINS9_10device_ptrIxEEEESE_x11max_functorIxExEEDaPvRmT3_T4_T5_mT6_P12ihipStream_tbENKUlT_T0_E_clISt17integral_constantIbLb0EESU_EEDaSP_SQ_EUlSP_E0_NS1_11comp_targetILNS1_3genE10ELNS1_11target_archE1200ELNS1_3gpuE4ELNS1_3repE0EEENS1_30default_config_static_selectorELNS0_4arch9wavefront6targetE1EEEvT1_
	.globl	_ZN7rocprim17ROCPRIM_400000_NS6detail17trampoline_kernelINS0_14default_configENS1_20scan_config_selectorIxEEZZNS1_9scan_implILNS1_25lookback_scan_determinismE0ELb1ELb1ES3_N6thrust23THRUST_200600_302600_NS6detail15normal_iteratorINS9_10device_ptrIxEEEESE_x11max_functorIxExEEDaPvRmT3_T4_T5_mT6_P12ihipStream_tbENKUlT_T0_E_clISt17integral_constantIbLb0EESU_EEDaSP_SQ_EUlSP_E0_NS1_11comp_targetILNS1_3genE10ELNS1_11target_archE1200ELNS1_3gpuE4ELNS1_3repE0EEENS1_30default_config_static_selectorELNS0_4arch9wavefront6targetE1EEEvT1_
	.p2align	8
	.type	_ZN7rocprim17ROCPRIM_400000_NS6detail17trampoline_kernelINS0_14default_configENS1_20scan_config_selectorIxEEZZNS1_9scan_implILNS1_25lookback_scan_determinismE0ELb1ELb1ES3_N6thrust23THRUST_200600_302600_NS6detail15normal_iteratorINS9_10device_ptrIxEEEESE_x11max_functorIxExEEDaPvRmT3_T4_T5_mT6_P12ihipStream_tbENKUlT_T0_E_clISt17integral_constantIbLb0EESU_EEDaSP_SQ_EUlSP_E0_NS1_11comp_targetILNS1_3genE10ELNS1_11target_archE1200ELNS1_3gpuE4ELNS1_3repE0EEENS1_30default_config_static_selectorELNS0_4arch9wavefront6targetE1EEEvT1_,@function
_ZN7rocprim17ROCPRIM_400000_NS6detail17trampoline_kernelINS0_14default_configENS1_20scan_config_selectorIxEEZZNS1_9scan_implILNS1_25lookback_scan_determinismE0ELb1ELb1ES3_N6thrust23THRUST_200600_302600_NS6detail15normal_iteratorINS9_10device_ptrIxEEEESE_x11max_functorIxExEEDaPvRmT3_T4_T5_mT6_P12ihipStream_tbENKUlT_T0_E_clISt17integral_constantIbLb0EESU_EEDaSP_SQ_EUlSP_E0_NS1_11comp_targetILNS1_3genE10ELNS1_11target_archE1200ELNS1_3gpuE4ELNS1_3repE0EEENS1_30default_config_static_selectorELNS0_4arch9wavefront6targetE1EEEvT1_: ; @_ZN7rocprim17ROCPRIM_400000_NS6detail17trampoline_kernelINS0_14default_configENS1_20scan_config_selectorIxEEZZNS1_9scan_implILNS1_25lookback_scan_determinismE0ELb1ELb1ES3_N6thrust23THRUST_200600_302600_NS6detail15normal_iteratorINS9_10device_ptrIxEEEESE_x11max_functorIxExEEDaPvRmT3_T4_T5_mT6_P12ihipStream_tbENKUlT_T0_E_clISt17integral_constantIbLb0EESU_EEDaSP_SQ_EUlSP_E0_NS1_11comp_targetILNS1_3genE10ELNS1_11target_archE1200ELNS1_3gpuE4ELNS1_3repE0EEENS1_30default_config_static_selectorELNS0_4arch9wavefront6targetE1EEEvT1_
; %bb.0:
	.section	.rodata,"a",@progbits
	.p2align	6, 0x0
	.amdhsa_kernel _ZN7rocprim17ROCPRIM_400000_NS6detail17trampoline_kernelINS0_14default_configENS1_20scan_config_selectorIxEEZZNS1_9scan_implILNS1_25lookback_scan_determinismE0ELb1ELb1ES3_N6thrust23THRUST_200600_302600_NS6detail15normal_iteratorINS9_10device_ptrIxEEEESE_x11max_functorIxExEEDaPvRmT3_T4_T5_mT6_P12ihipStream_tbENKUlT_T0_E_clISt17integral_constantIbLb0EESU_EEDaSP_SQ_EUlSP_E0_NS1_11comp_targetILNS1_3genE10ELNS1_11target_archE1200ELNS1_3gpuE4ELNS1_3repE0EEENS1_30default_config_static_selectorELNS0_4arch9wavefront6targetE1EEEvT1_
		.amdhsa_group_segment_fixed_size 0
		.amdhsa_private_segment_fixed_size 0
		.amdhsa_kernarg_size 40
		.amdhsa_user_sgpr_count 6
		.amdhsa_user_sgpr_private_segment_buffer 1
		.amdhsa_user_sgpr_dispatch_ptr 0
		.amdhsa_user_sgpr_queue_ptr 0
		.amdhsa_user_sgpr_kernarg_segment_ptr 1
		.amdhsa_user_sgpr_dispatch_id 0
		.amdhsa_user_sgpr_flat_scratch_init 0
		.amdhsa_user_sgpr_kernarg_preload_length 0
		.amdhsa_user_sgpr_kernarg_preload_offset 0
		.amdhsa_user_sgpr_private_segment_size 0
		.amdhsa_uses_dynamic_stack 0
		.amdhsa_system_sgpr_private_segment_wavefront_offset 0
		.amdhsa_system_sgpr_workgroup_id_x 1
		.amdhsa_system_sgpr_workgroup_id_y 0
		.amdhsa_system_sgpr_workgroup_id_z 0
		.amdhsa_system_sgpr_workgroup_info 0
		.amdhsa_system_vgpr_workitem_id 0
		.amdhsa_next_free_vgpr 1
		.amdhsa_next_free_sgpr 0
		.amdhsa_accum_offset 4
		.amdhsa_reserve_vcc 0
		.amdhsa_reserve_flat_scratch 0
		.amdhsa_float_round_mode_32 0
		.amdhsa_float_round_mode_16_64 0
		.amdhsa_float_denorm_mode_32 3
		.amdhsa_float_denorm_mode_16_64 3
		.amdhsa_dx10_clamp 1
		.amdhsa_ieee_mode 1
		.amdhsa_fp16_overflow 0
		.amdhsa_tg_split 0
		.amdhsa_exception_fp_ieee_invalid_op 0
		.amdhsa_exception_fp_denorm_src 0
		.amdhsa_exception_fp_ieee_div_zero 0
		.amdhsa_exception_fp_ieee_overflow 0
		.amdhsa_exception_fp_ieee_underflow 0
		.amdhsa_exception_fp_ieee_inexact 0
		.amdhsa_exception_int_div_zero 0
	.end_amdhsa_kernel
	.section	.text._ZN7rocprim17ROCPRIM_400000_NS6detail17trampoline_kernelINS0_14default_configENS1_20scan_config_selectorIxEEZZNS1_9scan_implILNS1_25lookback_scan_determinismE0ELb1ELb1ES3_N6thrust23THRUST_200600_302600_NS6detail15normal_iteratorINS9_10device_ptrIxEEEESE_x11max_functorIxExEEDaPvRmT3_T4_T5_mT6_P12ihipStream_tbENKUlT_T0_E_clISt17integral_constantIbLb0EESU_EEDaSP_SQ_EUlSP_E0_NS1_11comp_targetILNS1_3genE10ELNS1_11target_archE1200ELNS1_3gpuE4ELNS1_3repE0EEENS1_30default_config_static_selectorELNS0_4arch9wavefront6targetE1EEEvT1_,"axG",@progbits,_ZN7rocprim17ROCPRIM_400000_NS6detail17trampoline_kernelINS0_14default_configENS1_20scan_config_selectorIxEEZZNS1_9scan_implILNS1_25lookback_scan_determinismE0ELb1ELb1ES3_N6thrust23THRUST_200600_302600_NS6detail15normal_iteratorINS9_10device_ptrIxEEEESE_x11max_functorIxExEEDaPvRmT3_T4_T5_mT6_P12ihipStream_tbENKUlT_T0_E_clISt17integral_constantIbLb0EESU_EEDaSP_SQ_EUlSP_E0_NS1_11comp_targetILNS1_3genE10ELNS1_11target_archE1200ELNS1_3gpuE4ELNS1_3repE0EEENS1_30default_config_static_selectorELNS0_4arch9wavefront6targetE1EEEvT1_,comdat
.Lfunc_end2645:
	.size	_ZN7rocprim17ROCPRIM_400000_NS6detail17trampoline_kernelINS0_14default_configENS1_20scan_config_selectorIxEEZZNS1_9scan_implILNS1_25lookback_scan_determinismE0ELb1ELb1ES3_N6thrust23THRUST_200600_302600_NS6detail15normal_iteratorINS9_10device_ptrIxEEEESE_x11max_functorIxExEEDaPvRmT3_T4_T5_mT6_P12ihipStream_tbENKUlT_T0_E_clISt17integral_constantIbLb0EESU_EEDaSP_SQ_EUlSP_E0_NS1_11comp_targetILNS1_3genE10ELNS1_11target_archE1200ELNS1_3gpuE4ELNS1_3repE0EEENS1_30default_config_static_selectorELNS0_4arch9wavefront6targetE1EEEvT1_, .Lfunc_end2645-_ZN7rocprim17ROCPRIM_400000_NS6detail17trampoline_kernelINS0_14default_configENS1_20scan_config_selectorIxEEZZNS1_9scan_implILNS1_25lookback_scan_determinismE0ELb1ELb1ES3_N6thrust23THRUST_200600_302600_NS6detail15normal_iteratorINS9_10device_ptrIxEEEESE_x11max_functorIxExEEDaPvRmT3_T4_T5_mT6_P12ihipStream_tbENKUlT_T0_E_clISt17integral_constantIbLb0EESU_EEDaSP_SQ_EUlSP_E0_NS1_11comp_targetILNS1_3genE10ELNS1_11target_archE1200ELNS1_3gpuE4ELNS1_3repE0EEENS1_30default_config_static_selectorELNS0_4arch9wavefront6targetE1EEEvT1_
                                        ; -- End function
	.section	.AMDGPU.csdata,"",@progbits
; Kernel info:
; codeLenInByte = 0
; NumSgprs: 4
; NumVgprs: 0
; NumAgprs: 0
; TotalNumVgprs: 0
; ScratchSize: 0
; MemoryBound: 0
; FloatMode: 240
; IeeeMode: 1
; LDSByteSize: 0 bytes/workgroup (compile time only)
; SGPRBlocks: 0
; VGPRBlocks: 0
; NumSGPRsForWavesPerEU: 4
; NumVGPRsForWavesPerEU: 1
; AccumOffset: 4
; Occupancy: 8
; WaveLimiterHint : 0
; COMPUTE_PGM_RSRC2:SCRATCH_EN: 0
; COMPUTE_PGM_RSRC2:USER_SGPR: 6
; COMPUTE_PGM_RSRC2:TRAP_HANDLER: 0
; COMPUTE_PGM_RSRC2:TGID_X_EN: 1
; COMPUTE_PGM_RSRC2:TGID_Y_EN: 0
; COMPUTE_PGM_RSRC2:TGID_Z_EN: 0
; COMPUTE_PGM_RSRC2:TIDIG_COMP_CNT: 0
; COMPUTE_PGM_RSRC3_GFX90A:ACCUM_OFFSET: 0
; COMPUTE_PGM_RSRC3_GFX90A:TG_SPLIT: 0
	.section	.text._ZN7rocprim17ROCPRIM_400000_NS6detail17trampoline_kernelINS0_14default_configENS1_20scan_config_selectorIxEEZZNS1_9scan_implILNS1_25lookback_scan_determinismE0ELb1ELb1ES3_N6thrust23THRUST_200600_302600_NS6detail15normal_iteratorINS9_10device_ptrIxEEEESE_x11max_functorIxExEEDaPvRmT3_T4_T5_mT6_P12ihipStream_tbENKUlT_T0_E_clISt17integral_constantIbLb0EESU_EEDaSP_SQ_EUlSP_E0_NS1_11comp_targetILNS1_3genE9ELNS1_11target_archE1100ELNS1_3gpuE3ELNS1_3repE0EEENS1_30default_config_static_selectorELNS0_4arch9wavefront6targetE1EEEvT1_,"axG",@progbits,_ZN7rocprim17ROCPRIM_400000_NS6detail17trampoline_kernelINS0_14default_configENS1_20scan_config_selectorIxEEZZNS1_9scan_implILNS1_25lookback_scan_determinismE0ELb1ELb1ES3_N6thrust23THRUST_200600_302600_NS6detail15normal_iteratorINS9_10device_ptrIxEEEESE_x11max_functorIxExEEDaPvRmT3_T4_T5_mT6_P12ihipStream_tbENKUlT_T0_E_clISt17integral_constantIbLb0EESU_EEDaSP_SQ_EUlSP_E0_NS1_11comp_targetILNS1_3genE9ELNS1_11target_archE1100ELNS1_3gpuE3ELNS1_3repE0EEENS1_30default_config_static_selectorELNS0_4arch9wavefront6targetE1EEEvT1_,comdat
	.protected	_ZN7rocprim17ROCPRIM_400000_NS6detail17trampoline_kernelINS0_14default_configENS1_20scan_config_selectorIxEEZZNS1_9scan_implILNS1_25lookback_scan_determinismE0ELb1ELb1ES3_N6thrust23THRUST_200600_302600_NS6detail15normal_iteratorINS9_10device_ptrIxEEEESE_x11max_functorIxExEEDaPvRmT3_T4_T5_mT6_P12ihipStream_tbENKUlT_T0_E_clISt17integral_constantIbLb0EESU_EEDaSP_SQ_EUlSP_E0_NS1_11comp_targetILNS1_3genE9ELNS1_11target_archE1100ELNS1_3gpuE3ELNS1_3repE0EEENS1_30default_config_static_selectorELNS0_4arch9wavefront6targetE1EEEvT1_ ; -- Begin function _ZN7rocprim17ROCPRIM_400000_NS6detail17trampoline_kernelINS0_14default_configENS1_20scan_config_selectorIxEEZZNS1_9scan_implILNS1_25lookback_scan_determinismE0ELb1ELb1ES3_N6thrust23THRUST_200600_302600_NS6detail15normal_iteratorINS9_10device_ptrIxEEEESE_x11max_functorIxExEEDaPvRmT3_T4_T5_mT6_P12ihipStream_tbENKUlT_T0_E_clISt17integral_constantIbLb0EESU_EEDaSP_SQ_EUlSP_E0_NS1_11comp_targetILNS1_3genE9ELNS1_11target_archE1100ELNS1_3gpuE3ELNS1_3repE0EEENS1_30default_config_static_selectorELNS0_4arch9wavefront6targetE1EEEvT1_
	.globl	_ZN7rocprim17ROCPRIM_400000_NS6detail17trampoline_kernelINS0_14default_configENS1_20scan_config_selectorIxEEZZNS1_9scan_implILNS1_25lookback_scan_determinismE0ELb1ELb1ES3_N6thrust23THRUST_200600_302600_NS6detail15normal_iteratorINS9_10device_ptrIxEEEESE_x11max_functorIxExEEDaPvRmT3_T4_T5_mT6_P12ihipStream_tbENKUlT_T0_E_clISt17integral_constantIbLb0EESU_EEDaSP_SQ_EUlSP_E0_NS1_11comp_targetILNS1_3genE9ELNS1_11target_archE1100ELNS1_3gpuE3ELNS1_3repE0EEENS1_30default_config_static_selectorELNS0_4arch9wavefront6targetE1EEEvT1_
	.p2align	8
	.type	_ZN7rocprim17ROCPRIM_400000_NS6detail17trampoline_kernelINS0_14default_configENS1_20scan_config_selectorIxEEZZNS1_9scan_implILNS1_25lookback_scan_determinismE0ELb1ELb1ES3_N6thrust23THRUST_200600_302600_NS6detail15normal_iteratorINS9_10device_ptrIxEEEESE_x11max_functorIxExEEDaPvRmT3_T4_T5_mT6_P12ihipStream_tbENKUlT_T0_E_clISt17integral_constantIbLb0EESU_EEDaSP_SQ_EUlSP_E0_NS1_11comp_targetILNS1_3genE9ELNS1_11target_archE1100ELNS1_3gpuE3ELNS1_3repE0EEENS1_30default_config_static_selectorELNS0_4arch9wavefront6targetE1EEEvT1_,@function
_ZN7rocprim17ROCPRIM_400000_NS6detail17trampoline_kernelINS0_14default_configENS1_20scan_config_selectorIxEEZZNS1_9scan_implILNS1_25lookback_scan_determinismE0ELb1ELb1ES3_N6thrust23THRUST_200600_302600_NS6detail15normal_iteratorINS9_10device_ptrIxEEEESE_x11max_functorIxExEEDaPvRmT3_T4_T5_mT6_P12ihipStream_tbENKUlT_T0_E_clISt17integral_constantIbLb0EESU_EEDaSP_SQ_EUlSP_E0_NS1_11comp_targetILNS1_3genE9ELNS1_11target_archE1100ELNS1_3gpuE3ELNS1_3repE0EEENS1_30default_config_static_selectorELNS0_4arch9wavefront6targetE1EEEvT1_: ; @_ZN7rocprim17ROCPRIM_400000_NS6detail17trampoline_kernelINS0_14default_configENS1_20scan_config_selectorIxEEZZNS1_9scan_implILNS1_25lookback_scan_determinismE0ELb1ELb1ES3_N6thrust23THRUST_200600_302600_NS6detail15normal_iteratorINS9_10device_ptrIxEEEESE_x11max_functorIxExEEDaPvRmT3_T4_T5_mT6_P12ihipStream_tbENKUlT_T0_E_clISt17integral_constantIbLb0EESU_EEDaSP_SQ_EUlSP_E0_NS1_11comp_targetILNS1_3genE9ELNS1_11target_archE1100ELNS1_3gpuE3ELNS1_3repE0EEENS1_30default_config_static_selectorELNS0_4arch9wavefront6targetE1EEEvT1_
; %bb.0:
	.section	.rodata,"a",@progbits
	.p2align	6, 0x0
	.amdhsa_kernel _ZN7rocprim17ROCPRIM_400000_NS6detail17trampoline_kernelINS0_14default_configENS1_20scan_config_selectorIxEEZZNS1_9scan_implILNS1_25lookback_scan_determinismE0ELb1ELb1ES3_N6thrust23THRUST_200600_302600_NS6detail15normal_iteratorINS9_10device_ptrIxEEEESE_x11max_functorIxExEEDaPvRmT3_T4_T5_mT6_P12ihipStream_tbENKUlT_T0_E_clISt17integral_constantIbLb0EESU_EEDaSP_SQ_EUlSP_E0_NS1_11comp_targetILNS1_3genE9ELNS1_11target_archE1100ELNS1_3gpuE3ELNS1_3repE0EEENS1_30default_config_static_selectorELNS0_4arch9wavefront6targetE1EEEvT1_
		.amdhsa_group_segment_fixed_size 0
		.amdhsa_private_segment_fixed_size 0
		.amdhsa_kernarg_size 40
		.amdhsa_user_sgpr_count 6
		.amdhsa_user_sgpr_private_segment_buffer 1
		.amdhsa_user_sgpr_dispatch_ptr 0
		.amdhsa_user_sgpr_queue_ptr 0
		.amdhsa_user_sgpr_kernarg_segment_ptr 1
		.amdhsa_user_sgpr_dispatch_id 0
		.amdhsa_user_sgpr_flat_scratch_init 0
		.amdhsa_user_sgpr_kernarg_preload_length 0
		.amdhsa_user_sgpr_kernarg_preload_offset 0
		.amdhsa_user_sgpr_private_segment_size 0
		.amdhsa_uses_dynamic_stack 0
		.amdhsa_system_sgpr_private_segment_wavefront_offset 0
		.amdhsa_system_sgpr_workgroup_id_x 1
		.amdhsa_system_sgpr_workgroup_id_y 0
		.amdhsa_system_sgpr_workgroup_id_z 0
		.amdhsa_system_sgpr_workgroup_info 0
		.amdhsa_system_vgpr_workitem_id 0
		.amdhsa_next_free_vgpr 1
		.amdhsa_next_free_sgpr 0
		.amdhsa_accum_offset 4
		.amdhsa_reserve_vcc 0
		.amdhsa_reserve_flat_scratch 0
		.amdhsa_float_round_mode_32 0
		.amdhsa_float_round_mode_16_64 0
		.amdhsa_float_denorm_mode_32 3
		.amdhsa_float_denorm_mode_16_64 3
		.amdhsa_dx10_clamp 1
		.amdhsa_ieee_mode 1
		.amdhsa_fp16_overflow 0
		.amdhsa_tg_split 0
		.amdhsa_exception_fp_ieee_invalid_op 0
		.amdhsa_exception_fp_denorm_src 0
		.amdhsa_exception_fp_ieee_div_zero 0
		.amdhsa_exception_fp_ieee_overflow 0
		.amdhsa_exception_fp_ieee_underflow 0
		.amdhsa_exception_fp_ieee_inexact 0
		.amdhsa_exception_int_div_zero 0
	.end_amdhsa_kernel
	.section	.text._ZN7rocprim17ROCPRIM_400000_NS6detail17trampoline_kernelINS0_14default_configENS1_20scan_config_selectorIxEEZZNS1_9scan_implILNS1_25lookback_scan_determinismE0ELb1ELb1ES3_N6thrust23THRUST_200600_302600_NS6detail15normal_iteratorINS9_10device_ptrIxEEEESE_x11max_functorIxExEEDaPvRmT3_T4_T5_mT6_P12ihipStream_tbENKUlT_T0_E_clISt17integral_constantIbLb0EESU_EEDaSP_SQ_EUlSP_E0_NS1_11comp_targetILNS1_3genE9ELNS1_11target_archE1100ELNS1_3gpuE3ELNS1_3repE0EEENS1_30default_config_static_selectorELNS0_4arch9wavefront6targetE1EEEvT1_,"axG",@progbits,_ZN7rocprim17ROCPRIM_400000_NS6detail17trampoline_kernelINS0_14default_configENS1_20scan_config_selectorIxEEZZNS1_9scan_implILNS1_25lookback_scan_determinismE0ELb1ELb1ES3_N6thrust23THRUST_200600_302600_NS6detail15normal_iteratorINS9_10device_ptrIxEEEESE_x11max_functorIxExEEDaPvRmT3_T4_T5_mT6_P12ihipStream_tbENKUlT_T0_E_clISt17integral_constantIbLb0EESU_EEDaSP_SQ_EUlSP_E0_NS1_11comp_targetILNS1_3genE9ELNS1_11target_archE1100ELNS1_3gpuE3ELNS1_3repE0EEENS1_30default_config_static_selectorELNS0_4arch9wavefront6targetE1EEEvT1_,comdat
.Lfunc_end2646:
	.size	_ZN7rocprim17ROCPRIM_400000_NS6detail17trampoline_kernelINS0_14default_configENS1_20scan_config_selectorIxEEZZNS1_9scan_implILNS1_25lookback_scan_determinismE0ELb1ELb1ES3_N6thrust23THRUST_200600_302600_NS6detail15normal_iteratorINS9_10device_ptrIxEEEESE_x11max_functorIxExEEDaPvRmT3_T4_T5_mT6_P12ihipStream_tbENKUlT_T0_E_clISt17integral_constantIbLb0EESU_EEDaSP_SQ_EUlSP_E0_NS1_11comp_targetILNS1_3genE9ELNS1_11target_archE1100ELNS1_3gpuE3ELNS1_3repE0EEENS1_30default_config_static_selectorELNS0_4arch9wavefront6targetE1EEEvT1_, .Lfunc_end2646-_ZN7rocprim17ROCPRIM_400000_NS6detail17trampoline_kernelINS0_14default_configENS1_20scan_config_selectorIxEEZZNS1_9scan_implILNS1_25lookback_scan_determinismE0ELb1ELb1ES3_N6thrust23THRUST_200600_302600_NS6detail15normal_iteratorINS9_10device_ptrIxEEEESE_x11max_functorIxExEEDaPvRmT3_T4_T5_mT6_P12ihipStream_tbENKUlT_T0_E_clISt17integral_constantIbLb0EESU_EEDaSP_SQ_EUlSP_E0_NS1_11comp_targetILNS1_3genE9ELNS1_11target_archE1100ELNS1_3gpuE3ELNS1_3repE0EEENS1_30default_config_static_selectorELNS0_4arch9wavefront6targetE1EEEvT1_
                                        ; -- End function
	.section	.AMDGPU.csdata,"",@progbits
; Kernel info:
; codeLenInByte = 0
; NumSgprs: 4
; NumVgprs: 0
; NumAgprs: 0
; TotalNumVgprs: 0
; ScratchSize: 0
; MemoryBound: 0
; FloatMode: 240
; IeeeMode: 1
; LDSByteSize: 0 bytes/workgroup (compile time only)
; SGPRBlocks: 0
; VGPRBlocks: 0
; NumSGPRsForWavesPerEU: 4
; NumVGPRsForWavesPerEU: 1
; AccumOffset: 4
; Occupancy: 8
; WaveLimiterHint : 0
; COMPUTE_PGM_RSRC2:SCRATCH_EN: 0
; COMPUTE_PGM_RSRC2:USER_SGPR: 6
; COMPUTE_PGM_RSRC2:TRAP_HANDLER: 0
; COMPUTE_PGM_RSRC2:TGID_X_EN: 1
; COMPUTE_PGM_RSRC2:TGID_Y_EN: 0
; COMPUTE_PGM_RSRC2:TGID_Z_EN: 0
; COMPUTE_PGM_RSRC2:TIDIG_COMP_CNT: 0
; COMPUTE_PGM_RSRC3_GFX90A:ACCUM_OFFSET: 0
; COMPUTE_PGM_RSRC3_GFX90A:TG_SPLIT: 0
	.section	.text._ZN7rocprim17ROCPRIM_400000_NS6detail17trampoline_kernelINS0_14default_configENS1_20scan_config_selectorIxEEZZNS1_9scan_implILNS1_25lookback_scan_determinismE0ELb1ELb1ES3_N6thrust23THRUST_200600_302600_NS6detail15normal_iteratorINS9_10device_ptrIxEEEESE_x11max_functorIxExEEDaPvRmT3_T4_T5_mT6_P12ihipStream_tbENKUlT_T0_E_clISt17integral_constantIbLb0EESU_EEDaSP_SQ_EUlSP_E0_NS1_11comp_targetILNS1_3genE8ELNS1_11target_archE1030ELNS1_3gpuE2ELNS1_3repE0EEENS1_30default_config_static_selectorELNS0_4arch9wavefront6targetE1EEEvT1_,"axG",@progbits,_ZN7rocprim17ROCPRIM_400000_NS6detail17trampoline_kernelINS0_14default_configENS1_20scan_config_selectorIxEEZZNS1_9scan_implILNS1_25lookback_scan_determinismE0ELb1ELb1ES3_N6thrust23THRUST_200600_302600_NS6detail15normal_iteratorINS9_10device_ptrIxEEEESE_x11max_functorIxExEEDaPvRmT3_T4_T5_mT6_P12ihipStream_tbENKUlT_T0_E_clISt17integral_constantIbLb0EESU_EEDaSP_SQ_EUlSP_E0_NS1_11comp_targetILNS1_3genE8ELNS1_11target_archE1030ELNS1_3gpuE2ELNS1_3repE0EEENS1_30default_config_static_selectorELNS0_4arch9wavefront6targetE1EEEvT1_,comdat
	.protected	_ZN7rocprim17ROCPRIM_400000_NS6detail17trampoline_kernelINS0_14default_configENS1_20scan_config_selectorIxEEZZNS1_9scan_implILNS1_25lookback_scan_determinismE0ELb1ELb1ES3_N6thrust23THRUST_200600_302600_NS6detail15normal_iteratorINS9_10device_ptrIxEEEESE_x11max_functorIxExEEDaPvRmT3_T4_T5_mT6_P12ihipStream_tbENKUlT_T0_E_clISt17integral_constantIbLb0EESU_EEDaSP_SQ_EUlSP_E0_NS1_11comp_targetILNS1_3genE8ELNS1_11target_archE1030ELNS1_3gpuE2ELNS1_3repE0EEENS1_30default_config_static_selectorELNS0_4arch9wavefront6targetE1EEEvT1_ ; -- Begin function _ZN7rocprim17ROCPRIM_400000_NS6detail17trampoline_kernelINS0_14default_configENS1_20scan_config_selectorIxEEZZNS1_9scan_implILNS1_25lookback_scan_determinismE0ELb1ELb1ES3_N6thrust23THRUST_200600_302600_NS6detail15normal_iteratorINS9_10device_ptrIxEEEESE_x11max_functorIxExEEDaPvRmT3_T4_T5_mT6_P12ihipStream_tbENKUlT_T0_E_clISt17integral_constantIbLb0EESU_EEDaSP_SQ_EUlSP_E0_NS1_11comp_targetILNS1_3genE8ELNS1_11target_archE1030ELNS1_3gpuE2ELNS1_3repE0EEENS1_30default_config_static_selectorELNS0_4arch9wavefront6targetE1EEEvT1_
	.globl	_ZN7rocprim17ROCPRIM_400000_NS6detail17trampoline_kernelINS0_14default_configENS1_20scan_config_selectorIxEEZZNS1_9scan_implILNS1_25lookback_scan_determinismE0ELb1ELb1ES3_N6thrust23THRUST_200600_302600_NS6detail15normal_iteratorINS9_10device_ptrIxEEEESE_x11max_functorIxExEEDaPvRmT3_T4_T5_mT6_P12ihipStream_tbENKUlT_T0_E_clISt17integral_constantIbLb0EESU_EEDaSP_SQ_EUlSP_E0_NS1_11comp_targetILNS1_3genE8ELNS1_11target_archE1030ELNS1_3gpuE2ELNS1_3repE0EEENS1_30default_config_static_selectorELNS0_4arch9wavefront6targetE1EEEvT1_
	.p2align	8
	.type	_ZN7rocprim17ROCPRIM_400000_NS6detail17trampoline_kernelINS0_14default_configENS1_20scan_config_selectorIxEEZZNS1_9scan_implILNS1_25lookback_scan_determinismE0ELb1ELb1ES3_N6thrust23THRUST_200600_302600_NS6detail15normal_iteratorINS9_10device_ptrIxEEEESE_x11max_functorIxExEEDaPvRmT3_T4_T5_mT6_P12ihipStream_tbENKUlT_T0_E_clISt17integral_constantIbLb0EESU_EEDaSP_SQ_EUlSP_E0_NS1_11comp_targetILNS1_3genE8ELNS1_11target_archE1030ELNS1_3gpuE2ELNS1_3repE0EEENS1_30default_config_static_selectorELNS0_4arch9wavefront6targetE1EEEvT1_,@function
_ZN7rocprim17ROCPRIM_400000_NS6detail17trampoline_kernelINS0_14default_configENS1_20scan_config_selectorIxEEZZNS1_9scan_implILNS1_25lookback_scan_determinismE0ELb1ELb1ES3_N6thrust23THRUST_200600_302600_NS6detail15normal_iteratorINS9_10device_ptrIxEEEESE_x11max_functorIxExEEDaPvRmT3_T4_T5_mT6_P12ihipStream_tbENKUlT_T0_E_clISt17integral_constantIbLb0EESU_EEDaSP_SQ_EUlSP_E0_NS1_11comp_targetILNS1_3genE8ELNS1_11target_archE1030ELNS1_3gpuE2ELNS1_3repE0EEENS1_30default_config_static_selectorELNS0_4arch9wavefront6targetE1EEEvT1_: ; @_ZN7rocprim17ROCPRIM_400000_NS6detail17trampoline_kernelINS0_14default_configENS1_20scan_config_selectorIxEEZZNS1_9scan_implILNS1_25lookback_scan_determinismE0ELb1ELb1ES3_N6thrust23THRUST_200600_302600_NS6detail15normal_iteratorINS9_10device_ptrIxEEEESE_x11max_functorIxExEEDaPvRmT3_T4_T5_mT6_P12ihipStream_tbENKUlT_T0_E_clISt17integral_constantIbLb0EESU_EEDaSP_SQ_EUlSP_E0_NS1_11comp_targetILNS1_3genE8ELNS1_11target_archE1030ELNS1_3gpuE2ELNS1_3repE0EEENS1_30default_config_static_selectorELNS0_4arch9wavefront6targetE1EEEvT1_
; %bb.0:
	.section	.rodata,"a",@progbits
	.p2align	6, 0x0
	.amdhsa_kernel _ZN7rocprim17ROCPRIM_400000_NS6detail17trampoline_kernelINS0_14default_configENS1_20scan_config_selectorIxEEZZNS1_9scan_implILNS1_25lookback_scan_determinismE0ELb1ELb1ES3_N6thrust23THRUST_200600_302600_NS6detail15normal_iteratorINS9_10device_ptrIxEEEESE_x11max_functorIxExEEDaPvRmT3_T4_T5_mT6_P12ihipStream_tbENKUlT_T0_E_clISt17integral_constantIbLb0EESU_EEDaSP_SQ_EUlSP_E0_NS1_11comp_targetILNS1_3genE8ELNS1_11target_archE1030ELNS1_3gpuE2ELNS1_3repE0EEENS1_30default_config_static_selectorELNS0_4arch9wavefront6targetE1EEEvT1_
		.amdhsa_group_segment_fixed_size 0
		.amdhsa_private_segment_fixed_size 0
		.amdhsa_kernarg_size 40
		.amdhsa_user_sgpr_count 6
		.amdhsa_user_sgpr_private_segment_buffer 1
		.amdhsa_user_sgpr_dispatch_ptr 0
		.amdhsa_user_sgpr_queue_ptr 0
		.amdhsa_user_sgpr_kernarg_segment_ptr 1
		.amdhsa_user_sgpr_dispatch_id 0
		.amdhsa_user_sgpr_flat_scratch_init 0
		.amdhsa_user_sgpr_kernarg_preload_length 0
		.amdhsa_user_sgpr_kernarg_preload_offset 0
		.amdhsa_user_sgpr_private_segment_size 0
		.amdhsa_uses_dynamic_stack 0
		.amdhsa_system_sgpr_private_segment_wavefront_offset 0
		.amdhsa_system_sgpr_workgroup_id_x 1
		.amdhsa_system_sgpr_workgroup_id_y 0
		.amdhsa_system_sgpr_workgroup_id_z 0
		.amdhsa_system_sgpr_workgroup_info 0
		.amdhsa_system_vgpr_workitem_id 0
		.amdhsa_next_free_vgpr 1
		.amdhsa_next_free_sgpr 0
		.amdhsa_accum_offset 4
		.amdhsa_reserve_vcc 0
		.amdhsa_reserve_flat_scratch 0
		.amdhsa_float_round_mode_32 0
		.amdhsa_float_round_mode_16_64 0
		.amdhsa_float_denorm_mode_32 3
		.amdhsa_float_denorm_mode_16_64 3
		.amdhsa_dx10_clamp 1
		.amdhsa_ieee_mode 1
		.amdhsa_fp16_overflow 0
		.amdhsa_tg_split 0
		.amdhsa_exception_fp_ieee_invalid_op 0
		.amdhsa_exception_fp_denorm_src 0
		.amdhsa_exception_fp_ieee_div_zero 0
		.amdhsa_exception_fp_ieee_overflow 0
		.amdhsa_exception_fp_ieee_underflow 0
		.amdhsa_exception_fp_ieee_inexact 0
		.amdhsa_exception_int_div_zero 0
	.end_amdhsa_kernel
	.section	.text._ZN7rocprim17ROCPRIM_400000_NS6detail17trampoline_kernelINS0_14default_configENS1_20scan_config_selectorIxEEZZNS1_9scan_implILNS1_25lookback_scan_determinismE0ELb1ELb1ES3_N6thrust23THRUST_200600_302600_NS6detail15normal_iteratorINS9_10device_ptrIxEEEESE_x11max_functorIxExEEDaPvRmT3_T4_T5_mT6_P12ihipStream_tbENKUlT_T0_E_clISt17integral_constantIbLb0EESU_EEDaSP_SQ_EUlSP_E0_NS1_11comp_targetILNS1_3genE8ELNS1_11target_archE1030ELNS1_3gpuE2ELNS1_3repE0EEENS1_30default_config_static_selectorELNS0_4arch9wavefront6targetE1EEEvT1_,"axG",@progbits,_ZN7rocprim17ROCPRIM_400000_NS6detail17trampoline_kernelINS0_14default_configENS1_20scan_config_selectorIxEEZZNS1_9scan_implILNS1_25lookback_scan_determinismE0ELb1ELb1ES3_N6thrust23THRUST_200600_302600_NS6detail15normal_iteratorINS9_10device_ptrIxEEEESE_x11max_functorIxExEEDaPvRmT3_T4_T5_mT6_P12ihipStream_tbENKUlT_T0_E_clISt17integral_constantIbLb0EESU_EEDaSP_SQ_EUlSP_E0_NS1_11comp_targetILNS1_3genE8ELNS1_11target_archE1030ELNS1_3gpuE2ELNS1_3repE0EEENS1_30default_config_static_selectorELNS0_4arch9wavefront6targetE1EEEvT1_,comdat
.Lfunc_end2647:
	.size	_ZN7rocprim17ROCPRIM_400000_NS6detail17trampoline_kernelINS0_14default_configENS1_20scan_config_selectorIxEEZZNS1_9scan_implILNS1_25lookback_scan_determinismE0ELb1ELb1ES3_N6thrust23THRUST_200600_302600_NS6detail15normal_iteratorINS9_10device_ptrIxEEEESE_x11max_functorIxExEEDaPvRmT3_T4_T5_mT6_P12ihipStream_tbENKUlT_T0_E_clISt17integral_constantIbLb0EESU_EEDaSP_SQ_EUlSP_E0_NS1_11comp_targetILNS1_3genE8ELNS1_11target_archE1030ELNS1_3gpuE2ELNS1_3repE0EEENS1_30default_config_static_selectorELNS0_4arch9wavefront6targetE1EEEvT1_, .Lfunc_end2647-_ZN7rocprim17ROCPRIM_400000_NS6detail17trampoline_kernelINS0_14default_configENS1_20scan_config_selectorIxEEZZNS1_9scan_implILNS1_25lookback_scan_determinismE0ELb1ELb1ES3_N6thrust23THRUST_200600_302600_NS6detail15normal_iteratorINS9_10device_ptrIxEEEESE_x11max_functorIxExEEDaPvRmT3_T4_T5_mT6_P12ihipStream_tbENKUlT_T0_E_clISt17integral_constantIbLb0EESU_EEDaSP_SQ_EUlSP_E0_NS1_11comp_targetILNS1_3genE8ELNS1_11target_archE1030ELNS1_3gpuE2ELNS1_3repE0EEENS1_30default_config_static_selectorELNS0_4arch9wavefront6targetE1EEEvT1_
                                        ; -- End function
	.section	.AMDGPU.csdata,"",@progbits
; Kernel info:
; codeLenInByte = 0
; NumSgprs: 4
; NumVgprs: 0
; NumAgprs: 0
; TotalNumVgprs: 0
; ScratchSize: 0
; MemoryBound: 0
; FloatMode: 240
; IeeeMode: 1
; LDSByteSize: 0 bytes/workgroup (compile time only)
; SGPRBlocks: 0
; VGPRBlocks: 0
; NumSGPRsForWavesPerEU: 4
; NumVGPRsForWavesPerEU: 1
; AccumOffset: 4
; Occupancy: 8
; WaveLimiterHint : 0
; COMPUTE_PGM_RSRC2:SCRATCH_EN: 0
; COMPUTE_PGM_RSRC2:USER_SGPR: 6
; COMPUTE_PGM_RSRC2:TRAP_HANDLER: 0
; COMPUTE_PGM_RSRC2:TGID_X_EN: 1
; COMPUTE_PGM_RSRC2:TGID_Y_EN: 0
; COMPUTE_PGM_RSRC2:TGID_Z_EN: 0
; COMPUTE_PGM_RSRC2:TIDIG_COMP_CNT: 0
; COMPUTE_PGM_RSRC3_GFX90A:ACCUM_OFFSET: 0
; COMPUTE_PGM_RSRC3_GFX90A:TG_SPLIT: 0
	.section	.text._ZN7rocprim17ROCPRIM_400000_NS6detail17trampoline_kernelINS0_14default_configENS1_20scan_config_selectorIxEEZZNS1_9scan_implILNS1_25lookback_scan_determinismE0ELb1ELb1ES3_N6thrust23THRUST_200600_302600_NS6detail15normal_iteratorINS9_10device_ptrIxEEEESE_x11max_functorIxExEEDaPvRmT3_T4_T5_mT6_P12ihipStream_tbENKUlT_T0_E_clISt17integral_constantIbLb1EESU_EEDaSP_SQ_EUlSP_E_NS1_11comp_targetILNS1_3genE0ELNS1_11target_archE4294967295ELNS1_3gpuE0ELNS1_3repE0EEENS1_30default_config_static_selectorELNS0_4arch9wavefront6targetE1EEEvT1_,"axG",@progbits,_ZN7rocprim17ROCPRIM_400000_NS6detail17trampoline_kernelINS0_14default_configENS1_20scan_config_selectorIxEEZZNS1_9scan_implILNS1_25lookback_scan_determinismE0ELb1ELb1ES3_N6thrust23THRUST_200600_302600_NS6detail15normal_iteratorINS9_10device_ptrIxEEEESE_x11max_functorIxExEEDaPvRmT3_T4_T5_mT6_P12ihipStream_tbENKUlT_T0_E_clISt17integral_constantIbLb1EESU_EEDaSP_SQ_EUlSP_E_NS1_11comp_targetILNS1_3genE0ELNS1_11target_archE4294967295ELNS1_3gpuE0ELNS1_3repE0EEENS1_30default_config_static_selectorELNS0_4arch9wavefront6targetE1EEEvT1_,comdat
	.protected	_ZN7rocprim17ROCPRIM_400000_NS6detail17trampoline_kernelINS0_14default_configENS1_20scan_config_selectorIxEEZZNS1_9scan_implILNS1_25lookback_scan_determinismE0ELb1ELb1ES3_N6thrust23THRUST_200600_302600_NS6detail15normal_iteratorINS9_10device_ptrIxEEEESE_x11max_functorIxExEEDaPvRmT3_T4_T5_mT6_P12ihipStream_tbENKUlT_T0_E_clISt17integral_constantIbLb1EESU_EEDaSP_SQ_EUlSP_E_NS1_11comp_targetILNS1_3genE0ELNS1_11target_archE4294967295ELNS1_3gpuE0ELNS1_3repE0EEENS1_30default_config_static_selectorELNS0_4arch9wavefront6targetE1EEEvT1_ ; -- Begin function _ZN7rocprim17ROCPRIM_400000_NS6detail17trampoline_kernelINS0_14default_configENS1_20scan_config_selectorIxEEZZNS1_9scan_implILNS1_25lookback_scan_determinismE0ELb1ELb1ES3_N6thrust23THRUST_200600_302600_NS6detail15normal_iteratorINS9_10device_ptrIxEEEESE_x11max_functorIxExEEDaPvRmT3_T4_T5_mT6_P12ihipStream_tbENKUlT_T0_E_clISt17integral_constantIbLb1EESU_EEDaSP_SQ_EUlSP_E_NS1_11comp_targetILNS1_3genE0ELNS1_11target_archE4294967295ELNS1_3gpuE0ELNS1_3repE0EEENS1_30default_config_static_selectorELNS0_4arch9wavefront6targetE1EEEvT1_
	.globl	_ZN7rocprim17ROCPRIM_400000_NS6detail17trampoline_kernelINS0_14default_configENS1_20scan_config_selectorIxEEZZNS1_9scan_implILNS1_25lookback_scan_determinismE0ELb1ELb1ES3_N6thrust23THRUST_200600_302600_NS6detail15normal_iteratorINS9_10device_ptrIxEEEESE_x11max_functorIxExEEDaPvRmT3_T4_T5_mT6_P12ihipStream_tbENKUlT_T0_E_clISt17integral_constantIbLb1EESU_EEDaSP_SQ_EUlSP_E_NS1_11comp_targetILNS1_3genE0ELNS1_11target_archE4294967295ELNS1_3gpuE0ELNS1_3repE0EEENS1_30default_config_static_selectorELNS0_4arch9wavefront6targetE1EEEvT1_
	.p2align	8
	.type	_ZN7rocprim17ROCPRIM_400000_NS6detail17trampoline_kernelINS0_14default_configENS1_20scan_config_selectorIxEEZZNS1_9scan_implILNS1_25lookback_scan_determinismE0ELb1ELb1ES3_N6thrust23THRUST_200600_302600_NS6detail15normal_iteratorINS9_10device_ptrIxEEEESE_x11max_functorIxExEEDaPvRmT3_T4_T5_mT6_P12ihipStream_tbENKUlT_T0_E_clISt17integral_constantIbLb1EESU_EEDaSP_SQ_EUlSP_E_NS1_11comp_targetILNS1_3genE0ELNS1_11target_archE4294967295ELNS1_3gpuE0ELNS1_3repE0EEENS1_30default_config_static_selectorELNS0_4arch9wavefront6targetE1EEEvT1_,@function
_ZN7rocprim17ROCPRIM_400000_NS6detail17trampoline_kernelINS0_14default_configENS1_20scan_config_selectorIxEEZZNS1_9scan_implILNS1_25lookback_scan_determinismE0ELb1ELb1ES3_N6thrust23THRUST_200600_302600_NS6detail15normal_iteratorINS9_10device_ptrIxEEEESE_x11max_functorIxExEEDaPvRmT3_T4_T5_mT6_P12ihipStream_tbENKUlT_T0_E_clISt17integral_constantIbLb1EESU_EEDaSP_SQ_EUlSP_E_NS1_11comp_targetILNS1_3genE0ELNS1_11target_archE4294967295ELNS1_3gpuE0ELNS1_3repE0EEENS1_30default_config_static_selectorELNS0_4arch9wavefront6targetE1EEEvT1_: ; @_ZN7rocprim17ROCPRIM_400000_NS6detail17trampoline_kernelINS0_14default_configENS1_20scan_config_selectorIxEEZZNS1_9scan_implILNS1_25lookback_scan_determinismE0ELb1ELb1ES3_N6thrust23THRUST_200600_302600_NS6detail15normal_iteratorINS9_10device_ptrIxEEEESE_x11max_functorIxExEEDaPvRmT3_T4_T5_mT6_P12ihipStream_tbENKUlT_T0_E_clISt17integral_constantIbLb1EESU_EEDaSP_SQ_EUlSP_E_NS1_11comp_targetILNS1_3genE0ELNS1_11target_archE4294967295ELNS1_3gpuE0ELNS1_3repE0EEENS1_30default_config_static_selectorELNS0_4arch9wavefront6targetE1EEEvT1_
; %bb.0:
	.section	.rodata,"a",@progbits
	.p2align	6, 0x0
	.amdhsa_kernel _ZN7rocprim17ROCPRIM_400000_NS6detail17trampoline_kernelINS0_14default_configENS1_20scan_config_selectorIxEEZZNS1_9scan_implILNS1_25lookback_scan_determinismE0ELb1ELb1ES3_N6thrust23THRUST_200600_302600_NS6detail15normal_iteratorINS9_10device_ptrIxEEEESE_x11max_functorIxExEEDaPvRmT3_T4_T5_mT6_P12ihipStream_tbENKUlT_T0_E_clISt17integral_constantIbLb1EESU_EEDaSP_SQ_EUlSP_E_NS1_11comp_targetILNS1_3genE0ELNS1_11target_archE4294967295ELNS1_3gpuE0ELNS1_3repE0EEENS1_30default_config_static_selectorELNS0_4arch9wavefront6targetE1EEEvT1_
		.amdhsa_group_segment_fixed_size 0
		.amdhsa_private_segment_fixed_size 0
		.amdhsa_kernarg_size 104
		.amdhsa_user_sgpr_count 6
		.amdhsa_user_sgpr_private_segment_buffer 1
		.amdhsa_user_sgpr_dispatch_ptr 0
		.amdhsa_user_sgpr_queue_ptr 0
		.amdhsa_user_sgpr_kernarg_segment_ptr 1
		.amdhsa_user_sgpr_dispatch_id 0
		.amdhsa_user_sgpr_flat_scratch_init 0
		.amdhsa_user_sgpr_kernarg_preload_length 0
		.amdhsa_user_sgpr_kernarg_preload_offset 0
		.amdhsa_user_sgpr_private_segment_size 0
		.amdhsa_uses_dynamic_stack 0
		.amdhsa_system_sgpr_private_segment_wavefront_offset 0
		.amdhsa_system_sgpr_workgroup_id_x 1
		.amdhsa_system_sgpr_workgroup_id_y 0
		.amdhsa_system_sgpr_workgroup_id_z 0
		.amdhsa_system_sgpr_workgroup_info 0
		.amdhsa_system_vgpr_workitem_id 0
		.amdhsa_next_free_vgpr 1
		.amdhsa_next_free_sgpr 0
		.amdhsa_accum_offset 4
		.amdhsa_reserve_vcc 0
		.amdhsa_reserve_flat_scratch 0
		.amdhsa_float_round_mode_32 0
		.amdhsa_float_round_mode_16_64 0
		.amdhsa_float_denorm_mode_32 3
		.amdhsa_float_denorm_mode_16_64 3
		.amdhsa_dx10_clamp 1
		.amdhsa_ieee_mode 1
		.amdhsa_fp16_overflow 0
		.amdhsa_tg_split 0
		.amdhsa_exception_fp_ieee_invalid_op 0
		.amdhsa_exception_fp_denorm_src 0
		.amdhsa_exception_fp_ieee_div_zero 0
		.amdhsa_exception_fp_ieee_overflow 0
		.amdhsa_exception_fp_ieee_underflow 0
		.amdhsa_exception_fp_ieee_inexact 0
		.amdhsa_exception_int_div_zero 0
	.end_amdhsa_kernel
	.section	.text._ZN7rocprim17ROCPRIM_400000_NS6detail17trampoline_kernelINS0_14default_configENS1_20scan_config_selectorIxEEZZNS1_9scan_implILNS1_25lookback_scan_determinismE0ELb1ELb1ES3_N6thrust23THRUST_200600_302600_NS6detail15normal_iteratorINS9_10device_ptrIxEEEESE_x11max_functorIxExEEDaPvRmT3_T4_T5_mT6_P12ihipStream_tbENKUlT_T0_E_clISt17integral_constantIbLb1EESU_EEDaSP_SQ_EUlSP_E_NS1_11comp_targetILNS1_3genE0ELNS1_11target_archE4294967295ELNS1_3gpuE0ELNS1_3repE0EEENS1_30default_config_static_selectorELNS0_4arch9wavefront6targetE1EEEvT1_,"axG",@progbits,_ZN7rocprim17ROCPRIM_400000_NS6detail17trampoline_kernelINS0_14default_configENS1_20scan_config_selectorIxEEZZNS1_9scan_implILNS1_25lookback_scan_determinismE0ELb1ELb1ES3_N6thrust23THRUST_200600_302600_NS6detail15normal_iteratorINS9_10device_ptrIxEEEESE_x11max_functorIxExEEDaPvRmT3_T4_T5_mT6_P12ihipStream_tbENKUlT_T0_E_clISt17integral_constantIbLb1EESU_EEDaSP_SQ_EUlSP_E_NS1_11comp_targetILNS1_3genE0ELNS1_11target_archE4294967295ELNS1_3gpuE0ELNS1_3repE0EEENS1_30default_config_static_selectorELNS0_4arch9wavefront6targetE1EEEvT1_,comdat
.Lfunc_end2648:
	.size	_ZN7rocprim17ROCPRIM_400000_NS6detail17trampoline_kernelINS0_14default_configENS1_20scan_config_selectorIxEEZZNS1_9scan_implILNS1_25lookback_scan_determinismE0ELb1ELb1ES3_N6thrust23THRUST_200600_302600_NS6detail15normal_iteratorINS9_10device_ptrIxEEEESE_x11max_functorIxExEEDaPvRmT3_T4_T5_mT6_P12ihipStream_tbENKUlT_T0_E_clISt17integral_constantIbLb1EESU_EEDaSP_SQ_EUlSP_E_NS1_11comp_targetILNS1_3genE0ELNS1_11target_archE4294967295ELNS1_3gpuE0ELNS1_3repE0EEENS1_30default_config_static_selectorELNS0_4arch9wavefront6targetE1EEEvT1_, .Lfunc_end2648-_ZN7rocprim17ROCPRIM_400000_NS6detail17trampoline_kernelINS0_14default_configENS1_20scan_config_selectorIxEEZZNS1_9scan_implILNS1_25lookback_scan_determinismE0ELb1ELb1ES3_N6thrust23THRUST_200600_302600_NS6detail15normal_iteratorINS9_10device_ptrIxEEEESE_x11max_functorIxExEEDaPvRmT3_T4_T5_mT6_P12ihipStream_tbENKUlT_T0_E_clISt17integral_constantIbLb1EESU_EEDaSP_SQ_EUlSP_E_NS1_11comp_targetILNS1_3genE0ELNS1_11target_archE4294967295ELNS1_3gpuE0ELNS1_3repE0EEENS1_30default_config_static_selectorELNS0_4arch9wavefront6targetE1EEEvT1_
                                        ; -- End function
	.section	.AMDGPU.csdata,"",@progbits
; Kernel info:
; codeLenInByte = 0
; NumSgprs: 4
; NumVgprs: 0
; NumAgprs: 0
; TotalNumVgprs: 0
; ScratchSize: 0
; MemoryBound: 0
; FloatMode: 240
; IeeeMode: 1
; LDSByteSize: 0 bytes/workgroup (compile time only)
; SGPRBlocks: 0
; VGPRBlocks: 0
; NumSGPRsForWavesPerEU: 4
; NumVGPRsForWavesPerEU: 1
; AccumOffset: 4
; Occupancy: 8
; WaveLimiterHint : 0
; COMPUTE_PGM_RSRC2:SCRATCH_EN: 0
; COMPUTE_PGM_RSRC2:USER_SGPR: 6
; COMPUTE_PGM_RSRC2:TRAP_HANDLER: 0
; COMPUTE_PGM_RSRC2:TGID_X_EN: 1
; COMPUTE_PGM_RSRC2:TGID_Y_EN: 0
; COMPUTE_PGM_RSRC2:TGID_Z_EN: 0
; COMPUTE_PGM_RSRC2:TIDIG_COMP_CNT: 0
; COMPUTE_PGM_RSRC3_GFX90A:ACCUM_OFFSET: 0
; COMPUTE_PGM_RSRC3_GFX90A:TG_SPLIT: 0
	.section	.text._ZN7rocprim17ROCPRIM_400000_NS6detail17trampoline_kernelINS0_14default_configENS1_20scan_config_selectorIxEEZZNS1_9scan_implILNS1_25lookback_scan_determinismE0ELb1ELb1ES3_N6thrust23THRUST_200600_302600_NS6detail15normal_iteratorINS9_10device_ptrIxEEEESE_x11max_functorIxExEEDaPvRmT3_T4_T5_mT6_P12ihipStream_tbENKUlT_T0_E_clISt17integral_constantIbLb1EESU_EEDaSP_SQ_EUlSP_E_NS1_11comp_targetILNS1_3genE5ELNS1_11target_archE942ELNS1_3gpuE9ELNS1_3repE0EEENS1_30default_config_static_selectorELNS0_4arch9wavefront6targetE1EEEvT1_,"axG",@progbits,_ZN7rocprim17ROCPRIM_400000_NS6detail17trampoline_kernelINS0_14default_configENS1_20scan_config_selectorIxEEZZNS1_9scan_implILNS1_25lookback_scan_determinismE0ELb1ELb1ES3_N6thrust23THRUST_200600_302600_NS6detail15normal_iteratorINS9_10device_ptrIxEEEESE_x11max_functorIxExEEDaPvRmT3_T4_T5_mT6_P12ihipStream_tbENKUlT_T0_E_clISt17integral_constantIbLb1EESU_EEDaSP_SQ_EUlSP_E_NS1_11comp_targetILNS1_3genE5ELNS1_11target_archE942ELNS1_3gpuE9ELNS1_3repE0EEENS1_30default_config_static_selectorELNS0_4arch9wavefront6targetE1EEEvT1_,comdat
	.protected	_ZN7rocprim17ROCPRIM_400000_NS6detail17trampoline_kernelINS0_14default_configENS1_20scan_config_selectorIxEEZZNS1_9scan_implILNS1_25lookback_scan_determinismE0ELb1ELb1ES3_N6thrust23THRUST_200600_302600_NS6detail15normal_iteratorINS9_10device_ptrIxEEEESE_x11max_functorIxExEEDaPvRmT3_T4_T5_mT6_P12ihipStream_tbENKUlT_T0_E_clISt17integral_constantIbLb1EESU_EEDaSP_SQ_EUlSP_E_NS1_11comp_targetILNS1_3genE5ELNS1_11target_archE942ELNS1_3gpuE9ELNS1_3repE0EEENS1_30default_config_static_selectorELNS0_4arch9wavefront6targetE1EEEvT1_ ; -- Begin function _ZN7rocprim17ROCPRIM_400000_NS6detail17trampoline_kernelINS0_14default_configENS1_20scan_config_selectorIxEEZZNS1_9scan_implILNS1_25lookback_scan_determinismE0ELb1ELb1ES3_N6thrust23THRUST_200600_302600_NS6detail15normal_iteratorINS9_10device_ptrIxEEEESE_x11max_functorIxExEEDaPvRmT3_T4_T5_mT6_P12ihipStream_tbENKUlT_T0_E_clISt17integral_constantIbLb1EESU_EEDaSP_SQ_EUlSP_E_NS1_11comp_targetILNS1_3genE5ELNS1_11target_archE942ELNS1_3gpuE9ELNS1_3repE0EEENS1_30default_config_static_selectorELNS0_4arch9wavefront6targetE1EEEvT1_
	.globl	_ZN7rocprim17ROCPRIM_400000_NS6detail17trampoline_kernelINS0_14default_configENS1_20scan_config_selectorIxEEZZNS1_9scan_implILNS1_25lookback_scan_determinismE0ELb1ELb1ES3_N6thrust23THRUST_200600_302600_NS6detail15normal_iteratorINS9_10device_ptrIxEEEESE_x11max_functorIxExEEDaPvRmT3_T4_T5_mT6_P12ihipStream_tbENKUlT_T0_E_clISt17integral_constantIbLb1EESU_EEDaSP_SQ_EUlSP_E_NS1_11comp_targetILNS1_3genE5ELNS1_11target_archE942ELNS1_3gpuE9ELNS1_3repE0EEENS1_30default_config_static_selectorELNS0_4arch9wavefront6targetE1EEEvT1_
	.p2align	8
	.type	_ZN7rocprim17ROCPRIM_400000_NS6detail17trampoline_kernelINS0_14default_configENS1_20scan_config_selectorIxEEZZNS1_9scan_implILNS1_25lookback_scan_determinismE0ELb1ELb1ES3_N6thrust23THRUST_200600_302600_NS6detail15normal_iteratorINS9_10device_ptrIxEEEESE_x11max_functorIxExEEDaPvRmT3_T4_T5_mT6_P12ihipStream_tbENKUlT_T0_E_clISt17integral_constantIbLb1EESU_EEDaSP_SQ_EUlSP_E_NS1_11comp_targetILNS1_3genE5ELNS1_11target_archE942ELNS1_3gpuE9ELNS1_3repE0EEENS1_30default_config_static_selectorELNS0_4arch9wavefront6targetE1EEEvT1_,@function
_ZN7rocprim17ROCPRIM_400000_NS6detail17trampoline_kernelINS0_14default_configENS1_20scan_config_selectorIxEEZZNS1_9scan_implILNS1_25lookback_scan_determinismE0ELb1ELb1ES3_N6thrust23THRUST_200600_302600_NS6detail15normal_iteratorINS9_10device_ptrIxEEEESE_x11max_functorIxExEEDaPvRmT3_T4_T5_mT6_P12ihipStream_tbENKUlT_T0_E_clISt17integral_constantIbLb1EESU_EEDaSP_SQ_EUlSP_E_NS1_11comp_targetILNS1_3genE5ELNS1_11target_archE942ELNS1_3gpuE9ELNS1_3repE0EEENS1_30default_config_static_selectorELNS0_4arch9wavefront6targetE1EEEvT1_: ; @_ZN7rocprim17ROCPRIM_400000_NS6detail17trampoline_kernelINS0_14default_configENS1_20scan_config_selectorIxEEZZNS1_9scan_implILNS1_25lookback_scan_determinismE0ELb1ELb1ES3_N6thrust23THRUST_200600_302600_NS6detail15normal_iteratorINS9_10device_ptrIxEEEESE_x11max_functorIxExEEDaPvRmT3_T4_T5_mT6_P12ihipStream_tbENKUlT_T0_E_clISt17integral_constantIbLb1EESU_EEDaSP_SQ_EUlSP_E_NS1_11comp_targetILNS1_3genE5ELNS1_11target_archE942ELNS1_3gpuE9ELNS1_3repE0EEENS1_30default_config_static_selectorELNS0_4arch9wavefront6targetE1EEEvT1_
; %bb.0:
	.section	.rodata,"a",@progbits
	.p2align	6, 0x0
	.amdhsa_kernel _ZN7rocprim17ROCPRIM_400000_NS6detail17trampoline_kernelINS0_14default_configENS1_20scan_config_selectorIxEEZZNS1_9scan_implILNS1_25lookback_scan_determinismE0ELb1ELb1ES3_N6thrust23THRUST_200600_302600_NS6detail15normal_iteratorINS9_10device_ptrIxEEEESE_x11max_functorIxExEEDaPvRmT3_T4_T5_mT6_P12ihipStream_tbENKUlT_T0_E_clISt17integral_constantIbLb1EESU_EEDaSP_SQ_EUlSP_E_NS1_11comp_targetILNS1_3genE5ELNS1_11target_archE942ELNS1_3gpuE9ELNS1_3repE0EEENS1_30default_config_static_selectorELNS0_4arch9wavefront6targetE1EEEvT1_
		.amdhsa_group_segment_fixed_size 0
		.amdhsa_private_segment_fixed_size 0
		.amdhsa_kernarg_size 104
		.amdhsa_user_sgpr_count 6
		.amdhsa_user_sgpr_private_segment_buffer 1
		.amdhsa_user_sgpr_dispatch_ptr 0
		.amdhsa_user_sgpr_queue_ptr 0
		.amdhsa_user_sgpr_kernarg_segment_ptr 1
		.amdhsa_user_sgpr_dispatch_id 0
		.amdhsa_user_sgpr_flat_scratch_init 0
		.amdhsa_user_sgpr_kernarg_preload_length 0
		.amdhsa_user_sgpr_kernarg_preload_offset 0
		.amdhsa_user_sgpr_private_segment_size 0
		.amdhsa_uses_dynamic_stack 0
		.amdhsa_system_sgpr_private_segment_wavefront_offset 0
		.amdhsa_system_sgpr_workgroup_id_x 1
		.amdhsa_system_sgpr_workgroup_id_y 0
		.amdhsa_system_sgpr_workgroup_id_z 0
		.amdhsa_system_sgpr_workgroup_info 0
		.amdhsa_system_vgpr_workitem_id 0
		.amdhsa_next_free_vgpr 1
		.amdhsa_next_free_sgpr 0
		.amdhsa_accum_offset 4
		.amdhsa_reserve_vcc 0
		.amdhsa_reserve_flat_scratch 0
		.amdhsa_float_round_mode_32 0
		.amdhsa_float_round_mode_16_64 0
		.amdhsa_float_denorm_mode_32 3
		.amdhsa_float_denorm_mode_16_64 3
		.amdhsa_dx10_clamp 1
		.amdhsa_ieee_mode 1
		.amdhsa_fp16_overflow 0
		.amdhsa_tg_split 0
		.amdhsa_exception_fp_ieee_invalid_op 0
		.amdhsa_exception_fp_denorm_src 0
		.amdhsa_exception_fp_ieee_div_zero 0
		.amdhsa_exception_fp_ieee_overflow 0
		.amdhsa_exception_fp_ieee_underflow 0
		.amdhsa_exception_fp_ieee_inexact 0
		.amdhsa_exception_int_div_zero 0
	.end_amdhsa_kernel
	.section	.text._ZN7rocprim17ROCPRIM_400000_NS6detail17trampoline_kernelINS0_14default_configENS1_20scan_config_selectorIxEEZZNS1_9scan_implILNS1_25lookback_scan_determinismE0ELb1ELb1ES3_N6thrust23THRUST_200600_302600_NS6detail15normal_iteratorINS9_10device_ptrIxEEEESE_x11max_functorIxExEEDaPvRmT3_T4_T5_mT6_P12ihipStream_tbENKUlT_T0_E_clISt17integral_constantIbLb1EESU_EEDaSP_SQ_EUlSP_E_NS1_11comp_targetILNS1_3genE5ELNS1_11target_archE942ELNS1_3gpuE9ELNS1_3repE0EEENS1_30default_config_static_selectorELNS0_4arch9wavefront6targetE1EEEvT1_,"axG",@progbits,_ZN7rocprim17ROCPRIM_400000_NS6detail17trampoline_kernelINS0_14default_configENS1_20scan_config_selectorIxEEZZNS1_9scan_implILNS1_25lookback_scan_determinismE0ELb1ELb1ES3_N6thrust23THRUST_200600_302600_NS6detail15normal_iteratorINS9_10device_ptrIxEEEESE_x11max_functorIxExEEDaPvRmT3_T4_T5_mT6_P12ihipStream_tbENKUlT_T0_E_clISt17integral_constantIbLb1EESU_EEDaSP_SQ_EUlSP_E_NS1_11comp_targetILNS1_3genE5ELNS1_11target_archE942ELNS1_3gpuE9ELNS1_3repE0EEENS1_30default_config_static_selectorELNS0_4arch9wavefront6targetE1EEEvT1_,comdat
.Lfunc_end2649:
	.size	_ZN7rocprim17ROCPRIM_400000_NS6detail17trampoline_kernelINS0_14default_configENS1_20scan_config_selectorIxEEZZNS1_9scan_implILNS1_25lookback_scan_determinismE0ELb1ELb1ES3_N6thrust23THRUST_200600_302600_NS6detail15normal_iteratorINS9_10device_ptrIxEEEESE_x11max_functorIxExEEDaPvRmT3_T4_T5_mT6_P12ihipStream_tbENKUlT_T0_E_clISt17integral_constantIbLb1EESU_EEDaSP_SQ_EUlSP_E_NS1_11comp_targetILNS1_3genE5ELNS1_11target_archE942ELNS1_3gpuE9ELNS1_3repE0EEENS1_30default_config_static_selectorELNS0_4arch9wavefront6targetE1EEEvT1_, .Lfunc_end2649-_ZN7rocprim17ROCPRIM_400000_NS6detail17trampoline_kernelINS0_14default_configENS1_20scan_config_selectorIxEEZZNS1_9scan_implILNS1_25lookback_scan_determinismE0ELb1ELb1ES3_N6thrust23THRUST_200600_302600_NS6detail15normal_iteratorINS9_10device_ptrIxEEEESE_x11max_functorIxExEEDaPvRmT3_T4_T5_mT6_P12ihipStream_tbENKUlT_T0_E_clISt17integral_constantIbLb1EESU_EEDaSP_SQ_EUlSP_E_NS1_11comp_targetILNS1_3genE5ELNS1_11target_archE942ELNS1_3gpuE9ELNS1_3repE0EEENS1_30default_config_static_selectorELNS0_4arch9wavefront6targetE1EEEvT1_
                                        ; -- End function
	.section	.AMDGPU.csdata,"",@progbits
; Kernel info:
; codeLenInByte = 0
; NumSgprs: 4
; NumVgprs: 0
; NumAgprs: 0
; TotalNumVgprs: 0
; ScratchSize: 0
; MemoryBound: 0
; FloatMode: 240
; IeeeMode: 1
; LDSByteSize: 0 bytes/workgroup (compile time only)
; SGPRBlocks: 0
; VGPRBlocks: 0
; NumSGPRsForWavesPerEU: 4
; NumVGPRsForWavesPerEU: 1
; AccumOffset: 4
; Occupancy: 8
; WaveLimiterHint : 0
; COMPUTE_PGM_RSRC2:SCRATCH_EN: 0
; COMPUTE_PGM_RSRC2:USER_SGPR: 6
; COMPUTE_PGM_RSRC2:TRAP_HANDLER: 0
; COMPUTE_PGM_RSRC2:TGID_X_EN: 1
; COMPUTE_PGM_RSRC2:TGID_Y_EN: 0
; COMPUTE_PGM_RSRC2:TGID_Z_EN: 0
; COMPUTE_PGM_RSRC2:TIDIG_COMP_CNT: 0
; COMPUTE_PGM_RSRC3_GFX90A:ACCUM_OFFSET: 0
; COMPUTE_PGM_RSRC3_GFX90A:TG_SPLIT: 0
	.section	.text._ZN7rocprim17ROCPRIM_400000_NS6detail17trampoline_kernelINS0_14default_configENS1_20scan_config_selectorIxEEZZNS1_9scan_implILNS1_25lookback_scan_determinismE0ELb1ELb1ES3_N6thrust23THRUST_200600_302600_NS6detail15normal_iteratorINS9_10device_ptrIxEEEESE_x11max_functorIxExEEDaPvRmT3_T4_T5_mT6_P12ihipStream_tbENKUlT_T0_E_clISt17integral_constantIbLb1EESU_EEDaSP_SQ_EUlSP_E_NS1_11comp_targetILNS1_3genE4ELNS1_11target_archE910ELNS1_3gpuE8ELNS1_3repE0EEENS1_30default_config_static_selectorELNS0_4arch9wavefront6targetE1EEEvT1_,"axG",@progbits,_ZN7rocprim17ROCPRIM_400000_NS6detail17trampoline_kernelINS0_14default_configENS1_20scan_config_selectorIxEEZZNS1_9scan_implILNS1_25lookback_scan_determinismE0ELb1ELb1ES3_N6thrust23THRUST_200600_302600_NS6detail15normal_iteratorINS9_10device_ptrIxEEEESE_x11max_functorIxExEEDaPvRmT3_T4_T5_mT6_P12ihipStream_tbENKUlT_T0_E_clISt17integral_constantIbLb1EESU_EEDaSP_SQ_EUlSP_E_NS1_11comp_targetILNS1_3genE4ELNS1_11target_archE910ELNS1_3gpuE8ELNS1_3repE0EEENS1_30default_config_static_selectorELNS0_4arch9wavefront6targetE1EEEvT1_,comdat
	.protected	_ZN7rocprim17ROCPRIM_400000_NS6detail17trampoline_kernelINS0_14default_configENS1_20scan_config_selectorIxEEZZNS1_9scan_implILNS1_25lookback_scan_determinismE0ELb1ELb1ES3_N6thrust23THRUST_200600_302600_NS6detail15normal_iteratorINS9_10device_ptrIxEEEESE_x11max_functorIxExEEDaPvRmT3_T4_T5_mT6_P12ihipStream_tbENKUlT_T0_E_clISt17integral_constantIbLb1EESU_EEDaSP_SQ_EUlSP_E_NS1_11comp_targetILNS1_3genE4ELNS1_11target_archE910ELNS1_3gpuE8ELNS1_3repE0EEENS1_30default_config_static_selectorELNS0_4arch9wavefront6targetE1EEEvT1_ ; -- Begin function _ZN7rocprim17ROCPRIM_400000_NS6detail17trampoline_kernelINS0_14default_configENS1_20scan_config_selectorIxEEZZNS1_9scan_implILNS1_25lookback_scan_determinismE0ELb1ELb1ES3_N6thrust23THRUST_200600_302600_NS6detail15normal_iteratorINS9_10device_ptrIxEEEESE_x11max_functorIxExEEDaPvRmT3_T4_T5_mT6_P12ihipStream_tbENKUlT_T0_E_clISt17integral_constantIbLb1EESU_EEDaSP_SQ_EUlSP_E_NS1_11comp_targetILNS1_3genE4ELNS1_11target_archE910ELNS1_3gpuE8ELNS1_3repE0EEENS1_30default_config_static_selectorELNS0_4arch9wavefront6targetE1EEEvT1_
	.globl	_ZN7rocprim17ROCPRIM_400000_NS6detail17trampoline_kernelINS0_14default_configENS1_20scan_config_selectorIxEEZZNS1_9scan_implILNS1_25lookback_scan_determinismE0ELb1ELb1ES3_N6thrust23THRUST_200600_302600_NS6detail15normal_iteratorINS9_10device_ptrIxEEEESE_x11max_functorIxExEEDaPvRmT3_T4_T5_mT6_P12ihipStream_tbENKUlT_T0_E_clISt17integral_constantIbLb1EESU_EEDaSP_SQ_EUlSP_E_NS1_11comp_targetILNS1_3genE4ELNS1_11target_archE910ELNS1_3gpuE8ELNS1_3repE0EEENS1_30default_config_static_selectorELNS0_4arch9wavefront6targetE1EEEvT1_
	.p2align	8
	.type	_ZN7rocprim17ROCPRIM_400000_NS6detail17trampoline_kernelINS0_14default_configENS1_20scan_config_selectorIxEEZZNS1_9scan_implILNS1_25lookback_scan_determinismE0ELb1ELb1ES3_N6thrust23THRUST_200600_302600_NS6detail15normal_iteratorINS9_10device_ptrIxEEEESE_x11max_functorIxExEEDaPvRmT3_T4_T5_mT6_P12ihipStream_tbENKUlT_T0_E_clISt17integral_constantIbLb1EESU_EEDaSP_SQ_EUlSP_E_NS1_11comp_targetILNS1_3genE4ELNS1_11target_archE910ELNS1_3gpuE8ELNS1_3repE0EEENS1_30default_config_static_selectorELNS0_4arch9wavefront6targetE1EEEvT1_,@function
_ZN7rocprim17ROCPRIM_400000_NS6detail17trampoline_kernelINS0_14default_configENS1_20scan_config_selectorIxEEZZNS1_9scan_implILNS1_25lookback_scan_determinismE0ELb1ELb1ES3_N6thrust23THRUST_200600_302600_NS6detail15normal_iteratorINS9_10device_ptrIxEEEESE_x11max_functorIxExEEDaPvRmT3_T4_T5_mT6_P12ihipStream_tbENKUlT_T0_E_clISt17integral_constantIbLb1EESU_EEDaSP_SQ_EUlSP_E_NS1_11comp_targetILNS1_3genE4ELNS1_11target_archE910ELNS1_3gpuE8ELNS1_3repE0EEENS1_30default_config_static_selectorELNS0_4arch9wavefront6targetE1EEEvT1_: ; @_ZN7rocprim17ROCPRIM_400000_NS6detail17trampoline_kernelINS0_14default_configENS1_20scan_config_selectorIxEEZZNS1_9scan_implILNS1_25lookback_scan_determinismE0ELb1ELb1ES3_N6thrust23THRUST_200600_302600_NS6detail15normal_iteratorINS9_10device_ptrIxEEEESE_x11max_functorIxExEEDaPvRmT3_T4_T5_mT6_P12ihipStream_tbENKUlT_T0_E_clISt17integral_constantIbLb1EESU_EEDaSP_SQ_EUlSP_E_NS1_11comp_targetILNS1_3genE4ELNS1_11target_archE910ELNS1_3gpuE8ELNS1_3repE0EEENS1_30default_config_static_selectorELNS0_4arch9wavefront6targetE1EEEvT1_
; %bb.0:
	s_load_dwordx8 s[24:31], s[4:5], 0x0
	s_load_dwordx2 s[34:35], s[4:5], 0x20
	s_load_dwordx2 s[14:15], s[4:5], 0x30
	v_cmp_ne_u32_e64 s[2:3], 0, v0
	v_cmp_eq_u32_e64 s[0:1], 0, v0
	s_and_saveexec_b64 s[6:7], s[0:1]
	s_cbranch_execz .LBB2650_4
; %bb.1:
	s_mov_b64 s[10:11], exec
	v_mbcnt_lo_u32_b32 v1, s10, 0
	v_mbcnt_hi_u32_b32 v1, s11, v1
	v_cmp_eq_u32_e32 vcc, 0, v1
                                        ; implicit-def: $vgpr2
	s_and_saveexec_b64 s[8:9], vcc
	s_cbranch_execz .LBB2650_3
; %bb.2:
	s_load_dwordx2 s[12:13], s[4:5], 0x60
	s_bcnt1_i32_b64 s10, s[10:11]
	v_mov_b32_e32 v2, 0
	v_mov_b32_e32 v3, s10
	s_waitcnt lgkmcnt(0)
	global_atomic_add v2, v2, v3, s[12:13] glc
.LBB2650_3:
	s_or_b64 exec, exec, s[8:9]
	s_waitcnt vmcnt(0)
	v_readfirstlane_b32 s8, v2
	v_add_u32_e32 v1, s8, v1
	v_mov_b32_e32 v2, 0
	ds_write_b32 v2, v1
.LBB2650_4:
	s_or_b64 exec, exec, s[6:7]
	s_load_dword s6, s[4:5], 0x38
	s_load_dwordx8 s[16:23], s[4:5], 0x40
	v_mov_b32_e32 v1, 0
	s_waitcnt lgkmcnt(0)
	s_barrier
	ds_read_b32 v1, v1
	s_lshl_b64 s[26:27], s[26:27], 3
	s_add_u32 s39, s24, s26
	s_addc_u32 s40, s25, s27
	s_add_i32 s6, s6, -1
	s_mul_i32 s7, s6, 0x380
	s_sub_u32 s33, s30, s7
	s_waitcnt lgkmcnt(0)
	v_readfirstlane_b32 s41, v1
	s_subb_u32 s38, s31, 0
	s_mul_i32 s4, s41, 0x380
	s_mov_b32 s5, 0
	s_cmp_lg_u32 s41, s6
	s_cselect_b64 s[24:25], -1, 0
	s_lshl_b64 s[30:31], s[4:5], 3
	s_add_u32 s6, s39, s30
	s_addc_u32 s7, s40, s31
	s_mov_b64 s[4:5], -1
	s_and_b64 vcc, exec, s[24:25]
	v_lshlrev_b32_e32 v36, 3, v0
	s_barrier
	s_cbranch_vccz .LBB2650_6
; %bb.5:
	v_mov_b32_e32 v1, s7
	v_add_co_u32_e32 v2, vcc, s6, v36
	v_addc_co_u32_e32 v3, vcc, 0, v1, vcc
	flat_load_dwordx2 v[4:5], v[2:3]
	flat_load_dwordx2 v[6:7], v[2:3] offset:1024
	flat_load_dwordx2 v[8:9], v[2:3] offset:2048
	;; [unrolled: 1-line block ×3, first 2 shown]
	v_add_co_u32_e32 v2, vcc, 0x1000, v2
	v_addc_co_u32_e32 v3, vcc, 0, v3, vcc
	flat_load_dwordx2 v[12:13], v[2:3]
	flat_load_dwordx2 v[14:15], v[2:3] offset:1024
	flat_load_dwordx2 v[16:17], v[2:3] offset:2048
	s_mov_b64 s[4:5], 0
	s_waitcnt vmcnt(0) lgkmcnt(0)
	ds_write2st64_b64 v36, v[4:5], v[6:7] offset1:2
	ds_write2st64_b64 v36, v[8:9], v[10:11] offset0:4 offset1:6
	ds_write2st64_b64 v36, v[12:13], v[14:15] offset0:8 offset1:10
	ds_write_b64 v36, v[16:17] offset:6144
	s_waitcnt lgkmcnt(0)
	s_barrier
.LBB2650_6:
	s_andn2_b64 vcc, exec, s[4:5]
	v_cmp_gt_u32_e64 s[4:5], s33, v0
	s_cbranch_vccnz .LBB2650_22
; %bb.7:
	v_pk_mov_b32 v[2:3], s[6:7], s[6:7] op_sel:[0,1]
	flat_load_dwordx2 v[2:3], v[2:3]
	s_waitcnt vmcnt(0) lgkmcnt(0)
	v_mov_b32_e32 v4, v2
	v_mov_b32_e32 v5, v3
	;; [unrolled: 1-line block ×10, first 2 shown]
	v_pk_mov_b32 v[18:19], v[14:15], v[14:15] op_sel:[0,1]
	v_pk_mov_b32 v[16:17], v[12:13], v[12:13] op_sel:[0,1]
	;; [unrolled: 1-line block ×8, first 2 shown]
	s_and_saveexec_b64 s[8:9], s[4:5]
	s_cbranch_execz .LBB2650_9
; %bb.8:
	v_mov_b32_e32 v1, s7
	v_add_co_u32_e32 v4, vcc, s6, v36
	v_addc_co_u32_e32 v5, vcc, 0, v1, vcc
	flat_load_dwordx2 v[20:21], v[4:5]
	v_mov_b32_e32 v4, v2
	v_mov_b32_e32 v5, v3
	;; [unrolled: 1-line block ×10, first 2 shown]
	v_pk_mov_b32 v[18:19], v[14:15], v[14:15] op_sel:[0,1]
	v_pk_mov_b32 v[16:17], v[12:13], v[12:13] op_sel:[0,1]
	;; [unrolled: 1-line block ×8, first 2 shown]
	s_waitcnt vmcnt(0) lgkmcnt(0)
	v_pk_mov_b32 v[2:3], v[20:21], v[20:21] op_sel:[0,1]
.LBB2650_9:
	s_or_b64 exec, exec, s[8:9]
	v_or_b32_e32 v1, 0x80, v0
	v_cmp_gt_u32_e32 vcc, s33, v1
	s_and_saveexec_b64 s[4:5], vcc
	s_cbranch_execz .LBB2650_11
; %bb.10:
	v_mov_b32_e32 v1, s7
	v_add_co_u32_e32 v4, vcc, s6, v36
	v_addc_co_u32_e32 v5, vcc, 0, v1, vcc
	flat_load_dwordx2 v[6:7], v[4:5] offset:1024
.LBB2650_11:
	s_or_b64 exec, exec, s[4:5]
	v_or_b32_e32 v1, 0x100, v0
	v_cmp_gt_u32_e32 vcc, s33, v1
	s_and_saveexec_b64 s[4:5], vcc
	s_cbranch_execz .LBB2650_13
; %bb.12:
	v_mov_b32_e32 v1, s7
	v_add_co_u32_e32 v4, vcc, s6, v36
	v_addc_co_u32_e32 v5, vcc, 0, v1, vcc
	flat_load_dwordx2 v[8:9], v[4:5] offset:2048
.LBB2650_13:
	;; [unrolled: 11-line block ×3, first 2 shown]
	s_or_b64 exec, exec, s[4:5]
	v_or_b32_e32 v1, 0x200, v0
	v_cmp_gt_u32_e32 vcc, s33, v1
	s_and_saveexec_b64 s[4:5], vcc
	s_cbranch_execz .LBB2650_17
; %bb.16:
	v_lshlrev_b32_e32 v1, 3, v1
	v_mov_b32_e32 v5, s7
	v_add_co_u32_e32 v4, vcc, s6, v1
	v_addc_co_u32_e32 v5, vcc, 0, v5, vcc
	flat_load_dwordx2 v[12:13], v[4:5]
.LBB2650_17:
	s_or_b64 exec, exec, s[4:5]
	v_or_b32_e32 v1, 0x280, v0
	v_cmp_gt_u32_e32 vcc, s33, v1
	s_and_saveexec_b64 s[4:5], vcc
	s_cbranch_execz .LBB2650_19
; %bb.18:
	v_lshlrev_b32_e32 v1, 3, v1
	v_mov_b32_e32 v5, s7
	v_add_co_u32_e32 v4, vcc, s6, v1
	v_addc_co_u32_e32 v5, vcc, 0, v5, vcc
	flat_load_dwordx2 v[14:15], v[4:5]
.LBB2650_19:
	;; [unrolled: 12-line block ×3, first 2 shown]
	s_or_b64 exec, exec, s[4:5]
	s_waitcnt vmcnt(0) lgkmcnt(0)
	ds_write2st64_b64 v36, v[2:3], v[6:7] offset1:2
	ds_write2st64_b64 v36, v[8:9], v[10:11] offset0:4 offset1:6
	ds_write2st64_b64 v36, v[12:13], v[14:15] offset0:8 offset1:10
	ds_write_b64 v36, v[16:17] offset:6144
	s_waitcnt lgkmcnt(0)
	s_barrier
.LBB2650_22:
	v_mul_u32_u24_e32 v37, 7, v0
	v_lshlrev_b32_e32 v38, 3, v37
	ds_read2_b64 v[10:13], v38 offset1:1
	ds_read2_b64 v[6:9], v38 offset0:2 offset1:3
	ds_read2_b64 v[2:5], v38 offset0:4 offset1:5
	ds_read_b64 v[26:27], v38 offset:48
	s_cmp_lg_u32 s41, 0
	s_waitcnt lgkmcnt(3)
	v_cmp_gt_i64_e64 s[4:5], v[10:11], v[12:13]
	v_lshrrev_b32_e32 v1, 5, v0
	v_cmp_gt_u32_e32 vcc, 64, v0
	s_waitcnt lgkmcnt(0)
	s_barrier
	s_cbranch_scc0 .LBB2650_53
; %bb.23:
	v_cndmask_b32_e64 v15, v13, v11, s[4:5]
	v_cndmask_b32_e64 v14, v12, v10, s[4:5]
	v_cmp_gt_i64_e64 s[4:5], v[14:15], v[6:7]
	v_cndmask_b32_e64 v15, v7, v15, s[4:5]
	v_cndmask_b32_e64 v14, v6, v14, s[4:5]
	v_cmp_gt_i64_e64 s[4:5], v[14:15], v[8:9]
	;; [unrolled: 3-line block ×5, first 2 shown]
	v_cndmask_b32_e64 v23, v27, v15, s[4:5]
	v_cndmask_b32_e64 v22, v26, v14, s[4:5]
	v_add_lshl_u32 v14, v1, v0, 3
	ds_write_b64 v14, v[22:23]
	s_waitcnt lgkmcnt(0)
	s_barrier
	s_and_saveexec_b64 s[8:9], vcc
	s_cbranch_execz .LBB2650_27
; %bb.24:
	v_lshlrev_b32_e32 v14, 1, v0
	v_lshrrev_b32_e32 v15, 4, v0
	v_add_lshl_u32 v24, v15, v14, 3
	ds_read2_b64 v[14:17], v24 offset1:1
	v_mbcnt_lo_u32_b32 v18, -1, 0
	v_mbcnt_hi_u32_b32 v25, -1, v18
	v_and_b32_e32 v28, 15, v25
	v_and_b32_e32 v30, 16, v25
	s_waitcnt lgkmcnt(0)
	v_cmp_gt_i64_e64 s[4:5], v[14:15], v[16:17]
	v_cndmask_b32_e64 v17, v17, v15, s[4:5]
	v_cndmask_b32_e64 v16, v16, v14, s[4:5]
	v_cmp_ne_u32_e64 s[6:7], 0, v25
	v_mov_b32_dpp v19, v17 row_shr:1 row_mask:0xf bank_mask:0xf
	v_mov_b32_dpp v18, v16 row_shr:1 row_mask:0xf bank_mask:0xf
	v_cmp_gt_i64_e64 s[4:5], v[18:19], v[16:17]
	v_cndmask_b32_e64 v18, v16, v18, s[4:5]
	v_cndmask_b32_e64 v19, v17, v19, s[4:5]
	v_cmp_eq_u32_e64 s[4:5], 0, v28
	v_cndmask_b32_e64 v19, v19, v17, s[4:5]
	v_cndmask_b32_e64 v18, v18, v16, s[4:5]
	s_nop 0
	v_mov_b32_dpp v21, v19 row_shr:2 row_mask:0xf bank_mask:0xf
	v_mov_b32_dpp v20, v18 row_shr:2 row_mask:0xf bank_mask:0xf
	v_cmp_gt_i64_e64 s[4:5], v[20:21], v[18:19]
	v_cndmask_b32_e64 v20, v18, v20, s[4:5]
	v_cndmask_b32_e64 v21, v19, v21, s[4:5]
	v_cmp_lt_u32_e64 s[4:5], 1, v28
	v_cndmask_b32_e64 v19, v19, v21, s[4:5]
	v_cndmask_b32_e64 v18, v18, v20, s[4:5]
	s_nop 0
	v_mov_b32_dpp v21, v19 row_shr:4 row_mask:0xf bank_mask:0xf
	v_mov_b32_dpp v20, v18 row_shr:4 row_mask:0xf bank_mask:0xf
	v_cmp_gt_i64_e64 s[4:5], v[20:21], v[18:19]
	v_cndmask_b32_e64 v20, v18, v20, s[4:5]
	v_cndmask_b32_e64 v21, v19, v21, s[4:5]
	v_cmp_lt_u32_e64 s[4:5], 3, v28
	;; [unrolled: 9-line block ×3, first 2 shown]
	v_cndmask_b32_e64 v19, v19, v21, s[4:5]
	v_cndmask_b32_e64 v18, v18, v20, s[4:5]
	s_nop 0
	v_mov_b32_dpp v21, v19 row_bcast:15 row_mask:0xf bank_mask:0xf
	v_mov_b32_dpp v20, v18 row_bcast:15 row_mask:0xf bank_mask:0xf
	v_cmp_gt_i64_e64 s[4:5], v[20:21], v[18:19]
	v_cndmask_b32_e64 v28, v19, v21, s[4:5]
	v_cndmask_b32_e64 v29, v18, v20, s[4:5]
	v_cmp_eq_u32_e64 s[4:5], 0, v30
	v_cndmask_b32_e64 v21, v28, v19, s[4:5]
	v_cndmask_b32_e64 v20, v29, v18, s[4:5]
	s_nop 0
	v_mov_b32_dpp v21, v21 row_bcast:31 row_mask:0xf bank_mask:0xf
	v_mov_b32_dpp v20, v20 row_bcast:31 row_mask:0xf bank_mask:0xf
	s_and_saveexec_b64 s[10:11], s[6:7]
; %bb.25:
	v_cndmask_b32_e64 v17, v28, v19, s[4:5]
	v_cndmask_b32_e64 v16, v29, v18, s[4:5]
	v_cmp_lt_u32_e64 s[6:7], 31, v25
	v_cmp_gt_i64_e64 s[4:5], v[20:21], v[16:17]
	s_and_b64 s[4:5], s[6:7], s[4:5]
	v_cndmask_b32_e64 v16, v16, v20, s[4:5]
	v_cndmask_b32_e64 v17, v17, v21, s[4:5]
; %bb.26:
	s_or_b64 exec, exec, s[10:11]
	v_add_u32_e32 v18, -1, v25
	v_and_b32_e32 v19, 64, v25
	v_cmp_lt_i32_e64 s[4:5], v18, v19
	v_cndmask_b32_e64 v18, v18, v25, s[4:5]
	v_lshlrev_b32_e32 v18, 2, v18
	ds_bpermute_b32 v16, v18, v16
	ds_bpermute_b32 v17, v18, v17
	; wave barrier
	s_waitcnt lgkmcnt(0)
	v_cmp_gt_i64_e64 s[4:5], v[16:17], v[14:15]
	v_cndmask_b32_e64 v14, v14, v16, s[4:5]
	v_cndmask_b32_e64 v15, v15, v17, s[4:5]
	;; [unrolled: 1-line block ×4, first 2 shown]
	ds_write_b64 v24, v[14:15]
	; wave barrier
	ds_read_b64 v[16:17], v24 offset:8
	s_waitcnt lgkmcnt(0)
	v_cmp_gt_i64_e64 s[4:5], v[14:15], v[16:17]
	v_cndmask_b32_e64 v15, v17, v15, s[4:5]
	v_cndmask_b32_e64 v14, v16, v14, s[4:5]
	ds_write_b64 v24, v[14:15] offset:8
.LBB2650_27:
	s_or_b64 exec, exec, s[8:9]
	s_waitcnt lgkmcnt(0)
	s_barrier
	s_and_saveexec_b64 s[4:5], s[2:3]
	s_cbranch_execz .LBB2650_29
; %bb.28:
	v_add_u32_e32 v14, -1, v0
	v_lshrrev_b32_e32 v15, 5, v14
	v_add_lshl_u32 v14, v15, v14, 3
	ds_read_b64 v[22:23], v14
.LBB2650_29:
	s_or_b64 exec, exec, s[4:5]
	s_and_saveexec_b64 s[36:37], vcc
	s_cbranch_execz .LBB2650_52
; %bb.30:
	v_mov_b32_e32 v17, 0
	ds_read_b64 v[14:15], v17 offset:1040
	v_mbcnt_lo_u32_b32 v16, -1, 0
	v_mbcnt_hi_u32_b32 v25, -1, v16
	s_mov_b32 s9, 0
	v_cmp_eq_u32_e64 s[4:5], 0, v25
	s_and_saveexec_b64 s[6:7], s[4:5]
	s_cbranch_execz .LBB2650_32
; %bb.31:
	s_add_i32 s8, s41, 64
	s_lshl_b64 s[8:9], s[8:9], 4
	s_add_u32 s8, s14, s8
	s_addc_u32 s9, s15, s9
	v_mov_b32_e32 v16, 1
	v_pk_mov_b32 v[18:19], s[8:9], s[8:9] op_sel:[0,1]
	s_waitcnt lgkmcnt(0)
	;;#ASMSTART
	global_store_dwordx4 v[18:19], v[14:17] off	
s_waitcnt vmcnt(0)
	;;#ASMEND
.LBB2650_32:
	s_or_b64 exec, exec, s[6:7]
	v_xad_u32 v24, v25, -1, s41
	v_add_u32_e32 v16, 64, v24
	v_lshlrev_b64 v[18:19], 4, v[16:17]
	v_mov_b32_e32 v16, s15
	v_add_co_u32_e32 v28, vcc, s14, v18
	v_addc_co_u32_e32 v29, vcc, v16, v19, vcc
	;;#ASMSTART
	global_load_dwordx4 v[18:21], v[28:29] off glc	
s_waitcnt vmcnt(0)
	;;#ASMEND
	v_and_b32_e32 v16, 0xff, v19
	v_and_b32_e32 v21, 0xff00, v19
	v_or3_b32 v16, 0, v16, v21
	v_or3_b32 v18, v18, 0, 0
	v_and_b32_e32 v21, 0xff000000, v19
	v_and_b32_e32 v19, 0xff0000, v19
	v_or3_b32 v19, v16, v19, v21
	v_or3_b32 v18, v18, 0, 0
	v_cmp_eq_u16_sdwa s[8:9], v20, v17 src0_sel:BYTE_0 src1_sel:DWORD
	s_and_saveexec_b64 s[6:7], s[8:9]
	s_cbranch_execz .LBB2650_38
; %bb.33:
	s_mov_b32 s10, 1
	s_mov_b64 s[8:9], 0
	v_mov_b32_e32 v16, 0
.LBB2650_34:                            ; =>This Loop Header: Depth=1
                                        ;     Child Loop BB2650_35 Depth 2
	s_max_u32 s11, s10, 1
.LBB2650_35:                            ;   Parent Loop BB2650_34 Depth=1
                                        ; =>  This Inner Loop Header: Depth=2
	s_add_i32 s11, s11, -1
	s_cmp_eq_u32 s11, 0
	s_sleep 1
	s_cbranch_scc0 .LBB2650_35
; %bb.36:                               ;   in Loop: Header=BB2650_34 Depth=1
	s_cmp_lt_u32 s10, 32
	s_cselect_b64 s[12:13], -1, 0
	s_cmp_lg_u64 s[12:13], 0
	s_addc_u32 s10, s10, 0
	;;#ASMSTART
	global_load_dwordx4 v[18:21], v[28:29] off glc	
s_waitcnt vmcnt(0)
	;;#ASMEND
	v_cmp_ne_u16_sdwa s[12:13], v20, v16 src0_sel:BYTE_0 src1_sel:DWORD
	s_or_b64 s[8:9], s[12:13], s[8:9]
	s_andn2_b64 exec, exec, s[8:9]
	s_cbranch_execnz .LBB2650_34
; %bb.37:
	s_or_b64 exec, exec, s[8:9]
.LBB2650_38:
	s_or_b64 exec, exec, s[6:7]
	v_and_b32_e32 v33, 63, v25
	v_cmp_ne_u32_e32 vcc, 63, v33
	v_mov_b32_e32 v32, 2
	v_addc_co_u32_e32 v28, vcc, 0, v25, vcc
	v_cmp_eq_u16_sdwa s[6:7], v20, v32 src0_sel:BYTE_0 src1_sel:DWORD
	v_lshlrev_b64 v[16:17], v25, -1
	v_lshlrev_b32_e32 v34, 2, v28
	v_and_b32_e32 v21, s7, v17
	ds_bpermute_b32 v28, v34, v18
	ds_bpermute_b32 v29, v34, v19
	v_or_b32_e32 v21, 0x80000000, v21
	v_and_b32_e32 v30, s6, v16
	v_ffbl_b32_e32 v21, v21
	v_add_u32_e32 v21, 32, v21
	v_ffbl_b32_e32 v30, v30
	v_min_u32_e32 v21, v30, v21
	s_waitcnt lgkmcnt(0)
	v_cmp_gt_i64_e64 s[6:7], v[28:29], v[18:19]
	v_cmp_lt_u32_e32 vcc, v33, v21
	v_cndmask_b32_e64 v28, v18, v28, s[6:7]
	s_and_b64 s[6:7], vcc, s[6:7]
	v_cndmask_b32_e64 v29, v19, v29, s[6:7]
	v_cmp_gt_u32_e64 s[6:7], 62, v33
	v_cndmask_b32_e64 v30, 0, 1, s[6:7]
	v_lshlrev_b32_e32 v30, 1, v30
	v_cndmask_b32_e32 v28, v18, v28, vcc
	v_add_lshl_u32 v35, v30, v25, 2
	ds_bpermute_b32 v30, v35, v28
	ds_bpermute_b32 v31, v35, v29
	v_add_u32_e32 v39, 2, v33
	v_cmp_gt_u32_e64 s[8:9], 56, v33
	v_add_u32_e32 v41, 4, v33
	v_cndmask_b32_e64 v42, 0, 1, s[8:9]
	s_waitcnt lgkmcnt(0)
	v_cmp_gt_i64_e64 s[6:7], v[30:31], v[28:29]
	v_cndmask_b32_e64 v31, v29, v31, s[6:7]
	v_cndmask_b32_e64 v30, v28, v30, s[6:7]
	v_cmp_gt_u32_e64 s[6:7], v39, v21
	v_cndmask_b32_e64 v28, v30, v28, s[6:7]
	v_cndmask_b32_e64 v29, v31, v29, s[6:7]
	v_cmp_gt_u32_e64 s[6:7], 60, v33
	v_cndmask_b32_e64 v30, 0, 1, s[6:7]
	v_lshlrev_b32_e32 v30, 2, v30
	v_add_lshl_u32 v40, v30, v25, 2
	ds_bpermute_b32 v30, v40, v28
	ds_bpermute_b32 v31, v40, v29
	v_lshlrev_b32_e32 v42, 3, v42
	v_add_lshl_u32 v42, v42, v25, 2
	v_cmp_gt_u32_e64 s[10:11], 48, v33
	v_add_u32_e32 v43, 8, v33
	s_waitcnt lgkmcnt(0)
	v_cmp_gt_i64_e64 s[6:7], v[30:31], v[28:29]
	v_cndmask_b32_e64 v50, v29, v31, s[6:7]
	v_cndmask_b32_e64 v51, v28, v30, s[6:7]
	v_cmp_gt_u32_e64 s[6:7], v41, v21
	v_cndmask_b32_e64 v30, v51, v28, s[6:7]
	v_cndmask_b32_e64 v31, v50, v29, s[6:7]
	ds_bpermute_b32 v44, v42, v30
	ds_bpermute_b32 v45, v42, v31
	v_cmp_gt_u32_e64 s[12:13], 32, v33
	v_cndmask_b32_e32 v19, v19, v29, vcc
	v_cndmask_b32_e32 v18, v18, v28, vcc
	v_cndmask_b32_e64 v18, v51, v18, s[6:7]
	s_waitcnt lgkmcnt(0)
	v_cmp_gt_i64_e64 s[8:9], v[44:45], v[30:31]
	v_cndmask_b32_e64 v53, v30, v44, s[8:9]
	v_cndmask_b32_e64 v44, 0, 1, s[10:11]
	;; [unrolled: 1-line block ×3, first 2 shown]
	v_cmp_gt_u32_e64 s[8:9], v43, v21
	v_lshlrev_b32_e32 v44, 4, v44
	v_cndmask_b32_e64 v30, v53, v30, s[8:9]
	v_cndmask_b32_e64 v31, v52, v31, s[8:9]
	v_add_lshl_u32 v44, v44, v25, 2
	ds_bpermute_b32 v46, v44, v30
	ds_bpermute_b32 v47, v44, v31
	v_add_u32_e32 v45, 16, v33
	v_cndmask_b32_e64 v19, v50, v19, s[6:7]
	v_cndmask_b32_e64 v19, v52, v19, s[8:9]
	;; [unrolled: 1-line block ×3, first 2 shown]
	s_waitcnt lgkmcnt(0)
	v_cmp_gt_i64_e64 s[10:11], v[46:47], v[30:31]
	v_cndmask_b32_e64 v55, v30, v46, s[10:11]
	v_cndmask_b32_e64 v46, 0, 1, s[12:13]
	v_cndmask_b32_e64 v54, v31, v47, s[10:11]
	v_cmp_gt_u32_e64 s[10:11], v45, v21
	v_lshlrev_b32_e32 v46, 5, v46
	v_cndmask_b32_e64 v30, v55, v30, s[10:11]
	v_add_lshl_u32 v46, v46, v25, 2
	v_cndmask_b32_e64 v31, v54, v31, s[10:11]
	ds_bpermute_b32 v48, v46, v30
	ds_bpermute_b32 v49, v46, v31
	v_add_u32_e32 v47, 32, v33
	v_cndmask_b32_e64 v18, v55, v18, s[10:11]
	v_cndmask_b32_e64 v19, v54, v19, s[10:11]
	v_cmp_gt_u32_e32 vcc, v47, v21
	s_waitcnt lgkmcnt(0)
	v_cmp_gt_i64_e64 s[12:13], v[48:49], v[30:31]
	v_cndmask_b32_e64 v25, v30, v48, s[12:13]
	v_cndmask_b32_e64 v30, v31, v49, s[12:13]
	v_cndmask_b32_e32 v19, v30, v19, vcc
	v_cndmask_b32_e32 v18, v25, v18, vcc
	v_mov_b32_e32 v25, 0
	s_branch .LBB2650_40
.LBB2650_39:                            ;   in Loop: Header=BB2650_40 Depth=1
	s_or_b64 exec, exec, s[6:7]
	v_cmp_eq_u16_sdwa s[6:7], v20, v32 src0_sel:BYTE_0 src1_sel:DWORD
	v_and_b32_e32 v21, s7, v17
	ds_bpermute_b32 v30, v34, v18
	ds_bpermute_b32 v31, v34, v19
	v_or_b32_e32 v21, 0x80000000, v21
	v_and_b32_e32 v48, s6, v16
	v_ffbl_b32_e32 v21, v21
	v_add_u32_e32 v21, 32, v21
	v_ffbl_b32_e32 v48, v48
	v_min_u32_e32 v21, v48, v21
	s_waitcnt lgkmcnt(0)
	v_cmp_gt_i64_e32 vcc, v[30:31], v[18:19]
	v_cmp_lt_u32_e64 s[6:7], v33, v21
	v_cndmask_b32_e32 v30, v18, v30, vcc
	s_and_b64 vcc, s[6:7], vcc
	v_cndmask_b32_e64 v30, v18, v30, s[6:7]
	v_cndmask_b32_e32 v31, v19, v31, vcc
	ds_bpermute_b32 v48, v35, v30
	ds_bpermute_b32 v49, v35, v31
	v_subrev_u32_e32 v24, 64, v24
	s_waitcnt lgkmcnt(0)
	v_cmp_gt_i64_e32 vcc, v[48:49], v[30:31]
	v_cndmask_b32_e32 v49, v31, v49, vcc
	v_cndmask_b32_e32 v48, v30, v48, vcc
	v_cmp_gt_u32_e32 vcc, v39, v21
	v_cndmask_b32_e32 v30, v48, v30, vcc
	v_cndmask_b32_e32 v31, v49, v31, vcc
	ds_bpermute_b32 v48, v40, v30
	ds_bpermute_b32 v49, v40, v31
	v_cndmask_b32_e64 v19, v19, v31, s[6:7]
	v_cndmask_b32_e64 v18, v18, v30, s[6:7]
	s_waitcnt lgkmcnt(0)
	v_cmp_gt_i64_e32 vcc, v[48:49], v[30:31]
	v_cndmask_b32_e32 v52, v31, v49, vcc
	v_cndmask_b32_e32 v53, v30, v48, vcc
	v_cmp_gt_u32_e32 vcc, v41, v21
	v_cndmask_b32_e32 v48, v53, v30, vcc
	v_cndmask_b32_e32 v49, v52, v31, vcc
	ds_bpermute_b32 v50, v42, v48
	ds_bpermute_b32 v51, v42, v49
	v_cndmask_b32_e32 v18, v53, v18, vcc
	v_cndmask_b32_e32 v19, v52, v19, vcc
	v_cmp_gt_u32_e32 vcc, v47, v21
	s_waitcnt lgkmcnt(0)
	v_cmp_gt_i64_e64 s[8:9], v[50:51], v[48:49]
	v_cndmask_b32_e64 v54, v49, v51, s[8:9]
	v_cndmask_b32_e64 v55, v48, v50, s[8:9]
	v_cmp_gt_u32_e64 s[8:9], v43, v21
	v_cndmask_b32_e64 v48, v55, v48, s[8:9]
	v_cndmask_b32_e64 v49, v54, v49, s[8:9]
	ds_bpermute_b32 v50, v44, v48
	ds_bpermute_b32 v51, v44, v49
	v_cndmask_b32_e64 v19, v54, v19, s[8:9]
	v_cndmask_b32_e64 v18, v55, v18, s[8:9]
	s_waitcnt lgkmcnt(0)
	v_cmp_gt_i64_e64 s[10:11], v[50:51], v[48:49]
	v_cndmask_b32_e64 v56, v49, v51, s[10:11]
	v_cndmask_b32_e64 v57, v48, v50, s[10:11]
	v_cmp_gt_u32_e64 s[10:11], v45, v21
	v_cndmask_b32_e64 v48, v57, v48, s[10:11]
	v_cndmask_b32_e64 v49, v56, v49, s[10:11]
	ds_bpermute_b32 v50, v46, v48
	ds_bpermute_b32 v51, v46, v49
	v_cndmask_b32_e64 v18, v57, v18, s[10:11]
	v_cndmask_b32_e64 v19, v56, v19, s[10:11]
	s_waitcnt lgkmcnt(0)
	v_cmp_gt_i64_e64 s[12:13], v[50:51], v[48:49]
	v_cndmask_b32_e64 v48, v48, v50, s[12:13]
	v_cndmask_b32_e64 v49, v49, v51, s[12:13]
	v_cndmask_b32_e32 v19, v49, v19, vcc
	v_cndmask_b32_e32 v18, v48, v18, vcc
	v_cmp_gt_i64_e32 vcc, v[18:19], v[28:29]
	v_cndmask_b32_e32 v19, v29, v19, vcc
	v_cndmask_b32_e32 v18, v28, v18, vcc
.LBB2650_40:                            ; =>This Loop Header: Depth=1
                                        ;     Child Loop BB2650_43 Depth 2
                                        ;       Child Loop BB2650_44 Depth 3
	v_cmp_ne_u16_sdwa s[6:7], v20, v32 src0_sel:BYTE_0 src1_sel:DWORD
	v_cndmask_b32_e64 v20, 0, 1, s[6:7]
	;;#ASMSTART
	;;#ASMEND
	v_cmp_ne_u32_e32 vcc, 0, v20
	s_cmp_lg_u64 vcc, exec
	v_pk_mov_b32 v[28:29], v[18:19], v[18:19] op_sel:[0,1]
	s_cbranch_scc1 .LBB2650_47
; %bb.41:                               ;   in Loop: Header=BB2650_40 Depth=1
	v_lshlrev_b64 v[18:19], 4, v[24:25]
	v_mov_b32_e32 v20, s15
	v_add_co_u32_e32 v30, vcc, s14, v18
	v_addc_co_u32_e32 v31, vcc, v20, v19, vcc
	;;#ASMSTART
	global_load_dwordx4 v[18:21], v[30:31] off glc	
s_waitcnt vmcnt(0)
	;;#ASMEND
	v_and_b32_e32 v21, 0xff, v19
	v_and_b32_e32 v48, 0xff00, v19
	v_or3_b32 v21, 0, v21, v48
	v_or3_b32 v18, v18, 0, 0
	v_and_b32_e32 v48, 0xff000000, v19
	v_and_b32_e32 v19, 0xff0000, v19
	v_or3_b32 v19, v21, v19, v48
	v_or3_b32 v18, v18, 0, 0
	v_cmp_eq_u16_sdwa s[8:9], v20, v25 src0_sel:BYTE_0 src1_sel:DWORD
	s_and_saveexec_b64 s[6:7], s[8:9]
	s_cbranch_execz .LBB2650_39
; %bb.42:                               ;   in Loop: Header=BB2650_40 Depth=1
	s_mov_b32 s10, 1
	s_mov_b64 s[8:9], 0
.LBB2650_43:                            ;   Parent Loop BB2650_40 Depth=1
                                        ; =>  This Loop Header: Depth=2
                                        ;       Child Loop BB2650_44 Depth 3
	s_max_u32 s11, s10, 1
.LBB2650_44:                            ;   Parent Loop BB2650_40 Depth=1
                                        ;     Parent Loop BB2650_43 Depth=2
                                        ; =>    This Inner Loop Header: Depth=3
	s_add_i32 s11, s11, -1
	s_cmp_eq_u32 s11, 0
	s_sleep 1
	s_cbranch_scc0 .LBB2650_44
; %bb.45:                               ;   in Loop: Header=BB2650_43 Depth=2
	s_cmp_lt_u32 s10, 32
	s_cselect_b64 s[12:13], -1, 0
	s_cmp_lg_u64 s[12:13], 0
	s_addc_u32 s10, s10, 0
	;;#ASMSTART
	global_load_dwordx4 v[18:21], v[30:31] off glc	
s_waitcnt vmcnt(0)
	;;#ASMEND
	v_cmp_ne_u16_sdwa s[12:13], v20, v25 src0_sel:BYTE_0 src1_sel:DWORD
	s_or_b64 s[8:9], s[12:13], s[8:9]
	s_andn2_b64 exec, exec, s[8:9]
	s_cbranch_execnz .LBB2650_43
; %bb.46:                               ;   in Loop: Header=BB2650_40 Depth=1
	s_or_b64 exec, exec, s[8:9]
	s_branch .LBB2650_39
.LBB2650_47:                            ;   in Loop: Header=BB2650_40 Depth=1
                                        ; implicit-def: $vgpr18_vgpr19
                                        ; implicit-def: $vgpr20
	s_cbranch_execz .LBB2650_40
; %bb.48:
	s_and_saveexec_b64 s[6:7], s[4:5]
	s_cbranch_execz .LBB2650_50
; %bb.49:
	s_add_i32 s4, s41, 64
	s_mov_b32 s5, 0
	s_lshl_b64 s[4:5], s[4:5], 4
	s_add_u32 s4, s14, s4
	v_cmp_gt_i64_e32 vcc, v[28:29], v[14:15]
	s_addc_u32 s5, s15, s5
	v_cndmask_b32_e32 v15, v15, v29, vcc
	v_cndmask_b32_e32 v14, v14, v28, vcc
	v_mov_b32_e32 v16, 2
	v_mov_b32_e32 v17, 0
	v_pk_mov_b32 v[18:19], s[4:5], s[4:5] op_sel:[0,1]
	;;#ASMSTART
	global_store_dwordx4 v[18:19], v[14:17] off	
s_waitcnt vmcnt(0)
	;;#ASMEND
.LBB2650_50:
	s_or_b64 exec, exec, s[6:7]
	s_and_b64 exec, exec, s[0:1]
	s_cbranch_execz .LBB2650_52
; %bb.51:
	v_mov_b32_e32 v14, 0
	ds_write_b64 v14, v[28:29]
.LBB2650_52:
	s_or_b64 exec, exec, s[36:37]
	v_mov_b32_e32 v14, 0
	s_waitcnt lgkmcnt(0)
	s_barrier
	ds_read_b64 v[14:15], v14
	s_waitcnt lgkmcnt(0)
	v_cmp_gt_i64_e32 vcc, v[14:15], v[22:23]
	v_cndmask_b32_e32 v16, v22, v14, vcc
	v_cndmask_b32_e32 v17, v23, v15, vcc
	v_cndmask_b32_e64 v15, v17, v15, s[0:1]
	v_cndmask_b32_e64 v14, v16, v14, s[0:1]
	v_cmp_gt_i64_e32 vcc, v[14:15], v[10:11]
	v_cndmask_b32_e32 v29, v11, v15, vcc
	v_cndmask_b32_e32 v28, v10, v14, vcc
	v_cmp_gt_i64_e32 vcc, v[28:29], v[12:13]
	v_cndmask_b32_e32 v19, v13, v29, vcc
	v_cndmask_b32_e32 v18, v12, v28, vcc
	;; [unrolled: 3-line block ×6, first 2 shown]
	s_branch .LBB2650_65
.LBB2650_53:
                                        ; implicit-def: $vgpr34_vgpr35
                                        ; implicit-def: $vgpr32_vgpr33
                                        ; implicit-def: $vgpr30_vgpr31
                                        ; implicit-def: $vgpr28_vgpr29
                                        ; implicit-def: $vgpr22_vgpr23_vgpr24_vgpr25
                                        ; implicit-def: $vgpr18_vgpr19_vgpr20_vgpr21
                                        ; implicit-def: $vgpr14_vgpr15_vgpr16_vgpr17
	s_cbranch_execz .LBB2650_65
; %bb.54:
	s_cmp_eq_u64 s[20:21], 0
	v_pk_mov_b32 v[20:21], s[34:35], s[34:35] op_sel:[0,1]
	s_cbranch_scc1 .LBB2650_56
; %bb.55:
	v_mov_b32_e32 v17, s40
	v_add_co_u32_e64 v16, vcc, -8, s39
	v_mov_b32_e32 v14, 0
	v_addc_co_u32_e32 v17, vcc, -1, v17, vcc
	global_load_dwordx2 v[14:15], v14, s[16:17]
	s_nop 0
	flat_load_dwordx2 v[16:17], v[16:17]
	s_waitcnt vmcnt(0) lgkmcnt(0)
	v_cmp_gt_i64_e32 vcc, v[14:15], v[16:17]
	v_cndmask_b32_e32 v21, v17, v15, vcc
	v_cndmask_b32_e32 v20, v16, v14, vcc
.LBB2650_56:
	v_cmp_gt_i64_e32 vcc, v[10:11], v[12:13]
	v_cndmask_b32_e32 v15, v13, v11, vcc
	v_cndmask_b32_e32 v14, v12, v10, vcc
	v_cmp_gt_i64_e32 vcc, v[14:15], v[6:7]
	v_cndmask_b32_e32 v15, v7, v15, vcc
	v_cndmask_b32_e32 v14, v6, v14, vcc
	v_cmp_gt_i64_e32 vcc, v[14:15], v[8:9]
	v_cndmask_b32_e32 v15, v9, v15, vcc
	v_cndmask_b32_e32 v14, v8, v14, vcc
	v_cmp_gt_i64_e32 vcc, v[14:15], v[2:3]
	v_cndmask_b32_e32 v15, v3, v15, vcc
	v_cndmask_b32_e32 v14, v2, v14, vcc
	v_cmp_gt_i64_e32 vcc, v[14:15], v[4:5]
	v_cndmask_b32_e32 v15, v5, v15, vcc
	v_cndmask_b32_e32 v14, v4, v14, vcc
	v_cmp_gt_i64_e32 vcc, v[14:15], v[26:27]
	v_cndmask_b32_e32 v19, v27, v15, vcc
	v_cndmask_b32_e32 v18, v26, v14, vcc
	v_add_lshl_u32 v1, v1, v0, 3
	v_cmp_gt_u32_e32 vcc, 64, v0
	ds_write_b64 v1, v[18:19]
	s_waitcnt lgkmcnt(0)
	s_barrier
	s_and_saveexec_b64 s[6:7], vcc
	s_cbranch_execz .LBB2650_60
; %bb.57:
	v_lshlrev_b32_e32 v1, 1, v0
	v_lshrrev_b32_e32 v14, 4, v0
	v_add_lshl_u32 v1, v14, v1, 3
	ds_read2_b64 v[14:17], v1 offset1:1
	v_mbcnt_lo_u32_b32 v22, -1, 0
	v_mbcnt_hi_u32_b32 v26, -1, v22
	v_and_b32_e32 v27, 15, v26
	v_and_b32_e32 v29, 16, v26
	s_waitcnt lgkmcnt(0)
	v_cmp_gt_i64_e32 vcc, v[14:15], v[16:17]
	v_cndmask_b32_e32 v17, v17, v15, vcc
	v_cndmask_b32_e32 v16, v16, v14, vcc
	v_cmp_ne_u32_e64 s[4:5], 0, v26
	v_mov_b32_dpp v23, v17 row_shr:1 row_mask:0xf bank_mask:0xf
	v_mov_b32_dpp v22, v16 row_shr:1 row_mask:0xf bank_mask:0xf
	v_cmp_gt_i64_e32 vcc, v[22:23], v[16:17]
	v_cndmask_b32_e32 v22, v16, v22, vcc
	v_cndmask_b32_e32 v23, v17, v23, vcc
	v_cmp_eq_u32_e32 vcc, 0, v27
	v_cndmask_b32_e32 v23, v23, v17, vcc
	v_cndmask_b32_e32 v22, v22, v16, vcc
	s_nop 0
	v_mov_b32_dpp v25, v23 row_shr:2 row_mask:0xf bank_mask:0xf
	v_mov_b32_dpp v24, v22 row_shr:2 row_mask:0xf bank_mask:0xf
	v_cmp_gt_i64_e32 vcc, v[24:25], v[22:23]
	v_cndmask_b32_e32 v24, v22, v24, vcc
	v_cndmask_b32_e32 v25, v23, v25, vcc
	v_cmp_lt_u32_e32 vcc, 1, v27
	v_cndmask_b32_e32 v23, v23, v25, vcc
	v_cndmask_b32_e32 v22, v22, v24, vcc
	s_nop 0
	v_mov_b32_dpp v25, v23 row_shr:4 row_mask:0xf bank_mask:0xf
	v_mov_b32_dpp v24, v22 row_shr:4 row_mask:0xf bank_mask:0xf
	v_cmp_gt_i64_e32 vcc, v[24:25], v[22:23]
	v_cndmask_b32_e32 v24, v22, v24, vcc
	v_cndmask_b32_e32 v25, v23, v25, vcc
	v_cmp_lt_u32_e32 vcc, 3, v27
	v_cndmask_b32_e32 v23, v23, v25, vcc
	v_cndmask_b32_e32 v22, v22, v24, vcc
	s_nop 0
	v_mov_b32_dpp v25, v23 row_shr:8 row_mask:0xf bank_mask:0xf
	v_mov_b32_dpp v24, v22 row_shr:8 row_mask:0xf bank_mask:0xf
	v_cmp_gt_i64_e32 vcc, v[24:25], v[22:23]
	v_cndmask_b32_e32 v24, v22, v24, vcc
	v_cndmask_b32_e32 v25, v23, v25, vcc
	v_cmp_lt_u32_e32 vcc, 7, v27
	v_cndmask_b32_e32 v23, v23, v25, vcc
	v_cndmask_b32_e32 v22, v22, v24, vcc
	s_nop 0
	v_mov_b32_dpp v25, v23 row_bcast:15 row_mask:0xf bank_mask:0xf
	v_mov_b32_dpp v24, v22 row_bcast:15 row_mask:0xf bank_mask:0xf
	v_cmp_gt_i64_e32 vcc, v[24:25], v[22:23]
	v_cndmask_b32_e32 v27, v23, v25, vcc
	v_cndmask_b32_e32 v28, v22, v24, vcc
	v_cmp_eq_u32_e32 vcc, 0, v29
	v_cndmask_b32_e32 v25, v27, v23, vcc
	v_cndmask_b32_e32 v24, v28, v22, vcc
	s_nop 0
	v_mov_b32_dpp v25, v25 row_bcast:31 row_mask:0xf bank_mask:0xf
	v_mov_b32_dpp v24, v24 row_bcast:31 row_mask:0xf bank_mask:0xf
	s_and_saveexec_b64 s[8:9], s[4:5]
; %bb.58:
	v_cndmask_b32_e32 v17, v27, v23, vcc
	v_cndmask_b32_e32 v16, v28, v22, vcc
	v_cmp_lt_u32_e64 s[4:5], 31, v26
	v_cmp_gt_i64_e32 vcc, v[24:25], v[16:17]
	s_and_b64 vcc, s[4:5], vcc
	v_cndmask_b32_e32 v16, v16, v24, vcc
	v_cndmask_b32_e32 v17, v17, v25, vcc
; %bb.59:
	s_or_b64 exec, exec, s[8:9]
	v_add_u32_e32 v22, -1, v26
	v_and_b32_e32 v23, 64, v26
	v_cmp_lt_i32_e32 vcc, v22, v23
	v_cndmask_b32_e32 v22, v22, v26, vcc
	v_lshlrev_b32_e32 v22, 2, v22
	ds_bpermute_b32 v16, v22, v16
	ds_bpermute_b32 v17, v22, v17
	; wave barrier
	s_waitcnt lgkmcnt(0)
	v_cmp_gt_i64_e32 vcc, v[16:17], v[14:15]
	v_cndmask_b32_e32 v14, v14, v16, vcc
	v_cndmask_b32_e32 v15, v15, v17, vcc
	v_cndmask_b32_e64 v15, v15, v19, s[0:1]
	v_cndmask_b32_e64 v14, v14, v18, s[0:1]
	ds_write_b64 v1, v[14:15]
	; wave barrier
	ds_read_b64 v[16:17], v1 offset:8
	s_waitcnt lgkmcnt(0)
	v_cmp_gt_i64_e32 vcc, v[14:15], v[16:17]
	v_cndmask_b32_e32 v15, v17, v15, vcc
	v_cndmask_b32_e32 v14, v16, v14, vcc
	ds_write_b64 v1, v[14:15] offset:8
.LBB2650_60:
	s_or_b64 exec, exec, s[6:7]
	v_pk_mov_b32 v[14:15], v[20:21], v[20:21] op_sel:[0,1]
	s_waitcnt lgkmcnt(0)
	s_barrier
	s_and_saveexec_b64 s[4:5], s[2:3]
	s_cbranch_execz .LBB2650_62
; %bb.61:
	v_add_u32_e32 v1, -1, v0
	v_lshrrev_b32_e32 v14, 5, v1
	v_add_lshl_u32 v1, v14, v1, 3
	ds_read_b64 v[14:15], v1
	s_waitcnt lgkmcnt(0)
	v_cmp_gt_i64_e32 vcc, v[20:21], v[14:15]
	v_cndmask_b32_e32 v15, v15, v21, vcc
	v_cndmask_b32_e32 v14, v14, v20, vcc
.LBB2650_62:
	s_or_b64 exec, exec, s[4:5]
	v_cmp_gt_i64_e32 vcc, v[14:15], v[10:11]
	v_cndmask_b32_e32 v29, v11, v15, vcc
	v_cndmask_b32_e32 v28, v10, v14, vcc
	v_cmp_gt_i64_e32 vcc, v[28:29], v[12:13]
	v_cndmask_b32_e32 v19, v13, v29, vcc
	v_cndmask_b32_e32 v18, v12, v28, vcc
	;; [unrolled: 3-line block ×6, first 2 shown]
	s_and_saveexec_b64 s[2:3], s[0:1]
	s_cbranch_execz .LBB2650_64
; %bb.63:
	v_mov_b32_e32 v5, 0
	ds_read_b64 v[2:3], v5 offset:1040
	s_add_u32 s0, s14, 0x400
	s_addc_u32 s1, s15, 0
	v_mov_b32_e32 v4, 2
	v_pk_mov_b32 v[6:7], s[0:1], s[0:1] op_sel:[0,1]
	s_waitcnt lgkmcnt(0)
	v_cmp_gt_i64_e32 vcc, v[20:21], v[2:3]
	v_cndmask_b32_e32 v3, v3, v21, vcc
	v_cndmask_b32_e32 v2, v2, v20, vcc
	;;#ASMSTART
	global_store_dwordx4 v[6:7], v[2:5] off	
s_waitcnt vmcnt(0)
	;;#ASMEND
.LBB2650_64:
	s_or_b64 exec, exec, s[2:3]
.LBB2650_65:
	s_add_u32 s0, s28, s26
	s_addc_u32 s1, s29, s27
	s_add_u32 s2, s0, s30
	s_addc_u32 s3, s1, s31
	s_mov_b64 s[0:1], -1
	s_and_b64 vcc, exec, s[24:25]
	s_barrier
	s_cbranch_vccz .LBB2650_67
; %bb.66:
	v_mul_u32_u24_e32 v1, 56, v0
	ds_write2_b64 v1, v[14:15], v[28:29] offset1:1
	ds_write2_b64 v1, v[18:19], v[30:31] offset0:2 offset1:3
	ds_write2_b64 v1, v[22:23], v[32:33] offset0:4 offset1:5
	ds_write_b64 v1, v[34:35] offset:48
	v_mul_i32_i24_e32 v1, 0xffffffd0, v0
	v_mad_u32_u24 v1, v0, 56, v1
	s_waitcnt lgkmcnt(0)
	s_barrier
	ds_read2st64_b64 v[2:5], v1 offset1:2
	ds_read2st64_b64 v[6:9], v1 offset0:4 offset1:6
	ds_read2st64_b64 v[10:13], v1 offset0:8 offset1:10
	ds_read_b64 v[16:17], v1 offset:6144
	v_mov_b32_e32 v1, s3
	v_add_co_u32_e32 v20, vcc, s2, v36
	v_addc_co_u32_e32 v21, vcc, 0, v1, vcc
	s_waitcnt lgkmcnt(3)
	flat_store_dwordx2 v[20:21], v[2:3]
	flat_store_dwordx2 v[20:21], v[4:5] offset:1024
	s_waitcnt lgkmcnt(0)
	flat_store_dwordx2 v[20:21], v[6:7] offset:2048
	flat_store_dwordx2 v[20:21], v[8:9] offset:3072
	v_add_co_u32_e32 v2, vcc, 0x1000, v20
	v_addc_co_u32_e32 v3, vcc, 0, v21, vcc
	flat_store_dwordx2 v[2:3], v[10:11]
	flat_store_dwordx2 v[2:3], v[12:13] offset:1024
	flat_store_dwordx2 v[2:3], v[16:17] offset:2048
	s_mov_b64 s[0:1], 0
.LBB2650_67:
	s_andn2_b64 vcc, exec, s[0:1]
	s_cbranch_vccnz .LBB2650_106
; %bb.68:
	s_movk_i32 s0, 0xffd0
	ds_write2_b64 v38, v[14:15], v[28:29] offset1:1
	ds_write2_b64 v38, v[18:19], v[30:31] offset0:2 offset1:3
	ds_write2_b64 v38, v[22:23], v[32:33] offset0:4 offset1:5
	ds_write_b64 v38, v[34:35] offset:48
	v_mad_i32_i24 v14, v0, s0, v38
	s_waitcnt lgkmcnt(0)
	s_barrier
	ds_read2st64_b64 v[2:5], v14 offset1:2
	ds_read2st64_b64 v[6:9], v14 offset0:4 offset1:6
	ds_read2st64_b64 v[10:13], v14 offset0:8 offset1:10
	ds_read_b64 v[14:15], v14 offset:6144
	v_mov_b32_e32 v17, s3
	v_add_co_u32_e32 v16, vcc, s2, v36
	v_addc_co_u32_e32 v17, vcc, 0, v17, vcc
	v_mov_b32_e32 v1, 0
	v_cmp_gt_u32_e32 vcc, s33, v0
	s_and_saveexec_b64 s[0:1], vcc
	s_cbranch_execz .LBB2650_70
; %bb.69:
	s_waitcnt lgkmcnt(0)
	flat_store_dwordx2 v[16:17], v[2:3]
.LBB2650_70:
	s_or_b64 exec, exec, s[0:1]
	v_or_b32_e32 v18, 0x80, v0
	v_cmp_gt_u32_e32 vcc, s33, v18
	s_and_saveexec_b64 s[0:1], vcc
	s_cbranch_execz .LBB2650_72
; %bb.71:
	s_waitcnt lgkmcnt(0)
	flat_store_dwordx2 v[16:17], v[4:5] offset:1024
.LBB2650_72:
	s_or_b64 exec, exec, s[0:1]
	v_or_b32_e32 v18, 0x100, v0
	v_cmp_gt_u32_e32 vcc, s33, v18
	s_and_saveexec_b64 s[0:1], vcc
	s_cbranch_execz .LBB2650_74
; %bb.73:
	s_waitcnt lgkmcnt(0)
	flat_store_dwordx2 v[16:17], v[6:7] offset:2048
.LBB2650_74:
	;; [unrolled: 9-line block ×3, first 2 shown]
	s_or_b64 exec, exec, s[0:1]
	v_or_b32_e32 v18, 0x200, v0
	v_cmp_gt_u32_e32 vcc, s33, v18
	s_and_saveexec_b64 s[0:1], vcc
	s_cbranch_execz .LBB2650_78
; %bb.77:
	v_add_co_u32_e32 v18, vcc, 0x1000, v16
	v_addc_co_u32_e32 v19, vcc, 0, v17, vcc
	s_waitcnt lgkmcnt(0)
	flat_store_dwordx2 v[18:19], v[10:11]
.LBB2650_78:
	s_or_b64 exec, exec, s[0:1]
	v_or_b32_e32 v18, 0x280, v0
	v_cmp_gt_u32_e32 vcc, s33, v18
	s_and_saveexec_b64 s[0:1], vcc
	s_cbranch_execz .LBB2650_80
; %bb.79:
	v_add_co_u32_e32 v18, vcc, 0x1000, v16
	v_addc_co_u32_e32 v19, vcc, 0, v17, vcc
	s_waitcnt lgkmcnt(0)
	flat_store_dwordx2 v[18:19], v[12:13] offset:1024
.LBB2650_80:
	s_or_b64 exec, exec, s[0:1]
	v_or_b32_e32 v18, 0x300, v0
	v_cmp_gt_u32_e32 vcc, s33, v18
	s_and_saveexec_b64 s[0:1], vcc
	s_cbranch_execz .LBB2650_82
; %bb.81:
	v_add_co_u32_e32 v16, vcc, 0x1000, v16
	v_addc_co_u32_e32 v17, vcc, 0, v17, vcc
	s_waitcnt lgkmcnt(0)
	flat_store_dwordx2 v[16:17], v[14:15] offset:2048
.LBB2650_82:
	s_or_b64 exec, exec, s[0:1]
	v_cmp_lt_u64_e64 s[0:1], s[22:23], 2
	s_and_b64 vcc, exec, s[0:1]
	s_cbranch_vccnz .LBB2650_106
; %bb.83:
	s_add_u32 s0, s33, -1
	s_addc_u32 s1, s38, -1
	s_add_u32 s2, 0, 0x92481000
	s_addc_u32 s3, 0, 0x64
	s_add_i32 s3, s3, 0x249248c0
	s_mul_hi_u32 s7, s2, -7
	s_sub_i32 s7, s7, s2
	s_mul_i32 s8, s3, -7
	s_mul_i32 s4, s2, -7
	s_add_i32 s7, s7, s8
	s_mul_hi_u32 s5, s3, s4
	s_mul_i32 s6, s3, s4
	s_mul_i32 s9, s2, s7
	s_mul_hi_u32 s4, s2, s4
	s_mul_hi_u32 s8, s2, s7
	s_add_u32 s4, s4, s9
	s_addc_u32 s8, 0, s8
	s_add_u32 s4, s4, s6
	s_mul_hi_u32 s9, s3, s7
	s_addc_u32 s4, s8, s5
	s_addc_u32 s5, s9, 0
	s_mul_i32 s6, s3, s7
	s_add_u32 s4, s4, s6
	v_mov_b32_e32 v16, s4
	s_addc_u32 s5, 0, s5
	v_add_co_u32_e32 v16, vcc, s2, v16
	s_cmp_lg_u64 vcc, 0
	s_addc_u32 s2, s3, s5
	v_readfirstlane_b32 s5, v16
	s_mul_i32 s4, s0, s2
	s_mul_hi_u32 s6, s0, s5
	s_mul_hi_u32 s3, s0, s2
	s_add_u32 s4, s6, s4
	s_addc_u32 s3, 0, s3
	s_mul_hi_u32 s7, s1, s5
	s_mul_i32 s5, s1, s5
	s_add_u32 s4, s4, s5
	s_mul_hi_u32 s6, s1, s2
	s_addc_u32 s3, s3, s7
	s_addc_u32 s4, s6, 0
	s_mul_i32 s2, s1, s2
	s_add_u32 s2, s3, s2
	s_addc_u32 s3, 0, s4
	s_add_u32 s4, s2, 1
	s_addc_u32 s5, s3, 0
	s_add_u32 s6, s2, 2
	s_mul_i32 s8, s3, 7
	s_mul_hi_u32 s9, s2, 7
	s_addc_u32 s7, s3, 0
	s_add_i32 s9, s9, s8
	s_mul_i32 s8, s2, 7
	v_mov_b32_e32 v16, s8
	v_sub_co_u32_e32 v16, vcc, s0, v16
	s_cmp_lg_u64 vcc, 0
	s_subb_u32 s8, s1, s9
	v_subrev_co_u32_e32 v17, vcc, 7, v16
	s_cmp_lg_u64 vcc, 0
	s_subb_u32 s9, s8, 0
	v_readfirstlane_b32 s10, v17
	s_cmp_gt_u32 s10, 6
	s_cselect_b32 s10, -1, 0
	s_cmp_eq_u32 s9, 0
	s_cselect_b32 s9, s10, -1
	s_cmp_lg_u32 s9, 0
	s_cselect_b32 s4, s6, s4
	v_readfirstlane_b32 s6, v16
	s_cselect_b32 s5, s7, s5
	s_cmp_gt_u32 s6, 6
	s_cselect_b32 s6, -1, 0
	s_cmp_eq_u32 s8, 0
	s_cselect_b32 s6, s6, -1
	s_cmp_lg_u32 s6, 0
	s_cselect_b32 s3, s5, s3
	s_cselect_b32 s2, s4, s2
	v_cmp_eq_u64_e32 vcc, s[2:3], v[0:1]
	s_and_saveexec_b64 s[2:3], vcc
	s_cbranch_execz .LBB2650_106
; %bb.84:
	v_mul_hi_u32_u24_e32 v1, 7, v0
	v_mov_b32_e32 v16, s1
	v_sub_co_u32_e32 v0, vcc, s0, v37
	v_subb_co_u32_e32 v1, vcc, v16, v1, vcc
	v_cmp_lt_i64_e32 vcc, 3, v[0:1]
	s_and_saveexec_b64 s[0:1], vcc
	s_xor_b64 s[0:1], exec, s[0:1]
	s_cbranch_execz .LBB2650_94
; %bb.85:
	v_cmp_lt_i64_e32 vcc, 4, v[0:1]
	s_and_saveexec_b64 s[2:3], vcc
	s_xor_b64 s[2:3], exec, s[2:3]
	s_cbranch_execz .LBB2650_91
; %bb.86:
	;; [unrolled: 5-line block ×3, first 2 shown]
	v_mov_b32_e32 v0, 0
	s_waitcnt lgkmcnt(0)
	global_store_dwordx2 v0, v[14:15], s[18:19]
                                        ; implicit-def: $vgpr10_vgpr11_vgpr12_vgpr13
.LBB2650_88:
	s_andn2_saveexec_b64 s[4:5], s[4:5]
	s_cbranch_execz .LBB2650_90
; %bb.89:
	v_mov_b32_e32 v0, 0
	s_waitcnt lgkmcnt(0)
	global_store_dwordx2 v0, v[12:13], s[18:19]
.LBB2650_90:
	s_or_b64 exec, exec, s[4:5]
                                        ; implicit-def: $vgpr10_vgpr11_vgpr12_vgpr13
.LBB2650_91:
	s_andn2_saveexec_b64 s[2:3], s[2:3]
	s_cbranch_execz .LBB2650_93
; %bb.92:
	v_mov_b32_e32 v0, 0
	s_waitcnt lgkmcnt(0)
	global_store_dwordx2 v0, v[10:11], s[18:19]
.LBB2650_93:
	s_or_b64 exec, exec, s[2:3]
                                        ; implicit-def: $vgpr0_vgpr1
                                        ; implicit-def: $vgpr2_vgpr3_vgpr4_vgpr5
                                        ; implicit-def: $vgpr6_vgpr7_vgpr8_vgpr9
.LBB2650_94:
	s_andn2_saveexec_b64 s[0:1], s[0:1]
	s_cbranch_execz .LBB2650_106
; %bb.95:
	v_cmp_lt_i64_e32 vcc, 1, v[0:1]
	s_and_saveexec_b64 s[0:1], vcc
	s_xor_b64 s[0:1], exec, s[0:1]
	s_cbranch_execz .LBB2650_101
; %bb.96:
	v_cmp_lt_i64_e32 vcc, 2, v[0:1]
	s_and_saveexec_b64 s[2:3], vcc
	s_xor_b64 s[2:3], exec, s[2:3]
	s_cbranch_execz .LBB2650_98
; %bb.97:
	v_mov_b32_e32 v0, 0
	s_waitcnt lgkmcnt(0)
	global_store_dwordx2 v0, v[8:9], s[18:19]
                                        ; implicit-def: $vgpr6_vgpr7_vgpr8_vgpr9
.LBB2650_98:
	s_andn2_saveexec_b64 s[2:3], s[2:3]
	s_cbranch_execz .LBB2650_100
; %bb.99:
	v_mov_b32_e32 v0, 0
	s_waitcnt lgkmcnt(0)
	global_store_dwordx2 v0, v[6:7], s[18:19]
.LBB2650_100:
	s_or_b64 exec, exec, s[2:3]
                                        ; implicit-def: $vgpr2_vgpr3_vgpr4_vgpr5
                                        ; implicit-def: $vgpr0_vgpr1
.LBB2650_101:
	s_andn2_saveexec_b64 s[0:1], s[0:1]
	s_cbranch_execz .LBB2650_106
; %bb.102:
	v_cmp_ne_u64_e32 vcc, 1, v[0:1]
	s_and_saveexec_b64 s[0:1], vcc
	s_xor_b64 s[0:1], exec, s[0:1]
	s_cbranch_execz .LBB2650_104
; %bb.103:
	v_mov_b32_e32 v0, 0
	s_waitcnt lgkmcnt(0)
	global_store_dwordx2 v0, v[2:3], s[18:19]
                                        ; implicit-def: $vgpr2_vgpr3_vgpr4_vgpr5
.LBB2650_104:
	s_andn2_saveexec_b64 s[0:1], s[0:1]
	s_cbranch_execz .LBB2650_106
; %bb.105:
	v_mov_b32_e32 v0, 0
	s_waitcnt lgkmcnt(0)
	global_store_dwordx2 v0, v[4:5], s[18:19]
.LBB2650_106:
	s_endpgm
	.section	.rodata,"a",@progbits
	.p2align	6, 0x0
	.amdhsa_kernel _ZN7rocprim17ROCPRIM_400000_NS6detail17trampoline_kernelINS0_14default_configENS1_20scan_config_selectorIxEEZZNS1_9scan_implILNS1_25lookback_scan_determinismE0ELb1ELb1ES3_N6thrust23THRUST_200600_302600_NS6detail15normal_iteratorINS9_10device_ptrIxEEEESE_x11max_functorIxExEEDaPvRmT3_T4_T5_mT6_P12ihipStream_tbENKUlT_T0_E_clISt17integral_constantIbLb1EESU_EEDaSP_SQ_EUlSP_E_NS1_11comp_targetILNS1_3genE4ELNS1_11target_archE910ELNS1_3gpuE8ELNS1_3repE0EEENS1_30default_config_static_selectorELNS0_4arch9wavefront6targetE1EEEvT1_
		.amdhsa_group_segment_fixed_size 7168
		.amdhsa_private_segment_fixed_size 0
		.amdhsa_kernarg_size 104
		.amdhsa_user_sgpr_count 6
		.amdhsa_user_sgpr_private_segment_buffer 1
		.amdhsa_user_sgpr_dispatch_ptr 0
		.amdhsa_user_sgpr_queue_ptr 0
		.amdhsa_user_sgpr_kernarg_segment_ptr 1
		.amdhsa_user_sgpr_dispatch_id 0
		.amdhsa_user_sgpr_flat_scratch_init 0
		.amdhsa_user_sgpr_kernarg_preload_length 0
		.amdhsa_user_sgpr_kernarg_preload_offset 0
		.amdhsa_user_sgpr_private_segment_size 0
		.amdhsa_uses_dynamic_stack 0
		.amdhsa_system_sgpr_private_segment_wavefront_offset 0
		.amdhsa_system_sgpr_workgroup_id_x 1
		.amdhsa_system_sgpr_workgroup_id_y 0
		.amdhsa_system_sgpr_workgroup_id_z 0
		.amdhsa_system_sgpr_workgroup_info 0
		.amdhsa_system_vgpr_workitem_id 0
		.amdhsa_next_free_vgpr 58
		.amdhsa_next_free_sgpr 42
		.amdhsa_accum_offset 60
		.amdhsa_reserve_vcc 1
		.amdhsa_reserve_flat_scratch 0
		.amdhsa_float_round_mode_32 0
		.amdhsa_float_round_mode_16_64 0
		.amdhsa_float_denorm_mode_32 3
		.amdhsa_float_denorm_mode_16_64 3
		.amdhsa_dx10_clamp 1
		.amdhsa_ieee_mode 1
		.amdhsa_fp16_overflow 0
		.amdhsa_tg_split 0
		.amdhsa_exception_fp_ieee_invalid_op 0
		.amdhsa_exception_fp_denorm_src 0
		.amdhsa_exception_fp_ieee_div_zero 0
		.amdhsa_exception_fp_ieee_overflow 0
		.amdhsa_exception_fp_ieee_underflow 0
		.amdhsa_exception_fp_ieee_inexact 0
		.amdhsa_exception_int_div_zero 0
	.end_amdhsa_kernel
	.section	.text._ZN7rocprim17ROCPRIM_400000_NS6detail17trampoline_kernelINS0_14default_configENS1_20scan_config_selectorIxEEZZNS1_9scan_implILNS1_25lookback_scan_determinismE0ELb1ELb1ES3_N6thrust23THRUST_200600_302600_NS6detail15normal_iteratorINS9_10device_ptrIxEEEESE_x11max_functorIxExEEDaPvRmT3_T4_T5_mT6_P12ihipStream_tbENKUlT_T0_E_clISt17integral_constantIbLb1EESU_EEDaSP_SQ_EUlSP_E_NS1_11comp_targetILNS1_3genE4ELNS1_11target_archE910ELNS1_3gpuE8ELNS1_3repE0EEENS1_30default_config_static_selectorELNS0_4arch9wavefront6targetE1EEEvT1_,"axG",@progbits,_ZN7rocprim17ROCPRIM_400000_NS6detail17trampoline_kernelINS0_14default_configENS1_20scan_config_selectorIxEEZZNS1_9scan_implILNS1_25lookback_scan_determinismE0ELb1ELb1ES3_N6thrust23THRUST_200600_302600_NS6detail15normal_iteratorINS9_10device_ptrIxEEEESE_x11max_functorIxExEEDaPvRmT3_T4_T5_mT6_P12ihipStream_tbENKUlT_T0_E_clISt17integral_constantIbLb1EESU_EEDaSP_SQ_EUlSP_E_NS1_11comp_targetILNS1_3genE4ELNS1_11target_archE910ELNS1_3gpuE8ELNS1_3repE0EEENS1_30default_config_static_selectorELNS0_4arch9wavefront6targetE1EEEvT1_,comdat
.Lfunc_end2650:
	.size	_ZN7rocprim17ROCPRIM_400000_NS6detail17trampoline_kernelINS0_14default_configENS1_20scan_config_selectorIxEEZZNS1_9scan_implILNS1_25lookback_scan_determinismE0ELb1ELb1ES3_N6thrust23THRUST_200600_302600_NS6detail15normal_iteratorINS9_10device_ptrIxEEEESE_x11max_functorIxExEEDaPvRmT3_T4_T5_mT6_P12ihipStream_tbENKUlT_T0_E_clISt17integral_constantIbLb1EESU_EEDaSP_SQ_EUlSP_E_NS1_11comp_targetILNS1_3genE4ELNS1_11target_archE910ELNS1_3gpuE8ELNS1_3repE0EEENS1_30default_config_static_selectorELNS0_4arch9wavefront6targetE1EEEvT1_, .Lfunc_end2650-_ZN7rocprim17ROCPRIM_400000_NS6detail17trampoline_kernelINS0_14default_configENS1_20scan_config_selectorIxEEZZNS1_9scan_implILNS1_25lookback_scan_determinismE0ELb1ELb1ES3_N6thrust23THRUST_200600_302600_NS6detail15normal_iteratorINS9_10device_ptrIxEEEESE_x11max_functorIxExEEDaPvRmT3_T4_T5_mT6_P12ihipStream_tbENKUlT_T0_E_clISt17integral_constantIbLb1EESU_EEDaSP_SQ_EUlSP_E_NS1_11comp_targetILNS1_3genE4ELNS1_11target_archE910ELNS1_3gpuE8ELNS1_3repE0EEENS1_30default_config_static_selectorELNS0_4arch9wavefront6targetE1EEEvT1_
                                        ; -- End function
	.section	.AMDGPU.csdata,"",@progbits
; Kernel info:
; codeLenInByte = 5956
; NumSgprs: 46
; NumVgprs: 58
; NumAgprs: 0
; TotalNumVgprs: 58
; ScratchSize: 0
; MemoryBound: 0
; FloatMode: 240
; IeeeMode: 1
; LDSByteSize: 7168 bytes/workgroup (compile time only)
; SGPRBlocks: 5
; VGPRBlocks: 7
; NumSGPRsForWavesPerEU: 46
; NumVGPRsForWavesPerEU: 58
; AccumOffset: 60
; Occupancy: 5
; WaveLimiterHint : 1
; COMPUTE_PGM_RSRC2:SCRATCH_EN: 0
; COMPUTE_PGM_RSRC2:USER_SGPR: 6
; COMPUTE_PGM_RSRC2:TRAP_HANDLER: 0
; COMPUTE_PGM_RSRC2:TGID_X_EN: 1
; COMPUTE_PGM_RSRC2:TGID_Y_EN: 0
; COMPUTE_PGM_RSRC2:TGID_Z_EN: 0
; COMPUTE_PGM_RSRC2:TIDIG_COMP_CNT: 0
; COMPUTE_PGM_RSRC3_GFX90A:ACCUM_OFFSET: 14
; COMPUTE_PGM_RSRC3_GFX90A:TG_SPLIT: 0
	.section	.text._ZN7rocprim17ROCPRIM_400000_NS6detail17trampoline_kernelINS0_14default_configENS1_20scan_config_selectorIxEEZZNS1_9scan_implILNS1_25lookback_scan_determinismE0ELb1ELb1ES3_N6thrust23THRUST_200600_302600_NS6detail15normal_iteratorINS9_10device_ptrIxEEEESE_x11max_functorIxExEEDaPvRmT3_T4_T5_mT6_P12ihipStream_tbENKUlT_T0_E_clISt17integral_constantIbLb1EESU_EEDaSP_SQ_EUlSP_E_NS1_11comp_targetILNS1_3genE3ELNS1_11target_archE908ELNS1_3gpuE7ELNS1_3repE0EEENS1_30default_config_static_selectorELNS0_4arch9wavefront6targetE1EEEvT1_,"axG",@progbits,_ZN7rocprim17ROCPRIM_400000_NS6detail17trampoline_kernelINS0_14default_configENS1_20scan_config_selectorIxEEZZNS1_9scan_implILNS1_25lookback_scan_determinismE0ELb1ELb1ES3_N6thrust23THRUST_200600_302600_NS6detail15normal_iteratorINS9_10device_ptrIxEEEESE_x11max_functorIxExEEDaPvRmT3_T4_T5_mT6_P12ihipStream_tbENKUlT_T0_E_clISt17integral_constantIbLb1EESU_EEDaSP_SQ_EUlSP_E_NS1_11comp_targetILNS1_3genE3ELNS1_11target_archE908ELNS1_3gpuE7ELNS1_3repE0EEENS1_30default_config_static_selectorELNS0_4arch9wavefront6targetE1EEEvT1_,comdat
	.protected	_ZN7rocprim17ROCPRIM_400000_NS6detail17trampoline_kernelINS0_14default_configENS1_20scan_config_selectorIxEEZZNS1_9scan_implILNS1_25lookback_scan_determinismE0ELb1ELb1ES3_N6thrust23THRUST_200600_302600_NS6detail15normal_iteratorINS9_10device_ptrIxEEEESE_x11max_functorIxExEEDaPvRmT3_T4_T5_mT6_P12ihipStream_tbENKUlT_T0_E_clISt17integral_constantIbLb1EESU_EEDaSP_SQ_EUlSP_E_NS1_11comp_targetILNS1_3genE3ELNS1_11target_archE908ELNS1_3gpuE7ELNS1_3repE0EEENS1_30default_config_static_selectorELNS0_4arch9wavefront6targetE1EEEvT1_ ; -- Begin function _ZN7rocprim17ROCPRIM_400000_NS6detail17trampoline_kernelINS0_14default_configENS1_20scan_config_selectorIxEEZZNS1_9scan_implILNS1_25lookback_scan_determinismE0ELb1ELb1ES3_N6thrust23THRUST_200600_302600_NS6detail15normal_iteratorINS9_10device_ptrIxEEEESE_x11max_functorIxExEEDaPvRmT3_T4_T5_mT6_P12ihipStream_tbENKUlT_T0_E_clISt17integral_constantIbLb1EESU_EEDaSP_SQ_EUlSP_E_NS1_11comp_targetILNS1_3genE3ELNS1_11target_archE908ELNS1_3gpuE7ELNS1_3repE0EEENS1_30default_config_static_selectorELNS0_4arch9wavefront6targetE1EEEvT1_
	.globl	_ZN7rocprim17ROCPRIM_400000_NS6detail17trampoline_kernelINS0_14default_configENS1_20scan_config_selectorIxEEZZNS1_9scan_implILNS1_25lookback_scan_determinismE0ELb1ELb1ES3_N6thrust23THRUST_200600_302600_NS6detail15normal_iteratorINS9_10device_ptrIxEEEESE_x11max_functorIxExEEDaPvRmT3_T4_T5_mT6_P12ihipStream_tbENKUlT_T0_E_clISt17integral_constantIbLb1EESU_EEDaSP_SQ_EUlSP_E_NS1_11comp_targetILNS1_3genE3ELNS1_11target_archE908ELNS1_3gpuE7ELNS1_3repE0EEENS1_30default_config_static_selectorELNS0_4arch9wavefront6targetE1EEEvT1_
	.p2align	8
	.type	_ZN7rocprim17ROCPRIM_400000_NS6detail17trampoline_kernelINS0_14default_configENS1_20scan_config_selectorIxEEZZNS1_9scan_implILNS1_25lookback_scan_determinismE0ELb1ELb1ES3_N6thrust23THRUST_200600_302600_NS6detail15normal_iteratorINS9_10device_ptrIxEEEESE_x11max_functorIxExEEDaPvRmT3_T4_T5_mT6_P12ihipStream_tbENKUlT_T0_E_clISt17integral_constantIbLb1EESU_EEDaSP_SQ_EUlSP_E_NS1_11comp_targetILNS1_3genE3ELNS1_11target_archE908ELNS1_3gpuE7ELNS1_3repE0EEENS1_30default_config_static_selectorELNS0_4arch9wavefront6targetE1EEEvT1_,@function
_ZN7rocprim17ROCPRIM_400000_NS6detail17trampoline_kernelINS0_14default_configENS1_20scan_config_selectorIxEEZZNS1_9scan_implILNS1_25lookback_scan_determinismE0ELb1ELb1ES3_N6thrust23THRUST_200600_302600_NS6detail15normal_iteratorINS9_10device_ptrIxEEEESE_x11max_functorIxExEEDaPvRmT3_T4_T5_mT6_P12ihipStream_tbENKUlT_T0_E_clISt17integral_constantIbLb1EESU_EEDaSP_SQ_EUlSP_E_NS1_11comp_targetILNS1_3genE3ELNS1_11target_archE908ELNS1_3gpuE7ELNS1_3repE0EEENS1_30default_config_static_selectorELNS0_4arch9wavefront6targetE1EEEvT1_: ; @_ZN7rocprim17ROCPRIM_400000_NS6detail17trampoline_kernelINS0_14default_configENS1_20scan_config_selectorIxEEZZNS1_9scan_implILNS1_25lookback_scan_determinismE0ELb1ELb1ES3_N6thrust23THRUST_200600_302600_NS6detail15normal_iteratorINS9_10device_ptrIxEEEESE_x11max_functorIxExEEDaPvRmT3_T4_T5_mT6_P12ihipStream_tbENKUlT_T0_E_clISt17integral_constantIbLb1EESU_EEDaSP_SQ_EUlSP_E_NS1_11comp_targetILNS1_3genE3ELNS1_11target_archE908ELNS1_3gpuE7ELNS1_3repE0EEENS1_30default_config_static_selectorELNS0_4arch9wavefront6targetE1EEEvT1_
; %bb.0:
	.section	.rodata,"a",@progbits
	.p2align	6, 0x0
	.amdhsa_kernel _ZN7rocprim17ROCPRIM_400000_NS6detail17trampoline_kernelINS0_14default_configENS1_20scan_config_selectorIxEEZZNS1_9scan_implILNS1_25lookback_scan_determinismE0ELb1ELb1ES3_N6thrust23THRUST_200600_302600_NS6detail15normal_iteratorINS9_10device_ptrIxEEEESE_x11max_functorIxExEEDaPvRmT3_T4_T5_mT6_P12ihipStream_tbENKUlT_T0_E_clISt17integral_constantIbLb1EESU_EEDaSP_SQ_EUlSP_E_NS1_11comp_targetILNS1_3genE3ELNS1_11target_archE908ELNS1_3gpuE7ELNS1_3repE0EEENS1_30default_config_static_selectorELNS0_4arch9wavefront6targetE1EEEvT1_
		.amdhsa_group_segment_fixed_size 0
		.amdhsa_private_segment_fixed_size 0
		.amdhsa_kernarg_size 104
		.amdhsa_user_sgpr_count 6
		.amdhsa_user_sgpr_private_segment_buffer 1
		.amdhsa_user_sgpr_dispatch_ptr 0
		.amdhsa_user_sgpr_queue_ptr 0
		.amdhsa_user_sgpr_kernarg_segment_ptr 1
		.amdhsa_user_sgpr_dispatch_id 0
		.amdhsa_user_sgpr_flat_scratch_init 0
		.amdhsa_user_sgpr_kernarg_preload_length 0
		.amdhsa_user_sgpr_kernarg_preload_offset 0
		.amdhsa_user_sgpr_private_segment_size 0
		.amdhsa_uses_dynamic_stack 0
		.amdhsa_system_sgpr_private_segment_wavefront_offset 0
		.amdhsa_system_sgpr_workgroup_id_x 1
		.amdhsa_system_sgpr_workgroup_id_y 0
		.amdhsa_system_sgpr_workgroup_id_z 0
		.amdhsa_system_sgpr_workgroup_info 0
		.amdhsa_system_vgpr_workitem_id 0
		.amdhsa_next_free_vgpr 1
		.amdhsa_next_free_sgpr 0
		.amdhsa_accum_offset 4
		.amdhsa_reserve_vcc 0
		.amdhsa_reserve_flat_scratch 0
		.amdhsa_float_round_mode_32 0
		.amdhsa_float_round_mode_16_64 0
		.amdhsa_float_denorm_mode_32 3
		.amdhsa_float_denorm_mode_16_64 3
		.amdhsa_dx10_clamp 1
		.amdhsa_ieee_mode 1
		.amdhsa_fp16_overflow 0
		.amdhsa_tg_split 0
		.amdhsa_exception_fp_ieee_invalid_op 0
		.amdhsa_exception_fp_denorm_src 0
		.amdhsa_exception_fp_ieee_div_zero 0
		.amdhsa_exception_fp_ieee_overflow 0
		.amdhsa_exception_fp_ieee_underflow 0
		.amdhsa_exception_fp_ieee_inexact 0
		.amdhsa_exception_int_div_zero 0
	.end_amdhsa_kernel
	.section	.text._ZN7rocprim17ROCPRIM_400000_NS6detail17trampoline_kernelINS0_14default_configENS1_20scan_config_selectorIxEEZZNS1_9scan_implILNS1_25lookback_scan_determinismE0ELb1ELb1ES3_N6thrust23THRUST_200600_302600_NS6detail15normal_iteratorINS9_10device_ptrIxEEEESE_x11max_functorIxExEEDaPvRmT3_T4_T5_mT6_P12ihipStream_tbENKUlT_T0_E_clISt17integral_constantIbLb1EESU_EEDaSP_SQ_EUlSP_E_NS1_11comp_targetILNS1_3genE3ELNS1_11target_archE908ELNS1_3gpuE7ELNS1_3repE0EEENS1_30default_config_static_selectorELNS0_4arch9wavefront6targetE1EEEvT1_,"axG",@progbits,_ZN7rocprim17ROCPRIM_400000_NS6detail17trampoline_kernelINS0_14default_configENS1_20scan_config_selectorIxEEZZNS1_9scan_implILNS1_25lookback_scan_determinismE0ELb1ELb1ES3_N6thrust23THRUST_200600_302600_NS6detail15normal_iteratorINS9_10device_ptrIxEEEESE_x11max_functorIxExEEDaPvRmT3_T4_T5_mT6_P12ihipStream_tbENKUlT_T0_E_clISt17integral_constantIbLb1EESU_EEDaSP_SQ_EUlSP_E_NS1_11comp_targetILNS1_3genE3ELNS1_11target_archE908ELNS1_3gpuE7ELNS1_3repE0EEENS1_30default_config_static_selectorELNS0_4arch9wavefront6targetE1EEEvT1_,comdat
.Lfunc_end2651:
	.size	_ZN7rocprim17ROCPRIM_400000_NS6detail17trampoline_kernelINS0_14default_configENS1_20scan_config_selectorIxEEZZNS1_9scan_implILNS1_25lookback_scan_determinismE0ELb1ELb1ES3_N6thrust23THRUST_200600_302600_NS6detail15normal_iteratorINS9_10device_ptrIxEEEESE_x11max_functorIxExEEDaPvRmT3_T4_T5_mT6_P12ihipStream_tbENKUlT_T0_E_clISt17integral_constantIbLb1EESU_EEDaSP_SQ_EUlSP_E_NS1_11comp_targetILNS1_3genE3ELNS1_11target_archE908ELNS1_3gpuE7ELNS1_3repE0EEENS1_30default_config_static_selectorELNS0_4arch9wavefront6targetE1EEEvT1_, .Lfunc_end2651-_ZN7rocprim17ROCPRIM_400000_NS6detail17trampoline_kernelINS0_14default_configENS1_20scan_config_selectorIxEEZZNS1_9scan_implILNS1_25lookback_scan_determinismE0ELb1ELb1ES3_N6thrust23THRUST_200600_302600_NS6detail15normal_iteratorINS9_10device_ptrIxEEEESE_x11max_functorIxExEEDaPvRmT3_T4_T5_mT6_P12ihipStream_tbENKUlT_T0_E_clISt17integral_constantIbLb1EESU_EEDaSP_SQ_EUlSP_E_NS1_11comp_targetILNS1_3genE3ELNS1_11target_archE908ELNS1_3gpuE7ELNS1_3repE0EEENS1_30default_config_static_selectorELNS0_4arch9wavefront6targetE1EEEvT1_
                                        ; -- End function
	.section	.AMDGPU.csdata,"",@progbits
; Kernel info:
; codeLenInByte = 0
; NumSgprs: 4
; NumVgprs: 0
; NumAgprs: 0
; TotalNumVgprs: 0
; ScratchSize: 0
; MemoryBound: 0
; FloatMode: 240
; IeeeMode: 1
; LDSByteSize: 0 bytes/workgroup (compile time only)
; SGPRBlocks: 0
; VGPRBlocks: 0
; NumSGPRsForWavesPerEU: 4
; NumVGPRsForWavesPerEU: 1
; AccumOffset: 4
; Occupancy: 8
; WaveLimiterHint : 0
; COMPUTE_PGM_RSRC2:SCRATCH_EN: 0
; COMPUTE_PGM_RSRC2:USER_SGPR: 6
; COMPUTE_PGM_RSRC2:TRAP_HANDLER: 0
; COMPUTE_PGM_RSRC2:TGID_X_EN: 1
; COMPUTE_PGM_RSRC2:TGID_Y_EN: 0
; COMPUTE_PGM_RSRC2:TGID_Z_EN: 0
; COMPUTE_PGM_RSRC2:TIDIG_COMP_CNT: 0
; COMPUTE_PGM_RSRC3_GFX90A:ACCUM_OFFSET: 0
; COMPUTE_PGM_RSRC3_GFX90A:TG_SPLIT: 0
	.section	.text._ZN7rocprim17ROCPRIM_400000_NS6detail17trampoline_kernelINS0_14default_configENS1_20scan_config_selectorIxEEZZNS1_9scan_implILNS1_25lookback_scan_determinismE0ELb1ELb1ES3_N6thrust23THRUST_200600_302600_NS6detail15normal_iteratorINS9_10device_ptrIxEEEESE_x11max_functorIxExEEDaPvRmT3_T4_T5_mT6_P12ihipStream_tbENKUlT_T0_E_clISt17integral_constantIbLb1EESU_EEDaSP_SQ_EUlSP_E_NS1_11comp_targetILNS1_3genE2ELNS1_11target_archE906ELNS1_3gpuE6ELNS1_3repE0EEENS1_30default_config_static_selectorELNS0_4arch9wavefront6targetE1EEEvT1_,"axG",@progbits,_ZN7rocprim17ROCPRIM_400000_NS6detail17trampoline_kernelINS0_14default_configENS1_20scan_config_selectorIxEEZZNS1_9scan_implILNS1_25lookback_scan_determinismE0ELb1ELb1ES3_N6thrust23THRUST_200600_302600_NS6detail15normal_iteratorINS9_10device_ptrIxEEEESE_x11max_functorIxExEEDaPvRmT3_T4_T5_mT6_P12ihipStream_tbENKUlT_T0_E_clISt17integral_constantIbLb1EESU_EEDaSP_SQ_EUlSP_E_NS1_11comp_targetILNS1_3genE2ELNS1_11target_archE906ELNS1_3gpuE6ELNS1_3repE0EEENS1_30default_config_static_selectorELNS0_4arch9wavefront6targetE1EEEvT1_,comdat
	.protected	_ZN7rocprim17ROCPRIM_400000_NS6detail17trampoline_kernelINS0_14default_configENS1_20scan_config_selectorIxEEZZNS1_9scan_implILNS1_25lookback_scan_determinismE0ELb1ELb1ES3_N6thrust23THRUST_200600_302600_NS6detail15normal_iteratorINS9_10device_ptrIxEEEESE_x11max_functorIxExEEDaPvRmT3_T4_T5_mT6_P12ihipStream_tbENKUlT_T0_E_clISt17integral_constantIbLb1EESU_EEDaSP_SQ_EUlSP_E_NS1_11comp_targetILNS1_3genE2ELNS1_11target_archE906ELNS1_3gpuE6ELNS1_3repE0EEENS1_30default_config_static_selectorELNS0_4arch9wavefront6targetE1EEEvT1_ ; -- Begin function _ZN7rocprim17ROCPRIM_400000_NS6detail17trampoline_kernelINS0_14default_configENS1_20scan_config_selectorIxEEZZNS1_9scan_implILNS1_25lookback_scan_determinismE0ELb1ELb1ES3_N6thrust23THRUST_200600_302600_NS6detail15normal_iteratorINS9_10device_ptrIxEEEESE_x11max_functorIxExEEDaPvRmT3_T4_T5_mT6_P12ihipStream_tbENKUlT_T0_E_clISt17integral_constantIbLb1EESU_EEDaSP_SQ_EUlSP_E_NS1_11comp_targetILNS1_3genE2ELNS1_11target_archE906ELNS1_3gpuE6ELNS1_3repE0EEENS1_30default_config_static_selectorELNS0_4arch9wavefront6targetE1EEEvT1_
	.globl	_ZN7rocprim17ROCPRIM_400000_NS6detail17trampoline_kernelINS0_14default_configENS1_20scan_config_selectorIxEEZZNS1_9scan_implILNS1_25lookback_scan_determinismE0ELb1ELb1ES3_N6thrust23THRUST_200600_302600_NS6detail15normal_iteratorINS9_10device_ptrIxEEEESE_x11max_functorIxExEEDaPvRmT3_T4_T5_mT6_P12ihipStream_tbENKUlT_T0_E_clISt17integral_constantIbLb1EESU_EEDaSP_SQ_EUlSP_E_NS1_11comp_targetILNS1_3genE2ELNS1_11target_archE906ELNS1_3gpuE6ELNS1_3repE0EEENS1_30default_config_static_selectorELNS0_4arch9wavefront6targetE1EEEvT1_
	.p2align	8
	.type	_ZN7rocprim17ROCPRIM_400000_NS6detail17trampoline_kernelINS0_14default_configENS1_20scan_config_selectorIxEEZZNS1_9scan_implILNS1_25lookback_scan_determinismE0ELb1ELb1ES3_N6thrust23THRUST_200600_302600_NS6detail15normal_iteratorINS9_10device_ptrIxEEEESE_x11max_functorIxExEEDaPvRmT3_T4_T5_mT6_P12ihipStream_tbENKUlT_T0_E_clISt17integral_constantIbLb1EESU_EEDaSP_SQ_EUlSP_E_NS1_11comp_targetILNS1_3genE2ELNS1_11target_archE906ELNS1_3gpuE6ELNS1_3repE0EEENS1_30default_config_static_selectorELNS0_4arch9wavefront6targetE1EEEvT1_,@function
_ZN7rocprim17ROCPRIM_400000_NS6detail17trampoline_kernelINS0_14default_configENS1_20scan_config_selectorIxEEZZNS1_9scan_implILNS1_25lookback_scan_determinismE0ELb1ELb1ES3_N6thrust23THRUST_200600_302600_NS6detail15normal_iteratorINS9_10device_ptrIxEEEESE_x11max_functorIxExEEDaPvRmT3_T4_T5_mT6_P12ihipStream_tbENKUlT_T0_E_clISt17integral_constantIbLb1EESU_EEDaSP_SQ_EUlSP_E_NS1_11comp_targetILNS1_3genE2ELNS1_11target_archE906ELNS1_3gpuE6ELNS1_3repE0EEENS1_30default_config_static_selectorELNS0_4arch9wavefront6targetE1EEEvT1_: ; @_ZN7rocprim17ROCPRIM_400000_NS6detail17trampoline_kernelINS0_14default_configENS1_20scan_config_selectorIxEEZZNS1_9scan_implILNS1_25lookback_scan_determinismE0ELb1ELb1ES3_N6thrust23THRUST_200600_302600_NS6detail15normal_iteratorINS9_10device_ptrIxEEEESE_x11max_functorIxExEEDaPvRmT3_T4_T5_mT6_P12ihipStream_tbENKUlT_T0_E_clISt17integral_constantIbLb1EESU_EEDaSP_SQ_EUlSP_E_NS1_11comp_targetILNS1_3genE2ELNS1_11target_archE906ELNS1_3gpuE6ELNS1_3repE0EEENS1_30default_config_static_selectorELNS0_4arch9wavefront6targetE1EEEvT1_
; %bb.0:
	.section	.rodata,"a",@progbits
	.p2align	6, 0x0
	.amdhsa_kernel _ZN7rocprim17ROCPRIM_400000_NS6detail17trampoline_kernelINS0_14default_configENS1_20scan_config_selectorIxEEZZNS1_9scan_implILNS1_25lookback_scan_determinismE0ELb1ELb1ES3_N6thrust23THRUST_200600_302600_NS6detail15normal_iteratorINS9_10device_ptrIxEEEESE_x11max_functorIxExEEDaPvRmT3_T4_T5_mT6_P12ihipStream_tbENKUlT_T0_E_clISt17integral_constantIbLb1EESU_EEDaSP_SQ_EUlSP_E_NS1_11comp_targetILNS1_3genE2ELNS1_11target_archE906ELNS1_3gpuE6ELNS1_3repE0EEENS1_30default_config_static_selectorELNS0_4arch9wavefront6targetE1EEEvT1_
		.amdhsa_group_segment_fixed_size 0
		.amdhsa_private_segment_fixed_size 0
		.amdhsa_kernarg_size 104
		.amdhsa_user_sgpr_count 6
		.amdhsa_user_sgpr_private_segment_buffer 1
		.amdhsa_user_sgpr_dispatch_ptr 0
		.amdhsa_user_sgpr_queue_ptr 0
		.amdhsa_user_sgpr_kernarg_segment_ptr 1
		.amdhsa_user_sgpr_dispatch_id 0
		.amdhsa_user_sgpr_flat_scratch_init 0
		.amdhsa_user_sgpr_kernarg_preload_length 0
		.amdhsa_user_sgpr_kernarg_preload_offset 0
		.amdhsa_user_sgpr_private_segment_size 0
		.amdhsa_uses_dynamic_stack 0
		.amdhsa_system_sgpr_private_segment_wavefront_offset 0
		.amdhsa_system_sgpr_workgroup_id_x 1
		.amdhsa_system_sgpr_workgroup_id_y 0
		.amdhsa_system_sgpr_workgroup_id_z 0
		.amdhsa_system_sgpr_workgroup_info 0
		.amdhsa_system_vgpr_workitem_id 0
		.amdhsa_next_free_vgpr 1
		.amdhsa_next_free_sgpr 0
		.amdhsa_accum_offset 4
		.amdhsa_reserve_vcc 0
		.amdhsa_reserve_flat_scratch 0
		.amdhsa_float_round_mode_32 0
		.amdhsa_float_round_mode_16_64 0
		.amdhsa_float_denorm_mode_32 3
		.amdhsa_float_denorm_mode_16_64 3
		.amdhsa_dx10_clamp 1
		.amdhsa_ieee_mode 1
		.amdhsa_fp16_overflow 0
		.amdhsa_tg_split 0
		.amdhsa_exception_fp_ieee_invalid_op 0
		.amdhsa_exception_fp_denorm_src 0
		.amdhsa_exception_fp_ieee_div_zero 0
		.amdhsa_exception_fp_ieee_overflow 0
		.amdhsa_exception_fp_ieee_underflow 0
		.amdhsa_exception_fp_ieee_inexact 0
		.amdhsa_exception_int_div_zero 0
	.end_amdhsa_kernel
	.section	.text._ZN7rocprim17ROCPRIM_400000_NS6detail17trampoline_kernelINS0_14default_configENS1_20scan_config_selectorIxEEZZNS1_9scan_implILNS1_25lookback_scan_determinismE0ELb1ELb1ES3_N6thrust23THRUST_200600_302600_NS6detail15normal_iteratorINS9_10device_ptrIxEEEESE_x11max_functorIxExEEDaPvRmT3_T4_T5_mT6_P12ihipStream_tbENKUlT_T0_E_clISt17integral_constantIbLb1EESU_EEDaSP_SQ_EUlSP_E_NS1_11comp_targetILNS1_3genE2ELNS1_11target_archE906ELNS1_3gpuE6ELNS1_3repE0EEENS1_30default_config_static_selectorELNS0_4arch9wavefront6targetE1EEEvT1_,"axG",@progbits,_ZN7rocprim17ROCPRIM_400000_NS6detail17trampoline_kernelINS0_14default_configENS1_20scan_config_selectorIxEEZZNS1_9scan_implILNS1_25lookback_scan_determinismE0ELb1ELb1ES3_N6thrust23THRUST_200600_302600_NS6detail15normal_iteratorINS9_10device_ptrIxEEEESE_x11max_functorIxExEEDaPvRmT3_T4_T5_mT6_P12ihipStream_tbENKUlT_T0_E_clISt17integral_constantIbLb1EESU_EEDaSP_SQ_EUlSP_E_NS1_11comp_targetILNS1_3genE2ELNS1_11target_archE906ELNS1_3gpuE6ELNS1_3repE0EEENS1_30default_config_static_selectorELNS0_4arch9wavefront6targetE1EEEvT1_,comdat
.Lfunc_end2652:
	.size	_ZN7rocprim17ROCPRIM_400000_NS6detail17trampoline_kernelINS0_14default_configENS1_20scan_config_selectorIxEEZZNS1_9scan_implILNS1_25lookback_scan_determinismE0ELb1ELb1ES3_N6thrust23THRUST_200600_302600_NS6detail15normal_iteratorINS9_10device_ptrIxEEEESE_x11max_functorIxExEEDaPvRmT3_T4_T5_mT6_P12ihipStream_tbENKUlT_T0_E_clISt17integral_constantIbLb1EESU_EEDaSP_SQ_EUlSP_E_NS1_11comp_targetILNS1_3genE2ELNS1_11target_archE906ELNS1_3gpuE6ELNS1_3repE0EEENS1_30default_config_static_selectorELNS0_4arch9wavefront6targetE1EEEvT1_, .Lfunc_end2652-_ZN7rocprim17ROCPRIM_400000_NS6detail17trampoline_kernelINS0_14default_configENS1_20scan_config_selectorIxEEZZNS1_9scan_implILNS1_25lookback_scan_determinismE0ELb1ELb1ES3_N6thrust23THRUST_200600_302600_NS6detail15normal_iteratorINS9_10device_ptrIxEEEESE_x11max_functorIxExEEDaPvRmT3_T4_T5_mT6_P12ihipStream_tbENKUlT_T0_E_clISt17integral_constantIbLb1EESU_EEDaSP_SQ_EUlSP_E_NS1_11comp_targetILNS1_3genE2ELNS1_11target_archE906ELNS1_3gpuE6ELNS1_3repE0EEENS1_30default_config_static_selectorELNS0_4arch9wavefront6targetE1EEEvT1_
                                        ; -- End function
	.section	.AMDGPU.csdata,"",@progbits
; Kernel info:
; codeLenInByte = 0
; NumSgprs: 4
; NumVgprs: 0
; NumAgprs: 0
; TotalNumVgprs: 0
; ScratchSize: 0
; MemoryBound: 0
; FloatMode: 240
; IeeeMode: 1
; LDSByteSize: 0 bytes/workgroup (compile time only)
; SGPRBlocks: 0
; VGPRBlocks: 0
; NumSGPRsForWavesPerEU: 4
; NumVGPRsForWavesPerEU: 1
; AccumOffset: 4
; Occupancy: 8
; WaveLimiterHint : 0
; COMPUTE_PGM_RSRC2:SCRATCH_EN: 0
; COMPUTE_PGM_RSRC2:USER_SGPR: 6
; COMPUTE_PGM_RSRC2:TRAP_HANDLER: 0
; COMPUTE_PGM_RSRC2:TGID_X_EN: 1
; COMPUTE_PGM_RSRC2:TGID_Y_EN: 0
; COMPUTE_PGM_RSRC2:TGID_Z_EN: 0
; COMPUTE_PGM_RSRC2:TIDIG_COMP_CNT: 0
; COMPUTE_PGM_RSRC3_GFX90A:ACCUM_OFFSET: 0
; COMPUTE_PGM_RSRC3_GFX90A:TG_SPLIT: 0
	.section	.text._ZN7rocprim17ROCPRIM_400000_NS6detail17trampoline_kernelINS0_14default_configENS1_20scan_config_selectorIxEEZZNS1_9scan_implILNS1_25lookback_scan_determinismE0ELb1ELb1ES3_N6thrust23THRUST_200600_302600_NS6detail15normal_iteratorINS9_10device_ptrIxEEEESE_x11max_functorIxExEEDaPvRmT3_T4_T5_mT6_P12ihipStream_tbENKUlT_T0_E_clISt17integral_constantIbLb1EESU_EEDaSP_SQ_EUlSP_E_NS1_11comp_targetILNS1_3genE10ELNS1_11target_archE1201ELNS1_3gpuE5ELNS1_3repE0EEENS1_30default_config_static_selectorELNS0_4arch9wavefront6targetE1EEEvT1_,"axG",@progbits,_ZN7rocprim17ROCPRIM_400000_NS6detail17trampoline_kernelINS0_14default_configENS1_20scan_config_selectorIxEEZZNS1_9scan_implILNS1_25lookback_scan_determinismE0ELb1ELb1ES3_N6thrust23THRUST_200600_302600_NS6detail15normal_iteratorINS9_10device_ptrIxEEEESE_x11max_functorIxExEEDaPvRmT3_T4_T5_mT6_P12ihipStream_tbENKUlT_T0_E_clISt17integral_constantIbLb1EESU_EEDaSP_SQ_EUlSP_E_NS1_11comp_targetILNS1_3genE10ELNS1_11target_archE1201ELNS1_3gpuE5ELNS1_3repE0EEENS1_30default_config_static_selectorELNS0_4arch9wavefront6targetE1EEEvT1_,comdat
	.protected	_ZN7rocprim17ROCPRIM_400000_NS6detail17trampoline_kernelINS0_14default_configENS1_20scan_config_selectorIxEEZZNS1_9scan_implILNS1_25lookback_scan_determinismE0ELb1ELb1ES3_N6thrust23THRUST_200600_302600_NS6detail15normal_iteratorINS9_10device_ptrIxEEEESE_x11max_functorIxExEEDaPvRmT3_T4_T5_mT6_P12ihipStream_tbENKUlT_T0_E_clISt17integral_constantIbLb1EESU_EEDaSP_SQ_EUlSP_E_NS1_11comp_targetILNS1_3genE10ELNS1_11target_archE1201ELNS1_3gpuE5ELNS1_3repE0EEENS1_30default_config_static_selectorELNS0_4arch9wavefront6targetE1EEEvT1_ ; -- Begin function _ZN7rocprim17ROCPRIM_400000_NS6detail17trampoline_kernelINS0_14default_configENS1_20scan_config_selectorIxEEZZNS1_9scan_implILNS1_25lookback_scan_determinismE0ELb1ELb1ES3_N6thrust23THRUST_200600_302600_NS6detail15normal_iteratorINS9_10device_ptrIxEEEESE_x11max_functorIxExEEDaPvRmT3_T4_T5_mT6_P12ihipStream_tbENKUlT_T0_E_clISt17integral_constantIbLb1EESU_EEDaSP_SQ_EUlSP_E_NS1_11comp_targetILNS1_3genE10ELNS1_11target_archE1201ELNS1_3gpuE5ELNS1_3repE0EEENS1_30default_config_static_selectorELNS0_4arch9wavefront6targetE1EEEvT1_
	.globl	_ZN7rocprim17ROCPRIM_400000_NS6detail17trampoline_kernelINS0_14default_configENS1_20scan_config_selectorIxEEZZNS1_9scan_implILNS1_25lookback_scan_determinismE0ELb1ELb1ES3_N6thrust23THRUST_200600_302600_NS6detail15normal_iteratorINS9_10device_ptrIxEEEESE_x11max_functorIxExEEDaPvRmT3_T4_T5_mT6_P12ihipStream_tbENKUlT_T0_E_clISt17integral_constantIbLb1EESU_EEDaSP_SQ_EUlSP_E_NS1_11comp_targetILNS1_3genE10ELNS1_11target_archE1201ELNS1_3gpuE5ELNS1_3repE0EEENS1_30default_config_static_selectorELNS0_4arch9wavefront6targetE1EEEvT1_
	.p2align	8
	.type	_ZN7rocprim17ROCPRIM_400000_NS6detail17trampoline_kernelINS0_14default_configENS1_20scan_config_selectorIxEEZZNS1_9scan_implILNS1_25lookback_scan_determinismE0ELb1ELb1ES3_N6thrust23THRUST_200600_302600_NS6detail15normal_iteratorINS9_10device_ptrIxEEEESE_x11max_functorIxExEEDaPvRmT3_T4_T5_mT6_P12ihipStream_tbENKUlT_T0_E_clISt17integral_constantIbLb1EESU_EEDaSP_SQ_EUlSP_E_NS1_11comp_targetILNS1_3genE10ELNS1_11target_archE1201ELNS1_3gpuE5ELNS1_3repE0EEENS1_30default_config_static_selectorELNS0_4arch9wavefront6targetE1EEEvT1_,@function
_ZN7rocprim17ROCPRIM_400000_NS6detail17trampoline_kernelINS0_14default_configENS1_20scan_config_selectorIxEEZZNS1_9scan_implILNS1_25lookback_scan_determinismE0ELb1ELb1ES3_N6thrust23THRUST_200600_302600_NS6detail15normal_iteratorINS9_10device_ptrIxEEEESE_x11max_functorIxExEEDaPvRmT3_T4_T5_mT6_P12ihipStream_tbENKUlT_T0_E_clISt17integral_constantIbLb1EESU_EEDaSP_SQ_EUlSP_E_NS1_11comp_targetILNS1_3genE10ELNS1_11target_archE1201ELNS1_3gpuE5ELNS1_3repE0EEENS1_30default_config_static_selectorELNS0_4arch9wavefront6targetE1EEEvT1_: ; @_ZN7rocprim17ROCPRIM_400000_NS6detail17trampoline_kernelINS0_14default_configENS1_20scan_config_selectorIxEEZZNS1_9scan_implILNS1_25lookback_scan_determinismE0ELb1ELb1ES3_N6thrust23THRUST_200600_302600_NS6detail15normal_iteratorINS9_10device_ptrIxEEEESE_x11max_functorIxExEEDaPvRmT3_T4_T5_mT6_P12ihipStream_tbENKUlT_T0_E_clISt17integral_constantIbLb1EESU_EEDaSP_SQ_EUlSP_E_NS1_11comp_targetILNS1_3genE10ELNS1_11target_archE1201ELNS1_3gpuE5ELNS1_3repE0EEENS1_30default_config_static_selectorELNS0_4arch9wavefront6targetE1EEEvT1_
; %bb.0:
	.section	.rodata,"a",@progbits
	.p2align	6, 0x0
	.amdhsa_kernel _ZN7rocprim17ROCPRIM_400000_NS6detail17trampoline_kernelINS0_14default_configENS1_20scan_config_selectorIxEEZZNS1_9scan_implILNS1_25lookback_scan_determinismE0ELb1ELb1ES3_N6thrust23THRUST_200600_302600_NS6detail15normal_iteratorINS9_10device_ptrIxEEEESE_x11max_functorIxExEEDaPvRmT3_T4_T5_mT6_P12ihipStream_tbENKUlT_T0_E_clISt17integral_constantIbLb1EESU_EEDaSP_SQ_EUlSP_E_NS1_11comp_targetILNS1_3genE10ELNS1_11target_archE1201ELNS1_3gpuE5ELNS1_3repE0EEENS1_30default_config_static_selectorELNS0_4arch9wavefront6targetE1EEEvT1_
		.amdhsa_group_segment_fixed_size 0
		.amdhsa_private_segment_fixed_size 0
		.amdhsa_kernarg_size 104
		.amdhsa_user_sgpr_count 6
		.amdhsa_user_sgpr_private_segment_buffer 1
		.amdhsa_user_sgpr_dispatch_ptr 0
		.amdhsa_user_sgpr_queue_ptr 0
		.amdhsa_user_sgpr_kernarg_segment_ptr 1
		.amdhsa_user_sgpr_dispatch_id 0
		.amdhsa_user_sgpr_flat_scratch_init 0
		.amdhsa_user_sgpr_kernarg_preload_length 0
		.amdhsa_user_sgpr_kernarg_preload_offset 0
		.amdhsa_user_sgpr_private_segment_size 0
		.amdhsa_uses_dynamic_stack 0
		.amdhsa_system_sgpr_private_segment_wavefront_offset 0
		.amdhsa_system_sgpr_workgroup_id_x 1
		.amdhsa_system_sgpr_workgroup_id_y 0
		.amdhsa_system_sgpr_workgroup_id_z 0
		.amdhsa_system_sgpr_workgroup_info 0
		.amdhsa_system_vgpr_workitem_id 0
		.amdhsa_next_free_vgpr 1
		.amdhsa_next_free_sgpr 0
		.amdhsa_accum_offset 4
		.amdhsa_reserve_vcc 0
		.amdhsa_reserve_flat_scratch 0
		.amdhsa_float_round_mode_32 0
		.amdhsa_float_round_mode_16_64 0
		.amdhsa_float_denorm_mode_32 3
		.amdhsa_float_denorm_mode_16_64 3
		.amdhsa_dx10_clamp 1
		.amdhsa_ieee_mode 1
		.amdhsa_fp16_overflow 0
		.amdhsa_tg_split 0
		.amdhsa_exception_fp_ieee_invalid_op 0
		.amdhsa_exception_fp_denorm_src 0
		.amdhsa_exception_fp_ieee_div_zero 0
		.amdhsa_exception_fp_ieee_overflow 0
		.amdhsa_exception_fp_ieee_underflow 0
		.amdhsa_exception_fp_ieee_inexact 0
		.amdhsa_exception_int_div_zero 0
	.end_amdhsa_kernel
	.section	.text._ZN7rocprim17ROCPRIM_400000_NS6detail17trampoline_kernelINS0_14default_configENS1_20scan_config_selectorIxEEZZNS1_9scan_implILNS1_25lookback_scan_determinismE0ELb1ELb1ES3_N6thrust23THRUST_200600_302600_NS6detail15normal_iteratorINS9_10device_ptrIxEEEESE_x11max_functorIxExEEDaPvRmT3_T4_T5_mT6_P12ihipStream_tbENKUlT_T0_E_clISt17integral_constantIbLb1EESU_EEDaSP_SQ_EUlSP_E_NS1_11comp_targetILNS1_3genE10ELNS1_11target_archE1201ELNS1_3gpuE5ELNS1_3repE0EEENS1_30default_config_static_selectorELNS0_4arch9wavefront6targetE1EEEvT1_,"axG",@progbits,_ZN7rocprim17ROCPRIM_400000_NS6detail17trampoline_kernelINS0_14default_configENS1_20scan_config_selectorIxEEZZNS1_9scan_implILNS1_25lookback_scan_determinismE0ELb1ELb1ES3_N6thrust23THRUST_200600_302600_NS6detail15normal_iteratorINS9_10device_ptrIxEEEESE_x11max_functorIxExEEDaPvRmT3_T4_T5_mT6_P12ihipStream_tbENKUlT_T0_E_clISt17integral_constantIbLb1EESU_EEDaSP_SQ_EUlSP_E_NS1_11comp_targetILNS1_3genE10ELNS1_11target_archE1201ELNS1_3gpuE5ELNS1_3repE0EEENS1_30default_config_static_selectorELNS0_4arch9wavefront6targetE1EEEvT1_,comdat
.Lfunc_end2653:
	.size	_ZN7rocprim17ROCPRIM_400000_NS6detail17trampoline_kernelINS0_14default_configENS1_20scan_config_selectorIxEEZZNS1_9scan_implILNS1_25lookback_scan_determinismE0ELb1ELb1ES3_N6thrust23THRUST_200600_302600_NS6detail15normal_iteratorINS9_10device_ptrIxEEEESE_x11max_functorIxExEEDaPvRmT3_T4_T5_mT6_P12ihipStream_tbENKUlT_T0_E_clISt17integral_constantIbLb1EESU_EEDaSP_SQ_EUlSP_E_NS1_11comp_targetILNS1_3genE10ELNS1_11target_archE1201ELNS1_3gpuE5ELNS1_3repE0EEENS1_30default_config_static_selectorELNS0_4arch9wavefront6targetE1EEEvT1_, .Lfunc_end2653-_ZN7rocprim17ROCPRIM_400000_NS6detail17trampoline_kernelINS0_14default_configENS1_20scan_config_selectorIxEEZZNS1_9scan_implILNS1_25lookback_scan_determinismE0ELb1ELb1ES3_N6thrust23THRUST_200600_302600_NS6detail15normal_iteratorINS9_10device_ptrIxEEEESE_x11max_functorIxExEEDaPvRmT3_T4_T5_mT6_P12ihipStream_tbENKUlT_T0_E_clISt17integral_constantIbLb1EESU_EEDaSP_SQ_EUlSP_E_NS1_11comp_targetILNS1_3genE10ELNS1_11target_archE1201ELNS1_3gpuE5ELNS1_3repE0EEENS1_30default_config_static_selectorELNS0_4arch9wavefront6targetE1EEEvT1_
                                        ; -- End function
	.section	.AMDGPU.csdata,"",@progbits
; Kernel info:
; codeLenInByte = 0
; NumSgprs: 4
; NumVgprs: 0
; NumAgprs: 0
; TotalNumVgprs: 0
; ScratchSize: 0
; MemoryBound: 0
; FloatMode: 240
; IeeeMode: 1
; LDSByteSize: 0 bytes/workgroup (compile time only)
; SGPRBlocks: 0
; VGPRBlocks: 0
; NumSGPRsForWavesPerEU: 4
; NumVGPRsForWavesPerEU: 1
; AccumOffset: 4
; Occupancy: 8
; WaveLimiterHint : 0
; COMPUTE_PGM_RSRC2:SCRATCH_EN: 0
; COMPUTE_PGM_RSRC2:USER_SGPR: 6
; COMPUTE_PGM_RSRC2:TRAP_HANDLER: 0
; COMPUTE_PGM_RSRC2:TGID_X_EN: 1
; COMPUTE_PGM_RSRC2:TGID_Y_EN: 0
; COMPUTE_PGM_RSRC2:TGID_Z_EN: 0
; COMPUTE_PGM_RSRC2:TIDIG_COMP_CNT: 0
; COMPUTE_PGM_RSRC3_GFX90A:ACCUM_OFFSET: 0
; COMPUTE_PGM_RSRC3_GFX90A:TG_SPLIT: 0
	.section	.text._ZN7rocprim17ROCPRIM_400000_NS6detail17trampoline_kernelINS0_14default_configENS1_20scan_config_selectorIxEEZZNS1_9scan_implILNS1_25lookback_scan_determinismE0ELb1ELb1ES3_N6thrust23THRUST_200600_302600_NS6detail15normal_iteratorINS9_10device_ptrIxEEEESE_x11max_functorIxExEEDaPvRmT3_T4_T5_mT6_P12ihipStream_tbENKUlT_T0_E_clISt17integral_constantIbLb1EESU_EEDaSP_SQ_EUlSP_E_NS1_11comp_targetILNS1_3genE10ELNS1_11target_archE1200ELNS1_3gpuE4ELNS1_3repE0EEENS1_30default_config_static_selectorELNS0_4arch9wavefront6targetE1EEEvT1_,"axG",@progbits,_ZN7rocprim17ROCPRIM_400000_NS6detail17trampoline_kernelINS0_14default_configENS1_20scan_config_selectorIxEEZZNS1_9scan_implILNS1_25lookback_scan_determinismE0ELb1ELb1ES3_N6thrust23THRUST_200600_302600_NS6detail15normal_iteratorINS9_10device_ptrIxEEEESE_x11max_functorIxExEEDaPvRmT3_T4_T5_mT6_P12ihipStream_tbENKUlT_T0_E_clISt17integral_constantIbLb1EESU_EEDaSP_SQ_EUlSP_E_NS1_11comp_targetILNS1_3genE10ELNS1_11target_archE1200ELNS1_3gpuE4ELNS1_3repE0EEENS1_30default_config_static_selectorELNS0_4arch9wavefront6targetE1EEEvT1_,comdat
	.protected	_ZN7rocprim17ROCPRIM_400000_NS6detail17trampoline_kernelINS0_14default_configENS1_20scan_config_selectorIxEEZZNS1_9scan_implILNS1_25lookback_scan_determinismE0ELb1ELb1ES3_N6thrust23THRUST_200600_302600_NS6detail15normal_iteratorINS9_10device_ptrIxEEEESE_x11max_functorIxExEEDaPvRmT3_T4_T5_mT6_P12ihipStream_tbENKUlT_T0_E_clISt17integral_constantIbLb1EESU_EEDaSP_SQ_EUlSP_E_NS1_11comp_targetILNS1_3genE10ELNS1_11target_archE1200ELNS1_3gpuE4ELNS1_3repE0EEENS1_30default_config_static_selectorELNS0_4arch9wavefront6targetE1EEEvT1_ ; -- Begin function _ZN7rocprim17ROCPRIM_400000_NS6detail17trampoline_kernelINS0_14default_configENS1_20scan_config_selectorIxEEZZNS1_9scan_implILNS1_25lookback_scan_determinismE0ELb1ELb1ES3_N6thrust23THRUST_200600_302600_NS6detail15normal_iteratorINS9_10device_ptrIxEEEESE_x11max_functorIxExEEDaPvRmT3_T4_T5_mT6_P12ihipStream_tbENKUlT_T0_E_clISt17integral_constantIbLb1EESU_EEDaSP_SQ_EUlSP_E_NS1_11comp_targetILNS1_3genE10ELNS1_11target_archE1200ELNS1_3gpuE4ELNS1_3repE0EEENS1_30default_config_static_selectorELNS0_4arch9wavefront6targetE1EEEvT1_
	.globl	_ZN7rocprim17ROCPRIM_400000_NS6detail17trampoline_kernelINS0_14default_configENS1_20scan_config_selectorIxEEZZNS1_9scan_implILNS1_25lookback_scan_determinismE0ELb1ELb1ES3_N6thrust23THRUST_200600_302600_NS6detail15normal_iteratorINS9_10device_ptrIxEEEESE_x11max_functorIxExEEDaPvRmT3_T4_T5_mT6_P12ihipStream_tbENKUlT_T0_E_clISt17integral_constantIbLb1EESU_EEDaSP_SQ_EUlSP_E_NS1_11comp_targetILNS1_3genE10ELNS1_11target_archE1200ELNS1_3gpuE4ELNS1_3repE0EEENS1_30default_config_static_selectorELNS0_4arch9wavefront6targetE1EEEvT1_
	.p2align	8
	.type	_ZN7rocprim17ROCPRIM_400000_NS6detail17trampoline_kernelINS0_14default_configENS1_20scan_config_selectorIxEEZZNS1_9scan_implILNS1_25lookback_scan_determinismE0ELb1ELb1ES3_N6thrust23THRUST_200600_302600_NS6detail15normal_iteratorINS9_10device_ptrIxEEEESE_x11max_functorIxExEEDaPvRmT3_T4_T5_mT6_P12ihipStream_tbENKUlT_T0_E_clISt17integral_constantIbLb1EESU_EEDaSP_SQ_EUlSP_E_NS1_11comp_targetILNS1_3genE10ELNS1_11target_archE1200ELNS1_3gpuE4ELNS1_3repE0EEENS1_30default_config_static_selectorELNS0_4arch9wavefront6targetE1EEEvT1_,@function
_ZN7rocprim17ROCPRIM_400000_NS6detail17trampoline_kernelINS0_14default_configENS1_20scan_config_selectorIxEEZZNS1_9scan_implILNS1_25lookback_scan_determinismE0ELb1ELb1ES3_N6thrust23THRUST_200600_302600_NS6detail15normal_iteratorINS9_10device_ptrIxEEEESE_x11max_functorIxExEEDaPvRmT3_T4_T5_mT6_P12ihipStream_tbENKUlT_T0_E_clISt17integral_constantIbLb1EESU_EEDaSP_SQ_EUlSP_E_NS1_11comp_targetILNS1_3genE10ELNS1_11target_archE1200ELNS1_3gpuE4ELNS1_3repE0EEENS1_30default_config_static_selectorELNS0_4arch9wavefront6targetE1EEEvT1_: ; @_ZN7rocprim17ROCPRIM_400000_NS6detail17trampoline_kernelINS0_14default_configENS1_20scan_config_selectorIxEEZZNS1_9scan_implILNS1_25lookback_scan_determinismE0ELb1ELb1ES3_N6thrust23THRUST_200600_302600_NS6detail15normal_iteratorINS9_10device_ptrIxEEEESE_x11max_functorIxExEEDaPvRmT3_T4_T5_mT6_P12ihipStream_tbENKUlT_T0_E_clISt17integral_constantIbLb1EESU_EEDaSP_SQ_EUlSP_E_NS1_11comp_targetILNS1_3genE10ELNS1_11target_archE1200ELNS1_3gpuE4ELNS1_3repE0EEENS1_30default_config_static_selectorELNS0_4arch9wavefront6targetE1EEEvT1_
; %bb.0:
	.section	.rodata,"a",@progbits
	.p2align	6, 0x0
	.amdhsa_kernel _ZN7rocprim17ROCPRIM_400000_NS6detail17trampoline_kernelINS0_14default_configENS1_20scan_config_selectorIxEEZZNS1_9scan_implILNS1_25lookback_scan_determinismE0ELb1ELb1ES3_N6thrust23THRUST_200600_302600_NS6detail15normal_iteratorINS9_10device_ptrIxEEEESE_x11max_functorIxExEEDaPvRmT3_T4_T5_mT6_P12ihipStream_tbENKUlT_T0_E_clISt17integral_constantIbLb1EESU_EEDaSP_SQ_EUlSP_E_NS1_11comp_targetILNS1_3genE10ELNS1_11target_archE1200ELNS1_3gpuE4ELNS1_3repE0EEENS1_30default_config_static_selectorELNS0_4arch9wavefront6targetE1EEEvT1_
		.amdhsa_group_segment_fixed_size 0
		.amdhsa_private_segment_fixed_size 0
		.amdhsa_kernarg_size 104
		.amdhsa_user_sgpr_count 6
		.amdhsa_user_sgpr_private_segment_buffer 1
		.amdhsa_user_sgpr_dispatch_ptr 0
		.amdhsa_user_sgpr_queue_ptr 0
		.amdhsa_user_sgpr_kernarg_segment_ptr 1
		.amdhsa_user_sgpr_dispatch_id 0
		.amdhsa_user_sgpr_flat_scratch_init 0
		.amdhsa_user_sgpr_kernarg_preload_length 0
		.amdhsa_user_sgpr_kernarg_preload_offset 0
		.amdhsa_user_sgpr_private_segment_size 0
		.amdhsa_uses_dynamic_stack 0
		.amdhsa_system_sgpr_private_segment_wavefront_offset 0
		.amdhsa_system_sgpr_workgroup_id_x 1
		.amdhsa_system_sgpr_workgroup_id_y 0
		.amdhsa_system_sgpr_workgroup_id_z 0
		.amdhsa_system_sgpr_workgroup_info 0
		.amdhsa_system_vgpr_workitem_id 0
		.amdhsa_next_free_vgpr 1
		.amdhsa_next_free_sgpr 0
		.amdhsa_accum_offset 4
		.amdhsa_reserve_vcc 0
		.amdhsa_reserve_flat_scratch 0
		.amdhsa_float_round_mode_32 0
		.amdhsa_float_round_mode_16_64 0
		.amdhsa_float_denorm_mode_32 3
		.amdhsa_float_denorm_mode_16_64 3
		.amdhsa_dx10_clamp 1
		.amdhsa_ieee_mode 1
		.amdhsa_fp16_overflow 0
		.amdhsa_tg_split 0
		.amdhsa_exception_fp_ieee_invalid_op 0
		.amdhsa_exception_fp_denorm_src 0
		.amdhsa_exception_fp_ieee_div_zero 0
		.amdhsa_exception_fp_ieee_overflow 0
		.amdhsa_exception_fp_ieee_underflow 0
		.amdhsa_exception_fp_ieee_inexact 0
		.amdhsa_exception_int_div_zero 0
	.end_amdhsa_kernel
	.section	.text._ZN7rocprim17ROCPRIM_400000_NS6detail17trampoline_kernelINS0_14default_configENS1_20scan_config_selectorIxEEZZNS1_9scan_implILNS1_25lookback_scan_determinismE0ELb1ELb1ES3_N6thrust23THRUST_200600_302600_NS6detail15normal_iteratorINS9_10device_ptrIxEEEESE_x11max_functorIxExEEDaPvRmT3_T4_T5_mT6_P12ihipStream_tbENKUlT_T0_E_clISt17integral_constantIbLb1EESU_EEDaSP_SQ_EUlSP_E_NS1_11comp_targetILNS1_3genE10ELNS1_11target_archE1200ELNS1_3gpuE4ELNS1_3repE0EEENS1_30default_config_static_selectorELNS0_4arch9wavefront6targetE1EEEvT1_,"axG",@progbits,_ZN7rocprim17ROCPRIM_400000_NS6detail17trampoline_kernelINS0_14default_configENS1_20scan_config_selectorIxEEZZNS1_9scan_implILNS1_25lookback_scan_determinismE0ELb1ELb1ES3_N6thrust23THRUST_200600_302600_NS6detail15normal_iteratorINS9_10device_ptrIxEEEESE_x11max_functorIxExEEDaPvRmT3_T4_T5_mT6_P12ihipStream_tbENKUlT_T0_E_clISt17integral_constantIbLb1EESU_EEDaSP_SQ_EUlSP_E_NS1_11comp_targetILNS1_3genE10ELNS1_11target_archE1200ELNS1_3gpuE4ELNS1_3repE0EEENS1_30default_config_static_selectorELNS0_4arch9wavefront6targetE1EEEvT1_,comdat
.Lfunc_end2654:
	.size	_ZN7rocprim17ROCPRIM_400000_NS6detail17trampoline_kernelINS0_14default_configENS1_20scan_config_selectorIxEEZZNS1_9scan_implILNS1_25lookback_scan_determinismE0ELb1ELb1ES3_N6thrust23THRUST_200600_302600_NS6detail15normal_iteratorINS9_10device_ptrIxEEEESE_x11max_functorIxExEEDaPvRmT3_T4_T5_mT6_P12ihipStream_tbENKUlT_T0_E_clISt17integral_constantIbLb1EESU_EEDaSP_SQ_EUlSP_E_NS1_11comp_targetILNS1_3genE10ELNS1_11target_archE1200ELNS1_3gpuE4ELNS1_3repE0EEENS1_30default_config_static_selectorELNS0_4arch9wavefront6targetE1EEEvT1_, .Lfunc_end2654-_ZN7rocprim17ROCPRIM_400000_NS6detail17trampoline_kernelINS0_14default_configENS1_20scan_config_selectorIxEEZZNS1_9scan_implILNS1_25lookback_scan_determinismE0ELb1ELb1ES3_N6thrust23THRUST_200600_302600_NS6detail15normal_iteratorINS9_10device_ptrIxEEEESE_x11max_functorIxExEEDaPvRmT3_T4_T5_mT6_P12ihipStream_tbENKUlT_T0_E_clISt17integral_constantIbLb1EESU_EEDaSP_SQ_EUlSP_E_NS1_11comp_targetILNS1_3genE10ELNS1_11target_archE1200ELNS1_3gpuE4ELNS1_3repE0EEENS1_30default_config_static_selectorELNS0_4arch9wavefront6targetE1EEEvT1_
                                        ; -- End function
	.section	.AMDGPU.csdata,"",@progbits
; Kernel info:
; codeLenInByte = 0
; NumSgprs: 4
; NumVgprs: 0
; NumAgprs: 0
; TotalNumVgprs: 0
; ScratchSize: 0
; MemoryBound: 0
; FloatMode: 240
; IeeeMode: 1
; LDSByteSize: 0 bytes/workgroup (compile time only)
; SGPRBlocks: 0
; VGPRBlocks: 0
; NumSGPRsForWavesPerEU: 4
; NumVGPRsForWavesPerEU: 1
; AccumOffset: 4
; Occupancy: 8
; WaveLimiterHint : 0
; COMPUTE_PGM_RSRC2:SCRATCH_EN: 0
; COMPUTE_PGM_RSRC2:USER_SGPR: 6
; COMPUTE_PGM_RSRC2:TRAP_HANDLER: 0
; COMPUTE_PGM_RSRC2:TGID_X_EN: 1
; COMPUTE_PGM_RSRC2:TGID_Y_EN: 0
; COMPUTE_PGM_RSRC2:TGID_Z_EN: 0
; COMPUTE_PGM_RSRC2:TIDIG_COMP_CNT: 0
; COMPUTE_PGM_RSRC3_GFX90A:ACCUM_OFFSET: 0
; COMPUTE_PGM_RSRC3_GFX90A:TG_SPLIT: 0
	.section	.text._ZN7rocprim17ROCPRIM_400000_NS6detail17trampoline_kernelINS0_14default_configENS1_20scan_config_selectorIxEEZZNS1_9scan_implILNS1_25lookback_scan_determinismE0ELb1ELb1ES3_N6thrust23THRUST_200600_302600_NS6detail15normal_iteratorINS9_10device_ptrIxEEEESE_x11max_functorIxExEEDaPvRmT3_T4_T5_mT6_P12ihipStream_tbENKUlT_T0_E_clISt17integral_constantIbLb1EESU_EEDaSP_SQ_EUlSP_E_NS1_11comp_targetILNS1_3genE9ELNS1_11target_archE1100ELNS1_3gpuE3ELNS1_3repE0EEENS1_30default_config_static_selectorELNS0_4arch9wavefront6targetE1EEEvT1_,"axG",@progbits,_ZN7rocprim17ROCPRIM_400000_NS6detail17trampoline_kernelINS0_14default_configENS1_20scan_config_selectorIxEEZZNS1_9scan_implILNS1_25lookback_scan_determinismE0ELb1ELb1ES3_N6thrust23THRUST_200600_302600_NS6detail15normal_iteratorINS9_10device_ptrIxEEEESE_x11max_functorIxExEEDaPvRmT3_T4_T5_mT6_P12ihipStream_tbENKUlT_T0_E_clISt17integral_constantIbLb1EESU_EEDaSP_SQ_EUlSP_E_NS1_11comp_targetILNS1_3genE9ELNS1_11target_archE1100ELNS1_3gpuE3ELNS1_3repE0EEENS1_30default_config_static_selectorELNS0_4arch9wavefront6targetE1EEEvT1_,comdat
	.protected	_ZN7rocprim17ROCPRIM_400000_NS6detail17trampoline_kernelINS0_14default_configENS1_20scan_config_selectorIxEEZZNS1_9scan_implILNS1_25lookback_scan_determinismE0ELb1ELb1ES3_N6thrust23THRUST_200600_302600_NS6detail15normal_iteratorINS9_10device_ptrIxEEEESE_x11max_functorIxExEEDaPvRmT3_T4_T5_mT6_P12ihipStream_tbENKUlT_T0_E_clISt17integral_constantIbLb1EESU_EEDaSP_SQ_EUlSP_E_NS1_11comp_targetILNS1_3genE9ELNS1_11target_archE1100ELNS1_3gpuE3ELNS1_3repE0EEENS1_30default_config_static_selectorELNS0_4arch9wavefront6targetE1EEEvT1_ ; -- Begin function _ZN7rocprim17ROCPRIM_400000_NS6detail17trampoline_kernelINS0_14default_configENS1_20scan_config_selectorIxEEZZNS1_9scan_implILNS1_25lookback_scan_determinismE0ELb1ELb1ES3_N6thrust23THRUST_200600_302600_NS6detail15normal_iteratorINS9_10device_ptrIxEEEESE_x11max_functorIxExEEDaPvRmT3_T4_T5_mT6_P12ihipStream_tbENKUlT_T0_E_clISt17integral_constantIbLb1EESU_EEDaSP_SQ_EUlSP_E_NS1_11comp_targetILNS1_3genE9ELNS1_11target_archE1100ELNS1_3gpuE3ELNS1_3repE0EEENS1_30default_config_static_selectorELNS0_4arch9wavefront6targetE1EEEvT1_
	.globl	_ZN7rocprim17ROCPRIM_400000_NS6detail17trampoline_kernelINS0_14default_configENS1_20scan_config_selectorIxEEZZNS1_9scan_implILNS1_25lookback_scan_determinismE0ELb1ELb1ES3_N6thrust23THRUST_200600_302600_NS6detail15normal_iteratorINS9_10device_ptrIxEEEESE_x11max_functorIxExEEDaPvRmT3_T4_T5_mT6_P12ihipStream_tbENKUlT_T0_E_clISt17integral_constantIbLb1EESU_EEDaSP_SQ_EUlSP_E_NS1_11comp_targetILNS1_3genE9ELNS1_11target_archE1100ELNS1_3gpuE3ELNS1_3repE0EEENS1_30default_config_static_selectorELNS0_4arch9wavefront6targetE1EEEvT1_
	.p2align	8
	.type	_ZN7rocprim17ROCPRIM_400000_NS6detail17trampoline_kernelINS0_14default_configENS1_20scan_config_selectorIxEEZZNS1_9scan_implILNS1_25lookback_scan_determinismE0ELb1ELb1ES3_N6thrust23THRUST_200600_302600_NS6detail15normal_iteratorINS9_10device_ptrIxEEEESE_x11max_functorIxExEEDaPvRmT3_T4_T5_mT6_P12ihipStream_tbENKUlT_T0_E_clISt17integral_constantIbLb1EESU_EEDaSP_SQ_EUlSP_E_NS1_11comp_targetILNS1_3genE9ELNS1_11target_archE1100ELNS1_3gpuE3ELNS1_3repE0EEENS1_30default_config_static_selectorELNS0_4arch9wavefront6targetE1EEEvT1_,@function
_ZN7rocprim17ROCPRIM_400000_NS6detail17trampoline_kernelINS0_14default_configENS1_20scan_config_selectorIxEEZZNS1_9scan_implILNS1_25lookback_scan_determinismE0ELb1ELb1ES3_N6thrust23THRUST_200600_302600_NS6detail15normal_iteratorINS9_10device_ptrIxEEEESE_x11max_functorIxExEEDaPvRmT3_T4_T5_mT6_P12ihipStream_tbENKUlT_T0_E_clISt17integral_constantIbLb1EESU_EEDaSP_SQ_EUlSP_E_NS1_11comp_targetILNS1_3genE9ELNS1_11target_archE1100ELNS1_3gpuE3ELNS1_3repE0EEENS1_30default_config_static_selectorELNS0_4arch9wavefront6targetE1EEEvT1_: ; @_ZN7rocprim17ROCPRIM_400000_NS6detail17trampoline_kernelINS0_14default_configENS1_20scan_config_selectorIxEEZZNS1_9scan_implILNS1_25lookback_scan_determinismE0ELb1ELb1ES3_N6thrust23THRUST_200600_302600_NS6detail15normal_iteratorINS9_10device_ptrIxEEEESE_x11max_functorIxExEEDaPvRmT3_T4_T5_mT6_P12ihipStream_tbENKUlT_T0_E_clISt17integral_constantIbLb1EESU_EEDaSP_SQ_EUlSP_E_NS1_11comp_targetILNS1_3genE9ELNS1_11target_archE1100ELNS1_3gpuE3ELNS1_3repE0EEENS1_30default_config_static_selectorELNS0_4arch9wavefront6targetE1EEEvT1_
; %bb.0:
	.section	.rodata,"a",@progbits
	.p2align	6, 0x0
	.amdhsa_kernel _ZN7rocprim17ROCPRIM_400000_NS6detail17trampoline_kernelINS0_14default_configENS1_20scan_config_selectorIxEEZZNS1_9scan_implILNS1_25lookback_scan_determinismE0ELb1ELb1ES3_N6thrust23THRUST_200600_302600_NS6detail15normal_iteratorINS9_10device_ptrIxEEEESE_x11max_functorIxExEEDaPvRmT3_T4_T5_mT6_P12ihipStream_tbENKUlT_T0_E_clISt17integral_constantIbLb1EESU_EEDaSP_SQ_EUlSP_E_NS1_11comp_targetILNS1_3genE9ELNS1_11target_archE1100ELNS1_3gpuE3ELNS1_3repE0EEENS1_30default_config_static_selectorELNS0_4arch9wavefront6targetE1EEEvT1_
		.amdhsa_group_segment_fixed_size 0
		.amdhsa_private_segment_fixed_size 0
		.amdhsa_kernarg_size 104
		.amdhsa_user_sgpr_count 6
		.amdhsa_user_sgpr_private_segment_buffer 1
		.amdhsa_user_sgpr_dispatch_ptr 0
		.amdhsa_user_sgpr_queue_ptr 0
		.amdhsa_user_sgpr_kernarg_segment_ptr 1
		.amdhsa_user_sgpr_dispatch_id 0
		.amdhsa_user_sgpr_flat_scratch_init 0
		.amdhsa_user_sgpr_kernarg_preload_length 0
		.amdhsa_user_sgpr_kernarg_preload_offset 0
		.amdhsa_user_sgpr_private_segment_size 0
		.amdhsa_uses_dynamic_stack 0
		.amdhsa_system_sgpr_private_segment_wavefront_offset 0
		.amdhsa_system_sgpr_workgroup_id_x 1
		.amdhsa_system_sgpr_workgroup_id_y 0
		.amdhsa_system_sgpr_workgroup_id_z 0
		.amdhsa_system_sgpr_workgroup_info 0
		.amdhsa_system_vgpr_workitem_id 0
		.amdhsa_next_free_vgpr 1
		.amdhsa_next_free_sgpr 0
		.amdhsa_accum_offset 4
		.amdhsa_reserve_vcc 0
		.amdhsa_reserve_flat_scratch 0
		.amdhsa_float_round_mode_32 0
		.amdhsa_float_round_mode_16_64 0
		.amdhsa_float_denorm_mode_32 3
		.amdhsa_float_denorm_mode_16_64 3
		.amdhsa_dx10_clamp 1
		.amdhsa_ieee_mode 1
		.amdhsa_fp16_overflow 0
		.amdhsa_tg_split 0
		.amdhsa_exception_fp_ieee_invalid_op 0
		.amdhsa_exception_fp_denorm_src 0
		.amdhsa_exception_fp_ieee_div_zero 0
		.amdhsa_exception_fp_ieee_overflow 0
		.amdhsa_exception_fp_ieee_underflow 0
		.amdhsa_exception_fp_ieee_inexact 0
		.amdhsa_exception_int_div_zero 0
	.end_amdhsa_kernel
	.section	.text._ZN7rocprim17ROCPRIM_400000_NS6detail17trampoline_kernelINS0_14default_configENS1_20scan_config_selectorIxEEZZNS1_9scan_implILNS1_25lookback_scan_determinismE0ELb1ELb1ES3_N6thrust23THRUST_200600_302600_NS6detail15normal_iteratorINS9_10device_ptrIxEEEESE_x11max_functorIxExEEDaPvRmT3_T4_T5_mT6_P12ihipStream_tbENKUlT_T0_E_clISt17integral_constantIbLb1EESU_EEDaSP_SQ_EUlSP_E_NS1_11comp_targetILNS1_3genE9ELNS1_11target_archE1100ELNS1_3gpuE3ELNS1_3repE0EEENS1_30default_config_static_selectorELNS0_4arch9wavefront6targetE1EEEvT1_,"axG",@progbits,_ZN7rocprim17ROCPRIM_400000_NS6detail17trampoline_kernelINS0_14default_configENS1_20scan_config_selectorIxEEZZNS1_9scan_implILNS1_25lookback_scan_determinismE0ELb1ELb1ES3_N6thrust23THRUST_200600_302600_NS6detail15normal_iteratorINS9_10device_ptrIxEEEESE_x11max_functorIxExEEDaPvRmT3_T4_T5_mT6_P12ihipStream_tbENKUlT_T0_E_clISt17integral_constantIbLb1EESU_EEDaSP_SQ_EUlSP_E_NS1_11comp_targetILNS1_3genE9ELNS1_11target_archE1100ELNS1_3gpuE3ELNS1_3repE0EEENS1_30default_config_static_selectorELNS0_4arch9wavefront6targetE1EEEvT1_,comdat
.Lfunc_end2655:
	.size	_ZN7rocprim17ROCPRIM_400000_NS6detail17trampoline_kernelINS0_14default_configENS1_20scan_config_selectorIxEEZZNS1_9scan_implILNS1_25lookback_scan_determinismE0ELb1ELb1ES3_N6thrust23THRUST_200600_302600_NS6detail15normal_iteratorINS9_10device_ptrIxEEEESE_x11max_functorIxExEEDaPvRmT3_T4_T5_mT6_P12ihipStream_tbENKUlT_T0_E_clISt17integral_constantIbLb1EESU_EEDaSP_SQ_EUlSP_E_NS1_11comp_targetILNS1_3genE9ELNS1_11target_archE1100ELNS1_3gpuE3ELNS1_3repE0EEENS1_30default_config_static_selectorELNS0_4arch9wavefront6targetE1EEEvT1_, .Lfunc_end2655-_ZN7rocprim17ROCPRIM_400000_NS6detail17trampoline_kernelINS0_14default_configENS1_20scan_config_selectorIxEEZZNS1_9scan_implILNS1_25lookback_scan_determinismE0ELb1ELb1ES3_N6thrust23THRUST_200600_302600_NS6detail15normal_iteratorINS9_10device_ptrIxEEEESE_x11max_functorIxExEEDaPvRmT3_T4_T5_mT6_P12ihipStream_tbENKUlT_T0_E_clISt17integral_constantIbLb1EESU_EEDaSP_SQ_EUlSP_E_NS1_11comp_targetILNS1_3genE9ELNS1_11target_archE1100ELNS1_3gpuE3ELNS1_3repE0EEENS1_30default_config_static_selectorELNS0_4arch9wavefront6targetE1EEEvT1_
                                        ; -- End function
	.section	.AMDGPU.csdata,"",@progbits
; Kernel info:
; codeLenInByte = 0
; NumSgprs: 4
; NumVgprs: 0
; NumAgprs: 0
; TotalNumVgprs: 0
; ScratchSize: 0
; MemoryBound: 0
; FloatMode: 240
; IeeeMode: 1
; LDSByteSize: 0 bytes/workgroup (compile time only)
; SGPRBlocks: 0
; VGPRBlocks: 0
; NumSGPRsForWavesPerEU: 4
; NumVGPRsForWavesPerEU: 1
; AccumOffset: 4
; Occupancy: 8
; WaveLimiterHint : 0
; COMPUTE_PGM_RSRC2:SCRATCH_EN: 0
; COMPUTE_PGM_RSRC2:USER_SGPR: 6
; COMPUTE_PGM_RSRC2:TRAP_HANDLER: 0
; COMPUTE_PGM_RSRC2:TGID_X_EN: 1
; COMPUTE_PGM_RSRC2:TGID_Y_EN: 0
; COMPUTE_PGM_RSRC2:TGID_Z_EN: 0
; COMPUTE_PGM_RSRC2:TIDIG_COMP_CNT: 0
; COMPUTE_PGM_RSRC3_GFX90A:ACCUM_OFFSET: 0
; COMPUTE_PGM_RSRC3_GFX90A:TG_SPLIT: 0
	.section	.text._ZN7rocprim17ROCPRIM_400000_NS6detail17trampoline_kernelINS0_14default_configENS1_20scan_config_selectorIxEEZZNS1_9scan_implILNS1_25lookback_scan_determinismE0ELb1ELb1ES3_N6thrust23THRUST_200600_302600_NS6detail15normal_iteratorINS9_10device_ptrIxEEEESE_x11max_functorIxExEEDaPvRmT3_T4_T5_mT6_P12ihipStream_tbENKUlT_T0_E_clISt17integral_constantIbLb1EESU_EEDaSP_SQ_EUlSP_E_NS1_11comp_targetILNS1_3genE8ELNS1_11target_archE1030ELNS1_3gpuE2ELNS1_3repE0EEENS1_30default_config_static_selectorELNS0_4arch9wavefront6targetE1EEEvT1_,"axG",@progbits,_ZN7rocprim17ROCPRIM_400000_NS6detail17trampoline_kernelINS0_14default_configENS1_20scan_config_selectorIxEEZZNS1_9scan_implILNS1_25lookback_scan_determinismE0ELb1ELb1ES3_N6thrust23THRUST_200600_302600_NS6detail15normal_iteratorINS9_10device_ptrIxEEEESE_x11max_functorIxExEEDaPvRmT3_T4_T5_mT6_P12ihipStream_tbENKUlT_T0_E_clISt17integral_constantIbLb1EESU_EEDaSP_SQ_EUlSP_E_NS1_11comp_targetILNS1_3genE8ELNS1_11target_archE1030ELNS1_3gpuE2ELNS1_3repE0EEENS1_30default_config_static_selectorELNS0_4arch9wavefront6targetE1EEEvT1_,comdat
	.protected	_ZN7rocprim17ROCPRIM_400000_NS6detail17trampoline_kernelINS0_14default_configENS1_20scan_config_selectorIxEEZZNS1_9scan_implILNS1_25lookback_scan_determinismE0ELb1ELb1ES3_N6thrust23THRUST_200600_302600_NS6detail15normal_iteratorINS9_10device_ptrIxEEEESE_x11max_functorIxExEEDaPvRmT3_T4_T5_mT6_P12ihipStream_tbENKUlT_T0_E_clISt17integral_constantIbLb1EESU_EEDaSP_SQ_EUlSP_E_NS1_11comp_targetILNS1_3genE8ELNS1_11target_archE1030ELNS1_3gpuE2ELNS1_3repE0EEENS1_30default_config_static_selectorELNS0_4arch9wavefront6targetE1EEEvT1_ ; -- Begin function _ZN7rocprim17ROCPRIM_400000_NS6detail17trampoline_kernelINS0_14default_configENS1_20scan_config_selectorIxEEZZNS1_9scan_implILNS1_25lookback_scan_determinismE0ELb1ELb1ES3_N6thrust23THRUST_200600_302600_NS6detail15normal_iteratorINS9_10device_ptrIxEEEESE_x11max_functorIxExEEDaPvRmT3_T4_T5_mT6_P12ihipStream_tbENKUlT_T0_E_clISt17integral_constantIbLb1EESU_EEDaSP_SQ_EUlSP_E_NS1_11comp_targetILNS1_3genE8ELNS1_11target_archE1030ELNS1_3gpuE2ELNS1_3repE0EEENS1_30default_config_static_selectorELNS0_4arch9wavefront6targetE1EEEvT1_
	.globl	_ZN7rocprim17ROCPRIM_400000_NS6detail17trampoline_kernelINS0_14default_configENS1_20scan_config_selectorIxEEZZNS1_9scan_implILNS1_25lookback_scan_determinismE0ELb1ELb1ES3_N6thrust23THRUST_200600_302600_NS6detail15normal_iteratorINS9_10device_ptrIxEEEESE_x11max_functorIxExEEDaPvRmT3_T4_T5_mT6_P12ihipStream_tbENKUlT_T0_E_clISt17integral_constantIbLb1EESU_EEDaSP_SQ_EUlSP_E_NS1_11comp_targetILNS1_3genE8ELNS1_11target_archE1030ELNS1_3gpuE2ELNS1_3repE0EEENS1_30default_config_static_selectorELNS0_4arch9wavefront6targetE1EEEvT1_
	.p2align	8
	.type	_ZN7rocprim17ROCPRIM_400000_NS6detail17trampoline_kernelINS0_14default_configENS1_20scan_config_selectorIxEEZZNS1_9scan_implILNS1_25lookback_scan_determinismE0ELb1ELb1ES3_N6thrust23THRUST_200600_302600_NS6detail15normal_iteratorINS9_10device_ptrIxEEEESE_x11max_functorIxExEEDaPvRmT3_T4_T5_mT6_P12ihipStream_tbENKUlT_T0_E_clISt17integral_constantIbLb1EESU_EEDaSP_SQ_EUlSP_E_NS1_11comp_targetILNS1_3genE8ELNS1_11target_archE1030ELNS1_3gpuE2ELNS1_3repE0EEENS1_30default_config_static_selectorELNS0_4arch9wavefront6targetE1EEEvT1_,@function
_ZN7rocprim17ROCPRIM_400000_NS6detail17trampoline_kernelINS0_14default_configENS1_20scan_config_selectorIxEEZZNS1_9scan_implILNS1_25lookback_scan_determinismE0ELb1ELb1ES3_N6thrust23THRUST_200600_302600_NS6detail15normal_iteratorINS9_10device_ptrIxEEEESE_x11max_functorIxExEEDaPvRmT3_T4_T5_mT6_P12ihipStream_tbENKUlT_T0_E_clISt17integral_constantIbLb1EESU_EEDaSP_SQ_EUlSP_E_NS1_11comp_targetILNS1_3genE8ELNS1_11target_archE1030ELNS1_3gpuE2ELNS1_3repE0EEENS1_30default_config_static_selectorELNS0_4arch9wavefront6targetE1EEEvT1_: ; @_ZN7rocprim17ROCPRIM_400000_NS6detail17trampoline_kernelINS0_14default_configENS1_20scan_config_selectorIxEEZZNS1_9scan_implILNS1_25lookback_scan_determinismE0ELb1ELb1ES3_N6thrust23THRUST_200600_302600_NS6detail15normal_iteratorINS9_10device_ptrIxEEEESE_x11max_functorIxExEEDaPvRmT3_T4_T5_mT6_P12ihipStream_tbENKUlT_T0_E_clISt17integral_constantIbLb1EESU_EEDaSP_SQ_EUlSP_E_NS1_11comp_targetILNS1_3genE8ELNS1_11target_archE1030ELNS1_3gpuE2ELNS1_3repE0EEENS1_30default_config_static_selectorELNS0_4arch9wavefront6targetE1EEEvT1_
; %bb.0:
	.section	.rodata,"a",@progbits
	.p2align	6, 0x0
	.amdhsa_kernel _ZN7rocprim17ROCPRIM_400000_NS6detail17trampoline_kernelINS0_14default_configENS1_20scan_config_selectorIxEEZZNS1_9scan_implILNS1_25lookback_scan_determinismE0ELb1ELb1ES3_N6thrust23THRUST_200600_302600_NS6detail15normal_iteratorINS9_10device_ptrIxEEEESE_x11max_functorIxExEEDaPvRmT3_T4_T5_mT6_P12ihipStream_tbENKUlT_T0_E_clISt17integral_constantIbLb1EESU_EEDaSP_SQ_EUlSP_E_NS1_11comp_targetILNS1_3genE8ELNS1_11target_archE1030ELNS1_3gpuE2ELNS1_3repE0EEENS1_30default_config_static_selectorELNS0_4arch9wavefront6targetE1EEEvT1_
		.amdhsa_group_segment_fixed_size 0
		.amdhsa_private_segment_fixed_size 0
		.amdhsa_kernarg_size 104
		.amdhsa_user_sgpr_count 6
		.amdhsa_user_sgpr_private_segment_buffer 1
		.amdhsa_user_sgpr_dispatch_ptr 0
		.amdhsa_user_sgpr_queue_ptr 0
		.amdhsa_user_sgpr_kernarg_segment_ptr 1
		.amdhsa_user_sgpr_dispatch_id 0
		.amdhsa_user_sgpr_flat_scratch_init 0
		.amdhsa_user_sgpr_kernarg_preload_length 0
		.amdhsa_user_sgpr_kernarg_preload_offset 0
		.amdhsa_user_sgpr_private_segment_size 0
		.amdhsa_uses_dynamic_stack 0
		.amdhsa_system_sgpr_private_segment_wavefront_offset 0
		.amdhsa_system_sgpr_workgroup_id_x 1
		.amdhsa_system_sgpr_workgroup_id_y 0
		.amdhsa_system_sgpr_workgroup_id_z 0
		.amdhsa_system_sgpr_workgroup_info 0
		.amdhsa_system_vgpr_workitem_id 0
		.amdhsa_next_free_vgpr 1
		.amdhsa_next_free_sgpr 0
		.amdhsa_accum_offset 4
		.amdhsa_reserve_vcc 0
		.amdhsa_reserve_flat_scratch 0
		.amdhsa_float_round_mode_32 0
		.amdhsa_float_round_mode_16_64 0
		.amdhsa_float_denorm_mode_32 3
		.amdhsa_float_denorm_mode_16_64 3
		.amdhsa_dx10_clamp 1
		.amdhsa_ieee_mode 1
		.amdhsa_fp16_overflow 0
		.amdhsa_tg_split 0
		.amdhsa_exception_fp_ieee_invalid_op 0
		.amdhsa_exception_fp_denorm_src 0
		.amdhsa_exception_fp_ieee_div_zero 0
		.amdhsa_exception_fp_ieee_overflow 0
		.amdhsa_exception_fp_ieee_underflow 0
		.amdhsa_exception_fp_ieee_inexact 0
		.amdhsa_exception_int_div_zero 0
	.end_amdhsa_kernel
	.section	.text._ZN7rocprim17ROCPRIM_400000_NS6detail17trampoline_kernelINS0_14default_configENS1_20scan_config_selectorIxEEZZNS1_9scan_implILNS1_25lookback_scan_determinismE0ELb1ELb1ES3_N6thrust23THRUST_200600_302600_NS6detail15normal_iteratorINS9_10device_ptrIxEEEESE_x11max_functorIxExEEDaPvRmT3_T4_T5_mT6_P12ihipStream_tbENKUlT_T0_E_clISt17integral_constantIbLb1EESU_EEDaSP_SQ_EUlSP_E_NS1_11comp_targetILNS1_3genE8ELNS1_11target_archE1030ELNS1_3gpuE2ELNS1_3repE0EEENS1_30default_config_static_selectorELNS0_4arch9wavefront6targetE1EEEvT1_,"axG",@progbits,_ZN7rocprim17ROCPRIM_400000_NS6detail17trampoline_kernelINS0_14default_configENS1_20scan_config_selectorIxEEZZNS1_9scan_implILNS1_25lookback_scan_determinismE0ELb1ELb1ES3_N6thrust23THRUST_200600_302600_NS6detail15normal_iteratorINS9_10device_ptrIxEEEESE_x11max_functorIxExEEDaPvRmT3_T4_T5_mT6_P12ihipStream_tbENKUlT_T0_E_clISt17integral_constantIbLb1EESU_EEDaSP_SQ_EUlSP_E_NS1_11comp_targetILNS1_3genE8ELNS1_11target_archE1030ELNS1_3gpuE2ELNS1_3repE0EEENS1_30default_config_static_selectorELNS0_4arch9wavefront6targetE1EEEvT1_,comdat
.Lfunc_end2656:
	.size	_ZN7rocprim17ROCPRIM_400000_NS6detail17trampoline_kernelINS0_14default_configENS1_20scan_config_selectorIxEEZZNS1_9scan_implILNS1_25lookback_scan_determinismE0ELb1ELb1ES3_N6thrust23THRUST_200600_302600_NS6detail15normal_iteratorINS9_10device_ptrIxEEEESE_x11max_functorIxExEEDaPvRmT3_T4_T5_mT6_P12ihipStream_tbENKUlT_T0_E_clISt17integral_constantIbLb1EESU_EEDaSP_SQ_EUlSP_E_NS1_11comp_targetILNS1_3genE8ELNS1_11target_archE1030ELNS1_3gpuE2ELNS1_3repE0EEENS1_30default_config_static_selectorELNS0_4arch9wavefront6targetE1EEEvT1_, .Lfunc_end2656-_ZN7rocprim17ROCPRIM_400000_NS6detail17trampoline_kernelINS0_14default_configENS1_20scan_config_selectorIxEEZZNS1_9scan_implILNS1_25lookback_scan_determinismE0ELb1ELb1ES3_N6thrust23THRUST_200600_302600_NS6detail15normal_iteratorINS9_10device_ptrIxEEEESE_x11max_functorIxExEEDaPvRmT3_T4_T5_mT6_P12ihipStream_tbENKUlT_T0_E_clISt17integral_constantIbLb1EESU_EEDaSP_SQ_EUlSP_E_NS1_11comp_targetILNS1_3genE8ELNS1_11target_archE1030ELNS1_3gpuE2ELNS1_3repE0EEENS1_30default_config_static_selectorELNS0_4arch9wavefront6targetE1EEEvT1_
                                        ; -- End function
	.section	.AMDGPU.csdata,"",@progbits
; Kernel info:
; codeLenInByte = 0
; NumSgprs: 4
; NumVgprs: 0
; NumAgprs: 0
; TotalNumVgprs: 0
; ScratchSize: 0
; MemoryBound: 0
; FloatMode: 240
; IeeeMode: 1
; LDSByteSize: 0 bytes/workgroup (compile time only)
; SGPRBlocks: 0
; VGPRBlocks: 0
; NumSGPRsForWavesPerEU: 4
; NumVGPRsForWavesPerEU: 1
; AccumOffset: 4
; Occupancy: 8
; WaveLimiterHint : 0
; COMPUTE_PGM_RSRC2:SCRATCH_EN: 0
; COMPUTE_PGM_RSRC2:USER_SGPR: 6
; COMPUTE_PGM_RSRC2:TRAP_HANDLER: 0
; COMPUTE_PGM_RSRC2:TGID_X_EN: 1
; COMPUTE_PGM_RSRC2:TGID_Y_EN: 0
; COMPUTE_PGM_RSRC2:TGID_Z_EN: 0
; COMPUTE_PGM_RSRC2:TIDIG_COMP_CNT: 0
; COMPUTE_PGM_RSRC3_GFX90A:ACCUM_OFFSET: 0
; COMPUTE_PGM_RSRC3_GFX90A:TG_SPLIT: 0
	.section	.text._ZN7rocprim17ROCPRIM_400000_NS6detail17trampoline_kernelINS0_14default_configENS1_20scan_config_selectorIxEEZZNS1_9scan_implILNS1_25lookback_scan_determinismE0ELb1ELb1ES3_N6thrust23THRUST_200600_302600_NS6detail15normal_iteratorINS9_10device_ptrIxEEEESE_x11max_functorIxExEEDaPvRmT3_T4_T5_mT6_P12ihipStream_tbENKUlT_T0_E_clISt17integral_constantIbLb1EESU_EEDaSP_SQ_EUlSP_E0_NS1_11comp_targetILNS1_3genE0ELNS1_11target_archE4294967295ELNS1_3gpuE0ELNS1_3repE0EEENS1_30default_config_static_selectorELNS0_4arch9wavefront6targetE1EEEvT1_,"axG",@progbits,_ZN7rocprim17ROCPRIM_400000_NS6detail17trampoline_kernelINS0_14default_configENS1_20scan_config_selectorIxEEZZNS1_9scan_implILNS1_25lookback_scan_determinismE0ELb1ELb1ES3_N6thrust23THRUST_200600_302600_NS6detail15normal_iteratorINS9_10device_ptrIxEEEESE_x11max_functorIxExEEDaPvRmT3_T4_T5_mT6_P12ihipStream_tbENKUlT_T0_E_clISt17integral_constantIbLb1EESU_EEDaSP_SQ_EUlSP_E0_NS1_11comp_targetILNS1_3genE0ELNS1_11target_archE4294967295ELNS1_3gpuE0ELNS1_3repE0EEENS1_30default_config_static_selectorELNS0_4arch9wavefront6targetE1EEEvT1_,comdat
	.protected	_ZN7rocprim17ROCPRIM_400000_NS6detail17trampoline_kernelINS0_14default_configENS1_20scan_config_selectorIxEEZZNS1_9scan_implILNS1_25lookback_scan_determinismE0ELb1ELb1ES3_N6thrust23THRUST_200600_302600_NS6detail15normal_iteratorINS9_10device_ptrIxEEEESE_x11max_functorIxExEEDaPvRmT3_T4_T5_mT6_P12ihipStream_tbENKUlT_T0_E_clISt17integral_constantIbLb1EESU_EEDaSP_SQ_EUlSP_E0_NS1_11comp_targetILNS1_3genE0ELNS1_11target_archE4294967295ELNS1_3gpuE0ELNS1_3repE0EEENS1_30default_config_static_selectorELNS0_4arch9wavefront6targetE1EEEvT1_ ; -- Begin function _ZN7rocprim17ROCPRIM_400000_NS6detail17trampoline_kernelINS0_14default_configENS1_20scan_config_selectorIxEEZZNS1_9scan_implILNS1_25lookback_scan_determinismE0ELb1ELb1ES3_N6thrust23THRUST_200600_302600_NS6detail15normal_iteratorINS9_10device_ptrIxEEEESE_x11max_functorIxExEEDaPvRmT3_T4_T5_mT6_P12ihipStream_tbENKUlT_T0_E_clISt17integral_constantIbLb1EESU_EEDaSP_SQ_EUlSP_E0_NS1_11comp_targetILNS1_3genE0ELNS1_11target_archE4294967295ELNS1_3gpuE0ELNS1_3repE0EEENS1_30default_config_static_selectorELNS0_4arch9wavefront6targetE1EEEvT1_
	.globl	_ZN7rocprim17ROCPRIM_400000_NS6detail17trampoline_kernelINS0_14default_configENS1_20scan_config_selectorIxEEZZNS1_9scan_implILNS1_25lookback_scan_determinismE0ELb1ELb1ES3_N6thrust23THRUST_200600_302600_NS6detail15normal_iteratorINS9_10device_ptrIxEEEESE_x11max_functorIxExEEDaPvRmT3_T4_T5_mT6_P12ihipStream_tbENKUlT_T0_E_clISt17integral_constantIbLb1EESU_EEDaSP_SQ_EUlSP_E0_NS1_11comp_targetILNS1_3genE0ELNS1_11target_archE4294967295ELNS1_3gpuE0ELNS1_3repE0EEENS1_30default_config_static_selectorELNS0_4arch9wavefront6targetE1EEEvT1_
	.p2align	8
	.type	_ZN7rocprim17ROCPRIM_400000_NS6detail17trampoline_kernelINS0_14default_configENS1_20scan_config_selectorIxEEZZNS1_9scan_implILNS1_25lookback_scan_determinismE0ELb1ELb1ES3_N6thrust23THRUST_200600_302600_NS6detail15normal_iteratorINS9_10device_ptrIxEEEESE_x11max_functorIxExEEDaPvRmT3_T4_T5_mT6_P12ihipStream_tbENKUlT_T0_E_clISt17integral_constantIbLb1EESU_EEDaSP_SQ_EUlSP_E0_NS1_11comp_targetILNS1_3genE0ELNS1_11target_archE4294967295ELNS1_3gpuE0ELNS1_3repE0EEENS1_30default_config_static_selectorELNS0_4arch9wavefront6targetE1EEEvT1_,@function
_ZN7rocprim17ROCPRIM_400000_NS6detail17trampoline_kernelINS0_14default_configENS1_20scan_config_selectorIxEEZZNS1_9scan_implILNS1_25lookback_scan_determinismE0ELb1ELb1ES3_N6thrust23THRUST_200600_302600_NS6detail15normal_iteratorINS9_10device_ptrIxEEEESE_x11max_functorIxExEEDaPvRmT3_T4_T5_mT6_P12ihipStream_tbENKUlT_T0_E_clISt17integral_constantIbLb1EESU_EEDaSP_SQ_EUlSP_E0_NS1_11comp_targetILNS1_3genE0ELNS1_11target_archE4294967295ELNS1_3gpuE0ELNS1_3repE0EEENS1_30default_config_static_selectorELNS0_4arch9wavefront6targetE1EEEvT1_: ; @_ZN7rocprim17ROCPRIM_400000_NS6detail17trampoline_kernelINS0_14default_configENS1_20scan_config_selectorIxEEZZNS1_9scan_implILNS1_25lookback_scan_determinismE0ELb1ELb1ES3_N6thrust23THRUST_200600_302600_NS6detail15normal_iteratorINS9_10device_ptrIxEEEESE_x11max_functorIxExEEDaPvRmT3_T4_T5_mT6_P12ihipStream_tbENKUlT_T0_E_clISt17integral_constantIbLb1EESU_EEDaSP_SQ_EUlSP_E0_NS1_11comp_targetILNS1_3genE0ELNS1_11target_archE4294967295ELNS1_3gpuE0ELNS1_3repE0EEENS1_30default_config_static_selectorELNS0_4arch9wavefront6targetE1EEEvT1_
; %bb.0:
	.section	.rodata,"a",@progbits
	.p2align	6, 0x0
	.amdhsa_kernel _ZN7rocprim17ROCPRIM_400000_NS6detail17trampoline_kernelINS0_14default_configENS1_20scan_config_selectorIxEEZZNS1_9scan_implILNS1_25lookback_scan_determinismE0ELb1ELb1ES3_N6thrust23THRUST_200600_302600_NS6detail15normal_iteratorINS9_10device_ptrIxEEEESE_x11max_functorIxExEEDaPvRmT3_T4_T5_mT6_P12ihipStream_tbENKUlT_T0_E_clISt17integral_constantIbLb1EESU_EEDaSP_SQ_EUlSP_E0_NS1_11comp_targetILNS1_3genE0ELNS1_11target_archE4294967295ELNS1_3gpuE0ELNS1_3repE0EEENS1_30default_config_static_selectorELNS0_4arch9wavefront6targetE1EEEvT1_
		.amdhsa_group_segment_fixed_size 0
		.amdhsa_private_segment_fixed_size 0
		.amdhsa_kernarg_size 40
		.amdhsa_user_sgpr_count 6
		.amdhsa_user_sgpr_private_segment_buffer 1
		.amdhsa_user_sgpr_dispatch_ptr 0
		.amdhsa_user_sgpr_queue_ptr 0
		.amdhsa_user_sgpr_kernarg_segment_ptr 1
		.amdhsa_user_sgpr_dispatch_id 0
		.amdhsa_user_sgpr_flat_scratch_init 0
		.amdhsa_user_sgpr_kernarg_preload_length 0
		.amdhsa_user_sgpr_kernarg_preload_offset 0
		.amdhsa_user_sgpr_private_segment_size 0
		.amdhsa_uses_dynamic_stack 0
		.amdhsa_system_sgpr_private_segment_wavefront_offset 0
		.amdhsa_system_sgpr_workgroup_id_x 1
		.amdhsa_system_sgpr_workgroup_id_y 0
		.amdhsa_system_sgpr_workgroup_id_z 0
		.amdhsa_system_sgpr_workgroup_info 0
		.amdhsa_system_vgpr_workitem_id 0
		.amdhsa_next_free_vgpr 1
		.amdhsa_next_free_sgpr 0
		.amdhsa_accum_offset 4
		.amdhsa_reserve_vcc 0
		.amdhsa_reserve_flat_scratch 0
		.amdhsa_float_round_mode_32 0
		.amdhsa_float_round_mode_16_64 0
		.amdhsa_float_denorm_mode_32 3
		.amdhsa_float_denorm_mode_16_64 3
		.amdhsa_dx10_clamp 1
		.amdhsa_ieee_mode 1
		.amdhsa_fp16_overflow 0
		.amdhsa_tg_split 0
		.amdhsa_exception_fp_ieee_invalid_op 0
		.amdhsa_exception_fp_denorm_src 0
		.amdhsa_exception_fp_ieee_div_zero 0
		.amdhsa_exception_fp_ieee_overflow 0
		.amdhsa_exception_fp_ieee_underflow 0
		.amdhsa_exception_fp_ieee_inexact 0
		.amdhsa_exception_int_div_zero 0
	.end_amdhsa_kernel
	.section	.text._ZN7rocprim17ROCPRIM_400000_NS6detail17trampoline_kernelINS0_14default_configENS1_20scan_config_selectorIxEEZZNS1_9scan_implILNS1_25lookback_scan_determinismE0ELb1ELb1ES3_N6thrust23THRUST_200600_302600_NS6detail15normal_iteratorINS9_10device_ptrIxEEEESE_x11max_functorIxExEEDaPvRmT3_T4_T5_mT6_P12ihipStream_tbENKUlT_T0_E_clISt17integral_constantIbLb1EESU_EEDaSP_SQ_EUlSP_E0_NS1_11comp_targetILNS1_3genE0ELNS1_11target_archE4294967295ELNS1_3gpuE0ELNS1_3repE0EEENS1_30default_config_static_selectorELNS0_4arch9wavefront6targetE1EEEvT1_,"axG",@progbits,_ZN7rocprim17ROCPRIM_400000_NS6detail17trampoline_kernelINS0_14default_configENS1_20scan_config_selectorIxEEZZNS1_9scan_implILNS1_25lookback_scan_determinismE0ELb1ELb1ES3_N6thrust23THRUST_200600_302600_NS6detail15normal_iteratorINS9_10device_ptrIxEEEESE_x11max_functorIxExEEDaPvRmT3_T4_T5_mT6_P12ihipStream_tbENKUlT_T0_E_clISt17integral_constantIbLb1EESU_EEDaSP_SQ_EUlSP_E0_NS1_11comp_targetILNS1_3genE0ELNS1_11target_archE4294967295ELNS1_3gpuE0ELNS1_3repE0EEENS1_30default_config_static_selectorELNS0_4arch9wavefront6targetE1EEEvT1_,comdat
.Lfunc_end2657:
	.size	_ZN7rocprim17ROCPRIM_400000_NS6detail17trampoline_kernelINS0_14default_configENS1_20scan_config_selectorIxEEZZNS1_9scan_implILNS1_25lookback_scan_determinismE0ELb1ELb1ES3_N6thrust23THRUST_200600_302600_NS6detail15normal_iteratorINS9_10device_ptrIxEEEESE_x11max_functorIxExEEDaPvRmT3_T4_T5_mT6_P12ihipStream_tbENKUlT_T0_E_clISt17integral_constantIbLb1EESU_EEDaSP_SQ_EUlSP_E0_NS1_11comp_targetILNS1_3genE0ELNS1_11target_archE4294967295ELNS1_3gpuE0ELNS1_3repE0EEENS1_30default_config_static_selectorELNS0_4arch9wavefront6targetE1EEEvT1_, .Lfunc_end2657-_ZN7rocprim17ROCPRIM_400000_NS6detail17trampoline_kernelINS0_14default_configENS1_20scan_config_selectorIxEEZZNS1_9scan_implILNS1_25lookback_scan_determinismE0ELb1ELb1ES3_N6thrust23THRUST_200600_302600_NS6detail15normal_iteratorINS9_10device_ptrIxEEEESE_x11max_functorIxExEEDaPvRmT3_T4_T5_mT6_P12ihipStream_tbENKUlT_T0_E_clISt17integral_constantIbLb1EESU_EEDaSP_SQ_EUlSP_E0_NS1_11comp_targetILNS1_3genE0ELNS1_11target_archE4294967295ELNS1_3gpuE0ELNS1_3repE0EEENS1_30default_config_static_selectorELNS0_4arch9wavefront6targetE1EEEvT1_
                                        ; -- End function
	.section	.AMDGPU.csdata,"",@progbits
; Kernel info:
; codeLenInByte = 0
; NumSgprs: 4
; NumVgprs: 0
; NumAgprs: 0
; TotalNumVgprs: 0
; ScratchSize: 0
; MemoryBound: 0
; FloatMode: 240
; IeeeMode: 1
; LDSByteSize: 0 bytes/workgroup (compile time only)
; SGPRBlocks: 0
; VGPRBlocks: 0
; NumSGPRsForWavesPerEU: 4
; NumVGPRsForWavesPerEU: 1
; AccumOffset: 4
; Occupancy: 8
; WaveLimiterHint : 0
; COMPUTE_PGM_RSRC2:SCRATCH_EN: 0
; COMPUTE_PGM_RSRC2:USER_SGPR: 6
; COMPUTE_PGM_RSRC2:TRAP_HANDLER: 0
; COMPUTE_PGM_RSRC2:TGID_X_EN: 1
; COMPUTE_PGM_RSRC2:TGID_Y_EN: 0
; COMPUTE_PGM_RSRC2:TGID_Z_EN: 0
; COMPUTE_PGM_RSRC2:TIDIG_COMP_CNT: 0
; COMPUTE_PGM_RSRC3_GFX90A:ACCUM_OFFSET: 0
; COMPUTE_PGM_RSRC3_GFX90A:TG_SPLIT: 0
	.section	.text._ZN7rocprim17ROCPRIM_400000_NS6detail17trampoline_kernelINS0_14default_configENS1_20scan_config_selectorIxEEZZNS1_9scan_implILNS1_25lookback_scan_determinismE0ELb1ELb1ES3_N6thrust23THRUST_200600_302600_NS6detail15normal_iteratorINS9_10device_ptrIxEEEESE_x11max_functorIxExEEDaPvRmT3_T4_T5_mT6_P12ihipStream_tbENKUlT_T0_E_clISt17integral_constantIbLb1EESU_EEDaSP_SQ_EUlSP_E0_NS1_11comp_targetILNS1_3genE5ELNS1_11target_archE942ELNS1_3gpuE9ELNS1_3repE0EEENS1_30default_config_static_selectorELNS0_4arch9wavefront6targetE1EEEvT1_,"axG",@progbits,_ZN7rocprim17ROCPRIM_400000_NS6detail17trampoline_kernelINS0_14default_configENS1_20scan_config_selectorIxEEZZNS1_9scan_implILNS1_25lookback_scan_determinismE0ELb1ELb1ES3_N6thrust23THRUST_200600_302600_NS6detail15normal_iteratorINS9_10device_ptrIxEEEESE_x11max_functorIxExEEDaPvRmT3_T4_T5_mT6_P12ihipStream_tbENKUlT_T0_E_clISt17integral_constantIbLb1EESU_EEDaSP_SQ_EUlSP_E0_NS1_11comp_targetILNS1_3genE5ELNS1_11target_archE942ELNS1_3gpuE9ELNS1_3repE0EEENS1_30default_config_static_selectorELNS0_4arch9wavefront6targetE1EEEvT1_,comdat
	.protected	_ZN7rocprim17ROCPRIM_400000_NS6detail17trampoline_kernelINS0_14default_configENS1_20scan_config_selectorIxEEZZNS1_9scan_implILNS1_25lookback_scan_determinismE0ELb1ELb1ES3_N6thrust23THRUST_200600_302600_NS6detail15normal_iteratorINS9_10device_ptrIxEEEESE_x11max_functorIxExEEDaPvRmT3_T4_T5_mT6_P12ihipStream_tbENKUlT_T0_E_clISt17integral_constantIbLb1EESU_EEDaSP_SQ_EUlSP_E0_NS1_11comp_targetILNS1_3genE5ELNS1_11target_archE942ELNS1_3gpuE9ELNS1_3repE0EEENS1_30default_config_static_selectorELNS0_4arch9wavefront6targetE1EEEvT1_ ; -- Begin function _ZN7rocprim17ROCPRIM_400000_NS6detail17trampoline_kernelINS0_14default_configENS1_20scan_config_selectorIxEEZZNS1_9scan_implILNS1_25lookback_scan_determinismE0ELb1ELb1ES3_N6thrust23THRUST_200600_302600_NS6detail15normal_iteratorINS9_10device_ptrIxEEEESE_x11max_functorIxExEEDaPvRmT3_T4_T5_mT6_P12ihipStream_tbENKUlT_T0_E_clISt17integral_constantIbLb1EESU_EEDaSP_SQ_EUlSP_E0_NS1_11comp_targetILNS1_3genE5ELNS1_11target_archE942ELNS1_3gpuE9ELNS1_3repE0EEENS1_30default_config_static_selectorELNS0_4arch9wavefront6targetE1EEEvT1_
	.globl	_ZN7rocprim17ROCPRIM_400000_NS6detail17trampoline_kernelINS0_14default_configENS1_20scan_config_selectorIxEEZZNS1_9scan_implILNS1_25lookback_scan_determinismE0ELb1ELb1ES3_N6thrust23THRUST_200600_302600_NS6detail15normal_iteratorINS9_10device_ptrIxEEEESE_x11max_functorIxExEEDaPvRmT3_T4_T5_mT6_P12ihipStream_tbENKUlT_T0_E_clISt17integral_constantIbLb1EESU_EEDaSP_SQ_EUlSP_E0_NS1_11comp_targetILNS1_3genE5ELNS1_11target_archE942ELNS1_3gpuE9ELNS1_3repE0EEENS1_30default_config_static_selectorELNS0_4arch9wavefront6targetE1EEEvT1_
	.p2align	8
	.type	_ZN7rocprim17ROCPRIM_400000_NS6detail17trampoline_kernelINS0_14default_configENS1_20scan_config_selectorIxEEZZNS1_9scan_implILNS1_25lookback_scan_determinismE0ELb1ELb1ES3_N6thrust23THRUST_200600_302600_NS6detail15normal_iteratorINS9_10device_ptrIxEEEESE_x11max_functorIxExEEDaPvRmT3_T4_T5_mT6_P12ihipStream_tbENKUlT_T0_E_clISt17integral_constantIbLb1EESU_EEDaSP_SQ_EUlSP_E0_NS1_11comp_targetILNS1_3genE5ELNS1_11target_archE942ELNS1_3gpuE9ELNS1_3repE0EEENS1_30default_config_static_selectorELNS0_4arch9wavefront6targetE1EEEvT1_,@function
_ZN7rocprim17ROCPRIM_400000_NS6detail17trampoline_kernelINS0_14default_configENS1_20scan_config_selectorIxEEZZNS1_9scan_implILNS1_25lookback_scan_determinismE0ELb1ELb1ES3_N6thrust23THRUST_200600_302600_NS6detail15normal_iteratorINS9_10device_ptrIxEEEESE_x11max_functorIxExEEDaPvRmT3_T4_T5_mT6_P12ihipStream_tbENKUlT_T0_E_clISt17integral_constantIbLb1EESU_EEDaSP_SQ_EUlSP_E0_NS1_11comp_targetILNS1_3genE5ELNS1_11target_archE942ELNS1_3gpuE9ELNS1_3repE0EEENS1_30default_config_static_selectorELNS0_4arch9wavefront6targetE1EEEvT1_: ; @_ZN7rocprim17ROCPRIM_400000_NS6detail17trampoline_kernelINS0_14default_configENS1_20scan_config_selectorIxEEZZNS1_9scan_implILNS1_25lookback_scan_determinismE0ELb1ELb1ES3_N6thrust23THRUST_200600_302600_NS6detail15normal_iteratorINS9_10device_ptrIxEEEESE_x11max_functorIxExEEDaPvRmT3_T4_T5_mT6_P12ihipStream_tbENKUlT_T0_E_clISt17integral_constantIbLb1EESU_EEDaSP_SQ_EUlSP_E0_NS1_11comp_targetILNS1_3genE5ELNS1_11target_archE942ELNS1_3gpuE9ELNS1_3repE0EEENS1_30default_config_static_selectorELNS0_4arch9wavefront6targetE1EEEvT1_
; %bb.0:
	.section	.rodata,"a",@progbits
	.p2align	6, 0x0
	.amdhsa_kernel _ZN7rocprim17ROCPRIM_400000_NS6detail17trampoline_kernelINS0_14default_configENS1_20scan_config_selectorIxEEZZNS1_9scan_implILNS1_25lookback_scan_determinismE0ELb1ELb1ES3_N6thrust23THRUST_200600_302600_NS6detail15normal_iteratorINS9_10device_ptrIxEEEESE_x11max_functorIxExEEDaPvRmT3_T4_T5_mT6_P12ihipStream_tbENKUlT_T0_E_clISt17integral_constantIbLb1EESU_EEDaSP_SQ_EUlSP_E0_NS1_11comp_targetILNS1_3genE5ELNS1_11target_archE942ELNS1_3gpuE9ELNS1_3repE0EEENS1_30default_config_static_selectorELNS0_4arch9wavefront6targetE1EEEvT1_
		.amdhsa_group_segment_fixed_size 0
		.amdhsa_private_segment_fixed_size 0
		.amdhsa_kernarg_size 40
		.amdhsa_user_sgpr_count 6
		.amdhsa_user_sgpr_private_segment_buffer 1
		.amdhsa_user_sgpr_dispatch_ptr 0
		.amdhsa_user_sgpr_queue_ptr 0
		.amdhsa_user_sgpr_kernarg_segment_ptr 1
		.amdhsa_user_sgpr_dispatch_id 0
		.amdhsa_user_sgpr_flat_scratch_init 0
		.amdhsa_user_sgpr_kernarg_preload_length 0
		.amdhsa_user_sgpr_kernarg_preload_offset 0
		.amdhsa_user_sgpr_private_segment_size 0
		.amdhsa_uses_dynamic_stack 0
		.amdhsa_system_sgpr_private_segment_wavefront_offset 0
		.amdhsa_system_sgpr_workgroup_id_x 1
		.amdhsa_system_sgpr_workgroup_id_y 0
		.amdhsa_system_sgpr_workgroup_id_z 0
		.amdhsa_system_sgpr_workgroup_info 0
		.amdhsa_system_vgpr_workitem_id 0
		.amdhsa_next_free_vgpr 1
		.amdhsa_next_free_sgpr 0
		.amdhsa_accum_offset 4
		.amdhsa_reserve_vcc 0
		.amdhsa_reserve_flat_scratch 0
		.amdhsa_float_round_mode_32 0
		.amdhsa_float_round_mode_16_64 0
		.amdhsa_float_denorm_mode_32 3
		.amdhsa_float_denorm_mode_16_64 3
		.amdhsa_dx10_clamp 1
		.amdhsa_ieee_mode 1
		.amdhsa_fp16_overflow 0
		.amdhsa_tg_split 0
		.amdhsa_exception_fp_ieee_invalid_op 0
		.amdhsa_exception_fp_denorm_src 0
		.amdhsa_exception_fp_ieee_div_zero 0
		.amdhsa_exception_fp_ieee_overflow 0
		.amdhsa_exception_fp_ieee_underflow 0
		.amdhsa_exception_fp_ieee_inexact 0
		.amdhsa_exception_int_div_zero 0
	.end_amdhsa_kernel
	.section	.text._ZN7rocprim17ROCPRIM_400000_NS6detail17trampoline_kernelINS0_14default_configENS1_20scan_config_selectorIxEEZZNS1_9scan_implILNS1_25lookback_scan_determinismE0ELb1ELb1ES3_N6thrust23THRUST_200600_302600_NS6detail15normal_iteratorINS9_10device_ptrIxEEEESE_x11max_functorIxExEEDaPvRmT3_T4_T5_mT6_P12ihipStream_tbENKUlT_T0_E_clISt17integral_constantIbLb1EESU_EEDaSP_SQ_EUlSP_E0_NS1_11comp_targetILNS1_3genE5ELNS1_11target_archE942ELNS1_3gpuE9ELNS1_3repE0EEENS1_30default_config_static_selectorELNS0_4arch9wavefront6targetE1EEEvT1_,"axG",@progbits,_ZN7rocprim17ROCPRIM_400000_NS6detail17trampoline_kernelINS0_14default_configENS1_20scan_config_selectorIxEEZZNS1_9scan_implILNS1_25lookback_scan_determinismE0ELb1ELb1ES3_N6thrust23THRUST_200600_302600_NS6detail15normal_iteratorINS9_10device_ptrIxEEEESE_x11max_functorIxExEEDaPvRmT3_T4_T5_mT6_P12ihipStream_tbENKUlT_T0_E_clISt17integral_constantIbLb1EESU_EEDaSP_SQ_EUlSP_E0_NS1_11comp_targetILNS1_3genE5ELNS1_11target_archE942ELNS1_3gpuE9ELNS1_3repE0EEENS1_30default_config_static_selectorELNS0_4arch9wavefront6targetE1EEEvT1_,comdat
.Lfunc_end2658:
	.size	_ZN7rocprim17ROCPRIM_400000_NS6detail17trampoline_kernelINS0_14default_configENS1_20scan_config_selectorIxEEZZNS1_9scan_implILNS1_25lookback_scan_determinismE0ELb1ELb1ES3_N6thrust23THRUST_200600_302600_NS6detail15normal_iteratorINS9_10device_ptrIxEEEESE_x11max_functorIxExEEDaPvRmT3_T4_T5_mT6_P12ihipStream_tbENKUlT_T0_E_clISt17integral_constantIbLb1EESU_EEDaSP_SQ_EUlSP_E0_NS1_11comp_targetILNS1_3genE5ELNS1_11target_archE942ELNS1_3gpuE9ELNS1_3repE0EEENS1_30default_config_static_selectorELNS0_4arch9wavefront6targetE1EEEvT1_, .Lfunc_end2658-_ZN7rocprim17ROCPRIM_400000_NS6detail17trampoline_kernelINS0_14default_configENS1_20scan_config_selectorIxEEZZNS1_9scan_implILNS1_25lookback_scan_determinismE0ELb1ELb1ES3_N6thrust23THRUST_200600_302600_NS6detail15normal_iteratorINS9_10device_ptrIxEEEESE_x11max_functorIxExEEDaPvRmT3_T4_T5_mT6_P12ihipStream_tbENKUlT_T0_E_clISt17integral_constantIbLb1EESU_EEDaSP_SQ_EUlSP_E0_NS1_11comp_targetILNS1_3genE5ELNS1_11target_archE942ELNS1_3gpuE9ELNS1_3repE0EEENS1_30default_config_static_selectorELNS0_4arch9wavefront6targetE1EEEvT1_
                                        ; -- End function
	.section	.AMDGPU.csdata,"",@progbits
; Kernel info:
; codeLenInByte = 0
; NumSgprs: 4
; NumVgprs: 0
; NumAgprs: 0
; TotalNumVgprs: 0
; ScratchSize: 0
; MemoryBound: 0
; FloatMode: 240
; IeeeMode: 1
; LDSByteSize: 0 bytes/workgroup (compile time only)
; SGPRBlocks: 0
; VGPRBlocks: 0
; NumSGPRsForWavesPerEU: 4
; NumVGPRsForWavesPerEU: 1
; AccumOffset: 4
; Occupancy: 8
; WaveLimiterHint : 0
; COMPUTE_PGM_RSRC2:SCRATCH_EN: 0
; COMPUTE_PGM_RSRC2:USER_SGPR: 6
; COMPUTE_PGM_RSRC2:TRAP_HANDLER: 0
; COMPUTE_PGM_RSRC2:TGID_X_EN: 1
; COMPUTE_PGM_RSRC2:TGID_Y_EN: 0
; COMPUTE_PGM_RSRC2:TGID_Z_EN: 0
; COMPUTE_PGM_RSRC2:TIDIG_COMP_CNT: 0
; COMPUTE_PGM_RSRC3_GFX90A:ACCUM_OFFSET: 0
; COMPUTE_PGM_RSRC3_GFX90A:TG_SPLIT: 0
	.section	.text._ZN7rocprim17ROCPRIM_400000_NS6detail17trampoline_kernelINS0_14default_configENS1_20scan_config_selectorIxEEZZNS1_9scan_implILNS1_25lookback_scan_determinismE0ELb1ELb1ES3_N6thrust23THRUST_200600_302600_NS6detail15normal_iteratorINS9_10device_ptrIxEEEESE_x11max_functorIxExEEDaPvRmT3_T4_T5_mT6_P12ihipStream_tbENKUlT_T0_E_clISt17integral_constantIbLb1EESU_EEDaSP_SQ_EUlSP_E0_NS1_11comp_targetILNS1_3genE4ELNS1_11target_archE910ELNS1_3gpuE8ELNS1_3repE0EEENS1_30default_config_static_selectorELNS0_4arch9wavefront6targetE1EEEvT1_,"axG",@progbits,_ZN7rocprim17ROCPRIM_400000_NS6detail17trampoline_kernelINS0_14default_configENS1_20scan_config_selectorIxEEZZNS1_9scan_implILNS1_25lookback_scan_determinismE0ELb1ELb1ES3_N6thrust23THRUST_200600_302600_NS6detail15normal_iteratorINS9_10device_ptrIxEEEESE_x11max_functorIxExEEDaPvRmT3_T4_T5_mT6_P12ihipStream_tbENKUlT_T0_E_clISt17integral_constantIbLb1EESU_EEDaSP_SQ_EUlSP_E0_NS1_11comp_targetILNS1_3genE4ELNS1_11target_archE910ELNS1_3gpuE8ELNS1_3repE0EEENS1_30default_config_static_selectorELNS0_4arch9wavefront6targetE1EEEvT1_,comdat
	.protected	_ZN7rocprim17ROCPRIM_400000_NS6detail17trampoline_kernelINS0_14default_configENS1_20scan_config_selectorIxEEZZNS1_9scan_implILNS1_25lookback_scan_determinismE0ELb1ELb1ES3_N6thrust23THRUST_200600_302600_NS6detail15normal_iteratorINS9_10device_ptrIxEEEESE_x11max_functorIxExEEDaPvRmT3_T4_T5_mT6_P12ihipStream_tbENKUlT_T0_E_clISt17integral_constantIbLb1EESU_EEDaSP_SQ_EUlSP_E0_NS1_11comp_targetILNS1_3genE4ELNS1_11target_archE910ELNS1_3gpuE8ELNS1_3repE0EEENS1_30default_config_static_selectorELNS0_4arch9wavefront6targetE1EEEvT1_ ; -- Begin function _ZN7rocprim17ROCPRIM_400000_NS6detail17trampoline_kernelINS0_14default_configENS1_20scan_config_selectorIxEEZZNS1_9scan_implILNS1_25lookback_scan_determinismE0ELb1ELb1ES3_N6thrust23THRUST_200600_302600_NS6detail15normal_iteratorINS9_10device_ptrIxEEEESE_x11max_functorIxExEEDaPvRmT3_T4_T5_mT6_P12ihipStream_tbENKUlT_T0_E_clISt17integral_constantIbLb1EESU_EEDaSP_SQ_EUlSP_E0_NS1_11comp_targetILNS1_3genE4ELNS1_11target_archE910ELNS1_3gpuE8ELNS1_3repE0EEENS1_30default_config_static_selectorELNS0_4arch9wavefront6targetE1EEEvT1_
	.globl	_ZN7rocprim17ROCPRIM_400000_NS6detail17trampoline_kernelINS0_14default_configENS1_20scan_config_selectorIxEEZZNS1_9scan_implILNS1_25lookback_scan_determinismE0ELb1ELb1ES3_N6thrust23THRUST_200600_302600_NS6detail15normal_iteratorINS9_10device_ptrIxEEEESE_x11max_functorIxExEEDaPvRmT3_T4_T5_mT6_P12ihipStream_tbENKUlT_T0_E_clISt17integral_constantIbLb1EESU_EEDaSP_SQ_EUlSP_E0_NS1_11comp_targetILNS1_3genE4ELNS1_11target_archE910ELNS1_3gpuE8ELNS1_3repE0EEENS1_30default_config_static_selectorELNS0_4arch9wavefront6targetE1EEEvT1_
	.p2align	8
	.type	_ZN7rocprim17ROCPRIM_400000_NS6detail17trampoline_kernelINS0_14default_configENS1_20scan_config_selectorIxEEZZNS1_9scan_implILNS1_25lookback_scan_determinismE0ELb1ELb1ES3_N6thrust23THRUST_200600_302600_NS6detail15normal_iteratorINS9_10device_ptrIxEEEESE_x11max_functorIxExEEDaPvRmT3_T4_T5_mT6_P12ihipStream_tbENKUlT_T0_E_clISt17integral_constantIbLb1EESU_EEDaSP_SQ_EUlSP_E0_NS1_11comp_targetILNS1_3genE4ELNS1_11target_archE910ELNS1_3gpuE8ELNS1_3repE0EEENS1_30default_config_static_selectorELNS0_4arch9wavefront6targetE1EEEvT1_,@function
_ZN7rocprim17ROCPRIM_400000_NS6detail17trampoline_kernelINS0_14default_configENS1_20scan_config_selectorIxEEZZNS1_9scan_implILNS1_25lookback_scan_determinismE0ELb1ELb1ES3_N6thrust23THRUST_200600_302600_NS6detail15normal_iteratorINS9_10device_ptrIxEEEESE_x11max_functorIxExEEDaPvRmT3_T4_T5_mT6_P12ihipStream_tbENKUlT_T0_E_clISt17integral_constantIbLb1EESU_EEDaSP_SQ_EUlSP_E0_NS1_11comp_targetILNS1_3genE4ELNS1_11target_archE910ELNS1_3gpuE8ELNS1_3repE0EEENS1_30default_config_static_selectorELNS0_4arch9wavefront6targetE1EEEvT1_: ; @_ZN7rocprim17ROCPRIM_400000_NS6detail17trampoline_kernelINS0_14default_configENS1_20scan_config_selectorIxEEZZNS1_9scan_implILNS1_25lookback_scan_determinismE0ELb1ELb1ES3_N6thrust23THRUST_200600_302600_NS6detail15normal_iteratorINS9_10device_ptrIxEEEESE_x11max_functorIxExEEDaPvRmT3_T4_T5_mT6_P12ihipStream_tbENKUlT_T0_E_clISt17integral_constantIbLb1EESU_EEDaSP_SQ_EUlSP_E0_NS1_11comp_targetILNS1_3genE4ELNS1_11target_archE910ELNS1_3gpuE8ELNS1_3repE0EEENS1_30default_config_static_selectorELNS0_4arch9wavefront6targetE1EEEvT1_
; %bb.0:
	s_load_dwordx4 s[16:19], s[4:5], 0x0
	v_lshlrev_b32_e32 v24, 3, v0
	s_waitcnt lgkmcnt(0)
	s_load_dwordx2 s[14:15], s[16:17], 0x0
	v_cmp_gt_u32_e32 vcc, s18, v0
	s_waitcnt lgkmcnt(0)
	v_pk_mov_b32 v[2:3], s[14:15], s[14:15] op_sel:[0,1]
	s_and_saveexec_b64 s[0:1], vcc
	s_cbranch_execz .LBB2659_2
; %bb.1:
	global_load_dwordx2 v[2:3], v24, s[16:17]
.LBB2659_2:
	s_or_b64 exec, exec, s[0:1]
	v_or_b32_e32 v1, 0x80, v0
	v_cmp_gt_u32_e64 s[0:1], s18, v1
	v_pk_mov_b32 v[4:5], s[14:15], s[14:15] op_sel:[0,1]
	s_and_saveexec_b64 s[2:3], s[0:1]
	s_cbranch_execz .LBB2659_4
; %bb.3:
	global_load_dwordx2 v[4:5], v24, s[16:17] offset:1024
.LBB2659_4:
	s_or_b64 exec, exec, s[2:3]
	v_or_b32_e32 v1, 0x100, v0
	v_cmp_gt_u32_e64 s[2:3], s18, v1
	v_pk_mov_b32 v[6:7], s[14:15], s[14:15] op_sel:[0,1]
	s_and_saveexec_b64 s[6:7], s[2:3]
	s_cbranch_execz .LBB2659_6
; %bb.5:
	global_load_dwordx2 v[6:7], v24, s[16:17] offset:2048
.LBB2659_6:
	;; [unrolled: 9-line block ×3, first 2 shown]
	s_or_b64 exec, exec, s[6:7]
	v_or_b32_e32 v1, 0x200, v0
	v_cmp_gt_u32_e64 s[6:7], s18, v1
	v_pk_mov_b32 v[10:11], s[14:15], s[14:15] op_sel:[0,1]
	s_and_saveexec_b64 s[8:9], s[6:7]
	s_cbranch_execz .LBB2659_10
; %bb.9:
	v_lshlrev_b32_e32 v1, 3, v1
	global_load_dwordx2 v[10:11], v1, s[16:17]
.LBB2659_10:
	s_or_b64 exec, exec, s[8:9]
	v_or_b32_e32 v1, 0x280, v0
	v_cmp_gt_u32_e64 s[8:9], s18, v1
	v_pk_mov_b32 v[12:13], s[14:15], s[14:15] op_sel:[0,1]
	s_and_saveexec_b64 s[10:11], s[8:9]
	s_cbranch_execz .LBB2659_12
; %bb.11:
	v_lshlrev_b32_e32 v1, 3, v1
	global_load_dwordx2 v[12:13], v1, s[16:17]
.LBB2659_12:
	s_or_b64 exec, exec, s[10:11]
	s_load_dwordx2 s[20:21], s[4:5], 0x10
	v_or_b32_e32 v1, 0x300, v0
	v_cmp_gt_u32_e64 s[10:11], s18, v1
	v_pk_mov_b32 v[14:15], s[14:15], s[14:15] op_sel:[0,1]
	s_and_saveexec_b64 s[14:15], s[10:11]
	s_cbranch_execz .LBB2659_14
; %bb.13:
	v_lshlrev_b32_e32 v1, 3, v1
	global_load_dwordx2 v[14:15], v1, s[16:17]
.LBB2659_14:
	s_or_b64 exec, exec, s[14:15]
	v_mad_u32_u24 v1, v0, 48, v24
	s_waitcnt vmcnt(0)
	ds_write2st64_b64 v24, v[2:3], v[4:5] offset1:2
	ds_write2st64_b64 v24, v[6:7], v[8:9] offset0:4 offset1:6
	ds_write2st64_b64 v24, v[10:11], v[12:13] offset0:8 offset1:10
	ds_write_b64 v24, v[14:15] offset:6144
	s_waitcnt lgkmcnt(0)
	s_barrier
	ds_read2_b64 v[10:13], v1 offset1:1
	ds_read2_b64 v[6:9], v1 offset0:2 offset1:3
	ds_read2_b64 v[2:5], v1 offset0:4 offset1:5
	ds_read_b64 v[14:15], v1 offset:48
	s_load_dwordx2 s[16:17], s[4:5], 0x20
	s_waitcnt lgkmcnt(0)
	v_cmp_gt_i64_e64 s[4:5], v[10:11], v[12:13]
	v_cndmask_b32_e64 v17, v13, v11, s[4:5]
	v_cndmask_b32_e64 v16, v12, v10, s[4:5]
	v_cmp_gt_i64_e64 s[4:5], v[16:17], v[6:7]
	v_cndmask_b32_e64 v17, v7, v17, s[4:5]
	v_cndmask_b32_e64 v16, v6, v16, s[4:5]
	;; [unrolled: 3-line block ×5, first 2 shown]
	v_cmp_gt_i64_e64 s[4:5], v[16:17], v[14:15]
	v_cndmask_b32_e64 v18, v14, v16, s[4:5]
	v_lshrrev_b32_e32 v14, 2, v0
	v_and_b32_e32 v14, 24, v14
	v_cndmask_b32_e64 v19, v15, v17, s[4:5]
	v_add_u32_e32 v14, v24, v14
	v_cmp_gt_u32_e64 s[4:5], 64, v0
	s_barrier
	ds_write_b64 v14, v[18:19]
	s_waitcnt lgkmcnt(0)
	s_barrier
	s_and_saveexec_b64 s[18:19], s[4:5]
	s_cbranch_execz .LBB2659_18
; %bb.15:
	v_lshlrev_b32_e32 v14, 1, v0
	v_lshrrev_b32_e32 v15, 4, v0
	v_add_lshl_u32 v25, v15, v14, 3
	ds_read2_b64 v[14:17], v25 offset1:1
	v_mbcnt_lo_u32_b32 v20, -1, 0
	v_mbcnt_hi_u32_b32 v26, -1, v20
	v_and_b32_e32 v27, 15, v26
	v_and_b32_e32 v29, 16, v26
	s_waitcnt lgkmcnt(0)
	v_cmp_gt_i64_e64 s[4:5], v[14:15], v[16:17]
	v_cndmask_b32_e64 v17, v17, v15, s[4:5]
	v_cndmask_b32_e64 v16, v16, v14, s[4:5]
	v_cmp_ne_u32_e64 s[14:15], 0, v26
	v_mov_b32_dpp v21, v17 row_shr:1 row_mask:0xf bank_mask:0xf
	v_mov_b32_dpp v20, v16 row_shr:1 row_mask:0xf bank_mask:0xf
	v_cmp_gt_i64_e64 s[4:5], v[20:21], v[16:17]
	v_cndmask_b32_e64 v20, v16, v20, s[4:5]
	v_cndmask_b32_e64 v21, v17, v21, s[4:5]
	v_cmp_eq_u32_e64 s[4:5], 0, v27
	v_cndmask_b32_e64 v21, v21, v17, s[4:5]
	v_cndmask_b32_e64 v20, v20, v16, s[4:5]
	s_nop 0
	v_mov_b32_dpp v23, v21 row_shr:2 row_mask:0xf bank_mask:0xf
	v_mov_b32_dpp v22, v20 row_shr:2 row_mask:0xf bank_mask:0xf
	v_cmp_gt_i64_e64 s[4:5], v[22:23], v[20:21]
	v_cndmask_b32_e64 v22, v20, v22, s[4:5]
	v_cndmask_b32_e64 v23, v21, v23, s[4:5]
	v_cmp_lt_u32_e64 s[4:5], 1, v27
	v_cndmask_b32_e64 v21, v21, v23, s[4:5]
	v_cndmask_b32_e64 v20, v20, v22, s[4:5]
	s_nop 0
	v_mov_b32_dpp v23, v21 row_shr:4 row_mask:0xf bank_mask:0xf
	v_mov_b32_dpp v22, v20 row_shr:4 row_mask:0xf bank_mask:0xf
	v_cmp_gt_i64_e64 s[4:5], v[22:23], v[20:21]
	v_cndmask_b32_e64 v22, v20, v22, s[4:5]
	v_cndmask_b32_e64 v23, v21, v23, s[4:5]
	v_cmp_lt_u32_e64 s[4:5], 3, v27
	;; [unrolled: 9-line block ×3, first 2 shown]
	v_cndmask_b32_e64 v21, v21, v23, s[4:5]
	v_cndmask_b32_e64 v20, v20, v22, s[4:5]
	s_nop 0
	v_mov_b32_dpp v23, v21 row_bcast:15 row_mask:0xf bank_mask:0xf
	v_mov_b32_dpp v22, v20 row_bcast:15 row_mask:0xf bank_mask:0xf
	v_cmp_gt_i64_e64 s[4:5], v[22:23], v[20:21]
	v_cndmask_b32_e64 v27, v21, v23, s[4:5]
	v_cndmask_b32_e64 v28, v20, v22, s[4:5]
	v_cmp_eq_u32_e64 s[4:5], 0, v29
	v_cndmask_b32_e64 v23, v27, v21, s[4:5]
	v_cndmask_b32_e64 v22, v28, v20, s[4:5]
	s_nop 0
	v_mov_b32_dpp v23, v23 row_bcast:31 row_mask:0xf bank_mask:0xf
	v_mov_b32_dpp v22, v22 row_bcast:31 row_mask:0xf bank_mask:0xf
	s_and_saveexec_b64 s[22:23], s[14:15]
; %bb.16:
	v_cndmask_b32_e64 v17, v27, v21, s[4:5]
	v_cndmask_b32_e64 v16, v28, v20, s[4:5]
	v_cmp_lt_u32_e64 s[14:15], 31, v26
	v_cmp_gt_i64_e64 s[4:5], v[22:23], v[16:17]
	s_and_b64 s[4:5], s[14:15], s[4:5]
	v_cndmask_b32_e64 v16, v16, v22, s[4:5]
	v_cndmask_b32_e64 v17, v17, v23, s[4:5]
; %bb.17:
	s_or_b64 exec, exec, s[22:23]
	v_add_u32_e32 v20, -1, v26
	v_and_b32_e32 v21, 64, v26
	v_cmp_lt_i32_e64 s[4:5], v20, v21
	v_cndmask_b32_e64 v20, v20, v26, s[4:5]
	v_lshlrev_b32_e32 v20, 2, v20
	ds_bpermute_b32 v16, v20, v16
	ds_bpermute_b32 v17, v20, v17
	; wave barrier
	s_waitcnt lgkmcnt(0)
	v_cmp_gt_i64_e64 s[4:5], v[16:17], v[14:15]
	v_cndmask_b32_e64 v14, v14, v16, s[4:5]
	v_cndmask_b32_e64 v15, v15, v17, s[4:5]
	v_cmp_eq_u32_e64 s[4:5], 0, v0
	v_cndmask_b32_e64 v15, v15, v19, s[4:5]
	v_cndmask_b32_e64 v14, v14, v18, s[4:5]
	ds_write_b64 v25, v[14:15]
	; wave barrier
	ds_read_b64 v[16:17], v25 offset:8
	s_waitcnt lgkmcnt(0)
	v_cmp_gt_i64_e64 s[4:5], v[14:15], v[16:17]
	v_cndmask_b32_e64 v15, v17, v15, s[4:5]
	v_cndmask_b32_e64 v14, v16, v14, s[4:5]
	ds_write_b64 v25, v[14:15] offset:8
.LBB2659_18:
	s_or_b64 exec, exec, s[18:19]
	v_cmp_ne_u32_e64 s[4:5], 0, v0
	v_pk_mov_b32 v[14:15], s[20:21], s[20:21] op_sel:[0,1]
	s_waitcnt lgkmcnt(0)
	s_barrier
	s_and_saveexec_b64 s[14:15], s[4:5]
	s_cbranch_execz .LBB2659_20
; %bb.19:
	v_add_u32_e32 v14, -1, v0
	v_lshrrev_b32_e32 v15, 5, v14
	v_add_lshl_u32 v14, v15, v14, 3
	ds_read_b64 v[14:15], v14
	v_mov_b32_e32 v16, s21
	s_waitcnt lgkmcnt(0)
	v_cmp_gt_i64_e64 s[4:5], s[20:21], v[14:15]
	v_cndmask_b32_e64 v15, v15, v16, s[4:5]
	v_mov_b32_e32 v16, s20
	v_cndmask_b32_e64 v14, v14, v16, s[4:5]
.LBB2659_20:
	s_or_b64 exec, exec, s[14:15]
	v_cmp_gt_i64_e64 s[4:5], v[14:15], v[10:11]
	v_cndmask_b32_e64 v11, v11, v15, s[4:5]
	v_cndmask_b32_e64 v10, v10, v14, s[4:5]
	v_cmp_gt_i64_e64 s[4:5], v[10:11], v[12:13]
	v_cndmask_b32_e64 v13, v13, v11, s[4:5]
	v_cndmask_b32_e64 v12, v12, v10, s[4:5]
	;; [unrolled: 3-line block ×6, first 2 shown]
	s_movk_i32 s4, 0xffd0
	v_mad_i32_i24 v0, v0, s4, v1
	s_barrier
	ds_write2_b64 v1, v[14:15], v[10:11] offset1:1
	ds_write2_b64 v1, v[12:13], v[6:7] offset0:2 offset1:3
	ds_write2_b64 v1, v[8:9], v[2:3] offset0:4 offset1:5
	ds_write_b64 v1, v[4:5] offset:48
	s_waitcnt lgkmcnt(0)
	s_barrier
	ds_read2st64_b64 v[8:11], v0 offset0:2 offset1:4
	ds_read2st64_b64 v[4:7], v0 offset0:6 offset1:8
	ds_read2st64_b64 v[0:3], v0 offset0:10 offset1:12
	v_mov_b32_e32 v13, s17
	v_add_co_u32_e64 v12, s[4:5], s16, v24
	v_addc_co_u32_e64 v13, s[4:5], 0, v13, s[4:5]
	s_and_saveexec_b64 s[4:5], vcc
	s_cbranch_execnz .LBB2659_28
; %bb.21:
	s_or_b64 exec, exec, s[4:5]
	s_and_saveexec_b64 s[4:5], s[0:1]
	s_cbranch_execnz .LBB2659_29
.LBB2659_22:
	s_or_b64 exec, exec, s[4:5]
	s_and_saveexec_b64 s[0:1], s[2:3]
	s_cbranch_execnz .LBB2659_30
.LBB2659_23:
	s_or_b64 exec, exec, s[0:1]
	s_and_saveexec_b64 s[0:1], s[12:13]
	s_cbranch_execnz .LBB2659_31
.LBB2659_24:
	s_or_b64 exec, exec, s[0:1]
	s_and_saveexec_b64 s[0:1], s[6:7]
	s_cbranch_execnz .LBB2659_32
.LBB2659_25:
	s_or_b64 exec, exec, s[0:1]
	s_and_saveexec_b64 s[0:1], s[8:9]
	s_cbranch_execnz .LBB2659_33
.LBB2659_26:
	s_or_b64 exec, exec, s[0:1]
	s_and_saveexec_b64 s[0:1], s[10:11]
	s_cbranch_execnz .LBB2659_34
.LBB2659_27:
	s_endpgm
.LBB2659_28:
	ds_read_b64 v[14:15], v24
	s_waitcnt lgkmcnt(0)
	global_store_dwordx2 v[12:13], v[14:15], off
	s_or_b64 exec, exec, s[4:5]
	s_and_saveexec_b64 s[4:5], s[0:1]
	s_cbranch_execz .LBB2659_22
.LBB2659_29:
	s_waitcnt lgkmcnt(2)
	global_store_dwordx2 v[12:13], v[8:9], off offset:1024
	s_or_b64 exec, exec, s[4:5]
	s_and_saveexec_b64 s[0:1], s[2:3]
	s_cbranch_execz .LBB2659_23
.LBB2659_30:
	s_waitcnt lgkmcnt(2)
	global_store_dwordx2 v[12:13], v[10:11], off offset:2048
	s_or_b64 exec, exec, s[0:1]
	s_and_saveexec_b64 s[0:1], s[12:13]
	s_cbranch_execz .LBB2659_24
.LBB2659_31:
	s_waitcnt lgkmcnt(1)
	global_store_dwordx2 v[12:13], v[4:5], off offset:3072
	s_or_b64 exec, exec, s[0:1]
	s_and_saveexec_b64 s[0:1], s[6:7]
	s_cbranch_execz .LBB2659_25
.LBB2659_32:
	s_waitcnt lgkmcnt(1)
	v_add_co_u32_e32 v4, vcc, 0x1000, v12
	v_addc_co_u32_e32 v5, vcc, 0, v13, vcc
	global_store_dwordx2 v[4:5], v[6:7], off
	s_or_b64 exec, exec, s[0:1]
	s_and_saveexec_b64 s[0:1], s[8:9]
	s_cbranch_execz .LBB2659_26
.LBB2659_33:
	s_waitcnt lgkmcnt(1)
	v_add_co_u32_e32 v4, vcc, 0x1000, v12
	v_addc_co_u32_e32 v5, vcc, 0, v13, vcc
	s_waitcnt lgkmcnt(0)
	global_store_dwordx2 v[4:5], v[0:1], off offset:1024
	s_or_b64 exec, exec, s[0:1]
	s_and_saveexec_b64 s[0:1], s[10:11]
	s_cbranch_execz .LBB2659_27
.LBB2659_34:
	s_waitcnt lgkmcnt(0)
	v_add_co_u32_e32 v0, vcc, 0x1000, v12
	v_addc_co_u32_e32 v1, vcc, 0, v13, vcc
	global_store_dwordx2 v[0:1], v[2:3], off offset:2048
	s_endpgm
	.section	.rodata,"a",@progbits
	.p2align	6, 0x0
	.amdhsa_kernel _ZN7rocprim17ROCPRIM_400000_NS6detail17trampoline_kernelINS0_14default_configENS1_20scan_config_selectorIxEEZZNS1_9scan_implILNS1_25lookback_scan_determinismE0ELb1ELb1ES3_N6thrust23THRUST_200600_302600_NS6detail15normal_iteratorINS9_10device_ptrIxEEEESE_x11max_functorIxExEEDaPvRmT3_T4_T5_mT6_P12ihipStream_tbENKUlT_T0_E_clISt17integral_constantIbLb1EESU_EEDaSP_SQ_EUlSP_E0_NS1_11comp_targetILNS1_3genE4ELNS1_11target_archE910ELNS1_3gpuE8ELNS1_3repE0EEENS1_30default_config_static_selectorELNS0_4arch9wavefront6targetE1EEEvT1_
		.amdhsa_group_segment_fixed_size 7168
		.amdhsa_private_segment_fixed_size 0
		.amdhsa_kernarg_size 40
		.amdhsa_user_sgpr_count 6
		.amdhsa_user_sgpr_private_segment_buffer 1
		.amdhsa_user_sgpr_dispatch_ptr 0
		.amdhsa_user_sgpr_queue_ptr 0
		.amdhsa_user_sgpr_kernarg_segment_ptr 1
		.amdhsa_user_sgpr_dispatch_id 0
		.amdhsa_user_sgpr_flat_scratch_init 0
		.amdhsa_user_sgpr_kernarg_preload_length 0
		.amdhsa_user_sgpr_kernarg_preload_offset 0
		.amdhsa_user_sgpr_private_segment_size 0
		.amdhsa_uses_dynamic_stack 0
		.amdhsa_system_sgpr_private_segment_wavefront_offset 0
		.amdhsa_system_sgpr_workgroup_id_x 1
		.amdhsa_system_sgpr_workgroup_id_y 0
		.amdhsa_system_sgpr_workgroup_id_z 0
		.amdhsa_system_sgpr_workgroup_info 0
		.amdhsa_system_vgpr_workitem_id 0
		.amdhsa_next_free_vgpr 30
		.amdhsa_next_free_sgpr 24
		.amdhsa_accum_offset 32
		.amdhsa_reserve_vcc 1
		.amdhsa_reserve_flat_scratch 0
		.amdhsa_float_round_mode_32 0
		.amdhsa_float_round_mode_16_64 0
		.amdhsa_float_denorm_mode_32 3
		.amdhsa_float_denorm_mode_16_64 3
		.amdhsa_dx10_clamp 1
		.amdhsa_ieee_mode 1
		.amdhsa_fp16_overflow 0
		.amdhsa_tg_split 0
		.amdhsa_exception_fp_ieee_invalid_op 0
		.amdhsa_exception_fp_denorm_src 0
		.amdhsa_exception_fp_ieee_div_zero 0
		.amdhsa_exception_fp_ieee_overflow 0
		.amdhsa_exception_fp_ieee_underflow 0
		.amdhsa_exception_fp_ieee_inexact 0
		.amdhsa_exception_int_div_zero 0
	.end_amdhsa_kernel
	.section	.text._ZN7rocprim17ROCPRIM_400000_NS6detail17trampoline_kernelINS0_14default_configENS1_20scan_config_selectorIxEEZZNS1_9scan_implILNS1_25lookback_scan_determinismE0ELb1ELb1ES3_N6thrust23THRUST_200600_302600_NS6detail15normal_iteratorINS9_10device_ptrIxEEEESE_x11max_functorIxExEEDaPvRmT3_T4_T5_mT6_P12ihipStream_tbENKUlT_T0_E_clISt17integral_constantIbLb1EESU_EEDaSP_SQ_EUlSP_E0_NS1_11comp_targetILNS1_3genE4ELNS1_11target_archE910ELNS1_3gpuE8ELNS1_3repE0EEENS1_30default_config_static_selectorELNS0_4arch9wavefront6targetE1EEEvT1_,"axG",@progbits,_ZN7rocprim17ROCPRIM_400000_NS6detail17trampoline_kernelINS0_14default_configENS1_20scan_config_selectorIxEEZZNS1_9scan_implILNS1_25lookback_scan_determinismE0ELb1ELb1ES3_N6thrust23THRUST_200600_302600_NS6detail15normal_iteratorINS9_10device_ptrIxEEEESE_x11max_functorIxExEEDaPvRmT3_T4_T5_mT6_P12ihipStream_tbENKUlT_T0_E_clISt17integral_constantIbLb1EESU_EEDaSP_SQ_EUlSP_E0_NS1_11comp_targetILNS1_3genE4ELNS1_11target_archE910ELNS1_3gpuE8ELNS1_3repE0EEENS1_30default_config_static_selectorELNS0_4arch9wavefront6targetE1EEEvT1_,comdat
.Lfunc_end2659:
	.size	_ZN7rocprim17ROCPRIM_400000_NS6detail17trampoline_kernelINS0_14default_configENS1_20scan_config_selectorIxEEZZNS1_9scan_implILNS1_25lookback_scan_determinismE0ELb1ELb1ES3_N6thrust23THRUST_200600_302600_NS6detail15normal_iteratorINS9_10device_ptrIxEEEESE_x11max_functorIxExEEDaPvRmT3_T4_T5_mT6_P12ihipStream_tbENKUlT_T0_E_clISt17integral_constantIbLb1EESU_EEDaSP_SQ_EUlSP_E0_NS1_11comp_targetILNS1_3genE4ELNS1_11target_archE910ELNS1_3gpuE8ELNS1_3repE0EEENS1_30default_config_static_selectorELNS0_4arch9wavefront6targetE1EEEvT1_, .Lfunc_end2659-_ZN7rocprim17ROCPRIM_400000_NS6detail17trampoline_kernelINS0_14default_configENS1_20scan_config_selectorIxEEZZNS1_9scan_implILNS1_25lookback_scan_determinismE0ELb1ELb1ES3_N6thrust23THRUST_200600_302600_NS6detail15normal_iteratorINS9_10device_ptrIxEEEESE_x11max_functorIxExEEDaPvRmT3_T4_T5_mT6_P12ihipStream_tbENKUlT_T0_E_clISt17integral_constantIbLb1EESU_EEDaSP_SQ_EUlSP_E0_NS1_11comp_targetILNS1_3genE4ELNS1_11target_archE910ELNS1_3gpuE8ELNS1_3repE0EEENS1_30default_config_static_selectorELNS0_4arch9wavefront6targetE1EEEvT1_
                                        ; -- End function
	.section	.AMDGPU.csdata,"",@progbits
; Kernel info:
; codeLenInByte = 1916
; NumSgprs: 28
; NumVgprs: 30
; NumAgprs: 0
; TotalNumVgprs: 30
; ScratchSize: 0
; MemoryBound: 0
; FloatMode: 240
; IeeeMode: 1
; LDSByteSize: 7168 bytes/workgroup (compile time only)
; SGPRBlocks: 3
; VGPRBlocks: 3
; NumSGPRsForWavesPerEU: 28
; NumVGPRsForWavesPerEU: 30
; AccumOffset: 32
; Occupancy: 5
; WaveLimiterHint : 0
; COMPUTE_PGM_RSRC2:SCRATCH_EN: 0
; COMPUTE_PGM_RSRC2:USER_SGPR: 6
; COMPUTE_PGM_RSRC2:TRAP_HANDLER: 0
; COMPUTE_PGM_RSRC2:TGID_X_EN: 1
; COMPUTE_PGM_RSRC2:TGID_Y_EN: 0
; COMPUTE_PGM_RSRC2:TGID_Z_EN: 0
; COMPUTE_PGM_RSRC2:TIDIG_COMP_CNT: 0
; COMPUTE_PGM_RSRC3_GFX90A:ACCUM_OFFSET: 7
; COMPUTE_PGM_RSRC3_GFX90A:TG_SPLIT: 0
	.section	.text._ZN7rocprim17ROCPRIM_400000_NS6detail17trampoline_kernelINS0_14default_configENS1_20scan_config_selectorIxEEZZNS1_9scan_implILNS1_25lookback_scan_determinismE0ELb1ELb1ES3_N6thrust23THRUST_200600_302600_NS6detail15normal_iteratorINS9_10device_ptrIxEEEESE_x11max_functorIxExEEDaPvRmT3_T4_T5_mT6_P12ihipStream_tbENKUlT_T0_E_clISt17integral_constantIbLb1EESU_EEDaSP_SQ_EUlSP_E0_NS1_11comp_targetILNS1_3genE3ELNS1_11target_archE908ELNS1_3gpuE7ELNS1_3repE0EEENS1_30default_config_static_selectorELNS0_4arch9wavefront6targetE1EEEvT1_,"axG",@progbits,_ZN7rocprim17ROCPRIM_400000_NS6detail17trampoline_kernelINS0_14default_configENS1_20scan_config_selectorIxEEZZNS1_9scan_implILNS1_25lookback_scan_determinismE0ELb1ELb1ES3_N6thrust23THRUST_200600_302600_NS6detail15normal_iteratorINS9_10device_ptrIxEEEESE_x11max_functorIxExEEDaPvRmT3_T4_T5_mT6_P12ihipStream_tbENKUlT_T0_E_clISt17integral_constantIbLb1EESU_EEDaSP_SQ_EUlSP_E0_NS1_11comp_targetILNS1_3genE3ELNS1_11target_archE908ELNS1_3gpuE7ELNS1_3repE0EEENS1_30default_config_static_selectorELNS0_4arch9wavefront6targetE1EEEvT1_,comdat
	.protected	_ZN7rocprim17ROCPRIM_400000_NS6detail17trampoline_kernelINS0_14default_configENS1_20scan_config_selectorIxEEZZNS1_9scan_implILNS1_25lookback_scan_determinismE0ELb1ELb1ES3_N6thrust23THRUST_200600_302600_NS6detail15normal_iteratorINS9_10device_ptrIxEEEESE_x11max_functorIxExEEDaPvRmT3_T4_T5_mT6_P12ihipStream_tbENKUlT_T0_E_clISt17integral_constantIbLb1EESU_EEDaSP_SQ_EUlSP_E0_NS1_11comp_targetILNS1_3genE3ELNS1_11target_archE908ELNS1_3gpuE7ELNS1_3repE0EEENS1_30default_config_static_selectorELNS0_4arch9wavefront6targetE1EEEvT1_ ; -- Begin function _ZN7rocprim17ROCPRIM_400000_NS6detail17trampoline_kernelINS0_14default_configENS1_20scan_config_selectorIxEEZZNS1_9scan_implILNS1_25lookback_scan_determinismE0ELb1ELb1ES3_N6thrust23THRUST_200600_302600_NS6detail15normal_iteratorINS9_10device_ptrIxEEEESE_x11max_functorIxExEEDaPvRmT3_T4_T5_mT6_P12ihipStream_tbENKUlT_T0_E_clISt17integral_constantIbLb1EESU_EEDaSP_SQ_EUlSP_E0_NS1_11comp_targetILNS1_3genE3ELNS1_11target_archE908ELNS1_3gpuE7ELNS1_3repE0EEENS1_30default_config_static_selectorELNS0_4arch9wavefront6targetE1EEEvT1_
	.globl	_ZN7rocprim17ROCPRIM_400000_NS6detail17trampoline_kernelINS0_14default_configENS1_20scan_config_selectorIxEEZZNS1_9scan_implILNS1_25lookback_scan_determinismE0ELb1ELb1ES3_N6thrust23THRUST_200600_302600_NS6detail15normal_iteratorINS9_10device_ptrIxEEEESE_x11max_functorIxExEEDaPvRmT3_T4_T5_mT6_P12ihipStream_tbENKUlT_T0_E_clISt17integral_constantIbLb1EESU_EEDaSP_SQ_EUlSP_E0_NS1_11comp_targetILNS1_3genE3ELNS1_11target_archE908ELNS1_3gpuE7ELNS1_3repE0EEENS1_30default_config_static_selectorELNS0_4arch9wavefront6targetE1EEEvT1_
	.p2align	8
	.type	_ZN7rocprim17ROCPRIM_400000_NS6detail17trampoline_kernelINS0_14default_configENS1_20scan_config_selectorIxEEZZNS1_9scan_implILNS1_25lookback_scan_determinismE0ELb1ELb1ES3_N6thrust23THRUST_200600_302600_NS6detail15normal_iteratorINS9_10device_ptrIxEEEESE_x11max_functorIxExEEDaPvRmT3_T4_T5_mT6_P12ihipStream_tbENKUlT_T0_E_clISt17integral_constantIbLb1EESU_EEDaSP_SQ_EUlSP_E0_NS1_11comp_targetILNS1_3genE3ELNS1_11target_archE908ELNS1_3gpuE7ELNS1_3repE0EEENS1_30default_config_static_selectorELNS0_4arch9wavefront6targetE1EEEvT1_,@function
_ZN7rocprim17ROCPRIM_400000_NS6detail17trampoline_kernelINS0_14default_configENS1_20scan_config_selectorIxEEZZNS1_9scan_implILNS1_25lookback_scan_determinismE0ELb1ELb1ES3_N6thrust23THRUST_200600_302600_NS6detail15normal_iteratorINS9_10device_ptrIxEEEESE_x11max_functorIxExEEDaPvRmT3_T4_T5_mT6_P12ihipStream_tbENKUlT_T0_E_clISt17integral_constantIbLb1EESU_EEDaSP_SQ_EUlSP_E0_NS1_11comp_targetILNS1_3genE3ELNS1_11target_archE908ELNS1_3gpuE7ELNS1_3repE0EEENS1_30default_config_static_selectorELNS0_4arch9wavefront6targetE1EEEvT1_: ; @_ZN7rocprim17ROCPRIM_400000_NS6detail17trampoline_kernelINS0_14default_configENS1_20scan_config_selectorIxEEZZNS1_9scan_implILNS1_25lookback_scan_determinismE0ELb1ELb1ES3_N6thrust23THRUST_200600_302600_NS6detail15normal_iteratorINS9_10device_ptrIxEEEESE_x11max_functorIxExEEDaPvRmT3_T4_T5_mT6_P12ihipStream_tbENKUlT_T0_E_clISt17integral_constantIbLb1EESU_EEDaSP_SQ_EUlSP_E0_NS1_11comp_targetILNS1_3genE3ELNS1_11target_archE908ELNS1_3gpuE7ELNS1_3repE0EEENS1_30default_config_static_selectorELNS0_4arch9wavefront6targetE1EEEvT1_
; %bb.0:
	.section	.rodata,"a",@progbits
	.p2align	6, 0x0
	.amdhsa_kernel _ZN7rocprim17ROCPRIM_400000_NS6detail17trampoline_kernelINS0_14default_configENS1_20scan_config_selectorIxEEZZNS1_9scan_implILNS1_25lookback_scan_determinismE0ELb1ELb1ES3_N6thrust23THRUST_200600_302600_NS6detail15normal_iteratorINS9_10device_ptrIxEEEESE_x11max_functorIxExEEDaPvRmT3_T4_T5_mT6_P12ihipStream_tbENKUlT_T0_E_clISt17integral_constantIbLb1EESU_EEDaSP_SQ_EUlSP_E0_NS1_11comp_targetILNS1_3genE3ELNS1_11target_archE908ELNS1_3gpuE7ELNS1_3repE0EEENS1_30default_config_static_selectorELNS0_4arch9wavefront6targetE1EEEvT1_
		.amdhsa_group_segment_fixed_size 0
		.amdhsa_private_segment_fixed_size 0
		.amdhsa_kernarg_size 40
		.amdhsa_user_sgpr_count 6
		.amdhsa_user_sgpr_private_segment_buffer 1
		.amdhsa_user_sgpr_dispatch_ptr 0
		.amdhsa_user_sgpr_queue_ptr 0
		.amdhsa_user_sgpr_kernarg_segment_ptr 1
		.amdhsa_user_sgpr_dispatch_id 0
		.amdhsa_user_sgpr_flat_scratch_init 0
		.amdhsa_user_sgpr_kernarg_preload_length 0
		.amdhsa_user_sgpr_kernarg_preload_offset 0
		.amdhsa_user_sgpr_private_segment_size 0
		.amdhsa_uses_dynamic_stack 0
		.amdhsa_system_sgpr_private_segment_wavefront_offset 0
		.amdhsa_system_sgpr_workgroup_id_x 1
		.amdhsa_system_sgpr_workgroup_id_y 0
		.amdhsa_system_sgpr_workgroup_id_z 0
		.amdhsa_system_sgpr_workgroup_info 0
		.amdhsa_system_vgpr_workitem_id 0
		.amdhsa_next_free_vgpr 1
		.amdhsa_next_free_sgpr 0
		.amdhsa_accum_offset 4
		.amdhsa_reserve_vcc 0
		.amdhsa_reserve_flat_scratch 0
		.amdhsa_float_round_mode_32 0
		.amdhsa_float_round_mode_16_64 0
		.amdhsa_float_denorm_mode_32 3
		.amdhsa_float_denorm_mode_16_64 3
		.amdhsa_dx10_clamp 1
		.amdhsa_ieee_mode 1
		.amdhsa_fp16_overflow 0
		.amdhsa_tg_split 0
		.amdhsa_exception_fp_ieee_invalid_op 0
		.amdhsa_exception_fp_denorm_src 0
		.amdhsa_exception_fp_ieee_div_zero 0
		.amdhsa_exception_fp_ieee_overflow 0
		.amdhsa_exception_fp_ieee_underflow 0
		.amdhsa_exception_fp_ieee_inexact 0
		.amdhsa_exception_int_div_zero 0
	.end_amdhsa_kernel
	.section	.text._ZN7rocprim17ROCPRIM_400000_NS6detail17trampoline_kernelINS0_14default_configENS1_20scan_config_selectorIxEEZZNS1_9scan_implILNS1_25lookback_scan_determinismE0ELb1ELb1ES3_N6thrust23THRUST_200600_302600_NS6detail15normal_iteratorINS9_10device_ptrIxEEEESE_x11max_functorIxExEEDaPvRmT3_T4_T5_mT6_P12ihipStream_tbENKUlT_T0_E_clISt17integral_constantIbLb1EESU_EEDaSP_SQ_EUlSP_E0_NS1_11comp_targetILNS1_3genE3ELNS1_11target_archE908ELNS1_3gpuE7ELNS1_3repE0EEENS1_30default_config_static_selectorELNS0_4arch9wavefront6targetE1EEEvT1_,"axG",@progbits,_ZN7rocprim17ROCPRIM_400000_NS6detail17trampoline_kernelINS0_14default_configENS1_20scan_config_selectorIxEEZZNS1_9scan_implILNS1_25lookback_scan_determinismE0ELb1ELb1ES3_N6thrust23THRUST_200600_302600_NS6detail15normal_iteratorINS9_10device_ptrIxEEEESE_x11max_functorIxExEEDaPvRmT3_T4_T5_mT6_P12ihipStream_tbENKUlT_T0_E_clISt17integral_constantIbLb1EESU_EEDaSP_SQ_EUlSP_E0_NS1_11comp_targetILNS1_3genE3ELNS1_11target_archE908ELNS1_3gpuE7ELNS1_3repE0EEENS1_30default_config_static_selectorELNS0_4arch9wavefront6targetE1EEEvT1_,comdat
.Lfunc_end2660:
	.size	_ZN7rocprim17ROCPRIM_400000_NS6detail17trampoline_kernelINS0_14default_configENS1_20scan_config_selectorIxEEZZNS1_9scan_implILNS1_25lookback_scan_determinismE0ELb1ELb1ES3_N6thrust23THRUST_200600_302600_NS6detail15normal_iteratorINS9_10device_ptrIxEEEESE_x11max_functorIxExEEDaPvRmT3_T4_T5_mT6_P12ihipStream_tbENKUlT_T0_E_clISt17integral_constantIbLb1EESU_EEDaSP_SQ_EUlSP_E0_NS1_11comp_targetILNS1_3genE3ELNS1_11target_archE908ELNS1_3gpuE7ELNS1_3repE0EEENS1_30default_config_static_selectorELNS0_4arch9wavefront6targetE1EEEvT1_, .Lfunc_end2660-_ZN7rocprim17ROCPRIM_400000_NS6detail17trampoline_kernelINS0_14default_configENS1_20scan_config_selectorIxEEZZNS1_9scan_implILNS1_25lookback_scan_determinismE0ELb1ELb1ES3_N6thrust23THRUST_200600_302600_NS6detail15normal_iteratorINS9_10device_ptrIxEEEESE_x11max_functorIxExEEDaPvRmT3_T4_T5_mT6_P12ihipStream_tbENKUlT_T0_E_clISt17integral_constantIbLb1EESU_EEDaSP_SQ_EUlSP_E0_NS1_11comp_targetILNS1_3genE3ELNS1_11target_archE908ELNS1_3gpuE7ELNS1_3repE0EEENS1_30default_config_static_selectorELNS0_4arch9wavefront6targetE1EEEvT1_
                                        ; -- End function
	.section	.AMDGPU.csdata,"",@progbits
; Kernel info:
; codeLenInByte = 0
; NumSgprs: 4
; NumVgprs: 0
; NumAgprs: 0
; TotalNumVgprs: 0
; ScratchSize: 0
; MemoryBound: 0
; FloatMode: 240
; IeeeMode: 1
; LDSByteSize: 0 bytes/workgroup (compile time only)
; SGPRBlocks: 0
; VGPRBlocks: 0
; NumSGPRsForWavesPerEU: 4
; NumVGPRsForWavesPerEU: 1
; AccumOffset: 4
; Occupancy: 8
; WaveLimiterHint : 0
; COMPUTE_PGM_RSRC2:SCRATCH_EN: 0
; COMPUTE_PGM_RSRC2:USER_SGPR: 6
; COMPUTE_PGM_RSRC2:TRAP_HANDLER: 0
; COMPUTE_PGM_RSRC2:TGID_X_EN: 1
; COMPUTE_PGM_RSRC2:TGID_Y_EN: 0
; COMPUTE_PGM_RSRC2:TGID_Z_EN: 0
; COMPUTE_PGM_RSRC2:TIDIG_COMP_CNT: 0
; COMPUTE_PGM_RSRC3_GFX90A:ACCUM_OFFSET: 0
; COMPUTE_PGM_RSRC3_GFX90A:TG_SPLIT: 0
	.section	.text._ZN7rocprim17ROCPRIM_400000_NS6detail17trampoline_kernelINS0_14default_configENS1_20scan_config_selectorIxEEZZNS1_9scan_implILNS1_25lookback_scan_determinismE0ELb1ELb1ES3_N6thrust23THRUST_200600_302600_NS6detail15normal_iteratorINS9_10device_ptrIxEEEESE_x11max_functorIxExEEDaPvRmT3_T4_T5_mT6_P12ihipStream_tbENKUlT_T0_E_clISt17integral_constantIbLb1EESU_EEDaSP_SQ_EUlSP_E0_NS1_11comp_targetILNS1_3genE2ELNS1_11target_archE906ELNS1_3gpuE6ELNS1_3repE0EEENS1_30default_config_static_selectorELNS0_4arch9wavefront6targetE1EEEvT1_,"axG",@progbits,_ZN7rocprim17ROCPRIM_400000_NS6detail17trampoline_kernelINS0_14default_configENS1_20scan_config_selectorIxEEZZNS1_9scan_implILNS1_25lookback_scan_determinismE0ELb1ELb1ES3_N6thrust23THRUST_200600_302600_NS6detail15normal_iteratorINS9_10device_ptrIxEEEESE_x11max_functorIxExEEDaPvRmT3_T4_T5_mT6_P12ihipStream_tbENKUlT_T0_E_clISt17integral_constantIbLb1EESU_EEDaSP_SQ_EUlSP_E0_NS1_11comp_targetILNS1_3genE2ELNS1_11target_archE906ELNS1_3gpuE6ELNS1_3repE0EEENS1_30default_config_static_selectorELNS0_4arch9wavefront6targetE1EEEvT1_,comdat
	.protected	_ZN7rocprim17ROCPRIM_400000_NS6detail17trampoline_kernelINS0_14default_configENS1_20scan_config_selectorIxEEZZNS1_9scan_implILNS1_25lookback_scan_determinismE0ELb1ELb1ES3_N6thrust23THRUST_200600_302600_NS6detail15normal_iteratorINS9_10device_ptrIxEEEESE_x11max_functorIxExEEDaPvRmT3_T4_T5_mT6_P12ihipStream_tbENKUlT_T0_E_clISt17integral_constantIbLb1EESU_EEDaSP_SQ_EUlSP_E0_NS1_11comp_targetILNS1_3genE2ELNS1_11target_archE906ELNS1_3gpuE6ELNS1_3repE0EEENS1_30default_config_static_selectorELNS0_4arch9wavefront6targetE1EEEvT1_ ; -- Begin function _ZN7rocprim17ROCPRIM_400000_NS6detail17trampoline_kernelINS0_14default_configENS1_20scan_config_selectorIxEEZZNS1_9scan_implILNS1_25lookback_scan_determinismE0ELb1ELb1ES3_N6thrust23THRUST_200600_302600_NS6detail15normal_iteratorINS9_10device_ptrIxEEEESE_x11max_functorIxExEEDaPvRmT3_T4_T5_mT6_P12ihipStream_tbENKUlT_T0_E_clISt17integral_constantIbLb1EESU_EEDaSP_SQ_EUlSP_E0_NS1_11comp_targetILNS1_3genE2ELNS1_11target_archE906ELNS1_3gpuE6ELNS1_3repE0EEENS1_30default_config_static_selectorELNS0_4arch9wavefront6targetE1EEEvT1_
	.globl	_ZN7rocprim17ROCPRIM_400000_NS6detail17trampoline_kernelINS0_14default_configENS1_20scan_config_selectorIxEEZZNS1_9scan_implILNS1_25lookback_scan_determinismE0ELb1ELb1ES3_N6thrust23THRUST_200600_302600_NS6detail15normal_iteratorINS9_10device_ptrIxEEEESE_x11max_functorIxExEEDaPvRmT3_T4_T5_mT6_P12ihipStream_tbENKUlT_T0_E_clISt17integral_constantIbLb1EESU_EEDaSP_SQ_EUlSP_E0_NS1_11comp_targetILNS1_3genE2ELNS1_11target_archE906ELNS1_3gpuE6ELNS1_3repE0EEENS1_30default_config_static_selectorELNS0_4arch9wavefront6targetE1EEEvT1_
	.p2align	8
	.type	_ZN7rocprim17ROCPRIM_400000_NS6detail17trampoline_kernelINS0_14default_configENS1_20scan_config_selectorIxEEZZNS1_9scan_implILNS1_25lookback_scan_determinismE0ELb1ELb1ES3_N6thrust23THRUST_200600_302600_NS6detail15normal_iteratorINS9_10device_ptrIxEEEESE_x11max_functorIxExEEDaPvRmT3_T4_T5_mT6_P12ihipStream_tbENKUlT_T0_E_clISt17integral_constantIbLb1EESU_EEDaSP_SQ_EUlSP_E0_NS1_11comp_targetILNS1_3genE2ELNS1_11target_archE906ELNS1_3gpuE6ELNS1_3repE0EEENS1_30default_config_static_selectorELNS0_4arch9wavefront6targetE1EEEvT1_,@function
_ZN7rocprim17ROCPRIM_400000_NS6detail17trampoline_kernelINS0_14default_configENS1_20scan_config_selectorIxEEZZNS1_9scan_implILNS1_25lookback_scan_determinismE0ELb1ELb1ES3_N6thrust23THRUST_200600_302600_NS6detail15normal_iteratorINS9_10device_ptrIxEEEESE_x11max_functorIxExEEDaPvRmT3_T4_T5_mT6_P12ihipStream_tbENKUlT_T0_E_clISt17integral_constantIbLb1EESU_EEDaSP_SQ_EUlSP_E0_NS1_11comp_targetILNS1_3genE2ELNS1_11target_archE906ELNS1_3gpuE6ELNS1_3repE0EEENS1_30default_config_static_selectorELNS0_4arch9wavefront6targetE1EEEvT1_: ; @_ZN7rocprim17ROCPRIM_400000_NS6detail17trampoline_kernelINS0_14default_configENS1_20scan_config_selectorIxEEZZNS1_9scan_implILNS1_25lookback_scan_determinismE0ELb1ELb1ES3_N6thrust23THRUST_200600_302600_NS6detail15normal_iteratorINS9_10device_ptrIxEEEESE_x11max_functorIxExEEDaPvRmT3_T4_T5_mT6_P12ihipStream_tbENKUlT_T0_E_clISt17integral_constantIbLb1EESU_EEDaSP_SQ_EUlSP_E0_NS1_11comp_targetILNS1_3genE2ELNS1_11target_archE906ELNS1_3gpuE6ELNS1_3repE0EEENS1_30default_config_static_selectorELNS0_4arch9wavefront6targetE1EEEvT1_
; %bb.0:
	.section	.rodata,"a",@progbits
	.p2align	6, 0x0
	.amdhsa_kernel _ZN7rocprim17ROCPRIM_400000_NS6detail17trampoline_kernelINS0_14default_configENS1_20scan_config_selectorIxEEZZNS1_9scan_implILNS1_25lookback_scan_determinismE0ELb1ELb1ES3_N6thrust23THRUST_200600_302600_NS6detail15normal_iteratorINS9_10device_ptrIxEEEESE_x11max_functorIxExEEDaPvRmT3_T4_T5_mT6_P12ihipStream_tbENKUlT_T0_E_clISt17integral_constantIbLb1EESU_EEDaSP_SQ_EUlSP_E0_NS1_11comp_targetILNS1_3genE2ELNS1_11target_archE906ELNS1_3gpuE6ELNS1_3repE0EEENS1_30default_config_static_selectorELNS0_4arch9wavefront6targetE1EEEvT1_
		.amdhsa_group_segment_fixed_size 0
		.amdhsa_private_segment_fixed_size 0
		.amdhsa_kernarg_size 40
		.amdhsa_user_sgpr_count 6
		.amdhsa_user_sgpr_private_segment_buffer 1
		.amdhsa_user_sgpr_dispatch_ptr 0
		.amdhsa_user_sgpr_queue_ptr 0
		.amdhsa_user_sgpr_kernarg_segment_ptr 1
		.amdhsa_user_sgpr_dispatch_id 0
		.amdhsa_user_sgpr_flat_scratch_init 0
		.amdhsa_user_sgpr_kernarg_preload_length 0
		.amdhsa_user_sgpr_kernarg_preload_offset 0
		.amdhsa_user_sgpr_private_segment_size 0
		.amdhsa_uses_dynamic_stack 0
		.amdhsa_system_sgpr_private_segment_wavefront_offset 0
		.amdhsa_system_sgpr_workgroup_id_x 1
		.amdhsa_system_sgpr_workgroup_id_y 0
		.amdhsa_system_sgpr_workgroup_id_z 0
		.amdhsa_system_sgpr_workgroup_info 0
		.amdhsa_system_vgpr_workitem_id 0
		.amdhsa_next_free_vgpr 1
		.amdhsa_next_free_sgpr 0
		.amdhsa_accum_offset 4
		.amdhsa_reserve_vcc 0
		.amdhsa_reserve_flat_scratch 0
		.amdhsa_float_round_mode_32 0
		.amdhsa_float_round_mode_16_64 0
		.amdhsa_float_denorm_mode_32 3
		.amdhsa_float_denorm_mode_16_64 3
		.amdhsa_dx10_clamp 1
		.amdhsa_ieee_mode 1
		.amdhsa_fp16_overflow 0
		.amdhsa_tg_split 0
		.amdhsa_exception_fp_ieee_invalid_op 0
		.amdhsa_exception_fp_denorm_src 0
		.amdhsa_exception_fp_ieee_div_zero 0
		.amdhsa_exception_fp_ieee_overflow 0
		.amdhsa_exception_fp_ieee_underflow 0
		.amdhsa_exception_fp_ieee_inexact 0
		.amdhsa_exception_int_div_zero 0
	.end_amdhsa_kernel
	.section	.text._ZN7rocprim17ROCPRIM_400000_NS6detail17trampoline_kernelINS0_14default_configENS1_20scan_config_selectorIxEEZZNS1_9scan_implILNS1_25lookback_scan_determinismE0ELb1ELb1ES3_N6thrust23THRUST_200600_302600_NS6detail15normal_iteratorINS9_10device_ptrIxEEEESE_x11max_functorIxExEEDaPvRmT3_T4_T5_mT6_P12ihipStream_tbENKUlT_T0_E_clISt17integral_constantIbLb1EESU_EEDaSP_SQ_EUlSP_E0_NS1_11comp_targetILNS1_3genE2ELNS1_11target_archE906ELNS1_3gpuE6ELNS1_3repE0EEENS1_30default_config_static_selectorELNS0_4arch9wavefront6targetE1EEEvT1_,"axG",@progbits,_ZN7rocprim17ROCPRIM_400000_NS6detail17trampoline_kernelINS0_14default_configENS1_20scan_config_selectorIxEEZZNS1_9scan_implILNS1_25lookback_scan_determinismE0ELb1ELb1ES3_N6thrust23THRUST_200600_302600_NS6detail15normal_iteratorINS9_10device_ptrIxEEEESE_x11max_functorIxExEEDaPvRmT3_T4_T5_mT6_P12ihipStream_tbENKUlT_T0_E_clISt17integral_constantIbLb1EESU_EEDaSP_SQ_EUlSP_E0_NS1_11comp_targetILNS1_3genE2ELNS1_11target_archE906ELNS1_3gpuE6ELNS1_3repE0EEENS1_30default_config_static_selectorELNS0_4arch9wavefront6targetE1EEEvT1_,comdat
.Lfunc_end2661:
	.size	_ZN7rocprim17ROCPRIM_400000_NS6detail17trampoline_kernelINS0_14default_configENS1_20scan_config_selectorIxEEZZNS1_9scan_implILNS1_25lookback_scan_determinismE0ELb1ELb1ES3_N6thrust23THRUST_200600_302600_NS6detail15normal_iteratorINS9_10device_ptrIxEEEESE_x11max_functorIxExEEDaPvRmT3_T4_T5_mT6_P12ihipStream_tbENKUlT_T0_E_clISt17integral_constantIbLb1EESU_EEDaSP_SQ_EUlSP_E0_NS1_11comp_targetILNS1_3genE2ELNS1_11target_archE906ELNS1_3gpuE6ELNS1_3repE0EEENS1_30default_config_static_selectorELNS0_4arch9wavefront6targetE1EEEvT1_, .Lfunc_end2661-_ZN7rocprim17ROCPRIM_400000_NS6detail17trampoline_kernelINS0_14default_configENS1_20scan_config_selectorIxEEZZNS1_9scan_implILNS1_25lookback_scan_determinismE0ELb1ELb1ES3_N6thrust23THRUST_200600_302600_NS6detail15normal_iteratorINS9_10device_ptrIxEEEESE_x11max_functorIxExEEDaPvRmT3_T4_T5_mT6_P12ihipStream_tbENKUlT_T0_E_clISt17integral_constantIbLb1EESU_EEDaSP_SQ_EUlSP_E0_NS1_11comp_targetILNS1_3genE2ELNS1_11target_archE906ELNS1_3gpuE6ELNS1_3repE0EEENS1_30default_config_static_selectorELNS0_4arch9wavefront6targetE1EEEvT1_
                                        ; -- End function
	.section	.AMDGPU.csdata,"",@progbits
; Kernel info:
; codeLenInByte = 0
; NumSgprs: 4
; NumVgprs: 0
; NumAgprs: 0
; TotalNumVgprs: 0
; ScratchSize: 0
; MemoryBound: 0
; FloatMode: 240
; IeeeMode: 1
; LDSByteSize: 0 bytes/workgroup (compile time only)
; SGPRBlocks: 0
; VGPRBlocks: 0
; NumSGPRsForWavesPerEU: 4
; NumVGPRsForWavesPerEU: 1
; AccumOffset: 4
; Occupancy: 8
; WaveLimiterHint : 0
; COMPUTE_PGM_RSRC2:SCRATCH_EN: 0
; COMPUTE_PGM_RSRC2:USER_SGPR: 6
; COMPUTE_PGM_RSRC2:TRAP_HANDLER: 0
; COMPUTE_PGM_RSRC2:TGID_X_EN: 1
; COMPUTE_PGM_RSRC2:TGID_Y_EN: 0
; COMPUTE_PGM_RSRC2:TGID_Z_EN: 0
; COMPUTE_PGM_RSRC2:TIDIG_COMP_CNT: 0
; COMPUTE_PGM_RSRC3_GFX90A:ACCUM_OFFSET: 0
; COMPUTE_PGM_RSRC3_GFX90A:TG_SPLIT: 0
	.section	.text._ZN7rocprim17ROCPRIM_400000_NS6detail17trampoline_kernelINS0_14default_configENS1_20scan_config_selectorIxEEZZNS1_9scan_implILNS1_25lookback_scan_determinismE0ELb1ELb1ES3_N6thrust23THRUST_200600_302600_NS6detail15normal_iteratorINS9_10device_ptrIxEEEESE_x11max_functorIxExEEDaPvRmT3_T4_T5_mT6_P12ihipStream_tbENKUlT_T0_E_clISt17integral_constantIbLb1EESU_EEDaSP_SQ_EUlSP_E0_NS1_11comp_targetILNS1_3genE10ELNS1_11target_archE1201ELNS1_3gpuE5ELNS1_3repE0EEENS1_30default_config_static_selectorELNS0_4arch9wavefront6targetE1EEEvT1_,"axG",@progbits,_ZN7rocprim17ROCPRIM_400000_NS6detail17trampoline_kernelINS0_14default_configENS1_20scan_config_selectorIxEEZZNS1_9scan_implILNS1_25lookback_scan_determinismE0ELb1ELb1ES3_N6thrust23THRUST_200600_302600_NS6detail15normal_iteratorINS9_10device_ptrIxEEEESE_x11max_functorIxExEEDaPvRmT3_T4_T5_mT6_P12ihipStream_tbENKUlT_T0_E_clISt17integral_constantIbLb1EESU_EEDaSP_SQ_EUlSP_E0_NS1_11comp_targetILNS1_3genE10ELNS1_11target_archE1201ELNS1_3gpuE5ELNS1_3repE0EEENS1_30default_config_static_selectorELNS0_4arch9wavefront6targetE1EEEvT1_,comdat
	.protected	_ZN7rocprim17ROCPRIM_400000_NS6detail17trampoline_kernelINS0_14default_configENS1_20scan_config_selectorIxEEZZNS1_9scan_implILNS1_25lookback_scan_determinismE0ELb1ELb1ES3_N6thrust23THRUST_200600_302600_NS6detail15normal_iteratorINS9_10device_ptrIxEEEESE_x11max_functorIxExEEDaPvRmT3_T4_T5_mT6_P12ihipStream_tbENKUlT_T0_E_clISt17integral_constantIbLb1EESU_EEDaSP_SQ_EUlSP_E0_NS1_11comp_targetILNS1_3genE10ELNS1_11target_archE1201ELNS1_3gpuE5ELNS1_3repE0EEENS1_30default_config_static_selectorELNS0_4arch9wavefront6targetE1EEEvT1_ ; -- Begin function _ZN7rocprim17ROCPRIM_400000_NS6detail17trampoline_kernelINS0_14default_configENS1_20scan_config_selectorIxEEZZNS1_9scan_implILNS1_25lookback_scan_determinismE0ELb1ELb1ES3_N6thrust23THRUST_200600_302600_NS6detail15normal_iteratorINS9_10device_ptrIxEEEESE_x11max_functorIxExEEDaPvRmT3_T4_T5_mT6_P12ihipStream_tbENKUlT_T0_E_clISt17integral_constantIbLb1EESU_EEDaSP_SQ_EUlSP_E0_NS1_11comp_targetILNS1_3genE10ELNS1_11target_archE1201ELNS1_3gpuE5ELNS1_3repE0EEENS1_30default_config_static_selectorELNS0_4arch9wavefront6targetE1EEEvT1_
	.globl	_ZN7rocprim17ROCPRIM_400000_NS6detail17trampoline_kernelINS0_14default_configENS1_20scan_config_selectorIxEEZZNS1_9scan_implILNS1_25lookback_scan_determinismE0ELb1ELb1ES3_N6thrust23THRUST_200600_302600_NS6detail15normal_iteratorINS9_10device_ptrIxEEEESE_x11max_functorIxExEEDaPvRmT3_T4_T5_mT6_P12ihipStream_tbENKUlT_T0_E_clISt17integral_constantIbLb1EESU_EEDaSP_SQ_EUlSP_E0_NS1_11comp_targetILNS1_3genE10ELNS1_11target_archE1201ELNS1_3gpuE5ELNS1_3repE0EEENS1_30default_config_static_selectorELNS0_4arch9wavefront6targetE1EEEvT1_
	.p2align	8
	.type	_ZN7rocprim17ROCPRIM_400000_NS6detail17trampoline_kernelINS0_14default_configENS1_20scan_config_selectorIxEEZZNS1_9scan_implILNS1_25lookback_scan_determinismE0ELb1ELb1ES3_N6thrust23THRUST_200600_302600_NS6detail15normal_iteratorINS9_10device_ptrIxEEEESE_x11max_functorIxExEEDaPvRmT3_T4_T5_mT6_P12ihipStream_tbENKUlT_T0_E_clISt17integral_constantIbLb1EESU_EEDaSP_SQ_EUlSP_E0_NS1_11comp_targetILNS1_3genE10ELNS1_11target_archE1201ELNS1_3gpuE5ELNS1_3repE0EEENS1_30default_config_static_selectorELNS0_4arch9wavefront6targetE1EEEvT1_,@function
_ZN7rocprim17ROCPRIM_400000_NS6detail17trampoline_kernelINS0_14default_configENS1_20scan_config_selectorIxEEZZNS1_9scan_implILNS1_25lookback_scan_determinismE0ELb1ELb1ES3_N6thrust23THRUST_200600_302600_NS6detail15normal_iteratorINS9_10device_ptrIxEEEESE_x11max_functorIxExEEDaPvRmT3_T4_T5_mT6_P12ihipStream_tbENKUlT_T0_E_clISt17integral_constantIbLb1EESU_EEDaSP_SQ_EUlSP_E0_NS1_11comp_targetILNS1_3genE10ELNS1_11target_archE1201ELNS1_3gpuE5ELNS1_3repE0EEENS1_30default_config_static_selectorELNS0_4arch9wavefront6targetE1EEEvT1_: ; @_ZN7rocprim17ROCPRIM_400000_NS6detail17trampoline_kernelINS0_14default_configENS1_20scan_config_selectorIxEEZZNS1_9scan_implILNS1_25lookback_scan_determinismE0ELb1ELb1ES3_N6thrust23THRUST_200600_302600_NS6detail15normal_iteratorINS9_10device_ptrIxEEEESE_x11max_functorIxExEEDaPvRmT3_T4_T5_mT6_P12ihipStream_tbENKUlT_T0_E_clISt17integral_constantIbLb1EESU_EEDaSP_SQ_EUlSP_E0_NS1_11comp_targetILNS1_3genE10ELNS1_11target_archE1201ELNS1_3gpuE5ELNS1_3repE0EEENS1_30default_config_static_selectorELNS0_4arch9wavefront6targetE1EEEvT1_
; %bb.0:
	.section	.rodata,"a",@progbits
	.p2align	6, 0x0
	.amdhsa_kernel _ZN7rocprim17ROCPRIM_400000_NS6detail17trampoline_kernelINS0_14default_configENS1_20scan_config_selectorIxEEZZNS1_9scan_implILNS1_25lookback_scan_determinismE0ELb1ELb1ES3_N6thrust23THRUST_200600_302600_NS6detail15normal_iteratorINS9_10device_ptrIxEEEESE_x11max_functorIxExEEDaPvRmT3_T4_T5_mT6_P12ihipStream_tbENKUlT_T0_E_clISt17integral_constantIbLb1EESU_EEDaSP_SQ_EUlSP_E0_NS1_11comp_targetILNS1_3genE10ELNS1_11target_archE1201ELNS1_3gpuE5ELNS1_3repE0EEENS1_30default_config_static_selectorELNS0_4arch9wavefront6targetE1EEEvT1_
		.amdhsa_group_segment_fixed_size 0
		.amdhsa_private_segment_fixed_size 0
		.amdhsa_kernarg_size 40
		.amdhsa_user_sgpr_count 6
		.amdhsa_user_sgpr_private_segment_buffer 1
		.amdhsa_user_sgpr_dispatch_ptr 0
		.amdhsa_user_sgpr_queue_ptr 0
		.amdhsa_user_sgpr_kernarg_segment_ptr 1
		.amdhsa_user_sgpr_dispatch_id 0
		.amdhsa_user_sgpr_flat_scratch_init 0
		.amdhsa_user_sgpr_kernarg_preload_length 0
		.amdhsa_user_sgpr_kernarg_preload_offset 0
		.amdhsa_user_sgpr_private_segment_size 0
		.amdhsa_uses_dynamic_stack 0
		.amdhsa_system_sgpr_private_segment_wavefront_offset 0
		.amdhsa_system_sgpr_workgroup_id_x 1
		.amdhsa_system_sgpr_workgroup_id_y 0
		.amdhsa_system_sgpr_workgroup_id_z 0
		.amdhsa_system_sgpr_workgroup_info 0
		.amdhsa_system_vgpr_workitem_id 0
		.amdhsa_next_free_vgpr 1
		.amdhsa_next_free_sgpr 0
		.amdhsa_accum_offset 4
		.amdhsa_reserve_vcc 0
		.amdhsa_reserve_flat_scratch 0
		.amdhsa_float_round_mode_32 0
		.amdhsa_float_round_mode_16_64 0
		.amdhsa_float_denorm_mode_32 3
		.amdhsa_float_denorm_mode_16_64 3
		.amdhsa_dx10_clamp 1
		.amdhsa_ieee_mode 1
		.amdhsa_fp16_overflow 0
		.amdhsa_tg_split 0
		.amdhsa_exception_fp_ieee_invalid_op 0
		.amdhsa_exception_fp_denorm_src 0
		.amdhsa_exception_fp_ieee_div_zero 0
		.amdhsa_exception_fp_ieee_overflow 0
		.amdhsa_exception_fp_ieee_underflow 0
		.amdhsa_exception_fp_ieee_inexact 0
		.amdhsa_exception_int_div_zero 0
	.end_amdhsa_kernel
	.section	.text._ZN7rocprim17ROCPRIM_400000_NS6detail17trampoline_kernelINS0_14default_configENS1_20scan_config_selectorIxEEZZNS1_9scan_implILNS1_25lookback_scan_determinismE0ELb1ELb1ES3_N6thrust23THRUST_200600_302600_NS6detail15normal_iteratorINS9_10device_ptrIxEEEESE_x11max_functorIxExEEDaPvRmT3_T4_T5_mT6_P12ihipStream_tbENKUlT_T0_E_clISt17integral_constantIbLb1EESU_EEDaSP_SQ_EUlSP_E0_NS1_11comp_targetILNS1_3genE10ELNS1_11target_archE1201ELNS1_3gpuE5ELNS1_3repE0EEENS1_30default_config_static_selectorELNS0_4arch9wavefront6targetE1EEEvT1_,"axG",@progbits,_ZN7rocprim17ROCPRIM_400000_NS6detail17trampoline_kernelINS0_14default_configENS1_20scan_config_selectorIxEEZZNS1_9scan_implILNS1_25lookback_scan_determinismE0ELb1ELb1ES3_N6thrust23THRUST_200600_302600_NS6detail15normal_iteratorINS9_10device_ptrIxEEEESE_x11max_functorIxExEEDaPvRmT3_T4_T5_mT6_P12ihipStream_tbENKUlT_T0_E_clISt17integral_constantIbLb1EESU_EEDaSP_SQ_EUlSP_E0_NS1_11comp_targetILNS1_3genE10ELNS1_11target_archE1201ELNS1_3gpuE5ELNS1_3repE0EEENS1_30default_config_static_selectorELNS0_4arch9wavefront6targetE1EEEvT1_,comdat
.Lfunc_end2662:
	.size	_ZN7rocprim17ROCPRIM_400000_NS6detail17trampoline_kernelINS0_14default_configENS1_20scan_config_selectorIxEEZZNS1_9scan_implILNS1_25lookback_scan_determinismE0ELb1ELb1ES3_N6thrust23THRUST_200600_302600_NS6detail15normal_iteratorINS9_10device_ptrIxEEEESE_x11max_functorIxExEEDaPvRmT3_T4_T5_mT6_P12ihipStream_tbENKUlT_T0_E_clISt17integral_constantIbLb1EESU_EEDaSP_SQ_EUlSP_E0_NS1_11comp_targetILNS1_3genE10ELNS1_11target_archE1201ELNS1_3gpuE5ELNS1_3repE0EEENS1_30default_config_static_selectorELNS0_4arch9wavefront6targetE1EEEvT1_, .Lfunc_end2662-_ZN7rocprim17ROCPRIM_400000_NS6detail17trampoline_kernelINS0_14default_configENS1_20scan_config_selectorIxEEZZNS1_9scan_implILNS1_25lookback_scan_determinismE0ELb1ELb1ES3_N6thrust23THRUST_200600_302600_NS6detail15normal_iteratorINS9_10device_ptrIxEEEESE_x11max_functorIxExEEDaPvRmT3_T4_T5_mT6_P12ihipStream_tbENKUlT_T0_E_clISt17integral_constantIbLb1EESU_EEDaSP_SQ_EUlSP_E0_NS1_11comp_targetILNS1_3genE10ELNS1_11target_archE1201ELNS1_3gpuE5ELNS1_3repE0EEENS1_30default_config_static_selectorELNS0_4arch9wavefront6targetE1EEEvT1_
                                        ; -- End function
	.section	.AMDGPU.csdata,"",@progbits
; Kernel info:
; codeLenInByte = 0
; NumSgprs: 4
; NumVgprs: 0
; NumAgprs: 0
; TotalNumVgprs: 0
; ScratchSize: 0
; MemoryBound: 0
; FloatMode: 240
; IeeeMode: 1
; LDSByteSize: 0 bytes/workgroup (compile time only)
; SGPRBlocks: 0
; VGPRBlocks: 0
; NumSGPRsForWavesPerEU: 4
; NumVGPRsForWavesPerEU: 1
; AccumOffset: 4
; Occupancy: 8
; WaveLimiterHint : 0
; COMPUTE_PGM_RSRC2:SCRATCH_EN: 0
; COMPUTE_PGM_RSRC2:USER_SGPR: 6
; COMPUTE_PGM_RSRC2:TRAP_HANDLER: 0
; COMPUTE_PGM_RSRC2:TGID_X_EN: 1
; COMPUTE_PGM_RSRC2:TGID_Y_EN: 0
; COMPUTE_PGM_RSRC2:TGID_Z_EN: 0
; COMPUTE_PGM_RSRC2:TIDIG_COMP_CNT: 0
; COMPUTE_PGM_RSRC3_GFX90A:ACCUM_OFFSET: 0
; COMPUTE_PGM_RSRC3_GFX90A:TG_SPLIT: 0
	.section	.text._ZN7rocprim17ROCPRIM_400000_NS6detail17trampoline_kernelINS0_14default_configENS1_20scan_config_selectorIxEEZZNS1_9scan_implILNS1_25lookback_scan_determinismE0ELb1ELb1ES3_N6thrust23THRUST_200600_302600_NS6detail15normal_iteratorINS9_10device_ptrIxEEEESE_x11max_functorIxExEEDaPvRmT3_T4_T5_mT6_P12ihipStream_tbENKUlT_T0_E_clISt17integral_constantIbLb1EESU_EEDaSP_SQ_EUlSP_E0_NS1_11comp_targetILNS1_3genE10ELNS1_11target_archE1200ELNS1_3gpuE4ELNS1_3repE0EEENS1_30default_config_static_selectorELNS0_4arch9wavefront6targetE1EEEvT1_,"axG",@progbits,_ZN7rocprim17ROCPRIM_400000_NS6detail17trampoline_kernelINS0_14default_configENS1_20scan_config_selectorIxEEZZNS1_9scan_implILNS1_25lookback_scan_determinismE0ELb1ELb1ES3_N6thrust23THRUST_200600_302600_NS6detail15normal_iteratorINS9_10device_ptrIxEEEESE_x11max_functorIxExEEDaPvRmT3_T4_T5_mT6_P12ihipStream_tbENKUlT_T0_E_clISt17integral_constantIbLb1EESU_EEDaSP_SQ_EUlSP_E0_NS1_11comp_targetILNS1_3genE10ELNS1_11target_archE1200ELNS1_3gpuE4ELNS1_3repE0EEENS1_30default_config_static_selectorELNS0_4arch9wavefront6targetE1EEEvT1_,comdat
	.protected	_ZN7rocprim17ROCPRIM_400000_NS6detail17trampoline_kernelINS0_14default_configENS1_20scan_config_selectorIxEEZZNS1_9scan_implILNS1_25lookback_scan_determinismE0ELb1ELb1ES3_N6thrust23THRUST_200600_302600_NS6detail15normal_iteratorINS9_10device_ptrIxEEEESE_x11max_functorIxExEEDaPvRmT3_T4_T5_mT6_P12ihipStream_tbENKUlT_T0_E_clISt17integral_constantIbLb1EESU_EEDaSP_SQ_EUlSP_E0_NS1_11comp_targetILNS1_3genE10ELNS1_11target_archE1200ELNS1_3gpuE4ELNS1_3repE0EEENS1_30default_config_static_selectorELNS0_4arch9wavefront6targetE1EEEvT1_ ; -- Begin function _ZN7rocprim17ROCPRIM_400000_NS6detail17trampoline_kernelINS0_14default_configENS1_20scan_config_selectorIxEEZZNS1_9scan_implILNS1_25lookback_scan_determinismE0ELb1ELb1ES3_N6thrust23THRUST_200600_302600_NS6detail15normal_iteratorINS9_10device_ptrIxEEEESE_x11max_functorIxExEEDaPvRmT3_T4_T5_mT6_P12ihipStream_tbENKUlT_T0_E_clISt17integral_constantIbLb1EESU_EEDaSP_SQ_EUlSP_E0_NS1_11comp_targetILNS1_3genE10ELNS1_11target_archE1200ELNS1_3gpuE4ELNS1_3repE0EEENS1_30default_config_static_selectorELNS0_4arch9wavefront6targetE1EEEvT1_
	.globl	_ZN7rocprim17ROCPRIM_400000_NS6detail17trampoline_kernelINS0_14default_configENS1_20scan_config_selectorIxEEZZNS1_9scan_implILNS1_25lookback_scan_determinismE0ELb1ELb1ES3_N6thrust23THRUST_200600_302600_NS6detail15normal_iteratorINS9_10device_ptrIxEEEESE_x11max_functorIxExEEDaPvRmT3_T4_T5_mT6_P12ihipStream_tbENKUlT_T0_E_clISt17integral_constantIbLb1EESU_EEDaSP_SQ_EUlSP_E0_NS1_11comp_targetILNS1_3genE10ELNS1_11target_archE1200ELNS1_3gpuE4ELNS1_3repE0EEENS1_30default_config_static_selectorELNS0_4arch9wavefront6targetE1EEEvT1_
	.p2align	8
	.type	_ZN7rocprim17ROCPRIM_400000_NS6detail17trampoline_kernelINS0_14default_configENS1_20scan_config_selectorIxEEZZNS1_9scan_implILNS1_25lookback_scan_determinismE0ELb1ELb1ES3_N6thrust23THRUST_200600_302600_NS6detail15normal_iteratorINS9_10device_ptrIxEEEESE_x11max_functorIxExEEDaPvRmT3_T4_T5_mT6_P12ihipStream_tbENKUlT_T0_E_clISt17integral_constantIbLb1EESU_EEDaSP_SQ_EUlSP_E0_NS1_11comp_targetILNS1_3genE10ELNS1_11target_archE1200ELNS1_3gpuE4ELNS1_3repE0EEENS1_30default_config_static_selectorELNS0_4arch9wavefront6targetE1EEEvT1_,@function
_ZN7rocprim17ROCPRIM_400000_NS6detail17trampoline_kernelINS0_14default_configENS1_20scan_config_selectorIxEEZZNS1_9scan_implILNS1_25lookback_scan_determinismE0ELb1ELb1ES3_N6thrust23THRUST_200600_302600_NS6detail15normal_iteratorINS9_10device_ptrIxEEEESE_x11max_functorIxExEEDaPvRmT3_T4_T5_mT6_P12ihipStream_tbENKUlT_T0_E_clISt17integral_constantIbLb1EESU_EEDaSP_SQ_EUlSP_E0_NS1_11comp_targetILNS1_3genE10ELNS1_11target_archE1200ELNS1_3gpuE4ELNS1_3repE0EEENS1_30default_config_static_selectorELNS0_4arch9wavefront6targetE1EEEvT1_: ; @_ZN7rocprim17ROCPRIM_400000_NS6detail17trampoline_kernelINS0_14default_configENS1_20scan_config_selectorIxEEZZNS1_9scan_implILNS1_25lookback_scan_determinismE0ELb1ELb1ES3_N6thrust23THRUST_200600_302600_NS6detail15normal_iteratorINS9_10device_ptrIxEEEESE_x11max_functorIxExEEDaPvRmT3_T4_T5_mT6_P12ihipStream_tbENKUlT_T0_E_clISt17integral_constantIbLb1EESU_EEDaSP_SQ_EUlSP_E0_NS1_11comp_targetILNS1_3genE10ELNS1_11target_archE1200ELNS1_3gpuE4ELNS1_3repE0EEENS1_30default_config_static_selectorELNS0_4arch9wavefront6targetE1EEEvT1_
; %bb.0:
	.section	.rodata,"a",@progbits
	.p2align	6, 0x0
	.amdhsa_kernel _ZN7rocprim17ROCPRIM_400000_NS6detail17trampoline_kernelINS0_14default_configENS1_20scan_config_selectorIxEEZZNS1_9scan_implILNS1_25lookback_scan_determinismE0ELb1ELb1ES3_N6thrust23THRUST_200600_302600_NS6detail15normal_iteratorINS9_10device_ptrIxEEEESE_x11max_functorIxExEEDaPvRmT3_T4_T5_mT6_P12ihipStream_tbENKUlT_T0_E_clISt17integral_constantIbLb1EESU_EEDaSP_SQ_EUlSP_E0_NS1_11comp_targetILNS1_3genE10ELNS1_11target_archE1200ELNS1_3gpuE4ELNS1_3repE0EEENS1_30default_config_static_selectorELNS0_4arch9wavefront6targetE1EEEvT1_
		.amdhsa_group_segment_fixed_size 0
		.amdhsa_private_segment_fixed_size 0
		.amdhsa_kernarg_size 40
		.amdhsa_user_sgpr_count 6
		.amdhsa_user_sgpr_private_segment_buffer 1
		.amdhsa_user_sgpr_dispatch_ptr 0
		.amdhsa_user_sgpr_queue_ptr 0
		.amdhsa_user_sgpr_kernarg_segment_ptr 1
		.amdhsa_user_sgpr_dispatch_id 0
		.amdhsa_user_sgpr_flat_scratch_init 0
		.amdhsa_user_sgpr_kernarg_preload_length 0
		.amdhsa_user_sgpr_kernarg_preload_offset 0
		.amdhsa_user_sgpr_private_segment_size 0
		.amdhsa_uses_dynamic_stack 0
		.amdhsa_system_sgpr_private_segment_wavefront_offset 0
		.amdhsa_system_sgpr_workgroup_id_x 1
		.amdhsa_system_sgpr_workgroup_id_y 0
		.amdhsa_system_sgpr_workgroup_id_z 0
		.amdhsa_system_sgpr_workgroup_info 0
		.amdhsa_system_vgpr_workitem_id 0
		.amdhsa_next_free_vgpr 1
		.amdhsa_next_free_sgpr 0
		.amdhsa_accum_offset 4
		.amdhsa_reserve_vcc 0
		.amdhsa_reserve_flat_scratch 0
		.amdhsa_float_round_mode_32 0
		.amdhsa_float_round_mode_16_64 0
		.amdhsa_float_denorm_mode_32 3
		.amdhsa_float_denorm_mode_16_64 3
		.amdhsa_dx10_clamp 1
		.amdhsa_ieee_mode 1
		.amdhsa_fp16_overflow 0
		.amdhsa_tg_split 0
		.amdhsa_exception_fp_ieee_invalid_op 0
		.amdhsa_exception_fp_denorm_src 0
		.amdhsa_exception_fp_ieee_div_zero 0
		.amdhsa_exception_fp_ieee_overflow 0
		.amdhsa_exception_fp_ieee_underflow 0
		.amdhsa_exception_fp_ieee_inexact 0
		.amdhsa_exception_int_div_zero 0
	.end_amdhsa_kernel
	.section	.text._ZN7rocprim17ROCPRIM_400000_NS6detail17trampoline_kernelINS0_14default_configENS1_20scan_config_selectorIxEEZZNS1_9scan_implILNS1_25lookback_scan_determinismE0ELb1ELb1ES3_N6thrust23THRUST_200600_302600_NS6detail15normal_iteratorINS9_10device_ptrIxEEEESE_x11max_functorIxExEEDaPvRmT3_T4_T5_mT6_P12ihipStream_tbENKUlT_T0_E_clISt17integral_constantIbLb1EESU_EEDaSP_SQ_EUlSP_E0_NS1_11comp_targetILNS1_3genE10ELNS1_11target_archE1200ELNS1_3gpuE4ELNS1_3repE0EEENS1_30default_config_static_selectorELNS0_4arch9wavefront6targetE1EEEvT1_,"axG",@progbits,_ZN7rocprim17ROCPRIM_400000_NS6detail17trampoline_kernelINS0_14default_configENS1_20scan_config_selectorIxEEZZNS1_9scan_implILNS1_25lookback_scan_determinismE0ELb1ELb1ES3_N6thrust23THRUST_200600_302600_NS6detail15normal_iteratorINS9_10device_ptrIxEEEESE_x11max_functorIxExEEDaPvRmT3_T4_T5_mT6_P12ihipStream_tbENKUlT_T0_E_clISt17integral_constantIbLb1EESU_EEDaSP_SQ_EUlSP_E0_NS1_11comp_targetILNS1_3genE10ELNS1_11target_archE1200ELNS1_3gpuE4ELNS1_3repE0EEENS1_30default_config_static_selectorELNS0_4arch9wavefront6targetE1EEEvT1_,comdat
.Lfunc_end2663:
	.size	_ZN7rocprim17ROCPRIM_400000_NS6detail17trampoline_kernelINS0_14default_configENS1_20scan_config_selectorIxEEZZNS1_9scan_implILNS1_25lookback_scan_determinismE0ELb1ELb1ES3_N6thrust23THRUST_200600_302600_NS6detail15normal_iteratorINS9_10device_ptrIxEEEESE_x11max_functorIxExEEDaPvRmT3_T4_T5_mT6_P12ihipStream_tbENKUlT_T0_E_clISt17integral_constantIbLb1EESU_EEDaSP_SQ_EUlSP_E0_NS1_11comp_targetILNS1_3genE10ELNS1_11target_archE1200ELNS1_3gpuE4ELNS1_3repE0EEENS1_30default_config_static_selectorELNS0_4arch9wavefront6targetE1EEEvT1_, .Lfunc_end2663-_ZN7rocprim17ROCPRIM_400000_NS6detail17trampoline_kernelINS0_14default_configENS1_20scan_config_selectorIxEEZZNS1_9scan_implILNS1_25lookback_scan_determinismE0ELb1ELb1ES3_N6thrust23THRUST_200600_302600_NS6detail15normal_iteratorINS9_10device_ptrIxEEEESE_x11max_functorIxExEEDaPvRmT3_T4_T5_mT6_P12ihipStream_tbENKUlT_T0_E_clISt17integral_constantIbLb1EESU_EEDaSP_SQ_EUlSP_E0_NS1_11comp_targetILNS1_3genE10ELNS1_11target_archE1200ELNS1_3gpuE4ELNS1_3repE0EEENS1_30default_config_static_selectorELNS0_4arch9wavefront6targetE1EEEvT1_
                                        ; -- End function
	.section	.AMDGPU.csdata,"",@progbits
; Kernel info:
; codeLenInByte = 0
; NumSgprs: 4
; NumVgprs: 0
; NumAgprs: 0
; TotalNumVgprs: 0
; ScratchSize: 0
; MemoryBound: 0
; FloatMode: 240
; IeeeMode: 1
; LDSByteSize: 0 bytes/workgroup (compile time only)
; SGPRBlocks: 0
; VGPRBlocks: 0
; NumSGPRsForWavesPerEU: 4
; NumVGPRsForWavesPerEU: 1
; AccumOffset: 4
; Occupancy: 8
; WaveLimiterHint : 0
; COMPUTE_PGM_RSRC2:SCRATCH_EN: 0
; COMPUTE_PGM_RSRC2:USER_SGPR: 6
; COMPUTE_PGM_RSRC2:TRAP_HANDLER: 0
; COMPUTE_PGM_RSRC2:TGID_X_EN: 1
; COMPUTE_PGM_RSRC2:TGID_Y_EN: 0
; COMPUTE_PGM_RSRC2:TGID_Z_EN: 0
; COMPUTE_PGM_RSRC2:TIDIG_COMP_CNT: 0
; COMPUTE_PGM_RSRC3_GFX90A:ACCUM_OFFSET: 0
; COMPUTE_PGM_RSRC3_GFX90A:TG_SPLIT: 0
	.section	.text._ZN7rocprim17ROCPRIM_400000_NS6detail17trampoline_kernelINS0_14default_configENS1_20scan_config_selectorIxEEZZNS1_9scan_implILNS1_25lookback_scan_determinismE0ELb1ELb1ES3_N6thrust23THRUST_200600_302600_NS6detail15normal_iteratorINS9_10device_ptrIxEEEESE_x11max_functorIxExEEDaPvRmT3_T4_T5_mT6_P12ihipStream_tbENKUlT_T0_E_clISt17integral_constantIbLb1EESU_EEDaSP_SQ_EUlSP_E0_NS1_11comp_targetILNS1_3genE9ELNS1_11target_archE1100ELNS1_3gpuE3ELNS1_3repE0EEENS1_30default_config_static_selectorELNS0_4arch9wavefront6targetE1EEEvT1_,"axG",@progbits,_ZN7rocprim17ROCPRIM_400000_NS6detail17trampoline_kernelINS0_14default_configENS1_20scan_config_selectorIxEEZZNS1_9scan_implILNS1_25lookback_scan_determinismE0ELb1ELb1ES3_N6thrust23THRUST_200600_302600_NS6detail15normal_iteratorINS9_10device_ptrIxEEEESE_x11max_functorIxExEEDaPvRmT3_T4_T5_mT6_P12ihipStream_tbENKUlT_T0_E_clISt17integral_constantIbLb1EESU_EEDaSP_SQ_EUlSP_E0_NS1_11comp_targetILNS1_3genE9ELNS1_11target_archE1100ELNS1_3gpuE3ELNS1_3repE0EEENS1_30default_config_static_selectorELNS0_4arch9wavefront6targetE1EEEvT1_,comdat
	.protected	_ZN7rocprim17ROCPRIM_400000_NS6detail17trampoline_kernelINS0_14default_configENS1_20scan_config_selectorIxEEZZNS1_9scan_implILNS1_25lookback_scan_determinismE0ELb1ELb1ES3_N6thrust23THRUST_200600_302600_NS6detail15normal_iteratorINS9_10device_ptrIxEEEESE_x11max_functorIxExEEDaPvRmT3_T4_T5_mT6_P12ihipStream_tbENKUlT_T0_E_clISt17integral_constantIbLb1EESU_EEDaSP_SQ_EUlSP_E0_NS1_11comp_targetILNS1_3genE9ELNS1_11target_archE1100ELNS1_3gpuE3ELNS1_3repE0EEENS1_30default_config_static_selectorELNS0_4arch9wavefront6targetE1EEEvT1_ ; -- Begin function _ZN7rocprim17ROCPRIM_400000_NS6detail17trampoline_kernelINS0_14default_configENS1_20scan_config_selectorIxEEZZNS1_9scan_implILNS1_25lookback_scan_determinismE0ELb1ELb1ES3_N6thrust23THRUST_200600_302600_NS6detail15normal_iteratorINS9_10device_ptrIxEEEESE_x11max_functorIxExEEDaPvRmT3_T4_T5_mT6_P12ihipStream_tbENKUlT_T0_E_clISt17integral_constantIbLb1EESU_EEDaSP_SQ_EUlSP_E0_NS1_11comp_targetILNS1_3genE9ELNS1_11target_archE1100ELNS1_3gpuE3ELNS1_3repE0EEENS1_30default_config_static_selectorELNS0_4arch9wavefront6targetE1EEEvT1_
	.globl	_ZN7rocprim17ROCPRIM_400000_NS6detail17trampoline_kernelINS0_14default_configENS1_20scan_config_selectorIxEEZZNS1_9scan_implILNS1_25lookback_scan_determinismE0ELb1ELb1ES3_N6thrust23THRUST_200600_302600_NS6detail15normal_iteratorINS9_10device_ptrIxEEEESE_x11max_functorIxExEEDaPvRmT3_T4_T5_mT6_P12ihipStream_tbENKUlT_T0_E_clISt17integral_constantIbLb1EESU_EEDaSP_SQ_EUlSP_E0_NS1_11comp_targetILNS1_3genE9ELNS1_11target_archE1100ELNS1_3gpuE3ELNS1_3repE0EEENS1_30default_config_static_selectorELNS0_4arch9wavefront6targetE1EEEvT1_
	.p2align	8
	.type	_ZN7rocprim17ROCPRIM_400000_NS6detail17trampoline_kernelINS0_14default_configENS1_20scan_config_selectorIxEEZZNS1_9scan_implILNS1_25lookback_scan_determinismE0ELb1ELb1ES3_N6thrust23THRUST_200600_302600_NS6detail15normal_iteratorINS9_10device_ptrIxEEEESE_x11max_functorIxExEEDaPvRmT3_T4_T5_mT6_P12ihipStream_tbENKUlT_T0_E_clISt17integral_constantIbLb1EESU_EEDaSP_SQ_EUlSP_E0_NS1_11comp_targetILNS1_3genE9ELNS1_11target_archE1100ELNS1_3gpuE3ELNS1_3repE0EEENS1_30default_config_static_selectorELNS0_4arch9wavefront6targetE1EEEvT1_,@function
_ZN7rocprim17ROCPRIM_400000_NS6detail17trampoline_kernelINS0_14default_configENS1_20scan_config_selectorIxEEZZNS1_9scan_implILNS1_25lookback_scan_determinismE0ELb1ELb1ES3_N6thrust23THRUST_200600_302600_NS6detail15normal_iteratorINS9_10device_ptrIxEEEESE_x11max_functorIxExEEDaPvRmT3_T4_T5_mT6_P12ihipStream_tbENKUlT_T0_E_clISt17integral_constantIbLb1EESU_EEDaSP_SQ_EUlSP_E0_NS1_11comp_targetILNS1_3genE9ELNS1_11target_archE1100ELNS1_3gpuE3ELNS1_3repE0EEENS1_30default_config_static_selectorELNS0_4arch9wavefront6targetE1EEEvT1_: ; @_ZN7rocprim17ROCPRIM_400000_NS6detail17trampoline_kernelINS0_14default_configENS1_20scan_config_selectorIxEEZZNS1_9scan_implILNS1_25lookback_scan_determinismE0ELb1ELb1ES3_N6thrust23THRUST_200600_302600_NS6detail15normal_iteratorINS9_10device_ptrIxEEEESE_x11max_functorIxExEEDaPvRmT3_T4_T5_mT6_P12ihipStream_tbENKUlT_T0_E_clISt17integral_constantIbLb1EESU_EEDaSP_SQ_EUlSP_E0_NS1_11comp_targetILNS1_3genE9ELNS1_11target_archE1100ELNS1_3gpuE3ELNS1_3repE0EEENS1_30default_config_static_selectorELNS0_4arch9wavefront6targetE1EEEvT1_
; %bb.0:
	.section	.rodata,"a",@progbits
	.p2align	6, 0x0
	.amdhsa_kernel _ZN7rocprim17ROCPRIM_400000_NS6detail17trampoline_kernelINS0_14default_configENS1_20scan_config_selectorIxEEZZNS1_9scan_implILNS1_25lookback_scan_determinismE0ELb1ELb1ES3_N6thrust23THRUST_200600_302600_NS6detail15normal_iteratorINS9_10device_ptrIxEEEESE_x11max_functorIxExEEDaPvRmT3_T4_T5_mT6_P12ihipStream_tbENKUlT_T0_E_clISt17integral_constantIbLb1EESU_EEDaSP_SQ_EUlSP_E0_NS1_11comp_targetILNS1_3genE9ELNS1_11target_archE1100ELNS1_3gpuE3ELNS1_3repE0EEENS1_30default_config_static_selectorELNS0_4arch9wavefront6targetE1EEEvT1_
		.amdhsa_group_segment_fixed_size 0
		.amdhsa_private_segment_fixed_size 0
		.amdhsa_kernarg_size 40
		.amdhsa_user_sgpr_count 6
		.amdhsa_user_sgpr_private_segment_buffer 1
		.amdhsa_user_sgpr_dispatch_ptr 0
		.amdhsa_user_sgpr_queue_ptr 0
		.amdhsa_user_sgpr_kernarg_segment_ptr 1
		.amdhsa_user_sgpr_dispatch_id 0
		.amdhsa_user_sgpr_flat_scratch_init 0
		.amdhsa_user_sgpr_kernarg_preload_length 0
		.amdhsa_user_sgpr_kernarg_preload_offset 0
		.amdhsa_user_sgpr_private_segment_size 0
		.amdhsa_uses_dynamic_stack 0
		.amdhsa_system_sgpr_private_segment_wavefront_offset 0
		.amdhsa_system_sgpr_workgroup_id_x 1
		.amdhsa_system_sgpr_workgroup_id_y 0
		.amdhsa_system_sgpr_workgroup_id_z 0
		.amdhsa_system_sgpr_workgroup_info 0
		.amdhsa_system_vgpr_workitem_id 0
		.amdhsa_next_free_vgpr 1
		.amdhsa_next_free_sgpr 0
		.amdhsa_accum_offset 4
		.amdhsa_reserve_vcc 0
		.amdhsa_reserve_flat_scratch 0
		.amdhsa_float_round_mode_32 0
		.amdhsa_float_round_mode_16_64 0
		.amdhsa_float_denorm_mode_32 3
		.amdhsa_float_denorm_mode_16_64 3
		.amdhsa_dx10_clamp 1
		.amdhsa_ieee_mode 1
		.amdhsa_fp16_overflow 0
		.amdhsa_tg_split 0
		.amdhsa_exception_fp_ieee_invalid_op 0
		.amdhsa_exception_fp_denorm_src 0
		.amdhsa_exception_fp_ieee_div_zero 0
		.amdhsa_exception_fp_ieee_overflow 0
		.amdhsa_exception_fp_ieee_underflow 0
		.amdhsa_exception_fp_ieee_inexact 0
		.amdhsa_exception_int_div_zero 0
	.end_amdhsa_kernel
	.section	.text._ZN7rocprim17ROCPRIM_400000_NS6detail17trampoline_kernelINS0_14default_configENS1_20scan_config_selectorIxEEZZNS1_9scan_implILNS1_25lookback_scan_determinismE0ELb1ELb1ES3_N6thrust23THRUST_200600_302600_NS6detail15normal_iteratorINS9_10device_ptrIxEEEESE_x11max_functorIxExEEDaPvRmT3_T4_T5_mT6_P12ihipStream_tbENKUlT_T0_E_clISt17integral_constantIbLb1EESU_EEDaSP_SQ_EUlSP_E0_NS1_11comp_targetILNS1_3genE9ELNS1_11target_archE1100ELNS1_3gpuE3ELNS1_3repE0EEENS1_30default_config_static_selectorELNS0_4arch9wavefront6targetE1EEEvT1_,"axG",@progbits,_ZN7rocprim17ROCPRIM_400000_NS6detail17trampoline_kernelINS0_14default_configENS1_20scan_config_selectorIxEEZZNS1_9scan_implILNS1_25lookback_scan_determinismE0ELb1ELb1ES3_N6thrust23THRUST_200600_302600_NS6detail15normal_iteratorINS9_10device_ptrIxEEEESE_x11max_functorIxExEEDaPvRmT3_T4_T5_mT6_P12ihipStream_tbENKUlT_T0_E_clISt17integral_constantIbLb1EESU_EEDaSP_SQ_EUlSP_E0_NS1_11comp_targetILNS1_3genE9ELNS1_11target_archE1100ELNS1_3gpuE3ELNS1_3repE0EEENS1_30default_config_static_selectorELNS0_4arch9wavefront6targetE1EEEvT1_,comdat
.Lfunc_end2664:
	.size	_ZN7rocprim17ROCPRIM_400000_NS6detail17trampoline_kernelINS0_14default_configENS1_20scan_config_selectorIxEEZZNS1_9scan_implILNS1_25lookback_scan_determinismE0ELb1ELb1ES3_N6thrust23THRUST_200600_302600_NS6detail15normal_iteratorINS9_10device_ptrIxEEEESE_x11max_functorIxExEEDaPvRmT3_T4_T5_mT6_P12ihipStream_tbENKUlT_T0_E_clISt17integral_constantIbLb1EESU_EEDaSP_SQ_EUlSP_E0_NS1_11comp_targetILNS1_3genE9ELNS1_11target_archE1100ELNS1_3gpuE3ELNS1_3repE0EEENS1_30default_config_static_selectorELNS0_4arch9wavefront6targetE1EEEvT1_, .Lfunc_end2664-_ZN7rocprim17ROCPRIM_400000_NS6detail17trampoline_kernelINS0_14default_configENS1_20scan_config_selectorIxEEZZNS1_9scan_implILNS1_25lookback_scan_determinismE0ELb1ELb1ES3_N6thrust23THRUST_200600_302600_NS6detail15normal_iteratorINS9_10device_ptrIxEEEESE_x11max_functorIxExEEDaPvRmT3_T4_T5_mT6_P12ihipStream_tbENKUlT_T0_E_clISt17integral_constantIbLb1EESU_EEDaSP_SQ_EUlSP_E0_NS1_11comp_targetILNS1_3genE9ELNS1_11target_archE1100ELNS1_3gpuE3ELNS1_3repE0EEENS1_30default_config_static_selectorELNS0_4arch9wavefront6targetE1EEEvT1_
                                        ; -- End function
	.section	.AMDGPU.csdata,"",@progbits
; Kernel info:
; codeLenInByte = 0
; NumSgprs: 4
; NumVgprs: 0
; NumAgprs: 0
; TotalNumVgprs: 0
; ScratchSize: 0
; MemoryBound: 0
; FloatMode: 240
; IeeeMode: 1
; LDSByteSize: 0 bytes/workgroup (compile time only)
; SGPRBlocks: 0
; VGPRBlocks: 0
; NumSGPRsForWavesPerEU: 4
; NumVGPRsForWavesPerEU: 1
; AccumOffset: 4
; Occupancy: 8
; WaveLimiterHint : 0
; COMPUTE_PGM_RSRC2:SCRATCH_EN: 0
; COMPUTE_PGM_RSRC2:USER_SGPR: 6
; COMPUTE_PGM_RSRC2:TRAP_HANDLER: 0
; COMPUTE_PGM_RSRC2:TGID_X_EN: 1
; COMPUTE_PGM_RSRC2:TGID_Y_EN: 0
; COMPUTE_PGM_RSRC2:TGID_Z_EN: 0
; COMPUTE_PGM_RSRC2:TIDIG_COMP_CNT: 0
; COMPUTE_PGM_RSRC3_GFX90A:ACCUM_OFFSET: 0
; COMPUTE_PGM_RSRC3_GFX90A:TG_SPLIT: 0
	.section	.text._ZN7rocprim17ROCPRIM_400000_NS6detail17trampoline_kernelINS0_14default_configENS1_20scan_config_selectorIxEEZZNS1_9scan_implILNS1_25lookback_scan_determinismE0ELb1ELb1ES3_N6thrust23THRUST_200600_302600_NS6detail15normal_iteratorINS9_10device_ptrIxEEEESE_x11max_functorIxExEEDaPvRmT3_T4_T5_mT6_P12ihipStream_tbENKUlT_T0_E_clISt17integral_constantIbLb1EESU_EEDaSP_SQ_EUlSP_E0_NS1_11comp_targetILNS1_3genE8ELNS1_11target_archE1030ELNS1_3gpuE2ELNS1_3repE0EEENS1_30default_config_static_selectorELNS0_4arch9wavefront6targetE1EEEvT1_,"axG",@progbits,_ZN7rocprim17ROCPRIM_400000_NS6detail17trampoline_kernelINS0_14default_configENS1_20scan_config_selectorIxEEZZNS1_9scan_implILNS1_25lookback_scan_determinismE0ELb1ELb1ES3_N6thrust23THRUST_200600_302600_NS6detail15normal_iteratorINS9_10device_ptrIxEEEESE_x11max_functorIxExEEDaPvRmT3_T4_T5_mT6_P12ihipStream_tbENKUlT_T0_E_clISt17integral_constantIbLb1EESU_EEDaSP_SQ_EUlSP_E0_NS1_11comp_targetILNS1_3genE8ELNS1_11target_archE1030ELNS1_3gpuE2ELNS1_3repE0EEENS1_30default_config_static_selectorELNS0_4arch9wavefront6targetE1EEEvT1_,comdat
	.protected	_ZN7rocprim17ROCPRIM_400000_NS6detail17trampoline_kernelINS0_14default_configENS1_20scan_config_selectorIxEEZZNS1_9scan_implILNS1_25lookback_scan_determinismE0ELb1ELb1ES3_N6thrust23THRUST_200600_302600_NS6detail15normal_iteratorINS9_10device_ptrIxEEEESE_x11max_functorIxExEEDaPvRmT3_T4_T5_mT6_P12ihipStream_tbENKUlT_T0_E_clISt17integral_constantIbLb1EESU_EEDaSP_SQ_EUlSP_E0_NS1_11comp_targetILNS1_3genE8ELNS1_11target_archE1030ELNS1_3gpuE2ELNS1_3repE0EEENS1_30default_config_static_selectorELNS0_4arch9wavefront6targetE1EEEvT1_ ; -- Begin function _ZN7rocprim17ROCPRIM_400000_NS6detail17trampoline_kernelINS0_14default_configENS1_20scan_config_selectorIxEEZZNS1_9scan_implILNS1_25lookback_scan_determinismE0ELb1ELb1ES3_N6thrust23THRUST_200600_302600_NS6detail15normal_iteratorINS9_10device_ptrIxEEEESE_x11max_functorIxExEEDaPvRmT3_T4_T5_mT6_P12ihipStream_tbENKUlT_T0_E_clISt17integral_constantIbLb1EESU_EEDaSP_SQ_EUlSP_E0_NS1_11comp_targetILNS1_3genE8ELNS1_11target_archE1030ELNS1_3gpuE2ELNS1_3repE0EEENS1_30default_config_static_selectorELNS0_4arch9wavefront6targetE1EEEvT1_
	.globl	_ZN7rocprim17ROCPRIM_400000_NS6detail17trampoline_kernelINS0_14default_configENS1_20scan_config_selectorIxEEZZNS1_9scan_implILNS1_25lookback_scan_determinismE0ELb1ELb1ES3_N6thrust23THRUST_200600_302600_NS6detail15normal_iteratorINS9_10device_ptrIxEEEESE_x11max_functorIxExEEDaPvRmT3_T4_T5_mT6_P12ihipStream_tbENKUlT_T0_E_clISt17integral_constantIbLb1EESU_EEDaSP_SQ_EUlSP_E0_NS1_11comp_targetILNS1_3genE8ELNS1_11target_archE1030ELNS1_3gpuE2ELNS1_3repE0EEENS1_30default_config_static_selectorELNS0_4arch9wavefront6targetE1EEEvT1_
	.p2align	8
	.type	_ZN7rocprim17ROCPRIM_400000_NS6detail17trampoline_kernelINS0_14default_configENS1_20scan_config_selectorIxEEZZNS1_9scan_implILNS1_25lookback_scan_determinismE0ELb1ELb1ES3_N6thrust23THRUST_200600_302600_NS6detail15normal_iteratorINS9_10device_ptrIxEEEESE_x11max_functorIxExEEDaPvRmT3_T4_T5_mT6_P12ihipStream_tbENKUlT_T0_E_clISt17integral_constantIbLb1EESU_EEDaSP_SQ_EUlSP_E0_NS1_11comp_targetILNS1_3genE8ELNS1_11target_archE1030ELNS1_3gpuE2ELNS1_3repE0EEENS1_30default_config_static_selectorELNS0_4arch9wavefront6targetE1EEEvT1_,@function
_ZN7rocprim17ROCPRIM_400000_NS6detail17trampoline_kernelINS0_14default_configENS1_20scan_config_selectorIxEEZZNS1_9scan_implILNS1_25lookback_scan_determinismE0ELb1ELb1ES3_N6thrust23THRUST_200600_302600_NS6detail15normal_iteratorINS9_10device_ptrIxEEEESE_x11max_functorIxExEEDaPvRmT3_T4_T5_mT6_P12ihipStream_tbENKUlT_T0_E_clISt17integral_constantIbLb1EESU_EEDaSP_SQ_EUlSP_E0_NS1_11comp_targetILNS1_3genE8ELNS1_11target_archE1030ELNS1_3gpuE2ELNS1_3repE0EEENS1_30default_config_static_selectorELNS0_4arch9wavefront6targetE1EEEvT1_: ; @_ZN7rocprim17ROCPRIM_400000_NS6detail17trampoline_kernelINS0_14default_configENS1_20scan_config_selectorIxEEZZNS1_9scan_implILNS1_25lookback_scan_determinismE0ELb1ELb1ES3_N6thrust23THRUST_200600_302600_NS6detail15normal_iteratorINS9_10device_ptrIxEEEESE_x11max_functorIxExEEDaPvRmT3_T4_T5_mT6_P12ihipStream_tbENKUlT_T0_E_clISt17integral_constantIbLb1EESU_EEDaSP_SQ_EUlSP_E0_NS1_11comp_targetILNS1_3genE8ELNS1_11target_archE1030ELNS1_3gpuE2ELNS1_3repE0EEENS1_30default_config_static_selectorELNS0_4arch9wavefront6targetE1EEEvT1_
; %bb.0:
	.section	.rodata,"a",@progbits
	.p2align	6, 0x0
	.amdhsa_kernel _ZN7rocprim17ROCPRIM_400000_NS6detail17trampoline_kernelINS0_14default_configENS1_20scan_config_selectorIxEEZZNS1_9scan_implILNS1_25lookback_scan_determinismE0ELb1ELb1ES3_N6thrust23THRUST_200600_302600_NS6detail15normal_iteratorINS9_10device_ptrIxEEEESE_x11max_functorIxExEEDaPvRmT3_T4_T5_mT6_P12ihipStream_tbENKUlT_T0_E_clISt17integral_constantIbLb1EESU_EEDaSP_SQ_EUlSP_E0_NS1_11comp_targetILNS1_3genE8ELNS1_11target_archE1030ELNS1_3gpuE2ELNS1_3repE0EEENS1_30default_config_static_selectorELNS0_4arch9wavefront6targetE1EEEvT1_
		.amdhsa_group_segment_fixed_size 0
		.amdhsa_private_segment_fixed_size 0
		.amdhsa_kernarg_size 40
		.amdhsa_user_sgpr_count 6
		.amdhsa_user_sgpr_private_segment_buffer 1
		.amdhsa_user_sgpr_dispatch_ptr 0
		.amdhsa_user_sgpr_queue_ptr 0
		.amdhsa_user_sgpr_kernarg_segment_ptr 1
		.amdhsa_user_sgpr_dispatch_id 0
		.amdhsa_user_sgpr_flat_scratch_init 0
		.amdhsa_user_sgpr_kernarg_preload_length 0
		.amdhsa_user_sgpr_kernarg_preload_offset 0
		.amdhsa_user_sgpr_private_segment_size 0
		.amdhsa_uses_dynamic_stack 0
		.amdhsa_system_sgpr_private_segment_wavefront_offset 0
		.amdhsa_system_sgpr_workgroup_id_x 1
		.amdhsa_system_sgpr_workgroup_id_y 0
		.amdhsa_system_sgpr_workgroup_id_z 0
		.amdhsa_system_sgpr_workgroup_info 0
		.amdhsa_system_vgpr_workitem_id 0
		.amdhsa_next_free_vgpr 1
		.amdhsa_next_free_sgpr 0
		.amdhsa_accum_offset 4
		.amdhsa_reserve_vcc 0
		.amdhsa_reserve_flat_scratch 0
		.amdhsa_float_round_mode_32 0
		.amdhsa_float_round_mode_16_64 0
		.amdhsa_float_denorm_mode_32 3
		.amdhsa_float_denorm_mode_16_64 3
		.amdhsa_dx10_clamp 1
		.amdhsa_ieee_mode 1
		.amdhsa_fp16_overflow 0
		.amdhsa_tg_split 0
		.amdhsa_exception_fp_ieee_invalid_op 0
		.amdhsa_exception_fp_denorm_src 0
		.amdhsa_exception_fp_ieee_div_zero 0
		.amdhsa_exception_fp_ieee_overflow 0
		.amdhsa_exception_fp_ieee_underflow 0
		.amdhsa_exception_fp_ieee_inexact 0
		.amdhsa_exception_int_div_zero 0
	.end_amdhsa_kernel
	.section	.text._ZN7rocprim17ROCPRIM_400000_NS6detail17trampoline_kernelINS0_14default_configENS1_20scan_config_selectorIxEEZZNS1_9scan_implILNS1_25lookback_scan_determinismE0ELb1ELb1ES3_N6thrust23THRUST_200600_302600_NS6detail15normal_iteratorINS9_10device_ptrIxEEEESE_x11max_functorIxExEEDaPvRmT3_T4_T5_mT6_P12ihipStream_tbENKUlT_T0_E_clISt17integral_constantIbLb1EESU_EEDaSP_SQ_EUlSP_E0_NS1_11comp_targetILNS1_3genE8ELNS1_11target_archE1030ELNS1_3gpuE2ELNS1_3repE0EEENS1_30default_config_static_selectorELNS0_4arch9wavefront6targetE1EEEvT1_,"axG",@progbits,_ZN7rocprim17ROCPRIM_400000_NS6detail17trampoline_kernelINS0_14default_configENS1_20scan_config_selectorIxEEZZNS1_9scan_implILNS1_25lookback_scan_determinismE0ELb1ELb1ES3_N6thrust23THRUST_200600_302600_NS6detail15normal_iteratorINS9_10device_ptrIxEEEESE_x11max_functorIxExEEDaPvRmT3_T4_T5_mT6_P12ihipStream_tbENKUlT_T0_E_clISt17integral_constantIbLb1EESU_EEDaSP_SQ_EUlSP_E0_NS1_11comp_targetILNS1_3genE8ELNS1_11target_archE1030ELNS1_3gpuE2ELNS1_3repE0EEENS1_30default_config_static_selectorELNS0_4arch9wavefront6targetE1EEEvT1_,comdat
.Lfunc_end2665:
	.size	_ZN7rocprim17ROCPRIM_400000_NS6detail17trampoline_kernelINS0_14default_configENS1_20scan_config_selectorIxEEZZNS1_9scan_implILNS1_25lookback_scan_determinismE0ELb1ELb1ES3_N6thrust23THRUST_200600_302600_NS6detail15normal_iteratorINS9_10device_ptrIxEEEESE_x11max_functorIxExEEDaPvRmT3_T4_T5_mT6_P12ihipStream_tbENKUlT_T0_E_clISt17integral_constantIbLb1EESU_EEDaSP_SQ_EUlSP_E0_NS1_11comp_targetILNS1_3genE8ELNS1_11target_archE1030ELNS1_3gpuE2ELNS1_3repE0EEENS1_30default_config_static_selectorELNS0_4arch9wavefront6targetE1EEEvT1_, .Lfunc_end2665-_ZN7rocprim17ROCPRIM_400000_NS6detail17trampoline_kernelINS0_14default_configENS1_20scan_config_selectorIxEEZZNS1_9scan_implILNS1_25lookback_scan_determinismE0ELb1ELb1ES3_N6thrust23THRUST_200600_302600_NS6detail15normal_iteratorINS9_10device_ptrIxEEEESE_x11max_functorIxExEEDaPvRmT3_T4_T5_mT6_P12ihipStream_tbENKUlT_T0_E_clISt17integral_constantIbLb1EESU_EEDaSP_SQ_EUlSP_E0_NS1_11comp_targetILNS1_3genE8ELNS1_11target_archE1030ELNS1_3gpuE2ELNS1_3repE0EEENS1_30default_config_static_selectorELNS0_4arch9wavefront6targetE1EEEvT1_
                                        ; -- End function
	.section	.AMDGPU.csdata,"",@progbits
; Kernel info:
; codeLenInByte = 0
; NumSgprs: 4
; NumVgprs: 0
; NumAgprs: 0
; TotalNumVgprs: 0
; ScratchSize: 0
; MemoryBound: 0
; FloatMode: 240
; IeeeMode: 1
; LDSByteSize: 0 bytes/workgroup (compile time only)
; SGPRBlocks: 0
; VGPRBlocks: 0
; NumSGPRsForWavesPerEU: 4
; NumVGPRsForWavesPerEU: 1
; AccumOffset: 4
; Occupancy: 8
; WaveLimiterHint : 0
; COMPUTE_PGM_RSRC2:SCRATCH_EN: 0
; COMPUTE_PGM_RSRC2:USER_SGPR: 6
; COMPUTE_PGM_RSRC2:TRAP_HANDLER: 0
; COMPUTE_PGM_RSRC2:TGID_X_EN: 1
; COMPUTE_PGM_RSRC2:TGID_Y_EN: 0
; COMPUTE_PGM_RSRC2:TGID_Z_EN: 0
; COMPUTE_PGM_RSRC2:TIDIG_COMP_CNT: 0
; COMPUTE_PGM_RSRC3_GFX90A:ACCUM_OFFSET: 0
; COMPUTE_PGM_RSRC3_GFX90A:TG_SPLIT: 0
	.section	.text._ZN7rocprim17ROCPRIM_400000_NS6detail17trampoline_kernelINS0_14default_configENS1_20scan_config_selectorIxEEZZNS1_9scan_implILNS1_25lookback_scan_determinismE0ELb1ELb1ES3_N6thrust23THRUST_200600_302600_NS6detail15normal_iteratorINS9_10device_ptrIxEEEESE_x11max_functorIxExEEDaPvRmT3_T4_T5_mT6_P12ihipStream_tbENKUlT_T0_E_clISt17integral_constantIbLb1EEST_IbLb0EEEEDaSP_SQ_EUlSP_E_NS1_11comp_targetILNS1_3genE0ELNS1_11target_archE4294967295ELNS1_3gpuE0ELNS1_3repE0EEENS1_30default_config_static_selectorELNS0_4arch9wavefront6targetE1EEEvT1_,"axG",@progbits,_ZN7rocprim17ROCPRIM_400000_NS6detail17trampoline_kernelINS0_14default_configENS1_20scan_config_selectorIxEEZZNS1_9scan_implILNS1_25lookback_scan_determinismE0ELb1ELb1ES3_N6thrust23THRUST_200600_302600_NS6detail15normal_iteratorINS9_10device_ptrIxEEEESE_x11max_functorIxExEEDaPvRmT3_T4_T5_mT6_P12ihipStream_tbENKUlT_T0_E_clISt17integral_constantIbLb1EEST_IbLb0EEEEDaSP_SQ_EUlSP_E_NS1_11comp_targetILNS1_3genE0ELNS1_11target_archE4294967295ELNS1_3gpuE0ELNS1_3repE0EEENS1_30default_config_static_selectorELNS0_4arch9wavefront6targetE1EEEvT1_,comdat
	.protected	_ZN7rocprim17ROCPRIM_400000_NS6detail17trampoline_kernelINS0_14default_configENS1_20scan_config_selectorIxEEZZNS1_9scan_implILNS1_25lookback_scan_determinismE0ELb1ELb1ES3_N6thrust23THRUST_200600_302600_NS6detail15normal_iteratorINS9_10device_ptrIxEEEESE_x11max_functorIxExEEDaPvRmT3_T4_T5_mT6_P12ihipStream_tbENKUlT_T0_E_clISt17integral_constantIbLb1EEST_IbLb0EEEEDaSP_SQ_EUlSP_E_NS1_11comp_targetILNS1_3genE0ELNS1_11target_archE4294967295ELNS1_3gpuE0ELNS1_3repE0EEENS1_30default_config_static_selectorELNS0_4arch9wavefront6targetE1EEEvT1_ ; -- Begin function _ZN7rocprim17ROCPRIM_400000_NS6detail17trampoline_kernelINS0_14default_configENS1_20scan_config_selectorIxEEZZNS1_9scan_implILNS1_25lookback_scan_determinismE0ELb1ELb1ES3_N6thrust23THRUST_200600_302600_NS6detail15normal_iteratorINS9_10device_ptrIxEEEESE_x11max_functorIxExEEDaPvRmT3_T4_T5_mT6_P12ihipStream_tbENKUlT_T0_E_clISt17integral_constantIbLb1EEST_IbLb0EEEEDaSP_SQ_EUlSP_E_NS1_11comp_targetILNS1_3genE0ELNS1_11target_archE4294967295ELNS1_3gpuE0ELNS1_3repE0EEENS1_30default_config_static_selectorELNS0_4arch9wavefront6targetE1EEEvT1_
	.globl	_ZN7rocprim17ROCPRIM_400000_NS6detail17trampoline_kernelINS0_14default_configENS1_20scan_config_selectorIxEEZZNS1_9scan_implILNS1_25lookback_scan_determinismE0ELb1ELb1ES3_N6thrust23THRUST_200600_302600_NS6detail15normal_iteratorINS9_10device_ptrIxEEEESE_x11max_functorIxExEEDaPvRmT3_T4_T5_mT6_P12ihipStream_tbENKUlT_T0_E_clISt17integral_constantIbLb1EEST_IbLb0EEEEDaSP_SQ_EUlSP_E_NS1_11comp_targetILNS1_3genE0ELNS1_11target_archE4294967295ELNS1_3gpuE0ELNS1_3repE0EEENS1_30default_config_static_selectorELNS0_4arch9wavefront6targetE1EEEvT1_
	.p2align	8
	.type	_ZN7rocprim17ROCPRIM_400000_NS6detail17trampoline_kernelINS0_14default_configENS1_20scan_config_selectorIxEEZZNS1_9scan_implILNS1_25lookback_scan_determinismE0ELb1ELb1ES3_N6thrust23THRUST_200600_302600_NS6detail15normal_iteratorINS9_10device_ptrIxEEEESE_x11max_functorIxExEEDaPvRmT3_T4_T5_mT6_P12ihipStream_tbENKUlT_T0_E_clISt17integral_constantIbLb1EEST_IbLb0EEEEDaSP_SQ_EUlSP_E_NS1_11comp_targetILNS1_3genE0ELNS1_11target_archE4294967295ELNS1_3gpuE0ELNS1_3repE0EEENS1_30default_config_static_selectorELNS0_4arch9wavefront6targetE1EEEvT1_,@function
_ZN7rocprim17ROCPRIM_400000_NS6detail17trampoline_kernelINS0_14default_configENS1_20scan_config_selectorIxEEZZNS1_9scan_implILNS1_25lookback_scan_determinismE0ELb1ELb1ES3_N6thrust23THRUST_200600_302600_NS6detail15normal_iteratorINS9_10device_ptrIxEEEESE_x11max_functorIxExEEDaPvRmT3_T4_T5_mT6_P12ihipStream_tbENKUlT_T0_E_clISt17integral_constantIbLb1EEST_IbLb0EEEEDaSP_SQ_EUlSP_E_NS1_11comp_targetILNS1_3genE0ELNS1_11target_archE4294967295ELNS1_3gpuE0ELNS1_3repE0EEENS1_30default_config_static_selectorELNS0_4arch9wavefront6targetE1EEEvT1_: ; @_ZN7rocprim17ROCPRIM_400000_NS6detail17trampoline_kernelINS0_14default_configENS1_20scan_config_selectorIxEEZZNS1_9scan_implILNS1_25lookback_scan_determinismE0ELb1ELb1ES3_N6thrust23THRUST_200600_302600_NS6detail15normal_iteratorINS9_10device_ptrIxEEEESE_x11max_functorIxExEEDaPvRmT3_T4_T5_mT6_P12ihipStream_tbENKUlT_T0_E_clISt17integral_constantIbLb1EEST_IbLb0EEEEDaSP_SQ_EUlSP_E_NS1_11comp_targetILNS1_3genE0ELNS1_11target_archE4294967295ELNS1_3gpuE0ELNS1_3repE0EEENS1_30default_config_static_selectorELNS0_4arch9wavefront6targetE1EEEvT1_
; %bb.0:
	.section	.rodata,"a",@progbits
	.p2align	6, 0x0
	.amdhsa_kernel _ZN7rocprim17ROCPRIM_400000_NS6detail17trampoline_kernelINS0_14default_configENS1_20scan_config_selectorIxEEZZNS1_9scan_implILNS1_25lookback_scan_determinismE0ELb1ELb1ES3_N6thrust23THRUST_200600_302600_NS6detail15normal_iteratorINS9_10device_ptrIxEEEESE_x11max_functorIxExEEDaPvRmT3_T4_T5_mT6_P12ihipStream_tbENKUlT_T0_E_clISt17integral_constantIbLb1EEST_IbLb0EEEEDaSP_SQ_EUlSP_E_NS1_11comp_targetILNS1_3genE0ELNS1_11target_archE4294967295ELNS1_3gpuE0ELNS1_3repE0EEENS1_30default_config_static_selectorELNS0_4arch9wavefront6targetE1EEEvT1_
		.amdhsa_group_segment_fixed_size 0
		.amdhsa_private_segment_fixed_size 0
		.amdhsa_kernarg_size 104
		.amdhsa_user_sgpr_count 6
		.amdhsa_user_sgpr_private_segment_buffer 1
		.amdhsa_user_sgpr_dispatch_ptr 0
		.amdhsa_user_sgpr_queue_ptr 0
		.amdhsa_user_sgpr_kernarg_segment_ptr 1
		.amdhsa_user_sgpr_dispatch_id 0
		.amdhsa_user_sgpr_flat_scratch_init 0
		.amdhsa_user_sgpr_kernarg_preload_length 0
		.amdhsa_user_sgpr_kernarg_preload_offset 0
		.amdhsa_user_sgpr_private_segment_size 0
		.amdhsa_uses_dynamic_stack 0
		.amdhsa_system_sgpr_private_segment_wavefront_offset 0
		.amdhsa_system_sgpr_workgroup_id_x 1
		.amdhsa_system_sgpr_workgroup_id_y 0
		.amdhsa_system_sgpr_workgroup_id_z 0
		.amdhsa_system_sgpr_workgroup_info 0
		.amdhsa_system_vgpr_workitem_id 0
		.amdhsa_next_free_vgpr 1
		.amdhsa_next_free_sgpr 0
		.amdhsa_accum_offset 4
		.amdhsa_reserve_vcc 0
		.amdhsa_reserve_flat_scratch 0
		.amdhsa_float_round_mode_32 0
		.amdhsa_float_round_mode_16_64 0
		.amdhsa_float_denorm_mode_32 3
		.amdhsa_float_denorm_mode_16_64 3
		.amdhsa_dx10_clamp 1
		.amdhsa_ieee_mode 1
		.amdhsa_fp16_overflow 0
		.amdhsa_tg_split 0
		.amdhsa_exception_fp_ieee_invalid_op 0
		.amdhsa_exception_fp_denorm_src 0
		.amdhsa_exception_fp_ieee_div_zero 0
		.amdhsa_exception_fp_ieee_overflow 0
		.amdhsa_exception_fp_ieee_underflow 0
		.amdhsa_exception_fp_ieee_inexact 0
		.amdhsa_exception_int_div_zero 0
	.end_amdhsa_kernel
	.section	.text._ZN7rocprim17ROCPRIM_400000_NS6detail17trampoline_kernelINS0_14default_configENS1_20scan_config_selectorIxEEZZNS1_9scan_implILNS1_25lookback_scan_determinismE0ELb1ELb1ES3_N6thrust23THRUST_200600_302600_NS6detail15normal_iteratorINS9_10device_ptrIxEEEESE_x11max_functorIxExEEDaPvRmT3_T4_T5_mT6_P12ihipStream_tbENKUlT_T0_E_clISt17integral_constantIbLb1EEST_IbLb0EEEEDaSP_SQ_EUlSP_E_NS1_11comp_targetILNS1_3genE0ELNS1_11target_archE4294967295ELNS1_3gpuE0ELNS1_3repE0EEENS1_30default_config_static_selectorELNS0_4arch9wavefront6targetE1EEEvT1_,"axG",@progbits,_ZN7rocprim17ROCPRIM_400000_NS6detail17trampoline_kernelINS0_14default_configENS1_20scan_config_selectorIxEEZZNS1_9scan_implILNS1_25lookback_scan_determinismE0ELb1ELb1ES3_N6thrust23THRUST_200600_302600_NS6detail15normal_iteratorINS9_10device_ptrIxEEEESE_x11max_functorIxExEEDaPvRmT3_T4_T5_mT6_P12ihipStream_tbENKUlT_T0_E_clISt17integral_constantIbLb1EEST_IbLb0EEEEDaSP_SQ_EUlSP_E_NS1_11comp_targetILNS1_3genE0ELNS1_11target_archE4294967295ELNS1_3gpuE0ELNS1_3repE0EEENS1_30default_config_static_selectorELNS0_4arch9wavefront6targetE1EEEvT1_,comdat
.Lfunc_end2666:
	.size	_ZN7rocprim17ROCPRIM_400000_NS6detail17trampoline_kernelINS0_14default_configENS1_20scan_config_selectorIxEEZZNS1_9scan_implILNS1_25lookback_scan_determinismE0ELb1ELb1ES3_N6thrust23THRUST_200600_302600_NS6detail15normal_iteratorINS9_10device_ptrIxEEEESE_x11max_functorIxExEEDaPvRmT3_T4_T5_mT6_P12ihipStream_tbENKUlT_T0_E_clISt17integral_constantIbLb1EEST_IbLb0EEEEDaSP_SQ_EUlSP_E_NS1_11comp_targetILNS1_3genE0ELNS1_11target_archE4294967295ELNS1_3gpuE0ELNS1_3repE0EEENS1_30default_config_static_selectorELNS0_4arch9wavefront6targetE1EEEvT1_, .Lfunc_end2666-_ZN7rocprim17ROCPRIM_400000_NS6detail17trampoline_kernelINS0_14default_configENS1_20scan_config_selectorIxEEZZNS1_9scan_implILNS1_25lookback_scan_determinismE0ELb1ELb1ES3_N6thrust23THRUST_200600_302600_NS6detail15normal_iteratorINS9_10device_ptrIxEEEESE_x11max_functorIxExEEDaPvRmT3_T4_T5_mT6_P12ihipStream_tbENKUlT_T0_E_clISt17integral_constantIbLb1EEST_IbLb0EEEEDaSP_SQ_EUlSP_E_NS1_11comp_targetILNS1_3genE0ELNS1_11target_archE4294967295ELNS1_3gpuE0ELNS1_3repE0EEENS1_30default_config_static_selectorELNS0_4arch9wavefront6targetE1EEEvT1_
                                        ; -- End function
	.section	.AMDGPU.csdata,"",@progbits
; Kernel info:
; codeLenInByte = 0
; NumSgprs: 4
; NumVgprs: 0
; NumAgprs: 0
; TotalNumVgprs: 0
; ScratchSize: 0
; MemoryBound: 0
; FloatMode: 240
; IeeeMode: 1
; LDSByteSize: 0 bytes/workgroup (compile time only)
; SGPRBlocks: 0
; VGPRBlocks: 0
; NumSGPRsForWavesPerEU: 4
; NumVGPRsForWavesPerEU: 1
; AccumOffset: 4
; Occupancy: 8
; WaveLimiterHint : 0
; COMPUTE_PGM_RSRC2:SCRATCH_EN: 0
; COMPUTE_PGM_RSRC2:USER_SGPR: 6
; COMPUTE_PGM_RSRC2:TRAP_HANDLER: 0
; COMPUTE_PGM_RSRC2:TGID_X_EN: 1
; COMPUTE_PGM_RSRC2:TGID_Y_EN: 0
; COMPUTE_PGM_RSRC2:TGID_Z_EN: 0
; COMPUTE_PGM_RSRC2:TIDIG_COMP_CNT: 0
; COMPUTE_PGM_RSRC3_GFX90A:ACCUM_OFFSET: 0
; COMPUTE_PGM_RSRC3_GFX90A:TG_SPLIT: 0
	.section	.text._ZN7rocprim17ROCPRIM_400000_NS6detail17trampoline_kernelINS0_14default_configENS1_20scan_config_selectorIxEEZZNS1_9scan_implILNS1_25lookback_scan_determinismE0ELb1ELb1ES3_N6thrust23THRUST_200600_302600_NS6detail15normal_iteratorINS9_10device_ptrIxEEEESE_x11max_functorIxExEEDaPvRmT3_T4_T5_mT6_P12ihipStream_tbENKUlT_T0_E_clISt17integral_constantIbLb1EEST_IbLb0EEEEDaSP_SQ_EUlSP_E_NS1_11comp_targetILNS1_3genE5ELNS1_11target_archE942ELNS1_3gpuE9ELNS1_3repE0EEENS1_30default_config_static_selectorELNS0_4arch9wavefront6targetE1EEEvT1_,"axG",@progbits,_ZN7rocprim17ROCPRIM_400000_NS6detail17trampoline_kernelINS0_14default_configENS1_20scan_config_selectorIxEEZZNS1_9scan_implILNS1_25lookback_scan_determinismE0ELb1ELb1ES3_N6thrust23THRUST_200600_302600_NS6detail15normal_iteratorINS9_10device_ptrIxEEEESE_x11max_functorIxExEEDaPvRmT3_T4_T5_mT6_P12ihipStream_tbENKUlT_T0_E_clISt17integral_constantIbLb1EEST_IbLb0EEEEDaSP_SQ_EUlSP_E_NS1_11comp_targetILNS1_3genE5ELNS1_11target_archE942ELNS1_3gpuE9ELNS1_3repE0EEENS1_30default_config_static_selectorELNS0_4arch9wavefront6targetE1EEEvT1_,comdat
	.protected	_ZN7rocprim17ROCPRIM_400000_NS6detail17trampoline_kernelINS0_14default_configENS1_20scan_config_selectorIxEEZZNS1_9scan_implILNS1_25lookback_scan_determinismE0ELb1ELb1ES3_N6thrust23THRUST_200600_302600_NS6detail15normal_iteratorINS9_10device_ptrIxEEEESE_x11max_functorIxExEEDaPvRmT3_T4_T5_mT6_P12ihipStream_tbENKUlT_T0_E_clISt17integral_constantIbLb1EEST_IbLb0EEEEDaSP_SQ_EUlSP_E_NS1_11comp_targetILNS1_3genE5ELNS1_11target_archE942ELNS1_3gpuE9ELNS1_3repE0EEENS1_30default_config_static_selectorELNS0_4arch9wavefront6targetE1EEEvT1_ ; -- Begin function _ZN7rocprim17ROCPRIM_400000_NS6detail17trampoline_kernelINS0_14default_configENS1_20scan_config_selectorIxEEZZNS1_9scan_implILNS1_25lookback_scan_determinismE0ELb1ELb1ES3_N6thrust23THRUST_200600_302600_NS6detail15normal_iteratorINS9_10device_ptrIxEEEESE_x11max_functorIxExEEDaPvRmT3_T4_T5_mT6_P12ihipStream_tbENKUlT_T0_E_clISt17integral_constantIbLb1EEST_IbLb0EEEEDaSP_SQ_EUlSP_E_NS1_11comp_targetILNS1_3genE5ELNS1_11target_archE942ELNS1_3gpuE9ELNS1_3repE0EEENS1_30default_config_static_selectorELNS0_4arch9wavefront6targetE1EEEvT1_
	.globl	_ZN7rocprim17ROCPRIM_400000_NS6detail17trampoline_kernelINS0_14default_configENS1_20scan_config_selectorIxEEZZNS1_9scan_implILNS1_25lookback_scan_determinismE0ELb1ELb1ES3_N6thrust23THRUST_200600_302600_NS6detail15normal_iteratorINS9_10device_ptrIxEEEESE_x11max_functorIxExEEDaPvRmT3_T4_T5_mT6_P12ihipStream_tbENKUlT_T0_E_clISt17integral_constantIbLb1EEST_IbLb0EEEEDaSP_SQ_EUlSP_E_NS1_11comp_targetILNS1_3genE5ELNS1_11target_archE942ELNS1_3gpuE9ELNS1_3repE0EEENS1_30default_config_static_selectorELNS0_4arch9wavefront6targetE1EEEvT1_
	.p2align	8
	.type	_ZN7rocprim17ROCPRIM_400000_NS6detail17trampoline_kernelINS0_14default_configENS1_20scan_config_selectorIxEEZZNS1_9scan_implILNS1_25lookback_scan_determinismE0ELb1ELb1ES3_N6thrust23THRUST_200600_302600_NS6detail15normal_iteratorINS9_10device_ptrIxEEEESE_x11max_functorIxExEEDaPvRmT3_T4_T5_mT6_P12ihipStream_tbENKUlT_T0_E_clISt17integral_constantIbLb1EEST_IbLb0EEEEDaSP_SQ_EUlSP_E_NS1_11comp_targetILNS1_3genE5ELNS1_11target_archE942ELNS1_3gpuE9ELNS1_3repE0EEENS1_30default_config_static_selectorELNS0_4arch9wavefront6targetE1EEEvT1_,@function
_ZN7rocprim17ROCPRIM_400000_NS6detail17trampoline_kernelINS0_14default_configENS1_20scan_config_selectorIxEEZZNS1_9scan_implILNS1_25lookback_scan_determinismE0ELb1ELb1ES3_N6thrust23THRUST_200600_302600_NS6detail15normal_iteratorINS9_10device_ptrIxEEEESE_x11max_functorIxExEEDaPvRmT3_T4_T5_mT6_P12ihipStream_tbENKUlT_T0_E_clISt17integral_constantIbLb1EEST_IbLb0EEEEDaSP_SQ_EUlSP_E_NS1_11comp_targetILNS1_3genE5ELNS1_11target_archE942ELNS1_3gpuE9ELNS1_3repE0EEENS1_30default_config_static_selectorELNS0_4arch9wavefront6targetE1EEEvT1_: ; @_ZN7rocprim17ROCPRIM_400000_NS6detail17trampoline_kernelINS0_14default_configENS1_20scan_config_selectorIxEEZZNS1_9scan_implILNS1_25lookback_scan_determinismE0ELb1ELb1ES3_N6thrust23THRUST_200600_302600_NS6detail15normal_iteratorINS9_10device_ptrIxEEEESE_x11max_functorIxExEEDaPvRmT3_T4_T5_mT6_P12ihipStream_tbENKUlT_T0_E_clISt17integral_constantIbLb1EEST_IbLb0EEEEDaSP_SQ_EUlSP_E_NS1_11comp_targetILNS1_3genE5ELNS1_11target_archE942ELNS1_3gpuE9ELNS1_3repE0EEENS1_30default_config_static_selectorELNS0_4arch9wavefront6targetE1EEEvT1_
; %bb.0:
	.section	.rodata,"a",@progbits
	.p2align	6, 0x0
	.amdhsa_kernel _ZN7rocprim17ROCPRIM_400000_NS6detail17trampoline_kernelINS0_14default_configENS1_20scan_config_selectorIxEEZZNS1_9scan_implILNS1_25lookback_scan_determinismE0ELb1ELb1ES3_N6thrust23THRUST_200600_302600_NS6detail15normal_iteratorINS9_10device_ptrIxEEEESE_x11max_functorIxExEEDaPvRmT3_T4_T5_mT6_P12ihipStream_tbENKUlT_T0_E_clISt17integral_constantIbLb1EEST_IbLb0EEEEDaSP_SQ_EUlSP_E_NS1_11comp_targetILNS1_3genE5ELNS1_11target_archE942ELNS1_3gpuE9ELNS1_3repE0EEENS1_30default_config_static_selectorELNS0_4arch9wavefront6targetE1EEEvT1_
		.amdhsa_group_segment_fixed_size 0
		.amdhsa_private_segment_fixed_size 0
		.amdhsa_kernarg_size 104
		.amdhsa_user_sgpr_count 6
		.amdhsa_user_sgpr_private_segment_buffer 1
		.amdhsa_user_sgpr_dispatch_ptr 0
		.amdhsa_user_sgpr_queue_ptr 0
		.amdhsa_user_sgpr_kernarg_segment_ptr 1
		.amdhsa_user_sgpr_dispatch_id 0
		.amdhsa_user_sgpr_flat_scratch_init 0
		.amdhsa_user_sgpr_kernarg_preload_length 0
		.amdhsa_user_sgpr_kernarg_preload_offset 0
		.amdhsa_user_sgpr_private_segment_size 0
		.amdhsa_uses_dynamic_stack 0
		.amdhsa_system_sgpr_private_segment_wavefront_offset 0
		.amdhsa_system_sgpr_workgroup_id_x 1
		.amdhsa_system_sgpr_workgroup_id_y 0
		.amdhsa_system_sgpr_workgroup_id_z 0
		.amdhsa_system_sgpr_workgroup_info 0
		.amdhsa_system_vgpr_workitem_id 0
		.amdhsa_next_free_vgpr 1
		.amdhsa_next_free_sgpr 0
		.amdhsa_accum_offset 4
		.amdhsa_reserve_vcc 0
		.amdhsa_reserve_flat_scratch 0
		.amdhsa_float_round_mode_32 0
		.amdhsa_float_round_mode_16_64 0
		.amdhsa_float_denorm_mode_32 3
		.amdhsa_float_denorm_mode_16_64 3
		.amdhsa_dx10_clamp 1
		.amdhsa_ieee_mode 1
		.amdhsa_fp16_overflow 0
		.amdhsa_tg_split 0
		.amdhsa_exception_fp_ieee_invalid_op 0
		.amdhsa_exception_fp_denorm_src 0
		.amdhsa_exception_fp_ieee_div_zero 0
		.amdhsa_exception_fp_ieee_overflow 0
		.amdhsa_exception_fp_ieee_underflow 0
		.amdhsa_exception_fp_ieee_inexact 0
		.amdhsa_exception_int_div_zero 0
	.end_amdhsa_kernel
	.section	.text._ZN7rocprim17ROCPRIM_400000_NS6detail17trampoline_kernelINS0_14default_configENS1_20scan_config_selectorIxEEZZNS1_9scan_implILNS1_25lookback_scan_determinismE0ELb1ELb1ES3_N6thrust23THRUST_200600_302600_NS6detail15normal_iteratorINS9_10device_ptrIxEEEESE_x11max_functorIxExEEDaPvRmT3_T4_T5_mT6_P12ihipStream_tbENKUlT_T0_E_clISt17integral_constantIbLb1EEST_IbLb0EEEEDaSP_SQ_EUlSP_E_NS1_11comp_targetILNS1_3genE5ELNS1_11target_archE942ELNS1_3gpuE9ELNS1_3repE0EEENS1_30default_config_static_selectorELNS0_4arch9wavefront6targetE1EEEvT1_,"axG",@progbits,_ZN7rocprim17ROCPRIM_400000_NS6detail17trampoline_kernelINS0_14default_configENS1_20scan_config_selectorIxEEZZNS1_9scan_implILNS1_25lookback_scan_determinismE0ELb1ELb1ES3_N6thrust23THRUST_200600_302600_NS6detail15normal_iteratorINS9_10device_ptrIxEEEESE_x11max_functorIxExEEDaPvRmT3_T4_T5_mT6_P12ihipStream_tbENKUlT_T0_E_clISt17integral_constantIbLb1EEST_IbLb0EEEEDaSP_SQ_EUlSP_E_NS1_11comp_targetILNS1_3genE5ELNS1_11target_archE942ELNS1_3gpuE9ELNS1_3repE0EEENS1_30default_config_static_selectorELNS0_4arch9wavefront6targetE1EEEvT1_,comdat
.Lfunc_end2667:
	.size	_ZN7rocprim17ROCPRIM_400000_NS6detail17trampoline_kernelINS0_14default_configENS1_20scan_config_selectorIxEEZZNS1_9scan_implILNS1_25lookback_scan_determinismE0ELb1ELb1ES3_N6thrust23THRUST_200600_302600_NS6detail15normal_iteratorINS9_10device_ptrIxEEEESE_x11max_functorIxExEEDaPvRmT3_T4_T5_mT6_P12ihipStream_tbENKUlT_T0_E_clISt17integral_constantIbLb1EEST_IbLb0EEEEDaSP_SQ_EUlSP_E_NS1_11comp_targetILNS1_3genE5ELNS1_11target_archE942ELNS1_3gpuE9ELNS1_3repE0EEENS1_30default_config_static_selectorELNS0_4arch9wavefront6targetE1EEEvT1_, .Lfunc_end2667-_ZN7rocprim17ROCPRIM_400000_NS6detail17trampoline_kernelINS0_14default_configENS1_20scan_config_selectorIxEEZZNS1_9scan_implILNS1_25lookback_scan_determinismE0ELb1ELb1ES3_N6thrust23THRUST_200600_302600_NS6detail15normal_iteratorINS9_10device_ptrIxEEEESE_x11max_functorIxExEEDaPvRmT3_T4_T5_mT6_P12ihipStream_tbENKUlT_T0_E_clISt17integral_constantIbLb1EEST_IbLb0EEEEDaSP_SQ_EUlSP_E_NS1_11comp_targetILNS1_3genE5ELNS1_11target_archE942ELNS1_3gpuE9ELNS1_3repE0EEENS1_30default_config_static_selectorELNS0_4arch9wavefront6targetE1EEEvT1_
                                        ; -- End function
	.section	.AMDGPU.csdata,"",@progbits
; Kernel info:
; codeLenInByte = 0
; NumSgprs: 4
; NumVgprs: 0
; NumAgprs: 0
; TotalNumVgprs: 0
; ScratchSize: 0
; MemoryBound: 0
; FloatMode: 240
; IeeeMode: 1
; LDSByteSize: 0 bytes/workgroup (compile time only)
; SGPRBlocks: 0
; VGPRBlocks: 0
; NumSGPRsForWavesPerEU: 4
; NumVGPRsForWavesPerEU: 1
; AccumOffset: 4
; Occupancy: 8
; WaveLimiterHint : 0
; COMPUTE_PGM_RSRC2:SCRATCH_EN: 0
; COMPUTE_PGM_RSRC2:USER_SGPR: 6
; COMPUTE_PGM_RSRC2:TRAP_HANDLER: 0
; COMPUTE_PGM_RSRC2:TGID_X_EN: 1
; COMPUTE_PGM_RSRC2:TGID_Y_EN: 0
; COMPUTE_PGM_RSRC2:TGID_Z_EN: 0
; COMPUTE_PGM_RSRC2:TIDIG_COMP_CNT: 0
; COMPUTE_PGM_RSRC3_GFX90A:ACCUM_OFFSET: 0
; COMPUTE_PGM_RSRC3_GFX90A:TG_SPLIT: 0
	.section	.text._ZN7rocprim17ROCPRIM_400000_NS6detail17trampoline_kernelINS0_14default_configENS1_20scan_config_selectorIxEEZZNS1_9scan_implILNS1_25lookback_scan_determinismE0ELb1ELb1ES3_N6thrust23THRUST_200600_302600_NS6detail15normal_iteratorINS9_10device_ptrIxEEEESE_x11max_functorIxExEEDaPvRmT3_T4_T5_mT6_P12ihipStream_tbENKUlT_T0_E_clISt17integral_constantIbLb1EEST_IbLb0EEEEDaSP_SQ_EUlSP_E_NS1_11comp_targetILNS1_3genE4ELNS1_11target_archE910ELNS1_3gpuE8ELNS1_3repE0EEENS1_30default_config_static_selectorELNS0_4arch9wavefront6targetE1EEEvT1_,"axG",@progbits,_ZN7rocprim17ROCPRIM_400000_NS6detail17trampoline_kernelINS0_14default_configENS1_20scan_config_selectorIxEEZZNS1_9scan_implILNS1_25lookback_scan_determinismE0ELb1ELb1ES3_N6thrust23THRUST_200600_302600_NS6detail15normal_iteratorINS9_10device_ptrIxEEEESE_x11max_functorIxExEEDaPvRmT3_T4_T5_mT6_P12ihipStream_tbENKUlT_T0_E_clISt17integral_constantIbLb1EEST_IbLb0EEEEDaSP_SQ_EUlSP_E_NS1_11comp_targetILNS1_3genE4ELNS1_11target_archE910ELNS1_3gpuE8ELNS1_3repE0EEENS1_30default_config_static_selectorELNS0_4arch9wavefront6targetE1EEEvT1_,comdat
	.protected	_ZN7rocprim17ROCPRIM_400000_NS6detail17trampoline_kernelINS0_14default_configENS1_20scan_config_selectorIxEEZZNS1_9scan_implILNS1_25lookback_scan_determinismE0ELb1ELb1ES3_N6thrust23THRUST_200600_302600_NS6detail15normal_iteratorINS9_10device_ptrIxEEEESE_x11max_functorIxExEEDaPvRmT3_T4_T5_mT6_P12ihipStream_tbENKUlT_T0_E_clISt17integral_constantIbLb1EEST_IbLb0EEEEDaSP_SQ_EUlSP_E_NS1_11comp_targetILNS1_3genE4ELNS1_11target_archE910ELNS1_3gpuE8ELNS1_3repE0EEENS1_30default_config_static_selectorELNS0_4arch9wavefront6targetE1EEEvT1_ ; -- Begin function _ZN7rocprim17ROCPRIM_400000_NS6detail17trampoline_kernelINS0_14default_configENS1_20scan_config_selectorIxEEZZNS1_9scan_implILNS1_25lookback_scan_determinismE0ELb1ELb1ES3_N6thrust23THRUST_200600_302600_NS6detail15normal_iteratorINS9_10device_ptrIxEEEESE_x11max_functorIxExEEDaPvRmT3_T4_T5_mT6_P12ihipStream_tbENKUlT_T0_E_clISt17integral_constantIbLb1EEST_IbLb0EEEEDaSP_SQ_EUlSP_E_NS1_11comp_targetILNS1_3genE4ELNS1_11target_archE910ELNS1_3gpuE8ELNS1_3repE0EEENS1_30default_config_static_selectorELNS0_4arch9wavefront6targetE1EEEvT1_
	.globl	_ZN7rocprim17ROCPRIM_400000_NS6detail17trampoline_kernelINS0_14default_configENS1_20scan_config_selectorIxEEZZNS1_9scan_implILNS1_25lookback_scan_determinismE0ELb1ELb1ES3_N6thrust23THRUST_200600_302600_NS6detail15normal_iteratorINS9_10device_ptrIxEEEESE_x11max_functorIxExEEDaPvRmT3_T4_T5_mT6_P12ihipStream_tbENKUlT_T0_E_clISt17integral_constantIbLb1EEST_IbLb0EEEEDaSP_SQ_EUlSP_E_NS1_11comp_targetILNS1_3genE4ELNS1_11target_archE910ELNS1_3gpuE8ELNS1_3repE0EEENS1_30default_config_static_selectorELNS0_4arch9wavefront6targetE1EEEvT1_
	.p2align	8
	.type	_ZN7rocprim17ROCPRIM_400000_NS6detail17trampoline_kernelINS0_14default_configENS1_20scan_config_selectorIxEEZZNS1_9scan_implILNS1_25lookback_scan_determinismE0ELb1ELb1ES3_N6thrust23THRUST_200600_302600_NS6detail15normal_iteratorINS9_10device_ptrIxEEEESE_x11max_functorIxExEEDaPvRmT3_T4_T5_mT6_P12ihipStream_tbENKUlT_T0_E_clISt17integral_constantIbLb1EEST_IbLb0EEEEDaSP_SQ_EUlSP_E_NS1_11comp_targetILNS1_3genE4ELNS1_11target_archE910ELNS1_3gpuE8ELNS1_3repE0EEENS1_30default_config_static_selectorELNS0_4arch9wavefront6targetE1EEEvT1_,@function
_ZN7rocprim17ROCPRIM_400000_NS6detail17trampoline_kernelINS0_14default_configENS1_20scan_config_selectorIxEEZZNS1_9scan_implILNS1_25lookback_scan_determinismE0ELb1ELb1ES3_N6thrust23THRUST_200600_302600_NS6detail15normal_iteratorINS9_10device_ptrIxEEEESE_x11max_functorIxExEEDaPvRmT3_T4_T5_mT6_P12ihipStream_tbENKUlT_T0_E_clISt17integral_constantIbLb1EEST_IbLb0EEEEDaSP_SQ_EUlSP_E_NS1_11comp_targetILNS1_3genE4ELNS1_11target_archE910ELNS1_3gpuE8ELNS1_3repE0EEENS1_30default_config_static_selectorELNS0_4arch9wavefront6targetE1EEEvT1_: ; @_ZN7rocprim17ROCPRIM_400000_NS6detail17trampoline_kernelINS0_14default_configENS1_20scan_config_selectorIxEEZZNS1_9scan_implILNS1_25lookback_scan_determinismE0ELb1ELb1ES3_N6thrust23THRUST_200600_302600_NS6detail15normal_iteratorINS9_10device_ptrIxEEEESE_x11max_functorIxExEEDaPvRmT3_T4_T5_mT6_P12ihipStream_tbENKUlT_T0_E_clISt17integral_constantIbLb1EEST_IbLb0EEEEDaSP_SQ_EUlSP_E_NS1_11comp_targetILNS1_3genE4ELNS1_11target_archE910ELNS1_3gpuE8ELNS1_3repE0EEENS1_30default_config_static_selectorELNS0_4arch9wavefront6targetE1EEEvT1_
; %bb.0:
	s_load_dwordx8 s[12:19], s[4:5], 0x0
	s_load_dword s1, s[4:5], 0x38
	s_mul_i32 s0, s6, 0x380
	v_lshlrev_b32_e32 v36, 3, v0
	s_waitcnt lgkmcnt(0)
	s_lshl_b64 s[20:21], s[14:15], 3
	s_add_u32 s33, s12, s20
	s_addc_u32 s34, s13, s21
	s_add_i32 s2, s1, -1
	s_mul_i32 s3, s2, 0x380
	s_sub_u32 s30, s18, s3
	s_subb_u32 s31, s19, 0
	s_mov_b32 s1, 0
	s_cmp_lg_u32 s6, s2
	s_cselect_b64 s[18:19], -1, 0
	s_lshl_b64 s[22:23], s[0:1], 3
	s_add_u32 s2, s33, s22
	s_addc_u32 s3, s34, s23
	s_mov_b64 s[0:1], -1
	s_and_b64 vcc, exec, s[18:19]
	s_cbranch_vccz .LBB2668_2
; %bb.1:
	v_mov_b32_e32 v1, s3
	v_add_co_u32_e32 v2, vcc, s2, v36
	v_addc_co_u32_e32 v3, vcc, 0, v1, vcc
	flat_load_dwordx2 v[4:5], v[2:3]
	flat_load_dwordx2 v[6:7], v[2:3] offset:1024
	flat_load_dwordx2 v[8:9], v[2:3] offset:2048
	;; [unrolled: 1-line block ×3, first 2 shown]
	v_add_co_u32_e32 v2, vcc, 0x1000, v2
	v_addc_co_u32_e32 v3, vcc, 0, v3, vcc
	flat_load_dwordx2 v[12:13], v[2:3]
	flat_load_dwordx2 v[14:15], v[2:3] offset:1024
	flat_load_dwordx2 v[16:17], v[2:3] offset:2048
	s_mov_b64 s[0:1], 0
	s_waitcnt vmcnt(0) lgkmcnt(0)
	ds_write2st64_b64 v36, v[4:5], v[6:7] offset1:2
	ds_write2st64_b64 v36, v[8:9], v[10:11] offset0:4 offset1:6
	ds_write2st64_b64 v36, v[12:13], v[14:15] offset0:8 offset1:10
	ds_write_b64 v36, v[16:17] offset:6144
	s_waitcnt lgkmcnt(0)
	s_barrier
.LBB2668_2:
	s_load_dwordx2 s[26:27], s[4:5], 0x20
	s_load_dwordx2 s[24:25], s[4:5], 0x30
	s_andn2_b64 vcc, exec, s[0:1]
	v_cmp_gt_u32_e64 s[0:1], s30, v0
	s_cbranch_vccnz .LBB2668_18
; %bb.3:
	v_pk_mov_b32 v[2:3], s[2:3], s[2:3] op_sel:[0,1]
	flat_load_dwordx2 v[2:3], v[2:3]
	s_waitcnt vmcnt(0) lgkmcnt(0)
	v_mov_b32_e32 v4, v2
	v_mov_b32_e32 v5, v3
	;; [unrolled: 1-line block ×10, first 2 shown]
	v_pk_mov_b32 v[18:19], v[14:15], v[14:15] op_sel:[0,1]
	v_pk_mov_b32 v[16:17], v[12:13], v[12:13] op_sel:[0,1]
	;; [unrolled: 1-line block ×8, first 2 shown]
	s_and_saveexec_b64 s[8:9], s[0:1]
	s_cbranch_execz .LBB2668_5
; %bb.4:
	v_mov_b32_e32 v1, s3
	v_add_co_u32_e32 v4, vcc, s2, v36
	v_addc_co_u32_e32 v5, vcc, 0, v1, vcc
	flat_load_dwordx2 v[20:21], v[4:5]
	v_mov_b32_e32 v4, v2
	v_mov_b32_e32 v5, v3
	;; [unrolled: 1-line block ×10, first 2 shown]
	v_pk_mov_b32 v[18:19], v[14:15], v[14:15] op_sel:[0,1]
	v_pk_mov_b32 v[16:17], v[12:13], v[12:13] op_sel:[0,1]
	;; [unrolled: 1-line block ×8, first 2 shown]
	s_waitcnt vmcnt(0) lgkmcnt(0)
	v_pk_mov_b32 v[2:3], v[20:21], v[20:21] op_sel:[0,1]
.LBB2668_5:
	s_or_b64 exec, exec, s[8:9]
	v_or_b32_e32 v1, 0x80, v0
	v_cmp_gt_u32_e32 vcc, s30, v1
	s_and_saveexec_b64 s[0:1], vcc
	s_cbranch_execz .LBB2668_7
; %bb.6:
	v_mov_b32_e32 v1, s3
	v_add_co_u32_e32 v4, vcc, s2, v36
	v_addc_co_u32_e32 v5, vcc, 0, v1, vcc
	flat_load_dwordx2 v[6:7], v[4:5] offset:1024
.LBB2668_7:
	s_or_b64 exec, exec, s[0:1]
	v_or_b32_e32 v1, 0x100, v0
	v_cmp_gt_u32_e32 vcc, s30, v1
	s_and_saveexec_b64 s[0:1], vcc
	s_cbranch_execz .LBB2668_9
; %bb.8:
	v_mov_b32_e32 v1, s3
	v_add_co_u32_e32 v4, vcc, s2, v36
	v_addc_co_u32_e32 v5, vcc, 0, v1, vcc
	flat_load_dwordx2 v[8:9], v[4:5] offset:2048
.LBB2668_9:
	;; [unrolled: 11-line block ×3, first 2 shown]
	s_or_b64 exec, exec, s[0:1]
	v_or_b32_e32 v1, 0x200, v0
	v_cmp_gt_u32_e32 vcc, s30, v1
	s_and_saveexec_b64 s[0:1], vcc
	s_cbranch_execz .LBB2668_13
; %bb.12:
	v_lshlrev_b32_e32 v1, 3, v1
	v_mov_b32_e32 v5, s3
	v_add_co_u32_e32 v4, vcc, s2, v1
	v_addc_co_u32_e32 v5, vcc, 0, v5, vcc
	flat_load_dwordx2 v[12:13], v[4:5]
.LBB2668_13:
	s_or_b64 exec, exec, s[0:1]
	v_or_b32_e32 v1, 0x280, v0
	v_cmp_gt_u32_e32 vcc, s30, v1
	s_and_saveexec_b64 s[0:1], vcc
	s_cbranch_execz .LBB2668_15
; %bb.14:
	v_lshlrev_b32_e32 v1, 3, v1
	v_mov_b32_e32 v5, s3
	v_add_co_u32_e32 v4, vcc, s2, v1
	v_addc_co_u32_e32 v5, vcc, 0, v5, vcc
	flat_load_dwordx2 v[14:15], v[4:5]
.LBB2668_15:
	;; [unrolled: 12-line block ×3, first 2 shown]
	s_or_b64 exec, exec, s[0:1]
	s_waitcnt vmcnt(0) lgkmcnt(0)
	ds_write2st64_b64 v36, v[2:3], v[6:7] offset1:2
	ds_write2st64_b64 v36, v[8:9], v[10:11] offset0:4 offset1:6
	ds_write2st64_b64 v36, v[12:13], v[14:15] offset0:8 offset1:10
	ds_write_b64 v36, v[16:17] offset:6144
	s_waitcnt lgkmcnt(0)
	s_barrier
.LBB2668_18:
	v_mul_u32_u24_e32 v37, 7, v0
	v_lshlrev_b32_e32 v38, 3, v37
	s_waitcnt lgkmcnt(0)
	ds_read2_b64 v[10:13], v38 offset1:1
	ds_read2_b64 v[6:9], v38 offset0:2 offset1:3
	ds_read2_b64 v[2:5], v38 offset0:4 offset1:5
	ds_read_b64 v[26:27], v38 offset:48
	s_cmp_lg_u32 s6, 0
	s_waitcnt lgkmcnt(3)
	v_cmp_gt_i64_e64 s[0:1], v[10:11], v[12:13]
	v_lshrrev_b32_e32 v1, 5, v0
	v_cmp_gt_u32_e32 vcc, 64, v0
	s_waitcnt lgkmcnt(0)
	s_barrier
	s_cbranch_scc0 .LBB2668_49
; %bb.19:
	v_cndmask_b32_e64 v15, v13, v11, s[0:1]
	v_cndmask_b32_e64 v14, v12, v10, s[0:1]
	v_cmp_gt_i64_e64 s[0:1], v[14:15], v[6:7]
	v_cndmask_b32_e64 v15, v7, v15, s[0:1]
	v_cndmask_b32_e64 v14, v6, v14, s[0:1]
	v_cmp_gt_i64_e64 s[0:1], v[14:15], v[8:9]
	;; [unrolled: 3-line block ×5, first 2 shown]
	v_cndmask_b32_e64 v23, v27, v15, s[0:1]
	v_cndmask_b32_e64 v22, v26, v14, s[0:1]
	v_add_lshl_u32 v14, v1, v0, 3
	ds_write_b64 v14, v[22:23]
	s_waitcnt lgkmcnt(0)
	s_barrier
	s_and_saveexec_b64 s[8:9], vcc
	s_cbranch_execz .LBB2668_23
; %bb.20:
	v_lshlrev_b32_e32 v14, 1, v0
	v_lshrrev_b32_e32 v15, 4, v0
	v_add_lshl_u32 v24, v15, v14, 3
	ds_read2_b64 v[14:17], v24 offset1:1
	v_mbcnt_lo_u32_b32 v18, -1, 0
	v_mbcnt_hi_u32_b32 v25, -1, v18
	v_and_b32_e32 v28, 15, v25
	v_and_b32_e32 v30, 16, v25
	s_waitcnt lgkmcnt(0)
	v_cmp_gt_i64_e64 s[0:1], v[14:15], v[16:17]
	v_cndmask_b32_e64 v17, v17, v15, s[0:1]
	v_cndmask_b32_e64 v16, v16, v14, s[0:1]
	v_cmp_ne_u32_e64 s[2:3], 0, v25
	v_mov_b32_dpp v19, v17 row_shr:1 row_mask:0xf bank_mask:0xf
	v_mov_b32_dpp v18, v16 row_shr:1 row_mask:0xf bank_mask:0xf
	v_cmp_gt_i64_e64 s[0:1], v[18:19], v[16:17]
	v_cndmask_b32_e64 v18, v16, v18, s[0:1]
	v_cndmask_b32_e64 v19, v17, v19, s[0:1]
	v_cmp_eq_u32_e64 s[0:1], 0, v28
	v_cndmask_b32_e64 v19, v19, v17, s[0:1]
	v_cndmask_b32_e64 v18, v18, v16, s[0:1]
	s_nop 0
	v_mov_b32_dpp v21, v19 row_shr:2 row_mask:0xf bank_mask:0xf
	v_mov_b32_dpp v20, v18 row_shr:2 row_mask:0xf bank_mask:0xf
	v_cmp_gt_i64_e64 s[0:1], v[20:21], v[18:19]
	v_cndmask_b32_e64 v20, v18, v20, s[0:1]
	v_cndmask_b32_e64 v21, v19, v21, s[0:1]
	v_cmp_lt_u32_e64 s[0:1], 1, v28
	v_cndmask_b32_e64 v19, v19, v21, s[0:1]
	v_cndmask_b32_e64 v18, v18, v20, s[0:1]
	s_nop 0
	v_mov_b32_dpp v21, v19 row_shr:4 row_mask:0xf bank_mask:0xf
	v_mov_b32_dpp v20, v18 row_shr:4 row_mask:0xf bank_mask:0xf
	v_cmp_gt_i64_e64 s[0:1], v[20:21], v[18:19]
	v_cndmask_b32_e64 v20, v18, v20, s[0:1]
	v_cndmask_b32_e64 v21, v19, v21, s[0:1]
	v_cmp_lt_u32_e64 s[0:1], 3, v28
	;; [unrolled: 9-line block ×3, first 2 shown]
	v_cndmask_b32_e64 v19, v19, v21, s[0:1]
	v_cndmask_b32_e64 v18, v18, v20, s[0:1]
	s_nop 0
	v_mov_b32_dpp v21, v19 row_bcast:15 row_mask:0xf bank_mask:0xf
	v_mov_b32_dpp v20, v18 row_bcast:15 row_mask:0xf bank_mask:0xf
	v_cmp_gt_i64_e64 s[0:1], v[20:21], v[18:19]
	v_cndmask_b32_e64 v28, v19, v21, s[0:1]
	v_cndmask_b32_e64 v29, v18, v20, s[0:1]
	v_cmp_eq_u32_e64 s[0:1], 0, v30
	v_cndmask_b32_e64 v21, v28, v19, s[0:1]
	v_cndmask_b32_e64 v20, v29, v18, s[0:1]
	s_nop 0
	v_mov_b32_dpp v21, v21 row_bcast:31 row_mask:0xf bank_mask:0xf
	v_mov_b32_dpp v20, v20 row_bcast:31 row_mask:0xf bank_mask:0xf
	s_and_saveexec_b64 s[10:11], s[2:3]
; %bb.21:
	v_cndmask_b32_e64 v17, v28, v19, s[0:1]
	v_cndmask_b32_e64 v16, v29, v18, s[0:1]
	v_cmp_lt_u32_e64 s[2:3], 31, v25
	v_cmp_gt_i64_e64 s[0:1], v[20:21], v[16:17]
	s_and_b64 s[0:1], s[2:3], s[0:1]
	v_cndmask_b32_e64 v16, v16, v20, s[0:1]
	v_cndmask_b32_e64 v17, v17, v21, s[0:1]
; %bb.22:
	s_or_b64 exec, exec, s[10:11]
	v_add_u32_e32 v18, -1, v25
	v_and_b32_e32 v19, 64, v25
	v_cmp_lt_i32_e64 s[0:1], v18, v19
	v_cndmask_b32_e64 v18, v18, v25, s[0:1]
	v_lshlrev_b32_e32 v18, 2, v18
	ds_bpermute_b32 v16, v18, v16
	ds_bpermute_b32 v17, v18, v17
	; wave barrier
	s_waitcnt lgkmcnt(0)
	v_cmp_gt_i64_e64 s[0:1], v[16:17], v[14:15]
	v_cndmask_b32_e64 v14, v14, v16, s[0:1]
	v_cndmask_b32_e64 v15, v15, v17, s[0:1]
	v_cmp_eq_u32_e64 s[0:1], 0, v0
	v_cndmask_b32_e64 v15, v15, v23, s[0:1]
	v_cndmask_b32_e64 v14, v14, v22, s[0:1]
	ds_write_b64 v24, v[14:15]
	; wave barrier
	ds_read_b64 v[16:17], v24 offset:8
	s_waitcnt lgkmcnt(0)
	v_cmp_gt_i64_e64 s[0:1], v[14:15], v[16:17]
	v_cndmask_b32_e64 v15, v17, v15, s[0:1]
	v_cndmask_b32_e64 v14, v16, v14, s[0:1]
	ds_write_b64 v24, v[14:15] offset:8
.LBB2668_23:
	s_or_b64 exec, exec, s[8:9]
	v_cmp_eq_u32_e64 s[0:1], 0, v0
	v_cmp_ne_u32_e64 s[2:3], 0, v0
	s_waitcnt lgkmcnt(0)
	s_barrier
	s_and_saveexec_b64 s[8:9], s[2:3]
	s_cbranch_execz .LBB2668_25
; %bb.24:
	v_add_u32_e32 v14, -1, v0
	v_lshrrev_b32_e32 v15, 5, v14
	v_add_lshl_u32 v14, v15, v14, 3
	ds_read_b64 v[22:23], v14
.LBB2668_25:
	s_or_b64 exec, exec, s[8:9]
	s_and_saveexec_b64 s[28:29], vcc
	s_cbranch_execz .LBB2668_48
; %bb.26:
	v_mov_b32_e32 v17, 0
	ds_read_b64 v[14:15], v17 offset:1040
	v_mbcnt_lo_u32_b32 v16, -1, 0
	v_mbcnt_hi_u32_b32 v25, -1, v16
	s_mov_b32 s11, 0
	v_cmp_eq_u32_e64 s[2:3], 0, v25
	s_and_saveexec_b64 s[8:9], s[2:3]
	s_cbranch_execz .LBB2668_28
; %bb.27:
	s_add_i32 s10, s6, 64
	s_lshl_b64 s[10:11], s[10:11], 4
	s_add_u32 s10, s24, s10
	s_addc_u32 s11, s25, s11
	v_mov_b32_e32 v16, 1
	v_pk_mov_b32 v[18:19], s[10:11], s[10:11] op_sel:[0,1]
	s_waitcnt lgkmcnt(0)
	;;#ASMSTART
	global_store_dwordx4 v[18:19], v[14:17] off	
s_waitcnt vmcnt(0)
	;;#ASMEND
.LBB2668_28:
	s_or_b64 exec, exec, s[8:9]
	v_xad_u32 v24, v25, -1, s6
	v_add_u32_e32 v16, 64, v24
	v_lshlrev_b64 v[18:19], 4, v[16:17]
	v_mov_b32_e32 v16, s25
	v_add_co_u32_e32 v28, vcc, s24, v18
	v_addc_co_u32_e32 v29, vcc, v16, v19, vcc
	;;#ASMSTART
	global_load_dwordx4 v[18:21], v[28:29] off glc	
s_waitcnt vmcnt(0)
	;;#ASMEND
	v_and_b32_e32 v16, 0xff, v19
	v_and_b32_e32 v21, 0xff00, v19
	v_or3_b32 v16, 0, v16, v21
	v_or3_b32 v18, v18, 0, 0
	v_and_b32_e32 v21, 0xff000000, v19
	v_and_b32_e32 v19, 0xff0000, v19
	v_or3_b32 v19, v16, v19, v21
	v_or3_b32 v18, v18, 0, 0
	v_cmp_eq_u16_sdwa s[10:11], v20, v17 src0_sel:BYTE_0 src1_sel:DWORD
	s_and_saveexec_b64 s[8:9], s[10:11]
	s_cbranch_execz .LBB2668_34
; %bb.29:
	s_mov_b32 s7, 1
	s_mov_b64 s[10:11], 0
	v_mov_b32_e32 v16, 0
.LBB2668_30:                            ; =>This Loop Header: Depth=1
                                        ;     Child Loop BB2668_31 Depth 2
	s_max_u32 s12, s7, 1
.LBB2668_31:                            ;   Parent Loop BB2668_30 Depth=1
                                        ; =>  This Inner Loop Header: Depth=2
	s_add_i32 s12, s12, -1
	s_cmp_eq_u32 s12, 0
	s_sleep 1
	s_cbranch_scc0 .LBB2668_31
; %bb.32:                               ;   in Loop: Header=BB2668_30 Depth=1
	s_cmp_lt_u32 s7, 32
	s_cselect_b64 s[12:13], -1, 0
	s_cmp_lg_u64 s[12:13], 0
	s_addc_u32 s7, s7, 0
	;;#ASMSTART
	global_load_dwordx4 v[18:21], v[28:29] off glc	
s_waitcnt vmcnt(0)
	;;#ASMEND
	v_cmp_ne_u16_sdwa s[12:13], v20, v16 src0_sel:BYTE_0 src1_sel:DWORD
	s_or_b64 s[10:11], s[12:13], s[10:11]
	s_andn2_b64 exec, exec, s[10:11]
	s_cbranch_execnz .LBB2668_30
; %bb.33:
	s_or_b64 exec, exec, s[10:11]
.LBB2668_34:
	s_or_b64 exec, exec, s[8:9]
	v_and_b32_e32 v33, 63, v25
	v_cmp_ne_u32_e32 vcc, 63, v33
	v_mov_b32_e32 v32, 2
	v_addc_co_u32_e32 v28, vcc, 0, v25, vcc
	v_cmp_eq_u16_sdwa s[8:9], v20, v32 src0_sel:BYTE_0 src1_sel:DWORD
	v_lshlrev_b64 v[16:17], v25, -1
	v_lshlrev_b32_e32 v34, 2, v28
	v_and_b32_e32 v21, s9, v17
	ds_bpermute_b32 v28, v34, v18
	ds_bpermute_b32 v29, v34, v19
	v_or_b32_e32 v21, 0x80000000, v21
	v_and_b32_e32 v30, s8, v16
	v_ffbl_b32_e32 v21, v21
	v_add_u32_e32 v21, 32, v21
	v_ffbl_b32_e32 v30, v30
	v_min_u32_e32 v21, v30, v21
	s_waitcnt lgkmcnt(0)
	v_cmp_gt_i64_e64 s[8:9], v[28:29], v[18:19]
	v_cmp_lt_u32_e32 vcc, v33, v21
	v_cndmask_b32_e64 v28, v18, v28, s[8:9]
	s_and_b64 s[8:9], vcc, s[8:9]
	v_cndmask_b32_e64 v29, v19, v29, s[8:9]
	v_cmp_gt_u32_e64 s[8:9], 62, v33
	v_cndmask_b32_e64 v30, 0, 1, s[8:9]
	v_lshlrev_b32_e32 v30, 1, v30
	v_cndmask_b32_e32 v28, v18, v28, vcc
	v_add_lshl_u32 v35, v30, v25, 2
	ds_bpermute_b32 v30, v35, v28
	ds_bpermute_b32 v31, v35, v29
	v_add_u32_e32 v39, 2, v33
	v_cmp_gt_u32_e64 s[10:11], 56, v33
	v_add_u32_e32 v41, 4, v33
	v_cndmask_b32_e64 v42, 0, 1, s[10:11]
	s_waitcnt lgkmcnt(0)
	v_cmp_gt_i64_e64 s[8:9], v[30:31], v[28:29]
	v_cndmask_b32_e64 v31, v29, v31, s[8:9]
	v_cndmask_b32_e64 v30, v28, v30, s[8:9]
	v_cmp_gt_u32_e64 s[8:9], v39, v21
	v_cndmask_b32_e64 v28, v30, v28, s[8:9]
	v_cndmask_b32_e64 v29, v31, v29, s[8:9]
	v_cmp_gt_u32_e64 s[8:9], 60, v33
	v_cndmask_b32_e64 v30, 0, 1, s[8:9]
	v_lshlrev_b32_e32 v30, 2, v30
	v_add_lshl_u32 v40, v30, v25, 2
	ds_bpermute_b32 v30, v40, v28
	ds_bpermute_b32 v31, v40, v29
	v_lshlrev_b32_e32 v42, 3, v42
	v_add_lshl_u32 v42, v42, v25, 2
	v_cmp_gt_u32_e64 s[12:13], 48, v33
	v_add_u32_e32 v43, 8, v33
	s_waitcnt lgkmcnt(0)
	v_cmp_gt_i64_e64 s[8:9], v[30:31], v[28:29]
	v_cndmask_b32_e64 v50, v29, v31, s[8:9]
	v_cndmask_b32_e64 v51, v28, v30, s[8:9]
	v_cmp_gt_u32_e64 s[8:9], v41, v21
	v_cndmask_b32_e64 v30, v51, v28, s[8:9]
	v_cndmask_b32_e64 v31, v50, v29, s[8:9]
	ds_bpermute_b32 v44, v42, v30
	ds_bpermute_b32 v45, v42, v31
	v_cmp_gt_u32_e64 s[14:15], 32, v33
	v_cndmask_b32_e32 v19, v19, v29, vcc
	v_cndmask_b32_e32 v18, v18, v28, vcc
	v_cndmask_b32_e64 v18, v51, v18, s[8:9]
	s_waitcnt lgkmcnt(0)
	v_cmp_gt_i64_e64 s[10:11], v[44:45], v[30:31]
	v_cndmask_b32_e64 v53, v30, v44, s[10:11]
	v_cndmask_b32_e64 v44, 0, 1, s[12:13]
	;; [unrolled: 1-line block ×3, first 2 shown]
	v_cmp_gt_u32_e64 s[10:11], v43, v21
	v_lshlrev_b32_e32 v44, 4, v44
	v_cndmask_b32_e64 v30, v53, v30, s[10:11]
	v_cndmask_b32_e64 v31, v52, v31, s[10:11]
	v_add_lshl_u32 v44, v44, v25, 2
	ds_bpermute_b32 v46, v44, v30
	ds_bpermute_b32 v47, v44, v31
	v_add_u32_e32 v45, 16, v33
	v_cndmask_b32_e64 v19, v50, v19, s[8:9]
	v_cndmask_b32_e64 v19, v52, v19, s[10:11]
	;; [unrolled: 1-line block ×3, first 2 shown]
	s_waitcnt lgkmcnt(0)
	v_cmp_gt_i64_e64 s[12:13], v[46:47], v[30:31]
	v_cndmask_b32_e64 v55, v30, v46, s[12:13]
	v_cndmask_b32_e64 v46, 0, 1, s[14:15]
	;; [unrolled: 1-line block ×3, first 2 shown]
	v_cmp_gt_u32_e64 s[12:13], v45, v21
	v_lshlrev_b32_e32 v46, 5, v46
	v_cndmask_b32_e64 v30, v55, v30, s[12:13]
	v_add_lshl_u32 v46, v46, v25, 2
	v_cndmask_b32_e64 v31, v54, v31, s[12:13]
	ds_bpermute_b32 v48, v46, v30
	ds_bpermute_b32 v49, v46, v31
	v_add_u32_e32 v47, 32, v33
	v_cndmask_b32_e64 v18, v55, v18, s[12:13]
	v_cndmask_b32_e64 v19, v54, v19, s[12:13]
	v_cmp_gt_u32_e32 vcc, v47, v21
	s_waitcnt lgkmcnt(0)
	v_cmp_gt_i64_e64 s[14:15], v[48:49], v[30:31]
	v_cndmask_b32_e64 v25, v30, v48, s[14:15]
	v_cndmask_b32_e64 v30, v31, v49, s[14:15]
	v_cndmask_b32_e32 v19, v30, v19, vcc
	v_cndmask_b32_e32 v18, v25, v18, vcc
	v_mov_b32_e32 v25, 0
	s_branch .LBB2668_36
.LBB2668_35:                            ;   in Loop: Header=BB2668_36 Depth=1
	s_or_b64 exec, exec, s[8:9]
	v_cmp_eq_u16_sdwa s[8:9], v20, v32 src0_sel:BYTE_0 src1_sel:DWORD
	v_and_b32_e32 v21, s9, v17
	ds_bpermute_b32 v30, v34, v18
	ds_bpermute_b32 v31, v34, v19
	v_or_b32_e32 v21, 0x80000000, v21
	v_and_b32_e32 v48, s8, v16
	v_ffbl_b32_e32 v21, v21
	v_add_u32_e32 v21, 32, v21
	v_ffbl_b32_e32 v48, v48
	v_min_u32_e32 v21, v48, v21
	s_waitcnt lgkmcnt(0)
	v_cmp_gt_i64_e32 vcc, v[30:31], v[18:19]
	v_cmp_lt_u32_e64 s[8:9], v33, v21
	v_cndmask_b32_e32 v30, v18, v30, vcc
	s_and_b64 vcc, s[8:9], vcc
	v_cndmask_b32_e64 v30, v18, v30, s[8:9]
	v_cndmask_b32_e32 v31, v19, v31, vcc
	ds_bpermute_b32 v48, v35, v30
	ds_bpermute_b32 v49, v35, v31
	v_subrev_u32_e32 v24, 64, v24
	s_waitcnt lgkmcnt(0)
	v_cmp_gt_i64_e32 vcc, v[48:49], v[30:31]
	v_cndmask_b32_e32 v49, v31, v49, vcc
	v_cndmask_b32_e32 v48, v30, v48, vcc
	v_cmp_gt_u32_e32 vcc, v39, v21
	v_cndmask_b32_e32 v30, v48, v30, vcc
	v_cndmask_b32_e32 v31, v49, v31, vcc
	ds_bpermute_b32 v48, v40, v30
	ds_bpermute_b32 v49, v40, v31
	v_cndmask_b32_e64 v19, v19, v31, s[8:9]
	v_cndmask_b32_e64 v18, v18, v30, s[8:9]
	s_waitcnt lgkmcnt(0)
	v_cmp_gt_i64_e32 vcc, v[48:49], v[30:31]
	v_cndmask_b32_e32 v52, v31, v49, vcc
	v_cndmask_b32_e32 v53, v30, v48, vcc
	v_cmp_gt_u32_e32 vcc, v41, v21
	v_cndmask_b32_e32 v48, v53, v30, vcc
	v_cndmask_b32_e32 v49, v52, v31, vcc
	ds_bpermute_b32 v50, v42, v48
	ds_bpermute_b32 v51, v42, v49
	v_cndmask_b32_e32 v18, v53, v18, vcc
	v_cndmask_b32_e32 v19, v52, v19, vcc
	v_cmp_gt_u32_e32 vcc, v47, v21
	s_waitcnt lgkmcnt(0)
	v_cmp_gt_i64_e64 s[10:11], v[50:51], v[48:49]
	v_cndmask_b32_e64 v54, v49, v51, s[10:11]
	v_cndmask_b32_e64 v55, v48, v50, s[10:11]
	v_cmp_gt_u32_e64 s[10:11], v43, v21
	v_cndmask_b32_e64 v48, v55, v48, s[10:11]
	v_cndmask_b32_e64 v49, v54, v49, s[10:11]
	ds_bpermute_b32 v50, v44, v48
	ds_bpermute_b32 v51, v44, v49
	v_cndmask_b32_e64 v19, v54, v19, s[10:11]
	v_cndmask_b32_e64 v18, v55, v18, s[10:11]
	s_waitcnt lgkmcnt(0)
	v_cmp_gt_i64_e64 s[12:13], v[50:51], v[48:49]
	v_cndmask_b32_e64 v56, v49, v51, s[12:13]
	v_cndmask_b32_e64 v57, v48, v50, s[12:13]
	v_cmp_gt_u32_e64 s[12:13], v45, v21
	v_cndmask_b32_e64 v48, v57, v48, s[12:13]
	v_cndmask_b32_e64 v49, v56, v49, s[12:13]
	ds_bpermute_b32 v50, v46, v48
	ds_bpermute_b32 v51, v46, v49
	v_cndmask_b32_e64 v18, v57, v18, s[12:13]
	v_cndmask_b32_e64 v19, v56, v19, s[12:13]
	s_waitcnt lgkmcnt(0)
	v_cmp_gt_i64_e64 s[14:15], v[50:51], v[48:49]
	v_cndmask_b32_e64 v48, v48, v50, s[14:15]
	v_cndmask_b32_e64 v49, v49, v51, s[14:15]
	v_cndmask_b32_e32 v19, v49, v19, vcc
	v_cndmask_b32_e32 v18, v48, v18, vcc
	v_cmp_gt_i64_e32 vcc, v[18:19], v[28:29]
	v_cndmask_b32_e32 v19, v29, v19, vcc
	v_cndmask_b32_e32 v18, v28, v18, vcc
.LBB2668_36:                            ; =>This Loop Header: Depth=1
                                        ;     Child Loop BB2668_39 Depth 2
                                        ;       Child Loop BB2668_40 Depth 3
	v_cmp_ne_u16_sdwa s[8:9], v20, v32 src0_sel:BYTE_0 src1_sel:DWORD
	v_cndmask_b32_e64 v20, 0, 1, s[8:9]
	;;#ASMSTART
	;;#ASMEND
	v_cmp_ne_u32_e32 vcc, 0, v20
	s_cmp_lg_u64 vcc, exec
	v_pk_mov_b32 v[28:29], v[18:19], v[18:19] op_sel:[0,1]
	s_cbranch_scc1 .LBB2668_43
; %bb.37:                               ;   in Loop: Header=BB2668_36 Depth=1
	v_lshlrev_b64 v[18:19], 4, v[24:25]
	v_mov_b32_e32 v20, s25
	v_add_co_u32_e32 v30, vcc, s24, v18
	v_addc_co_u32_e32 v31, vcc, v20, v19, vcc
	;;#ASMSTART
	global_load_dwordx4 v[18:21], v[30:31] off glc	
s_waitcnt vmcnt(0)
	;;#ASMEND
	v_and_b32_e32 v21, 0xff, v19
	v_and_b32_e32 v48, 0xff00, v19
	v_or3_b32 v21, 0, v21, v48
	v_or3_b32 v18, v18, 0, 0
	v_and_b32_e32 v48, 0xff000000, v19
	v_and_b32_e32 v19, 0xff0000, v19
	v_or3_b32 v19, v21, v19, v48
	v_or3_b32 v18, v18, 0, 0
	v_cmp_eq_u16_sdwa s[10:11], v20, v25 src0_sel:BYTE_0 src1_sel:DWORD
	s_and_saveexec_b64 s[8:9], s[10:11]
	s_cbranch_execz .LBB2668_35
; %bb.38:                               ;   in Loop: Header=BB2668_36 Depth=1
	s_mov_b32 s7, 1
	s_mov_b64 s[10:11], 0
.LBB2668_39:                            ;   Parent Loop BB2668_36 Depth=1
                                        ; =>  This Loop Header: Depth=2
                                        ;       Child Loop BB2668_40 Depth 3
	s_max_u32 s12, s7, 1
.LBB2668_40:                            ;   Parent Loop BB2668_36 Depth=1
                                        ;     Parent Loop BB2668_39 Depth=2
                                        ; =>    This Inner Loop Header: Depth=3
	s_add_i32 s12, s12, -1
	s_cmp_eq_u32 s12, 0
	s_sleep 1
	s_cbranch_scc0 .LBB2668_40
; %bb.41:                               ;   in Loop: Header=BB2668_39 Depth=2
	s_cmp_lt_u32 s7, 32
	s_cselect_b64 s[12:13], -1, 0
	s_cmp_lg_u64 s[12:13], 0
	s_addc_u32 s7, s7, 0
	;;#ASMSTART
	global_load_dwordx4 v[18:21], v[30:31] off glc	
s_waitcnt vmcnt(0)
	;;#ASMEND
	v_cmp_ne_u16_sdwa s[12:13], v20, v25 src0_sel:BYTE_0 src1_sel:DWORD
	s_or_b64 s[10:11], s[12:13], s[10:11]
	s_andn2_b64 exec, exec, s[10:11]
	s_cbranch_execnz .LBB2668_39
; %bb.42:                               ;   in Loop: Header=BB2668_36 Depth=1
	s_or_b64 exec, exec, s[10:11]
	s_branch .LBB2668_35
.LBB2668_43:                            ;   in Loop: Header=BB2668_36 Depth=1
                                        ; implicit-def: $vgpr18_vgpr19
                                        ; implicit-def: $vgpr20
	s_cbranch_execz .LBB2668_36
; %bb.44:
	s_and_saveexec_b64 s[8:9], s[2:3]
	s_cbranch_execz .LBB2668_46
; %bb.45:
	s_add_i32 s2, s6, 64
	s_mov_b32 s3, 0
	s_lshl_b64 s[2:3], s[2:3], 4
	s_add_u32 s2, s24, s2
	v_cmp_gt_i64_e32 vcc, v[28:29], v[14:15]
	s_addc_u32 s3, s25, s3
	v_cndmask_b32_e32 v15, v15, v29, vcc
	v_cndmask_b32_e32 v14, v14, v28, vcc
	v_mov_b32_e32 v16, 2
	v_mov_b32_e32 v17, 0
	v_pk_mov_b32 v[18:19], s[2:3], s[2:3] op_sel:[0,1]
	;;#ASMSTART
	global_store_dwordx4 v[18:19], v[14:17] off	
s_waitcnt vmcnt(0)
	;;#ASMEND
.LBB2668_46:
	s_or_b64 exec, exec, s[8:9]
	s_and_b64 exec, exec, s[0:1]
	s_cbranch_execz .LBB2668_48
; %bb.47:
	v_mov_b32_e32 v14, 0
	ds_write_b64 v14, v[28:29]
.LBB2668_48:
	s_or_b64 exec, exec, s[28:29]
	v_mov_b32_e32 v14, 0
	s_waitcnt lgkmcnt(0)
	s_barrier
	ds_read_b64 v[14:15], v14
	s_waitcnt lgkmcnt(0)
	v_cmp_gt_i64_e32 vcc, v[14:15], v[22:23]
	v_cndmask_b32_e32 v16, v22, v14, vcc
	v_cndmask_b32_e32 v17, v23, v15, vcc
	v_cndmask_b32_e64 v15, v17, v15, s[0:1]
	v_cndmask_b32_e64 v14, v16, v14, s[0:1]
	v_cmp_gt_i64_e32 vcc, v[14:15], v[10:11]
	v_cndmask_b32_e32 v29, v11, v15, vcc
	v_cndmask_b32_e32 v28, v10, v14, vcc
	v_cmp_gt_i64_e32 vcc, v[28:29], v[12:13]
	v_cndmask_b32_e32 v19, v13, v29, vcc
	v_cndmask_b32_e32 v18, v12, v28, vcc
	;; [unrolled: 3-line block ×6, first 2 shown]
	s_load_dwordx8 s[0:7], s[4:5], 0x40
	s_branch .LBB2668_61
.LBB2668_49:
                                        ; implicit-def: $vgpr34_vgpr35
                                        ; implicit-def: $vgpr32_vgpr33
                                        ; implicit-def: $vgpr30_vgpr31
                                        ; implicit-def: $vgpr28_vgpr29
                                        ; implicit-def: $vgpr22_vgpr23_vgpr24_vgpr25
                                        ; implicit-def: $vgpr18_vgpr19_vgpr20_vgpr21
                                        ; implicit-def: $vgpr14_vgpr15_vgpr16_vgpr17
	s_load_dwordx8 s[0:7], s[4:5], 0x40
	s_cbranch_execz .LBB2668_61
; %bb.50:
	s_waitcnt lgkmcnt(0)
	s_cmp_eq_u64 s[4:5], 0
	v_pk_mov_b32 v[20:21], s[26:27], s[26:27] op_sel:[0,1]
	s_cbranch_scc1 .LBB2668_52
; %bb.51:
	v_mov_b32_e32 v17, s34
	v_add_co_u32_e64 v16, vcc, -8, s33
	v_mov_b32_e32 v14, 0
	v_addc_co_u32_e32 v17, vcc, -1, v17, vcc
	global_load_dwordx2 v[14:15], v14, s[0:1]
	s_nop 0
	flat_load_dwordx2 v[16:17], v[16:17]
	s_waitcnt vmcnt(0) lgkmcnt(0)
	v_cmp_gt_i64_e32 vcc, v[14:15], v[16:17]
	v_cndmask_b32_e32 v21, v17, v15, vcc
	v_cndmask_b32_e32 v20, v16, v14, vcc
.LBB2668_52:
	v_cmp_gt_i64_e32 vcc, v[10:11], v[12:13]
	v_cndmask_b32_e32 v15, v13, v11, vcc
	v_cndmask_b32_e32 v14, v12, v10, vcc
	v_cmp_gt_i64_e32 vcc, v[14:15], v[6:7]
	v_cndmask_b32_e32 v15, v7, v15, vcc
	v_cndmask_b32_e32 v14, v6, v14, vcc
	;; [unrolled: 3-line block ×6, first 2 shown]
	v_add_lshl_u32 v1, v1, v0, 3
	v_cmp_gt_u32_e32 vcc, 64, v0
	ds_write_b64 v1, v[18:19]
	s_waitcnt lgkmcnt(0)
	s_barrier
	s_and_saveexec_b64 s[4:5], vcc
	s_cbranch_execz .LBB2668_56
; %bb.53:
	v_lshlrev_b32_e32 v1, 1, v0
	v_lshrrev_b32_e32 v14, 4, v0
	v_add_lshl_u32 v1, v14, v1, 3
	ds_read2_b64 v[14:17], v1 offset1:1
	v_mbcnt_lo_u32_b32 v22, -1, 0
	v_mbcnt_hi_u32_b32 v26, -1, v22
	v_and_b32_e32 v27, 15, v26
	v_and_b32_e32 v29, 16, v26
	s_waitcnt lgkmcnt(0)
	v_cmp_gt_i64_e32 vcc, v[14:15], v[16:17]
	v_cndmask_b32_e32 v17, v17, v15, vcc
	v_cndmask_b32_e32 v16, v16, v14, vcc
	v_cmp_ne_u32_e64 s[0:1], 0, v26
	v_mov_b32_dpp v23, v17 row_shr:1 row_mask:0xf bank_mask:0xf
	v_mov_b32_dpp v22, v16 row_shr:1 row_mask:0xf bank_mask:0xf
	v_cmp_gt_i64_e32 vcc, v[22:23], v[16:17]
	v_cndmask_b32_e32 v22, v16, v22, vcc
	v_cndmask_b32_e32 v23, v17, v23, vcc
	v_cmp_eq_u32_e32 vcc, 0, v27
	v_cndmask_b32_e32 v23, v23, v17, vcc
	v_cndmask_b32_e32 v22, v22, v16, vcc
	s_nop 0
	v_mov_b32_dpp v25, v23 row_shr:2 row_mask:0xf bank_mask:0xf
	v_mov_b32_dpp v24, v22 row_shr:2 row_mask:0xf bank_mask:0xf
	v_cmp_gt_i64_e32 vcc, v[24:25], v[22:23]
	v_cndmask_b32_e32 v24, v22, v24, vcc
	v_cndmask_b32_e32 v25, v23, v25, vcc
	v_cmp_lt_u32_e32 vcc, 1, v27
	v_cndmask_b32_e32 v23, v23, v25, vcc
	v_cndmask_b32_e32 v22, v22, v24, vcc
	s_nop 0
	v_mov_b32_dpp v25, v23 row_shr:4 row_mask:0xf bank_mask:0xf
	v_mov_b32_dpp v24, v22 row_shr:4 row_mask:0xf bank_mask:0xf
	v_cmp_gt_i64_e32 vcc, v[24:25], v[22:23]
	v_cndmask_b32_e32 v24, v22, v24, vcc
	v_cndmask_b32_e32 v25, v23, v25, vcc
	v_cmp_lt_u32_e32 vcc, 3, v27
	;; [unrolled: 9-line block ×3, first 2 shown]
	v_cndmask_b32_e32 v23, v23, v25, vcc
	v_cndmask_b32_e32 v22, v22, v24, vcc
	s_nop 0
	v_mov_b32_dpp v25, v23 row_bcast:15 row_mask:0xf bank_mask:0xf
	v_mov_b32_dpp v24, v22 row_bcast:15 row_mask:0xf bank_mask:0xf
	v_cmp_gt_i64_e32 vcc, v[24:25], v[22:23]
	v_cndmask_b32_e32 v27, v23, v25, vcc
	v_cndmask_b32_e32 v28, v22, v24, vcc
	v_cmp_eq_u32_e32 vcc, 0, v29
	v_cndmask_b32_e32 v25, v27, v23, vcc
	v_cndmask_b32_e32 v24, v28, v22, vcc
	s_nop 0
	v_mov_b32_dpp v25, v25 row_bcast:31 row_mask:0xf bank_mask:0xf
	v_mov_b32_dpp v24, v24 row_bcast:31 row_mask:0xf bank_mask:0xf
	s_and_saveexec_b64 s[8:9], s[0:1]
; %bb.54:
	v_cndmask_b32_e32 v17, v27, v23, vcc
	v_cndmask_b32_e32 v16, v28, v22, vcc
	v_cmp_lt_u32_e64 s[0:1], 31, v26
	v_cmp_gt_i64_e32 vcc, v[24:25], v[16:17]
	s_and_b64 vcc, s[0:1], vcc
	v_cndmask_b32_e32 v16, v16, v24, vcc
	v_cndmask_b32_e32 v17, v17, v25, vcc
; %bb.55:
	s_or_b64 exec, exec, s[8:9]
	v_add_u32_e32 v22, -1, v26
	v_and_b32_e32 v23, 64, v26
	v_cmp_lt_i32_e32 vcc, v22, v23
	v_cndmask_b32_e32 v22, v22, v26, vcc
	v_lshlrev_b32_e32 v22, 2, v22
	ds_bpermute_b32 v16, v22, v16
	ds_bpermute_b32 v17, v22, v17
	; wave barrier
	s_waitcnt lgkmcnt(0)
	v_cmp_gt_i64_e32 vcc, v[16:17], v[14:15]
	v_cndmask_b32_e32 v14, v14, v16, vcc
	v_cndmask_b32_e32 v15, v15, v17, vcc
	v_cmp_eq_u32_e32 vcc, 0, v0
	v_cndmask_b32_e32 v15, v15, v19, vcc
	v_cndmask_b32_e32 v14, v14, v18, vcc
	ds_write_b64 v1, v[14:15]
	; wave barrier
	ds_read_b64 v[16:17], v1 offset:8
	s_waitcnt lgkmcnt(0)
	v_cmp_gt_i64_e32 vcc, v[14:15], v[16:17]
	v_cndmask_b32_e32 v15, v17, v15, vcc
	v_cndmask_b32_e32 v14, v16, v14, vcc
	ds_write_b64 v1, v[14:15] offset:8
.LBB2668_56:
	s_or_b64 exec, exec, s[4:5]
	v_cmp_eq_u32_e32 vcc, 0, v0
	v_cmp_ne_u32_e64 s[0:1], 0, v0
	v_pk_mov_b32 v[14:15], v[20:21], v[20:21] op_sel:[0,1]
	s_waitcnt lgkmcnt(0)
	s_barrier
	s_and_saveexec_b64 s[4:5], s[0:1]
	s_cbranch_execz .LBB2668_58
; %bb.57:
	v_add_u32_e32 v1, -1, v0
	v_lshrrev_b32_e32 v14, 5, v1
	v_add_lshl_u32 v1, v14, v1, 3
	ds_read_b64 v[14:15], v1
	s_waitcnt lgkmcnt(0)
	v_cmp_gt_i64_e64 s[0:1], v[20:21], v[14:15]
	v_cndmask_b32_e64 v15, v15, v21, s[0:1]
	v_cndmask_b32_e64 v14, v14, v20, s[0:1]
.LBB2668_58:
	s_or_b64 exec, exec, s[4:5]
	v_cmp_gt_i64_e64 s[0:1], v[14:15], v[10:11]
	v_cndmask_b32_e64 v29, v11, v15, s[0:1]
	v_cndmask_b32_e64 v28, v10, v14, s[0:1]
	v_cmp_gt_i64_e64 s[0:1], v[28:29], v[12:13]
	v_cndmask_b32_e64 v19, v13, v29, s[0:1]
	v_cndmask_b32_e64 v18, v12, v28, s[0:1]
	;; [unrolled: 3-line block ×6, first 2 shown]
	s_and_saveexec_b64 s[0:1], vcc
	s_cbranch_execz .LBB2668_60
; %bb.59:
	v_mov_b32_e32 v5, 0
	ds_read_b64 v[2:3], v5 offset:1040
	s_add_u32 s4, s24, 0x400
	s_addc_u32 s5, s25, 0
	v_mov_b32_e32 v4, 2
	v_pk_mov_b32 v[6:7], s[4:5], s[4:5] op_sel:[0,1]
	s_waitcnt lgkmcnt(0)
	v_cmp_gt_i64_e32 vcc, v[20:21], v[2:3]
	v_cndmask_b32_e32 v3, v3, v21, vcc
	v_cndmask_b32_e32 v2, v2, v20, vcc
	;;#ASMSTART
	global_store_dwordx4 v[6:7], v[2:5] off	
s_waitcnt vmcnt(0)
	;;#ASMEND
.LBB2668_60:
	s_or_b64 exec, exec, s[0:1]
.LBB2668_61:
	s_waitcnt lgkmcnt(0)
	s_add_u32 s0, s16, s20
	s_addc_u32 s1, s17, s21
	s_add_u32 s4, s0, s22
	s_addc_u32 s5, s1, s23
	s_mov_b64 s[0:1], -1
	s_and_b64 vcc, exec, s[18:19]
	s_barrier
	s_cbranch_vccz .LBB2668_63
; %bb.62:
	v_mul_u32_u24_e32 v1, 56, v0
	ds_write2_b64 v1, v[14:15], v[28:29] offset1:1
	ds_write2_b64 v1, v[18:19], v[30:31] offset0:2 offset1:3
	ds_write2_b64 v1, v[22:23], v[32:33] offset0:4 offset1:5
	ds_write_b64 v1, v[34:35] offset:48
	v_mul_i32_i24_e32 v1, 0xffffffd0, v0
	v_mad_u32_u24 v1, v0, 56, v1
	s_waitcnt lgkmcnt(0)
	s_barrier
	ds_read2st64_b64 v[2:5], v1 offset1:2
	ds_read2st64_b64 v[6:9], v1 offset0:4 offset1:6
	ds_read2st64_b64 v[10:13], v1 offset0:8 offset1:10
	ds_read_b64 v[16:17], v1 offset:6144
	v_mov_b32_e32 v1, s5
	v_add_co_u32_e32 v20, vcc, s4, v36
	v_addc_co_u32_e32 v21, vcc, 0, v1, vcc
	s_waitcnt lgkmcnt(3)
	flat_store_dwordx2 v[20:21], v[2:3]
	flat_store_dwordx2 v[20:21], v[4:5] offset:1024
	s_waitcnt lgkmcnt(0)
	flat_store_dwordx2 v[20:21], v[6:7] offset:2048
	flat_store_dwordx2 v[20:21], v[8:9] offset:3072
	v_add_co_u32_e32 v2, vcc, 0x1000, v20
	v_addc_co_u32_e32 v3, vcc, 0, v21, vcc
	flat_store_dwordx2 v[2:3], v[10:11]
	flat_store_dwordx2 v[2:3], v[12:13] offset:1024
	flat_store_dwordx2 v[2:3], v[16:17] offset:2048
	s_mov_b64 s[0:1], 0
.LBB2668_63:
	s_andn2_b64 vcc, exec, s[0:1]
	s_cbranch_vccnz .LBB2668_102
; %bb.64:
	s_movk_i32 s0, 0xffd0
	ds_write2_b64 v38, v[14:15], v[28:29] offset1:1
	ds_write2_b64 v38, v[18:19], v[30:31] offset0:2 offset1:3
	ds_write2_b64 v38, v[22:23], v[32:33] offset0:4 offset1:5
	ds_write_b64 v38, v[34:35] offset:48
	v_mad_i32_i24 v14, v0, s0, v38
	s_waitcnt lgkmcnt(0)
	s_barrier
	ds_read2st64_b64 v[2:5], v14 offset1:2
	ds_read2st64_b64 v[6:9], v14 offset0:4 offset1:6
	ds_read2st64_b64 v[10:13], v14 offset0:8 offset1:10
	ds_read_b64 v[14:15], v14 offset:6144
	v_mov_b32_e32 v17, s5
	v_add_co_u32_e32 v16, vcc, s4, v36
	v_addc_co_u32_e32 v17, vcc, 0, v17, vcc
	v_mov_b32_e32 v1, 0
	v_cmp_gt_u32_e32 vcc, s30, v0
	s_and_saveexec_b64 s[0:1], vcc
	s_cbranch_execz .LBB2668_66
; %bb.65:
	s_waitcnt lgkmcnt(0)
	flat_store_dwordx2 v[16:17], v[2:3]
.LBB2668_66:
	s_or_b64 exec, exec, s[0:1]
	v_or_b32_e32 v18, 0x80, v0
	v_cmp_gt_u32_e32 vcc, s30, v18
	s_and_saveexec_b64 s[0:1], vcc
	s_cbranch_execz .LBB2668_68
; %bb.67:
	s_waitcnt lgkmcnt(0)
	flat_store_dwordx2 v[16:17], v[4:5] offset:1024
.LBB2668_68:
	s_or_b64 exec, exec, s[0:1]
	v_or_b32_e32 v18, 0x100, v0
	v_cmp_gt_u32_e32 vcc, s30, v18
	s_and_saveexec_b64 s[0:1], vcc
	s_cbranch_execz .LBB2668_70
; %bb.69:
	s_waitcnt lgkmcnt(0)
	flat_store_dwordx2 v[16:17], v[6:7] offset:2048
.LBB2668_70:
	;; [unrolled: 9-line block ×3, first 2 shown]
	s_or_b64 exec, exec, s[0:1]
	v_or_b32_e32 v18, 0x200, v0
	v_cmp_gt_u32_e32 vcc, s30, v18
	s_and_saveexec_b64 s[0:1], vcc
	s_cbranch_execz .LBB2668_74
; %bb.73:
	v_add_co_u32_e32 v18, vcc, 0x1000, v16
	v_addc_co_u32_e32 v19, vcc, 0, v17, vcc
	s_waitcnt lgkmcnt(0)
	flat_store_dwordx2 v[18:19], v[10:11]
.LBB2668_74:
	s_or_b64 exec, exec, s[0:1]
	v_or_b32_e32 v18, 0x280, v0
	v_cmp_gt_u32_e32 vcc, s30, v18
	s_and_saveexec_b64 s[0:1], vcc
	s_cbranch_execz .LBB2668_76
; %bb.75:
	v_add_co_u32_e32 v18, vcc, 0x1000, v16
	v_addc_co_u32_e32 v19, vcc, 0, v17, vcc
	s_waitcnt lgkmcnt(0)
	flat_store_dwordx2 v[18:19], v[12:13] offset:1024
.LBB2668_76:
	s_or_b64 exec, exec, s[0:1]
	v_or_b32_e32 v18, 0x300, v0
	v_cmp_gt_u32_e32 vcc, s30, v18
	s_and_saveexec_b64 s[0:1], vcc
	s_cbranch_execz .LBB2668_78
; %bb.77:
	v_add_co_u32_e32 v16, vcc, 0x1000, v16
	v_addc_co_u32_e32 v17, vcc, 0, v17, vcc
	s_waitcnt lgkmcnt(0)
	flat_store_dwordx2 v[16:17], v[14:15] offset:2048
.LBB2668_78:
	s_or_b64 exec, exec, s[0:1]
	v_cmp_lt_u64_e64 s[0:1], s[6:7], 2
	s_and_b64 vcc, exec, s[0:1]
	s_cbranch_vccnz .LBB2668_102
; %bb.79:
	s_add_u32 s0, s30, -1
	s_addc_u32 s1, s31, -1
	s_add_u32 s4, 0, 0x92481000
	s_addc_u32 s5, 0, 0x64
	s_add_i32 s5, s5, 0x249248c0
	s_mul_hi_u32 s9, s4, -7
	s_sub_i32 s9, s9, s4
	s_mul_i32 s10, s5, -7
	s_mul_i32 s6, s4, -7
	s_add_i32 s9, s9, s10
	s_mul_hi_u32 s7, s5, s6
	s_mul_i32 s8, s5, s6
	s_mul_i32 s11, s4, s9
	s_mul_hi_u32 s6, s4, s6
	s_mul_hi_u32 s10, s4, s9
	s_add_u32 s6, s6, s11
	s_addc_u32 s10, 0, s10
	s_add_u32 s6, s6, s8
	s_mul_hi_u32 s11, s5, s9
	s_addc_u32 s6, s10, s7
	s_addc_u32 s7, s11, 0
	s_mul_i32 s8, s5, s9
	s_add_u32 s6, s6, s8
	v_mov_b32_e32 v16, s6
	s_addc_u32 s7, 0, s7
	v_add_co_u32_e32 v16, vcc, s4, v16
	s_cmp_lg_u64 vcc, 0
	s_addc_u32 s4, s5, s7
	v_readfirstlane_b32 s7, v16
	s_mul_i32 s6, s0, s4
	s_mul_hi_u32 s8, s0, s7
	s_mul_hi_u32 s5, s0, s4
	s_add_u32 s6, s8, s6
	s_addc_u32 s5, 0, s5
	s_mul_hi_u32 s9, s1, s7
	s_mul_i32 s7, s1, s7
	s_add_u32 s6, s6, s7
	s_mul_hi_u32 s8, s1, s4
	s_addc_u32 s5, s5, s9
	s_addc_u32 s6, s8, 0
	s_mul_i32 s4, s1, s4
	s_add_u32 s4, s5, s4
	s_addc_u32 s5, 0, s6
	s_add_u32 s6, s4, 1
	s_addc_u32 s7, s5, 0
	s_add_u32 s8, s4, 2
	s_mul_i32 s10, s5, 7
	s_mul_hi_u32 s11, s4, 7
	s_addc_u32 s9, s5, 0
	s_add_i32 s11, s11, s10
	s_mul_i32 s10, s4, 7
	v_mov_b32_e32 v16, s10
	v_sub_co_u32_e32 v16, vcc, s0, v16
	s_cmp_lg_u64 vcc, 0
	s_subb_u32 s10, s1, s11
	v_subrev_co_u32_e32 v17, vcc, 7, v16
	s_cmp_lg_u64 vcc, 0
	s_subb_u32 s11, s10, 0
	v_readfirstlane_b32 s12, v17
	s_cmp_gt_u32 s12, 6
	s_cselect_b32 s12, -1, 0
	s_cmp_eq_u32 s11, 0
	s_cselect_b32 s11, s12, -1
	s_cmp_lg_u32 s11, 0
	s_cselect_b32 s6, s8, s6
	v_readfirstlane_b32 s8, v16
	s_cselect_b32 s7, s9, s7
	s_cmp_gt_u32 s8, 6
	s_cselect_b32 s8, -1, 0
	s_cmp_eq_u32 s10, 0
	s_cselect_b32 s8, s8, -1
	s_cmp_lg_u32 s8, 0
	s_cselect_b32 s5, s7, s5
	s_cselect_b32 s4, s6, s4
	v_cmp_eq_u64_e32 vcc, s[4:5], v[0:1]
	s_and_saveexec_b64 s[4:5], vcc
	s_cbranch_execz .LBB2668_102
; %bb.80:
	v_mul_hi_u32_u24_e32 v1, 7, v0
	v_mov_b32_e32 v16, s1
	v_sub_co_u32_e32 v0, vcc, s0, v37
	v_subb_co_u32_e32 v1, vcc, v16, v1, vcc
	v_cmp_lt_i64_e32 vcc, 3, v[0:1]
	s_and_saveexec_b64 s[0:1], vcc
	s_xor_b64 s[0:1], exec, s[0:1]
	s_cbranch_execz .LBB2668_90
; %bb.81:
	v_cmp_lt_i64_e32 vcc, 4, v[0:1]
	s_and_saveexec_b64 s[4:5], vcc
	s_xor_b64 s[4:5], exec, s[4:5]
	s_cbranch_execz .LBB2668_87
; %bb.82:
	v_cmp_lt_i64_e32 vcc, 5, v[0:1]
	s_and_saveexec_b64 s[6:7], vcc
	s_xor_b64 s[6:7], exec, s[6:7]
	s_cbranch_execz .LBB2668_84
; %bb.83:
	v_mov_b32_e32 v0, 0
	s_waitcnt lgkmcnt(0)
	global_store_dwordx2 v0, v[14:15], s[2:3]
                                        ; implicit-def: $vgpr10_vgpr11_vgpr12_vgpr13
.LBB2668_84:
	s_andn2_saveexec_b64 s[6:7], s[6:7]
	s_cbranch_execz .LBB2668_86
; %bb.85:
	v_mov_b32_e32 v0, 0
	s_waitcnt lgkmcnt(0)
	global_store_dwordx2 v0, v[12:13], s[2:3]
.LBB2668_86:
	s_or_b64 exec, exec, s[6:7]
                                        ; implicit-def: $vgpr10_vgpr11_vgpr12_vgpr13
.LBB2668_87:
	s_andn2_saveexec_b64 s[4:5], s[4:5]
	s_cbranch_execz .LBB2668_89
; %bb.88:
	v_mov_b32_e32 v0, 0
	s_waitcnt lgkmcnt(0)
	global_store_dwordx2 v0, v[10:11], s[2:3]
.LBB2668_89:
	s_or_b64 exec, exec, s[4:5]
                                        ; implicit-def: $vgpr0_vgpr1
                                        ; implicit-def: $vgpr2_vgpr3_vgpr4_vgpr5
                                        ; implicit-def: $vgpr6_vgpr7_vgpr8_vgpr9
.LBB2668_90:
	s_andn2_saveexec_b64 s[0:1], s[0:1]
	s_cbranch_execz .LBB2668_102
; %bb.91:
	v_cmp_lt_i64_e32 vcc, 1, v[0:1]
	s_and_saveexec_b64 s[0:1], vcc
	s_xor_b64 s[0:1], exec, s[0:1]
	s_cbranch_execz .LBB2668_97
; %bb.92:
	v_cmp_lt_i64_e32 vcc, 2, v[0:1]
	s_and_saveexec_b64 s[4:5], vcc
	s_xor_b64 s[4:5], exec, s[4:5]
	s_cbranch_execz .LBB2668_94
; %bb.93:
	v_mov_b32_e32 v0, 0
	s_waitcnt lgkmcnt(0)
	global_store_dwordx2 v0, v[8:9], s[2:3]
                                        ; implicit-def: $vgpr6_vgpr7_vgpr8_vgpr9
.LBB2668_94:
	s_andn2_saveexec_b64 s[4:5], s[4:5]
	s_cbranch_execz .LBB2668_96
; %bb.95:
	v_mov_b32_e32 v0, 0
	s_waitcnt lgkmcnt(0)
	global_store_dwordx2 v0, v[6:7], s[2:3]
.LBB2668_96:
	s_or_b64 exec, exec, s[4:5]
                                        ; implicit-def: $vgpr2_vgpr3_vgpr4_vgpr5
                                        ; implicit-def: $vgpr0_vgpr1
.LBB2668_97:
	s_andn2_saveexec_b64 s[0:1], s[0:1]
	s_cbranch_execz .LBB2668_102
; %bb.98:
	v_cmp_ne_u64_e32 vcc, 1, v[0:1]
	s_and_saveexec_b64 s[0:1], vcc
	s_xor_b64 s[0:1], exec, s[0:1]
	s_cbranch_execz .LBB2668_100
; %bb.99:
	v_mov_b32_e32 v0, 0
	s_waitcnt lgkmcnt(0)
	global_store_dwordx2 v0, v[2:3], s[2:3]
                                        ; implicit-def: $vgpr2_vgpr3_vgpr4_vgpr5
.LBB2668_100:
	s_andn2_saveexec_b64 s[0:1], s[0:1]
	s_cbranch_execz .LBB2668_102
; %bb.101:
	v_mov_b32_e32 v0, 0
	s_waitcnt lgkmcnt(0)
	global_store_dwordx2 v0, v[4:5], s[2:3]
.LBB2668_102:
	s_endpgm
	.section	.rodata,"a",@progbits
	.p2align	6, 0x0
	.amdhsa_kernel _ZN7rocprim17ROCPRIM_400000_NS6detail17trampoline_kernelINS0_14default_configENS1_20scan_config_selectorIxEEZZNS1_9scan_implILNS1_25lookback_scan_determinismE0ELb1ELb1ES3_N6thrust23THRUST_200600_302600_NS6detail15normal_iteratorINS9_10device_ptrIxEEEESE_x11max_functorIxExEEDaPvRmT3_T4_T5_mT6_P12ihipStream_tbENKUlT_T0_E_clISt17integral_constantIbLb1EEST_IbLb0EEEEDaSP_SQ_EUlSP_E_NS1_11comp_targetILNS1_3genE4ELNS1_11target_archE910ELNS1_3gpuE8ELNS1_3repE0EEENS1_30default_config_static_selectorELNS0_4arch9wavefront6targetE1EEEvT1_
		.amdhsa_group_segment_fixed_size 7168
		.amdhsa_private_segment_fixed_size 0
		.amdhsa_kernarg_size 104
		.amdhsa_user_sgpr_count 6
		.amdhsa_user_sgpr_private_segment_buffer 1
		.amdhsa_user_sgpr_dispatch_ptr 0
		.amdhsa_user_sgpr_queue_ptr 0
		.amdhsa_user_sgpr_kernarg_segment_ptr 1
		.amdhsa_user_sgpr_dispatch_id 0
		.amdhsa_user_sgpr_flat_scratch_init 0
		.amdhsa_user_sgpr_kernarg_preload_length 0
		.amdhsa_user_sgpr_kernarg_preload_offset 0
		.amdhsa_user_sgpr_private_segment_size 0
		.amdhsa_uses_dynamic_stack 0
		.amdhsa_system_sgpr_private_segment_wavefront_offset 0
		.amdhsa_system_sgpr_workgroup_id_x 1
		.amdhsa_system_sgpr_workgroup_id_y 0
		.amdhsa_system_sgpr_workgroup_id_z 0
		.amdhsa_system_sgpr_workgroup_info 0
		.amdhsa_system_vgpr_workitem_id 0
		.amdhsa_next_free_vgpr 58
		.amdhsa_next_free_sgpr 35
		.amdhsa_accum_offset 60
		.amdhsa_reserve_vcc 1
		.amdhsa_reserve_flat_scratch 0
		.amdhsa_float_round_mode_32 0
		.amdhsa_float_round_mode_16_64 0
		.amdhsa_float_denorm_mode_32 3
		.amdhsa_float_denorm_mode_16_64 3
		.amdhsa_dx10_clamp 1
		.amdhsa_ieee_mode 1
		.amdhsa_fp16_overflow 0
		.amdhsa_tg_split 0
		.amdhsa_exception_fp_ieee_invalid_op 0
		.amdhsa_exception_fp_denorm_src 0
		.amdhsa_exception_fp_ieee_div_zero 0
		.amdhsa_exception_fp_ieee_overflow 0
		.amdhsa_exception_fp_ieee_underflow 0
		.amdhsa_exception_fp_ieee_inexact 0
		.amdhsa_exception_int_div_zero 0
	.end_amdhsa_kernel
	.section	.text._ZN7rocprim17ROCPRIM_400000_NS6detail17trampoline_kernelINS0_14default_configENS1_20scan_config_selectorIxEEZZNS1_9scan_implILNS1_25lookback_scan_determinismE0ELb1ELb1ES3_N6thrust23THRUST_200600_302600_NS6detail15normal_iteratorINS9_10device_ptrIxEEEESE_x11max_functorIxExEEDaPvRmT3_T4_T5_mT6_P12ihipStream_tbENKUlT_T0_E_clISt17integral_constantIbLb1EEST_IbLb0EEEEDaSP_SQ_EUlSP_E_NS1_11comp_targetILNS1_3genE4ELNS1_11target_archE910ELNS1_3gpuE8ELNS1_3repE0EEENS1_30default_config_static_selectorELNS0_4arch9wavefront6targetE1EEEvT1_,"axG",@progbits,_ZN7rocprim17ROCPRIM_400000_NS6detail17trampoline_kernelINS0_14default_configENS1_20scan_config_selectorIxEEZZNS1_9scan_implILNS1_25lookback_scan_determinismE0ELb1ELb1ES3_N6thrust23THRUST_200600_302600_NS6detail15normal_iteratorINS9_10device_ptrIxEEEESE_x11max_functorIxExEEDaPvRmT3_T4_T5_mT6_P12ihipStream_tbENKUlT_T0_E_clISt17integral_constantIbLb1EEST_IbLb0EEEEDaSP_SQ_EUlSP_E_NS1_11comp_targetILNS1_3genE4ELNS1_11target_archE910ELNS1_3gpuE8ELNS1_3repE0EEENS1_30default_config_static_selectorELNS0_4arch9wavefront6targetE1EEEvT1_,comdat
.Lfunc_end2668:
	.size	_ZN7rocprim17ROCPRIM_400000_NS6detail17trampoline_kernelINS0_14default_configENS1_20scan_config_selectorIxEEZZNS1_9scan_implILNS1_25lookback_scan_determinismE0ELb1ELb1ES3_N6thrust23THRUST_200600_302600_NS6detail15normal_iteratorINS9_10device_ptrIxEEEESE_x11max_functorIxExEEDaPvRmT3_T4_T5_mT6_P12ihipStream_tbENKUlT_T0_E_clISt17integral_constantIbLb1EEST_IbLb0EEEEDaSP_SQ_EUlSP_E_NS1_11comp_targetILNS1_3genE4ELNS1_11target_archE910ELNS1_3gpuE8ELNS1_3repE0EEENS1_30default_config_static_selectorELNS0_4arch9wavefront6targetE1EEEvT1_, .Lfunc_end2668-_ZN7rocprim17ROCPRIM_400000_NS6detail17trampoline_kernelINS0_14default_configENS1_20scan_config_selectorIxEEZZNS1_9scan_implILNS1_25lookback_scan_determinismE0ELb1ELb1ES3_N6thrust23THRUST_200600_302600_NS6detail15normal_iteratorINS9_10device_ptrIxEEEESE_x11max_functorIxExEEDaPvRmT3_T4_T5_mT6_P12ihipStream_tbENKUlT_T0_E_clISt17integral_constantIbLb1EEST_IbLb0EEEEDaSP_SQ_EUlSP_E_NS1_11comp_targetILNS1_3genE4ELNS1_11target_archE910ELNS1_3gpuE8ELNS1_3repE0EEENS1_30default_config_static_selectorELNS0_4arch9wavefront6targetE1EEEvT1_
                                        ; -- End function
	.section	.AMDGPU.csdata,"",@progbits
; Kernel info:
; codeLenInByte = 5944
; NumSgprs: 39
; NumVgprs: 58
; NumAgprs: 0
; TotalNumVgprs: 58
; ScratchSize: 0
; MemoryBound: 0
; FloatMode: 240
; IeeeMode: 1
; LDSByteSize: 7168 bytes/workgroup (compile time only)
; SGPRBlocks: 4
; VGPRBlocks: 7
; NumSGPRsForWavesPerEU: 39
; NumVGPRsForWavesPerEU: 58
; AccumOffset: 60
; Occupancy: 5
; WaveLimiterHint : 1
; COMPUTE_PGM_RSRC2:SCRATCH_EN: 0
; COMPUTE_PGM_RSRC2:USER_SGPR: 6
; COMPUTE_PGM_RSRC2:TRAP_HANDLER: 0
; COMPUTE_PGM_RSRC2:TGID_X_EN: 1
; COMPUTE_PGM_RSRC2:TGID_Y_EN: 0
; COMPUTE_PGM_RSRC2:TGID_Z_EN: 0
; COMPUTE_PGM_RSRC2:TIDIG_COMP_CNT: 0
; COMPUTE_PGM_RSRC3_GFX90A:ACCUM_OFFSET: 14
; COMPUTE_PGM_RSRC3_GFX90A:TG_SPLIT: 0
	.section	.text._ZN7rocprim17ROCPRIM_400000_NS6detail17trampoline_kernelINS0_14default_configENS1_20scan_config_selectorIxEEZZNS1_9scan_implILNS1_25lookback_scan_determinismE0ELb1ELb1ES3_N6thrust23THRUST_200600_302600_NS6detail15normal_iteratorINS9_10device_ptrIxEEEESE_x11max_functorIxExEEDaPvRmT3_T4_T5_mT6_P12ihipStream_tbENKUlT_T0_E_clISt17integral_constantIbLb1EEST_IbLb0EEEEDaSP_SQ_EUlSP_E_NS1_11comp_targetILNS1_3genE3ELNS1_11target_archE908ELNS1_3gpuE7ELNS1_3repE0EEENS1_30default_config_static_selectorELNS0_4arch9wavefront6targetE1EEEvT1_,"axG",@progbits,_ZN7rocprim17ROCPRIM_400000_NS6detail17trampoline_kernelINS0_14default_configENS1_20scan_config_selectorIxEEZZNS1_9scan_implILNS1_25lookback_scan_determinismE0ELb1ELb1ES3_N6thrust23THRUST_200600_302600_NS6detail15normal_iteratorINS9_10device_ptrIxEEEESE_x11max_functorIxExEEDaPvRmT3_T4_T5_mT6_P12ihipStream_tbENKUlT_T0_E_clISt17integral_constantIbLb1EEST_IbLb0EEEEDaSP_SQ_EUlSP_E_NS1_11comp_targetILNS1_3genE3ELNS1_11target_archE908ELNS1_3gpuE7ELNS1_3repE0EEENS1_30default_config_static_selectorELNS0_4arch9wavefront6targetE1EEEvT1_,comdat
	.protected	_ZN7rocprim17ROCPRIM_400000_NS6detail17trampoline_kernelINS0_14default_configENS1_20scan_config_selectorIxEEZZNS1_9scan_implILNS1_25lookback_scan_determinismE0ELb1ELb1ES3_N6thrust23THRUST_200600_302600_NS6detail15normal_iteratorINS9_10device_ptrIxEEEESE_x11max_functorIxExEEDaPvRmT3_T4_T5_mT6_P12ihipStream_tbENKUlT_T0_E_clISt17integral_constantIbLb1EEST_IbLb0EEEEDaSP_SQ_EUlSP_E_NS1_11comp_targetILNS1_3genE3ELNS1_11target_archE908ELNS1_3gpuE7ELNS1_3repE0EEENS1_30default_config_static_selectorELNS0_4arch9wavefront6targetE1EEEvT1_ ; -- Begin function _ZN7rocprim17ROCPRIM_400000_NS6detail17trampoline_kernelINS0_14default_configENS1_20scan_config_selectorIxEEZZNS1_9scan_implILNS1_25lookback_scan_determinismE0ELb1ELb1ES3_N6thrust23THRUST_200600_302600_NS6detail15normal_iteratorINS9_10device_ptrIxEEEESE_x11max_functorIxExEEDaPvRmT3_T4_T5_mT6_P12ihipStream_tbENKUlT_T0_E_clISt17integral_constantIbLb1EEST_IbLb0EEEEDaSP_SQ_EUlSP_E_NS1_11comp_targetILNS1_3genE3ELNS1_11target_archE908ELNS1_3gpuE7ELNS1_3repE0EEENS1_30default_config_static_selectorELNS0_4arch9wavefront6targetE1EEEvT1_
	.globl	_ZN7rocprim17ROCPRIM_400000_NS6detail17trampoline_kernelINS0_14default_configENS1_20scan_config_selectorIxEEZZNS1_9scan_implILNS1_25lookback_scan_determinismE0ELb1ELb1ES3_N6thrust23THRUST_200600_302600_NS6detail15normal_iteratorINS9_10device_ptrIxEEEESE_x11max_functorIxExEEDaPvRmT3_T4_T5_mT6_P12ihipStream_tbENKUlT_T0_E_clISt17integral_constantIbLb1EEST_IbLb0EEEEDaSP_SQ_EUlSP_E_NS1_11comp_targetILNS1_3genE3ELNS1_11target_archE908ELNS1_3gpuE7ELNS1_3repE0EEENS1_30default_config_static_selectorELNS0_4arch9wavefront6targetE1EEEvT1_
	.p2align	8
	.type	_ZN7rocprim17ROCPRIM_400000_NS6detail17trampoline_kernelINS0_14default_configENS1_20scan_config_selectorIxEEZZNS1_9scan_implILNS1_25lookback_scan_determinismE0ELb1ELb1ES3_N6thrust23THRUST_200600_302600_NS6detail15normal_iteratorINS9_10device_ptrIxEEEESE_x11max_functorIxExEEDaPvRmT3_T4_T5_mT6_P12ihipStream_tbENKUlT_T0_E_clISt17integral_constantIbLb1EEST_IbLb0EEEEDaSP_SQ_EUlSP_E_NS1_11comp_targetILNS1_3genE3ELNS1_11target_archE908ELNS1_3gpuE7ELNS1_3repE0EEENS1_30default_config_static_selectorELNS0_4arch9wavefront6targetE1EEEvT1_,@function
_ZN7rocprim17ROCPRIM_400000_NS6detail17trampoline_kernelINS0_14default_configENS1_20scan_config_selectorIxEEZZNS1_9scan_implILNS1_25lookback_scan_determinismE0ELb1ELb1ES3_N6thrust23THRUST_200600_302600_NS6detail15normal_iteratorINS9_10device_ptrIxEEEESE_x11max_functorIxExEEDaPvRmT3_T4_T5_mT6_P12ihipStream_tbENKUlT_T0_E_clISt17integral_constantIbLb1EEST_IbLb0EEEEDaSP_SQ_EUlSP_E_NS1_11comp_targetILNS1_3genE3ELNS1_11target_archE908ELNS1_3gpuE7ELNS1_3repE0EEENS1_30default_config_static_selectorELNS0_4arch9wavefront6targetE1EEEvT1_: ; @_ZN7rocprim17ROCPRIM_400000_NS6detail17trampoline_kernelINS0_14default_configENS1_20scan_config_selectorIxEEZZNS1_9scan_implILNS1_25lookback_scan_determinismE0ELb1ELb1ES3_N6thrust23THRUST_200600_302600_NS6detail15normal_iteratorINS9_10device_ptrIxEEEESE_x11max_functorIxExEEDaPvRmT3_T4_T5_mT6_P12ihipStream_tbENKUlT_T0_E_clISt17integral_constantIbLb1EEST_IbLb0EEEEDaSP_SQ_EUlSP_E_NS1_11comp_targetILNS1_3genE3ELNS1_11target_archE908ELNS1_3gpuE7ELNS1_3repE0EEENS1_30default_config_static_selectorELNS0_4arch9wavefront6targetE1EEEvT1_
; %bb.0:
	.section	.rodata,"a",@progbits
	.p2align	6, 0x0
	.amdhsa_kernel _ZN7rocprim17ROCPRIM_400000_NS6detail17trampoline_kernelINS0_14default_configENS1_20scan_config_selectorIxEEZZNS1_9scan_implILNS1_25lookback_scan_determinismE0ELb1ELb1ES3_N6thrust23THRUST_200600_302600_NS6detail15normal_iteratorINS9_10device_ptrIxEEEESE_x11max_functorIxExEEDaPvRmT3_T4_T5_mT6_P12ihipStream_tbENKUlT_T0_E_clISt17integral_constantIbLb1EEST_IbLb0EEEEDaSP_SQ_EUlSP_E_NS1_11comp_targetILNS1_3genE3ELNS1_11target_archE908ELNS1_3gpuE7ELNS1_3repE0EEENS1_30default_config_static_selectorELNS0_4arch9wavefront6targetE1EEEvT1_
		.amdhsa_group_segment_fixed_size 0
		.amdhsa_private_segment_fixed_size 0
		.amdhsa_kernarg_size 104
		.amdhsa_user_sgpr_count 6
		.amdhsa_user_sgpr_private_segment_buffer 1
		.amdhsa_user_sgpr_dispatch_ptr 0
		.amdhsa_user_sgpr_queue_ptr 0
		.amdhsa_user_sgpr_kernarg_segment_ptr 1
		.amdhsa_user_sgpr_dispatch_id 0
		.amdhsa_user_sgpr_flat_scratch_init 0
		.amdhsa_user_sgpr_kernarg_preload_length 0
		.amdhsa_user_sgpr_kernarg_preload_offset 0
		.amdhsa_user_sgpr_private_segment_size 0
		.amdhsa_uses_dynamic_stack 0
		.amdhsa_system_sgpr_private_segment_wavefront_offset 0
		.amdhsa_system_sgpr_workgroup_id_x 1
		.amdhsa_system_sgpr_workgroup_id_y 0
		.amdhsa_system_sgpr_workgroup_id_z 0
		.amdhsa_system_sgpr_workgroup_info 0
		.amdhsa_system_vgpr_workitem_id 0
		.amdhsa_next_free_vgpr 1
		.amdhsa_next_free_sgpr 0
		.amdhsa_accum_offset 4
		.amdhsa_reserve_vcc 0
		.amdhsa_reserve_flat_scratch 0
		.amdhsa_float_round_mode_32 0
		.amdhsa_float_round_mode_16_64 0
		.amdhsa_float_denorm_mode_32 3
		.amdhsa_float_denorm_mode_16_64 3
		.amdhsa_dx10_clamp 1
		.amdhsa_ieee_mode 1
		.amdhsa_fp16_overflow 0
		.amdhsa_tg_split 0
		.amdhsa_exception_fp_ieee_invalid_op 0
		.amdhsa_exception_fp_denorm_src 0
		.amdhsa_exception_fp_ieee_div_zero 0
		.amdhsa_exception_fp_ieee_overflow 0
		.amdhsa_exception_fp_ieee_underflow 0
		.amdhsa_exception_fp_ieee_inexact 0
		.amdhsa_exception_int_div_zero 0
	.end_amdhsa_kernel
	.section	.text._ZN7rocprim17ROCPRIM_400000_NS6detail17trampoline_kernelINS0_14default_configENS1_20scan_config_selectorIxEEZZNS1_9scan_implILNS1_25lookback_scan_determinismE0ELb1ELb1ES3_N6thrust23THRUST_200600_302600_NS6detail15normal_iteratorINS9_10device_ptrIxEEEESE_x11max_functorIxExEEDaPvRmT3_T4_T5_mT6_P12ihipStream_tbENKUlT_T0_E_clISt17integral_constantIbLb1EEST_IbLb0EEEEDaSP_SQ_EUlSP_E_NS1_11comp_targetILNS1_3genE3ELNS1_11target_archE908ELNS1_3gpuE7ELNS1_3repE0EEENS1_30default_config_static_selectorELNS0_4arch9wavefront6targetE1EEEvT1_,"axG",@progbits,_ZN7rocprim17ROCPRIM_400000_NS6detail17trampoline_kernelINS0_14default_configENS1_20scan_config_selectorIxEEZZNS1_9scan_implILNS1_25lookback_scan_determinismE0ELb1ELb1ES3_N6thrust23THRUST_200600_302600_NS6detail15normal_iteratorINS9_10device_ptrIxEEEESE_x11max_functorIxExEEDaPvRmT3_T4_T5_mT6_P12ihipStream_tbENKUlT_T0_E_clISt17integral_constantIbLb1EEST_IbLb0EEEEDaSP_SQ_EUlSP_E_NS1_11comp_targetILNS1_3genE3ELNS1_11target_archE908ELNS1_3gpuE7ELNS1_3repE0EEENS1_30default_config_static_selectorELNS0_4arch9wavefront6targetE1EEEvT1_,comdat
.Lfunc_end2669:
	.size	_ZN7rocprim17ROCPRIM_400000_NS6detail17trampoline_kernelINS0_14default_configENS1_20scan_config_selectorIxEEZZNS1_9scan_implILNS1_25lookback_scan_determinismE0ELb1ELb1ES3_N6thrust23THRUST_200600_302600_NS6detail15normal_iteratorINS9_10device_ptrIxEEEESE_x11max_functorIxExEEDaPvRmT3_T4_T5_mT6_P12ihipStream_tbENKUlT_T0_E_clISt17integral_constantIbLb1EEST_IbLb0EEEEDaSP_SQ_EUlSP_E_NS1_11comp_targetILNS1_3genE3ELNS1_11target_archE908ELNS1_3gpuE7ELNS1_3repE0EEENS1_30default_config_static_selectorELNS0_4arch9wavefront6targetE1EEEvT1_, .Lfunc_end2669-_ZN7rocprim17ROCPRIM_400000_NS6detail17trampoline_kernelINS0_14default_configENS1_20scan_config_selectorIxEEZZNS1_9scan_implILNS1_25lookback_scan_determinismE0ELb1ELb1ES3_N6thrust23THRUST_200600_302600_NS6detail15normal_iteratorINS9_10device_ptrIxEEEESE_x11max_functorIxExEEDaPvRmT3_T4_T5_mT6_P12ihipStream_tbENKUlT_T0_E_clISt17integral_constantIbLb1EEST_IbLb0EEEEDaSP_SQ_EUlSP_E_NS1_11comp_targetILNS1_3genE3ELNS1_11target_archE908ELNS1_3gpuE7ELNS1_3repE0EEENS1_30default_config_static_selectorELNS0_4arch9wavefront6targetE1EEEvT1_
                                        ; -- End function
	.section	.AMDGPU.csdata,"",@progbits
; Kernel info:
; codeLenInByte = 0
; NumSgprs: 4
; NumVgprs: 0
; NumAgprs: 0
; TotalNumVgprs: 0
; ScratchSize: 0
; MemoryBound: 0
; FloatMode: 240
; IeeeMode: 1
; LDSByteSize: 0 bytes/workgroup (compile time only)
; SGPRBlocks: 0
; VGPRBlocks: 0
; NumSGPRsForWavesPerEU: 4
; NumVGPRsForWavesPerEU: 1
; AccumOffset: 4
; Occupancy: 8
; WaveLimiterHint : 0
; COMPUTE_PGM_RSRC2:SCRATCH_EN: 0
; COMPUTE_PGM_RSRC2:USER_SGPR: 6
; COMPUTE_PGM_RSRC2:TRAP_HANDLER: 0
; COMPUTE_PGM_RSRC2:TGID_X_EN: 1
; COMPUTE_PGM_RSRC2:TGID_Y_EN: 0
; COMPUTE_PGM_RSRC2:TGID_Z_EN: 0
; COMPUTE_PGM_RSRC2:TIDIG_COMP_CNT: 0
; COMPUTE_PGM_RSRC3_GFX90A:ACCUM_OFFSET: 0
; COMPUTE_PGM_RSRC3_GFX90A:TG_SPLIT: 0
	.section	.text._ZN7rocprim17ROCPRIM_400000_NS6detail17trampoline_kernelINS0_14default_configENS1_20scan_config_selectorIxEEZZNS1_9scan_implILNS1_25lookback_scan_determinismE0ELb1ELb1ES3_N6thrust23THRUST_200600_302600_NS6detail15normal_iteratorINS9_10device_ptrIxEEEESE_x11max_functorIxExEEDaPvRmT3_T4_T5_mT6_P12ihipStream_tbENKUlT_T0_E_clISt17integral_constantIbLb1EEST_IbLb0EEEEDaSP_SQ_EUlSP_E_NS1_11comp_targetILNS1_3genE2ELNS1_11target_archE906ELNS1_3gpuE6ELNS1_3repE0EEENS1_30default_config_static_selectorELNS0_4arch9wavefront6targetE1EEEvT1_,"axG",@progbits,_ZN7rocprim17ROCPRIM_400000_NS6detail17trampoline_kernelINS0_14default_configENS1_20scan_config_selectorIxEEZZNS1_9scan_implILNS1_25lookback_scan_determinismE0ELb1ELb1ES3_N6thrust23THRUST_200600_302600_NS6detail15normal_iteratorINS9_10device_ptrIxEEEESE_x11max_functorIxExEEDaPvRmT3_T4_T5_mT6_P12ihipStream_tbENKUlT_T0_E_clISt17integral_constantIbLb1EEST_IbLb0EEEEDaSP_SQ_EUlSP_E_NS1_11comp_targetILNS1_3genE2ELNS1_11target_archE906ELNS1_3gpuE6ELNS1_3repE0EEENS1_30default_config_static_selectorELNS0_4arch9wavefront6targetE1EEEvT1_,comdat
	.protected	_ZN7rocprim17ROCPRIM_400000_NS6detail17trampoline_kernelINS0_14default_configENS1_20scan_config_selectorIxEEZZNS1_9scan_implILNS1_25lookback_scan_determinismE0ELb1ELb1ES3_N6thrust23THRUST_200600_302600_NS6detail15normal_iteratorINS9_10device_ptrIxEEEESE_x11max_functorIxExEEDaPvRmT3_T4_T5_mT6_P12ihipStream_tbENKUlT_T0_E_clISt17integral_constantIbLb1EEST_IbLb0EEEEDaSP_SQ_EUlSP_E_NS1_11comp_targetILNS1_3genE2ELNS1_11target_archE906ELNS1_3gpuE6ELNS1_3repE0EEENS1_30default_config_static_selectorELNS0_4arch9wavefront6targetE1EEEvT1_ ; -- Begin function _ZN7rocprim17ROCPRIM_400000_NS6detail17trampoline_kernelINS0_14default_configENS1_20scan_config_selectorIxEEZZNS1_9scan_implILNS1_25lookback_scan_determinismE0ELb1ELb1ES3_N6thrust23THRUST_200600_302600_NS6detail15normal_iteratorINS9_10device_ptrIxEEEESE_x11max_functorIxExEEDaPvRmT3_T4_T5_mT6_P12ihipStream_tbENKUlT_T0_E_clISt17integral_constantIbLb1EEST_IbLb0EEEEDaSP_SQ_EUlSP_E_NS1_11comp_targetILNS1_3genE2ELNS1_11target_archE906ELNS1_3gpuE6ELNS1_3repE0EEENS1_30default_config_static_selectorELNS0_4arch9wavefront6targetE1EEEvT1_
	.globl	_ZN7rocprim17ROCPRIM_400000_NS6detail17trampoline_kernelINS0_14default_configENS1_20scan_config_selectorIxEEZZNS1_9scan_implILNS1_25lookback_scan_determinismE0ELb1ELb1ES3_N6thrust23THRUST_200600_302600_NS6detail15normal_iteratorINS9_10device_ptrIxEEEESE_x11max_functorIxExEEDaPvRmT3_T4_T5_mT6_P12ihipStream_tbENKUlT_T0_E_clISt17integral_constantIbLb1EEST_IbLb0EEEEDaSP_SQ_EUlSP_E_NS1_11comp_targetILNS1_3genE2ELNS1_11target_archE906ELNS1_3gpuE6ELNS1_3repE0EEENS1_30default_config_static_selectorELNS0_4arch9wavefront6targetE1EEEvT1_
	.p2align	8
	.type	_ZN7rocprim17ROCPRIM_400000_NS6detail17trampoline_kernelINS0_14default_configENS1_20scan_config_selectorIxEEZZNS1_9scan_implILNS1_25lookback_scan_determinismE0ELb1ELb1ES3_N6thrust23THRUST_200600_302600_NS6detail15normal_iteratorINS9_10device_ptrIxEEEESE_x11max_functorIxExEEDaPvRmT3_T4_T5_mT6_P12ihipStream_tbENKUlT_T0_E_clISt17integral_constantIbLb1EEST_IbLb0EEEEDaSP_SQ_EUlSP_E_NS1_11comp_targetILNS1_3genE2ELNS1_11target_archE906ELNS1_3gpuE6ELNS1_3repE0EEENS1_30default_config_static_selectorELNS0_4arch9wavefront6targetE1EEEvT1_,@function
_ZN7rocprim17ROCPRIM_400000_NS6detail17trampoline_kernelINS0_14default_configENS1_20scan_config_selectorIxEEZZNS1_9scan_implILNS1_25lookback_scan_determinismE0ELb1ELb1ES3_N6thrust23THRUST_200600_302600_NS6detail15normal_iteratorINS9_10device_ptrIxEEEESE_x11max_functorIxExEEDaPvRmT3_T4_T5_mT6_P12ihipStream_tbENKUlT_T0_E_clISt17integral_constantIbLb1EEST_IbLb0EEEEDaSP_SQ_EUlSP_E_NS1_11comp_targetILNS1_3genE2ELNS1_11target_archE906ELNS1_3gpuE6ELNS1_3repE0EEENS1_30default_config_static_selectorELNS0_4arch9wavefront6targetE1EEEvT1_: ; @_ZN7rocprim17ROCPRIM_400000_NS6detail17trampoline_kernelINS0_14default_configENS1_20scan_config_selectorIxEEZZNS1_9scan_implILNS1_25lookback_scan_determinismE0ELb1ELb1ES3_N6thrust23THRUST_200600_302600_NS6detail15normal_iteratorINS9_10device_ptrIxEEEESE_x11max_functorIxExEEDaPvRmT3_T4_T5_mT6_P12ihipStream_tbENKUlT_T0_E_clISt17integral_constantIbLb1EEST_IbLb0EEEEDaSP_SQ_EUlSP_E_NS1_11comp_targetILNS1_3genE2ELNS1_11target_archE906ELNS1_3gpuE6ELNS1_3repE0EEENS1_30default_config_static_selectorELNS0_4arch9wavefront6targetE1EEEvT1_
; %bb.0:
	.section	.rodata,"a",@progbits
	.p2align	6, 0x0
	.amdhsa_kernel _ZN7rocprim17ROCPRIM_400000_NS6detail17trampoline_kernelINS0_14default_configENS1_20scan_config_selectorIxEEZZNS1_9scan_implILNS1_25lookback_scan_determinismE0ELb1ELb1ES3_N6thrust23THRUST_200600_302600_NS6detail15normal_iteratorINS9_10device_ptrIxEEEESE_x11max_functorIxExEEDaPvRmT3_T4_T5_mT6_P12ihipStream_tbENKUlT_T0_E_clISt17integral_constantIbLb1EEST_IbLb0EEEEDaSP_SQ_EUlSP_E_NS1_11comp_targetILNS1_3genE2ELNS1_11target_archE906ELNS1_3gpuE6ELNS1_3repE0EEENS1_30default_config_static_selectorELNS0_4arch9wavefront6targetE1EEEvT1_
		.amdhsa_group_segment_fixed_size 0
		.amdhsa_private_segment_fixed_size 0
		.amdhsa_kernarg_size 104
		.amdhsa_user_sgpr_count 6
		.amdhsa_user_sgpr_private_segment_buffer 1
		.amdhsa_user_sgpr_dispatch_ptr 0
		.amdhsa_user_sgpr_queue_ptr 0
		.amdhsa_user_sgpr_kernarg_segment_ptr 1
		.amdhsa_user_sgpr_dispatch_id 0
		.amdhsa_user_sgpr_flat_scratch_init 0
		.amdhsa_user_sgpr_kernarg_preload_length 0
		.amdhsa_user_sgpr_kernarg_preload_offset 0
		.amdhsa_user_sgpr_private_segment_size 0
		.amdhsa_uses_dynamic_stack 0
		.amdhsa_system_sgpr_private_segment_wavefront_offset 0
		.amdhsa_system_sgpr_workgroup_id_x 1
		.amdhsa_system_sgpr_workgroup_id_y 0
		.amdhsa_system_sgpr_workgroup_id_z 0
		.amdhsa_system_sgpr_workgroup_info 0
		.amdhsa_system_vgpr_workitem_id 0
		.amdhsa_next_free_vgpr 1
		.amdhsa_next_free_sgpr 0
		.amdhsa_accum_offset 4
		.amdhsa_reserve_vcc 0
		.amdhsa_reserve_flat_scratch 0
		.amdhsa_float_round_mode_32 0
		.amdhsa_float_round_mode_16_64 0
		.amdhsa_float_denorm_mode_32 3
		.amdhsa_float_denorm_mode_16_64 3
		.amdhsa_dx10_clamp 1
		.amdhsa_ieee_mode 1
		.amdhsa_fp16_overflow 0
		.amdhsa_tg_split 0
		.amdhsa_exception_fp_ieee_invalid_op 0
		.amdhsa_exception_fp_denorm_src 0
		.amdhsa_exception_fp_ieee_div_zero 0
		.amdhsa_exception_fp_ieee_overflow 0
		.amdhsa_exception_fp_ieee_underflow 0
		.amdhsa_exception_fp_ieee_inexact 0
		.amdhsa_exception_int_div_zero 0
	.end_amdhsa_kernel
	.section	.text._ZN7rocprim17ROCPRIM_400000_NS6detail17trampoline_kernelINS0_14default_configENS1_20scan_config_selectorIxEEZZNS1_9scan_implILNS1_25lookback_scan_determinismE0ELb1ELb1ES3_N6thrust23THRUST_200600_302600_NS6detail15normal_iteratorINS9_10device_ptrIxEEEESE_x11max_functorIxExEEDaPvRmT3_T4_T5_mT6_P12ihipStream_tbENKUlT_T0_E_clISt17integral_constantIbLb1EEST_IbLb0EEEEDaSP_SQ_EUlSP_E_NS1_11comp_targetILNS1_3genE2ELNS1_11target_archE906ELNS1_3gpuE6ELNS1_3repE0EEENS1_30default_config_static_selectorELNS0_4arch9wavefront6targetE1EEEvT1_,"axG",@progbits,_ZN7rocprim17ROCPRIM_400000_NS6detail17trampoline_kernelINS0_14default_configENS1_20scan_config_selectorIxEEZZNS1_9scan_implILNS1_25lookback_scan_determinismE0ELb1ELb1ES3_N6thrust23THRUST_200600_302600_NS6detail15normal_iteratorINS9_10device_ptrIxEEEESE_x11max_functorIxExEEDaPvRmT3_T4_T5_mT6_P12ihipStream_tbENKUlT_T0_E_clISt17integral_constantIbLb1EEST_IbLb0EEEEDaSP_SQ_EUlSP_E_NS1_11comp_targetILNS1_3genE2ELNS1_11target_archE906ELNS1_3gpuE6ELNS1_3repE0EEENS1_30default_config_static_selectorELNS0_4arch9wavefront6targetE1EEEvT1_,comdat
.Lfunc_end2670:
	.size	_ZN7rocprim17ROCPRIM_400000_NS6detail17trampoline_kernelINS0_14default_configENS1_20scan_config_selectorIxEEZZNS1_9scan_implILNS1_25lookback_scan_determinismE0ELb1ELb1ES3_N6thrust23THRUST_200600_302600_NS6detail15normal_iteratorINS9_10device_ptrIxEEEESE_x11max_functorIxExEEDaPvRmT3_T4_T5_mT6_P12ihipStream_tbENKUlT_T0_E_clISt17integral_constantIbLb1EEST_IbLb0EEEEDaSP_SQ_EUlSP_E_NS1_11comp_targetILNS1_3genE2ELNS1_11target_archE906ELNS1_3gpuE6ELNS1_3repE0EEENS1_30default_config_static_selectorELNS0_4arch9wavefront6targetE1EEEvT1_, .Lfunc_end2670-_ZN7rocprim17ROCPRIM_400000_NS6detail17trampoline_kernelINS0_14default_configENS1_20scan_config_selectorIxEEZZNS1_9scan_implILNS1_25lookback_scan_determinismE0ELb1ELb1ES3_N6thrust23THRUST_200600_302600_NS6detail15normal_iteratorINS9_10device_ptrIxEEEESE_x11max_functorIxExEEDaPvRmT3_T4_T5_mT6_P12ihipStream_tbENKUlT_T0_E_clISt17integral_constantIbLb1EEST_IbLb0EEEEDaSP_SQ_EUlSP_E_NS1_11comp_targetILNS1_3genE2ELNS1_11target_archE906ELNS1_3gpuE6ELNS1_3repE0EEENS1_30default_config_static_selectorELNS0_4arch9wavefront6targetE1EEEvT1_
                                        ; -- End function
	.section	.AMDGPU.csdata,"",@progbits
; Kernel info:
; codeLenInByte = 0
; NumSgprs: 4
; NumVgprs: 0
; NumAgprs: 0
; TotalNumVgprs: 0
; ScratchSize: 0
; MemoryBound: 0
; FloatMode: 240
; IeeeMode: 1
; LDSByteSize: 0 bytes/workgroup (compile time only)
; SGPRBlocks: 0
; VGPRBlocks: 0
; NumSGPRsForWavesPerEU: 4
; NumVGPRsForWavesPerEU: 1
; AccumOffset: 4
; Occupancy: 8
; WaveLimiterHint : 0
; COMPUTE_PGM_RSRC2:SCRATCH_EN: 0
; COMPUTE_PGM_RSRC2:USER_SGPR: 6
; COMPUTE_PGM_RSRC2:TRAP_HANDLER: 0
; COMPUTE_PGM_RSRC2:TGID_X_EN: 1
; COMPUTE_PGM_RSRC2:TGID_Y_EN: 0
; COMPUTE_PGM_RSRC2:TGID_Z_EN: 0
; COMPUTE_PGM_RSRC2:TIDIG_COMP_CNT: 0
; COMPUTE_PGM_RSRC3_GFX90A:ACCUM_OFFSET: 0
; COMPUTE_PGM_RSRC3_GFX90A:TG_SPLIT: 0
	.section	.text._ZN7rocprim17ROCPRIM_400000_NS6detail17trampoline_kernelINS0_14default_configENS1_20scan_config_selectorIxEEZZNS1_9scan_implILNS1_25lookback_scan_determinismE0ELb1ELb1ES3_N6thrust23THRUST_200600_302600_NS6detail15normal_iteratorINS9_10device_ptrIxEEEESE_x11max_functorIxExEEDaPvRmT3_T4_T5_mT6_P12ihipStream_tbENKUlT_T0_E_clISt17integral_constantIbLb1EEST_IbLb0EEEEDaSP_SQ_EUlSP_E_NS1_11comp_targetILNS1_3genE10ELNS1_11target_archE1201ELNS1_3gpuE5ELNS1_3repE0EEENS1_30default_config_static_selectorELNS0_4arch9wavefront6targetE1EEEvT1_,"axG",@progbits,_ZN7rocprim17ROCPRIM_400000_NS6detail17trampoline_kernelINS0_14default_configENS1_20scan_config_selectorIxEEZZNS1_9scan_implILNS1_25lookback_scan_determinismE0ELb1ELb1ES3_N6thrust23THRUST_200600_302600_NS6detail15normal_iteratorINS9_10device_ptrIxEEEESE_x11max_functorIxExEEDaPvRmT3_T4_T5_mT6_P12ihipStream_tbENKUlT_T0_E_clISt17integral_constantIbLb1EEST_IbLb0EEEEDaSP_SQ_EUlSP_E_NS1_11comp_targetILNS1_3genE10ELNS1_11target_archE1201ELNS1_3gpuE5ELNS1_3repE0EEENS1_30default_config_static_selectorELNS0_4arch9wavefront6targetE1EEEvT1_,comdat
	.protected	_ZN7rocprim17ROCPRIM_400000_NS6detail17trampoline_kernelINS0_14default_configENS1_20scan_config_selectorIxEEZZNS1_9scan_implILNS1_25lookback_scan_determinismE0ELb1ELb1ES3_N6thrust23THRUST_200600_302600_NS6detail15normal_iteratorINS9_10device_ptrIxEEEESE_x11max_functorIxExEEDaPvRmT3_T4_T5_mT6_P12ihipStream_tbENKUlT_T0_E_clISt17integral_constantIbLb1EEST_IbLb0EEEEDaSP_SQ_EUlSP_E_NS1_11comp_targetILNS1_3genE10ELNS1_11target_archE1201ELNS1_3gpuE5ELNS1_3repE0EEENS1_30default_config_static_selectorELNS0_4arch9wavefront6targetE1EEEvT1_ ; -- Begin function _ZN7rocprim17ROCPRIM_400000_NS6detail17trampoline_kernelINS0_14default_configENS1_20scan_config_selectorIxEEZZNS1_9scan_implILNS1_25lookback_scan_determinismE0ELb1ELb1ES3_N6thrust23THRUST_200600_302600_NS6detail15normal_iteratorINS9_10device_ptrIxEEEESE_x11max_functorIxExEEDaPvRmT3_T4_T5_mT6_P12ihipStream_tbENKUlT_T0_E_clISt17integral_constantIbLb1EEST_IbLb0EEEEDaSP_SQ_EUlSP_E_NS1_11comp_targetILNS1_3genE10ELNS1_11target_archE1201ELNS1_3gpuE5ELNS1_3repE0EEENS1_30default_config_static_selectorELNS0_4arch9wavefront6targetE1EEEvT1_
	.globl	_ZN7rocprim17ROCPRIM_400000_NS6detail17trampoline_kernelINS0_14default_configENS1_20scan_config_selectorIxEEZZNS1_9scan_implILNS1_25lookback_scan_determinismE0ELb1ELb1ES3_N6thrust23THRUST_200600_302600_NS6detail15normal_iteratorINS9_10device_ptrIxEEEESE_x11max_functorIxExEEDaPvRmT3_T4_T5_mT6_P12ihipStream_tbENKUlT_T0_E_clISt17integral_constantIbLb1EEST_IbLb0EEEEDaSP_SQ_EUlSP_E_NS1_11comp_targetILNS1_3genE10ELNS1_11target_archE1201ELNS1_3gpuE5ELNS1_3repE0EEENS1_30default_config_static_selectorELNS0_4arch9wavefront6targetE1EEEvT1_
	.p2align	8
	.type	_ZN7rocprim17ROCPRIM_400000_NS6detail17trampoline_kernelINS0_14default_configENS1_20scan_config_selectorIxEEZZNS1_9scan_implILNS1_25lookback_scan_determinismE0ELb1ELb1ES3_N6thrust23THRUST_200600_302600_NS6detail15normal_iteratorINS9_10device_ptrIxEEEESE_x11max_functorIxExEEDaPvRmT3_T4_T5_mT6_P12ihipStream_tbENKUlT_T0_E_clISt17integral_constantIbLb1EEST_IbLb0EEEEDaSP_SQ_EUlSP_E_NS1_11comp_targetILNS1_3genE10ELNS1_11target_archE1201ELNS1_3gpuE5ELNS1_3repE0EEENS1_30default_config_static_selectorELNS0_4arch9wavefront6targetE1EEEvT1_,@function
_ZN7rocprim17ROCPRIM_400000_NS6detail17trampoline_kernelINS0_14default_configENS1_20scan_config_selectorIxEEZZNS1_9scan_implILNS1_25lookback_scan_determinismE0ELb1ELb1ES3_N6thrust23THRUST_200600_302600_NS6detail15normal_iteratorINS9_10device_ptrIxEEEESE_x11max_functorIxExEEDaPvRmT3_T4_T5_mT6_P12ihipStream_tbENKUlT_T0_E_clISt17integral_constantIbLb1EEST_IbLb0EEEEDaSP_SQ_EUlSP_E_NS1_11comp_targetILNS1_3genE10ELNS1_11target_archE1201ELNS1_3gpuE5ELNS1_3repE0EEENS1_30default_config_static_selectorELNS0_4arch9wavefront6targetE1EEEvT1_: ; @_ZN7rocprim17ROCPRIM_400000_NS6detail17trampoline_kernelINS0_14default_configENS1_20scan_config_selectorIxEEZZNS1_9scan_implILNS1_25lookback_scan_determinismE0ELb1ELb1ES3_N6thrust23THRUST_200600_302600_NS6detail15normal_iteratorINS9_10device_ptrIxEEEESE_x11max_functorIxExEEDaPvRmT3_T4_T5_mT6_P12ihipStream_tbENKUlT_T0_E_clISt17integral_constantIbLb1EEST_IbLb0EEEEDaSP_SQ_EUlSP_E_NS1_11comp_targetILNS1_3genE10ELNS1_11target_archE1201ELNS1_3gpuE5ELNS1_3repE0EEENS1_30default_config_static_selectorELNS0_4arch9wavefront6targetE1EEEvT1_
; %bb.0:
	.section	.rodata,"a",@progbits
	.p2align	6, 0x0
	.amdhsa_kernel _ZN7rocprim17ROCPRIM_400000_NS6detail17trampoline_kernelINS0_14default_configENS1_20scan_config_selectorIxEEZZNS1_9scan_implILNS1_25lookback_scan_determinismE0ELb1ELb1ES3_N6thrust23THRUST_200600_302600_NS6detail15normal_iteratorINS9_10device_ptrIxEEEESE_x11max_functorIxExEEDaPvRmT3_T4_T5_mT6_P12ihipStream_tbENKUlT_T0_E_clISt17integral_constantIbLb1EEST_IbLb0EEEEDaSP_SQ_EUlSP_E_NS1_11comp_targetILNS1_3genE10ELNS1_11target_archE1201ELNS1_3gpuE5ELNS1_3repE0EEENS1_30default_config_static_selectorELNS0_4arch9wavefront6targetE1EEEvT1_
		.amdhsa_group_segment_fixed_size 0
		.amdhsa_private_segment_fixed_size 0
		.amdhsa_kernarg_size 104
		.amdhsa_user_sgpr_count 6
		.amdhsa_user_sgpr_private_segment_buffer 1
		.amdhsa_user_sgpr_dispatch_ptr 0
		.amdhsa_user_sgpr_queue_ptr 0
		.amdhsa_user_sgpr_kernarg_segment_ptr 1
		.amdhsa_user_sgpr_dispatch_id 0
		.amdhsa_user_sgpr_flat_scratch_init 0
		.amdhsa_user_sgpr_kernarg_preload_length 0
		.amdhsa_user_sgpr_kernarg_preload_offset 0
		.amdhsa_user_sgpr_private_segment_size 0
		.amdhsa_uses_dynamic_stack 0
		.amdhsa_system_sgpr_private_segment_wavefront_offset 0
		.amdhsa_system_sgpr_workgroup_id_x 1
		.amdhsa_system_sgpr_workgroup_id_y 0
		.amdhsa_system_sgpr_workgroup_id_z 0
		.amdhsa_system_sgpr_workgroup_info 0
		.amdhsa_system_vgpr_workitem_id 0
		.amdhsa_next_free_vgpr 1
		.amdhsa_next_free_sgpr 0
		.amdhsa_accum_offset 4
		.amdhsa_reserve_vcc 0
		.amdhsa_reserve_flat_scratch 0
		.amdhsa_float_round_mode_32 0
		.amdhsa_float_round_mode_16_64 0
		.amdhsa_float_denorm_mode_32 3
		.amdhsa_float_denorm_mode_16_64 3
		.amdhsa_dx10_clamp 1
		.amdhsa_ieee_mode 1
		.amdhsa_fp16_overflow 0
		.amdhsa_tg_split 0
		.amdhsa_exception_fp_ieee_invalid_op 0
		.amdhsa_exception_fp_denorm_src 0
		.amdhsa_exception_fp_ieee_div_zero 0
		.amdhsa_exception_fp_ieee_overflow 0
		.amdhsa_exception_fp_ieee_underflow 0
		.amdhsa_exception_fp_ieee_inexact 0
		.amdhsa_exception_int_div_zero 0
	.end_amdhsa_kernel
	.section	.text._ZN7rocprim17ROCPRIM_400000_NS6detail17trampoline_kernelINS0_14default_configENS1_20scan_config_selectorIxEEZZNS1_9scan_implILNS1_25lookback_scan_determinismE0ELb1ELb1ES3_N6thrust23THRUST_200600_302600_NS6detail15normal_iteratorINS9_10device_ptrIxEEEESE_x11max_functorIxExEEDaPvRmT3_T4_T5_mT6_P12ihipStream_tbENKUlT_T0_E_clISt17integral_constantIbLb1EEST_IbLb0EEEEDaSP_SQ_EUlSP_E_NS1_11comp_targetILNS1_3genE10ELNS1_11target_archE1201ELNS1_3gpuE5ELNS1_3repE0EEENS1_30default_config_static_selectorELNS0_4arch9wavefront6targetE1EEEvT1_,"axG",@progbits,_ZN7rocprim17ROCPRIM_400000_NS6detail17trampoline_kernelINS0_14default_configENS1_20scan_config_selectorIxEEZZNS1_9scan_implILNS1_25lookback_scan_determinismE0ELb1ELb1ES3_N6thrust23THRUST_200600_302600_NS6detail15normal_iteratorINS9_10device_ptrIxEEEESE_x11max_functorIxExEEDaPvRmT3_T4_T5_mT6_P12ihipStream_tbENKUlT_T0_E_clISt17integral_constantIbLb1EEST_IbLb0EEEEDaSP_SQ_EUlSP_E_NS1_11comp_targetILNS1_3genE10ELNS1_11target_archE1201ELNS1_3gpuE5ELNS1_3repE0EEENS1_30default_config_static_selectorELNS0_4arch9wavefront6targetE1EEEvT1_,comdat
.Lfunc_end2671:
	.size	_ZN7rocprim17ROCPRIM_400000_NS6detail17trampoline_kernelINS0_14default_configENS1_20scan_config_selectorIxEEZZNS1_9scan_implILNS1_25lookback_scan_determinismE0ELb1ELb1ES3_N6thrust23THRUST_200600_302600_NS6detail15normal_iteratorINS9_10device_ptrIxEEEESE_x11max_functorIxExEEDaPvRmT3_T4_T5_mT6_P12ihipStream_tbENKUlT_T0_E_clISt17integral_constantIbLb1EEST_IbLb0EEEEDaSP_SQ_EUlSP_E_NS1_11comp_targetILNS1_3genE10ELNS1_11target_archE1201ELNS1_3gpuE5ELNS1_3repE0EEENS1_30default_config_static_selectorELNS0_4arch9wavefront6targetE1EEEvT1_, .Lfunc_end2671-_ZN7rocprim17ROCPRIM_400000_NS6detail17trampoline_kernelINS0_14default_configENS1_20scan_config_selectorIxEEZZNS1_9scan_implILNS1_25lookback_scan_determinismE0ELb1ELb1ES3_N6thrust23THRUST_200600_302600_NS6detail15normal_iteratorINS9_10device_ptrIxEEEESE_x11max_functorIxExEEDaPvRmT3_T4_T5_mT6_P12ihipStream_tbENKUlT_T0_E_clISt17integral_constantIbLb1EEST_IbLb0EEEEDaSP_SQ_EUlSP_E_NS1_11comp_targetILNS1_3genE10ELNS1_11target_archE1201ELNS1_3gpuE5ELNS1_3repE0EEENS1_30default_config_static_selectorELNS0_4arch9wavefront6targetE1EEEvT1_
                                        ; -- End function
	.section	.AMDGPU.csdata,"",@progbits
; Kernel info:
; codeLenInByte = 0
; NumSgprs: 4
; NumVgprs: 0
; NumAgprs: 0
; TotalNumVgprs: 0
; ScratchSize: 0
; MemoryBound: 0
; FloatMode: 240
; IeeeMode: 1
; LDSByteSize: 0 bytes/workgroup (compile time only)
; SGPRBlocks: 0
; VGPRBlocks: 0
; NumSGPRsForWavesPerEU: 4
; NumVGPRsForWavesPerEU: 1
; AccumOffset: 4
; Occupancy: 8
; WaveLimiterHint : 0
; COMPUTE_PGM_RSRC2:SCRATCH_EN: 0
; COMPUTE_PGM_RSRC2:USER_SGPR: 6
; COMPUTE_PGM_RSRC2:TRAP_HANDLER: 0
; COMPUTE_PGM_RSRC2:TGID_X_EN: 1
; COMPUTE_PGM_RSRC2:TGID_Y_EN: 0
; COMPUTE_PGM_RSRC2:TGID_Z_EN: 0
; COMPUTE_PGM_RSRC2:TIDIG_COMP_CNT: 0
; COMPUTE_PGM_RSRC3_GFX90A:ACCUM_OFFSET: 0
; COMPUTE_PGM_RSRC3_GFX90A:TG_SPLIT: 0
	.section	.text._ZN7rocprim17ROCPRIM_400000_NS6detail17trampoline_kernelINS0_14default_configENS1_20scan_config_selectorIxEEZZNS1_9scan_implILNS1_25lookback_scan_determinismE0ELb1ELb1ES3_N6thrust23THRUST_200600_302600_NS6detail15normal_iteratorINS9_10device_ptrIxEEEESE_x11max_functorIxExEEDaPvRmT3_T4_T5_mT6_P12ihipStream_tbENKUlT_T0_E_clISt17integral_constantIbLb1EEST_IbLb0EEEEDaSP_SQ_EUlSP_E_NS1_11comp_targetILNS1_3genE10ELNS1_11target_archE1200ELNS1_3gpuE4ELNS1_3repE0EEENS1_30default_config_static_selectorELNS0_4arch9wavefront6targetE1EEEvT1_,"axG",@progbits,_ZN7rocprim17ROCPRIM_400000_NS6detail17trampoline_kernelINS0_14default_configENS1_20scan_config_selectorIxEEZZNS1_9scan_implILNS1_25lookback_scan_determinismE0ELb1ELb1ES3_N6thrust23THRUST_200600_302600_NS6detail15normal_iteratorINS9_10device_ptrIxEEEESE_x11max_functorIxExEEDaPvRmT3_T4_T5_mT6_P12ihipStream_tbENKUlT_T0_E_clISt17integral_constantIbLb1EEST_IbLb0EEEEDaSP_SQ_EUlSP_E_NS1_11comp_targetILNS1_3genE10ELNS1_11target_archE1200ELNS1_3gpuE4ELNS1_3repE0EEENS1_30default_config_static_selectorELNS0_4arch9wavefront6targetE1EEEvT1_,comdat
	.protected	_ZN7rocprim17ROCPRIM_400000_NS6detail17trampoline_kernelINS0_14default_configENS1_20scan_config_selectorIxEEZZNS1_9scan_implILNS1_25lookback_scan_determinismE0ELb1ELb1ES3_N6thrust23THRUST_200600_302600_NS6detail15normal_iteratorINS9_10device_ptrIxEEEESE_x11max_functorIxExEEDaPvRmT3_T4_T5_mT6_P12ihipStream_tbENKUlT_T0_E_clISt17integral_constantIbLb1EEST_IbLb0EEEEDaSP_SQ_EUlSP_E_NS1_11comp_targetILNS1_3genE10ELNS1_11target_archE1200ELNS1_3gpuE4ELNS1_3repE0EEENS1_30default_config_static_selectorELNS0_4arch9wavefront6targetE1EEEvT1_ ; -- Begin function _ZN7rocprim17ROCPRIM_400000_NS6detail17trampoline_kernelINS0_14default_configENS1_20scan_config_selectorIxEEZZNS1_9scan_implILNS1_25lookback_scan_determinismE0ELb1ELb1ES3_N6thrust23THRUST_200600_302600_NS6detail15normal_iteratorINS9_10device_ptrIxEEEESE_x11max_functorIxExEEDaPvRmT3_T4_T5_mT6_P12ihipStream_tbENKUlT_T0_E_clISt17integral_constantIbLb1EEST_IbLb0EEEEDaSP_SQ_EUlSP_E_NS1_11comp_targetILNS1_3genE10ELNS1_11target_archE1200ELNS1_3gpuE4ELNS1_3repE0EEENS1_30default_config_static_selectorELNS0_4arch9wavefront6targetE1EEEvT1_
	.globl	_ZN7rocprim17ROCPRIM_400000_NS6detail17trampoline_kernelINS0_14default_configENS1_20scan_config_selectorIxEEZZNS1_9scan_implILNS1_25lookback_scan_determinismE0ELb1ELb1ES3_N6thrust23THRUST_200600_302600_NS6detail15normal_iteratorINS9_10device_ptrIxEEEESE_x11max_functorIxExEEDaPvRmT3_T4_T5_mT6_P12ihipStream_tbENKUlT_T0_E_clISt17integral_constantIbLb1EEST_IbLb0EEEEDaSP_SQ_EUlSP_E_NS1_11comp_targetILNS1_3genE10ELNS1_11target_archE1200ELNS1_3gpuE4ELNS1_3repE0EEENS1_30default_config_static_selectorELNS0_4arch9wavefront6targetE1EEEvT1_
	.p2align	8
	.type	_ZN7rocprim17ROCPRIM_400000_NS6detail17trampoline_kernelINS0_14default_configENS1_20scan_config_selectorIxEEZZNS1_9scan_implILNS1_25lookback_scan_determinismE0ELb1ELb1ES3_N6thrust23THRUST_200600_302600_NS6detail15normal_iteratorINS9_10device_ptrIxEEEESE_x11max_functorIxExEEDaPvRmT3_T4_T5_mT6_P12ihipStream_tbENKUlT_T0_E_clISt17integral_constantIbLb1EEST_IbLb0EEEEDaSP_SQ_EUlSP_E_NS1_11comp_targetILNS1_3genE10ELNS1_11target_archE1200ELNS1_3gpuE4ELNS1_3repE0EEENS1_30default_config_static_selectorELNS0_4arch9wavefront6targetE1EEEvT1_,@function
_ZN7rocprim17ROCPRIM_400000_NS6detail17trampoline_kernelINS0_14default_configENS1_20scan_config_selectorIxEEZZNS1_9scan_implILNS1_25lookback_scan_determinismE0ELb1ELb1ES3_N6thrust23THRUST_200600_302600_NS6detail15normal_iteratorINS9_10device_ptrIxEEEESE_x11max_functorIxExEEDaPvRmT3_T4_T5_mT6_P12ihipStream_tbENKUlT_T0_E_clISt17integral_constantIbLb1EEST_IbLb0EEEEDaSP_SQ_EUlSP_E_NS1_11comp_targetILNS1_3genE10ELNS1_11target_archE1200ELNS1_3gpuE4ELNS1_3repE0EEENS1_30default_config_static_selectorELNS0_4arch9wavefront6targetE1EEEvT1_: ; @_ZN7rocprim17ROCPRIM_400000_NS6detail17trampoline_kernelINS0_14default_configENS1_20scan_config_selectorIxEEZZNS1_9scan_implILNS1_25lookback_scan_determinismE0ELb1ELb1ES3_N6thrust23THRUST_200600_302600_NS6detail15normal_iteratorINS9_10device_ptrIxEEEESE_x11max_functorIxExEEDaPvRmT3_T4_T5_mT6_P12ihipStream_tbENKUlT_T0_E_clISt17integral_constantIbLb1EEST_IbLb0EEEEDaSP_SQ_EUlSP_E_NS1_11comp_targetILNS1_3genE10ELNS1_11target_archE1200ELNS1_3gpuE4ELNS1_3repE0EEENS1_30default_config_static_selectorELNS0_4arch9wavefront6targetE1EEEvT1_
; %bb.0:
	.section	.rodata,"a",@progbits
	.p2align	6, 0x0
	.amdhsa_kernel _ZN7rocprim17ROCPRIM_400000_NS6detail17trampoline_kernelINS0_14default_configENS1_20scan_config_selectorIxEEZZNS1_9scan_implILNS1_25lookback_scan_determinismE0ELb1ELb1ES3_N6thrust23THRUST_200600_302600_NS6detail15normal_iteratorINS9_10device_ptrIxEEEESE_x11max_functorIxExEEDaPvRmT3_T4_T5_mT6_P12ihipStream_tbENKUlT_T0_E_clISt17integral_constantIbLb1EEST_IbLb0EEEEDaSP_SQ_EUlSP_E_NS1_11comp_targetILNS1_3genE10ELNS1_11target_archE1200ELNS1_3gpuE4ELNS1_3repE0EEENS1_30default_config_static_selectorELNS0_4arch9wavefront6targetE1EEEvT1_
		.amdhsa_group_segment_fixed_size 0
		.amdhsa_private_segment_fixed_size 0
		.amdhsa_kernarg_size 104
		.amdhsa_user_sgpr_count 6
		.amdhsa_user_sgpr_private_segment_buffer 1
		.amdhsa_user_sgpr_dispatch_ptr 0
		.amdhsa_user_sgpr_queue_ptr 0
		.amdhsa_user_sgpr_kernarg_segment_ptr 1
		.amdhsa_user_sgpr_dispatch_id 0
		.amdhsa_user_sgpr_flat_scratch_init 0
		.amdhsa_user_sgpr_kernarg_preload_length 0
		.amdhsa_user_sgpr_kernarg_preload_offset 0
		.amdhsa_user_sgpr_private_segment_size 0
		.amdhsa_uses_dynamic_stack 0
		.amdhsa_system_sgpr_private_segment_wavefront_offset 0
		.amdhsa_system_sgpr_workgroup_id_x 1
		.amdhsa_system_sgpr_workgroup_id_y 0
		.amdhsa_system_sgpr_workgroup_id_z 0
		.amdhsa_system_sgpr_workgroup_info 0
		.amdhsa_system_vgpr_workitem_id 0
		.amdhsa_next_free_vgpr 1
		.amdhsa_next_free_sgpr 0
		.amdhsa_accum_offset 4
		.amdhsa_reserve_vcc 0
		.amdhsa_reserve_flat_scratch 0
		.amdhsa_float_round_mode_32 0
		.amdhsa_float_round_mode_16_64 0
		.amdhsa_float_denorm_mode_32 3
		.amdhsa_float_denorm_mode_16_64 3
		.amdhsa_dx10_clamp 1
		.amdhsa_ieee_mode 1
		.amdhsa_fp16_overflow 0
		.amdhsa_tg_split 0
		.amdhsa_exception_fp_ieee_invalid_op 0
		.amdhsa_exception_fp_denorm_src 0
		.amdhsa_exception_fp_ieee_div_zero 0
		.amdhsa_exception_fp_ieee_overflow 0
		.amdhsa_exception_fp_ieee_underflow 0
		.amdhsa_exception_fp_ieee_inexact 0
		.amdhsa_exception_int_div_zero 0
	.end_amdhsa_kernel
	.section	.text._ZN7rocprim17ROCPRIM_400000_NS6detail17trampoline_kernelINS0_14default_configENS1_20scan_config_selectorIxEEZZNS1_9scan_implILNS1_25lookback_scan_determinismE0ELb1ELb1ES3_N6thrust23THRUST_200600_302600_NS6detail15normal_iteratorINS9_10device_ptrIxEEEESE_x11max_functorIxExEEDaPvRmT3_T4_T5_mT6_P12ihipStream_tbENKUlT_T0_E_clISt17integral_constantIbLb1EEST_IbLb0EEEEDaSP_SQ_EUlSP_E_NS1_11comp_targetILNS1_3genE10ELNS1_11target_archE1200ELNS1_3gpuE4ELNS1_3repE0EEENS1_30default_config_static_selectorELNS0_4arch9wavefront6targetE1EEEvT1_,"axG",@progbits,_ZN7rocprim17ROCPRIM_400000_NS6detail17trampoline_kernelINS0_14default_configENS1_20scan_config_selectorIxEEZZNS1_9scan_implILNS1_25lookback_scan_determinismE0ELb1ELb1ES3_N6thrust23THRUST_200600_302600_NS6detail15normal_iteratorINS9_10device_ptrIxEEEESE_x11max_functorIxExEEDaPvRmT3_T4_T5_mT6_P12ihipStream_tbENKUlT_T0_E_clISt17integral_constantIbLb1EEST_IbLb0EEEEDaSP_SQ_EUlSP_E_NS1_11comp_targetILNS1_3genE10ELNS1_11target_archE1200ELNS1_3gpuE4ELNS1_3repE0EEENS1_30default_config_static_selectorELNS0_4arch9wavefront6targetE1EEEvT1_,comdat
.Lfunc_end2672:
	.size	_ZN7rocprim17ROCPRIM_400000_NS6detail17trampoline_kernelINS0_14default_configENS1_20scan_config_selectorIxEEZZNS1_9scan_implILNS1_25lookback_scan_determinismE0ELb1ELb1ES3_N6thrust23THRUST_200600_302600_NS6detail15normal_iteratorINS9_10device_ptrIxEEEESE_x11max_functorIxExEEDaPvRmT3_T4_T5_mT6_P12ihipStream_tbENKUlT_T0_E_clISt17integral_constantIbLb1EEST_IbLb0EEEEDaSP_SQ_EUlSP_E_NS1_11comp_targetILNS1_3genE10ELNS1_11target_archE1200ELNS1_3gpuE4ELNS1_3repE0EEENS1_30default_config_static_selectorELNS0_4arch9wavefront6targetE1EEEvT1_, .Lfunc_end2672-_ZN7rocprim17ROCPRIM_400000_NS6detail17trampoline_kernelINS0_14default_configENS1_20scan_config_selectorIxEEZZNS1_9scan_implILNS1_25lookback_scan_determinismE0ELb1ELb1ES3_N6thrust23THRUST_200600_302600_NS6detail15normal_iteratorINS9_10device_ptrIxEEEESE_x11max_functorIxExEEDaPvRmT3_T4_T5_mT6_P12ihipStream_tbENKUlT_T0_E_clISt17integral_constantIbLb1EEST_IbLb0EEEEDaSP_SQ_EUlSP_E_NS1_11comp_targetILNS1_3genE10ELNS1_11target_archE1200ELNS1_3gpuE4ELNS1_3repE0EEENS1_30default_config_static_selectorELNS0_4arch9wavefront6targetE1EEEvT1_
                                        ; -- End function
	.section	.AMDGPU.csdata,"",@progbits
; Kernel info:
; codeLenInByte = 0
; NumSgprs: 4
; NumVgprs: 0
; NumAgprs: 0
; TotalNumVgprs: 0
; ScratchSize: 0
; MemoryBound: 0
; FloatMode: 240
; IeeeMode: 1
; LDSByteSize: 0 bytes/workgroup (compile time only)
; SGPRBlocks: 0
; VGPRBlocks: 0
; NumSGPRsForWavesPerEU: 4
; NumVGPRsForWavesPerEU: 1
; AccumOffset: 4
; Occupancy: 8
; WaveLimiterHint : 0
; COMPUTE_PGM_RSRC2:SCRATCH_EN: 0
; COMPUTE_PGM_RSRC2:USER_SGPR: 6
; COMPUTE_PGM_RSRC2:TRAP_HANDLER: 0
; COMPUTE_PGM_RSRC2:TGID_X_EN: 1
; COMPUTE_PGM_RSRC2:TGID_Y_EN: 0
; COMPUTE_PGM_RSRC2:TGID_Z_EN: 0
; COMPUTE_PGM_RSRC2:TIDIG_COMP_CNT: 0
; COMPUTE_PGM_RSRC3_GFX90A:ACCUM_OFFSET: 0
; COMPUTE_PGM_RSRC3_GFX90A:TG_SPLIT: 0
	.section	.text._ZN7rocprim17ROCPRIM_400000_NS6detail17trampoline_kernelINS0_14default_configENS1_20scan_config_selectorIxEEZZNS1_9scan_implILNS1_25lookback_scan_determinismE0ELb1ELb1ES3_N6thrust23THRUST_200600_302600_NS6detail15normal_iteratorINS9_10device_ptrIxEEEESE_x11max_functorIxExEEDaPvRmT3_T4_T5_mT6_P12ihipStream_tbENKUlT_T0_E_clISt17integral_constantIbLb1EEST_IbLb0EEEEDaSP_SQ_EUlSP_E_NS1_11comp_targetILNS1_3genE9ELNS1_11target_archE1100ELNS1_3gpuE3ELNS1_3repE0EEENS1_30default_config_static_selectorELNS0_4arch9wavefront6targetE1EEEvT1_,"axG",@progbits,_ZN7rocprim17ROCPRIM_400000_NS6detail17trampoline_kernelINS0_14default_configENS1_20scan_config_selectorIxEEZZNS1_9scan_implILNS1_25lookback_scan_determinismE0ELb1ELb1ES3_N6thrust23THRUST_200600_302600_NS6detail15normal_iteratorINS9_10device_ptrIxEEEESE_x11max_functorIxExEEDaPvRmT3_T4_T5_mT6_P12ihipStream_tbENKUlT_T0_E_clISt17integral_constantIbLb1EEST_IbLb0EEEEDaSP_SQ_EUlSP_E_NS1_11comp_targetILNS1_3genE9ELNS1_11target_archE1100ELNS1_3gpuE3ELNS1_3repE0EEENS1_30default_config_static_selectorELNS0_4arch9wavefront6targetE1EEEvT1_,comdat
	.protected	_ZN7rocprim17ROCPRIM_400000_NS6detail17trampoline_kernelINS0_14default_configENS1_20scan_config_selectorIxEEZZNS1_9scan_implILNS1_25lookback_scan_determinismE0ELb1ELb1ES3_N6thrust23THRUST_200600_302600_NS6detail15normal_iteratorINS9_10device_ptrIxEEEESE_x11max_functorIxExEEDaPvRmT3_T4_T5_mT6_P12ihipStream_tbENKUlT_T0_E_clISt17integral_constantIbLb1EEST_IbLb0EEEEDaSP_SQ_EUlSP_E_NS1_11comp_targetILNS1_3genE9ELNS1_11target_archE1100ELNS1_3gpuE3ELNS1_3repE0EEENS1_30default_config_static_selectorELNS0_4arch9wavefront6targetE1EEEvT1_ ; -- Begin function _ZN7rocprim17ROCPRIM_400000_NS6detail17trampoline_kernelINS0_14default_configENS1_20scan_config_selectorIxEEZZNS1_9scan_implILNS1_25lookback_scan_determinismE0ELb1ELb1ES3_N6thrust23THRUST_200600_302600_NS6detail15normal_iteratorINS9_10device_ptrIxEEEESE_x11max_functorIxExEEDaPvRmT3_T4_T5_mT6_P12ihipStream_tbENKUlT_T0_E_clISt17integral_constantIbLb1EEST_IbLb0EEEEDaSP_SQ_EUlSP_E_NS1_11comp_targetILNS1_3genE9ELNS1_11target_archE1100ELNS1_3gpuE3ELNS1_3repE0EEENS1_30default_config_static_selectorELNS0_4arch9wavefront6targetE1EEEvT1_
	.globl	_ZN7rocprim17ROCPRIM_400000_NS6detail17trampoline_kernelINS0_14default_configENS1_20scan_config_selectorIxEEZZNS1_9scan_implILNS1_25lookback_scan_determinismE0ELb1ELb1ES3_N6thrust23THRUST_200600_302600_NS6detail15normal_iteratorINS9_10device_ptrIxEEEESE_x11max_functorIxExEEDaPvRmT3_T4_T5_mT6_P12ihipStream_tbENKUlT_T0_E_clISt17integral_constantIbLb1EEST_IbLb0EEEEDaSP_SQ_EUlSP_E_NS1_11comp_targetILNS1_3genE9ELNS1_11target_archE1100ELNS1_3gpuE3ELNS1_3repE0EEENS1_30default_config_static_selectorELNS0_4arch9wavefront6targetE1EEEvT1_
	.p2align	8
	.type	_ZN7rocprim17ROCPRIM_400000_NS6detail17trampoline_kernelINS0_14default_configENS1_20scan_config_selectorIxEEZZNS1_9scan_implILNS1_25lookback_scan_determinismE0ELb1ELb1ES3_N6thrust23THRUST_200600_302600_NS6detail15normal_iteratorINS9_10device_ptrIxEEEESE_x11max_functorIxExEEDaPvRmT3_T4_T5_mT6_P12ihipStream_tbENKUlT_T0_E_clISt17integral_constantIbLb1EEST_IbLb0EEEEDaSP_SQ_EUlSP_E_NS1_11comp_targetILNS1_3genE9ELNS1_11target_archE1100ELNS1_3gpuE3ELNS1_3repE0EEENS1_30default_config_static_selectorELNS0_4arch9wavefront6targetE1EEEvT1_,@function
_ZN7rocprim17ROCPRIM_400000_NS6detail17trampoline_kernelINS0_14default_configENS1_20scan_config_selectorIxEEZZNS1_9scan_implILNS1_25lookback_scan_determinismE0ELb1ELb1ES3_N6thrust23THRUST_200600_302600_NS6detail15normal_iteratorINS9_10device_ptrIxEEEESE_x11max_functorIxExEEDaPvRmT3_T4_T5_mT6_P12ihipStream_tbENKUlT_T0_E_clISt17integral_constantIbLb1EEST_IbLb0EEEEDaSP_SQ_EUlSP_E_NS1_11comp_targetILNS1_3genE9ELNS1_11target_archE1100ELNS1_3gpuE3ELNS1_3repE0EEENS1_30default_config_static_selectorELNS0_4arch9wavefront6targetE1EEEvT1_: ; @_ZN7rocprim17ROCPRIM_400000_NS6detail17trampoline_kernelINS0_14default_configENS1_20scan_config_selectorIxEEZZNS1_9scan_implILNS1_25lookback_scan_determinismE0ELb1ELb1ES3_N6thrust23THRUST_200600_302600_NS6detail15normal_iteratorINS9_10device_ptrIxEEEESE_x11max_functorIxExEEDaPvRmT3_T4_T5_mT6_P12ihipStream_tbENKUlT_T0_E_clISt17integral_constantIbLb1EEST_IbLb0EEEEDaSP_SQ_EUlSP_E_NS1_11comp_targetILNS1_3genE9ELNS1_11target_archE1100ELNS1_3gpuE3ELNS1_3repE0EEENS1_30default_config_static_selectorELNS0_4arch9wavefront6targetE1EEEvT1_
; %bb.0:
	.section	.rodata,"a",@progbits
	.p2align	6, 0x0
	.amdhsa_kernel _ZN7rocprim17ROCPRIM_400000_NS6detail17trampoline_kernelINS0_14default_configENS1_20scan_config_selectorIxEEZZNS1_9scan_implILNS1_25lookback_scan_determinismE0ELb1ELb1ES3_N6thrust23THRUST_200600_302600_NS6detail15normal_iteratorINS9_10device_ptrIxEEEESE_x11max_functorIxExEEDaPvRmT3_T4_T5_mT6_P12ihipStream_tbENKUlT_T0_E_clISt17integral_constantIbLb1EEST_IbLb0EEEEDaSP_SQ_EUlSP_E_NS1_11comp_targetILNS1_3genE9ELNS1_11target_archE1100ELNS1_3gpuE3ELNS1_3repE0EEENS1_30default_config_static_selectorELNS0_4arch9wavefront6targetE1EEEvT1_
		.amdhsa_group_segment_fixed_size 0
		.amdhsa_private_segment_fixed_size 0
		.amdhsa_kernarg_size 104
		.amdhsa_user_sgpr_count 6
		.amdhsa_user_sgpr_private_segment_buffer 1
		.amdhsa_user_sgpr_dispatch_ptr 0
		.amdhsa_user_sgpr_queue_ptr 0
		.amdhsa_user_sgpr_kernarg_segment_ptr 1
		.amdhsa_user_sgpr_dispatch_id 0
		.amdhsa_user_sgpr_flat_scratch_init 0
		.amdhsa_user_sgpr_kernarg_preload_length 0
		.amdhsa_user_sgpr_kernarg_preload_offset 0
		.amdhsa_user_sgpr_private_segment_size 0
		.amdhsa_uses_dynamic_stack 0
		.amdhsa_system_sgpr_private_segment_wavefront_offset 0
		.amdhsa_system_sgpr_workgroup_id_x 1
		.amdhsa_system_sgpr_workgroup_id_y 0
		.amdhsa_system_sgpr_workgroup_id_z 0
		.amdhsa_system_sgpr_workgroup_info 0
		.amdhsa_system_vgpr_workitem_id 0
		.amdhsa_next_free_vgpr 1
		.amdhsa_next_free_sgpr 0
		.amdhsa_accum_offset 4
		.amdhsa_reserve_vcc 0
		.amdhsa_reserve_flat_scratch 0
		.amdhsa_float_round_mode_32 0
		.amdhsa_float_round_mode_16_64 0
		.amdhsa_float_denorm_mode_32 3
		.amdhsa_float_denorm_mode_16_64 3
		.amdhsa_dx10_clamp 1
		.amdhsa_ieee_mode 1
		.amdhsa_fp16_overflow 0
		.amdhsa_tg_split 0
		.amdhsa_exception_fp_ieee_invalid_op 0
		.amdhsa_exception_fp_denorm_src 0
		.amdhsa_exception_fp_ieee_div_zero 0
		.amdhsa_exception_fp_ieee_overflow 0
		.amdhsa_exception_fp_ieee_underflow 0
		.amdhsa_exception_fp_ieee_inexact 0
		.amdhsa_exception_int_div_zero 0
	.end_amdhsa_kernel
	.section	.text._ZN7rocprim17ROCPRIM_400000_NS6detail17trampoline_kernelINS0_14default_configENS1_20scan_config_selectorIxEEZZNS1_9scan_implILNS1_25lookback_scan_determinismE0ELb1ELb1ES3_N6thrust23THRUST_200600_302600_NS6detail15normal_iteratorINS9_10device_ptrIxEEEESE_x11max_functorIxExEEDaPvRmT3_T4_T5_mT6_P12ihipStream_tbENKUlT_T0_E_clISt17integral_constantIbLb1EEST_IbLb0EEEEDaSP_SQ_EUlSP_E_NS1_11comp_targetILNS1_3genE9ELNS1_11target_archE1100ELNS1_3gpuE3ELNS1_3repE0EEENS1_30default_config_static_selectorELNS0_4arch9wavefront6targetE1EEEvT1_,"axG",@progbits,_ZN7rocprim17ROCPRIM_400000_NS6detail17trampoline_kernelINS0_14default_configENS1_20scan_config_selectorIxEEZZNS1_9scan_implILNS1_25lookback_scan_determinismE0ELb1ELb1ES3_N6thrust23THRUST_200600_302600_NS6detail15normal_iteratorINS9_10device_ptrIxEEEESE_x11max_functorIxExEEDaPvRmT3_T4_T5_mT6_P12ihipStream_tbENKUlT_T0_E_clISt17integral_constantIbLb1EEST_IbLb0EEEEDaSP_SQ_EUlSP_E_NS1_11comp_targetILNS1_3genE9ELNS1_11target_archE1100ELNS1_3gpuE3ELNS1_3repE0EEENS1_30default_config_static_selectorELNS0_4arch9wavefront6targetE1EEEvT1_,comdat
.Lfunc_end2673:
	.size	_ZN7rocprim17ROCPRIM_400000_NS6detail17trampoline_kernelINS0_14default_configENS1_20scan_config_selectorIxEEZZNS1_9scan_implILNS1_25lookback_scan_determinismE0ELb1ELb1ES3_N6thrust23THRUST_200600_302600_NS6detail15normal_iteratorINS9_10device_ptrIxEEEESE_x11max_functorIxExEEDaPvRmT3_T4_T5_mT6_P12ihipStream_tbENKUlT_T0_E_clISt17integral_constantIbLb1EEST_IbLb0EEEEDaSP_SQ_EUlSP_E_NS1_11comp_targetILNS1_3genE9ELNS1_11target_archE1100ELNS1_3gpuE3ELNS1_3repE0EEENS1_30default_config_static_selectorELNS0_4arch9wavefront6targetE1EEEvT1_, .Lfunc_end2673-_ZN7rocprim17ROCPRIM_400000_NS6detail17trampoline_kernelINS0_14default_configENS1_20scan_config_selectorIxEEZZNS1_9scan_implILNS1_25lookback_scan_determinismE0ELb1ELb1ES3_N6thrust23THRUST_200600_302600_NS6detail15normal_iteratorINS9_10device_ptrIxEEEESE_x11max_functorIxExEEDaPvRmT3_T4_T5_mT6_P12ihipStream_tbENKUlT_T0_E_clISt17integral_constantIbLb1EEST_IbLb0EEEEDaSP_SQ_EUlSP_E_NS1_11comp_targetILNS1_3genE9ELNS1_11target_archE1100ELNS1_3gpuE3ELNS1_3repE0EEENS1_30default_config_static_selectorELNS0_4arch9wavefront6targetE1EEEvT1_
                                        ; -- End function
	.section	.AMDGPU.csdata,"",@progbits
; Kernel info:
; codeLenInByte = 0
; NumSgprs: 4
; NumVgprs: 0
; NumAgprs: 0
; TotalNumVgprs: 0
; ScratchSize: 0
; MemoryBound: 0
; FloatMode: 240
; IeeeMode: 1
; LDSByteSize: 0 bytes/workgroup (compile time only)
; SGPRBlocks: 0
; VGPRBlocks: 0
; NumSGPRsForWavesPerEU: 4
; NumVGPRsForWavesPerEU: 1
; AccumOffset: 4
; Occupancy: 8
; WaveLimiterHint : 0
; COMPUTE_PGM_RSRC2:SCRATCH_EN: 0
; COMPUTE_PGM_RSRC2:USER_SGPR: 6
; COMPUTE_PGM_RSRC2:TRAP_HANDLER: 0
; COMPUTE_PGM_RSRC2:TGID_X_EN: 1
; COMPUTE_PGM_RSRC2:TGID_Y_EN: 0
; COMPUTE_PGM_RSRC2:TGID_Z_EN: 0
; COMPUTE_PGM_RSRC2:TIDIG_COMP_CNT: 0
; COMPUTE_PGM_RSRC3_GFX90A:ACCUM_OFFSET: 0
; COMPUTE_PGM_RSRC3_GFX90A:TG_SPLIT: 0
	.section	.text._ZN7rocprim17ROCPRIM_400000_NS6detail17trampoline_kernelINS0_14default_configENS1_20scan_config_selectorIxEEZZNS1_9scan_implILNS1_25lookback_scan_determinismE0ELb1ELb1ES3_N6thrust23THRUST_200600_302600_NS6detail15normal_iteratorINS9_10device_ptrIxEEEESE_x11max_functorIxExEEDaPvRmT3_T4_T5_mT6_P12ihipStream_tbENKUlT_T0_E_clISt17integral_constantIbLb1EEST_IbLb0EEEEDaSP_SQ_EUlSP_E_NS1_11comp_targetILNS1_3genE8ELNS1_11target_archE1030ELNS1_3gpuE2ELNS1_3repE0EEENS1_30default_config_static_selectorELNS0_4arch9wavefront6targetE1EEEvT1_,"axG",@progbits,_ZN7rocprim17ROCPRIM_400000_NS6detail17trampoline_kernelINS0_14default_configENS1_20scan_config_selectorIxEEZZNS1_9scan_implILNS1_25lookback_scan_determinismE0ELb1ELb1ES3_N6thrust23THRUST_200600_302600_NS6detail15normal_iteratorINS9_10device_ptrIxEEEESE_x11max_functorIxExEEDaPvRmT3_T4_T5_mT6_P12ihipStream_tbENKUlT_T0_E_clISt17integral_constantIbLb1EEST_IbLb0EEEEDaSP_SQ_EUlSP_E_NS1_11comp_targetILNS1_3genE8ELNS1_11target_archE1030ELNS1_3gpuE2ELNS1_3repE0EEENS1_30default_config_static_selectorELNS0_4arch9wavefront6targetE1EEEvT1_,comdat
	.protected	_ZN7rocprim17ROCPRIM_400000_NS6detail17trampoline_kernelINS0_14default_configENS1_20scan_config_selectorIxEEZZNS1_9scan_implILNS1_25lookback_scan_determinismE0ELb1ELb1ES3_N6thrust23THRUST_200600_302600_NS6detail15normal_iteratorINS9_10device_ptrIxEEEESE_x11max_functorIxExEEDaPvRmT3_T4_T5_mT6_P12ihipStream_tbENKUlT_T0_E_clISt17integral_constantIbLb1EEST_IbLb0EEEEDaSP_SQ_EUlSP_E_NS1_11comp_targetILNS1_3genE8ELNS1_11target_archE1030ELNS1_3gpuE2ELNS1_3repE0EEENS1_30default_config_static_selectorELNS0_4arch9wavefront6targetE1EEEvT1_ ; -- Begin function _ZN7rocprim17ROCPRIM_400000_NS6detail17trampoline_kernelINS0_14default_configENS1_20scan_config_selectorIxEEZZNS1_9scan_implILNS1_25lookback_scan_determinismE0ELb1ELb1ES3_N6thrust23THRUST_200600_302600_NS6detail15normal_iteratorINS9_10device_ptrIxEEEESE_x11max_functorIxExEEDaPvRmT3_T4_T5_mT6_P12ihipStream_tbENKUlT_T0_E_clISt17integral_constantIbLb1EEST_IbLb0EEEEDaSP_SQ_EUlSP_E_NS1_11comp_targetILNS1_3genE8ELNS1_11target_archE1030ELNS1_3gpuE2ELNS1_3repE0EEENS1_30default_config_static_selectorELNS0_4arch9wavefront6targetE1EEEvT1_
	.globl	_ZN7rocprim17ROCPRIM_400000_NS6detail17trampoline_kernelINS0_14default_configENS1_20scan_config_selectorIxEEZZNS1_9scan_implILNS1_25lookback_scan_determinismE0ELb1ELb1ES3_N6thrust23THRUST_200600_302600_NS6detail15normal_iteratorINS9_10device_ptrIxEEEESE_x11max_functorIxExEEDaPvRmT3_T4_T5_mT6_P12ihipStream_tbENKUlT_T0_E_clISt17integral_constantIbLb1EEST_IbLb0EEEEDaSP_SQ_EUlSP_E_NS1_11comp_targetILNS1_3genE8ELNS1_11target_archE1030ELNS1_3gpuE2ELNS1_3repE0EEENS1_30default_config_static_selectorELNS0_4arch9wavefront6targetE1EEEvT1_
	.p2align	8
	.type	_ZN7rocprim17ROCPRIM_400000_NS6detail17trampoline_kernelINS0_14default_configENS1_20scan_config_selectorIxEEZZNS1_9scan_implILNS1_25lookback_scan_determinismE0ELb1ELb1ES3_N6thrust23THRUST_200600_302600_NS6detail15normal_iteratorINS9_10device_ptrIxEEEESE_x11max_functorIxExEEDaPvRmT3_T4_T5_mT6_P12ihipStream_tbENKUlT_T0_E_clISt17integral_constantIbLb1EEST_IbLb0EEEEDaSP_SQ_EUlSP_E_NS1_11comp_targetILNS1_3genE8ELNS1_11target_archE1030ELNS1_3gpuE2ELNS1_3repE0EEENS1_30default_config_static_selectorELNS0_4arch9wavefront6targetE1EEEvT1_,@function
_ZN7rocprim17ROCPRIM_400000_NS6detail17trampoline_kernelINS0_14default_configENS1_20scan_config_selectorIxEEZZNS1_9scan_implILNS1_25lookback_scan_determinismE0ELb1ELb1ES3_N6thrust23THRUST_200600_302600_NS6detail15normal_iteratorINS9_10device_ptrIxEEEESE_x11max_functorIxExEEDaPvRmT3_T4_T5_mT6_P12ihipStream_tbENKUlT_T0_E_clISt17integral_constantIbLb1EEST_IbLb0EEEEDaSP_SQ_EUlSP_E_NS1_11comp_targetILNS1_3genE8ELNS1_11target_archE1030ELNS1_3gpuE2ELNS1_3repE0EEENS1_30default_config_static_selectorELNS0_4arch9wavefront6targetE1EEEvT1_: ; @_ZN7rocprim17ROCPRIM_400000_NS6detail17trampoline_kernelINS0_14default_configENS1_20scan_config_selectorIxEEZZNS1_9scan_implILNS1_25lookback_scan_determinismE0ELb1ELb1ES3_N6thrust23THRUST_200600_302600_NS6detail15normal_iteratorINS9_10device_ptrIxEEEESE_x11max_functorIxExEEDaPvRmT3_T4_T5_mT6_P12ihipStream_tbENKUlT_T0_E_clISt17integral_constantIbLb1EEST_IbLb0EEEEDaSP_SQ_EUlSP_E_NS1_11comp_targetILNS1_3genE8ELNS1_11target_archE1030ELNS1_3gpuE2ELNS1_3repE0EEENS1_30default_config_static_selectorELNS0_4arch9wavefront6targetE1EEEvT1_
; %bb.0:
	.section	.rodata,"a",@progbits
	.p2align	6, 0x0
	.amdhsa_kernel _ZN7rocprim17ROCPRIM_400000_NS6detail17trampoline_kernelINS0_14default_configENS1_20scan_config_selectorIxEEZZNS1_9scan_implILNS1_25lookback_scan_determinismE0ELb1ELb1ES3_N6thrust23THRUST_200600_302600_NS6detail15normal_iteratorINS9_10device_ptrIxEEEESE_x11max_functorIxExEEDaPvRmT3_T4_T5_mT6_P12ihipStream_tbENKUlT_T0_E_clISt17integral_constantIbLb1EEST_IbLb0EEEEDaSP_SQ_EUlSP_E_NS1_11comp_targetILNS1_3genE8ELNS1_11target_archE1030ELNS1_3gpuE2ELNS1_3repE0EEENS1_30default_config_static_selectorELNS0_4arch9wavefront6targetE1EEEvT1_
		.amdhsa_group_segment_fixed_size 0
		.amdhsa_private_segment_fixed_size 0
		.amdhsa_kernarg_size 104
		.amdhsa_user_sgpr_count 6
		.amdhsa_user_sgpr_private_segment_buffer 1
		.amdhsa_user_sgpr_dispatch_ptr 0
		.amdhsa_user_sgpr_queue_ptr 0
		.amdhsa_user_sgpr_kernarg_segment_ptr 1
		.amdhsa_user_sgpr_dispatch_id 0
		.amdhsa_user_sgpr_flat_scratch_init 0
		.amdhsa_user_sgpr_kernarg_preload_length 0
		.amdhsa_user_sgpr_kernarg_preload_offset 0
		.amdhsa_user_sgpr_private_segment_size 0
		.amdhsa_uses_dynamic_stack 0
		.amdhsa_system_sgpr_private_segment_wavefront_offset 0
		.amdhsa_system_sgpr_workgroup_id_x 1
		.amdhsa_system_sgpr_workgroup_id_y 0
		.amdhsa_system_sgpr_workgroup_id_z 0
		.amdhsa_system_sgpr_workgroup_info 0
		.amdhsa_system_vgpr_workitem_id 0
		.amdhsa_next_free_vgpr 1
		.amdhsa_next_free_sgpr 0
		.amdhsa_accum_offset 4
		.amdhsa_reserve_vcc 0
		.amdhsa_reserve_flat_scratch 0
		.amdhsa_float_round_mode_32 0
		.amdhsa_float_round_mode_16_64 0
		.amdhsa_float_denorm_mode_32 3
		.amdhsa_float_denorm_mode_16_64 3
		.amdhsa_dx10_clamp 1
		.amdhsa_ieee_mode 1
		.amdhsa_fp16_overflow 0
		.amdhsa_tg_split 0
		.amdhsa_exception_fp_ieee_invalid_op 0
		.amdhsa_exception_fp_denorm_src 0
		.amdhsa_exception_fp_ieee_div_zero 0
		.amdhsa_exception_fp_ieee_overflow 0
		.amdhsa_exception_fp_ieee_underflow 0
		.amdhsa_exception_fp_ieee_inexact 0
		.amdhsa_exception_int_div_zero 0
	.end_amdhsa_kernel
	.section	.text._ZN7rocprim17ROCPRIM_400000_NS6detail17trampoline_kernelINS0_14default_configENS1_20scan_config_selectorIxEEZZNS1_9scan_implILNS1_25lookback_scan_determinismE0ELb1ELb1ES3_N6thrust23THRUST_200600_302600_NS6detail15normal_iteratorINS9_10device_ptrIxEEEESE_x11max_functorIxExEEDaPvRmT3_T4_T5_mT6_P12ihipStream_tbENKUlT_T0_E_clISt17integral_constantIbLb1EEST_IbLb0EEEEDaSP_SQ_EUlSP_E_NS1_11comp_targetILNS1_3genE8ELNS1_11target_archE1030ELNS1_3gpuE2ELNS1_3repE0EEENS1_30default_config_static_selectorELNS0_4arch9wavefront6targetE1EEEvT1_,"axG",@progbits,_ZN7rocprim17ROCPRIM_400000_NS6detail17trampoline_kernelINS0_14default_configENS1_20scan_config_selectorIxEEZZNS1_9scan_implILNS1_25lookback_scan_determinismE0ELb1ELb1ES3_N6thrust23THRUST_200600_302600_NS6detail15normal_iteratorINS9_10device_ptrIxEEEESE_x11max_functorIxExEEDaPvRmT3_T4_T5_mT6_P12ihipStream_tbENKUlT_T0_E_clISt17integral_constantIbLb1EEST_IbLb0EEEEDaSP_SQ_EUlSP_E_NS1_11comp_targetILNS1_3genE8ELNS1_11target_archE1030ELNS1_3gpuE2ELNS1_3repE0EEENS1_30default_config_static_selectorELNS0_4arch9wavefront6targetE1EEEvT1_,comdat
.Lfunc_end2674:
	.size	_ZN7rocprim17ROCPRIM_400000_NS6detail17trampoline_kernelINS0_14default_configENS1_20scan_config_selectorIxEEZZNS1_9scan_implILNS1_25lookback_scan_determinismE0ELb1ELb1ES3_N6thrust23THRUST_200600_302600_NS6detail15normal_iteratorINS9_10device_ptrIxEEEESE_x11max_functorIxExEEDaPvRmT3_T4_T5_mT6_P12ihipStream_tbENKUlT_T0_E_clISt17integral_constantIbLb1EEST_IbLb0EEEEDaSP_SQ_EUlSP_E_NS1_11comp_targetILNS1_3genE8ELNS1_11target_archE1030ELNS1_3gpuE2ELNS1_3repE0EEENS1_30default_config_static_selectorELNS0_4arch9wavefront6targetE1EEEvT1_, .Lfunc_end2674-_ZN7rocprim17ROCPRIM_400000_NS6detail17trampoline_kernelINS0_14default_configENS1_20scan_config_selectorIxEEZZNS1_9scan_implILNS1_25lookback_scan_determinismE0ELb1ELb1ES3_N6thrust23THRUST_200600_302600_NS6detail15normal_iteratorINS9_10device_ptrIxEEEESE_x11max_functorIxExEEDaPvRmT3_T4_T5_mT6_P12ihipStream_tbENKUlT_T0_E_clISt17integral_constantIbLb1EEST_IbLb0EEEEDaSP_SQ_EUlSP_E_NS1_11comp_targetILNS1_3genE8ELNS1_11target_archE1030ELNS1_3gpuE2ELNS1_3repE0EEENS1_30default_config_static_selectorELNS0_4arch9wavefront6targetE1EEEvT1_
                                        ; -- End function
	.section	.AMDGPU.csdata,"",@progbits
; Kernel info:
; codeLenInByte = 0
; NumSgprs: 4
; NumVgprs: 0
; NumAgprs: 0
; TotalNumVgprs: 0
; ScratchSize: 0
; MemoryBound: 0
; FloatMode: 240
; IeeeMode: 1
; LDSByteSize: 0 bytes/workgroup (compile time only)
; SGPRBlocks: 0
; VGPRBlocks: 0
; NumSGPRsForWavesPerEU: 4
; NumVGPRsForWavesPerEU: 1
; AccumOffset: 4
; Occupancy: 8
; WaveLimiterHint : 0
; COMPUTE_PGM_RSRC2:SCRATCH_EN: 0
; COMPUTE_PGM_RSRC2:USER_SGPR: 6
; COMPUTE_PGM_RSRC2:TRAP_HANDLER: 0
; COMPUTE_PGM_RSRC2:TGID_X_EN: 1
; COMPUTE_PGM_RSRC2:TGID_Y_EN: 0
; COMPUTE_PGM_RSRC2:TGID_Z_EN: 0
; COMPUTE_PGM_RSRC2:TIDIG_COMP_CNT: 0
; COMPUTE_PGM_RSRC3_GFX90A:ACCUM_OFFSET: 0
; COMPUTE_PGM_RSRC3_GFX90A:TG_SPLIT: 0
	.section	.text._ZN7rocprim17ROCPRIM_400000_NS6detail17trampoline_kernelINS0_14default_configENS1_20scan_config_selectorIxEEZZNS1_9scan_implILNS1_25lookback_scan_determinismE0ELb1ELb1ES3_N6thrust23THRUST_200600_302600_NS6detail15normal_iteratorINS9_10device_ptrIxEEEESE_x11max_functorIxExEEDaPvRmT3_T4_T5_mT6_P12ihipStream_tbENKUlT_T0_E_clISt17integral_constantIbLb1EEST_IbLb0EEEEDaSP_SQ_EUlSP_E0_NS1_11comp_targetILNS1_3genE0ELNS1_11target_archE4294967295ELNS1_3gpuE0ELNS1_3repE0EEENS1_30default_config_static_selectorELNS0_4arch9wavefront6targetE1EEEvT1_,"axG",@progbits,_ZN7rocprim17ROCPRIM_400000_NS6detail17trampoline_kernelINS0_14default_configENS1_20scan_config_selectorIxEEZZNS1_9scan_implILNS1_25lookback_scan_determinismE0ELb1ELb1ES3_N6thrust23THRUST_200600_302600_NS6detail15normal_iteratorINS9_10device_ptrIxEEEESE_x11max_functorIxExEEDaPvRmT3_T4_T5_mT6_P12ihipStream_tbENKUlT_T0_E_clISt17integral_constantIbLb1EEST_IbLb0EEEEDaSP_SQ_EUlSP_E0_NS1_11comp_targetILNS1_3genE0ELNS1_11target_archE4294967295ELNS1_3gpuE0ELNS1_3repE0EEENS1_30default_config_static_selectorELNS0_4arch9wavefront6targetE1EEEvT1_,comdat
	.protected	_ZN7rocprim17ROCPRIM_400000_NS6detail17trampoline_kernelINS0_14default_configENS1_20scan_config_selectorIxEEZZNS1_9scan_implILNS1_25lookback_scan_determinismE0ELb1ELb1ES3_N6thrust23THRUST_200600_302600_NS6detail15normal_iteratorINS9_10device_ptrIxEEEESE_x11max_functorIxExEEDaPvRmT3_T4_T5_mT6_P12ihipStream_tbENKUlT_T0_E_clISt17integral_constantIbLb1EEST_IbLb0EEEEDaSP_SQ_EUlSP_E0_NS1_11comp_targetILNS1_3genE0ELNS1_11target_archE4294967295ELNS1_3gpuE0ELNS1_3repE0EEENS1_30default_config_static_selectorELNS0_4arch9wavefront6targetE1EEEvT1_ ; -- Begin function _ZN7rocprim17ROCPRIM_400000_NS6detail17trampoline_kernelINS0_14default_configENS1_20scan_config_selectorIxEEZZNS1_9scan_implILNS1_25lookback_scan_determinismE0ELb1ELb1ES3_N6thrust23THRUST_200600_302600_NS6detail15normal_iteratorINS9_10device_ptrIxEEEESE_x11max_functorIxExEEDaPvRmT3_T4_T5_mT6_P12ihipStream_tbENKUlT_T0_E_clISt17integral_constantIbLb1EEST_IbLb0EEEEDaSP_SQ_EUlSP_E0_NS1_11comp_targetILNS1_3genE0ELNS1_11target_archE4294967295ELNS1_3gpuE0ELNS1_3repE0EEENS1_30default_config_static_selectorELNS0_4arch9wavefront6targetE1EEEvT1_
	.globl	_ZN7rocprim17ROCPRIM_400000_NS6detail17trampoline_kernelINS0_14default_configENS1_20scan_config_selectorIxEEZZNS1_9scan_implILNS1_25lookback_scan_determinismE0ELb1ELb1ES3_N6thrust23THRUST_200600_302600_NS6detail15normal_iteratorINS9_10device_ptrIxEEEESE_x11max_functorIxExEEDaPvRmT3_T4_T5_mT6_P12ihipStream_tbENKUlT_T0_E_clISt17integral_constantIbLb1EEST_IbLb0EEEEDaSP_SQ_EUlSP_E0_NS1_11comp_targetILNS1_3genE0ELNS1_11target_archE4294967295ELNS1_3gpuE0ELNS1_3repE0EEENS1_30default_config_static_selectorELNS0_4arch9wavefront6targetE1EEEvT1_
	.p2align	8
	.type	_ZN7rocprim17ROCPRIM_400000_NS6detail17trampoline_kernelINS0_14default_configENS1_20scan_config_selectorIxEEZZNS1_9scan_implILNS1_25lookback_scan_determinismE0ELb1ELb1ES3_N6thrust23THRUST_200600_302600_NS6detail15normal_iteratorINS9_10device_ptrIxEEEESE_x11max_functorIxExEEDaPvRmT3_T4_T5_mT6_P12ihipStream_tbENKUlT_T0_E_clISt17integral_constantIbLb1EEST_IbLb0EEEEDaSP_SQ_EUlSP_E0_NS1_11comp_targetILNS1_3genE0ELNS1_11target_archE4294967295ELNS1_3gpuE0ELNS1_3repE0EEENS1_30default_config_static_selectorELNS0_4arch9wavefront6targetE1EEEvT1_,@function
_ZN7rocprim17ROCPRIM_400000_NS6detail17trampoline_kernelINS0_14default_configENS1_20scan_config_selectorIxEEZZNS1_9scan_implILNS1_25lookback_scan_determinismE0ELb1ELb1ES3_N6thrust23THRUST_200600_302600_NS6detail15normal_iteratorINS9_10device_ptrIxEEEESE_x11max_functorIxExEEDaPvRmT3_T4_T5_mT6_P12ihipStream_tbENKUlT_T0_E_clISt17integral_constantIbLb1EEST_IbLb0EEEEDaSP_SQ_EUlSP_E0_NS1_11comp_targetILNS1_3genE0ELNS1_11target_archE4294967295ELNS1_3gpuE0ELNS1_3repE0EEENS1_30default_config_static_selectorELNS0_4arch9wavefront6targetE1EEEvT1_: ; @_ZN7rocprim17ROCPRIM_400000_NS6detail17trampoline_kernelINS0_14default_configENS1_20scan_config_selectorIxEEZZNS1_9scan_implILNS1_25lookback_scan_determinismE0ELb1ELb1ES3_N6thrust23THRUST_200600_302600_NS6detail15normal_iteratorINS9_10device_ptrIxEEEESE_x11max_functorIxExEEDaPvRmT3_T4_T5_mT6_P12ihipStream_tbENKUlT_T0_E_clISt17integral_constantIbLb1EEST_IbLb0EEEEDaSP_SQ_EUlSP_E0_NS1_11comp_targetILNS1_3genE0ELNS1_11target_archE4294967295ELNS1_3gpuE0ELNS1_3repE0EEENS1_30default_config_static_selectorELNS0_4arch9wavefront6targetE1EEEvT1_
; %bb.0:
	.section	.rodata,"a",@progbits
	.p2align	6, 0x0
	.amdhsa_kernel _ZN7rocprim17ROCPRIM_400000_NS6detail17trampoline_kernelINS0_14default_configENS1_20scan_config_selectorIxEEZZNS1_9scan_implILNS1_25lookback_scan_determinismE0ELb1ELb1ES3_N6thrust23THRUST_200600_302600_NS6detail15normal_iteratorINS9_10device_ptrIxEEEESE_x11max_functorIxExEEDaPvRmT3_T4_T5_mT6_P12ihipStream_tbENKUlT_T0_E_clISt17integral_constantIbLb1EEST_IbLb0EEEEDaSP_SQ_EUlSP_E0_NS1_11comp_targetILNS1_3genE0ELNS1_11target_archE4294967295ELNS1_3gpuE0ELNS1_3repE0EEENS1_30default_config_static_selectorELNS0_4arch9wavefront6targetE1EEEvT1_
		.amdhsa_group_segment_fixed_size 0
		.amdhsa_private_segment_fixed_size 0
		.amdhsa_kernarg_size 40
		.amdhsa_user_sgpr_count 6
		.amdhsa_user_sgpr_private_segment_buffer 1
		.amdhsa_user_sgpr_dispatch_ptr 0
		.amdhsa_user_sgpr_queue_ptr 0
		.amdhsa_user_sgpr_kernarg_segment_ptr 1
		.amdhsa_user_sgpr_dispatch_id 0
		.amdhsa_user_sgpr_flat_scratch_init 0
		.amdhsa_user_sgpr_kernarg_preload_length 0
		.amdhsa_user_sgpr_kernarg_preload_offset 0
		.amdhsa_user_sgpr_private_segment_size 0
		.amdhsa_uses_dynamic_stack 0
		.amdhsa_system_sgpr_private_segment_wavefront_offset 0
		.amdhsa_system_sgpr_workgroup_id_x 1
		.amdhsa_system_sgpr_workgroup_id_y 0
		.amdhsa_system_sgpr_workgroup_id_z 0
		.amdhsa_system_sgpr_workgroup_info 0
		.amdhsa_system_vgpr_workitem_id 0
		.amdhsa_next_free_vgpr 1
		.amdhsa_next_free_sgpr 0
		.amdhsa_accum_offset 4
		.amdhsa_reserve_vcc 0
		.amdhsa_reserve_flat_scratch 0
		.amdhsa_float_round_mode_32 0
		.amdhsa_float_round_mode_16_64 0
		.amdhsa_float_denorm_mode_32 3
		.amdhsa_float_denorm_mode_16_64 3
		.amdhsa_dx10_clamp 1
		.amdhsa_ieee_mode 1
		.amdhsa_fp16_overflow 0
		.amdhsa_tg_split 0
		.amdhsa_exception_fp_ieee_invalid_op 0
		.amdhsa_exception_fp_denorm_src 0
		.amdhsa_exception_fp_ieee_div_zero 0
		.amdhsa_exception_fp_ieee_overflow 0
		.amdhsa_exception_fp_ieee_underflow 0
		.amdhsa_exception_fp_ieee_inexact 0
		.amdhsa_exception_int_div_zero 0
	.end_amdhsa_kernel
	.section	.text._ZN7rocprim17ROCPRIM_400000_NS6detail17trampoline_kernelINS0_14default_configENS1_20scan_config_selectorIxEEZZNS1_9scan_implILNS1_25lookback_scan_determinismE0ELb1ELb1ES3_N6thrust23THRUST_200600_302600_NS6detail15normal_iteratorINS9_10device_ptrIxEEEESE_x11max_functorIxExEEDaPvRmT3_T4_T5_mT6_P12ihipStream_tbENKUlT_T0_E_clISt17integral_constantIbLb1EEST_IbLb0EEEEDaSP_SQ_EUlSP_E0_NS1_11comp_targetILNS1_3genE0ELNS1_11target_archE4294967295ELNS1_3gpuE0ELNS1_3repE0EEENS1_30default_config_static_selectorELNS0_4arch9wavefront6targetE1EEEvT1_,"axG",@progbits,_ZN7rocprim17ROCPRIM_400000_NS6detail17trampoline_kernelINS0_14default_configENS1_20scan_config_selectorIxEEZZNS1_9scan_implILNS1_25lookback_scan_determinismE0ELb1ELb1ES3_N6thrust23THRUST_200600_302600_NS6detail15normal_iteratorINS9_10device_ptrIxEEEESE_x11max_functorIxExEEDaPvRmT3_T4_T5_mT6_P12ihipStream_tbENKUlT_T0_E_clISt17integral_constantIbLb1EEST_IbLb0EEEEDaSP_SQ_EUlSP_E0_NS1_11comp_targetILNS1_3genE0ELNS1_11target_archE4294967295ELNS1_3gpuE0ELNS1_3repE0EEENS1_30default_config_static_selectorELNS0_4arch9wavefront6targetE1EEEvT1_,comdat
.Lfunc_end2675:
	.size	_ZN7rocprim17ROCPRIM_400000_NS6detail17trampoline_kernelINS0_14default_configENS1_20scan_config_selectorIxEEZZNS1_9scan_implILNS1_25lookback_scan_determinismE0ELb1ELb1ES3_N6thrust23THRUST_200600_302600_NS6detail15normal_iteratorINS9_10device_ptrIxEEEESE_x11max_functorIxExEEDaPvRmT3_T4_T5_mT6_P12ihipStream_tbENKUlT_T0_E_clISt17integral_constantIbLb1EEST_IbLb0EEEEDaSP_SQ_EUlSP_E0_NS1_11comp_targetILNS1_3genE0ELNS1_11target_archE4294967295ELNS1_3gpuE0ELNS1_3repE0EEENS1_30default_config_static_selectorELNS0_4arch9wavefront6targetE1EEEvT1_, .Lfunc_end2675-_ZN7rocprim17ROCPRIM_400000_NS6detail17trampoline_kernelINS0_14default_configENS1_20scan_config_selectorIxEEZZNS1_9scan_implILNS1_25lookback_scan_determinismE0ELb1ELb1ES3_N6thrust23THRUST_200600_302600_NS6detail15normal_iteratorINS9_10device_ptrIxEEEESE_x11max_functorIxExEEDaPvRmT3_T4_T5_mT6_P12ihipStream_tbENKUlT_T0_E_clISt17integral_constantIbLb1EEST_IbLb0EEEEDaSP_SQ_EUlSP_E0_NS1_11comp_targetILNS1_3genE0ELNS1_11target_archE4294967295ELNS1_3gpuE0ELNS1_3repE0EEENS1_30default_config_static_selectorELNS0_4arch9wavefront6targetE1EEEvT1_
                                        ; -- End function
	.section	.AMDGPU.csdata,"",@progbits
; Kernel info:
; codeLenInByte = 0
; NumSgprs: 4
; NumVgprs: 0
; NumAgprs: 0
; TotalNumVgprs: 0
; ScratchSize: 0
; MemoryBound: 0
; FloatMode: 240
; IeeeMode: 1
; LDSByteSize: 0 bytes/workgroup (compile time only)
; SGPRBlocks: 0
; VGPRBlocks: 0
; NumSGPRsForWavesPerEU: 4
; NumVGPRsForWavesPerEU: 1
; AccumOffset: 4
; Occupancy: 8
; WaveLimiterHint : 0
; COMPUTE_PGM_RSRC2:SCRATCH_EN: 0
; COMPUTE_PGM_RSRC2:USER_SGPR: 6
; COMPUTE_PGM_RSRC2:TRAP_HANDLER: 0
; COMPUTE_PGM_RSRC2:TGID_X_EN: 1
; COMPUTE_PGM_RSRC2:TGID_Y_EN: 0
; COMPUTE_PGM_RSRC2:TGID_Z_EN: 0
; COMPUTE_PGM_RSRC2:TIDIG_COMP_CNT: 0
; COMPUTE_PGM_RSRC3_GFX90A:ACCUM_OFFSET: 0
; COMPUTE_PGM_RSRC3_GFX90A:TG_SPLIT: 0
	.section	.text._ZN7rocprim17ROCPRIM_400000_NS6detail17trampoline_kernelINS0_14default_configENS1_20scan_config_selectorIxEEZZNS1_9scan_implILNS1_25lookback_scan_determinismE0ELb1ELb1ES3_N6thrust23THRUST_200600_302600_NS6detail15normal_iteratorINS9_10device_ptrIxEEEESE_x11max_functorIxExEEDaPvRmT3_T4_T5_mT6_P12ihipStream_tbENKUlT_T0_E_clISt17integral_constantIbLb1EEST_IbLb0EEEEDaSP_SQ_EUlSP_E0_NS1_11comp_targetILNS1_3genE5ELNS1_11target_archE942ELNS1_3gpuE9ELNS1_3repE0EEENS1_30default_config_static_selectorELNS0_4arch9wavefront6targetE1EEEvT1_,"axG",@progbits,_ZN7rocprim17ROCPRIM_400000_NS6detail17trampoline_kernelINS0_14default_configENS1_20scan_config_selectorIxEEZZNS1_9scan_implILNS1_25lookback_scan_determinismE0ELb1ELb1ES3_N6thrust23THRUST_200600_302600_NS6detail15normal_iteratorINS9_10device_ptrIxEEEESE_x11max_functorIxExEEDaPvRmT3_T4_T5_mT6_P12ihipStream_tbENKUlT_T0_E_clISt17integral_constantIbLb1EEST_IbLb0EEEEDaSP_SQ_EUlSP_E0_NS1_11comp_targetILNS1_3genE5ELNS1_11target_archE942ELNS1_3gpuE9ELNS1_3repE0EEENS1_30default_config_static_selectorELNS0_4arch9wavefront6targetE1EEEvT1_,comdat
	.protected	_ZN7rocprim17ROCPRIM_400000_NS6detail17trampoline_kernelINS0_14default_configENS1_20scan_config_selectorIxEEZZNS1_9scan_implILNS1_25lookback_scan_determinismE0ELb1ELb1ES3_N6thrust23THRUST_200600_302600_NS6detail15normal_iteratorINS9_10device_ptrIxEEEESE_x11max_functorIxExEEDaPvRmT3_T4_T5_mT6_P12ihipStream_tbENKUlT_T0_E_clISt17integral_constantIbLb1EEST_IbLb0EEEEDaSP_SQ_EUlSP_E0_NS1_11comp_targetILNS1_3genE5ELNS1_11target_archE942ELNS1_3gpuE9ELNS1_3repE0EEENS1_30default_config_static_selectorELNS0_4arch9wavefront6targetE1EEEvT1_ ; -- Begin function _ZN7rocprim17ROCPRIM_400000_NS6detail17trampoline_kernelINS0_14default_configENS1_20scan_config_selectorIxEEZZNS1_9scan_implILNS1_25lookback_scan_determinismE0ELb1ELb1ES3_N6thrust23THRUST_200600_302600_NS6detail15normal_iteratorINS9_10device_ptrIxEEEESE_x11max_functorIxExEEDaPvRmT3_T4_T5_mT6_P12ihipStream_tbENKUlT_T0_E_clISt17integral_constantIbLb1EEST_IbLb0EEEEDaSP_SQ_EUlSP_E0_NS1_11comp_targetILNS1_3genE5ELNS1_11target_archE942ELNS1_3gpuE9ELNS1_3repE0EEENS1_30default_config_static_selectorELNS0_4arch9wavefront6targetE1EEEvT1_
	.globl	_ZN7rocprim17ROCPRIM_400000_NS6detail17trampoline_kernelINS0_14default_configENS1_20scan_config_selectorIxEEZZNS1_9scan_implILNS1_25lookback_scan_determinismE0ELb1ELb1ES3_N6thrust23THRUST_200600_302600_NS6detail15normal_iteratorINS9_10device_ptrIxEEEESE_x11max_functorIxExEEDaPvRmT3_T4_T5_mT6_P12ihipStream_tbENKUlT_T0_E_clISt17integral_constantIbLb1EEST_IbLb0EEEEDaSP_SQ_EUlSP_E0_NS1_11comp_targetILNS1_3genE5ELNS1_11target_archE942ELNS1_3gpuE9ELNS1_3repE0EEENS1_30default_config_static_selectorELNS0_4arch9wavefront6targetE1EEEvT1_
	.p2align	8
	.type	_ZN7rocprim17ROCPRIM_400000_NS6detail17trampoline_kernelINS0_14default_configENS1_20scan_config_selectorIxEEZZNS1_9scan_implILNS1_25lookback_scan_determinismE0ELb1ELb1ES3_N6thrust23THRUST_200600_302600_NS6detail15normal_iteratorINS9_10device_ptrIxEEEESE_x11max_functorIxExEEDaPvRmT3_T4_T5_mT6_P12ihipStream_tbENKUlT_T0_E_clISt17integral_constantIbLb1EEST_IbLb0EEEEDaSP_SQ_EUlSP_E0_NS1_11comp_targetILNS1_3genE5ELNS1_11target_archE942ELNS1_3gpuE9ELNS1_3repE0EEENS1_30default_config_static_selectorELNS0_4arch9wavefront6targetE1EEEvT1_,@function
_ZN7rocprim17ROCPRIM_400000_NS6detail17trampoline_kernelINS0_14default_configENS1_20scan_config_selectorIxEEZZNS1_9scan_implILNS1_25lookback_scan_determinismE0ELb1ELb1ES3_N6thrust23THRUST_200600_302600_NS6detail15normal_iteratorINS9_10device_ptrIxEEEESE_x11max_functorIxExEEDaPvRmT3_T4_T5_mT6_P12ihipStream_tbENKUlT_T0_E_clISt17integral_constantIbLb1EEST_IbLb0EEEEDaSP_SQ_EUlSP_E0_NS1_11comp_targetILNS1_3genE5ELNS1_11target_archE942ELNS1_3gpuE9ELNS1_3repE0EEENS1_30default_config_static_selectorELNS0_4arch9wavefront6targetE1EEEvT1_: ; @_ZN7rocprim17ROCPRIM_400000_NS6detail17trampoline_kernelINS0_14default_configENS1_20scan_config_selectorIxEEZZNS1_9scan_implILNS1_25lookback_scan_determinismE0ELb1ELb1ES3_N6thrust23THRUST_200600_302600_NS6detail15normal_iteratorINS9_10device_ptrIxEEEESE_x11max_functorIxExEEDaPvRmT3_T4_T5_mT6_P12ihipStream_tbENKUlT_T0_E_clISt17integral_constantIbLb1EEST_IbLb0EEEEDaSP_SQ_EUlSP_E0_NS1_11comp_targetILNS1_3genE5ELNS1_11target_archE942ELNS1_3gpuE9ELNS1_3repE0EEENS1_30default_config_static_selectorELNS0_4arch9wavefront6targetE1EEEvT1_
; %bb.0:
	.section	.rodata,"a",@progbits
	.p2align	6, 0x0
	.amdhsa_kernel _ZN7rocprim17ROCPRIM_400000_NS6detail17trampoline_kernelINS0_14default_configENS1_20scan_config_selectorIxEEZZNS1_9scan_implILNS1_25lookback_scan_determinismE0ELb1ELb1ES3_N6thrust23THRUST_200600_302600_NS6detail15normal_iteratorINS9_10device_ptrIxEEEESE_x11max_functorIxExEEDaPvRmT3_T4_T5_mT6_P12ihipStream_tbENKUlT_T0_E_clISt17integral_constantIbLb1EEST_IbLb0EEEEDaSP_SQ_EUlSP_E0_NS1_11comp_targetILNS1_3genE5ELNS1_11target_archE942ELNS1_3gpuE9ELNS1_3repE0EEENS1_30default_config_static_selectorELNS0_4arch9wavefront6targetE1EEEvT1_
		.amdhsa_group_segment_fixed_size 0
		.amdhsa_private_segment_fixed_size 0
		.amdhsa_kernarg_size 40
		.amdhsa_user_sgpr_count 6
		.amdhsa_user_sgpr_private_segment_buffer 1
		.amdhsa_user_sgpr_dispatch_ptr 0
		.amdhsa_user_sgpr_queue_ptr 0
		.amdhsa_user_sgpr_kernarg_segment_ptr 1
		.amdhsa_user_sgpr_dispatch_id 0
		.amdhsa_user_sgpr_flat_scratch_init 0
		.amdhsa_user_sgpr_kernarg_preload_length 0
		.amdhsa_user_sgpr_kernarg_preload_offset 0
		.amdhsa_user_sgpr_private_segment_size 0
		.amdhsa_uses_dynamic_stack 0
		.amdhsa_system_sgpr_private_segment_wavefront_offset 0
		.amdhsa_system_sgpr_workgroup_id_x 1
		.amdhsa_system_sgpr_workgroup_id_y 0
		.amdhsa_system_sgpr_workgroup_id_z 0
		.amdhsa_system_sgpr_workgroup_info 0
		.amdhsa_system_vgpr_workitem_id 0
		.amdhsa_next_free_vgpr 1
		.amdhsa_next_free_sgpr 0
		.amdhsa_accum_offset 4
		.amdhsa_reserve_vcc 0
		.amdhsa_reserve_flat_scratch 0
		.amdhsa_float_round_mode_32 0
		.amdhsa_float_round_mode_16_64 0
		.amdhsa_float_denorm_mode_32 3
		.amdhsa_float_denorm_mode_16_64 3
		.amdhsa_dx10_clamp 1
		.amdhsa_ieee_mode 1
		.amdhsa_fp16_overflow 0
		.amdhsa_tg_split 0
		.amdhsa_exception_fp_ieee_invalid_op 0
		.amdhsa_exception_fp_denorm_src 0
		.amdhsa_exception_fp_ieee_div_zero 0
		.amdhsa_exception_fp_ieee_overflow 0
		.amdhsa_exception_fp_ieee_underflow 0
		.amdhsa_exception_fp_ieee_inexact 0
		.amdhsa_exception_int_div_zero 0
	.end_amdhsa_kernel
	.section	.text._ZN7rocprim17ROCPRIM_400000_NS6detail17trampoline_kernelINS0_14default_configENS1_20scan_config_selectorIxEEZZNS1_9scan_implILNS1_25lookback_scan_determinismE0ELb1ELb1ES3_N6thrust23THRUST_200600_302600_NS6detail15normal_iteratorINS9_10device_ptrIxEEEESE_x11max_functorIxExEEDaPvRmT3_T4_T5_mT6_P12ihipStream_tbENKUlT_T0_E_clISt17integral_constantIbLb1EEST_IbLb0EEEEDaSP_SQ_EUlSP_E0_NS1_11comp_targetILNS1_3genE5ELNS1_11target_archE942ELNS1_3gpuE9ELNS1_3repE0EEENS1_30default_config_static_selectorELNS0_4arch9wavefront6targetE1EEEvT1_,"axG",@progbits,_ZN7rocprim17ROCPRIM_400000_NS6detail17trampoline_kernelINS0_14default_configENS1_20scan_config_selectorIxEEZZNS1_9scan_implILNS1_25lookback_scan_determinismE0ELb1ELb1ES3_N6thrust23THRUST_200600_302600_NS6detail15normal_iteratorINS9_10device_ptrIxEEEESE_x11max_functorIxExEEDaPvRmT3_T4_T5_mT6_P12ihipStream_tbENKUlT_T0_E_clISt17integral_constantIbLb1EEST_IbLb0EEEEDaSP_SQ_EUlSP_E0_NS1_11comp_targetILNS1_3genE5ELNS1_11target_archE942ELNS1_3gpuE9ELNS1_3repE0EEENS1_30default_config_static_selectorELNS0_4arch9wavefront6targetE1EEEvT1_,comdat
.Lfunc_end2676:
	.size	_ZN7rocprim17ROCPRIM_400000_NS6detail17trampoline_kernelINS0_14default_configENS1_20scan_config_selectorIxEEZZNS1_9scan_implILNS1_25lookback_scan_determinismE0ELb1ELb1ES3_N6thrust23THRUST_200600_302600_NS6detail15normal_iteratorINS9_10device_ptrIxEEEESE_x11max_functorIxExEEDaPvRmT3_T4_T5_mT6_P12ihipStream_tbENKUlT_T0_E_clISt17integral_constantIbLb1EEST_IbLb0EEEEDaSP_SQ_EUlSP_E0_NS1_11comp_targetILNS1_3genE5ELNS1_11target_archE942ELNS1_3gpuE9ELNS1_3repE0EEENS1_30default_config_static_selectorELNS0_4arch9wavefront6targetE1EEEvT1_, .Lfunc_end2676-_ZN7rocprim17ROCPRIM_400000_NS6detail17trampoline_kernelINS0_14default_configENS1_20scan_config_selectorIxEEZZNS1_9scan_implILNS1_25lookback_scan_determinismE0ELb1ELb1ES3_N6thrust23THRUST_200600_302600_NS6detail15normal_iteratorINS9_10device_ptrIxEEEESE_x11max_functorIxExEEDaPvRmT3_T4_T5_mT6_P12ihipStream_tbENKUlT_T0_E_clISt17integral_constantIbLb1EEST_IbLb0EEEEDaSP_SQ_EUlSP_E0_NS1_11comp_targetILNS1_3genE5ELNS1_11target_archE942ELNS1_3gpuE9ELNS1_3repE0EEENS1_30default_config_static_selectorELNS0_4arch9wavefront6targetE1EEEvT1_
                                        ; -- End function
	.section	.AMDGPU.csdata,"",@progbits
; Kernel info:
; codeLenInByte = 0
; NumSgprs: 4
; NumVgprs: 0
; NumAgprs: 0
; TotalNumVgprs: 0
; ScratchSize: 0
; MemoryBound: 0
; FloatMode: 240
; IeeeMode: 1
; LDSByteSize: 0 bytes/workgroup (compile time only)
; SGPRBlocks: 0
; VGPRBlocks: 0
; NumSGPRsForWavesPerEU: 4
; NumVGPRsForWavesPerEU: 1
; AccumOffset: 4
; Occupancy: 8
; WaveLimiterHint : 0
; COMPUTE_PGM_RSRC2:SCRATCH_EN: 0
; COMPUTE_PGM_RSRC2:USER_SGPR: 6
; COMPUTE_PGM_RSRC2:TRAP_HANDLER: 0
; COMPUTE_PGM_RSRC2:TGID_X_EN: 1
; COMPUTE_PGM_RSRC2:TGID_Y_EN: 0
; COMPUTE_PGM_RSRC2:TGID_Z_EN: 0
; COMPUTE_PGM_RSRC2:TIDIG_COMP_CNT: 0
; COMPUTE_PGM_RSRC3_GFX90A:ACCUM_OFFSET: 0
; COMPUTE_PGM_RSRC3_GFX90A:TG_SPLIT: 0
	.section	.text._ZN7rocprim17ROCPRIM_400000_NS6detail17trampoline_kernelINS0_14default_configENS1_20scan_config_selectorIxEEZZNS1_9scan_implILNS1_25lookback_scan_determinismE0ELb1ELb1ES3_N6thrust23THRUST_200600_302600_NS6detail15normal_iteratorINS9_10device_ptrIxEEEESE_x11max_functorIxExEEDaPvRmT3_T4_T5_mT6_P12ihipStream_tbENKUlT_T0_E_clISt17integral_constantIbLb1EEST_IbLb0EEEEDaSP_SQ_EUlSP_E0_NS1_11comp_targetILNS1_3genE4ELNS1_11target_archE910ELNS1_3gpuE8ELNS1_3repE0EEENS1_30default_config_static_selectorELNS0_4arch9wavefront6targetE1EEEvT1_,"axG",@progbits,_ZN7rocprim17ROCPRIM_400000_NS6detail17trampoline_kernelINS0_14default_configENS1_20scan_config_selectorIxEEZZNS1_9scan_implILNS1_25lookback_scan_determinismE0ELb1ELb1ES3_N6thrust23THRUST_200600_302600_NS6detail15normal_iteratorINS9_10device_ptrIxEEEESE_x11max_functorIxExEEDaPvRmT3_T4_T5_mT6_P12ihipStream_tbENKUlT_T0_E_clISt17integral_constantIbLb1EEST_IbLb0EEEEDaSP_SQ_EUlSP_E0_NS1_11comp_targetILNS1_3genE4ELNS1_11target_archE910ELNS1_3gpuE8ELNS1_3repE0EEENS1_30default_config_static_selectorELNS0_4arch9wavefront6targetE1EEEvT1_,comdat
	.protected	_ZN7rocprim17ROCPRIM_400000_NS6detail17trampoline_kernelINS0_14default_configENS1_20scan_config_selectorIxEEZZNS1_9scan_implILNS1_25lookback_scan_determinismE0ELb1ELb1ES3_N6thrust23THRUST_200600_302600_NS6detail15normal_iteratorINS9_10device_ptrIxEEEESE_x11max_functorIxExEEDaPvRmT3_T4_T5_mT6_P12ihipStream_tbENKUlT_T0_E_clISt17integral_constantIbLb1EEST_IbLb0EEEEDaSP_SQ_EUlSP_E0_NS1_11comp_targetILNS1_3genE4ELNS1_11target_archE910ELNS1_3gpuE8ELNS1_3repE0EEENS1_30default_config_static_selectorELNS0_4arch9wavefront6targetE1EEEvT1_ ; -- Begin function _ZN7rocprim17ROCPRIM_400000_NS6detail17trampoline_kernelINS0_14default_configENS1_20scan_config_selectorIxEEZZNS1_9scan_implILNS1_25lookback_scan_determinismE0ELb1ELb1ES3_N6thrust23THRUST_200600_302600_NS6detail15normal_iteratorINS9_10device_ptrIxEEEESE_x11max_functorIxExEEDaPvRmT3_T4_T5_mT6_P12ihipStream_tbENKUlT_T0_E_clISt17integral_constantIbLb1EEST_IbLb0EEEEDaSP_SQ_EUlSP_E0_NS1_11comp_targetILNS1_3genE4ELNS1_11target_archE910ELNS1_3gpuE8ELNS1_3repE0EEENS1_30default_config_static_selectorELNS0_4arch9wavefront6targetE1EEEvT1_
	.globl	_ZN7rocprim17ROCPRIM_400000_NS6detail17trampoline_kernelINS0_14default_configENS1_20scan_config_selectorIxEEZZNS1_9scan_implILNS1_25lookback_scan_determinismE0ELb1ELb1ES3_N6thrust23THRUST_200600_302600_NS6detail15normal_iteratorINS9_10device_ptrIxEEEESE_x11max_functorIxExEEDaPvRmT3_T4_T5_mT6_P12ihipStream_tbENKUlT_T0_E_clISt17integral_constantIbLb1EEST_IbLb0EEEEDaSP_SQ_EUlSP_E0_NS1_11comp_targetILNS1_3genE4ELNS1_11target_archE910ELNS1_3gpuE8ELNS1_3repE0EEENS1_30default_config_static_selectorELNS0_4arch9wavefront6targetE1EEEvT1_
	.p2align	8
	.type	_ZN7rocprim17ROCPRIM_400000_NS6detail17trampoline_kernelINS0_14default_configENS1_20scan_config_selectorIxEEZZNS1_9scan_implILNS1_25lookback_scan_determinismE0ELb1ELb1ES3_N6thrust23THRUST_200600_302600_NS6detail15normal_iteratorINS9_10device_ptrIxEEEESE_x11max_functorIxExEEDaPvRmT3_T4_T5_mT6_P12ihipStream_tbENKUlT_T0_E_clISt17integral_constantIbLb1EEST_IbLb0EEEEDaSP_SQ_EUlSP_E0_NS1_11comp_targetILNS1_3genE4ELNS1_11target_archE910ELNS1_3gpuE8ELNS1_3repE0EEENS1_30default_config_static_selectorELNS0_4arch9wavefront6targetE1EEEvT1_,@function
_ZN7rocprim17ROCPRIM_400000_NS6detail17trampoline_kernelINS0_14default_configENS1_20scan_config_selectorIxEEZZNS1_9scan_implILNS1_25lookback_scan_determinismE0ELb1ELb1ES3_N6thrust23THRUST_200600_302600_NS6detail15normal_iteratorINS9_10device_ptrIxEEEESE_x11max_functorIxExEEDaPvRmT3_T4_T5_mT6_P12ihipStream_tbENKUlT_T0_E_clISt17integral_constantIbLb1EEST_IbLb0EEEEDaSP_SQ_EUlSP_E0_NS1_11comp_targetILNS1_3genE4ELNS1_11target_archE910ELNS1_3gpuE8ELNS1_3repE0EEENS1_30default_config_static_selectorELNS0_4arch9wavefront6targetE1EEEvT1_: ; @_ZN7rocprim17ROCPRIM_400000_NS6detail17trampoline_kernelINS0_14default_configENS1_20scan_config_selectorIxEEZZNS1_9scan_implILNS1_25lookback_scan_determinismE0ELb1ELb1ES3_N6thrust23THRUST_200600_302600_NS6detail15normal_iteratorINS9_10device_ptrIxEEEESE_x11max_functorIxExEEDaPvRmT3_T4_T5_mT6_P12ihipStream_tbENKUlT_T0_E_clISt17integral_constantIbLb1EEST_IbLb0EEEEDaSP_SQ_EUlSP_E0_NS1_11comp_targetILNS1_3genE4ELNS1_11target_archE910ELNS1_3gpuE8ELNS1_3repE0EEENS1_30default_config_static_selectorELNS0_4arch9wavefront6targetE1EEEvT1_
; %bb.0:
	s_load_dwordx4 s[16:19], s[4:5], 0x0
	v_lshlrev_b32_e32 v24, 3, v0
	s_waitcnt lgkmcnt(0)
	s_load_dwordx2 s[14:15], s[16:17], 0x0
	v_cmp_gt_u32_e32 vcc, s18, v0
	s_waitcnt lgkmcnt(0)
	v_pk_mov_b32 v[2:3], s[14:15], s[14:15] op_sel:[0,1]
	s_and_saveexec_b64 s[0:1], vcc
	s_cbranch_execz .LBB2677_2
; %bb.1:
	global_load_dwordx2 v[2:3], v24, s[16:17]
.LBB2677_2:
	s_or_b64 exec, exec, s[0:1]
	v_or_b32_e32 v1, 0x80, v0
	v_cmp_gt_u32_e64 s[0:1], s18, v1
	v_pk_mov_b32 v[4:5], s[14:15], s[14:15] op_sel:[0,1]
	s_and_saveexec_b64 s[2:3], s[0:1]
	s_cbranch_execz .LBB2677_4
; %bb.3:
	global_load_dwordx2 v[4:5], v24, s[16:17] offset:1024
.LBB2677_4:
	s_or_b64 exec, exec, s[2:3]
	v_or_b32_e32 v1, 0x100, v0
	v_cmp_gt_u32_e64 s[2:3], s18, v1
	v_pk_mov_b32 v[6:7], s[14:15], s[14:15] op_sel:[0,1]
	s_and_saveexec_b64 s[6:7], s[2:3]
	s_cbranch_execz .LBB2677_6
; %bb.5:
	global_load_dwordx2 v[6:7], v24, s[16:17] offset:2048
.LBB2677_6:
	;; [unrolled: 9-line block ×3, first 2 shown]
	s_or_b64 exec, exec, s[6:7]
	v_or_b32_e32 v1, 0x200, v0
	v_cmp_gt_u32_e64 s[6:7], s18, v1
	v_pk_mov_b32 v[10:11], s[14:15], s[14:15] op_sel:[0,1]
	s_and_saveexec_b64 s[8:9], s[6:7]
	s_cbranch_execz .LBB2677_10
; %bb.9:
	v_lshlrev_b32_e32 v1, 3, v1
	global_load_dwordx2 v[10:11], v1, s[16:17]
.LBB2677_10:
	s_or_b64 exec, exec, s[8:9]
	v_or_b32_e32 v1, 0x280, v0
	v_cmp_gt_u32_e64 s[8:9], s18, v1
	v_pk_mov_b32 v[12:13], s[14:15], s[14:15] op_sel:[0,1]
	s_and_saveexec_b64 s[10:11], s[8:9]
	s_cbranch_execz .LBB2677_12
; %bb.11:
	v_lshlrev_b32_e32 v1, 3, v1
	global_load_dwordx2 v[12:13], v1, s[16:17]
.LBB2677_12:
	s_or_b64 exec, exec, s[10:11]
	s_load_dwordx2 s[20:21], s[4:5], 0x10
	v_or_b32_e32 v1, 0x300, v0
	v_cmp_gt_u32_e64 s[10:11], s18, v1
	v_pk_mov_b32 v[14:15], s[14:15], s[14:15] op_sel:[0,1]
	s_and_saveexec_b64 s[14:15], s[10:11]
	s_cbranch_execz .LBB2677_14
; %bb.13:
	v_lshlrev_b32_e32 v1, 3, v1
	global_load_dwordx2 v[14:15], v1, s[16:17]
.LBB2677_14:
	s_or_b64 exec, exec, s[14:15]
	v_mad_u32_u24 v1, v0, 48, v24
	s_waitcnt vmcnt(0)
	ds_write2st64_b64 v24, v[2:3], v[4:5] offset1:2
	ds_write2st64_b64 v24, v[6:7], v[8:9] offset0:4 offset1:6
	ds_write2st64_b64 v24, v[10:11], v[12:13] offset0:8 offset1:10
	ds_write_b64 v24, v[14:15] offset:6144
	s_waitcnt lgkmcnt(0)
	s_barrier
	ds_read2_b64 v[10:13], v1 offset1:1
	ds_read2_b64 v[6:9], v1 offset0:2 offset1:3
	ds_read2_b64 v[2:5], v1 offset0:4 offset1:5
	ds_read_b64 v[14:15], v1 offset:48
	s_load_dwordx2 s[16:17], s[4:5], 0x20
	s_waitcnt lgkmcnt(0)
	v_cmp_gt_i64_e64 s[4:5], v[10:11], v[12:13]
	v_cndmask_b32_e64 v17, v13, v11, s[4:5]
	v_cndmask_b32_e64 v16, v12, v10, s[4:5]
	v_cmp_gt_i64_e64 s[4:5], v[16:17], v[6:7]
	v_cndmask_b32_e64 v17, v7, v17, s[4:5]
	v_cndmask_b32_e64 v16, v6, v16, s[4:5]
	;; [unrolled: 3-line block ×5, first 2 shown]
	v_cmp_gt_i64_e64 s[4:5], v[16:17], v[14:15]
	v_cndmask_b32_e64 v18, v14, v16, s[4:5]
	v_lshrrev_b32_e32 v14, 2, v0
	v_and_b32_e32 v14, 24, v14
	v_cndmask_b32_e64 v19, v15, v17, s[4:5]
	v_add_u32_e32 v14, v24, v14
	v_cmp_gt_u32_e64 s[4:5], 64, v0
	s_barrier
	ds_write_b64 v14, v[18:19]
	s_waitcnt lgkmcnt(0)
	s_barrier
	s_and_saveexec_b64 s[18:19], s[4:5]
	s_cbranch_execz .LBB2677_18
; %bb.15:
	v_lshlrev_b32_e32 v14, 1, v0
	v_lshrrev_b32_e32 v15, 4, v0
	v_add_lshl_u32 v25, v15, v14, 3
	ds_read2_b64 v[14:17], v25 offset1:1
	v_mbcnt_lo_u32_b32 v20, -1, 0
	v_mbcnt_hi_u32_b32 v26, -1, v20
	v_and_b32_e32 v27, 15, v26
	v_and_b32_e32 v29, 16, v26
	s_waitcnt lgkmcnt(0)
	v_cmp_gt_i64_e64 s[4:5], v[14:15], v[16:17]
	v_cndmask_b32_e64 v17, v17, v15, s[4:5]
	v_cndmask_b32_e64 v16, v16, v14, s[4:5]
	v_cmp_ne_u32_e64 s[14:15], 0, v26
	v_mov_b32_dpp v21, v17 row_shr:1 row_mask:0xf bank_mask:0xf
	v_mov_b32_dpp v20, v16 row_shr:1 row_mask:0xf bank_mask:0xf
	v_cmp_gt_i64_e64 s[4:5], v[20:21], v[16:17]
	v_cndmask_b32_e64 v20, v16, v20, s[4:5]
	v_cndmask_b32_e64 v21, v17, v21, s[4:5]
	v_cmp_eq_u32_e64 s[4:5], 0, v27
	v_cndmask_b32_e64 v21, v21, v17, s[4:5]
	v_cndmask_b32_e64 v20, v20, v16, s[4:5]
	s_nop 0
	v_mov_b32_dpp v23, v21 row_shr:2 row_mask:0xf bank_mask:0xf
	v_mov_b32_dpp v22, v20 row_shr:2 row_mask:0xf bank_mask:0xf
	v_cmp_gt_i64_e64 s[4:5], v[22:23], v[20:21]
	v_cndmask_b32_e64 v22, v20, v22, s[4:5]
	v_cndmask_b32_e64 v23, v21, v23, s[4:5]
	v_cmp_lt_u32_e64 s[4:5], 1, v27
	v_cndmask_b32_e64 v21, v21, v23, s[4:5]
	v_cndmask_b32_e64 v20, v20, v22, s[4:5]
	s_nop 0
	v_mov_b32_dpp v23, v21 row_shr:4 row_mask:0xf bank_mask:0xf
	v_mov_b32_dpp v22, v20 row_shr:4 row_mask:0xf bank_mask:0xf
	v_cmp_gt_i64_e64 s[4:5], v[22:23], v[20:21]
	v_cndmask_b32_e64 v22, v20, v22, s[4:5]
	v_cndmask_b32_e64 v23, v21, v23, s[4:5]
	v_cmp_lt_u32_e64 s[4:5], 3, v27
	;; [unrolled: 9-line block ×3, first 2 shown]
	v_cndmask_b32_e64 v21, v21, v23, s[4:5]
	v_cndmask_b32_e64 v20, v20, v22, s[4:5]
	s_nop 0
	v_mov_b32_dpp v23, v21 row_bcast:15 row_mask:0xf bank_mask:0xf
	v_mov_b32_dpp v22, v20 row_bcast:15 row_mask:0xf bank_mask:0xf
	v_cmp_gt_i64_e64 s[4:5], v[22:23], v[20:21]
	v_cndmask_b32_e64 v27, v21, v23, s[4:5]
	v_cndmask_b32_e64 v28, v20, v22, s[4:5]
	v_cmp_eq_u32_e64 s[4:5], 0, v29
	v_cndmask_b32_e64 v23, v27, v21, s[4:5]
	v_cndmask_b32_e64 v22, v28, v20, s[4:5]
	s_nop 0
	v_mov_b32_dpp v23, v23 row_bcast:31 row_mask:0xf bank_mask:0xf
	v_mov_b32_dpp v22, v22 row_bcast:31 row_mask:0xf bank_mask:0xf
	s_and_saveexec_b64 s[22:23], s[14:15]
; %bb.16:
	v_cndmask_b32_e64 v17, v27, v21, s[4:5]
	v_cndmask_b32_e64 v16, v28, v20, s[4:5]
	v_cmp_lt_u32_e64 s[14:15], 31, v26
	v_cmp_gt_i64_e64 s[4:5], v[22:23], v[16:17]
	s_and_b64 s[4:5], s[14:15], s[4:5]
	v_cndmask_b32_e64 v16, v16, v22, s[4:5]
	v_cndmask_b32_e64 v17, v17, v23, s[4:5]
; %bb.17:
	s_or_b64 exec, exec, s[22:23]
	v_add_u32_e32 v20, -1, v26
	v_and_b32_e32 v21, 64, v26
	v_cmp_lt_i32_e64 s[4:5], v20, v21
	v_cndmask_b32_e64 v20, v20, v26, s[4:5]
	v_lshlrev_b32_e32 v20, 2, v20
	ds_bpermute_b32 v16, v20, v16
	ds_bpermute_b32 v17, v20, v17
	; wave barrier
	s_waitcnt lgkmcnt(0)
	v_cmp_gt_i64_e64 s[4:5], v[16:17], v[14:15]
	v_cndmask_b32_e64 v14, v14, v16, s[4:5]
	v_cndmask_b32_e64 v15, v15, v17, s[4:5]
	v_cmp_eq_u32_e64 s[4:5], 0, v0
	v_cndmask_b32_e64 v15, v15, v19, s[4:5]
	v_cndmask_b32_e64 v14, v14, v18, s[4:5]
	ds_write_b64 v25, v[14:15]
	; wave barrier
	ds_read_b64 v[16:17], v25 offset:8
	s_waitcnt lgkmcnt(0)
	v_cmp_gt_i64_e64 s[4:5], v[14:15], v[16:17]
	v_cndmask_b32_e64 v15, v17, v15, s[4:5]
	v_cndmask_b32_e64 v14, v16, v14, s[4:5]
	ds_write_b64 v25, v[14:15] offset:8
.LBB2677_18:
	s_or_b64 exec, exec, s[18:19]
	v_cmp_ne_u32_e64 s[4:5], 0, v0
	v_pk_mov_b32 v[14:15], s[20:21], s[20:21] op_sel:[0,1]
	s_waitcnt lgkmcnt(0)
	s_barrier
	s_and_saveexec_b64 s[14:15], s[4:5]
	s_cbranch_execz .LBB2677_20
; %bb.19:
	v_add_u32_e32 v14, -1, v0
	v_lshrrev_b32_e32 v15, 5, v14
	v_add_lshl_u32 v14, v15, v14, 3
	ds_read_b64 v[14:15], v14
	v_mov_b32_e32 v16, s21
	s_waitcnt lgkmcnt(0)
	v_cmp_gt_i64_e64 s[4:5], s[20:21], v[14:15]
	v_cndmask_b32_e64 v15, v15, v16, s[4:5]
	v_mov_b32_e32 v16, s20
	v_cndmask_b32_e64 v14, v14, v16, s[4:5]
.LBB2677_20:
	s_or_b64 exec, exec, s[14:15]
	v_cmp_gt_i64_e64 s[4:5], v[14:15], v[10:11]
	v_cndmask_b32_e64 v11, v11, v15, s[4:5]
	v_cndmask_b32_e64 v10, v10, v14, s[4:5]
	v_cmp_gt_i64_e64 s[4:5], v[10:11], v[12:13]
	v_cndmask_b32_e64 v13, v13, v11, s[4:5]
	v_cndmask_b32_e64 v12, v12, v10, s[4:5]
	;; [unrolled: 3-line block ×6, first 2 shown]
	s_movk_i32 s4, 0xffd0
	v_mad_i32_i24 v0, v0, s4, v1
	s_barrier
	ds_write2_b64 v1, v[14:15], v[10:11] offset1:1
	ds_write2_b64 v1, v[12:13], v[6:7] offset0:2 offset1:3
	ds_write2_b64 v1, v[8:9], v[2:3] offset0:4 offset1:5
	ds_write_b64 v1, v[4:5] offset:48
	s_waitcnt lgkmcnt(0)
	s_barrier
	ds_read2st64_b64 v[8:11], v0 offset0:2 offset1:4
	ds_read2st64_b64 v[4:7], v0 offset0:6 offset1:8
	;; [unrolled: 1-line block ×3, first 2 shown]
	v_mov_b32_e32 v13, s17
	v_add_co_u32_e64 v12, s[4:5], s16, v24
	v_addc_co_u32_e64 v13, s[4:5], 0, v13, s[4:5]
	s_and_saveexec_b64 s[4:5], vcc
	s_cbranch_execnz .LBB2677_28
; %bb.21:
	s_or_b64 exec, exec, s[4:5]
	s_and_saveexec_b64 s[4:5], s[0:1]
	s_cbranch_execnz .LBB2677_29
.LBB2677_22:
	s_or_b64 exec, exec, s[4:5]
	s_and_saveexec_b64 s[0:1], s[2:3]
	s_cbranch_execnz .LBB2677_30
.LBB2677_23:
	s_or_b64 exec, exec, s[0:1]
	s_and_saveexec_b64 s[0:1], s[12:13]
	s_cbranch_execnz .LBB2677_31
.LBB2677_24:
	s_or_b64 exec, exec, s[0:1]
	s_and_saveexec_b64 s[0:1], s[6:7]
	s_cbranch_execnz .LBB2677_32
.LBB2677_25:
	s_or_b64 exec, exec, s[0:1]
	s_and_saveexec_b64 s[0:1], s[8:9]
	s_cbranch_execnz .LBB2677_33
.LBB2677_26:
	s_or_b64 exec, exec, s[0:1]
	s_and_saveexec_b64 s[0:1], s[10:11]
	s_cbranch_execnz .LBB2677_34
.LBB2677_27:
	s_endpgm
.LBB2677_28:
	ds_read_b64 v[14:15], v24
	s_waitcnt lgkmcnt(0)
	global_store_dwordx2 v[12:13], v[14:15], off
	s_or_b64 exec, exec, s[4:5]
	s_and_saveexec_b64 s[4:5], s[0:1]
	s_cbranch_execz .LBB2677_22
.LBB2677_29:
	s_waitcnt lgkmcnt(2)
	global_store_dwordx2 v[12:13], v[8:9], off offset:1024
	s_or_b64 exec, exec, s[4:5]
	s_and_saveexec_b64 s[0:1], s[2:3]
	s_cbranch_execz .LBB2677_23
.LBB2677_30:
	s_waitcnt lgkmcnt(2)
	global_store_dwordx2 v[12:13], v[10:11], off offset:2048
	s_or_b64 exec, exec, s[0:1]
	s_and_saveexec_b64 s[0:1], s[12:13]
	s_cbranch_execz .LBB2677_24
.LBB2677_31:
	s_waitcnt lgkmcnt(1)
	global_store_dwordx2 v[12:13], v[4:5], off offset:3072
	s_or_b64 exec, exec, s[0:1]
	s_and_saveexec_b64 s[0:1], s[6:7]
	s_cbranch_execz .LBB2677_25
.LBB2677_32:
	s_waitcnt lgkmcnt(1)
	v_add_co_u32_e32 v4, vcc, 0x1000, v12
	v_addc_co_u32_e32 v5, vcc, 0, v13, vcc
	global_store_dwordx2 v[4:5], v[6:7], off
	s_or_b64 exec, exec, s[0:1]
	s_and_saveexec_b64 s[0:1], s[8:9]
	s_cbranch_execz .LBB2677_26
.LBB2677_33:
	s_waitcnt lgkmcnt(1)
	v_add_co_u32_e32 v4, vcc, 0x1000, v12
	v_addc_co_u32_e32 v5, vcc, 0, v13, vcc
	s_waitcnt lgkmcnt(0)
	global_store_dwordx2 v[4:5], v[0:1], off offset:1024
	s_or_b64 exec, exec, s[0:1]
	s_and_saveexec_b64 s[0:1], s[10:11]
	s_cbranch_execz .LBB2677_27
.LBB2677_34:
	s_waitcnt lgkmcnt(0)
	v_add_co_u32_e32 v0, vcc, 0x1000, v12
	v_addc_co_u32_e32 v1, vcc, 0, v13, vcc
	global_store_dwordx2 v[0:1], v[2:3], off offset:2048
	s_endpgm
	.section	.rodata,"a",@progbits
	.p2align	6, 0x0
	.amdhsa_kernel _ZN7rocprim17ROCPRIM_400000_NS6detail17trampoline_kernelINS0_14default_configENS1_20scan_config_selectorIxEEZZNS1_9scan_implILNS1_25lookback_scan_determinismE0ELb1ELb1ES3_N6thrust23THRUST_200600_302600_NS6detail15normal_iteratorINS9_10device_ptrIxEEEESE_x11max_functorIxExEEDaPvRmT3_T4_T5_mT6_P12ihipStream_tbENKUlT_T0_E_clISt17integral_constantIbLb1EEST_IbLb0EEEEDaSP_SQ_EUlSP_E0_NS1_11comp_targetILNS1_3genE4ELNS1_11target_archE910ELNS1_3gpuE8ELNS1_3repE0EEENS1_30default_config_static_selectorELNS0_4arch9wavefront6targetE1EEEvT1_
		.amdhsa_group_segment_fixed_size 7168
		.amdhsa_private_segment_fixed_size 0
		.amdhsa_kernarg_size 40
		.amdhsa_user_sgpr_count 6
		.amdhsa_user_sgpr_private_segment_buffer 1
		.amdhsa_user_sgpr_dispatch_ptr 0
		.amdhsa_user_sgpr_queue_ptr 0
		.amdhsa_user_sgpr_kernarg_segment_ptr 1
		.amdhsa_user_sgpr_dispatch_id 0
		.amdhsa_user_sgpr_flat_scratch_init 0
		.amdhsa_user_sgpr_kernarg_preload_length 0
		.amdhsa_user_sgpr_kernarg_preload_offset 0
		.amdhsa_user_sgpr_private_segment_size 0
		.amdhsa_uses_dynamic_stack 0
		.amdhsa_system_sgpr_private_segment_wavefront_offset 0
		.amdhsa_system_sgpr_workgroup_id_x 1
		.amdhsa_system_sgpr_workgroup_id_y 0
		.amdhsa_system_sgpr_workgroup_id_z 0
		.amdhsa_system_sgpr_workgroup_info 0
		.amdhsa_system_vgpr_workitem_id 0
		.amdhsa_next_free_vgpr 30
		.amdhsa_next_free_sgpr 24
		.amdhsa_accum_offset 32
		.amdhsa_reserve_vcc 1
		.amdhsa_reserve_flat_scratch 0
		.amdhsa_float_round_mode_32 0
		.amdhsa_float_round_mode_16_64 0
		.amdhsa_float_denorm_mode_32 3
		.amdhsa_float_denorm_mode_16_64 3
		.amdhsa_dx10_clamp 1
		.amdhsa_ieee_mode 1
		.amdhsa_fp16_overflow 0
		.amdhsa_tg_split 0
		.amdhsa_exception_fp_ieee_invalid_op 0
		.amdhsa_exception_fp_denorm_src 0
		.amdhsa_exception_fp_ieee_div_zero 0
		.amdhsa_exception_fp_ieee_overflow 0
		.amdhsa_exception_fp_ieee_underflow 0
		.amdhsa_exception_fp_ieee_inexact 0
		.amdhsa_exception_int_div_zero 0
	.end_amdhsa_kernel
	.section	.text._ZN7rocprim17ROCPRIM_400000_NS6detail17trampoline_kernelINS0_14default_configENS1_20scan_config_selectorIxEEZZNS1_9scan_implILNS1_25lookback_scan_determinismE0ELb1ELb1ES3_N6thrust23THRUST_200600_302600_NS6detail15normal_iteratorINS9_10device_ptrIxEEEESE_x11max_functorIxExEEDaPvRmT3_T4_T5_mT6_P12ihipStream_tbENKUlT_T0_E_clISt17integral_constantIbLb1EEST_IbLb0EEEEDaSP_SQ_EUlSP_E0_NS1_11comp_targetILNS1_3genE4ELNS1_11target_archE910ELNS1_3gpuE8ELNS1_3repE0EEENS1_30default_config_static_selectorELNS0_4arch9wavefront6targetE1EEEvT1_,"axG",@progbits,_ZN7rocprim17ROCPRIM_400000_NS6detail17trampoline_kernelINS0_14default_configENS1_20scan_config_selectorIxEEZZNS1_9scan_implILNS1_25lookback_scan_determinismE0ELb1ELb1ES3_N6thrust23THRUST_200600_302600_NS6detail15normal_iteratorINS9_10device_ptrIxEEEESE_x11max_functorIxExEEDaPvRmT3_T4_T5_mT6_P12ihipStream_tbENKUlT_T0_E_clISt17integral_constantIbLb1EEST_IbLb0EEEEDaSP_SQ_EUlSP_E0_NS1_11comp_targetILNS1_3genE4ELNS1_11target_archE910ELNS1_3gpuE8ELNS1_3repE0EEENS1_30default_config_static_selectorELNS0_4arch9wavefront6targetE1EEEvT1_,comdat
.Lfunc_end2677:
	.size	_ZN7rocprim17ROCPRIM_400000_NS6detail17trampoline_kernelINS0_14default_configENS1_20scan_config_selectorIxEEZZNS1_9scan_implILNS1_25lookback_scan_determinismE0ELb1ELb1ES3_N6thrust23THRUST_200600_302600_NS6detail15normal_iteratorINS9_10device_ptrIxEEEESE_x11max_functorIxExEEDaPvRmT3_T4_T5_mT6_P12ihipStream_tbENKUlT_T0_E_clISt17integral_constantIbLb1EEST_IbLb0EEEEDaSP_SQ_EUlSP_E0_NS1_11comp_targetILNS1_3genE4ELNS1_11target_archE910ELNS1_3gpuE8ELNS1_3repE0EEENS1_30default_config_static_selectorELNS0_4arch9wavefront6targetE1EEEvT1_, .Lfunc_end2677-_ZN7rocprim17ROCPRIM_400000_NS6detail17trampoline_kernelINS0_14default_configENS1_20scan_config_selectorIxEEZZNS1_9scan_implILNS1_25lookback_scan_determinismE0ELb1ELb1ES3_N6thrust23THRUST_200600_302600_NS6detail15normal_iteratorINS9_10device_ptrIxEEEESE_x11max_functorIxExEEDaPvRmT3_T4_T5_mT6_P12ihipStream_tbENKUlT_T0_E_clISt17integral_constantIbLb1EEST_IbLb0EEEEDaSP_SQ_EUlSP_E0_NS1_11comp_targetILNS1_3genE4ELNS1_11target_archE910ELNS1_3gpuE8ELNS1_3repE0EEENS1_30default_config_static_selectorELNS0_4arch9wavefront6targetE1EEEvT1_
                                        ; -- End function
	.section	.AMDGPU.csdata,"",@progbits
; Kernel info:
; codeLenInByte = 1916
; NumSgprs: 28
; NumVgprs: 30
; NumAgprs: 0
; TotalNumVgprs: 30
; ScratchSize: 0
; MemoryBound: 0
; FloatMode: 240
; IeeeMode: 1
; LDSByteSize: 7168 bytes/workgroup (compile time only)
; SGPRBlocks: 3
; VGPRBlocks: 3
; NumSGPRsForWavesPerEU: 28
; NumVGPRsForWavesPerEU: 30
; AccumOffset: 32
; Occupancy: 5
; WaveLimiterHint : 0
; COMPUTE_PGM_RSRC2:SCRATCH_EN: 0
; COMPUTE_PGM_RSRC2:USER_SGPR: 6
; COMPUTE_PGM_RSRC2:TRAP_HANDLER: 0
; COMPUTE_PGM_RSRC2:TGID_X_EN: 1
; COMPUTE_PGM_RSRC2:TGID_Y_EN: 0
; COMPUTE_PGM_RSRC2:TGID_Z_EN: 0
; COMPUTE_PGM_RSRC2:TIDIG_COMP_CNT: 0
; COMPUTE_PGM_RSRC3_GFX90A:ACCUM_OFFSET: 7
; COMPUTE_PGM_RSRC3_GFX90A:TG_SPLIT: 0
	.section	.text._ZN7rocprim17ROCPRIM_400000_NS6detail17trampoline_kernelINS0_14default_configENS1_20scan_config_selectorIxEEZZNS1_9scan_implILNS1_25lookback_scan_determinismE0ELb1ELb1ES3_N6thrust23THRUST_200600_302600_NS6detail15normal_iteratorINS9_10device_ptrIxEEEESE_x11max_functorIxExEEDaPvRmT3_T4_T5_mT6_P12ihipStream_tbENKUlT_T0_E_clISt17integral_constantIbLb1EEST_IbLb0EEEEDaSP_SQ_EUlSP_E0_NS1_11comp_targetILNS1_3genE3ELNS1_11target_archE908ELNS1_3gpuE7ELNS1_3repE0EEENS1_30default_config_static_selectorELNS0_4arch9wavefront6targetE1EEEvT1_,"axG",@progbits,_ZN7rocprim17ROCPRIM_400000_NS6detail17trampoline_kernelINS0_14default_configENS1_20scan_config_selectorIxEEZZNS1_9scan_implILNS1_25lookback_scan_determinismE0ELb1ELb1ES3_N6thrust23THRUST_200600_302600_NS6detail15normal_iteratorINS9_10device_ptrIxEEEESE_x11max_functorIxExEEDaPvRmT3_T4_T5_mT6_P12ihipStream_tbENKUlT_T0_E_clISt17integral_constantIbLb1EEST_IbLb0EEEEDaSP_SQ_EUlSP_E0_NS1_11comp_targetILNS1_3genE3ELNS1_11target_archE908ELNS1_3gpuE7ELNS1_3repE0EEENS1_30default_config_static_selectorELNS0_4arch9wavefront6targetE1EEEvT1_,comdat
	.protected	_ZN7rocprim17ROCPRIM_400000_NS6detail17trampoline_kernelINS0_14default_configENS1_20scan_config_selectorIxEEZZNS1_9scan_implILNS1_25lookback_scan_determinismE0ELb1ELb1ES3_N6thrust23THRUST_200600_302600_NS6detail15normal_iteratorINS9_10device_ptrIxEEEESE_x11max_functorIxExEEDaPvRmT3_T4_T5_mT6_P12ihipStream_tbENKUlT_T0_E_clISt17integral_constantIbLb1EEST_IbLb0EEEEDaSP_SQ_EUlSP_E0_NS1_11comp_targetILNS1_3genE3ELNS1_11target_archE908ELNS1_3gpuE7ELNS1_3repE0EEENS1_30default_config_static_selectorELNS0_4arch9wavefront6targetE1EEEvT1_ ; -- Begin function _ZN7rocprim17ROCPRIM_400000_NS6detail17trampoline_kernelINS0_14default_configENS1_20scan_config_selectorIxEEZZNS1_9scan_implILNS1_25lookback_scan_determinismE0ELb1ELb1ES3_N6thrust23THRUST_200600_302600_NS6detail15normal_iteratorINS9_10device_ptrIxEEEESE_x11max_functorIxExEEDaPvRmT3_T4_T5_mT6_P12ihipStream_tbENKUlT_T0_E_clISt17integral_constantIbLb1EEST_IbLb0EEEEDaSP_SQ_EUlSP_E0_NS1_11comp_targetILNS1_3genE3ELNS1_11target_archE908ELNS1_3gpuE7ELNS1_3repE0EEENS1_30default_config_static_selectorELNS0_4arch9wavefront6targetE1EEEvT1_
	.globl	_ZN7rocprim17ROCPRIM_400000_NS6detail17trampoline_kernelINS0_14default_configENS1_20scan_config_selectorIxEEZZNS1_9scan_implILNS1_25lookback_scan_determinismE0ELb1ELb1ES3_N6thrust23THRUST_200600_302600_NS6detail15normal_iteratorINS9_10device_ptrIxEEEESE_x11max_functorIxExEEDaPvRmT3_T4_T5_mT6_P12ihipStream_tbENKUlT_T0_E_clISt17integral_constantIbLb1EEST_IbLb0EEEEDaSP_SQ_EUlSP_E0_NS1_11comp_targetILNS1_3genE3ELNS1_11target_archE908ELNS1_3gpuE7ELNS1_3repE0EEENS1_30default_config_static_selectorELNS0_4arch9wavefront6targetE1EEEvT1_
	.p2align	8
	.type	_ZN7rocprim17ROCPRIM_400000_NS6detail17trampoline_kernelINS0_14default_configENS1_20scan_config_selectorIxEEZZNS1_9scan_implILNS1_25lookback_scan_determinismE0ELb1ELb1ES3_N6thrust23THRUST_200600_302600_NS6detail15normal_iteratorINS9_10device_ptrIxEEEESE_x11max_functorIxExEEDaPvRmT3_T4_T5_mT6_P12ihipStream_tbENKUlT_T0_E_clISt17integral_constantIbLb1EEST_IbLb0EEEEDaSP_SQ_EUlSP_E0_NS1_11comp_targetILNS1_3genE3ELNS1_11target_archE908ELNS1_3gpuE7ELNS1_3repE0EEENS1_30default_config_static_selectorELNS0_4arch9wavefront6targetE1EEEvT1_,@function
_ZN7rocprim17ROCPRIM_400000_NS6detail17trampoline_kernelINS0_14default_configENS1_20scan_config_selectorIxEEZZNS1_9scan_implILNS1_25lookback_scan_determinismE0ELb1ELb1ES3_N6thrust23THRUST_200600_302600_NS6detail15normal_iteratorINS9_10device_ptrIxEEEESE_x11max_functorIxExEEDaPvRmT3_T4_T5_mT6_P12ihipStream_tbENKUlT_T0_E_clISt17integral_constantIbLb1EEST_IbLb0EEEEDaSP_SQ_EUlSP_E0_NS1_11comp_targetILNS1_3genE3ELNS1_11target_archE908ELNS1_3gpuE7ELNS1_3repE0EEENS1_30default_config_static_selectorELNS0_4arch9wavefront6targetE1EEEvT1_: ; @_ZN7rocprim17ROCPRIM_400000_NS6detail17trampoline_kernelINS0_14default_configENS1_20scan_config_selectorIxEEZZNS1_9scan_implILNS1_25lookback_scan_determinismE0ELb1ELb1ES3_N6thrust23THRUST_200600_302600_NS6detail15normal_iteratorINS9_10device_ptrIxEEEESE_x11max_functorIxExEEDaPvRmT3_T4_T5_mT6_P12ihipStream_tbENKUlT_T0_E_clISt17integral_constantIbLb1EEST_IbLb0EEEEDaSP_SQ_EUlSP_E0_NS1_11comp_targetILNS1_3genE3ELNS1_11target_archE908ELNS1_3gpuE7ELNS1_3repE0EEENS1_30default_config_static_selectorELNS0_4arch9wavefront6targetE1EEEvT1_
; %bb.0:
	.section	.rodata,"a",@progbits
	.p2align	6, 0x0
	.amdhsa_kernel _ZN7rocprim17ROCPRIM_400000_NS6detail17trampoline_kernelINS0_14default_configENS1_20scan_config_selectorIxEEZZNS1_9scan_implILNS1_25lookback_scan_determinismE0ELb1ELb1ES3_N6thrust23THRUST_200600_302600_NS6detail15normal_iteratorINS9_10device_ptrIxEEEESE_x11max_functorIxExEEDaPvRmT3_T4_T5_mT6_P12ihipStream_tbENKUlT_T0_E_clISt17integral_constantIbLb1EEST_IbLb0EEEEDaSP_SQ_EUlSP_E0_NS1_11comp_targetILNS1_3genE3ELNS1_11target_archE908ELNS1_3gpuE7ELNS1_3repE0EEENS1_30default_config_static_selectorELNS0_4arch9wavefront6targetE1EEEvT1_
		.amdhsa_group_segment_fixed_size 0
		.amdhsa_private_segment_fixed_size 0
		.amdhsa_kernarg_size 40
		.amdhsa_user_sgpr_count 6
		.amdhsa_user_sgpr_private_segment_buffer 1
		.amdhsa_user_sgpr_dispatch_ptr 0
		.amdhsa_user_sgpr_queue_ptr 0
		.amdhsa_user_sgpr_kernarg_segment_ptr 1
		.amdhsa_user_sgpr_dispatch_id 0
		.amdhsa_user_sgpr_flat_scratch_init 0
		.amdhsa_user_sgpr_kernarg_preload_length 0
		.amdhsa_user_sgpr_kernarg_preload_offset 0
		.amdhsa_user_sgpr_private_segment_size 0
		.amdhsa_uses_dynamic_stack 0
		.amdhsa_system_sgpr_private_segment_wavefront_offset 0
		.amdhsa_system_sgpr_workgroup_id_x 1
		.amdhsa_system_sgpr_workgroup_id_y 0
		.amdhsa_system_sgpr_workgroup_id_z 0
		.amdhsa_system_sgpr_workgroup_info 0
		.amdhsa_system_vgpr_workitem_id 0
		.amdhsa_next_free_vgpr 1
		.amdhsa_next_free_sgpr 0
		.amdhsa_accum_offset 4
		.amdhsa_reserve_vcc 0
		.amdhsa_reserve_flat_scratch 0
		.amdhsa_float_round_mode_32 0
		.amdhsa_float_round_mode_16_64 0
		.amdhsa_float_denorm_mode_32 3
		.amdhsa_float_denorm_mode_16_64 3
		.amdhsa_dx10_clamp 1
		.amdhsa_ieee_mode 1
		.amdhsa_fp16_overflow 0
		.amdhsa_tg_split 0
		.amdhsa_exception_fp_ieee_invalid_op 0
		.amdhsa_exception_fp_denorm_src 0
		.amdhsa_exception_fp_ieee_div_zero 0
		.amdhsa_exception_fp_ieee_overflow 0
		.amdhsa_exception_fp_ieee_underflow 0
		.amdhsa_exception_fp_ieee_inexact 0
		.amdhsa_exception_int_div_zero 0
	.end_amdhsa_kernel
	.section	.text._ZN7rocprim17ROCPRIM_400000_NS6detail17trampoline_kernelINS0_14default_configENS1_20scan_config_selectorIxEEZZNS1_9scan_implILNS1_25lookback_scan_determinismE0ELb1ELb1ES3_N6thrust23THRUST_200600_302600_NS6detail15normal_iteratorINS9_10device_ptrIxEEEESE_x11max_functorIxExEEDaPvRmT3_T4_T5_mT6_P12ihipStream_tbENKUlT_T0_E_clISt17integral_constantIbLb1EEST_IbLb0EEEEDaSP_SQ_EUlSP_E0_NS1_11comp_targetILNS1_3genE3ELNS1_11target_archE908ELNS1_3gpuE7ELNS1_3repE0EEENS1_30default_config_static_selectorELNS0_4arch9wavefront6targetE1EEEvT1_,"axG",@progbits,_ZN7rocprim17ROCPRIM_400000_NS6detail17trampoline_kernelINS0_14default_configENS1_20scan_config_selectorIxEEZZNS1_9scan_implILNS1_25lookback_scan_determinismE0ELb1ELb1ES3_N6thrust23THRUST_200600_302600_NS6detail15normal_iteratorINS9_10device_ptrIxEEEESE_x11max_functorIxExEEDaPvRmT3_T4_T5_mT6_P12ihipStream_tbENKUlT_T0_E_clISt17integral_constantIbLb1EEST_IbLb0EEEEDaSP_SQ_EUlSP_E0_NS1_11comp_targetILNS1_3genE3ELNS1_11target_archE908ELNS1_3gpuE7ELNS1_3repE0EEENS1_30default_config_static_selectorELNS0_4arch9wavefront6targetE1EEEvT1_,comdat
.Lfunc_end2678:
	.size	_ZN7rocprim17ROCPRIM_400000_NS6detail17trampoline_kernelINS0_14default_configENS1_20scan_config_selectorIxEEZZNS1_9scan_implILNS1_25lookback_scan_determinismE0ELb1ELb1ES3_N6thrust23THRUST_200600_302600_NS6detail15normal_iteratorINS9_10device_ptrIxEEEESE_x11max_functorIxExEEDaPvRmT3_T4_T5_mT6_P12ihipStream_tbENKUlT_T0_E_clISt17integral_constantIbLb1EEST_IbLb0EEEEDaSP_SQ_EUlSP_E0_NS1_11comp_targetILNS1_3genE3ELNS1_11target_archE908ELNS1_3gpuE7ELNS1_3repE0EEENS1_30default_config_static_selectorELNS0_4arch9wavefront6targetE1EEEvT1_, .Lfunc_end2678-_ZN7rocprim17ROCPRIM_400000_NS6detail17trampoline_kernelINS0_14default_configENS1_20scan_config_selectorIxEEZZNS1_9scan_implILNS1_25lookback_scan_determinismE0ELb1ELb1ES3_N6thrust23THRUST_200600_302600_NS6detail15normal_iteratorINS9_10device_ptrIxEEEESE_x11max_functorIxExEEDaPvRmT3_T4_T5_mT6_P12ihipStream_tbENKUlT_T0_E_clISt17integral_constantIbLb1EEST_IbLb0EEEEDaSP_SQ_EUlSP_E0_NS1_11comp_targetILNS1_3genE3ELNS1_11target_archE908ELNS1_3gpuE7ELNS1_3repE0EEENS1_30default_config_static_selectorELNS0_4arch9wavefront6targetE1EEEvT1_
                                        ; -- End function
	.section	.AMDGPU.csdata,"",@progbits
; Kernel info:
; codeLenInByte = 0
; NumSgprs: 4
; NumVgprs: 0
; NumAgprs: 0
; TotalNumVgprs: 0
; ScratchSize: 0
; MemoryBound: 0
; FloatMode: 240
; IeeeMode: 1
; LDSByteSize: 0 bytes/workgroup (compile time only)
; SGPRBlocks: 0
; VGPRBlocks: 0
; NumSGPRsForWavesPerEU: 4
; NumVGPRsForWavesPerEU: 1
; AccumOffset: 4
; Occupancy: 8
; WaveLimiterHint : 0
; COMPUTE_PGM_RSRC2:SCRATCH_EN: 0
; COMPUTE_PGM_RSRC2:USER_SGPR: 6
; COMPUTE_PGM_RSRC2:TRAP_HANDLER: 0
; COMPUTE_PGM_RSRC2:TGID_X_EN: 1
; COMPUTE_PGM_RSRC2:TGID_Y_EN: 0
; COMPUTE_PGM_RSRC2:TGID_Z_EN: 0
; COMPUTE_PGM_RSRC2:TIDIG_COMP_CNT: 0
; COMPUTE_PGM_RSRC3_GFX90A:ACCUM_OFFSET: 0
; COMPUTE_PGM_RSRC3_GFX90A:TG_SPLIT: 0
	.section	.text._ZN7rocprim17ROCPRIM_400000_NS6detail17trampoline_kernelINS0_14default_configENS1_20scan_config_selectorIxEEZZNS1_9scan_implILNS1_25lookback_scan_determinismE0ELb1ELb1ES3_N6thrust23THRUST_200600_302600_NS6detail15normal_iteratorINS9_10device_ptrIxEEEESE_x11max_functorIxExEEDaPvRmT3_T4_T5_mT6_P12ihipStream_tbENKUlT_T0_E_clISt17integral_constantIbLb1EEST_IbLb0EEEEDaSP_SQ_EUlSP_E0_NS1_11comp_targetILNS1_3genE2ELNS1_11target_archE906ELNS1_3gpuE6ELNS1_3repE0EEENS1_30default_config_static_selectorELNS0_4arch9wavefront6targetE1EEEvT1_,"axG",@progbits,_ZN7rocprim17ROCPRIM_400000_NS6detail17trampoline_kernelINS0_14default_configENS1_20scan_config_selectorIxEEZZNS1_9scan_implILNS1_25lookback_scan_determinismE0ELb1ELb1ES3_N6thrust23THRUST_200600_302600_NS6detail15normal_iteratorINS9_10device_ptrIxEEEESE_x11max_functorIxExEEDaPvRmT3_T4_T5_mT6_P12ihipStream_tbENKUlT_T0_E_clISt17integral_constantIbLb1EEST_IbLb0EEEEDaSP_SQ_EUlSP_E0_NS1_11comp_targetILNS1_3genE2ELNS1_11target_archE906ELNS1_3gpuE6ELNS1_3repE0EEENS1_30default_config_static_selectorELNS0_4arch9wavefront6targetE1EEEvT1_,comdat
	.protected	_ZN7rocprim17ROCPRIM_400000_NS6detail17trampoline_kernelINS0_14default_configENS1_20scan_config_selectorIxEEZZNS1_9scan_implILNS1_25lookback_scan_determinismE0ELb1ELb1ES3_N6thrust23THRUST_200600_302600_NS6detail15normal_iteratorINS9_10device_ptrIxEEEESE_x11max_functorIxExEEDaPvRmT3_T4_T5_mT6_P12ihipStream_tbENKUlT_T0_E_clISt17integral_constantIbLb1EEST_IbLb0EEEEDaSP_SQ_EUlSP_E0_NS1_11comp_targetILNS1_3genE2ELNS1_11target_archE906ELNS1_3gpuE6ELNS1_3repE0EEENS1_30default_config_static_selectorELNS0_4arch9wavefront6targetE1EEEvT1_ ; -- Begin function _ZN7rocprim17ROCPRIM_400000_NS6detail17trampoline_kernelINS0_14default_configENS1_20scan_config_selectorIxEEZZNS1_9scan_implILNS1_25lookback_scan_determinismE0ELb1ELb1ES3_N6thrust23THRUST_200600_302600_NS6detail15normal_iteratorINS9_10device_ptrIxEEEESE_x11max_functorIxExEEDaPvRmT3_T4_T5_mT6_P12ihipStream_tbENKUlT_T0_E_clISt17integral_constantIbLb1EEST_IbLb0EEEEDaSP_SQ_EUlSP_E0_NS1_11comp_targetILNS1_3genE2ELNS1_11target_archE906ELNS1_3gpuE6ELNS1_3repE0EEENS1_30default_config_static_selectorELNS0_4arch9wavefront6targetE1EEEvT1_
	.globl	_ZN7rocprim17ROCPRIM_400000_NS6detail17trampoline_kernelINS0_14default_configENS1_20scan_config_selectorIxEEZZNS1_9scan_implILNS1_25lookback_scan_determinismE0ELb1ELb1ES3_N6thrust23THRUST_200600_302600_NS6detail15normal_iteratorINS9_10device_ptrIxEEEESE_x11max_functorIxExEEDaPvRmT3_T4_T5_mT6_P12ihipStream_tbENKUlT_T0_E_clISt17integral_constantIbLb1EEST_IbLb0EEEEDaSP_SQ_EUlSP_E0_NS1_11comp_targetILNS1_3genE2ELNS1_11target_archE906ELNS1_3gpuE6ELNS1_3repE0EEENS1_30default_config_static_selectorELNS0_4arch9wavefront6targetE1EEEvT1_
	.p2align	8
	.type	_ZN7rocprim17ROCPRIM_400000_NS6detail17trampoline_kernelINS0_14default_configENS1_20scan_config_selectorIxEEZZNS1_9scan_implILNS1_25lookback_scan_determinismE0ELb1ELb1ES3_N6thrust23THRUST_200600_302600_NS6detail15normal_iteratorINS9_10device_ptrIxEEEESE_x11max_functorIxExEEDaPvRmT3_T4_T5_mT6_P12ihipStream_tbENKUlT_T0_E_clISt17integral_constantIbLb1EEST_IbLb0EEEEDaSP_SQ_EUlSP_E0_NS1_11comp_targetILNS1_3genE2ELNS1_11target_archE906ELNS1_3gpuE6ELNS1_3repE0EEENS1_30default_config_static_selectorELNS0_4arch9wavefront6targetE1EEEvT1_,@function
_ZN7rocprim17ROCPRIM_400000_NS6detail17trampoline_kernelINS0_14default_configENS1_20scan_config_selectorIxEEZZNS1_9scan_implILNS1_25lookback_scan_determinismE0ELb1ELb1ES3_N6thrust23THRUST_200600_302600_NS6detail15normal_iteratorINS9_10device_ptrIxEEEESE_x11max_functorIxExEEDaPvRmT3_T4_T5_mT6_P12ihipStream_tbENKUlT_T0_E_clISt17integral_constantIbLb1EEST_IbLb0EEEEDaSP_SQ_EUlSP_E0_NS1_11comp_targetILNS1_3genE2ELNS1_11target_archE906ELNS1_3gpuE6ELNS1_3repE0EEENS1_30default_config_static_selectorELNS0_4arch9wavefront6targetE1EEEvT1_: ; @_ZN7rocprim17ROCPRIM_400000_NS6detail17trampoline_kernelINS0_14default_configENS1_20scan_config_selectorIxEEZZNS1_9scan_implILNS1_25lookback_scan_determinismE0ELb1ELb1ES3_N6thrust23THRUST_200600_302600_NS6detail15normal_iteratorINS9_10device_ptrIxEEEESE_x11max_functorIxExEEDaPvRmT3_T4_T5_mT6_P12ihipStream_tbENKUlT_T0_E_clISt17integral_constantIbLb1EEST_IbLb0EEEEDaSP_SQ_EUlSP_E0_NS1_11comp_targetILNS1_3genE2ELNS1_11target_archE906ELNS1_3gpuE6ELNS1_3repE0EEENS1_30default_config_static_selectorELNS0_4arch9wavefront6targetE1EEEvT1_
; %bb.0:
	.section	.rodata,"a",@progbits
	.p2align	6, 0x0
	.amdhsa_kernel _ZN7rocprim17ROCPRIM_400000_NS6detail17trampoline_kernelINS0_14default_configENS1_20scan_config_selectorIxEEZZNS1_9scan_implILNS1_25lookback_scan_determinismE0ELb1ELb1ES3_N6thrust23THRUST_200600_302600_NS6detail15normal_iteratorINS9_10device_ptrIxEEEESE_x11max_functorIxExEEDaPvRmT3_T4_T5_mT6_P12ihipStream_tbENKUlT_T0_E_clISt17integral_constantIbLb1EEST_IbLb0EEEEDaSP_SQ_EUlSP_E0_NS1_11comp_targetILNS1_3genE2ELNS1_11target_archE906ELNS1_3gpuE6ELNS1_3repE0EEENS1_30default_config_static_selectorELNS0_4arch9wavefront6targetE1EEEvT1_
		.amdhsa_group_segment_fixed_size 0
		.amdhsa_private_segment_fixed_size 0
		.amdhsa_kernarg_size 40
		.amdhsa_user_sgpr_count 6
		.amdhsa_user_sgpr_private_segment_buffer 1
		.amdhsa_user_sgpr_dispatch_ptr 0
		.amdhsa_user_sgpr_queue_ptr 0
		.amdhsa_user_sgpr_kernarg_segment_ptr 1
		.amdhsa_user_sgpr_dispatch_id 0
		.amdhsa_user_sgpr_flat_scratch_init 0
		.amdhsa_user_sgpr_kernarg_preload_length 0
		.amdhsa_user_sgpr_kernarg_preload_offset 0
		.amdhsa_user_sgpr_private_segment_size 0
		.amdhsa_uses_dynamic_stack 0
		.amdhsa_system_sgpr_private_segment_wavefront_offset 0
		.amdhsa_system_sgpr_workgroup_id_x 1
		.amdhsa_system_sgpr_workgroup_id_y 0
		.amdhsa_system_sgpr_workgroup_id_z 0
		.amdhsa_system_sgpr_workgroup_info 0
		.amdhsa_system_vgpr_workitem_id 0
		.amdhsa_next_free_vgpr 1
		.amdhsa_next_free_sgpr 0
		.amdhsa_accum_offset 4
		.amdhsa_reserve_vcc 0
		.amdhsa_reserve_flat_scratch 0
		.amdhsa_float_round_mode_32 0
		.amdhsa_float_round_mode_16_64 0
		.amdhsa_float_denorm_mode_32 3
		.amdhsa_float_denorm_mode_16_64 3
		.amdhsa_dx10_clamp 1
		.amdhsa_ieee_mode 1
		.amdhsa_fp16_overflow 0
		.amdhsa_tg_split 0
		.amdhsa_exception_fp_ieee_invalid_op 0
		.amdhsa_exception_fp_denorm_src 0
		.amdhsa_exception_fp_ieee_div_zero 0
		.amdhsa_exception_fp_ieee_overflow 0
		.amdhsa_exception_fp_ieee_underflow 0
		.amdhsa_exception_fp_ieee_inexact 0
		.amdhsa_exception_int_div_zero 0
	.end_amdhsa_kernel
	.section	.text._ZN7rocprim17ROCPRIM_400000_NS6detail17trampoline_kernelINS0_14default_configENS1_20scan_config_selectorIxEEZZNS1_9scan_implILNS1_25lookback_scan_determinismE0ELb1ELb1ES3_N6thrust23THRUST_200600_302600_NS6detail15normal_iteratorINS9_10device_ptrIxEEEESE_x11max_functorIxExEEDaPvRmT3_T4_T5_mT6_P12ihipStream_tbENKUlT_T0_E_clISt17integral_constantIbLb1EEST_IbLb0EEEEDaSP_SQ_EUlSP_E0_NS1_11comp_targetILNS1_3genE2ELNS1_11target_archE906ELNS1_3gpuE6ELNS1_3repE0EEENS1_30default_config_static_selectorELNS0_4arch9wavefront6targetE1EEEvT1_,"axG",@progbits,_ZN7rocprim17ROCPRIM_400000_NS6detail17trampoline_kernelINS0_14default_configENS1_20scan_config_selectorIxEEZZNS1_9scan_implILNS1_25lookback_scan_determinismE0ELb1ELb1ES3_N6thrust23THRUST_200600_302600_NS6detail15normal_iteratorINS9_10device_ptrIxEEEESE_x11max_functorIxExEEDaPvRmT3_T4_T5_mT6_P12ihipStream_tbENKUlT_T0_E_clISt17integral_constantIbLb1EEST_IbLb0EEEEDaSP_SQ_EUlSP_E0_NS1_11comp_targetILNS1_3genE2ELNS1_11target_archE906ELNS1_3gpuE6ELNS1_3repE0EEENS1_30default_config_static_selectorELNS0_4arch9wavefront6targetE1EEEvT1_,comdat
.Lfunc_end2679:
	.size	_ZN7rocprim17ROCPRIM_400000_NS6detail17trampoline_kernelINS0_14default_configENS1_20scan_config_selectorIxEEZZNS1_9scan_implILNS1_25lookback_scan_determinismE0ELb1ELb1ES3_N6thrust23THRUST_200600_302600_NS6detail15normal_iteratorINS9_10device_ptrIxEEEESE_x11max_functorIxExEEDaPvRmT3_T4_T5_mT6_P12ihipStream_tbENKUlT_T0_E_clISt17integral_constantIbLb1EEST_IbLb0EEEEDaSP_SQ_EUlSP_E0_NS1_11comp_targetILNS1_3genE2ELNS1_11target_archE906ELNS1_3gpuE6ELNS1_3repE0EEENS1_30default_config_static_selectorELNS0_4arch9wavefront6targetE1EEEvT1_, .Lfunc_end2679-_ZN7rocprim17ROCPRIM_400000_NS6detail17trampoline_kernelINS0_14default_configENS1_20scan_config_selectorIxEEZZNS1_9scan_implILNS1_25lookback_scan_determinismE0ELb1ELb1ES3_N6thrust23THRUST_200600_302600_NS6detail15normal_iteratorINS9_10device_ptrIxEEEESE_x11max_functorIxExEEDaPvRmT3_T4_T5_mT6_P12ihipStream_tbENKUlT_T0_E_clISt17integral_constantIbLb1EEST_IbLb0EEEEDaSP_SQ_EUlSP_E0_NS1_11comp_targetILNS1_3genE2ELNS1_11target_archE906ELNS1_3gpuE6ELNS1_3repE0EEENS1_30default_config_static_selectorELNS0_4arch9wavefront6targetE1EEEvT1_
                                        ; -- End function
	.section	.AMDGPU.csdata,"",@progbits
; Kernel info:
; codeLenInByte = 0
; NumSgprs: 4
; NumVgprs: 0
; NumAgprs: 0
; TotalNumVgprs: 0
; ScratchSize: 0
; MemoryBound: 0
; FloatMode: 240
; IeeeMode: 1
; LDSByteSize: 0 bytes/workgroup (compile time only)
; SGPRBlocks: 0
; VGPRBlocks: 0
; NumSGPRsForWavesPerEU: 4
; NumVGPRsForWavesPerEU: 1
; AccumOffset: 4
; Occupancy: 8
; WaveLimiterHint : 0
; COMPUTE_PGM_RSRC2:SCRATCH_EN: 0
; COMPUTE_PGM_RSRC2:USER_SGPR: 6
; COMPUTE_PGM_RSRC2:TRAP_HANDLER: 0
; COMPUTE_PGM_RSRC2:TGID_X_EN: 1
; COMPUTE_PGM_RSRC2:TGID_Y_EN: 0
; COMPUTE_PGM_RSRC2:TGID_Z_EN: 0
; COMPUTE_PGM_RSRC2:TIDIG_COMP_CNT: 0
; COMPUTE_PGM_RSRC3_GFX90A:ACCUM_OFFSET: 0
; COMPUTE_PGM_RSRC3_GFX90A:TG_SPLIT: 0
	.section	.text._ZN7rocprim17ROCPRIM_400000_NS6detail17trampoline_kernelINS0_14default_configENS1_20scan_config_selectorIxEEZZNS1_9scan_implILNS1_25lookback_scan_determinismE0ELb1ELb1ES3_N6thrust23THRUST_200600_302600_NS6detail15normal_iteratorINS9_10device_ptrIxEEEESE_x11max_functorIxExEEDaPvRmT3_T4_T5_mT6_P12ihipStream_tbENKUlT_T0_E_clISt17integral_constantIbLb1EEST_IbLb0EEEEDaSP_SQ_EUlSP_E0_NS1_11comp_targetILNS1_3genE10ELNS1_11target_archE1201ELNS1_3gpuE5ELNS1_3repE0EEENS1_30default_config_static_selectorELNS0_4arch9wavefront6targetE1EEEvT1_,"axG",@progbits,_ZN7rocprim17ROCPRIM_400000_NS6detail17trampoline_kernelINS0_14default_configENS1_20scan_config_selectorIxEEZZNS1_9scan_implILNS1_25lookback_scan_determinismE0ELb1ELb1ES3_N6thrust23THRUST_200600_302600_NS6detail15normal_iteratorINS9_10device_ptrIxEEEESE_x11max_functorIxExEEDaPvRmT3_T4_T5_mT6_P12ihipStream_tbENKUlT_T0_E_clISt17integral_constantIbLb1EEST_IbLb0EEEEDaSP_SQ_EUlSP_E0_NS1_11comp_targetILNS1_3genE10ELNS1_11target_archE1201ELNS1_3gpuE5ELNS1_3repE0EEENS1_30default_config_static_selectorELNS0_4arch9wavefront6targetE1EEEvT1_,comdat
	.protected	_ZN7rocprim17ROCPRIM_400000_NS6detail17trampoline_kernelINS0_14default_configENS1_20scan_config_selectorIxEEZZNS1_9scan_implILNS1_25lookback_scan_determinismE0ELb1ELb1ES3_N6thrust23THRUST_200600_302600_NS6detail15normal_iteratorINS9_10device_ptrIxEEEESE_x11max_functorIxExEEDaPvRmT3_T4_T5_mT6_P12ihipStream_tbENKUlT_T0_E_clISt17integral_constantIbLb1EEST_IbLb0EEEEDaSP_SQ_EUlSP_E0_NS1_11comp_targetILNS1_3genE10ELNS1_11target_archE1201ELNS1_3gpuE5ELNS1_3repE0EEENS1_30default_config_static_selectorELNS0_4arch9wavefront6targetE1EEEvT1_ ; -- Begin function _ZN7rocprim17ROCPRIM_400000_NS6detail17trampoline_kernelINS0_14default_configENS1_20scan_config_selectorIxEEZZNS1_9scan_implILNS1_25lookback_scan_determinismE0ELb1ELb1ES3_N6thrust23THRUST_200600_302600_NS6detail15normal_iteratorINS9_10device_ptrIxEEEESE_x11max_functorIxExEEDaPvRmT3_T4_T5_mT6_P12ihipStream_tbENKUlT_T0_E_clISt17integral_constantIbLb1EEST_IbLb0EEEEDaSP_SQ_EUlSP_E0_NS1_11comp_targetILNS1_3genE10ELNS1_11target_archE1201ELNS1_3gpuE5ELNS1_3repE0EEENS1_30default_config_static_selectorELNS0_4arch9wavefront6targetE1EEEvT1_
	.globl	_ZN7rocprim17ROCPRIM_400000_NS6detail17trampoline_kernelINS0_14default_configENS1_20scan_config_selectorIxEEZZNS1_9scan_implILNS1_25lookback_scan_determinismE0ELb1ELb1ES3_N6thrust23THRUST_200600_302600_NS6detail15normal_iteratorINS9_10device_ptrIxEEEESE_x11max_functorIxExEEDaPvRmT3_T4_T5_mT6_P12ihipStream_tbENKUlT_T0_E_clISt17integral_constantIbLb1EEST_IbLb0EEEEDaSP_SQ_EUlSP_E0_NS1_11comp_targetILNS1_3genE10ELNS1_11target_archE1201ELNS1_3gpuE5ELNS1_3repE0EEENS1_30default_config_static_selectorELNS0_4arch9wavefront6targetE1EEEvT1_
	.p2align	8
	.type	_ZN7rocprim17ROCPRIM_400000_NS6detail17trampoline_kernelINS0_14default_configENS1_20scan_config_selectorIxEEZZNS1_9scan_implILNS1_25lookback_scan_determinismE0ELb1ELb1ES3_N6thrust23THRUST_200600_302600_NS6detail15normal_iteratorINS9_10device_ptrIxEEEESE_x11max_functorIxExEEDaPvRmT3_T4_T5_mT6_P12ihipStream_tbENKUlT_T0_E_clISt17integral_constantIbLb1EEST_IbLb0EEEEDaSP_SQ_EUlSP_E0_NS1_11comp_targetILNS1_3genE10ELNS1_11target_archE1201ELNS1_3gpuE5ELNS1_3repE0EEENS1_30default_config_static_selectorELNS0_4arch9wavefront6targetE1EEEvT1_,@function
_ZN7rocprim17ROCPRIM_400000_NS6detail17trampoline_kernelINS0_14default_configENS1_20scan_config_selectorIxEEZZNS1_9scan_implILNS1_25lookback_scan_determinismE0ELb1ELb1ES3_N6thrust23THRUST_200600_302600_NS6detail15normal_iteratorINS9_10device_ptrIxEEEESE_x11max_functorIxExEEDaPvRmT3_T4_T5_mT6_P12ihipStream_tbENKUlT_T0_E_clISt17integral_constantIbLb1EEST_IbLb0EEEEDaSP_SQ_EUlSP_E0_NS1_11comp_targetILNS1_3genE10ELNS1_11target_archE1201ELNS1_3gpuE5ELNS1_3repE0EEENS1_30default_config_static_selectorELNS0_4arch9wavefront6targetE1EEEvT1_: ; @_ZN7rocprim17ROCPRIM_400000_NS6detail17trampoline_kernelINS0_14default_configENS1_20scan_config_selectorIxEEZZNS1_9scan_implILNS1_25lookback_scan_determinismE0ELb1ELb1ES3_N6thrust23THRUST_200600_302600_NS6detail15normal_iteratorINS9_10device_ptrIxEEEESE_x11max_functorIxExEEDaPvRmT3_T4_T5_mT6_P12ihipStream_tbENKUlT_T0_E_clISt17integral_constantIbLb1EEST_IbLb0EEEEDaSP_SQ_EUlSP_E0_NS1_11comp_targetILNS1_3genE10ELNS1_11target_archE1201ELNS1_3gpuE5ELNS1_3repE0EEENS1_30default_config_static_selectorELNS0_4arch9wavefront6targetE1EEEvT1_
; %bb.0:
	.section	.rodata,"a",@progbits
	.p2align	6, 0x0
	.amdhsa_kernel _ZN7rocprim17ROCPRIM_400000_NS6detail17trampoline_kernelINS0_14default_configENS1_20scan_config_selectorIxEEZZNS1_9scan_implILNS1_25lookback_scan_determinismE0ELb1ELb1ES3_N6thrust23THRUST_200600_302600_NS6detail15normal_iteratorINS9_10device_ptrIxEEEESE_x11max_functorIxExEEDaPvRmT3_T4_T5_mT6_P12ihipStream_tbENKUlT_T0_E_clISt17integral_constantIbLb1EEST_IbLb0EEEEDaSP_SQ_EUlSP_E0_NS1_11comp_targetILNS1_3genE10ELNS1_11target_archE1201ELNS1_3gpuE5ELNS1_3repE0EEENS1_30default_config_static_selectorELNS0_4arch9wavefront6targetE1EEEvT1_
		.amdhsa_group_segment_fixed_size 0
		.amdhsa_private_segment_fixed_size 0
		.amdhsa_kernarg_size 40
		.amdhsa_user_sgpr_count 6
		.amdhsa_user_sgpr_private_segment_buffer 1
		.amdhsa_user_sgpr_dispatch_ptr 0
		.amdhsa_user_sgpr_queue_ptr 0
		.amdhsa_user_sgpr_kernarg_segment_ptr 1
		.amdhsa_user_sgpr_dispatch_id 0
		.amdhsa_user_sgpr_flat_scratch_init 0
		.amdhsa_user_sgpr_kernarg_preload_length 0
		.amdhsa_user_sgpr_kernarg_preload_offset 0
		.amdhsa_user_sgpr_private_segment_size 0
		.amdhsa_uses_dynamic_stack 0
		.amdhsa_system_sgpr_private_segment_wavefront_offset 0
		.amdhsa_system_sgpr_workgroup_id_x 1
		.amdhsa_system_sgpr_workgroup_id_y 0
		.amdhsa_system_sgpr_workgroup_id_z 0
		.amdhsa_system_sgpr_workgroup_info 0
		.amdhsa_system_vgpr_workitem_id 0
		.amdhsa_next_free_vgpr 1
		.amdhsa_next_free_sgpr 0
		.amdhsa_accum_offset 4
		.amdhsa_reserve_vcc 0
		.amdhsa_reserve_flat_scratch 0
		.amdhsa_float_round_mode_32 0
		.amdhsa_float_round_mode_16_64 0
		.amdhsa_float_denorm_mode_32 3
		.amdhsa_float_denorm_mode_16_64 3
		.amdhsa_dx10_clamp 1
		.amdhsa_ieee_mode 1
		.amdhsa_fp16_overflow 0
		.amdhsa_tg_split 0
		.amdhsa_exception_fp_ieee_invalid_op 0
		.amdhsa_exception_fp_denorm_src 0
		.amdhsa_exception_fp_ieee_div_zero 0
		.amdhsa_exception_fp_ieee_overflow 0
		.amdhsa_exception_fp_ieee_underflow 0
		.amdhsa_exception_fp_ieee_inexact 0
		.amdhsa_exception_int_div_zero 0
	.end_amdhsa_kernel
	.section	.text._ZN7rocprim17ROCPRIM_400000_NS6detail17trampoline_kernelINS0_14default_configENS1_20scan_config_selectorIxEEZZNS1_9scan_implILNS1_25lookback_scan_determinismE0ELb1ELb1ES3_N6thrust23THRUST_200600_302600_NS6detail15normal_iteratorINS9_10device_ptrIxEEEESE_x11max_functorIxExEEDaPvRmT3_T4_T5_mT6_P12ihipStream_tbENKUlT_T0_E_clISt17integral_constantIbLb1EEST_IbLb0EEEEDaSP_SQ_EUlSP_E0_NS1_11comp_targetILNS1_3genE10ELNS1_11target_archE1201ELNS1_3gpuE5ELNS1_3repE0EEENS1_30default_config_static_selectorELNS0_4arch9wavefront6targetE1EEEvT1_,"axG",@progbits,_ZN7rocprim17ROCPRIM_400000_NS6detail17trampoline_kernelINS0_14default_configENS1_20scan_config_selectorIxEEZZNS1_9scan_implILNS1_25lookback_scan_determinismE0ELb1ELb1ES3_N6thrust23THRUST_200600_302600_NS6detail15normal_iteratorINS9_10device_ptrIxEEEESE_x11max_functorIxExEEDaPvRmT3_T4_T5_mT6_P12ihipStream_tbENKUlT_T0_E_clISt17integral_constantIbLb1EEST_IbLb0EEEEDaSP_SQ_EUlSP_E0_NS1_11comp_targetILNS1_3genE10ELNS1_11target_archE1201ELNS1_3gpuE5ELNS1_3repE0EEENS1_30default_config_static_selectorELNS0_4arch9wavefront6targetE1EEEvT1_,comdat
.Lfunc_end2680:
	.size	_ZN7rocprim17ROCPRIM_400000_NS6detail17trampoline_kernelINS0_14default_configENS1_20scan_config_selectorIxEEZZNS1_9scan_implILNS1_25lookback_scan_determinismE0ELb1ELb1ES3_N6thrust23THRUST_200600_302600_NS6detail15normal_iteratorINS9_10device_ptrIxEEEESE_x11max_functorIxExEEDaPvRmT3_T4_T5_mT6_P12ihipStream_tbENKUlT_T0_E_clISt17integral_constantIbLb1EEST_IbLb0EEEEDaSP_SQ_EUlSP_E0_NS1_11comp_targetILNS1_3genE10ELNS1_11target_archE1201ELNS1_3gpuE5ELNS1_3repE0EEENS1_30default_config_static_selectorELNS0_4arch9wavefront6targetE1EEEvT1_, .Lfunc_end2680-_ZN7rocprim17ROCPRIM_400000_NS6detail17trampoline_kernelINS0_14default_configENS1_20scan_config_selectorIxEEZZNS1_9scan_implILNS1_25lookback_scan_determinismE0ELb1ELb1ES3_N6thrust23THRUST_200600_302600_NS6detail15normal_iteratorINS9_10device_ptrIxEEEESE_x11max_functorIxExEEDaPvRmT3_T4_T5_mT6_P12ihipStream_tbENKUlT_T0_E_clISt17integral_constantIbLb1EEST_IbLb0EEEEDaSP_SQ_EUlSP_E0_NS1_11comp_targetILNS1_3genE10ELNS1_11target_archE1201ELNS1_3gpuE5ELNS1_3repE0EEENS1_30default_config_static_selectorELNS0_4arch9wavefront6targetE1EEEvT1_
                                        ; -- End function
	.section	.AMDGPU.csdata,"",@progbits
; Kernel info:
; codeLenInByte = 0
; NumSgprs: 4
; NumVgprs: 0
; NumAgprs: 0
; TotalNumVgprs: 0
; ScratchSize: 0
; MemoryBound: 0
; FloatMode: 240
; IeeeMode: 1
; LDSByteSize: 0 bytes/workgroup (compile time only)
; SGPRBlocks: 0
; VGPRBlocks: 0
; NumSGPRsForWavesPerEU: 4
; NumVGPRsForWavesPerEU: 1
; AccumOffset: 4
; Occupancy: 8
; WaveLimiterHint : 0
; COMPUTE_PGM_RSRC2:SCRATCH_EN: 0
; COMPUTE_PGM_RSRC2:USER_SGPR: 6
; COMPUTE_PGM_RSRC2:TRAP_HANDLER: 0
; COMPUTE_PGM_RSRC2:TGID_X_EN: 1
; COMPUTE_PGM_RSRC2:TGID_Y_EN: 0
; COMPUTE_PGM_RSRC2:TGID_Z_EN: 0
; COMPUTE_PGM_RSRC2:TIDIG_COMP_CNT: 0
; COMPUTE_PGM_RSRC3_GFX90A:ACCUM_OFFSET: 0
; COMPUTE_PGM_RSRC3_GFX90A:TG_SPLIT: 0
	.section	.text._ZN7rocprim17ROCPRIM_400000_NS6detail17trampoline_kernelINS0_14default_configENS1_20scan_config_selectorIxEEZZNS1_9scan_implILNS1_25lookback_scan_determinismE0ELb1ELb1ES3_N6thrust23THRUST_200600_302600_NS6detail15normal_iteratorINS9_10device_ptrIxEEEESE_x11max_functorIxExEEDaPvRmT3_T4_T5_mT6_P12ihipStream_tbENKUlT_T0_E_clISt17integral_constantIbLb1EEST_IbLb0EEEEDaSP_SQ_EUlSP_E0_NS1_11comp_targetILNS1_3genE10ELNS1_11target_archE1200ELNS1_3gpuE4ELNS1_3repE0EEENS1_30default_config_static_selectorELNS0_4arch9wavefront6targetE1EEEvT1_,"axG",@progbits,_ZN7rocprim17ROCPRIM_400000_NS6detail17trampoline_kernelINS0_14default_configENS1_20scan_config_selectorIxEEZZNS1_9scan_implILNS1_25lookback_scan_determinismE0ELb1ELb1ES3_N6thrust23THRUST_200600_302600_NS6detail15normal_iteratorINS9_10device_ptrIxEEEESE_x11max_functorIxExEEDaPvRmT3_T4_T5_mT6_P12ihipStream_tbENKUlT_T0_E_clISt17integral_constantIbLb1EEST_IbLb0EEEEDaSP_SQ_EUlSP_E0_NS1_11comp_targetILNS1_3genE10ELNS1_11target_archE1200ELNS1_3gpuE4ELNS1_3repE0EEENS1_30default_config_static_selectorELNS0_4arch9wavefront6targetE1EEEvT1_,comdat
	.protected	_ZN7rocprim17ROCPRIM_400000_NS6detail17trampoline_kernelINS0_14default_configENS1_20scan_config_selectorIxEEZZNS1_9scan_implILNS1_25lookback_scan_determinismE0ELb1ELb1ES3_N6thrust23THRUST_200600_302600_NS6detail15normal_iteratorINS9_10device_ptrIxEEEESE_x11max_functorIxExEEDaPvRmT3_T4_T5_mT6_P12ihipStream_tbENKUlT_T0_E_clISt17integral_constantIbLb1EEST_IbLb0EEEEDaSP_SQ_EUlSP_E0_NS1_11comp_targetILNS1_3genE10ELNS1_11target_archE1200ELNS1_3gpuE4ELNS1_3repE0EEENS1_30default_config_static_selectorELNS0_4arch9wavefront6targetE1EEEvT1_ ; -- Begin function _ZN7rocprim17ROCPRIM_400000_NS6detail17trampoline_kernelINS0_14default_configENS1_20scan_config_selectorIxEEZZNS1_9scan_implILNS1_25lookback_scan_determinismE0ELb1ELb1ES3_N6thrust23THRUST_200600_302600_NS6detail15normal_iteratorINS9_10device_ptrIxEEEESE_x11max_functorIxExEEDaPvRmT3_T4_T5_mT6_P12ihipStream_tbENKUlT_T0_E_clISt17integral_constantIbLb1EEST_IbLb0EEEEDaSP_SQ_EUlSP_E0_NS1_11comp_targetILNS1_3genE10ELNS1_11target_archE1200ELNS1_3gpuE4ELNS1_3repE0EEENS1_30default_config_static_selectorELNS0_4arch9wavefront6targetE1EEEvT1_
	.globl	_ZN7rocprim17ROCPRIM_400000_NS6detail17trampoline_kernelINS0_14default_configENS1_20scan_config_selectorIxEEZZNS1_9scan_implILNS1_25lookback_scan_determinismE0ELb1ELb1ES3_N6thrust23THRUST_200600_302600_NS6detail15normal_iteratorINS9_10device_ptrIxEEEESE_x11max_functorIxExEEDaPvRmT3_T4_T5_mT6_P12ihipStream_tbENKUlT_T0_E_clISt17integral_constantIbLb1EEST_IbLb0EEEEDaSP_SQ_EUlSP_E0_NS1_11comp_targetILNS1_3genE10ELNS1_11target_archE1200ELNS1_3gpuE4ELNS1_3repE0EEENS1_30default_config_static_selectorELNS0_4arch9wavefront6targetE1EEEvT1_
	.p2align	8
	.type	_ZN7rocprim17ROCPRIM_400000_NS6detail17trampoline_kernelINS0_14default_configENS1_20scan_config_selectorIxEEZZNS1_9scan_implILNS1_25lookback_scan_determinismE0ELb1ELb1ES3_N6thrust23THRUST_200600_302600_NS6detail15normal_iteratorINS9_10device_ptrIxEEEESE_x11max_functorIxExEEDaPvRmT3_T4_T5_mT6_P12ihipStream_tbENKUlT_T0_E_clISt17integral_constantIbLb1EEST_IbLb0EEEEDaSP_SQ_EUlSP_E0_NS1_11comp_targetILNS1_3genE10ELNS1_11target_archE1200ELNS1_3gpuE4ELNS1_3repE0EEENS1_30default_config_static_selectorELNS0_4arch9wavefront6targetE1EEEvT1_,@function
_ZN7rocprim17ROCPRIM_400000_NS6detail17trampoline_kernelINS0_14default_configENS1_20scan_config_selectorIxEEZZNS1_9scan_implILNS1_25lookback_scan_determinismE0ELb1ELb1ES3_N6thrust23THRUST_200600_302600_NS6detail15normal_iteratorINS9_10device_ptrIxEEEESE_x11max_functorIxExEEDaPvRmT3_T4_T5_mT6_P12ihipStream_tbENKUlT_T0_E_clISt17integral_constantIbLb1EEST_IbLb0EEEEDaSP_SQ_EUlSP_E0_NS1_11comp_targetILNS1_3genE10ELNS1_11target_archE1200ELNS1_3gpuE4ELNS1_3repE0EEENS1_30default_config_static_selectorELNS0_4arch9wavefront6targetE1EEEvT1_: ; @_ZN7rocprim17ROCPRIM_400000_NS6detail17trampoline_kernelINS0_14default_configENS1_20scan_config_selectorIxEEZZNS1_9scan_implILNS1_25lookback_scan_determinismE0ELb1ELb1ES3_N6thrust23THRUST_200600_302600_NS6detail15normal_iteratorINS9_10device_ptrIxEEEESE_x11max_functorIxExEEDaPvRmT3_T4_T5_mT6_P12ihipStream_tbENKUlT_T0_E_clISt17integral_constantIbLb1EEST_IbLb0EEEEDaSP_SQ_EUlSP_E0_NS1_11comp_targetILNS1_3genE10ELNS1_11target_archE1200ELNS1_3gpuE4ELNS1_3repE0EEENS1_30default_config_static_selectorELNS0_4arch9wavefront6targetE1EEEvT1_
; %bb.0:
	.section	.rodata,"a",@progbits
	.p2align	6, 0x0
	.amdhsa_kernel _ZN7rocprim17ROCPRIM_400000_NS6detail17trampoline_kernelINS0_14default_configENS1_20scan_config_selectorIxEEZZNS1_9scan_implILNS1_25lookback_scan_determinismE0ELb1ELb1ES3_N6thrust23THRUST_200600_302600_NS6detail15normal_iteratorINS9_10device_ptrIxEEEESE_x11max_functorIxExEEDaPvRmT3_T4_T5_mT6_P12ihipStream_tbENKUlT_T0_E_clISt17integral_constantIbLb1EEST_IbLb0EEEEDaSP_SQ_EUlSP_E0_NS1_11comp_targetILNS1_3genE10ELNS1_11target_archE1200ELNS1_3gpuE4ELNS1_3repE0EEENS1_30default_config_static_selectorELNS0_4arch9wavefront6targetE1EEEvT1_
		.amdhsa_group_segment_fixed_size 0
		.amdhsa_private_segment_fixed_size 0
		.amdhsa_kernarg_size 40
		.amdhsa_user_sgpr_count 6
		.amdhsa_user_sgpr_private_segment_buffer 1
		.amdhsa_user_sgpr_dispatch_ptr 0
		.amdhsa_user_sgpr_queue_ptr 0
		.amdhsa_user_sgpr_kernarg_segment_ptr 1
		.amdhsa_user_sgpr_dispatch_id 0
		.amdhsa_user_sgpr_flat_scratch_init 0
		.amdhsa_user_sgpr_kernarg_preload_length 0
		.amdhsa_user_sgpr_kernarg_preload_offset 0
		.amdhsa_user_sgpr_private_segment_size 0
		.amdhsa_uses_dynamic_stack 0
		.amdhsa_system_sgpr_private_segment_wavefront_offset 0
		.amdhsa_system_sgpr_workgroup_id_x 1
		.amdhsa_system_sgpr_workgroup_id_y 0
		.amdhsa_system_sgpr_workgroup_id_z 0
		.amdhsa_system_sgpr_workgroup_info 0
		.amdhsa_system_vgpr_workitem_id 0
		.amdhsa_next_free_vgpr 1
		.amdhsa_next_free_sgpr 0
		.amdhsa_accum_offset 4
		.amdhsa_reserve_vcc 0
		.amdhsa_reserve_flat_scratch 0
		.amdhsa_float_round_mode_32 0
		.amdhsa_float_round_mode_16_64 0
		.amdhsa_float_denorm_mode_32 3
		.amdhsa_float_denorm_mode_16_64 3
		.amdhsa_dx10_clamp 1
		.amdhsa_ieee_mode 1
		.amdhsa_fp16_overflow 0
		.amdhsa_tg_split 0
		.amdhsa_exception_fp_ieee_invalid_op 0
		.amdhsa_exception_fp_denorm_src 0
		.amdhsa_exception_fp_ieee_div_zero 0
		.amdhsa_exception_fp_ieee_overflow 0
		.amdhsa_exception_fp_ieee_underflow 0
		.amdhsa_exception_fp_ieee_inexact 0
		.amdhsa_exception_int_div_zero 0
	.end_amdhsa_kernel
	.section	.text._ZN7rocprim17ROCPRIM_400000_NS6detail17trampoline_kernelINS0_14default_configENS1_20scan_config_selectorIxEEZZNS1_9scan_implILNS1_25lookback_scan_determinismE0ELb1ELb1ES3_N6thrust23THRUST_200600_302600_NS6detail15normal_iteratorINS9_10device_ptrIxEEEESE_x11max_functorIxExEEDaPvRmT3_T4_T5_mT6_P12ihipStream_tbENKUlT_T0_E_clISt17integral_constantIbLb1EEST_IbLb0EEEEDaSP_SQ_EUlSP_E0_NS1_11comp_targetILNS1_3genE10ELNS1_11target_archE1200ELNS1_3gpuE4ELNS1_3repE0EEENS1_30default_config_static_selectorELNS0_4arch9wavefront6targetE1EEEvT1_,"axG",@progbits,_ZN7rocprim17ROCPRIM_400000_NS6detail17trampoline_kernelINS0_14default_configENS1_20scan_config_selectorIxEEZZNS1_9scan_implILNS1_25lookback_scan_determinismE0ELb1ELb1ES3_N6thrust23THRUST_200600_302600_NS6detail15normal_iteratorINS9_10device_ptrIxEEEESE_x11max_functorIxExEEDaPvRmT3_T4_T5_mT6_P12ihipStream_tbENKUlT_T0_E_clISt17integral_constantIbLb1EEST_IbLb0EEEEDaSP_SQ_EUlSP_E0_NS1_11comp_targetILNS1_3genE10ELNS1_11target_archE1200ELNS1_3gpuE4ELNS1_3repE0EEENS1_30default_config_static_selectorELNS0_4arch9wavefront6targetE1EEEvT1_,comdat
.Lfunc_end2681:
	.size	_ZN7rocprim17ROCPRIM_400000_NS6detail17trampoline_kernelINS0_14default_configENS1_20scan_config_selectorIxEEZZNS1_9scan_implILNS1_25lookback_scan_determinismE0ELb1ELb1ES3_N6thrust23THRUST_200600_302600_NS6detail15normal_iteratorINS9_10device_ptrIxEEEESE_x11max_functorIxExEEDaPvRmT3_T4_T5_mT6_P12ihipStream_tbENKUlT_T0_E_clISt17integral_constantIbLb1EEST_IbLb0EEEEDaSP_SQ_EUlSP_E0_NS1_11comp_targetILNS1_3genE10ELNS1_11target_archE1200ELNS1_3gpuE4ELNS1_3repE0EEENS1_30default_config_static_selectorELNS0_4arch9wavefront6targetE1EEEvT1_, .Lfunc_end2681-_ZN7rocprim17ROCPRIM_400000_NS6detail17trampoline_kernelINS0_14default_configENS1_20scan_config_selectorIxEEZZNS1_9scan_implILNS1_25lookback_scan_determinismE0ELb1ELb1ES3_N6thrust23THRUST_200600_302600_NS6detail15normal_iteratorINS9_10device_ptrIxEEEESE_x11max_functorIxExEEDaPvRmT3_T4_T5_mT6_P12ihipStream_tbENKUlT_T0_E_clISt17integral_constantIbLb1EEST_IbLb0EEEEDaSP_SQ_EUlSP_E0_NS1_11comp_targetILNS1_3genE10ELNS1_11target_archE1200ELNS1_3gpuE4ELNS1_3repE0EEENS1_30default_config_static_selectorELNS0_4arch9wavefront6targetE1EEEvT1_
                                        ; -- End function
	.section	.AMDGPU.csdata,"",@progbits
; Kernel info:
; codeLenInByte = 0
; NumSgprs: 4
; NumVgprs: 0
; NumAgprs: 0
; TotalNumVgprs: 0
; ScratchSize: 0
; MemoryBound: 0
; FloatMode: 240
; IeeeMode: 1
; LDSByteSize: 0 bytes/workgroup (compile time only)
; SGPRBlocks: 0
; VGPRBlocks: 0
; NumSGPRsForWavesPerEU: 4
; NumVGPRsForWavesPerEU: 1
; AccumOffset: 4
; Occupancy: 8
; WaveLimiterHint : 0
; COMPUTE_PGM_RSRC2:SCRATCH_EN: 0
; COMPUTE_PGM_RSRC2:USER_SGPR: 6
; COMPUTE_PGM_RSRC2:TRAP_HANDLER: 0
; COMPUTE_PGM_RSRC2:TGID_X_EN: 1
; COMPUTE_PGM_RSRC2:TGID_Y_EN: 0
; COMPUTE_PGM_RSRC2:TGID_Z_EN: 0
; COMPUTE_PGM_RSRC2:TIDIG_COMP_CNT: 0
; COMPUTE_PGM_RSRC3_GFX90A:ACCUM_OFFSET: 0
; COMPUTE_PGM_RSRC3_GFX90A:TG_SPLIT: 0
	.section	.text._ZN7rocprim17ROCPRIM_400000_NS6detail17trampoline_kernelINS0_14default_configENS1_20scan_config_selectorIxEEZZNS1_9scan_implILNS1_25lookback_scan_determinismE0ELb1ELb1ES3_N6thrust23THRUST_200600_302600_NS6detail15normal_iteratorINS9_10device_ptrIxEEEESE_x11max_functorIxExEEDaPvRmT3_T4_T5_mT6_P12ihipStream_tbENKUlT_T0_E_clISt17integral_constantIbLb1EEST_IbLb0EEEEDaSP_SQ_EUlSP_E0_NS1_11comp_targetILNS1_3genE9ELNS1_11target_archE1100ELNS1_3gpuE3ELNS1_3repE0EEENS1_30default_config_static_selectorELNS0_4arch9wavefront6targetE1EEEvT1_,"axG",@progbits,_ZN7rocprim17ROCPRIM_400000_NS6detail17trampoline_kernelINS0_14default_configENS1_20scan_config_selectorIxEEZZNS1_9scan_implILNS1_25lookback_scan_determinismE0ELb1ELb1ES3_N6thrust23THRUST_200600_302600_NS6detail15normal_iteratorINS9_10device_ptrIxEEEESE_x11max_functorIxExEEDaPvRmT3_T4_T5_mT6_P12ihipStream_tbENKUlT_T0_E_clISt17integral_constantIbLb1EEST_IbLb0EEEEDaSP_SQ_EUlSP_E0_NS1_11comp_targetILNS1_3genE9ELNS1_11target_archE1100ELNS1_3gpuE3ELNS1_3repE0EEENS1_30default_config_static_selectorELNS0_4arch9wavefront6targetE1EEEvT1_,comdat
	.protected	_ZN7rocprim17ROCPRIM_400000_NS6detail17trampoline_kernelINS0_14default_configENS1_20scan_config_selectorIxEEZZNS1_9scan_implILNS1_25lookback_scan_determinismE0ELb1ELb1ES3_N6thrust23THRUST_200600_302600_NS6detail15normal_iteratorINS9_10device_ptrIxEEEESE_x11max_functorIxExEEDaPvRmT3_T4_T5_mT6_P12ihipStream_tbENKUlT_T0_E_clISt17integral_constantIbLb1EEST_IbLb0EEEEDaSP_SQ_EUlSP_E0_NS1_11comp_targetILNS1_3genE9ELNS1_11target_archE1100ELNS1_3gpuE3ELNS1_3repE0EEENS1_30default_config_static_selectorELNS0_4arch9wavefront6targetE1EEEvT1_ ; -- Begin function _ZN7rocprim17ROCPRIM_400000_NS6detail17trampoline_kernelINS0_14default_configENS1_20scan_config_selectorIxEEZZNS1_9scan_implILNS1_25lookback_scan_determinismE0ELb1ELb1ES3_N6thrust23THRUST_200600_302600_NS6detail15normal_iteratorINS9_10device_ptrIxEEEESE_x11max_functorIxExEEDaPvRmT3_T4_T5_mT6_P12ihipStream_tbENKUlT_T0_E_clISt17integral_constantIbLb1EEST_IbLb0EEEEDaSP_SQ_EUlSP_E0_NS1_11comp_targetILNS1_3genE9ELNS1_11target_archE1100ELNS1_3gpuE3ELNS1_3repE0EEENS1_30default_config_static_selectorELNS0_4arch9wavefront6targetE1EEEvT1_
	.globl	_ZN7rocprim17ROCPRIM_400000_NS6detail17trampoline_kernelINS0_14default_configENS1_20scan_config_selectorIxEEZZNS1_9scan_implILNS1_25lookback_scan_determinismE0ELb1ELb1ES3_N6thrust23THRUST_200600_302600_NS6detail15normal_iteratorINS9_10device_ptrIxEEEESE_x11max_functorIxExEEDaPvRmT3_T4_T5_mT6_P12ihipStream_tbENKUlT_T0_E_clISt17integral_constantIbLb1EEST_IbLb0EEEEDaSP_SQ_EUlSP_E0_NS1_11comp_targetILNS1_3genE9ELNS1_11target_archE1100ELNS1_3gpuE3ELNS1_3repE0EEENS1_30default_config_static_selectorELNS0_4arch9wavefront6targetE1EEEvT1_
	.p2align	8
	.type	_ZN7rocprim17ROCPRIM_400000_NS6detail17trampoline_kernelINS0_14default_configENS1_20scan_config_selectorIxEEZZNS1_9scan_implILNS1_25lookback_scan_determinismE0ELb1ELb1ES3_N6thrust23THRUST_200600_302600_NS6detail15normal_iteratorINS9_10device_ptrIxEEEESE_x11max_functorIxExEEDaPvRmT3_T4_T5_mT6_P12ihipStream_tbENKUlT_T0_E_clISt17integral_constantIbLb1EEST_IbLb0EEEEDaSP_SQ_EUlSP_E0_NS1_11comp_targetILNS1_3genE9ELNS1_11target_archE1100ELNS1_3gpuE3ELNS1_3repE0EEENS1_30default_config_static_selectorELNS0_4arch9wavefront6targetE1EEEvT1_,@function
_ZN7rocprim17ROCPRIM_400000_NS6detail17trampoline_kernelINS0_14default_configENS1_20scan_config_selectorIxEEZZNS1_9scan_implILNS1_25lookback_scan_determinismE0ELb1ELb1ES3_N6thrust23THRUST_200600_302600_NS6detail15normal_iteratorINS9_10device_ptrIxEEEESE_x11max_functorIxExEEDaPvRmT3_T4_T5_mT6_P12ihipStream_tbENKUlT_T0_E_clISt17integral_constantIbLb1EEST_IbLb0EEEEDaSP_SQ_EUlSP_E0_NS1_11comp_targetILNS1_3genE9ELNS1_11target_archE1100ELNS1_3gpuE3ELNS1_3repE0EEENS1_30default_config_static_selectorELNS0_4arch9wavefront6targetE1EEEvT1_: ; @_ZN7rocprim17ROCPRIM_400000_NS6detail17trampoline_kernelINS0_14default_configENS1_20scan_config_selectorIxEEZZNS1_9scan_implILNS1_25lookback_scan_determinismE0ELb1ELb1ES3_N6thrust23THRUST_200600_302600_NS6detail15normal_iteratorINS9_10device_ptrIxEEEESE_x11max_functorIxExEEDaPvRmT3_T4_T5_mT6_P12ihipStream_tbENKUlT_T0_E_clISt17integral_constantIbLb1EEST_IbLb0EEEEDaSP_SQ_EUlSP_E0_NS1_11comp_targetILNS1_3genE9ELNS1_11target_archE1100ELNS1_3gpuE3ELNS1_3repE0EEENS1_30default_config_static_selectorELNS0_4arch9wavefront6targetE1EEEvT1_
; %bb.0:
	.section	.rodata,"a",@progbits
	.p2align	6, 0x0
	.amdhsa_kernel _ZN7rocprim17ROCPRIM_400000_NS6detail17trampoline_kernelINS0_14default_configENS1_20scan_config_selectorIxEEZZNS1_9scan_implILNS1_25lookback_scan_determinismE0ELb1ELb1ES3_N6thrust23THRUST_200600_302600_NS6detail15normal_iteratorINS9_10device_ptrIxEEEESE_x11max_functorIxExEEDaPvRmT3_T4_T5_mT6_P12ihipStream_tbENKUlT_T0_E_clISt17integral_constantIbLb1EEST_IbLb0EEEEDaSP_SQ_EUlSP_E0_NS1_11comp_targetILNS1_3genE9ELNS1_11target_archE1100ELNS1_3gpuE3ELNS1_3repE0EEENS1_30default_config_static_selectorELNS0_4arch9wavefront6targetE1EEEvT1_
		.amdhsa_group_segment_fixed_size 0
		.amdhsa_private_segment_fixed_size 0
		.amdhsa_kernarg_size 40
		.amdhsa_user_sgpr_count 6
		.amdhsa_user_sgpr_private_segment_buffer 1
		.amdhsa_user_sgpr_dispatch_ptr 0
		.amdhsa_user_sgpr_queue_ptr 0
		.amdhsa_user_sgpr_kernarg_segment_ptr 1
		.amdhsa_user_sgpr_dispatch_id 0
		.amdhsa_user_sgpr_flat_scratch_init 0
		.amdhsa_user_sgpr_kernarg_preload_length 0
		.amdhsa_user_sgpr_kernarg_preload_offset 0
		.amdhsa_user_sgpr_private_segment_size 0
		.amdhsa_uses_dynamic_stack 0
		.amdhsa_system_sgpr_private_segment_wavefront_offset 0
		.amdhsa_system_sgpr_workgroup_id_x 1
		.amdhsa_system_sgpr_workgroup_id_y 0
		.amdhsa_system_sgpr_workgroup_id_z 0
		.amdhsa_system_sgpr_workgroup_info 0
		.amdhsa_system_vgpr_workitem_id 0
		.amdhsa_next_free_vgpr 1
		.amdhsa_next_free_sgpr 0
		.amdhsa_accum_offset 4
		.amdhsa_reserve_vcc 0
		.amdhsa_reserve_flat_scratch 0
		.amdhsa_float_round_mode_32 0
		.amdhsa_float_round_mode_16_64 0
		.amdhsa_float_denorm_mode_32 3
		.amdhsa_float_denorm_mode_16_64 3
		.amdhsa_dx10_clamp 1
		.amdhsa_ieee_mode 1
		.amdhsa_fp16_overflow 0
		.amdhsa_tg_split 0
		.amdhsa_exception_fp_ieee_invalid_op 0
		.amdhsa_exception_fp_denorm_src 0
		.amdhsa_exception_fp_ieee_div_zero 0
		.amdhsa_exception_fp_ieee_overflow 0
		.amdhsa_exception_fp_ieee_underflow 0
		.amdhsa_exception_fp_ieee_inexact 0
		.amdhsa_exception_int_div_zero 0
	.end_amdhsa_kernel
	.section	.text._ZN7rocprim17ROCPRIM_400000_NS6detail17trampoline_kernelINS0_14default_configENS1_20scan_config_selectorIxEEZZNS1_9scan_implILNS1_25lookback_scan_determinismE0ELb1ELb1ES3_N6thrust23THRUST_200600_302600_NS6detail15normal_iteratorINS9_10device_ptrIxEEEESE_x11max_functorIxExEEDaPvRmT3_T4_T5_mT6_P12ihipStream_tbENKUlT_T0_E_clISt17integral_constantIbLb1EEST_IbLb0EEEEDaSP_SQ_EUlSP_E0_NS1_11comp_targetILNS1_3genE9ELNS1_11target_archE1100ELNS1_3gpuE3ELNS1_3repE0EEENS1_30default_config_static_selectorELNS0_4arch9wavefront6targetE1EEEvT1_,"axG",@progbits,_ZN7rocprim17ROCPRIM_400000_NS6detail17trampoline_kernelINS0_14default_configENS1_20scan_config_selectorIxEEZZNS1_9scan_implILNS1_25lookback_scan_determinismE0ELb1ELb1ES3_N6thrust23THRUST_200600_302600_NS6detail15normal_iteratorINS9_10device_ptrIxEEEESE_x11max_functorIxExEEDaPvRmT3_T4_T5_mT6_P12ihipStream_tbENKUlT_T0_E_clISt17integral_constantIbLb1EEST_IbLb0EEEEDaSP_SQ_EUlSP_E0_NS1_11comp_targetILNS1_3genE9ELNS1_11target_archE1100ELNS1_3gpuE3ELNS1_3repE0EEENS1_30default_config_static_selectorELNS0_4arch9wavefront6targetE1EEEvT1_,comdat
.Lfunc_end2682:
	.size	_ZN7rocprim17ROCPRIM_400000_NS6detail17trampoline_kernelINS0_14default_configENS1_20scan_config_selectorIxEEZZNS1_9scan_implILNS1_25lookback_scan_determinismE0ELb1ELb1ES3_N6thrust23THRUST_200600_302600_NS6detail15normal_iteratorINS9_10device_ptrIxEEEESE_x11max_functorIxExEEDaPvRmT3_T4_T5_mT6_P12ihipStream_tbENKUlT_T0_E_clISt17integral_constantIbLb1EEST_IbLb0EEEEDaSP_SQ_EUlSP_E0_NS1_11comp_targetILNS1_3genE9ELNS1_11target_archE1100ELNS1_3gpuE3ELNS1_3repE0EEENS1_30default_config_static_selectorELNS0_4arch9wavefront6targetE1EEEvT1_, .Lfunc_end2682-_ZN7rocprim17ROCPRIM_400000_NS6detail17trampoline_kernelINS0_14default_configENS1_20scan_config_selectorIxEEZZNS1_9scan_implILNS1_25lookback_scan_determinismE0ELb1ELb1ES3_N6thrust23THRUST_200600_302600_NS6detail15normal_iteratorINS9_10device_ptrIxEEEESE_x11max_functorIxExEEDaPvRmT3_T4_T5_mT6_P12ihipStream_tbENKUlT_T0_E_clISt17integral_constantIbLb1EEST_IbLb0EEEEDaSP_SQ_EUlSP_E0_NS1_11comp_targetILNS1_3genE9ELNS1_11target_archE1100ELNS1_3gpuE3ELNS1_3repE0EEENS1_30default_config_static_selectorELNS0_4arch9wavefront6targetE1EEEvT1_
                                        ; -- End function
	.section	.AMDGPU.csdata,"",@progbits
; Kernel info:
; codeLenInByte = 0
; NumSgprs: 4
; NumVgprs: 0
; NumAgprs: 0
; TotalNumVgprs: 0
; ScratchSize: 0
; MemoryBound: 0
; FloatMode: 240
; IeeeMode: 1
; LDSByteSize: 0 bytes/workgroup (compile time only)
; SGPRBlocks: 0
; VGPRBlocks: 0
; NumSGPRsForWavesPerEU: 4
; NumVGPRsForWavesPerEU: 1
; AccumOffset: 4
; Occupancy: 8
; WaveLimiterHint : 0
; COMPUTE_PGM_RSRC2:SCRATCH_EN: 0
; COMPUTE_PGM_RSRC2:USER_SGPR: 6
; COMPUTE_PGM_RSRC2:TRAP_HANDLER: 0
; COMPUTE_PGM_RSRC2:TGID_X_EN: 1
; COMPUTE_PGM_RSRC2:TGID_Y_EN: 0
; COMPUTE_PGM_RSRC2:TGID_Z_EN: 0
; COMPUTE_PGM_RSRC2:TIDIG_COMP_CNT: 0
; COMPUTE_PGM_RSRC3_GFX90A:ACCUM_OFFSET: 0
; COMPUTE_PGM_RSRC3_GFX90A:TG_SPLIT: 0
	.section	.text._ZN7rocprim17ROCPRIM_400000_NS6detail17trampoline_kernelINS0_14default_configENS1_20scan_config_selectorIxEEZZNS1_9scan_implILNS1_25lookback_scan_determinismE0ELb1ELb1ES3_N6thrust23THRUST_200600_302600_NS6detail15normal_iteratorINS9_10device_ptrIxEEEESE_x11max_functorIxExEEDaPvRmT3_T4_T5_mT6_P12ihipStream_tbENKUlT_T0_E_clISt17integral_constantIbLb1EEST_IbLb0EEEEDaSP_SQ_EUlSP_E0_NS1_11comp_targetILNS1_3genE8ELNS1_11target_archE1030ELNS1_3gpuE2ELNS1_3repE0EEENS1_30default_config_static_selectorELNS0_4arch9wavefront6targetE1EEEvT1_,"axG",@progbits,_ZN7rocprim17ROCPRIM_400000_NS6detail17trampoline_kernelINS0_14default_configENS1_20scan_config_selectorIxEEZZNS1_9scan_implILNS1_25lookback_scan_determinismE0ELb1ELb1ES3_N6thrust23THRUST_200600_302600_NS6detail15normal_iteratorINS9_10device_ptrIxEEEESE_x11max_functorIxExEEDaPvRmT3_T4_T5_mT6_P12ihipStream_tbENKUlT_T0_E_clISt17integral_constantIbLb1EEST_IbLb0EEEEDaSP_SQ_EUlSP_E0_NS1_11comp_targetILNS1_3genE8ELNS1_11target_archE1030ELNS1_3gpuE2ELNS1_3repE0EEENS1_30default_config_static_selectorELNS0_4arch9wavefront6targetE1EEEvT1_,comdat
	.protected	_ZN7rocprim17ROCPRIM_400000_NS6detail17trampoline_kernelINS0_14default_configENS1_20scan_config_selectorIxEEZZNS1_9scan_implILNS1_25lookback_scan_determinismE0ELb1ELb1ES3_N6thrust23THRUST_200600_302600_NS6detail15normal_iteratorINS9_10device_ptrIxEEEESE_x11max_functorIxExEEDaPvRmT3_T4_T5_mT6_P12ihipStream_tbENKUlT_T0_E_clISt17integral_constantIbLb1EEST_IbLb0EEEEDaSP_SQ_EUlSP_E0_NS1_11comp_targetILNS1_3genE8ELNS1_11target_archE1030ELNS1_3gpuE2ELNS1_3repE0EEENS1_30default_config_static_selectorELNS0_4arch9wavefront6targetE1EEEvT1_ ; -- Begin function _ZN7rocprim17ROCPRIM_400000_NS6detail17trampoline_kernelINS0_14default_configENS1_20scan_config_selectorIxEEZZNS1_9scan_implILNS1_25lookback_scan_determinismE0ELb1ELb1ES3_N6thrust23THRUST_200600_302600_NS6detail15normal_iteratorINS9_10device_ptrIxEEEESE_x11max_functorIxExEEDaPvRmT3_T4_T5_mT6_P12ihipStream_tbENKUlT_T0_E_clISt17integral_constantIbLb1EEST_IbLb0EEEEDaSP_SQ_EUlSP_E0_NS1_11comp_targetILNS1_3genE8ELNS1_11target_archE1030ELNS1_3gpuE2ELNS1_3repE0EEENS1_30default_config_static_selectorELNS0_4arch9wavefront6targetE1EEEvT1_
	.globl	_ZN7rocprim17ROCPRIM_400000_NS6detail17trampoline_kernelINS0_14default_configENS1_20scan_config_selectorIxEEZZNS1_9scan_implILNS1_25lookback_scan_determinismE0ELb1ELb1ES3_N6thrust23THRUST_200600_302600_NS6detail15normal_iteratorINS9_10device_ptrIxEEEESE_x11max_functorIxExEEDaPvRmT3_T4_T5_mT6_P12ihipStream_tbENKUlT_T0_E_clISt17integral_constantIbLb1EEST_IbLb0EEEEDaSP_SQ_EUlSP_E0_NS1_11comp_targetILNS1_3genE8ELNS1_11target_archE1030ELNS1_3gpuE2ELNS1_3repE0EEENS1_30default_config_static_selectorELNS0_4arch9wavefront6targetE1EEEvT1_
	.p2align	8
	.type	_ZN7rocprim17ROCPRIM_400000_NS6detail17trampoline_kernelINS0_14default_configENS1_20scan_config_selectorIxEEZZNS1_9scan_implILNS1_25lookback_scan_determinismE0ELb1ELb1ES3_N6thrust23THRUST_200600_302600_NS6detail15normal_iteratorINS9_10device_ptrIxEEEESE_x11max_functorIxExEEDaPvRmT3_T4_T5_mT6_P12ihipStream_tbENKUlT_T0_E_clISt17integral_constantIbLb1EEST_IbLb0EEEEDaSP_SQ_EUlSP_E0_NS1_11comp_targetILNS1_3genE8ELNS1_11target_archE1030ELNS1_3gpuE2ELNS1_3repE0EEENS1_30default_config_static_selectorELNS0_4arch9wavefront6targetE1EEEvT1_,@function
_ZN7rocprim17ROCPRIM_400000_NS6detail17trampoline_kernelINS0_14default_configENS1_20scan_config_selectorIxEEZZNS1_9scan_implILNS1_25lookback_scan_determinismE0ELb1ELb1ES3_N6thrust23THRUST_200600_302600_NS6detail15normal_iteratorINS9_10device_ptrIxEEEESE_x11max_functorIxExEEDaPvRmT3_T4_T5_mT6_P12ihipStream_tbENKUlT_T0_E_clISt17integral_constantIbLb1EEST_IbLb0EEEEDaSP_SQ_EUlSP_E0_NS1_11comp_targetILNS1_3genE8ELNS1_11target_archE1030ELNS1_3gpuE2ELNS1_3repE0EEENS1_30default_config_static_selectorELNS0_4arch9wavefront6targetE1EEEvT1_: ; @_ZN7rocprim17ROCPRIM_400000_NS6detail17trampoline_kernelINS0_14default_configENS1_20scan_config_selectorIxEEZZNS1_9scan_implILNS1_25lookback_scan_determinismE0ELb1ELb1ES3_N6thrust23THRUST_200600_302600_NS6detail15normal_iteratorINS9_10device_ptrIxEEEESE_x11max_functorIxExEEDaPvRmT3_T4_T5_mT6_P12ihipStream_tbENKUlT_T0_E_clISt17integral_constantIbLb1EEST_IbLb0EEEEDaSP_SQ_EUlSP_E0_NS1_11comp_targetILNS1_3genE8ELNS1_11target_archE1030ELNS1_3gpuE2ELNS1_3repE0EEENS1_30default_config_static_selectorELNS0_4arch9wavefront6targetE1EEEvT1_
; %bb.0:
	.section	.rodata,"a",@progbits
	.p2align	6, 0x0
	.amdhsa_kernel _ZN7rocprim17ROCPRIM_400000_NS6detail17trampoline_kernelINS0_14default_configENS1_20scan_config_selectorIxEEZZNS1_9scan_implILNS1_25lookback_scan_determinismE0ELb1ELb1ES3_N6thrust23THRUST_200600_302600_NS6detail15normal_iteratorINS9_10device_ptrIxEEEESE_x11max_functorIxExEEDaPvRmT3_T4_T5_mT6_P12ihipStream_tbENKUlT_T0_E_clISt17integral_constantIbLb1EEST_IbLb0EEEEDaSP_SQ_EUlSP_E0_NS1_11comp_targetILNS1_3genE8ELNS1_11target_archE1030ELNS1_3gpuE2ELNS1_3repE0EEENS1_30default_config_static_selectorELNS0_4arch9wavefront6targetE1EEEvT1_
		.amdhsa_group_segment_fixed_size 0
		.amdhsa_private_segment_fixed_size 0
		.amdhsa_kernarg_size 40
		.amdhsa_user_sgpr_count 6
		.amdhsa_user_sgpr_private_segment_buffer 1
		.amdhsa_user_sgpr_dispatch_ptr 0
		.amdhsa_user_sgpr_queue_ptr 0
		.amdhsa_user_sgpr_kernarg_segment_ptr 1
		.amdhsa_user_sgpr_dispatch_id 0
		.amdhsa_user_sgpr_flat_scratch_init 0
		.amdhsa_user_sgpr_kernarg_preload_length 0
		.amdhsa_user_sgpr_kernarg_preload_offset 0
		.amdhsa_user_sgpr_private_segment_size 0
		.amdhsa_uses_dynamic_stack 0
		.amdhsa_system_sgpr_private_segment_wavefront_offset 0
		.amdhsa_system_sgpr_workgroup_id_x 1
		.amdhsa_system_sgpr_workgroup_id_y 0
		.amdhsa_system_sgpr_workgroup_id_z 0
		.amdhsa_system_sgpr_workgroup_info 0
		.amdhsa_system_vgpr_workitem_id 0
		.amdhsa_next_free_vgpr 1
		.amdhsa_next_free_sgpr 0
		.amdhsa_accum_offset 4
		.amdhsa_reserve_vcc 0
		.amdhsa_reserve_flat_scratch 0
		.amdhsa_float_round_mode_32 0
		.amdhsa_float_round_mode_16_64 0
		.amdhsa_float_denorm_mode_32 3
		.amdhsa_float_denorm_mode_16_64 3
		.amdhsa_dx10_clamp 1
		.amdhsa_ieee_mode 1
		.amdhsa_fp16_overflow 0
		.amdhsa_tg_split 0
		.amdhsa_exception_fp_ieee_invalid_op 0
		.amdhsa_exception_fp_denorm_src 0
		.amdhsa_exception_fp_ieee_div_zero 0
		.amdhsa_exception_fp_ieee_overflow 0
		.amdhsa_exception_fp_ieee_underflow 0
		.amdhsa_exception_fp_ieee_inexact 0
		.amdhsa_exception_int_div_zero 0
	.end_amdhsa_kernel
	.section	.text._ZN7rocprim17ROCPRIM_400000_NS6detail17trampoline_kernelINS0_14default_configENS1_20scan_config_selectorIxEEZZNS1_9scan_implILNS1_25lookback_scan_determinismE0ELb1ELb1ES3_N6thrust23THRUST_200600_302600_NS6detail15normal_iteratorINS9_10device_ptrIxEEEESE_x11max_functorIxExEEDaPvRmT3_T4_T5_mT6_P12ihipStream_tbENKUlT_T0_E_clISt17integral_constantIbLb1EEST_IbLb0EEEEDaSP_SQ_EUlSP_E0_NS1_11comp_targetILNS1_3genE8ELNS1_11target_archE1030ELNS1_3gpuE2ELNS1_3repE0EEENS1_30default_config_static_selectorELNS0_4arch9wavefront6targetE1EEEvT1_,"axG",@progbits,_ZN7rocprim17ROCPRIM_400000_NS6detail17trampoline_kernelINS0_14default_configENS1_20scan_config_selectorIxEEZZNS1_9scan_implILNS1_25lookback_scan_determinismE0ELb1ELb1ES3_N6thrust23THRUST_200600_302600_NS6detail15normal_iteratorINS9_10device_ptrIxEEEESE_x11max_functorIxExEEDaPvRmT3_T4_T5_mT6_P12ihipStream_tbENKUlT_T0_E_clISt17integral_constantIbLb1EEST_IbLb0EEEEDaSP_SQ_EUlSP_E0_NS1_11comp_targetILNS1_3genE8ELNS1_11target_archE1030ELNS1_3gpuE2ELNS1_3repE0EEENS1_30default_config_static_selectorELNS0_4arch9wavefront6targetE1EEEvT1_,comdat
.Lfunc_end2683:
	.size	_ZN7rocprim17ROCPRIM_400000_NS6detail17trampoline_kernelINS0_14default_configENS1_20scan_config_selectorIxEEZZNS1_9scan_implILNS1_25lookback_scan_determinismE0ELb1ELb1ES3_N6thrust23THRUST_200600_302600_NS6detail15normal_iteratorINS9_10device_ptrIxEEEESE_x11max_functorIxExEEDaPvRmT3_T4_T5_mT6_P12ihipStream_tbENKUlT_T0_E_clISt17integral_constantIbLb1EEST_IbLb0EEEEDaSP_SQ_EUlSP_E0_NS1_11comp_targetILNS1_3genE8ELNS1_11target_archE1030ELNS1_3gpuE2ELNS1_3repE0EEENS1_30default_config_static_selectorELNS0_4arch9wavefront6targetE1EEEvT1_, .Lfunc_end2683-_ZN7rocprim17ROCPRIM_400000_NS6detail17trampoline_kernelINS0_14default_configENS1_20scan_config_selectorIxEEZZNS1_9scan_implILNS1_25lookback_scan_determinismE0ELb1ELb1ES3_N6thrust23THRUST_200600_302600_NS6detail15normal_iteratorINS9_10device_ptrIxEEEESE_x11max_functorIxExEEDaPvRmT3_T4_T5_mT6_P12ihipStream_tbENKUlT_T0_E_clISt17integral_constantIbLb1EEST_IbLb0EEEEDaSP_SQ_EUlSP_E0_NS1_11comp_targetILNS1_3genE8ELNS1_11target_archE1030ELNS1_3gpuE2ELNS1_3repE0EEENS1_30default_config_static_selectorELNS0_4arch9wavefront6targetE1EEEvT1_
                                        ; -- End function
	.section	.AMDGPU.csdata,"",@progbits
; Kernel info:
; codeLenInByte = 0
; NumSgprs: 4
; NumVgprs: 0
; NumAgprs: 0
; TotalNumVgprs: 0
; ScratchSize: 0
; MemoryBound: 0
; FloatMode: 240
; IeeeMode: 1
; LDSByteSize: 0 bytes/workgroup (compile time only)
; SGPRBlocks: 0
; VGPRBlocks: 0
; NumSGPRsForWavesPerEU: 4
; NumVGPRsForWavesPerEU: 1
; AccumOffset: 4
; Occupancy: 8
; WaveLimiterHint : 0
; COMPUTE_PGM_RSRC2:SCRATCH_EN: 0
; COMPUTE_PGM_RSRC2:USER_SGPR: 6
; COMPUTE_PGM_RSRC2:TRAP_HANDLER: 0
; COMPUTE_PGM_RSRC2:TGID_X_EN: 1
; COMPUTE_PGM_RSRC2:TGID_Y_EN: 0
; COMPUTE_PGM_RSRC2:TGID_Z_EN: 0
; COMPUTE_PGM_RSRC2:TIDIG_COMP_CNT: 0
; COMPUTE_PGM_RSRC3_GFX90A:ACCUM_OFFSET: 0
; COMPUTE_PGM_RSRC3_GFX90A:TG_SPLIT: 0
	.section	.text._ZN7rocprim17ROCPRIM_400000_NS6detail17trampoline_kernelINS0_14default_configENS1_20scan_config_selectorIxEEZZNS1_9scan_implILNS1_25lookback_scan_determinismE0ELb1ELb1ES3_N6thrust23THRUST_200600_302600_NS6detail15normal_iteratorINS9_10device_ptrIxEEEESE_x11max_functorIxExEEDaPvRmT3_T4_T5_mT6_P12ihipStream_tbENKUlT_T0_E_clISt17integral_constantIbLb0EEST_IbLb1EEEEDaSP_SQ_EUlSP_E_NS1_11comp_targetILNS1_3genE0ELNS1_11target_archE4294967295ELNS1_3gpuE0ELNS1_3repE0EEENS1_30default_config_static_selectorELNS0_4arch9wavefront6targetE1EEEvT1_,"axG",@progbits,_ZN7rocprim17ROCPRIM_400000_NS6detail17trampoline_kernelINS0_14default_configENS1_20scan_config_selectorIxEEZZNS1_9scan_implILNS1_25lookback_scan_determinismE0ELb1ELb1ES3_N6thrust23THRUST_200600_302600_NS6detail15normal_iteratorINS9_10device_ptrIxEEEESE_x11max_functorIxExEEDaPvRmT3_T4_T5_mT6_P12ihipStream_tbENKUlT_T0_E_clISt17integral_constantIbLb0EEST_IbLb1EEEEDaSP_SQ_EUlSP_E_NS1_11comp_targetILNS1_3genE0ELNS1_11target_archE4294967295ELNS1_3gpuE0ELNS1_3repE0EEENS1_30default_config_static_selectorELNS0_4arch9wavefront6targetE1EEEvT1_,comdat
	.protected	_ZN7rocprim17ROCPRIM_400000_NS6detail17trampoline_kernelINS0_14default_configENS1_20scan_config_selectorIxEEZZNS1_9scan_implILNS1_25lookback_scan_determinismE0ELb1ELb1ES3_N6thrust23THRUST_200600_302600_NS6detail15normal_iteratorINS9_10device_ptrIxEEEESE_x11max_functorIxExEEDaPvRmT3_T4_T5_mT6_P12ihipStream_tbENKUlT_T0_E_clISt17integral_constantIbLb0EEST_IbLb1EEEEDaSP_SQ_EUlSP_E_NS1_11comp_targetILNS1_3genE0ELNS1_11target_archE4294967295ELNS1_3gpuE0ELNS1_3repE0EEENS1_30default_config_static_selectorELNS0_4arch9wavefront6targetE1EEEvT1_ ; -- Begin function _ZN7rocprim17ROCPRIM_400000_NS6detail17trampoline_kernelINS0_14default_configENS1_20scan_config_selectorIxEEZZNS1_9scan_implILNS1_25lookback_scan_determinismE0ELb1ELb1ES3_N6thrust23THRUST_200600_302600_NS6detail15normal_iteratorINS9_10device_ptrIxEEEESE_x11max_functorIxExEEDaPvRmT3_T4_T5_mT6_P12ihipStream_tbENKUlT_T0_E_clISt17integral_constantIbLb0EEST_IbLb1EEEEDaSP_SQ_EUlSP_E_NS1_11comp_targetILNS1_3genE0ELNS1_11target_archE4294967295ELNS1_3gpuE0ELNS1_3repE0EEENS1_30default_config_static_selectorELNS0_4arch9wavefront6targetE1EEEvT1_
	.globl	_ZN7rocprim17ROCPRIM_400000_NS6detail17trampoline_kernelINS0_14default_configENS1_20scan_config_selectorIxEEZZNS1_9scan_implILNS1_25lookback_scan_determinismE0ELb1ELb1ES3_N6thrust23THRUST_200600_302600_NS6detail15normal_iteratorINS9_10device_ptrIxEEEESE_x11max_functorIxExEEDaPvRmT3_T4_T5_mT6_P12ihipStream_tbENKUlT_T0_E_clISt17integral_constantIbLb0EEST_IbLb1EEEEDaSP_SQ_EUlSP_E_NS1_11comp_targetILNS1_3genE0ELNS1_11target_archE4294967295ELNS1_3gpuE0ELNS1_3repE0EEENS1_30default_config_static_selectorELNS0_4arch9wavefront6targetE1EEEvT1_
	.p2align	8
	.type	_ZN7rocprim17ROCPRIM_400000_NS6detail17trampoline_kernelINS0_14default_configENS1_20scan_config_selectorIxEEZZNS1_9scan_implILNS1_25lookback_scan_determinismE0ELb1ELb1ES3_N6thrust23THRUST_200600_302600_NS6detail15normal_iteratorINS9_10device_ptrIxEEEESE_x11max_functorIxExEEDaPvRmT3_T4_T5_mT6_P12ihipStream_tbENKUlT_T0_E_clISt17integral_constantIbLb0EEST_IbLb1EEEEDaSP_SQ_EUlSP_E_NS1_11comp_targetILNS1_3genE0ELNS1_11target_archE4294967295ELNS1_3gpuE0ELNS1_3repE0EEENS1_30default_config_static_selectorELNS0_4arch9wavefront6targetE1EEEvT1_,@function
_ZN7rocprim17ROCPRIM_400000_NS6detail17trampoline_kernelINS0_14default_configENS1_20scan_config_selectorIxEEZZNS1_9scan_implILNS1_25lookback_scan_determinismE0ELb1ELb1ES3_N6thrust23THRUST_200600_302600_NS6detail15normal_iteratorINS9_10device_ptrIxEEEESE_x11max_functorIxExEEDaPvRmT3_T4_T5_mT6_P12ihipStream_tbENKUlT_T0_E_clISt17integral_constantIbLb0EEST_IbLb1EEEEDaSP_SQ_EUlSP_E_NS1_11comp_targetILNS1_3genE0ELNS1_11target_archE4294967295ELNS1_3gpuE0ELNS1_3repE0EEENS1_30default_config_static_selectorELNS0_4arch9wavefront6targetE1EEEvT1_: ; @_ZN7rocprim17ROCPRIM_400000_NS6detail17trampoline_kernelINS0_14default_configENS1_20scan_config_selectorIxEEZZNS1_9scan_implILNS1_25lookback_scan_determinismE0ELb1ELb1ES3_N6thrust23THRUST_200600_302600_NS6detail15normal_iteratorINS9_10device_ptrIxEEEESE_x11max_functorIxExEEDaPvRmT3_T4_T5_mT6_P12ihipStream_tbENKUlT_T0_E_clISt17integral_constantIbLb0EEST_IbLb1EEEEDaSP_SQ_EUlSP_E_NS1_11comp_targetILNS1_3genE0ELNS1_11target_archE4294967295ELNS1_3gpuE0ELNS1_3repE0EEENS1_30default_config_static_selectorELNS0_4arch9wavefront6targetE1EEEvT1_
; %bb.0:
	.section	.rodata,"a",@progbits
	.p2align	6, 0x0
	.amdhsa_kernel _ZN7rocprim17ROCPRIM_400000_NS6detail17trampoline_kernelINS0_14default_configENS1_20scan_config_selectorIxEEZZNS1_9scan_implILNS1_25lookback_scan_determinismE0ELb1ELb1ES3_N6thrust23THRUST_200600_302600_NS6detail15normal_iteratorINS9_10device_ptrIxEEEESE_x11max_functorIxExEEDaPvRmT3_T4_T5_mT6_P12ihipStream_tbENKUlT_T0_E_clISt17integral_constantIbLb0EEST_IbLb1EEEEDaSP_SQ_EUlSP_E_NS1_11comp_targetILNS1_3genE0ELNS1_11target_archE4294967295ELNS1_3gpuE0ELNS1_3repE0EEENS1_30default_config_static_selectorELNS0_4arch9wavefront6targetE1EEEvT1_
		.amdhsa_group_segment_fixed_size 0
		.amdhsa_private_segment_fixed_size 0
		.amdhsa_kernarg_size 104
		.amdhsa_user_sgpr_count 6
		.amdhsa_user_sgpr_private_segment_buffer 1
		.amdhsa_user_sgpr_dispatch_ptr 0
		.amdhsa_user_sgpr_queue_ptr 0
		.amdhsa_user_sgpr_kernarg_segment_ptr 1
		.amdhsa_user_sgpr_dispatch_id 0
		.amdhsa_user_sgpr_flat_scratch_init 0
		.amdhsa_user_sgpr_kernarg_preload_length 0
		.amdhsa_user_sgpr_kernarg_preload_offset 0
		.amdhsa_user_sgpr_private_segment_size 0
		.amdhsa_uses_dynamic_stack 0
		.amdhsa_system_sgpr_private_segment_wavefront_offset 0
		.amdhsa_system_sgpr_workgroup_id_x 1
		.amdhsa_system_sgpr_workgroup_id_y 0
		.amdhsa_system_sgpr_workgroup_id_z 0
		.amdhsa_system_sgpr_workgroup_info 0
		.amdhsa_system_vgpr_workitem_id 0
		.amdhsa_next_free_vgpr 1
		.amdhsa_next_free_sgpr 0
		.amdhsa_accum_offset 4
		.amdhsa_reserve_vcc 0
		.amdhsa_reserve_flat_scratch 0
		.amdhsa_float_round_mode_32 0
		.amdhsa_float_round_mode_16_64 0
		.amdhsa_float_denorm_mode_32 3
		.amdhsa_float_denorm_mode_16_64 3
		.amdhsa_dx10_clamp 1
		.amdhsa_ieee_mode 1
		.amdhsa_fp16_overflow 0
		.amdhsa_tg_split 0
		.amdhsa_exception_fp_ieee_invalid_op 0
		.amdhsa_exception_fp_denorm_src 0
		.amdhsa_exception_fp_ieee_div_zero 0
		.amdhsa_exception_fp_ieee_overflow 0
		.amdhsa_exception_fp_ieee_underflow 0
		.amdhsa_exception_fp_ieee_inexact 0
		.amdhsa_exception_int_div_zero 0
	.end_amdhsa_kernel
	.section	.text._ZN7rocprim17ROCPRIM_400000_NS6detail17trampoline_kernelINS0_14default_configENS1_20scan_config_selectorIxEEZZNS1_9scan_implILNS1_25lookback_scan_determinismE0ELb1ELb1ES3_N6thrust23THRUST_200600_302600_NS6detail15normal_iteratorINS9_10device_ptrIxEEEESE_x11max_functorIxExEEDaPvRmT3_T4_T5_mT6_P12ihipStream_tbENKUlT_T0_E_clISt17integral_constantIbLb0EEST_IbLb1EEEEDaSP_SQ_EUlSP_E_NS1_11comp_targetILNS1_3genE0ELNS1_11target_archE4294967295ELNS1_3gpuE0ELNS1_3repE0EEENS1_30default_config_static_selectorELNS0_4arch9wavefront6targetE1EEEvT1_,"axG",@progbits,_ZN7rocprim17ROCPRIM_400000_NS6detail17trampoline_kernelINS0_14default_configENS1_20scan_config_selectorIxEEZZNS1_9scan_implILNS1_25lookback_scan_determinismE0ELb1ELb1ES3_N6thrust23THRUST_200600_302600_NS6detail15normal_iteratorINS9_10device_ptrIxEEEESE_x11max_functorIxExEEDaPvRmT3_T4_T5_mT6_P12ihipStream_tbENKUlT_T0_E_clISt17integral_constantIbLb0EEST_IbLb1EEEEDaSP_SQ_EUlSP_E_NS1_11comp_targetILNS1_3genE0ELNS1_11target_archE4294967295ELNS1_3gpuE0ELNS1_3repE0EEENS1_30default_config_static_selectorELNS0_4arch9wavefront6targetE1EEEvT1_,comdat
.Lfunc_end2684:
	.size	_ZN7rocprim17ROCPRIM_400000_NS6detail17trampoline_kernelINS0_14default_configENS1_20scan_config_selectorIxEEZZNS1_9scan_implILNS1_25lookback_scan_determinismE0ELb1ELb1ES3_N6thrust23THRUST_200600_302600_NS6detail15normal_iteratorINS9_10device_ptrIxEEEESE_x11max_functorIxExEEDaPvRmT3_T4_T5_mT6_P12ihipStream_tbENKUlT_T0_E_clISt17integral_constantIbLb0EEST_IbLb1EEEEDaSP_SQ_EUlSP_E_NS1_11comp_targetILNS1_3genE0ELNS1_11target_archE4294967295ELNS1_3gpuE0ELNS1_3repE0EEENS1_30default_config_static_selectorELNS0_4arch9wavefront6targetE1EEEvT1_, .Lfunc_end2684-_ZN7rocprim17ROCPRIM_400000_NS6detail17trampoline_kernelINS0_14default_configENS1_20scan_config_selectorIxEEZZNS1_9scan_implILNS1_25lookback_scan_determinismE0ELb1ELb1ES3_N6thrust23THRUST_200600_302600_NS6detail15normal_iteratorINS9_10device_ptrIxEEEESE_x11max_functorIxExEEDaPvRmT3_T4_T5_mT6_P12ihipStream_tbENKUlT_T0_E_clISt17integral_constantIbLb0EEST_IbLb1EEEEDaSP_SQ_EUlSP_E_NS1_11comp_targetILNS1_3genE0ELNS1_11target_archE4294967295ELNS1_3gpuE0ELNS1_3repE0EEENS1_30default_config_static_selectorELNS0_4arch9wavefront6targetE1EEEvT1_
                                        ; -- End function
	.section	.AMDGPU.csdata,"",@progbits
; Kernel info:
; codeLenInByte = 0
; NumSgprs: 4
; NumVgprs: 0
; NumAgprs: 0
; TotalNumVgprs: 0
; ScratchSize: 0
; MemoryBound: 0
; FloatMode: 240
; IeeeMode: 1
; LDSByteSize: 0 bytes/workgroup (compile time only)
; SGPRBlocks: 0
; VGPRBlocks: 0
; NumSGPRsForWavesPerEU: 4
; NumVGPRsForWavesPerEU: 1
; AccumOffset: 4
; Occupancy: 8
; WaveLimiterHint : 0
; COMPUTE_PGM_RSRC2:SCRATCH_EN: 0
; COMPUTE_PGM_RSRC2:USER_SGPR: 6
; COMPUTE_PGM_RSRC2:TRAP_HANDLER: 0
; COMPUTE_PGM_RSRC2:TGID_X_EN: 1
; COMPUTE_PGM_RSRC2:TGID_Y_EN: 0
; COMPUTE_PGM_RSRC2:TGID_Z_EN: 0
; COMPUTE_PGM_RSRC2:TIDIG_COMP_CNT: 0
; COMPUTE_PGM_RSRC3_GFX90A:ACCUM_OFFSET: 0
; COMPUTE_PGM_RSRC3_GFX90A:TG_SPLIT: 0
	.section	.text._ZN7rocprim17ROCPRIM_400000_NS6detail17trampoline_kernelINS0_14default_configENS1_20scan_config_selectorIxEEZZNS1_9scan_implILNS1_25lookback_scan_determinismE0ELb1ELb1ES3_N6thrust23THRUST_200600_302600_NS6detail15normal_iteratorINS9_10device_ptrIxEEEESE_x11max_functorIxExEEDaPvRmT3_T4_T5_mT6_P12ihipStream_tbENKUlT_T0_E_clISt17integral_constantIbLb0EEST_IbLb1EEEEDaSP_SQ_EUlSP_E_NS1_11comp_targetILNS1_3genE5ELNS1_11target_archE942ELNS1_3gpuE9ELNS1_3repE0EEENS1_30default_config_static_selectorELNS0_4arch9wavefront6targetE1EEEvT1_,"axG",@progbits,_ZN7rocprim17ROCPRIM_400000_NS6detail17trampoline_kernelINS0_14default_configENS1_20scan_config_selectorIxEEZZNS1_9scan_implILNS1_25lookback_scan_determinismE0ELb1ELb1ES3_N6thrust23THRUST_200600_302600_NS6detail15normal_iteratorINS9_10device_ptrIxEEEESE_x11max_functorIxExEEDaPvRmT3_T4_T5_mT6_P12ihipStream_tbENKUlT_T0_E_clISt17integral_constantIbLb0EEST_IbLb1EEEEDaSP_SQ_EUlSP_E_NS1_11comp_targetILNS1_3genE5ELNS1_11target_archE942ELNS1_3gpuE9ELNS1_3repE0EEENS1_30default_config_static_selectorELNS0_4arch9wavefront6targetE1EEEvT1_,comdat
	.protected	_ZN7rocprim17ROCPRIM_400000_NS6detail17trampoline_kernelINS0_14default_configENS1_20scan_config_selectorIxEEZZNS1_9scan_implILNS1_25lookback_scan_determinismE0ELb1ELb1ES3_N6thrust23THRUST_200600_302600_NS6detail15normal_iteratorINS9_10device_ptrIxEEEESE_x11max_functorIxExEEDaPvRmT3_T4_T5_mT6_P12ihipStream_tbENKUlT_T0_E_clISt17integral_constantIbLb0EEST_IbLb1EEEEDaSP_SQ_EUlSP_E_NS1_11comp_targetILNS1_3genE5ELNS1_11target_archE942ELNS1_3gpuE9ELNS1_3repE0EEENS1_30default_config_static_selectorELNS0_4arch9wavefront6targetE1EEEvT1_ ; -- Begin function _ZN7rocprim17ROCPRIM_400000_NS6detail17trampoline_kernelINS0_14default_configENS1_20scan_config_selectorIxEEZZNS1_9scan_implILNS1_25lookback_scan_determinismE0ELb1ELb1ES3_N6thrust23THRUST_200600_302600_NS6detail15normal_iteratorINS9_10device_ptrIxEEEESE_x11max_functorIxExEEDaPvRmT3_T4_T5_mT6_P12ihipStream_tbENKUlT_T0_E_clISt17integral_constantIbLb0EEST_IbLb1EEEEDaSP_SQ_EUlSP_E_NS1_11comp_targetILNS1_3genE5ELNS1_11target_archE942ELNS1_3gpuE9ELNS1_3repE0EEENS1_30default_config_static_selectorELNS0_4arch9wavefront6targetE1EEEvT1_
	.globl	_ZN7rocprim17ROCPRIM_400000_NS6detail17trampoline_kernelINS0_14default_configENS1_20scan_config_selectorIxEEZZNS1_9scan_implILNS1_25lookback_scan_determinismE0ELb1ELb1ES3_N6thrust23THRUST_200600_302600_NS6detail15normal_iteratorINS9_10device_ptrIxEEEESE_x11max_functorIxExEEDaPvRmT3_T4_T5_mT6_P12ihipStream_tbENKUlT_T0_E_clISt17integral_constantIbLb0EEST_IbLb1EEEEDaSP_SQ_EUlSP_E_NS1_11comp_targetILNS1_3genE5ELNS1_11target_archE942ELNS1_3gpuE9ELNS1_3repE0EEENS1_30default_config_static_selectorELNS0_4arch9wavefront6targetE1EEEvT1_
	.p2align	8
	.type	_ZN7rocprim17ROCPRIM_400000_NS6detail17trampoline_kernelINS0_14default_configENS1_20scan_config_selectorIxEEZZNS1_9scan_implILNS1_25lookback_scan_determinismE0ELb1ELb1ES3_N6thrust23THRUST_200600_302600_NS6detail15normal_iteratorINS9_10device_ptrIxEEEESE_x11max_functorIxExEEDaPvRmT3_T4_T5_mT6_P12ihipStream_tbENKUlT_T0_E_clISt17integral_constantIbLb0EEST_IbLb1EEEEDaSP_SQ_EUlSP_E_NS1_11comp_targetILNS1_3genE5ELNS1_11target_archE942ELNS1_3gpuE9ELNS1_3repE0EEENS1_30default_config_static_selectorELNS0_4arch9wavefront6targetE1EEEvT1_,@function
_ZN7rocprim17ROCPRIM_400000_NS6detail17trampoline_kernelINS0_14default_configENS1_20scan_config_selectorIxEEZZNS1_9scan_implILNS1_25lookback_scan_determinismE0ELb1ELb1ES3_N6thrust23THRUST_200600_302600_NS6detail15normal_iteratorINS9_10device_ptrIxEEEESE_x11max_functorIxExEEDaPvRmT3_T4_T5_mT6_P12ihipStream_tbENKUlT_T0_E_clISt17integral_constantIbLb0EEST_IbLb1EEEEDaSP_SQ_EUlSP_E_NS1_11comp_targetILNS1_3genE5ELNS1_11target_archE942ELNS1_3gpuE9ELNS1_3repE0EEENS1_30default_config_static_selectorELNS0_4arch9wavefront6targetE1EEEvT1_: ; @_ZN7rocprim17ROCPRIM_400000_NS6detail17trampoline_kernelINS0_14default_configENS1_20scan_config_selectorIxEEZZNS1_9scan_implILNS1_25lookback_scan_determinismE0ELb1ELb1ES3_N6thrust23THRUST_200600_302600_NS6detail15normal_iteratorINS9_10device_ptrIxEEEESE_x11max_functorIxExEEDaPvRmT3_T4_T5_mT6_P12ihipStream_tbENKUlT_T0_E_clISt17integral_constantIbLb0EEST_IbLb1EEEEDaSP_SQ_EUlSP_E_NS1_11comp_targetILNS1_3genE5ELNS1_11target_archE942ELNS1_3gpuE9ELNS1_3repE0EEENS1_30default_config_static_selectorELNS0_4arch9wavefront6targetE1EEEvT1_
; %bb.0:
	.section	.rodata,"a",@progbits
	.p2align	6, 0x0
	.amdhsa_kernel _ZN7rocprim17ROCPRIM_400000_NS6detail17trampoline_kernelINS0_14default_configENS1_20scan_config_selectorIxEEZZNS1_9scan_implILNS1_25lookback_scan_determinismE0ELb1ELb1ES3_N6thrust23THRUST_200600_302600_NS6detail15normal_iteratorINS9_10device_ptrIxEEEESE_x11max_functorIxExEEDaPvRmT3_T4_T5_mT6_P12ihipStream_tbENKUlT_T0_E_clISt17integral_constantIbLb0EEST_IbLb1EEEEDaSP_SQ_EUlSP_E_NS1_11comp_targetILNS1_3genE5ELNS1_11target_archE942ELNS1_3gpuE9ELNS1_3repE0EEENS1_30default_config_static_selectorELNS0_4arch9wavefront6targetE1EEEvT1_
		.amdhsa_group_segment_fixed_size 0
		.amdhsa_private_segment_fixed_size 0
		.amdhsa_kernarg_size 104
		.amdhsa_user_sgpr_count 6
		.amdhsa_user_sgpr_private_segment_buffer 1
		.amdhsa_user_sgpr_dispatch_ptr 0
		.amdhsa_user_sgpr_queue_ptr 0
		.amdhsa_user_sgpr_kernarg_segment_ptr 1
		.amdhsa_user_sgpr_dispatch_id 0
		.amdhsa_user_sgpr_flat_scratch_init 0
		.amdhsa_user_sgpr_kernarg_preload_length 0
		.amdhsa_user_sgpr_kernarg_preload_offset 0
		.amdhsa_user_sgpr_private_segment_size 0
		.amdhsa_uses_dynamic_stack 0
		.amdhsa_system_sgpr_private_segment_wavefront_offset 0
		.amdhsa_system_sgpr_workgroup_id_x 1
		.amdhsa_system_sgpr_workgroup_id_y 0
		.amdhsa_system_sgpr_workgroup_id_z 0
		.amdhsa_system_sgpr_workgroup_info 0
		.amdhsa_system_vgpr_workitem_id 0
		.amdhsa_next_free_vgpr 1
		.amdhsa_next_free_sgpr 0
		.amdhsa_accum_offset 4
		.amdhsa_reserve_vcc 0
		.amdhsa_reserve_flat_scratch 0
		.amdhsa_float_round_mode_32 0
		.amdhsa_float_round_mode_16_64 0
		.amdhsa_float_denorm_mode_32 3
		.amdhsa_float_denorm_mode_16_64 3
		.amdhsa_dx10_clamp 1
		.amdhsa_ieee_mode 1
		.amdhsa_fp16_overflow 0
		.amdhsa_tg_split 0
		.amdhsa_exception_fp_ieee_invalid_op 0
		.amdhsa_exception_fp_denorm_src 0
		.amdhsa_exception_fp_ieee_div_zero 0
		.amdhsa_exception_fp_ieee_overflow 0
		.amdhsa_exception_fp_ieee_underflow 0
		.amdhsa_exception_fp_ieee_inexact 0
		.amdhsa_exception_int_div_zero 0
	.end_amdhsa_kernel
	.section	.text._ZN7rocprim17ROCPRIM_400000_NS6detail17trampoline_kernelINS0_14default_configENS1_20scan_config_selectorIxEEZZNS1_9scan_implILNS1_25lookback_scan_determinismE0ELb1ELb1ES3_N6thrust23THRUST_200600_302600_NS6detail15normal_iteratorINS9_10device_ptrIxEEEESE_x11max_functorIxExEEDaPvRmT3_T4_T5_mT6_P12ihipStream_tbENKUlT_T0_E_clISt17integral_constantIbLb0EEST_IbLb1EEEEDaSP_SQ_EUlSP_E_NS1_11comp_targetILNS1_3genE5ELNS1_11target_archE942ELNS1_3gpuE9ELNS1_3repE0EEENS1_30default_config_static_selectorELNS0_4arch9wavefront6targetE1EEEvT1_,"axG",@progbits,_ZN7rocprim17ROCPRIM_400000_NS6detail17trampoline_kernelINS0_14default_configENS1_20scan_config_selectorIxEEZZNS1_9scan_implILNS1_25lookback_scan_determinismE0ELb1ELb1ES3_N6thrust23THRUST_200600_302600_NS6detail15normal_iteratorINS9_10device_ptrIxEEEESE_x11max_functorIxExEEDaPvRmT3_T4_T5_mT6_P12ihipStream_tbENKUlT_T0_E_clISt17integral_constantIbLb0EEST_IbLb1EEEEDaSP_SQ_EUlSP_E_NS1_11comp_targetILNS1_3genE5ELNS1_11target_archE942ELNS1_3gpuE9ELNS1_3repE0EEENS1_30default_config_static_selectorELNS0_4arch9wavefront6targetE1EEEvT1_,comdat
.Lfunc_end2685:
	.size	_ZN7rocprim17ROCPRIM_400000_NS6detail17trampoline_kernelINS0_14default_configENS1_20scan_config_selectorIxEEZZNS1_9scan_implILNS1_25lookback_scan_determinismE0ELb1ELb1ES3_N6thrust23THRUST_200600_302600_NS6detail15normal_iteratorINS9_10device_ptrIxEEEESE_x11max_functorIxExEEDaPvRmT3_T4_T5_mT6_P12ihipStream_tbENKUlT_T0_E_clISt17integral_constantIbLb0EEST_IbLb1EEEEDaSP_SQ_EUlSP_E_NS1_11comp_targetILNS1_3genE5ELNS1_11target_archE942ELNS1_3gpuE9ELNS1_3repE0EEENS1_30default_config_static_selectorELNS0_4arch9wavefront6targetE1EEEvT1_, .Lfunc_end2685-_ZN7rocprim17ROCPRIM_400000_NS6detail17trampoline_kernelINS0_14default_configENS1_20scan_config_selectorIxEEZZNS1_9scan_implILNS1_25lookback_scan_determinismE0ELb1ELb1ES3_N6thrust23THRUST_200600_302600_NS6detail15normal_iteratorINS9_10device_ptrIxEEEESE_x11max_functorIxExEEDaPvRmT3_T4_T5_mT6_P12ihipStream_tbENKUlT_T0_E_clISt17integral_constantIbLb0EEST_IbLb1EEEEDaSP_SQ_EUlSP_E_NS1_11comp_targetILNS1_3genE5ELNS1_11target_archE942ELNS1_3gpuE9ELNS1_3repE0EEENS1_30default_config_static_selectorELNS0_4arch9wavefront6targetE1EEEvT1_
                                        ; -- End function
	.section	.AMDGPU.csdata,"",@progbits
; Kernel info:
; codeLenInByte = 0
; NumSgprs: 4
; NumVgprs: 0
; NumAgprs: 0
; TotalNumVgprs: 0
; ScratchSize: 0
; MemoryBound: 0
; FloatMode: 240
; IeeeMode: 1
; LDSByteSize: 0 bytes/workgroup (compile time only)
; SGPRBlocks: 0
; VGPRBlocks: 0
; NumSGPRsForWavesPerEU: 4
; NumVGPRsForWavesPerEU: 1
; AccumOffset: 4
; Occupancy: 8
; WaveLimiterHint : 0
; COMPUTE_PGM_RSRC2:SCRATCH_EN: 0
; COMPUTE_PGM_RSRC2:USER_SGPR: 6
; COMPUTE_PGM_RSRC2:TRAP_HANDLER: 0
; COMPUTE_PGM_RSRC2:TGID_X_EN: 1
; COMPUTE_PGM_RSRC2:TGID_Y_EN: 0
; COMPUTE_PGM_RSRC2:TGID_Z_EN: 0
; COMPUTE_PGM_RSRC2:TIDIG_COMP_CNT: 0
; COMPUTE_PGM_RSRC3_GFX90A:ACCUM_OFFSET: 0
; COMPUTE_PGM_RSRC3_GFX90A:TG_SPLIT: 0
	.section	.text._ZN7rocprim17ROCPRIM_400000_NS6detail17trampoline_kernelINS0_14default_configENS1_20scan_config_selectorIxEEZZNS1_9scan_implILNS1_25lookback_scan_determinismE0ELb1ELb1ES3_N6thrust23THRUST_200600_302600_NS6detail15normal_iteratorINS9_10device_ptrIxEEEESE_x11max_functorIxExEEDaPvRmT3_T4_T5_mT6_P12ihipStream_tbENKUlT_T0_E_clISt17integral_constantIbLb0EEST_IbLb1EEEEDaSP_SQ_EUlSP_E_NS1_11comp_targetILNS1_3genE4ELNS1_11target_archE910ELNS1_3gpuE8ELNS1_3repE0EEENS1_30default_config_static_selectorELNS0_4arch9wavefront6targetE1EEEvT1_,"axG",@progbits,_ZN7rocprim17ROCPRIM_400000_NS6detail17trampoline_kernelINS0_14default_configENS1_20scan_config_selectorIxEEZZNS1_9scan_implILNS1_25lookback_scan_determinismE0ELb1ELb1ES3_N6thrust23THRUST_200600_302600_NS6detail15normal_iteratorINS9_10device_ptrIxEEEESE_x11max_functorIxExEEDaPvRmT3_T4_T5_mT6_P12ihipStream_tbENKUlT_T0_E_clISt17integral_constantIbLb0EEST_IbLb1EEEEDaSP_SQ_EUlSP_E_NS1_11comp_targetILNS1_3genE4ELNS1_11target_archE910ELNS1_3gpuE8ELNS1_3repE0EEENS1_30default_config_static_selectorELNS0_4arch9wavefront6targetE1EEEvT1_,comdat
	.protected	_ZN7rocprim17ROCPRIM_400000_NS6detail17trampoline_kernelINS0_14default_configENS1_20scan_config_selectorIxEEZZNS1_9scan_implILNS1_25lookback_scan_determinismE0ELb1ELb1ES3_N6thrust23THRUST_200600_302600_NS6detail15normal_iteratorINS9_10device_ptrIxEEEESE_x11max_functorIxExEEDaPvRmT3_T4_T5_mT6_P12ihipStream_tbENKUlT_T0_E_clISt17integral_constantIbLb0EEST_IbLb1EEEEDaSP_SQ_EUlSP_E_NS1_11comp_targetILNS1_3genE4ELNS1_11target_archE910ELNS1_3gpuE8ELNS1_3repE0EEENS1_30default_config_static_selectorELNS0_4arch9wavefront6targetE1EEEvT1_ ; -- Begin function _ZN7rocprim17ROCPRIM_400000_NS6detail17trampoline_kernelINS0_14default_configENS1_20scan_config_selectorIxEEZZNS1_9scan_implILNS1_25lookback_scan_determinismE0ELb1ELb1ES3_N6thrust23THRUST_200600_302600_NS6detail15normal_iteratorINS9_10device_ptrIxEEEESE_x11max_functorIxExEEDaPvRmT3_T4_T5_mT6_P12ihipStream_tbENKUlT_T0_E_clISt17integral_constantIbLb0EEST_IbLb1EEEEDaSP_SQ_EUlSP_E_NS1_11comp_targetILNS1_3genE4ELNS1_11target_archE910ELNS1_3gpuE8ELNS1_3repE0EEENS1_30default_config_static_selectorELNS0_4arch9wavefront6targetE1EEEvT1_
	.globl	_ZN7rocprim17ROCPRIM_400000_NS6detail17trampoline_kernelINS0_14default_configENS1_20scan_config_selectorIxEEZZNS1_9scan_implILNS1_25lookback_scan_determinismE0ELb1ELb1ES3_N6thrust23THRUST_200600_302600_NS6detail15normal_iteratorINS9_10device_ptrIxEEEESE_x11max_functorIxExEEDaPvRmT3_T4_T5_mT6_P12ihipStream_tbENKUlT_T0_E_clISt17integral_constantIbLb0EEST_IbLb1EEEEDaSP_SQ_EUlSP_E_NS1_11comp_targetILNS1_3genE4ELNS1_11target_archE910ELNS1_3gpuE8ELNS1_3repE0EEENS1_30default_config_static_selectorELNS0_4arch9wavefront6targetE1EEEvT1_
	.p2align	8
	.type	_ZN7rocprim17ROCPRIM_400000_NS6detail17trampoline_kernelINS0_14default_configENS1_20scan_config_selectorIxEEZZNS1_9scan_implILNS1_25lookback_scan_determinismE0ELb1ELb1ES3_N6thrust23THRUST_200600_302600_NS6detail15normal_iteratorINS9_10device_ptrIxEEEESE_x11max_functorIxExEEDaPvRmT3_T4_T5_mT6_P12ihipStream_tbENKUlT_T0_E_clISt17integral_constantIbLb0EEST_IbLb1EEEEDaSP_SQ_EUlSP_E_NS1_11comp_targetILNS1_3genE4ELNS1_11target_archE910ELNS1_3gpuE8ELNS1_3repE0EEENS1_30default_config_static_selectorELNS0_4arch9wavefront6targetE1EEEvT1_,@function
_ZN7rocprim17ROCPRIM_400000_NS6detail17trampoline_kernelINS0_14default_configENS1_20scan_config_selectorIxEEZZNS1_9scan_implILNS1_25lookback_scan_determinismE0ELb1ELb1ES3_N6thrust23THRUST_200600_302600_NS6detail15normal_iteratorINS9_10device_ptrIxEEEESE_x11max_functorIxExEEDaPvRmT3_T4_T5_mT6_P12ihipStream_tbENKUlT_T0_E_clISt17integral_constantIbLb0EEST_IbLb1EEEEDaSP_SQ_EUlSP_E_NS1_11comp_targetILNS1_3genE4ELNS1_11target_archE910ELNS1_3gpuE8ELNS1_3repE0EEENS1_30default_config_static_selectorELNS0_4arch9wavefront6targetE1EEEvT1_: ; @_ZN7rocprim17ROCPRIM_400000_NS6detail17trampoline_kernelINS0_14default_configENS1_20scan_config_selectorIxEEZZNS1_9scan_implILNS1_25lookback_scan_determinismE0ELb1ELb1ES3_N6thrust23THRUST_200600_302600_NS6detail15normal_iteratorINS9_10device_ptrIxEEEESE_x11max_functorIxExEEDaPvRmT3_T4_T5_mT6_P12ihipStream_tbENKUlT_T0_E_clISt17integral_constantIbLb0EEST_IbLb1EEEEDaSP_SQ_EUlSP_E_NS1_11comp_targetILNS1_3genE4ELNS1_11target_archE910ELNS1_3gpuE8ELNS1_3repE0EEENS1_30default_config_static_selectorELNS0_4arch9wavefront6targetE1EEEvT1_
; %bb.0:
	s_load_dwordx8 s[24:31], s[4:5], 0x0
	s_load_dwordx2 s[34:35], s[4:5], 0x20
	s_load_dwordx2 s[14:15], s[4:5], 0x30
	v_cmp_ne_u32_e64 s[2:3], 0, v0
	v_cmp_eq_u32_e64 s[0:1], 0, v0
	s_and_saveexec_b64 s[6:7], s[0:1]
	s_cbranch_execz .LBB2686_4
; %bb.1:
	s_mov_b64 s[10:11], exec
	v_mbcnt_lo_u32_b32 v1, s10, 0
	v_mbcnt_hi_u32_b32 v1, s11, v1
	v_cmp_eq_u32_e32 vcc, 0, v1
                                        ; implicit-def: $vgpr2
	s_and_saveexec_b64 s[8:9], vcc
	s_cbranch_execz .LBB2686_3
; %bb.2:
	s_load_dwordx2 s[12:13], s[4:5], 0x60
	s_bcnt1_i32_b64 s10, s[10:11]
	v_mov_b32_e32 v2, 0
	v_mov_b32_e32 v3, s10
	s_waitcnt lgkmcnt(0)
	global_atomic_add v2, v2, v3, s[12:13] glc
.LBB2686_3:
	s_or_b64 exec, exec, s[8:9]
	s_waitcnt vmcnt(0)
	v_readfirstlane_b32 s8, v2
	v_add_u32_e32 v1, s8, v1
	v_mov_b32_e32 v2, 0
	ds_write_b32 v2, v1
.LBB2686_4:
	s_or_b64 exec, exec, s[6:7]
	s_load_dword s6, s[4:5], 0x38
	s_load_dwordx8 s[16:23], s[4:5], 0x40
	v_mov_b32_e32 v1, 0
	s_waitcnt lgkmcnt(0)
	s_barrier
	ds_read_b32 v1, v1
	s_lshl_b64 s[26:27], s[26:27], 3
	s_add_u32 s39, s24, s26
	s_addc_u32 s40, s25, s27
	s_add_i32 s6, s6, -1
	s_mul_i32 s7, s6, 0x380
	s_sub_u32 s33, s30, s7
	s_waitcnt lgkmcnt(0)
	v_readfirstlane_b32 s41, v1
	s_subb_u32 s38, s31, 0
	s_mul_i32 s4, s41, 0x380
	s_mov_b32 s5, 0
	s_cmp_lg_u32 s41, s6
	s_cselect_b64 s[24:25], -1, 0
	s_lshl_b64 s[30:31], s[4:5], 3
	s_add_u32 s6, s39, s30
	s_addc_u32 s7, s40, s31
	s_mov_b64 s[4:5], -1
	s_and_b64 vcc, exec, s[24:25]
	v_lshlrev_b32_e32 v36, 3, v0
	s_barrier
	s_cbranch_vccz .LBB2686_6
; %bb.5:
	v_mov_b32_e32 v1, s7
	v_add_co_u32_e32 v2, vcc, s6, v36
	v_addc_co_u32_e32 v3, vcc, 0, v1, vcc
	flat_load_dwordx2 v[4:5], v[2:3]
	flat_load_dwordx2 v[6:7], v[2:3] offset:1024
	flat_load_dwordx2 v[8:9], v[2:3] offset:2048
	;; [unrolled: 1-line block ×3, first 2 shown]
	v_add_co_u32_e32 v2, vcc, 0x1000, v2
	v_addc_co_u32_e32 v3, vcc, 0, v3, vcc
	flat_load_dwordx2 v[12:13], v[2:3]
	flat_load_dwordx2 v[14:15], v[2:3] offset:1024
	flat_load_dwordx2 v[16:17], v[2:3] offset:2048
	s_mov_b64 s[4:5], 0
	s_waitcnt vmcnt(0) lgkmcnt(0)
	ds_write2st64_b64 v36, v[4:5], v[6:7] offset1:2
	ds_write2st64_b64 v36, v[8:9], v[10:11] offset0:4 offset1:6
	ds_write2st64_b64 v36, v[12:13], v[14:15] offset0:8 offset1:10
	ds_write_b64 v36, v[16:17] offset:6144
	s_waitcnt lgkmcnt(0)
	s_barrier
.LBB2686_6:
	s_andn2_b64 vcc, exec, s[4:5]
	v_cmp_gt_u32_e64 s[4:5], s33, v0
	s_cbranch_vccnz .LBB2686_22
; %bb.7:
	v_pk_mov_b32 v[2:3], s[6:7], s[6:7] op_sel:[0,1]
	flat_load_dwordx2 v[2:3], v[2:3]
	s_waitcnt vmcnt(0) lgkmcnt(0)
	v_mov_b32_e32 v4, v2
	v_mov_b32_e32 v5, v3
	;; [unrolled: 1-line block ×10, first 2 shown]
	v_pk_mov_b32 v[18:19], v[14:15], v[14:15] op_sel:[0,1]
	v_pk_mov_b32 v[16:17], v[12:13], v[12:13] op_sel:[0,1]
	;; [unrolled: 1-line block ×8, first 2 shown]
	s_and_saveexec_b64 s[8:9], s[4:5]
	s_cbranch_execz .LBB2686_9
; %bb.8:
	v_mov_b32_e32 v1, s7
	v_add_co_u32_e32 v4, vcc, s6, v36
	v_addc_co_u32_e32 v5, vcc, 0, v1, vcc
	flat_load_dwordx2 v[20:21], v[4:5]
	v_mov_b32_e32 v4, v2
	v_mov_b32_e32 v5, v3
	;; [unrolled: 1-line block ×10, first 2 shown]
	v_pk_mov_b32 v[18:19], v[14:15], v[14:15] op_sel:[0,1]
	v_pk_mov_b32 v[16:17], v[12:13], v[12:13] op_sel:[0,1]
	;; [unrolled: 1-line block ×8, first 2 shown]
	s_waitcnt vmcnt(0) lgkmcnt(0)
	v_pk_mov_b32 v[2:3], v[20:21], v[20:21] op_sel:[0,1]
.LBB2686_9:
	s_or_b64 exec, exec, s[8:9]
	v_or_b32_e32 v1, 0x80, v0
	v_cmp_gt_u32_e32 vcc, s33, v1
	s_and_saveexec_b64 s[4:5], vcc
	s_cbranch_execz .LBB2686_11
; %bb.10:
	v_mov_b32_e32 v1, s7
	v_add_co_u32_e32 v4, vcc, s6, v36
	v_addc_co_u32_e32 v5, vcc, 0, v1, vcc
	flat_load_dwordx2 v[6:7], v[4:5] offset:1024
.LBB2686_11:
	s_or_b64 exec, exec, s[4:5]
	v_or_b32_e32 v1, 0x100, v0
	v_cmp_gt_u32_e32 vcc, s33, v1
	s_and_saveexec_b64 s[4:5], vcc
	s_cbranch_execz .LBB2686_13
; %bb.12:
	v_mov_b32_e32 v1, s7
	v_add_co_u32_e32 v4, vcc, s6, v36
	v_addc_co_u32_e32 v5, vcc, 0, v1, vcc
	flat_load_dwordx2 v[8:9], v[4:5] offset:2048
.LBB2686_13:
	;; [unrolled: 11-line block ×3, first 2 shown]
	s_or_b64 exec, exec, s[4:5]
	v_or_b32_e32 v1, 0x200, v0
	v_cmp_gt_u32_e32 vcc, s33, v1
	s_and_saveexec_b64 s[4:5], vcc
	s_cbranch_execz .LBB2686_17
; %bb.16:
	v_lshlrev_b32_e32 v1, 3, v1
	v_mov_b32_e32 v5, s7
	v_add_co_u32_e32 v4, vcc, s6, v1
	v_addc_co_u32_e32 v5, vcc, 0, v5, vcc
	flat_load_dwordx2 v[12:13], v[4:5]
.LBB2686_17:
	s_or_b64 exec, exec, s[4:5]
	v_or_b32_e32 v1, 0x280, v0
	v_cmp_gt_u32_e32 vcc, s33, v1
	s_and_saveexec_b64 s[4:5], vcc
	s_cbranch_execz .LBB2686_19
; %bb.18:
	v_lshlrev_b32_e32 v1, 3, v1
	v_mov_b32_e32 v5, s7
	v_add_co_u32_e32 v4, vcc, s6, v1
	v_addc_co_u32_e32 v5, vcc, 0, v5, vcc
	flat_load_dwordx2 v[14:15], v[4:5]
.LBB2686_19:
	;; [unrolled: 12-line block ×3, first 2 shown]
	s_or_b64 exec, exec, s[4:5]
	s_waitcnt vmcnt(0) lgkmcnt(0)
	ds_write2st64_b64 v36, v[2:3], v[6:7] offset1:2
	ds_write2st64_b64 v36, v[8:9], v[10:11] offset0:4 offset1:6
	ds_write2st64_b64 v36, v[12:13], v[14:15] offset0:8 offset1:10
	ds_write_b64 v36, v[16:17] offset:6144
	s_waitcnt lgkmcnt(0)
	s_barrier
.LBB2686_22:
	v_mul_u32_u24_e32 v37, 7, v0
	v_lshlrev_b32_e32 v38, 3, v37
	ds_read2_b64 v[10:13], v38 offset1:1
	ds_read2_b64 v[6:9], v38 offset0:2 offset1:3
	ds_read2_b64 v[2:5], v38 offset0:4 offset1:5
	ds_read_b64 v[26:27], v38 offset:48
	s_cmp_lg_u32 s41, 0
	s_waitcnt lgkmcnt(3)
	v_cmp_gt_i64_e64 s[4:5], v[10:11], v[12:13]
	v_lshrrev_b32_e32 v1, 5, v0
	v_cmp_gt_u32_e32 vcc, 64, v0
	s_waitcnt lgkmcnt(0)
	s_barrier
	s_cbranch_scc0 .LBB2686_49
; %bb.23:
	v_cndmask_b32_e64 v15, v13, v11, s[4:5]
	v_cndmask_b32_e64 v14, v12, v10, s[4:5]
	v_cmp_gt_i64_e64 s[4:5], v[14:15], v[6:7]
	v_cndmask_b32_e64 v15, v7, v15, s[4:5]
	v_cndmask_b32_e64 v14, v6, v14, s[4:5]
	v_cmp_gt_i64_e64 s[4:5], v[14:15], v[8:9]
	;; [unrolled: 3-line block ×5, first 2 shown]
	v_cndmask_b32_e64 v23, v27, v15, s[4:5]
	v_cndmask_b32_e64 v22, v26, v14, s[4:5]
	v_add_lshl_u32 v14, v1, v0, 3
	ds_write_b64 v14, v[22:23]
	s_waitcnt lgkmcnt(0)
	s_barrier
	s_and_saveexec_b64 s[8:9], vcc
	s_cbranch_execz .LBB2686_27
; %bb.24:
	v_lshlrev_b32_e32 v14, 1, v0
	v_lshrrev_b32_e32 v15, 4, v0
	v_add_lshl_u32 v24, v15, v14, 3
	ds_read2_b64 v[14:17], v24 offset1:1
	v_mbcnt_lo_u32_b32 v18, -1, 0
	v_mbcnt_hi_u32_b32 v25, -1, v18
	v_and_b32_e32 v28, 15, v25
	v_and_b32_e32 v30, 16, v25
	s_waitcnt lgkmcnt(0)
	v_cmp_gt_i64_e64 s[4:5], v[14:15], v[16:17]
	v_cndmask_b32_e64 v17, v17, v15, s[4:5]
	v_cndmask_b32_e64 v16, v16, v14, s[4:5]
	v_cmp_ne_u32_e64 s[6:7], 0, v25
	v_mov_b32_dpp v19, v17 row_shr:1 row_mask:0xf bank_mask:0xf
	v_mov_b32_dpp v18, v16 row_shr:1 row_mask:0xf bank_mask:0xf
	v_cmp_gt_i64_e64 s[4:5], v[18:19], v[16:17]
	v_cndmask_b32_e64 v18, v16, v18, s[4:5]
	v_cndmask_b32_e64 v19, v17, v19, s[4:5]
	v_cmp_eq_u32_e64 s[4:5], 0, v28
	v_cndmask_b32_e64 v19, v19, v17, s[4:5]
	v_cndmask_b32_e64 v18, v18, v16, s[4:5]
	s_nop 0
	v_mov_b32_dpp v21, v19 row_shr:2 row_mask:0xf bank_mask:0xf
	v_mov_b32_dpp v20, v18 row_shr:2 row_mask:0xf bank_mask:0xf
	v_cmp_gt_i64_e64 s[4:5], v[20:21], v[18:19]
	v_cndmask_b32_e64 v20, v18, v20, s[4:5]
	v_cndmask_b32_e64 v21, v19, v21, s[4:5]
	v_cmp_lt_u32_e64 s[4:5], 1, v28
	v_cndmask_b32_e64 v19, v19, v21, s[4:5]
	v_cndmask_b32_e64 v18, v18, v20, s[4:5]
	s_nop 0
	v_mov_b32_dpp v21, v19 row_shr:4 row_mask:0xf bank_mask:0xf
	v_mov_b32_dpp v20, v18 row_shr:4 row_mask:0xf bank_mask:0xf
	v_cmp_gt_i64_e64 s[4:5], v[20:21], v[18:19]
	v_cndmask_b32_e64 v20, v18, v20, s[4:5]
	v_cndmask_b32_e64 v21, v19, v21, s[4:5]
	v_cmp_lt_u32_e64 s[4:5], 3, v28
	;; [unrolled: 9-line block ×3, first 2 shown]
	v_cndmask_b32_e64 v19, v19, v21, s[4:5]
	v_cndmask_b32_e64 v18, v18, v20, s[4:5]
	s_nop 0
	v_mov_b32_dpp v21, v19 row_bcast:15 row_mask:0xf bank_mask:0xf
	v_mov_b32_dpp v20, v18 row_bcast:15 row_mask:0xf bank_mask:0xf
	v_cmp_gt_i64_e64 s[4:5], v[20:21], v[18:19]
	v_cndmask_b32_e64 v28, v19, v21, s[4:5]
	v_cndmask_b32_e64 v29, v18, v20, s[4:5]
	v_cmp_eq_u32_e64 s[4:5], 0, v30
	v_cndmask_b32_e64 v21, v28, v19, s[4:5]
	v_cndmask_b32_e64 v20, v29, v18, s[4:5]
	s_nop 0
	v_mov_b32_dpp v21, v21 row_bcast:31 row_mask:0xf bank_mask:0xf
	v_mov_b32_dpp v20, v20 row_bcast:31 row_mask:0xf bank_mask:0xf
	s_and_saveexec_b64 s[10:11], s[6:7]
; %bb.25:
	v_cndmask_b32_e64 v17, v28, v19, s[4:5]
	v_cndmask_b32_e64 v16, v29, v18, s[4:5]
	v_cmp_lt_u32_e64 s[6:7], 31, v25
	v_cmp_gt_i64_e64 s[4:5], v[20:21], v[16:17]
	s_and_b64 s[4:5], s[6:7], s[4:5]
	v_cndmask_b32_e64 v16, v16, v20, s[4:5]
	v_cndmask_b32_e64 v17, v17, v21, s[4:5]
; %bb.26:
	s_or_b64 exec, exec, s[10:11]
	v_add_u32_e32 v18, -1, v25
	v_and_b32_e32 v19, 64, v25
	v_cmp_lt_i32_e64 s[4:5], v18, v19
	v_cndmask_b32_e64 v18, v18, v25, s[4:5]
	v_lshlrev_b32_e32 v18, 2, v18
	ds_bpermute_b32 v16, v18, v16
	ds_bpermute_b32 v17, v18, v17
	; wave barrier
	s_waitcnt lgkmcnt(0)
	v_cmp_gt_i64_e64 s[4:5], v[16:17], v[14:15]
	v_cndmask_b32_e64 v14, v14, v16, s[4:5]
	v_cndmask_b32_e64 v15, v15, v17, s[4:5]
	;; [unrolled: 1-line block ×4, first 2 shown]
	ds_write_b64 v24, v[14:15]
	; wave barrier
	ds_read_b64 v[16:17], v24 offset:8
	s_waitcnt lgkmcnt(0)
	v_cmp_gt_i64_e64 s[4:5], v[14:15], v[16:17]
	v_cndmask_b32_e64 v15, v17, v15, s[4:5]
	v_cndmask_b32_e64 v14, v16, v14, s[4:5]
	ds_write_b64 v24, v[14:15] offset:8
.LBB2686_27:
	s_or_b64 exec, exec, s[8:9]
	s_waitcnt lgkmcnt(0)
	s_barrier
	s_and_saveexec_b64 s[4:5], s[2:3]
	s_cbranch_execz .LBB2686_29
; %bb.28:
	v_add_u32_e32 v14, -1, v0
	v_lshrrev_b32_e32 v15, 5, v14
	v_add_lshl_u32 v14, v15, v14, 3
	ds_read_b64 v[22:23], v14
.LBB2686_29:
	s_or_b64 exec, exec, s[4:5]
	s_and_saveexec_b64 s[36:37], vcc
	s_cbranch_execz .LBB2686_48
; %bb.30:
	v_mov_b32_e32 v17, 0
	ds_read_b64 v[14:15], v17 offset:1040
	v_mbcnt_lo_u32_b32 v16, -1, 0
	v_mbcnt_hi_u32_b32 v25, -1, v16
	s_mov_b32 s9, 0
	v_cmp_eq_u32_e64 s[4:5], 0, v25
	s_and_saveexec_b64 s[6:7], s[4:5]
	s_cbranch_execz .LBB2686_32
; %bb.31:
	s_add_i32 s8, s41, 64
	s_lshl_b64 s[8:9], s[8:9], 4
	s_add_u32 s8, s14, s8
	s_addc_u32 s9, s15, s9
	v_mov_b32_e32 v16, 1
	v_pk_mov_b32 v[18:19], s[8:9], s[8:9] op_sel:[0,1]
	s_waitcnt lgkmcnt(0)
	;;#ASMSTART
	global_store_dwordx4 v[18:19], v[14:17] off	
s_waitcnt vmcnt(0)
	;;#ASMEND
.LBB2686_32:
	s_or_b64 exec, exec, s[6:7]
	v_xad_u32 v24, v25, -1, s41
	v_add_u32_e32 v16, 64, v24
	v_lshlrev_b64 v[18:19], 4, v[16:17]
	v_mov_b32_e32 v16, s15
	v_add_co_u32_e32 v28, vcc, s14, v18
	v_addc_co_u32_e32 v29, vcc, v16, v19, vcc
	;;#ASMSTART
	global_load_dwordx4 v[18:21], v[28:29] off glc	
s_waitcnt vmcnt(0)
	;;#ASMEND
	v_and_b32_e32 v16, 0xff, v19
	v_and_b32_e32 v21, 0xff00, v19
	v_or3_b32 v16, 0, v16, v21
	v_or3_b32 v18, v18, 0, 0
	v_and_b32_e32 v21, 0xff000000, v19
	v_and_b32_e32 v19, 0xff0000, v19
	v_or3_b32 v19, v16, v19, v21
	v_or3_b32 v18, v18, 0, 0
	v_cmp_eq_u16_sdwa s[8:9], v20, v17 src0_sel:BYTE_0 src1_sel:DWORD
	s_and_saveexec_b64 s[6:7], s[8:9]
	s_cbranch_execz .LBB2686_36
; %bb.33:
	s_mov_b64 s[8:9], 0
	v_mov_b32_e32 v16, 0
.LBB2686_34:                            ; =>This Inner Loop Header: Depth=1
	;;#ASMSTART
	global_load_dwordx4 v[18:21], v[28:29] off glc	
s_waitcnt vmcnt(0)
	;;#ASMEND
	v_cmp_ne_u16_sdwa s[10:11], v20, v16 src0_sel:BYTE_0 src1_sel:DWORD
	s_or_b64 s[8:9], s[10:11], s[8:9]
	s_andn2_b64 exec, exec, s[8:9]
	s_cbranch_execnz .LBB2686_34
; %bb.35:
	s_or_b64 exec, exec, s[8:9]
.LBB2686_36:
	s_or_b64 exec, exec, s[6:7]
	v_and_b32_e32 v33, 63, v25
	v_cmp_ne_u32_e32 vcc, 63, v33
	v_mov_b32_e32 v32, 2
	v_addc_co_u32_e32 v28, vcc, 0, v25, vcc
	v_cmp_eq_u16_sdwa s[6:7], v20, v32 src0_sel:BYTE_0 src1_sel:DWORD
	v_lshlrev_b64 v[16:17], v25, -1
	v_lshlrev_b32_e32 v34, 2, v28
	v_and_b32_e32 v21, s7, v17
	ds_bpermute_b32 v28, v34, v18
	ds_bpermute_b32 v29, v34, v19
	v_or_b32_e32 v21, 0x80000000, v21
	v_and_b32_e32 v30, s6, v16
	v_ffbl_b32_e32 v21, v21
	v_add_u32_e32 v21, 32, v21
	v_ffbl_b32_e32 v30, v30
	v_min_u32_e32 v21, v30, v21
	s_waitcnt lgkmcnt(0)
	v_cmp_gt_i64_e64 s[6:7], v[28:29], v[18:19]
	v_cmp_lt_u32_e32 vcc, v33, v21
	v_cndmask_b32_e64 v28, v18, v28, s[6:7]
	s_and_b64 s[6:7], vcc, s[6:7]
	v_cndmask_b32_e64 v29, v19, v29, s[6:7]
	v_cmp_gt_u32_e64 s[6:7], 62, v33
	v_cndmask_b32_e64 v30, 0, 1, s[6:7]
	v_lshlrev_b32_e32 v30, 1, v30
	v_cndmask_b32_e32 v28, v18, v28, vcc
	v_add_lshl_u32 v35, v30, v25, 2
	ds_bpermute_b32 v30, v35, v28
	ds_bpermute_b32 v31, v35, v29
	v_add_u32_e32 v39, 2, v33
	v_cmp_gt_u32_e64 s[8:9], 56, v33
	v_add_u32_e32 v41, 4, v33
	v_cndmask_b32_e64 v42, 0, 1, s[8:9]
	s_waitcnt lgkmcnt(0)
	v_cmp_gt_i64_e64 s[6:7], v[30:31], v[28:29]
	v_cndmask_b32_e64 v31, v29, v31, s[6:7]
	v_cndmask_b32_e64 v30, v28, v30, s[6:7]
	v_cmp_gt_u32_e64 s[6:7], v39, v21
	v_cndmask_b32_e64 v28, v30, v28, s[6:7]
	v_cndmask_b32_e64 v29, v31, v29, s[6:7]
	v_cmp_gt_u32_e64 s[6:7], 60, v33
	v_cndmask_b32_e64 v30, 0, 1, s[6:7]
	v_lshlrev_b32_e32 v30, 2, v30
	v_add_lshl_u32 v40, v30, v25, 2
	ds_bpermute_b32 v30, v40, v28
	ds_bpermute_b32 v31, v40, v29
	v_lshlrev_b32_e32 v42, 3, v42
	v_add_lshl_u32 v42, v42, v25, 2
	v_cmp_gt_u32_e64 s[10:11], 48, v33
	v_add_u32_e32 v43, 8, v33
	s_waitcnt lgkmcnt(0)
	v_cmp_gt_i64_e64 s[6:7], v[30:31], v[28:29]
	v_cndmask_b32_e64 v50, v29, v31, s[6:7]
	v_cndmask_b32_e64 v51, v28, v30, s[6:7]
	v_cmp_gt_u32_e64 s[6:7], v41, v21
	v_cndmask_b32_e64 v30, v51, v28, s[6:7]
	v_cndmask_b32_e64 v31, v50, v29, s[6:7]
	ds_bpermute_b32 v44, v42, v30
	ds_bpermute_b32 v45, v42, v31
	v_cmp_gt_u32_e64 s[12:13], 32, v33
	v_cndmask_b32_e32 v19, v19, v29, vcc
	v_cndmask_b32_e32 v18, v18, v28, vcc
	v_cndmask_b32_e64 v18, v51, v18, s[6:7]
	s_waitcnt lgkmcnt(0)
	v_cmp_gt_i64_e64 s[8:9], v[44:45], v[30:31]
	v_cndmask_b32_e64 v53, v30, v44, s[8:9]
	v_cndmask_b32_e64 v44, 0, 1, s[10:11]
	;; [unrolled: 1-line block ×3, first 2 shown]
	v_cmp_gt_u32_e64 s[8:9], v43, v21
	v_lshlrev_b32_e32 v44, 4, v44
	v_cndmask_b32_e64 v30, v53, v30, s[8:9]
	v_cndmask_b32_e64 v31, v52, v31, s[8:9]
	v_add_lshl_u32 v44, v44, v25, 2
	ds_bpermute_b32 v46, v44, v30
	ds_bpermute_b32 v47, v44, v31
	v_add_u32_e32 v45, 16, v33
	v_cndmask_b32_e64 v19, v50, v19, s[6:7]
	v_cndmask_b32_e64 v19, v52, v19, s[8:9]
	;; [unrolled: 1-line block ×3, first 2 shown]
	s_waitcnt lgkmcnt(0)
	v_cmp_gt_i64_e64 s[10:11], v[46:47], v[30:31]
	v_cndmask_b32_e64 v55, v30, v46, s[10:11]
	v_cndmask_b32_e64 v46, 0, 1, s[12:13]
	;; [unrolled: 1-line block ×3, first 2 shown]
	v_cmp_gt_u32_e64 s[10:11], v45, v21
	v_lshlrev_b32_e32 v46, 5, v46
	v_cndmask_b32_e64 v30, v55, v30, s[10:11]
	v_add_lshl_u32 v46, v46, v25, 2
	v_cndmask_b32_e64 v31, v54, v31, s[10:11]
	ds_bpermute_b32 v48, v46, v30
	ds_bpermute_b32 v49, v46, v31
	v_add_u32_e32 v47, 32, v33
	v_cndmask_b32_e64 v18, v55, v18, s[10:11]
	v_cndmask_b32_e64 v19, v54, v19, s[10:11]
	v_cmp_gt_u32_e32 vcc, v47, v21
	s_waitcnt lgkmcnt(0)
	v_cmp_gt_i64_e64 s[12:13], v[48:49], v[30:31]
	v_cndmask_b32_e64 v25, v30, v48, s[12:13]
	v_cndmask_b32_e64 v30, v31, v49, s[12:13]
	v_cndmask_b32_e32 v19, v30, v19, vcc
	v_cndmask_b32_e32 v18, v25, v18, vcc
	v_mov_b32_e32 v25, 0
	s_branch .LBB2686_38
.LBB2686_37:                            ;   in Loop: Header=BB2686_38 Depth=1
	s_or_b64 exec, exec, s[6:7]
	v_cmp_eq_u16_sdwa s[6:7], v20, v32 src0_sel:BYTE_0 src1_sel:DWORD
	v_and_b32_e32 v21, s7, v17
	ds_bpermute_b32 v30, v34, v18
	ds_bpermute_b32 v31, v34, v19
	v_or_b32_e32 v21, 0x80000000, v21
	v_and_b32_e32 v48, s6, v16
	v_ffbl_b32_e32 v21, v21
	v_add_u32_e32 v21, 32, v21
	v_ffbl_b32_e32 v48, v48
	v_min_u32_e32 v21, v48, v21
	s_waitcnt lgkmcnt(0)
	v_cmp_gt_i64_e32 vcc, v[30:31], v[18:19]
	v_cmp_lt_u32_e64 s[6:7], v33, v21
	v_cndmask_b32_e32 v30, v18, v30, vcc
	s_and_b64 vcc, s[6:7], vcc
	v_cndmask_b32_e64 v30, v18, v30, s[6:7]
	v_cndmask_b32_e32 v31, v19, v31, vcc
	ds_bpermute_b32 v48, v35, v30
	ds_bpermute_b32 v49, v35, v31
	v_subrev_u32_e32 v24, 64, v24
	s_waitcnt lgkmcnt(0)
	v_cmp_gt_i64_e32 vcc, v[48:49], v[30:31]
	v_cndmask_b32_e32 v49, v31, v49, vcc
	v_cndmask_b32_e32 v48, v30, v48, vcc
	v_cmp_gt_u32_e32 vcc, v39, v21
	v_cndmask_b32_e32 v30, v48, v30, vcc
	v_cndmask_b32_e32 v31, v49, v31, vcc
	ds_bpermute_b32 v48, v40, v30
	ds_bpermute_b32 v49, v40, v31
	v_cndmask_b32_e64 v19, v19, v31, s[6:7]
	v_cndmask_b32_e64 v18, v18, v30, s[6:7]
	s_waitcnt lgkmcnt(0)
	v_cmp_gt_i64_e32 vcc, v[48:49], v[30:31]
	v_cndmask_b32_e32 v52, v31, v49, vcc
	v_cndmask_b32_e32 v53, v30, v48, vcc
	v_cmp_gt_u32_e32 vcc, v41, v21
	v_cndmask_b32_e32 v48, v53, v30, vcc
	v_cndmask_b32_e32 v49, v52, v31, vcc
	ds_bpermute_b32 v50, v42, v48
	ds_bpermute_b32 v51, v42, v49
	v_cndmask_b32_e32 v18, v53, v18, vcc
	v_cndmask_b32_e32 v19, v52, v19, vcc
	v_cmp_gt_u32_e32 vcc, v47, v21
	s_waitcnt lgkmcnt(0)
	v_cmp_gt_i64_e64 s[8:9], v[50:51], v[48:49]
	v_cndmask_b32_e64 v54, v49, v51, s[8:9]
	v_cndmask_b32_e64 v55, v48, v50, s[8:9]
	v_cmp_gt_u32_e64 s[8:9], v43, v21
	v_cndmask_b32_e64 v48, v55, v48, s[8:9]
	v_cndmask_b32_e64 v49, v54, v49, s[8:9]
	ds_bpermute_b32 v50, v44, v48
	ds_bpermute_b32 v51, v44, v49
	v_cndmask_b32_e64 v19, v54, v19, s[8:9]
	v_cndmask_b32_e64 v18, v55, v18, s[8:9]
	s_waitcnt lgkmcnt(0)
	v_cmp_gt_i64_e64 s[10:11], v[50:51], v[48:49]
	v_cndmask_b32_e64 v56, v49, v51, s[10:11]
	v_cndmask_b32_e64 v57, v48, v50, s[10:11]
	v_cmp_gt_u32_e64 s[10:11], v45, v21
	v_cndmask_b32_e64 v48, v57, v48, s[10:11]
	v_cndmask_b32_e64 v49, v56, v49, s[10:11]
	ds_bpermute_b32 v50, v46, v48
	ds_bpermute_b32 v51, v46, v49
	v_cndmask_b32_e64 v18, v57, v18, s[10:11]
	v_cndmask_b32_e64 v19, v56, v19, s[10:11]
	s_waitcnt lgkmcnt(0)
	v_cmp_gt_i64_e64 s[12:13], v[50:51], v[48:49]
	v_cndmask_b32_e64 v48, v48, v50, s[12:13]
	v_cndmask_b32_e64 v49, v49, v51, s[12:13]
	v_cndmask_b32_e32 v19, v49, v19, vcc
	v_cndmask_b32_e32 v18, v48, v18, vcc
	v_cmp_gt_i64_e32 vcc, v[18:19], v[28:29]
	v_cndmask_b32_e32 v19, v29, v19, vcc
	v_cndmask_b32_e32 v18, v28, v18, vcc
.LBB2686_38:                            ; =>This Loop Header: Depth=1
                                        ;     Child Loop BB2686_41 Depth 2
	v_cmp_ne_u16_sdwa s[6:7], v20, v32 src0_sel:BYTE_0 src1_sel:DWORD
	v_cndmask_b32_e64 v20, 0, 1, s[6:7]
	;;#ASMSTART
	;;#ASMEND
	v_cmp_ne_u32_e32 vcc, 0, v20
	s_cmp_lg_u64 vcc, exec
	v_pk_mov_b32 v[28:29], v[18:19], v[18:19] op_sel:[0,1]
	s_cbranch_scc1 .LBB2686_43
; %bb.39:                               ;   in Loop: Header=BB2686_38 Depth=1
	v_lshlrev_b64 v[18:19], 4, v[24:25]
	v_mov_b32_e32 v20, s15
	v_add_co_u32_e32 v30, vcc, s14, v18
	v_addc_co_u32_e32 v31, vcc, v20, v19, vcc
	;;#ASMSTART
	global_load_dwordx4 v[18:21], v[30:31] off glc	
s_waitcnt vmcnt(0)
	;;#ASMEND
	v_and_b32_e32 v21, 0xff, v19
	v_and_b32_e32 v48, 0xff00, v19
	v_or3_b32 v21, 0, v21, v48
	v_or3_b32 v18, v18, 0, 0
	v_and_b32_e32 v48, 0xff000000, v19
	v_and_b32_e32 v19, 0xff0000, v19
	v_or3_b32 v19, v21, v19, v48
	v_or3_b32 v18, v18, 0, 0
	v_cmp_eq_u16_sdwa s[8:9], v20, v25 src0_sel:BYTE_0 src1_sel:DWORD
	s_and_saveexec_b64 s[6:7], s[8:9]
	s_cbranch_execz .LBB2686_37
; %bb.40:                               ;   in Loop: Header=BB2686_38 Depth=1
	s_mov_b64 s[8:9], 0
.LBB2686_41:                            ;   Parent Loop BB2686_38 Depth=1
                                        ; =>  This Inner Loop Header: Depth=2
	;;#ASMSTART
	global_load_dwordx4 v[18:21], v[30:31] off glc	
s_waitcnt vmcnt(0)
	;;#ASMEND
	v_cmp_ne_u16_sdwa s[10:11], v20, v25 src0_sel:BYTE_0 src1_sel:DWORD
	s_or_b64 s[8:9], s[10:11], s[8:9]
	s_andn2_b64 exec, exec, s[8:9]
	s_cbranch_execnz .LBB2686_41
; %bb.42:                               ;   in Loop: Header=BB2686_38 Depth=1
	s_or_b64 exec, exec, s[8:9]
	s_branch .LBB2686_37
.LBB2686_43:                            ;   in Loop: Header=BB2686_38 Depth=1
                                        ; implicit-def: $vgpr18_vgpr19
                                        ; implicit-def: $vgpr20
	s_cbranch_execz .LBB2686_38
; %bb.44:
	s_and_saveexec_b64 s[6:7], s[4:5]
	s_cbranch_execz .LBB2686_46
; %bb.45:
	s_add_i32 s4, s41, 64
	s_mov_b32 s5, 0
	s_lshl_b64 s[4:5], s[4:5], 4
	s_add_u32 s4, s14, s4
	v_cmp_gt_i64_e32 vcc, v[28:29], v[14:15]
	s_addc_u32 s5, s15, s5
	v_cndmask_b32_e32 v15, v15, v29, vcc
	v_cndmask_b32_e32 v14, v14, v28, vcc
	v_mov_b32_e32 v16, 2
	v_mov_b32_e32 v17, 0
	v_pk_mov_b32 v[18:19], s[4:5], s[4:5] op_sel:[0,1]
	;;#ASMSTART
	global_store_dwordx4 v[18:19], v[14:17] off	
s_waitcnt vmcnt(0)
	;;#ASMEND
.LBB2686_46:
	s_or_b64 exec, exec, s[6:7]
	s_and_b64 exec, exec, s[0:1]
	s_cbranch_execz .LBB2686_48
; %bb.47:
	v_mov_b32_e32 v14, 0
	ds_write_b64 v14, v[28:29]
.LBB2686_48:
	s_or_b64 exec, exec, s[36:37]
	v_mov_b32_e32 v14, 0
	s_waitcnt lgkmcnt(0)
	s_barrier
	ds_read_b64 v[14:15], v14
	s_waitcnt lgkmcnt(0)
	v_cmp_gt_i64_e32 vcc, v[14:15], v[22:23]
	v_cndmask_b32_e32 v16, v22, v14, vcc
	v_cndmask_b32_e32 v17, v23, v15, vcc
	v_cndmask_b32_e64 v15, v17, v15, s[0:1]
	v_cndmask_b32_e64 v14, v16, v14, s[0:1]
	v_cmp_gt_i64_e32 vcc, v[14:15], v[10:11]
	v_cndmask_b32_e32 v29, v11, v15, vcc
	v_cndmask_b32_e32 v28, v10, v14, vcc
	v_cmp_gt_i64_e32 vcc, v[28:29], v[12:13]
	v_cndmask_b32_e32 v19, v13, v29, vcc
	v_cndmask_b32_e32 v18, v12, v28, vcc
	;; [unrolled: 3-line block ×6, first 2 shown]
	s_branch .LBB2686_61
.LBB2686_49:
                                        ; implicit-def: $vgpr34_vgpr35
                                        ; implicit-def: $vgpr32_vgpr33
                                        ; implicit-def: $vgpr30_vgpr31
                                        ; implicit-def: $vgpr28_vgpr29
                                        ; implicit-def: $vgpr22_vgpr23_vgpr24_vgpr25
                                        ; implicit-def: $vgpr18_vgpr19_vgpr20_vgpr21
                                        ; implicit-def: $vgpr14_vgpr15_vgpr16_vgpr17
	s_cbranch_execz .LBB2686_61
; %bb.50:
	s_cmp_eq_u64 s[20:21], 0
	v_pk_mov_b32 v[20:21], s[34:35], s[34:35] op_sel:[0,1]
	s_cbranch_scc1 .LBB2686_52
; %bb.51:
	v_mov_b32_e32 v17, s40
	v_add_co_u32_e64 v16, vcc, -8, s39
	v_mov_b32_e32 v14, 0
	v_addc_co_u32_e32 v17, vcc, -1, v17, vcc
	global_load_dwordx2 v[14:15], v14, s[16:17]
	s_nop 0
	flat_load_dwordx2 v[16:17], v[16:17]
	s_waitcnt vmcnt(0) lgkmcnt(0)
	v_cmp_gt_i64_e32 vcc, v[14:15], v[16:17]
	v_cndmask_b32_e32 v21, v17, v15, vcc
	v_cndmask_b32_e32 v20, v16, v14, vcc
.LBB2686_52:
	v_cmp_gt_i64_e32 vcc, v[10:11], v[12:13]
	v_cndmask_b32_e32 v15, v13, v11, vcc
	v_cndmask_b32_e32 v14, v12, v10, vcc
	v_cmp_gt_i64_e32 vcc, v[14:15], v[6:7]
	v_cndmask_b32_e32 v15, v7, v15, vcc
	v_cndmask_b32_e32 v14, v6, v14, vcc
	;; [unrolled: 3-line block ×6, first 2 shown]
	v_add_lshl_u32 v1, v1, v0, 3
	v_cmp_gt_u32_e32 vcc, 64, v0
	ds_write_b64 v1, v[18:19]
	s_waitcnt lgkmcnt(0)
	s_barrier
	s_and_saveexec_b64 s[6:7], vcc
	s_cbranch_execz .LBB2686_56
; %bb.53:
	v_lshlrev_b32_e32 v1, 1, v0
	v_lshrrev_b32_e32 v14, 4, v0
	v_add_lshl_u32 v1, v14, v1, 3
	ds_read2_b64 v[14:17], v1 offset1:1
	v_mbcnt_lo_u32_b32 v22, -1, 0
	v_mbcnt_hi_u32_b32 v26, -1, v22
	v_and_b32_e32 v27, 15, v26
	v_and_b32_e32 v29, 16, v26
	s_waitcnt lgkmcnt(0)
	v_cmp_gt_i64_e32 vcc, v[14:15], v[16:17]
	v_cndmask_b32_e32 v17, v17, v15, vcc
	v_cndmask_b32_e32 v16, v16, v14, vcc
	v_cmp_ne_u32_e64 s[4:5], 0, v26
	v_mov_b32_dpp v23, v17 row_shr:1 row_mask:0xf bank_mask:0xf
	v_mov_b32_dpp v22, v16 row_shr:1 row_mask:0xf bank_mask:0xf
	v_cmp_gt_i64_e32 vcc, v[22:23], v[16:17]
	v_cndmask_b32_e32 v22, v16, v22, vcc
	v_cndmask_b32_e32 v23, v17, v23, vcc
	v_cmp_eq_u32_e32 vcc, 0, v27
	v_cndmask_b32_e32 v23, v23, v17, vcc
	v_cndmask_b32_e32 v22, v22, v16, vcc
	s_nop 0
	v_mov_b32_dpp v25, v23 row_shr:2 row_mask:0xf bank_mask:0xf
	v_mov_b32_dpp v24, v22 row_shr:2 row_mask:0xf bank_mask:0xf
	v_cmp_gt_i64_e32 vcc, v[24:25], v[22:23]
	v_cndmask_b32_e32 v24, v22, v24, vcc
	v_cndmask_b32_e32 v25, v23, v25, vcc
	v_cmp_lt_u32_e32 vcc, 1, v27
	v_cndmask_b32_e32 v23, v23, v25, vcc
	v_cndmask_b32_e32 v22, v22, v24, vcc
	s_nop 0
	v_mov_b32_dpp v25, v23 row_shr:4 row_mask:0xf bank_mask:0xf
	v_mov_b32_dpp v24, v22 row_shr:4 row_mask:0xf bank_mask:0xf
	v_cmp_gt_i64_e32 vcc, v[24:25], v[22:23]
	v_cndmask_b32_e32 v24, v22, v24, vcc
	v_cndmask_b32_e32 v25, v23, v25, vcc
	v_cmp_lt_u32_e32 vcc, 3, v27
	;; [unrolled: 9-line block ×3, first 2 shown]
	v_cndmask_b32_e32 v23, v23, v25, vcc
	v_cndmask_b32_e32 v22, v22, v24, vcc
	s_nop 0
	v_mov_b32_dpp v25, v23 row_bcast:15 row_mask:0xf bank_mask:0xf
	v_mov_b32_dpp v24, v22 row_bcast:15 row_mask:0xf bank_mask:0xf
	v_cmp_gt_i64_e32 vcc, v[24:25], v[22:23]
	v_cndmask_b32_e32 v27, v23, v25, vcc
	v_cndmask_b32_e32 v28, v22, v24, vcc
	v_cmp_eq_u32_e32 vcc, 0, v29
	v_cndmask_b32_e32 v25, v27, v23, vcc
	v_cndmask_b32_e32 v24, v28, v22, vcc
	s_nop 0
	v_mov_b32_dpp v25, v25 row_bcast:31 row_mask:0xf bank_mask:0xf
	v_mov_b32_dpp v24, v24 row_bcast:31 row_mask:0xf bank_mask:0xf
	s_and_saveexec_b64 s[8:9], s[4:5]
; %bb.54:
	v_cndmask_b32_e32 v17, v27, v23, vcc
	v_cndmask_b32_e32 v16, v28, v22, vcc
	v_cmp_lt_u32_e64 s[4:5], 31, v26
	v_cmp_gt_i64_e32 vcc, v[24:25], v[16:17]
	s_and_b64 vcc, s[4:5], vcc
	v_cndmask_b32_e32 v16, v16, v24, vcc
	v_cndmask_b32_e32 v17, v17, v25, vcc
; %bb.55:
	s_or_b64 exec, exec, s[8:9]
	v_add_u32_e32 v22, -1, v26
	v_and_b32_e32 v23, 64, v26
	v_cmp_lt_i32_e32 vcc, v22, v23
	v_cndmask_b32_e32 v22, v22, v26, vcc
	v_lshlrev_b32_e32 v22, 2, v22
	ds_bpermute_b32 v16, v22, v16
	ds_bpermute_b32 v17, v22, v17
	; wave barrier
	s_waitcnt lgkmcnt(0)
	v_cmp_gt_i64_e32 vcc, v[16:17], v[14:15]
	v_cndmask_b32_e32 v14, v14, v16, vcc
	v_cndmask_b32_e32 v15, v15, v17, vcc
	v_cndmask_b32_e64 v15, v15, v19, s[0:1]
	v_cndmask_b32_e64 v14, v14, v18, s[0:1]
	ds_write_b64 v1, v[14:15]
	; wave barrier
	ds_read_b64 v[16:17], v1 offset:8
	s_waitcnt lgkmcnt(0)
	v_cmp_gt_i64_e32 vcc, v[14:15], v[16:17]
	v_cndmask_b32_e32 v15, v17, v15, vcc
	v_cndmask_b32_e32 v14, v16, v14, vcc
	ds_write_b64 v1, v[14:15] offset:8
.LBB2686_56:
	s_or_b64 exec, exec, s[6:7]
	v_pk_mov_b32 v[14:15], v[20:21], v[20:21] op_sel:[0,1]
	s_waitcnt lgkmcnt(0)
	s_barrier
	s_and_saveexec_b64 s[4:5], s[2:3]
	s_cbranch_execz .LBB2686_58
; %bb.57:
	v_add_u32_e32 v1, -1, v0
	v_lshrrev_b32_e32 v14, 5, v1
	v_add_lshl_u32 v1, v14, v1, 3
	ds_read_b64 v[14:15], v1
	s_waitcnt lgkmcnt(0)
	v_cmp_gt_i64_e32 vcc, v[20:21], v[14:15]
	v_cndmask_b32_e32 v15, v15, v21, vcc
	v_cndmask_b32_e32 v14, v14, v20, vcc
.LBB2686_58:
	s_or_b64 exec, exec, s[4:5]
	v_cmp_gt_i64_e32 vcc, v[14:15], v[10:11]
	v_cndmask_b32_e32 v29, v11, v15, vcc
	v_cndmask_b32_e32 v28, v10, v14, vcc
	v_cmp_gt_i64_e32 vcc, v[28:29], v[12:13]
	v_cndmask_b32_e32 v19, v13, v29, vcc
	v_cndmask_b32_e32 v18, v12, v28, vcc
	;; [unrolled: 3-line block ×6, first 2 shown]
	s_and_saveexec_b64 s[2:3], s[0:1]
	s_cbranch_execz .LBB2686_60
; %bb.59:
	v_mov_b32_e32 v5, 0
	ds_read_b64 v[2:3], v5 offset:1040
	s_add_u32 s0, s14, 0x400
	s_addc_u32 s1, s15, 0
	v_mov_b32_e32 v4, 2
	v_pk_mov_b32 v[6:7], s[0:1], s[0:1] op_sel:[0,1]
	s_waitcnt lgkmcnt(0)
	v_cmp_gt_i64_e32 vcc, v[20:21], v[2:3]
	v_cndmask_b32_e32 v3, v3, v21, vcc
	v_cndmask_b32_e32 v2, v2, v20, vcc
	;;#ASMSTART
	global_store_dwordx4 v[6:7], v[2:5] off	
s_waitcnt vmcnt(0)
	;;#ASMEND
.LBB2686_60:
	s_or_b64 exec, exec, s[2:3]
.LBB2686_61:
	s_add_u32 s0, s28, s26
	s_addc_u32 s1, s29, s27
	s_add_u32 s2, s0, s30
	s_addc_u32 s3, s1, s31
	s_mov_b64 s[0:1], -1
	s_and_b64 vcc, exec, s[24:25]
	s_barrier
	s_cbranch_vccz .LBB2686_63
; %bb.62:
	v_mul_u32_u24_e32 v1, 56, v0
	ds_write2_b64 v1, v[14:15], v[28:29] offset1:1
	ds_write2_b64 v1, v[18:19], v[30:31] offset0:2 offset1:3
	ds_write2_b64 v1, v[22:23], v[32:33] offset0:4 offset1:5
	ds_write_b64 v1, v[34:35] offset:48
	v_mul_i32_i24_e32 v1, 0xffffffd0, v0
	v_mad_u32_u24 v1, v0, 56, v1
	s_waitcnt lgkmcnt(0)
	s_barrier
	ds_read2st64_b64 v[2:5], v1 offset1:2
	ds_read2st64_b64 v[6:9], v1 offset0:4 offset1:6
	ds_read2st64_b64 v[10:13], v1 offset0:8 offset1:10
	ds_read_b64 v[16:17], v1 offset:6144
	v_mov_b32_e32 v1, s3
	v_add_co_u32_e32 v20, vcc, s2, v36
	v_addc_co_u32_e32 v21, vcc, 0, v1, vcc
	s_waitcnt lgkmcnt(3)
	flat_store_dwordx2 v[20:21], v[2:3]
	flat_store_dwordx2 v[20:21], v[4:5] offset:1024
	s_waitcnt lgkmcnt(0)
	flat_store_dwordx2 v[20:21], v[6:7] offset:2048
	flat_store_dwordx2 v[20:21], v[8:9] offset:3072
	v_add_co_u32_e32 v2, vcc, 0x1000, v20
	v_addc_co_u32_e32 v3, vcc, 0, v21, vcc
	flat_store_dwordx2 v[2:3], v[10:11]
	flat_store_dwordx2 v[2:3], v[12:13] offset:1024
	flat_store_dwordx2 v[2:3], v[16:17] offset:2048
	s_mov_b64 s[0:1], 0
.LBB2686_63:
	s_andn2_b64 vcc, exec, s[0:1]
	s_cbranch_vccnz .LBB2686_102
; %bb.64:
	s_movk_i32 s0, 0xffd0
	ds_write2_b64 v38, v[14:15], v[28:29] offset1:1
	ds_write2_b64 v38, v[18:19], v[30:31] offset0:2 offset1:3
	ds_write2_b64 v38, v[22:23], v[32:33] offset0:4 offset1:5
	ds_write_b64 v38, v[34:35] offset:48
	v_mad_i32_i24 v14, v0, s0, v38
	s_waitcnt lgkmcnt(0)
	s_barrier
	ds_read2st64_b64 v[2:5], v14 offset1:2
	ds_read2st64_b64 v[6:9], v14 offset0:4 offset1:6
	ds_read2st64_b64 v[10:13], v14 offset0:8 offset1:10
	ds_read_b64 v[14:15], v14 offset:6144
	v_mov_b32_e32 v17, s3
	v_add_co_u32_e32 v16, vcc, s2, v36
	v_addc_co_u32_e32 v17, vcc, 0, v17, vcc
	v_mov_b32_e32 v1, 0
	v_cmp_gt_u32_e32 vcc, s33, v0
	s_and_saveexec_b64 s[0:1], vcc
	s_cbranch_execz .LBB2686_66
; %bb.65:
	s_waitcnt lgkmcnt(0)
	flat_store_dwordx2 v[16:17], v[2:3]
.LBB2686_66:
	s_or_b64 exec, exec, s[0:1]
	v_or_b32_e32 v18, 0x80, v0
	v_cmp_gt_u32_e32 vcc, s33, v18
	s_and_saveexec_b64 s[0:1], vcc
	s_cbranch_execz .LBB2686_68
; %bb.67:
	s_waitcnt lgkmcnt(0)
	flat_store_dwordx2 v[16:17], v[4:5] offset:1024
.LBB2686_68:
	s_or_b64 exec, exec, s[0:1]
	v_or_b32_e32 v18, 0x100, v0
	v_cmp_gt_u32_e32 vcc, s33, v18
	s_and_saveexec_b64 s[0:1], vcc
	s_cbranch_execz .LBB2686_70
; %bb.69:
	s_waitcnt lgkmcnt(0)
	flat_store_dwordx2 v[16:17], v[6:7] offset:2048
.LBB2686_70:
	s_or_b64 exec, exec, s[0:1]
	v_or_b32_e32 v18, 0x180, v0
	v_cmp_gt_u32_e32 vcc, s33, v18
	s_and_saveexec_b64 s[0:1], vcc
	s_cbranch_execz .LBB2686_72
; %bb.71:
	s_waitcnt lgkmcnt(0)
	flat_store_dwordx2 v[16:17], v[8:9] offset:3072
.LBB2686_72:
	s_or_b64 exec, exec, s[0:1]
	v_or_b32_e32 v18, 0x200, v0
	v_cmp_gt_u32_e32 vcc, s33, v18
	s_and_saveexec_b64 s[0:1], vcc
	s_cbranch_execz .LBB2686_74
; %bb.73:
	v_add_co_u32_e32 v18, vcc, 0x1000, v16
	v_addc_co_u32_e32 v19, vcc, 0, v17, vcc
	s_waitcnt lgkmcnt(0)
	flat_store_dwordx2 v[18:19], v[10:11]
.LBB2686_74:
	s_or_b64 exec, exec, s[0:1]
	v_or_b32_e32 v18, 0x280, v0
	v_cmp_gt_u32_e32 vcc, s33, v18
	s_and_saveexec_b64 s[0:1], vcc
	s_cbranch_execz .LBB2686_76
; %bb.75:
	v_add_co_u32_e32 v18, vcc, 0x1000, v16
	v_addc_co_u32_e32 v19, vcc, 0, v17, vcc
	s_waitcnt lgkmcnt(0)
	flat_store_dwordx2 v[18:19], v[12:13] offset:1024
.LBB2686_76:
	s_or_b64 exec, exec, s[0:1]
	v_or_b32_e32 v18, 0x300, v0
	v_cmp_gt_u32_e32 vcc, s33, v18
	s_and_saveexec_b64 s[0:1], vcc
	s_cbranch_execz .LBB2686_78
; %bb.77:
	v_add_co_u32_e32 v16, vcc, 0x1000, v16
	v_addc_co_u32_e32 v17, vcc, 0, v17, vcc
	s_waitcnt lgkmcnt(0)
	flat_store_dwordx2 v[16:17], v[14:15] offset:2048
.LBB2686_78:
	s_or_b64 exec, exec, s[0:1]
	v_cmp_lt_u64_e64 s[0:1], s[22:23], 2
	s_and_b64 vcc, exec, s[0:1]
	s_cbranch_vccnz .LBB2686_102
; %bb.79:
	s_add_u32 s0, s33, -1
	s_addc_u32 s1, s38, -1
	s_add_u32 s2, 0, 0x92481000
	s_addc_u32 s3, 0, 0x64
	s_add_i32 s3, s3, 0x249248c0
	s_mul_hi_u32 s7, s2, -7
	s_sub_i32 s7, s7, s2
	s_mul_i32 s8, s3, -7
	s_mul_i32 s4, s2, -7
	s_add_i32 s7, s7, s8
	s_mul_hi_u32 s5, s3, s4
	s_mul_i32 s6, s3, s4
	s_mul_i32 s9, s2, s7
	s_mul_hi_u32 s4, s2, s4
	s_mul_hi_u32 s8, s2, s7
	s_add_u32 s4, s4, s9
	s_addc_u32 s8, 0, s8
	s_add_u32 s4, s4, s6
	s_mul_hi_u32 s9, s3, s7
	s_addc_u32 s4, s8, s5
	s_addc_u32 s5, s9, 0
	s_mul_i32 s6, s3, s7
	s_add_u32 s4, s4, s6
	v_mov_b32_e32 v16, s4
	s_addc_u32 s5, 0, s5
	v_add_co_u32_e32 v16, vcc, s2, v16
	s_cmp_lg_u64 vcc, 0
	s_addc_u32 s2, s3, s5
	v_readfirstlane_b32 s5, v16
	s_mul_i32 s4, s0, s2
	s_mul_hi_u32 s6, s0, s5
	s_mul_hi_u32 s3, s0, s2
	s_add_u32 s4, s6, s4
	s_addc_u32 s3, 0, s3
	s_mul_hi_u32 s7, s1, s5
	s_mul_i32 s5, s1, s5
	s_add_u32 s4, s4, s5
	s_mul_hi_u32 s6, s1, s2
	s_addc_u32 s3, s3, s7
	s_addc_u32 s4, s6, 0
	s_mul_i32 s2, s1, s2
	s_add_u32 s2, s3, s2
	s_addc_u32 s3, 0, s4
	s_add_u32 s4, s2, 1
	s_addc_u32 s5, s3, 0
	s_add_u32 s6, s2, 2
	s_mul_i32 s8, s3, 7
	s_mul_hi_u32 s9, s2, 7
	s_addc_u32 s7, s3, 0
	s_add_i32 s9, s9, s8
	s_mul_i32 s8, s2, 7
	v_mov_b32_e32 v16, s8
	v_sub_co_u32_e32 v16, vcc, s0, v16
	s_cmp_lg_u64 vcc, 0
	s_subb_u32 s8, s1, s9
	v_subrev_co_u32_e32 v17, vcc, 7, v16
	s_cmp_lg_u64 vcc, 0
	s_subb_u32 s9, s8, 0
	v_readfirstlane_b32 s10, v17
	s_cmp_gt_u32 s10, 6
	s_cselect_b32 s10, -1, 0
	s_cmp_eq_u32 s9, 0
	s_cselect_b32 s9, s10, -1
	s_cmp_lg_u32 s9, 0
	s_cselect_b32 s4, s6, s4
	v_readfirstlane_b32 s6, v16
	s_cselect_b32 s5, s7, s5
	s_cmp_gt_u32 s6, 6
	s_cselect_b32 s6, -1, 0
	s_cmp_eq_u32 s8, 0
	s_cselect_b32 s6, s6, -1
	s_cmp_lg_u32 s6, 0
	s_cselect_b32 s3, s5, s3
	s_cselect_b32 s2, s4, s2
	v_cmp_eq_u64_e32 vcc, s[2:3], v[0:1]
	s_and_saveexec_b64 s[2:3], vcc
	s_cbranch_execz .LBB2686_102
; %bb.80:
	v_mul_hi_u32_u24_e32 v1, 7, v0
	v_mov_b32_e32 v16, s1
	v_sub_co_u32_e32 v0, vcc, s0, v37
	v_subb_co_u32_e32 v1, vcc, v16, v1, vcc
	v_cmp_lt_i64_e32 vcc, 3, v[0:1]
	s_and_saveexec_b64 s[0:1], vcc
	s_xor_b64 s[0:1], exec, s[0:1]
	s_cbranch_execz .LBB2686_90
; %bb.81:
	v_cmp_lt_i64_e32 vcc, 4, v[0:1]
	s_and_saveexec_b64 s[2:3], vcc
	s_xor_b64 s[2:3], exec, s[2:3]
	s_cbranch_execz .LBB2686_87
; %bb.82:
	;; [unrolled: 5-line block ×3, first 2 shown]
	v_mov_b32_e32 v0, 0
	s_waitcnt lgkmcnt(0)
	global_store_dwordx2 v0, v[14:15], s[18:19]
                                        ; implicit-def: $vgpr10_vgpr11_vgpr12_vgpr13
.LBB2686_84:
	s_andn2_saveexec_b64 s[4:5], s[4:5]
	s_cbranch_execz .LBB2686_86
; %bb.85:
	v_mov_b32_e32 v0, 0
	s_waitcnt lgkmcnt(0)
	global_store_dwordx2 v0, v[12:13], s[18:19]
.LBB2686_86:
	s_or_b64 exec, exec, s[4:5]
                                        ; implicit-def: $vgpr10_vgpr11_vgpr12_vgpr13
.LBB2686_87:
	s_andn2_saveexec_b64 s[2:3], s[2:3]
	s_cbranch_execz .LBB2686_89
; %bb.88:
	v_mov_b32_e32 v0, 0
	s_waitcnt lgkmcnt(0)
	global_store_dwordx2 v0, v[10:11], s[18:19]
.LBB2686_89:
	s_or_b64 exec, exec, s[2:3]
                                        ; implicit-def: $vgpr0_vgpr1
                                        ; implicit-def: $vgpr2_vgpr3_vgpr4_vgpr5
                                        ; implicit-def: $vgpr6_vgpr7_vgpr8_vgpr9
.LBB2686_90:
	s_andn2_saveexec_b64 s[0:1], s[0:1]
	s_cbranch_execz .LBB2686_102
; %bb.91:
	v_cmp_lt_i64_e32 vcc, 1, v[0:1]
	s_and_saveexec_b64 s[0:1], vcc
	s_xor_b64 s[0:1], exec, s[0:1]
	s_cbranch_execz .LBB2686_97
; %bb.92:
	v_cmp_lt_i64_e32 vcc, 2, v[0:1]
	s_and_saveexec_b64 s[2:3], vcc
	s_xor_b64 s[2:3], exec, s[2:3]
	s_cbranch_execz .LBB2686_94
; %bb.93:
	v_mov_b32_e32 v0, 0
	s_waitcnt lgkmcnt(0)
	global_store_dwordx2 v0, v[8:9], s[18:19]
                                        ; implicit-def: $vgpr6_vgpr7_vgpr8_vgpr9
.LBB2686_94:
	s_andn2_saveexec_b64 s[2:3], s[2:3]
	s_cbranch_execz .LBB2686_96
; %bb.95:
	v_mov_b32_e32 v0, 0
	s_waitcnt lgkmcnt(0)
	global_store_dwordx2 v0, v[6:7], s[18:19]
.LBB2686_96:
	s_or_b64 exec, exec, s[2:3]
                                        ; implicit-def: $vgpr2_vgpr3_vgpr4_vgpr5
                                        ; implicit-def: $vgpr0_vgpr1
.LBB2686_97:
	s_andn2_saveexec_b64 s[0:1], s[0:1]
	s_cbranch_execz .LBB2686_102
; %bb.98:
	v_cmp_ne_u64_e32 vcc, 1, v[0:1]
	s_and_saveexec_b64 s[0:1], vcc
	s_xor_b64 s[0:1], exec, s[0:1]
	s_cbranch_execz .LBB2686_100
; %bb.99:
	v_mov_b32_e32 v0, 0
	s_waitcnt lgkmcnt(0)
	global_store_dwordx2 v0, v[2:3], s[18:19]
                                        ; implicit-def: $vgpr2_vgpr3_vgpr4_vgpr5
.LBB2686_100:
	s_andn2_saveexec_b64 s[0:1], s[0:1]
	s_cbranch_execz .LBB2686_102
; %bb.101:
	v_mov_b32_e32 v0, 0
	s_waitcnt lgkmcnt(0)
	global_store_dwordx2 v0, v[4:5], s[18:19]
.LBB2686_102:
	s_endpgm
	.section	.rodata,"a",@progbits
	.p2align	6, 0x0
	.amdhsa_kernel _ZN7rocprim17ROCPRIM_400000_NS6detail17trampoline_kernelINS0_14default_configENS1_20scan_config_selectorIxEEZZNS1_9scan_implILNS1_25lookback_scan_determinismE0ELb1ELb1ES3_N6thrust23THRUST_200600_302600_NS6detail15normal_iteratorINS9_10device_ptrIxEEEESE_x11max_functorIxExEEDaPvRmT3_T4_T5_mT6_P12ihipStream_tbENKUlT_T0_E_clISt17integral_constantIbLb0EEST_IbLb1EEEEDaSP_SQ_EUlSP_E_NS1_11comp_targetILNS1_3genE4ELNS1_11target_archE910ELNS1_3gpuE8ELNS1_3repE0EEENS1_30default_config_static_selectorELNS0_4arch9wavefront6targetE1EEEvT1_
		.amdhsa_group_segment_fixed_size 7168
		.amdhsa_private_segment_fixed_size 0
		.amdhsa_kernarg_size 104
		.amdhsa_user_sgpr_count 6
		.amdhsa_user_sgpr_private_segment_buffer 1
		.amdhsa_user_sgpr_dispatch_ptr 0
		.amdhsa_user_sgpr_queue_ptr 0
		.amdhsa_user_sgpr_kernarg_segment_ptr 1
		.amdhsa_user_sgpr_dispatch_id 0
		.amdhsa_user_sgpr_flat_scratch_init 0
		.amdhsa_user_sgpr_kernarg_preload_length 0
		.amdhsa_user_sgpr_kernarg_preload_offset 0
		.amdhsa_user_sgpr_private_segment_size 0
		.amdhsa_uses_dynamic_stack 0
		.amdhsa_system_sgpr_private_segment_wavefront_offset 0
		.amdhsa_system_sgpr_workgroup_id_x 1
		.amdhsa_system_sgpr_workgroup_id_y 0
		.amdhsa_system_sgpr_workgroup_id_z 0
		.amdhsa_system_sgpr_workgroup_info 0
		.amdhsa_system_vgpr_workitem_id 0
		.amdhsa_next_free_vgpr 58
		.amdhsa_next_free_sgpr 42
		.amdhsa_accum_offset 60
		.amdhsa_reserve_vcc 1
		.amdhsa_reserve_flat_scratch 0
		.amdhsa_float_round_mode_32 0
		.amdhsa_float_round_mode_16_64 0
		.amdhsa_float_denorm_mode_32 3
		.amdhsa_float_denorm_mode_16_64 3
		.amdhsa_dx10_clamp 1
		.amdhsa_ieee_mode 1
		.amdhsa_fp16_overflow 0
		.amdhsa_tg_split 0
		.amdhsa_exception_fp_ieee_invalid_op 0
		.amdhsa_exception_fp_denorm_src 0
		.amdhsa_exception_fp_ieee_div_zero 0
		.amdhsa_exception_fp_ieee_overflow 0
		.amdhsa_exception_fp_ieee_underflow 0
		.amdhsa_exception_fp_ieee_inexact 0
		.amdhsa_exception_int_div_zero 0
	.end_amdhsa_kernel
	.section	.text._ZN7rocprim17ROCPRIM_400000_NS6detail17trampoline_kernelINS0_14default_configENS1_20scan_config_selectorIxEEZZNS1_9scan_implILNS1_25lookback_scan_determinismE0ELb1ELb1ES3_N6thrust23THRUST_200600_302600_NS6detail15normal_iteratorINS9_10device_ptrIxEEEESE_x11max_functorIxExEEDaPvRmT3_T4_T5_mT6_P12ihipStream_tbENKUlT_T0_E_clISt17integral_constantIbLb0EEST_IbLb1EEEEDaSP_SQ_EUlSP_E_NS1_11comp_targetILNS1_3genE4ELNS1_11target_archE910ELNS1_3gpuE8ELNS1_3repE0EEENS1_30default_config_static_selectorELNS0_4arch9wavefront6targetE1EEEvT1_,"axG",@progbits,_ZN7rocprim17ROCPRIM_400000_NS6detail17trampoline_kernelINS0_14default_configENS1_20scan_config_selectorIxEEZZNS1_9scan_implILNS1_25lookback_scan_determinismE0ELb1ELb1ES3_N6thrust23THRUST_200600_302600_NS6detail15normal_iteratorINS9_10device_ptrIxEEEESE_x11max_functorIxExEEDaPvRmT3_T4_T5_mT6_P12ihipStream_tbENKUlT_T0_E_clISt17integral_constantIbLb0EEST_IbLb1EEEEDaSP_SQ_EUlSP_E_NS1_11comp_targetILNS1_3genE4ELNS1_11target_archE910ELNS1_3gpuE8ELNS1_3repE0EEENS1_30default_config_static_selectorELNS0_4arch9wavefront6targetE1EEEvT1_,comdat
.Lfunc_end2686:
	.size	_ZN7rocprim17ROCPRIM_400000_NS6detail17trampoline_kernelINS0_14default_configENS1_20scan_config_selectorIxEEZZNS1_9scan_implILNS1_25lookback_scan_determinismE0ELb1ELb1ES3_N6thrust23THRUST_200600_302600_NS6detail15normal_iteratorINS9_10device_ptrIxEEEESE_x11max_functorIxExEEDaPvRmT3_T4_T5_mT6_P12ihipStream_tbENKUlT_T0_E_clISt17integral_constantIbLb0EEST_IbLb1EEEEDaSP_SQ_EUlSP_E_NS1_11comp_targetILNS1_3genE4ELNS1_11target_archE910ELNS1_3gpuE8ELNS1_3repE0EEENS1_30default_config_static_selectorELNS0_4arch9wavefront6targetE1EEEvT1_, .Lfunc_end2686-_ZN7rocprim17ROCPRIM_400000_NS6detail17trampoline_kernelINS0_14default_configENS1_20scan_config_selectorIxEEZZNS1_9scan_implILNS1_25lookback_scan_determinismE0ELb1ELb1ES3_N6thrust23THRUST_200600_302600_NS6detail15normal_iteratorINS9_10device_ptrIxEEEESE_x11max_functorIxExEEDaPvRmT3_T4_T5_mT6_P12ihipStream_tbENKUlT_T0_E_clISt17integral_constantIbLb0EEST_IbLb1EEEEDaSP_SQ_EUlSP_E_NS1_11comp_targetILNS1_3genE4ELNS1_11target_archE910ELNS1_3gpuE8ELNS1_3repE0EEENS1_30default_config_static_selectorELNS0_4arch9wavefront6targetE1EEEvT1_
                                        ; -- End function
	.section	.AMDGPU.csdata,"",@progbits
; Kernel info:
; codeLenInByte = 5876
; NumSgprs: 46
; NumVgprs: 58
; NumAgprs: 0
; TotalNumVgprs: 58
; ScratchSize: 0
; MemoryBound: 0
; FloatMode: 240
; IeeeMode: 1
; LDSByteSize: 7168 bytes/workgroup (compile time only)
; SGPRBlocks: 5
; VGPRBlocks: 7
; NumSGPRsForWavesPerEU: 46
; NumVGPRsForWavesPerEU: 58
; AccumOffset: 60
; Occupancy: 5
; WaveLimiterHint : 1
; COMPUTE_PGM_RSRC2:SCRATCH_EN: 0
; COMPUTE_PGM_RSRC2:USER_SGPR: 6
; COMPUTE_PGM_RSRC2:TRAP_HANDLER: 0
; COMPUTE_PGM_RSRC2:TGID_X_EN: 1
; COMPUTE_PGM_RSRC2:TGID_Y_EN: 0
; COMPUTE_PGM_RSRC2:TGID_Z_EN: 0
; COMPUTE_PGM_RSRC2:TIDIG_COMP_CNT: 0
; COMPUTE_PGM_RSRC3_GFX90A:ACCUM_OFFSET: 14
; COMPUTE_PGM_RSRC3_GFX90A:TG_SPLIT: 0
	.section	.text._ZN7rocprim17ROCPRIM_400000_NS6detail17trampoline_kernelINS0_14default_configENS1_20scan_config_selectorIxEEZZNS1_9scan_implILNS1_25lookback_scan_determinismE0ELb1ELb1ES3_N6thrust23THRUST_200600_302600_NS6detail15normal_iteratorINS9_10device_ptrIxEEEESE_x11max_functorIxExEEDaPvRmT3_T4_T5_mT6_P12ihipStream_tbENKUlT_T0_E_clISt17integral_constantIbLb0EEST_IbLb1EEEEDaSP_SQ_EUlSP_E_NS1_11comp_targetILNS1_3genE3ELNS1_11target_archE908ELNS1_3gpuE7ELNS1_3repE0EEENS1_30default_config_static_selectorELNS0_4arch9wavefront6targetE1EEEvT1_,"axG",@progbits,_ZN7rocprim17ROCPRIM_400000_NS6detail17trampoline_kernelINS0_14default_configENS1_20scan_config_selectorIxEEZZNS1_9scan_implILNS1_25lookback_scan_determinismE0ELb1ELb1ES3_N6thrust23THRUST_200600_302600_NS6detail15normal_iteratorINS9_10device_ptrIxEEEESE_x11max_functorIxExEEDaPvRmT3_T4_T5_mT6_P12ihipStream_tbENKUlT_T0_E_clISt17integral_constantIbLb0EEST_IbLb1EEEEDaSP_SQ_EUlSP_E_NS1_11comp_targetILNS1_3genE3ELNS1_11target_archE908ELNS1_3gpuE7ELNS1_3repE0EEENS1_30default_config_static_selectorELNS0_4arch9wavefront6targetE1EEEvT1_,comdat
	.protected	_ZN7rocprim17ROCPRIM_400000_NS6detail17trampoline_kernelINS0_14default_configENS1_20scan_config_selectorIxEEZZNS1_9scan_implILNS1_25lookback_scan_determinismE0ELb1ELb1ES3_N6thrust23THRUST_200600_302600_NS6detail15normal_iteratorINS9_10device_ptrIxEEEESE_x11max_functorIxExEEDaPvRmT3_T4_T5_mT6_P12ihipStream_tbENKUlT_T0_E_clISt17integral_constantIbLb0EEST_IbLb1EEEEDaSP_SQ_EUlSP_E_NS1_11comp_targetILNS1_3genE3ELNS1_11target_archE908ELNS1_3gpuE7ELNS1_3repE0EEENS1_30default_config_static_selectorELNS0_4arch9wavefront6targetE1EEEvT1_ ; -- Begin function _ZN7rocprim17ROCPRIM_400000_NS6detail17trampoline_kernelINS0_14default_configENS1_20scan_config_selectorIxEEZZNS1_9scan_implILNS1_25lookback_scan_determinismE0ELb1ELb1ES3_N6thrust23THRUST_200600_302600_NS6detail15normal_iteratorINS9_10device_ptrIxEEEESE_x11max_functorIxExEEDaPvRmT3_T4_T5_mT6_P12ihipStream_tbENKUlT_T0_E_clISt17integral_constantIbLb0EEST_IbLb1EEEEDaSP_SQ_EUlSP_E_NS1_11comp_targetILNS1_3genE3ELNS1_11target_archE908ELNS1_3gpuE7ELNS1_3repE0EEENS1_30default_config_static_selectorELNS0_4arch9wavefront6targetE1EEEvT1_
	.globl	_ZN7rocprim17ROCPRIM_400000_NS6detail17trampoline_kernelINS0_14default_configENS1_20scan_config_selectorIxEEZZNS1_9scan_implILNS1_25lookback_scan_determinismE0ELb1ELb1ES3_N6thrust23THRUST_200600_302600_NS6detail15normal_iteratorINS9_10device_ptrIxEEEESE_x11max_functorIxExEEDaPvRmT3_T4_T5_mT6_P12ihipStream_tbENKUlT_T0_E_clISt17integral_constantIbLb0EEST_IbLb1EEEEDaSP_SQ_EUlSP_E_NS1_11comp_targetILNS1_3genE3ELNS1_11target_archE908ELNS1_3gpuE7ELNS1_3repE0EEENS1_30default_config_static_selectorELNS0_4arch9wavefront6targetE1EEEvT1_
	.p2align	8
	.type	_ZN7rocprim17ROCPRIM_400000_NS6detail17trampoline_kernelINS0_14default_configENS1_20scan_config_selectorIxEEZZNS1_9scan_implILNS1_25lookback_scan_determinismE0ELb1ELb1ES3_N6thrust23THRUST_200600_302600_NS6detail15normal_iteratorINS9_10device_ptrIxEEEESE_x11max_functorIxExEEDaPvRmT3_T4_T5_mT6_P12ihipStream_tbENKUlT_T0_E_clISt17integral_constantIbLb0EEST_IbLb1EEEEDaSP_SQ_EUlSP_E_NS1_11comp_targetILNS1_3genE3ELNS1_11target_archE908ELNS1_3gpuE7ELNS1_3repE0EEENS1_30default_config_static_selectorELNS0_4arch9wavefront6targetE1EEEvT1_,@function
_ZN7rocprim17ROCPRIM_400000_NS6detail17trampoline_kernelINS0_14default_configENS1_20scan_config_selectorIxEEZZNS1_9scan_implILNS1_25lookback_scan_determinismE0ELb1ELb1ES3_N6thrust23THRUST_200600_302600_NS6detail15normal_iteratorINS9_10device_ptrIxEEEESE_x11max_functorIxExEEDaPvRmT3_T4_T5_mT6_P12ihipStream_tbENKUlT_T0_E_clISt17integral_constantIbLb0EEST_IbLb1EEEEDaSP_SQ_EUlSP_E_NS1_11comp_targetILNS1_3genE3ELNS1_11target_archE908ELNS1_3gpuE7ELNS1_3repE0EEENS1_30default_config_static_selectorELNS0_4arch9wavefront6targetE1EEEvT1_: ; @_ZN7rocprim17ROCPRIM_400000_NS6detail17trampoline_kernelINS0_14default_configENS1_20scan_config_selectorIxEEZZNS1_9scan_implILNS1_25lookback_scan_determinismE0ELb1ELb1ES3_N6thrust23THRUST_200600_302600_NS6detail15normal_iteratorINS9_10device_ptrIxEEEESE_x11max_functorIxExEEDaPvRmT3_T4_T5_mT6_P12ihipStream_tbENKUlT_T0_E_clISt17integral_constantIbLb0EEST_IbLb1EEEEDaSP_SQ_EUlSP_E_NS1_11comp_targetILNS1_3genE3ELNS1_11target_archE908ELNS1_3gpuE7ELNS1_3repE0EEENS1_30default_config_static_selectorELNS0_4arch9wavefront6targetE1EEEvT1_
; %bb.0:
	.section	.rodata,"a",@progbits
	.p2align	6, 0x0
	.amdhsa_kernel _ZN7rocprim17ROCPRIM_400000_NS6detail17trampoline_kernelINS0_14default_configENS1_20scan_config_selectorIxEEZZNS1_9scan_implILNS1_25lookback_scan_determinismE0ELb1ELb1ES3_N6thrust23THRUST_200600_302600_NS6detail15normal_iteratorINS9_10device_ptrIxEEEESE_x11max_functorIxExEEDaPvRmT3_T4_T5_mT6_P12ihipStream_tbENKUlT_T0_E_clISt17integral_constantIbLb0EEST_IbLb1EEEEDaSP_SQ_EUlSP_E_NS1_11comp_targetILNS1_3genE3ELNS1_11target_archE908ELNS1_3gpuE7ELNS1_3repE0EEENS1_30default_config_static_selectorELNS0_4arch9wavefront6targetE1EEEvT1_
		.amdhsa_group_segment_fixed_size 0
		.amdhsa_private_segment_fixed_size 0
		.amdhsa_kernarg_size 104
		.amdhsa_user_sgpr_count 6
		.amdhsa_user_sgpr_private_segment_buffer 1
		.amdhsa_user_sgpr_dispatch_ptr 0
		.amdhsa_user_sgpr_queue_ptr 0
		.amdhsa_user_sgpr_kernarg_segment_ptr 1
		.amdhsa_user_sgpr_dispatch_id 0
		.amdhsa_user_sgpr_flat_scratch_init 0
		.amdhsa_user_sgpr_kernarg_preload_length 0
		.amdhsa_user_sgpr_kernarg_preload_offset 0
		.amdhsa_user_sgpr_private_segment_size 0
		.amdhsa_uses_dynamic_stack 0
		.amdhsa_system_sgpr_private_segment_wavefront_offset 0
		.amdhsa_system_sgpr_workgroup_id_x 1
		.amdhsa_system_sgpr_workgroup_id_y 0
		.amdhsa_system_sgpr_workgroup_id_z 0
		.amdhsa_system_sgpr_workgroup_info 0
		.amdhsa_system_vgpr_workitem_id 0
		.amdhsa_next_free_vgpr 1
		.amdhsa_next_free_sgpr 0
		.amdhsa_accum_offset 4
		.amdhsa_reserve_vcc 0
		.amdhsa_reserve_flat_scratch 0
		.amdhsa_float_round_mode_32 0
		.amdhsa_float_round_mode_16_64 0
		.amdhsa_float_denorm_mode_32 3
		.amdhsa_float_denorm_mode_16_64 3
		.amdhsa_dx10_clamp 1
		.amdhsa_ieee_mode 1
		.amdhsa_fp16_overflow 0
		.amdhsa_tg_split 0
		.amdhsa_exception_fp_ieee_invalid_op 0
		.amdhsa_exception_fp_denorm_src 0
		.amdhsa_exception_fp_ieee_div_zero 0
		.amdhsa_exception_fp_ieee_overflow 0
		.amdhsa_exception_fp_ieee_underflow 0
		.amdhsa_exception_fp_ieee_inexact 0
		.amdhsa_exception_int_div_zero 0
	.end_amdhsa_kernel
	.section	.text._ZN7rocprim17ROCPRIM_400000_NS6detail17trampoline_kernelINS0_14default_configENS1_20scan_config_selectorIxEEZZNS1_9scan_implILNS1_25lookback_scan_determinismE0ELb1ELb1ES3_N6thrust23THRUST_200600_302600_NS6detail15normal_iteratorINS9_10device_ptrIxEEEESE_x11max_functorIxExEEDaPvRmT3_T4_T5_mT6_P12ihipStream_tbENKUlT_T0_E_clISt17integral_constantIbLb0EEST_IbLb1EEEEDaSP_SQ_EUlSP_E_NS1_11comp_targetILNS1_3genE3ELNS1_11target_archE908ELNS1_3gpuE7ELNS1_3repE0EEENS1_30default_config_static_selectorELNS0_4arch9wavefront6targetE1EEEvT1_,"axG",@progbits,_ZN7rocprim17ROCPRIM_400000_NS6detail17trampoline_kernelINS0_14default_configENS1_20scan_config_selectorIxEEZZNS1_9scan_implILNS1_25lookback_scan_determinismE0ELb1ELb1ES3_N6thrust23THRUST_200600_302600_NS6detail15normal_iteratorINS9_10device_ptrIxEEEESE_x11max_functorIxExEEDaPvRmT3_T4_T5_mT6_P12ihipStream_tbENKUlT_T0_E_clISt17integral_constantIbLb0EEST_IbLb1EEEEDaSP_SQ_EUlSP_E_NS1_11comp_targetILNS1_3genE3ELNS1_11target_archE908ELNS1_3gpuE7ELNS1_3repE0EEENS1_30default_config_static_selectorELNS0_4arch9wavefront6targetE1EEEvT1_,comdat
.Lfunc_end2687:
	.size	_ZN7rocprim17ROCPRIM_400000_NS6detail17trampoline_kernelINS0_14default_configENS1_20scan_config_selectorIxEEZZNS1_9scan_implILNS1_25lookback_scan_determinismE0ELb1ELb1ES3_N6thrust23THRUST_200600_302600_NS6detail15normal_iteratorINS9_10device_ptrIxEEEESE_x11max_functorIxExEEDaPvRmT3_T4_T5_mT6_P12ihipStream_tbENKUlT_T0_E_clISt17integral_constantIbLb0EEST_IbLb1EEEEDaSP_SQ_EUlSP_E_NS1_11comp_targetILNS1_3genE3ELNS1_11target_archE908ELNS1_3gpuE7ELNS1_3repE0EEENS1_30default_config_static_selectorELNS0_4arch9wavefront6targetE1EEEvT1_, .Lfunc_end2687-_ZN7rocprim17ROCPRIM_400000_NS6detail17trampoline_kernelINS0_14default_configENS1_20scan_config_selectorIxEEZZNS1_9scan_implILNS1_25lookback_scan_determinismE0ELb1ELb1ES3_N6thrust23THRUST_200600_302600_NS6detail15normal_iteratorINS9_10device_ptrIxEEEESE_x11max_functorIxExEEDaPvRmT3_T4_T5_mT6_P12ihipStream_tbENKUlT_T0_E_clISt17integral_constantIbLb0EEST_IbLb1EEEEDaSP_SQ_EUlSP_E_NS1_11comp_targetILNS1_3genE3ELNS1_11target_archE908ELNS1_3gpuE7ELNS1_3repE0EEENS1_30default_config_static_selectorELNS0_4arch9wavefront6targetE1EEEvT1_
                                        ; -- End function
	.section	.AMDGPU.csdata,"",@progbits
; Kernel info:
; codeLenInByte = 0
; NumSgprs: 4
; NumVgprs: 0
; NumAgprs: 0
; TotalNumVgprs: 0
; ScratchSize: 0
; MemoryBound: 0
; FloatMode: 240
; IeeeMode: 1
; LDSByteSize: 0 bytes/workgroup (compile time only)
; SGPRBlocks: 0
; VGPRBlocks: 0
; NumSGPRsForWavesPerEU: 4
; NumVGPRsForWavesPerEU: 1
; AccumOffset: 4
; Occupancy: 8
; WaveLimiterHint : 0
; COMPUTE_PGM_RSRC2:SCRATCH_EN: 0
; COMPUTE_PGM_RSRC2:USER_SGPR: 6
; COMPUTE_PGM_RSRC2:TRAP_HANDLER: 0
; COMPUTE_PGM_RSRC2:TGID_X_EN: 1
; COMPUTE_PGM_RSRC2:TGID_Y_EN: 0
; COMPUTE_PGM_RSRC2:TGID_Z_EN: 0
; COMPUTE_PGM_RSRC2:TIDIG_COMP_CNT: 0
; COMPUTE_PGM_RSRC3_GFX90A:ACCUM_OFFSET: 0
; COMPUTE_PGM_RSRC3_GFX90A:TG_SPLIT: 0
	.section	.text._ZN7rocprim17ROCPRIM_400000_NS6detail17trampoline_kernelINS0_14default_configENS1_20scan_config_selectorIxEEZZNS1_9scan_implILNS1_25lookback_scan_determinismE0ELb1ELb1ES3_N6thrust23THRUST_200600_302600_NS6detail15normal_iteratorINS9_10device_ptrIxEEEESE_x11max_functorIxExEEDaPvRmT3_T4_T5_mT6_P12ihipStream_tbENKUlT_T0_E_clISt17integral_constantIbLb0EEST_IbLb1EEEEDaSP_SQ_EUlSP_E_NS1_11comp_targetILNS1_3genE2ELNS1_11target_archE906ELNS1_3gpuE6ELNS1_3repE0EEENS1_30default_config_static_selectorELNS0_4arch9wavefront6targetE1EEEvT1_,"axG",@progbits,_ZN7rocprim17ROCPRIM_400000_NS6detail17trampoline_kernelINS0_14default_configENS1_20scan_config_selectorIxEEZZNS1_9scan_implILNS1_25lookback_scan_determinismE0ELb1ELb1ES3_N6thrust23THRUST_200600_302600_NS6detail15normal_iteratorINS9_10device_ptrIxEEEESE_x11max_functorIxExEEDaPvRmT3_T4_T5_mT6_P12ihipStream_tbENKUlT_T0_E_clISt17integral_constantIbLb0EEST_IbLb1EEEEDaSP_SQ_EUlSP_E_NS1_11comp_targetILNS1_3genE2ELNS1_11target_archE906ELNS1_3gpuE6ELNS1_3repE0EEENS1_30default_config_static_selectorELNS0_4arch9wavefront6targetE1EEEvT1_,comdat
	.protected	_ZN7rocprim17ROCPRIM_400000_NS6detail17trampoline_kernelINS0_14default_configENS1_20scan_config_selectorIxEEZZNS1_9scan_implILNS1_25lookback_scan_determinismE0ELb1ELb1ES3_N6thrust23THRUST_200600_302600_NS6detail15normal_iteratorINS9_10device_ptrIxEEEESE_x11max_functorIxExEEDaPvRmT3_T4_T5_mT6_P12ihipStream_tbENKUlT_T0_E_clISt17integral_constantIbLb0EEST_IbLb1EEEEDaSP_SQ_EUlSP_E_NS1_11comp_targetILNS1_3genE2ELNS1_11target_archE906ELNS1_3gpuE6ELNS1_3repE0EEENS1_30default_config_static_selectorELNS0_4arch9wavefront6targetE1EEEvT1_ ; -- Begin function _ZN7rocprim17ROCPRIM_400000_NS6detail17trampoline_kernelINS0_14default_configENS1_20scan_config_selectorIxEEZZNS1_9scan_implILNS1_25lookback_scan_determinismE0ELb1ELb1ES3_N6thrust23THRUST_200600_302600_NS6detail15normal_iteratorINS9_10device_ptrIxEEEESE_x11max_functorIxExEEDaPvRmT3_T4_T5_mT6_P12ihipStream_tbENKUlT_T0_E_clISt17integral_constantIbLb0EEST_IbLb1EEEEDaSP_SQ_EUlSP_E_NS1_11comp_targetILNS1_3genE2ELNS1_11target_archE906ELNS1_3gpuE6ELNS1_3repE0EEENS1_30default_config_static_selectorELNS0_4arch9wavefront6targetE1EEEvT1_
	.globl	_ZN7rocprim17ROCPRIM_400000_NS6detail17trampoline_kernelINS0_14default_configENS1_20scan_config_selectorIxEEZZNS1_9scan_implILNS1_25lookback_scan_determinismE0ELb1ELb1ES3_N6thrust23THRUST_200600_302600_NS6detail15normal_iteratorINS9_10device_ptrIxEEEESE_x11max_functorIxExEEDaPvRmT3_T4_T5_mT6_P12ihipStream_tbENKUlT_T0_E_clISt17integral_constantIbLb0EEST_IbLb1EEEEDaSP_SQ_EUlSP_E_NS1_11comp_targetILNS1_3genE2ELNS1_11target_archE906ELNS1_3gpuE6ELNS1_3repE0EEENS1_30default_config_static_selectorELNS0_4arch9wavefront6targetE1EEEvT1_
	.p2align	8
	.type	_ZN7rocprim17ROCPRIM_400000_NS6detail17trampoline_kernelINS0_14default_configENS1_20scan_config_selectorIxEEZZNS1_9scan_implILNS1_25lookback_scan_determinismE0ELb1ELb1ES3_N6thrust23THRUST_200600_302600_NS6detail15normal_iteratorINS9_10device_ptrIxEEEESE_x11max_functorIxExEEDaPvRmT3_T4_T5_mT6_P12ihipStream_tbENKUlT_T0_E_clISt17integral_constantIbLb0EEST_IbLb1EEEEDaSP_SQ_EUlSP_E_NS1_11comp_targetILNS1_3genE2ELNS1_11target_archE906ELNS1_3gpuE6ELNS1_3repE0EEENS1_30default_config_static_selectorELNS0_4arch9wavefront6targetE1EEEvT1_,@function
_ZN7rocprim17ROCPRIM_400000_NS6detail17trampoline_kernelINS0_14default_configENS1_20scan_config_selectorIxEEZZNS1_9scan_implILNS1_25lookback_scan_determinismE0ELb1ELb1ES3_N6thrust23THRUST_200600_302600_NS6detail15normal_iteratorINS9_10device_ptrIxEEEESE_x11max_functorIxExEEDaPvRmT3_T4_T5_mT6_P12ihipStream_tbENKUlT_T0_E_clISt17integral_constantIbLb0EEST_IbLb1EEEEDaSP_SQ_EUlSP_E_NS1_11comp_targetILNS1_3genE2ELNS1_11target_archE906ELNS1_3gpuE6ELNS1_3repE0EEENS1_30default_config_static_selectorELNS0_4arch9wavefront6targetE1EEEvT1_: ; @_ZN7rocprim17ROCPRIM_400000_NS6detail17trampoline_kernelINS0_14default_configENS1_20scan_config_selectorIxEEZZNS1_9scan_implILNS1_25lookback_scan_determinismE0ELb1ELb1ES3_N6thrust23THRUST_200600_302600_NS6detail15normal_iteratorINS9_10device_ptrIxEEEESE_x11max_functorIxExEEDaPvRmT3_T4_T5_mT6_P12ihipStream_tbENKUlT_T0_E_clISt17integral_constantIbLb0EEST_IbLb1EEEEDaSP_SQ_EUlSP_E_NS1_11comp_targetILNS1_3genE2ELNS1_11target_archE906ELNS1_3gpuE6ELNS1_3repE0EEENS1_30default_config_static_selectorELNS0_4arch9wavefront6targetE1EEEvT1_
; %bb.0:
	.section	.rodata,"a",@progbits
	.p2align	6, 0x0
	.amdhsa_kernel _ZN7rocprim17ROCPRIM_400000_NS6detail17trampoline_kernelINS0_14default_configENS1_20scan_config_selectorIxEEZZNS1_9scan_implILNS1_25lookback_scan_determinismE0ELb1ELb1ES3_N6thrust23THRUST_200600_302600_NS6detail15normal_iteratorINS9_10device_ptrIxEEEESE_x11max_functorIxExEEDaPvRmT3_T4_T5_mT6_P12ihipStream_tbENKUlT_T0_E_clISt17integral_constantIbLb0EEST_IbLb1EEEEDaSP_SQ_EUlSP_E_NS1_11comp_targetILNS1_3genE2ELNS1_11target_archE906ELNS1_3gpuE6ELNS1_3repE0EEENS1_30default_config_static_selectorELNS0_4arch9wavefront6targetE1EEEvT1_
		.amdhsa_group_segment_fixed_size 0
		.amdhsa_private_segment_fixed_size 0
		.amdhsa_kernarg_size 104
		.amdhsa_user_sgpr_count 6
		.amdhsa_user_sgpr_private_segment_buffer 1
		.amdhsa_user_sgpr_dispatch_ptr 0
		.amdhsa_user_sgpr_queue_ptr 0
		.amdhsa_user_sgpr_kernarg_segment_ptr 1
		.amdhsa_user_sgpr_dispatch_id 0
		.amdhsa_user_sgpr_flat_scratch_init 0
		.amdhsa_user_sgpr_kernarg_preload_length 0
		.amdhsa_user_sgpr_kernarg_preload_offset 0
		.amdhsa_user_sgpr_private_segment_size 0
		.amdhsa_uses_dynamic_stack 0
		.amdhsa_system_sgpr_private_segment_wavefront_offset 0
		.amdhsa_system_sgpr_workgroup_id_x 1
		.amdhsa_system_sgpr_workgroup_id_y 0
		.amdhsa_system_sgpr_workgroup_id_z 0
		.amdhsa_system_sgpr_workgroup_info 0
		.amdhsa_system_vgpr_workitem_id 0
		.amdhsa_next_free_vgpr 1
		.amdhsa_next_free_sgpr 0
		.amdhsa_accum_offset 4
		.amdhsa_reserve_vcc 0
		.amdhsa_reserve_flat_scratch 0
		.amdhsa_float_round_mode_32 0
		.amdhsa_float_round_mode_16_64 0
		.amdhsa_float_denorm_mode_32 3
		.amdhsa_float_denorm_mode_16_64 3
		.amdhsa_dx10_clamp 1
		.amdhsa_ieee_mode 1
		.amdhsa_fp16_overflow 0
		.amdhsa_tg_split 0
		.amdhsa_exception_fp_ieee_invalid_op 0
		.amdhsa_exception_fp_denorm_src 0
		.amdhsa_exception_fp_ieee_div_zero 0
		.amdhsa_exception_fp_ieee_overflow 0
		.amdhsa_exception_fp_ieee_underflow 0
		.amdhsa_exception_fp_ieee_inexact 0
		.amdhsa_exception_int_div_zero 0
	.end_amdhsa_kernel
	.section	.text._ZN7rocprim17ROCPRIM_400000_NS6detail17trampoline_kernelINS0_14default_configENS1_20scan_config_selectorIxEEZZNS1_9scan_implILNS1_25lookback_scan_determinismE0ELb1ELb1ES3_N6thrust23THRUST_200600_302600_NS6detail15normal_iteratorINS9_10device_ptrIxEEEESE_x11max_functorIxExEEDaPvRmT3_T4_T5_mT6_P12ihipStream_tbENKUlT_T0_E_clISt17integral_constantIbLb0EEST_IbLb1EEEEDaSP_SQ_EUlSP_E_NS1_11comp_targetILNS1_3genE2ELNS1_11target_archE906ELNS1_3gpuE6ELNS1_3repE0EEENS1_30default_config_static_selectorELNS0_4arch9wavefront6targetE1EEEvT1_,"axG",@progbits,_ZN7rocprim17ROCPRIM_400000_NS6detail17trampoline_kernelINS0_14default_configENS1_20scan_config_selectorIxEEZZNS1_9scan_implILNS1_25lookback_scan_determinismE0ELb1ELb1ES3_N6thrust23THRUST_200600_302600_NS6detail15normal_iteratorINS9_10device_ptrIxEEEESE_x11max_functorIxExEEDaPvRmT3_T4_T5_mT6_P12ihipStream_tbENKUlT_T0_E_clISt17integral_constantIbLb0EEST_IbLb1EEEEDaSP_SQ_EUlSP_E_NS1_11comp_targetILNS1_3genE2ELNS1_11target_archE906ELNS1_3gpuE6ELNS1_3repE0EEENS1_30default_config_static_selectorELNS0_4arch9wavefront6targetE1EEEvT1_,comdat
.Lfunc_end2688:
	.size	_ZN7rocprim17ROCPRIM_400000_NS6detail17trampoline_kernelINS0_14default_configENS1_20scan_config_selectorIxEEZZNS1_9scan_implILNS1_25lookback_scan_determinismE0ELb1ELb1ES3_N6thrust23THRUST_200600_302600_NS6detail15normal_iteratorINS9_10device_ptrIxEEEESE_x11max_functorIxExEEDaPvRmT3_T4_T5_mT6_P12ihipStream_tbENKUlT_T0_E_clISt17integral_constantIbLb0EEST_IbLb1EEEEDaSP_SQ_EUlSP_E_NS1_11comp_targetILNS1_3genE2ELNS1_11target_archE906ELNS1_3gpuE6ELNS1_3repE0EEENS1_30default_config_static_selectorELNS0_4arch9wavefront6targetE1EEEvT1_, .Lfunc_end2688-_ZN7rocprim17ROCPRIM_400000_NS6detail17trampoline_kernelINS0_14default_configENS1_20scan_config_selectorIxEEZZNS1_9scan_implILNS1_25lookback_scan_determinismE0ELb1ELb1ES3_N6thrust23THRUST_200600_302600_NS6detail15normal_iteratorINS9_10device_ptrIxEEEESE_x11max_functorIxExEEDaPvRmT3_T4_T5_mT6_P12ihipStream_tbENKUlT_T0_E_clISt17integral_constantIbLb0EEST_IbLb1EEEEDaSP_SQ_EUlSP_E_NS1_11comp_targetILNS1_3genE2ELNS1_11target_archE906ELNS1_3gpuE6ELNS1_3repE0EEENS1_30default_config_static_selectorELNS0_4arch9wavefront6targetE1EEEvT1_
                                        ; -- End function
	.section	.AMDGPU.csdata,"",@progbits
; Kernel info:
; codeLenInByte = 0
; NumSgprs: 4
; NumVgprs: 0
; NumAgprs: 0
; TotalNumVgprs: 0
; ScratchSize: 0
; MemoryBound: 0
; FloatMode: 240
; IeeeMode: 1
; LDSByteSize: 0 bytes/workgroup (compile time only)
; SGPRBlocks: 0
; VGPRBlocks: 0
; NumSGPRsForWavesPerEU: 4
; NumVGPRsForWavesPerEU: 1
; AccumOffset: 4
; Occupancy: 8
; WaveLimiterHint : 0
; COMPUTE_PGM_RSRC2:SCRATCH_EN: 0
; COMPUTE_PGM_RSRC2:USER_SGPR: 6
; COMPUTE_PGM_RSRC2:TRAP_HANDLER: 0
; COMPUTE_PGM_RSRC2:TGID_X_EN: 1
; COMPUTE_PGM_RSRC2:TGID_Y_EN: 0
; COMPUTE_PGM_RSRC2:TGID_Z_EN: 0
; COMPUTE_PGM_RSRC2:TIDIG_COMP_CNT: 0
; COMPUTE_PGM_RSRC3_GFX90A:ACCUM_OFFSET: 0
; COMPUTE_PGM_RSRC3_GFX90A:TG_SPLIT: 0
	.section	.text._ZN7rocprim17ROCPRIM_400000_NS6detail17trampoline_kernelINS0_14default_configENS1_20scan_config_selectorIxEEZZNS1_9scan_implILNS1_25lookback_scan_determinismE0ELb1ELb1ES3_N6thrust23THRUST_200600_302600_NS6detail15normal_iteratorINS9_10device_ptrIxEEEESE_x11max_functorIxExEEDaPvRmT3_T4_T5_mT6_P12ihipStream_tbENKUlT_T0_E_clISt17integral_constantIbLb0EEST_IbLb1EEEEDaSP_SQ_EUlSP_E_NS1_11comp_targetILNS1_3genE10ELNS1_11target_archE1201ELNS1_3gpuE5ELNS1_3repE0EEENS1_30default_config_static_selectorELNS0_4arch9wavefront6targetE1EEEvT1_,"axG",@progbits,_ZN7rocprim17ROCPRIM_400000_NS6detail17trampoline_kernelINS0_14default_configENS1_20scan_config_selectorIxEEZZNS1_9scan_implILNS1_25lookback_scan_determinismE0ELb1ELb1ES3_N6thrust23THRUST_200600_302600_NS6detail15normal_iteratorINS9_10device_ptrIxEEEESE_x11max_functorIxExEEDaPvRmT3_T4_T5_mT6_P12ihipStream_tbENKUlT_T0_E_clISt17integral_constantIbLb0EEST_IbLb1EEEEDaSP_SQ_EUlSP_E_NS1_11comp_targetILNS1_3genE10ELNS1_11target_archE1201ELNS1_3gpuE5ELNS1_3repE0EEENS1_30default_config_static_selectorELNS0_4arch9wavefront6targetE1EEEvT1_,comdat
	.protected	_ZN7rocprim17ROCPRIM_400000_NS6detail17trampoline_kernelINS0_14default_configENS1_20scan_config_selectorIxEEZZNS1_9scan_implILNS1_25lookback_scan_determinismE0ELb1ELb1ES3_N6thrust23THRUST_200600_302600_NS6detail15normal_iteratorINS9_10device_ptrIxEEEESE_x11max_functorIxExEEDaPvRmT3_T4_T5_mT6_P12ihipStream_tbENKUlT_T0_E_clISt17integral_constantIbLb0EEST_IbLb1EEEEDaSP_SQ_EUlSP_E_NS1_11comp_targetILNS1_3genE10ELNS1_11target_archE1201ELNS1_3gpuE5ELNS1_3repE0EEENS1_30default_config_static_selectorELNS0_4arch9wavefront6targetE1EEEvT1_ ; -- Begin function _ZN7rocprim17ROCPRIM_400000_NS6detail17trampoline_kernelINS0_14default_configENS1_20scan_config_selectorIxEEZZNS1_9scan_implILNS1_25lookback_scan_determinismE0ELb1ELb1ES3_N6thrust23THRUST_200600_302600_NS6detail15normal_iteratorINS9_10device_ptrIxEEEESE_x11max_functorIxExEEDaPvRmT3_T4_T5_mT6_P12ihipStream_tbENKUlT_T0_E_clISt17integral_constantIbLb0EEST_IbLb1EEEEDaSP_SQ_EUlSP_E_NS1_11comp_targetILNS1_3genE10ELNS1_11target_archE1201ELNS1_3gpuE5ELNS1_3repE0EEENS1_30default_config_static_selectorELNS0_4arch9wavefront6targetE1EEEvT1_
	.globl	_ZN7rocprim17ROCPRIM_400000_NS6detail17trampoline_kernelINS0_14default_configENS1_20scan_config_selectorIxEEZZNS1_9scan_implILNS1_25lookback_scan_determinismE0ELb1ELb1ES3_N6thrust23THRUST_200600_302600_NS6detail15normal_iteratorINS9_10device_ptrIxEEEESE_x11max_functorIxExEEDaPvRmT3_T4_T5_mT6_P12ihipStream_tbENKUlT_T0_E_clISt17integral_constantIbLb0EEST_IbLb1EEEEDaSP_SQ_EUlSP_E_NS1_11comp_targetILNS1_3genE10ELNS1_11target_archE1201ELNS1_3gpuE5ELNS1_3repE0EEENS1_30default_config_static_selectorELNS0_4arch9wavefront6targetE1EEEvT1_
	.p2align	8
	.type	_ZN7rocprim17ROCPRIM_400000_NS6detail17trampoline_kernelINS0_14default_configENS1_20scan_config_selectorIxEEZZNS1_9scan_implILNS1_25lookback_scan_determinismE0ELb1ELb1ES3_N6thrust23THRUST_200600_302600_NS6detail15normal_iteratorINS9_10device_ptrIxEEEESE_x11max_functorIxExEEDaPvRmT3_T4_T5_mT6_P12ihipStream_tbENKUlT_T0_E_clISt17integral_constantIbLb0EEST_IbLb1EEEEDaSP_SQ_EUlSP_E_NS1_11comp_targetILNS1_3genE10ELNS1_11target_archE1201ELNS1_3gpuE5ELNS1_3repE0EEENS1_30default_config_static_selectorELNS0_4arch9wavefront6targetE1EEEvT1_,@function
_ZN7rocprim17ROCPRIM_400000_NS6detail17trampoline_kernelINS0_14default_configENS1_20scan_config_selectorIxEEZZNS1_9scan_implILNS1_25lookback_scan_determinismE0ELb1ELb1ES3_N6thrust23THRUST_200600_302600_NS6detail15normal_iteratorINS9_10device_ptrIxEEEESE_x11max_functorIxExEEDaPvRmT3_T4_T5_mT6_P12ihipStream_tbENKUlT_T0_E_clISt17integral_constantIbLb0EEST_IbLb1EEEEDaSP_SQ_EUlSP_E_NS1_11comp_targetILNS1_3genE10ELNS1_11target_archE1201ELNS1_3gpuE5ELNS1_3repE0EEENS1_30default_config_static_selectorELNS0_4arch9wavefront6targetE1EEEvT1_: ; @_ZN7rocprim17ROCPRIM_400000_NS6detail17trampoline_kernelINS0_14default_configENS1_20scan_config_selectorIxEEZZNS1_9scan_implILNS1_25lookback_scan_determinismE0ELb1ELb1ES3_N6thrust23THRUST_200600_302600_NS6detail15normal_iteratorINS9_10device_ptrIxEEEESE_x11max_functorIxExEEDaPvRmT3_T4_T5_mT6_P12ihipStream_tbENKUlT_T0_E_clISt17integral_constantIbLb0EEST_IbLb1EEEEDaSP_SQ_EUlSP_E_NS1_11comp_targetILNS1_3genE10ELNS1_11target_archE1201ELNS1_3gpuE5ELNS1_3repE0EEENS1_30default_config_static_selectorELNS0_4arch9wavefront6targetE1EEEvT1_
; %bb.0:
	.section	.rodata,"a",@progbits
	.p2align	6, 0x0
	.amdhsa_kernel _ZN7rocprim17ROCPRIM_400000_NS6detail17trampoline_kernelINS0_14default_configENS1_20scan_config_selectorIxEEZZNS1_9scan_implILNS1_25lookback_scan_determinismE0ELb1ELb1ES3_N6thrust23THRUST_200600_302600_NS6detail15normal_iteratorINS9_10device_ptrIxEEEESE_x11max_functorIxExEEDaPvRmT3_T4_T5_mT6_P12ihipStream_tbENKUlT_T0_E_clISt17integral_constantIbLb0EEST_IbLb1EEEEDaSP_SQ_EUlSP_E_NS1_11comp_targetILNS1_3genE10ELNS1_11target_archE1201ELNS1_3gpuE5ELNS1_3repE0EEENS1_30default_config_static_selectorELNS0_4arch9wavefront6targetE1EEEvT1_
		.amdhsa_group_segment_fixed_size 0
		.amdhsa_private_segment_fixed_size 0
		.amdhsa_kernarg_size 104
		.amdhsa_user_sgpr_count 6
		.amdhsa_user_sgpr_private_segment_buffer 1
		.amdhsa_user_sgpr_dispatch_ptr 0
		.amdhsa_user_sgpr_queue_ptr 0
		.amdhsa_user_sgpr_kernarg_segment_ptr 1
		.amdhsa_user_sgpr_dispatch_id 0
		.amdhsa_user_sgpr_flat_scratch_init 0
		.amdhsa_user_sgpr_kernarg_preload_length 0
		.amdhsa_user_sgpr_kernarg_preload_offset 0
		.amdhsa_user_sgpr_private_segment_size 0
		.amdhsa_uses_dynamic_stack 0
		.amdhsa_system_sgpr_private_segment_wavefront_offset 0
		.amdhsa_system_sgpr_workgroup_id_x 1
		.amdhsa_system_sgpr_workgroup_id_y 0
		.amdhsa_system_sgpr_workgroup_id_z 0
		.amdhsa_system_sgpr_workgroup_info 0
		.amdhsa_system_vgpr_workitem_id 0
		.amdhsa_next_free_vgpr 1
		.amdhsa_next_free_sgpr 0
		.amdhsa_accum_offset 4
		.amdhsa_reserve_vcc 0
		.amdhsa_reserve_flat_scratch 0
		.amdhsa_float_round_mode_32 0
		.amdhsa_float_round_mode_16_64 0
		.amdhsa_float_denorm_mode_32 3
		.amdhsa_float_denorm_mode_16_64 3
		.amdhsa_dx10_clamp 1
		.amdhsa_ieee_mode 1
		.amdhsa_fp16_overflow 0
		.amdhsa_tg_split 0
		.amdhsa_exception_fp_ieee_invalid_op 0
		.amdhsa_exception_fp_denorm_src 0
		.amdhsa_exception_fp_ieee_div_zero 0
		.amdhsa_exception_fp_ieee_overflow 0
		.amdhsa_exception_fp_ieee_underflow 0
		.amdhsa_exception_fp_ieee_inexact 0
		.amdhsa_exception_int_div_zero 0
	.end_amdhsa_kernel
	.section	.text._ZN7rocprim17ROCPRIM_400000_NS6detail17trampoline_kernelINS0_14default_configENS1_20scan_config_selectorIxEEZZNS1_9scan_implILNS1_25lookback_scan_determinismE0ELb1ELb1ES3_N6thrust23THRUST_200600_302600_NS6detail15normal_iteratorINS9_10device_ptrIxEEEESE_x11max_functorIxExEEDaPvRmT3_T4_T5_mT6_P12ihipStream_tbENKUlT_T0_E_clISt17integral_constantIbLb0EEST_IbLb1EEEEDaSP_SQ_EUlSP_E_NS1_11comp_targetILNS1_3genE10ELNS1_11target_archE1201ELNS1_3gpuE5ELNS1_3repE0EEENS1_30default_config_static_selectorELNS0_4arch9wavefront6targetE1EEEvT1_,"axG",@progbits,_ZN7rocprim17ROCPRIM_400000_NS6detail17trampoline_kernelINS0_14default_configENS1_20scan_config_selectorIxEEZZNS1_9scan_implILNS1_25lookback_scan_determinismE0ELb1ELb1ES3_N6thrust23THRUST_200600_302600_NS6detail15normal_iteratorINS9_10device_ptrIxEEEESE_x11max_functorIxExEEDaPvRmT3_T4_T5_mT6_P12ihipStream_tbENKUlT_T0_E_clISt17integral_constantIbLb0EEST_IbLb1EEEEDaSP_SQ_EUlSP_E_NS1_11comp_targetILNS1_3genE10ELNS1_11target_archE1201ELNS1_3gpuE5ELNS1_3repE0EEENS1_30default_config_static_selectorELNS0_4arch9wavefront6targetE1EEEvT1_,comdat
.Lfunc_end2689:
	.size	_ZN7rocprim17ROCPRIM_400000_NS6detail17trampoline_kernelINS0_14default_configENS1_20scan_config_selectorIxEEZZNS1_9scan_implILNS1_25lookback_scan_determinismE0ELb1ELb1ES3_N6thrust23THRUST_200600_302600_NS6detail15normal_iteratorINS9_10device_ptrIxEEEESE_x11max_functorIxExEEDaPvRmT3_T4_T5_mT6_P12ihipStream_tbENKUlT_T0_E_clISt17integral_constantIbLb0EEST_IbLb1EEEEDaSP_SQ_EUlSP_E_NS1_11comp_targetILNS1_3genE10ELNS1_11target_archE1201ELNS1_3gpuE5ELNS1_3repE0EEENS1_30default_config_static_selectorELNS0_4arch9wavefront6targetE1EEEvT1_, .Lfunc_end2689-_ZN7rocprim17ROCPRIM_400000_NS6detail17trampoline_kernelINS0_14default_configENS1_20scan_config_selectorIxEEZZNS1_9scan_implILNS1_25lookback_scan_determinismE0ELb1ELb1ES3_N6thrust23THRUST_200600_302600_NS6detail15normal_iteratorINS9_10device_ptrIxEEEESE_x11max_functorIxExEEDaPvRmT3_T4_T5_mT6_P12ihipStream_tbENKUlT_T0_E_clISt17integral_constantIbLb0EEST_IbLb1EEEEDaSP_SQ_EUlSP_E_NS1_11comp_targetILNS1_3genE10ELNS1_11target_archE1201ELNS1_3gpuE5ELNS1_3repE0EEENS1_30default_config_static_selectorELNS0_4arch9wavefront6targetE1EEEvT1_
                                        ; -- End function
	.section	.AMDGPU.csdata,"",@progbits
; Kernel info:
; codeLenInByte = 0
; NumSgprs: 4
; NumVgprs: 0
; NumAgprs: 0
; TotalNumVgprs: 0
; ScratchSize: 0
; MemoryBound: 0
; FloatMode: 240
; IeeeMode: 1
; LDSByteSize: 0 bytes/workgroup (compile time only)
; SGPRBlocks: 0
; VGPRBlocks: 0
; NumSGPRsForWavesPerEU: 4
; NumVGPRsForWavesPerEU: 1
; AccumOffset: 4
; Occupancy: 8
; WaveLimiterHint : 0
; COMPUTE_PGM_RSRC2:SCRATCH_EN: 0
; COMPUTE_PGM_RSRC2:USER_SGPR: 6
; COMPUTE_PGM_RSRC2:TRAP_HANDLER: 0
; COMPUTE_PGM_RSRC2:TGID_X_EN: 1
; COMPUTE_PGM_RSRC2:TGID_Y_EN: 0
; COMPUTE_PGM_RSRC2:TGID_Z_EN: 0
; COMPUTE_PGM_RSRC2:TIDIG_COMP_CNT: 0
; COMPUTE_PGM_RSRC3_GFX90A:ACCUM_OFFSET: 0
; COMPUTE_PGM_RSRC3_GFX90A:TG_SPLIT: 0
	.section	.text._ZN7rocprim17ROCPRIM_400000_NS6detail17trampoline_kernelINS0_14default_configENS1_20scan_config_selectorIxEEZZNS1_9scan_implILNS1_25lookback_scan_determinismE0ELb1ELb1ES3_N6thrust23THRUST_200600_302600_NS6detail15normal_iteratorINS9_10device_ptrIxEEEESE_x11max_functorIxExEEDaPvRmT3_T4_T5_mT6_P12ihipStream_tbENKUlT_T0_E_clISt17integral_constantIbLb0EEST_IbLb1EEEEDaSP_SQ_EUlSP_E_NS1_11comp_targetILNS1_3genE10ELNS1_11target_archE1200ELNS1_3gpuE4ELNS1_3repE0EEENS1_30default_config_static_selectorELNS0_4arch9wavefront6targetE1EEEvT1_,"axG",@progbits,_ZN7rocprim17ROCPRIM_400000_NS6detail17trampoline_kernelINS0_14default_configENS1_20scan_config_selectorIxEEZZNS1_9scan_implILNS1_25lookback_scan_determinismE0ELb1ELb1ES3_N6thrust23THRUST_200600_302600_NS6detail15normal_iteratorINS9_10device_ptrIxEEEESE_x11max_functorIxExEEDaPvRmT3_T4_T5_mT6_P12ihipStream_tbENKUlT_T0_E_clISt17integral_constantIbLb0EEST_IbLb1EEEEDaSP_SQ_EUlSP_E_NS1_11comp_targetILNS1_3genE10ELNS1_11target_archE1200ELNS1_3gpuE4ELNS1_3repE0EEENS1_30default_config_static_selectorELNS0_4arch9wavefront6targetE1EEEvT1_,comdat
	.protected	_ZN7rocprim17ROCPRIM_400000_NS6detail17trampoline_kernelINS0_14default_configENS1_20scan_config_selectorIxEEZZNS1_9scan_implILNS1_25lookback_scan_determinismE0ELb1ELb1ES3_N6thrust23THRUST_200600_302600_NS6detail15normal_iteratorINS9_10device_ptrIxEEEESE_x11max_functorIxExEEDaPvRmT3_T4_T5_mT6_P12ihipStream_tbENKUlT_T0_E_clISt17integral_constantIbLb0EEST_IbLb1EEEEDaSP_SQ_EUlSP_E_NS1_11comp_targetILNS1_3genE10ELNS1_11target_archE1200ELNS1_3gpuE4ELNS1_3repE0EEENS1_30default_config_static_selectorELNS0_4arch9wavefront6targetE1EEEvT1_ ; -- Begin function _ZN7rocprim17ROCPRIM_400000_NS6detail17trampoline_kernelINS0_14default_configENS1_20scan_config_selectorIxEEZZNS1_9scan_implILNS1_25lookback_scan_determinismE0ELb1ELb1ES3_N6thrust23THRUST_200600_302600_NS6detail15normal_iteratorINS9_10device_ptrIxEEEESE_x11max_functorIxExEEDaPvRmT3_T4_T5_mT6_P12ihipStream_tbENKUlT_T0_E_clISt17integral_constantIbLb0EEST_IbLb1EEEEDaSP_SQ_EUlSP_E_NS1_11comp_targetILNS1_3genE10ELNS1_11target_archE1200ELNS1_3gpuE4ELNS1_3repE0EEENS1_30default_config_static_selectorELNS0_4arch9wavefront6targetE1EEEvT1_
	.globl	_ZN7rocprim17ROCPRIM_400000_NS6detail17trampoline_kernelINS0_14default_configENS1_20scan_config_selectorIxEEZZNS1_9scan_implILNS1_25lookback_scan_determinismE0ELb1ELb1ES3_N6thrust23THRUST_200600_302600_NS6detail15normal_iteratorINS9_10device_ptrIxEEEESE_x11max_functorIxExEEDaPvRmT3_T4_T5_mT6_P12ihipStream_tbENKUlT_T0_E_clISt17integral_constantIbLb0EEST_IbLb1EEEEDaSP_SQ_EUlSP_E_NS1_11comp_targetILNS1_3genE10ELNS1_11target_archE1200ELNS1_3gpuE4ELNS1_3repE0EEENS1_30default_config_static_selectorELNS0_4arch9wavefront6targetE1EEEvT1_
	.p2align	8
	.type	_ZN7rocprim17ROCPRIM_400000_NS6detail17trampoline_kernelINS0_14default_configENS1_20scan_config_selectorIxEEZZNS1_9scan_implILNS1_25lookback_scan_determinismE0ELb1ELb1ES3_N6thrust23THRUST_200600_302600_NS6detail15normal_iteratorINS9_10device_ptrIxEEEESE_x11max_functorIxExEEDaPvRmT3_T4_T5_mT6_P12ihipStream_tbENKUlT_T0_E_clISt17integral_constantIbLb0EEST_IbLb1EEEEDaSP_SQ_EUlSP_E_NS1_11comp_targetILNS1_3genE10ELNS1_11target_archE1200ELNS1_3gpuE4ELNS1_3repE0EEENS1_30default_config_static_selectorELNS0_4arch9wavefront6targetE1EEEvT1_,@function
_ZN7rocprim17ROCPRIM_400000_NS6detail17trampoline_kernelINS0_14default_configENS1_20scan_config_selectorIxEEZZNS1_9scan_implILNS1_25lookback_scan_determinismE0ELb1ELb1ES3_N6thrust23THRUST_200600_302600_NS6detail15normal_iteratorINS9_10device_ptrIxEEEESE_x11max_functorIxExEEDaPvRmT3_T4_T5_mT6_P12ihipStream_tbENKUlT_T0_E_clISt17integral_constantIbLb0EEST_IbLb1EEEEDaSP_SQ_EUlSP_E_NS1_11comp_targetILNS1_3genE10ELNS1_11target_archE1200ELNS1_3gpuE4ELNS1_3repE0EEENS1_30default_config_static_selectorELNS0_4arch9wavefront6targetE1EEEvT1_: ; @_ZN7rocprim17ROCPRIM_400000_NS6detail17trampoline_kernelINS0_14default_configENS1_20scan_config_selectorIxEEZZNS1_9scan_implILNS1_25lookback_scan_determinismE0ELb1ELb1ES3_N6thrust23THRUST_200600_302600_NS6detail15normal_iteratorINS9_10device_ptrIxEEEESE_x11max_functorIxExEEDaPvRmT3_T4_T5_mT6_P12ihipStream_tbENKUlT_T0_E_clISt17integral_constantIbLb0EEST_IbLb1EEEEDaSP_SQ_EUlSP_E_NS1_11comp_targetILNS1_3genE10ELNS1_11target_archE1200ELNS1_3gpuE4ELNS1_3repE0EEENS1_30default_config_static_selectorELNS0_4arch9wavefront6targetE1EEEvT1_
; %bb.0:
	.section	.rodata,"a",@progbits
	.p2align	6, 0x0
	.amdhsa_kernel _ZN7rocprim17ROCPRIM_400000_NS6detail17trampoline_kernelINS0_14default_configENS1_20scan_config_selectorIxEEZZNS1_9scan_implILNS1_25lookback_scan_determinismE0ELb1ELb1ES3_N6thrust23THRUST_200600_302600_NS6detail15normal_iteratorINS9_10device_ptrIxEEEESE_x11max_functorIxExEEDaPvRmT3_T4_T5_mT6_P12ihipStream_tbENKUlT_T0_E_clISt17integral_constantIbLb0EEST_IbLb1EEEEDaSP_SQ_EUlSP_E_NS1_11comp_targetILNS1_3genE10ELNS1_11target_archE1200ELNS1_3gpuE4ELNS1_3repE0EEENS1_30default_config_static_selectorELNS0_4arch9wavefront6targetE1EEEvT1_
		.amdhsa_group_segment_fixed_size 0
		.amdhsa_private_segment_fixed_size 0
		.amdhsa_kernarg_size 104
		.amdhsa_user_sgpr_count 6
		.amdhsa_user_sgpr_private_segment_buffer 1
		.amdhsa_user_sgpr_dispatch_ptr 0
		.amdhsa_user_sgpr_queue_ptr 0
		.amdhsa_user_sgpr_kernarg_segment_ptr 1
		.amdhsa_user_sgpr_dispatch_id 0
		.amdhsa_user_sgpr_flat_scratch_init 0
		.amdhsa_user_sgpr_kernarg_preload_length 0
		.amdhsa_user_sgpr_kernarg_preload_offset 0
		.amdhsa_user_sgpr_private_segment_size 0
		.amdhsa_uses_dynamic_stack 0
		.amdhsa_system_sgpr_private_segment_wavefront_offset 0
		.amdhsa_system_sgpr_workgroup_id_x 1
		.amdhsa_system_sgpr_workgroup_id_y 0
		.amdhsa_system_sgpr_workgroup_id_z 0
		.amdhsa_system_sgpr_workgroup_info 0
		.amdhsa_system_vgpr_workitem_id 0
		.amdhsa_next_free_vgpr 1
		.amdhsa_next_free_sgpr 0
		.amdhsa_accum_offset 4
		.amdhsa_reserve_vcc 0
		.amdhsa_reserve_flat_scratch 0
		.amdhsa_float_round_mode_32 0
		.amdhsa_float_round_mode_16_64 0
		.amdhsa_float_denorm_mode_32 3
		.amdhsa_float_denorm_mode_16_64 3
		.amdhsa_dx10_clamp 1
		.amdhsa_ieee_mode 1
		.amdhsa_fp16_overflow 0
		.amdhsa_tg_split 0
		.amdhsa_exception_fp_ieee_invalid_op 0
		.amdhsa_exception_fp_denorm_src 0
		.amdhsa_exception_fp_ieee_div_zero 0
		.amdhsa_exception_fp_ieee_overflow 0
		.amdhsa_exception_fp_ieee_underflow 0
		.amdhsa_exception_fp_ieee_inexact 0
		.amdhsa_exception_int_div_zero 0
	.end_amdhsa_kernel
	.section	.text._ZN7rocprim17ROCPRIM_400000_NS6detail17trampoline_kernelINS0_14default_configENS1_20scan_config_selectorIxEEZZNS1_9scan_implILNS1_25lookback_scan_determinismE0ELb1ELb1ES3_N6thrust23THRUST_200600_302600_NS6detail15normal_iteratorINS9_10device_ptrIxEEEESE_x11max_functorIxExEEDaPvRmT3_T4_T5_mT6_P12ihipStream_tbENKUlT_T0_E_clISt17integral_constantIbLb0EEST_IbLb1EEEEDaSP_SQ_EUlSP_E_NS1_11comp_targetILNS1_3genE10ELNS1_11target_archE1200ELNS1_3gpuE4ELNS1_3repE0EEENS1_30default_config_static_selectorELNS0_4arch9wavefront6targetE1EEEvT1_,"axG",@progbits,_ZN7rocprim17ROCPRIM_400000_NS6detail17trampoline_kernelINS0_14default_configENS1_20scan_config_selectorIxEEZZNS1_9scan_implILNS1_25lookback_scan_determinismE0ELb1ELb1ES3_N6thrust23THRUST_200600_302600_NS6detail15normal_iteratorINS9_10device_ptrIxEEEESE_x11max_functorIxExEEDaPvRmT3_T4_T5_mT6_P12ihipStream_tbENKUlT_T0_E_clISt17integral_constantIbLb0EEST_IbLb1EEEEDaSP_SQ_EUlSP_E_NS1_11comp_targetILNS1_3genE10ELNS1_11target_archE1200ELNS1_3gpuE4ELNS1_3repE0EEENS1_30default_config_static_selectorELNS0_4arch9wavefront6targetE1EEEvT1_,comdat
.Lfunc_end2690:
	.size	_ZN7rocprim17ROCPRIM_400000_NS6detail17trampoline_kernelINS0_14default_configENS1_20scan_config_selectorIxEEZZNS1_9scan_implILNS1_25lookback_scan_determinismE0ELb1ELb1ES3_N6thrust23THRUST_200600_302600_NS6detail15normal_iteratorINS9_10device_ptrIxEEEESE_x11max_functorIxExEEDaPvRmT3_T4_T5_mT6_P12ihipStream_tbENKUlT_T0_E_clISt17integral_constantIbLb0EEST_IbLb1EEEEDaSP_SQ_EUlSP_E_NS1_11comp_targetILNS1_3genE10ELNS1_11target_archE1200ELNS1_3gpuE4ELNS1_3repE0EEENS1_30default_config_static_selectorELNS0_4arch9wavefront6targetE1EEEvT1_, .Lfunc_end2690-_ZN7rocprim17ROCPRIM_400000_NS6detail17trampoline_kernelINS0_14default_configENS1_20scan_config_selectorIxEEZZNS1_9scan_implILNS1_25lookback_scan_determinismE0ELb1ELb1ES3_N6thrust23THRUST_200600_302600_NS6detail15normal_iteratorINS9_10device_ptrIxEEEESE_x11max_functorIxExEEDaPvRmT3_T4_T5_mT6_P12ihipStream_tbENKUlT_T0_E_clISt17integral_constantIbLb0EEST_IbLb1EEEEDaSP_SQ_EUlSP_E_NS1_11comp_targetILNS1_3genE10ELNS1_11target_archE1200ELNS1_3gpuE4ELNS1_3repE0EEENS1_30default_config_static_selectorELNS0_4arch9wavefront6targetE1EEEvT1_
                                        ; -- End function
	.section	.AMDGPU.csdata,"",@progbits
; Kernel info:
; codeLenInByte = 0
; NumSgprs: 4
; NumVgprs: 0
; NumAgprs: 0
; TotalNumVgprs: 0
; ScratchSize: 0
; MemoryBound: 0
; FloatMode: 240
; IeeeMode: 1
; LDSByteSize: 0 bytes/workgroup (compile time only)
; SGPRBlocks: 0
; VGPRBlocks: 0
; NumSGPRsForWavesPerEU: 4
; NumVGPRsForWavesPerEU: 1
; AccumOffset: 4
; Occupancy: 8
; WaveLimiterHint : 0
; COMPUTE_PGM_RSRC2:SCRATCH_EN: 0
; COMPUTE_PGM_RSRC2:USER_SGPR: 6
; COMPUTE_PGM_RSRC2:TRAP_HANDLER: 0
; COMPUTE_PGM_RSRC2:TGID_X_EN: 1
; COMPUTE_PGM_RSRC2:TGID_Y_EN: 0
; COMPUTE_PGM_RSRC2:TGID_Z_EN: 0
; COMPUTE_PGM_RSRC2:TIDIG_COMP_CNT: 0
; COMPUTE_PGM_RSRC3_GFX90A:ACCUM_OFFSET: 0
; COMPUTE_PGM_RSRC3_GFX90A:TG_SPLIT: 0
	.section	.text._ZN7rocprim17ROCPRIM_400000_NS6detail17trampoline_kernelINS0_14default_configENS1_20scan_config_selectorIxEEZZNS1_9scan_implILNS1_25lookback_scan_determinismE0ELb1ELb1ES3_N6thrust23THRUST_200600_302600_NS6detail15normal_iteratorINS9_10device_ptrIxEEEESE_x11max_functorIxExEEDaPvRmT3_T4_T5_mT6_P12ihipStream_tbENKUlT_T0_E_clISt17integral_constantIbLb0EEST_IbLb1EEEEDaSP_SQ_EUlSP_E_NS1_11comp_targetILNS1_3genE9ELNS1_11target_archE1100ELNS1_3gpuE3ELNS1_3repE0EEENS1_30default_config_static_selectorELNS0_4arch9wavefront6targetE1EEEvT1_,"axG",@progbits,_ZN7rocprim17ROCPRIM_400000_NS6detail17trampoline_kernelINS0_14default_configENS1_20scan_config_selectorIxEEZZNS1_9scan_implILNS1_25lookback_scan_determinismE0ELb1ELb1ES3_N6thrust23THRUST_200600_302600_NS6detail15normal_iteratorINS9_10device_ptrIxEEEESE_x11max_functorIxExEEDaPvRmT3_T4_T5_mT6_P12ihipStream_tbENKUlT_T0_E_clISt17integral_constantIbLb0EEST_IbLb1EEEEDaSP_SQ_EUlSP_E_NS1_11comp_targetILNS1_3genE9ELNS1_11target_archE1100ELNS1_3gpuE3ELNS1_3repE0EEENS1_30default_config_static_selectorELNS0_4arch9wavefront6targetE1EEEvT1_,comdat
	.protected	_ZN7rocprim17ROCPRIM_400000_NS6detail17trampoline_kernelINS0_14default_configENS1_20scan_config_selectorIxEEZZNS1_9scan_implILNS1_25lookback_scan_determinismE0ELb1ELb1ES3_N6thrust23THRUST_200600_302600_NS6detail15normal_iteratorINS9_10device_ptrIxEEEESE_x11max_functorIxExEEDaPvRmT3_T4_T5_mT6_P12ihipStream_tbENKUlT_T0_E_clISt17integral_constantIbLb0EEST_IbLb1EEEEDaSP_SQ_EUlSP_E_NS1_11comp_targetILNS1_3genE9ELNS1_11target_archE1100ELNS1_3gpuE3ELNS1_3repE0EEENS1_30default_config_static_selectorELNS0_4arch9wavefront6targetE1EEEvT1_ ; -- Begin function _ZN7rocprim17ROCPRIM_400000_NS6detail17trampoline_kernelINS0_14default_configENS1_20scan_config_selectorIxEEZZNS1_9scan_implILNS1_25lookback_scan_determinismE0ELb1ELb1ES3_N6thrust23THRUST_200600_302600_NS6detail15normal_iteratorINS9_10device_ptrIxEEEESE_x11max_functorIxExEEDaPvRmT3_T4_T5_mT6_P12ihipStream_tbENKUlT_T0_E_clISt17integral_constantIbLb0EEST_IbLb1EEEEDaSP_SQ_EUlSP_E_NS1_11comp_targetILNS1_3genE9ELNS1_11target_archE1100ELNS1_3gpuE3ELNS1_3repE0EEENS1_30default_config_static_selectorELNS0_4arch9wavefront6targetE1EEEvT1_
	.globl	_ZN7rocprim17ROCPRIM_400000_NS6detail17trampoline_kernelINS0_14default_configENS1_20scan_config_selectorIxEEZZNS1_9scan_implILNS1_25lookback_scan_determinismE0ELb1ELb1ES3_N6thrust23THRUST_200600_302600_NS6detail15normal_iteratorINS9_10device_ptrIxEEEESE_x11max_functorIxExEEDaPvRmT3_T4_T5_mT6_P12ihipStream_tbENKUlT_T0_E_clISt17integral_constantIbLb0EEST_IbLb1EEEEDaSP_SQ_EUlSP_E_NS1_11comp_targetILNS1_3genE9ELNS1_11target_archE1100ELNS1_3gpuE3ELNS1_3repE0EEENS1_30default_config_static_selectorELNS0_4arch9wavefront6targetE1EEEvT1_
	.p2align	8
	.type	_ZN7rocprim17ROCPRIM_400000_NS6detail17trampoline_kernelINS0_14default_configENS1_20scan_config_selectorIxEEZZNS1_9scan_implILNS1_25lookback_scan_determinismE0ELb1ELb1ES3_N6thrust23THRUST_200600_302600_NS6detail15normal_iteratorINS9_10device_ptrIxEEEESE_x11max_functorIxExEEDaPvRmT3_T4_T5_mT6_P12ihipStream_tbENKUlT_T0_E_clISt17integral_constantIbLb0EEST_IbLb1EEEEDaSP_SQ_EUlSP_E_NS1_11comp_targetILNS1_3genE9ELNS1_11target_archE1100ELNS1_3gpuE3ELNS1_3repE0EEENS1_30default_config_static_selectorELNS0_4arch9wavefront6targetE1EEEvT1_,@function
_ZN7rocprim17ROCPRIM_400000_NS6detail17trampoline_kernelINS0_14default_configENS1_20scan_config_selectorIxEEZZNS1_9scan_implILNS1_25lookback_scan_determinismE0ELb1ELb1ES3_N6thrust23THRUST_200600_302600_NS6detail15normal_iteratorINS9_10device_ptrIxEEEESE_x11max_functorIxExEEDaPvRmT3_T4_T5_mT6_P12ihipStream_tbENKUlT_T0_E_clISt17integral_constantIbLb0EEST_IbLb1EEEEDaSP_SQ_EUlSP_E_NS1_11comp_targetILNS1_3genE9ELNS1_11target_archE1100ELNS1_3gpuE3ELNS1_3repE0EEENS1_30default_config_static_selectorELNS0_4arch9wavefront6targetE1EEEvT1_: ; @_ZN7rocprim17ROCPRIM_400000_NS6detail17trampoline_kernelINS0_14default_configENS1_20scan_config_selectorIxEEZZNS1_9scan_implILNS1_25lookback_scan_determinismE0ELb1ELb1ES3_N6thrust23THRUST_200600_302600_NS6detail15normal_iteratorINS9_10device_ptrIxEEEESE_x11max_functorIxExEEDaPvRmT3_T4_T5_mT6_P12ihipStream_tbENKUlT_T0_E_clISt17integral_constantIbLb0EEST_IbLb1EEEEDaSP_SQ_EUlSP_E_NS1_11comp_targetILNS1_3genE9ELNS1_11target_archE1100ELNS1_3gpuE3ELNS1_3repE0EEENS1_30default_config_static_selectorELNS0_4arch9wavefront6targetE1EEEvT1_
; %bb.0:
	.section	.rodata,"a",@progbits
	.p2align	6, 0x0
	.amdhsa_kernel _ZN7rocprim17ROCPRIM_400000_NS6detail17trampoline_kernelINS0_14default_configENS1_20scan_config_selectorIxEEZZNS1_9scan_implILNS1_25lookback_scan_determinismE0ELb1ELb1ES3_N6thrust23THRUST_200600_302600_NS6detail15normal_iteratorINS9_10device_ptrIxEEEESE_x11max_functorIxExEEDaPvRmT3_T4_T5_mT6_P12ihipStream_tbENKUlT_T0_E_clISt17integral_constantIbLb0EEST_IbLb1EEEEDaSP_SQ_EUlSP_E_NS1_11comp_targetILNS1_3genE9ELNS1_11target_archE1100ELNS1_3gpuE3ELNS1_3repE0EEENS1_30default_config_static_selectorELNS0_4arch9wavefront6targetE1EEEvT1_
		.amdhsa_group_segment_fixed_size 0
		.amdhsa_private_segment_fixed_size 0
		.amdhsa_kernarg_size 104
		.amdhsa_user_sgpr_count 6
		.amdhsa_user_sgpr_private_segment_buffer 1
		.amdhsa_user_sgpr_dispatch_ptr 0
		.amdhsa_user_sgpr_queue_ptr 0
		.amdhsa_user_sgpr_kernarg_segment_ptr 1
		.amdhsa_user_sgpr_dispatch_id 0
		.amdhsa_user_sgpr_flat_scratch_init 0
		.amdhsa_user_sgpr_kernarg_preload_length 0
		.amdhsa_user_sgpr_kernarg_preload_offset 0
		.amdhsa_user_sgpr_private_segment_size 0
		.amdhsa_uses_dynamic_stack 0
		.amdhsa_system_sgpr_private_segment_wavefront_offset 0
		.amdhsa_system_sgpr_workgroup_id_x 1
		.amdhsa_system_sgpr_workgroup_id_y 0
		.amdhsa_system_sgpr_workgroup_id_z 0
		.amdhsa_system_sgpr_workgroup_info 0
		.amdhsa_system_vgpr_workitem_id 0
		.amdhsa_next_free_vgpr 1
		.amdhsa_next_free_sgpr 0
		.amdhsa_accum_offset 4
		.amdhsa_reserve_vcc 0
		.amdhsa_reserve_flat_scratch 0
		.amdhsa_float_round_mode_32 0
		.amdhsa_float_round_mode_16_64 0
		.amdhsa_float_denorm_mode_32 3
		.amdhsa_float_denorm_mode_16_64 3
		.amdhsa_dx10_clamp 1
		.amdhsa_ieee_mode 1
		.amdhsa_fp16_overflow 0
		.amdhsa_tg_split 0
		.amdhsa_exception_fp_ieee_invalid_op 0
		.amdhsa_exception_fp_denorm_src 0
		.amdhsa_exception_fp_ieee_div_zero 0
		.amdhsa_exception_fp_ieee_overflow 0
		.amdhsa_exception_fp_ieee_underflow 0
		.amdhsa_exception_fp_ieee_inexact 0
		.amdhsa_exception_int_div_zero 0
	.end_amdhsa_kernel
	.section	.text._ZN7rocprim17ROCPRIM_400000_NS6detail17trampoline_kernelINS0_14default_configENS1_20scan_config_selectorIxEEZZNS1_9scan_implILNS1_25lookback_scan_determinismE0ELb1ELb1ES3_N6thrust23THRUST_200600_302600_NS6detail15normal_iteratorINS9_10device_ptrIxEEEESE_x11max_functorIxExEEDaPvRmT3_T4_T5_mT6_P12ihipStream_tbENKUlT_T0_E_clISt17integral_constantIbLb0EEST_IbLb1EEEEDaSP_SQ_EUlSP_E_NS1_11comp_targetILNS1_3genE9ELNS1_11target_archE1100ELNS1_3gpuE3ELNS1_3repE0EEENS1_30default_config_static_selectorELNS0_4arch9wavefront6targetE1EEEvT1_,"axG",@progbits,_ZN7rocprim17ROCPRIM_400000_NS6detail17trampoline_kernelINS0_14default_configENS1_20scan_config_selectorIxEEZZNS1_9scan_implILNS1_25lookback_scan_determinismE0ELb1ELb1ES3_N6thrust23THRUST_200600_302600_NS6detail15normal_iteratorINS9_10device_ptrIxEEEESE_x11max_functorIxExEEDaPvRmT3_T4_T5_mT6_P12ihipStream_tbENKUlT_T0_E_clISt17integral_constantIbLb0EEST_IbLb1EEEEDaSP_SQ_EUlSP_E_NS1_11comp_targetILNS1_3genE9ELNS1_11target_archE1100ELNS1_3gpuE3ELNS1_3repE0EEENS1_30default_config_static_selectorELNS0_4arch9wavefront6targetE1EEEvT1_,comdat
.Lfunc_end2691:
	.size	_ZN7rocprim17ROCPRIM_400000_NS6detail17trampoline_kernelINS0_14default_configENS1_20scan_config_selectorIxEEZZNS1_9scan_implILNS1_25lookback_scan_determinismE0ELb1ELb1ES3_N6thrust23THRUST_200600_302600_NS6detail15normal_iteratorINS9_10device_ptrIxEEEESE_x11max_functorIxExEEDaPvRmT3_T4_T5_mT6_P12ihipStream_tbENKUlT_T0_E_clISt17integral_constantIbLb0EEST_IbLb1EEEEDaSP_SQ_EUlSP_E_NS1_11comp_targetILNS1_3genE9ELNS1_11target_archE1100ELNS1_3gpuE3ELNS1_3repE0EEENS1_30default_config_static_selectorELNS0_4arch9wavefront6targetE1EEEvT1_, .Lfunc_end2691-_ZN7rocprim17ROCPRIM_400000_NS6detail17trampoline_kernelINS0_14default_configENS1_20scan_config_selectorIxEEZZNS1_9scan_implILNS1_25lookback_scan_determinismE0ELb1ELb1ES3_N6thrust23THRUST_200600_302600_NS6detail15normal_iteratorINS9_10device_ptrIxEEEESE_x11max_functorIxExEEDaPvRmT3_T4_T5_mT6_P12ihipStream_tbENKUlT_T0_E_clISt17integral_constantIbLb0EEST_IbLb1EEEEDaSP_SQ_EUlSP_E_NS1_11comp_targetILNS1_3genE9ELNS1_11target_archE1100ELNS1_3gpuE3ELNS1_3repE0EEENS1_30default_config_static_selectorELNS0_4arch9wavefront6targetE1EEEvT1_
                                        ; -- End function
	.section	.AMDGPU.csdata,"",@progbits
; Kernel info:
; codeLenInByte = 0
; NumSgprs: 4
; NumVgprs: 0
; NumAgprs: 0
; TotalNumVgprs: 0
; ScratchSize: 0
; MemoryBound: 0
; FloatMode: 240
; IeeeMode: 1
; LDSByteSize: 0 bytes/workgroup (compile time only)
; SGPRBlocks: 0
; VGPRBlocks: 0
; NumSGPRsForWavesPerEU: 4
; NumVGPRsForWavesPerEU: 1
; AccumOffset: 4
; Occupancy: 8
; WaveLimiterHint : 0
; COMPUTE_PGM_RSRC2:SCRATCH_EN: 0
; COMPUTE_PGM_RSRC2:USER_SGPR: 6
; COMPUTE_PGM_RSRC2:TRAP_HANDLER: 0
; COMPUTE_PGM_RSRC2:TGID_X_EN: 1
; COMPUTE_PGM_RSRC2:TGID_Y_EN: 0
; COMPUTE_PGM_RSRC2:TGID_Z_EN: 0
; COMPUTE_PGM_RSRC2:TIDIG_COMP_CNT: 0
; COMPUTE_PGM_RSRC3_GFX90A:ACCUM_OFFSET: 0
; COMPUTE_PGM_RSRC3_GFX90A:TG_SPLIT: 0
	.section	.text._ZN7rocprim17ROCPRIM_400000_NS6detail17trampoline_kernelINS0_14default_configENS1_20scan_config_selectorIxEEZZNS1_9scan_implILNS1_25lookback_scan_determinismE0ELb1ELb1ES3_N6thrust23THRUST_200600_302600_NS6detail15normal_iteratorINS9_10device_ptrIxEEEESE_x11max_functorIxExEEDaPvRmT3_T4_T5_mT6_P12ihipStream_tbENKUlT_T0_E_clISt17integral_constantIbLb0EEST_IbLb1EEEEDaSP_SQ_EUlSP_E_NS1_11comp_targetILNS1_3genE8ELNS1_11target_archE1030ELNS1_3gpuE2ELNS1_3repE0EEENS1_30default_config_static_selectorELNS0_4arch9wavefront6targetE1EEEvT1_,"axG",@progbits,_ZN7rocprim17ROCPRIM_400000_NS6detail17trampoline_kernelINS0_14default_configENS1_20scan_config_selectorIxEEZZNS1_9scan_implILNS1_25lookback_scan_determinismE0ELb1ELb1ES3_N6thrust23THRUST_200600_302600_NS6detail15normal_iteratorINS9_10device_ptrIxEEEESE_x11max_functorIxExEEDaPvRmT3_T4_T5_mT6_P12ihipStream_tbENKUlT_T0_E_clISt17integral_constantIbLb0EEST_IbLb1EEEEDaSP_SQ_EUlSP_E_NS1_11comp_targetILNS1_3genE8ELNS1_11target_archE1030ELNS1_3gpuE2ELNS1_3repE0EEENS1_30default_config_static_selectorELNS0_4arch9wavefront6targetE1EEEvT1_,comdat
	.protected	_ZN7rocprim17ROCPRIM_400000_NS6detail17trampoline_kernelINS0_14default_configENS1_20scan_config_selectorIxEEZZNS1_9scan_implILNS1_25lookback_scan_determinismE0ELb1ELb1ES3_N6thrust23THRUST_200600_302600_NS6detail15normal_iteratorINS9_10device_ptrIxEEEESE_x11max_functorIxExEEDaPvRmT3_T4_T5_mT6_P12ihipStream_tbENKUlT_T0_E_clISt17integral_constantIbLb0EEST_IbLb1EEEEDaSP_SQ_EUlSP_E_NS1_11comp_targetILNS1_3genE8ELNS1_11target_archE1030ELNS1_3gpuE2ELNS1_3repE0EEENS1_30default_config_static_selectorELNS0_4arch9wavefront6targetE1EEEvT1_ ; -- Begin function _ZN7rocprim17ROCPRIM_400000_NS6detail17trampoline_kernelINS0_14default_configENS1_20scan_config_selectorIxEEZZNS1_9scan_implILNS1_25lookback_scan_determinismE0ELb1ELb1ES3_N6thrust23THRUST_200600_302600_NS6detail15normal_iteratorINS9_10device_ptrIxEEEESE_x11max_functorIxExEEDaPvRmT3_T4_T5_mT6_P12ihipStream_tbENKUlT_T0_E_clISt17integral_constantIbLb0EEST_IbLb1EEEEDaSP_SQ_EUlSP_E_NS1_11comp_targetILNS1_3genE8ELNS1_11target_archE1030ELNS1_3gpuE2ELNS1_3repE0EEENS1_30default_config_static_selectorELNS0_4arch9wavefront6targetE1EEEvT1_
	.globl	_ZN7rocprim17ROCPRIM_400000_NS6detail17trampoline_kernelINS0_14default_configENS1_20scan_config_selectorIxEEZZNS1_9scan_implILNS1_25lookback_scan_determinismE0ELb1ELb1ES3_N6thrust23THRUST_200600_302600_NS6detail15normal_iteratorINS9_10device_ptrIxEEEESE_x11max_functorIxExEEDaPvRmT3_T4_T5_mT6_P12ihipStream_tbENKUlT_T0_E_clISt17integral_constantIbLb0EEST_IbLb1EEEEDaSP_SQ_EUlSP_E_NS1_11comp_targetILNS1_3genE8ELNS1_11target_archE1030ELNS1_3gpuE2ELNS1_3repE0EEENS1_30default_config_static_selectorELNS0_4arch9wavefront6targetE1EEEvT1_
	.p2align	8
	.type	_ZN7rocprim17ROCPRIM_400000_NS6detail17trampoline_kernelINS0_14default_configENS1_20scan_config_selectorIxEEZZNS1_9scan_implILNS1_25lookback_scan_determinismE0ELb1ELb1ES3_N6thrust23THRUST_200600_302600_NS6detail15normal_iteratorINS9_10device_ptrIxEEEESE_x11max_functorIxExEEDaPvRmT3_T4_T5_mT6_P12ihipStream_tbENKUlT_T0_E_clISt17integral_constantIbLb0EEST_IbLb1EEEEDaSP_SQ_EUlSP_E_NS1_11comp_targetILNS1_3genE8ELNS1_11target_archE1030ELNS1_3gpuE2ELNS1_3repE0EEENS1_30default_config_static_selectorELNS0_4arch9wavefront6targetE1EEEvT1_,@function
_ZN7rocprim17ROCPRIM_400000_NS6detail17trampoline_kernelINS0_14default_configENS1_20scan_config_selectorIxEEZZNS1_9scan_implILNS1_25lookback_scan_determinismE0ELb1ELb1ES3_N6thrust23THRUST_200600_302600_NS6detail15normal_iteratorINS9_10device_ptrIxEEEESE_x11max_functorIxExEEDaPvRmT3_T4_T5_mT6_P12ihipStream_tbENKUlT_T0_E_clISt17integral_constantIbLb0EEST_IbLb1EEEEDaSP_SQ_EUlSP_E_NS1_11comp_targetILNS1_3genE8ELNS1_11target_archE1030ELNS1_3gpuE2ELNS1_3repE0EEENS1_30default_config_static_selectorELNS0_4arch9wavefront6targetE1EEEvT1_: ; @_ZN7rocprim17ROCPRIM_400000_NS6detail17trampoline_kernelINS0_14default_configENS1_20scan_config_selectorIxEEZZNS1_9scan_implILNS1_25lookback_scan_determinismE0ELb1ELb1ES3_N6thrust23THRUST_200600_302600_NS6detail15normal_iteratorINS9_10device_ptrIxEEEESE_x11max_functorIxExEEDaPvRmT3_T4_T5_mT6_P12ihipStream_tbENKUlT_T0_E_clISt17integral_constantIbLb0EEST_IbLb1EEEEDaSP_SQ_EUlSP_E_NS1_11comp_targetILNS1_3genE8ELNS1_11target_archE1030ELNS1_3gpuE2ELNS1_3repE0EEENS1_30default_config_static_selectorELNS0_4arch9wavefront6targetE1EEEvT1_
; %bb.0:
	.section	.rodata,"a",@progbits
	.p2align	6, 0x0
	.amdhsa_kernel _ZN7rocprim17ROCPRIM_400000_NS6detail17trampoline_kernelINS0_14default_configENS1_20scan_config_selectorIxEEZZNS1_9scan_implILNS1_25lookback_scan_determinismE0ELb1ELb1ES3_N6thrust23THRUST_200600_302600_NS6detail15normal_iteratorINS9_10device_ptrIxEEEESE_x11max_functorIxExEEDaPvRmT3_T4_T5_mT6_P12ihipStream_tbENKUlT_T0_E_clISt17integral_constantIbLb0EEST_IbLb1EEEEDaSP_SQ_EUlSP_E_NS1_11comp_targetILNS1_3genE8ELNS1_11target_archE1030ELNS1_3gpuE2ELNS1_3repE0EEENS1_30default_config_static_selectorELNS0_4arch9wavefront6targetE1EEEvT1_
		.amdhsa_group_segment_fixed_size 0
		.amdhsa_private_segment_fixed_size 0
		.amdhsa_kernarg_size 104
		.amdhsa_user_sgpr_count 6
		.amdhsa_user_sgpr_private_segment_buffer 1
		.amdhsa_user_sgpr_dispatch_ptr 0
		.amdhsa_user_sgpr_queue_ptr 0
		.amdhsa_user_sgpr_kernarg_segment_ptr 1
		.amdhsa_user_sgpr_dispatch_id 0
		.amdhsa_user_sgpr_flat_scratch_init 0
		.amdhsa_user_sgpr_kernarg_preload_length 0
		.amdhsa_user_sgpr_kernarg_preload_offset 0
		.amdhsa_user_sgpr_private_segment_size 0
		.amdhsa_uses_dynamic_stack 0
		.amdhsa_system_sgpr_private_segment_wavefront_offset 0
		.amdhsa_system_sgpr_workgroup_id_x 1
		.amdhsa_system_sgpr_workgroup_id_y 0
		.amdhsa_system_sgpr_workgroup_id_z 0
		.amdhsa_system_sgpr_workgroup_info 0
		.amdhsa_system_vgpr_workitem_id 0
		.amdhsa_next_free_vgpr 1
		.amdhsa_next_free_sgpr 0
		.amdhsa_accum_offset 4
		.amdhsa_reserve_vcc 0
		.amdhsa_reserve_flat_scratch 0
		.amdhsa_float_round_mode_32 0
		.amdhsa_float_round_mode_16_64 0
		.amdhsa_float_denorm_mode_32 3
		.amdhsa_float_denorm_mode_16_64 3
		.amdhsa_dx10_clamp 1
		.amdhsa_ieee_mode 1
		.amdhsa_fp16_overflow 0
		.amdhsa_tg_split 0
		.amdhsa_exception_fp_ieee_invalid_op 0
		.amdhsa_exception_fp_denorm_src 0
		.amdhsa_exception_fp_ieee_div_zero 0
		.amdhsa_exception_fp_ieee_overflow 0
		.amdhsa_exception_fp_ieee_underflow 0
		.amdhsa_exception_fp_ieee_inexact 0
		.amdhsa_exception_int_div_zero 0
	.end_amdhsa_kernel
	.section	.text._ZN7rocprim17ROCPRIM_400000_NS6detail17trampoline_kernelINS0_14default_configENS1_20scan_config_selectorIxEEZZNS1_9scan_implILNS1_25lookback_scan_determinismE0ELb1ELb1ES3_N6thrust23THRUST_200600_302600_NS6detail15normal_iteratorINS9_10device_ptrIxEEEESE_x11max_functorIxExEEDaPvRmT3_T4_T5_mT6_P12ihipStream_tbENKUlT_T0_E_clISt17integral_constantIbLb0EEST_IbLb1EEEEDaSP_SQ_EUlSP_E_NS1_11comp_targetILNS1_3genE8ELNS1_11target_archE1030ELNS1_3gpuE2ELNS1_3repE0EEENS1_30default_config_static_selectorELNS0_4arch9wavefront6targetE1EEEvT1_,"axG",@progbits,_ZN7rocprim17ROCPRIM_400000_NS6detail17trampoline_kernelINS0_14default_configENS1_20scan_config_selectorIxEEZZNS1_9scan_implILNS1_25lookback_scan_determinismE0ELb1ELb1ES3_N6thrust23THRUST_200600_302600_NS6detail15normal_iteratorINS9_10device_ptrIxEEEESE_x11max_functorIxExEEDaPvRmT3_T4_T5_mT6_P12ihipStream_tbENKUlT_T0_E_clISt17integral_constantIbLb0EEST_IbLb1EEEEDaSP_SQ_EUlSP_E_NS1_11comp_targetILNS1_3genE8ELNS1_11target_archE1030ELNS1_3gpuE2ELNS1_3repE0EEENS1_30default_config_static_selectorELNS0_4arch9wavefront6targetE1EEEvT1_,comdat
.Lfunc_end2692:
	.size	_ZN7rocprim17ROCPRIM_400000_NS6detail17trampoline_kernelINS0_14default_configENS1_20scan_config_selectorIxEEZZNS1_9scan_implILNS1_25lookback_scan_determinismE0ELb1ELb1ES3_N6thrust23THRUST_200600_302600_NS6detail15normal_iteratorINS9_10device_ptrIxEEEESE_x11max_functorIxExEEDaPvRmT3_T4_T5_mT6_P12ihipStream_tbENKUlT_T0_E_clISt17integral_constantIbLb0EEST_IbLb1EEEEDaSP_SQ_EUlSP_E_NS1_11comp_targetILNS1_3genE8ELNS1_11target_archE1030ELNS1_3gpuE2ELNS1_3repE0EEENS1_30default_config_static_selectorELNS0_4arch9wavefront6targetE1EEEvT1_, .Lfunc_end2692-_ZN7rocprim17ROCPRIM_400000_NS6detail17trampoline_kernelINS0_14default_configENS1_20scan_config_selectorIxEEZZNS1_9scan_implILNS1_25lookback_scan_determinismE0ELb1ELb1ES3_N6thrust23THRUST_200600_302600_NS6detail15normal_iteratorINS9_10device_ptrIxEEEESE_x11max_functorIxExEEDaPvRmT3_T4_T5_mT6_P12ihipStream_tbENKUlT_T0_E_clISt17integral_constantIbLb0EEST_IbLb1EEEEDaSP_SQ_EUlSP_E_NS1_11comp_targetILNS1_3genE8ELNS1_11target_archE1030ELNS1_3gpuE2ELNS1_3repE0EEENS1_30default_config_static_selectorELNS0_4arch9wavefront6targetE1EEEvT1_
                                        ; -- End function
	.section	.AMDGPU.csdata,"",@progbits
; Kernel info:
; codeLenInByte = 0
; NumSgprs: 4
; NumVgprs: 0
; NumAgprs: 0
; TotalNumVgprs: 0
; ScratchSize: 0
; MemoryBound: 0
; FloatMode: 240
; IeeeMode: 1
; LDSByteSize: 0 bytes/workgroup (compile time only)
; SGPRBlocks: 0
; VGPRBlocks: 0
; NumSGPRsForWavesPerEU: 4
; NumVGPRsForWavesPerEU: 1
; AccumOffset: 4
; Occupancy: 8
; WaveLimiterHint : 0
; COMPUTE_PGM_RSRC2:SCRATCH_EN: 0
; COMPUTE_PGM_RSRC2:USER_SGPR: 6
; COMPUTE_PGM_RSRC2:TRAP_HANDLER: 0
; COMPUTE_PGM_RSRC2:TGID_X_EN: 1
; COMPUTE_PGM_RSRC2:TGID_Y_EN: 0
; COMPUTE_PGM_RSRC2:TGID_Z_EN: 0
; COMPUTE_PGM_RSRC2:TIDIG_COMP_CNT: 0
; COMPUTE_PGM_RSRC3_GFX90A:ACCUM_OFFSET: 0
; COMPUTE_PGM_RSRC3_GFX90A:TG_SPLIT: 0
	.section	.text._ZN7rocprim17ROCPRIM_400000_NS6detail17trampoline_kernelINS0_14default_configENS1_20scan_config_selectorIxEEZZNS1_9scan_implILNS1_25lookback_scan_determinismE0ELb1ELb1ES3_N6thrust23THRUST_200600_302600_NS6detail15normal_iteratorINS9_10device_ptrIxEEEESE_x11max_functorIxExEEDaPvRmT3_T4_T5_mT6_P12ihipStream_tbENKUlT_T0_E_clISt17integral_constantIbLb0EEST_IbLb1EEEEDaSP_SQ_EUlSP_E0_NS1_11comp_targetILNS1_3genE0ELNS1_11target_archE4294967295ELNS1_3gpuE0ELNS1_3repE0EEENS1_30default_config_static_selectorELNS0_4arch9wavefront6targetE1EEEvT1_,"axG",@progbits,_ZN7rocprim17ROCPRIM_400000_NS6detail17trampoline_kernelINS0_14default_configENS1_20scan_config_selectorIxEEZZNS1_9scan_implILNS1_25lookback_scan_determinismE0ELb1ELb1ES3_N6thrust23THRUST_200600_302600_NS6detail15normal_iteratorINS9_10device_ptrIxEEEESE_x11max_functorIxExEEDaPvRmT3_T4_T5_mT6_P12ihipStream_tbENKUlT_T0_E_clISt17integral_constantIbLb0EEST_IbLb1EEEEDaSP_SQ_EUlSP_E0_NS1_11comp_targetILNS1_3genE0ELNS1_11target_archE4294967295ELNS1_3gpuE0ELNS1_3repE0EEENS1_30default_config_static_selectorELNS0_4arch9wavefront6targetE1EEEvT1_,comdat
	.protected	_ZN7rocprim17ROCPRIM_400000_NS6detail17trampoline_kernelINS0_14default_configENS1_20scan_config_selectorIxEEZZNS1_9scan_implILNS1_25lookback_scan_determinismE0ELb1ELb1ES3_N6thrust23THRUST_200600_302600_NS6detail15normal_iteratorINS9_10device_ptrIxEEEESE_x11max_functorIxExEEDaPvRmT3_T4_T5_mT6_P12ihipStream_tbENKUlT_T0_E_clISt17integral_constantIbLb0EEST_IbLb1EEEEDaSP_SQ_EUlSP_E0_NS1_11comp_targetILNS1_3genE0ELNS1_11target_archE4294967295ELNS1_3gpuE0ELNS1_3repE0EEENS1_30default_config_static_selectorELNS0_4arch9wavefront6targetE1EEEvT1_ ; -- Begin function _ZN7rocprim17ROCPRIM_400000_NS6detail17trampoline_kernelINS0_14default_configENS1_20scan_config_selectorIxEEZZNS1_9scan_implILNS1_25lookback_scan_determinismE0ELb1ELb1ES3_N6thrust23THRUST_200600_302600_NS6detail15normal_iteratorINS9_10device_ptrIxEEEESE_x11max_functorIxExEEDaPvRmT3_T4_T5_mT6_P12ihipStream_tbENKUlT_T0_E_clISt17integral_constantIbLb0EEST_IbLb1EEEEDaSP_SQ_EUlSP_E0_NS1_11comp_targetILNS1_3genE0ELNS1_11target_archE4294967295ELNS1_3gpuE0ELNS1_3repE0EEENS1_30default_config_static_selectorELNS0_4arch9wavefront6targetE1EEEvT1_
	.globl	_ZN7rocprim17ROCPRIM_400000_NS6detail17trampoline_kernelINS0_14default_configENS1_20scan_config_selectorIxEEZZNS1_9scan_implILNS1_25lookback_scan_determinismE0ELb1ELb1ES3_N6thrust23THRUST_200600_302600_NS6detail15normal_iteratorINS9_10device_ptrIxEEEESE_x11max_functorIxExEEDaPvRmT3_T4_T5_mT6_P12ihipStream_tbENKUlT_T0_E_clISt17integral_constantIbLb0EEST_IbLb1EEEEDaSP_SQ_EUlSP_E0_NS1_11comp_targetILNS1_3genE0ELNS1_11target_archE4294967295ELNS1_3gpuE0ELNS1_3repE0EEENS1_30default_config_static_selectorELNS0_4arch9wavefront6targetE1EEEvT1_
	.p2align	8
	.type	_ZN7rocprim17ROCPRIM_400000_NS6detail17trampoline_kernelINS0_14default_configENS1_20scan_config_selectorIxEEZZNS1_9scan_implILNS1_25lookback_scan_determinismE0ELb1ELb1ES3_N6thrust23THRUST_200600_302600_NS6detail15normal_iteratorINS9_10device_ptrIxEEEESE_x11max_functorIxExEEDaPvRmT3_T4_T5_mT6_P12ihipStream_tbENKUlT_T0_E_clISt17integral_constantIbLb0EEST_IbLb1EEEEDaSP_SQ_EUlSP_E0_NS1_11comp_targetILNS1_3genE0ELNS1_11target_archE4294967295ELNS1_3gpuE0ELNS1_3repE0EEENS1_30default_config_static_selectorELNS0_4arch9wavefront6targetE1EEEvT1_,@function
_ZN7rocprim17ROCPRIM_400000_NS6detail17trampoline_kernelINS0_14default_configENS1_20scan_config_selectorIxEEZZNS1_9scan_implILNS1_25lookback_scan_determinismE0ELb1ELb1ES3_N6thrust23THRUST_200600_302600_NS6detail15normal_iteratorINS9_10device_ptrIxEEEESE_x11max_functorIxExEEDaPvRmT3_T4_T5_mT6_P12ihipStream_tbENKUlT_T0_E_clISt17integral_constantIbLb0EEST_IbLb1EEEEDaSP_SQ_EUlSP_E0_NS1_11comp_targetILNS1_3genE0ELNS1_11target_archE4294967295ELNS1_3gpuE0ELNS1_3repE0EEENS1_30default_config_static_selectorELNS0_4arch9wavefront6targetE1EEEvT1_: ; @_ZN7rocprim17ROCPRIM_400000_NS6detail17trampoline_kernelINS0_14default_configENS1_20scan_config_selectorIxEEZZNS1_9scan_implILNS1_25lookback_scan_determinismE0ELb1ELb1ES3_N6thrust23THRUST_200600_302600_NS6detail15normal_iteratorINS9_10device_ptrIxEEEESE_x11max_functorIxExEEDaPvRmT3_T4_T5_mT6_P12ihipStream_tbENKUlT_T0_E_clISt17integral_constantIbLb0EEST_IbLb1EEEEDaSP_SQ_EUlSP_E0_NS1_11comp_targetILNS1_3genE0ELNS1_11target_archE4294967295ELNS1_3gpuE0ELNS1_3repE0EEENS1_30default_config_static_selectorELNS0_4arch9wavefront6targetE1EEEvT1_
; %bb.0:
	.section	.rodata,"a",@progbits
	.p2align	6, 0x0
	.amdhsa_kernel _ZN7rocprim17ROCPRIM_400000_NS6detail17trampoline_kernelINS0_14default_configENS1_20scan_config_selectorIxEEZZNS1_9scan_implILNS1_25lookback_scan_determinismE0ELb1ELb1ES3_N6thrust23THRUST_200600_302600_NS6detail15normal_iteratorINS9_10device_ptrIxEEEESE_x11max_functorIxExEEDaPvRmT3_T4_T5_mT6_P12ihipStream_tbENKUlT_T0_E_clISt17integral_constantIbLb0EEST_IbLb1EEEEDaSP_SQ_EUlSP_E0_NS1_11comp_targetILNS1_3genE0ELNS1_11target_archE4294967295ELNS1_3gpuE0ELNS1_3repE0EEENS1_30default_config_static_selectorELNS0_4arch9wavefront6targetE1EEEvT1_
		.amdhsa_group_segment_fixed_size 0
		.amdhsa_private_segment_fixed_size 0
		.amdhsa_kernarg_size 40
		.amdhsa_user_sgpr_count 6
		.amdhsa_user_sgpr_private_segment_buffer 1
		.amdhsa_user_sgpr_dispatch_ptr 0
		.amdhsa_user_sgpr_queue_ptr 0
		.amdhsa_user_sgpr_kernarg_segment_ptr 1
		.amdhsa_user_sgpr_dispatch_id 0
		.amdhsa_user_sgpr_flat_scratch_init 0
		.amdhsa_user_sgpr_kernarg_preload_length 0
		.amdhsa_user_sgpr_kernarg_preload_offset 0
		.amdhsa_user_sgpr_private_segment_size 0
		.amdhsa_uses_dynamic_stack 0
		.amdhsa_system_sgpr_private_segment_wavefront_offset 0
		.amdhsa_system_sgpr_workgroup_id_x 1
		.amdhsa_system_sgpr_workgroup_id_y 0
		.amdhsa_system_sgpr_workgroup_id_z 0
		.amdhsa_system_sgpr_workgroup_info 0
		.amdhsa_system_vgpr_workitem_id 0
		.amdhsa_next_free_vgpr 1
		.amdhsa_next_free_sgpr 0
		.amdhsa_accum_offset 4
		.amdhsa_reserve_vcc 0
		.amdhsa_reserve_flat_scratch 0
		.amdhsa_float_round_mode_32 0
		.amdhsa_float_round_mode_16_64 0
		.amdhsa_float_denorm_mode_32 3
		.amdhsa_float_denorm_mode_16_64 3
		.amdhsa_dx10_clamp 1
		.amdhsa_ieee_mode 1
		.amdhsa_fp16_overflow 0
		.amdhsa_tg_split 0
		.amdhsa_exception_fp_ieee_invalid_op 0
		.amdhsa_exception_fp_denorm_src 0
		.amdhsa_exception_fp_ieee_div_zero 0
		.amdhsa_exception_fp_ieee_overflow 0
		.amdhsa_exception_fp_ieee_underflow 0
		.amdhsa_exception_fp_ieee_inexact 0
		.amdhsa_exception_int_div_zero 0
	.end_amdhsa_kernel
	.section	.text._ZN7rocprim17ROCPRIM_400000_NS6detail17trampoline_kernelINS0_14default_configENS1_20scan_config_selectorIxEEZZNS1_9scan_implILNS1_25lookback_scan_determinismE0ELb1ELb1ES3_N6thrust23THRUST_200600_302600_NS6detail15normal_iteratorINS9_10device_ptrIxEEEESE_x11max_functorIxExEEDaPvRmT3_T4_T5_mT6_P12ihipStream_tbENKUlT_T0_E_clISt17integral_constantIbLb0EEST_IbLb1EEEEDaSP_SQ_EUlSP_E0_NS1_11comp_targetILNS1_3genE0ELNS1_11target_archE4294967295ELNS1_3gpuE0ELNS1_3repE0EEENS1_30default_config_static_selectorELNS0_4arch9wavefront6targetE1EEEvT1_,"axG",@progbits,_ZN7rocprim17ROCPRIM_400000_NS6detail17trampoline_kernelINS0_14default_configENS1_20scan_config_selectorIxEEZZNS1_9scan_implILNS1_25lookback_scan_determinismE0ELb1ELb1ES3_N6thrust23THRUST_200600_302600_NS6detail15normal_iteratorINS9_10device_ptrIxEEEESE_x11max_functorIxExEEDaPvRmT3_T4_T5_mT6_P12ihipStream_tbENKUlT_T0_E_clISt17integral_constantIbLb0EEST_IbLb1EEEEDaSP_SQ_EUlSP_E0_NS1_11comp_targetILNS1_3genE0ELNS1_11target_archE4294967295ELNS1_3gpuE0ELNS1_3repE0EEENS1_30default_config_static_selectorELNS0_4arch9wavefront6targetE1EEEvT1_,comdat
.Lfunc_end2693:
	.size	_ZN7rocprim17ROCPRIM_400000_NS6detail17trampoline_kernelINS0_14default_configENS1_20scan_config_selectorIxEEZZNS1_9scan_implILNS1_25lookback_scan_determinismE0ELb1ELb1ES3_N6thrust23THRUST_200600_302600_NS6detail15normal_iteratorINS9_10device_ptrIxEEEESE_x11max_functorIxExEEDaPvRmT3_T4_T5_mT6_P12ihipStream_tbENKUlT_T0_E_clISt17integral_constantIbLb0EEST_IbLb1EEEEDaSP_SQ_EUlSP_E0_NS1_11comp_targetILNS1_3genE0ELNS1_11target_archE4294967295ELNS1_3gpuE0ELNS1_3repE0EEENS1_30default_config_static_selectorELNS0_4arch9wavefront6targetE1EEEvT1_, .Lfunc_end2693-_ZN7rocprim17ROCPRIM_400000_NS6detail17trampoline_kernelINS0_14default_configENS1_20scan_config_selectorIxEEZZNS1_9scan_implILNS1_25lookback_scan_determinismE0ELb1ELb1ES3_N6thrust23THRUST_200600_302600_NS6detail15normal_iteratorINS9_10device_ptrIxEEEESE_x11max_functorIxExEEDaPvRmT3_T4_T5_mT6_P12ihipStream_tbENKUlT_T0_E_clISt17integral_constantIbLb0EEST_IbLb1EEEEDaSP_SQ_EUlSP_E0_NS1_11comp_targetILNS1_3genE0ELNS1_11target_archE4294967295ELNS1_3gpuE0ELNS1_3repE0EEENS1_30default_config_static_selectorELNS0_4arch9wavefront6targetE1EEEvT1_
                                        ; -- End function
	.section	.AMDGPU.csdata,"",@progbits
; Kernel info:
; codeLenInByte = 0
; NumSgprs: 4
; NumVgprs: 0
; NumAgprs: 0
; TotalNumVgprs: 0
; ScratchSize: 0
; MemoryBound: 0
; FloatMode: 240
; IeeeMode: 1
; LDSByteSize: 0 bytes/workgroup (compile time only)
; SGPRBlocks: 0
; VGPRBlocks: 0
; NumSGPRsForWavesPerEU: 4
; NumVGPRsForWavesPerEU: 1
; AccumOffset: 4
; Occupancy: 8
; WaveLimiterHint : 0
; COMPUTE_PGM_RSRC2:SCRATCH_EN: 0
; COMPUTE_PGM_RSRC2:USER_SGPR: 6
; COMPUTE_PGM_RSRC2:TRAP_HANDLER: 0
; COMPUTE_PGM_RSRC2:TGID_X_EN: 1
; COMPUTE_PGM_RSRC2:TGID_Y_EN: 0
; COMPUTE_PGM_RSRC2:TGID_Z_EN: 0
; COMPUTE_PGM_RSRC2:TIDIG_COMP_CNT: 0
; COMPUTE_PGM_RSRC3_GFX90A:ACCUM_OFFSET: 0
; COMPUTE_PGM_RSRC3_GFX90A:TG_SPLIT: 0
	.section	.text._ZN7rocprim17ROCPRIM_400000_NS6detail17trampoline_kernelINS0_14default_configENS1_20scan_config_selectorIxEEZZNS1_9scan_implILNS1_25lookback_scan_determinismE0ELb1ELb1ES3_N6thrust23THRUST_200600_302600_NS6detail15normal_iteratorINS9_10device_ptrIxEEEESE_x11max_functorIxExEEDaPvRmT3_T4_T5_mT6_P12ihipStream_tbENKUlT_T0_E_clISt17integral_constantIbLb0EEST_IbLb1EEEEDaSP_SQ_EUlSP_E0_NS1_11comp_targetILNS1_3genE5ELNS1_11target_archE942ELNS1_3gpuE9ELNS1_3repE0EEENS1_30default_config_static_selectorELNS0_4arch9wavefront6targetE1EEEvT1_,"axG",@progbits,_ZN7rocprim17ROCPRIM_400000_NS6detail17trampoline_kernelINS0_14default_configENS1_20scan_config_selectorIxEEZZNS1_9scan_implILNS1_25lookback_scan_determinismE0ELb1ELb1ES3_N6thrust23THRUST_200600_302600_NS6detail15normal_iteratorINS9_10device_ptrIxEEEESE_x11max_functorIxExEEDaPvRmT3_T4_T5_mT6_P12ihipStream_tbENKUlT_T0_E_clISt17integral_constantIbLb0EEST_IbLb1EEEEDaSP_SQ_EUlSP_E0_NS1_11comp_targetILNS1_3genE5ELNS1_11target_archE942ELNS1_3gpuE9ELNS1_3repE0EEENS1_30default_config_static_selectorELNS0_4arch9wavefront6targetE1EEEvT1_,comdat
	.protected	_ZN7rocprim17ROCPRIM_400000_NS6detail17trampoline_kernelINS0_14default_configENS1_20scan_config_selectorIxEEZZNS1_9scan_implILNS1_25lookback_scan_determinismE0ELb1ELb1ES3_N6thrust23THRUST_200600_302600_NS6detail15normal_iteratorINS9_10device_ptrIxEEEESE_x11max_functorIxExEEDaPvRmT3_T4_T5_mT6_P12ihipStream_tbENKUlT_T0_E_clISt17integral_constantIbLb0EEST_IbLb1EEEEDaSP_SQ_EUlSP_E0_NS1_11comp_targetILNS1_3genE5ELNS1_11target_archE942ELNS1_3gpuE9ELNS1_3repE0EEENS1_30default_config_static_selectorELNS0_4arch9wavefront6targetE1EEEvT1_ ; -- Begin function _ZN7rocprim17ROCPRIM_400000_NS6detail17trampoline_kernelINS0_14default_configENS1_20scan_config_selectorIxEEZZNS1_9scan_implILNS1_25lookback_scan_determinismE0ELb1ELb1ES3_N6thrust23THRUST_200600_302600_NS6detail15normal_iteratorINS9_10device_ptrIxEEEESE_x11max_functorIxExEEDaPvRmT3_T4_T5_mT6_P12ihipStream_tbENKUlT_T0_E_clISt17integral_constantIbLb0EEST_IbLb1EEEEDaSP_SQ_EUlSP_E0_NS1_11comp_targetILNS1_3genE5ELNS1_11target_archE942ELNS1_3gpuE9ELNS1_3repE0EEENS1_30default_config_static_selectorELNS0_4arch9wavefront6targetE1EEEvT1_
	.globl	_ZN7rocprim17ROCPRIM_400000_NS6detail17trampoline_kernelINS0_14default_configENS1_20scan_config_selectorIxEEZZNS1_9scan_implILNS1_25lookback_scan_determinismE0ELb1ELb1ES3_N6thrust23THRUST_200600_302600_NS6detail15normal_iteratorINS9_10device_ptrIxEEEESE_x11max_functorIxExEEDaPvRmT3_T4_T5_mT6_P12ihipStream_tbENKUlT_T0_E_clISt17integral_constantIbLb0EEST_IbLb1EEEEDaSP_SQ_EUlSP_E0_NS1_11comp_targetILNS1_3genE5ELNS1_11target_archE942ELNS1_3gpuE9ELNS1_3repE0EEENS1_30default_config_static_selectorELNS0_4arch9wavefront6targetE1EEEvT1_
	.p2align	8
	.type	_ZN7rocprim17ROCPRIM_400000_NS6detail17trampoline_kernelINS0_14default_configENS1_20scan_config_selectorIxEEZZNS1_9scan_implILNS1_25lookback_scan_determinismE0ELb1ELb1ES3_N6thrust23THRUST_200600_302600_NS6detail15normal_iteratorINS9_10device_ptrIxEEEESE_x11max_functorIxExEEDaPvRmT3_T4_T5_mT6_P12ihipStream_tbENKUlT_T0_E_clISt17integral_constantIbLb0EEST_IbLb1EEEEDaSP_SQ_EUlSP_E0_NS1_11comp_targetILNS1_3genE5ELNS1_11target_archE942ELNS1_3gpuE9ELNS1_3repE0EEENS1_30default_config_static_selectorELNS0_4arch9wavefront6targetE1EEEvT1_,@function
_ZN7rocprim17ROCPRIM_400000_NS6detail17trampoline_kernelINS0_14default_configENS1_20scan_config_selectorIxEEZZNS1_9scan_implILNS1_25lookback_scan_determinismE0ELb1ELb1ES3_N6thrust23THRUST_200600_302600_NS6detail15normal_iteratorINS9_10device_ptrIxEEEESE_x11max_functorIxExEEDaPvRmT3_T4_T5_mT6_P12ihipStream_tbENKUlT_T0_E_clISt17integral_constantIbLb0EEST_IbLb1EEEEDaSP_SQ_EUlSP_E0_NS1_11comp_targetILNS1_3genE5ELNS1_11target_archE942ELNS1_3gpuE9ELNS1_3repE0EEENS1_30default_config_static_selectorELNS0_4arch9wavefront6targetE1EEEvT1_: ; @_ZN7rocprim17ROCPRIM_400000_NS6detail17trampoline_kernelINS0_14default_configENS1_20scan_config_selectorIxEEZZNS1_9scan_implILNS1_25lookback_scan_determinismE0ELb1ELb1ES3_N6thrust23THRUST_200600_302600_NS6detail15normal_iteratorINS9_10device_ptrIxEEEESE_x11max_functorIxExEEDaPvRmT3_T4_T5_mT6_P12ihipStream_tbENKUlT_T0_E_clISt17integral_constantIbLb0EEST_IbLb1EEEEDaSP_SQ_EUlSP_E0_NS1_11comp_targetILNS1_3genE5ELNS1_11target_archE942ELNS1_3gpuE9ELNS1_3repE0EEENS1_30default_config_static_selectorELNS0_4arch9wavefront6targetE1EEEvT1_
; %bb.0:
	.section	.rodata,"a",@progbits
	.p2align	6, 0x0
	.amdhsa_kernel _ZN7rocprim17ROCPRIM_400000_NS6detail17trampoline_kernelINS0_14default_configENS1_20scan_config_selectorIxEEZZNS1_9scan_implILNS1_25lookback_scan_determinismE0ELb1ELb1ES3_N6thrust23THRUST_200600_302600_NS6detail15normal_iteratorINS9_10device_ptrIxEEEESE_x11max_functorIxExEEDaPvRmT3_T4_T5_mT6_P12ihipStream_tbENKUlT_T0_E_clISt17integral_constantIbLb0EEST_IbLb1EEEEDaSP_SQ_EUlSP_E0_NS1_11comp_targetILNS1_3genE5ELNS1_11target_archE942ELNS1_3gpuE9ELNS1_3repE0EEENS1_30default_config_static_selectorELNS0_4arch9wavefront6targetE1EEEvT1_
		.amdhsa_group_segment_fixed_size 0
		.amdhsa_private_segment_fixed_size 0
		.amdhsa_kernarg_size 40
		.amdhsa_user_sgpr_count 6
		.amdhsa_user_sgpr_private_segment_buffer 1
		.amdhsa_user_sgpr_dispatch_ptr 0
		.amdhsa_user_sgpr_queue_ptr 0
		.amdhsa_user_sgpr_kernarg_segment_ptr 1
		.amdhsa_user_sgpr_dispatch_id 0
		.amdhsa_user_sgpr_flat_scratch_init 0
		.amdhsa_user_sgpr_kernarg_preload_length 0
		.amdhsa_user_sgpr_kernarg_preload_offset 0
		.amdhsa_user_sgpr_private_segment_size 0
		.amdhsa_uses_dynamic_stack 0
		.amdhsa_system_sgpr_private_segment_wavefront_offset 0
		.amdhsa_system_sgpr_workgroup_id_x 1
		.amdhsa_system_sgpr_workgroup_id_y 0
		.amdhsa_system_sgpr_workgroup_id_z 0
		.amdhsa_system_sgpr_workgroup_info 0
		.amdhsa_system_vgpr_workitem_id 0
		.amdhsa_next_free_vgpr 1
		.amdhsa_next_free_sgpr 0
		.amdhsa_accum_offset 4
		.amdhsa_reserve_vcc 0
		.amdhsa_reserve_flat_scratch 0
		.amdhsa_float_round_mode_32 0
		.amdhsa_float_round_mode_16_64 0
		.amdhsa_float_denorm_mode_32 3
		.amdhsa_float_denorm_mode_16_64 3
		.amdhsa_dx10_clamp 1
		.amdhsa_ieee_mode 1
		.amdhsa_fp16_overflow 0
		.amdhsa_tg_split 0
		.amdhsa_exception_fp_ieee_invalid_op 0
		.amdhsa_exception_fp_denorm_src 0
		.amdhsa_exception_fp_ieee_div_zero 0
		.amdhsa_exception_fp_ieee_overflow 0
		.amdhsa_exception_fp_ieee_underflow 0
		.amdhsa_exception_fp_ieee_inexact 0
		.amdhsa_exception_int_div_zero 0
	.end_amdhsa_kernel
	.section	.text._ZN7rocprim17ROCPRIM_400000_NS6detail17trampoline_kernelINS0_14default_configENS1_20scan_config_selectorIxEEZZNS1_9scan_implILNS1_25lookback_scan_determinismE0ELb1ELb1ES3_N6thrust23THRUST_200600_302600_NS6detail15normal_iteratorINS9_10device_ptrIxEEEESE_x11max_functorIxExEEDaPvRmT3_T4_T5_mT6_P12ihipStream_tbENKUlT_T0_E_clISt17integral_constantIbLb0EEST_IbLb1EEEEDaSP_SQ_EUlSP_E0_NS1_11comp_targetILNS1_3genE5ELNS1_11target_archE942ELNS1_3gpuE9ELNS1_3repE0EEENS1_30default_config_static_selectorELNS0_4arch9wavefront6targetE1EEEvT1_,"axG",@progbits,_ZN7rocprim17ROCPRIM_400000_NS6detail17trampoline_kernelINS0_14default_configENS1_20scan_config_selectorIxEEZZNS1_9scan_implILNS1_25lookback_scan_determinismE0ELb1ELb1ES3_N6thrust23THRUST_200600_302600_NS6detail15normal_iteratorINS9_10device_ptrIxEEEESE_x11max_functorIxExEEDaPvRmT3_T4_T5_mT6_P12ihipStream_tbENKUlT_T0_E_clISt17integral_constantIbLb0EEST_IbLb1EEEEDaSP_SQ_EUlSP_E0_NS1_11comp_targetILNS1_3genE5ELNS1_11target_archE942ELNS1_3gpuE9ELNS1_3repE0EEENS1_30default_config_static_selectorELNS0_4arch9wavefront6targetE1EEEvT1_,comdat
.Lfunc_end2694:
	.size	_ZN7rocprim17ROCPRIM_400000_NS6detail17trampoline_kernelINS0_14default_configENS1_20scan_config_selectorIxEEZZNS1_9scan_implILNS1_25lookback_scan_determinismE0ELb1ELb1ES3_N6thrust23THRUST_200600_302600_NS6detail15normal_iteratorINS9_10device_ptrIxEEEESE_x11max_functorIxExEEDaPvRmT3_T4_T5_mT6_P12ihipStream_tbENKUlT_T0_E_clISt17integral_constantIbLb0EEST_IbLb1EEEEDaSP_SQ_EUlSP_E0_NS1_11comp_targetILNS1_3genE5ELNS1_11target_archE942ELNS1_3gpuE9ELNS1_3repE0EEENS1_30default_config_static_selectorELNS0_4arch9wavefront6targetE1EEEvT1_, .Lfunc_end2694-_ZN7rocprim17ROCPRIM_400000_NS6detail17trampoline_kernelINS0_14default_configENS1_20scan_config_selectorIxEEZZNS1_9scan_implILNS1_25lookback_scan_determinismE0ELb1ELb1ES3_N6thrust23THRUST_200600_302600_NS6detail15normal_iteratorINS9_10device_ptrIxEEEESE_x11max_functorIxExEEDaPvRmT3_T4_T5_mT6_P12ihipStream_tbENKUlT_T0_E_clISt17integral_constantIbLb0EEST_IbLb1EEEEDaSP_SQ_EUlSP_E0_NS1_11comp_targetILNS1_3genE5ELNS1_11target_archE942ELNS1_3gpuE9ELNS1_3repE0EEENS1_30default_config_static_selectorELNS0_4arch9wavefront6targetE1EEEvT1_
                                        ; -- End function
	.section	.AMDGPU.csdata,"",@progbits
; Kernel info:
; codeLenInByte = 0
; NumSgprs: 4
; NumVgprs: 0
; NumAgprs: 0
; TotalNumVgprs: 0
; ScratchSize: 0
; MemoryBound: 0
; FloatMode: 240
; IeeeMode: 1
; LDSByteSize: 0 bytes/workgroup (compile time only)
; SGPRBlocks: 0
; VGPRBlocks: 0
; NumSGPRsForWavesPerEU: 4
; NumVGPRsForWavesPerEU: 1
; AccumOffset: 4
; Occupancy: 8
; WaveLimiterHint : 0
; COMPUTE_PGM_RSRC2:SCRATCH_EN: 0
; COMPUTE_PGM_RSRC2:USER_SGPR: 6
; COMPUTE_PGM_RSRC2:TRAP_HANDLER: 0
; COMPUTE_PGM_RSRC2:TGID_X_EN: 1
; COMPUTE_PGM_RSRC2:TGID_Y_EN: 0
; COMPUTE_PGM_RSRC2:TGID_Z_EN: 0
; COMPUTE_PGM_RSRC2:TIDIG_COMP_CNT: 0
; COMPUTE_PGM_RSRC3_GFX90A:ACCUM_OFFSET: 0
; COMPUTE_PGM_RSRC3_GFX90A:TG_SPLIT: 0
	.section	.text._ZN7rocprim17ROCPRIM_400000_NS6detail17trampoline_kernelINS0_14default_configENS1_20scan_config_selectorIxEEZZNS1_9scan_implILNS1_25lookback_scan_determinismE0ELb1ELb1ES3_N6thrust23THRUST_200600_302600_NS6detail15normal_iteratorINS9_10device_ptrIxEEEESE_x11max_functorIxExEEDaPvRmT3_T4_T5_mT6_P12ihipStream_tbENKUlT_T0_E_clISt17integral_constantIbLb0EEST_IbLb1EEEEDaSP_SQ_EUlSP_E0_NS1_11comp_targetILNS1_3genE4ELNS1_11target_archE910ELNS1_3gpuE8ELNS1_3repE0EEENS1_30default_config_static_selectorELNS0_4arch9wavefront6targetE1EEEvT1_,"axG",@progbits,_ZN7rocprim17ROCPRIM_400000_NS6detail17trampoline_kernelINS0_14default_configENS1_20scan_config_selectorIxEEZZNS1_9scan_implILNS1_25lookback_scan_determinismE0ELb1ELb1ES3_N6thrust23THRUST_200600_302600_NS6detail15normal_iteratorINS9_10device_ptrIxEEEESE_x11max_functorIxExEEDaPvRmT3_T4_T5_mT6_P12ihipStream_tbENKUlT_T0_E_clISt17integral_constantIbLb0EEST_IbLb1EEEEDaSP_SQ_EUlSP_E0_NS1_11comp_targetILNS1_3genE4ELNS1_11target_archE910ELNS1_3gpuE8ELNS1_3repE0EEENS1_30default_config_static_selectorELNS0_4arch9wavefront6targetE1EEEvT1_,comdat
	.protected	_ZN7rocprim17ROCPRIM_400000_NS6detail17trampoline_kernelINS0_14default_configENS1_20scan_config_selectorIxEEZZNS1_9scan_implILNS1_25lookback_scan_determinismE0ELb1ELb1ES3_N6thrust23THRUST_200600_302600_NS6detail15normal_iteratorINS9_10device_ptrIxEEEESE_x11max_functorIxExEEDaPvRmT3_T4_T5_mT6_P12ihipStream_tbENKUlT_T0_E_clISt17integral_constantIbLb0EEST_IbLb1EEEEDaSP_SQ_EUlSP_E0_NS1_11comp_targetILNS1_3genE4ELNS1_11target_archE910ELNS1_3gpuE8ELNS1_3repE0EEENS1_30default_config_static_selectorELNS0_4arch9wavefront6targetE1EEEvT1_ ; -- Begin function _ZN7rocprim17ROCPRIM_400000_NS6detail17trampoline_kernelINS0_14default_configENS1_20scan_config_selectorIxEEZZNS1_9scan_implILNS1_25lookback_scan_determinismE0ELb1ELb1ES3_N6thrust23THRUST_200600_302600_NS6detail15normal_iteratorINS9_10device_ptrIxEEEESE_x11max_functorIxExEEDaPvRmT3_T4_T5_mT6_P12ihipStream_tbENKUlT_T0_E_clISt17integral_constantIbLb0EEST_IbLb1EEEEDaSP_SQ_EUlSP_E0_NS1_11comp_targetILNS1_3genE4ELNS1_11target_archE910ELNS1_3gpuE8ELNS1_3repE0EEENS1_30default_config_static_selectorELNS0_4arch9wavefront6targetE1EEEvT1_
	.globl	_ZN7rocprim17ROCPRIM_400000_NS6detail17trampoline_kernelINS0_14default_configENS1_20scan_config_selectorIxEEZZNS1_9scan_implILNS1_25lookback_scan_determinismE0ELb1ELb1ES3_N6thrust23THRUST_200600_302600_NS6detail15normal_iteratorINS9_10device_ptrIxEEEESE_x11max_functorIxExEEDaPvRmT3_T4_T5_mT6_P12ihipStream_tbENKUlT_T0_E_clISt17integral_constantIbLb0EEST_IbLb1EEEEDaSP_SQ_EUlSP_E0_NS1_11comp_targetILNS1_3genE4ELNS1_11target_archE910ELNS1_3gpuE8ELNS1_3repE0EEENS1_30default_config_static_selectorELNS0_4arch9wavefront6targetE1EEEvT1_
	.p2align	8
	.type	_ZN7rocprim17ROCPRIM_400000_NS6detail17trampoline_kernelINS0_14default_configENS1_20scan_config_selectorIxEEZZNS1_9scan_implILNS1_25lookback_scan_determinismE0ELb1ELb1ES3_N6thrust23THRUST_200600_302600_NS6detail15normal_iteratorINS9_10device_ptrIxEEEESE_x11max_functorIxExEEDaPvRmT3_T4_T5_mT6_P12ihipStream_tbENKUlT_T0_E_clISt17integral_constantIbLb0EEST_IbLb1EEEEDaSP_SQ_EUlSP_E0_NS1_11comp_targetILNS1_3genE4ELNS1_11target_archE910ELNS1_3gpuE8ELNS1_3repE0EEENS1_30default_config_static_selectorELNS0_4arch9wavefront6targetE1EEEvT1_,@function
_ZN7rocprim17ROCPRIM_400000_NS6detail17trampoline_kernelINS0_14default_configENS1_20scan_config_selectorIxEEZZNS1_9scan_implILNS1_25lookback_scan_determinismE0ELb1ELb1ES3_N6thrust23THRUST_200600_302600_NS6detail15normal_iteratorINS9_10device_ptrIxEEEESE_x11max_functorIxExEEDaPvRmT3_T4_T5_mT6_P12ihipStream_tbENKUlT_T0_E_clISt17integral_constantIbLb0EEST_IbLb1EEEEDaSP_SQ_EUlSP_E0_NS1_11comp_targetILNS1_3genE4ELNS1_11target_archE910ELNS1_3gpuE8ELNS1_3repE0EEENS1_30default_config_static_selectorELNS0_4arch9wavefront6targetE1EEEvT1_: ; @_ZN7rocprim17ROCPRIM_400000_NS6detail17trampoline_kernelINS0_14default_configENS1_20scan_config_selectorIxEEZZNS1_9scan_implILNS1_25lookback_scan_determinismE0ELb1ELb1ES3_N6thrust23THRUST_200600_302600_NS6detail15normal_iteratorINS9_10device_ptrIxEEEESE_x11max_functorIxExEEDaPvRmT3_T4_T5_mT6_P12ihipStream_tbENKUlT_T0_E_clISt17integral_constantIbLb0EEST_IbLb1EEEEDaSP_SQ_EUlSP_E0_NS1_11comp_targetILNS1_3genE4ELNS1_11target_archE910ELNS1_3gpuE8ELNS1_3repE0EEENS1_30default_config_static_selectorELNS0_4arch9wavefront6targetE1EEEvT1_
; %bb.0:
	s_load_dwordx4 s[16:19], s[4:5], 0x0
	v_lshlrev_b32_e32 v24, 3, v0
	s_waitcnt lgkmcnt(0)
	s_load_dwordx2 s[14:15], s[16:17], 0x0
	v_cmp_gt_u32_e32 vcc, s18, v0
	s_waitcnt lgkmcnt(0)
	v_pk_mov_b32 v[2:3], s[14:15], s[14:15] op_sel:[0,1]
	s_and_saveexec_b64 s[0:1], vcc
	s_cbranch_execz .LBB2695_2
; %bb.1:
	global_load_dwordx2 v[2:3], v24, s[16:17]
.LBB2695_2:
	s_or_b64 exec, exec, s[0:1]
	v_or_b32_e32 v1, 0x80, v0
	v_cmp_gt_u32_e64 s[0:1], s18, v1
	v_pk_mov_b32 v[4:5], s[14:15], s[14:15] op_sel:[0,1]
	s_and_saveexec_b64 s[2:3], s[0:1]
	s_cbranch_execz .LBB2695_4
; %bb.3:
	global_load_dwordx2 v[4:5], v24, s[16:17] offset:1024
.LBB2695_4:
	s_or_b64 exec, exec, s[2:3]
	v_or_b32_e32 v1, 0x100, v0
	v_cmp_gt_u32_e64 s[2:3], s18, v1
	v_pk_mov_b32 v[6:7], s[14:15], s[14:15] op_sel:[0,1]
	s_and_saveexec_b64 s[6:7], s[2:3]
	s_cbranch_execz .LBB2695_6
; %bb.5:
	global_load_dwordx2 v[6:7], v24, s[16:17] offset:2048
.LBB2695_6:
	;; [unrolled: 9-line block ×3, first 2 shown]
	s_or_b64 exec, exec, s[6:7]
	v_or_b32_e32 v1, 0x200, v0
	v_cmp_gt_u32_e64 s[6:7], s18, v1
	v_pk_mov_b32 v[10:11], s[14:15], s[14:15] op_sel:[0,1]
	s_and_saveexec_b64 s[8:9], s[6:7]
	s_cbranch_execz .LBB2695_10
; %bb.9:
	v_lshlrev_b32_e32 v1, 3, v1
	global_load_dwordx2 v[10:11], v1, s[16:17]
.LBB2695_10:
	s_or_b64 exec, exec, s[8:9]
	v_or_b32_e32 v1, 0x280, v0
	v_cmp_gt_u32_e64 s[8:9], s18, v1
	v_pk_mov_b32 v[12:13], s[14:15], s[14:15] op_sel:[0,1]
	s_and_saveexec_b64 s[10:11], s[8:9]
	s_cbranch_execz .LBB2695_12
; %bb.11:
	v_lshlrev_b32_e32 v1, 3, v1
	global_load_dwordx2 v[12:13], v1, s[16:17]
.LBB2695_12:
	s_or_b64 exec, exec, s[10:11]
	s_load_dwordx2 s[20:21], s[4:5], 0x10
	v_or_b32_e32 v1, 0x300, v0
	v_cmp_gt_u32_e64 s[10:11], s18, v1
	v_pk_mov_b32 v[14:15], s[14:15], s[14:15] op_sel:[0,1]
	s_and_saveexec_b64 s[14:15], s[10:11]
	s_cbranch_execz .LBB2695_14
; %bb.13:
	v_lshlrev_b32_e32 v1, 3, v1
	global_load_dwordx2 v[14:15], v1, s[16:17]
.LBB2695_14:
	s_or_b64 exec, exec, s[14:15]
	v_mad_u32_u24 v1, v0, 48, v24
	s_waitcnt vmcnt(0)
	ds_write2st64_b64 v24, v[2:3], v[4:5] offset1:2
	ds_write2st64_b64 v24, v[6:7], v[8:9] offset0:4 offset1:6
	ds_write2st64_b64 v24, v[10:11], v[12:13] offset0:8 offset1:10
	ds_write_b64 v24, v[14:15] offset:6144
	s_waitcnt lgkmcnt(0)
	s_barrier
	ds_read2_b64 v[10:13], v1 offset1:1
	ds_read2_b64 v[6:9], v1 offset0:2 offset1:3
	ds_read2_b64 v[2:5], v1 offset0:4 offset1:5
	ds_read_b64 v[14:15], v1 offset:48
	s_load_dwordx2 s[16:17], s[4:5], 0x20
	s_waitcnt lgkmcnt(0)
	v_cmp_gt_i64_e64 s[4:5], v[10:11], v[12:13]
	v_cndmask_b32_e64 v17, v13, v11, s[4:5]
	v_cndmask_b32_e64 v16, v12, v10, s[4:5]
	v_cmp_gt_i64_e64 s[4:5], v[16:17], v[6:7]
	v_cndmask_b32_e64 v17, v7, v17, s[4:5]
	v_cndmask_b32_e64 v16, v6, v16, s[4:5]
	;; [unrolled: 3-line block ×5, first 2 shown]
	v_cmp_gt_i64_e64 s[4:5], v[16:17], v[14:15]
	v_cndmask_b32_e64 v18, v14, v16, s[4:5]
	v_lshrrev_b32_e32 v14, 2, v0
	v_and_b32_e32 v14, 24, v14
	v_cndmask_b32_e64 v19, v15, v17, s[4:5]
	v_add_u32_e32 v14, v24, v14
	v_cmp_gt_u32_e64 s[4:5], 64, v0
	s_barrier
	ds_write_b64 v14, v[18:19]
	s_waitcnt lgkmcnt(0)
	s_barrier
	s_and_saveexec_b64 s[18:19], s[4:5]
	s_cbranch_execz .LBB2695_18
; %bb.15:
	v_lshlrev_b32_e32 v14, 1, v0
	v_lshrrev_b32_e32 v15, 4, v0
	v_add_lshl_u32 v25, v15, v14, 3
	ds_read2_b64 v[14:17], v25 offset1:1
	v_mbcnt_lo_u32_b32 v20, -1, 0
	v_mbcnt_hi_u32_b32 v26, -1, v20
	v_and_b32_e32 v27, 15, v26
	v_and_b32_e32 v29, 16, v26
	s_waitcnt lgkmcnt(0)
	v_cmp_gt_i64_e64 s[4:5], v[14:15], v[16:17]
	v_cndmask_b32_e64 v17, v17, v15, s[4:5]
	v_cndmask_b32_e64 v16, v16, v14, s[4:5]
	v_cmp_ne_u32_e64 s[14:15], 0, v26
	v_mov_b32_dpp v21, v17 row_shr:1 row_mask:0xf bank_mask:0xf
	v_mov_b32_dpp v20, v16 row_shr:1 row_mask:0xf bank_mask:0xf
	v_cmp_gt_i64_e64 s[4:5], v[20:21], v[16:17]
	v_cndmask_b32_e64 v20, v16, v20, s[4:5]
	v_cndmask_b32_e64 v21, v17, v21, s[4:5]
	v_cmp_eq_u32_e64 s[4:5], 0, v27
	v_cndmask_b32_e64 v21, v21, v17, s[4:5]
	v_cndmask_b32_e64 v20, v20, v16, s[4:5]
	s_nop 0
	v_mov_b32_dpp v23, v21 row_shr:2 row_mask:0xf bank_mask:0xf
	v_mov_b32_dpp v22, v20 row_shr:2 row_mask:0xf bank_mask:0xf
	v_cmp_gt_i64_e64 s[4:5], v[22:23], v[20:21]
	v_cndmask_b32_e64 v22, v20, v22, s[4:5]
	v_cndmask_b32_e64 v23, v21, v23, s[4:5]
	v_cmp_lt_u32_e64 s[4:5], 1, v27
	v_cndmask_b32_e64 v21, v21, v23, s[4:5]
	v_cndmask_b32_e64 v20, v20, v22, s[4:5]
	s_nop 0
	v_mov_b32_dpp v23, v21 row_shr:4 row_mask:0xf bank_mask:0xf
	v_mov_b32_dpp v22, v20 row_shr:4 row_mask:0xf bank_mask:0xf
	v_cmp_gt_i64_e64 s[4:5], v[22:23], v[20:21]
	v_cndmask_b32_e64 v22, v20, v22, s[4:5]
	v_cndmask_b32_e64 v23, v21, v23, s[4:5]
	v_cmp_lt_u32_e64 s[4:5], 3, v27
	;; [unrolled: 9-line block ×3, first 2 shown]
	v_cndmask_b32_e64 v21, v21, v23, s[4:5]
	v_cndmask_b32_e64 v20, v20, v22, s[4:5]
	s_nop 0
	v_mov_b32_dpp v23, v21 row_bcast:15 row_mask:0xf bank_mask:0xf
	v_mov_b32_dpp v22, v20 row_bcast:15 row_mask:0xf bank_mask:0xf
	v_cmp_gt_i64_e64 s[4:5], v[22:23], v[20:21]
	v_cndmask_b32_e64 v27, v21, v23, s[4:5]
	v_cndmask_b32_e64 v28, v20, v22, s[4:5]
	v_cmp_eq_u32_e64 s[4:5], 0, v29
	v_cndmask_b32_e64 v23, v27, v21, s[4:5]
	v_cndmask_b32_e64 v22, v28, v20, s[4:5]
	s_nop 0
	v_mov_b32_dpp v23, v23 row_bcast:31 row_mask:0xf bank_mask:0xf
	v_mov_b32_dpp v22, v22 row_bcast:31 row_mask:0xf bank_mask:0xf
	s_and_saveexec_b64 s[22:23], s[14:15]
; %bb.16:
	v_cndmask_b32_e64 v17, v27, v21, s[4:5]
	v_cndmask_b32_e64 v16, v28, v20, s[4:5]
	v_cmp_lt_u32_e64 s[14:15], 31, v26
	v_cmp_gt_i64_e64 s[4:5], v[22:23], v[16:17]
	s_and_b64 s[4:5], s[14:15], s[4:5]
	v_cndmask_b32_e64 v16, v16, v22, s[4:5]
	v_cndmask_b32_e64 v17, v17, v23, s[4:5]
; %bb.17:
	s_or_b64 exec, exec, s[22:23]
	v_add_u32_e32 v20, -1, v26
	v_and_b32_e32 v21, 64, v26
	v_cmp_lt_i32_e64 s[4:5], v20, v21
	v_cndmask_b32_e64 v20, v20, v26, s[4:5]
	v_lshlrev_b32_e32 v20, 2, v20
	ds_bpermute_b32 v16, v20, v16
	ds_bpermute_b32 v17, v20, v17
	; wave barrier
	s_waitcnt lgkmcnt(0)
	v_cmp_gt_i64_e64 s[4:5], v[16:17], v[14:15]
	v_cndmask_b32_e64 v14, v14, v16, s[4:5]
	v_cndmask_b32_e64 v15, v15, v17, s[4:5]
	v_cmp_eq_u32_e64 s[4:5], 0, v0
	v_cndmask_b32_e64 v15, v15, v19, s[4:5]
	v_cndmask_b32_e64 v14, v14, v18, s[4:5]
	ds_write_b64 v25, v[14:15]
	; wave barrier
	ds_read_b64 v[16:17], v25 offset:8
	s_waitcnt lgkmcnt(0)
	v_cmp_gt_i64_e64 s[4:5], v[14:15], v[16:17]
	v_cndmask_b32_e64 v15, v17, v15, s[4:5]
	v_cndmask_b32_e64 v14, v16, v14, s[4:5]
	ds_write_b64 v25, v[14:15] offset:8
.LBB2695_18:
	s_or_b64 exec, exec, s[18:19]
	v_cmp_ne_u32_e64 s[4:5], 0, v0
	v_pk_mov_b32 v[14:15], s[20:21], s[20:21] op_sel:[0,1]
	s_waitcnt lgkmcnt(0)
	s_barrier
	s_and_saveexec_b64 s[14:15], s[4:5]
	s_cbranch_execz .LBB2695_20
; %bb.19:
	v_add_u32_e32 v14, -1, v0
	v_lshrrev_b32_e32 v15, 5, v14
	v_add_lshl_u32 v14, v15, v14, 3
	ds_read_b64 v[14:15], v14
	v_mov_b32_e32 v16, s21
	s_waitcnt lgkmcnt(0)
	v_cmp_gt_i64_e64 s[4:5], s[20:21], v[14:15]
	v_cndmask_b32_e64 v15, v15, v16, s[4:5]
	v_mov_b32_e32 v16, s20
	v_cndmask_b32_e64 v14, v14, v16, s[4:5]
.LBB2695_20:
	s_or_b64 exec, exec, s[14:15]
	v_cmp_gt_i64_e64 s[4:5], v[14:15], v[10:11]
	v_cndmask_b32_e64 v11, v11, v15, s[4:5]
	v_cndmask_b32_e64 v10, v10, v14, s[4:5]
	v_cmp_gt_i64_e64 s[4:5], v[10:11], v[12:13]
	v_cndmask_b32_e64 v13, v13, v11, s[4:5]
	v_cndmask_b32_e64 v12, v12, v10, s[4:5]
	;; [unrolled: 3-line block ×6, first 2 shown]
	s_movk_i32 s4, 0xffd0
	v_mad_i32_i24 v0, v0, s4, v1
	s_barrier
	ds_write2_b64 v1, v[14:15], v[10:11] offset1:1
	ds_write2_b64 v1, v[12:13], v[6:7] offset0:2 offset1:3
	ds_write2_b64 v1, v[8:9], v[2:3] offset0:4 offset1:5
	ds_write_b64 v1, v[4:5] offset:48
	s_waitcnt lgkmcnt(0)
	s_barrier
	ds_read2st64_b64 v[8:11], v0 offset0:2 offset1:4
	ds_read2st64_b64 v[4:7], v0 offset0:6 offset1:8
	;; [unrolled: 1-line block ×3, first 2 shown]
	v_mov_b32_e32 v13, s17
	v_add_co_u32_e64 v12, s[4:5], s16, v24
	v_addc_co_u32_e64 v13, s[4:5], 0, v13, s[4:5]
	s_and_saveexec_b64 s[4:5], vcc
	s_cbranch_execnz .LBB2695_28
; %bb.21:
	s_or_b64 exec, exec, s[4:5]
	s_and_saveexec_b64 s[4:5], s[0:1]
	s_cbranch_execnz .LBB2695_29
.LBB2695_22:
	s_or_b64 exec, exec, s[4:5]
	s_and_saveexec_b64 s[0:1], s[2:3]
	s_cbranch_execnz .LBB2695_30
.LBB2695_23:
	s_or_b64 exec, exec, s[0:1]
	s_and_saveexec_b64 s[0:1], s[12:13]
	s_cbranch_execnz .LBB2695_31
.LBB2695_24:
	s_or_b64 exec, exec, s[0:1]
	s_and_saveexec_b64 s[0:1], s[6:7]
	s_cbranch_execnz .LBB2695_32
.LBB2695_25:
	s_or_b64 exec, exec, s[0:1]
	s_and_saveexec_b64 s[0:1], s[8:9]
	s_cbranch_execnz .LBB2695_33
.LBB2695_26:
	s_or_b64 exec, exec, s[0:1]
	s_and_saveexec_b64 s[0:1], s[10:11]
	s_cbranch_execnz .LBB2695_34
.LBB2695_27:
	s_endpgm
.LBB2695_28:
	ds_read_b64 v[14:15], v24
	s_waitcnt lgkmcnt(0)
	global_store_dwordx2 v[12:13], v[14:15], off
	s_or_b64 exec, exec, s[4:5]
	s_and_saveexec_b64 s[4:5], s[0:1]
	s_cbranch_execz .LBB2695_22
.LBB2695_29:
	s_waitcnt lgkmcnt(2)
	global_store_dwordx2 v[12:13], v[8:9], off offset:1024
	s_or_b64 exec, exec, s[4:5]
	s_and_saveexec_b64 s[0:1], s[2:3]
	s_cbranch_execz .LBB2695_23
.LBB2695_30:
	s_waitcnt lgkmcnt(2)
	global_store_dwordx2 v[12:13], v[10:11], off offset:2048
	s_or_b64 exec, exec, s[0:1]
	s_and_saveexec_b64 s[0:1], s[12:13]
	s_cbranch_execz .LBB2695_24
.LBB2695_31:
	s_waitcnt lgkmcnt(1)
	global_store_dwordx2 v[12:13], v[4:5], off offset:3072
	s_or_b64 exec, exec, s[0:1]
	s_and_saveexec_b64 s[0:1], s[6:7]
	s_cbranch_execz .LBB2695_25
.LBB2695_32:
	s_waitcnt lgkmcnt(1)
	v_add_co_u32_e32 v4, vcc, 0x1000, v12
	v_addc_co_u32_e32 v5, vcc, 0, v13, vcc
	global_store_dwordx2 v[4:5], v[6:7], off
	s_or_b64 exec, exec, s[0:1]
	s_and_saveexec_b64 s[0:1], s[8:9]
	s_cbranch_execz .LBB2695_26
.LBB2695_33:
	s_waitcnt lgkmcnt(1)
	v_add_co_u32_e32 v4, vcc, 0x1000, v12
	v_addc_co_u32_e32 v5, vcc, 0, v13, vcc
	s_waitcnt lgkmcnt(0)
	global_store_dwordx2 v[4:5], v[0:1], off offset:1024
	s_or_b64 exec, exec, s[0:1]
	s_and_saveexec_b64 s[0:1], s[10:11]
	s_cbranch_execz .LBB2695_27
.LBB2695_34:
	s_waitcnt lgkmcnt(0)
	v_add_co_u32_e32 v0, vcc, 0x1000, v12
	v_addc_co_u32_e32 v1, vcc, 0, v13, vcc
	global_store_dwordx2 v[0:1], v[2:3], off offset:2048
	s_endpgm
	.section	.rodata,"a",@progbits
	.p2align	6, 0x0
	.amdhsa_kernel _ZN7rocprim17ROCPRIM_400000_NS6detail17trampoline_kernelINS0_14default_configENS1_20scan_config_selectorIxEEZZNS1_9scan_implILNS1_25lookback_scan_determinismE0ELb1ELb1ES3_N6thrust23THRUST_200600_302600_NS6detail15normal_iteratorINS9_10device_ptrIxEEEESE_x11max_functorIxExEEDaPvRmT3_T4_T5_mT6_P12ihipStream_tbENKUlT_T0_E_clISt17integral_constantIbLb0EEST_IbLb1EEEEDaSP_SQ_EUlSP_E0_NS1_11comp_targetILNS1_3genE4ELNS1_11target_archE910ELNS1_3gpuE8ELNS1_3repE0EEENS1_30default_config_static_selectorELNS0_4arch9wavefront6targetE1EEEvT1_
		.amdhsa_group_segment_fixed_size 7168
		.amdhsa_private_segment_fixed_size 0
		.amdhsa_kernarg_size 40
		.amdhsa_user_sgpr_count 6
		.amdhsa_user_sgpr_private_segment_buffer 1
		.amdhsa_user_sgpr_dispatch_ptr 0
		.amdhsa_user_sgpr_queue_ptr 0
		.amdhsa_user_sgpr_kernarg_segment_ptr 1
		.amdhsa_user_sgpr_dispatch_id 0
		.amdhsa_user_sgpr_flat_scratch_init 0
		.amdhsa_user_sgpr_kernarg_preload_length 0
		.amdhsa_user_sgpr_kernarg_preload_offset 0
		.amdhsa_user_sgpr_private_segment_size 0
		.amdhsa_uses_dynamic_stack 0
		.amdhsa_system_sgpr_private_segment_wavefront_offset 0
		.amdhsa_system_sgpr_workgroup_id_x 1
		.amdhsa_system_sgpr_workgroup_id_y 0
		.amdhsa_system_sgpr_workgroup_id_z 0
		.amdhsa_system_sgpr_workgroup_info 0
		.amdhsa_system_vgpr_workitem_id 0
		.amdhsa_next_free_vgpr 30
		.amdhsa_next_free_sgpr 24
		.amdhsa_accum_offset 32
		.amdhsa_reserve_vcc 1
		.amdhsa_reserve_flat_scratch 0
		.amdhsa_float_round_mode_32 0
		.amdhsa_float_round_mode_16_64 0
		.amdhsa_float_denorm_mode_32 3
		.amdhsa_float_denorm_mode_16_64 3
		.amdhsa_dx10_clamp 1
		.amdhsa_ieee_mode 1
		.amdhsa_fp16_overflow 0
		.amdhsa_tg_split 0
		.amdhsa_exception_fp_ieee_invalid_op 0
		.amdhsa_exception_fp_denorm_src 0
		.amdhsa_exception_fp_ieee_div_zero 0
		.amdhsa_exception_fp_ieee_overflow 0
		.amdhsa_exception_fp_ieee_underflow 0
		.amdhsa_exception_fp_ieee_inexact 0
		.amdhsa_exception_int_div_zero 0
	.end_amdhsa_kernel
	.section	.text._ZN7rocprim17ROCPRIM_400000_NS6detail17trampoline_kernelINS0_14default_configENS1_20scan_config_selectorIxEEZZNS1_9scan_implILNS1_25lookback_scan_determinismE0ELb1ELb1ES3_N6thrust23THRUST_200600_302600_NS6detail15normal_iteratorINS9_10device_ptrIxEEEESE_x11max_functorIxExEEDaPvRmT3_T4_T5_mT6_P12ihipStream_tbENKUlT_T0_E_clISt17integral_constantIbLb0EEST_IbLb1EEEEDaSP_SQ_EUlSP_E0_NS1_11comp_targetILNS1_3genE4ELNS1_11target_archE910ELNS1_3gpuE8ELNS1_3repE0EEENS1_30default_config_static_selectorELNS0_4arch9wavefront6targetE1EEEvT1_,"axG",@progbits,_ZN7rocprim17ROCPRIM_400000_NS6detail17trampoline_kernelINS0_14default_configENS1_20scan_config_selectorIxEEZZNS1_9scan_implILNS1_25lookback_scan_determinismE0ELb1ELb1ES3_N6thrust23THRUST_200600_302600_NS6detail15normal_iteratorINS9_10device_ptrIxEEEESE_x11max_functorIxExEEDaPvRmT3_T4_T5_mT6_P12ihipStream_tbENKUlT_T0_E_clISt17integral_constantIbLb0EEST_IbLb1EEEEDaSP_SQ_EUlSP_E0_NS1_11comp_targetILNS1_3genE4ELNS1_11target_archE910ELNS1_3gpuE8ELNS1_3repE0EEENS1_30default_config_static_selectorELNS0_4arch9wavefront6targetE1EEEvT1_,comdat
.Lfunc_end2695:
	.size	_ZN7rocprim17ROCPRIM_400000_NS6detail17trampoline_kernelINS0_14default_configENS1_20scan_config_selectorIxEEZZNS1_9scan_implILNS1_25lookback_scan_determinismE0ELb1ELb1ES3_N6thrust23THRUST_200600_302600_NS6detail15normal_iteratorINS9_10device_ptrIxEEEESE_x11max_functorIxExEEDaPvRmT3_T4_T5_mT6_P12ihipStream_tbENKUlT_T0_E_clISt17integral_constantIbLb0EEST_IbLb1EEEEDaSP_SQ_EUlSP_E0_NS1_11comp_targetILNS1_3genE4ELNS1_11target_archE910ELNS1_3gpuE8ELNS1_3repE0EEENS1_30default_config_static_selectorELNS0_4arch9wavefront6targetE1EEEvT1_, .Lfunc_end2695-_ZN7rocprim17ROCPRIM_400000_NS6detail17trampoline_kernelINS0_14default_configENS1_20scan_config_selectorIxEEZZNS1_9scan_implILNS1_25lookback_scan_determinismE0ELb1ELb1ES3_N6thrust23THRUST_200600_302600_NS6detail15normal_iteratorINS9_10device_ptrIxEEEESE_x11max_functorIxExEEDaPvRmT3_T4_T5_mT6_P12ihipStream_tbENKUlT_T0_E_clISt17integral_constantIbLb0EEST_IbLb1EEEEDaSP_SQ_EUlSP_E0_NS1_11comp_targetILNS1_3genE4ELNS1_11target_archE910ELNS1_3gpuE8ELNS1_3repE0EEENS1_30default_config_static_selectorELNS0_4arch9wavefront6targetE1EEEvT1_
                                        ; -- End function
	.section	.AMDGPU.csdata,"",@progbits
; Kernel info:
; codeLenInByte = 1916
; NumSgprs: 28
; NumVgprs: 30
; NumAgprs: 0
; TotalNumVgprs: 30
; ScratchSize: 0
; MemoryBound: 0
; FloatMode: 240
; IeeeMode: 1
; LDSByteSize: 7168 bytes/workgroup (compile time only)
; SGPRBlocks: 3
; VGPRBlocks: 3
; NumSGPRsForWavesPerEU: 28
; NumVGPRsForWavesPerEU: 30
; AccumOffset: 32
; Occupancy: 5
; WaveLimiterHint : 0
; COMPUTE_PGM_RSRC2:SCRATCH_EN: 0
; COMPUTE_PGM_RSRC2:USER_SGPR: 6
; COMPUTE_PGM_RSRC2:TRAP_HANDLER: 0
; COMPUTE_PGM_RSRC2:TGID_X_EN: 1
; COMPUTE_PGM_RSRC2:TGID_Y_EN: 0
; COMPUTE_PGM_RSRC2:TGID_Z_EN: 0
; COMPUTE_PGM_RSRC2:TIDIG_COMP_CNT: 0
; COMPUTE_PGM_RSRC3_GFX90A:ACCUM_OFFSET: 7
; COMPUTE_PGM_RSRC3_GFX90A:TG_SPLIT: 0
	.section	.text._ZN7rocprim17ROCPRIM_400000_NS6detail17trampoline_kernelINS0_14default_configENS1_20scan_config_selectorIxEEZZNS1_9scan_implILNS1_25lookback_scan_determinismE0ELb1ELb1ES3_N6thrust23THRUST_200600_302600_NS6detail15normal_iteratorINS9_10device_ptrIxEEEESE_x11max_functorIxExEEDaPvRmT3_T4_T5_mT6_P12ihipStream_tbENKUlT_T0_E_clISt17integral_constantIbLb0EEST_IbLb1EEEEDaSP_SQ_EUlSP_E0_NS1_11comp_targetILNS1_3genE3ELNS1_11target_archE908ELNS1_3gpuE7ELNS1_3repE0EEENS1_30default_config_static_selectorELNS0_4arch9wavefront6targetE1EEEvT1_,"axG",@progbits,_ZN7rocprim17ROCPRIM_400000_NS6detail17trampoline_kernelINS0_14default_configENS1_20scan_config_selectorIxEEZZNS1_9scan_implILNS1_25lookback_scan_determinismE0ELb1ELb1ES3_N6thrust23THRUST_200600_302600_NS6detail15normal_iteratorINS9_10device_ptrIxEEEESE_x11max_functorIxExEEDaPvRmT3_T4_T5_mT6_P12ihipStream_tbENKUlT_T0_E_clISt17integral_constantIbLb0EEST_IbLb1EEEEDaSP_SQ_EUlSP_E0_NS1_11comp_targetILNS1_3genE3ELNS1_11target_archE908ELNS1_3gpuE7ELNS1_3repE0EEENS1_30default_config_static_selectorELNS0_4arch9wavefront6targetE1EEEvT1_,comdat
	.protected	_ZN7rocprim17ROCPRIM_400000_NS6detail17trampoline_kernelINS0_14default_configENS1_20scan_config_selectorIxEEZZNS1_9scan_implILNS1_25lookback_scan_determinismE0ELb1ELb1ES3_N6thrust23THRUST_200600_302600_NS6detail15normal_iteratorINS9_10device_ptrIxEEEESE_x11max_functorIxExEEDaPvRmT3_T4_T5_mT6_P12ihipStream_tbENKUlT_T0_E_clISt17integral_constantIbLb0EEST_IbLb1EEEEDaSP_SQ_EUlSP_E0_NS1_11comp_targetILNS1_3genE3ELNS1_11target_archE908ELNS1_3gpuE7ELNS1_3repE0EEENS1_30default_config_static_selectorELNS0_4arch9wavefront6targetE1EEEvT1_ ; -- Begin function _ZN7rocprim17ROCPRIM_400000_NS6detail17trampoline_kernelINS0_14default_configENS1_20scan_config_selectorIxEEZZNS1_9scan_implILNS1_25lookback_scan_determinismE0ELb1ELb1ES3_N6thrust23THRUST_200600_302600_NS6detail15normal_iteratorINS9_10device_ptrIxEEEESE_x11max_functorIxExEEDaPvRmT3_T4_T5_mT6_P12ihipStream_tbENKUlT_T0_E_clISt17integral_constantIbLb0EEST_IbLb1EEEEDaSP_SQ_EUlSP_E0_NS1_11comp_targetILNS1_3genE3ELNS1_11target_archE908ELNS1_3gpuE7ELNS1_3repE0EEENS1_30default_config_static_selectorELNS0_4arch9wavefront6targetE1EEEvT1_
	.globl	_ZN7rocprim17ROCPRIM_400000_NS6detail17trampoline_kernelINS0_14default_configENS1_20scan_config_selectorIxEEZZNS1_9scan_implILNS1_25lookback_scan_determinismE0ELb1ELb1ES3_N6thrust23THRUST_200600_302600_NS6detail15normal_iteratorINS9_10device_ptrIxEEEESE_x11max_functorIxExEEDaPvRmT3_T4_T5_mT6_P12ihipStream_tbENKUlT_T0_E_clISt17integral_constantIbLb0EEST_IbLb1EEEEDaSP_SQ_EUlSP_E0_NS1_11comp_targetILNS1_3genE3ELNS1_11target_archE908ELNS1_3gpuE7ELNS1_3repE0EEENS1_30default_config_static_selectorELNS0_4arch9wavefront6targetE1EEEvT1_
	.p2align	8
	.type	_ZN7rocprim17ROCPRIM_400000_NS6detail17trampoline_kernelINS0_14default_configENS1_20scan_config_selectorIxEEZZNS1_9scan_implILNS1_25lookback_scan_determinismE0ELb1ELb1ES3_N6thrust23THRUST_200600_302600_NS6detail15normal_iteratorINS9_10device_ptrIxEEEESE_x11max_functorIxExEEDaPvRmT3_T4_T5_mT6_P12ihipStream_tbENKUlT_T0_E_clISt17integral_constantIbLb0EEST_IbLb1EEEEDaSP_SQ_EUlSP_E0_NS1_11comp_targetILNS1_3genE3ELNS1_11target_archE908ELNS1_3gpuE7ELNS1_3repE0EEENS1_30default_config_static_selectorELNS0_4arch9wavefront6targetE1EEEvT1_,@function
_ZN7rocprim17ROCPRIM_400000_NS6detail17trampoline_kernelINS0_14default_configENS1_20scan_config_selectorIxEEZZNS1_9scan_implILNS1_25lookback_scan_determinismE0ELb1ELb1ES3_N6thrust23THRUST_200600_302600_NS6detail15normal_iteratorINS9_10device_ptrIxEEEESE_x11max_functorIxExEEDaPvRmT3_T4_T5_mT6_P12ihipStream_tbENKUlT_T0_E_clISt17integral_constantIbLb0EEST_IbLb1EEEEDaSP_SQ_EUlSP_E0_NS1_11comp_targetILNS1_3genE3ELNS1_11target_archE908ELNS1_3gpuE7ELNS1_3repE0EEENS1_30default_config_static_selectorELNS0_4arch9wavefront6targetE1EEEvT1_: ; @_ZN7rocprim17ROCPRIM_400000_NS6detail17trampoline_kernelINS0_14default_configENS1_20scan_config_selectorIxEEZZNS1_9scan_implILNS1_25lookback_scan_determinismE0ELb1ELb1ES3_N6thrust23THRUST_200600_302600_NS6detail15normal_iteratorINS9_10device_ptrIxEEEESE_x11max_functorIxExEEDaPvRmT3_T4_T5_mT6_P12ihipStream_tbENKUlT_T0_E_clISt17integral_constantIbLb0EEST_IbLb1EEEEDaSP_SQ_EUlSP_E0_NS1_11comp_targetILNS1_3genE3ELNS1_11target_archE908ELNS1_3gpuE7ELNS1_3repE0EEENS1_30default_config_static_selectorELNS0_4arch9wavefront6targetE1EEEvT1_
; %bb.0:
	.section	.rodata,"a",@progbits
	.p2align	6, 0x0
	.amdhsa_kernel _ZN7rocprim17ROCPRIM_400000_NS6detail17trampoline_kernelINS0_14default_configENS1_20scan_config_selectorIxEEZZNS1_9scan_implILNS1_25lookback_scan_determinismE0ELb1ELb1ES3_N6thrust23THRUST_200600_302600_NS6detail15normal_iteratorINS9_10device_ptrIxEEEESE_x11max_functorIxExEEDaPvRmT3_T4_T5_mT6_P12ihipStream_tbENKUlT_T0_E_clISt17integral_constantIbLb0EEST_IbLb1EEEEDaSP_SQ_EUlSP_E0_NS1_11comp_targetILNS1_3genE3ELNS1_11target_archE908ELNS1_3gpuE7ELNS1_3repE0EEENS1_30default_config_static_selectorELNS0_4arch9wavefront6targetE1EEEvT1_
		.amdhsa_group_segment_fixed_size 0
		.amdhsa_private_segment_fixed_size 0
		.amdhsa_kernarg_size 40
		.amdhsa_user_sgpr_count 6
		.amdhsa_user_sgpr_private_segment_buffer 1
		.amdhsa_user_sgpr_dispatch_ptr 0
		.amdhsa_user_sgpr_queue_ptr 0
		.amdhsa_user_sgpr_kernarg_segment_ptr 1
		.amdhsa_user_sgpr_dispatch_id 0
		.amdhsa_user_sgpr_flat_scratch_init 0
		.amdhsa_user_sgpr_kernarg_preload_length 0
		.amdhsa_user_sgpr_kernarg_preload_offset 0
		.amdhsa_user_sgpr_private_segment_size 0
		.amdhsa_uses_dynamic_stack 0
		.amdhsa_system_sgpr_private_segment_wavefront_offset 0
		.amdhsa_system_sgpr_workgroup_id_x 1
		.amdhsa_system_sgpr_workgroup_id_y 0
		.amdhsa_system_sgpr_workgroup_id_z 0
		.amdhsa_system_sgpr_workgroup_info 0
		.amdhsa_system_vgpr_workitem_id 0
		.amdhsa_next_free_vgpr 1
		.amdhsa_next_free_sgpr 0
		.amdhsa_accum_offset 4
		.amdhsa_reserve_vcc 0
		.amdhsa_reserve_flat_scratch 0
		.amdhsa_float_round_mode_32 0
		.amdhsa_float_round_mode_16_64 0
		.amdhsa_float_denorm_mode_32 3
		.amdhsa_float_denorm_mode_16_64 3
		.amdhsa_dx10_clamp 1
		.amdhsa_ieee_mode 1
		.amdhsa_fp16_overflow 0
		.amdhsa_tg_split 0
		.amdhsa_exception_fp_ieee_invalid_op 0
		.amdhsa_exception_fp_denorm_src 0
		.amdhsa_exception_fp_ieee_div_zero 0
		.amdhsa_exception_fp_ieee_overflow 0
		.amdhsa_exception_fp_ieee_underflow 0
		.amdhsa_exception_fp_ieee_inexact 0
		.amdhsa_exception_int_div_zero 0
	.end_amdhsa_kernel
	.section	.text._ZN7rocprim17ROCPRIM_400000_NS6detail17trampoline_kernelINS0_14default_configENS1_20scan_config_selectorIxEEZZNS1_9scan_implILNS1_25lookback_scan_determinismE0ELb1ELb1ES3_N6thrust23THRUST_200600_302600_NS6detail15normal_iteratorINS9_10device_ptrIxEEEESE_x11max_functorIxExEEDaPvRmT3_T4_T5_mT6_P12ihipStream_tbENKUlT_T0_E_clISt17integral_constantIbLb0EEST_IbLb1EEEEDaSP_SQ_EUlSP_E0_NS1_11comp_targetILNS1_3genE3ELNS1_11target_archE908ELNS1_3gpuE7ELNS1_3repE0EEENS1_30default_config_static_selectorELNS0_4arch9wavefront6targetE1EEEvT1_,"axG",@progbits,_ZN7rocprim17ROCPRIM_400000_NS6detail17trampoline_kernelINS0_14default_configENS1_20scan_config_selectorIxEEZZNS1_9scan_implILNS1_25lookback_scan_determinismE0ELb1ELb1ES3_N6thrust23THRUST_200600_302600_NS6detail15normal_iteratorINS9_10device_ptrIxEEEESE_x11max_functorIxExEEDaPvRmT3_T4_T5_mT6_P12ihipStream_tbENKUlT_T0_E_clISt17integral_constantIbLb0EEST_IbLb1EEEEDaSP_SQ_EUlSP_E0_NS1_11comp_targetILNS1_3genE3ELNS1_11target_archE908ELNS1_3gpuE7ELNS1_3repE0EEENS1_30default_config_static_selectorELNS0_4arch9wavefront6targetE1EEEvT1_,comdat
.Lfunc_end2696:
	.size	_ZN7rocprim17ROCPRIM_400000_NS6detail17trampoline_kernelINS0_14default_configENS1_20scan_config_selectorIxEEZZNS1_9scan_implILNS1_25lookback_scan_determinismE0ELb1ELb1ES3_N6thrust23THRUST_200600_302600_NS6detail15normal_iteratorINS9_10device_ptrIxEEEESE_x11max_functorIxExEEDaPvRmT3_T4_T5_mT6_P12ihipStream_tbENKUlT_T0_E_clISt17integral_constantIbLb0EEST_IbLb1EEEEDaSP_SQ_EUlSP_E0_NS1_11comp_targetILNS1_3genE3ELNS1_11target_archE908ELNS1_3gpuE7ELNS1_3repE0EEENS1_30default_config_static_selectorELNS0_4arch9wavefront6targetE1EEEvT1_, .Lfunc_end2696-_ZN7rocprim17ROCPRIM_400000_NS6detail17trampoline_kernelINS0_14default_configENS1_20scan_config_selectorIxEEZZNS1_9scan_implILNS1_25lookback_scan_determinismE0ELb1ELb1ES3_N6thrust23THRUST_200600_302600_NS6detail15normal_iteratorINS9_10device_ptrIxEEEESE_x11max_functorIxExEEDaPvRmT3_T4_T5_mT6_P12ihipStream_tbENKUlT_T0_E_clISt17integral_constantIbLb0EEST_IbLb1EEEEDaSP_SQ_EUlSP_E0_NS1_11comp_targetILNS1_3genE3ELNS1_11target_archE908ELNS1_3gpuE7ELNS1_3repE0EEENS1_30default_config_static_selectorELNS0_4arch9wavefront6targetE1EEEvT1_
                                        ; -- End function
	.section	.AMDGPU.csdata,"",@progbits
; Kernel info:
; codeLenInByte = 0
; NumSgprs: 4
; NumVgprs: 0
; NumAgprs: 0
; TotalNumVgprs: 0
; ScratchSize: 0
; MemoryBound: 0
; FloatMode: 240
; IeeeMode: 1
; LDSByteSize: 0 bytes/workgroup (compile time only)
; SGPRBlocks: 0
; VGPRBlocks: 0
; NumSGPRsForWavesPerEU: 4
; NumVGPRsForWavesPerEU: 1
; AccumOffset: 4
; Occupancy: 8
; WaveLimiterHint : 0
; COMPUTE_PGM_RSRC2:SCRATCH_EN: 0
; COMPUTE_PGM_RSRC2:USER_SGPR: 6
; COMPUTE_PGM_RSRC2:TRAP_HANDLER: 0
; COMPUTE_PGM_RSRC2:TGID_X_EN: 1
; COMPUTE_PGM_RSRC2:TGID_Y_EN: 0
; COMPUTE_PGM_RSRC2:TGID_Z_EN: 0
; COMPUTE_PGM_RSRC2:TIDIG_COMP_CNT: 0
; COMPUTE_PGM_RSRC3_GFX90A:ACCUM_OFFSET: 0
; COMPUTE_PGM_RSRC3_GFX90A:TG_SPLIT: 0
	.section	.text._ZN7rocprim17ROCPRIM_400000_NS6detail17trampoline_kernelINS0_14default_configENS1_20scan_config_selectorIxEEZZNS1_9scan_implILNS1_25lookback_scan_determinismE0ELb1ELb1ES3_N6thrust23THRUST_200600_302600_NS6detail15normal_iteratorINS9_10device_ptrIxEEEESE_x11max_functorIxExEEDaPvRmT3_T4_T5_mT6_P12ihipStream_tbENKUlT_T0_E_clISt17integral_constantIbLb0EEST_IbLb1EEEEDaSP_SQ_EUlSP_E0_NS1_11comp_targetILNS1_3genE2ELNS1_11target_archE906ELNS1_3gpuE6ELNS1_3repE0EEENS1_30default_config_static_selectorELNS0_4arch9wavefront6targetE1EEEvT1_,"axG",@progbits,_ZN7rocprim17ROCPRIM_400000_NS6detail17trampoline_kernelINS0_14default_configENS1_20scan_config_selectorIxEEZZNS1_9scan_implILNS1_25lookback_scan_determinismE0ELb1ELb1ES3_N6thrust23THRUST_200600_302600_NS6detail15normal_iteratorINS9_10device_ptrIxEEEESE_x11max_functorIxExEEDaPvRmT3_T4_T5_mT6_P12ihipStream_tbENKUlT_T0_E_clISt17integral_constantIbLb0EEST_IbLb1EEEEDaSP_SQ_EUlSP_E0_NS1_11comp_targetILNS1_3genE2ELNS1_11target_archE906ELNS1_3gpuE6ELNS1_3repE0EEENS1_30default_config_static_selectorELNS0_4arch9wavefront6targetE1EEEvT1_,comdat
	.protected	_ZN7rocprim17ROCPRIM_400000_NS6detail17trampoline_kernelINS0_14default_configENS1_20scan_config_selectorIxEEZZNS1_9scan_implILNS1_25lookback_scan_determinismE0ELb1ELb1ES3_N6thrust23THRUST_200600_302600_NS6detail15normal_iteratorINS9_10device_ptrIxEEEESE_x11max_functorIxExEEDaPvRmT3_T4_T5_mT6_P12ihipStream_tbENKUlT_T0_E_clISt17integral_constantIbLb0EEST_IbLb1EEEEDaSP_SQ_EUlSP_E0_NS1_11comp_targetILNS1_3genE2ELNS1_11target_archE906ELNS1_3gpuE6ELNS1_3repE0EEENS1_30default_config_static_selectorELNS0_4arch9wavefront6targetE1EEEvT1_ ; -- Begin function _ZN7rocprim17ROCPRIM_400000_NS6detail17trampoline_kernelINS0_14default_configENS1_20scan_config_selectorIxEEZZNS1_9scan_implILNS1_25lookback_scan_determinismE0ELb1ELb1ES3_N6thrust23THRUST_200600_302600_NS6detail15normal_iteratorINS9_10device_ptrIxEEEESE_x11max_functorIxExEEDaPvRmT3_T4_T5_mT6_P12ihipStream_tbENKUlT_T0_E_clISt17integral_constantIbLb0EEST_IbLb1EEEEDaSP_SQ_EUlSP_E0_NS1_11comp_targetILNS1_3genE2ELNS1_11target_archE906ELNS1_3gpuE6ELNS1_3repE0EEENS1_30default_config_static_selectorELNS0_4arch9wavefront6targetE1EEEvT1_
	.globl	_ZN7rocprim17ROCPRIM_400000_NS6detail17trampoline_kernelINS0_14default_configENS1_20scan_config_selectorIxEEZZNS1_9scan_implILNS1_25lookback_scan_determinismE0ELb1ELb1ES3_N6thrust23THRUST_200600_302600_NS6detail15normal_iteratorINS9_10device_ptrIxEEEESE_x11max_functorIxExEEDaPvRmT3_T4_T5_mT6_P12ihipStream_tbENKUlT_T0_E_clISt17integral_constantIbLb0EEST_IbLb1EEEEDaSP_SQ_EUlSP_E0_NS1_11comp_targetILNS1_3genE2ELNS1_11target_archE906ELNS1_3gpuE6ELNS1_3repE0EEENS1_30default_config_static_selectorELNS0_4arch9wavefront6targetE1EEEvT1_
	.p2align	8
	.type	_ZN7rocprim17ROCPRIM_400000_NS6detail17trampoline_kernelINS0_14default_configENS1_20scan_config_selectorIxEEZZNS1_9scan_implILNS1_25lookback_scan_determinismE0ELb1ELb1ES3_N6thrust23THRUST_200600_302600_NS6detail15normal_iteratorINS9_10device_ptrIxEEEESE_x11max_functorIxExEEDaPvRmT3_T4_T5_mT6_P12ihipStream_tbENKUlT_T0_E_clISt17integral_constantIbLb0EEST_IbLb1EEEEDaSP_SQ_EUlSP_E0_NS1_11comp_targetILNS1_3genE2ELNS1_11target_archE906ELNS1_3gpuE6ELNS1_3repE0EEENS1_30default_config_static_selectorELNS0_4arch9wavefront6targetE1EEEvT1_,@function
_ZN7rocprim17ROCPRIM_400000_NS6detail17trampoline_kernelINS0_14default_configENS1_20scan_config_selectorIxEEZZNS1_9scan_implILNS1_25lookback_scan_determinismE0ELb1ELb1ES3_N6thrust23THRUST_200600_302600_NS6detail15normal_iteratorINS9_10device_ptrIxEEEESE_x11max_functorIxExEEDaPvRmT3_T4_T5_mT6_P12ihipStream_tbENKUlT_T0_E_clISt17integral_constantIbLb0EEST_IbLb1EEEEDaSP_SQ_EUlSP_E0_NS1_11comp_targetILNS1_3genE2ELNS1_11target_archE906ELNS1_3gpuE6ELNS1_3repE0EEENS1_30default_config_static_selectorELNS0_4arch9wavefront6targetE1EEEvT1_: ; @_ZN7rocprim17ROCPRIM_400000_NS6detail17trampoline_kernelINS0_14default_configENS1_20scan_config_selectorIxEEZZNS1_9scan_implILNS1_25lookback_scan_determinismE0ELb1ELb1ES3_N6thrust23THRUST_200600_302600_NS6detail15normal_iteratorINS9_10device_ptrIxEEEESE_x11max_functorIxExEEDaPvRmT3_T4_T5_mT6_P12ihipStream_tbENKUlT_T0_E_clISt17integral_constantIbLb0EEST_IbLb1EEEEDaSP_SQ_EUlSP_E0_NS1_11comp_targetILNS1_3genE2ELNS1_11target_archE906ELNS1_3gpuE6ELNS1_3repE0EEENS1_30default_config_static_selectorELNS0_4arch9wavefront6targetE1EEEvT1_
; %bb.0:
	.section	.rodata,"a",@progbits
	.p2align	6, 0x0
	.amdhsa_kernel _ZN7rocprim17ROCPRIM_400000_NS6detail17trampoline_kernelINS0_14default_configENS1_20scan_config_selectorIxEEZZNS1_9scan_implILNS1_25lookback_scan_determinismE0ELb1ELb1ES3_N6thrust23THRUST_200600_302600_NS6detail15normal_iteratorINS9_10device_ptrIxEEEESE_x11max_functorIxExEEDaPvRmT3_T4_T5_mT6_P12ihipStream_tbENKUlT_T0_E_clISt17integral_constantIbLb0EEST_IbLb1EEEEDaSP_SQ_EUlSP_E0_NS1_11comp_targetILNS1_3genE2ELNS1_11target_archE906ELNS1_3gpuE6ELNS1_3repE0EEENS1_30default_config_static_selectorELNS0_4arch9wavefront6targetE1EEEvT1_
		.amdhsa_group_segment_fixed_size 0
		.amdhsa_private_segment_fixed_size 0
		.amdhsa_kernarg_size 40
		.amdhsa_user_sgpr_count 6
		.amdhsa_user_sgpr_private_segment_buffer 1
		.amdhsa_user_sgpr_dispatch_ptr 0
		.amdhsa_user_sgpr_queue_ptr 0
		.amdhsa_user_sgpr_kernarg_segment_ptr 1
		.amdhsa_user_sgpr_dispatch_id 0
		.amdhsa_user_sgpr_flat_scratch_init 0
		.amdhsa_user_sgpr_kernarg_preload_length 0
		.amdhsa_user_sgpr_kernarg_preload_offset 0
		.amdhsa_user_sgpr_private_segment_size 0
		.amdhsa_uses_dynamic_stack 0
		.amdhsa_system_sgpr_private_segment_wavefront_offset 0
		.amdhsa_system_sgpr_workgroup_id_x 1
		.amdhsa_system_sgpr_workgroup_id_y 0
		.amdhsa_system_sgpr_workgroup_id_z 0
		.amdhsa_system_sgpr_workgroup_info 0
		.amdhsa_system_vgpr_workitem_id 0
		.amdhsa_next_free_vgpr 1
		.amdhsa_next_free_sgpr 0
		.amdhsa_accum_offset 4
		.amdhsa_reserve_vcc 0
		.amdhsa_reserve_flat_scratch 0
		.amdhsa_float_round_mode_32 0
		.amdhsa_float_round_mode_16_64 0
		.amdhsa_float_denorm_mode_32 3
		.amdhsa_float_denorm_mode_16_64 3
		.amdhsa_dx10_clamp 1
		.amdhsa_ieee_mode 1
		.amdhsa_fp16_overflow 0
		.amdhsa_tg_split 0
		.amdhsa_exception_fp_ieee_invalid_op 0
		.amdhsa_exception_fp_denorm_src 0
		.amdhsa_exception_fp_ieee_div_zero 0
		.amdhsa_exception_fp_ieee_overflow 0
		.amdhsa_exception_fp_ieee_underflow 0
		.amdhsa_exception_fp_ieee_inexact 0
		.amdhsa_exception_int_div_zero 0
	.end_amdhsa_kernel
	.section	.text._ZN7rocprim17ROCPRIM_400000_NS6detail17trampoline_kernelINS0_14default_configENS1_20scan_config_selectorIxEEZZNS1_9scan_implILNS1_25lookback_scan_determinismE0ELb1ELb1ES3_N6thrust23THRUST_200600_302600_NS6detail15normal_iteratorINS9_10device_ptrIxEEEESE_x11max_functorIxExEEDaPvRmT3_T4_T5_mT6_P12ihipStream_tbENKUlT_T0_E_clISt17integral_constantIbLb0EEST_IbLb1EEEEDaSP_SQ_EUlSP_E0_NS1_11comp_targetILNS1_3genE2ELNS1_11target_archE906ELNS1_3gpuE6ELNS1_3repE0EEENS1_30default_config_static_selectorELNS0_4arch9wavefront6targetE1EEEvT1_,"axG",@progbits,_ZN7rocprim17ROCPRIM_400000_NS6detail17trampoline_kernelINS0_14default_configENS1_20scan_config_selectorIxEEZZNS1_9scan_implILNS1_25lookback_scan_determinismE0ELb1ELb1ES3_N6thrust23THRUST_200600_302600_NS6detail15normal_iteratorINS9_10device_ptrIxEEEESE_x11max_functorIxExEEDaPvRmT3_T4_T5_mT6_P12ihipStream_tbENKUlT_T0_E_clISt17integral_constantIbLb0EEST_IbLb1EEEEDaSP_SQ_EUlSP_E0_NS1_11comp_targetILNS1_3genE2ELNS1_11target_archE906ELNS1_3gpuE6ELNS1_3repE0EEENS1_30default_config_static_selectorELNS0_4arch9wavefront6targetE1EEEvT1_,comdat
.Lfunc_end2697:
	.size	_ZN7rocprim17ROCPRIM_400000_NS6detail17trampoline_kernelINS0_14default_configENS1_20scan_config_selectorIxEEZZNS1_9scan_implILNS1_25lookback_scan_determinismE0ELb1ELb1ES3_N6thrust23THRUST_200600_302600_NS6detail15normal_iteratorINS9_10device_ptrIxEEEESE_x11max_functorIxExEEDaPvRmT3_T4_T5_mT6_P12ihipStream_tbENKUlT_T0_E_clISt17integral_constantIbLb0EEST_IbLb1EEEEDaSP_SQ_EUlSP_E0_NS1_11comp_targetILNS1_3genE2ELNS1_11target_archE906ELNS1_3gpuE6ELNS1_3repE0EEENS1_30default_config_static_selectorELNS0_4arch9wavefront6targetE1EEEvT1_, .Lfunc_end2697-_ZN7rocprim17ROCPRIM_400000_NS6detail17trampoline_kernelINS0_14default_configENS1_20scan_config_selectorIxEEZZNS1_9scan_implILNS1_25lookback_scan_determinismE0ELb1ELb1ES3_N6thrust23THRUST_200600_302600_NS6detail15normal_iteratorINS9_10device_ptrIxEEEESE_x11max_functorIxExEEDaPvRmT3_T4_T5_mT6_P12ihipStream_tbENKUlT_T0_E_clISt17integral_constantIbLb0EEST_IbLb1EEEEDaSP_SQ_EUlSP_E0_NS1_11comp_targetILNS1_3genE2ELNS1_11target_archE906ELNS1_3gpuE6ELNS1_3repE0EEENS1_30default_config_static_selectorELNS0_4arch9wavefront6targetE1EEEvT1_
                                        ; -- End function
	.section	.AMDGPU.csdata,"",@progbits
; Kernel info:
; codeLenInByte = 0
; NumSgprs: 4
; NumVgprs: 0
; NumAgprs: 0
; TotalNumVgprs: 0
; ScratchSize: 0
; MemoryBound: 0
; FloatMode: 240
; IeeeMode: 1
; LDSByteSize: 0 bytes/workgroup (compile time only)
; SGPRBlocks: 0
; VGPRBlocks: 0
; NumSGPRsForWavesPerEU: 4
; NumVGPRsForWavesPerEU: 1
; AccumOffset: 4
; Occupancy: 8
; WaveLimiterHint : 0
; COMPUTE_PGM_RSRC2:SCRATCH_EN: 0
; COMPUTE_PGM_RSRC2:USER_SGPR: 6
; COMPUTE_PGM_RSRC2:TRAP_HANDLER: 0
; COMPUTE_PGM_RSRC2:TGID_X_EN: 1
; COMPUTE_PGM_RSRC2:TGID_Y_EN: 0
; COMPUTE_PGM_RSRC2:TGID_Z_EN: 0
; COMPUTE_PGM_RSRC2:TIDIG_COMP_CNT: 0
; COMPUTE_PGM_RSRC3_GFX90A:ACCUM_OFFSET: 0
; COMPUTE_PGM_RSRC3_GFX90A:TG_SPLIT: 0
	.section	.text._ZN7rocprim17ROCPRIM_400000_NS6detail17trampoline_kernelINS0_14default_configENS1_20scan_config_selectorIxEEZZNS1_9scan_implILNS1_25lookback_scan_determinismE0ELb1ELb1ES3_N6thrust23THRUST_200600_302600_NS6detail15normal_iteratorINS9_10device_ptrIxEEEESE_x11max_functorIxExEEDaPvRmT3_T4_T5_mT6_P12ihipStream_tbENKUlT_T0_E_clISt17integral_constantIbLb0EEST_IbLb1EEEEDaSP_SQ_EUlSP_E0_NS1_11comp_targetILNS1_3genE10ELNS1_11target_archE1201ELNS1_3gpuE5ELNS1_3repE0EEENS1_30default_config_static_selectorELNS0_4arch9wavefront6targetE1EEEvT1_,"axG",@progbits,_ZN7rocprim17ROCPRIM_400000_NS6detail17trampoline_kernelINS0_14default_configENS1_20scan_config_selectorIxEEZZNS1_9scan_implILNS1_25lookback_scan_determinismE0ELb1ELb1ES3_N6thrust23THRUST_200600_302600_NS6detail15normal_iteratorINS9_10device_ptrIxEEEESE_x11max_functorIxExEEDaPvRmT3_T4_T5_mT6_P12ihipStream_tbENKUlT_T0_E_clISt17integral_constantIbLb0EEST_IbLb1EEEEDaSP_SQ_EUlSP_E0_NS1_11comp_targetILNS1_3genE10ELNS1_11target_archE1201ELNS1_3gpuE5ELNS1_3repE0EEENS1_30default_config_static_selectorELNS0_4arch9wavefront6targetE1EEEvT1_,comdat
	.protected	_ZN7rocprim17ROCPRIM_400000_NS6detail17trampoline_kernelINS0_14default_configENS1_20scan_config_selectorIxEEZZNS1_9scan_implILNS1_25lookback_scan_determinismE0ELb1ELb1ES3_N6thrust23THRUST_200600_302600_NS6detail15normal_iteratorINS9_10device_ptrIxEEEESE_x11max_functorIxExEEDaPvRmT3_T4_T5_mT6_P12ihipStream_tbENKUlT_T0_E_clISt17integral_constantIbLb0EEST_IbLb1EEEEDaSP_SQ_EUlSP_E0_NS1_11comp_targetILNS1_3genE10ELNS1_11target_archE1201ELNS1_3gpuE5ELNS1_3repE0EEENS1_30default_config_static_selectorELNS0_4arch9wavefront6targetE1EEEvT1_ ; -- Begin function _ZN7rocprim17ROCPRIM_400000_NS6detail17trampoline_kernelINS0_14default_configENS1_20scan_config_selectorIxEEZZNS1_9scan_implILNS1_25lookback_scan_determinismE0ELb1ELb1ES3_N6thrust23THRUST_200600_302600_NS6detail15normal_iteratorINS9_10device_ptrIxEEEESE_x11max_functorIxExEEDaPvRmT3_T4_T5_mT6_P12ihipStream_tbENKUlT_T0_E_clISt17integral_constantIbLb0EEST_IbLb1EEEEDaSP_SQ_EUlSP_E0_NS1_11comp_targetILNS1_3genE10ELNS1_11target_archE1201ELNS1_3gpuE5ELNS1_3repE0EEENS1_30default_config_static_selectorELNS0_4arch9wavefront6targetE1EEEvT1_
	.globl	_ZN7rocprim17ROCPRIM_400000_NS6detail17trampoline_kernelINS0_14default_configENS1_20scan_config_selectorIxEEZZNS1_9scan_implILNS1_25lookback_scan_determinismE0ELb1ELb1ES3_N6thrust23THRUST_200600_302600_NS6detail15normal_iteratorINS9_10device_ptrIxEEEESE_x11max_functorIxExEEDaPvRmT3_T4_T5_mT6_P12ihipStream_tbENKUlT_T0_E_clISt17integral_constantIbLb0EEST_IbLb1EEEEDaSP_SQ_EUlSP_E0_NS1_11comp_targetILNS1_3genE10ELNS1_11target_archE1201ELNS1_3gpuE5ELNS1_3repE0EEENS1_30default_config_static_selectorELNS0_4arch9wavefront6targetE1EEEvT1_
	.p2align	8
	.type	_ZN7rocprim17ROCPRIM_400000_NS6detail17trampoline_kernelINS0_14default_configENS1_20scan_config_selectorIxEEZZNS1_9scan_implILNS1_25lookback_scan_determinismE0ELb1ELb1ES3_N6thrust23THRUST_200600_302600_NS6detail15normal_iteratorINS9_10device_ptrIxEEEESE_x11max_functorIxExEEDaPvRmT3_T4_T5_mT6_P12ihipStream_tbENKUlT_T0_E_clISt17integral_constantIbLb0EEST_IbLb1EEEEDaSP_SQ_EUlSP_E0_NS1_11comp_targetILNS1_3genE10ELNS1_11target_archE1201ELNS1_3gpuE5ELNS1_3repE0EEENS1_30default_config_static_selectorELNS0_4arch9wavefront6targetE1EEEvT1_,@function
_ZN7rocprim17ROCPRIM_400000_NS6detail17trampoline_kernelINS0_14default_configENS1_20scan_config_selectorIxEEZZNS1_9scan_implILNS1_25lookback_scan_determinismE0ELb1ELb1ES3_N6thrust23THRUST_200600_302600_NS6detail15normal_iteratorINS9_10device_ptrIxEEEESE_x11max_functorIxExEEDaPvRmT3_T4_T5_mT6_P12ihipStream_tbENKUlT_T0_E_clISt17integral_constantIbLb0EEST_IbLb1EEEEDaSP_SQ_EUlSP_E0_NS1_11comp_targetILNS1_3genE10ELNS1_11target_archE1201ELNS1_3gpuE5ELNS1_3repE0EEENS1_30default_config_static_selectorELNS0_4arch9wavefront6targetE1EEEvT1_: ; @_ZN7rocprim17ROCPRIM_400000_NS6detail17trampoline_kernelINS0_14default_configENS1_20scan_config_selectorIxEEZZNS1_9scan_implILNS1_25lookback_scan_determinismE0ELb1ELb1ES3_N6thrust23THRUST_200600_302600_NS6detail15normal_iteratorINS9_10device_ptrIxEEEESE_x11max_functorIxExEEDaPvRmT3_T4_T5_mT6_P12ihipStream_tbENKUlT_T0_E_clISt17integral_constantIbLb0EEST_IbLb1EEEEDaSP_SQ_EUlSP_E0_NS1_11comp_targetILNS1_3genE10ELNS1_11target_archE1201ELNS1_3gpuE5ELNS1_3repE0EEENS1_30default_config_static_selectorELNS0_4arch9wavefront6targetE1EEEvT1_
; %bb.0:
	.section	.rodata,"a",@progbits
	.p2align	6, 0x0
	.amdhsa_kernel _ZN7rocprim17ROCPRIM_400000_NS6detail17trampoline_kernelINS0_14default_configENS1_20scan_config_selectorIxEEZZNS1_9scan_implILNS1_25lookback_scan_determinismE0ELb1ELb1ES3_N6thrust23THRUST_200600_302600_NS6detail15normal_iteratorINS9_10device_ptrIxEEEESE_x11max_functorIxExEEDaPvRmT3_T4_T5_mT6_P12ihipStream_tbENKUlT_T0_E_clISt17integral_constantIbLb0EEST_IbLb1EEEEDaSP_SQ_EUlSP_E0_NS1_11comp_targetILNS1_3genE10ELNS1_11target_archE1201ELNS1_3gpuE5ELNS1_3repE0EEENS1_30default_config_static_selectorELNS0_4arch9wavefront6targetE1EEEvT1_
		.amdhsa_group_segment_fixed_size 0
		.amdhsa_private_segment_fixed_size 0
		.amdhsa_kernarg_size 40
		.amdhsa_user_sgpr_count 6
		.amdhsa_user_sgpr_private_segment_buffer 1
		.amdhsa_user_sgpr_dispatch_ptr 0
		.amdhsa_user_sgpr_queue_ptr 0
		.amdhsa_user_sgpr_kernarg_segment_ptr 1
		.amdhsa_user_sgpr_dispatch_id 0
		.amdhsa_user_sgpr_flat_scratch_init 0
		.amdhsa_user_sgpr_kernarg_preload_length 0
		.amdhsa_user_sgpr_kernarg_preload_offset 0
		.amdhsa_user_sgpr_private_segment_size 0
		.amdhsa_uses_dynamic_stack 0
		.amdhsa_system_sgpr_private_segment_wavefront_offset 0
		.amdhsa_system_sgpr_workgroup_id_x 1
		.amdhsa_system_sgpr_workgroup_id_y 0
		.amdhsa_system_sgpr_workgroup_id_z 0
		.amdhsa_system_sgpr_workgroup_info 0
		.amdhsa_system_vgpr_workitem_id 0
		.amdhsa_next_free_vgpr 1
		.amdhsa_next_free_sgpr 0
		.amdhsa_accum_offset 4
		.amdhsa_reserve_vcc 0
		.amdhsa_reserve_flat_scratch 0
		.amdhsa_float_round_mode_32 0
		.amdhsa_float_round_mode_16_64 0
		.amdhsa_float_denorm_mode_32 3
		.amdhsa_float_denorm_mode_16_64 3
		.amdhsa_dx10_clamp 1
		.amdhsa_ieee_mode 1
		.amdhsa_fp16_overflow 0
		.amdhsa_tg_split 0
		.amdhsa_exception_fp_ieee_invalid_op 0
		.amdhsa_exception_fp_denorm_src 0
		.amdhsa_exception_fp_ieee_div_zero 0
		.amdhsa_exception_fp_ieee_overflow 0
		.amdhsa_exception_fp_ieee_underflow 0
		.amdhsa_exception_fp_ieee_inexact 0
		.amdhsa_exception_int_div_zero 0
	.end_amdhsa_kernel
	.section	.text._ZN7rocprim17ROCPRIM_400000_NS6detail17trampoline_kernelINS0_14default_configENS1_20scan_config_selectorIxEEZZNS1_9scan_implILNS1_25lookback_scan_determinismE0ELb1ELb1ES3_N6thrust23THRUST_200600_302600_NS6detail15normal_iteratorINS9_10device_ptrIxEEEESE_x11max_functorIxExEEDaPvRmT3_T4_T5_mT6_P12ihipStream_tbENKUlT_T0_E_clISt17integral_constantIbLb0EEST_IbLb1EEEEDaSP_SQ_EUlSP_E0_NS1_11comp_targetILNS1_3genE10ELNS1_11target_archE1201ELNS1_3gpuE5ELNS1_3repE0EEENS1_30default_config_static_selectorELNS0_4arch9wavefront6targetE1EEEvT1_,"axG",@progbits,_ZN7rocprim17ROCPRIM_400000_NS6detail17trampoline_kernelINS0_14default_configENS1_20scan_config_selectorIxEEZZNS1_9scan_implILNS1_25lookback_scan_determinismE0ELb1ELb1ES3_N6thrust23THRUST_200600_302600_NS6detail15normal_iteratorINS9_10device_ptrIxEEEESE_x11max_functorIxExEEDaPvRmT3_T4_T5_mT6_P12ihipStream_tbENKUlT_T0_E_clISt17integral_constantIbLb0EEST_IbLb1EEEEDaSP_SQ_EUlSP_E0_NS1_11comp_targetILNS1_3genE10ELNS1_11target_archE1201ELNS1_3gpuE5ELNS1_3repE0EEENS1_30default_config_static_selectorELNS0_4arch9wavefront6targetE1EEEvT1_,comdat
.Lfunc_end2698:
	.size	_ZN7rocprim17ROCPRIM_400000_NS6detail17trampoline_kernelINS0_14default_configENS1_20scan_config_selectorIxEEZZNS1_9scan_implILNS1_25lookback_scan_determinismE0ELb1ELb1ES3_N6thrust23THRUST_200600_302600_NS6detail15normal_iteratorINS9_10device_ptrIxEEEESE_x11max_functorIxExEEDaPvRmT3_T4_T5_mT6_P12ihipStream_tbENKUlT_T0_E_clISt17integral_constantIbLb0EEST_IbLb1EEEEDaSP_SQ_EUlSP_E0_NS1_11comp_targetILNS1_3genE10ELNS1_11target_archE1201ELNS1_3gpuE5ELNS1_3repE0EEENS1_30default_config_static_selectorELNS0_4arch9wavefront6targetE1EEEvT1_, .Lfunc_end2698-_ZN7rocprim17ROCPRIM_400000_NS6detail17trampoline_kernelINS0_14default_configENS1_20scan_config_selectorIxEEZZNS1_9scan_implILNS1_25lookback_scan_determinismE0ELb1ELb1ES3_N6thrust23THRUST_200600_302600_NS6detail15normal_iteratorINS9_10device_ptrIxEEEESE_x11max_functorIxExEEDaPvRmT3_T4_T5_mT6_P12ihipStream_tbENKUlT_T0_E_clISt17integral_constantIbLb0EEST_IbLb1EEEEDaSP_SQ_EUlSP_E0_NS1_11comp_targetILNS1_3genE10ELNS1_11target_archE1201ELNS1_3gpuE5ELNS1_3repE0EEENS1_30default_config_static_selectorELNS0_4arch9wavefront6targetE1EEEvT1_
                                        ; -- End function
	.section	.AMDGPU.csdata,"",@progbits
; Kernel info:
; codeLenInByte = 0
; NumSgprs: 4
; NumVgprs: 0
; NumAgprs: 0
; TotalNumVgprs: 0
; ScratchSize: 0
; MemoryBound: 0
; FloatMode: 240
; IeeeMode: 1
; LDSByteSize: 0 bytes/workgroup (compile time only)
; SGPRBlocks: 0
; VGPRBlocks: 0
; NumSGPRsForWavesPerEU: 4
; NumVGPRsForWavesPerEU: 1
; AccumOffset: 4
; Occupancy: 8
; WaveLimiterHint : 0
; COMPUTE_PGM_RSRC2:SCRATCH_EN: 0
; COMPUTE_PGM_RSRC2:USER_SGPR: 6
; COMPUTE_PGM_RSRC2:TRAP_HANDLER: 0
; COMPUTE_PGM_RSRC2:TGID_X_EN: 1
; COMPUTE_PGM_RSRC2:TGID_Y_EN: 0
; COMPUTE_PGM_RSRC2:TGID_Z_EN: 0
; COMPUTE_PGM_RSRC2:TIDIG_COMP_CNT: 0
; COMPUTE_PGM_RSRC3_GFX90A:ACCUM_OFFSET: 0
; COMPUTE_PGM_RSRC3_GFX90A:TG_SPLIT: 0
	.section	.text._ZN7rocprim17ROCPRIM_400000_NS6detail17trampoline_kernelINS0_14default_configENS1_20scan_config_selectorIxEEZZNS1_9scan_implILNS1_25lookback_scan_determinismE0ELb1ELb1ES3_N6thrust23THRUST_200600_302600_NS6detail15normal_iteratorINS9_10device_ptrIxEEEESE_x11max_functorIxExEEDaPvRmT3_T4_T5_mT6_P12ihipStream_tbENKUlT_T0_E_clISt17integral_constantIbLb0EEST_IbLb1EEEEDaSP_SQ_EUlSP_E0_NS1_11comp_targetILNS1_3genE10ELNS1_11target_archE1200ELNS1_3gpuE4ELNS1_3repE0EEENS1_30default_config_static_selectorELNS0_4arch9wavefront6targetE1EEEvT1_,"axG",@progbits,_ZN7rocprim17ROCPRIM_400000_NS6detail17trampoline_kernelINS0_14default_configENS1_20scan_config_selectorIxEEZZNS1_9scan_implILNS1_25lookback_scan_determinismE0ELb1ELb1ES3_N6thrust23THRUST_200600_302600_NS6detail15normal_iteratorINS9_10device_ptrIxEEEESE_x11max_functorIxExEEDaPvRmT3_T4_T5_mT6_P12ihipStream_tbENKUlT_T0_E_clISt17integral_constantIbLb0EEST_IbLb1EEEEDaSP_SQ_EUlSP_E0_NS1_11comp_targetILNS1_3genE10ELNS1_11target_archE1200ELNS1_3gpuE4ELNS1_3repE0EEENS1_30default_config_static_selectorELNS0_4arch9wavefront6targetE1EEEvT1_,comdat
	.protected	_ZN7rocprim17ROCPRIM_400000_NS6detail17trampoline_kernelINS0_14default_configENS1_20scan_config_selectorIxEEZZNS1_9scan_implILNS1_25lookback_scan_determinismE0ELb1ELb1ES3_N6thrust23THRUST_200600_302600_NS6detail15normal_iteratorINS9_10device_ptrIxEEEESE_x11max_functorIxExEEDaPvRmT3_T4_T5_mT6_P12ihipStream_tbENKUlT_T0_E_clISt17integral_constantIbLb0EEST_IbLb1EEEEDaSP_SQ_EUlSP_E0_NS1_11comp_targetILNS1_3genE10ELNS1_11target_archE1200ELNS1_3gpuE4ELNS1_3repE0EEENS1_30default_config_static_selectorELNS0_4arch9wavefront6targetE1EEEvT1_ ; -- Begin function _ZN7rocprim17ROCPRIM_400000_NS6detail17trampoline_kernelINS0_14default_configENS1_20scan_config_selectorIxEEZZNS1_9scan_implILNS1_25lookback_scan_determinismE0ELb1ELb1ES3_N6thrust23THRUST_200600_302600_NS6detail15normal_iteratorINS9_10device_ptrIxEEEESE_x11max_functorIxExEEDaPvRmT3_T4_T5_mT6_P12ihipStream_tbENKUlT_T0_E_clISt17integral_constantIbLb0EEST_IbLb1EEEEDaSP_SQ_EUlSP_E0_NS1_11comp_targetILNS1_3genE10ELNS1_11target_archE1200ELNS1_3gpuE4ELNS1_3repE0EEENS1_30default_config_static_selectorELNS0_4arch9wavefront6targetE1EEEvT1_
	.globl	_ZN7rocprim17ROCPRIM_400000_NS6detail17trampoline_kernelINS0_14default_configENS1_20scan_config_selectorIxEEZZNS1_9scan_implILNS1_25lookback_scan_determinismE0ELb1ELb1ES3_N6thrust23THRUST_200600_302600_NS6detail15normal_iteratorINS9_10device_ptrIxEEEESE_x11max_functorIxExEEDaPvRmT3_T4_T5_mT6_P12ihipStream_tbENKUlT_T0_E_clISt17integral_constantIbLb0EEST_IbLb1EEEEDaSP_SQ_EUlSP_E0_NS1_11comp_targetILNS1_3genE10ELNS1_11target_archE1200ELNS1_3gpuE4ELNS1_3repE0EEENS1_30default_config_static_selectorELNS0_4arch9wavefront6targetE1EEEvT1_
	.p2align	8
	.type	_ZN7rocprim17ROCPRIM_400000_NS6detail17trampoline_kernelINS0_14default_configENS1_20scan_config_selectorIxEEZZNS1_9scan_implILNS1_25lookback_scan_determinismE0ELb1ELb1ES3_N6thrust23THRUST_200600_302600_NS6detail15normal_iteratorINS9_10device_ptrIxEEEESE_x11max_functorIxExEEDaPvRmT3_T4_T5_mT6_P12ihipStream_tbENKUlT_T0_E_clISt17integral_constantIbLb0EEST_IbLb1EEEEDaSP_SQ_EUlSP_E0_NS1_11comp_targetILNS1_3genE10ELNS1_11target_archE1200ELNS1_3gpuE4ELNS1_3repE0EEENS1_30default_config_static_selectorELNS0_4arch9wavefront6targetE1EEEvT1_,@function
_ZN7rocprim17ROCPRIM_400000_NS6detail17trampoline_kernelINS0_14default_configENS1_20scan_config_selectorIxEEZZNS1_9scan_implILNS1_25lookback_scan_determinismE0ELb1ELb1ES3_N6thrust23THRUST_200600_302600_NS6detail15normal_iteratorINS9_10device_ptrIxEEEESE_x11max_functorIxExEEDaPvRmT3_T4_T5_mT6_P12ihipStream_tbENKUlT_T0_E_clISt17integral_constantIbLb0EEST_IbLb1EEEEDaSP_SQ_EUlSP_E0_NS1_11comp_targetILNS1_3genE10ELNS1_11target_archE1200ELNS1_3gpuE4ELNS1_3repE0EEENS1_30default_config_static_selectorELNS0_4arch9wavefront6targetE1EEEvT1_: ; @_ZN7rocprim17ROCPRIM_400000_NS6detail17trampoline_kernelINS0_14default_configENS1_20scan_config_selectorIxEEZZNS1_9scan_implILNS1_25lookback_scan_determinismE0ELb1ELb1ES3_N6thrust23THRUST_200600_302600_NS6detail15normal_iteratorINS9_10device_ptrIxEEEESE_x11max_functorIxExEEDaPvRmT3_T4_T5_mT6_P12ihipStream_tbENKUlT_T0_E_clISt17integral_constantIbLb0EEST_IbLb1EEEEDaSP_SQ_EUlSP_E0_NS1_11comp_targetILNS1_3genE10ELNS1_11target_archE1200ELNS1_3gpuE4ELNS1_3repE0EEENS1_30default_config_static_selectorELNS0_4arch9wavefront6targetE1EEEvT1_
; %bb.0:
	.section	.rodata,"a",@progbits
	.p2align	6, 0x0
	.amdhsa_kernel _ZN7rocprim17ROCPRIM_400000_NS6detail17trampoline_kernelINS0_14default_configENS1_20scan_config_selectorIxEEZZNS1_9scan_implILNS1_25lookback_scan_determinismE0ELb1ELb1ES3_N6thrust23THRUST_200600_302600_NS6detail15normal_iteratorINS9_10device_ptrIxEEEESE_x11max_functorIxExEEDaPvRmT3_T4_T5_mT6_P12ihipStream_tbENKUlT_T0_E_clISt17integral_constantIbLb0EEST_IbLb1EEEEDaSP_SQ_EUlSP_E0_NS1_11comp_targetILNS1_3genE10ELNS1_11target_archE1200ELNS1_3gpuE4ELNS1_3repE0EEENS1_30default_config_static_selectorELNS0_4arch9wavefront6targetE1EEEvT1_
		.amdhsa_group_segment_fixed_size 0
		.amdhsa_private_segment_fixed_size 0
		.amdhsa_kernarg_size 40
		.amdhsa_user_sgpr_count 6
		.amdhsa_user_sgpr_private_segment_buffer 1
		.amdhsa_user_sgpr_dispatch_ptr 0
		.amdhsa_user_sgpr_queue_ptr 0
		.amdhsa_user_sgpr_kernarg_segment_ptr 1
		.amdhsa_user_sgpr_dispatch_id 0
		.amdhsa_user_sgpr_flat_scratch_init 0
		.amdhsa_user_sgpr_kernarg_preload_length 0
		.amdhsa_user_sgpr_kernarg_preload_offset 0
		.amdhsa_user_sgpr_private_segment_size 0
		.amdhsa_uses_dynamic_stack 0
		.amdhsa_system_sgpr_private_segment_wavefront_offset 0
		.amdhsa_system_sgpr_workgroup_id_x 1
		.amdhsa_system_sgpr_workgroup_id_y 0
		.amdhsa_system_sgpr_workgroup_id_z 0
		.amdhsa_system_sgpr_workgroup_info 0
		.amdhsa_system_vgpr_workitem_id 0
		.amdhsa_next_free_vgpr 1
		.amdhsa_next_free_sgpr 0
		.amdhsa_accum_offset 4
		.amdhsa_reserve_vcc 0
		.amdhsa_reserve_flat_scratch 0
		.amdhsa_float_round_mode_32 0
		.amdhsa_float_round_mode_16_64 0
		.amdhsa_float_denorm_mode_32 3
		.amdhsa_float_denorm_mode_16_64 3
		.amdhsa_dx10_clamp 1
		.amdhsa_ieee_mode 1
		.amdhsa_fp16_overflow 0
		.amdhsa_tg_split 0
		.amdhsa_exception_fp_ieee_invalid_op 0
		.amdhsa_exception_fp_denorm_src 0
		.amdhsa_exception_fp_ieee_div_zero 0
		.amdhsa_exception_fp_ieee_overflow 0
		.amdhsa_exception_fp_ieee_underflow 0
		.amdhsa_exception_fp_ieee_inexact 0
		.amdhsa_exception_int_div_zero 0
	.end_amdhsa_kernel
	.section	.text._ZN7rocprim17ROCPRIM_400000_NS6detail17trampoline_kernelINS0_14default_configENS1_20scan_config_selectorIxEEZZNS1_9scan_implILNS1_25lookback_scan_determinismE0ELb1ELb1ES3_N6thrust23THRUST_200600_302600_NS6detail15normal_iteratorINS9_10device_ptrIxEEEESE_x11max_functorIxExEEDaPvRmT3_T4_T5_mT6_P12ihipStream_tbENKUlT_T0_E_clISt17integral_constantIbLb0EEST_IbLb1EEEEDaSP_SQ_EUlSP_E0_NS1_11comp_targetILNS1_3genE10ELNS1_11target_archE1200ELNS1_3gpuE4ELNS1_3repE0EEENS1_30default_config_static_selectorELNS0_4arch9wavefront6targetE1EEEvT1_,"axG",@progbits,_ZN7rocprim17ROCPRIM_400000_NS6detail17trampoline_kernelINS0_14default_configENS1_20scan_config_selectorIxEEZZNS1_9scan_implILNS1_25lookback_scan_determinismE0ELb1ELb1ES3_N6thrust23THRUST_200600_302600_NS6detail15normal_iteratorINS9_10device_ptrIxEEEESE_x11max_functorIxExEEDaPvRmT3_T4_T5_mT6_P12ihipStream_tbENKUlT_T0_E_clISt17integral_constantIbLb0EEST_IbLb1EEEEDaSP_SQ_EUlSP_E0_NS1_11comp_targetILNS1_3genE10ELNS1_11target_archE1200ELNS1_3gpuE4ELNS1_3repE0EEENS1_30default_config_static_selectorELNS0_4arch9wavefront6targetE1EEEvT1_,comdat
.Lfunc_end2699:
	.size	_ZN7rocprim17ROCPRIM_400000_NS6detail17trampoline_kernelINS0_14default_configENS1_20scan_config_selectorIxEEZZNS1_9scan_implILNS1_25lookback_scan_determinismE0ELb1ELb1ES3_N6thrust23THRUST_200600_302600_NS6detail15normal_iteratorINS9_10device_ptrIxEEEESE_x11max_functorIxExEEDaPvRmT3_T4_T5_mT6_P12ihipStream_tbENKUlT_T0_E_clISt17integral_constantIbLb0EEST_IbLb1EEEEDaSP_SQ_EUlSP_E0_NS1_11comp_targetILNS1_3genE10ELNS1_11target_archE1200ELNS1_3gpuE4ELNS1_3repE0EEENS1_30default_config_static_selectorELNS0_4arch9wavefront6targetE1EEEvT1_, .Lfunc_end2699-_ZN7rocprim17ROCPRIM_400000_NS6detail17trampoline_kernelINS0_14default_configENS1_20scan_config_selectorIxEEZZNS1_9scan_implILNS1_25lookback_scan_determinismE0ELb1ELb1ES3_N6thrust23THRUST_200600_302600_NS6detail15normal_iteratorINS9_10device_ptrIxEEEESE_x11max_functorIxExEEDaPvRmT3_T4_T5_mT6_P12ihipStream_tbENKUlT_T0_E_clISt17integral_constantIbLb0EEST_IbLb1EEEEDaSP_SQ_EUlSP_E0_NS1_11comp_targetILNS1_3genE10ELNS1_11target_archE1200ELNS1_3gpuE4ELNS1_3repE0EEENS1_30default_config_static_selectorELNS0_4arch9wavefront6targetE1EEEvT1_
                                        ; -- End function
	.section	.AMDGPU.csdata,"",@progbits
; Kernel info:
; codeLenInByte = 0
; NumSgprs: 4
; NumVgprs: 0
; NumAgprs: 0
; TotalNumVgprs: 0
; ScratchSize: 0
; MemoryBound: 0
; FloatMode: 240
; IeeeMode: 1
; LDSByteSize: 0 bytes/workgroup (compile time only)
; SGPRBlocks: 0
; VGPRBlocks: 0
; NumSGPRsForWavesPerEU: 4
; NumVGPRsForWavesPerEU: 1
; AccumOffset: 4
; Occupancy: 8
; WaveLimiterHint : 0
; COMPUTE_PGM_RSRC2:SCRATCH_EN: 0
; COMPUTE_PGM_RSRC2:USER_SGPR: 6
; COMPUTE_PGM_RSRC2:TRAP_HANDLER: 0
; COMPUTE_PGM_RSRC2:TGID_X_EN: 1
; COMPUTE_PGM_RSRC2:TGID_Y_EN: 0
; COMPUTE_PGM_RSRC2:TGID_Z_EN: 0
; COMPUTE_PGM_RSRC2:TIDIG_COMP_CNT: 0
; COMPUTE_PGM_RSRC3_GFX90A:ACCUM_OFFSET: 0
; COMPUTE_PGM_RSRC3_GFX90A:TG_SPLIT: 0
	.section	.text._ZN7rocprim17ROCPRIM_400000_NS6detail17trampoline_kernelINS0_14default_configENS1_20scan_config_selectorIxEEZZNS1_9scan_implILNS1_25lookback_scan_determinismE0ELb1ELb1ES3_N6thrust23THRUST_200600_302600_NS6detail15normal_iteratorINS9_10device_ptrIxEEEESE_x11max_functorIxExEEDaPvRmT3_T4_T5_mT6_P12ihipStream_tbENKUlT_T0_E_clISt17integral_constantIbLb0EEST_IbLb1EEEEDaSP_SQ_EUlSP_E0_NS1_11comp_targetILNS1_3genE9ELNS1_11target_archE1100ELNS1_3gpuE3ELNS1_3repE0EEENS1_30default_config_static_selectorELNS0_4arch9wavefront6targetE1EEEvT1_,"axG",@progbits,_ZN7rocprim17ROCPRIM_400000_NS6detail17trampoline_kernelINS0_14default_configENS1_20scan_config_selectorIxEEZZNS1_9scan_implILNS1_25lookback_scan_determinismE0ELb1ELb1ES3_N6thrust23THRUST_200600_302600_NS6detail15normal_iteratorINS9_10device_ptrIxEEEESE_x11max_functorIxExEEDaPvRmT3_T4_T5_mT6_P12ihipStream_tbENKUlT_T0_E_clISt17integral_constantIbLb0EEST_IbLb1EEEEDaSP_SQ_EUlSP_E0_NS1_11comp_targetILNS1_3genE9ELNS1_11target_archE1100ELNS1_3gpuE3ELNS1_3repE0EEENS1_30default_config_static_selectorELNS0_4arch9wavefront6targetE1EEEvT1_,comdat
	.protected	_ZN7rocprim17ROCPRIM_400000_NS6detail17trampoline_kernelINS0_14default_configENS1_20scan_config_selectorIxEEZZNS1_9scan_implILNS1_25lookback_scan_determinismE0ELb1ELb1ES3_N6thrust23THRUST_200600_302600_NS6detail15normal_iteratorINS9_10device_ptrIxEEEESE_x11max_functorIxExEEDaPvRmT3_T4_T5_mT6_P12ihipStream_tbENKUlT_T0_E_clISt17integral_constantIbLb0EEST_IbLb1EEEEDaSP_SQ_EUlSP_E0_NS1_11comp_targetILNS1_3genE9ELNS1_11target_archE1100ELNS1_3gpuE3ELNS1_3repE0EEENS1_30default_config_static_selectorELNS0_4arch9wavefront6targetE1EEEvT1_ ; -- Begin function _ZN7rocprim17ROCPRIM_400000_NS6detail17trampoline_kernelINS0_14default_configENS1_20scan_config_selectorIxEEZZNS1_9scan_implILNS1_25lookback_scan_determinismE0ELb1ELb1ES3_N6thrust23THRUST_200600_302600_NS6detail15normal_iteratorINS9_10device_ptrIxEEEESE_x11max_functorIxExEEDaPvRmT3_T4_T5_mT6_P12ihipStream_tbENKUlT_T0_E_clISt17integral_constantIbLb0EEST_IbLb1EEEEDaSP_SQ_EUlSP_E0_NS1_11comp_targetILNS1_3genE9ELNS1_11target_archE1100ELNS1_3gpuE3ELNS1_3repE0EEENS1_30default_config_static_selectorELNS0_4arch9wavefront6targetE1EEEvT1_
	.globl	_ZN7rocprim17ROCPRIM_400000_NS6detail17trampoline_kernelINS0_14default_configENS1_20scan_config_selectorIxEEZZNS1_9scan_implILNS1_25lookback_scan_determinismE0ELb1ELb1ES3_N6thrust23THRUST_200600_302600_NS6detail15normal_iteratorINS9_10device_ptrIxEEEESE_x11max_functorIxExEEDaPvRmT3_T4_T5_mT6_P12ihipStream_tbENKUlT_T0_E_clISt17integral_constantIbLb0EEST_IbLb1EEEEDaSP_SQ_EUlSP_E0_NS1_11comp_targetILNS1_3genE9ELNS1_11target_archE1100ELNS1_3gpuE3ELNS1_3repE0EEENS1_30default_config_static_selectorELNS0_4arch9wavefront6targetE1EEEvT1_
	.p2align	8
	.type	_ZN7rocprim17ROCPRIM_400000_NS6detail17trampoline_kernelINS0_14default_configENS1_20scan_config_selectorIxEEZZNS1_9scan_implILNS1_25lookback_scan_determinismE0ELb1ELb1ES3_N6thrust23THRUST_200600_302600_NS6detail15normal_iteratorINS9_10device_ptrIxEEEESE_x11max_functorIxExEEDaPvRmT3_T4_T5_mT6_P12ihipStream_tbENKUlT_T0_E_clISt17integral_constantIbLb0EEST_IbLb1EEEEDaSP_SQ_EUlSP_E0_NS1_11comp_targetILNS1_3genE9ELNS1_11target_archE1100ELNS1_3gpuE3ELNS1_3repE0EEENS1_30default_config_static_selectorELNS0_4arch9wavefront6targetE1EEEvT1_,@function
_ZN7rocprim17ROCPRIM_400000_NS6detail17trampoline_kernelINS0_14default_configENS1_20scan_config_selectorIxEEZZNS1_9scan_implILNS1_25lookback_scan_determinismE0ELb1ELb1ES3_N6thrust23THRUST_200600_302600_NS6detail15normal_iteratorINS9_10device_ptrIxEEEESE_x11max_functorIxExEEDaPvRmT3_T4_T5_mT6_P12ihipStream_tbENKUlT_T0_E_clISt17integral_constantIbLb0EEST_IbLb1EEEEDaSP_SQ_EUlSP_E0_NS1_11comp_targetILNS1_3genE9ELNS1_11target_archE1100ELNS1_3gpuE3ELNS1_3repE0EEENS1_30default_config_static_selectorELNS0_4arch9wavefront6targetE1EEEvT1_: ; @_ZN7rocprim17ROCPRIM_400000_NS6detail17trampoline_kernelINS0_14default_configENS1_20scan_config_selectorIxEEZZNS1_9scan_implILNS1_25lookback_scan_determinismE0ELb1ELb1ES3_N6thrust23THRUST_200600_302600_NS6detail15normal_iteratorINS9_10device_ptrIxEEEESE_x11max_functorIxExEEDaPvRmT3_T4_T5_mT6_P12ihipStream_tbENKUlT_T0_E_clISt17integral_constantIbLb0EEST_IbLb1EEEEDaSP_SQ_EUlSP_E0_NS1_11comp_targetILNS1_3genE9ELNS1_11target_archE1100ELNS1_3gpuE3ELNS1_3repE0EEENS1_30default_config_static_selectorELNS0_4arch9wavefront6targetE1EEEvT1_
; %bb.0:
	.section	.rodata,"a",@progbits
	.p2align	6, 0x0
	.amdhsa_kernel _ZN7rocprim17ROCPRIM_400000_NS6detail17trampoline_kernelINS0_14default_configENS1_20scan_config_selectorIxEEZZNS1_9scan_implILNS1_25lookback_scan_determinismE0ELb1ELb1ES3_N6thrust23THRUST_200600_302600_NS6detail15normal_iteratorINS9_10device_ptrIxEEEESE_x11max_functorIxExEEDaPvRmT3_T4_T5_mT6_P12ihipStream_tbENKUlT_T0_E_clISt17integral_constantIbLb0EEST_IbLb1EEEEDaSP_SQ_EUlSP_E0_NS1_11comp_targetILNS1_3genE9ELNS1_11target_archE1100ELNS1_3gpuE3ELNS1_3repE0EEENS1_30default_config_static_selectorELNS0_4arch9wavefront6targetE1EEEvT1_
		.amdhsa_group_segment_fixed_size 0
		.amdhsa_private_segment_fixed_size 0
		.amdhsa_kernarg_size 40
		.amdhsa_user_sgpr_count 6
		.amdhsa_user_sgpr_private_segment_buffer 1
		.amdhsa_user_sgpr_dispatch_ptr 0
		.amdhsa_user_sgpr_queue_ptr 0
		.amdhsa_user_sgpr_kernarg_segment_ptr 1
		.amdhsa_user_sgpr_dispatch_id 0
		.amdhsa_user_sgpr_flat_scratch_init 0
		.amdhsa_user_sgpr_kernarg_preload_length 0
		.amdhsa_user_sgpr_kernarg_preload_offset 0
		.amdhsa_user_sgpr_private_segment_size 0
		.amdhsa_uses_dynamic_stack 0
		.amdhsa_system_sgpr_private_segment_wavefront_offset 0
		.amdhsa_system_sgpr_workgroup_id_x 1
		.amdhsa_system_sgpr_workgroup_id_y 0
		.amdhsa_system_sgpr_workgroup_id_z 0
		.amdhsa_system_sgpr_workgroup_info 0
		.amdhsa_system_vgpr_workitem_id 0
		.amdhsa_next_free_vgpr 1
		.amdhsa_next_free_sgpr 0
		.amdhsa_accum_offset 4
		.amdhsa_reserve_vcc 0
		.amdhsa_reserve_flat_scratch 0
		.amdhsa_float_round_mode_32 0
		.amdhsa_float_round_mode_16_64 0
		.amdhsa_float_denorm_mode_32 3
		.amdhsa_float_denorm_mode_16_64 3
		.amdhsa_dx10_clamp 1
		.amdhsa_ieee_mode 1
		.amdhsa_fp16_overflow 0
		.amdhsa_tg_split 0
		.amdhsa_exception_fp_ieee_invalid_op 0
		.amdhsa_exception_fp_denorm_src 0
		.amdhsa_exception_fp_ieee_div_zero 0
		.amdhsa_exception_fp_ieee_overflow 0
		.amdhsa_exception_fp_ieee_underflow 0
		.amdhsa_exception_fp_ieee_inexact 0
		.amdhsa_exception_int_div_zero 0
	.end_amdhsa_kernel
	.section	.text._ZN7rocprim17ROCPRIM_400000_NS6detail17trampoline_kernelINS0_14default_configENS1_20scan_config_selectorIxEEZZNS1_9scan_implILNS1_25lookback_scan_determinismE0ELb1ELb1ES3_N6thrust23THRUST_200600_302600_NS6detail15normal_iteratorINS9_10device_ptrIxEEEESE_x11max_functorIxExEEDaPvRmT3_T4_T5_mT6_P12ihipStream_tbENKUlT_T0_E_clISt17integral_constantIbLb0EEST_IbLb1EEEEDaSP_SQ_EUlSP_E0_NS1_11comp_targetILNS1_3genE9ELNS1_11target_archE1100ELNS1_3gpuE3ELNS1_3repE0EEENS1_30default_config_static_selectorELNS0_4arch9wavefront6targetE1EEEvT1_,"axG",@progbits,_ZN7rocprim17ROCPRIM_400000_NS6detail17trampoline_kernelINS0_14default_configENS1_20scan_config_selectorIxEEZZNS1_9scan_implILNS1_25lookback_scan_determinismE0ELb1ELb1ES3_N6thrust23THRUST_200600_302600_NS6detail15normal_iteratorINS9_10device_ptrIxEEEESE_x11max_functorIxExEEDaPvRmT3_T4_T5_mT6_P12ihipStream_tbENKUlT_T0_E_clISt17integral_constantIbLb0EEST_IbLb1EEEEDaSP_SQ_EUlSP_E0_NS1_11comp_targetILNS1_3genE9ELNS1_11target_archE1100ELNS1_3gpuE3ELNS1_3repE0EEENS1_30default_config_static_selectorELNS0_4arch9wavefront6targetE1EEEvT1_,comdat
.Lfunc_end2700:
	.size	_ZN7rocprim17ROCPRIM_400000_NS6detail17trampoline_kernelINS0_14default_configENS1_20scan_config_selectorIxEEZZNS1_9scan_implILNS1_25lookback_scan_determinismE0ELb1ELb1ES3_N6thrust23THRUST_200600_302600_NS6detail15normal_iteratorINS9_10device_ptrIxEEEESE_x11max_functorIxExEEDaPvRmT3_T4_T5_mT6_P12ihipStream_tbENKUlT_T0_E_clISt17integral_constantIbLb0EEST_IbLb1EEEEDaSP_SQ_EUlSP_E0_NS1_11comp_targetILNS1_3genE9ELNS1_11target_archE1100ELNS1_3gpuE3ELNS1_3repE0EEENS1_30default_config_static_selectorELNS0_4arch9wavefront6targetE1EEEvT1_, .Lfunc_end2700-_ZN7rocprim17ROCPRIM_400000_NS6detail17trampoline_kernelINS0_14default_configENS1_20scan_config_selectorIxEEZZNS1_9scan_implILNS1_25lookback_scan_determinismE0ELb1ELb1ES3_N6thrust23THRUST_200600_302600_NS6detail15normal_iteratorINS9_10device_ptrIxEEEESE_x11max_functorIxExEEDaPvRmT3_T4_T5_mT6_P12ihipStream_tbENKUlT_T0_E_clISt17integral_constantIbLb0EEST_IbLb1EEEEDaSP_SQ_EUlSP_E0_NS1_11comp_targetILNS1_3genE9ELNS1_11target_archE1100ELNS1_3gpuE3ELNS1_3repE0EEENS1_30default_config_static_selectorELNS0_4arch9wavefront6targetE1EEEvT1_
                                        ; -- End function
	.section	.AMDGPU.csdata,"",@progbits
; Kernel info:
; codeLenInByte = 0
; NumSgprs: 4
; NumVgprs: 0
; NumAgprs: 0
; TotalNumVgprs: 0
; ScratchSize: 0
; MemoryBound: 0
; FloatMode: 240
; IeeeMode: 1
; LDSByteSize: 0 bytes/workgroup (compile time only)
; SGPRBlocks: 0
; VGPRBlocks: 0
; NumSGPRsForWavesPerEU: 4
; NumVGPRsForWavesPerEU: 1
; AccumOffset: 4
; Occupancy: 8
; WaveLimiterHint : 0
; COMPUTE_PGM_RSRC2:SCRATCH_EN: 0
; COMPUTE_PGM_RSRC2:USER_SGPR: 6
; COMPUTE_PGM_RSRC2:TRAP_HANDLER: 0
; COMPUTE_PGM_RSRC2:TGID_X_EN: 1
; COMPUTE_PGM_RSRC2:TGID_Y_EN: 0
; COMPUTE_PGM_RSRC2:TGID_Z_EN: 0
; COMPUTE_PGM_RSRC2:TIDIG_COMP_CNT: 0
; COMPUTE_PGM_RSRC3_GFX90A:ACCUM_OFFSET: 0
; COMPUTE_PGM_RSRC3_GFX90A:TG_SPLIT: 0
	.section	.text._ZN7rocprim17ROCPRIM_400000_NS6detail17trampoline_kernelINS0_14default_configENS1_20scan_config_selectorIxEEZZNS1_9scan_implILNS1_25lookback_scan_determinismE0ELb1ELb1ES3_N6thrust23THRUST_200600_302600_NS6detail15normal_iteratorINS9_10device_ptrIxEEEESE_x11max_functorIxExEEDaPvRmT3_T4_T5_mT6_P12ihipStream_tbENKUlT_T0_E_clISt17integral_constantIbLb0EEST_IbLb1EEEEDaSP_SQ_EUlSP_E0_NS1_11comp_targetILNS1_3genE8ELNS1_11target_archE1030ELNS1_3gpuE2ELNS1_3repE0EEENS1_30default_config_static_selectorELNS0_4arch9wavefront6targetE1EEEvT1_,"axG",@progbits,_ZN7rocprim17ROCPRIM_400000_NS6detail17trampoline_kernelINS0_14default_configENS1_20scan_config_selectorIxEEZZNS1_9scan_implILNS1_25lookback_scan_determinismE0ELb1ELb1ES3_N6thrust23THRUST_200600_302600_NS6detail15normal_iteratorINS9_10device_ptrIxEEEESE_x11max_functorIxExEEDaPvRmT3_T4_T5_mT6_P12ihipStream_tbENKUlT_T0_E_clISt17integral_constantIbLb0EEST_IbLb1EEEEDaSP_SQ_EUlSP_E0_NS1_11comp_targetILNS1_3genE8ELNS1_11target_archE1030ELNS1_3gpuE2ELNS1_3repE0EEENS1_30default_config_static_selectorELNS0_4arch9wavefront6targetE1EEEvT1_,comdat
	.protected	_ZN7rocprim17ROCPRIM_400000_NS6detail17trampoline_kernelINS0_14default_configENS1_20scan_config_selectorIxEEZZNS1_9scan_implILNS1_25lookback_scan_determinismE0ELb1ELb1ES3_N6thrust23THRUST_200600_302600_NS6detail15normal_iteratorINS9_10device_ptrIxEEEESE_x11max_functorIxExEEDaPvRmT3_T4_T5_mT6_P12ihipStream_tbENKUlT_T0_E_clISt17integral_constantIbLb0EEST_IbLb1EEEEDaSP_SQ_EUlSP_E0_NS1_11comp_targetILNS1_3genE8ELNS1_11target_archE1030ELNS1_3gpuE2ELNS1_3repE0EEENS1_30default_config_static_selectorELNS0_4arch9wavefront6targetE1EEEvT1_ ; -- Begin function _ZN7rocprim17ROCPRIM_400000_NS6detail17trampoline_kernelINS0_14default_configENS1_20scan_config_selectorIxEEZZNS1_9scan_implILNS1_25lookback_scan_determinismE0ELb1ELb1ES3_N6thrust23THRUST_200600_302600_NS6detail15normal_iteratorINS9_10device_ptrIxEEEESE_x11max_functorIxExEEDaPvRmT3_T4_T5_mT6_P12ihipStream_tbENKUlT_T0_E_clISt17integral_constantIbLb0EEST_IbLb1EEEEDaSP_SQ_EUlSP_E0_NS1_11comp_targetILNS1_3genE8ELNS1_11target_archE1030ELNS1_3gpuE2ELNS1_3repE0EEENS1_30default_config_static_selectorELNS0_4arch9wavefront6targetE1EEEvT1_
	.globl	_ZN7rocprim17ROCPRIM_400000_NS6detail17trampoline_kernelINS0_14default_configENS1_20scan_config_selectorIxEEZZNS1_9scan_implILNS1_25lookback_scan_determinismE0ELb1ELb1ES3_N6thrust23THRUST_200600_302600_NS6detail15normal_iteratorINS9_10device_ptrIxEEEESE_x11max_functorIxExEEDaPvRmT3_T4_T5_mT6_P12ihipStream_tbENKUlT_T0_E_clISt17integral_constantIbLb0EEST_IbLb1EEEEDaSP_SQ_EUlSP_E0_NS1_11comp_targetILNS1_3genE8ELNS1_11target_archE1030ELNS1_3gpuE2ELNS1_3repE0EEENS1_30default_config_static_selectorELNS0_4arch9wavefront6targetE1EEEvT1_
	.p2align	8
	.type	_ZN7rocprim17ROCPRIM_400000_NS6detail17trampoline_kernelINS0_14default_configENS1_20scan_config_selectorIxEEZZNS1_9scan_implILNS1_25lookback_scan_determinismE0ELb1ELb1ES3_N6thrust23THRUST_200600_302600_NS6detail15normal_iteratorINS9_10device_ptrIxEEEESE_x11max_functorIxExEEDaPvRmT3_T4_T5_mT6_P12ihipStream_tbENKUlT_T0_E_clISt17integral_constantIbLb0EEST_IbLb1EEEEDaSP_SQ_EUlSP_E0_NS1_11comp_targetILNS1_3genE8ELNS1_11target_archE1030ELNS1_3gpuE2ELNS1_3repE0EEENS1_30default_config_static_selectorELNS0_4arch9wavefront6targetE1EEEvT1_,@function
_ZN7rocprim17ROCPRIM_400000_NS6detail17trampoline_kernelINS0_14default_configENS1_20scan_config_selectorIxEEZZNS1_9scan_implILNS1_25lookback_scan_determinismE0ELb1ELb1ES3_N6thrust23THRUST_200600_302600_NS6detail15normal_iteratorINS9_10device_ptrIxEEEESE_x11max_functorIxExEEDaPvRmT3_T4_T5_mT6_P12ihipStream_tbENKUlT_T0_E_clISt17integral_constantIbLb0EEST_IbLb1EEEEDaSP_SQ_EUlSP_E0_NS1_11comp_targetILNS1_3genE8ELNS1_11target_archE1030ELNS1_3gpuE2ELNS1_3repE0EEENS1_30default_config_static_selectorELNS0_4arch9wavefront6targetE1EEEvT1_: ; @_ZN7rocprim17ROCPRIM_400000_NS6detail17trampoline_kernelINS0_14default_configENS1_20scan_config_selectorIxEEZZNS1_9scan_implILNS1_25lookback_scan_determinismE0ELb1ELb1ES3_N6thrust23THRUST_200600_302600_NS6detail15normal_iteratorINS9_10device_ptrIxEEEESE_x11max_functorIxExEEDaPvRmT3_T4_T5_mT6_P12ihipStream_tbENKUlT_T0_E_clISt17integral_constantIbLb0EEST_IbLb1EEEEDaSP_SQ_EUlSP_E0_NS1_11comp_targetILNS1_3genE8ELNS1_11target_archE1030ELNS1_3gpuE2ELNS1_3repE0EEENS1_30default_config_static_selectorELNS0_4arch9wavefront6targetE1EEEvT1_
; %bb.0:
	.section	.rodata,"a",@progbits
	.p2align	6, 0x0
	.amdhsa_kernel _ZN7rocprim17ROCPRIM_400000_NS6detail17trampoline_kernelINS0_14default_configENS1_20scan_config_selectorIxEEZZNS1_9scan_implILNS1_25lookback_scan_determinismE0ELb1ELb1ES3_N6thrust23THRUST_200600_302600_NS6detail15normal_iteratorINS9_10device_ptrIxEEEESE_x11max_functorIxExEEDaPvRmT3_T4_T5_mT6_P12ihipStream_tbENKUlT_T0_E_clISt17integral_constantIbLb0EEST_IbLb1EEEEDaSP_SQ_EUlSP_E0_NS1_11comp_targetILNS1_3genE8ELNS1_11target_archE1030ELNS1_3gpuE2ELNS1_3repE0EEENS1_30default_config_static_selectorELNS0_4arch9wavefront6targetE1EEEvT1_
		.amdhsa_group_segment_fixed_size 0
		.amdhsa_private_segment_fixed_size 0
		.amdhsa_kernarg_size 40
		.amdhsa_user_sgpr_count 6
		.amdhsa_user_sgpr_private_segment_buffer 1
		.amdhsa_user_sgpr_dispatch_ptr 0
		.amdhsa_user_sgpr_queue_ptr 0
		.amdhsa_user_sgpr_kernarg_segment_ptr 1
		.amdhsa_user_sgpr_dispatch_id 0
		.amdhsa_user_sgpr_flat_scratch_init 0
		.amdhsa_user_sgpr_kernarg_preload_length 0
		.amdhsa_user_sgpr_kernarg_preload_offset 0
		.amdhsa_user_sgpr_private_segment_size 0
		.amdhsa_uses_dynamic_stack 0
		.amdhsa_system_sgpr_private_segment_wavefront_offset 0
		.amdhsa_system_sgpr_workgroup_id_x 1
		.amdhsa_system_sgpr_workgroup_id_y 0
		.amdhsa_system_sgpr_workgroup_id_z 0
		.amdhsa_system_sgpr_workgroup_info 0
		.amdhsa_system_vgpr_workitem_id 0
		.amdhsa_next_free_vgpr 1
		.amdhsa_next_free_sgpr 0
		.amdhsa_accum_offset 4
		.amdhsa_reserve_vcc 0
		.amdhsa_reserve_flat_scratch 0
		.amdhsa_float_round_mode_32 0
		.amdhsa_float_round_mode_16_64 0
		.amdhsa_float_denorm_mode_32 3
		.amdhsa_float_denorm_mode_16_64 3
		.amdhsa_dx10_clamp 1
		.amdhsa_ieee_mode 1
		.amdhsa_fp16_overflow 0
		.amdhsa_tg_split 0
		.amdhsa_exception_fp_ieee_invalid_op 0
		.amdhsa_exception_fp_denorm_src 0
		.amdhsa_exception_fp_ieee_div_zero 0
		.amdhsa_exception_fp_ieee_overflow 0
		.amdhsa_exception_fp_ieee_underflow 0
		.amdhsa_exception_fp_ieee_inexact 0
		.amdhsa_exception_int_div_zero 0
	.end_amdhsa_kernel
	.section	.text._ZN7rocprim17ROCPRIM_400000_NS6detail17trampoline_kernelINS0_14default_configENS1_20scan_config_selectorIxEEZZNS1_9scan_implILNS1_25lookback_scan_determinismE0ELb1ELb1ES3_N6thrust23THRUST_200600_302600_NS6detail15normal_iteratorINS9_10device_ptrIxEEEESE_x11max_functorIxExEEDaPvRmT3_T4_T5_mT6_P12ihipStream_tbENKUlT_T0_E_clISt17integral_constantIbLb0EEST_IbLb1EEEEDaSP_SQ_EUlSP_E0_NS1_11comp_targetILNS1_3genE8ELNS1_11target_archE1030ELNS1_3gpuE2ELNS1_3repE0EEENS1_30default_config_static_selectorELNS0_4arch9wavefront6targetE1EEEvT1_,"axG",@progbits,_ZN7rocprim17ROCPRIM_400000_NS6detail17trampoline_kernelINS0_14default_configENS1_20scan_config_selectorIxEEZZNS1_9scan_implILNS1_25lookback_scan_determinismE0ELb1ELb1ES3_N6thrust23THRUST_200600_302600_NS6detail15normal_iteratorINS9_10device_ptrIxEEEESE_x11max_functorIxExEEDaPvRmT3_T4_T5_mT6_P12ihipStream_tbENKUlT_T0_E_clISt17integral_constantIbLb0EEST_IbLb1EEEEDaSP_SQ_EUlSP_E0_NS1_11comp_targetILNS1_3genE8ELNS1_11target_archE1030ELNS1_3gpuE2ELNS1_3repE0EEENS1_30default_config_static_selectorELNS0_4arch9wavefront6targetE1EEEvT1_,comdat
.Lfunc_end2701:
	.size	_ZN7rocprim17ROCPRIM_400000_NS6detail17trampoline_kernelINS0_14default_configENS1_20scan_config_selectorIxEEZZNS1_9scan_implILNS1_25lookback_scan_determinismE0ELb1ELb1ES3_N6thrust23THRUST_200600_302600_NS6detail15normal_iteratorINS9_10device_ptrIxEEEESE_x11max_functorIxExEEDaPvRmT3_T4_T5_mT6_P12ihipStream_tbENKUlT_T0_E_clISt17integral_constantIbLb0EEST_IbLb1EEEEDaSP_SQ_EUlSP_E0_NS1_11comp_targetILNS1_3genE8ELNS1_11target_archE1030ELNS1_3gpuE2ELNS1_3repE0EEENS1_30default_config_static_selectorELNS0_4arch9wavefront6targetE1EEEvT1_, .Lfunc_end2701-_ZN7rocprim17ROCPRIM_400000_NS6detail17trampoline_kernelINS0_14default_configENS1_20scan_config_selectorIxEEZZNS1_9scan_implILNS1_25lookback_scan_determinismE0ELb1ELb1ES3_N6thrust23THRUST_200600_302600_NS6detail15normal_iteratorINS9_10device_ptrIxEEEESE_x11max_functorIxExEEDaPvRmT3_T4_T5_mT6_P12ihipStream_tbENKUlT_T0_E_clISt17integral_constantIbLb0EEST_IbLb1EEEEDaSP_SQ_EUlSP_E0_NS1_11comp_targetILNS1_3genE8ELNS1_11target_archE1030ELNS1_3gpuE2ELNS1_3repE0EEENS1_30default_config_static_selectorELNS0_4arch9wavefront6targetE1EEEvT1_
                                        ; -- End function
	.section	.AMDGPU.csdata,"",@progbits
; Kernel info:
; codeLenInByte = 0
; NumSgprs: 4
; NumVgprs: 0
; NumAgprs: 0
; TotalNumVgprs: 0
; ScratchSize: 0
; MemoryBound: 0
; FloatMode: 240
; IeeeMode: 1
; LDSByteSize: 0 bytes/workgroup (compile time only)
; SGPRBlocks: 0
; VGPRBlocks: 0
; NumSGPRsForWavesPerEU: 4
; NumVGPRsForWavesPerEU: 1
; AccumOffset: 4
; Occupancy: 8
; WaveLimiterHint : 0
; COMPUTE_PGM_RSRC2:SCRATCH_EN: 0
; COMPUTE_PGM_RSRC2:USER_SGPR: 6
; COMPUTE_PGM_RSRC2:TRAP_HANDLER: 0
; COMPUTE_PGM_RSRC2:TGID_X_EN: 1
; COMPUTE_PGM_RSRC2:TGID_Y_EN: 0
; COMPUTE_PGM_RSRC2:TGID_Z_EN: 0
; COMPUTE_PGM_RSRC2:TIDIG_COMP_CNT: 0
; COMPUTE_PGM_RSRC3_GFX90A:ACCUM_OFFSET: 0
; COMPUTE_PGM_RSRC3_GFX90A:TG_SPLIT: 0
	.section	.text._ZN7rocprim17ROCPRIM_400000_NS6detail17trampoline_kernelINS0_14default_configENS1_20scan_config_selectorIiEEZZNS1_9scan_implILNS1_25lookback_scan_determinismE0ELb0ELb0ES3_N6thrust23THRUST_200600_302600_NS6detail15normal_iteratorINS9_10device_ptrIiEEEESE_i11max_functorIiEiEEDaPvRmT3_T4_T5_mT6_P12ihipStream_tbENKUlT_T0_E_clISt17integral_constantIbLb0EESU_EEDaSP_SQ_EUlSP_E_NS1_11comp_targetILNS1_3genE0ELNS1_11target_archE4294967295ELNS1_3gpuE0ELNS1_3repE0EEENS1_30default_config_static_selectorELNS0_4arch9wavefront6targetE1EEEvT1_,"axG",@progbits,_ZN7rocprim17ROCPRIM_400000_NS6detail17trampoline_kernelINS0_14default_configENS1_20scan_config_selectorIiEEZZNS1_9scan_implILNS1_25lookback_scan_determinismE0ELb0ELb0ES3_N6thrust23THRUST_200600_302600_NS6detail15normal_iteratorINS9_10device_ptrIiEEEESE_i11max_functorIiEiEEDaPvRmT3_T4_T5_mT6_P12ihipStream_tbENKUlT_T0_E_clISt17integral_constantIbLb0EESU_EEDaSP_SQ_EUlSP_E_NS1_11comp_targetILNS1_3genE0ELNS1_11target_archE4294967295ELNS1_3gpuE0ELNS1_3repE0EEENS1_30default_config_static_selectorELNS0_4arch9wavefront6targetE1EEEvT1_,comdat
	.protected	_ZN7rocprim17ROCPRIM_400000_NS6detail17trampoline_kernelINS0_14default_configENS1_20scan_config_selectorIiEEZZNS1_9scan_implILNS1_25lookback_scan_determinismE0ELb0ELb0ES3_N6thrust23THRUST_200600_302600_NS6detail15normal_iteratorINS9_10device_ptrIiEEEESE_i11max_functorIiEiEEDaPvRmT3_T4_T5_mT6_P12ihipStream_tbENKUlT_T0_E_clISt17integral_constantIbLb0EESU_EEDaSP_SQ_EUlSP_E_NS1_11comp_targetILNS1_3genE0ELNS1_11target_archE4294967295ELNS1_3gpuE0ELNS1_3repE0EEENS1_30default_config_static_selectorELNS0_4arch9wavefront6targetE1EEEvT1_ ; -- Begin function _ZN7rocprim17ROCPRIM_400000_NS6detail17trampoline_kernelINS0_14default_configENS1_20scan_config_selectorIiEEZZNS1_9scan_implILNS1_25lookback_scan_determinismE0ELb0ELb0ES3_N6thrust23THRUST_200600_302600_NS6detail15normal_iteratorINS9_10device_ptrIiEEEESE_i11max_functorIiEiEEDaPvRmT3_T4_T5_mT6_P12ihipStream_tbENKUlT_T0_E_clISt17integral_constantIbLb0EESU_EEDaSP_SQ_EUlSP_E_NS1_11comp_targetILNS1_3genE0ELNS1_11target_archE4294967295ELNS1_3gpuE0ELNS1_3repE0EEENS1_30default_config_static_selectorELNS0_4arch9wavefront6targetE1EEEvT1_
	.globl	_ZN7rocprim17ROCPRIM_400000_NS6detail17trampoline_kernelINS0_14default_configENS1_20scan_config_selectorIiEEZZNS1_9scan_implILNS1_25lookback_scan_determinismE0ELb0ELb0ES3_N6thrust23THRUST_200600_302600_NS6detail15normal_iteratorINS9_10device_ptrIiEEEESE_i11max_functorIiEiEEDaPvRmT3_T4_T5_mT6_P12ihipStream_tbENKUlT_T0_E_clISt17integral_constantIbLb0EESU_EEDaSP_SQ_EUlSP_E_NS1_11comp_targetILNS1_3genE0ELNS1_11target_archE4294967295ELNS1_3gpuE0ELNS1_3repE0EEENS1_30default_config_static_selectorELNS0_4arch9wavefront6targetE1EEEvT1_
	.p2align	8
	.type	_ZN7rocprim17ROCPRIM_400000_NS6detail17trampoline_kernelINS0_14default_configENS1_20scan_config_selectorIiEEZZNS1_9scan_implILNS1_25lookback_scan_determinismE0ELb0ELb0ES3_N6thrust23THRUST_200600_302600_NS6detail15normal_iteratorINS9_10device_ptrIiEEEESE_i11max_functorIiEiEEDaPvRmT3_T4_T5_mT6_P12ihipStream_tbENKUlT_T0_E_clISt17integral_constantIbLb0EESU_EEDaSP_SQ_EUlSP_E_NS1_11comp_targetILNS1_3genE0ELNS1_11target_archE4294967295ELNS1_3gpuE0ELNS1_3repE0EEENS1_30default_config_static_selectorELNS0_4arch9wavefront6targetE1EEEvT1_,@function
_ZN7rocprim17ROCPRIM_400000_NS6detail17trampoline_kernelINS0_14default_configENS1_20scan_config_selectorIiEEZZNS1_9scan_implILNS1_25lookback_scan_determinismE0ELb0ELb0ES3_N6thrust23THRUST_200600_302600_NS6detail15normal_iteratorINS9_10device_ptrIiEEEESE_i11max_functorIiEiEEDaPvRmT3_T4_T5_mT6_P12ihipStream_tbENKUlT_T0_E_clISt17integral_constantIbLb0EESU_EEDaSP_SQ_EUlSP_E_NS1_11comp_targetILNS1_3genE0ELNS1_11target_archE4294967295ELNS1_3gpuE0ELNS1_3repE0EEENS1_30default_config_static_selectorELNS0_4arch9wavefront6targetE1EEEvT1_: ; @_ZN7rocprim17ROCPRIM_400000_NS6detail17trampoline_kernelINS0_14default_configENS1_20scan_config_selectorIiEEZZNS1_9scan_implILNS1_25lookback_scan_determinismE0ELb0ELb0ES3_N6thrust23THRUST_200600_302600_NS6detail15normal_iteratorINS9_10device_ptrIiEEEESE_i11max_functorIiEiEEDaPvRmT3_T4_T5_mT6_P12ihipStream_tbENKUlT_T0_E_clISt17integral_constantIbLb0EESU_EEDaSP_SQ_EUlSP_E_NS1_11comp_targetILNS1_3genE0ELNS1_11target_archE4294967295ELNS1_3gpuE0ELNS1_3repE0EEENS1_30default_config_static_selectorELNS0_4arch9wavefront6targetE1EEEvT1_
; %bb.0:
	.section	.rodata,"a",@progbits
	.p2align	6, 0x0
	.amdhsa_kernel _ZN7rocprim17ROCPRIM_400000_NS6detail17trampoline_kernelINS0_14default_configENS1_20scan_config_selectorIiEEZZNS1_9scan_implILNS1_25lookback_scan_determinismE0ELb0ELb0ES3_N6thrust23THRUST_200600_302600_NS6detail15normal_iteratorINS9_10device_ptrIiEEEESE_i11max_functorIiEiEEDaPvRmT3_T4_T5_mT6_P12ihipStream_tbENKUlT_T0_E_clISt17integral_constantIbLb0EESU_EEDaSP_SQ_EUlSP_E_NS1_11comp_targetILNS1_3genE0ELNS1_11target_archE4294967295ELNS1_3gpuE0ELNS1_3repE0EEENS1_30default_config_static_selectorELNS0_4arch9wavefront6targetE1EEEvT1_
		.amdhsa_group_segment_fixed_size 0
		.amdhsa_private_segment_fixed_size 0
		.amdhsa_kernarg_size 96
		.amdhsa_user_sgpr_count 6
		.amdhsa_user_sgpr_private_segment_buffer 1
		.amdhsa_user_sgpr_dispatch_ptr 0
		.amdhsa_user_sgpr_queue_ptr 0
		.amdhsa_user_sgpr_kernarg_segment_ptr 1
		.amdhsa_user_sgpr_dispatch_id 0
		.amdhsa_user_sgpr_flat_scratch_init 0
		.amdhsa_user_sgpr_kernarg_preload_length 0
		.amdhsa_user_sgpr_kernarg_preload_offset 0
		.amdhsa_user_sgpr_private_segment_size 0
		.amdhsa_uses_dynamic_stack 0
		.amdhsa_system_sgpr_private_segment_wavefront_offset 0
		.amdhsa_system_sgpr_workgroup_id_x 1
		.amdhsa_system_sgpr_workgroup_id_y 0
		.amdhsa_system_sgpr_workgroup_id_z 0
		.amdhsa_system_sgpr_workgroup_info 0
		.amdhsa_system_vgpr_workitem_id 0
		.amdhsa_next_free_vgpr 1
		.amdhsa_next_free_sgpr 0
		.amdhsa_accum_offset 4
		.amdhsa_reserve_vcc 0
		.amdhsa_reserve_flat_scratch 0
		.amdhsa_float_round_mode_32 0
		.amdhsa_float_round_mode_16_64 0
		.amdhsa_float_denorm_mode_32 3
		.amdhsa_float_denorm_mode_16_64 3
		.amdhsa_dx10_clamp 1
		.amdhsa_ieee_mode 1
		.amdhsa_fp16_overflow 0
		.amdhsa_tg_split 0
		.amdhsa_exception_fp_ieee_invalid_op 0
		.amdhsa_exception_fp_denorm_src 0
		.amdhsa_exception_fp_ieee_div_zero 0
		.amdhsa_exception_fp_ieee_overflow 0
		.amdhsa_exception_fp_ieee_underflow 0
		.amdhsa_exception_fp_ieee_inexact 0
		.amdhsa_exception_int_div_zero 0
	.end_amdhsa_kernel
	.section	.text._ZN7rocprim17ROCPRIM_400000_NS6detail17trampoline_kernelINS0_14default_configENS1_20scan_config_selectorIiEEZZNS1_9scan_implILNS1_25lookback_scan_determinismE0ELb0ELb0ES3_N6thrust23THRUST_200600_302600_NS6detail15normal_iteratorINS9_10device_ptrIiEEEESE_i11max_functorIiEiEEDaPvRmT3_T4_T5_mT6_P12ihipStream_tbENKUlT_T0_E_clISt17integral_constantIbLb0EESU_EEDaSP_SQ_EUlSP_E_NS1_11comp_targetILNS1_3genE0ELNS1_11target_archE4294967295ELNS1_3gpuE0ELNS1_3repE0EEENS1_30default_config_static_selectorELNS0_4arch9wavefront6targetE1EEEvT1_,"axG",@progbits,_ZN7rocprim17ROCPRIM_400000_NS6detail17trampoline_kernelINS0_14default_configENS1_20scan_config_selectorIiEEZZNS1_9scan_implILNS1_25lookback_scan_determinismE0ELb0ELb0ES3_N6thrust23THRUST_200600_302600_NS6detail15normal_iteratorINS9_10device_ptrIiEEEESE_i11max_functorIiEiEEDaPvRmT3_T4_T5_mT6_P12ihipStream_tbENKUlT_T0_E_clISt17integral_constantIbLb0EESU_EEDaSP_SQ_EUlSP_E_NS1_11comp_targetILNS1_3genE0ELNS1_11target_archE4294967295ELNS1_3gpuE0ELNS1_3repE0EEENS1_30default_config_static_selectorELNS0_4arch9wavefront6targetE1EEEvT1_,comdat
.Lfunc_end2702:
	.size	_ZN7rocprim17ROCPRIM_400000_NS6detail17trampoline_kernelINS0_14default_configENS1_20scan_config_selectorIiEEZZNS1_9scan_implILNS1_25lookback_scan_determinismE0ELb0ELb0ES3_N6thrust23THRUST_200600_302600_NS6detail15normal_iteratorINS9_10device_ptrIiEEEESE_i11max_functorIiEiEEDaPvRmT3_T4_T5_mT6_P12ihipStream_tbENKUlT_T0_E_clISt17integral_constantIbLb0EESU_EEDaSP_SQ_EUlSP_E_NS1_11comp_targetILNS1_3genE0ELNS1_11target_archE4294967295ELNS1_3gpuE0ELNS1_3repE0EEENS1_30default_config_static_selectorELNS0_4arch9wavefront6targetE1EEEvT1_, .Lfunc_end2702-_ZN7rocprim17ROCPRIM_400000_NS6detail17trampoline_kernelINS0_14default_configENS1_20scan_config_selectorIiEEZZNS1_9scan_implILNS1_25lookback_scan_determinismE0ELb0ELb0ES3_N6thrust23THRUST_200600_302600_NS6detail15normal_iteratorINS9_10device_ptrIiEEEESE_i11max_functorIiEiEEDaPvRmT3_T4_T5_mT6_P12ihipStream_tbENKUlT_T0_E_clISt17integral_constantIbLb0EESU_EEDaSP_SQ_EUlSP_E_NS1_11comp_targetILNS1_3genE0ELNS1_11target_archE4294967295ELNS1_3gpuE0ELNS1_3repE0EEENS1_30default_config_static_selectorELNS0_4arch9wavefront6targetE1EEEvT1_
                                        ; -- End function
	.section	.AMDGPU.csdata,"",@progbits
; Kernel info:
; codeLenInByte = 0
; NumSgprs: 4
; NumVgprs: 0
; NumAgprs: 0
; TotalNumVgprs: 0
; ScratchSize: 0
; MemoryBound: 0
; FloatMode: 240
; IeeeMode: 1
; LDSByteSize: 0 bytes/workgroup (compile time only)
; SGPRBlocks: 0
; VGPRBlocks: 0
; NumSGPRsForWavesPerEU: 4
; NumVGPRsForWavesPerEU: 1
; AccumOffset: 4
; Occupancy: 8
; WaveLimiterHint : 0
; COMPUTE_PGM_RSRC2:SCRATCH_EN: 0
; COMPUTE_PGM_RSRC2:USER_SGPR: 6
; COMPUTE_PGM_RSRC2:TRAP_HANDLER: 0
; COMPUTE_PGM_RSRC2:TGID_X_EN: 1
; COMPUTE_PGM_RSRC2:TGID_Y_EN: 0
; COMPUTE_PGM_RSRC2:TGID_Z_EN: 0
; COMPUTE_PGM_RSRC2:TIDIG_COMP_CNT: 0
; COMPUTE_PGM_RSRC3_GFX90A:ACCUM_OFFSET: 0
; COMPUTE_PGM_RSRC3_GFX90A:TG_SPLIT: 0
	.section	.text._ZN7rocprim17ROCPRIM_400000_NS6detail17trampoline_kernelINS0_14default_configENS1_20scan_config_selectorIiEEZZNS1_9scan_implILNS1_25lookback_scan_determinismE0ELb0ELb0ES3_N6thrust23THRUST_200600_302600_NS6detail15normal_iteratorINS9_10device_ptrIiEEEESE_i11max_functorIiEiEEDaPvRmT3_T4_T5_mT6_P12ihipStream_tbENKUlT_T0_E_clISt17integral_constantIbLb0EESU_EEDaSP_SQ_EUlSP_E_NS1_11comp_targetILNS1_3genE5ELNS1_11target_archE942ELNS1_3gpuE9ELNS1_3repE0EEENS1_30default_config_static_selectorELNS0_4arch9wavefront6targetE1EEEvT1_,"axG",@progbits,_ZN7rocprim17ROCPRIM_400000_NS6detail17trampoline_kernelINS0_14default_configENS1_20scan_config_selectorIiEEZZNS1_9scan_implILNS1_25lookback_scan_determinismE0ELb0ELb0ES3_N6thrust23THRUST_200600_302600_NS6detail15normal_iteratorINS9_10device_ptrIiEEEESE_i11max_functorIiEiEEDaPvRmT3_T4_T5_mT6_P12ihipStream_tbENKUlT_T0_E_clISt17integral_constantIbLb0EESU_EEDaSP_SQ_EUlSP_E_NS1_11comp_targetILNS1_3genE5ELNS1_11target_archE942ELNS1_3gpuE9ELNS1_3repE0EEENS1_30default_config_static_selectorELNS0_4arch9wavefront6targetE1EEEvT1_,comdat
	.protected	_ZN7rocprim17ROCPRIM_400000_NS6detail17trampoline_kernelINS0_14default_configENS1_20scan_config_selectorIiEEZZNS1_9scan_implILNS1_25lookback_scan_determinismE0ELb0ELb0ES3_N6thrust23THRUST_200600_302600_NS6detail15normal_iteratorINS9_10device_ptrIiEEEESE_i11max_functorIiEiEEDaPvRmT3_T4_T5_mT6_P12ihipStream_tbENKUlT_T0_E_clISt17integral_constantIbLb0EESU_EEDaSP_SQ_EUlSP_E_NS1_11comp_targetILNS1_3genE5ELNS1_11target_archE942ELNS1_3gpuE9ELNS1_3repE0EEENS1_30default_config_static_selectorELNS0_4arch9wavefront6targetE1EEEvT1_ ; -- Begin function _ZN7rocprim17ROCPRIM_400000_NS6detail17trampoline_kernelINS0_14default_configENS1_20scan_config_selectorIiEEZZNS1_9scan_implILNS1_25lookback_scan_determinismE0ELb0ELb0ES3_N6thrust23THRUST_200600_302600_NS6detail15normal_iteratorINS9_10device_ptrIiEEEESE_i11max_functorIiEiEEDaPvRmT3_T4_T5_mT6_P12ihipStream_tbENKUlT_T0_E_clISt17integral_constantIbLb0EESU_EEDaSP_SQ_EUlSP_E_NS1_11comp_targetILNS1_3genE5ELNS1_11target_archE942ELNS1_3gpuE9ELNS1_3repE0EEENS1_30default_config_static_selectorELNS0_4arch9wavefront6targetE1EEEvT1_
	.globl	_ZN7rocprim17ROCPRIM_400000_NS6detail17trampoline_kernelINS0_14default_configENS1_20scan_config_selectorIiEEZZNS1_9scan_implILNS1_25lookback_scan_determinismE0ELb0ELb0ES3_N6thrust23THRUST_200600_302600_NS6detail15normal_iteratorINS9_10device_ptrIiEEEESE_i11max_functorIiEiEEDaPvRmT3_T4_T5_mT6_P12ihipStream_tbENKUlT_T0_E_clISt17integral_constantIbLb0EESU_EEDaSP_SQ_EUlSP_E_NS1_11comp_targetILNS1_3genE5ELNS1_11target_archE942ELNS1_3gpuE9ELNS1_3repE0EEENS1_30default_config_static_selectorELNS0_4arch9wavefront6targetE1EEEvT1_
	.p2align	8
	.type	_ZN7rocprim17ROCPRIM_400000_NS6detail17trampoline_kernelINS0_14default_configENS1_20scan_config_selectorIiEEZZNS1_9scan_implILNS1_25lookback_scan_determinismE0ELb0ELb0ES3_N6thrust23THRUST_200600_302600_NS6detail15normal_iteratorINS9_10device_ptrIiEEEESE_i11max_functorIiEiEEDaPvRmT3_T4_T5_mT6_P12ihipStream_tbENKUlT_T0_E_clISt17integral_constantIbLb0EESU_EEDaSP_SQ_EUlSP_E_NS1_11comp_targetILNS1_3genE5ELNS1_11target_archE942ELNS1_3gpuE9ELNS1_3repE0EEENS1_30default_config_static_selectorELNS0_4arch9wavefront6targetE1EEEvT1_,@function
_ZN7rocprim17ROCPRIM_400000_NS6detail17trampoline_kernelINS0_14default_configENS1_20scan_config_selectorIiEEZZNS1_9scan_implILNS1_25lookback_scan_determinismE0ELb0ELb0ES3_N6thrust23THRUST_200600_302600_NS6detail15normal_iteratorINS9_10device_ptrIiEEEESE_i11max_functorIiEiEEDaPvRmT3_T4_T5_mT6_P12ihipStream_tbENKUlT_T0_E_clISt17integral_constantIbLb0EESU_EEDaSP_SQ_EUlSP_E_NS1_11comp_targetILNS1_3genE5ELNS1_11target_archE942ELNS1_3gpuE9ELNS1_3repE0EEENS1_30default_config_static_selectorELNS0_4arch9wavefront6targetE1EEEvT1_: ; @_ZN7rocprim17ROCPRIM_400000_NS6detail17trampoline_kernelINS0_14default_configENS1_20scan_config_selectorIiEEZZNS1_9scan_implILNS1_25lookback_scan_determinismE0ELb0ELb0ES3_N6thrust23THRUST_200600_302600_NS6detail15normal_iteratorINS9_10device_ptrIiEEEESE_i11max_functorIiEiEEDaPvRmT3_T4_T5_mT6_P12ihipStream_tbENKUlT_T0_E_clISt17integral_constantIbLb0EESU_EEDaSP_SQ_EUlSP_E_NS1_11comp_targetILNS1_3genE5ELNS1_11target_archE942ELNS1_3gpuE9ELNS1_3repE0EEENS1_30default_config_static_selectorELNS0_4arch9wavefront6targetE1EEEvT1_
; %bb.0:
	.section	.rodata,"a",@progbits
	.p2align	6, 0x0
	.amdhsa_kernel _ZN7rocprim17ROCPRIM_400000_NS6detail17trampoline_kernelINS0_14default_configENS1_20scan_config_selectorIiEEZZNS1_9scan_implILNS1_25lookback_scan_determinismE0ELb0ELb0ES3_N6thrust23THRUST_200600_302600_NS6detail15normal_iteratorINS9_10device_ptrIiEEEESE_i11max_functorIiEiEEDaPvRmT3_T4_T5_mT6_P12ihipStream_tbENKUlT_T0_E_clISt17integral_constantIbLb0EESU_EEDaSP_SQ_EUlSP_E_NS1_11comp_targetILNS1_3genE5ELNS1_11target_archE942ELNS1_3gpuE9ELNS1_3repE0EEENS1_30default_config_static_selectorELNS0_4arch9wavefront6targetE1EEEvT1_
		.amdhsa_group_segment_fixed_size 0
		.amdhsa_private_segment_fixed_size 0
		.amdhsa_kernarg_size 96
		.amdhsa_user_sgpr_count 6
		.amdhsa_user_sgpr_private_segment_buffer 1
		.amdhsa_user_sgpr_dispatch_ptr 0
		.amdhsa_user_sgpr_queue_ptr 0
		.amdhsa_user_sgpr_kernarg_segment_ptr 1
		.amdhsa_user_sgpr_dispatch_id 0
		.amdhsa_user_sgpr_flat_scratch_init 0
		.amdhsa_user_sgpr_kernarg_preload_length 0
		.amdhsa_user_sgpr_kernarg_preload_offset 0
		.amdhsa_user_sgpr_private_segment_size 0
		.amdhsa_uses_dynamic_stack 0
		.amdhsa_system_sgpr_private_segment_wavefront_offset 0
		.amdhsa_system_sgpr_workgroup_id_x 1
		.amdhsa_system_sgpr_workgroup_id_y 0
		.amdhsa_system_sgpr_workgroup_id_z 0
		.amdhsa_system_sgpr_workgroup_info 0
		.amdhsa_system_vgpr_workitem_id 0
		.amdhsa_next_free_vgpr 1
		.amdhsa_next_free_sgpr 0
		.amdhsa_accum_offset 4
		.amdhsa_reserve_vcc 0
		.amdhsa_reserve_flat_scratch 0
		.amdhsa_float_round_mode_32 0
		.amdhsa_float_round_mode_16_64 0
		.amdhsa_float_denorm_mode_32 3
		.amdhsa_float_denorm_mode_16_64 3
		.amdhsa_dx10_clamp 1
		.amdhsa_ieee_mode 1
		.amdhsa_fp16_overflow 0
		.amdhsa_tg_split 0
		.amdhsa_exception_fp_ieee_invalid_op 0
		.amdhsa_exception_fp_denorm_src 0
		.amdhsa_exception_fp_ieee_div_zero 0
		.amdhsa_exception_fp_ieee_overflow 0
		.amdhsa_exception_fp_ieee_underflow 0
		.amdhsa_exception_fp_ieee_inexact 0
		.amdhsa_exception_int_div_zero 0
	.end_amdhsa_kernel
	.section	.text._ZN7rocprim17ROCPRIM_400000_NS6detail17trampoline_kernelINS0_14default_configENS1_20scan_config_selectorIiEEZZNS1_9scan_implILNS1_25lookback_scan_determinismE0ELb0ELb0ES3_N6thrust23THRUST_200600_302600_NS6detail15normal_iteratorINS9_10device_ptrIiEEEESE_i11max_functorIiEiEEDaPvRmT3_T4_T5_mT6_P12ihipStream_tbENKUlT_T0_E_clISt17integral_constantIbLb0EESU_EEDaSP_SQ_EUlSP_E_NS1_11comp_targetILNS1_3genE5ELNS1_11target_archE942ELNS1_3gpuE9ELNS1_3repE0EEENS1_30default_config_static_selectorELNS0_4arch9wavefront6targetE1EEEvT1_,"axG",@progbits,_ZN7rocprim17ROCPRIM_400000_NS6detail17trampoline_kernelINS0_14default_configENS1_20scan_config_selectorIiEEZZNS1_9scan_implILNS1_25lookback_scan_determinismE0ELb0ELb0ES3_N6thrust23THRUST_200600_302600_NS6detail15normal_iteratorINS9_10device_ptrIiEEEESE_i11max_functorIiEiEEDaPvRmT3_T4_T5_mT6_P12ihipStream_tbENKUlT_T0_E_clISt17integral_constantIbLb0EESU_EEDaSP_SQ_EUlSP_E_NS1_11comp_targetILNS1_3genE5ELNS1_11target_archE942ELNS1_3gpuE9ELNS1_3repE0EEENS1_30default_config_static_selectorELNS0_4arch9wavefront6targetE1EEEvT1_,comdat
.Lfunc_end2703:
	.size	_ZN7rocprim17ROCPRIM_400000_NS6detail17trampoline_kernelINS0_14default_configENS1_20scan_config_selectorIiEEZZNS1_9scan_implILNS1_25lookback_scan_determinismE0ELb0ELb0ES3_N6thrust23THRUST_200600_302600_NS6detail15normal_iteratorINS9_10device_ptrIiEEEESE_i11max_functorIiEiEEDaPvRmT3_T4_T5_mT6_P12ihipStream_tbENKUlT_T0_E_clISt17integral_constantIbLb0EESU_EEDaSP_SQ_EUlSP_E_NS1_11comp_targetILNS1_3genE5ELNS1_11target_archE942ELNS1_3gpuE9ELNS1_3repE0EEENS1_30default_config_static_selectorELNS0_4arch9wavefront6targetE1EEEvT1_, .Lfunc_end2703-_ZN7rocprim17ROCPRIM_400000_NS6detail17trampoline_kernelINS0_14default_configENS1_20scan_config_selectorIiEEZZNS1_9scan_implILNS1_25lookback_scan_determinismE0ELb0ELb0ES3_N6thrust23THRUST_200600_302600_NS6detail15normal_iteratorINS9_10device_ptrIiEEEESE_i11max_functorIiEiEEDaPvRmT3_T4_T5_mT6_P12ihipStream_tbENKUlT_T0_E_clISt17integral_constantIbLb0EESU_EEDaSP_SQ_EUlSP_E_NS1_11comp_targetILNS1_3genE5ELNS1_11target_archE942ELNS1_3gpuE9ELNS1_3repE0EEENS1_30default_config_static_selectorELNS0_4arch9wavefront6targetE1EEEvT1_
                                        ; -- End function
	.section	.AMDGPU.csdata,"",@progbits
; Kernel info:
; codeLenInByte = 0
; NumSgprs: 4
; NumVgprs: 0
; NumAgprs: 0
; TotalNumVgprs: 0
; ScratchSize: 0
; MemoryBound: 0
; FloatMode: 240
; IeeeMode: 1
; LDSByteSize: 0 bytes/workgroup (compile time only)
; SGPRBlocks: 0
; VGPRBlocks: 0
; NumSGPRsForWavesPerEU: 4
; NumVGPRsForWavesPerEU: 1
; AccumOffset: 4
; Occupancy: 8
; WaveLimiterHint : 0
; COMPUTE_PGM_RSRC2:SCRATCH_EN: 0
; COMPUTE_PGM_RSRC2:USER_SGPR: 6
; COMPUTE_PGM_RSRC2:TRAP_HANDLER: 0
; COMPUTE_PGM_RSRC2:TGID_X_EN: 1
; COMPUTE_PGM_RSRC2:TGID_Y_EN: 0
; COMPUTE_PGM_RSRC2:TGID_Z_EN: 0
; COMPUTE_PGM_RSRC2:TIDIG_COMP_CNT: 0
; COMPUTE_PGM_RSRC3_GFX90A:ACCUM_OFFSET: 0
; COMPUTE_PGM_RSRC3_GFX90A:TG_SPLIT: 0
	.section	.text._ZN7rocprim17ROCPRIM_400000_NS6detail17trampoline_kernelINS0_14default_configENS1_20scan_config_selectorIiEEZZNS1_9scan_implILNS1_25lookback_scan_determinismE0ELb0ELb0ES3_N6thrust23THRUST_200600_302600_NS6detail15normal_iteratorINS9_10device_ptrIiEEEESE_i11max_functorIiEiEEDaPvRmT3_T4_T5_mT6_P12ihipStream_tbENKUlT_T0_E_clISt17integral_constantIbLb0EESU_EEDaSP_SQ_EUlSP_E_NS1_11comp_targetILNS1_3genE4ELNS1_11target_archE910ELNS1_3gpuE8ELNS1_3repE0EEENS1_30default_config_static_selectorELNS0_4arch9wavefront6targetE1EEEvT1_,"axG",@progbits,_ZN7rocprim17ROCPRIM_400000_NS6detail17trampoline_kernelINS0_14default_configENS1_20scan_config_selectorIiEEZZNS1_9scan_implILNS1_25lookback_scan_determinismE0ELb0ELb0ES3_N6thrust23THRUST_200600_302600_NS6detail15normal_iteratorINS9_10device_ptrIiEEEESE_i11max_functorIiEiEEDaPvRmT3_T4_T5_mT6_P12ihipStream_tbENKUlT_T0_E_clISt17integral_constantIbLb0EESU_EEDaSP_SQ_EUlSP_E_NS1_11comp_targetILNS1_3genE4ELNS1_11target_archE910ELNS1_3gpuE8ELNS1_3repE0EEENS1_30default_config_static_selectorELNS0_4arch9wavefront6targetE1EEEvT1_,comdat
	.protected	_ZN7rocprim17ROCPRIM_400000_NS6detail17trampoline_kernelINS0_14default_configENS1_20scan_config_selectorIiEEZZNS1_9scan_implILNS1_25lookback_scan_determinismE0ELb0ELb0ES3_N6thrust23THRUST_200600_302600_NS6detail15normal_iteratorINS9_10device_ptrIiEEEESE_i11max_functorIiEiEEDaPvRmT3_T4_T5_mT6_P12ihipStream_tbENKUlT_T0_E_clISt17integral_constantIbLb0EESU_EEDaSP_SQ_EUlSP_E_NS1_11comp_targetILNS1_3genE4ELNS1_11target_archE910ELNS1_3gpuE8ELNS1_3repE0EEENS1_30default_config_static_selectorELNS0_4arch9wavefront6targetE1EEEvT1_ ; -- Begin function _ZN7rocprim17ROCPRIM_400000_NS6detail17trampoline_kernelINS0_14default_configENS1_20scan_config_selectorIiEEZZNS1_9scan_implILNS1_25lookback_scan_determinismE0ELb0ELb0ES3_N6thrust23THRUST_200600_302600_NS6detail15normal_iteratorINS9_10device_ptrIiEEEESE_i11max_functorIiEiEEDaPvRmT3_T4_T5_mT6_P12ihipStream_tbENKUlT_T0_E_clISt17integral_constantIbLb0EESU_EEDaSP_SQ_EUlSP_E_NS1_11comp_targetILNS1_3genE4ELNS1_11target_archE910ELNS1_3gpuE8ELNS1_3repE0EEENS1_30default_config_static_selectorELNS0_4arch9wavefront6targetE1EEEvT1_
	.globl	_ZN7rocprim17ROCPRIM_400000_NS6detail17trampoline_kernelINS0_14default_configENS1_20scan_config_selectorIiEEZZNS1_9scan_implILNS1_25lookback_scan_determinismE0ELb0ELb0ES3_N6thrust23THRUST_200600_302600_NS6detail15normal_iteratorINS9_10device_ptrIiEEEESE_i11max_functorIiEiEEDaPvRmT3_T4_T5_mT6_P12ihipStream_tbENKUlT_T0_E_clISt17integral_constantIbLb0EESU_EEDaSP_SQ_EUlSP_E_NS1_11comp_targetILNS1_3genE4ELNS1_11target_archE910ELNS1_3gpuE8ELNS1_3repE0EEENS1_30default_config_static_selectorELNS0_4arch9wavefront6targetE1EEEvT1_
	.p2align	8
	.type	_ZN7rocprim17ROCPRIM_400000_NS6detail17trampoline_kernelINS0_14default_configENS1_20scan_config_selectorIiEEZZNS1_9scan_implILNS1_25lookback_scan_determinismE0ELb0ELb0ES3_N6thrust23THRUST_200600_302600_NS6detail15normal_iteratorINS9_10device_ptrIiEEEESE_i11max_functorIiEiEEDaPvRmT3_T4_T5_mT6_P12ihipStream_tbENKUlT_T0_E_clISt17integral_constantIbLb0EESU_EEDaSP_SQ_EUlSP_E_NS1_11comp_targetILNS1_3genE4ELNS1_11target_archE910ELNS1_3gpuE8ELNS1_3repE0EEENS1_30default_config_static_selectorELNS0_4arch9wavefront6targetE1EEEvT1_,@function
_ZN7rocprim17ROCPRIM_400000_NS6detail17trampoline_kernelINS0_14default_configENS1_20scan_config_selectorIiEEZZNS1_9scan_implILNS1_25lookback_scan_determinismE0ELb0ELb0ES3_N6thrust23THRUST_200600_302600_NS6detail15normal_iteratorINS9_10device_ptrIiEEEESE_i11max_functorIiEiEEDaPvRmT3_T4_T5_mT6_P12ihipStream_tbENKUlT_T0_E_clISt17integral_constantIbLb0EESU_EEDaSP_SQ_EUlSP_E_NS1_11comp_targetILNS1_3genE4ELNS1_11target_archE910ELNS1_3gpuE8ELNS1_3repE0EEENS1_30default_config_static_selectorELNS0_4arch9wavefront6targetE1EEEvT1_: ; @_ZN7rocprim17ROCPRIM_400000_NS6detail17trampoline_kernelINS0_14default_configENS1_20scan_config_selectorIiEEZZNS1_9scan_implILNS1_25lookback_scan_determinismE0ELb0ELb0ES3_N6thrust23THRUST_200600_302600_NS6detail15normal_iteratorINS9_10device_ptrIiEEEESE_i11max_functorIiEiEEDaPvRmT3_T4_T5_mT6_P12ihipStream_tbENKUlT_T0_E_clISt17integral_constantIbLb0EESU_EEDaSP_SQ_EUlSP_E_NS1_11comp_targetILNS1_3genE4ELNS1_11target_archE910ELNS1_3gpuE8ELNS1_3repE0EEENS1_30default_config_static_selectorELNS0_4arch9wavefront6targetE1EEEvT1_
; %bb.0:
	s_load_dwordx8 s[8:15], s[4:5], 0x0
	s_load_dword s1, s[4:5], 0x30
	s_mul_i32 s0, s6, 0x500
	v_lshlrev_b32_e32 v22, 2, v0
	s_waitcnt lgkmcnt(0)
	s_lshl_b64 s[16:17], s[10:11], 2
	s_add_u32 s2, s8, s16
	s_addc_u32 s3, s9, s17
	s_add_i32 s7, s1, -1
	s_mul_i32 s8, s7, 0x500
	s_sub_u32 s24, s14, s8
	s_subb_u32 s25, s15, 0
	s_mov_b32 s1, 0
	s_cmp_lg_u32 s6, s7
	s_cselect_b64 s[14:15], -1, 0
	s_lshl_b64 s[18:19], s[0:1], 2
	s_add_u32 s2, s2, s18
	s_addc_u32 s3, s3, s19
	s_mov_b64 s[0:1], -1
	s_and_b64 vcc, exec, s[14:15]
	s_cbranch_vccz .LBB2704_2
; %bb.1:
	v_mov_b32_e32 v1, s3
	v_add_co_u32_e32 v2, vcc, s2, v22
	v_addc_co_u32_e32 v3, vcc, 0, v1, vcc
	flat_load_dword v1, v[2:3]
	flat_load_dword v4, v[2:3] offset:512
	flat_load_dword v5, v[2:3] offset:1024
	;; [unrolled: 1-line block ×7, first 2 shown]
	v_add_co_u32_e32 v2, vcc, 0x1000, v2
	v_addc_co_u32_e32 v3, vcc, 0, v3, vcc
	flat_load_dword v11, v[2:3]
	flat_load_dword v12, v[2:3] offset:512
	s_mov_b64 s[0:1], 0
	s_waitcnt vmcnt(0) lgkmcnt(0)
	ds_write2st64_b32 v22, v1, v4 offset1:2
	ds_write2st64_b32 v22, v5, v6 offset0:4 offset1:6
	ds_write2st64_b32 v22, v7, v8 offset0:8 offset1:10
	ds_write2st64_b32 v22, v9, v10 offset0:12 offset1:14
	ds_write2st64_b32 v22, v11, v12 offset0:16 offset1:18
	s_waitcnt lgkmcnt(0)
	s_barrier
.LBB2704_2:
	s_load_dwordx2 s[20:21], s[4:5], 0x28
	s_andn2_b64 vcc, exec, s[0:1]
	v_cmp_gt_u32_e64 s[0:1], s24, v0
	s_cbranch_vccnz .LBB2704_24
; %bb.3:
	v_pk_mov_b32 v[2:3], s[2:3], s[2:3] op_sel:[0,1]
	flat_load_dword v1, v[2:3]
	s_waitcnt vmcnt(0) lgkmcnt(0)
	v_mov_b32_e32 v2, v1
	v_mov_b32_e32 v3, v1
	;; [unrolled: 1-line block ×9, first 2 shown]
	s_and_saveexec_b64 s[8:9], s[0:1]
	s_cbranch_execz .LBB2704_5
; %bb.4:
	v_mov_b32_e32 v11, s3
	v_add_co_u32_e32 v10, vcc, s2, v22
	v_addc_co_u32_e32 v11, vcc, 0, v11, vcc
	flat_load_dword v10, v[10:11]
.LBB2704_5:
	s_or_b64 exec, exec, s[8:9]
	v_or_b32_e32 v11, 0x80, v0
	v_cmp_gt_u32_e32 vcc, s24, v11
	s_and_saveexec_b64 s[0:1], vcc
	s_cbranch_execz .LBB2704_7
; %bb.6:
	v_mov_b32_e32 v1, s3
	v_add_co_u32_e32 v12, vcc, s2, v22
	v_addc_co_u32_e32 v13, vcc, 0, v1, vcc
	flat_load_dword v1, v[12:13] offset:512
.LBB2704_7:
	s_or_b64 exec, exec, s[0:1]
	v_or_b32_e32 v11, 0x100, v0
	v_cmp_gt_u32_e32 vcc, s24, v11
	s_and_saveexec_b64 s[0:1], vcc
	s_cbranch_execz .LBB2704_9
; %bb.8:
	v_mov_b32_e32 v2, s3
	v_add_co_u32_e32 v12, vcc, s2, v22
	v_addc_co_u32_e32 v13, vcc, 0, v2, vcc
	flat_load_dword v2, v[12:13] offset:1024
.LBB2704_9:
	;; [unrolled: 11-line block ×7, first 2 shown]
	s_or_b64 exec, exec, s[0:1]
	v_or_b32_e32 v11, 0x400, v0
	v_cmp_gt_u32_e32 vcc, s24, v11
	s_and_saveexec_b64 s[0:1], vcc
	s_cbranch_execz .LBB2704_21
; %bb.20:
	v_lshlrev_b32_e32 v8, 2, v11
	v_mov_b32_e32 v11, s3
	v_add_co_u32_e32 v12, vcc, s2, v8
	v_addc_co_u32_e32 v13, vcc, 0, v11, vcc
	flat_load_dword v8, v[12:13]
.LBB2704_21:
	s_or_b64 exec, exec, s[0:1]
	v_or_b32_e32 v11, 0x480, v0
	v_cmp_gt_u32_e32 vcc, s24, v11
	s_and_saveexec_b64 s[0:1], vcc
	s_cbranch_execz .LBB2704_23
; %bb.22:
	v_lshlrev_b32_e32 v9, 2, v11
	v_mov_b32_e32 v11, s3
	v_add_co_u32_e32 v12, vcc, s2, v9
	v_addc_co_u32_e32 v13, vcc, 0, v11, vcc
	flat_load_dword v9, v[12:13]
.LBB2704_23:
	s_or_b64 exec, exec, s[0:1]
	s_waitcnt vmcnt(0) lgkmcnt(0)
	ds_write2st64_b32 v22, v10, v1 offset1:2
	ds_write2st64_b32 v22, v2, v3 offset0:4 offset1:6
	ds_write2st64_b32 v22, v4, v5 offset0:8 offset1:10
	;; [unrolled: 1-line block ×4, first 2 shown]
	s_waitcnt lgkmcnt(0)
	s_barrier
.LBB2704_24:
	v_mul_u32_u24_e32 v23, 10, v0
	v_lshlrev_b32_e32 v24, 2, v23
	s_waitcnt lgkmcnt(0)
	ds_read2_b64 v[2:5], v24 offset1:1
	ds_read2_b64 v[16:19], v24 offset0:2 offset1:3
	ds_read_b64 v[20:21], v24 offset:32
	s_cmp_lg_u32 s6, 0
	v_lshrrev_b32_e32 v1, 5, v0
	v_cmp_gt_u32_e32 vcc, 64, v0
	s_waitcnt lgkmcnt(0)
	s_barrier
	s_cbranch_scc0 .LBB2704_49
; %bb.25:
	v_max_i32_e32 v6, v2, v3
	v_max3_i32 v6, v6, v4, v5
	v_max3_i32 v6, v6, v16, v17
	;; [unrolled: 1-line block ×4, first 2 shown]
	v_add_lshl_u32 v6, v1, v0, 2
	ds_write_b32 v6, v25
	s_waitcnt lgkmcnt(0)
	s_barrier
	s_and_saveexec_b64 s[2:3], vcc
	s_cbranch_execz .LBB2704_27
; %bb.26:
	v_lshlrev_b32_e32 v6, 1, v0
	v_lshrrev_b32_e32 v7, 4, v0
	v_add_lshl_u32 v8, v7, v6, 2
	ds_read2_b32 v[6:7], v8 offset1:1
	v_mbcnt_lo_u32_b32 v9, -1, 0
	v_mbcnt_hi_u32_b32 v9, -1, v9
	v_and_b32_e32 v10, 15, v9
	v_cmp_eq_u32_e64 s[0:1], 0, v10
	s_waitcnt lgkmcnt(0)
	v_max_i32_e32 v7, v6, v7
	; wave barrier
	s_nop 1
	v_mov_b32_dpp v11, v7 row_shr:1 row_mask:0xf bank_mask:0xf
	v_max_i32_e32 v11, v11, v7
	v_cndmask_b32_e64 v7, v11, v7, s[0:1]
	v_cmp_lt_u32_e64 s[0:1], 1, v10
	s_nop 0
	v_mov_b32_dpp v11, v7 row_shr:2 row_mask:0xf bank_mask:0xf
	v_max_i32_e32 v11, v11, v7
	v_cndmask_b32_e64 v7, v7, v11, s[0:1]
	v_cmp_lt_u32_e64 s[0:1], 3, v10
	;; [unrolled: 5-line block ×3, first 2 shown]
	s_nop 0
	v_mov_b32_dpp v11, v7 row_shr:8 row_mask:0xf bank_mask:0xf
	v_max_i32_e32 v11, v11, v7
	v_cndmask_b32_e64 v7, v7, v11, s[0:1]
	v_and_b32_e32 v11, 16, v9
	v_cmp_eq_u32_e64 s[0:1], 0, v11
	v_mov_b32_dpp v10, v7 row_bcast:15 row_mask:0xf bank_mask:0xf
	v_max_i32_e32 v10, v10, v7
	v_cndmask_b32_e64 v7, v10, v7, s[0:1]
	v_cmp_lt_u32_e64 s[0:1], 31, v9
	v_and_b32_e32 v11, 64, v9
	v_mov_b32_dpp v10, v7 row_bcast:31 row_mask:0xf bank_mask:0xf
	v_max_i32_e32 v10, v10, v7
	v_cndmask_b32_e64 v7, v7, v10, s[0:1]
	v_add_u32_e32 v10, -1, v9
	v_cmp_lt_i32_e64 s[0:1], v10, v11
	v_cndmask_b32_e64 v9, v10, v9, s[0:1]
	v_lshlrev_b32_e32 v9, 2, v9
	ds_bpermute_b32 v7, v9, v7
	v_cmp_eq_u32_e64 s[0:1], 0, v0
	s_waitcnt lgkmcnt(0)
	v_max_i32_e32 v6, v7, v6
	v_cndmask_b32_e64 v6, v6, v25, s[0:1]
	ds_write_b32 v8, v6
	; wave barrier
	ds_read_b32 v7, v8 offset:4
	s_waitcnt lgkmcnt(0)
	v_max_i32_e32 v6, v6, v7
	ds_write_b32 v8, v6 offset:4
.LBB2704_27:
	s_or_b64 exec, exec, s[2:3]
	v_cmp_eq_u32_e64 s[0:1], 0, v0
	v_cmp_ne_u32_e64 s[2:3], 0, v0
	s_waitcnt lgkmcnt(0)
	s_barrier
	s_and_saveexec_b64 s[8:9], s[2:3]
	s_cbranch_execz .LBB2704_29
; %bb.28:
	v_add_u32_e32 v6, -1, v0
	v_lshrrev_b32_e32 v7, 5, v6
	v_add_lshl_u32 v6, v7, v6, 2
	ds_read_b32 v25, v6
.LBB2704_29:
	s_or_b64 exec, exec, s[8:9]
	s_and_saveexec_b64 s[8:9], vcc
	s_cbranch_execz .LBB2704_48
; %bb.30:
	v_mov_b32_e32 v13, 0
	ds_read_b32 v6, v13 offset:520
	v_mbcnt_lo_u32_b32 v7, -1, 0
	v_mbcnt_hi_u32_b32 v9, -1, v7
	s_mov_b32 s23, 0
	v_cmp_eq_u32_e64 s[2:3], 0, v9
	s_and_saveexec_b64 s[10:11], s[2:3]
	s_cbranch_execz .LBB2704_32
; %bb.31:
	s_add_i32 s22, s6, 64
	s_lshl_b64 s[22:23], s[22:23], 3
	s_add_u32 s22, s20, s22
	v_mov_b32_e32 v7, 1
	s_addc_u32 s23, s21, s23
	s_waitcnt lgkmcnt(0)
	global_store_dwordx2 v13, v[6:7], s[22:23]
.LBB2704_32:
	s_or_b64 exec, exec, s[10:11]
	v_xad_u32 v8, v9, -1, s6
	v_add_u32_e32 v12, 64, v8
	v_lshlrev_b64 v[10:11], 3, v[12:13]
	v_mov_b32_e32 v7, s21
	v_add_co_u32_e32 v14, vcc, s20, v10
	v_addc_co_u32_e32 v15, vcc, v7, v11, vcc
	global_load_dwordx2 v[10:11], v[14:15], off glc
	s_waitcnt vmcnt(0)
	v_cmp_eq_u16_sdwa s[22:23], v11, v13 src0_sel:BYTE_0 src1_sel:DWORD
	s_and_saveexec_b64 s[10:11], s[22:23]
	s_cbranch_execz .LBB2704_36
; %bb.33:
	s_mov_b64 s[22:23], 0
	v_mov_b32_e32 v7, 0
.LBB2704_34:                            ; =>This Inner Loop Header: Depth=1
	global_load_dwordx2 v[10:11], v[14:15], off glc
	s_waitcnt vmcnt(0)
	v_cmp_ne_u16_sdwa s[26:27], v11, v7 src0_sel:BYTE_0 src1_sel:DWORD
	s_or_b64 s[22:23], s[26:27], s[22:23]
	s_andn2_b64 exec, exec, s[22:23]
	s_cbranch_execnz .LBB2704_34
; %bb.35:
	s_or_b64 exec, exec, s[22:23]
.LBB2704_36:
	s_or_b64 exec, exec, s[10:11]
	v_and_b32_e32 v26, 63, v9
	v_cmp_ne_u32_e32 vcc, 63, v26
	v_mov_b32_e32 v7, 2
	v_addc_co_u32_e32 v27, vcc, 0, v9, vcc
	v_cmp_eq_u16_sdwa s[10:11], v11, v7 src0_sel:BYTE_0 src1_sel:DWORD
	v_lshlrev_b64 v[12:13], v9, -1
	v_lshlrev_b32_e32 v27, 2, v27
	v_and_b32_e32 v14, s11, v13
	ds_bpermute_b32 v28, v27, v10
	v_or_b32_e32 v14, 0x80000000, v14
	v_and_b32_e32 v15, s10, v12
	v_ffbl_b32_e32 v14, v14
	v_add_u32_e32 v14, 32, v14
	v_ffbl_b32_e32 v15, v15
	v_min_u32_e32 v14, v15, v14
	s_waitcnt lgkmcnt(0)
	v_max_i32_e32 v15, v28, v10
	v_cmp_lt_u32_e32 vcc, v26, v14
	v_cndmask_b32_e32 v10, v10, v15, vcc
	v_cmp_gt_u32_e32 vcc, 62, v26
	v_cndmask_b32_e64 v15, 0, 1, vcc
	v_lshlrev_b32_e32 v15, 1, v15
	v_add_lshl_u32 v28, v15, v9, 2
	ds_bpermute_b32 v15, v28, v10
	v_add_u32_e32 v29, 2, v26
	v_cmp_gt_u32_e32 vcc, v29, v14
	v_add_u32_e32 v31, 4, v26
	v_add_u32_e32 v33, 8, v26
	s_waitcnt lgkmcnt(0)
	v_max_i32_e32 v15, v15, v10
	v_cndmask_b32_e32 v10, v15, v10, vcc
	v_cmp_gt_u32_e32 vcc, 60, v26
	v_cndmask_b32_e64 v15, 0, 1, vcc
	v_lshlrev_b32_e32 v15, 2, v15
	v_add_lshl_u32 v30, v15, v9, 2
	ds_bpermute_b32 v15, v30, v10
	v_cmp_gt_u32_e32 vcc, v31, v14
	v_add_u32_e32 v36, 16, v26
	v_add_u32_e32 v38, 32, v26
	s_waitcnt lgkmcnt(0)
	v_max_i32_e32 v15, v15, v10
	v_cndmask_b32_e32 v10, v15, v10, vcc
	v_cmp_gt_u32_e32 vcc, 56, v26
	v_cndmask_b32_e64 v15, 0, 1, vcc
	v_lshlrev_b32_e32 v15, 3, v15
	v_add_lshl_u32 v32, v15, v9, 2
	ds_bpermute_b32 v15, v32, v10
	v_cmp_gt_u32_e32 vcc, v33, v14
	s_waitcnt lgkmcnt(0)
	v_max_i32_e32 v15, v15, v10
	v_cndmask_b32_e32 v10, v15, v10, vcc
	v_cmp_gt_u32_e32 vcc, 48, v26
	v_cndmask_b32_e64 v15, 0, 1, vcc
	v_lshlrev_b32_e32 v15, 4, v15
	v_add_lshl_u32 v34, v15, v9, 2
	ds_bpermute_b32 v15, v34, v10
	v_cmp_gt_u32_e32 vcc, v36, v14
	s_waitcnt lgkmcnt(0)
	v_max_i32_e32 v15, v15, v10
	v_cndmask_b32_e32 v10, v15, v10, vcc
	v_cmp_gt_u32_e32 vcc, 32, v26
	v_cndmask_b32_e64 v15, 0, 1, vcc
	v_lshlrev_b32_e32 v15, 5, v15
	v_add_lshl_u32 v37, v15, v9, 2
	ds_bpermute_b32 v9, v37, v10
	v_cmp_gt_u32_e32 vcc, v38, v14
	s_waitcnt lgkmcnt(0)
	v_max_i32_e32 v9, v9, v10
	v_cndmask_b32_e32 v10, v9, v10, vcc
	v_mov_b32_e32 v9, 0
	s_branch .LBB2704_38
.LBB2704_37:                            ;   in Loop: Header=BB2704_38 Depth=1
	s_or_b64 exec, exec, s[10:11]
	v_cmp_eq_u16_sdwa s[10:11], v11, v7 src0_sel:BYTE_0 src1_sel:DWORD
	v_and_b32_e32 v14, s11, v13
	ds_bpermute_b32 v39, v27, v10
	v_or_b32_e32 v14, 0x80000000, v14
	v_and_b32_e32 v15, s10, v12
	v_ffbl_b32_e32 v14, v14
	v_add_u32_e32 v14, 32, v14
	v_ffbl_b32_e32 v15, v15
	v_min_u32_e32 v14, v15, v14
	s_waitcnt lgkmcnt(0)
	v_max_i32_e32 v15, v39, v10
	v_cmp_lt_u32_e32 vcc, v26, v14
	v_cndmask_b32_e32 v10, v10, v15, vcc
	ds_bpermute_b32 v15, v28, v10
	v_cmp_gt_u32_e32 vcc, v29, v14
	v_subrev_u32_e32 v8, 64, v8
	s_waitcnt lgkmcnt(0)
	v_max_i32_e32 v15, v15, v10
	v_cndmask_b32_e32 v10, v15, v10, vcc
	ds_bpermute_b32 v15, v30, v10
	v_cmp_gt_u32_e32 vcc, v31, v14
	s_waitcnt lgkmcnt(0)
	v_max_i32_e32 v15, v15, v10
	v_cndmask_b32_e32 v10, v15, v10, vcc
	ds_bpermute_b32 v15, v32, v10
	v_cmp_gt_u32_e32 vcc, v33, v14
	;; [unrolled: 5-line block ×4, first 2 shown]
	s_waitcnt lgkmcnt(0)
	v_max_i32_e32 v15, v15, v10
	v_cndmask_b32_e32 v10, v15, v10, vcc
	v_max_i32_e32 v10, v10, v35
.LBB2704_38:                            ; =>This Loop Header: Depth=1
                                        ;     Child Loop BB2704_41 Depth 2
	v_cmp_ne_u16_sdwa s[10:11], v11, v7 src0_sel:BYTE_0 src1_sel:DWORD
	v_cndmask_b32_e64 v11, 0, 1, s[10:11]
	;;#ASMSTART
	;;#ASMEND
	v_cmp_ne_u32_e32 vcc, 0, v11
	s_cmp_lg_u64 vcc, exec
	v_mov_b32_e32 v35, v10
	s_cbranch_scc1 .LBB2704_43
; %bb.39:                               ;   in Loop: Header=BB2704_38 Depth=1
	v_lshlrev_b64 v[10:11], 3, v[8:9]
	v_mov_b32_e32 v15, s21
	v_add_co_u32_e32 v14, vcc, s20, v10
	v_addc_co_u32_e32 v15, vcc, v15, v11, vcc
	global_load_dwordx2 v[10:11], v[14:15], off glc
	s_waitcnt vmcnt(0)
	v_cmp_eq_u16_sdwa s[22:23], v11, v9 src0_sel:BYTE_0 src1_sel:DWORD
	s_and_saveexec_b64 s[10:11], s[22:23]
	s_cbranch_execz .LBB2704_37
; %bb.40:                               ;   in Loop: Header=BB2704_38 Depth=1
	s_mov_b64 s[22:23], 0
.LBB2704_41:                            ;   Parent Loop BB2704_38 Depth=1
                                        ; =>  This Inner Loop Header: Depth=2
	global_load_dwordx2 v[10:11], v[14:15], off glc
	s_waitcnt vmcnt(0)
	v_cmp_ne_u16_sdwa s[26:27], v11, v9 src0_sel:BYTE_0 src1_sel:DWORD
	s_or_b64 s[22:23], s[26:27], s[22:23]
	s_andn2_b64 exec, exec, s[22:23]
	s_cbranch_execnz .LBB2704_41
; %bb.42:                               ;   in Loop: Header=BB2704_38 Depth=1
	s_or_b64 exec, exec, s[22:23]
	s_branch .LBB2704_37
.LBB2704_43:                            ;   in Loop: Header=BB2704_38 Depth=1
                                        ; implicit-def: $vgpr10
                                        ; implicit-def: $vgpr11
	s_cbranch_execz .LBB2704_38
; %bb.44:
	s_and_saveexec_b64 s[10:11], s[2:3]
	s_cbranch_execz .LBB2704_46
; %bb.45:
	s_add_i32 s2, s6, 64
	s_mov_b32 s3, 0
	s_lshl_b64 s[2:3], s[2:3], 3
	s_add_u32 s2, s20, s2
	v_max_i32_e32 v6, v35, v6
	v_mov_b32_e32 v7, 2
	s_addc_u32 s3, s21, s3
	v_mov_b32_e32 v8, 0
	global_store_dwordx2 v8, v[6:7], s[2:3]
.LBB2704_46:
	s_or_b64 exec, exec, s[10:11]
	s_and_b64 exec, exec, s[0:1]
	s_cbranch_execz .LBB2704_48
; %bb.47:
	v_mov_b32_e32 v6, 0
	ds_write_b32 v6, v35
.LBB2704_48:
	s_or_b64 exec, exec, s[8:9]
	v_mov_b32_e32 v6, 0
	s_waitcnt lgkmcnt(0)
	s_barrier
	ds_read_b32 v6, v6
	v_max_i32_e32 v7, v25, v2
	v_cndmask_b32_e64 v7, v7, v2, s[0:1]
	s_waitcnt lgkmcnt(0)
	v_max_i32_e32 v6, v6, v7
	v_max_i32_e32 v7, v6, v3
	;; [unrolled: 1-line block ×10, first 2 shown]
	s_load_dwordx8 s[4:11], s[4:5], 0x38
	s_branch .LBB2704_61
.LBB2704_49:
                                        ; implicit-def: $vgpr6_vgpr7_vgpr8_vgpr9_vgpr10_vgpr11_vgpr12_vgpr13_vgpr14_vgpr15
	s_load_dwordx8 s[4:11], s[4:5], 0x38
	s_cbranch_execz .LBB2704_61
; %bb.50:
	s_waitcnt lgkmcnt(0)
	s_cmp_lg_u64 s[8:9], 0
	s_cselect_b64 s[2:3], -1, 0
	v_cmp_eq_u32_e64 s[0:1], 0, v0
	v_cmp_ne_u32_e32 vcc, 0, v0
	s_and_b64 s[8:9], s[0:1], s[2:3]
	v_mov_b32_e32 v12, v3
	v_mov_b32_e32 v13, v4
	;; [unrolled: 1-line block ×3, first 2 shown]
	s_and_saveexec_b64 s[2:3], s[8:9]
	s_cbranch_execz .LBB2704_52
; %bb.51:
	v_mov_b32_e32 v6, 0
	global_load_dword v6, v6, s[4:5]
	v_mov_b32_e32 v12, v3
	v_mov_b32_e32 v13, v4
	;; [unrolled: 1-line block ×3, first 2 shown]
	s_waitcnt vmcnt(0)
	v_max_i32_e32 v2, v6, v2
.LBB2704_52:
	s_or_b64 exec, exec, s[2:3]
	v_max_i32_e32 v3, v2, v12
	v_max_i32_e32 v4, v3, v13
	;; [unrolled: 1-line block ×9, first 2 shown]
	v_add_lshl_u32 v1, v1, v0, 2
	v_cmp_gt_u32_e64 s[2:3], 64, v0
	ds_write_b32 v1, v11
	s_waitcnt lgkmcnt(0)
	s_barrier
	s_and_saveexec_b64 s[4:5], s[2:3]
	s_cbranch_execz .LBB2704_54
; %bb.53:
	v_lshlrev_b32_e32 v1, 1, v0
	v_lshrrev_b32_e32 v15, 4, v0
	v_add_lshl_u32 v1, v15, v1, 2
	ds_read2_b32 v[26:27], v1 offset1:1
	v_mbcnt_lo_u32_b32 v15, -1, 0
	v_mbcnt_hi_u32_b32 v15, -1, v15
	v_and_b32_e32 v25, 15, v15
	v_cmp_eq_u32_e64 s[2:3], 0, v25
	s_waitcnt lgkmcnt(0)
	v_max_i32_e32 v27, v26, v27
	; wave barrier
	s_nop 1
	v_mov_b32_dpp v28, v27 row_shr:1 row_mask:0xf bank_mask:0xf
	v_max_i32_e32 v28, v28, v27
	v_cndmask_b32_e64 v27, v28, v27, s[2:3]
	v_cmp_lt_u32_e64 s[2:3], 1, v25
	s_nop 0
	v_mov_b32_dpp v28, v27 row_shr:2 row_mask:0xf bank_mask:0xf
	v_max_i32_e32 v28, v28, v27
	v_cndmask_b32_e64 v27, v27, v28, s[2:3]
	v_cmp_lt_u32_e64 s[2:3], 3, v25
	;; [unrolled: 5-line block ×3, first 2 shown]
	s_nop 0
	v_mov_b32_dpp v28, v27 row_shr:8 row_mask:0xf bank_mask:0xf
	v_max_i32_e32 v28, v28, v27
	v_cndmask_b32_e64 v25, v27, v28, s[2:3]
	v_and_b32_e32 v28, 16, v15
	v_cmp_eq_u32_e64 s[2:3], 0, v28
	v_mov_b32_dpp v27, v25 row_bcast:15 row_mask:0xf bank_mask:0xf
	v_max_i32_e32 v27, v27, v25
	v_cndmask_b32_e64 v25, v27, v25, s[2:3]
	v_cmp_lt_u32_e64 s[2:3], 31, v15
	v_and_b32_e32 v28, 64, v15
	v_mov_b32_dpp v27, v25 row_bcast:31 row_mask:0xf bank_mask:0xf
	v_max_i32_e32 v27, v27, v25
	v_cndmask_b32_e64 v25, v25, v27, s[2:3]
	v_add_u32_e32 v27, -1, v15
	v_cmp_lt_i32_e64 s[2:3], v27, v28
	v_cndmask_b32_e64 v15, v27, v15, s[2:3]
	v_lshlrev_b32_e32 v15, 2, v15
	ds_bpermute_b32 v15, v15, v25
	s_waitcnt lgkmcnt(0)
	v_max_i32_e32 v15, v15, v26
	v_cndmask_b32_e64 v15, v15, v11, s[0:1]
	ds_write_b32 v1, v15
	; wave barrier
	ds_read_b32 v25, v1 offset:4
	s_waitcnt lgkmcnt(0)
	v_max_i32_e32 v15, v15, v25
	ds_write_b32 v1, v15 offset:4
.LBB2704_54:
	s_or_b64 exec, exec, s[4:5]
	v_mov_b32_e32 v1, v11
	s_waitcnt lgkmcnt(0)
	s_barrier
	s_and_saveexec_b64 s[0:1], vcc
	s_cbranch_execz .LBB2704_56
; %bb.55:
	v_add_u32_e32 v1, -1, v0
	v_lshrrev_b32_e32 v15, 5, v1
	v_add_lshl_u32 v1, v15, v1, 2
	ds_read_b32 v1, v1
.LBB2704_56:
	s_or_b64 exec, exec, s[0:1]
	s_and_saveexec_b64 s[0:1], vcc
	s_cbranch_execz .LBB2704_58
; %bb.57:
	s_waitcnt lgkmcnt(0)
	v_max_i32_e32 v2, v1, v2
	v_max_i32_e32 v3, v2, v12
	;; [unrolled: 1-line block ×10, first 2 shown]
	;;#ASMSTART
	;;#ASMEND
.LBB2704_58:
	s_or_b64 exec, exec, s[0:1]
	s_movk_i32 s0, 0x7f
	v_cmp_eq_u32_e32 vcc, s0, v0
	s_and_saveexec_b64 s[0:1], vcc
	s_cbranch_execz .LBB2704_60
; %bb.59:
	s_waitcnt lgkmcnt(0)
	v_mov_b32_e32 v1, 0
	v_mov_b32_e32 v13, 2
	;; [unrolled: 1-line block ×3, first 2 shown]
	global_store_dwordx2 v1, v[12:13], s[20:21] offset:512
.LBB2704_60:
	s_or_b64 exec, exec, s[0:1]
	v_pk_mov_b32 v[14:15], v[10:11], v[10:11] op_sel:[0,1]
	v_pk_mov_b32 v[12:13], v[8:9], v[8:9] op_sel:[0,1]
	v_pk_mov_b32 v[10:11], v[6:7], v[6:7] op_sel:[0,1]
	v_pk_mov_b32 v[8:9], v[4:5], v[4:5] op_sel:[0,1]
	v_pk_mov_b32 v[6:7], v[2:3], v[2:3] op_sel:[0,1]
.LBB2704_61:
	s_add_u32 s0, s12, s16
	s_addc_u32 s1, s13, s17
	s_add_u32 s2, s0, s18
	s_addc_u32 s3, s1, s19
	s_mov_b64 s[0:1], -1
	s_and_b64 vcc, exec, s[14:15]
	s_waitcnt lgkmcnt(0)
	s_barrier
	s_cbranch_vccz .LBB2704_63
; %bb.62:
	ds_write2_b64 v24, v[6:7], v[8:9] offset1:1
	ds_write2_b64 v24, v[10:11], v[12:13] offset0:2 offset1:3
	ds_write_b64 v24, v[14:15] offset:32
	s_waitcnt lgkmcnt(0)
	s_barrier
	ds_read2st64_b32 v[2:3], v22 offset1:2
	ds_read2st64_b32 v[4:5], v22 offset0:4 offset1:6
	ds_read2st64_b32 v[16:17], v22 offset0:8 offset1:10
	;; [unrolled: 1-line block ×4, first 2 shown]
	v_mov_b32_e32 v1, s3
	v_add_co_u32_e32 v26, vcc, s2, v22
	v_addc_co_u32_e32 v27, vcc, 0, v1, vcc
	s_waitcnt lgkmcnt(4)
	flat_store_dword v[26:27], v2
	flat_store_dword v[26:27], v3 offset:512
	s_waitcnt lgkmcnt(0)
	flat_store_dword v[26:27], v4 offset:1024
	flat_store_dword v[26:27], v5 offset:1536
	flat_store_dword v[26:27], v16 offset:2048
	flat_store_dword v[26:27], v17 offset:2560
	flat_store_dword v[26:27], v18 offset:3072
	flat_store_dword v[26:27], v19 offset:3584
	v_add_co_u32_e32 v2, vcc, 0x1000, v26
	v_addc_co_u32_e32 v3, vcc, 0, v27, vcc
	flat_store_dword v[2:3], v20
	flat_store_dword v[2:3], v21 offset:512
	s_mov_b64 s[0:1], 0
.LBB2704_63:
	s_andn2_b64 vcc, exec, s[0:1]
	s_cbranch_vccnz .LBB2704_119
; %bb.64:
	s_movk_i32 s0, 0xffdc
	ds_write2_b64 v24, v[6:7], v[8:9] offset1:1
	ds_write2_b64 v24, v[10:11], v[12:13] offset0:2 offset1:3
	ds_write_b64 v24, v[14:15] offset:32
	v_mad_i32_i24 v10, v0, s0, v24
	s_waitcnt lgkmcnt(0)
	s_barrier
	ds_read2st64_b32 v[2:3], v10 offset1:2
	ds_read2st64_b32 v[6:7], v10 offset0:4 offset1:6
	ds_read2st64_b32 v[4:5], v10 offset0:8 offset1:10
	;; [unrolled: 1-line block ×4, first 2 shown]
	v_mov_b32_e32 v13, s3
	v_add_co_u32_e32 v12, vcc, s2, v22
	v_addc_co_u32_e32 v13, vcc, 0, v13, vcc
	v_mov_b32_e32 v1, 0
	v_cmp_gt_u32_e32 vcc, s24, v0
	s_and_saveexec_b64 s[0:1], vcc
	s_cbranch_execz .LBB2704_66
; %bb.65:
	s_waitcnt lgkmcnt(0)
	flat_store_dword v[12:13], v2
.LBB2704_66:
	s_or_b64 exec, exec, s[0:1]
	v_or_b32_e32 v14, 0x80, v0
	v_cmp_gt_u32_e32 vcc, s24, v14
	s_and_saveexec_b64 s[0:1], vcc
	s_cbranch_execz .LBB2704_68
; %bb.67:
	s_waitcnt lgkmcnt(0)
	flat_store_dword v[12:13], v3 offset:512
.LBB2704_68:
	s_or_b64 exec, exec, s[0:1]
	v_or_b32_e32 v14, 0x100, v0
	v_cmp_gt_u32_e32 vcc, s24, v14
	s_and_saveexec_b64 s[0:1], vcc
	s_cbranch_execz .LBB2704_70
; %bb.69:
	s_waitcnt lgkmcnt(0)
	flat_store_dword v[12:13], v6 offset:1024
.LBB2704_70:
	;; [unrolled: 9-line block ×7, first 2 shown]
	s_or_b64 exec, exec, s[0:1]
	v_or_b32_e32 v14, 0x400, v0
	v_cmp_gt_u32_e32 vcc, s24, v14
	s_and_saveexec_b64 s[0:1], vcc
	s_cbranch_execz .LBB2704_82
; %bb.81:
	v_add_co_u32_e32 v14, vcc, 0x1000, v12
	v_addc_co_u32_e32 v15, vcc, 0, v13, vcc
	s_waitcnt lgkmcnt(0)
	flat_store_dword v[14:15], v10
.LBB2704_82:
	s_or_b64 exec, exec, s[0:1]
	v_or_b32_e32 v14, 0x480, v0
	v_cmp_gt_u32_e32 vcc, s24, v14
	s_and_saveexec_b64 s[0:1], vcc
	s_cbranch_execz .LBB2704_84
; %bb.83:
	v_add_co_u32_e32 v12, vcc, 0x1000, v12
	v_addc_co_u32_e32 v13, vcc, 0, v13, vcc
	s_waitcnt lgkmcnt(0)
	flat_store_dword v[12:13], v11 offset:512
.LBB2704_84:
	s_or_b64 exec, exec, s[0:1]
	v_cmp_lt_u64_e64 s[0:1], s[10:11], 2
	s_and_b64 vcc, exec, s[0:1]
	s_cbranch_vccnz .LBB2704_119
; %bb.85:
	s_add_u32 s0, s24, -1
	s_addc_u32 s1, s25, -1
	s_add_u32 s2, 0, 0x99986000
	s_addc_u32 s3, 0, 0x59
	s_add_i32 s3, s3, 0x19999940
	s_mul_hi_u32 s9, s2, -10
	s_sub_i32 s9, s9, s2
	s_mul_i32 s10, s3, -10
	s_mul_i32 s4, s2, -10
	s_add_i32 s9, s9, s10
	s_mul_hi_u32 s5, s3, s4
	s_mul_i32 s8, s3, s4
	s_mul_i32 s11, s2, s9
	s_mul_hi_u32 s4, s2, s4
	s_mul_hi_u32 s10, s2, s9
	s_add_u32 s4, s4, s11
	s_addc_u32 s10, 0, s10
	s_add_u32 s4, s4, s8
	s_mul_hi_u32 s11, s3, s9
	s_addc_u32 s4, s10, s5
	s_addc_u32 s5, s11, 0
	s_mul_i32 s8, s3, s9
	s_add_u32 s4, s4, s8
	v_mov_b32_e32 v12, s4
	s_addc_u32 s5, 0, s5
	v_add_co_u32_e32 v12, vcc, s2, v12
	s_cmp_lg_u64 vcc, 0
	s_addc_u32 s2, s3, s5
	v_readfirstlane_b32 s5, v12
	s_mul_i32 s4, s0, s2
	s_mul_hi_u32 s8, s0, s5
	s_mul_hi_u32 s3, s0, s2
	s_add_u32 s4, s8, s4
	s_addc_u32 s3, 0, s3
	s_mul_hi_u32 s9, s1, s5
	s_mul_i32 s5, s1, s5
	s_add_u32 s4, s4, s5
	s_mul_hi_u32 s8, s1, s2
	s_addc_u32 s3, s3, s9
	s_addc_u32 s4, s8, 0
	s_mul_i32 s2, s1, s2
	s_add_u32 s2, s3, s2
	s_addc_u32 s3, 0, s4
	s_add_u32 s4, s2, 1
	s_addc_u32 s5, s3, 0
	s_add_u32 s8, s2, 2
	s_mul_i32 s10, s3, 10
	s_mul_hi_u32 s11, s2, 10
	s_addc_u32 s9, s3, 0
	s_add_i32 s11, s11, s10
	s_mul_i32 s10, s2, 10
	v_mov_b32_e32 v12, s10
	v_sub_co_u32_e32 v12, vcc, s0, v12
	s_cmp_lg_u64 vcc, 0
	s_subb_u32 s10, s1, s11
	v_subrev_co_u32_e32 v13, vcc, 10, v12
	s_cmp_lg_u64 vcc, 0
	s_subb_u32 s11, s10, 0
	v_readfirstlane_b32 s12, v13
	s_cmp_gt_u32 s12, 9
	s_cselect_b32 s12, -1, 0
	s_cmp_eq_u32 s11, 0
	s_cselect_b32 s11, s12, -1
	s_cmp_lg_u32 s11, 0
	s_cselect_b32 s4, s8, s4
	v_readfirstlane_b32 s8, v12
	s_cselect_b32 s5, s9, s5
	s_cmp_gt_u32 s8, 9
	s_cselect_b32 s8, -1, 0
	s_cmp_eq_u32 s10, 0
	s_cselect_b32 s8, s8, -1
	s_cmp_lg_u32 s8, 0
	s_cselect_b32 s3, s5, s3
	s_cselect_b32 s2, s4, s2
	v_cmp_eq_u64_e32 vcc, s[2:3], v[0:1]
	s_and_saveexec_b64 s[2:3], vcc
	s_cbranch_execz .LBB2704_119
; %bb.86:
	v_mul_hi_u32_u24_e32 v1, 10, v0
	v_mov_b32_e32 v12, s1
	v_sub_co_u32_e32 v0, vcc, s0, v23
	v_subb_co_u32_e32 v1, vcc, v12, v1, vcc
	v_cmp_lt_i64_e32 vcc, 4, v[0:1]
	s_and_saveexec_b64 s[0:1], vcc
	s_xor_b64 s[0:1], exec, s[0:1]
	s_cbranch_execz .LBB2704_104
; %bb.87:
	v_cmp_lt_i64_e32 vcc, 6, v[0:1]
	s_and_saveexec_b64 s[2:3], vcc
	s_xor_b64 s[2:3], exec, s[2:3]
	s_cbranch_execz .LBB2704_97
; %bb.88:
	;; [unrolled: 5-line block ×4, first 2 shown]
	v_mov_b32_e32 v0, 0
	s_waitcnt lgkmcnt(0)
	global_store_dword v0, v11, s[6:7]
                                        ; implicit-def: $vgpr10_vgpr11
.LBB2704_91:
	s_andn2_saveexec_b64 s[8:9], s[8:9]
	s_cbranch_execz .LBB2704_93
; %bb.92:
	v_mov_b32_e32 v0, 0
	s_waitcnt lgkmcnt(0)
	global_store_dword v0, v10, s[6:7]
.LBB2704_93:
	s_or_b64 exec, exec, s[8:9]
                                        ; implicit-def: $vgpr8_vgpr9
.LBB2704_94:
	s_andn2_saveexec_b64 s[4:5], s[4:5]
	s_cbranch_execz .LBB2704_96
; %bb.95:
	v_mov_b32_e32 v0, 0
	s_waitcnt lgkmcnt(0)
	global_store_dword v0, v9, s[6:7]
.LBB2704_96:
	s_or_b64 exec, exec, s[4:5]
                                        ; implicit-def: $vgpr4_vgpr5
                                        ; implicit-def: $vgpr0_vgpr1
                                        ; implicit-def: $vgpr8_vgpr9
.LBB2704_97:
	s_andn2_saveexec_b64 s[2:3], s[2:3]
	s_cbranch_execz .LBB2704_103
; %bb.98:
	v_cmp_lt_i64_e32 vcc, 5, v[0:1]
	s_and_saveexec_b64 s[4:5], vcc
	s_xor_b64 s[4:5], exec, s[4:5]
	s_cbranch_execz .LBB2704_100
; %bb.99:
	v_mov_b32_e32 v0, 0
	s_waitcnt lgkmcnt(0)
	global_store_dword v0, v8, s[6:7]
                                        ; implicit-def: $vgpr4_vgpr5
.LBB2704_100:
	s_andn2_saveexec_b64 s[4:5], s[4:5]
	s_cbranch_execz .LBB2704_102
; %bb.101:
	v_mov_b32_e32 v0, 0
	s_waitcnt lgkmcnt(0)
	global_store_dword v0, v5, s[6:7]
.LBB2704_102:
	s_or_b64 exec, exec, s[4:5]
.LBB2704_103:
	s_or_b64 exec, exec, s[2:3]
                                        ; implicit-def: $vgpr0_vgpr1
                                        ; implicit-def: $vgpr6_vgpr7
                                        ; implicit-def: $vgpr2_vgpr3
                                        ; implicit-def: $vgpr4_vgpr5
.LBB2704_104:
	s_andn2_saveexec_b64 s[0:1], s[0:1]
	s_cbranch_execz .LBB2704_119
; %bb.105:
	v_cmp_lt_i64_e32 vcc, 2, v[0:1]
	s_and_saveexec_b64 s[0:1], vcc
	s_xor_b64 s[0:1], exec, s[0:1]
	s_cbranch_execz .LBB2704_111
; %bb.106:
	v_cmp_lt_i64_e32 vcc, 3, v[0:1]
	s_and_saveexec_b64 s[2:3], vcc
	s_xor_b64 s[2:3], exec, s[2:3]
	s_cbranch_execz .LBB2704_108
; %bb.107:
	v_mov_b32_e32 v0, 0
	s_waitcnt lgkmcnt(0)
	global_store_dword v0, v4, s[6:7]
                                        ; implicit-def: $vgpr6_vgpr7
.LBB2704_108:
	s_andn2_saveexec_b64 s[2:3], s[2:3]
	s_cbranch_execz .LBB2704_110
; %bb.109:
	v_mov_b32_e32 v0, 0
	s_waitcnt lgkmcnt(0)
	global_store_dword v0, v7, s[6:7]
.LBB2704_110:
	s_or_b64 exec, exec, s[2:3]
                                        ; implicit-def: $vgpr0_vgpr1
                                        ; implicit-def: $vgpr6_vgpr7
                                        ; implicit-def: $vgpr2_vgpr3
.LBB2704_111:
	s_andn2_saveexec_b64 s[0:1], s[0:1]
	s_cbranch_execz .LBB2704_119
; %bb.112:
	v_cmp_lt_i64_e32 vcc, 1, v[0:1]
	s_and_saveexec_b64 s[0:1], vcc
	s_xor_b64 s[0:1], exec, s[0:1]
	s_cbranch_execz .LBB2704_114
; %bb.113:
	v_mov_b32_e32 v0, 0
	s_waitcnt lgkmcnt(0)
	global_store_dword v0, v6, s[6:7]
                                        ; implicit-def: $vgpr2_vgpr3
                                        ; implicit-def: $vgpr0_vgpr1
.LBB2704_114:
	s_andn2_saveexec_b64 s[0:1], s[0:1]
	s_cbranch_execz .LBB2704_119
; %bb.115:
	v_cmp_ne_u64_e32 vcc, 1, v[0:1]
	s_and_saveexec_b64 s[0:1], vcc
	s_xor_b64 s[0:1], exec, s[0:1]
	s_cbranch_execz .LBB2704_117
; %bb.116:
	v_mov_b32_e32 v0, 0
	s_waitcnt lgkmcnt(0)
	global_store_dword v0, v2, s[6:7]
                                        ; implicit-def: $vgpr2_vgpr3
.LBB2704_117:
	s_andn2_saveexec_b64 s[0:1], s[0:1]
	s_cbranch_execz .LBB2704_119
; %bb.118:
	v_mov_b32_e32 v0, 0
	s_waitcnt lgkmcnt(0)
	global_store_dword v0, v3, s[6:7]
.LBB2704_119:
	s_endpgm
	.section	.rodata,"a",@progbits
	.p2align	6, 0x0
	.amdhsa_kernel _ZN7rocprim17ROCPRIM_400000_NS6detail17trampoline_kernelINS0_14default_configENS1_20scan_config_selectorIiEEZZNS1_9scan_implILNS1_25lookback_scan_determinismE0ELb0ELb0ES3_N6thrust23THRUST_200600_302600_NS6detail15normal_iteratorINS9_10device_ptrIiEEEESE_i11max_functorIiEiEEDaPvRmT3_T4_T5_mT6_P12ihipStream_tbENKUlT_T0_E_clISt17integral_constantIbLb0EESU_EEDaSP_SQ_EUlSP_E_NS1_11comp_targetILNS1_3genE4ELNS1_11target_archE910ELNS1_3gpuE8ELNS1_3repE0EEENS1_30default_config_static_selectorELNS0_4arch9wavefront6targetE1EEEvT1_
		.amdhsa_group_segment_fixed_size 5120
		.amdhsa_private_segment_fixed_size 0
		.amdhsa_kernarg_size 96
		.amdhsa_user_sgpr_count 6
		.amdhsa_user_sgpr_private_segment_buffer 1
		.amdhsa_user_sgpr_dispatch_ptr 0
		.amdhsa_user_sgpr_queue_ptr 0
		.amdhsa_user_sgpr_kernarg_segment_ptr 1
		.amdhsa_user_sgpr_dispatch_id 0
		.amdhsa_user_sgpr_flat_scratch_init 0
		.amdhsa_user_sgpr_kernarg_preload_length 0
		.amdhsa_user_sgpr_kernarg_preload_offset 0
		.amdhsa_user_sgpr_private_segment_size 0
		.amdhsa_uses_dynamic_stack 0
		.amdhsa_system_sgpr_private_segment_wavefront_offset 0
		.amdhsa_system_sgpr_workgroup_id_x 1
		.amdhsa_system_sgpr_workgroup_id_y 0
		.amdhsa_system_sgpr_workgroup_id_z 0
		.amdhsa_system_sgpr_workgroup_info 0
		.amdhsa_system_vgpr_workitem_id 0
		.amdhsa_next_free_vgpr 40
		.amdhsa_next_free_sgpr 28
		.amdhsa_accum_offset 40
		.amdhsa_reserve_vcc 1
		.amdhsa_reserve_flat_scratch 0
		.amdhsa_float_round_mode_32 0
		.amdhsa_float_round_mode_16_64 0
		.amdhsa_float_denorm_mode_32 3
		.amdhsa_float_denorm_mode_16_64 3
		.amdhsa_dx10_clamp 1
		.amdhsa_ieee_mode 1
		.amdhsa_fp16_overflow 0
		.amdhsa_tg_split 0
		.amdhsa_exception_fp_ieee_invalid_op 0
		.amdhsa_exception_fp_denorm_src 0
		.amdhsa_exception_fp_ieee_div_zero 0
		.amdhsa_exception_fp_ieee_overflow 0
		.amdhsa_exception_fp_ieee_underflow 0
		.amdhsa_exception_fp_ieee_inexact 0
		.amdhsa_exception_int_div_zero 0
	.end_amdhsa_kernel
	.section	.text._ZN7rocprim17ROCPRIM_400000_NS6detail17trampoline_kernelINS0_14default_configENS1_20scan_config_selectorIiEEZZNS1_9scan_implILNS1_25lookback_scan_determinismE0ELb0ELb0ES3_N6thrust23THRUST_200600_302600_NS6detail15normal_iteratorINS9_10device_ptrIiEEEESE_i11max_functorIiEiEEDaPvRmT3_T4_T5_mT6_P12ihipStream_tbENKUlT_T0_E_clISt17integral_constantIbLb0EESU_EEDaSP_SQ_EUlSP_E_NS1_11comp_targetILNS1_3genE4ELNS1_11target_archE910ELNS1_3gpuE8ELNS1_3repE0EEENS1_30default_config_static_selectorELNS0_4arch9wavefront6targetE1EEEvT1_,"axG",@progbits,_ZN7rocprim17ROCPRIM_400000_NS6detail17trampoline_kernelINS0_14default_configENS1_20scan_config_selectorIiEEZZNS1_9scan_implILNS1_25lookback_scan_determinismE0ELb0ELb0ES3_N6thrust23THRUST_200600_302600_NS6detail15normal_iteratorINS9_10device_ptrIiEEEESE_i11max_functorIiEiEEDaPvRmT3_T4_T5_mT6_P12ihipStream_tbENKUlT_T0_E_clISt17integral_constantIbLb0EESU_EEDaSP_SQ_EUlSP_E_NS1_11comp_targetILNS1_3genE4ELNS1_11target_archE910ELNS1_3gpuE8ELNS1_3repE0EEENS1_30default_config_static_selectorELNS0_4arch9wavefront6targetE1EEEvT1_,comdat
.Lfunc_end2704:
	.size	_ZN7rocprim17ROCPRIM_400000_NS6detail17trampoline_kernelINS0_14default_configENS1_20scan_config_selectorIiEEZZNS1_9scan_implILNS1_25lookback_scan_determinismE0ELb0ELb0ES3_N6thrust23THRUST_200600_302600_NS6detail15normal_iteratorINS9_10device_ptrIiEEEESE_i11max_functorIiEiEEDaPvRmT3_T4_T5_mT6_P12ihipStream_tbENKUlT_T0_E_clISt17integral_constantIbLb0EESU_EEDaSP_SQ_EUlSP_E_NS1_11comp_targetILNS1_3genE4ELNS1_11target_archE910ELNS1_3gpuE8ELNS1_3repE0EEENS1_30default_config_static_selectorELNS0_4arch9wavefront6targetE1EEEvT1_, .Lfunc_end2704-_ZN7rocprim17ROCPRIM_400000_NS6detail17trampoline_kernelINS0_14default_configENS1_20scan_config_selectorIiEEZZNS1_9scan_implILNS1_25lookback_scan_determinismE0ELb0ELb0ES3_N6thrust23THRUST_200600_302600_NS6detail15normal_iteratorINS9_10device_ptrIiEEEESE_i11max_functorIiEiEEDaPvRmT3_T4_T5_mT6_P12ihipStream_tbENKUlT_T0_E_clISt17integral_constantIbLb0EESU_EEDaSP_SQ_EUlSP_E_NS1_11comp_targetILNS1_3genE4ELNS1_11target_archE910ELNS1_3gpuE8ELNS1_3repE0EEENS1_30default_config_static_selectorELNS0_4arch9wavefront6targetE1EEEvT1_
                                        ; -- End function
	.section	.AMDGPU.csdata,"",@progbits
; Kernel info:
; codeLenInByte = 4548
; NumSgprs: 32
; NumVgprs: 40
; NumAgprs: 0
; TotalNumVgprs: 40
; ScratchSize: 0
; MemoryBound: 0
; FloatMode: 240
; IeeeMode: 1
; LDSByteSize: 5120 bytes/workgroup (compile time only)
; SGPRBlocks: 3
; VGPRBlocks: 4
; NumSGPRsForWavesPerEU: 32
; NumVGPRsForWavesPerEU: 40
; AccumOffset: 40
; Occupancy: 6
; WaveLimiterHint : 1
; COMPUTE_PGM_RSRC2:SCRATCH_EN: 0
; COMPUTE_PGM_RSRC2:USER_SGPR: 6
; COMPUTE_PGM_RSRC2:TRAP_HANDLER: 0
; COMPUTE_PGM_RSRC2:TGID_X_EN: 1
; COMPUTE_PGM_RSRC2:TGID_Y_EN: 0
; COMPUTE_PGM_RSRC2:TGID_Z_EN: 0
; COMPUTE_PGM_RSRC2:TIDIG_COMP_CNT: 0
; COMPUTE_PGM_RSRC3_GFX90A:ACCUM_OFFSET: 9
; COMPUTE_PGM_RSRC3_GFX90A:TG_SPLIT: 0
	.section	.text._ZN7rocprim17ROCPRIM_400000_NS6detail17trampoline_kernelINS0_14default_configENS1_20scan_config_selectorIiEEZZNS1_9scan_implILNS1_25lookback_scan_determinismE0ELb0ELb0ES3_N6thrust23THRUST_200600_302600_NS6detail15normal_iteratorINS9_10device_ptrIiEEEESE_i11max_functorIiEiEEDaPvRmT3_T4_T5_mT6_P12ihipStream_tbENKUlT_T0_E_clISt17integral_constantIbLb0EESU_EEDaSP_SQ_EUlSP_E_NS1_11comp_targetILNS1_3genE3ELNS1_11target_archE908ELNS1_3gpuE7ELNS1_3repE0EEENS1_30default_config_static_selectorELNS0_4arch9wavefront6targetE1EEEvT1_,"axG",@progbits,_ZN7rocprim17ROCPRIM_400000_NS6detail17trampoline_kernelINS0_14default_configENS1_20scan_config_selectorIiEEZZNS1_9scan_implILNS1_25lookback_scan_determinismE0ELb0ELb0ES3_N6thrust23THRUST_200600_302600_NS6detail15normal_iteratorINS9_10device_ptrIiEEEESE_i11max_functorIiEiEEDaPvRmT3_T4_T5_mT6_P12ihipStream_tbENKUlT_T0_E_clISt17integral_constantIbLb0EESU_EEDaSP_SQ_EUlSP_E_NS1_11comp_targetILNS1_3genE3ELNS1_11target_archE908ELNS1_3gpuE7ELNS1_3repE0EEENS1_30default_config_static_selectorELNS0_4arch9wavefront6targetE1EEEvT1_,comdat
	.protected	_ZN7rocprim17ROCPRIM_400000_NS6detail17trampoline_kernelINS0_14default_configENS1_20scan_config_selectorIiEEZZNS1_9scan_implILNS1_25lookback_scan_determinismE0ELb0ELb0ES3_N6thrust23THRUST_200600_302600_NS6detail15normal_iteratorINS9_10device_ptrIiEEEESE_i11max_functorIiEiEEDaPvRmT3_T4_T5_mT6_P12ihipStream_tbENKUlT_T0_E_clISt17integral_constantIbLb0EESU_EEDaSP_SQ_EUlSP_E_NS1_11comp_targetILNS1_3genE3ELNS1_11target_archE908ELNS1_3gpuE7ELNS1_3repE0EEENS1_30default_config_static_selectorELNS0_4arch9wavefront6targetE1EEEvT1_ ; -- Begin function _ZN7rocprim17ROCPRIM_400000_NS6detail17trampoline_kernelINS0_14default_configENS1_20scan_config_selectorIiEEZZNS1_9scan_implILNS1_25lookback_scan_determinismE0ELb0ELb0ES3_N6thrust23THRUST_200600_302600_NS6detail15normal_iteratorINS9_10device_ptrIiEEEESE_i11max_functorIiEiEEDaPvRmT3_T4_T5_mT6_P12ihipStream_tbENKUlT_T0_E_clISt17integral_constantIbLb0EESU_EEDaSP_SQ_EUlSP_E_NS1_11comp_targetILNS1_3genE3ELNS1_11target_archE908ELNS1_3gpuE7ELNS1_3repE0EEENS1_30default_config_static_selectorELNS0_4arch9wavefront6targetE1EEEvT1_
	.globl	_ZN7rocprim17ROCPRIM_400000_NS6detail17trampoline_kernelINS0_14default_configENS1_20scan_config_selectorIiEEZZNS1_9scan_implILNS1_25lookback_scan_determinismE0ELb0ELb0ES3_N6thrust23THRUST_200600_302600_NS6detail15normal_iteratorINS9_10device_ptrIiEEEESE_i11max_functorIiEiEEDaPvRmT3_T4_T5_mT6_P12ihipStream_tbENKUlT_T0_E_clISt17integral_constantIbLb0EESU_EEDaSP_SQ_EUlSP_E_NS1_11comp_targetILNS1_3genE3ELNS1_11target_archE908ELNS1_3gpuE7ELNS1_3repE0EEENS1_30default_config_static_selectorELNS0_4arch9wavefront6targetE1EEEvT1_
	.p2align	8
	.type	_ZN7rocprim17ROCPRIM_400000_NS6detail17trampoline_kernelINS0_14default_configENS1_20scan_config_selectorIiEEZZNS1_9scan_implILNS1_25lookback_scan_determinismE0ELb0ELb0ES3_N6thrust23THRUST_200600_302600_NS6detail15normal_iteratorINS9_10device_ptrIiEEEESE_i11max_functorIiEiEEDaPvRmT3_T4_T5_mT6_P12ihipStream_tbENKUlT_T0_E_clISt17integral_constantIbLb0EESU_EEDaSP_SQ_EUlSP_E_NS1_11comp_targetILNS1_3genE3ELNS1_11target_archE908ELNS1_3gpuE7ELNS1_3repE0EEENS1_30default_config_static_selectorELNS0_4arch9wavefront6targetE1EEEvT1_,@function
_ZN7rocprim17ROCPRIM_400000_NS6detail17trampoline_kernelINS0_14default_configENS1_20scan_config_selectorIiEEZZNS1_9scan_implILNS1_25lookback_scan_determinismE0ELb0ELb0ES3_N6thrust23THRUST_200600_302600_NS6detail15normal_iteratorINS9_10device_ptrIiEEEESE_i11max_functorIiEiEEDaPvRmT3_T4_T5_mT6_P12ihipStream_tbENKUlT_T0_E_clISt17integral_constantIbLb0EESU_EEDaSP_SQ_EUlSP_E_NS1_11comp_targetILNS1_3genE3ELNS1_11target_archE908ELNS1_3gpuE7ELNS1_3repE0EEENS1_30default_config_static_selectorELNS0_4arch9wavefront6targetE1EEEvT1_: ; @_ZN7rocprim17ROCPRIM_400000_NS6detail17trampoline_kernelINS0_14default_configENS1_20scan_config_selectorIiEEZZNS1_9scan_implILNS1_25lookback_scan_determinismE0ELb0ELb0ES3_N6thrust23THRUST_200600_302600_NS6detail15normal_iteratorINS9_10device_ptrIiEEEESE_i11max_functorIiEiEEDaPvRmT3_T4_T5_mT6_P12ihipStream_tbENKUlT_T0_E_clISt17integral_constantIbLb0EESU_EEDaSP_SQ_EUlSP_E_NS1_11comp_targetILNS1_3genE3ELNS1_11target_archE908ELNS1_3gpuE7ELNS1_3repE0EEENS1_30default_config_static_selectorELNS0_4arch9wavefront6targetE1EEEvT1_
; %bb.0:
	.section	.rodata,"a",@progbits
	.p2align	6, 0x0
	.amdhsa_kernel _ZN7rocprim17ROCPRIM_400000_NS6detail17trampoline_kernelINS0_14default_configENS1_20scan_config_selectorIiEEZZNS1_9scan_implILNS1_25lookback_scan_determinismE0ELb0ELb0ES3_N6thrust23THRUST_200600_302600_NS6detail15normal_iteratorINS9_10device_ptrIiEEEESE_i11max_functorIiEiEEDaPvRmT3_T4_T5_mT6_P12ihipStream_tbENKUlT_T0_E_clISt17integral_constantIbLb0EESU_EEDaSP_SQ_EUlSP_E_NS1_11comp_targetILNS1_3genE3ELNS1_11target_archE908ELNS1_3gpuE7ELNS1_3repE0EEENS1_30default_config_static_selectorELNS0_4arch9wavefront6targetE1EEEvT1_
		.amdhsa_group_segment_fixed_size 0
		.amdhsa_private_segment_fixed_size 0
		.amdhsa_kernarg_size 96
		.amdhsa_user_sgpr_count 6
		.amdhsa_user_sgpr_private_segment_buffer 1
		.amdhsa_user_sgpr_dispatch_ptr 0
		.amdhsa_user_sgpr_queue_ptr 0
		.amdhsa_user_sgpr_kernarg_segment_ptr 1
		.amdhsa_user_sgpr_dispatch_id 0
		.amdhsa_user_sgpr_flat_scratch_init 0
		.amdhsa_user_sgpr_kernarg_preload_length 0
		.amdhsa_user_sgpr_kernarg_preload_offset 0
		.amdhsa_user_sgpr_private_segment_size 0
		.amdhsa_uses_dynamic_stack 0
		.amdhsa_system_sgpr_private_segment_wavefront_offset 0
		.amdhsa_system_sgpr_workgroup_id_x 1
		.amdhsa_system_sgpr_workgroup_id_y 0
		.amdhsa_system_sgpr_workgroup_id_z 0
		.amdhsa_system_sgpr_workgroup_info 0
		.amdhsa_system_vgpr_workitem_id 0
		.amdhsa_next_free_vgpr 1
		.amdhsa_next_free_sgpr 0
		.amdhsa_accum_offset 4
		.amdhsa_reserve_vcc 0
		.amdhsa_reserve_flat_scratch 0
		.amdhsa_float_round_mode_32 0
		.amdhsa_float_round_mode_16_64 0
		.amdhsa_float_denorm_mode_32 3
		.amdhsa_float_denorm_mode_16_64 3
		.amdhsa_dx10_clamp 1
		.amdhsa_ieee_mode 1
		.amdhsa_fp16_overflow 0
		.amdhsa_tg_split 0
		.amdhsa_exception_fp_ieee_invalid_op 0
		.amdhsa_exception_fp_denorm_src 0
		.amdhsa_exception_fp_ieee_div_zero 0
		.amdhsa_exception_fp_ieee_overflow 0
		.amdhsa_exception_fp_ieee_underflow 0
		.amdhsa_exception_fp_ieee_inexact 0
		.amdhsa_exception_int_div_zero 0
	.end_amdhsa_kernel
	.section	.text._ZN7rocprim17ROCPRIM_400000_NS6detail17trampoline_kernelINS0_14default_configENS1_20scan_config_selectorIiEEZZNS1_9scan_implILNS1_25lookback_scan_determinismE0ELb0ELb0ES3_N6thrust23THRUST_200600_302600_NS6detail15normal_iteratorINS9_10device_ptrIiEEEESE_i11max_functorIiEiEEDaPvRmT3_T4_T5_mT6_P12ihipStream_tbENKUlT_T0_E_clISt17integral_constantIbLb0EESU_EEDaSP_SQ_EUlSP_E_NS1_11comp_targetILNS1_3genE3ELNS1_11target_archE908ELNS1_3gpuE7ELNS1_3repE0EEENS1_30default_config_static_selectorELNS0_4arch9wavefront6targetE1EEEvT1_,"axG",@progbits,_ZN7rocprim17ROCPRIM_400000_NS6detail17trampoline_kernelINS0_14default_configENS1_20scan_config_selectorIiEEZZNS1_9scan_implILNS1_25lookback_scan_determinismE0ELb0ELb0ES3_N6thrust23THRUST_200600_302600_NS6detail15normal_iteratorINS9_10device_ptrIiEEEESE_i11max_functorIiEiEEDaPvRmT3_T4_T5_mT6_P12ihipStream_tbENKUlT_T0_E_clISt17integral_constantIbLb0EESU_EEDaSP_SQ_EUlSP_E_NS1_11comp_targetILNS1_3genE3ELNS1_11target_archE908ELNS1_3gpuE7ELNS1_3repE0EEENS1_30default_config_static_selectorELNS0_4arch9wavefront6targetE1EEEvT1_,comdat
.Lfunc_end2705:
	.size	_ZN7rocprim17ROCPRIM_400000_NS6detail17trampoline_kernelINS0_14default_configENS1_20scan_config_selectorIiEEZZNS1_9scan_implILNS1_25lookback_scan_determinismE0ELb0ELb0ES3_N6thrust23THRUST_200600_302600_NS6detail15normal_iteratorINS9_10device_ptrIiEEEESE_i11max_functorIiEiEEDaPvRmT3_T4_T5_mT6_P12ihipStream_tbENKUlT_T0_E_clISt17integral_constantIbLb0EESU_EEDaSP_SQ_EUlSP_E_NS1_11comp_targetILNS1_3genE3ELNS1_11target_archE908ELNS1_3gpuE7ELNS1_3repE0EEENS1_30default_config_static_selectorELNS0_4arch9wavefront6targetE1EEEvT1_, .Lfunc_end2705-_ZN7rocprim17ROCPRIM_400000_NS6detail17trampoline_kernelINS0_14default_configENS1_20scan_config_selectorIiEEZZNS1_9scan_implILNS1_25lookback_scan_determinismE0ELb0ELb0ES3_N6thrust23THRUST_200600_302600_NS6detail15normal_iteratorINS9_10device_ptrIiEEEESE_i11max_functorIiEiEEDaPvRmT3_T4_T5_mT6_P12ihipStream_tbENKUlT_T0_E_clISt17integral_constantIbLb0EESU_EEDaSP_SQ_EUlSP_E_NS1_11comp_targetILNS1_3genE3ELNS1_11target_archE908ELNS1_3gpuE7ELNS1_3repE0EEENS1_30default_config_static_selectorELNS0_4arch9wavefront6targetE1EEEvT1_
                                        ; -- End function
	.section	.AMDGPU.csdata,"",@progbits
; Kernel info:
; codeLenInByte = 0
; NumSgprs: 4
; NumVgprs: 0
; NumAgprs: 0
; TotalNumVgprs: 0
; ScratchSize: 0
; MemoryBound: 0
; FloatMode: 240
; IeeeMode: 1
; LDSByteSize: 0 bytes/workgroup (compile time only)
; SGPRBlocks: 0
; VGPRBlocks: 0
; NumSGPRsForWavesPerEU: 4
; NumVGPRsForWavesPerEU: 1
; AccumOffset: 4
; Occupancy: 8
; WaveLimiterHint : 0
; COMPUTE_PGM_RSRC2:SCRATCH_EN: 0
; COMPUTE_PGM_RSRC2:USER_SGPR: 6
; COMPUTE_PGM_RSRC2:TRAP_HANDLER: 0
; COMPUTE_PGM_RSRC2:TGID_X_EN: 1
; COMPUTE_PGM_RSRC2:TGID_Y_EN: 0
; COMPUTE_PGM_RSRC2:TGID_Z_EN: 0
; COMPUTE_PGM_RSRC2:TIDIG_COMP_CNT: 0
; COMPUTE_PGM_RSRC3_GFX90A:ACCUM_OFFSET: 0
; COMPUTE_PGM_RSRC3_GFX90A:TG_SPLIT: 0
	.section	.text._ZN7rocprim17ROCPRIM_400000_NS6detail17trampoline_kernelINS0_14default_configENS1_20scan_config_selectorIiEEZZNS1_9scan_implILNS1_25lookback_scan_determinismE0ELb0ELb0ES3_N6thrust23THRUST_200600_302600_NS6detail15normal_iteratorINS9_10device_ptrIiEEEESE_i11max_functorIiEiEEDaPvRmT3_T4_T5_mT6_P12ihipStream_tbENKUlT_T0_E_clISt17integral_constantIbLb0EESU_EEDaSP_SQ_EUlSP_E_NS1_11comp_targetILNS1_3genE2ELNS1_11target_archE906ELNS1_3gpuE6ELNS1_3repE0EEENS1_30default_config_static_selectorELNS0_4arch9wavefront6targetE1EEEvT1_,"axG",@progbits,_ZN7rocprim17ROCPRIM_400000_NS6detail17trampoline_kernelINS0_14default_configENS1_20scan_config_selectorIiEEZZNS1_9scan_implILNS1_25lookback_scan_determinismE0ELb0ELb0ES3_N6thrust23THRUST_200600_302600_NS6detail15normal_iteratorINS9_10device_ptrIiEEEESE_i11max_functorIiEiEEDaPvRmT3_T4_T5_mT6_P12ihipStream_tbENKUlT_T0_E_clISt17integral_constantIbLb0EESU_EEDaSP_SQ_EUlSP_E_NS1_11comp_targetILNS1_3genE2ELNS1_11target_archE906ELNS1_3gpuE6ELNS1_3repE0EEENS1_30default_config_static_selectorELNS0_4arch9wavefront6targetE1EEEvT1_,comdat
	.protected	_ZN7rocprim17ROCPRIM_400000_NS6detail17trampoline_kernelINS0_14default_configENS1_20scan_config_selectorIiEEZZNS1_9scan_implILNS1_25lookback_scan_determinismE0ELb0ELb0ES3_N6thrust23THRUST_200600_302600_NS6detail15normal_iteratorINS9_10device_ptrIiEEEESE_i11max_functorIiEiEEDaPvRmT3_T4_T5_mT6_P12ihipStream_tbENKUlT_T0_E_clISt17integral_constantIbLb0EESU_EEDaSP_SQ_EUlSP_E_NS1_11comp_targetILNS1_3genE2ELNS1_11target_archE906ELNS1_3gpuE6ELNS1_3repE0EEENS1_30default_config_static_selectorELNS0_4arch9wavefront6targetE1EEEvT1_ ; -- Begin function _ZN7rocprim17ROCPRIM_400000_NS6detail17trampoline_kernelINS0_14default_configENS1_20scan_config_selectorIiEEZZNS1_9scan_implILNS1_25lookback_scan_determinismE0ELb0ELb0ES3_N6thrust23THRUST_200600_302600_NS6detail15normal_iteratorINS9_10device_ptrIiEEEESE_i11max_functorIiEiEEDaPvRmT3_T4_T5_mT6_P12ihipStream_tbENKUlT_T0_E_clISt17integral_constantIbLb0EESU_EEDaSP_SQ_EUlSP_E_NS1_11comp_targetILNS1_3genE2ELNS1_11target_archE906ELNS1_3gpuE6ELNS1_3repE0EEENS1_30default_config_static_selectorELNS0_4arch9wavefront6targetE1EEEvT1_
	.globl	_ZN7rocprim17ROCPRIM_400000_NS6detail17trampoline_kernelINS0_14default_configENS1_20scan_config_selectorIiEEZZNS1_9scan_implILNS1_25lookback_scan_determinismE0ELb0ELb0ES3_N6thrust23THRUST_200600_302600_NS6detail15normal_iteratorINS9_10device_ptrIiEEEESE_i11max_functorIiEiEEDaPvRmT3_T4_T5_mT6_P12ihipStream_tbENKUlT_T0_E_clISt17integral_constantIbLb0EESU_EEDaSP_SQ_EUlSP_E_NS1_11comp_targetILNS1_3genE2ELNS1_11target_archE906ELNS1_3gpuE6ELNS1_3repE0EEENS1_30default_config_static_selectorELNS0_4arch9wavefront6targetE1EEEvT1_
	.p2align	8
	.type	_ZN7rocprim17ROCPRIM_400000_NS6detail17trampoline_kernelINS0_14default_configENS1_20scan_config_selectorIiEEZZNS1_9scan_implILNS1_25lookback_scan_determinismE0ELb0ELb0ES3_N6thrust23THRUST_200600_302600_NS6detail15normal_iteratorINS9_10device_ptrIiEEEESE_i11max_functorIiEiEEDaPvRmT3_T4_T5_mT6_P12ihipStream_tbENKUlT_T0_E_clISt17integral_constantIbLb0EESU_EEDaSP_SQ_EUlSP_E_NS1_11comp_targetILNS1_3genE2ELNS1_11target_archE906ELNS1_3gpuE6ELNS1_3repE0EEENS1_30default_config_static_selectorELNS0_4arch9wavefront6targetE1EEEvT1_,@function
_ZN7rocprim17ROCPRIM_400000_NS6detail17trampoline_kernelINS0_14default_configENS1_20scan_config_selectorIiEEZZNS1_9scan_implILNS1_25lookback_scan_determinismE0ELb0ELb0ES3_N6thrust23THRUST_200600_302600_NS6detail15normal_iteratorINS9_10device_ptrIiEEEESE_i11max_functorIiEiEEDaPvRmT3_T4_T5_mT6_P12ihipStream_tbENKUlT_T0_E_clISt17integral_constantIbLb0EESU_EEDaSP_SQ_EUlSP_E_NS1_11comp_targetILNS1_3genE2ELNS1_11target_archE906ELNS1_3gpuE6ELNS1_3repE0EEENS1_30default_config_static_selectorELNS0_4arch9wavefront6targetE1EEEvT1_: ; @_ZN7rocprim17ROCPRIM_400000_NS6detail17trampoline_kernelINS0_14default_configENS1_20scan_config_selectorIiEEZZNS1_9scan_implILNS1_25lookback_scan_determinismE0ELb0ELb0ES3_N6thrust23THRUST_200600_302600_NS6detail15normal_iteratorINS9_10device_ptrIiEEEESE_i11max_functorIiEiEEDaPvRmT3_T4_T5_mT6_P12ihipStream_tbENKUlT_T0_E_clISt17integral_constantIbLb0EESU_EEDaSP_SQ_EUlSP_E_NS1_11comp_targetILNS1_3genE2ELNS1_11target_archE906ELNS1_3gpuE6ELNS1_3repE0EEENS1_30default_config_static_selectorELNS0_4arch9wavefront6targetE1EEEvT1_
; %bb.0:
	.section	.rodata,"a",@progbits
	.p2align	6, 0x0
	.amdhsa_kernel _ZN7rocprim17ROCPRIM_400000_NS6detail17trampoline_kernelINS0_14default_configENS1_20scan_config_selectorIiEEZZNS1_9scan_implILNS1_25lookback_scan_determinismE0ELb0ELb0ES3_N6thrust23THRUST_200600_302600_NS6detail15normal_iteratorINS9_10device_ptrIiEEEESE_i11max_functorIiEiEEDaPvRmT3_T4_T5_mT6_P12ihipStream_tbENKUlT_T0_E_clISt17integral_constantIbLb0EESU_EEDaSP_SQ_EUlSP_E_NS1_11comp_targetILNS1_3genE2ELNS1_11target_archE906ELNS1_3gpuE6ELNS1_3repE0EEENS1_30default_config_static_selectorELNS0_4arch9wavefront6targetE1EEEvT1_
		.amdhsa_group_segment_fixed_size 0
		.amdhsa_private_segment_fixed_size 0
		.amdhsa_kernarg_size 96
		.amdhsa_user_sgpr_count 6
		.amdhsa_user_sgpr_private_segment_buffer 1
		.amdhsa_user_sgpr_dispatch_ptr 0
		.amdhsa_user_sgpr_queue_ptr 0
		.amdhsa_user_sgpr_kernarg_segment_ptr 1
		.amdhsa_user_sgpr_dispatch_id 0
		.amdhsa_user_sgpr_flat_scratch_init 0
		.amdhsa_user_sgpr_kernarg_preload_length 0
		.amdhsa_user_sgpr_kernarg_preload_offset 0
		.amdhsa_user_sgpr_private_segment_size 0
		.amdhsa_uses_dynamic_stack 0
		.amdhsa_system_sgpr_private_segment_wavefront_offset 0
		.amdhsa_system_sgpr_workgroup_id_x 1
		.amdhsa_system_sgpr_workgroup_id_y 0
		.amdhsa_system_sgpr_workgroup_id_z 0
		.amdhsa_system_sgpr_workgroup_info 0
		.amdhsa_system_vgpr_workitem_id 0
		.amdhsa_next_free_vgpr 1
		.amdhsa_next_free_sgpr 0
		.amdhsa_accum_offset 4
		.amdhsa_reserve_vcc 0
		.amdhsa_reserve_flat_scratch 0
		.amdhsa_float_round_mode_32 0
		.amdhsa_float_round_mode_16_64 0
		.amdhsa_float_denorm_mode_32 3
		.amdhsa_float_denorm_mode_16_64 3
		.amdhsa_dx10_clamp 1
		.amdhsa_ieee_mode 1
		.amdhsa_fp16_overflow 0
		.amdhsa_tg_split 0
		.amdhsa_exception_fp_ieee_invalid_op 0
		.amdhsa_exception_fp_denorm_src 0
		.amdhsa_exception_fp_ieee_div_zero 0
		.amdhsa_exception_fp_ieee_overflow 0
		.amdhsa_exception_fp_ieee_underflow 0
		.amdhsa_exception_fp_ieee_inexact 0
		.amdhsa_exception_int_div_zero 0
	.end_amdhsa_kernel
	.section	.text._ZN7rocprim17ROCPRIM_400000_NS6detail17trampoline_kernelINS0_14default_configENS1_20scan_config_selectorIiEEZZNS1_9scan_implILNS1_25lookback_scan_determinismE0ELb0ELb0ES3_N6thrust23THRUST_200600_302600_NS6detail15normal_iteratorINS9_10device_ptrIiEEEESE_i11max_functorIiEiEEDaPvRmT3_T4_T5_mT6_P12ihipStream_tbENKUlT_T0_E_clISt17integral_constantIbLb0EESU_EEDaSP_SQ_EUlSP_E_NS1_11comp_targetILNS1_3genE2ELNS1_11target_archE906ELNS1_3gpuE6ELNS1_3repE0EEENS1_30default_config_static_selectorELNS0_4arch9wavefront6targetE1EEEvT1_,"axG",@progbits,_ZN7rocprim17ROCPRIM_400000_NS6detail17trampoline_kernelINS0_14default_configENS1_20scan_config_selectorIiEEZZNS1_9scan_implILNS1_25lookback_scan_determinismE0ELb0ELb0ES3_N6thrust23THRUST_200600_302600_NS6detail15normal_iteratorINS9_10device_ptrIiEEEESE_i11max_functorIiEiEEDaPvRmT3_T4_T5_mT6_P12ihipStream_tbENKUlT_T0_E_clISt17integral_constantIbLb0EESU_EEDaSP_SQ_EUlSP_E_NS1_11comp_targetILNS1_3genE2ELNS1_11target_archE906ELNS1_3gpuE6ELNS1_3repE0EEENS1_30default_config_static_selectorELNS0_4arch9wavefront6targetE1EEEvT1_,comdat
.Lfunc_end2706:
	.size	_ZN7rocprim17ROCPRIM_400000_NS6detail17trampoline_kernelINS0_14default_configENS1_20scan_config_selectorIiEEZZNS1_9scan_implILNS1_25lookback_scan_determinismE0ELb0ELb0ES3_N6thrust23THRUST_200600_302600_NS6detail15normal_iteratorINS9_10device_ptrIiEEEESE_i11max_functorIiEiEEDaPvRmT3_T4_T5_mT6_P12ihipStream_tbENKUlT_T0_E_clISt17integral_constantIbLb0EESU_EEDaSP_SQ_EUlSP_E_NS1_11comp_targetILNS1_3genE2ELNS1_11target_archE906ELNS1_3gpuE6ELNS1_3repE0EEENS1_30default_config_static_selectorELNS0_4arch9wavefront6targetE1EEEvT1_, .Lfunc_end2706-_ZN7rocprim17ROCPRIM_400000_NS6detail17trampoline_kernelINS0_14default_configENS1_20scan_config_selectorIiEEZZNS1_9scan_implILNS1_25lookback_scan_determinismE0ELb0ELb0ES3_N6thrust23THRUST_200600_302600_NS6detail15normal_iteratorINS9_10device_ptrIiEEEESE_i11max_functorIiEiEEDaPvRmT3_T4_T5_mT6_P12ihipStream_tbENKUlT_T0_E_clISt17integral_constantIbLb0EESU_EEDaSP_SQ_EUlSP_E_NS1_11comp_targetILNS1_3genE2ELNS1_11target_archE906ELNS1_3gpuE6ELNS1_3repE0EEENS1_30default_config_static_selectorELNS0_4arch9wavefront6targetE1EEEvT1_
                                        ; -- End function
	.section	.AMDGPU.csdata,"",@progbits
; Kernel info:
; codeLenInByte = 0
; NumSgprs: 4
; NumVgprs: 0
; NumAgprs: 0
; TotalNumVgprs: 0
; ScratchSize: 0
; MemoryBound: 0
; FloatMode: 240
; IeeeMode: 1
; LDSByteSize: 0 bytes/workgroup (compile time only)
; SGPRBlocks: 0
; VGPRBlocks: 0
; NumSGPRsForWavesPerEU: 4
; NumVGPRsForWavesPerEU: 1
; AccumOffset: 4
; Occupancy: 8
; WaveLimiterHint : 0
; COMPUTE_PGM_RSRC2:SCRATCH_EN: 0
; COMPUTE_PGM_RSRC2:USER_SGPR: 6
; COMPUTE_PGM_RSRC2:TRAP_HANDLER: 0
; COMPUTE_PGM_RSRC2:TGID_X_EN: 1
; COMPUTE_PGM_RSRC2:TGID_Y_EN: 0
; COMPUTE_PGM_RSRC2:TGID_Z_EN: 0
; COMPUTE_PGM_RSRC2:TIDIG_COMP_CNT: 0
; COMPUTE_PGM_RSRC3_GFX90A:ACCUM_OFFSET: 0
; COMPUTE_PGM_RSRC3_GFX90A:TG_SPLIT: 0
	.section	.text._ZN7rocprim17ROCPRIM_400000_NS6detail17trampoline_kernelINS0_14default_configENS1_20scan_config_selectorIiEEZZNS1_9scan_implILNS1_25lookback_scan_determinismE0ELb0ELb0ES3_N6thrust23THRUST_200600_302600_NS6detail15normal_iteratorINS9_10device_ptrIiEEEESE_i11max_functorIiEiEEDaPvRmT3_T4_T5_mT6_P12ihipStream_tbENKUlT_T0_E_clISt17integral_constantIbLb0EESU_EEDaSP_SQ_EUlSP_E_NS1_11comp_targetILNS1_3genE10ELNS1_11target_archE1201ELNS1_3gpuE5ELNS1_3repE0EEENS1_30default_config_static_selectorELNS0_4arch9wavefront6targetE1EEEvT1_,"axG",@progbits,_ZN7rocprim17ROCPRIM_400000_NS6detail17trampoline_kernelINS0_14default_configENS1_20scan_config_selectorIiEEZZNS1_9scan_implILNS1_25lookback_scan_determinismE0ELb0ELb0ES3_N6thrust23THRUST_200600_302600_NS6detail15normal_iteratorINS9_10device_ptrIiEEEESE_i11max_functorIiEiEEDaPvRmT3_T4_T5_mT6_P12ihipStream_tbENKUlT_T0_E_clISt17integral_constantIbLb0EESU_EEDaSP_SQ_EUlSP_E_NS1_11comp_targetILNS1_3genE10ELNS1_11target_archE1201ELNS1_3gpuE5ELNS1_3repE0EEENS1_30default_config_static_selectorELNS0_4arch9wavefront6targetE1EEEvT1_,comdat
	.protected	_ZN7rocprim17ROCPRIM_400000_NS6detail17trampoline_kernelINS0_14default_configENS1_20scan_config_selectorIiEEZZNS1_9scan_implILNS1_25lookback_scan_determinismE0ELb0ELb0ES3_N6thrust23THRUST_200600_302600_NS6detail15normal_iteratorINS9_10device_ptrIiEEEESE_i11max_functorIiEiEEDaPvRmT3_T4_T5_mT6_P12ihipStream_tbENKUlT_T0_E_clISt17integral_constantIbLb0EESU_EEDaSP_SQ_EUlSP_E_NS1_11comp_targetILNS1_3genE10ELNS1_11target_archE1201ELNS1_3gpuE5ELNS1_3repE0EEENS1_30default_config_static_selectorELNS0_4arch9wavefront6targetE1EEEvT1_ ; -- Begin function _ZN7rocprim17ROCPRIM_400000_NS6detail17trampoline_kernelINS0_14default_configENS1_20scan_config_selectorIiEEZZNS1_9scan_implILNS1_25lookback_scan_determinismE0ELb0ELb0ES3_N6thrust23THRUST_200600_302600_NS6detail15normal_iteratorINS9_10device_ptrIiEEEESE_i11max_functorIiEiEEDaPvRmT3_T4_T5_mT6_P12ihipStream_tbENKUlT_T0_E_clISt17integral_constantIbLb0EESU_EEDaSP_SQ_EUlSP_E_NS1_11comp_targetILNS1_3genE10ELNS1_11target_archE1201ELNS1_3gpuE5ELNS1_3repE0EEENS1_30default_config_static_selectorELNS0_4arch9wavefront6targetE1EEEvT1_
	.globl	_ZN7rocprim17ROCPRIM_400000_NS6detail17trampoline_kernelINS0_14default_configENS1_20scan_config_selectorIiEEZZNS1_9scan_implILNS1_25lookback_scan_determinismE0ELb0ELb0ES3_N6thrust23THRUST_200600_302600_NS6detail15normal_iteratorINS9_10device_ptrIiEEEESE_i11max_functorIiEiEEDaPvRmT3_T4_T5_mT6_P12ihipStream_tbENKUlT_T0_E_clISt17integral_constantIbLb0EESU_EEDaSP_SQ_EUlSP_E_NS1_11comp_targetILNS1_3genE10ELNS1_11target_archE1201ELNS1_3gpuE5ELNS1_3repE0EEENS1_30default_config_static_selectorELNS0_4arch9wavefront6targetE1EEEvT1_
	.p2align	8
	.type	_ZN7rocprim17ROCPRIM_400000_NS6detail17trampoline_kernelINS0_14default_configENS1_20scan_config_selectorIiEEZZNS1_9scan_implILNS1_25lookback_scan_determinismE0ELb0ELb0ES3_N6thrust23THRUST_200600_302600_NS6detail15normal_iteratorINS9_10device_ptrIiEEEESE_i11max_functorIiEiEEDaPvRmT3_T4_T5_mT6_P12ihipStream_tbENKUlT_T0_E_clISt17integral_constantIbLb0EESU_EEDaSP_SQ_EUlSP_E_NS1_11comp_targetILNS1_3genE10ELNS1_11target_archE1201ELNS1_3gpuE5ELNS1_3repE0EEENS1_30default_config_static_selectorELNS0_4arch9wavefront6targetE1EEEvT1_,@function
_ZN7rocprim17ROCPRIM_400000_NS6detail17trampoline_kernelINS0_14default_configENS1_20scan_config_selectorIiEEZZNS1_9scan_implILNS1_25lookback_scan_determinismE0ELb0ELb0ES3_N6thrust23THRUST_200600_302600_NS6detail15normal_iteratorINS9_10device_ptrIiEEEESE_i11max_functorIiEiEEDaPvRmT3_T4_T5_mT6_P12ihipStream_tbENKUlT_T0_E_clISt17integral_constantIbLb0EESU_EEDaSP_SQ_EUlSP_E_NS1_11comp_targetILNS1_3genE10ELNS1_11target_archE1201ELNS1_3gpuE5ELNS1_3repE0EEENS1_30default_config_static_selectorELNS0_4arch9wavefront6targetE1EEEvT1_: ; @_ZN7rocprim17ROCPRIM_400000_NS6detail17trampoline_kernelINS0_14default_configENS1_20scan_config_selectorIiEEZZNS1_9scan_implILNS1_25lookback_scan_determinismE0ELb0ELb0ES3_N6thrust23THRUST_200600_302600_NS6detail15normal_iteratorINS9_10device_ptrIiEEEESE_i11max_functorIiEiEEDaPvRmT3_T4_T5_mT6_P12ihipStream_tbENKUlT_T0_E_clISt17integral_constantIbLb0EESU_EEDaSP_SQ_EUlSP_E_NS1_11comp_targetILNS1_3genE10ELNS1_11target_archE1201ELNS1_3gpuE5ELNS1_3repE0EEENS1_30default_config_static_selectorELNS0_4arch9wavefront6targetE1EEEvT1_
; %bb.0:
	.section	.rodata,"a",@progbits
	.p2align	6, 0x0
	.amdhsa_kernel _ZN7rocprim17ROCPRIM_400000_NS6detail17trampoline_kernelINS0_14default_configENS1_20scan_config_selectorIiEEZZNS1_9scan_implILNS1_25lookback_scan_determinismE0ELb0ELb0ES3_N6thrust23THRUST_200600_302600_NS6detail15normal_iteratorINS9_10device_ptrIiEEEESE_i11max_functorIiEiEEDaPvRmT3_T4_T5_mT6_P12ihipStream_tbENKUlT_T0_E_clISt17integral_constantIbLb0EESU_EEDaSP_SQ_EUlSP_E_NS1_11comp_targetILNS1_3genE10ELNS1_11target_archE1201ELNS1_3gpuE5ELNS1_3repE0EEENS1_30default_config_static_selectorELNS0_4arch9wavefront6targetE1EEEvT1_
		.amdhsa_group_segment_fixed_size 0
		.amdhsa_private_segment_fixed_size 0
		.amdhsa_kernarg_size 96
		.amdhsa_user_sgpr_count 6
		.amdhsa_user_sgpr_private_segment_buffer 1
		.amdhsa_user_sgpr_dispatch_ptr 0
		.amdhsa_user_sgpr_queue_ptr 0
		.amdhsa_user_sgpr_kernarg_segment_ptr 1
		.amdhsa_user_sgpr_dispatch_id 0
		.amdhsa_user_sgpr_flat_scratch_init 0
		.amdhsa_user_sgpr_kernarg_preload_length 0
		.amdhsa_user_sgpr_kernarg_preload_offset 0
		.amdhsa_user_sgpr_private_segment_size 0
		.amdhsa_uses_dynamic_stack 0
		.amdhsa_system_sgpr_private_segment_wavefront_offset 0
		.amdhsa_system_sgpr_workgroup_id_x 1
		.amdhsa_system_sgpr_workgroup_id_y 0
		.amdhsa_system_sgpr_workgroup_id_z 0
		.amdhsa_system_sgpr_workgroup_info 0
		.amdhsa_system_vgpr_workitem_id 0
		.amdhsa_next_free_vgpr 1
		.amdhsa_next_free_sgpr 0
		.amdhsa_accum_offset 4
		.amdhsa_reserve_vcc 0
		.amdhsa_reserve_flat_scratch 0
		.amdhsa_float_round_mode_32 0
		.amdhsa_float_round_mode_16_64 0
		.amdhsa_float_denorm_mode_32 3
		.amdhsa_float_denorm_mode_16_64 3
		.amdhsa_dx10_clamp 1
		.amdhsa_ieee_mode 1
		.amdhsa_fp16_overflow 0
		.amdhsa_tg_split 0
		.amdhsa_exception_fp_ieee_invalid_op 0
		.amdhsa_exception_fp_denorm_src 0
		.amdhsa_exception_fp_ieee_div_zero 0
		.amdhsa_exception_fp_ieee_overflow 0
		.amdhsa_exception_fp_ieee_underflow 0
		.amdhsa_exception_fp_ieee_inexact 0
		.amdhsa_exception_int_div_zero 0
	.end_amdhsa_kernel
	.section	.text._ZN7rocprim17ROCPRIM_400000_NS6detail17trampoline_kernelINS0_14default_configENS1_20scan_config_selectorIiEEZZNS1_9scan_implILNS1_25lookback_scan_determinismE0ELb0ELb0ES3_N6thrust23THRUST_200600_302600_NS6detail15normal_iteratorINS9_10device_ptrIiEEEESE_i11max_functorIiEiEEDaPvRmT3_T4_T5_mT6_P12ihipStream_tbENKUlT_T0_E_clISt17integral_constantIbLb0EESU_EEDaSP_SQ_EUlSP_E_NS1_11comp_targetILNS1_3genE10ELNS1_11target_archE1201ELNS1_3gpuE5ELNS1_3repE0EEENS1_30default_config_static_selectorELNS0_4arch9wavefront6targetE1EEEvT1_,"axG",@progbits,_ZN7rocprim17ROCPRIM_400000_NS6detail17trampoline_kernelINS0_14default_configENS1_20scan_config_selectorIiEEZZNS1_9scan_implILNS1_25lookback_scan_determinismE0ELb0ELb0ES3_N6thrust23THRUST_200600_302600_NS6detail15normal_iteratorINS9_10device_ptrIiEEEESE_i11max_functorIiEiEEDaPvRmT3_T4_T5_mT6_P12ihipStream_tbENKUlT_T0_E_clISt17integral_constantIbLb0EESU_EEDaSP_SQ_EUlSP_E_NS1_11comp_targetILNS1_3genE10ELNS1_11target_archE1201ELNS1_3gpuE5ELNS1_3repE0EEENS1_30default_config_static_selectorELNS0_4arch9wavefront6targetE1EEEvT1_,comdat
.Lfunc_end2707:
	.size	_ZN7rocprim17ROCPRIM_400000_NS6detail17trampoline_kernelINS0_14default_configENS1_20scan_config_selectorIiEEZZNS1_9scan_implILNS1_25lookback_scan_determinismE0ELb0ELb0ES3_N6thrust23THRUST_200600_302600_NS6detail15normal_iteratorINS9_10device_ptrIiEEEESE_i11max_functorIiEiEEDaPvRmT3_T4_T5_mT6_P12ihipStream_tbENKUlT_T0_E_clISt17integral_constantIbLb0EESU_EEDaSP_SQ_EUlSP_E_NS1_11comp_targetILNS1_3genE10ELNS1_11target_archE1201ELNS1_3gpuE5ELNS1_3repE0EEENS1_30default_config_static_selectorELNS0_4arch9wavefront6targetE1EEEvT1_, .Lfunc_end2707-_ZN7rocprim17ROCPRIM_400000_NS6detail17trampoline_kernelINS0_14default_configENS1_20scan_config_selectorIiEEZZNS1_9scan_implILNS1_25lookback_scan_determinismE0ELb0ELb0ES3_N6thrust23THRUST_200600_302600_NS6detail15normal_iteratorINS9_10device_ptrIiEEEESE_i11max_functorIiEiEEDaPvRmT3_T4_T5_mT6_P12ihipStream_tbENKUlT_T0_E_clISt17integral_constantIbLb0EESU_EEDaSP_SQ_EUlSP_E_NS1_11comp_targetILNS1_3genE10ELNS1_11target_archE1201ELNS1_3gpuE5ELNS1_3repE0EEENS1_30default_config_static_selectorELNS0_4arch9wavefront6targetE1EEEvT1_
                                        ; -- End function
	.section	.AMDGPU.csdata,"",@progbits
; Kernel info:
; codeLenInByte = 0
; NumSgprs: 4
; NumVgprs: 0
; NumAgprs: 0
; TotalNumVgprs: 0
; ScratchSize: 0
; MemoryBound: 0
; FloatMode: 240
; IeeeMode: 1
; LDSByteSize: 0 bytes/workgroup (compile time only)
; SGPRBlocks: 0
; VGPRBlocks: 0
; NumSGPRsForWavesPerEU: 4
; NumVGPRsForWavesPerEU: 1
; AccumOffset: 4
; Occupancy: 8
; WaveLimiterHint : 0
; COMPUTE_PGM_RSRC2:SCRATCH_EN: 0
; COMPUTE_PGM_RSRC2:USER_SGPR: 6
; COMPUTE_PGM_RSRC2:TRAP_HANDLER: 0
; COMPUTE_PGM_RSRC2:TGID_X_EN: 1
; COMPUTE_PGM_RSRC2:TGID_Y_EN: 0
; COMPUTE_PGM_RSRC2:TGID_Z_EN: 0
; COMPUTE_PGM_RSRC2:TIDIG_COMP_CNT: 0
; COMPUTE_PGM_RSRC3_GFX90A:ACCUM_OFFSET: 0
; COMPUTE_PGM_RSRC3_GFX90A:TG_SPLIT: 0
	.section	.text._ZN7rocprim17ROCPRIM_400000_NS6detail17trampoline_kernelINS0_14default_configENS1_20scan_config_selectorIiEEZZNS1_9scan_implILNS1_25lookback_scan_determinismE0ELb0ELb0ES3_N6thrust23THRUST_200600_302600_NS6detail15normal_iteratorINS9_10device_ptrIiEEEESE_i11max_functorIiEiEEDaPvRmT3_T4_T5_mT6_P12ihipStream_tbENKUlT_T0_E_clISt17integral_constantIbLb0EESU_EEDaSP_SQ_EUlSP_E_NS1_11comp_targetILNS1_3genE10ELNS1_11target_archE1200ELNS1_3gpuE4ELNS1_3repE0EEENS1_30default_config_static_selectorELNS0_4arch9wavefront6targetE1EEEvT1_,"axG",@progbits,_ZN7rocprim17ROCPRIM_400000_NS6detail17trampoline_kernelINS0_14default_configENS1_20scan_config_selectorIiEEZZNS1_9scan_implILNS1_25lookback_scan_determinismE0ELb0ELb0ES3_N6thrust23THRUST_200600_302600_NS6detail15normal_iteratorINS9_10device_ptrIiEEEESE_i11max_functorIiEiEEDaPvRmT3_T4_T5_mT6_P12ihipStream_tbENKUlT_T0_E_clISt17integral_constantIbLb0EESU_EEDaSP_SQ_EUlSP_E_NS1_11comp_targetILNS1_3genE10ELNS1_11target_archE1200ELNS1_3gpuE4ELNS1_3repE0EEENS1_30default_config_static_selectorELNS0_4arch9wavefront6targetE1EEEvT1_,comdat
	.protected	_ZN7rocprim17ROCPRIM_400000_NS6detail17trampoline_kernelINS0_14default_configENS1_20scan_config_selectorIiEEZZNS1_9scan_implILNS1_25lookback_scan_determinismE0ELb0ELb0ES3_N6thrust23THRUST_200600_302600_NS6detail15normal_iteratorINS9_10device_ptrIiEEEESE_i11max_functorIiEiEEDaPvRmT3_T4_T5_mT6_P12ihipStream_tbENKUlT_T0_E_clISt17integral_constantIbLb0EESU_EEDaSP_SQ_EUlSP_E_NS1_11comp_targetILNS1_3genE10ELNS1_11target_archE1200ELNS1_3gpuE4ELNS1_3repE0EEENS1_30default_config_static_selectorELNS0_4arch9wavefront6targetE1EEEvT1_ ; -- Begin function _ZN7rocprim17ROCPRIM_400000_NS6detail17trampoline_kernelINS0_14default_configENS1_20scan_config_selectorIiEEZZNS1_9scan_implILNS1_25lookback_scan_determinismE0ELb0ELb0ES3_N6thrust23THRUST_200600_302600_NS6detail15normal_iteratorINS9_10device_ptrIiEEEESE_i11max_functorIiEiEEDaPvRmT3_T4_T5_mT6_P12ihipStream_tbENKUlT_T0_E_clISt17integral_constantIbLb0EESU_EEDaSP_SQ_EUlSP_E_NS1_11comp_targetILNS1_3genE10ELNS1_11target_archE1200ELNS1_3gpuE4ELNS1_3repE0EEENS1_30default_config_static_selectorELNS0_4arch9wavefront6targetE1EEEvT1_
	.globl	_ZN7rocprim17ROCPRIM_400000_NS6detail17trampoline_kernelINS0_14default_configENS1_20scan_config_selectorIiEEZZNS1_9scan_implILNS1_25lookback_scan_determinismE0ELb0ELb0ES3_N6thrust23THRUST_200600_302600_NS6detail15normal_iteratorINS9_10device_ptrIiEEEESE_i11max_functorIiEiEEDaPvRmT3_T4_T5_mT6_P12ihipStream_tbENKUlT_T0_E_clISt17integral_constantIbLb0EESU_EEDaSP_SQ_EUlSP_E_NS1_11comp_targetILNS1_3genE10ELNS1_11target_archE1200ELNS1_3gpuE4ELNS1_3repE0EEENS1_30default_config_static_selectorELNS0_4arch9wavefront6targetE1EEEvT1_
	.p2align	8
	.type	_ZN7rocprim17ROCPRIM_400000_NS6detail17trampoline_kernelINS0_14default_configENS1_20scan_config_selectorIiEEZZNS1_9scan_implILNS1_25lookback_scan_determinismE0ELb0ELb0ES3_N6thrust23THRUST_200600_302600_NS6detail15normal_iteratorINS9_10device_ptrIiEEEESE_i11max_functorIiEiEEDaPvRmT3_T4_T5_mT6_P12ihipStream_tbENKUlT_T0_E_clISt17integral_constantIbLb0EESU_EEDaSP_SQ_EUlSP_E_NS1_11comp_targetILNS1_3genE10ELNS1_11target_archE1200ELNS1_3gpuE4ELNS1_3repE0EEENS1_30default_config_static_selectorELNS0_4arch9wavefront6targetE1EEEvT1_,@function
_ZN7rocprim17ROCPRIM_400000_NS6detail17trampoline_kernelINS0_14default_configENS1_20scan_config_selectorIiEEZZNS1_9scan_implILNS1_25lookback_scan_determinismE0ELb0ELb0ES3_N6thrust23THRUST_200600_302600_NS6detail15normal_iteratorINS9_10device_ptrIiEEEESE_i11max_functorIiEiEEDaPvRmT3_T4_T5_mT6_P12ihipStream_tbENKUlT_T0_E_clISt17integral_constantIbLb0EESU_EEDaSP_SQ_EUlSP_E_NS1_11comp_targetILNS1_3genE10ELNS1_11target_archE1200ELNS1_3gpuE4ELNS1_3repE0EEENS1_30default_config_static_selectorELNS0_4arch9wavefront6targetE1EEEvT1_: ; @_ZN7rocprim17ROCPRIM_400000_NS6detail17trampoline_kernelINS0_14default_configENS1_20scan_config_selectorIiEEZZNS1_9scan_implILNS1_25lookback_scan_determinismE0ELb0ELb0ES3_N6thrust23THRUST_200600_302600_NS6detail15normal_iteratorINS9_10device_ptrIiEEEESE_i11max_functorIiEiEEDaPvRmT3_T4_T5_mT6_P12ihipStream_tbENKUlT_T0_E_clISt17integral_constantIbLb0EESU_EEDaSP_SQ_EUlSP_E_NS1_11comp_targetILNS1_3genE10ELNS1_11target_archE1200ELNS1_3gpuE4ELNS1_3repE0EEENS1_30default_config_static_selectorELNS0_4arch9wavefront6targetE1EEEvT1_
; %bb.0:
	.section	.rodata,"a",@progbits
	.p2align	6, 0x0
	.amdhsa_kernel _ZN7rocprim17ROCPRIM_400000_NS6detail17trampoline_kernelINS0_14default_configENS1_20scan_config_selectorIiEEZZNS1_9scan_implILNS1_25lookback_scan_determinismE0ELb0ELb0ES3_N6thrust23THRUST_200600_302600_NS6detail15normal_iteratorINS9_10device_ptrIiEEEESE_i11max_functorIiEiEEDaPvRmT3_T4_T5_mT6_P12ihipStream_tbENKUlT_T0_E_clISt17integral_constantIbLb0EESU_EEDaSP_SQ_EUlSP_E_NS1_11comp_targetILNS1_3genE10ELNS1_11target_archE1200ELNS1_3gpuE4ELNS1_3repE0EEENS1_30default_config_static_selectorELNS0_4arch9wavefront6targetE1EEEvT1_
		.amdhsa_group_segment_fixed_size 0
		.amdhsa_private_segment_fixed_size 0
		.amdhsa_kernarg_size 96
		.amdhsa_user_sgpr_count 6
		.amdhsa_user_sgpr_private_segment_buffer 1
		.amdhsa_user_sgpr_dispatch_ptr 0
		.amdhsa_user_sgpr_queue_ptr 0
		.amdhsa_user_sgpr_kernarg_segment_ptr 1
		.amdhsa_user_sgpr_dispatch_id 0
		.amdhsa_user_sgpr_flat_scratch_init 0
		.amdhsa_user_sgpr_kernarg_preload_length 0
		.amdhsa_user_sgpr_kernarg_preload_offset 0
		.amdhsa_user_sgpr_private_segment_size 0
		.amdhsa_uses_dynamic_stack 0
		.amdhsa_system_sgpr_private_segment_wavefront_offset 0
		.amdhsa_system_sgpr_workgroup_id_x 1
		.amdhsa_system_sgpr_workgroup_id_y 0
		.amdhsa_system_sgpr_workgroup_id_z 0
		.amdhsa_system_sgpr_workgroup_info 0
		.amdhsa_system_vgpr_workitem_id 0
		.amdhsa_next_free_vgpr 1
		.amdhsa_next_free_sgpr 0
		.amdhsa_accum_offset 4
		.amdhsa_reserve_vcc 0
		.amdhsa_reserve_flat_scratch 0
		.amdhsa_float_round_mode_32 0
		.amdhsa_float_round_mode_16_64 0
		.amdhsa_float_denorm_mode_32 3
		.amdhsa_float_denorm_mode_16_64 3
		.amdhsa_dx10_clamp 1
		.amdhsa_ieee_mode 1
		.amdhsa_fp16_overflow 0
		.amdhsa_tg_split 0
		.amdhsa_exception_fp_ieee_invalid_op 0
		.amdhsa_exception_fp_denorm_src 0
		.amdhsa_exception_fp_ieee_div_zero 0
		.amdhsa_exception_fp_ieee_overflow 0
		.amdhsa_exception_fp_ieee_underflow 0
		.amdhsa_exception_fp_ieee_inexact 0
		.amdhsa_exception_int_div_zero 0
	.end_amdhsa_kernel
	.section	.text._ZN7rocprim17ROCPRIM_400000_NS6detail17trampoline_kernelINS0_14default_configENS1_20scan_config_selectorIiEEZZNS1_9scan_implILNS1_25lookback_scan_determinismE0ELb0ELb0ES3_N6thrust23THRUST_200600_302600_NS6detail15normal_iteratorINS9_10device_ptrIiEEEESE_i11max_functorIiEiEEDaPvRmT3_T4_T5_mT6_P12ihipStream_tbENKUlT_T0_E_clISt17integral_constantIbLb0EESU_EEDaSP_SQ_EUlSP_E_NS1_11comp_targetILNS1_3genE10ELNS1_11target_archE1200ELNS1_3gpuE4ELNS1_3repE0EEENS1_30default_config_static_selectorELNS0_4arch9wavefront6targetE1EEEvT1_,"axG",@progbits,_ZN7rocprim17ROCPRIM_400000_NS6detail17trampoline_kernelINS0_14default_configENS1_20scan_config_selectorIiEEZZNS1_9scan_implILNS1_25lookback_scan_determinismE0ELb0ELb0ES3_N6thrust23THRUST_200600_302600_NS6detail15normal_iteratorINS9_10device_ptrIiEEEESE_i11max_functorIiEiEEDaPvRmT3_T4_T5_mT6_P12ihipStream_tbENKUlT_T0_E_clISt17integral_constantIbLb0EESU_EEDaSP_SQ_EUlSP_E_NS1_11comp_targetILNS1_3genE10ELNS1_11target_archE1200ELNS1_3gpuE4ELNS1_3repE0EEENS1_30default_config_static_selectorELNS0_4arch9wavefront6targetE1EEEvT1_,comdat
.Lfunc_end2708:
	.size	_ZN7rocprim17ROCPRIM_400000_NS6detail17trampoline_kernelINS0_14default_configENS1_20scan_config_selectorIiEEZZNS1_9scan_implILNS1_25lookback_scan_determinismE0ELb0ELb0ES3_N6thrust23THRUST_200600_302600_NS6detail15normal_iteratorINS9_10device_ptrIiEEEESE_i11max_functorIiEiEEDaPvRmT3_T4_T5_mT6_P12ihipStream_tbENKUlT_T0_E_clISt17integral_constantIbLb0EESU_EEDaSP_SQ_EUlSP_E_NS1_11comp_targetILNS1_3genE10ELNS1_11target_archE1200ELNS1_3gpuE4ELNS1_3repE0EEENS1_30default_config_static_selectorELNS0_4arch9wavefront6targetE1EEEvT1_, .Lfunc_end2708-_ZN7rocprim17ROCPRIM_400000_NS6detail17trampoline_kernelINS0_14default_configENS1_20scan_config_selectorIiEEZZNS1_9scan_implILNS1_25lookback_scan_determinismE0ELb0ELb0ES3_N6thrust23THRUST_200600_302600_NS6detail15normal_iteratorINS9_10device_ptrIiEEEESE_i11max_functorIiEiEEDaPvRmT3_T4_T5_mT6_P12ihipStream_tbENKUlT_T0_E_clISt17integral_constantIbLb0EESU_EEDaSP_SQ_EUlSP_E_NS1_11comp_targetILNS1_3genE10ELNS1_11target_archE1200ELNS1_3gpuE4ELNS1_3repE0EEENS1_30default_config_static_selectorELNS0_4arch9wavefront6targetE1EEEvT1_
                                        ; -- End function
	.section	.AMDGPU.csdata,"",@progbits
; Kernel info:
; codeLenInByte = 0
; NumSgprs: 4
; NumVgprs: 0
; NumAgprs: 0
; TotalNumVgprs: 0
; ScratchSize: 0
; MemoryBound: 0
; FloatMode: 240
; IeeeMode: 1
; LDSByteSize: 0 bytes/workgroup (compile time only)
; SGPRBlocks: 0
; VGPRBlocks: 0
; NumSGPRsForWavesPerEU: 4
; NumVGPRsForWavesPerEU: 1
; AccumOffset: 4
; Occupancy: 8
; WaveLimiterHint : 0
; COMPUTE_PGM_RSRC2:SCRATCH_EN: 0
; COMPUTE_PGM_RSRC2:USER_SGPR: 6
; COMPUTE_PGM_RSRC2:TRAP_HANDLER: 0
; COMPUTE_PGM_RSRC2:TGID_X_EN: 1
; COMPUTE_PGM_RSRC2:TGID_Y_EN: 0
; COMPUTE_PGM_RSRC2:TGID_Z_EN: 0
; COMPUTE_PGM_RSRC2:TIDIG_COMP_CNT: 0
; COMPUTE_PGM_RSRC3_GFX90A:ACCUM_OFFSET: 0
; COMPUTE_PGM_RSRC3_GFX90A:TG_SPLIT: 0
	.section	.text._ZN7rocprim17ROCPRIM_400000_NS6detail17trampoline_kernelINS0_14default_configENS1_20scan_config_selectorIiEEZZNS1_9scan_implILNS1_25lookback_scan_determinismE0ELb0ELb0ES3_N6thrust23THRUST_200600_302600_NS6detail15normal_iteratorINS9_10device_ptrIiEEEESE_i11max_functorIiEiEEDaPvRmT3_T4_T5_mT6_P12ihipStream_tbENKUlT_T0_E_clISt17integral_constantIbLb0EESU_EEDaSP_SQ_EUlSP_E_NS1_11comp_targetILNS1_3genE9ELNS1_11target_archE1100ELNS1_3gpuE3ELNS1_3repE0EEENS1_30default_config_static_selectorELNS0_4arch9wavefront6targetE1EEEvT1_,"axG",@progbits,_ZN7rocprim17ROCPRIM_400000_NS6detail17trampoline_kernelINS0_14default_configENS1_20scan_config_selectorIiEEZZNS1_9scan_implILNS1_25lookback_scan_determinismE0ELb0ELb0ES3_N6thrust23THRUST_200600_302600_NS6detail15normal_iteratorINS9_10device_ptrIiEEEESE_i11max_functorIiEiEEDaPvRmT3_T4_T5_mT6_P12ihipStream_tbENKUlT_T0_E_clISt17integral_constantIbLb0EESU_EEDaSP_SQ_EUlSP_E_NS1_11comp_targetILNS1_3genE9ELNS1_11target_archE1100ELNS1_3gpuE3ELNS1_3repE0EEENS1_30default_config_static_selectorELNS0_4arch9wavefront6targetE1EEEvT1_,comdat
	.protected	_ZN7rocprim17ROCPRIM_400000_NS6detail17trampoline_kernelINS0_14default_configENS1_20scan_config_selectorIiEEZZNS1_9scan_implILNS1_25lookback_scan_determinismE0ELb0ELb0ES3_N6thrust23THRUST_200600_302600_NS6detail15normal_iteratorINS9_10device_ptrIiEEEESE_i11max_functorIiEiEEDaPvRmT3_T4_T5_mT6_P12ihipStream_tbENKUlT_T0_E_clISt17integral_constantIbLb0EESU_EEDaSP_SQ_EUlSP_E_NS1_11comp_targetILNS1_3genE9ELNS1_11target_archE1100ELNS1_3gpuE3ELNS1_3repE0EEENS1_30default_config_static_selectorELNS0_4arch9wavefront6targetE1EEEvT1_ ; -- Begin function _ZN7rocprim17ROCPRIM_400000_NS6detail17trampoline_kernelINS0_14default_configENS1_20scan_config_selectorIiEEZZNS1_9scan_implILNS1_25lookback_scan_determinismE0ELb0ELb0ES3_N6thrust23THRUST_200600_302600_NS6detail15normal_iteratorINS9_10device_ptrIiEEEESE_i11max_functorIiEiEEDaPvRmT3_T4_T5_mT6_P12ihipStream_tbENKUlT_T0_E_clISt17integral_constantIbLb0EESU_EEDaSP_SQ_EUlSP_E_NS1_11comp_targetILNS1_3genE9ELNS1_11target_archE1100ELNS1_3gpuE3ELNS1_3repE0EEENS1_30default_config_static_selectorELNS0_4arch9wavefront6targetE1EEEvT1_
	.globl	_ZN7rocprim17ROCPRIM_400000_NS6detail17trampoline_kernelINS0_14default_configENS1_20scan_config_selectorIiEEZZNS1_9scan_implILNS1_25lookback_scan_determinismE0ELb0ELb0ES3_N6thrust23THRUST_200600_302600_NS6detail15normal_iteratorINS9_10device_ptrIiEEEESE_i11max_functorIiEiEEDaPvRmT3_T4_T5_mT6_P12ihipStream_tbENKUlT_T0_E_clISt17integral_constantIbLb0EESU_EEDaSP_SQ_EUlSP_E_NS1_11comp_targetILNS1_3genE9ELNS1_11target_archE1100ELNS1_3gpuE3ELNS1_3repE0EEENS1_30default_config_static_selectorELNS0_4arch9wavefront6targetE1EEEvT1_
	.p2align	8
	.type	_ZN7rocprim17ROCPRIM_400000_NS6detail17trampoline_kernelINS0_14default_configENS1_20scan_config_selectorIiEEZZNS1_9scan_implILNS1_25lookback_scan_determinismE0ELb0ELb0ES3_N6thrust23THRUST_200600_302600_NS6detail15normal_iteratorINS9_10device_ptrIiEEEESE_i11max_functorIiEiEEDaPvRmT3_T4_T5_mT6_P12ihipStream_tbENKUlT_T0_E_clISt17integral_constantIbLb0EESU_EEDaSP_SQ_EUlSP_E_NS1_11comp_targetILNS1_3genE9ELNS1_11target_archE1100ELNS1_3gpuE3ELNS1_3repE0EEENS1_30default_config_static_selectorELNS0_4arch9wavefront6targetE1EEEvT1_,@function
_ZN7rocprim17ROCPRIM_400000_NS6detail17trampoline_kernelINS0_14default_configENS1_20scan_config_selectorIiEEZZNS1_9scan_implILNS1_25lookback_scan_determinismE0ELb0ELb0ES3_N6thrust23THRUST_200600_302600_NS6detail15normal_iteratorINS9_10device_ptrIiEEEESE_i11max_functorIiEiEEDaPvRmT3_T4_T5_mT6_P12ihipStream_tbENKUlT_T0_E_clISt17integral_constantIbLb0EESU_EEDaSP_SQ_EUlSP_E_NS1_11comp_targetILNS1_3genE9ELNS1_11target_archE1100ELNS1_3gpuE3ELNS1_3repE0EEENS1_30default_config_static_selectorELNS0_4arch9wavefront6targetE1EEEvT1_: ; @_ZN7rocprim17ROCPRIM_400000_NS6detail17trampoline_kernelINS0_14default_configENS1_20scan_config_selectorIiEEZZNS1_9scan_implILNS1_25lookback_scan_determinismE0ELb0ELb0ES3_N6thrust23THRUST_200600_302600_NS6detail15normal_iteratorINS9_10device_ptrIiEEEESE_i11max_functorIiEiEEDaPvRmT3_T4_T5_mT6_P12ihipStream_tbENKUlT_T0_E_clISt17integral_constantIbLb0EESU_EEDaSP_SQ_EUlSP_E_NS1_11comp_targetILNS1_3genE9ELNS1_11target_archE1100ELNS1_3gpuE3ELNS1_3repE0EEENS1_30default_config_static_selectorELNS0_4arch9wavefront6targetE1EEEvT1_
; %bb.0:
	.section	.rodata,"a",@progbits
	.p2align	6, 0x0
	.amdhsa_kernel _ZN7rocprim17ROCPRIM_400000_NS6detail17trampoline_kernelINS0_14default_configENS1_20scan_config_selectorIiEEZZNS1_9scan_implILNS1_25lookback_scan_determinismE0ELb0ELb0ES3_N6thrust23THRUST_200600_302600_NS6detail15normal_iteratorINS9_10device_ptrIiEEEESE_i11max_functorIiEiEEDaPvRmT3_T4_T5_mT6_P12ihipStream_tbENKUlT_T0_E_clISt17integral_constantIbLb0EESU_EEDaSP_SQ_EUlSP_E_NS1_11comp_targetILNS1_3genE9ELNS1_11target_archE1100ELNS1_3gpuE3ELNS1_3repE0EEENS1_30default_config_static_selectorELNS0_4arch9wavefront6targetE1EEEvT1_
		.amdhsa_group_segment_fixed_size 0
		.amdhsa_private_segment_fixed_size 0
		.amdhsa_kernarg_size 96
		.amdhsa_user_sgpr_count 6
		.amdhsa_user_sgpr_private_segment_buffer 1
		.amdhsa_user_sgpr_dispatch_ptr 0
		.amdhsa_user_sgpr_queue_ptr 0
		.amdhsa_user_sgpr_kernarg_segment_ptr 1
		.amdhsa_user_sgpr_dispatch_id 0
		.amdhsa_user_sgpr_flat_scratch_init 0
		.amdhsa_user_sgpr_kernarg_preload_length 0
		.amdhsa_user_sgpr_kernarg_preload_offset 0
		.amdhsa_user_sgpr_private_segment_size 0
		.amdhsa_uses_dynamic_stack 0
		.amdhsa_system_sgpr_private_segment_wavefront_offset 0
		.amdhsa_system_sgpr_workgroup_id_x 1
		.amdhsa_system_sgpr_workgroup_id_y 0
		.amdhsa_system_sgpr_workgroup_id_z 0
		.amdhsa_system_sgpr_workgroup_info 0
		.amdhsa_system_vgpr_workitem_id 0
		.amdhsa_next_free_vgpr 1
		.amdhsa_next_free_sgpr 0
		.amdhsa_accum_offset 4
		.amdhsa_reserve_vcc 0
		.amdhsa_reserve_flat_scratch 0
		.amdhsa_float_round_mode_32 0
		.amdhsa_float_round_mode_16_64 0
		.amdhsa_float_denorm_mode_32 3
		.amdhsa_float_denorm_mode_16_64 3
		.amdhsa_dx10_clamp 1
		.amdhsa_ieee_mode 1
		.amdhsa_fp16_overflow 0
		.amdhsa_tg_split 0
		.amdhsa_exception_fp_ieee_invalid_op 0
		.amdhsa_exception_fp_denorm_src 0
		.amdhsa_exception_fp_ieee_div_zero 0
		.amdhsa_exception_fp_ieee_overflow 0
		.amdhsa_exception_fp_ieee_underflow 0
		.amdhsa_exception_fp_ieee_inexact 0
		.amdhsa_exception_int_div_zero 0
	.end_amdhsa_kernel
	.section	.text._ZN7rocprim17ROCPRIM_400000_NS6detail17trampoline_kernelINS0_14default_configENS1_20scan_config_selectorIiEEZZNS1_9scan_implILNS1_25lookback_scan_determinismE0ELb0ELb0ES3_N6thrust23THRUST_200600_302600_NS6detail15normal_iteratorINS9_10device_ptrIiEEEESE_i11max_functorIiEiEEDaPvRmT3_T4_T5_mT6_P12ihipStream_tbENKUlT_T0_E_clISt17integral_constantIbLb0EESU_EEDaSP_SQ_EUlSP_E_NS1_11comp_targetILNS1_3genE9ELNS1_11target_archE1100ELNS1_3gpuE3ELNS1_3repE0EEENS1_30default_config_static_selectorELNS0_4arch9wavefront6targetE1EEEvT1_,"axG",@progbits,_ZN7rocprim17ROCPRIM_400000_NS6detail17trampoline_kernelINS0_14default_configENS1_20scan_config_selectorIiEEZZNS1_9scan_implILNS1_25lookback_scan_determinismE0ELb0ELb0ES3_N6thrust23THRUST_200600_302600_NS6detail15normal_iteratorINS9_10device_ptrIiEEEESE_i11max_functorIiEiEEDaPvRmT3_T4_T5_mT6_P12ihipStream_tbENKUlT_T0_E_clISt17integral_constantIbLb0EESU_EEDaSP_SQ_EUlSP_E_NS1_11comp_targetILNS1_3genE9ELNS1_11target_archE1100ELNS1_3gpuE3ELNS1_3repE0EEENS1_30default_config_static_selectorELNS0_4arch9wavefront6targetE1EEEvT1_,comdat
.Lfunc_end2709:
	.size	_ZN7rocprim17ROCPRIM_400000_NS6detail17trampoline_kernelINS0_14default_configENS1_20scan_config_selectorIiEEZZNS1_9scan_implILNS1_25lookback_scan_determinismE0ELb0ELb0ES3_N6thrust23THRUST_200600_302600_NS6detail15normal_iteratorINS9_10device_ptrIiEEEESE_i11max_functorIiEiEEDaPvRmT3_T4_T5_mT6_P12ihipStream_tbENKUlT_T0_E_clISt17integral_constantIbLb0EESU_EEDaSP_SQ_EUlSP_E_NS1_11comp_targetILNS1_3genE9ELNS1_11target_archE1100ELNS1_3gpuE3ELNS1_3repE0EEENS1_30default_config_static_selectorELNS0_4arch9wavefront6targetE1EEEvT1_, .Lfunc_end2709-_ZN7rocprim17ROCPRIM_400000_NS6detail17trampoline_kernelINS0_14default_configENS1_20scan_config_selectorIiEEZZNS1_9scan_implILNS1_25lookback_scan_determinismE0ELb0ELb0ES3_N6thrust23THRUST_200600_302600_NS6detail15normal_iteratorINS9_10device_ptrIiEEEESE_i11max_functorIiEiEEDaPvRmT3_T4_T5_mT6_P12ihipStream_tbENKUlT_T0_E_clISt17integral_constantIbLb0EESU_EEDaSP_SQ_EUlSP_E_NS1_11comp_targetILNS1_3genE9ELNS1_11target_archE1100ELNS1_3gpuE3ELNS1_3repE0EEENS1_30default_config_static_selectorELNS0_4arch9wavefront6targetE1EEEvT1_
                                        ; -- End function
	.section	.AMDGPU.csdata,"",@progbits
; Kernel info:
; codeLenInByte = 0
; NumSgprs: 4
; NumVgprs: 0
; NumAgprs: 0
; TotalNumVgprs: 0
; ScratchSize: 0
; MemoryBound: 0
; FloatMode: 240
; IeeeMode: 1
; LDSByteSize: 0 bytes/workgroup (compile time only)
; SGPRBlocks: 0
; VGPRBlocks: 0
; NumSGPRsForWavesPerEU: 4
; NumVGPRsForWavesPerEU: 1
; AccumOffset: 4
; Occupancy: 8
; WaveLimiterHint : 0
; COMPUTE_PGM_RSRC2:SCRATCH_EN: 0
; COMPUTE_PGM_RSRC2:USER_SGPR: 6
; COMPUTE_PGM_RSRC2:TRAP_HANDLER: 0
; COMPUTE_PGM_RSRC2:TGID_X_EN: 1
; COMPUTE_PGM_RSRC2:TGID_Y_EN: 0
; COMPUTE_PGM_RSRC2:TGID_Z_EN: 0
; COMPUTE_PGM_RSRC2:TIDIG_COMP_CNT: 0
; COMPUTE_PGM_RSRC3_GFX90A:ACCUM_OFFSET: 0
; COMPUTE_PGM_RSRC3_GFX90A:TG_SPLIT: 0
	.section	.text._ZN7rocprim17ROCPRIM_400000_NS6detail17trampoline_kernelINS0_14default_configENS1_20scan_config_selectorIiEEZZNS1_9scan_implILNS1_25lookback_scan_determinismE0ELb0ELb0ES3_N6thrust23THRUST_200600_302600_NS6detail15normal_iteratorINS9_10device_ptrIiEEEESE_i11max_functorIiEiEEDaPvRmT3_T4_T5_mT6_P12ihipStream_tbENKUlT_T0_E_clISt17integral_constantIbLb0EESU_EEDaSP_SQ_EUlSP_E_NS1_11comp_targetILNS1_3genE8ELNS1_11target_archE1030ELNS1_3gpuE2ELNS1_3repE0EEENS1_30default_config_static_selectorELNS0_4arch9wavefront6targetE1EEEvT1_,"axG",@progbits,_ZN7rocprim17ROCPRIM_400000_NS6detail17trampoline_kernelINS0_14default_configENS1_20scan_config_selectorIiEEZZNS1_9scan_implILNS1_25lookback_scan_determinismE0ELb0ELb0ES3_N6thrust23THRUST_200600_302600_NS6detail15normal_iteratorINS9_10device_ptrIiEEEESE_i11max_functorIiEiEEDaPvRmT3_T4_T5_mT6_P12ihipStream_tbENKUlT_T0_E_clISt17integral_constantIbLb0EESU_EEDaSP_SQ_EUlSP_E_NS1_11comp_targetILNS1_3genE8ELNS1_11target_archE1030ELNS1_3gpuE2ELNS1_3repE0EEENS1_30default_config_static_selectorELNS0_4arch9wavefront6targetE1EEEvT1_,comdat
	.protected	_ZN7rocprim17ROCPRIM_400000_NS6detail17trampoline_kernelINS0_14default_configENS1_20scan_config_selectorIiEEZZNS1_9scan_implILNS1_25lookback_scan_determinismE0ELb0ELb0ES3_N6thrust23THRUST_200600_302600_NS6detail15normal_iteratorINS9_10device_ptrIiEEEESE_i11max_functorIiEiEEDaPvRmT3_T4_T5_mT6_P12ihipStream_tbENKUlT_T0_E_clISt17integral_constantIbLb0EESU_EEDaSP_SQ_EUlSP_E_NS1_11comp_targetILNS1_3genE8ELNS1_11target_archE1030ELNS1_3gpuE2ELNS1_3repE0EEENS1_30default_config_static_selectorELNS0_4arch9wavefront6targetE1EEEvT1_ ; -- Begin function _ZN7rocprim17ROCPRIM_400000_NS6detail17trampoline_kernelINS0_14default_configENS1_20scan_config_selectorIiEEZZNS1_9scan_implILNS1_25lookback_scan_determinismE0ELb0ELb0ES3_N6thrust23THRUST_200600_302600_NS6detail15normal_iteratorINS9_10device_ptrIiEEEESE_i11max_functorIiEiEEDaPvRmT3_T4_T5_mT6_P12ihipStream_tbENKUlT_T0_E_clISt17integral_constantIbLb0EESU_EEDaSP_SQ_EUlSP_E_NS1_11comp_targetILNS1_3genE8ELNS1_11target_archE1030ELNS1_3gpuE2ELNS1_3repE0EEENS1_30default_config_static_selectorELNS0_4arch9wavefront6targetE1EEEvT1_
	.globl	_ZN7rocprim17ROCPRIM_400000_NS6detail17trampoline_kernelINS0_14default_configENS1_20scan_config_selectorIiEEZZNS1_9scan_implILNS1_25lookback_scan_determinismE0ELb0ELb0ES3_N6thrust23THRUST_200600_302600_NS6detail15normal_iteratorINS9_10device_ptrIiEEEESE_i11max_functorIiEiEEDaPvRmT3_T4_T5_mT6_P12ihipStream_tbENKUlT_T0_E_clISt17integral_constantIbLb0EESU_EEDaSP_SQ_EUlSP_E_NS1_11comp_targetILNS1_3genE8ELNS1_11target_archE1030ELNS1_3gpuE2ELNS1_3repE0EEENS1_30default_config_static_selectorELNS0_4arch9wavefront6targetE1EEEvT1_
	.p2align	8
	.type	_ZN7rocprim17ROCPRIM_400000_NS6detail17trampoline_kernelINS0_14default_configENS1_20scan_config_selectorIiEEZZNS1_9scan_implILNS1_25lookback_scan_determinismE0ELb0ELb0ES3_N6thrust23THRUST_200600_302600_NS6detail15normal_iteratorINS9_10device_ptrIiEEEESE_i11max_functorIiEiEEDaPvRmT3_T4_T5_mT6_P12ihipStream_tbENKUlT_T0_E_clISt17integral_constantIbLb0EESU_EEDaSP_SQ_EUlSP_E_NS1_11comp_targetILNS1_3genE8ELNS1_11target_archE1030ELNS1_3gpuE2ELNS1_3repE0EEENS1_30default_config_static_selectorELNS0_4arch9wavefront6targetE1EEEvT1_,@function
_ZN7rocprim17ROCPRIM_400000_NS6detail17trampoline_kernelINS0_14default_configENS1_20scan_config_selectorIiEEZZNS1_9scan_implILNS1_25lookback_scan_determinismE0ELb0ELb0ES3_N6thrust23THRUST_200600_302600_NS6detail15normal_iteratorINS9_10device_ptrIiEEEESE_i11max_functorIiEiEEDaPvRmT3_T4_T5_mT6_P12ihipStream_tbENKUlT_T0_E_clISt17integral_constantIbLb0EESU_EEDaSP_SQ_EUlSP_E_NS1_11comp_targetILNS1_3genE8ELNS1_11target_archE1030ELNS1_3gpuE2ELNS1_3repE0EEENS1_30default_config_static_selectorELNS0_4arch9wavefront6targetE1EEEvT1_: ; @_ZN7rocprim17ROCPRIM_400000_NS6detail17trampoline_kernelINS0_14default_configENS1_20scan_config_selectorIiEEZZNS1_9scan_implILNS1_25lookback_scan_determinismE0ELb0ELb0ES3_N6thrust23THRUST_200600_302600_NS6detail15normal_iteratorINS9_10device_ptrIiEEEESE_i11max_functorIiEiEEDaPvRmT3_T4_T5_mT6_P12ihipStream_tbENKUlT_T0_E_clISt17integral_constantIbLb0EESU_EEDaSP_SQ_EUlSP_E_NS1_11comp_targetILNS1_3genE8ELNS1_11target_archE1030ELNS1_3gpuE2ELNS1_3repE0EEENS1_30default_config_static_selectorELNS0_4arch9wavefront6targetE1EEEvT1_
; %bb.0:
	.section	.rodata,"a",@progbits
	.p2align	6, 0x0
	.amdhsa_kernel _ZN7rocprim17ROCPRIM_400000_NS6detail17trampoline_kernelINS0_14default_configENS1_20scan_config_selectorIiEEZZNS1_9scan_implILNS1_25lookback_scan_determinismE0ELb0ELb0ES3_N6thrust23THRUST_200600_302600_NS6detail15normal_iteratorINS9_10device_ptrIiEEEESE_i11max_functorIiEiEEDaPvRmT3_T4_T5_mT6_P12ihipStream_tbENKUlT_T0_E_clISt17integral_constantIbLb0EESU_EEDaSP_SQ_EUlSP_E_NS1_11comp_targetILNS1_3genE8ELNS1_11target_archE1030ELNS1_3gpuE2ELNS1_3repE0EEENS1_30default_config_static_selectorELNS0_4arch9wavefront6targetE1EEEvT1_
		.amdhsa_group_segment_fixed_size 0
		.amdhsa_private_segment_fixed_size 0
		.amdhsa_kernarg_size 96
		.amdhsa_user_sgpr_count 6
		.amdhsa_user_sgpr_private_segment_buffer 1
		.amdhsa_user_sgpr_dispatch_ptr 0
		.amdhsa_user_sgpr_queue_ptr 0
		.amdhsa_user_sgpr_kernarg_segment_ptr 1
		.amdhsa_user_sgpr_dispatch_id 0
		.amdhsa_user_sgpr_flat_scratch_init 0
		.amdhsa_user_sgpr_kernarg_preload_length 0
		.amdhsa_user_sgpr_kernarg_preload_offset 0
		.amdhsa_user_sgpr_private_segment_size 0
		.amdhsa_uses_dynamic_stack 0
		.amdhsa_system_sgpr_private_segment_wavefront_offset 0
		.amdhsa_system_sgpr_workgroup_id_x 1
		.amdhsa_system_sgpr_workgroup_id_y 0
		.amdhsa_system_sgpr_workgroup_id_z 0
		.amdhsa_system_sgpr_workgroup_info 0
		.amdhsa_system_vgpr_workitem_id 0
		.amdhsa_next_free_vgpr 1
		.amdhsa_next_free_sgpr 0
		.amdhsa_accum_offset 4
		.amdhsa_reserve_vcc 0
		.amdhsa_reserve_flat_scratch 0
		.amdhsa_float_round_mode_32 0
		.amdhsa_float_round_mode_16_64 0
		.amdhsa_float_denorm_mode_32 3
		.amdhsa_float_denorm_mode_16_64 3
		.amdhsa_dx10_clamp 1
		.amdhsa_ieee_mode 1
		.amdhsa_fp16_overflow 0
		.amdhsa_tg_split 0
		.amdhsa_exception_fp_ieee_invalid_op 0
		.amdhsa_exception_fp_denorm_src 0
		.amdhsa_exception_fp_ieee_div_zero 0
		.amdhsa_exception_fp_ieee_overflow 0
		.amdhsa_exception_fp_ieee_underflow 0
		.amdhsa_exception_fp_ieee_inexact 0
		.amdhsa_exception_int_div_zero 0
	.end_amdhsa_kernel
	.section	.text._ZN7rocprim17ROCPRIM_400000_NS6detail17trampoline_kernelINS0_14default_configENS1_20scan_config_selectorIiEEZZNS1_9scan_implILNS1_25lookback_scan_determinismE0ELb0ELb0ES3_N6thrust23THRUST_200600_302600_NS6detail15normal_iteratorINS9_10device_ptrIiEEEESE_i11max_functorIiEiEEDaPvRmT3_T4_T5_mT6_P12ihipStream_tbENKUlT_T0_E_clISt17integral_constantIbLb0EESU_EEDaSP_SQ_EUlSP_E_NS1_11comp_targetILNS1_3genE8ELNS1_11target_archE1030ELNS1_3gpuE2ELNS1_3repE0EEENS1_30default_config_static_selectorELNS0_4arch9wavefront6targetE1EEEvT1_,"axG",@progbits,_ZN7rocprim17ROCPRIM_400000_NS6detail17trampoline_kernelINS0_14default_configENS1_20scan_config_selectorIiEEZZNS1_9scan_implILNS1_25lookback_scan_determinismE0ELb0ELb0ES3_N6thrust23THRUST_200600_302600_NS6detail15normal_iteratorINS9_10device_ptrIiEEEESE_i11max_functorIiEiEEDaPvRmT3_T4_T5_mT6_P12ihipStream_tbENKUlT_T0_E_clISt17integral_constantIbLb0EESU_EEDaSP_SQ_EUlSP_E_NS1_11comp_targetILNS1_3genE8ELNS1_11target_archE1030ELNS1_3gpuE2ELNS1_3repE0EEENS1_30default_config_static_selectorELNS0_4arch9wavefront6targetE1EEEvT1_,comdat
.Lfunc_end2710:
	.size	_ZN7rocprim17ROCPRIM_400000_NS6detail17trampoline_kernelINS0_14default_configENS1_20scan_config_selectorIiEEZZNS1_9scan_implILNS1_25lookback_scan_determinismE0ELb0ELb0ES3_N6thrust23THRUST_200600_302600_NS6detail15normal_iteratorINS9_10device_ptrIiEEEESE_i11max_functorIiEiEEDaPvRmT3_T4_T5_mT6_P12ihipStream_tbENKUlT_T0_E_clISt17integral_constantIbLb0EESU_EEDaSP_SQ_EUlSP_E_NS1_11comp_targetILNS1_3genE8ELNS1_11target_archE1030ELNS1_3gpuE2ELNS1_3repE0EEENS1_30default_config_static_selectorELNS0_4arch9wavefront6targetE1EEEvT1_, .Lfunc_end2710-_ZN7rocprim17ROCPRIM_400000_NS6detail17trampoline_kernelINS0_14default_configENS1_20scan_config_selectorIiEEZZNS1_9scan_implILNS1_25lookback_scan_determinismE0ELb0ELb0ES3_N6thrust23THRUST_200600_302600_NS6detail15normal_iteratorINS9_10device_ptrIiEEEESE_i11max_functorIiEiEEDaPvRmT3_T4_T5_mT6_P12ihipStream_tbENKUlT_T0_E_clISt17integral_constantIbLb0EESU_EEDaSP_SQ_EUlSP_E_NS1_11comp_targetILNS1_3genE8ELNS1_11target_archE1030ELNS1_3gpuE2ELNS1_3repE0EEENS1_30default_config_static_selectorELNS0_4arch9wavefront6targetE1EEEvT1_
                                        ; -- End function
	.section	.AMDGPU.csdata,"",@progbits
; Kernel info:
; codeLenInByte = 0
; NumSgprs: 4
; NumVgprs: 0
; NumAgprs: 0
; TotalNumVgprs: 0
; ScratchSize: 0
; MemoryBound: 0
; FloatMode: 240
; IeeeMode: 1
; LDSByteSize: 0 bytes/workgroup (compile time only)
; SGPRBlocks: 0
; VGPRBlocks: 0
; NumSGPRsForWavesPerEU: 4
; NumVGPRsForWavesPerEU: 1
; AccumOffset: 4
; Occupancy: 8
; WaveLimiterHint : 0
; COMPUTE_PGM_RSRC2:SCRATCH_EN: 0
; COMPUTE_PGM_RSRC2:USER_SGPR: 6
; COMPUTE_PGM_RSRC2:TRAP_HANDLER: 0
; COMPUTE_PGM_RSRC2:TGID_X_EN: 1
; COMPUTE_PGM_RSRC2:TGID_Y_EN: 0
; COMPUTE_PGM_RSRC2:TGID_Z_EN: 0
; COMPUTE_PGM_RSRC2:TIDIG_COMP_CNT: 0
; COMPUTE_PGM_RSRC3_GFX90A:ACCUM_OFFSET: 0
; COMPUTE_PGM_RSRC3_GFX90A:TG_SPLIT: 0
	.section	.text._ZN7rocprim17ROCPRIM_400000_NS6detail17trampoline_kernelINS0_14default_configENS1_20scan_config_selectorIiEEZZNS1_9scan_implILNS1_25lookback_scan_determinismE0ELb0ELb0ES3_N6thrust23THRUST_200600_302600_NS6detail15normal_iteratorINS9_10device_ptrIiEEEESE_i11max_functorIiEiEEDaPvRmT3_T4_T5_mT6_P12ihipStream_tbENKUlT_T0_E_clISt17integral_constantIbLb0EESU_EEDaSP_SQ_EUlSP_E0_NS1_11comp_targetILNS1_3genE0ELNS1_11target_archE4294967295ELNS1_3gpuE0ELNS1_3repE0EEENS1_30default_config_static_selectorELNS0_4arch9wavefront6targetE1EEEvT1_,"axG",@progbits,_ZN7rocprim17ROCPRIM_400000_NS6detail17trampoline_kernelINS0_14default_configENS1_20scan_config_selectorIiEEZZNS1_9scan_implILNS1_25lookback_scan_determinismE0ELb0ELb0ES3_N6thrust23THRUST_200600_302600_NS6detail15normal_iteratorINS9_10device_ptrIiEEEESE_i11max_functorIiEiEEDaPvRmT3_T4_T5_mT6_P12ihipStream_tbENKUlT_T0_E_clISt17integral_constantIbLb0EESU_EEDaSP_SQ_EUlSP_E0_NS1_11comp_targetILNS1_3genE0ELNS1_11target_archE4294967295ELNS1_3gpuE0ELNS1_3repE0EEENS1_30default_config_static_selectorELNS0_4arch9wavefront6targetE1EEEvT1_,comdat
	.protected	_ZN7rocprim17ROCPRIM_400000_NS6detail17trampoline_kernelINS0_14default_configENS1_20scan_config_selectorIiEEZZNS1_9scan_implILNS1_25lookback_scan_determinismE0ELb0ELb0ES3_N6thrust23THRUST_200600_302600_NS6detail15normal_iteratorINS9_10device_ptrIiEEEESE_i11max_functorIiEiEEDaPvRmT3_T4_T5_mT6_P12ihipStream_tbENKUlT_T0_E_clISt17integral_constantIbLb0EESU_EEDaSP_SQ_EUlSP_E0_NS1_11comp_targetILNS1_3genE0ELNS1_11target_archE4294967295ELNS1_3gpuE0ELNS1_3repE0EEENS1_30default_config_static_selectorELNS0_4arch9wavefront6targetE1EEEvT1_ ; -- Begin function _ZN7rocprim17ROCPRIM_400000_NS6detail17trampoline_kernelINS0_14default_configENS1_20scan_config_selectorIiEEZZNS1_9scan_implILNS1_25lookback_scan_determinismE0ELb0ELb0ES3_N6thrust23THRUST_200600_302600_NS6detail15normal_iteratorINS9_10device_ptrIiEEEESE_i11max_functorIiEiEEDaPvRmT3_T4_T5_mT6_P12ihipStream_tbENKUlT_T0_E_clISt17integral_constantIbLb0EESU_EEDaSP_SQ_EUlSP_E0_NS1_11comp_targetILNS1_3genE0ELNS1_11target_archE4294967295ELNS1_3gpuE0ELNS1_3repE0EEENS1_30default_config_static_selectorELNS0_4arch9wavefront6targetE1EEEvT1_
	.globl	_ZN7rocprim17ROCPRIM_400000_NS6detail17trampoline_kernelINS0_14default_configENS1_20scan_config_selectorIiEEZZNS1_9scan_implILNS1_25lookback_scan_determinismE0ELb0ELb0ES3_N6thrust23THRUST_200600_302600_NS6detail15normal_iteratorINS9_10device_ptrIiEEEESE_i11max_functorIiEiEEDaPvRmT3_T4_T5_mT6_P12ihipStream_tbENKUlT_T0_E_clISt17integral_constantIbLb0EESU_EEDaSP_SQ_EUlSP_E0_NS1_11comp_targetILNS1_3genE0ELNS1_11target_archE4294967295ELNS1_3gpuE0ELNS1_3repE0EEENS1_30default_config_static_selectorELNS0_4arch9wavefront6targetE1EEEvT1_
	.p2align	8
	.type	_ZN7rocprim17ROCPRIM_400000_NS6detail17trampoline_kernelINS0_14default_configENS1_20scan_config_selectorIiEEZZNS1_9scan_implILNS1_25lookback_scan_determinismE0ELb0ELb0ES3_N6thrust23THRUST_200600_302600_NS6detail15normal_iteratorINS9_10device_ptrIiEEEESE_i11max_functorIiEiEEDaPvRmT3_T4_T5_mT6_P12ihipStream_tbENKUlT_T0_E_clISt17integral_constantIbLb0EESU_EEDaSP_SQ_EUlSP_E0_NS1_11comp_targetILNS1_3genE0ELNS1_11target_archE4294967295ELNS1_3gpuE0ELNS1_3repE0EEENS1_30default_config_static_selectorELNS0_4arch9wavefront6targetE1EEEvT1_,@function
_ZN7rocprim17ROCPRIM_400000_NS6detail17trampoline_kernelINS0_14default_configENS1_20scan_config_selectorIiEEZZNS1_9scan_implILNS1_25lookback_scan_determinismE0ELb0ELb0ES3_N6thrust23THRUST_200600_302600_NS6detail15normal_iteratorINS9_10device_ptrIiEEEESE_i11max_functorIiEiEEDaPvRmT3_T4_T5_mT6_P12ihipStream_tbENKUlT_T0_E_clISt17integral_constantIbLb0EESU_EEDaSP_SQ_EUlSP_E0_NS1_11comp_targetILNS1_3genE0ELNS1_11target_archE4294967295ELNS1_3gpuE0ELNS1_3repE0EEENS1_30default_config_static_selectorELNS0_4arch9wavefront6targetE1EEEvT1_: ; @_ZN7rocprim17ROCPRIM_400000_NS6detail17trampoline_kernelINS0_14default_configENS1_20scan_config_selectorIiEEZZNS1_9scan_implILNS1_25lookback_scan_determinismE0ELb0ELb0ES3_N6thrust23THRUST_200600_302600_NS6detail15normal_iteratorINS9_10device_ptrIiEEEESE_i11max_functorIiEiEEDaPvRmT3_T4_T5_mT6_P12ihipStream_tbENKUlT_T0_E_clISt17integral_constantIbLb0EESU_EEDaSP_SQ_EUlSP_E0_NS1_11comp_targetILNS1_3genE0ELNS1_11target_archE4294967295ELNS1_3gpuE0ELNS1_3repE0EEENS1_30default_config_static_selectorELNS0_4arch9wavefront6targetE1EEEvT1_
; %bb.0:
	.section	.rodata,"a",@progbits
	.p2align	6, 0x0
	.amdhsa_kernel _ZN7rocprim17ROCPRIM_400000_NS6detail17trampoline_kernelINS0_14default_configENS1_20scan_config_selectorIiEEZZNS1_9scan_implILNS1_25lookback_scan_determinismE0ELb0ELb0ES3_N6thrust23THRUST_200600_302600_NS6detail15normal_iteratorINS9_10device_ptrIiEEEESE_i11max_functorIiEiEEDaPvRmT3_T4_T5_mT6_P12ihipStream_tbENKUlT_T0_E_clISt17integral_constantIbLb0EESU_EEDaSP_SQ_EUlSP_E0_NS1_11comp_targetILNS1_3genE0ELNS1_11target_archE4294967295ELNS1_3gpuE0ELNS1_3repE0EEENS1_30default_config_static_selectorELNS0_4arch9wavefront6targetE1EEEvT1_
		.amdhsa_group_segment_fixed_size 0
		.amdhsa_private_segment_fixed_size 0
		.amdhsa_kernarg_size 32
		.amdhsa_user_sgpr_count 6
		.amdhsa_user_sgpr_private_segment_buffer 1
		.amdhsa_user_sgpr_dispatch_ptr 0
		.amdhsa_user_sgpr_queue_ptr 0
		.amdhsa_user_sgpr_kernarg_segment_ptr 1
		.amdhsa_user_sgpr_dispatch_id 0
		.amdhsa_user_sgpr_flat_scratch_init 0
		.amdhsa_user_sgpr_kernarg_preload_length 0
		.amdhsa_user_sgpr_kernarg_preload_offset 0
		.amdhsa_user_sgpr_private_segment_size 0
		.amdhsa_uses_dynamic_stack 0
		.amdhsa_system_sgpr_private_segment_wavefront_offset 0
		.amdhsa_system_sgpr_workgroup_id_x 1
		.amdhsa_system_sgpr_workgroup_id_y 0
		.amdhsa_system_sgpr_workgroup_id_z 0
		.amdhsa_system_sgpr_workgroup_info 0
		.amdhsa_system_vgpr_workitem_id 0
		.amdhsa_next_free_vgpr 1
		.amdhsa_next_free_sgpr 0
		.amdhsa_accum_offset 4
		.amdhsa_reserve_vcc 0
		.amdhsa_reserve_flat_scratch 0
		.amdhsa_float_round_mode_32 0
		.amdhsa_float_round_mode_16_64 0
		.amdhsa_float_denorm_mode_32 3
		.amdhsa_float_denorm_mode_16_64 3
		.amdhsa_dx10_clamp 1
		.amdhsa_ieee_mode 1
		.amdhsa_fp16_overflow 0
		.amdhsa_tg_split 0
		.amdhsa_exception_fp_ieee_invalid_op 0
		.amdhsa_exception_fp_denorm_src 0
		.amdhsa_exception_fp_ieee_div_zero 0
		.amdhsa_exception_fp_ieee_overflow 0
		.amdhsa_exception_fp_ieee_underflow 0
		.amdhsa_exception_fp_ieee_inexact 0
		.amdhsa_exception_int_div_zero 0
	.end_amdhsa_kernel
	.section	.text._ZN7rocprim17ROCPRIM_400000_NS6detail17trampoline_kernelINS0_14default_configENS1_20scan_config_selectorIiEEZZNS1_9scan_implILNS1_25lookback_scan_determinismE0ELb0ELb0ES3_N6thrust23THRUST_200600_302600_NS6detail15normal_iteratorINS9_10device_ptrIiEEEESE_i11max_functorIiEiEEDaPvRmT3_T4_T5_mT6_P12ihipStream_tbENKUlT_T0_E_clISt17integral_constantIbLb0EESU_EEDaSP_SQ_EUlSP_E0_NS1_11comp_targetILNS1_3genE0ELNS1_11target_archE4294967295ELNS1_3gpuE0ELNS1_3repE0EEENS1_30default_config_static_selectorELNS0_4arch9wavefront6targetE1EEEvT1_,"axG",@progbits,_ZN7rocprim17ROCPRIM_400000_NS6detail17trampoline_kernelINS0_14default_configENS1_20scan_config_selectorIiEEZZNS1_9scan_implILNS1_25lookback_scan_determinismE0ELb0ELb0ES3_N6thrust23THRUST_200600_302600_NS6detail15normal_iteratorINS9_10device_ptrIiEEEESE_i11max_functorIiEiEEDaPvRmT3_T4_T5_mT6_P12ihipStream_tbENKUlT_T0_E_clISt17integral_constantIbLb0EESU_EEDaSP_SQ_EUlSP_E0_NS1_11comp_targetILNS1_3genE0ELNS1_11target_archE4294967295ELNS1_3gpuE0ELNS1_3repE0EEENS1_30default_config_static_selectorELNS0_4arch9wavefront6targetE1EEEvT1_,comdat
.Lfunc_end2711:
	.size	_ZN7rocprim17ROCPRIM_400000_NS6detail17trampoline_kernelINS0_14default_configENS1_20scan_config_selectorIiEEZZNS1_9scan_implILNS1_25lookback_scan_determinismE0ELb0ELb0ES3_N6thrust23THRUST_200600_302600_NS6detail15normal_iteratorINS9_10device_ptrIiEEEESE_i11max_functorIiEiEEDaPvRmT3_T4_T5_mT6_P12ihipStream_tbENKUlT_T0_E_clISt17integral_constantIbLb0EESU_EEDaSP_SQ_EUlSP_E0_NS1_11comp_targetILNS1_3genE0ELNS1_11target_archE4294967295ELNS1_3gpuE0ELNS1_3repE0EEENS1_30default_config_static_selectorELNS0_4arch9wavefront6targetE1EEEvT1_, .Lfunc_end2711-_ZN7rocprim17ROCPRIM_400000_NS6detail17trampoline_kernelINS0_14default_configENS1_20scan_config_selectorIiEEZZNS1_9scan_implILNS1_25lookback_scan_determinismE0ELb0ELb0ES3_N6thrust23THRUST_200600_302600_NS6detail15normal_iteratorINS9_10device_ptrIiEEEESE_i11max_functorIiEiEEDaPvRmT3_T4_T5_mT6_P12ihipStream_tbENKUlT_T0_E_clISt17integral_constantIbLb0EESU_EEDaSP_SQ_EUlSP_E0_NS1_11comp_targetILNS1_3genE0ELNS1_11target_archE4294967295ELNS1_3gpuE0ELNS1_3repE0EEENS1_30default_config_static_selectorELNS0_4arch9wavefront6targetE1EEEvT1_
                                        ; -- End function
	.section	.AMDGPU.csdata,"",@progbits
; Kernel info:
; codeLenInByte = 0
; NumSgprs: 4
; NumVgprs: 0
; NumAgprs: 0
; TotalNumVgprs: 0
; ScratchSize: 0
; MemoryBound: 0
; FloatMode: 240
; IeeeMode: 1
; LDSByteSize: 0 bytes/workgroup (compile time only)
; SGPRBlocks: 0
; VGPRBlocks: 0
; NumSGPRsForWavesPerEU: 4
; NumVGPRsForWavesPerEU: 1
; AccumOffset: 4
; Occupancy: 8
; WaveLimiterHint : 0
; COMPUTE_PGM_RSRC2:SCRATCH_EN: 0
; COMPUTE_PGM_RSRC2:USER_SGPR: 6
; COMPUTE_PGM_RSRC2:TRAP_HANDLER: 0
; COMPUTE_PGM_RSRC2:TGID_X_EN: 1
; COMPUTE_PGM_RSRC2:TGID_Y_EN: 0
; COMPUTE_PGM_RSRC2:TGID_Z_EN: 0
; COMPUTE_PGM_RSRC2:TIDIG_COMP_CNT: 0
; COMPUTE_PGM_RSRC3_GFX90A:ACCUM_OFFSET: 0
; COMPUTE_PGM_RSRC3_GFX90A:TG_SPLIT: 0
	.section	.text._ZN7rocprim17ROCPRIM_400000_NS6detail17trampoline_kernelINS0_14default_configENS1_20scan_config_selectorIiEEZZNS1_9scan_implILNS1_25lookback_scan_determinismE0ELb0ELb0ES3_N6thrust23THRUST_200600_302600_NS6detail15normal_iteratorINS9_10device_ptrIiEEEESE_i11max_functorIiEiEEDaPvRmT3_T4_T5_mT6_P12ihipStream_tbENKUlT_T0_E_clISt17integral_constantIbLb0EESU_EEDaSP_SQ_EUlSP_E0_NS1_11comp_targetILNS1_3genE5ELNS1_11target_archE942ELNS1_3gpuE9ELNS1_3repE0EEENS1_30default_config_static_selectorELNS0_4arch9wavefront6targetE1EEEvT1_,"axG",@progbits,_ZN7rocprim17ROCPRIM_400000_NS6detail17trampoline_kernelINS0_14default_configENS1_20scan_config_selectorIiEEZZNS1_9scan_implILNS1_25lookback_scan_determinismE0ELb0ELb0ES3_N6thrust23THRUST_200600_302600_NS6detail15normal_iteratorINS9_10device_ptrIiEEEESE_i11max_functorIiEiEEDaPvRmT3_T4_T5_mT6_P12ihipStream_tbENKUlT_T0_E_clISt17integral_constantIbLb0EESU_EEDaSP_SQ_EUlSP_E0_NS1_11comp_targetILNS1_3genE5ELNS1_11target_archE942ELNS1_3gpuE9ELNS1_3repE0EEENS1_30default_config_static_selectorELNS0_4arch9wavefront6targetE1EEEvT1_,comdat
	.protected	_ZN7rocprim17ROCPRIM_400000_NS6detail17trampoline_kernelINS0_14default_configENS1_20scan_config_selectorIiEEZZNS1_9scan_implILNS1_25lookback_scan_determinismE0ELb0ELb0ES3_N6thrust23THRUST_200600_302600_NS6detail15normal_iteratorINS9_10device_ptrIiEEEESE_i11max_functorIiEiEEDaPvRmT3_T4_T5_mT6_P12ihipStream_tbENKUlT_T0_E_clISt17integral_constantIbLb0EESU_EEDaSP_SQ_EUlSP_E0_NS1_11comp_targetILNS1_3genE5ELNS1_11target_archE942ELNS1_3gpuE9ELNS1_3repE0EEENS1_30default_config_static_selectorELNS0_4arch9wavefront6targetE1EEEvT1_ ; -- Begin function _ZN7rocprim17ROCPRIM_400000_NS6detail17trampoline_kernelINS0_14default_configENS1_20scan_config_selectorIiEEZZNS1_9scan_implILNS1_25lookback_scan_determinismE0ELb0ELb0ES3_N6thrust23THRUST_200600_302600_NS6detail15normal_iteratorINS9_10device_ptrIiEEEESE_i11max_functorIiEiEEDaPvRmT3_T4_T5_mT6_P12ihipStream_tbENKUlT_T0_E_clISt17integral_constantIbLb0EESU_EEDaSP_SQ_EUlSP_E0_NS1_11comp_targetILNS1_3genE5ELNS1_11target_archE942ELNS1_3gpuE9ELNS1_3repE0EEENS1_30default_config_static_selectorELNS0_4arch9wavefront6targetE1EEEvT1_
	.globl	_ZN7rocprim17ROCPRIM_400000_NS6detail17trampoline_kernelINS0_14default_configENS1_20scan_config_selectorIiEEZZNS1_9scan_implILNS1_25lookback_scan_determinismE0ELb0ELb0ES3_N6thrust23THRUST_200600_302600_NS6detail15normal_iteratorINS9_10device_ptrIiEEEESE_i11max_functorIiEiEEDaPvRmT3_T4_T5_mT6_P12ihipStream_tbENKUlT_T0_E_clISt17integral_constantIbLb0EESU_EEDaSP_SQ_EUlSP_E0_NS1_11comp_targetILNS1_3genE5ELNS1_11target_archE942ELNS1_3gpuE9ELNS1_3repE0EEENS1_30default_config_static_selectorELNS0_4arch9wavefront6targetE1EEEvT1_
	.p2align	8
	.type	_ZN7rocprim17ROCPRIM_400000_NS6detail17trampoline_kernelINS0_14default_configENS1_20scan_config_selectorIiEEZZNS1_9scan_implILNS1_25lookback_scan_determinismE0ELb0ELb0ES3_N6thrust23THRUST_200600_302600_NS6detail15normal_iteratorINS9_10device_ptrIiEEEESE_i11max_functorIiEiEEDaPvRmT3_T4_T5_mT6_P12ihipStream_tbENKUlT_T0_E_clISt17integral_constantIbLb0EESU_EEDaSP_SQ_EUlSP_E0_NS1_11comp_targetILNS1_3genE5ELNS1_11target_archE942ELNS1_3gpuE9ELNS1_3repE0EEENS1_30default_config_static_selectorELNS0_4arch9wavefront6targetE1EEEvT1_,@function
_ZN7rocprim17ROCPRIM_400000_NS6detail17trampoline_kernelINS0_14default_configENS1_20scan_config_selectorIiEEZZNS1_9scan_implILNS1_25lookback_scan_determinismE0ELb0ELb0ES3_N6thrust23THRUST_200600_302600_NS6detail15normal_iteratorINS9_10device_ptrIiEEEESE_i11max_functorIiEiEEDaPvRmT3_T4_T5_mT6_P12ihipStream_tbENKUlT_T0_E_clISt17integral_constantIbLb0EESU_EEDaSP_SQ_EUlSP_E0_NS1_11comp_targetILNS1_3genE5ELNS1_11target_archE942ELNS1_3gpuE9ELNS1_3repE0EEENS1_30default_config_static_selectorELNS0_4arch9wavefront6targetE1EEEvT1_: ; @_ZN7rocprim17ROCPRIM_400000_NS6detail17trampoline_kernelINS0_14default_configENS1_20scan_config_selectorIiEEZZNS1_9scan_implILNS1_25lookback_scan_determinismE0ELb0ELb0ES3_N6thrust23THRUST_200600_302600_NS6detail15normal_iteratorINS9_10device_ptrIiEEEESE_i11max_functorIiEiEEDaPvRmT3_T4_T5_mT6_P12ihipStream_tbENKUlT_T0_E_clISt17integral_constantIbLb0EESU_EEDaSP_SQ_EUlSP_E0_NS1_11comp_targetILNS1_3genE5ELNS1_11target_archE942ELNS1_3gpuE9ELNS1_3repE0EEENS1_30default_config_static_selectorELNS0_4arch9wavefront6targetE1EEEvT1_
; %bb.0:
	.section	.rodata,"a",@progbits
	.p2align	6, 0x0
	.amdhsa_kernel _ZN7rocprim17ROCPRIM_400000_NS6detail17trampoline_kernelINS0_14default_configENS1_20scan_config_selectorIiEEZZNS1_9scan_implILNS1_25lookback_scan_determinismE0ELb0ELb0ES3_N6thrust23THRUST_200600_302600_NS6detail15normal_iteratorINS9_10device_ptrIiEEEESE_i11max_functorIiEiEEDaPvRmT3_T4_T5_mT6_P12ihipStream_tbENKUlT_T0_E_clISt17integral_constantIbLb0EESU_EEDaSP_SQ_EUlSP_E0_NS1_11comp_targetILNS1_3genE5ELNS1_11target_archE942ELNS1_3gpuE9ELNS1_3repE0EEENS1_30default_config_static_selectorELNS0_4arch9wavefront6targetE1EEEvT1_
		.amdhsa_group_segment_fixed_size 0
		.amdhsa_private_segment_fixed_size 0
		.amdhsa_kernarg_size 32
		.amdhsa_user_sgpr_count 6
		.amdhsa_user_sgpr_private_segment_buffer 1
		.amdhsa_user_sgpr_dispatch_ptr 0
		.amdhsa_user_sgpr_queue_ptr 0
		.amdhsa_user_sgpr_kernarg_segment_ptr 1
		.amdhsa_user_sgpr_dispatch_id 0
		.amdhsa_user_sgpr_flat_scratch_init 0
		.amdhsa_user_sgpr_kernarg_preload_length 0
		.amdhsa_user_sgpr_kernarg_preload_offset 0
		.amdhsa_user_sgpr_private_segment_size 0
		.amdhsa_uses_dynamic_stack 0
		.amdhsa_system_sgpr_private_segment_wavefront_offset 0
		.amdhsa_system_sgpr_workgroup_id_x 1
		.amdhsa_system_sgpr_workgroup_id_y 0
		.amdhsa_system_sgpr_workgroup_id_z 0
		.amdhsa_system_sgpr_workgroup_info 0
		.amdhsa_system_vgpr_workitem_id 0
		.amdhsa_next_free_vgpr 1
		.amdhsa_next_free_sgpr 0
		.amdhsa_accum_offset 4
		.amdhsa_reserve_vcc 0
		.amdhsa_reserve_flat_scratch 0
		.amdhsa_float_round_mode_32 0
		.amdhsa_float_round_mode_16_64 0
		.amdhsa_float_denorm_mode_32 3
		.amdhsa_float_denorm_mode_16_64 3
		.amdhsa_dx10_clamp 1
		.amdhsa_ieee_mode 1
		.amdhsa_fp16_overflow 0
		.amdhsa_tg_split 0
		.amdhsa_exception_fp_ieee_invalid_op 0
		.amdhsa_exception_fp_denorm_src 0
		.amdhsa_exception_fp_ieee_div_zero 0
		.amdhsa_exception_fp_ieee_overflow 0
		.amdhsa_exception_fp_ieee_underflow 0
		.amdhsa_exception_fp_ieee_inexact 0
		.amdhsa_exception_int_div_zero 0
	.end_amdhsa_kernel
	.section	.text._ZN7rocprim17ROCPRIM_400000_NS6detail17trampoline_kernelINS0_14default_configENS1_20scan_config_selectorIiEEZZNS1_9scan_implILNS1_25lookback_scan_determinismE0ELb0ELb0ES3_N6thrust23THRUST_200600_302600_NS6detail15normal_iteratorINS9_10device_ptrIiEEEESE_i11max_functorIiEiEEDaPvRmT3_T4_T5_mT6_P12ihipStream_tbENKUlT_T0_E_clISt17integral_constantIbLb0EESU_EEDaSP_SQ_EUlSP_E0_NS1_11comp_targetILNS1_3genE5ELNS1_11target_archE942ELNS1_3gpuE9ELNS1_3repE0EEENS1_30default_config_static_selectorELNS0_4arch9wavefront6targetE1EEEvT1_,"axG",@progbits,_ZN7rocprim17ROCPRIM_400000_NS6detail17trampoline_kernelINS0_14default_configENS1_20scan_config_selectorIiEEZZNS1_9scan_implILNS1_25lookback_scan_determinismE0ELb0ELb0ES3_N6thrust23THRUST_200600_302600_NS6detail15normal_iteratorINS9_10device_ptrIiEEEESE_i11max_functorIiEiEEDaPvRmT3_T4_T5_mT6_P12ihipStream_tbENKUlT_T0_E_clISt17integral_constantIbLb0EESU_EEDaSP_SQ_EUlSP_E0_NS1_11comp_targetILNS1_3genE5ELNS1_11target_archE942ELNS1_3gpuE9ELNS1_3repE0EEENS1_30default_config_static_selectorELNS0_4arch9wavefront6targetE1EEEvT1_,comdat
.Lfunc_end2712:
	.size	_ZN7rocprim17ROCPRIM_400000_NS6detail17trampoline_kernelINS0_14default_configENS1_20scan_config_selectorIiEEZZNS1_9scan_implILNS1_25lookback_scan_determinismE0ELb0ELb0ES3_N6thrust23THRUST_200600_302600_NS6detail15normal_iteratorINS9_10device_ptrIiEEEESE_i11max_functorIiEiEEDaPvRmT3_T4_T5_mT6_P12ihipStream_tbENKUlT_T0_E_clISt17integral_constantIbLb0EESU_EEDaSP_SQ_EUlSP_E0_NS1_11comp_targetILNS1_3genE5ELNS1_11target_archE942ELNS1_3gpuE9ELNS1_3repE0EEENS1_30default_config_static_selectorELNS0_4arch9wavefront6targetE1EEEvT1_, .Lfunc_end2712-_ZN7rocprim17ROCPRIM_400000_NS6detail17trampoline_kernelINS0_14default_configENS1_20scan_config_selectorIiEEZZNS1_9scan_implILNS1_25lookback_scan_determinismE0ELb0ELb0ES3_N6thrust23THRUST_200600_302600_NS6detail15normal_iteratorINS9_10device_ptrIiEEEESE_i11max_functorIiEiEEDaPvRmT3_T4_T5_mT6_P12ihipStream_tbENKUlT_T0_E_clISt17integral_constantIbLb0EESU_EEDaSP_SQ_EUlSP_E0_NS1_11comp_targetILNS1_3genE5ELNS1_11target_archE942ELNS1_3gpuE9ELNS1_3repE0EEENS1_30default_config_static_selectorELNS0_4arch9wavefront6targetE1EEEvT1_
                                        ; -- End function
	.section	.AMDGPU.csdata,"",@progbits
; Kernel info:
; codeLenInByte = 0
; NumSgprs: 4
; NumVgprs: 0
; NumAgprs: 0
; TotalNumVgprs: 0
; ScratchSize: 0
; MemoryBound: 0
; FloatMode: 240
; IeeeMode: 1
; LDSByteSize: 0 bytes/workgroup (compile time only)
; SGPRBlocks: 0
; VGPRBlocks: 0
; NumSGPRsForWavesPerEU: 4
; NumVGPRsForWavesPerEU: 1
; AccumOffset: 4
; Occupancy: 8
; WaveLimiterHint : 0
; COMPUTE_PGM_RSRC2:SCRATCH_EN: 0
; COMPUTE_PGM_RSRC2:USER_SGPR: 6
; COMPUTE_PGM_RSRC2:TRAP_HANDLER: 0
; COMPUTE_PGM_RSRC2:TGID_X_EN: 1
; COMPUTE_PGM_RSRC2:TGID_Y_EN: 0
; COMPUTE_PGM_RSRC2:TGID_Z_EN: 0
; COMPUTE_PGM_RSRC2:TIDIG_COMP_CNT: 0
; COMPUTE_PGM_RSRC3_GFX90A:ACCUM_OFFSET: 0
; COMPUTE_PGM_RSRC3_GFX90A:TG_SPLIT: 0
	.section	.text._ZN7rocprim17ROCPRIM_400000_NS6detail17trampoline_kernelINS0_14default_configENS1_20scan_config_selectorIiEEZZNS1_9scan_implILNS1_25lookback_scan_determinismE0ELb0ELb0ES3_N6thrust23THRUST_200600_302600_NS6detail15normal_iteratorINS9_10device_ptrIiEEEESE_i11max_functorIiEiEEDaPvRmT3_T4_T5_mT6_P12ihipStream_tbENKUlT_T0_E_clISt17integral_constantIbLb0EESU_EEDaSP_SQ_EUlSP_E0_NS1_11comp_targetILNS1_3genE4ELNS1_11target_archE910ELNS1_3gpuE8ELNS1_3repE0EEENS1_30default_config_static_selectorELNS0_4arch9wavefront6targetE1EEEvT1_,"axG",@progbits,_ZN7rocprim17ROCPRIM_400000_NS6detail17trampoline_kernelINS0_14default_configENS1_20scan_config_selectorIiEEZZNS1_9scan_implILNS1_25lookback_scan_determinismE0ELb0ELb0ES3_N6thrust23THRUST_200600_302600_NS6detail15normal_iteratorINS9_10device_ptrIiEEEESE_i11max_functorIiEiEEDaPvRmT3_T4_T5_mT6_P12ihipStream_tbENKUlT_T0_E_clISt17integral_constantIbLb0EESU_EEDaSP_SQ_EUlSP_E0_NS1_11comp_targetILNS1_3genE4ELNS1_11target_archE910ELNS1_3gpuE8ELNS1_3repE0EEENS1_30default_config_static_selectorELNS0_4arch9wavefront6targetE1EEEvT1_,comdat
	.protected	_ZN7rocprim17ROCPRIM_400000_NS6detail17trampoline_kernelINS0_14default_configENS1_20scan_config_selectorIiEEZZNS1_9scan_implILNS1_25lookback_scan_determinismE0ELb0ELb0ES3_N6thrust23THRUST_200600_302600_NS6detail15normal_iteratorINS9_10device_ptrIiEEEESE_i11max_functorIiEiEEDaPvRmT3_T4_T5_mT6_P12ihipStream_tbENKUlT_T0_E_clISt17integral_constantIbLb0EESU_EEDaSP_SQ_EUlSP_E0_NS1_11comp_targetILNS1_3genE4ELNS1_11target_archE910ELNS1_3gpuE8ELNS1_3repE0EEENS1_30default_config_static_selectorELNS0_4arch9wavefront6targetE1EEEvT1_ ; -- Begin function _ZN7rocprim17ROCPRIM_400000_NS6detail17trampoline_kernelINS0_14default_configENS1_20scan_config_selectorIiEEZZNS1_9scan_implILNS1_25lookback_scan_determinismE0ELb0ELb0ES3_N6thrust23THRUST_200600_302600_NS6detail15normal_iteratorINS9_10device_ptrIiEEEESE_i11max_functorIiEiEEDaPvRmT3_T4_T5_mT6_P12ihipStream_tbENKUlT_T0_E_clISt17integral_constantIbLb0EESU_EEDaSP_SQ_EUlSP_E0_NS1_11comp_targetILNS1_3genE4ELNS1_11target_archE910ELNS1_3gpuE8ELNS1_3repE0EEENS1_30default_config_static_selectorELNS0_4arch9wavefront6targetE1EEEvT1_
	.globl	_ZN7rocprim17ROCPRIM_400000_NS6detail17trampoline_kernelINS0_14default_configENS1_20scan_config_selectorIiEEZZNS1_9scan_implILNS1_25lookback_scan_determinismE0ELb0ELb0ES3_N6thrust23THRUST_200600_302600_NS6detail15normal_iteratorINS9_10device_ptrIiEEEESE_i11max_functorIiEiEEDaPvRmT3_T4_T5_mT6_P12ihipStream_tbENKUlT_T0_E_clISt17integral_constantIbLb0EESU_EEDaSP_SQ_EUlSP_E0_NS1_11comp_targetILNS1_3genE4ELNS1_11target_archE910ELNS1_3gpuE8ELNS1_3repE0EEENS1_30default_config_static_selectorELNS0_4arch9wavefront6targetE1EEEvT1_
	.p2align	8
	.type	_ZN7rocprim17ROCPRIM_400000_NS6detail17trampoline_kernelINS0_14default_configENS1_20scan_config_selectorIiEEZZNS1_9scan_implILNS1_25lookback_scan_determinismE0ELb0ELb0ES3_N6thrust23THRUST_200600_302600_NS6detail15normal_iteratorINS9_10device_ptrIiEEEESE_i11max_functorIiEiEEDaPvRmT3_T4_T5_mT6_P12ihipStream_tbENKUlT_T0_E_clISt17integral_constantIbLb0EESU_EEDaSP_SQ_EUlSP_E0_NS1_11comp_targetILNS1_3genE4ELNS1_11target_archE910ELNS1_3gpuE8ELNS1_3repE0EEENS1_30default_config_static_selectorELNS0_4arch9wavefront6targetE1EEEvT1_,@function
_ZN7rocprim17ROCPRIM_400000_NS6detail17trampoline_kernelINS0_14default_configENS1_20scan_config_selectorIiEEZZNS1_9scan_implILNS1_25lookback_scan_determinismE0ELb0ELb0ES3_N6thrust23THRUST_200600_302600_NS6detail15normal_iteratorINS9_10device_ptrIiEEEESE_i11max_functorIiEiEEDaPvRmT3_T4_T5_mT6_P12ihipStream_tbENKUlT_T0_E_clISt17integral_constantIbLb0EESU_EEDaSP_SQ_EUlSP_E0_NS1_11comp_targetILNS1_3genE4ELNS1_11target_archE910ELNS1_3gpuE8ELNS1_3repE0EEENS1_30default_config_static_selectorELNS0_4arch9wavefront6targetE1EEEvT1_: ; @_ZN7rocprim17ROCPRIM_400000_NS6detail17trampoline_kernelINS0_14default_configENS1_20scan_config_selectorIiEEZZNS1_9scan_implILNS1_25lookback_scan_determinismE0ELb0ELb0ES3_N6thrust23THRUST_200600_302600_NS6detail15normal_iteratorINS9_10device_ptrIiEEEESE_i11max_functorIiEiEEDaPvRmT3_T4_T5_mT6_P12ihipStream_tbENKUlT_T0_E_clISt17integral_constantIbLb0EESU_EEDaSP_SQ_EUlSP_E0_NS1_11comp_targetILNS1_3genE4ELNS1_11target_archE910ELNS1_3gpuE8ELNS1_3repE0EEENS1_30default_config_static_selectorELNS0_4arch9wavefront6targetE1EEEvT1_
; %bb.0:
	s_load_dwordx4 s[20:23], s[4:5], 0x0
	v_lshlrev_b32_e32 v22, 2, v0
	s_waitcnt lgkmcnt(0)
	s_load_dword s23, s[20:21], 0x0
	v_cmp_gt_u32_e32 vcc, s22, v0
	s_waitcnt lgkmcnt(0)
	v_mov_b32_e32 v1, s23
	s_and_saveexec_b64 s[0:1], vcc
	s_cbranch_execz .LBB2713_2
; %bb.1:
	global_load_dword v1, v22, s[20:21]
.LBB2713_2:
	s_or_b64 exec, exec, s[0:1]
	v_or_b32_e32 v2, 0x80, v0
	v_cmp_gt_u32_e64 s[0:1], s22, v2
	v_mov_b32_e32 v2, s23
	s_and_saveexec_b64 s[2:3], s[0:1]
	s_cbranch_execz .LBB2713_4
; %bb.3:
	global_load_dword v2, v22, s[20:21] offset:512
.LBB2713_4:
	s_or_b64 exec, exec, s[2:3]
	v_or_b32_e32 v3, 0x100, v0
	v_cmp_gt_u32_e64 s[2:3], s22, v3
	v_mov_b32_e32 v3, s23
	s_and_saveexec_b64 s[6:7], s[2:3]
	s_cbranch_execz .LBB2713_6
; %bb.5:
	global_load_dword v3, v22, s[20:21] offset:1024
.LBB2713_6:
	;; [unrolled: 9-line block ×7, first 2 shown]
	s_or_b64 exec, exec, s[14:15]
	v_or_b32_e32 v10, 0x400, v0
	v_cmp_gt_u32_e64 s[14:15], s22, v10
	v_mov_b32_e32 v9, s23
	s_and_saveexec_b64 s[16:17], s[14:15]
	s_cbranch_execz .LBB2713_18
; %bb.17:
	v_lshlrev_b32_e32 v9, 2, v10
	global_load_dword v9, v9, s[20:21]
.LBB2713_18:
	s_or_b64 exec, exec, s[16:17]
	v_or_b32_e32 v11, 0x480, v0
	v_cmp_gt_u32_e64 s[16:17], s22, v11
	v_mov_b32_e32 v10, s23
	s_and_saveexec_b64 s[22:23], s[16:17]
	s_cbranch_execz .LBB2713_20
; %bb.19:
	v_lshlrev_b32_e32 v10, 2, v11
	global_load_dword v10, v10, s[20:21]
.LBB2713_20:
	s_or_b64 exec, exec, s[22:23]
	s_waitcnt vmcnt(0)
	ds_write2st64_b32 v22, v1, v2 offset1:2
	ds_write2st64_b32 v22, v3, v4 offset0:4 offset1:6
	ds_write2st64_b32 v22, v5, v6 offset0:8 offset1:10
	;; [unrolled: 1-line block ×4, first 2 shown]
	v_mad_u32_u24 v1, v0, 36, v22
	s_waitcnt lgkmcnt(0)
	s_barrier
	ds_read2_b64 v[6:9], v1 offset1:1
	ds_read2_b64 v[2:5], v1 offset0:2 offset1:3
	ds_read_b64 v[20:21], v1 offset:32
	v_lshrrev_b32_e32 v12, 3, v0
	v_and_b32_e32 v12, 12, v12
	s_waitcnt lgkmcnt(2)
	v_max_i32_e32 v13, v6, v7
	v_max_i32_e32 v16, v13, v8
	;; [unrolled: 1-line block ×3, first 2 shown]
	s_waitcnt lgkmcnt(1)
	v_max_i32_e32 v10, v17, v2
	v_max_i32_e32 v11, v10, v3
	v_max_i32_e32 v14, v11, v4
	v_max_i32_e32 v15, v14, v5
	s_waitcnt lgkmcnt(0)
	v_max_i32_e32 v18, v15, v20
	v_max_i32_e32 v19, v18, v21
	v_add_u32_e32 v12, v22, v12
	v_cmp_gt_u32_e64 s[20:21], 64, v0
	s_barrier
	ds_write_b32 v12, v19
	s_waitcnt lgkmcnt(0)
	s_barrier
	s_and_saveexec_b64 s[22:23], s[20:21]
	s_cbranch_execz .LBB2713_22
; %bb.21:
	v_lshlrev_b32_e32 v12, 1, v0
	v_lshrrev_b32_e32 v23, 4, v0
	v_add_lshl_u32 v12, v23, v12, 2
	ds_read2_b32 v[24:25], v12 offset1:1
	v_mbcnt_lo_u32_b32 v23, -1, 0
	v_mbcnt_hi_u32_b32 v23, -1, v23
	v_and_b32_e32 v26, 15, v23
	v_cmp_eq_u32_e64 s[20:21], 0, v26
	s_waitcnt lgkmcnt(0)
	v_max_i32_e32 v25, v24, v25
	; wave barrier
	s_nop 1
	v_mov_b32_dpp v27, v25 row_shr:1 row_mask:0xf bank_mask:0xf
	v_max_i32_e32 v27, v27, v25
	v_cndmask_b32_e64 v25, v27, v25, s[20:21]
	v_cmp_lt_u32_e64 s[20:21], 1, v26
	s_nop 0
	v_mov_b32_dpp v27, v25 row_shr:2 row_mask:0xf bank_mask:0xf
	v_max_i32_e32 v27, v27, v25
	v_cndmask_b32_e64 v25, v25, v27, s[20:21]
	v_cmp_lt_u32_e64 s[20:21], 3, v26
	;; [unrolled: 5-line block ×3, first 2 shown]
	s_nop 0
	v_mov_b32_dpp v27, v25 row_shr:8 row_mask:0xf bank_mask:0xf
	v_max_i32_e32 v27, v27, v25
	v_cndmask_b32_e64 v25, v25, v27, s[20:21]
	v_and_b32_e32 v27, 16, v23
	v_cmp_eq_u32_e64 s[20:21], 0, v27
	v_mov_b32_dpp v26, v25 row_bcast:15 row_mask:0xf bank_mask:0xf
	v_max_i32_e32 v26, v26, v25
	v_cndmask_b32_e64 v25, v26, v25, s[20:21]
	v_cmp_lt_u32_e64 s[20:21], 31, v23
	v_and_b32_e32 v27, 64, v23
	v_mov_b32_dpp v26, v25 row_bcast:31 row_mask:0xf bank_mask:0xf
	v_max_i32_e32 v26, v26, v25
	v_cndmask_b32_e64 v25, v25, v26, s[20:21]
	v_add_u32_e32 v26, -1, v23
	v_cmp_lt_i32_e64 s[20:21], v26, v27
	v_cndmask_b32_e64 v23, v26, v23, s[20:21]
	v_lshlrev_b32_e32 v23, 2, v23
	ds_bpermute_b32 v23, v23, v25
	v_cmp_eq_u32_e64 s[20:21], 0, v0
	s_waitcnt lgkmcnt(0)
	v_max_i32_e32 v23, v23, v24
	v_cndmask_b32_e64 v23, v23, v19, s[20:21]
	ds_write_b32 v12, v23
	; wave barrier
	ds_read_b32 v24, v12 offset:4
	s_waitcnt lgkmcnt(0)
	v_max_i32_e32 v23, v23, v24
	ds_write_b32 v12, v23 offset:4
.LBB2713_22:
	s_or_b64 exec, exec, s[22:23]
	s_load_dwordx2 s[20:21], s[4:5], 0x18
	v_cmp_ne_u32_e64 s[4:5], 0, v0
	v_mov_b32_e32 v23, v19
	s_waitcnt lgkmcnt(0)
	s_barrier
	s_and_saveexec_b64 s[22:23], s[4:5]
	s_cbranch_execz .LBB2713_24
; %bb.23:
	v_add_u32_e32 v12, -1, v0
	v_lshrrev_b32_e32 v23, 5, v12
	v_add_lshl_u32 v12, v23, v12, 2
	ds_read_b32 v23, v12
.LBB2713_24:
	s_or_b64 exec, exec, s[22:23]
	v_mov_b32_e32 v12, v6
	s_and_saveexec_b64 s[22:23], s[4:5]
	s_cbranch_execz .LBB2713_26
; %bb.25:
	s_waitcnt lgkmcnt(0)
	v_max_i32_e32 v12, v23, v6
	v_max_i32_e32 v13, v12, v7
	;; [unrolled: 1-line block ×10, first 2 shown]
	;;#ASMSTART
	;;#ASMEND
.LBB2713_26:
	s_or_b64 exec, exec, s[22:23]
	s_movk_i32 s4, 0xffdc
	v_mad_i32_i24 v0, v0, s4, v1
	s_waitcnt lgkmcnt(0)
	s_barrier
	ds_write2_b64 v1, v[12:13], v[16:17] offset1:1
	ds_write2_b64 v1, v[10:11], v[14:15] offset0:2 offset1:3
	ds_write_b64 v1, v[18:19] offset:32
	s_waitcnt lgkmcnt(0)
	s_barrier
	ds_read2st64_b32 v[8:9], v0 offset0:2 offset1:4
	ds_read2st64_b32 v[6:7], v0 offset0:6 offset1:8
	;; [unrolled: 1-line block ×4, first 2 shown]
	ds_read_b32 v10, v22 offset:4096
	v_mov_b32_e32 v3, s21
	v_add_co_u32_e64 v2, s[4:5], s20, v22
	v_addc_co_u32_e64 v3, s[4:5], 0, v3, s[4:5]
	s_and_saveexec_b64 s[4:5], vcc
	s_cbranch_execnz .LBB2713_37
; %bb.27:
	s_or_b64 exec, exec, s[4:5]
	s_and_saveexec_b64 s[4:5], s[0:1]
	s_cbranch_execnz .LBB2713_38
.LBB2713_28:
	s_or_b64 exec, exec, s[4:5]
	s_and_saveexec_b64 s[0:1], s[2:3]
	s_cbranch_execnz .LBB2713_39
.LBB2713_29:
	s_or_b64 exec, exec, s[0:1]
	s_and_saveexec_b64 s[0:1], s[18:19]
	s_cbranch_execnz .LBB2713_40
.LBB2713_30:
	s_or_b64 exec, exec, s[0:1]
	s_and_saveexec_b64 s[0:1], s[6:7]
	s_cbranch_execnz .LBB2713_41
.LBB2713_31:
	s_or_b64 exec, exec, s[0:1]
	s_and_saveexec_b64 s[0:1], s[8:9]
	s_cbranch_execnz .LBB2713_42
.LBB2713_32:
	s_or_b64 exec, exec, s[0:1]
	s_and_saveexec_b64 s[0:1], s[10:11]
	s_cbranch_execnz .LBB2713_43
.LBB2713_33:
	s_or_b64 exec, exec, s[0:1]
	s_and_saveexec_b64 s[0:1], s[12:13]
	s_cbranch_execnz .LBB2713_44
.LBB2713_34:
	s_or_b64 exec, exec, s[0:1]
	s_and_saveexec_b64 s[0:1], s[14:15]
	s_cbranch_execnz .LBB2713_45
.LBB2713_35:
	s_or_b64 exec, exec, s[0:1]
	s_and_saveexec_b64 s[0:1], s[16:17]
	s_cbranch_execnz .LBB2713_46
.LBB2713_36:
	s_endpgm
.LBB2713_37:
	ds_read_b32 v11, v22
	s_waitcnt lgkmcnt(0)
	global_store_dword v[2:3], v11, off
	s_or_b64 exec, exec, s[4:5]
	s_and_saveexec_b64 s[4:5], s[0:1]
	s_cbranch_execz .LBB2713_28
.LBB2713_38:
	s_waitcnt lgkmcnt(4)
	global_store_dword v[2:3], v8, off offset:512
	s_or_b64 exec, exec, s[4:5]
	s_and_saveexec_b64 s[0:1], s[2:3]
	s_cbranch_execz .LBB2713_29
.LBB2713_39:
	s_waitcnt lgkmcnt(4)
	global_store_dword v[2:3], v9, off offset:1024
	s_or_b64 exec, exec, s[0:1]
	s_and_saveexec_b64 s[0:1], s[18:19]
	s_cbranch_execz .LBB2713_30
.LBB2713_40:
	s_waitcnt lgkmcnt(3)
	global_store_dword v[2:3], v6, off offset:1536
	s_or_b64 exec, exec, s[0:1]
	s_and_saveexec_b64 s[0:1], s[6:7]
	s_cbranch_execz .LBB2713_31
.LBB2713_41:
	s_waitcnt lgkmcnt(3)
	global_store_dword v[2:3], v7, off offset:2048
	s_or_b64 exec, exec, s[0:1]
	s_and_saveexec_b64 s[0:1], s[8:9]
	s_cbranch_execz .LBB2713_32
.LBB2713_42:
	s_waitcnt lgkmcnt(2)
	global_store_dword v[2:3], v4, off offset:2560
	s_or_b64 exec, exec, s[0:1]
	s_and_saveexec_b64 s[0:1], s[10:11]
	s_cbranch_execz .LBB2713_33
.LBB2713_43:
	s_waitcnt lgkmcnt(2)
	global_store_dword v[2:3], v5, off offset:3072
	s_or_b64 exec, exec, s[0:1]
	s_and_saveexec_b64 s[0:1], s[12:13]
	s_cbranch_execz .LBB2713_34
.LBB2713_44:
	s_waitcnt lgkmcnt(1)
	global_store_dword v[2:3], v0, off offset:3584
	s_or_b64 exec, exec, s[0:1]
	s_and_saveexec_b64 s[0:1], s[14:15]
	s_cbranch_execz .LBB2713_35
.LBB2713_45:
	s_waitcnt lgkmcnt(2)
	v_add_co_u32_e32 v4, vcc, 0x1000, v2
	v_addc_co_u32_e32 v5, vcc, 0, v3, vcc
	s_waitcnt lgkmcnt(0)
	global_store_dword v[4:5], v10, off
	s_or_b64 exec, exec, s[0:1]
	s_and_saveexec_b64 s[0:1], s[16:17]
	s_cbranch_execz .LBB2713_36
.LBB2713_46:
	v_add_co_u32_e32 v2, vcc, 0x1000, v2
	v_addc_co_u32_e32 v3, vcc, 0, v3, vcc
	s_waitcnt lgkmcnt(1)
	global_store_dword v[2:3], v1, off offset:512
	s_endpgm
	.section	.rodata,"a",@progbits
	.p2align	6, 0x0
	.amdhsa_kernel _ZN7rocprim17ROCPRIM_400000_NS6detail17trampoline_kernelINS0_14default_configENS1_20scan_config_selectorIiEEZZNS1_9scan_implILNS1_25lookback_scan_determinismE0ELb0ELb0ES3_N6thrust23THRUST_200600_302600_NS6detail15normal_iteratorINS9_10device_ptrIiEEEESE_i11max_functorIiEiEEDaPvRmT3_T4_T5_mT6_P12ihipStream_tbENKUlT_T0_E_clISt17integral_constantIbLb0EESU_EEDaSP_SQ_EUlSP_E0_NS1_11comp_targetILNS1_3genE4ELNS1_11target_archE910ELNS1_3gpuE8ELNS1_3repE0EEENS1_30default_config_static_selectorELNS0_4arch9wavefront6targetE1EEEvT1_
		.amdhsa_group_segment_fixed_size 5120
		.amdhsa_private_segment_fixed_size 0
		.amdhsa_kernarg_size 32
		.amdhsa_user_sgpr_count 6
		.amdhsa_user_sgpr_private_segment_buffer 1
		.amdhsa_user_sgpr_dispatch_ptr 0
		.amdhsa_user_sgpr_queue_ptr 0
		.amdhsa_user_sgpr_kernarg_segment_ptr 1
		.amdhsa_user_sgpr_dispatch_id 0
		.amdhsa_user_sgpr_flat_scratch_init 0
		.amdhsa_user_sgpr_kernarg_preload_length 0
		.amdhsa_user_sgpr_kernarg_preload_offset 0
		.amdhsa_user_sgpr_private_segment_size 0
		.amdhsa_uses_dynamic_stack 0
		.amdhsa_system_sgpr_private_segment_wavefront_offset 0
		.amdhsa_system_sgpr_workgroup_id_x 1
		.amdhsa_system_sgpr_workgroup_id_y 0
		.amdhsa_system_sgpr_workgroup_id_z 0
		.amdhsa_system_sgpr_workgroup_info 0
		.amdhsa_system_vgpr_workitem_id 0
		.amdhsa_next_free_vgpr 28
		.amdhsa_next_free_sgpr 24
		.amdhsa_accum_offset 28
		.amdhsa_reserve_vcc 1
		.amdhsa_reserve_flat_scratch 0
		.amdhsa_float_round_mode_32 0
		.amdhsa_float_round_mode_16_64 0
		.amdhsa_float_denorm_mode_32 3
		.amdhsa_float_denorm_mode_16_64 3
		.amdhsa_dx10_clamp 1
		.amdhsa_ieee_mode 1
		.amdhsa_fp16_overflow 0
		.amdhsa_tg_split 0
		.amdhsa_exception_fp_ieee_invalid_op 0
		.amdhsa_exception_fp_denorm_src 0
		.amdhsa_exception_fp_ieee_div_zero 0
		.amdhsa_exception_fp_ieee_overflow 0
		.amdhsa_exception_fp_ieee_underflow 0
		.amdhsa_exception_fp_ieee_inexact 0
		.amdhsa_exception_int_div_zero 0
	.end_amdhsa_kernel
	.section	.text._ZN7rocprim17ROCPRIM_400000_NS6detail17trampoline_kernelINS0_14default_configENS1_20scan_config_selectorIiEEZZNS1_9scan_implILNS1_25lookback_scan_determinismE0ELb0ELb0ES3_N6thrust23THRUST_200600_302600_NS6detail15normal_iteratorINS9_10device_ptrIiEEEESE_i11max_functorIiEiEEDaPvRmT3_T4_T5_mT6_P12ihipStream_tbENKUlT_T0_E_clISt17integral_constantIbLb0EESU_EEDaSP_SQ_EUlSP_E0_NS1_11comp_targetILNS1_3genE4ELNS1_11target_archE910ELNS1_3gpuE8ELNS1_3repE0EEENS1_30default_config_static_selectorELNS0_4arch9wavefront6targetE1EEEvT1_,"axG",@progbits,_ZN7rocprim17ROCPRIM_400000_NS6detail17trampoline_kernelINS0_14default_configENS1_20scan_config_selectorIiEEZZNS1_9scan_implILNS1_25lookback_scan_determinismE0ELb0ELb0ES3_N6thrust23THRUST_200600_302600_NS6detail15normal_iteratorINS9_10device_ptrIiEEEESE_i11max_functorIiEiEEDaPvRmT3_T4_T5_mT6_P12ihipStream_tbENKUlT_T0_E_clISt17integral_constantIbLb0EESU_EEDaSP_SQ_EUlSP_E0_NS1_11comp_targetILNS1_3genE4ELNS1_11target_archE910ELNS1_3gpuE8ELNS1_3repE0EEENS1_30default_config_static_selectorELNS0_4arch9wavefront6targetE1EEEvT1_,comdat
.Lfunc_end2713:
	.size	_ZN7rocprim17ROCPRIM_400000_NS6detail17trampoline_kernelINS0_14default_configENS1_20scan_config_selectorIiEEZZNS1_9scan_implILNS1_25lookback_scan_determinismE0ELb0ELb0ES3_N6thrust23THRUST_200600_302600_NS6detail15normal_iteratorINS9_10device_ptrIiEEEESE_i11max_functorIiEiEEDaPvRmT3_T4_T5_mT6_P12ihipStream_tbENKUlT_T0_E_clISt17integral_constantIbLb0EESU_EEDaSP_SQ_EUlSP_E0_NS1_11comp_targetILNS1_3genE4ELNS1_11target_archE910ELNS1_3gpuE8ELNS1_3repE0EEENS1_30default_config_static_selectorELNS0_4arch9wavefront6targetE1EEEvT1_, .Lfunc_end2713-_ZN7rocprim17ROCPRIM_400000_NS6detail17trampoline_kernelINS0_14default_configENS1_20scan_config_selectorIiEEZZNS1_9scan_implILNS1_25lookback_scan_determinismE0ELb0ELb0ES3_N6thrust23THRUST_200600_302600_NS6detail15normal_iteratorINS9_10device_ptrIiEEEESE_i11max_functorIiEiEEDaPvRmT3_T4_T5_mT6_P12ihipStream_tbENKUlT_T0_E_clISt17integral_constantIbLb0EESU_EEDaSP_SQ_EUlSP_E0_NS1_11comp_targetILNS1_3genE4ELNS1_11target_archE910ELNS1_3gpuE8ELNS1_3repE0EEENS1_30default_config_static_selectorELNS0_4arch9wavefront6targetE1EEEvT1_
                                        ; -- End function
	.section	.AMDGPU.csdata,"",@progbits
; Kernel info:
; codeLenInByte = 1564
; NumSgprs: 28
; NumVgprs: 28
; NumAgprs: 0
; TotalNumVgprs: 28
; ScratchSize: 0
; MemoryBound: 0
; FloatMode: 240
; IeeeMode: 1
; LDSByteSize: 5120 bytes/workgroup (compile time only)
; SGPRBlocks: 3
; VGPRBlocks: 3
; NumSGPRsForWavesPerEU: 28
; NumVGPRsForWavesPerEU: 28
; AccumOffset: 28
; Occupancy: 6
; WaveLimiterHint : 0
; COMPUTE_PGM_RSRC2:SCRATCH_EN: 0
; COMPUTE_PGM_RSRC2:USER_SGPR: 6
; COMPUTE_PGM_RSRC2:TRAP_HANDLER: 0
; COMPUTE_PGM_RSRC2:TGID_X_EN: 1
; COMPUTE_PGM_RSRC2:TGID_Y_EN: 0
; COMPUTE_PGM_RSRC2:TGID_Z_EN: 0
; COMPUTE_PGM_RSRC2:TIDIG_COMP_CNT: 0
; COMPUTE_PGM_RSRC3_GFX90A:ACCUM_OFFSET: 6
; COMPUTE_PGM_RSRC3_GFX90A:TG_SPLIT: 0
	.section	.text._ZN7rocprim17ROCPRIM_400000_NS6detail17trampoline_kernelINS0_14default_configENS1_20scan_config_selectorIiEEZZNS1_9scan_implILNS1_25lookback_scan_determinismE0ELb0ELb0ES3_N6thrust23THRUST_200600_302600_NS6detail15normal_iteratorINS9_10device_ptrIiEEEESE_i11max_functorIiEiEEDaPvRmT3_T4_T5_mT6_P12ihipStream_tbENKUlT_T0_E_clISt17integral_constantIbLb0EESU_EEDaSP_SQ_EUlSP_E0_NS1_11comp_targetILNS1_3genE3ELNS1_11target_archE908ELNS1_3gpuE7ELNS1_3repE0EEENS1_30default_config_static_selectorELNS0_4arch9wavefront6targetE1EEEvT1_,"axG",@progbits,_ZN7rocprim17ROCPRIM_400000_NS6detail17trampoline_kernelINS0_14default_configENS1_20scan_config_selectorIiEEZZNS1_9scan_implILNS1_25lookback_scan_determinismE0ELb0ELb0ES3_N6thrust23THRUST_200600_302600_NS6detail15normal_iteratorINS9_10device_ptrIiEEEESE_i11max_functorIiEiEEDaPvRmT3_T4_T5_mT6_P12ihipStream_tbENKUlT_T0_E_clISt17integral_constantIbLb0EESU_EEDaSP_SQ_EUlSP_E0_NS1_11comp_targetILNS1_3genE3ELNS1_11target_archE908ELNS1_3gpuE7ELNS1_3repE0EEENS1_30default_config_static_selectorELNS0_4arch9wavefront6targetE1EEEvT1_,comdat
	.protected	_ZN7rocprim17ROCPRIM_400000_NS6detail17trampoline_kernelINS0_14default_configENS1_20scan_config_selectorIiEEZZNS1_9scan_implILNS1_25lookback_scan_determinismE0ELb0ELb0ES3_N6thrust23THRUST_200600_302600_NS6detail15normal_iteratorINS9_10device_ptrIiEEEESE_i11max_functorIiEiEEDaPvRmT3_T4_T5_mT6_P12ihipStream_tbENKUlT_T0_E_clISt17integral_constantIbLb0EESU_EEDaSP_SQ_EUlSP_E0_NS1_11comp_targetILNS1_3genE3ELNS1_11target_archE908ELNS1_3gpuE7ELNS1_3repE0EEENS1_30default_config_static_selectorELNS0_4arch9wavefront6targetE1EEEvT1_ ; -- Begin function _ZN7rocprim17ROCPRIM_400000_NS6detail17trampoline_kernelINS0_14default_configENS1_20scan_config_selectorIiEEZZNS1_9scan_implILNS1_25lookback_scan_determinismE0ELb0ELb0ES3_N6thrust23THRUST_200600_302600_NS6detail15normal_iteratorINS9_10device_ptrIiEEEESE_i11max_functorIiEiEEDaPvRmT3_T4_T5_mT6_P12ihipStream_tbENKUlT_T0_E_clISt17integral_constantIbLb0EESU_EEDaSP_SQ_EUlSP_E0_NS1_11comp_targetILNS1_3genE3ELNS1_11target_archE908ELNS1_3gpuE7ELNS1_3repE0EEENS1_30default_config_static_selectorELNS0_4arch9wavefront6targetE1EEEvT1_
	.globl	_ZN7rocprim17ROCPRIM_400000_NS6detail17trampoline_kernelINS0_14default_configENS1_20scan_config_selectorIiEEZZNS1_9scan_implILNS1_25lookback_scan_determinismE0ELb0ELb0ES3_N6thrust23THRUST_200600_302600_NS6detail15normal_iteratorINS9_10device_ptrIiEEEESE_i11max_functorIiEiEEDaPvRmT3_T4_T5_mT6_P12ihipStream_tbENKUlT_T0_E_clISt17integral_constantIbLb0EESU_EEDaSP_SQ_EUlSP_E0_NS1_11comp_targetILNS1_3genE3ELNS1_11target_archE908ELNS1_3gpuE7ELNS1_3repE0EEENS1_30default_config_static_selectorELNS0_4arch9wavefront6targetE1EEEvT1_
	.p2align	8
	.type	_ZN7rocprim17ROCPRIM_400000_NS6detail17trampoline_kernelINS0_14default_configENS1_20scan_config_selectorIiEEZZNS1_9scan_implILNS1_25lookback_scan_determinismE0ELb0ELb0ES3_N6thrust23THRUST_200600_302600_NS6detail15normal_iteratorINS9_10device_ptrIiEEEESE_i11max_functorIiEiEEDaPvRmT3_T4_T5_mT6_P12ihipStream_tbENKUlT_T0_E_clISt17integral_constantIbLb0EESU_EEDaSP_SQ_EUlSP_E0_NS1_11comp_targetILNS1_3genE3ELNS1_11target_archE908ELNS1_3gpuE7ELNS1_3repE0EEENS1_30default_config_static_selectorELNS0_4arch9wavefront6targetE1EEEvT1_,@function
_ZN7rocprim17ROCPRIM_400000_NS6detail17trampoline_kernelINS0_14default_configENS1_20scan_config_selectorIiEEZZNS1_9scan_implILNS1_25lookback_scan_determinismE0ELb0ELb0ES3_N6thrust23THRUST_200600_302600_NS6detail15normal_iteratorINS9_10device_ptrIiEEEESE_i11max_functorIiEiEEDaPvRmT3_T4_T5_mT6_P12ihipStream_tbENKUlT_T0_E_clISt17integral_constantIbLb0EESU_EEDaSP_SQ_EUlSP_E0_NS1_11comp_targetILNS1_3genE3ELNS1_11target_archE908ELNS1_3gpuE7ELNS1_3repE0EEENS1_30default_config_static_selectorELNS0_4arch9wavefront6targetE1EEEvT1_: ; @_ZN7rocprim17ROCPRIM_400000_NS6detail17trampoline_kernelINS0_14default_configENS1_20scan_config_selectorIiEEZZNS1_9scan_implILNS1_25lookback_scan_determinismE0ELb0ELb0ES3_N6thrust23THRUST_200600_302600_NS6detail15normal_iteratorINS9_10device_ptrIiEEEESE_i11max_functorIiEiEEDaPvRmT3_T4_T5_mT6_P12ihipStream_tbENKUlT_T0_E_clISt17integral_constantIbLb0EESU_EEDaSP_SQ_EUlSP_E0_NS1_11comp_targetILNS1_3genE3ELNS1_11target_archE908ELNS1_3gpuE7ELNS1_3repE0EEENS1_30default_config_static_selectorELNS0_4arch9wavefront6targetE1EEEvT1_
; %bb.0:
	.section	.rodata,"a",@progbits
	.p2align	6, 0x0
	.amdhsa_kernel _ZN7rocprim17ROCPRIM_400000_NS6detail17trampoline_kernelINS0_14default_configENS1_20scan_config_selectorIiEEZZNS1_9scan_implILNS1_25lookback_scan_determinismE0ELb0ELb0ES3_N6thrust23THRUST_200600_302600_NS6detail15normal_iteratorINS9_10device_ptrIiEEEESE_i11max_functorIiEiEEDaPvRmT3_T4_T5_mT6_P12ihipStream_tbENKUlT_T0_E_clISt17integral_constantIbLb0EESU_EEDaSP_SQ_EUlSP_E0_NS1_11comp_targetILNS1_3genE3ELNS1_11target_archE908ELNS1_3gpuE7ELNS1_3repE0EEENS1_30default_config_static_selectorELNS0_4arch9wavefront6targetE1EEEvT1_
		.amdhsa_group_segment_fixed_size 0
		.amdhsa_private_segment_fixed_size 0
		.amdhsa_kernarg_size 32
		.amdhsa_user_sgpr_count 6
		.amdhsa_user_sgpr_private_segment_buffer 1
		.amdhsa_user_sgpr_dispatch_ptr 0
		.amdhsa_user_sgpr_queue_ptr 0
		.amdhsa_user_sgpr_kernarg_segment_ptr 1
		.amdhsa_user_sgpr_dispatch_id 0
		.amdhsa_user_sgpr_flat_scratch_init 0
		.amdhsa_user_sgpr_kernarg_preload_length 0
		.amdhsa_user_sgpr_kernarg_preload_offset 0
		.amdhsa_user_sgpr_private_segment_size 0
		.amdhsa_uses_dynamic_stack 0
		.amdhsa_system_sgpr_private_segment_wavefront_offset 0
		.amdhsa_system_sgpr_workgroup_id_x 1
		.amdhsa_system_sgpr_workgroup_id_y 0
		.amdhsa_system_sgpr_workgroup_id_z 0
		.amdhsa_system_sgpr_workgroup_info 0
		.amdhsa_system_vgpr_workitem_id 0
		.amdhsa_next_free_vgpr 1
		.amdhsa_next_free_sgpr 0
		.amdhsa_accum_offset 4
		.amdhsa_reserve_vcc 0
		.amdhsa_reserve_flat_scratch 0
		.amdhsa_float_round_mode_32 0
		.amdhsa_float_round_mode_16_64 0
		.amdhsa_float_denorm_mode_32 3
		.amdhsa_float_denorm_mode_16_64 3
		.amdhsa_dx10_clamp 1
		.amdhsa_ieee_mode 1
		.amdhsa_fp16_overflow 0
		.amdhsa_tg_split 0
		.amdhsa_exception_fp_ieee_invalid_op 0
		.amdhsa_exception_fp_denorm_src 0
		.amdhsa_exception_fp_ieee_div_zero 0
		.amdhsa_exception_fp_ieee_overflow 0
		.amdhsa_exception_fp_ieee_underflow 0
		.amdhsa_exception_fp_ieee_inexact 0
		.amdhsa_exception_int_div_zero 0
	.end_amdhsa_kernel
	.section	.text._ZN7rocprim17ROCPRIM_400000_NS6detail17trampoline_kernelINS0_14default_configENS1_20scan_config_selectorIiEEZZNS1_9scan_implILNS1_25lookback_scan_determinismE0ELb0ELb0ES3_N6thrust23THRUST_200600_302600_NS6detail15normal_iteratorINS9_10device_ptrIiEEEESE_i11max_functorIiEiEEDaPvRmT3_T4_T5_mT6_P12ihipStream_tbENKUlT_T0_E_clISt17integral_constantIbLb0EESU_EEDaSP_SQ_EUlSP_E0_NS1_11comp_targetILNS1_3genE3ELNS1_11target_archE908ELNS1_3gpuE7ELNS1_3repE0EEENS1_30default_config_static_selectorELNS0_4arch9wavefront6targetE1EEEvT1_,"axG",@progbits,_ZN7rocprim17ROCPRIM_400000_NS6detail17trampoline_kernelINS0_14default_configENS1_20scan_config_selectorIiEEZZNS1_9scan_implILNS1_25lookback_scan_determinismE0ELb0ELb0ES3_N6thrust23THRUST_200600_302600_NS6detail15normal_iteratorINS9_10device_ptrIiEEEESE_i11max_functorIiEiEEDaPvRmT3_T4_T5_mT6_P12ihipStream_tbENKUlT_T0_E_clISt17integral_constantIbLb0EESU_EEDaSP_SQ_EUlSP_E0_NS1_11comp_targetILNS1_3genE3ELNS1_11target_archE908ELNS1_3gpuE7ELNS1_3repE0EEENS1_30default_config_static_selectorELNS0_4arch9wavefront6targetE1EEEvT1_,comdat
.Lfunc_end2714:
	.size	_ZN7rocprim17ROCPRIM_400000_NS6detail17trampoline_kernelINS0_14default_configENS1_20scan_config_selectorIiEEZZNS1_9scan_implILNS1_25lookback_scan_determinismE0ELb0ELb0ES3_N6thrust23THRUST_200600_302600_NS6detail15normal_iteratorINS9_10device_ptrIiEEEESE_i11max_functorIiEiEEDaPvRmT3_T4_T5_mT6_P12ihipStream_tbENKUlT_T0_E_clISt17integral_constantIbLb0EESU_EEDaSP_SQ_EUlSP_E0_NS1_11comp_targetILNS1_3genE3ELNS1_11target_archE908ELNS1_3gpuE7ELNS1_3repE0EEENS1_30default_config_static_selectorELNS0_4arch9wavefront6targetE1EEEvT1_, .Lfunc_end2714-_ZN7rocprim17ROCPRIM_400000_NS6detail17trampoline_kernelINS0_14default_configENS1_20scan_config_selectorIiEEZZNS1_9scan_implILNS1_25lookback_scan_determinismE0ELb0ELb0ES3_N6thrust23THRUST_200600_302600_NS6detail15normal_iteratorINS9_10device_ptrIiEEEESE_i11max_functorIiEiEEDaPvRmT3_T4_T5_mT6_P12ihipStream_tbENKUlT_T0_E_clISt17integral_constantIbLb0EESU_EEDaSP_SQ_EUlSP_E0_NS1_11comp_targetILNS1_3genE3ELNS1_11target_archE908ELNS1_3gpuE7ELNS1_3repE0EEENS1_30default_config_static_selectorELNS0_4arch9wavefront6targetE1EEEvT1_
                                        ; -- End function
	.section	.AMDGPU.csdata,"",@progbits
; Kernel info:
; codeLenInByte = 0
; NumSgprs: 4
; NumVgprs: 0
; NumAgprs: 0
; TotalNumVgprs: 0
; ScratchSize: 0
; MemoryBound: 0
; FloatMode: 240
; IeeeMode: 1
; LDSByteSize: 0 bytes/workgroup (compile time only)
; SGPRBlocks: 0
; VGPRBlocks: 0
; NumSGPRsForWavesPerEU: 4
; NumVGPRsForWavesPerEU: 1
; AccumOffset: 4
; Occupancy: 8
; WaveLimiterHint : 0
; COMPUTE_PGM_RSRC2:SCRATCH_EN: 0
; COMPUTE_PGM_RSRC2:USER_SGPR: 6
; COMPUTE_PGM_RSRC2:TRAP_HANDLER: 0
; COMPUTE_PGM_RSRC2:TGID_X_EN: 1
; COMPUTE_PGM_RSRC2:TGID_Y_EN: 0
; COMPUTE_PGM_RSRC2:TGID_Z_EN: 0
; COMPUTE_PGM_RSRC2:TIDIG_COMP_CNT: 0
; COMPUTE_PGM_RSRC3_GFX90A:ACCUM_OFFSET: 0
; COMPUTE_PGM_RSRC3_GFX90A:TG_SPLIT: 0
	.section	.text._ZN7rocprim17ROCPRIM_400000_NS6detail17trampoline_kernelINS0_14default_configENS1_20scan_config_selectorIiEEZZNS1_9scan_implILNS1_25lookback_scan_determinismE0ELb0ELb0ES3_N6thrust23THRUST_200600_302600_NS6detail15normal_iteratorINS9_10device_ptrIiEEEESE_i11max_functorIiEiEEDaPvRmT3_T4_T5_mT6_P12ihipStream_tbENKUlT_T0_E_clISt17integral_constantIbLb0EESU_EEDaSP_SQ_EUlSP_E0_NS1_11comp_targetILNS1_3genE2ELNS1_11target_archE906ELNS1_3gpuE6ELNS1_3repE0EEENS1_30default_config_static_selectorELNS0_4arch9wavefront6targetE1EEEvT1_,"axG",@progbits,_ZN7rocprim17ROCPRIM_400000_NS6detail17trampoline_kernelINS0_14default_configENS1_20scan_config_selectorIiEEZZNS1_9scan_implILNS1_25lookback_scan_determinismE0ELb0ELb0ES3_N6thrust23THRUST_200600_302600_NS6detail15normal_iteratorINS9_10device_ptrIiEEEESE_i11max_functorIiEiEEDaPvRmT3_T4_T5_mT6_P12ihipStream_tbENKUlT_T0_E_clISt17integral_constantIbLb0EESU_EEDaSP_SQ_EUlSP_E0_NS1_11comp_targetILNS1_3genE2ELNS1_11target_archE906ELNS1_3gpuE6ELNS1_3repE0EEENS1_30default_config_static_selectorELNS0_4arch9wavefront6targetE1EEEvT1_,comdat
	.protected	_ZN7rocprim17ROCPRIM_400000_NS6detail17trampoline_kernelINS0_14default_configENS1_20scan_config_selectorIiEEZZNS1_9scan_implILNS1_25lookback_scan_determinismE0ELb0ELb0ES3_N6thrust23THRUST_200600_302600_NS6detail15normal_iteratorINS9_10device_ptrIiEEEESE_i11max_functorIiEiEEDaPvRmT3_T4_T5_mT6_P12ihipStream_tbENKUlT_T0_E_clISt17integral_constantIbLb0EESU_EEDaSP_SQ_EUlSP_E0_NS1_11comp_targetILNS1_3genE2ELNS1_11target_archE906ELNS1_3gpuE6ELNS1_3repE0EEENS1_30default_config_static_selectorELNS0_4arch9wavefront6targetE1EEEvT1_ ; -- Begin function _ZN7rocprim17ROCPRIM_400000_NS6detail17trampoline_kernelINS0_14default_configENS1_20scan_config_selectorIiEEZZNS1_9scan_implILNS1_25lookback_scan_determinismE0ELb0ELb0ES3_N6thrust23THRUST_200600_302600_NS6detail15normal_iteratorINS9_10device_ptrIiEEEESE_i11max_functorIiEiEEDaPvRmT3_T4_T5_mT6_P12ihipStream_tbENKUlT_T0_E_clISt17integral_constantIbLb0EESU_EEDaSP_SQ_EUlSP_E0_NS1_11comp_targetILNS1_3genE2ELNS1_11target_archE906ELNS1_3gpuE6ELNS1_3repE0EEENS1_30default_config_static_selectorELNS0_4arch9wavefront6targetE1EEEvT1_
	.globl	_ZN7rocprim17ROCPRIM_400000_NS6detail17trampoline_kernelINS0_14default_configENS1_20scan_config_selectorIiEEZZNS1_9scan_implILNS1_25lookback_scan_determinismE0ELb0ELb0ES3_N6thrust23THRUST_200600_302600_NS6detail15normal_iteratorINS9_10device_ptrIiEEEESE_i11max_functorIiEiEEDaPvRmT3_T4_T5_mT6_P12ihipStream_tbENKUlT_T0_E_clISt17integral_constantIbLb0EESU_EEDaSP_SQ_EUlSP_E0_NS1_11comp_targetILNS1_3genE2ELNS1_11target_archE906ELNS1_3gpuE6ELNS1_3repE0EEENS1_30default_config_static_selectorELNS0_4arch9wavefront6targetE1EEEvT1_
	.p2align	8
	.type	_ZN7rocprim17ROCPRIM_400000_NS6detail17trampoline_kernelINS0_14default_configENS1_20scan_config_selectorIiEEZZNS1_9scan_implILNS1_25lookback_scan_determinismE0ELb0ELb0ES3_N6thrust23THRUST_200600_302600_NS6detail15normal_iteratorINS9_10device_ptrIiEEEESE_i11max_functorIiEiEEDaPvRmT3_T4_T5_mT6_P12ihipStream_tbENKUlT_T0_E_clISt17integral_constantIbLb0EESU_EEDaSP_SQ_EUlSP_E0_NS1_11comp_targetILNS1_3genE2ELNS1_11target_archE906ELNS1_3gpuE6ELNS1_3repE0EEENS1_30default_config_static_selectorELNS0_4arch9wavefront6targetE1EEEvT1_,@function
_ZN7rocprim17ROCPRIM_400000_NS6detail17trampoline_kernelINS0_14default_configENS1_20scan_config_selectorIiEEZZNS1_9scan_implILNS1_25lookback_scan_determinismE0ELb0ELb0ES3_N6thrust23THRUST_200600_302600_NS6detail15normal_iteratorINS9_10device_ptrIiEEEESE_i11max_functorIiEiEEDaPvRmT3_T4_T5_mT6_P12ihipStream_tbENKUlT_T0_E_clISt17integral_constantIbLb0EESU_EEDaSP_SQ_EUlSP_E0_NS1_11comp_targetILNS1_3genE2ELNS1_11target_archE906ELNS1_3gpuE6ELNS1_3repE0EEENS1_30default_config_static_selectorELNS0_4arch9wavefront6targetE1EEEvT1_: ; @_ZN7rocprim17ROCPRIM_400000_NS6detail17trampoline_kernelINS0_14default_configENS1_20scan_config_selectorIiEEZZNS1_9scan_implILNS1_25lookback_scan_determinismE0ELb0ELb0ES3_N6thrust23THRUST_200600_302600_NS6detail15normal_iteratorINS9_10device_ptrIiEEEESE_i11max_functorIiEiEEDaPvRmT3_T4_T5_mT6_P12ihipStream_tbENKUlT_T0_E_clISt17integral_constantIbLb0EESU_EEDaSP_SQ_EUlSP_E0_NS1_11comp_targetILNS1_3genE2ELNS1_11target_archE906ELNS1_3gpuE6ELNS1_3repE0EEENS1_30default_config_static_selectorELNS0_4arch9wavefront6targetE1EEEvT1_
; %bb.0:
	.section	.rodata,"a",@progbits
	.p2align	6, 0x0
	.amdhsa_kernel _ZN7rocprim17ROCPRIM_400000_NS6detail17trampoline_kernelINS0_14default_configENS1_20scan_config_selectorIiEEZZNS1_9scan_implILNS1_25lookback_scan_determinismE0ELb0ELb0ES3_N6thrust23THRUST_200600_302600_NS6detail15normal_iteratorINS9_10device_ptrIiEEEESE_i11max_functorIiEiEEDaPvRmT3_T4_T5_mT6_P12ihipStream_tbENKUlT_T0_E_clISt17integral_constantIbLb0EESU_EEDaSP_SQ_EUlSP_E0_NS1_11comp_targetILNS1_3genE2ELNS1_11target_archE906ELNS1_3gpuE6ELNS1_3repE0EEENS1_30default_config_static_selectorELNS0_4arch9wavefront6targetE1EEEvT1_
		.amdhsa_group_segment_fixed_size 0
		.amdhsa_private_segment_fixed_size 0
		.amdhsa_kernarg_size 32
		.amdhsa_user_sgpr_count 6
		.amdhsa_user_sgpr_private_segment_buffer 1
		.amdhsa_user_sgpr_dispatch_ptr 0
		.amdhsa_user_sgpr_queue_ptr 0
		.amdhsa_user_sgpr_kernarg_segment_ptr 1
		.amdhsa_user_sgpr_dispatch_id 0
		.amdhsa_user_sgpr_flat_scratch_init 0
		.amdhsa_user_sgpr_kernarg_preload_length 0
		.amdhsa_user_sgpr_kernarg_preload_offset 0
		.amdhsa_user_sgpr_private_segment_size 0
		.amdhsa_uses_dynamic_stack 0
		.amdhsa_system_sgpr_private_segment_wavefront_offset 0
		.amdhsa_system_sgpr_workgroup_id_x 1
		.amdhsa_system_sgpr_workgroup_id_y 0
		.amdhsa_system_sgpr_workgroup_id_z 0
		.amdhsa_system_sgpr_workgroup_info 0
		.amdhsa_system_vgpr_workitem_id 0
		.amdhsa_next_free_vgpr 1
		.amdhsa_next_free_sgpr 0
		.amdhsa_accum_offset 4
		.amdhsa_reserve_vcc 0
		.amdhsa_reserve_flat_scratch 0
		.amdhsa_float_round_mode_32 0
		.amdhsa_float_round_mode_16_64 0
		.amdhsa_float_denorm_mode_32 3
		.amdhsa_float_denorm_mode_16_64 3
		.amdhsa_dx10_clamp 1
		.amdhsa_ieee_mode 1
		.amdhsa_fp16_overflow 0
		.amdhsa_tg_split 0
		.amdhsa_exception_fp_ieee_invalid_op 0
		.amdhsa_exception_fp_denorm_src 0
		.amdhsa_exception_fp_ieee_div_zero 0
		.amdhsa_exception_fp_ieee_overflow 0
		.amdhsa_exception_fp_ieee_underflow 0
		.amdhsa_exception_fp_ieee_inexact 0
		.amdhsa_exception_int_div_zero 0
	.end_amdhsa_kernel
	.section	.text._ZN7rocprim17ROCPRIM_400000_NS6detail17trampoline_kernelINS0_14default_configENS1_20scan_config_selectorIiEEZZNS1_9scan_implILNS1_25lookback_scan_determinismE0ELb0ELb0ES3_N6thrust23THRUST_200600_302600_NS6detail15normal_iteratorINS9_10device_ptrIiEEEESE_i11max_functorIiEiEEDaPvRmT3_T4_T5_mT6_P12ihipStream_tbENKUlT_T0_E_clISt17integral_constantIbLb0EESU_EEDaSP_SQ_EUlSP_E0_NS1_11comp_targetILNS1_3genE2ELNS1_11target_archE906ELNS1_3gpuE6ELNS1_3repE0EEENS1_30default_config_static_selectorELNS0_4arch9wavefront6targetE1EEEvT1_,"axG",@progbits,_ZN7rocprim17ROCPRIM_400000_NS6detail17trampoline_kernelINS0_14default_configENS1_20scan_config_selectorIiEEZZNS1_9scan_implILNS1_25lookback_scan_determinismE0ELb0ELb0ES3_N6thrust23THRUST_200600_302600_NS6detail15normal_iteratorINS9_10device_ptrIiEEEESE_i11max_functorIiEiEEDaPvRmT3_T4_T5_mT6_P12ihipStream_tbENKUlT_T0_E_clISt17integral_constantIbLb0EESU_EEDaSP_SQ_EUlSP_E0_NS1_11comp_targetILNS1_3genE2ELNS1_11target_archE906ELNS1_3gpuE6ELNS1_3repE0EEENS1_30default_config_static_selectorELNS0_4arch9wavefront6targetE1EEEvT1_,comdat
.Lfunc_end2715:
	.size	_ZN7rocprim17ROCPRIM_400000_NS6detail17trampoline_kernelINS0_14default_configENS1_20scan_config_selectorIiEEZZNS1_9scan_implILNS1_25lookback_scan_determinismE0ELb0ELb0ES3_N6thrust23THRUST_200600_302600_NS6detail15normal_iteratorINS9_10device_ptrIiEEEESE_i11max_functorIiEiEEDaPvRmT3_T4_T5_mT6_P12ihipStream_tbENKUlT_T0_E_clISt17integral_constantIbLb0EESU_EEDaSP_SQ_EUlSP_E0_NS1_11comp_targetILNS1_3genE2ELNS1_11target_archE906ELNS1_3gpuE6ELNS1_3repE0EEENS1_30default_config_static_selectorELNS0_4arch9wavefront6targetE1EEEvT1_, .Lfunc_end2715-_ZN7rocprim17ROCPRIM_400000_NS6detail17trampoline_kernelINS0_14default_configENS1_20scan_config_selectorIiEEZZNS1_9scan_implILNS1_25lookback_scan_determinismE0ELb0ELb0ES3_N6thrust23THRUST_200600_302600_NS6detail15normal_iteratorINS9_10device_ptrIiEEEESE_i11max_functorIiEiEEDaPvRmT3_T4_T5_mT6_P12ihipStream_tbENKUlT_T0_E_clISt17integral_constantIbLb0EESU_EEDaSP_SQ_EUlSP_E0_NS1_11comp_targetILNS1_3genE2ELNS1_11target_archE906ELNS1_3gpuE6ELNS1_3repE0EEENS1_30default_config_static_selectorELNS0_4arch9wavefront6targetE1EEEvT1_
                                        ; -- End function
	.section	.AMDGPU.csdata,"",@progbits
; Kernel info:
; codeLenInByte = 0
; NumSgprs: 4
; NumVgprs: 0
; NumAgprs: 0
; TotalNumVgprs: 0
; ScratchSize: 0
; MemoryBound: 0
; FloatMode: 240
; IeeeMode: 1
; LDSByteSize: 0 bytes/workgroup (compile time only)
; SGPRBlocks: 0
; VGPRBlocks: 0
; NumSGPRsForWavesPerEU: 4
; NumVGPRsForWavesPerEU: 1
; AccumOffset: 4
; Occupancy: 8
; WaveLimiterHint : 0
; COMPUTE_PGM_RSRC2:SCRATCH_EN: 0
; COMPUTE_PGM_RSRC2:USER_SGPR: 6
; COMPUTE_PGM_RSRC2:TRAP_HANDLER: 0
; COMPUTE_PGM_RSRC2:TGID_X_EN: 1
; COMPUTE_PGM_RSRC2:TGID_Y_EN: 0
; COMPUTE_PGM_RSRC2:TGID_Z_EN: 0
; COMPUTE_PGM_RSRC2:TIDIG_COMP_CNT: 0
; COMPUTE_PGM_RSRC3_GFX90A:ACCUM_OFFSET: 0
; COMPUTE_PGM_RSRC3_GFX90A:TG_SPLIT: 0
	.section	.text._ZN7rocprim17ROCPRIM_400000_NS6detail17trampoline_kernelINS0_14default_configENS1_20scan_config_selectorIiEEZZNS1_9scan_implILNS1_25lookback_scan_determinismE0ELb0ELb0ES3_N6thrust23THRUST_200600_302600_NS6detail15normal_iteratorINS9_10device_ptrIiEEEESE_i11max_functorIiEiEEDaPvRmT3_T4_T5_mT6_P12ihipStream_tbENKUlT_T0_E_clISt17integral_constantIbLb0EESU_EEDaSP_SQ_EUlSP_E0_NS1_11comp_targetILNS1_3genE10ELNS1_11target_archE1201ELNS1_3gpuE5ELNS1_3repE0EEENS1_30default_config_static_selectorELNS0_4arch9wavefront6targetE1EEEvT1_,"axG",@progbits,_ZN7rocprim17ROCPRIM_400000_NS6detail17trampoline_kernelINS0_14default_configENS1_20scan_config_selectorIiEEZZNS1_9scan_implILNS1_25lookback_scan_determinismE0ELb0ELb0ES3_N6thrust23THRUST_200600_302600_NS6detail15normal_iteratorINS9_10device_ptrIiEEEESE_i11max_functorIiEiEEDaPvRmT3_T4_T5_mT6_P12ihipStream_tbENKUlT_T0_E_clISt17integral_constantIbLb0EESU_EEDaSP_SQ_EUlSP_E0_NS1_11comp_targetILNS1_3genE10ELNS1_11target_archE1201ELNS1_3gpuE5ELNS1_3repE0EEENS1_30default_config_static_selectorELNS0_4arch9wavefront6targetE1EEEvT1_,comdat
	.protected	_ZN7rocprim17ROCPRIM_400000_NS6detail17trampoline_kernelINS0_14default_configENS1_20scan_config_selectorIiEEZZNS1_9scan_implILNS1_25lookback_scan_determinismE0ELb0ELb0ES3_N6thrust23THRUST_200600_302600_NS6detail15normal_iteratorINS9_10device_ptrIiEEEESE_i11max_functorIiEiEEDaPvRmT3_T4_T5_mT6_P12ihipStream_tbENKUlT_T0_E_clISt17integral_constantIbLb0EESU_EEDaSP_SQ_EUlSP_E0_NS1_11comp_targetILNS1_3genE10ELNS1_11target_archE1201ELNS1_3gpuE5ELNS1_3repE0EEENS1_30default_config_static_selectorELNS0_4arch9wavefront6targetE1EEEvT1_ ; -- Begin function _ZN7rocprim17ROCPRIM_400000_NS6detail17trampoline_kernelINS0_14default_configENS1_20scan_config_selectorIiEEZZNS1_9scan_implILNS1_25lookback_scan_determinismE0ELb0ELb0ES3_N6thrust23THRUST_200600_302600_NS6detail15normal_iteratorINS9_10device_ptrIiEEEESE_i11max_functorIiEiEEDaPvRmT3_T4_T5_mT6_P12ihipStream_tbENKUlT_T0_E_clISt17integral_constantIbLb0EESU_EEDaSP_SQ_EUlSP_E0_NS1_11comp_targetILNS1_3genE10ELNS1_11target_archE1201ELNS1_3gpuE5ELNS1_3repE0EEENS1_30default_config_static_selectorELNS0_4arch9wavefront6targetE1EEEvT1_
	.globl	_ZN7rocprim17ROCPRIM_400000_NS6detail17trampoline_kernelINS0_14default_configENS1_20scan_config_selectorIiEEZZNS1_9scan_implILNS1_25lookback_scan_determinismE0ELb0ELb0ES3_N6thrust23THRUST_200600_302600_NS6detail15normal_iteratorINS9_10device_ptrIiEEEESE_i11max_functorIiEiEEDaPvRmT3_T4_T5_mT6_P12ihipStream_tbENKUlT_T0_E_clISt17integral_constantIbLb0EESU_EEDaSP_SQ_EUlSP_E0_NS1_11comp_targetILNS1_3genE10ELNS1_11target_archE1201ELNS1_3gpuE5ELNS1_3repE0EEENS1_30default_config_static_selectorELNS0_4arch9wavefront6targetE1EEEvT1_
	.p2align	8
	.type	_ZN7rocprim17ROCPRIM_400000_NS6detail17trampoline_kernelINS0_14default_configENS1_20scan_config_selectorIiEEZZNS1_9scan_implILNS1_25lookback_scan_determinismE0ELb0ELb0ES3_N6thrust23THRUST_200600_302600_NS6detail15normal_iteratorINS9_10device_ptrIiEEEESE_i11max_functorIiEiEEDaPvRmT3_T4_T5_mT6_P12ihipStream_tbENKUlT_T0_E_clISt17integral_constantIbLb0EESU_EEDaSP_SQ_EUlSP_E0_NS1_11comp_targetILNS1_3genE10ELNS1_11target_archE1201ELNS1_3gpuE5ELNS1_3repE0EEENS1_30default_config_static_selectorELNS0_4arch9wavefront6targetE1EEEvT1_,@function
_ZN7rocprim17ROCPRIM_400000_NS6detail17trampoline_kernelINS0_14default_configENS1_20scan_config_selectorIiEEZZNS1_9scan_implILNS1_25lookback_scan_determinismE0ELb0ELb0ES3_N6thrust23THRUST_200600_302600_NS6detail15normal_iteratorINS9_10device_ptrIiEEEESE_i11max_functorIiEiEEDaPvRmT3_T4_T5_mT6_P12ihipStream_tbENKUlT_T0_E_clISt17integral_constantIbLb0EESU_EEDaSP_SQ_EUlSP_E0_NS1_11comp_targetILNS1_3genE10ELNS1_11target_archE1201ELNS1_3gpuE5ELNS1_3repE0EEENS1_30default_config_static_selectorELNS0_4arch9wavefront6targetE1EEEvT1_: ; @_ZN7rocprim17ROCPRIM_400000_NS6detail17trampoline_kernelINS0_14default_configENS1_20scan_config_selectorIiEEZZNS1_9scan_implILNS1_25lookback_scan_determinismE0ELb0ELb0ES3_N6thrust23THRUST_200600_302600_NS6detail15normal_iteratorINS9_10device_ptrIiEEEESE_i11max_functorIiEiEEDaPvRmT3_T4_T5_mT6_P12ihipStream_tbENKUlT_T0_E_clISt17integral_constantIbLb0EESU_EEDaSP_SQ_EUlSP_E0_NS1_11comp_targetILNS1_3genE10ELNS1_11target_archE1201ELNS1_3gpuE5ELNS1_3repE0EEENS1_30default_config_static_selectorELNS0_4arch9wavefront6targetE1EEEvT1_
; %bb.0:
	.section	.rodata,"a",@progbits
	.p2align	6, 0x0
	.amdhsa_kernel _ZN7rocprim17ROCPRIM_400000_NS6detail17trampoline_kernelINS0_14default_configENS1_20scan_config_selectorIiEEZZNS1_9scan_implILNS1_25lookback_scan_determinismE0ELb0ELb0ES3_N6thrust23THRUST_200600_302600_NS6detail15normal_iteratorINS9_10device_ptrIiEEEESE_i11max_functorIiEiEEDaPvRmT3_T4_T5_mT6_P12ihipStream_tbENKUlT_T0_E_clISt17integral_constantIbLb0EESU_EEDaSP_SQ_EUlSP_E0_NS1_11comp_targetILNS1_3genE10ELNS1_11target_archE1201ELNS1_3gpuE5ELNS1_3repE0EEENS1_30default_config_static_selectorELNS0_4arch9wavefront6targetE1EEEvT1_
		.amdhsa_group_segment_fixed_size 0
		.amdhsa_private_segment_fixed_size 0
		.amdhsa_kernarg_size 32
		.amdhsa_user_sgpr_count 6
		.amdhsa_user_sgpr_private_segment_buffer 1
		.amdhsa_user_sgpr_dispatch_ptr 0
		.amdhsa_user_sgpr_queue_ptr 0
		.amdhsa_user_sgpr_kernarg_segment_ptr 1
		.amdhsa_user_sgpr_dispatch_id 0
		.amdhsa_user_sgpr_flat_scratch_init 0
		.amdhsa_user_sgpr_kernarg_preload_length 0
		.amdhsa_user_sgpr_kernarg_preload_offset 0
		.amdhsa_user_sgpr_private_segment_size 0
		.amdhsa_uses_dynamic_stack 0
		.amdhsa_system_sgpr_private_segment_wavefront_offset 0
		.amdhsa_system_sgpr_workgroup_id_x 1
		.amdhsa_system_sgpr_workgroup_id_y 0
		.amdhsa_system_sgpr_workgroup_id_z 0
		.amdhsa_system_sgpr_workgroup_info 0
		.amdhsa_system_vgpr_workitem_id 0
		.amdhsa_next_free_vgpr 1
		.amdhsa_next_free_sgpr 0
		.amdhsa_accum_offset 4
		.amdhsa_reserve_vcc 0
		.amdhsa_reserve_flat_scratch 0
		.amdhsa_float_round_mode_32 0
		.amdhsa_float_round_mode_16_64 0
		.amdhsa_float_denorm_mode_32 3
		.amdhsa_float_denorm_mode_16_64 3
		.amdhsa_dx10_clamp 1
		.amdhsa_ieee_mode 1
		.amdhsa_fp16_overflow 0
		.amdhsa_tg_split 0
		.amdhsa_exception_fp_ieee_invalid_op 0
		.amdhsa_exception_fp_denorm_src 0
		.amdhsa_exception_fp_ieee_div_zero 0
		.amdhsa_exception_fp_ieee_overflow 0
		.amdhsa_exception_fp_ieee_underflow 0
		.amdhsa_exception_fp_ieee_inexact 0
		.amdhsa_exception_int_div_zero 0
	.end_amdhsa_kernel
	.section	.text._ZN7rocprim17ROCPRIM_400000_NS6detail17trampoline_kernelINS0_14default_configENS1_20scan_config_selectorIiEEZZNS1_9scan_implILNS1_25lookback_scan_determinismE0ELb0ELb0ES3_N6thrust23THRUST_200600_302600_NS6detail15normal_iteratorINS9_10device_ptrIiEEEESE_i11max_functorIiEiEEDaPvRmT3_T4_T5_mT6_P12ihipStream_tbENKUlT_T0_E_clISt17integral_constantIbLb0EESU_EEDaSP_SQ_EUlSP_E0_NS1_11comp_targetILNS1_3genE10ELNS1_11target_archE1201ELNS1_3gpuE5ELNS1_3repE0EEENS1_30default_config_static_selectorELNS0_4arch9wavefront6targetE1EEEvT1_,"axG",@progbits,_ZN7rocprim17ROCPRIM_400000_NS6detail17trampoline_kernelINS0_14default_configENS1_20scan_config_selectorIiEEZZNS1_9scan_implILNS1_25lookback_scan_determinismE0ELb0ELb0ES3_N6thrust23THRUST_200600_302600_NS6detail15normal_iteratorINS9_10device_ptrIiEEEESE_i11max_functorIiEiEEDaPvRmT3_T4_T5_mT6_P12ihipStream_tbENKUlT_T0_E_clISt17integral_constantIbLb0EESU_EEDaSP_SQ_EUlSP_E0_NS1_11comp_targetILNS1_3genE10ELNS1_11target_archE1201ELNS1_3gpuE5ELNS1_3repE0EEENS1_30default_config_static_selectorELNS0_4arch9wavefront6targetE1EEEvT1_,comdat
.Lfunc_end2716:
	.size	_ZN7rocprim17ROCPRIM_400000_NS6detail17trampoline_kernelINS0_14default_configENS1_20scan_config_selectorIiEEZZNS1_9scan_implILNS1_25lookback_scan_determinismE0ELb0ELb0ES3_N6thrust23THRUST_200600_302600_NS6detail15normal_iteratorINS9_10device_ptrIiEEEESE_i11max_functorIiEiEEDaPvRmT3_T4_T5_mT6_P12ihipStream_tbENKUlT_T0_E_clISt17integral_constantIbLb0EESU_EEDaSP_SQ_EUlSP_E0_NS1_11comp_targetILNS1_3genE10ELNS1_11target_archE1201ELNS1_3gpuE5ELNS1_3repE0EEENS1_30default_config_static_selectorELNS0_4arch9wavefront6targetE1EEEvT1_, .Lfunc_end2716-_ZN7rocprim17ROCPRIM_400000_NS6detail17trampoline_kernelINS0_14default_configENS1_20scan_config_selectorIiEEZZNS1_9scan_implILNS1_25lookback_scan_determinismE0ELb0ELb0ES3_N6thrust23THRUST_200600_302600_NS6detail15normal_iteratorINS9_10device_ptrIiEEEESE_i11max_functorIiEiEEDaPvRmT3_T4_T5_mT6_P12ihipStream_tbENKUlT_T0_E_clISt17integral_constantIbLb0EESU_EEDaSP_SQ_EUlSP_E0_NS1_11comp_targetILNS1_3genE10ELNS1_11target_archE1201ELNS1_3gpuE5ELNS1_3repE0EEENS1_30default_config_static_selectorELNS0_4arch9wavefront6targetE1EEEvT1_
                                        ; -- End function
	.section	.AMDGPU.csdata,"",@progbits
; Kernel info:
; codeLenInByte = 0
; NumSgprs: 4
; NumVgprs: 0
; NumAgprs: 0
; TotalNumVgprs: 0
; ScratchSize: 0
; MemoryBound: 0
; FloatMode: 240
; IeeeMode: 1
; LDSByteSize: 0 bytes/workgroup (compile time only)
; SGPRBlocks: 0
; VGPRBlocks: 0
; NumSGPRsForWavesPerEU: 4
; NumVGPRsForWavesPerEU: 1
; AccumOffset: 4
; Occupancy: 8
; WaveLimiterHint : 0
; COMPUTE_PGM_RSRC2:SCRATCH_EN: 0
; COMPUTE_PGM_RSRC2:USER_SGPR: 6
; COMPUTE_PGM_RSRC2:TRAP_HANDLER: 0
; COMPUTE_PGM_RSRC2:TGID_X_EN: 1
; COMPUTE_PGM_RSRC2:TGID_Y_EN: 0
; COMPUTE_PGM_RSRC2:TGID_Z_EN: 0
; COMPUTE_PGM_RSRC2:TIDIG_COMP_CNT: 0
; COMPUTE_PGM_RSRC3_GFX90A:ACCUM_OFFSET: 0
; COMPUTE_PGM_RSRC3_GFX90A:TG_SPLIT: 0
	.section	.text._ZN7rocprim17ROCPRIM_400000_NS6detail17trampoline_kernelINS0_14default_configENS1_20scan_config_selectorIiEEZZNS1_9scan_implILNS1_25lookback_scan_determinismE0ELb0ELb0ES3_N6thrust23THRUST_200600_302600_NS6detail15normal_iteratorINS9_10device_ptrIiEEEESE_i11max_functorIiEiEEDaPvRmT3_T4_T5_mT6_P12ihipStream_tbENKUlT_T0_E_clISt17integral_constantIbLb0EESU_EEDaSP_SQ_EUlSP_E0_NS1_11comp_targetILNS1_3genE10ELNS1_11target_archE1200ELNS1_3gpuE4ELNS1_3repE0EEENS1_30default_config_static_selectorELNS0_4arch9wavefront6targetE1EEEvT1_,"axG",@progbits,_ZN7rocprim17ROCPRIM_400000_NS6detail17trampoline_kernelINS0_14default_configENS1_20scan_config_selectorIiEEZZNS1_9scan_implILNS1_25lookback_scan_determinismE0ELb0ELb0ES3_N6thrust23THRUST_200600_302600_NS6detail15normal_iteratorINS9_10device_ptrIiEEEESE_i11max_functorIiEiEEDaPvRmT3_T4_T5_mT6_P12ihipStream_tbENKUlT_T0_E_clISt17integral_constantIbLb0EESU_EEDaSP_SQ_EUlSP_E0_NS1_11comp_targetILNS1_3genE10ELNS1_11target_archE1200ELNS1_3gpuE4ELNS1_3repE0EEENS1_30default_config_static_selectorELNS0_4arch9wavefront6targetE1EEEvT1_,comdat
	.protected	_ZN7rocprim17ROCPRIM_400000_NS6detail17trampoline_kernelINS0_14default_configENS1_20scan_config_selectorIiEEZZNS1_9scan_implILNS1_25lookback_scan_determinismE0ELb0ELb0ES3_N6thrust23THRUST_200600_302600_NS6detail15normal_iteratorINS9_10device_ptrIiEEEESE_i11max_functorIiEiEEDaPvRmT3_T4_T5_mT6_P12ihipStream_tbENKUlT_T0_E_clISt17integral_constantIbLb0EESU_EEDaSP_SQ_EUlSP_E0_NS1_11comp_targetILNS1_3genE10ELNS1_11target_archE1200ELNS1_3gpuE4ELNS1_3repE0EEENS1_30default_config_static_selectorELNS0_4arch9wavefront6targetE1EEEvT1_ ; -- Begin function _ZN7rocprim17ROCPRIM_400000_NS6detail17trampoline_kernelINS0_14default_configENS1_20scan_config_selectorIiEEZZNS1_9scan_implILNS1_25lookback_scan_determinismE0ELb0ELb0ES3_N6thrust23THRUST_200600_302600_NS6detail15normal_iteratorINS9_10device_ptrIiEEEESE_i11max_functorIiEiEEDaPvRmT3_T4_T5_mT6_P12ihipStream_tbENKUlT_T0_E_clISt17integral_constantIbLb0EESU_EEDaSP_SQ_EUlSP_E0_NS1_11comp_targetILNS1_3genE10ELNS1_11target_archE1200ELNS1_3gpuE4ELNS1_3repE0EEENS1_30default_config_static_selectorELNS0_4arch9wavefront6targetE1EEEvT1_
	.globl	_ZN7rocprim17ROCPRIM_400000_NS6detail17trampoline_kernelINS0_14default_configENS1_20scan_config_selectorIiEEZZNS1_9scan_implILNS1_25lookback_scan_determinismE0ELb0ELb0ES3_N6thrust23THRUST_200600_302600_NS6detail15normal_iteratorINS9_10device_ptrIiEEEESE_i11max_functorIiEiEEDaPvRmT3_T4_T5_mT6_P12ihipStream_tbENKUlT_T0_E_clISt17integral_constantIbLb0EESU_EEDaSP_SQ_EUlSP_E0_NS1_11comp_targetILNS1_3genE10ELNS1_11target_archE1200ELNS1_3gpuE4ELNS1_3repE0EEENS1_30default_config_static_selectorELNS0_4arch9wavefront6targetE1EEEvT1_
	.p2align	8
	.type	_ZN7rocprim17ROCPRIM_400000_NS6detail17trampoline_kernelINS0_14default_configENS1_20scan_config_selectorIiEEZZNS1_9scan_implILNS1_25lookback_scan_determinismE0ELb0ELb0ES3_N6thrust23THRUST_200600_302600_NS6detail15normal_iteratorINS9_10device_ptrIiEEEESE_i11max_functorIiEiEEDaPvRmT3_T4_T5_mT6_P12ihipStream_tbENKUlT_T0_E_clISt17integral_constantIbLb0EESU_EEDaSP_SQ_EUlSP_E0_NS1_11comp_targetILNS1_3genE10ELNS1_11target_archE1200ELNS1_3gpuE4ELNS1_3repE0EEENS1_30default_config_static_selectorELNS0_4arch9wavefront6targetE1EEEvT1_,@function
_ZN7rocprim17ROCPRIM_400000_NS6detail17trampoline_kernelINS0_14default_configENS1_20scan_config_selectorIiEEZZNS1_9scan_implILNS1_25lookback_scan_determinismE0ELb0ELb0ES3_N6thrust23THRUST_200600_302600_NS6detail15normal_iteratorINS9_10device_ptrIiEEEESE_i11max_functorIiEiEEDaPvRmT3_T4_T5_mT6_P12ihipStream_tbENKUlT_T0_E_clISt17integral_constantIbLb0EESU_EEDaSP_SQ_EUlSP_E0_NS1_11comp_targetILNS1_3genE10ELNS1_11target_archE1200ELNS1_3gpuE4ELNS1_3repE0EEENS1_30default_config_static_selectorELNS0_4arch9wavefront6targetE1EEEvT1_: ; @_ZN7rocprim17ROCPRIM_400000_NS6detail17trampoline_kernelINS0_14default_configENS1_20scan_config_selectorIiEEZZNS1_9scan_implILNS1_25lookback_scan_determinismE0ELb0ELb0ES3_N6thrust23THRUST_200600_302600_NS6detail15normal_iteratorINS9_10device_ptrIiEEEESE_i11max_functorIiEiEEDaPvRmT3_T4_T5_mT6_P12ihipStream_tbENKUlT_T0_E_clISt17integral_constantIbLb0EESU_EEDaSP_SQ_EUlSP_E0_NS1_11comp_targetILNS1_3genE10ELNS1_11target_archE1200ELNS1_3gpuE4ELNS1_3repE0EEENS1_30default_config_static_selectorELNS0_4arch9wavefront6targetE1EEEvT1_
; %bb.0:
	.section	.rodata,"a",@progbits
	.p2align	6, 0x0
	.amdhsa_kernel _ZN7rocprim17ROCPRIM_400000_NS6detail17trampoline_kernelINS0_14default_configENS1_20scan_config_selectorIiEEZZNS1_9scan_implILNS1_25lookback_scan_determinismE0ELb0ELb0ES3_N6thrust23THRUST_200600_302600_NS6detail15normal_iteratorINS9_10device_ptrIiEEEESE_i11max_functorIiEiEEDaPvRmT3_T4_T5_mT6_P12ihipStream_tbENKUlT_T0_E_clISt17integral_constantIbLb0EESU_EEDaSP_SQ_EUlSP_E0_NS1_11comp_targetILNS1_3genE10ELNS1_11target_archE1200ELNS1_3gpuE4ELNS1_3repE0EEENS1_30default_config_static_selectorELNS0_4arch9wavefront6targetE1EEEvT1_
		.amdhsa_group_segment_fixed_size 0
		.amdhsa_private_segment_fixed_size 0
		.amdhsa_kernarg_size 32
		.amdhsa_user_sgpr_count 6
		.amdhsa_user_sgpr_private_segment_buffer 1
		.amdhsa_user_sgpr_dispatch_ptr 0
		.amdhsa_user_sgpr_queue_ptr 0
		.amdhsa_user_sgpr_kernarg_segment_ptr 1
		.amdhsa_user_sgpr_dispatch_id 0
		.amdhsa_user_sgpr_flat_scratch_init 0
		.amdhsa_user_sgpr_kernarg_preload_length 0
		.amdhsa_user_sgpr_kernarg_preload_offset 0
		.amdhsa_user_sgpr_private_segment_size 0
		.amdhsa_uses_dynamic_stack 0
		.amdhsa_system_sgpr_private_segment_wavefront_offset 0
		.amdhsa_system_sgpr_workgroup_id_x 1
		.amdhsa_system_sgpr_workgroup_id_y 0
		.amdhsa_system_sgpr_workgroup_id_z 0
		.amdhsa_system_sgpr_workgroup_info 0
		.amdhsa_system_vgpr_workitem_id 0
		.amdhsa_next_free_vgpr 1
		.amdhsa_next_free_sgpr 0
		.amdhsa_accum_offset 4
		.amdhsa_reserve_vcc 0
		.amdhsa_reserve_flat_scratch 0
		.amdhsa_float_round_mode_32 0
		.amdhsa_float_round_mode_16_64 0
		.amdhsa_float_denorm_mode_32 3
		.amdhsa_float_denorm_mode_16_64 3
		.amdhsa_dx10_clamp 1
		.amdhsa_ieee_mode 1
		.amdhsa_fp16_overflow 0
		.amdhsa_tg_split 0
		.amdhsa_exception_fp_ieee_invalid_op 0
		.amdhsa_exception_fp_denorm_src 0
		.amdhsa_exception_fp_ieee_div_zero 0
		.amdhsa_exception_fp_ieee_overflow 0
		.amdhsa_exception_fp_ieee_underflow 0
		.amdhsa_exception_fp_ieee_inexact 0
		.amdhsa_exception_int_div_zero 0
	.end_amdhsa_kernel
	.section	.text._ZN7rocprim17ROCPRIM_400000_NS6detail17trampoline_kernelINS0_14default_configENS1_20scan_config_selectorIiEEZZNS1_9scan_implILNS1_25lookback_scan_determinismE0ELb0ELb0ES3_N6thrust23THRUST_200600_302600_NS6detail15normal_iteratorINS9_10device_ptrIiEEEESE_i11max_functorIiEiEEDaPvRmT3_T4_T5_mT6_P12ihipStream_tbENKUlT_T0_E_clISt17integral_constantIbLb0EESU_EEDaSP_SQ_EUlSP_E0_NS1_11comp_targetILNS1_3genE10ELNS1_11target_archE1200ELNS1_3gpuE4ELNS1_3repE0EEENS1_30default_config_static_selectorELNS0_4arch9wavefront6targetE1EEEvT1_,"axG",@progbits,_ZN7rocprim17ROCPRIM_400000_NS6detail17trampoline_kernelINS0_14default_configENS1_20scan_config_selectorIiEEZZNS1_9scan_implILNS1_25lookback_scan_determinismE0ELb0ELb0ES3_N6thrust23THRUST_200600_302600_NS6detail15normal_iteratorINS9_10device_ptrIiEEEESE_i11max_functorIiEiEEDaPvRmT3_T4_T5_mT6_P12ihipStream_tbENKUlT_T0_E_clISt17integral_constantIbLb0EESU_EEDaSP_SQ_EUlSP_E0_NS1_11comp_targetILNS1_3genE10ELNS1_11target_archE1200ELNS1_3gpuE4ELNS1_3repE0EEENS1_30default_config_static_selectorELNS0_4arch9wavefront6targetE1EEEvT1_,comdat
.Lfunc_end2717:
	.size	_ZN7rocprim17ROCPRIM_400000_NS6detail17trampoline_kernelINS0_14default_configENS1_20scan_config_selectorIiEEZZNS1_9scan_implILNS1_25lookback_scan_determinismE0ELb0ELb0ES3_N6thrust23THRUST_200600_302600_NS6detail15normal_iteratorINS9_10device_ptrIiEEEESE_i11max_functorIiEiEEDaPvRmT3_T4_T5_mT6_P12ihipStream_tbENKUlT_T0_E_clISt17integral_constantIbLb0EESU_EEDaSP_SQ_EUlSP_E0_NS1_11comp_targetILNS1_3genE10ELNS1_11target_archE1200ELNS1_3gpuE4ELNS1_3repE0EEENS1_30default_config_static_selectorELNS0_4arch9wavefront6targetE1EEEvT1_, .Lfunc_end2717-_ZN7rocprim17ROCPRIM_400000_NS6detail17trampoline_kernelINS0_14default_configENS1_20scan_config_selectorIiEEZZNS1_9scan_implILNS1_25lookback_scan_determinismE0ELb0ELb0ES3_N6thrust23THRUST_200600_302600_NS6detail15normal_iteratorINS9_10device_ptrIiEEEESE_i11max_functorIiEiEEDaPvRmT3_T4_T5_mT6_P12ihipStream_tbENKUlT_T0_E_clISt17integral_constantIbLb0EESU_EEDaSP_SQ_EUlSP_E0_NS1_11comp_targetILNS1_3genE10ELNS1_11target_archE1200ELNS1_3gpuE4ELNS1_3repE0EEENS1_30default_config_static_selectorELNS0_4arch9wavefront6targetE1EEEvT1_
                                        ; -- End function
	.section	.AMDGPU.csdata,"",@progbits
; Kernel info:
; codeLenInByte = 0
; NumSgprs: 4
; NumVgprs: 0
; NumAgprs: 0
; TotalNumVgprs: 0
; ScratchSize: 0
; MemoryBound: 0
; FloatMode: 240
; IeeeMode: 1
; LDSByteSize: 0 bytes/workgroup (compile time only)
; SGPRBlocks: 0
; VGPRBlocks: 0
; NumSGPRsForWavesPerEU: 4
; NumVGPRsForWavesPerEU: 1
; AccumOffset: 4
; Occupancy: 8
; WaveLimiterHint : 0
; COMPUTE_PGM_RSRC2:SCRATCH_EN: 0
; COMPUTE_PGM_RSRC2:USER_SGPR: 6
; COMPUTE_PGM_RSRC2:TRAP_HANDLER: 0
; COMPUTE_PGM_RSRC2:TGID_X_EN: 1
; COMPUTE_PGM_RSRC2:TGID_Y_EN: 0
; COMPUTE_PGM_RSRC2:TGID_Z_EN: 0
; COMPUTE_PGM_RSRC2:TIDIG_COMP_CNT: 0
; COMPUTE_PGM_RSRC3_GFX90A:ACCUM_OFFSET: 0
; COMPUTE_PGM_RSRC3_GFX90A:TG_SPLIT: 0
	.section	.text._ZN7rocprim17ROCPRIM_400000_NS6detail17trampoline_kernelINS0_14default_configENS1_20scan_config_selectorIiEEZZNS1_9scan_implILNS1_25lookback_scan_determinismE0ELb0ELb0ES3_N6thrust23THRUST_200600_302600_NS6detail15normal_iteratorINS9_10device_ptrIiEEEESE_i11max_functorIiEiEEDaPvRmT3_T4_T5_mT6_P12ihipStream_tbENKUlT_T0_E_clISt17integral_constantIbLb0EESU_EEDaSP_SQ_EUlSP_E0_NS1_11comp_targetILNS1_3genE9ELNS1_11target_archE1100ELNS1_3gpuE3ELNS1_3repE0EEENS1_30default_config_static_selectorELNS0_4arch9wavefront6targetE1EEEvT1_,"axG",@progbits,_ZN7rocprim17ROCPRIM_400000_NS6detail17trampoline_kernelINS0_14default_configENS1_20scan_config_selectorIiEEZZNS1_9scan_implILNS1_25lookback_scan_determinismE0ELb0ELb0ES3_N6thrust23THRUST_200600_302600_NS6detail15normal_iteratorINS9_10device_ptrIiEEEESE_i11max_functorIiEiEEDaPvRmT3_T4_T5_mT6_P12ihipStream_tbENKUlT_T0_E_clISt17integral_constantIbLb0EESU_EEDaSP_SQ_EUlSP_E0_NS1_11comp_targetILNS1_3genE9ELNS1_11target_archE1100ELNS1_3gpuE3ELNS1_3repE0EEENS1_30default_config_static_selectorELNS0_4arch9wavefront6targetE1EEEvT1_,comdat
	.protected	_ZN7rocprim17ROCPRIM_400000_NS6detail17trampoline_kernelINS0_14default_configENS1_20scan_config_selectorIiEEZZNS1_9scan_implILNS1_25lookback_scan_determinismE0ELb0ELb0ES3_N6thrust23THRUST_200600_302600_NS6detail15normal_iteratorINS9_10device_ptrIiEEEESE_i11max_functorIiEiEEDaPvRmT3_T4_T5_mT6_P12ihipStream_tbENKUlT_T0_E_clISt17integral_constantIbLb0EESU_EEDaSP_SQ_EUlSP_E0_NS1_11comp_targetILNS1_3genE9ELNS1_11target_archE1100ELNS1_3gpuE3ELNS1_3repE0EEENS1_30default_config_static_selectorELNS0_4arch9wavefront6targetE1EEEvT1_ ; -- Begin function _ZN7rocprim17ROCPRIM_400000_NS6detail17trampoline_kernelINS0_14default_configENS1_20scan_config_selectorIiEEZZNS1_9scan_implILNS1_25lookback_scan_determinismE0ELb0ELb0ES3_N6thrust23THRUST_200600_302600_NS6detail15normal_iteratorINS9_10device_ptrIiEEEESE_i11max_functorIiEiEEDaPvRmT3_T4_T5_mT6_P12ihipStream_tbENKUlT_T0_E_clISt17integral_constantIbLb0EESU_EEDaSP_SQ_EUlSP_E0_NS1_11comp_targetILNS1_3genE9ELNS1_11target_archE1100ELNS1_3gpuE3ELNS1_3repE0EEENS1_30default_config_static_selectorELNS0_4arch9wavefront6targetE1EEEvT1_
	.globl	_ZN7rocprim17ROCPRIM_400000_NS6detail17trampoline_kernelINS0_14default_configENS1_20scan_config_selectorIiEEZZNS1_9scan_implILNS1_25lookback_scan_determinismE0ELb0ELb0ES3_N6thrust23THRUST_200600_302600_NS6detail15normal_iteratorINS9_10device_ptrIiEEEESE_i11max_functorIiEiEEDaPvRmT3_T4_T5_mT6_P12ihipStream_tbENKUlT_T0_E_clISt17integral_constantIbLb0EESU_EEDaSP_SQ_EUlSP_E0_NS1_11comp_targetILNS1_3genE9ELNS1_11target_archE1100ELNS1_3gpuE3ELNS1_3repE0EEENS1_30default_config_static_selectorELNS0_4arch9wavefront6targetE1EEEvT1_
	.p2align	8
	.type	_ZN7rocprim17ROCPRIM_400000_NS6detail17trampoline_kernelINS0_14default_configENS1_20scan_config_selectorIiEEZZNS1_9scan_implILNS1_25lookback_scan_determinismE0ELb0ELb0ES3_N6thrust23THRUST_200600_302600_NS6detail15normal_iteratorINS9_10device_ptrIiEEEESE_i11max_functorIiEiEEDaPvRmT3_T4_T5_mT6_P12ihipStream_tbENKUlT_T0_E_clISt17integral_constantIbLb0EESU_EEDaSP_SQ_EUlSP_E0_NS1_11comp_targetILNS1_3genE9ELNS1_11target_archE1100ELNS1_3gpuE3ELNS1_3repE0EEENS1_30default_config_static_selectorELNS0_4arch9wavefront6targetE1EEEvT1_,@function
_ZN7rocprim17ROCPRIM_400000_NS6detail17trampoline_kernelINS0_14default_configENS1_20scan_config_selectorIiEEZZNS1_9scan_implILNS1_25lookback_scan_determinismE0ELb0ELb0ES3_N6thrust23THRUST_200600_302600_NS6detail15normal_iteratorINS9_10device_ptrIiEEEESE_i11max_functorIiEiEEDaPvRmT3_T4_T5_mT6_P12ihipStream_tbENKUlT_T0_E_clISt17integral_constantIbLb0EESU_EEDaSP_SQ_EUlSP_E0_NS1_11comp_targetILNS1_3genE9ELNS1_11target_archE1100ELNS1_3gpuE3ELNS1_3repE0EEENS1_30default_config_static_selectorELNS0_4arch9wavefront6targetE1EEEvT1_: ; @_ZN7rocprim17ROCPRIM_400000_NS6detail17trampoline_kernelINS0_14default_configENS1_20scan_config_selectorIiEEZZNS1_9scan_implILNS1_25lookback_scan_determinismE0ELb0ELb0ES3_N6thrust23THRUST_200600_302600_NS6detail15normal_iteratorINS9_10device_ptrIiEEEESE_i11max_functorIiEiEEDaPvRmT3_T4_T5_mT6_P12ihipStream_tbENKUlT_T0_E_clISt17integral_constantIbLb0EESU_EEDaSP_SQ_EUlSP_E0_NS1_11comp_targetILNS1_3genE9ELNS1_11target_archE1100ELNS1_3gpuE3ELNS1_3repE0EEENS1_30default_config_static_selectorELNS0_4arch9wavefront6targetE1EEEvT1_
; %bb.0:
	.section	.rodata,"a",@progbits
	.p2align	6, 0x0
	.amdhsa_kernel _ZN7rocprim17ROCPRIM_400000_NS6detail17trampoline_kernelINS0_14default_configENS1_20scan_config_selectorIiEEZZNS1_9scan_implILNS1_25lookback_scan_determinismE0ELb0ELb0ES3_N6thrust23THRUST_200600_302600_NS6detail15normal_iteratorINS9_10device_ptrIiEEEESE_i11max_functorIiEiEEDaPvRmT3_T4_T5_mT6_P12ihipStream_tbENKUlT_T0_E_clISt17integral_constantIbLb0EESU_EEDaSP_SQ_EUlSP_E0_NS1_11comp_targetILNS1_3genE9ELNS1_11target_archE1100ELNS1_3gpuE3ELNS1_3repE0EEENS1_30default_config_static_selectorELNS0_4arch9wavefront6targetE1EEEvT1_
		.amdhsa_group_segment_fixed_size 0
		.amdhsa_private_segment_fixed_size 0
		.amdhsa_kernarg_size 32
		.amdhsa_user_sgpr_count 6
		.amdhsa_user_sgpr_private_segment_buffer 1
		.amdhsa_user_sgpr_dispatch_ptr 0
		.amdhsa_user_sgpr_queue_ptr 0
		.amdhsa_user_sgpr_kernarg_segment_ptr 1
		.amdhsa_user_sgpr_dispatch_id 0
		.amdhsa_user_sgpr_flat_scratch_init 0
		.amdhsa_user_sgpr_kernarg_preload_length 0
		.amdhsa_user_sgpr_kernarg_preload_offset 0
		.amdhsa_user_sgpr_private_segment_size 0
		.amdhsa_uses_dynamic_stack 0
		.amdhsa_system_sgpr_private_segment_wavefront_offset 0
		.amdhsa_system_sgpr_workgroup_id_x 1
		.amdhsa_system_sgpr_workgroup_id_y 0
		.amdhsa_system_sgpr_workgroup_id_z 0
		.amdhsa_system_sgpr_workgroup_info 0
		.amdhsa_system_vgpr_workitem_id 0
		.amdhsa_next_free_vgpr 1
		.amdhsa_next_free_sgpr 0
		.amdhsa_accum_offset 4
		.amdhsa_reserve_vcc 0
		.amdhsa_reserve_flat_scratch 0
		.amdhsa_float_round_mode_32 0
		.amdhsa_float_round_mode_16_64 0
		.amdhsa_float_denorm_mode_32 3
		.amdhsa_float_denorm_mode_16_64 3
		.amdhsa_dx10_clamp 1
		.amdhsa_ieee_mode 1
		.amdhsa_fp16_overflow 0
		.amdhsa_tg_split 0
		.amdhsa_exception_fp_ieee_invalid_op 0
		.amdhsa_exception_fp_denorm_src 0
		.amdhsa_exception_fp_ieee_div_zero 0
		.amdhsa_exception_fp_ieee_overflow 0
		.amdhsa_exception_fp_ieee_underflow 0
		.amdhsa_exception_fp_ieee_inexact 0
		.amdhsa_exception_int_div_zero 0
	.end_amdhsa_kernel
	.section	.text._ZN7rocprim17ROCPRIM_400000_NS6detail17trampoline_kernelINS0_14default_configENS1_20scan_config_selectorIiEEZZNS1_9scan_implILNS1_25lookback_scan_determinismE0ELb0ELb0ES3_N6thrust23THRUST_200600_302600_NS6detail15normal_iteratorINS9_10device_ptrIiEEEESE_i11max_functorIiEiEEDaPvRmT3_T4_T5_mT6_P12ihipStream_tbENKUlT_T0_E_clISt17integral_constantIbLb0EESU_EEDaSP_SQ_EUlSP_E0_NS1_11comp_targetILNS1_3genE9ELNS1_11target_archE1100ELNS1_3gpuE3ELNS1_3repE0EEENS1_30default_config_static_selectorELNS0_4arch9wavefront6targetE1EEEvT1_,"axG",@progbits,_ZN7rocprim17ROCPRIM_400000_NS6detail17trampoline_kernelINS0_14default_configENS1_20scan_config_selectorIiEEZZNS1_9scan_implILNS1_25lookback_scan_determinismE0ELb0ELb0ES3_N6thrust23THRUST_200600_302600_NS6detail15normal_iteratorINS9_10device_ptrIiEEEESE_i11max_functorIiEiEEDaPvRmT3_T4_T5_mT6_P12ihipStream_tbENKUlT_T0_E_clISt17integral_constantIbLb0EESU_EEDaSP_SQ_EUlSP_E0_NS1_11comp_targetILNS1_3genE9ELNS1_11target_archE1100ELNS1_3gpuE3ELNS1_3repE0EEENS1_30default_config_static_selectorELNS0_4arch9wavefront6targetE1EEEvT1_,comdat
.Lfunc_end2718:
	.size	_ZN7rocprim17ROCPRIM_400000_NS6detail17trampoline_kernelINS0_14default_configENS1_20scan_config_selectorIiEEZZNS1_9scan_implILNS1_25lookback_scan_determinismE0ELb0ELb0ES3_N6thrust23THRUST_200600_302600_NS6detail15normal_iteratorINS9_10device_ptrIiEEEESE_i11max_functorIiEiEEDaPvRmT3_T4_T5_mT6_P12ihipStream_tbENKUlT_T0_E_clISt17integral_constantIbLb0EESU_EEDaSP_SQ_EUlSP_E0_NS1_11comp_targetILNS1_3genE9ELNS1_11target_archE1100ELNS1_3gpuE3ELNS1_3repE0EEENS1_30default_config_static_selectorELNS0_4arch9wavefront6targetE1EEEvT1_, .Lfunc_end2718-_ZN7rocprim17ROCPRIM_400000_NS6detail17trampoline_kernelINS0_14default_configENS1_20scan_config_selectorIiEEZZNS1_9scan_implILNS1_25lookback_scan_determinismE0ELb0ELb0ES3_N6thrust23THRUST_200600_302600_NS6detail15normal_iteratorINS9_10device_ptrIiEEEESE_i11max_functorIiEiEEDaPvRmT3_T4_T5_mT6_P12ihipStream_tbENKUlT_T0_E_clISt17integral_constantIbLb0EESU_EEDaSP_SQ_EUlSP_E0_NS1_11comp_targetILNS1_3genE9ELNS1_11target_archE1100ELNS1_3gpuE3ELNS1_3repE0EEENS1_30default_config_static_selectorELNS0_4arch9wavefront6targetE1EEEvT1_
                                        ; -- End function
	.section	.AMDGPU.csdata,"",@progbits
; Kernel info:
; codeLenInByte = 0
; NumSgprs: 4
; NumVgprs: 0
; NumAgprs: 0
; TotalNumVgprs: 0
; ScratchSize: 0
; MemoryBound: 0
; FloatMode: 240
; IeeeMode: 1
; LDSByteSize: 0 bytes/workgroup (compile time only)
; SGPRBlocks: 0
; VGPRBlocks: 0
; NumSGPRsForWavesPerEU: 4
; NumVGPRsForWavesPerEU: 1
; AccumOffset: 4
; Occupancy: 8
; WaveLimiterHint : 0
; COMPUTE_PGM_RSRC2:SCRATCH_EN: 0
; COMPUTE_PGM_RSRC2:USER_SGPR: 6
; COMPUTE_PGM_RSRC2:TRAP_HANDLER: 0
; COMPUTE_PGM_RSRC2:TGID_X_EN: 1
; COMPUTE_PGM_RSRC2:TGID_Y_EN: 0
; COMPUTE_PGM_RSRC2:TGID_Z_EN: 0
; COMPUTE_PGM_RSRC2:TIDIG_COMP_CNT: 0
; COMPUTE_PGM_RSRC3_GFX90A:ACCUM_OFFSET: 0
; COMPUTE_PGM_RSRC3_GFX90A:TG_SPLIT: 0
	.section	.text._ZN7rocprim17ROCPRIM_400000_NS6detail17trampoline_kernelINS0_14default_configENS1_20scan_config_selectorIiEEZZNS1_9scan_implILNS1_25lookback_scan_determinismE0ELb0ELb0ES3_N6thrust23THRUST_200600_302600_NS6detail15normal_iteratorINS9_10device_ptrIiEEEESE_i11max_functorIiEiEEDaPvRmT3_T4_T5_mT6_P12ihipStream_tbENKUlT_T0_E_clISt17integral_constantIbLb0EESU_EEDaSP_SQ_EUlSP_E0_NS1_11comp_targetILNS1_3genE8ELNS1_11target_archE1030ELNS1_3gpuE2ELNS1_3repE0EEENS1_30default_config_static_selectorELNS0_4arch9wavefront6targetE1EEEvT1_,"axG",@progbits,_ZN7rocprim17ROCPRIM_400000_NS6detail17trampoline_kernelINS0_14default_configENS1_20scan_config_selectorIiEEZZNS1_9scan_implILNS1_25lookback_scan_determinismE0ELb0ELb0ES3_N6thrust23THRUST_200600_302600_NS6detail15normal_iteratorINS9_10device_ptrIiEEEESE_i11max_functorIiEiEEDaPvRmT3_T4_T5_mT6_P12ihipStream_tbENKUlT_T0_E_clISt17integral_constantIbLb0EESU_EEDaSP_SQ_EUlSP_E0_NS1_11comp_targetILNS1_3genE8ELNS1_11target_archE1030ELNS1_3gpuE2ELNS1_3repE0EEENS1_30default_config_static_selectorELNS0_4arch9wavefront6targetE1EEEvT1_,comdat
	.protected	_ZN7rocprim17ROCPRIM_400000_NS6detail17trampoline_kernelINS0_14default_configENS1_20scan_config_selectorIiEEZZNS1_9scan_implILNS1_25lookback_scan_determinismE0ELb0ELb0ES3_N6thrust23THRUST_200600_302600_NS6detail15normal_iteratorINS9_10device_ptrIiEEEESE_i11max_functorIiEiEEDaPvRmT3_T4_T5_mT6_P12ihipStream_tbENKUlT_T0_E_clISt17integral_constantIbLb0EESU_EEDaSP_SQ_EUlSP_E0_NS1_11comp_targetILNS1_3genE8ELNS1_11target_archE1030ELNS1_3gpuE2ELNS1_3repE0EEENS1_30default_config_static_selectorELNS0_4arch9wavefront6targetE1EEEvT1_ ; -- Begin function _ZN7rocprim17ROCPRIM_400000_NS6detail17trampoline_kernelINS0_14default_configENS1_20scan_config_selectorIiEEZZNS1_9scan_implILNS1_25lookback_scan_determinismE0ELb0ELb0ES3_N6thrust23THRUST_200600_302600_NS6detail15normal_iteratorINS9_10device_ptrIiEEEESE_i11max_functorIiEiEEDaPvRmT3_T4_T5_mT6_P12ihipStream_tbENKUlT_T0_E_clISt17integral_constantIbLb0EESU_EEDaSP_SQ_EUlSP_E0_NS1_11comp_targetILNS1_3genE8ELNS1_11target_archE1030ELNS1_3gpuE2ELNS1_3repE0EEENS1_30default_config_static_selectorELNS0_4arch9wavefront6targetE1EEEvT1_
	.globl	_ZN7rocprim17ROCPRIM_400000_NS6detail17trampoline_kernelINS0_14default_configENS1_20scan_config_selectorIiEEZZNS1_9scan_implILNS1_25lookback_scan_determinismE0ELb0ELb0ES3_N6thrust23THRUST_200600_302600_NS6detail15normal_iteratorINS9_10device_ptrIiEEEESE_i11max_functorIiEiEEDaPvRmT3_T4_T5_mT6_P12ihipStream_tbENKUlT_T0_E_clISt17integral_constantIbLb0EESU_EEDaSP_SQ_EUlSP_E0_NS1_11comp_targetILNS1_3genE8ELNS1_11target_archE1030ELNS1_3gpuE2ELNS1_3repE0EEENS1_30default_config_static_selectorELNS0_4arch9wavefront6targetE1EEEvT1_
	.p2align	8
	.type	_ZN7rocprim17ROCPRIM_400000_NS6detail17trampoline_kernelINS0_14default_configENS1_20scan_config_selectorIiEEZZNS1_9scan_implILNS1_25lookback_scan_determinismE0ELb0ELb0ES3_N6thrust23THRUST_200600_302600_NS6detail15normal_iteratorINS9_10device_ptrIiEEEESE_i11max_functorIiEiEEDaPvRmT3_T4_T5_mT6_P12ihipStream_tbENKUlT_T0_E_clISt17integral_constantIbLb0EESU_EEDaSP_SQ_EUlSP_E0_NS1_11comp_targetILNS1_3genE8ELNS1_11target_archE1030ELNS1_3gpuE2ELNS1_3repE0EEENS1_30default_config_static_selectorELNS0_4arch9wavefront6targetE1EEEvT1_,@function
_ZN7rocprim17ROCPRIM_400000_NS6detail17trampoline_kernelINS0_14default_configENS1_20scan_config_selectorIiEEZZNS1_9scan_implILNS1_25lookback_scan_determinismE0ELb0ELb0ES3_N6thrust23THRUST_200600_302600_NS6detail15normal_iteratorINS9_10device_ptrIiEEEESE_i11max_functorIiEiEEDaPvRmT3_T4_T5_mT6_P12ihipStream_tbENKUlT_T0_E_clISt17integral_constantIbLb0EESU_EEDaSP_SQ_EUlSP_E0_NS1_11comp_targetILNS1_3genE8ELNS1_11target_archE1030ELNS1_3gpuE2ELNS1_3repE0EEENS1_30default_config_static_selectorELNS0_4arch9wavefront6targetE1EEEvT1_: ; @_ZN7rocprim17ROCPRIM_400000_NS6detail17trampoline_kernelINS0_14default_configENS1_20scan_config_selectorIiEEZZNS1_9scan_implILNS1_25lookback_scan_determinismE0ELb0ELb0ES3_N6thrust23THRUST_200600_302600_NS6detail15normal_iteratorINS9_10device_ptrIiEEEESE_i11max_functorIiEiEEDaPvRmT3_T4_T5_mT6_P12ihipStream_tbENKUlT_T0_E_clISt17integral_constantIbLb0EESU_EEDaSP_SQ_EUlSP_E0_NS1_11comp_targetILNS1_3genE8ELNS1_11target_archE1030ELNS1_3gpuE2ELNS1_3repE0EEENS1_30default_config_static_selectorELNS0_4arch9wavefront6targetE1EEEvT1_
; %bb.0:
	.section	.rodata,"a",@progbits
	.p2align	6, 0x0
	.amdhsa_kernel _ZN7rocprim17ROCPRIM_400000_NS6detail17trampoline_kernelINS0_14default_configENS1_20scan_config_selectorIiEEZZNS1_9scan_implILNS1_25lookback_scan_determinismE0ELb0ELb0ES3_N6thrust23THRUST_200600_302600_NS6detail15normal_iteratorINS9_10device_ptrIiEEEESE_i11max_functorIiEiEEDaPvRmT3_T4_T5_mT6_P12ihipStream_tbENKUlT_T0_E_clISt17integral_constantIbLb0EESU_EEDaSP_SQ_EUlSP_E0_NS1_11comp_targetILNS1_3genE8ELNS1_11target_archE1030ELNS1_3gpuE2ELNS1_3repE0EEENS1_30default_config_static_selectorELNS0_4arch9wavefront6targetE1EEEvT1_
		.amdhsa_group_segment_fixed_size 0
		.amdhsa_private_segment_fixed_size 0
		.amdhsa_kernarg_size 32
		.amdhsa_user_sgpr_count 6
		.amdhsa_user_sgpr_private_segment_buffer 1
		.amdhsa_user_sgpr_dispatch_ptr 0
		.amdhsa_user_sgpr_queue_ptr 0
		.amdhsa_user_sgpr_kernarg_segment_ptr 1
		.amdhsa_user_sgpr_dispatch_id 0
		.amdhsa_user_sgpr_flat_scratch_init 0
		.amdhsa_user_sgpr_kernarg_preload_length 0
		.amdhsa_user_sgpr_kernarg_preload_offset 0
		.amdhsa_user_sgpr_private_segment_size 0
		.amdhsa_uses_dynamic_stack 0
		.amdhsa_system_sgpr_private_segment_wavefront_offset 0
		.amdhsa_system_sgpr_workgroup_id_x 1
		.amdhsa_system_sgpr_workgroup_id_y 0
		.amdhsa_system_sgpr_workgroup_id_z 0
		.amdhsa_system_sgpr_workgroup_info 0
		.amdhsa_system_vgpr_workitem_id 0
		.amdhsa_next_free_vgpr 1
		.amdhsa_next_free_sgpr 0
		.amdhsa_accum_offset 4
		.amdhsa_reserve_vcc 0
		.amdhsa_reserve_flat_scratch 0
		.amdhsa_float_round_mode_32 0
		.amdhsa_float_round_mode_16_64 0
		.amdhsa_float_denorm_mode_32 3
		.amdhsa_float_denorm_mode_16_64 3
		.amdhsa_dx10_clamp 1
		.amdhsa_ieee_mode 1
		.amdhsa_fp16_overflow 0
		.amdhsa_tg_split 0
		.amdhsa_exception_fp_ieee_invalid_op 0
		.amdhsa_exception_fp_denorm_src 0
		.amdhsa_exception_fp_ieee_div_zero 0
		.amdhsa_exception_fp_ieee_overflow 0
		.amdhsa_exception_fp_ieee_underflow 0
		.amdhsa_exception_fp_ieee_inexact 0
		.amdhsa_exception_int_div_zero 0
	.end_amdhsa_kernel
	.section	.text._ZN7rocprim17ROCPRIM_400000_NS6detail17trampoline_kernelINS0_14default_configENS1_20scan_config_selectorIiEEZZNS1_9scan_implILNS1_25lookback_scan_determinismE0ELb0ELb0ES3_N6thrust23THRUST_200600_302600_NS6detail15normal_iteratorINS9_10device_ptrIiEEEESE_i11max_functorIiEiEEDaPvRmT3_T4_T5_mT6_P12ihipStream_tbENKUlT_T0_E_clISt17integral_constantIbLb0EESU_EEDaSP_SQ_EUlSP_E0_NS1_11comp_targetILNS1_3genE8ELNS1_11target_archE1030ELNS1_3gpuE2ELNS1_3repE0EEENS1_30default_config_static_selectorELNS0_4arch9wavefront6targetE1EEEvT1_,"axG",@progbits,_ZN7rocprim17ROCPRIM_400000_NS6detail17trampoline_kernelINS0_14default_configENS1_20scan_config_selectorIiEEZZNS1_9scan_implILNS1_25lookback_scan_determinismE0ELb0ELb0ES3_N6thrust23THRUST_200600_302600_NS6detail15normal_iteratorINS9_10device_ptrIiEEEESE_i11max_functorIiEiEEDaPvRmT3_T4_T5_mT6_P12ihipStream_tbENKUlT_T0_E_clISt17integral_constantIbLb0EESU_EEDaSP_SQ_EUlSP_E0_NS1_11comp_targetILNS1_3genE8ELNS1_11target_archE1030ELNS1_3gpuE2ELNS1_3repE0EEENS1_30default_config_static_selectorELNS0_4arch9wavefront6targetE1EEEvT1_,comdat
.Lfunc_end2719:
	.size	_ZN7rocprim17ROCPRIM_400000_NS6detail17trampoline_kernelINS0_14default_configENS1_20scan_config_selectorIiEEZZNS1_9scan_implILNS1_25lookback_scan_determinismE0ELb0ELb0ES3_N6thrust23THRUST_200600_302600_NS6detail15normal_iteratorINS9_10device_ptrIiEEEESE_i11max_functorIiEiEEDaPvRmT3_T4_T5_mT6_P12ihipStream_tbENKUlT_T0_E_clISt17integral_constantIbLb0EESU_EEDaSP_SQ_EUlSP_E0_NS1_11comp_targetILNS1_3genE8ELNS1_11target_archE1030ELNS1_3gpuE2ELNS1_3repE0EEENS1_30default_config_static_selectorELNS0_4arch9wavefront6targetE1EEEvT1_, .Lfunc_end2719-_ZN7rocprim17ROCPRIM_400000_NS6detail17trampoline_kernelINS0_14default_configENS1_20scan_config_selectorIiEEZZNS1_9scan_implILNS1_25lookback_scan_determinismE0ELb0ELb0ES3_N6thrust23THRUST_200600_302600_NS6detail15normal_iteratorINS9_10device_ptrIiEEEESE_i11max_functorIiEiEEDaPvRmT3_T4_T5_mT6_P12ihipStream_tbENKUlT_T0_E_clISt17integral_constantIbLb0EESU_EEDaSP_SQ_EUlSP_E0_NS1_11comp_targetILNS1_3genE8ELNS1_11target_archE1030ELNS1_3gpuE2ELNS1_3repE0EEENS1_30default_config_static_selectorELNS0_4arch9wavefront6targetE1EEEvT1_
                                        ; -- End function
	.section	.AMDGPU.csdata,"",@progbits
; Kernel info:
; codeLenInByte = 0
; NumSgprs: 4
; NumVgprs: 0
; NumAgprs: 0
; TotalNumVgprs: 0
; ScratchSize: 0
; MemoryBound: 0
; FloatMode: 240
; IeeeMode: 1
; LDSByteSize: 0 bytes/workgroup (compile time only)
; SGPRBlocks: 0
; VGPRBlocks: 0
; NumSGPRsForWavesPerEU: 4
; NumVGPRsForWavesPerEU: 1
; AccumOffset: 4
; Occupancy: 8
; WaveLimiterHint : 0
; COMPUTE_PGM_RSRC2:SCRATCH_EN: 0
; COMPUTE_PGM_RSRC2:USER_SGPR: 6
; COMPUTE_PGM_RSRC2:TRAP_HANDLER: 0
; COMPUTE_PGM_RSRC2:TGID_X_EN: 1
; COMPUTE_PGM_RSRC2:TGID_Y_EN: 0
; COMPUTE_PGM_RSRC2:TGID_Z_EN: 0
; COMPUTE_PGM_RSRC2:TIDIG_COMP_CNT: 0
; COMPUTE_PGM_RSRC3_GFX90A:ACCUM_OFFSET: 0
; COMPUTE_PGM_RSRC3_GFX90A:TG_SPLIT: 0
	.section	.text._ZN7rocprim17ROCPRIM_400000_NS6detail17trampoline_kernelINS0_14default_configENS1_20scan_config_selectorIiEEZZNS1_9scan_implILNS1_25lookback_scan_determinismE0ELb0ELb0ES3_N6thrust23THRUST_200600_302600_NS6detail15normal_iteratorINS9_10device_ptrIiEEEESE_i11max_functorIiEiEEDaPvRmT3_T4_T5_mT6_P12ihipStream_tbENKUlT_T0_E_clISt17integral_constantIbLb1EESU_EEDaSP_SQ_EUlSP_E_NS1_11comp_targetILNS1_3genE0ELNS1_11target_archE4294967295ELNS1_3gpuE0ELNS1_3repE0EEENS1_30default_config_static_selectorELNS0_4arch9wavefront6targetE1EEEvT1_,"axG",@progbits,_ZN7rocprim17ROCPRIM_400000_NS6detail17trampoline_kernelINS0_14default_configENS1_20scan_config_selectorIiEEZZNS1_9scan_implILNS1_25lookback_scan_determinismE0ELb0ELb0ES3_N6thrust23THRUST_200600_302600_NS6detail15normal_iteratorINS9_10device_ptrIiEEEESE_i11max_functorIiEiEEDaPvRmT3_T4_T5_mT6_P12ihipStream_tbENKUlT_T0_E_clISt17integral_constantIbLb1EESU_EEDaSP_SQ_EUlSP_E_NS1_11comp_targetILNS1_3genE0ELNS1_11target_archE4294967295ELNS1_3gpuE0ELNS1_3repE0EEENS1_30default_config_static_selectorELNS0_4arch9wavefront6targetE1EEEvT1_,comdat
	.protected	_ZN7rocprim17ROCPRIM_400000_NS6detail17trampoline_kernelINS0_14default_configENS1_20scan_config_selectorIiEEZZNS1_9scan_implILNS1_25lookback_scan_determinismE0ELb0ELb0ES3_N6thrust23THRUST_200600_302600_NS6detail15normal_iteratorINS9_10device_ptrIiEEEESE_i11max_functorIiEiEEDaPvRmT3_T4_T5_mT6_P12ihipStream_tbENKUlT_T0_E_clISt17integral_constantIbLb1EESU_EEDaSP_SQ_EUlSP_E_NS1_11comp_targetILNS1_3genE0ELNS1_11target_archE4294967295ELNS1_3gpuE0ELNS1_3repE0EEENS1_30default_config_static_selectorELNS0_4arch9wavefront6targetE1EEEvT1_ ; -- Begin function _ZN7rocprim17ROCPRIM_400000_NS6detail17trampoline_kernelINS0_14default_configENS1_20scan_config_selectorIiEEZZNS1_9scan_implILNS1_25lookback_scan_determinismE0ELb0ELb0ES3_N6thrust23THRUST_200600_302600_NS6detail15normal_iteratorINS9_10device_ptrIiEEEESE_i11max_functorIiEiEEDaPvRmT3_T4_T5_mT6_P12ihipStream_tbENKUlT_T0_E_clISt17integral_constantIbLb1EESU_EEDaSP_SQ_EUlSP_E_NS1_11comp_targetILNS1_3genE0ELNS1_11target_archE4294967295ELNS1_3gpuE0ELNS1_3repE0EEENS1_30default_config_static_selectorELNS0_4arch9wavefront6targetE1EEEvT1_
	.globl	_ZN7rocprim17ROCPRIM_400000_NS6detail17trampoline_kernelINS0_14default_configENS1_20scan_config_selectorIiEEZZNS1_9scan_implILNS1_25lookback_scan_determinismE0ELb0ELb0ES3_N6thrust23THRUST_200600_302600_NS6detail15normal_iteratorINS9_10device_ptrIiEEEESE_i11max_functorIiEiEEDaPvRmT3_T4_T5_mT6_P12ihipStream_tbENKUlT_T0_E_clISt17integral_constantIbLb1EESU_EEDaSP_SQ_EUlSP_E_NS1_11comp_targetILNS1_3genE0ELNS1_11target_archE4294967295ELNS1_3gpuE0ELNS1_3repE0EEENS1_30default_config_static_selectorELNS0_4arch9wavefront6targetE1EEEvT1_
	.p2align	8
	.type	_ZN7rocprim17ROCPRIM_400000_NS6detail17trampoline_kernelINS0_14default_configENS1_20scan_config_selectorIiEEZZNS1_9scan_implILNS1_25lookback_scan_determinismE0ELb0ELb0ES3_N6thrust23THRUST_200600_302600_NS6detail15normal_iteratorINS9_10device_ptrIiEEEESE_i11max_functorIiEiEEDaPvRmT3_T4_T5_mT6_P12ihipStream_tbENKUlT_T0_E_clISt17integral_constantIbLb1EESU_EEDaSP_SQ_EUlSP_E_NS1_11comp_targetILNS1_3genE0ELNS1_11target_archE4294967295ELNS1_3gpuE0ELNS1_3repE0EEENS1_30default_config_static_selectorELNS0_4arch9wavefront6targetE1EEEvT1_,@function
_ZN7rocprim17ROCPRIM_400000_NS6detail17trampoline_kernelINS0_14default_configENS1_20scan_config_selectorIiEEZZNS1_9scan_implILNS1_25lookback_scan_determinismE0ELb0ELb0ES3_N6thrust23THRUST_200600_302600_NS6detail15normal_iteratorINS9_10device_ptrIiEEEESE_i11max_functorIiEiEEDaPvRmT3_T4_T5_mT6_P12ihipStream_tbENKUlT_T0_E_clISt17integral_constantIbLb1EESU_EEDaSP_SQ_EUlSP_E_NS1_11comp_targetILNS1_3genE0ELNS1_11target_archE4294967295ELNS1_3gpuE0ELNS1_3repE0EEENS1_30default_config_static_selectorELNS0_4arch9wavefront6targetE1EEEvT1_: ; @_ZN7rocprim17ROCPRIM_400000_NS6detail17trampoline_kernelINS0_14default_configENS1_20scan_config_selectorIiEEZZNS1_9scan_implILNS1_25lookback_scan_determinismE0ELb0ELb0ES3_N6thrust23THRUST_200600_302600_NS6detail15normal_iteratorINS9_10device_ptrIiEEEESE_i11max_functorIiEiEEDaPvRmT3_T4_T5_mT6_P12ihipStream_tbENKUlT_T0_E_clISt17integral_constantIbLb1EESU_EEDaSP_SQ_EUlSP_E_NS1_11comp_targetILNS1_3genE0ELNS1_11target_archE4294967295ELNS1_3gpuE0ELNS1_3repE0EEENS1_30default_config_static_selectorELNS0_4arch9wavefront6targetE1EEEvT1_
; %bb.0:
	.section	.rodata,"a",@progbits
	.p2align	6, 0x0
	.amdhsa_kernel _ZN7rocprim17ROCPRIM_400000_NS6detail17trampoline_kernelINS0_14default_configENS1_20scan_config_selectorIiEEZZNS1_9scan_implILNS1_25lookback_scan_determinismE0ELb0ELb0ES3_N6thrust23THRUST_200600_302600_NS6detail15normal_iteratorINS9_10device_ptrIiEEEESE_i11max_functorIiEiEEDaPvRmT3_T4_T5_mT6_P12ihipStream_tbENKUlT_T0_E_clISt17integral_constantIbLb1EESU_EEDaSP_SQ_EUlSP_E_NS1_11comp_targetILNS1_3genE0ELNS1_11target_archE4294967295ELNS1_3gpuE0ELNS1_3repE0EEENS1_30default_config_static_selectorELNS0_4arch9wavefront6targetE1EEEvT1_
		.amdhsa_group_segment_fixed_size 0
		.amdhsa_private_segment_fixed_size 0
		.amdhsa_kernarg_size 96
		.amdhsa_user_sgpr_count 6
		.amdhsa_user_sgpr_private_segment_buffer 1
		.amdhsa_user_sgpr_dispatch_ptr 0
		.amdhsa_user_sgpr_queue_ptr 0
		.amdhsa_user_sgpr_kernarg_segment_ptr 1
		.amdhsa_user_sgpr_dispatch_id 0
		.amdhsa_user_sgpr_flat_scratch_init 0
		.amdhsa_user_sgpr_kernarg_preload_length 0
		.amdhsa_user_sgpr_kernarg_preload_offset 0
		.amdhsa_user_sgpr_private_segment_size 0
		.amdhsa_uses_dynamic_stack 0
		.amdhsa_system_sgpr_private_segment_wavefront_offset 0
		.amdhsa_system_sgpr_workgroup_id_x 1
		.amdhsa_system_sgpr_workgroup_id_y 0
		.amdhsa_system_sgpr_workgroup_id_z 0
		.amdhsa_system_sgpr_workgroup_info 0
		.amdhsa_system_vgpr_workitem_id 0
		.amdhsa_next_free_vgpr 1
		.amdhsa_next_free_sgpr 0
		.amdhsa_accum_offset 4
		.amdhsa_reserve_vcc 0
		.amdhsa_reserve_flat_scratch 0
		.amdhsa_float_round_mode_32 0
		.amdhsa_float_round_mode_16_64 0
		.amdhsa_float_denorm_mode_32 3
		.amdhsa_float_denorm_mode_16_64 3
		.amdhsa_dx10_clamp 1
		.amdhsa_ieee_mode 1
		.amdhsa_fp16_overflow 0
		.amdhsa_tg_split 0
		.amdhsa_exception_fp_ieee_invalid_op 0
		.amdhsa_exception_fp_denorm_src 0
		.amdhsa_exception_fp_ieee_div_zero 0
		.amdhsa_exception_fp_ieee_overflow 0
		.amdhsa_exception_fp_ieee_underflow 0
		.amdhsa_exception_fp_ieee_inexact 0
		.amdhsa_exception_int_div_zero 0
	.end_amdhsa_kernel
	.section	.text._ZN7rocprim17ROCPRIM_400000_NS6detail17trampoline_kernelINS0_14default_configENS1_20scan_config_selectorIiEEZZNS1_9scan_implILNS1_25lookback_scan_determinismE0ELb0ELb0ES3_N6thrust23THRUST_200600_302600_NS6detail15normal_iteratorINS9_10device_ptrIiEEEESE_i11max_functorIiEiEEDaPvRmT3_T4_T5_mT6_P12ihipStream_tbENKUlT_T0_E_clISt17integral_constantIbLb1EESU_EEDaSP_SQ_EUlSP_E_NS1_11comp_targetILNS1_3genE0ELNS1_11target_archE4294967295ELNS1_3gpuE0ELNS1_3repE0EEENS1_30default_config_static_selectorELNS0_4arch9wavefront6targetE1EEEvT1_,"axG",@progbits,_ZN7rocprim17ROCPRIM_400000_NS6detail17trampoline_kernelINS0_14default_configENS1_20scan_config_selectorIiEEZZNS1_9scan_implILNS1_25lookback_scan_determinismE0ELb0ELb0ES3_N6thrust23THRUST_200600_302600_NS6detail15normal_iteratorINS9_10device_ptrIiEEEESE_i11max_functorIiEiEEDaPvRmT3_T4_T5_mT6_P12ihipStream_tbENKUlT_T0_E_clISt17integral_constantIbLb1EESU_EEDaSP_SQ_EUlSP_E_NS1_11comp_targetILNS1_3genE0ELNS1_11target_archE4294967295ELNS1_3gpuE0ELNS1_3repE0EEENS1_30default_config_static_selectorELNS0_4arch9wavefront6targetE1EEEvT1_,comdat
.Lfunc_end2720:
	.size	_ZN7rocprim17ROCPRIM_400000_NS6detail17trampoline_kernelINS0_14default_configENS1_20scan_config_selectorIiEEZZNS1_9scan_implILNS1_25lookback_scan_determinismE0ELb0ELb0ES3_N6thrust23THRUST_200600_302600_NS6detail15normal_iteratorINS9_10device_ptrIiEEEESE_i11max_functorIiEiEEDaPvRmT3_T4_T5_mT6_P12ihipStream_tbENKUlT_T0_E_clISt17integral_constantIbLb1EESU_EEDaSP_SQ_EUlSP_E_NS1_11comp_targetILNS1_3genE0ELNS1_11target_archE4294967295ELNS1_3gpuE0ELNS1_3repE0EEENS1_30default_config_static_selectorELNS0_4arch9wavefront6targetE1EEEvT1_, .Lfunc_end2720-_ZN7rocprim17ROCPRIM_400000_NS6detail17trampoline_kernelINS0_14default_configENS1_20scan_config_selectorIiEEZZNS1_9scan_implILNS1_25lookback_scan_determinismE0ELb0ELb0ES3_N6thrust23THRUST_200600_302600_NS6detail15normal_iteratorINS9_10device_ptrIiEEEESE_i11max_functorIiEiEEDaPvRmT3_T4_T5_mT6_P12ihipStream_tbENKUlT_T0_E_clISt17integral_constantIbLb1EESU_EEDaSP_SQ_EUlSP_E_NS1_11comp_targetILNS1_3genE0ELNS1_11target_archE4294967295ELNS1_3gpuE0ELNS1_3repE0EEENS1_30default_config_static_selectorELNS0_4arch9wavefront6targetE1EEEvT1_
                                        ; -- End function
	.section	.AMDGPU.csdata,"",@progbits
; Kernel info:
; codeLenInByte = 0
; NumSgprs: 4
; NumVgprs: 0
; NumAgprs: 0
; TotalNumVgprs: 0
; ScratchSize: 0
; MemoryBound: 0
; FloatMode: 240
; IeeeMode: 1
; LDSByteSize: 0 bytes/workgroup (compile time only)
; SGPRBlocks: 0
; VGPRBlocks: 0
; NumSGPRsForWavesPerEU: 4
; NumVGPRsForWavesPerEU: 1
; AccumOffset: 4
; Occupancy: 8
; WaveLimiterHint : 0
; COMPUTE_PGM_RSRC2:SCRATCH_EN: 0
; COMPUTE_PGM_RSRC2:USER_SGPR: 6
; COMPUTE_PGM_RSRC2:TRAP_HANDLER: 0
; COMPUTE_PGM_RSRC2:TGID_X_EN: 1
; COMPUTE_PGM_RSRC2:TGID_Y_EN: 0
; COMPUTE_PGM_RSRC2:TGID_Z_EN: 0
; COMPUTE_PGM_RSRC2:TIDIG_COMP_CNT: 0
; COMPUTE_PGM_RSRC3_GFX90A:ACCUM_OFFSET: 0
; COMPUTE_PGM_RSRC3_GFX90A:TG_SPLIT: 0
	.section	.text._ZN7rocprim17ROCPRIM_400000_NS6detail17trampoline_kernelINS0_14default_configENS1_20scan_config_selectorIiEEZZNS1_9scan_implILNS1_25lookback_scan_determinismE0ELb0ELb0ES3_N6thrust23THRUST_200600_302600_NS6detail15normal_iteratorINS9_10device_ptrIiEEEESE_i11max_functorIiEiEEDaPvRmT3_T4_T5_mT6_P12ihipStream_tbENKUlT_T0_E_clISt17integral_constantIbLb1EESU_EEDaSP_SQ_EUlSP_E_NS1_11comp_targetILNS1_3genE5ELNS1_11target_archE942ELNS1_3gpuE9ELNS1_3repE0EEENS1_30default_config_static_selectorELNS0_4arch9wavefront6targetE1EEEvT1_,"axG",@progbits,_ZN7rocprim17ROCPRIM_400000_NS6detail17trampoline_kernelINS0_14default_configENS1_20scan_config_selectorIiEEZZNS1_9scan_implILNS1_25lookback_scan_determinismE0ELb0ELb0ES3_N6thrust23THRUST_200600_302600_NS6detail15normal_iteratorINS9_10device_ptrIiEEEESE_i11max_functorIiEiEEDaPvRmT3_T4_T5_mT6_P12ihipStream_tbENKUlT_T0_E_clISt17integral_constantIbLb1EESU_EEDaSP_SQ_EUlSP_E_NS1_11comp_targetILNS1_3genE5ELNS1_11target_archE942ELNS1_3gpuE9ELNS1_3repE0EEENS1_30default_config_static_selectorELNS0_4arch9wavefront6targetE1EEEvT1_,comdat
	.protected	_ZN7rocprim17ROCPRIM_400000_NS6detail17trampoline_kernelINS0_14default_configENS1_20scan_config_selectorIiEEZZNS1_9scan_implILNS1_25lookback_scan_determinismE0ELb0ELb0ES3_N6thrust23THRUST_200600_302600_NS6detail15normal_iteratorINS9_10device_ptrIiEEEESE_i11max_functorIiEiEEDaPvRmT3_T4_T5_mT6_P12ihipStream_tbENKUlT_T0_E_clISt17integral_constantIbLb1EESU_EEDaSP_SQ_EUlSP_E_NS1_11comp_targetILNS1_3genE5ELNS1_11target_archE942ELNS1_3gpuE9ELNS1_3repE0EEENS1_30default_config_static_selectorELNS0_4arch9wavefront6targetE1EEEvT1_ ; -- Begin function _ZN7rocprim17ROCPRIM_400000_NS6detail17trampoline_kernelINS0_14default_configENS1_20scan_config_selectorIiEEZZNS1_9scan_implILNS1_25lookback_scan_determinismE0ELb0ELb0ES3_N6thrust23THRUST_200600_302600_NS6detail15normal_iteratorINS9_10device_ptrIiEEEESE_i11max_functorIiEiEEDaPvRmT3_T4_T5_mT6_P12ihipStream_tbENKUlT_T0_E_clISt17integral_constantIbLb1EESU_EEDaSP_SQ_EUlSP_E_NS1_11comp_targetILNS1_3genE5ELNS1_11target_archE942ELNS1_3gpuE9ELNS1_3repE0EEENS1_30default_config_static_selectorELNS0_4arch9wavefront6targetE1EEEvT1_
	.globl	_ZN7rocprim17ROCPRIM_400000_NS6detail17trampoline_kernelINS0_14default_configENS1_20scan_config_selectorIiEEZZNS1_9scan_implILNS1_25lookback_scan_determinismE0ELb0ELb0ES3_N6thrust23THRUST_200600_302600_NS6detail15normal_iteratorINS9_10device_ptrIiEEEESE_i11max_functorIiEiEEDaPvRmT3_T4_T5_mT6_P12ihipStream_tbENKUlT_T0_E_clISt17integral_constantIbLb1EESU_EEDaSP_SQ_EUlSP_E_NS1_11comp_targetILNS1_3genE5ELNS1_11target_archE942ELNS1_3gpuE9ELNS1_3repE0EEENS1_30default_config_static_selectorELNS0_4arch9wavefront6targetE1EEEvT1_
	.p2align	8
	.type	_ZN7rocprim17ROCPRIM_400000_NS6detail17trampoline_kernelINS0_14default_configENS1_20scan_config_selectorIiEEZZNS1_9scan_implILNS1_25lookback_scan_determinismE0ELb0ELb0ES3_N6thrust23THRUST_200600_302600_NS6detail15normal_iteratorINS9_10device_ptrIiEEEESE_i11max_functorIiEiEEDaPvRmT3_T4_T5_mT6_P12ihipStream_tbENKUlT_T0_E_clISt17integral_constantIbLb1EESU_EEDaSP_SQ_EUlSP_E_NS1_11comp_targetILNS1_3genE5ELNS1_11target_archE942ELNS1_3gpuE9ELNS1_3repE0EEENS1_30default_config_static_selectorELNS0_4arch9wavefront6targetE1EEEvT1_,@function
_ZN7rocprim17ROCPRIM_400000_NS6detail17trampoline_kernelINS0_14default_configENS1_20scan_config_selectorIiEEZZNS1_9scan_implILNS1_25lookback_scan_determinismE0ELb0ELb0ES3_N6thrust23THRUST_200600_302600_NS6detail15normal_iteratorINS9_10device_ptrIiEEEESE_i11max_functorIiEiEEDaPvRmT3_T4_T5_mT6_P12ihipStream_tbENKUlT_T0_E_clISt17integral_constantIbLb1EESU_EEDaSP_SQ_EUlSP_E_NS1_11comp_targetILNS1_3genE5ELNS1_11target_archE942ELNS1_3gpuE9ELNS1_3repE0EEENS1_30default_config_static_selectorELNS0_4arch9wavefront6targetE1EEEvT1_: ; @_ZN7rocprim17ROCPRIM_400000_NS6detail17trampoline_kernelINS0_14default_configENS1_20scan_config_selectorIiEEZZNS1_9scan_implILNS1_25lookback_scan_determinismE0ELb0ELb0ES3_N6thrust23THRUST_200600_302600_NS6detail15normal_iteratorINS9_10device_ptrIiEEEESE_i11max_functorIiEiEEDaPvRmT3_T4_T5_mT6_P12ihipStream_tbENKUlT_T0_E_clISt17integral_constantIbLb1EESU_EEDaSP_SQ_EUlSP_E_NS1_11comp_targetILNS1_3genE5ELNS1_11target_archE942ELNS1_3gpuE9ELNS1_3repE0EEENS1_30default_config_static_selectorELNS0_4arch9wavefront6targetE1EEEvT1_
; %bb.0:
	.section	.rodata,"a",@progbits
	.p2align	6, 0x0
	.amdhsa_kernel _ZN7rocprim17ROCPRIM_400000_NS6detail17trampoline_kernelINS0_14default_configENS1_20scan_config_selectorIiEEZZNS1_9scan_implILNS1_25lookback_scan_determinismE0ELb0ELb0ES3_N6thrust23THRUST_200600_302600_NS6detail15normal_iteratorINS9_10device_ptrIiEEEESE_i11max_functorIiEiEEDaPvRmT3_T4_T5_mT6_P12ihipStream_tbENKUlT_T0_E_clISt17integral_constantIbLb1EESU_EEDaSP_SQ_EUlSP_E_NS1_11comp_targetILNS1_3genE5ELNS1_11target_archE942ELNS1_3gpuE9ELNS1_3repE0EEENS1_30default_config_static_selectorELNS0_4arch9wavefront6targetE1EEEvT1_
		.amdhsa_group_segment_fixed_size 0
		.amdhsa_private_segment_fixed_size 0
		.amdhsa_kernarg_size 96
		.amdhsa_user_sgpr_count 6
		.amdhsa_user_sgpr_private_segment_buffer 1
		.amdhsa_user_sgpr_dispatch_ptr 0
		.amdhsa_user_sgpr_queue_ptr 0
		.amdhsa_user_sgpr_kernarg_segment_ptr 1
		.amdhsa_user_sgpr_dispatch_id 0
		.amdhsa_user_sgpr_flat_scratch_init 0
		.amdhsa_user_sgpr_kernarg_preload_length 0
		.amdhsa_user_sgpr_kernarg_preload_offset 0
		.amdhsa_user_sgpr_private_segment_size 0
		.amdhsa_uses_dynamic_stack 0
		.amdhsa_system_sgpr_private_segment_wavefront_offset 0
		.amdhsa_system_sgpr_workgroup_id_x 1
		.amdhsa_system_sgpr_workgroup_id_y 0
		.amdhsa_system_sgpr_workgroup_id_z 0
		.amdhsa_system_sgpr_workgroup_info 0
		.amdhsa_system_vgpr_workitem_id 0
		.amdhsa_next_free_vgpr 1
		.amdhsa_next_free_sgpr 0
		.amdhsa_accum_offset 4
		.amdhsa_reserve_vcc 0
		.amdhsa_reserve_flat_scratch 0
		.amdhsa_float_round_mode_32 0
		.amdhsa_float_round_mode_16_64 0
		.amdhsa_float_denorm_mode_32 3
		.amdhsa_float_denorm_mode_16_64 3
		.amdhsa_dx10_clamp 1
		.amdhsa_ieee_mode 1
		.amdhsa_fp16_overflow 0
		.amdhsa_tg_split 0
		.amdhsa_exception_fp_ieee_invalid_op 0
		.amdhsa_exception_fp_denorm_src 0
		.amdhsa_exception_fp_ieee_div_zero 0
		.amdhsa_exception_fp_ieee_overflow 0
		.amdhsa_exception_fp_ieee_underflow 0
		.amdhsa_exception_fp_ieee_inexact 0
		.amdhsa_exception_int_div_zero 0
	.end_amdhsa_kernel
	.section	.text._ZN7rocprim17ROCPRIM_400000_NS6detail17trampoline_kernelINS0_14default_configENS1_20scan_config_selectorIiEEZZNS1_9scan_implILNS1_25lookback_scan_determinismE0ELb0ELb0ES3_N6thrust23THRUST_200600_302600_NS6detail15normal_iteratorINS9_10device_ptrIiEEEESE_i11max_functorIiEiEEDaPvRmT3_T4_T5_mT6_P12ihipStream_tbENKUlT_T0_E_clISt17integral_constantIbLb1EESU_EEDaSP_SQ_EUlSP_E_NS1_11comp_targetILNS1_3genE5ELNS1_11target_archE942ELNS1_3gpuE9ELNS1_3repE0EEENS1_30default_config_static_selectorELNS0_4arch9wavefront6targetE1EEEvT1_,"axG",@progbits,_ZN7rocprim17ROCPRIM_400000_NS6detail17trampoline_kernelINS0_14default_configENS1_20scan_config_selectorIiEEZZNS1_9scan_implILNS1_25lookback_scan_determinismE0ELb0ELb0ES3_N6thrust23THRUST_200600_302600_NS6detail15normal_iteratorINS9_10device_ptrIiEEEESE_i11max_functorIiEiEEDaPvRmT3_T4_T5_mT6_P12ihipStream_tbENKUlT_T0_E_clISt17integral_constantIbLb1EESU_EEDaSP_SQ_EUlSP_E_NS1_11comp_targetILNS1_3genE5ELNS1_11target_archE942ELNS1_3gpuE9ELNS1_3repE0EEENS1_30default_config_static_selectorELNS0_4arch9wavefront6targetE1EEEvT1_,comdat
.Lfunc_end2721:
	.size	_ZN7rocprim17ROCPRIM_400000_NS6detail17trampoline_kernelINS0_14default_configENS1_20scan_config_selectorIiEEZZNS1_9scan_implILNS1_25lookback_scan_determinismE0ELb0ELb0ES3_N6thrust23THRUST_200600_302600_NS6detail15normal_iteratorINS9_10device_ptrIiEEEESE_i11max_functorIiEiEEDaPvRmT3_T4_T5_mT6_P12ihipStream_tbENKUlT_T0_E_clISt17integral_constantIbLb1EESU_EEDaSP_SQ_EUlSP_E_NS1_11comp_targetILNS1_3genE5ELNS1_11target_archE942ELNS1_3gpuE9ELNS1_3repE0EEENS1_30default_config_static_selectorELNS0_4arch9wavefront6targetE1EEEvT1_, .Lfunc_end2721-_ZN7rocprim17ROCPRIM_400000_NS6detail17trampoline_kernelINS0_14default_configENS1_20scan_config_selectorIiEEZZNS1_9scan_implILNS1_25lookback_scan_determinismE0ELb0ELb0ES3_N6thrust23THRUST_200600_302600_NS6detail15normal_iteratorINS9_10device_ptrIiEEEESE_i11max_functorIiEiEEDaPvRmT3_T4_T5_mT6_P12ihipStream_tbENKUlT_T0_E_clISt17integral_constantIbLb1EESU_EEDaSP_SQ_EUlSP_E_NS1_11comp_targetILNS1_3genE5ELNS1_11target_archE942ELNS1_3gpuE9ELNS1_3repE0EEENS1_30default_config_static_selectorELNS0_4arch9wavefront6targetE1EEEvT1_
                                        ; -- End function
	.section	.AMDGPU.csdata,"",@progbits
; Kernel info:
; codeLenInByte = 0
; NumSgprs: 4
; NumVgprs: 0
; NumAgprs: 0
; TotalNumVgprs: 0
; ScratchSize: 0
; MemoryBound: 0
; FloatMode: 240
; IeeeMode: 1
; LDSByteSize: 0 bytes/workgroup (compile time only)
; SGPRBlocks: 0
; VGPRBlocks: 0
; NumSGPRsForWavesPerEU: 4
; NumVGPRsForWavesPerEU: 1
; AccumOffset: 4
; Occupancy: 8
; WaveLimiterHint : 0
; COMPUTE_PGM_RSRC2:SCRATCH_EN: 0
; COMPUTE_PGM_RSRC2:USER_SGPR: 6
; COMPUTE_PGM_RSRC2:TRAP_HANDLER: 0
; COMPUTE_PGM_RSRC2:TGID_X_EN: 1
; COMPUTE_PGM_RSRC2:TGID_Y_EN: 0
; COMPUTE_PGM_RSRC2:TGID_Z_EN: 0
; COMPUTE_PGM_RSRC2:TIDIG_COMP_CNT: 0
; COMPUTE_PGM_RSRC3_GFX90A:ACCUM_OFFSET: 0
; COMPUTE_PGM_RSRC3_GFX90A:TG_SPLIT: 0
	.section	.text._ZN7rocprim17ROCPRIM_400000_NS6detail17trampoline_kernelINS0_14default_configENS1_20scan_config_selectorIiEEZZNS1_9scan_implILNS1_25lookback_scan_determinismE0ELb0ELb0ES3_N6thrust23THRUST_200600_302600_NS6detail15normal_iteratorINS9_10device_ptrIiEEEESE_i11max_functorIiEiEEDaPvRmT3_T4_T5_mT6_P12ihipStream_tbENKUlT_T0_E_clISt17integral_constantIbLb1EESU_EEDaSP_SQ_EUlSP_E_NS1_11comp_targetILNS1_3genE4ELNS1_11target_archE910ELNS1_3gpuE8ELNS1_3repE0EEENS1_30default_config_static_selectorELNS0_4arch9wavefront6targetE1EEEvT1_,"axG",@progbits,_ZN7rocprim17ROCPRIM_400000_NS6detail17trampoline_kernelINS0_14default_configENS1_20scan_config_selectorIiEEZZNS1_9scan_implILNS1_25lookback_scan_determinismE0ELb0ELb0ES3_N6thrust23THRUST_200600_302600_NS6detail15normal_iteratorINS9_10device_ptrIiEEEESE_i11max_functorIiEiEEDaPvRmT3_T4_T5_mT6_P12ihipStream_tbENKUlT_T0_E_clISt17integral_constantIbLb1EESU_EEDaSP_SQ_EUlSP_E_NS1_11comp_targetILNS1_3genE4ELNS1_11target_archE910ELNS1_3gpuE8ELNS1_3repE0EEENS1_30default_config_static_selectorELNS0_4arch9wavefront6targetE1EEEvT1_,comdat
	.protected	_ZN7rocprim17ROCPRIM_400000_NS6detail17trampoline_kernelINS0_14default_configENS1_20scan_config_selectorIiEEZZNS1_9scan_implILNS1_25lookback_scan_determinismE0ELb0ELb0ES3_N6thrust23THRUST_200600_302600_NS6detail15normal_iteratorINS9_10device_ptrIiEEEESE_i11max_functorIiEiEEDaPvRmT3_T4_T5_mT6_P12ihipStream_tbENKUlT_T0_E_clISt17integral_constantIbLb1EESU_EEDaSP_SQ_EUlSP_E_NS1_11comp_targetILNS1_3genE4ELNS1_11target_archE910ELNS1_3gpuE8ELNS1_3repE0EEENS1_30default_config_static_selectorELNS0_4arch9wavefront6targetE1EEEvT1_ ; -- Begin function _ZN7rocprim17ROCPRIM_400000_NS6detail17trampoline_kernelINS0_14default_configENS1_20scan_config_selectorIiEEZZNS1_9scan_implILNS1_25lookback_scan_determinismE0ELb0ELb0ES3_N6thrust23THRUST_200600_302600_NS6detail15normal_iteratorINS9_10device_ptrIiEEEESE_i11max_functorIiEiEEDaPvRmT3_T4_T5_mT6_P12ihipStream_tbENKUlT_T0_E_clISt17integral_constantIbLb1EESU_EEDaSP_SQ_EUlSP_E_NS1_11comp_targetILNS1_3genE4ELNS1_11target_archE910ELNS1_3gpuE8ELNS1_3repE0EEENS1_30default_config_static_selectorELNS0_4arch9wavefront6targetE1EEEvT1_
	.globl	_ZN7rocprim17ROCPRIM_400000_NS6detail17trampoline_kernelINS0_14default_configENS1_20scan_config_selectorIiEEZZNS1_9scan_implILNS1_25lookback_scan_determinismE0ELb0ELb0ES3_N6thrust23THRUST_200600_302600_NS6detail15normal_iteratorINS9_10device_ptrIiEEEESE_i11max_functorIiEiEEDaPvRmT3_T4_T5_mT6_P12ihipStream_tbENKUlT_T0_E_clISt17integral_constantIbLb1EESU_EEDaSP_SQ_EUlSP_E_NS1_11comp_targetILNS1_3genE4ELNS1_11target_archE910ELNS1_3gpuE8ELNS1_3repE0EEENS1_30default_config_static_selectorELNS0_4arch9wavefront6targetE1EEEvT1_
	.p2align	8
	.type	_ZN7rocprim17ROCPRIM_400000_NS6detail17trampoline_kernelINS0_14default_configENS1_20scan_config_selectorIiEEZZNS1_9scan_implILNS1_25lookback_scan_determinismE0ELb0ELb0ES3_N6thrust23THRUST_200600_302600_NS6detail15normal_iteratorINS9_10device_ptrIiEEEESE_i11max_functorIiEiEEDaPvRmT3_T4_T5_mT6_P12ihipStream_tbENKUlT_T0_E_clISt17integral_constantIbLb1EESU_EEDaSP_SQ_EUlSP_E_NS1_11comp_targetILNS1_3genE4ELNS1_11target_archE910ELNS1_3gpuE8ELNS1_3repE0EEENS1_30default_config_static_selectorELNS0_4arch9wavefront6targetE1EEEvT1_,@function
_ZN7rocprim17ROCPRIM_400000_NS6detail17trampoline_kernelINS0_14default_configENS1_20scan_config_selectorIiEEZZNS1_9scan_implILNS1_25lookback_scan_determinismE0ELb0ELb0ES3_N6thrust23THRUST_200600_302600_NS6detail15normal_iteratorINS9_10device_ptrIiEEEESE_i11max_functorIiEiEEDaPvRmT3_T4_T5_mT6_P12ihipStream_tbENKUlT_T0_E_clISt17integral_constantIbLb1EESU_EEDaSP_SQ_EUlSP_E_NS1_11comp_targetILNS1_3genE4ELNS1_11target_archE910ELNS1_3gpuE8ELNS1_3repE0EEENS1_30default_config_static_selectorELNS0_4arch9wavefront6targetE1EEEvT1_: ; @_ZN7rocprim17ROCPRIM_400000_NS6detail17trampoline_kernelINS0_14default_configENS1_20scan_config_selectorIiEEZZNS1_9scan_implILNS1_25lookback_scan_determinismE0ELb0ELb0ES3_N6thrust23THRUST_200600_302600_NS6detail15normal_iteratorINS9_10device_ptrIiEEEESE_i11max_functorIiEiEEDaPvRmT3_T4_T5_mT6_P12ihipStream_tbENKUlT_T0_E_clISt17integral_constantIbLb1EESU_EEDaSP_SQ_EUlSP_E_NS1_11comp_targetILNS1_3genE4ELNS1_11target_archE910ELNS1_3gpuE8ELNS1_3repE0EEENS1_30default_config_static_selectorELNS0_4arch9wavefront6targetE1EEEvT1_
; %bb.0:
	s_load_dwordx2 s[6:7], s[4:5], 0x28
	v_cmp_ne_u32_e64 s[0:1], 0, v0
	v_cmp_eq_u32_e64 s[2:3], 0, v0
	s_and_saveexec_b64 s[8:9], s[2:3]
	s_cbranch_execz .LBB2722_4
; %bb.1:
	s_mov_b64 s[12:13], exec
	v_mbcnt_lo_u32_b32 v1, s12, 0
	v_mbcnt_hi_u32_b32 v1, s13, v1
	v_cmp_eq_u32_e32 vcc, 0, v1
                                        ; implicit-def: $vgpr2
	s_and_saveexec_b64 s[10:11], vcc
	s_cbranch_execz .LBB2722_3
; %bb.2:
	s_load_dwordx2 s[14:15], s[4:5], 0x58
	s_bcnt1_i32_b64 s12, s[12:13]
	v_mov_b32_e32 v2, 0
	v_mov_b32_e32 v3, s12
	s_waitcnt lgkmcnt(0)
	global_atomic_add v2, v2, v3, s[14:15] glc
.LBB2722_3:
	s_or_b64 exec, exec, s[10:11]
	s_waitcnt vmcnt(0)
	v_readfirstlane_b32 s10, v2
	v_add_u32_e32 v1, s10, v1
	v_mov_b32_e32 v2, 0
	ds_write_b32 v2, v1
.LBB2722_4:
	s_or_b64 exec, exec, s[8:9]
	s_load_dwordx8 s[16:23], s[4:5], 0x0
	s_load_dword s24, s[4:5], 0x30
	s_load_dwordx8 s[8:15], s[4:5], 0x38
	v_mov_b32_e32 v1, 0
	s_waitcnt lgkmcnt(0)
	s_barrier
	ds_read_b32 v1, v1
	s_lshl_b64 s[18:19], s[18:19], 2
	s_add_u32 s25, s16, s18
	s_addc_u32 s26, s17, s19
	s_add_i32 s16, s24, -1
	s_mul_i32 s17, s16, 0x500
	s_sub_u32 s30, s22, s17
	s_waitcnt lgkmcnt(0)
	v_readfirstlane_b32 s33, v1
	s_subb_u32 s31, s23, 0
	s_mul_i32 s4, s33, 0x500
	s_mov_b32 s5, 0
	s_cmp_lg_u32 s33, s16
	s_cselect_b64 s[16:17], -1, 0
	s_lshl_b64 s[22:23], s[4:5], 2
	s_add_u32 s24, s25, s22
	s_addc_u32 s25, s26, s23
	s_mov_b64 s[4:5], -1
	s_and_b64 vcc, exec, s[16:17]
	v_lshlrev_b32_e32 v22, 2, v0
	s_barrier
	s_cbranch_vccz .LBB2722_6
; %bb.5:
	v_mov_b32_e32 v1, s25
	v_add_co_u32_e32 v2, vcc, s24, v22
	v_addc_co_u32_e32 v3, vcc, 0, v1, vcc
	flat_load_dword v1, v[2:3]
	flat_load_dword v4, v[2:3] offset:512
	flat_load_dword v5, v[2:3] offset:1024
	;; [unrolled: 1-line block ×7, first 2 shown]
	v_add_co_u32_e32 v2, vcc, 0x1000, v2
	v_addc_co_u32_e32 v3, vcc, 0, v3, vcc
	flat_load_dword v11, v[2:3]
	flat_load_dword v12, v[2:3] offset:512
	s_mov_b64 s[4:5], 0
	s_waitcnt vmcnt(0) lgkmcnt(0)
	ds_write2st64_b32 v22, v1, v4 offset1:2
	ds_write2st64_b32 v22, v5, v6 offset0:4 offset1:6
	ds_write2st64_b32 v22, v7, v8 offset0:8 offset1:10
	;; [unrolled: 1-line block ×4, first 2 shown]
	s_waitcnt lgkmcnt(0)
	s_barrier
.LBB2722_6:
	s_andn2_b64 vcc, exec, s[4:5]
	v_cmp_gt_u32_e64 s[4:5], s30, v0
	s_cbranch_vccnz .LBB2722_28
; %bb.7:
	v_pk_mov_b32 v[2:3], s[24:25], s[24:25] op_sel:[0,1]
	flat_load_dword v1, v[2:3]
	s_waitcnt vmcnt(0) lgkmcnt(0)
	v_mov_b32_e32 v2, v1
	v_mov_b32_e32 v3, v1
	;; [unrolled: 1-line block ×9, first 2 shown]
	s_and_saveexec_b64 s[26:27], s[4:5]
	s_cbranch_execz .LBB2722_9
; %bb.8:
	v_mov_b32_e32 v11, s25
	v_add_co_u32_e32 v10, vcc, s24, v22
	v_addc_co_u32_e32 v11, vcc, 0, v11, vcc
	flat_load_dword v10, v[10:11]
.LBB2722_9:
	s_or_b64 exec, exec, s[26:27]
	v_or_b32_e32 v11, 0x80, v0
	v_cmp_gt_u32_e32 vcc, s30, v11
	s_and_saveexec_b64 s[4:5], vcc
	s_cbranch_execz .LBB2722_11
; %bb.10:
	v_mov_b32_e32 v1, s25
	v_add_co_u32_e32 v12, vcc, s24, v22
	v_addc_co_u32_e32 v13, vcc, 0, v1, vcc
	flat_load_dword v1, v[12:13] offset:512
.LBB2722_11:
	s_or_b64 exec, exec, s[4:5]
	v_or_b32_e32 v11, 0x100, v0
	v_cmp_gt_u32_e32 vcc, s30, v11
	s_and_saveexec_b64 s[4:5], vcc
	s_cbranch_execz .LBB2722_13
; %bb.12:
	v_mov_b32_e32 v2, s25
	v_add_co_u32_e32 v12, vcc, s24, v22
	v_addc_co_u32_e32 v13, vcc, 0, v2, vcc
	flat_load_dword v2, v[12:13] offset:1024
.LBB2722_13:
	;; [unrolled: 11-line block ×7, first 2 shown]
	s_or_b64 exec, exec, s[4:5]
	v_or_b32_e32 v11, 0x400, v0
	v_cmp_gt_u32_e32 vcc, s30, v11
	s_and_saveexec_b64 s[4:5], vcc
	s_cbranch_execz .LBB2722_25
; %bb.24:
	v_lshlrev_b32_e32 v8, 2, v11
	v_mov_b32_e32 v11, s25
	v_add_co_u32_e32 v12, vcc, s24, v8
	v_addc_co_u32_e32 v13, vcc, 0, v11, vcc
	flat_load_dword v8, v[12:13]
.LBB2722_25:
	s_or_b64 exec, exec, s[4:5]
	v_or_b32_e32 v11, 0x480, v0
	v_cmp_gt_u32_e32 vcc, s30, v11
	s_and_saveexec_b64 s[4:5], vcc
	s_cbranch_execz .LBB2722_27
; %bb.26:
	v_lshlrev_b32_e32 v9, 2, v11
	v_mov_b32_e32 v11, s25
	v_add_co_u32_e32 v12, vcc, s24, v9
	v_addc_co_u32_e32 v13, vcc, 0, v11, vcc
	flat_load_dword v9, v[12:13]
.LBB2722_27:
	s_or_b64 exec, exec, s[4:5]
	s_waitcnt vmcnt(0) lgkmcnt(0)
	ds_write2st64_b32 v22, v10, v1 offset1:2
	ds_write2st64_b32 v22, v2, v3 offset0:4 offset1:6
	ds_write2st64_b32 v22, v4, v5 offset0:8 offset1:10
	;; [unrolled: 1-line block ×4, first 2 shown]
	s_waitcnt lgkmcnt(0)
	s_barrier
.LBB2722_28:
	v_mul_u32_u24_e32 v23, 10, v0
	v_lshlrev_b32_e32 v24, 2, v23
	ds_read2_b64 v[2:5], v24 offset1:1
	ds_read2_b64 v[16:19], v24 offset0:2 offset1:3
	ds_read_b64 v[20:21], v24 offset:32
	s_cmp_lg_u32 s33, 0
	v_lshrrev_b32_e32 v1, 5, v0
	v_cmp_gt_u32_e32 vcc, 64, v0
	s_waitcnt lgkmcnt(0)
	s_barrier
	s_cbranch_scc0 .LBB2722_57
; %bb.29:
	v_max_i32_e32 v6, v2, v3
	v_max3_i32 v6, v6, v4, v5
	v_max3_i32 v6, v6, v16, v17
	;; [unrolled: 1-line block ×4, first 2 shown]
	v_add_lshl_u32 v6, v1, v0, 2
	ds_write_b32 v6, v25
	s_waitcnt lgkmcnt(0)
	s_barrier
	s_and_saveexec_b64 s[24:25], vcc
	s_cbranch_execz .LBB2722_31
; %bb.30:
	v_lshlrev_b32_e32 v6, 1, v0
	v_lshrrev_b32_e32 v7, 4, v0
	v_add_lshl_u32 v8, v7, v6, 2
	ds_read2_b32 v[6:7], v8 offset1:1
	v_mbcnt_lo_u32_b32 v9, -1, 0
	v_mbcnt_hi_u32_b32 v9, -1, v9
	v_and_b32_e32 v10, 15, v9
	v_cmp_eq_u32_e64 s[4:5], 0, v10
	s_waitcnt lgkmcnt(0)
	v_max_i32_e32 v7, v6, v7
	; wave barrier
	s_nop 1
	v_mov_b32_dpp v11, v7 row_shr:1 row_mask:0xf bank_mask:0xf
	v_max_i32_e32 v11, v11, v7
	v_cndmask_b32_e64 v7, v11, v7, s[4:5]
	v_cmp_lt_u32_e64 s[4:5], 1, v10
	s_nop 0
	v_mov_b32_dpp v11, v7 row_shr:2 row_mask:0xf bank_mask:0xf
	v_max_i32_e32 v11, v11, v7
	v_cndmask_b32_e64 v7, v7, v11, s[4:5]
	v_cmp_lt_u32_e64 s[4:5], 3, v10
	;; [unrolled: 5-line block ×3, first 2 shown]
	s_nop 0
	v_mov_b32_dpp v11, v7 row_shr:8 row_mask:0xf bank_mask:0xf
	v_max_i32_e32 v11, v11, v7
	v_cndmask_b32_e64 v7, v7, v11, s[4:5]
	v_and_b32_e32 v11, 16, v9
	v_cmp_eq_u32_e64 s[4:5], 0, v11
	v_mov_b32_dpp v10, v7 row_bcast:15 row_mask:0xf bank_mask:0xf
	v_max_i32_e32 v10, v10, v7
	v_cndmask_b32_e64 v7, v10, v7, s[4:5]
	v_cmp_lt_u32_e64 s[4:5], 31, v9
	v_and_b32_e32 v11, 64, v9
	v_mov_b32_dpp v10, v7 row_bcast:31 row_mask:0xf bank_mask:0xf
	v_max_i32_e32 v10, v10, v7
	v_cndmask_b32_e64 v7, v7, v10, s[4:5]
	v_add_u32_e32 v10, -1, v9
	v_cmp_lt_i32_e64 s[4:5], v10, v11
	v_cndmask_b32_e64 v9, v10, v9, s[4:5]
	v_lshlrev_b32_e32 v9, 2, v9
	ds_bpermute_b32 v7, v9, v7
	s_waitcnt lgkmcnt(0)
	v_max_i32_e32 v6, v7, v6
	v_cndmask_b32_e64 v6, v6, v25, s[2:3]
	ds_write_b32 v8, v6
	; wave barrier
	ds_read_b32 v7, v8 offset:4
	s_waitcnt lgkmcnt(0)
	v_max_i32_e32 v6, v6, v7
	ds_write_b32 v8, v6 offset:4
.LBB2722_31:
	s_or_b64 exec, exec, s[24:25]
	s_waitcnt lgkmcnt(0)
	s_barrier
	s_and_saveexec_b64 s[4:5], s[0:1]
	s_cbranch_execz .LBB2722_33
; %bb.32:
	v_add_u32_e32 v6, -1, v0
	v_lshrrev_b32_e32 v7, 5, v6
	v_add_lshl_u32 v6, v7, v6, 2
	ds_read_b32 v25, v6
.LBB2722_33:
	s_or_b64 exec, exec, s[4:5]
	s_and_saveexec_b64 s[24:25], vcc
	s_cbranch_execz .LBB2722_56
; %bb.34:
	v_mov_b32_e32 v15, 0
	ds_read_b32 v6, v15 offset:520
	v_mbcnt_lo_u32_b32 v7, -1, 0
	v_mbcnt_hi_u32_b32 v9, -1, v7
	s_mov_b32 s29, 0
	v_cmp_eq_u32_e64 s[4:5], 0, v9
	s_and_saveexec_b64 s[26:27], s[4:5]
	s_cbranch_execz .LBB2722_36
; %bb.35:
	s_add_i32 s28, s33, 64
	s_lshl_b64 s[28:29], s[28:29], 3
	s_add_u32 s28, s6, s28
	v_mov_b32_e32 v7, 1
	s_addc_u32 s29, s7, s29
	s_waitcnt lgkmcnt(0)
	global_store_dwordx2 v15, v[6:7], s[28:29]
.LBB2722_36:
	s_or_b64 exec, exec, s[26:27]
	v_xad_u32 v8, v9, -1, s33
	v_add_u32_e32 v14, 64, v8
	v_lshlrev_b64 v[10:11], 3, v[14:15]
	v_mov_b32_e32 v7, s7
	v_add_co_u32_e32 v10, vcc, s6, v10
	v_addc_co_u32_e32 v11, vcc, v7, v11, vcc
	global_load_dwordx2 v[12:13], v[10:11], off glc
	s_waitcnt vmcnt(0)
	v_cmp_eq_u16_sdwa s[28:29], v13, v15 src0_sel:BYTE_0 src1_sel:DWORD
	s_and_saveexec_b64 s[26:27], s[28:29]
	s_cbranch_execz .LBB2722_42
; %bb.37:
	s_mov_b32 s34, 1
	s_mov_b64 s[28:29], 0
	v_mov_b32_e32 v7, 0
.LBB2722_38:                            ; =>This Loop Header: Depth=1
                                        ;     Child Loop BB2722_39 Depth 2
	s_max_u32 s35, s34, 1
.LBB2722_39:                            ;   Parent Loop BB2722_38 Depth=1
                                        ; =>  This Inner Loop Header: Depth=2
	s_add_i32 s35, s35, -1
	s_cmp_eq_u32 s35, 0
	s_sleep 1
	s_cbranch_scc0 .LBB2722_39
; %bb.40:                               ;   in Loop: Header=BB2722_38 Depth=1
	global_load_dwordx2 v[12:13], v[10:11], off glc
	s_cmp_lt_u32 s34, 32
	s_cselect_b64 s[36:37], -1, 0
	s_cmp_lg_u64 s[36:37], 0
	s_addc_u32 s34, s34, 0
	s_waitcnt vmcnt(0)
	v_cmp_ne_u16_sdwa s[36:37], v13, v7 src0_sel:BYTE_0 src1_sel:DWORD
	s_or_b64 s[28:29], s[36:37], s[28:29]
	s_andn2_b64 exec, exec, s[28:29]
	s_cbranch_execnz .LBB2722_38
; %bb.41:
	s_or_b64 exec, exec, s[28:29]
.LBB2722_42:
	s_or_b64 exec, exec, s[26:27]
	v_and_b32_e32 v26, 63, v9
	v_cmp_ne_u32_e32 vcc, 63, v26
	v_mov_b32_e32 v7, 2
	v_addc_co_u32_e32 v27, vcc, 0, v9, vcc
	v_cmp_eq_u16_sdwa s[26:27], v13, v7 src0_sel:BYTE_0 src1_sel:DWORD
	v_lshlrev_b64 v[10:11], v9, -1
	v_lshlrev_b32_e32 v27, 2, v27
	v_and_b32_e32 v14, s27, v11
	ds_bpermute_b32 v28, v27, v12
	v_or_b32_e32 v14, 0x80000000, v14
	v_and_b32_e32 v15, s26, v10
	v_ffbl_b32_e32 v14, v14
	v_add_u32_e32 v14, 32, v14
	v_ffbl_b32_e32 v15, v15
	v_min_u32_e32 v14, v15, v14
	s_waitcnt lgkmcnt(0)
	v_max_i32_e32 v15, v28, v12
	v_cmp_lt_u32_e32 vcc, v26, v14
	v_cndmask_b32_e32 v12, v12, v15, vcc
	v_cmp_gt_u32_e32 vcc, 62, v26
	v_cndmask_b32_e64 v15, 0, 1, vcc
	v_lshlrev_b32_e32 v15, 1, v15
	v_add_lshl_u32 v28, v15, v9, 2
	ds_bpermute_b32 v15, v28, v12
	v_add_u32_e32 v29, 2, v26
	v_cmp_gt_u32_e32 vcc, v29, v14
	v_add_u32_e32 v31, 4, v26
	v_add_u32_e32 v33, 8, v26
	s_waitcnt lgkmcnt(0)
	v_max_i32_e32 v15, v15, v12
	v_cndmask_b32_e32 v12, v15, v12, vcc
	v_cmp_gt_u32_e32 vcc, 60, v26
	v_cndmask_b32_e64 v15, 0, 1, vcc
	v_lshlrev_b32_e32 v15, 2, v15
	v_add_lshl_u32 v30, v15, v9, 2
	ds_bpermute_b32 v15, v30, v12
	v_cmp_gt_u32_e32 vcc, v31, v14
	v_add_u32_e32 v36, 16, v26
	v_add_u32_e32 v38, 32, v26
	s_waitcnt lgkmcnt(0)
	v_max_i32_e32 v15, v15, v12
	v_cndmask_b32_e32 v12, v15, v12, vcc
	v_cmp_gt_u32_e32 vcc, 56, v26
	v_cndmask_b32_e64 v15, 0, 1, vcc
	v_lshlrev_b32_e32 v15, 3, v15
	v_add_lshl_u32 v32, v15, v9, 2
	ds_bpermute_b32 v15, v32, v12
	v_cmp_gt_u32_e32 vcc, v33, v14
	s_waitcnt lgkmcnt(0)
	v_max_i32_e32 v15, v15, v12
	v_cndmask_b32_e32 v12, v15, v12, vcc
	v_cmp_gt_u32_e32 vcc, 48, v26
	v_cndmask_b32_e64 v15, 0, 1, vcc
	v_lshlrev_b32_e32 v15, 4, v15
	v_add_lshl_u32 v34, v15, v9, 2
	ds_bpermute_b32 v15, v34, v12
	v_cmp_gt_u32_e32 vcc, v36, v14
	;; [unrolled: 9-line block ×3, first 2 shown]
	s_waitcnt lgkmcnt(0)
	v_max_i32_e32 v9, v9, v12
	v_cndmask_b32_e32 v12, v9, v12, vcc
	v_mov_b32_e32 v9, 0
	s_branch .LBB2722_44
.LBB2722_43:                            ;   in Loop: Header=BB2722_44 Depth=1
	s_or_b64 exec, exec, s[26:27]
	v_cmp_eq_u16_sdwa s[26:27], v13, v7 src0_sel:BYTE_0 src1_sel:DWORD
	v_and_b32_e32 v14, s27, v11
	ds_bpermute_b32 v39, v27, v12
	v_or_b32_e32 v14, 0x80000000, v14
	v_and_b32_e32 v15, s26, v10
	v_ffbl_b32_e32 v14, v14
	v_add_u32_e32 v14, 32, v14
	v_ffbl_b32_e32 v15, v15
	v_min_u32_e32 v14, v15, v14
	s_waitcnt lgkmcnt(0)
	v_max_i32_e32 v15, v39, v12
	v_cmp_lt_u32_e32 vcc, v26, v14
	v_cndmask_b32_e32 v12, v12, v15, vcc
	ds_bpermute_b32 v15, v28, v12
	v_cmp_gt_u32_e32 vcc, v29, v14
	v_subrev_u32_e32 v8, 64, v8
	s_waitcnt lgkmcnt(0)
	v_max_i32_e32 v15, v15, v12
	v_cndmask_b32_e32 v12, v15, v12, vcc
	ds_bpermute_b32 v15, v30, v12
	v_cmp_gt_u32_e32 vcc, v31, v14
	s_waitcnt lgkmcnt(0)
	v_max_i32_e32 v15, v15, v12
	v_cndmask_b32_e32 v12, v15, v12, vcc
	ds_bpermute_b32 v15, v32, v12
	v_cmp_gt_u32_e32 vcc, v33, v14
	s_waitcnt lgkmcnt(0)
	v_max_i32_e32 v15, v15, v12
	v_cndmask_b32_e32 v12, v15, v12, vcc
	ds_bpermute_b32 v15, v34, v12
	v_cmp_gt_u32_e32 vcc, v36, v14
	s_waitcnt lgkmcnt(0)
	v_max_i32_e32 v15, v15, v12
	v_cndmask_b32_e32 v12, v15, v12, vcc
	ds_bpermute_b32 v15, v37, v12
	v_cmp_gt_u32_e32 vcc, v38, v14
	s_waitcnt lgkmcnt(0)
	v_max_i32_e32 v15, v15, v12
	v_cndmask_b32_e32 v12, v15, v12, vcc
	v_max_i32_e32 v12, v12, v35
.LBB2722_44:                            ; =>This Loop Header: Depth=1
                                        ;     Child Loop BB2722_47 Depth 2
                                        ;       Child Loop BB2722_48 Depth 3
	v_cmp_ne_u16_sdwa s[26:27], v13, v7 src0_sel:BYTE_0 src1_sel:DWORD
	v_cndmask_b32_e64 v13, 0, 1, s[26:27]
	;;#ASMSTART
	;;#ASMEND
	v_cmp_ne_u32_e32 vcc, 0, v13
	s_cmp_lg_u64 vcc, exec
	v_mov_b32_e32 v35, v12
	s_cbranch_scc1 .LBB2722_51
; %bb.45:                               ;   in Loop: Header=BB2722_44 Depth=1
	v_lshlrev_b64 v[12:13], 3, v[8:9]
	v_mov_b32_e32 v15, s7
	v_add_co_u32_e32 v14, vcc, s6, v12
	v_addc_co_u32_e32 v15, vcc, v15, v13, vcc
	global_load_dwordx2 v[12:13], v[14:15], off glc
	s_waitcnt vmcnt(0)
	v_cmp_eq_u16_sdwa s[28:29], v13, v9 src0_sel:BYTE_0 src1_sel:DWORD
	s_and_saveexec_b64 s[26:27], s[28:29]
	s_cbranch_execz .LBB2722_43
; %bb.46:                               ;   in Loop: Header=BB2722_44 Depth=1
	s_mov_b32 s34, 1
	s_mov_b64 s[28:29], 0
.LBB2722_47:                            ;   Parent Loop BB2722_44 Depth=1
                                        ; =>  This Loop Header: Depth=2
                                        ;       Child Loop BB2722_48 Depth 3
	s_max_u32 s35, s34, 1
.LBB2722_48:                            ;   Parent Loop BB2722_44 Depth=1
                                        ;     Parent Loop BB2722_47 Depth=2
                                        ; =>    This Inner Loop Header: Depth=3
	s_add_i32 s35, s35, -1
	s_cmp_eq_u32 s35, 0
	s_sleep 1
	s_cbranch_scc0 .LBB2722_48
; %bb.49:                               ;   in Loop: Header=BB2722_47 Depth=2
	global_load_dwordx2 v[12:13], v[14:15], off glc
	s_cmp_lt_u32 s34, 32
	s_cselect_b64 s[36:37], -1, 0
	s_cmp_lg_u64 s[36:37], 0
	s_addc_u32 s34, s34, 0
	s_waitcnt vmcnt(0)
	v_cmp_ne_u16_sdwa s[36:37], v13, v9 src0_sel:BYTE_0 src1_sel:DWORD
	s_or_b64 s[28:29], s[36:37], s[28:29]
	s_andn2_b64 exec, exec, s[28:29]
	s_cbranch_execnz .LBB2722_47
; %bb.50:                               ;   in Loop: Header=BB2722_44 Depth=1
	s_or_b64 exec, exec, s[28:29]
	s_branch .LBB2722_43
.LBB2722_51:                            ;   in Loop: Header=BB2722_44 Depth=1
                                        ; implicit-def: $vgpr12
                                        ; implicit-def: $vgpr13
	s_cbranch_execz .LBB2722_44
; %bb.52:
	s_and_saveexec_b64 s[26:27], s[4:5]
	s_cbranch_execz .LBB2722_54
; %bb.53:
	s_add_i32 s4, s33, 64
	s_mov_b32 s5, 0
	s_lshl_b64 s[4:5], s[4:5], 3
	s_add_u32 s4, s6, s4
	v_max_i32_e32 v6, v35, v6
	v_mov_b32_e32 v7, 2
	s_addc_u32 s5, s7, s5
	v_mov_b32_e32 v8, 0
	global_store_dwordx2 v8, v[6:7], s[4:5]
.LBB2722_54:
	s_or_b64 exec, exec, s[26:27]
	s_and_b64 exec, exec, s[2:3]
	s_cbranch_execz .LBB2722_56
; %bb.55:
	v_mov_b32_e32 v6, 0
	ds_write_b32 v6, v35
.LBB2722_56:
	s_or_b64 exec, exec, s[24:25]
	v_mov_b32_e32 v6, 0
	s_waitcnt lgkmcnt(0)
	s_barrier
	ds_read_b32 v6, v6
	v_max_i32_e32 v7, v25, v2
	v_cndmask_b32_e64 v7, v7, v2, s[2:3]
	s_waitcnt lgkmcnt(0)
	v_max_i32_e32 v6, v6, v7
	v_max_i32_e32 v7, v6, v3
	;; [unrolled: 1-line block ×10, first 2 shown]
	s_branch .LBB2722_69
.LBB2722_57:
                                        ; implicit-def: $vgpr6_vgpr7_vgpr8_vgpr9_vgpr10_vgpr11_vgpr12_vgpr13_vgpr14_vgpr15
	s_cbranch_execz .LBB2722_69
; %bb.58:
	s_cmp_lg_u64 s[12:13], 0
	s_cselect_b64 s[4:5], -1, 0
	s_and_b64 s[12:13], s[2:3], s[4:5]
	v_mov_b32_e32 v12, v3
	v_mov_b32_e32 v13, v4
	;; [unrolled: 1-line block ×3, first 2 shown]
	s_and_saveexec_b64 s[4:5], s[12:13]
	s_cbranch_execz .LBB2722_60
; %bb.59:
	v_mov_b32_e32 v6, 0
	global_load_dword v6, v6, s[8:9]
	v_mov_b32_e32 v12, v3
	v_mov_b32_e32 v13, v4
	;; [unrolled: 1-line block ×3, first 2 shown]
	s_waitcnt vmcnt(0)
	v_max_i32_e32 v2, v6, v2
.LBB2722_60:
	s_or_b64 exec, exec, s[4:5]
	v_max_i32_e32 v3, v2, v12
	v_max_i32_e32 v4, v3, v13
	;; [unrolled: 1-line block ×9, first 2 shown]
	v_add_lshl_u32 v1, v1, v0, 2
	v_cmp_gt_u32_e32 vcc, 64, v0
	ds_write_b32 v1, v11
	s_waitcnt lgkmcnt(0)
	s_barrier
	s_and_saveexec_b64 s[4:5], vcc
	s_cbranch_execz .LBB2722_62
; %bb.61:
	v_lshlrev_b32_e32 v1, 1, v0
	v_lshrrev_b32_e32 v15, 4, v0
	v_add_lshl_u32 v1, v15, v1, 2
	ds_read2_b32 v[26:27], v1 offset1:1
	v_mbcnt_lo_u32_b32 v15, -1, 0
	v_mbcnt_hi_u32_b32 v15, -1, v15
	v_and_b32_e32 v25, 15, v15
	v_cmp_eq_u32_e32 vcc, 0, v25
	s_waitcnt lgkmcnt(0)
	v_max_i32_e32 v27, v26, v27
	; wave barrier
	s_nop 1
	v_mov_b32_dpp v28, v27 row_shr:1 row_mask:0xf bank_mask:0xf
	v_max_i32_e32 v28, v28, v27
	v_cndmask_b32_e32 v27, v28, v27, vcc
	v_cmp_lt_u32_e32 vcc, 1, v25
	s_nop 0
	v_mov_b32_dpp v28, v27 row_shr:2 row_mask:0xf bank_mask:0xf
	v_max_i32_e32 v28, v28, v27
	v_cndmask_b32_e32 v27, v27, v28, vcc
	v_cmp_lt_u32_e32 vcc, 3, v25
	;; [unrolled: 5-line block ×3, first 2 shown]
	s_nop 0
	v_mov_b32_dpp v28, v27 row_shr:8 row_mask:0xf bank_mask:0xf
	v_max_i32_e32 v28, v28, v27
	v_cndmask_b32_e32 v25, v27, v28, vcc
	v_and_b32_e32 v28, 16, v15
	v_cmp_eq_u32_e32 vcc, 0, v28
	v_mov_b32_dpp v27, v25 row_bcast:15 row_mask:0xf bank_mask:0xf
	v_max_i32_e32 v27, v27, v25
	v_cndmask_b32_e32 v25, v27, v25, vcc
	v_cmp_lt_u32_e32 vcc, 31, v15
	v_and_b32_e32 v28, 64, v15
	v_mov_b32_dpp v27, v25 row_bcast:31 row_mask:0xf bank_mask:0xf
	v_max_i32_e32 v27, v27, v25
	v_cndmask_b32_e32 v25, v25, v27, vcc
	v_add_u32_e32 v27, -1, v15
	v_cmp_lt_i32_e32 vcc, v27, v28
	v_cndmask_b32_e32 v15, v27, v15, vcc
	v_lshlrev_b32_e32 v15, 2, v15
	ds_bpermute_b32 v15, v15, v25
	s_waitcnt lgkmcnt(0)
	v_max_i32_e32 v15, v15, v26
	v_cndmask_b32_e64 v15, v15, v11, s[2:3]
	ds_write_b32 v1, v15
	; wave barrier
	ds_read_b32 v25, v1 offset:4
	s_waitcnt lgkmcnt(0)
	v_max_i32_e32 v15, v15, v25
	ds_write_b32 v1, v15 offset:4
.LBB2722_62:
	s_or_b64 exec, exec, s[4:5]
	v_mov_b32_e32 v1, v11
	s_waitcnt lgkmcnt(0)
	s_barrier
	s_and_saveexec_b64 s[2:3], s[0:1]
	s_cbranch_execz .LBB2722_64
; %bb.63:
	v_add_u32_e32 v1, -1, v0
	v_lshrrev_b32_e32 v15, 5, v1
	v_add_lshl_u32 v1, v15, v1, 2
	ds_read_b32 v1, v1
.LBB2722_64:
	s_or_b64 exec, exec, s[2:3]
	s_and_saveexec_b64 s[2:3], s[0:1]
	s_cbranch_execz .LBB2722_66
; %bb.65:
	s_waitcnt lgkmcnt(0)
	v_max_i32_e32 v2, v1, v2
	v_max_i32_e32 v3, v2, v12
	;; [unrolled: 1-line block ×10, first 2 shown]
	;;#ASMSTART
	;;#ASMEND
.LBB2722_66:
	s_or_b64 exec, exec, s[2:3]
	s_movk_i32 s0, 0x7f
	v_cmp_eq_u32_e32 vcc, s0, v0
	s_and_saveexec_b64 s[0:1], vcc
	s_cbranch_execz .LBB2722_68
; %bb.67:
	s_waitcnt lgkmcnt(0)
	v_mov_b32_e32 v1, 0
	v_mov_b32_e32 v13, 2
	v_mov_b32_e32 v12, v11
	global_store_dwordx2 v1, v[12:13], s[6:7] offset:512
.LBB2722_68:
	s_or_b64 exec, exec, s[0:1]
	v_pk_mov_b32 v[14:15], v[10:11], v[10:11] op_sel:[0,1]
	v_pk_mov_b32 v[12:13], v[8:9], v[8:9] op_sel:[0,1]
	;; [unrolled: 1-line block ×5, first 2 shown]
.LBB2722_69:
	s_add_u32 s0, s20, s18
	s_addc_u32 s1, s21, s19
	s_add_u32 s2, s0, s22
	s_addc_u32 s3, s1, s23
	s_mov_b64 s[0:1], -1
	s_and_b64 vcc, exec, s[16:17]
	s_waitcnt lgkmcnt(0)
	s_barrier
	s_cbranch_vccz .LBB2722_71
; %bb.70:
	ds_write2_b64 v24, v[6:7], v[8:9] offset1:1
	ds_write2_b64 v24, v[10:11], v[12:13] offset0:2 offset1:3
	ds_write_b64 v24, v[14:15] offset:32
	s_waitcnt lgkmcnt(0)
	s_barrier
	ds_read2st64_b32 v[2:3], v22 offset1:2
	ds_read2st64_b32 v[4:5], v22 offset0:4 offset1:6
	ds_read2st64_b32 v[16:17], v22 offset0:8 offset1:10
	;; [unrolled: 1-line block ×4, first 2 shown]
	v_mov_b32_e32 v1, s3
	v_add_co_u32_e32 v26, vcc, s2, v22
	v_addc_co_u32_e32 v27, vcc, 0, v1, vcc
	s_waitcnt lgkmcnt(4)
	flat_store_dword v[26:27], v2
	flat_store_dword v[26:27], v3 offset:512
	s_waitcnt lgkmcnt(0)
	flat_store_dword v[26:27], v4 offset:1024
	flat_store_dword v[26:27], v5 offset:1536
	;; [unrolled: 1-line block ×6, first 2 shown]
	v_add_co_u32_e32 v2, vcc, 0x1000, v26
	v_addc_co_u32_e32 v3, vcc, 0, v27, vcc
	flat_store_dword v[2:3], v20
	flat_store_dword v[2:3], v21 offset:512
	s_mov_b64 s[0:1], 0
.LBB2722_71:
	s_andn2_b64 vcc, exec, s[0:1]
	s_cbranch_vccnz .LBB2722_127
; %bb.72:
	s_movk_i32 s0, 0xffdc
	ds_write2_b64 v24, v[6:7], v[8:9] offset1:1
	ds_write2_b64 v24, v[10:11], v[12:13] offset0:2 offset1:3
	ds_write_b64 v24, v[14:15] offset:32
	v_mad_i32_i24 v10, v0, s0, v24
	s_waitcnt lgkmcnt(0)
	s_barrier
	ds_read2st64_b32 v[2:3], v10 offset1:2
	ds_read2st64_b32 v[6:7], v10 offset0:4 offset1:6
	ds_read2st64_b32 v[4:5], v10 offset0:8 offset1:10
	;; [unrolled: 1-line block ×4, first 2 shown]
	v_mov_b32_e32 v13, s3
	v_add_co_u32_e32 v12, vcc, s2, v22
	v_addc_co_u32_e32 v13, vcc, 0, v13, vcc
	v_mov_b32_e32 v1, 0
	v_cmp_gt_u32_e32 vcc, s30, v0
	s_and_saveexec_b64 s[0:1], vcc
	s_cbranch_execz .LBB2722_74
; %bb.73:
	s_waitcnt lgkmcnt(0)
	flat_store_dword v[12:13], v2
.LBB2722_74:
	s_or_b64 exec, exec, s[0:1]
	v_or_b32_e32 v14, 0x80, v0
	v_cmp_gt_u32_e32 vcc, s30, v14
	s_and_saveexec_b64 s[0:1], vcc
	s_cbranch_execz .LBB2722_76
; %bb.75:
	s_waitcnt lgkmcnt(0)
	flat_store_dword v[12:13], v3 offset:512
.LBB2722_76:
	s_or_b64 exec, exec, s[0:1]
	v_or_b32_e32 v14, 0x100, v0
	v_cmp_gt_u32_e32 vcc, s30, v14
	s_and_saveexec_b64 s[0:1], vcc
	s_cbranch_execz .LBB2722_78
; %bb.77:
	s_waitcnt lgkmcnt(0)
	flat_store_dword v[12:13], v6 offset:1024
.LBB2722_78:
	;; [unrolled: 9-line block ×7, first 2 shown]
	s_or_b64 exec, exec, s[0:1]
	v_or_b32_e32 v14, 0x400, v0
	v_cmp_gt_u32_e32 vcc, s30, v14
	s_and_saveexec_b64 s[0:1], vcc
	s_cbranch_execz .LBB2722_90
; %bb.89:
	v_add_co_u32_e32 v14, vcc, 0x1000, v12
	v_addc_co_u32_e32 v15, vcc, 0, v13, vcc
	s_waitcnt lgkmcnt(0)
	flat_store_dword v[14:15], v10
.LBB2722_90:
	s_or_b64 exec, exec, s[0:1]
	v_or_b32_e32 v14, 0x480, v0
	v_cmp_gt_u32_e32 vcc, s30, v14
	s_and_saveexec_b64 s[0:1], vcc
	s_cbranch_execz .LBB2722_92
; %bb.91:
	v_add_co_u32_e32 v12, vcc, 0x1000, v12
	v_addc_co_u32_e32 v13, vcc, 0, v13, vcc
	s_waitcnt lgkmcnt(0)
	flat_store_dword v[12:13], v11 offset:512
.LBB2722_92:
	s_or_b64 exec, exec, s[0:1]
	v_cmp_lt_u64_e64 s[0:1], s[14:15], 2
	s_and_b64 vcc, exec, s[0:1]
	s_cbranch_vccnz .LBB2722_127
; %bb.93:
	s_add_u32 s0, s30, -1
	s_addc_u32 s1, s31, -1
	s_add_u32 s2, 0, 0x99986000
	s_addc_u32 s3, 0, 0x59
	s_add_i32 s3, s3, 0x19999940
	s_mul_hi_u32 s7, s2, -10
	s_sub_i32 s7, s7, s2
	s_mul_i32 s8, s3, -10
	s_mul_i32 s4, s2, -10
	s_add_i32 s7, s7, s8
	s_mul_hi_u32 s5, s3, s4
	s_mul_i32 s6, s3, s4
	s_mul_i32 s9, s2, s7
	s_mul_hi_u32 s4, s2, s4
	s_mul_hi_u32 s8, s2, s7
	s_add_u32 s4, s4, s9
	s_addc_u32 s8, 0, s8
	s_add_u32 s4, s4, s6
	s_mul_hi_u32 s9, s3, s7
	s_addc_u32 s4, s8, s5
	s_addc_u32 s5, s9, 0
	s_mul_i32 s6, s3, s7
	s_add_u32 s4, s4, s6
	v_mov_b32_e32 v12, s4
	s_addc_u32 s5, 0, s5
	v_add_co_u32_e32 v12, vcc, s2, v12
	s_cmp_lg_u64 vcc, 0
	s_addc_u32 s2, s3, s5
	v_readfirstlane_b32 s5, v12
	s_mul_i32 s4, s0, s2
	s_mul_hi_u32 s6, s0, s5
	s_mul_hi_u32 s3, s0, s2
	s_add_u32 s4, s6, s4
	s_addc_u32 s3, 0, s3
	s_mul_hi_u32 s7, s1, s5
	s_mul_i32 s5, s1, s5
	s_add_u32 s4, s4, s5
	s_mul_hi_u32 s6, s1, s2
	s_addc_u32 s3, s3, s7
	s_addc_u32 s4, s6, 0
	s_mul_i32 s2, s1, s2
	s_add_u32 s2, s3, s2
	s_addc_u32 s3, 0, s4
	s_add_u32 s4, s2, 1
	s_addc_u32 s5, s3, 0
	s_add_u32 s6, s2, 2
	s_mul_i32 s8, s3, 10
	s_mul_hi_u32 s9, s2, 10
	s_addc_u32 s7, s3, 0
	s_add_i32 s9, s9, s8
	s_mul_i32 s8, s2, 10
	v_mov_b32_e32 v12, s8
	v_sub_co_u32_e32 v12, vcc, s0, v12
	s_cmp_lg_u64 vcc, 0
	s_subb_u32 s8, s1, s9
	v_subrev_co_u32_e32 v13, vcc, 10, v12
	s_cmp_lg_u64 vcc, 0
	s_subb_u32 s9, s8, 0
	v_readfirstlane_b32 s12, v13
	s_cmp_gt_u32 s12, 9
	s_cselect_b32 s12, -1, 0
	s_cmp_eq_u32 s9, 0
	s_cselect_b32 s9, s12, -1
	s_cmp_lg_u32 s9, 0
	s_cselect_b32 s4, s6, s4
	v_readfirstlane_b32 s6, v12
	s_cselect_b32 s5, s7, s5
	s_cmp_gt_u32 s6, 9
	s_cselect_b32 s6, -1, 0
	s_cmp_eq_u32 s8, 0
	s_cselect_b32 s6, s6, -1
	s_cmp_lg_u32 s6, 0
	s_cselect_b32 s3, s5, s3
	s_cselect_b32 s2, s4, s2
	v_cmp_eq_u64_e32 vcc, s[2:3], v[0:1]
	s_and_saveexec_b64 s[2:3], vcc
	s_cbranch_execz .LBB2722_127
; %bb.94:
	v_mul_hi_u32_u24_e32 v1, 10, v0
	v_mov_b32_e32 v12, s1
	v_sub_co_u32_e32 v0, vcc, s0, v23
	v_subb_co_u32_e32 v1, vcc, v12, v1, vcc
	v_cmp_lt_i64_e32 vcc, 4, v[0:1]
	s_and_saveexec_b64 s[0:1], vcc
	s_xor_b64 s[0:1], exec, s[0:1]
	s_cbranch_execz .LBB2722_112
; %bb.95:
	v_cmp_lt_i64_e32 vcc, 6, v[0:1]
	s_and_saveexec_b64 s[2:3], vcc
	s_xor_b64 s[2:3], exec, s[2:3]
	s_cbranch_execz .LBB2722_105
; %bb.96:
	;; [unrolled: 5-line block ×4, first 2 shown]
	v_mov_b32_e32 v0, 0
	s_waitcnt lgkmcnt(0)
	global_store_dword v0, v11, s[10:11]
                                        ; implicit-def: $vgpr10_vgpr11
.LBB2722_99:
	s_andn2_saveexec_b64 s[6:7], s[6:7]
	s_cbranch_execz .LBB2722_101
; %bb.100:
	v_mov_b32_e32 v0, 0
	s_waitcnt lgkmcnt(0)
	global_store_dword v0, v10, s[10:11]
.LBB2722_101:
	s_or_b64 exec, exec, s[6:7]
                                        ; implicit-def: $vgpr8_vgpr9
.LBB2722_102:
	s_andn2_saveexec_b64 s[4:5], s[4:5]
	s_cbranch_execz .LBB2722_104
; %bb.103:
	v_mov_b32_e32 v0, 0
	s_waitcnt lgkmcnt(0)
	global_store_dword v0, v9, s[10:11]
.LBB2722_104:
	s_or_b64 exec, exec, s[4:5]
                                        ; implicit-def: $vgpr4_vgpr5
                                        ; implicit-def: $vgpr0_vgpr1
                                        ; implicit-def: $vgpr8_vgpr9
.LBB2722_105:
	s_andn2_saveexec_b64 s[2:3], s[2:3]
	s_cbranch_execz .LBB2722_111
; %bb.106:
	v_cmp_lt_i64_e32 vcc, 5, v[0:1]
	s_and_saveexec_b64 s[4:5], vcc
	s_xor_b64 s[4:5], exec, s[4:5]
	s_cbranch_execz .LBB2722_108
; %bb.107:
	v_mov_b32_e32 v0, 0
	s_waitcnt lgkmcnt(0)
	global_store_dword v0, v8, s[10:11]
                                        ; implicit-def: $vgpr4_vgpr5
.LBB2722_108:
	s_andn2_saveexec_b64 s[4:5], s[4:5]
	s_cbranch_execz .LBB2722_110
; %bb.109:
	v_mov_b32_e32 v0, 0
	s_waitcnt lgkmcnt(0)
	global_store_dword v0, v5, s[10:11]
.LBB2722_110:
	s_or_b64 exec, exec, s[4:5]
.LBB2722_111:
	s_or_b64 exec, exec, s[2:3]
                                        ; implicit-def: $vgpr0_vgpr1
                                        ; implicit-def: $vgpr6_vgpr7
                                        ; implicit-def: $vgpr2_vgpr3
                                        ; implicit-def: $vgpr4_vgpr5
.LBB2722_112:
	s_andn2_saveexec_b64 s[0:1], s[0:1]
	s_cbranch_execz .LBB2722_127
; %bb.113:
	v_cmp_lt_i64_e32 vcc, 2, v[0:1]
	s_and_saveexec_b64 s[0:1], vcc
	s_xor_b64 s[0:1], exec, s[0:1]
	s_cbranch_execz .LBB2722_119
; %bb.114:
	v_cmp_lt_i64_e32 vcc, 3, v[0:1]
	s_and_saveexec_b64 s[2:3], vcc
	s_xor_b64 s[2:3], exec, s[2:3]
	s_cbranch_execz .LBB2722_116
; %bb.115:
	v_mov_b32_e32 v0, 0
	s_waitcnt lgkmcnt(0)
	global_store_dword v0, v4, s[10:11]
                                        ; implicit-def: $vgpr6_vgpr7
.LBB2722_116:
	s_andn2_saveexec_b64 s[2:3], s[2:3]
	s_cbranch_execz .LBB2722_118
; %bb.117:
	v_mov_b32_e32 v0, 0
	s_waitcnt lgkmcnt(0)
	global_store_dword v0, v7, s[10:11]
.LBB2722_118:
	s_or_b64 exec, exec, s[2:3]
                                        ; implicit-def: $vgpr0_vgpr1
                                        ; implicit-def: $vgpr6_vgpr7
                                        ; implicit-def: $vgpr2_vgpr3
.LBB2722_119:
	s_andn2_saveexec_b64 s[0:1], s[0:1]
	s_cbranch_execz .LBB2722_127
; %bb.120:
	v_cmp_lt_i64_e32 vcc, 1, v[0:1]
	s_and_saveexec_b64 s[0:1], vcc
	s_xor_b64 s[0:1], exec, s[0:1]
	s_cbranch_execz .LBB2722_122
; %bb.121:
	v_mov_b32_e32 v0, 0
	s_waitcnt lgkmcnt(0)
	global_store_dword v0, v6, s[10:11]
                                        ; implicit-def: $vgpr2_vgpr3
                                        ; implicit-def: $vgpr0_vgpr1
.LBB2722_122:
	s_andn2_saveexec_b64 s[0:1], s[0:1]
	s_cbranch_execz .LBB2722_127
; %bb.123:
	v_cmp_ne_u64_e32 vcc, 1, v[0:1]
	s_and_saveexec_b64 s[0:1], vcc
	s_xor_b64 s[0:1], exec, s[0:1]
	s_cbranch_execz .LBB2722_125
; %bb.124:
	v_mov_b32_e32 v0, 0
	s_waitcnt lgkmcnt(0)
	global_store_dword v0, v2, s[10:11]
                                        ; implicit-def: $vgpr2_vgpr3
.LBB2722_125:
	s_andn2_saveexec_b64 s[0:1], s[0:1]
	s_cbranch_execz .LBB2722_127
; %bb.126:
	v_mov_b32_e32 v0, 0
	s_waitcnt lgkmcnt(0)
	global_store_dword v0, v3, s[10:11]
.LBB2722_127:
	s_endpgm
	.section	.rodata,"a",@progbits
	.p2align	6, 0x0
	.amdhsa_kernel _ZN7rocprim17ROCPRIM_400000_NS6detail17trampoline_kernelINS0_14default_configENS1_20scan_config_selectorIiEEZZNS1_9scan_implILNS1_25lookback_scan_determinismE0ELb0ELb0ES3_N6thrust23THRUST_200600_302600_NS6detail15normal_iteratorINS9_10device_ptrIiEEEESE_i11max_functorIiEiEEDaPvRmT3_T4_T5_mT6_P12ihipStream_tbENKUlT_T0_E_clISt17integral_constantIbLb1EESU_EEDaSP_SQ_EUlSP_E_NS1_11comp_targetILNS1_3genE4ELNS1_11target_archE910ELNS1_3gpuE8ELNS1_3repE0EEENS1_30default_config_static_selectorELNS0_4arch9wavefront6targetE1EEEvT1_
		.amdhsa_group_segment_fixed_size 5120
		.amdhsa_private_segment_fixed_size 0
		.amdhsa_kernarg_size 96
		.amdhsa_user_sgpr_count 6
		.amdhsa_user_sgpr_private_segment_buffer 1
		.amdhsa_user_sgpr_dispatch_ptr 0
		.amdhsa_user_sgpr_queue_ptr 0
		.amdhsa_user_sgpr_kernarg_segment_ptr 1
		.amdhsa_user_sgpr_dispatch_id 0
		.amdhsa_user_sgpr_flat_scratch_init 0
		.amdhsa_user_sgpr_kernarg_preload_length 0
		.amdhsa_user_sgpr_kernarg_preload_offset 0
		.amdhsa_user_sgpr_private_segment_size 0
		.amdhsa_uses_dynamic_stack 0
		.amdhsa_system_sgpr_private_segment_wavefront_offset 0
		.amdhsa_system_sgpr_workgroup_id_x 1
		.amdhsa_system_sgpr_workgroup_id_y 0
		.amdhsa_system_sgpr_workgroup_id_z 0
		.amdhsa_system_sgpr_workgroup_info 0
		.amdhsa_system_vgpr_workitem_id 0
		.amdhsa_next_free_vgpr 40
		.amdhsa_next_free_sgpr 38
		.amdhsa_accum_offset 40
		.amdhsa_reserve_vcc 1
		.amdhsa_reserve_flat_scratch 0
		.amdhsa_float_round_mode_32 0
		.amdhsa_float_round_mode_16_64 0
		.amdhsa_float_denorm_mode_32 3
		.amdhsa_float_denorm_mode_16_64 3
		.amdhsa_dx10_clamp 1
		.amdhsa_ieee_mode 1
		.amdhsa_fp16_overflow 0
		.amdhsa_tg_split 0
		.amdhsa_exception_fp_ieee_invalid_op 0
		.amdhsa_exception_fp_denorm_src 0
		.amdhsa_exception_fp_ieee_div_zero 0
		.amdhsa_exception_fp_ieee_overflow 0
		.amdhsa_exception_fp_ieee_underflow 0
		.amdhsa_exception_fp_ieee_inexact 0
		.amdhsa_exception_int_div_zero 0
	.end_amdhsa_kernel
	.section	.text._ZN7rocprim17ROCPRIM_400000_NS6detail17trampoline_kernelINS0_14default_configENS1_20scan_config_selectorIiEEZZNS1_9scan_implILNS1_25lookback_scan_determinismE0ELb0ELb0ES3_N6thrust23THRUST_200600_302600_NS6detail15normal_iteratorINS9_10device_ptrIiEEEESE_i11max_functorIiEiEEDaPvRmT3_T4_T5_mT6_P12ihipStream_tbENKUlT_T0_E_clISt17integral_constantIbLb1EESU_EEDaSP_SQ_EUlSP_E_NS1_11comp_targetILNS1_3genE4ELNS1_11target_archE910ELNS1_3gpuE8ELNS1_3repE0EEENS1_30default_config_static_selectorELNS0_4arch9wavefront6targetE1EEEvT1_,"axG",@progbits,_ZN7rocprim17ROCPRIM_400000_NS6detail17trampoline_kernelINS0_14default_configENS1_20scan_config_selectorIiEEZZNS1_9scan_implILNS1_25lookback_scan_determinismE0ELb0ELb0ES3_N6thrust23THRUST_200600_302600_NS6detail15normal_iteratorINS9_10device_ptrIiEEEESE_i11max_functorIiEiEEDaPvRmT3_T4_T5_mT6_P12ihipStream_tbENKUlT_T0_E_clISt17integral_constantIbLb1EESU_EEDaSP_SQ_EUlSP_E_NS1_11comp_targetILNS1_3genE4ELNS1_11target_archE910ELNS1_3gpuE8ELNS1_3repE0EEENS1_30default_config_static_selectorELNS0_4arch9wavefront6targetE1EEEvT1_,comdat
.Lfunc_end2722:
	.size	_ZN7rocprim17ROCPRIM_400000_NS6detail17trampoline_kernelINS0_14default_configENS1_20scan_config_selectorIiEEZZNS1_9scan_implILNS1_25lookback_scan_determinismE0ELb0ELb0ES3_N6thrust23THRUST_200600_302600_NS6detail15normal_iteratorINS9_10device_ptrIiEEEESE_i11max_functorIiEiEEDaPvRmT3_T4_T5_mT6_P12ihipStream_tbENKUlT_T0_E_clISt17integral_constantIbLb1EESU_EEDaSP_SQ_EUlSP_E_NS1_11comp_targetILNS1_3genE4ELNS1_11target_archE910ELNS1_3gpuE8ELNS1_3repE0EEENS1_30default_config_static_selectorELNS0_4arch9wavefront6targetE1EEEvT1_, .Lfunc_end2722-_ZN7rocprim17ROCPRIM_400000_NS6detail17trampoline_kernelINS0_14default_configENS1_20scan_config_selectorIiEEZZNS1_9scan_implILNS1_25lookback_scan_determinismE0ELb0ELb0ES3_N6thrust23THRUST_200600_302600_NS6detail15normal_iteratorINS9_10device_ptrIiEEEESE_i11max_functorIiEiEEDaPvRmT3_T4_T5_mT6_P12ihipStream_tbENKUlT_T0_E_clISt17integral_constantIbLb1EESU_EEDaSP_SQ_EUlSP_E_NS1_11comp_targetILNS1_3genE4ELNS1_11target_archE910ELNS1_3gpuE8ELNS1_3repE0EEENS1_30default_config_static_selectorELNS0_4arch9wavefront6targetE1EEEvT1_
                                        ; -- End function
	.section	.AMDGPU.csdata,"",@progbits
; Kernel info:
; codeLenInByte = 4664
; NumSgprs: 42
; NumVgprs: 40
; NumAgprs: 0
; TotalNumVgprs: 40
; ScratchSize: 0
; MemoryBound: 0
; FloatMode: 240
; IeeeMode: 1
; LDSByteSize: 5120 bytes/workgroup (compile time only)
; SGPRBlocks: 5
; VGPRBlocks: 4
; NumSGPRsForWavesPerEU: 42
; NumVGPRsForWavesPerEU: 40
; AccumOffset: 40
; Occupancy: 6
; WaveLimiterHint : 1
; COMPUTE_PGM_RSRC2:SCRATCH_EN: 0
; COMPUTE_PGM_RSRC2:USER_SGPR: 6
; COMPUTE_PGM_RSRC2:TRAP_HANDLER: 0
; COMPUTE_PGM_RSRC2:TGID_X_EN: 1
; COMPUTE_PGM_RSRC2:TGID_Y_EN: 0
; COMPUTE_PGM_RSRC2:TGID_Z_EN: 0
; COMPUTE_PGM_RSRC2:TIDIG_COMP_CNT: 0
; COMPUTE_PGM_RSRC3_GFX90A:ACCUM_OFFSET: 9
; COMPUTE_PGM_RSRC3_GFX90A:TG_SPLIT: 0
	.section	.text._ZN7rocprim17ROCPRIM_400000_NS6detail17trampoline_kernelINS0_14default_configENS1_20scan_config_selectorIiEEZZNS1_9scan_implILNS1_25lookback_scan_determinismE0ELb0ELb0ES3_N6thrust23THRUST_200600_302600_NS6detail15normal_iteratorINS9_10device_ptrIiEEEESE_i11max_functorIiEiEEDaPvRmT3_T4_T5_mT6_P12ihipStream_tbENKUlT_T0_E_clISt17integral_constantIbLb1EESU_EEDaSP_SQ_EUlSP_E_NS1_11comp_targetILNS1_3genE3ELNS1_11target_archE908ELNS1_3gpuE7ELNS1_3repE0EEENS1_30default_config_static_selectorELNS0_4arch9wavefront6targetE1EEEvT1_,"axG",@progbits,_ZN7rocprim17ROCPRIM_400000_NS6detail17trampoline_kernelINS0_14default_configENS1_20scan_config_selectorIiEEZZNS1_9scan_implILNS1_25lookback_scan_determinismE0ELb0ELb0ES3_N6thrust23THRUST_200600_302600_NS6detail15normal_iteratorINS9_10device_ptrIiEEEESE_i11max_functorIiEiEEDaPvRmT3_T4_T5_mT6_P12ihipStream_tbENKUlT_T0_E_clISt17integral_constantIbLb1EESU_EEDaSP_SQ_EUlSP_E_NS1_11comp_targetILNS1_3genE3ELNS1_11target_archE908ELNS1_3gpuE7ELNS1_3repE0EEENS1_30default_config_static_selectorELNS0_4arch9wavefront6targetE1EEEvT1_,comdat
	.protected	_ZN7rocprim17ROCPRIM_400000_NS6detail17trampoline_kernelINS0_14default_configENS1_20scan_config_selectorIiEEZZNS1_9scan_implILNS1_25lookback_scan_determinismE0ELb0ELb0ES3_N6thrust23THRUST_200600_302600_NS6detail15normal_iteratorINS9_10device_ptrIiEEEESE_i11max_functorIiEiEEDaPvRmT3_T4_T5_mT6_P12ihipStream_tbENKUlT_T0_E_clISt17integral_constantIbLb1EESU_EEDaSP_SQ_EUlSP_E_NS1_11comp_targetILNS1_3genE3ELNS1_11target_archE908ELNS1_3gpuE7ELNS1_3repE0EEENS1_30default_config_static_selectorELNS0_4arch9wavefront6targetE1EEEvT1_ ; -- Begin function _ZN7rocprim17ROCPRIM_400000_NS6detail17trampoline_kernelINS0_14default_configENS1_20scan_config_selectorIiEEZZNS1_9scan_implILNS1_25lookback_scan_determinismE0ELb0ELb0ES3_N6thrust23THRUST_200600_302600_NS6detail15normal_iteratorINS9_10device_ptrIiEEEESE_i11max_functorIiEiEEDaPvRmT3_T4_T5_mT6_P12ihipStream_tbENKUlT_T0_E_clISt17integral_constantIbLb1EESU_EEDaSP_SQ_EUlSP_E_NS1_11comp_targetILNS1_3genE3ELNS1_11target_archE908ELNS1_3gpuE7ELNS1_3repE0EEENS1_30default_config_static_selectorELNS0_4arch9wavefront6targetE1EEEvT1_
	.globl	_ZN7rocprim17ROCPRIM_400000_NS6detail17trampoline_kernelINS0_14default_configENS1_20scan_config_selectorIiEEZZNS1_9scan_implILNS1_25lookback_scan_determinismE0ELb0ELb0ES3_N6thrust23THRUST_200600_302600_NS6detail15normal_iteratorINS9_10device_ptrIiEEEESE_i11max_functorIiEiEEDaPvRmT3_T4_T5_mT6_P12ihipStream_tbENKUlT_T0_E_clISt17integral_constantIbLb1EESU_EEDaSP_SQ_EUlSP_E_NS1_11comp_targetILNS1_3genE3ELNS1_11target_archE908ELNS1_3gpuE7ELNS1_3repE0EEENS1_30default_config_static_selectorELNS0_4arch9wavefront6targetE1EEEvT1_
	.p2align	8
	.type	_ZN7rocprim17ROCPRIM_400000_NS6detail17trampoline_kernelINS0_14default_configENS1_20scan_config_selectorIiEEZZNS1_9scan_implILNS1_25lookback_scan_determinismE0ELb0ELb0ES3_N6thrust23THRUST_200600_302600_NS6detail15normal_iteratorINS9_10device_ptrIiEEEESE_i11max_functorIiEiEEDaPvRmT3_T4_T5_mT6_P12ihipStream_tbENKUlT_T0_E_clISt17integral_constantIbLb1EESU_EEDaSP_SQ_EUlSP_E_NS1_11comp_targetILNS1_3genE3ELNS1_11target_archE908ELNS1_3gpuE7ELNS1_3repE0EEENS1_30default_config_static_selectorELNS0_4arch9wavefront6targetE1EEEvT1_,@function
_ZN7rocprim17ROCPRIM_400000_NS6detail17trampoline_kernelINS0_14default_configENS1_20scan_config_selectorIiEEZZNS1_9scan_implILNS1_25lookback_scan_determinismE0ELb0ELb0ES3_N6thrust23THRUST_200600_302600_NS6detail15normal_iteratorINS9_10device_ptrIiEEEESE_i11max_functorIiEiEEDaPvRmT3_T4_T5_mT6_P12ihipStream_tbENKUlT_T0_E_clISt17integral_constantIbLb1EESU_EEDaSP_SQ_EUlSP_E_NS1_11comp_targetILNS1_3genE3ELNS1_11target_archE908ELNS1_3gpuE7ELNS1_3repE0EEENS1_30default_config_static_selectorELNS0_4arch9wavefront6targetE1EEEvT1_: ; @_ZN7rocprim17ROCPRIM_400000_NS6detail17trampoline_kernelINS0_14default_configENS1_20scan_config_selectorIiEEZZNS1_9scan_implILNS1_25lookback_scan_determinismE0ELb0ELb0ES3_N6thrust23THRUST_200600_302600_NS6detail15normal_iteratorINS9_10device_ptrIiEEEESE_i11max_functorIiEiEEDaPvRmT3_T4_T5_mT6_P12ihipStream_tbENKUlT_T0_E_clISt17integral_constantIbLb1EESU_EEDaSP_SQ_EUlSP_E_NS1_11comp_targetILNS1_3genE3ELNS1_11target_archE908ELNS1_3gpuE7ELNS1_3repE0EEENS1_30default_config_static_selectorELNS0_4arch9wavefront6targetE1EEEvT1_
; %bb.0:
	.section	.rodata,"a",@progbits
	.p2align	6, 0x0
	.amdhsa_kernel _ZN7rocprim17ROCPRIM_400000_NS6detail17trampoline_kernelINS0_14default_configENS1_20scan_config_selectorIiEEZZNS1_9scan_implILNS1_25lookback_scan_determinismE0ELb0ELb0ES3_N6thrust23THRUST_200600_302600_NS6detail15normal_iteratorINS9_10device_ptrIiEEEESE_i11max_functorIiEiEEDaPvRmT3_T4_T5_mT6_P12ihipStream_tbENKUlT_T0_E_clISt17integral_constantIbLb1EESU_EEDaSP_SQ_EUlSP_E_NS1_11comp_targetILNS1_3genE3ELNS1_11target_archE908ELNS1_3gpuE7ELNS1_3repE0EEENS1_30default_config_static_selectorELNS0_4arch9wavefront6targetE1EEEvT1_
		.amdhsa_group_segment_fixed_size 0
		.amdhsa_private_segment_fixed_size 0
		.amdhsa_kernarg_size 96
		.amdhsa_user_sgpr_count 6
		.amdhsa_user_sgpr_private_segment_buffer 1
		.amdhsa_user_sgpr_dispatch_ptr 0
		.amdhsa_user_sgpr_queue_ptr 0
		.amdhsa_user_sgpr_kernarg_segment_ptr 1
		.amdhsa_user_sgpr_dispatch_id 0
		.amdhsa_user_sgpr_flat_scratch_init 0
		.amdhsa_user_sgpr_kernarg_preload_length 0
		.amdhsa_user_sgpr_kernarg_preload_offset 0
		.amdhsa_user_sgpr_private_segment_size 0
		.amdhsa_uses_dynamic_stack 0
		.amdhsa_system_sgpr_private_segment_wavefront_offset 0
		.amdhsa_system_sgpr_workgroup_id_x 1
		.amdhsa_system_sgpr_workgroup_id_y 0
		.amdhsa_system_sgpr_workgroup_id_z 0
		.amdhsa_system_sgpr_workgroup_info 0
		.amdhsa_system_vgpr_workitem_id 0
		.amdhsa_next_free_vgpr 1
		.amdhsa_next_free_sgpr 0
		.amdhsa_accum_offset 4
		.amdhsa_reserve_vcc 0
		.amdhsa_reserve_flat_scratch 0
		.amdhsa_float_round_mode_32 0
		.amdhsa_float_round_mode_16_64 0
		.amdhsa_float_denorm_mode_32 3
		.amdhsa_float_denorm_mode_16_64 3
		.amdhsa_dx10_clamp 1
		.amdhsa_ieee_mode 1
		.amdhsa_fp16_overflow 0
		.amdhsa_tg_split 0
		.amdhsa_exception_fp_ieee_invalid_op 0
		.amdhsa_exception_fp_denorm_src 0
		.amdhsa_exception_fp_ieee_div_zero 0
		.amdhsa_exception_fp_ieee_overflow 0
		.amdhsa_exception_fp_ieee_underflow 0
		.amdhsa_exception_fp_ieee_inexact 0
		.amdhsa_exception_int_div_zero 0
	.end_amdhsa_kernel
	.section	.text._ZN7rocprim17ROCPRIM_400000_NS6detail17trampoline_kernelINS0_14default_configENS1_20scan_config_selectorIiEEZZNS1_9scan_implILNS1_25lookback_scan_determinismE0ELb0ELb0ES3_N6thrust23THRUST_200600_302600_NS6detail15normal_iteratorINS9_10device_ptrIiEEEESE_i11max_functorIiEiEEDaPvRmT3_T4_T5_mT6_P12ihipStream_tbENKUlT_T0_E_clISt17integral_constantIbLb1EESU_EEDaSP_SQ_EUlSP_E_NS1_11comp_targetILNS1_3genE3ELNS1_11target_archE908ELNS1_3gpuE7ELNS1_3repE0EEENS1_30default_config_static_selectorELNS0_4arch9wavefront6targetE1EEEvT1_,"axG",@progbits,_ZN7rocprim17ROCPRIM_400000_NS6detail17trampoline_kernelINS0_14default_configENS1_20scan_config_selectorIiEEZZNS1_9scan_implILNS1_25lookback_scan_determinismE0ELb0ELb0ES3_N6thrust23THRUST_200600_302600_NS6detail15normal_iteratorINS9_10device_ptrIiEEEESE_i11max_functorIiEiEEDaPvRmT3_T4_T5_mT6_P12ihipStream_tbENKUlT_T0_E_clISt17integral_constantIbLb1EESU_EEDaSP_SQ_EUlSP_E_NS1_11comp_targetILNS1_3genE3ELNS1_11target_archE908ELNS1_3gpuE7ELNS1_3repE0EEENS1_30default_config_static_selectorELNS0_4arch9wavefront6targetE1EEEvT1_,comdat
.Lfunc_end2723:
	.size	_ZN7rocprim17ROCPRIM_400000_NS6detail17trampoline_kernelINS0_14default_configENS1_20scan_config_selectorIiEEZZNS1_9scan_implILNS1_25lookback_scan_determinismE0ELb0ELb0ES3_N6thrust23THRUST_200600_302600_NS6detail15normal_iteratorINS9_10device_ptrIiEEEESE_i11max_functorIiEiEEDaPvRmT3_T4_T5_mT6_P12ihipStream_tbENKUlT_T0_E_clISt17integral_constantIbLb1EESU_EEDaSP_SQ_EUlSP_E_NS1_11comp_targetILNS1_3genE3ELNS1_11target_archE908ELNS1_3gpuE7ELNS1_3repE0EEENS1_30default_config_static_selectorELNS0_4arch9wavefront6targetE1EEEvT1_, .Lfunc_end2723-_ZN7rocprim17ROCPRIM_400000_NS6detail17trampoline_kernelINS0_14default_configENS1_20scan_config_selectorIiEEZZNS1_9scan_implILNS1_25lookback_scan_determinismE0ELb0ELb0ES3_N6thrust23THRUST_200600_302600_NS6detail15normal_iteratorINS9_10device_ptrIiEEEESE_i11max_functorIiEiEEDaPvRmT3_T4_T5_mT6_P12ihipStream_tbENKUlT_T0_E_clISt17integral_constantIbLb1EESU_EEDaSP_SQ_EUlSP_E_NS1_11comp_targetILNS1_3genE3ELNS1_11target_archE908ELNS1_3gpuE7ELNS1_3repE0EEENS1_30default_config_static_selectorELNS0_4arch9wavefront6targetE1EEEvT1_
                                        ; -- End function
	.section	.AMDGPU.csdata,"",@progbits
; Kernel info:
; codeLenInByte = 0
; NumSgprs: 4
; NumVgprs: 0
; NumAgprs: 0
; TotalNumVgprs: 0
; ScratchSize: 0
; MemoryBound: 0
; FloatMode: 240
; IeeeMode: 1
; LDSByteSize: 0 bytes/workgroup (compile time only)
; SGPRBlocks: 0
; VGPRBlocks: 0
; NumSGPRsForWavesPerEU: 4
; NumVGPRsForWavesPerEU: 1
; AccumOffset: 4
; Occupancy: 8
; WaveLimiterHint : 0
; COMPUTE_PGM_RSRC2:SCRATCH_EN: 0
; COMPUTE_PGM_RSRC2:USER_SGPR: 6
; COMPUTE_PGM_RSRC2:TRAP_HANDLER: 0
; COMPUTE_PGM_RSRC2:TGID_X_EN: 1
; COMPUTE_PGM_RSRC2:TGID_Y_EN: 0
; COMPUTE_PGM_RSRC2:TGID_Z_EN: 0
; COMPUTE_PGM_RSRC2:TIDIG_COMP_CNT: 0
; COMPUTE_PGM_RSRC3_GFX90A:ACCUM_OFFSET: 0
; COMPUTE_PGM_RSRC3_GFX90A:TG_SPLIT: 0
	.section	.text._ZN7rocprim17ROCPRIM_400000_NS6detail17trampoline_kernelINS0_14default_configENS1_20scan_config_selectorIiEEZZNS1_9scan_implILNS1_25lookback_scan_determinismE0ELb0ELb0ES3_N6thrust23THRUST_200600_302600_NS6detail15normal_iteratorINS9_10device_ptrIiEEEESE_i11max_functorIiEiEEDaPvRmT3_T4_T5_mT6_P12ihipStream_tbENKUlT_T0_E_clISt17integral_constantIbLb1EESU_EEDaSP_SQ_EUlSP_E_NS1_11comp_targetILNS1_3genE2ELNS1_11target_archE906ELNS1_3gpuE6ELNS1_3repE0EEENS1_30default_config_static_selectorELNS0_4arch9wavefront6targetE1EEEvT1_,"axG",@progbits,_ZN7rocprim17ROCPRIM_400000_NS6detail17trampoline_kernelINS0_14default_configENS1_20scan_config_selectorIiEEZZNS1_9scan_implILNS1_25lookback_scan_determinismE0ELb0ELb0ES3_N6thrust23THRUST_200600_302600_NS6detail15normal_iteratorINS9_10device_ptrIiEEEESE_i11max_functorIiEiEEDaPvRmT3_T4_T5_mT6_P12ihipStream_tbENKUlT_T0_E_clISt17integral_constantIbLb1EESU_EEDaSP_SQ_EUlSP_E_NS1_11comp_targetILNS1_3genE2ELNS1_11target_archE906ELNS1_3gpuE6ELNS1_3repE0EEENS1_30default_config_static_selectorELNS0_4arch9wavefront6targetE1EEEvT1_,comdat
	.protected	_ZN7rocprim17ROCPRIM_400000_NS6detail17trampoline_kernelINS0_14default_configENS1_20scan_config_selectorIiEEZZNS1_9scan_implILNS1_25lookback_scan_determinismE0ELb0ELb0ES3_N6thrust23THRUST_200600_302600_NS6detail15normal_iteratorINS9_10device_ptrIiEEEESE_i11max_functorIiEiEEDaPvRmT3_T4_T5_mT6_P12ihipStream_tbENKUlT_T0_E_clISt17integral_constantIbLb1EESU_EEDaSP_SQ_EUlSP_E_NS1_11comp_targetILNS1_3genE2ELNS1_11target_archE906ELNS1_3gpuE6ELNS1_3repE0EEENS1_30default_config_static_selectorELNS0_4arch9wavefront6targetE1EEEvT1_ ; -- Begin function _ZN7rocprim17ROCPRIM_400000_NS6detail17trampoline_kernelINS0_14default_configENS1_20scan_config_selectorIiEEZZNS1_9scan_implILNS1_25lookback_scan_determinismE0ELb0ELb0ES3_N6thrust23THRUST_200600_302600_NS6detail15normal_iteratorINS9_10device_ptrIiEEEESE_i11max_functorIiEiEEDaPvRmT3_T4_T5_mT6_P12ihipStream_tbENKUlT_T0_E_clISt17integral_constantIbLb1EESU_EEDaSP_SQ_EUlSP_E_NS1_11comp_targetILNS1_3genE2ELNS1_11target_archE906ELNS1_3gpuE6ELNS1_3repE0EEENS1_30default_config_static_selectorELNS0_4arch9wavefront6targetE1EEEvT1_
	.globl	_ZN7rocprim17ROCPRIM_400000_NS6detail17trampoline_kernelINS0_14default_configENS1_20scan_config_selectorIiEEZZNS1_9scan_implILNS1_25lookback_scan_determinismE0ELb0ELb0ES3_N6thrust23THRUST_200600_302600_NS6detail15normal_iteratorINS9_10device_ptrIiEEEESE_i11max_functorIiEiEEDaPvRmT3_T4_T5_mT6_P12ihipStream_tbENKUlT_T0_E_clISt17integral_constantIbLb1EESU_EEDaSP_SQ_EUlSP_E_NS1_11comp_targetILNS1_3genE2ELNS1_11target_archE906ELNS1_3gpuE6ELNS1_3repE0EEENS1_30default_config_static_selectorELNS0_4arch9wavefront6targetE1EEEvT1_
	.p2align	8
	.type	_ZN7rocprim17ROCPRIM_400000_NS6detail17trampoline_kernelINS0_14default_configENS1_20scan_config_selectorIiEEZZNS1_9scan_implILNS1_25lookback_scan_determinismE0ELb0ELb0ES3_N6thrust23THRUST_200600_302600_NS6detail15normal_iteratorINS9_10device_ptrIiEEEESE_i11max_functorIiEiEEDaPvRmT3_T4_T5_mT6_P12ihipStream_tbENKUlT_T0_E_clISt17integral_constantIbLb1EESU_EEDaSP_SQ_EUlSP_E_NS1_11comp_targetILNS1_3genE2ELNS1_11target_archE906ELNS1_3gpuE6ELNS1_3repE0EEENS1_30default_config_static_selectorELNS0_4arch9wavefront6targetE1EEEvT1_,@function
_ZN7rocprim17ROCPRIM_400000_NS6detail17trampoline_kernelINS0_14default_configENS1_20scan_config_selectorIiEEZZNS1_9scan_implILNS1_25lookback_scan_determinismE0ELb0ELb0ES3_N6thrust23THRUST_200600_302600_NS6detail15normal_iteratorINS9_10device_ptrIiEEEESE_i11max_functorIiEiEEDaPvRmT3_T4_T5_mT6_P12ihipStream_tbENKUlT_T0_E_clISt17integral_constantIbLb1EESU_EEDaSP_SQ_EUlSP_E_NS1_11comp_targetILNS1_3genE2ELNS1_11target_archE906ELNS1_3gpuE6ELNS1_3repE0EEENS1_30default_config_static_selectorELNS0_4arch9wavefront6targetE1EEEvT1_: ; @_ZN7rocprim17ROCPRIM_400000_NS6detail17trampoline_kernelINS0_14default_configENS1_20scan_config_selectorIiEEZZNS1_9scan_implILNS1_25lookback_scan_determinismE0ELb0ELb0ES3_N6thrust23THRUST_200600_302600_NS6detail15normal_iteratorINS9_10device_ptrIiEEEESE_i11max_functorIiEiEEDaPvRmT3_T4_T5_mT6_P12ihipStream_tbENKUlT_T0_E_clISt17integral_constantIbLb1EESU_EEDaSP_SQ_EUlSP_E_NS1_11comp_targetILNS1_3genE2ELNS1_11target_archE906ELNS1_3gpuE6ELNS1_3repE0EEENS1_30default_config_static_selectorELNS0_4arch9wavefront6targetE1EEEvT1_
; %bb.0:
	.section	.rodata,"a",@progbits
	.p2align	6, 0x0
	.amdhsa_kernel _ZN7rocprim17ROCPRIM_400000_NS6detail17trampoline_kernelINS0_14default_configENS1_20scan_config_selectorIiEEZZNS1_9scan_implILNS1_25lookback_scan_determinismE0ELb0ELb0ES3_N6thrust23THRUST_200600_302600_NS6detail15normal_iteratorINS9_10device_ptrIiEEEESE_i11max_functorIiEiEEDaPvRmT3_T4_T5_mT6_P12ihipStream_tbENKUlT_T0_E_clISt17integral_constantIbLb1EESU_EEDaSP_SQ_EUlSP_E_NS1_11comp_targetILNS1_3genE2ELNS1_11target_archE906ELNS1_3gpuE6ELNS1_3repE0EEENS1_30default_config_static_selectorELNS0_4arch9wavefront6targetE1EEEvT1_
		.amdhsa_group_segment_fixed_size 0
		.amdhsa_private_segment_fixed_size 0
		.amdhsa_kernarg_size 96
		.amdhsa_user_sgpr_count 6
		.amdhsa_user_sgpr_private_segment_buffer 1
		.amdhsa_user_sgpr_dispatch_ptr 0
		.amdhsa_user_sgpr_queue_ptr 0
		.amdhsa_user_sgpr_kernarg_segment_ptr 1
		.amdhsa_user_sgpr_dispatch_id 0
		.amdhsa_user_sgpr_flat_scratch_init 0
		.amdhsa_user_sgpr_kernarg_preload_length 0
		.amdhsa_user_sgpr_kernarg_preload_offset 0
		.amdhsa_user_sgpr_private_segment_size 0
		.amdhsa_uses_dynamic_stack 0
		.amdhsa_system_sgpr_private_segment_wavefront_offset 0
		.amdhsa_system_sgpr_workgroup_id_x 1
		.amdhsa_system_sgpr_workgroup_id_y 0
		.amdhsa_system_sgpr_workgroup_id_z 0
		.amdhsa_system_sgpr_workgroup_info 0
		.amdhsa_system_vgpr_workitem_id 0
		.amdhsa_next_free_vgpr 1
		.amdhsa_next_free_sgpr 0
		.amdhsa_accum_offset 4
		.amdhsa_reserve_vcc 0
		.amdhsa_reserve_flat_scratch 0
		.amdhsa_float_round_mode_32 0
		.amdhsa_float_round_mode_16_64 0
		.amdhsa_float_denorm_mode_32 3
		.amdhsa_float_denorm_mode_16_64 3
		.amdhsa_dx10_clamp 1
		.amdhsa_ieee_mode 1
		.amdhsa_fp16_overflow 0
		.amdhsa_tg_split 0
		.amdhsa_exception_fp_ieee_invalid_op 0
		.amdhsa_exception_fp_denorm_src 0
		.amdhsa_exception_fp_ieee_div_zero 0
		.amdhsa_exception_fp_ieee_overflow 0
		.amdhsa_exception_fp_ieee_underflow 0
		.amdhsa_exception_fp_ieee_inexact 0
		.amdhsa_exception_int_div_zero 0
	.end_amdhsa_kernel
	.section	.text._ZN7rocprim17ROCPRIM_400000_NS6detail17trampoline_kernelINS0_14default_configENS1_20scan_config_selectorIiEEZZNS1_9scan_implILNS1_25lookback_scan_determinismE0ELb0ELb0ES3_N6thrust23THRUST_200600_302600_NS6detail15normal_iteratorINS9_10device_ptrIiEEEESE_i11max_functorIiEiEEDaPvRmT3_T4_T5_mT6_P12ihipStream_tbENKUlT_T0_E_clISt17integral_constantIbLb1EESU_EEDaSP_SQ_EUlSP_E_NS1_11comp_targetILNS1_3genE2ELNS1_11target_archE906ELNS1_3gpuE6ELNS1_3repE0EEENS1_30default_config_static_selectorELNS0_4arch9wavefront6targetE1EEEvT1_,"axG",@progbits,_ZN7rocprim17ROCPRIM_400000_NS6detail17trampoline_kernelINS0_14default_configENS1_20scan_config_selectorIiEEZZNS1_9scan_implILNS1_25lookback_scan_determinismE0ELb0ELb0ES3_N6thrust23THRUST_200600_302600_NS6detail15normal_iteratorINS9_10device_ptrIiEEEESE_i11max_functorIiEiEEDaPvRmT3_T4_T5_mT6_P12ihipStream_tbENKUlT_T0_E_clISt17integral_constantIbLb1EESU_EEDaSP_SQ_EUlSP_E_NS1_11comp_targetILNS1_3genE2ELNS1_11target_archE906ELNS1_3gpuE6ELNS1_3repE0EEENS1_30default_config_static_selectorELNS0_4arch9wavefront6targetE1EEEvT1_,comdat
.Lfunc_end2724:
	.size	_ZN7rocprim17ROCPRIM_400000_NS6detail17trampoline_kernelINS0_14default_configENS1_20scan_config_selectorIiEEZZNS1_9scan_implILNS1_25lookback_scan_determinismE0ELb0ELb0ES3_N6thrust23THRUST_200600_302600_NS6detail15normal_iteratorINS9_10device_ptrIiEEEESE_i11max_functorIiEiEEDaPvRmT3_T4_T5_mT6_P12ihipStream_tbENKUlT_T0_E_clISt17integral_constantIbLb1EESU_EEDaSP_SQ_EUlSP_E_NS1_11comp_targetILNS1_3genE2ELNS1_11target_archE906ELNS1_3gpuE6ELNS1_3repE0EEENS1_30default_config_static_selectorELNS0_4arch9wavefront6targetE1EEEvT1_, .Lfunc_end2724-_ZN7rocprim17ROCPRIM_400000_NS6detail17trampoline_kernelINS0_14default_configENS1_20scan_config_selectorIiEEZZNS1_9scan_implILNS1_25lookback_scan_determinismE0ELb0ELb0ES3_N6thrust23THRUST_200600_302600_NS6detail15normal_iteratorINS9_10device_ptrIiEEEESE_i11max_functorIiEiEEDaPvRmT3_T4_T5_mT6_P12ihipStream_tbENKUlT_T0_E_clISt17integral_constantIbLb1EESU_EEDaSP_SQ_EUlSP_E_NS1_11comp_targetILNS1_3genE2ELNS1_11target_archE906ELNS1_3gpuE6ELNS1_3repE0EEENS1_30default_config_static_selectorELNS0_4arch9wavefront6targetE1EEEvT1_
                                        ; -- End function
	.section	.AMDGPU.csdata,"",@progbits
; Kernel info:
; codeLenInByte = 0
; NumSgprs: 4
; NumVgprs: 0
; NumAgprs: 0
; TotalNumVgprs: 0
; ScratchSize: 0
; MemoryBound: 0
; FloatMode: 240
; IeeeMode: 1
; LDSByteSize: 0 bytes/workgroup (compile time only)
; SGPRBlocks: 0
; VGPRBlocks: 0
; NumSGPRsForWavesPerEU: 4
; NumVGPRsForWavesPerEU: 1
; AccumOffset: 4
; Occupancy: 8
; WaveLimiterHint : 0
; COMPUTE_PGM_RSRC2:SCRATCH_EN: 0
; COMPUTE_PGM_RSRC2:USER_SGPR: 6
; COMPUTE_PGM_RSRC2:TRAP_HANDLER: 0
; COMPUTE_PGM_RSRC2:TGID_X_EN: 1
; COMPUTE_PGM_RSRC2:TGID_Y_EN: 0
; COMPUTE_PGM_RSRC2:TGID_Z_EN: 0
; COMPUTE_PGM_RSRC2:TIDIG_COMP_CNT: 0
; COMPUTE_PGM_RSRC3_GFX90A:ACCUM_OFFSET: 0
; COMPUTE_PGM_RSRC3_GFX90A:TG_SPLIT: 0
	.section	.text._ZN7rocprim17ROCPRIM_400000_NS6detail17trampoline_kernelINS0_14default_configENS1_20scan_config_selectorIiEEZZNS1_9scan_implILNS1_25lookback_scan_determinismE0ELb0ELb0ES3_N6thrust23THRUST_200600_302600_NS6detail15normal_iteratorINS9_10device_ptrIiEEEESE_i11max_functorIiEiEEDaPvRmT3_T4_T5_mT6_P12ihipStream_tbENKUlT_T0_E_clISt17integral_constantIbLb1EESU_EEDaSP_SQ_EUlSP_E_NS1_11comp_targetILNS1_3genE10ELNS1_11target_archE1201ELNS1_3gpuE5ELNS1_3repE0EEENS1_30default_config_static_selectorELNS0_4arch9wavefront6targetE1EEEvT1_,"axG",@progbits,_ZN7rocprim17ROCPRIM_400000_NS6detail17trampoline_kernelINS0_14default_configENS1_20scan_config_selectorIiEEZZNS1_9scan_implILNS1_25lookback_scan_determinismE0ELb0ELb0ES3_N6thrust23THRUST_200600_302600_NS6detail15normal_iteratorINS9_10device_ptrIiEEEESE_i11max_functorIiEiEEDaPvRmT3_T4_T5_mT6_P12ihipStream_tbENKUlT_T0_E_clISt17integral_constantIbLb1EESU_EEDaSP_SQ_EUlSP_E_NS1_11comp_targetILNS1_3genE10ELNS1_11target_archE1201ELNS1_3gpuE5ELNS1_3repE0EEENS1_30default_config_static_selectorELNS0_4arch9wavefront6targetE1EEEvT1_,comdat
	.protected	_ZN7rocprim17ROCPRIM_400000_NS6detail17trampoline_kernelINS0_14default_configENS1_20scan_config_selectorIiEEZZNS1_9scan_implILNS1_25lookback_scan_determinismE0ELb0ELb0ES3_N6thrust23THRUST_200600_302600_NS6detail15normal_iteratorINS9_10device_ptrIiEEEESE_i11max_functorIiEiEEDaPvRmT3_T4_T5_mT6_P12ihipStream_tbENKUlT_T0_E_clISt17integral_constantIbLb1EESU_EEDaSP_SQ_EUlSP_E_NS1_11comp_targetILNS1_3genE10ELNS1_11target_archE1201ELNS1_3gpuE5ELNS1_3repE0EEENS1_30default_config_static_selectorELNS0_4arch9wavefront6targetE1EEEvT1_ ; -- Begin function _ZN7rocprim17ROCPRIM_400000_NS6detail17trampoline_kernelINS0_14default_configENS1_20scan_config_selectorIiEEZZNS1_9scan_implILNS1_25lookback_scan_determinismE0ELb0ELb0ES3_N6thrust23THRUST_200600_302600_NS6detail15normal_iteratorINS9_10device_ptrIiEEEESE_i11max_functorIiEiEEDaPvRmT3_T4_T5_mT6_P12ihipStream_tbENKUlT_T0_E_clISt17integral_constantIbLb1EESU_EEDaSP_SQ_EUlSP_E_NS1_11comp_targetILNS1_3genE10ELNS1_11target_archE1201ELNS1_3gpuE5ELNS1_3repE0EEENS1_30default_config_static_selectorELNS0_4arch9wavefront6targetE1EEEvT1_
	.globl	_ZN7rocprim17ROCPRIM_400000_NS6detail17trampoline_kernelINS0_14default_configENS1_20scan_config_selectorIiEEZZNS1_9scan_implILNS1_25lookback_scan_determinismE0ELb0ELb0ES3_N6thrust23THRUST_200600_302600_NS6detail15normal_iteratorINS9_10device_ptrIiEEEESE_i11max_functorIiEiEEDaPvRmT3_T4_T5_mT6_P12ihipStream_tbENKUlT_T0_E_clISt17integral_constantIbLb1EESU_EEDaSP_SQ_EUlSP_E_NS1_11comp_targetILNS1_3genE10ELNS1_11target_archE1201ELNS1_3gpuE5ELNS1_3repE0EEENS1_30default_config_static_selectorELNS0_4arch9wavefront6targetE1EEEvT1_
	.p2align	8
	.type	_ZN7rocprim17ROCPRIM_400000_NS6detail17trampoline_kernelINS0_14default_configENS1_20scan_config_selectorIiEEZZNS1_9scan_implILNS1_25lookback_scan_determinismE0ELb0ELb0ES3_N6thrust23THRUST_200600_302600_NS6detail15normal_iteratorINS9_10device_ptrIiEEEESE_i11max_functorIiEiEEDaPvRmT3_T4_T5_mT6_P12ihipStream_tbENKUlT_T0_E_clISt17integral_constantIbLb1EESU_EEDaSP_SQ_EUlSP_E_NS1_11comp_targetILNS1_3genE10ELNS1_11target_archE1201ELNS1_3gpuE5ELNS1_3repE0EEENS1_30default_config_static_selectorELNS0_4arch9wavefront6targetE1EEEvT1_,@function
_ZN7rocprim17ROCPRIM_400000_NS6detail17trampoline_kernelINS0_14default_configENS1_20scan_config_selectorIiEEZZNS1_9scan_implILNS1_25lookback_scan_determinismE0ELb0ELb0ES3_N6thrust23THRUST_200600_302600_NS6detail15normal_iteratorINS9_10device_ptrIiEEEESE_i11max_functorIiEiEEDaPvRmT3_T4_T5_mT6_P12ihipStream_tbENKUlT_T0_E_clISt17integral_constantIbLb1EESU_EEDaSP_SQ_EUlSP_E_NS1_11comp_targetILNS1_3genE10ELNS1_11target_archE1201ELNS1_3gpuE5ELNS1_3repE0EEENS1_30default_config_static_selectorELNS0_4arch9wavefront6targetE1EEEvT1_: ; @_ZN7rocprim17ROCPRIM_400000_NS6detail17trampoline_kernelINS0_14default_configENS1_20scan_config_selectorIiEEZZNS1_9scan_implILNS1_25lookback_scan_determinismE0ELb0ELb0ES3_N6thrust23THRUST_200600_302600_NS6detail15normal_iteratorINS9_10device_ptrIiEEEESE_i11max_functorIiEiEEDaPvRmT3_T4_T5_mT6_P12ihipStream_tbENKUlT_T0_E_clISt17integral_constantIbLb1EESU_EEDaSP_SQ_EUlSP_E_NS1_11comp_targetILNS1_3genE10ELNS1_11target_archE1201ELNS1_3gpuE5ELNS1_3repE0EEENS1_30default_config_static_selectorELNS0_4arch9wavefront6targetE1EEEvT1_
; %bb.0:
	.section	.rodata,"a",@progbits
	.p2align	6, 0x0
	.amdhsa_kernel _ZN7rocprim17ROCPRIM_400000_NS6detail17trampoline_kernelINS0_14default_configENS1_20scan_config_selectorIiEEZZNS1_9scan_implILNS1_25lookback_scan_determinismE0ELb0ELb0ES3_N6thrust23THRUST_200600_302600_NS6detail15normal_iteratorINS9_10device_ptrIiEEEESE_i11max_functorIiEiEEDaPvRmT3_T4_T5_mT6_P12ihipStream_tbENKUlT_T0_E_clISt17integral_constantIbLb1EESU_EEDaSP_SQ_EUlSP_E_NS1_11comp_targetILNS1_3genE10ELNS1_11target_archE1201ELNS1_3gpuE5ELNS1_3repE0EEENS1_30default_config_static_selectorELNS0_4arch9wavefront6targetE1EEEvT1_
		.amdhsa_group_segment_fixed_size 0
		.amdhsa_private_segment_fixed_size 0
		.amdhsa_kernarg_size 96
		.amdhsa_user_sgpr_count 6
		.amdhsa_user_sgpr_private_segment_buffer 1
		.amdhsa_user_sgpr_dispatch_ptr 0
		.amdhsa_user_sgpr_queue_ptr 0
		.amdhsa_user_sgpr_kernarg_segment_ptr 1
		.amdhsa_user_sgpr_dispatch_id 0
		.amdhsa_user_sgpr_flat_scratch_init 0
		.amdhsa_user_sgpr_kernarg_preload_length 0
		.amdhsa_user_sgpr_kernarg_preload_offset 0
		.amdhsa_user_sgpr_private_segment_size 0
		.amdhsa_uses_dynamic_stack 0
		.amdhsa_system_sgpr_private_segment_wavefront_offset 0
		.amdhsa_system_sgpr_workgroup_id_x 1
		.amdhsa_system_sgpr_workgroup_id_y 0
		.amdhsa_system_sgpr_workgroup_id_z 0
		.amdhsa_system_sgpr_workgroup_info 0
		.amdhsa_system_vgpr_workitem_id 0
		.amdhsa_next_free_vgpr 1
		.amdhsa_next_free_sgpr 0
		.amdhsa_accum_offset 4
		.amdhsa_reserve_vcc 0
		.amdhsa_reserve_flat_scratch 0
		.amdhsa_float_round_mode_32 0
		.amdhsa_float_round_mode_16_64 0
		.amdhsa_float_denorm_mode_32 3
		.amdhsa_float_denorm_mode_16_64 3
		.amdhsa_dx10_clamp 1
		.amdhsa_ieee_mode 1
		.amdhsa_fp16_overflow 0
		.amdhsa_tg_split 0
		.amdhsa_exception_fp_ieee_invalid_op 0
		.amdhsa_exception_fp_denorm_src 0
		.amdhsa_exception_fp_ieee_div_zero 0
		.amdhsa_exception_fp_ieee_overflow 0
		.amdhsa_exception_fp_ieee_underflow 0
		.amdhsa_exception_fp_ieee_inexact 0
		.amdhsa_exception_int_div_zero 0
	.end_amdhsa_kernel
	.section	.text._ZN7rocprim17ROCPRIM_400000_NS6detail17trampoline_kernelINS0_14default_configENS1_20scan_config_selectorIiEEZZNS1_9scan_implILNS1_25lookback_scan_determinismE0ELb0ELb0ES3_N6thrust23THRUST_200600_302600_NS6detail15normal_iteratorINS9_10device_ptrIiEEEESE_i11max_functorIiEiEEDaPvRmT3_T4_T5_mT6_P12ihipStream_tbENKUlT_T0_E_clISt17integral_constantIbLb1EESU_EEDaSP_SQ_EUlSP_E_NS1_11comp_targetILNS1_3genE10ELNS1_11target_archE1201ELNS1_3gpuE5ELNS1_3repE0EEENS1_30default_config_static_selectorELNS0_4arch9wavefront6targetE1EEEvT1_,"axG",@progbits,_ZN7rocprim17ROCPRIM_400000_NS6detail17trampoline_kernelINS0_14default_configENS1_20scan_config_selectorIiEEZZNS1_9scan_implILNS1_25lookback_scan_determinismE0ELb0ELb0ES3_N6thrust23THRUST_200600_302600_NS6detail15normal_iteratorINS9_10device_ptrIiEEEESE_i11max_functorIiEiEEDaPvRmT3_T4_T5_mT6_P12ihipStream_tbENKUlT_T0_E_clISt17integral_constantIbLb1EESU_EEDaSP_SQ_EUlSP_E_NS1_11comp_targetILNS1_3genE10ELNS1_11target_archE1201ELNS1_3gpuE5ELNS1_3repE0EEENS1_30default_config_static_selectorELNS0_4arch9wavefront6targetE1EEEvT1_,comdat
.Lfunc_end2725:
	.size	_ZN7rocprim17ROCPRIM_400000_NS6detail17trampoline_kernelINS0_14default_configENS1_20scan_config_selectorIiEEZZNS1_9scan_implILNS1_25lookback_scan_determinismE0ELb0ELb0ES3_N6thrust23THRUST_200600_302600_NS6detail15normal_iteratorINS9_10device_ptrIiEEEESE_i11max_functorIiEiEEDaPvRmT3_T4_T5_mT6_P12ihipStream_tbENKUlT_T0_E_clISt17integral_constantIbLb1EESU_EEDaSP_SQ_EUlSP_E_NS1_11comp_targetILNS1_3genE10ELNS1_11target_archE1201ELNS1_3gpuE5ELNS1_3repE0EEENS1_30default_config_static_selectorELNS0_4arch9wavefront6targetE1EEEvT1_, .Lfunc_end2725-_ZN7rocprim17ROCPRIM_400000_NS6detail17trampoline_kernelINS0_14default_configENS1_20scan_config_selectorIiEEZZNS1_9scan_implILNS1_25lookback_scan_determinismE0ELb0ELb0ES3_N6thrust23THRUST_200600_302600_NS6detail15normal_iteratorINS9_10device_ptrIiEEEESE_i11max_functorIiEiEEDaPvRmT3_T4_T5_mT6_P12ihipStream_tbENKUlT_T0_E_clISt17integral_constantIbLb1EESU_EEDaSP_SQ_EUlSP_E_NS1_11comp_targetILNS1_3genE10ELNS1_11target_archE1201ELNS1_3gpuE5ELNS1_3repE0EEENS1_30default_config_static_selectorELNS0_4arch9wavefront6targetE1EEEvT1_
                                        ; -- End function
	.section	.AMDGPU.csdata,"",@progbits
; Kernel info:
; codeLenInByte = 0
; NumSgprs: 4
; NumVgprs: 0
; NumAgprs: 0
; TotalNumVgprs: 0
; ScratchSize: 0
; MemoryBound: 0
; FloatMode: 240
; IeeeMode: 1
; LDSByteSize: 0 bytes/workgroup (compile time only)
; SGPRBlocks: 0
; VGPRBlocks: 0
; NumSGPRsForWavesPerEU: 4
; NumVGPRsForWavesPerEU: 1
; AccumOffset: 4
; Occupancy: 8
; WaveLimiterHint : 0
; COMPUTE_PGM_RSRC2:SCRATCH_EN: 0
; COMPUTE_PGM_RSRC2:USER_SGPR: 6
; COMPUTE_PGM_RSRC2:TRAP_HANDLER: 0
; COMPUTE_PGM_RSRC2:TGID_X_EN: 1
; COMPUTE_PGM_RSRC2:TGID_Y_EN: 0
; COMPUTE_PGM_RSRC2:TGID_Z_EN: 0
; COMPUTE_PGM_RSRC2:TIDIG_COMP_CNT: 0
; COMPUTE_PGM_RSRC3_GFX90A:ACCUM_OFFSET: 0
; COMPUTE_PGM_RSRC3_GFX90A:TG_SPLIT: 0
	.section	.text._ZN7rocprim17ROCPRIM_400000_NS6detail17trampoline_kernelINS0_14default_configENS1_20scan_config_selectorIiEEZZNS1_9scan_implILNS1_25lookback_scan_determinismE0ELb0ELb0ES3_N6thrust23THRUST_200600_302600_NS6detail15normal_iteratorINS9_10device_ptrIiEEEESE_i11max_functorIiEiEEDaPvRmT3_T4_T5_mT6_P12ihipStream_tbENKUlT_T0_E_clISt17integral_constantIbLb1EESU_EEDaSP_SQ_EUlSP_E_NS1_11comp_targetILNS1_3genE10ELNS1_11target_archE1200ELNS1_3gpuE4ELNS1_3repE0EEENS1_30default_config_static_selectorELNS0_4arch9wavefront6targetE1EEEvT1_,"axG",@progbits,_ZN7rocprim17ROCPRIM_400000_NS6detail17trampoline_kernelINS0_14default_configENS1_20scan_config_selectorIiEEZZNS1_9scan_implILNS1_25lookback_scan_determinismE0ELb0ELb0ES3_N6thrust23THRUST_200600_302600_NS6detail15normal_iteratorINS9_10device_ptrIiEEEESE_i11max_functorIiEiEEDaPvRmT3_T4_T5_mT6_P12ihipStream_tbENKUlT_T0_E_clISt17integral_constantIbLb1EESU_EEDaSP_SQ_EUlSP_E_NS1_11comp_targetILNS1_3genE10ELNS1_11target_archE1200ELNS1_3gpuE4ELNS1_3repE0EEENS1_30default_config_static_selectorELNS0_4arch9wavefront6targetE1EEEvT1_,comdat
	.protected	_ZN7rocprim17ROCPRIM_400000_NS6detail17trampoline_kernelINS0_14default_configENS1_20scan_config_selectorIiEEZZNS1_9scan_implILNS1_25lookback_scan_determinismE0ELb0ELb0ES3_N6thrust23THRUST_200600_302600_NS6detail15normal_iteratorINS9_10device_ptrIiEEEESE_i11max_functorIiEiEEDaPvRmT3_T4_T5_mT6_P12ihipStream_tbENKUlT_T0_E_clISt17integral_constantIbLb1EESU_EEDaSP_SQ_EUlSP_E_NS1_11comp_targetILNS1_3genE10ELNS1_11target_archE1200ELNS1_3gpuE4ELNS1_3repE0EEENS1_30default_config_static_selectorELNS0_4arch9wavefront6targetE1EEEvT1_ ; -- Begin function _ZN7rocprim17ROCPRIM_400000_NS6detail17trampoline_kernelINS0_14default_configENS1_20scan_config_selectorIiEEZZNS1_9scan_implILNS1_25lookback_scan_determinismE0ELb0ELb0ES3_N6thrust23THRUST_200600_302600_NS6detail15normal_iteratorINS9_10device_ptrIiEEEESE_i11max_functorIiEiEEDaPvRmT3_T4_T5_mT6_P12ihipStream_tbENKUlT_T0_E_clISt17integral_constantIbLb1EESU_EEDaSP_SQ_EUlSP_E_NS1_11comp_targetILNS1_3genE10ELNS1_11target_archE1200ELNS1_3gpuE4ELNS1_3repE0EEENS1_30default_config_static_selectorELNS0_4arch9wavefront6targetE1EEEvT1_
	.globl	_ZN7rocprim17ROCPRIM_400000_NS6detail17trampoline_kernelINS0_14default_configENS1_20scan_config_selectorIiEEZZNS1_9scan_implILNS1_25lookback_scan_determinismE0ELb0ELb0ES3_N6thrust23THRUST_200600_302600_NS6detail15normal_iteratorINS9_10device_ptrIiEEEESE_i11max_functorIiEiEEDaPvRmT3_T4_T5_mT6_P12ihipStream_tbENKUlT_T0_E_clISt17integral_constantIbLb1EESU_EEDaSP_SQ_EUlSP_E_NS1_11comp_targetILNS1_3genE10ELNS1_11target_archE1200ELNS1_3gpuE4ELNS1_3repE0EEENS1_30default_config_static_selectorELNS0_4arch9wavefront6targetE1EEEvT1_
	.p2align	8
	.type	_ZN7rocprim17ROCPRIM_400000_NS6detail17trampoline_kernelINS0_14default_configENS1_20scan_config_selectorIiEEZZNS1_9scan_implILNS1_25lookback_scan_determinismE0ELb0ELb0ES3_N6thrust23THRUST_200600_302600_NS6detail15normal_iteratorINS9_10device_ptrIiEEEESE_i11max_functorIiEiEEDaPvRmT3_T4_T5_mT6_P12ihipStream_tbENKUlT_T0_E_clISt17integral_constantIbLb1EESU_EEDaSP_SQ_EUlSP_E_NS1_11comp_targetILNS1_3genE10ELNS1_11target_archE1200ELNS1_3gpuE4ELNS1_3repE0EEENS1_30default_config_static_selectorELNS0_4arch9wavefront6targetE1EEEvT1_,@function
_ZN7rocprim17ROCPRIM_400000_NS6detail17trampoline_kernelINS0_14default_configENS1_20scan_config_selectorIiEEZZNS1_9scan_implILNS1_25lookback_scan_determinismE0ELb0ELb0ES3_N6thrust23THRUST_200600_302600_NS6detail15normal_iteratorINS9_10device_ptrIiEEEESE_i11max_functorIiEiEEDaPvRmT3_T4_T5_mT6_P12ihipStream_tbENKUlT_T0_E_clISt17integral_constantIbLb1EESU_EEDaSP_SQ_EUlSP_E_NS1_11comp_targetILNS1_3genE10ELNS1_11target_archE1200ELNS1_3gpuE4ELNS1_3repE0EEENS1_30default_config_static_selectorELNS0_4arch9wavefront6targetE1EEEvT1_: ; @_ZN7rocprim17ROCPRIM_400000_NS6detail17trampoline_kernelINS0_14default_configENS1_20scan_config_selectorIiEEZZNS1_9scan_implILNS1_25lookback_scan_determinismE0ELb0ELb0ES3_N6thrust23THRUST_200600_302600_NS6detail15normal_iteratorINS9_10device_ptrIiEEEESE_i11max_functorIiEiEEDaPvRmT3_T4_T5_mT6_P12ihipStream_tbENKUlT_T0_E_clISt17integral_constantIbLb1EESU_EEDaSP_SQ_EUlSP_E_NS1_11comp_targetILNS1_3genE10ELNS1_11target_archE1200ELNS1_3gpuE4ELNS1_3repE0EEENS1_30default_config_static_selectorELNS0_4arch9wavefront6targetE1EEEvT1_
; %bb.0:
	.section	.rodata,"a",@progbits
	.p2align	6, 0x0
	.amdhsa_kernel _ZN7rocprim17ROCPRIM_400000_NS6detail17trampoline_kernelINS0_14default_configENS1_20scan_config_selectorIiEEZZNS1_9scan_implILNS1_25lookback_scan_determinismE0ELb0ELb0ES3_N6thrust23THRUST_200600_302600_NS6detail15normal_iteratorINS9_10device_ptrIiEEEESE_i11max_functorIiEiEEDaPvRmT3_T4_T5_mT6_P12ihipStream_tbENKUlT_T0_E_clISt17integral_constantIbLb1EESU_EEDaSP_SQ_EUlSP_E_NS1_11comp_targetILNS1_3genE10ELNS1_11target_archE1200ELNS1_3gpuE4ELNS1_3repE0EEENS1_30default_config_static_selectorELNS0_4arch9wavefront6targetE1EEEvT1_
		.amdhsa_group_segment_fixed_size 0
		.amdhsa_private_segment_fixed_size 0
		.amdhsa_kernarg_size 96
		.amdhsa_user_sgpr_count 6
		.amdhsa_user_sgpr_private_segment_buffer 1
		.amdhsa_user_sgpr_dispatch_ptr 0
		.amdhsa_user_sgpr_queue_ptr 0
		.amdhsa_user_sgpr_kernarg_segment_ptr 1
		.amdhsa_user_sgpr_dispatch_id 0
		.amdhsa_user_sgpr_flat_scratch_init 0
		.amdhsa_user_sgpr_kernarg_preload_length 0
		.amdhsa_user_sgpr_kernarg_preload_offset 0
		.amdhsa_user_sgpr_private_segment_size 0
		.amdhsa_uses_dynamic_stack 0
		.amdhsa_system_sgpr_private_segment_wavefront_offset 0
		.amdhsa_system_sgpr_workgroup_id_x 1
		.amdhsa_system_sgpr_workgroup_id_y 0
		.amdhsa_system_sgpr_workgroup_id_z 0
		.amdhsa_system_sgpr_workgroup_info 0
		.amdhsa_system_vgpr_workitem_id 0
		.amdhsa_next_free_vgpr 1
		.amdhsa_next_free_sgpr 0
		.amdhsa_accum_offset 4
		.amdhsa_reserve_vcc 0
		.amdhsa_reserve_flat_scratch 0
		.amdhsa_float_round_mode_32 0
		.amdhsa_float_round_mode_16_64 0
		.amdhsa_float_denorm_mode_32 3
		.amdhsa_float_denorm_mode_16_64 3
		.amdhsa_dx10_clamp 1
		.amdhsa_ieee_mode 1
		.amdhsa_fp16_overflow 0
		.amdhsa_tg_split 0
		.amdhsa_exception_fp_ieee_invalid_op 0
		.amdhsa_exception_fp_denorm_src 0
		.amdhsa_exception_fp_ieee_div_zero 0
		.amdhsa_exception_fp_ieee_overflow 0
		.amdhsa_exception_fp_ieee_underflow 0
		.amdhsa_exception_fp_ieee_inexact 0
		.amdhsa_exception_int_div_zero 0
	.end_amdhsa_kernel
	.section	.text._ZN7rocprim17ROCPRIM_400000_NS6detail17trampoline_kernelINS0_14default_configENS1_20scan_config_selectorIiEEZZNS1_9scan_implILNS1_25lookback_scan_determinismE0ELb0ELb0ES3_N6thrust23THRUST_200600_302600_NS6detail15normal_iteratorINS9_10device_ptrIiEEEESE_i11max_functorIiEiEEDaPvRmT3_T4_T5_mT6_P12ihipStream_tbENKUlT_T0_E_clISt17integral_constantIbLb1EESU_EEDaSP_SQ_EUlSP_E_NS1_11comp_targetILNS1_3genE10ELNS1_11target_archE1200ELNS1_3gpuE4ELNS1_3repE0EEENS1_30default_config_static_selectorELNS0_4arch9wavefront6targetE1EEEvT1_,"axG",@progbits,_ZN7rocprim17ROCPRIM_400000_NS6detail17trampoline_kernelINS0_14default_configENS1_20scan_config_selectorIiEEZZNS1_9scan_implILNS1_25lookback_scan_determinismE0ELb0ELb0ES3_N6thrust23THRUST_200600_302600_NS6detail15normal_iteratorINS9_10device_ptrIiEEEESE_i11max_functorIiEiEEDaPvRmT3_T4_T5_mT6_P12ihipStream_tbENKUlT_T0_E_clISt17integral_constantIbLb1EESU_EEDaSP_SQ_EUlSP_E_NS1_11comp_targetILNS1_3genE10ELNS1_11target_archE1200ELNS1_3gpuE4ELNS1_3repE0EEENS1_30default_config_static_selectorELNS0_4arch9wavefront6targetE1EEEvT1_,comdat
.Lfunc_end2726:
	.size	_ZN7rocprim17ROCPRIM_400000_NS6detail17trampoline_kernelINS0_14default_configENS1_20scan_config_selectorIiEEZZNS1_9scan_implILNS1_25lookback_scan_determinismE0ELb0ELb0ES3_N6thrust23THRUST_200600_302600_NS6detail15normal_iteratorINS9_10device_ptrIiEEEESE_i11max_functorIiEiEEDaPvRmT3_T4_T5_mT6_P12ihipStream_tbENKUlT_T0_E_clISt17integral_constantIbLb1EESU_EEDaSP_SQ_EUlSP_E_NS1_11comp_targetILNS1_3genE10ELNS1_11target_archE1200ELNS1_3gpuE4ELNS1_3repE0EEENS1_30default_config_static_selectorELNS0_4arch9wavefront6targetE1EEEvT1_, .Lfunc_end2726-_ZN7rocprim17ROCPRIM_400000_NS6detail17trampoline_kernelINS0_14default_configENS1_20scan_config_selectorIiEEZZNS1_9scan_implILNS1_25lookback_scan_determinismE0ELb0ELb0ES3_N6thrust23THRUST_200600_302600_NS6detail15normal_iteratorINS9_10device_ptrIiEEEESE_i11max_functorIiEiEEDaPvRmT3_T4_T5_mT6_P12ihipStream_tbENKUlT_T0_E_clISt17integral_constantIbLb1EESU_EEDaSP_SQ_EUlSP_E_NS1_11comp_targetILNS1_3genE10ELNS1_11target_archE1200ELNS1_3gpuE4ELNS1_3repE0EEENS1_30default_config_static_selectorELNS0_4arch9wavefront6targetE1EEEvT1_
                                        ; -- End function
	.section	.AMDGPU.csdata,"",@progbits
; Kernel info:
; codeLenInByte = 0
; NumSgprs: 4
; NumVgprs: 0
; NumAgprs: 0
; TotalNumVgprs: 0
; ScratchSize: 0
; MemoryBound: 0
; FloatMode: 240
; IeeeMode: 1
; LDSByteSize: 0 bytes/workgroup (compile time only)
; SGPRBlocks: 0
; VGPRBlocks: 0
; NumSGPRsForWavesPerEU: 4
; NumVGPRsForWavesPerEU: 1
; AccumOffset: 4
; Occupancy: 8
; WaveLimiterHint : 0
; COMPUTE_PGM_RSRC2:SCRATCH_EN: 0
; COMPUTE_PGM_RSRC2:USER_SGPR: 6
; COMPUTE_PGM_RSRC2:TRAP_HANDLER: 0
; COMPUTE_PGM_RSRC2:TGID_X_EN: 1
; COMPUTE_PGM_RSRC2:TGID_Y_EN: 0
; COMPUTE_PGM_RSRC2:TGID_Z_EN: 0
; COMPUTE_PGM_RSRC2:TIDIG_COMP_CNT: 0
; COMPUTE_PGM_RSRC3_GFX90A:ACCUM_OFFSET: 0
; COMPUTE_PGM_RSRC3_GFX90A:TG_SPLIT: 0
	.section	.text._ZN7rocprim17ROCPRIM_400000_NS6detail17trampoline_kernelINS0_14default_configENS1_20scan_config_selectorIiEEZZNS1_9scan_implILNS1_25lookback_scan_determinismE0ELb0ELb0ES3_N6thrust23THRUST_200600_302600_NS6detail15normal_iteratorINS9_10device_ptrIiEEEESE_i11max_functorIiEiEEDaPvRmT3_T4_T5_mT6_P12ihipStream_tbENKUlT_T0_E_clISt17integral_constantIbLb1EESU_EEDaSP_SQ_EUlSP_E_NS1_11comp_targetILNS1_3genE9ELNS1_11target_archE1100ELNS1_3gpuE3ELNS1_3repE0EEENS1_30default_config_static_selectorELNS0_4arch9wavefront6targetE1EEEvT1_,"axG",@progbits,_ZN7rocprim17ROCPRIM_400000_NS6detail17trampoline_kernelINS0_14default_configENS1_20scan_config_selectorIiEEZZNS1_9scan_implILNS1_25lookback_scan_determinismE0ELb0ELb0ES3_N6thrust23THRUST_200600_302600_NS6detail15normal_iteratorINS9_10device_ptrIiEEEESE_i11max_functorIiEiEEDaPvRmT3_T4_T5_mT6_P12ihipStream_tbENKUlT_T0_E_clISt17integral_constantIbLb1EESU_EEDaSP_SQ_EUlSP_E_NS1_11comp_targetILNS1_3genE9ELNS1_11target_archE1100ELNS1_3gpuE3ELNS1_3repE0EEENS1_30default_config_static_selectorELNS0_4arch9wavefront6targetE1EEEvT1_,comdat
	.protected	_ZN7rocprim17ROCPRIM_400000_NS6detail17trampoline_kernelINS0_14default_configENS1_20scan_config_selectorIiEEZZNS1_9scan_implILNS1_25lookback_scan_determinismE0ELb0ELb0ES3_N6thrust23THRUST_200600_302600_NS6detail15normal_iteratorINS9_10device_ptrIiEEEESE_i11max_functorIiEiEEDaPvRmT3_T4_T5_mT6_P12ihipStream_tbENKUlT_T0_E_clISt17integral_constantIbLb1EESU_EEDaSP_SQ_EUlSP_E_NS1_11comp_targetILNS1_3genE9ELNS1_11target_archE1100ELNS1_3gpuE3ELNS1_3repE0EEENS1_30default_config_static_selectorELNS0_4arch9wavefront6targetE1EEEvT1_ ; -- Begin function _ZN7rocprim17ROCPRIM_400000_NS6detail17trampoline_kernelINS0_14default_configENS1_20scan_config_selectorIiEEZZNS1_9scan_implILNS1_25lookback_scan_determinismE0ELb0ELb0ES3_N6thrust23THRUST_200600_302600_NS6detail15normal_iteratorINS9_10device_ptrIiEEEESE_i11max_functorIiEiEEDaPvRmT3_T4_T5_mT6_P12ihipStream_tbENKUlT_T0_E_clISt17integral_constantIbLb1EESU_EEDaSP_SQ_EUlSP_E_NS1_11comp_targetILNS1_3genE9ELNS1_11target_archE1100ELNS1_3gpuE3ELNS1_3repE0EEENS1_30default_config_static_selectorELNS0_4arch9wavefront6targetE1EEEvT1_
	.globl	_ZN7rocprim17ROCPRIM_400000_NS6detail17trampoline_kernelINS0_14default_configENS1_20scan_config_selectorIiEEZZNS1_9scan_implILNS1_25lookback_scan_determinismE0ELb0ELb0ES3_N6thrust23THRUST_200600_302600_NS6detail15normal_iteratorINS9_10device_ptrIiEEEESE_i11max_functorIiEiEEDaPvRmT3_T4_T5_mT6_P12ihipStream_tbENKUlT_T0_E_clISt17integral_constantIbLb1EESU_EEDaSP_SQ_EUlSP_E_NS1_11comp_targetILNS1_3genE9ELNS1_11target_archE1100ELNS1_3gpuE3ELNS1_3repE0EEENS1_30default_config_static_selectorELNS0_4arch9wavefront6targetE1EEEvT1_
	.p2align	8
	.type	_ZN7rocprim17ROCPRIM_400000_NS6detail17trampoline_kernelINS0_14default_configENS1_20scan_config_selectorIiEEZZNS1_9scan_implILNS1_25lookback_scan_determinismE0ELb0ELb0ES3_N6thrust23THRUST_200600_302600_NS6detail15normal_iteratorINS9_10device_ptrIiEEEESE_i11max_functorIiEiEEDaPvRmT3_T4_T5_mT6_P12ihipStream_tbENKUlT_T0_E_clISt17integral_constantIbLb1EESU_EEDaSP_SQ_EUlSP_E_NS1_11comp_targetILNS1_3genE9ELNS1_11target_archE1100ELNS1_3gpuE3ELNS1_3repE0EEENS1_30default_config_static_selectorELNS0_4arch9wavefront6targetE1EEEvT1_,@function
_ZN7rocprim17ROCPRIM_400000_NS6detail17trampoline_kernelINS0_14default_configENS1_20scan_config_selectorIiEEZZNS1_9scan_implILNS1_25lookback_scan_determinismE0ELb0ELb0ES3_N6thrust23THRUST_200600_302600_NS6detail15normal_iteratorINS9_10device_ptrIiEEEESE_i11max_functorIiEiEEDaPvRmT3_T4_T5_mT6_P12ihipStream_tbENKUlT_T0_E_clISt17integral_constantIbLb1EESU_EEDaSP_SQ_EUlSP_E_NS1_11comp_targetILNS1_3genE9ELNS1_11target_archE1100ELNS1_3gpuE3ELNS1_3repE0EEENS1_30default_config_static_selectorELNS0_4arch9wavefront6targetE1EEEvT1_: ; @_ZN7rocprim17ROCPRIM_400000_NS6detail17trampoline_kernelINS0_14default_configENS1_20scan_config_selectorIiEEZZNS1_9scan_implILNS1_25lookback_scan_determinismE0ELb0ELb0ES3_N6thrust23THRUST_200600_302600_NS6detail15normal_iteratorINS9_10device_ptrIiEEEESE_i11max_functorIiEiEEDaPvRmT3_T4_T5_mT6_P12ihipStream_tbENKUlT_T0_E_clISt17integral_constantIbLb1EESU_EEDaSP_SQ_EUlSP_E_NS1_11comp_targetILNS1_3genE9ELNS1_11target_archE1100ELNS1_3gpuE3ELNS1_3repE0EEENS1_30default_config_static_selectorELNS0_4arch9wavefront6targetE1EEEvT1_
; %bb.0:
	.section	.rodata,"a",@progbits
	.p2align	6, 0x0
	.amdhsa_kernel _ZN7rocprim17ROCPRIM_400000_NS6detail17trampoline_kernelINS0_14default_configENS1_20scan_config_selectorIiEEZZNS1_9scan_implILNS1_25lookback_scan_determinismE0ELb0ELb0ES3_N6thrust23THRUST_200600_302600_NS6detail15normal_iteratorINS9_10device_ptrIiEEEESE_i11max_functorIiEiEEDaPvRmT3_T4_T5_mT6_P12ihipStream_tbENKUlT_T0_E_clISt17integral_constantIbLb1EESU_EEDaSP_SQ_EUlSP_E_NS1_11comp_targetILNS1_3genE9ELNS1_11target_archE1100ELNS1_3gpuE3ELNS1_3repE0EEENS1_30default_config_static_selectorELNS0_4arch9wavefront6targetE1EEEvT1_
		.amdhsa_group_segment_fixed_size 0
		.amdhsa_private_segment_fixed_size 0
		.amdhsa_kernarg_size 96
		.amdhsa_user_sgpr_count 6
		.amdhsa_user_sgpr_private_segment_buffer 1
		.amdhsa_user_sgpr_dispatch_ptr 0
		.amdhsa_user_sgpr_queue_ptr 0
		.amdhsa_user_sgpr_kernarg_segment_ptr 1
		.amdhsa_user_sgpr_dispatch_id 0
		.amdhsa_user_sgpr_flat_scratch_init 0
		.amdhsa_user_sgpr_kernarg_preload_length 0
		.amdhsa_user_sgpr_kernarg_preload_offset 0
		.amdhsa_user_sgpr_private_segment_size 0
		.amdhsa_uses_dynamic_stack 0
		.amdhsa_system_sgpr_private_segment_wavefront_offset 0
		.amdhsa_system_sgpr_workgroup_id_x 1
		.amdhsa_system_sgpr_workgroup_id_y 0
		.amdhsa_system_sgpr_workgroup_id_z 0
		.amdhsa_system_sgpr_workgroup_info 0
		.amdhsa_system_vgpr_workitem_id 0
		.amdhsa_next_free_vgpr 1
		.amdhsa_next_free_sgpr 0
		.amdhsa_accum_offset 4
		.amdhsa_reserve_vcc 0
		.amdhsa_reserve_flat_scratch 0
		.amdhsa_float_round_mode_32 0
		.amdhsa_float_round_mode_16_64 0
		.amdhsa_float_denorm_mode_32 3
		.amdhsa_float_denorm_mode_16_64 3
		.amdhsa_dx10_clamp 1
		.amdhsa_ieee_mode 1
		.amdhsa_fp16_overflow 0
		.amdhsa_tg_split 0
		.amdhsa_exception_fp_ieee_invalid_op 0
		.amdhsa_exception_fp_denorm_src 0
		.amdhsa_exception_fp_ieee_div_zero 0
		.amdhsa_exception_fp_ieee_overflow 0
		.amdhsa_exception_fp_ieee_underflow 0
		.amdhsa_exception_fp_ieee_inexact 0
		.amdhsa_exception_int_div_zero 0
	.end_amdhsa_kernel
	.section	.text._ZN7rocprim17ROCPRIM_400000_NS6detail17trampoline_kernelINS0_14default_configENS1_20scan_config_selectorIiEEZZNS1_9scan_implILNS1_25lookback_scan_determinismE0ELb0ELb0ES3_N6thrust23THRUST_200600_302600_NS6detail15normal_iteratorINS9_10device_ptrIiEEEESE_i11max_functorIiEiEEDaPvRmT3_T4_T5_mT6_P12ihipStream_tbENKUlT_T0_E_clISt17integral_constantIbLb1EESU_EEDaSP_SQ_EUlSP_E_NS1_11comp_targetILNS1_3genE9ELNS1_11target_archE1100ELNS1_3gpuE3ELNS1_3repE0EEENS1_30default_config_static_selectorELNS0_4arch9wavefront6targetE1EEEvT1_,"axG",@progbits,_ZN7rocprim17ROCPRIM_400000_NS6detail17trampoline_kernelINS0_14default_configENS1_20scan_config_selectorIiEEZZNS1_9scan_implILNS1_25lookback_scan_determinismE0ELb0ELb0ES3_N6thrust23THRUST_200600_302600_NS6detail15normal_iteratorINS9_10device_ptrIiEEEESE_i11max_functorIiEiEEDaPvRmT3_T4_T5_mT6_P12ihipStream_tbENKUlT_T0_E_clISt17integral_constantIbLb1EESU_EEDaSP_SQ_EUlSP_E_NS1_11comp_targetILNS1_3genE9ELNS1_11target_archE1100ELNS1_3gpuE3ELNS1_3repE0EEENS1_30default_config_static_selectorELNS0_4arch9wavefront6targetE1EEEvT1_,comdat
.Lfunc_end2727:
	.size	_ZN7rocprim17ROCPRIM_400000_NS6detail17trampoline_kernelINS0_14default_configENS1_20scan_config_selectorIiEEZZNS1_9scan_implILNS1_25lookback_scan_determinismE0ELb0ELb0ES3_N6thrust23THRUST_200600_302600_NS6detail15normal_iteratorINS9_10device_ptrIiEEEESE_i11max_functorIiEiEEDaPvRmT3_T4_T5_mT6_P12ihipStream_tbENKUlT_T0_E_clISt17integral_constantIbLb1EESU_EEDaSP_SQ_EUlSP_E_NS1_11comp_targetILNS1_3genE9ELNS1_11target_archE1100ELNS1_3gpuE3ELNS1_3repE0EEENS1_30default_config_static_selectorELNS0_4arch9wavefront6targetE1EEEvT1_, .Lfunc_end2727-_ZN7rocprim17ROCPRIM_400000_NS6detail17trampoline_kernelINS0_14default_configENS1_20scan_config_selectorIiEEZZNS1_9scan_implILNS1_25lookback_scan_determinismE0ELb0ELb0ES3_N6thrust23THRUST_200600_302600_NS6detail15normal_iteratorINS9_10device_ptrIiEEEESE_i11max_functorIiEiEEDaPvRmT3_T4_T5_mT6_P12ihipStream_tbENKUlT_T0_E_clISt17integral_constantIbLb1EESU_EEDaSP_SQ_EUlSP_E_NS1_11comp_targetILNS1_3genE9ELNS1_11target_archE1100ELNS1_3gpuE3ELNS1_3repE0EEENS1_30default_config_static_selectorELNS0_4arch9wavefront6targetE1EEEvT1_
                                        ; -- End function
	.section	.AMDGPU.csdata,"",@progbits
; Kernel info:
; codeLenInByte = 0
; NumSgprs: 4
; NumVgprs: 0
; NumAgprs: 0
; TotalNumVgprs: 0
; ScratchSize: 0
; MemoryBound: 0
; FloatMode: 240
; IeeeMode: 1
; LDSByteSize: 0 bytes/workgroup (compile time only)
; SGPRBlocks: 0
; VGPRBlocks: 0
; NumSGPRsForWavesPerEU: 4
; NumVGPRsForWavesPerEU: 1
; AccumOffset: 4
; Occupancy: 8
; WaveLimiterHint : 0
; COMPUTE_PGM_RSRC2:SCRATCH_EN: 0
; COMPUTE_PGM_RSRC2:USER_SGPR: 6
; COMPUTE_PGM_RSRC2:TRAP_HANDLER: 0
; COMPUTE_PGM_RSRC2:TGID_X_EN: 1
; COMPUTE_PGM_RSRC2:TGID_Y_EN: 0
; COMPUTE_PGM_RSRC2:TGID_Z_EN: 0
; COMPUTE_PGM_RSRC2:TIDIG_COMP_CNT: 0
; COMPUTE_PGM_RSRC3_GFX90A:ACCUM_OFFSET: 0
; COMPUTE_PGM_RSRC3_GFX90A:TG_SPLIT: 0
	.section	.text._ZN7rocprim17ROCPRIM_400000_NS6detail17trampoline_kernelINS0_14default_configENS1_20scan_config_selectorIiEEZZNS1_9scan_implILNS1_25lookback_scan_determinismE0ELb0ELb0ES3_N6thrust23THRUST_200600_302600_NS6detail15normal_iteratorINS9_10device_ptrIiEEEESE_i11max_functorIiEiEEDaPvRmT3_T4_T5_mT6_P12ihipStream_tbENKUlT_T0_E_clISt17integral_constantIbLb1EESU_EEDaSP_SQ_EUlSP_E_NS1_11comp_targetILNS1_3genE8ELNS1_11target_archE1030ELNS1_3gpuE2ELNS1_3repE0EEENS1_30default_config_static_selectorELNS0_4arch9wavefront6targetE1EEEvT1_,"axG",@progbits,_ZN7rocprim17ROCPRIM_400000_NS6detail17trampoline_kernelINS0_14default_configENS1_20scan_config_selectorIiEEZZNS1_9scan_implILNS1_25lookback_scan_determinismE0ELb0ELb0ES3_N6thrust23THRUST_200600_302600_NS6detail15normal_iteratorINS9_10device_ptrIiEEEESE_i11max_functorIiEiEEDaPvRmT3_T4_T5_mT6_P12ihipStream_tbENKUlT_T0_E_clISt17integral_constantIbLb1EESU_EEDaSP_SQ_EUlSP_E_NS1_11comp_targetILNS1_3genE8ELNS1_11target_archE1030ELNS1_3gpuE2ELNS1_3repE0EEENS1_30default_config_static_selectorELNS0_4arch9wavefront6targetE1EEEvT1_,comdat
	.protected	_ZN7rocprim17ROCPRIM_400000_NS6detail17trampoline_kernelINS0_14default_configENS1_20scan_config_selectorIiEEZZNS1_9scan_implILNS1_25lookback_scan_determinismE0ELb0ELb0ES3_N6thrust23THRUST_200600_302600_NS6detail15normal_iteratorINS9_10device_ptrIiEEEESE_i11max_functorIiEiEEDaPvRmT3_T4_T5_mT6_P12ihipStream_tbENKUlT_T0_E_clISt17integral_constantIbLb1EESU_EEDaSP_SQ_EUlSP_E_NS1_11comp_targetILNS1_3genE8ELNS1_11target_archE1030ELNS1_3gpuE2ELNS1_3repE0EEENS1_30default_config_static_selectorELNS0_4arch9wavefront6targetE1EEEvT1_ ; -- Begin function _ZN7rocprim17ROCPRIM_400000_NS6detail17trampoline_kernelINS0_14default_configENS1_20scan_config_selectorIiEEZZNS1_9scan_implILNS1_25lookback_scan_determinismE0ELb0ELb0ES3_N6thrust23THRUST_200600_302600_NS6detail15normal_iteratorINS9_10device_ptrIiEEEESE_i11max_functorIiEiEEDaPvRmT3_T4_T5_mT6_P12ihipStream_tbENKUlT_T0_E_clISt17integral_constantIbLb1EESU_EEDaSP_SQ_EUlSP_E_NS1_11comp_targetILNS1_3genE8ELNS1_11target_archE1030ELNS1_3gpuE2ELNS1_3repE0EEENS1_30default_config_static_selectorELNS0_4arch9wavefront6targetE1EEEvT1_
	.globl	_ZN7rocprim17ROCPRIM_400000_NS6detail17trampoline_kernelINS0_14default_configENS1_20scan_config_selectorIiEEZZNS1_9scan_implILNS1_25lookback_scan_determinismE0ELb0ELb0ES3_N6thrust23THRUST_200600_302600_NS6detail15normal_iteratorINS9_10device_ptrIiEEEESE_i11max_functorIiEiEEDaPvRmT3_T4_T5_mT6_P12ihipStream_tbENKUlT_T0_E_clISt17integral_constantIbLb1EESU_EEDaSP_SQ_EUlSP_E_NS1_11comp_targetILNS1_3genE8ELNS1_11target_archE1030ELNS1_3gpuE2ELNS1_3repE0EEENS1_30default_config_static_selectorELNS0_4arch9wavefront6targetE1EEEvT1_
	.p2align	8
	.type	_ZN7rocprim17ROCPRIM_400000_NS6detail17trampoline_kernelINS0_14default_configENS1_20scan_config_selectorIiEEZZNS1_9scan_implILNS1_25lookback_scan_determinismE0ELb0ELb0ES3_N6thrust23THRUST_200600_302600_NS6detail15normal_iteratorINS9_10device_ptrIiEEEESE_i11max_functorIiEiEEDaPvRmT3_T4_T5_mT6_P12ihipStream_tbENKUlT_T0_E_clISt17integral_constantIbLb1EESU_EEDaSP_SQ_EUlSP_E_NS1_11comp_targetILNS1_3genE8ELNS1_11target_archE1030ELNS1_3gpuE2ELNS1_3repE0EEENS1_30default_config_static_selectorELNS0_4arch9wavefront6targetE1EEEvT1_,@function
_ZN7rocprim17ROCPRIM_400000_NS6detail17trampoline_kernelINS0_14default_configENS1_20scan_config_selectorIiEEZZNS1_9scan_implILNS1_25lookback_scan_determinismE0ELb0ELb0ES3_N6thrust23THRUST_200600_302600_NS6detail15normal_iteratorINS9_10device_ptrIiEEEESE_i11max_functorIiEiEEDaPvRmT3_T4_T5_mT6_P12ihipStream_tbENKUlT_T0_E_clISt17integral_constantIbLb1EESU_EEDaSP_SQ_EUlSP_E_NS1_11comp_targetILNS1_3genE8ELNS1_11target_archE1030ELNS1_3gpuE2ELNS1_3repE0EEENS1_30default_config_static_selectorELNS0_4arch9wavefront6targetE1EEEvT1_: ; @_ZN7rocprim17ROCPRIM_400000_NS6detail17trampoline_kernelINS0_14default_configENS1_20scan_config_selectorIiEEZZNS1_9scan_implILNS1_25lookback_scan_determinismE0ELb0ELb0ES3_N6thrust23THRUST_200600_302600_NS6detail15normal_iteratorINS9_10device_ptrIiEEEESE_i11max_functorIiEiEEDaPvRmT3_T4_T5_mT6_P12ihipStream_tbENKUlT_T0_E_clISt17integral_constantIbLb1EESU_EEDaSP_SQ_EUlSP_E_NS1_11comp_targetILNS1_3genE8ELNS1_11target_archE1030ELNS1_3gpuE2ELNS1_3repE0EEENS1_30default_config_static_selectorELNS0_4arch9wavefront6targetE1EEEvT1_
; %bb.0:
	.section	.rodata,"a",@progbits
	.p2align	6, 0x0
	.amdhsa_kernel _ZN7rocprim17ROCPRIM_400000_NS6detail17trampoline_kernelINS0_14default_configENS1_20scan_config_selectorIiEEZZNS1_9scan_implILNS1_25lookback_scan_determinismE0ELb0ELb0ES3_N6thrust23THRUST_200600_302600_NS6detail15normal_iteratorINS9_10device_ptrIiEEEESE_i11max_functorIiEiEEDaPvRmT3_T4_T5_mT6_P12ihipStream_tbENKUlT_T0_E_clISt17integral_constantIbLb1EESU_EEDaSP_SQ_EUlSP_E_NS1_11comp_targetILNS1_3genE8ELNS1_11target_archE1030ELNS1_3gpuE2ELNS1_3repE0EEENS1_30default_config_static_selectorELNS0_4arch9wavefront6targetE1EEEvT1_
		.amdhsa_group_segment_fixed_size 0
		.amdhsa_private_segment_fixed_size 0
		.amdhsa_kernarg_size 96
		.amdhsa_user_sgpr_count 6
		.amdhsa_user_sgpr_private_segment_buffer 1
		.amdhsa_user_sgpr_dispatch_ptr 0
		.amdhsa_user_sgpr_queue_ptr 0
		.amdhsa_user_sgpr_kernarg_segment_ptr 1
		.amdhsa_user_sgpr_dispatch_id 0
		.amdhsa_user_sgpr_flat_scratch_init 0
		.amdhsa_user_sgpr_kernarg_preload_length 0
		.amdhsa_user_sgpr_kernarg_preload_offset 0
		.amdhsa_user_sgpr_private_segment_size 0
		.amdhsa_uses_dynamic_stack 0
		.amdhsa_system_sgpr_private_segment_wavefront_offset 0
		.amdhsa_system_sgpr_workgroup_id_x 1
		.amdhsa_system_sgpr_workgroup_id_y 0
		.amdhsa_system_sgpr_workgroup_id_z 0
		.amdhsa_system_sgpr_workgroup_info 0
		.amdhsa_system_vgpr_workitem_id 0
		.amdhsa_next_free_vgpr 1
		.amdhsa_next_free_sgpr 0
		.amdhsa_accum_offset 4
		.amdhsa_reserve_vcc 0
		.amdhsa_reserve_flat_scratch 0
		.amdhsa_float_round_mode_32 0
		.amdhsa_float_round_mode_16_64 0
		.amdhsa_float_denorm_mode_32 3
		.amdhsa_float_denorm_mode_16_64 3
		.amdhsa_dx10_clamp 1
		.amdhsa_ieee_mode 1
		.amdhsa_fp16_overflow 0
		.amdhsa_tg_split 0
		.amdhsa_exception_fp_ieee_invalid_op 0
		.amdhsa_exception_fp_denorm_src 0
		.amdhsa_exception_fp_ieee_div_zero 0
		.amdhsa_exception_fp_ieee_overflow 0
		.amdhsa_exception_fp_ieee_underflow 0
		.amdhsa_exception_fp_ieee_inexact 0
		.amdhsa_exception_int_div_zero 0
	.end_amdhsa_kernel
	.section	.text._ZN7rocprim17ROCPRIM_400000_NS6detail17trampoline_kernelINS0_14default_configENS1_20scan_config_selectorIiEEZZNS1_9scan_implILNS1_25lookback_scan_determinismE0ELb0ELb0ES3_N6thrust23THRUST_200600_302600_NS6detail15normal_iteratorINS9_10device_ptrIiEEEESE_i11max_functorIiEiEEDaPvRmT3_T4_T5_mT6_P12ihipStream_tbENKUlT_T0_E_clISt17integral_constantIbLb1EESU_EEDaSP_SQ_EUlSP_E_NS1_11comp_targetILNS1_3genE8ELNS1_11target_archE1030ELNS1_3gpuE2ELNS1_3repE0EEENS1_30default_config_static_selectorELNS0_4arch9wavefront6targetE1EEEvT1_,"axG",@progbits,_ZN7rocprim17ROCPRIM_400000_NS6detail17trampoline_kernelINS0_14default_configENS1_20scan_config_selectorIiEEZZNS1_9scan_implILNS1_25lookback_scan_determinismE0ELb0ELb0ES3_N6thrust23THRUST_200600_302600_NS6detail15normal_iteratorINS9_10device_ptrIiEEEESE_i11max_functorIiEiEEDaPvRmT3_T4_T5_mT6_P12ihipStream_tbENKUlT_T0_E_clISt17integral_constantIbLb1EESU_EEDaSP_SQ_EUlSP_E_NS1_11comp_targetILNS1_3genE8ELNS1_11target_archE1030ELNS1_3gpuE2ELNS1_3repE0EEENS1_30default_config_static_selectorELNS0_4arch9wavefront6targetE1EEEvT1_,comdat
.Lfunc_end2728:
	.size	_ZN7rocprim17ROCPRIM_400000_NS6detail17trampoline_kernelINS0_14default_configENS1_20scan_config_selectorIiEEZZNS1_9scan_implILNS1_25lookback_scan_determinismE0ELb0ELb0ES3_N6thrust23THRUST_200600_302600_NS6detail15normal_iteratorINS9_10device_ptrIiEEEESE_i11max_functorIiEiEEDaPvRmT3_T4_T5_mT6_P12ihipStream_tbENKUlT_T0_E_clISt17integral_constantIbLb1EESU_EEDaSP_SQ_EUlSP_E_NS1_11comp_targetILNS1_3genE8ELNS1_11target_archE1030ELNS1_3gpuE2ELNS1_3repE0EEENS1_30default_config_static_selectorELNS0_4arch9wavefront6targetE1EEEvT1_, .Lfunc_end2728-_ZN7rocprim17ROCPRIM_400000_NS6detail17trampoline_kernelINS0_14default_configENS1_20scan_config_selectorIiEEZZNS1_9scan_implILNS1_25lookback_scan_determinismE0ELb0ELb0ES3_N6thrust23THRUST_200600_302600_NS6detail15normal_iteratorINS9_10device_ptrIiEEEESE_i11max_functorIiEiEEDaPvRmT3_T4_T5_mT6_P12ihipStream_tbENKUlT_T0_E_clISt17integral_constantIbLb1EESU_EEDaSP_SQ_EUlSP_E_NS1_11comp_targetILNS1_3genE8ELNS1_11target_archE1030ELNS1_3gpuE2ELNS1_3repE0EEENS1_30default_config_static_selectorELNS0_4arch9wavefront6targetE1EEEvT1_
                                        ; -- End function
	.section	.AMDGPU.csdata,"",@progbits
; Kernel info:
; codeLenInByte = 0
; NumSgprs: 4
; NumVgprs: 0
; NumAgprs: 0
; TotalNumVgprs: 0
; ScratchSize: 0
; MemoryBound: 0
; FloatMode: 240
; IeeeMode: 1
; LDSByteSize: 0 bytes/workgroup (compile time only)
; SGPRBlocks: 0
; VGPRBlocks: 0
; NumSGPRsForWavesPerEU: 4
; NumVGPRsForWavesPerEU: 1
; AccumOffset: 4
; Occupancy: 8
; WaveLimiterHint : 0
; COMPUTE_PGM_RSRC2:SCRATCH_EN: 0
; COMPUTE_PGM_RSRC2:USER_SGPR: 6
; COMPUTE_PGM_RSRC2:TRAP_HANDLER: 0
; COMPUTE_PGM_RSRC2:TGID_X_EN: 1
; COMPUTE_PGM_RSRC2:TGID_Y_EN: 0
; COMPUTE_PGM_RSRC2:TGID_Z_EN: 0
; COMPUTE_PGM_RSRC2:TIDIG_COMP_CNT: 0
; COMPUTE_PGM_RSRC3_GFX90A:ACCUM_OFFSET: 0
; COMPUTE_PGM_RSRC3_GFX90A:TG_SPLIT: 0
	.section	.text._ZN7rocprim17ROCPRIM_400000_NS6detail17trampoline_kernelINS0_14default_configENS1_20scan_config_selectorIiEEZZNS1_9scan_implILNS1_25lookback_scan_determinismE0ELb0ELb0ES3_N6thrust23THRUST_200600_302600_NS6detail15normal_iteratorINS9_10device_ptrIiEEEESE_i11max_functorIiEiEEDaPvRmT3_T4_T5_mT6_P12ihipStream_tbENKUlT_T0_E_clISt17integral_constantIbLb1EESU_EEDaSP_SQ_EUlSP_E0_NS1_11comp_targetILNS1_3genE0ELNS1_11target_archE4294967295ELNS1_3gpuE0ELNS1_3repE0EEENS1_30default_config_static_selectorELNS0_4arch9wavefront6targetE1EEEvT1_,"axG",@progbits,_ZN7rocprim17ROCPRIM_400000_NS6detail17trampoline_kernelINS0_14default_configENS1_20scan_config_selectorIiEEZZNS1_9scan_implILNS1_25lookback_scan_determinismE0ELb0ELb0ES3_N6thrust23THRUST_200600_302600_NS6detail15normal_iteratorINS9_10device_ptrIiEEEESE_i11max_functorIiEiEEDaPvRmT3_T4_T5_mT6_P12ihipStream_tbENKUlT_T0_E_clISt17integral_constantIbLb1EESU_EEDaSP_SQ_EUlSP_E0_NS1_11comp_targetILNS1_3genE0ELNS1_11target_archE4294967295ELNS1_3gpuE0ELNS1_3repE0EEENS1_30default_config_static_selectorELNS0_4arch9wavefront6targetE1EEEvT1_,comdat
	.protected	_ZN7rocprim17ROCPRIM_400000_NS6detail17trampoline_kernelINS0_14default_configENS1_20scan_config_selectorIiEEZZNS1_9scan_implILNS1_25lookback_scan_determinismE0ELb0ELb0ES3_N6thrust23THRUST_200600_302600_NS6detail15normal_iteratorINS9_10device_ptrIiEEEESE_i11max_functorIiEiEEDaPvRmT3_T4_T5_mT6_P12ihipStream_tbENKUlT_T0_E_clISt17integral_constantIbLb1EESU_EEDaSP_SQ_EUlSP_E0_NS1_11comp_targetILNS1_3genE0ELNS1_11target_archE4294967295ELNS1_3gpuE0ELNS1_3repE0EEENS1_30default_config_static_selectorELNS0_4arch9wavefront6targetE1EEEvT1_ ; -- Begin function _ZN7rocprim17ROCPRIM_400000_NS6detail17trampoline_kernelINS0_14default_configENS1_20scan_config_selectorIiEEZZNS1_9scan_implILNS1_25lookback_scan_determinismE0ELb0ELb0ES3_N6thrust23THRUST_200600_302600_NS6detail15normal_iteratorINS9_10device_ptrIiEEEESE_i11max_functorIiEiEEDaPvRmT3_T4_T5_mT6_P12ihipStream_tbENKUlT_T0_E_clISt17integral_constantIbLb1EESU_EEDaSP_SQ_EUlSP_E0_NS1_11comp_targetILNS1_3genE0ELNS1_11target_archE4294967295ELNS1_3gpuE0ELNS1_3repE0EEENS1_30default_config_static_selectorELNS0_4arch9wavefront6targetE1EEEvT1_
	.globl	_ZN7rocprim17ROCPRIM_400000_NS6detail17trampoline_kernelINS0_14default_configENS1_20scan_config_selectorIiEEZZNS1_9scan_implILNS1_25lookback_scan_determinismE0ELb0ELb0ES3_N6thrust23THRUST_200600_302600_NS6detail15normal_iteratorINS9_10device_ptrIiEEEESE_i11max_functorIiEiEEDaPvRmT3_T4_T5_mT6_P12ihipStream_tbENKUlT_T0_E_clISt17integral_constantIbLb1EESU_EEDaSP_SQ_EUlSP_E0_NS1_11comp_targetILNS1_3genE0ELNS1_11target_archE4294967295ELNS1_3gpuE0ELNS1_3repE0EEENS1_30default_config_static_selectorELNS0_4arch9wavefront6targetE1EEEvT1_
	.p2align	8
	.type	_ZN7rocprim17ROCPRIM_400000_NS6detail17trampoline_kernelINS0_14default_configENS1_20scan_config_selectorIiEEZZNS1_9scan_implILNS1_25lookback_scan_determinismE0ELb0ELb0ES3_N6thrust23THRUST_200600_302600_NS6detail15normal_iteratorINS9_10device_ptrIiEEEESE_i11max_functorIiEiEEDaPvRmT3_T4_T5_mT6_P12ihipStream_tbENKUlT_T0_E_clISt17integral_constantIbLb1EESU_EEDaSP_SQ_EUlSP_E0_NS1_11comp_targetILNS1_3genE0ELNS1_11target_archE4294967295ELNS1_3gpuE0ELNS1_3repE0EEENS1_30default_config_static_selectorELNS0_4arch9wavefront6targetE1EEEvT1_,@function
_ZN7rocprim17ROCPRIM_400000_NS6detail17trampoline_kernelINS0_14default_configENS1_20scan_config_selectorIiEEZZNS1_9scan_implILNS1_25lookback_scan_determinismE0ELb0ELb0ES3_N6thrust23THRUST_200600_302600_NS6detail15normal_iteratorINS9_10device_ptrIiEEEESE_i11max_functorIiEiEEDaPvRmT3_T4_T5_mT6_P12ihipStream_tbENKUlT_T0_E_clISt17integral_constantIbLb1EESU_EEDaSP_SQ_EUlSP_E0_NS1_11comp_targetILNS1_3genE0ELNS1_11target_archE4294967295ELNS1_3gpuE0ELNS1_3repE0EEENS1_30default_config_static_selectorELNS0_4arch9wavefront6targetE1EEEvT1_: ; @_ZN7rocprim17ROCPRIM_400000_NS6detail17trampoline_kernelINS0_14default_configENS1_20scan_config_selectorIiEEZZNS1_9scan_implILNS1_25lookback_scan_determinismE0ELb0ELb0ES3_N6thrust23THRUST_200600_302600_NS6detail15normal_iteratorINS9_10device_ptrIiEEEESE_i11max_functorIiEiEEDaPvRmT3_T4_T5_mT6_P12ihipStream_tbENKUlT_T0_E_clISt17integral_constantIbLb1EESU_EEDaSP_SQ_EUlSP_E0_NS1_11comp_targetILNS1_3genE0ELNS1_11target_archE4294967295ELNS1_3gpuE0ELNS1_3repE0EEENS1_30default_config_static_selectorELNS0_4arch9wavefront6targetE1EEEvT1_
; %bb.0:
	.section	.rodata,"a",@progbits
	.p2align	6, 0x0
	.amdhsa_kernel _ZN7rocprim17ROCPRIM_400000_NS6detail17trampoline_kernelINS0_14default_configENS1_20scan_config_selectorIiEEZZNS1_9scan_implILNS1_25lookback_scan_determinismE0ELb0ELb0ES3_N6thrust23THRUST_200600_302600_NS6detail15normal_iteratorINS9_10device_ptrIiEEEESE_i11max_functorIiEiEEDaPvRmT3_T4_T5_mT6_P12ihipStream_tbENKUlT_T0_E_clISt17integral_constantIbLb1EESU_EEDaSP_SQ_EUlSP_E0_NS1_11comp_targetILNS1_3genE0ELNS1_11target_archE4294967295ELNS1_3gpuE0ELNS1_3repE0EEENS1_30default_config_static_selectorELNS0_4arch9wavefront6targetE1EEEvT1_
		.amdhsa_group_segment_fixed_size 0
		.amdhsa_private_segment_fixed_size 0
		.amdhsa_kernarg_size 32
		.amdhsa_user_sgpr_count 6
		.amdhsa_user_sgpr_private_segment_buffer 1
		.amdhsa_user_sgpr_dispatch_ptr 0
		.amdhsa_user_sgpr_queue_ptr 0
		.amdhsa_user_sgpr_kernarg_segment_ptr 1
		.amdhsa_user_sgpr_dispatch_id 0
		.amdhsa_user_sgpr_flat_scratch_init 0
		.amdhsa_user_sgpr_kernarg_preload_length 0
		.amdhsa_user_sgpr_kernarg_preload_offset 0
		.amdhsa_user_sgpr_private_segment_size 0
		.amdhsa_uses_dynamic_stack 0
		.amdhsa_system_sgpr_private_segment_wavefront_offset 0
		.amdhsa_system_sgpr_workgroup_id_x 1
		.amdhsa_system_sgpr_workgroup_id_y 0
		.amdhsa_system_sgpr_workgroup_id_z 0
		.amdhsa_system_sgpr_workgroup_info 0
		.amdhsa_system_vgpr_workitem_id 0
		.amdhsa_next_free_vgpr 1
		.amdhsa_next_free_sgpr 0
		.amdhsa_accum_offset 4
		.amdhsa_reserve_vcc 0
		.amdhsa_reserve_flat_scratch 0
		.amdhsa_float_round_mode_32 0
		.amdhsa_float_round_mode_16_64 0
		.amdhsa_float_denorm_mode_32 3
		.amdhsa_float_denorm_mode_16_64 3
		.amdhsa_dx10_clamp 1
		.amdhsa_ieee_mode 1
		.amdhsa_fp16_overflow 0
		.amdhsa_tg_split 0
		.amdhsa_exception_fp_ieee_invalid_op 0
		.amdhsa_exception_fp_denorm_src 0
		.amdhsa_exception_fp_ieee_div_zero 0
		.amdhsa_exception_fp_ieee_overflow 0
		.amdhsa_exception_fp_ieee_underflow 0
		.amdhsa_exception_fp_ieee_inexact 0
		.amdhsa_exception_int_div_zero 0
	.end_amdhsa_kernel
	.section	.text._ZN7rocprim17ROCPRIM_400000_NS6detail17trampoline_kernelINS0_14default_configENS1_20scan_config_selectorIiEEZZNS1_9scan_implILNS1_25lookback_scan_determinismE0ELb0ELb0ES3_N6thrust23THRUST_200600_302600_NS6detail15normal_iteratorINS9_10device_ptrIiEEEESE_i11max_functorIiEiEEDaPvRmT3_T4_T5_mT6_P12ihipStream_tbENKUlT_T0_E_clISt17integral_constantIbLb1EESU_EEDaSP_SQ_EUlSP_E0_NS1_11comp_targetILNS1_3genE0ELNS1_11target_archE4294967295ELNS1_3gpuE0ELNS1_3repE0EEENS1_30default_config_static_selectorELNS0_4arch9wavefront6targetE1EEEvT1_,"axG",@progbits,_ZN7rocprim17ROCPRIM_400000_NS6detail17trampoline_kernelINS0_14default_configENS1_20scan_config_selectorIiEEZZNS1_9scan_implILNS1_25lookback_scan_determinismE0ELb0ELb0ES3_N6thrust23THRUST_200600_302600_NS6detail15normal_iteratorINS9_10device_ptrIiEEEESE_i11max_functorIiEiEEDaPvRmT3_T4_T5_mT6_P12ihipStream_tbENKUlT_T0_E_clISt17integral_constantIbLb1EESU_EEDaSP_SQ_EUlSP_E0_NS1_11comp_targetILNS1_3genE0ELNS1_11target_archE4294967295ELNS1_3gpuE0ELNS1_3repE0EEENS1_30default_config_static_selectorELNS0_4arch9wavefront6targetE1EEEvT1_,comdat
.Lfunc_end2729:
	.size	_ZN7rocprim17ROCPRIM_400000_NS6detail17trampoline_kernelINS0_14default_configENS1_20scan_config_selectorIiEEZZNS1_9scan_implILNS1_25lookback_scan_determinismE0ELb0ELb0ES3_N6thrust23THRUST_200600_302600_NS6detail15normal_iteratorINS9_10device_ptrIiEEEESE_i11max_functorIiEiEEDaPvRmT3_T4_T5_mT6_P12ihipStream_tbENKUlT_T0_E_clISt17integral_constantIbLb1EESU_EEDaSP_SQ_EUlSP_E0_NS1_11comp_targetILNS1_3genE0ELNS1_11target_archE4294967295ELNS1_3gpuE0ELNS1_3repE0EEENS1_30default_config_static_selectorELNS0_4arch9wavefront6targetE1EEEvT1_, .Lfunc_end2729-_ZN7rocprim17ROCPRIM_400000_NS6detail17trampoline_kernelINS0_14default_configENS1_20scan_config_selectorIiEEZZNS1_9scan_implILNS1_25lookback_scan_determinismE0ELb0ELb0ES3_N6thrust23THRUST_200600_302600_NS6detail15normal_iteratorINS9_10device_ptrIiEEEESE_i11max_functorIiEiEEDaPvRmT3_T4_T5_mT6_P12ihipStream_tbENKUlT_T0_E_clISt17integral_constantIbLb1EESU_EEDaSP_SQ_EUlSP_E0_NS1_11comp_targetILNS1_3genE0ELNS1_11target_archE4294967295ELNS1_3gpuE0ELNS1_3repE0EEENS1_30default_config_static_selectorELNS0_4arch9wavefront6targetE1EEEvT1_
                                        ; -- End function
	.section	.AMDGPU.csdata,"",@progbits
; Kernel info:
; codeLenInByte = 0
; NumSgprs: 4
; NumVgprs: 0
; NumAgprs: 0
; TotalNumVgprs: 0
; ScratchSize: 0
; MemoryBound: 0
; FloatMode: 240
; IeeeMode: 1
; LDSByteSize: 0 bytes/workgroup (compile time only)
; SGPRBlocks: 0
; VGPRBlocks: 0
; NumSGPRsForWavesPerEU: 4
; NumVGPRsForWavesPerEU: 1
; AccumOffset: 4
; Occupancy: 8
; WaveLimiterHint : 0
; COMPUTE_PGM_RSRC2:SCRATCH_EN: 0
; COMPUTE_PGM_RSRC2:USER_SGPR: 6
; COMPUTE_PGM_RSRC2:TRAP_HANDLER: 0
; COMPUTE_PGM_RSRC2:TGID_X_EN: 1
; COMPUTE_PGM_RSRC2:TGID_Y_EN: 0
; COMPUTE_PGM_RSRC2:TGID_Z_EN: 0
; COMPUTE_PGM_RSRC2:TIDIG_COMP_CNT: 0
; COMPUTE_PGM_RSRC3_GFX90A:ACCUM_OFFSET: 0
; COMPUTE_PGM_RSRC3_GFX90A:TG_SPLIT: 0
	.section	.text._ZN7rocprim17ROCPRIM_400000_NS6detail17trampoline_kernelINS0_14default_configENS1_20scan_config_selectorIiEEZZNS1_9scan_implILNS1_25lookback_scan_determinismE0ELb0ELb0ES3_N6thrust23THRUST_200600_302600_NS6detail15normal_iteratorINS9_10device_ptrIiEEEESE_i11max_functorIiEiEEDaPvRmT3_T4_T5_mT6_P12ihipStream_tbENKUlT_T0_E_clISt17integral_constantIbLb1EESU_EEDaSP_SQ_EUlSP_E0_NS1_11comp_targetILNS1_3genE5ELNS1_11target_archE942ELNS1_3gpuE9ELNS1_3repE0EEENS1_30default_config_static_selectorELNS0_4arch9wavefront6targetE1EEEvT1_,"axG",@progbits,_ZN7rocprim17ROCPRIM_400000_NS6detail17trampoline_kernelINS0_14default_configENS1_20scan_config_selectorIiEEZZNS1_9scan_implILNS1_25lookback_scan_determinismE0ELb0ELb0ES3_N6thrust23THRUST_200600_302600_NS6detail15normal_iteratorINS9_10device_ptrIiEEEESE_i11max_functorIiEiEEDaPvRmT3_T4_T5_mT6_P12ihipStream_tbENKUlT_T0_E_clISt17integral_constantIbLb1EESU_EEDaSP_SQ_EUlSP_E0_NS1_11comp_targetILNS1_3genE5ELNS1_11target_archE942ELNS1_3gpuE9ELNS1_3repE0EEENS1_30default_config_static_selectorELNS0_4arch9wavefront6targetE1EEEvT1_,comdat
	.protected	_ZN7rocprim17ROCPRIM_400000_NS6detail17trampoline_kernelINS0_14default_configENS1_20scan_config_selectorIiEEZZNS1_9scan_implILNS1_25lookback_scan_determinismE0ELb0ELb0ES3_N6thrust23THRUST_200600_302600_NS6detail15normal_iteratorINS9_10device_ptrIiEEEESE_i11max_functorIiEiEEDaPvRmT3_T4_T5_mT6_P12ihipStream_tbENKUlT_T0_E_clISt17integral_constantIbLb1EESU_EEDaSP_SQ_EUlSP_E0_NS1_11comp_targetILNS1_3genE5ELNS1_11target_archE942ELNS1_3gpuE9ELNS1_3repE0EEENS1_30default_config_static_selectorELNS0_4arch9wavefront6targetE1EEEvT1_ ; -- Begin function _ZN7rocprim17ROCPRIM_400000_NS6detail17trampoline_kernelINS0_14default_configENS1_20scan_config_selectorIiEEZZNS1_9scan_implILNS1_25lookback_scan_determinismE0ELb0ELb0ES3_N6thrust23THRUST_200600_302600_NS6detail15normal_iteratorINS9_10device_ptrIiEEEESE_i11max_functorIiEiEEDaPvRmT3_T4_T5_mT6_P12ihipStream_tbENKUlT_T0_E_clISt17integral_constantIbLb1EESU_EEDaSP_SQ_EUlSP_E0_NS1_11comp_targetILNS1_3genE5ELNS1_11target_archE942ELNS1_3gpuE9ELNS1_3repE0EEENS1_30default_config_static_selectorELNS0_4arch9wavefront6targetE1EEEvT1_
	.globl	_ZN7rocprim17ROCPRIM_400000_NS6detail17trampoline_kernelINS0_14default_configENS1_20scan_config_selectorIiEEZZNS1_9scan_implILNS1_25lookback_scan_determinismE0ELb0ELb0ES3_N6thrust23THRUST_200600_302600_NS6detail15normal_iteratorINS9_10device_ptrIiEEEESE_i11max_functorIiEiEEDaPvRmT3_T4_T5_mT6_P12ihipStream_tbENKUlT_T0_E_clISt17integral_constantIbLb1EESU_EEDaSP_SQ_EUlSP_E0_NS1_11comp_targetILNS1_3genE5ELNS1_11target_archE942ELNS1_3gpuE9ELNS1_3repE0EEENS1_30default_config_static_selectorELNS0_4arch9wavefront6targetE1EEEvT1_
	.p2align	8
	.type	_ZN7rocprim17ROCPRIM_400000_NS6detail17trampoline_kernelINS0_14default_configENS1_20scan_config_selectorIiEEZZNS1_9scan_implILNS1_25lookback_scan_determinismE0ELb0ELb0ES3_N6thrust23THRUST_200600_302600_NS6detail15normal_iteratorINS9_10device_ptrIiEEEESE_i11max_functorIiEiEEDaPvRmT3_T4_T5_mT6_P12ihipStream_tbENKUlT_T0_E_clISt17integral_constantIbLb1EESU_EEDaSP_SQ_EUlSP_E0_NS1_11comp_targetILNS1_3genE5ELNS1_11target_archE942ELNS1_3gpuE9ELNS1_3repE0EEENS1_30default_config_static_selectorELNS0_4arch9wavefront6targetE1EEEvT1_,@function
_ZN7rocprim17ROCPRIM_400000_NS6detail17trampoline_kernelINS0_14default_configENS1_20scan_config_selectorIiEEZZNS1_9scan_implILNS1_25lookback_scan_determinismE0ELb0ELb0ES3_N6thrust23THRUST_200600_302600_NS6detail15normal_iteratorINS9_10device_ptrIiEEEESE_i11max_functorIiEiEEDaPvRmT3_T4_T5_mT6_P12ihipStream_tbENKUlT_T0_E_clISt17integral_constantIbLb1EESU_EEDaSP_SQ_EUlSP_E0_NS1_11comp_targetILNS1_3genE5ELNS1_11target_archE942ELNS1_3gpuE9ELNS1_3repE0EEENS1_30default_config_static_selectorELNS0_4arch9wavefront6targetE1EEEvT1_: ; @_ZN7rocprim17ROCPRIM_400000_NS6detail17trampoline_kernelINS0_14default_configENS1_20scan_config_selectorIiEEZZNS1_9scan_implILNS1_25lookback_scan_determinismE0ELb0ELb0ES3_N6thrust23THRUST_200600_302600_NS6detail15normal_iteratorINS9_10device_ptrIiEEEESE_i11max_functorIiEiEEDaPvRmT3_T4_T5_mT6_P12ihipStream_tbENKUlT_T0_E_clISt17integral_constantIbLb1EESU_EEDaSP_SQ_EUlSP_E0_NS1_11comp_targetILNS1_3genE5ELNS1_11target_archE942ELNS1_3gpuE9ELNS1_3repE0EEENS1_30default_config_static_selectorELNS0_4arch9wavefront6targetE1EEEvT1_
; %bb.0:
	.section	.rodata,"a",@progbits
	.p2align	6, 0x0
	.amdhsa_kernel _ZN7rocprim17ROCPRIM_400000_NS6detail17trampoline_kernelINS0_14default_configENS1_20scan_config_selectorIiEEZZNS1_9scan_implILNS1_25lookback_scan_determinismE0ELb0ELb0ES3_N6thrust23THRUST_200600_302600_NS6detail15normal_iteratorINS9_10device_ptrIiEEEESE_i11max_functorIiEiEEDaPvRmT3_T4_T5_mT6_P12ihipStream_tbENKUlT_T0_E_clISt17integral_constantIbLb1EESU_EEDaSP_SQ_EUlSP_E0_NS1_11comp_targetILNS1_3genE5ELNS1_11target_archE942ELNS1_3gpuE9ELNS1_3repE0EEENS1_30default_config_static_selectorELNS0_4arch9wavefront6targetE1EEEvT1_
		.amdhsa_group_segment_fixed_size 0
		.amdhsa_private_segment_fixed_size 0
		.amdhsa_kernarg_size 32
		.amdhsa_user_sgpr_count 6
		.amdhsa_user_sgpr_private_segment_buffer 1
		.amdhsa_user_sgpr_dispatch_ptr 0
		.amdhsa_user_sgpr_queue_ptr 0
		.amdhsa_user_sgpr_kernarg_segment_ptr 1
		.amdhsa_user_sgpr_dispatch_id 0
		.amdhsa_user_sgpr_flat_scratch_init 0
		.amdhsa_user_sgpr_kernarg_preload_length 0
		.amdhsa_user_sgpr_kernarg_preload_offset 0
		.amdhsa_user_sgpr_private_segment_size 0
		.amdhsa_uses_dynamic_stack 0
		.amdhsa_system_sgpr_private_segment_wavefront_offset 0
		.amdhsa_system_sgpr_workgroup_id_x 1
		.amdhsa_system_sgpr_workgroup_id_y 0
		.amdhsa_system_sgpr_workgroup_id_z 0
		.amdhsa_system_sgpr_workgroup_info 0
		.amdhsa_system_vgpr_workitem_id 0
		.amdhsa_next_free_vgpr 1
		.amdhsa_next_free_sgpr 0
		.amdhsa_accum_offset 4
		.amdhsa_reserve_vcc 0
		.amdhsa_reserve_flat_scratch 0
		.amdhsa_float_round_mode_32 0
		.amdhsa_float_round_mode_16_64 0
		.amdhsa_float_denorm_mode_32 3
		.amdhsa_float_denorm_mode_16_64 3
		.amdhsa_dx10_clamp 1
		.amdhsa_ieee_mode 1
		.amdhsa_fp16_overflow 0
		.amdhsa_tg_split 0
		.amdhsa_exception_fp_ieee_invalid_op 0
		.amdhsa_exception_fp_denorm_src 0
		.amdhsa_exception_fp_ieee_div_zero 0
		.amdhsa_exception_fp_ieee_overflow 0
		.amdhsa_exception_fp_ieee_underflow 0
		.amdhsa_exception_fp_ieee_inexact 0
		.amdhsa_exception_int_div_zero 0
	.end_amdhsa_kernel
	.section	.text._ZN7rocprim17ROCPRIM_400000_NS6detail17trampoline_kernelINS0_14default_configENS1_20scan_config_selectorIiEEZZNS1_9scan_implILNS1_25lookback_scan_determinismE0ELb0ELb0ES3_N6thrust23THRUST_200600_302600_NS6detail15normal_iteratorINS9_10device_ptrIiEEEESE_i11max_functorIiEiEEDaPvRmT3_T4_T5_mT6_P12ihipStream_tbENKUlT_T0_E_clISt17integral_constantIbLb1EESU_EEDaSP_SQ_EUlSP_E0_NS1_11comp_targetILNS1_3genE5ELNS1_11target_archE942ELNS1_3gpuE9ELNS1_3repE0EEENS1_30default_config_static_selectorELNS0_4arch9wavefront6targetE1EEEvT1_,"axG",@progbits,_ZN7rocprim17ROCPRIM_400000_NS6detail17trampoline_kernelINS0_14default_configENS1_20scan_config_selectorIiEEZZNS1_9scan_implILNS1_25lookback_scan_determinismE0ELb0ELb0ES3_N6thrust23THRUST_200600_302600_NS6detail15normal_iteratorINS9_10device_ptrIiEEEESE_i11max_functorIiEiEEDaPvRmT3_T4_T5_mT6_P12ihipStream_tbENKUlT_T0_E_clISt17integral_constantIbLb1EESU_EEDaSP_SQ_EUlSP_E0_NS1_11comp_targetILNS1_3genE5ELNS1_11target_archE942ELNS1_3gpuE9ELNS1_3repE0EEENS1_30default_config_static_selectorELNS0_4arch9wavefront6targetE1EEEvT1_,comdat
.Lfunc_end2730:
	.size	_ZN7rocprim17ROCPRIM_400000_NS6detail17trampoline_kernelINS0_14default_configENS1_20scan_config_selectorIiEEZZNS1_9scan_implILNS1_25lookback_scan_determinismE0ELb0ELb0ES3_N6thrust23THRUST_200600_302600_NS6detail15normal_iteratorINS9_10device_ptrIiEEEESE_i11max_functorIiEiEEDaPvRmT3_T4_T5_mT6_P12ihipStream_tbENKUlT_T0_E_clISt17integral_constantIbLb1EESU_EEDaSP_SQ_EUlSP_E0_NS1_11comp_targetILNS1_3genE5ELNS1_11target_archE942ELNS1_3gpuE9ELNS1_3repE0EEENS1_30default_config_static_selectorELNS0_4arch9wavefront6targetE1EEEvT1_, .Lfunc_end2730-_ZN7rocprim17ROCPRIM_400000_NS6detail17trampoline_kernelINS0_14default_configENS1_20scan_config_selectorIiEEZZNS1_9scan_implILNS1_25lookback_scan_determinismE0ELb0ELb0ES3_N6thrust23THRUST_200600_302600_NS6detail15normal_iteratorINS9_10device_ptrIiEEEESE_i11max_functorIiEiEEDaPvRmT3_T4_T5_mT6_P12ihipStream_tbENKUlT_T0_E_clISt17integral_constantIbLb1EESU_EEDaSP_SQ_EUlSP_E0_NS1_11comp_targetILNS1_3genE5ELNS1_11target_archE942ELNS1_3gpuE9ELNS1_3repE0EEENS1_30default_config_static_selectorELNS0_4arch9wavefront6targetE1EEEvT1_
                                        ; -- End function
	.section	.AMDGPU.csdata,"",@progbits
; Kernel info:
; codeLenInByte = 0
; NumSgprs: 4
; NumVgprs: 0
; NumAgprs: 0
; TotalNumVgprs: 0
; ScratchSize: 0
; MemoryBound: 0
; FloatMode: 240
; IeeeMode: 1
; LDSByteSize: 0 bytes/workgroup (compile time only)
; SGPRBlocks: 0
; VGPRBlocks: 0
; NumSGPRsForWavesPerEU: 4
; NumVGPRsForWavesPerEU: 1
; AccumOffset: 4
; Occupancy: 8
; WaveLimiterHint : 0
; COMPUTE_PGM_RSRC2:SCRATCH_EN: 0
; COMPUTE_PGM_RSRC2:USER_SGPR: 6
; COMPUTE_PGM_RSRC2:TRAP_HANDLER: 0
; COMPUTE_PGM_RSRC2:TGID_X_EN: 1
; COMPUTE_PGM_RSRC2:TGID_Y_EN: 0
; COMPUTE_PGM_RSRC2:TGID_Z_EN: 0
; COMPUTE_PGM_RSRC2:TIDIG_COMP_CNT: 0
; COMPUTE_PGM_RSRC3_GFX90A:ACCUM_OFFSET: 0
; COMPUTE_PGM_RSRC3_GFX90A:TG_SPLIT: 0
	.section	.text._ZN7rocprim17ROCPRIM_400000_NS6detail17trampoline_kernelINS0_14default_configENS1_20scan_config_selectorIiEEZZNS1_9scan_implILNS1_25lookback_scan_determinismE0ELb0ELb0ES3_N6thrust23THRUST_200600_302600_NS6detail15normal_iteratorINS9_10device_ptrIiEEEESE_i11max_functorIiEiEEDaPvRmT3_T4_T5_mT6_P12ihipStream_tbENKUlT_T0_E_clISt17integral_constantIbLb1EESU_EEDaSP_SQ_EUlSP_E0_NS1_11comp_targetILNS1_3genE4ELNS1_11target_archE910ELNS1_3gpuE8ELNS1_3repE0EEENS1_30default_config_static_selectorELNS0_4arch9wavefront6targetE1EEEvT1_,"axG",@progbits,_ZN7rocprim17ROCPRIM_400000_NS6detail17trampoline_kernelINS0_14default_configENS1_20scan_config_selectorIiEEZZNS1_9scan_implILNS1_25lookback_scan_determinismE0ELb0ELb0ES3_N6thrust23THRUST_200600_302600_NS6detail15normal_iteratorINS9_10device_ptrIiEEEESE_i11max_functorIiEiEEDaPvRmT3_T4_T5_mT6_P12ihipStream_tbENKUlT_T0_E_clISt17integral_constantIbLb1EESU_EEDaSP_SQ_EUlSP_E0_NS1_11comp_targetILNS1_3genE4ELNS1_11target_archE910ELNS1_3gpuE8ELNS1_3repE0EEENS1_30default_config_static_selectorELNS0_4arch9wavefront6targetE1EEEvT1_,comdat
	.protected	_ZN7rocprim17ROCPRIM_400000_NS6detail17trampoline_kernelINS0_14default_configENS1_20scan_config_selectorIiEEZZNS1_9scan_implILNS1_25lookback_scan_determinismE0ELb0ELb0ES3_N6thrust23THRUST_200600_302600_NS6detail15normal_iteratorINS9_10device_ptrIiEEEESE_i11max_functorIiEiEEDaPvRmT3_T4_T5_mT6_P12ihipStream_tbENKUlT_T0_E_clISt17integral_constantIbLb1EESU_EEDaSP_SQ_EUlSP_E0_NS1_11comp_targetILNS1_3genE4ELNS1_11target_archE910ELNS1_3gpuE8ELNS1_3repE0EEENS1_30default_config_static_selectorELNS0_4arch9wavefront6targetE1EEEvT1_ ; -- Begin function _ZN7rocprim17ROCPRIM_400000_NS6detail17trampoline_kernelINS0_14default_configENS1_20scan_config_selectorIiEEZZNS1_9scan_implILNS1_25lookback_scan_determinismE0ELb0ELb0ES3_N6thrust23THRUST_200600_302600_NS6detail15normal_iteratorINS9_10device_ptrIiEEEESE_i11max_functorIiEiEEDaPvRmT3_T4_T5_mT6_P12ihipStream_tbENKUlT_T0_E_clISt17integral_constantIbLb1EESU_EEDaSP_SQ_EUlSP_E0_NS1_11comp_targetILNS1_3genE4ELNS1_11target_archE910ELNS1_3gpuE8ELNS1_3repE0EEENS1_30default_config_static_selectorELNS0_4arch9wavefront6targetE1EEEvT1_
	.globl	_ZN7rocprim17ROCPRIM_400000_NS6detail17trampoline_kernelINS0_14default_configENS1_20scan_config_selectorIiEEZZNS1_9scan_implILNS1_25lookback_scan_determinismE0ELb0ELb0ES3_N6thrust23THRUST_200600_302600_NS6detail15normal_iteratorINS9_10device_ptrIiEEEESE_i11max_functorIiEiEEDaPvRmT3_T4_T5_mT6_P12ihipStream_tbENKUlT_T0_E_clISt17integral_constantIbLb1EESU_EEDaSP_SQ_EUlSP_E0_NS1_11comp_targetILNS1_3genE4ELNS1_11target_archE910ELNS1_3gpuE8ELNS1_3repE0EEENS1_30default_config_static_selectorELNS0_4arch9wavefront6targetE1EEEvT1_
	.p2align	8
	.type	_ZN7rocprim17ROCPRIM_400000_NS6detail17trampoline_kernelINS0_14default_configENS1_20scan_config_selectorIiEEZZNS1_9scan_implILNS1_25lookback_scan_determinismE0ELb0ELb0ES3_N6thrust23THRUST_200600_302600_NS6detail15normal_iteratorINS9_10device_ptrIiEEEESE_i11max_functorIiEiEEDaPvRmT3_T4_T5_mT6_P12ihipStream_tbENKUlT_T0_E_clISt17integral_constantIbLb1EESU_EEDaSP_SQ_EUlSP_E0_NS1_11comp_targetILNS1_3genE4ELNS1_11target_archE910ELNS1_3gpuE8ELNS1_3repE0EEENS1_30default_config_static_selectorELNS0_4arch9wavefront6targetE1EEEvT1_,@function
_ZN7rocprim17ROCPRIM_400000_NS6detail17trampoline_kernelINS0_14default_configENS1_20scan_config_selectorIiEEZZNS1_9scan_implILNS1_25lookback_scan_determinismE0ELb0ELb0ES3_N6thrust23THRUST_200600_302600_NS6detail15normal_iteratorINS9_10device_ptrIiEEEESE_i11max_functorIiEiEEDaPvRmT3_T4_T5_mT6_P12ihipStream_tbENKUlT_T0_E_clISt17integral_constantIbLb1EESU_EEDaSP_SQ_EUlSP_E0_NS1_11comp_targetILNS1_3genE4ELNS1_11target_archE910ELNS1_3gpuE8ELNS1_3repE0EEENS1_30default_config_static_selectorELNS0_4arch9wavefront6targetE1EEEvT1_: ; @_ZN7rocprim17ROCPRIM_400000_NS6detail17trampoline_kernelINS0_14default_configENS1_20scan_config_selectorIiEEZZNS1_9scan_implILNS1_25lookback_scan_determinismE0ELb0ELb0ES3_N6thrust23THRUST_200600_302600_NS6detail15normal_iteratorINS9_10device_ptrIiEEEESE_i11max_functorIiEiEEDaPvRmT3_T4_T5_mT6_P12ihipStream_tbENKUlT_T0_E_clISt17integral_constantIbLb1EESU_EEDaSP_SQ_EUlSP_E0_NS1_11comp_targetILNS1_3genE4ELNS1_11target_archE910ELNS1_3gpuE8ELNS1_3repE0EEENS1_30default_config_static_selectorELNS0_4arch9wavefront6targetE1EEEvT1_
; %bb.0:
	s_load_dwordx4 s[20:23], s[4:5], 0x0
	v_lshlrev_b32_e32 v22, 2, v0
	s_waitcnt lgkmcnt(0)
	s_load_dword s23, s[20:21], 0x0
	v_cmp_gt_u32_e32 vcc, s22, v0
	s_waitcnt lgkmcnt(0)
	v_mov_b32_e32 v1, s23
	s_and_saveexec_b64 s[0:1], vcc
	s_cbranch_execz .LBB2731_2
; %bb.1:
	global_load_dword v1, v22, s[20:21]
.LBB2731_2:
	s_or_b64 exec, exec, s[0:1]
	v_or_b32_e32 v2, 0x80, v0
	v_cmp_gt_u32_e64 s[0:1], s22, v2
	v_mov_b32_e32 v2, s23
	s_and_saveexec_b64 s[2:3], s[0:1]
	s_cbranch_execz .LBB2731_4
; %bb.3:
	global_load_dword v2, v22, s[20:21] offset:512
.LBB2731_4:
	s_or_b64 exec, exec, s[2:3]
	v_or_b32_e32 v3, 0x100, v0
	v_cmp_gt_u32_e64 s[2:3], s22, v3
	v_mov_b32_e32 v3, s23
	s_and_saveexec_b64 s[6:7], s[2:3]
	s_cbranch_execz .LBB2731_6
; %bb.5:
	global_load_dword v3, v22, s[20:21] offset:1024
.LBB2731_6:
	s_or_b64 exec, exec, s[6:7]
	v_or_b32_e32 v4, 0x180, v0
	v_cmp_gt_u32_e64 s[18:19], s22, v4
	v_mov_b32_e32 v4, s23
	s_and_saveexec_b64 s[6:7], s[18:19]
	s_cbranch_execz .LBB2731_8
; %bb.7:
	global_load_dword v4, v22, s[20:21] offset:1536
.LBB2731_8:
	s_or_b64 exec, exec, s[6:7]
	v_or_b32_e32 v5, 0x200, v0
	v_cmp_gt_u32_e64 s[6:7], s22, v5
	v_mov_b32_e32 v5, s23
	s_and_saveexec_b64 s[8:9], s[6:7]
	s_cbranch_execz .LBB2731_10
; %bb.9:
	global_load_dword v5, v22, s[20:21] offset:2048
.LBB2731_10:
	s_or_b64 exec, exec, s[8:9]
	v_or_b32_e32 v6, 0x280, v0
	v_cmp_gt_u32_e64 s[8:9], s22, v6
	v_mov_b32_e32 v6, s23
	s_and_saveexec_b64 s[10:11], s[8:9]
	s_cbranch_execz .LBB2731_12
; %bb.11:
	global_load_dword v6, v22, s[20:21] offset:2560
.LBB2731_12:
	s_or_b64 exec, exec, s[10:11]
	v_or_b32_e32 v7, 0x300, v0
	v_cmp_gt_u32_e64 s[10:11], s22, v7
	v_mov_b32_e32 v7, s23
	s_and_saveexec_b64 s[12:13], s[10:11]
	s_cbranch_execz .LBB2731_14
; %bb.13:
	global_load_dword v7, v22, s[20:21] offset:3072
.LBB2731_14:
	s_or_b64 exec, exec, s[12:13]
	v_or_b32_e32 v8, 0x380, v0
	v_cmp_gt_u32_e64 s[12:13], s22, v8
	v_mov_b32_e32 v8, s23
	s_and_saveexec_b64 s[14:15], s[12:13]
	s_cbranch_execz .LBB2731_16
; %bb.15:
	global_load_dword v8, v22, s[20:21] offset:3584
.LBB2731_16:
	s_or_b64 exec, exec, s[14:15]
	v_or_b32_e32 v10, 0x400, v0
	v_cmp_gt_u32_e64 s[14:15], s22, v10
	v_mov_b32_e32 v9, s23
	s_and_saveexec_b64 s[16:17], s[14:15]
	s_cbranch_execz .LBB2731_18
; %bb.17:
	v_lshlrev_b32_e32 v9, 2, v10
	global_load_dword v9, v9, s[20:21]
.LBB2731_18:
	s_or_b64 exec, exec, s[16:17]
	v_or_b32_e32 v11, 0x480, v0
	v_cmp_gt_u32_e64 s[16:17], s22, v11
	v_mov_b32_e32 v10, s23
	s_and_saveexec_b64 s[22:23], s[16:17]
	s_cbranch_execz .LBB2731_20
; %bb.19:
	v_lshlrev_b32_e32 v10, 2, v11
	global_load_dword v10, v10, s[20:21]
.LBB2731_20:
	s_or_b64 exec, exec, s[22:23]
	s_waitcnt vmcnt(0)
	ds_write2st64_b32 v22, v1, v2 offset1:2
	ds_write2st64_b32 v22, v3, v4 offset0:4 offset1:6
	ds_write2st64_b32 v22, v5, v6 offset0:8 offset1:10
	;; [unrolled: 1-line block ×4, first 2 shown]
	v_mad_u32_u24 v1, v0, 36, v22
	s_waitcnt lgkmcnt(0)
	s_barrier
	ds_read2_b64 v[6:9], v1 offset1:1
	ds_read2_b64 v[2:5], v1 offset0:2 offset1:3
	ds_read_b64 v[20:21], v1 offset:32
	v_lshrrev_b32_e32 v12, 3, v0
	v_and_b32_e32 v12, 12, v12
	s_waitcnt lgkmcnt(2)
	v_max_i32_e32 v13, v6, v7
	v_max_i32_e32 v16, v13, v8
	;; [unrolled: 1-line block ×3, first 2 shown]
	s_waitcnt lgkmcnt(1)
	v_max_i32_e32 v10, v17, v2
	v_max_i32_e32 v11, v10, v3
	;; [unrolled: 1-line block ×4, first 2 shown]
	s_waitcnt lgkmcnt(0)
	v_max_i32_e32 v18, v15, v20
	v_max_i32_e32 v19, v18, v21
	v_add_u32_e32 v12, v22, v12
	v_cmp_gt_u32_e64 s[20:21], 64, v0
	s_barrier
	ds_write_b32 v12, v19
	s_waitcnt lgkmcnt(0)
	s_barrier
	s_and_saveexec_b64 s[22:23], s[20:21]
	s_cbranch_execz .LBB2731_22
; %bb.21:
	v_lshlrev_b32_e32 v12, 1, v0
	v_lshrrev_b32_e32 v23, 4, v0
	v_add_lshl_u32 v12, v23, v12, 2
	ds_read2_b32 v[24:25], v12 offset1:1
	v_mbcnt_lo_u32_b32 v23, -1, 0
	v_mbcnt_hi_u32_b32 v23, -1, v23
	v_and_b32_e32 v26, 15, v23
	v_cmp_eq_u32_e64 s[20:21], 0, v26
	s_waitcnt lgkmcnt(0)
	v_max_i32_e32 v25, v24, v25
	; wave barrier
	s_nop 1
	v_mov_b32_dpp v27, v25 row_shr:1 row_mask:0xf bank_mask:0xf
	v_max_i32_e32 v27, v27, v25
	v_cndmask_b32_e64 v25, v27, v25, s[20:21]
	v_cmp_lt_u32_e64 s[20:21], 1, v26
	s_nop 0
	v_mov_b32_dpp v27, v25 row_shr:2 row_mask:0xf bank_mask:0xf
	v_max_i32_e32 v27, v27, v25
	v_cndmask_b32_e64 v25, v25, v27, s[20:21]
	v_cmp_lt_u32_e64 s[20:21], 3, v26
	;; [unrolled: 5-line block ×3, first 2 shown]
	s_nop 0
	v_mov_b32_dpp v27, v25 row_shr:8 row_mask:0xf bank_mask:0xf
	v_max_i32_e32 v27, v27, v25
	v_cndmask_b32_e64 v25, v25, v27, s[20:21]
	v_and_b32_e32 v27, 16, v23
	v_cmp_eq_u32_e64 s[20:21], 0, v27
	v_mov_b32_dpp v26, v25 row_bcast:15 row_mask:0xf bank_mask:0xf
	v_max_i32_e32 v26, v26, v25
	v_cndmask_b32_e64 v25, v26, v25, s[20:21]
	v_cmp_lt_u32_e64 s[20:21], 31, v23
	v_and_b32_e32 v27, 64, v23
	v_mov_b32_dpp v26, v25 row_bcast:31 row_mask:0xf bank_mask:0xf
	v_max_i32_e32 v26, v26, v25
	v_cndmask_b32_e64 v25, v25, v26, s[20:21]
	v_add_u32_e32 v26, -1, v23
	v_cmp_lt_i32_e64 s[20:21], v26, v27
	v_cndmask_b32_e64 v23, v26, v23, s[20:21]
	v_lshlrev_b32_e32 v23, 2, v23
	ds_bpermute_b32 v23, v23, v25
	v_cmp_eq_u32_e64 s[20:21], 0, v0
	s_waitcnt lgkmcnt(0)
	v_max_i32_e32 v23, v23, v24
	v_cndmask_b32_e64 v23, v23, v19, s[20:21]
	ds_write_b32 v12, v23
	; wave barrier
	ds_read_b32 v24, v12 offset:4
	s_waitcnt lgkmcnt(0)
	v_max_i32_e32 v23, v23, v24
	ds_write_b32 v12, v23 offset:4
.LBB2731_22:
	s_or_b64 exec, exec, s[22:23]
	s_load_dwordx2 s[20:21], s[4:5], 0x18
	v_cmp_ne_u32_e64 s[4:5], 0, v0
	v_mov_b32_e32 v23, v19
	s_waitcnt lgkmcnt(0)
	s_barrier
	s_and_saveexec_b64 s[22:23], s[4:5]
	s_cbranch_execz .LBB2731_24
; %bb.23:
	v_add_u32_e32 v12, -1, v0
	v_lshrrev_b32_e32 v23, 5, v12
	v_add_lshl_u32 v12, v23, v12, 2
	ds_read_b32 v23, v12
.LBB2731_24:
	s_or_b64 exec, exec, s[22:23]
	v_mov_b32_e32 v12, v6
	s_and_saveexec_b64 s[22:23], s[4:5]
	s_cbranch_execz .LBB2731_26
; %bb.25:
	s_waitcnt lgkmcnt(0)
	v_max_i32_e32 v12, v23, v6
	v_max_i32_e32 v13, v12, v7
	;; [unrolled: 1-line block ×10, first 2 shown]
	;;#ASMSTART
	;;#ASMEND
.LBB2731_26:
	s_or_b64 exec, exec, s[22:23]
	s_movk_i32 s4, 0xffdc
	v_mad_i32_i24 v0, v0, s4, v1
	s_waitcnt lgkmcnt(0)
	s_barrier
	ds_write2_b64 v1, v[12:13], v[16:17] offset1:1
	ds_write2_b64 v1, v[10:11], v[14:15] offset0:2 offset1:3
	ds_write_b64 v1, v[18:19] offset:32
	s_waitcnt lgkmcnt(0)
	s_barrier
	ds_read2st64_b32 v[8:9], v0 offset0:2 offset1:4
	ds_read2st64_b32 v[6:7], v0 offset0:6 offset1:8
	;; [unrolled: 1-line block ×4, first 2 shown]
	ds_read_b32 v10, v22 offset:4096
	v_mov_b32_e32 v3, s21
	v_add_co_u32_e64 v2, s[4:5], s20, v22
	v_addc_co_u32_e64 v3, s[4:5], 0, v3, s[4:5]
	s_and_saveexec_b64 s[4:5], vcc
	s_cbranch_execnz .LBB2731_37
; %bb.27:
	s_or_b64 exec, exec, s[4:5]
	s_and_saveexec_b64 s[4:5], s[0:1]
	s_cbranch_execnz .LBB2731_38
.LBB2731_28:
	s_or_b64 exec, exec, s[4:5]
	s_and_saveexec_b64 s[0:1], s[2:3]
	s_cbranch_execnz .LBB2731_39
.LBB2731_29:
	s_or_b64 exec, exec, s[0:1]
	s_and_saveexec_b64 s[0:1], s[18:19]
	s_cbranch_execnz .LBB2731_40
.LBB2731_30:
	s_or_b64 exec, exec, s[0:1]
	s_and_saveexec_b64 s[0:1], s[6:7]
	s_cbranch_execnz .LBB2731_41
.LBB2731_31:
	s_or_b64 exec, exec, s[0:1]
	s_and_saveexec_b64 s[0:1], s[8:9]
	s_cbranch_execnz .LBB2731_42
.LBB2731_32:
	s_or_b64 exec, exec, s[0:1]
	s_and_saveexec_b64 s[0:1], s[10:11]
	s_cbranch_execnz .LBB2731_43
.LBB2731_33:
	s_or_b64 exec, exec, s[0:1]
	s_and_saveexec_b64 s[0:1], s[12:13]
	s_cbranch_execnz .LBB2731_44
.LBB2731_34:
	s_or_b64 exec, exec, s[0:1]
	s_and_saveexec_b64 s[0:1], s[14:15]
	s_cbranch_execnz .LBB2731_45
.LBB2731_35:
	s_or_b64 exec, exec, s[0:1]
	s_and_saveexec_b64 s[0:1], s[16:17]
	s_cbranch_execnz .LBB2731_46
.LBB2731_36:
	s_endpgm
.LBB2731_37:
	ds_read_b32 v11, v22
	s_waitcnt lgkmcnt(0)
	global_store_dword v[2:3], v11, off
	s_or_b64 exec, exec, s[4:5]
	s_and_saveexec_b64 s[4:5], s[0:1]
	s_cbranch_execz .LBB2731_28
.LBB2731_38:
	s_waitcnt lgkmcnt(4)
	global_store_dword v[2:3], v8, off offset:512
	s_or_b64 exec, exec, s[4:5]
	s_and_saveexec_b64 s[0:1], s[2:3]
	s_cbranch_execz .LBB2731_29
.LBB2731_39:
	s_waitcnt lgkmcnt(4)
	global_store_dword v[2:3], v9, off offset:1024
	s_or_b64 exec, exec, s[0:1]
	s_and_saveexec_b64 s[0:1], s[18:19]
	s_cbranch_execz .LBB2731_30
.LBB2731_40:
	s_waitcnt lgkmcnt(3)
	global_store_dword v[2:3], v6, off offset:1536
	s_or_b64 exec, exec, s[0:1]
	s_and_saveexec_b64 s[0:1], s[6:7]
	s_cbranch_execz .LBB2731_31
.LBB2731_41:
	s_waitcnt lgkmcnt(3)
	global_store_dword v[2:3], v7, off offset:2048
	s_or_b64 exec, exec, s[0:1]
	s_and_saveexec_b64 s[0:1], s[8:9]
	s_cbranch_execz .LBB2731_32
.LBB2731_42:
	s_waitcnt lgkmcnt(2)
	global_store_dword v[2:3], v4, off offset:2560
	s_or_b64 exec, exec, s[0:1]
	s_and_saveexec_b64 s[0:1], s[10:11]
	s_cbranch_execz .LBB2731_33
.LBB2731_43:
	s_waitcnt lgkmcnt(2)
	global_store_dword v[2:3], v5, off offset:3072
	s_or_b64 exec, exec, s[0:1]
	s_and_saveexec_b64 s[0:1], s[12:13]
	s_cbranch_execz .LBB2731_34
.LBB2731_44:
	s_waitcnt lgkmcnt(1)
	global_store_dword v[2:3], v0, off offset:3584
	s_or_b64 exec, exec, s[0:1]
	s_and_saveexec_b64 s[0:1], s[14:15]
	s_cbranch_execz .LBB2731_35
.LBB2731_45:
	s_waitcnt lgkmcnt(2)
	v_add_co_u32_e32 v4, vcc, 0x1000, v2
	v_addc_co_u32_e32 v5, vcc, 0, v3, vcc
	s_waitcnt lgkmcnt(0)
	global_store_dword v[4:5], v10, off
	s_or_b64 exec, exec, s[0:1]
	s_and_saveexec_b64 s[0:1], s[16:17]
	s_cbranch_execz .LBB2731_36
.LBB2731_46:
	v_add_co_u32_e32 v2, vcc, 0x1000, v2
	v_addc_co_u32_e32 v3, vcc, 0, v3, vcc
	s_waitcnt lgkmcnt(1)
	global_store_dword v[2:3], v1, off offset:512
	s_endpgm
	.section	.rodata,"a",@progbits
	.p2align	6, 0x0
	.amdhsa_kernel _ZN7rocprim17ROCPRIM_400000_NS6detail17trampoline_kernelINS0_14default_configENS1_20scan_config_selectorIiEEZZNS1_9scan_implILNS1_25lookback_scan_determinismE0ELb0ELb0ES3_N6thrust23THRUST_200600_302600_NS6detail15normal_iteratorINS9_10device_ptrIiEEEESE_i11max_functorIiEiEEDaPvRmT3_T4_T5_mT6_P12ihipStream_tbENKUlT_T0_E_clISt17integral_constantIbLb1EESU_EEDaSP_SQ_EUlSP_E0_NS1_11comp_targetILNS1_3genE4ELNS1_11target_archE910ELNS1_3gpuE8ELNS1_3repE0EEENS1_30default_config_static_selectorELNS0_4arch9wavefront6targetE1EEEvT1_
		.amdhsa_group_segment_fixed_size 5120
		.amdhsa_private_segment_fixed_size 0
		.amdhsa_kernarg_size 32
		.amdhsa_user_sgpr_count 6
		.amdhsa_user_sgpr_private_segment_buffer 1
		.amdhsa_user_sgpr_dispatch_ptr 0
		.amdhsa_user_sgpr_queue_ptr 0
		.amdhsa_user_sgpr_kernarg_segment_ptr 1
		.amdhsa_user_sgpr_dispatch_id 0
		.amdhsa_user_sgpr_flat_scratch_init 0
		.amdhsa_user_sgpr_kernarg_preload_length 0
		.amdhsa_user_sgpr_kernarg_preload_offset 0
		.amdhsa_user_sgpr_private_segment_size 0
		.amdhsa_uses_dynamic_stack 0
		.amdhsa_system_sgpr_private_segment_wavefront_offset 0
		.amdhsa_system_sgpr_workgroup_id_x 1
		.amdhsa_system_sgpr_workgroup_id_y 0
		.amdhsa_system_sgpr_workgroup_id_z 0
		.amdhsa_system_sgpr_workgroup_info 0
		.amdhsa_system_vgpr_workitem_id 0
		.amdhsa_next_free_vgpr 28
		.amdhsa_next_free_sgpr 24
		.amdhsa_accum_offset 28
		.amdhsa_reserve_vcc 1
		.amdhsa_reserve_flat_scratch 0
		.amdhsa_float_round_mode_32 0
		.amdhsa_float_round_mode_16_64 0
		.amdhsa_float_denorm_mode_32 3
		.amdhsa_float_denorm_mode_16_64 3
		.amdhsa_dx10_clamp 1
		.amdhsa_ieee_mode 1
		.amdhsa_fp16_overflow 0
		.amdhsa_tg_split 0
		.amdhsa_exception_fp_ieee_invalid_op 0
		.amdhsa_exception_fp_denorm_src 0
		.amdhsa_exception_fp_ieee_div_zero 0
		.amdhsa_exception_fp_ieee_overflow 0
		.amdhsa_exception_fp_ieee_underflow 0
		.amdhsa_exception_fp_ieee_inexact 0
		.amdhsa_exception_int_div_zero 0
	.end_amdhsa_kernel
	.section	.text._ZN7rocprim17ROCPRIM_400000_NS6detail17trampoline_kernelINS0_14default_configENS1_20scan_config_selectorIiEEZZNS1_9scan_implILNS1_25lookback_scan_determinismE0ELb0ELb0ES3_N6thrust23THRUST_200600_302600_NS6detail15normal_iteratorINS9_10device_ptrIiEEEESE_i11max_functorIiEiEEDaPvRmT3_T4_T5_mT6_P12ihipStream_tbENKUlT_T0_E_clISt17integral_constantIbLb1EESU_EEDaSP_SQ_EUlSP_E0_NS1_11comp_targetILNS1_3genE4ELNS1_11target_archE910ELNS1_3gpuE8ELNS1_3repE0EEENS1_30default_config_static_selectorELNS0_4arch9wavefront6targetE1EEEvT1_,"axG",@progbits,_ZN7rocprim17ROCPRIM_400000_NS6detail17trampoline_kernelINS0_14default_configENS1_20scan_config_selectorIiEEZZNS1_9scan_implILNS1_25lookback_scan_determinismE0ELb0ELb0ES3_N6thrust23THRUST_200600_302600_NS6detail15normal_iteratorINS9_10device_ptrIiEEEESE_i11max_functorIiEiEEDaPvRmT3_T4_T5_mT6_P12ihipStream_tbENKUlT_T0_E_clISt17integral_constantIbLb1EESU_EEDaSP_SQ_EUlSP_E0_NS1_11comp_targetILNS1_3genE4ELNS1_11target_archE910ELNS1_3gpuE8ELNS1_3repE0EEENS1_30default_config_static_selectorELNS0_4arch9wavefront6targetE1EEEvT1_,comdat
.Lfunc_end2731:
	.size	_ZN7rocprim17ROCPRIM_400000_NS6detail17trampoline_kernelINS0_14default_configENS1_20scan_config_selectorIiEEZZNS1_9scan_implILNS1_25lookback_scan_determinismE0ELb0ELb0ES3_N6thrust23THRUST_200600_302600_NS6detail15normal_iteratorINS9_10device_ptrIiEEEESE_i11max_functorIiEiEEDaPvRmT3_T4_T5_mT6_P12ihipStream_tbENKUlT_T0_E_clISt17integral_constantIbLb1EESU_EEDaSP_SQ_EUlSP_E0_NS1_11comp_targetILNS1_3genE4ELNS1_11target_archE910ELNS1_3gpuE8ELNS1_3repE0EEENS1_30default_config_static_selectorELNS0_4arch9wavefront6targetE1EEEvT1_, .Lfunc_end2731-_ZN7rocprim17ROCPRIM_400000_NS6detail17trampoline_kernelINS0_14default_configENS1_20scan_config_selectorIiEEZZNS1_9scan_implILNS1_25lookback_scan_determinismE0ELb0ELb0ES3_N6thrust23THRUST_200600_302600_NS6detail15normal_iteratorINS9_10device_ptrIiEEEESE_i11max_functorIiEiEEDaPvRmT3_T4_T5_mT6_P12ihipStream_tbENKUlT_T0_E_clISt17integral_constantIbLb1EESU_EEDaSP_SQ_EUlSP_E0_NS1_11comp_targetILNS1_3genE4ELNS1_11target_archE910ELNS1_3gpuE8ELNS1_3repE0EEENS1_30default_config_static_selectorELNS0_4arch9wavefront6targetE1EEEvT1_
                                        ; -- End function
	.section	.AMDGPU.csdata,"",@progbits
; Kernel info:
; codeLenInByte = 1564
; NumSgprs: 28
; NumVgprs: 28
; NumAgprs: 0
; TotalNumVgprs: 28
; ScratchSize: 0
; MemoryBound: 0
; FloatMode: 240
; IeeeMode: 1
; LDSByteSize: 5120 bytes/workgroup (compile time only)
; SGPRBlocks: 3
; VGPRBlocks: 3
; NumSGPRsForWavesPerEU: 28
; NumVGPRsForWavesPerEU: 28
; AccumOffset: 28
; Occupancy: 6
; WaveLimiterHint : 0
; COMPUTE_PGM_RSRC2:SCRATCH_EN: 0
; COMPUTE_PGM_RSRC2:USER_SGPR: 6
; COMPUTE_PGM_RSRC2:TRAP_HANDLER: 0
; COMPUTE_PGM_RSRC2:TGID_X_EN: 1
; COMPUTE_PGM_RSRC2:TGID_Y_EN: 0
; COMPUTE_PGM_RSRC2:TGID_Z_EN: 0
; COMPUTE_PGM_RSRC2:TIDIG_COMP_CNT: 0
; COMPUTE_PGM_RSRC3_GFX90A:ACCUM_OFFSET: 6
; COMPUTE_PGM_RSRC3_GFX90A:TG_SPLIT: 0
	.section	.text._ZN7rocprim17ROCPRIM_400000_NS6detail17trampoline_kernelINS0_14default_configENS1_20scan_config_selectorIiEEZZNS1_9scan_implILNS1_25lookback_scan_determinismE0ELb0ELb0ES3_N6thrust23THRUST_200600_302600_NS6detail15normal_iteratorINS9_10device_ptrIiEEEESE_i11max_functorIiEiEEDaPvRmT3_T4_T5_mT6_P12ihipStream_tbENKUlT_T0_E_clISt17integral_constantIbLb1EESU_EEDaSP_SQ_EUlSP_E0_NS1_11comp_targetILNS1_3genE3ELNS1_11target_archE908ELNS1_3gpuE7ELNS1_3repE0EEENS1_30default_config_static_selectorELNS0_4arch9wavefront6targetE1EEEvT1_,"axG",@progbits,_ZN7rocprim17ROCPRIM_400000_NS6detail17trampoline_kernelINS0_14default_configENS1_20scan_config_selectorIiEEZZNS1_9scan_implILNS1_25lookback_scan_determinismE0ELb0ELb0ES3_N6thrust23THRUST_200600_302600_NS6detail15normal_iteratorINS9_10device_ptrIiEEEESE_i11max_functorIiEiEEDaPvRmT3_T4_T5_mT6_P12ihipStream_tbENKUlT_T0_E_clISt17integral_constantIbLb1EESU_EEDaSP_SQ_EUlSP_E0_NS1_11comp_targetILNS1_3genE3ELNS1_11target_archE908ELNS1_3gpuE7ELNS1_3repE0EEENS1_30default_config_static_selectorELNS0_4arch9wavefront6targetE1EEEvT1_,comdat
	.protected	_ZN7rocprim17ROCPRIM_400000_NS6detail17trampoline_kernelINS0_14default_configENS1_20scan_config_selectorIiEEZZNS1_9scan_implILNS1_25lookback_scan_determinismE0ELb0ELb0ES3_N6thrust23THRUST_200600_302600_NS6detail15normal_iteratorINS9_10device_ptrIiEEEESE_i11max_functorIiEiEEDaPvRmT3_T4_T5_mT6_P12ihipStream_tbENKUlT_T0_E_clISt17integral_constantIbLb1EESU_EEDaSP_SQ_EUlSP_E0_NS1_11comp_targetILNS1_3genE3ELNS1_11target_archE908ELNS1_3gpuE7ELNS1_3repE0EEENS1_30default_config_static_selectorELNS0_4arch9wavefront6targetE1EEEvT1_ ; -- Begin function _ZN7rocprim17ROCPRIM_400000_NS6detail17trampoline_kernelINS0_14default_configENS1_20scan_config_selectorIiEEZZNS1_9scan_implILNS1_25lookback_scan_determinismE0ELb0ELb0ES3_N6thrust23THRUST_200600_302600_NS6detail15normal_iteratorINS9_10device_ptrIiEEEESE_i11max_functorIiEiEEDaPvRmT3_T4_T5_mT6_P12ihipStream_tbENKUlT_T0_E_clISt17integral_constantIbLb1EESU_EEDaSP_SQ_EUlSP_E0_NS1_11comp_targetILNS1_3genE3ELNS1_11target_archE908ELNS1_3gpuE7ELNS1_3repE0EEENS1_30default_config_static_selectorELNS0_4arch9wavefront6targetE1EEEvT1_
	.globl	_ZN7rocprim17ROCPRIM_400000_NS6detail17trampoline_kernelINS0_14default_configENS1_20scan_config_selectorIiEEZZNS1_9scan_implILNS1_25lookback_scan_determinismE0ELb0ELb0ES3_N6thrust23THRUST_200600_302600_NS6detail15normal_iteratorINS9_10device_ptrIiEEEESE_i11max_functorIiEiEEDaPvRmT3_T4_T5_mT6_P12ihipStream_tbENKUlT_T0_E_clISt17integral_constantIbLb1EESU_EEDaSP_SQ_EUlSP_E0_NS1_11comp_targetILNS1_3genE3ELNS1_11target_archE908ELNS1_3gpuE7ELNS1_3repE0EEENS1_30default_config_static_selectorELNS0_4arch9wavefront6targetE1EEEvT1_
	.p2align	8
	.type	_ZN7rocprim17ROCPRIM_400000_NS6detail17trampoline_kernelINS0_14default_configENS1_20scan_config_selectorIiEEZZNS1_9scan_implILNS1_25lookback_scan_determinismE0ELb0ELb0ES3_N6thrust23THRUST_200600_302600_NS6detail15normal_iteratorINS9_10device_ptrIiEEEESE_i11max_functorIiEiEEDaPvRmT3_T4_T5_mT6_P12ihipStream_tbENKUlT_T0_E_clISt17integral_constantIbLb1EESU_EEDaSP_SQ_EUlSP_E0_NS1_11comp_targetILNS1_3genE3ELNS1_11target_archE908ELNS1_3gpuE7ELNS1_3repE0EEENS1_30default_config_static_selectorELNS0_4arch9wavefront6targetE1EEEvT1_,@function
_ZN7rocprim17ROCPRIM_400000_NS6detail17trampoline_kernelINS0_14default_configENS1_20scan_config_selectorIiEEZZNS1_9scan_implILNS1_25lookback_scan_determinismE0ELb0ELb0ES3_N6thrust23THRUST_200600_302600_NS6detail15normal_iteratorINS9_10device_ptrIiEEEESE_i11max_functorIiEiEEDaPvRmT3_T4_T5_mT6_P12ihipStream_tbENKUlT_T0_E_clISt17integral_constantIbLb1EESU_EEDaSP_SQ_EUlSP_E0_NS1_11comp_targetILNS1_3genE3ELNS1_11target_archE908ELNS1_3gpuE7ELNS1_3repE0EEENS1_30default_config_static_selectorELNS0_4arch9wavefront6targetE1EEEvT1_: ; @_ZN7rocprim17ROCPRIM_400000_NS6detail17trampoline_kernelINS0_14default_configENS1_20scan_config_selectorIiEEZZNS1_9scan_implILNS1_25lookback_scan_determinismE0ELb0ELb0ES3_N6thrust23THRUST_200600_302600_NS6detail15normal_iteratorINS9_10device_ptrIiEEEESE_i11max_functorIiEiEEDaPvRmT3_T4_T5_mT6_P12ihipStream_tbENKUlT_T0_E_clISt17integral_constantIbLb1EESU_EEDaSP_SQ_EUlSP_E0_NS1_11comp_targetILNS1_3genE3ELNS1_11target_archE908ELNS1_3gpuE7ELNS1_3repE0EEENS1_30default_config_static_selectorELNS0_4arch9wavefront6targetE1EEEvT1_
; %bb.0:
	.section	.rodata,"a",@progbits
	.p2align	6, 0x0
	.amdhsa_kernel _ZN7rocprim17ROCPRIM_400000_NS6detail17trampoline_kernelINS0_14default_configENS1_20scan_config_selectorIiEEZZNS1_9scan_implILNS1_25lookback_scan_determinismE0ELb0ELb0ES3_N6thrust23THRUST_200600_302600_NS6detail15normal_iteratorINS9_10device_ptrIiEEEESE_i11max_functorIiEiEEDaPvRmT3_T4_T5_mT6_P12ihipStream_tbENKUlT_T0_E_clISt17integral_constantIbLb1EESU_EEDaSP_SQ_EUlSP_E0_NS1_11comp_targetILNS1_3genE3ELNS1_11target_archE908ELNS1_3gpuE7ELNS1_3repE0EEENS1_30default_config_static_selectorELNS0_4arch9wavefront6targetE1EEEvT1_
		.amdhsa_group_segment_fixed_size 0
		.amdhsa_private_segment_fixed_size 0
		.amdhsa_kernarg_size 32
		.amdhsa_user_sgpr_count 6
		.amdhsa_user_sgpr_private_segment_buffer 1
		.amdhsa_user_sgpr_dispatch_ptr 0
		.amdhsa_user_sgpr_queue_ptr 0
		.amdhsa_user_sgpr_kernarg_segment_ptr 1
		.amdhsa_user_sgpr_dispatch_id 0
		.amdhsa_user_sgpr_flat_scratch_init 0
		.amdhsa_user_sgpr_kernarg_preload_length 0
		.amdhsa_user_sgpr_kernarg_preload_offset 0
		.amdhsa_user_sgpr_private_segment_size 0
		.amdhsa_uses_dynamic_stack 0
		.amdhsa_system_sgpr_private_segment_wavefront_offset 0
		.amdhsa_system_sgpr_workgroup_id_x 1
		.amdhsa_system_sgpr_workgroup_id_y 0
		.amdhsa_system_sgpr_workgroup_id_z 0
		.amdhsa_system_sgpr_workgroup_info 0
		.amdhsa_system_vgpr_workitem_id 0
		.amdhsa_next_free_vgpr 1
		.amdhsa_next_free_sgpr 0
		.amdhsa_accum_offset 4
		.amdhsa_reserve_vcc 0
		.amdhsa_reserve_flat_scratch 0
		.amdhsa_float_round_mode_32 0
		.amdhsa_float_round_mode_16_64 0
		.amdhsa_float_denorm_mode_32 3
		.amdhsa_float_denorm_mode_16_64 3
		.amdhsa_dx10_clamp 1
		.amdhsa_ieee_mode 1
		.amdhsa_fp16_overflow 0
		.amdhsa_tg_split 0
		.amdhsa_exception_fp_ieee_invalid_op 0
		.amdhsa_exception_fp_denorm_src 0
		.amdhsa_exception_fp_ieee_div_zero 0
		.amdhsa_exception_fp_ieee_overflow 0
		.amdhsa_exception_fp_ieee_underflow 0
		.amdhsa_exception_fp_ieee_inexact 0
		.amdhsa_exception_int_div_zero 0
	.end_amdhsa_kernel
	.section	.text._ZN7rocprim17ROCPRIM_400000_NS6detail17trampoline_kernelINS0_14default_configENS1_20scan_config_selectorIiEEZZNS1_9scan_implILNS1_25lookback_scan_determinismE0ELb0ELb0ES3_N6thrust23THRUST_200600_302600_NS6detail15normal_iteratorINS9_10device_ptrIiEEEESE_i11max_functorIiEiEEDaPvRmT3_T4_T5_mT6_P12ihipStream_tbENKUlT_T0_E_clISt17integral_constantIbLb1EESU_EEDaSP_SQ_EUlSP_E0_NS1_11comp_targetILNS1_3genE3ELNS1_11target_archE908ELNS1_3gpuE7ELNS1_3repE0EEENS1_30default_config_static_selectorELNS0_4arch9wavefront6targetE1EEEvT1_,"axG",@progbits,_ZN7rocprim17ROCPRIM_400000_NS6detail17trampoline_kernelINS0_14default_configENS1_20scan_config_selectorIiEEZZNS1_9scan_implILNS1_25lookback_scan_determinismE0ELb0ELb0ES3_N6thrust23THRUST_200600_302600_NS6detail15normal_iteratorINS9_10device_ptrIiEEEESE_i11max_functorIiEiEEDaPvRmT3_T4_T5_mT6_P12ihipStream_tbENKUlT_T0_E_clISt17integral_constantIbLb1EESU_EEDaSP_SQ_EUlSP_E0_NS1_11comp_targetILNS1_3genE3ELNS1_11target_archE908ELNS1_3gpuE7ELNS1_3repE0EEENS1_30default_config_static_selectorELNS0_4arch9wavefront6targetE1EEEvT1_,comdat
.Lfunc_end2732:
	.size	_ZN7rocprim17ROCPRIM_400000_NS6detail17trampoline_kernelINS0_14default_configENS1_20scan_config_selectorIiEEZZNS1_9scan_implILNS1_25lookback_scan_determinismE0ELb0ELb0ES3_N6thrust23THRUST_200600_302600_NS6detail15normal_iteratorINS9_10device_ptrIiEEEESE_i11max_functorIiEiEEDaPvRmT3_T4_T5_mT6_P12ihipStream_tbENKUlT_T0_E_clISt17integral_constantIbLb1EESU_EEDaSP_SQ_EUlSP_E0_NS1_11comp_targetILNS1_3genE3ELNS1_11target_archE908ELNS1_3gpuE7ELNS1_3repE0EEENS1_30default_config_static_selectorELNS0_4arch9wavefront6targetE1EEEvT1_, .Lfunc_end2732-_ZN7rocprim17ROCPRIM_400000_NS6detail17trampoline_kernelINS0_14default_configENS1_20scan_config_selectorIiEEZZNS1_9scan_implILNS1_25lookback_scan_determinismE0ELb0ELb0ES3_N6thrust23THRUST_200600_302600_NS6detail15normal_iteratorINS9_10device_ptrIiEEEESE_i11max_functorIiEiEEDaPvRmT3_T4_T5_mT6_P12ihipStream_tbENKUlT_T0_E_clISt17integral_constantIbLb1EESU_EEDaSP_SQ_EUlSP_E0_NS1_11comp_targetILNS1_3genE3ELNS1_11target_archE908ELNS1_3gpuE7ELNS1_3repE0EEENS1_30default_config_static_selectorELNS0_4arch9wavefront6targetE1EEEvT1_
                                        ; -- End function
	.section	.AMDGPU.csdata,"",@progbits
; Kernel info:
; codeLenInByte = 0
; NumSgprs: 4
; NumVgprs: 0
; NumAgprs: 0
; TotalNumVgprs: 0
; ScratchSize: 0
; MemoryBound: 0
; FloatMode: 240
; IeeeMode: 1
; LDSByteSize: 0 bytes/workgroup (compile time only)
; SGPRBlocks: 0
; VGPRBlocks: 0
; NumSGPRsForWavesPerEU: 4
; NumVGPRsForWavesPerEU: 1
; AccumOffset: 4
; Occupancy: 8
; WaveLimiterHint : 0
; COMPUTE_PGM_RSRC2:SCRATCH_EN: 0
; COMPUTE_PGM_RSRC2:USER_SGPR: 6
; COMPUTE_PGM_RSRC2:TRAP_HANDLER: 0
; COMPUTE_PGM_RSRC2:TGID_X_EN: 1
; COMPUTE_PGM_RSRC2:TGID_Y_EN: 0
; COMPUTE_PGM_RSRC2:TGID_Z_EN: 0
; COMPUTE_PGM_RSRC2:TIDIG_COMP_CNT: 0
; COMPUTE_PGM_RSRC3_GFX90A:ACCUM_OFFSET: 0
; COMPUTE_PGM_RSRC3_GFX90A:TG_SPLIT: 0
	.section	.text._ZN7rocprim17ROCPRIM_400000_NS6detail17trampoline_kernelINS0_14default_configENS1_20scan_config_selectorIiEEZZNS1_9scan_implILNS1_25lookback_scan_determinismE0ELb0ELb0ES3_N6thrust23THRUST_200600_302600_NS6detail15normal_iteratorINS9_10device_ptrIiEEEESE_i11max_functorIiEiEEDaPvRmT3_T4_T5_mT6_P12ihipStream_tbENKUlT_T0_E_clISt17integral_constantIbLb1EESU_EEDaSP_SQ_EUlSP_E0_NS1_11comp_targetILNS1_3genE2ELNS1_11target_archE906ELNS1_3gpuE6ELNS1_3repE0EEENS1_30default_config_static_selectorELNS0_4arch9wavefront6targetE1EEEvT1_,"axG",@progbits,_ZN7rocprim17ROCPRIM_400000_NS6detail17trampoline_kernelINS0_14default_configENS1_20scan_config_selectorIiEEZZNS1_9scan_implILNS1_25lookback_scan_determinismE0ELb0ELb0ES3_N6thrust23THRUST_200600_302600_NS6detail15normal_iteratorINS9_10device_ptrIiEEEESE_i11max_functorIiEiEEDaPvRmT3_T4_T5_mT6_P12ihipStream_tbENKUlT_T0_E_clISt17integral_constantIbLb1EESU_EEDaSP_SQ_EUlSP_E0_NS1_11comp_targetILNS1_3genE2ELNS1_11target_archE906ELNS1_3gpuE6ELNS1_3repE0EEENS1_30default_config_static_selectorELNS0_4arch9wavefront6targetE1EEEvT1_,comdat
	.protected	_ZN7rocprim17ROCPRIM_400000_NS6detail17trampoline_kernelINS0_14default_configENS1_20scan_config_selectorIiEEZZNS1_9scan_implILNS1_25lookback_scan_determinismE0ELb0ELb0ES3_N6thrust23THRUST_200600_302600_NS6detail15normal_iteratorINS9_10device_ptrIiEEEESE_i11max_functorIiEiEEDaPvRmT3_T4_T5_mT6_P12ihipStream_tbENKUlT_T0_E_clISt17integral_constantIbLb1EESU_EEDaSP_SQ_EUlSP_E0_NS1_11comp_targetILNS1_3genE2ELNS1_11target_archE906ELNS1_3gpuE6ELNS1_3repE0EEENS1_30default_config_static_selectorELNS0_4arch9wavefront6targetE1EEEvT1_ ; -- Begin function _ZN7rocprim17ROCPRIM_400000_NS6detail17trampoline_kernelINS0_14default_configENS1_20scan_config_selectorIiEEZZNS1_9scan_implILNS1_25lookback_scan_determinismE0ELb0ELb0ES3_N6thrust23THRUST_200600_302600_NS6detail15normal_iteratorINS9_10device_ptrIiEEEESE_i11max_functorIiEiEEDaPvRmT3_T4_T5_mT6_P12ihipStream_tbENKUlT_T0_E_clISt17integral_constantIbLb1EESU_EEDaSP_SQ_EUlSP_E0_NS1_11comp_targetILNS1_3genE2ELNS1_11target_archE906ELNS1_3gpuE6ELNS1_3repE0EEENS1_30default_config_static_selectorELNS0_4arch9wavefront6targetE1EEEvT1_
	.globl	_ZN7rocprim17ROCPRIM_400000_NS6detail17trampoline_kernelINS0_14default_configENS1_20scan_config_selectorIiEEZZNS1_9scan_implILNS1_25lookback_scan_determinismE0ELb0ELb0ES3_N6thrust23THRUST_200600_302600_NS6detail15normal_iteratorINS9_10device_ptrIiEEEESE_i11max_functorIiEiEEDaPvRmT3_T4_T5_mT6_P12ihipStream_tbENKUlT_T0_E_clISt17integral_constantIbLb1EESU_EEDaSP_SQ_EUlSP_E0_NS1_11comp_targetILNS1_3genE2ELNS1_11target_archE906ELNS1_3gpuE6ELNS1_3repE0EEENS1_30default_config_static_selectorELNS0_4arch9wavefront6targetE1EEEvT1_
	.p2align	8
	.type	_ZN7rocprim17ROCPRIM_400000_NS6detail17trampoline_kernelINS0_14default_configENS1_20scan_config_selectorIiEEZZNS1_9scan_implILNS1_25lookback_scan_determinismE0ELb0ELb0ES3_N6thrust23THRUST_200600_302600_NS6detail15normal_iteratorINS9_10device_ptrIiEEEESE_i11max_functorIiEiEEDaPvRmT3_T4_T5_mT6_P12ihipStream_tbENKUlT_T0_E_clISt17integral_constantIbLb1EESU_EEDaSP_SQ_EUlSP_E0_NS1_11comp_targetILNS1_3genE2ELNS1_11target_archE906ELNS1_3gpuE6ELNS1_3repE0EEENS1_30default_config_static_selectorELNS0_4arch9wavefront6targetE1EEEvT1_,@function
_ZN7rocprim17ROCPRIM_400000_NS6detail17trampoline_kernelINS0_14default_configENS1_20scan_config_selectorIiEEZZNS1_9scan_implILNS1_25lookback_scan_determinismE0ELb0ELb0ES3_N6thrust23THRUST_200600_302600_NS6detail15normal_iteratorINS9_10device_ptrIiEEEESE_i11max_functorIiEiEEDaPvRmT3_T4_T5_mT6_P12ihipStream_tbENKUlT_T0_E_clISt17integral_constantIbLb1EESU_EEDaSP_SQ_EUlSP_E0_NS1_11comp_targetILNS1_3genE2ELNS1_11target_archE906ELNS1_3gpuE6ELNS1_3repE0EEENS1_30default_config_static_selectorELNS0_4arch9wavefront6targetE1EEEvT1_: ; @_ZN7rocprim17ROCPRIM_400000_NS6detail17trampoline_kernelINS0_14default_configENS1_20scan_config_selectorIiEEZZNS1_9scan_implILNS1_25lookback_scan_determinismE0ELb0ELb0ES3_N6thrust23THRUST_200600_302600_NS6detail15normal_iteratorINS9_10device_ptrIiEEEESE_i11max_functorIiEiEEDaPvRmT3_T4_T5_mT6_P12ihipStream_tbENKUlT_T0_E_clISt17integral_constantIbLb1EESU_EEDaSP_SQ_EUlSP_E0_NS1_11comp_targetILNS1_3genE2ELNS1_11target_archE906ELNS1_3gpuE6ELNS1_3repE0EEENS1_30default_config_static_selectorELNS0_4arch9wavefront6targetE1EEEvT1_
; %bb.0:
	.section	.rodata,"a",@progbits
	.p2align	6, 0x0
	.amdhsa_kernel _ZN7rocprim17ROCPRIM_400000_NS6detail17trampoline_kernelINS0_14default_configENS1_20scan_config_selectorIiEEZZNS1_9scan_implILNS1_25lookback_scan_determinismE0ELb0ELb0ES3_N6thrust23THRUST_200600_302600_NS6detail15normal_iteratorINS9_10device_ptrIiEEEESE_i11max_functorIiEiEEDaPvRmT3_T4_T5_mT6_P12ihipStream_tbENKUlT_T0_E_clISt17integral_constantIbLb1EESU_EEDaSP_SQ_EUlSP_E0_NS1_11comp_targetILNS1_3genE2ELNS1_11target_archE906ELNS1_3gpuE6ELNS1_3repE0EEENS1_30default_config_static_selectorELNS0_4arch9wavefront6targetE1EEEvT1_
		.amdhsa_group_segment_fixed_size 0
		.amdhsa_private_segment_fixed_size 0
		.amdhsa_kernarg_size 32
		.amdhsa_user_sgpr_count 6
		.amdhsa_user_sgpr_private_segment_buffer 1
		.amdhsa_user_sgpr_dispatch_ptr 0
		.amdhsa_user_sgpr_queue_ptr 0
		.amdhsa_user_sgpr_kernarg_segment_ptr 1
		.amdhsa_user_sgpr_dispatch_id 0
		.amdhsa_user_sgpr_flat_scratch_init 0
		.amdhsa_user_sgpr_kernarg_preload_length 0
		.amdhsa_user_sgpr_kernarg_preload_offset 0
		.amdhsa_user_sgpr_private_segment_size 0
		.amdhsa_uses_dynamic_stack 0
		.amdhsa_system_sgpr_private_segment_wavefront_offset 0
		.amdhsa_system_sgpr_workgroup_id_x 1
		.amdhsa_system_sgpr_workgroup_id_y 0
		.amdhsa_system_sgpr_workgroup_id_z 0
		.amdhsa_system_sgpr_workgroup_info 0
		.amdhsa_system_vgpr_workitem_id 0
		.amdhsa_next_free_vgpr 1
		.amdhsa_next_free_sgpr 0
		.amdhsa_accum_offset 4
		.amdhsa_reserve_vcc 0
		.amdhsa_reserve_flat_scratch 0
		.amdhsa_float_round_mode_32 0
		.amdhsa_float_round_mode_16_64 0
		.amdhsa_float_denorm_mode_32 3
		.amdhsa_float_denorm_mode_16_64 3
		.amdhsa_dx10_clamp 1
		.amdhsa_ieee_mode 1
		.amdhsa_fp16_overflow 0
		.amdhsa_tg_split 0
		.amdhsa_exception_fp_ieee_invalid_op 0
		.amdhsa_exception_fp_denorm_src 0
		.amdhsa_exception_fp_ieee_div_zero 0
		.amdhsa_exception_fp_ieee_overflow 0
		.amdhsa_exception_fp_ieee_underflow 0
		.amdhsa_exception_fp_ieee_inexact 0
		.amdhsa_exception_int_div_zero 0
	.end_amdhsa_kernel
	.section	.text._ZN7rocprim17ROCPRIM_400000_NS6detail17trampoline_kernelINS0_14default_configENS1_20scan_config_selectorIiEEZZNS1_9scan_implILNS1_25lookback_scan_determinismE0ELb0ELb0ES3_N6thrust23THRUST_200600_302600_NS6detail15normal_iteratorINS9_10device_ptrIiEEEESE_i11max_functorIiEiEEDaPvRmT3_T4_T5_mT6_P12ihipStream_tbENKUlT_T0_E_clISt17integral_constantIbLb1EESU_EEDaSP_SQ_EUlSP_E0_NS1_11comp_targetILNS1_3genE2ELNS1_11target_archE906ELNS1_3gpuE6ELNS1_3repE0EEENS1_30default_config_static_selectorELNS0_4arch9wavefront6targetE1EEEvT1_,"axG",@progbits,_ZN7rocprim17ROCPRIM_400000_NS6detail17trampoline_kernelINS0_14default_configENS1_20scan_config_selectorIiEEZZNS1_9scan_implILNS1_25lookback_scan_determinismE0ELb0ELb0ES3_N6thrust23THRUST_200600_302600_NS6detail15normal_iteratorINS9_10device_ptrIiEEEESE_i11max_functorIiEiEEDaPvRmT3_T4_T5_mT6_P12ihipStream_tbENKUlT_T0_E_clISt17integral_constantIbLb1EESU_EEDaSP_SQ_EUlSP_E0_NS1_11comp_targetILNS1_3genE2ELNS1_11target_archE906ELNS1_3gpuE6ELNS1_3repE0EEENS1_30default_config_static_selectorELNS0_4arch9wavefront6targetE1EEEvT1_,comdat
.Lfunc_end2733:
	.size	_ZN7rocprim17ROCPRIM_400000_NS6detail17trampoline_kernelINS0_14default_configENS1_20scan_config_selectorIiEEZZNS1_9scan_implILNS1_25lookback_scan_determinismE0ELb0ELb0ES3_N6thrust23THRUST_200600_302600_NS6detail15normal_iteratorINS9_10device_ptrIiEEEESE_i11max_functorIiEiEEDaPvRmT3_T4_T5_mT6_P12ihipStream_tbENKUlT_T0_E_clISt17integral_constantIbLb1EESU_EEDaSP_SQ_EUlSP_E0_NS1_11comp_targetILNS1_3genE2ELNS1_11target_archE906ELNS1_3gpuE6ELNS1_3repE0EEENS1_30default_config_static_selectorELNS0_4arch9wavefront6targetE1EEEvT1_, .Lfunc_end2733-_ZN7rocprim17ROCPRIM_400000_NS6detail17trampoline_kernelINS0_14default_configENS1_20scan_config_selectorIiEEZZNS1_9scan_implILNS1_25lookback_scan_determinismE0ELb0ELb0ES3_N6thrust23THRUST_200600_302600_NS6detail15normal_iteratorINS9_10device_ptrIiEEEESE_i11max_functorIiEiEEDaPvRmT3_T4_T5_mT6_P12ihipStream_tbENKUlT_T0_E_clISt17integral_constantIbLb1EESU_EEDaSP_SQ_EUlSP_E0_NS1_11comp_targetILNS1_3genE2ELNS1_11target_archE906ELNS1_3gpuE6ELNS1_3repE0EEENS1_30default_config_static_selectorELNS0_4arch9wavefront6targetE1EEEvT1_
                                        ; -- End function
	.section	.AMDGPU.csdata,"",@progbits
; Kernel info:
; codeLenInByte = 0
; NumSgprs: 4
; NumVgprs: 0
; NumAgprs: 0
; TotalNumVgprs: 0
; ScratchSize: 0
; MemoryBound: 0
; FloatMode: 240
; IeeeMode: 1
; LDSByteSize: 0 bytes/workgroup (compile time only)
; SGPRBlocks: 0
; VGPRBlocks: 0
; NumSGPRsForWavesPerEU: 4
; NumVGPRsForWavesPerEU: 1
; AccumOffset: 4
; Occupancy: 8
; WaveLimiterHint : 0
; COMPUTE_PGM_RSRC2:SCRATCH_EN: 0
; COMPUTE_PGM_RSRC2:USER_SGPR: 6
; COMPUTE_PGM_RSRC2:TRAP_HANDLER: 0
; COMPUTE_PGM_RSRC2:TGID_X_EN: 1
; COMPUTE_PGM_RSRC2:TGID_Y_EN: 0
; COMPUTE_PGM_RSRC2:TGID_Z_EN: 0
; COMPUTE_PGM_RSRC2:TIDIG_COMP_CNT: 0
; COMPUTE_PGM_RSRC3_GFX90A:ACCUM_OFFSET: 0
; COMPUTE_PGM_RSRC3_GFX90A:TG_SPLIT: 0
	.section	.text._ZN7rocprim17ROCPRIM_400000_NS6detail17trampoline_kernelINS0_14default_configENS1_20scan_config_selectorIiEEZZNS1_9scan_implILNS1_25lookback_scan_determinismE0ELb0ELb0ES3_N6thrust23THRUST_200600_302600_NS6detail15normal_iteratorINS9_10device_ptrIiEEEESE_i11max_functorIiEiEEDaPvRmT3_T4_T5_mT6_P12ihipStream_tbENKUlT_T0_E_clISt17integral_constantIbLb1EESU_EEDaSP_SQ_EUlSP_E0_NS1_11comp_targetILNS1_3genE10ELNS1_11target_archE1201ELNS1_3gpuE5ELNS1_3repE0EEENS1_30default_config_static_selectorELNS0_4arch9wavefront6targetE1EEEvT1_,"axG",@progbits,_ZN7rocprim17ROCPRIM_400000_NS6detail17trampoline_kernelINS0_14default_configENS1_20scan_config_selectorIiEEZZNS1_9scan_implILNS1_25lookback_scan_determinismE0ELb0ELb0ES3_N6thrust23THRUST_200600_302600_NS6detail15normal_iteratorINS9_10device_ptrIiEEEESE_i11max_functorIiEiEEDaPvRmT3_T4_T5_mT6_P12ihipStream_tbENKUlT_T0_E_clISt17integral_constantIbLb1EESU_EEDaSP_SQ_EUlSP_E0_NS1_11comp_targetILNS1_3genE10ELNS1_11target_archE1201ELNS1_3gpuE5ELNS1_3repE0EEENS1_30default_config_static_selectorELNS0_4arch9wavefront6targetE1EEEvT1_,comdat
	.protected	_ZN7rocprim17ROCPRIM_400000_NS6detail17trampoline_kernelINS0_14default_configENS1_20scan_config_selectorIiEEZZNS1_9scan_implILNS1_25lookback_scan_determinismE0ELb0ELb0ES3_N6thrust23THRUST_200600_302600_NS6detail15normal_iteratorINS9_10device_ptrIiEEEESE_i11max_functorIiEiEEDaPvRmT3_T4_T5_mT6_P12ihipStream_tbENKUlT_T0_E_clISt17integral_constantIbLb1EESU_EEDaSP_SQ_EUlSP_E0_NS1_11comp_targetILNS1_3genE10ELNS1_11target_archE1201ELNS1_3gpuE5ELNS1_3repE0EEENS1_30default_config_static_selectorELNS0_4arch9wavefront6targetE1EEEvT1_ ; -- Begin function _ZN7rocprim17ROCPRIM_400000_NS6detail17trampoline_kernelINS0_14default_configENS1_20scan_config_selectorIiEEZZNS1_9scan_implILNS1_25lookback_scan_determinismE0ELb0ELb0ES3_N6thrust23THRUST_200600_302600_NS6detail15normal_iteratorINS9_10device_ptrIiEEEESE_i11max_functorIiEiEEDaPvRmT3_T4_T5_mT6_P12ihipStream_tbENKUlT_T0_E_clISt17integral_constantIbLb1EESU_EEDaSP_SQ_EUlSP_E0_NS1_11comp_targetILNS1_3genE10ELNS1_11target_archE1201ELNS1_3gpuE5ELNS1_3repE0EEENS1_30default_config_static_selectorELNS0_4arch9wavefront6targetE1EEEvT1_
	.globl	_ZN7rocprim17ROCPRIM_400000_NS6detail17trampoline_kernelINS0_14default_configENS1_20scan_config_selectorIiEEZZNS1_9scan_implILNS1_25lookback_scan_determinismE0ELb0ELb0ES3_N6thrust23THRUST_200600_302600_NS6detail15normal_iteratorINS9_10device_ptrIiEEEESE_i11max_functorIiEiEEDaPvRmT3_T4_T5_mT6_P12ihipStream_tbENKUlT_T0_E_clISt17integral_constantIbLb1EESU_EEDaSP_SQ_EUlSP_E0_NS1_11comp_targetILNS1_3genE10ELNS1_11target_archE1201ELNS1_3gpuE5ELNS1_3repE0EEENS1_30default_config_static_selectorELNS0_4arch9wavefront6targetE1EEEvT1_
	.p2align	8
	.type	_ZN7rocprim17ROCPRIM_400000_NS6detail17trampoline_kernelINS0_14default_configENS1_20scan_config_selectorIiEEZZNS1_9scan_implILNS1_25lookback_scan_determinismE0ELb0ELb0ES3_N6thrust23THRUST_200600_302600_NS6detail15normal_iteratorINS9_10device_ptrIiEEEESE_i11max_functorIiEiEEDaPvRmT3_T4_T5_mT6_P12ihipStream_tbENKUlT_T0_E_clISt17integral_constantIbLb1EESU_EEDaSP_SQ_EUlSP_E0_NS1_11comp_targetILNS1_3genE10ELNS1_11target_archE1201ELNS1_3gpuE5ELNS1_3repE0EEENS1_30default_config_static_selectorELNS0_4arch9wavefront6targetE1EEEvT1_,@function
_ZN7rocprim17ROCPRIM_400000_NS6detail17trampoline_kernelINS0_14default_configENS1_20scan_config_selectorIiEEZZNS1_9scan_implILNS1_25lookback_scan_determinismE0ELb0ELb0ES3_N6thrust23THRUST_200600_302600_NS6detail15normal_iteratorINS9_10device_ptrIiEEEESE_i11max_functorIiEiEEDaPvRmT3_T4_T5_mT6_P12ihipStream_tbENKUlT_T0_E_clISt17integral_constantIbLb1EESU_EEDaSP_SQ_EUlSP_E0_NS1_11comp_targetILNS1_3genE10ELNS1_11target_archE1201ELNS1_3gpuE5ELNS1_3repE0EEENS1_30default_config_static_selectorELNS0_4arch9wavefront6targetE1EEEvT1_: ; @_ZN7rocprim17ROCPRIM_400000_NS6detail17trampoline_kernelINS0_14default_configENS1_20scan_config_selectorIiEEZZNS1_9scan_implILNS1_25lookback_scan_determinismE0ELb0ELb0ES3_N6thrust23THRUST_200600_302600_NS6detail15normal_iteratorINS9_10device_ptrIiEEEESE_i11max_functorIiEiEEDaPvRmT3_T4_T5_mT6_P12ihipStream_tbENKUlT_T0_E_clISt17integral_constantIbLb1EESU_EEDaSP_SQ_EUlSP_E0_NS1_11comp_targetILNS1_3genE10ELNS1_11target_archE1201ELNS1_3gpuE5ELNS1_3repE0EEENS1_30default_config_static_selectorELNS0_4arch9wavefront6targetE1EEEvT1_
; %bb.0:
	.section	.rodata,"a",@progbits
	.p2align	6, 0x0
	.amdhsa_kernel _ZN7rocprim17ROCPRIM_400000_NS6detail17trampoline_kernelINS0_14default_configENS1_20scan_config_selectorIiEEZZNS1_9scan_implILNS1_25lookback_scan_determinismE0ELb0ELb0ES3_N6thrust23THRUST_200600_302600_NS6detail15normal_iteratorINS9_10device_ptrIiEEEESE_i11max_functorIiEiEEDaPvRmT3_T4_T5_mT6_P12ihipStream_tbENKUlT_T0_E_clISt17integral_constantIbLb1EESU_EEDaSP_SQ_EUlSP_E0_NS1_11comp_targetILNS1_3genE10ELNS1_11target_archE1201ELNS1_3gpuE5ELNS1_3repE0EEENS1_30default_config_static_selectorELNS0_4arch9wavefront6targetE1EEEvT1_
		.amdhsa_group_segment_fixed_size 0
		.amdhsa_private_segment_fixed_size 0
		.amdhsa_kernarg_size 32
		.amdhsa_user_sgpr_count 6
		.amdhsa_user_sgpr_private_segment_buffer 1
		.amdhsa_user_sgpr_dispatch_ptr 0
		.amdhsa_user_sgpr_queue_ptr 0
		.amdhsa_user_sgpr_kernarg_segment_ptr 1
		.amdhsa_user_sgpr_dispatch_id 0
		.amdhsa_user_sgpr_flat_scratch_init 0
		.amdhsa_user_sgpr_kernarg_preload_length 0
		.amdhsa_user_sgpr_kernarg_preload_offset 0
		.amdhsa_user_sgpr_private_segment_size 0
		.amdhsa_uses_dynamic_stack 0
		.amdhsa_system_sgpr_private_segment_wavefront_offset 0
		.amdhsa_system_sgpr_workgroup_id_x 1
		.amdhsa_system_sgpr_workgroup_id_y 0
		.amdhsa_system_sgpr_workgroup_id_z 0
		.amdhsa_system_sgpr_workgroup_info 0
		.amdhsa_system_vgpr_workitem_id 0
		.amdhsa_next_free_vgpr 1
		.amdhsa_next_free_sgpr 0
		.amdhsa_accum_offset 4
		.amdhsa_reserve_vcc 0
		.amdhsa_reserve_flat_scratch 0
		.amdhsa_float_round_mode_32 0
		.amdhsa_float_round_mode_16_64 0
		.amdhsa_float_denorm_mode_32 3
		.amdhsa_float_denorm_mode_16_64 3
		.amdhsa_dx10_clamp 1
		.amdhsa_ieee_mode 1
		.amdhsa_fp16_overflow 0
		.amdhsa_tg_split 0
		.amdhsa_exception_fp_ieee_invalid_op 0
		.amdhsa_exception_fp_denorm_src 0
		.amdhsa_exception_fp_ieee_div_zero 0
		.amdhsa_exception_fp_ieee_overflow 0
		.amdhsa_exception_fp_ieee_underflow 0
		.amdhsa_exception_fp_ieee_inexact 0
		.amdhsa_exception_int_div_zero 0
	.end_amdhsa_kernel
	.section	.text._ZN7rocprim17ROCPRIM_400000_NS6detail17trampoline_kernelINS0_14default_configENS1_20scan_config_selectorIiEEZZNS1_9scan_implILNS1_25lookback_scan_determinismE0ELb0ELb0ES3_N6thrust23THRUST_200600_302600_NS6detail15normal_iteratorINS9_10device_ptrIiEEEESE_i11max_functorIiEiEEDaPvRmT3_T4_T5_mT6_P12ihipStream_tbENKUlT_T0_E_clISt17integral_constantIbLb1EESU_EEDaSP_SQ_EUlSP_E0_NS1_11comp_targetILNS1_3genE10ELNS1_11target_archE1201ELNS1_3gpuE5ELNS1_3repE0EEENS1_30default_config_static_selectorELNS0_4arch9wavefront6targetE1EEEvT1_,"axG",@progbits,_ZN7rocprim17ROCPRIM_400000_NS6detail17trampoline_kernelINS0_14default_configENS1_20scan_config_selectorIiEEZZNS1_9scan_implILNS1_25lookback_scan_determinismE0ELb0ELb0ES3_N6thrust23THRUST_200600_302600_NS6detail15normal_iteratorINS9_10device_ptrIiEEEESE_i11max_functorIiEiEEDaPvRmT3_T4_T5_mT6_P12ihipStream_tbENKUlT_T0_E_clISt17integral_constantIbLb1EESU_EEDaSP_SQ_EUlSP_E0_NS1_11comp_targetILNS1_3genE10ELNS1_11target_archE1201ELNS1_3gpuE5ELNS1_3repE0EEENS1_30default_config_static_selectorELNS0_4arch9wavefront6targetE1EEEvT1_,comdat
.Lfunc_end2734:
	.size	_ZN7rocprim17ROCPRIM_400000_NS6detail17trampoline_kernelINS0_14default_configENS1_20scan_config_selectorIiEEZZNS1_9scan_implILNS1_25lookback_scan_determinismE0ELb0ELb0ES3_N6thrust23THRUST_200600_302600_NS6detail15normal_iteratorINS9_10device_ptrIiEEEESE_i11max_functorIiEiEEDaPvRmT3_T4_T5_mT6_P12ihipStream_tbENKUlT_T0_E_clISt17integral_constantIbLb1EESU_EEDaSP_SQ_EUlSP_E0_NS1_11comp_targetILNS1_3genE10ELNS1_11target_archE1201ELNS1_3gpuE5ELNS1_3repE0EEENS1_30default_config_static_selectorELNS0_4arch9wavefront6targetE1EEEvT1_, .Lfunc_end2734-_ZN7rocprim17ROCPRIM_400000_NS6detail17trampoline_kernelINS0_14default_configENS1_20scan_config_selectorIiEEZZNS1_9scan_implILNS1_25lookback_scan_determinismE0ELb0ELb0ES3_N6thrust23THRUST_200600_302600_NS6detail15normal_iteratorINS9_10device_ptrIiEEEESE_i11max_functorIiEiEEDaPvRmT3_T4_T5_mT6_P12ihipStream_tbENKUlT_T0_E_clISt17integral_constantIbLb1EESU_EEDaSP_SQ_EUlSP_E0_NS1_11comp_targetILNS1_3genE10ELNS1_11target_archE1201ELNS1_3gpuE5ELNS1_3repE0EEENS1_30default_config_static_selectorELNS0_4arch9wavefront6targetE1EEEvT1_
                                        ; -- End function
	.section	.AMDGPU.csdata,"",@progbits
; Kernel info:
; codeLenInByte = 0
; NumSgprs: 4
; NumVgprs: 0
; NumAgprs: 0
; TotalNumVgprs: 0
; ScratchSize: 0
; MemoryBound: 0
; FloatMode: 240
; IeeeMode: 1
; LDSByteSize: 0 bytes/workgroup (compile time only)
; SGPRBlocks: 0
; VGPRBlocks: 0
; NumSGPRsForWavesPerEU: 4
; NumVGPRsForWavesPerEU: 1
; AccumOffset: 4
; Occupancy: 8
; WaveLimiterHint : 0
; COMPUTE_PGM_RSRC2:SCRATCH_EN: 0
; COMPUTE_PGM_RSRC2:USER_SGPR: 6
; COMPUTE_PGM_RSRC2:TRAP_HANDLER: 0
; COMPUTE_PGM_RSRC2:TGID_X_EN: 1
; COMPUTE_PGM_RSRC2:TGID_Y_EN: 0
; COMPUTE_PGM_RSRC2:TGID_Z_EN: 0
; COMPUTE_PGM_RSRC2:TIDIG_COMP_CNT: 0
; COMPUTE_PGM_RSRC3_GFX90A:ACCUM_OFFSET: 0
; COMPUTE_PGM_RSRC3_GFX90A:TG_SPLIT: 0
	.section	.text._ZN7rocprim17ROCPRIM_400000_NS6detail17trampoline_kernelINS0_14default_configENS1_20scan_config_selectorIiEEZZNS1_9scan_implILNS1_25lookback_scan_determinismE0ELb0ELb0ES3_N6thrust23THRUST_200600_302600_NS6detail15normal_iteratorINS9_10device_ptrIiEEEESE_i11max_functorIiEiEEDaPvRmT3_T4_T5_mT6_P12ihipStream_tbENKUlT_T0_E_clISt17integral_constantIbLb1EESU_EEDaSP_SQ_EUlSP_E0_NS1_11comp_targetILNS1_3genE10ELNS1_11target_archE1200ELNS1_3gpuE4ELNS1_3repE0EEENS1_30default_config_static_selectorELNS0_4arch9wavefront6targetE1EEEvT1_,"axG",@progbits,_ZN7rocprim17ROCPRIM_400000_NS6detail17trampoline_kernelINS0_14default_configENS1_20scan_config_selectorIiEEZZNS1_9scan_implILNS1_25lookback_scan_determinismE0ELb0ELb0ES3_N6thrust23THRUST_200600_302600_NS6detail15normal_iteratorINS9_10device_ptrIiEEEESE_i11max_functorIiEiEEDaPvRmT3_T4_T5_mT6_P12ihipStream_tbENKUlT_T0_E_clISt17integral_constantIbLb1EESU_EEDaSP_SQ_EUlSP_E0_NS1_11comp_targetILNS1_3genE10ELNS1_11target_archE1200ELNS1_3gpuE4ELNS1_3repE0EEENS1_30default_config_static_selectorELNS0_4arch9wavefront6targetE1EEEvT1_,comdat
	.protected	_ZN7rocprim17ROCPRIM_400000_NS6detail17trampoline_kernelINS0_14default_configENS1_20scan_config_selectorIiEEZZNS1_9scan_implILNS1_25lookback_scan_determinismE0ELb0ELb0ES3_N6thrust23THRUST_200600_302600_NS6detail15normal_iteratorINS9_10device_ptrIiEEEESE_i11max_functorIiEiEEDaPvRmT3_T4_T5_mT6_P12ihipStream_tbENKUlT_T0_E_clISt17integral_constantIbLb1EESU_EEDaSP_SQ_EUlSP_E0_NS1_11comp_targetILNS1_3genE10ELNS1_11target_archE1200ELNS1_3gpuE4ELNS1_3repE0EEENS1_30default_config_static_selectorELNS0_4arch9wavefront6targetE1EEEvT1_ ; -- Begin function _ZN7rocprim17ROCPRIM_400000_NS6detail17trampoline_kernelINS0_14default_configENS1_20scan_config_selectorIiEEZZNS1_9scan_implILNS1_25lookback_scan_determinismE0ELb0ELb0ES3_N6thrust23THRUST_200600_302600_NS6detail15normal_iteratorINS9_10device_ptrIiEEEESE_i11max_functorIiEiEEDaPvRmT3_T4_T5_mT6_P12ihipStream_tbENKUlT_T0_E_clISt17integral_constantIbLb1EESU_EEDaSP_SQ_EUlSP_E0_NS1_11comp_targetILNS1_3genE10ELNS1_11target_archE1200ELNS1_3gpuE4ELNS1_3repE0EEENS1_30default_config_static_selectorELNS0_4arch9wavefront6targetE1EEEvT1_
	.globl	_ZN7rocprim17ROCPRIM_400000_NS6detail17trampoline_kernelINS0_14default_configENS1_20scan_config_selectorIiEEZZNS1_9scan_implILNS1_25lookback_scan_determinismE0ELb0ELb0ES3_N6thrust23THRUST_200600_302600_NS6detail15normal_iteratorINS9_10device_ptrIiEEEESE_i11max_functorIiEiEEDaPvRmT3_T4_T5_mT6_P12ihipStream_tbENKUlT_T0_E_clISt17integral_constantIbLb1EESU_EEDaSP_SQ_EUlSP_E0_NS1_11comp_targetILNS1_3genE10ELNS1_11target_archE1200ELNS1_3gpuE4ELNS1_3repE0EEENS1_30default_config_static_selectorELNS0_4arch9wavefront6targetE1EEEvT1_
	.p2align	8
	.type	_ZN7rocprim17ROCPRIM_400000_NS6detail17trampoline_kernelINS0_14default_configENS1_20scan_config_selectorIiEEZZNS1_9scan_implILNS1_25lookback_scan_determinismE0ELb0ELb0ES3_N6thrust23THRUST_200600_302600_NS6detail15normal_iteratorINS9_10device_ptrIiEEEESE_i11max_functorIiEiEEDaPvRmT3_T4_T5_mT6_P12ihipStream_tbENKUlT_T0_E_clISt17integral_constantIbLb1EESU_EEDaSP_SQ_EUlSP_E0_NS1_11comp_targetILNS1_3genE10ELNS1_11target_archE1200ELNS1_3gpuE4ELNS1_3repE0EEENS1_30default_config_static_selectorELNS0_4arch9wavefront6targetE1EEEvT1_,@function
_ZN7rocprim17ROCPRIM_400000_NS6detail17trampoline_kernelINS0_14default_configENS1_20scan_config_selectorIiEEZZNS1_9scan_implILNS1_25lookback_scan_determinismE0ELb0ELb0ES3_N6thrust23THRUST_200600_302600_NS6detail15normal_iteratorINS9_10device_ptrIiEEEESE_i11max_functorIiEiEEDaPvRmT3_T4_T5_mT6_P12ihipStream_tbENKUlT_T0_E_clISt17integral_constantIbLb1EESU_EEDaSP_SQ_EUlSP_E0_NS1_11comp_targetILNS1_3genE10ELNS1_11target_archE1200ELNS1_3gpuE4ELNS1_3repE0EEENS1_30default_config_static_selectorELNS0_4arch9wavefront6targetE1EEEvT1_: ; @_ZN7rocprim17ROCPRIM_400000_NS6detail17trampoline_kernelINS0_14default_configENS1_20scan_config_selectorIiEEZZNS1_9scan_implILNS1_25lookback_scan_determinismE0ELb0ELb0ES3_N6thrust23THRUST_200600_302600_NS6detail15normal_iteratorINS9_10device_ptrIiEEEESE_i11max_functorIiEiEEDaPvRmT3_T4_T5_mT6_P12ihipStream_tbENKUlT_T0_E_clISt17integral_constantIbLb1EESU_EEDaSP_SQ_EUlSP_E0_NS1_11comp_targetILNS1_3genE10ELNS1_11target_archE1200ELNS1_3gpuE4ELNS1_3repE0EEENS1_30default_config_static_selectorELNS0_4arch9wavefront6targetE1EEEvT1_
; %bb.0:
	.section	.rodata,"a",@progbits
	.p2align	6, 0x0
	.amdhsa_kernel _ZN7rocprim17ROCPRIM_400000_NS6detail17trampoline_kernelINS0_14default_configENS1_20scan_config_selectorIiEEZZNS1_9scan_implILNS1_25lookback_scan_determinismE0ELb0ELb0ES3_N6thrust23THRUST_200600_302600_NS6detail15normal_iteratorINS9_10device_ptrIiEEEESE_i11max_functorIiEiEEDaPvRmT3_T4_T5_mT6_P12ihipStream_tbENKUlT_T0_E_clISt17integral_constantIbLb1EESU_EEDaSP_SQ_EUlSP_E0_NS1_11comp_targetILNS1_3genE10ELNS1_11target_archE1200ELNS1_3gpuE4ELNS1_3repE0EEENS1_30default_config_static_selectorELNS0_4arch9wavefront6targetE1EEEvT1_
		.amdhsa_group_segment_fixed_size 0
		.amdhsa_private_segment_fixed_size 0
		.amdhsa_kernarg_size 32
		.amdhsa_user_sgpr_count 6
		.amdhsa_user_sgpr_private_segment_buffer 1
		.amdhsa_user_sgpr_dispatch_ptr 0
		.amdhsa_user_sgpr_queue_ptr 0
		.amdhsa_user_sgpr_kernarg_segment_ptr 1
		.amdhsa_user_sgpr_dispatch_id 0
		.amdhsa_user_sgpr_flat_scratch_init 0
		.amdhsa_user_sgpr_kernarg_preload_length 0
		.amdhsa_user_sgpr_kernarg_preload_offset 0
		.amdhsa_user_sgpr_private_segment_size 0
		.amdhsa_uses_dynamic_stack 0
		.amdhsa_system_sgpr_private_segment_wavefront_offset 0
		.amdhsa_system_sgpr_workgroup_id_x 1
		.amdhsa_system_sgpr_workgroup_id_y 0
		.amdhsa_system_sgpr_workgroup_id_z 0
		.amdhsa_system_sgpr_workgroup_info 0
		.amdhsa_system_vgpr_workitem_id 0
		.amdhsa_next_free_vgpr 1
		.amdhsa_next_free_sgpr 0
		.amdhsa_accum_offset 4
		.amdhsa_reserve_vcc 0
		.amdhsa_reserve_flat_scratch 0
		.amdhsa_float_round_mode_32 0
		.amdhsa_float_round_mode_16_64 0
		.amdhsa_float_denorm_mode_32 3
		.amdhsa_float_denorm_mode_16_64 3
		.amdhsa_dx10_clamp 1
		.amdhsa_ieee_mode 1
		.amdhsa_fp16_overflow 0
		.amdhsa_tg_split 0
		.amdhsa_exception_fp_ieee_invalid_op 0
		.amdhsa_exception_fp_denorm_src 0
		.amdhsa_exception_fp_ieee_div_zero 0
		.amdhsa_exception_fp_ieee_overflow 0
		.amdhsa_exception_fp_ieee_underflow 0
		.amdhsa_exception_fp_ieee_inexact 0
		.amdhsa_exception_int_div_zero 0
	.end_amdhsa_kernel
	.section	.text._ZN7rocprim17ROCPRIM_400000_NS6detail17trampoline_kernelINS0_14default_configENS1_20scan_config_selectorIiEEZZNS1_9scan_implILNS1_25lookback_scan_determinismE0ELb0ELb0ES3_N6thrust23THRUST_200600_302600_NS6detail15normal_iteratorINS9_10device_ptrIiEEEESE_i11max_functorIiEiEEDaPvRmT3_T4_T5_mT6_P12ihipStream_tbENKUlT_T0_E_clISt17integral_constantIbLb1EESU_EEDaSP_SQ_EUlSP_E0_NS1_11comp_targetILNS1_3genE10ELNS1_11target_archE1200ELNS1_3gpuE4ELNS1_3repE0EEENS1_30default_config_static_selectorELNS0_4arch9wavefront6targetE1EEEvT1_,"axG",@progbits,_ZN7rocprim17ROCPRIM_400000_NS6detail17trampoline_kernelINS0_14default_configENS1_20scan_config_selectorIiEEZZNS1_9scan_implILNS1_25lookback_scan_determinismE0ELb0ELb0ES3_N6thrust23THRUST_200600_302600_NS6detail15normal_iteratorINS9_10device_ptrIiEEEESE_i11max_functorIiEiEEDaPvRmT3_T4_T5_mT6_P12ihipStream_tbENKUlT_T0_E_clISt17integral_constantIbLb1EESU_EEDaSP_SQ_EUlSP_E0_NS1_11comp_targetILNS1_3genE10ELNS1_11target_archE1200ELNS1_3gpuE4ELNS1_3repE0EEENS1_30default_config_static_selectorELNS0_4arch9wavefront6targetE1EEEvT1_,comdat
.Lfunc_end2735:
	.size	_ZN7rocprim17ROCPRIM_400000_NS6detail17trampoline_kernelINS0_14default_configENS1_20scan_config_selectorIiEEZZNS1_9scan_implILNS1_25lookback_scan_determinismE0ELb0ELb0ES3_N6thrust23THRUST_200600_302600_NS6detail15normal_iteratorINS9_10device_ptrIiEEEESE_i11max_functorIiEiEEDaPvRmT3_T4_T5_mT6_P12ihipStream_tbENKUlT_T0_E_clISt17integral_constantIbLb1EESU_EEDaSP_SQ_EUlSP_E0_NS1_11comp_targetILNS1_3genE10ELNS1_11target_archE1200ELNS1_3gpuE4ELNS1_3repE0EEENS1_30default_config_static_selectorELNS0_4arch9wavefront6targetE1EEEvT1_, .Lfunc_end2735-_ZN7rocprim17ROCPRIM_400000_NS6detail17trampoline_kernelINS0_14default_configENS1_20scan_config_selectorIiEEZZNS1_9scan_implILNS1_25lookback_scan_determinismE0ELb0ELb0ES3_N6thrust23THRUST_200600_302600_NS6detail15normal_iteratorINS9_10device_ptrIiEEEESE_i11max_functorIiEiEEDaPvRmT3_T4_T5_mT6_P12ihipStream_tbENKUlT_T0_E_clISt17integral_constantIbLb1EESU_EEDaSP_SQ_EUlSP_E0_NS1_11comp_targetILNS1_3genE10ELNS1_11target_archE1200ELNS1_3gpuE4ELNS1_3repE0EEENS1_30default_config_static_selectorELNS0_4arch9wavefront6targetE1EEEvT1_
                                        ; -- End function
	.section	.AMDGPU.csdata,"",@progbits
; Kernel info:
; codeLenInByte = 0
; NumSgprs: 4
; NumVgprs: 0
; NumAgprs: 0
; TotalNumVgprs: 0
; ScratchSize: 0
; MemoryBound: 0
; FloatMode: 240
; IeeeMode: 1
; LDSByteSize: 0 bytes/workgroup (compile time only)
; SGPRBlocks: 0
; VGPRBlocks: 0
; NumSGPRsForWavesPerEU: 4
; NumVGPRsForWavesPerEU: 1
; AccumOffset: 4
; Occupancy: 8
; WaveLimiterHint : 0
; COMPUTE_PGM_RSRC2:SCRATCH_EN: 0
; COMPUTE_PGM_RSRC2:USER_SGPR: 6
; COMPUTE_PGM_RSRC2:TRAP_HANDLER: 0
; COMPUTE_PGM_RSRC2:TGID_X_EN: 1
; COMPUTE_PGM_RSRC2:TGID_Y_EN: 0
; COMPUTE_PGM_RSRC2:TGID_Z_EN: 0
; COMPUTE_PGM_RSRC2:TIDIG_COMP_CNT: 0
; COMPUTE_PGM_RSRC3_GFX90A:ACCUM_OFFSET: 0
; COMPUTE_PGM_RSRC3_GFX90A:TG_SPLIT: 0
	.section	.text._ZN7rocprim17ROCPRIM_400000_NS6detail17trampoline_kernelINS0_14default_configENS1_20scan_config_selectorIiEEZZNS1_9scan_implILNS1_25lookback_scan_determinismE0ELb0ELb0ES3_N6thrust23THRUST_200600_302600_NS6detail15normal_iteratorINS9_10device_ptrIiEEEESE_i11max_functorIiEiEEDaPvRmT3_T4_T5_mT6_P12ihipStream_tbENKUlT_T0_E_clISt17integral_constantIbLb1EESU_EEDaSP_SQ_EUlSP_E0_NS1_11comp_targetILNS1_3genE9ELNS1_11target_archE1100ELNS1_3gpuE3ELNS1_3repE0EEENS1_30default_config_static_selectorELNS0_4arch9wavefront6targetE1EEEvT1_,"axG",@progbits,_ZN7rocprim17ROCPRIM_400000_NS6detail17trampoline_kernelINS0_14default_configENS1_20scan_config_selectorIiEEZZNS1_9scan_implILNS1_25lookback_scan_determinismE0ELb0ELb0ES3_N6thrust23THRUST_200600_302600_NS6detail15normal_iteratorINS9_10device_ptrIiEEEESE_i11max_functorIiEiEEDaPvRmT3_T4_T5_mT6_P12ihipStream_tbENKUlT_T0_E_clISt17integral_constantIbLb1EESU_EEDaSP_SQ_EUlSP_E0_NS1_11comp_targetILNS1_3genE9ELNS1_11target_archE1100ELNS1_3gpuE3ELNS1_3repE0EEENS1_30default_config_static_selectorELNS0_4arch9wavefront6targetE1EEEvT1_,comdat
	.protected	_ZN7rocprim17ROCPRIM_400000_NS6detail17trampoline_kernelINS0_14default_configENS1_20scan_config_selectorIiEEZZNS1_9scan_implILNS1_25lookback_scan_determinismE0ELb0ELb0ES3_N6thrust23THRUST_200600_302600_NS6detail15normal_iteratorINS9_10device_ptrIiEEEESE_i11max_functorIiEiEEDaPvRmT3_T4_T5_mT6_P12ihipStream_tbENKUlT_T0_E_clISt17integral_constantIbLb1EESU_EEDaSP_SQ_EUlSP_E0_NS1_11comp_targetILNS1_3genE9ELNS1_11target_archE1100ELNS1_3gpuE3ELNS1_3repE0EEENS1_30default_config_static_selectorELNS0_4arch9wavefront6targetE1EEEvT1_ ; -- Begin function _ZN7rocprim17ROCPRIM_400000_NS6detail17trampoline_kernelINS0_14default_configENS1_20scan_config_selectorIiEEZZNS1_9scan_implILNS1_25lookback_scan_determinismE0ELb0ELb0ES3_N6thrust23THRUST_200600_302600_NS6detail15normal_iteratorINS9_10device_ptrIiEEEESE_i11max_functorIiEiEEDaPvRmT3_T4_T5_mT6_P12ihipStream_tbENKUlT_T0_E_clISt17integral_constantIbLb1EESU_EEDaSP_SQ_EUlSP_E0_NS1_11comp_targetILNS1_3genE9ELNS1_11target_archE1100ELNS1_3gpuE3ELNS1_3repE0EEENS1_30default_config_static_selectorELNS0_4arch9wavefront6targetE1EEEvT1_
	.globl	_ZN7rocprim17ROCPRIM_400000_NS6detail17trampoline_kernelINS0_14default_configENS1_20scan_config_selectorIiEEZZNS1_9scan_implILNS1_25lookback_scan_determinismE0ELb0ELb0ES3_N6thrust23THRUST_200600_302600_NS6detail15normal_iteratorINS9_10device_ptrIiEEEESE_i11max_functorIiEiEEDaPvRmT3_T4_T5_mT6_P12ihipStream_tbENKUlT_T0_E_clISt17integral_constantIbLb1EESU_EEDaSP_SQ_EUlSP_E0_NS1_11comp_targetILNS1_3genE9ELNS1_11target_archE1100ELNS1_3gpuE3ELNS1_3repE0EEENS1_30default_config_static_selectorELNS0_4arch9wavefront6targetE1EEEvT1_
	.p2align	8
	.type	_ZN7rocprim17ROCPRIM_400000_NS6detail17trampoline_kernelINS0_14default_configENS1_20scan_config_selectorIiEEZZNS1_9scan_implILNS1_25lookback_scan_determinismE0ELb0ELb0ES3_N6thrust23THRUST_200600_302600_NS6detail15normal_iteratorINS9_10device_ptrIiEEEESE_i11max_functorIiEiEEDaPvRmT3_T4_T5_mT6_P12ihipStream_tbENKUlT_T0_E_clISt17integral_constantIbLb1EESU_EEDaSP_SQ_EUlSP_E0_NS1_11comp_targetILNS1_3genE9ELNS1_11target_archE1100ELNS1_3gpuE3ELNS1_3repE0EEENS1_30default_config_static_selectorELNS0_4arch9wavefront6targetE1EEEvT1_,@function
_ZN7rocprim17ROCPRIM_400000_NS6detail17trampoline_kernelINS0_14default_configENS1_20scan_config_selectorIiEEZZNS1_9scan_implILNS1_25lookback_scan_determinismE0ELb0ELb0ES3_N6thrust23THRUST_200600_302600_NS6detail15normal_iteratorINS9_10device_ptrIiEEEESE_i11max_functorIiEiEEDaPvRmT3_T4_T5_mT6_P12ihipStream_tbENKUlT_T0_E_clISt17integral_constantIbLb1EESU_EEDaSP_SQ_EUlSP_E0_NS1_11comp_targetILNS1_3genE9ELNS1_11target_archE1100ELNS1_3gpuE3ELNS1_3repE0EEENS1_30default_config_static_selectorELNS0_4arch9wavefront6targetE1EEEvT1_: ; @_ZN7rocprim17ROCPRIM_400000_NS6detail17trampoline_kernelINS0_14default_configENS1_20scan_config_selectorIiEEZZNS1_9scan_implILNS1_25lookback_scan_determinismE0ELb0ELb0ES3_N6thrust23THRUST_200600_302600_NS6detail15normal_iteratorINS9_10device_ptrIiEEEESE_i11max_functorIiEiEEDaPvRmT3_T4_T5_mT6_P12ihipStream_tbENKUlT_T0_E_clISt17integral_constantIbLb1EESU_EEDaSP_SQ_EUlSP_E0_NS1_11comp_targetILNS1_3genE9ELNS1_11target_archE1100ELNS1_3gpuE3ELNS1_3repE0EEENS1_30default_config_static_selectorELNS0_4arch9wavefront6targetE1EEEvT1_
; %bb.0:
	.section	.rodata,"a",@progbits
	.p2align	6, 0x0
	.amdhsa_kernel _ZN7rocprim17ROCPRIM_400000_NS6detail17trampoline_kernelINS0_14default_configENS1_20scan_config_selectorIiEEZZNS1_9scan_implILNS1_25lookback_scan_determinismE0ELb0ELb0ES3_N6thrust23THRUST_200600_302600_NS6detail15normal_iteratorINS9_10device_ptrIiEEEESE_i11max_functorIiEiEEDaPvRmT3_T4_T5_mT6_P12ihipStream_tbENKUlT_T0_E_clISt17integral_constantIbLb1EESU_EEDaSP_SQ_EUlSP_E0_NS1_11comp_targetILNS1_3genE9ELNS1_11target_archE1100ELNS1_3gpuE3ELNS1_3repE0EEENS1_30default_config_static_selectorELNS0_4arch9wavefront6targetE1EEEvT1_
		.amdhsa_group_segment_fixed_size 0
		.amdhsa_private_segment_fixed_size 0
		.amdhsa_kernarg_size 32
		.amdhsa_user_sgpr_count 6
		.amdhsa_user_sgpr_private_segment_buffer 1
		.amdhsa_user_sgpr_dispatch_ptr 0
		.amdhsa_user_sgpr_queue_ptr 0
		.amdhsa_user_sgpr_kernarg_segment_ptr 1
		.amdhsa_user_sgpr_dispatch_id 0
		.amdhsa_user_sgpr_flat_scratch_init 0
		.amdhsa_user_sgpr_kernarg_preload_length 0
		.amdhsa_user_sgpr_kernarg_preload_offset 0
		.amdhsa_user_sgpr_private_segment_size 0
		.amdhsa_uses_dynamic_stack 0
		.amdhsa_system_sgpr_private_segment_wavefront_offset 0
		.amdhsa_system_sgpr_workgroup_id_x 1
		.amdhsa_system_sgpr_workgroup_id_y 0
		.amdhsa_system_sgpr_workgroup_id_z 0
		.amdhsa_system_sgpr_workgroup_info 0
		.amdhsa_system_vgpr_workitem_id 0
		.amdhsa_next_free_vgpr 1
		.amdhsa_next_free_sgpr 0
		.amdhsa_accum_offset 4
		.amdhsa_reserve_vcc 0
		.amdhsa_reserve_flat_scratch 0
		.amdhsa_float_round_mode_32 0
		.amdhsa_float_round_mode_16_64 0
		.amdhsa_float_denorm_mode_32 3
		.amdhsa_float_denorm_mode_16_64 3
		.amdhsa_dx10_clamp 1
		.amdhsa_ieee_mode 1
		.amdhsa_fp16_overflow 0
		.amdhsa_tg_split 0
		.amdhsa_exception_fp_ieee_invalid_op 0
		.amdhsa_exception_fp_denorm_src 0
		.amdhsa_exception_fp_ieee_div_zero 0
		.amdhsa_exception_fp_ieee_overflow 0
		.amdhsa_exception_fp_ieee_underflow 0
		.amdhsa_exception_fp_ieee_inexact 0
		.amdhsa_exception_int_div_zero 0
	.end_amdhsa_kernel
	.section	.text._ZN7rocprim17ROCPRIM_400000_NS6detail17trampoline_kernelINS0_14default_configENS1_20scan_config_selectorIiEEZZNS1_9scan_implILNS1_25lookback_scan_determinismE0ELb0ELb0ES3_N6thrust23THRUST_200600_302600_NS6detail15normal_iteratorINS9_10device_ptrIiEEEESE_i11max_functorIiEiEEDaPvRmT3_T4_T5_mT6_P12ihipStream_tbENKUlT_T0_E_clISt17integral_constantIbLb1EESU_EEDaSP_SQ_EUlSP_E0_NS1_11comp_targetILNS1_3genE9ELNS1_11target_archE1100ELNS1_3gpuE3ELNS1_3repE0EEENS1_30default_config_static_selectorELNS0_4arch9wavefront6targetE1EEEvT1_,"axG",@progbits,_ZN7rocprim17ROCPRIM_400000_NS6detail17trampoline_kernelINS0_14default_configENS1_20scan_config_selectorIiEEZZNS1_9scan_implILNS1_25lookback_scan_determinismE0ELb0ELb0ES3_N6thrust23THRUST_200600_302600_NS6detail15normal_iteratorINS9_10device_ptrIiEEEESE_i11max_functorIiEiEEDaPvRmT3_T4_T5_mT6_P12ihipStream_tbENKUlT_T0_E_clISt17integral_constantIbLb1EESU_EEDaSP_SQ_EUlSP_E0_NS1_11comp_targetILNS1_3genE9ELNS1_11target_archE1100ELNS1_3gpuE3ELNS1_3repE0EEENS1_30default_config_static_selectorELNS0_4arch9wavefront6targetE1EEEvT1_,comdat
.Lfunc_end2736:
	.size	_ZN7rocprim17ROCPRIM_400000_NS6detail17trampoline_kernelINS0_14default_configENS1_20scan_config_selectorIiEEZZNS1_9scan_implILNS1_25lookback_scan_determinismE0ELb0ELb0ES3_N6thrust23THRUST_200600_302600_NS6detail15normal_iteratorINS9_10device_ptrIiEEEESE_i11max_functorIiEiEEDaPvRmT3_T4_T5_mT6_P12ihipStream_tbENKUlT_T0_E_clISt17integral_constantIbLb1EESU_EEDaSP_SQ_EUlSP_E0_NS1_11comp_targetILNS1_3genE9ELNS1_11target_archE1100ELNS1_3gpuE3ELNS1_3repE0EEENS1_30default_config_static_selectorELNS0_4arch9wavefront6targetE1EEEvT1_, .Lfunc_end2736-_ZN7rocprim17ROCPRIM_400000_NS6detail17trampoline_kernelINS0_14default_configENS1_20scan_config_selectorIiEEZZNS1_9scan_implILNS1_25lookback_scan_determinismE0ELb0ELb0ES3_N6thrust23THRUST_200600_302600_NS6detail15normal_iteratorINS9_10device_ptrIiEEEESE_i11max_functorIiEiEEDaPvRmT3_T4_T5_mT6_P12ihipStream_tbENKUlT_T0_E_clISt17integral_constantIbLb1EESU_EEDaSP_SQ_EUlSP_E0_NS1_11comp_targetILNS1_3genE9ELNS1_11target_archE1100ELNS1_3gpuE3ELNS1_3repE0EEENS1_30default_config_static_selectorELNS0_4arch9wavefront6targetE1EEEvT1_
                                        ; -- End function
	.section	.AMDGPU.csdata,"",@progbits
; Kernel info:
; codeLenInByte = 0
; NumSgprs: 4
; NumVgprs: 0
; NumAgprs: 0
; TotalNumVgprs: 0
; ScratchSize: 0
; MemoryBound: 0
; FloatMode: 240
; IeeeMode: 1
; LDSByteSize: 0 bytes/workgroup (compile time only)
; SGPRBlocks: 0
; VGPRBlocks: 0
; NumSGPRsForWavesPerEU: 4
; NumVGPRsForWavesPerEU: 1
; AccumOffset: 4
; Occupancy: 8
; WaveLimiterHint : 0
; COMPUTE_PGM_RSRC2:SCRATCH_EN: 0
; COMPUTE_PGM_RSRC2:USER_SGPR: 6
; COMPUTE_PGM_RSRC2:TRAP_HANDLER: 0
; COMPUTE_PGM_RSRC2:TGID_X_EN: 1
; COMPUTE_PGM_RSRC2:TGID_Y_EN: 0
; COMPUTE_PGM_RSRC2:TGID_Z_EN: 0
; COMPUTE_PGM_RSRC2:TIDIG_COMP_CNT: 0
; COMPUTE_PGM_RSRC3_GFX90A:ACCUM_OFFSET: 0
; COMPUTE_PGM_RSRC3_GFX90A:TG_SPLIT: 0
	.section	.text._ZN7rocprim17ROCPRIM_400000_NS6detail17trampoline_kernelINS0_14default_configENS1_20scan_config_selectorIiEEZZNS1_9scan_implILNS1_25lookback_scan_determinismE0ELb0ELb0ES3_N6thrust23THRUST_200600_302600_NS6detail15normal_iteratorINS9_10device_ptrIiEEEESE_i11max_functorIiEiEEDaPvRmT3_T4_T5_mT6_P12ihipStream_tbENKUlT_T0_E_clISt17integral_constantIbLb1EESU_EEDaSP_SQ_EUlSP_E0_NS1_11comp_targetILNS1_3genE8ELNS1_11target_archE1030ELNS1_3gpuE2ELNS1_3repE0EEENS1_30default_config_static_selectorELNS0_4arch9wavefront6targetE1EEEvT1_,"axG",@progbits,_ZN7rocprim17ROCPRIM_400000_NS6detail17trampoline_kernelINS0_14default_configENS1_20scan_config_selectorIiEEZZNS1_9scan_implILNS1_25lookback_scan_determinismE0ELb0ELb0ES3_N6thrust23THRUST_200600_302600_NS6detail15normal_iteratorINS9_10device_ptrIiEEEESE_i11max_functorIiEiEEDaPvRmT3_T4_T5_mT6_P12ihipStream_tbENKUlT_T0_E_clISt17integral_constantIbLb1EESU_EEDaSP_SQ_EUlSP_E0_NS1_11comp_targetILNS1_3genE8ELNS1_11target_archE1030ELNS1_3gpuE2ELNS1_3repE0EEENS1_30default_config_static_selectorELNS0_4arch9wavefront6targetE1EEEvT1_,comdat
	.protected	_ZN7rocprim17ROCPRIM_400000_NS6detail17trampoline_kernelINS0_14default_configENS1_20scan_config_selectorIiEEZZNS1_9scan_implILNS1_25lookback_scan_determinismE0ELb0ELb0ES3_N6thrust23THRUST_200600_302600_NS6detail15normal_iteratorINS9_10device_ptrIiEEEESE_i11max_functorIiEiEEDaPvRmT3_T4_T5_mT6_P12ihipStream_tbENKUlT_T0_E_clISt17integral_constantIbLb1EESU_EEDaSP_SQ_EUlSP_E0_NS1_11comp_targetILNS1_3genE8ELNS1_11target_archE1030ELNS1_3gpuE2ELNS1_3repE0EEENS1_30default_config_static_selectorELNS0_4arch9wavefront6targetE1EEEvT1_ ; -- Begin function _ZN7rocprim17ROCPRIM_400000_NS6detail17trampoline_kernelINS0_14default_configENS1_20scan_config_selectorIiEEZZNS1_9scan_implILNS1_25lookback_scan_determinismE0ELb0ELb0ES3_N6thrust23THRUST_200600_302600_NS6detail15normal_iteratorINS9_10device_ptrIiEEEESE_i11max_functorIiEiEEDaPvRmT3_T4_T5_mT6_P12ihipStream_tbENKUlT_T0_E_clISt17integral_constantIbLb1EESU_EEDaSP_SQ_EUlSP_E0_NS1_11comp_targetILNS1_3genE8ELNS1_11target_archE1030ELNS1_3gpuE2ELNS1_3repE0EEENS1_30default_config_static_selectorELNS0_4arch9wavefront6targetE1EEEvT1_
	.globl	_ZN7rocprim17ROCPRIM_400000_NS6detail17trampoline_kernelINS0_14default_configENS1_20scan_config_selectorIiEEZZNS1_9scan_implILNS1_25lookback_scan_determinismE0ELb0ELb0ES3_N6thrust23THRUST_200600_302600_NS6detail15normal_iteratorINS9_10device_ptrIiEEEESE_i11max_functorIiEiEEDaPvRmT3_T4_T5_mT6_P12ihipStream_tbENKUlT_T0_E_clISt17integral_constantIbLb1EESU_EEDaSP_SQ_EUlSP_E0_NS1_11comp_targetILNS1_3genE8ELNS1_11target_archE1030ELNS1_3gpuE2ELNS1_3repE0EEENS1_30default_config_static_selectorELNS0_4arch9wavefront6targetE1EEEvT1_
	.p2align	8
	.type	_ZN7rocprim17ROCPRIM_400000_NS6detail17trampoline_kernelINS0_14default_configENS1_20scan_config_selectorIiEEZZNS1_9scan_implILNS1_25lookback_scan_determinismE0ELb0ELb0ES3_N6thrust23THRUST_200600_302600_NS6detail15normal_iteratorINS9_10device_ptrIiEEEESE_i11max_functorIiEiEEDaPvRmT3_T4_T5_mT6_P12ihipStream_tbENKUlT_T0_E_clISt17integral_constantIbLb1EESU_EEDaSP_SQ_EUlSP_E0_NS1_11comp_targetILNS1_3genE8ELNS1_11target_archE1030ELNS1_3gpuE2ELNS1_3repE0EEENS1_30default_config_static_selectorELNS0_4arch9wavefront6targetE1EEEvT1_,@function
_ZN7rocprim17ROCPRIM_400000_NS6detail17trampoline_kernelINS0_14default_configENS1_20scan_config_selectorIiEEZZNS1_9scan_implILNS1_25lookback_scan_determinismE0ELb0ELb0ES3_N6thrust23THRUST_200600_302600_NS6detail15normal_iteratorINS9_10device_ptrIiEEEESE_i11max_functorIiEiEEDaPvRmT3_T4_T5_mT6_P12ihipStream_tbENKUlT_T0_E_clISt17integral_constantIbLb1EESU_EEDaSP_SQ_EUlSP_E0_NS1_11comp_targetILNS1_3genE8ELNS1_11target_archE1030ELNS1_3gpuE2ELNS1_3repE0EEENS1_30default_config_static_selectorELNS0_4arch9wavefront6targetE1EEEvT1_: ; @_ZN7rocprim17ROCPRIM_400000_NS6detail17trampoline_kernelINS0_14default_configENS1_20scan_config_selectorIiEEZZNS1_9scan_implILNS1_25lookback_scan_determinismE0ELb0ELb0ES3_N6thrust23THRUST_200600_302600_NS6detail15normal_iteratorINS9_10device_ptrIiEEEESE_i11max_functorIiEiEEDaPvRmT3_T4_T5_mT6_P12ihipStream_tbENKUlT_T0_E_clISt17integral_constantIbLb1EESU_EEDaSP_SQ_EUlSP_E0_NS1_11comp_targetILNS1_3genE8ELNS1_11target_archE1030ELNS1_3gpuE2ELNS1_3repE0EEENS1_30default_config_static_selectorELNS0_4arch9wavefront6targetE1EEEvT1_
; %bb.0:
	.section	.rodata,"a",@progbits
	.p2align	6, 0x0
	.amdhsa_kernel _ZN7rocprim17ROCPRIM_400000_NS6detail17trampoline_kernelINS0_14default_configENS1_20scan_config_selectorIiEEZZNS1_9scan_implILNS1_25lookback_scan_determinismE0ELb0ELb0ES3_N6thrust23THRUST_200600_302600_NS6detail15normal_iteratorINS9_10device_ptrIiEEEESE_i11max_functorIiEiEEDaPvRmT3_T4_T5_mT6_P12ihipStream_tbENKUlT_T0_E_clISt17integral_constantIbLb1EESU_EEDaSP_SQ_EUlSP_E0_NS1_11comp_targetILNS1_3genE8ELNS1_11target_archE1030ELNS1_3gpuE2ELNS1_3repE0EEENS1_30default_config_static_selectorELNS0_4arch9wavefront6targetE1EEEvT1_
		.amdhsa_group_segment_fixed_size 0
		.amdhsa_private_segment_fixed_size 0
		.amdhsa_kernarg_size 32
		.amdhsa_user_sgpr_count 6
		.amdhsa_user_sgpr_private_segment_buffer 1
		.amdhsa_user_sgpr_dispatch_ptr 0
		.amdhsa_user_sgpr_queue_ptr 0
		.amdhsa_user_sgpr_kernarg_segment_ptr 1
		.amdhsa_user_sgpr_dispatch_id 0
		.amdhsa_user_sgpr_flat_scratch_init 0
		.amdhsa_user_sgpr_kernarg_preload_length 0
		.amdhsa_user_sgpr_kernarg_preload_offset 0
		.amdhsa_user_sgpr_private_segment_size 0
		.amdhsa_uses_dynamic_stack 0
		.amdhsa_system_sgpr_private_segment_wavefront_offset 0
		.amdhsa_system_sgpr_workgroup_id_x 1
		.amdhsa_system_sgpr_workgroup_id_y 0
		.amdhsa_system_sgpr_workgroup_id_z 0
		.amdhsa_system_sgpr_workgroup_info 0
		.amdhsa_system_vgpr_workitem_id 0
		.amdhsa_next_free_vgpr 1
		.amdhsa_next_free_sgpr 0
		.amdhsa_accum_offset 4
		.amdhsa_reserve_vcc 0
		.amdhsa_reserve_flat_scratch 0
		.amdhsa_float_round_mode_32 0
		.amdhsa_float_round_mode_16_64 0
		.amdhsa_float_denorm_mode_32 3
		.amdhsa_float_denorm_mode_16_64 3
		.amdhsa_dx10_clamp 1
		.amdhsa_ieee_mode 1
		.amdhsa_fp16_overflow 0
		.amdhsa_tg_split 0
		.amdhsa_exception_fp_ieee_invalid_op 0
		.amdhsa_exception_fp_denorm_src 0
		.amdhsa_exception_fp_ieee_div_zero 0
		.amdhsa_exception_fp_ieee_overflow 0
		.amdhsa_exception_fp_ieee_underflow 0
		.amdhsa_exception_fp_ieee_inexact 0
		.amdhsa_exception_int_div_zero 0
	.end_amdhsa_kernel
	.section	.text._ZN7rocprim17ROCPRIM_400000_NS6detail17trampoline_kernelINS0_14default_configENS1_20scan_config_selectorIiEEZZNS1_9scan_implILNS1_25lookback_scan_determinismE0ELb0ELb0ES3_N6thrust23THRUST_200600_302600_NS6detail15normal_iteratorINS9_10device_ptrIiEEEESE_i11max_functorIiEiEEDaPvRmT3_T4_T5_mT6_P12ihipStream_tbENKUlT_T0_E_clISt17integral_constantIbLb1EESU_EEDaSP_SQ_EUlSP_E0_NS1_11comp_targetILNS1_3genE8ELNS1_11target_archE1030ELNS1_3gpuE2ELNS1_3repE0EEENS1_30default_config_static_selectorELNS0_4arch9wavefront6targetE1EEEvT1_,"axG",@progbits,_ZN7rocprim17ROCPRIM_400000_NS6detail17trampoline_kernelINS0_14default_configENS1_20scan_config_selectorIiEEZZNS1_9scan_implILNS1_25lookback_scan_determinismE0ELb0ELb0ES3_N6thrust23THRUST_200600_302600_NS6detail15normal_iteratorINS9_10device_ptrIiEEEESE_i11max_functorIiEiEEDaPvRmT3_T4_T5_mT6_P12ihipStream_tbENKUlT_T0_E_clISt17integral_constantIbLb1EESU_EEDaSP_SQ_EUlSP_E0_NS1_11comp_targetILNS1_3genE8ELNS1_11target_archE1030ELNS1_3gpuE2ELNS1_3repE0EEENS1_30default_config_static_selectorELNS0_4arch9wavefront6targetE1EEEvT1_,comdat
.Lfunc_end2737:
	.size	_ZN7rocprim17ROCPRIM_400000_NS6detail17trampoline_kernelINS0_14default_configENS1_20scan_config_selectorIiEEZZNS1_9scan_implILNS1_25lookback_scan_determinismE0ELb0ELb0ES3_N6thrust23THRUST_200600_302600_NS6detail15normal_iteratorINS9_10device_ptrIiEEEESE_i11max_functorIiEiEEDaPvRmT3_T4_T5_mT6_P12ihipStream_tbENKUlT_T0_E_clISt17integral_constantIbLb1EESU_EEDaSP_SQ_EUlSP_E0_NS1_11comp_targetILNS1_3genE8ELNS1_11target_archE1030ELNS1_3gpuE2ELNS1_3repE0EEENS1_30default_config_static_selectorELNS0_4arch9wavefront6targetE1EEEvT1_, .Lfunc_end2737-_ZN7rocprim17ROCPRIM_400000_NS6detail17trampoline_kernelINS0_14default_configENS1_20scan_config_selectorIiEEZZNS1_9scan_implILNS1_25lookback_scan_determinismE0ELb0ELb0ES3_N6thrust23THRUST_200600_302600_NS6detail15normal_iteratorINS9_10device_ptrIiEEEESE_i11max_functorIiEiEEDaPvRmT3_T4_T5_mT6_P12ihipStream_tbENKUlT_T0_E_clISt17integral_constantIbLb1EESU_EEDaSP_SQ_EUlSP_E0_NS1_11comp_targetILNS1_3genE8ELNS1_11target_archE1030ELNS1_3gpuE2ELNS1_3repE0EEENS1_30default_config_static_selectorELNS0_4arch9wavefront6targetE1EEEvT1_
                                        ; -- End function
	.section	.AMDGPU.csdata,"",@progbits
; Kernel info:
; codeLenInByte = 0
; NumSgprs: 4
; NumVgprs: 0
; NumAgprs: 0
; TotalNumVgprs: 0
; ScratchSize: 0
; MemoryBound: 0
; FloatMode: 240
; IeeeMode: 1
; LDSByteSize: 0 bytes/workgroup (compile time only)
; SGPRBlocks: 0
; VGPRBlocks: 0
; NumSGPRsForWavesPerEU: 4
; NumVGPRsForWavesPerEU: 1
; AccumOffset: 4
; Occupancy: 8
; WaveLimiterHint : 0
; COMPUTE_PGM_RSRC2:SCRATCH_EN: 0
; COMPUTE_PGM_RSRC2:USER_SGPR: 6
; COMPUTE_PGM_RSRC2:TRAP_HANDLER: 0
; COMPUTE_PGM_RSRC2:TGID_X_EN: 1
; COMPUTE_PGM_RSRC2:TGID_Y_EN: 0
; COMPUTE_PGM_RSRC2:TGID_Z_EN: 0
; COMPUTE_PGM_RSRC2:TIDIG_COMP_CNT: 0
; COMPUTE_PGM_RSRC3_GFX90A:ACCUM_OFFSET: 0
; COMPUTE_PGM_RSRC3_GFX90A:TG_SPLIT: 0
	.section	.text._ZN7rocprim17ROCPRIM_400000_NS6detail17trampoline_kernelINS0_14default_configENS1_20scan_config_selectorIiEEZZNS1_9scan_implILNS1_25lookback_scan_determinismE0ELb0ELb0ES3_N6thrust23THRUST_200600_302600_NS6detail15normal_iteratorINS9_10device_ptrIiEEEESE_i11max_functorIiEiEEDaPvRmT3_T4_T5_mT6_P12ihipStream_tbENKUlT_T0_E_clISt17integral_constantIbLb1EEST_IbLb0EEEEDaSP_SQ_EUlSP_E_NS1_11comp_targetILNS1_3genE0ELNS1_11target_archE4294967295ELNS1_3gpuE0ELNS1_3repE0EEENS1_30default_config_static_selectorELNS0_4arch9wavefront6targetE1EEEvT1_,"axG",@progbits,_ZN7rocprim17ROCPRIM_400000_NS6detail17trampoline_kernelINS0_14default_configENS1_20scan_config_selectorIiEEZZNS1_9scan_implILNS1_25lookback_scan_determinismE0ELb0ELb0ES3_N6thrust23THRUST_200600_302600_NS6detail15normal_iteratorINS9_10device_ptrIiEEEESE_i11max_functorIiEiEEDaPvRmT3_T4_T5_mT6_P12ihipStream_tbENKUlT_T0_E_clISt17integral_constantIbLb1EEST_IbLb0EEEEDaSP_SQ_EUlSP_E_NS1_11comp_targetILNS1_3genE0ELNS1_11target_archE4294967295ELNS1_3gpuE0ELNS1_3repE0EEENS1_30default_config_static_selectorELNS0_4arch9wavefront6targetE1EEEvT1_,comdat
	.protected	_ZN7rocprim17ROCPRIM_400000_NS6detail17trampoline_kernelINS0_14default_configENS1_20scan_config_selectorIiEEZZNS1_9scan_implILNS1_25lookback_scan_determinismE0ELb0ELb0ES3_N6thrust23THRUST_200600_302600_NS6detail15normal_iteratorINS9_10device_ptrIiEEEESE_i11max_functorIiEiEEDaPvRmT3_T4_T5_mT6_P12ihipStream_tbENKUlT_T0_E_clISt17integral_constantIbLb1EEST_IbLb0EEEEDaSP_SQ_EUlSP_E_NS1_11comp_targetILNS1_3genE0ELNS1_11target_archE4294967295ELNS1_3gpuE0ELNS1_3repE0EEENS1_30default_config_static_selectorELNS0_4arch9wavefront6targetE1EEEvT1_ ; -- Begin function _ZN7rocprim17ROCPRIM_400000_NS6detail17trampoline_kernelINS0_14default_configENS1_20scan_config_selectorIiEEZZNS1_9scan_implILNS1_25lookback_scan_determinismE0ELb0ELb0ES3_N6thrust23THRUST_200600_302600_NS6detail15normal_iteratorINS9_10device_ptrIiEEEESE_i11max_functorIiEiEEDaPvRmT3_T4_T5_mT6_P12ihipStream_tbENKUlT_T0_E_clISt17integral_constantIbLb1EEST_IbLb0EEEEDaSP_SQ_EUlSP_E_NS1_11comp_targetILNS1_3genE0ELNS1_11target_archE4294967295ELNS1_3gpuE0ELNS1_3repE0EEENS1_30default_config_static_selectorELNS0_4arch9wavefront6targetE1EEEvT1_
	.globl	_ZN7rocprim17ROCPRIM_400000_NS6detail17trampoline_kernelINS0_14default_configENS1_20scan_config_selectorIiEEZZNS1_9scan_implILNS1_25lookback_scan_determinismE0ELb0ELb0ES3_N6thrust23THRUST_200600_302600_NS6detail15normal_iteratorINS9_10device_ptrIiEEEESE_i11max_functorIiEiEEDaPvRmT3_T4_T5_mT6_P12ihipStream_tbENKUlT_T0_E_clISt17integral_constantIbLb1EEST_IbLb0EEEEDaSP_SQ_EUlSP_E_NS1_11comp_targetILNS1_3genE0ELNS1_11target_archE4294967295ELNS1_3gpuE0ELNS1_3repE0EEENS1_30default_config_static_selectorELNS0_4arch9wavefront6targetE1EEEvT1_
	.p2align	8
	.type	_ZN7rocprim17ROCPRIM_400000_NS6detail17trampoline_kernelINS0_14default_configENS1_20scan_config_selectorIiEEZZNS1_9scan_implILNS1_25lookback_scan_determinismE0ELb0ELb0ES3_N6thrust23THRUST_200600_302600_NS6detail15normal_iteratorINS9_10device_ptrIiEEEESE_i11max_functorIiEiEEDaPvRmT3_T4_T5_mT6_P12ihipStream_tbENKUlT_T0_E_clISt17integral_constantIbLb1EEST_IbLb0EEEEDaSP_SQ_EUlSP_E_NS1_11comp_targetILNS1_3genE0ELNS1_11target_archE4294967295ELNS1_3gpuE0ELNS1_3repE0EEENS1_30default_config_static_selectorELNS0_4arch9wavefront6targetE1EEEvT1_,@function
_ZN7rocprim17ROCPRIM_400000_NS6detail17trampoline_kernelINS0_14default_configENS1_20scan_config_selectorIiEEZZNS1_9scan_implILNS1_25lookback_scan_determinismE0ELb0ELb0ES3_N6thrust23THRUST_200600_302600_NS6detail15normal_iteratorINS9_10device_ptrIiEEEESE_i11max_functorIiEiEEDaPvRmT3_T4_T5_mT6_P12ihipStream_tbENKUlT_T0_E_clISt17integral_constantIbLb1EEST_IbLb0EEEEDaSP_SQ_EUlSP_E_NS1_11comp_targetILNS1_3genE0ELNS1_11target_archE4294967295ELNS1_3gpuE0ELNS1_3repE0EEENS1_30default_config_static_selectorELNS0_4arch9wavefront6targetE1EEEvT1_: ; @_ZN7rocprim17ROCPRIM_400000_NS6detail17trampoline_kernelINS0_14default_configENS1_20scan_config_selectorIiEEZZNS1_9scan_implILNS1_25lookback_scan_determinismE0ELb0ELb0ES3_N6thrust23THRUST_200600_302600_NS6detail15normal_iteratorINS9_10device_ptrIiEEEESE_i11max_functorIiEiEEDaPvRmT3_T4_T5_mT6_P12ihipStream_tbENKUlT_T0_E_clISt17integral_constantIbLb1EEST_IbLb0EEEEDaSP_SQ_EUlSP_E_NS1_11comp_targetILNS1_3genE0ELNS1_11target_archE4294967295ELNS1_3gpuE0ELNS1_3repE0EEENS1_30default_config_static_selectorELNS0_4arch9wavefront6targetE1EEEvT1_
; %bb.0:
	.section	.rodata,"a",@progbits
	.p2align	6, 0x0
	.amdhsa_kernel _ZN7rocprim17ROCPRIM_400000_NS6detail17trampoline_kernelINS0_14default_configENS1_20scan_config_selectorIiEEZZNS1_9scan_implILNS1_25lookback_scan_determinismE0ELb0ELb0ES3_N6thrust23THRUST_200600_302600_NS6detail15normal_iteratorINS9_10device_ptrIiEEEESE_i11max_functorIiEiEEDaPvRmT3_T4_T5_mT6_P12ihipStream_tbENKUlT_T0_E_clISt17integral_constantIbLb1EEST_IbLb0EEEEDaSP_SQ_EUlSP_E_NS1_11comp_targetILNS1_3genE0ELNS1_11target_archE4294967295ELNS1_3gpuE0ELNS1_3repE0EEENS1_30default_config_static_selectorELNS0_4arch9wavefront6targetE1EEEvT1_
		.amdhsa_group_segment_fixed_size 0
		.amdhsa_private_segment_fixed_size 0
		.amdhsa_kernarg_size 96
		.amdhsa_user_sgpr_count 6
		.amdhsa_user_sgpr_private_segment_buffer 1
		.amdhsa_user_sgpr_dispatch_ptr 0
		.amdhsa_user_sgpr_queue_ptr 0
		.amdhsa_user_sgpr_kernarg_segment_ptr 1
		.amdhsa_user_sgpr_dispatch_id 0
		.amdhsa_user_sgpr_flat_scratch_init 0
		.amdhsa_user_sgpr_kernarg_preload_length 0
		.amdhsa_user_sgpr_kernarg_preload_offset 0
		.amdhsa_user_sgpr_private_segment_size 0
		.amdhsa_uses_dynamic_stack 0
		.amdhsa_system_sgpr_private_segment_wavefront_offset 0
		.amdhsa_system_sgpr_workgroup_id_x 1
		.amdhsa_system_sgpr_workgroup_id_y 0
		.amdhsa_system_sgpr_workgroup_id_z 0
		.amdhsa_system_sgpr_workgroup_info 0
		.amdhsa_system_vgpr_workitem_id 0
		.amdhsa_next_free_vgpr 1
		.amdhsa_next_free_sgpr 0
		.amdhsa_accum_offset 4
		.amdhsa_reserve_vcc 0
		.amdhsa_reserve_flat_scratch 0
		.amdhsa_float_round_mode_32 0
		.amdhsa_float_round_mode_16_64 0
		.amdhsa_float_denorm_mode_32 3
		.amdhsa_float_denorm_mode_16_64 3
		.amdhsa_dx10_clamp 1
		.amdhsa_ieee_mode 1
		.amdhsa_fp16_overflow 0
		.amdhsa_tg_split 0
		.amdhsa_exception_fp_ieee_invalid_op 0
		.amdhsa_exception_fp_denorm_src 0
		.amdhsa_exception_fp_ieee_div_zero 0
		.amdhsa_exception_fp_ieee_overflow 0
		.amdhsa_exception_fp_ieee_underflow 0
		.amdhsa_exception_fp_ieee_inexact 0
		.amdhsa_exception_int_div_zero 0
	.end_amdhsa_kernel
	.section	.text._ZN7rocprim17ROCPRIM_400000_NS6detail17trampoline_kernelINS0_14default_configENS1_20scan_config_selectorIiEEZZNS1_9scan_implILNS1_25lookback_scan_determinismE0ELb0ELb0ES3_N6thrust23THRUST_200600_302600_NS6detail15normal_iteratorINS9_10device_ptrIiEEEESE_i11max_functorIiEiEEDaPvRmT3_T4_T5_mT6_P12ihipStream_tbENKUlT_T0_E_clISt17integral_constantIbLb1EEST_IbLb0EEEEDaSP_SQ_EUlSP_E_NS1_11comp_targetILNS1_3genE0ELNS1_11target_archE4294967295ELNS1_3gpuE0ELNS1_3repE0EEENS1_30default_config_static_selectorELNS0_4arch9wavefront6targetE1EEEvT1_,"axG",@progbits,_ZN7rocprim17ROCPRIM_400000_NS6detail17trampoline_kernelINS0_14default_configENS1_20scan_config_selectorIiEEZZNS1_9scan_implILNS1_25lookback_scan_determinismE0ELb0ELb0ES3_N6thrust23THRUST_200600_302600_NS6detail15normal_iteratorINS9_10device_ptrIiEEEESE_i11max_functorIiEiEEDaPvRmT3_T4_T5_mT6_P12ihipStream_tbENKUlT_T0_E_clISt17integral_constantIbLb1EEST_IbLb0EEEEDaSP_SQ_EUlSP_E_NS1_11comp_targetILNS1_3genE0ELNS1_11target_archE4294967295ELNS1_3gpuE0ELNS1_3repE0EEENS1_30default_config_static_selectorELNS0_4arch9wavefront6targetE1EEEvT1_,comdat
.Lfunc_end2738:
	.size	_ZN7rocprim17ROCPRIM_400000_NS6detail17trampoline_kernelINS0_14default_configENS1_20scan_config_selectorIiEEZZNS1_9scan_implILNS1_25lookback_scan_determinismE0ELb0ELb0ES3_N6thrust23THRUST_200600_302600_NS6detail15normal_iteratorINS9_10device_ptrIiEEEESE_i11max_functorIiEiEEDaPvRmT3_T4_T5_mT6_P12ihipStream_tbENKUlT_T0_E_clISt17integral_constantIbLb1EEST_IbLb0EEEEDaSP_SQ_EUlSP_E_NS1_11comp_targetILNS1_3genE0ELNS1_11target_archE4294967295ELNS1_3gpuE0ELNS1_3repE0EEENS1_30default_config_static_selectorELNS0_4arch9wavefront6targetE1EEEvT1_, .Lfunc_end2738-_ZN7rocprim17ROCPRIM_400000_NS6detail17trampoline_kernelINS0_14default_configENS1_20scan_config_selectorIiEEZZNS1_9scan_implILNS1_25lookback_scan_determinismE0ELb0ELb0ES3_N6thrust23THRUST_200600_302600_NS6detail15normal_iteratorINS9_10device_ptrIiEEEESE_i11max_functorIiEiEEDaPvRmT3_T4_T5_mT6_P12ihipStream_tbENKUlT_T0_E_clISt17integral_constantIbLb1EEST_IbLb0EEEEDaSP_SQ_EUlSP_E_NS1_11comp_targetILNS1_3genE0ELNS1_11target_archE4294967295ELNS1_3gpuE0ELNS1_3repE0EEENS1_30default_config_static_selectorELNS0_4arch9wavefront6targetE1EEEvT1_
                                        ; -- End function
	.section	.AMDGPU.csdata,"",@progbits
; Kernel info:
; codeLenInByte = 0
; NumSgprs: 4
; NumVgprs: 0
; NumAgprs: 0
; TotalNumVgprs: 0
; ScratchSize: 0
; MemoryBound: 0
; FloatMode: 240
; IeeeMode: 1
; LDSByteSize: 0 bytes/workgroup (compile time only)
; SGPRBlocks: 0
; VGPRBlocks: 0
; NumSGPRsForWavesPerEU: 4
; NumVGPRsForWavesPerEU: 1
; AccumOffset: 4
; Occupancy: 8
; WaveLimiterHint : 0
; COMPUTE_PGM_RSRC2:SCRATCH_EN: 0
; COMPUTE_PGM_RSRC2:USER_SGPR: 6
; COMPUTE_PGM_RSRC2:TRAP_HANDLER: 0
; COMPUTE_PGM_RSRC2:TGID_X_EN: 1
; COMPUTE_PGM_RSRC2:TGID_Y_EN: 0
; COMPUTE_PGM_RSRC2:TGID_Z_EN: 0
; COMPUTE_PGM_RSRC2:TIDIG_COMP_CNT: 0
; COMPUTE_PGM_RSRC3_GFX90A:ACCUM_OFFSET: 0
; COMPUTE_PGM_RSRC3_GFX90A:TG_SPLIT: 0
	.section	.text._ZN7rocprim17ROCPRIM_400000_NS6detail17trampoline_kernelINS0_14default_configENS1_20scan_config_selectorIiEEZZNS1_9scan_implILNS1_25lookback_scan_determinismE0ELb0ELb0ES3_N6thrust23THRUST_200600_302600_NS6detail15normal_iteratorINS9_10device_ptrIiEEEESE_i11max_functorIiEiEEDaPvRmT3_T4_T5_mT6_P12ihipStream_tbENKUlT_T0_E_clISt17integral_constantIbLb1EEST_IbLb0EEEEDaSP_SQ_EUlSP_E_NS1_11comp_targetILNS1_3genE5ELNS1_11target_archE942ELNS1_3gpuE9ELNS1_3repE0EEENS1_30default_config_static_selectorELNS0_4arch9wavefront6targetE1EEEvT1_,"axG",@progbits,_ZN7rocprim17ROCPRIM_400000_NS6detail17trampoline_kernelINS0_14default_configENS1_20scan_config_selectorIiEEZZNS1_9scan_implILNS1_25lookback_scan_determinismE0ELb0ELb0ES3_N6thrust23THRUST_200600_302600_NS6detail15normal_iteratorINS9_10device_ptrIiEEEESE_i11max_functorIiEiEEDaPvRmT3_T4_T5_mT6_P12ihipStream_tbENKUlT_T0_E_clISt17integral_constantIbLb1EEST_IbLb0EEEEDaSP_SQ_EUlSP_E_NS1_11comp_targetILNS1_3genE5ELNS1_11target_archE942ELNS1_3gpuE9ELNS1_3repE0EEENS1_30default_config_static_selectorELNS0_4arch9wavefront6targetE1EEEvT1_,comdat
	.protected	_ZN7rocprim17ROCPRIM_400000_NS6detail17trampoline_kernelINS0_14default_configENS1_20scan_config_selectorIiEEZZNS1_9scan_implILNS1_25lookback_scan_determinismE0ELb0ELb0ES3_N6thrust23THRUST_200600_302600_NS6detail15normal_iteratorINS9_10device_ptrIiEEEESE_i11max_functorIiEiEEDaPvRmT3_T4_T5_mT6_P12ihipStream_tbENKUlT_T0_E_clISt17integral_constantIbLb1EEST_IbLb0EEEEDaSP_SQ_EUlSP_E_NS1_11comp_targetILNS1_3genE5ELNS1_11target_archE942ELNS1_3gpuE9ELNS1_3repE0EEENS1_30default_config_static_selectorELNS0_4arch9wavefront6targetE1EEEvT1_ ; -- Begin function _ZN7rocprim17ROCPRIM_400000_NS6detail17trampoline_kernelINS0_14default_configENS1_20scan_config_selectorIiEEZZNS1_9scan_implILNS1_25lookback_scan_determinismE0ELb0ELb0ES3_N6thrust23THRUST_200600_302600_NS6detail15normal_iteratorINS9_10device_ptrIiEEEESE_i11max_functorIiEiEEDaPvRmT3_T4_T5_mT6_P12ihipStream_tbENKUlT_T0_E_clISt17integral_constantIbLb1EEST_IbLb0EEEEDaSP_SQ_EUlSP_E_NS1_11comp_targetILNS1_3genE5ELNS1_11target_archE942ELNS1_3gpuE9ELNS1_3repE0EEENS1_30default_config_static_selectorELNS0_4arch9wavefront6targetE1EEEvT1_
	.globl	_ZN7rocprim17ROCPRIM_400000_NS6detail17trampoline_kernelINS0_14default_configENS1_20scan_config_selectorIiEEZZNS1_9scan_implILNS1_25lookback_scan_determinismE0ELb0ELb0ES3_N6thrust23THRUST_200600_302600_NS6detail15normal_iteratorINS9_10device_ptrIiEEEESE_i11max_functorIiEiEEDaPvRmT3_T4_T5_mT6_P12ihipStream_tbENKUlT_T0_E_clISt17integral_constantIbLb1EEST_IbLb0EEEEDaSP_SQ_EUlSP_E_NS1_11comp_targetILNS1_3genE5ELNS1_11target_archE942ELNS1_3gpuE9ELNS1_3repE0EEENS1_30default_config_static_selectorELNS0_4arch9wavefront6targetE1EEEvT1_
	.p2align	8
	.type	_ZN7rocprim17ROCPRIM_400000_NS6detail17trampoline_kernelINS0_14default_configENS1_20scan_config_selectorIiEEZZNS1_9scan_implILNS1_25lookback_scan_determinismE0ELb0ELb0ES3_N6thrust23THRUST_200600_302600_NS6detail15normal_iteratorINS9_10device_ptrIiEEEESE_i11max_functorIiEiEEDaPvRmT3_T4_T5_mT6_P12ihipStream_tbENKUlT_T0_E_clISt17integral_constantIbLb1EEST_IbLb0EEEEDaSP_SQ_EUlSP_E_NS1_11comp_targetILNS1_3genE5ELNS1_11target_archE942ELNS1_3gpuE9ELNS1_3repE0EEENS1_30default_config_static_selectorELNS0_4arch9wavefront6targetE1EEEvT1_,@function
_ZN7rocprim17ROCPRIM_400000_NS6detail17trampoline_kernelINS0_14default_configENS1_20scan_config_selectorIiEEZZNS1_9scan_implILNS1_25lookback_scan_determinismE0ELb0ELb0ES3_N6thrust23THRUST_200600_302600_NS6detail15normal_iteratorINS9_10device_ptrIiEEEESE_i11max_functorIiEiEEDaPvRmT3_T4_T5_mT6_P12ihipStream_tbENKUlT_T0_E_clISt17integral_constantIbLb1EEST_IbLb0EEEEDaSP_SQ_EUlSP_E_NS1_11comp_targetILNS1_3genE5ELNS1_11target_archE942ELNS1_3gpuE9ELNS1_3repE0EEENS1_30default_config_static_selectorELNS0_4arch9wavefront6targetE1EEEvT1_: ; @_ZN7rocprim17ROCPRIM_400000_NS6detail17trampoline_kernelINS0_14default_configENS1_20scan_config_selectorIiEEZZNS1_9scan_implILNS1_25lookback_scan_determinismE0ELb0ELb0ES3_N6thrust23THRUST_200600_302600_NS6detail15normal_iteratorINS9_10device_ptrIiEEEESE_i11max_functorIiEiEEDaPvRmT3_T4_T5_mT6_P12ihipStream_tbENKUlT_T0_E_clISt17integral_constantIbLb1EEST_IbLb0EEEEDaSP_SQ_EUlSP_E_NS1_11comp_targetILNS1_3genE5ELNS1_11target_archE942ELNS1_3gpuE9ELNS1_3repE0EEENS1_30default_config_static_selectorELNS0_4arch9wavefront6targetE1EEEvT1_
; %bb.0:
	.section	.rodata,"a",@progbits
	.p2align	6, 0x0
	.amdhsa_kernel _ZN7rocprim17ROCPRIM_400000_NS6detail17trampoline_kernelINS0_14default_configENS1_20scan_config_selectorIiEEZZNS1_9scan_implILNS1_25lookback_scan_determinismE0ELb0ELb0ES3_N6thrust23THRUST_200600_302600_NS6detail15normal_iteratorINS9_10device_ptrIiEEEESE_i11max_functorIiEiEEDaPvRmT3_T4_T5_mT6_P12ihipStream_tbENKUlT_T0_E_clISt17integral_constantIbLb1EEST_IbLb0EEEEDaSP_SQ_EUlSP_E_NS1_11comp_targetILNS1_3genE5ELNS1_11target_archE942ELNS1_3gpuE9ELNS1_3repE0EEENS1_30default_config_static_selectorELNS0_4arch9wavefront6targetE1EEEvT1_
		.amdhsa_group_segment_fixed_size 0
		.amdhsa_private_segment_fixed_size 0
		.amdhsa_kernarg_size 96
		.amdhsa_user_sgpr_count 6
		.amdhsa_user_sgpr_private_segment_buffer 1
		.amdhsa_user_sgpr_dispatch_ptr 0
		.amdhsa_user_sgpr_queue_ptr 0
		.amdhsa_user_sgpr_kernarg_segment_ptr 1
		.amdhsa_user_sgpr_dispatch_id 0
		.amdhsa_user_sgpr_flat_scratch_init 0
		.amdhsa_user_sgpr_kernarg_preload_length 0
		.amdhsa_user_sgpr_kernarg_preload_offset 0
		.amdhsa_user_sgpr_private_segment_size 0
		.amdhsa_uses_dynamic_stack 0
		.amdhsa_system_sgpr_private_segment_wavefront_offset 0
		.amdhsa_system_sgpr_workgroup_id_x 1
		.amdhsa_system_sgpr_workgroup_id_y 0
		.amdhsa_system_sgpr_workgroup_id_z 0
		.amdhsa_system_sgpr_workgroup_info 0
		.amdhsa_system_vgpr_workitem_id 0
		.amdhsa_next_free_vgpr 1
		.amdhsa_next_free_sgpr 0
		.amdhsa_accum_offset 4
		.amdhsa_reserve_vcc 0
		.amdhsa_reserve_flat_scratch 0
		.amdhsa_float_round_mode_32 0
		.amdhsa_float_round_mode_16_64 0
		.amdhsa_float_denorm_mode_32 3
		.amdhsa_float_denorm_mode_16_64 3
		.amdhsa_dx10_clamp 1
		.amdhsa_ieee_mode 1
		.amdhsa_fp16_overflow 0
		.amdhsa_tg_split 0
		.amdhsa_exception_fp_ieee_invalid_op 0
		.amdhsa_exception_fp_denorm_src 0
		.amdhsa_exception_fp_ieee_div_zero 0
		.amdhsa_exception_fp_ieee_overflow 0
		.amdhsa_exception_fp_ieee_underflow 0
		.amdhsa_exception_fp_ieee_inexact 0
		.amdhsa_exception_int_div_zero 0
	.end_amdhsa_kernel
	.section	.text._ZN7rocprim17ROCPRIM_400000_NS6detail17trampoline_kernelINS0_14default_configENS1_20scan_config_selectorIiEEZZNS1_9scan_implILNS1_25lookback_scan_determinismE0ELb0ELb0ES3_N6thrust23THRUST_200600_302600_NS6detail15normal_iteratorINS9_10device_ptrIiEEEESE_i11max_functorIiEiEEDaPvRmT3_T4_T5_mT6_P12ihipStream_tbENKUlT_T0_E_clISt17integral_constantIbLb1EEST_IbLb0EEEEDaSP_SQ_EUlSP_E_NS1_11comp_targetILNS1_3genE5ELNS1_11target_archE942ELNS1_3gpuE9ELNS1_3repE0EEENS1_30default_config_static_selectorELNS0_4arch9wavefront6targetE1EEEvT1_,"axG",@progbits,_ZN7rocprim17ROCPRIM_400000_NS6detail17trampoline_kernelINS0_14default_configENS1_20scan_config_selectorIiEEZZNS1_9scan_implILNS1_25lookback_scan_determinismE0ELb0ELb0ES3_N6thrust23THRUST_200600_302600_NS6detail15normal_iteratorINS9_10device_ptrIiEEEESE_i11max_functorIiEiEEDaPvRmT3_T4_T5_mT6_P12ihipStream_tbENKUlT_T0_E_clISt17integral_constantIbLb1EEST_IbLb0EEEEDaSP_SQ_EUlSP_E_NS1_11comp_targetILNS1_3genE5ELNS1_11target_archE942ELNS1_3gpuE9ELNS1_3repE0EEENS1_30default_config_static_selectorELNS0_4arch9wavefront6targetE1EEEvT1_,comdat
.Lfunc_end2739:
	.size	_ZN7rocprim17ROCPRIM_400000_NS6detail17trampoline_kernelINS0_14default_configENS1_20scan_config_selectorIiEEZZNS1_9scan_implILNS1_25lookback_scan_determinismE0ELb0ELb0ES3_N6thrust23THRUST_200600_302600_NS6detail15normal_iteratorINS9_10device_ptrIiEEEESE_i11max_functorIiEiEEDaPvRmT3_T4_T5_mT6_P12ihipStream_tbENKUlT_T0_E_clISt17integral_constantIbLb1EEST_IbLb0EEEEDaSP_SQ_EUlSP_E_NS1_11comp_targetILNS1_3genE5ELNS1_11target_archE942ELNS1_3gpuE9ELNS1_3repE0EEENS1_30default_config_static_selectorELNS0_4arch9wavefront6targetE1EEEvT1_, .Lfunc_end2739-_ZN7rocprim17ROCPRIM_400000_NS6detail17trampoline_kernelINS0_14default_configENS1_20scan_config_selectorIiEEZZNS1_9scan_implILNS1_25lookback_scan_determinismE0ELb0ELb0ES3_N6thrust23THRUST_200600_302600_NS6detail15normal_iteratorINS9_10device_ptrIiEEEESE_i11max_functorIiEiEEDaPvRmT3_T4_T5_mT6_P12ihipStream_tbENKUlT_T0_E_clISt17integral_constantIbLb1EEST_IbLb0EEEEDaSP_SQ_EUlSP_E_NS1_11comp_targetILNS1_3genE5ELNS1_11target_archE942ELNS1_3gpuE9ELNS1_3repE0EEENS1_30default_config_static_selectorELNS0_4arch9wavefront6targetE1EEEvT1_
                                        ; -- End function
	.section	.AMDGPU.csdata,"",@progbits
; Kernel info:
; codeLenInByte = 0
; NumSgprs: 4
; NumVgprs: 0
; NumAgprs: 0
; TotalNumVgprs: 0
; ScratchSize: 0
; MemoryBound: 0
; FloatMode: 240
; IeeeMode: 1
; LDSByteSize: 0 bytes/workgroup (compile time only)
; SGPRBlocks: 0
; VGPRBlocks: 0
; NumSGPRsForWavesPerEU: 4
; NumVGPRsForWavesPerEU: 1
; AccumOffset: 4
; Occupancy: 8
; WaveLimiterHint : 0
; COMPUTE_PGM_RSRC2:SCRATCH_EN: 0
; COMPUTE_PGM_RSRC2:USER_SGPR: 6
; COMPUTE_PGM_RSRC2:TRAP_HANDLER: 0
; COMPUTE_PGM_RSRC2:TGID_X_EN: 1
; COMPUTE_PGM_RSRC2:TGID_Y_EN: 0
; COMPUTE_PGM_RSRC2:TGID_Z_EN: 0
; COMPUTE_PGM_RSRC2:TIDIG_COMP_CNT: 0
; COMPUTE_PGM_RSRC3_GFX90A:ACCUM_OFFSET: 0
; COMPUTE_PGM_RSRC3_GFX90A:TG_SPLIT: 0
	.section	.text._ZN7rocprim17ROCPRIM_400000_NS6detail17trampoline_kernelINS0_14default_configENS1_20scan_config_selectorIiEEZZNS1_9scan_implILNS1_25lookback_scan_determinismE0ELb0ELb0ES3_N6thrust23THRUST_200600_302600_NS6detail15normal_iteratorINS9_10device_ptrIiEEEESE_i11max_functorIiEiEEDaPvRmT3_T4_T5_mT6_P12ihipStream_tbENKUlT_T0_E_clISt17integral_constantIbLb1EEST_IbLb0EEEEDaSP_SQ_EUlSP_E_NS1_11comp_targetILNS1_3genE4ELNS1_11target_archE910ELNS1_3gpuE8ELNS1_3repE0EEENS1_30default_config_static_selectorELNS0_4arch9wavefront6targetE1EEEvT1_,"axG",@progbits,_ZN7rocprim17ROCPRIM_400000_NS6detail17trampoline_kernelINS0_14default_configENS1_20scan_config_selectorIiEEZZNS1_9scan_implILNS1_25lookback_scan_determinismE0ELb0ELb0ES3_N6thrust23THRUST_200600_302600_NS6detail15normal_iteratorINS9_10device_ptrIiEEEESE_i11max_functorIiEiEEDaPvRmT3_T4_T5_mT6_P12ihipStream_tbENKUlT_T0_E_clISt17integral_constantIbLb1EEST_IbLb0EEEEDaSP_SQ_EUlSP_E_NS1_11comp_targetILNS1_3genE4ELNS1_11target_archE910ELNS1_3gpuE8ELNS1_3repE0EEENS1_30default_config_static_selectorELNS0_4arch9wavefront6targetE1EEEvT1_,comdat
	.protected	_ZN7rocprim17ROCPRIM_400000_NS6detail17trampoline_kernelINS0_14default_configENS1_20scan_config_selectorIiEEZZNS1_9scan_implILNS1_25lookback_scan_determinismE0ELb0ELb0ES3_N6thrust23THRUST_200600_302600_NS6detail15normal_iteratorINS9_10device_ptrIiEEEESE_i11max_functorIiEiEEDaPvRmT3_T4_T5_mT6_P12ihipStream_tbENKUlT_T0_E_clISt17integral_constantIbLb1EEST_IbLb0EEEEDaSP_SQ_EUlSP_E_NS1_11comp_targetILNS1_3genE4ELNS1_11target_archE910ELNS1_3gpuE8ELNS1_3repE0EEENS1_30default_config_static_selectorELNS0_4arch9wavefront6targetE1EEEvT1_ ; -- Begin function _ZN7rocprim17ROCPRIM_400000_NS6detail17trampoline_kernelINS0_14default_configENS1_20scan_config_selectorIiEEZZNS1_9scan_implILNS1_25lookback_scan_determinismE0ELb0ELb0ES3_N6thrust23THRUST_200600_302600_NS6detail15normal_iteratorINS9_10device_ptrIiEEEESE_i11max_functorIiEiEEDaPvRmT3_T4_T5_mT6_P12ihipStream_tbENKUlT_T0_E_clISt17integral_constantIbLb1EEST_IbLb0EEEEDaSP_SQ_EUlSP_E_NS1_11comp_targetILNS1_3genE4ELNS1_11target_archE910ELNS1_3gpuE8ELNS1_3repE0EEENS1_30default_config_static_selectorELNS0_4arch9wavefront6targetE1EEEvT1_
	.globl	_ZN7rocprim17ROCPRIM_400000_NS6detail17trampoline_kernelINS0_14default_configENS1_20scan_config_selectorIiEEZZNS1_9scan_implILNS1_25lookback_scan_determinismE0ELb0ELb0ES3_N6thrust23THRUST_200600_302600_NS6detail15normal_iteratorINS9_10device_ptrIiEEEESE_i11max_functorIiEiEEDaPvRmT3_T4_T5_mT6_P12ihipStream_tbENKUlT_T0_E_clISt17integral_constantIbLb1EEST_IbLb0EEEEDaSP_SQ_EUlSP_E_NS1_11comp_targetILNS1_3genE4ELNS1_11target_archE910ELNS1_3gpuE8ELNS1_3repE0EEENS1_30default_config_static_selectorELNS0_4arch9wavefront6targetE1EEEvT1_
	.p2align	8
	.type	_ZN7rocprim17ROCPRIM_400000_NS6detail17trampoline_kernelINS0_14default_configENS1_20scan_config_selectorIiEEZZNS1_9scan_implILNS1_25lookback_scan_determinismE0ELb0ELb0ES3_N6thrust23THRUST_200600_302600_NS6detail15normal_iteratorINS9_10device_ptrIiEEEESE_i11max_functorIiEiEEDaPvRmT3_T4_T5_mT6_P12ihipStream_tbENKUlT_T0_E_clISt17integral_constantIbLb1EEST_IbLb0EEEEDaSP_SQ_EUlSP_E_NS1_11comp_targetILNS1_3genE4ELNS1_11target_archE910ELNS1_3gpuE8ELNS1_3repE0EEENS1_30default_config_static_selectorELNS0_4arch9wavefront6targetE1EEEvT1_,@function
_ZN7rocprim17ROCPRIM_400000_NS6detail17trampoline_kernelINS0_14default_configENS1_20scan_config_selectorIiEEZZNS1_9scan_implILNS1_25lookback_scan_determinismE0ELb0ELb0ES3_N6thrust23THRUST_200600_302600_NS6detail15normal_iteratorINS9_10device_ptrIiEEEESE_i11max_functorIiEiEEDaPvRmT3_T4_T5_mT6_P12ihipStream_tbENKUlT_T0_E_clISt17integral_constantIbLb1EEST_IbLb0EEEEDaSP_SQ_EUlSP_E_NS1_11comp_targetILNS1_3genE4ELNS1_11target_archE910ELNS1_3gpuE8ELNS1_3repE0EEENS1_30default_config_static_selectorELNS0_4arch9wavefront6targetE1EEEvT1_: ; @_ZN7rocprim17ROCPRIM_400000_NS6detail17trampoline_kernelINS0_14default_configENS1_20scan_config_selectorIiEEZZNS1_9scan_implILNS1_25lookback_scan_determinismE0ELb0ELb0ES3_N6thrust23THRUST_200600_302600_NS6detail15normal_iteratorINS9_10device_ptrIiEEEESE_i11max_functorIiEiEEDaPvRmT3_T4_T5_mT6_P12ihipStream_tbENKUlT_T0_E_clISt17integral_constantIbLb1EEST_IbLb0EEEEDaSP_SQ_EUlSP_E_NS1_11comp_targetILNS1_3genE4ELNS1_11target_archE910ELNS1_3gpuE8ELNS1_3repE0EEENS1_30default_config_static_selectorELNS0_4arch9wavefront6targetE1EEEvT1_
; %bb.0:
	s_load_dwordx8 s[8:15], s[4:5], 0x0
	s_load_dword s1, s[4:5], 0x30
	s_mul_i32 s0, s6, 0x500
	v_lshlrev_b32_e32 v22, 2, v0
	s_waitcnt lgkmcnt(0)
	s_lshl_b64 s[16:17], s[10:11], 2
	s_add_u32 s2, s8, s16
	s_addc_u32 s3, s9, s17
	s_add_i32 s7, s1, -1
	s_mul_i32 s8, s7, 0x500
	s_sub_u32 s24, s14, s8
	s_subb_u32 s25, s15, 0
	s_mov_b32 s1, 0
	s_cmp_lg_u32 s6, s7
	s_cselect_b64 s[14:15], -1, 0
	s_lshl_b64 s[18:19], s[0:1], 2
	s_add_u32 s2, s2, s18
	s_addc_u32 s3, s3, s19
	s_mov_b64 s[0:1], -1
	s_and_b64 vcc, exec, s[14:15]
	s_cbranch_vccz .LBB2740_2
; %bb.1:
	v_mov_b32_e32 v1, s3
	v_add_co_u32_e32 v2, vcc, s2, v22
	v_addc_co_u32_e32 v3, vcc, 0, v1, vcc
	flat_load_dword v1, v[2:3]
	flat_load_dword v4, v[2:3] offset:512
	flat_load_dword v5, v[2:3] offset:1024
	;; [unrolled: 1-line block ×7, first 2 shown]
	v_add_co_u32_e32 v2, vcc, 0x1000, v2
	v_addc_co_u32_e32 v3, vcc, 0, v3, vcc
	flat_load_dword v11, v[2:3]
	flat_load_dword v12, v[2:3] offset:512
	s_mov_b64 s[0:1], 0
	s_waitcnt vmcnt(0) lgkmcnt(0)
	ds_write2st64_b32 v22, v1, v4 offset1:2
	ds_write2st64_b32 v22, v5, v6 offset0:4 offset1:6
	ds_write2st64_b32 v22, v7, v8 offset0:8 offset1:10
	;; [unrolled: 1-line block ×4, first 2 shown]
	s_waitcnt lgkmcnt(0)
	s_barrier
.LBB2740_2:
	s_load_dwordx2 s[20:21], s[4:5], 0x28
	s_andn2_b64 vcc, exec, s[0:1]
	v_cmp_gt_u32_e64 s[0:1], s24, v0
	s_cbranch_vccnz .LBB2740_24
; %bb.3:
	v_pk_mov_b32 v[2:3], s[2:3], s[2:3] op_sel:[0,1]
	flat_load_dword v1, v[2:3]
	s_waitcnt vmcnt(0) lgkmcnt(0)
	v_mov_b32_e32 v2, v1
	v_mov_b32_e32 v3, v1
	;; [unrolled: 1-line block ×9, first 2 shown]
	s_and_saveexec_b64 s[8:9], s[0:1]
	s_cbranch_execz .LBB2740_5
; %bb.4:
	v_mov_b32_e32 v11, s3
	v_add_co_u32_e32 v10, vcc, s2, v22
	v_addc_co_u32_e32 v11, vcc, 0, v11, vcc
	flat_load_dword v10, v[10:11]
.LBB2740_5:
	s_or_b64 exec, exec, s[8:9]
	v_or_b32_e32 v11, 0x80, v0
	v_cmp_gt_u32_e32 vcc, s24, v11
	s_and_saveexec_b64 s[0:1], vcc
	s_cbranch_execz .LBB2740_7
; %bb.6:
	v_mov_b32_e32 v1, s3
	v_add_co_u32_e32 v12, vcc, s2, v22
	v_addc_co_u32_e32 v13, vcc, 0, v1, vcc
	flat_load_dword v1, v[12:13] offset:512
.LBB2740_7:
	s_or_b64 exec, exec, s[0:1]
	v_or_b32_e32 v11, 0x100, v0
	v_cmp_gt_u32_e32 vcc, s24, v11
	s_and_saveexec_b64 s[0:1], vcc
	s_cbranch_execz .LBB2740_9
; %bb.8:
	v_mov_b32_e32 v2, s3
	v_add_co_u32_e32 v12, vcc, s2, v22
	v_addc_co_u32_e32 v13, vcc, 0, v2, vcc
	flat_load_dword v2, v[12:13] offset:1024
.LBB2740_9:
	;; [unrolled: 11-line block ×7, first 2 shown]
	s_or_b64 exec, exec, s[0:1]
	v_or_b32_e32 v11, 0x400, v0
	v_cmp_gt_u32_e32 vcc, s24, v11
	s_and_saveexec_b64 s[0:1], vcc
	s_cbranch_execz .LBB2740_21
; %bb.20:
	v_lshlrev_b32_e32 v8, 2, v11
	v_mov_b32_e32 v11, s3
	v_add_co_u32_e32 v12, vcc, s2, v8
	v_addc_co_u32_e32 v13, vcc, 0, v11, vcc
	flat_load_dword v8, v[12:13]
.LBB2740_21:
	s_or_b64 exec, exec, s[0:1]
	v_or_b32_e32 v11, 0x480, v0
	v_cmp_gt_u32_e32 vcc, s24, v11
	s_and_saveexec_b64 s[0:1], vcc
	s_cbranch_execz .LBB2740_23
; %bb.22:
	v_lshlrev_b32_e32 v9, 2, v11
	v_mov_b32_e32 v11, s3
	v_add_co_u32_e32 v12, vcc, s2, v9
	v_addc_co_u32_e32 v13, vcc, 0, v11, vcc
	flat_load_dword v9, v[12:13]
.LBB2740_23:
	s_or_b64 exec, exec, s[0:1]
	s_waitcnt vmcnt(0) lgkmcnt(0)
	ds_write2st64_b32 v22, v10, v1 offset1:2
	ds_write2st64_b32 v22, v2, v3 offset0:4 offset1:6
	ds_write2st64_b32 v22, v4, v5 offset0:8 offset1:10
	;; [unrolled: 1-line block ×4, first 2 shown]
	s_waitcnt lgkmcnt(0)
	s_barrier
.LBB2740_24:
	v_mul_u32_u24_e32 v23, 10, v0
	v_lshlrev_b32_e32 v24, 2, v23
	s_waitcnt lgkmcnt(0)
	ds_read2_b64 v[2:5], v24 offset1:1
	ds_read2_b64 v[16:19], v24 offset0:2 offset1:3
	ds_read_b64 v[20:21], v24 offset:32
	s_cmp_lg_u32 s6, 0
	v_lshrrev_b32_e32 v1, 5, v0
	v_cmp_gt_u32_e32 vcc, 64, v0
	s_waitcnt lgkmcnt(0)
	s_barrier
	s_cbranch_scc0 .LBB2740_53
; %bb.25:
	v_max_i32_e32 v6, v2, v3
	v_max3_i32 v6, v6, v4, v5
	v_max3_i32 v6, v6, v16, v17
	;; [unrolled: 1-line block ×4, first 2 shown]
	v_add_lshl_u32 v6, v1, v0, 2
	ds_write_b32 v6, v25
	s_waitcnt lgkmcnt(0)
	s_barrier
	s_and_saveexec_b64 s[2:3], vcc
	s_cbranch_execz .LBB2740_27
; %bb.26:
	v_lshlrev_b32_e32 v6, 1, v0
	v_lshrrev_b32_e32 v7, 4, v0
	v_add_lshl_u32 v8, v7, v6, 2
	ds_read2_b32 v[6:7], v8 offset1:1
	v_mbcnt_lo_u32_b32 v9, -1, 0
	v_mbcnt_hi_u32_b32 v9, -1, v9
	v_and_b32_e32 v10, 15, v9
	v_cmp_eq_u32_e64 s[0:1], 0, v10
	s_waitcnt lgkmcnt(0)
	v_max_i32_e32 v7, v6, v7
	; wave barrier
	s_nop 1
	v_mov_b32_dpp v11, v7 row_shr:1 row_mask:0xf bank_mask:0xf
	v_max_i32_e32 v11, v11, v7
	v_cndmask_b32_e64 v7, v11, v7, s[0:1]
	v_cmp_lt_u32_e64 s[0:1], 1, v10
	s_nop 0
	v_mov_b32_dpp v11, v7 row_shr:2 row_mask:0xf bank_mask:0xf
	v_max_i32_e32 v11, v11, v7
	v_cndmask_b32_e64 v7, v7, v11, s[0:1]
	v_cmp_lt_u32_e64 s[0:1], 3, v10
	;; [unrolled: 5-line block ×3, first 2 shown]
	s_nop 0
	v_mov_b32_dpp v11, v7 row_shr:8 row_mask:0xf bank_mask:0xf
	v_max_i32_e32 v11, v11, v7
	v_cndmask_b32_e64 v7, v7, v11, s[0:1]
	v_and_b32_e32 v11, 16, v9
	v_cmp_eq_u32_e64 s[0:1], 0, v11
	v_mov_b32_dpp v10, v7 row_bcast:15 row_mask:0xf bank_mask:0xf
	v_max_i32_e32 v10, v10, v7
	v_cndmask_b32_e64 v7, v10, v7, s[0:1]
	v_cmp_lt_u32_e64 s[0:1], 31, v9
	v_and_b32_e32 v11, 64, v9
	v_mov_b32_dpp v10, v7 row_bcast:31 row_mask:0xf bank_mask:0xf
	v_max_i32_e32 v10, v10, v7
	v_cndmask_b32_e64 v7, v7, v10, s[0:1]
	v_add_u32_e32 v10, -1, v9
	v_cmp_lt_i32_e64 s[0:1], v10, v11
	v_cndmask_b32_e64 v9, v10, v9, s[0:1]
	v_lshlrev_b32_e32 v9, 2, v9
	ds_bpermute_b32 v7, v9, v7
	v_cmp_eq_u32_e64 s[0:1], 0, v0
	s_waitcnt lgkmcnt(0)
	v_max_i32_e32 v6, v7, v6
	v_cndmask_b32_e64 v6, v6, v25, s[0:1]
	ds_write_b32 v8, v6
	; wave barrier
	ds_read_b32 v7, v8 offset:4
	s_waitcnt lgkmcnt(0)
	v_max_i32_e32 v6, v6, v7
	ds_write_b32 v8, v6 offset:4
.LBB2740_27:
	s_or_b64 exec, exec, s[2:3]
	v_cmp_eq_u32_e64 s[0:1], 0, v0
	v_cmp_ne_u32_e64 s[2:3], 0, v0
	s_waitcnt lgkmcnt(0)
	s_barrier
	s_and_saveexec_b64 s[8:9], s[2:3]
	s_cbranch_execz .LBB2740_29
; %bb.28:
	v_add_u32_e32 v6, -1, v0
	v_lshrrev_b32_e32 v7, 5, v6
	v_add_lshl_u32 v6, v7, v6, 2
	ds_read_b32 v25, v6
.LBB2740_29:
	s_or_b64 exec, exec, s[8:9]
	s_and_saveexec_b64 s[8:9], vcc
	s_cbranch_execz .LBB2740_52
; %bb.30:
	v_mov_b32_e32 v15, 0
	ds_read_b32 v6, v15 offset:520
	v_mbcnt_lo_u32_b32 v7, -1, 0
	v_mbcnt_hi_u32_b32 v9, -1, v7
	s_mov_b32 s23, 0
	v_cmp_eq_u32_e64 s[2:3], 0, v9
	s_and_saveexec_b64 s[10:11], s[2:3]
	s_cbranch_execz .LBB2740_32
; %bb.31:
	s_add_i32 s22, s6, 64
	s_lshl_b64 s[22:23], s[22:23], 3
	s_add_u32 s22, s20, s22
	v_mov_b32_e32 v7, 1
	s_addc_u32 s23, s21, s23
	s_waitcnt lgkmcnt(0)
	global_store_dwordx2 v15, v[6:7], s[22:23]
.LBB2740_32:
	s_or_b64 exec, exec, s[10:11]
	v_xad_u32 v8, v9, -1, s6
	v_add_u32_e32 v14, 64, v8
	v_lshlrev_b64 v[10:11], 3, v[14:15]
	v_mov_b32_e32 v7, s21
	v_add_co_u32_e32 v10, vcc, s20, v10
	v_addc_co_u32_e32 v11, vcc, v7, v11, vcc
	global_load_dwordx2 v[12:13], v[10:11], off glc
	s_waitcnt vmcnt(0)
	v_cmp_eq_u16_sdwa s[22:23], v13, v15 src0_sel:BYTE_0 src1_sel:DWORD
	s_and_saveexec_b64 s[10:11], s[22:23]
	s_cbranch_execz .LBB2740_38
; %bb.33:
	s_mov_b32 s7, 1
	s_mov_b64 s[22:23], 0
	v_mov_b32_e32 v7, 0
.LBB2740_34:                            ; =>This Loop Header: Depth=1
                                        ;     Child Loop BB2740_35 Depth 2
	s_max_u32 s26, s7, 1
.LBB2740_35:                            ;   Parent Loop BB2740_34 Depth=1
                                        ; =>  This Inner Loop Header: Depth=2
	s_add_i32 s26, s26, -1
	s_cmp_eq_u32 s26, 0
	s_sleep 1
	s_cbranch_scc0 .LBB2740_35
; %bb.36:                               ;   in Loop: Header=BB2740_34 Depth=1
	global_load_dwordx2 v[12:13], v[10:11], off glc
	s_cmp_lt_u32 s7, 32
	s_cselect_b64 s[26:27], -1, 0
	s_cmp_lg_u64 s[26:27], 0
	s_addc_u32 s7, s7, 0
	s_waitcnt vmcnt(0)
	v_cmp_ne_u16_sdwa s[26:27], v13, v7 src0_sel:BYTE_0 src1_sel:DWORD
	s_or_b64 s[22:23], s[26:27], s[22:23]
	s_andn2_b64 exec, exec, s[22:23]
	s_cbranch_execnz .LBB2740_34
; %bb.37:
	s_or_b64 exec, exec, s[22:23]
.LBB2740_38:
	s_or_b64 exec, exec, s[10:11]
	v_and_b32_e32 v26, 63, v9
	v_cmp_ne_u32_e32 vcc, 63, v26
	v_mov_b32_e32 v7, 2
	v_addc_co_u32_e32 v27, vcc, 0, v9, vcc
	v_cmp_eq_u16_sdwa s[10:11], v13, v7 src0_sel:BYTE_0 src1_sel:DWORD
	v_lshlrev_b64 v[10:11], v9, -1
	v_lshlrev_b32_e32 v27, 2, v27
	v_and_b32_e32 v14, s11, v11
	ds_bpermute_b32 v28, v27, v12
	v_or_b32_e32 v14, 0x80000000, v14
	v_and_b32_e32 v15, s10, v10
	v_ffbl_b32_e32 v14, v14
	v_add_u32_e32 v14, 32, v14
	v_ffbl_b32_e32 v15, v15
	v_min_u32_e32 v14, v15, v14
	s_waitcnt lgkmcnt(0)
	v_max_i32_e32 v15, v28, v12
	v_cmp_lt_u32_e32 vcc, v26, v14
	v_cndmask_b32_e32 v12, v12, v15, vcc
	v_cmp_gt_u32_e32 vcc, 62, v26
	v_cndmask_b32_e64 v15, 0, 1, vcc
	v_lshlrev_b32_e32 v15, 1, v15
	v_add_lshl_u32 v28, v15, v9, 2
	ds_bpermute_b32 v15, v28, v12
	v_add_u32_e32 v29, 2, v26
	v_cmp_gt_u32_e32 vcc, v29, v14
	v_add_u32_e32 v31, 4, v26
	v_add_u32_e32 v33, 8, v26
	s_waitcnt lgkmcnt(0)
	v_max_i32_e32 v15, v15, v12
	v_cndmask_b32_e32 v12, v15, v12, vcc
	v_cmp_gt_u32_e32 vcc, 60, v26
	v_cndmask_b32_e64 v15, 0, 1, vcc
	v_lshlrev_b32_e32 v15, 2, v15
	v_add_lshl_u32 v30, v15, v9, 2
	ds_bpermute_b32 v15, v30, v12
	v_cmp_gt_u32_e32 vcc, v31, v14
	v_add_u32_e32 v36, 16, v26
	v_add_u32_e32 v38, 32, v26
	s_waitcnt lgkmcnt(0)
	v_max_i32_e32 v15, v15, v12
	v_cndmask_b32_e32 v12, v15, v12, vcc
	v_cmp_gt_u32_e32 vcc, 56, v26
	v_cndmask_b32_e64 v15, 0, 1, vcc
	v_lshlrev_b32_e32 v15, 3, v15
	v_add_lshl_u32 v32, v15, v9, 2
	ds_bpermute_b32 v15, v32, v12
	v_cmp_gt_u32_e32 vcc, v33, v14
	s_waitcnt lgkmcnt(0)
	v_max_i32_e32 v15, v15, v12
	v_cndmask_b32_e32 v12, v15, v12, vcc
	v_cmp_gt_u32_e32 vcc, 48, v26
	v_cndmask_b32_e64 v15, 0, 1, vcc
	v_lshlrev_b32_e32 v15, 4, v15
	v_add_lshl_u32 v34, v15, v9, 2
	ds_bpermute_b32 v15, v34, v12
	v_cmp_gt_u32_e32 vcc, v36, v14
	;; [unrolled: 9-line block ×3, first 2 shown]
	s_waitcnt lgkmcnt(0)
	v_max_i32_e32 v9, v9, v12
	v_cndmask_b32_e32 v12, v9, v12, vcc
	v_mov_b32_e32 v9, 0
	s_branch .LBB2740_40
.LBB2740_39:                            ;   in Loop: Header=BB2740_40 Depth=1
	s_or_b64 exec, exec, s[10:11]
	v_cmp_eq_u16_sdwa s[10:11], v13, v7 src0_sel:BYTE_0 src1_sel:DWORD
	v_and_b32_e32 v14, s11, v11
	ds_bpermute_b32 v39, v27, v12
	v_or_b32_e32 v14, 0x80000000, v14
	v_and_b32_e32 v15, s10, v10
	v_ffbl_b32_e32 v14, v14
	v_add_u32_e32 v14, 32, v14
	v_ffbl_b32_e32 v15, v15
	v_min_u32_e32 v14, v15, v14
	s_waitcnt lgkmcnt(0)
	v_max_i32_e32 v15, v39, v12
	v_cmp_lt_u32_e32 vcc, v26, v14
	v_cndmask_b32_e32 v12, v12, v15, vcc
	ds_bpermute_b32 v15, v28, v12
	v_cmp_gt_u32_e32 vcc, v29, v14
	v_subrev_u32_e32 v8, 64, v8
	s_waitcnt lgkmcnt(0)
	v_max_i32_e32 v15, v15, v12
	v_cndmask_b32_e32 v12, v15, v12, vcc
	ds_bpermute_b32 v15, v30, v12
	v_cmp_gt_u32_e32 vcc, v31, v14
	s_waitcnt lgkmcnt(0)
	v_max_i32_e32 v15, v15, v12
	v_cndmask_b32_e32 v12, v15, v12, vcc
	ds_bpermute_b32 v15, v32, v12
	v_cmp_gt_u32_e32 vcc, v33, v14
	;; [unrolled: 5-line block ×4, first 2 shown]
	s_waitcnt lgkmcnt(0)
	v_max_i32_e32 v15, v15, v12
	v_cndmask_b32_e32 v12, v15, v12, vcc
	v_max_i32_e32 v12, v12, v35
.LBB2740_40:                            ; =>This Loop Header: Depth=1
                                        ;     Child Loop BB2740_43 Depth 2
                                        ;       Child Loop BB2740_44 Depth 3
	v_cmp_ne_u16_sdwa s[10:11], v13, v7 src0_sel:BYTE_0 src1_sel:DWORD
	v_cndmask_b32_e64 v13, 0, 1, s[10:11]
	;;#ASMSTART
	;;#ASMEND
	v_cmp_ne_u32_e32 vcc, 0, v13
	s_cmp_lg_u64 vcc, exec
	v_mov_b32_e32 v35, v12
	s_cbranch_scc1 .LBB2740_47
; %bb.41:                               ;   in Loop: Header=BB2740_40 Depth=1
	v_lshlrev_b64 v[12:13], 3, v[8:9]
	v_mov_b32_e32 v15, s21
	v_add_co_u32_e32 v14, vcc, s20, v12
	v_addc_co_u32_e32 v15, vcc, v15, v13, vcc
	global_load_dwordx2 v[12:13], v[14:15], off glc
	s_waitcnt vmcnt(0)
	v_cmp_eq_u16_sdwa s[22:23], v13, v9 src0_sel:BYTE_0 src1_sel:DWORD
	s_and_saveexec_b64 s[10:11], s[22:23]
	s_cbranch_execz .LBB2740_39
; %bb.42:                               ;   in Loop: Header=BB2740_40 Depth=1
	s_mov_b32 s7, 1
	s_mov_b64 s[22:23], 0
.LBB2740_43:                            ;   Parent Loop BB2740_40 Depth=1
                                        ; =>  This Loop Header: Depth=2
                                        ;       Child Loop BB2740_44 Depth 3
	s_max_u32 s26, s7, 1
.LBB2740_44:                            ;   Parent Loop BB2740_40 Depth=1
                                        ;     Parent Loop BB2740_43 Depth=2
                                        ; =>    This Inner Loop Header: Depth=3
	s_add_i32 s26, s26, -1
	s_cmp_eq_u32 s26, 0
	s_sleep 1
	s_cbranch_scc0 .LBB2740_44
; %bb.45:                               ;   in Loop: Header=BB2740_43 Depth=2
	global_load_dwordx2 v[12:13], v[14:15], off glc
	s_cmp_lt_u32 s7, 32
	s_cselect_b64 s[26:27], -1, 0
	s_cmp_lg_u64 s[26:27], 0
	s_addc_u32 s7, s7, 0
	s_waitcnt vmcnt(0)
	v_cmp_ne_u16_sdwa s[26:27], v13, v9 src0_sel:BYTE_0 src1_sel:DWORD
	s_or_b64 s[22:23], s[26:27], s[22:23]
	s_andn2_b64 exec, exec, s[22:23]
	s_cbranch_execnz .LBB2740_43
; %bb.46:                               ;   in Loop: Header=BB2740_40 Depth=1
	s_or_b64 exec, exec, s[22:23]
	s_branch .LBB2740_39
.LBB2740_47:                            ;   in Loop: Header=BB2740_40 Depth=1
                                        ; implicit-def: $vgpr12
                                        ; implicit-def: $vgpr13
	s_cbranch_execz .LBB2740_40
; %bb.48:
	s_and_saveexec_b64 s[10:11], s[2:3]
	s_cbranch_execz .LBB2740_50
; %bb.49:
	s_add_i32 s2, s6, 64
	s_mov_b32 s3, 0
	s_lshl_b64 s[2:3], s[2:3], 3
	s_add_u32 s2, s20, s2
	v_max_i32_e32 v6, v35, v6
	v_mov_b32_e32 v7, 2
	s_addc_u32 s3, s21, s3
	v_mov_b32_e32 v8, 0
	global_store_dwordx2 v8, v[6:7], s[2:3]
.LBB2740_50:
	s_or_b64 exec, exec, s[10:11]
	s_and_b64 exec, exec, s[0:1]
	s_cbranch_execz .LBB2740_52
; %bb.51:
	v_mov_b32_e32 v6, 0
	ds_write_b32 v6, v35
.LBB2740_52:
	s_or_b64 exec, exec, s[8:9]
	v_mov_b32_e32 v6, 0
	s_waitcnt lgkmcnt(0)
	s_barrier
	ds_read_b32 v6, v6
	v_max_i32_e32 v7, v25, v2
	v_cndmask_b32_e64 v7, v7, v2, s[0:1]
	s_waitcnt lgkmcnt(0)
	v_max_i32_e32 v6, v6, v7
	v_max_i32_e32 v7, v6, v3
	;; [unrolled: 1-line block ×10, first 2 shown]
	s_load_dwordx8 s[4:11], s[4:5], 0x38
	s_branch .LBB2740_65
.LBB2740_53:
                                        ; implicit-def: $vgpr6_vgpr7_vgpr8_vgpr9_vgpr10_vgpr11_vgpr12_vgpr13_vgpr14_vgpr15
	s_load_dwordx8 s[4:11], s[4:5], 0x38
	s_cbranch_execz .LBB2740_65
; %bb.54:
	s_waitcnt lgkmcnt(0)
	s_cmp_lg_u64 s[8:9], 0
	s_cselect_b64 s[2:3], -1, 0
	v_cmp_eq_u32_e64 s[0:1], 0, v0
	v_cmp_ne_u32_e32 vcc, 0, v0
	s_and_b64 s[8:9], s[0:1], s[2:3]
	v_mov_b32_e32 v12, v3
	v_mov_b32_e32 v13, v4
	;; [unrolled: 1-line block ×3, first 2 shown]
	s_and_saveexec_b64 s[2:3], s[8:9]
	s_cbranch_execz .LBB2740_56
; %bb.55:
	v_mov_b32_e32 v6, 0
	global_load_dword v6, v6, s[4:5]
	v_mov_b32_e32 v12, v3
	v_mov_b32_e32 v13, v4
	v_mov_b32_e32 v14, v5
	s_waitcnt vmcnt(0)
	v_max_i32_e32 v2, v6, v2
.LBB2740_56:
	s_or_b64 exec, exec, s[2:3]
	v_max_i32_e32 v3, v2, v12
	v_max_i32_e32 v4, v3, v13
	v_max_i32_e32 v5, v4, v14
	v_max_i32_e32 v6, v5, v16
	v_max_i32_e32 v7, v6, v17
	v_max_i32_e32 v8, v7, v18
	v_max_i32_e32 v9, v8, v19
	v_max_i32_e32 v10, v9, v20
	v_max_i32_e32 v11, v10, v21
	v_add_lshl_u32 v1, v1, v0, 2
	v_cmp_gt_u32_e64 s[2:3], 64, v0
	ds_write_b32 v1, v11
	s_waitcnt lgkmcnt(0)
	s_barrier
	s_and_saveexec_b64 s[4:5], s[2:3]
	s_cbranch_execz .LBB2740_58
; %bb.57:
	v_lshlrev_b32_e32 v1, 1, v0
	v_lshrrev_b32_e32 v15, 4, v0
	v_add_lshl_u32 v1, v15, v1, 2
	ds_read2_b32 v[26:27], v1 offset1:1
	v_mbcnt_lo_u32_b32 v15, -1, 0
	v_mbcnt_hi_u32_b32 v15, -1, v15
	v_and_b32_e32 v25, 15, v15
	v_cmp_eq_u32_e64 s[2:3], 0, v25
	s_waitcnt lgkmcnt(0)
	v_max_i32_e32 v27, v26, v27
	; wave barrier
	s_nop 1
	v_mov_b32_dpp v28, v27 row_shr:1 row_mask:0xf bank_mask:0xf
	v_max_i32_e32 v28, v28, v27
	v_cndmask_b32_e64 v27, v28, v27, s[2:3]
	v_cmp_lt_u32_e64 s[2:3], 1, v25
	s_nop 0
	v_mov_b32_dpp v28, v27 row_shr:2 row_mask:0xf bank_mask:0xf
	v_max_i32_e32 v28, v28, v27
	v_cndmask_b32_e64 v27, v27, v28, s[2:3]
	v_cmp_lt_u32_e64 s[2:3], 3, v25
	;; [unrolled: 5-line block ×3, first 2 shown]
	s_nop 0
	v_mov_b32_dpp v28, v27 row_shr:8 row_mask:0xf bank_mask:0xf
	v_max_i32_e32 v28, v28, v27
	v_cndmask_b32_e64 v25, v27, v28, s[2:3]
	v_and_b32_e32 v28, 16, v15
	v_cmp_eq_u32_e64 s[2:3], 0, v28
	v_mov_b32_dpp v27, v25 row_bcast:15 row_mask:0xf bank_mask:0xf
	v_max_i32_e32 v27, v27, v25
	v_cndmask_b32_e64 v25, v27, v25, s[2:3]
	v_cmp_lt_u32_e64 s[2:3], 31, v15
	v_and_b32_e32 v28, 64, v15
	v_mov_b32_dpp v27, v25 row_bcast:31 row_mask:0xf bank_mask:0xf
	v_max_i32_e32 v27, v27, v25
	v_cndmask_b32_e64 v25, v25, v27, s[2:3]
	v_add_u32_e32 v27, -1, v15
	v_cmp_lt_i32_e64 s[2:3], v27, v28
	v_cndmask_b32_e64 v15, v27, v15, s[2:3]
	v_lshlrev_b32_e32 v15, 2, v15
	ds_bpermute_b32 v15, v15, v25
	s_waitcnt lgkmcnt(0)
	v_max_i32_e32 v15, v15, v26
	v_cndmask_b32_e64 v15, v15, v11, s[0:1]
	ds_write_b32 v1, v15
	; wave barrier
	ds_read_b32 v25, v1 offset:4
	s_waitcnt lgkmcnt(0)
	v_max_i32_e32 v15, v15, v25
	ds_write_b32 v1, v15 offset:4
.LBB2740_58:
	s_or_b64 exec, exec, s[4:5]
	v_mov_b32_e32 v1, v11
	s_waitcnt lgkmcnt(0)
	s_barrier
	s_and_saveexec_b64 s[0:1], vcc
	s_cbranch_execz .LBB2740_60
; %bb.59:
	v_add_u32_e32 v1, -1, v0
	v_lshrrev_b32_e32 v15, 5, v1
	v_add_lshl_u32 v1, v15, v1, 2
	ds_read_b32 v1, v1
.LBB2740_60:
	s_or_b64 exec, exec, s[0:1]
	s_and_saveexec_b64 s[0:1], vcc
	s_cbranch_execz .LBB2740_62
; %bb.61:
	s_waitcnt lgkmcnt(0)
	v_max_i32_e32 v2, v1, v2
	v_max_i32_e32 v3, v2, v12
	;; [unrolled: 1-line block ×10, first 2 shown]
	;;#ASMSTART
	;;#ASMEND
.LBB2740_62:
	s_or_b64 exec, exec, s[0:1]
	s_movk_i32 s0, 0x7f
	v_cmp_eq_u32_e32 vcc, s0, v0
	s_and_saveexec_b64 s[0:1], vcc
	s_cbranch_execz .LBB2740_64
; %bb.63:
	s_waitcnt lgkmcnt(0)
	v_mov_b32_e32 v1, 0
	v_mov_b32_e32 v13, 2
	;; [unrolled: 1-line block ×3, first 2 shown]
	global_store_dwordx2 v1, v[12:13], s[20:21] offset:512
.LBB2740_64:
	s_or_b64 exec, exec, s[0:1]
	v_pk_mov_b32 v[14:15], v[10:11], v[10:11] op_sel:[0,1]
	v_pk_mov_b32 v[12:13], v[8:9], v[8:9] op_sel:[0,1]
	;; [unrolled: 1-line block ×5, first 2 shown]
.LBB2740_65:
	s_add_u32 s0, s12, s16
	s_addc_u32 s1, s13, s17
	s_add_u32 s2, s0, s18
	s_addc_u32 s3, s1, s19
	s_mov_b64 s[0:1], -1
	s_and_b64 vcc, exec, s[14:15]
	s_waitcnt lgkmcnt(0)
	s_barrier
	s_cbranch_vccz .LBB2740_67
; %bb.66:
	ds_write2_b64 v24, v[6:7], v[8:9] offset1:1
	ds_write2_b64 v24, v[10:11], v[12:13] offset0:2 offset1:3
	ds_write_b64 v24, v[14:15] offset:32
	s_waitcnt lgkmcnt(0)
	s_barrier
	ds_read2st64_b32 v[2:3], v22 offset1:2
	ds_read2st64_b32 v[4:5], v22 offset0:4 offset1:6
	ds_read2st64_b32 v[16:17], v22 offset0:8 offset1:10
	;; [unrolled: 1-line block ×4, first 2 shown]
	v_mov_b32_e32 v1, s3
	v_add_co_u32_e32 v26, vcc, s2, v22
	v_addc_co_u32_e32 v27, vcc, 0, v1, vcc
	s_waitcnt lgkmcnt(4)
	flat_store_dword v[26:27], v2
	flat_store_dword v[26:27], v3 offset:512
	s_waitcnt lgkmcnt(0)
	flat_store_dword v[26:27], v4 offset:1024
	flat_store_dword v[26:27], v5 offset:1536
	;; [unrolled: 1-line block ×6, first 2 shown]
	v_add_co_u32_e32 v2, vcc, 0x1000, v26
	v_addc_co_u32_e32 v3, vcc, 0, v27, vcc
	flat_store_dword v[2:3], v20
	flat_store_dword v[2:3], v21 offset:512
	s_mov_b64 s[0:1], 0
.LBB2740_67:
	s_andn2_b64 vcc, exec, s[0:1]
	s_cbranch_vccnz .LBB2740_123
; %bb.68:
	s_movk_i32 s0, 0xffdc
	ds_write2_b64 v24, v[6:7], v[8:9] offset1:1
	ds_write2_b64 v24, v[10:11], v[12:13] offset0:2 offset1:3
	ds_write_b64 v24, v[14:15] offset:32
	v_mad_i32_i24 v10, v0, s0, v24
	s_waitcnt lgkmcnt(0)
	s_barrier
	ds_read2st64_b32 v[2:3], v10 offset1:2
	ds_read2st64_b32 v[6:7], v10 offset0:4 offset1:6
	ds_read2st64_b32 v[4:5], v10 offset0:8 offset1:10
	;; [unrolled: 1-line block ×4, first 2 shown]
	v_mov_b32_e32 v13, s3
	v_add_co_u32_e32 v12, vcc, s2, v22
	v_addc_co_u32_e32 v13, vcc, 0, v13, vcc
	v_mov_b32_e32 v1, 0
	v_cmp_gt_u32_e32 vcc, s24, v0
	s_and_saveexec_b64 s[0:1], vcc
	s_cbranch_execz .LBB2740_70
; %bb.69:
	s_waitcnt lgkmcnt(0)
	flat_store_dword v[12:13], v2
.LBB2740_70:
	s_or_b64 exec, exec, s[0:1]
	v_or_b32_e32 v14, 0x80, v0
	v_cmp_gt_u32_e32 vcc, s24, v14
	s_and_saveexec_b64 s[0:1], vcc
	s_cbranch_execz .LBB2740_72
; %bb.71:
	s_waitcnt lgkmcnt(0)
	flat_store_dword v[12:13], v3 offset:512
.LBB2740_72:
	s_or_b64 exec, exec, s[0:1]
	v_or_b32_e32 v14, 0x100, v0
	v_cmp_gt_u32_e32 vcc, s24, v14
	s_and_saveexec_b64 s[0:1], vcc
	s_cbranch_execz .LBB2740_74
; %bb.73:
	s_waitcnt lgkmcnt(0)
	flat_store_dword v[12:13], v6 offset:1024
.LBB2740_74:
	;; [unrolled: 9-line block ×7, first 2 shown]
	s_or_b64 exec, exec, s[0:1]
	v_or_b32_e32 v14, 0x400, v0
	v_cmp_gt_u32_e32 vcc, s24, v14
	s_and_saveexec_b64 s[0:1], vcc
	s_cbranch_execz .LBB2740_86
; %bb.85:
	v_add_co_u32_e32 v14, vcc, 0x1000, v12
	v_addc_co_u32_e32 v15, vcc, 0, v13, vcc
	s_waitcnt lgkmcnt(0)
	flat_store_dword v[14:15], v10
.LBB2740_86:
	s_or_b64 exec, exec, s[0:1]
	v_or_b32_e32 v14, 0x480, v0
	v_cmp_gt_u32_e32 vcc, s24, v14
	s_and_saveexec_b64 s[0:1], vcc
	s_cbranch_execz .LBB2740_88
; %bb.87:
	v_add_co_u32_e32 v12, vcc, 0x1000, v12
	v_addc_co_u32_e32 v13, vcc, 0, v13, vcc
	s_waitcnt lgkmcnt(0)
	flat_store_dword v[12:13], v11 offset:512
.LBB2740_88:
	s_or_b64 exec, exec, s[0:1]
	v_cmp_lt_u64_e64 s[0:1], s[10:11], 2
	s_and_b64 vcc, exec, s[0:1]
	s_cbranch_vccnz .LBB2740_123
; %bb.89:
	s_add_u32 s0, s24, -1
	s_addc_u32 s1, s25, -1
	s_add_u32 s2, 0, 0x99986000
	s_addc_u32 s3, 0, 0x59
	s_add_i32 s3, s3, 0x19999940
	s_mul_hi_u32 s9, s2, -10
	s_sub_i32 s9, s9, s2
	s_mul_i32 s10, s3, -10
	s_mul_i32 s4, s2, -10
	s_add_i32 s9, s9, s10
	s_mul_hi_u32 s5, s3, s4
	s_mul_i32 s8, s3, s4
	s_mul_i32 s11, s2, s9
	s_mul_hi_u32 s4, s2, s4
	s_mul_hi_u32 s10, s2, s9
	s_add_u32 s4, s4, s11
	s_addc_u32 s10, 0, s10
	s_add_u32 s4, s4, s8
	s_mul_hi_u32 s11, s3, s9
	s_addc_u32 s4, s10, s5
	s_addc_u32 s5, s11, 0
	s_mul_i32 s8, s3, s9
	s_add_u32 s4, s4, s8
	v_mov_b32_e32 v12, s4
	s_addc_u32 s5, 0, s5
	v_add_co_u32_e32 v12, vcc, s2, v12
	s_cmp_lg_u64 vcc, 0
	s_addc_u32 s2, s3, s5
	v_readfirstlane_b32 s5, v12
	s_mul_i32 s4, s0, s2
	s_mul_hi_u32 s8, s0, s5
	s_mul_hi_u32 s3, s0, s2
	s_add_u32 s4, s8, s4
	s_addc_u32 s3, 0, s3
	s_mul_hi_u32 s9, s1, s5
	s_mul_i32 s5, s1, s5
	s_add_u32 s4, s4, s5
	s_mul_hi_u32 s8, s1, s2
	s_addc_u32 s3, s3, s9
	s_addc_u32 s4, s8, 0
	s_mul_i32 s2, s1, s2
	s_add_u32 s2, s3, s2
	s_addc_u32 s3, 0, s4
	s_add_u32 s4, s2, 1
	s_addc_u32 s5, s3, 0
	s_add_u32 s8, s2, 2
	s_mul_i32 s10, s3, 10
	s_mul_hi_u32 s11, s2, 10
	s_addc_u32 s9, s3, 0
	s_add_i32 s11, s11, s10
	s_mul_i32 s10, s2, 10
	v_mov_b32_e32 v12, s10
	v_sub_co_u32_e32 v12, vcc, s0, v12
	s_cmp_lg_u64 vcc, 0
	s_subb_u32 s10, s1, s11
	v_subrev_co_u32_e32 v13, vcc, 10, v12
	s_cmp_lg_u64 vcc, 0
	s_subb_u32 s11, s10, 0
	v_readfirstlane_b32 s12, v13
	s_cmp_gt_u32 s12, 9
	s_cselect_b32 s12, -1, 0
	s_cmp_eq_u32 s11, 0
	s_cselect_b32 s11, s12, -1
	s_cmp_lg_u32 s11, 0
	s_cselect_b32 s4, s8, s4
	v_readfirstlane_b32 s8, v12
	s_cselect_b32 s5, s9, s5
	s_cmp_gt_u32 s8, 9
	s_cselect_b32 s8, -1, 0
	s_cmp_eq_u32 s10, 0
	s_cselect_b32 s8, s8, -1
	s_cmp_lg_u32 s8, 0
	s_cselect_b32 s3, s5, s3
	s_cselect_b32 s2, s4, s2
	v_cmp_eq_u64_e32 vcc, s[2:3], v[0:1]
	s_and_saveexec_b64 s[2:3], vcc
	s_cbranch_execz .LBB2740_123
; %bb.90:
	v_mul_hi_u32_u24_e32 v1, 10, v0
	v_mov_b32_e32 v12, s1
	v_sub_co_u32_e32 v0, vcc, s0, v23
	v_subb_co_u32_e32 v1, vcc, v12, v1, vcc
	v_cmp_lt_i64_e32 vcc, 4, v[0:1]
	s_and_saveexec_b64 s[0:1], vcc
	s_xor_b64 s[0:1], exec, s[0:1]
	s_cbranch_execz .LBB2740_108
; %bb.91:
	v_cmp_lt_i64_e32 vcc, 6, v[0:1]
	s_and_saveexec_b64 s[2:3], vcc
	s_xor_b64 s[2:3], exec, s[2:3]
	s_cbranch_execz .LBB2740_101
; %bb.92:
	;; [unrolled: 5-line block ×4, first 2 shown]
	v_mov_b32_e32 v0, 0
	s_waitcnt lgkmcnt(0)
	global_store_dword v0, v11, s[6:7]
                                        ; implicit-def: $vgpr10_vgpr11
.LBB2740_95:
	s_andn2_saveexec_b64 s[8:9], s[8:9]
	s_cbranch_execz .LBB2740_97
; %bb.96:
	v_mov_b32_e32 v0, 0
	s_waitcnt lgkmcnt(0)
	global_store_dword v0, v10, s[6:7]
.LBB2740_97:
	s_or_b64 exec, exec, s[8:9]
                                        ; implicit-def: $vgpr8_vgpr9
.LBB2740_98:
	s_andn2_saveexec_b64 s[4:5], s[4:5]
	s_cbranch_execz .LBB2740_100
; %bb.99:
	v_mov_b32_e32 v0, 0
	s_waitcnt lgkmcnt(0)
	global_store_dword v0, v9, s[6:7]
.LBB2740_100:
	s_or_b64 exec, exec, s[4:5]
                                        ; implicit-def: $vgpr4_vgpr5
                                        ; implicit-def: $vgpr0_vgpr1
                                        ; implicit-def: $vgpr8_vgpr9
.LBB2740_101:
	s_andn2_saveexec_b64 s[2:3], s[2:3]
	s_cbranch_execz .LBB2740_107
; %bb.102:
	v_cmp_lt_i64_e32 vcc, 5, v[0:1]
	s_and_saveexec_b64 s[4:5], vcc
	s_xor_b64 s[4:5], exec, s[4:5]
	s_cbranch_execz .LBB2740_104
; %bb.103:
	v_mov_b32_e32 v0, 0
	s_waitcnt lgkmcnt(0)
	global_store_dword v0, v8, s[6:7]
                                        ; implicit-def: $vgpr4_vgpr5
.LBB2740_104:
	s_andn2_saveexec_b64 s[4:5], s[4:5]
	s_cbranch_execz .LBB2740_106
; %bb.105:
	v_mov_b32_e32 v0, 0
	s_waitcnt lgkmcnt(0)
	global_store_dword v0, v5, s[6:7]
.LBB2740_106:
	s_or_b64 exec, exec, s[4:5]
.LBB2740_107:
	s_or_b64 exec, exec, s[2:3]
                                        ; implicit-def: $vgpr0_vgpr1
                                        ; implicit-def: $vgpr6_vgpr7
                                        ; implicit-def: $vgpr2_vgpr3
                                        ; implicit-def: $vgpr4_vgpr5
.LBB2740_108:
	s_andn2_saveexec_b64 s[0:1], s[0:1]
	s_cbranch_execz .LBB2740_123
; %bb.109:
	v_cmp_lt_i64_e32 vcc, 2, v[0:1]
	s_and_saveexec_b64 s[0:1], vcc
	s_xor_b64 s[0:1], exec, s[0:1]
	s_cbranch_execz .LBB2740_115
; %bb.110:
	v_cmp_lt_i64_e32 vcc, 3, v[0:1]
	s_and_saveexec_b64 s[2:3], vcc
	s_xor_b64 s[2:3], exec, s[2:3]
	s_cbranch_execz .LBB2740_112
; %bb.111:
	v_mov_b32_e32 v0, 0
	s_waitcnt lgkmcnt(0)
	global_store_dword v0, v4, s[6:7]
                                        ; implicit-def: $vgpr6_vgpr7
.LBB2740_112:
	s_andn2_saveexec_b64 s[2:3], s[2:3]
	s_cbranch_execz .LBB2740_114
; %bb.113:
	v_mov_b32_e32 v0, 0
	s_waitcnt lgkmcnt(0)
	global_store_dword v0, v7, s[6:7]
.LBB2740_114:
	s_or_b64 exec, exec, s[2:3]
                                        ; implicit-def: $vgpr0_vgpr1
                                        ; implicit-def: $vgpr6_vgpr7
                                        ; implicit-def: $vgpr2_vgpr3
.LBB2740_115:
	s_andn2_saveexec_b64 s[0:1], s[0:1]
	s_cbranch_execz .LBB2740_123
; %bb.116:
	v_cmp_lt_i64_e32 vcc, 1, v[0:1]
	s_and_saveexec_b64 s[0:1], vcc
	s_xor_b64 s[0:1], exec, s[0:1]
	s_cbranch_execz .LBB2740_118
; %bb.117:
	v_mov_b32_e32 v0, 0
	s_waitcnt lgkmcnt(0)
	global_store_dword v0, v6, s[6:7]
                                        ; implicit-def: $vgpr2_vgpr3
                                        ; implicit-def: $vgpr0_vgpr1
.LBB2740_118:
	s_andn2_saveexec_b64 s[0:1], s[0:1]
	s_cbranch_execz .LBB2740_123
; %bb.119:
	v_cmp_ne_u64_e32 vcc, 1, v[0:1]
	s_and_saveexec_b64 s[0:1], vcc
	s_xor_b64 s[0:1], exec, s[0:1]
	s_cbranch_execz .LBB2740_121
; %bb.120:
	v_mov_b32_e32 v0, 0
	s_waitcnt lgkmcnt(0)
	global_store_dword v0, v2, s[6:7]
                                        ; implicit-def: $vgpr2_vgpr3
.LBB2740_121:
	s_andn2_saveexec_b64 s[0:1], s[0:1]
	s_cbranch_execz .LBB2740_123
; %bb.122:
	v_mov_b32_e32 v0, 0
	s_waitcnt lgkmcnt(0)
	global_store_dword v0, v3, s[6:7]
.LBB2740_123:
	s_endpgm
	.section	.rodata,"a",@progbits
	.p2align	6, 0x0
	.amdhsa_kernel _ZN7rocprim17ROCPRIM_400000_NS6detail17trampoline_kernelINS0_14default_configENS1_20scan_config_selectorIiEEZZNS1_9scan_implILNS1_25lookback_scan_determinismE0ELb0ELb0ES3_N6thrust23THRUST_200600_302600_NS6detail15normal_iteratorINS9_10device_ptrIiEEEESE_i11max_functorIiEiEEDaPvRmT3_T4_T5_mT6_P12ihipStream_tbENKUlT_T0_E_clISt17integral_constantIbLb1EEST_IbLb0EEEEDaSP_SQ_EUlSP_E_NS1_11comp_targetILNS1_3genE4ELNS1_11target_archE910ELNS1_3gpuE8ELNS1_3repE0EEENS1_30default_config_static_selectorELNS0_4arch9wavefront6targetE1EEEvT1_
		.amdhsa_group_segment_fixed_size 5120
		.amdhsa_private_segment_fixed_size 0
		.amdhsa_kernarg_size 96
		.amdhsa_user_sgpr_count 6
		.amdhsa_user_sgpr_private_segment_buffer 1
		.amdhsa_user_sgpr_dispatch_ptr 0
		.amdhsa_user_sgpr_queue_ptr 0
		.amdhsa_user_sgpr_kernarg_segment_ptr 1
		.amdhsa_user_sgpr_dispatch_id 0
		.amdhsa_user_sgpr_flat_scratch_init 0
		.amdhsa_user_sgpr_kernarg_preload_length 0
		.amdhsa_user_sgpr_kernarg_preload_offset 0
		.amdhsa_user_sgpr_private_segment_size 0
		.amdhsa_uses_dynamic_stack 0
		.amdhsa_system_sgpr_private_segment_wavefront_offset 0
		.amdhsa_system_sgpr_workgroup_id_x 1
		.amdhsa_system_sgpr_workgroup_id_y 0
		.amdhsa_system_sgpr_workgroup_id_z 0
		.amdhsa_system_sgpr_workgroup_info 0
		.amdhsa_system_vgpr_workitem_id 0
		.amdhsa_next_free_vgpr 40
		.amdhsa_next_free_sgpr 28
		.amdhsa_accum_offset 40
		.amdhsa_reserve_vcc 1
		.amdhsa_reserve_flat_scratch 0
		.amdhsa_float_round_mode_32 0
		.amdhsa_float_round_mode_16_64 0
		.amdhsa_float_denorm_mode_32 3
		.amdhsa_float_denorm_mode_16_64 3
		.amdhsa_dx10_clamp 1
		.amdhsa_ieee_mode 1
		.amdhsa_fp16_overflow 0
		.amdhsa_tg_split 0
		.amdhsa_exception_fp_ieee_invalid_op 0
		.amdhsa_exception_fp_denorm_src 0
		.amdhsa_exception_fp_ieee_div_zero 0
		.amdhsa_exception_fp_ieee_overflow 0
		.amdhsa_exception_fp_ieee_underflow 0
		.amdhsa_exception_fp_ieee_inexact 0
		.amdhsa_exception_int_div_zero 0
	.end_amdhsa_kernel
	.section	.text._ZN7rocprim17ROCPRIM_400000_NS6detail17trampoline_kernelINS0_14default_configENS1_20scan_config_selectorIiEEZZNS1_9scan_implILNS1_25lookback_scan_determinismE0ELb0ELb0ES3_N6thrust23THRUST_200600_302600_NS6detail15normal_iteratorINS9_10device_ptrIiEEEESE_i11max_functorIiEiEEDaPvRmT3_T4_T5_mT6_P12ihipStream_tbENKUlT_T0_E_clISt17integral_constantIbLb1EEST_IbLb0EEEEDaSP_SQ_EUlSP_E_NS1_11comp_targetILNS1_3genE4ELNS1_11target_archE910ELNS1_3gpuE8ELNS1_3repE0EEENS1_30default_config_static_selectorELNS0_4arch9wavefront6targetE1EEEvT1_,"axG",@progbits,_ZN7rocprim17ROCPRIM_400000_NS6detail17trampoline_kernelINS0_14default_configENS1_20scan_config_selectorIiEEZZNS1_9scan_implILNS1_25lookback_scan_determinismE0ELb0ELb0ES3_N6thrust23THRUST_200600_302600_NS6detail15normal_iteratorINS9_10device_ptrIiEEEESE_i11max_functorIiEiEEDaPvRmT3_T4_T5_mT6_P12ihipStream_tbENKUlT_T0_E_clISt17integral_constantIbLb1EEST_IbLb0EEEEDaSP_SQ_EUlSP_E_NS1_11comp_targetILNS1_3genE4ELNS1_11target_archE910ELNS1_3gpuE8ELNS1_3repE0EEENS1_30default_config_static_selectorELNS0_4arch9wavefront6targetE1EEEvT1_,comdat
.Lfunc_end2740:
	.size	_ZN7rocprim17ROCPRIM_400000_NS6detail17trampoline_kernelINS0_14default_configENS1_20scan_config_selectorIiEEZZNS1_9scan_implILNS1_25lookback_scan_determinismE0ELb0ELb0ES3_N6thrust23THRUST_200600_302600_NS6detail15normal_iteratorINS9_10device_ptrIiEEEESE_i11max_functorIiEiEEDaPvRmT3_T4_T5_mT6_P12ihipStream_tbENKUlT_T0_E_clISt17integral_constantIbLb1EEST_IbLb0EEEEDaSP_SQ_EUlSP_E_NS1_11comp_targetILNS1_3genE4ELNS1_11target_archE910ELNS1_3gpuE8ELNS1_3repE0EEENS1_30default_config_static_selectorELNS0_4arch9wavefront6targetE1EEEvT1_, .Lfunc_end2740-_ZN7rocprim17ROCPRIM_400000_NS6detail17trampoline_kernelINS0_14default_configENS1_20scan_config_selectorIiEEZZNS1_9scan_implILNS1_25lookback_scan_determinismE0ELb0ELb0ES3_N6thrust23THRUST_200600_302600_NS6detail15normal_iteratorINS9_10device_ptrIiEEEESE_i11max_functorIiEiEEDaPvRmT3_T4_T5_mT6_P12ihipStream_tbENKUlT_T0_E_clISt17integral_constantIbLb1EEST_IbLb0EEEEDaSP_SQ_EUlSP_E_NS1_11comp_targetILNS1_3genE4ELNS1_11target_archE910ELNS1_3gpuE8ELNS1_3repE0EEENS1_30default_config_static_selectorELNS0_4arch9wavefront6targetE1EEEvT1_
                                        ; -- End function
	.section	.AMDGPU.csdata,"",@progbits
; Kernel info:
; codeLenInByte = 4628
; NumSgprs: 32
; NumVgprs: 40
; NumAgprs: 0
; TotalNumVgprs: 40
; ScratchSize: 0
; MemoryBound: 0
; FloatMode: 240
; IeeeMode: 1
; LDSByteSize: 5120 bytes/workgroup (compile time only)
; SGPRBlocks: 3
; VGPRBlocks: 4
; NumSGPRsForWavesPerEU: 32
; NumVGPRsForWavesPerEU: 40
; AccumOffset: 40
; Occupancy: 6
; WaveLimiterHint : 1
; COMPUTE_PGM_RSRC2:SCRATCH_EN: 0
; COMPUTE_PGM_RSRC2:USER_SGPR: 6
; COMPUTE_PGM_RSRC2:TRAP_HANDLER: 0
; COMPUTE_PGM_RSRC2:TGID_X_EN: 1
; COMPUTE_PGM_RSRC2:TGID_Y_EN: 0
; COMPUTE_PGM_RSRC2:TGID_Z_EN: 0
; COMPUTE_PGM_RSRC2:TIDIG_COMP_CNT: 0
; COMPUTE_PGM_RSRC3_GFX90A:ACCUM_OFFSET: 9
; COMPUTE_PGM_RSRC3_GFX90A:TG_SPLIT: 0
	.section	.text._ZN7rocprim17ROCPRIM_400000_NS6detail17trampoline_kernelINS0_14default_configENS1_20scan_config_selectorIiEEZZNS1_9scan_implILNS1_25lookback_scan_determinismE0ELb0ELb0ES3_N6thrust23THRUST_200600_302600_NS6detail15normal_iteratorINS9_10device_ptrIiEEEESE_i11max_functorIiEiEEDaPvRmT3_T4_T5_mT6_P12ihipStream_tbENKUlT_T0_E_clISt17integral_constantIbLb1EEST_IbLb0EEEEDaSP_SQ_EUlSP_E_NS1_11comp_targetILNS1_3genE3ELNS1_11target_archE908ELNS1_3gpuE7ELNS1_3repE0EEENS1_30default_config_static_selectorELNS0_4arch9wavefront6targetE1EEEvT1_,"axG",@progbits,_ZN7rocprim17ROCPRIM_400000_NS6detail17trampoline_kernelINS0_14default_configENS1_20scan_config_selectorIiEEZZNS1_9scan_implILNS1_25lookback_scan_determinismE0ELb0ELb0ES3_N6thrust23THRUST_200600_302600_NS6detail15normal_iteratorINS9_10device_ptrIiEEEESE_i11max_functorIiEiEEDaPvRmT3_T4_T5_mT6_P12ihipStream_tbENKUlT_T0_E_clISt17integral_constantIbLb1EEST_IbLb0EEEEDaSP_SQ_EUlSP_E_NS1_11comp_targetILNS1_3genE3ELNS1_11target_archE908ELNS1_3gpuE7ELNS1_3repE0EEENS1_30default_config_static_selectorELNS0_4arch9wavefront6targetE1EEEvT1_,comdat
	.protected	_ZN7rocprim17ROCPRIM_400000_NS6detail17trampoline_kernelINS0_14default_configENS1_20scan_config_selectorIiEEZZNS1_9scan_implILNS1_25lookback_scan_determinismE0ELb0ELb0ES3_N6thrust23THRUST_200600_302600_NS6detail15normal_iteratorINS9_10device_ptrIiEEEESE_i11max_functorIiEiEEDaPvRmT3_T4_T5_mT6_P12ihipStream_tbENKUlT_T0_E_clISt17integral_constantIbLb1EEST_IbLb0EEEEDaSP_SQ_EUlSP_E_NS1_11comp_targetILNS1_3genE3ELNS1_11target_archE908ELNS1_3gpuE7ELNS1_3repE0EEENS1_30default_config_static_selectorELNS0_4arch9wavefront6targetE1EEEvT1_ ; -- Begin function _ZN7rocprim17ROCPRIM_400000_NS6detail17trampoline_kernelINS0_14default_configENS1_20scan_config_selectorIiEEZZNS1_9scan_implILNS1_25lookback_scan_determinismE0ELb0ELb0ES3_N6thrust23THRUST_200600_302600_NS6detail15normal_iteratorINS9_10device_ptrIiEEEESE_i11max_functorIiEiEEDaPvRmT3_T4_T5_mT6_P12ihipStream_tbENKUlT_T0_E_clISt17integral_constantIbLb1EEST_IbLb0EEEEDaSP_SQ_EUlSP_E_NS1_11comp_targetILNS1_3genE3ELNS1_11target_archE908ELNS1_3gpuE7ELNS1_3repE0EEENS1_30default_config_static_selectorELNS0_4arch9wavefront6targetE1EEEvT1_
	.globl	_ZN7rocprim17ROCPRIM_400000_NS6detail17trampoline_kernelINS0_14default_configENS1_20scan_config_selectorIiEEZZNS1_9scan_implILNS1_25lookback_scan_determinismE0ELb0ELb0ES3_N6thrust23THRUST_200600_302600_NS6detail15normal_iteratorINS9_10device_ptrIiEEEESE_i11max_functorIiEiEEDaPvRmT3_T4_T5_mT6_P12ihipStream_tbENKUlT_T0_E_clISt17integral_constantIbLb1EEST_IbLb0EEEEDaSP_SQ_EUlSP_E_NS1_11comp_targetILNS1_3genE3ELNS1_11target_archE908ELNS1_3gpuE7ELNS1_3repE0EEENS1_30default_config_static_selectorELNS0_4arch9wavefront6targetE1EEEvT1_
	.p2align	8
	.type	_ZN7rocprim17ROCPRIM_400000_NS6detail17trampoline_kernelINS0_14default_configENS1_20scan_config_selectorIiEEZZNS1_9scan_implILNS1_25lookback_scan_determinismE0ELb0ELb0ES3_N6thrust23THRUST_200600_302600_NS6detail15normal_iteratorINS9_10device_ptrIiEEEESE_i11max_functorIiEiEEDaPvRmT3_T4_T5_mT6_P12ihipStream_tbENKUlT_T0_E_clISt17integral_constantIbLb1EEST_IbLb0EEEEDaSP_SQ_EUlSP_E_NS1_11comp_targetILNS1_3genE3ELNS1_11target_archE908ELNS1_3gpuE7ELNS1_3repE0EEENS1_30default_config_static_selectorELNS0_4arch9wavefront6targetE1EEEvT1_,@function
_ZN7rocprim17ROCPRIM_400000_NS6detail17trampoline_kernelINS0_14default_configENS1_20scan_config_selectorIiEEZZNS1_9scan_implILNS1_25lookback_scan_determinismE0ELb0ELb0ES3_N6thrust23THRUST_200600_302600_NS6detail15normal_iteratorINS9_10device_ptrIiEEEESE_i11max_functorIiEiEEDaPvRmT3_T4_T5_mT6_P12ihipStream_tbENKUlT_T0_E_clISt17integral_constantIbLb1EEST_IbLb0EEEEDaSP_SQ_EUlSP_E_NS1_11comp_targetILNS1_3genE3ELNS1_11target_archE908ELNS1_3gpuE7ELNS1_3repE0EEENS1_30default_config_static_selectorELNS0_4arch9wavefront6targetE1EEEvT1_: ; @_ZN7rocprim17ROCPRIM_400000_NS6detail17trampoline_kernelINS0_14default_configENS1_20scan_config_selectorIiEEZZNS1_9scan_implILNS1_25lookback_scan_determinismE0ELb0ELb0ES3_N6thrust23THRUST_200600_302600_NS6detail15normal_iteratorINS9_10device_ptrIiEEEESE_i11max_functorIiEiEEDaPvRmT3_T4_T5_mT6_P12ihipStream_tbENKUlT_T0_E_clISt17integral_constantIbLb1EEST_IbLb0EEEEDaSP_SQ_EUlSP_E_NS1_11comp_targetILNS1_3genE3ELNS1_11target_archE908ELNS1_3gpuE7ELNS1_3repE0EEENS1_30default_config_static_selectorELNS0_4arch9wavefront6targetE1EEEvT1_
; %bb.0:
	.section	.rodata,"a",@progbits
	.p2align	6, 0x0
	.amdhsa_kernel _ZN7rocprim17ROCPRIM_400000_NS6detail17trampoline_kernelINS0_14default_configENS1_20scan_config_selectorIiEEZZNS1_9scan_implILNS1_25lookback_scan_determinismE0ELb0ELb0ES3_N6thrust23THRUST_200600_302600_NS6detail15normal_iteratorINS9_10device_ptrIiEEEESE_i11max_functorIiEiEEDaPvRmT3_T4_T5_mT6_P12ihipStream_tbENKUlT_T0_E_clISt17integral_constantIbLb1EEST_IbLb0EEEEDaSP_SQ_EUlSP_E_NS1_11comp_targetILNS1_3genE3ELNS1_11target_archE908ELNS1_3gpuE7ELNS1_3repE0EEENS1_30default_config_static_selectorELNS0_4arch9wavefront6targetE1EEEvT1_
		.amdhsa_group_segment_fixed_size 0
		.amdhsa_private_segment_fixed_size 0
		.amdhsa_kernarg_size 96
		.amdhsa_user_sgpr_count 6
		.amdhsa_user_sgpr_private_segment_buffer 1
		.amdhsa_user_sgpr_dispatch_ptr 0
		.amdhsa_user_sgpr_queue_ptr 0
		.amdhsa_user_sgpr_kernarg_segment_ptr 1
		.amdhsa_user_sgpr_dispatch_id 0
		.amdhsa_user_sgpr_flat_scratch_init 0
		.amdhsa_user_sgpr_kernarg_preload_length 0
		.amdhsa_user_sgpr_kernarg_preload_offset 0
		.amdhsa_user_sgpr_private_segment_size 0
		.amdhsa_uses_dynamic_stack 0
		.amdhsa_system_sgpr_private_segment_wavefront_offset 0
		.amdhsa_system_sgpr_workgroup_id_x 1
		.amdhsa_system_sgpr_workgroup_id_y 0
		.amdhsa_system_sgpr_workgroup_id_z 0
		.amdhsa_system_sgpr_workgroup_info 0
		.amdhsa_system_vgpr_workitem_id 0
		.amdhsa_next_free_vgpr 1
		.amdhsa_next_free_sgpr 0
		.amdhsa_accum_offset 4
		.amdhsa_reserve_vcc 0
		.amdhsa_reserve_flat_scratch 0
		.amdhsa_float_round_mode_32 0
		.amdhsa_float_round_mode_16_64 0
		.amdhsa_float_denorm_mode_32 3
		.amdhsa_float_denorm_mode_16_64 3
		.amdhsa_dx10_clamp 1
		.amdhsa_ieee_mode 1
		.amdhsa_fp16_overflow 0
		.amdhsa_tg_split 0
		.amdhsa_exception_fp_ieee_invalid_op 0
		.amdhsa_exception_fp_denorm_src 0
		.amdhsa_exception_fp_ieee_div_zero 0
		.amdhsa_exception_fp_ieee_overflow 0
		.amdhsa_exception_fp_ieee_underflow 0
		.amdhsa_exception_fp_ieee_inexact 0
		.amdhsa_exception_int_div_zero 0
	.end_amdhsa_kernel
	.section	.text._ZN7rocprim17ROCPRIM_400000_NS6detail17trampoline_kernelINS0_14default_configENS1_20scan_config_selectorIiEEZZNS1_9scan_implILNS1_25lookback_scan_determinismE0ELb0ELb0ES3_N6thrust23THRUST_200600_302600_NS6detail15normal_iteratorINS9_10device_ptrIiEEEESE_i11max_functorIiEiEEDaPvRmT3_T4_T5_mT6_P12ihipStream_tbENKUlT_T0_E_clISt17integral_constantIbLb1EEST_IbLb0EEEEDaSP_SQ_EUlSP_E_NS1_11comp_targetILNS1_3genE3ELNS1_11target_archE908ELNS1_3gpuE7ELNS1_3repE0EEENS1_30default_config_static_selectorELNS0_4arch9wavefront6targetE1EEEvT1_,"axG",@progbits,_ZN7rocprim17ROCPRIM_400000_NS6detail17trampoline_kernelINS0_14default_configENS1_20scan_config_selectorIiEEZZNS1_9scan_implILNS1_25lookback_scan_determinismE0ELb0ELb0ES3_N6thrust23THRUST_200600_302600_NS6detail15normal_iteratorINS9_10device_ptrIiEEEESE_i11max_functorIiEiEEDaPvRmT3_T4_T5_mT6_P12ihipStream_tbENKUlT_T0_E_clISt17integral_constantIbLb1EEST_IbLb0EEEEDaSP_SQ_EUlSP_E_NS1_11comp_targetILNS1_3genE3ELNS1_11target_archE908ELNS1_3gpuE7ELNS1_3repE0EEENS1_30default_config_static_selectorELNS0_4arch9wavefront6targetE1EEEvT1_,comdat
.Lfunc_end2741:
	.size	_ZN7rocprim17ROCPRIM_400000_NS6detail17trampoline_kernelINS0_14default_configENS1_20scan_config_selectorIiEEZZNS1_9scan_implILNS1_25lookback_scan_determinismE0ELb0ELb0ES3_N6thrust23THRUST_200600_302600_NS6detail15normal_iteratorINS9_10device_ptrIiEEEESE_i11max_functorIiEiEEDaPvRmT3_T4_T5_mT6_P12ihipStream_tbENKUlT_T0_E_clISt17integral_constantIbLb1EEST_IbLb0EEEEDaSP_SQ_EUlSP_E_NS1_11comp_targetILNS1_3genE3ELNS1_11target_archE908ELNS1_3gpuE7ELNS1_3repE0EEENS1_30default_config_static_selectorELNS0_4arch9wavefront6targetE1EEEvT1_, .Lfunc_end2741-_ZN7rocprim17ROCPRIM_400000_NS6detail17trampoline_kernelINS0_14default_configENS1_20scan_config_selectorIiEEZZNS1_9scan_implILNS1_25lookback_scan_determinismE0ELb0ELb0ES3_N6thrust23THRUST_200600_302600_NS6detail15normal_iteratorINS9_10device_ptrIiEEEESE_i11max_functorIiEiEEDaPvRmT3_T4_T5_mT6_P12ihipStream_tbENKUlT_T0_E_clISt17integral_constantIbLb1EEST_IbLb0EEEEDaSP_SQ_EUlSP_E_NS1_11comp_targetILNS1_3genE3ELNS1_11target_archE908ELNS1_3gpuE7ELNS1_3repE0EEENS1_30default_config_static_selectorELNS0_4arch9wavefront6targetE1EEEvT1_
                                        ; -- End function
	.section	.AMDGPU.csdata,"",@progbits
; Kernel info:
; codeLenInByte = 0
; NumSgprs: 4
; NumVgprs: 0
; NumAgprs: 0
; TotalNumVgprs: 0
; ScratchSize: 0
; MemoryBound: 0
; FloatMode: 240
; IeeeMode: 1
; LDSByteSize: 0 bytes/workgroup (compile time only)
; SGPRBlocks: 0
; VGPRBlocks: 0
; NumSGPRsForWavesPerEU: 4
; NumVGPRsForWavesPerEU: 1
; AccumOffset: 4
; Occupancy: 8
; WaveLimiterHint : 0
; COMPUTE_PGM_RSRC2:SCRATCH_EN: 0
; COMPUTE_PGM_RSRC2:USER_SGPR: 6
; COMPUTE_PGM_RSRC2:TRAP_HANDLER: 0
; COMPUTE_PGM_RSRC2:TGID_X_EN: 1
; COMPUTE_PGM_RSRC2:TGID_Y_EN: 0
; COMPUTE_PGM_RSRC2:TGID_Z_EN: 0
; COMPUTE_PGM_RSRC2:TIDIG_COMP_CNT: 0
; COMPUTE_PGM_RSRC3_GFX90A:ACCUM_OFFSET: 0
; COMPUTE_PGM_RSRC3_GFX90A:TG_SPLIT: 0
	.section	.text._ZN7rocprim17ROCPRIM_400000_NS6detail17trampoline_kernelINS0_14default_configENS1_20scan_config_selectorIiEEZZNS1_9scan_implILNS1_25lookback_scan_determinismE0ELb0ELb0ES3_N6thrust23THRUST_200600_302600_NS6detail15normal_iteratorINS9_10device_ptrIiEEEESE_i11max_functorIiEiEEDaPvRmT3_T4_T5_mT6_P12ihipStream_tbENKUlT_T0_E_clISt17integral_constantIbLb1EEST_IbLb0EEEEDaSP_SQ_EUlSP_E_NS1_11comp_targetILNS1_3genE2ELNS1_11target_archE906ELNS1_3gpuE6ELNS1_3repE0EEENS1_30default_config_static_selectorELNS0_4arch9wavefront6targetE1EEEvT1_,"axG",@progbits,_ZN7rocprim17ROCPRIM_400000_NS6detail17trampoline_kernelINS0_14default_configENS1_20scan_config_selectorIiEEZZNS1_9scan_implILNS1_25lookback_scan_determinismE0ELb0ELb0ES3_N6thrust23THRUST_200600_302600_NS6detail15normal_iteratorINS9_10device_ptrIiEEEESE_i11max_functorIiEiEEDaPvRmT3_T4_T5_mT6_P12ihipStream_tbENKUlT_T0_E_clISt17integral_constantIbLb1EEST_IbLb0EEEEDaSP_SQ_EUlSP_E_NS1_11comp_targetILNS1_3genE2ELNS1_11target_archE906ELNS1_3gpuE6ELNS1_3repE0EEENS1_30default_config_static_selectorELNS0_4arch9wavefront6targetE1EEEvT1_,comdat
	.protected	_ZN7rocprim17ROCPRIM_400000_NS6detail17trampoline_kernelINS0_14default_configENS1_20scan_config_selectorIiEEZZNS1_9scan_implILNS1_25lookback_scan_determinismE0ELb0ELb0ES3_N6thrust23THRUST_200600_302600_NS6detail15normal_iteratorINS9_10device_ptrIiEEEESE_i11max_functorIiEiEEDaPvRmT3_T4_T5_mT6_P12ihipStream_tbENKUlT_T0_E_clISt17integral_constantIbLb1EEST_IbLb0EEEEDaSP_SQ_EUlSP_E_NS1_11comp_targetILNS1_3genE2ELNS1_11target_archE906ELNS1_3gpuE6ELNS1_3repE0EEENS1_30default_config_static_selectorELNS0_4arch9wavefront6targetE1EEEvT1_ ; -- Begin function _ZN7rocprim17ROCPRIM_400000_NS6detail17trampoline_kernelINS0_14default_configENS1_20scan_config_selectorIiEEZZNS1_9scan_implILNS1_25lookback_scan_determinismE0ELb0ELb0ES3_N6thrust23THRUST_200600_302600_NS6detail15normal_iteratorINS9_10device_ptrIiEEEESE_i11max_functorIiEiEEDaPvRmT3_T4_T5_mT6_P12ihipStream_tbENKUlT_T0_E_clISt17integral_constantIbLb1EEST_IbLb0EEEEDaSP_SQ_EUlSP_E_NS1_11comp_targetILNS1_3genE2ELNS1_11target_archE906ELNS1_3gpuE6ELNS1_3repE0EEENS1_30default_config_static_selectorELNS0_4arch9wavefront6targetE1EEEvT1_
	.globl	_ZN7rocprim17ROCPRIM_400000_NS6detail17trampoline_kernelINS0_14default_configENS1_20scan_config_selectorIiEEZZNS1_9scan_implILNS1_25lookback_scan_determinismE0ELb0ELb0ES3_N6thrust23THRUST_200600_302600_NS6detail15normal_iteratorINS9_10device_ptrIiEEEESE_i11max_functorIiEiEEDaPvRmT3_T4_T5_mT6_P12ihipStream_tbENKUlT_T0_E_clISt17integral_constantIbLb1EEST_IbLb0EEEEDaSP_SQ_EUlSP_E_NS1_11comp_targetILNS1_3genE2ELNS1_11target_archE906ELNS1_3gpuE6ELNS1_3repE0EEENS1_30default_config_static_selectorELNS0_4arch9wavefront6targetE1EEEvT1_
	.p2align	8
	.type	_ZN7rocprim17ROCPRIM_400000_NS6detail17trampoline_kernelINS0_14default_configENS1_20scan_config_selectorIiEEZZNS1_9scan_implILNS1_25lookback_scan_determinismE0ELb0ELb0ES3_N6thrust23THRUST_200600_302600_NS6detail15normal_iteratorINS9_10device_ptrIiEEEESE_i11max_functorIiEiEEDaPvRmT3_T4_T5_mT6_P12ihipStream_tbENKUlT_T0_E_clISt17integral_constantIbLb1EEST_IbLb0EEEEDaSP_SQ_EUlSP_E_NS1_11comp_targetILNS1_3genE2ELNS1_11target_archE906ELNS1_3gpuE6ELNS1_3repE0EEENS1_30default_config_static_selectorELNS0_4arch9wavefront6targetE1EEEvT1_,@function
_ZN7rocprim17ROCPRIM_400000_NS6detail17trampoline_kernelINS0_14default_configENS1_20scan_config_selectorIiEEZZNS1_9scan_implILNS1_25lookback_scan_determinismE0ELb0ELb0ES3_N6thrust23THRUST_200600_302600_NS6detail15normal_iteratorINS9_10device_ptrIiEEEESE_i11max_functorIiEiEEDaPvRmT3_T4_T5_mT6_P12ihipStream_tbENKUlT_T0_E_clISt17integral_constantIbLb1EEST_IbLb0EEEEDaSP_SQ_EUlSP_E_NS1_11comp_targetILNS1_3genE2ELNS1_11target_archE906ELNS1_3gpuE6ELNS1_3repE0EEENS1_30default_config_static_selectorELNS0_4arch9wavefront6targetE1EEEvT1_: ; @_ZN7rocprim17ROCPRIM_400000_NS6detail17trampoline_kernelINS0_14default_configENS1_20scan_config_selectorIiEEZZNS1_9scan_implILNS1_25lookback_scan_determinismE0ELb0ELb0ES3_N6thrust23THRUST_200600_302600_NS6detail15normal_iteratorINS9_10device_ptrIiEEEESE_i11max_functorIiEiEEDaPvRmT3_T4_T5_mT6_P12ihipStream_tbENKUlT_T0_E_clISt17integral_constantIbLb1EEST_IbLb0EEEEDaSP_SQ_EUlSP_E_NS1_11comp_targetILNS1_3genE2ELNS1_11target_archE906ELNS1_3gpuE6ELNS1_3repE0EEENS1_30default_config_static_selectorELNS0_4arch9wavefront6targetE1EEEvT1_
; %bb.0:
	.section	.rodata,"a",@progbits
	.p2align	6, 0x0
	.amdhsa_kernel _ZN7rocprim17ROCPRIM_400000_NS6detail17trampoline_kernelINS0_14default_configENS1_20scan_config_selectorIiEEZZNS1_9scan_implILNS1_25lookback_scan_determinismE0ELb0ELb0ES3_N6thrust23THRUST_200600_302600_NS6detail15normal_iteratorINS9_10device_ptrIiEEEESE_i11max_functorIiEiEEDaPvRmT3_T4_T5_mT6_P12ihipStream_tbENKUlT_T0_E_clISt17integral_constantIbLb1EEST_IbLb0EEEEDaSP_SQ_EUlSP_E_NS1_11comp_targetILNS1_3genE2ELNS1_11target_archE906ELNS1_3gpuE6ELNS1_3repE0EEENS1_30default_config_static_selectorELNS0_4arch9wavefront6targetE1EEEvT1_
		.amdhsa_group_segment_fixed_size 0
		.amdhsa_private_segment_fixed_size 0
		.amdhsa_kernarg_size 96
		.amdhsa_user_sgpr_count 6
		.amdhsa_user_sgpr_private_segment_buffer 1
		.amdhsa_user_sgpr_dispatch_ptr 0
		.amdhsa_user_sgpr_queue_ptr 0
		.amdhsa_user_sgpr_kernarg_segment_ptr 1
		.amdhsa_user_sgpr_dispatch_id 0
		.amdhsa_user_sgpr_flat_scratch_init 0
		.amdhsa_user_sgpr_kernarg_preload_length 0
		.amdhsa_user_sgpr_kernarg_preload_offset 0
		.amdhsa_user_sgpr_private_segment_size 0
		.amdhsa_uses_dynamic_stack 0
		.amdhsa_system_sgpr_private_segment_wavefront_offset 0
		.amdhsa_system_sgpr_workgroup_id_x 1
		.amdhsa_system_sgpr_workgroup_id_y 0
		.amdhsa_system_sgpr_workgroup_id_z 0
		.amdhsa_system_sgpr_workgroup_info 0
		.amdhsa_system_vgpr_workitem_id 0
		.amdhsa_next_free_vgpr 1
		.amdhsa_next_free_sgpr 0
		.amdhsa_accum_offset 4
		.amdhsa_reserve_vcc 0
		.amdhsa_reserve_flat_scratch 0
		.amdhsa_float_round_mode_32 0
		.amdhsa_float_round_mode_16_64 0
		.amdhsa_float_denorm_mode_32 3
		.amdhsa_float_denorm_mode_16_64 3
		.amdhsa_dx10_clamp 1
		.amdhsa_ieee_mode 1
		.amdhsa_fp16_overflow 0
		.amdhsa_tg_split 0
		.amdhsa_exception_fp_ieee_invalid_op 0
		.amdhsa_exception_fp_denorm_src 0
		.amdhsa_exception_fp_ieee_div_zero 0
		.amdhsa_exception_fp_ieee_overflow 0
		.amdhsa_exception_fp_ieee_underflow 0
		.amdhsa_exception_fp_ieee_inexact 0
		.amdhsa_exception_int_div_zero 0
	.end_amdhsa_kernel
	.section	.text._ZN7rocprim17ROCPRIM_400000_NS6detail17trampoline_kernelINS0_14default_configENS1_20scan_config_selectorIiEEZZNS1_9scan_implILNS1_25lookback_scan_determinismE0ELb0ELb0ES3_N6thrust23THRUST_200600_302600_NS6detail15normal_iteratorINS9_10device_ptrIiEEEESE_i11max_functorIiEiEEDaPvRmT3_T4_T5_mT6_P12ihipStream_tbENKUlT_T0_E_clISt17integral_constantIbLb1EEST_IbLb0EEEEDaSP_SQ_EUlSP_E_NS1_11comp_targetILNS1_3genE2ELNS1_11target_archE906ELNS1_3gpuE6ELNS1_3repE0EEENS1_30default_config_static_selectorELNS0_4arch9wavefront6targetE1EEEvT1_,"axG",@progbits,_ZN7rocprim17ROCPRIM_400000_NS6detail17trampoline_kernelINS0_14default_configENS1_20scan_config_selectorIiEEZZNS1_9scan_implILNS1_25lookback_scan_determinismE0ELb0ELb0ES3_N6thrust23THRUST_200600_302600_NS6detail15normal_iteratorINS9_10device_ptrIiEEEESE_i11max_functorIiEiEEDaPvRmT3_T4_T5_mT6_P12ihipStream_tbENKUlT_T0_E_clISt17integral_constantIbLb1EEST_IbLb0EEEEDaSP_SQ_EUlSP_E_NS1_11comp_targetILNS1_3genE2ELNS1_11target_archE906ELNS1_3gpuE6ELNS1_3repE0EEENS1_30default_config_static_selectorELNS0_4arch9wavefront6targetE1EEEvT1_,comdat
.Lfunc_end2742:
	.size	_ZN7rocprim17ROCPRIM_400000_NS6detail17trampoline_kernelINS0_14default_configENS1_20scan_config_selectorIiEEZZNS1_9scan_implILNS1_25lookback_scan_determinismE0ELb0ELb0ES3_N6thrust23THRUST_200600_302600_NS6detail15normal_iteratorINS9_10device_ptrIiEEEESE_i11max_functorIiEiEEDaPvRmT3_T4_T5_mT6_P12ihipStream_tbENKUlT_T0_E_clISt17integral_constantIbLb1EEST_IbLb0EEEEDaSP_SQ_EUlSP_E_NS1_11comp_targetILNS1_3genE2ELNS1_11target_archE906ELNS1_3gpuE6ELNS1_3repE0EEENS1_30default_config_static_selectorELNS0_4arch9wavefront6targetE1EEEvT1_, .Lfunc_end2742-_ZN7rocprim17ROCPRIM_400000_NS6detail17trampoline_kernelINS0_14default_configENS1_20scan_config_selectorIiEEZZNS1_9scan_implILNS1_25lookback_scan_determinismE0ELb0ELb0ES3_N6thrust23THRUST_200600_302600_NS6detail15normal_iteratorINS9_10device_ptrIiEEEESE_i11max_functorIiEiEEDaPvRmT3_T4_T5_mT6_P12ihipStream_tbENKUlT_T0_E_clISt17integral_constantIbLb1EEST_IbLb0EEEEDaSP_SQ_EUlSP_E_NS1_11comp_targetILNS1_3genE2ELNS1_11target_archE906ELNS1_3gpuE6ELNS1_3repE0EEENS1_30default_config_static_selectorELNS0_4arch9wavefront6targetE1EEEvT1_
                                        ; -- End function
	.section	.AMDGPU.csdata,"",@progbits
; Kernel info:
; codeLenInByte = 0
; NumSgprs: 4
; NumVgprs: 0
; NumAgprs: 0
; TotalNumVgprs: 0
; ScratchSize: 0
; MemoryBound: 0
; FloatMode: 240
; IeeeMode: 1
; LDSByteSize: 0 bytes/workgroup (compile time only)
; SGPRBlocks: 0
; VGPRBlocks: 0
; NumSGPRsForWavesPerEU: 4
; NumVGPRsForWavesPerEU: 1
; AccumOffset: 4
; Occupancy: 8
; WaveLimiterHint : 0
; COMPUTE_PGM_RSRC2:SCRATCH_EN: 0
; COMPUTE_PGM_RSRC2:USER_SGPR: 6
; COMPUTE_PGM_RSRC2:TRAP_HANDLER: 0
; COMPUTE_PGM_RSRC2:TGID_X_EN: 1
; COMPUTE_PGM_RSRC2:TGID_Y_EN: 0
; COMPUTE_PGM_RSRC2:TGID_Z_EN: 0
; COMPUTE_PGM_RSRC2:TIDIG_COMP_CNT: 0
; COMPUTE_PGM_RSRC3_GFX90A:ACCUM_OFFSET: 0
; COMPUTE_PGM_RSRC3_GFX90A:TG_SPLIT: 0
	.section	.text._ZN7rocprim17ROCPRIM_400000_NS6detail17trampoline_kernelINS0_14default_configENS1_20scan_config_selectorIiEEZZNS1_9scan_implILNS1_25lookback_scan_determinismE0ELb0ELb0ES3_N6thrust23THRUST_200600_302600_NS6detail15normal_iteratorINS9_10device_ptrIiEEEESE_i11max_functorIiEiEEDaPvRmT3_T4_T5_mT6_P12ihipStream_tbENKUlT_T0_E_clISt17integral_constantIbLb1EEST_IbLb0EEEEDaSP_SQ_EUlSP_E_NS1_11comp_targetILNS1_3genE10ELNS1_11target_archE1201ELNS1_3gpuE5ELNS1_3repE0EEENS1_30default_config_static_selectorELNS0_4arch9wavefront6targetE1EEEvT1_,"axG",@progbits,_ZN7rocprim17ROCPRIM_400000_NS6detail17trampoline_kernelINS0_14default_configENS1_20scan_config_selectorIiEEZZNS1_9scan_implILNS1_25lookback_scan_determinismE0ELb0ELb0ES3_N6thrust23THRUST_200600_302600_NS6detail15normal_iteratorINS9_10device_ptrIiEEEESE_i11max_functorIiEiEEDaPvRmT3_T4_T5_mT6_P12ihipStream_tbENKUlT_T0_E_clISt17integral_constantIbLb1EEST_IbLb0EEEEDaSP_SQ_EUlSP_E_NS1_11comp_targetILNS1_3genE10ELNS1_11target_archE1201ELNS1_3gpuE5ELNS1_3repE0EEENS1_30default_config_static_selectorELNS0_4arch9wavefront6targetE1EEEvT1_,comdat
	.protected	_ZN7rocprim17ROCPRIM_400000_NS6detail17trampoline_kernelINS0_14default_configENS1_20scan_config_selectorIiEEZZNS1_9scan_implILNS1_25lookback_scan_determinismE0ELb0ELb0ES3_N6thrust23THRUST_200600_302600_NS6detail15normal_iteratorINS9_10device_ptrIiEEEESE_i11max_functorIiEiEEDaPvRmT3_T4_T5_mT6_P12ihipStream_tbENKUlT_T0_E_clISt17integral_constantIbLb1EEST_IbLb0EEEEDaSP_SQ_EUlSP_E_NS1_11comp_targetILNS1_3genE10ELNS1_11target_archE1201ELNS1_3gpuE5ELNS1_3repE0EEENS1_30default_config_static_selectorELNS0_4arch9wavefront6targetE1EEEvT1_ ; -- Begin function _ZN7rocprim17ROCPRIM_400000_NS6detail17trampoline_kernelINS0_14default_configENS1_20scan_config_selectorIiEEZZNS1_9scan_implILNS1_25lookback_scan_determinismE0ELb0ELb0ES3_N6thrust23THRUST_200600_302600_NS6detail15normal_iteratorINS9_10device_ptrIiEEEESE_i11max_functorIiEiEEDaPvRmT3_T4_T5_mT6_P12ihipStream_tbENKUlT_T0_E_clISt17integral_constantIbLb1EEST_IbLb0EEEEDaSP_SQ_EUlSP_E_NS1_11comp_targetILNS1_3genE10ELNS1_11target_archE1201ELNS1_3gpuE5ELNS1_3repE0EEENS1_30default_config_static_selectorELNS0_4arch9wavefront6targetE1EEEvT1_
	.globl	_ZN7rocprim17ROCPRIM_400000_NS6detail17trampoline_kernelINS0_14default_configENS1_20scan_config_selectorIiEEZZNS1_9scan_implILNS1_25lookback_scan_determinismE0ELb0ELb0ES3_N6thrust23THRUST_200600_302600_NS6detail15normal_iteratorINS9_10device_ptrIiEEEESE_i11max_functorIiEiEEDaPvRmT3_T4_T5_mT6_P12ihipStream_tbENKUlT_T0_E_clISt17integral_constantIbLb1EEST_IbLb0EEEEDaSP_SQ_EUlSP_E_NS1_11comp_targetILNS1_3genE10ELNS1_11target_archE1201ELNS1_3gpuE5ELNS1_3repE0EEENS1_30default_config_static_selectorELNS0_4arch9wavefront6targetE1EEEvT1_
	.p2align	8
	.type	_ZN7rocprim17ROCPRIM_400000_NS6detail17trampoline_kernelINS0_14default_configENS1_20scan_config_selectorIiEEZZNS1_9scan_implILNS1_25lookback_scan_determinismE0ELb0ELb0ES3_N6thrust23THRUST_200600_302600_NS6detail15normal_iteratorINS9_10device_ptrIiEEEESE_i11max_functorIiEiEEDaPvRmT3_T4_T5_mT6_P12ihipStream_tbENKUlT_T0_E_clISt17integral_constantIbLb1EEST_IbLb0EEEEDaSP_SQ_EUlSP_E_NS1_11comp_targetILNS1_3genE10ELNS1_11target_archE1201ELNS1_3gpuE5ELNS1_3repE0EEENS1_30default_config_static_selectorELNS0_4arch9wavefront6targetE1EEEvT1_,@function
_ZN7rocprim17ROCPRIM_400000_NS6detail17trampoline_kernelINS0_14default_configENS1_20scan_config_selectorIiEEZZNS1_9scan_implILNS1_25lookback_scan_determinismE0ELb0ELb0ES3_N6thrust23THRUST_200600_302600_NS6detail15normal_iteratorINS9_10device_ptrIiEEEESE_i11max_functorIiEiEEDaPvRmT3_T4_T5_mT6_P12ihipStream_tbENKUlT_T0_E_clISt17integral_constantIbLb1EEST_IbLb0EEEEDaSP_SQ_EUlSP_E_NS1_11comp_targetILNS1_3genE10ELNS1_11target_archE1201ELNS1_3gpuE5ELNS1_3repE0EEENS1_30default_config_static_selectorELNS0_4arch9wavefront6targetE1EEEvT1_: ; @_ZN7rocprim17ROCPRIM_400000_NS6detail17trampoline_kernelINS0_14default_configENS1_20scan_config_selectorIiEEZZNS1_9scan_implILNS1_25lookback_scan_determinismE0ELb0ELb0ES3_N6thrust23THRUST_200600_302600_NS6detail15normal_iteratorINS9_10device_ptrIiEEEESE_i11max_functorIiEiEEDaPvRmT3_T4_T5_mT6_P12ihipStream_tbENKUlT_T0_E_clISt17integral_constantIbLb1EEST_IbLb0EEEEDaSP_SQ_EUlSP_E_NS1_11comp_targetILNS1_3genE10ELNS1_11target_archE1201ELNS1_3gpuE5ELNS1_3repE0EEENS1_30default_config_static_selectorELNS0_4arch9wavefront6targetE1EEEvT1_
; %bb.0:
	.section	.rodata,"a",@progbits
	.p2align	6, 0x0
	.amdhsa_kernel _ZN7rocprim17ROCPRIM_400000_NS6detail17trampoline_kernelINS0_14default_configENS1_20scan_config_selectorIiEEZZNS1_9scan_implILNS1_25lookback_scan_determinismE0ELb0ELb0ES3_N6thrust23THRUST_200600_302600_NS6detail15normal_iteratorINS9_10device_ptrIiEEEESE_i11max_functorIiEiEEDaPvRmT3_T4_T5_mT6_P12ihipStream_tbENKUlT_T0_E_clISt17integral_constantIbLb1EEST_IbLb0EEEEDaSP_SQ_EUlSP_E_NS1_11comp_targetILNS1_3genE10ELNS1_11target_archE1201ELNS1_3gpuE5ELNS1_3repE0EEENS1_30default_config_static_selectorELNS0_4arch9wavefront6targetE1EEEvT1_
		.amdhsa_group_segment_fixed_size 0
		.amdhsa_private_segment_fixed_size 0
		.amdhsa_kernarg_size 96
		.amdhsa_user_sgpr_count 6
		.amdhsa_user_sgpr_private_segment_buffer 1
		.amdhsa_user_sgpr_dispatch_ptr 0
		.amdhsa_user_sgpr_queue_ptr 0
		.amdhsa_user_sgpr_kernarg_segment_ptr 1
		.amdhsa_user_sgpr_dispatch_id 0
		.amdhsa_user_sgpr_flat_scratch_init 0
		.amdhsa_user_sgpr_kernarg_preload_length 0
		.amdhsa_user_sgpr_kernarg_preload_offset 0
		.amdhsa_user_sgpr_private_segment_size 0
		.amdhsa_uses_dynamic_stack 0
		.amdhsa_system_sgpr_private_segment_wavefront_offset 0
		.amdhsa_system_sgpr_workgroup_id_x 1
		.amdhsa_system_sgpr_workgroup_id_y 0
		.amdhsa_system_sgpr_workgroup_id_z 0
		.amdhsa_system_sgpr_workgroup_info 0
		.amdhsa_system_vgpr_workitem_id 0
		.amdhsa_next_free_vgpr 1
		.amdhsa_next_free_sgpr 0
		.amdhsa_accum_offset 4
		.amdhsa_reserve_vcc 0
		.amdhsa_reserve_flat_scratch 0
		.amdhsa_float_round_mode_32 0
		.amdhsa_float_round_mode_16_64 0
		.amdhsa_float_denorm_mode_32 3
		.amdhsa_float_denorm_mode_16_64 3
		.amdhsa_dx10_clamp 1
		.amdhsa_ieee_mode 1
		.amdhsa_fp16_overflow 0
		.amdhsa_tg_split 0
		.amdhsa_exception_fp_ieee_invalid_op 0
		.amdhsa_exception_fp_denorm_src 0
		.amdhsa_exception_fp_ieee_div_zero 0
		.amdhsa_exception_fp_ieee_overflow 0
		.amdhsa_exception_fp_ieee_underflow 0
		.amdhsa_exception_fp_ieee_inexact 0
		.amdhsa_exception_int_div_zero 0
	.end_amdhsa_kernel
	.section	.text._ZN7rocprim17ROCPRIM_400000_NS6detail17trampoline_kernelINS0_14default_configENS1_20scan_config_selectorIiEEZZNS1_9scan_implILNS1_25lookback_scan_determinismE0ELb0ELb0ES3_N6thrust23THRUST_200600_302600_NS6detail15normal_iteratorINS9_10device_ptrIiEEEESE_i11max_functorIiEiEEDaPvRmT3_T4_T5_mT6_P12ihipStream_tbENKUlT_T0_E_clISt17integral_constantIbLb1EEST_IbLb0EEEEDaSP_SQ_EUlSP_E_NS1_11comp_targetILNS1_3genE10ELNS1_11target_archE1201ELNS1_3gpuE5ELNS1_3repE0EEENS1_30default_config_static_selectorELNS0_4arch9wavefront6targetE1EEEvT1_,"axG",@progbits,_ZN7rocprim17ROCPRIM_400000_NS6detail17trampoline_kernelINS0_14default_configENS1_20scan_config_selectorIiEEZZNS1_9scan_implILNS1_25lookback_scan_determinismE0ELb0ELb0ES3_N6thrust23THRUST_200600_302600_NS6detail15normal_iteratorINS9_10device_ptrIiEEEESE_i11max_functorIiEiEEDaPvRmT3_T4_T5_mT6_P12ihipStream_tbENKUlT_T0_E_clISt17integral_constantIbLb1EEST_IbLb0EEEEDaSP_SQ_EUlSP_E_NS1_11comp_targetILNS1_3genE10ELNS1_11target_archE1201ELNS1_3gpuE5ELNS1_3repE0EEENS1_30default_config_static_selectorELNS0_4arch9wavefront6targetE1EEEvT1_,comdat
.Lfunc_end2743:
	.size	_ZN7rocprim17ROCPRIM_400000_NS6detail17trampoline_kernelINS0_14default_configENS1_20scan_config_selectorIiEEZZNS1_9scan_implILNS1_25lookback_scan_determinismE0ELb0ELb0ES3_N6thrust23THRUST_200600_302600_NS6detail15normal_iteratorINS9_10device_ptrIiEEEESE_i11max_functorIiEiEEDaPvRmT3_T4_T5_mT6_P12ihipStream_tbENKUlT_T0_E_clISt17integral_constantIbLb1EEST_IbLb0EEEEDaSP_SQ_EUlSP_E_NS1_11comp_targetILNS1_3genE10ELNS1_11target_archE1201ELNS1_3gpuE5ELNS1_3repE0EEENS1_30default_config_static_selectorELNS0_4arch9wavefront6targetE1EEEvT1_, .Lfunc_end2743-_ZN7rocprim17ROCPRIM_400000_NS6detail17trampoline_kernelINS0_14default_configENS1_20scan_config_selectorIiEEZZNS1_9scan_implILNS1_25lookback_scan_determinismE0ELb0ELb0ES3_N6thrust23THRUST_200600_302600_NS6detail15normal_iteratorINS9_10device_ptrIiEEEESE_i11max_functorIiEiEEDaPvRmT3_T4_T5_mT6_P12ihipStream_tbENKUlT_T0_E_clISt17integral_constantIbLb1EEST_IbLb0EEEEDaSP_SQ_EUlSP_E_NS1_11comp_targetILNS1_3genE10ELNS1_11target_archE1201ELNS1_3gpuE5ELNS1_3repE0EEENS1_30default_config_static_selectorELNS0_4arch9wavefront6targetE1EEEvT1_
                                        ; -- End function
	.section	.AMDGPU.csdata,"",@progbits
; Kernel info:
; codeLenInByte = 0
; NumSgprs: 4
; NumVgprs: 0
; NumAgprs: 0
; TotalNumVgprs: 0
; ScratchSize: 0
; MemoryBound: 0
; FloatMode: 240
; IeeeMode: 1
; LDSByteSize: 0 bytes/workgroup (compile time only)
; SGPRBlocks: 0
; VGPRBlocks: 0
; NumSGPRsForWavesPerEU: 4
; NumVGPRsForWavesPerEU: 1
; AccumOffset: 4
; Occupancy: 8
; WaveLimiterHint : 0
; COMPUTE_PGM_RSRC2:SCRATCH_EN: 0
; COMPUTE_PGM_RSRC2:USER_SGPR: 6
; COMPUTE_PGM_RSRC2:TRAP_HANDLER: 0
; COMPUTE_PGM_RSRC2:TGID_X_EN: 1
; COMPUTE_PGM_RSRC2:TGID_Y_EN: 0
; COMPUTE_PGM_RSRC2:TGID_Z_EN: 0
; COMPUTE_PGM_RSRC2:TIDIG_COMP_CNT: 0
; COMPUTE_PGM_RSRC3_GFX90A:ACCUM_OFFSET: 0
; COMPUTE_PGM_RSRC3_GFX90A:TG_SPLIT: 0
	.section	.text._ZN7rocprim17ROCPRIM_400000_NS6detail17trampoline_kernelINS0_14default_configENS1_20scan_config_selectorIiEEZZNS1_9scan_implILNS1_25lookback_scan_determinismE0ELb0ELb0ES3_N6thrust23THRUST_200600_302600_NS6detail15normal_iteratorINS9_10device_ptrIiEEEESE_i11max_functorIiEiEEDaPvRmT3_T4_T5_mT6_P12ihipStream_tbENKUlT_T0_E_clISt17integral_constantIbLb1EEST_IbLb0EEEEDaSP_SQ_EUlSP_E_NS1_11comp_targetILNS1_3genE10ELNS1_11target_archE1200ELNS1_3gpuE4ELNS1_3repE0EEENS1_30default_config_static_selectorELNS0_4arch9wavefront6targetE1EEEvT1_,"axG",@progbits,_ZN7rocprim17ROCPRIM_400000_NS6detail17trampoline_kernelINS0_14default_configENS1_20scan_config_selectorIiEEZZNS1_9scan_implILNS1_25lookback_scan_determinismE0ELb0ELb0ES3_N6thrust23THRUST_200600_302600_NS6detail15normal_iteratorINS9_10device_ptrIiEEEESE_i11max_functorIiEiEEDaPvRmT3_T4_T5_mT6_P12ihipStream_tbENKUlT_T0_E_clISt17integral_constantIbLb1EEST_IbLb0EEEEDaSP_SQ_EUlSP_E_NS1_11comp_targetILNS1_3genE10ELNS1_11target_archE1200ELNS1_3gpuE4ELNS1_3repE0EEENS1_30default_config_static_selectorELNS0_4arch9wavefront6targetE1EEEvT1_,comdat
	.protected	_ZN7rocprim17ROCPRIM_400000_NS6detail17trampoline_kernelINS0_14default_configENS1_20scan_config_selectorIiEEZZNS1_9scan_implILNS1_25lookback_scan_determinismE0ELb0ELb0ES3_N6thrust23THRUST_200600_302600_NS6detail15normal_iteratorINS9_10device_ptrIiEEEESE_i11max_functorIiEiEEDaPvRmT3_T4_T5_mT6_P12ihipStream_tbENKUlT_T0_E_clISt17integral_constantIbLb1EEST_IbLb0EEEEDaSP_SQ_EUlSP_E_NS1_11comp_targetILNS1_3genE10ELNS1_11target_archE1200ELNS1_3gpuE4ELNS1_3repE0EEENS1_30default_config_static_selectorELNS0_4arch9wavefront6targetE1EEEvT1_ ; -- Begin function _ZN7rocprim17ROCPRIM_400000_NS6detail17trampoline_kernelINS0_14default_configENS1_20scan_config_selectorIiEEZZNS1_9scan_implILNS1_25lookback_scan_determinismE0ELb0ELb0ES3_N6thrust23THRUST_200600_302600_NS6detail15normal_iteratorINS9_10device_ptrIiEEEESE_i11max_functorIiEiEEDaPvRmT3_T4_T5_mT6_P12ihipStream_tbENKUlT_T0_E_clISt17integral_constantIbLb1EEST_IbLb0EEEEDaSP_SQ_EUlSP_E_NS1_11comp_targetILNS1_3genE10ELNS1_11target_archE1200ELNS1_3gpuE4ELNS1_3repE0EEENS1_30default_config_static_selectorELNS0_4arch9wavefront6targetE1EEEvT1_
	.globl	_ZN7rocprim17ROCPRIM_400000_NS6detail17trampoline_kernelINS0_14default_configENS1_20scan_config_selectorIiEEZZNS1_9scan_implILNS1_25lookback_scan_determinismE0ELb0ELb0ES3_N6thrust23THRUST_200600_302600_NS6detail15normal_iteratorINS9_10device_ptrIiEEEESE_i11max_functorIiEiEEDaPvRmT3_T4_T5_mT6_P12ihipStream_tbENKUlT_T0_E_clISt17integral_constantIbLb1EEST_IbLb0EEEEDaSP_SQ_EUlSP_E_NS1_11comp_targetILNS1_3genE10ELNS1_11target_archE1200ELNS1_3gpuE4ELNS1_3repE0EEENS1_30default_config_static_selectorELNS0_4arch9wavefront6targetE1EEEvT1_
	.p2align	8
	.type	_ZN7rocprim17ROCPRIM_400000_NS6detail17trampoline_kernelINS0_14default_configENS1_20scan_config_selectorIiEEZZNS1_9scan_implILNS1_25lookback_scan_determinismE0ELb0ELb0ES3_N6thrust23THRUST_200600_302600_NS6detail15normal_iteratorINS9_10device_ptrIiEEEESE_i11max_functorIiEiEEDaPvRmT3_T4_T5_mT6_P12ihipStream_tbENKUlT_T0_E_clISt17integral_constantIbLb1EEST_IbLb0EEEEDaSP_SQ_EUlSP_E_NS1_11comp_targetILNS1_3genE10ELNS1_11target_archE1200ELNS1_3gpuE4ELNS1_3repE0EEENS1_30default_config_static_selectorELNS0_4arch9wavefront6targetE1EEEvT1_,@function
_ZN7rocprim17ROCPRIM_400000_NS6detail17trampoline_kernelINS0_14default_configENS1_20scan_config_selectorIiEEZZNS1_9scan_implILNS1_25lookback_scan_determinismE0ELb0ELb0ES3_N6thrust23THRUST_200600_302600_NS6detail15normal_iteratorINS9_10device_ptrIiEEEESE_i11max_functorIiEiEEDaPvRmT3_T4_T5_mT6_P12ihipStream_tbENKUlT_T0_E_clISt17integral_constantIbLb1EEST_IbLb0EEEEDaSP_SQ_EUlSP_E_NS1_11comp_targetILNS1_3genE10ELNS1_11target_archE1200ELNS1_3gpuE4ELNS1_3repE0EEENS1_30default_config_static_selectorELNS0_4arch9wavefront6targetE1EEEvT1_: ; @_ZN7rocprim17ROCPRIM_400000_NS6detail17trampoline_kernelINS0_14default_configENS1_20scan_config_selectorIiEEZZNS1_9scan_implILNS1_25lookback_scan_determinismE0ELb0ELb0ES3_N6thrust23THRUST_200600_302600_NS6detail15normal_iteratorINS9_10device_ptrIiEEEESE_i11max_functorIiEiEEDaPvRmT3_T4_T5_mT6_P12ihipStream_tbENKUlT_T0_E_clISt17integral_constantIbLb1EEST_IbLb0EEEEDaSP_SQ_EUlSP_E_NS1_11comp_targetILNS1_3genE10ELNS1_11target_archE1200ELNS1_3gpuE4ELNS1_3repE0EEENS1_30default_config_static_selectorELNS0_4arch9wavefront6targetE1EEEvT1_
; %bb.0:
	.section	.rodata,"a",@progbits
	.p2align	6, 0x0
	.amdhsa_kernel _ZN7rocprim17ROCPRIM_400000_NS6detail17trampoline_kernelINS0_14default_configENS1_20scan_config_selectorIiEEZZNS1_9scan_implILNS1_25lookback_scan_determinismE0ELb0ELb0ES3_N6thrust23THRUST_200600_302600_NS6detail15normal_iteratorINS9_10device_ptrIiEEEESE_i11max_functorIiEiEEDaPvRmT3_T4_T5_mT6_P12ihipStream_tbENKUlT_T0_E_clISt17integral_constantIbLb1EEST_IbLb0EEEEDaSP_SQ_EUlSP_E_NS1_11comp_targetILNS1_3genE10ELNS1_11target_archE1200ELNS1_3gpuE4ELNS1_3repE0EEENS1_30default_config_static_selectorELNS0_4arch9wavefront6targetE1EEEvT1_
		.amdhsa_group_segment_fixed_size 0
		.amdhsa_private_segment_fixed_size 0
		.amdhsa_kernarg_size 96
		.amdhsa_user_sgpr_count 6
		.amdhsa_user_sgpr_private_segment_buffer 1
		.amdhsa_user_sgpr_dispatch_ptr 0
		.amdhsa_user_sgpr_queue_ptr 0
		.amdhsa_user_sgpr_kernarg_segment_ptr 1
		.amdhsa_user_sgpr_dispatch_id 0
		.amdhsa_user_sgpr_flat_scratch_init 0
		.amdhsa_user_sgpr_kernarg_preload_length 0
		.amdhsa_user_sgpr_kernarg_preload_offset 0
		.amdhsa_user_sgpr_private_segment_size 0
		.amdhsa_uses_dynamic_stack 0
		.amdhsa_system_sgpr_private_segment_wavefront_offset 0
		.amdhsa_system_sgpr_workgroup_id_x 1
		.amdhsa_system_sgpr_workgroup_id_y 0
		.amdhsa_system_sgpr_workgroup_id_z 0
		.amdhsa_system_sgpr_workgroup_info 0
		.amdhsa_system_vgpr_workitem_id 0
		.amdhsa_next_free_vgpr 1
		.amdhsa_next_free_sgpr 0
		.amdhsa_accum_offset 4
		.amdhsa_reserve_vcc 0
		.amdhsa_reserve_flat_scratch 0
		.amdhsa_float_round_mode_32 0
		.amdhsa_float_round_mode_16_64 0
		.amdhsa_float_denorm_mode_32 3
		.amdhsa_float_denorm_mode_16_64 3
		.amdhsa_dx10_clamp 1
		.amdhsa_ieee_mode 1
		.amdhsa_fp16_overflow 0
		.amdhsa_tg_split 0
		.amdhsa_exception_fp_ieee_invalid_op 0
		.amdhsa_exception_fp_denorm_src 0
		.amdhsa_exception_fp_ieee_div_zero 0
		.amdhsa_exception_fp_ieee_overflow 0
		.amdhsa_exception_fp_ieee_underflow 0
		.amdhsa_exception_fp_ieee_inexact 0
		.amdhsa_exception_int_div_zero 0
	.end_amdhsa_kernel
	.section	.text._ZN7rocprim17ROCPRIM_400000_NS6detail17trampoline_kernelINS0_14default_configENS1_20scan_config_selectorIiEEZZNS1_9scan_implILNS1_25lookback_scan_determinismE0ELb0ELb0ES3_N6thrust23THRUST_200600_302600_NS6detail15normal_iteratorINS9_10device_ptrIiEEEESE_i11max_functorIiEiEEDaPvRmT3_T4_T5_mT6_P12ihipStream_tbENKUlT_T0_E_clISt17integral_constantIbLb1EEST_IbLb0EEEEDaSP_SQ_EUlSP_E_NS1_11comp_targetILNS1_3genE10ELNS1_11target_archE1200ELNS1_3gpuE4ELNS1_3repE0EEENS1_30default_config_static_selectorELNS0_4arch9wavefront6targetE1EEEvT1_,"axG",@progbits,_ZN7rocprim17ROCPRIM_400000_NS6detail17trampoline_kernelINS0_14default_configENS1_20scan_config_selectorIiEEZZNS1_9scan_implILNS1_25lookback_scan_determinismE0ELb0ELb0ES3_N6thrust23THRUST_200600_302600_NS6detail15normal_iteratorINS9_10device_ptrIiEEEESE_i11max_functorIiEiEEDaPvRmT3_T4_T5_mT6_P12ihipStream_tbENKUlT_T0_E_clISt17integral_constantIbLb1EEST_IbLb0EEEEDaSP_SQ_EUlSP_E_NS1_11comp_targetILNS1_3genE10ELNS1_11target_archE1200ELNS1_3gpuE4ELNS1_3repE0EEENS1_30default_config_static_selectorELNS0_4arch9wavefront6targetE1EEEvT1_,comdat
.Lfunc_end2744:
	.size	_ZN7rocprim17ROCPRIM_400000_NS6detail17trampoline_kernelINS0_14default_configENS1_20scan_config_selectorIiEEZZNS1_9scan_implILNS1_25lookback_scan_determinismE0ELb0ELb0ES3_N6thrust23THRUST_200600_302600_NS6detail15normal_iteratorINS9_10device_ptrIiEEEESE_i11max_functorIiEiEEDaPvRmT3_T4_T5_mT6_P12ihipStream_tbENKUlT_T0_E_clISt17integral_constantIbLb1EEST_IbLb0EEEEDaSP_SQ_EUlSP_E_NS1_11comp_targetILNS1_3genE10ELNS1_11target_archE1200ELNS1_3gpuE4ELNS1_3repE0EEENS1_30default_config_static_selectorELNS0_4arch9wavefront6targetE1EEEvT1_, .Lfunc_end2744-_ZN7rocprim17ROCPRIM_400000_NS6detail17trampoline_kernelINS0_14default_configENS1_20scan_config_selectorIiEEZZNS1_9scan_implILNS1_25lookback_scan_determinismE0ELb0ELb0ES3_N6thrust23THRUST_200600_302600_NS6detail15normal_iteratorINS9_10device_ptrIiEEEESE_i11max_functorIiEiEEDaPvRmT3_T4_T5_mT6_P12ihipStream_tbENKUlT_T0_E_clISt17integral_constantIbLb1EEST_IbLb0EEEEDaSP_SQ_EUlSP_E_NS1_11comp_targetILNS1_3genE10ELNS1_11target_archE1200ELNS1_3gpuE4ELNS1_3repE0EEENS1_30default_config_static_selectorELNS0_4arch9wavefront6targetE1EEEvT1_
                                        ; -- End function
	.section	.AMDGPU.csdata,"",@progbits
; Kernel info:
; codeLenInByte = 0
; NumSgprs: 4
; NumVgprs: 0
; NumAgprs: 0
; TotalNumVgprs: 0
; ScratchSize: 0
; MemoryBound: 0
; FloatMode: 240
; IeeeMode: 1
; LDSByteSize: 0 bytes/workgroup (compile time only)
; SGPRBlocks: 0
; VGPRBlocks: 0
; NumSGPRsForWavesPerEU: 4
; NumVGPRsForWavesPerEU: 1
; AccumOffset: 4
; Occupancy: 8
; WaveLimiterHint : 0
; COMPUTE_PGM_RSRC2:SCRATCH_EN: 0
; COMPUTE_PGM_RSRC2:USER_SGPR: 6
; COMPUTE_PGM_RSRC2:TRAP_HANDLER: 0
; COMPUTE_PGM_RSRC2:TGID_X_EN: 1
; COMPUTE_PGM_RSRC2:TGID_Y_EN: 0
; COMPUTE_PGM_RSRC2:TGID_Z_EN: 0
; COMPUTE_PGM_RSRC2:TIDIG_COMP_CNT: 0
; COMPUTE_PGM_RSRC3_GFX90A:ACCUM_OFFSET: 0
; COMPUTE_PGM_RSRC3_GFX90A:TG_SPLIT: 0
	.section	.text._ZN7rocprim17ROCPRIM_400000_NS6detail17trampoline_kernelINS0_14default_configENS1_20scan_config_selectorIiEEZZNS1_9scan_implILNS1_25lookback_scan_determinismE0ELb0ELb0ES3_N6thrust23THRUST_200600_302600_NS6detail15normal_iteratorINS9_10device_ptrIiEEEESE_i11max_functorIiEiEEDaPvRmT3_T4_T5_mT6_P12ihipStream_tbENKUlT_T0_E_clISt17integral_constantIbLb1EEST_IbLb0EEEEDaSP_SQ_EUlSP_E_NS1_11comp_targetILNS1_3genE9ELNS1_11target_archE1100ELNS1_3gpuE3ELNS1_3repE0EEENS1_30default_config_static_selectorELNS0_4arch9wavefront6targetE1EEEvT1_,"axG",@progbits,_ZN7rocprim17ROCPRIM_400000_NS6detail17trampoline_kernelINS0_14default_configENS1_20scan_config_selectorIiEEZZNS1_9scan_implILNS1_25lookback_scan_determinismE0ELb0ELb0ES3_N6thrust23THRUST_200600_302600_NS6detail15normal_iteratorINS9_10device_ptrIiEEEESE_i11max_functorIiEiEEDaPvRmT3_T4_T5_mT6_P12ihipStream_tbENKUlT_T0_E_clISt17integral_constantIbLb1EEST_IbLb0EEEEDaSP_SQ_EUlSP_E_NS1_11comp_targetILNS1_3genE9ELNS1_11target_archE1100ELNS1_3gpuE3ELNS1_3repE0EEENS1_30default_config_static_selectorELNS0_4arch9wavefront6targetE1EEEvT1_,comdat
	.protected	_ZN7rocprim17ROCPRIM_400000_NS6detail17trampoline_kernelINS0_14default_configENS1_20scan_config_selectorIiEEZZNS1_9scan_implILNS1_25lookback_scan_determinismE0ELb0ELb0ES3_N6thrust23THRUST_200600_302600_NS6detail15normal_iteratorINS9_10device_ptrIiEEEESE_i11max_functorIiEiEEDaPvRmT3_T4_T5_mT6_P12ihipStream_tbENKUlT_T0_E_clISt17integral_constantIbLb1EEST_IbLb0EEEEDaSP_SQ_EUlSP_E_NS1_11comp_targetILNS1_3genE9ELNS1_11target_archE1100ELNS1_3gpuE3ELNS1_3repE0EEENS1_30default_config_static_selectorELNS0_4arch9wavefront6targetE1EEEvT1_ ; -- Begin function _ZN7rocprim17ROCPRIM_400000_NS6detail17trampoline_kernelINS0_14default_configENS1_20scan_config_selectorIiEEZZNS1_9scan_implILNS1_25lookback_scan_determinismE0ELb0ELb0ES3_N6thrust23THRUST_200600_302600_NS6detail15normal_iteratorINS9_10device_ptrIiEEEESE_i11max_functorIiEiEEDaPvRmT3_T4_T5_mT6_P12ihipStream_tbENKUlT_T0_E_clISt17integral_constantIbLb1EEST_IbLb0EEEEDaSP_SQ_EUlSP_E_NS1_11comp_targetILNS1_3genE9ELNS1_11target_archE1100ELNS1_3gpuE3ELNS1_3repE0EEENS1_30default_config_static_selectorELNS0_4arch9wavefront6targetE1EEEvT1_
	.globl	_ZN7rocprim17ROCPRIM_400000_NS6detail17trampoline_kernelINS0_14default_configENS1_20scan_config_selectorIiEEZZNS1_9scan_implILNS1_25lookback_scan_determinismE0ELb0ELb0ES3_N6thrust23THRUST_200600_302600_NS6detail15normal_iteratorINS9_10device_ptrIiEEEESE_i11max_functorIiEiEEDaPvRmT3_T4_T5_mT6_P12ihipStream_tbENKUlT_T0_E_clISt17integral_constantIbLb1EEST_IbLb0EEEEDaSP_SQ_EUlSP_E_NS1_11comp_targetILNS1_3genE9ELNS1_11target_archE1100ELNS1_3gpuE3ELNS1_3repE0EEENS1_30default_config_static_selectorELNS0_4arch9wavefront6targetE1EEEvT1_
	.p2align	8
	.type	_ZN7rocprim17ROCPRIM_400000_NS6detail17trampoline_kernelINS0_14default_configENS1_20scan_config_selectorIiEEZZNS1_9scan_implILNS1_25lookback_scan_determinismE0ELb0ELb0ES3_N6thrust23THRUST_200600_302600_NS6detail15normal_iteratorINS9_10device_ptrIiEEEESE_i11max_functorIiEiEEDaPvRmT3_T4_T5_mT6_P12ihipStream_tbENKUlT_T0_E_clISt17integral_constantIbLb1EEST_IbLb0EEEEDaSP_SQ_EUlSP_E_NS1_11comp_targetILNS1_3genE9ELNS1_11target_archE1100ELNS1_3gpuE3ELNS1_3repE0EEENS1_30default_config_static_selectorELNS0_4arch9wavefront6targetE1EEEvT1_,@function
_ZN7rocprim17ROCPRIM_400000_NS6detail17trampoline_kernelINS0_14default_configENS1_20scan_config_selectorIiEEZZNS1_9scan_implILNS1_25lookback_scan_determinismE0ELb0ELb0ES3_N6thrust23THRUST_200600_302600_NS6detail15normal_iteratorINS9_10device_ptrIiEEEESE_i11max_functorIiEiEEDaPvRmT3_T4_T5_mT6_P12ihipStream_tbENKUlT_T0_E_clISt17integral_constantIbLb1EEST_IbLb0EEEEDaSP_SQ_EUlSP_E_NS1_11comp_targetILNS1_3genE9ELNS1_11target_archE1100ELNS1_3gpuE3ELNS1_3repE0EEENS1_30default_config_static_selectorELNS0_4arch9wavefront6targetE1EEEvT1_: ; @_ZN7rocprim17ROCPRIM_400000_NS6detail17trampoline_kernelINS0_14default_configENS1_20scan_config_selectorIiEEZZNS1_9scan_implILNS1_25lookback_scan_determinismE0ELb0ELb0ES3_N6thrust23THRUST_200600_302600_NS6detail15normal_iteratorINS9_10device_ptrIiEEEESE_i11max_functorIiEiEEDaPvRmT3_T4_T5_mT6_P12ihipStream_tbENKUlT_T0_E_clISt17integral_constantIbLb1EEST_IbLb0EEEEDaSP_SQ_EUlSP_E_NS1_11comp_targetILNS1_3genE9ELNS1_11target_archE1100ELNS1_3gpuE3ELNS1_3repE0EEENS1_30default_config_static_selectorELNS0_4arch9wavefront6targetE1EEEvT1_
; %bb.0:
	.section	.rodata,"a",@progbits
	.p2align	6, 0x0
	.amdhsa_kernel _ZN7rocprim17ROCPRIM_400000_NS6detail17trampoline_kernelINS0_14default_configENS1_20scan_config_selectorIiEEZZNS1_9scan_implILNS1_25lookback_scan_determinismE0ELb0ELb0ES3_N6thrust23THRUST_200600_302600_NS6detail15normal_iteratorINS9_10device_ptrIiEEEESE_i11max_functorIiEiEEDaPvRmT3_T4_T5_mT6_P12ihipStream_tbENKUlT_T0_E_clISt17integral_constantIbLb1EEST_IbLb0EEEEDaSP_SQ_EUlSP_E_NS1_11comp_targetILNS1_3genE9ELNS1_11target_archE1100ELNS1_3gpuE3ELNS1_3repE0EEENS1_30default_config_static_selectorELNS0_4arch9wavefront6targetE1EEEvT1_
		.amdhsa_group_segment_fixed_size 0
		.amdhsa_private_segment_fixed_size 0
		.amdhsa_kernarg_size 96
		.amdhsa_user_sgpr_count 6
		.amdhsa_user_sgpr_private_segment_buffer 1
		.amdhsa_user_sgpr_dispatch_ptr 0
		.amdhsa_user_sgpr_queue_ptr 0
		.amdhsa_user_sgpr_kernarg_segment_ptr 1
		.amdhsa_user_sgpr_dispatch_id 0
		.amdhsa_user_sgpr_flat_scratch_init 0
		.amdhsa_user_sgpr_kernarg_preload_length 0
		.amdhsa_user_sgpr_kernarg_preload_offset 0
		.amdhsa_user_sgpr_private_segment_size 0
		.amdhsa_uses_dynamic_stack 0
		.amdhsa_system_sgpr_private_segment_wavefront_offset 0
		.amdhsa_system_sgpr_workgroup_id_x 1
		.amdhsa_system_sgpr_workgroup_id_y 0
		.amdhsa_system_sgpr_workgroup_id_z 0
		.amdhsa_system_sgpr_workgroup_info 0
		.amdhsa_system_vgpr_workitem_id 0
		.amdhsa_next_free_vgpr 1
		.amdhsa_next_free_sgpr 0
		.amdhsa_accum_offset 4
		.amdhsa_reserve_vcc 0
		.amdhsa_reserve_flat_scratch 0
		.amdhsa_float_round_mode_32 0
		.amdhsa_float_round_mode_16_64 0
		.amdhsa_float_denorm_mode_32 3
		.amdhsa_float_denorm_mode_16_64 3
		.amdhsa_dx10_clamp 1
		.amdhsa_ieee_mode 1
		.amdhsa_fp16_overflow 0
		.amdhsa_tg_split 0
		.amdhsa_exception_fp_ieee_invalid_op 0
		.amdhsa_exception_fp_denorm_src 0
		.amdhsa_exception_fp_ieee_div_zero 0
		.amdhsa_exception_fp_ieee_overflow 0
		.amdhsa_exception_fp_ieee_underflow 0
		.amdhsa_exception_fp_ieee_inexact 0
		.amdhsa_exception_int_div_zero 0
	.end_amdhsa_kernel
	.section	.text._ZN7rocprim17ROCPRIM_400000_NS6detail17trampoline_kernelINS0_14default_configENS1_20scan_config_selectorIiEEZZNS1_9scan_implILNS1_25lookback_scan_determinismE0ELb0ELb0ES3_N6thrust23THRUST_200600_302600_NS6detail15normal_iteratorINS9_10device_ptrIiEEEESE_i11max_functorIiEiEEDaPvRmT3_T4_T5_mT6_P12ihipStream_tbENKUlT_T0_E_clISt17integral_constantIbLb1EEST_IbLb0EEEEDaSP_SQ_EUlSP_E_NS1_11comp_targetILNS1_3genE9ELNS1_11target_archE1100ELNS1_3gpuE3ELNS1_3repE0EEENS1_30default_config_static_selectorELNS0_4arch9wavefront6targetE1EEEvT1_,"axG",@progbits,_ZN7rocprim17ROCPRIM_400000_NS6detail17trampoline_kernelINS0_14default_configENS1_20scan_config_selectorIiEEZZNS1_9scan_implILNS1_25lookback_scan_determinismE0ELb0ELb0ES3_N6thrust23THRUST_200600_302600_NS6detail15normal_iteratorINS9_10device_ptrIiEEEESE_i11max_functorIiEiEEDaPvRmT3_T4_T5_mT6_P12ihipStream_tbENKUlT_T0_E_clISt17integral_constantIbLb1EEST_IbLb0EEEEDaSP_SQ_EUlSP_E_NS1_11comp_targetILNS1_3genE9ELNS1_11target_archE1100ELNS1_3gpuE3ELNS1_3repE0EEENS1_30default_config_static_selectorELNS0_4arch9wavefront6targetE1EEEvT1_,comdat
.Lfunc_end2745:
	.size	_ZN7rocprim17ROCPRIM_400000_NS6detail17trampoline_kernelINS0_14default_configENS1_20scan_config_selectorIiEEZZNS1_9scan_implILNS1_25lookback_scan_determinismE0ELb0ELb0ES3_N6thrust23THRUST_200600_302600_NS6detail15normal_iteratorINS9_10device_ptrIiEEEESE_i11max_functorIiEiEEDaPvRmT3_T4_T5_mT6_P12ihipStream_tbENKUlT_T0_E_clISt17integral_constantIbLb1EEST_IbLb0EEEEDaSP_SQ_EUlSP_E_NS1_11comp_targetILNS1_3genE9ELNS1_11target_archE1100ELNS1_3gpuE3ELNS1_3repE0EEENS1_30default_config_static_selectorELNS0_4arch9wavefront6targetE1EEEvT1_, .Lfunc_end2745-_ZN7rocprim17ROCPRIM_400000_NS6detail17trampoline_kernelINS0_14default_configENS1_20scan_config_selectorIiEEZZNS1_9scan_implILNS1_25lookback_scan_determinismE0ELb0ELb0ES3_N6thrust23THRUST_200600_302600_NS6detail15normal_iteratorINS9_10device_ptrIiEEEESE_i11max_functorIiEiEEDaPvRmT3_T4_T5_mT6_P12ihipStream_tbENKUlT_T0_E_clISt17integral_constantIbLb1EEST_IbLb0EEEEDaSP_SQ_EUlSP_E_NS1_11comp_targetILNS1_3genE9ELNS1_11target_archE1100ELNS1_3gpuE3ELNS1_3repE0EEENS1_30default_config_static_selectorELNS0_4arch9wavefront6targetE1EEEvT1_
                                        ; -- End function
	.section	.AMDGPU.csdata,"",@progbits
; Kernel info:
; codeLenInByte = 0
; NumSgprs: 4
; NumVgprs: 0
; NumAgprs: 0
; TotalNumVgprs: 0
; ScratchSize: 0
; MemoryBound: 0
; FloatMode: 240
; IeeeMode: 1
; LDSByteSize: 0 bytes/workgroup (compile time only)
; SGPRBlocks: 0
; VGPRBlocks: 0
; NumSGPRsForWavesPerEU: 4
; NumVGPRsForWavesPerEU: 1
; AccumOffset: 4
; Occupancy: 8
; WaveLimiterHint : 0
; COMPUTE_PGM_RSRC2:SCRATCH_EN: 0
; COMPUTE_PGM_RSRC2:USER_SGPR: 6
; COMPUTE_PGM_RSRC2:TRAP_HANDLER: 0
; COMPUTE_PGM_RSRC2:TGID_X_EN: 1
; COMPUTE_PGM_RSRC2:TGID_Y_EN: 0
; COMPUTE_PGM_RSRC2:TGID_Z_EN: 0
; COMPUTE_PGM_RSRC2:TIDIG_COMP_CNT: 0
; COMPUTE_PGM_RSRC3_GFX90A:ACCUM_OFFSET: 0
; COMPUTE_PGM_RSRC3_GFX90A:TG_SPLIT: 0
	.section	.text._ZN7rocprim17ROCPRIM_400000_NS6detail17trampoline_kernelINS0_14default_configENS1_20scan_config_selectorIiEEZZNS1_9scan_implILNS1_25lookback_scan_determinismE0ELb0ELb0ES3_N6thrust23THRUST_200600_302600_NS6detail15normal_iteratorINS9_10device_ptrIiEEEESE_i11max_functorIiEiEEDaPvRmT3_T4_T5_mT6_P12ihipStream_tbENKUlT_T0_E_clISt17integral_constantIbLb1EEST_IbLb0EEEEDaSP_SQ_EUlSP_E_NS1_11comp_targetILNS1_3genE8ELNS1_11target_archE1030ELNS1_3gpuE2ELNS1_3repE0EEENS1_30default_config_static_selectorELNS0_4arch9wavefront6targetE1EEEvT1_,"axG",@progbits,_ZN7rocprim17ROCPRIM_400000_NS6detail17trampoline_kernelINS0_14default_configENS1_20scan_config_selectorIiEEZZNS1_9scan_implILNS1_25lookback_scan_determinismE0ELb0ELb0ES3_N6thrust23THRUST_200600_302600_NS6detail15normal_iteratorINS9_10device_ptrIiEEEESE_i11max_functorIiEiEEDaPvRmT3_T4_T5_mT6_P12ihipStream_tbENKUlT_T0_E_clISt17integral_constantIbLb1EEST_IbLb0EEEEDaSP_SQ_EUlSP_E_NS1_11comp_targetILNS1_3genE8ELNS1_11target_archE1030ELNS1_3gpuE2ELNS1_3repE0EEENS1_30default_config_static_selectorELNS0_4arch9wavefront6targetE1EEEvT1_,comdat
	.protected	_ZN7rocprim17ROCPRIM_400000_NS6detail17trampoline_kernelINS0_14default_configENS1_20scan_config_selectorIiEEZZNS1_9scan_implILNS1_25lookback_scan_determinismE0ELb0ELb0ES3_N6thrust23THRUST_200600_302600_NS6detail15normal_iteratorINS9_10device_ptrIiEEEESE_i11max_functorIiEiEEDaPvRmT3_T4_T5_mT6_P12ihipStream_tbENKUlT_T0_E_clISt17integral_constantIbLb1EEST_IbLb0EEEEDaSP_SQ_EUlSP_E_NS1_11comp_targetILNS1_3genE8ELNS1_11target_archE1030ELNS1_3gpuE2ELNS1_3repE0EEENS1_30default_config_static_selectorELNS0_4arch9wavefront6targetE1EEEvT1_ ; -- Begin function _ZN7rocprim17ROCPRIM_400000_NS6detail17trampoline_kernelINS0_14default_configENS1_20scan_config_selectorIiEEZZNS1_9scan_implILNS1_25lookback_scan_determinismE0ELb0ELb0ES3_N6thrust23THRUST_200600_302600_NS6detail15normal_iteratorINS9_10device_ptrIiEEEESE_i11max_functorIiEiEEDaPvRmT3_T4_T5_mT6_P12ihipStream_tbENKUlT_T0_E_clISt17integral_constantIbLb1EEST_IbLb0EEEEDaSP_SQ_EUlSP_E_NS1_11comp_targetILNS1_3genE8ELNS1_11target_archE1030ELNS1_3gpuE2ELNS1_3repE0EEENS1_30default_config_static_selectorELNS0_4arch9wavefront6targetE1EEEvT1_
	.globl	_ZN7rocprim17ROCPRIM_400000_NS6detail17trampoline_kernelINS0_14default_configENS1_20scan_config_selectorIiEEZZNS1_9scan_implILNS1_25lookback_scan_determinismE0ELb0ELb0ES3_N6thrust23THRUST_200600_302600_NS6detail15normal_iteratorINS9_10device_ptrIiEEEESE_i11max_functorIiEiEEDaPvRmT3_T4_T5_mT6_P12ihipStream_tbENKUlT_T0_E_clISt17integral_constantIbLb1EEST_IbLb0EEEEDaSP_SQ_EUlSP_E_NS1_11comp_targetILNS1_3genE8ELNS1_11target_archE1030ELNS1_3gpuE2ELNS1_3repE0EEENS1_30default_config_static_selectorELNS0_4arch9wavefront6targetE1EEEvT1_
	.p2align	8
	.type	_ZN7rocprim17ROCPRIM_400000_NS6detail17trampoline_kernelINS0_14default_configENS1_20scan_config_selectorIiEEZZNS1_9scan_implILNS1_25lookback_scan_determinismE0ELb0ELb0ES3_N6thrust23THRUST_200600_302600_NS6detail15normal_iteratorINS9_10device_ptrIiEEEESE_i11max_functorIiEiEEDaPvRmT3_T4_T5_mT6_P12ihipStream_tbENKUlT_T0_E_clISt17integral_constantIbLb1EEST_IbLb0EEEEDaSP_SQ_EUlSP_E_NS1_11comp_targetILNS1_3genE8ELNS1_11target_archE1030ELNS1_3gpuE2ELNS1_3repE0EEENS1_30default_config_static_selectorELNS0_4arch9wavefront6targetE1EEEvT1_,@function
_ZN7rocprim17ROCPRIM_400000_NS6detail17trampoline_kernelINS0_14default_configENS1_20scan_config_selectorIiEEZZNS1_9scan_implILNS1_25lookback_scan_determinismE0ELb0ELb0ES3_N6thrust23THRUST_200600_302600_NS6detail15normal_iteratorINS9_10device_ptrIiEEEESE_i11max_functorIiEiEEDaPvRmT3_T4_T5_mT6_P12ihipStream_tbENKUlT_T0_E_clISt17integral_constantIbLb1EEST_IbLb0EEEEDaSP_SQ_EUlSP_E_NS1_11comp_targetILNS1_3genE8ELNS1_11target_archE1030ELNS1_3gpuE2ELNS1_3repE0EEENS1_30default_config_static_selectorELNS0_4arch9wavefront6targetE1EEEvT1_: ; @_ZN7rocprim17ROCPRIM_400000_NS6detail17trampoline_kernelINS0_14default_configENS1_20scan_config_selectorIiEEZZNS1_9scan_implILNS1_25lookback_scan_determinismE0ELb0ELb0ES3_N6thrust23THRUST_200600_302600_NS6detail15normal_iteratorINS9_10device_ptrIiEEEESE_i11max_functorIiEiEEDaPvRmT3_T4_T5_mT6_P12ihipStream_tbENKUlT_T0_E_clISt17integral_constantIbLb1EEST_IbLb0EEEEDaSP_SQ_EUlSP_E_NS1_11comp_targetILNS1_3genE8ELNS1_11target_archE1030ELNS1_3gpuE2ELNS1_3repE0EEENS1_30default_config_static_selectorELNS0_4arch9wavefront6targetE1EEEvT1_
; %bb.0:
	.section	.rodata,"a",@progbits
	.p2align	6, 0x0
	.amdhsa_kernel _ZN7rocprim17ROCPRIM_400000_NS6detail17trampoline_kernelINS0_14default_configENS1_20scan_config_selectorIiEEZZNS1_9scan_implILNS1_25lookback_scan_determinismE0ELb0ELb0ES3_N6thrust23THRUST_200600_302600_NS6detail15normal_iteratorINS9_10device_ptrIiEEEESE_i11max_functorIiEiEEDaPvRmT3_T4_T5_mT6_P12ihipStream_tbENKUlT_T0_E_clISt17integral_constantIbLb1EEST_IbLb0EEEEDaSP_SQ_EUlSP_E_NS1_11comp_targetILNS1_3genE8ELNS1_11target_archE1030ELNS1_3gpuE2ELNS1_3repE0EEENS1_30default_config_static_selectorELNS0_4arch9wavefront6targetE1EEEvT1_
		.amdhsa_group_segment_fixed_size 0
		.amdhsa_private_segment_fixed_size 0
		.amdhsa_kernarg_size 96
		.amdhsa_user_sgpr_count 6
		.amdhsa_user_sgpr_private_segment_buffer 1
		.amdhsa_user_sgpr_dispatch_ptr 0
		.amdhsa_user_sgpr_queue_ptr 0
		.amdhsa_user_sgpr_kernarg_segment_ptr 1
		.amdhsa_user_sgpr_dispatch_id 0
		.amdhsa_user_sgpr_flat_scratch_init 0
		.amdhsa_user_sgpr_kernarg_preload_length 0
		.amdhsa_user_sgpr_kernarg_preload_offset 0
		.amdhsa_user_sgpr_private_segment_size 0
		.amdhsa_uses_dynamic_stack 0
		.amdhsa_system_sgpr_private_segment_wavefront_offset 0
		.amdhsa_system_sgpr_workgroup_id_x 1
		.amdhsa_system_sgpr_workgroup_id_y 0
		.amdhsa_system_sgpr_workgroup_id_z 0
		.amdhsa_system_sgpr_workgroup_info 0
		.amdhsa_system_vgpr_workitem_id 0
		.amdhsa_next_free_vgpr 1
		.amdhsa_next_free_sgpr 0
		.amdhsa_accum_offset 4
		.amdhsa_reserve_vcc 0
		.amdhsa_reserve_flat_scratch 0
		.amdhsa_float_round_mode_32 0
		.amdhsa_float_round_mode_16_64 0
		.amdhsa_float_denorm_mode_32 3
		.amdhsa_float_denorm_mode_16_64 3
		.amdhsa_dx10_clamp 1
		.amdhsa_ieee_mode 1
		.amdhsa_fp16_overflow 0
		.amdhsa_tg_split 0
		.amdhsa_exception_fp_ieee_invalid_op 0
		.amdhsa_exception_fp_denorm_src 0
		.amdhsa_exception_fp_ieee_div_zero 0
		.amdhsa_exception_fp_ieee_overflow 0
		.amdhsa_exception_fp_ieee_underflow 0
		.amdhsa_exception_fp_ieee_inexact 0
		.amdhsa_exception_int_div_zero 0
	.end_amdhsa_kernel
	.section	.text._ZN7rocprim17ROCPRIM_400000_NS6detail17trampoline_kernelINS0_14default_configENS1_20scan_config_selectorIiEEZZNS1_9scan_implILNS1_25lookback_scan_determinismE0ELb0ELb0ES3_N6thrust23THRUST_200600_302600_NS6detail15normal_iteratorINS9_10device_ptrIiEEEESE_i11max_functorIiEiEEDaPvRmT3_T4_T5_mT6_P12ihipStream_tbENKUlT_T0_E_clISt17integral_constantIbLb1EEST_IbLb0EEEEDaSP_SQ_EUlSP_E_NS1_11comp_targetILNS1_3genE8ELNS1_11target_archE1030ELNS1_3gpuE2ELNS1_3repE0EEENS1_30default_config_static_selectorELNS0_4arch9wavefront6targetE1EEEvT1_,"axG",@progbits,_ZN7rocprim17ROCPRIM_400000_NS6detail17trampoline_kernelINS0_14default_configENS1_20scan_config_selectorIiEEZZNS1_9scan_implILNS1_25lookback_scan_determinismE0ELb0ELb0ES3_N6thrust23THRUST_200600_302600_NS6detail15normal_iteratorINS9_10device_ptrIiEEEESE_i11max_functorIiEiEEDaPvRmT3_T4_T5_mT6_P12ihipStream_tbENKUlT_T0_E_clISt17integral_constantIbLb1EEST_IbLb0EEEEDaSP_SQ_EUlSP_E_NS1_11comp_targetILNS1_3genE8ELNS1_11target_archE1030ELNS1_3gpuE2ELNS1_3repE0EEENS1_30default_config_static_selectorELNS0_4arch9wavefront6targetE1EEEvT1_,comdat
.Lfunc_end2746:
	.size	_ZN7rocprim17ROCPRIM_400000_NS6detail17trampoline_kernelINS0_14default_configENS1_20scan_config_selectorIiEEZZNS1_9scan_implILNS1_25lookback_scan_determinismE0ELb0ELb0ES3_N6thrust23THRUST_200600_302600_NS6detail15normal_iteratorINS9_10device_ptrIiEEEESE_i11max_functorIiEiEEDaPvRmT3_T4_T5_mT6_P12ihipStream_tbENKUlT_T0_E_clISt17integral_constantIbLb1EEST_IbLb0EEEEDaSP_SQ_EUlSP_E_NS1_11comp_targetILNS1_3genE8ELNS1_11target_archE1030ELNS1_3gpuE2ELNS1_3repE0EEENS1_30default_config_static_selectorELNS0_4arch9wavefront6targetE1EEEvT1_, .Lfunc_end2746-_ZN7rocprim17ROCPRIM_400000_NS6detail17trampoline_kernelINS0_14default_configENS1_20scan_config_selectorIiEEZZNS1_9scan_implILNS1_25lookback_scan_determinismE0ELb0ELb0ES3_N6thrust23THRUST_200600_302600_NS6detail15normal_iteratorINS9_10device_ptrIiEEEESE_i11max_functorIiEiEEDaPvRmT3_T4_T5_mT6_P12ihipStream_tbENKUlT_T0_E_clISt17integral_constantIbLb1EEST_IbLb0EEEEDaSP_SQ_EUlSP_E_NS1_11comp_targetILNS1_3genE8ELNS1_11target_archE1030ELNS1_3gpuE2ELNS1_3repE0EEENS1_30default_config_static_selectorELNS0_4arch9wavefront6targetE1EEEvT1_
                                        ; -- End function
	.section	.AMDGPU.csdata,"",@progbits
; Kernel info:
; codeLenInByte = 0
; NumSgprs: 4
; NumVgprs: 0
; NumAgprs: 0
; TotalNumVgprs: 0
; ScratchSize: 0
; MemoryBound: 0
; FloatMode: 240
; IeeeMode: 1
; LDSByteSize: 0 bytes/workgroup (compile time only)
; SGPRBlocks: 0
; VGPRBlocks: 0
; NumSGPRsForWavesPerEU: 4
; NumVGPRsForWavesPerEU: 1
; AccumOffset: 4
; Occupancy: 8
; WaveLimiterHint : 0
; COMPUTE_PGM_RSRC2:SCRATCH_EN: 0
; COMPUTE_PGM_RSRC2:USER_SGPR: 6
; COMPUTE_PGM_RSRC2:TRAP_HANDLER: 0
; COMPUTE_PGM_RSRC2:TGID_X_EN: 1
; COMPUTE_PGM_RSRC2:TGID_Y_EN: 0
; COMPUTE_PGM_RSRC2:TGID_Z_EN: 0
; COMPUTE_PGM_RSRC2:TIDIG_COMP_CNT: 0
; COMPUTE_PGM_RSRC3_GFX90A:ACCUM_OFFSET: 0
; COMPUTE_PGM_RSRC3_GFX90A:TG_SPLIT: 0
	.section	.text._ZN7rocprim17ROCPRIM_400000_NS6detail17trampoline_kernelINS0_14default_configENS1_20scan_config_selectorIiEEZZNS1_9scan_implILNS1_25lookback_scan_determinismE0ELb0ELb0ES3_N6thrust23THRUST_200600_302600_NS6detail15normal_iteratorINS9_10device_ptrIiEEEESE_i11max_functorIiEiEEDaPvRmT3_T4_T5_mT6_P12ihipStream_tbENKUlT_T0_E_clISt17integral_constantIbLb1EEST_IbLb0EEEEDaSP_SQ_EUlSP_E0_NS1_11comp_targetILNS1_3genE0ELNS1_11target_archE4294967295ELNS1_3gpuE0ELNS1_3repE0EEENS1_30default_config_static_selectorELNS0_4arch9wavefront6targetE1EEEvT1_,"axG",@progbits,_ZN7rocprim17ROCPRIM_400000_NS6detail17trampoline_kernelINS0_14default_configENS1_20scan_config_selectorIiEEZZNS1_9scan_implILNS1_25lookback_scan_determinismE0ELb0ELb0ES3_N6thrust23THRUST_200600_302600_NS6detail15normal_iteratorINS9_10device_ptrIiEEEESE_i11max_functorIiEiEEDaPvRmT3_T4_T5_mT6_P12ihipStream_tbENKUlT_T0_E_clISt17integral_constantIbLb1EEST_IbLb0EEEEDaSP_SQ_EUlSP_E0_NS1_11comp_targetILNS1_3genE0ELNS1_11target_archE4294967295ELNS1_3gpuE0ELNS1_3repE0EEENS1_30default_config_static_selectorELNS0_4arch9wavefront6targetE1EEEvT1_,comdat
	.protected	_ZN7rocprim17ROCPRIM_400000_NS6detail17trampoline_kernelINS0_14default_configENS1_20scan_config_selectorIiEEZZNS1_9scan_implILNS1_25lookback_scan_determinismE0ELb0ELb0ES3_N6thrust23THRUST_200600_302600_NS6detail15normal_iteratorINS9_10device_ptrIiEEEESE_i11max_functorIiEiEEDaPvRmT3_T4_T5_mT6_P12ihipStream_tbENKUlT_T0_E_clISt17integral_constantIbLb1EEST_IbLb0EEEEDaSP_SQ_EUlSP_E0_NS1_11comp_targetILNS1_3genE0ELNS1_11target_archE4294967295ELNS1_3gpuE0ELNS1_3repE0EEENS1_30default_config_static_selectorELNS0_4arch9wavefront6targetE1EEEvT1_ ; -- Begin function _ZN7rocprim17ROCPRIM_400000_NS6detail17trampoline_kernelINS0_14default_configENS1_20scan_config_selectorIiEEZZNS1_9scan_implILNS1_25lookback_scan_determinismE0ELb0ELb0ES3_N6thrust23THRUST_200600_302600_NS6detail15normal_iteratorINS9_10device_ptrIiEEEESE_i11max_functorIiEiEEDaPvRmT3_T4_T5_mT6_P12ihipStream_tbENKUlT_T0_E_clISt17integral_constantIbLb1EEST_IbLb0EEEEDaSP_SQ_EUlSP_E0_NS1_11comp_targetILNS1_3genE0ELNS1_11target_archE4294967295ELNS1_3gpuE0ELNS1_3repE0EEENS1_30default_config_static_selectorELNS0_4arch9wavefront6targetE1EEEvT1_
	.globl	_ZN7rocprim17ROCPRIM_400000_NS6detail17trampoline_kernelINS0_14default_configENS1_20scan_config_selectorIiEEZZNS1_9scan_implILNS1_25lookback_scan_determinismE0ELb0ELb0ES3_N6thrust23THRUST_200600_302600_NS6detail15normal_iteratorINS9_10device_ptrIiEEEESE_i11max_functorIiEiEEDaPvRmT3_T4_T5_mT6_P12ihipStream_tbENKUlT_T0_E_clISt17integral_constantIbLb1EEST_IbLb0EEEEDaSP_SQ_EUlSP_E0_NS1_11comp_targetILNS1_3genE0ELNS1_11target_archE4294967295ELNS1_3gpuE0ELNS1_3repE0EEENS1_30default_config_static_selectorELNS0_4arch9wavefront6targetE1EEEvT1_
	.p2align	8
	.type	_ZN7rocprim17ROCPRIM_400000_NS6detail17trampoline_kernelINS0_14default_configENS1_20scan_config_selectorIiEEZZNS1_9scan_implILNS1_25lookback_scan_determinismE0ELb0ELb0ES3_N6thrust23THRUST_200600_302600_NS6detail15normal_iteratorINS9_10device_ptrIiEEEESE_i11max_functorIiEiEEDaPvRmT3_T4_T5_mT6_P12ihipStream_tbENKUlT_T0_E_clISt17integral_constantIbLb1EEST_IbLb0EEEEDaSP_SQ_EUlSP_E0_NS1_11comp_targetILNS1_3genE0ELNS1_11target_archE4294967295ELNS1_3gpuE0ELNS1_3repE0EEENS1_30default_config_static_selectorELNS0_4arch9wavefront6targetE1EEEvT1_,@function
_ZN7rocprim17ROCPRIM_400000_NS6detail17trampoline_kernelINS0_14default_configENS1_20scan_config_selectorIiEEZZNS1_9scan_implILNS1_25lookback_scan_determinismE0ELb0ELb0ES3_N6thrust23THRUST_200600_302600_NS6detail15normal_iteratorINS9_10device_ptrIiEEEESE_i11max_functorIiEiEEDaPvRmT3_T4_T5_mT6_P12ihipStream_tbENKUlT_T0_E_clISt17integral_constantIbLb1EEST_IbLb0EEEEDaSP_SQ_EUlSP_E0_NS1_11comp_targetILNS1_3genE0ELNS1_11target_archE4294967295ELNS1_3gpuE0ELNS1_3repE0EEENS1_30default_config_static_selectorELNS0_4arch9wavefront6targetE1EEEvT1_: ; @_ZN7rocprim17ROCPRIM_400000_NS6detail17trampoline_kernelINS0_14default_configENS1_20scan_config_selectorIiEEZZNS1_9scan_implILNS1_25lookback_scan_determinismE0ELb0ELb0ES3_N6thrust23THRUST_200600_302600_NS6detail15normal_iteratorINS9_10device_ptrIiEEEESE_i11max_functorIiEiEEDaPvRmT3_T4_T5_mT6_P12ihipStream_tbENKUlT_T0_E_clISt17integral_constantIbLb1EEST_IbLb0EEEEDaSP_SQ_EUlSP_E0_NS1_11comp_targetILNS1_3genE0ELNS1_11target_archE4294967295ELNS1_3gpuE0ELNS1_3repE0EEENS1_30default_config_static_selectorELNS0_4arch9wavefront6targetE1EEEvT1_
; %bb.0:
	.section	.rodata,"a",@progbits
	.p2align	6, 0x0
	.amdhsa_kernel _ZN7rocprim17ROCPRIM_400000_NS6detail17trampoline_kernelINS0_14default_configENS1_20scan_config_selectorIiEEZZNS1_9scan_implILNS1_25lookback_scan_determinismE0ELb0ELb0ES3_N6thrust23THRUST_200600_302600_NS6detail15normal_iteratorINS9_10device_ptrIiEEEESE_i11max_functorIiEiEEDaPvRmT3_T4_T5_mT6_P12ihipStream_tbENKUlT_T0_E_clISt17integral_constantIbLb1EEST_IbLb0EEEEDaSP_SQ_EUlSP_E0_NS1_11comp_targetILNS1_3genE0ELNS1_11target_archE4294967295ELNS1_3gpuE0ELNS1_3repE0EEENS1_30default_config_static_selectorELNS0_4arch9wavefront6targetE1EEEvT1_
		.amdhsa_group_segment_fixed_size 0
		.amdhsa_private_segment_fixed_size 0
		.amdhsa_kernarg_size 32
		.amdhsa_user_sgpr_count 6
		.amdhsa_user_sgpr_private_segment_buffer 1
		.amdhsa_user_sgpr_dispatch_ptr 0
		.amdhsa_user_sgpr_queue_ptr 0
		.amdhsa_user_sgpr_kernarg_segment_ptr 1
		.amdhsa_user_sgpr_dispatch_id 0
		.amdhsa_user_sgpr_flat_scratch_init 0
		.amdhsa_user_sgpr_kernarg_preload_length 0
		.amdhsa_user_sgpr_kernarg_preload_offset 0
		.amdhsa_user_sgpr_private_segment_size 0
		.amdhsa_uses_dynamic_stack 0
		.amdhsa_system_sgpr_private_segment_wavefront_offset 0
		.amdhsa_system_sgpr_workgroup_id_x 1
		.amdhsa_system_sgpr_workgroup_id_y 0
		.amdhsa_system_sgpr_workgroup_id_z 0
		.amdhsa_system_sgpr_workgroup_info 0
		.amdhsa_system_vgpr_workitem_id 0
		.amdhsa_next_free_vgpr 1
		.amdhsa_next_free_sgpr 0
		.amdhsa_accum_offset 4
		.amdhsa_reserve_vcc 0
		.amdhsa_reserve_flat_scratch 0
		.amdhsa_float_round_mode_32 0
		.amdhsa_float_round_mode_16_64 0
		.amdhsa_float_denorm_mode_32 3
		.amdhsa_float_denorm_mode_16_64 3
		.amdhsa_dx10_clamp 1
		.amdhsa_ieee_mode 1
		.amdhsa_fp16_overflow 0
		.amdhsa_tg_split 0
		.amdhsa_exception_fp_ieee_invalid_op 0
		.amdhsa_exception_fp_denorm_src 0
		.amdhsa_exception_fp_ieee_div_zero 0
		.amdhsa_exception_fp_ieee_overflow 0
		.amdhsa_exception_fp_ieee_underflow 0
		.amdhsa_exception_fp_ieee_inexact 0
		.amdhsa_exception_int_div_zero 0
	.end_amdhsa_kernel
	.section	.text._ZN7rocprim17ROCPRIM_400000_NS6detail17trampoline_kernelINS0_14default_configENS1_20scan_config_selectorIiEEZZNS1_9scan_implILNS1_25lookback_scan_determinismE0ELb0ELb0ES3_N6thrust23THRUST_200600_302600_NS6detail15normal_iteratorINS9_10device_ptrIiEEEESE_i11max_functorIiEiEEDaPvRmT3_T4_T5_mT6_P12ihipStream_tbENKUlT_T0_E_clISt17integral_constantIbLb1EEST_IbLb0EEEEDaSP_SQ_EUlSP_E0_NS1_11comp_targetILNS1_3genE0ELNS1_11target_archE4294967295ELNS1_3gpuE0ELNS1_3repE0EEENS1_30default_config_static_selectorELNS0_4arch9wavefront6targetE1EEEvT1_,"axG",@progbits,_ZN7rocprim17ROCPRIM_400000_NS6detail17trampoline_kernelINS0_14default_configENS1_20scan_config_selectorIiEEZZNS1_9scan_implILNS1_25lookback_scan_determinismE0ELb0ELb0ES3_N6thrust23THRUST_200600_302600_NS6detail15normal_iteratorINS9_10device_ptrIiEEEESE_i11max_functorIiEiEEDaPvRmT3_T4_T5_mT6_P12ihipStream_tbENKUlT_T0_E_clISt17integral_constantIbLb1EEST_IbLb0EEEEDaSP_SQ_EUlSP_E0_NS1_11comp_targetILNS1_3genE0ELNS1_11target_archE4294967295ELNS1_3gpuE0ELNS1_3repE0EEENS1_30default_config_static_selectorELNS0_4arch9wavefront6targetE1EEEvT1_,comdat
.Lfunc_end2747:
	.size	_ZN7rocprim17ROCPRIM_400000_NS6detail17trampoline_kernelINS0_14default_configENS1_20scan_config_selectorIiEEZZNS1_9scan_implILNS1_25lookback_scan_determinismE0ELb0ELb0ES3_N6thrust23THRUST_200600_302600_NS6detail15normal_iteratorINS9_10device_ptrIiEEEESE_i11max_functorIiEiEEDaPvRmT3_T4_T5_mT6_P12ihipStream_tbENKUlT_T0_E_clISt17integral_constantIbLb1EEST_IbLb0EEEEDaSP_SQ_EUlSP_E0_NS1_11comp_targetILNS1_3genE0ELNS1_11target_archE4294967295ELNS1_3gpuE0ELNS1_3repE0EEENS1_30default_config_static_selectorELNS0_4arch9wavefront6targetE1EEEvT1_, .Lfunc_end2747-_ZN7rocprim17ROCPRIM_400000_NS6detail17trampoline_kernelINS0_14default_configENS1_20scan_config_selectorIiEEZZNS1_9scan_implILNS1_25lookback_scan_determinismE0ELb0ELb0ES3_N6thrust23THRUST_200600_302600_NS6detail15normal_iteratorINS9_10device_ptrIiEEEESE_i11max_functorIiEiEEDaPvRmT3_T4_T5_mT6_P12ihipStream_tbENKUlT_T0_E_clISt17integral_constantIbLb1EEST_IbLb0EEEEDaSP_SQ_EUlSP_E0_NS1_11comp_targetILNS1_3genE0ELNS1_11target_archE4294967295ELNS1_3gpuE0ELNS1_3repE0EEENS1_30default_config_static_selectorELNS0_4arch9wavefront6targetE1EEEvT1_
                                        ; -- End function
	.section	.AMDGPU.csdata,"",@progbits
; Kernel info:
; codeLenInByte = 0
; NumSgprs: 4
; NumVgprs: 0
; NumAgprs: 0
; TotalNumVgprs: 0
; ScratchSize: 0
; MemoryBound: 0
; FloatMode: 240
; IeeeMode: 1
; LDSByteSize: 0 bytes/workgroup (compile time only)
; SGPRBlocks: 0
; VGPRBlocks: 0
; NumSGPRsForWavesPerEU: 4
; NumVGPRsForWavesPerEU: 1
; AccumOffset: 4
; Occupancy: 8
; WaveLimiterHint : 0
; COMPUTE_PGM_RSRC2:SCRATCH_EN: 0
; COMPUTE_PGM_RSRC2:USER_SGPR: 6
; COMPUTE_PGM_RSRC2:TRAP_HANDLER: 0
; COMPUTE_PGM_RSRC2:TGID_X_EN: 1
; COMPUTE_PGM_RSRC2:TGID_Y_EN: 0
; COMPUTE_PGM_RSRC2:TGID_Z_EN: 0
; COMPUTE_PGM_RSRC2:TIDIG_COMP_CNT: 0
; COMPUTE_PGM_RSRC3_GFX90A:ACCUM_OFFSET: 0
; COMPUTE_PGM_RSRC3_GFX90A:TG_SPLIT: 0
	.section	.text._ZN7rocprim17ROCPRIM_400000_NS6detail17trampoline_kernelINS0_14default_configENS1_20scan_config_selectorIiEEZZNS1_9scan_implILNS1_25lookback_scan_determinismE0ELb0ELb0ES3_N6thrust23THRUST_200600_302600_NS6detail15normal_iteratorINS9_10device_ptrIiEEEESE_i11max_functorIiEiEEDaPvRmT3_T4_T5_mT6_P12ihipStream_tbENKUlT_T0_E_clISt17integral_constantIbLb1EEST_IbLb0EEEEDaSP_SQ_EUlSP_E0_NS1_11comp_targetILNS1_3genE5ELNS1_11target_archE942ELNS1_3gpuE9ELNS1_3repE0EEENS1_30default_config_static_selectorELNS0_4arch9wavefront6targetE1EEEvT1_,"axG",@progbits,_ZN7rocprim17ROCPRIM_400000_NS6detail17trampoline_kernelINS0_14default_configENS1_20scan_config_selectorIiEEZZNS1_9scan_implILNS1_25lookback_scan_determinismE0ELb0ELb0ES3_N6thrust23THRUST_200600_302600_NS6detail15normal_iteratorINS9_10device_ptrIiEEEESE_i11max_functorIiEiEEDaPvRmT3_T4_T5_mT6_P12ihipStream_tbENKUlT_T0_E_clISt17integral_constantIbLb1EEST_IbLb0EEEEDaSP_SQ_EUlSP_E0_NS1_11comp_targetILNS1_3genE5ELNS1_11target_archE942ELNS1_3gpuE9ELNS1_3repE0EEENS1_30default_config_static_selectorELNS0_4arch9wavefront6targetE1EEEvT1_,comdat
	.protected	_ZN7rocprim17ROCPRIM_400000_NS6detail17trampoline_kernelINS0_14default_configENS1_20scan_config_selectorIiEEZZNS1_9scan_implILNS1_25lookback_scan_determinismE0ELb0ELb0ES3_N6thrust23THRUST_200600_302600_NS6detail15normal_iteratorINS9_10device_ptrIiEEEESE_i11max_functorIiEiEEDaPvRmT3_T4_T5_mT6_P12ihipStream_tbENKUlT_T0_E_clISt17integral_constantIbLb1EEST_IbLb0EEEEDaSP_SQ_EUlSP_E0_NS1_11comp_targetILNS1_3genE5ELNS1_11target_archE942ELNS1_3gpuE9ELNS1_3repE0EEENS1_30default_config_static_selectorELNS0_4arch9wavefront6targetE1EEEvT1_ ; -- Begin function _ZN7rocprim17ROCPRIM_400000_NS6detail17trampoline_kernelINS0_14default_configENS1_20scan_config_selectorIiEEZZNS1_9scan_implILNS1_25lookback_scan_determinismE0ELb0ELb0ES3_N6thrust23THRUST_200600_302600_NS6detail15normal_iteratorINS9_10device_ptrIiEEEESE_i11max_functorIiEiEEDaPvRmT3_T4_T5_mT6_P12ihipStream_tbENKUlT_T0_E_clISt17integral_constantIbLb1EEST_IbLb0EEEEDaSP_SQ_EUlSP_E0_NS1_11comp_targetILNS1_3genE5ELNS1_11target_archE942ELNS1_3gpuE9ELNS1_3repE0EEENS1_30default_config_static_selectorELNS0_4arch9wavefront6targetE1EEEvT1_
	.globl	_ZN7rocprim17ROCPRIM_400000_NS6detail17trampoline_kernelINS0_14default_configENS1_20scan_config_selectorIiEEZZNS1_9scan_implILNS1_25lookback_scan_determinismE0ELb0ELb0ES3_N6thrust23THRUST_200600_302600_NS6detail15normal_iteratorINS9_10device_ptrIiEEEESE_i11max_functorIiEiEEDaPvRmT3_T4_T5_mT6_P12ihipStream_tbENKUlT_T0_E_clISt17integral_constantIbLb1EEST_IbLb0EEEEDaSP_SQ_EUlSP_E0_NS1_11comp_targetILNS1_3genE5ELNS1_11target_archE942ELNS1_3gpuE9ELNS1_3repE0EEENS1_30default_config_static_selectorELNS0_4arch9wavefront6targetE1EEEvT1_
	.p2align	8
	.type	_ZN7rocprim17ROCPRIM_400000_NS6detail17trampoline_kernelINS0_14default_configENS1_20scan_config_selectorIiEEZZNS1_9scan_implILNS1_25lookback_scan_determinismE0ELb0ELb0ES3_N6thrust23THRUST_200600_302600_NS6detail15normal_iteratorINS9_10device_ptrIiEEEESE_i11max_functorIiEiEEDaPvRmT3_T4_T5_mT6_P12ihipStream_tbENKUlT_T0_E_clISt17integral_constantIbLb1EEST_IbLb0EEEEDaSP_SQ_EUlSP_E0_NS1_11comp_targetILNS1_3genE5ELNS1_11target_archE942ELNS1_3gpuE9ELNS1_3repE0EEENS1_30default_config_static_selectorELNS0_4arch9wavefront6targetE1EEEvT1_,@function
_ZN7rocprim17ROCPRIM_400000_NS6detail17trampoline_kernelINS0_14default_configENS1_20scan_config_selectorIiEEZZNS1_9scan_implILNS1_25lookback_scan_determinismE0ELb0ELb0ES3_N6thrust23THRUST_200600_302600_NS6detail15normal_iteratorINS9_10device_ptrIiEEEESE_i11max_functorIiEiEEDaPvRmT3_T4_T5_mT6_P12ihipStream_tbENKUlT_T0_E_clISt17integral_constantIbLb1EEST_IbLb0EEEEDaSP_SQ_EUlSP_E0_NS1_11comp_targetILNS1_3genE5ELNS1_11target_archE942ELNS1_3gpuE9ELNS1_3repE0EEENS1_30default_config_static_selectorELNS0_4arch9wavefront6targetE1EEEvT1_: ; @_ZN7rocprim17ROCPRIM_400000_NS6detail17trampoline_kernelINS0_14default_configENS1_20scan_config_selectorIiEEZZNS1_9scan_implILNS1_25lookback_scan_determinismE0ELb0ELb0ES3_N6thrust23THRUST_200600_302600_NS6detail15normal_iteratorINS9_10device_ptrIiEEEESE_i11max_functorIiEiEEDaPvRmT3_T4_T5_mT6_P12ihipStream_tbENKUlT_T0_E_clISt17integral_constantIbLb1EEST_IbLb0EEEEDaSP_SQ_EUlSP_E0_NS1_11comp_targetILNS1_3genE5ELNS1_11target_archE942ELNS1_3gpuE9ELNS1_3repE0EEENS1_30default_config_static_selectorELNS0_4arch9wavefront6targetE1EEEvT1_
; %bb.0:
	.section	.rodata,"a",@progbits
	.p2align	6, 0x0
	.amdhsa_kernel _ZN7rocprim17ROCPRIM_400000_NS6detail17trampoline_kernelINS0_14default_configENS1_20scan_config_selectorIiEEZZNS1_9scan_implILNS1_25lookback_scan_determinismE0ELb0ELb0ES3_N6thrust23THRUST_200600_302600_NS6detail15normal_iteratorINS9_10device_ptrIiEEEESE_i11max_functorIiEiEEDaPvRmT3_T4_T5_mT6_P12ihipStream_tbENKUlT_T0_E_clISt17integral_constantIbLb1EEST_IbLb0EEEEDaSP_SQ_EUlSP_E0_NS1_11comp_targetILNS1_3genE5ELNS1_11target_archE942ELNS1_3gpuE9ELNS1_3repE0EEENS1_30default_config_static_selectorELNS0_4arch9wavefront6targetE1EEEvT1_
		.amdhsa_group_segment_fixed_size 0
		.amdhsa_private_segment_fixed_size 0
		.amdhsa_kernarg_size 32
		.amdhsa_user_sgpr_count 6
		.amdhsa_user_sgpr_private_segment_buffer 1
		.amdhsa_user_sgpr_dispatch_ptr 0
		.amdhsa_user_sgpr_queue_ptr 0
		.amdhsa_user_sgpr_kernarg_segment_ptr 1
		.amdhsa_user_sgpr_dispatch_id 0
		.amdhsa_user_sgpr_flat_scratch_init 0
		.amdhsa_user_sgpr_kernarg_preload_length 0
		.amdhsa_user_sgpr_kernarg_preload_offset 0
		.amdhsa_user_sgpr_private_segment_size 0
		.amdhsa_uses_dynamic_stack 0
		.amdhsa_system_sgpr_private_segment_wavefront_offset 0
		.amdhsa_system_sgpr_workgroup_id_x 1
		.amdhsa_system_sgpr_workgroup_id_y 0
		.amdhsa_system_sgpr_workgroup_id_z 0
		.amdhsa_system_sgpr_workgroup_info 0
		.amdhsa_system_vgpr_workitem_id 0
		.amdhsa_next_free_vgpr 1
		.amdhsa_next_free_sgpr 0
		.amdhsa_accum_offset 4
		.amdhsa_reserve_vcc 0
		.amdhsa_reserve_flat_scratch 0
		.amdhsa_float_round_mode_32 0
		.amdhsa_float_round_mode_16_64 0
		.amdhsa_float_denorm_mode_32 3
		.amdhsa_float_denorm_mode_16_64 3
		.amdhsa_dx10_clamp 1
		.amdhsa_ieee_mode 1
		.amdhsa_fp16_overflow 0
		.amdhsa_tg_split 0
		.amdhsa_exception_fp_ieee_invalid_op 0
		.amdhsa_exception_fp_denorm_src 0
		.amdhsa_exception_fp_ieee_div_zero 0
		.amdhsa_exception_fp_ieee_overflow 0
		.amdhsa_exception_fp_ieee_underflow 0
		.amdhsa_exception_fp_ieee_inexact 0
		.amdhsa_exception_int_div_zero 0
	.end_amdhsa_kernel
	.section	.text._ZN7rocprim17ROCPRIM_400000_NS6detail17trampoline_kernelINS0_14default_configENS1_20scan_config_selectorIiEEZZNS1_9scan_implILNS1_25lookback_scan_determinismE0ELb0ELb0ES3_N6thrust23THRUST_200600_302600_NS6detail15normal_iteratorINS9_10device_ptrIiEEEESE_i11max_functorIiEiEEDaPvRmT3_T4_T5_mT6_P12ihipStream_tbENKUlT_T0_E_clISt17integral_constantIbLb1EEST_IbLb0EEEEDaSP_SQ_EUlSP_E0_NS1_11comp_targetILNS1_3genE5ELNS1_11target_archE942ELNS1_3gpuE9ELNS1_3repE0EEENS1_30default_config_static_selectorELNS0_4arch9wavefront6targetE1EEEvT1_,"axG",@progbits,_ZN7rocprim17ROCPRIM_400000_NS6detail17trampoline_kernelINS0_14default_configENS1_20scan_config_selectorIiEEZZNS1_9scan_implILNS1_25lookback_scan_determinismE0ELb0ELb0ES3_N6thrust23THRUST_200600_302600_NS6detail15normal_iteratorINS9_10device_ptrIiEEEESE_i11max_functorIiEiEEDaPvRmT3_T4_T5_mT6_P12ihipStream_tbENKUlT_T0_E_clISt17integral_constantIbLb1EEST_IbLb0EEEEDaSP_SQ_EUlSP_E0_NS1_11comp_targetILNS1_3genE5ELNS1_11target_archE942ELNS1_3gpuE9ELNS1_3repE0EEENS1_30default_config_static_selectorELNS0_4arch9wavefront6targetE1EEEvT1_,comdat
.Lfunc_end2748:
	.size	_ZN7rocprim17ROCPRIM_400000_NS6detail17trampoline_kernelINS0_14default_configENS1_20scan_config_selectorIiEEZZNS1_9scan_implILNS1_25lookback_scan_determinismE0ELb0ELb0ES3_N6thrust23THRUST_200600_302600_NS6detail15normal_iteratorINS9_10device_ptrIiEEEESE_i11max_functorIiEiEEDaPvRmT3_T4_T5_mT6_P12ihipStream_tbENKUlT_T0_E_clISt17integral_constantIbLb1EEST_IbLb0EEEEDaSP_SQ_EUlSP_E0_NS1_11comp_targetILNS1_3genE5ELNS1_11target_archE942ELNS1_3gpuE9ELNS1_3repE0EEENS1_30default_config_static_selectorELNS0_4arch9wavefront6targetE1EEEvT1_, .Lfunc_end2748-_ZN7rocprim17ROCPRIM_400000_NS6detail17trampoline_kernelINS0_14default_configENS1_20scan_config_selectorIiEEZZNS1_9scan_implILNS1_25lookback_scan_determinismE0ELb0ELb0ES3_N6thrust23THRUST_200600_302600_NS6detail15normal_iteratorINS9_10device_ptrIiEEEESE_i11max_functorIiEiEEDaPvRmT3_T4_T5_mT6_P12ihipStream_tbENKUlT_T0_E_clISt17integral_constantIbLb1EEST_IbLb0EEEEDaSP_SQ_EUlSP_E0_NS1_11comp_targetILNS1_3genE5ELNS1_11target_archE942ELNS1_3gpuE9ELNS1_3repE0EEENS1_30default_config_static_selectorELNS0_4arch9wavefront6targetE1EEEvT1_
                                        ; -- End function
	.section	.AMDGPU.csdata,"",@progbits
; Kernel info:
; codeLenInByte = 0
; NumSgprs: 4
; NumVgprs: 0
; NumAgprs: 0
; TotalNumVgprs: 0
; ScratchSize: 0
; MemoryBound: 0
; FloatMode: 240
; IeeeMode: 1
; LDSByteSize: 0 bytes/workgroup (compile time only)
; SGPRBlocks: 0
; VGPRBlocks: 0
; NumSGPRsForWavesPerEU: 4
; NumVGPRsForWavesPerEU: 1
; AccumOffset: 4
; Occupancy: 8
; WaveLimiterHint : 0
; COMPUTE_PGM_RSRC2:SCRATCH_EN: 0
; COMPUTE_PGM_RSRC2:USER_SGPR: 6
; COMPUTE_PGM_RSRC2:TRAP_HANDLER: 0
; COMPUTE_PGM_RSRC2:TGID_X_EN: 1
; COMPUTE_PGM_RSRC2:TGID_Y_EN: 0
; COMPUTE_PGM_RSRC2:TGID_Z_EN: 0
; COMPUTE_PGM_RSRC2:TIDIG_COMP_CNT: 0
; COMPUTE_PGM_RSRC3_GFX90A:ACCUM_OFFSET: 0
; COMPUTE_PGM_RSRC3_GFX90A:TG_SPLIT: 0
	.section	.text._ZN7rocprim17ROCPRIM_400000_NS6detail17trampoline_kernelINS0_14default_configENS1_20scan_config_selectorIiEEZZNS1_9scan_implILNS1_25lookback_scan_determinismE0ELb0ELb0ES3_N6thrust23THRUST_200600_302600_NS6detail15normal_iteratorINS9_10device_ptrIiEEEESE_i11max_functorIiEiEEDaPvRmT3_T4_T5_mT6_P12ihipStream_tbENKUlT_T0_E_clISt17integral_constantIbLb1EEST_IbLb0EEEEDaSP_SQ_EUlSP_E0_NS1_11comp_targetILNS1_3genE4ELNS1_11target_archE910ELNS1_3gpuE8ELNS1_3repE0EEENS1_30default_config_static_selectorELNS0_4arch9wavefront6targetE1EEEvT1_,"axG",@progbits,_ZN7rocprim17ROCPRIM_400000_NS6detail17trampoline_kernelINS0_14default_configENS1_20scan_config_selectorIiEEZZNS1_9scan_implILNS1_25lookback_scan_determinismE0ELb0ELb0ES3_N6thrust23THRUST_200600_302600_NS6detail15normal_iteratorINS9_10device_ptrIiEEEESE_i11max_functorIiEiEEDaPvRmT3_T4_T5_mT6_P12ihipStream_tbENKUlT_T0_E_clISt17integral_constantIbLb1EEST_IbLb0EEEEDaSP_SQ_EUlSP_E0_NS1_11comp_targetILNS1_3genE4ELNS1_11target_archE910ELNS1_3gpuE8ELNS1_3repE0EEENS1_30default_config_static_selectorELNS0_4arch9wavefront6targetE1EEEvT1_,comdat
	.protected	_ZN7rocprim17ROCPRIM_400000_NS6detail17trampoline_kernelINS0_14default_configENS1_20scan_config_selectorIiEEZZNS1_9scan_implILNS1_25lookback_scan_determinismE0ELb0ELb0ES3_N6thrust23THRUST_200600_302600_NS6detail15normal_iteratorINS9_10device_ptrIiEEEESE_i11max_functorIiEiEEDaPvRmT3_T4_T5_mT6_P12ihipStream_tbENKUlT_T0_E_clISt17integral_constantIbLb1EEST_IbLb0EEEEDaSP_SQ_EUlSP_E0_NS1_11comp_targetILNS1_3genE4ELNS1_11target_archE910ELNS1_3gpuE8ELNS1_3repE0EEENS1_30default_config_static_selectorELNS0_4arch9wavefront6targetE1EEEvT1_ ; -- Begin function _ZN7rocprim17ROCPRIM_400000_NS6detail17trampoline_kernelINS0_14default_configENS1_20scan_config_selectorIiEEZZNS1_9scan_implILNS1_25lookback_scan_determinismE0ELb0ELb0ES3_N6thrust23THRUST_200600_302600_NS6detail15normal_iteratorINS9_10device_ptrIiEEEESE_i11max_functorIiEiEEDaPvRmT3_T4_T5_mT6_P12ihipStream_tbENKUlT_T0_E_clISt17integral_constantIbLb1EEST_IbLb0EEEEDaSP_SQ_EUlSP_E0_NS1_11comp_targetILNS1_3genE4ELNS1_11target_archE910ELNS1_3gpuE8ELNS1_3repE0EEENS1_30default_config_static_selectorELNS0_4arch9wavefront6targetE1EEEvT1_
	.globl	_ZN7rocprim17ROCPRIM_400000_NS6detail17trampoline_kernelINS0_14default_configENS1_20scan_config_selectorIiEEZZNS1_9scan_implILNS1_25lookback_scan_determinismE0ELb0ELb0ES3_N6thrust23THRUST_200600_302600_NS6detail15normal_iteratorINS9_10device_ptrIiEEEESE_i11max_functorIiEiEEDaPvRmT3_T4_T5_mT6_P12ihipStream_tbENKUlT_T0_E_clISt17integral_constantIbLb1EEST_IbLb0EEEEDaSP_SQ_EUlSP_E0_NS1_11comp_targetILNS1_3genE4ELNS1_11target_archE910ELNS1_3gpuE8ELNS1_3repE0EEENS1_30default_config_static_selectorELNS0_4arch9wavefront6targetE1EEEvT1_
	.p2align	8
	.type	_ZN7rocprim17ROCPRIM_400000_NS6detail17trampoline_kernelINS0_14default_configENS1_20scan_config_selectorIiEEZZNS1_9scan_implILNS1_25lookback_scan_determinismE0ELb0ELb0ES3_N6thrust23THRUST_200600_302600_NS6detail15normal_iteratorINS9_10device_ptrIiEEEESE_i11max_functorIiEiEEDaPvRmT3_T4_T5_mT6_P12ihipStream_tbENKUlT_T0_E_clISt17integral_constantIbLb1EEST_IbLb0EEEEDaSP_SQ_EUlSP_E0_NS1_11comp_targetILNS1_3genE4ELNS1_11target_archE910ELNS1_3gpuE8ELNS1_3repE0EEENS1_30default_config_static_selectorELNS0_4arch9wavefront6targetE1EEEvT1_,@function
_ZN7rocprim17ROCPRIM_400000_NS6detail17trampoline_kernelINS0_14default_configENS1_20scan_config_selectorIiEEZZNS1_9scan_implILNS1_25lookback_scan_determinismE0ELb0ELb0ES3_N6thrust23THRUST_200600_302600_NS6detail15normal_iteratorINS9_10device_ptrIiEEEESE_i11max_functorIiEiEEDaPvRmT3_T4_T5_mT6_P12ihipStream_tbENKUlT_T0_E_clISt17integral_constantIbLb1EEST_IbLb0EEEEDaSP_SQ_EUlSP_E0_NS1_11comp_targetILNS1_3genE4ELNS1_11target_archE910ELNS1_3gpuE8ELNS1_3repE0EEENS1_30default_config_static_selectorELNS0_4arch9wavefront6targetE1EEEvT1_: ; @_ZN7rocprim17ROCPRIM_400000_NS6detail17trampoline_kernelINS0_14default_configENS1_20scan_config_selectorIiEEZZNS1_9scan_implILNS1_25lookback_scan_determinismE0ELb0ELb0ES3_N6thrust23THRUST_200600_302600_NS6detail15normal_iteratorINS9_10device_ptrIiEEEESE_i11max_functorIiEiEEDaPvRmT3_T4_T5_mT6_P12ihipStream_tbENKUlT_T0_E_clISt17integral_constantIbLb1EEST_IbLb0EEEEDaSP_SQ_EUlSP_E0_NS1_11comp_targetILNS1_3genE4ELNS1_11target_archE910ELNS1_3gpuE8ELNS1_3repE0EEENS1_30default_config_static_selectorELNS0_4arch9wavefront6targetE1EEEvT1_
; %bb.0:
	s_load_dwordx4 s[20:23], s[4:5], 0x0
	v_lshlrev_b32_e32 v22, 2, v0
	s_waitcnt lgkmcnt(0)
	s_load_dword s23, s[20:21], 0x0
	v_cmp_gt_u32_e32 vcc, s22, v0
	s_waitcnt lgkmcnt(0)
	v_mov_b32_e32 v1, s23
	s_and_saveexec_b64 s[0:1], vcc
	s_cbranch_execz .LBB2749_2
; %bb.1:
	global_load_dword v1, v22, s[20:21]
.LBB2749_2:
	s_or_b64 exec, exec, s[0:1]
	v_or_b32_e32 v2, 0x80, v0
	v_cmp_gt_u32_e64 s[0:1], s22, v2
	v_mov_b32_e32 v2, s23
	s_and_saveexec_b64 s[2:3], s[0:1]
	s_cbranch_execz .LBB2749_4
; %bb.3:
	global_load_dword v2, v22, s[20:21] offset:512
.LBB2749_4:
	s_or_b64 exec, exec, s[2:3]
	v_or_b32_e32 v3, 0x100, v0
	v_cmp_gt_u32_e64 s[2:3], s22, v3
	v_mov_b32_e32 v3, s23
	s_and_saveexec_b64 s[6:7], s[2:3]
	s_cbranch_execz .LBB2749_6
; %bb.5:
	global_load_dword v3, v22, s[20:21] offset:1024
.LBB2749_6:
	;; [unrolled: 9-line block ×7, first 2 shown]
	s_or_b64 exec, exec, s[14:15]
	v_or_b32_e32 v10, 0x400, v0
	v_cmp_gt_u32_e64 s[14:15], s22, v10
	v_mov_b32_e32 v9, s23
	s_and_saveexec_b64 s[16:17], s[14:15]
	s_cbranch_execz .LBB2749_18
; %bb.17:
	v_lshlrev_b32_e32 v9, 2, v10
	global_load_dword v9, v9, s[20:21]
.LBB2749_18:
	s_or_b64 exec, exec, s[16:17]
	v_or_b32_e32 v11, 0x480, v0
	v_cmp_gt_u32_e64 s[16:17], s22, v11
	v_mov_b32_e32 v10, s23
	s_and_saveexec_b64 s[22:23], s[16:17]
	s_cbranch_execz .LBB2749_20
; %bb.19:
	v_lshlrev_b32_e32 v10, 2, v11
	global_load_dword v10, v10, s[20:21]
.LBB2749_20:
	s_or_b64 exec, exec, s[22:23]
	s_waitcnt vmcnt(0)
	ds_write2st64_b32 v22, v1, v2 offset1:2
	ds_write2st64_b32 v22, v3, v4 offset0:4 offset1:6
	ds_write2st64_b32 v22, v5, v6 offset0:8 offset1:10
	;; [unrolled: 1-line block ×4, first 2 shown]
	v_mad_u32_u24 v1, v0, 36, v22
	s_waitcnt lgkmcnt(0)
	s_barrier
	ds_read2_b64 v[6:9], v1 offset1:1
	ds_read2_b64 v[2:5], v1 offset0:2 offset1:3
	ds_read_b64 v[20:21], v1 offset:32
	v_lshrrev_b32_e32 v12, 3, v0
	v_and_b32_e32 v12, 12, v12
	s_waitcnt lgkmcnt(2)
	v_max_i32_e32 v13, v6, v7
	v_max_i32_e32 v16, v13, v8
	;; [unrolled: 1-line block ×3, first 2 shown]
	s_waitcnt lgkmcnt(1)
	v_max_i32_e32 v10, v17, v2
	v_max_i32_e32 v11, v10, v3
	;; [unrolled: 1-line block ×4, first 2 shown]
	s_waitcnt lgkmcnt(0)
	v_max_i32_e32 v18, v15, v20
	v_max_i32_e32 v19, v18, v21
	v_add_u32_e32 v12, v22, v12
	v_cmp_gt_u32_e64 s[20:21], 64, v0
	s_barrier
	ds_write_b32 v12, v19
	s_waitcnt lgkmcnt(0)
	s_barrier
	s_and_saveexec_b64 s[22:23], s[20:21]
	s_cbranch_execz .LBB2749_22
; %bb.21:
	v_lshlrev_b32_e32 v12, 1, v0
	v_lshrrev_b32_e32 v23, 4, v0
	v_add_lshl_u32 v12, v23, v12, 2
	ds_read2_b32 v[24:25], v12 offset1:1
	v_mbcnt_lo_u32_b32 v23, -1, 0
	v_mbcnt_hi_u32_b32 v23, -1, v23
	v_and_b32_e32 v26, 15, v23
	v_cmp_eq_u32_e64 s[20:21], 0, v26
	s_waitcnt lgkmcnt(0)
	v_max_i32_e32 v25, v24, v25
	; wave barrier
	s_nop 1
	v_mov_b32_dpp v27, v25 row_shr:1 row_mask:0xf bank_mask:0xf
	v_max_i32_e32 v27, v27, v25
	v_cndmask_b32_e64 v25, v27, v25, s[20:21]
	v_cmp_lt_u32_e64 s[20:21], 1, v26
	s_nop 0
	v_mov_b32_dpp v27, v25 row_shr:2 row_mask:0xf bank_mask:0xf
	v_max_i32_e32 v27, v27, v25
	v_cndmask_b32_e64 v25, v25, v27, s[20:21]
	v_cmp_lt_u32_e64 s[20:21], 3, v26
	;; [unrolled: 5-line block ×3, first 2 shown]
	s_nop 0
	v_mov_b32_dpp v27, v25 row_shr:8 row_mask:0xf bank_mask:0xf
	v_max_i32_e32 v27, v27, v25
	v_cndmask_b32_e64 v25, v25, v27, s[20:21]
	v_and_b32_e32 v27, 16, v23
	v_cmp_eq_u32_e64 s[20:21], 0, v27
	v_mov_b32_dpp v26, v25 row_bcast:15 row_mask:0xf bank_mask:0xf
	v_max_i32_e32 v26, v26, v25
	v_cndmask_b32_e64 v25, v26, v25, s[20:21]
	v_cmp_lt_u32_e64 s[20:21], 31, v23
	v_and_b32_e32 v27, 64, v23
	v_mov_b32_dpp v26, v25 row_bcast:31 row_mask:0xf bank_mask:0xf
	v_max_i32_e32 v26, v26, v25
	v_cndmask_b32_e64 v25, v25, v26, s[20:21]
	v_add_u32_e32 v26, -1, v23
	v_cmp_lt_i32_e64 s[20:21], v26, v27
	v_cndmask_b32_e64 v23, v26, v23, s[20:21]
	v_lshlrev_b32_e32 v23, 2, v23
	ds_bpermute_b32 v23, v23, v25
	v_cmp_eq_u32_e64 s[20:21], 0, v0
	s_waitcnt lgkmcnt(0)
	v_max_i32_e32 v23, v23, v24
	v_cndmask_b32_e64 v23, v23, v19, s[20:21]
	ds_write_b32 v12, v23
	; wave barrier
	ds_read_b32 v24, v12 offset:4
	s_waitcnt lgkmcnt(0)
	v_max_i32_e32 v23, v23, v24
	ds_write_b32 v12, v23 offset:4
.LBB2749_22:
	s_or_b64 exec, exec, s[22:23]
	s_load_dwordx2 s[20:21], s[4:5], 0x18
	v_cmp_ne_u32_e64 s[4:5], 0, v0
	v_mov_b32_e32 v23, v19
	s_waitcnt lgkmcnt(0)
	s_barrier
	s_and_saveexec_b64 s[22:23], s[4:5]
	s_cbranch_execz .LBB2749_24
; %bb.23:
	v_add_u32_e32 v12, -1, v0
	v_lshrrev_b32_e32 v23, 5, v12
	v_add_lshl_u32 v12, v23, v12, 2
	ds_read_b32 v23, v12
.LBB2749_24:
	s_or_b64 exec, exec, s[22:23]
	v_mov_b32_e32 v12, v6
	s_and_saveexec_b64 s[22:23], s[4:5]
	s_cbranch_execz .LBB2749_26
; %bb.25:
	s_waitcnt lgkmcnt(0)
	v_max_i32_e32 v12, v23, v6
	v_max_i32_e32 v13, v12, v7
	;; [unrolled: 1-line block ×10, first 2 shown]
	;;#ASMSTART
	;;#ASMEND
.LBB2749_26:
	s_or_b64 exec, exec, s[22:23]
	s_movk_i32 s4, 0xffdc
	v_mad_i32_i24 v0, v0, s4, v1
	s_waitcnt lgkmcnt(0)
	s_barrier
	ds_write2_b64 v1, v[12:13], v[16:17] offset1:1
	ds_write2_b64 v1, v[10:11], v[14:15] offset0:2 offset1:3
	ds_write_b64 v1, v[18:19] offset:32
	s_waitcnt lgkmcnt(0)
	s_barrier
	ds_read2st64_b32 v[8:9], v0 offset0:2 offset1:4
	ds_read2st64_b32 v[6:7], v0 offset0:6 offset1:8
	;; [unrolled: 1-line block ×4, first 2 shown]
	ds_read_b32 v10, v22 offset:4096
	v_mov_b32_e32 v3, s21
	v_add_co_u32_e64 v2, s[4:5], s20, v22
	v_addc_co_u32_e64 v3, s[4:5], 0, v3, s[4:5]
	s_and_saveexec_b64 s[4:5], vcc
	s_cbranch_execnz .LBB2749_37
; %bb.27:
	s_or_b64 exec, exec, s[4:5]
	s_and_saveexec_b64 s[4:5], s[0:1]
	s_cbranch_execnz .LBB2749_38
.LBB2749_28:
	s_or_b64 exec, exec, s[4:5]
	s_and_saveexec_b64 s[0:1], s[2:3]
	s_cbranch_execnz .LBB2749_39
.LBB2749_29:
	s_or_b64 exec, exec, s[0:1]
	s_and_saveexec_b64 s[0:1], s[18:19]
	s_cbranch_execnz .LBB2749_40
.LBB2749_30:
	s_or_b64 exec, exec, s[0:1]
	s_and_saveexec_b64 s[0:1], s[6:7]
	s_cbranch_execnz .LBB2749_41
.LBB2749_31:
	s_or_b64 exec, exec, s[0:1]
	s_and_saveexec_b64 s[0:1], s[8:9]
	s_cbranch_execnz .LBB2749_42
.LBB2749_32:
	s_or_b64 exec, exec, s[0:1]
	s_and_saveexec_b64 s[0:1], s[10:11]
	s_cbranch_execnz .LBB2749_43
.LBB2749_33:
	s_or_b64 exec, exec, s[0:1]
	s_and_saveexec_b64 s[0:1], s[12:13]
	s_cbranch_execnz .LBB2749_44
.LBB2749_34:
	s_or_b64 exec, exec, s[0:1]
	s_and_saveexec_b64 s[0:1], s[14:15]
	s_cbranch_execnz .LBB2749_45
.LBB2749_35:
	s_or_b64 exec, exec, s[0:1]
	s_and_saveexec_b64 s[0:1], s[16:17]
	s_cbranch_execnz .LBB2749_46
.LBB2749_36:
	s_endpgm
.LBB2749_37:
	ds_read_b32 v11, v22
	s_waitcnt lgkmcnt(0)
	global_store_dword v[2:3], v11, off
	s_or_b64 exec, exec, s[4:5]
	s_and_saveexec_b64 s[4:5], s[0:1]
	s_cbranch_execz .LBB2749_28
.LBB2749_38:
	s_waitcnt lgkmcnt(4)
	global_store_dword v[2:3], v8, off offset:512
	s_or_b64 exec, exec, s[4:5]
	s_and_saveexec_b64 s[0:1], s[2:3]
	s_cbranch_execz .LBB2749_29
.LBB2749_39:
	s_waitcnt lgkmcnt(4)
	global_store_dword v[2:3], v9, off offset:1024
	s_or_b64 exec, exec, s[0:1]
	s_and_saveexec_b64 s[0:1], s[18:19]
	s_cbranch_execz .LBB2749_30
.LBB2749_40:
	s_waitcnt lgkmcnt(3)
	global_store_dword v[2:3], v6, off offset:1536
	s_or_b64 exec, exec, s[0:1]
	s_and_saveexec_b64 s[0:1], s[6:7]
	s_cbranch_execz .LBB2749_31
.LBB2749_41:
	s_waitcnt lgkmcnt(3)
	global_store_dword v[2:3], v7, off offset:2048
	s_or_b64 exec, exec, s[0:1]
	s_and_saveexec_b64 s[0:1], s[8:9]
	s_cbranch_execz .LBB2749_32
.LBB2749_42:
	s_waitcnt lgkmcnt(2)
	global_store_dword v[2:3], v4, off offset:2560
	s_or_b64 exec, exec, s[0:1]
	s_and_saveexec_b64 s[0:1], s[10:11]
	s_cbranch_execz .LBB2749_33
.LBB2749_43:
	s_waitcnt lgkmcnt(2)
	global_store_dword v[2:3], v5, off offset:3072
	s_or_b64 exec, exec, s[0:1]
	s_and_saveexec_b64 s[0:1], s[12:13]
	s_cbranch_execz .LBB2749_34
.LBB2749_44:
	s_waitcnt lgkmcnt(1)
	global_store_dword v[2:3], v0, off offset:3584
	s_or_b64 exec, exec, s[0:1]
	s_and_saveexec_b64 s[0:1], s[14:15]
	s_cbranch_execz .LBB2749_35
.LBB2749_45:
	s_waitcnt lgkmcnt(2)
	v_add_co_u32_e32 v4, vcc, 0x1000, v2
	v_addc_co_u32_e32 v5, vcc, 0, v3, vcc
	s_waitcnt lgkmcnt(0)
	global_store_dword v[4:5], v10, off
	s_or_b64 exec, exec, s[0:1]
	s_and_saveexec_b64 s[0:1], s[16:17]
	s_cbranch_execz .LBB2749_36
.LBB2749_46:
	v_add_co_u32_e32 v2, vcc, 0x1000, v2
	v_addc_co_u32_e32 v3, vcc, 0, v3, vcc
	s_waitcnt lgkmcnt(1)
	global_store_dword v[2:3], v1, off offset:512
	s_endpgm
	.section	.rodata,"a",@progbits
	.p2align	6, 0x0
	.amdhsa_kernel _ZN7rocprim17ROCPRIM_400000_NS6detail17trampoline_kernelINS0_14default_configENS1_20scan_config_selectorIiEEZZNS1_9scan_implILNS1_25lookback_scan_determinismE0ELb0ELb0ES3_N6thrust23THRUST_200600_302600_NS6detail15normal_iteratorINS9_10device_ptrIiEEEESE_i11max_functorIiEiEEDaPvRmT3_T4_T5_mT6_P12ihipStream_tbENKUlT_T0_E_clISt17integral_constantIbLb1EEST_IbLb0EEEEDaSP_SQ_EUlSP_E0_NS1_11comp_targetILNS1_3genE4ELNS1_11target_archE910ELNS1_3gpuE8ELNS1_3repE0EEENS1_30default_config_static_selectorELNS0_4arch9wavefront6targetE1EEEvT1_
		.amdhsa_group_segment_fixed_size 5120
		.amdhsa_private_segment_fixed_size 0
		.amdhsa_kernarg_size 32
		.amdhsa_user_sgpr_count 6
		.amdhsa_user_sgpr_private_segment_buffer 1
		.amdhsa_user_sgpr_dispatch_ptr 0
		.amdhsa_user_sgpr_queue_ptr 0
		.amdhsa_user_sgpr_kernarg_segment_ptr 1
		.amdhsa_user_sgpr_dispatch_id 0
		.amdhsa_user_sgpr_flat_scratch_init 0
		.amdhsa_user_sgpr_kernarg_preload_length 0
		.amdhsa_user_sgpr_kernarg_preload_offset 0
		.amdhsa_user_sgpr_private_segment_size 0
		.amdhsa_uses_dynamic_stack 0
		.amdhsa_system_sgpr_private_segment_wavefront_offset 0
		.amdhsa_system_sgpr_workgroup_id_x 1
		.amdhsa_system_sgpr_workgroup_id_y 0
		.amdhsa_system_sgpr_workgroup_id_z 0
		.amdhsa_system_sgpr_workgroup_info 0
		.amdhsa_system_vgpr_workitem_id 0
		.amdhsa_next_free_vgpr 28
		.amdhsa_next_free_sgpr 24
		.amdhsa_accum_offset 28
		.amdhsa_reserve_vcc 1
		.amdhsa_reserve_flat_scratch 0
		.amdhsa_float_round_mode_32 0
		.amdhsa_float_round_mode_16_64 0
		.amdhsa_float_denorm_mode_32 3
		.amdhsa_float_denorm_mode_16_64 3
		.amdhsa_dx10_clamp 1
		.amdhsa_ieee_mode 1
		.amdhsa_fp16_overflow 0
		.amdhsa_tg_split 0
		.amdhsa_exception_fp_ieee_invalid_op 0
		.amdhsa_exception_fp_denorm_src 0
		.amdhsa_exception_fp_ieee_div_zero 0
		.amdhsa_exception_fp_ieee_overflow 0
		.amdhsa_exception_fp_ieee_underflow 0
		.amdhsa_exception_fp_ieee_inexact 0
		.amdhsa_exception_int_div_zero 0
	.end_amdhsa_kernel
	.section	.text._ZN7rocprim17ROCPRIM_400000_NS6detail17trampoline_kernelINS0_14default_configENS1_20scan_config_selectorIiEEZZNS1_9scan_implILNS1_25lookback_scan_determinismE0ELb0ELb0ES3_N6thrust23THRUST_200600_302600_NS6detail15normal_iteratorINS9_10device_ptrIiEEEESE_i11max_functorIiEiEEDaPvRmT3_T4_T5_mT6_P12ihipStream_tbENKUlT_T0_E_clISt17integral_constantIbLb1EEST_IbLb0EEEEDaSP_SQ_EUlSP_E0_NS1_11comp_targetILNS1_3genE4ELNS1_11target_archE910ELNS1_3gpuE8ELNS1_3repE0EEENS1_30default_config_static_selectorELNS0_4arch9wavefront6targetE1EEEvT1_,"axG",@progbits,_ZN7rocprim17ROCPRIM_400000_NS6detail17trampoline_kernelINS0_14default_configENS1_20scan_config_selectorIiEEZZNS1_9scan_implILNS1_25lookback_scan_determinismE0ELb0ELb0ES3_N6thrust23THRUST_200600_302600_NS6detail15normal_iteratorINS9_10device_ptrIiEEEESE_i11max_functorIiEiEEDaPvRmT3_T4_T5_mT6_P12ihipStream_tbENKUlT_T0_E_clISt17integral_constantIbLb1EEST_IbLb0EEEEDaSP_SQ_EUlSP_E0_NS1_11comp_targetILNS1_3genE4ELNS1_11target_archE910ELNS1_3gpuE8ELNS1_3repE0EEENS1_30default_config_static_selectorELNS0_4arch9wavefront6targetE1EEEvT1_,comdat
.Lfunc_end2749:
	.size	_ZN7rocprim17ROCPRIM_400000_NS6detail17trampoline_kernelINS0_14default_configENS1_20scan_config_selectorIiEEZZNS1_9scan_implILNS1_25lookback_scan_determinismE0ELb0ELb0ES3_N6thrust23THRUST_200600_302600_NS6detail15normal_iteratorINS9_10device_ptrIiEEEESE_i11max_functorIiEiEEDaPvRmT3_T4_T5_mT6_P12ihipStream_tbENKUlT_T0_E_clISt17integral_constantIbLb1EEST_IbLb0EEEEDaSP_SQ_EUlSP_E0_NS1_11comp_targetILNS1_3genE4ELNS1_11target_archE910ELNS1_3gpuE8ELNS1_3repE0EEENS1_30default_config_static_selectorELNS0_4arch9wavefront6targetE1EEEvT1_, .Lfunc_end2749-_ZN7rocprim17ROCPRIM_400000_NS6detail17trampoline_kernelINS0_14default_configENS1_20scan_config_selectorIiEEZZNS1_9scan_implILNS1_25lookback_scan_determinismE0ELb0ELb0ES3_N6thrust23THRUST_200600_302600_NS6detail15normal_iteratorINS9_10device_ptrIiEEEESE_i11max_functorIiEiEEDaPvRmT3_T4_T5_mT6_P12ihipStream_tbENKUlT_T0_E_clISt17integral_constantIbLb1EEST_IbLb0EEEEDaSP_SQ_EUlSP_E0_NS1_11comp_targetILNS1_3genE4ELNS1_11target_archE910ELNS1_3gpuE8ELNS1_3repE0EEENS1_30default_config_static_selectorELNS0_4arch9wavefront6targetE1EEEvT1_
                                        ; -- End function
	.section	.AMDGPU.csdata,"",@progbits
; Kernel info:
; codeLenInByte = 1564
; NumSgprs: 28
; NumVgprs: 28
; NumAgprs: 0
; TotalNumVgprs: 28
; ScratchSize: 0
; MemoryBound: 0
; FloatMode: 240
; IeeeMode: 1
; LDSByteSize: 5120 bytes/workgroup (compile time only)
; SGPRBlocks: 3
; VGPRBlocks: 3
; NumSGPRsForWavesPerEU: 28
; NumVGPRsForWavesPerEU: 28
; AccumOffset: 28
; Occupancy: 6
; WaveLimiterHint : 0
; COMPUTE_PGM_RSRC2:SCRATCH_EN: 0
; COMPUTE_PGM_RSRC2:USER_SGPR: 6
; COMPUTE_PGM_RSRC2:TRAP_HANDLER: 0
; COMPUTE_PGM_RSRC2:TGID_X_EN: 1
; COMPUTE_PGM_RSRC2:TGID_Y_EN: 0
; COMPUTE_PGM_RSRC2:TGID_Z_EN: 0
; COMPUTE_PGM_RSRC2:TIDIG_COMP_CNT: 0
; COMPUTE_PGM_RSRC3_GFX90A:ACCUM_OFFSET: 6
; COMPUTE_PGM_RSRC3_GFX90A:TG_SPLIT: 0
	.section	.text._ZN7rocprim17ROCPRIM_400000_NS6detail17trampoline_kernelINS0_14default_configENS1_20scan_config_selectorIiEEZZNS1_9scan_implILNS1_25lookback_scan_determinismE0ELb0ELb0ES3_N6thrust23THRUST_200600_302600_NS6detail15normal_iteratorINS9_10device_ptrIiEEEESE_i11max_functorIiEiEEDaPvRmT3_T4_T5_mT6_P12ihipStream_tbENKUlT_T0_E_clISt17integral_constantIbLb1EEST_IbLb0EEEEDaSP_SQ_EUlSP_E0_NS1_11comp_targetILNS1_3genE3ELNS1_11target_archE908ELNS1_3gpuE7ELNS1_3repE0EEENS1_30default_config_static_selectorELNS0_4arch9wavefront6targetE1EEEvT1_,"axG",@progbits,_ZN7rocprim17ROCPRIM_400000_NS6detail17trampoline_kernelINS0_14default_configENS1_20scan_config_selectorIiEEZZNS1_9scan_implILNS1_25lookback_scan_determinismE0ELb0ELb0ES3_N6thrust23THRUST_200600_302600_NS6detail15normal_iteratorINS9_10device_ptrIiEEEESE_i11max_functorIiEiEEDaPvRmT3_T4_T5_mT6_P12ihipStream_tbENKUlT_T0_E_clISt17integral_constantIbLb1EEST_IbLb0EEEEDaSP_SQ_EUlSP_E0_NS1_11comp_targetILNS1_3genE3ELNS1_11target_archE908ELNS1_3gpuE7ELNS1_3repE0EEENS1_30default_config_static_selectorELNS0_4arch9wavefront6targetE1EEEvT1_,comdat
	.protected	_ZN7rocprim17ROCPRIM_400000_NS6detail17trampoline_kernelINS0_14default_configENS1_20scan_config_selectorIiEEZZNS1_9scan_implILNS1_25lookback_scan_determinismE0ELb0ELb0ES3_N6thrust23THRUST_200600_302600_NS6detail15normal_iteratorINS9_10device_ptrIiEEEESE_i11max_functorIiEiEEDaPvRmT3_T4_T5_mT6_P12ihipStream_tbENKUlT_T0_E_clISt17integral_constantIbLb1EEST_IbLb0EEEEDaSP_SQ_EUlSP_E0_NS1_11comp_targetILNS1_3genE3ELNS1_11target_archE908ELNS1_3gpuE7ELNS1_3repE0EEENS1_30default_config_static_selectorELNS0_4arch9wavefront6targetE1EEEvT1_ ; -- Begin function _ZN7rocprim17ROCPRIM_400000_NS6detail17trampoline_kernelINS0_14default_configENS1_20scan_config_selectorIiEEZZNS1_9scan_implILNS1_25lookback_scan_determinismE0ELb0ELb0ES3_N6thrust23THRUST_200600_302600_NS6detail15normal_iteratorINS9_10device_ptrIiEEEESE_i11max_functorIiEiEEDaPvRmT3_T4_T5_mT6_P12ihipStream_tbENKUlT_T0_E_clISt17integral_constantIbLb1EEST_IbLb0EEEEDaSP_SQ_EUlSP_E0_NS1_11comp_targetILNS1_3genE3ELNS1_11target_archE908ELNS1_3gpuE7ELNS1_3repE0EEENS1_30default_config_static_selectorELNS0_4arch9wavefront6targetE1EEEvT1_
	.globl	_ZN7rocprim17ROCPRIM_400000_NS6detail17trampoline_kernelINS0_14default_configENS1_20scan_config_selectorIiEEZZNS1_9scan_implILNS1_25lookback_scan_determinismE0ELb0ELb0ES3_N6thrust23THRUST_200600_302600_NS6detail15normal_iteratorINS9_10device_ptrIiEEEESE_i11max_functorIiEiEEDaPvRmT3_T4_T5_mT6_P12ihipStream_tbENKUlT_T0_E_clISt17integral_constantIbLb1EEST_IbLb0EEEEDaSP_SQ_EUlSP_E0_NS1_11comp_targetILNS1_3genE3ELNS1_11target_archE908ELNS1_3gpuE7ELNS1_3repE0EEENS1_30default_config_static_selectorELNS0_4arch9wavefront6targetE1EEEvT1_
	.p2align	8
	.type	_ZN7rocprim17ROCPRIM_400000_NS6detail17trampoline_kernelINS0_14default_configENS1_20scan_config_selectorIiEEZZNS1_9scan_implILNS1_25lookback_scan_determinismE0ELb0ELb0ES3_N6thrust23THRUST_200600_302600_NS6detail15normal_iteratorINS9_10device_ptrIiEEEESE_i11max_functorIiEiEEDaPvRmT3_T4_T5_mT6_P12ihipStream_tbENKUlT_T0_E_clISt17integral_constantIbLb1EEST_IbLb0EEEEDaSP_SQ_EUlSP_E0_NS1_11comp_targetILNS1_3genE3ELNS1_11target_archE908ELNS1_3gpuE7ELNS1_3repE0EEENS1_30default_config_static_selectorELNS0_4arch9wavefront6targetE1EEEvT1_,@function
_ZN7rocprim17ROCPRIM_400000_NS6detail17trampoline_kernelINS0_14default_configENS1_20scan_config_selectorIiEEZZNS1_9scan_implILNS1_25lookback_scan_determinismE0ELb0ELb0ES3_N6thrust23THRUST_200600_302600_NS6detail15normal_iteratorINS9_10device_ptrIiEEEESE_i11max_functorIiEiEEDaPvRmT3_T4_T5_mT6_P12ihipStream_tbENKUlT_T0_E_clISt17integral_constantIbLb1EEST_IbLb0EEEEDaSP_SQ_EUlSP_E0_NS1_11comp_targetILNS1_3genE3ELNS1_11target_archE908ELNS1_3gpuE7ELNS1_3repE0EEENS1_30default_config_static_selectorELNS0_4arch9wavefront6targetE1EEEvT1_: ; @_ZN7rocprim17ROCPRIM_400000_NS6detail17trampoline_kernelINS0_14default_configENS1_20scan_config_selectorIiEEZZNS1_9scan_implILNS1_25lookback_scan_determinismE0ELb0ELb0ES3_N6thrust23THRUST_200600_302600_NS6detail15normal_iteratorINS9_10device_ptrIiEEEESE_i11max_functorIiEiEEDaPvRmT3_T4_T5_mT6_P12ihipStream_tbENKUlT_T0_E_clISt17integral_constantIbLb1EEST_IbLb0EEEEDaSP_SQ_EUlSP_E0_NS1_11comp_targetILNS1_3genE3ELNS1_11target_archE908ELNS1_3gpuE7ELNS1_3repE0EEENS1_30default_config_static_selectorELNS0_4arch9wavefront6targetE1EEEvT1_
; %bb.0:
	.section	.rodata,"a",@progbits
	.p2align	6, 0x0
	.amdhsa_kernel _ZN7rocprim17ROCPRIM_400000_NS6detail17trampoline_kernelINS0_14default_configENS1_20scan_config_selectorIiEEZZNS1_9scan_implILNS1_25lookback_scan_determinismE0ELb0ELb0ES3_N6thrust23THRUST_200600_302600_NS6detail15normal_iteratorINS9_10device_ptrIiEEEESE_i11max_functorIiEiEEDaPvRmT3_T4_T5_mT6_P12ihipStream_tbENKUlT_T0_E_clISt17integral_constantIbLb1EEST_IbLb0EEEEDaSP_SQ_EUlSP_E0_NS1_11comp_targetILNS1_3genE3ELNS1_11target_archE908ELNS1_3gpuE7ELNS1_3repE0EEENS1_30default_config_static_selectorELNS0_4arch9wavefront6targetE1EEEvT1_
		.amdhsa_group_segment_fixed_size 0
		.amdhsa_private_segment_fixed_size 0
		.amdhsa_kernarg_size 32
		.amdhsa_user_sgpr_count 6
		.amdhsa_user_sgpr_private_segment_buffer 1
		.amdhsa_user_sgpr_dispatch_ptr 0
		.amdhsa_user_sgpr_queue_ptr 0
		.amdhsa_user_sgpr_kernarg_segment_ptr 1
		.amdhsa_user_sgpr_dispatch_id 0
		.amdhsa_user_sgpr_flat_scratch_init 0
		.amdhsa_user_sgpr_kernarg_preload_length 0
		.amdhsa_user_sgpr_kernarg_preload_offset 0
		.amdhsa_user_sgpr_private_segment_size 0
		.amdhsa_uses_dynamic_stack 0
		.amdhsa_system_sgpr_private_segment_wavefront_offset 0
		.amdhsa_system_sgpr_workgroup_id_x 1
		.amdhsa_system_sgpr_workgroup_id_y 0
		.amdhsa_system_sgpr_workgroup_id_z 0
		.amdhsa_system_sgpr_workgroup_info 0
		.amdhsa_system_vgpr_workitem_id 0
		.amdhsa_next_free_vgpr 1
		.amdhsa_next_free_sgpr 0
		.amdhsa_accum_offset 4
		.amdhsa_reserve_vcc 0
		.amdhsa_reserve_flat_scratch 0
		.amdhsa_float_round_mode_32 0
		.amdhsa_float_round_mode_16_64 0
		.amdhsa_float_denorm_mode_32 3
		.amdhsa_float_denorm_mode_16_64 3
		.amdhsa_dx10_clamp 1
		.amdhsa_ieee_mode 1
		.amdhsa_fp16_overflow 0
		.amdhsa_tg_split 0
		.amdhsa_exception_fp_ieee_invalid_op 0
		.amdhsa_exception_fp_denorm_src 0
		.amdhsa_exception_fp_ieee_div_zero 0
		.amdhsa_exception_fp_ieee_overflow 0
		.amdhsa_exception_fp_ieee_underflow 0
		.amdhsa_exception_fp_ieee_inexact 0
		.amdhsa_exception_int_div_zero 0
	.end_amdhsa_kernel
	.section	.text._ZN7rocprim17ROCPRIM_400000_NS6detail17trampoline_kernelINS0_14default_configENS1_20scan_config_selectorIiEEZZNS1_9scan_implILNS1_25lookback_scan_determinismE0ELb0ELb0ES3_N6thrust23THRUST_200600_302600_NS6detail15normal_iteratorINS9_10device_ptrIiEEEESE_i11max_functorIiEiEEDaPvRmT3_T4_T5_mT6_P12ihipStream_tbENKUlT_T0_E_clISt17integral_constantIbLb1EEST_IbLb0EEEEDaSP_SQ_EUlSP_E0_NS1_11comp_targetILNS1_3genE3ELNS1_11target_archE908ELNS1_3gpuE7ELNS1_3repE0EEENS1_30default_config_static_selectorELNS0_4arch9wavefront6targetE1EEEvT1_,"axG",@progbits,_ZN7rocprim17ROCPRIM_400000_NS6detail17trampoline_kernelINS0_14default_configENS1_20scan_config_selectorIiEEZZNS1_9scan_implILNS1_25lookback_scan_determinismE0ELb0ELb0ES3_N6thrust23THRUST_200600_302600_NS6detail15normal_iteratorINS9_10device_ptrIiEEEESE_i11max_functorIiEiEEDaPvRmT3_T4_T5_mT6_P12ihipStream_tbENKUlT_T0_E_clISt17integral_constantIbLb1EEST_IbLb0EEEEDaSP_SQ_EUlSP_E0_NS1_11comp_targetILNS1_3genE3ELNS1_11target_archE908ELNS1_3gpuE7ELNS1_3repE0EEENS1_30default_config_static_selectorELNS0_4arch9wavefront6targetE1EEEvT1_,comdat
.Lfunc_end2750:
	.size	_ZN7rocprim17ROCPRIM_400000_NS6detail17trampoline_kernelINS0_14default_configENS1_20scan_config_selectorIiEEZZNS1_9scan_implILNS1_25lookback_scan_determinismE0ELb0ELb0ES3_N6thrust23THRUST_200600_302600_NS6detail15normal_iteratorINS9_10device_ptrIiEEEESE_i11max_functorIiEiEEDaPvRmT3_T4_T5_mT6_P12ihipStream_tbENKUlT_T0_E_clISt17integral_constantIbLb1EEST_IbLb0EEEEDaSP_SQ_EUlSP_E0_NS1_11comp_targetILNS1_3genE3ELNS1_11target_archE908ELNS1_3gpuE7ELNS1_3repE0EEENS1_30default_config_static_selectorELNS0_4arch9wavefront6targetE1EEEvT1_, .Lfunc_end2750-_ZN7rocprim17ROCPRIM_400000_NS6detail17trampoline_kernelINS0_14default_configENS1_20scan_config_selectorIiEEZZNS1_9scan_implILNS1_25lookback_scan_determinismE0ELb0ELb0ES3_N6thrust23THRUST_200600_302600_NS6detail15normal_iteratorINS9_10device_ptrIiEEEESE_i11max_functorIiEiEEDaPvRmT3_T4_T5_mT6_P12ihipStream_tbENKUlT_T0_E_clISt17integral_constantIbLb1EEST_IbLb0EEEEDaSP_SQ_EUlSP_E0_NS1_11comp_targetILNS1_3genE3ELNS1_11target_archE908ELNS1_3gpuE7ELNS1_3repE0EEENS1_30default_config_static_selectorELNS0_4arch9wavefront6targetE1EEEvT1_
                                        ; -- End function
	.section	.AMDGPU.csdata,"",@progbits
; Kernel info:
; codeLenInByte = 0
; NumSgprs: 4
; NumVgprs: 0
; NumAgprs: 0
; TotalNumVgprs: 0
; ScratchSize: 0
; MemoryBound: 0
; FloatMode: 240
; IeeeMode: 1
; LDSByteSize: 0 bytes/workgroup (compile time only)
; SGPRBlocks: 0
; VGPRBlocks: 0
; NumSGPRsForWavesPerEU: 4
; NumVGPRsForWavesPerEU: 1
; AccumOffset: 4
; Occupancy: 8
; WaveLimiterHint : 0
; COMPUTE_PGM_RSRC2:SCRATCH_EN: 0
; COMPUTE_PGM_RSRC2:USER_SGPR: 6
; COMPUTE_PGM_RSRC2:TRAP_HANDLER: 0
; COMPUTE_PGM_RSRC2:TGID_X_EN: 1
; COMPUTE_PGM_RSRC2:TGID_Y_EN: 0
; COMPUTE_PGM_RSRC2:TGID_Z_EN: 0
; COMPUTE_PGM_RSRC2:TIDIG_COMP_CNT: 0
; COMPUTE_PGM_RSRC3_GFX90A:ACCUM_OFFSET: 0
; COMPUTE_PGM_RSRC3_GFX90A:TG_SPLIT: 0
	.section	.text._ZN7rocprim17ROCPRIM_400000_NS6detail17trampoline_kernelINS0_14default_configENS1_20scan_config_selectorIiEEZZNS1_9scan_implILNS1_25lookback_scan_determinismE0ELb0ELb0ES3_N6thrust23THRUST_200600_302600_NS6detail15normal_iteratorINS9_10device_ptrIiEEEESE_i11max_functorIiEiEEDaPvRmT3_T4_T5_mT6_P12ihipStream_tbENKUlT_T0_E_clISt17integral_constantIbLb1EEST_IbLb0EEEEDaSP_SQ_EUlSP_E0_NS1_11comp_targetILNS1_3genE2ELNS1_11target_archE906ELNS1_3gpuE6ELNS1_3repE0EEENS1_30default_config_static_selectorELNS0_4arch9wavefront6targetE1EEEvT1_,"axG",@progbits,_ZN7rocprim17ROCPRIM_400000_NS6detail17trampoline_kernelINS0_14default_configENS1_20scan_config_selectorIiEEZZNS1_9scan_implILNS1_25lookback_scan_determinismE0ELb0ELb0ES3_N6thrust23THRUST_200600_302600_NS6detail15normal_iteratorINS9_10device_ptrIiEEEESE_i11max_functorIiEiEEDaPvRmT3_T4_T5_mT6_P12ihipStream_tbENKUlT_T0_E_clISt17integral_constantIbLb1EEST_IbLb0EEEEDaSP_SQ_EUlSP_E0_NS1_11comp_targetILNS1_3genE2ELNS1_11target_archE906ELNS1_3gpuE6ELNS1_3repE0EEENS1_30default_config_static_selectorELNS0_4arch9wavefront6targetE1EEEvT1_,comdat
	.protected	_ZN7rocprim17ROCPRIM_400000_NS6detail17trampoline_kernelINS0_14default_configENS1_20scan_config_selectorIiEEZZNS1_9scan_implILNS1_25lookback_scan_determinismE0ELb0ELb0ES3_N6thrust23THRUST_200600_302600_NS6detail15normal_iteratorINS9_10device_ptrIiEEEESE_i11max_functorIiEiEEDaPvRmT3_T4_T5_mT6_P12ihipStream_tbENKUlT_T0_E_clISt17integral_constantIbLb1EEST_IbLb0EEEEDaSP_SQ_EUlSP_E0_NS1_11comp_targetILNS1_3genE2ELNS1_11target_archE906ELNS1_3gpuE6ELNS1_3repE0EEENS1_30default_config_static_selectorELNS0_4arch9wavefront6targetE1EEEvT1_ ; -- Begin function _ZN7rocprim17ROCPRIM_400000_NS6detail17trampoline_kernelINS0_14default_configENS1_20scan_config_selectorIiEEZZNS1_9scan_implILNS1_25lookback_scan_determinismE0ELb0ELb0ES3_N6thrust23THRUST_200600_302600_NS6detail15normal_iteratorINS9_10device_ptrIiEEEESE_i11max_functorIiEiEEDaPvRmT3_T4_T5_mT6_P12ihipStream_tbENKUlT_T0_E_clISt17integral_constantIbLb1EEST_IbLb0EEEEDaSP_SQ_EUlSP_E0_NS1_11comp_targetILNS1_3genE2ELNS1_11target_archE906ELNS1_3gpuE6ELNS1_3repE0EEENS1_30default_config_static_selectorELNS0_4arch9wavefront6targetE1EEEvT1_
	.globl	_ZN7rocprim17ROCPRIM_400000_NS6detail17trampoline_kernelINS0_14default_configENS1_20scan_config_selectorIiEEZZNS1_9scan_implILNS1_25lookback_scan_determinismE0ELb0ELb0ES3_N6thrust23THRUST_200600_302600_NS6detail15normal_iteratorINS9_10device_ptrIiEEEESE_i11max_functorIiEiEEDaPvRmT3_T4_T5_mT6_P12ihipStream_tbENKUlT_T0_E_clISt17integral_constantIbLb1EEST_IbLb0EEEEDaSP_SQ_EUlSP_E0_NS1_11comp_targetILNS1_3genE2ELNS1_11target_archE906ELNS1_3gpuE6ELNS1_3repE0EEENS1_30default_config_static_selectorELNS0_4arch9wavefront6targetE1EEEvT1_
	.p2align	8
	.type	_ZN7rocprim17ROCPRIM_400000_NS6detail17trampoline_kernelINS0_14default_configENS1_20scan_config_selectorIiEEZZNS1_9scan_implILNS1_25lookback_scan_determinismE0ELb0ELb0ES3_N6thrust23THRUST_200600_302600_NS6detail15normal_iteratorINS9_10device_ptrIiEEEESE_i11max_functorIiEiEEDaPvRmT3_T4_T5_mT6_P12ihipStream_tbENKUlT_T0_E_clISt17integral_constantIbLb1EEST_IbLb0EEEEDaSP_SQ_EUlSP_E0_NS1_11comp_targetILNS1_3genE2ELNS1_11target_archE906ELNS1_3gpuE6ELNS1_3repE0EEENS1_30default_config_static_selectorELNS0_4arch9wavefront6targetE1EEEvT1_,@function
_ZN7rocprim17ROCPRIM_400000_NS6detail17trampoline_kernelINS0_14default_configENS1_20scan_config_selectorIiEEZZNS1_9scan_implILNS1_25lookback_scan_determinismE0ELb0ELb0ES3_N6thrust23THRUST_200600_302600_NS6detail15normal_iteratorINS9_10device_ptrIiEEEESE_i11max_functorIiEiEEDaPvRmT3_T4_T5_mT6_P12ihipStream_tbENKUlT_T0_E_clISt17integral_constantIbLb1EEST_IbLb0EEEEDaSP_SQ_EUlSP_E0_NS1_11comp_targetILNS1_3genE2ELNS1_11target_archE906ELNS1_3gpuE6ELNS1_3repE0EEENS1_30default_config_static_selectorELNS0_4arch9wavefront6targetE1EEEvT1_: ; @_ZN7rocprim17ROCPRIM_400000_NS6detail17trampoline_kernelINS0_14default_configENS1_20scan_config_selectorIiEEZZNS1_9scan_implILNS1_25lookback_scan_determinismE0ELb0ELb0ES3_N6thrust23THRUST_200600_302600_NS6detail15normal_iteratorINS9_10device_ptrIiEEEESE_i11max_functorIiEiEEDaPvRmT3_T4_T5_mT6_P12ihipStream_tbENKUlT_T0_E_clISt17integral_constantIbLb1EEST_IbLb0EEEEDaSP_SQ_EUlSP_E0_NS1_11comp_targetILNS1_3genE2ELNS1_11target_archE906ELNS1_3gpuE6ELNS1_3repE0EEENS1_30default_config_static_selectorELNS0_4arch9wavefront6targetE1EEEvT1_
; %bb.0:
	.section	.rodata,"a",@progbits
	.p2align	6, 0x0
	.amdhsa_kernel _ZN7rocprim17ROCPRIM_400000_NS6detail17trampoline_kernelINS0_14default_configENS1_20scan_config_selectorIiEEZZNS1_9scan_implILNS1_25lookback_scan_determinismE0ELb0ELb0ES3_N6thrust23THRUST_200600_302600_NS6detail15normal_iteratorINS9_10device_ptrIiEEEESE_i11max_functorIiEiEEDaPvRmT3_T4_T5_mT6_P12ihipStream_tbENKUlT_T0_E_clISt17integral_constantIbLb1EEST_IbLb0EEEEDaSP_SQ_EUlSP_E0_NS1_11comp_targetILNS1_3genE2ELNS1_11target_archE906ELNS1_3gpuE6ELNS1_3repE0EEENS1_30default_config_static_selectorELNS0_4arch9wavefront6targetE1EEEvT1_
		.amdhsa_group_segment_fixed_size 0
		.amdhsa_private_segment_fixed_size 0
		.amdhsa_kernarg_size 32
		.amdhsa_user_sgpr_count 6
		.amdhsa_user_sgpr_private_segment_buffer 1
		.amdhsa_user_sgpr_dispatch_ptr 0
		.amdhsa_user_sgpr_queue_ptr 0
		.amdhsa_user_sgpr_kernarg_segment_ptr 1
		.amdhsa_user_sgpr_dispatch_id 0
		.amdhsa_user_sgpr_flat_scratch_init 0
		.amdhsa_user_sgpr_kernarg_preload_length 0
		.amdhsa_user_sgpr_kernarg_preload_offset 0
		.amdhsa_user_sgpr_private_segment_size 0
		.amdhsa_uses_dynamic_stack 0
		.amdhsa_system_sgpr_private_segment_wavefront_offset 0
		.amdhsa_system_sgpr_workgroup_id_x 1
		.amdhsa_system_sgpr_workgroup_id_y 0
		.amdhsa_system_sgpr_workgroup_id_z 0
		.amdhsa_system_sgpr_workgroup_info 0
		.amdhsa_system_vgpr_workitem_id 0
		.amdhsa_next_free_vgpr 1
		.amdhsa_next_free_sgpr 0
		.amdhsa_accum_offset 4
		.amdhsa_reserve_vcc 0
		.amdhsa_reserve_flat_scratch 0
		.amdhsa_float_round_mode_32 0
		.amdhsa_float_round_mode_16_64 0
		.amdhsa_float_denorm_mode_32 3
		.amdhsa_float_denorm_mode_16_64 3
		.amdhsa_dx10_clamp 1
		.amdhsa_ieee_mode 1
		.amdhsa_fp16_overflow 0
		.amdhsa_tg_split 0
		.amdhsa_exception_fp_ieee_invalid_op 0
		.amdhsa_exception_fp_denorm_src 0
		.amdhsa_exception_fp_ieee_div_zero 0
		.amdhsa_exception_fp_ieee_overflow 0
		.amdhsa_exception_fp_ieee_underflow 0
		.amdhsa_exception_fp_ieee_inexact 0
		.amdhsa_exception_int_div_zero 0
	.end_amdhsa_kernel
	.section	.text._ZN7rocprim17ROCPRIM_400000_NS6detail17trampoline_kernelINS0_14default_configENS1_20scan_config_selectorIiEEZZNS1_9scan_implILNS1_25lookback_scan_determinismE0ELb0ELb0ES3_N6thrust23THRUST_200600_302600_NS6detail15normal_iteratorINS9_10device_ptrIiEEEESE_i11max_functorIiEiEEDaPvRmT3_T4_T5_mT6_P12ihipStream_tbENKUlT_T0_E_clISt17integral_constantIbLb1EEST_IbLb0EEEEDaSP_SQ_EUlSP_E0_NS1_11comp_targetILNS1_3genE2ELNS1_11target_archE906ELNS1_3gpuE6ELNS1_3repE0EEENS1_30default_config_static_selectorELNS0_4arch9wavefront6targetE1EEEvT1_,"axG",@progbits,_ZN7rocprim17ROCPRIM_400000_NS6detail17trampoline_kernelINS0_14default_configENS1_20scan_config_selectorIiEEZZNS1_9scan_implILNS1_25lookback_scan_determinismE0ELb0ELb0ES3_N6thrust23THRUST_200600_302600_NS6detail15normal_iteratorINS9_10device_ptrIiEEEESE_i11max_functorIiEiEEDaPvRmT3_T4_T5_mT6_P12ihipStream_tbENKUlT_T0_E_clISt17integral_constantIbLb1EEST_IbLb0EEEEDaSP_SQ_EUlSP_E0_NS1_11comp_targetILNS1_3genE2ELNS1_11target_archE906ELNS1_3gpuE6ELNS1_3repE0EEENS1_30default_config_static_selectorELNS0_4arch9wavefront6targetE1EEEvT1_,comdat
.Lfunc_end2751:
	.size	_ZN7rocprim17ROCPRIM_400000_NS6detail17trampoline_kernelINS0_14default_configENS1_20scan_config_selectorIiEEZZNS1_9scan_implILNS1_25lookback_scan_determinismE0ELb0ELb0ES3_N6thrust23THRUST_200600_302600_NS6detail15normal_iteratorINS9_10device_ptrIiEEEESE_i11max_functorIiEiEEDaPvRmT3_T4_T5_mT6_P12ihipStream_tbENKUlT_T0_E_clISt17integral_constantIbLb1EEST_IbLb0EEEEDaSP_SQ_EUlSP_E0_NS1_11comp_targetILNS1_3genE2ELNS1_11target_archE906ELNS1_3gpuE6ELNS1_3repE0EEENS1_30default_config_static_selectorELNS0_4arch9wavefront6targetE1EEEvT1_, .Lfunc_end2751-_ZN7rocprim17ROCPRIM_400000_NS6detail17trampoline_kernelINS0_14default_configENS1_20scan_config_selectorIiEEZZNS1_9scan_implILNS1_25lookback_scan_determinismE0ELb0ELb0ES3_N6thrust23THRUST_200600_302600_NS6detail15normal_iteratorINS9_10device_ptrIiEEEESE_i11max_functorIiEiEEDaPvRmT3_T4_T5_mT6_P12ihipStream_tbENKUlT_T0_E_clISt17integral_constantIbLb1EEST_IbLb0EEEEDaSP_SQ_EUlSP_E0_NS1_11comp_targetILNS1_3genE2ELNS1_11target_archE906ELNS1_3gpuE6ELNS1_3repE0EEENS1_30default_config_static_selectorELNS0_4arch9wavefront6targetE1EEEvT1_
                                        ; -- End function
	.section	.AMDGPU.csdata,"",@progbits
; Kernel info:
; codeLenInByte = 0
; NumSgprs: 4
; NumVgprs: 0
; NumAgprs: 0
; TotalNumVgprs: 0
; ScratchSize: 0
; MemoryBound: 0
; FloatMode: 240
; IeeeMode: 1
; LDSByteSize: 0 bytes/workgroup (compile time only)
; SGPRBlocks: 0
; VGPRBlocks: 0
; NumSGPRsForWavesPerEU: 4
; NumVGPRsForWavesPerEU: 1
; AccumOffset: 4
; Occupancy: 8
; WaveLimiterHint : 0
; COMPUTE_PGM_RSRC2:SCRATCH_EN: 0
; COMPUTE_PGM_RSRC2:USER_SGPR: 6
; COMPUTE_PGM_RSRC2:TRAP_HANDLER: 0
; COMPUTE_PGM_RSRC2:TGID_X_EN: 1
; COMPUTE_PGM_RSRC2:TGID_Y_EN: 0
; COMPUTE_PGM_RSRC2:TGID_Z_EN: 0
; COMPUTE_PGM_RSRC2:TIDIG_COMP_CNT: 0
; COMPUTE_PGM_RSRC3_GFX90A:ACCUM_OFFSET: 0
; COMPUTE_PGM_RSRC3_GFX90A:TG_SPLIT: 0
	.section	.text._ZN7rocprim17ROCPRIM_400000_NS6detail17trampoline_kernelINS0_14default_configENS1_20scan_config_selectorIiEEZZNS1_9scan_implILNS1_25lookback_scan_determinismE0ELb0ELb0ES3_N6thrust23THRUST_200600_302600_NS6detail15normal_iteratorINS9_10device_ptrIiEEEESE_i11max_functorIiEiEEDaPvRmT3_T4_T5_mT6_P12ihipStream_tbENKUlT_T0_E_clISt17integral_constantIbLb1EEST_IbLb0EEEEDaSP_SQ_EUlSP_E0_NS1_11comp_targetILNS1_3genE10ELNS1_11target_archE1201ELNS1_3gpuE5ELNS1_3repE0EEENS1_30default_config_static_selectorELNS0_4arch9wavefront6targetE1EEEvT1_,"axG",@progbits,_ZN7rocprim17ROCPRIM_400000_NS6detail17trampoline_kernelINS0_14default_configENS1_20scan_config_selectorIiEEZZNS1_9scan_implILNS1_25lookback_scan_determinismE0ELb0ELb0ES3_N6thrust23THRUST_200600_302600_NS6detail15normal_iteratorINS9_10device_ptrIiEEEESE_i11max_functorIiEiEEDaPvRmT3_T4_T5_mT6_P12ihipStream_tbENKUlT_T0_E_clISt17integral_constantIbLb1EEST_IbLb0EEEEDaSP_SQ_EUlSP_E0_NS1_11comp_targetILNS1_3genE10ELNS1_11target_archE1201ELNS1_3gpuE5ELNS1_3repE0EEENS1_30default_config_static_selectorELNS0_4arch9wavefront6targetE1EEEvT1_,comdat
	.protected	_ZN7rocprim17ROCPRIM_400000_NS6detail17trampoline_kernelINS0_14default_configENS1_20scan_config_selectorIiEEZZNS1_9scan_implILNS1_25lookback_scan_determinismE0ELb0ELb0ES3_N6thrust23THRUST_200600_302600_NS6detail15normal_iteratorINS9_10device_ptrIiEEEESE_i11max_functorIiEiEEDaPvRmT3_T4_T5_mT6_P12ihipStream_tbENKUlT_T0_E_clISt17integral_constantIbLb1EEST_IbLb0EEEEDaSP_SQ_EUlSP_E0_NS1_11comp_targetILNS1_3genE10ELNS1_11target_archE1201ELNS1_3gpuE5ELNS1_3repE0EEENS1_30default_config_static_selectorELNS0_4arch9wavefront6targetE1EEEvT1_ ; -- Begin function _ZN7rocprim17ROCPRIM_400000_NS6detail17trampoline_kernelINS0_14default_configENS1_20scan_config_selectorIiEEZZNS1_9scan_implILNS1_25lookback_scan_determinismE0ELb0ELb0ES3_N6thrust23THRUST_200600_302600_NS6detail15normal_iteratorINS9_10device_ptrIiEEEESE_i11max_functorIiEiEEDaPvRmT3_T4_T5_mT6_P12ihipStream_tbENKUlT_T0_E_clISt17integral_constantIbLb1EEST_IbLb0EEEEDaSP_SQ_EUlSP_E0_NS1_11comp_targetILNS1_3genE10ELNS1_11target_archE1201ELNS1_3gpuE5ELNS1_3repE0EEENS1_30default_config_static_selectorELNS0_4arch9wavefront6targetE1EEEvT1_
	.globl	_ZN7rocprim17ROCPRIM_400000_NS6detail17trampoline_kernelINS0_14default_configENS1_20scan_config_selectorIiEEZZNS1_9scan_implILNS1_25lookback_scan_determinismE0ELb0ELb0ES3_N6thrust23THRUST_200600_302600_NS6detail15normal_iteratorINS9_10device_ptrIiEEEESE_i11max_functorIiEiEEDaPvRmT3_T4_T5_mT6_P12ihipStream_tbENKUlT_T0_E_clISt17integral_constantIbLb1EEST_IbLb0EEEEDaSP_SQ_EUlSP_E0_NS1_11comp_targetILNS1_3genE10ELNS1_11target_archE1201ELNS1_3gpuE5ELNS1_3repE0EEENS1_30default_config_static_selectorELNS0_4arch9wavefront6targetE1EEEvT1_
	.p2align	8
	.type	_ZN7rocprim17ROCPRIM_400000_NS6detail17trampoline_kernelINS0_14default_configENS1_20scan_config_selectorIiEEZZNS1_9scan_implILNS1_25lookback_scan_determinismE0ELb0ELb0ES3_N6thrust23THRUST_200600_302600_NS6detail15normal_iteratorINS9_10device_ptrIiEEEESE_i11max_functorIiEiEEDaPvRmT3_T4_T5_mT6_P12ihipStream_tbENKUlT_T0_E_clISt17integral_constantIbLb1EEST_IbLb0EEEEDaSP_SQ_EUlSP_E0_NS1_11comp_targetILNS1_3genE10ELNS1_11target_archE1201ELNS1_3gpuE5ELNS1_3repE0EEENS1_30default_config_static_selectorELNS0_4arch9wavefront6targetE1EEEvT1_,@function
_ZN7rocprim17ROCPRIM_400000_NS6detail17trampoline_kernelINS0_14default_configENS1_20scan_config_selectorIiEEZZNS1_9scan_implILNS1_25lookback_scan_determinismE0ELb0ELb0ES3_N6thrust23THRUST_200600_302600_NS6detail15normal_iteratorINS9_10device_ptrIiEEEESE_i11max_functorIiEiEEDaPvRmT3_T4_T5_mT6_P12ihipStream_tbENKUlT_T0_E_clISt17integral_constantIbLb1EEST_IbLb0EEEEDaSP_SQ_EUlSP_E0_NS1_11comp_targetILNS1_3genE10ELNS1_11target_archE1201ELNS1_3gpuE5ELNS1_3repE0EEENS1_30default_config_static_selectorELNS0_4arch9wavefront6targetE1EEEvT1_: ; @_ZN7rocprim17ROCPRIM_400000_NS6detail17trampoline_kernelINS0_14default_configENS1_20scan_config_selectorIiEEZZNS1_9scan_implILNS1_25lookback_scan_determinismE0ELb0ELb0ES3_N6thrust23THRUST_200600_302600_NS6detail15normal_iteratorINS9_10device_ptrIiEEEESE_i11max_functorIiEiEEDaPvRmT3_T4_T5_mT6_P12ihipStream_tbENKUlT_T0_E_clISt17integral_constantIbLb1EEST_IbLb0EEEEDaSP_SQ_EUlSP_E0_NS1_11comp_targetILNS1_3genE10ELNS1_11target_archE1201ELNS1_3gpuE5ELNS1_3repE0EEENS1_30default_config_static_selectorELNS0_4arch9wavefront6targetE1EEEvT1_
; %bb.0:
	.section	.rodata,"a",@progbits
	.p2align	6, 0x0
	.amdhsa_kernel _ZN7rocprim17ROCPRIM_400000_NS6detail17trampoline_kernelINS0_14default_configENS1_20scan_config_selectorIiEEZZNS1_9scan_implILNS1_25lookback_scan_determinismE0ELb0ELb0ES3_N6thrust23THRUST_200600_302600_NS6detail15normal_iteratorINS9_10device_ptrIiEEEESE_i11max_functorIiEiEEDaPvRmT3_T4_T5_mT6_P12ihipStream_tbENKUlT_T0_E_clISt17integral_constantIbLb1EEST_IbLb0EEEEDaSP_SQ_EUlSP_E0_NS1_11comp_targetILNS1_3genE10ELNS1_11target_archE1201ELNS1_3gpuE5ELNS1_3repE0EEENS1_30default_config_static_selectorELNS0_4arch9wavefront6targetE1EEEvT1_
		.amdhsa_group_segment_fixed_size 0
		.amdhsa_private_segment_fixed_size 0
		.amdhsa_kernarg_size 32
		.amdhsa_user_sgpr_count 6
		.amdhsa_user_sgpr_private_segment_buffer 1
		.amdhsa_user_sgpr_dispatch_ptr 0
		.amdhsa_user_sgpr_queue_ptr 0
		.amdhsa_user_sgpr_kernarg_segment_ptr 1
		.amdhsa_user_sgpr_dispatch_id 0
		.amdhsa_user_sgpr_flat_scratch_init 0
		.amdhsa_user_sgpr_kernarg_preload_length 0
		.amdhsa_user_sgpr_kernarg_preload_offset 0
		.amdhsa_user_sgpr_private_segment_size 0
		.amdhsa_uses_dynamic_stack 0
		.amdhsa_system_sgpr_private_segment_wavefront_offset 0
		.amdhsa_system_sgpr_workgroup_id_x 1
		.amdhsa_system_sgpr_workgroup_id_y 0
		.amdhsa_system_sgpr_workgroup_id_z 0
		.amdhsa_system_sgpr_workgroup_info 0
		.amdhsa_system_vgpr_workitem_id 0
		.amdhsa_next_free_vgpr 1
		.amdhsa_next_free_sgpr 0
		.amdhsa_accum_offset 4
		.amdhsa_reserve_vcc 0
		.amdhsa_reserve_flat_scratch 0
		.amdhsa_float_round_mode_32 0
		.amdhsa_float_round_mode_16_64 0
		.amdhsa_float_denorm_mode_32 3
		.amdhsa_float_denorm_mode_16_64 3
		.amdhsa_dx10_clamp 1
		.amdhsa_ieee_mode 1
		.amdhsa_fp16_overflow 0
		.amdhsa_tg_split 0
		.amdhsa_exception_fp_ieee_invalid_op 0
		.amdhsa_exception_fp_denorm_src 0
		.amdhsa_exception_fp_ieee_div_zero 0
		.amdhsa_exception_fp_ieee_overflow 0
		.amdhsa_exception_fp_ieee_underflow 0
		.amdhsa_exception_fp_ieee_inexact 0
		.amdhsa_exception_int_div_zero 0
	.end_amdhsa_kernel
	.section	.text._ZN7rocprim17ROCPRIM_400000_NS6detail17trampoline_kernelINS0_14default_configENS1_20scan_config_selectorIiEEZZNS1_9scan_implILNS1_25lookback_scan_determinismE0ELb0ELb0ES3_N6thrust23THRUST_200600_302600_NS6detail15normal_iteratorINS9_10device_ptrIiEEEESE_i11max_functorIiEiEEDaPvRmT3_T4_T5_mT6_P12ihipStream_tbENKUlT_T0_E_clISt17integral_constantIbLb1EEST_IbLb0EEEEDaSP_SQ_EUlSP_E0_NS1_11comp_targetILNS1_3genE10ELNS1_11target_archE1201ELNS1_3gpuE5ELNS1_3repE0EEENS1_30default_config_static_selectorELNS0_4arch9wavefront6targetE1EEEvT1_,"axG",@progbits,_ZN7rocprim17ROCPRIM_400000_NS6detail17trampoline_kernelINS0_14default_configENS1_20scan_config_selectorIiEEZZNS1_9scan_implILNS1_25lookback_scan_determinismE0ELb0ELb0ES3_N6thrust23THRUST_200600_302600_NS6detail15normal_iteratorINS9_10device_ptrIiEEEESE_i11max_functorIiEiEEDaPvRmT3_T4_T5_mT6_P12ihipStream_tbENKUlT_T0_E_clISt17integral_constantIbLb1EEST_IbLb0EEEEDaSP_SQ_EUlSP_E0_NS1_11comp_targetILNS1_3genE10ELNS1_11target_archE1201ELNS1_3gpuE5ELNS1_3repE0EEENS1_30default_config_static_selectorELNS0_4arch9wavefront6targetE1EEEvT1_,comdat
.Lfunc_end2752:
	.size	_ZN7rocprim17ROCPRIM_400000_NS6detail17trampoline_kernelINS0_14default_configENS1_20scan_config_selectorIiEEZZNS1_9scan_implILNS1_25lookback_scan_determinismE0ELb0ELb0ES3_N6thrust23THRUST_200600_302600_NS6detail15normal_iteratorINS9_10device_ptrIiEEEESE_i11max_functorIiEiEEDaPvRmT3_T4_T5_mT6_P12ihipStream_tbENKUlT_T0_E_clISt17integral_constantIbLb1EEST_IbLb0EEEEDaSP_SQ_EUlSP_E0_NS1_11comp_targetILNS1_3genE10ELNS1_11target_archE1201ELNS1_3gpuE5ELNS1_3repE0EEENS1_30default_config_static_selectorELNS0_4arch9wavefront6targetE1EEEvT1_, .Lfunc_end2752-_ZN7rocprim17ROCPRIM_400000_NS6detail17trampoline_kernelINS0_14default_configENS1_20scan_config_selectorIiEEZZNS1_9scan_implILNS1_25lookback_scan_determinismE0ELb0ELb0ES3_N6thrust23THRUST_200600_302600_NS6detail15normal_iteratorINS9_10device_ptrIiEEEESE_i11max_functorIiEiEEDaPvRmT3_T4_T5_mT6_P12ihipStream_tbENKUlT_T0_E_clISt17integral_constantIbLb1EEST_IbLb0EEEEDaSP_SQ_EUlSP_E0_NS1_11comp_targetILNS1_3genE10ELNS1_11target_archE1201ELNS1_3gpuE5ELNS1_3repE0EEENS1_30default_config_static_selectorELNS0_4arch9wavefront6targetE1EEEvT1_
                                        ; -- End function
	.section	.AMDGPU.csdata,"",@progbits
; Kernel info:
; codeLenInByte = 0
; NumSgprs: 4
; NumVgprs: 0
; NumAgprs: 0
; TotalNumVgprs: 0
; ScratchSize: 0
; MemoryBound: 0
; FloatMode: 240
; IeeeMode: 1
; LDSByteSize: 0 bytes/workgroup (compile time only)
; SGPRBlocks: 0
; VGPRBlocks: 0
; NumSGPRsForWavesPerEU: 4
; NumVGPRsForWavesPerEU: 1
; AccumOffset: 4
; Occupancy: 8
; WaveLimiterHint : 0
; COMPUTE_PGM_RSRC2:SCRATCH_EN: 0
; COMPUTE_PGM_RSRC2:USER_SGPR: 6
; COMPUTE_PGM_RSRC2:TRAP_HANDLER: 0
; COMPUTE_PGM_RSRC2:TGID_X_EN: 1
; COMPUTE_PGM_RSRC2:TGID_Y_EN: 0
; COMPUTE_PGM_RSRC2:TGID_Z_EN: 0
; COMPUTE_PGM_RSRC2:TIDIG_COMP_CNT: 0
; COMPUTE_PGM_RSRC3_GFX90A:ACCUM_OFFSET: 0
; COMPUTE_PGM_RSRC3_GFX90A:TG_SPLIT: 0
	.section	.text._ZN7rocprim17ROCPRIM_400000_NS6detail17trampoline_kernelINS0_14default_configENS1_20scan_config_selectorIiEEZZNS1_9scan_implILNS1_25lookback_scan_determinismE0ELb0ELb0ES3_N6thrust23THRUST_200600_302600_NS6detail15normal_iteratorINS9_10device_ptrIiEEEESE_i11max_functorIiEiEEDaPvRmT3_T4_T5_mT6_P12ihipStream_tbENKUlT_T0_E_clISt17integral_constantIbLb1EEST_IbLb0EEEEDaSP_SQ_EUlSP_E0_NS1_11comp_targetILNS1_3genE10ELNS1_11target_archE1200ELNS1_3gpuE4ELNS1_3repE0EEENS1_30default_config_static_selectorELNS0_4arch9wavefront6targetE1EEEvT1_,"axG",@progbits,_ZN7rocprim17ROCPRIM_400000_NS6detail17trampoline_kernelINS0_14default_configENS1_20scan_config_selectorIiEEZZNS1_9scan_implILNS1_25lookback_scan_determinismE0ELb0ELb0ES3_N6thrust23THRUST_200600_302600_NS6detail15normal_iteratorINS9_10device_ptrIiEEEESE_i11max_functorIiEiEEDaPvRmT3_T4_T5_mT6_P12ihipStream_tbENKUlT_T0_E_clISt17integral_constantIbLb1EEST_IbLb0EEEEDaSP_SQ_EUlSP_E0_NS1_11comp_targetILNS1_3genE10ELNS1_11target_archE1200ELNS1_3gpuE4ELNS1_3repE0EEENS1_30default_config_static_selectorELNS0_4arch9wavefront6targetE1EEEvT1_,comdat
	.protected	_ZN7rocprim17ROCPRIM_400000_NS6detail17trampoline_kernelINS0_14default_configENS1_20scan_config_selectorIiEEZZNS1_9scan_implILNS1_25lookback_scan_determinismE0ELb0ELb0ES3_N6thrust23THRUST_200600_302600_NS6detail15normal_iteratorINS9_10device_ptrIiEEEESE_i11max_functorIiEiEEDaPvRmT3_T4_T5_mT6_P12ihipStream_tbENKUlT_T0_E_clISt17integral_constantIbLb1EEST_IbLb0EEEEDaSP_SQ_EUlSP_E0_NS1_11comp_targetILNS1_3genE10ELNS1_11target_archE1200ELNS1_3gpuE4ELNS1_3repE0EEENS1_30default_config_static_selectorELNS0_4arch9wavefront6targetE1EEEvT1_ ; -- Begin function _ZN7rocprim17ROCPRIM_400000_NS6detail17trampoline_kernelINS0_14default_configENS1_20scan_config_selectorIiEEZZNS1_9scan_implILNS1_25lookback_scan_determinismE0ELb0ELb0ES3_N6thrust23THRUST_200600_302600_NS6detail15normal_iteratorINS9_10device_ptrIiEEEESE_i11max_functorIiEiEEDaPvRmT3_T4_T5_mT6_P12ihipStream_tbENKUlT_T0_E_clISt17integral_constantIbLb1EEST_IbLb0EEEEDaSP_SQ_EUlSP_E0_NS1_11comp_targetILNS1_3genE10ELNS1_11target_archE1200ELNS1_3gpuE4ELNS1_3repE0EEENS1_30default_config_static_selectorELNS0_4arch9wavefront6targetE1EEEvT1_
	.globl	_ZN7rocprim17ROCPRIM_400000_NS6detail17trampoline_kernelINS0_14default_configENS1_20scan_config_selectorIiEEZZNS1_9scan_implILNS1_25lookback_scan_determinismE0ELb0ELb0ES3_N6thrust23THRUST_200600_302600_NS6detail15normal_iteratorINS9_10device_ptrIiEEEESE_i11max_functorIiEiEEDaPvRmT3_T4_T5_mT6_P12ihipStream_tbENKUlT_T0_E_clISt17integral_constantIbLb1EEST_IbLb0EEEEDaSP_SQ_EUlSP_E0_NS1_11comp_targetILNS1_3genE10ELNS1_11target_archE1200ELNS1_3gpuE4ELNS1_3repE0EEENS1_30default_config_static_selectorELNS0_4arch9wavefront6targetE1EEEvT1_
	.p2align	8
	.type	_ZN7rocprim17ROCPRIM_400000_NS6detail17trampoline_kernelINS0_14default_configENS1_20scan_config_selectorIiEEZZNS1_9scan_implILNS1_25lookback_scan_determinismE0ELb0ELb0ES3_N6thrust23THRUST_200600_302600_NS6detail15normal_iteratorINS9_10device_ptrIiEEEESE_i11max_functorIiEiEEDaPvRmT3_T4_T5_mT6_P12ihipStream_tbENKUlT_T0_E_clISt17integral_constantIbLb1EEST_IbLb0EEEEDaSP_SQ_EUlSP_E0_NS1_11comp_targetILNS1_3genE10ELNS1_11target_archE1200ELNS1_3gpuE4ELNS1_3repE0EEENS1_30default_config_static_selectorELNS0_4arch9wavefront6targetE1EEEvT1_,@function
_ZN7rocprim17ROCPRIM_400000_NS6detail17trampoline_kernelINS0_14default_configENS1_20scan_config_selectorIiEEZZNS1_9scan_implILNS1_25lookback_scan_determinismE0ELb0ELb0ES3_N6thrust23THRUST_200600_302600_NS6detail15normal_iteratorINS9_10device_ptrIiEEEESE_i11max_functorIiEiEEDaPvRmT3_T4_T5_mT6_P12ihipStream_tbENKUlT_T0_E_clISt17integral_constantIbLb1EEST_IbLb0EEEEDaSP_SQ_EUlSP_E0_NS1_11comp_targetILNS1_3genE10ELNS1_11target_archE1200ELNS1_3gpuE4ELNS1_3repE0EEENS1_30default_config_static_selectorELNS0_4arch9wavefront6targetE1EEEvT1_: ; @_ZN7rocprim17ROCPRIM_400000_NS6detail17trampoline_kernelINS0_14default_configENS1_20scan_config_selectorIiEEZZNS1_9scan_implILNS1_25lookback_scan_determinismE0ELb0ELb0ES3_N6thrust23THRUST_200600_302600_NS6detail15normal_iteratorINS9_10device_ptrIiEEEESE_i11max_functorIiEiEEDaPvRmT3_T4_T5_mT6_P12ihipStream_tbENKUlT_T0_E_clISt17integral_constantIbLb1EEST_IbLb0EEEEDaSP_SQ_EUlSP_E0_NS1_11comp_targetILNS1_3genE10ELNS1_11target_archE1200ELNS1_3gpuE4ELNS1_3repE0EEENS1_30default_config_static_selectorELNS0_4arch9wavefront6targetE1EEEvT1_
; %bb.0:
	.section	.rodata,"a",@progbits
	.p2align	6, 0x0
	.amdhsa_kernel _ZN7rocprim17ROCPRIM_400000_NS6detail17trampoline_kernelINS0_14default_configENS1_20scan_config_selectorIiEEZZNS1_9scan_implILNS1_25lookback_scan_determinismE0ELb0ELb0ES3_N6thrust23THRUST_200600_302600_NS6detail15normal_iteratorINS9_10device_ptrIiEEEESE_i11max_functorIiEiEEDaPvRmT3_T4_T5_mT6_P12ihipStream_tbENKUlT_T0_E_clISt17integral_constantIbLb1EEST_IbLb0EEEEDaSP_SQ_EUlSP_E0_NS1_11comp_targetILNS1_3genE10ELNS1_11target_archE1200ELNS1_3gpuE4ELNS1_3repE0EEENS1_30default_config_static_selectorELNS0_4arch9wavefront6targetE1EEEvT1_
		.amdhsa_group_segment_fixed_size 0
		.amdhsa_private_segment_fixed_size 0
		.amdhsa_kernarg_size 32
		.amdhsa_user_sgpr_count 6
		.amdhsa_user_sgpr_private_segment_buffer 1
		.amdhsa_user_sgpr_dispatch_ptr 0
		.amdhsa_user_sgpr_queue_ptr 0
		.amdhsa_user_sgpr_kernarg_segment_ptr 1
		.amdhsa_user_sgpr_dispatch_id 0
		.amdhsa_user_sgpr_flat_scratch_init 0
		.amdhsa_user_sgpr_kernarg_preload_length 0
		.amdhsa_user_sgpr_kernarg_preload_offset 0
		.amdhsa_user_sgpr_private_segment_size 0
		.amdhsa_uses_dynamic_stack 0
		.amdhsa_system_sgpr_private_segment_wavefront_offset 0
		.amdhsa_system_sgpr_workgroup_id_x 1
		.amdhsa_system_sgpr_workgroup_id_y 0
		.amdhsa_system_sgpr_workgroup_id_z 0
		.amdhsa_system_sgpr_workgroup_info 0
		.amdhsa_system_vgpr_workitem_id 0
		.amdhsa_next_free_vgpr 1
		.amdhsa_next_free_sgpr 0
		.amdhsa_accum_offset 4
		.amdhsa_reserve_vcc 0
		.amdhsa_reserve_flat_scratch 0
		.amdhsa_float_round_mode_32 0
		.amdhsa_float_round_mode_16_64 0
		.amdhsa_float_denorm_mode_32 3
		.amdhsa_float_denorm_mode_16_64 3
		.amdhsa_dx10_clamp 1
		.amdhsa_ieee_mode 1
		.amdhsa_fp16_overflow 0
		.amdhsa_tg_split 0
		.amdhsa_exception_fp_ieee_invalid_op 0
		.amdhsa_exception_fp_denorm_src 0
		.amdhsa_exception_fp_ieee_div_zero 0
		.amdhsa_exception_fp_ieee_overflow 0
		.amdhsa_exception_fp_ieee_underflow 0
		.amdhsa_exception_fp_ieee_inexact 0
		.amdhsa_exception_int_div_zero 0
	.end_amdhsa_kernel
	.section	.text._ZN7rocprim17ROCPRIM_400000_NS6detail17trampoline_kernelINS0_14default_configENS1_20scan_config_selectorIiEEZZNS1_9scan_implILNS1_25lookback_scan_determinismE0ELb0ELb0ES3_N6thrust23THRUST_200600_302600_NS6detail15normal_iteratorINS9_10device_ptrIiEEEESE_i11max_functorIiEiEEDaPvRmT3_T4_T5_mT6_P12ihipStream_tbENKUlT_T0_E_clISt17integral_constantIbLb1EEST_IbLb0EEEEDaSP_SQ_EUlSP_E0_NS1_11comp_targetILNS1_3genE10ELNS1_11target_archE1200ELNS1_3gpuE4ELNS1_3repE0EEENS1_30default_config_static_selectorELNS0_4arch9wavefront6targetE1EEEvT1_,"axG",@progbits,_ZN7rocprim17ROCPRIM_400000_NS6detail17trampoline_kernelINS0_14default_configENS1_20scan_config_selectorIiEEZZNS1_9scan_implILNS1_25lookback_scan_determinismE0ELb0ELb0ES3_N6thrust23THRUST_200600_302600_NS6detail15normal_iteratorINS9_10device_ptrIiEEEESE_i11max_functorIiEiEEDaPvRmT3_T4_T5_mT6_P12ihipStream_tbENKUlT_T0_E_clISt17integral_constantIbLb1EEST_IbLb0EEEEDaSP_SQ_EUlSP_E0_NS1_11comp_targetILNS1_3genE10ELNS1_11target_archE1200ELNS1_3gpuE4ELNS1_3repE0EEENS1_30default_config_static_selectorELNS0_4arch9wavefront6targetE1EEEvT1_,comdat
.Lfunc_end2753:
	.size	_ZN7rocprim17ROCPRIM_400000_NS6detail17trampoline_kernelINS0_14default_configENS1_20scan_config_selectorIiEEZZNS1_9scan_implILNS1_25lookback_scan_determinismE0ELb0ELb0ES3_N6thrust23THRUST_200600_302600_NS6detail15normal_iteratorINS9_10device_ptrIiEEEESE_i11max_functorIiEiEEDaPvRmT3_T4_T5_mT6_P12ihipStream_tbENKUlT_T0_E_clISt17integral_constantIbLb1EEST_IbLb0EEEEDaSP_SQ_EUlSP_E0_NS1_11comp_targetILNS1_3genE10ELNS1_11target_archE1200ELNS1_3gpuE4ELNS1_3repE0EEENS1_30default_config_static_selectorELNS0_4arch9wavefront6targetE1EEEvT1_, .Lfunc_end2753-_ZN7rocprim17ROCPRIM_400000_NS6detail17trampoline_kernelINS0_14default_configENS1_20scan_config_selectorIiEEZZNS1_9scan_implILNS1_25lookback_scan_determinismE0ELb0ELb0ES3_N6thrust23THRUST_200600_302600_NS6detail15normal_iteratorINS9_10device_ptrIiEEEESE_i11max_functorIiEiEEDaPvRmT3_T4_T5_mT6_P12ihipStream_tbENKUlT_T0_E_clISt17integral_constantIbLb1EEST_IbLb0EEEEDaSP_SQ_EUlSP_E0_NS1_11comp_targetILNS1_3genE10ELNS1_11target_archE1200ELNS1_3gpuE4ELNS1_3repE0EEENS1_30default_config_static_selectorELNS0_4arch9wavefront6targetE1EEEvT1_
                                        ; -- End function
	.section	.AMDGPU.csdata,"",@progbits
; Kernel info:
; codeLenInByte = 0
; NumSgprs: 4
; NumVgprs: 0
; NumAgprs: 0
; TotalNumVgprs: 0
; ScratchSize: 0
; MemoryBound: 0
; FloatMode: 240
; IeeeMode: 1
; LDSByteSize: 0 bytes/workgroup (compile time only)
; SGPRBlocks: 0
; VGPRBlocks: 0
; NumSGPRsForWavesPerEU: 4
; NumVGPRsForWavesPerEU: 1
; AccumOffset: 4
; Occupancy: 8
; WaveLimiterHint : 0
; COMPUTE_PGM_RSRC2:SCRATCH_EN: 0
; COMPUTE_PGM_RSRC2:USER_SGPR: 6
; COMPUTE_PGM_RSRC2:TRAP_HANDLER: 0
; COMPUTE_PGM_RSRC2:TGID_X_EN: 1
; COMPUTE_PGM_RSRC2:TGID_Y_EN: 0
; COMPUTE_PGM_RSRC2:TGID_Z_EN: 0
; COMPUTE_PGM_RSRC2:TIDIG_COMP_CNT: 0
; COMPUTE_PGM_RSRC3_GFX90A:ACCUM_OFFSET: 0
; COMPUTE_PGM_RSRC3_GFX90A:TG_SPLIT: 0
	.section	.text._ZN7rocprim17ROCPRIM_400000_NS6detail17trampoline_kernelINS0_14default_configENS1_20scan_config_selectorIiEEZZNS1_9scan_implILNS1_25lookback_scan_determinismE0ELb0ELb0ES3_N6thrust23THRUST_200600_302600_NS6detail15normal_iteratorINS9_10device_ptrIiEEEESE_i11max_functorIiEiEEDaPvRmT3_T4_T5_mT6_P12ihipStream_tbENKUlT_T0_E_clISt17integral_constantIbLb1EEST_IbLb0EEEEDaSP_SQ_EUlSP_E0_NS1_11comp_targetILNS1_3genE9ELNS1_11target_archE1100ELNS1_3gpuE3ELNS1_3repE0EEENS1_30default_config_static_selectorELNS0_4arch9wavefront6targetE1EEEvT1_,"axG",@progbits,_ZN7rocprim17ROCPRIM_400000_NS6detail17trampoline_kernelINS0_14default_configENS1_20scan_config_selectorIiEEZZNS1_9scan_implILNS1_25lookback_scan_determinismE0ELb0ELb0ES3_N6thrust23THRUST_200600_302600_NS6detail15normal_iteratorINS9_10device_ptrIiEEEESE_i11max_functorIiEiEEDaPvRmT3_T4_T5_mT6_P12ihipStream_tbENKUlT_T0_E_clISt17integral_constantIbLb1EEST_IbLb0EEEEDaSP_SQ_EUlSP_E0_NS1_11comp_targetILNS1_3genE9ELNS1_11target_archE1100ELNS1_3gpuE3ELNS1_3repE0EEENS1_30default_config_static_selectorELNS0_4arch9wavefront6targetE1EEEvT1_,comdat
	.protected	_ZN7rocprim17ROCPRIM_400000_NS6detail17trampoline_kernelINS0_14default_configENS1_20scan_config_selectorIiEEZZNS1_9scan_implILNS1_25lookback_scan_determinismE0ELb0ELb0ES3_N6thrust23THRUST_200600_302600_NS6detail15normal_iteratorINS9_10device_ptrIiEEEESE_i11max_functorIiEiEEDaPvRmT3_T4_T5_mT6_P12ihipStream_tbENKUlT_T0_E_clISt17integral_constantIbLb1EEST_IbLb0EEEEDaSP_SQ_EUlSP_E0_NS1_11comp_targetILNS1_3genE9ELNS1_11target_archE1100ELNS1_3gpuE3ELNS1_3repE0EEENS1_30default_config_static_selectorELNS0_4arch9wavefront6targetE1EEEvT1_ ; -- Begin function _ZN7rocprim17ROCPRIM_400000_NS6detail17trampoline_kernelINS0_14default_configENS1_20scan_config_selectorIiEEZZNS1_9scan_implILNS1_25lookback_scan_determinismE0ELb0ELb0ES3_N6thrust23THRUST_200600_302600_NS6detail15normal_iteratorINS9_10device_ptrIiEEEESE_i11max_functorIiEiEEDaPvRmT3_T4_T5_mT6_P12ihipStream_tbENKUlT_T0_E_clISt17integral_constantIbLb1EEST_IbLb0EEEEDaSP_SQ_EUlSP_E0_NS1_11comp_targetILNS1_3genE9ELNS1_11target_archE1100ELNS1_3gpuE3ELNS1_3repE0EEENS1_30default_config_static_selectorELNS0_4arch9wavefront6targetE1EEEvT1_
	.globl	_ZN7rocprim17ROCPRIM_400000_NS6detail17trampoline_kernelINS0_14default_configENS1_20scan_config_selectorIiEEZZNS1_9scan_implILNS1_25lookback_scan_determinismE0ELb0ELb0ES3_N6thrust23THRUST_200600_302600_NS6detail15normal_iteratorINS9_10device_ptrIiEEEESE_i11max_functorIiEiEEDaPvRmT3_T4_T5_mT6_P12ihipStream_tbENKUlT_T0_E_clISt17integral_constantIbLb1EEST_IbLb0EEEEDaSP_SQ_EUlSP_E0_NS1_11comp_targetILNS1_3genE9ELNS1_11target_archE1100ELNS1_3gpuE3ELNS1_3repE0EEENS1_30default_config_static_selectorELNS0_4arch9wavefront6targetE1EEEvT1_
	.p2align	8
	.type	_ZN7rocprim17ROCPRIM_400000_NS6detail17trampoline_kernelINS0_14default_configENS1_20scan_config_selectorIiEEZZNS1_9scan_implILNS1_25lookback_scan_determinismE0ELb0ELb0ES3_N6thrust23THRUST_200600_302600_NS6detail15normal_iteratorINS9_10device_ptrIiEEEESE_i11max_functorIiEiEEDaPvRmT3_T4_T5_mT6_P12ihipStream_tbENKUlT_T0_E_clISt17integral_constantIbLb1EEST_IbLb0EEEEDaSP_SQ_EUlSP_E0_NS1_11comp_targetILNS1_3genE9ELNS1_11target_archE1100ELNS1_3gpuE3ELNS1_3repE0EEENS1_30default_config_static_selectorELNS0_4arch9wavefront6targetE1EEEvT1_,@function
_ZN7rocprim17ROCPRIM_400000_NS6detail17trampoline_kernelINS0_14default_configENS1_20scan_config_selectorIiEEZZNS1_9scan_implILNS1_25lookback_scan_determinismE0ELb0ELb0ES3_N6thrust23THRUST_200600_302600_NS6detail15normal_iteratorINS9_10device_ptrIiEEEESE_i11max_functorIiEiEEDaPvRmT3_T4_T5_mT6_P12ihipStream_tbENKUlT_T0_E_clISt17integral_constantIbLb1EEST_IbLb0EEEEDaSP_SQ_EUlSP_E0_NS1_11comp_targetILNS1_3genE9ELNS1_11target_archE1100ELNS1_3gpuE3ELNS1_3repE0EEENS1_30default_config_static_selectorELNS0_4arch9wavefront6targetE1EEEvT1_: ; @_ZN7rocprim17ROCPRIM_400000_NS6detail17trampoline_kernelINS0_14default_configENS1_20scan_config_selectorIiEEZZNS1_9scan_implILNS1_25lookback_scan_determinismE0ELb0ELb0ES3_N6thrust23THRUST_200600_302600_NS6detail15normal_iteratorINS9_10device_ptrIiEEEESE_i11max_functorIiEiEEDaPvRmT3_T4_T5_mT6_P12ihipStream_tbENKUlT_T0_E_clISt17integral_constantIbLb1EEST_IbLb0EEEEDaSP_SQ_EUlSP_E0_NS1_11comp_targetILNS1_3genE9ELNS1_11target_archE1100ELNS1_3gpuE3ELNS1_3repE0EEENS1_30default_config_static_selectorELNS0_4arch9wavefront6targetE1EEEvT1_
; %bb.0:
	.section	.rodata,"a",@progbits
	.p2align	6, 0x0
	.amdhsa_kernel _ZN7rocprim17ROCPRIM_400000_NS6detail17trampoline_kernelINS0_14default_configENS1_20scan_config_selectorIiEEZZNS1_9scan_implILNS1_25lookback_scan_determinismE0ELb0ELb0ES3_N6thrust23THRUST_200600_302600_NS6detail15normal_iteratorINS9_10device_ptrIiEEEESE_i11max_functorIiEiEEDaPvRmT3_T4_T5_mT6_P12ihipStream_tbENKUlT_T0_E_clISt17integral_constantIbLb1EEST_IbLb0EEEEDaSP_SQ_EUlSP_E0_NS1_11comp_targetILNS1_3genE9ELNS1_11target_archE1100ELNS1_3gpuE3ELNS1_3repE0EEENS1_30default_config_static_selectorELNS0_4arch9wavefront6targetE1EEEvT1_
		.amdhsa_group_segment_fixed_size 0
		.amdhsa_private_segment_fixed_size 0
		.amdhsa_kernarg_size 32
		.amdhsa_user_sgpr_count 6
		.amdhsa_user_sgpr_private_segment_buffer 1
		.amdhsa_user_sgpr_dispatch_ptr 0
		.amdhsa_user_sgpr_queue_ptr 0
		.amdhsa_user_sgpr_kernarg_segment_ptr 1
		.amdhsa_user_sgpr_dispatch_id 0
		.amdhsa_user_sgpr_flat_scratch_init 0
		.amdhsa_user_sgpr_kernarg_preload_length 0
		.amdhsa_user_sgpr_kernarg_preload_offset 0
		.amdhsa_user_sgpr_private_segment_size 0
		.amdhsa_uses_dynamic_stack 0
		.amdhsa_system_sgpr_private_segment_wavefront_offset 0
		.amdhsa_system_sgpr_workgroup_id_x 1
		.amdhsa_system_sgpr_workgroup_id_y 0
		.amdhsa_system_sgpr_workgroup_id_z 0
		.amdhsa_system_sgpr_workgroup_info 0
		.amdhsa_system_vgpr_workitem_id 0
		.amdhsa_next_free_vgpr 1
		.amdhsa_next_free_sgpr 0
		.amdhsa_accum_offset 4
		.amdhsa_reserve_vcc 0
		.amdhsa_reserve_flat_scratch 0
		.amdhsa_float_round_mode_32 0
		.amdhsa_float_round_mode_16_64 0
		.amdhsa_float_denorm_mode_32 3
		.amdhsa_float_denorm_mode_16_64 3
		.amdhsa_dx10_clamp 1
		.amdhsa_ieee_mode 1
		.amdhsa_fp16_overflow 0
		.amdhsa_tg_split 0
		.amdhsa_exception_fp_ieee_invalid_op 0
		.amdhsa_exception_fp_denorm_src 0
		.amdhsa_exception_fp_ieee_div_zero 0
		.amdhsa_exception_fp_ieee_overflow 0
		.amdhsa_exception_fp_ieee_underflow 0
		.amdhsa_exception_fp_ieee_inexact 0
		.amdhsa_exception_int_div_zero 0
	.end_amdhsa_kernel
	.section	.text._ZN7rocprim17ROCPRIM_400000_NS6detail17trampoline_kernelINS0_14default_configENS1_20scan_config_selectorIiEEZZNS1_9scan_implILNS1_25lookback_scan_determinismE0ELb0ELb0ES3_N6thrust23THRUST_200600_302600_NS6detail15normal_iteratorINS9_10device_ptrIiEEEESE_i11max_functorIiEiEEDaPvRmT3_T4_T5_mT6_P12ihipStream_tbENKUlT_T0_E_clISt17integral_constantIbLb1EEST_IbLb0EEEEDaSP_SQ_EUlSP_E0_NS1_11comp_targetILNS1_3genE9ELNS1_11target_archE1100ELNS1_3gpuE3ELNS1_3repE0EEENS1_30default_config_static_selectorELNS0_4arch9wavefront6targetE1EEEvT1_,"axG",@progbits,_ZN7rocprim17ROCPRIM_400000_NS6detail17trampoline_kernelINS0_14default_configENS1_20scan_config_selectorIiEEZZNS1_9scan_implILNS1_25lookback_scan_determinismE0ELb0ELb0ES3_N6thrust23THRUST_200600_302600_NS6detail15normal_iteratorINS9_10device_ptrIiEEEESE_i11max_functorIiEiEEDaPvRmT3_T4_T5_mT6_P12ihipStream_tbENKUlT_T0_E_clISt17integral_constantIbLb1EEST_IbLb0EEEEDaSP_SQ_EUlSP_E0_NS1_11comp_targetILNS1_3genE9ELNS1_11target_archE1100ELNS1_3gpuE3ELNS1_3repE0EEENS1_30default_config_static_selectorELNS0_4arch9wavefront6targetE1EEEvT1_,comdat
.Lfunc_end2754:
	.size	_ZN7rocprim17ROCPRIM_400000_NS6detail17trampoline_kernelINS0_14default_configENS1_20scan_config_selectorIiEEZZNS1_9scan_implILNS1_25lookback_scan_determinismE0ELb0ELb0ES3_N6thrust23THRUST_200600_302600_NS6detail15normal_iteratorINS9_10device_ptrIiEEEESE_i11max_functorIiEiEEDaPvRmT3_T4_T5_mT6_P12ihipStream_tbENKUlT_T0_E_clISt17integral_constantIbLb1EEST_IbLb0EEEEDaSP_SQ_EUlSP_E0_NS1_11comp_targetILNS1_3genE9ELNS1_11target_archE1100ELNS1_3gpuE3ELNS1_3repE0EEENS1_30default_config_static_selectorELNS0_4arch9wavefront6targetE1EEEvT1_, .Lfunc_end2754-_ZN7rocprim17ROCPRIM_400000_NS6detail17trampoline_kernelINS0_14default_configENS1_20scan_config_selectorIiEEZZNS1_9scan_implILNS1_25lookback_scan_determinismE0ELb0ELb0ES3_N6thrust23THRUST_200600_302600_NS6detail15normal_iteratorINS9_10device_ptrIiEEEESE_i11max_functorIiEiEEDaPvRmT3_T4_T5_mT6_P12ihipStream_tbENKUlT_T0_E_clISt17integral_constantIbLb1EEST_IbLb0EEEEDaSP_SQ_EUlSP_E0_NS1_11comp_targetILNS1_3genE9ELNS1_11target_archE1100ELNS1_3gpuE3ELNS1_3repE0EEENS1_30default_config_static_selectorELNS0_4arch9wavefront6targetE1EEEvT1_
                                        ; -- End function
	.section	.AMDGPU.csdata,"",@progbits
; Kernel info:
; codeLenInByte = 0
; NumSgprs: 4
; NumVgprs: 0
; NumAgprs: 0
; TotalNumVgprs: 0
; ScratchSize: 0
; MemoryBound: 0
; FloatMode: 240
; IeeeMode: 1
; LDSByteSize: 0 bytes/workgroup (compile time only)
; SGPRBlocks: 0
; VGPRBlocks: 0
; NumSGPRsForWavesPerEU: 4
; NumVGPRsForWavesPerEU: 1
; AccumOffset: 4
; Occupancy: 8
; WaveLimiterHint : 0
; COMPUTE_PGM_RSRC2:SCRATCH_EN: 0
; COMPUTE_PGM_RSRC2:USER_SGPR: 6
; COMPUTE_PGM_RSRC2:TRAP_HANDLER: 0
; COMPUTE_PGM_RSRC2:TGID_X_EN: 1
; COMPUTE_PGM_RSRC2:TGID_Y_EN: 0
; COMPUTE_PGM_RSRC2:TGID_Z_EN: 0
; COMPUTE_PGM_RSRC2:TIDIG_COMP_CNT: 0
; COMPUTE_PGM_RSRC3_GFX90A:ACCUM_OFFSET: 0
; COMPUTE_PGM_RSRC3_GFX90A:TG_SPLIT: 0
	.section	.text._ZN7rocprim17ROCPRIM_400000_NS6detail17trampoline_kernelINS0_14default_configENS1_20scan_config_selectorIiEEZZNS1_9scan_implILNS1_25lookback_scan_determinismE0ELb0ELb0ES3_N6thrust23THRUST_200600_302600_NS6detail15normal_iteratorINS9_10device_ptrIiEEEESE_i11max_functorIiEiEEDaPvRmT3_T4_T5_mT6_P12ihipStream_tbENKUlT_T0_E_clISt17integral_constantIbLb1EEST_IbLb0EEEEDaSP_SQ_EUlSP_E0_NS1_11comp_targetILNS1_3genE8ELNS1_11target_archE1030ELNS1_3gpuE2ELNS1_3repE0EEENS1_30default_config_static_selectorELNS0_4arch9wavefront6targetE1EEEvT1_,"axG",@progbits,_ZN7rocprim17ROCPRIM_400000_NS6detail17trampoline_kernelINS0_14default_configENS1_20scan_config_selectorIiEEZZNS1_9scan_implILNS1_25lookback_scan_determinismE0ELb0ELb0ES3_N6thrust23THRUST_200600_302600_NS6detail15normal_iteratorINS9_10device_ptrIiEEEESE_i11max_functorIiEiEEDaPvRmT3_T4_T5_mT6_P12ihipStream_tbENKUlT_T0_E_clISt17integral_constantIbLb1EEST_IbLb0EEEEDaSP_SQ_EUlSP_E0_NS1_11comp_targetILNS1_3genE8ELNS1_11target_archE1030ELNS1_3gpuE2ELNS1_3repE0EEENS1_30default_config_static_selectorELNS0_4arch9wavefront6targetE1EEEvT1_,comdat
	.protected	_ZN7rocprim17ROCPRIM_400000_NS6detail17trampoline_kernelINS0_14default_configENS1_20scan_config_selectorIiEEZZNS1_9scan_implILNS1_25lookback_scan_determinismE0ELb0ELb0ES3_N6thrust23THRUST_200600_302600_NS6detail15normal_iteratorINS9_10device_ptrIiEEEESE_i11max_functorIiEiEEDaPvRmT3_T4_T5_mT6_P12ihipStream_tbENKUlT_T0_E_clISt17integral_constantIbLb1EEST_IbLb0EEEEDaSP_SQ_EUlSP_E0_NS1_11comp_targetILNS1_3genE8ELNS1_11target_archE1030ELNS1_3gpuE2ELNS1_3repE0EEENS1_30default_config_static_selectorELNS0_4arch9wavefront6targetE1EEEvT1_ ; -- Begin function _ZN7rocprim17ROCPRIM_400000_NS6detail17trampoline_kernelINS0_14default_configENS1_20scan_config_selectorIiEEZZNS1_9scan_implILNS1_25lookback_scan_determinismE0ELb0ELb0ES3_N6thrust23THRUST_200600_302600_NS6detail15normal_iteratorINS9_10device_ptrIiEEEESE_i11max_functorIiEiEEDaPvRmT3_T4_T5_mT6_P12ihipStream_tbENKUlT_T0_E_clISt17integral_constantIbLb1EEST_IbLb0EEEEDaSP_SQ_EUlSP_E0_NS1_11comp_targetILNS1_3genE8ELNS1_11target_archE1030ELNS1_3gpuE2ELNS1_3repE0EEENS1_30default_config_static_selectorELNS0_4arch9wavefront6targetE1EEEvT1_
	.globl	_ZN7rocprim17ROCPRIM_400000_NS6detail17trampoline_kernelINS0_14default_configENS1_20scan_config_selectorIiEEZZNS1_9scan_implILNS1_25lookback_scan_determinismE0ELb0ELb0ES3_N6thrust23THRUST_200600_302600_NS6detail15normal_iteratorINS9_10device_ptrIiEEEESE_i11max_functorIiEiEEDaPvRmT3_T4_T5_mT6_P12ihipStream_tbENKUlT_T0_E_clISt17integral_constantIbLb1EEST_IbLb0EEEEDaSP_SQ_EUlSP_E0_NS1_11comp_targetILNS1_3genE8ELNS1_11target_archE1030ELNS1_3gpuE2ELNS1_3repE0EEENS1_30default_config_static_selectorELNS0_4arch9wavefront6targetE1EEEvT1_
	.p2align	8
	.type	_ZN7rocprim17ROCPRIM_400000_NS6detail17trampoline_kernelINS0_14default_configENS1_20scan_config_selectorIiEEZZNS1_9scan_implILNS1_25lookback_scan_determinismE0ELb0ELb0ES3_N6thrust23THRUST_200600_302600_NS6detail15normal_iteratorINS9_10device_ptrIiEEEESE_i11max_functorIiEiEEDaPvRmT3_T4_T5_mT6_P12ihipStream_tbENKUlT_T0_E_clISt17integral_constantIbLb1EEST_IbLb0EEEEDaSP_SQ_EUlSP_E0_NS1_11comp_targetILNS1_3genE8ELNS1_11target_archE1030ELNS1_3gpuE2ELNS1_3repE0EEENS1_30default_config_static_selectorELNS0_4arch9wavefront6targetE1EEEvT1_,@function
_ZN7rocprim17ROCPRIM_400000_NS6detail17trampoline_kernelINS0_14default_configENS1_20scan_config_selectorIiEEZZNS1_9scan_implILNS1_25lookback_scan_determinismE0ELb0ELb0ES3_N6thrust23THRUST_200600_302600_NS6detail15normal_iteratorINS9_10device_ptrIiEEEESE_i11max_functorIiEiEEDaPvRmT3_T4_T5_mT6_P12ihipStream_tbENKUlT_T0_E_clISt17integral_constantIbLb1EEST_IbLb0EEEEDaSP_SQ_EUlSP_E0_NS1_11comp_targetILNS1_3genE8ELNS1_11target_archE1030ELNS1_3gpuE2ELNS1_3repE0EEENS1_30default_config_static_selectorELNS0_4arch9wavefront6targetE1EEEvT1_: ; @_ZN7rocprim17ROCPRIM_400000_NS6detail17trampoline_kernelINS0_14default_configENS1_20scan_config_selectorIiEEZZNS1_9scan_implILNS1_25lookback_scan_determinismE0ELb0ELb0ES3_N6thrust23THRUST_200600_302600_NS6detail15normal_iteratorINS9_10device_ptrIiEEEESE_i11max_functorIiEiEEDaPvRmT3_T4_T5_mT6_P12ihipStream_tbENKUlT_T0_E_clISt17integral_constantIbLb1EEST_IbLb0EEEEDaSP_SQ_EUlSP_E0_NS1_11comp_targetILNS1_3genE8ELNS1_11target_archE1030ELNS1_3gpuE2ELNS1_3repE0EEENS1_30default_config_static_selectorELNS0_4arch9wavefront6targetE1EEEvT1_
; %bb.0:
	.section	.rodata,"a",@progbits
	.p2align	6, 0x0
	.amdhsa_kernel _ZN7rocprim17ROCPRIM_400000_NS6detail17trampoline_kernelINS0_14default_configENS1_20scan_config_selectorIiEEZZNS1_9scan_implILNS1_25lookback_scan_determinismE0ELb0ELb0ES3_N6thrust23THRUST_200600_302600_NS6detail15normal_iteratorINS9_10device_ptrIiEEEESE_i11max_functorIiEiEEDaPvRmT3_T4_T5_mT6_P12ihipStream_tbENKUlT_T0_E_clISt17integral_constantIbLb1EEST_IbLb0EEEEDaSP_SQ_EUlSP_E0_NS1_11comp_targetILNS1_3genE8ELNS1_11target_archE1030ELNS1_3gpuE2ELNS1_3repE0EEENS1_30default_config_static_selectorELNS0_4arch9wavefront6targetE1EEEvT1_
		.amdhsa_group_segment_fixed_size 0
		.amdhsa_private_segment_fixed_size 0
		.amdhsa_kernarg_size 32
		.amdhsa_user_sgpr_count 6
		.amdhsa_user_sgpr_private_segment_buffer 1
		.amdhsa_user_sgpr_dispatch_ptr 0
		.amdhsa_user_sgpr_queue_ptr 0
		.amdhsa_user_sgpr_kernarg_segment_ptr 1
		.amdhsa_user_sgpr_dispatch_id 0
		.amdhsa_user_sgpr_flat_scratch_init 0
		.amdhsa_user_sgpr_kernarg_preload_length 0
		.amdhsa_user_sgpr_kernarg_preload_offset 0
		.amdhsa_user_sgpr_private_segment_size 0
		.amdhsa_uses_dynamic_stack 0
		.amdhsa_system_sgpr_private_segment_wavefront_offset 0
		.amdhsa_system_sgpr_workgroup_id_x 1
		.amdhsa_system_sgpr_workgroup_id_y 0
		.amdhsa_system_sgpr_workgroup_id_z 0
		.amdhsa_system_sgpr_workgroup_info 0
		.amdhsa_system_vgpr_workitem_id 0
		.amdhsa_next_free_vgpr 1
		.amdhsa_next_free_sgpr 0
		.amdhsa_accum_offset 4
		.amdhsa_reserve_vcc 0
		.amdhsa_reserve_flat_scratch 0
		.amdhsa_float_round_mode_32 0
		.amdhsa_float_round_mode_16_64 0
		.amdhsa_float_denorm_mode_32 3
		.amdhsa_float_denorm_mode_16_64 3
		.amdhsa_dx10_clamp 1
		.amdhsa_ieee_mode 1
		.amdhsa_fp16_overflow 0
		.amdhsa_tg_split 0
		.amdhsa_exception_fp_ieee_invalid_op 0
		.amdhsa_exception_fp_denorm_src 0
		.amdhsa_exception_fp_ieee_div_zero 0
		.amdhsa_exception_fp_ieee_overflow 0
		.amdhsa_exception_fp_ieee_underflow 0
		.amdhsa_exception_fp_ieee_inexact 0
		.amdhsa_exception_int_div_zero 0
	.end_amdhsa_kernel
	.section	.text._ZN7rocprim17ROCPRIM_400000_NS6detail17trampoline_kernelINS0_14default_configENS1_20scan_config_selectorIiEEZZNS1_9scan_implILNS1_25lookback_scan_determinismE0ELb0ELb0ES3_N6thrust23THRUST_200600_302600_NS6detail15normal_iteratorINS9_10device_ptrIiEEEESE_i11max_functorIiEiEEDaPvRmT3_T4_T5_mT6_P12ihipStream_tbENKUlT_T0_E_clISt17integral_constantIbLb1EEST_IbLb0EEEEDaSP_SQ_EUlSP_E0_NS1_11comp_targetILNS1_3genE8ELNS1_11target_archE1030ELNS1_3gpuE2ELNS1_3repE0EEENS1_30default_config_static_selectorELNS0_4arch9wavefront6targetE1EEEvT1_,"axG",@progbits,_ZN7rocprim17ROCPRIM_400000_NS6detail17trampoline_kernelINS0_14default_configENS1_20scan_config_selectorIiEEZZNS1_9scan_implILNS1_25lookback_scan_determinismE0ELb0ELb0ES3_N6thrust23THRUST_200600_302600_NS6detail15normal_iteratorINS9_10device_ptrIiEEEESE_i11max_functorIiEiEEDaPvRmT3_T4_T5_mT6_P12ihipStream_tbENKUlT_T0_E_clISt17integral_constantIbLb1EEST_IbLb0EEEEDaSP_SQ_EUlSP_E0_NS1_11comp_targetILNS1_3genE8ELNS1_11target_archE1030ELNS1_3gpuE2ELNS1_3repE0EEENS1_30default_config_static_selectorELNS0_4arch9wavefront6targetE1EEEvT1_,comdat
.Lfunc_end2755:
	.size	_ZN7rocprim17ROCPRIM_400000_NS6detail17trampoline_kernelINS0_14default_configENS1_20scan_config_selectorIiEEZZNS1_9scan_implILNS1_25lookback_scan_determinismE0ELb0ELb0ES3_N6thrust23THRUST_200600_302600_NS6detail15normal_iteratorINS9_10device_ptrIiEEEESE_i11max_functorIiEiEEDaPvRmT3_T4_T5_mT6_P12ihipStream_tbENKUlT_T0_E_clISt17integral_constantIbLb1EEST_IbLb0EEEEDaSP_SQ_EUlSP_E0_NS1_11comp_targetILNS1_3genE8ELNS1_11target_archE1030ELNS1_3gpuE2ELNS1_3repE0EEENS1_30default_config_static_selectorELNS0_4arch9wavefront6targetE1EEEvT1_, .Lfunc_end2755-_ZN7rocprim17ROCPRIM_400000_NS6detail17trampoline_kernelINS0_14default_configENS1_20scan_config_selectorIiEEZZNS1_9scan_implILNS1_25lookback_scan_determinismE0ELb0ELb0ES3_N6thrust23THRUST_200600_302600_NS6detail15normal_iteratorINS9_10device_ptrIiEEEESE_i11max_functorIiEiEEDaPvRmT3_T4_T5_mT6_P12ihipStream_tbENKUlT_T0_E_clISt17integral_constantIbLb1EEST_IbLb0EEEEDaSP_SQ_EUlSP_E0_NS1_11comp_targetILNS1_3genE8ELNS1_11target_archE1030ELNS1_3gpuE2ELNS1_3repE0EEENS1_30default_config_static_selectorELNS0_4arch9wavefront6targetE1EEEvT1_
                                        ; -- End function
	.section	.AMDGPU.csdata,"",@progbits
; Kernel info:
; codeLenInByte = 0
; NumSgprs: 4
; NumVgprs: 0
; NumAgprs: 0
; TotalNumVgprs: 0
; ScratchSize: 0
; MemoryBound: 0
; FloatMode: 240
; IeeeMode: 1
; LDSByteSize: 0 bytes/workgroup (compile time only)
; SGPRBlocks: 0
; VGPRBlocks: 0
; NumSGPRsForWavesPerEU: 4
; NumVGPRsForWavesPerEU: 1
; AccumOffset: 4
; Occupancy: 8
; WaveLimiterHint : 0
; COMPUTE_PGM_RSRC2:SCRATCH_EN: 0
; COMPUTE_PGM_RSRC2:USER_SGPR: 6
; COMPUTE_PGM_RSRC2:TRAP_HANDLER: 0
; COMPUTE_PGM_RSRC2:TGID_X_EN: 1
; COMPUTE_PGM_RSRC2:TGID_Y_EN: 0
; COMPUTE_PGM_RSRC2:TGID_Z_EN: 0
; COMPUTE_PGM_RSRC2:TIDIG_COMP_CNT: 0
; COMPUTE_PGM_RSRC3_GFX90A:ACCUM_OFFSET: 0
; COMPUTE_PGM_RSRC3_GFX90A:TG_SPLIT: 0
	.section	.text._ZN7rocprim17ROCPRIM_400000_NS6detail17trampoline_kernelINS0_14default_configENS1_20scan_config_selectorIiEEZZNS1_9scan_implILNS1_25lookback_scan_determinismE0ELb0ELb0ES3_N6thrust23THRUST_200600_302600_NS6detail15normal_iteratorINS9_10device_ptrIiEEEESE_i11max_functorIiEiEEDaPvRmT3_T4_T5_mT6_P12ihipStream_tbENKUlT_T0_E_clISt17integral_constantIbLb0EEST_IbLb1EEEEDaSP_SQ_EUlSP_E_NS1_11comp_targetILNS1_3genE0ELNS1_11target_archE4294967295ELNS1_3gpuE0ELNS1_3repE0EEENS1_30default_config_static_selectorELNS0_4arch9wavefront6targetE1EEEvT1_,"axG",@progbits,_ZN7rocprim17ROCPRIM_400000_NS6detail17trampoline_kernelINS0_14default_configENS1_20scan_config_selectorIiEEZZNS1_9scan_implILNS1_25lookback_scan_determinismE0ELb0ELb0ES3_N6thrust23THRUST_200600_302600_NS6detail15normal_iteratorINS9_10device_ptrIiEEEESE_i11max_functorIiEiEEDaPvRmT3_T4_T5_mT6_P12ihipStream_tbENKUlT_T0_E_clISt17integral_constantIbLb0EEST_IbLb1EEEEDaSP_SQ_EUlSP_E_NS1_11comp_targetILNS1_3genE0ELNS1_11target_archE4294967295ELNS1_3gpuE0ELNS1_3repE0EEENS1_30default_config_static_selectorELNS0_4arch9wavefront6targetE1EEEvT1_,comdat
	.protected	_ZN7rocprim17ROCPRIM_400000_NS6detail17trampoline_kernelINS0_14default_configENS1_20scan_config_selectorIiEEZZNS1_9scan_implILNS1_25lookback_scan_determinismE0ELb0ELb0ES3_N6thrust23THRUST_200600_302600_NS6detail15normal_iteratorINS9_10device_ptrIiEEEESE_i11max_functorIiEiEEDaPvRmT3_T4_T5_mT6_P12ihipStream_tbENKUlT_T0_E_clISt17integral_constantIbLb0EEST_IbLb1EEEEDaSP_SQ_EUlSP_E_NS1_11comp_targetILNS1_3genE0ELNS1_11target_archE4294967295ELNS1_3gpuE0ELNS1_3repE0EEENS1_30default_config_static_selectorELNS0_4arch9wavefront6targetE1EEEvT1_ ; -- Begin function _ZN7rocprim17ROCPRIM_400000_NS6detail17trampoline_kernelINS0_14default_configENS1_20scan_config_selectorIiEEZZNS1_9scan_implILNS1_25lookback_scan_determinismE0ELb0ELb0ES3_N6thrust23THRUST_200600_302600_NS6detail15normal_iteratorINS9_10device_ptrIiEEEESE_i11max_functorIiEiEEDaPvRmT3_T4_T5_mT6_P12ihipStream_tbENKUlT_T0_E_clISt17integral_constantIbLb0EEST_IbLb1EEEEDaSP_SQ_EUlSP_E_NS1_11comp_targetILNS1_3genE0ELNS1_11target_archE4294967295ELNS1_3gpuE0ELNS1_3repE0EEENS1_30default_config_static_selectorELNS0_4arch9wavefront6targetE1EEEvT1_
	.globl	_ZN7rocprim17ROCPRIM_400000_NS6detail17trampoline_kernelINS0_14default_configENS1_20scan_config_selectorIiEEZZNS1_9scan_implILNS1_25lookback_scan_determinismE0ELb0ELb0ES3_N6thrust23THRUST_200600_302600_NS6detail15normal_iteratorINS9_10device_ptrIiEEEESE_i11max_functorIiEiEEDaPvRmT3_T4_T5_mT6_P12ihipStream_tbENKUlT_T0_E_clISt17integral_constantIbLb0EEST_IbLb1EEEEDaSP_SQ_EUlSP_E_NS1_11comp_targetILNS1_3genE0ELNS1_11target_archE4294967295ELNS1_3gpuE0ELNS1_3repE0EEENS1_30default_config_static_selectorELNS0_4arch9wavefront6targetE1EEEvT1_
	.p2align	8
	.type	_ZN7rocprim17ROCPRIM_400000_NS6detail17trampoline_kernelINS0_14default_configENS1_20scan_config_selectorIiEEZZNS1_9scan_implILNS1_25lookback_scan_determinismE0ELb0ELb0ES3_N6thrust23THRUST_200600_302600_NS6detail15normal_iteratorINS9_10device_ptrIiEEEESE_i11max_functorIiEiEEDaPvRmT3_T4_T5_mT6_P12ihipStream_tbENKUlT_T0_E_clISt17integral_constantIbLb0EEST_IbLb1EEEEDaSP_SQ_EUlSP_E_NS1_11comp_targetILNS1_3genE0ELNS1_11target_archE4294967295ELNS1_3gpuE0ELNS1_3repE0EEENS1_30default_config_static_selectorELNS0_4arch9wavefront6targetE1EEEvT1_,@function
_ZN7rocprim17ROCPRIM_400000_NS6detail17trampoline_kernelINS0_14default_configENS1_20scan_config_selectorIiEEZZNS1_9scan_implILNS1_25lookback_scan_determinismE0ELb0ELb0ES3_N6thrust23THRUST_200600_302600_NS6detail15normal_iteratorINS9_10device_ptrIiEEEESE_i11max_functorIiEiEEDaPvRmT3_T4_T5_mT6_P12ihipStream_tbENKUlT_T0_E_clISt17integral_constantIbLb0EEST_IbLb1EEEEDaSP_SQ_EUlSP_E_NS1_11comp_targetILNS1_3genE0ELNS1_11target_archE4294967295ELNS1_3gpuE0ELNS1_3repE0EEENS1_30default_config_static_selectorELNS0_4arch9wavefront6targetE1EEEvT1_: ; @_ZN7rocprim17ROCPRIM_400000_NS6detail17trampoline_kernelINS0_14default_configENS1_20scan_config_selectorIiEEZZNS1_9scan_implILNS1_25lookback_scan_determinismE0ELb0ELb0ES3_N6thrust23THRUST_200600_302600_NS6detail15normal_iteratorINS9_10device_ptrIiEEEESE_i11max_functorIiEiEEDaPvRmT3_T4_T5_mT6_P12ihipStream_tbENKUlT_T0_E_clISt17integral_constantIbLb0EEST_IbLb1EEEEDaSP_SQ_EUlSP_E_NS1_11comp_targetILNS1_3genE0ELNS1_11target_archE4294967295ELNS1_3gpuE0ELNS1_3repE0EEENS1_30default_config_static_selectorELNS0_4arch9wavefront6targetE1EEEvT1_
; %bb.0:
	.section	.rodata,"a",@progbits
	.p2align	6, 0x0
	.amdhsa_kernel _ZN7rocprim17ROCPRIM_400000_NS6detail17trampoline_kernelINS0_14default_configENS1_20scan_config_selectorIiEEZZNS1_9scan_implILNS1_25lookback_scan_determinismE0ELb0ELb0ES3_N6thrust23THRUST_200600_302600_NS6detail15normal_iteratorINS9_10device_ptrIiEEEESE_i11max_functorIiEiEEDaPvRmT3_T4_T5_mT6_P12ihipStream_tbENKUlT_T0_E_clISt17integral_constantIbLb0EEST_IbLb1EEEEDaSP_SQ_EUlSP_E_NS1_11comp_targetILNS1_3genE0ELNS1_11target_archE4294967295ELNS1_3gpuE0ELNS1_3repE0EEENS1_30default_config_static_selectorELNS0_4arch9wavefront6targetE1EEEvT1_
		.amdhsa_group_segment_fixed_size 0
		.amdhsa_private_segment_fixed_size 0
		.amdhsa_kernarg_size 96
		.amdhsa_user_sgpr_count 6
		.amdhsa_user_sgpr_private_segment_buffer 1
		.amdhsa_user_sgpr_dispatch_ptr 0
		.amdhsa_user_sgpr_queue_ptr 0
		.amdhsa_user_sgpr_kernarg_segment_ptr 1
		.amdhsa_user_sgpr_dispatch_id 0
		.amdhsa_user_sgpr_flat_scratch_init 0
		.amdhsa_user_sgpr_kernarg_preload_length 0
		.amdhsa_user_sgpr_kernarg_preload_offset 0
		.amdhsa_user_sgpr_private_segment_size 0
		.amdhsa_uses_dynamic_stack 0
		.amdhsa_system_sgpr_private_segment_wavefront_offset 0
		.amdhsa_system_sgpr_workgroup_id_x 1
		.amdhsa_system_sgpr_workgroup_id_y 0
		.amdhsa_system_sgpr_workgroup_id_z 0
		.amdhsa_system_sgpr_workgroup_info 0
		.amdhsa_system_vgpr_workitem_id 0
		.amdhsa_next_free_vgpr 1
		.amdhsa_next_free_sgpr 0
		.amdhsa_accum_offset 4
		.amdhsa_reserve_vcc 0
		.amdhsa_reserve_flat_scratch 0
		.amdhsa_float_round_mode_32 0
		.amdhsa_float_round_mode_16_64 0
		.amdhsa_float_denorm_mode_32 3
		.amdhsa_float_denorm_mode_16_64 3
		.amdhsa_dx10_clamp 1
		.amdhsa_ieee_mode 1
		.amdhsa_fp16_overflow 0
		.amdhsa_tg_split 0
		.amdhsa_exception_fp_ieee_invalid_op 0
		.amdhsa_exception_fp_denorm_src 0
		.amdhsa_exception_fp_ieee_div_zero 0
		.amdhsa_exception_fp_ieee_overflow 0
		.amdhsa_exception_fp_ieee_underflow 0
		.amdhsa_exception_fp_ieee_inexact 0
		.amdhsa_exception_int_div_zero 0
	.end_amdhsa_kernel
	.section	.text._ZN7rocprim17ROCPRIM_400000_NS6detail17trampoline_kernelINS0_14default_configENS1_20scan_config_selectorIiEEZZNS1_9scan_implILNS1_25lookback_scan_determinismE0ELb0ELb0ES3_N6thrust23THRUST_200600_302600_NS6detail15normal_iteratorINS9_10device_ptrIiEEEESE_i11max_functorIiEiEEDaPvRmT3_T4_T5_mT6_P12ihipStream_tbENKUlT_T0_E_clISt17integral_constantIbLb0EEST_IbLb1EEEEDaSP_SQ_EUlSP_E_NS1_11comp_targetILNS1_3genE0ELNS1_11target_archE4294967295ELNS1_3gpuE0ELNS1_3repE0EEENS1_30default_config_static_selectorELNS0_4arch9wavefront6targetE1EEEvT1_,"axG",@progbits,_ZN7rocprim17ROCPRIM_400000_NS6detail17trampoline_kernelINS0_14default_configENS1_20scan_config_selectorIiEEZZNS1_9scan_implILNS1_25lookback_scan_determinismE0ELb0ELb0ES3_N6thrust23THRUST_200600_302600_NS6detail15normal_iteratorINS9_10device_ptrIiEEEESE_i11max_functorIiEiEEDaPvRmT3_T4_T5_mT6_P12ihipStream_tbENKUlT_T0_E_clISt17integral_constantIbLb0EEST_IbLb1EEEEDaSP_SQ_EUlSP_E_NS1_11comp_targetILNS1_3genE0ELNS1_11target_archE4294967295ELNS1_3gpuE0ELNS1_3repE0EEENS1_30default_config_static_selectorELNS0_4arch9wavefront6targetE1EEEvT1_,comdat
.Lfunc_end2756:
	.size	_ZN7rocprim17ROCPRIM_400000_NS6detail17trampoline_kernelINS0_14default_configENS1_20scan_config_selectorIiEEZZNS1_9scan_implILNS1_25lookback_scan_determinismE0ELb0ELb0ES3_N6thrust23THRUST_200600_302600_NS6detail15normal_iteratorINS9_10device_ptrIiEEEESE_i11max_functorIiEiEEDaPvRmT3_T4_T5_mT6_P12ihipStream_tbENKUlT_T0_E_clISt17integral_constantIbLb0EEST_IbLb1EEEEDaSP_SQ_EUlSP_E_NS1_11comp_targetILNS1_3genE0ELNS1_11target_archE4294967295ELNS1_3gpuE0ELNS1_3repE0EEENS1_30default_config_static_selectorELNS0_4arch9wavefront6targetE1EEEvT1_, .Lfunc_end2756-_ZN7rocprim17ROCPRIM_400000_NS6detail17trampoline_kernelINS0_14default_configENS1_20scan_config_selectorIiEEZZNS1_9scan_implILNS1_25lookback_scan_determinismE0ELb0ELb0ES3_N6thrust23THRUST_200600_302600_NS6detail15normal_iteratorINS9_10device_ptrIiEEEESE_i11max_functorIiEiEEDaPvRmT3_T4_T5_mT6_P12ihipStream_tbENKUlT_T0_E_clISt17integral_constantIbLb0EEST_IbLb1EEEEDaSP_SQ_EUlSP_E_NS1_11comp_targetILNS1_3genE0ELNS1_11target_archE4294967295ELNS1_3gpuE0ELNS1_3repE0EEENS1_30default_config_static_selectorELNS0_4arch9wavefront6targetE1EEEvT1_
                                        ; -- End function
	.section	.AMDGPU.csdata,"",@progbits
; Kernel info:
; codeLenInByte = 0
; NumSgprs: 4
; NumVgprs: 0
; NumAgprs: 0
; TotalNumVgprs: 0
; ScratchSize: 0
; MemoryBound: 0
; FloatMode: 240
; IeeeMode: 1
; LDSByteSize: 0 bytes/workgroup (compile time only)
; SGPRBlocks: 0
; VGPRBlocks: 0
; NumSGPRsForWavesPerEU: 4
; NumVGPRsForWavesPerEU: 1
; AccumOffset: 4
; Occupancy: 8
; WaveLimiterHint : 0
; COMPUTE_PGM_RSRC2:SCRATCH_EN: 0
; COMPUTE_PGM_RSRC2:USER_SGPR: 6
; COMPUTE_PGM_RSRC2:TRAP_HANDLER: 0
; COMPUTE_PGM_RSRC2:TGID_X_EN: 1
; COMPUTE_PGM_RSRC2:TGID_Y_EN: 0
; COMPUTE_PGM_RSRC2:TGID_Z_EN: 0
; COMPUTE_PGM_RSRC2:TIDIG_COMP_CNT: 0
; COMPUTE_PGM_RSRC3_GFX90A:ACCUM_OFFSET: 0
; COMPUTE_PGM_RSRC3_GFX90A:TG_SPLIT: 0
	.section	.text._ZN7rocprim17ROCPRIM_400000_NS6detail17trampoline_kernelINS0_14default_configENS1_20scan_config_selectorIiEEZZNS1_9scan_implILNS1_25lookback_scan_determinismE0ELb0ELb0ES3_N6thrust23THRUST_200600_302600_NS6detail15normal_iteratorINS9_10device_ptrIiEEEESE_i11max_functorIiEiEEDaPvRmT3_T4_T5_mT6_P12ihipStream_tbENKUlT_T0_E_clISt17integral_constantIbLb0EEST_IbLb1EEEEDaSP_SQ_EUlSP_E_NS1_11comp_targetILNS1_3genE5ELNS1_11target_archE942ELNS1_3gpuE9ELNS1_3repE0EEENS1_30default_config_static_selectorELNS0_4arch9wavefront6targetE1EEEvT1_,"axG",@progbits,_ZN7rocprim17ROCPRIM_400000_NS6detail17trampoline_kernelINS0_14default_configENS1_20scan_config_selectorIiEEZZNS1_9scan_implILNS1_25lookback_scan_determinismE0ELb0ELb0ES3_N6thrust23THRUST_200600_302600_NS6detail15normal_iteratorINS9_10device_ptrIiEEEESE_i11max_functorIiEiEEDaPvRmT3_T4_T5_mT6_P12ihipStream_tbENKUlT_T0_E_clISt17integral_constantIbLb0EEST_IbLb1EEEEDaSP_SQ_EUlSP_E_NS1_11comp_targetILNS1_3genE5ELNS1_11target_archE942ELNS1_3gpuE9ELNS1_3repE0EEENS1_30default_config_static_selectorELNS0_4arch9wavefront6targetE1EEEvT1_,comdat
	.protected	_ZN7rocprim17ROCPRIM_400000_NS6detail17trampoline_kernelINS0_14default_configENS1_20scan_config_selectorIiEEZZNS1_9scan_implILNS1_25lookback_scan_determinismE0ELb0ELb0ES3_N6thrust23THRUST_200600_302600_NS6detail15normal_iteratorINS9_10device_ptrIiEEEESE_i11max_functorIiEiEEDaPvRmT3_T4_T5_mT6_P12ihipStream_tbENKUlT_T0_E_clISt17integral_constantIbLb0EEST_IbLb1EEEEDaSP_SQ_EUlSP_E_NS1_11comp_targetILNS1_3genE5ELNS1_11target_archE942ELNS1_3gpuE9ELNS1_3repE0EEENS1_30default_config_static_selectorELNS0_4arch9wavefront6targetE1EEEvT1_ ; -- Begin function _ZN7rocprim17ROCPRIM_400000_NS6detail17trampoline_kernelINS0_14default_configENS1_20scan_config_selectorIiEEZZNS1_9scan_implILNS1_25lookback_scan_determinismE0ELb0ELb0ES3_N6thrust23THRUST_200600_302600_NS6detail15normal_iteratorINS9_10device_ptrIiEEEESE_i11max_functorIiEiEEDaPvRmT3_T4_T5_mT6_P12ihipStream_tbENKUlT_T0_E_clISt17integral_constantIbLb0EEST_IbLb1EEEEDaSP_SQ_EUlSP_E_NS1_11comp_targetILNS1_3genE5ELNS1_11target_archE942ELNS1_3gpuE9ELNS1_3repE0EEENS1_30default_config_static_selectorELNS0_4arch9wavefront6targetE1EEEvT1_
	.globl	_ZN7rocprim17ROCPRIM_400000_NS6detail17trampoline_kernelINS0_14default_configENS1_20scan_config_selectorIiEEZZNS1_9scan_implILNS1_25lookback_scan_determinismE0ELb0ELb0ES3_N6thrust23THRUST_200600_302600_NS6detail15normal_iteratorINS9_10device_ptrIiEEEESE_i11max_functorIiEiEEDaPvRmT3_T4_T5_mT6_P12ihipStream_tbENKUlT_T0_E_clISt17integral_constantIbLb0EEST_IbLb1EEEEDaSP_SQ_EUlSP_E_NS1_11comp_targetILNS1_3genE5ELNS1_11target_archE942ELNS1_3gpuE9ELNS1_3repE0EEENS1_30default_config_static_selectorELNS0_4arch9wavefront6targetE1EEEvT1_
	.p2align	8
	.type	_ZN7rocprim17ROCPRIM_400000_NS6detail17trampoline_kernelINS0_14default_configENS1_20scan_config_selectorIiEEZZNS1_9scan_implILNS1_25lookback_scan_determinismE0ELb0ELb0ES3_N6thrust23THRUST_200600_302600_NS6detail15normal_iteratorINS9_10device_ptrIiEEEESE_i11max_functorIiEiEEDaPvRmT3_T4_T5_mT6_P12ihipStream_tbENKUlT_T0_E_clISt17integral_constantIbLb0EEST_IbLb1EEEEDaSP_SQ_EUlSP_E_NS1_11comp_targetILNS1_3genE5ELNS1_11target_archE942ELNS1_3gpuE9ELNS1_3repE0EEENS1_30default_config_static_selectorELNS0_4arch9wavefront6targetE1EEEvT1_,@function
_ZN7rocprim17ROCPRIM_400000_NS6detail17trampoline_kernelINS0_14default_configENS1_20scan_config_selectorIiEEZZNS1_9scan_implILNS1_25lookback_scan_determinismE0ELb0ELb0ES3_N6thrust23THRUST_200600_302600_NS6detail15normal_iteratorINS9_10device_ptrIiEEEESE_i11max_functorIiEiEEDaPvRmT3_T4_T5_mT6_P12ihipStream_tbENKUlT_T0_E_clISt17integral_constantIbLb0EEST_IbLb1EEEEDaSP_SQ_EUlSP_E_NS1_11comp_targetILNS1_3genE5ELNS1_11target_archE942ELNS1_3gpuE9ELNS1_3repE0EEENS1_30default_config_static_selectorELNS0_4arch9wavefront6targetE1EEEvT1_: ; @_ZN7rocprim17ROCPRIM_400000_NS6detail17trampoline_kernelINS0_14default_configENS1_20scan_config_selectorIiEEZZNS1_9scan_implILNS1_25lookback_scan_determinismE0ELb0ELb0ES3_N6thrust23THRUST_200600_302600_NS6detail15normal_iteratorINS9_10device_ptrIiEEEESE_i11max_functorIiEiEEDaPvRmT3_T4_T5_mT6_P12ihipStream_tbENKUlT_T0_E_clISt17integral_constantIbLb0EEST_IbLb1EEEEDaSP_SQ_EUlSP_E_NS1_11comp_targetILNS1_3genE5ELNS1_11target_archE942ELNS1_3gpuE9ELNS1_3repE0EEENS1_30default_config_static_selectorELNS0_4arch9wavefront6targetE1EEEvT1_
; %bb.0:
	.section	.rodata,"a",@progbits
	.p2align	6, 0x0
	.amdhsa_kernel _ZN7rocprim17ROCPRIM_400000_NS6detail17trampoline_kernelINS0_14default_configENS1_20scan_config_selectorIiEEZZNS1_9scan_implILNS1_25lookback_scan_determinismE0ELb0ELb0ES3_N6thrust23THRUST_200600_302600_NS6detail15normal_iteratorINS9_10device_ptrIiEEEESE_i11max_functorIiEiEEDaPvRmT3_T4_T5_mT6_P12ihipStream_tbENKUlT_T0_E_clISt17integral_constantIbLb0EEST_IbLb1EEEEDaSP_SQ_EUlSP_E_NS1_11comp_targetILNS1_3genE5ELNS1_11target_archE942ELNS1_3gpuE9ELNS1_3repE0EEENS1_30default_config_static_selectorELNS0_4arch9wavefront6targetE1EEEvT1_
		.amdhsa_group_segment_fixed_size 0
		.amdhsa_private_segment_fixed_size 0
		.amdhsa_kernarg_size 96
		.amdhsa_user_sgpr_count 6
		.amdhsa_user_sgpr_private_segment_buffer 1
		.amdhsa_user_sgpr_dispatch_ptr 0
		.amdhsa_user_sgpr_queue_ptr 0
		.amdhsa_user_sgpr_kernarg_segment_ptr 1
		.amdhsa_user_sgpr_dispatch_id 0
		.amdhsa_user_sgpr_flat_scratch_init 0
		.amdhsa_user_sgpr_kernarg_preload_length 0
		.amdhsa_user_sgpr_kernarg_preload_offset 0
		.amdhsa_user_sgpr_private_segment_size 0
		.amdhsa_uses_dynamic_stack 0
		.amdhsa_system_sgpr_private_segment_wavefront_offset 0
		.amdhsa_system_sgpr_workgroup_id_x 1
		.amdhsa_system_sgpr_workgroup_id_y 0
		.amdhsa_system_sgpr_workgroup_id_z 0
		.amdhsa_system_sgpr_workgroup_info 0
		.amdhsa_system_vgpr_workitem_id 0
		.amdhsa_next_free_vgpr 1
		.amdhsa_next_free_sgpr 0
		.amdhsa_accum_offset 4
		.amdhsa_reserve_vcc 0
		.amdhsa_reserve_flat_scratch 0
		.amdhsa_float_round_mode_32 0
		.amdhsa_float_round_mode_16_64 0
		.amdhsa_float_denorm_mode_32 3
		.amdhsa_float_denorm_mode_16_64 3
		.amdhsa_dx10_clamp 1
		.amdhsa_ieee_mode 1
		.amdhsa_fp16_overflow 0
		.amdhsa_tg_split 0
		.amdhsa_exception_fp_ieee_invalid_op 0
		.amdhsa_exception_fp_denorm_src 0
		.amdhsa_exception_fp_ieee_div_zero 0
		.amdhsa_exception_fp_ieee_overflow 0
		.amdhsa_exception_fp_ieee_underflow 0
		.amdhsa_exception_fp_ieee_inexact 0
		.amdhsa_exception_int_div_zero 0
	.end_amdhsa_kernel
	.section	.text._ZN7rocprim17ROCPRIM_400000_NS6detail17trampoline_kernelINS0_14default_configENS1_20scan_config_selectorIiEEZZNS1_9scan_implILNS1_25lookback_scan_determinismE0ELb0ELb0ES3_N6thrust23THRUST_200600_302600_NS6detail15normal_iteratorINS9_10device_ptrIiEEEESE_i11max_functorIiEiEEDaPvRmT3_T4_T5_mT6_P12ihipStream_tbENKUlT_T0_E_clISt17integral_constantIbLb0EEST_IbLb1EEEEDaSP_SQ_EUlSP_E_NS1_11comp_targetILNS1_3genE5ELNS1_11target_archE942ELNS1_3gpuE9ELNS1_3repE0EEENS1_30default_config_static_selectorELNS0_4arch9wavefront6targetE1EEEvT1_,"axG",@progbits,_ZN7rocprim17ROCPRIM_400000_NS6detail17trampoline_kernelINS0_14default_configENS1_20scan_config_selectorIiEEZZNS1_9scan_implILNS1_25lookback_scan_determinismE0ELb0ELb0ES3_N6thrust23THRUST_200600_302600_NS6detail15normal_iteratorINS9_10device_ptrIiEEEESE_i11max_functorIiEiEEDaPvRmT3_T4_T5_mT6_P12ihipStream_tbENKUlT_T0_E_clISt17integral_constantIbLb0EEST_IbLb1EEEEDaSP_SQ_EUlSP_E_NS1_11comp_targetILNS1_3genE5ELNS1_11target_archE942ELNS1_3gpuE9ELNS1_3repE0EEENS1_30default_config_static_selectorELNS0_4arch9wavefront6targetE1EEEvT1_,comdat
.Lfunc_end2757:
	.size	_ZN7rocprim17ROCPRIM_400000_NS6detail17trampoline_kernelINS0_14default_configENS1_20scan_config_selectorIiEEZZNS1_9scan_implILNS1_25lookback_scan_determinismE0ELb0ELb0ES3_N6thrust23THRUST_200600_302600_NS6detail15normal_iteratorINS9_10device_ptrIiEEEESE_i11max_functorIiEiEEDaPvRmT3_T4_T5_mT6_P12ihipStream_tbENKUlT_T0_E_clISt17integral_constantIbLb0EEST_IbLb1EEEEDaSP_SQ_EUlSP_E_NS1_11comp_targetILNS1_3genE5ELNS1_11target_archE942ELNS1_3gpuE9ELNS1_3repE0EEENS1_30default_config_static_selectorELNS0_4arch9wavefront6targetE1EEEvT1_, .Lfunc_end2757-_ZN7rocprim17ROCPRIM_400000_NS6detail17trampoline_kernelINS0_14default_configENS1_20scan_config_selectorIiEEZZNS1_9scan_implILNS1_25lookback_scan_determinismE0ELb0ELb0ES3_N6thrust23THRUST_200600_302600_NS6detail15normal_iteratorINS9_10device_ptrIiEEEESE_i11max_functorIiEiEEDaPvRmT3_T4_T5_mT6_P12ihipStream_tbENKUlT_T0_E_clISt17integral_constantIbLb0EEST_IbLb1EEEEDaSP_SQ_EUlSP_E_NS1_11comp_targetILNS1_3genE5ELNS1_11target_archE942ELNS1_3gpuE9ELNS1_3repE0EEENS1_30default_config_static_selectorELNS0_4arch9wavefront6targetE1EEEvT1_
                                        ; -- End function
	.section	.AMDGPU.csdata,"",@progbits
; Kernel info:
; codeLenInByte = 0
; NumSgprs: 4
; NumVgprs: 0
; NumAgprs: 0
; TotalNumVgprs: 0
; ScratchSize: 0
; MemoryBound: 0
; FloatMode: 240
; IeeeMode: 1
; LDSByteSize: 0 bytes/workgroup (compile time only)
; SGPRBlocks: 0
; VGPRBlocks: 0
; NumSGPRsForWavesPerEU: 4
; NumVGPRsForWavesPerEU: 1
; AccumOffset: 4
; Occupancy: 8
; WaveLimiterHint : 0
; COMPUTE_PGM_RSRC2:SCRATCH_EN: 0
; COMPUTE_PGM_RSRC2:USER_SGPR: 6
; COMPUTE_PGM_RSRC2:TRAP_HANDLER: 0
; COMPUTE_PGM_RSRC2:TGID_X_EN: 1
; COMPUTE_PGM_RSRC2:TGID_Y_EN: 0
; COMPUTE_PGM_RSRC2:TGID_Z_EN: 0
; COMPUTE_PGM_RSRC2:TIDIG_COMP_CNT: 0
; COMPUTE_PGM_RSRC3_GFX90A:ACCUM_OFFSET: 0
; COMPUTE_PGM_RSRC3_GFX90A:TG_SPLIT: 0
	.section	.text._ZN7rocprim17ROCPRIM_400000_NS6detail17trampoline_kernelINS0_14default_configENS1_20scan_config_selectorIiEEZZNS1_9scan_implILNS1_25lookback_scan_determinismE0ELb0ELb0ES3_N6thrust23THRUST_200600_302600_NS6detail15normal_iteratorINS9_10device_ptrIiEEEESE_i11max_functorIiEiEEDaPvRmT3_T4_T5_mT6_P12ihipStream_tbENKUlT_T0_E_clISt17integral_constantIbLb0EEST_IbLb1EEEEDaSP_SQ_EUlSP_E_NS1_11comp_targetILNS1_3genE4ELNS1_11target_archE910ELNS1_3gpuE8ELNS1_3repE0EEENS1_30default_config_static_selectorELNS0_4arch9wavefront6targetE1EEEvT1_,"axG",@progbits,_ZN7rocprim17ROCPRIM_400000_NS6detail17trampoline_kernelINS0_14default_configENS1_20scan_config_selectorIiEEZZNS1_9scan_implILNS1_25lookback_scan_determinismE0ELb0ELb0ES3_N6thrust23THRUST_200600_302600_NS6detail15normal_iteratorINS9_10device_ptrIiEEEESE_i11max_functorIiEiEEDaPvRmT3_T4_T5_mT6_P12ihipStream_tbENKUlT_T0_E_clISt17integral_constantIbLb0EEST_IbLb1EEEEDaSP_SQ_EUlSP_E_NS1_11comp_targetILNS1_3genE4ELNS1_11target_archE910ELNS1_3gpuE8ELNS1_3repE0EEENS1_30default_config_static_selectorELNS0_4arch9wavefront6targetE1EEEvT1_,comdat
	.protected	_ZN7rocprim17ROCPRIM_400000_NS6detail17trampoline_kernelINS0_14default_configENS1_20scan_config_selectorIiEEZZNS1_9scan_implILNS1_25lookback_scan_determinismE0ELb0ELb0ES3_N6thrust23THRUST_200600_302600_NS6detail15normal_iteratorINS9_10device_ptrIiEEEESE_i11max_functorIiEiEEDaPvRmT3_T4_T5_mT6_P12ihipStream_tbENKUlT_T0_E_clISt17integral_constantIbLb0EEST_IbLb1EEEEDaSP_SQ_EUlSP_E_NS1_11comp_targetILNS1_3genE4ELNS1_11target_archE910ELNS1_3gpuE8ELNS1_3repE0EEENS1_30default_config_static_selectorELNS0_4arch9wavefront6targetE1EEEvT1_ ; -- Begin function _ZN7rocprim17ROCPRIM_400000_NS6detail17trampoline_kernelINS0_14default_configENS1_20scan_config_selectorIiEEZZNS1_9scan_implILNS1_25lookback_scan_determinismE0ELb0ELb0ES3_N6thrust23THRUST_200600_302600_NS6detail15normal_iteratorINS9_10device_ptrIiEEEESE_i11max_functorIiEiEEDaPvRmT3_T4_T5_mT6_P12ihipStream_tbENKUlT_T0_E_clISt17integral_constantIbLb0EEST_IbLb1EEEEDaSP_SQ_EUlSP_E_NS1_11comp_targetILNS1_3genE4ELNS1_11target_archE910ELNS1_3gpuE8ELNS1_3repE0EEENS1_30default_config_static_selectorELNS0_4arch9wavefront6targetE1EEEvT1_
	.globl	_ZN7rocprim17ROCPRIM_400000_NS6detail17trampoline_kernelINS0_14default_configENS1_20scan_config_selectorIiEEZZNS1_9scan_implILNS1_25lookback_scan_determinismE0ELb0ELb0ES3_N6thrust23THRUST_200600_302600_NS6detail15normal_iteratorINS9_10device_ptrIiEEEESE_i11max_functorIiEiEEDaPvRmT3_T4_T5_mT6_P12ihipStream_tbENKUlT_T0_E_clISt17integral_constantIbLb0EEST_IbLb1EEEEDaSP_SQ_EUlSP_E_NS1_11comp_targetILNS1_3genE4ELNS1_11target_archE910ELNS1_3gpuE8ELNS1_3repE0EEENS1_30default_config_static_selectorELNS0_4arch9wavefront6targetE1EEEvT1_
	.p2align	8
	.type	_ZN7rocprim17ROCPRIM_400000_NS6detail17trampoline_kernelINS0_14default_configENS1_20scan_config_selectorIiEEZZNS1_9scan_implILNS1_25lookback_scan_determinismE0ELb0ELb0ES3_N6thrust23THRUST_200600_302600_NS6detail15normal_iteratorINS9_10device_ptrIiEEEESE_i11max_functorIiEiEEDaPvRmT3_T4_T5_mT6_P12ihipStream_tbENKUlT_T0_E_clISt17integral_constantIbLb0EEST_IbLb1EEEEDaSP_SQ_EUlSP_E_NS1_11comp_targetILNS1_3genE4ELNS1_11target_archE910ELNS1_3gpuE8ELNS1_3repE0EEENS1_30default_config_static_selectorELNS0_4arch9wavefront6targetE1EEEvT1_,@function
_ZN7rocprim17ROCPRIM_400000_NS6detail17trampoline_kernelINS0_14default_configENS1_20scan_config_selectorIiEEZZNS1_9scan_implILNS1_25lookback_scan_determinismE0ELb0ELb0ES3_N6thrust23THRUST_200600_302600_NS6detail15normal_iteratorINS9_10device_ptrIiEEEESE_i11max_functorIiEiEEDaPvRmT3_T4_T5_mT6_P12ihipStream_tbENKUlT_T0_E_clISt17integral_constantIbLb0EEST_IbLb1EEEEDaSP_SQ_EUlSP_E_NS1_11comp_targetILNS1_3genE4ELNS1_11target_archE910ELNS1_3gpuE8ELNS1_3repE0EEENS1_30default_config_static_selectorELNS0_4arch9wavefront6targetE1EEEvT1_: ; @_ZN7rocprim17ROCPRIM_400000_NS6detail17trampoline_kernelINS0_14default_configENS1_20scan_config_selectorIiEEZZNS1_9scan_implILNS1_25lookback_scan_determinismE0ELb0ELb0ES3_N6thrust23THRUST_200600_302600_NS6detail15normal_iteratorINS9_10device_ptrIiEEEESE_i11max_functorIiEiEEDaPvRmT3_T4_T5_mT6_P12ihipStream_tbENKUlT_T0_E_clISt17integral_constantIbLb0EEST_IbLb1EEEEDaSP_SQ_EUlSP_E_NS1_11comp_targetILNS1_3genE4ELNS1_11target_archE910ELNS1_3gpuE8ELNS1_3repE0EEENS1_30default_config_static_selectorELNS0_4arch9wavefront6targetE1EEEvT1_
; %bb.0:
	s_load_dwordx2 s[6:7], s[4:5], 0x28
	v_cmp_ne_u32_e64 s[0:1], 0, v0
	v_cmp_eq_u32_e64 s[2:3], 0, v0
	s_and_saveexec_b64 s[8:9], s[2:3]
	s_cbranch_execz .LBB2758_4
; %bb.1:
	s_mov_b64 s[12:13], exec
	v_mbcnt_lo_u32_b32 v1, s12, 0
	v_mbcnt_hi_u32_b32 v1, s13, v1
	v_cmp_eq_u32_e32 vcc, 0, v1
                                        ; implicit-def: $vgpr2
	s_and_saveexec_b64 s[10:11], vcc
	s_cbranch_execz .LBB2758_3
; %bb.2:
	s_load_dwordx2 s[14:15], s[4:5], 0x58
	s_bcnt1_i32_b64 s12, s[12:13]
	v_mov_b32_e32 v2, 0
	v_mov_b32_e32 v3, s12
	s_waitcnt lgkmcnt(0)
	global_atomic_add v2, v2, v3, s[14:15] glc
.LBB2758_3:
	s_or_b64 exec, exec, s[10:11]
	s_waitcnt vmcnt(0)
	v_readfirstlane_b32 s10, v2
	v_add_u32_e32 v1, s10, v1
	v_mov_b32_e32 v2, 0
	ds_write_b32 v2, v1
.LBB2758_4:
	s_or_b64 exec, exec, s[8:9]
	s_load_dwordx8 s[16:23], s[4:5], 0x0
	s_load_dword s24, s[4:5], 0x30
	s_load_dwordx8 s[8:15], s[4:5], 0x38
	v_mov_b32_e32 v1, 0
	s_waitcnt lgkmcnt(0)
	s_barrier
	ds_read_b32 v1, v1
	s_lshl_b64 s[18:19], s[18:19], 2
	s_add_u32 s25, s16, s18
	s_addc_u32 s26, s17, s19
	s_add_i32 s16, s24, -1
	s_mul_i32 s17, s16, 0x500
	s_sub_u32 s30, s22, s17
	s_waitcnt lgkmcnt(0)
	v_readfirstlane_b32 s33, v1
	s_subb_u32 s31, s23, 0
	s_mul_i32 s4, s33, 0x500
	s_mov_b32 s5, 0
	s_cmp_lg_u32 s33, s16
	s_cselect_b64 s[16:17], -1, 0
	s_lshl_b64 s[22:23], s[4:5], 2
	s_add_u32 s24, s25, s22
	s_addc_u32 s25, s26, s23
	s_mov_b64 s[4:5], -1
	s_and_b64 vcc, exec, s[16:17]
	v_lshlrev_b32_e32 v22, 2, v0
	s_barrier
	s_cbranch_vccz .LBB2758_6
; %bb.5:
	v_mov_b32_e32 v1, s25
	v_add_co_u32_e32 v2, vcc, s24, v22
	v_addc_co_u32_e32 v3, vcc, 0, v1, vcc
	flat_load_dword v1, v[2:3]
	flat_load_dword v4, v[2:3] offset:512
	flat_load_dword v5, v[2:3] offset:1024
	;; [unrolled: 1-line block ×7, first 2 shown]
	v_add_co_u32_e32 v2, vcc, 0x1000, v2
	v_addc_co_u32_e32 v3, vcc, 0, v3, vcc
	flat_load_dword v11, v[2:3]
	flat_load_dword v12, v[2:3] offset:512
	s_mov_b64 s[4:5], 0
	s_waitcnt vmcnt(0) lgkmcnt(0)
	ds_write2st64_b32 v22, v1, v4 offset1:2
	ds_write2st64_b32 v22, v5, v6 offset0:4 offset1:6
	ds_write2st64_b32 v22, v7, v8 offset0:8 offset1:10
	;; [unrolled: 1-line block ×4, first 2 shown]
	s_waitcnt lgkmcnt(0)
	s_barrier
.LBB2758_6:
	s_andn2_b64 vcc, exec, s[4:5]
	v_cmp_gt_u32_e64 s[4:5], s30, v0
	s_cbranch_vccnz .LBB2758_28
; %bb.7:
	v_pk_mov_b32 v[2:3], s[24:25], s[24:25] op_sel:[0,1]
	flat_load_dword v1, v[2:3]
	s_waitcnt vmcnt(0) lgkmcnt(0)
	v_mov_b32_e32 v2, v1
	v_mov_b32_e32 v3, v1
	;; [unrolled: 1-line block ×9, first 2 shown]
	s_and_saveexec_b64 s[26:27], s[4:5]
	s_cbranch_execz .LBB2758_9
; %bb.8:
	v_mov_b32_e32 v11, s25
	v_add_co_u32_e32 v10, vcc, s24, v22
	v_addc_co_u32_e32 v11, vcc, 0, v11, vcc
	flat_load_dword v10, v[10:11]
.LBB2758_9:
	s_or_b64 exec, exec, s[26:27]
	v_or_b32_e32 v11, 0x80, v0
	v_cmp_gt_u32_e32 vcc, s30, v11
	s_and_saveexec_b64 s[4:5], vcc
	s_cbranch_execz .LBB2758_11
; %bb.10:
	v_mov_b32_e32 v1, s25
	v_add_co_u32_e32 v12, vcc, s24, v22
	v_addc_co_u32_e32 v13, vcc, 0, v1, vcc
	flat_load_dword v1, v[12:13] offset:512
.LBB2758_11:
	s_or_b64 exec, exec, s[4:5]
	v_or_b32_e32 v11, 0x100, v0
	v_cmp_gt_u32_e32 vcc, s30, v11
	s_and_saveexec_b64 s[4:5], vcc
	s_cbranch_execz .LBB2758_13
; %bb.12:
	v_mov_b32_e32 v2, s25
	v_add_co_u32_e32 v12, vcc, s24, v22
	v_addc_co_u32_e32 v13, vcc, 0, v2, vcc
	flat_load_dword v2, v[12:13] offset:1024
.LBB2758_13:
	;; [unrolled: 11-line block ×7, first 2 shown]
	s_or_b64 exec, exec, s[4:5]
	v_or_b32_e32 v11, 0x400, v0
	v_cmp_gt_u32_e32 vcc, s30, v11
	s_and_saveexec_b64 s[4:5], vcc
	s_cbranch_execz .LBB2758_25
; %bb.24:
	v_lshlrev_b32_e32 v8, 2, v11
	v_mov_b32_e32 v11, s25
	v_add_co_u32_e32 v12, vcc, s24, v8
	v_addc_co_u32_e32 v13, vcc, 0, v11, vcc
	flat_load_dword v8, v[12:13]
.LBB2758_25:
	s_or_b64 exec, exec, s[4:5]
	v_or_b32_e32 v11, 0x480, v0
	v_cmp_gt_u32_e32 vcc, s30, v11
	s_and_saveexec_b64 s[4:5], vcc
	s_cbranch_execz .LBB2758_27
; %bb.26:
	v_lshlrev_b32_e32 v9, 2, v11
	v_mov_b32_e32 v11, s25
	v_add_co_u32_e32 v12, vcc, s24, v9
	v_addc_co_u32_e32 v13, vcc, 0, v11, vcc
	flat_load_dword v9, v[12:13]
.LBB2758_27:
	s_or_b64 exec, exec, s[4:5]
	s_waitcnt vmcnt(0) lgkmcnt(0)
	ds_write2st64_b32 v22, v10, v1 offset1:2
	ds_write2st64_b32 v22, v2, v3 offset0:4 offset1:6
	ds_write2st64_b32 v22, v4, v5 offset0:8 offset1:10
	;; [unrolled: 1-line block ×4, first 2 shown]
	s_waitcnt lgkmcnt(0)
	s_barrier
.LBB2758_28:
	v_mul_u32_u24_e32 v23, 10, v0
	v_lshlrev_b32_e32 v24, 2, v23
	ds_read2_b64 v[2:5], v24 offset1:1
	ds_read2_b64 v[16:19], v24 offset0:2 offset1:3
	ds_read_b64 v[20:21], v24 offset:32
	s_cmp_lg_u32 s33, 0
	v_lshrrev_b32_e32 v1, 5, v0
	v_cmp_gt_u32_e32 vcc, 64, v0
	s_waitcnt lgkmcnt(0)
	s_barrier
	s_cbranch_scc0 .LBB2758_53
; %bb.29:
	v_max_i32_e32 v6, v2, v3
	v_max3_i32 v6, v6, v4, v5
	v_max3_i32 v6, v6, v16, v17
	;; [unrolled: 1-line block ×4, first 2 shown]
	v_add_lshl_u32 v6, v1, v0, 2
	ds_write_b32 v6, v25
	s_waitcnt lgkmcnt(0)
	s_barrier
	s_and_saveexec_b64 s[24:25], vcc
	s_cbranch_execz .LBB2758_31
; %bb.30:
	v_lshlrev_b32_e32 v6, 1, v0
	v_lshrrev_b32_e32 v7, 4, v0
	v_add_lshl_u32 v8, v7, v6, 2
	ds_read2_b32 v[6:7], v8 offset1:1
	v_mbcnt_lo_u32_b32 v9, -1, 0
	v_mbcnt_hi_u32_b32 v9, -1, v9
	v_and_b32_e32 v10, 15, v9
	v_cmp_eq_u32_e64 s[4:5], 0, v10
	s_waitcnt lgkmcnt(0)
	v_max_i32_e32 v7, v6, v7
	; wave barrier
	s_nop 1
	v_mov_b32_dpp v11, v7 row_shr:1 row_mask:0xf bank_mask:0xf
	v_max_i32_e32 v11, v11, v7
	v_cndmask_b32_e64 v7, v11, v7, s[4:5]
	v_cmp_lt_u32_e64 s[4:5], 1, v10
	s_nop 0
	v_mov_b32_dpp v11, v7 row_shr:2 row_mask:0xf bank_mask:0xf
	v_max_i32_e32 v11, v11, v7
	v_cndmask_b32_e64 v7, v7, v11, s[4:5]
	v_cmp_lt_u32_e64 s[4:5], 3, v10
	;; [unrolled: 5-line block ×3, first 2 shown]
	s_nop 0
	v_mov_b32_dpp v11, v7 row_shr:8 row_mask:0xf bank_mask:0xf
	v_max_i32_e32 v11, v11, v7
	v_cndmask_b32_e64 v7, v7, v11, s[4:5]
	v_and_b32_e32 v11, 16, v9
	v_cmp_eq_u32_e64 s[4:5], 0, v11
	v_mov_b32_dpp v10, v7 row_bcast:15 row_mask:0xf bank_mask:0xf
	v_max_i32_e32 v10, v10, v7
	v_cndmask_b32_e64 v7, v10, v7, s[4:5]
	v_cmp_lt_u32_e64 s[4:5], 31, v9
	v_and_b32_e32 v11, 64, v9
	v_mov_b32_dpp v10, v7 row_bcast:31 row_mask:0xf bank_mask:0xf
	v_max_i32_e32 v10, v10, v7
	v_cndmask_b32_e64 v7, v7, v10, s[4:5]
	v_add_u32_e32 v10, -1, v9
	v_cmp_lt_i32_e64 s[4:5], v10, v11
	v_cndmask_b32_e64 v9, v10, v9, s[4:5]
	v_lshlrev_b32_e32 v9, 2, v9
	ds_bpermute_b32 v7, v9, v7
	s_waitcnt lgkmcnt(0)
	v_max_i32_e32 v6, v7, v6
	v_cndmask_b32_e64 v6, v6, v25, s[2:3]
	ds_write_b32 v8, v6
	; wave barrier
	ds_read_b32 v7, v8 offset:4
	s_waitcnt lgkmcnt(0)
	v_max_i32_e32 v6, v6, v7
	ds_write_b32 v8, v6 offset:4
.LBB2758_31:
	s_or_b64 exec, exec, s[24:25]
	s_waitcnt lgkmcnt(0)
	s_barrier
	s_and_saveexec_b64 s[4:5], s[0:1]
	s_cbranch_execz .LBB2758_33
; %bb.32:
	v_add_u32_e32 v6, -1, v0
	v_lshrrev_b32_e32 v7, 5, v6
	v_add_lshl_u32 v6, v7, v6, 2
	ds_read_b32 v25, v6
.LBB2758_33:
	s_or_b64 exec, exec, s[4:5]
	s_and_saveexec_b64 s[24:25], vcc
	s_cbranch_execz .LBB2758_52
; %bb.34:
	v_mov_b32_e32 v13, 0
	ds_read_b32 v6, v13 offset:520
	v_mbcnt_lo_u32_b32 v7, -1, 0
	v_mbcnt_hi_u32_b32 v9, -1, v7
	s_mov_b32 s29, 0
	v_cmp_eq_u32_e64 s[4:5], 0, v9
	s_and_saveexec_b64 s[26:27], s[4:5]
	s_cbranch_execz .LBB2758_36
; %bb.35:
	s_add_i32 s28, s33, 64
	s_lshl_b64 s[28:29], s[28:29], 3
	s_add_u32 s28, s6, s28
	v_mov_b32_e32 v7, 1
	s_addc_u32 s29, s7, s29
	s_waitcnt lgkmcnt(0)
	global_store_dwordx2 v13, v[6:7], s[28:29]
.LBB2758_36:
	s_or_b64 exec, exec, s[26:27]
	v_xad_u32 v8, v9, -1, s33
	v_add_u32_e32 v12, 64, v8
	v_lshlrev_b64 v[10:11], 3, v[12:13]
	v_mov_b32_e32 v7, s7
	v_add_co_u32_e32 v14, vcc, s6, v10
	v_addc_co_u32_e32 v15, vcc, v7, v11, vcc
	global_load_dwordx2 v[10:11], v[14:15], off glc
	s_waitcnt vmcnt(0)
	v_cmp_eq_u16_sdwa s[28:29], v11, v13 src0_sel:BYTE_0 src1_sel:DWORD
	s_and_saveexec_b64 s[26:27], s[28:29]
	s_cbranch_execz .LBB2758_40
; %bb.37:
	s_mov_b64 s[28:29], 0
	v_mov_b32_e32 v7, 0
.LBB2758_38:                            ; =>This Inner Loop Header: Depth=1
	global_load_dwordx2 v[10:11], v[14:15], off glc
	s_waitcnt vmcnt(0)
	v_cmp_ne_u16_sdwa s[34:35], v11, v7 src0_sel:BYTE_0 src1_sel:DWORD
	s_or_b64 s[28:29], s[34:35], s[28:29]
	s_andn2_b64 exec, exec, s[28:29]
	s_cbranch_execnz .LBB2758_38
; %bb.39:
	s_or_b64 exec, exec, s[28:29]
.LBB2758_40:
	s_or_b64 exec, exec, s[26:27]
	v_and_b32_e32 v26, 63, v9
	v_cmp_ne_u32_e32 vcc, 63, v26
	v_mov_b32_e32 v7, 2
	v_addc_co_u32_e32 v27, vcc, 0, v9, vcc
	v_cmp_eq_u16_sdwa s[26:27], v11, v7 src0_sel:BYTE_0 src1_sel:DWORD
	v_lshlrev_b64 v[12:13], v9, -1
	v_lshlrev_b32_e32 v27, 2, v27
	v_and_b32_e32 v14, s27, v13
	ds_bpermute_b32 v28, v27, v10
	v_or_b32_e32 v14, 0x80000000, v14
	v_and_b32_e32 v15, s26, v12
	v_ffbl_b32_e32 v14, v14
	v_add_u32_e32 v14, 32, v14
	v_ffbl_b32_e32 v15, v15
	v_min_u32_e32 v14, v15, v14
	s_waitcnt lgkmcnt(0)
	v_max_i32_e32 v15, v28, v10
	v_cmp_lt_u32_e32 vcc, v26, v14
	v_cndmask_b32_e32 v10, v10, v15, vcc
	v_cmp_gt_u32_e32 vcc, 62, v26
	v_cndmask_b32_e64 v15, 0, 1, vcc
	v_lshlrev_b32_e32 v15, 1, v15
	v_add_lshl_u32 v28, v15, v9, 2
	ds_bpermute_b32 v15, v28, v10
	v_add_u32_e32 v29, 2, v26
	v_cmp_gt_u32_e32 vcc, v29, v14
	v_add_u32_e32 v31, 4, v26
	v_add_u32_e32 v33, 8, v26
	s_waitcnt lgkmcnt(0)
	v_max_i32_e32 v15, v15, v10
	v_cndmask_b32_e32 v10, v15, v10, vcc
	v_cmp_gt_u32_e32 vcc, 60, v26
	v_cndmask_b32_e64 v15, 0, 1, vcc
	v_lshlrev_b32_e32 v15, 2, v15
	v_add_lshl_u32 v30, v15, v9, 2
	ds_bpermute_b32 v15, v30, v10
	v_cmp_gt_u32_e32 vcc, v31, v14
	v_add_u32_e32 v36, 16, v26
	v_add_u32_e32 v38, 32, v26
	s_waitcnt lgkmcnt(0)
	v_max_i32_e32 v15, v15, v10
	v_cndmask_b32_e32 v10, v15, v10, vcc
	v_cmp_gt_u32_e32 vcc, 56, v26
	v_cndmask_b32_e64 v15, 0, 1, vcc
	v_lshlrev_b32_e32 v15, 3, v15
	v_add_lshl_u32 v32, v15, v9, 2
	ds_bpermute_b32 v15, v32, v10
	v_cmp_gt_u32_e32 vcc, v33, v14
	s_waitcnt lgkmcnt(0)
	v_max_i32_e32 v15, v15, v10
	v_cndmask_b32_e32 v10, v15, v10, vcc
	v_cmp_gt_u32_e32 vcc, 48, v26
	v_cndmask_b32_e64 v15, 0, 1, vcc
	v_lshlrev_b32_e32 v15, 4, v15
	v_add_lshl_u32 v34, v15, v9, 2
	ds_bpermute_b32 v15, v34, v10
	v_cmp_gt_u32_e32 vcc, v36, v14
	;; [unrolled: 9-line block ×3, first 2 shown]
	s_waitcnt lgkmcnt(0)
	v_max_i32_e32 v9, v9, v10
	v_cndmask_b32_e32 v10, v9, v10, vcc
	v_mov_b32_e32 v9, 0
	s_branch .LBB2758_42
.LBB2758_41:                            ;   in Loop: Header=BB2758_42 Depth=1
	s_or_b64 exec, exec, s[26:27]
	v_cmp_eq_u16_sdwa s[26:27], v11, v7 src0_sel:BYTE_0 src1_sel:DWORD
	v_and_b32_e32 v14, s27, v13
	ds_bpermute_b32 v39, v27, v10
	v_or_b32_e32 v14, 0x80000000, v14
	v_and_b32_e32 v15, s26, v12
	v_ffbl_b32_e32 v14, v14
	v_add_u32_e32 v14, 32, v14
	v_ffbl_b32_e32 v15, v15
	v_min_u32_e32 v14, v15, v14
	s_waitcnt lgkmcnt(0)
	v_max_i32_e32 v15, v39, v10
	v_cmp_lt_u32_e32 vcc, v26, v14
	v_cndmask_b32_e32 v10, v10, v15, vcc
	ds_bpermute_b32 v15, v28, v10
	v_cmp_gt_u32_e32 vcc, v29, v14
	v_subrev_u32_e32 v8, 64, v8
	s_waitcnt lgkmcnt(0)
	v_max_i32_e32 v15, v15, v10
	v_cndmask_b32_e32 v10, v15, v10, vcc
	ds_bpermute_b32 v15, v30, v10
	v_cmp_gt_u32_e32 vcc, v31, v14
	s_waitcnt lgkmcnt(0)
	v_max_i32_e32 v15, v15, v10
	v_cndmask_b32_e32 v10, v15, v10, vcc
	ds_bpermute_b32 v15, v32, v10
	v_cmp_gt_u32_e32 vcc, v33, v14
	;; [unrolled: 5-line block ×4, first 2 shown]
	s_waitcnt lgkmcnt(0)
	v_max_i32_e32 v15, v15, v10
	v_cndmask_b32_e32 v10, v15, v10, vcc
	v_max_i32_e32 v10, v10, v35
.LBB2758_42:                            ; =>This Loop Header: Depth=1
                                        ;     Child Loop BB2758_45 Depth 2
	v_cmp_ne_u16_sdwa s[26:27], v11, v7 src0_sel:BYTE_0 src1_sel:DWORD
	v_cndmask_b32_e64 v11, 0, 1, s[26:27]
	;;#ASMSTART
	;;#ASMEND
	v_cmp_ne_u32_e32 vcc, 0, v11
	s_cmp_lg_u64 vcc, exec
	v_mov_b32_e32 v35, v10
	s_cbranch_scc1 .LBB2758_47
; %bb.43:                               ;   in Loop: Header=BB2758_42 Depth=1
	v_lshlrev_b64 v[10:11], 3, v[8:9]
	v_mov_b32_e32 v15, s7
	v_add_co_u32_e32 v14, vcc, s6, v10
	v_addc_co_u32_e32 v15, vcc, v15, v11, vcc
	global_load_dwordx2 v[10:11], v[14:15], off glc
	s_waitcnt vmcnt(0)
	v_cmp_eq_u16_sdwa s[28:29], v11, v9 src0_sel:BYTE_0 src1_sel:DWORD
	s_and_saveexec_b64 s[26:27], s[28:29]
	s_cbranch_execz .LBB2758_41
; %bb.44:                               ;   in Loop: Header=BB2758_42 Depth=1
	s_mov_b64 s[28:29], 0
.LBB2758_45:                            ;   Parent Loop BB2758_42 Depth=1
                                        ; =>  This Inner Loop Header: Depth=2
	global_load_dwordx2 v[10:11], v[14:15], off glc
	s_waitcnt vmcnt(0)
	v_cmp_ne_u16_sdwa s[34:35], v11, v9 src0_sel:BYTE_0 src1_sel:DWORD
	s_or_b64 s[28:29], s[34:35], s[28:29]
	s_andn2_b64 exec, exec, s[28:29]
	s_cbranch_execnz .LBB2758_45
; %bb.46:                               ;   in Loop: Header=BB2758_42 Depth=1
	s_or_b64 exec, exec, s[28:29]
	s_branch .LBB2758_41
.LBB2758_47:                            ;   in Loop: Header=BB2758_42 Depth=1
                                        ; implicit-def: $vgpr10
                                        ; implicit-def: $vgpr11
	s_cbranch_execz .LBB2758_42
; %bb.48:
	s_and_saveexec_b64 s[26:27], s[4:5]
	s_cbranch_execz .LBB2758_50
; %bb.49:
	s_add_i32 s4, s33, 64
	s_mov_b32 s5, 0
	s_lshl_b64 s[4:5], s[4:5], 3
	s_add_u32 s4, s6, s4
	v_max_i32_e32 v6, v35, v6
	v_mov_b32_e32 v7, 2
	s_addc_u32 s5, s7, s5
	v_mov_b32_e32 v8, 0
	global_store_dwordx2 v8, v[6:7], s[4:5]
.LBB2758_50:
	s_or_b64 exec, exec, s[26:27]
	s_and_b64 exec, exec, s[2:3]
	s_cbranch_execz .LBB2758_52
; %bb.51:
	v_mov_b32_e32 v6, 0
	ds_write_b32 v6, v35
.LBB2758_52:
	s_or_b64 exec, exec, s[24:25]
	v_mov_b32_e32 v6, 0
	s_waitcnt lgkmcnt(0)
	s_barrier
	ds_read_b32 v6, v6
	v_max_i32_e32 v7, v25, v2
	v_cndmask_b32_e64 v7, v7, v2, s[2:3]
	s_waitcnt lgkmcnt(0)
	v_max_i32_e32 v6, v6, v7
	v_max_i32_e32 v7, v6, v3
	v_max_i32_e32 v8, v7, v4
	v_max_i32_e32 v9, v8, v5
	v_max_i32_e32 v10, v9, v16
	v_max_i32_e32 v11, v10, v17
	v_max_i32_e32 v12, v11, v18
	v_max_i32_e32 v13, v12, v19
	v_max_i32_e32 v14, v13, v20
	v_max_i32_e32 v15, v14, v21
	s_branch .LBB2758_65
.LBB2758_53:
                                        ; implicit-def: $vgpr6_vgpr7_vgpr8_vgpr9_vgpr10_vgpr11_vgpr12_vgpr13_vgpr14_vgpr15
	s_cbranch_execz .LBB2758_65
; %bb.54:
	s_cmp_lg_u64 s[12:13], 0
	s_cselect_b64 s[4:5], -1, 0
	s_and_b64 s[12:13], s[2:3], s[4:5]
	v_mov_b32_e32 v12, v3
	v_mov_b32_e32 v13, v4
	;; [unrolled: 1-line block ×3, first 2 shown]
	s_and_saveexec_b64 s[4:5], s[12:13]
	s_cbranch_execz .LBB2758_56
; %bb.55:
	v_mov_b32_e32 v6, 0
	global_load_dword v6, v6, s[8:9]
	v_mov_b32_e32 v12, v3
	v_mov_b32_e32 v13, v4
	;; [unrolled: 1-line block ×3, first 2 shown]
	s_waitcnt vmcnt(0)
	v_max_i32_e32 v2, v6, v2
.LBB2758_56:
	s_or_b64 exec, exec, s[4:5]
	v_max_i32_e32 v3, v2, v12
	v_max_i32_e32 v4, v3, v13
	;; [unrolled: 1-line block ×9, first 2 shown]
	v_add_lshl_u32 v1, v1, v0, 2
	v_cmp_gt_u32_e32 vcc, 64, v0
	ds_write_b32 v1, v11
	s_waitcnt lgkmcnt(0)
	s_barrier
	s_and_saveexec_b64 s[4:5], vcc
	s_cbranch_execz .LBB2758_58
; %bb.57:
	v_lshlrev_b32_e32 v1, 1, v0
	v_lshrrev_b32_e32 v15, 4, v0
	v_add_lshl_u32 v1, v15, v1, 2
	ds_read2_b32 v[26:27], v1 offset1:1
	v_mbcnt_lo_u32_b32 v15, -1, 0
	v_mbcnt_hi_u32_b32 v15, -1, v15
	v_and_b32_e32 v25, 15, v15
	v_cmp_eq_u32_e32 vcc, 0, v25
	s_waitcnt lgkmcnt(0)
	v_max_i32_e32 v27, v26, v27
	; wave barrier
	s_nop 1
	v_mov_b32_dpp v28, v27 row_shr:1 row_mask:0xf bank_mask:0xf
	v_max_i32_e32 v28, v28, v27
	v_cndmask_b32_e32 v27, v28, v27, vcc
	v_cmp_lt_u32_e32 vcc, 1, v25
	s_nop 0
	v_mov_b32_dpp v28, v27 row_shr:2 row_mask:0xf bank_mask:0xf
	v_max_i32_e32 v28, v28, v27
	v_cndmask_b32_e32 v27, v27, v28, vcc
	v_cmp_lt_u32_e32 vcc, 3, v25
	;; [unrolled: 5-line block ×3, first 2 shown]
	s_nop 0
	v_mov_b32_dpp v28, v27 row_shr:8 row_mask:0xf bank_mask:0xf
	v_max_i32_e32 v28, v28, v27
	v_cndmask_b32_e32 v25, v27, v28, vcc
	v_and_b32_e32 v28, 16, v15
	v_cmp_eq_u32_e32 vcc, 0, v28
	v_mov_b32_dpp v27, v25 row_bcast:15 row_mask:0xf bank_mask:0xf
	v_max_i32_e32 v27, v27, v25
	v_cndmask_b32_e32 v25, v27, v25, vcc
	v_cmp_lt_u32_e32 vcc, 31, v15
	v_and_b32_e32 v28, 64, v15
	v_mov_b32_dpp v27, v25 row_bcast:31 row_mask:0xf bank_mask:0xf
	v_max_i32_e32 v27, v27, v25
	v_cndmask_b32_e32 v25, v25, v27, vcc
	v_add_u32_e32 v27, -1, v15
	v_cmp_lt_i32_e32 vcc, v27, v28
	v_cndmask_b32_e32 v15, v27, v15, vcc
	v_lshlrev_b32_e32 v15, 2, v15
	ds_bpermute_b32 v15, v15, v25
	s_waitcnt lgkmcnt(0)
	v_max_i32_e32 v15, v15, v26
	v_cndmask_b32_e64 v15, v15, v11, s[2:3]
	ds_write_b32 v1, v15
	; wave barrier
	ds_read_b32 v25, v1 offset:4
	s_waitcnt lgkmcnt(0)
	v_max_i32_e32 v15, v15, v25
	ds_write_b32 v1, v15 offset:4
.LBB2758_58:
	s_or_b64 exec, exec, s[4:5]
	v_mov_b32_e32 v1, v11
	s_waitcnt lgkmcnt(0)
	s_barrier
	s_and_saveexec_b64 s[2:3], s[0:1]
	s_cbranch_execz .LBB2758_60
; %bb.59:
	v_add_u32_e32 v1, -1, v0
	v_lshrrev_b32_e32 v15, 5, v1
	v_add_lshl_u32 v1, v15, v1, 2
	ds_read_b32 v1, v1
.LBB2758_60:
	s_or_b64 exec, exec, s[2:3]
	s_and_saveexec_b64 s[2:3], s[0:1]
	s_cbranch_execz .LBB2758_62
; %bb.61:
	s_waitcnt lgkmcnt(0)
	v_max_i32_e32 v2, v1, v2
	v_max_i32_e32 v3, v2, v12
	;; [unrolled: 1-line block ×10, first 2 shown]
	;;#ASMSTART
	;;#ASMEND
.LBB2758_62:
	s_or_b64 exec, exec, s[2:3]
	s_movk_i32 s0, 0x7f
	v_cmp_eq_u32_e32 vcc, s0, v0
	s_and_saveexec_b64 s[0:1], vcc
	s_cbranch_execz .LBB2758_64
; %bb.63:
	s_waitcnt lgkmcnt(0)
	v_mov_b32_e32 v1, 0
	v_mov_b32_e32 v13, 2
	;; [unrolled: 1-line block ×3, first 2 shown]
	global_store_dwordx2 v1, v[12:13], s[6:7] offset:512
.LBB2758_64:
	s_or_b64 exec, exec, s[0:1]
	v_pk_mov_b32 v[14:15], v[10:11], v[10:11] op_sel:[0,1]
	v_pk_mov_b32 v[12:13], v[8:9], v[8:9] op_sel:[0,1]
	;; [unrolled: 1-line block ×5, first 2 shown]
.LBB2758_65:
	s_add_u32 s0, s20, s18
	s_addc_u32 s1, s21, s19
	s_add_u32 s2, s0, s22
	s_addc_u32 s3, s1, s23
	s_mov_b64 s[0:1], -1
	s_and_b64 vcc, exec, s[16:17]
	s_waitcnt lgkmcnt(0)
	s_barrier
	s_cbranch_vccz .LBB2758_67
; %bb.66:
	ds_write2_b64 v24, v[6:7], v[8:9] offset1:1
	ds_write2_b64 v24, v[10:11], v[12:13] offset0:2 offset1:3
	ds_write_b64 v24, v[14:15] offset:32
	s_waitcnt lgkmcnt(0)
	s_barrier
	ds_read2st64_b32 v[2:3], v22 offset1:2
	ds_read2st64_b32 v[4:5], v22 offset0:4 offset1:6
	ds_read2st64_b32 v[16:17], v22 offset0:8 offset1:10
	;; [unrolled: 1-line block ×4, first 2 shown]
	v_mov_b32_e32 v1, s3
	v_add_co_u32_e32 v26, vcc, s2, v22
	v_addc_co_u32_e32 v27, vcc, 0, v1, vcc
	s_waitcnt lgkmcnt(4)
	flat_store_dword v[26:27], v2
	flat_store_dword v[26:27], v3 offset:512
	s_waitcnt lgkmcnt(0)
	flat_store_dword v[26:27], v4 offset:1024
	flat_store_dword v[26:27], v5 offset:1536
	;; [unrolled: 1-line block ×6, first 2 shown]
	v_add_co_u32_e32 v2, vcc, 0x1000, v26
	v_addc_co_u32_e32 v3, vcc, 0, v27, vcc
	flat_store_dword v[2:3], v20
	flat_store_dword v[2:3], v21 offset:512
	s_mov_b64 s[0:1], 0
.LBB2758_67:
	s_andn2_b64 vcc, exec, s[0:1]
	s_cbranch_vccnz .LBB2758_123
; %bb.68:
	s_movk_i32 s0, 0xffdc
	ds_write2_b64 v24, v[6:7], v[8:9] offset1:1
	ds_write2_b64 v24, v[10:11], v[12:13] offset0:2 offset1:3
	ds_write_b64 v24, v[14:15] offset:32
	v_mad_i32_i24 v10, v0, s0, v24
	s_waitcnt lgkmcnt(0)
	s_barrier
	ds_read2st64_b32 v[2:3], v10 offset1:2
	ds_read2st64_b32 v[6:7], v10 offset0:4 offset1:6
	ds_read2st64_b32 v[4:5], v10 offset0:8 offset1:10
	;; [unrolled: 1-line block ×4, first 2 shown]
	v_mov_b32_e32 v13, s3
	v_add_co_u32_e32 v12, vcc, s2, v22
	v_addc_co_u32_e32 v13, vcc, 0, v13, vcc
	v_mov_b32_e32 v1, 0
	v_cmp_gt_u32_e32 vcc, s30, v0
	s_and_saveexec_b64 s[0:1], vcc
	s_cbranch_execz .LBB2758_70
; %bb.69:
	s_waitcnt lgkmcnt(0)
	flat_store_dword v[12:13], v2
.LBB2758_70:
	s_or_b64 exec, exec, s[0:1]
	v_or_b32_e32 v14, 0x80, v0
	v_cmp_gt_u32_e32 vcc, s30, v14
	s_and_saveexec_b64 s[0:1], vcc
	s_cbranch_execz .LBB2758_72
; %bb.71:
	s_waitcnt lgkmcnt(0)
	flat_store_dword v[12:13], v3 offset:512
.LBB2758_72:
	s_or_b64 exec, exec, s[0:1]
	v_or_b32_e32 v14, 0x100, v0
	v_cmp_gt_u32_e32 vcc, s30, v14
	s_and_saveexec_b64 s[0:1], vcc
	s_cbranch_execz .LBB2758_74
; %bb.73:
	s_waitcnt lgkmcnt(0)
	flat_store_dword v[12:13], v6 offset:1024
.LBB2758_74:
	;; [unrolled: 9-line block ×7, first 2 shown]
	s_or_b64 exec, exec, s[0:1]
	v_or_b32_e32 v14, 0x400, v0
	v_cmp_gt_u32_e32 vcc, s30, v14
	s_and_saveexec_b64 s[0:1], vcc
	s_cbranch_execz .LBB2758_86
; %bb.85:
	v_add_co_u32_e32 v14, vcc, 0x1000, v12
	v_addc_co_u32_e32 v15, vcc, 0, v13, vcc
	s_waitcnt lgkmcnt(0)
	flat_store_dword v[14:15], v10
.LBB2758_86:
	s_or_b64 exec, exec, s[0:1]
	v_or_b32_e32 v14, 0x480, v0
	v_cmp_gt_u32_e32 vcc, s30, v14
	s_and_saveexec_b64 s[0:1], vcc
	s_cbranch_execz .LBB2758_88
; %bb.87:
	v_add_co_u32_e32 v12, vcc, 0x1000, v12
	v_addc_co_u32_e32 v13, vcc, 0, v13, vcc
	s_waitcnt lgkmcnt(0)
	flat_store_dword v[12:13], v11 offset:512
.LBB2758_88:
	s_or_b64 exec, exec, s[0:1]
	v_cmp_lt_u64_e64 s[0:1], s[14:15], 2
	s_and_b64 vcc, exec, s[0:1]
	s_cbranch_vccnz .LBB2758_123
; %bb.89:
	s_add_u32 s0, s30, -1
	s_addc_u32 s1, s31, -1
	s_add_u32 s2, 0, 0x99986000
	s_addc_u32 s3, 0, 0x59
	s_add_i32 s3, s3, 0x19999940
	s_mul_hi_u32 s7, s2, -10
	s_sub_i32 s7, s7, s2
	s_mul_i32 s8, s3, -10
	s_mul_i32 s4, s2, -10
	s_add_i32 s7, s7, s8
	s_mul_hi_u32 s5, s3, s4
	s_mul_i32 s6, s3, s4
	s_mul_i32 s9, s2, s7
	s_mul_hi_u32 s4, s2, s4
	s_mul_hi_u32 s8, s2, s7
	s_add_u32 s4, s4, s9
	s_addc_u32 s8, 0, s8
	s_add_u32 s4, s4, s6
	s_mul_hi_u32 s9, s3, s7
	s_addc_u32 s4, s8, s5
	s_addc_u32 s5, s9, 0
	s_mul_i32 s6, s3, s7
	s_add_u32 s4, s4, s6
	v_mov_b32_e32 v12, s4
	s_addc_u32 s5, 0, s5
	v_add_co_u32_e32 v12, vcc, s2, v12
	s_cmp_lg_u64 vcc, 0
	s_addc_u32 s2, s3, s5
	v_readfirstlane_b32 s5, v12
	s_mul_i32 s4, s0, s2
	s_mul_hi_u32 s6, s0, s5
	s_mul_hi_u32 s3, s0, s2
	s_add_u32 s4, s6, s4
	s_addc_u32 s3, 0, s3
	s_mul_hi_u32 s7, s1, s5
	s_mul_i32 s5, s1, s5
	s_add_u32 s4, s4, s5
	s_mul_hi_u32 s6, s1, s2
	s_addc_u32 s3, s3, s7
	s_addc_u32 s4, s6, 0
	s_mul_i32 s2, s1, s2
	s_add_u32 s2, s3, s2
	s_addc_u32 s3, 0, s4
	s_add_u32 s4, s2, 1
	s_addc_u32 s5, s3, 0
	s_add_u32 s6, s2, 2
	s_mul_i32 s8, s3, 10
	s_mul_hi_u32 s9, s2, 10
	s_addc_u32 s7, s3, 0
	s_add_i32 s9, s9, s8
	s_mul_i32 s8, s2, 10
	v_mov_b32_e32 v12, s8
	v_sub_co_u32_e32 v12, vcc, s0, v12
	s_cmp_lg_u64 vcc, 0
	s_subb_u32 s8, s1, s9
	v_subrev_co_u32_e32 v13, vcc, 10, v12
	s_cmp_lg_u64 vcc, 0
	s_subb_u32 s9, s8, 0
	v_readfirstlane_b32 s12, v13
	s_cmp_gt_u32 s12, 9
	s_cselect_b32 s12, -1, 0
	s_cmp_eq_u32 s9, 0
	s_cselect_b32 s9, s12, -1
	s_cmp_lg_u32 s9, 0
	s_cselect_b32 s4, s6, s4
	v_readfirstlane_b32 s6, v12
	s_cselect_b32 s5, s7, s5
	s_cmp_gt_u32 s6, 9
	s_cselect_b32 s6, -1, 0
	s_cmp_eq_u32 s8, 0
	s_cselect_b32 s6, s6, -1
	s_cmp_lg_u32 s6, 0
	s_cselect_b32 s3, s5, s3
	s_cselect_b32 s2, s4, s2
	v_cmp_eq_u64_e32 vcc, s[2:3], v[0:1]
	s_and_saveexec_b64 s[2:3], vcc
	s_cbranch_execz .LBB2758_123
; %bb.90:
	v_mul_hi_u32_u24_e32 v1, 10, v0
	v_mov_b32_e32 v12, s1
	v_sub_co_u32_e32 v0, vcc, s0, v23
	v_subb_co_u32_e32 v1, vcc, v12, v1, vcc
	v_cmp_lt_i64_e32 vcc, 4, v[0:1]
	s_and_saveexec_b64 s[0:1], vcc
	s_xor_b64 s[0:1], exec, s[0:1]
	s_cbranch_execz .LBB2758_108
; %bb.91:
	v_cmp_lt_i64_e32 vcc, 6, v[0:1]
	s_and_saveexec_b64 s[2:3], vcc
	s_xor_b64 s[2:3], exec, s[2:3]
	s_cbranch_execz .LBB2758_101
; %bb.92:
	;; [unrolled: 5-line block ×4, first 2 shown]
	v_mov_b32_e32 v0, 0
	s_waitcnt lgkmcnt(0)
	global_store_dword v0, v11, s[10:11]
                                        ; implicit-def: $vgpr10_vgpr11
.LBB2758_95:
	s_andn2_saveexec_b64 s[6:7], s[6:7]
	s_cbranch_execz .LBB2758_97
; %bb.96:
	v_mov_b32_e32 v0, 0
	s_waitcnt lgkmcnt(0)
	global_store_dword v0, v10, s[10:11]
.LBB2758_97:
	s_or_b64 exec, exec, s[6:7]
                                        ; implicit-def: $vgpr8_vgpr9
.LBB2758_98:
	s_andn2_saveexec_b64 s[4:5], s[4:5]
	s_cbranch_execz .LBB2758_100
; %bb.99:
	v_mov_b32_e32 v0, 0
	s_waitcnt lgkmcnt(0)
	global_store_dword v0, v9, s[10:11]
.LBB2758_100:
	s_or_b64 exec, exec, s[4:5]
                                        ; implicit-def: $vgpr4_vgpr5
                                        ; implicit-def: $vgpr0_vgpr1
                                        ; implicit-def: $vgpr8_vgpr9
.LBB2758_101:
	s_andn2_saveexec_b64 s[2:3], s[2:3]
	s_cbranch_execz .LBB2758_107
; %bb.102:
	v_cmp_lt_i64_e32 vcc, 5, v[0:1]
	s_and_saveexec_b64 s[4:5], vcc
	s_xor_b64 s[4:5], exec, s[4:5]
	s_cbranch_execz .LBB2758_104
; %bb.103:
	v_mov_b32_e32 v0, 0
	s_waitcnt lgkmcnt(0)
	global_store_dword v0, v8, s[10:11]
                                        ; implicit-def: $vgpr4_vgpr5
.LBB2758_104:
	s_andn2_saveexec_b64 s[4:5], s[4:5]
	s_cbranch_execz .LBB2758_106
; %bb.105:
	v_mov_b32_e32 v0, 0
	s_waitcnt lgkmcnt(0)
	global_store_dword v0, v5, s[10:11]
.LBB2758_106:
	s_or_b64 exec, exec, s[4:5]
.LBB2758_107:
	s_or_b64 exec, exec, s[2:3]
                                        ; implicit-def: $vgpr0_vgpr1
                                        ; implicit-def: $vgpr6_vgpr7
                                        ; implicit-def: $vgpr2_vgpr3
                                        ; implicit-def: $vgpr4_vgpr5
.LBB2758_108:
	s_andn2_saveexec_b64 s[0:1], s[0:1]
	s_cbranch_execz .LBB2758_123
; %bb.109:
	v_cmp_lt_i64_e32 vcc, 2, v[0:1]
	s_and_saveexec_b64 s[0:1], vcc
	s_xor_b64 s[0:1], exec, s[0:1]
	s_cbranch_execz .LBB2758_115
; %bb.110:
	v_cmp_lt_i64_e32 vcc, 3, v[0:1]
	s_and_saveexec_b64 s[2:3], vcc
	s_xor_b64 s[2:3], exec, s[2:3]
	s_cbranch_execz .LBB2758_112
; %bb.111:
	v_mov_b32_e32 v0, 0
	s_waitcnt lgkmcnt(0)
	global_store_dword v0, v4, s[10:11]
                                        ; implicit-def: $vgpr6_vgpr7
.LBB2758_112:
	s_andn2_saveexec_b64 s[2:3], s[2:3]
	s_cbranch_execz .LBB2758_114
; %bb.113:
	v_mov_b32_e32 v0, 0
	s_waitcnt lgkmcnt(0)
	global_store_dword v0, v7, s[10:11]
.LBB2758_114:
	s_or_b64 exec, exec, s[2:3]
                                        ; implicit-def: $vgpr0_vgpr1
                                        ; implicit-def: $vgpr6_vgpr7
                                        ; implicit-def: $vgpr2_vgpr3
.LBB2758_115:
	s_andn2_saveexec_b64 s[0:1], s[0:1]
	s_cbranch_execz .LBB2758_123
; %bb.116:
	v_cmp_lt_i64_e32 vcc, 1, v[0:1]
	s_and_saveexec_b64 s[0:1], vcc
	s_xor_b64 s[0:1], exec, s[0:1]
	s_cbranch_execz .LBB2758_118
; %bb.117:
	v_mov_b32_e32 v0, 0
	s_waitcnt lgkmcnt(0)
	global_store_dword v0, v6, s[10:11]
                                        ; implicit-def: $vgpr2_vgpr3
                                        ; implicit-def: $vgpr0_vgpr1
.LBB2758_118:
	s_andn2_saveexec_b64 s[0:1], s[0:1]
	s_cbranch_execz .LBB2758_123
; %bb.119:
	v_cmp_ne_u64_e32 vcc, 1, v[0:1]
	s_and_saveexec_b64 s[0:1], vcc
	s_xor_b64 s[0:1], exec, s[0:1]
	s_cbranch_execz .LBB2758_121
; %bb.120:
	v_mov_b32_e32 v0, 0
	s_waitcnt lgkmcnt(0)
	global_store_dword v0, v2, s[10:11]
                                        ; implicit-def: $vgpr2_vgpr3
.LBB2758_121:
	s_andn2_saveexec_b64 s[0:1], s[0:1]
	s_cbranch_execz .LBB2758_123
; %bb.122:
	v_mov_b32_e32 v0, 0
	s_waitcnt lgkmcnt(0)
	global_store_dword v0, v3, s[10:11]
.LBB2758_123:
	s_endpgm
	.section	.rodata,"a",@progbits
	.p2align	6, 0x0
	.amdhsa_kernel _ZN7rocprim17ROCPRIM_400000_NS6detail17trampoline_kernelINS0_14default_configENS1_20scan_config_selectorIiEEZZNS1_9scan_implILNS1_25lookback_scan_determinismE0ELb0ELb0ES3_N6thrust23THRUST_200600_302600_NS6detail15normal_iteratorINS9_10device_ptrIiEEEESE_i11max_functorIiEiEEDaPvRmT3_T4_T5_mT6_P12ihipStream_tbENKUlT_T0_E_clISt17integral_constantIbLb0EEST_IbLb1EEEEDaSP_SQ_EUlSP_E_NS1_11comp_targetILNS1_3genE4ELNS1_11target_archE910ELNS1_3gpuE8ELNS1_3repE0EEENS1_30default_config_static_selectorELNS0_4arch9wavefront6targetE1EEEvT1_
		.amdhsa_group_segment_fixed_size 5120
		.amdhsa_private_segment_fixed_size 0
		.amdhsa_kernarg_size 96
		.amdhsa_user_sgpr_count 6
		.amdhsa_user_sgpr_private_segment_buffer 1
		.amdhsa_user_sgpr_dispatch_ptr 0
		.amdhsa_user_sgpr_queue_ptr 0
		.amdhsa_user_sgpr_kernarg_segment_ptr 1
		.amdhsa_user_sgpr_dispatch_id 0
		.amdhsa_user_sgpr_flat_scratch_init 0
		.amdhsa_user_sgpr_kernarg_preload_length 0
		.amdhsa_user_sgpr_kernarg_preload_offset 0
		.amdhsa_user_sgpr_private_segment_size 0
		.amdhsa_uses_dynamic_stack 0
		.amdhsa_system_sgpr_private_segment_wavefront_offset 0
		.amdhsa_system_sgpr_workgroup_id_x 1
		.amdhsa_system_sgpr_workgroup_id_y 0
		.amdhsa_system_sgpr_workgroup_id_z 0
		.amdhsa_system_sgpr_workgroup_info 0
		.amdhsa_system_vgpr_workitem_id 0
		.amdhsa_next_free_vgpr 40
		.amdhsa_next_free_sgpr 36
		.amdhsa_accum_offset 40
		.amdhsa_reserve_vcc 1
		.amdhsa_reserve_flat_scratch 0
		.amdhsa_float_round_mode_32 0
		.amdhsa_float_round_mode_16_64 0
		.amdhsa_float_denorm_mode_32 3
		.amdhsa_float_denorm_mode_16_64 3
		.amdhsa_dx10_clamp 1
		.amdhsa_ieee_mode 1
		.amdhsa_fp16_overflow 0
		.amdhsa_tg_split 0
		.amdhsa_exception_fp_ieee_invalid_op 0
		.amdhsa_exception_fp_denorm_src 0
		.amdhsa_exception_fp_ieee_div_zero 0
		.amdhsa_exception_fp_ieee_overflow 0
		.amdhsa_exception_fp_ieee_underflow 0
		.amdhsa_exception_fp_ieee_inexact 0
		.amdhsa_exception_int_div_zero 0
	.end_amdhsa_kernel
	.section	.text._ZN7rocprim17ROCPRIM_400000_NS6detail17trampoline_kernelINS0_14default_configENS1_20scan_config_selectorIiEEZZNS1_9scan_implILNS1_25lookback_scan_determinismE0ELb0ELb0ES3_N6thrust23THRUST_200600_302600_NS6detail15normal_iteratorINS9_10device_ptrIiEEEESE_i11max_functorIiEiEEDaPvRmT3_T4_T5_mT6_P12ihipStream_tbENKUlT_T0_E_clISt17integral_constantIbLb0EEST_IbLb1EEEEDaSP_SQ_EUlSP_E_NS1_11comp_targetILNS1_3genE4ELNS1_11target_archE910ELNS1_3gpuE8ELNS1_3repE0EEENS1_30default_config_static_selectorELNS0_4arch9wavefront6targetE1EEEvT1_,"axG",@progbits,_ZN7rocprim17ROCPRIM_400000_NS6detail17trampoline_kernelINS0_14default_configENS1_20scan_config_selectorIiEEZZNS1_9scan_implILNS1_25lookback_scan_determinismE0ELb0ELb0ES3_N6thrust23THRUST_200600_302600_NS6detail15normal_iteratorINS9_10device_ptrIiEEEESE_i11max_functorIiEiEEDaPvRmT3_T4_T5_mT6_P12ihipStream_tbENKUlT_T0_E_clISt17integral_constantIbLb0EEST_IbLb1EEEEDaSP_SQ_EUlSP_E_NS1_11comp_targetILNS1_3genE4ELNS1_11target_archE910ELNS1_3gpuE8ELNS1_3repE0EEENS1_30default_config_static_selectorELNS0_4arch9wavefront6targetE1EEEvT1_,comdat
.Lfunc_end2758:
	.size	_ZN7rocprim17ROCPRIM_400000_NS6detail17trampoline_kernelINS0_14default_configENS1_20scan_config_selectorIiEEZZNS1_9scan_implILNS1_25lookback_scan_determinismE0ELb0ELb0ES3_N6thrust23THRUST_200600_302600_NS6detail15normal_iteratorINS9_10device_ptrIiEEEESE_i11max_functorIiEiEEDaPvRmT3_T4_T5_mT6_P12ihipStream_tbENKUlT_T0_E_clISt17integral_constantIbLb0EEST_IbLb1EEEEDaSP_SQ_EUlSP_E_NS1_11comp_targetILNS1_3genE4ELNS1_11target_archE910ELNS1_3gpuE8ELNS1_3repE0EEENS1_30default_config_static_selectorELNS0_4arch9wavefront6targetE1EEEvT1_, .Lfunc_end2758-_ZN7rocprim17ROCPRIM_400000_NS6detail17trampoline_kernelINS0_14default_configENS1_20scan_config_selectorIiEEZZNS1_9scan_implILNS1_25lookback_scan_determinismE0ELb0ELb0ES3_N6thrust23THRUST_200600_302600_NS6detail15normal_iteratorINS9_10device_ptrIiEEEESE_i11max_functorIiEiEEDaPvRmT3_T4_T5_mT6_P12ihipStream_tbENKUlT_T0_E_clISt17integral_constantIbLb0EEST_IbLb1EEEEDaSP_SQ_EUlSP_E_NS1_11comp_targetILNS1_3genE4ELNS1_11target_archE910ELNS1_3gpuE8ELNS1_3repE0EEENS1_30default_config_static_selectorELNS0_4arch9wavefront6targetE1EEEvT1_
                                        ; -- End function
	.section	.AMDGPU.csdata,"",@progbits
; Kernel info:
; codeLenInByte = 4584
; NumSgprs: 40
; NumVgprs: 40
; NumAgprs: 0
; TotalNumVgprs: 40
; ScratchSize: 0
; MemoryBound: 0
; FloatMode: 240
; IeeeMode: 1
; LDSByteSize: 5120 bytes/workgroup (compile time only)
; SGPRBlocks: 4
; VGPRBlocks: 4
; NumSGPRsForWavesPerEU: 40
; NumVGPRsForWavesPerEU: 40
; AccumOffset: 40
; Occupancy: 6
; WaveLimiterHint : 1
; COMPUTE_PGM_RSRC2:SCRATCH_EN: 0
; COMPUTE_PGM_RSRC2:USER_SGPR: 6
; COMPUTE_PGM_RSRC2:TRAP_HANDLER: 0
; COMPUTE_PGM_RSRC2:TGID_X_EN: 1
; COMPUTE_PGM_RSRC2:TGID_Y_EN: 0
; COMPUTE_PGM_RSRC2:TGID_Z_EN: 0
; COMPUTE_PGM_RSRC2:TIDIG_COMP_CNT: 0
; COMPUTE_PGM_RSRC3_GFX90A:ACCUM_OFFSET: 9
; COMPUTE_PGM_RSRC3_GFX90A:TG_SPLIT: 0
	.section	.text._ZN7rocprim17ROCPRIM_400000_NS6detail17trampoline_kernelINS0_14default_configENS1_20scan_config_selectorIiEEZZNS1_9scan_implILNS1_25lookback_scan_determinismE0ELb0ELb0ES3_N6thrust23THRUST_200600_302600_NS6detail15normal_iteratorINS9_10device_ptrIiEEEESE_i11max_functorIiEiEEDaPvRmT3_T4_T5_mT6_P12ihipStream_tbENKUlT_T0_E_clISt17integral_constantIbLb0EEST_IbLb1EEEEDaSP_SQ_EUlSP_E_NS1_11comp_targetILNS1_3genE3ELNS1_11target_archE908ELNS1_3gpuE7ELNS1_3repE0EEENS1_30default_config_static_selectorELNS0_4arch9wavefront6targetE1EEEvT1_,"axG",@progbits,_ZN7rocprim17ROCPRIM_400000_NS6detail17trampoline_kernelINS0_14default_configENS1_20scan_config_selectorIiEEZZNS1_9scan_implILNS1_25lookback_scan_determinismE0ELb0ELb0ES3_N6thrust23THRUST_200600_302600_NS6detail15normal_iteratorINS9_10device_ptrIiEEEESE_i11max_functorIiEiEEDaPvRmT3_T4_T5_mT6_P12ihipStream_tbENKUlT_T0_E_clISt17integral_constantIbLb0EEST_IbLb1EEEEDaSP_SQ_EUlSP_E_NS1_11comp_targetILNS1_3genE3ELNS1_11target_archE908ELNS1_3gpuE7ELNS1_3repE0EEENS1_30default_config_static_selectorELNS0_4arch9wavefront6targetE1EEEvT1_,comdat
	.protected	_ZN7rocprim17ROCPRIM_400000_NS6detail17trampoline_kernelINS0_14default_configENS1_20scan_config_selectorIiEEZZNS1_9scan_implILNS1_25lookback_scan_determinismE0ELb0ELb0ES3_N6thrust23THRUST_200600_302600_NS6detail15normal_iteratorINS9_10device_ptrIiEEEESE_i11max_functorIiEiEEDaPvRmT3_T4_T5_mT6_P12ihipStream_tbENKUlT_T0_E_clISt17integral_constantIbLb0EEST_IbLb1EEEEDaSP_SQ_EUlSP_E_NS1_11comp_targetILNS1_3genE3ELNS1_11target_archE908ELNS1_3gpuE7ELNS1_3repE0EEENS1_30default_config_static_selectorELNS0_4arch9wavefront6targetE1EEEvT1_ ; -- Begin function _ZN7rocprim17ROCPRIM_400000_NS6detail17trampoline_kernelINS0_14default_configENS1_20scan_config_selectorIiEEZZNS1_9scan_implILNS1_25lookback_scan_determinismE0ELb0ELb0ES3_N6thrust23THRUST_200600_302600_NS6detail15normal_iteratorINS9_10device_ptrIiEEEESE_i11max_functorIiEiEEDaPvRmT3_T4_T5_mT6_P12ihipStream_tbENKUlT_T0_E_clISt17integral_constantIbLb0EEST_IbLb1EEEEDaSP_SQ_EUlSP_E_NS1_11comp_targetILNS1_3genE3ELNS1_11target_archE908ELNS1_3gpuE7ELNS1_3repE0EEENS1_30default_config_static_selectorELNS0_4arch9wavefront6targetE1EEEvT1_
	.globl	_ZN7rocprim17ROCPRIM_400000_NS6detail17trampoline_kernelINS0_14default_configENS1_20scan_config_selectorIiEEZZNS1_9scan_implILNS1_25lookback_scan_determinismE0ELb0ELb0ES3_N6thrust23THRUST_200600_302600_NS6detail15normal_iteratorINS9_10device_ptrIiEEEESE_i11max_functorIiEiEEDaPvRmT3_T4_T5_mT6_P12ihipStream_tbENKUlT_T0_E_clISt17integral_constantIbLb0EEST_IbLb1EEEEDaSP_SQ_EUlSP_E_NS1_11comp_targetILNS1_3genE3ELNS1_11target_archE908ELNS1_3gpuE7ELNS1_3repE0EEENS1_30default_config_static_selectorELNS0_4arch9wavefront6targetE1EEEvT1_
	.p2align	8
	.type	_ZN7rocprim17ROCPRIM_400000_NS6detail17trampoline_kernelINS0_14default_configENS1_20scan_config_selectorIiEEZZNS1_9scan_implILNS1_25lookback_scan_determinismE0ELb0ELb0ES3_N6thrust23THRUST_200600_302600_NS6detail15normal_iteratorINS9_10device_ptrIiEEEESE_i11max_functorIiEiEEDaPvRmT3_T4_T5_mT6_P12ihipStream_tbENKUlT_T0_E_clISt17integral_constantIbLb0EEST_IbLb1EEEEDaSP_SQ_EUlSP_E_NS1_11comp_targetILNS1_3genE3ELNS1_11target_archE908ELNS1_3gpuE7ELNS1_3repE0EEENS1_30default_config_static_selectorELNS0_4arch9wavefront6targetE1EEEvT1_,@function
_ZN7rocprim17ROCPRIM_400000_NS6detail17trampoline_kernelINS0_14default_configENS1_20scan_config_selectorIiEEZZNS1_9scan_implILNS1_25lookback_scan_determinismE0ELb0ELb0ES3_N6thrust23THRUST_200600_302600_NS6detail15normal_iteratorINS9_10device_ptrIiEEEESE_i11max_functorIiEiEEDaPvRmT3_T4_T5_mT6_P12ihipStream_tbENKUlT_T0_E_clISt17integral_constantIbLb0EEST_IbLb1EEEEDaSP_SQ_EUlSP_E_NS1_11comp_targetILNS1_3genE3ELNS1_11target_archE908ELNS1_3gpuE7ELNS1_3repE0EEENS1_30default_config_static_selectorELNS0_4arch9wavefront6targetE1EEEvT1_: ; @_ZN7rocprim17ROCPRIM_400000_NS6detail17trampoline_kernelINS0_14default_configENS1_20scan_config_selectorIiEEZZNS1_9scan_implILNS1_25lookback_scan_determinismE0ELb0ELb0ES3_N6thrust23THRUST_200600_302600_NS6detail15normal_iteratorINS9_10device_ptrIiEEEESE_i11max_functorIiEiEEDaPvRmT3_T4_T5_mT6_P12ihipStream_tbENKUlT_T0_E_clISt17integral_constantIbLb0EEST_IbLb1EEEEDaSP_SQ_EUlSP_E_NS1_11comp_targetILNS1_3genE3ELNS1_11target_archE908ELNS1_3gpuE7ELNS1_3repE0EEENS1_30default_config_static_selectorELNS0_4arch9wavefront6targetE1EEEvT1_
; %bb.0:
	.section	.rodata,"a",@progbits
	.p2align	6, 0x0
	.amdhsa_kernel _ZN7rocprim17ROCPRIM_400000_NS6detail17trampoline_kernelINS0_14default_configENS1_20scan_config_selectorIiEEZZNS1_9scan_implILNS1_25lookback_scan_determinismE0ELb0ELb0ES3_N6thrust23THRUST_200600_302600_NS6detail15normal_iteratorINS9_10device_ptrIiEEEESE_i11max_functorIiEiEEDaPvRmT3_T4_T5_mT6_P12ihipStream_tbENKUlT_T0_E_clISt17integral_constantIbLb0EEST_IbLb1EEEEDaSP_SQ_EUlSP_E_NS1_11comp_targetILNS1_3genE3ELNS1_11target_archE908ELNS1_3gpuE7ELNS1_3repE0EEENS1_30default_config_static_selectorELNS0_4arch9wavefront6targetE1EEEvT1_
		.amdhsa_group_segment_fixed_size 0
		.amdhsa_private_segment_fixed_size 0
		.amdhsa_kernarg_size 96
		.amdhsa_user_sgpr_count 6
		.amdhsa_user_sgpr_private_segment_buffer 1
		.amdhsa_user_sgpr_dispatch_ptr 0
		.amdhsa_user_sgpr_queue_ptr 0
		.amdhsa_user_sgpr_kernarg_segment_ptr 1
		.amdhsa_user_sgpr_dispatch_id 0
		.amdhsa_user_sgpr_flat_scratch_init 0
		.amdhsa_user_sgpr_kernarg_preload_length 0
		.amdhsa_user_sgpr_kernarg_preload_offset 0
		.amdhsa_user_sgpr_private_segment_size 0
		.amdhsa_uses_dynamic_stack 0
		.amdhsa_system_sgpr_private_segment_wavefront_offset 0
		.amdhsa_system_sgpr_workgroup_id_x 1
		.amdhsa_system_sgpr_workgroup_id_y 0
		.amdhsa_system_sgpr_workgroup_id_z 0
		.amdhsa_system_sgpr_workgroup_info 0
		.amdhsa_system_vgpr_workitem_id 0
		.amdhsa_next_free_vgpr 1
		.amdhsa_next_free_sgpr 0
		.amdhsa_accum_offset 4
		.amdhsa_reserve_vcc 0
		.amdhsa_reserve_flat_scratch 0
		.amdhsa_float_round_mode_32 0
		.amdhsa_float_round_mode_16_64 0
		.amdhsa_float_denorm_mode_32 3
		.amdhsa_float_denorm_mode_16_64 3
		.amdhsa_dx10_clamp 1
		.amdhsa_ieee_mode 1
		.amdhsa_fp16_overflow 0
		.amdhsa_tg_split 0
		.amdhsa_exception_fp_ieee_invalid_op 0
		.amdhsa_exception_fp_denorm_src 0
		.amdhsa_exception_fp_ieee_div_zero 0
		.amdhsa_exception_fp_ieee_overflow 0
		.amdhsa_exception_fp_ieee_underflow 0
		.amdhsa_exception_fp_ieee_inexact 0
		.amdhsa_exception_int_div_zero 0
	.end_amdhsa_kernel
	.section	.text._ZN7rocprim17ROCPRIM_400000_NS6detail17trampoline_kernelINS0_14default_configENS1_20scan_config_selectorIiEEZZNS1_9scan_implILNS1_25lookback_scan_determinismE0ELb0ELb0ES3_N6thrust23THRUST_200600_302600_NS6detail15normal_iteratorINS9_10device_ptrIiEEEESE_i11max_functorIiEiEEDaPvRmT3_T4_T5_mT6_P12ihipStream_tbENKUlT_T0_E_clISt17integral_constantIbLb0EEST_IbLb1EEEEDaSP_SQ_EUlSP_E_NS1_11comp_targetILNS1_3genE3ELNS1_11target_archE908ELNS1_3gpuE7ELNS1_3repE0EEENS1_30default_config_static_selectorELNS0_4arch9wavefront6targetE1EEEvT1_,"axG",@progbits,_ZN7rocprim17ROCPRIM_400000_NS6detail17trampoline_kernelINS0_14default_configENS1_20scan_config_selectorIiEEZZNS1_9scan_implILNS1_25lookback_scan_determinismE0ELb0ELb0ES3_N6thrust23THRUST_200600_302600_NS6detail15normal_iteratorINS9_10device_ptrIiEEEESE_i11max_functorIiEiEEDaPvRmT3_T4_T5_mT6_P12ihipStream_tbENKUlT_T0_E_clISt17integral_constantIbLb0EEST_IbLb1EEEEDaSP_SQ_EUlSP_E_NS1_11comp_targetILNS1_3genE3ELNS1_11target_archE908ELNS1_3gpuE7ELNS1_3repE0EEENS1_30default_config_static_selectorELNS0_4arch9wavefront6targetE1EEEvT1_,comdat
.Lfunc_end2759:
	.size	_ZN7rocprim17ROCPRIM_400000_NS6detail17trampoline_kernelINS0_14default_configENS1_20scan_config_selectorIiEEZZNS1_9scan_implILNS1_25lookback_scan_determinismE0ELb0ELb0ES3_N6thrust23THRUST_200600_302600_NS6detail15normal_iteratorINS9_10device_ptrIiEEEESE_i11max_functorIiEiEEDaPvRmT3_T4_T5_mT6_P12ihipStream_tbENKUlT_T0_E_clISt17integral_constantIbLb0EEST_IbLb1EEEEDaSP_SQ_EUlSP_E_NS1_11comp_targetILNS1_3genE3ELNS1_11target_archE908ELNS1_3gpuE7ELNS1_3repE0EEENS1_30default_config_static_selectorELNS0_4arch9wavefront6targetE1EEEvT1_, .Lfunc_end2759-_ZN7rocprim17ROCPRIM_400000_NS6detail17trampoline_kernelINS0_14default_configENS1_20scan_config_selectorIiEEZZNS1_9scan_implILNS1_25lookback_scan_determinismE0ELb0ELb0ES3_N6thrust23THRUST_200600_302600_NS6detail15normal_iteratorINS9_10device_ptrIiEEEESE_i11max_functorIiEiEEDaPvRmT3_T4_T5_mT6_P12ihipStream_tbENKUlT_T0_E_clISt17integral_constantIbLb0EEST_IbLb1EEEEDaSP_SQ_EUlSP_E_NS1_11comp_targetILNS1_3genE3ELNS1_11target_archE908ELNS1_3gpuE7ELNS1_3repE0EEENS1_30default_config_static_selectorELNS0_4arch9wavefront6targetE1EEEvT1_
                                        ; -- End function
	.section	.AMDGPU.csdata,"",@progbits
; Kernel info:
; codeLenInByte = 0
; NumSgprs: 4
; NumVgprs: 0
; NumAgprs: 0
; TotalNumVgprs: 0
; ScratchSize: 0
; MemoryBound: 0
; FloatMode: 240
; IeeeMode: 1
; LDSByteSize: 0 bytes/workgroup (compile time only)
; SGPRBlocks: 0
; VGPRBlocks: 0
; NumSGPRsForWavesPerEU: 4
; NumVGPRsForWavesPerEU: 1
; AccumOffset: 4
; Occupancy: 8
; WaveLimiterHint : 0
; COMPUTE_PGM_RSRC2:SCRATCH_EN: 0
; COMPUTE_PGM_RSRC2:USER_SGPR: 6
; COMPUTE_PGM_RSRC2:TRAP_HANDLER: 0
; COMPUTE_PGM_RSRC2:TGID_X_EN: 1
; COMPUTE_PGM_RSRC2:TGID_Y_EN: 0
; COMPUTE_PGM_RSRC2:TGID_Z_EN: 0
; COMPUTE_PGM_RSRC2:TIDIG_COMP_CNT: 0
; COMPUTE_PGM_RSRC3_GFX90A:ACCUM_OFFSET: 0
; COMPUTE_PGM_RSRC3_GFX90A:TG_SPLIT: 0
	.section	.text._ZN7rocprim17ROCPRIM_400000_NS6detail17trampoline_kernelINS0_14default_configENS1_20scan_config_selectorIiEEZZNS1_9scan_implILNS1_25lookback_scan_determinismE0ELb0ELb0ES3_N6thrust23THRUST_200600_302600_NS6detail15normal_iteratorINS9_10device_ptrIiEEEESE_i11max_functorIiEiEEDaPvRmT3_T4_T5_mT6_P12ihipStream_tbENKUlT_T0_E_clISt17integral_constantIbLb0EEST_IbLb1EEEEDaSP_SQ_EUlSP_E_NS1_11comp_targetILNS1_3genE2ELNS1_11target_archE906ELNS1_3gpuE6ELNS1_3repE0EEENS1_30default_config_static_selectorELNS0_4arch9wavefront6targetE1EEEvT1_,"axG",@progbits,_ZN7rocprim17ROCPRIM_400000_NS6detail17trampoline_kernelINS0_14default_configENS1_20scan_config_selectorIiEEZZNS1_9scan_implILNS1_25lookback_scan_determinismE0ELb0ELb0ES3_N6thrust23THRUST_200600_302600_NS6detail15normal_iteratorINS9_10device_ptrIiEEEESE_i11max_functorIiEiEEDaPvRmT3_T4_T5_mT6_P12ihipStream_tbENKUlT_T0_E_clISt17integral_constantIbLb0EEST_IbLb1EEEEDaSP_SQ_EUlSP_E_NS1_11comp_targetILNS1_3genE2ELNS1_11target_archE906ELNS1_3gpuE6ELNS1_3repE0EEENS1_30default_config_static_selectorELNS0_4arch9wavefront6targetE1EEEvT1_,comdat
	.protected	_ZN7rocprim17ROCPRIM_400000_NS6detail17trampoline_kernelINS0_14default_configENS1_20scan_config_selectorIiEEZZNS1_9scan_implILNS1_25lookback_scan_determinismE0ELb0ELb0ES3_N6thrust23THRUST_200600_302600_NS6detail15normal_iteratorINS9_10device_ptrIiEEEESE_i11max_functorIiEiEEDaPvRmT3_T4_T5_mT6_P12ihipStream_tbENKUlT_T0_E_clISt17integral_constantIbLb0EEST_IbLb1EEEEDaSP_SQ_EUlSP_E_NS1_11comp_targetILNS1_3genE2ELNS1_11target_archE906ELNS1_3gpuE6ELNS1_3repE0EEENS1_30default_config_static_selectorELNS0_4arch9wavefront6targetE1EEEvT1_ ; -- Begin function _ZN7rocprim17ROCPRIM_400000_NS6detail17trampoline_kernelINS0_14default_configENS1_20scan_config_selectorIiEEZZNS1_9scan_implILNS1_25lookback_scan_determinismE0ELb0ELb0ES3_N6thrust23THRUST_200600_302600_NS6detail15normal_iteratorINS9_10device_ptrIiEEEESE_i11max_functorIiEiEEDaPvRmT3_T4_T5_mT6_P12ihipStream_tbENKUlT_T0_E_clISt17integral_constantIbLb0EEST_IbLb1EEEEDaSP_SQ_EUlSP_E_NS1_11comp_targetILNS1_3genE2ELNS1_11target_archE906ELNS1_3gpuE6ELNS1_3repE0EEENS1_30default_config_static_selectorELNS0_4arch9wavefront6targetE1EEEvT1_
	.globl	_ZN7rocprim17ROCPRIM_400000_NS6detail17trampoline_kernelINS0_14default_configENS1_20scan_config_selectorIiEEZZNS1_9scan_implILNS1_25lookback_scan_determinismE0ELb0ELb0ES3_N6thrust23THRUST_200600_302600_NS6detail15normal_iteratorINS9_10device_ptrIiEEEESE_i11max_functorIiEiEEDaPvRmT3_T4_T5_mT6_P12ihipStream_tbENKUlT_T0_E_clISt17integral_constantIbLb0EEST_IbLb1EEEEDaSP_SQ_EUlSP_E_NS1_11comp_targetILNS1_3genE2ELNS1_11target_archE906ELNS1_3gpuE6ELNS1_3repE0EEENS1_30default_config_static_selectorELNS0_4arch9wavefront6targetE1EEEvT1_
	.p2align	8
	.type	_ZN7rocprim17ROCPRIM_400000_NS6detail17trampoline_kernelINS0_14default_configENS1_20scan_config_selectorIiEEZZNS1_9scan_implILNS1_25lookback_scan_determinismE0ELb0ELb0ES3_N6thrust23THRUST_200600_302600_NS6detail15normal_iteratorINS9_10device_ptrIiEEEESE_i11max_functorIiEiEEDaPvRmT3_T4_T5_mT6_P12ihipStream_tbENKUlT_T0_E_clISt17integral_constantIbLb0EEST_IbLb1EEEEDaSP_SQ_EUlSP_E_NS1_11comp_targetILNS1_3genE2ELNS1_11target_archE906ELNS1_3gpuE6ELNS1_3repE0EEENS1_30default_config_static_selectorELNS0_4arch9wavefront6targetE1EEEvT1_,@function
_ZN7rocprim17ROCPRIM_400000_NS6detail17trampoline_kernelINS0_14default_configENS1_20scan_config_selectorIiEEZZNS1_9scan_implILNS1_25lookback_scan_determinismE0ELb0ELb0ES3_N6thrust23THRUST_200600_302600_NS6detail15normal_iteratorINS9_10device_ptrIiEEEESE_i11max_functorIiEiEEDaPvRmT3_T4_T5_mT6_P12ihipStream_tbENKUlT_T0_E_clISt17integral_constantIbLb0EEST_IbLb1EEEEDaSP_SQ_EUlSP_E_NS1_11comp_targetILNS1_3genE2ELNS1_11target_archE906ELNS1_3gpuE6ELNS1_3repE0EEENS1_30default_config_static_selectorELNS0_4arch9wavefront6targetE1EEEvT1_: ; @_ZN7rocprim17ROCPRIM_400000_NS6detail17trampoline_kernelINS0_14default_configENS1_20scan_config_selectorIiEEZZNS1_9scan_implILNS1_25lookback_scan_determinismE0ELb0ELb0ES3_N6thrust23THRUST_200600_302600_NS6detail15normal_iteratorINS9_10device_ptrIiEEEESE_i11max_functorIiEiEEDaPvRmT3_T4_T5_mT6_P12ihipStream_tbENKUlT_T0_E_clISt17integral_constantIbLb0EEST_IbLb1EEEEDaSP_SQ_EUlSP_E_NS1_11comp_targetILNS1_3genE2ELNS1_11target_archE906ELNS1_3gpuE6ELNS1_3repE0EEENS1_30default_config_static_selectorELNS0_4arch9wavefront6targetE1EEEvT1_
; %bb.0:
	.section	.rodata,"a",@progbits
	.p2align	6, 0x0
	.amdhsa_kernel _ZN7rocprim17ROCPRIM_400000_NS6detail17trampoline_kernelINS0_14default_configENS1_20scan_config_selectorIiEEZZNS1_9scan_implILNS1_25lookback_scan_determinismE0ELb0ELb0ES3_N6thrust23THRUST_200600_302600_NS6detail15normal_iteratorINS9_10device_ptrIiEEEESE_i11max_functorIiEiEEDaPvRmT3_T4_T5_mT6_P12ihipStream_tbENKUlT_T0_E_clISt17integral_constantIbLb0EEST_IbLb1EEEEDaSP_SQ_EUlSP_E_NS1_11comp_targetILNS1_3genE2ELNS1_11target_archE906ELNS1_3gpuE6ELNS1_3repE0EEENS1_30default_config_static_selectorELNS0_4arch9wavefront6targetE1EEEvT1_
		.amdhsa_group_segment_fixed_size 0
		.amdhsa_private_segment_fixed_size 0
		.amdhsa_kernarg_size 96
		.amdhsa_user_sgpr_count 6
		.amdhsa_user_sgpr_private_segment_buffer 1
		.amdhsa_user_sgpr_dispatch_ptr 0
		.amdhsa_user_sgpr_queue_ptr 0
		.amdhsa_user_sgpr_kernarg_segment_ptr 1
		.amdhsa_user_sgpr_dispatch_id 0
		.amdhsa_user_sgpr_flat_scratch_init 0
		.amdhsa_user_sgpr_kernarg_preload_length 0
		.amdhsa_user_sgpr_kernarg_preload_offset 0
		.amdhsa_user_sgpr_private_segment_size 0
		.amdhsa_uses_dynamic_stack 0
		.amdhsa_system_sgpr_private_segment_wavefront_offset 0
		.amdhsa_system_sgpr_workgroup_id_x 1
		.amdhsa_system_sgpr_workgroup_id_y 0
		.amdhsa_system_sgpr_workgroup_id_z 0
		.amdhsa_system_sgpr_workgroup_info 0
		.amdhsa_system_vgpr_workitem_id 0
		.amdhsa_next_free_vgpr 1
		.amdhsa_next_free_sgpr 0
		.amdhsa_accum_offset 4
		.amdhsa_reserve_vcc 0
		.amdhsa_reserve_flat_scratch 0
		.amdhsa_float_round_mode_32 0
		.amdhsa_float_round_mode_16_64 0
		.amdhsa_float_denorm_mode_32 3
		.amdhsa_float_denorm_mode_16_64 3
		.amdhsa_dx10_clamp 1
		.amdhsa_ieee_mode 1
		.amdhsa_fp16_overflow 0
		.amdhsa_tg_split 0
		.amdhsa_exception_fp_ieee_invalid_op 0
		.amdhsa_exception_fp_denorm_src 0
		.amdhsa_exception_fp_ieee_div_zero 0
		.amdhsa_exception_fp_ieee_overflow 0
		.amdhsa_exception_fp_ieee_underflow 0
		.amdhsa_exception_fp_ieee_inexact 0
		.amdhsa_exception_int_div_zero 0
	.end_amdhsa_kernel
	.section	.text._ZN7rocprim17ROCPRIM_400000_NS6detail17trampoline_kernelINS0_14default_configENS1_20scan_config_selectorIiEEZZNS1_9scan_implILNS1_25lookback_scan_determinismE0ELb0ELb0ES3_N6thrust23THRUST_200600_302600_NS6detail15normal_iteratorINS9_10device_ptrIiEEEESE_i11max_functorIiEiEEDaPvRmT3_T4_T5_mT6_P12ihipStream_tbENKUlT_T0_E_clISt17integral_constantIbLb0EEST_IbLb1EEEEDaSP_SQ_EUlSP_E_NS1_11comp_targetILNS1_3genE2ELNS1_11target_archE906ELNS1_3gpuE6ELNS1_3repE0EEENS1_30default_config_static_selectorELNS0_4arch9wavefront6targetE1EEEvT1_,"axG",@progbits,_ZN7rocprim17ROCPRIM_400000_NS6detail17trampoline_kernelINS0_14default_configENS1_20scan_config_selectorIiEEZZNS1_9scan_implILNS1_25lookback_scan_determinismE0ELb0ELb0ES3_N6thrust23THRUST_200600_302600_NS6detail15normal_iteratorINS9_10device_ptrIiEEEESE_i11max_functorIiEiEEDaPvRmT3_T4_T5_mT6_P12ihipStream_tbENKUlT_T0_E_clISt17integral_constantIbLb0EEST_IbLb1EEEEDaSP_SQ_EUlSP_E_NS1_11comp_targetILNS1_3genE2ELNS1_11target_archE906ELNS1_3gpuE6ELNS1_3repE0EEENS1_30default_config_static_selectorELNS0_4arch9wavefront6targetE1EEEvT1_,comdat
.Lfunc_end2760:
	.size	_ZN7rocprim17ROCPRIM_400000_NS6detail17trampoline_kernelINS0_14default_configENS1_20scan_config_selectorIiEEZZNS1_9scan_implILNS1_25lookback_scan_determinismE0ELb0ELb0ES3_N6thrust23THRUST_200600_302600_NS6detail15normal_iteratorINS9_10device_ptrIiEEEESE_i11max_functorIiEiEEDaPvRmT3_T4_T5_mT6_P12ihipStream_tbENKUlT_T0_E_clISt17integral_constantIbLb0EEST_IbLb1EEEEDaSP_SQ_EUlSP_E_NS1_11comp_targetILNS1_3genE2ELNS1_11target_archE906ELNS1_3gpuE6ELNS1_3repE0EEENS1_30default_config_static_selectorELNS0_4arch9wavefront6targetE1EEEvT1_, .Lfunc_end2760-_ZN7rocprim17ROCPRIM_400000_NS6detail17trampoline_kernelINS0_14default_configENS1_20scan_config_selectorIiEEZZNS1_9scan_implILNS1_25lookback_scan_determinismE0ELb0ELb0ES3_N6thrust23THRUST_200600_302600_NS6detail15normal_iteratorINS9_10device_ptrIiEEEESE_i11max_functorIiEiEEDaPvRmT3_T4_T5_mT6_P12ihipStream_tbENKUlT_T0_E_clISt17integral_constantIbLb0EEST_IbLb1EEEEDaSP_SQ_EUlSP_E_NS1_11comp_targetILNS1_3genE2ELNS1_11target_archE906ELNS1_3gpuE6ELNS1_3repE0EEENS1_30default_config_static_selectorELNS0_4arch9wavefront6targetE1EEEvT1_
                                        ; -- End function
	.section	.AMDGPU.csdata,"",@progbits
; Kernel info:
; codeLenInByte = 0
; NumSgprs: 4
; NumVgprs: 0
; NumAgprs: 0
; TotalNumVgprs: 0
; ScratchSize: 0
; MemoryBound: 0
; FloatMode: 240
; IeeeMode: 1
; LDSByteSize: 0 bytes/workgroup (compile time only)
; SGPRBlocks: 0
; VGPRBlocks: 0
; NumSGPRsForWavesPerEU: 4
; NumVGPRsForWavesPerEU: 1
; AccumOffset: 4
; Occupancy: 8
; WaveLimiterHint : 0
; COMPUTE_PGM_RSRC2:SCRATCH_EN: 0
; COMPUTE_PGM_RSRC2:USER_SGPR: 6
; COMPUTE_PGM_RSRC2:TRAP_HANDLER: 0
; COMPUTE_PGM_RSRC2:TGID_X_EN: 1
; COMPUTE_PGM_RSRC2:TGID_Y_EN: 0
; COMPUTE_PGM_RSRC2:TGID_Z_EN: 0
; COMPUTE_PGM_RSRC2:TIDIG_COMP_CNT: 0
; COMPUTE_PGM_RSRC3_GFX90A:ACCUM_OFFSET: 0
; COMPUTE_PGM_RSRC3_GFX90A:TG_SPLIT: 0
	.section	.text._ZN7rocprim17ROCPRIM_400000_NS6detail17trampoline_kernelINS0_14default_configENS1_20scan_config_selectorIiEEZZNS1_9scan_implILNS1_25lookback_scan_determinismE0ELb0ELb0ES3_N6thrust23THRUST_200600_302600_NS6detail15normal_iteratorINS9_10device_ptrIiEEEESE_i11max_functorIiEiEEDaPvRmT3_T4_T5_mT6_P12ihipStream_tbENKUlT_T0_E_clISt17integral_constantIbLb0EEST_IbLb1EEEEDaSP_SQ_EUlSP_E_NS1_11comp_targetILNS1_3genE10ELNS1_11target_archE1201ELNS1_3gpuE5ELNS1_3repE0EEENS1_30default_config_static_selectorELNS0_4arch9wavefront6targetE1EEEvT1_,"axG",@progbits,_ZN7rocprim17ROCPRIM_400000_NS6detail17trampoline_kernelINS0_14default_configENS1_20scan_config_selectorIiEEZZNS1_9scan_implILNS1_25lookback_scan_determinismE0ELb0ELb0ES3_N6thrust23THRUST_200600_302600_NS6detail15normal_iteratorINS9_10device_ptrIiEEEESE_i11max_functorIiEiEEDaPvRmT3_T4_T5_mT6_P12ihipStream_tbENKUlT_T0_E_clISt17integral_constantIbLb0EEST_IbLb1EEEEDaSP_SQ_EUlSP_E_NS1_11comp_targetILNS1_3genE10ELNS1_11target_archE1201ELNS1_3gpuE5ELNS1_3repE0EEENS1_30default_config_static_selectorELNS0_4arch9wavefront6targetE1EEEvT1_,comdat
	.protected	_ZN7rocprim17ROCPRIM_400000_NS6detail17trampoline_kernelINS0_14default_configENS1_20scan_config_selectorIiEEZZNS1_9scan_implILNS1_25lookback_scan_determinismE0ELb0ELb0ES3_N6thrust23THRUST_200600_302600_NS6detail15normal_iteratorINS9_10device_ptrIiEEEESE_i11max_functorIiEiEEDaPvRmT3_T4_T5_mT6_P12ihipStream_tbENKUlT_T0_E_clISt17integral_constantIbLb0EEST_IbLb1EEEEDaSP_SQ_EUlSP_E_NS1_11comp_targetILNS1_3genE10ELNS1_11target_archE1201ELNS1_3gpuE5ELNS1_3repE0EEENS1_30default_config_static_selectorELNS0_4arch9wavefront6targetE1EEEvT1_ ; -- Begin function _ZN7rocprim17ROCPRIM_400000_NS6detail17trampoline_kernelINS0_14default_configENS1_20scan_config_selectorIiEEZZNS1_9scan_implILNS1_25lookback_scan_determinismE0ELb0ELb0ES3_N6thrust23THRUST_200600_302600_NS6detail15normal_iteratorINS9_10device_ptrIiEEEESE_i11max_functorIiEiEEDaPvRmT3_T4_T5_mT6_P12ihipStream_tbENKUlT_T0_E_clISt17integral_constantIbLb0EEST_IbLb1EEEEDaSP_SQ_EUlSP_E_NS1_11comp_targetILNS1_3genE10ELNS1_11target_archE1201ELNS1_3gpuE5ELNS1_3repE0EEENS1_30default_config_static_selectorELNS0_4arch9wavefront6targetE1EEEvT1_
	.globl	_ZN7rocprim17ROCPRIM_400000_NS6detail17trampoline_kernelINS0_14default_configENS1_20scan_config_selectorIiEEZZNS1_9scan_implILNS1_25lookback_scan_determinismE0ELb0ELb0ES3_N6thrust23THRUST_200600_302600_NS6detail15normal_iteratorINS9_10device_ptrIiEEEESE_i11max_functorIiEiEEDaPvRmT3_T4_T5_mT6_P12ihipStream_tbENKUlT_T0_E_clISt17integral_constantIbLb0EEST_IbLb1EEEEDaSP_SQ_EUlSP_E_NS1_11comp_targetILNS1_3genE10ELNS1_11target_archE1201ELNS1_3gpuE5ELNS1_3repE0EEENS1_30default_config_static_selectorELNS0_4arch9wavefront6targetE1EEEvT1_
	.p2align	8
	.type	_ZN7rocprim17ROCPRIM_400000_NS6detail17trampoline_kernelINS0_14default_configENS1_20scan_config_selectorIiEEZZNS1_9scan_implILNS1_25lookback_scan_determinismE0ELb0ELb0ES3_N6thrust23THRUST_200600_302600_NS6detail15normal_iteratorINS9_10device_ptrIiEEEESE_i11max_functorIiEiEEDaPvRmT3_T4_T5_mT6_P12ihipStream_tbENKUlT_T0_E_clISt17integral_constantIbLb0EEST_IbLb1EEEEDaSP_SQ_EUlSP_E_NS1_11comp_targetILNS1_3genE10ELNS1_11target_archE1201ELNS1_3gpuE5ELNS1_3repE0EEENS1_30default_config_static_selectorELNS0_4arch9wavefront6targetE1EEEvT1_,@function
_ZN7rocprim17ROCPRIM_400000_NS6detail17trampoline_kernelINS0_14default_configENS1_20scan_config_selectorIiEEZZNS1_9scan_implILNS1_25lookback_scan_determinismE0ELb0ELb0ES3_N6thrust23THRUST_200600_302600_NS6detail15normal_iteratorINS9_10device_ptrIiEEEESE_i11max_functorIiEiEEDaPvRmT3_T4_T5_mT6_P12ihipStream_tbENKUlT_T0_E_clISt17integral_constantIbLb0EEST_IbLb1EEEEDaSP_SQ_EUlSP_E_NS1_11comp_targetILNS1_3genE10ELNS1_11target_archE1201ELNS1_3gpuE5ELNS1_3repE0EEENS1_30default_config_static_selectorELNS0_4arch9wavefront6targetE1EEEvT1_: ; @_ZN7rocprim17ROCPRIM_400000_NS6detail17trampoline_kernelINS0_14default_configENS1_20scan_config_selectorIiEEZZNS1_9scan_implILNS1_25lookback_scan_determinismE0ELb0ELb0ES3_N6thrust23THRUST_200600_302600_NS6detail15normal_iteratorINS9_10device_ptrIiEEEESE_i11max_functorIiEiEEDaPvRmT3_T4_T5_mT6_P12ihipStream_tbENKUlT_T0_E_clISt17integral_constantIbLb0EEST_IbLb1EEEEDaSP_SQ_EUlSP_E_NS1_11comp_targetILNS1_3genE10ELNS1_11target_archE1201ELNS1_3gpuE5ELNS1_3repE0EEENS1_30default_config_static_selectorELNS0_4arch9wavefront6targetE1EEEvT1_
; %bb.0:
	.section	.rodata,"a",@progbits
	.p2align	6, 0x0
	.amdhsa_kernel _ZN7rocprim17ROCPRIM_400000_NS6detail17trampoline_kernelINS0_14default_configENS1_20scan_config_selectorIiEEZZNS1_9scan_implILNS1_25lookback_scan_determinismE0ELb0ELb0ES3_N6thrust23THRUST_200600_302600_NS6detail15normal_iteratorINS9_10device_ptrIiEEEESE_i11max_functorIiEiEEDaPvRmT3_T4_T5_mT6_P12ihipStream_tbENKUlT_T0_E_clISt17integral_constantIbLb0EEST_IbLb1EEEEDaSP_SQ_EUlSP_E_NS1_11comp_targetILNS1_3genE10ELNS1_11target_archE1201ELNS1_3gpuE5ELNS1_3repE0EEENS1_30default_config_static_selectorELNS0_4arch9wavefront6targetE1EEEvT1_
		.amdhsa_group_segment_fixed_size 0
		.amdhsa_private_segment_fixed_size 0
		.amdhsa_kernarg_size 96
		.amdhsa_user_sgpr_count 6
		.amdhsa_user_sgpr_private_segment_buffer 1
		.amdhsa_user_sgpr_dispatch_ptr 0
		.amdhsa_user_sgpr_queue_ptr 0
		.amdhsa_user_sgpr_kernarg_segment_ptr 1
		.amdhsa_user_sgpr_dispatch_id 0
		.amdhsa_user_sgpr_flat_scratch_init 0
		.amdhsa_user_sgpr_kernarg_preload_length 0
		.amdhsa_user_sgpr_kernarg_preload_offset 0
		.amdhsa_user_sgpr_private_segment_size 0
		.amdhsa_uses_dynamic_stack 0
		.amdhsa_system_sgpr_private_segment_wavefront_offset 0
		.amdhsa_system_sgpr_workgroup_id_x 1
		.amdhsa_system_sgpr_workgroup_id_y 0
		.amdhsa_system_sgpr_workgroup_id_z 0
		.amdhsa_system_sgpr_workgroup_info 0
		.amdhsa_system_vgpr_workitem_id 0
		.amdhsa_next_free_vgpr 1
		.amdhsa_next_free_sgpr 0
		.amdhsa_accum_offset 4
		.amdhsa_reserve_vcc 0
		.amdhsa_reserve_flat_scratch 0
		.amdhsa_float_round_mode_32 0
		.amdhsa_float_round_mode_16_64 0
		.amdhsa_float_denorm_mode_32 3
		.amdhsa_float_denorm_mode_16_64 3
		.amdhsa_dx10_clamp 1
		.amdhsa_ieee_mode 1
		.amdhsa_fp16_overflow 0
		.amdhsa_tg_split 0
		.amdhsa_exception_fp_ieee_invalid_op 0
		.amdhsa_exception_fp_denorm_src 0
		.amdhsa_exception_fp_ieee_div_zero 0
		.amdhsa_exception_fp_ieee_overflow 0
		.amdhsa_exception_fp_ieee_underflow 0
		.amdhsa_exception_fp_ieee_inexact 0
		.amdhsa_exception_int_div_zero 0
	.end_amdhsa_kernel
	.section	.text._ZN7rocprim17ROCPRIM_400000_NS6detail17trampoline_kernelINS0_14default_configENS1_20scan_config_selectorIiEEZZNS1_9scan_implILNS1_25lookback_scan_determinismE0ELb0ELb0ES3_N6thrust23THRUST_200600_302600_NS6detail15normal_iteratorINS9_10device_ptrIiEEEESE_i11max_functorIiEiEEDaPvRmT3_T4_T5_mT6_P12ihipStream_tbENKUlT_T0_E_clISt17integral_constantIbLb0EEST_IbLb1EEEEDaSP_SQ_EUlSP_E_NS1_11comp_targetILNS1_3genE10ELNS1_11target_archE1201ELNS1_3gpuE5ELNS1_3repE0EEENS1_30default_config_static_selectorELNS0_4arch9wavefront6targetE1EEEvT1_,"axG",@progbits,_ZN7rocprim17ROCPRIM_400000_NS6detail17trampoline_kernelINS0_14default_configENS1_20scan_config_selectorIiEEZZNS1_9scan_implILNS1_25lookback_scan_determinismE0ELb0ELb0ES3_N6thrust23THRUST_200600_302600_NS6detail15normal_iteratorINS9_10device_ptrIiEEEESE_i11max_functorIiEiEEDaPvRmT3_T4_T5_mT6_P12ihipStream_tbENKUlT_T0_E_clISt17integral_constantIbLb0EEST_IbLb1EEEEDaSP_SQ_EUlSP_E_NS1_11comp_targetILNS1_3genE10ELNS1_11target_archE1201ELNS1_3gpuE5ELNS1_3repE0EEENS1_30default_config_static_selectorELNS0_4arch9wavefront6targetE1EEEvT1_,comdat
.Lfunc_end2761:
	.size	_ZN7rocprim17ROCPRIM_400000_NS6detail17trampoline_kernelINS0_14default_configENS1_20scan_config_selectorIiEEZZNS1_9scan_implILNS1_25lookback_scan_determinismE0ELb0ELb0ES3_N6thrust23THRUST_200600_302600_NS6detail15normal_iteratorINS9_10device_ptrIiEEEESE_i11max_functorIiEiEEDaPvRmT3_T4_T5_mT6_P12ihipStream_tbENKUlT_T0_E_clISt17integral_constantIbLb0EEST_IbLb1EEEEDaSP_SQ_EUlSP_E_NS1_11comp_targetILNS1_3genE10ELNS1_11target_archE1201ELNS1_3gpuE5ELNS1_3repE0EEENS1_30default_config_static_selectorELNS0_4arch9wavefront6targetE1EEEvT1_, .Lfunc_end2761-_ZN7rocprim17ROCPRIM_400000_NS6detail17trampoline_kernelINS0_14default_configENS1_20scan_config_selectorIiEEZZNS1_9scan_implILNS1_25lookback_scan_determinismE0ELb0ELb0ES3_N6thrust23THRUST_200600_302600_NS6detail15normal_iteratorINS9_10device_ptrIiEEEESE_i11max_functorIiEiEEDaPvRmT3_T4_T5_mT6_P12ihipStream_tbENKUlT_T0_E_clISt17integral_constantIbLb0EEST_IbLb1EEEEDaSP_SQ_EUlSP_E_NS1_11comp_targetILNS1_3genE10ELNS1_11target_archE1201ELNS1_3gpuE5ELNS1_3repE0EEENS1_30default_config_static_selectorELNS0_4arch9wavefront6targetE1EEEvT1_
                                        ; -- End function
	.section	.AMDGPU.csdata,"",@progbits
; Kernel info:
; codeLenInByte = 0
; NumSgprs: 4
; NumVgprs: 0
; NumAgprs: 0
; TotalNumVgprs: 0
; ScratchSize: 0
; MemoryBound: 0
; FloatMode: 240
; IeeeMode: 1
; LDSByteSize: 0 bytes/workgroup (compile time only)
; SGPRBlocks: 0
; VGPRBlocks: 0
; NumSGPRsForWavesPerEU: 4
; NumVGPRsForWavesPerEU: 1
; AccumOffset: 4
; Occupancy: 8
; WaveLimiterHint : 0
; COMPUTE_PGM_RSRC2:SCRATCH_EN: 0
; COMPUTE_PGM_RSRC2:USER_SGPR: 6
; COMPUTE_PGM_RSRC2:TRAP_HANDLER: 0
; COMPUTE_PGM_RSRC2:TGID_X_EN: 1
; COMPUTE_PGM_RSRC2:TGID_Y_EN: 0
; COMPUTE_PGM_RSRC2:TGID_Z_EN: 0
; COMPUTE_PGM_RSRC2:TIDIG_COMP_CNT: 0
; COMPUTE_PGM_RSRC3_GFX90A:ACCUM_OFFSET: 0
; COMPUTE_PGM_RSRC3_GFX90A:TG_SPLIT: 0
	.section	.text._ZN7rocprim17ROCPRIM_400000_NS6detail17trampoline_kernelINS0_14default_configENS1_20scan_config_selectorIiEEZZNS1_9scan_implILNS1_25lookback_scan_determinismE0ELb0ELb0ES3_N6thrust23THRUST_200600_302600_NS6detail15normal_iteratorINS9_10device_ptrIiEEEESE_i11max_functorIiEiEEDaPvRmT3_T4_T5_mT6_P12ihipStream_tbENKUlT_T0_E_clISt17integral_constantIbLb0EEST_IbLb1EEEEDaSP_SQ_EUlSP_E_NS1_11comp_targetILNS1_3genE10ELNS1_11target_archE1200ELNS1_3gpuE4ELNS1_3repE0EEENS1_30default_config_static_selectorELNS0_4arch9wavefront6targetE1EEEvT1_,"axG",@progbits,_ZN7rocprim17ROCPRIM_400000_NS6detail17trampoline_kernelINS0_14default_configENS1_20scan_config_selectorIiEEZZNS1_9scan_implILNS1_25lookback_scan_determinismE0ELb0ELb0ES3_N6thrust23THRUST_200600_302600_NS6detail15normal_iteratorINS9_10device_ptrIiEEEESE_i11max_functorIiEiEEDaPvRmT3_T4_T5_mT6_P12ihipStream_tbENKUlT_T0_E_clISt17integral_constantIbLb0EEST_IbLb1EEEEDaSP_SQ_EUlSP_E_NS1_11comp_targetILNS1_3genE10ELNS1_11target_archE1200ELNS1_3gpuE4ELNS1_3repE0EEENS1_30default_config_static_selectorELNS0_4arch9wavefront6targetE1EEEvT1_,comdat
	.protected	_ZN7rocprim17ROCPRIM_400000_NS6detail17trampoline_kernelINS0_14default_configENS1_20scan_config_selectorIiEEZZNS1_9scan_implILNS1_25lookback_scan_determinismE0ELb0ELb0ES3_N6thrust23THRUST_200600_302600_NS6detail15normal_iteratorINS9_10device_ptrIiEEEESE_i11max_functorIiEiEEDaPvRmT3_T4_T5_mT6_P12ihipStream_tbENKUlT_T0_E_clISt17integral_constantIbLb0EEST_IbLb1EEEEDaSP_SQ_EUlSP_E_NS1_11comp_targetILNS1_3genE10ELNS1_11target_archE1200ELNS1_3gpuE4ELNS1_3repE0EEENS1_30default_config_static_selectorELNS0_4arch9wavefront6targetE1EEEvT1_ ; -- Begin function _ZN7rocprim17ROCPRIM_400000_NS6detail17trampoline_kernelINS0_14default_configENS1_20scan_config_selectorIiEEZZNS1_9scan_implILNS1_25lookback_scan_determinismE0ELb0ELb0ES3_N6thrust23THRUST_200600_302600_NS6detail15normal_iteratorINS9_10device_ptrIiEEEESE_i11max_functorIiEiEEDaPvRmT3_T4_T5_mT6_P12ihipStream_tbENKUlT_T0_E_clISt17integral_constantIbLb0EEST_IbLb1EEEEDaSP_SQ_EUlSP_E_NS1_11comp_targetILNS1_3genE10ELNS1_11target_archE1200ELNS1_3gpuE4ELNS1_3repE0EEENS1_30default_config_static_selectorELNS0_4arch9wavefront6targetE1EEEvT1_
	.globl	_ZN7rocprim17ROCPRIM_400000_NS6detail17trampoline_kernelINS0_14default_configENS1_20scan_config_selectorIiEEZZNS1_9scan_implILNS1_25lookback_scan_determinismE0ELb0ELb0ES3_N6thrust23THRUST_200600_302600_NS6detail15normal_iteratorINS9_10device_ptrIiEEEESE_i11max_functorIiEiEEDaPvRmT3_T4_T5_mT6_P12ihipStream_tbENKUlT_T0_E_clISt17integral_constantIbLb0EEST_IbLb1EEEEDaSP_SQ_EUlSP_E_NS1_11comp_targetILNS1_3genE10ELNS1_11target_archE1200ELNS1_3gpuE4ELNS1_3repE0EEENS1_30default_config_static_selectorELNS0_4arch9wavefront6targetE1EEEvT1_
	.p2align	8
	.type	_ZN7rocprim17ROCPRIM_400000_NS6detail17trampoline_kernelINS0_14default_configENS1_20scan_config_selectorIiEEZZNS1_9scan_implILNS1_25lookback_scan_determinismE0ELb0ELb0ES3_N6thrust23THRUST_200600_302600_NS6detail15normal_iteratorINS9_10device_ptrIiEEEESE_i11max_functorIiEiEEDaPvRmT3_T4_T5_mT6_P12ihipStream_tbENKUlT_T0_E_clISt17integral_constantIbLb0EEST_IbLb1EEEEDaSP_SQ_EUlSP_E_NS1_11comp_targetILNS1_3genE10ELNS1_11target_archE1200ELNS1_3gpuE4ELNS1_3repE0EEENS1_30default_config_static_selectorELNS0_4arch9wavefront6targetE1EEEvT1_,@function
_ZN7rocprim17ROCPRIM_400000_NS6detail17trampoline_kernelINS0_14default_configENS1_20scan_config_selectorIiEEZZNS1_9scan_implILNS1_25lookback_scan_determinismE0ELb0ELb0ES3_N6thrust23THRUST_200600_302600_NS6detail15normal_iteratorINS9_10device_ptrIiEEEESE_i11max_functorIiEiEEDaPvRmT3_T4_T5_mT6_P12ihipStream_tbENKUlT_T0_E_clISt17integral_constantIbLb0EEST_IbLb1EEEEDaSP_SQ_EUlSP_E_NS1_11comp_targetILNS1_3genE10ELNS1_11target_archE1200ELNS1_3gpuE4ELNS1_3repE0EEENS1_30default_config_static_selectorELNS0_4arch9wavefront6targetE1EEEvT1_: ; @_ZN7rocprim17ROCPRIM_400000_NS6detail17trampoline_kernelINS0_14default_configENS1_20scan_config_selectorIiEEZZNS1_9scan_implILNS1_25lookback_scan_determinismE0ELb0ELb0ES3_N6thrust23THRUST_200600_302600_NS6detail15normal_iteratorINS9_10device_ptrIiEEEESE_i11max_functorIiEiEEDaPvRmT3_T4_T5_mT6_P12ihipStream_tbENKUlT_T0_E_clISt17integral_constantIbLb0EEST_IbLb1EEEEDaSP_SQ_EUlSP_E_NS1_11comp_targetILNS1_3genE10ELNS1_11target_archE1200ELNS1_3gpuE4ELNS1_3repE0EEENS1_30default_config_static_selectorELNS0_4arch9wavefront6targetE1EEEvT1_
; %bb.0:
	.section	.rodata,"a",@progbits
	.p2align	6, 0x0
	.amdhsa_kernel _ZN7rocprim17ROCPRIM_400000_NS6detail17trampoline_kernelINS0_14default_configENS1_20scan_config_selectorIiEEZZNS1_9scan_implILNS1_25lookback_scan_determinismE0ELb0ELb0ES3_N6thrust23THRUST_200600_302600_NS6detail15normal_iteratorINS9_10device_ptrIiEEEESE_i11max_functorIiEiEEDaPvRmT3_T4_T5_mT6_P12ihipStream_tbENKUlT_T0_E_clISt17integral_constantIbLb0EEST_IbLb1EEEEDaSP_SQ_EUlSP_E_NS1_11comp_targetILNS1_3genE10ELNS1_11target_archE1200ELNS1_3gpuE4ELNS1_3repE0EEENS1_30default_config_static_selectorELNS0_4arch9wavefront6targetE1EEEvT1_
		.amdhsa_group_segment_fixed_size 0
		.amdhsa_private_segment_fixed_size 0
		.amdhsa_kernarg_size 96
		.amdhsa_user_sgpr_count 6
		.amdhsa_user_sgpr_private_segment_buffer 1
		.amdhsa_user_sgpr_dispatch_ptr 0
		.amdhsa_user_sgpr_queue_ptr 0
		.amdhsa_user_sgpr_kernarg_segment_ptr 1
		.amdhsa_user_sgpr_dispatch_id 0
		.amdhsa_user_sgpr_flat_scratch_init 0
		.amdhsa_user_sgpr_kernarg_preload_length 0
		.amdhsa_user_sgpr_kernarg_preload_offset 0
		.amdhsa_user_sgpr_private_segment_size 0
		.amdhsa_uses_dynamic_stack 0
		.amdhsa_system_sgpr_private_segment_wavefront_offset 0
		.amdhsa_system_sgpr_workgroup_id_x 1
		.amdhsa_system_sgpr_workgroup_id_y 0
		.amdhsa_system_sgpr_workgroup_id_z 0
		.amdhsa_system_sgpr_workgroup_info 0
		.amdhsa_system_vgpr_workitem_id 0
		.amdhsa_next_free_vgpr 1
		.amdhsa_next_free_sgpr 0
		.amdhsa_accum_offset 4
		.amdhsa_reserve_vcc 0
		.amdhsa_reserve_flat_scratch 0
		.amdhsa_float_round_mode_32 0
		.amdhsa_float_round_mode_16_64 0
		.amdhsa_float_denorm_mode_32 3
		.amdhsa_float_denorm_mode_16_64 3
		.amdhsa_dx10_clamp 1
		.amdhsa_ieee_mode 1
		.amdhsa_fp16_overflow 0
		.amdhsa_tg_split 0
		.amdhsa_exception_fp_ieee_invalid_op 0
		.amdhsa_exception_fp_denorm_src 0
		.amdhsa_exception_fp_ieee_div_zero 0
		.amdhsa_exception_fp_ieee_overflow 0
		.amdhsa_exception_fp_ieee_underflow 0
		.amdhsa_exception_fp_ieee_inexact 0
		.amdhsa_exception_int_div_zero 0
	.end_amdhsa_kernel
	.section	.text._ZN7rocprim17ROCPRIM_400000_NS6detail17trampoline_kernelINS0_14default_configENS1_20scan_config_selectorIiEEZZNS1_9scan_implILNS1_25lookback_scan_determinismE0ELb0ELb0ES3_N6thrust23THRUST_200600_302600_NS6detail15normal_iteratorINS9_10device_ptrIiEEEESE_i11max_functorIiEiEEDaPvRmT3_T4_T5_mT6_P12ihipStream_tbENKUlT_T0_E_clISt17integral_constantIbLb0EEST_IbLb1EEEEDaSP_SQ_EUlSP_E_NS1_11comp_targetILNS1_3genE10ELNS1_11target_archE1200ELNS1_3gpuE4ELNS1_3repE0EEENS1_30default_config_static_selectorELNS0_4arch9wavefront6targetE1EEEvT1_,"axG",@progbits,_ZN7rocprim17ROCPRIM_400000_NS6detail17trampoline_kernelINS0_14default_configENS1_20scan_config_selectorIiEEZZNS1_9scan_implILNS1_25lookback_scan_determinismE0ELb0ELb0ES3_N6thrust23THRUST_200600_302600_NS6detail15normal_iteratorINS9_10device_ptrIiEEEESE_i11max_functorIiEiEEDaPvRmT3_T4_T5_mT6_P12ihipStream_tbENKUlT_T0_E_clISt17integral_constantIbLb0EEST_IbLb1EEEEDaSP_SQ_EUlSP_E_NS1_11comp_targetILNS1_3genE10ELNS1_11target_archE1200ELNS1_3gpuE4ELNS1_3repE0EEENS1_30default_config_static_selectorELNS0_4arch9wavefront6targetE1EEEvT1_,comdat
.Lfunc_end2762:
	.size	_ZN7rocprim17ROCPRIM_400000_NS6detail17trampoline_kernelINS0_14default_configENS1_20scan_config_selectorIiEEZZNS1_9scan_implILNS1_25lookback_scan_determinismE0ELb0ELb0ES3_N6thrust23THRUST_200600_302600_NS6detail15normal_iteratorINS9_10device_ptrIiEEEESE_i11max_functorIiEiEEDaPvRmT3_T4_T5_mT6_P12ihipStream_tbENKUlT_T0_E_clISt17integral_constantIbLb0EEST_IbLb1EEEEDaSP_SQ_EUlSP_E_NS1_11comp_targetILNS1_3genE10ELNS1_11target_archE1200ELNS1_3gpuE4ELNS1_3repE0EEENS1_30default_config_static_selectorELNS0_4arch9wavefront6targetE1EEEvT1_, .Lfunc_end2762-_ZN7rocprim17ROCPRIM_400000_NS6detail17trampoline_kernelINS0_14default_configENS1_20scan_config_selectorIiEEZZNS1_9scan_implILNS1_25lookback_scan_determinismE0ELb0ELb0ES3_N6thrust23THRUST_200600_302600_NS6detail15normal_iteratorINS9_10device_ptrIiEEEESE_i11max_functorIiEiEEDaPvRmT3_T4_T5_mT6_P12ihipStream_tbENKUlT_T0_E_clISt17integral_constantIbLb0EEST_IbLb1EEEEDaSP_SQ_EUlSP_E_NS1_11comp_targetILNS1_3genE10ELNS1_11target_archE1200ELNS1_3gpuE4ELNS1_3repE0EEENS1_30default_config_static_selectorELNS0_4arch9wavefront6targetE1EEEvT1_
                                        ; -- End function
	.section	.AMDGPU.csdata,"",@progbits
; Kernel info:
; codeLenInByte = 0
; NumSgprs: 4
; NumVgprs: 0
; NumAgprs: 0
; TotalNumVgprs: 0
; ScratchSize: 0
; MemoryBound: 0
; FloatMode: 240
; IeeeMode: 1
; LDSByteSize: 0 bytes/workgroup (compile time only)
; SGPRBlocks: 0
; VGPRBlocks: 0
; NumSGPRsForWavesPerEU: 4
; NumVGPRsForWavesPerEU: 1
; AccumOffset: 4
; Occupancy: 8
; WaveLimiterHint : 0
; COMPUTE_PGM_RSRC2:SCRATCH_EN: 0
; COMPUTE_PGM_RSRC2:USER_SGPR: 6
; COMPUTE_PGM_RSRC2:TRAP_HANDLER: 0
; COMPUTE_PGM_RSRC2:TGID_X_EN: 1
; COMPUTE_PGM_RSRC2:TGID_Y_EN: 0
; COMPUTE_PGM_RSRC2:TGID_Z_EN: 0
; COMPUTE_PGM_RSRC2:TIDIG_COMP_CNT: 0
; COMPUTE_PGM_RSRC3_GFX90A:ACCUM_OFFSET: 0
; COMPUTE_PGM_RSRC3_GFX90A:TG_SPLIT: 0
	.section	.text._ZN7rocprim17ROCPRIM_400000_NS6detail17trampoline_kernelINS0_14default_configENS1_20scan_config_selectorIiEEZZNS1_9scan_implILNS1_25lookback_scan_determinismE0ELb0ELb0ES3_N6thrust23THRUST_200600_302600_NS6detail15normal_iteratorINS9_10device_ptrIiEEEESE_i11max_functorIiEiEEDaPvRmT3_T4_T5_mT6_P12ihipStream_tbENKUlT_T0_E_clISt17integral_constantIbLb0EEST_IbLb1EEEEDaSP_SQ_EUlSP_E_NS1_11comp_targetILNS1_3genE9ELNS1_11target_archE1100ELNS1_3gpuE3ELNS1_3repE0EEENS1_30default_config_static_selectorELNS0_4arch9wavefront6targetE1EEEvT1_,"axG",@progbits,_ZN7rocprim17ROCPRIM_400000_NS6detail17trampoline_kernelINS0_14default_configENS1_20scan_config_selectorIiEEZZNS1_9scan_implILNS1_25lookback_scan_determinismE0ELb0ELb0ES3_N6thrust23THRUST_200600_302600_NS6detail15normal_iteratorINS9_10device_ptrIiEEEESE_i11max_functorIiEiEEDaPvRmT3_T4_T5_mT6_P12ihipStream_tbENKUlT_T0_E_clISt17integral_constantIbLb0EEST_IbLb1EEEEDaSP_SQ_EUlSP_E_NS1_11comp_targetILNS1_3genE9ELNS1_11target_archE1100ELNS1_3gpuE3ELNS1_3repE0EEENS1_30default_config_static_selectorELNS0_4arch9wavefront6targetE1EEEvT1_,comdat
	.protected	_ZN7rocprim17ROCPRIM_400000_NS6detail17trampoline_kernelINS0_14default_configENS1_20scan_config_selectorIiEEZZNS1_9scan_implILNS1_25lookback_scan_determinismE0ELb0ELb0ES3_N6thrust23THRUST_200600_302600_NS6detail15normal_iteratorINS9_10device_ptrIiEEEESE_i11max_functorIiEiEEDaPvRmT3_T4_T5_mT6_P12ihipStream_tbENKUlT_T0_E_clISt17integral_constantIbLb0EEST_IbLb1EEEEDaSP_SQ_EUlSP_E_NS1_11comp_targetILNS1_3genE9ELNS1_11target_archE1100ELNS1_3gpuE3ELNS1_3repE0EEENS1_30default_config_static_selectorELNS0_4arch9wavefront6targetE1EEEvT1_ ; -- Begin function _ZN7rocprim17ROCPRIM_400000_NS6detail17trampoline_kernelINS0_14default_configENS1_20scan_config_selectorIiEEZZNS1_9scan_implILNS1_25lookback_scan_determinismE0ELb0ELb0ES3_N6thrust23THRUST_200600_302600_NS6detail15normal_iteratorINS9_10device_ptrIiEEEESE_i11max_functorIiEiEEDaPvRmT3_T4_T5_mT6_P12ihipStream_tbENKUlT_T0_E_clISt17integral_constantIbLb0EEST_IbLb1EEEEDaSP_SQ_EUlSP_E_NS1_11comp_targetILNS1_3genE9ELNS1_11target_archE1100ELNS1_3gpuE3ELNS1_3repE0EEENS1_30default_config_static_selectorELNS0_4arch9wavefront6targetE1EEEvT1_
	.globl	_ZN7rocprim17ROCPRIM_400000_NS6detail17trampoline_kernelINS0_14default_configENS1_20scan_config_selectorIiEEZZNS1_9scan_implILNS1_25lookback_scan_determinismE0ELb0ELb0ES3_N6thrust23THRUST_200600_302600_NS6detail15normal_iteratorINS9_10device_ptrIiEEEESE_i11max_functorIiEiEEDaPvRmT3_T4_T5_mT6_P12ihipStream_tbENKUlT_T0_E_clISt17integral_constantIbLb0EEST_IbLb1EEEEDaSP_SQ_EUlSP_E_NS1_11comp_targetILNS1_3genE9ELNS1_11target_archE1100ELNS1_3gpuE3ELNS1_3repE0EEENS1_30default_config_static_selectorELNS0_4arch9wavefront6targetE1EEEvT1_
	.p2align	8
	.type	_ZN7rocprim17ROCPRIM_400000_NS6detail17trampoline_kernelINS0_14default_configENS1_20scan_config_selectorIiEEZZNS1_9scan_implILNS1_25lookback_scan_determinismE0ELb0ELb0ES3_N6thrust23THRUST_200600_302600_NS6detail15normal_iteratorINS9_10device_ptrIiEEEESE_i11max_functorIiEiEEDaPvRmT3_T4_T5_mT6_P12ihipStream_tbENKUlT_T0_E_clISt17integral_constantIbLb0EEST_IbLb1EEEEDaSP_SQ_EUlSP_E_NS1_11comp_targetILNS1_3genE9ELNS1_11target_archE1100ELNS1_3gpuE3ELNS1_3repE0EEENS1_30default_config_static_selectorELNS0_4arch9wavefront6targetE1EEEvT1_,@function
_ZN7rocprim17ROCPRIM_400000_NS6detail17trampoline_kernelINS0_14default_configENS1_20scan_config_selectorIiEEZZNS1_9scan_implILNS1_25lookback_scan_determinismE0ELb0ELb0ES3_N6thrust23THRUST_200600_302600_NS6detail15normal_iteratorINS9_10device_ptrIiEEEESE_i11max_functorIiEiEEDaPvRmT3_T4_T5_mT6_P12ihipStream_tbENKUlT_T0_E_clISt17integral_constantIbLb0EEST_IbLb1EEEEDaSP_SQ_EUlSP_E_NS1_11comp_targetILNS1_3genE9ELNS1_11target_archE1100ELNS1_3gpuE3ELNS1_3repE0EEENS1_30default_config_static_selectorELNS0_4arch9wavefront6targetE1EEEvT1_: ; @_ZN7rocprim17ROCPRIM_400000_NS6detail17trampoline_kernelINS0_14default_configENS1_20scan_config_selectorIiEEZZNS1_9scan_implILNS1_25lookback_scan_determinismE0ELb0ELb0ES3_N6thrust23THRUST_200600_302600_NS6detail15normal_iteratorINS9_10device_ptrIiEEEESE_i11max_functorIiEiEEDaPvRmT3_T4_T5_mT6_P12ihipStream_tbENKUlT_T0_E_clISt17integral_constantIbLb0EEST_IbLb1EEEEDaSP_SQ_EUlSP_E_NS1_11comp_targetILNS1_3genE9ELNS1_11target_archE1100ELNS1_3gpuE3ELNS1_3repE0EEENS1_30default_config_static_selectorELNS0_4arch9wavefront6targetE1EEEvT1_
; %bb.0:
	.section	.rodata,"a",@progbits
	.p2align	6, 0x0
	.amdhsa_kernel _ZN7rocprim17ROCPRIM_400000_NS6detail17trampoline_kernelINS0_14default_configENS1_20scan_config_selectorIiEEZZNS1_9scan_implILNS1_25lookback_scan_determinismE0ELb0ELb0ES3_N6thrust23THRUST_200600_302600_NS6detail15normal_iteratorINS9_10device_ptrIiEEEESE_i11max_functorIiEiEEDaPvRmT3_T4_T5_mT6_P12ihipStream_tbENKUlT_T0_E_clISt17integral_constantIbLb0EEST_IbLb1EEEEDaSP_SQ_EUlSP_E_NS1_11comp_targetILNS1_3genE9ELNS1_11target_archE1100ELNS1_3gpuE3ELNS1_3repE0EEENS1_30default_config_static_selectorELNS0_4arch9wavefront6targetE1EEEvT1_
		.amdhsa_group_segment_fixed_size 0
		.amdhsa_private_segment_fixed_size 0
		.amdhsa_kernarg_size 96
		.amdhsa_user_sgpr_count 6
		.amdhsa_user_sgpr_private_segment_buffer 1
		.amdhsa_user_sgpr_dispatch_ptr 0
		.amdhsa_user_sgpr_queue_ptr 0
		.amdhsa_user_sgpr_kernarg_segment_ptr 1
		.amdhsa_user_sgpr_dispatch_id 0
		.amdhsa_user_sgpr_flat_scratch_init 0
		.amdhsa_user_sgpr_kernarg_preload_length 0
		.amdhsa_user_sgpr_kernarg_preload_offset 0
		.amdhsa_user_sgpr_private_segment_size 0
		.amdhsa_uses_dynamic_stack 0
		.amdhsa_system_sgpr_private_segment_wavefront_offset 0
		.amdhsa_system_sgpr_workgroup_id_x 1
		.amdhsa_system_sgpr_workgroup_id_y 0
		.amdhsa_system_sgpr_workgroup_id_z 0
		.amdhsa_system_sgpr_workgroup_info 0
		.amdhsa_system_vgpr_workitem_id 0
		.amdhsa_next_free_vgpr 1
		.amdhsa_next_free_sgpr 0
		.amdhsa_accum_offset 4
		.amdhsa_reserve_vcc 0
		.amdhsa_reserve_flat_scratch 0
		.amdhsa_float_round_mode_32 0
		.amdhsa_float_round_mode_16_64 0
		.amdhsa_float_denorm_mode_32 3
		.amdhsa_float_denorm_mode_16_64 3
		.amdhsa_dx10_clamp 1
		.amdhsa_ieee_mode 1
		.amdhsa_fp16_overflow 0
		.amdhsa_tg_split 0
		.amdhsa_exception_fp_ieee_invalid_op 0
		.amdhsa_exception_fp_denorm_src 0
		.amdhsa_exception_fp_ieee_div_zero 0
		.amdhsa_exception_fp_ieee_overflow 0
		.amdhsa_exception_fp_ieee_underflow 0
		.amdhsa_exception_fp_ieee_inexact 0
		.amdhsa_exception_int_div_zero 0
	.end_amdhsa_kernel
	.section	.text._ZN7rocprim17ROCPRIM_400000_NS6detail17trampoline_kernelINS0_14default_configENS1_20scan_config_selectorIiEEZZNS1_9scan_implILNS1_25lookback_scan_determinismE0ELb0ELb0ES3_N6thrust23THRUST_200600_302600_NS6detail15normal_iteratorINS9_10device_ptrIiEEEESE_i11max_functorIiEiEEDaPvRmT3_T4_T5_mT6_P12ihipStream_tbENKUlT_T0_E_clISt17integral_constantIbLb0EEST_IbLb1EEEEDaSP_SQ_EUlSP_E_NS1_11comp_targetILNS1_3genE9ELNS1_11target_archE1100ELNS1_3gpuE3ELNS1_3repE0EEENS1_30default_config_static_selectorELNS0_4arch9wavefront6targetE1EEEvT1_,"axG",@progbits,_ZN7rocprim17ROCPRIM_400000_NS6detail17trampoline_kernelINS0_14default_configENS1_20scan_config_selectorIiEEZZNS1_9scan_implILNS1_25lookback_scan_determinismE0ELb0ELb0ES3_N6thrust23THRUST_200600_302600_NS6detail15normal_iteratorINS9_10device_ptrIiEEEESE_i11max_functorIiEiEEDaPvRmT3_T4_T5_mT6_P12ihipStream_tbENKUlT_T0_E_clISt17integral_constantIbLb0EEST_IbLb1EEEEDaSP_SQ_EUlSP_E_NS1_11comp_targetILNS1_3genE9ELNS1_11target_archE1100ELNS1_3gpuE3ELNS1_3repE0EEENS1_30default_config_static_selectorELNS0_4arch9wavefront6targetE1EEEvT1_,comdat
.Lfunc_end2763:
	.size	_ZN7rocprim17ROCPRIM_400000_NS6detail17trampoline_kernelINS0_14default_configENS1_20scan_config_selectorIiEEZZNS1_9scan_implILNS1_25lookback_scan_determinismE0ELb0ELb0ES3_N6thrust23THRUST_200600_302600_NS6detail15normal_iteratorINS9_10device_ptrIiEEEESE_i11max_functorIiEiEEDaPvRmT3_T4_T5_mT6_P12ihipStream_tbENKUlT_T0_E_clISt17integral_constantIbLb0EEST_IbLb1EEEEDaSP_SQ_EUlSP_E_NS1_11comp_targetILNS1_3genE9ELNS1_11target_archE1100ELNS1_3gpuE3ELNS1_3repE0EEENS1_30default_config_static_selectorELNS0_4arch9wavefront6targetE1EEEvT1_, .Lfunc_end2763-_ZN7rocprim17ROCPRIM_400000_NS6detail17trampoline_kernelINS0_14default_configENS1_20scan_config_selectorIiEEZZNS1_9scan_implILNS1_25lookback_scan_determinismE0ELb0ELb0ES3_N6thrust23THRUST_200600_302600_NS6detail15normal_iteratorINS9_10device_ptrIiEEEESE_i11max_functorIiEiEEDaPvRmT3_T4_T5_mT6_P12ihipStream_tbENKUlT_T0_E_clISt17integral_constantIbLb0EEST_IbLb1EEEEDaSP_SQ_EUlSP_E_NS1_11comp_targetILNS1_3genE9ELNS1_11target_archE1100ELNS1_3gpuE3ELNS1_3repE0EEENS1_30default_config_static_selectorELNS0_4arch9wavefront6targetE1EEEvT1_
                                        ; -- End function
	.section	.AMDGPU.csdata,"",@progbits
; Kernel info:
; codeLenInByte = 0
; NumSgprs: 4
; NumVgprs: 0
; NumAgprs: 0
; TotalNumVgprs: 0
; ScratchSize: 0
; MemoryBound: 0
; FloatMode: 240
; IeeeMode: 1
; LDSByteSize: 0 bytes/workgroup (compile time only)
; SGPRBlocks: 0
; VGPRBlocks: 0
; NumSGPRsForWavesPerEU: 4
; NumVGPRsForWavesPerEU: 1
; AccumOffset: 4
; Occupancy: 8
; WaveLimiterHint : 0
; COMPUTE_PGM_RSRC2:SCRATCH_EN: 0
; COMPUTE_PGM_RSRC2:USER_SGPR: 6
; COMPUTE_PGM_RSRC2:TRAP_HANDLER: 0
; COMPUTE_PGM_RSRC2:TGID_X_EN: 1
; COMPUTE_PGM_RSRC2:TGID_Y_EN: 0
; COMPUTE_PGM_RSRC2:TGID_Z_EN: 0
; COMPUTE_PGM_RSRC2:TIDIG_COMP_CNT: 0
; COMPUTE_PGM_RSRC3_GFX90A:ACCUM_OFFSET: 0
; COMPUTE_PGM_RSRC3_GFX90A:TG_SPLIT: 0
	.section	.text._ZN7rocprim17ROCPRIM_400000_NS6detail17trampoline_kernelINS0_14default_configENS1_20scan_config_selectorIiEEZZNS1_9scan_implILNS1_25lookback_scan_determinismE0ELb0ELb0ES3_N6thrust23THRUST_200600_302600_NS6detail15normal_iteratorINS9_10device_ptrIiEEEESE_i11max_functorIiEiEEDaPvRmT3_T4_T5_mT6_P12ihipStream_tbENKUlT_T0_E_clISt17integral_constantIbLb0EEST_IbLb1EEEEDaSP_SQ_EUlSP_E_NS1_11comp_targetILNS1_3genE8ELNS1_11target_archE1030ELNS1_3gpuE2ELNS1_3repE0EEENS1_30default_config_static_selectorELNS0_4arch9wavefront6targetE1EEEvT1_,"axG",@progbits,_ZN7rocprim17ROCPRIM_400000_NS6detail17trampoline_kernelINS0_14default_configENS1_20scan_config_selectorIiEEZZNS1_9scan_implILNS1_25lookback_scan_determinismE0ELb0ELb0ES3_N6thrust23THRUST_200600_302600_NS6detail15normal_iteratorINS9_10device_ptrIiEEEESE_i11max_functorIiEiEEDaPvRmT3_T4_T5_mT6_P12ihipStream_tbENKUlT_T0_E_clISt17integral_constantIbLb0EEST_IbLb1EEEEDaSP_SQ_EUlSP_E_NS1_11comp_targetILNS1_3genE8ELNS1_11target_archE1030ELNS1_3gpuE2ELNS1_3repE0EEENS1_30default_config_static_selectorELNS0_4arch9wavefront6targetE1EEEvT1_,comdat
	.protected	_ZN7rocprim17ROCPRIM_400000_NS6detail17trampoline_kernelINS0_14default_configENS1_20scan_config_selectorIiEEZZNS1_9scan_implILNS1_25lookback_scan_determinismE0ELb0ELb0ES3_N6thrust23THRUST_200600_302600_NS6detail15normal_iteratorINS9_10device_ptrIiEEEESE_i11max_functorIiEiEEDaPvRmT3_T4_T5_mT6_P12ihipStream_tbENKUlT_T0_E_clISt17integral_constantIbLb0EEST_IbLb1EEEEDaSP_SQ_EUlSP_E_NS1_11comp_targetILNS1_3genE8ELNS1_11target_archE1030ELNS1_3gpuE2ELNS1_3repE0EEENS1_30default_config_static_selectorELNS0_4arch9wavefront6targetE1EEEvT1_ ; -- Begin function _ZN7rocprim17ROCPRIM_400000_NS6detail17trampoline_kernelINS0_14default_configENS1_20scan_config_selectorIiEEZZNS1_9scan_implILNS1_25lookback_scan_determinismE0ELb0ELb0ES3_N6thrust23THRUST_200600_302600_NS6detail15normal_iteratorINS9_10device_ptrIiEEEESE_i11max_functorIiEiEEDaPvRmT3_T4_T5_mT6_P12ihipStream_tbENKUlT_T0_E_clISt17integral_constantIbLb0EEST_IbLb1EEEEDaSP_SQ_EUlSP_E_NS1_11comp_targetILNS1_3genE8ELNS1_11target_archE1030ELNS1_3gpuE2ELNS1_3repE0EEENS1_30default_config_static_selectorELNS0_4arch9wavefront6targetE1EEEvT1_
	.globl	_ZN7rocprim17ROCPRIM_400000_NS6detail17trampoline_kernelINS0_14default_configENS1_20scan_config_selectorIiEEZZNS1_9scan_implILNS1_25lookback_scan_determinismE0ELb0ELb0ES3_N6thrust23THRUST_200600_302600_NS6detail15normal_iteratorINS9_10device_ptrIiEEEESE_i11max_functorIiEiEEDaPvRmT3_T4_T5_mT6_P12ihipStream_tbENKUlT_T0_E_clISt17integral_constantIbLb0EEST_IbLb1EEEEDaSP_SQ_EUlSP_E_NS1_11comp_targetILNS1_3genE8ELNS1_11target_archE1030ELNS1_3gpuE2ELNS1_3repE0EEENS1_30default_config_static_selectorELNS0_4arch9wavefront6targetE1EEEvT1_
	.p2align	8
	.type	_ZN7rocprim17ROCPRIM_400000_NS6detail17trampoline_kernelINS0_14default_configENS1_20scan_config_selectorIiEEZZNS1_9scan_implILNS1_25lookback_scan_determinismE0ELb0ELb0ES3_N6thrust23THRUST_200600_302600_NS6detail15normal_iteratorINS9_10device_ptrIiEEEESE_i11max_functorIiEiEEDaPvRmT3_T4_T5_mT6_P12ihipStream_tbENKUlT_T0_E_clISt17integral_constantIbLb0EEST_IbLb1EEEEDaSP_SQ_EUlSP_E_NS1_11comp_targetILNS1_3genE8ELNS1_11target_archE1030ELNS1_3gpuE2ELNS1_3repE0EEENS1_30default_config_static_selectorELNS0_4arch9wavefront6targetE1EEEvT1_,@function
_ZN7rocprim17ROCPRIM_400000_NS6detail17trampoline_kernelINS0_14default_configENS1_20scan_config_selectorIiEEZZNS1_9scan_implILNS1_25lookback_scan_determinismE0ELb0ELb0ES3_N6thrust23THRUST_200600_302600_NS6detail15normal_iteratorINS9_10device_ptrIiEEEESE_i11max_functorIiEiEEDaPvRmT3_T4_T5_mT6_P12ihipStream_tbENKUlT_T0_E_clISt17integral_constantIbLb0EEST_IbLb1EEEEDaSP_SQ_EUlSP_E_NS1_11comp_targetILNS1_3genE8ELNS1_11target_archE1030ELNS1_3gpuE2ELNS1_3repE0EEENS1_30default_config_static_selectorELNS0_4arch9wavefront6targetE1EEEvT1_: ; @_ZN7rocprim17ROCPRIM_400000_NS6detail17trampoline_kernelINS0_14default_configENS1_20scan_config_selectorIiEEZZNS1_9scan_implILNS1_25lookback_scan_determinismE0ELb0ELb0ES3_N6thrust23THRUST_200600_302600_NS6detail15normal_iteratorINS9_10device_ptrIiEEEESE_i11max_functorIiEiEEDaPvRmT3_T4_T5_mT6_P12ihipStream_tbENKUlT_T0_E_clISt17integral_constantIbLb0EEST_IbLb1EEEEDaSP_SQ_EUlSP_E_NS1_11comp_targetILNS1_3genE8ELNS1_11target_archE1030ELNS1_3gpuE2ELNS1_3repE0EEENS1_30default_config_static_selectorELNS0_4arch9wavefront6targetE1EEEvT1_
; %bb.0:
	.section	.rodata,"a",@progbits
	.p2align	6, 0x0
	.amdhsa_kernel _ZN7rocprim17ROCPRIM_400000_NS6detail17trampoline_kernelINS0_14default_configENS1_20scan_config_selectorIiEEZZNS1_9scan_implILNS1_25lookback_scan_determinismE0ELb0ELb0ES3_N6thrust23THRUST_200600_302600_NS6detail15normal_iteratorINS9_10device_ptrIiEEEESE_i11max_functorIiEiEEDaPvRmT3_T4_T5_mT6_P12ihipStream_tbENKUlT_T0_E_clISt17integral_constantIbLb0EEST_IbLb1EEEEDaSP_SQ_EUlSP_E_NS1_11comp_targetILNS1_3genE8ELNS1_11target_archE1030ELNS1_3gpuE2ELNS1_3repE0EEENS1_30default_config_static_selectorELNS0_4arch9wavefront6targetE1EEEvT1_
		.amdhsa_group_segment_fixed_size 0
		.amdhsa_private_segment_fixed_size 0
		.amdhsa_kernarg_size 96
		.amdhsa_user_sgpr_count 6
		.amdhsa_user_sgpr_private_segment_buffer 1
		.amdhsa_user_sgpr_dispatch_ptr 0
		.amdhsa_user_sgpr_queue_ptr 0
		.amdhsa_user_sgpr_kernarg_segment_ptr 1
		.amdhsa_user_sgpr_dispatch_id 0
		.amdhsa_user_sgpr_flat_scratch_init 0
		.amdhsa_user_sgpr_kernarg_preload_length 0
		.amdhsa_user_sgpr_kernarg_preload_offset 0
		.amdhsa_user_sgpr_private_segment_size 0
		.amdhsa_uses_dynamic_stack 0
		.amdhsa_system_sgpr_private_segment_wavefront_offset 0
		.amdhsa_system_sgpr_workgroup_id_x 1
		.amdhsa_system_sgpr_workgroup_id_y 0
		.amdhsa_system_sgpr_workgroup_id_z 0
		.amdhsa_system_sgpr_workgroup_info 0
		.amdhsa_system_vgpr_workitem_id 0
		.amdhsa_next_free_vgpr 1
		.amdhsa_next_free_sgpr 0
		.amdhsa_accum_offset 4
		.amdhsa_reserve_vcc 0
		.amdhsa_reserve_flat_scratch 0
		.amdhsa_float_round_mode_32 0
		.amdhsa_float_round_mode_16_64 0
		.amdhsa_float_denorm_mode_32 3
		.amdhsa_float_denorm_mode_16_64 3
		.amdhsa_dx10_clamp 1
		.amdhsa_ieee_mode 1
		.amdhsa_fp16_overflow 0
		.amdhsa_tg_split 0
		.amdhsa_exception_fp_ieee_invalid_op 0
		.amdhsa_exception_fp_denorm_src 0
		.amdhsa_exception_fp_ieee_div_zero 0
		.amdhsa_exception_fp_ieee_overflow 0
		.amdhsa_exception_fp_ieee_underflow 0
		.amdhsa_exception_fp_ieee_inexact 0
		.amdhsa_exception_int_div_zero 0
	.end_amdhsa_kernel
	.section	.text._ZN7rocprim17ROCPRIM_400000_NS6detail17trampoline_kernelINS0_14default_configENS1_20scan_config_selectorIiEEZZNS1_9scan_implILNS1_25lookback_scan_determinismE0ELb0ELb0ES3_N6thrust23THRUST_200600_302600_NS6detail15normal_iteratorINS9_10device_ptrIiEEEESE_i11max_functorIiEiEEDaPvRmT3_T4_T5_mT6_P12ihipStream_tbENKUlT_T0_E_clISt17integral_constantIbLb0EEST_IbLb1EEEEDaSP_SQ_EUlSP_E_NS1_11comp_targetILNS1_3genE8ELNS1_11target_archE1030ELNS1_3gpuE2ELNS1_3repE0EEENS1_30default_config_static_selectorELNS0_4arch9wavefront6targetE1EEEvT1_,"axG",@progbits,_ZN7rocprim17ROCPRIM_400000_NS6detail17trampoline_kernelINS0_14default_configENS1_20scan_config_selectorIiEEZZNS1_9scan_implILNS1_25lookback_scan_determinismE0ELb0ELb0ES3_N6thrust23THRUST_200600_302600_NS6detail15normal_iteratorINS9_10device_ptrIiEEEESE_i11max_functorIiEiEEDaPvRmT3_T4_T5_mT6_P12ihipStream_tbENKUlT_T0_E_clISt17integral_constantIbLb0EEST_IbLb1EEEEDaSP_SQ_EUlSP_E_NS1_11comp_targetILNS1_3genE8ELNS1_11target_archE1030ELNS1_3gpuE2ELNS1_3repE0EEENS1_30default_config_static_selectorELNS0_4arch9wavefront6targetE1EEEvT1_,comdat
.Lfunc_end2764:
	.size	_ZN7rocprim17ROCPRIM_400000_NS6detail17trampoline_kernelINS0_14default_configENS1_20scan_config_selectorIiEEZZNS1_9scan_implILNS1_25lookback_scan_determinismE0ELb0ELb0ES3_N6thrust23THRUST_200600_302600_NS6detail15normal_iteratorINS9_10device_ptrIiEEEESE_i11max_functorIiEiEEDaPvRmT3_T4_T5_mT6_P12ihipStream_tbENKUlT_T0_E_clISt17integral_constantIbLb0EEST_IbLb1EEEEDaSP_SQ_EUlSP_E_NS1_11comp_targetILNS1_3genE8ELNS1_11target_archE1030ELNS1_3gpuE2ELNS1_3repE0EEENS1_30default_config_static_selectorELNS0_4arch9wavefront6targetE1EEEvT1_, .Lfunc_end2764-_ZN7rocprim17ROCPRIM_400000_NS6detail17trampoline_kernelINS0_14default_configENS1_20scan_config_selectorIiEEZZNS1_9scan_implILNS1_25lookback_scan_determinismE0ELb0ELb0ES3_N6thrust23THRUST_200600_302600_NS6detail15normal_iteratorINS9_10device_ptrIiEEEESE_i11max_functorIiEiEEDaPvRmT3_T4_T5_mT6_P12ihipStream_tbENKUlT_T0_E_clISt17integral_constantIbLb0EEST_IbLb1EEEEDaSP_SQ_EUlSP_E_NS1_11comp_targetILNS1_3genE8ELNS1_11target_archE1030ELNS1_3gpuE2ELNS1_3repE0EEENS1_30default_config_static_selectorELNS0_4arch9wavefront6targetE1EEEvT1_
                                        ; -- End function
	.section	.AMDGPU.csdata,"",@progbits
; Kernel info:
; codeLenInByte = 0
; NumSgprs: 4
; NumVgprs: 0
; NumAgprs: 0
; TotalNumVgprs: 0
; ScratchSize: 0
; MemoryBound: 0
; FloatMode: 240
; IeeeMode: 1
; LDSByteSize: 0 bytes/workgroup (compile time only)
; SGPRBlocks: 0
; VGPRBlocks: 0
; NumSGPRsForWavesPerEU: 4
; NumVGPRsForWavesPerEU: 1
; AccumOffset: 4
; Occupancy: 8
; WaveLimiterHint : 0
; COMPUTE_PGM_RSRC2:SCRATCH_EN: 0
; COMPUTE_PGM_RSRC2:USER_SGPR: 6
; COMPUTE_PGM_RSRC2:TRAP_HANDLER: 0
; COMPUTE_PGM_RSRC2:TGID_X_EN: 1
; COMPUTE_PGM_RSRC2:TGID_Y_EN: 0
; COMPUTE_PGM_RSRC2:TGID_Z_EN: 0
; COMPUTE_PGM_RSRC2:TIDIG_COMP_CNT: 0
; COMPUTE_PGM_RSRC3_GFX90A:ACCUM_OFFSET: 0
; COMPUTE_PGM_RSRC3_GFX90A:TG_SPLIT: 0
	.section	.text._ZN7rocprim17ROCPRIM_400000_NS6detail17trampoline_kernelINS0_14default_configENS1_20scan_config_selectorIiEEZZNS1_9scan_implILNS1_25lookback_scan_determinismE0ELb0ELb0ES3_N6thrust23THRUST_200600_302600_NS6detail15normal_iteratorINS9_10device_ptrIiEEEESE_i11max_functorIiEiEEDaPvRmT3_T4_T5_mT6_P12ihipStream_tbENKUlT_T0_E_clISt17integral_constantIbLb0EEST_IbLb1EEEEDaSP_SQ_EUlSP_E0_NS1_11comp_targetILNS1_3genE0ELNS1_11target_archE4294967295ELNS1_3gpuE0ELNS1_3repE0EEENS1_30default_config_static_selectorELNS0_4arch9wavefront6targetE1EEEvT1_,"axG",@progbits,_ZN7rocprim17ROCPRIM_400000_NS6detail17trampoline_kernelINS0_14default_configENS1_20scan_config_selectorIiEEZZNS1_9scan_implILNS1_25lookback_scan_determinismE0ELb0ELb0ES3_N6thrust23THRUST_200600_302600_NS6detail15normal_iteratorINS9_10device_ptrIiEEEESE_i11max_functorIiEiEEDaPvRmT3_T4_T5_mT6_P12ihipStream_tbENKUlT_T0_E_clISt17integral_constantIbLb0EEST_IbLb1EEEEDaSP_SQ_EUlSP_E0_NS1_11comp_targetILNS1_3genE0ELNS1_11target_archE4294967295ELNS1_3gpuE0ELNS1_3repE0EEENS1_30default_config_static_selectorELNS0_4arch9wavefront6targetE1EEEvT1_,comdat
	.protected	_ZN7rocprim17ROCPRIM_400000_NS6detail17trampoline_kernelINS0_14default_configENS1_20scan_config_selectorIiEEZZNS1_9scan_implILNS1_25lookback_scan_determinismE0ELb0ELb0ES3_N6thrust23THRUST_200600_302600_NS6detail15normal_iteratorINS9_10device_ptrIiEEEESE_i11max_functorIiEiEEDaPvRmT3_T4_T5_mT6_P12ihipStream_tbENKUlT_T0_E_clISt17integral_constantIbLb0EEST_IbLb1EEEEDaSP_SQ_EUlSP_E0_NS1_11comp_targetILNS1_3genE0ELNS1_11target_archE4294967295ELNS1_3gpuE0ELNS1_3repE0EEENS1_30default_config_static_selectorELNS0_4arch9wavefront6targetE1EEEvT1_ ; -- Begin function _ZN7rocprim17ROCPRIM_400000_NS6detail17trampoline_kernelINS0_14default_configENS1_20scan_config_selectorIiEEZZNS1_9scan_implILNS1_25lookback_scan_determinismE0ELb0ELb0ES3_N6thrust23THRUST_200600_302600_NS6detail15normal_iteratorINS9_10device_ptrIiEEEESE_i11max_functorIiEiEEDaPvRmT3_T4_T5_mT6_P12ihipStream_tbENKUlT_T0_E_clISt17integral_constantIbLb0EEST_IbLb1EEEEDaSP_SQ_EUlSP_E0_NS1_11comp_targetILNS1_3genE0ELNS1_11target_archE4294967295ELNS1_3gpuE0ELNS1_3repE0EEENS1_30default_config_static_selectorELNS0_4arch9wavefront6targetE1EEEvT1_
	.globl	_ZN7rocprim17ROCPRIM_400000_NS6detail17trampoline_kernelINS0_14default_configENS1_20scan_config_selectorIiEEZZNS1_9scan_implILNS1_25lookback_scan_determinismE0ELb0ELb0ES3_N6thrust23THRUST_200600_302600_NS6detail15normal_iteratorINS9_10device_ptrIiEEEESE_i11max_functorIiEiEEDaPvRmT3_T4_T5_mT6_P12ihipStream_tbENKUlT_T0_E_clISt17integral_constantIbLb0EEST_IbLb1EEEEDaSP_SQ_EUlSP_E0_NS1_11comp_targetILNS1_3genE0ELNS1_11target_archE4294967295ELNS1_3gpuE0ELNS1_3repE0EEENS1_30default_config_static_selectorELNS0_4arch9wavefront6targetE1EEEvT1_
	.p2align	8
	.type	_ZN7rocprim17ROCPRIM_400000_NS6detail17trampoline_kernelINS0_14default_configENS1_20scan_config_selectorIiEEZZNS1_9scan_implILNS1_25lookback_scan_determinismE0ELb0ELb0ES3_N6thrust23THRUST_200600_302600_NS6detail15normal_iteratorINS9_10device_ptrIiEEEESE_i11max_functorIiEiEEDaPvRmT3_T4_T5_mT6_P12ihipStream_tbENKUlT_T0_E_clISt17integral_constantIbLb0EEST_IbLb1EEEEDaSP_SQ_EUlSP_E0_NS1_11comp_targetILNS1_3genE0ELNS1_11target_archE4294967295ELNS1_3gpuE0ELNS1_3repE0EEENS1_30default_config_static_selectorELNS0_4arch9wavefront6targetE1EEEvT1_,@function
_ZN7rocprim17ROCPRIM_400000_NS6detail17trampoline_kernelINS0_14default_configENS1_20scan_config_selectorIiEEZZNS1_9scan_implILNS1_25lookback_scan_determinismE0ELb0ELb0ES3_N6thrust23THRUST_200600_302600_NS6detail15normal_iteratorINS9_10device_ptrIiEEEESE_i11max_functorIiEiEEDaPvRmT3_T4_T5_mT6_P12ihipStream_tbENKUlT_T0_E_clISt17integral_constantIbLb0EEST_IbLb1EEEEDaSP_SQ_EUlSP_E0_NS1_11comp_targetILNS1_3genE0ELNS1_11target_archE4294967295ELNS1_3gpuE0ELNS1_3repE0EEENS1_30default_config_static_selectorELNS0_4arch9wavefront6targetE1EEEvT1_: ; @_ZN7rocprim17ROCPRIM_400000_NS6detail17trampoline_kernelINS0_14default_configENS1_20scan_config_selectorIiEEZZNS1_9scan_implILNS1_25lookback_scan_determinismE0ELb0ELb0ES3_N6thrust23THRUST_200600_302600_NS6detail15normal_iteratorINS9_10device_ptrIiEEEESE_i11max_functorIiEiEEDaPvRmT3_T4_T5_mT6_P12ihipStream_tbENKUlT_T0_E_clISt17integral_constantIbLb0EEST_IbLb1EEEEDaSP_SQ_EUlSP_E0_NS1_11comp_targetILNS1_3genE0ELNS1_11target_archE4294967295ELNS1_3gpuE0ELNS1_3repE0EEENS1_30default_config_static_selectorELNS0_4arch9wavefront6targetE1EEEvT1_
; %bb.0:
	.section	.rodata,"a",@progbits
	.p2align	6, 0x0
	.amdhsa_kernel _ZN7rocprim17ROCPRIM_400000_NS6detail17trampoline_kernelINS0_14default_configENS1_20scan_config_selectorIiEEZZNS1_9scan_implILNS1_25lookback_scan_determinismE0ELb0ELb0ES3_N6thrust23THRUST_200600_302600_NS6detail15normal_iteratorINS9_10device_ptrIiEEEESE_i11max_functorIiEiEEDaPvRmT3_T4_T5_mT6_P12ihipStream_tbENKUlT_T0_E_clISt17integral_constantIbLb0EEST_IbLb1EEEEDaSP_SQ_EUlSP_E0_NS1_11comp_targetILNS1_3genE0ELNS1_11target_archE4294967295ELNS1_3gpuE0ELNS1_3repE0EEENS1_30default_config_static_selectorELNS0_4arch9wavefront6targetE1EEEvT1_
		.amdhsa_group_segment_fixed_size 0
		.amdhsa_private_segment_fixed_size 0
		.amdhsa_kernarg_size 32
		.amdhsa_user_sgpr_count 6
		.amdhsa_user_sgpr_private_segment_buffer 1
		.amdhsa_user_sgpr_dispatch_ptr 0
		.amdhsa_user_sgpr_queue_ptr 0
		.amdhsa_user_sgpr_kernarg_segment_ptr 1
		.amdhsa_user_sgpr_dispatch_id 0
		.amdhsa_user_sgpr_flat_scratch_init 0
		.amdhsa_user_sgpr_kernarg_preload_length 0
		.amdhsa_user_sgpr_kernarg_preload_offset 0
		.amdhsa_user_sgpr_private_segment_size 0
		.amdhsa_uses_dynamic_stack 0
		.amdhsa_system_sgpr_private_segment_wavefront_offset 0
		.amdhsa_system_sgpr_workgroup_id_x 1
		.amdhsa_system_sgpr_workgroup_id_y 0
		.amdhsa_system_sgpr_workgroup_id_z 0
		.amdhsa_system_sgpr_workgroup_info 0
		.amdhsa_system_vgpr_workitem_id 0
		.amdhsa_next_free_vgpr 1
		.amdhsa_next_free_sgpr 0
		.amdhsa_accum_offset 4
		.amdhsa_reserve_vcc 0
		.amdhsa_reserve_flat_scratch 0
		.amdhsa_float_round_mode_32 0
		.amdhsa_float_round_mode_16_64 0
		.amdhsa_float_denorm_mode_32 3
		.amdhsa_float_denorm_mode_16_64 3
		.amdhsa_dx10_clamp 1
		.amdhsa_ieee_mode 1
		.amdhsa_fp16_overflow 0
		.amdhsa_tg_split 0
		.amdhsa_exception_fp_ieee_invalid_op 0
		.amdhsa_exception_fp_denorm_src 0
		.amdhsa_exception_fp_ieee_div_zero 0
		.amdhsa_exception_fp_ieee_overflow 0
		.amdhsa_exception_fp_ieee_underflow 0
		.amdhsa_exception_fp_ieee_inexact 0
		.amdhsa_exception_int_div_zero 0
	.end_amdhsa_kernel
	.section	.text._ZN7rocprim17ROCPRIM_400000_NS6detail17trampoline_kernelINS0_14default_configENS1_20scan_config_selectorIiEEZZNS1_9scan_implILNS1_25lookback_scan_determinismE0ELb0ELb0ES3_N6thrust23THRUST_200600_302600_NS6detail15normal_iteratorINS9_10device_ptrIiEEEESE_i11max_functorIiEiEEDaPvRmT3_T4_T5_mT6_P12ihipStream_tbENKUlT_T0_E_clISt17integral_constantIbLb0EEST_IbLb1EEEEDaSP_SQ_EUlSP_E0_NS1_11comp_targetILNS1_3genE0ELNS1_11target_archE4294967295ELNS1_3gpuE0ELNS1_3repE0EEENS1_30default_config_static_selectorELNS0_4arch9wavefront6targetE1EEEvT1_,"axG",@progbits,_ZN7rocprim17ROCPRIM_400000_NS6detail17trampoline_kernelINS0_14default_configENS1_20scan_config_selectorIiEEZZNS1_9scan_implILNS1_25lookback_scan_determinismE0ELb0ELb0ES3_N6thrust23THRUST_200600_302600_NS6detail15normal_iteratorINS9_10device_ptrIiEEEESE_i11max_functorIiEiEEDaPvRmT3_T4_T5_mT6_P12ihipStream_tbENKUlT_T0_E_clISt17integral_constantIbLb0EEST_IbLb1EEEEDaSP_SQ_EUlSP_E0_NS1_11comp_targetILNS1_3genE0ELNS1_11target_archE4294967295ELNS1_3gpuE0ELNS1_3repE0EEENS1_30default_config_static_selectorELNS0_4arch9wavefront6targetE1EEEvT1_,comdat
.Lfunc_end2765:
	.size	_ZN7rocprim17ROCPRIM_400000_NS6detail17trampoline_kernelINS0_14default_configENS1_20scan_config_selectorIiEEZZNS1_9scan_implILNS1_25lookback_scan_determinismE0ELb0ELb0ES3_N6thrust23THRUST_200600_302600_NS6detail15normal_iteratorINS9_10device_ptrIiEEEESE_i11max_functorIiEiEEDaPvRmT3_T4_T5_mT6_P12ihipStream_tbENKUlT_T0_E_clISt17integral_constantIbLb0EEST_IbLb1EEEEDaSP_SQ_EUlSP_E0_NS1_11comp_targetILNS1_3genE0ELNS1_11target_archE4294967295ELNS1_3gpuE0ELNS1_3repE0EEENS1_30default_config_static_selectorELNS0_4arch9wavefront6targetE1EEEvT1_, .Lfunc_end2765-_ZN7rocprim17ROCPRIM_400000_NS6detail17trampoline_kernelINS0_14default_configENS1_20scan_config_selectorIiEEZZNS1_9scan_implILNS1_25lookback_scan_determinismE0ELb0ELb0ES3_N6thrust23THRUST_200600_302600_NS6detail15normal_iteratorINS9_10device_ptrIiEEEESE_i11max_functorIiEiEEDaPvRmT3_T4_T5_mT6_P12ihipStream_tbENKUlT_T0_E_clISt17integral_constantIbLb0EEST_IbLb1EEEEDaSP_SQ_EUlSP_E0_NS1_11comp_targetILNS1_3genE0ELNS1_11target_archE4294967295ELNS1_3gpuE0ELNS1_3repE0EEENS1_30default_config_static_selectorELNS0_4arch9wavefront6targetE1EEEvT1_
                                        ; -- End function
	.section	.AMDGPU.csdata,"",@progbits
; Kernel info:
; codeLenInByte = 0
; NumSgprs: 4
; NumVgprs: 0
; NumAgprs: 0
; TotalNumVgprs: 0
; ScratchSize: 0
; MemoryBound: 0
; FloatMode: 240
; IeeeMode: 1
; LDSByteSize: 0 bytes/workgroup (compile time only)
; SGPRBlocks: 0
; VGPRBlocks: 0
; NumSGPRsForWavesPerEU: 4
; NumVGPRsForWavesPerEU: 1
; AccumOffset: 4
; Occupancy: 8
; WaveLimiterHint : 0
; COMPUTE_PGM_RSRC2:SCRATCH_EN: 0
; COMPUTE_PGM_RSRC2:USER_SGPR: 6
; COMPUTE_PGM_RSRC2:TRAP_HANDLER: 0
; COMPUTE_PGM_RSRC2:TGID_X_EN: 1
; COMPUTE_PGM_RSRC2:TGID_Y_EN: 0
; COMPUTE_PGM_RSRC2:TGID_Z_EN: 0
; COMPUTE_PGM_RSRC2:TIDIG_COMP_CNT: 0
; COMPUTE_PGM_RSRC3_GFX90A:ACCUM_OFFSET: 0
; COMPUTE_PGM_RSRC3_GFX90A:TG_SPLIT: 0
	.section	.text._ZN7rocprim17ROCPRIM_400000_NS6detail17trampoline_kernelINS0_14default_configENS1_20scan_config_selectorIiEEZZNS1_9scan_implILNS1_25lookback_scan_determinismE0ELb0ELb0ES3_N6thrust23THRUST_200600_302600_NS6detail15normal_iteratorINS9_10device_ptrIiEEEESE_i11max_functorIiEiEEDaPvRmT3_T4_T5_mT6_P12ihipStream_tbENKUlT_T0_E_clISt17integral_constantIbLb0EEST_IbLb1EEEEDaSP_SQ_EUlSP_E0_NS1_11comp_targetILNS1_3genE5ELNS1_11target_archE942ELNS1_3gpuE9ELNS1_3repE0EEENS1_30default_config_static_selectorELNS0_4arch9wavefront6targetE1EEEvT1_,"axG",@progbits,_ZN7rocprim17ROCPRIM_400000_NS6detail17trampoline_kernelINS0_14default_configENS1_20scan_config_selectorIiEEZZNS1_9scan_implILNS1_25lookback_scan_determinismE0ELb0ELb0ES3_N6thrust23THRUST_200600_302600_NS6detail15normal_iteratorINS9_10device_ptrIiEEEESE_i11max_functorIiEiEEDaPvRmT3_T4_T5_mT6_P12ihipStream_tbENKUlT_T0_E_clISt17integral_constantIbLb0EEST_IbLb1EEEEDaSP_SQ_EUlSP_E0_NS1_11comp_targetILNS1_3genE5ELNS1_11target_archE942ELNS1_3gpuE9ELNS1_3repE0EEENS1_30default_config_static_selectorELNS0_4arch9wavefront6targetE1EEEvT1_,comdat
	.protected	_ZN7rocprim17ROCPRIM_400000_NS6detail17trampoline_kernelINS0_14default_configENS1_20scan_config_selectorIiEEZZNS1_9scan_implILNS1_25lookback_scan_determinismE0ELb0ELb0ES3_N6thrust23THRUST_200600_302600_NS6detail15normal_iteratorINS9_10device_ptrIiEEEESE_i11max_functorIiEiEEDaPvRmT3_T4_T5_mT6_P12ihipStream_tbENKUlT_T0_E_clISt17integral_constantIbLb0EEST_IbLb1EEEEDaSP_SQ_EUlSP_E0_NS1_11comp_targetILNS1_3genE5ELNS1_11target_archE942ELNS1_3gpuE9ELNS1_3repE0EEENS1_30default_config_static_selectorELNS0_4arch9wavefront6targetE1EEEvT1_ ; -- Begin function _ZN7rocprim17ROCPRIM_400000_NS6detail17trampoline_kernelINS0_14default_configENS1_20scan_config_selectorIiEEZZNS1_9scan_implILNS1_25lookback_scan_determinismE0ELb0ELb0ES3_N6thrust23THRUST_200600_302600_NS6detail15normal_iteratorINS9_10device_ptrIiEEEESE_i11max_functorIiEiEEDaPvRmT3_T4_T5_mT6_P12ihipStream_tbENKUlT_T0_E_clISt17integral_constantIbLb0EEST_IbLb1EEEEDaSP_SQ_EUlSP_E0_NS1_11comp_targetILNS1_3genE5ELNS1_11target_archE942ELNS1_3gpuE9ELNS1_3repE0EEENS1_30default_config_static_selectorELNS0_4arch9wavefront6targetE1EEEvT1_
	.globl	_ZN7rocprim17ROCPRIM_400000_NS6detail17trampoline_kernelINS0_14default_configENS1_20scan_config_selectorIiEEZZNS1_9scan_implILNS1_25lookback_scan_determinismE0ELb0ELb0ES3_N6thrust23THRUST_200600_302600_NS6detail15normal_iteratorINS9_10device_ptrIiEEEESE_i11max_functorIiEiEEDaPvRmT3_T4_T5_mT6_P12ihipStream_tbENKUlT_T0_E_clISt17integral_constantIbLb0EEST_IbLb1EEEEDaSP_SQ_EUlSP_E0_NS1_11comp_targetILNS1_3genE5ELNS1_11target_archE942ELNS1_3gpuE9ELNS1_3repE0EEENS1_30default_config_static_selectorELNS0_4arch9wavefront6targetE1EEEvT1_
	.p2align	8
	.type	_ZN7rocprim17ROCPRIM_400000_NS6detail17trampoline_kernelINS0_14default_configENS1_20scan_config_selectorIiEEZZNS1_9scan_implILNS1_25lookback_scan_determinismE0ELb0ELb0ES3_N6thrust23THRUST_200600_302600_NS6detail15normal_iteratorINS9_10device_ptrIiEEEESE_i11max_functorIiEiEEDaPvRmT3_T4_T5_mT6_P12ihipStream_tbENKUlT_T0_E_clISt17integral_constantIbLb0EEST_IbLb1EEEEDaSP_SQ_EUlSP_E0_NS1_11comp_targetILNS1_3genE5ELNS1_11target_archE942ELNS1_3gpuE9ELNS1_3repE0EEENS1_30default_config_static_selectorELNS0_4arch9wavefront6targetE1EEEvT1_,@function
_ZN7rocprim17ROCPRIM_400000_NS6detail17trampoline_kernelINS0_14default_configENS1_20scan_config_selectorIiEEZZNS1_9scan_implILNS1_25lookback_scan_determinismE0ELb0ELb0ES3_N6thrust23THRUST_200600_302600_NS6detail15normal_iteratorINS9_10device_ptrIiEEEESE_i11max_functorIiEiEEDaPvRmT3_T4_T5_mT6_P12ihipStream_tbENKUlT_T0_E_clISt17integral_constantIbLb0EEST_IbLb1EEEEDaSP_SQ_EUlSP_E0_NS1_11comp_targetILNS1_3genE5ELNS1_11target_archE942ELNS1_3gpuE9ELNS1_3repE0EEENS1_30default_config_static_selectorELNS0_4arch9wavefront6targetE1EEEvT1_: ; @_ZN7rocprim17ROCPRIM_400000_NS6detail17trampoline_kernelINS0_14default_configENS1_20scan_config_selectorIiEEZZNS1_9scan_implILNS1_25lookback_scan_determinismE0ELb0ELb0ES3_N6thrust23THRUST_200600_302600_NS6detail15normal_iteratorINS9_10device_ptrIiEEEESE_i11max_functorIiEiEEDaPvRmT3_T4_T5_mT6_P12ihipStream_tbENKUlT_T0_E_clISt17integral_constantIbLb0EEST_IbLb1EEEEDaSP_SQ_EUlSP_E0_NS1_11comp_targetILNS1_3genE5ELNS1_11target_archE942ELNS1_3gpuE9ELNS1_3repE0EEENS1_30default_config_static_selectorELNS0_4arch9wavefront6targetE1EEEvT1_
; %bb.0:
	.section	.rodata,"a",@progbits
	.p2align	6, 0x0
	.amdhsa_kernel _ZN7rocprim17ROCPRIM_400000_NS6detail17trampoline_kernelINS0_14default_configENS1_20scan_config_selectorIiEEZZNS1_9scan_implILNS1_25lookback_scan_determinismE0ELb0ELb0ES3_N6thrust23THRUST_200600_302600_NS6detail15normal_iteratorINS9_10device_ptrIiEEEESE_i11max_functorIiEiEEDaPvRmT3_T4_T5_mT6_P12ihipStream_tbENKUlT_T0_E_clISt17integral_constantIbLb0EEST_IbLb1EEEEDaSP_SQ_EUlSP_E0_NS1_11comp_targetILNS1_3genE5ELNS1_11target_archE942ELNS1_3gpuE9ELNS1_3repE0EEENS1_30default_config_static_selectorELNS0_4arch9wavefront6targetE1EEEvT1_
		.amdhsa_group_segment_fixed_size 0
		.amdhsa_private_segment_fixed_size 0
		.amdhsa_kernarg_size 32
		.amdhsa_user_sgpr_count 6
		.amdhsa_user_sgpr_private_segment_buffer 1
		.amdhsa_user_sgpr_dispatch_ptr 0
		.amdhsa_user_sgpr_queue_ptr 0
		.amdhsa_user_sgpr_kernarg_segment_ptr 1
		.amdhsa_user_sgpr_dispatch_id 0
		.amdhsa_user_sgpr_flat_scratch_init 0
		.amdhsa_user_sgpr_kernarg_preload_length 0
		.amdhsa_user_sgpr_kernarg_preload_offset 0
		.amdhsa_user_sgpr_private_segment_size 0
		.amdhsa_uses_dynamic_stack 0
		.amdhsa_system_sgpr_private_segment_wavefront_offset 0
		.amdhsa_system_sgpr_workgroup_id_x 1
		.amdhsa_system_sgpr_workgroup_id_y 0
		.amdhsa_system_sgpr_workgroup_id_z 0
		.amdhsa_system_sgpr_workgroup_info 0
		.amdhsa_system_vgpr_workitem_id 0
		.amdhsa_next_free_vgpr 1
		.amdhsa_next_free_sgpr 0
		.amdhsa_accum_offset 4
		.amdhsa_reserve_vcc 0
		.amdhsa_reserve_flat_scratch 0
		.amdhsa_float_round_mode_32 0
		.amdhsa_float_round_mode_16_64 0
		.amdhsa_float_denorm_mode_32 3
		.amdhsa_float_denorm_mode_16_64 3
		.amdhsa_dx10_clamp 1
		.amdhsa_ieee_mode 1
		.amdhsa_fp16_overflow 0
		.amdhsa_tg_split 0
		.amdhsa_exception_fp_ieee_invalid_op 0
		.amdhsa_exception_fp_denorm_src 0
		.amdhsa_exception_fp_ieee_div_zero 0
		.amdhsa_exception_fp_ieee_overflow 0
		.amdhsa_exception_fp_ieee_underflow 0
		.amdhsa_exception_fp_ieee_inexact 0
		.amdhsa_exception_int_div_zero 0
	.end_amdhsa_kernel
	.section	.text._ZN7rocprim17ROCPRIM_400000_NS6detail17trampoline_kernelINS0_14default_configENS1_20scan_config_selectorIiEEZZNS1_9scan_implILNS1_25lookback_scan_determinismE0ELb0ELb0ES3_N6thrust23THRUST_200600_302600_NS6detail15normal_iteratorINS9_10device_ptrIiEEEESE_i11max_functorIiEiEEDaPvRmT3_T4_T5_mT6_P12ihipStream_tbENKUlT_T0_E_clISt17integral_constantIbLb0EEST_IbLb1EEEEDaSP_SQ_EUlSP_E0_NS1_11comp_targetILNS1_3genE5ELNS1_11target_archE942ELNS1_3gpuE9ELNS1_3repE0EEENS1_30default_config_static_selectorELNS0_4arch9wavefront6targetE1EEEvT1_,"axG",@progbits,_ZN7rocprim17ROCPRIM_400000_NS6detail17trampoline_kernelINS0_14default_configENS1_20scan_config_selectorIiEEZZNS1_9scan_implILNS1_25lookback_scan_determinismE0ELb0ELb0ES3_N6thrust23THRUST_200600_302600_NS6detail15normal_iteratorINS9_10device_ptrIiEEEESE_i11max_functorIiEiEEDaPvRmT3_T4_T5_mT6_P12ihipStream_tbENKUlT_T0_E_clISt17integral_constantIbLb0EEST_IbLb1EEEEDaSP_SQ_EUlSP_E0_NS1_11comp_targetILNS1_3genE5ELNS1_11target_archE942ELNS1_3gpuE9ELNS1_3repE0EEENS1_30default_config_static_selectorELNS0_4arch9wavefront6targetE1EEEvT1_,comdat
.Lfunc_end2766:
	.size	_ZN7rocprim17ROCPRIM_400000_NS6detail17trampoline_kernelINS0_14default_configENS1_20scan_config_selectorIiEEZZNS1_9scan_implILNS1_25lookback_scan_determinismE0ELb0ELb0ES3_N6thrust23THRUST_200600_302600_NS6detail15normal_iteratorINS9_10device_ptrIiEEEESE_i11max_functorIiEiEEDaPvRmT3_T4_T5_mT6_P12ihipStream_tbENKUlT_T0_E_clISt17integral_constantIbLb0EEST_IbLb1EEEEDaSP_SQ_EUlSP_E0_NS1_11comp_targetILNS1_3genE5ELNS1_11target_archE942ELNS1_3gpuE9ELNS1_3repE0EEENS1_30default_config_static_selectorELNS0_4arch9wavefront6targetE1EEEvT1_, .Lfunc_end2766-_ZN7rocprim17ROCPRIM_400000_NS6detail17trampoline_kernelINS0_14default_configENS1_20scan_config_selectorIiEEZZNS1_9scan_implILNS1_25lookback_scan_determinismE0ELb0ELb0ES3_N6thrust23THRUST_200600_302600_NS6detail15normal_iteratorINS9_10device_ptrIiEEEESE_i11max_functorIiEiEEDaPvRmT3_T4_T5_mT6_P12ihipStream_tbENKUlT_T0_E_clISt17integral_constantIbLb0EEST_IbLb1EEEEDaSP_SQ_EUlSP_E0_NS1_11comp_targetILNS1_3genE5ELNS1_11target_archE942ELNS1_3gpuE9ELNS1_3repE0EEENS1_30default_config_static_selectorELNS0_4arch9wavefront6targetE1EEEvT1_
                                        ; -- End function
	.section	.AMDGPU.csdata,"",@progbits
; Kernel info:
; codeLenInByte = 0
; NumSgprs: 4
; NumVgprs: 0
; NumAgprs: 0
; TotalNumVgprs: 0
; ScratchSize: 0
; MemoryBound: 0
; FloatMode: 240
; IeeeMode: 1
; LDSByteSize: 0 bytes/workgroup (compile time only)
; SGPRBlocks: 0
; VGPRBlocks: 0
; NumSGPRsForWavesPerEU: 4
; NumVGPRsForWavesPerEU: 1
; AccumOffset: 4
; Occupancy: 8
; WaveLimiterHint : 0
; COMPUTE_PGM_RSRC2:SCRATCH_EN: 0
; COMPUTE_PGM_RSRC2:USER_SGPR: 6
; COMPUTE_PGM_RSRC2:TRAP_HANDLER: 0
; COMPUTE_PGM_RSRC2:TGID_X_EN: 1
; COMPUTE_PGM_RSRC2:TGID_Y_EN: 0
; COMPUTE_PGM_RSRC2:TGID_Z_EN: 0
; COMPUTE_PGM_RSRC2:TIDIG_COMP_CNT: 0
; COMPUTE_PGM_RSRC3_GFX90A:ACCUM_OFFSET: 0
; COMPUTE_PGM_RSRC3_GFX90A:TG_SPLIT: 0
	.section	.text._ZN7rocprim17ROCPRIM_400000_NS6detail17trampoline_kernelINS0_14default_configENS1_20scan_config_selectorIiEEZZNS1_9scan_implILNS1_25lookback_scan_determinismE0ELb0ELb0ES3_N6thrust23THRUST_200600_302600_NS6detail15normal_iteratorINS9_10device_ptrIiEEEESE_i11max_functorIiEiEEDaPvRmT3_T4_T5_mT6_P12ihipStream_tbENKUlT_T0_E_clISt17integral_constantIbLb0EEST_IbLb1EEEEDaSP_SQ_EUlSP_E0_NS1_11comp_targetILNS1_3genE4ELNS1_11target_archE910ELNS1_3gpuE8ELNS1_3repE0EEENS1_30default_config_static_selectorELNS0_4arch9wavefront6targetE1EEEvT1_,"axG",@progbits,_ZN7rocprim17ROCPRIM_400000_NS6detail17trampoline_kernelINS0_14default_configENS1_20scan_config_selectorIiEEZZNS1_9scan_implILNS1_25lookback_scan_determinismE0ELb0ELb0ES3_N6thrust23THRUST_200600_302600_NS6detail15normal_iteratorINS9_10device_ptrIiEEEESE_i11max_functorIiEiEEDaPvRmT3_T4_T5_mT6_P12ihipStream_tbENKUlT_T0_E_clISt17integral_constantIbLb0EEST_IbLb1EEEEDaSP_SQ_EUlSP_E0_NS1_11comp_targetILNS1_3genE4ELNS1_11target_archE910ELNS1_3gpuE8ELNS1_3repE0EEENS1_30default_config_static_selectorELNS0_4arch9wavefront6targetE1EEEvT1_,comdat
	.protected	_ZN7rocprim17ROCPRIM_400000_NS6detail17trampoline_kernelINS0_14default_configENS1_20scan_config_selectorIiEEZZNS1_9scan_implILNS1_25lookback_scan_determinismE0ELb0ELb0ES3_N6thrust23THRUST_200600_302600_NS6detail15normal_iteratorINS9_10device_ptrIiEEEESE_i11max_functorIiEiEEDaPvRmT3_T4_T5_mT6_P12ihipStream_tbENKUlT_T0_E_clISt17integral_constantIbLb0EEST_IbLb1EEEEDaSP_SQ_EUlSP_E0_NS1_11comp_targetILNS1_3genE4ELNS1_11target_archE910ELNS1_3gpuE8ELNS1_3repE0EEENS1_30default_config_static_selectorELNS0_4arch9wavefront6targetE1EEEvT1_ ; -- Begin function _ZN7rocprim17ROCPRIM_400000_NS6detail17trampoline_kernelINS0_14default_configENS1_20scan_config_selectorIiEEZZNS1_9scan_implILNS1_25lookback_scan_determinismE0ELb0ELb0ES3_N6thrust23THRUST_200600_302600_NS6detail15normal_iteratorINS9_10device_ptrIiEEEESE_i11max_functorIiEiEEDaPvRmT3_T4_T5_mT6_P12ihipStream_tbENKUlT_T0_E_clISt17integral_constantIbLb0EEST_IbLb1EEEEDaSP_SQ_EUlSP_E0_NS1_11comp_targetILNS1_3genE4ELNS1_11target_archE910ELNS1_3gpuE8ELNS1_3repE0EEENS1_30default_config_static_selectorELNS0_4arch9wavefront6targetE1EEEvT1_
	.globl	_ZN7rocprim17ROCPRIM_400000_NS6detail17trampoline_kernelINS0_14default_configENS1_20scan_config_selectorIiEEZZNS1_9scan_implILNS1_25lookback_scan_determinismE0ELb0ELb0ES3_N6thrust23THRUST_200600_302600_NS6detail15normal_iteratorINS9_10device_ptrIiEEEESE_i11max_functorIiEiEEDaPvRmT3_T4_T5_mT6_P12ihipStream_tbENKUlT_T0_E_clISt17integral_constantIbLb0EEST_IbLb1EEEEDaSP_SQ_EUlSP_E0_NS1_11comp_targetILNS1_3genE4ELNS1_11target_archE910ELNS1_3gpuE8ELNS1_3repE0EEENS1_30default_config_static_selectorELNS0_4arch9wavefront6targetE1EEEvT1_
	.p2align	8
	.type	_ZN7rocprim17ROCPRIM_400000_NS6detail17trampoline_kernelINS0_14default_configENS1_20scan_config_selectorIiEEZZNS1_9scan_implILNS1_25lookback_scan_determinismE0ELb0ELb0ES3_N6thrust23THRUST_200600_302600_NS6detail15normal_iteratorINS9_10device_ptrIiEEEESE_i11max_functorIiEiEEDaPvRmT3_T4_T5_mT6_P12ihipStream_tbENKUlT_T0_E_clISt17integral_constantIbLb0EEST_IbLb1EEEEDaSP_SQ_EUlSP_E0_NS1_11comp_targetILNS1_3genE4ELNS1_11target_archE910ELNS1_3gpuE8ELNS1_3repE0EEENS1_30default_config_static_selectorELNS0_4arch9wavefront6targetE1EEEvT1_,@function
_ZN7rocprim17ROCPRIM_400000_NS6detail17trampoline_kernelINS0_14default_configENS1_20scan_config_selectorIiEEZZNS1_9scan_implILNS1_25lookback_scan_determinismE0ELb0ELb0ES3_N6thrust23THRUST_200600_302600_NS6detail15normal_iteratorINS9_10device_ptrIiEEEESE_i11max_functorIiEiEEDaPvRmT3_T4_T5_mT6_P12ihipStream_tbENKUlT_T0_E_clISt17integral_constantIbLb0EEST_IbLb1EEEEDaSP_SQ_EUlSP_E0_NS1_11comp_targetILNS1_3genE4ELNS1_11target_archE910ELNS1_3gpuE8ELNS1_3repE0EEENS1_30default_config_static_selectorELNS0_4arch9wavefront6targetE1EEEvT1_: ; @_ZN7rocprim17ROCPRIM_400000_NS6detail17trampoline_kernelINS0_14default_configENS1_20scan_config_selectorIiEEZZNS1_9scan_implILNS1_25lookback_scan_determinismE0ELb0ELb0ES3_N6thrust23THRUST_200600_302600_NS6detail15normal_iteratorINS9_10device_ptrIiEEEESE_i11max_functorIiEiEEDaPvRmT3_T4_T5_mT6_P12ihipStream_tbENKUlT_T0_E_clISt17integral_constantIbLb0EEST_IbLb1EEEEDaSP_SQ_EUlSP_E0_NS1_11comp_targetILNS1_3genE4ELNS1_11target_archE910ELNS1_3gpuE8ELNS1_3repE0EEENS1_30default_config_static_selectorELNS0_4arch9wavefront6targetE1EEEvT1_
; %bb.0:
	s_load_dwordx4 s[20:23], s[4:5], 0x0
	v_lshlrev_b32_e32 v22, 2, v0
	s_waitcnt lgkmcnt(0)
	s_load_dword s23, s[20:21], 0x0
	v_cmp_gt_u32_e32 vcc, s22, v0
	s_waitcnt lgkmcnt(0)
	v_mov_b32_e32 v1, s23
	s_and_saveexec_b64 s[0:1], vcc
	s_cbranch_execz .LBB2767_2
; %bb.1:
	global_load_dword v1, v22, s[20:21]
.LBB2767_2:
	s_or_b64 exec, exec, s[0:1]
	v_or_b32_e32 v2, 0x80, v0
	v_cmp_gt_u32_e64 s[0:1], s22, v2
	v_mov_b32_e32 v2, s23
	s_and_saveexec_b64 s[2:3], s[0:1]
	s_cbranch_execz .LBB2767_4
; %bb.3:
	global_load_dword v2, v22, s[20:21] offset:512
.LBB2767_4:
	s_or_b64 exec, exec, s[2:3]
	v_or_b32_e32 v3, 0x100, v0
	v_cmp_gt_u32_e64 s[2:3], s22, v3
	v_mov_b32_e32 v3, s23
	s_and_saveexec_b64 s[6:7], s[2:3]
	s_cbranch_execz .LBB2767_6
; %bb.5:
	global_load_dword v3, v22, s[20:21] offset:1024
.LBB2767_6:
	;; [unrolled: 9-line block ×7, first 2 shown]
	s_or_b64 exec, exec, s[14:15]
	v_or_b32_e32 v10, 0x400, v0
	v_cmp_gt_u32_e64 s[14:15], s22, v10
	v_mov_b32_e32 v9, s23
	s_and_saveexec_b64 s[16:17], s[14:15]
	s_cbranch_execz .LBB2767_18
; %bb.17:
	v_lshlrev_b32_e32 v9, 2, v10
	global_load_dword v9, v9, s[20:21]
.LBB2767_18:
	s_or_b64 exec, exec, s[16:17]
	v_or_b32_e32 v11, 0x480, v0
	v_cmp_gt_u32_e64 s[16:17], s22, v11
	v_mov_b32_e32 v10, s23
	s_and_saveexec_b64 s[22:23], s[16:17]
	s_cbranch_execz .LBB2767_20
; %bb.19:
	v_lshlrev_b32_e32 v10, 2, v11
	global_load_dword v10, v10, s[20:21]
.LBB2767_20:
	s_or_b64 exec, exec, s[22:23]
	s_waitcnt vmcnt(0)
	ds_write2st64_b32 v22, v1, v2 offset1:2
	ds_write2st64_b32 v22, v3, v4 offset0:4 offset1:6
	ds_write2st64_b32 v22, v5, v6 offset0:8 offset1:10
	;; [unrolled: 1-line block ×4, first 2 shown]
	v_mad_u32_u24 v1, v0, 36, v22
	s_waitcnt lgkmcnt(0)
	s_barrier
	ds_read2_b64 v[6:9], v1 offset1:1
	ds_read2_b64 v[2:5], v1 offset0:2 offset1:3
	ds_read_b64 v[20:21], v1 offset:32
	v_lshrrev_b32_e32 v12, 3, v0
	v_and_b32_e32 v12, 12, v12
	s_waitcnt lgkmcnt(2)
	v_max_i32_e32 v13, v6, v7
	v_max_i32_e32 v16, v13, v8
	;; [unrolled: 1-line block ×3, first 2 shown]
	s_waitcnt lgkmcnt(1)
	v_max_i32_e32 v10, v17, v2
	v_max_i32_e32 v11, v10, v3
	;; [unrolled: 1-line block ×4, first 2 shown]
	s_waitcnt lgkmcnt(0)
	v_max_i32_e32 v18, v15, v20
	v_max_i32_e32 v19, v18, v21
	v_add_u32_e32 v12, v22, v12
	v_cmp_gt_u32_e64 s[20:21], 64, v0
	s_barrier
	ds_write_b32 v12, v19
	s_waitcnt lgkmcnt(0)
	s_barrier
	s_and_saveexec_b64 s[22:23], s[20:21]
	s_cbranch_execz .LBB2767_22
; %bb.21:
	v_lshlrev_b32_e32 v12, 1, v0
	v_lshrrev_b32_e32 v23, 4, v0
	v_add_lshl_u32 v12, v23, v12, 2
	ds_read2_b32 v[24:25], v12 offset1:1
	v_mbcnt_lo_u32_b32 v23, -1, 0
	v_mbcnt_hi_u32_b32 v23, -1, v23
	v_and_b32_e32 v26, 15, v23
	v_cmp_eq_u32_e64 s[20:21], 0, v26
	s_waitcnt lgkmcnt(0)
	v_max_i32_e32 v25, v24, v25
	; wave barrier
	s_nop 1
	v_mov_b32_dpp v27, v25 row_shr:1 row_mask:0xf bank_mask:0xf
	v_max_i32_e32 v27, v27, v25
	v_cndmask_b32_e64 v25, v27, v25, s[20:21]
	v_cmp_lt_u32_e64 s[20:21], 1, v26
	s_nop 0
	v_mov_b32_dpp v27, v25 row_shr:2 row_mask:0xf bank_mask:0xf
	v_max_i32_e32 v27, v27, v25
	v_cndmask_b32_e64 v25, v25, v27, s[20:21]
	v_cmp_lt_u32_e64 s[20:21], 3, v26
	;; [unrolled: 5-line block ×3, first 2 shown]
	s_nop 0
	v_mov_b32_dpp v27, v25 row_shr:8 row_mask:0xf bank_mask:0xf
	v_max_i32_e32 v27, v27, v25
	v_cndmask_b32_e64 v25, v25, v27, s[20:21]
	v_and_b32_e32 v27, 16, v23
	v_cmp_eq_u32_e64 s[20:21], 0, v27
	v_mov_b32_dpp v26, v25 row_bcast:15 row_mask:0xf bank_mask:0xf
	v_max_i32_e32 v26, v26, v25
	v_cndmask_b32_e64 v25, v26, v25, s[20:21]
	v_cmp_lt_u32_e64 s[20:21], 31, v23
	v_and_b32_e32 v27, 64, v23
	v_mov_b32_dpp v26, v25 row_bcast:31 row_mask:0xf bank_mask:0xf
	v_max_i32_e32 v26, v26, v25
	v_cndmask_b32_e64 v25, v25, v26, s[20:21]
	v_add_u32_e32 v26, -1, v23
	v_cmp_lt_i32_e64 s[20:21], v26, v27
	v_cndmask_b32_e64 v23, v26, v23, s[20:21]
	v_lshlrev_b32_e32 v23, 2, v23
	ds_bpermute_b32 v23, v23, v25
	v_cmp_eq_u32_e64 s[20:21], 0, v0
	s_waitcnt lgkmcnt(0)
	v_max_i32_e32 v23, v23, v24
	v_cndmask_b32_e64 v23, v23, v19, s[20:21]
	ds_write_b32 v12, v23
	; wave barrier
	ds_read_b32 v24, v12 offset:4
	s_waitcnt lgkmcnt(0)
	v_max_i32_e32 v23, v23, v24
	ds_write_b32 v12, v23 offset:4
.LBB2767_22:
	s_or_b64 exec, exec, s[22:23]
	s_load_dwordx2 s[20:21], s[4:5], 0x18
	v_cmp_ne_u32_e64 s[4:5], 0, v0
	v_mov_b32_e32 v23, v19
	s_waitcnt lgkmcnt(0)
	s_barrier
	s_and_saveexec_b64 s[22:23], s[4:5]
	s_cbranch_execz .LBB2767_24
; %bb.23:
	v_add_u32_e32 v12, -1, v0
	v_lshrrev_b32_e32 v23, 5, v12
	v_add_lshl_u32 v12, v23, v12, 2
	ds_read_b32 v23, v12
.LBB2767_24:
	s_or_b64 exec, exec, s[22:23]
	v_mov_b32_e32 v12, v6
	s_and_saveexec_b64 s[22:23], s[4:5]
	s_cbranch_execz .LBB2767_26
; %bb.25:
	s_waitcnt lgkmcnt(0)
	v_max_i32_e32 v12, v23, v6
	v_max_i32_e32 v13, v12, v7
	;; [unrolled: 1-line block ×10, first 2 shown]
	;;#ASMSTART
	;;#ASMEND
.LBB2767_26:
	s_or_b64 exec, exec, s[22:23]
	s_movk_i32 s4, 0xffdc
	v_mad_i32_i24 v0, v0, s4, v1
	s_waitcnt lgkmcnt(0)
	s_barrier
	ds_write2_b64 v1, v[12:13], v[16:17] offset1:1
	ds_write2_b64 v1, v[10:11], v[14:15] offset0:2 offset1:3
	ds_write_b64 v1, v[18:19] offset:32
	s_waitcnt lgkmcnt(0)
	s_barrier
	ds_read2st64_b32 v[8:9], v0 offset0:2 offset1:4
	ds_read2st64_b32 v[6:7], v0 offset0:6 offset1:8
	;; [unrolled: 1-line block ×4, first 2 shown]
	ds_read_b32 v10, v22 offset:4096
	v_mov_b32_e32 v3, s21
	v_add_co_u32_e64 v2, s[4:5], s20, v22
	v_addc_co_u32_e64 v3, s[4:5], 0, v3, s[4:5]
	s_and_saveexec_b64 s[4:5], vcc
	s_cbranch_execnz .LBB2767_37
; %bb.27:
	s_or_b64 exec, exec, s[4:5]
	s_and_saveexec_b64 s[4:5], s[0:1]
	s_cbranch_execnz .LBB2767_38
.LBB2767_28:
	s_or_b64 exec, exec, s[4:5]
	s_and_saveexec_b64 s[0:1], s[2:3]
	s_cbranch_execnz .LBB2767_39
.LBB2767_29:
	s_or_b64 exec, exec, s[0:1]
	s_and_saveexec_b64 s[0:1], s[18:19]
	s_cbranch_execnz .LBB2767_40
.LBB2767_30:
	s_or_b64 exec, exec, s[0:1]
	s_and_saveexec_b64 s[0:1], s[6:7]
	s_cbranch_execnz .LBB2767_41
.LBB2767_31:
	s_or_b64 exec, exec, s[0:1]
	s_and_saveexec_b64 s[0:1], s[8:9]
	s_cbranch_execnz .LBB2767_42
.LBB2767_32:
	s_or_b64 exec, exec, s[0:1]
	s_and_saveexec_b64 s[0:1], s[10:11]
	s_cbranch_execnz .LBB2767_43
.LBB2767_33:
	s_or_b64 exec, exec, s[0:1]
	s_and_saveexec_b64 s[0:1], s[12:13]
	s_cbranch_execnz .LBB2767_44
.LBB2767_34:
	s_or_b64 exec, exec, s[0:1]
	s_and_saveexec_b64 s[0:1], s[14:15]
	s_cbranch_execnz .LBB2767_45
.LBB2767_35:
	s_or_b64 exec, exec, s[0:1]
	s_and_saveexec_b64 s[0:1], s[16:17]
	s_cbranch_execnz .LBB2767_46
.LBB2767_36:
	s_endpgm
.LBB2767_37:
	ds_read_b32 v11, v22
	s_waitcnt lgkmcnt(0)
	global_store_dword v[2:3], v11, off
	s_or_b64 exec, exec, s[4:5]
	s_and_saveexec_b64 s[4:5], s[0:1]
	s_cbranch_execz .LBB2767_28
.LBB2767_38:
	s_waitcnt lgkmcnt(4)
	global_store_dword v[2:3], v8, off offset:512
	s_or_b64 exec, exec, s[4:5]
	s_and_saveexec_b64 s[0:1], s[2:3]
	s_cbranch_execz .LBB2767_29
.LBB2767_39:
	s_waitcnt lgkmcnt(4)
	global_store_dword v[2:3], v9, off offset:1024
	s_or_b64 exec, exec, s[0:1]
	s_and_saveexec_b64 s[0:1], s[18:19]
	s_cbranch_execz .LBB2767_30
.LBB2767_40:
	s_waitcnt lgkmcnt(3)
	global_store_dword v[2:3], v6, off offset:1536
	s_or_b64 exec, exec, s[0:1]
	s_and_saveexec_b64 s[0:1], s[6:7]
	s_cbranch_execz .LBB2767_31
.LBB2767_41:
	s_waitcnt lgkmcnt(3)
	global_store_dword v[2:3], v7, off offset:2048
	s_or_b64 exec, exec, s[0:1]
	s_and_saveexec_b64 s[0:1], s[8:9]
	s_cbranch_execz .LBB2767_32
.LBB2767_42:
	s_waitcnt lgkmcnt(2)
	global_store_dword v[2:3], v4, off offset:2560
	s_or_b64 exec, exec, s[0:1]
	s_and_saveexec_b64 s[0:1], s[10:11]
	s_cbranch_execz .LBB2767_33
.LBB2767_43:
	s_waitcnt lgkmcnt(2)
	global_store_dword v[2:3], v5, off offset:3072
	s_or_b64 exec, exec, s[0:1]
	s_and_saveexec_b64 s[0:1], s[12:13]
	s_cbranch_execz .LBB2767_34
.LBB2767_44:
	s_waitcnt lgkmcnt(1)
	global_store_dword v[2:3], v0, off offset:3584
	s_or_b64 exec, exec, s[0:1]
	s_and_saveexec_b64 s[0:1], s[14:15]
	s_cbranch_execz .LBB2767_35
.LBB2767_45:
	s_waitcnt lgkmcnt(2)
	v_add_co_u32_e32 v4, vcc, 0x1000, v2
	v_addc_co_u32_e32 v5, vcc, 0, v3, vcc
	s_waitcnt lgkmcnt(0)
	global_store_dword v[4:5], v10, off
	s_or_b64 exec, exec, s[0:1]
	s_and_saveexec_b64 s[0:1], s[16:17]
	s_cbranch_execz .LBB2767_36
.LBB2767_46:
	v_add_co_u32_e32 v2, vcc, 0x1000, v2
	v_addc_co_u32_e32 v3, vcc, 0, v3, vcc
	s_waitcnt lgkmcnt(1)
	global_store_dword v[2:3], v1, off offset:512
	s_endpgm
	.section	.rodata,"a",@progbits
	.p2align	6, 0x0
	.amdhsa_kernel _ZN7rocprim17ROCPRIM_400000_NS6detail17trampoline_kernelINS0_14default_configENS1_20scan_config_selectorIiEEZZNS1_9scan_implILNS1_25lookback_scan_determinismE0ELb0ELb0ES3_N6thrust23THRUST_200600_302600_NS6detail15normal_iteratorINS9_10device_ptrIiEEEESE_i11max_functorIiEiEEDaPvRmT3_T4_T5_mT6_P12ihipStream_tbENKUlT_T0_E_clISt17integral_constantIbLb0EEST_IbLb1EEEEDaSP_SQ_EUlSP_E0_NS1_11comp_targetILNS1_3genE4ELNS1_11target_archE910ELNS1_3gpuE8ELNS1_3repE0EEENS1_30default_config_static_selectorELNS0_4arch9wavefront6targetE1EEEvT1_
		.amdhsa_group_segment_fixed_size 5120
		.amdhsa_private_segment_fixed_size 0
		.amdhsa_kernarg_size 32
		.amdhsa_user_sgpr_count 6
		.amdhsa_user_sgpr_private_segment_buffer 1
		.amdhsa_user_sgpr_dispatch_ptr 0
		.amdhsa_user_sgpr_queue_ptr 0
		.amdhsa_user_sgpr_kernarg_segment_ptr 1
		.amdhsa_user_sgpr_dispatch_id 0
		.amdhsa_user_sgpr_flat_scratch_init 0
		.amdhsa_user_sgpr_kernarg_preload_length 0
		.amdhsa_user_sgpr_kernarg_preload_offset 0
		.amdhsa_user_sgpr_private_segment_size 0
		.amdhsa_uses_dynamic_stack 0
		.amdhsa_system_sgpr_private_segment_wavefront_offset 0
		.amdhsa_system_sgpr_workgroup_id_x 1
		.amdhsa_system_sgpr_workgroup_id_y 0
		.amdhsa_system_sgpr_workgroup_id_z 0
		.amdhsa_system_sgpr_workgroup_info 0
		.amdhsa_system_vgpr_workitem_id 0
		.amdhsa_next_free_vgpr 28
		.amdhsa_next_free_sgpr 24
		.amdhsa_accum_offset 28
		.amdhsa_reserve_vcc 1
		.amdhsa_reserve_flat_scratch 0
		.amdhsa_float_round_mode_32 0
		.amdhsa_float_round_mode_16_64 0
		.amdhsa_float_denorm_mode_32 3
		.amdhsa_float_denorm_mode_16_64 3
		.amdhsa_dx10_clamp 1
		.amdhsa_ieee_mode 1
		.amdhsa_fp16_overflow 0
		.amdhsa_tg_split 0
		.amdhsa_exception_fp_ieee_invalid_op 0
		.amdhsa_exception_fp_denorm_src 0
		.amdhsa_exception_fp_ieee_div_zero 0
		.amdhsa_exception_fp_ieee_overflow 0
		.amdhsa_exception_fp_ieee_underflow 0
		.amdhsa_exception_fp_ieee_inexact 0
		.amdhsa_exception_int_div_zero 0
	.end_amdhsa_kernel
	.section	.text._ZN7rocprim17ROCPRIM_400000_NS6detail17trampoline_kernelINS0_14default_configENS1_20scan_config_selectorIiEEZZNS1_9scan_implILNS1_25lookback_scan_determinismE0ELb0ELb0ES3_N6thrust23THRUST_200600_302600_NS6detail15normal_iteratorINS9_10device_ptrIiEEEESE_i11max_functorIiEiEEDaPvRmT3_T4_T5_mT6_P12ihipStream_tbENKUlT_T0_E_clISt17integral_constantIbLb0EEST_IbLb1EEEEDaSP_SQ_EUlSP_E0_NS1_11comp_targetILNS1_3genE4ELNS1_11target_archE910ELNS1_3gpuE8ELNS1_3repE0EEENS1_30default_config_static_selectorELNS0_4arch9wavefront6targetE1EEEvT1_,"axG",@progbits,_ZN7rocprim17ROCPRIM_400000_NS6detail17trampoline_kernelINS0_14default_configENS1_20scan_config_selectorIiEEZZNS1_9scan_implILNS1_25lookback_scan_determinismE0ELb0ELb0ES3_N6thrust23THRUST_200600_302600_NS6detail15normal_iteratorINS9_10device_ptrIiEEEESE_i11max_functorIiEiEEDaPvRmT3_T4_T5_mT6_P12ihipStream_tbENKUlT_T0_E_clISt17integral_constantIbLb0EEST_IbLb1EEEEDaSP_SQ_EUlSP_E0_NS1_11comp_targetILNS1_3genE4ELNS1_11target_archE910ELNS1_3gpuE8ELNS1_3repE0EEENS1_30default_config_static_selectorELNS0_4arch9wavefront6targetE1EEEvT1_,comdat
.Lfunc_end2767:
	.size	_ZN7rocprim17ROCPRIM_400000_NS6detail17trampoline_kernelINS0_14default_configENS1_20scan_config_selectorIiEEZZNS1_9scan_implILNS1_25lookback_scan_determinismE0ELb0ELb0ES3_N6thrust23THRUST_200600_302600_NS6detail15normal_iteratorINS9_10device_ptrIiEEEESE_i11max_functorIiEiEEDaPvRmT3_T4_T5_mT6_P12ihipStream_tbENKUlT_T0_E_clISt17integral_constantIbLb0EEST_IbLb1EEEEDaSP_SQ_EUlSP_E0_NS1_11comp_targetILNS1_3genE4ELNS1_11target_archE910ELNS1_3gpuE8ELNS1_3repE0EEENS1_30default_config_static_selectorELNS0_4arch9wavefront6targetE1EEEvT1_, .Lfunc_end2767-_ZN7rocprim17ROCPRIM_400000_NS6detail17trampoline_kernelINS0_14default_configENS1_20scan_config_selectorIiEEZZNS1_9scan_implILNS1_25lookback_scan_determinismE0ELb0ELb0ES3_N6thrust23THRUST_200600_302600_NS6detail15normal_iteratorINS9_10device_ptrIiEEEESE_i11max_functorIiEiEEDaPvRmT3_T4_T5_mT6_P12ihipStream_tbENKUlT_T0_E_clISt17integral_constantIbLb0EEST_IbLb1EEEEDaSP_SQ_EUlSP_E0_NS1_11comp_targetILNS1_3genE4ELNS1_11target_archE910ELNS1_3gpuE8ELNS1_3repE0EEENS1_30default_config_static_selectorELNS0_4arch9wavefront6targetE1EEEvT1_
                                        ; -- End function
	.section	.AMDGPU.csdata,"",@progbits
; Kernel info:
; codeLenInByte = 1564
; NumSgprs: 28
; NumVgprs: 28
; NumAgprs: 0
; TotalNumVgprs: 28
; ScratchSize: 0
; MemoryBound: 0
; FloatMode: 240
; IeeeMode: 1
; LDSByteSize: 5120 bytes/workgroup (compile time only)
; SGPRBlocks: 3
; VGPRBlocks: 3
; NumSGPRsForWavesPerEU: 28
; NumVGPRsForWavesPerEU: 28
; AccumOffset: 28
; Occupancy: 6
; WaveLimiterHint : 0
; COMPUTE_PGM_RSRC2:SCRATCH_EN: 0
; COMPUTE_PGM_RSRC2:USER_SGPR: 6
; COMPUTE_PGM_RSRC2:TRAP_HANDLER: 0
; COMPUTE_PGM_RSRC2:TGID_X_EN: 1
; COMPUTE_PGM_RSRC2:TGID_Y_EN: 0
; COMPUTE_PGM_RSRC2:TGID_Z_EN: 0
; COMPUTE_PGM_RSRC2:TIDIG_COMP_CNT: 0
; COMPUTE_PGM_RSRC3_GFX90A:ACCUM_OFFSET: 6
; COMPUTE_PGM_RSRC3_GFX90A:TG_SPLIT: 0
	.section	.text._ZN7rocprim17ROCPRIM_400000_NS6detail17trampoline_kernelINS0_14default_configENS1_20scan_config_selectorIiEEZZNS1_9scan_implILNS1_25lookback_scan_determinismE0ELb0ELb0ES3_N6thrust23THRUST_200600_302600_NS6detail15normal_iteratorINS9_10device_ptrIiEEEESE_i11max_functorIiEiEEDaPvRmT3_T4_T5_mT6_P12ihipStream_tbENKUlT_T0_E_clISt17integral_constantIbLb0EEST_IbLb1EEEEDaSP_SQ_EUlSP_E0_NS1_11comp_targetILNS1_3genE3ELNS1_11target_archE908ELNS1_3gpuE7ELNS1_3repE0EEENS1_30default_config_static_selectorELNS0_4arch9wavefront6targetE1EEEvT1_,"axG",@progbits,_ZN7rocprim17ROCPRIM_400000_NS6detail17trampoline_kernelINS0_14default_configENS1_20scan_config_selectorIiEEZZNS1_9scan_implILNS1_25lookback_scan_determinismE0ELb0ELb0ES3_N6thrust23THRUST_200600_302600_NS6detail15normal_iteratorINS9_10device_ptrIiEEEESE_i11max_functorIiEiEEDaPvRmT3_T4_T5_mT6_P12ihipStream_tbENKUlT_T0_E_clISt17integral_constantIbLb0EEST_IbLb1EEEEDaSP_SQ_EUlSP_E0_NS1_11comp_targetILNS1_3genE3ELNS1_11target_archE908ELNS1_3gpuE7ELNS1_3repE0EEENS1_30default_config_static_selectorELNS0_4arch9wavefront6targetE1EEEvT1_,comdat
	.protected	_ZN7rocprim17ROCPRIM_400000_NS6detail17trampoline_kernelINS0_14default_configENS1_20scan_config_selectorIiEEZZNS1_9scan_implILNS1_25lookback_scan_determinismE0ELb0ELb0ES3_N6thrust23THRUST_200600_302600_NS6detail15normal_iteratorINS9_10device_ptrIiEEEESE_i11max_functorIiEiEEDaPvRmT3_T4_T5_mT6_P12ihipStream_tbENKUlT_T0_E_clISt17integral_constantIbLb0EEST_IbLb1EEEEDaSP_SQ_EUlSP_E0_NS1_11comp_targetILNS1_3genE3ELNS1_11target_archE908ELNS1_3gpuE7ELNS1_3repE0EEENS1_30default_config_static_selectorELNS0_4arch9wavefront6targetE1EEEvT1_ ; -- Begin function _ZN7rocprim17ROCPRIM_400000_NS6detail17trampoline_kernelINS0_14default_configENS1_20scan_config_selectorIiEEZZNS1_9scan_implILNS1_25lookback_scan_determinismE0ELb0ELb0ES3_N6thrust23THRUST_200600_302600_NS6detail15normal_iteratorINS9_10device_ptrIiEEEESE_i11max_functorIiEiEEDaPvRmT3_T4_T5_mT6_P12ihipStream_tbENKUlT_T0_E_clISt17integral_constantIbLb0EEST_IbLb1EEEEDaSP_SQ_EUlSP_E0_NS1_11comp_targetILNS1_3genE3ELNS1_11target_archE908ELNS1_3gpuE7ELNS1_3repE0EEENS1_30default_config_static_selectorELNS0_4arch9wavefront6targetE1EEEvT1_
	.globl	_ZN7rocprim17ROCPRIM_400000_NS6detail17trampoline_kernelINS0_14default_configENS1_20scan_config_selectorIiEEZZNS1_9scan_implILNS1_25lookback_scan_determinismE0ELb0ELb0ES3_N6thrust23THRUST_200600_302600_NS6detail15normal_iteratorINS9_10device_ptrIiEEEESE_i11max_functorIiEiEEDaPvRmT3_T4_T5_mT6_P12ihipStream_tbENKUlT_T0_E_clISt17integral_constantIbLb0EEST_IbLb1EEEEDaSP_SQ_EUlSP_E0_NS1_11comp_targetILNS1_3genE3ELNS1_11target_archE908ELNS1_3gpuE7ELNS1_3repE0EEENS1_30default_config_static_selectorELNS0_4arch9wavefront6targetE1EEEvT1_
	.p2align	8
	.type	_ZN7rocprim17ROCPRIM_400000_NS6detail17trampoline_kernelINS0_14default_configENS1_20scan_config_selectorIiEEZZNS1_9scan_implILNS1_25lookback_scan_determinismE0ELb0ELb0ES3_N6thrust23THRUST_200600_302600_NS6detail15normal_iteratorINS9_10device_ptrIiEEEESE_i11max_functorIiEiEEDaPvRmT3_T4_T5_mT6_P12ihipStream_tbENKUlT_T0_E_clISt17integral_constantIbLb0EEST_IbLb1EEEEDaSP_SQ_EUlSP_E0_NS1_11comp_targetILNS1_3genE3ELNS1_11target_archE908ELNS1_3gpuE7ELNS1_3repE0EEENS1_30default_config_static_selectorELNS0_4arch9wavefront6targetE1EEEvT1_,@function
_ZN7rocprim17ROCPRIM_400000_NS6detail17trampoline_kernelINS0_14default_configENS1_20scan_config_selectorIiEEZZNS1_9scan_implILNS1_25lookback_scan_determinismE0ELb0ELb0ES3_N6thrust23THRUST_200600_302600_NS6detail15normal_iteratorINS9_10device_ptrIiEEEESE_i11max_functorIiEiEEDaPvRmT3_T4_T5_mT6_P12ihipStream_tbENKUlT_T0_E_clISt17integral_constantIbLb0EEST_IbLb1EEEEDaSP_SQ_EUlSP_E0_NS1_11comp_targetILNS1_3genE3ELNS1_11target_archE908ELNS1_3gpuE7ELNS1_3repE0EEENS1_30default_config_static_selectorELNS0_4arch9wavefront6targetE1EEEvT1_: ; @_ZN7rocprim17ROCPRIM_400000_NS6detail17trampoline_kernelINS0_14default_configENS1_20scan_config_selectorIiEEZZNS1_9scan_implILNS1_25lookback_scan_determinismE0ELb0ELb0ES3_N6thrust23THRUST_200600_302600_NS6detail15normal_iteratorINS9_10device_ptrIiEEEESE_i11max_functorIiEiEEDaPvRmT3_T4_T5_mT6_P12ihipStream_tbENKUlT_T0_E_clISt17integral_constantIbLb0EEST_IbLb1EEEEDaSP_SQ_EUlSP_E0_NS1_11comp_targetILNS1_3genE3ELNS1_11target_archE908ELNS1_3gpuE7ELNS1_3repE0EEENS1_30default_config_static_selectorELNS0_4arch9wavefront6targetE1EEEvT1_
; %bb.0:
	.section	.rodata,"a",@progbits
	.p2align	6, 0x0
	.amdhsa_kernel _ZN7rocprim17ROCPRIM_400000_NS6detail17trampoline_kernelINS0_14default_configENS1_20scan_config_selectorIiEEZZNS1_9scan_implILNS1_25lookback_scan_determinismE0ELb0ELb0ES3_N6thrust23THRUST_200600_302600_NS6detail15normal_iteratorINS9_10device_ptrIiEEEESE_i11max_functorIiEiEEDaPvRmT3_T4_T5_mT6_P12ihipStream_tbENKUlT_T0_E_clISt17integral_constantIbLb0EEST_IbLb1EEEEDaSP_SQ_EUlSP_E0_NS1_11comp_targetILNS1_3genE3ELNS1_11target_archE908ELNS1_3gpuE7ELNS1_3repE0EEENS1_30default_config_static_selectorELNS0_4arch9wavefront6targetE1EEEvT1_
		.amdhsa_group_segment_fixed_size 0
		.amdhsa_private_segment_fixed_size 0
		.amdhsa_kernarg_size 32
		.amdhsa_user_sgpr_count 6
		.amdhsa_user_sgpr_private_segment_buffer 1
		.amdhsa_user_sgpr_dispatch_ptr 0
		.amdhsa_user_sgpr_queue_ptr 0
		.amdhsa_user_sgpr_kernarg_segment_ptr 1
		.amdhsa_user_sgpr_dispatch_id 0
		.amdhsa_user_sgpr_flat_scratch_init 0
		.amdhsa_user_sgpr_kernarg_preload_length 0
		.amdhsa_user_sgpr_kernarg_preload_offset 0
		.amdhsa_user_sgpr_private_segment_size 0
		.amdhsa_uses_dynamic_stack 0
		.amdhsa_system_sgpr_private_segment_wavefront_offset 0
		.amdhsa_system_sgpr_workgroup_id_x 1
		.amdhsa_system_sgpr_workgroup_id_y 0
		.amdhsa_system_sgpr_workgroup_id_z 0
		.amdhsa_system_sgpr_workgroup_info 0
		.amdhsa_system_vgpr_workitem_id 0
		.amdhsa_next_free_vgpr 1
		.amdhsa_next_free_sgpr 0
		.amdhsa_accum_offset 4
		.amdhsa_reserve_vcc 0
		.amdhsa_reserve_flat_scratch 0
		.amdhsa_float_round_mode_32 0
		.amdhsa_float_round_mode_16_64 0
		.amdhsa_float_denorm_mode_32 3
		.amdhsa_float_denorm_mode_16_64 3
		.amdhsa_dx10_clamp 1
		.amdhsa_ieee_mode 1
		.amdhsa_fp16_overflow 0
		.amdhsa_tg_split 0
		.amdhsa_exception_fp_ieee_invalid_op 0
		.amdhsa_exception_fp_denorm_src 0
		.amdhsa_exception_fp_ieee_div_zero 0
		.amdhsa_exception_fp_ieee_overflow 0
		.amdhsa_exception_fp_ieee_underflow 0
		.amdhsa_exception_fp_ieee_inexact 0
		.amdhsa_exception_int_div_zero 0
	.end_amdhsa_kernel
	.section	.text._ZN7rocprim17ROCPRIM_400000_NS6detail17trampoline_kernelINS0_14default_configENS1_20scan_config_selectorIiEEZZNS1_9scan_implILNS1_25lookback_scan_determinismE0ELb0ELb0ES3_N6thrust23THRUST_200600_302600_NS6detail15normal_iteratorINS9_10device_ptrIiEEEESE_i11max_functorIiEiEEDaPvRmT3_T4_T5_mT6_P12ihipStream_tbENKUlT_T0_E_clISt17integral_constantIbLb0EEST_IbLb1EEEEDaSP_SQ_EUlSP_E0_NS1_11comp_targetILNS1_3genE3ELNS1_11target_archE908ELNS1_3gpuE7ELNS1_3repE0EEENS1_30default_config_static_selectorELNS0_4arch9wavefront6targetE1EEEvT1_,"axG",@progbits,_ZN7rocprim17ROCPRIM_400000_NS6detail17trampoline_kernelINS0_14default_configENS1_20scan_config_selectorIiEEZZNS1_9scan_implILNS1_25lookback_scan_determinismE0ELb0ELb0ES3_N6thrust23THRUST_200600_302600_NS6detail15normal_iteratorINS9_10device_ptrIiEEEESE_i11max_functorIiEiEEDaPvRmT3_T4_T5_mT6_P12ihipStream_tbENKUlT_T0_E_clISt17integral_constantIbLb0EEST_IbLb1EEEEDaSP_SQ_EUlSP_E0_NS1_11comp_targetILNS1_3genE3ELNS1_11target_archE908ELNS1_3gpuE7ELNS1_3repE0EEENS1_30default_config_static_selectorELNS0_4arch9wavefront6targetE1EEEvT1_,comdat
.Lfunc_end2768:
	.size	_ZN7rocprim17ROCPRIM_400000_NS6detail17trampoline_kernelINS0_14default_configENS1_20scan_config_selectorIiEEZZNS1_9scan_implILNS1_25lookback_scan_determinismE0ELb0ELb0ES3_N6thrust23THRUST_200600_302600_NS6detail15normal_iteratorINS9_10device_ptrIiEEEESE_i11max_functorIiEiEEDaPvRmT3_T4_T5_mT6_P12ihipStream_tbENKUlT_T0_E_clISt17integral_constantIbLb0EEST_IbLb1EEEEDaSP_SQ_EUlSP_E0_NS1_11comp_targetILNS1_3genE3ELNS1_11target_archE908ELNS1_3gpuE7ELNS1_3repE0EEENS1_30default_config_static_selectorELNS0_4arch9wavefront6targetE1EEEvT1_, .Lfunc_end2768-_ZN7rocprim17ROCPRIM_400000_NS6detail17trampoline_kernelINS0_14default_configENS1_20scan_config_selectorIiEEZZNS1_9scan_implILNS1_25lookback_scan_determinismE0ELb0ELb0ES3_N6thrust23THRUST_200600_302600_NS6detail15normal_iteratorINS9_10device_ptrIiEEEESE_i11max_functorIiEiEEDaPvRmT3_T4_T5_mT6_P12ihipStream_tbENKUlT_T0_E_clISt17integral_constantIbLb0EEST_IbLb1EEEEDaSP_SQ_EUlSP_E0_NS1_11comp_targetILNS1_3genE3ELNS1_11target_archE908ELNS1_3gpuE7ELNS1_3repE0EEENS1_30default_config_static_selectorELNS0_4arch9wavefront6targetE1EEEvT1_
                                        ; -- End function
	.section	.AMDGPU.csdata,"",@progbits
; Kernel info:
; codeLenInByte = 0
; NumSgprs: 4
; NumVgprs: 0
; NumAgprs: 0
; TotalNumVgprs: 0
; ScratchSize: 0
; MemoryBound: 0
; FloatMode: 240
; IeeeMode: 1
; LDSByteSize: 0 bytes/workgroup (compile time only)
; SGPRBlocks: 0
; VGPRBlocks: 0
; NumSGPRsForWavesPerEU: 4
; NumVGPRsForWavesPerEU: 1
; AccumOffset: 4
; Occupancy: 8
; WaveLimiterHint : 0
; COMPUTE_PGM_RSRC2:SCRATCH_EN: 0
; COMPUTE_PGM_RSRC2:USER_SGPR: 6
; COMPUTE_PGM_RSRC2:TRAP_HANDLER: 0
; COMPUTE_PGM_RSRC2:TGID_X_EN: 1
; COMPUTE_PGM_RSRC2:TGID_Y_EN: 0
; COMPUTE_PGM_RSRC2:TGID_Z_EN: 0
; COMPUTE_PGM_RSRC2:TIDIG_COMP_CNT: 0
; COMPUTE_PGM_RSRC3_GFX90A:ACCUM_OFFSET: 0
; COMPUTE_PGM_RSRC3_GFX90A:TG_SPLIT: 0
	.section	.text._ZN7rocprim17ROCPRIM_400000_NS6detail17trampoline_kernelINS0_14default_configENS1_20scan_config_selectorIiEEZZNS1_9scan_implILNS1_25lookback_scan_determinismE0ELb0ELb0ES3_N6thrust23THRUST_200600_302600_NS6detail15normal_iteratorINS9_10device_ptrIiEEEESE_i11max_functorIiEiEEDaPvRmT3_T4_T5_mT6_P12ihipStream_tbENKUlT_T0_E_clISt17integral_constantIbLb0EEST_IbLb1EEEEDaSP_SQ_EUlSP_E0_NS1_11comp_targetILNS1_3genE2ELNS1_11target_archE906ELNS1_3gpuE6ELNS1_3repE0EEENS1_30default_config_static_selectorELNS0_4arch9wavefront6targetE1EEEvT1_,"axG",@progbits,_ZN7rocprim17ROCPRIM_400000_NS6detail17trampoline_kernelINS0_14default_configENS1_20scan_config_selectorIiEEZZNS1_9scan_implILNS1_25lookback_scan_determinismE0ELb0ELb0ES3_N6thrust23THRUST_200600_302600_NS6detail15normal_iteratorINS9_10device_ptrIiEEEESE_i11max_functorIiEiEEDaPvRmT3_T4_T5_mT6_P12ihipStream_tbENKUlT_T0_E_clISt17integral_constantIbLb0EEST_IbLb1EEEEDaSP_SQ_EUlSP_E0_NS1_11comp_targetILNS1_3genE2ELNS1_11target_archE906ELNS1_3gpuE6ELNS1_3repE0EEENS1_30default_config_static_selectorELNS0_4arch9wavefront6targetE1EEEvT1_,comdat
	.protected	_ZN7rocprim17ROCPRIM_400000_NS6detail17trampoline_kernelINS0_14default_configENS1_20scan_config_selectorIiEEZZNS1_9scan_implILNS1_25lookback_scan_determinismE0ELb0ELb0ES3_N6thrust23THRUST_200600_302600_NS6detail15normal_iteratorINS9_10device_ptrIiEEEESE_i11max_functorIiEiEEDaPvRmT3_T4_T5_mT6_P12ihipStream_tbENKUlT_T0_E_clISt17integral_constantIbLb0EEST_IbLb1EEEEDaSP_SQ_EUlSP_E0_NS1_11comp_targetILNS1_3genE2ELNS1_11target_archE906ELNS1_3gpuE6ELNS1_3repE0EEENS1_30default_config_static_selectorELNS0_4arch9wavefront6targetE1EEEvT1_ ; -- Begin function _ZN7rocprim17ROCPRIM_400000_NS6detail17trampoline_kernelINS0_14default_configENS1_20scan_config_selectorIiEEZZNS1_9scan_implILNS1_25lookback_scan_determinismE0ELb0ELb0ES3_N6thrust23THRUST_200600_302600_NS6detail15normal_iteratorINS9_10device_ptrIiEEEESE_i11max_functorIiEiEEDaPvRmT3_T4_T5_mT6_P12ihipStream_tbENKUlT_T0_E_clISt17integral_constantIbLb0EEST_IbLb1EEEEDaSP_SQ_EUlSP_E0_NS1_11comp_targetILNS1_3genE2ELNS1_11target_archE906ELNS1_3gpuE6ELNS1_3repE0EEENS1_30default_config_static_selectorELNS0_4arch9wavefront6targetE1EEEvT1_
	.globl	_ZN7rocprim17ROCPRIM_400000_NS6detail17trampoline_kernelINS0_14default_configENS1_20scan_config_selectorIiEEZZNS1_9scan_implILNS1_25lookback_scan_determinismE0ELb0ELb0ES3_N6thrust23THRUST_200600_302600_NS6detail15normal_iteratorINS9_10device_ptrIiEEEESE_i11max_functorIiEiEEDaPvRmT3_T4_T5_mT6_P12ihipStream_tbENKUlT_T0_E_clISt17integral_constantIbLb0EEST_IbLb1EEEEDaSP_SQ_EUlSP_E0_NS1_11comp_targetILNS1_3genE2ELNS1_11target_archE906ELNS1_3gpuE6ELNS1_3repE0EEENS1_30default_config_static_selectorELNS0_4arch9wavefront6targetE1EEEvT1_
	.p2align	8
	.type	_ZN7rocprim17ROCPRIM_400000_NS6detail17trampoline_kernelINS0_14default_configENS1_20scan_config_selectorIiEEZZNS1_9scan_implILNS1_25lookback_scan_determinismE0ELb0ELb0ES3_N6thrust23THRUST_200600_302600_NS6detail15normal_iteratorINS9_10device_ptrIiEEEESE_i11max_functorIiEiEEDaPvRmT3_T4_T5_mT6_P12ihipStream_tbENKUlT_T0_E_clISt17integral_constantIbLb0EEST_IbLb1EEEEDaSP_SQ_EUlSP_E0_NS1_11comp_targetILNS1_3genE2ELNS1_11target_archE906ELNS1_3gpuE6ELNS1_3repE0EEENS1_30default_config_static_selectorELNS0_4arch9wavefront6targetE1EEEvT1_,@function
_ZN7rocprim17ROCPRIM_400000_NS6detail17trampoline_kernelINS0_14default_configENS1_20scan_config_selectorIiEEZZNS1_9scan_implILNS1_25lookback_scan_determinismE0ELb0ELb0ES3_N6thrust23THRUST_200600_302600_NS6detail15normal_iteratorINS9_10device_ptrIiEEEESE_i11max_functorIiEiEEDaPvRmT3_T4_T5_mT6_P12ihipStream_tbENKUlT_T0_E_clISt17integral_constantIbLb0EEST_IbLb1EEEEDaSP_SQ_EUlSP_E0_NS1_11comp_targetILNS1_3genE2ELNS1_11target_archE906ELNS1_3gpuE6ELNS1_3repE0EEENS1_30default_config_static_selectorELNS0_4arch9wavefront6targetE1EEEvT1_: ; @_ZN7rocprim17ROCPRIM_400000_NS6detail17trampoline_kernelINS0_14default_configENS1_20scan_config_selectorIiEEZZNS1_9scan_implILNS1_25lookback_scan_determinismE0ELb0ELb0ES3_N6thrust23THRUST_200600_302600_NS6detail15normal_iteratorINS9_10device_ptrIiEEEESE_i11max_functorIiEiEEDaPvRmT3_T4_T5_mT6_P12ihipStream_tbENKUlT_T0_E_clISt17integral_constantIbLb0EEST_IbLb1EEEEDaSP_SQ_EUlSP_E0_NS1_11comp_targetILNS1_3genE2ELNS1_11target_archE906ELNS1_3gpuE6ELNS1_3repE0EEENS1_30default_config_static_selectorELNS0_4arch9wavefront6targetE1EEEvT1_
; %bb.0:
	.section	.rodata,"a",@progbits
	.p2align	6, 0x0
	.amdhsa_kernel _ZN7rocprim17ROCPRIM_400000_NS6detail17trampoline_kernelINS0_14default_configENS1_20scan_config_selectorIiEEZZNS1_9scan_implILNS1_25lookback_scan_determinismE0ELb0ELb0ES3_N6thrust23THRUST_200600_302600_NS6detail15normal_iteratorINS9_10device_ptrIiEEEESE_i11max_functorIiEiEEDaPvRmT3_T4_T5_mT6_P12ihipStream_tbENKUlT_T0_E_clISt17integral_constantIbLb0EEST_IbLb1EEEEDaSP_SQ_EUlSP_E0_NS1_11comp_targetILNS1_3genE2ELNS1_11target_archE906ELNS1_3gpuE6ELNS1_3repE0EEENS1_30default_config_static_selectorELNS0_4arch9wavefront6targetE1EEEvT1_
		.amdhsa_group_segment_fixed_size 0
		.amdhsa_private_segment_fixed_size 0
		.amdhsa_kernarg_size 32
		.amdhsa_user_sgpr_count 6
		.amdhsa_user_sgpr_private_segment_buffer 1
		.amdhsa_user_sgpr_dispatch_ptr 0
		.amdhsa_user_sgpr_queue_ptr 0
		.amdhsa_user_sgpr_kernarg_segment_ptr 1
		.amdhsa_user_sgpr_dispatch_id 0
		.amdhsa_user_sgpr_flat_scratch_init 0
		.amdhsa_user_sgpr_kernarg_preload_length 0
		.amdhsa_user_sgpr_kernarg_preload_offset 0
		.amdhsa_user_sgpr_private_segment_size 0
		.amdhsa_uses_dynamic_stack 0
		.amdhsa_system_sgpr_private_segment_wavefront_offset 0
		.amdhsa_system_sgpr_workgroup_id_x 1
		.amdhsa_system_sgpr_workgroup_id_y 0
		.amdhsa_system_sgpr_workgroup_id_z 0
		.amdhsa_system_sgpr_workgroup_info 0
		.amdhsa_system_vgpr_workitem_id 0
		.amdhsa_next_free_vgpr 1
		.amdhsa_next_free_sgpr 0
		.amdhsa_accum_offset 4
		.amdhsa_reserve_vcc 0
		.amdhsa_reserve_flat_scratch 0
		.amdhsa_float_round_mode_32 0
		.amdhsa_float_round_mode_16_64 0
		.amdhsa_float_denorm_mode_32 3
		.amdhsa_float_denorm_mode_16_64 3
		.amdhsa_dx10_clamp 1
		.amdhsa_ieee_mode 1
		.amdhsa_fp16_overflow 0
		.amdhsa_tg_split 0
		.amdhsa_exception_fp_ieee_invalid_op 0
		.amdhsa_exception_fp_denorm_src 0
		.amdhsa_exception_fp_ieee_div_zero 0
		.amdhsa_exception_fp_ieee_overflow 0
		.amdhsa_exception_fp_ieee_underflow 0
		.amdhsa_exception_fp_ieee_inexact 0
		.amdhsa_exception_int_div_zero 0
	.end_amdhsa_kernel
	.section	.text._ZN7rocprim17ROCPRIM_400000_NS6detail17trampoline_kernelINS0_14default_configENS1_20scan_config_selectorIiEEZZNS1_9scan_implILNS1_25lookback_scan_determinismE0ELb0ELb0ES3_N6thrust23THRUST_200600_302600_NS6detail15normal_iteratorINS9_10device_ptrIiEEEESE_i11max_functorIiEiEEDaPvRmT3_T4_T5_mT6_P12ihipStream_tbENKUlT_T0_E_clISt17integral_constantIbLb0EEST_IbLb1EEEEDaSP_SQ_EUlSP_E0_NS1_11comp_targetILNS1_3genE2ELNS1_11target_archE906ELNS1_3gpuE6ELNS1_3repE0EEENS1_30default_config_static_selectorELNS0_4arch9wavefront6targetE1EEEvT1_,"axG",@progbits,_ZN7rocprim17ROCPRIM_400000_NS6detail17trampoline_kernelINS0_14default_configENS1_20scan_config_selectorIiEEZZNS1_9scan_implILNS1_25lookback_scan_determinismE0ELb0ELb0ES3_N6thrust23THRUST_200600_302600_NS6detail15normal_iteratorINS9_10device_ptrIiEEEESE_i11max_functorIiEiEEDaPvRmT3_T4_T5_mT6_P12ihipStream_tbENKUlT_T0_E_clISt17integral_constantIbLb0EEST_IbLb1EEEEDaSP_SQ_EUlSP_E0_NS1_11comp_targetILNS1_3genE2ELNS1_11target_archE906ELNS1_3gpuE6ELNS1_3repE0EEENS1_30default_config_static_selectorELNS0_4arch9wavefront6targetE1EEEvT1_,comdat
.Lfunc_end2769:
	.size	_ZN7rocprim17ROCPRIM_400000_NS6detail17trampoline_kernelINS0_14default_configENS1_20scan_config_selectorIiEEZZNS1_9scan_implILNS1_25lookback_scan_determinismE0ELb0ELb0ES3_N6thrust23THRUST_200600_302600_NS6detail15normal_iteratorINS9_10device_ptrIiEEEESE_i11max_functorIiEiEEDaPvRmT3_T4_T5_mT6_P12ihipStream_tbENKUlT_T0_E_clISt17integral_constantIbLb0EEST_IbLb1EEEEDaSP_SQ_EUlSP_E0_NS1_11comp_targetILNS1_3genE2ELNS1_11target_archE906ELNS1_3gpuE6ELNS1_3repE0EEENS1_30default_config_static_selectorELNS0_4arch9wavefront6targetE1EEEvT1_, .Lfunc_end2769-_ZN7rocprim17ROCPRIM_400000_NS6detail17trampoline_kernelINS0_14default_configENS1_20scan_config_selectorIiEEZZNS1_9scan_implILNS1_25lookback_scan_determinismE0ELb0ELb0ES3_N6thrust23THRUST_200600_302600_NS6detail15normal_iteratorINS9_10device_ptrIiEEEESE_i11max_functorIiEiEEDaPvRmT3_T4_T5_mT6_P12ihipStream_tbENKUlT_T0_E_clISt17integral_constantIbLb0EEST_IbLb1EEEEDaSP_SQ_EUlSP_E0_NS1_11comp_targetILNS1_3genE2ELNS1_11target_archE906ELNS1_3gpuE6ELNS1_3repE0EEENS1_30default_config_static_selectorELNS0_4arch9wavefront6targetE1EEEvT1_
                                        ; -- End function
	.section	.AMDGPU.csdata,"",@progbits
; Kernel info:
; codeLenInByte = 0
; NumSgprs: 4
; NumVgprs: 0
; NumAgprs: 0
; TotalNumVgprs: 0
; ScratchSize: 0
; MemoryBound: 0
; FloatMode: 240
; IeeeMode: 1
; LDSByteSize: 0 bytes/workgroup (compile time only)
; SGPRBlocks: 0
; VGPRBlocks: 0
; NumSGPRsForWavesPerEU: 4
; NumVGPRsForWavesPerEU: 1
; AccumOffset: 4
; Occupancy: 8
; WaveLimiterHint : 0
; COMPUTE_PGM_RSRC2:SCRATCH_EN: 0
; COMPUTE_PGM_RSRC2:USER_SGPR: 6
; COMPUTE_PGM_RSRC2:TRAP_HANDLER: 0
; COMPUTE_PGM_RSRC2:TGID_X_EN: 1
; COMPUTE_PGM_RSRC2:TGID_Y_EN: 0
; COMPUTE_PGM_RSRC2:TGID_Z_EN: 0
; COMPUTE_PGM_RSRC2:TIDIG_COMP_CNT: 0
; COMPUTE_PGM_RSRC3_GFX90A:ACCUM_OFFSET: 0
; COMPUTE_PGM_RSRC3_GFX90A:TG_SPLIT: 0
	.section	.text._ZN7rocprim17ROCPRIM_400000_NS6detail17trampoline_kernelINS0_14default_configENS1_20scan_config_selectorIiEEZZNS1_9scan_implILNS1_25lookback_scan_determinismE0ELb0ELb0ES3_N6thrust23THRUST_200600_302600_NS6detail15normal_iteratorINS9_10device_ptrIiEEEESE_i11max_functorIiEiEEDaPvRmT3_T4_T5_mT6_P12ihipStream_tbENKUlT_T0_E_clISt17integral_constantIbLb0EEST_IbLb1EEEEDaSP_SQ_EUlSP_E0_NS1_11comp_targetILNS1_3genE10ELNS1_11target_archE1201ELNS1_3gpuE5ELNS1_3repE0EEENS1_30default_config_static_selectorELNS0_4arch9wavefront6targetE1EEEvT1_,"axG",@progbits,_ZN7rocprim17ROCPRIM_400000_NS6detail17trampoline_kernelINS0_14default_configENS1_20scan_config_selectorIiEEZZNS1_9scan_implILNS1_25lookback_scan_determinismE0ELb0ELb0ES3_N6thrust23THRUST_200600_302600_NS6detail15normal_iteratorINS9_10device_ptrIiEEEESE_i11max_functorIiEiEEDaPvRmT3_T4_T5_mT6_P12ihipStream_tbENKUlT_T0_E_clISt17integral_constantIbLb0EEST_IbLb1EEEEDaSP_SQ_EUlSP_E0_NS1_11comp_targetILNS1_3genE10ELNS1_11target_archE1201ELNS1_3gpuE5ELNS1_3repE0EEENS1_30default_config_static_selectorELNS0_4arch9wavefront6targetE1EEEvT1_,comdat
	.protected	_ZN7rocprim17ROCPRIM_400000_NS6detail17trampoline_kernelINS0_14default_configENS1_20scan_config_selectorIiEEZZNS1_9scan_implILNS1_25lookback_scan_determinismE0ELb0ELb0ES3_N6thrust23THRUST_200600_302600_NS6detail15normal_iteratorINS9_10device_ptrIiEEEESE_i11max_functorIiEiEEDaPvRmT3_T4_T5_mT6_P12ihipStream_tbENKUlT_T0_E_clISt17integral_constantIbLb0EEST_IbLb1EEEEDaSP_SQ_EUlSP_E0_NS1_11comp_targetILNS1_3genE10ELNS1_11target_archE1201ELNS1_3gpuE5ELNS1_3repE0EEENS1_30default_config_static_selectorELNS0_4arch9wavefront6targetE1EEEvT1_ ; -- Begin function _ZN7rocprim17ROCPRIM_400000_NS6detail17trampoline_kernelINS0_14default_configENS1_20scan_config_selectorIiEEZZNS1_9scan_implILNS1_25lookback_scan_determinismE0ELb0ELb0ES3_N6thrust23THRUST_200600_302600_NS6detail15normal_iteratorINS9_10device_ptrIiEEEESE_i11max_functorIiEiEEDaPvRmT3_T4_T5_mT6_P12ihipStream_tbENKUlT_T0_E_clISt17integral_constantIbLb0EEST_IbLb1EEEEDaSP_SQ_EUlSP_E0_NS1_11comp_targetILNS1_3genE10ELNS1_11target_archE1201ELNS1_3gpuE5ELNS1_3repE0EEENS1_30default_config_static_selectorELNS0_4arch9wavefront6targetE1EEEvT1_
	.globl	_ZN7rocprim17ROCPRIM_400000_NS6detail17trampoline_kernelINS0_14default_configENS1_20scan_config_selectorIiEEZZNS1_9scan_implILNS1_25lookback_scan_determinismE0ELb0ELb0ES3_N6thrust23THRUST_200600_302600_NS6detail15normal_iteratorINS9_10device_ptrIiEEEESE_i11max_functorIiEiEEDaPvRmT3_T4_T5_mT6_P12ihipStream_tbENKUlT_T0_E_clISt17integral_constantIbLb0EEST_IbLb1EEEEDaSP_SQ_EUlSP_E0_NS1_11comp_targetILNS1_3genE10ELNS1_11target_archE1201ELNS1_3gpuE5ELNS1_3repE0EEENS1_30default_config_static_selectorELNS0_4arch9wavefront6targetE1EEEvT1_
	.p2align	8
	.type	_ZN7rocprim17ROCPRIM_400000_NS6detail17trampoline_kernelINS0_14default_configENS1_20scan_config_selectorIiEEZZNS1_9scan_implILNS1_25lookback_scan_determinismE0ELb0ELb0ES3_N6thrust23THRUST_200600_302600_NS6detail15normal_iteratorINS9_10device_ptrIiEEEESE_i11max_functorIiEiEEDaPvRmT3_T4_T5_mT6_P12ihipStream_tbENKUlT_T0_E_clISt17integral_constantIbLb0EEST_IbLb1EEEEDaSP_SQ_EUlSP_E0_NS1_11comp_targetILNS1_3genE10ELNS1_11target_archE1201ELNS1_3gpuE5ELNS1_3repE0EEENS1_30default_config_static_selectorELNS0_4arch9wavefront6targetE1EEEvT1_,@function
_ZN7rocprim17ROCPRIM_400000_NS6detail17trampoline_kernelINS0_14default_configENS1_20scan_config_selectorIiEEZZNS1_9scan_implILNS1_25lookback_scan_determinismE0ELb0ELb0ES3_N6thrust23THRUST_200600_302600_NS6detail15normal_iteratorINS9_10device_ptrIiEEEESE_i11max_functorIiEiEEDaPvRmT3_T4_T5_mT6_P12ihipStream_tbENKUlT_T0_E_clISt17integral_constantIbLb0EEST_IbLb1EEEEDaSP_SQ_EUlSP_E0_NS1_11comp_targetILNS1_3genE10ELNS1_11target_archE1201ELNS1_3gpuE5ELNS1_3repE0EEENS1_30default_config_static_selectorELNS0_4arch9wavefront6targetE1EEEvT1_: ; @_ZN7rocprim17ROCPRIM_400000_NS6detail17trampoline_kernelINS0_14default_configENS1_20scan_config_selectorIiEEZZNS1_9scan_implILNS1_25lookback_scan_determinismE0ELb0ELb0ES3_N6thrust23THRUST_200600_302600_NS6detail15normal_iteratorINS9_10device_ptrIiEEEESE_i11max_functorIiEiEEDaPvRmT3_T4_T5_mT6_P12ihipStream_tbENKUlT_T0_E_clISt17integral_constantIbLb0EEST_IbLb1EEEEDaSP_SQ_EUlSP_E0_NS1_11comp_targetILNS1_3genE10ELNS1_11target_archE1201ELNS1_3gpuE5ELNS1_3repE0EEENS1_30default_config_static_selectorELNS0_4arch9wavefront6targetE1EEEvT1_
; %bb.0:
	.section	.rodata,"a",@progbits
	.p2align	6, 0x0
	.amdhsa_kernel _ZN7rocprim17ROCPRIM_400000_NS6detail17trampoline_kernelINS0_14default_configENS1_20scan_config_selectorIiEEZZNS1_9scan_implILNS1_25lookback_scan_determinismE0ELb0ELb0ES3_N6thrust23THRUST_200600_302600_NS6detail15normal_iteratorINS9_10device_ptrIiEEEESE_i11max_functorIiEiEEDaPvRmT3_T4_T5_mT6_P12ihipStream_tbENKUlT_T0_E_clISt17integral_constantIbLb0EEST_IbLb1EEEEDaSP_SQ_EUlSP_E0_NS1_11comp_targetILNS1_3genE10ELNS1_11target_archE1201ELNS1_3gpuE5ELNS1_3repE0EEENS1_30default_config_static_selectorELNS0_4arch9wavefront6targetE1EEEvT1_
		.amdhsa_group_segment_fixed_size 0
		.amdhsa_private_segment_fixed_size 0
		.amdhsa_kernarg_size 32
		.amdhsa_user_sgpr_count 6
		.amdhsa_user_sgpr_private_segment_buffer 1
		.amdhsa_user_sgpr_dispatch_ptr 0
		.amdhsa_user_sgpr_queue_ptr 0
		.amdhsa_user_sgpr_kernarg_segment_ptr 1
		.amdhsa_user_sgpr_dispatch_id 0
		.amdhsa_user_sgpr_flat_scratch_init 0
		.amdhsa_user_sgpr_kernarg_preload_length 0
		.amdhsa_user_sgpr_kernarg_preload_offset 0
		.amdhsa_user_sgpr_private_segment_size 0
		.amdhsa_uses_dynamic_stack 0
		.amdhsa_system_sgpr_private_segment_wavefront_offset 0
		.amdhsa_system_sgpr_workgroup_id_x 1
		.amdhsa_system_sgpr_workgroup_id_y 0
		.amdhsa_system_sgpr_workgroup_id_z 0
		.amdhsa_system_sgpr_workgroup_info 0
		.amdhsa_system_vgpr_workitem_id 0
		.amdhsa_next_free_vgpr 1
		.amdhsa_next_free_sgpr 0
		.amdhsa_accum_offset 4
		.amdhsa_reserve_vcc 0
		.amdhsa_reserve_flat_scratch 0
		.amdhsa_float_round_mode_32 0
		.amdhsa_float_round_mode_16_64 0
		.amdhsa_float_denorm_mode_32 3
		.amdhsa_float_denorm_mode_16_64 3
		.amdhsa_dx10_clamp 1
		.amdhsa_ieee_mode 1
		.amdhsa_fp16_overflow 0
		.amdhsa_tg_split 0
		.amdhsa_exception_fp_ieee_invalid_op 0
		.amdhsa_exception_fp_denorm_src 0
		.amdhsa_exception_fp_ieee_div_zero 0
		.amdhsa_exception_fp_ieee_overflow 0
		.amdhsa_exception_fp_ieee_underflow 0
		.amdhsa_exception_fp_ieee_inexact 0
		.amdhsa_exception_int_div_zero 0
	.end_amdhsa_kernel
	.section	.text._ZN7rocprim17ROCPRIM_400000_NS6detail17trampoline_kernelINS0_14default_configENS1_20scan_config_selectorIiEEZZNS1_9scan_implILNS1_25lookback_scan_determinismE0ELb0ELb0ES3_N6thrust23THRUST_200600_302600_NS6detail15normal_iteratorINS9_10device_ptrIiEEEESE_i11max_functorIiEiEEDaPvRmT3_T4_T5_mT6_P12ihipStream_tbENKUlT_T0_E_clISt17integral_constantIbLb0EEST_IbLb1EEEEDaSP_SQ_EUlSP_E0_NS1_11comp_targetILNS1_3genE10ELNS1_11target_archE1201ELNS1_3gpuE5ELNS1_3repE0EEENS1_30default_config_static_selectorELNS0_4arch9wavefront6targetE1EEEvT1_,"axG",@progbits,_ZN7rocprim17ROCPRIM_400000_NS6detail17trampoline_kernelINS0_14default_configENS1_20scan_config_selectorIiEEZZNS1_9scan_implILNS1_25lookback_scan_determinismE0ELb0ELb0ES3_N6thrust23THRUST_200600_302600_NS6detail15normal_iteratorINS9_10device_ptrIiEEEESE_i11max_functorIiEiEEDaPvRmT3_T4_T5_mT6_P12ihipStream_tbENKUlT_T0_E_clISt17integral_constantIbLb0EEST_IbLb1EEEEDaSP_SQ_EUlSP_E0_NS1_11comp_targetILNS1_3genE10ELNS1_11target_archE1201ELNS1_3gpuE5ELNS1_3repE0EEENS1_30default_config_static_selectorELNS0_4arch9wavefront6targetE1EEEvT1_,comdat
.Lfunc_end2770:
	.size	_ZN7rocprim17ROCPRIM_400000_NS6detail17trampoline_kernelINS0_14default_configENS1_20scan_config_selectorIiEEZZNS1_9scan_implILNS1_25lookback_scan_determinismE0ELb0ELb0ES3_N6thrust23THRUST_200600_302600_NS6detail15normal_iteratorINS9_10device_ptrIiEEEESE_i11max_functorIiEiEEDaPvRmT3_T4_T5_mT6_P12ihipStream_tbENKUlT_T0_E_clISt17integral_constantIbLb0EEST_IbLb1EEEEDaSP_SQ_EUlSP_E0_NS1_11comp_targetILNS1_3genE10ELNS1_11target_archE1201ELNS1_3gpuE5ELNS1_3repE0EEENS1_30default_config_static_selectorELNS0_4arch9wavefront6targetE1EEEvT1_, .Lfunc_end2770-_ZN7rocprim17ROCPRIM_400000_NS6detail17trampoline_kernelINS0_14default_configENS1_20scan_config_selectorIiEEZZNS1_9scan_implILNS1_25lookback_scan_determinismE0ELb0ELb0ES3_N6thrust23THRUST_200600_302600_NS6detail15normal_iteratorINS9_10device_ptrIiEEEESE_i11max_functorIiEiEEDaPvRmT3_T4_T5_mT6_P12ihipStream_tbENKUlT_T0_E_clISt17integral_constantIbLb0EEST_IbLb1EEEEDaSP_SQ_EUlSP_E0_NS1_11comp_targetILNS1_3genE10ELNS1_11target_archE1201ELNS1_3gpuE5ELNS1_3repE0EEENS1_30default_config_static_selectorELNS0_4arch9wavefront6targetE1EEEvT1_
                                        ; -- End function
	.section	.AMDGPU.csdata,"",@progbits
; Kernel info:
; codeLenInByte = 0
; NumSgprs: 4
; NumVgprs: 0
; NumAgprs: 0
; TotalNumVgprs: 0
; ScratchSize: 0
; MemoryBound: 0
; FloatMode: 240
; IeeeMode: 1
; LDSByteSize: 0 bytes/workgroup (compile time only)
; SGPRBlocks: 0
; VGPRBlocks: 0
; NumSGPRsForWavesPerEU: 4
; NumVGPRsForWavesPerEU: 1
; AccumOffset: 4
; Occupancy: 8
; WaveLimiterHint : 0
; COMPUTE_PGM_RSRC2:SCRATCH_EN: 0
; COMPUTE_PGM_RSRC2:USER_SGPR: 6
; COMPUTE_PGM_RSRC2:TRAP_HANDLER: 0
; COMPUTE_PGM_RSRC2:TGID_X_EN: 1
; COMPUTE_PGM_RSRC2:TGID_Y_EN: 0
; COMPUTE_PGM_RSRC2:TGID_Z_EN: 0
; COMPUTE_PGM_RSRC2:TIDIG_COMP_CNT: 0
; COMPUTE_PGM_RSRC3_GFX90A:ACCUM_OFFSET: 0
; COMPUTE_PGM_RSRC3_GFX90A:TG_SPLIT: 0
	.section	.text._ZN7rocprim17ROCPRIM_400000_NS6detail17trampoline_kernelINS0_14default_configENS1_20scan_config_selectorIiEEZZNS1_9scan_implILNS1_25lookback_scan_determinismE0ELb0ELb0ES3_N6thrust23THRUST_200600_302600_NS6detail15normal_iteratorINS9_10device_ptrIiEEEESE_i11max_functorIiEiEEDaPvRmT3_T4_T5_mT6_P12ihipStream_tbENKUlT_T0_E_clISt17integral_constantIbLb0EEST_IbLb1EEEEDaSP_SQ_EUlSP_E0_NS1_11comp_targetILNS1_3genE10ELNS1_11target_archE1200ELNS1_3gpuE4ELNS1_3repE0EEENS1_30default_config_static_selectorELNS0_4arch9wavefront6targetE1EEEvT1_,"axG",@progbits,_ZN7rocprim17ROCPRIM_400000_NS6detail17trampoline_kernelINS0_14default_configENS1_20scan_config_selectorIiEEZZNS1_9scan_implILNS1_25lookback_scan_determinismE0ELb0ELb0ES3_N6thrust23THRUST_200600_302600_NS6detail15normal_iteratorINS9_10device_ptrIiEEEESE_i11max_functorIiEiEEDaPvRmT3_T4_T5_mT6_P12ihipStream_tbENKUlT_T0_E_clISt17integral_constantIbLb0EEST_IbLb1EEEEDaSP_SQ_EUlSP_E0_NS1_11comp_targetILNS1_3genE10ELNS1_11target_archE1200ELNS1_3gpuE4ELNS1_3repE0EEENS1_30default_config_static_selectorELNS0_4arch9wavefront6targetE1EEEvT1_,comdat
	.protected	_ZN7rocprim17ROCPRIM_400000_NS6detail17trampoline_kernelINS0_14default_configENS1_20scan_config_selectorIiEEZZNS1_9scan_implILNS1_25lookback_scan_determinismE0ELb0ELb0ES3_N6thrust23THRUST_200600_302600_NS6detail15normal_iteratorINS9_10device_ptrIiEEEESE_i11max_functorIiEiEEDaPvRmT3_T4_T5_mT6_P12ihipStream_tbENKUlT_T0_E_clISt17integral_constantIbLb0EEST_IbLb1EEEEDaSP_SQ_EUlSP_E0_NS1_11comp_targetILNS1_3genE10ELNS1_11target_archE1200ELNS1_3gpuE4ELNS1_3repE0EEENS1_30default_config_static_selectorELNS0_4arch9wavefront6targetE1EEEvT1_ ; -- Begin function _ZN7rocprim17ROCPRIM_400000_NS6detail17trampoline_kernelINS0_14default_configENS1_20scan_config_selectorIiEEZZNS1_9scan_implILNS1_25lookback_scan_determinismE0ELb0ELb0ES3_N6thrust23THRUST_200600_302600_NS6detail15normal_iteratorINS9_10device_ptrIiEEEESE_i11max_functorIiEiEEDaPvRmT3_T4_T5_mT6_P12ihipStream_tbENKUlT_T0_E_clISt17integral_constantIbLb0EEST_IbLb1EEEEDaSP_SQ_EUlSP_E0_NS1_11comp_targetILNS1_3genE10ELNS1_11target_archE1200ELNS1_3gpuE4ELNS1_3repE0EEENS1_30default_config_static_selectorELNS0_4arch9wavefront6targetE1EEEvT1_
	.globl	_ZN7rocprim17ROCPRIM_400000_NS6detail17trampoline_kernelINS0_14default_configENS1_20scan_config_selectorIiEEZZNS1_9scan_implILNS1_25lookback_scan_determinismE0ELb0ELb0ES3_N6thrust23THRUST_200600_302600_NS6detail15normal_iteratorINS9_10device_ptrIiEEEESE_i11max_functorIiEiEEDaPvRmT3_T4_T5_mT6_P12ihipStream_tbENKUlT_T0_E_clISt17integral_constantIbLb0EEST_IbLb1EEEEDaSP_SQ_EUlSP_E0_NS1_11comp_targetILNS1_3genE10ELNS1_11target_archE1200ELNS1_3gpuE4ELNS1_3repE0EEENS1_30default_config_static_selectorELNS0_4arch9wavefront6targetE1EEEvT1_
	.p2align	8
	.type	_ZN7rocprim17ROCPRIM_400000_NS6detail17trampoline_kernelINS0_14default_configENS1_20scan_config_selectorIiEEZZNS1_9scan_implILNS1_25lookback_scan_determinismE0ELb0ELb0ES3_N6thrust23THRUST_200600_302600_NS6detail15normal_iteratorINS9_10device_ptrIiEEEESE_i11max_functorIiEiEEDaPvRmT3_T4_T5_mT6_P12ihipStream_tbENKUlT_T0_E_clISt17integral_constantIbLb0EEST_IbLb1EEEEDaSP_SQ_EUlSP_E0_NS1_11comp_targetILNS1_3genE10ELNS1_11target_archE1200ELNS1_3gpuE4ELNS1_3repE0EEENS1_30default_config_static_selectorELNS0_4arch9wavefront6targetE1EEEvT1_,@function
_ZN7rocprim17ROCPRIM_400000_NS6detail17trampoline_kernelINS0_14default_configENS1_20scan_config_selectorIiEEZZNS1_9scan_implILNS1_25lookback_scan_determinismE0ELb0ELb0ES3_N6thrust23THRUST_200600_302600_NS6detail15normal_iteratorINS9_10device_ptrIiEEEESE_i11max_functorIiEiEEDaPvRmT3_T4_T5_mT6_P12ihipStream_tbENKUlT_T0_E_clISt17integral_constantIbLb0EEST_IbLb1EEEEDaSP_SQ_EUlSP_E0_NS1_11comp_targetILNS1_3genE10ELNS1_11target_archE1200ELNS1_3gpuE4ELNS1_3repE0EEENS1_30default_config_static_selectorELNS0_4arch9wavefront6targetE1EEEvT1_: ; @_ZN7rocprim17ROCPRIM_400000_NS6detail17trampoline_kernelINS0_14default_configENS1_20scan_config_selectorIiEEZZNS1_9scan_implILNS1_25lookback_scan_determinismE0ELb0ELb0ES3_N6thrust23THRUST_200600_302600_NS6detail15normal_iteratorINS9_10device_ptrIiEEEESE_i11max_functorIiEiEEDaPvRmT3_T4_T5_mT6_P12ihipStream_tbENKUlT_T0_E_clISt17integral_constantIbLb0EEST_IbLb1EEEEDaSP_SQ_EUlSP_E0_NS1_11comp_targetILNS1_3genE10ELNS1_11target_archE1200ELNS1_3gpuE4ELNS1_3repE0EEENS1_30default_config_static_selectorELNS0_4arch9wavefront6targetE1EEEvT1_
; %bb.0:
	.section	.rodata,"a",@progbits
	.p2align	6, 0x0
	.amdhsa_kernel _ZN7rocprim17ROCPRIM_400000_NS6detail17trampoline_kernelINS0_14default_configENS1_20scan_config_selectorIiEEZZNS1_9scan_implILNS1_25lookback_scan_determinismE0ELb0ELb0ES3_N6thrust23THRUST_200600_302600_NS6detail15normal_iteratorINS9_10device_ptrIiEEEESE_i11max_functorIiEiEEDaPvRmT3_T4_T5_mT6_P12ihipStream_tbENKUlT_T0_E_clISt17integral_constantIbLb0EEST_IbLb1EEEEDaSP_SQ_EUlSP_E0_NS1_11comp_targetILNS1_3genE10ELNS1_11target_archE1200ELNS1_3gpuE4ELNS1_3repE0EEENS1_30default_config_static_selectorELNS0_4arch9wavefront6targetE1EEEvT1_
		.amdhsa_group_segment_fixed_size 0
		.amdhsa_private_segment_fixed_size 0
		.amdhsa_kernarg_size 32
		.amdhsa_user_sgpr_count 6
		.amdhsa_user_sgpr_private_segment_buffer 1
		.amdhsa_user_sgpr_dispatch_ptr 0
		.amdhsa_user_sgpr_queue_ptr 0
		.amdhsa_user_sgpr_kernarg_segment_ptr 1
		.amdhsa_user_sgpr_dispatch_id 0
		.amdhsa_user_sgpr_flat_scratch_init 0
		.amdhsa_user_sgpr_kernarg_preload_length 0
		.amdhsa_user_sgpr_kernarg_preload_offset 0
		.amdhsa_user_sgpr_private_segment_size 0
		.amdhsa_uses_dynamic_stack 0
		.amdhsa_system_sgpr_private_segment_wavefront_offset 0
		.amdhsa_system_sgpr_workgroup_id_x 1
		.amdhsa_system_sgpr_workgroup_id_y 0
		.amdhsa_system_sgpr_workgroup_id_z 0
		.amdhsa_system_sgpr_workgroup_info 0
		.amdhsa_system_vgpr_workitem_id 0
		.amdhsa_next_free_vgpr 1
		.amdhsa_next_free_sgpr 0
		.amdhsa_accum_offset 4
		.amdhsa_reserve_vcc 0
		.amdhsa_reserve_flat_scratch 0
		.amdhsa_float_round_mode_32 0
		.amdhsa_float_round_mode_16_64 0
		.amdhsa_float_denorm_mode_32 3
		.amdhsa_float_denorm_mode_16_64 3
		.amdhsa_dx10_clamp 1
		.amdhsa_ieee_mode 1
		.amdhsa_fp16_overflow 0
		.amdhsa_tg_split 0
		.amdhsa_exception_fp_ieee_invalid_op 0
		.amdhsa_exception_fp_denorm_src 0
		.amdhsa_exception_fp_ieee_div_zero 0
		.amdhsa_exception_fp_ieee_overflow 0
		.amdhsa_exception_fp_ieee_underflow 0
		.amdhsa_exception_fp_ieee_inexact 0
		.amdhsa_exception_int_div_zero 0
	.end_amdhsa_kernel
	.section	.text._ZN7rocprim17ROCPRIM_400000_NS6detail17trampoline_kernelINS0_14default_configENS1_20scan_config_selectorIiEEZZNS1_9scan_implILNS1_25lookback_scan_determinismE0ELb0ELb0ES3_N6thrust23THRUST_200600_302600_NS6detail15normal_iteratorINS9_10device_ptrIiEEEESE_i11max_functorIiEiEEDaPvRmT3_T4_T5_mT6_P12ihipStream_tbENKUlT_T0_E_clISt17integral_constantIbLb0EEST_IbLb1EEEEDaSP_SQ_EUlSP_E0_NS1_11comp_targetILNS1_3genE10ELNS1_11target_archE1200ELNS1_3gpuE4ELNS1_3repE0EEENS1_30default_config_static_selectorELNS0_4arch9wavefront6targetE1EEEvT1_,"axG",@progbits,_ZN7rocprim17ROCPRIM_400000_NS6detail17trampoline_kernelINS0_14default_configENS1_20scan_config_selectorIiEEZZNS1_9scan_implILNS1_25lookback_scan_determinismE0ELb0ELb0ES3_N6thrust23THRUST_200600_302600_NS6detail15normal_iteratorINS9_10device_ptrIiEEEESE_i11max_functorIiEiEEDaPvRmT3_T4_T5_mT6_P12ihipStream_tbENKUlT_T0_E_clISt17integral_constantIbLb0EEST_IbLb1EEEEDaSP_SQ_EUlSP_E0_NS1_11comp_targetILNS1_3genE10ELNS1_11target_archE1200ELNS1_3gpuE4ELNS1_3repE0EEENS1_30default_config_static_selectorELNS0_4arch9wavefront6targetE1EEEvT1_,comdat
.Lfunc_end2771:
	.size	_ZN7rocprim17ROCPRIM_400000_NS6detail17trampoline_kernelINS0_14default_configENS1_20scan_config_selectorIiEEZZNS1_9scan_implILNS1_25lookback_scan_determinismE0ELb0ELb0ES3_N6thrust23THRUST_200600_302600_NS6detail15normal_iteratorINS9_10device_ptrIiEEEESE_i11max_functorIiEiEEDaPvRmT3_T4_T5_mT6_P12ihipStream_tbENKUlT_T0_E_clISt17integral_constantIbLb0EEST_IbLb1EEEEDaSP_SQ_EUlSP_E0_NS1_11comp_targetILNS1_3genE10ELNS1_11target_archE1200ELNS1_3gpuE4ELNS1_3repE0EEENS1_30default_config_static_selectorELNS0_4arch9wavefront6targetE1EEEvT1_, .Lfunc_end2771-_ZN7rocprim17ROCPRIM_400000_NS6detail17trampoline_kernelINS0_14default_configENS1_20scan_config_selectorIiEEZZNS1_9scan_implILNS1_25lookback_scan_determinismE0ELb0ELb0ES3_N6thrust23THRUST_200600_302600_NS6detail15normal_iteratorINS9_10device_ptrIiEEEESE_i11max_functorIiEiEEDaPvRmT3_T4_T5_mT6_P12ihipStream_tbENKUlT_T0_E_clISt17integral_constantIbLb0EEST_IbLb1EEEEDaSP_SQ_EUlSP_E0_NS1_11comp_targetILNS1_3genE10ELNS1_11target_archE1200ELNS1_3gpuE4ELNS1_3repE0EEENS1_30default_config_static_selectorELNS0_4arch9wavefront6targetE1EEEvT1_
                                        ; -- End function
	.section	.AMDGPU.csdata,"",@progbits
; Kernel info:
; codeLenInByte = 0
; NumSgprs: 4
; NumVgprs: 0
; NumAgprs: 0
; TotalNumVgprs: 0
; ScratchSize: 0
; MemoryBound: 0
; FloatMode: 240
; IeeeMode: 1
; LDSByteSize: 0 bytes/workgroup (compile time only)
; SGPRBlocks: 0
; VGPRBlocks: 0
; NumSGPRsForWavesPerEU: 4
; NumVGPRsForWavesPerEU: 1
; AccumOffset: 4
; Occupancy: 8
; WaveLimiterHint : 0
; COMPUTE_PGM_RSRC2:SCRATCH_EN: 0
; COMPUTE_PGM_RSRC2:USER_SGPR: 6
; COMPUTE_PGM_RSRC2:TRAP_HANDLER: 0
; COMPUTE_PGM_RSRC2:TGID_X_EN: 1
; COMPUTE_PGM_RSRC2:TGID_Y_EN: 0
; COMPUTE_PGM_RSRC2:TGID_Z_EN: 0
; COMPUTE_PGM_RSRC2:TIDIG_COMP_CNT: 0
; COMPUTE_PGM_RSRC3_GFX90A:ACCUM_OFFSET: 0
; COMPUTE_PGM_RSRC3_GFX90A:TG_SPLIT: 0
	.section	.text._ZN7rocprim17ROCPRIM_400000_NS6detail17trampoline_kernelINS0_14default_configENS1_20scan_config_selectorIiEEZZNS1_9scan_implILNS1_25lookback_scan_determinismE0ELb0ELb0ES3_N6thrust23THRUST_200600_302600_NS6detail15normal_iteratorINS9_10device_ptrIiEEEESE_i11max_functorIiEiEEDaPvRmT3_T4_T5_mT6_P12ihipStream_tbENKUlT_T0_E_clISt17integral_constantIbLb0EEST_IbLb1EEEEDaSP_SQ_EUlSP_E0_NS1_11comp_targetILNS1_3genE9ELNS1_11target_archE1100ELNS1_3gpuE3ELNS1_3repE0EEENS1_30default_config_static_selectorELNS0_4arch9wavefront6targetE1EEEvT1_,"axG",@progbits,_ZN7rocprim17ROCPRIM_400000_NS6detail17trampoline_kernelINS0_14default_configENS1_20scan_config_selectorIiEEZZNS1_9scan_implILNS1_25lookback_scan_determinismE0ELb0ELb0ES3_N6thrust23THRUST_200600_302600_NS6detail15normal_iteratorINS9_10device_ptrIiEEEESE_i11max_functorIiEiEEDaPvRmT3_T4_T5_mT6_P12ihipStream_tbENKUlT_T0_E_clISt17integral_constantIbLb0EEST_IbLb1EEEEDaSP_SQ_EUlSP_E0_NS1_11comp_targetILNS1_3genE9ELNS1_11target_archE1100ELNS1_3gpuE3ELNS1_3repE0EEENS1_30default_config_static_selectorELNS0_4arch9wavefront6targetE1EEEvT1_,comdat
	.protected	_ZN7rocprim17ROCPRIM_400000_NS6detail17trampoline_kernelINS0_14default_configENS1_20scan_config_selectorIiEEZZNS1_9scan_implILNS1_25lookback_scan_determinismE0ELb0ELb0ES3_N6thrust23THRUST_200600_302600_NS6detail15normal_iteratorINS9_10device_ptrIiEEEESE_i11max_functorIiEiEEDaPvRmT3_T4_T5_mT6_P12ihipStream_tbENKUlT_T0_E_clISt17integral_constantIbLb0EEST_IbLb1EEEEDaSP_SQ_EUlSP_E0_NS1_11comp_targetILNS1_3genE9ELNS1_11target_archE1100ELNS1_3gpuE3ELNS1_3repE0EEENS1_30default_config_static_selectorELNS0_4arch9wavefront6targetE1EEEvT1_ ; -- Begin function _ZN7rocprim17ROCPRIM_400000_NS6detail17trampoline_kernelINS0_14default_configENS1_20scan_config_selectorIiEEZZNS1_9scan_implILNS1_25lookback_scan_determinismE0ELb0ELb0ES3_N6thrust23THRUST_200600_302600_NS6detail15normal_iteratorINS9_10device_ptrIiEEEESE_i11max_functorIiEiEEDaPvRmT3_T4_T5_mT6_P12ihipStream_tbENKUlT_T0_E_clISt17integral_constantIbLb0EEST_IbLb1EEEEDaSP_SQ_EUlSP_E0_NS1_11comp_targetILNS1_3genE9ELNS1_11target_archE1100ELNS1_3gpuE3ELNS1_3repE0EEENS1_30default_config_static_selectorELNS0_4arch9wavefront6targetE1EEEvT1_
	.globl	_ZN7rocprim17ROCPRIM_400000_NS6detail17trampoline_kernelINS0_14default_configENS1_20scan_config_selectorIiEEZZNS1_9scan_implILNS1_25lookback_scan_determinismE0ELb0ELb0ES3_N6thrust23THRUST_200600_302600_NS6detail15normal_iteratorINS9_10device_ptrIiEEEESE_i11max_functorIiEiEEDaPvRmT3_T4_T5_mT6_P12ihipStream_tbENKUlT_T0_E_clISt17integral_constantIbLb0EEST_IbLb1EEEEDaSP_SQ_EUlSP_E0_NS1_11comp_targetILNS1_3genE9ELNS1_11target_archE1100ELNS1_3gpuE3ELNS1_3repE0EEENS1_30default_config_static_selectorELNS0_4arch9wavefront6targetE1EEEvT1_
	.p2align	8
	.type	_ZN7rocprim17ROCPRIM_400000_NS6detail17trampoline_kernelINS0_14default_configENS1_20scan_config_selectorIiEEZZNS1_9scan_implILNS1_25lookback_scan_determinismE0ELb0ELb0ES3_N6thrust23THRUST_200600_302600_NS6detail15normal_iteratorINS9_10device_ptrIiEEEESE_i11max_functorIiEiEEDaPvRmT3_T4_T5_mT6_P12ihipStream_tbENKUlT_T0_E_clISt17integral_constantIbLb0EEST_IbLb1EEEEDaSP_SQ_EUlSP_E0_NS1_11comp_targetILNS1_3genE9ELNS1_11target_archE1100ELNS1_3gpuE3ELNS1_3repE0EEENS1_30default_config_static_selectorELNS0_4arch9wavefront6targetE1EEEvT1_,@function
_ZN7rocprim17ROCPRIM_400000_NS6detail17trampoline_kernelINS0_14default_configENS1_20scan_config_selectorIiEEZZNS1_9scan_implILNS1_25lookback_scan_determinismE0ELb0ELb0ES3_N6thrust23THRUST_200600_302600_NS6detail15normal_iteratorINS9_10device_ptrIiEEEESE_i11max_functorIiEiEEDaPvRmT3_T4_T5_mT6_P12ihipStream_tbENKUlT_T0_E_clISt17integral_constantIbLb0EEST_IbLb1EEEEDaSP_SQ_EUlSP_E0_NS1_11comp_targetILNS1_3genE9ELNS1_11target_archE1100ELNS1_3gpuE3ELNS1_3repE0EEENS1_30default_config_static_selectorELNS0_4arch9wavefront6targetE1EEEvT1_: ; @_ZN7rocprim17ROCPRIM_400000_NS6detail17trampoline_kernelINS0_14default_configENS1_20scan_config_selectorIiEEZZNS1_9scan_implILNS1_25lookback_scan_determinismE0ELb0ELb0ES3_N6thrust23THRUST_200600_302600_NS6detail15normal_iteratorINS9_10device_ptrIiEEEESE_i11max_functorIiEiEEDaPvRmT3_T4_T5_mT6_P12ihipStream_tbENKUlT_T0_E_clISt17integral_constantIbLb0EEST_IbLb1EEEEDaSP_SQ_EUlSP_E0_NS1_11comp_targetILNS1_3genE9ELNS1_11target_archE1100ELNS1_3gpuE3ELNS1_3repE0EEENS1_30default_config_static_selectorELNS0_4arch9wavefront6targetE1EEEvT1_
; %bb.0:
	.section	.rodata,"a",@progbits
	.p2align	6, 0x0
	.amdhsa_kernel _ZN7rocprim17ROCPRIM_400000_NS6detail17trampoline_kernelINS0_14default_configENS1_20scan_config_selectorIiEEZZNS1_9scan_implILNS1_25lookback_scan_determinismE0ELb0ELb0ES3_N6thrust23THRUST_200600_302600_NS6detail15normal_iteratorINS9_10device_ptrIiEEEESE_i11max_functorIiEiEEDaPvRmT3_T4_T5_mT6_P12ihipStream_tbENKUlT_T0_E_clISt17integral_constantIbLb0EEST_IbLb1EEEEDaSP_SQ_EUlSP_E0_NS1_11comp_targetILNS1_3genE9ELNS1_11target_archE1100ELNS1_3gpuE3ELNS1_3repE0EEENS1_30default_config_static_selectorELNS0_4arch9wavefront6targetE1EEEvT1_
		.amdhsa_group_segment_fixed_size 0
		.amdhsa_private_segment_fixed_size 0
		.amdhsa_kernarg_size 32
		.amdhsa_user_sgpr_count 6
		.amdhsa_user_sgpr_private_segment_buffer 1
		.amdhsa_user_sgpr_dispatch_ptr 0
		.amdhsa_user_sgpr_queue_ptr 0
		.amdhsa_user_sgpr_kernarg_segment_ptr 1
		.amdhsa_user_sgpr_dispatch_id 0
		.amdhsa_user_sgpr_flat_scratch_init 0
		.amdhsa_user_sgpr_kernarg_preload_length 0
		.amdhsa_user_sgpr_kernarg_preload_offset 0
		.amdhsa_user_sgpr_private_segment_size 0
		.amdhsa_uses_dynamic_stack 0
		.amdhsa_system_sgpr_private_segment_wavefront_offset 0
		.amdhsa_system_sgpr_workgroup_id_x 1
		.amdhsa_system_sgpr_workgroup_id_y 0
		.amdhsa_system_sgpr_workgroup_id_z 0
		.amdhsa_system_sgpr_workgroup_info 0
		.amdhsa_system_vgpr_workitem_id 0
		.amdhsa_next_free_vgpr 1
		.amdhsa_next_free_sgpr 0
		.amdhsa_accum_offset 4
		.amdhsa_reserve_vcc 0
		.amdhsa_reserve_flat_scratch 0
		.amdhsa_float_round_mode_32 0
		.amdhsa_float_round_mode_16_64 0
		.amdhsa_float_denorm_mode_32 3
		.amdhsa_float_denorm_mode_16_64 3
		.amdhsa_dx10_clamp 1
		.amdhsa_ieee_mode 1
		.amdhsa_fp16_overflow 0
		.amdhsa_tg_split 0
		.amdhsa_exception_fp_ieee_invalid_op 0
		.amdhsa_exception_fp_denorm_src 0
		.amdhsa_exception_fp_ieee_div_zero 0
		.amdhsa_exception_fp_ieee_overflow 0
		.amdhsa_exception_fp_ieee_underflow 0
		.amdhsa_exception_fp_ieee_inexact 0
		.amdhsa_exception_int_div_zero 0
	.end_amdhsa_kernel
	.section	.text._ZN7rocprim17ROCPRIM_400000_NS6detail17trampoline_kernelINS0_14default_configENS1_20scan_config_selectorIiEEZZNS1_9scan_implILNS1_25lookback_scan_determinismE0ELb0ELb0ES3_N6thrust23THRUST_200600_302600_NS6detail15normal_iteratorINS9_10device_ptrIiEEEESE_i11max_functorIiEiEEDaPvRmT3_T4_T5_mT6_P12ihipStream_tbENKUlT_T0_E_clISt17integral_constantIbLb0EEST_IbLb1EEEEDaSP_SQ_EUlSP_E0_NS1_11comp_targetILNS1_3genE9ELNS1_11target_archE1100ELNS1_3gpuE3ELNS1_3repE0EEENS1_30default_config_static_selectorELNS0_4arch9wavefront6targetE1EEEvT1_,"axG",@progbits,_ZN7rocprim17ROCPRIM_400000_NS6detail17trampoline_kernelINS0_14default_configENS1_20scan_config_selectorIiEEZZNS1_9scan_implILNS1_25lookback_scan_determinismE0ELb0ELb0ES3_N6thrust23THRUST_200600_302600_NS6detail15normal_iteratorINS9_10device_ptrIiEEEESE_i11max_functorIiEiEEDaPvRmT3_T4_T5_mT6_P12ihipStream_tbENKUlT_T0_E_clISt17integral_constantIbLb0EEST_IbLb1EEEEDaSP_SQ_EUlSP_E0_NS1_11comp_targetILNS1_3genE9ELNS1_11target_archE1100ELNS1_3gpuE3ELNS1_3repE0EEENS1_30default_config_static_selectorELNS0_4arch9wavefront6targetE1EEEvT1_,comdat
.Lfunc_end2772:
	.size	_ZN7rocprim17ROCPRIM_400000_NS6detail17trampoline_kernelINS0_14default_configENS1_20scan_config_selectorIiEEZZNS1_9scan_implILNS1_25lookback_scan_determinismE0ELb0ELb0ES3_N6thrust23THRUST_200600_302600_NS6detail15normal_iteratorINS9_10device_ptrIiEEEESE_i11max_functorIiEiEEDaPvRmT3_T4_T5_mT6_P12ihipStream_tbENKUlT_T0_E_clISt17integral_constantIbLb0EEST_IbLb1EEEEDaSP_SQ_EUlSP_E0_NS1_11comp_targetILNS1_3genE9ELNS1_11target_archE1100ELNS1_3gpuE3ELNS1_3repE0EEENS1_30default_config_static_selectorELNS0_4arch9wavefront6targetE1EEEvT1_, .Lfunc_end2772-_ZN7rocprim17ROCPRIM_400000_NS6detail17trampoline_kernelINS0_14default_configENS1_20scan_config_selectorIiEEZZNS1_9scan_implILNS1_25lookback_scan_determinismE0ELb0ELb0ES3_N6thrust23THRUST_200600_302600_NS6detail15normal_iteratorINS9_10device_ptrIiEEEESE_i11max_functorIiEiEEDaPvRmT3_T4_T5_mT6_P12ihipStream_tbENKUlT_T0_E_clISt17integral_constantIbLb0EEST_IbLb1EEEEDaSP_SQ_EUlSP_E0_NS1_11comp_targetILNS1_3genE9ELNS1_11target_archE1100ELNS1_3gpuE3ELNS1_3repE0EEENS1_30default_config_static_selectorELNS0_4arch9wavefront6targetE1EEEvT1_
                                        ; -- End function
	.section	.AMDGPU.csdata,"",@progbits
; Kernel info:
; codeLenInByte = 0
; NumSgprs: 4
; NumVgprs: 0
; NumAgprs: 0
; TotalNumVgprs: 0
; ScratchSize: 0
; MemoryBound: 0
; FloatMode: 240
; IeeeMode: 1
; LDSByteSize: 0 bytes/workgroup (compile time only)
; SGPRBlocks: 0
; VGPRBlocks: 0
; NumSGPRsForWavesPerEU: 4
; NumVGPRsForWavesPerEU: 1
; AccumOffset: 4
; Occupancy: 8
; WaveLimiterHint : 0
; COMPUTE_PGM_RSRC2:SCRATCH_EN: 0
; COMPUTE_PGM_RSRC2:USER_SGPR: 6
; COMPUTE_PGM_RSRC2:TRAP_HANDLER: 0
; COMPUTE_PGM_RSRC2:TGID_X_EN: 1
; COMPUTE_PGM_RSRC2:TGID_Y_EN: 0
; COMPUTE_PGM_RSRC2:TGID_Z_EN: 0
; COMPUTE_PGM_RSRC2:TIDIG_COMP_CNT: 0
; COMPUTE_PGM_RSRC3_GFX90A:ACCUM_OFFSET: 0
; COMPUTE_PGM_RSRC3_GFX90A:TG_SPLIT: 0
	.section	.text._ZN7rocprim17ROCPRIM_400000_NS6detail17trampoline_kernelINS0_14default_configENS1_20scan_config_selectorIiEEZZNS1_9scan_implILNS1_25lookback_scan_determinismE0ELb0ELb0ES3_N6thrust23THRUST_200600_302600_NS6detail15normal_iteratorINS9_10device_ptrIiEEEESE_i11max_functorIiEiEEDaPvRmT3_T4_T5_mT6_P12ihipStream_tbENKUlT_T0_E_clISt17integral_constantIbLb0EEST_IbLb1EEEEDaSP_SQ_EUlSP_E0_NS1_11comp_targetILNS1_3genE8ELNS1_11target_archE1030ELNS1_3gpuE2ELNS1_3repE0EEENS1_30default_config_static_selectorELNS0_4arch9wavefront6targetE1EEEvT1_,"axG",@progbits,_ZN7rocprim17ROCPRIM_400000_NS6detail17trampoline_kernelINS0_14default_configENS1_20scan_config_selectorIiEEZZNS1_9scan_implILNS1_25lookback_scan_determinismE0ELb0ELb0ES3_N6thrust23THRUST_200600_302600_NS6detail15normal_iteratorINS9_10device_ptrIiEEEESE_i11max_functorIiEiEEDaPvRmT3_T4_T5_mT6_P12ihipStream_tbENKUlT_T0_E_clISt17integral_constantIbLb0EEST_IbLb1EEEEDaSP_SQ_EUlSP_E0_NS1_11comp_targetILNS1_3genE8ELNS1_11target_archE1030ELNS1_3gpuE2ELNS1_3repE0EEENS1_30default_config_static_selectorELNS0_4arch9wavefront6targetE1EEEvT1_,comdat
	.protected	_ZN7rocprim17ROCPRIM_400000_NS6detail17trampoline_kernelINS0_14default_configENS1_20scan_config_selectorIiEEZZNS1_9scan_implILNS1_25lookback_scan_determinismE0ELb0ELb0ES3_N6thrust23THRUST_200600_302600_NS6detail15normal_iteratorINS9_10device_ptrIiEEEESE_i11max_functorIiEiEEDaPvRmT3_T4_T5_mT6_P12ihipStream_tbENKUlT_T0_E_clISt17integral_constantIbLb0EEST_IbLb1EEEEDaSP_SQ_EUlSP_E0_NS1_11comp_targetILNS1_3genE8ELNS1_11target_archE1030ELNS1_3gpuE2ELNS1_3repE0EEENS1_30default_config_static_selectorELNS0_4arch9wavefront6targetE1EEEvT1_ ; -- Begin function _ZN7rocprim17ROCPRIM_400000_NS6detail17trampoline_kernelINS0_14default_configENS1_20scan_config_selectorIiEEZZNS1_9scan_implILNS1_25lookback_scan_determinismE0ELb0ELb0ES3_N6thrust23THRUST_200600_302600_NS6detail15normal_iteratorINS9_10device_ptrIiEEEESE_i11max_functorIiEiEEDaPvRmT3_T4_T5_mT6_P12ihipStream_tbENKUlT_T0_E_clISt17integral_constantIbLb0EEST_IbLb1EEEEDaSP_SQ_EUlSP_E0_NS1_11comp_targetILNS1_3genE8ELNS1_11target_archE1030ELNS1_3gpuE2ELNS1_3repE0EEENS1_30default_config_static_selectorELNS0_4arch9wavefront6targetE1EEEvT1_
	.globl	_ZN7rocprim17ROCPRIM_400000_NS6detail17trampoline_kernelINS0_14default_configENS1_20scan_config_selectorIiEEZZNS1_9scan_implILNS1_25lookback_scan_determinismE0ELb0ELb0ES3_N6thrust23THRUST_200600_302600_NS6detail15normal_iteratorINS9_10device_ptrIiEEEESE_i11max_functorIiEiEEDaPvRmT3_T4_T5_mT6_P12ihipStream_tbENKUlT_T0_E_clISt17integral_constantIbLb0EEST_IbLb1EEEEDaSP_SQ_EUlSP_E0_NS1_11comp_targetILNS1_3genE8ELNS1_11target_archE1030ELNS1_3gpuE2ELNS1_3repE0EEENS1_30default_config_static_selectorELNS0_4arch9wavefront6targetE1EEEvT1_
	.p2align	8
	.type	_ZN7rocprim17ROCPRIM_400000_NS6detail17trampoline_kernelINS0_14default_configENS1_20scan_config_selectorIiEEZZNS1_9scan_implILNS1_25lookback_scan_determinismE0ELb0ELb0ES3_N6thrust23THRUST_200600_302600_NS6detail15normal_iteratorINS9_10device_ptrIiEEEESE_i11max_functorIiEiEEDaPvRmT3_T4_T5_mT6_P12ihipStream_tbENKUlT_T0_E_clISt17integral_constantIbLb0EEST_IbLb1EEEEDaSP_SQ_EUlSP_E0_NS1_11comp_targetILNS1_3genE8ELNS1_11target_archE1030ELNS1_3gpuE2ELNS1_3repE0EEENS1_30default_config_static_selectorELNS0_4arch9wavefront6targetE1EEEvT1_,@function
_ZN7rocprim17ROCPRIM_400000_NS6detail17trampoline_kernelINS0_14default_configENS1_20scan_config_selectorIiEEZZNS1_9scan_implILNS1_25lookback_scan_determinismE0ELb0ELb0ES3_N6thrust23THRUST_200600_302600_NS6detail15normal_iteratorINS9_10device_ptrIiEEEESE_i11max_functorIiEiEEDaPvRmT3_T4_T5_mT6_P12ihipStream_tbENKUlT_T0_E_clISt17integral_constantIbLb0EEST_IbLb1EEEEDaSP_SQ_EUlSP_E0_NS1_11comp_targetILNS1_3genE8ELNS1_11target_archE1030ELNS1_3gpuE2ELNS1_3repE0EEENS1_30default_config_static_selectorELNS0_4arch9wavefront6targetE1EEEvT1_: ; @_ZN7rocprim17ROCPRIM_400000_NS6detail17trampoline_kernelINS0_14default_configENS1_20scan_config_selectorIiEEZZNS1_9scan_implILNS1_25lookback_scan_determinismE0ELb0ELb0ES3_N6thrust23THRUST_200600_302600_NS6detail15normal_iteratorINS9_10device_ptrIiEEEESE_i11max_functorIiEiEEDaPvRmT3_T4_T5_mT6_P12ihipStream_tbENKUlT_T0_E_clISt17integral_constantIbLb0EEST_IbLb1EEEEDaSP_SQ_EUlSP_E0_NS1_11comp_targetILNS1_3genE8ELNS1_11target_archE1030ELNS1_3gpuE2ELNS1_3repE0EEENS1_30default_config_static_selectorELNS0_4arch9wavefront6targetE1EEEvT1_
; %bb.0:
	.section	.rodata,"a",@progbits
	.p2align	6, 0x0
	.amdhsa_kernel _ZN7rocprim17ROCPRIM_400000_NS6detail17trampoline_kernelINS0_14default_configENS1_20scan_config_selectorIiEEZZNS1_9scan_implILNS1_25lookback_scan_determinismE0ELb0ELb0ES3_N6thrust23THRUST_200600_302600_NS6detail15normal_iteratorINS9_10device_ptrIiEEEESE_i11max_functorIiEiEEDaPvRmT3_T4_T5_mT6_P12ihipStream_tbENKUlT_T0_E_clISt17integral_constantIbLb0EEST_IbLb1EEEEDaSP_SQ_EUlSP_E0_NS1_11comp_targetILNS1_3genE8ELNS1_11target_archE1030ELNS1_3gpuE2ELNS1_3repE0EEENS1_30default_config_static_selectorELNS0_4arch9wavefront6targetE1EEEvT1_
		.amdhsa_group_segment_fixed_size 0
		.amdhsa_private_segment_fixed_size 0
		.amdhsa_kernarg_size 32
		.amdhsa_user_sgpr_count 6
		.amdhsa_user_sgpr_private_segment_buffer 1
		.amdhsa_user_sgpr_dispatch_ptr 0
		.amdhsa_user_sgpr_queue_ptr 0
		.amdhsa_user_sgpr_kernarg_segment_ptr 1
		.amdhsa_user_sgpr_dispatch_id 0
		.amdhsa_user_sgpr_flat_scratch_init 0
		.amdhsa_user_sgpr_kernarg_preload_length 0
		.amdhsa_user_sgpr_kernarg_preload_offset 0
		.amdhsa_user_sgpr_private_segment_size 0
		.amdhsa_uses_dynamic_stack 0
		.amdhsa_system_sgpr_private_segment_wavefront_offset 0
		.amdhsa_system_sgpr_workgroup_id_x 1
		.amdhsa_system_sgpr_workgroup_id_y 0
		.amdhsa_system_sgpr_workgroup_id_z 0
		.amdhsa_system_sgpr_workgroup_info 0
		.amdhsa_system_vgpr_workitem_id 0
		.amdhsa_next_free_vgpr 1
		.amdhsa_next_free_sgpr 0
		.amdhsa_accum_offset 4
		.amdhsa_reserve_vcc 0
		.amdhsa_reserve_flat_scratch 0
		.amdhsa_float_round_mode_32 0
		.amdhsa_float_round_mode_16_64 0
		.amdhsa_float_denorm_mode_32 3
		.amdhsa_float_denorm_mode_16_64 3
		.amdhsa_dx10_clamp 1
		.amdhsa_ieee_mode 1
		.amdhsa_fp16_overflow 0
		.amdhsa_tg_split 0
		.amdhsa_exception_fp_ieee_invalid_op 0
		.amdhsa_exception_fp_denorm_src 0
		.amdhsa_exception_fp_ieee_div_zero 0
		.amdhsa_exception_fp_ieee_overflow 0
		.amdhsa_exception_fp_ieee_underflow 0
		.amdhsa_exception_fp_ieee_inexact 0
		.amdhsa_exception_int_div_zero 0
	.end_amdhsa_kernel
	.section	.text._ZN7rocprim17ROCPRIM_400000_NS6detail17trampoline_kernelINS0_14default_configENS1_20scan_config_selectorIiEEZZNS1_9scan_implILNS1_25lookback_scan_determinismE0ELb0ELb0ES3_N6thrust23THRUST_200600_302600_NS6detail15normal_iteratorINS9_10device_ptrIiEEEESE_i11max_functorIiEiEEDaPvRmT3_T4_T5_mT6_P12ihipStream_tbENKUlT_T0_E_clISt17integral_constantIbLb0EEST_IbLb1EEEEDaSP_SQ_EUlSP_E0_NS1_11comp_targetILNS1_3genE8ELNS1_11target_archE1030ELNS1_3gpuE2ELNS1_3repE0EEENS1_30default_config_static_selectorELNS0_4arch9wavefront6targetE1EEEvT1_,"axG",@progbits,_ZN7rocprim17ROCPRIM_400000_NS6detail17trampoline_kernelINS0_14default_configENS1_20scan_config_selectorIiEEZZNS1_9scan_implILNS1_25lookback_scan_determinismE0ELb0ELb0ES3_N6thrust23THRUST_200600_302600_NS6detail15normal_iteratorINS9_10device_ptrIiEEEESE_i11max_functorIiEiEEDaPvRmT3_T4_T5_mT6_P12ihipStream_tbENKUlT_T0_E_clISt17integral_constantIbLb0EEST_IbLb1EEEEDaSP_SQ_EUlSP_E0_NS1_11comp_targetILNS1_3genE8ELNS1_11target_archE1030ELNS1_3gpuE2ELNS1_3repE0EEENS1_30default_config_static_selectorELNS0_4arch9wavefront6targetE1EEEvT1_,comdat
.Lfunc_end2773:
	.size	_ZN7rocprim17ROCPRIM_400000_NS6detail17trampoline_kernelINS0_14default_configENS1_20scan_config_selectorIiEEZZNS1_9scan_implILNS1_25lookback_scan_determinismE0ELb0ELb0ES3_N6thrust23THRUST_200600_302600_NS6detail15normal_iteratorINS9_10device_ptrIiEEEESE_i11max_functorIiEiEEDaPvRmT3_T4_T5_mT6_P12ihipStream_tbENKUlT_T0_E_clISt17integral_constantIbLb0EEST_IbLb1EEEEDaSP_SQ_EUlSP_E0_NS1_11comp_targetILNS1_3genE8ELNS1_11target_archE1030ELNS1_3gpuE2ELNS1_3repE0EEENS1_30default_config_static_selectorELNS0_4arch9wavefront6targetE1EEEvT1_, .Lfunc_end2773-_ZN7rocprim17ROCPRIM_400000_NS6detail17trampoline_kernelINS0_14default_configENS1_20scan_config_selectorIiEEZZNS1_9scan_implILNS1_25lookback_scan_determinismE0ELb0ELb0ES3_N6thrust23THRUST_200600_302600_NS6detail15normal_iteratorINS9_10device_ptrIiEEEESE_i11max_functorIiEiEEDaPvRmT3_T4_T5_mT6_P12ihipStream_tbENKUlT_T0_E_clISt17integral_constantIbLb0EEST_IbLb1EEEEDaSP_SQ_EUlSP_E0_NS1_11comp_targetILNS1_3genE8ELNS1_11target_archE1030ELNS1_3gpuE2ELNS1_3repE0EEENS1_30default_config_static_selectorELNS0_4arch9wavefront6targetE1EEEvT1_
                                        ; -- End function
	.section	.AMDGPU.csdata,"",@progbits
; Kernel info:
; codeLenInByte = 0
; NumSgprs: 4
; NumVgprs: 0
; NumAgprs: 0
; TotalNumVgprs: 0
; ScratchSize: 0
; MemoryBound: 0
; FloatMode: 240
; IeeeMode: 1
; LDSByteSize: 0 bytes/workgroup (compile time only)
; SGPRBlocks: 0
; VGPRBlocks: 0
; NumSGPRsForWavesPerEU: 4
; NumVGPRsForWavesPerEU: 1
; AccumOffset: 4
; Occupancy: 8
; WaveLimiterHint : 0
; COMPUTE_PGM_RSRC2:SCRATCH_EN: 0
; COMPUTE_PGM_RSRC2:USER_SGPR: 6
; COMPUTE_PGM_RSRC2:TRAP_HANDLER: 0
; COMPUTE_PGM_RSRC2:TGID_X_EN: 1
; COMPUTE_PGM_RSRC2:TGID_Y_EN: 0
; COMPUTE_PGM_RSRC2:TGID_Z_EN: 0
; COMPUTE_PGM_RSRC2:TIDIG_COMP_CNT: 0
; COMPUTE_PGM_RSRC3_GFX90A:ACCUM_OFFSET: 0
; COMPUTE_PGM_RSRC3_GFX90A:TG_SPLIT: 0
	.section	.text._ZN7rocprim17ROCPRIM_400000_NS6detail17trampoline_kernelINS0_14default_configENS1_20scan_config_selectorIiEEZZNS1_9scan_implILNS1_25lookback_scan_determinismE0ELb1ELb1ES3_N6thrust23THRUST_200600_302600_NS6detail15normal_iteratorINS9_10device_ptrIiEEEESE_i11max_functorIiEiEEDaPvRmT3_T4_T5_mT6_P12ihipStream_tbENKUlT_T0_E_clISt17integral_constantIbLb0EESU_EEDaSP_SQ_EUlSP_E_NS1_11comp_targetILNS1_3genE0ELNS1_11target_archE4294967295ELNS1_3gpuE0ELNS1_3repE0EEENS1_30default_config_static_selectorELNS0_4arch9wavefront6targetE1EEEvT1_,"axG",@progbits,_ZN7rocprim17ROCPRIM_400000_NS6detail17trampoline_kernelINS0_14default_configENS1_20scan_config_selectorIiEEZZNS1_9scan_implILNS1_25lookback_scan_determinismE0ELb1ELb1ES3_N6thrust23THRUST_200600_302600_NS6detail15normal_iteratorINS9_10device_ptrIiEEEESE_i11max_functorIiEiEEDaPvRmT3_T4_T5_mT6_P12ihipStream_tbENKUlT_T0_E_clISt17integral_constantIbLb0EESU_EEDaSP_SQ_EUlSP_E_NS1_11comp_targetILNS1_3genE0ELNS1_11target_archE4294967295ELNS1_3gpuE0ELNS1_3repE0EEENS1_30default_config_static_selectorELNS0_4arch9wavefront6targetE1EEEvT1_,comdat
	.protected	_ZN7rocprim17ROCPRIM_400000_NS6detail17trampoline_kernelINS0_14default_configENS1_20scan_config_selectorIiEEZZNS1_9scan_implILNS1_25lookback_scan_determinismE0ELb1ELb1ES3_N6thrust23THRUST_200600_302600_NS6detail15normal_iteratorINS9_10device_ptrIiEEEESE_i11max_functorIiEiEEDaPvRmT3_T4_T5_mT6_P12ihipStream_tbENKUlT_T0_E_clISt17integral_constantIbLb0EESU_EEDaSP_SQ_EUlSP_E_NS1_11comp_targetILNS1_3genE0ELNS1_11target_archE4294967295ELNS1_3gpuE0ELNS1_3repE0EEENS1_30default_config_static_selectorELNS0_4arch9wavefront6targetE1EEEvT1_ ; -- Begin function _ZN7rocprim17ROCPRIM_400000_NS6detail17trampoline_kernelINS0_14default_configENS1_20scan_config_selectorIiEEZZNS1_9scan_implILNS1_25lookback_scan_determinismE0ELb1ELb1ES3_N6thrust23THRUST_200600_302600_NS6detail15normal_iteratorINS9_10device_ptrIiEEEESE_i11max_functorIiEiEEDaPvRmT3_T4_T5_mT6_P12ihipStream_tbENKUlT_T0_E_clISt17integral_constantIbLb0EESU_EEDaSP_SQ_EUlSP_E_NS1_11comp_targetILNS1_3genE0ELNS1_11target_archE4294967295ELNS1_3gpuE0ELNS1_3repE0EEENS1_30default_config_static_selectorELNS0_4arch9wavefront6targetE1EEEvT1_
	.globl	_ZN7rocprim17ROCPRIM_400000_NS6detail17trampoline_kernelINS0_14default_configENS1_20scan_config_selectorIiEEZZNS1_9scan_implILNS1_25lookback_scan_determinismE0ELb1ELb1ES3_N6thrust23THRUST_200600_302600_NS6detail15normal_iteratorINS9_10device_ptrIiEEEESE_i11max_functorIiEiEEDaPvRmT3_T4_T5_mT6_P12ihipStream_tbENKUlT_T0_E_clISt17integral_constantIbLb0EESU_EEDaSP_SQ_EUlSP_E_NS1_11comp_targetILNS1_3genE0ELNS1_11target_archE4294967295ELNS1_3gpuE0ELNS1_3repE0EEENS1_30default_config_static_selectorELNS0_4arch9wavefront6targetE1EEEvT1_
	.p2align	8
	.type	_ZN7rocprim17ROCPRIM_400000_NS6detail17trampoline_kernelINS0_14default_configENS1_20scan_config_selectorIiEEZZNS1_9scan_implILNS1_25lookback_scan_determinismE0ELb1ELb1ES3_N6thrust23THRUST_200600_302600_NS6detail15normal_iteratorINS9_10device_ptrIiEEEESE_i11max_functorIiEiEEDaPvRmT3_T4_T5_mT6_P12ihipStream_tbENKUlT_T0_E_clISt17integral_constantIbLb0EESU_EEDaSP_SQ_EUlSP_E_NS1_11comp_targetILNS1_3genE0ELNS1_11target_archE4294967295ELNS1_3gpuE0ELNS1_3repE0EEENS1_30default_config_static_selectorELNS0_4arch9wavefront6targetE1EEEvT1_,@function
_ZN7rocprim17ROCPRIM_400000_NS6detail17trampoline_kernelINS0_14default_configENS1_20scan_config_selectorIiEEZZNS1_9scan_implILNS1_25lookback_scan_determinismE0ELb1ELb1ES3_N6thrust23THRUST_200600_302600_NS6detail15normal_iteratorINS9_10device_ptrIiEEEESE_i11max_functorIiEiEEDaPvRmT3_T4_T5_mT6_P12ihipStream_tbENKUlT_T0_E_clISt17integral_constantIbLb0EESU_EEDaSP_SQ_EUlSP_E_NS1_11comp_targetILNS1_3genE0ELNS1_11target_archE4294967295ELNS1_3gpuE0ELNS1_3repE0EEENS1_30default_config_static_selectorELNS0_4arch9wavefront6targetE1EEEvT1_: ; @_ZN7rocprim17ROCPRIM_400000_NS6detail17trampoline_kernelINS0_14default_configENS1_20scan_config_selectorIiEEZZNS1_9scan_implILNS1_25lookback_scan_determinismE0ELb1ELb1ES3_N6thrust23THRUST_200600_302600_NS6detail15normal_iteratorINS9_10device_ptrIiEEEESE_i11max_functorIiEiEEDaPvRmT3_T4_T5_mT6_P12ihipStream_tbENKUlT_T0_E_clISt17integral_constantIbLb0EESU_EEDaSP_SQ_EUlSP_E_NS1_11comp_targetILNS1_3genE0ELNS1_11target_archE4294967295ELNS1_3gpuE0ELNS1_3repE0EEENS1_30default_config_static_selectorELNS0_4arch9wavefront6targetE1EEEvT1_
; %bb.0:
	.section	.rodata,"a",@progbits
	.p2align	6, 0x0
	.amdhsa_kernel _ZN7rocprim17ROCPRIM_400000_NS6detail17trampoline_kernelINS0_14default_configENS1_20scan_config_selectorIiEEZZNS1_9scan_implILNS1_25lookback_scan_determinismE0ELb1ELb1ES3_N6thrust23THRUST_200600_302600_NS6detail15normal_iteratorINS9_10device_ptrIiEEEESE_i11max_functorIiEiEEDaPvRmT3_T4_T5_mT6_P12ihipStream_tbENKUlT_T0_E_clISt17integral_constantIbLb0EESU_EEDaSP_SQ_EUlSP_E_NS1_11comp_targetILNS1_3genE0ELNS1_11target_archE4294967295ELNS1_3gpuE0ELNS1_3repE0EEENS1_30default_config_static_selectorELNS0_4arch9wavefront6targetE1EEEvT1_
		.amdhsa_group_segment_fixed_size 0
		.amdhsa_private_segment_fixed_size 0
		.amdhsa_kernarg_size 96
		.amdhsa_user_sgpr_count 6
		.amdhsa_user_sgpr_private_segment_buffer 1
		.amdhsa_user_sgpr_dispatch_ptr 0
		.amdhsa_user_sgpr_queue_ptr 0
		.amdhsa_user_sgpr_kernarg_segment_ptr 1
		.amdhsa_user_sgpr_dispatch_id 0
		.amdhsa_user_sgpr_flat_scratch_init 0
		.amdhsa_user_sgpr_kernarg_preload_length 0
		.amdhsa_user_sgpr_kernarg_preload_offset 0
		.amdhsa_user_sgpr_private_segment_size 0
		.amdhsa_uses_dynamic_stack 0
		.amdhsa_system_sgpr_private_segment_wavefront_offset 0
		.amdhsa_system_sgpr_workgroup_id_x 1
		.amdhsa_system_sgpr_workgroup_id_y 0
		.amdhsa_system_sgpr_workgroup_id_z 0
		.amdhsa_system_sgpr_workgroup_info 0
		.amdhsa_system_vgpr_workitem_id 0
		.amdhsa_next_free_vgpr 1
		.amdhsa_next_free_sgpr 0
		.amdhsa_accum_offset 4
		.amdhsa_reserve_vcc 0
		.amdhsa_reserve_flat_scratch 0
		.amdhsa_float_round_mode_32 0
		.amdhsa_float_round_mode_16_64 0
		.amdhsa_float_denorm_mode_32 3
		.amdhsa_float_denorm_mode_16_64 3
		.amdhsa_dx10_clamp 1
		.amdhsa_ieee_mode 1
		.amdhsa_fp16_overflow 0
		.amdhsa_tg_split 0
		.amdhsa_exception_fp_ieee_invalid_op 0
		.amdhsa_exception_fp_denorm_src 0
		.amdhsa_exception_fp_ieee_div_zero 0
		.amdhsa_exception_fp_ieee_overflow 0
		.amdhsa_exception_fp_ieee_underflow 0
		.amdhsa_exception_fp_ieee_inexact 0
		.amdhsa_exception_int_div_zero 0
	.end_amdhsa_kernel
	.section	.text._ZN7rocprim17ROCPRIM_400000_NS6detail17trampoline_kernelINS0_14default_configENS1_20scan_config_selectorIiEEZZNS1_9scan_implILNS1_25lookback_scan_determinismE0ELb1ELb1ES3_N6thrust23THRUST_200600_302600_NS6detail15normal_iteratorINS9_10device_ptrIiEEEESE_i11max_functorIiEiEEDaPvRmT3_T4_T5_mT6_P12ihipStream_tbENKUlT_T0_E_clISt17integral_constantIbLb0EESU_EEDaSP_SQ_EUlSP_E_NS1_11comp_targetILNS1_3genE0ELNS1_11target_archE4294967295ELNS1_3gpuE0ELNS1_3repE0EEENS1_30default_config_static_selectorELNS0_4arch9wavefront6targetE1EEEvT1_,"axG",@progbits,_ZN7rocprim17ROCPRIM_400000_NS6detail17trampoline_kernelINS0_14default_configENS1_20scan_config_selectorIiEEZZNS1_9scan_implILNS1_25lookback_scan_determinismE0ELb1ELb1ES3_N6thrust23THRUST_200600_302600_NS6detail15normal_iteratorINS9_10device_ptrIiEEEESE_i11max_functorIiEiEEDaPvRmT3_T4_T5_mT6_P12ihipStream_tbENKUlT_T0_E_clISt17integral_constantIbLb0EESU_EEDaSP_SQ_EUlSP_E_NS1_11comp_targetILNS1_3genE0ELNS1_11target_archE4294967295ELNS1_3gpuE0ELNS1_3repE0EEENS1_30default_config_static_selectorELNS0_4arch9wavefront6targetE1EEEvT1_,comdat
.Lfunc_end2774:
	.size	_ZN7rocprim17ROCPRIM_400000_NS6detail17trampoline_kernelINS0_14default_configENS1_20scan_config_selectorIiEEZZNS1_9scan_implILNS1_25lookback_scan_determinismE0ELb1ELb1ES3_N6thrust23THRUST_200600_302600_NS6detail15normal_iteratorINS9_10device_ptrIiEEEESE_i11max_functorIiEiEEDaPvRmT3_T4_T5_mT6_P12ihipStream_tbENKUlT_T0_E_clISt17integral_constantIbLb0EESU_EEDaSP_SQ_EUlSP_E_NS1_11comp_targetILNS1_3genE0ELNS1_11target_archE4294967295ELNS1_3gpuE0ELNS1_3repE0EEENS1_30default_config_static_selectorELNS0_4arch9wavefront6targetE1EEEvT1_, .Lfunc_end2774-_ZN7rocprim17ROCPRIM_400000_NS6detail17trampoline_kernelINS0_14default_configENS1_20scan_config_selectorIiEEZZNS1_9scan_implILNS1_25lookback_scan_determinismE0ELb1ELb1ES3_N6thrust23THRUST_200600_302600_NS6detail15normal_iteratorINS9_10device_ptrIiEEEESE_i11max_functorIiEiEEDaPvRmT3_T4_T5_mT6_P12ihipStream_tbENKUlT_T0_E_clISt17integral_constantIbLb0EESU_EEDaSP_SQ_EUlSP_E_NS1_11comp_targetILNS1_3genE0ELNS1_11target_archE4294967295ELNS1_3gpuE0ELNS1_3repE0EEENS1_30default_config_static_selectorELNS0_4arch9wavefront6targetE1EEEvT1_
                                        ; -- End function
	.section	.AMDGPU.csdata,"",@progbits
; Kernel info:
; codeLenInByte = 0
; NumSgprs: 4
; NumVgprs: 0
; NumAgprs: 0
; TotalNumVgprs: 0
; ScratchSize: 0
; MemoryBound: 0
; FloatMode: 240
; IeeeMode: 1
; LDSByteSize: 0 bytes/workgroup (compile time only)
; SGPRBlocks: 0
; VGPRBlocks: 0
; NumSGPRsForWavesPerEU: 4
; NumVGPRsForWavesPerEU: 1
; AccumOffset: 4
; Occupancy: 8
; WaveLimiterHint : 0
; COMPUTE_PGM_RSRC2:SCRATCH_EN: 0
; COMPUTE_PGM_RSRC2:USER_SGPR: 6
; COMPUTE_PGM_RSRC2:TRAP_HANDLER: 0
; COMPUTE_PGM_RSRC2:TGID_X_EN: 1
; COMPUTE_PGM_RSRC2:TGID_Y_EN: 0
; COMPUTE_PGM_RSRC2:TGID_Z_EN: 0
; COMPUTE_PGM_RSRC2:TIDIG_COMP_CNT: 0
; COMPUTE_PGM_RSRC3_GFX90A:ACCUM_OFFSET: 0
; COMPUTE_PGM_RSRC3_GFX90A:TG_SPLIT: 0
	.section	.text._ZN7rocprim17ROCPRIM_400000_NS6detail17trampoline_kernelINS0_14default_configENS1_20scan_config_selectorIiEEZZNS1_9scan_implILNS1_25lookback_scan_determinismE0ELb1ELb1ES3_N6thrust23THRUST_200600_302600_NS6detail15normal_iteratorINS9_10device_ptrIiEEEESE_i11max_functorIiEiEEDaPvRmT3_T4_T5_mT6_P12ihipStream_tbENKUlT_T0_E_clISt17integral_constantIbLb0EESU_EEDaSP_SQ_EUlSP_E_NS1_11comp_targetILNS1_3genE5ELNS1_11target_archE942ELNS1_3gpuE9ELNS1_3repE0EEENS1_30default_config_static_selectorELNS0_4arch9wavefront6targetE1EEEvT1_,"axG",@progbits,_ZN7rocprim17ROCPRIM_400000_NS6detail17trampoline_kernelINS0_14default_configENS1_20scan_config_selectorIiEEZZNS1_9scan_implILNS1_25lookback_scan_determinismE0ELb1ELb1ES3_N6thrust23THRUST_200600_302600_NS6detail15normal_iteratorINS9_10device_ptrIiEEEESE_i11max_functorIiEiEEDaPvRmT3_T4_T5_mT6_P12ihipStream_tbENKUlT_T0_E_clISt17integral_constantIbLb0EESU_EEDaSP_SQ_EUlSP_E_NS1_11comp_targetILNS1_3genE5ELNS1_11target_archE942ELNS1_3gpuE9ELNS1_3repE0EEENS1_30default_config_static_selectorELNS0_4arch9wavefront6targetE1EEEvT1_,comdat
	.protected	_ZN7rocprim17ROCPRIM_400000_NS6detail17trampoline_kernelINS0_14default_configENS1_20scan_config_selectorIiEEZZNS1_9scan_implILNS1_25lookback_scan_determinismE0ELb1ELb1ES3_N6thrust23THRUST_200600_302600_NS6detail15normal_iteratorINS9_10device_ptrIiEEEESE_i11max_functorIiEiEEDaPvRmT3_T4_T5_mT6_P12ihipStream_tbENKUlT_T0_E_clISt17integral_constantIbLb0EESU_EEDaSP_SQ_EUlSP_E_NS1_11comp_targetILNS1_3genE5ELNS1_11target_archE942ELNS1_3gpuE9ELNS1_3repE0EEENS1_30default_config_static_selectorELNS0_4arch9wavefront6targetE1EEEvT1_ ; -- Begin function _ZN7rocprim17ROCPRIM_400000_NS6detail17trampoline_kernelINS0_14default_configENS1_20scan_config_selectorIiEEZZNS1_9scan_implILNS1_25lookback_scan_determinismE0ELb1ELb1ES3_N6thrust23THRUST_200600_302600_NS6detail15normal_iteratorINS9_10device_ptrIiEEEESE_i11max_functorIiEiEEDaPvRmT3_T4_T5_mT6_P12ihipStream_tbENKUlT_T0_E_clISt17integral_constantIbLb0EESU_EEDaSP_SQ_EUlSP_E_NS1_11comp_targetILNS1_3genE5ELNS1_11target_archE942ELNS1_3gpuE9ELNS1_3repE0EEENS1_30default_config_static_selectorELNS0_4arch9wavefront6targetE1EEEvT1_
	.globl	_ZN7rocprim17ROCPRIM_400000_NS6detail17trampoline_kernelINS0_14default_configENS1_20scan_config_selectorIiEEZZNS1_9scan_implILNS1_25lookback_scan_determinismE0ELb1ELb1ES3_N6thrust23THRUST_200600_302600_NS6detail15normal_iteratorINS9_10device_ptrIiEEEESE_i11max_functorIiEiEEDaPvRmT3_T4_T5_mT6_P12ihipStream_tbENKUlT_T0_E_clISt17integral_constantIbLb0EESU_EEDaSP_SQ_EUlSP_E_NS1_11comp_targetILNS1_3genE5ELNS1_11target_archE942ELNS1_3gpuE9ELNS1_3repE0EEENS1_30default_config_static_selectorELNS0_4arch9wavefront6targetE1EEEvT1_
	.p2align	8
	.type	_ZN7rocprim17ROCPRIM_400000_NS6detail17trampoline_kernelINS0_14default_configENS1_20scan_config_selectorIiEEZZNS1_9scan_implILNS1_25lookback_scan_determinismE0ELb1ELb1ES3_N6thrust23THRUST_200600_302600_NS6detail15normal_iteratorINS9_10device_ptrIiEEEESE_i11max_functorIiEiEEDaPvRmT3_T4_T5_mT6_P12ihipStream_tbENKUlT_T0_E_clISt17integral_constantIbLb0EESU_EEDaSP_SQ_EUlSP_E_NS1_11comp_targetILNS1_3genE5ELNS1_11target_archE942ELNS1_3gpuE9ELNS1_3repE0EEENS1_30default_config_static_selectorELNS0_4arch9wavefront6targetE1EEEvT1_,@function
_ZN7rocprim17ROCPRIM_400000_NS6detail17trampoline_kernelINS0_14default_configENS1_20scan_config_selectorIiEEZZNS1_9scan_implILNS1_25lookback_scan_determinismE0ELb1ELb1ES3_N6thrust23THRUST_200600_302600_NS6detail15normal_iteratorINS9_10device_ptrIiEEEESE_i11max_functorIiEiEEDaPvRmT3_T4_T5_mT6_P12ihipStream_tbENKUlT_T0_E_clISt17integral_constantIbLb0EESU_EEDaSP_SQ_EUlSP_E_NS1_11comp_targetILNS1_3genE5ELNS1_11target_archE942ELNS1_3gpuE9ELNS1_3repE0EEENS1_30default_config_static_selectorELNS0_4arch9wavefront6targetE1EEEvT1_: ; @_ZN7rocprim17ROCPRIM_400000_NS6detail17trampoline_kernelINS0_14default_configENS1_20scan_config_selectorIiEEZZNS1_9scan_implILNS1_25lookback_scan_determinismE0ELb1ELb1ES3_N6thrust23THRUST_200600_302600_NS6detail15normal_iteratorINS9_10device_ptrIiEEEESE_i11max_functorIiEiEEDaPvRmT3_T4_T5_mT6_P12ihipStream_tbENKUlT_T0_E_clISt17integral_constantIbLb0EESU_EEDaSP_SQ_EUlSP_E_NS1_11comp_targetILNS1_3genE5ELNS1_11target_archE942ELNS1_3gpuE9ELNS1_3repE0EEENS1_30default_config_static_selectorELNS0_4arch9wavefront6targetE1EEEvT1_
; %bb.0:
	.section	.rodata,"a",@progbits
	.p2align	6, 0x0
	.amdhsa_kernel _ZN7rocprim17ROCPRIM_400000_NS6detail17trampoline_kernelINS0_14default_configENS1_20scan_config_selectorIiEEZZNS1_9scan_implILNS1_25lookback_scan_determinismE0ELb1ELb1ES3_N6thrust23THRUST_200600_302600_NS6detail15normal_iteratorINS9_10device_ptrIiEEEESE_i11max_functorIiEiEEDaPvRmT3_T4_T5_mT6_P12ihipStream_tbENKUlT_T0_E_clISt17integral_constantIbLb0EESU_EEDaSP_SQ_EUlSP_E_NS1_11comp_targetILNS1_3genE5ELNS1_11target_archE942ELNS1_3gpuE9ELNS1_3repE0EEENS1_30default_config_static_selectorELNS0_4arch9wavefront6targetE1EEEvT1_
		.amdhsa_group_segment_fixed_size 0
		.amdhsa_private_segment_fixed_size 0
		.amdhsa_kernarg_size 96
		.amdhsa_user_sgpr_count 6
		.amdhsa_user_sgpr_private_segment_buffer 1
		.amdhsa_user_sgpr_dispatch_ptr 0
		.amdhsa_user_sgpr_queue_ptr 0
		.amdhsa_user_sgpr_kernarg_segment_ptr 1
		.amdhsa_user_sgpr_dispatch_id 0
		.amdhsa_user_sgpr_flat_scratch_init 0
		.amdhsa_user_sgpr_kernarg_preload_length 0
		.amdhsa_user_sgpr_kernarg_preload_offset 0
		.amdhsa_user_sgpr_private_segment_size 0
		.amdhsa_uses_dynamic_stack 0
		.amdhsa_system_sgpr_private_segment_wavefront_offset 0
		.amdhsa_system_sgpr_workgroup_id_x 1
		.amdhsa_system_sgpr_workgroup_id_y 0
		.amdhsa_system_sgpr_workgroup_id_z 0
		.amdhsa_system_sgpr_workgroup_info 0
		.amdhsa_system_vgpr_workitem_id 0
		.amdhsa_next_free_vgpr 1
		.amdhsa_next_free_sgpr 0
		.amdhsa_accum_offset 4
		.amdhsa_reserve_vcc 0
		.amdhsa_reserve_flat_scratch 0
		.amdhsa_float_round_mode_32 0
		.amdhsa_float_round_mode_16_64 0
		.amdhsa_float_denorm_mode_32 3
		.amdhsa_float_denorm_mode_16_64 3
		.amdhsa_dx10_clamp 1
		.amdhsa_ieee_mode 1
		.amdhsa_fp16_overflow 0
		.amdhsa_tg_split 0
		.amdhsa_exception_fp_ieee_invalid_op 0
		.amdhsa_exception_fp_denorm_src 0
		.amdhsa_exception_fp_ieee_div_zero 0
		.amdhsa_exception_fp_ieee_overflow 0
		.amdhsa_exception_fp_ieee_underflow 0
		.amdhsa_exception_fp_ieee_inexact 0
		.amdhsa_exception_int_div_zero 0
	.end_amdhsa_kernel
	.section	.text._ZN7rocprim17ROCPRIM_400000_NS6detail17trampoline_kernelINS0_14default_configENS1_20scan_config_selectorIiEEZZNS1_9scan_implILNS1_25lookback_scan_determinismE0ELb1ELb1ES3_N6thrust23THRUST_200600_302600_NS6detail15normal_iteratorINS9_10device_ptrIiEEEESE_i11max_functorIiEiEEDaPvRmT3_T4_T5_mT6_P12ihipStream_tbENKUlT_T0_E_clISt17integral_constantIbLb0EESU_EEDaSP_SQ_EUlSP_E_NS1_11comp_targetILNS1_3genE5ELNS1_11target_archE942ELNS1_3gpuE9ELNS1_3repE0EEENS1_30default_config_static_selectorELNS0_4arch9wavefront6targetE1EEEvT1_,"axG",@progbits,_ZN7rocprim17ROCPRIM_400000_NS6detail17trampoline_kernelINS0_14default_configENS1_20scan_config_selectorIiEEZZNS1_9scan_implILNS1_25lookback_scan_determinismE0ELb1ELb1ES3_N6thrust23THRUST_200600_302600_NS6detail15normal_iteratorINS9_10device_ptrIiEEEESE_i11max_functorIiEiEEDaPvRmT3_T4_T5_mT6_P12ihipStream_tbENKUlT_T0_E_clISt17integral_constantIbLb0EESU_EEDaSP_SQ_EUlSP_E_NS1_11comp_targetILNS1_3genE5ELNS1_11target_archE942ELNS1_3gpuE9ELNS1_3repE0EEENS1_30default_config_static_selectorELNS0_4arch9wavefront6targetE1EEEvT1_,comdat
.Lfunc_end2775:
	.size	_ZN7rocprim17ROCPRIM_400000_NS6detail17trampoline_kernelINS0_14default_configENS1_20scan_config_selectorIiEEZZNS1_9scan_implILNS1_25lookback_scan_determinismE0ELb1ELb1ES3_N6thrust23THRUST_200600_302600_NS6detail15normal_iteratorINS9_10device_ptrIiEEEESE_i11max_functorIiEiEEDaPvRmT3_T4_T5_mT6_P12ihipStream_tbENKUlT_T0_E_clISt17integral_constantIbLb0EESU_EEDaSP_SQ_EUlSP_E_NS1_11comp_targetILNS1_3genE5ELNS1_11target_archE942ELNS1_3gpuE9ELNS1_3repE0EEENS1_30default_config_static_selectorELNS0_4arch9wavefront6targetE1EEEvT1_, .Lfunc_end2775-_ZN7rocprim17ROCPRIM_400000_NS6detail17trampoline_kernelINS0_14default_configENS1_20scan_config_selectorIiEEZZNS1_9scan_implILNS1_25lookback_scan_determinismE0ELb1ELb1ES3_N6thrust23THRUST_200600_302600_NS6detail15normal_iteratorINS9_10device_ptrIiEEEESE_i11max_functorIiEiEEDaPvRmT3_T4_T5_mT6_P12ihipStream_tbENKUlT_T0_E_clISt17integral_constantIbLb0EESU_EEDaSP_SQ_EUlSP_E_NS1_11comp_targetILNS1_3genE5ELNS1_11target_archE942ELNS1_3gpuE9ELNS1_3repE0EEENS1_30default_config_static_selectorELNS0_4arch9wavefront6targetE1EEEvT1_
                                        ; -- End function
	.section	.AMDGPU.csdata,"",@progbits
; Kernel info:
; codeLenInByte = 0
; NumSgprs: 4
; NumVgprs: 0
; NumAgprs: 0
; TotalNumVgprs: 0
; ScratchSize: 0
; MemoryBound: 0
; FloatMode: 240
; IeeeMode: 1
; LDSByteSize: 0 bytes/workgroup (compile time only)
; SGPRBlocks: 0
; VGPRBlocks: 0
; NumSGPRsForWavesPerEU: 4
; NumVGPRsForWavesPerEU: 1
; AccumOffset: 4
; Occupancy: 8
; WaveLimiterHint : 0
; COMPUTE_PGM_RSRC2:SCRATCH_EN: 0
; COMPUTE_PGM_RSRC2:USER_SGPR: 6
; COMPUTE_PGM_RSRC2:TRAP_HANDLER: 0
; COMPUTE_PGM_RSRC2:TGID_X_EN: 1
; COMPUTE_PGM_RSRC2:TGID_Y_EN: 0
; COMPUTE_PGM_RSRC2:TGID_Z_EN: 0
; COMPUTE_PGM_RSRC2:TIDIG_COMP_CNT: 0
; COMPUTE_PGM_RSRC3_GFX90A:ACCUM_OFFSET: 0
; COMPUTE_PGM_RSRC3_GFX90A:TG_SPLIT: 0
	.section	.text._ZN7rocprim17ROCPRIM_400000_NS6detail17trampoline_kernelINS0_14default_configENS1_20scan_config_selectorIiEEZZNS1_9scan_implILNS1_25lookback_scan_determinismE0ELb1ELb1ES3_N6thrust23THRUST_200600_302600_NS6detail15normal_iteratorINS9_10device_ptrIiEEEESE_i11max_functorIiEiEEDaPvRmT3_T4_T5_mT6_P12ihipStream_tbENKUlT_T0_E_clISt17integral_constantIbLb0EESU_EEDaSP_SQ_EUlSP_E_NS1_11comp_targetILNS1_3genE4ELNS1_11target_archE910ELNS1_3gpuE8ELNS1_3repE0EEENS1_30default_config_static_selectorELNS0_4arch9wavefront6targetE1EEEvT1_,"axG",@progbits,_ZN7rocprim17ROCPRIM_400000_NS6detail17trampoline_kernelINS0_14default_configENS1_20scan_config_selectorIiEEZZNS1_9scan_implILNS1_25lookback_scan_determinismE0ELb1ELb1ES3_N6thrust23THRUST_200600_302600_NS6detail15normal_iteratorINS9_10device_ptrIiEEEESE_i11max_functorIiEiEEDaPvRmT3_T4_T5_mT6_P12ihipStream_tbENKUlT_T0_E_clISt17integral_constantIbLb0EESU_EEDaSP_SQ_EUlSP_E_NS1_11comp_targetILNS1_3genE4ELNS1_11target_archE910ELNS1_3gpuE8ELNS1_3repE0EEENS1_30default_config_static_selectorELNS0_4arch9wavefront6targetE1EEEvT1_,comdat
	.protected	_ZN7rocprim17ROCPRIM_400000_NS6detail17trampoline_kernelINS0_14default_configENS1_20scan_config_selectorIiEEZZNS1_9scan_implILNS1_25lookback_scan_determinismE0ELb1ELb1ES3_N6thrust23THRUST_200600_302600_NS6detail15normal_iteratorINS9_10device_ptrIiEEEESE_i11max_functorIiEiEEDaPvRmT3_T4_T5_mT6_P12ihipStream_tbENKUlT_T0_E_clISt17integral_constantIbLb0EESU_EEDaSP_SQ_EUlSP_E_NS1_11comp_targetILNS1_3genE4ELNS1_11target_archE910ELNS1_3gpuE8ELNS1_3repE0EEENS1_30default_config_static_selectorELNS0_4arch9wavefront6targetE1EEEvT1_ ; -- Begin function _ZN7rocprim17ROCPRIM_400000_NS6detail17trampoline_kernelINS0_14default_configENS1_20scan_config_selectorIiEEZZNS1_9scan_implILNS1_25lookback_scan_determinismE0ELb1ELb1ES3_N6thrust23THRUST_200600_302600_NS6detail15normal_iteratorINS9_10device_ptrIiEEEESE_i11max_functorIiEiEEDaPvRmT3_T4_T5_mT6_P12ihipStream_tbENKUlT_T0_E_clISt17integral_constantIbLb0EESU_EEDaSP_SQ_EUlSP_E_NS1_11comp_targetILNS1_3genE4ELNS1_11target_archE910ELNS1_3gpuE8ELNS1_3repE0EEENS1_30default_config_static_selectorELNS0_4arch9wavefront6targetE1EEEvT1_
	.globl	_ZN7rocprim17ROCPRIM_400000_NS6detail17trampoline_kernelINS0_14default_configENS1_20scan_config_selectorIiEEZZNS1_9scan_implILNS1_25lookback_scan_determinismE0ELb1ELb1ES3_N6thrust23THRUST_200600_302600_NS6detail15normal_iteratorINS9_10device_ptrIiEEEESE_i11max_functorIiEiEEDaPvRmT3_T4_T5_mT6_P12ihipStream_tbENKUlT_T0_E_clISt17integral_constantIbLb0EESU_EEDaSP_SQ_EUlSP_E_NS1_11comp_targetILNS1_3genE4ELNS1_11target_archE910ELNS1_3gpuE8ELNS1_3repE0EEENS1_30default_config_static_selectorELNS0_4arch9wavefront6targetE1EEEvT1_
	.p2align	8
	.type	_ZN7rocprim17ROCPRIM_400000_NS6detail17trampoline_kernelINS0_14default_configENS1_20scan_config_selectorIiEEZZNS1_9scan_implILNS1_25lookback_scan_determinismE0ELb1ELb1ES3_N6thrust23THRUST_200600_302600_NS6detail15normal_iteratorINS9_10device_ptrIiEEEESE_i11max_functorIiEiEEDaPvRmT3_T4_T5_mT6_P12ihipStream_tbENKUlT_T0_E_clISt17integral_constantIbLb0EESU_EEDaSP_SQ_EUlSP_E_NS1_11comp_targetILNS1_3genE4ELNS1_11target_archE910ELNS1_3gpuE8ELNS1_3repE0EEENS1_30default_config_static_selectorELNS0_4arch9wavefront6targetE1EEEvT1_,@function
_ZN7rocprim17ROCPRIM_400000_NS6detail17trampoline_kernelINS0_14default_configENS1_20scan_config_selectorIiEEZZNS1_9scan_implILNS1_25lookback_scan_determinismE0ELb1ELb1ES3_N6thrust23THRUST_200600_302600_NS6detail15normal_iteratorINS9_10device_ptrIiEEEESE_i11max_functorIiEiEEDaPvRmT3_T4_T5_mT6_P12ihipStream_tbENKUlT_T0_E_clISt17integral_constantIbLb0EESU_EEDaSP_SQ_EUlSP_E_NS1_11comp_targetILNS1_3genE4ELNS1_11target_archE910ELNS1_3gpuE8ELNS1_3repE0EEENS1_30default_config_static_selectorELNS0_4arch9wavefront6targetE1EEEvT1_: ; @_ZN7rocprim17ROCPRIM_400000_NS6detail17trampoline_kernelINS0_14default_configENS1_20scan_config_selectorIiEEZZNS1_9scan_implILNS1_25lookback_scan_determinismE0ELb1ELb1ES3_N6thrust23THRUST_200600_302600_NS6detail15normal_iteratorINS9_10device_ptrIiEEEESE_i11max_functorIiEiEEDaPvRmT3_T4_T5_mT6_P12ihipStream_tbENKUlT_T0_E_clISt17integral_constantIbLb0EESU_EEDaSP_SQ_EUlSP_E_NS1_11comp_targetILNS1_3genE4ELNS1_11target_archE910ELNS1_3gpuE8ELNS1_3repE0EEENS1_30default_config_static_selectorELNS0_4arch9wavefront6targetE1EEEvT1_
; %bb.0:
	s_load_dwordx8 s[8:15], s[4:5], 0x0
	s_load_dword s1, s[4:5], 0x30
	s_mul_i32 s0, s6, 0x500
	v_lshlrev_b32_e32 v22, 2, v0
	s_waitcnt lgkmcnt(0)
	s_lshl_b64 s[10:11], s[10:11], 2
	s_add_u32 s27, s8, s10
	s_addc_u32 s28, s9, s11
	s_add_i32 s2, s1, -1
	s_mul_i32 s3, s2, 0x500
	s_sub_u32 s7, s14, s3
	s_subb_u32 s26, s15, 0
	s_mov_b32 s1, 0
	s_cmp_lg_u32 s6, s2
	s_cselect_b64 s[8:9], -1, 0
	s_lshl_b64 s[14:15], s[0:1], 2
	s_add_u32 s2, s27, s14
	s_addc_u32 s3, s28, s15
	s_mov_b64 s[0:1], -1
	s_and_b64 vcc, exec, s[8:9]
	s_cbranch_vccz .LBB2776_2
; %bb.1:
	v_mov_b32_e32 v1, s3
	v_add_co_u32_e32 v2, vcc, s2, v22
	v_addc_co_u32_e32 v3, vcc, 0, v1, vcc
	flat_load_dword v1, v[2:3]
	flat_load_dword v4, v[2:3] offset:512
	flat_load_dword v5, v[2:3] offset:1024
	;; [unrolled: 1-line block ×7, first 2 shown]
	v_add_co_u32_e32 v2, vcc, 0x1000, v2
	v_addc_co_u32_e32 v3, vcc, 0, v3, vcc
	flat_load_dword v11, v[2:3]
	flat_load_dword v12, v[2:3] offset:512
	s_mov_b64 s[0:1], 0
	s_waitcnt vmcnt(0) lgkmcnt(0)
	ds_write2st64_b32 v22, v1, v4 offset1:2
	ds_write2st64_b32 v22, v5, v6 offset0:4 offset1:6
	ds_write2st64_b32 v22, v7, v8 offset0:8 offset1:10
	;; [unrolled: 1-line block ×4, first 2 shown]
	s_waitcnt lgkmcnt(0)
	s_barrier
.LBB2776_2:
	s_load_dwordx2 s[24:25], s[4:5], 0x28
	s_andn2_b64 vcc, exec, s[0:1]
	v_cmp_gt_u32_e64 s[0:1], s7, v0
	s_cbranch_vccnz .LBB2776_24
; %bb.3:
	v_pk_mov_b32 v[2:3], s[2:3], s[2:3] op_sel:[0,1]
	flat_load_dword v1, v[2:3]
	s_waitcnt vmcnt(0) lgkmcnt(0)
	v_mov_b32_e32 v2, v1
	v_mov_b32_e32 v3, v1
	v_mov_b32_e32 v4, v1
	v_mov_b32_e32 v5, v1
	v_mov_b32_e32 v6, v1
	v_mov_b32_e32 v7, v1
	v_mov_b32_e32 v8, v1
	v_mov_b32_e32 v9, v1
	v_mov_b32_e32 v10, v1
	s_and_saveexec_b64 s[16:17], s[0:1]
	s_cbranch_execz .LBB2776_5
; %bb.4:
	v_mov_b32_e32 v11, s3
	v_add_co_u32_e32 v10, vcc, s2, v22
	v_addc_co_u32_e32 v11, vcc, 0, v11, vcc
	flat_load_dword v10, v[10:11]
.LBB2776_5:
	s_or_b64 exec, exec, s[16:17]
	v_or_b32_e32 v11, 0x80, v0
	v_cmp_gt_u32_e32 vcc, s7, v11
	s_and_saveexec_b64 s[0:1], vcc
	s_cbranch_execz .LBB2776_7
; %bb.6:
	v_mov_b32_e32 v1, s3
	v_add_co_u32_e32 v12, vcc, s2, v22
	v_addc_co_u32_e32 v13, vcc, 0, v1, vcc
	flat_load_dword v1, v[12:13] offset:512
.LBB2776_7:
	s_or_b64 exec, exec, s[0:1]
	v_or_b32_e32 v11, 0x100, v0
	v_cmp_gt_u32_e32 vcc, s7, v11
	s_and_saveexec_b64 s[0:1], vcc
	s_cbranch_execz .LBB2776_9
; %bb.8:
	v_mov_b32_e32 v2, s3
	v_add_co_u32_e32 v12, vcc, s2, v22
	v_addc_co_u32_e32 v13, vcc, 0, v2, vcc
	flat_load_dword v2, v[12:13] offset:1024
.LBB2776_9:
	;; [unrolled: 11-line block ×7, first 2 shown]
	s_or_b64 exec, exec, s[0:1]
	v_or_b32_e32 v11, 0x400, v0
	v_cmp_gt_u32_e32 vcc, s7, v11
	s_and_saveexec_b64 s[0:1], vcc
	s_cbranch_execz .LBB2776_21
; %bb.20:
	v_lshlrev_b32_e32 v8, 2, v11
	v_mov_b32_e32 v11, s3
	v_add_co_u32_e32 v12, vcc, s2, v8
	v_addc_co_u32_e32 v13, vcc, 0, v11, vcc
	flat_load_dword v8, v[12:13]
.LBB2776_21:
	s_or_b64 exec, exec, s[0:1]
	v_or_b32_e32 v11, 0x480, v0
	v_cmp_gt_u32_e32 vcc, s7, v11
	s_and_saveexec_b64 s[0:1], vcc
	s_cbranch_execz .LBB2776_23
; %bb.22:
	v_lshlrev_b32_e32 v9, 2, v11
	v_mov_b32_e32 v11, s3
	v_add_co_u32_e32 v12, vcc, s2, v9
	v_addc_co_u32_e32 v13, vcc, 0, v11, vcc
	flat_load_dword v9, v[12:13]
.LBB2776_23:
	s_or_b64 exec, exec, s[0:1]
	s_waitcnt vmcnt(0) lgkmcnt(0)
	ds_write2st64_b32 v22, v10, v1 offset1:2
	ds_write2st64_b32 v22, v2, v3 offset0:4 offset1:6
	ds_write2st64_b32 v22, v4, v5 offset0:8 offset1:10
	;; [unrolled: 1-line block ×4, first 2 shown]
	s_waitcnt lgkmcnt(0)
	s_barrier
.LBB2776_24:
	v_mul_u32_u24_e32 v23, 10, v0
	v_lshlrev_b32_e32 v24, 2, v23
	s_waitcnt lgkmcnt(0)
	ds_read2_b64 v[16:19], v24 offset1:1
	ds_read2_b64 v[12:15], v24 offset0:2 offset1:3
	ds_read_b64 v[20:21], v24 offset:32
	s_cmp_lg_u32 s6, 0
	v_cmp_gt_u32_e32 vcc, 64, v0
	s_waitcnt lgkmcnt(2)
	v_max_i32_e32 v1, v16, v17
	v_max3_i32 v25, v1, v18, v19
	v_lshrrev_b32_e32 v1, 5, v0
	s_waitcnt lgkmcnt(0)
	s_barrier
	s_cbranch_scc0 .LBB2776_49
; %bb.25:
	v_max3_i32 v2, v25, v12, v13
	v_max3_i32 v2, v2, v14, v15
	;; [unrolled: 1-line block ×3, first 2 shown]
	v_add_lshl_u32 v2, v1, v0, 2
	ds_write_b32 v2, v26
	s_waitcnt lgkmcnt(0)
	s_barrier
	s_and_saveexec_b64 s[2:3], vcc
	s_cbranch_execz .LBB2776_27
; %bb.26:
	v_lshlrev_b32_e32 v2, 1, v0
	v_lshrrev_b32_e32 v3, 4, v0
	v_add_lshl_u32 v4, v3, v2, 2
	ds_read2_b32 v[2:3], v4 offset1:1
	v_mbcnt_lo_u32_b32 v5, -1, 0
	v_mbcnt_hi_u32_b32 v5, -1, v5
	v_and_b32_e32 v6, 15, v5
	v_cmp_eq_u32_e64 s[0:1], 0, v6
	s_waitcnt lgkmcnt(0)
	v_max_i32_e32 v3, v2, v3
	; wave barrier
	s_nop 1
	v_mov_b32_dpp v7, v3 row_shr:1 row_mask:0xf bank_mask:0xf
	v_max_i32_e32 v7, v7, v3
	v_cndmask_b32_e64 v3, v7, v3, s[0:1]
	v_cmp_lt_u32_e64 s[0:1], 1, v6
	s_nop 0
	v_mov_b32_dpp v7, v3 row_shr:2 row_mask:0xf bank_mask:0xf
	v_max_i32_e32 v7, v7, v3
	v_cndmask_b32_e64 v3, v3, v7, s[0:1]
	v_cmp_lt_u32_e64 s[0:1], 3, v6
	;; [unrolled: 5-line block ×3, first 2 shown]
	s_nop 0
	v_mov_b32_dpp v7, v3 row_shr:8 row_mask:0xf bank_mask:0xf
	v_max_i32_e32 v7, v7, v3
	v_cndmask_b32_e64 v3, v3, v7, s[0:1]
	v_and_b32_e32 v7, 16, v5
	v_cmp_eq_u32_e64 s[0:1], 0, v7
	v_mov_b32_dpp v6, v3 row_bcast:15 row_mask:0xf bank_mask:0xf
	v_max_i32_e32 v6, v6, v3
	v_cndmask_b32_e64 v3, v6, v3, s[0:1]
	v_cmp_lt_u32_e64 s[0:1], 31, v5
	v_and_b32_e32 v7, 64, v5
	v_mov_b32_dpp v6, v3 row_bcast:31 row_mask:0xf bank_mask:0xf
	v_max_i32_e32 v6, v6, v3
	v_cndmask_b32_e64 v3, v3, v6, s[0:1]
	v_add_u32_e32 v6, -1, v5
	v_cmp_lt_i32_e64 s[0:1], v6, v7
	v_cndmask_b32_e64 v5, v6, v5, s[0:1]
	v_lshlrev_b32_e32 v5, 2, v5
	ds_bpermute_b32 v3, v5, v3
	v_cmp_eq_u32_e64 s[0:1], 0, v0
	s_waitcnt lgkmcnt(0)
	v_max_i32_e32 v2, v3, v2
	v_cndmask_b32_e64 v2, v2, v26, s[0:1]
	ds_write_b32 v4, v2
	; wave barrier
	ds_read_b32 v3, v4 offset:4
	s_waitcnt lgkmcnt(0)
	v_max_i32_e32 v2, v2, v3
	ds_write_b32 v4, v2 offset:4
.LBB2776_27:
	s_or_b64 exec, exec, s[2:3]
	v_cmp_eq_u32_e64 s[0:1], 0, v0
	v_cmp_ne_u32_e64 s[2:3], 0, v0
	s_waitcnt lgkmcnt(0)
	s_barrier
	s_and_saveexec_b64 s[16:17], s[2:3]
	s_cbranch_execz .LBB2776_29
; %bb.28:
	v_add_u32_e32 v2, -1, v0
	v_lshrrev_b32_e32 v3, 5, v2
	v_add_lshl_u32 v2, v3, v2, 2
	ds_read_b32 v26, v2
.LBB2776_29:
	s_or_b64 exec, exec, s[16:17]
	s_and_saveexec_b64 s[16:17], vcc
	s_cbranch_execz .LBB2776_48
; %bb.30:
	v_mov_b32_e32 v9, 0
	ds_read_b32 v2, v9 offset:520
	v_mbcnt_lo_u32_b32 v3, -1, 0
	v_mbcnt_hi_u32_b32 v5, -1, v3
	s_mov_b32 s21, 0
	v_cmp_eq_u32_e64 s[2:3], 0, v5
	s_and_saveexec_b64 s[18:19], s[2:3]
	s_cbranch_execz .LBB2776_32
; %bb.31:
	s_add_i32 s20, s6, 64
	s_lshl_b64 s[20:21], s[20:21], 3
	s_add_u32 s20, s24, s20
	v_mov_b32_e32 v3, 1
	s_addc_u32 s21, s25, s21
	s_waitcnt lgkmcnt(0)
	global_store_dwordx2 v9, v[2:3], s[20:21]
.LBB2776_32:
	s_or_b64 exec, exec, s[18:19]
	v_xad_u32 v4, v5, -1, s6
	v_add_u32_e32 v8, 64, v4
	v_lshlrev_b64 v[6:7], 3, v[8:9]
	v_mov_b32_e32 v3, s25
	v_add_co_u32_e32 v10, vcc, s24, v6
	v_addc_co_u32_e32 v11, vcc, v3, v7, vcc
	global_load_dwordx2 v[6:7], v[10:11], off glc
	s_waitcnt vmcnt(0)
	v_cmp_eq_u16_sdwa s[20:21], v7, v9 src0_sel:BYTE_0 src1_sel:DWORD
	s_and_saveexec_b64 s[18:19], s[20:21]
	s_cbranch_execz .LBB2776_36
; %bb.33:
	s_mov_b64 s[20:21], 0
	v_mov_b32_e32 v3, 0
.LBB2776_34:                            ; =>This Inner Loop Header: Depth=1
	global_load_dwordx2 v[6:7], v[10:11], off glc
	s_waitcnt vmcnt(0)
	v_cmp_ne_u16_sdwa s[22:23], v7, v3 src0_sel:BYTE_0 src1_sel:DWORD
	s_or_b64 s[20:21], s[22:23], s[20:21]
	s_andn2_b64 exec, exec, s[20:21]
	s_cbranch_execnz .LBB2776_34
; %bb.35:
	s_or_b64 exec, exec, s[20:21]
.LBB2776_36:
	s_or_b64 exec, exec, s[18:19]
	v_and_b32_e32 v27, 63, v5
	v_cmp_ne_u32_e32 vcc, 63, v27
	v_mov_b32_e32 v3, 2
	v_addc_co_u32_e32 v28, vcc, 0, v5, vcc
	v_cmp_eq_u16_sdwa s[18:19], v7, v3 src0_sel:BYTE_0 src1_sel:DWORD
	v_lshlrev_b64 v[8:9], v5, -1
	v_lshlrev_b32_e32 v28, 2, v28
	v_and_b32_e32 v10, s19, v9
	ds_bpermute_b32 v29, v28, v6
	v_or_b32_e32 v10, 0x80000000, v10
	v_and_b32_e32 v11, s18, v8
	v_ffbl_b32_e32 v10, v10
	v_add_u32_e32 v10, 32, v10
	v_ffbl_b32_e32 v11, v11
	v_min_u32_e32 v10, v11, v10
	s_waitcnt lgkmcnt(0)
	v_max_i32_e32 v11, v29, v6
	v_cmp_lt_u32_e32 vcc, v27, v10
	v_cndmask_b32_e32 v6, v6, v11, vcc
	v_cmp_gt_u32_e32 vcc, 62, v27
	v_cndmask_b32_e64 v11, 0, 1, vcc
	v_lshlrev_b32_e32 v11, 1, v11
	v_add_lshl_u32 v29, v11, v5, 2
	ds_bpermute_b32 v11, v29, v6
	v_add_u32_e32 v30, 2, v27
	v_cmp_gt_u32_e32 vcc, v30, v10
	v_add_u32_e32 v32, 4, v27
	v_add_u32_e32 v34, 8, v27
	s_waitcnt lgkmcnt(0)
	v_max_i32_e32 v11, v11, v6
	v_cndmask_b32_e32 v6, v11, v6, vcc
	v_cmp_gt_u32_e32 vcc, 60, v27
	v_cndmask_b32_e64 v11, 0, 1, vcc
	v_lshlrev_b32_e32 v11, 2, v11
	v_add_lshl_u32 v31, v11, v5, 2
	ds_bpermute_b32 v11, v31, v6
	v_cmp_gt_u32_e32 vcc, v32, v10
	v_add_u32_e32 v37, 16, v27
	v_add_u32_e32 v39, 32, v27
	s_waitcnt lgkmcnt(0)
	v_max_i32_e32 v11, v11, v6
	v_cndmask_b32_e32 v6, v11, v6, vcc
	v_cmp_gt_u32_e32 vcc, 56, v27
	v_cndmask_b32_e64 v11, 0, 1, vcc
	v_lshlrev_b32_e32 v11, 3, v11
	v_add_lshl_u32 v33, v11, v5, 2
	ds_bpermute_b32 v11, v33, v6
	v_cmp_gt_u32_e32 vcc, v34, v10
	s_waitcnt lgkmcnt(0)
	v_max_i32_e32 v11, v11, v6
	v_cndmask_b32_e32 v6, v11, v6, vcc
	v_cmp_gt_u32_e32 vcc, 48, v27
	v_cndmask_b32_e64 v11, 0, 1, vcc
	v_lshlrev_b32_e32 v11, 4, v11
	v_add_lshl_u32 v35, v11, v5, 2
	ds_bpermute_b32 v11, v35, v6
	v_cmp_gt_u32_e32 vcc, v37, v10
	;; [unrolled: 9-line block ×3, first 2 shown]
	s_waitcnt lgkmcnt(0)
	v_max_i32_e32 v5, v5, v6
	v_cndmask_b32_e32 v6, v5, v6, vcc
	v_mov_b32_e32 v5, 0
	s_branch .LBB2776_38
.LBB2776_37:                            ;   in Loop: Header=BB2776_38 Depth=1
	s_or_b64 exec, exec, s[18:19]
	v_cmp_eq_u16_sdwa s[18:19], v7, v3 src0_sel:BYTE_0 src1_sel:DWORD
	v_and_b32_e32 v10, s19, v9
	ds_bpermute_b32 v40, v28, v6
	v_or_b32_e32 v10, 0x80000000, v10
	v_and_b32_e32 v11, s18, v8
	v_ffbl_b32_e32 v10, v10
	v_add_u32_e32 v10, 32, v10
	v_ffbl_b32_e32 v11, v11
	v_min_u32_e32 v10, v11, v10
	s_waitcnt lgkmcnt(0)
	v_max_i32_e32 v11, v40, v6
	v_cmp_lt_u32_e32 vcc, v27, v10
	v_cndmask_b32_e32 v6, v6, v11, vcc
	ds_bpermute_b32 v11, v29, v6
	v_cmp_gt_u32_e32 vcc, v30, v10
	v_subrev_u32_e32 v4, 64, v4
	s_waitcnt lgkmcnt(0)
	v_max_i32_e32 v11, v11, v6
	v_cndmask_b32_e32 v6, v11, v6, vcc
	ds_bpermute_b32 v11, v31, v6
	v_cmp_gt_u32_e32 vcc, v32, v10
	s_waitcnt lgkmcnt(0)
	v_max_i32_e32 v11, v11, v6
	v_cndmask_b32_e32 v6, v11, v6, vcc
	ds_bpermute_b32 v11, v33, v6
	v_cmp_gt_u32_e32 vcc, v34, v10
	;; [unrolled: 5-line block ×4, first 2 shown]
	s_waitcnt lgkmcnt(0)
	v_max_i32_e32 v11, v11, v6
	v_cndmask_b32_e32 v6, v11, v6, vcc
	v_max_i32_e32 v6, v6, v36
.LBB2776_38:                            ; =>This Loop Header: Depth=1
                                        ;     Child Loop BB2776_41 Depth 2
	v_cmp_ne_u16_sdwa s[18:19], v7, v3 src0_sel:BYTE_0 src1_sel:DWORD
	v_cndmask_b32_e64 v7, 0, 1, s[18:19]
	;;#ASMSTART
	;;#ASMEND
	v_cmp_ne_u32_e32 vcc, 0, v7
	s_cmp_lg_u64 vcc, exec
	v_mov_b32_e32 v36, v6
	s_cbranch_scc1 .LBB2776_43
; %bb.39:                               ;   in Loop: Header=BB2776_38 Depth=1
	v_lshlrev_b64 v[6:7], 3, v[4:5]
	v_mov_b32_e32 v11, s25
	v_add_co_u32_e32 v10, vcc, s24, v6
	v_addc_co_u32_e32 v11, vcc, v11, v7, vcc
	global_load_dwordx2 v[6:7], v[10:11], off glc
	s_waitcnt vmcnt(0)
	v_cmp_eq_u16_sdwa s[20:21], v7, v5 src0_sel:BYTE_0 src1_sel:DWORD
	s_and_saveexec_b64 s[18:19], s[20:21]
	s_cbranch_execz .LBB2776_37
; %bb.40:                               ;   in Loop: Header=BB2776_38 Depth=1
	s_mov_b64 s[20:21], 0
.LBB2776_41:                            ;   Parent Loop BB2776_38 Depth=1
                                        ; =>  This Inner Loop Header: Depth=2
	global_load_dwordx2 v[6:7], v[10:11], off glc
	s_waitcnt vmcnt(0)
	v_cmp_ne_u16_sdwa s[22:23], v7, v5 src0_sel:BYTE_0 src1_sel:DWORD
	s_or_b64 s[20:21], s[22:23], s[20:21]
	s_andn2_b64 exec, exec, s[20:21]
	s_cbranch_execnz .LBB2776_41
; %bb.42:                               ;   in Loop: Header=BB2776_38 Depth=1
	s_or_b64 exec, exec, s[20:21]
	s_branch .LBB2776_37
.LBB2776_43:                            ;   in Loop: Header=BB2776_38 Depth=1
                                        ; implicit-def: $vgpr6
                                        ; implicit-def: $vgpr7
	s_cbranch_execz .LBB2776_38
; %bb.44:
	s_and_saveexec_b64 s[18:19], s[2:3]
	s_cbranch_execz .LBB2776_46
; %bb.45:
	s_add_i32 s2, s6, 64
	s_mov_b32 s3, 0
	s_lshl_b64 s[2:3], s[2:3], 3
	s_add_u32 s2, s24, s2
	v_max_i32_e32 v2, v36, v2
	v_mov_b32_e32 v3, 2
	s_addc_u32 s3, s25, s3
	v_mov_b32_e32 v4, 0
	global_store_dwordx2 v4, v[2:3], s[2:3]
.LBB2776_46:
	s_or_b64 exec, exec, s[18:19]
	s_and_b64 exec, exec, s[0:1]
	s_cbranch_execz .LBB2776_48
; %bb.47:
	v_mov_b32_e32 v2, 0
	ds_write_b32 v2, v36
.LBB2776_48:
	s_or_b64 exec, exec, s[16:17]
	v_mov_b32_e32 v2, 0
	s_waitcnt lgkmcnt(0)
	s_barrier
	ds_read_b32 v2, v2
	s_waitcnt lgkmcnt(0)
	v_max_i32_e32 v3, v2, v26
	v_cndmask_b32_e64 v2, v3, v2, s[0:1]
	v_max_i32_e32 v3, v2, v16
	v_max_i32_e32 v4, v3, v17
	v_max_i32_e32 v5, v4, v18
	v_max_i32_e32 v6, v5, v19
	v_max_i32_e32 v7, v6, v12
	v_max_i32_e32 v8, v7, v13
	v_max_i32_e32 v9, v8, v14
	v_max_i32_e32 v10, v9, v15
	v_max_i32_e32 v11, v10, v20
	s_load_dwordx8 s[16:23], s[4:5], 0x38
	s_branch .LBB2776_59
.LBB2776_49:
                                        ; implicit-def: $vgpr2_vgpr3_vgpr4_vgpr5_vgpr6_vgpr7_vgpr8_vgpr9_vgpr10_vgpr11
	s_load_dwordx8 s[16:23], s[4:5], 0x38
	s_cbranch_execz .LBB2776_59
; %bb.50:
	s_load_dword s0, s[4:5], 0x20
	s_waitcnt lgkmcnt(0)
	s_cmp_eq_u64 s[20:21], 0
	v_mov_b32_e32 v26, s0
	s_cbranch_scc1 .LBB2776_52
; %bb.51:
	v_mov_b32_e32 v2, 0
	global_load_dword v4, v2, s[16:17]
	v_mov_b32_e32 v3, s28
	v_add_co_u32_e64 v2, vcc, -4, s27
	v_addc_co_u32_e32 v3, vcc, -1, v3, vcc
	flat_load_dword v2, v[2:3]
	s_waitcnt vmcnt(0) lgkmcnt(0)
	v_max_i32_e32 v26, v4, v2
.LBB2776_52:
	v_max3_i32 v2, v25, v12, v13
	v_max3_i32 v2, v2, v14, v15
	;; [unrolled: 1-line block ×3, first 2 shown]
	v_add_lshl_u32 v1, v1, v0, 2
	v_cmp_gt_u32_e32 vcc, 64, v0
	ds_write_b32 v1, v2
	s_waitcnt lgkmcnt(0)
	s_barrier
	s_and_saveexec_b64 s[0:1], vcc
	s_cbranch_execz .LBB2776_54
; %bb.53:
	v_lshlrev_b32_e32 v1, 1, v0
	v_lshrrev_b32_e32 v3, 4, v0
	v_add_lshl_u32 v1, v3, v1, 2
	ds_read2_b32 v[4:5], v1 offset1:1
	v_mbcnt_lo_u32_b32 v3, -1, 0
	v_mbcnt_hi_u32_b32 v3, -1, v3
	v_and_b32_e32 v6, 15, v3
	v_cmp_eq_u32_e32 vcc, 0, v6
	s_waitcnt lgkmcnt(0)
	v_max_i32_e32 v5, v4, v5
	; wave barrier
	s_nop 1
	v_mov_b32_dpp v7, v5 row_shr:1 row_mask:0xf bank_mask:0xf
	v_max_i32_e32 v7, v7, v5
	v_cndmask_b32_e32 v5, v7, v5, vcc
	v_cmp_lt_u32_e32 vcc, 1, v6
	s_nop 0
	v_mov_b32_dpp v7, v5 row_shr:2 row_mask:0xf bank_mask:0xf
	v_max_i32_e32 v7, v7, v5
	v_cndmask_b32_e32 v5, v5, v7, vcc
	v_cmp_lt_u32_e32 vcc, 3, v6
	;; [unrolled: 5-line block ×3, first 2 shown]
	s_nop 0
	v_mov_b32_dpp v7, v5 row_shr:8 row_mask:0xf bank_mask:0xf
	v_max_i32_e32 v7, v7, v5
	v_cndmask_b32_e32 v5, v5, v7, vcc
	v_and_b32_e32 v7, 16, v3
	v_cmp_eq_u32_e32 vcc, 0, v7
	v_mov_b32_dpp v6, v5 row_bcast:15 row_mask:0xf bank_mask:0xf
	v_max_i32_e32 v6, v6, v5
	v_cndmask_b32_e32 v5, v6, v5, vcc
	v_cmp_lt_u32_e32 vcc, 31, v3
	v_and_b32_e32 v7, 64, v3
	v_mov_b32_dpp v6, v5 row_bcast:31 row_mask:0xf bank_mask:0xf
	v_max_i32_e32 v6, v6, v5
	v_cndmask_b32_e32 v5, v5, v6, vcc
	v_add_u32_e32 v6, -1, v3
	v_cmp_lt_i32_e32 vcc, v6, v7
	v_cndmask_b32_e32 v3, v6, v3, vcc
	v_lshlrev_b32_e32 v3, 2, v3
	ds_bpermute_b32 v3, v3, v5
	v_cmp_eq_u32_e32 vcc, 0, v0
	s_waitcnt lgkmcnt(0)
	v_max_i32_e32 v3, v3, v4
	v_cndmask_b32_e32 v2, v3, v2, vcc
	ds_write_b32 v1, v2
	; wave barrier
	ds_read_b32 v3, v1 offset:4
	s_waitcnt lgkmcnt(0)
	v_max_i32_e32 v2, v2, v3
	ds_write_b32 v1, v2 offset:4
.LBB2776_54:
	s_or_b64 exec, exec, s[0:1]
	v_cmp_eq_u32_e32 vcc, 0, v0
	v_cmp_ne_u32_e64 s[0:1], 0, v0
	v_mov_b32_e32 v2, v26
	s_waitcnt lgkmcnt(0)
	s_barrier
	s_and_saveexec_b64 s[2:3], s[0:1]
	s_cbranch_execz .LBB2776_56
; %bb.55:
	v_add_u32_e32 v1, -1, v0
	v_lshrrev_b32_e32 v2, 5, v1
	v_add_lshl_u32 v1, v2, v1, 2
	ds_read_b32 v1, v1
	s_waitcnt lgkmcnt(0)
	v_max_i32_e32 v2, v26, v1
.LBB2776_56:
	s_or_b64 exec, exec, s[2:3]
	v_max_i32_e32 v3, v2, v16
	v_max_i32_e32 v4, v3, v17
	;; [unrolled: 1-line block ×9, first 2 shown]
	s_and_saveexec_b64 s[0:1], vcc
	s_cbranch_execz .LBB2776_58
; %bb.57:
	v_mov_b32_e32 v1, 0
	ds_read_b32 v12, v1 offset:520
	v_mov_b32_e32 v13, 2
	s_waitcnt lgkmcnt(0)
	v_max_i32_e32 v12, v26, v12
	global_store_dwordx2 v1, v[12:13], s[24:25] offset:512
.LBB2776_58:
	s_or_b64 exec, exec, s[0:1]
.LBB2776_59:
	s_add_u32 s0, s12, s10
	s_addc_u32 s1, s13, s11
	s_add_u32 s2, s0, s14
	s_addc_u32 s3, s1, s15
	s_mov_b64 s[0:1], -1
	s_and_b64 vcc, exec, s[8:9]
	s_waitcnt lgkmcnt(0)
	s_barrier
	s_cbranch_vccz .LBB2776_61
; %bb.60:
	ds_write2_b64 v24, v[2:3], v[4:5] offset1:1
	ds_write2_b64 v24, v[6:7], v[8:9] offset0:2 offset1:3
	ds_write_b64 v24, v[10:11] offset:32
	s_waitcnt lgkmcnt(0)
	s_barrier
	ds_read2st64_b32 v[12:13], v22 offset1:2
	ds_read2st64_b32 v[14:15], v22 offset0:4 offset1:6
	ds_read2st64_b32 v[16:17], v22 offset0:8 offset1:10
	;; [unrolled: 1-line block ×4, first 2 shown]
	v_mov_b32_e32 v1, s3
	v_add_co_u32_e32 v26, vcc, s2, v22
	v_addc_co_u32_e32 v27, vcc, 0, v1, vcc
	s_waitcnt lgkmcnt(4)
	flat_store_dword v[26:27], v12
	flat_store_dword v[26:27], v13 offset:512
	s_waitcnt lgkmcnt(0)
	flat_store_dword v[26:27], v14 offset:1024
	flat_store_dword v[26:27], v15 offset:1536
	;; [unrolled: 1-line block ×6, first 2 shown]
	v_add_co_u32_e32 v12, vcc, 0x1000, v26
	v_addc_co_u32_e32 v13, vcc, 0, v27, vcc
	flat_store_dword v[12:13], v20
	flat_store_dword v[12:13], v21 offset:512
	s_mov_b64 s[0:1], 0
.LBB2776_61:
	s_andn2_b64 vcc, exec, s[0:1]
	s_cbranch_vccnz .LBB2776_117
; %bb.62:
	s_movk_i32 s0, 0xffdc
	ds_write2_b64 v24, v[2:3], v[4:5] offset1:1
	ds_write2_b64 v24, v[6:7], v[8:9] offset0:2 offset1:3
	ds_write_b64 v24, v[10:11] offset:32
	v_mad_i32_i24 v10, v0, s0, v24
	s_waitcnt lgkmcnt(0)
	s_barrier
	ds_read2st64_b32 v[2:3], v10 offset1:2
	ds_read2st64_b32 v[6:7], v10 offset0:4 offset1:6
	ds_read2st64_b32 v[4:5], v10 offset0:8 offset1:10
	;; [unrolled: 1-line block ×4, first 2 shown]
	v_mov_b32_e32 v13, s3
	v_add_co_u32_e32 v12, vcc, s2, v22
	v_addc_co_u32_e32 v13, vcc, 0, v13, vcc
	v_mov_b32_e32 v1, 0
	v_cmp_gt_u32_e32 vcc, s7, v0
	s_and_saveexec_b64 s[0:1], vcc
	s_cbranch_execz .LBB2776_64
; %bb.63:
	s_waitcnt lgkmcnt(0)
	flat_store_dword v[12:13], v2
.LBB2776_64:
	s_or_b64 exec, exec, s[0:1]
	v_or_b32_e32 v14, 0x80, v0
	v_cmp_gt_u32_e32 vcc, s7, v14
	s_and_saveexec_b64 s[0:1], vcc
	s_cbranch_execz .LBB2776_66
; %bb.65:
	s_waitcnt lgkmcnt(0)
	flat_store_dword v[12:13], v3 offset:512
.LBB2776_66:
	s_or_b64 exec, exec, s[0:1]
	v_or_b32_e32 v14, 0x100, v0
	v_cmp_gt_u32_e32 vcc, s7, v14
	s_and_saveexec_b64 s[0:1], vcc
	s_cbranch_execz .LBB2776_68
; %bb.67:
	s_waitcnt lgkmcnt(0)
	flat_store_dword v[12:13], v6 offset:1024
.LBB2776_68:
	s_or_b64 exec, exec, s[0:1]
	v_or_b32_e32 v14, 0x180, v0
	v_cmp_gt_u32_e32 vcc, s7, v14
	s_and_saveexec_b64 s[0:1], vcc
	s_cbranch_execz .LBB2776_70
; %bb.69:
	s_waitcnt lgkmcnt(0)
	flat_store_dword v[12:13], v7 offset:1536
.LBB2776_70:
	s_or_b64 exec, exec, s[0:1]
	v_or_b32_e32 v14, 0x200, v0
	v_cmp_gt_u32_e32 vcc, s7, v14
	s_and_saveexec_b64 s[0:1], vcc
	s_cbranch_execz .LBB2776_72
; %bb.71:
	s_waitcnt lgkmcnt(0)
	flat_store_dword v[12:13], v4 offset:2048
.LBB2776_72:
	s_or_b64 exec, exec, s[0:1]
	v_or_b32_e32 v14, 0x280, v0
	v_cmp_gt_u32_e32 vcc, s7, v14
	s_and_saveexec_b64 s[0:1], vcc
	s_cbranch_execz .LBB2776_74
; %bb.73:
	s_waitcnt lgkmcnt(0)
	flat_store_dword v[12:13], v5 offset:2560
.LBB2776_74:
	s_or_b64 exec, exec, s[0:1]
	v_or_b32_e32 v14, 0x300, v0
	v_cmp_gt_u32_e32 vcc, s7, v14
	s_and_saveexec_b64 s[0:1], vcc
	s_cbranch_execz .LBB2776_76
; %bb.75:
	s_waitcnt lgkmcnt(0)
	flat_store_dword v[12:13], v8 offset:3072
.LBB2776_76:
	s_or_b64 exec, exec, s[0:1]
	v_or_b32_e32 v14, 0x380, v0
	v_cmp_gt_u32_e32 vcc, s7, v14
	s_and_saveexec_b64 s[0:1], vcc
	s_cbranch_execz .LBB2776_78
; %bb.77:
	s_waitcnt lgkmcnt(0)
	flat_store_dword v[12:13], v9 offset:3584
.LBB2776_78:
	s_or_b64 exec, exec, s[0:1]
	v_or_b32_e32 v14, 0x400, v0
	v_cmp_gt_u32_e32 vcc, s7, v14
	s_and_saveexec_b64 s[0:1], vcc
	s_cbranch_execz .LBB2776_80
; %bb.79:
	v_add_co_u32_e32 v14, vcc, 0x1000, v12
	v_addc_co_u32_e32 v15, vcc, 0, v13, vcc
	s_waitcnt lgkmcnt(0)
	flat_store_dword v[14:15], v10
.LBB2776_80:
	s_or_b64 exec, exec, s[0:1]
	v_or_b32_e32 v14, 0x480, v0
	v_cmp_gt_u32_e32 vcc, s7, v14
	s_and_saveexec_b64 s[0:1], vcc
	s_cbranch_execz .LBB2776_82
; %bb.81:
	v_add_co_u32_e32 v12, vcc, 0x1000, v12
	v_addc_co_u32_e32 v13, vcc, 0, v13, vcc
	s_waitcnt lgkmcnt(0)
	flat_store_dword v[12:13], v11 offset:512
.LBB2776_82:
	s_or_b64 exec, exec, s[0:1]
	v_cmp_lt_u64_e64 s[0:1], s[22:23], 2
	s_and_b64 vcc, exec, s[0:1]
	s_cbranch_vccnz .LBB2776_117
; %bb.83:
	s_add_u32 s0, s7, -1
	s_addc_u32 s1, s26, -1
	s_add_u32 s2, 0, 0x99986000
	s_addc_u32 s3, 0, 0x59
	s_add_i32 s3, s3, 0x19999940
	s_mul_hi_u32 s7, s2, -10
	s_sub_i32 s7, s7, s2
	s_mul_i32 s8, s3, -10
	s_mul_i32 s4, s2, -10
	s_add_i32 s7, s7, s8
	s_mul_hi_u32 s5, s3, s4
	s_mul_i32 s6, s3, s4
	s_mul_i32 s9, s2, s7
	s_mul_hi_u32 s4, s2, s4
	s_mul_hi_u32 s8, s2, s7
	s_add_u32 s4, s4, s9
	s_addc_u32 s8, 0, s8
	s_add_u32 s4, s4, s6
	s_mul_hi_u32 s9, s3, s7
	s_addc_u32 s4, s8, s5
	s_addc_u32 s5, s9, 0
	s_mul_i32 s6, s3, s7
	s_add_u32 s4, s4, s6
	v_mov_b32_e32 v12, s4
	s_addc_u32 s5, 0, s5
	v_add_co_u32_e32 v12, vcc, s2, v12
	s_cmp_lg_u64 vcc, 0
	s_addc_u32 s2, s3, s5
	v_readfirstlane_b32 s5, v12
	s_mul_i32 s4, s0, s2
	s_mul_hi_u32 s6, s0, s5
	s_mul_hi_u32 s3, s0, s2
	s_add_u32 s4, s6, s4
	s_addc_u32 s3, 0, s3
	s_mul_hi_u32 s7, s1, s5
	s_mul_i32 s5, s1, s5
	s_add_u32 s4, s4, s5
	s_mul_hi_u32 s6, s1, s2
	s_addc_u32 s3, s3, s7
	s_addc_u32 s4, s6, 0
	s_mul_i32 s2, s1, s2
	s_add_u32 s2, s3, s2
	s_addc_u32 s3, 0, s4
	s_add_u32 s4, s2, 1
	s_addc_u32 s5, s3, 0
	s_add_u32 s6, s2, 2
	s_mul_i32 s8, s3, 10
	s_mul_hi_u32 s9, s2, 10
	s_addc_u32 s7, s3, 0
	s_add_i32 s9, s9, s8
	s_mul_i32 s8, s2, 10
	v_mov_b32_e32 v12, s8
	v_sub_co_u32_e32 v12, vcc, s0, v12
	s_cmp_lg_u64 vcc, 0
	s_subb_u32 s8, s1, s9
	v_subrev_co_u32_e32 v13, vcc, 10, v12
	s_cmp_lg_u64 vcc, 0
	s_subb_u32 s9, s8, 0
	v_readfirstlane_b32 s10, v13
	s_cmp_gt_u32 s10, 9
	s_cselect_b32 s10, -1, 0
	s_cmp_eq_u32 s9, 0
	s_cselect_b32 s9, s10, -1
	s_cmp_lg_u32 s9, 0
	s_cselect_b32 s4, s6, s4
	v_readfirstlane_b32 s6, v12
	s_cselect_b32 s5, s7, s5
	s_cmp_gt_u32 s6, 9
	s_cselect_b32 s6, -1, 0
	s_cmp_eq_u32 s8, 0
	s_cselect_b32 s6, s6, -1
	s_cmp_lg_u32 s6, 0
	s_cselect_b32 s3, s5, s3
	s_cselect_b32 s2, s4, s2
	v_cmp_eq_u64_e32 vcc, s[2:3], v[0:1]
	s_and_saveexec_b64 s[2:3], vcc
	s_cbranch_execz .LBB2776_117
; %bb.84:
	v_mul_hi_u32_u24_e32 v1, 10, v0
	v_mov_b32_e32 v12, s1
	v_sub_co_u32_e32 v0, vcc, s0, v23
	v_subb_co_u32_e32 v1, vcc, v12, v1, vcc
	v_cmp_lt_i64_e32 vcc, 4, v[0:1]
	s_and_saveexec_b64 s[0:1], vcc
	s_xor_b64 s[0:1], exec, s[0:1]
	s_cbranch_execz .LBB2776_102
; %bb.85:
	v_cmp_lt_i64_e32 vcc, 6, v[0:1]
	s_and_saveexec_b64 s[2:3], vcc
	s_xor_b64 s[2:3], exec, s[2:3]
	s_cbranch_execz .LBB2776_95
; %bb.86:
	;; [unrolled: 5-line block ×4, first 2 shown]
	v_mov_b32_e32 v0, 0
	s_waitcnt lgkmcnt(0)
	global_store_dword v0, v11, s[18:19]
                                        ; implicit-def: $vgpr10_vgpr11
.LBB2776_89:
	s_andn2_saveexec_b64 s[6:7], s[6:7]
	s_cbranch_execz .LBB2776_91
; %bb.90:
	v_mov_b32_e32 v0, 0
	s_waitcnt lgkmcnt(0)
	global_store_dword v0, v10, s[18:19]
.LBB2776_91:
	s_or_b64 exec, exec, s[6:7]
                                        ; implicit-def: $vgpr8_vgpr9
.LBB2776_92:
	s_andn2_saveexec_b64 s[4:5], s[4:5]
	s_cbranch_execz .LBB2776_94
; %bb.93:
	v_mov_b32_e32 v0, 0
	s_waitcnt lgkmcnt(0)
	global_store_dword v0, v9, s[18:19]
.LBB2776_94:
	s_or_b64 exec, exec, s[4:5]
                                        ; implicit-def: $vgpr4_vgpr5
                                        ; implicit-def: $vgpr0_vgpr1
                                        ; implicit-def: $vgpr8_vgpr9
.LBB2776_95:
	s_andn2_saveexec_b64 s[2:3], s[2:3]
	s_cbranch_execz .LBB2776_101
; %bb.96:
	v_cmp_lt_i64_e32 vcc, 5, v[0:1]
	s_and_saveexec_b64 s[4:5], vcc
	s_xor_b64 s[4:5], exec, s[4:5]
	s_cbranch_execz .LBB2776_98
; %bb.97:
	v_mov_b32_e32 v0, 0
	s_waitcnt lgkmcnt(0)
	global_store_dword v0, v8, s[18:19]
                                        ; implicit-def: $vgpr4_vgpr5
.LBB2776_98:
	s_andn2_saveexec_b64 s[4:5], s[4:5]
	s_cbranch_execz .LBB2776_100
; %bb.99:
	v_mov_b32_e32 v0, 0
	s_waitcnt lgkmcnt(0)
	global_store_dword v0, v5, s[18:19]
.LBB2776_100:
	s_or_b64 exec, exec, s[4:5]
.LBB2776_101:
	s_or_b64 exec, exec, s[2:3]
                                        ; implicit-def: $vgpr0_vgpr1
                                        ; implicit-def: $vgpr6_vgpr7
                                        ; implicit-def: $vgpr2_vgpr3
                                        ; implicit-def: $vgpr4_vgpr5
.LBB2776_102:
	s_andn2_saveexec_b64 s[0:1], s[0:1]
	s_cbranch_execz .LBB2776_117
; %bb.103:
	v_cmp_lt_i64_e32 vcc, 2, v[0:1]
	s_and_saveexec_b64 s[0:1], vcc
	s_xor_b64 s[0:1], exec, s[0:1]
	s_cbranch_execz .LBB2776_109
; %bb.104:
	v_cmp_lt_i64_e32 vcc, 3, v[0:1]
	s_and_saveexec_b64 s[2:3], vcc
	s_xor_b64 s[2:3], exec, s[2:3]
	s_cbranch_execz .LBB2776_106
; %bb.105:
	v_mov_b32_e32 v0, 0
	s_waitcnt lgkmcnt(0)
	global_store_dword v0, v4, s[18:19]
                                        ; implicit-def: $vgpr6_vgpr7
.LBB2776_106:
	s_andn2_saveexec_b64 s[2:3], s[2:3]
	s_cbranch_execz .LBB2776_108
; %bb.107:
	v_mov_b32_e32 v0, 0
	s_waitcnt lgkmcnt(0)
	global_store_dword v0, v7, s[18:19]
.LBB2776_108:
	s_or_b64 exec, exec, s[2:3]
                                        ; implicit-def: $vgpr0_vgpr1
                                        ; implicit-def: $vgpr6_vgpr7
                                        ; implicit-def: $vgpr2_vgpr3
.LBB2776_109:
	s_andn2_saveexec_b64 s[0:1], s[0:1]
	s_cbranch_execz .LBB2776_117
; %bb.110:
	v_cmp_lt_i64_e32 vcc, 1, v[0:1]
	s_and_saveexec_b64 s[0:1], vcc
	s_xor_b64 s[0:1], exec, s[0:1]
	s_cbranch_execz .LBB2776_112
; %bb.111:
	v_mov_b32_e32 v0, 0
	s_waitcnt lgkmcnt(0)
	global_store_dword v0, v6, s[18:19]
                                        ; implicit-def: $vgpr2_vgpr3
                                        ; implicit-def: $vgpr0_vgpr1
.LBB2776_112:
	s_andn2_saveexec_b64 s[0:1], s[0:1]
	s_cbranch_execz .LBB2776_117
; %bb.113:
	v_cmp_ne_u64_e32 vcc, 1, v[0:1]
	s_and_saveexec_b64 s[0:1], vcc
	s_xor_b64 s[0:1], exec, s[0:1]
	s_cbranch_execz .LBB2776_115
; %bb.114:
	v_mov_b32_e32 v0, 0
	s_waitcnt lgkmcnt(0)
	global_store_dword v0, v2, s[18:19]
                                        ; implicit-def: $vgpr2_vgpr3
.LBB2776_115:
	s_andn2_saveexec_b64 s[0:1], s[0:1]
	s_cbranch_execz .LBB2776_117
; %bb.116:
	v_mov_b32_e32 v0, 0
	s_waitcnt lgkmcnt(0)
	global_store_dword v0, v3, s[18:19]
.LBB2776_117:
	s_endpgm
	.section	.rodata,"a",@progbits
	.p2align	6, 0x0
	.amdhsa_kernel _ZN7rocprim17ROCPRIM_400000_NS6detail17trampoline_kernelINS0_14default_configENS1_20scan_config_selectorIiEEZZNS1_9scan_implILNS1_25lookback_scan_determinismE0ELb1ELb1ES3_N6thrust23THRUST_200600_302600_NS6detail15normal_iteratorINS9_10device_ptrIiEEEESE_i11max_functorIiEiEEDaPvRmT3_T4_T5_mT6_P12ihipStream_tbENKUlT_T0_E_clISt17integral_constantIbLb0EESU_EEDaSP_SQ_EUlSP_E_NS1_11comp_targetILNS1_3genE4ELNS1_11target_archE910ELNS1_3gpuE8ELNS1_3repE0EEENS1_30default_config_static_selectorELNS0_4arch9wavefront6targetE1EEEvT1_
		.amdhsa_group_segment_fixed_size 5120
		.amdhsa_private_segment_fixed_size 0
		.amdhsa_kernarg_size 96
		.amdhsa_user_sgpr_count 6
		.amdhsa_user_sgpr_private_segment_buffer 1
		.amdhsa_user_sgpr_dispatch_ptr 0
		.amdhsa_user_sgpr_queue_ptr 0
		.amdhsa_user_sgpr_kernarg_segment_ptr 1
		.amdhsa_user_sgpr_dispatch_id 0
		.amdhsa_user_sgpr_flat_scratch_init 0
		.amdhsa_user_sgpr_kernarg_preload_length 0
		.amdhsa_user_sgpr_kernarg_preload_offset 0
		.amdhsa_user_sgpr_private_segment_size 0
		.amdhsa_uses_dynamic_stack 0
		.amdhsa_system_sgpr_private_segment_wavefront_offset 0
		.amdhsa_system_sgpr_workgroup_id_x 1
		.amdhsa_system_sgpr_workgroup_id_y 0
		.amdhsa_system_sgpr_workgroup_id_z 0
		.amdhsa_system_sgpr_workgroup_info 0
		.amdhsa_system_vgpr_workitem_id 0
		.amdhsa_next_free_vgpr 41
		.amdhsa_next_free_sgpr 29
		.amdhsa_accum_offset 44
		.amdhsa_reserve_vcc 1
		.amdhsa_reserve_flat_scratch 0
		.amdhsa_float_round_mode_32 0
		.amdhsa_float_round_mode_16_64 0
		.amdhsa_float_denorm_mode_32 3
		.amdhsa_float_denorm_mode_16_64 3
		.amdhsa_dx10_clamp 1
		.amdhsa_ieee_mode 1
		.amdhsa_fp16_overflow 0
		.amdhsa_tg_split 0
		.amdhsa_exception_fp_ieee_invalid_op 0
		.amdhsa_exception_fp_denorm_src 0
		.amdhsa_exception_fp_ieee_div_zero 0
		.amdhsa_exception_fp_ieee_overflow 0
		.amdhsa_exception_fp_ieee_underflow 0
		.amdhsa_exception_fp_ieee_inexact 0
		.amdhsa_exception_int_div_zero 0
	.end_amdhsa_kernel
	.section	.text._ZN7rocprim17ROCPRIM_400000_NS6detail17trampoline_kernelINS0_14default_configENS1_20scan_config_selectorIiEEZZNS1_9scan_implILNS1_25lookback_scan_determinismE0ELb1ELb1ES3_N6thrust23THRUST_200600_302600_NS6detail15normal_iteratorINS9_10device_ptrIiEEEESE_i11max_functorIiEiEEDaPvRmT3_T4_T5_mT6_P12ihipStream_tbENKUlT_T0_E_clISt17integral_constantIbLb0EESU_EEDaSP_SQ_EUlSP_E_NS1_11comp_targetILNS1_3genE4ELNS1_11target_archE910ELNS1_3gpuE8ELNS1_3repE0EEENS1_30default_config_static_selectorELNS0_4arch9wavefront6targetE1EEEvT1_,"axG",@progbits,_ZN7rocprim17ROCPRIM_400000_NS6detail17trampoline_kernelINS0_14default_configENS1_20scan_config_selectorIiEEZZNS1_9scan_implILNS1_25lookback_scan_determinismE0ELb1ELb1ES3_N6thrust23THRUST_200600_302600_NS6detail15normal_iteratorINS9_10device_ptrIiEEEESE_i11max_functorIiEiEEDaPvRmT3_T4_T5_mT6_P12ihipStream_tbENKUlT_T0_E_clISt17integral_constantIbLb0EESU_EEDaSP_SQ_EUlSP_E_NS1_11comp_targetILNS1_3genE4ELNS1_11target_archE910ELNS1_3gpuE8ELNS1_3repE0EEENS1_30default_config_static_selectorELNS0_4arch9wavefront6targetE1EEEvT1_,comdat
.Lfunc_end2776:
	.size	_ZN7rocprim17ROCPRIM_400000_NS6detail17trampoline_kernelINS0_14default_configENS1_20scan_config_selectorIiEEZZNS1_9scan_implILNS1_25lookback_scan_determinismE0ELb1ELb1ES3_N6thrust23THRUST_200600_302600_NS6detail15normal_iteratorINS9_10device_ptrIiEEEESE_i11max_functorIiEiEEDaPvRmT3_T4_T5_mT6_P12ihipStream_tbENKUlT_T0_E_clISt17integral_constantIbLb0EESU_EEDaSP_SQ_EUlSP_E_NS1_11comp_targetILNS1_3genE4ELNS1_11target_archE910ELNS1_3gpuE8ELNS1_3repE0EEENS1_30default_config_static_selectorELNS0_4arch9wavefront6targetE1EEEvT1_, .Lfunc_end2776-_ZN7rocprim17ROCPRIM_400000_NS6detail17trampoline_kernelINS0_14default_configENS1_20scan_config_selectorIiEEZZNS1_9scan_implILNS1_25lookback_scan_determinismE0ELb1ELb1ES3_N6thrust23THRUST_200600_302600_NS6detail15normal_iteratorINS9_10device_ptrIiEEEESE_i11max_functorIiEiEEDaPvRmT3_T4_T5_mT6_P12ihipStream_tbENKUlT_T0_E_clISt17integral_constantIbLb0EESU_EEDaSP_SQ_EUlSP_E_NS1_11comp_targetILNS1_3genE4ELNS1_11target_archE910ELNS1_3gpuE8ELNS1_3repE0EEENS1_30default_config_static_selectorELNS0_4arch9wavefront6targetE1EEEvT1_
                                        ; -- End function
	.section	.AMDGPU.csdata,"",@progbits
; Kernel info:
; codeLenInByte = 4420
; NumSgprs: 33
; NumVgprs: 41
; NumAgprs: 0
; TotalNumVgprs: 41
; ScratchSize: 0
; MemoryBound: 0
; FloatMode: 240
; IeeeMode: 1
; LDSByteSize: 5120 bytes/workgroup (compile time only)
; SGPRBlocks: 4
; VGPRBlocks: 5
; NumSGPRsForWavesPerEU: 33
; NumVGPRsForWavesPerEU: 41
; AccumOffset: 44
; Occupancy: 6
; WaveLimiterHint : 1
; COMPUTE_PGM_RSRC2:SCRATCH_EN: 0
; COMPUTE_PGM_RSRC2:USER_SGPR: 6
; COMPUTE_PGM_RSRC2:TRAP_HANDLER: 0
; COMPUTE_PGM_RSRC2:TGID_X_EN: 1
; COMPUTE_PGM_RSRC2:TGID_Y_EN: 0
; COMPUTE_PGM_RSRC2:TGID_Z_EN: 0
; COMPUTE_PGM_RSRC2:TIDIG_COMP_CNT: 0
; COMPUTE_PGM_RSRC3_GFX90A:ACCUM_OFFSET: 10
; COMPUTE_PGM_RSRC3_GFX90A:TG_SPLIT: 0
	.section	.text._ZN7rocprim17ROCPRIM_400000_NS6detail17trampoline_kernelINS0_14default_configENS1_20scan_config_selectorIiEEZZNS1_9scan_implILNS1_25lookback_scan_determinismE0ELb1ELb1ES3_N6thrust23THRUST_200600_302600_NS6detail15normal_iteratorINS9_10device_ptrIiEEEESE_i11max_functorIiEiEEDaPvRmT3_T4_T5_mT6_P12ihipStream_tbENKUlT_T0_E_clISt17integral_constantIbLb0EESU_EEDaSP_SQ_EUlSP_E_NS1_11comp_targetILNS1_3genE3ELNS1_11target_archE908ELNS1_3gpuE7ELNS1_3repE0EEENS1_30default_config_static_selectorELNS0_4arch9wavefront6targetE1EEEvT1_,"axG",@progbits,_ZN7rocprim17ROCPRIM_400000_NS6detail17trampoline_kernelINS0_14default_configENS1_20scan_config_selectorIiEEZZNS1_9scan_implILNS1_25lookback_scan_determinismE0ELb1ELb1ES3_N6thrust23THRUST_200600_302600_NS6detail15normal_iteratorINS9_10device_ptrIiEEEESE_i11max_functorIiEiEEDaPvRmT3_T4_T5_mT6_P12ihipStream_tbENKUlT_T0_E_clISt17integral_constantIbLb0EESU_EEDaSP_SQ_EUlSP_E_NS1_11comp_targetILNS1_3genE3ELNS1_11target_archE908ELNS1_3gpuE7ELNS1_3repE0EEENS1_30default_config_static_selectorELNS0_4arch9wavefront6targetE1EEEvT1_,comdat
	.protected	_ZN7rocprim17ROCPRIM_400000_NS6detail17trampoline_kernelINS0_14default_configENS1_20scan_config_selectorIiEEZZNS1_9scan_implILNS1_25lookback_scan_determinismE0ELb1ELb1ES3_N6thrust23THRUST_200600_302600_NS6detail15normal_iteratorINS9_10device_ptrIiEEEESE_i11max_functorIiEiEEDaPvRmT3_T4_T5_mT6_P12ihipStream_tbENKUlT_T0_E_clISt17integral_constantIbLb0EESU_EEDaSP_SQ_EUlSP_E_NS1_11comp_targetILNS1_3genE3ELNS1_11target_archE908ELNS1_3gpuE7ELNS1_3repE0EEENS1_30default_config_static_selectorELNS0_4arch9wavefront6targetE1EEEvT1_ ; -- Begin function _ZN7rocprim17ROCPRIM_400000_NS6detail17trampoline_kernelINS0_14default_configENS1_20scan_config_selectorIiEEZZNS1_9scan_implILNS1_25lookback_scan_determinismE0ELb1ELb1ES3_N6thrust23THRUST_200600_302600_NS6detail15normal_iteratorINS9_10device_ptrIiEEEESE_i11max_functorIiEiEEDaPvRmT3_T4_T5_mT6_P12ihipStream_tbENKUlT_T0_E_clISt17integral_constantIbLb0EESU_EEDaSP_SQ_EUlSP_E_NS1_11comp_targetILNS1_3genE3ELNS1_11target_archE908ELNS1_3gpuE7ELNS1_3repE0EEENS1_30default_config_static_selectorELNS0_4arch9wavefront6targetE1EEEvT1_
	.globl	_ZN7rocprim17ROCPRIM_400000_NS6detail17trampoline_kernelINS0_14default_configENS1_20scan_config_selectorIiEEZZNS1_9scan_implILNS1_25lookback_scan_determinismE0ELb1ELb1ES3_N6thrust23THRUST_200600_302600_NS6detail15normal_iteratorINS9_10device_ptrIiEEEESE_i11max_functorIiEiEEDaPvRmT3_T4_T5_mT6_P12ihipStream_tbENKUlT_T0_E_clISt17integral_constantIbLb0EESU_EEDaSP_SQ_EUlSP_E_NS1_11comp_targetILNS1_3genE3ELNS1_11target_archE908ELNS1_3gpuE7ELNS1_3repE0EEENS1_30default_config_static_selectorELNS0_4arch9wavefront6targetE1EEEvT1_
	.p2align	8
	.type	_ZN7rocprim17ROCPRIM_400000_NS6detail17trampoline_kernelINS0_14default_configENS1_20scan_config_selectorIiEEZZNS1_9scan_implILNS1_25lookback_scan_determinismE0ELb1ELb1ES3_N6thrust23THRUST_200600_302600_NS6detail15normal_iteratorINS9_10device_ptrIiEEEESE_i11max_functorIiEiEEDaPvRmT3_T4_T5_mT6_P12ihipStream_tbENKUlT_T0_E_clISt17integral_constantIbLb0EESU_EEDaSP_SQ_EUlSP_E_NS1_11comp_targetILNS1_3genE3ELNS1_11target_archE908ELNS1_3gpuE7ELNS1_3repE0EEENS1_30default_config_static_selectorELNS0_4arch9wavefront6targetE1EEEvT1_,@function
_ZN7rocprim17ROCPRIM_400000_NS6detail17trampoline_kernelINS0_14default_configENS1_20scan_config_selectorIiEEZZNS1_9scan_implILNS1_25lookback_scan_determinismE0ELb1ELb1ES3_N6thrust23THRUST_200600_302600_NS6detail15normal_iteratorINS9_10device_ptrIiEEEESE_i11max_functorIiEiEEDaPvRmT3_T4_T5_mT6_P12ihipStream_tbENKUlT_T0_E_clISt17integral_constantIbLb0EESU_EEDaSP_SQ_EUlSP_E_NS1_11comp_targetILNS1_3genE3ELNS1_11target_archE908ELNS1_3gpuE7ELNS1_3repE0EEENS1_30default_config_static_selectorELNS0_4arch9wavefront6targetE1EEEvT1_: ; @_ZN7rocprim17ROCPRIM_400000_NS6detail17trampoline_kernelINS0_14default_configENS1_20scan_config_selectorIiEEZZNS1_9scan_implILNS1_25lookback_scan_determinismE0ELb1ELb1ES3_N6thrust23THRUST_200600_302600_NS6detail15normal_iteratorINS9_10device_ptrIiEEEESE_i11max_functorIiEiEEDaPvRmT3_T4_T5_mT6_P12ihipStream_tbENKUlT_T0_E_clISt17integral_constantIbLb0EESU_EEDaSP_SQ_EUlSP_E_NS1_11comp_targetILNS1_3genE3ELNS1_11target_archE908ELNS1_3gpuE7ELNS1_3repE0EEENS1_30default_config_static_selectorELNS0_4arch9wavefront6targetE1EEEvT1_
; %bb.0:
	.section	.rodata,"a",@progbits
	.p2align	6, 0x0
	.amdhsa_kernel _ZN7rocprim17ROCPRIM_400000_NS6detail17trampoline_kernelINS0_14default_configENS1_20scan_config_selectorIiEEZZNS1_9scan_implILNS1_25lookback_scan_determinismE0ELb1ELb1ES3_N6thrust23THRUST_200600_302600_NS6detail15normal_iteratorINS9_10device_ptrIiEEEESE_i11max_functorIiEiEEDaPvRmT3_T4_T5_mT6_P12ihipStream_tbENKUlT_T0_E_clISt17integral_constantIbLb0EESU_EEDaSP_SQ_EUlSP_E_NS1_11comp_targetILNS1_3genE3ELNS1_11target_archE908ELNS1_3gpuE7ELNS1_3repE0EEENS1_30default_config_static_selectorELNS0_4arch9wavefront6targetE1EEEvT1_
		.amdhsa_group_segment_fixed_size 0
		.amdhsa_private_segment_fixed_size 0
		.amdhsa_kernarg_size 96
		.amdhsa_user_sgpr_count 6
		.amdhsa_user_sgpr_private_segment_buffer 1
		.amdhsa_user_sgpr_dispatch_ptr 0
		.amdhsa_user_sgpr_queue_ptr 0
		.amdhsa_user_sgpr_kernarg_segment_ptr 1
		.amdhsa_user_sgpr_dispatch_id 0
		.amdhsa_user_sgpr_flat_scratch_init 0
		.amdhsa_user_sgpr_kernarg_preload_length 0
		.amdhsa_user_sgpr_kernarg_preload_offset 0
		.amdhsa_user_sgpr_private_segment_size 0
		.amdhsa_uses_dynamic_stack 0
		.amdhsa_system_sgpr_private_segment_wavefront_offset 0
		.amdhsa_system_sgpr_workgroup_id_x 1
		.amdhsa_system_sgpr_workgroup_id_y 0
		.amdhsa_system_sgpr_workgroup_id_z 0
		.amdhsa_system_sgpr_workgroup_info 0
		.amdhsa_system_vgpr_workitem_id 0
		.amdhsa_next_free_vgpr 1
		.amdhsa_next_free_sgpr 0
		.amdhsa_accum_offset 4
		.amdhsa_reserve_vcc 0
		.amdhsa_reserve_flat_scratch 0
		.amdhsa_float_round_mode_32 0
		.amdhsa_float_round_mode_16_64 0
		.amdhsa_float_denorm_mode_32 3
		.amdhsa_float_denorm_mode_16_64 3
		.amdhsa_dx10_clamp 1
		.amdhsa_ieee_mode 1
		.amdhsa_fp16_overflow 0
		.amdhsa_tg_split 0
		.amdhsa_exception_fp_ieee_invalid_op 0
		.amdhsa_exception_fp_denorm_src 0
		.amdhsa_exception_fp_ieee_div_zero 0
		.amdhsa_exception_fp_ieee_overflow 0
		.amdhsa_exception_fp_ieee_underflow 0
		.amdhsa_exception_fp_ieee_inexact 0
		.amdhsa_exception_int_div_zero 0
	.end_amdhsa_kernel
	.section	.text._ZN7rocprim17ROCPRIM_400000_NS6detail17trampoline_kernelINS0_14default_configENS1_20scan_config_selectorIiEEZZNS1_9scan_implILNS1_25lookback_scan_determinismE0ELb1ELb1ES3_N6thrust23THRUST_200600_302600_NS6detail15normal_iteratorINS9_10device_ptrIiEEEESE_i11max_functorIiEiEEDaPvRmT3_T4_T5_mT6_P12ihipStream_tbENKUlT_T0_E_clISt17integral_constantIbLb0EESU_EEDaSP_SQ_EUlSP_E_NS1_11comp_targetILNS1_3genE3ELNS1_11target_archE908ELNS1_3gpuE7ELNS1_3repE0EEENS1_30default_config_static_selectorELNS0_4arch9wavefront6targetE1EEEvT1_,"axG",@progbits,_ZN7rocprim17ROCPRIM_400000_NS6detail17trampoline_kernelINS0_14default_configENS1_20scan_config_selectorIiEEZZNS1_9scan_implILNS1_25lookback_scan_determinismE0ELb1ELb1ES3_N6thrust23THRUST_200600_302600_NS6detail15normal_iteratorINS9_10device_ptrIiEEEESE_i11max_functorIiEiEEDaPvRmT3_T4_T5_mT6_P12ihipStream_tbENKUlT_T0_E_clISt17integral_constantIbLb0EESU_EEDaSP_SQ_EUlSP_E_NS1_11comp_targetILNS1_3genE3ELNS1_11target_archE908ELNS1_3gpuE7ELNS1_3repE0EEENS1_30default_config_static_selectorELNS0_4arch9wavefront6targetE1EEEvT1_,comdat
.Lfunc_end2777:
	.size	_ZN7rocprim17ROCPRIM_400000_NS6detail17trampoline_kernelINS0_14default_configENS1_20scan_config_selectorIiEEZZNS1_9scan_implILNS1_25lookback_scan_determinismE0ELb1ELb1ES3_N6thrust23THRUST_200600_302600_NS6detail15normal_iteratorINS9_10device_ptrIiEEEESE_i11max_functorIiEiEEDaPvRmT3_T4_T5_mT6_P12ihipStream_tbENKUlT_T0_E_clISt17integral_constantIbLb0EESU_EEDaSP_SQ_EUlSP_E_NS1_11comp_targetILNS1_3genE3ELNS1_11target_archE908ELNS1_3gpuE7ELNS1_3repE0EEENS1_30default_config_static_selectorELNS0_4arch9wavefront6targetE1EEEvT1_, .Lfunc_end2777-_ZN7rocprim17ROCPRIM_400000_NS6detail17trampoline_kernelINS0_14default_configENS1_20scan_config_selectorIiEEZZNS1_9scan_implILNS1_25lookback_scan_determinismE0ELb1ELb1ES3_N6thrust23THRUST_200600_302600_NS6detail15normal_iteratorINS9_10device_ptrIiEEEESE_i11max_functorIiEiEEDaPvRmT3_T4_T5_mT6_P12ihipStream_tbENKUlT_T0_E_clISt17integral_constantIbLb0EESU_EEDaSP_SQ_EUlSP_E_NS1_11comp_targetILNS1_3genE3ELNS1_11target_archE908ELNS1_3gpuE7ELNS1_3repE0EEENS1_30default_config_static_selectorELNS0_4arch9wavefront6targetE1EEEvT1_
                                        ; -- End function
	.section	.AMDGPU.csdata,"",@progbits
; Kernel info:
; codeLenInByte = 0
; NumSgprs: 4
; NumVgprs: 0
; NumAgprs: 0
; TotalNumVgprs: 0
; ScratchSize: 0
; MemoryBound: 0
; FloatMode: 240
; IeeeMode: 1
; LDSByteSize: 0 bytes/workgroup (compile time only)
; SGPRBlocks: 0
; VGPRBlocks: 0
; NumSGPRsForWavesPerEU: 4
; NumVGPRsForWavesPerEU: 1
; AccumOffset: 4
; Occupancy: 8
; WaveLimiterHint : 0
; COMPUTE_PGM_RSRC2:SCRATCH_EN: 0
; COMPUTE_PGM_RSRC2:USER_SGPR: 6
; COMPUTE_PGM_RSRC2:TRAP_HANDLER: 0
; COMPUTE_PGM_RSRC2:TGID_X_EN: 1
; COMPUTE_PGM_RSRC2:TGID_Y_EN: 0
; COMPUTE_PGM_RSRC2:TGID_Z_EN: 0
; COMPUTE_PGM_RSRC2:TIDIG_COMP_CNT: 0
; COMPUTE_PGM_RSRC3_GFX90A:ACCUM_OFFSET: 0
; COMPUTE_PGM_RSRC3_GFX90A:TG_SPLIT: 0
	.section	.text._ZN7rocprim17ROCPRIM_400000_NS6detail17trampoline_kernelINS0_14default_configENS1_20scan_config_selectorIiEEZZNS1_9scan_implILNS1_25lookback_scan_determinismE0ELb1ELb1ES3_N6thrust23THRUST_200600_302600_NS6detail15normal_iteratorINS9_10device_ptrIiEEEESE_i11max_functorIiEiEEDaPvRmT3_T4_T5_mT6_P12ihipStream_tbENKUlT_T0_E_clISt17integral_constantIbLb0EESU_EEDaSP_SQ_EUlSP_E_NS1_11comp_targetILNS1_3genE2ELNS1_11target_archE906ELNS1_3gpuE6ELNS1_3repE0EEENS1_30default_config_static_selectorELNS0_4arch9wavefront6targetE1EEEvT1_,"axG",@progbits,_ZN7rocprim17ROCPRIM_400000_NS6detail17trampoline_kernelINS0_14default_configENS1_20scan_config_selectorIiEEZZNS1_9scan_implILNS1_25lookback_scan_determinismE0ELb1ELb1ES3_N6thrust23THRUST_200600_302600_NS6detail15normal_iteratorINS9_10device_ptrIiEEEESE_i11max_functorIiEiEEDaPvRmT3_T4_T5_mT6_P12ihipStream_tbENKUlT_T0_E_clISt17integral_constantIbLb0EESU_EEDaSP_SQ_EUlSP_E_NS1_11comp_targetILNS1_3genE2ELNS1_11target_archE906ELNS1_3gpuE6ELNS1_3repE0EEENS1_30default_config_static_selectorELNS0_4arch9wavefront6targetE1EEEvT1_,comdat
	.protected	_ZN7rocprim17ROCPRIM_400000_NS6detail17trampoline_kernelINS0_14default_configENS1_20scan_config_selectorIiEEZZNS1_9scan_implILNS1_25lookback_scan_determinismE0ELb1ELb1ES3_N6thrust23THRUST_200600_302600_NS6detail15normal_iteratorINS9_10device_ptrIiEEEESE_i11max_functorIiEiEEDaPvRmT3_T4_T5_mT6_P12ihipStream_tbENKUlT_T0_E_clISt17integral_constantIbLb0EESU_EEDaSP_SQ_EUlSP_E_NS1_11comp_targetILNS1_3genE2ELNS1_11target_archE906ELNS1_3gpuE6ELNS1_3repE0EEENS1_30default_config_static_selectorELNS0_4arch9wavefront6targetE1EEEvT1_ ; -- Begin function _ZN7rocprim17ROCPRIM_400000_NS6detail17trampoline_kernelINS0_14default_configENS1_20scan_config_selectorIiEEZZNS1_9scan_implILNS1_25lookback_scan_determinismE0ELb1ELb1ES3_N6thrust23THRUST_200600_302600_NS6detail15normal_iteratorINS9_10device_ptrIiEEEESE_i11max_functorIiEiEEDaPvRmT3_T4_T5_mT6_P12ihipStream_tbENKUlT_T0_E_clISt17integral_constantIbLb0EESU_EEDaSP_SQ_EUlSP_E_NS1_11comp_targetILNS1_3genE2ELNS1_11target_archE906ELNS1_3gpuE6ELNS1_3repE0EEENS1_30default_config_static_selectorELNS0_4arch9wavefront6targetE1EEEvT1_
	.globl	_ZN7rocprim17ROCPRIM_400000_NS6detail17trampoline_kernelINS0_14default_configENS1_20scan_config_selectorIiEEZZNS1_9scan_implILNS1_25lookback_scan_determinismE0ELb1ELb1ES3_N6thrust23THRUST_200600_302600_NS6detail15normal_iteratorINS9_10device_ptrIiEEEESE_i11max_functorIiEiEEDaPvRmT3_T4_T5_mT6_P12ihipStream_tbENKUlT_T0_E_clISt17integral_constantIbLb0EESU_EEDaSP_SQ_EUlSP_E_NS1_11comp_targetILNS1_3genE2ELNS1_11target_archE906ELNS1_3gpuE6ELNS1_3repE0EEENS1_30default_config_static_selectorELNS0_4arch9wavefront6targetE1EEEvT1_
	.p2align	8
	.type	_ZN7rocprim17ROCPRIM_400000_NS6detail17trampoline_kernelINS0_14default_configENS1_20scan_config_selectorIiEEZZNS1_9scan_implILNS1_25lookback_scan_determinismE0ELb1ELb1ES3_N6thrust23THRUST_200600_302600_NS6detail15normal_iteratorINS9_10device_ptrIiEEEESE_i11max_functorIiEiEEDaPvRmT3_T4_T5_mT6_P12ihipStream_tbENKUlT_T0_E_clISt17integral_constantIbLb0EESU_EEDaSP_SQ_EUlSP_E_NS1_11comp_targetILNS1_3genE2ELNS1_11target_archE906ELNS1_3gpuE6ELNS1_3repE0EEENS1_30default_config_static_selectorELNS0_4arch9wavefront6targetE1EEEvT1_,@function
_ZN7rocprim17ROCPRIM_400000_NS6detail17trampoline_kernelINS0_14default_configENS1_20scan_config_selectorIiEEZZNS1_9scan_implILNS1_25lookback_scan_determinismE0ELb1ELb1ES3_N6thrust23THRUST_200600_302600_NS6detail15normal_iteratorINS9_10device_ptrIiEEEESE_i11max_functorIiEiEEDaPvRmT3_T4_T5_mT6_P12ihipStream_tbENKUlT_T0_E_clISt17integral_constantIbLb0EESU_EEDaSP_SQ_EUlSP_E_NS1_11comp_targetILNS1_3genE2ELNS1_11target_archE906ELNS1_3gpuE6ELNS1_3repE0EEENS1_30default_config_static_selectorELNS0_4arch9wavefront6targetE1EEEvT1_: ; @_ZN7rocprim17ROCPRIM_400000_NS6detail17trampoline_kernelINS0_14default_configENS1_20scan_config_selectorIiEEZZNS1_9scan_implILNS1_25lookback_scan_determinismE0ELb1ELb1ES3_N6thrust23THRUST_200600_302600_NS6detail15normal_iteratorINS9_10device_ptrIiEEEESE_i11max_functorIiEiEEDaPvRmT3_T4_T5_mT6_P12ihipStream_tbENKUlT_T0_E_clISt17integral_constantIbLb0EESU_EEDaSP_SQ_EUlSP_E_NS1_11comp_targetILNS1_3genE2ELNS1_11target_archE906ELNS1_3gpuE6ELNS1_3repE0EEENS1_30default_config_static_selectorELNS0_4arch9wavefront6targetE1EEEvT1_
; %bb.0:
	.section	.rodata,"a",@progbits
	.p2align	6, 0x0
	.amdhsa_kernel _ZN7rocprim17ROCPRIM_400000_NS6detail17trampoline_kernelINS0_14default_configENS1_20scan_config_selectorIiEEZZNS1_9scan_implILNS1_25lookback_scan_determinismE0ELb1ELb1ES3_N6thrust23THRUST_200600_302600_NS6detail15normal_iteratorINS9_10device_ptrIiEEEESE_i11max_functorIiEiEEDaPvRmT3_T4_T5_mT6_P12ihipStream_tbENKUlT_T0_E_clISt17integral_constantIbLb0EESU_EEDaSP_SQ_EUlSP_E_NS1_11comp_targetILNS1_3genE2ELNS1_11target_archE906ELNS1_3gpuE6ELNS1_3repE0EEENS1_30default_config_static_selectorELNS0_4arch9wavefront6targetE1EEEvT1_
		.amdhsa_group_segment_fixed_size 0
		.amdhsa_private_segment_fixed_size 0
		.amdhsa_kernarg_size 96
		.amdhsa_user_sgpr_count 6
		.amdhsa_user_sgpr_private_segment_buffer 1
		.amdhsa_user_sgpr_dispatch_ptr 0
		.amdhsa_user_sgpr_queue_ptr 0
		.amdhsa_user_sgpr_kernarg_segment_ptr 1
		.amdhsa_user_sgpr_dispatch_id 0
		.amdhsa_user_sgpr_flat_scratch_init 0
		.amdhsa_user_sgpr_kernarg_preload_length 0
		.amdhsa_user_sgpr_kernarg_preload_offset 0
		.amdhsa_user_sgpr_private_segment_size 0
		.amdhsa_uses_dynamic_stack 0
		.amdhsa_system_sgpr_private_segment_wavefront_offset 0
		.amdhsa_system_sgpr_workgroup_id_x 1
		.amdhsa_system_sgpr_workgroup_id_y 0
		.amdhsa_system_sgpr_workgroup_id_z 0
		.amdhsa_system_sgpr_workgroup_info 0
		.amdhsa_system_vgpr_workitem_id 0
		.amdhsa_next_free_vgpr 1
		.amdhsa_next_free_sgpr 0
		.amdhsa_accum_offset 4
		.amdhsa_reserve_vcc 0
		.amdhsa_reserve_flat_scratch 0
		.amdhsa_float_round_mode_32 0
		.amdhsa_float_round_mode_16_64 0
		.amdhsa_float_denorm_mode_32 3
		.amdhsa_float_denorm_mode_16_64 3
		.amdhsa_dx10_clamp 1
		.amdhsa_ieee_mode 1
		.amdhsa_fp16_overflow 0
		.amdhsa_tg_split 0
		.amdhsa_exception_fp_ieee_invalid_op 0
		.amdhsa_exception_fp_denorm_src 0
		.amdhsa_exception_fp_ieee_div_zero 0
		.amdhsa_exception_fp_ieee_overflow 0
		.amdhsa_exception_fp_ieee_underflow 0
		.amdhsa_exception_fp_ieee_inexact 0
		.amdhsa_exception_int_div_zero 0
	.end_amdhsa_kernel
	.section	.text._ZN7rocprim17ROCPRIM_400000_NS6detail17trampoline_kernelINS0_14default_configENS1_20scan_config_selectorIiEEZZNS1_9scan_implILNS1_25lookback_scan_determinismE0ELb1ELb1ES3_N6thrust23THRUST_200600_302600_NS6detail15normal_iteratorINS9_10device_ptrIiEEEESE_i11max_functorIiEiEEDaPvRmT3_T4_T5_mT6_P12ihipStream_tbENKUlT_T0_E_clISt17integral_constantIbLb0EESU_EEDaSP_SQ_EUlSP_E_NS1_11comp_targetILNS1_3genE2ELNS1_11target_archE906ELNS1_3gpuE6ELNS1_3repE0EEENS1_30default_config_static_selectorELNS0_4arch9wavefront6targetE1EEEvT1_,"axG",@progbits,_ZN7rocprim17ROCPRIM_400000_NS6detail17trampoline_kernelINS0_14default_configENS1_20scan_config_selectorIiEEZZNS1_9scan_implILNS1_25lookback_scan_determinismE0ELb1ELb1ES3_N6thrust23THRUST_200600_302600_NS6detail15normal_iteratorINS9_10device_ptrIiEEEESE_i11max_functorIiEiEEDaPvRmT3_T4_T5_mT6_P12ihipStream_tbENKUlT_T0_E_clISt17integral_constantIbLb0EESU_EEDaSP_SQ_EUlSP_E_NS1_11comp_targetILNS1_3genE2ELNS1_11target_archE906ELNS1_3gpuE6ELNS1_3repE0EEENS1_30default_config_static_selectorELNS0_4arch9wavefront6targetE1EEEvT1_,comdat
.Lfunc_end2778:
	.size	_ZN7rocprim17ROCPRIM_400000_NS6detail17trampoline_kernelINS0_14default_configENS1_20scan_config_selectorIiEEZZNS1_9scan_implILNS1_25lookback_scan_determinismE0ELb1ELb1ES3_N6thrust23THRUST_200600_302600_NS6detail15normal_iteratorINS9_10device_ptrIiEEEESE_i11max_functorIiEiEEDaPvRmT3_T4_T5_mT6_P12ihipStream_tbENKUlT_T0_E_clISt17integral_constantIbLb0EESU_EEDaSP_SQ_EUlSP_E_NS1_11comp_targetILNS1_3genE2ELNS1_11target_archE906ELNS1_3gpuE6ELNS1_3repE0EEENS1_30default_config_static_selectorELNS0_4arch9wavefront6targetE1EEEvT1_, .Lfunc_end2778-_ZN7rocprim17ROCPRIM_400000_NS6detail17trampoline_kernelINS0_14default_configENS1_20scan_config_selectorIiEEZZNS1_9scan_implILNS1_25lookback_scan_determinismE0ELb1ELb1ES3_N6thrust23THRUST_200600_302600_NS6detail15normal_iteratorINS9_10device_ptrIiEEEESE_i11max_functorIiEiEEDaPvRmT3_T4_T5_mT6_P12ihipStream_tbENKUlT_T0_E_clISt17integral_constantIbLb0EESU_EEDaSP_SQ_EUlSP_E_NS1_11comp_targetILNS1_3genE2ELNS1_11target_archE906ELNS1_3gpuE6ELNS1_3repE0EEENS1_30default_config_static_selectorELNS0_4arch9wavefront6targetE1EEEvT1_
                                        ; -- End function
	.section	.AMDGPU.csdata,"",@progbits
; Kernel info:
; codeLenInByte = 0
; NumSgprs: 4
; NumVgprs: 0
; NumAgprs: 0
; TotalNumVgprs: 0
; ScratchSize: 0
; MemoryBound: 0
; FloatMode: 240
; IeeeMode: 1
; LDSByteSize: 0 bytes/workgroup (compile time only)
; SGPRBlocks: 0
; VGPRBlocks: 0
; NumSGPRsForWavesPerEU: 4
; NumVGPRsForWavesPerEU: 1
; AccumOffset: 4
; Occupancy: 8
; WaveLimiterHint : 0
; COMPUTE_PGM_RSRC2:SCRATCH_EN: 0
; COMPUTE_PGM_RSRC2:USER_SGPR: 6
; COMPUTE_PGM_RSRC2:TRAP_HANDLER: 0
; COMPUTE_PGM_RSRC2:TGID_X_EN: 1
; COMPUTE_PGM_RSRC2:TGID_Y_EN: 0
; COMPUTE_PGM_RSRC2:TGID_Z_EN: 0
; COMPUTE_PGM_RSRC2:TIDIG_COMP_CNT: 0
; COMPUTE_PGM_RSRC3_GFX90A:ACCUM_OFFSET: 0
; COMPUTE_PGM_RSRC3_GFX90A:TG_SPLIT: 0
	.section	.text._ZN7rocprim17ROCPRIM_400000_NS6detail17trampoline_kernelINS0_14default_configENS1_20scan_config_selectorIiEEZZNS1_9scan_implILNS1_25lookback_scan_determinismE0ELb1ELb1ES3_N6thrust23THRUST_200600_302600_NS6detail15normal_iteratorINS9_10device_ptrIiEEEESE_i11max_functorIiEiEEDaPvRmT3_T4_T5_mT6_P12ihipStream_tbENKUlT_T0_E_clISt17integral_constantIbLb0EESU_EEDaSP_SQ_EUlSP_E_NS1_11comp_targetILNS1_3genE10ELNS1_11target_archE1201ELNS1_3gpuE5ELNS1_3repE0EEENS1_30default_config_static_selectorELNS0_4arch9wavefront6targetE1EEEvT1_,"axG",@progbits,_ZN7rocprim17ROCPRIM_400000_NS6detail17trampoline_kernelINS0_14default_configENS1_20scan_config_selectorIiEEZZNS1_9scan_implILNS1_25lookback_scan_determinismE0ELb1ELb1ES3_N6thrust23THRUST_200600_302600_NS6detail15normal_iteratorINS9_10device_ptrIiEEEESE_i11max_functorIiEiEEDaPvRmT3_T4_T5_mT6_P12ihipStream_tbENKUlT_T0_E_clISt17integral_constantIbLb0EESU_EEDaSP_SQ_EUlSP_E_NS1_11comp_targetILNS1_3genE10ELNS1_11target_archE1201ELNS1_3gpuE5ELNS1_3repE0EEENS1_30default_config_static_selectorELNS0_4arch9wavefront6targetE1EEEvT1_,comdat
	.protected	_ZN7rocprim17ROCPRIM_400000_NS6detail17trampoline_kernelINS0_14default_configENS1_20scan_config_selectorIiEEZZNS1_9scan_implILNS1_25lookback_scan_determinismE0ELb1ELb1ES3_N6thrust23THRUST_200600_302600_NS6detail15normal_iteratorINS9_10device_ptrIiEEEESE_i11max_functorIiEiEEDaPvRmT3_T4_T5_mT6_P12ihipStream_tbENKUlT_T0_E_clISt17integral_constantIbLb0EESU_EEDaSP_SQ_EUlSP_E_NS1_11comp_targetILNS1_3genE10ELNS1_11target_archE1201ELNS1_3gpuE5ELNS1_3repE0EEENS1_30default_config_static_selectorELNS0_4arch9wavefront6targetE1EEEvT1_ ; -- Begin function _ZN7rocprim17ROCPRIM_400000_NS6detail17trampoline_kernelINS0_14default_configENS1_20scan_config_selectorIiEEZZNS1_9scan_implILNS1_25lookback_scan_determinismE0ELb1ELb1ES3_N6thrust23THRUST_200600_302600_NS6detail15normal_iteratorINS9_10device_ptrIiEEEESE_i11max_functorIiEiEEDaPvRmT3_T4_T5_mT6_P12ihipStream_tbENKUlT_T0_E_clISt17integral_constantIbLb0EESU_EEDaSP_SQ_EUlSP_E_NS1_11comp_targetILNS1_3genE10ELNS1_11target_archE1201ELNS1_3gpuE5ELNS1_3repE0EEENS1_30default_config_static_selectorELNS0_4arch9wavefront6targetE1EEEvT1_
	.globl	_ZN7rocprim17ROCPRIM_400000_NS6detail17trampoline_kernelINS0_14default_configENS1_20scan_config_selectorIiEEZZNS1_9scan_implILNS1_25lookback_scan_determinismE0ELb1ELb1ES3_N6thrust23THRUST_200600_302600_NS6detail15normal_iteratorINS9_10device_ptrIiEEEESE_i11max_functorIiEiEEDaPvRmT3_T4_T5_mT6_P12ihipStream_tbENKUlT_T0_E_clISt17integral_constantIbLb0EESU_EEDaSP_SQ_EUlSP_E_NS1_11comp_targetILNS1_3genE10ELNS1_11target_archE1201ELNS1_3gpuE5ELNS1_3repE0EEENS1_30default_config_static_selectorELNS0_4arch9wavefront6targetE1EEEvT1_
	.p2align	8
	.type	_ZN7rocprim17ROCPRIM_400000_NS6detail17trampoline_kernelINS0_14default_configENS1_20scan_config_selectorIiEEZZNS1_9scan_implILNS1_25lookback_scan_determinismE0ELb1ELb1ES3_N6thrust23THRUST_200600_302600_NS6detail15normal_iteratorINS9_10device_ptrIiEEEESE_i11max_functorIiEiEEDaPvRmT3_T4_T5_mT6_P12ihipStream_tbENKUlT_T0_E_clISt17integral_constantIbLb0EESU_EEDaSP_SQ_EUlSP_E_NS1_11comp_targetILNS1_3genE10ELNS1_11target_archE1201ELNS1_3gpuE5ELNS1_3repE0EEENS1_30default_config_static_selectorELNS0_4arch9wavefront6targetE1EEEvT1_,@function
_ZN7rocprim17ROCPRIM_400000_NS6detail17trampoline_kernelINS0_14default_configENS1_20scan_config_selectorIiEEZZNS1_9scan_implILNS1_25lookback_scan_determinismE0ELb1ELb1ES3_N6thrust23THRUST_200600_302600_NS6detail15normal_iteratorINS9_10device_ptrIiEEEESE_i11max_functorIiEiEEDaPvRmT3_T4_T5_mT6_P12ihipStream_tbENKUlT_T0_E_clISt17integral_constantIbLb0EESU_EEDaSP_SQ_EUlSP_E_NS1_11comp_targetILNS1_3genE10ELNS1_11target_archE1201ELNS1_3gpuE5ELNS1_3repE0EEENS1_30default_config_static_selectorELNS0_4arch9wavefront6targetE1EEEvT1_: ; @_ZN7rocprim17ROCPRIM_400000_NS6detail17trampoline_kernelINS0_14default_configENS1_20scan_config_selectorIiEEZZNS1_9scan_implILNS1_25lookback_scan_determinismE0ELb1ELb1ES3_N6thrust23THRUST_200600_302600_NS6detail15normal_iteratorINS9_10device_ptrIiEEEESE_i11max_functorIiEiEEDaPvRmT3_T4_T5_mT6_P12ihipStream_tbENKUlT_T0_E_clISt17integral_constantIbLb0EESU_EEDaSP_SQ_EUlSP_E_NS1_11comp_targetILNS1_3genE10ELNS1_11target_archE1201ELNS1_3gpuE5ELNS1_3repE0EEENS1_30default_config_static_selectorELNS0_4arch9wavefront6targetE1EEEvT1_
; %bb.0:
	.section	.rodata,"a",@progbits
	.p2align	6, 0x0
	.amdhsa_kernel _ZN7rocprim17ROCPRIM_400000_NS6detail17trampoline_kernelINS0_14default_configENS1_20scan_config_selectorIiEEZZNS1_9scan_implILNS1_25lookback_scan_determinismE0ELb1ELb1ES3_N6thrust23THRUST_200600_302600_NS6detail15normal_iteratorINS9_10device_ptrIiEEEESE_i11max_functorIiEiEEDaPvRmT3_T4_T5_mT6_P12ihipStream_tbENKUlT_T0_E_clISt17integral_constantIbLb0EESU_EEDaSP_SQ_EUlSP_E_NS1_11comp_targetILNS1_3genE10ELNS1_11target_archE1201ELNS1_3gpuE5ELNS1_3repE0EEENS1_30default_config_static_selectorELNS0_4arch9wavefront6targetE1EEEvT1_
		.amdhsa_group_segment_fixed_size 0
		.amdhsa_private_segment_fixed_size 0
		.amdhsa_kernarg_size 96
		.amdhsa_user_sgpr_count 6
		.amdhsa_user_sgpr_private_segment_buffer 1
		.amdhsa_user_sgpr_dispatch_ptr 0
		.amdhsa_user_sgpr_queue_ptr 0
		.amdhsa_user_sgpr_kernarg_segment_ptr 1
		.amdhsa_user_sgpr_dispatch_id 0
		.amdhsa_user_sgpr_flat_scratch_init 0
		.amdhsa_user_sgpr_kernarg_preload_length 0
		.amdhsa_user_sgpr_kernarg_preload_offset 0
		.amdhsa_user_sgpr_private_segment_size 0
		.amdhsa_uses_dynamic_stack 0
		.amdhsa_system_sgpr_private_segment_wavefront_offset 0
		.amdhsa_system_sgpr_workgroup_id_x 1
		.amdhsa_system_sgpr_workgroup_id_y 0
		.amdhsa_system_sgpr_workgroup_id_z 0
		.amdhsa_system_sgpr_workgroup_info 0
		.amdhsa_system_vgpr_workitem_id 0
		.amdhsa_next_free_vgpr 1
		.amdhsa_next_free_sgpr 0
		.amdhsa_accum_offset 4
		.amdhsa_reserve_vcc 0
		.amdhsa_reserve_flat_scratch 0
		.amdhsa_float_round_mode_32 0
		.amdhsa_float_round_mode_16_64 0
		.amdhsa_float_denorm_mode_32 3
		.amdhsa_float_denorm_mode_16_64 3
		.amdhsa_dx10_clamp 1
		.amdhsa_ieee_mode 1
		.amdhsa_fp16_overflow 0
		.amdhsa_tg_split 0
		.amdhsa_exception_fp_ieee_invalid_op 0
		.amdhsa_exception_fp_denorm_src 0
		.amdhsa_exception_fp_ieee_div_zero 0
		.amdhsa_exception_fp_ieee_overflow 0
		.amdhsa_exception_fp_ieee_underflow 0
		.amdhsa_exception_fp_ieee_inexact 0
		.amdhsa_exception_int_div_zero 0
	.end_amdhsa_kernel
	.section	.text._ZN7rocprim17ROCPRIM_400000_NS6detail17trampoline_kernelINS0_14default_configENS1_20scan_config_selectorIiEEZZNS1_9scan_implILNS1_25lookback_scan_determinismE0ELb1ELb1ES3_N6thrust23THRUST_200600_302600_NS6detail15normal_iteratorINS9_10device_ptrIiEEEESE_i11max_functorIiEiEEDaPvRmT3_T4_T5_mT6_P12ihipStream_tbENKUlT_T0_E_clISt17integral_constantIbLb0EESU_EEDaSP_SQ_EUlSP_E_NS1_11comp_targetILNS1_3genE10ELNS1_11target_archE1201ELNS1_3gpuE5ELNS1_3repE0EEENS1_30default_config_static_selectorELNS0_4arch9wavefront6targetE1EEEvT1_,"axG",@progbits,_ZN7rocprim17ROCPRIM_400000_NS6detail17trampoline_kernelINS0_14default_configENS1_20scan_config_selectorIiEEZZNS1_9scan_implILNS1_25lookback_scan_determinismE0ELb1ELb1ES3_N6thrust23THRUST_200600_302600_NS6detail15normal_iteratorINS9_10device_ptrIiEEEESE_i11max_functorIiEiEEDaPvRmT3_T4_T5_mT6_P12ihipStream_tbENKUlT_T0_E_clISt17integral_constantIbLb0EESU_EEDaSP_SQ_EUlSP_E_NS1_11comp_targetILNS1_3genE10ELNS1_11target_archE1201ELNS1_3gpuE5ELNS1_3repE0EEENS1_30default_config_static_selectorELNS0_4arch9wavefront6targetE1EEEvT1_,comdat
.Lfunc_end2779:
	.size	_ZN7rocprim17ROCPRIM_400000_NS6detail17trampoline_kernelINS0_14default_configENS1_20scan_config_selectorIiEEZZNS1_9scan_implILNS1_25lookback_scan_determinismE0ELb1ELb1ES3_N6thrust23THRUST_200600_302600_NS6detail15normal_iteratorINS9_10device_ptrIiEEEESE_i11max_functorIiEiEEDaPvRmT3_T4_T5_mT6_P12ihipStream_tbENKUlT_T0_E_clISt17integral_constantIbLb0EESU_EEDaSP_SQ_EUlSP_E_NS1_11comp_targetILNS1_3genE10ELNS1_11target_archE1201ELNS1_3gpuE5ELNS1_3repE0EEENS1_30default_config_static_selectorELNS0_4arch9wavefront6targetE1EEEvT1_, .Lfunc_end2779-_ZN7rocprim17ROCPRIM_400000_NS6detail17trampoline_kernelINS0_14default_configENS1_20scan_config_selectorIiEEZZNS1_9scan_implILNS1_25lookback_scan_determinismE0ELb1ELb1ES3_N6thrust23THRUST_200600_302600_NS6detail15normal_iteratorINS9_10device_ptrIiEEEESE_i11max_functorIiEiEEDaPvRmT3_T4_T5_mT6_P12ihipStream_tbENKUlT_T0_E_clISt17integral_constantIbLb0EESU_EEDaSP_SQ_EUlSP_E_NS1_11comp_targetILNS1_3genE10ELNS1_11target_archE1201ELNS1_3gpuE5ELNS1_3repE0EEENS1_30default_config_static_selectorELNS0_4arch9wavefront6targetE1EEEvT1_
                                        ; -- End function
	.section	.AMDGPU.csdata,"",@progbits
; Kernel info:
; codeLenInByte = 0
; NumSgprs: 4
; NumVgprs: 0
; NumAgprs: 0
; TotalNumVgprs: 0
; ScratchSize: 0
; MemoryBound: 0
; FloatMode: 240
; IeeeMode: 1
; LDSByteSize: 0 bytes/workgroup (compile time only)
; SGPRBlocks: 0
; VGPRBlocks: 0
; NumSGPRsForWavesPerEU: 4
; NumVGPRsForWavesPerEU: 1
; AccumOffset: 4
; Occupancy: 8
; WaveLimiterHint : 0
; COMPUTE_PGM_RSRC2:SCRATCH_EN: 0
; COMPUTE_PGM_RSRC2:USER_SGPR: 6
; COMPUTE_PGM_RSRC2:TRAP_HANDLER: 0
; COMPUTE_PGM_RSRC2:TGID_X_EN: 1
; COMPUTE_PGM_RSRC2:TGID_Y_EN: 0
; COMPUTE_PGM_RSRC2:TGID_Z_EN: 0
; COMPUTE_PGM_RSRC2:TIDIG_COMP_CNT: 0
; COMPUTE_PGM_RSRC3_GFX90A:ACCUM_OFFSET: 0
; COMPUTE_PGM_RSRC3_GFX90A:TG_SPLIT: 0
	.section	.text._ZN7rocprim17ROCPRIM_400000_NS6detail17trampoline_kernelINS0_14default_configENS1_20scan_config_selectorIiEEZZNS1_9scan_implILNS1_25lookback_scan_determinismE0ELb1ELb1ES3_N6thrust23THRUST_200600_302600_NS6detail15normal_iteratorINS9_10device_ptrIiEEEESE_i11max_functorIiEiEEDaPvRmT3_T4_T5_mT6_P12ihipStream_tbENKUlT_T0_E_clISt17integral_constantIbLb0EESU_EEDaSP_SQ_EUlSP_E_NS1_11comp_targetILNS1_3genE10ELNS1_11target_archE1200ELNS1_3gpuE4ELNS1_3repE0EEENS1_30default_config_static_selectorELNS0_4arch9wavefront6targetE1EEEvT1_,"axG",@progbits,_ZN7rocprim17ROCPRIM_400000_NS6detail17trampoline_kernelINS0_14default_configENS1_20scan_config_selectorIiEEZZNS1_9scan_implILNS1_25lookback_scan_determinismE0ELb1ELb1ES3_N6thrust23THRUST_200600_302600_NS6detail15normal_iteratorINS9_10device_ptrIiEEEESE_i11max_functorIiEiEEDaPvRmT3_T4_T5_mT6_P12ihipStream_tbENKUlT_T0_E_clISt17integral_constantIbLb0EESU_EEDaSP_SQ_EUlSP_E_NS1_11comp_targetILNS1_3genE10ELNS1_11target_archE1200ELNS1_3gpuE4ELNS1_3repE0EEENS1_30default_config_static_selectorELNS0_4arch9wavefront6targetE1EEEvT1_,comdat
	.protected	_ZN7rocprim17ROCPRIM_400000_NS6detail17trampoline_kernelINS0_14default_configENS1_20scan_config_selectorIiEEZZNS1_9scan_implILNS1_25lookback_scan_determinismE0ELb1ELb1ES3_N6thrust23THRUST_200600_302600_NS6detail15normal_iteratorINS9_10device_ptrIiEEEESE_i11max_functorIiEiEEDaPvRmT3_T4_T5_mT6_P12ihipStream_tbENKUlT_T0_E_clISt17integral_constantIbLb0EESU_EEDaSP_SQ_EUlSP_E_NS1_11comp_targetILNS1_3genE10ELNS1_11target_archE1200ELNS1_3gpuE4ELNS1_3repE0EEENS1_30default_config_static_selectorELNS0_4arch9wavefront6targetE1EEEvT1_ ; -- Begin function _ZN7rocprim17ROCPRIM_400000_NS6detail17trampoline_kernelINS0_14default_configENS1_20scan_config_selectorIiEEZZNS1_9scan_implILNS1_25lookback_scan_determinismE0ELb1ELb1ES3_N6thrust23THRUST_200600_302600_NS6detail15normal_iteratorINS9_10device_ptrIiEEEESE_i11max_functorIiEiEEDaPvRmT3_T4_T5_mT6_P12ihipStream_tbENKUlT_T0_E_clISt17integral_constantIbLb0EESU_EEDaSP_SQ_EUlSP_E_NS1_11comp_targetILNS1_3genE10ELNS1_11target_archE1200ELNS1_3gpuE4ELNS1_3repE0EEENS1_30default_config_static_selectorELNS0_4arch9wavefront6targetE1EEEvT1_
	.globl	_ZN7rocprim17ROCPRIM_400000_NS6detail17trampoline_kernelINS0_14default_configENS1_20scan_config_selectorIiEEZZNS1_9scan_implILNS1_25lookback_scan_determinismE0ELb1ELb1ES3_N6thrust23THRUST_200600_302600_NS6detail15normal_iteratorINS9_10device_ptrIiEEEESE_i11max_functorIiEiEEDaPvRmT3_T4_T5_mT6_P12ihipStream_tbENKUlT_T0_E_clISt17integral_constantIbLb0EESU_EEDaSP_SQ_EUlSP_E_NS1_11comp_targetILNS1_3genE10ELNS1_11target_archE1200ELNS1_3gpuE4ELNS1_3repE0EEENS1_30default_config_static_selectorELNS0_4arch9wavefront6targetE1EEEvT1_
	.p2align	8
	.type	_ZN7rocprim17ROCPRIM_400000_NS6detail17trampoline_kernelINS0_14default_configENS1_20scan_config_selectorIiEEZZNS1_9scan_implILNS1_25lookback_scan_determinismE0ELb1ELb1ES3_N6thrust23THRUST_200600_302600_NS6detail15normal_iteratorINS9_10device_ptrIiEEEESE_i11max_functorIiEiEEDaPvRmT3_T4_T5_mT6_P12ihipStream_tbENKUlT_T0_E_clISt17integral_constantIbLb0EESU_EEDaSP_SQ_EUlSP_E_NS1_11comp_targetILNS1_3genE10ELNS1_11target_archE1200ELNS1_3gpuE4ELNS1_3repE0EEENS1_30default_config_static_selectorELNS0_4arch9wavefront6targetE1EEEvT1_,@function
_ZN7rocprim17ROCPRIM_400000_NS6detail17trampoline_kernelINS0_14default_configENS1_20scan_config_selectorIiEEZZNS1_9scan_implILNS1_25lookback_scan_determinismE0ELb1ELb1ES3_N6thrust23THRUST_200600_302600_NS6detail15normal_iteratorINS9_10device_ptrIiEEEESE_i11max_functorIiEiEEDaPvRmT3_T4_T5_mT6_P12ihipStream_tbENKUlT_T0_E_clISt17integral_constantIbLb0EESU_EEDaSP_SQ_EUlSP_E_NS1_11comp_targetILNS1_3genE10ELNS1_11target_archE1200ELNS1_3gpuE4ELNS1_3repE0EEENS1_30default_config_static_selectorELNS0_4arch9wavefront6targetE1EEEvT1_: ; @_ZN7rocprim17ROCPRIM_400000_NS6detail17trampoline_kernelINS0_14default_configENS1_20scan_config_selectorIiEEZZNS1_9scan_implILNS1_25lookback_scan_determinismE0ELb1ELb1ES3_N6thrust23THRUST_200600_302600_NS6detail15normal_iteratorINS9_10device_ptrIiEEEESE_i11max_functorIiEiEEDaPvRmT3_T4_T5_mT6_P12ihipStream_tbENKUlT_T0_E_clISt17integral_constantIbLb0EESU_EEDaSP_SQ_EUlSP_E_NS1_11comp_targetILNS1_3genE10ELNS1_11target_archE1200ELNS1_3gpuE4ELNS1_3repE0EEENS1_30default_config_static_selectorELNS0_4arch9wavefront6targetE1EEEvT1_
; %bb.0:
	.section	.rodata,"a",@progbits
	.p2align	6, 0x0
	.amdhsa_kernel _ZN7rocprim17ROCPRIM_400000_NS6detail17trampoline_kernelINS0_14default_configENS1_20scan_config_selectorIiEEZZNS1_9scan_implILNS1_25lookback_scan_determinismE0ELb1ELb1ES3_N6thrust23THRUST_200600_302600_NS6detail15normal_iteratorINS9_10device_ptrIiEEEESE_i11max_functorIiEiEEDaPvRmT3_T4_T5_mT6_P12ihipStream_tbENKUlT_T0_E_clISt17integral_constantIbLb0EESU_EEDaSP_SQ_EUlSP_E_NS1_11comp_targetILNS1_3genE10ELNS1_11target_archE1200ELNS1_3gpuE4ELNS1_3repE0EEENS1_30default_config_static_selectorELNS0_4arch9wavefront6targetE1EEEvT1_
		.amdhsa_group_segment_fixed_size 0
		.amdhsa_private_segment_fixed_size 0
		.amdhsa_kernarg_size 96
		.amdhsa_user_sgpr_count 6
		.amdhsa_user_sgpr_private_segment_buffer 1
		.amdhsa_user_sgpr_dispatch_ptr 0
		.amdhsa_user_sgpr_queue_ptr 0
		.amdhsa_user_sgpr_kernarg_segment_ptr 1
		.amdhsa_user_sgpr_dispatch_id 0
		.amdhsa_user_sgpr_flat_scratch_init 0
		.amdhsa_user_sgpr_kernarg_preload_length 0
		.amdhsa_user_sgpr_kernarg_preload_offset 0
		.amdhsa_user_sgpr_private_segment_size 0
		.amdhsa_uses_dynamic_stack 0
		.amdhsa_system_sgpr_private_segment_wavefront_offset 0
		.amdhsa_system_sgpr_workgroup_id_x 1
		.amdhsa_system_sgpr_workgroup_id_y 0
		.amdhsa_system_sgpr_workgroup_id_z 0
		.amdhsa_system_sgpr_workgroup_info 0
		.amdhsa_system_vgpr_workitem_id 0
		.amdhsa_next_free_vgpr 1
		.amdhsa_next_free_sgpr 0
		.amdhsa_accum_offset 4
		.amdhsa_reserve_vcc 0
		.amdhsa_reserve_flat_scratch 0
		.amdhsa_float_round_mode_32 0
		.amdhsa_float_round_mode_16_64 0
		.amdhsa_float_denorm_mode_32 3
		.amdhsa_float_denorm_mode_16_64 3
		.amdhsa_dx10_clamp 1
		.amdhsa_ieee_mode 1
		.amdhsa_fp16_overflow 0
		.amdhsa_tg_split 0
		.amdhsa_exception_fp_ieee_invalid_op 0
		.amdhsa_exception_fp_denorm_src 0
		.amdhsa_exception_fp_ieee_div_zero 0
		.amdhsa_exception_fp_ieee_overflow 0
		.amdhsa_exception_fp_ieee_underflow 0
		.amdhsa_exception_fp_ieee_inexact 0
		.amdhsa_exception_int_div_zero 0
	.end_amdhsa_kernel
	.section	.text._ZN7rocprim17ROCPRIM_400000_NS6detail17trampoline_kernelINS0_14default_configENS1_20scan_config_selectorIiEEZZNS1_9scan_implILNS1_25lookback_scan_determinismE0ELb1ELb1ES3_N6thrust23THRUST_200600_302600_NS6detail15normal_iteratorINS9_10device_ptrIiEEEESE_i11max_functorIiEiEEDaPvRmT3_T4_T5_mT6_P12ihipStream_tbENKUlT_T0_E_clISt17integral_constantIbLb0EESU_EEDaSP_SQ_EUlSP_E_NS1_11comp_targetILNS1_3genE10ELNS1_11target_archE1200ELNS1_3gpuE4ELNS1_3repE0EEENS1_30default_config_static_selectorELNS0_4arch9wavefront6targetE1EEEvT1_,"axG",@progbits,_ZN7rocprim17ROCPRIM_400000_NS6detail17trampoline_kernelINS0_14default_configENS1_20scan_config_selectorIiEEZZNS1_9scan_implILNS1_25lookback_scan_determinismE0ELb1ELb1ES3_N6thrust23THRUST_200600_302600_NS6detail15normal_iteratorINS9_10device_ptrIiEEEESE_i11max_functorIiEiEEDaPvRmT3_T4_T5_mT6_P12ihipStream_tbENKUlT_T0_E_clISt17integral_constantIbLb0EESU_EEDaSP_SQ_EUlSP_E_NS1_11comp_targetILNS1_3genE10ELNS1_11target_archE1200ELNS1_3gpuE4ELNS1_3repE0EEENS1_30default_config_static_selectorELNS0_4arch9wavefront6targetE1EEEvT1_,comdat
.Lfunc_end2780:
	.size	_ZN7rocprim17ROCPRIM_400000_NS6detail17trampoline_kernelINS0_14default_configENS1_20scan_config_selectorIiEEZZNS1_9scan_implILNS1_25lookback_scan_determinismE0ELb1ELb1ES3_N6thrust23THRUST_200600_302600_NS6detail15normal_iteratorINS9_10device_ptrIiEEEESE_i11max_functorIiEiEEDaPvRmT3_T4_T5_mT6_P12ihipStream_tbENKUlT_T0_E_clISt17integral_constantIbLb0EESU_EEDaSP_SQ_EUlSP_E_NS1_11comp_targetILNS1_3genE10ELNS1_11target_archE1200ELNS1_3gpuE4ELNS1_3repE0EEENS1_30default_config_static_selectorELNS0_4arch9wavefront6targetE1EEEvT1_, .Lfunc_end2780-_ZN7rocprim17ROCPRIM_400000_NS6detail17trampoline_kernelINS0_14default_configENS1_20scan_config_selectorIiEEZZNS1_9scan_implILNS1_25lookback_scan_determinismE0ELb1ELb1ES3_N6thrust23THRUST_200600_302600_NS6detail15normal_iteratorINS9_10device_ptrIiEEEESE_i11max_functorIiEiEEDaPvRmT3_T4_T5_mT6_P12ihipStream_tbENKUlT_T0_E_clISt17integral_constantIbLb0EESU_EEDaSP_SQ_EUlSP_E_NS1_11comp_targetILNS1_3genE10ELNS1_11target_archE1200ELNS1_3gpuE4ELNS1_3repE0EEENS1_30default_config_static_selectorELNS0_4arch9wavefront6targetE1EEEvT1_
                                        ; -- End function
	.section	.AMDGPU.csdata,"",@progbits
; Kernel info:
; codeLenInByte = 0
; NumSgprs: 4
; NumVgprs: 0
; NumAgprs: 0
; TotalNumVgprs: 0
; ScratchSize: 0
; MemoryBound: 0
; FloatMode: 240
; IeeeMode: 1
; LDSByteSize: 0 bytes/workgroup (compile time only)
; SGPRBlocks: 0
; VGPRBlocks: 0
; NumSGPRsForWavesPerEU: 4
; NumVGPRsForWavesPerEU: 1
; AccumOffset: 4
; Occupancy: 8
; WaveLimiterHint : 0
; COMPUTE_PGM_RSRC2:SCRATCH_EN: 0
; COMPUTE_PGM_RSRC2:USER_SGPR: 6
; COMPUTE_PGM_RSRC2:TRAP_HANDLER: 0
; COMPUTE_PGM_RSRC2:TGID_X_EN: 1
; COMPUTE_PGM_RSRC2:TGID_Y_EN: 0
; COMPUTE_PGM_RSRC2:TGID_Z_EN: 0
; COMPUTE_PGM_RSRC2:TIDIG_COMP_CNT: 0
; COMPUTE_PGM_RSRC3_GFX90A:ACCUM_OFFSET: 0
; COMPUTE_PGM_RSRC3_GFX90A:TG_SPLIT: 0
	.section	.text._ZN7rocprim17ROCPRIM_400000_NS6detail17trampoline_kernelINS0_14default_configENS1_20scan_config_selectorIiEEZZNS1_9scan_implILNS1_25lookback_scan_determinismE0ELb1ELb1ES3_N6thrust23THRUST_200600_302600_NS6detail15normal_iteratorINS9_10device_ptrIiEEEESE_i11max_functorIiEiEEDaPvRmT3_T4_T5_mT6_P12ihipStream_tbENKUlT_T0_E_clISt17integral_constantIbLb0EESU_EEDaSP_SQ_EUlSP_E_NS1_11comp_targetILNS1_3genE9ELNS1_11target_archE1100ELNS1_3gpuE3ELNS1_3repE0EEENS1_30default_config_static_selectorELNS0_4arch9wavefront6targetE1EEEvT1_,"axG",@progbits,_ZN7rocprim17ROCPRIM_400000_NS6detail17trampoline_kernelINS0_14default_configENS1_20scan_config_selectorIiEEZZNS1_9scan_implILNS1_25lookback_scan_determinismE0ELb1ELb1ES3_N6thrust23THRUST_200600_302600_NS6detail15normal_iteratorINS9_10device_ptrIiEEEESE_i11max_functorIiEiEEDaPvRmT3_T4_T5_mT6_P12ihipStream_tbENKUlT_T0_E_clISt17integral_constantIbLb0EESU_EEDaSP_SQ_EUlSP_E_NS1_11comp_targetILNS1_3genE9ELNS1_11target_archE1100ELNS1_3gpuE3ELNS1_3repE0EEENS1_30default_config_static_selectorELNS0_4arch9wavefront6targetE1EEEvT1_,comdat
	.protected	_ZN7rocprim17ROCPRIM_400000_NS6detail17trampoline_kernelINS0_14default_configENS1_20scan_config_selectorIiEEZZNS1_9scan_implILNS1_25lookback_scan_determinismE0ELb1ELb1ES3_N6thrust23THRUST_200600_302600_NS6detail15normal_iteratorINS9_10device_ptrIiEEEESE_i11max_functorIiEiEEDaPvRmT3_T4_T5_mT6_P12ihipStream_tbENKUlT_T0_E_clISt17integral_constantIbLb0EESU_EEDaSP_SQ_EUlSP_E_NS1_11comp_targetILNS1_3genE9ELNS1_11target_archE1100ELNS1_3gpuE3ELNS1_3repE0EEENS1_30default_config_static_selectorELNS0_4arch9wavefront6targetE1EEEvT1_ ; -- Begin function _ZN7rocprim17ROCPRIM_400000_NS6detail17trampoline_kernelINS0_14default_configENS1_20scan_config_selectorIiEEZZNS1_9scan_implILNS1_25lookback_scan_determinismE0ELb1ELb1ES3_N6thrust23THRUST_200600_302600_NS6detail15normal_iteratorINS9_10device_ptrIiEEEESE_i11max_functorIiEiEEDaPvRmT3_T4_T5_mT6_P12ihipStream_tbENKUlT_T0_E_clISt17integral_constantIbLb0EESU_EEDaSP_SQ_EUlSP_E_NS1_11comp_targetILNS1_3genE9ELNS1_11target_archE1100ELNS1_3gpuE3ELNS1_3repE0EEENS1_30default_config_static_selectorELNS0_4arch9wavefront6targetE1EEEvT1_
	.globl	_ZN7rocprim17ROCPRIM_400000_NS6detail17trampoline_kernelINS0_14default_configENS1_20scan_config_selectorIiEEZZNS1_9scan_implILNS1_25lookback_scan_determinismE0ELb1ELb1ES3_N6thrust23THRUST_200600_302600_NS6detail15normal_iteratorINS9_10device_ptrIiEEEESE_i11max_functorIiEiEEDaPvRmT3_T4_T5_mT6_P12ihipStream_tbENKUlT_T0_E_clISt17integral_constantIbLb0EESU_EEDaSP_SQ_EUlSP_E_NS1_11comp_targetILNS1_3genE9ELNS1_11target_archE1100ELNS1_3gpuE3ELNS1_3repE0EEENS1_30default_config_static_selectorELNS0_4arch9wavefront6targetE1EEEvT1_
	.p2align	8
	.type	_ZN7rocprim17ROCPRIM_400000_NS6detail17trampoline_kernelINS0_14default_configENS1_20scan_config_selectorIiEEZZNS1_9scan_implILNS1_25lookback_scan_determinismE0ELb1ELb1ES3_N6thrust23THRUST_200600_302600_NS6detail15normal_iteratorINS9_10device_ptrIiEEEESE_i11max_functorIiEiEEDaPvRmT3_T4_T5_mT6_P12ihipStream_tbENKUlT_T0_E_clISt17integral_constantIbLb0EESU_EEDaSP_SQ_EUlSP_E_NS1_11comp_targetILNS1_3genE9ELNS1_11target_archE1100ELNS1_3gpuE3ELNS1_3repE0EEENS1_30default_config_static_selectorELNS0_4arch9wavefront6targetE1EEEvT1_,@function
_ZN7rocprim17ROCPRIM_400000_NS6detail17trampoline_kernelINS0_14default_configENS1_20scan_config_selectorIiEEZZNS1_9scan_implILNS1_25lookback_scan_determinismE0ELb1ELb1ES3_N6thrust23THRUST_200600_302600_NS6detail15normal_iteratorINS9_10device_ptrIiEEEESE_i11max_functorIiEiEEDaPvRmT3_T4_T5_mT6_P12ihipStream_tbENKUlT_T0_E_clISt17integral_constantIbLb0EESU_EEDaSP_SQ_EUlSP_E_NS1_11comp_targetILNS1_3genE9ELNS1_11target_archE1100ELNS1_3gpuE3ELNS1_3repE0EEENS1_30default_config_static_selectorELNS0_4arch9wavefront6targetE1EEEvT1_: ; @_ZN7rocprim17ROCPRIM_400000_NS6detail17trampoline_kernelINS0_14default_configENS1_20scan_config_selectorIiEEZZNS1_9scan_implILNS1_25lookback_scan_determinismE0ELb1ELb1ES3_N6thrust23THRUST_200600_302600_NS6detail15normal_iteratorINS9_10device_ptrIiEEEESE_i11max_functorIiEiEEDaPvRmT3_T4_T5_mT6_P12ihipStream_tbENKUlT_T0_E_clISt17integral_constantIbLb0EESU_EEDaSP_SQ_EUlSP_E_NS1_11comp_targetILNS1_3genE9ELNS1_11target_archE1100ELNS1_3gpuE3ELNS1_3repE0EEENS1_30default_config_static_selectorELNS0_4arch9wavefront6targetE1EEEvT1_
; %bb.0:
	.section	.rodata,"a",@progbits
	.p2align	6, 0x0
	.amdhsa_kernel _ZN7rocprim17ROCPRIM_400000_NS6detail17trampoline_kernelINS0_14default_configENS1_20scan_config_selectorIiEEZZNS1_9scan_implILNS1_25lookback_scan_determinismE0ELb1ELb1ES3_N6thrust23THRUST_200600_302600_NS6detail15normal_iteratorINS9_10device_ptrIiEEEESE_i11max_functorIiEiEEDaPvRmT3_T4_T5_mT6_P12ihipStream_tbENKUlT_T0_E_clISt17integral_constantIbLb0EESU_EEDaSP_SQ_EUlSP_E_NS1_11comp_targetILNS1_3genE9ELNS1_11target_archE1100ELNS1_3gpuE3ELNS1_3repE0EEENS1_30default_config_static_selectorELNS0_4arch9wavefront6targetE1EEEvT1_
		.amdhsa_group_segment_fixed_size 0
		.amdhsa_private_segment_fixed_size 0
		.amdhsa_kernarg_size 96
		.amdhsa_user_sgpr_count 6
		.amdhsa_user_sgpr_private_segment_buffer 1
		.amdhsa_user_sgpr_dispatch_ptr 0
		.amdhsa_user_sgpr_queue_ptr 0
		.amdhsa_user_sgpr_kernarg_segment_ptr 1
		.amdhsa_user_sgpr_dispatch_id 0
		.amdhsa_user_sgpr_flat_scratch_init 0
		.amdhsa_user_sgpr_kernarg_preload_length 0
		.amdhsa_user_sgpr_kernarg_preload_offset 0
		.amdhsa_user_sgpr_private_segment_size 0
		.amdhsa_uses_dynamic_stack 0
		.amdhsa_system_sgpr_private_segment_wavefront_offset 0
		.amdhsa_system_sgpr_workgroup_id_x 1
		.amdhsa_system_sgpr_workgroup_id_y 0
		.amdhsa_system_sgpr_workgroup_id_z 0
		.amdhsa_system_sgpr_workgroup_info 0
		.amdhsa_system_vgpr_workitem_id 0
		.amdhsa_next_free_vgpr 1
		.amdhsa_next_free_sgpr 0
		.amdhsa_accum_offset 4
		.amdhsa_reserve_vcc 0
		.amdhsa_reserve_flat_scratch 0
		.amdhsa_float_round_mode_32 0
		.amdhsa_float_round_mode_16_64 0
		.amdhsa_float_denorm_mode_32 3
		.amdhsa_float_denorm_mode_16_64 3
		.amdhsa_dx10_clamp 1
		.amdhsa_ieee_mode 1
		.amdhsa_fp16_overflow 0
		.amdhsa_tg_split 0
		.amdhsa_exception_fp_ieee_invalid_op 0
		.amdhsa_exception_fp_denorm_src 0
		.amdhsa_exception_fp_ieee_div_zero 0
		.amdhsa_exception_fp_ieee_overflow 0
		.amdhsa_exception_fp_ieee_underflow 0
		.amdhsa_exception_fp_ieee_inexact 0
		.amdhsa_exception_int_div_zero 0
	.end_amdhsa_kernel
	.section	.text._ZN7rocprim17ROCPRIM_400000_NS6detail17trampoline_kernelINS0_14default_configENS1_20scan_config_selectorIiEEZZNS1_9scan_implILNS1_25lookback_scan_determinismE0ELb1ELb1ES3_N6thrust23THRUST_200600_302600_NS6detail15normal_iteratorINS9_10device_ptrIiEEEESE_i11max_functorIiEiEEDaPvRmT3_T4_T5_mT6_P12ihipStream_tbENKUlT_T0_E_clISt17integral_constantIbLb0EESU_EEDaSP_SQ_EUlSP_E_NS1_11comp_targetILNS1_3genE9ELNS1_11target_archE1100ELNS1_3gpuE3ELNS1_3repE0EEENS1_30default_config_static_selectorELNS0_4arch9wavefront6targetE1EEEvT1_,"axG",@progbits,_ZN7rocprim17ROCPRIM_400000_NS6detail17trampoline_kernelINS0_14default_configENS1_20scan_config_selectorIiEEZZNS1_9scan_implILNS1_25lookback_scan_determinismE0ELb1ELb1ES3_N6thrust23THRUST_200600_302600_NS6detail15normal_iteratorINS9_10device_ptrIiEEEESE_i11max_functorIiEiEEDaPvRmT3_T4_T5_mT6_P12ihipStream_tbENKUlT_T0_E_clISt17integral_constantIbLb0EESU_EEDaSP_SQ_EUlSP_E_NS1_11comp_targetILNS1_3genE9ELNS1_11target_archE1100ELNS1_3gpuE3ELNS1_3repE0EEENS1_30default_config_static_selectorELNS0_4arch9wavefront6targetE1EEEvT1_,comdat
.Lfunc_end2781:
	.size	_ZN7rocprim17ROCPRIM_400000_NS6detail17trampoline_kernelINS0_14default_configENS1_20scan_config_selectorIiEEZZNS1_9scan_implILNS1_25lookback_scan_determinismE0ELb1ELb1ES3_N6thrust23THRUST_200600_302600_NS6detail15normal_iteratorINS9_10device_ptrIiEEEESE_i11max_functorIiEiEEDaPvRmT3_T4_T5_mT6_P12ihipStream_tbENKUlT_T0_E_clISt17integral_constantIbLb0EESU_EEDaSP_SQ_EUlSP_E_NS1_11comp_targetILNS1_3genE9ELNS1_11target_archE1100ELNS1_3gpuE3ELNS1_3repE0EEENS1_30default_config_static_selectorELNS0_4arch9wavefront6targetE1EEEvT1_, .Lfunc_end2781-_ZN7rocprim17ROCPRIM_400000_NS6detail17trampoline_kernelINS0_14default_configENS1_20scan_config_selectorIiEEZZNS1_9scan_implILNS1_25lookback_scan_determinismE0ELb1ELb1ES3_N6thrust23THRUST_200600_302600_NS6detail15normal_iteratorINS9_10device_ptrIiEEEESE_i11max_functorIiEiEEDaPvRmT3_T4_T5_mT6_P12ihipStream_tbENKUlT_T0_E_clISt17integral_constantIbLb0EESU_EEDaSP_SQ_EUlSP_E_NS1_11comp_targetILNS1_3genE9ELNS1_11target_archE1100ELNS1_3gpuE3ELNS1_3repE0EEENS1_30default_config_static_selectorELNS0_4arch9wavefront6targetE1EEEvT1_
                                        ; -- End function
	.section	.AMDGPU.csdata,"",@progbits
; Kernel info:
; codeLenInByte = 0
; NumSgprs: 4
; NumVgprs: 0
; NumAgprs: 0
; TotalNumVgprs: 0
; ScratchSize: 0
; MemoryBound: 0
; FloatMode: 240
; IeeeMode: 1
; LDSByteSize: 0 bytes/workgroup (compile time only)
; SGPRBlocks: 0
; VGPRBlocks: 0
; NumSGPRsForWavesPerEU: 4
; NumVGPRsForWavesPerEU: 1
; AccumOffset: 4
; Occupancy: 8
; WaveLimiterHint : 0
; COMPUTE_PGM_RSRC2:SCRATCH_EN: 0
; COMPUTE_PGM_RSRC2:USER_SGPR: 6
; COMPUTE_PGM_RSRC2:TRAP_HANDLER: 0
; COMPUTE_PGM_RSRC2:TGID_X_EN: 1
; COMPUTE_PGM_RSRC2:TGID_Y_EN: 0
; COMPUTE_PGM_RSRC2:TGID_Z_EN: 0
; COMPUTE_PGM_RSRC2:TIDIG_COMP_CNT: 0
; COMPUTE_PGM_RSRC3_GFX90A:ACCUM_OFFSET: 0
; COMPUTE_PGM_RSRC3_GFX90A:TG_SPLIT: 0
	.section	.text._ZN7rocprim17ROCPRIM_400000_NS6detail17trampoline_kernelINS0_14default_configENS1_20scan_config_selectorIiEEZZNS1_9scan_implILNS1_25lookback_scan_determinismE0ELb1ELb1ES3_N6thrust23THRUST_200600_302600_NS6detail15normal_iteratorINS9_10device_ptrIiEEEESE_i11max_functorIiEiEEDaPvRmT3_T4_T5_mT6_P12ihipStream_tbENKUlT_T0_E_clISt17integral_constantIbLb0EESU_EEDaSP_SQ_EUlSP_E_NS1_11comp_targetILNS1_3genE8ELNS1_11target_archE1030ELNS1_3gpuE2ELNS1_3repE0EEENS1_30default_config_static_selectorELNS0_4arch9wavefront6targetE1EEEvT1_,"axG",@progbits,_ZN7rocprim17ROCPRIM_400000_NS6detail17trampoline_kernelINS0_14default_configENS1_20scan_config_selectorIiEEZZNS1_9scan_implILNS1_25lookback_scan_determinismE0ELb1ELb1ES3_N6thrust23THRUST_200600_302600_NS6detail15normal_iteratorINS9_10device_ptrIiEEEESE_i11max_functorIiEiEEDaPvRmT3_T4_T5_mT6_P12ihipStream_tbENKUlT_T0_E_clISt17integral_constantIbLb0EESU_EEDaSP_SQ_EUlSP_E_NS1_11comp_targetILNS1_3genE8ELNS1_11target_archE1030ELNS1_3gpuE2ELNS1_3repE0EEENS1_30default_config_static_selectorELNS0_4arch9wavefront6targetE1EEEvT1_,comdat
	.protected	_ZN7rocprim17ROCPRIM_400000_NS6detail17trampoline_kernelINS0_14default_configENS1_20scan_config_selectorIiEEZZNS1_9scan_implILNS1_25lookback_scan_determinismE0ELb1ELb1ES3_N6thrust23THRUST_200600_302600_NS6detail15normal_iteratorINS9_10device_ptrIiEEEESE_i11max_functorIiEiEEDaPvRmT3_T4_T5_mT6_P12ihipStream_tbENKUlT_T0_E_clISt17integral_constantIbLb0EESU_EEDaSP_SQ_EUlSP_E_NS1_11comp_targetILNS1_3genE8ELNS1_11target_archE1030ELNS1_3gpuE2ELNS1_3repE0EEENS1_30default_config_static_selectorELNS0_4arch9wavefront6targetE1EEEvT1_ ; -- Begin function _ZN7rocprim17ROCPRIM_400000_NS6detail17trampoline_kernelINS0_14default_configENS1_20scan_config_selectorIiEEZZNS1_9scan_implILNS1_25lookback_scan_determinismE0ELb1ELb1ES3_N6thrust23THRUST_200600_302600_NS6detail15normal_iteratorINS9_10device_ptrIiEEEESE_i11max_functorIiEiEEDaPvRmT3_T4_T5_mT6_P12ihipStream_tbENKUlT_T0_E_clISt17integral_constantIbLb0EESU_EEDaSP_SQ_EUlSP_E_NS1_11comp_targetILNS1_3genE8ELNS1_11target_archE1030ELNS1_3gpuE2ELNS1_3repE0EEENS1_30default_config_static_selectorELNS0_4arch9wavefront6targetE1EEEvT1_
	.globl	_ZN7rocprim17ROCPRIM_400000_NS6detail17trampoline_kernelINS0_14default_configENS1_20scan_config_selectorIiEEZZNS1_9scan_implILNS1_25lookback_scan_determinismE0ELb1ELb1ES3_N6thrust23THRUST_200600_302600_NS6detail15normal_iteratorINS9_10device_ptrIiEEEESE_i11max_functorIiEiEEDaPvRmT3_T4_T5_mT6_P12ihipStream_tbENKUlT_T0_E_clISt17integral_constantIbLb0EESU_EEDaSP_SQ_EUlSP_E_NS1_11comp_targetILNS1_3genE8ELNS1_11target_archE1030ELNS1_3gpuE2ELNS1_3repE0EEENS1_30default_config_static_selectorELNS0_4arch9wavefront6targetE1EEEvT1_
	.p2align	8
	.type	_ZN7rocprim17ROCPRIM_400000_NS6detail17trampoline_kernelINS0_14default_configENS1_20scan_config_selectorIiEEZZNS1_9scan_implILNS1_25lookback_scan_determinismE0ELb1ELb1ES3_N6thrust23THRUST_200600_302600_NS6detail15normal_iteratorINS9_10device_ptrIiEEEESE_i11max_functorIiEiEEDaPvRmT3_T4_T5_mT6_P12ihipStream_tbENKUlT_T0_E_clISt17integral_constantIbLb0EESU_EEDaSP_SQ_EUlSP_E_NS1_11comp_targetILNS1_3genE8ELNS1_11target_archE1030ELNS1_3gpuE2ELNS1_3repE0EEENS1_30default_config_static_selectorELNS0_4arch9wavefront6targetE1EEEvT1_,@function
_ZN7rocprim17ROCPRIM_400000_NS6detail17trampoline_kernelINS0_14default_configENS1_20scan_config_selectorIiEEZZNS1_9scan_implILNS1_25lookback_scan_determinismE0ELb1ELb1ES3_N6thrust23THRUST_200600_302600_NS6detail15normal_iteratorINS9_10device_ptrIiEEEESE_i11max_functorIiEiEEDaPvRmT3_T4_T5_mT6_P12ihipStream_tbENKUlT_T0_E_clISt17integral_constantIbLb0EESU_EEDaSP_SQ_EUlSP_E_NS1_11comp_targetILNS1_3genE8ELNS1_11target_archE1030ELNS1_3gpuE2ELNS1_3repE0EEENS1_30default_config_static_selectorELNS0_4arch9wavefront6targetE1EEEvT1_: ; @_ZN7rocprim17ROCPRIM_400000_NS6detail17trampoline_kernelINS0_14default_configENS1_20scan_config_selectorIiEEZZNS1_9scan_implILNS1_25lookback_scan_determinismE0ELb1ELb1ES3_N6thrust23THRUST_200600_302600_NS6detail15normal_iteratorINS9_10device_ptrIiEEEESE_i11max_functorIiEiEEDaPvRmT3_T4_T5_mT6_P12ihipStream_tbENKUlT_T0_E_clISt17integral_constantIbLb0EESU_EEDaSP_SQ_EUlSP_E_NS1_11comp_targetILNS1_3genE8ELNS1_11target_archE1030ELNS1_3gpuE2ELNS1_3repE0EEENS1_30default_config_static_selectorELNS0_4arch9wavefront6targetE1EEEvT1_
; %bb.0:
	.section	.rodata,"a",@progbits
	.p2align	6, 0x0
	.amdhsa_kernel _ZN7rocprim17ROCPRIM_400000_NS6detail17trampoline_kernelINS0_14default_configENS1_20scan_config_selectorIiEEZZNS1_9scan_implILNS1_25lookback_scan_determinismE0ELb1ELb1ES3_N6thrust23THRUST_200600_302600_NS6detail15normal_iteratorINS9_10device_ptrIiEEEESE_i11max_functorIiEiEEDaPvRmT3_T4_T5_mT6_P12ihipStream_tbENKUlT_T0_E_clISt17integral_constantIbLb0EESU_EEDaSP_SQ_EUlSP_E_NS1_11comp_targetILNS1_3genE8ELNS1_11target_archE1030ELNS1_3gpuE2ELNS1_3repE0EEENS1_30default_config_static_selectorELNS0_4arch9wavefront6targetE1EEEvT1_
		.amdhsa_group_segment_fixed_size 0
		.amdhsa_private_segment_fixed_size 0
		.amdhsa_kernarg_size 96
		.amdhsa_user_sgpr_count 6
		.amdhsa_user_sgpr_private_segment_buffer 1
		.amdhsa_user_sgpr_dispatch_ptr 0
		.amdhsa_user_sgpr_queue_ptr 0
		.amdhsa_user_sgpr_kernarg_segment_ptr 1
		.amdhsa_user_sgpr_dispatch_id 0
		.amdhsa_user_sgpr_flat_scratch_init 0
		.amdhsa_user_sgpr_kernarg_preload_length 0
		.amdhsa_user_sgpr_kernarg_preload_offset 0
		.amdhsa_user_sgpr_private_segment_size 0
		.amdhsa_uses_dynamic_stack 0
		.amdhsa_system_sgpr_private_segment_wavefront_offset 0
		.amdhsa_system_sgpr_workgroup_id_x 1
		.amdhsa_system_sgpr_workgroup_id_y 0
		.amdhsa_system_sgpr_workgroup_id_z 0
		.amdhsa_system_sgpr_workgroup_info 0
		.amdhsa_system_vgpr_workitem_id 0
		.amdhsa_next_free_vgpr 1
		.amdhsa_next_free_sgpr 0
		.amdhsa_accum_offset 4
		.amdhsa_reserve_vcc 0
		.amdhsa_reserve_flat_scratch 0
		.amdhsa_float_round_mode_32 0
		.amdhsa_float_round_mode_16_64 0
		.amdhsa_float_denorm_mode_32 3
		.amdhsa_float_denorm_mode_16_64 3
		.amdhsa_dx10_clamp 1
		.amdhsa_ieee_mode 1
		.amdhsa_fp16_overflow 0
		.amdhsa_tg_split 0
		.amdhsa_exception_fp_ieee_invalid_op 0
		.amdhsa_exception_fp_denorm_src 0
		.amdhsa_exception_fp_ieee_div_zero 0
		.amdhsa_exception_fp_ieee_overflow 0
		.amdhsa_exception_fp_ieee_underflow 0
		.amdhsa_exception_fp_ieee_inexact 0
		.amdhsa_exception_int_div_zero 0
	.end_amdhsa_kernel
	.section	.text._ZN7rocprim17ROCPRIM_400000_NS6detail17trampoline_kernelINS0_14default_configENS1_20scan_config_selectorIiEEZZNS1_9scan_implILNS1_25lookback_scan_determinismE0ELb1ELb1ES3_N6thrust23THRUST_200600_302600_NS6detail15normal_iteratorINS9_10device_ptrIiEEEESE_i11max_functorIiEiEEDaPvRmT3_T4_T5_mT6_P12ihipStream_tbENKUlT_T0_E_clISt17integral_constantIbLb0EESU_EEDaSP_SQ_EUlSP_E_NS1_11comp_targetILNS1_3genE8ELNS1_11target_archE1030ELNS1_3gpuE2ELNS1_3repE0EEENS1_30default_config_static_selectorELNS0_4arch9wavefront6targetE1EEEvT1_,"axG",@progbits,_ZN7rocprim17ROCPRIM_400000_NS6detail17trampoline_kernelINS0_14default_configENS1_20scan_config_selectorIiEEZZNS1_9scan_implILNS1_25lookback_scan_determinismE0ELb1ELb1ES3_N6thrust23THRUST_200600_302600_NS6detail15normal_iteratorINS9_10device_ptrIiEEEESE_i11max_functorIiEiEEDaPvRmT3_T4_T5_mT6_P12ihipStream_tbENKUlT_T0_E_clISt17integral_constantIbLb0EESU_EEDaSP_SQ_EUlSP_E_NS1_11comp_targetILNS1_3genE8ELNS1_11target_archE1030ELNS1_3gpuE2ELNS1_3repE0EEENS1_30default_config_static_selectorELNS0_4arch9wavefront6targetE1EEEvT1_,comdat
.Lfunc_end2782:
	.size	_ZN7rocprim17ROCPRIM_400000_NS6detail17trampoline_kernelINS0_14default_configENS1_20scan_config_selectorIiEEZZNS1_9scan_implILNS1_25lookback_scan_determinismE0ELb1ELb1ES3_N6thrust23THRUST_200600_302600_NS6detail15normal_iteratorINS9_10device_ptrIiEEEESE_i11max_functorIiEiEEDaPvRmT3_T4_T5_mT6_P12ihipStream_tbENKUlT_T0_E_clISt17integral_constantIbLb0EESU_EEDaSP_SQ_EUlSP_E_NS1_11comp_targetILNS1_3genE8ELNS1_11target_archE1030ELNS1_3gpuE2ELNS1_3repE0EEENS1_30default_config_static_selectorELNS0_4arch9wavefront6targetE1EEEvT1_, .Lfunc_end2782-_ZN7rocprim17ROCPRIM_400000_NS6detail17trampoline_kernelINS0_14default_configENS1_20scan_config_selectorIiEEZZNS1_9scan_implILNS1_25lookback_scan_determinismE0ELb1ELb1ES3_N6thrust23THRUST_200600_302600_NS6detail15normal_iteratorINS9_10device_ptrIiEEEESE_i11max_functorIiEiEEDaPvRmT3_T4_T5_mT6_P12ihipStream_tbENKUlT_T0_E_clISt17integral_constantIbLb0EESU_EEDaSP_SQ_EUlSP_E_NS1_11comp_targetILNS1_3genE8ELNS1_11target_archE1030ELNS1_3gpuE2ELNS1_3repE0EEENS1_30default_config_static_selectorELNS0_4arch9wavefront6targetE1EEEvT1_
                                        ; -- End function
	.section	.AMDGPU.csdata,"",@progbits
; Kernel info:
; codeLenInByte = 0
; NumSgprs: 4
; NumVgprs: 0
; NumAgprs: 0
; TotalNumVgprs: 0
; ScratchSize: 0
; MemoryBound: 0
; FloatMode: 240
; IeeeMode: 1
; LDSByteSize: 0 bytes/workgroup (compile time only)
; SGPRBlocks: 0
; VGPRBlocks: 0
; NumSGPRsForWavesPerEU: 4
; NumVGPRsForWavesPerEU: 1
; AccumOffset: 4
; Occupancy: 8
; WaveLimiterHint : 0
; COMPUTE_PGM_RSRC2:SCRATCH_EN: 0
; COMPUTE_PGM_RSRC2:USER_SGPR: 6
; COMPUTE_PGM_RSRC2:TRAP_HANDLER: 0
; COMPUTE_PGM_RSRC2:TGID_X_EN: 1
; COMPUTE_PGM_RSRC2:TGID_Y_EN: 0
; COMPUTE_PGM_RSRC2:TGID_Z_EN: 0
; COMPUTE_PGM_RSRC2:TIDIG_COMP_CNT: 0
; COMPUTE_PGM_RSRC3_GFX90A:ACCUM_OFFSET: 0
; COMPUTE_PGM_RSRC3_GFX90A:TG_SPLIT: 0
	.section	.text._ZN7rocprim17ROCPRIM_400000_NS6detail17trampoline_kernelINS0_14default_configENS1_20scan_config_selectorIiEEZZNS1_9scan_implILNS1_25lookback_scan_determinismE0ELb1ELb1ES3_N6thrust23THRUST_200600_302600_NS6detail15normal_iteratorINS9_10device_ptrIiEEEESE_i11max_functorIiEiEEDaPvRmT3_T4_T5_mT6_P12ihipStream_tbENKUlT_T0_E_clISt17integral_constantIbLb0EESU_EEDaSP_SQ_EUlSP_E0_NS1_11comp_targetILNS1_3genE0ELNS1_11target_archE4294967295ELNS1_3gpuE0ELNS1_3repE0EEENS1_30default_config_static_selectorELNS0_4arch9wavefront6targetE1EEEvT1_,"axG",@progbits,_ZN7rocprim17ROCPRIM_400000_NS6detail17trampoline_kernelINS0_14default_configENS1_20scan_config_selectorIiEEZZNS1_9scan_implILNS1_25lookback_scan_determinismE0ELb1ELb1ES3_N6thrust23THRUST_200600_302600_NS6detail15normal_iteratorINS9_10device_ptrIiEEEESE_i11max_functorIiEiEEDaPvRmT3_T4_T5_mT6_P12ihipStream_tbENKUlT_T0_E_clISt17integral_constantIbLb0EESU_EEDaSP_SQ_EUlSP_E0_NS1_11comp_targetILNS1_3genE0ELNS1_11target_archE4294967295ELNS1_3gpuE0ELNS1_3repE0EEENS1_30default_config_static_selectorELNS0_4arch9wavefront6targetE1EEEvT1_,comdat
	.protected	_ZN7rocprim17ROCPRIM_400000_NS6detail17trampoline_kernelINS0_14default_configENS1_20scan_config_selectorIiEEZZNS1_9scan_implILNS1_25lookback_scan_determinismE0ELb1ELb1ES3_N6thrust23THRUST_200600_302600_NS6detail15normal_iteratorINS9_10device_ptrIiEEEESE_i11max_functorIiEiEEDaPvRmT3_T4_T5_mT6_P12ihipStream_tbENKUlT_T0_E_clISt17integral_constantIbLb0EESU_EEDaSP_SQ_EUlSP_E0_NS1_11comp_targetILNS1_3genE0ELNS1_11target_archE4294967295ELNS1_3gpuE0ELNS1_3repE0EEENS1_30default_config_static_selectorELNS0_4arch9wavefront6targetE1EEEvT1_ ; -- Begin function _ZN7rocprim17ROCPRIM_400000_NS6detail17trampoline_kernelINS0_14default_configENS1_20scan_config_selectorIiEEZZNS1_9scan_implILNS1_25lookback_scan_determinismE0ELb1ELb1ES3_N6thrust23THRUST_200600_302600_NS6detail15normal_iteratorINS9_10device_ptrIiEEEESE_i11max_functorIiEiEEDaPvRmT3_T4_T5_mT6_P12ihipStream_tbENKUlT_T0_E_clISt17integral_constantIbLb0EESU_EEDaSP_SQ_EUlSP_E0_NS1_11comp_targetILNS1_3genE0ELNS1_11target_archE4294967295ELNS1_3gpuE0ELNS1_3repE0EEENS1_30default_config_static_selectorELNS0_4arch9wavefront6targetE1EEEvT1_
	.globl	_ZN7rocprim17ROCPRIM_400000_NS6detail17trampoline_kernelINS0_14default_configENS1_20scan_config_selectorIiEEZZNS1_9scan_implILNS1_25lookback_scan_determinismE0ELb1ELb1ES3_N6thrust23THRUST_200600_302600_NS6detail15normal_iteratorINS9_10device_ptrIiEEEESE_i11max_functorIiEiEEDaPvRmT3_T4_T5_mT6_P12ihipStream_tbENKUlT_T0_E_clISt17integral_constantIbLb0EESU_EEDaSP_SQ_EUlSP_E0_NS1_11comp_targetILNS1_3genE0ELNS1_11target_archE4294967295ELNS1_3gpuE0ELNS1_3repE0EEENS1_30default_config_static_selectorELNS0_4arch9wavefront6targetE1EEEvT1_
	.p2align	8
	.type	_ZN7rocprim17ROCPRIM_400000_NS6detail17trampoline_kernelINS0_14default_configENS1_20scan_config_selectorIiEEZZNS1_9scan_implILNS1_25lookback_scan_determinismE0ELb1ELb1ES3_N6thrust23THRUST_200600_302600_NS6detail15normal_iteratorINS9_10device_ptrIiEEEESE_i11max_functorIiEiEEDaPvRmT3_T4_T5_mT6_P12ihipStream_tbENKUlT_T0_E_clISt17integral_constantIbLb0EESU_EEDaSP_SQ_EUlSP_E0_NS1_11comp_targetILNS1_3genE0ELNS1_11target_archE4294967295ELNS1_3gpuE0ELNS1_3repE0EEENS1_30default_config_static_selectorELNS0_4arch9wavefront6targetE1EEEvT1_,@function
_ZN7rocprim17ROCPRIM_400000_NS6detail17trampoline_kernelINS0_14default_configENS1_20scan_config_selectorIiEEZZNS1_9scan_implILNS1_25lookback_scan_determinismE0ELb1ELb1ES3_N6thrust23THRUST_200600_302600_NS6detail15normal_iteratorINS9_10device_ptrIiEEEESE_i11max_functorIiEiEEDaPvRmT3_T4_T5_mT6_P12ihipStream_tbENKUlT_T0_E_clISt17integral_constantIbLb0EESU_EEDaSP_SQ_EUlSP_E0_NS1_11comp_targetILNS1_3genE0ELNS1_11target_archE4294967295ELNS1_3gpuE0ELNS1_3repE0EEENS1_30default_config_static_selectorELNS0_4arch9wavefront6targetE1EEEvT1_: ; @_ZN7rocprim17ROCPRIM_400000_NS6detail17trampoline_kernelINS0_14default_configENS1_20scan_config_selectorIiEEZZNS1_9scan_implILNS1_25lookback_scan_determinismE0ELb1ELb1ES3_N6thrust23THRUST_200600_302600_NS6detail15normal_iteratorINS9_10device_ptrIiEEEESE_i11max_functorIiEiEEDaPvRmT3_T4_T5_mT6_P12ihipStream_tbENKUlT_T0_E_clISt17integral_constantIbLb0EESU_EEDaSP_SQ_EUlSP_E0_NS1_11comp_targetILNS1_3genE0ELNS1_11target_archE4294967295ELNS1_3gpuE0ELNS1_3repE0EEENS1_30default_config_static_selectorELNS0_4arch9wavefront6targetE1EEEvT1_
; %bb.0:
	.section	.rodata,"a",@progbits
	.p2align	6, 0x0
	.amdhsa_kernel _ZN7rocprim17ROCPRIM_400000_NS6detail17trampoline_kernelINS0_14default_configENS1_20scan_config_selectorIiEEZZNS1_9scan_implILNS1_25lookback_scan_determinismE0ELb1ELb1ES3_N6thrust23THRUST_200600_302600_NS6detail15normal_iteratorINS9_10device_ptrIiEEEESE_i11max_functorIiEiEEDaPvRmT3_T4_T5_mT6_P12ihipStream_tbENKUlT_T0_E_clISt17integral_constantIbLb0EESU_EEDaSP_SQ_EUlSP_E0_NS1_11comp_targetILNS1_3genE0ELNS1_11target_archE4294967295ELNS1_3gpuE0ELNS1_3repE0EEENS1_30default_config_static_selectorELNS0_4arch9wavefront6targetE1EEEvT1_
		.amdhsa_group_segment_fixed_size 0
		.amdhsa_private_segment_fixed_size 0
		.amdhsa_kernarg_size 32
		.amdhsa_user_sgpr_count 6
		.amdhsa_user_sgpr_private_segment_buffer 1
		.amdhsa_user_sgpr_dispatch_ptr 0
		.amdhsa_user_sgpr_queue_ptr 0
		.amdhsa_user_sgpr_kernarg_segment_ptr 1
		.amdhsa_user_sgpr_dispatch_id 0
		.amdhsa_user_sgpr_flat_scratch_init 0
		.amdhsa_user_sgpr_kernarg_preload_length 0
		.amdhsa_user_sgpr_kernarg_preload_offset 0
		.amdhsa_user_sgpr_private_segment_size 0
		.amdhsa_uses_dynamic_stack 0
		.amdhsa_system_sgpr_private_segment_wavefront_offset 0
		.amdhsa_system_sgpr_workgroup_id_x 1
		.amdhsa_system_sgpr_workgroup_id_y 0
		.amdhsa_system_sgpr_workgroup_id_z 0
		.amdhsa_system_sgpr_workgroup_info 0
		.amdhsa_system_vgpr_workitem_id 0
		.amdhsa_next_free_vgpr 1
		.amdhsa_next_free_sgpr 0
		.amdhsa_accum_offset 4
		.amdhsa_reserve_vcc 0
		.amdhsa_reserve_flat_scratch 0
		.amdhsa_float_round_mode_32 0
		.amdhsa_float_round_mode_16_64 0
		.amdhsa_float_denorm_mode_32 3
		.amdhsa_float_denorm_mode_16_64 3
		.amdhsa_dx10_clamp 1
		.amdhsa_ieee_mode 1
		.amdhsa_fp16_overflow 0
		.amdhsa_tg_split 0
		.amdhsa_exception_fp_ieee_invalid_op 0
		.amdhsa_exception_fp_denorm_src 0
		.amdhsa_exception_fp_ieee_div_zero 0
		.amdhsa_exception_fp_ieee_overflow 0
		.amdhsa_exception_fp_ieee_underflow 0
		.amdhsa_exception_fp_ieee_inexact 0
		.amdhsa_exception_int_div_zero 0
	.end_amdhsa_kernel
	.section	.text._ZN7rocprim17ROCPRIM_400000_NS6detail17trampoline_kernelINS0_14default_configENS1_20scan_config_selectorIiEEZZNS1_9scan_implILNS1_25lookback_scan_determinismE0ELb1ELb1ES3_N6thrust23THRUST_200600_302600_NS6detail15normal_iteratorINS9_10device_ptrIiEEEESE_i11max_functorIiEiEEDaPvRmT3_T4_T5_mT6_P12ihipStream_tbENKUlT_T0_E_clISt17integral_constantIbLb0EESU_EEDaSP_SQ_EUlSP_E0_NS1_11comp_targetILNS1_3genE0ELNS1_11target_archE4294967295ELNS1_3gpuE0ELNS1_3repE0EEENS1_30default_config_static_selectorELNS0_4arch9wavefront6targetE1EEEvT1_,"axG",@progbits,_ZN7rocprim17ROCPRIM_400000_NS6detail17trampoline_kernelINS0_14default_configENS1_20scan_config_selectorIiEEZZNS1_9scan_implILNS1_25lookback_scan_determinismE0ELb1ELb1ES3_N6thrust23THRUST_200600_302600_NS6detail15normal_iteratorINS9_10device_ptrIiEEEESE_i11max_functorIiEiEEDaPvRmT3_T4_T5_mT6_P12ihipStream_tbENKUlT_T0_E_clISt17integral_constantIbLb0EESU_EEDaSP_SQ_EUlSP_E0_NS1_11comp_targetILNS1_3genE0ELNS1_11target_archE4294967295ELNS1_3gpuE0ELNS1_3repE0EEENS1_30default_config_static_selectorELNS0_4arch9wavefront6targetE1EEEvT1_,comdat
.Lfunc_end2783:
	.size	_ZN7rocprim17ROCPRIM_400000_NS6detail17trampoline_kernelINS0_14default_configENS1_20scan_config_selectorIiEEZZNS1_9scan_implILNS1_25lookback_scan_determinismE0ELb1ELb1ES3_N6thrust23THRUST_200600_302600_NS6detail15normal_iteratorINS9_10device_ptrIiEEEESE_i11max_functorIiEiEEDaPvRmT3_T4_T5_mT6_P12ihipStream_tbENKUlT_T0_E_clISt17integral_constantIbLb0EESU_EEDaSP_SQ_EUlSP_E0_NS1_11comp_targetILNS1_3genE0ELNS1_11target_archE4294967295ELNS1_3gpuE0ELNS1_3repE0EEENS1_30default_config_static_selectorELNS0_4arch9wavefront6targetE1EEEvT1_, .Lfunc_end2783-_ZN7rocprim17ROCPRIM_400000_NS6detail17trampoline_kernelINS0_14default_configENS1_20scan_config_selectorIiEEZZNS1_9scan_implILNS1_25lookback_scan_determinismE0ELb1ELb1ES3_N6thrust23THRUST_200600_302600_NS6detail15normal_iteratorINS9_10device_ptrIiEEEESE_i11max_functorIiEiEEDaPvRmT3_T4_T5_mT6_P12ihipStream_tbENKUlT_T0_E_clISt17integral_constantIbLb0EESU_EEDaSP_SQ_EUlSP_E0_NS1_11comp_targetILNS1_3genE0ELNS1_11target_archE4294967295ELNS1_3gpuE0ELNS1_3repE0EEENS1_30default_config_static_selectorELNS0_4arch9wavefront6targetE1EEEvT1_
                                        ; -- End function
	.section	.AMDGPU.csdata,"",@progbits
; Kernel info:
; codeLenInByte = 0
; NumSgprs: 4
; NumVgprs: 0
; NumAgprs: 0
; TotalNumVgprs: 0
; ScratchSize: 0
; MemoryBound: 0
; FloatMode: 240
; IeeeMode: 1
; LDSByteSize: 0 bytes/workgroup (compile time only)
; SGPRBlocks: 0
; VGPRBlocks: 0
; NumSGPRsForWavesPerEU: 4
; NumVGPRsForWavesPerEU: 1
; AccumOffset: 4
; Occupancy: 8
; WaveLimiterHint : 0
; COMPUTE_PGM_RSRC2:SCRATCH_EN: 0
; COMPUTE_PGM_RSRC2:USER_SGPR: 6
; COMPUTE_PGM_RSRC2:TRAP_HANDLER: 0
; COMPUTE_PGM_RSRC2:TGID_X_EN: 1
; COMPUTE_PGM_RSRC2:TGID_Y_EN: 0
; COMPUTE_PGM_RSRC2:TGID_Z_EN: 0
; COMPUTE_PGM_RSRC2:TIDIG_COMP_CNT: 0
; COMPUTE_PGM_RSRC3_GFX90A:ACCUM_OFFSET: 0
; COMPUTE_PGM_RSRC3_GFX90A:TG_SPLIT: 0
	.section	.text._ZN7rocprim17ROCPRIM_400000_NS6detail17trampoline_kernelINS0_14default_configENS1_20scan_config_selectorIiEEZZNS1_9scan_implILNS1_25lookback_scan_determinismE0ELb1ELb1ES3_N6thrust23THRUST_200600_302600_NS6detail15normal_iteratorINS9_10device_ptrIiEEEESE_i11max_functorIiEiEEDaPvRmT3_T4_T5_mT6_P12ihipStream_tbENKUlT_T0_E_clISt17integral_constantIbLb0EESU_EEDaSP_SQ_EUlSP_E0_NS1_11comp_targetILNS1_3genE5ELNS1_11target_archE942ELNS1_3gpuE9ELNS1_3repE0EEENS1_30default_config_static_selectorELNS0_4arch9wavefront6targetE1EEEvT1_,"axG",@progbits,_ZN7rocprim17ROCPRIM_400000_NS6detail17trampoline_kernelINS0_14default_configENS1_20scan_config_selectorIiEEZZNS1_9scan_implILNS1_25lookback_scan_determinismE0ELb1ELb1ES3_N6thrust23THRUST_200600_302600_NS6detail15normal_iteratorINS9_10device_ptrIiEEEESE_i11max_functorIiEiEEDaPvRmT3_T4_T5_mT6_P12ihipStream_tbENKUlT_T0_E_clISt17integral_constantIbLb0EESU_EEDaSP_SQ_EUlSP_E0_NS1_11comp_targetILNS1_3genE5ELNS1_11target_archE942ELNS1_3gpuE9ELNS1_3repE0EEENS1_30default_config_static_selectorELNS0_4arch9wavefront6targetE1EEEvT1_,comdat
	.protected	_ZN7rocprim17ROCPRIM_400000_NS6detail17trampoline_kernelINS0_14default_configENS1_20scan_config_selectorIiEEZZNS1_9scan_implILNS1_25lookback_scan_determinismE0ELb1ELb1ES3_N6thrust23THRUST_200600_302600_NS6detail15normal_iteratorINS9_10device_ptrIiEEEESE_i11max_functorIiEiEEDaPvRmT3_T4_T5_mT6_P12ihipStream_tbENKUlT_T0_E_clISt17integral_constantIbLb0EESU_EEDaSP_SQ_EUlSP_E0_NS1_11comp_targetILNS1_3genE5ELNS1_11target_archE942ELNS1_3gpuE9ELNS1_3repE0EEENS1_30default_config_static_selectorELNS0_4arch9wavefront6targetE1EEEvT1_ ; -- Begin function _ZN7rocprim17ROCPRIM_400000_NS6detail17trampoline_kernelINS0_14default_configENS1_20scan_config_selectorIiEEZZNS1_9scan_implILNS1_25lookback_scan_determinismE0ELb1ELb1ES3_N6thrust23THRUST_200600_302600_NS6detail15normal_iteratorINS9_10device_ptrIiEEEESE_i11max_functorIiEiEEDaPvRmT3_T4_T5_mT6_P12ihipStream_tbENKUlT_T0_E_clISt17integral_constantIbLb0EESU_EEDaSP_SQ_EUlSP_E0_NS1_11comp_targetILNS1_3genE5ELNS1_11target_archE942ELNS1_3gpuE9ELNS1_3repE0EEENS1_30default_config_static_selectorELNS0_4arch9wavefront6targetE1EEEvT1_
	.globl	_ZN7rocprim17ROCPRIM_400000_NS6detail17trampoline_kernelINS0_14default_configENS1_20scan_config_selectorIiEEZZNS1_9scan_implILNS1_25lookback_scan_determinismE0ELb1ELb1ES3_N6thrust23THRUST_200600_302600_NS6detail15normal_iteratorINS9_10device_ptrIiEEEESE_i11max_functorIiEiEEDaPvRmT3_T4_T5_mT6_P12ihipStream_tbENKUlT_T0_E_clISt17integral_constantIbLb0EESU_EEDaSP_SQ_EUlSP_E0_NS1_11comp_targetILNS1_3genE5ELNS1_11target_archE942ELNS1_3gpuE9ELNS1_3repE0EEENS1_30default_config_static_selectorELNS0_4arch9wavefront6targetE1EEEvT1_
	.p2align	8
	.type	_ZN7rocprim17ROCPRIM_400000_NS6detail17trampoline_kernelINS0_14default_configENS1_20scan_config_selectorIiEEZZNS1_9scan_implILNS1_25lookback_scan_determinismE0ELb1ELb1ES3_N6thrust23THRUST_200600_302600_NS6detail15normal_iteratorINS9_10device_ptrIiEEEESE_i11max_functorIiEiEEDaPvRmT3_T4_T5_mT6_P12ihipStream_tbENKUlT_T0_E_clISt17integral_constantIbLb0EESU_EEDaSP_SQ_EUlSP_E0_NS1_11comp_targetILNS1_3genE5ELNS1_11target_archE942ELNS1_3gpuE9ELNS1_3repE0EEENS1_30default_config_static_selectorELNS0_4arch9wavefront6targetE1EEEvT1_,@function
_ZN7rocprim17ROCPRIM_400000_NS6detail17trampoline_kernelINS0_14default_configENS1_20scan_config_selectorIiEEZZNS1_9scan_implILNS1_25lookback_scan_determinismE0ELb1ELb1ES3_N6thrust23THRUST_200600_302600_NS6detail15normal_iteratorINS9_10device_ptrIiEEEESE_i11max_functorIiEiEEDaPvRmT3_T4_T5_mT6_P12ihipStream_tbENKUlT_T0_E_clISt17integral_constantIbLb0EESU_EEDaSP_SQ_EUlSP_E0_NS1_11comp_targetILNS1_3genE5ELNS1_11target_archE942ELNS1_3gpuE9ELNS1_3repE0EEENS1_30default_config_static_selectorELNS0_4arch9wavefront6targetE1EEEvT1_: ; @_ZN7rocprim17ROCPRIM_400000_NS6detail17trampoline_kernelINS0_14default_configENS1_20scan_config_selectorIiEEZZNS1_9scan_implILNS1_25lookback_scan_determinismE0ELb1ELb1ES3_N6thrust23THRUST_200600_302600_NS6detail15normal_iteratorINS9_10device_ptrIiEEEESE_i11max_functorIiEiEEDaPvRmT3_T4_T5_mT6_P12ihipStream_tbENKUlT_T0_E_clISt17integral_constantIbLb0EESU_EEDaSP_SQ_EUlSP_E0_NS1_11comp_targetILNS1_3genE5ELNS1_11target_archE942ELNS1_3gpuE9ELNS1_3repE0EEENS1_30default_config_static_selectorELNS0_4arch9wavefront6targetE1EEEvT1_
; %bb.0:
	.section	.rodata,"a",@progbits
	.p2align	6, 0x0
	.amdhsa_kernel _ZN7rocprim17ROCPRIM_400000_NS6detail17trampoline_kernelINS0_14default_configENS1_20scan_config_selectorIiEEZZNS1_9scan_implILNS1_25lookback_scan_determinismE0ELb1ELb1ES3_N6thrust23THRUST_200600_302600_NS6detail15normal_iteratorINS9_10device_ptrIiEEEESE_i11max_functorIiEiEEDaPvRmT3_T4_T5_mT6_P12ihipStream_tbENKUlT_T0_E_clISt17integral_constantIbLb0EESU_EEDaSP_SQ_EUlSP_E0_NS1_11comp_targetILNS1_3genE5ELNS1_11target_archE942ELNS1_3gpuE9ELNS1_3repE0EEENS1_30default_config_static_selectorELNS0_4arch9wavefront6targetE1EEEvT1_
		.amdhsa_group_segment_fixed_size 0
		.amdhsa_private_segment_fixed_size 0
		.amdhsa_kernarg_size 32
		.amdhsa_user_sgpr_count 6
		.amdhsa_user_sgpr_private_segment_buffer 1
		.amdhsa_user_sgpr_dispatch_ptr 0
		.amdhsa_user_sgpr_queue_ptr 0
		.amdhsa_user_sgpr_kernarg_segment_ptr 1
		.amdhsa_user_sgpr_dispatch_id 0
		.amdhsa_user_sgpr_flat_scratch_init 0
		.amdhsa_user_sgpr_kernarg_preload_length 0
		.amdhsa_user_sgpr_kernarg_preload_offset 0
		.amdhsa_user_sgpr_private_segment_size 0
		.amdhsa_uses_dynamic_stack 0
		.amdhsa_system_sgpr_private_segment_wavefront_offset 0
		.amdhsa_system_sgpr_workgroup_id_x 1
		.amdhsa_system_sgpr_workgroup_id_y 0
		.amdhsa_system_sgpr_workgroup_id_z 0
		.amdhsa_system_sgpr_workgroup_info 0
		.amdhsa_system_vgpr_workitem_id 0
		.amdhsa_next_free_vgpr 1
		.amdhsa_next_free_sgpr 0
		.amdhsa_accum_offset 4
		.amdhsa_reserve_vcc 0
		.amdhsa_reserve_flat_scratch 0
		.amdhsa_float_round_mode_32 0
		.amdhsa_float_round_mode_16_64 0
		.amdhsa_float_denorm_mode_32 3
		.amdhsa_float_denorm_mode_16_64 3
		.amdhsa_dx10_clamp 1
		.amdhsa_ieee_mode 1
		.amdhsa_fp16_overflow 0
		.amdhsa_tg_split 0
		.amdhsa_exception_fp_ieee_invalid_op 0
		.amdhsa_exception_fp_denorm_src 0
		.amdhsa_exception_fp_ieee_div_zero 0
		.amdhsa_exception_fp_ieee_overflow 0
		.amdhsa_exception_fp_ieee_underflow 0
		.amdhsa_exception_fp_ieee_inexact 0
		.amdhsa_exception_int_div_zero 0
	.end_amdhsa_kernel
	.section	.text._ZN7rocprim17ROCPRIM_400000_NS6detail17trampoline_kernelINS0_14default_configENS1_20scan_config_selectorIiEEZZNS1_9scan_implILNS1_25lookback_scan_determinismE0ELb1ELb1ES3_N6thrust23THRUST_200600_302600_NS6detail15normal_iteratorINS9_10device_ptrIiEEEESE_i11max_functorIiEiEEDaPvRmT3_T4_T5_mT6_P12ihipStream_tbENKUlT_T0_E_clISt17integral_constantIbLb0EESU_EEDaSP_SQ_EUlSP_E0_NS1_11comp_targetILNS1_3genE5ELNS1_11target_archE942ELNS1_3gpuE9ELNS1_3repE0EEENS1_30default_config_static_selectorELNS0_4arch9wavefront6targetE1EEEvT1_,"axG",@progbits,_ZN7rocprim17ROCPRIM_400000_NS6detail17trampoline_kernelINS0_14default_configENS1_20scan_config_selectorIiEEZZNS1_9scan_implILNS1_25lookback_scan_determinismE0ELb1ELb1ES3_N6thrust23THRUST_200600_302600_NS6detail15normal_iteratorINS9_10device_ptrIiEEEESE_i11max_functorIiEiEEDaPvRmT3_T4_T5_mT6_P12ihipStream_tbENKUlT_T0_E_clISt17integral_constantIbLb0EESU_EEDaSP_SQ_EUlSP_E0_NS1_11comp_targetILNS1_3genE5ELNS1_11target_archE942ELNS1_3gpuE9ELNS1_3repE0EEENS1_30default_config_static_selectorELNS0_4arch9wavefront6targetE1EEEvT1_,comdat
.Lfunc_end2784:
	.size	_ZN7rocprim17ROCPRIM_400000_NS6detail17trampoline_kernelINS0_14default_configENS1_20scan_config_selectorIiEEZZNS1_9scan_implILNS1_25lookback_scan_determinismE0ELb1ELb1ES3_N6thrust23THRUST_200600_302600_NS6detail15normal_iteratorINS9_10device_ptrIiEEEESE_i11max_functorIiEiEEDaPvRmT3_T4_T5_mT6_P12ihipStream_tbENKUlT_T0_E_clISt17integral_constantIbLb0EESU_EEDaSP_SQ_EUlSP_E0_NS1_11comp_targetILNS1_3genE5ELNS1_11target_archE942ELNS1_3gpuE9ELNS1_3repE0EEENS1_30default_config_static_selectorELNS0_4arch9wavefront6targetE1EEEvT1_, .Lfunc_end2784-_ZN7rocprim17ROCPRIM_400000_NS6detail17trampoline_kernelINS0_14default_configENS1_20scan_config_selectorIiEEZZNS1_9scan_implILNS1_25lookback_scan_determinismE0ELb1ELb1ES3_N6thrust23THRUST_200600_302600_NS6detail15normal_iteratorINS9_10device_ptrIiEEEESE_i11max_functorIiEiEEDaPvRmT3_T4_T5_mT6_P12ihipStream_tbENKUlT_T0_E_clISt17integral_constantIbLb0EESU_EEDaSP_SQ_EUlSP_E0_NS1_11comp_targetILNS1_3genE5ELNS1_11target_archE942ELNS1_3gpuE9ELNS1_3repE0EEENS1_30default_config_static_selectorELNS0_4arch9wavefront6targetE1EEEvT1_
                                        ; -- End function
	.section	.AMDGPU.csdata,"",@progbits
; Kernel info:
; codeLenInByte = 0
; NumSgprs: 4
; NumVgprs: 0
; NumAgprs: 0
; TotalNumVgprs: 0
; ScratchSize: 0
; MemoryBound: 0
; FloatMode: 240
; IeeeMode: 1
; LDSByteSize: 0 bytes/workgroup (compile time only)
; SGPRBlocks: 0
; VGPRBlocks: 0
; NumSGPRsForWavesPerEU: 4
; NumVGPRsForWavesPerEU: 1
; AccumOffset: 4
; Occupancy: 8
; WaveLimiterHint : 0
; COMPUTE_PGM_RSRC2:SCRATCH_EN: 0
; COMPUTE_PGM_RSRC2:USER_SGPR: 6
; COMPUTE_PGM_RSRC2:TRAP_HANDLER: 0
; COMPUTE_PGM_RSRC2:TGID_X_EN: 1
; COMPUTE_PGM_RSRC2:TGID_Y_EN: 0
; COMPUTE_PGM_RSRC2:TGID_Z_EN: 0
; COMPUTE_PGM_RSRC2:TIDIG_COMP_CNT: 0
; COMPUTE_PGM_RSRC3_GFX90A:ACCUM_OFFSET: 0
; COMPUTE_PGM_RSRC3_GFX90A:TG_SPLIT: 0
	.section	.text._ZN7rocprim17ROCPRIM_400000_NS6detail17trampoline_kernelINS0_14default_configENS1_20scan_config_selectorIiEEZZNS1_9scan_implILNS1_25lookback_scan_determinismE0ELb1ELb1ES3_N6thrust23THRUST_200600_302600_NS6detail15normal_iteratorINS9_10device_ptrIiEEEESE_i11max_functorIiEiEEDaPvRmT3_T4_T5_mT6_P12ihipStream_tbENKUlT_T0_E_clISt17integral_constantIbLb0EESU_EEDaSP_SQ_EUlSP_E0_NS1_11comp_targetILNS1_3genE4ELNS1_11target_archE910ELNS1_3gpuE8ELNS1_3repE0EEENS1_30default_config_static_selectorELNS0_4arch9wavefront6targetE1EEEvT1_,"axG",@progbits,_ZN7rocprim17ROCPRIM_400000_NS6detail17trampoline_kernelINS0_14default_configENS1_20scan_config_selectorIiEEZZNS1_9scan_implILNS1_25lookback_scan_determinismE0ELb1ELb1ES3_N6thrust23THRUST_200600_302600_NS6detail15normal_iteratorINS9_10device_ptrIiEEEESE_i11max_functorIiEiEEDaPvRmT3_T4_T5_mT6_P12ihipStream_tbENKUlT_T0_E_clISt17integral_constantIbLb0EESU_EEDaSP_SQ_EUlSP_E0_NS1_11comp_targetILNS1_3genE4ELNS1_11target_archE910ELNS1_3gpuE8ELNS1_3repE0EEENS1_30default_config_static_selectorELNS0_4arch9wavefront6targetE1EEEvT1_,comdat
	.protected	_ZN7rocprim17ROCPRIM_400000_NS6detail17trampoline_kernelINS0_14default_configENS1_20scan_config_selectorIiEEZZNS1_9scan_implILNS1_25lookback_scan_determinismE0ELb1ELb1ES3_N6thrust23THRUST_200600_302600_NS6detail15normal_iteratorINS9_10device_ptrIiEEEESE_i11max_functorIiEiEEDaPvRmT3_T4_T5_mT6_P12ihipStream_tbENKUlT_T0_E_clISt17integral_constantIbLb0EESU_EEDaSP_SQ_EUlSP_E0_NS1_11comp_targetILNS1_3genE4ELNS1_11target_archE910ELNS1_3gpuE8ELNS1_3repE0EEENS1_30default_config_static_selectorELNS0_4arch9wavefront6targetE1EEEvT1_ ; -- Begin function _ZN7rocprim17ROCPRIM_400000_NS6detail17trampoline_kernelINS0_14default_configENS1_20scan_config_selectorIiEEZZNS1_9scan_implILNS1_25lookback_scan_determinismE0ELb1ELb1ES3_N6thrust23THRUST_200600_302600_NS6detail15normal_iteratorINS9_10device_ptrIiEEEESE_i11max_functorIiEiEEDaPvRmT3_T4_T5_mT6_P12ihipStream_tbENKUlT_T0_E_clISt17integral_constantIbLb0EESU_EEDaSP_SQ_EUlSP_E0_NS1_11comp_targetILNS1_3genE4ELNS1_11target_archE910ELNS1_3gpuE8ELNS1_3repE0EEENS1_30default_config_static_selectorELNS0_4arch9wavefront6targetE1EEEvT1_
	.globl	_ZN7rocprim17ROCPRIM_400000_NS6detail17trampoline_kernelINS0_14default_configENS1_20scan_config_selectorIiEEZZNS1_9scan_implILNS1_25lookback_scan_determinismE0ELb1ELb1ES3_N6thrust23THRUST_200600_302600_NS6detail15normal_iteratorINS9_10device_ptrIiEEEESE_i11max_functorIiEiEEDaPvRmT3_T4_T5_mT6_P12ihipStream_tbENKUlT_T0_E_clISt17integral_constantIbLb0EESU_EEDaSP_SQ_EUlSP_E0_NS1_11comp_targetILNS1_3genE4ELNS1_11target_archE910ELNS1_3gpuE8ELNS1_3repE0EEENS1_30default_config_static_selectorELNS0_4arch9wavefront6targetE1EEEvT1_
	.p2align	8
	.type	_ZN7rocprim17ROCPRIM_400000_NS6detail17trampoline_kernelINS0_14default_configENS1_20scan_config_selectorIiEEZZNS1_9scan_implILNS1_25lookback_scan_determinismE0ELb1ELb1ES3_N6thrust23THRUST_200600_302600_NS6detail15normal_iteratorINS9_10device_ptrIiEEEESE_i11max_functorIiEiEEDaPvRmT3_T4_T5_mT6_P12ihipStream_tbENKUlT_T0_E_clISt17integral_constantIbLb0EESU_EEDaSP_SQ_EUlSP_E0_NS1_11comp_targetILNS1_3genE4ELNS1_11target_archE910ELNS1_3gpuE8ELNS1_3repE0EEENS1_30default_config_static_selectorELNS0_4arch9wavefront6targetE1EEEvT1_,@function
_ZN7rocprim17ROCPRIM_400000_NS6detail17trampoline_kernelINS0_14default_configENS1_20scan_config_selectorIiEEZZNS1_9scan_implILNS1_25lookback_scan_determinismE0ELb1ELb1ES3_N6thrust23THRUST_200600_302600_NS6detail15normal_iteratorINS9_10device_ptrIiEEEESE_i11max_functorIiEiEEDaPvRmT3_T4_T5_mT6_P12ihipStream_tbENKUlT_T0_E_clISt17integral_constantIbLb0EESU_EEDaSP_SQ_EUlSP_E0_NS1_11comp_targetILNS1_3genE4ELNS1_11target_archE910ELNS1_3gpuE8ELNS1_3repE0EEENS1_30default_config_static_selectorELNS0_4arch9wavefront6targetE1EEEvT1_: ; @_ZN7rocprim17ROCPRIM_400000_NS6detail17trampoline_kernelINS0_14default_configENS1_20scan_config_selectorIiEEZZNS1_9scan_implILNS1_25lookback_scan_determinismE0ELb1ELb1ES3_N6thrust23THRUST_200600_302600_NS6detail15normal_iteratorINS9_10device_ptrIiEEEESE_i11max_functorIiEiEEDaPvRmT3_T4_T5_mT6_P12ihipStream_tbENKUlT_T0_E_clISt17integral_constantIbLb0EESU_EEDaSP_SQ_EUlSP_E0_NS1_11comp_targetILNS1_3genE4ELNS1_11target_archE910ELNS1_3gpuE8ELNS1_3repE0EEENS1_30default_config_static_selectorELNS0_4arch9wavefront6targetE1EEEvT1_
; %bb.0:
	s_load_dwordx4 s[20:23], s[4:5], 0x0
	v_lshlrev_b32_e32 v14, 2, v0
	s_waitcnt lgkmcnt(0)
	s_load_dword s23, s[20:21], 0x0
	v_cmp_gt_u32_e32 vcc, s22, v0
	s_waitcnt lgkmcnt(0)
	v_mov_b32_e32 v1, s23
	s_and_saveexec_b64 s[0:1], vcc
	s_cbranch_execz .LBB2785_2
; %bb.1:
	global_load_dword v1, v14, s[20:21]
.LBB2785_2:
	s_or_b64 exec, exec, s[0:1]
	v_or_b32_e32 v2, 0x80, v0
	v_cmp_gt_u32_e64 s[0:1], s22, v2
	v_mov_b32_e32 v2, s23
	s_and_saveexec_b64 s[2:3], s[0:1]
	s_cbranch_execz .LBB2785_4
; %bb.3:
	global_load_dword v2, v14, s[20:21] offset:512
.LBB2785_4:
	s_or_b64 exec, exec, s[2:3]
	v_or_b32_e32 v3, 0x100, v0
	v_cmp_gt_u32_e64 s[2:3], s22, v3
	v_mov_b32_e32 v3, s23
	s_and_saveexec_b64 s[6:7], s[2:3]
	s_cbranch_execz .LBB2785_6
; %bb.5:
	global_load_dword v3, v14, s[20:21] offset:1024
.LBB2785_6:
	;; [unrolled: 9-line block ×7, first 2 shown]
	s_or_b64 exec, exec, s[14:15]
	v_or_b32_e32 v10, 0x400, v0
	v_cmp_gt_u32_e64 s[14:15], s22, v10
	v_mov_b32_e32 v9, s23
	s_and_saveexec_b64 s[16:17], s[14:15]
	s_cbranch_execz .LBB2785_18
; %bb.17:
	v_lshlrev_b32_e32 v9, 2, v10
	global_load_dword v9, v9, s[20:21]
.LBB2785_18:
	s_or_b64 exec, exec, s[16:17]
	s_load_dword s24, s[4:5], 0x10
	v_or_b32_e32 v11, 0x480, v0
	v_cmp_gt_u32_e64 s[16:17], s22, v11
	v_mov_b32_e32 v10, s23
	s_and_saveexec_b64 s[22:23], s[16:17]
	s_cbranch_execz .LBB2785_20
; %bb.19:
	v_lshlrev_b32_e32 v10, 2, v11
	global_load_dword v10, v10, s[20:21]
.LBB2785_20:
	s_or_b64 exec, exec, s[22:23]
	s_waitcnt vmcnt(0)
	ds_write2st64_b32 v14, v1, v2 offset1:2
	ds_write2st64_b32 v14, v3, v4 offset0:4 offset1:6
	ds_write2st64_b32 v14, v5, v6 offset0:8 offset1:10
	;; [unrolled: 1-line block ×4, first 2 shown]
	v_mad_u32_u24 v1, v0, 36, v14
	s_waitcnt lgkmcnt(0)
	s_barrier
	ds_read2_b64 v[6:9], v1 offset1:1
	ds_read2_b64 v[2:5], v1 offset0:2 offset1:3
	ds_read_b64 v[10:11], v1 offset:32
	s_load_dwordx2 s[20:21], s[4:5], 0x18
	v_cmp_gt_u32_e64 s[4:5], 64, v0
	s_waitcnt lgkmcnt(0)
	v_max_i32_e32 v12, v6, v7
	v_max3_i32 v12, v12, v8, v9
	v_max3_i32 v12, v12, v2, v3
	;; [unrolled: 1-line block ×4, first 2 shown]
	v_lshrrev_b32_e32 v12, 3, v0
	v_and_b32_e32 v12, 12, v12
	v_add_u32_e32 v12, v14, v12
	s_barrier
	ds_write_b32 v12, v11
	s_waitcnt lgkmcnt(0)
	s_barrier
	s_and_saveexec_b64 s[22:23], s[4:5]
	s_cbranch_execz .LBB2785_22
; %bb.21:
	v_lshlrev_b32_e32 v12, 1, v0
	v_lshrrev_b32_e32 v13, 4, v0
	v_add_lshl_u32 v15, v13, v12, 2
	ds_read2_b32 v[12:13], v15 offset1:1
	v_mbcnt_lo_u32_b32 v16, -1, 0
	v_mbcnt_hi_u32_b32 v16, -1, v16
	v_and_b32_e32 v17, 15, v16
	v_cmp_eq_u32_e64 s[4:5], 0, v17
	s_waitcnt lgkmcnt(0)
	v_max_i32_e32 v13, v12, v13
	; wave barrier
	s_nop 1
	v_mov_b32_dpp v18, v13 row_shr:1 row_mask:0xf bank_mask:0xf
	v_max_i32_e32 v18, v18, v13
	v_cndmask_b32_e64 v13, v18, v13, s[4:5]
	v_cmp_lt_u32_e64 s[4:5], 1, v17
	s_nop 0
	v_mov_b32_dpp v18, v13 row_shr:2 row_mask:0xf bank_mask:0xf
	v_max_i32_e32 v18, v18, v13
	v_cndmask_b32_e64 v13, v13, v18, s[4:5]
	v_cmp_lt_u32_e64 s[4:5], 3, v17
	s_nop 0
	v_mov_b32_dpp v18, v13 row_shr:4 row_mask:0xf bank_mask:0xf
	v_max_i32_e32 v18, v18, v13
	v_cndmask_b32_e64 v13, v13, v18, s[4:5]
	v_cmp_lt_u32_e64 s[4:5], 7, v17
	s_nop 0
	v_mov_b32_dpp v18, v13 row_shr:8 row_mask:0xf bank_mask:0xf
	v_max_i32_e32 v18, v18, v13
	v_cndmask_b32_e64 v13, v13, v18, s[4:5]
	v_and_b32_e32 v18, 16, v16
	v_cmp_eq_u32_e64 s[4:5], 0, v18
	v_mov_b32_dpp v17, v13 row_bcast:15 row_mask:0xf bank_mask:0xf
	v_max_i32_e32 v17, v17, v13
	v_cndmask_b32_e64 v13, v17, v13, s[4:5]
	v_cmp_lt_u32_e64 s[4:5], 31, v16
	v_and_b32_e32 v18, 64, v16
	v_mov_b32_dpp v17, v13 row_bcast:31 row_mask:0xf bank_mask:0xf
	v_max_i32_e32 v17, v17, v13
	v_cndmask_b32_e64 v13, v13, v17, s[4:5]
	v_add_u32_e32 v17, -1, v16
	v_cmp_lt_i32_e64 s[4:5], v17, v18
	v_cndmask_b32_e64 v16, v17, v16, s[4:5]
	v_lshlrev_b32_e32 v16, 2, v16
	ds_bpermute_b32 v13, v16, v13
	v_cmp_eq_u32_e64 s[4:5], 0, v0
	s_waitcnt lgkmcnt(0)
	v_max_i32_e32 v12, v13, v12
	v_cndmask_b32_e64 v11, v12, v11, s[4:5]
	ds_write_b32 v15, v11
	; wave barrier
	ds_read_b32 v12, v15 offset:4
	s_waitcnt lgkmcnt(0)
	v_max_i32_e32 v11, v11, v12
	ds_write_b32 v15, v11 offset:4
.LBB2785_22:
	s_or_b64 exec, exec, s[22:23]
	v_cmp_ne_u32_e64 s[4:5], 0, v0
	v_mov_b32_e32 v12, s24
	s_waitcnt lgkmcnt(0)
	s_barrier
	s_and_saveexec_b64 s[22:23], s[4:5]
	s_cbranch_execz .LBB2785_24
; %bb.23:
	v_add_u32_e32 v11, -1, v0
	v_lshrrev_b32_e32 v12, 5, v11
	v_add_lshl_u32 v11, v12, v11, 2
	ds_read_b32 v11, v11
	s_waitcnt lgkmcnt(0)
	v_max_i32_e32 v12, s24, v11
.LBB2785_24:
	s_or_b64 exec, exec, s[22:23]
	v_max_i32_e32 v13, v12, v6
	v_max_i32_e32 v6, v13, v7
	;; [unrolled: 1-line block ×8, first 2 shown]
	s_movk_i32 s4, 0xffdc
	v_max_i32_e32 v5, v4, v10
	v_mad_i32_i24 v0, v0, s4, v1
	s_barrier
	ds_write2_b64 v1, v[12:13], v[6:7] offset1:1
	ds_write2_b64 v1, v[8:9], v[2:3] offset0:2 offset1:3
	ds_write_b64 v1, v[4:5] offset:32
	s_waitcnt lgkmcnt(0)
	s_barrier
	ds_read2st64_b32 v[8:9], v0 offset0:2 offset1:4
	ds_read2st64_b32 v[6:7], v0 offset0:6 offset1:8
	;; [unrolled: 1-line block ×4, first 2 shown]
	ds_read_b32 v10, v14 offset:4096
	v_mov_b32_e32 v3, s21
	v_add_co_u32_e64 v2, s[4:5], s20, v14
	v_addc_co_u32_e64 v3, s[4:5], 0, v3, s[4:5]
	s_and_saveexec_b64 s[4:5], vcc
	s_cbranch_execnz .LBB2785_35
; %bb.25:
	s_or_b64 exec, exec, s[4:5]
	s_and_saveexec_b64 s[4:5], s[0:1]
	s_cbranch_execnz .LBB2785_36
.LBB2785_26:
	s_or_b64 exec, exec, s[4:5]
	s_and_saveexec_b64 s[0:1], s[2:3]
	s_cbranch_execnz .LBB2785_37
.LBB2785_27:
	s_or_b64 exec, exec, s[0:1]
	s_and_saveexec_b64 s[0:1], s[18:19]
	s_cbranch_execnz .LBB2785_38
.LBB2785_28:
	s_or_b64 exec, exec, s[0:1]
	s_and_saveexec_b64 s[0:1], s[6:7]
	s_cbranch_execnz .LBB2785_39
.LBB2785_29:
	s_or_b64 exec, exec, s[0:1]
	s_and_saveexec_b64 s[0:1], s[8:9]
	s_cbranch_execnz .LBB2785_40
.LBB2785_30:
	s_or_b64 exec, exec, s[0:1]
	s_and_saveexec_b64 s[0:1], s[10:11]
	s_cbranch_execnz .LBB2785_41
.LBB2785_31:
	s_or_b64 exec, exec, s[0:1]
	s_and_saveexec_b64 s[0:1], s[12:13]
	s_cbranch_execnz .LBB2785_42
.LBB2785_32:
	s_or_b64 exec, exec, s[0:1]
	s_and_saveexec_b64 s[0:1], s[14:15]
	s_cbranch_execnz .LBB2785_43
.LBB2785_33:
	s_or_b64 exec, exec, s[0:1]
	s_and_saveexec_b64 s[0:1], s[16:17]
	s_cbranch_execnz .LBB2785_44
.LBB2785_34:
	s_endpgm
.LBB2785_35:
	ds_read_b32 v11, v14
	s_waitcnt lgkmcnt(0)
	global_store_dword v[2:3], v11, off
	s_or_b64 exec, exec, s[4:5]
	s_and_saveexec_b64 s[4:5], s[0:1]
	s_cbranch_execz .LBB2785_26
.LBB2785_36:
	s_waitcnt lgkmcnt(4)
	global_store_dword v[2:3], v8, off offset:512
	s_or_b64 exec, exec, s[4:5]
	s_and_saveexec_b64 s[0:1], s[2:3]
	s_cbranch_execz .LBB2785_27
.LBB2785_37:
	s_waitcnt lgkmcnt(4)
	global_store_dword v[2:3], v9, off offset:1024
	s_or_b64 exec, exec, s[0:1]
	s_and_saveexec_b64 s[0:1], s[18:19]
	s_cbranch_execz .LBB2785_28
.LBB2785_38:
	s_waitcnt lgkmcnt(3)
	global_store_dword v[2:3], v6, off offset:1536
	s_or_b64 exec, exec, s[0:1]
	s_and_saveexec_b64 s[0:1], s[6:7]
	s_cbranch_execz .LBB2785_29
.LBB2785_39:
	s_waitcnt lgkmcnt(3)
	global_store_dword v[2:3], v7, off offset:2048
	s_or_b64 exec, exec, s[0:1]
	s_and_saveexec_b64 s[0:1], s[8:9]
	s_cbranch_execz .LBB2785_30
.LBB2785_40:
	s_waitcnt lgkmcnt(2)
	global_store_dword v[2:3], v4, off offset:2560
	s_or_b64 exec, exec, s[0:1]
	s_and_saveexec_b64 s[0:1], s[10:11]
	s_cbranch_execz .LBB2785_31
.LBB2785_41:
	s_waitcnt lgkmcnt(2)
	global_store_dword v[2:3], v5, off offset:3072
	s_or_b64 exec, exec, s[0:1]
	s_and_saveexec_b64 s[0:1], s[12:13]
	s_cbranch_execz .LBB2785_32
.LBB2785_42:
	s_waitcnt lgkmcnt(1)
	global_store_dword v[2:3], v0, off offset:3584
	s_or_b64 exec, exec, s[0:1]
	s_and_saveexec_b64 s[0:1], s[14:15]
	s_cbranch_execz .LBB2785_33
.LBB2785_43:
	s_waitcnt lgkmcnt(2)
	v_add_co_u32_e32 v4, vcc, 0x1000, v2
	v_addc_co_u32_e32 v5, vcc, 0, v3, vcc
	s_waitcnt lgkmcnt(0)
	global_store_dword v[4:5], v10, off
	s_or_b64 exec, exec, s[0:1]
	s_and_saveexec_b64 s[0:1], s[16:17]
	s_cbranch_execz .LBB2785_34
.LBB2785_44:
	v_add_co_u32_e32 v2, vcc, 0x1000, v2
	v_addc_co_u32_e32 v3, vcc, 0, v3, vcc
	s_waitcnt lgkmcnt(1)
	global_store_dword v[2:3], v1, off offset:512
	s_endpgm
	.section	.rodata,"a",@progbits
	.p2align	6, 0x0
	.amdhsa_kernel _ZN7rocprim17ROCPRIM_400000_NS6detail17trampoline_kernelINS0_14default_configENS1_20scan_config_selectorIiEEZZNS1_9scan_implILNS1_25lookback_scan_determinismE0ELb1ELb1ES3_N6thrust23THRUST_200600_302600_NS6detail15normal_iteratorINS9_10device_ptrIiEEEESE_i11max_functorIiEiEEDaPvRmT3_T4_T5_mT6_P12ihipStream_tbENKUlT_T0_E_clISt17integral_constantIbLb0EESU_EEDaSP_SQ_EUlSP_E0_NS1_11comp_targetILNS1_3genE4ELNS1_11target_archE910ELNS1_3gpuE8ELNS1_3repE0EEENS1_30default_config_static_selectorELNS0_4arch9wavefront6targetE1EEEvT1_
		.amdhsa_group_segment_fixed_size 5120
		.amdhsa_private_segment_fixed_size 0
		.amdhsa_kernarg_size 32
		.amdhsa_user_sgpr_count 6
		.amdhsa_user_sgpr_private_segment_buffer 1
		.amdhsa_user_sgpr_dispatch_ptr 0
		.amdhsa_user_sgpr_queue_ptr 0
		.amdhsa_user_sgpr_kernarg_segment_ptr 1
		.amdhsa_user_sgpr_dispatch_id 0
		.amdhsa_user_sgpr_flat_scratch_init 0
		.amdhsa_user_sgpr_kernarg_preload_length 0
		.amdhsa_user_sgpr_kernarg_preload_offset 0
		.amdhsa_user_sgpr_private_segment_size 0
		.amdhsa_uses_dynamic_stack 0
		.amdhsa_system_sgpr_private_segment_wavefront_offset 0
		.amdhsa_system_sgpr_workgroup_id_x 1
		.amdhsa_system_sgpr_workgroup_id_y 0
		.amdhsa_system_sgpr_workgroup_id_z 0
		.amdhsa_system_sgpr_workgroup_info 0
		.amdhsa_system_vgpr_workitem_id 0
		.amdhsa_next_free_vgpr 19
		.amdhsa_next_free_sgpr 25
		.amdhsa_accum_offset 20
		.amdhsa_reserve_vcc 1
		.amdhsa_reserve_flat_scratch 0
		.amdhsa_float_round_mode_32 0
		.amdhsa_float_round_mode_16_64 0
		.amdhsa_float_denorm_mode_32 3
		.amdhsa_float_denorm_mode_16_64 3
		.amdhsa_dx10_clamp 1
		.amdhsa_ieee_mode 1
		.amdhsa_fp16_overflow 0
		.amdhsa_tg_split 0
		.amdhsa_exception_fp_ieee_invalid_op 0
		.amdhsa_exception_fp_denorm_src 0
		.amdhsa_exception_fp_ieee_div_zero 0
		.amdhsa_exception_fp_ieee_overflow 0
		.amdhsa_exception_fp_ieee_underflow 0
		.amdhsa_exception_fp_ieee_inexact 0
		.amdhsa_exception_int_div_zero 0
	.end_amdhsa_kernel
	.section	.text._ZN7rocprim17ROCPRIM_400000_NS6detail17trampoline_kernelINS0_14default_configENS1_20scan_config_selectorIiEEZZNS1_9scan_implILNS1_25lookback_scan_determinismE0ELb1ELb1ES3_N6thrust23THRUST_200600_302600_NS6detail15normal_iteratorINS9_10device_ptrIiEEEESE_i11max_functorIiEiEEDaPvRmT3_T4_T5_mT6_P12ihipStream_tbENKUlT_T0_E_clISt17integral_constantIbLb0EESU_EEDaSP_SQ_EUlSP_E0_NS1_11comp_targetILNS1_3genE4ELNS1_11target_archE910ELNS1_3gpuE8ELNS1_3repE0EEENS1_30default_config_static_selectorELNS0_4arch9wavefront6targetE1EEEvT1_,"axG",@progbits,_ZN7rocprim17ROCPRIM_400000_NS6detail17trampoline_kernelINS0_14default_configENS1_20scan_config_selectorIiEEZZNS1_9scan_implILNS1_25lookback_scan_determinismE0ELb1ELb1ES3_N6thrust23THRUST_200600_302600_NS6detail15normal_iteratorINS9_10device_ptrIiEEEESE_i11max_functorIiEiEEDaPvRmT3_T4_T5_mT6_P12ihipStream_tbENKUlT_T0_E_clISt17integral_constantIbLb0EESU_EEDaSP_SQ_EUlSP_E0_NS1_11comp_targetILNS1_3genE4ELNS1_11target_archE910ELNS1_3gpuE8ELNS1_3repE0EEENS1_30default_config_static_selectorELNS0_4arch9wavefront6targetE1EEEvT1_,comdat
.Lfunc_end2785:
	.size	_ZN7rocprim17ROCPRIM_400000_NS6detail17trampoline_kernelINS0_14default_configENS1_20scan_config_selectorIiEEZZNS1_9scan_implILNS1_25lookback_scan_determinismE0ELb1ELb1ES3_N6thrust23THRUST_200600_302600_NS6detail15normal_iteratorINS9_10device_ptrIiEEEESE_i11max_functorIiEiEEDaPvRmT3_T4_T5_mT6_P12ihipStream_tbENKUlT_T0_E_clISt17integral_constantIbLb0EESU_EEDaSP_SQ_EUlSP_E0_NS1_11comp_targetILNS1_3genE4ELNS1_11target_archE910ELNS1_3gpuE8ELNS1_3repE0EEENS1_30default_config_static_selectorELNS0_4arch9wavefront6targetE1EEEvT1_, .Lfunc_end2785-_ZN7rocprim17ROCPRIM_400000_NS6detail17trampoline_kernelINS0_14default_configENS1_20scan_config_selectorIiEEZZNS1_9scan_implILNS1_25lookback_scan_determinismE0ELb1ELb1ES3_N6thrust23THRUST_200600_302600_NS6detail15normal_iteratorINS9_10device_ptrIiEEEESE_i11max_functorIiEiEEDaPvRmT3_T4_T5_mT6_P12ihipStream_tbENKUlT_T0_E_clISt17integral_constantIbLb0EESU_EEDaSP_SQ_EUlSP_E0_NS1_11comp_targetILNS1_3genE4ELNS1_11target_archE910ELNS1_3gpuE8ELNS1_3repE0EEENS1_30default_config_static_selectorELNS0_4arch9wavefront6targetE1EEEvT1_
                                        ; -- End function
	.section	.AMDGPU.csdata,"",@progbits
; Kernel info:
; codeLenInByte = 1544
; NumSgprs: 29
; NumVgprs: 19
; NumAgprs: 0
; TotalNumVgprs: 19
; ScratchSize: 0
; MemoryBound: 0
; FloatMode: 240
; IeeeMode: 1
; LDSByteSize: 5120 bytes/workgroup (compile time only)
; SGPRBlocks: 3
; VGPRBlocks: 2
; NumSGPRsForWavesPerEU: 29
; NumVGPRsForWavesPerEU: 19
; AccumOffset: 20
; Occupancy: 6
; WaveLimiterHint : 0
; COMPUTE_PGM_RSRC2:SCRATCH_EN: 0
; COMPUTE_PGM_RSRC2:USER_SGPR: 6
; COMPUTE_PGM_RSRC2:TRAP_HANDLER: 0
; COMPUTE_PGM_RSRC2:TGID_X_EN: 1
; COMPUTE_PGM_RSRC2:TGID_Y_EN: 0
; COMPUTE_PGM_RSRC2:TGID_Z_EN: 0
; COMPUTE_PGM_RSRC2:TIDIG_COMP_CNT: 0
; COMPUTE_PGM_RSRC3_GFX90A:ACCUM_OFFSET: 4
; COMPUTE_PGM_RSRC3_GFX90A:TG_SPLIT: 0
	.section	.text._ZN7rocprim17ROCPRIM_400000_NS6detail17trampoline_kernelINS0_14default_configENS1_20scan_config_selectorIiEEZZNS1_9scan_implILNS1_25lookback_scan_determinismE0ELb1ELb1ES3_N6thrust23THRUST_200600_302600_NS6detail15normal_iteratorINS9_10device_ptrIiEEEESE_i11max_functorIiEiEEDaPvRmT3_T4_T5_mT6_P12ihipStream_tbENKUlT_T0_E_clISt17integral_constantIbLb0EESU_EEDaSP_SQ_EUlSP_E0_NS1_11comp_targetILNS1_3genE3ELNS1_11target_archE908ELNS1_3gpuE7ELNS1_3repE0EEENS1_30default_config_static_selectorELNS0_4arch9wavefront6targetE1EEEvT1_,"axG",@progbits,_ZN7rocprim17ROCPRIM_400000_NS6detail17trampoline_kernelINS0_14default_configENS1_20scan_config_selectorIiEEZZNS1_9scan_implILNS1_25lookback_scan_determinismE0ELb1ELb1ES3_N6thrust23THRUST_200600_302600_NS6detail15normal_iteratorINS9_10device_ptrIiEEEESE_i11max_functorIiEiEEDaPvRmT3_T4_T5_mT6_P12ihipStream_tbENKUlT_T0_E_clISt17integral_constantIbLb0EESU_EEDaSP_SQ_EUlSP_E0_NS1_11comp_targetILNS1_3genE3ELNS1_11target_archE908ELNS1_3gpuE7ELNS1_3repE0EEENS1_30default_config_static_selectorELNS0_4arch9wavefront6targetE1EEEvT1_,comdat
	.protected	_ZN7rocprim17ROCPRIM_400000_NS6detail17trampoline_kernelINS0_14default_configENS1_20scan_config_selectorIiEEZZNS1_9scan_implILNS1_25lookback_scan_determinismE0ELb1ELb1ES3_N6thrust23THRUST_200600_302600_NS6detail15normal_iteratorINS9_10device_ptrIiEEEESE_i11max_functorIiEiEEDaPvRmT3_T4_T5_mT6_P12ihipStream_tbENKUlT_T0_E_clISt17integral_constantIbLb0EESU_EEDaSP_SQ_EUlSP_E0_NS1_11comp_targetILNS1_3genE3ELNS1_11target_archE908ELNS1_3gpuE7ELNS1_3repE0EEENS1_30default_config_static_selectorELNS0_4arch9wavefront6targetE1EEEvT1_ ; -- Begin function _ZN7rocprim17ROCPRIM_400000_NS6detail17trampoline_kernelINS0_14default_configENS1_20scan_config_selectorIiEEZZNS1_9scan_implILNS1_25lookback_scan_determinismE0ELb1ELb1ES3_N6thrust23THRUST_200600_302600_NS6detail15normal_iteratorINS9_10device_ptrIiEEEESE_i11max_functorIiEiEEDaPvRmT3_T4_T5_mT6_P12ihipStream_tbENKUlT_T0_E_clISt17integral_constantIbLb0EESU_EEDaSP_SQ_EUlSP_E0_NS1_11comp_targetILNS1_3genE3ELNS1_11target_archE908ELNS1_3gpuE7ELNS1_3repE0EEENS1_30default_config_static_selectorELNS0_4arch9wavefront6targetE1EEEvT1_
	.globl	_ZN7rocprim17ROCPRIM_400000_NS6detail17trampoline_kernelINS0_14default_configENS1_20scan_config_selectorIiEEZZNS1_9scan_implILNS1_25lookback_scan_determinismE0ELb1ELb1ES3_N6thrust23THRUST_200600_302600_NS6detail15normal_iteratorINS9_10device_ptrIiEEEESE_i11max_functorIiEiEEDaPvRmT3_T4_T5_mT6_P12ihipStream_tbENKUlT_T0_E_clISt17integral_constantIbLb0EESU_EEDaSP_SQ_EUlSP_E0_NS1_11comp_targetILNS1_3genE3ELNS1_11target_archE908ELNS1_3gpuE7ELNS1_3repE0EEENS1_30default_config_static_selectorELNS0_4arch9wavefront6targetE1EEEvT1_
	.p2align	8
	.type	_ZN7rocprim17ROCPRIM_400000_NS6detail17trampoline_kernelINS0_14default_configENS1_20scan_config_selectorIiEEZZNS1_9scan_implILNS1_25lookback_scan_determinismE0ELb1ELb1ES3_N6thrust23THRUST_200600_302600_NS6detail15normal_iteratorINS9_10device_ptrIiEEEESE_i11max_functorIiEiEEDaPvRmT3_T4_T5_mT6_P12ihipStream_tbENKUlT_T0_E_clISt17integral_constantIbLb0EESU_EEDaSP_SQ_EUlSP_E0_NS1_11comp_targetILNS1_3genE3ELNS1_11target_archE908ELNS1_3gpuE7ELNS1_3repE0EEENS1_30default_config_static_selectorELNS0_4arch9wavefront6targetE1EEEvT1_,@function
_ZN7rocprim17ROCPRIM_400000_NS6detail17trampoline_kernelINS0_14default_configENS1_20scan_config_selectorIiEEZZNS1_9scan_implILNS1_25lookback_scan_determinismE0ELb1ELb1ES3_N6thrust23THRUST_200600_302600_NS6detail15normal_iteratorINS9_10device_ptrIiEEEESE_i11max_functorIiEiEEDaPvRmT3_T4_T5_mT6_P12ihipStream_tbENKUlT_T0_E_clISt17integral_constantIbLb0EESU_EEDaSP_SQ_EUlSP_E0_NS1_11comp_targetILNS1_3genE3ELNS1_11target_archE908ELNS1_3gpuE7ELNS1_3repE0EEENS1_30default_config_static_selectorELNS0_4arch9wavefront6targetE1EEEvT1_: ; @_ZN7rocprim17ROCPRIM_400000_NS6detail17trampoline_kernelINS0_14default_configENS1_20scan_config_selectorIiEEZZNS1_9scan_implILNS1_25lookback_scan_determinismE0ELb1ELb1ES3_N6thrust23THRUST_200600_302600_NS6detail15normal_iteratorINS9_10device_ptrIiEEEESE_i11max_functorIiEiEEDaPvRmT3_T4_T5_mT6_P12ihipStream_tbENKUlT_T0_E_clISt17integral_constantIbLb0EESU_EEDaSP_SQ_EUlSP_E0_NS1_11comp_targetILNS1_3genE3ELNS1_11target_archE908ELNS1_3gpuE7ELNS1_3repE0EEENS1_30default_config_static_selectorELNS0_4arch9wavefront6targetE1EEEvT1_
; %bb.0:
	.section	.rodata,"a",@progbits
	.p2align	6, 0x0
	.amdhsa_kernel _ZN7rocprim17ROCPRIM_400000_NS6detail17trampoline_kernelINS0_14default_configENS1_20scan_config_selectorIiEEZZNS1_9scan_implILNS1_25lookback_scan_determinismE0ELb1ELb1ES3_N6thrust23THRUST_200600_302600_NS6detail15normal_iteratorINS9_10device_ptrIiEEEESE_i11max_functorIiEiEEDaPvRmT3_T4_T5_mT6_P12ihipStream_tbENKUlT_T0_E_clISt17integral_constantIbLb0EESU_EEDaSP_SQ_EUlSP_E0_NS1_11comp_targetILNS1_3genE3ELNS1_11target_archE908ELNS1_3gpuE7ELNS1_3repE0EEENS1_30default_config_static_selectorELNS0_4arch9wavefront6targetE1EEEvT1_
		.amdhsa_group_segment_fixed_size 0
		.amdhsa_private_segment_fixed_size 0
		.amdhsa_kernarg_size 32
		.amdhsa_user_sgpr_count 6
		.amdhsa_user_sgpr_private_segment_buffer 1
		.amdhsa_user_sgpr_dispatch_ptr 0
		.amdhsa_user_sgpr_queue_ptr 0
		.amdhsa_user_sgpr_kernarg_segment_ptr 1
		.amdhsa_user_sgpr_dispatch_id 0
		.amdhsa_user_sgpr_flat_scratch_init 0
		.amdhsa_user_sgpr_kernarg_preload_length 0
		.amdhsa_user_sgpr_kernarg_preload_offset 0
		.amdhsa_user_sgpr_private_segment_size 0
		.amdhsa_uses_dynamic_stack 0
		.amdhsa_system_sgpr_private_segment_wavefront_offset 0
		.amdhsa_system_sgpr_workgroup_id_x 1
		.amdhsa_system_sgpr_workgroup_id_y 0
		.amdhsa_system_sgpr_workgroup_id_z 0
		.amdhsa_system_sgpr_workgroup_info 0
		.amdhsa_system_vgpr_workitem_id 0
		.amdhsa_next_free_vgpr 1
		.amdhsa_next_free_sgpr 0
		.amdhsa_accum_offset 4
		.amdhsa_reserve_vcc 0
		.amdhsa_reserve_flat_scratch 0
		.amdhsa_float_round_mode_32 0
		.amdhsa_float_round_mode_16_64 0
		.amdhsa_float_denorm_mode_32 3
		.amdhsa_float_denorm_mode_16_64 3
		.amdhsa_dx10_clamp 1
		.amdhsa_ieee_mode 1
		.amdhsa_fp16_overflow 0
		.amdhsa_tg_split 0
		.amdhsa_exception_fp_ieee_invalid_op 0
		.amdhsa_exception_fp_denorm_src 0
		.amdhsa_exception_fp_ieee_div_zero 0
		.amdhsa_exception_fp_ieee_overflow 0
		.amdhsa_exception_fp_ieee_underflow 0
		.amdhsa_exception_fp_ieee_inexact 0
		.amdhsa_exception_int_div_zero 0
	.end_amdhsa_kernel
	.section	.text._ZN7rocprim17ROCPRIM_400000_NS6detail17trampoline_kernelINS0_14default_configENS1_20scan_config_selectorIiEEZZNS1_9scan_implILNS1_25lookback_scan_determinismE0ELb1ELb1ES3_N6thrust23THRUST_200600_302600_NS6detail15normal_iteratorINS9_10device_ptrIiEEEESE_i11max_functorIiEiEEDaPvRmT3_T4_T5_mT6_P12ihipStream_tbENKUlT_T0_E_clISt17integral_constantIbLb0EESU_EEDaSP_SQ_EUlSP_E0_NS1_11comp_targetILNS1_3genE3ELNS1_11target_archE908ELNS1_3gpuE7ELNS1_3repE0EEENS1_30default_config_static_selectorELNS0_4arch9wavefront6targetE1EEEvT1_,"axG",@progbits,_ZN7rocprim17ROCPRIM_400000_NS6detail17trampoline_kernelINS0_14default_configENS1_20scan_config_selectorIiEEZZNS1_9scan_implILNS1_25lookback_scan_determinismE0ELb1ELb1ES3_N6thrust23THRUST_200600_302600_NS6detail15normal_iteratorINS9_10device_ptrIiEEEESE_i11max_functorIiEiEEDaPvRmT3_T4_T5_mT6_P12ihipStream_tbENKUlT_T0_E_clISt17integral_constantIbLb0EESU_EEDaSP_SQ_EUlSP_E0_NS1_11comp_targetILNS1_3genE3ELNS1_11target_archE908ELNS1_3gpuE7ELNS1_3repE0EEENS1_30default_config_static_selectorELNS0_4arch9wavefront6targetE1EEEvT1_,comdat
.Lfunc_end2786:
	.size	_ZN7rocprim17ROCPRIM_400000_NS6detail17trampoline_kernelINS0_14default_configENS1_20scan_config_selectorIiEEZZNS1_9scan_implILNS1_25lookback_scan_determinismE0ELb1ELb1ES3_N6thrust23THRUST_200600_302600_NS6detail15normal_iteratorINS9_10device_ptrIiEEEESE_i11max_functorIiEiEEDaPvRmT3_T4_T5_mT6_P12ihipStream_tbENKUlT_T0_E_clISt17integral_constantIbLb0EESU_EEDaSP_SQ_EUlSP_E0_NS1_11comp_targetILNS1_3genE3ELNS1_11target_archE908ELNS1_3gpuE7ELNS1_3repE0EEENS1_30default_config_static_selectorELNS0_4arch9wavefront6targetE1EEEvT1_, .Lfunc_end2786-_ZN7rocprim17ROCPRIM_400000_NS6detail17trampoline_kernelINS0_14default_configENS1_20scan_config_selectorIiEEZZNS1_9scan_implILNS1_25lookback_scan_determinismE0ELb1ELb1ES3_N6thrust23THRUST_200600_302600_NS6detail15normal_iteratorINS9_10device_ptrIiEEEESE_i11max_functorIiEiEEDaPvRmT3_T4_T5_mT6_P12ihipStream_tbENKUlT_T0_E_clISt17integral_constantIbLb0EESU_EEDaSP_SQ_EUlSP_E0_NS1_11comp_targetILNS1_3genE3ELNS1_11target_archE908ELNS1_3gpuE7ELNS1_3repE0EEENS1_30default_config_static_selectorELNS0_4arch9wavefront6targetE1EEEvT1_
                                        ; -- End function
	.section	.AMDGPU.csdata,"",@progbits
; Kernel info:
; codeLenInByte = 0
; NumSgprs: 4
; NumVgprs: 0
; NumAgprs: 0
; TotalNumVgprs: 0
; ScratchSize: 0
; MemoryBound: 0
; FloatMode: 240
; IeeeMode: 1
; LDSByteSize: 0 bytes/workgroup (compile time only)
; SGPRBlocks: 0
; VGPRBlocks: 0
; NumSGPRsForWavesPerEU: 4
; NumVGPRsForWavesPerEU: 1
; AccumOffset: 4
; Occupancy: 8
; WaveLimiterHint : 0
; COMPUTE_PGM_RSRC2:SCRATCH_EN: 0
; COMPUTE_PGM_RSRC2:USER_SGPR: 6
; COMPUTE_PGM_RSRC2:TRAP_HANDLER: 0
; COMPUTE_PGM_RSRC2:TGID_X_EN: 1
; COMPUTE_PGM_RSRC2:TGID_Y_EN: 0
; COMPUTE_PGM_RSRC2:TGID_Z_EN: 0
; COMPUTE_PGM_RSRC2:TIDIG_COMP_CNT: 0
; COMPUTE_PGM_RSRC3_GFX90A:ACCUM_OFFSET: 0
; COMPUTE_PGM_RSRC3_GFX90A:TG_SPLIT: 0
	.section	.text._ZN7rocprim17ROCPRIM_400000_NS6detail17trampoline_kernelINS0_14default_configENS1_20scan_config_selectorIiEEZZNS1_9scan_implILNS1_25lookback_scan_determinismE0ELb1ELb1ES3_N6thrust23THRUST_200600_302600_NS6detail15normal_iteratorINS9_10device_ptrIiEEEESE_i11max_functorIiEiEEDaPvRmT3_T4_T5_mT6_P12ihipStream_tbENKUlT_T0_E_clISt17integral_constantIbLb0EESU_EEDaSP_SQ_EUlSP_E0_NS1_11comp_targetILNS1_3genE2ELNS1_11target_archE906ELNS1_3gpuE6ELNS1_3repE0EEENS1_30default_config_static_selectorELNS0_4arch9wavefront6targetE1EEEvT1_,"axG",@progbits,_ZN7rocprim17ROCPRIM_400000_NS6detail17trampoline_kernelINS0_14default_configENS1_20scan_config_selectorIiEEZZNS1_9scan_implILNS1_25lookback_scan_determinismE0ELb1ELb1ES3_N6thrust23THRUST_200600_302600_NS6detail15normal_iteratorINS9_10device_ptrIiEEEESE_i11max_functorIiEiEEDaPvRmT3_T4_T5_mT6_P12ihipStream_tbENKUlT_T0_E_clISt17integral_constantIbLb0EESU_EEDaSP_SQ_EUlSP_E0_NS1_11comp_targetILNS1_3genE2ELNS1_11target_archE906ELNS1_3gpuE6ELNS1_3repE0EEENS1_30default_config_static_selectorELNS0_4arch9wavefront6targetE1EEEvT1_,comdat
	.protected	_ZN7rocprim17ROCPRIM_400000_NS6detail17trampoline_kernelINS0_14default_configENS1_20scan_config_selectorIiEEZZNS1_9scan_implILNS1_25lookback_scan_determinismE0ELb1ELb1ES3_N6thrust23THRUST_200600_302600_NS6detail15normal_iteratorINS9_10device_ptrIiEEEESE_i11max_functorIiEiEEDaPvRmT3_T4_T5_mT6_P12ihipStream_tbENKUlT_T0_E_clISt17integral_constantIbLb0EESU_EEDaSP_SQ_EUlSP_E0_NS1_11comp_targetILNS1_3genE2ELNS1_11target_archE906ELNS1_3gpuE6ELNS1_3repE0EEENS1_30default_config_static_selectorELNS0_4arch9wavefront6targetE1EEEvT1_ ; -- Begin function _ZN7rocprim17ROCPRIM_400000_NS6detail17trampoline_kernelINS0_14default_configENS1_20scan_config_selectorIiEEZZNS1_9scan_implILNS1_25lookback_scan_determinismE0ELb1ELb1ES3_N6thrust23THRUST_200600_302600_NS6detail15normal_iteratorINS9_10device_ptrIiEEEESE_i11max_functorIiEiEEDaPvRmT3_T4_T5_mT6_P12ihipStream_tbENKUlT_T0_E_clISt17integral_constantIbLb0EESU_EEDaSP_SQ_EUlSP_E0_NS1_11comp_targetILNS1_3genE2ELNS1_11target_archE906ELNS1_3gpuE6ELNS1_3repE0EEENS1_30default_config_static_selectorELNS0_4arch9wavefront6targetE1EEEvT1_
	.globl	_ZN7rocprim17ROCPRIM_400000_NS6detail17trampoline_kernelINS0_14default_configENS1_20scan_config_selectorIiEEZZNS1_9scan_implILNS1_25lookback_scan_determinismE0ELb1ELb1ES3_N6thrust23THRUST_200600_302600_NS6detail15normal_iteratorINS9_10device_ptrIiEEEESE_i11max_functorIiEiEEDaPvRmT3_T4_T5_mT6_P12ihipStream_tbENKUlT_T0_E_clISt17integral_constantIbLb0EESU_EEDaSP_SQ_EUlSP_E0_NS1_11comp_targetILNS1_3genE2ELNS1_11target_archE906ELNS1_3gpuE6ELNS1_3repE0EEENS1_30default_config_static_selectorELNS0_4arch9wavefront6targetE1EEEvT1_
	.p2align	8
	.type	_ZN7rocprim17ROCPRIM_400000_NS6detail17trampoline_kernelINS0_14default_configENS1_20scan_config_selectorIiEEZZNS1_9scan_implILNS1_25lookback_scan_determinismE0ELb1ELb1ES3_N6thrust23THRUST_200600_302600_NS6detail15normal_iteratorINS9_10device_ptrIiEEEESE_i11max_functorIiEiEEDaPvRmT3_T4_T5_mT6_P12ihipStream_tbENKUlT_T0_E_clISt17integral_constantIbLb0EESU_EEDaSP_SQ_EUlSP_E0_NS1_11comp_targetILNS1_3genE2ELNS1_11target_archE906ELNS1_3gpuE6ELNS1_3repE0EEENS1_30default_config_static_selectorELNS0_4arch9wavefront6targetE1EEEvT1_,@function
_ZN7rocprim17ROCPRIM_400000_NS6detail17trampoline_kernelINS0_14default_configENS1_20scan_config_selectorIiEEZZNS1_9scan_implILNS1_25lookback_scan_determinismE0ELb1ELb1ES3_N6thrust23THRUST_200600_302600_NS6detail15normal_iteratorINS9_10device_ptrIiEEEESE_i11max_functorIiEiEEDaPvRmT3_T4_T5_mT6_P12ihipStream_tbENKUlT_T0_E_clISt17integral_constantIbLb0EESU_EEDaSP_SQ_EUlSP_E0_NS1_11comp_targetILNS1_3genE2ELNS1_11target_archE906ELNS1_3gpuE6ELNS1_3repE0EEENS1_30default_config_static_selectorELNS0_4arch9wavefront6targetE1EEEvT1_: ; @_ZN7rocprim17ROCPRIM_400000_NS6detail17trampoline_kernelINS0_14default_configENS1_20scan_config_selectorIiEEZZNS1_9scan_implILNS1_25lookback_scan_determinismE0ELb1ELb1ES3_N6thrust23THRUST_200600_302600_NS6detail15normal_iteratorINS9_10device_ptrIiEEEESE_i11max_functorIiEiEEDaPvRmT3_T4_T5_mT6_P12ihipStream_tbENKUlT_T0_E_clISt17integral_constantIbLb0EESU_EEDaSP_SQ_EUlSP_E0_NS1_11comp_targetILNS1_3genE2ELNS1_11target_archE906ELNS1_3gpuE6ELNS1_3repE0EEENS1_30default_config_static_selectorELNS0_4arch9wavefront6targetE1EEEvT1_
; %bb.0:
	.section	.rodata,"a",@progbits
	.p2align	6, 0x0
	.amdhsa_kernel _ZN7rocprim17ROCPRIM_400000_NS6detail17trampoline_kernelINS0_14default_configENS1_20scan_config_selectorIiEEZZNS1_9scan_implILNS1_25lookback_scan_determinismE0ELb1ELb1ES3_N6thrust23THRUST_200600_302600_NS6detail15normal_iteratorINS9_10device_ptrIiEEEESE_i11max_functorIiEiEEDaPvRmT3_T4_T5_mT6_P12ihipStream_tbENKUlT_T0_E_clISt17integral_constantIbLb0EESU_EEDaSP_SQ_EUlSP_E0_NS1_11comp_targetILNS1_3genE2ELNS1_11target_archE906ELNS1_3gpuE6ELNS1_3repE0EEENS1_30default_config_static_selectorELNS0_4arch9wavefront6targetE1EEEvT1_
		.amdhsa_group_segment_fixed_size 0
		.amdhsa_private_segment_fixed_size 0
		.amdhsa_kernarg_size 32
		.amdhsa_user_sgpr_count 6
		.amdhsa_user_sgpr_private_segment_buffer 1
		.amdhsa_user_sgpr_dispatch_ptr 0
		.amdhsa_user_sgpr_queue_ptr 0
		.amdhsa_user_sgpr_kernarg_segment_ptr 1
		.amdhsa_user_sgpr_dispatch_id 0
		.amdhsa_user_sgpr_flat_scratch_init 0
		.amdhsa_user_sgpr_kernarg_preload_length 0
		.amdhsa_user_sgpr_kernarg_preload_offset 0
		.amdhsa_user_sgpr_private_segment_size 0
		.amdhsa_uses_dynamic_stack 0
		.amdhsa_system_sgpr_private_segment_wavefront_offset 0
		.amdhsa_system_sgpr_workgroup_id_x 1
		.amdhsa_system_sgpr_workgroup_id_y 0
		.amdhsa_system_sgpr_workgroup_id_z 0
		.amdhsa_system_sgpr_workgroup_info 0
		.amdhsa_system_vgpr_workitem_id 0
		.amdhsa_next_free_vgpr 1
		.amdhsa_next_free_sgpr 0
		.amdhsa_accum_offset 4
		.amdhsa_reserve_vcc 0
		.amdhsa_reserve_flat_scratch 0
		.amdhsa_float_round_mode_32 0
		.amdhsa_float_round_mode_16_64 0
		.amdhsa_float_denorm_mode_32 3
		.amdhsa_float_denorm_mode_16_64 3
		.amdhsa_dx10_clamp 1
		.amdhsa_ieee_mode 1
		.amdhsa_fp16_overflow 0
		.amdhsa_tg_split 0
		.amdhsa_exception_fp_ieee_invalid_op 0
		.amdhsa_exception_fp_denorm_src 0
		.amdhsa_exception_fp_ieee_div_zero 0
		.amdhsa_exception_fp_ieee_overflow 0
		.amdhsa_exception_fp_ieee_underflow 0
		.amdhsa_exception_fp_ieee_inexact 0
		.amdhsa_exception_int_div_zero 0
	.end_amdhsa_kernel
	.section	.text._ZN7rocprim17ROCPRIM_400000_NS6detail17trampoline_kernelINS0_14default_configENS1_20scan_config_selectorIiEEZZNS1_9scan_implILNS1_25lookback_scan_determinismE0ELb1ELb1ES3_N6thrust23THRUST_200600_302600_NS6detail15normal_iteratorINS9_10device_ptrIiEEEESE_i11max_functorIiEiEEDaPvRmT3_T4_T5_mT6_P12ihipStream_tbENKUlT_T0_E_clISt17integral_constantIbLb0EESU_EEDaSP_SQ_EUlSP_E0_NS1_11comp_targetILNS1_3genE2ELNS1_11target_archE906ELNS1_3gpuE6ELNS1_3repE0EEENS1_30default_config_static_selectorELNS0_4arch9wavefront6targetE1EEEvT1_,"axG",@progbits,_ZN7rocprim17ROCPRIM_400000_NS6detail17trampoline_kernelINS0_14default_configENS1_20scan_config_selectorIiEEZZNS1_9scan_implILNS1_25lookback_scan_determinismE0ELb1ELb1ES3_N6thrust23THRUST_200600_302600_NS6detail15normal_iteratorINS9_10device_ptrIiEEEESE_i11max_functorIiEiEEDaPvRmT3_T4_T5_mT6_P12ihipStream_tbENKUlT_T0_E_clISt17integral_constantIbLb0EESU_EEDaSP_SQ_EUlSP_E0_NS1_11comp_targetILNS1_3genE2ELNS1_11target_archE906ELNS1_3gpuE6ELNS1_3repE0EEENS1_30default_config_static_selectorELNS0_4arch9wavefront6targetE1EEEvT1_,comdat
.Lfunc_end2787:
	.size	_ZN7rocprim17ROCPRIM_400000_NS6detail17trampoline_kernelINS0_14default_configENS1_20scan_config_selectorIiEEZZNS1_9scan_implILNS1_25lookback_scan_determinismE0ELb1ELb1ES3_N6thrust23THRUST_200600_302600_NS6detail15normal_iteratorINS9_10device_ptrIiEEEESE_i11max_functorIiEiEEDaPvRmT3_T4_T5_mT6_P12ihipStream_tbENKUlT_T0_E_clISt17integral_constantIbLb0EESU_EEDaSP_SQ_EUlSP_E0_NS1_11comp_targetILNS1_3genE2ELNS1_11target_archE906ELNS1_3gpuE6ELNS1_3repE0EEENS1_30default_config_static_selectorELNS0_4arch9wavefront6targetE1EEEvT1_, .Lfunc_end2787-_ZN7rocprim17ROCPRIM_400000_NS6detail17trampoline_kernelINS0_14default_configENS1_20scan_config_selectorIiEEZZNS1_9scan_implILNS1_25lookback_scan_determinismE0ELb1ELb1ES3_N6thrust23THRUST_200600_302600_NS6detail15normal_iteratorINS9_10device_ptrIiEEEESE_i11max_functorIiEiEEDaPvRmT3_T4_T5_mT6_P12ihipStream_tbENKUlT_T0_E_clISt17integral_constantIbLb0EESU_EEDaSP_SQ_EUlSP_E0_NS1_11comp_targetILNS1_3genE2ELNS1_11target_archE906ELNS1_3gpuE6ELNS1_3repE0EEENS1_30default_config_static_selectorELNS0_4arch9wavefront6targetE1EEEvT1_
                                        ; -- End function
	.section	.AMDGPU.csdata,"",@progbits
; Kernel info:
; codeLenInByte = 0
; NumSgprs: 4
; NumVgprs: 0
; NumAgprs: 0
; TotalNumVgprs: 0
; ScratchSize: 0
; MemoryBound: 0
; FloatMode: 240
; IeeeMode: 1
; LDSByteSize: 0 bytes/workgroup (compile time only)
; SGPRBlocks: 0
; VGPRBlocks: 0
; NumSGPRsForWavesPerEU: 4
; NumVGPRsForWavesPerEU: 1
; AccumOffset: 4
; Occupancy: 8
; WaveLimiterHint : 0
; COMPUTE_PGM_RSRC2:SCRATCH_EN: 0
; COMPUTE_PGM_RSRC2:USER_SGPR: 6
; COMPUTE_PGM_RSRC2:TRAP_HANDLER: 0
; COMPUTE_PGM_RSRC2:TGID_X_EN: 1
; COMPUTE_PGM_RSRC2:TGID_Y_EN: 0
; COMPUTE_PGM_RSRC2:TGID_Z_EN: 0
; COMPUTE_PGM_RSRC2:TIDIG_COMP_CNT: 0
; COMPUTE_PGM_RSRC3_GFX90A:ACCUM_OFFSET: 0
; COMPUTE_PGM_RSRC3_GFX90A:TG_SPLIT: 0
	.section	.text._ZN7rocprim17ROCPRIM_400000_NS6detail17trampoline_kernelINS0_14default_configENS1_20scan_config_selectorIiEEZZNS1_9scan_implILNS1_25lookback_scan_determinismE0ELb1ELb1ES3_N6thrust23THRUST_200600_302600_NS6detail15normal_iteratorINS9_10device_ptrIiEEEESE_i11max_functorIiEiEEDaPvRmT3_T4_T5_mT6_P12ihipStream_tbENKUlT_T0_E_clISt17integral_constantIbLb0EESU_EEDaSP_SQ_EUlSP_E0_NS1_11comp_targetILNS1_3genE10ELNS1_11target_archE1201ELNS1_3gpuE5ELNS1_3repE0EEENS1_30default_config_static_selectorELNS0_4arch9wavefront6targetE1EEEvT1_,"axG",@progbits,_ZN7rocprim17ROCPRIM_400000_NS6detail17trampoline_kernelINS0_14default_configENS1_20scan_config_selectorIiEEZZNS1_9scan_implILNS1_25lookback_scan_determinismE0ELb1ELb1ES3_N6thrust23THRUST_200600_302600_NS6detail15normal_iteratorINS9_10device_ptrIiEEEESE_i11max_functorIiEiEEDaPvRmT3_T4_T5_mT6_P12ihipStream_tbENKUlT_T0_E_clISt17integral_constantIbLb0EESU_EEDaSP_SQ_EUlSP_E0_NS1_11comp_targetILNS1_3genE10ELNS1_11target_archE1201ELNS1_3gpuE5ELNS1_3repE0EEENS1_30default_config_static_selectorELNS0_4arch9wavefront6targetE1EEEvT1_,comdat
	.protected	_ZN7rocprim17ROCPRIM_400000_NS6detail17trampoline_kernelINS0_14default_configENS1_20scan_config_selectorIiEEZZNS1_9scan_implILNS1_25lookback_scan_determinismE0ELb1ELb1ES3_N6thrust23THRUST_200600_302600_NS6detail15normal_iteratorINS9_10device_ptrIiEEEESE_i11max_functorIiEiEEDaPvRmT3_T4_T5_mT6_P12ihipStream_tbENKUlT_T0_E_clISt17integral_constantIbLb0EESU_EEDaSP_SQ_EUlSP_E0_NS1_11comp_targetILNS1_3genE10ELNS1_11target_archE1201ELNS1_3gpuE5ELNS1_3repE0EEENS1_30default_config_static_selectorELNS0_4arch9wavefront6targetE1EEEvT1_ ; -- Begin function _ZN7rocprim17ROCPRIM_400000_NS6detail17trampoline_kernelINS0_14default_configENS1_20scan_config_selectorIiEEZZNS1_9scan_implILNS1_25lookback_scan_determinismE0ELb1ELb1ES3_N6thrust23THRUST_200600_302600_NS6detail15normal_iteratorINS9_10device_ptrIiEEEESE_i11max_functorIiEiEEDaPvRmT3_T4_T5_mT6_P12ihipStream_tbENKUlT_T0_E_clISt17integral_constantIbLb0EESU_EEDaSP_SQ_EUlSP_E0_NS1_11comp_targetILNS1_3genE10ELNS1_11target_archE1201ELNS1_3gpuE5ELNS1_3repE0EEENS1_30default_config_static_selectorELNS0_4arch9wavefront6targetE1EEEvT1_
	.globl	_ZN7rocprim17ROCPRIM_400000_NS6detail17trampoline_kernelINS0_14default_configENS1_20scan_config_selectorIiEEZZNS1_9scan_implILNS1_25lookback_scan_determinismE0ELb1ELb1ES3_N6thrust23THRUST_200600_302600_NS6detail15normal_iteratorINS9_10device_ptrIiEEEESE_i11max_functorIiEiEEDaPvRmT3_T4_T5_mT6_P12ihipStream_tbENKUlT_T0_E_clISt17integral_constantIbLb0EESU_EEDaSP_SQ_EUlSP_E0_NS1_11comp_targetILNS1_3genE10ELNS1_11target_archE1201ELNS1_3gpuE5ELNS1_3repE0EEENS1_30default_config_static_selectorELNS0_4arch9wavefront6targetE1EEEvT1_
	.p2align	8
	.type	_ZN7rocprim17ROCPRIM_400000_NS6detail17trampoline_kernelINS0_14default_configENS1_20scan_config_selectorIiEEZZNS1_9scan_implILNS1_25lookback_scan_determinismE0ELb1ELb1ES3_N6thrust23THRUST_200600_302600_NS6detail15normal_iteratorINS9_10device_ptrIiEEEESE_i11max_functorIiEiEEDaPvRmT3_T4_T5_mT6_P12ihipStream_tbENKUlT_T0_E_clISt17integral_constantIbLb0EESU_EEDaSP_SQ_EUlSP_E0_NS1_11comp_targetILNS1_3genE10ELNS1_11target_archE1201ELNS1_3gpuE5ELNS1_3repE0EEENS1_30default_config_static_selectorELNS0_4arch9wavefront6targetE1EEEvT1_,@function
_ZN7rocprim17ROCPRIM_400000_NS6detail17trampoline_kernelINS0_14default_configENS1_20scan_config_selectorIiEEZZNS1_9scan_implILNS1_25lookback_scan_determinismE0ELb1ELb1ES3_N6thrust23THRUST_200600_302600_NS6detail15normal_iteratorINS9_10device_ptrIiEEEESE_i11max_functorIiEiEEDaPvRmT3_T4_T5_mT6_P12ihipStream_tbENKUlT_T0_E_clISt17integral_constantIbLb0EESU_EEDaSP_SQ_EUlSP_E0_NS1_11comp_targetILNS1_3genE10ELNS1_11target_archE1201ELNS1_3gpuE5ELNS1_3repE0EEENS1_30default_config_static_selectorELNS0_4arch9wavefront6targetE1EEEvT1_: ; @_ZN7rocprim17ROCPRIM_400000_NS6detail17trampoline_kernelINS0_14default_configENS1_20scan_config_selectorIiEEZZNS1_9scan_implILNS1_25lookback_scan_determinismE0ELb1ELb1ES3_N6thrust23THRUST_200600_302600_NS6detail15normal_iteratorINS9_10device_ptrIiEEEESE_i11max_functorIiEiEEDaPvRmT3_T4_T5_mT6_P12ihipStream_tbENKUlT_T0_E_clISt17integral_constantIbLb0EESU_EEDaSP_SQ_EUlSP_E0_NS1_11comp_targetILNS1_3genE10ELNS1_11target_archE1201ELNS1_3gpuE5ELNS1_3repE0EEENS1_30default_config_static_selectorELNS0_4arch9wavefront6targetE1EEEvT1_
; %bb.0:
	.section	.rodata,"a",@progbits
	.p2align	6, 0x0
	.amdhsa_kernel _ZN7rocprim17ROCPRIM_400000_NS6detail17trampoline_kernelINS0_14default_configENS1_20scan_config_selectorIiEEZZNS1_9scan_implILNS1_25lookback_scan_determinismE0ELb1ELb1ES3_N6thrust23THRUST_200600_302600_NS6detail15normal_iteratorINS9_10device_ptrIiEEEESE_i11max_functorIiEiEEDaPvRmT3_T4_T5_mT6_P12ihipStream_tbENKUlT_T0_E_clISt17integral_constantIbLb0EESU_EEDaSP_SQ_EUlSP_E0_NS1_11comp_targetILNS1_3genE10ELNS1_11target_archE1201ELNS1_3gpuE5ELNS1_3repE0EEENS1_30default_config_static_selectorELNS0_4arch9wavefront6targetE1EEEvT1_
		.amdhsa_group_segment_fixed_size 0
		.amdhsa_private_segment_fixed_size 0
		.amdhsa_kernarg_size 32
		.amdhsa_user_sgpr_count 6
		.amdhsa_user_sgpr_private_segment_buffer 1
		.amdhsa_user_sgpr_dispatch_ptr 0
		.amdhsa_user_sgpr_queue_ptr 0
		.amdhsa_user_sgpr_kernarg_segment_ptr 1
		.amdhsa_user_sgpr_dispatch_id 0
		.amdhsa_user_sgpr_flat_scratch_init 0
		.amdhsa_user_sgpr_kernarg_preload_length 0
		.amdhsa_user_sgpr_kernarg_preload_offset 0
		.amdhsa_user_sgpr_private_segment_size 0
		.amdhsa_uses_dynamic_stack 0
		.amdhsa_system_sgpr_private_segment_wavefront_offset 0
		.amdhsa_system_sgpr_workgroup_id_x 1
		.amdhsa_system_sgpr_workgroup_id_y 0
		.amdhsa_system_sgpr_workgroup_id_z 0
		.amdhsa_system_sgpr_workgroup_info 0
		.amdhsa_system_vgpr_workitem_id 0
		.amdhsa_next_free_vgpr 1
		.amdhsa_next_free_sgpr 0
		.amdhsa_accum_offset 4
		.amdhsa_reserve_vcc 0
		.amdhsa_reserve_flat_scratch 0
		.amdhsa_float_round_mode_32 0
		.amdhsa_float_round_mode_16_64 0
		.amdhsa_float_denorm_mode_32 3
		.amdhsa_float_denorm_mode_16_64 3
		.amdhsa_dx10_clamp 1
		.amdhsa_ieee_mode 1
		.amdhsa_fp16_overflow 0
		.amdhsa_tg_split 0
		.amdhsa_exception_fp_ieee_invalid_op 0
		.amdhsa_exception_fp_denorm_src 0
		.amdhsa_exception_fp_ieee_div_zero 0
		.amdhsa_exception_fp_ieee_overflow 0
		.amdhsa_exception_fp_ieee_underflow 0
		.amdhsa_exception_fp_ieee_inexact 0
		.amdhsa_exception_int_div_zero 0
	.end_amdhsa_kernel
	.section	.text._ZN7rocprim17ROCPRIM_400000_NS6detail17trampoline_kernelINS0_14default_configENS1_20scan_config_selectorIiEEZZNS1_9scan_implILNS1_25lookback_scan_determinismE0ELb1ELb1ES3_N6thrust23THRUST_200600_302600_NS6detail15normal_iteratorINS9_10device_ptrIiEEEESE_i11max_functorIiEiEEDaPvRmT3_T4_T5_mT6_P12ihipStream_tbENKUlT_T0_E_clISt17integral_constantIbLb0EESU_EEDaSP_SQ_EUlSP_E0_NS1_11comp_targetILNS1_3genE10ELNS1_11target_archE1201ELNS1_3gpuE5ELNS1_3repE0EEENS1_30default_config_static_selectorELNS0_4arch9wavefront6targetE1EEEvT1_,"axG",@progbits,_ZN7rocprim17ROCPRIM_400000_NS6detail17trampoline_kernelINS0_14default_configENS1_20scan_config_selectorIiEEZZNS1_9scan_implILNS1_25lookback_scan_determinismE0ELb1ELb1ES3_N6thrust23THRUST_200600_302600_NS6detail15normal_iteratorINS9_10device_ptrIiEEEESE_i11max_functorIiEiEEDaPvRmT3_T4_T5_mT6_P12ihipStream_tbENKUlT_T0_E_clISt17integral_constantIbLb0EESU_EEDaSP_SQ_EUlSP_E0_NS1_11comp_targetILNS1_3genE10ELNS1_11target_archE1201ELNS1_3gpuE5ELNS1_3repE0EEENS1_30default_config_static_selectorELNS0_4arch9wavefront6targetE1EEEvT1_,comdat
.Lfunc_end2788:
	.size	_ZN7rocprim17ROCPRIM_400000_NS6detail17trampoline_kernelINS0_14default_configENS1_20scan_config_selectorIiEEZZNS1_9scan_implILNS1_25lookback_scan_determinismE0ELb1ELb1ES3_N6thrust23THRUST_200600_302600_NS6detail15normal_iteratorINS9_10device_ptrIiEEEESE_i11max_functorIiEiEEDaPvRmT3_T4_T5_mT6_P12ihipStream_tbENKUlT_T0_E_clISt17integral_constantIbLb0EESU_EEDaSP_SQ_EUlSP_E0_NS1_11comp_targetILNS1_3genE10ELNS1_11target_archE1201ELNS1_3gpuE5ELNS1_3repE0EEENS1_30default_config_static_selectorELNS0_4arch9wavefront6targetE1EEEvT1_, .Lfunc_end2788-_ZN7rocprim17ROCPRIM_400000_NS6detail17trampoline_kernelINS0_14default_configENS1_20scan_config_selectorIiEEZZNS1_9scan_implILNS1_25lookback_scan_determinismE0ELb1ELb1ES3_N6thrust23THRUST_200600_302600_NS6detail15normal_iteratorINS9_10device_ptrIiEEEESE_i11max_functorIiEiEEDaPvRmT3_T4_T5_mT6_P12ihipStream_tbENKUlT_T0_E_clISt17integral_constantIbLb0EESU_EEDaSP_SQ_EUlSP_E0_NS1_11comp_targetILNS1_3genE10ELNS1_11target_archE1201ELNS1_3gpuE5ELNS1_3repE0EEENS1_30default_config_static_selectorELNS0_4arch9wavefront6targetE1EEEvT1_
                                        ; -- End function
	.section	.AMDGPU.csdata,"",@progbits
; Kernel info:
; codeLenInByte = 0
; NumSgprs: 4
; NumVgprs: 0
; NumAgprs: 0
; TotalNumVgprs: 0
; ScratchSize: 0
; MemoryBound: 0
; FloatMode: 240
; IeeeMode: 1
; LDSByteSize: 0 bytes/workgroup (compile time only)
; SGPRBlocks: 0
; VGPRBlocks: 0
; NumSGPRsForWavesPerEU: 4
; NumVGPRsForWavesPerEU: 1
; AccumOffset: 4
; Occupancy: 8
; WaveLimiterHint : 0
; COMPUTE_PGM_RSRC2:SCRATCH_EN: 0
; COMPUTE_PGM_RSRC2:USER_SGPR: 6
; COMPUTE_PGM_RSRC2:TRAP_HANDLER: 0
; COMPUTE_PGM_RSRC2:TGID_X_EN: 1
; COMPUTE_PGM_RSRC2:TGID_Y_EN: 0
; COMPUTE_PGM_RSRC2:TGID_Z_EN: 0
; COMPUTE_PGM_RSRC2:TIDIG_COMP_CNT: 0
; COMPUTE_PGM_RSRC3_GFX90A:ACCUM_OFFSET: 0
; COMPUTE_PGM_RSRC3_GFX90A:TG_SPLIT: 0
	.section	.text._ZN7rocprim17ROCPRIM_400000_NS6detail17trampoline_kernelINS0_14default_configENS1_20scan_config_selectorIiEEZZNS1_9scan_implILNS1_25lookback_scan_determinismE0ELb1ELb1ES3_N6thrust23THRUST_200600_302600_NS6detail15normal_iteratorINS9_10device_ptrIiEEEESE_i11max_functorIiEiEEDaPvRmT3_T4_T5_mT6_P12ihipStream_tbENKUlT_T0_E_clISt17integral_constantIbLb0EESU_EEDaSP_SQ_EUlSP_E0_NS1_11comp_targetILNS1_3genE10ELNS1_11target_archE1200ELNS1_3gpuE4ELNS1_3repE0EEENS1_30default_config_static_selectorELNS0_4arch9wavefront6targetE1EEEvT1_,"axG",@progbits,_ZN7rocprim17ROCPRIM_400000_NS6detail17trampoline_kernelINS0_14default_configENS1_20scan_config_selectorIiEEZZNS1_9scan_implILNS1_25lookback_scan_determinismE0ELb1ELb1ES3_N6thrust23THRUST_200600_302600_NS6detail15normal_iteratorINS9_10device_ptrIiEEEESE_i11max_functorIiEiEEDaPvRmT3_T4_T5_mT6_P12ihipStream_tbENKUlT_T0_E_clISt17integral_constantIbLb0EESU_EEDaSP_SQ_EUlSP_E0_NS1_11comp_targetILNS1_3genE10ELNS1_11target_archE1200ELNS1_3gpuE4ELNS1_3repE0EEENS1_30default_config_static_selectorELNS0_4arch9wavefront6targetE1EEEvT1_,comdat
	.protected	_ZN7rocprim17ROCPRIM_400000_NS6detail17trampoline_kernelINS0_14default_configENS1_20scan_config_selectorIiEEZZNS1_9scan_implILNS1_25lookback_scan_determinismE0ELb1ELb1ES3_N6thrust23THRUST_200600_302600_NS6detail15normal_iteratorINS9_10device_ptrIiEEEESE_i11max_functorIiEiEEDaPvRmT3_T4_T5_mT6_P12ihipStream_tbENKUlT_T0_E_clISt17integral_constantIbLb0EESU_EEDaSP_SQ_EUlSP_E0_NS1_11comp_targetILNS1_3genE10ELNS1_11target_archE1200ELNS1_3gpuE4ELNS1_3repE0EEENS1_30default_config_static_selectorELNS0_4arch9wavefront6targetE1EEEvT1_ ; -- Begin function _ZN7rocprim17ROCPRIM_400000_NS6detail17trampoline_kernelINS0_14default_configENS1_20scan_config_selectorIiEEZZNS1_9scan_implILNS1_25lookback_scan_determinismE0ELb1ELb1ES3_N6thrust23THRUST_200600_302600_NS6detail15normal_iteratorINS9_10device_ptrIiEEEESE_i11max_functorIiEiEEDaPvRmT3_T4_T5_mT6_P12ihipStream_tbENKUlT_T0_E_clISt17integral_constantIbLb0EESU_EEDaSP_SQ_EUlSP_E0_NS1_11comp_targetILNS1_3genE10ELNS1_11target_archE1200ELNS1_3gpuE4ELNS1_3repE0EEENS1_30default_config_static_selectorELNS0_4arch9wavefront6targetE1EEEvT1_
	.globl	_ZN7rocprim17ROCPRIM_400000_NS6detail17trampoline_kernelINS0_14default_configENS1_20scan_config_selectorIiEEZZNS1_9scan_implILNS1_25lookback_scan_determinismE0ELb1ELb1ES3_N6thrust23THRUST_200600_302600_NS6detail15normal_iteratorINS9_10device_ptrIiEEEESE_i11max_functorIiEiEEDaPvRmT3_T4_T5_mT6_P12ihipStream_tbENKUlT_T0_E_clISt17integral_constantIbLb0EESU_EEDaSP_SQ_EUlSP_E0_NS1_11comp_targetILNS1_3genE10ELNS1_11target_archE1200ELNS1_3gpuE4ELNS1_3repE0EEENS1_30default_config_static_selectorELNS0_4arch9wavefront6targetE1EEEvT1_
	.p2align	8
	.type	_ZN7rocprim17ROCPRIM_400000_NS6detail17trampoline_kernelINS0_14default_configENS1_20scan_config_selectorIiEEZZNS1_9scan_implILNS1_25lookback_scan_determinismE0ELb1ELb1ES3_N6thrust23THRUST_200600_302600_NS6detail15normal_iteratorINS9_10device_ptrIiEEEESE_i11max_functorIiEiEEDaPvRmT3_T4_T5_mT6_P12ihipStream_tbENKUlT_T0_E_clISt17integral_constantIbLb0EESU_EEDaSP_SQ_EUlSP_E0_NS1_11comp_targetILNS1_3genE10ELNS1_11target_archE1200ELNS1_3gpuE4ELNS1_3repE0EEENS1_30default_config_static_selectorELNS0_4arch9wavefront6targetE1EEEvT1_,@function
_ZN7rocprim17ROCPRIM_400000_NS6detail17trampoline_kernelINS0_14default_configENS1_20scan_config_selectorIiEEZZNS1_9scan_implILNS1_25lookback_scan_determinismE0ELb1ELb1ES3_N6thrust23THRUST_200600_302600_NS6detail15normal_iteratorINS9_10device_ptrIiEEEESE_i11max_functorIiEiEEDaPvRmT3_T4_T5_mT6_P12ihipStream_tbENKUlT_T0_E_clISt17integral_constantIbLb0EESU_EEDaSP_SQ_EUlSP_E0_NS1_11comp_targetILNS1_3genE10ELNS1_11target_archE1200ELNS1_3gpuE4ELNS1_3repE0EEENS1_30default_config_static_selectorELNS0_4arch9wavefront6targetE1EEEvT1_: ; @_ZN7rocprim17ROCPRIM_400000_NS6detail17trampoline_kernelINS0_14default_configENS1_20scan_config_selectorIiEEZZNS1_9scan_implILNS1_25lookback_scan_determinismE0ELb1ELb1ES3_N6thrust23THRUST_200600_302600_NS6detail15normal_iteratorINS9_10device_ptrIiEEEESE_i11max_functorIiEiEEDaPvRmT3_T4_T5_mT6_P12ihipStream_tbENKUlT_T0_E_clISt17integral_constantIbLb0EESU_EEDaSP_SQ_EUlSP_E0_NS1_11comp_targetILNS1_3genE10ELNS1_11target_archE1200ELNS1_3gpuE4ELNS1_3repE0EEENS1_30default_config_static_selectorELNS0_4arch9wavefront6targetE1EEEvT1_
; %bb.0:
	.section	.rodata,"a",@progbits
	.p2align	6, 0x0
	.amdhsa_kernel _ZN7rocprim17ROCPRIM_400000_NS6detail17trampoline_kernelINS0_14default_configENS1_20scan_config_selectorIiEEZZNS1_9scan_implILNS1_25lookback_scan_determinismE0ELb1ELb1ES3_N6thrust23THRUST_200600_302600_NS6detail15normal_iteratorINS9_10device_ptrIiEEEESE_i11max_functorIiEiEEDaPvRmT3_T4_T5_mT6_P12ihipStream_tbENKUlT_T0_E_clISt17integral_constantIbLb0EESU_EEDaSP_SQ_EUlSP_E0_NS1_11comp_targetILNS1_3genE10ELNS1_11target_archE1200ELNS1_3gpuE4ELNS1_3repE0EEENS1_30default_config_static_selectorELNS0_4arch9wavefront6targetE1EEEvT1_
		.amdhsa_group_segment_fixed_size 0
		.amdhsa_private_segment_fixed_size 0
		.amdhsa_kernarg_size 32
		.amdhsa_user_sgpr_count 6
		.amdhsa_user_sgpr_private_segment_buffer 1
		.amdhsa_user_sgpr_dispatch_ptr 0
		.amdhsa_user_sgpr_queue_ptr 0
		.amdhsa_user_sgpr_kernarg_segment_ptr 1
		.amdhsa_user_sgpr_dispatch_id 0
		.amdhsa_user_sgpr_flat_scratch_init 0
		.amdhsa_user_sgpr_kernarg_preload_length 0
		.amdhsa_user_sgpr_kernarg_preload_offset 0
		.amdhsa_user_sgpr_private_segment_size 0
		.amdhsa_uses_dynamic_stack 0
		.amdhsa_system_sgpr_private_segment_wavefront_offset 0
		.amdhsa_system_sgpr_workgroup_id_x 1
		.amdhsa_system_sgpr_workgroup_id_y 0
		.amdhsa_system_sgpr_workgroup_id_z 0
		.amdhsa_system_sgpr_workgroup_info 0
		.amdhsa_system_vgpr_workitem_id 0
		.amdhsa_next_free_vgpr 1
		.amdhsa_next_free_sgpr 0
		.amdhsa_accum_offset 4
		.amdhsa_reserve_vcc 0
		.amdhsa_reserve_flat_scratch 0
		.amdhsa_float_round_mode_32 0
		.amdhsa_float_round_mode_16_64 0
		.amdhsa_float_denorm_mode_32 3
		.amdhsa_float_denorm_mode_16_64 3
		.amdhsa_dx10_clamp 1
		.amdhsa_ieee_mode 1
		.amdhsa_fp16_overflow 0
		.amdhsa_tg_split 0
		.amdhsa_exception_fp_ieee_invalid_op 0
		.amdhsa_exception_fp_denorm_src 0
		.amdhsa_exception_fp_ieee_div_zero 0
		.amdhsa_exception_fp_ieee_overflow 0
		.amdhsa_exception_fp_ieee_underflow 0
		.amdhsa_exception_fp_ieee_inexact 0
		.amdhsa_exception_int_div_zero 0
	.end_amdhsa_kernel
	.section	.text._ZN7rocprim17ROCPRIM_400000_NS6detail17trampoline_kernelINS0_14default_configENS1_20scan_config_selectorIiEEZZNS1_9scan_implILNS1_25lookback_scan_determinismE0ELb1ELb1ES3_N6thrust23THRUST_200600_302600_NS6detail15normal_iteratorINS9_10device_ptrIiEEEESE_i11max_functorIiEiEEDaPvRmT3_T4_T5_mT6_P12ihipStream_tbENKUlT_T0_E_clISt17integral_constantIbLb0EESU_EEDaSP_SQ_EUlSP_E0_NS1_11comp_targetILNS1_3genE10ELNS1_11target_archE1200ELNS1_3gpuE4ELNS1_3repE0EEENS1_30default_config_static_selectorELNS0_4arch9wavefront6targetE1EEEvT1_,"axG",@progbits,_ZN7rocprim17ROCPRIM_400000_NS6detail17trampoline_kernelINS0_14default_configENS1_20scan_config_selectorIiEEZZNS1_9scan_implILNS1_25lookback_scan_determinismE0ELb1ELb1ES3_N6thrust23THRUST_200600_302600_NS6detail15normal_iteratorINS9_10device_ptrIiEEEESE_i11max_functorIiEiEEDaPvRmT3_T4_T5_mT6_P12ihipStream_tbENKUlT_T0_E_clISt17integral_constantIbLb0EESU_EEDaSP_SQ_EUlSP_E0_NS1_11comp_targetILNS1_3genE10ELNS1_11target_archE1200ELNS1_3gpuE4ELNS1_3repE0EEENS1_30default_config_static_selectorELNS0_4arch9wavefront6targetE1EEEvT1_,comdat
.Lfunc_end2789:
	.size	_ZN7rocprim17ROCPRIM_400000_NS6detail17trampoline_kernelINS0_14default_configENS1_20scan_config_selectorIiEEZZNS1_9scan_implILNS1_25lookback_scan_determinismE0ELb1ELb1ES3_N6thrust23THRUST_200600_302600_NS6detail15normal_iteratorINS9_10device_ptrIiEEEESE_i11max_functorIiEiEEDaPvRmT3_T4_T5_mT6_P12ihipStream_tbENKUlT_T0_E_clISt17integral_constantIbLb0EESU_EEDaSP_SQ_EUlSP_E0_NS1_11comp_targetILNS1_3genE10ELNS1_11target_archE1200ELNS1_3gpuE4ELNS1_3repE0EEENS1_30default_config_static_selectorELNS0_4arch9wavefront6targetE1EEEvT1_, .Lfunc_end2789-_ZN7rocprim17ROCPRIM_400000_NS6detail17trampoline_kernelINS0_14default_configENS1_20scan_config_selectorIiEEZZNS1_9scan_implILNS1_25lookback_scan_determinismE0ELb1ELb1ES3_N6thrust23THRUST_200600_302600_NS6detail15normal_iteratorINS9_10device_ptrIiEEEESE_i11max_functorIiEiEEDaPvRmT3_T4_T5_mT6_P12ihipStream_tbENKUlT_T0_E_clISt17integral_constantIbLb0EESU_EEDaSP_SQ_EUlSP_E0_NS1_11comp_targetILNS1_3genE10ELNS1_11target_archE1200ELNS1_3gpuE4ELNS1_3repE0EEENS1_30default_config_static_selectorELNS0_4arch9wavefront6targetE1EEEvT1_
                                        ; -- End function
	.section	.AMDGPU.csdata,"",@progbits
; Kernel info:
; codeLenInByte = 0
; NumSgprs: 4
; NumVgprs: 0
; NumAgprs: 0
; TotalNumVgprs: 0
; ScratchSize: 0
; MemoryBound: 0
; FloatMode: 240
; IeeeMode: 1
; LDSByteSize: 0 bytes/workgroup (compile time only)
; SGPRBlocks: 0
; VGPRBlocks: 0
; NumSGPRsForWavesPerEU: 4
; NumVGPRsForWavesPerEU: 1
; AccumOffset: 4
; Occupancy: 8
; WaveLimiterHint : 0
; COMPUTE_PGM_RSRC2:SCRATCH_EN: 0
; COMPUTE_PGM_RSRC2:USER_SGPR: 6
; COMPUTE_PGM_RSRC2:TRAP_HANDLER: 0
; COMPUTE_PGM_RSRC2:TGID_X_EN: 1
; COMPUTE_PGM_RSRC2:TGID_Y_EN: 0
; COMPUTE_PGM_RSRC2:TGID_Z_EN: 0
; COMPUTE_PGM_RSRC2:TIDIG_COMP_CNT: 0
; COMPUTE_PGM_RSRC3_GFX90A:ACCUM_OFFSET: 0
; COMPUTE_PGM_RSRC3_GFX90A:TG_SPLIT: 0
	.section	.text._ZN7rocprim17ROCPRIM_400000_NS6detail17trampoline_kernelINS0_14default_configENS1_20scan_config_selectorIiEEZZNS1_9scan_implILNS1_25lookback_scan_determinismE0ELb1ELb1ES3_N6thrust23THRUST_200600_302600_NS6detail15normal_iteratorINS9_10device_ptrIiEEEESE_i11max_functorIiEiEEDaPvRmT3_T4_T5_mT6_P12ihipStream_tbENKUlT_T0_E_clISt17integral_constantIbLb0EESU_EEDaSP_SQ_EUlSP_E0_NS1_11comp_targetILNS1_3genE9ELNS1_11target_archE1100ELNS1_3gpuE3ELNS1_3repE0EEENS1_30default_config_static_selectorELNS0_4arch9wavefront6targetE1EEEvT1_,"axG",@progbits,_ZN7rocprim17ROCPRIM_400000_NS6detail17trampoline_kernelINS0_14default_configENS1_20scan_config_selectorIiEEZZNS1_9scan_implILNS1_25lookback_scan_determinismE0ELb1ELb1ES3_N6thrust23THRUST_200600_302600_NS6detail15normal_iteratorINS9_10device_ptrIiEEEESE_i11max_functorIiEiEEDaPvRmT3_T4_T5_mT6_P12ihipStream_tbENKUlT_T0_E_clISt17integral_constantIbLb0EESU_EEDaSP_SQ_EUlSP_E0_NS1_11comp_targetILNS1_3genE9ELNS1_11target_archE1100ELNS1_3gpuE3ELNS1_3repE0EEENS1_30default_config_static_selectorELNS0_4arch9wavefront6targetE1EEEvT1_,comdat
	.protected	_ZN7rocprim17ROCPRIM_400000_NS6detail17trampoline_kernelINS0_14default_configENS1_20scan_config_selectorIiEEZZNS1_9scan_implILNS1_25lookback_scan_determinismE0ELb1ELb1ES3_N6thrust23THRUST_200600_302600_NS6detail15normal_iteratorINS9_10device_ptrIiEEEESE_i11max_functorIiEiEEDaPvRmT3_T4_T5_mT6_P12ihipStream_tbENKUlT_T0_E_clISt17integral_constantIbLb0EESU_EEDaSP_SQ_EUlSP_E0_NS1_11comp_targetILNS1_3genE9ELNS1_11target_archE1100ELNS1_3gpuE3ELNS1_3repE0EEENS1_30default_config_static_selectorELNS0_4arch9wavefront6targetE1EEEvT1_ ; -- Begin function _ZN7rocprim17ROCPRIM_400000_NS6detail17trampoline_kernelINS0_14default_configENS1_20scan_config_selectorIiEEZZNS1_9scan_implILNS1_25lookback_scan_determinismE0ELb1ELb1ES3_N6thrust23THRUST_200600_302600_NS6detail15normal_iteratorINS9_10device_ptrIiEEEESE_i11max_functorIiEiEEDaPvRmT3_T4_T5_mT6_P12ihipStream_tbENKUlT_T0_E_clISt17integral_constantIbLb0EESU_EEDaSP_SQ_EUlSP_E0_NS1_11comp_targetILNS1_3genE9ELNS1_11target_archE1100ELNS1_3gpuE3ELNS1_3repE0EEENS1_30default_config_static_selectorELNS0_4arch9wavefront6targetE1EEEvT1_
	.globl	_ZN7rocprim17ROCPRIM_400000_NS6detail17trampoline_kernelINS0_14default_configENS1_20scan_config_selectorIiEEZZNS1_9scan_implILNS1_25lookback_scan_determinismE0ELb1ELb1ES3_N6thrust23THRUST_200600_302600_NS6detail15normal_iteratorINS9_10device_ptrIiEEEESE_i11max_functorIiEiEEDaPvRmT3_T4_T5_mT6_P12ihipStream_tbENKUlT_T0_E_clISt17integral_constantIbLb0EESU_EEDaSP_SQ_EUlSP_E0_NS1_11comp_targetILNS1_3genE9ELNS1_11target_archE1100ELNS1_3gpuE3ELNS1_3repE0EEENS1_30default_config_static_selectorELNS0_4arch9wavefront6targetE1EEEvT1_
	.p2align	8
	.type	_ZN7rocprim17ROCPRIM_400000_NS6detail17trampoline_kernelINS0_14default_configENS1_20scan_config_selectorIiEEZZNS1_9scan_implILNS1_25lookback_scan_determinismE0ELb1ELb1ES3_N6thrust23THRUST_200600_302600_NS6detail15normal_iteratorINS9_10device_ptrIiEEEESE_i11max_functorIiEiEEDaPvRmT3_T4_T5_mT6_P12ihipStream_tbENKUlT_T0_E_clISt17integral_constantIbLb0EESU_EEDaSP_SQ_EUlSP_E0_NS1_11comp_targetILNS1_3genE9ELNS1_11target_archE1100ELNS1_3gpuE3ELNS1_3repE0EEENS1_30default_config_static_selectorELNS0_4arch9wavefront6targetE1EEEvT1_,@function
_ZN7rocprim17ROCPRIM_400000_NS6detail17trampoline_kernelINS0_14default_configENS1_20scan_config_selectorIiEEZZNS1_9scan_implILNS1_25lookback_scan_determinismE0ELb1ELb1ES3_N6thrust23THRUST_200600_302600_NS6detail15normal_iteratorINS9_10device_ptrIiEEEESE_i11max_functorIiEiEEDaPvRmT3_T4_T5_mT6_P12ihipStream_tbENKUlT_T0_E_clISt17integral_constantIbLb0EESU_EEDaSP_SQ_EUlSP_E0_NS1_11comp_targetILNS1_3genE9ELNS1_11target_archE1100ELNS1_3gpuE3ELNS1_3repE0EEENS1_30default_config_static_selectorELNS0_4arch9wavefront6targetE1EEEvT1_: ; @_ZN7rocprim17ROCPRIM_400000_NS6detail17trampoline_kernelINS0_14default_configENS1_20scan_config_selectorIiEEZZNS1_9scan_implILNS1_25lookback_scan_determinismE0ELb1ELb1ES3_N6thrust23THRUST_200600_302600_NS6detail15normal_iteratorINS9_10device_ptrIiEEEESE_i11max_functorIiEiEEDaPvRmT3_T4_T5_mT6_P12ihipStream_tbENKUlT_T0_E_clISt17integral_constantIbLb0EESU_EEDaSP_SQ_EUlSP_E0_NS1_11comp_targetILNS1_3genE9ELNS1_11target_archE1100ELNS1_3gpuE3ELNS1_3repE0EEENS1_30default_config_static_selectorELNS0_4arch9wavefront6targetE1EEEvT1_
; %bb.0:
	.section	.rodata,"a",@progbits
	.p2align	6, 0x0
	.amdhsa_kernel _ZN7rocprim17ROCPRIM_400000_NS6detail17trampoline_kernelINS0_14default_configENS1_20scan_config_selectorIiEEZZNS1_9scan_implILNS1_25lookback_scan_determinismE0ELb1ELb1ES3_N6thrust23THRUST_200600_302600_NS6detail15normal_iteratorINS9_10device_ptrIiEEEESE_i11max_functorIiEiEEDaPvRmT3_T4_T5_mT6_P12ihipStream_tbENKUlT_T0_E_clISt17integral_constantIbLb0EESU_EEDaSP_SQ_EUlSP_E0_NS1_11comp_targetILNS1_3genE9ELNS1_11target_archE1100ELNS1_3gpuE3ELNS1_3repE0EEENS1_30default_config_static_selectorELNS0_4arch9wavefront6targetE1EEEvT1_
		.amdhsa_group_segment_fixed_size 0
		.amdhsa_private_segment_fixed_size 0
		.amdhsa_kernarg_size 32
		.amdhsa_user_sgpr_count 6
		.amdhsa_user_sgpr_private_segment_buffer 1
		.amdhsa_user_sgpr_dispatch_ptr 0
		.amdhsa_user_sgpr_queue_ptr 0
		.amdhsa_user_sgpr_kernarg_segment_ptr 1
		.amdhsa_user_sgpr_dispatch_id 0
		.amdhsa_user_sgpr_flat_scratch_init 0
		.amdhsa_user_sgpr_kernarg_preload_length 0
		.amdhsa_user_sgpr_kernarg_preload_offset 0
		.amdhsa_user_sgpr_private_segment_size 0
		.amdhsa_uses_dynamic_stack 0
		.amdhsa_system_sgpr_private_segment_wavefront_offset 0
		.amdhsa_system_sgpr_workgroup_id_x 1
		.amdhsa_system_sgpr_workgroup_id_y 0
		.amdhsa_system_sgpr_workgroup_id_z 0
		.amdhsa_system_sgpr_workgroup_info 0
		.amdhsa_system_vgpr_workitem_id 0
		.amdhsa_next_free_vgpr 1
		.amdhsa_next_free_sgpr 0
		.amdhsa_accum_offset 4
		.amdhsa_reserve_vcc 0
		.amdhsa_reserve_flat_scratch 0
		.amdhsa_float_round_mode_32 0
		.amdhsa_float_round_mode_16_64 0
		.amdhsa_float_denorm_mode_32 3
		.amdhsa_float_denorm_mode_16_64 3
		.amdhsa_dx10_clamp 1
		.amdhsa_ieee_mode 1
		.amdhsa_fp16_overflow 0
		.amdhsa_tg_split 0
		.amdhsa_exception_fp_ieee_invalid_op 0
		.amdhsa_exception_fp_denorm_src 0
		.amdhsa_exception_fp_ieee_div_zero 0
		.amdhsa_exception_fp_ieee_overflow 0
		.amdhsa_exception_fp_ieee_underflow 0
		.amdhsa_exception_fp_ieee_inexact 0
		.amdhsa_exception_int_div_zero 0
	.end_amdhsa_kernel
	.section	.text._ZN7rocprim17ROCPRIM_400000_NS6detail17trampoline_kernelINS0_14default_configENS1_20scan_config_selectorIiEEZZNS1_9scan_implILNS1_25lookback_scan_determinismE0ELb1ELb1ES3_N6thrust23THRUST_200600_302600_NS6detail15normal_iteratorINS9_10device_ptrIiEEEESE_i11max_functorIiEiEEDaPvRmT3_T4_T5_mT6_P12ihipStream_tbENKUlT_T0_E_clISt17integral_constantIbLb0EESU_EEDaSP_SQ_EUlSP_E0_NS1_11comp_targetILNS1_3genE9ELNS1_11target_archE1100ELNS1_3gpuE3ELNS1_3repE0EEENS1_30default_config_static_selectorELNS0_4arch9wavefront6targetE1EEEvT1_,"axG",@progbits,_ZN7rocprim17ROCPRIM_400000_NS6detail17trampoline_kernelINS0_14default_configENS1_20scan_config_selectorIiEEZZNS1_9scan_implILNS1_25lookback_scan_determinismE0ELb1ELb1ES3_N6thrust23THRUST_200600_302600_NS6detail15normal_iteratorINS9_10device_ptrIiEEEESE_i11max_functorIiEiEEDaPvRmT3_T4_T5_mT6_P12ihipStream_tbENKUlT_T0_E_clISt17integral_constantIbLb0EESU_EEDaSP_SQ_EUlSP_E0_NS1_11comp_targetILNS1_3genE9ELNS1_11target_archE1100ELNS1_3gpuE3ELNS1_3repE0EEENS1_30default_config_static_selectorELNS0_4arch9wavefront6targetE1EEEvT1_,comdat
.Lfunc_end2790:
	.size	_ZN7rocprim17ROCPRIM_400000_NS6detail17trampoline_kernelINS0_14default_configENS1_20scan_config_selectorIiEEZZNS1_9scan_implILNS1_25lookback_scan_determinismE0ELb1ELb1ES3_N6thrust23THRUST_200600_302600_NS6detail15normal_iteratorINS9_10device_ptrIiEEEESE_i11max_functorIiEiEEDaPvRmT3_T4_T5_mT6_P12ihipStream_tbENKUlT_T0_E_clISt17integral_constantIbLb0EESU_EEDaSP_SQ_EUlSP_E0_NS1_11comp_targetILNS1_3genE9ELNS1_11target_archE1100ELNS1_3gpuE3ELNS1_3repE0EEENS1_30default_config_static_selectorELNS0_4arch9wavefront6targetE1EEEvT1_, .Lfunc_end2790-_ZN7rocprim17ROCPRIM_400000_NS6detail17trampoline_kernelINS0_14default_configENS1_20scan_config_selectorIiEEZZNS1_9scan_implILNS1_25lookback_scan_determinismE0ELb1ELb1ES3_N6thrust23THRUST_200600_302600_NS6detail15normal_iteratorINS9_10device_ptrIiEEEESE_i11max_functorIiEiEEDaPvRmT3_T4_T5_mT6_P12ihipStream_tbENKUlT_T0_E_clISt17integral_constantIbLb0EESU_EEDaSP_SQ_EUlSP_E0_NS1_11comp_targetILNS1_3genE9ELNS1_11target_archE1100ELNS1_3gpuE3ELNS1_3repE0EEENS1_30default_config_static_selectorELNS0_4arch9wavefront6targetE1EEEvT1_
                                        ; -- End function
	.section	.AMDGPU.csdata,"",@progbits
; Kernel info:
; codeLenInByte = 0
; NumSgprs: 4
; NumVgprs: 0
; NumAgprs: 0
; TotalNumVgprs: 0
; ScratchSize: 0
; MemoryBound: 0
; FloatMode: 240
; IeeeMode: 1
; LDSByteSize: 0 bytes/workgroup (compile time only)
; SGPRBlocks: 0
; VGPRBlocks: 0
; NumSGPRsForWavesPerEU: 4
; NumVGPRsForWavesPerEU: 1
; AccumOffset: 4
; Occupancy: 8
; WaveLimiterHint : 0
; COMPUTE_PGM_RSRC2:SCRATCH_EN: 0
; COMPUTE_PGM_RSRC2:USER_SGPR: 6
; COMPUTE_PGM_RSRC2:TRAP_HANDLER: 0
; COMPUTE_PGM_RSRC2:TGID_X_EN: 1
; COMPUTE_PGM_RSRC2:TGID_Y_EN: 0
; COMPUTE_PGM_RSRC2:TGID_Z_EN: 0
; COMPUTE_PGM_RSRC2:TIDIG_COMP_CNT: 0
; COMPUTE_PGM_RSRC3_GFX90A:ACCUM_OFFSET: 0
; COMPUTE_PGM_RSRC3_GFX90A:TG_SPLIT: 0
	.section	.text._ZN7rocprim17ROCPRIM_400000_NS6detail17trampoline_kernelINS0_14default_configENS1_20scan_config_selectorIiEEZZNS1_9scan_implILNS1_25lookback_scan_determinismE0ELb1ELb1ES3_N6thrust23THRUST_200600_302600_NS6detail15normal_iteratorINS9_10device_ptrIiEEEESE_i11max_functorIiEiEEDaPvRmT3_T4_T5_mT6_P12ihipStream_tbENKUlT_T0_E_clISt17integral_constantIbLb0EESU_EEDaSP_SQ_EUlSP_E0_NS1_11comp_targetILNS1_3genE8ELNS1_11target_archE1030ELNS1_3gpuE2ELNS1_3repE0EEENS1_30default_config_static_selectorELNS0_4arch9wavefront6targetE1EEEvT1_,"axG",@progbits,_ZN7rocprim17ROCPRIM_400000_NS6detail17trampoline_kernelINS0_14default_configENS1_20scan_config_selectorIiEEZZNS1_9scan_implILNS1_25lookback_scan_determinismE0ELb1ELb1ES3_N6thrust23THRUST_200600_302600_NS6detail15normal_iteratorINS9_10device_ptrIiEEEESE_i11max_functorIiEiEEDaPvRmT3_T4_T5_mT6_P12ihipStream_tbENKUlT_T0_E_clISt17integral_constantIbLb0EESU_EEDaSP_SQ_EUlSP_E0_NS1_11comp_targetILNS1_3genE8ELNS1_11target_archE1030ELNS1_3gpuE2ELNS1_3repE0EEENS1_30default_config_static_selectorELNS0_4arch9wavefront6targetE1EEEvT1_,comdat
	.protected	_ZN7rocprim17ROCPRIM_400000_NS6detail17trampoline_kernelINS0_14default_configENS1_20scan_config_selectorIiEEZZNS1_9scan_implILNS1_25lookback_scan_determinismE0ELb1ELb1ES3_N6thrust23THRUST_200600_302600_NS6detail15normal_iteratorINS9_10device_ptrIiEEEESE_i11max_functorIiEiEEDaPvRmT3_T4_T5_mT6_P12ihipStream_tbENKUlT_T0_E_clISt17integral_constantIbLb0EESU_EEDaSP_SQ_EUlSP_E0_NS1_11comp_targetILNS1_3genE8ELNS1_11target_archE1030ELNS1_3gpuE2ELNS1_3repE0EEENS1_30default_config_static_selectorELNS0_4arch9wavefront6targetE1EEEvT1_ ; -- Begin function _ZN7rocprim17ROCPRIM_400000_NS6detail17trampoline_kernelINS0_14default_configENS1_20scan_config_selectorIiEEZZNS1_9scan_implILNS1_25lookback_scan_determinismE0ELb1ELb1ES3_N6thrust23THRUST_200600_302600_NS6detail15normal_iteratorINS9_10device_ptrIiEEEESE_i11max_functorIiEiEEDaPvRmT3_T4_T5_mT6_P12ihipStream_tbENKUlT_T0_E_clISt17integral_constantIbLb0EESU_EEDaSP_SQ_EUlSP_E0_NS1_11comp_targetILNS1_3genE8ELNS1_11target_archE1030ELNS1_3gpuE2ELNS1_3repE0EEENS1_30default_config_static_selectorELNS0_4arch9wavefront6targetE1EEEvT1_
	.globl	_ZN7rocprim17ROCPRIM_400000_NS6detail17trampoline_kernelINS0_14default_configENS1_20scan_config_selectorIiEEZZNS1_9scan_implILNS1_25lookback_scan_determinismE0ELb1ELb1ES3_N6thrust23THRUST_200600_302600_NS6detail15normal_iteratorINS9_10device_ptrIiEEEESE_i11max_functorIiEiEEDaPvRmT3_T4_T5_mT6_P12ihipStream_tbENKUlT_T0_E_clISt17integral_constantIbLb0EESU_EEDaSP_SQ_EUlSP_E0_NS1_11comp_targetILNS1_3genE8ELNS1_11target_archE1030ELNS1_3gpuE2ELNS1_3repE0EEENS1_30default_config_static_selectorELNS0_4arch9wavefront6targetE1EEEvT1_
	.p2align	8
	.type	_ZN7rocprim17ROCPRIM_400000_NS6detail17trampoline_kernelINS0_14default_configENS1_20scan_config_selectorIiEEZZNS1_9scan_implILNS1_25lookback_scan_determinismE0ELb1ELb1ES3_N6thrust23THRUST_200600_302600_NS6detail15normal_iteratorINS9_10device_ptrIiEEEESE_i11max_functorIiEiEEDaPvRmT3_T4_T5_mT6_P12ihipStream_tbENKUlT_T0_E_clISt17integral_constantIbLb0EESU_EEDaSP_SQ_EUlSP_E0_NS1_11comp_targetILNS1_3genE8ELNS1_11target_archE1030ELNS1_3gpuE2ELNS1_3repE0EEENS1_30default_config_static_selectorELNS0_4arch9wavefront6targetE1EEEvT1_,@function
_ZN7rocprim17ROCPRIM_400000_NS6detail17trampoline_kernelINS0_14default_configENS1_20scan_config_selectorIiEEZZNS1_9scan_implILNS1_25lookback_scan_determinismE0ELb1ELb1ES3_N6thrust23THRUST_200600_302600_NS6detail15normal_iteratorINS9_10device_ptrIiEEEESE_i11max_functorIiEiEEDaPvRmT3_T4_T5_mT6_P12ihipStream_tbENKUlT_T0_E_clISt17integral_constantIbLb0EESU_EEDaSP_SQ_EUlSP_E0_NS1_11comp_targetILNS1_3genE8ELNS1_11target_archE1030ELNS1_3gpuE2ELNS1_3repE0EEENS1_30default_config_static_selectorELNS0_4arch9wavefront6targetE1EEEvT1_: ; @_ZN7rocprim17ROCPRIM_400000_NS6detail17trampoline_kernelINS0_14default_configENS1_20scan_config_selectorIiEEZZNS1_9scan_implILNS1_25lookback_scan_determinismE0ELb1ELb1ES3_N6thrust23THRUST_200600_302600_NS6detail15normal_iteratorINS9_10device_ptrIiEEEESE_i11max_functorIiEiEEDaPvRmT3_T4_T5_mT6_P12ihipStream_tbENKUlT_T0_E_clISt17integral_constantIbLb0EESU_EEDaSP_SQ_EUlSP_E0_NS1_11comp_targetILNS1_3genE8ELNS1_11target_archE1030ELNS1_3gpuE2ELNS1_3repE0EEENS1_30default_config_static_selectorELNS0_4arch9wavefront6targetE1EEEvT1_
; %bb.0:
	.section	.rodata,"a",@progbits
	.p2align	6, 0x0
	.amdhsa_kernel _ZN7rocprim17ROCPRIM_400000_NS6detail17trampoline_kernelINS0_14default_configENS1_20scan_config_selectorIiEEZZNS1_9scan_implILNS1_25lookback_scan_determinismE0ELb1ELb1ES3_N6thrust23THRUST_200600_302600_NS6detail15normal_iteratorINS9_10device_ptrIiEEEESE_i11max_functorIiEiEEDaPvRmT3_T4_T5_mT6_P12ihipStream_tbENKUlT_T0_E_clISt17integral_constantIbLb0EESU_EEDaSP_SQ_EUlSP_E0_NS1_11comp_targetILNS1_3genE8ELNS1_11target_archE1030ELNS1_3gpuE2ELNS1_3repE0EEENS1_30default_config_static_selectorELNS0_4arch9wavefront6targetE1EEEvT1_
		.amdhsa_group_segment_fixed_size 0
		.amdhsa_private_segment_fixed_size 0
		.amdhsa_kernarg_size 32
		.amdhsa_user_sgpr_count 6
		.amdhsa_user_sgpr_private_segment_buffer 1
		.amdhsa_user_sgpr_dispatch_ptr 0
		.amdhsa_user_sgpr_queue_ptr 0
		.amdhsa_user_sgpr_kernarg_segment_ptr 1
		.amdhsa_user_sgpr_dispatch_id 0
		.amdhsa_user_sgpr_flat_scratch_init 0
		.amdhsa_user_sgpr_kernarg_preload_length 0
		.amdhsa_user_sgpr_kernarg_preload_offset 0
		.amdhsa_user_sgpr_private_segment_size 0
		.amdhsa_uses_dynamic_stack 0
		.amdhsa_system_sgpr_private_segment_wavefront_offset 0
		.amdhsa_system_sgpr_workgroup_id_x 1
		.amdhsa_system_sgpr_workgroup_id_y 0
		.amdhsa_system_sgpr_workgroup_id_z 0
		.amdhsa_system_sgpr_workgroup_info 0
		.amdhsa_system_vgpr_workitem_id 0
		.amdhsa_next_free_vgpr 1
		.amdhsa_next_free_sgpr 0
		.amdhsa_accum_offset 4
		.amdhsa_reserve_vcc 0
		.amdhsa_reserve_flat_scratch 0
		.amdhsa_float_round_mode_32 0
		.amdhsa_float_round_mode_16_64 0
		.amdhsa_float_denorm_mode_32 3
		.amdhsa_float_denorm_mode_16_64 3
		.amdhsa_dx10_clamp 1
		.amdhsa_ieee_mode 1
		.amdhsa_fp16_overflow 0
		.amdhsa_tg_split 0
		.amdhsa_exception_fp_ieee_invalid_op 0
		.amdhsa_exception_fp_denorm_src 0
		.amdhsa_exception_fp_ieee_div_zero 0
		.amdhsa_exception_fp_ieee_overflow 0
		.amdhsa_exception_fp_ieee_underflow 0
		.amdhsa_exception_fp_ieee_inexact 0
		.amdhsa_exception_int_div_zero 0
	.end_amdhsa_kernel
	.section	.text._ZN7rocprim17ROCPRIM_400000_NS6detail17trampoline_kernelINS0_14default_configENS1_20scan_config_selectorIiEEZZNS1_9scan_implILNS1_25lookback_scan_determinismE0ELb1ELb1ES3_N6thrust23THRUST_200600_302600_NS6detail15normal_iteratorINS9_10device_ptrIiEEEESE_i11max_functorIiEiEEDaPvRmT3_T4_T5_mT6_P12ihipStream_tbENKUlT_T0_E_clISt17integral_constantIbLb0EESU_EEDaSP_SQ_EUlSP_E0_NS1_11comp_targetILNS1_3genE8ELNS1_11target_archE1030ELNS1_3gpuE2ELNS1_3repE0EEENS1_30default_config_static_selectorELNS0_4arch9wavefront6targetE1EEEvT1_,"axG",@progbits,_ZN7rocprim17ROCPRIM_400000_NS6detail17trampoline_kernelINS0_14default_configENS1_20scan_config_selectorIiEEZZNS1_9scan_implILNS1_25lookback_scan_determinismE0ELb1ELb1ES3_N6thrust23THRUST_200600_302600_NS6detail15normal_iteratorINS9_10device_ptrIiEEEESE_i11max_functorIiEiEEDaPvRmT3_T4_T5_mT6_P12ihipStream_tbENKUlT_T0_E_clISt17integral_constantIbLb0EESU_EEDaSP_SQ_EUlSP_E0_NS1_11comp_targetILNS1_3genE8ELNS1_11target_archE1030ELNS1_3gpuE2ELNS1_3repE0EEENS1_30default_config_static_selectorELNS0_4arch9wavefront6targetE1EEEvT1_,comdat
.Lfunc_end2791:
	.size	_ZN7rocprim17ROCPRIM_400000_NS6detail17trampoline_kernelINS0_14default_configENS1_20scan_config_selectorIiEEZZNS1_9scan_implILNS1_25lookback_scan_determinismE0ELb1ELb1ES3_N6thrust23THRUST_200600_302600_NS6detail15normal_iteratorINS9_10device_ptrIiEEEESE_i11max_functorIiEiEEDaPvRmT3_T4_T5_mT6_P12ihipStream_tbENKUlT_T0_E_clISt17integral_constantIbLb0EESU_EEDaSP_SQ_EUlSP_E0_NS1_11comp_targetILNS1_3genE8ELNS1_11target_archE1030ELNS1_3gpuE2ELNS1_3repE0EEENS1_30default_config_static_selectorELNS0_4arch9wavefront6targetE1EEEvT1_, .Lfunc_end2791-_ZN7rocprim17ROCPRIM_400000_NS6detail17trampoline_kernelINS0_14default_configENS1_20scan_config_selectorIiEEZZNS1_9scan_implILNS1_25lookback_scan_determinismE0ELb1ELb1ES3_N6thrust23THRUST_200600_302600_NS6detail15normal_iteratorINS9_10device_ptrIiEEEESE_i11max_functorIiEiEEDaPvRmT3_T4_T5_mT6_P12ihipStream_tbENKUlT_T0_E_clISt17integral_constantIbLb0EESU_EEDaSP_SQ_EUlSP_E0_NS1_11comp_targetILNS1_3genE8ELNS1_11target_archE1030ELNS1_3gpuE2ELNS1_3repE0EEENS1_30default_config_static_selectorELNS0_4arch9wavefront6targetE1EEEvT1_
                                        ; -- End function
	.section	.AMDGPU.csdata,"",@progbits
; Kernel info:
; codeLenInByte = 0
; NumSgprs: 4
; NumVgprs: 0
; NumAgprs: 0
; TotalNumVgprs: 0
; ScratchSize: 0
; MemoryBound: 0
; FloatMode: 240
; IeeeMode: 1
; LDSByteSize: 0 bytes/workgroup (compile time only)
; SGPRBlocks: 0
; VGPRBlocks: 0
; NumSGPRsForWavesPerEU: 4
; NumVGPRsForWavesPerEU: 1
; AccumOffset: 4
; Occupancy: 8
; WaveLimiterHint : 0
; COMPUTE_PGM_RSRC2:SCRATCH_EN: 0
; COMPUTE_PGM_RSRC2:USER_SGPR: 6
; COMPUTE_PGM_RSRC2:TRAP_HANDLER: 0
; COMPUTE_PGM_RSRC2:TGID_X_EN: 1
; COMPUTE_PGM_RSRC2:TGID_Y_EN: 0
; COMPUTE_PGM_RSRC2:TGID_Z_EN: 0
; COMPUTE_PGM_RSRC2:TIDIG_COMP_CNT: 0
; COMPUTE_PGM_RSRC3_GFX90A:ACCUM_OFFSET: 0
; COMPUTE_PGM_RSRC3_GFX90A:TG_SPLIT: 0
	.section	.text._ZN7rocprim17ROCPRIM_400000_NS6detail17trampoline_kernelINS0_14default_configENS1_20scan_config_selectorIiEEZZNS1_9scan_implILNS1_25lookback_scan_determinismE0ELb1ELb1ES3_N6thrust23THRUST_200600_302600_NS6detail15normal_iteratorINS9_10device_ptrIiEEEESE_i11max_functorIiEiEEDaPvRmT3_T4_T5_mT6_P12ihipStream_tbENKUlT_T0_E_clISt17integral_constantIbLb1EESU_EEDaSP_SQ_EUlSP_E_NS1_11comp_targetILNS1_3genE0ELNS1_11target_archE4294967295ELNS1_3gpuE0ELNS1_3repE0EEENS1_30default_config_static_selectorELNS0_4arch9wavefront6targetE1EEEvT1_,"axG",@progbits,_ZN7rocprim17ROCPRIM_400000_NS6detail17trampoline_kernelINS0_14default_configENS1_20scan_config_selectorIiEEZZNS1_9scan_implILNS1_25lookback_scan_determinismE0ELb1ELb1ES3_N6thrust23THRUST_200600_302600_NS6detail15normal_iteratorINS9_10device_ptrIiEEEESE_i11max_functorIiEiEEDaPvRmT3_T4_T5_mT6_P12ihipStream_tbENKUlT_T0_E_clISt17integral_constantIbLb1EESU_EEDaSP_SQ_EUlSP_E_NS1_11comp_targetILNS1_3genE0ELNS1_11target_archE4294967295ELNS1_3gpuE0ELNS1_3repE0EEENS1_30default_config_static_selectorELNS0_4arch9wavefront6targetE1EEEvT1_,comdat
	.protected	_ZN7rocprim17ROCPRIM_400000_NS6detail17trampoline_kernelINS0_14default_configENS1_20scan_config_selectorIiEEZZNS1_9scan_implILNS1_25lookback_scan_determinismE0ELb1ELb1ES3_N6thrust23THRUST_200600_302600_NS6detail15normal_iteratorINS9_10device_ptrIiEEEESE_i11max_functorIiEiEEDaPvRmT3_T4_T5_mT6_P12ihipStream_tbENKUlT_T0_E_clISt17integral_constantIbLb1EESU_EEDaSP_SQ_EUlSP_E_NS1_11comp_targetILNS1_3genE0ELNS1_11target_archE4294967295ELNS1_3gpuE0ELNS1_3repE0EEENS1_30default_config_static_selectorELNS0_4arch9wavefront6targetE1EEEvT1_ ; -- Begin function _ZN7rocprim17ROCPRIM_400000_NS6detail17trampoline_kernelINS0_14default_configENS1_20scan_config_selectorIiEEZZNS1_9scan_implILNS1_25lookback_scan_determinismE0ELb1ELb1ES3_N6thrust23THRUST_200600_302600_NS6detail15normal_iteratorINS9_10device_ptrIiEEEESE_i11max_functorIiEiEEDaPvRmT3_T4_T5_mT6_P12ihipStream_tbENKUlT_T0_E_clISt17integral_constantIbLb1EESU_EEDaSP_SQ_EUlSP_E_NS1_11comp_targetILNS1_3genE0ELNS1_11target_archE4294967295ELNS1_3gpuE0ELNS1_3repE0EEENS1_30default_config_static_selectorELNS0_4arch9wavefront6targetE1EEEvT1_
	.globl	_ZN7rocprim17ROCPRIM_400000_NS6detail17trampoline_kernelINS0_14default_configENS1_20scan_config_selectorIiEEZZNS1_9scan_implILNS1_25lookback_scan_determinismE0ELb1ELb1ES3_N6thrust23THRUST_200600_302600_NS6detail15normal_iteratorINS9_10device_ptrIiEEEESE_i11max_functorIiEiEEDaPvRmT3_T4_T5_mT6_P12ihipStream_tbENKUlT_T0_E_clISt17integral_constantIbLb1EESU_EEDaSP_SQ_EUlSP_E_NS1_11comp_targetILNS1_3genE0ELNS1_11target_archE4294967295ELNS1_3gpuE0ELNS1_3repE0EEENS1_30default_config_static_selectorELNS0_4arch9wavefront6targetE1EEEvT1_
	.p2align	8
	.type	_ZN7rocprim17ROCPRIM_400000_NS6detail17trampoline_kernelINS0_14default_configENS1_20scan_config_selectorIiEEZZNS1_9scan_implILNS1_25lookback_scan_determinismE0ELb1ELb1ES3_N6thrust23THRUST_200600_302600_NS6detail15normal_iteratorINS9_10device_ptrIiEEEESE_i11max_functorIiEiEEDaPvRmT3_T4_T5_mT6_P12ihipStream_tbENKUlT_T0_E_clISt17integral_constantIbLb1EESU_EEDaSP_SQ_EUlSP_E_NS1_11comp_targetILNS1_3genE0ELNS1_11target_archE4294967295ELNS1_3gpuE0ELNS1_3repE0EEENS1_30default_config_static_selectorELNS0_4arch9wavefront6targetE1EEEvT1_,@function
_ZN7rocprim17ROCPRIM_400000_NS6detail17trampoline_kernelINS0_14default_configENS1_20scan_config_selectorIiEEZZNS1_9scan_implILNS1_25lookback_scan_determinismE0ELb1ELb1ES3_N6thrust23THRUST_200600_302600_NS6detail15normal_iteratorINS9_10device_ptrIiEEEESE_i11max_functorIiEiEEDaPvRmT3_T4_T5_mT6_P12ihipStream_tbENKUlT_T0_E_clISt17integral_constantIbLb1EESU_EEDaSP_SQ_EUlSP_E_NS1_11comp_targetILNS1_3genE0ELNS1_11target_archE4294967295ELNS1_3gpuE0ELNS1_3repE0EEENS1_30default_config_static_selectorELNS0_4arch9wavefront6targetE1EEEvT1_: ; @_ZN7rocprim17ROCPRIM_400000_NS6detail17trampoline_kernelINS0_14default_configENS1_20scan_config_selectorIiEEZZNS1_9scan_implILNS1_25lookback_scan_determinismE0ELb1ELb1ES3_N6thrust23THRUST_200600_302600_NS6detail15normal_iteratorINS9_10device_ptrIiEEEESE_i11max_functorIiEiEEDaPvRmT3_T4_T5_mT6_P12ihipStream_tbENKUlT_T0_E_clISt17integral_constantIbLb1EESU_EEDaSP_SQ_EUlSP_E_NS1_11comp_targetILNS1_3genE0ELNS1_11target_archE4294967295ELNS1_3gpuE0ELNS1_3repE0EEENS1_30default_config_static_selectorELNS0_4arch9wavefront6targetE1EEEvT1_
; %bb.0:
	.section	.rodata,"a",@progbits
	.p2align	6, 0x0
	.amdhsa_kernel _ZN7rocprim17ROCPRIM_400000_NS6detail17trampoline_kernelINS0_14default_configENS1_20scan_config_selectorIiEEZZNS1_9scan_implILNS1_25lookback_scan_determinismE0ELb1ELb1ES3_N6thrust23THRUST_200600_302600_NS6detail15normal_iteratorINS9_10device_ptrIiEEEESE_i11max_functorIiEiEEDaPvRmT3_T4_T5_mT6_P12ihipStream_tbENKUlT_T0_E_clISt17integral_constantIbLb1EESU_EEDaSP_SQ_EUlSP_E_NS1_11comp_targetILNS1_3genE0ELNS1_11target_archE4294967295ELNS1_3gpuE0ELNS1_3repE0EEENS1_30default_config_static_selectorELNS0_4arch9wavefront6targetE1EEEvT1_
		.amdhsa_group_segment_fixed_size 0
		.amdhsa_private_segment_fixed_size 0
		.amdhsa_kernarg_size 96
		.amdhsa_user_sgpr_count 6
		.amdhsa_user_sgpr_private_segment_buffer 1
		.amdhsa_user_sgpr_dispatch_ptr 0
		.amdhsa_user_sgpr_queue_ptr 0
		.amdhsa_user_sgpr_kernarg_segment_ptr 1
		.amdhsa_user_sgpr_dispatch_id 0
		.amdhsa_user_sgpr_flat_scratch_init 0
		.amdhsa_user_sgpr_kernarg_preload_length 0
		.amdhsa_user_sgpr_kernarg_preload_offset 0
		.amdhsa_user_sgpr_private_segment_size 0
		.amdhsa_uses_dynamic_stack 0
		.amdhsa_system_sgpr_private_segment_wavefront_offset 0
		.amdhsa_system_sgpr_workgroup_id_x 1
		.amdhsa_system_sgpr_workgroup_id_y 0
		.amdhsa_system_sgpr_workgroup_id_z 0
		.amdhsa_system_sgpr_workgroup_info 0
		.amdhsa_system_vgpr_workitem_id 0
		.amdhsa_next_free_vgpr 1
		.amdhsa_next_free_sgpr 0
		.amdhsa_accum_offset 4
		.amdhsa_reserve_vcc 0
		.amdhsa_reserve_flat_scratch 0
		.amdhsa_float_round_mode_32 0
		.amdhsa_float_round_mode_16_64 0
		.amdhsa_float_denorm_mode_32 3
		.amdhsa_float_denorm_mode_16_64 3
		.amdhsa_dx10_clamp 1
		.amdhsa_ieee_mode 1
		.amdhsa_fp16_overflow 0
		.amdhsa_tg_split 0
		.amdhsa_exception_fp_ieee_invalid_op 0
		.amdhsa_exception_fp_denorm_src 0
		.amdhsa_exception_fp_ieee_div_zero 0
		.amdhsa_exception_fp_ieee_overflow 0
		.amdhsa_exception_fp_ieee_underflow 0
		.amdhsa_exception_fp_ieee_inexact 0
		.amdhsa_exception_int_div_zero 0
	.end_amdhsa_kernel
	.section	.text._ZN7rocprim17ROCPRIM_400000_NS6detail17trampoline_kernelINS0_14default_configENS1_20scan_config_selectorIiEEZZNS1_9scan_implILNS1_25lookback_scan_determinismE0ELb1ELb1ES3_N6thrust23THRUST_200600_302600_NS6detail15normal_iteratorINS9_10device_ptrIiEEEESE_i11max_functorIiEiEEDaPvRmT3_T4_T5_mT6_P12ihipStream_tbENKUlT_T0_E_clISt17integral_constantIbLb1EESU_EEDaSP_SQ_EUlSP_E_NS1_11comp_targetILNS1_3genE0ELNS1_11target_archE4294967295ELNS1_3gpuE0ELNS1_3repE0EEENS1_30default_config_static_selectorELNS0_4arch9wavefront6targetE1EEEvT1_,"axG",@progbits,_ZN7rocprim17ROCPRIM_400000_NS6detail17trampoline_kernelINS0_14default_configENS1_20scan_config_selectorIiEEZZNS1_9scan_implILNS1_25lookback_scan_determinismE0ELb1ELb1ES3_N6thrust23THRUST_200600_302600_NS6detail15normal_iteratorINS9_10device_ptrIiEEEESE_i11max_functorIiEiEEDaPvRmT3_T4_T5_mT6_P12ihipStream_tbENKUlT_T0_E_clISt17integral_constantIbLb1EESU_EEDaSP_SQ_EUlSP_E_NS1_11comp_targetILNS1_3genE0ELNS1_11target_archE4294967295ELNS1_3gpuE0ELNS1_3repE0EEENS1_30default_config_static_selectorELNS0_4arch9wavefront6targetE1EEEvT1_,comdat
.Lfunc_end2792:
	.size	_ZN7rocprim17ROCPRIM_400000_NS6detail17trampoline_kernelINS0_14default_configENS1_20scan_config_selectorIiEEZZNS1_9scan_implILNS1_25lookback_scan_determinismE0ELb1ELb1ES3_N6thrust23THRUST_200600_302600_NS6detail15normal_iteratorINS9_10device_ptrIiEEEESE_i11max_functorIiEiEEDaPvRmT3_T4_T5_mT6_P12ihipStream_tbENKUlT_T0_E_clISt17integral_constantIbLb1EESU_EEDaSP_SQ_EUlSP_E_NS1_11comp_targetILNS1_3genE0ELNS1_11target_archE4294967295ELNS1_3gpuE0ELNS1_3repE0EEENS1_30default_config_static_selectorELNS0_4arch9wavefront6targetE1EEEvT1_, .Lfunc_end2792-_ZN7rocprim17ROCPRIM_400000_NS6detail17trampoline_kernelINS0_14default_configENS1_20scan_config_selectorIiEEZZNS1_9scan_implILNS1_25lookback_scan_determinismE0ELb1ELb1ES3_N6thrust23THRUST_200600_302600_NS6detail15normal_iteratorINS9_10device_ptrIiEEEESE_i11max_functorIiEiEEDaPvRmT3_T4_T5_mT6_P12ihipStream_tbENKUlT_T0_E_clISt17integral_constantIbLb1EESU_EEDaSP_SQ_EUlSP_E_NS1_11comp_targetILNS1_3genE0ELNS1_11target_archE4294967295ELNS1_3gpuE0ELNS1_3repE0EEENS1_30default_config_static_selectorELNS0_4arch9wavefront6targetE1EEEvT1_
                                        ; -- End function
	.section	.AMDGPU.csdata,"",@progbits
; Kernel info:
; codeLenInByte = 0
; NumSgprs: 4
; NumVgprs: 0
; NumAgprs: 0
; TotalNumVgprs: 0
; ScratchSize: 0
; MemoryBound: 0
; FloatMode: 240
; IeeeMode: 1
; LDSByteSize: 0 bytes/workgroup (compile time only)
; SGPRBlocks: 0
; VGPRBlocks: 0
; NumSGPRsForWavesPerEU: 4
; NumVGPRsForWavesPerEU: 1
; AccumOffset: 4
; Occupancy: 8
; WaveLimiterHint : 0
; COMPUTE_PGM_RSRC2:SCRATCH_EN: 0
; COMPUTE_PGM_RSRC2:USER_SGPR: 6
; COMPUTE_PGM_RSRC2:TRAP_HANDLER: 0
; COMPUTE_PGM_RSRC2:TGID_X_EN: 1
; COMPUTE_PGM_RSRC2:TGID_Y_EN: 0
; COMPUTE_PGM_RSRC2:TGID_Z_EN: 0
; COMPUTE_PGM_RSRC2:TIDIG_COMP_CNT: 0
; COMPUTE_PGM_RSRC3_GFX90A:ACCUM_OFFSET: 0
; COMPUTE_PGM_RSRC3_GFX90A:TG_SPLIT: 0
	.section	.text._ZN7rocprim17ROCPRIM_400000_NS6detail17trampoline_kernelINS0_14default_configENS1_20scan_config_selectorIiEEZZNS1_9scan_implILNS1_25lookback_scan_determinismE0ELb1ELb1ES3_N6thrust23THRUST_200600_302600_NS6detail15normal_iteratorINS9_10device_ptrIiEEEESE_i11max_functorIiEiEEDaPvRmT3_T4_T5_mT6_P12ihipStream_tbENKUlT_T0_E_clISt17integral_constantIbLb1EESU_EEDaSP_SQ_EUlSP_E_NS1_11comp_targetILNS1_3genE5ELNS1_11target_archE942ELNS1_3gpuE9ELNS1_3repE0EEENS1_30default_config_static_selectorELNS0_4arch9wavefront6targetE1EEEvT1_,"axG",@progbits,_ZN7rocprim17ROCPRIM_400000_NS6detail17trampoline_kernelINS0_14default_configENS1_20scan_config_selectorIiEEZZNS1_9scan_implILNS1_25lookback_scan_determinismE0ELb1ELb1ES3_N6thrust23THRUST_200600_302600_NS6detail15normal_iteratorINS9_10device_ptrIiEEEESE_i11max_functorIiEiEEDaPvRmT3_T4_T5_mT6_P12ihipStream_tbENKUlT_T0_E_clISt17integral_constantIbLb1EESU_EEDaSP_SQ_EUlSP_E_NS1_11comp_targetILNS1_3genE5ELNS1_11target_archE942ELNS1_3gpuE9ELNS1_3repE0EEENS1_30default_config_static_selectorELNS0_4arch9wavefront6targetE1EEEvT1_,comdat
	.protected	_ZN7rocprim17ROCPRIM_400000_NS6detail17trampoline_kernelINS0_14default_configENS1_20scan_config_selectorIiEEZZNS1_9scan_implILNS1_25lookback_scan_determinismE0ELb1ELb1ES3_N6thrust23THRUST_200600_302600_NS6detail15normal_iteratorINS9_10device_ptrIiEEEESE_i11max_functorIiEiEEDaPvRmT3_T4_T5_mT6_P12ihipStream_tbENKUlT_T0_E_clISt17integral_constantIbLb1EESU_EEDaSP_SQ_EUlSP_E_NS1_11comp_targetILNS1_3genE5ELNS1_11target_archE942ELNS1_3gpuE9ELNS1_3repE0EEENS1_30default_config_static_selectorELNS0_4arch9wavefront6targetE1EEEvT1_ ; -- Begin function _ZN7rocprim17ROCPRIM_400000_NS6detail17trampoline_kernelINS0_14default_configENS1_20scan_config_selectorIiEEZZNS1_9scan_implILNS1_25lookback_scan_determinismE0ELb1ELb1ES3_N6thrust23THRUST_200600_302600_NS6detail15normal_iteratorINS9_10device_ptrIiEEEESE_i11max_functorIiEiEEDaPvRmT3_T4_T5_mT6_P12ihipStream_tbENKUlT_T0_E_clISt17integral_constantIbLb1EESU_EEDaSP_SQ_EUlSP_E_NS1_11comp_targetILNS1_3genE5ELNS1_11target_archE942ELNS1_3gpuE9ELNS1_3repE0EEENS1_30default_config_static_selectorELNS0_4arch9wavefront6targetE1EEEvT1_
	.globl	_ZN7rocprim17ROCPRIM_400000_NS6detail17trampoline_kernelINS0_14default_configENS1_20scan_config_selectorIiEEZZNS1_9scan_implILNS1_25lookback_scan_determinismE0ELb1ELb1ES3_N6thrust23THRUST_200600_302600_NS6detail15normal_iteratorINS9_10device_ptrIiEEEESE_i11max_functorIiEiEEDaPvRmT3_T4_T5_mT6_P12ihipStream_tbENKUlT_T0_E_clISt17integral_constantIbLb1EESU_EEDaSP_SQ_EUlSP_E_NS1_11comp_targetILNS1_3genE5ELNS1_11target_archE942ELNS1_3gpuE9ELNS1_3repE0EEENS1_30default_config_static_selectorELNS0_4arch9wavefront6targetE1EEEvT1_
	.p2align	8
	.type	_ZN7rocprim17ROCPRIM_400000_NS6detail17trampoline_kernelINS0_14default_configENS1_20scan_config_selectorIiEEZZNS1_9scan_implILNS1_25lookback_scan_determinismE0ELb1ELb1ES3_N6thrust23THRUST_200600_302600_NS6detail15normal_iteratorINS9_10device_ptrIiEEEESE_i11max_functorIiEiEEDaPvRmT3_T4_T5_mT6_P12ihipStream_tbENKUlT_T0_E_clISt17integral_constantIbLb1EESU_EEDaSP_SQ_EUlSP_E_NS1_11comp_targetILNS1_3genE5ELNS1_11target_archE942ELNS1_3gpuE9ELNS1_3repE0EEENS1_30default_config_static_selectorELNS0_4arch9wavefront6targetE1EEEvT1_,@function
_ZN7rocprim17ROCPRIM_400000_NS6detail17trampoline_kernelINS0_14default_configENS1_20scan_config_selectorIiEEZZNS1_9scan_implILNS1_25lookback_scan_determinismE0ELb1ELb1ES3_N6thrust23THRUST_200600_302600_NS6detail15normal_iteratorINS9_10device_ptrIiEEEESE_i11max_functorIiEiEEDaPvRmT3_T4_T5_mT6_P12ihipStream_tbENKUlT_T0_E_clISt17integral_constantIbLb1EESU_EEDaSP_SQ_EUlSP_E_NS1_11comp_targetILNS1_3genE5ELNS1_11target_archE942ELNS1_3gpuE9ELNS1_3repE0EEENS1_30default_config_static_selectorELNS0_4arch9wavefront6targetE1EEEvT1_: ; @_ZN7rocprim17ROCPRIM_400000_NS6detail17trampoline_kernelINS0_14default_configENS1_20scan_config_selectorIiEEZZNS1_9scan_implILNS1_25lookback_scan_determinismE0ELb1ELb1ES3_N6thrust23THRUST_200600_302600_NS6detail15normal_iteratorINS9_10device_ptrIiEEEESE_i11max_functorIiEiEEDaPvRmT3_T4_T5_mT6_P12ihipStream_tbENKUlT_T0_E_clISt17integral_constantIbLb1EESU_EEDaSP_SQ_EUlSP_E_NS1_11comp_targetILNS1_3genE5ELNS1_11target_archE942ELNS1_3gpuE9ELNS1_3repE0EEENS1_30default_config_static_selectorELNS0_4arch9wavefront6targetE1EEEvT1_
; %bb.0:
	.section	.rodata,"a",@progbits
	.p2align	6, 0x0
	.amdhsa_kernel _ZN7rocprim17ROCPRIM_400000_NS6detail17trampoline_kernelINS0_14default_configENS1_20scan_config_selectorIiEEZZNS1_9scan_implILNS1_25lookback_scan_determinismE0ELb1ELb1ES3_N6thrust23THRUST_200600_302600_NS6detail15normal_iteratorINS9_10device_ptrIiEEEESE_i11max_functorIiEiEEDaPvRmT3_T4_T5_mT6_P12ihipStream_tbENKUlT_T0_E_clISt17integral_constantIbLb1EESU_EEDaSP_SQ_EUlSP_E_NS1_11comp_targetILNS1_3genE5ELNS1_11target_archE942ELNS1_3gpuE9ELNS1_3repE0EEENS1_30default_config_static_selectorELNS0_4arch9wavefront6targetE1EEEvT1_
		.amdhsa_group_segment_fixed_size 0
		.amdhsa_private_segment_fixed_size 0
		.amdhsa_kernarg_size 96
		.amdhsa_user_sgpr_count 6
		.amdhsa_user_sgpr_private_segment_buffer 1
		.amdhsa_user_sgpr_dispatch_ptr 0
		.amdhsa_user_sgpr_queue_ptr 0
		.amdhsa_user_sgpr_kernarg_segment_ptr 1
		.amdhsa_user_sgpr_dispatch_id 0
		.amdhsa_user_sgpr_flat_scratch_init 0
		.amdhsa_user_sgpr_kernarg_preload_length 0
		.amdhsa_user_sgpr_kernarg_preload_offset 0
		.amdhsa_user_sgpr_private_segment_size 0
		.amdhsa_uses_dynamic_stack 0
		.amdhsa_system_sgpr_private_segment_wavefront_offset 0
		.amdhsa_system_sgpr_workgroup_id_x 1
		.amdhsa_system_sgpr_workgroup_id_y 0
		.amdhsa_system_sgpr_workgroup_id_z 0
		.amdhsa_system_sgpr_workgroup_info 0
		.amdhsa_system_vgpr_workitem_id 0
		.amdhsa_next_free_vgpr 1
		.amdhsa_next_free_sgpr 0
		.amdhsa_accum_offset 4
		.amdhsa_reserve_vcc 0
		.amdhsa_reserve_flat_scratch 0
		.amdhsa_float_round_mode_32 0
		.amdhsa_float_round_mode_16_64 0
		.amdhsa_float_denorm_mode_32 3
		.amdhsa_float_denorm_mode_16_64 3
		.amdhsa_dx10_clamp 1
		.amdhsa_ieee_mode 1
		.amdhsa_fp16_overflow 0
		.amdhsa_tg_split 0
		.amdhsa_exception_fp_ieee_invalid_op 0
		.amdhsa_exception_fp_denorm_src 0
		.amdhsa_exception_fp_ieee_div_zero 0
		.amdhsa_exception_fp_ieee_overflow 0
		.amdhsa_exception_fp_ieee_underflow 0
		.amdhsa_exception_fp_ieee_inexact 0
		.amdhsa_exception_int_div_zero 0
	.end_amdhsa_kernel
	.section	.text._ZN7rocprim17ROCPRIM_400000_NS6detail17trampoline_kernelINS0_14default_configENS1_20scan_config_selectorIiEEZZNS1_9scan_implILNS1_25lookback_scan_determinismE0ELb1ELb1ES3_N6thrust23THRUST_200600_302600_NS6detail15normal_iteratorINS9_10device_ptrIiEEEESE_i11max_functorIiEiEEDaPvRmT3_T4_T5_mT6_P12ihipStream_tbENKUlT_T0_E_clISt17integral_constantIbLb1EESU_EEDaSP_SQ_EUlSP_E_NS1_11comp_targetILNS1_3genE5ELNS1_11target_archE942ELNS1_3gpuE9ELNS1_3repE0EEENS1_30default_config_static_selectorELNS0_4arch9wavefront6targetE1EEEvT1_,"axG",@progbits,_ZN7rocprim17ROCPRIM_400000_NS6detail17trampoline_kernelINS0_14default_configENS1_20scan_config_selectorIiEEZZNS1_9scan_implILNS1_25lookback_scan_determinismE0ELb1ELb1ES3_N6thrust23THRUST_200600_302600_NS6detail15normal_iteratorINS9_10device_ptrIiEEEESE_i11max_functorIiEiEEDaPvRmT3_T4_T5_mT6_P12ihipStream_tbENKUlT_T0_E_clISt17integral_constantIbLb1EESU_EEDaSP_SQ_EUlSP_E_NS1_11comp_targetILNS1_3genE5ELNS1_11target_archE942ELNS1_3gpuE9ELNS1_3repE0EEENS1_30default_config_static_selectorELNS0_4arch9wavefront6targetE1EEEvT1_,comdat
.Lfunc_end2793:
	.size	_ZN7rocprim17ROCPRIM_400000_NS6detail17trampoline_kernelINS0_14default_configENS1_20scan_config_selectorIiEEZZNS1_9scan_implILNS1_25lookback_scan_determinismE0ELb1ELb1ES3_N6thrust23THRUST_200600_302600_NS6detail15normal_iteratorINS9_10device_ptrIiEEEESE_i11max_functorIiEiEEDaPvRmT3_T4_T5_mT6_P12ihipStream_tbENKUlT_T0_E_clISt17integral_constantIbLb1EESU_EEDaSP_SQ_EUlSP_E_NS1_11comp_targetILNS1_3genE5ELNS1_11target_archE942ELNS1_3gpuE9ELNS1_3repE0EEENS1_30default_config_static_selectorELNS0_4arch9wavefront6targetE1EEEvT1_, .Lfunc_end2793-_ZN7rocprim17ROCPRIM_400000_NS6detail17trampoline_kernelINS0_14default_configENS1_20scan_config_selectorIiEEZZNS1_9scan_implILNS1_25lookback_scan_determinismE0ELb1ELb1ES3_N6thrust23THRUST_200600_302600_NS6detail15normal_iteratorINS9_10device_ptrIiEEEESE_i11max_functorIiEiEEDaPvRmT3_T4_T5_mT6_P12ihipStream_tbENKUlT_T0_E_clISt17integral_constantIbLb1EESU_EEDaSP_SQ_EUlSP_E_NS1_11comp_targetILNS1_3genE5ELNS1_11target_archE942ELNS1_3gpuE9ELNS1_3repE0EEENS1_30default_config_static_selectorELNS0_4arch9wavefront6targetE1EEEvT1_
                                        ; -- End function
	.section	.AMDGPU.csdata,"",@progbits
; Kernel info:
; codeLenInByte = 0
; NumSgprs: 4
; NumVgprs: 0
; NumAgprs: 0
; TotalNumVgprs: 0
; ScratchSize: 0
; MemoryBound: 0
; FloatMode: 240
; IeeeMode: 1
; LDSByteSize: 0 bytes/workgroup (compile time only)
; SGPRBlocks: 0
; VGPRBlocks: 0
; NumSGPRsForWavesPerEU: 4
; NumVGPRsForWavesPerEU: 1
; AccumOffset: 4
; Occupancy: 8
; WaveLimiterHint : 0
; COMPUTE_PGM_RSRC2:SCRATCH_EN: 0
; COMPUTE_PGM_RSRC2:USER_SGPR: 6
; COMPUTE_PGM_RSRC2:TRAP_HANDLER: 0
; COMPUTE_PGM_RSRC2:TGID_X_EN: 1
; COMPUTE_PGM_RSRC2:TGID_Y_EN: 0
; COMPUTE_PGM_RSRC2:TGID_Z_EN: 0
; COMPUTE_PGM_RSRC2:TIDIG_COMP_CNT: 0
; COMPUTE_PGM_RSRC3_GFX90A:ACCUM_OFFSET: 0
; COMPUTE_PGM_RSRC3_GFX90A:TG_SPLIT: 0
	.section	.text._ZN7rocprim17ROCPRIM_400000_NS6detail17trampoline_kernelINS0_14default_configENS1_20scan_config_selectorIiEEZZNS1_9scan_implILNS1_25lookback_scan_determinismE0ELb1ELb1ES3_N6thrust23THRUST_200600_302600_NS6detail15normal_iteratorINS9_10device_ptrIiEEEESE_i11max_functorIiEiEEDaPvRmT3_T4_T5_mT6_P12ihipStream_tbENKUlT_T0_E_clISt17integral_constantIbLb1EESU_EEDaSP_SQ_EUlSP_E_NS1_11comp_targetILNS1_3genE4ELNS1_11target_archE910ELNS1_3gpuE8ELNS1_3repE0EEENS1_30default_config_static_selectorELNS0_4arch9wavefront6targetE1EEEvT1_,"axG",@progbits,_ZN7rocprim17ROCPRIM_400000_NS6detail17trampoline_kernelINS0_14default_configENS1_20scan_config_selectorIiEEZZNS1_9scan_implILNS1_25lookback_scan_determinismE0ELb1ELb1ES3_N6thrust23THRUST_200600_302600_NS6detail15normal_iteratorINS9_10device_ptrIiEEEESE_i11max_functorIiEiEEDaPvRmT3_T4_T5_mT6_P12ihipStream_tbENKUlT_T0_E_clISt17integral_constantIbLb1EESU_EEDaSP_SQ_EUlSP_E_NS1_11comp_targetILNS1_3genE4ELNS1_11target_archE910ELNS1_3gpuE8ELNS1_3repE0EEENS1_30default_config_static_selectorELNS0_4arch9wavefront6targetE1EEEvT1_,comdat
	.protected	_ZN7rocprim17ROCPRIM_400000_NS6detail17trampoline_kernelINS0_14default_configENS1_20scan_config_selectorIiEEZZNS1_9scan_implILNS1_25lookback_scan_determinismE0ELb1ELb1ES3_N6thrust23THRUST_200600_302600_NS6detail15normal_iteratorINS9_10device_ptrIiEEEESE_i11max_functorIiEiEEDaPvRmT3_T4_T5_mT6_P12ihipStream_tbENKUlT_T0_E_clISt17integral_constantIbLb1EESU_EEDaSP_SQ_EUlSP_E_NS1_11comp_targetILNS1_3genE4ELNS1_11target_archE910ELNS1_3gpuE8ELNS1_3repE0EEENS1_30default_config_static_selectorELNS0_4arch9wavefront6targetE1EEEvT1_ ; -- Begin function _ZN7rocprim17ROCPRIM_400000_NS6detail17trampoline_kernelINS0_14default_configENS1_20scan_config_selectorIiEEZZNS1_9scan_implILNS1_25lookback_scan_determinismE0ELb1ELb1ES3_N6thrust23THRUST_200600_302600_NS6detail15normal_iteratorINS9_10device_ptrIiEEEESE_i11max_functorIiEiEEDaPvRmT3_T4_T5_mT6_P12ihipStream_tbENKUlT_T0_E_clISt17integral_constantIbLb1EESU_EEDaSP_SQ_EUlSP_E_NS1_11comp_targetILNS1_3genE4ELNS1_11target_archE910ELNS1_3gpuE8ELNS1_3repE0EEENS1_30default_config_static_selectorELNS0_4arch9wavefront6targetE1EEEvT1_
	.globl	_ZN7rocprim17ROCPRIM_400000_NS6detail17trampoline_kernelINS0_14default_configENS1_20scan_config_selectorIiEEZZNS1_9scan_implILNS1_25lookback_scan_determinismE0ELb1ELb1ES3_N6thrust23THRUST_200600_302600_NS6detail15normal_iteratorINS9_10device_ptrIiEEEESE_i11max_functorIiEiEEDaPvRmT3_T4_T5_mT6_P12ihipStream_tbENKUlT_T0_E_clISt17integral_constantIbLb1EESU_EEDaSP_SQ_EUlSP_E_NS1_11comp_targetILNS1_3genE4ELNS1_11target_archE910ELNS1_3gpuE8ELNS1_3repE0EEENS1_30default_config_static_selectorELNS0_4arch9wavefront6targetE1EEEvT1_
	.p2align	8
	.type	_ZN7rocprim17ROCPRIM_400000_NS6detail17trampoline_kernelINS0_14default_configENS1_20scan_config_selectorIiEEZZNS1_9scan_implILNS1_25lookback_scan_determinismE0ELb1ELb1ES3_N6thrust23THRUST_200600_302600_NS6detail15normal_iteratorINS9_10device_ptrIiEEEESE_i11max_functorIiEiEEDaPvRmT3_T4_T5_mT6_P12ihipStream_tbENKUlT_T0_E_clISt17integral_constantIbLb1EESU_EEDaSP_SQ_EUlSP_E_NS1_11comp_targetILNS1_3genE4ELNS1_11target_archE910ELNS1_3gpuE8ELNS1_3repE0EEENS1_30default_config_static_selectorELNS0_4arch9wavefront6targetE1EEEvT1_,@function
_ZN7rocprim17ROCPRIM_400000_NS6detail17trampoline_kernelINS0_14default_configENS1_20scan_config_selectorIiEEZZNS1_9scan_implILNS1_25lookback_scan_determinismE0ELb1ELb1ES3_N6thrust23THRUST_200600_302600_NS6detail15normal_iteratorINS9_10device_ptrIiEEEESE_i11max_functorIiEiEEDaPvRmT3_T4_T5_mT6_P12ihipStream_tbENKUlT_T0_E_clISt17integral_constantIbLb1EESU_EEDaSP_SQ_EUlSP_E_NS1_11comp_targetILNS1_3genE4ELNS1_11target_archE910ELNS1_3gpuE8ELNS1_3repE0EEENS1_30default_config_static_selectorELNS0_4arch9wavefront6targetE1EEEvT1_: ; @_ZN7rocprim17ROCPRIM_400000_NS6detail17trampoline_kernelINS0_14default_configENS1_20scan_config_selectorIiEEZZNS1_9scan_implILNS1_25lookback_scan_determinismE0ELb1ELb1ES3_N6thrust23THRUST_200600_302600_NS6detail15normal_iteratorINS9_10device_ptrIiEEEESE_i11max_functorIiEiEEDaPvRmT3_T4_T5_mT6_P12ihipStream_tbENKUlT_T0_E_clISt17integral_constantIbLb1EESU_EEDaSP_SQ_EUlSP_E_NS1_11comp_targetILNS1_3genE4ELNS1_11target_archE910ELNS1_3gpuE8ELNS1_3repE0EEENS1_30default_config_static_selectorELNS0_4arch9wavefront6targetE1EEEvT1_
; %bb.0:
	s_load_dword s33, s[4:5], 0x20
	s_load_dwordx2 s[6:7], s[4:5], 0x28
	v_cmp_ne_u32_e64 s[2:3], 0, v0
	v_cmp_eq_u32_e64 s[0:1], 0, v0
	s_and_saveexec_b64 s[8:9], s[0:1]
	s_cbranch_execz .LBB2794_4
; %bb.1:
	s_mov_b64 s[12:13], exec
	v_mbcnt_lo_u32_b32 v1, s12, 0
	v_mbcnt_hi_u32_b32 v1, s13, v1
	v_cmp_eq_u32_e32 vcc, 0, v1
                                        ; implicit-def: $vgpr2
	s_and_saveexec_b64 s[10:11], vcc
	s_cbranch_execz .LBB2794_3
; %bb.2:
	s_load_dwordx2 s[14:15], s[4:5], 0x58
	s_bcnt1_i32_b64 s12, s[12:13]
	v_mov_b32_e32 v2, 0
	v_mov_b32_e32 v3, s12
	s_waitcnt lgkmcnt(0)
	global_atomic_add v2, v2, v3, s[14:15] glc
.LBB2794_3:
	s_or_b64 exec, exec, s[10:11]
	s_waitcnt vmcnt(0)
	v_readfirstlane_b32 s10, v2
	v_add_u32_e32 v1, s10, v1
	v_mov_b32_e32 v2, 0
	ds_write_b32 v2, v1
.LBB2794_4:
	s_or_b64 exec, exec, s[8:9]
	s_load_dwordx8 s[16:23], s[4:5], 0x0
	s_load_dword s24, s[4:5], 0x30
	s_load_dwordx8 s[8:15], s[4:5], 0x38
	v_mov_b32_e32 v1, 0
	s_waitcnt lgkmcnt(0)
	s_barrier
	ds_read_b32 v1, v1
	s_lshl_b64 s[18:19], s[18:19], 2
	s_add_u32 s34, s16, s18
	s_addc_u32 s35, s17, s19
	s_add_i32 s16, s24, -1
	s_mul_i32 s17, s16, 0x500
	s_sub_u32 s30, s22, s17
	s_waitcnt lgkmcnt(0)
	v_readfirstlane_b32 s36, v1
	s_subb_u32 s31, s23, 0
	s_mul_i32 s4, s36, 0x500
	s_mov_b32 s5, 0
	s_cmp_lg_u32 s36, s16
	s_cselect_b64 s[16:17], -1, 0
	s_lshl_b64 s[22:23], s[4:5], 2
	s_add_u32 s24, s34, s22
	s_addc_u32 s25, s35, s23
	s_mov_b64 s[4:5], -1
	s_and_b64 vcc, exec, s[16:17]
	v_lshlrev_b32_e32 v22, 2, v0
	s_barrier
	s_cbranch_vccz .LBB2794_6
; %bb.5:
	v_mov_b32_e32 v1, s25
	v_add_co_u32_e32 v2, vcc, s24, v22
	v_addc_co_u32_e32 v3, vcc, 0, v1, vcc
	flat_load_dword v1, v[2:3]
	flat_load_dword v4, v[2:3] offset:512
	flat_load_dword v5, v[2:3] offset:1024
	;; [unrolled: 1-line block ×7, first 2 shown]
	v_add_co_u32_e32 v2, vcc, 0x1000, v2
	v_addc_co_u32_e32 v3, vcc, 0, v3, vcc
	flat_load_dword v11, v[2:3]
	flat_load_dword v12, v[2:3] offset:512
	s_mov_b64 s[4:5], 0
	s_waitcnt vmcnt(0) lgkmcnt(0)
	ds_write2st64_b32 v22, v1, v4 offset1:2
	ds_write2st64_b32 v22, v5, v6 offset0:4 offset1:6
	ds_write2st64_b32 v22, v7, v8 offset0:8 offset1:10
	;; [unrolled: 1-line block ×4, first 2 shown]
	s_waitcnt lgkmcnt(0)
	s_barrier
.LBB2794_6:
	s_andn2_b64 vcc, exec, s[4:5]
	v_cmp_gt_u32_e64 s[4:5], s30, v0
	s_cbranch_vccnz .LBB2794_28
; %bb.7:
	v_pk_mov_b32 v[2:3], s[24:25], s[24:25] op_sel:[0,1]
	flat_load_dword v1, v[2:3]
	s_waitcnt vmcnt(0) lgkmcnt(0)
	v_mov_b32_e32 v2, v1
	v_mov_b32_e32 v3, v1
	;; [unrolled: 1-line block ×9, first 2 shown]
	s_and_saveexec_b64 s[26:27], s[4:5]
	s_cbranch_execz .LBB2794_9
; %bb.8:
	v_mov_b32_e32 v11, s25
	v_add_co_u32_e32 v10, vcc, s24, v22
	v_addc_co_u32_e32 v11, vcc, 0, v11, vcc
	flat_load_dword v10, v[10:11]
.LBB2794_9:
	s_or_b64 exec, exec, s[26:27]
	v_or_b32_e32 v11, 0x80, v0
	v_cmp_gt_u32_e32 vcc, s30, v11
	s_and_saveexec_b64 s[4:5], vcc
	s_cbranch_execz .LBB2794_11
; %bb.10:
	v_mov_b32_e32 v1, s25
	v_add_co_u32_e32 v12, vcc, s24, v22
	v_addc_co_u32_e32 v13, vcc, 0, v1, vcc
	flat_load_dword v1, v[12:13] offset:512
.LBB2794_11:
	s_or_b64 exec, exec, s[4:5]
	v_or_b32_e32 v11, 0x100, v0
	v_cmp_gt_u32_e32 vcc, s30, v11
	s_and_saveexec_b64 s[4:5], vcc
	s_cbranch_execz .LBB2794_13
; %bb.12:
	v_mov_b32_e32 v2, s25
	v_add_co_u32_e32 v12, vcc, s24, v22
	v_addc_co_u32_e32 v13, vcc, 0, v2, vcc
	flat_load_dword v2, v[12:13] offset:1024
.LBB2794_13:
	;; [unrolled: 11-line block ×7, first 2 shown]
	s_or_b64 exec, exec, s[4:5]
	v_or_b32_e32 v11, 0x400, v0
	v_cmp_gt_u32_e32 vcc, s30, v11
	s_and_saveexec_b64 s[4:5], vcc
	s_cbranch_execz .LBB2794_25
; %bb.24:
	v_lshlrev_b32_e32 v8, 2, v11
	v_mov_b32_e32 v11, s25
	v_add_co_u32_e32 v12, vcc, s24, v8
	v_addc_co_u32_e32 v13, vcc, 0, v11, vcc
	flat_load_dword v8, v[12:13]
.LBB2794_25:
	s_or_b64 exec, exec, s[4:5]
	v_or_b32_e32 v11, 0x480, v0
	v_cmp_gt_u32_e32 vcc, s30, v11
	s_and_saveexec_b64 s[4:5], vcc
	s_cbranch_execz .LBB2794_27
; %bb.26:
	v_lshlrev_b32_e32 v9, 2, v11
	v_mov_b32_e32 v11, s25
	v_add_co_u32_e32 v12, vcc, s24, v9
	v_addc_co_u32_e32 v13, vcc, 0, v11, vcc
	flat_load_dword v9, v[12:13]
.LBB2794_27:
	s_or_b64 exec, exec, s[4:5]
	s_waitcnt vmcnt(0) lgkmcnt(0)
	ds_write2st64_b32 v22, v10, v1 offset1:2
	ds_write2st64_b32 v22, v2, v3 offset0:4 offset1:6
	ds_write2st64_b32 v22, v4, v5 offset0:8 offset1:10
	;; [unrolled: 1-line block ×4, first 2 shown]
	s_waitcnt lgkmcnt(0)
	s_barrier
.LBB2794_28:
	v_mul_u32_u24_e32 v23, 10, v0
	v_lshlrev_b32_e32 v24, 2, v23
	ds_read2_b64 v[16:19], v24 offset1:1
	ds_read2_b64 v[12:15], v24 offset0:2 offset1:3
	ds_read_b64 v[20:21], v24 offset:32
	s_cmp_lg_u32 s36, 0
	v_cmp_gt_u32_e32 vcc, 64, v0
	s_waitcnt lgkmcnt(2)
	v_max_i32_e32 v1, v16, v17
	v_max3_i32 v25, v1, v18, v19
	v_lshrrev_b32_e32 v1, 5, v0
	s_waitcnt lgkmcnt(0)
	s_barrier
	s_cbranch_scc0 .LBB2794_57
; %bb.29:
	v_max3_i32 v2, v25, v12, v13
	v_max3_i32 v2, v2, v14, v15
	;; [unrolled: 1-line block ×3, first 2 shown]
	v_add_lshl_u32 v2, v1, v0, 2
	ds_write_b32 v2, v26
	s_waitcnt lgkmcnt(0)
	s_barrier
	s_and_saveexec_b64 s[24:25], vcc
	s_cbranch_execz .LBB2794_31
; %bb.30:
	v_lshlrev_b32_e32 v2, 1, v0
	v_lshrrev_b32_e32 v3, 4, v0
	v_add_lshl_u32 v4, v3, v2, 2
	ds_read2_b32 v[2:3], v4 offset1:1
	v_mbcnt_lo_u32_b32 v5, -1, 0
	v_mbcnt_hi_u32_b32 v5, -1, v5
	v_and_b32_e32 v6, 15, v5
	v_cmp_eq_u32_e64 s[4:5], 0, v6
	s_waitcnt lgkmcnt(0)
	v_max_i32_e32 v3, v2, v3
	; wave barrier
	s_nop 1
	v_mov_b32_dpp v7, v3 row_shr:1 row_mask:0xf bank_mask:0xf
	v_max_i32_e32 v7, v7, v3
	v_cndmask_b32_e64 v3, v7, v3, s[4:5]
	v_cmp_lt_u32_e64 s[4:5], 1, v6
	s_nop 0
	v_mov_b32_dpp v7, v3 row_shr:2 row_mask:0xf bank_mask:0xf
	v_max_i32_e32 v7, v7, v3
	v_cndmask_b32_e64 v3, v3, v7, s[4:5]
	v_cmp_lt_u32_e64 s[4:5], 3, v6
	;; [unrolled: 5-line block ×3, first 2 shown]
	s_nop 0
	v_mov_b32_dpp v7, v3 row_shr:8 row_mask:0xf bank_mask:0xf
	v_max_i32_e32 v7, v7, v3
	v_cndmask_b32_e64 v3, v3, v7, s[4:5]
	v_and_b32_e32 v7, 16, v5
	v_cmp_eq_u32_e64 s[4:5], 0, v7
	v_mov_b32_dpp v6, v3 row_bcast:15 row_mask:0xf bank_mask:0xf
	v_max_i32_e32 v6, v6, v3
	v_cndmask_b32_e64 v3, v6, v3, s[4:5]
	v_cmp_lt_u32_e64 s[4:5], 31, v5
	v_and_b32_e32 v7, 64, v5
	v_mov_b32_dpp v6, v3 row_bcast:31 row_mask:0xf bank_mask:0xf
	v_max_i32_e32 v6, v6, v3
	v_cndmask_b32_e64 v3, v3, v6, s[4:5]
	v_add_u32_e32 v6, -1, v5
	v_cmp_lt_i32_e64 s[4:5], v6, v7
	v_cndmask_b32_e64 v5, v6, v5, s[4:5]
	v_lshlrev_b32_e32 v5, 2, v5
	ds_bpermute_b32 v3, v5, v3
	s_waitcnt lgkmcnt(0)
	v_max_i32_e32 v2, v3, v2
	v_cndmask_b32_e64 v2, v2, v26, s[0:1]
	ds_write_b32 v4, v2
	; wave barrier
	ds_read_b32 v3, v4 offset:4
	s_waitcnt lgkmcnt(0)
	v_max_i32_e32 v2, v2, v3
	ds_write_b32 v4, v2 offset:4
.LBB2794_31:
	s_or_b64 exec, exec, s[24:25]
	s_waitcnt lgkmcnt(0)
	s_barrier
	s_and_saveexec_b64 s[4:5], s[2:3]
	s_cbranch_execz .LBB2794_33
; %bb.32:
	v_add_u32_e32 v2, -1, v0
	v_lshrrev_b32_e32 v3, 5, v2
	v_add_lshl_u32 v2, v3, v2, 2
	ds_read_b32 v26, v2
.LBB2794_33:
	s_or_b64 exec, exec, s[4:5]
	s_and_saveexec_b64 s[24:25], vcc
	s_cbranch_execz .LBB2794_56
; %bb.34:
	v_mov_b32_e32 v11, 0
	ds_read_b32 v2, v11 offset:520
	v_mbcnt_lo_u32_b32 v3, -1, 0
	v_mbcnt_hi_u32_b32 v5, -1, v3
	s_mov_b32 s29, 0
	v_cmp_eq_u32_e64 s[4:5], 0, v5
	s_and_saveexec_b64 s[26:27], s[4:5]
	s_cbranch_execz .LBB2794_36
; %bb.35:
	s_add_i32 s28, s36, 64
	s_lshl_b64 s[28:29], s[28:29], 3
	s_add_u32 s28, s6, s28
	v_mov_b32_e32 v3, 1
	s_addc_u32 s29, s7, s29
	s_waitcnt lgkmcnt(0)
	global_store_dwordx2 v11, v[2:3], s[28:29]
.LBB2794_36:
	s_or_b64 exec, exec, s[26:27]
	v_xad_u32 v4, v5, -1, s36
	v_add_u32_e32 v10, 64, v4
	v_lshlrev_b64 v[6:7], 3, v[10:11]
	v_mov_b32_e32 v3, s7
	v_add_co_u32_e32 v6, vcc, s6, v6
	v_addc_co_u32_e32 v7, vcc, v3, v7, vcc
	global_load_dwordx2 v[8:9], v[6:7], off glc
	s_waitcnt vmcnt(0)
	v_cmp_eq_u16_sdwa s[28:29], v9, v11 src0_sel:BYTE_0 src1_sel:DWORD
	s_and_saveexec_b64 s[26:27], s[28:29]
	s_cbranch_execz .LBB2794_42
; %bb.37:
	s_mov_b32 s37, 1
	s_mov_b64 s[28:29], 0
	v_mov_b32_e32 v3, 0
.LBB2794_38:                            ; =>This Loop Header: Depth=1
                                        ;     Child Loop BB2794_39 Depth 2
	s_max_u32 s38, s37, 1
.LBB2794_39:                            ;   Parent Loop BB2794_38 Depth=1
                                        ; =>  This Inner Loop Header: Depth=2
	s_add_i32 s38, s38, -1
	s_cmp_eq_u32 s38, 0
	s_sleep 1
	s_cbranch_scc0 .LBB2794_39
; %bb.40:                               ;   in Loop: Header=BB2794_38 Depth=1
	global_load_dwordx2 v[8:9], v[6:7], off glc
	s_cmp_lt_u32 s37, 32
	s_cselect_b64 s[38:39], -1, 0
	s_cmp_lg_u64 s[38:39], 0
	s_addc_u32 s37, s37, 0
	s_waitcnt vmcnt(0)
	v_cmp_ne_u16_sdwa s[38:39], v9, v3 src0_sel:BYTE_0 src1_sel:DWORD
	s_or_b64 s[28:29], s[38:39], s[28:29]
	s_andn2_b64 exec, exec, s[28:29]
	s_cbranch_execnz .LBB2794_38
; %bb.41:
	s_or_b64 exec, exec, s[28:29]
.LBB2794_42:
	s_or_b64 exec, exec, s[26:27]
	v_and_b32_e32 v27, 63, v5
	v_cmp_ne_u32_e32 vcc, 63, v27
	v_mov_b32_e32 v3, 2
	v_addc_co_u32_e32 v28, vcc, 0, v5, vcc
	v_cmp_eq_u16_sdwa s[26:27], v9, v3 src0_sel:BYTE_0 src1_sel:DWORD
	v_lshlrev_b64 v[6:7], v5, -1
	v_lshlrev_b32_e32 v28, 2, v28
	v_and_b32_e32 v10, s27, v7
	ds_bpermute_b32 v29, v28, v8
	v_or_b32_e32 v10, 0x80000000, v10
	v_and_b32_e32 v11, s26, v6
	v_ffbl_b32_e32 v10, v10
	v_add_u32_e32 v10, 32, v10
	v_ffbl_b32_e32 v11, v11
	v_min_u32_e32 v10, v11, v10
	s_waitcnt lgkmcnt(0)
	v_max_i32_e32 v11, v29, v8
	v_cmp_lt_u32_e32 vcc, v27, v10
	v_cndmask_b32_e32 v8, v8, v11, vcc
	v_cmp_gt_u32_e32 vcc, 62, v27
	v_cndmask_b32_e64 v11, 0, 1, vcc
	v_lshlrev_b32_e32 v11, 1, v11
	v_add_lshl_u32 v29, v11, v5, 2
	ds_bpermute_b32 v11, v29, v8
	v_add_u32_e32 v30, 2, v27
	v_cmp_gt_u32_e32 vcc, v30, v10
	v_add_u32_e32 v32, 4, v27
	v_add_u32_e32 v34, 8, v27
	s_waitcnt lgkmcnt(0)
	v_max_i32_e32 v11, v11, v8
	v_cndmask_b32_e32 v8, v11, v8, vcc
	v_cmp_gt_u32_e32 vcc, 60, v27
	v_cndmask_b32_e64 v11, 0, 1, vcc
	v_lshlrev_b32_e32 v11, 2, v11
	v_add_lshl_u32 v31, v11, v5, 2
	ds_bpermute_b32 v11, v31, v8
	v_cmp_gt_u32_e32 vcc, v32, v10
	v_add_u32_e32 v37, 16, v27
	v_add_u32_e32 v39, 32, v27
	s_waitcnt lgkmcnt(0)
	v_max_i32_e32 v11, v11, v8
	v_cndmask_b32_e32 v8, v11, v8, vcc
	v_cmp_gt_u32_e32 vcc, 56, v27
	v_cndmask_b32_e64 v11, 0, 1, vcc
	v_lshlrev_b32_e32 v11, 3, v11
	v_add_lshl_u32 v33, v11, v5, 2
	ds_bpermute_b32 v11, v33, v8
	v_cmp_gt_u32_e32 vcc, v34, v10
	s_waitcnt lgkmcnt(0)
	v_max_i32_e32 v11, v11, v8
	v_cndmask_b32_e32 v8, v11, v8, vcc
	v_cmp_gt_u32_e32 vcc, 48, v27
	v_cndmask_b32_e64 v11, 0, 1, vcc
	v_lshlrev_b32_e32 v11, 4, v11
	v_add_lshl_u32 v35, v11, v5, 2
	ds_bpermute_b32 v11, v35, v8
	v_cmp_gt_u32_e32 vcc, v37, v10
	;; [unrolled: 9-line block ×3, first 2 shown]
	s_waitcnt lgkmcnt(0)
	v_max_i32_e32 v5, v5, v8
	v_cndmask_b32_e32 v8, v5, v8, vcc
	v_mov_b32_e32 v5, 0
	s_branch .LBB2794_44
.LBB2794_43:                            ;   in Loop: Header=BB2794_44 Depth=1
	s_or_b64 exec, exec, s[26:27]
	v_cmp_eq_u16_sdwa s[26:27], v9, v3 src0_sel:BYTE_0 src1_sel:DWORD
	v_and_b32_e32 v10, s27, v7
	ds_bpermute_b32 v40, v28, v8
	v_or_b32_e32 v10, 0x80000000, v10
	v_and_b32_e32 v11, s26, v6
	v_ffbl_b32_e32 v10, v10
	v_add_u32_e32 v10, 32, v10
	v_ffbl_b32_e32 v11, v11
	v_min_u32_e32 v10, v11, v10
	s_waitcnt lgkmcnt(0)
	v_max_i32_e32 v11, v40, v8
	v_cmp_lt_u32_e32 vcc, v27, v10
	v_cndmask_b32_e32 v8, v8, v11, vcc
	ds_bpermute_b32 v11, v29, v8
	v_cmp_gt_u32_e32 vcc, v30, v10
	v_subrev_u32_e32 v4, 64, v4
	s_waitcnt lgkmcnt(0)
	v_max_i32_e32 v11, v11, v8
	v_cndmask_b32_e32 v8, v11, v8, vcc
	ds_bpermute_b32 v11, v31, v8
	v_cmp_gt_u32_e32 vcc, v32, v10
	s_waitcnt lgkmcnt(0)
	v_max_i32_e32 v11, v11, v8
	v_cndmask_b32_e32 v8, v11, v8, vcc
	ds_bpermute_b32 v11, v33, v8
	v_cmp_gt_u32_e32 vcc, v34, v10
	;; [unrolled: 5-line block ×4, first 2 shown]
	s_waitcnt lgkmcnt(0)
	v_max_i32_e32 v11, v11, v8
	v_cndmask_b32_e32 v8, v11, v8, vcc
	v_max_i32_e32 v8, v8, v36
.LBB2794_44:                            ; =>This Loop Header: Depth=1
                                        ;     Child Loop BB2794_47 Depth 2
                                        ;       Child Loop BB2794_48 Depth 3
	v_cmp_ne_u16_sdwa s[26:27], v9, v3 src0_sel:BYTE_0 src1_sel:DWORD
	v_cndmask_b32_e64 v9, 0, 1, s[26:27]
	;;#ASMSTART
	;;#ASMEND
	v_cmp_ne_u32_e32 vcc, 0, v9
	s_cmp_lg_u64 vcc, exec
	v_mov_b32_e32 v36, v8
	s_cbranch_scc1 .LBB2794_51
; %bb.45:                               ;   in Loop: Header=BB2794_44 Depth=1
	v_lshlrev_b64 v[8:9], 3, v[4:5]
	v_mov_b32_e32 v11, s7
	v_add_co_u32_e32 v10, vcc, s6, v8
	v_addc_co_u32_e32 v11, vcc, v11, v9, vcc
	global_load_dwordx2 v[8:9], v[10:11], off glc
	s_waitcnt vmcnt(0)
	v_cmp_eq_u16_sdwa s[28:29], v9, v5 src0_sel:BYTE_0 src1_sel:DWORD
	s_and_saveexec_b64 s[26:27], s[28:29]
	s_cbranch_execz .LBB2794_43
; %bb.46:                               ;   in Loop: Header=BB2794_44 Depth=1
	s_mov_b32 s37, 1
	s_mov_b64 s[28:29], 0
.LBB2794_47:                            ;   Parent Loop BB2794_44 Depth=1
                                        ; =>  This Loop Header: Depth=2
                                        ;       Child Loop BB2794_48 Depth 3
	s_max_u32 s38, s37, 1
.LBB2794_48:                            ;   Parent Loop BB2794_44 Depth=1
                                        ;     Parent Loop BB2794_47 Depth=2
                                        ; =>    This Inner Loop Header: Depth=3
	s_add_i32 s38, s38, -1
	s_cmp_eq_u32 s38, 0
	s_sleep 1
	s_cbranch_scc0 .LBB2794_48
; %bb.49:                               ;   in Loop: Header=BB2794_47 Depth=2
	global_load_dwordx2 v[8:9], v[10:11], off glc
	s_cmp_lt_u32 s37, 32
	s_cselect_b64 s[38:39], -1, 0
	s_cmp_lg_u64 s[38:39], 0
	s_addc_u32 s37, s37, 0
	s_waitcnt vmcnt(0)
	v_cmp_ne_u16_sdwa s[38:39], v9, v5 src0_sel:BYTE_0 src1_sel:DWORD
	s_or_b64 s[28:29], s[38:39], s[28:29]
	s_andn2_b64 exec, exec, s[28:29]
	s_cbranch_execnz .LBB2794_47
; %bb.50:                               ;   in Loop: Header=BB2794_44 Depth=1
	s_or_b64 exec, exec, s[28:29]
	s_branch .LBB2794_43
.LBB2794_51:                            ;   in Loop: Header=BB2794_44 Depth=1
                                        ; implicit-def: $vgpr8
                                        ; implicit-def: $vgpr9
	s_cbranch_execz .LBB2794_44
; %bb.52:
	s_and_saveexec_b64 s[26:27], s[4:5]
	s_cbranch_execz .LBB2794_54
; %bb.53:
	s_add_i32 s4, s36, 64
	s_mov_b32 s5, 0
	s_lshl_b64 s[4:5], s[4:5], 3
	s_add_u32 s4, s6, s4
	v_max_i32_e32 v2, v36, v2
	v_mov_b32_e32 v3, 2
	s_addc_u32 s5, s7, s5
	v_mov_b32_e32 v4, 0
	global_store_dwordx2 v4, v[2:3], s[4:5]
.LBB2794_54:
	s_or_b64 exec, exec, s[26:27]
	s_and_b64 exec, exec, s[0:1]
	s_cbranch_execz .LBB2794_56
; %bb.55:
	v_mov_b32_e32 v2, 0
	ds_write_b32 v2, v36
.LBB2794_56:
	s_or_b64 exec, exec, s[24:25]
	v_mov_b32_e32 v2, 0
	s_waitcnt lgkmcnt(0)
	s_barrier
	ds_read_b32 v2, v2
	s_waitcnt lgkmcnt(0)
	v_max_i32_e32 v3, v2, v26
	v_cndmask_b32_e64 v2, v3, v2, s[0:1]
	v_max_i32_e32 v3, v2, v16
	v_max_i32_e32 v4, v3, v17
	;; [unrolled: 1-line block ×9, first 2 shown]
	s_branch .LBB2794_67
.LBB2794_57:
                                        ; implicit-def: $vgpr2_vgpr3_vgpr4_vgpr5_vgpr6_vgpr7_vgpr8_vgpr9_vgpr10_vgpr11
	s_cbranch_execz .LBB2794_67
; %bb.58:
	s_cmp_eq_u64 s[12:13], 0
	v_mov_b32_e32 v26, s33
	s_cbranch_scc1 .LBB2794_60
; %bb.59:
	v_mov_b32_e32 v2, 0
	global_load_dword v4, v2, s[8:9]
	v_mov_b32_e32 v3, s35
	v_add_co_u32_e64 v2, vcc, -4, s34
	v_addc_co_u32_e32 v3, vcc, -1, v3, vcc
	flat_load_dword v2, v[2:3]
	s_waitcnt vmcnt(0) lgkmcnt(0)
	v_max_i32_e32 v26, v4, v2
.LBB2794_60:
	v_max3_i32 v2, v25, v12, v13
	v_max3_i32 v2, v2, v14, v15
	;; [unrolled: 1-line block ×3, first 2 shown]
	v_add_lshl_u32 v1, v1, v0, 2
	v_cmp_gt_u32_e32 vcc, 64, v0
	ds_write_b32 v1, v2
	s_waitcnt lgkmcnt(0)
	s_barrier
	s_and_saveexec_b64 s[4:5], vcc
	s_cbranch_execz .LBB2794_62
; %bb.61:
	v_lshlrev_b32_e32 v1, 1, v0
	v_lshrrev_b32_e32 v3, 4, v0
	v_add_lshl_u32 v1, v3, v1, 2
	ds_read2_b32 v[4:5], v1 offset1:1
	v_mbcnt_lo_u32_b32 v3, -1, 0
	v_mbcnt_hi_u32_b32 v3, -1, v3
	v_and_b32_e32 v6, 15, v3
	v_cmp_eq_u32_e32 vcc, 0, v6
	s_waitcnt lgkmcnt(0)
	v_max_i32_e32 v5, v4, v5
	; wave barrier
	s_nop 1
	v_mov_b32_dpp v7, v5 row_shr:1 row_mask:0xf bank_mask:0xf
	v_max_i32_e32 v7, v7, v5
	v_cndmask_b32_e32 v5, v7, v5, vcc
	v_cmp_lt_u32_e32 vcc, 1, v6
	s_nop 0
	v_mov_b32_dpp v7, v5 row_shr:2 row_mask:0xf bank_mask:0xf
	v_max_i32_e32 v7, v7, v5
	v_cndmask_b32_e32 v5, v5, v7, vcc
	v_cmp_lt_u32_e32 vcc, 3, v6
	;; [unrolled: 5-line block ×3, first 2 shown]
	s_nop 0
	v_mov_b32_dpp v7, v5 row_shr:8 row_mask:0xf bank_mask:0xf
	v_max_i32_e32 v7, v7, v5
	v_cndmask_b32_e32 v5, v5, v7, vcc
	v_and_b32_e32 v7, 16, v3
	v_cmp_eq_u32_e32 vcc, 0, v7
	v_mov_b32_dpp v6, v5 row_bcast:15 row_mask:0xf bank_mask:0xf
	v_max_i32_e32 v6, v6, v5
	v_cndmask_b32_e32 v5, v6, v5, vcc
	v_cmp_lt_u32_e32 vcc, 31, v3
	v_and_b32_e32 v7, 64, v3
	v_mov_b32_dpp v6, v5 row_bcast:31 row_mask:0xf bank_mask:0xf
	v_max_i32_e32 v6, v6, v5
	v_cndmask_b32_e32 v5, v5, v6, vcc
	v_add_u32_e32 v6, -1, v3
	v_cmp_lt_i32_e32 vcc, v6, v7
	v_cndmask_b32_e32 v3, v6, v3, vcc
	v_lshlrev_b32_e32 v3, 2, v3
	ds_bpermute_b32 v3, v3, v5
	s_waitcnt lgkmcnt(0)
	v_max_i32_e32 v3, v3, v4
	v_cndmask_b32_e64 v2, v3, v2, s[0:1]
	ds_write_b32 v1, v2
	; wave barrier
	ds_read_b32 v3, v1 offset:4
	s_waitcnt lgkmcnt(0)
	v_max_i32_e32 v2, v2, v3
	ds_write_b32 v1, v2 offset:4
.LBB2794_62:
	s_or_b64 exec, exec, s[4:5]
	v_mov_b32_e32 v2, v26
	s_waitcnt lgkmcnt(0)
	s_barrier
	s_and_saveexec_b64 s[4:5], s[2:3]
	s_cbranch_execz .LBB2794_64
; %bb.63:
	v_add_u32_e32 v1, -1, v0
	v_lshrrev_b32_e32 v2, 5, v1
	v_add_lshl_u32 v1, v2, v1, 2
	ds_read_b32 v1, v1
	s_waitcnt lgkmcnt(0)
	v_max_i32_e32 v2, v26, v1
.LBB2794_64:
	s_or_b64 exec, exec, s[4:5]
	v_max_i32_e32 v3, v2, v16
	v_max_i32_e32 v4, v3, v17
	;; [unrolled: 1-line block ×9, first 2 shown]
	s_and_saveexec_b64 s[2:3], s[0:1]
	s_cbranch_execz .LBB2794_66
; %bb.65:
	v_mov_b32_e32 v1, 0
	ds_read_b32 v12, v1 offset:520
	v_mov_b32_e32 v13, 2
	s_waitcnt lgkmcnt(0)
	v_max_i32_e32 v12, v26, v12
	global_store_dwordx2 v1, v[12:13], s[6:7] offset:512
.LBB2794_66:
	s_or_b64 exec, exec, s[2:3]
.LBB2794_67:
	s_add_u32 s0, s20, s18
	s_addc_u32 s1, s21, s19
	s_add_u32 s2, s0, s22
	s_addc_u32 s3, s1, s23
	s_mov_b64 s[0:1], -1
	s_and_b64 vcc, exec, s[16:17]
	s_barrier
	s_cbranch_vccz .LBB2794_69
; %bb.68:
	ds_write2_b64 v24, v[2:3], v[4:5] offset1:1
	ds_write2_b64 v24, v[6:7], v[8:9] offset0:2 offset1:3
	ds_write_b64 v24, v[10:11] offset:32
	s_waitcnt lgkmcnt(0)
	s_barrier
	ds_read2st64_b32 v[12:13], v22 offset1:2
	ds_read2st64_b32 v[14:15], v22 offset0:4 offset1:6
	ds_read2st64_b32 v[16:17], v22 offset0:8 offset1:10
	;; [unrolled: 1-line block ×4, first 2 shown]
	v_mov_b32_e32 v1, s3
	v_add_co_u32_e32 v26, vcc, s2, v22
	v_addc_co_u32_e32 v27, vcc, 0, v1, vcc
	s_waitcnt lgkmcnt(4)
	flat_store_dword v[26:27], v12
	flat_store_dword v[26:27], v13 offset:512
	s_waitcnt lgkmcnt(0)
	flat_store_dword v[26:27], v14 offset:1024
	flat_store_dword v[26:27], v15 offset:1536
	;; [unrolled: 1-line block ×6, first 2 shown]
	v_add_co_u32_e32 v12, vcc, 0x1000, v26
	v_addc_co_u32_e32 v13, vcc, 0, v27, vcc
	flat_store_dword v[12:13], v20
	flat_store_dword v[12:13], v21 offset:512
	s_mov_b64 s[0:1], 0
.LBB2794_69:
	s_andn2_b64 vcc, exec, s[0:1]
	s_cbranch_vccnz .LBB2794_125
; %bb.70:
	s_movk_i32 s0, 0xffdc
	ds_write2_b64 v24, v[2:3], v[4:5] offset1:1
	ds_write2_b64 v24, v[6:7], v[8:9] offset0:2 offset1:3
	ds_write_b64 v24, v[10:11] offset:32
	v_mad_i32_i24 v10, v0, s0, v24
	s_waitcnt lgkmcnt(0)
	s_barrier
	ds_read2st64_b32 v[2:3], v10 offset1:2
	ds_read2st64_b32 v[6:7], v10 offset0:4 offset1:6
	ds_read2st64_b32 v[4:5], v10 offset0:8 offset1:10
	;; [unrolled: 1-line block ×4, first 2 shown]
	v_mov_b32_e32 v13, s3
	v_add_co_u32_e32 v12, vcc, s2, v22
	v_addc_co_u32_e32 v13, vcc, 0, v13, vcc
	v_mov_b32_e32 v1, 0
	v_cmp_gt_u32_e32 vcc, s30, v0
	s_and_saveexec_b64 s[0:1], vcc
	s_cbranch_execz .LBB2794_72
; %bb.71:
	s_waitcnt lgkmcnt(0)
	flat_store_dword v[12:13], v2
.LBB2794_72:
	s_or_b64 exec, exec, s[0:1]
	v_or_b32_e32 v14, 0x80, v0
	v_cmp_gt_u32_e32 vcc, s30, v14
	s_and_saveexec_b64 s[0:1], vcc
	s_cbranch_execz .LBB2794_74
; %bb.73:
	s_waitcnt lgkmcnt(0)
	flat_store_dword v[12:13], v3 offset:512
.LBB2794_74:
	s_or_b64 exec, exec, s[0:1]
	v_or_b32_e32 v14, 0x100, v0
	v_cmp_gt_u32_e32 vcc, s30, v14
	s_and_saveexec_b64 s[0:1], vcc
	s_cbranch_execz .LBB2794_76
; %bb.75:
	s_waitcnt lgkmcnt(0)
	flat_store_dword v[12:13], v6 offset:1024
.LBB2794_76:
	;; [unrolled: 9-line block ×7, first 2 shown]
	s_or_b64 exec, exec, s[0:1]
	v_or_b32_e32 v14, 0x400, v0
	v_cmp_gt_u32_e32 vcc, s30, v14
	s_and_saveexec_b64 s[0:1], vcc
	s_cbranch_execz .LBB2794_88
; %bb.87:
	v_add_co_u32_e32 v14, vcc, 0x1000, v12
	v_addc_co_u32_e32 v15, vcc, 0, v13, vcc
	s_waitcnt lgkmcnt(0)
	flat_store_dword v[14:15], v10
.LBB2794_88:
	s_or_b64 exec, exec, s[0:1]
	v_or_b32_e32 v14, 0x480, v0
	v_cmp_gt_u32_e32 vcc, s30, v14
	s_and_saveexec_b64 s[0:1], vcc
	s_cbranch_execz .LBB2794_90
; %bb.89:
	v_add_co_u32_e32 v12, vcc, 0x1000, v12
	v_addc_co_u32_e32 v13, vcc, 0, v13, vcc
	s_waitcnt lgkmcnt(0)
	flat_store_dword v[12:13], v11 offset:512
.LBB2794_90:
	s_or_b64 exec, exec, s[0:1]
	v_cmp_lt_u64_e64 s[0:1], s[14:15], 2
	s_and_b64 vcc, exec, s[0:1]
	s_cbranch_vccnz .LBB2794_125
; %bb.91:
	s_add_u32 s0, s30, -1
	s_addc_u32 s1, s31, -1
	s_add_u32 s2, 0, 0x99986000
	s_addc_u32 s3, 0, 0x59
	s_add_i32 s3, s3, 0x19999940
	s_mul_hi_u32 s7, s2, -10
	s_sub_i32 s7, s7, s2
	s_mul_i32 s8, s3, -10
	s_mul_i32 s4, s2, -10
	s_add_i32 s7, s7, s8
	s_mul_hi_u32 s5, s3, s4
	s_mul_i32 s6, s3, s4
	s_mul_i32 s9, s2, s7
	s_mul_hi_u32 s4, s2, s4
	s_mul_hi_u32 s8, s2, s7
	s_add_u32 s4, s4, s9
	s_addc_u32 s8, 0, s8
	s_add_u32 s4, s4, s6
	s_mul_hi_u32 s9, s3, s7
	s_addc_u32 s4, s8, s5
	s_addc_u32 s5, s9, 0
	s_mul_i32 s6, s3, s7
	s_add_u32 s4, s4, s6
	v_mov_b32_e32 v12, s4
	s_addc_u32 s5, 0, s5
	v_add_co_u32_e32 v12, vcc, s2, v12
	s_cmp_lg_u64 vcc, 0
	s_addc_u32 s2, s3, s5
	v_readfirstlane_b32 s5, v12
	s_mul_i32 s4, s0, s2
	s_mul_hi_u32 s6, s0, s5
	s_mul_hi_u32 s3, s0, s2
	s_add_u32 s4, s6, s4
	s_addc_u32 s3, 0, s3
	s_mul_hi_u32 s7, s1, s5
	s_mul_i32 s5, s1, s5
	s_add_u32 s4, s4, s5
	s_mul_hi_u32 s6, s1, s2
	s_addc_u32 s3, s3, s7
	s_addc_u32 s4, s6, 0
	s_mul_i32 s2, s1, s2
	s_add_u32 s2, s3, s2
	s_addc_u32 s3, 0, s4
	s_add_u32 s4, s2, 1
	s_addc_u32 s5, s3, 0
	s_add_u32 s6, s2, 2
	s_mul_i32 s8, s3, 10
	s_mul_hi_u32 s9, s2, 10
	s_addc_u32 s7, s3, 0
	s_add_i32 s9, s9, s8
	s_mul_i32 s8, s2, 10
	v_mov_b32_e32 v12, s8
	v_sub_co_u32_e32 v12, vcc, s0, v12
	s_cmp_lg_u64 vcc, 0
	s_subb_u32 s8, s1, s9
	v_subrev_co_u32_e32 v13, vcc, 10, v12
	s_cmp_lg_u64 vcc, 0
	s_subb_u32 s9, s8, 0
	v_readfirstlane_b32 s12, v13
	s_cmp_gt_u32 s12, 9
	s_cselect_b32 s12, -1, 0
	s_cmp_eq_u32 s9, 0
	s_cselect_b32 s9, s12, -1
	s_cmp_lg_u32 s9, 0
	s_cselect_b32 s4, s6, s4
	v_readfirstlane_b32 s6, v12
	s_cselect_b32 s5, s7, s5
	s_cmp_gt_u32 s6, 9
	s_cselect_b32 s6, -1, 0
	s_cmp_eq_u32 s8, 0
	s_cselect_b32 s6, s6, -1
	s_cmp_lg_u32 s6, 0
	s_cselect_b32 s3, s5, s3
	s_cselect_b32 s2, s4, s2
	v_cmp_eq_u64_e32 vcc, s[2:3], v[0:1]
	s_and_saveexec_b64 s[2:3], vcc
	s_cbranch_execz .LBB2794_125
; %bb.92:
	v_mul_hi_u32_u24_e32 v1, 10, v0
	v_mov_b32_e32 v12, s1
	v_sub_co_u32_e32 v0, vcc, s0, v23
	v_subb_co_u32_e32 v1, vcc, v12, v1, vcc
	v_cmp_lt_i64_e32 vcc, 4, v[0:1]
	s_and_saveexec_b64 s[0:1], vcc
	s_xor_b64 s[0:1], exec, s[0:1]
	s_cbranch_execz .LBB2794_110
; %bb.93:
	v_cmp_lt_i64_e32 vcc, 6, v[0:1]
	s_and_saveexec_b64 s[2:3], vcc
	s_xor_b64 s[2:3], exec, s[2:3]
	s_cbranch_execz .LBB2794_103
; %bb.94:
	;; [unrolled: 5-line block ×4, first 2 shown]
	v_mov_b32_e32 v0, 0
	s_waitcnt lgkmcnt(0)
	global_store_dword v0, v11, s[10:11]
                                        ; implicit-def: $vgpr10_vgpr11
.LBB2794_97:
	s_andn2_saveexec_b64 s[6:7], s[6:7]
	s_cbranch_execz .LBB2794_99
; %bb.98:
	v_mov_b32_e32 v0, 0
	s_waitcnt lgkmcnt(0)
	global_store_dword v0, v10, s[10:11]
.LBB2794_99:
	s_or_b64 exec, exec, s[6:7]
                                        ; implicit-def: $vgpr8_vgpr9
.LBB2794_100:
	s_andn2_saveexec_b64 s[4:5], s[4:5]
	s_cbranch_execz .LBB2794_102
; %bb.101:
	v_mov_b32_e32 v0, 0
	s_waitcnt lgkmcnt(0)
	global_store_dword v0, v9, s[10:11]
.LBB2794_102:
	s_or_b64 exec, exec, s[4:5]
                                        ; implicit-def: $vgpr4_vgpr5
                                        ; implicit-def: $vgpr0_vgpr1
                                        ; implicit-def: $vgpr8_vgpr9
.LBB2794_103:
	s_andn2_saveexec_b64 s[2:3], s[2:3]
	s_cbranch_execz .LBB2794_109
; %bb.104:
	v_cmp_lt_i64_e32 vcc, 5, v[0:1]
	s_and_saveexec_b64 s[4:5], vcc
	s_xor_b64 s[4:5], exec, s[4:5]
	s_cbranch_execz .LBB2794_106
; %bb.105:
	v_mov_b32_e32 v0, 0
	s_waitcnt lgkmcnt(0)
	global_store_dword v0, v8, s[10:11]
                                        ; implicit-def: $vgpr4_vgpr5
.LBB2794_106:
	s_andn2_saveexec_b64 s[4:5], s[4:5]
	s_cbranch_execz .LBB2794_108
; %bb.107:
	v_mov_b32_e32 v0, 0
	s_waitcnt lgkmcnt(0)
	global_store_dword v0, v5, s[10:11]
.LBB2794_108:
	s_or_b64 exec, exec, s[4:5]
.LBB2794_109:
	s_or_b64 exec, exec, s[2:3]
                                        ; implicit-def: $vgpr0_vgpr1
                                        ; implicit-def: $vgpr6_vgpr7
                                        ; implicit-def: $vgpr2_vgpr3
                                        ; implicit-def: $vgpr4_vgpr5
.LBB2794_110:
	s_andn2_saveexec_b64 s[0:1], s[0:1]
	s_cbranch_execz .LBB2794_125
; %bb.111:
	v_cmp_lt_i64_e32 vcc, 2, v[0:1]
	s_and_saveexec_b64 s[0:1], vcc
	s_xor_b64 s[0:1], exec, s[0:1]
	s_cbranch_execz .LBB2794_117
; %bb.112:
	v_cmp_lt_i64_e32 vcc, 3, v[0:1]
	s_and_saveexec_b64 s[2:3], vcc
	s_xor_b64 s[2:3], exec, s[2:3]
	s_cbranch_execz .LBB2794_114
; %bb.113:
	v_mov_b32_e32 v0, 0
	s_waitcnt lgkmcnt(0)
	global_store_dword v0, v4, s[10:11]
                                        ; implicit-def: $vgpr6_vgpr7
.LBB2794_114:
	s_andn2_saveexec_b64 s[2:3], s[2:3]
	s_cbranch_execz .LBB2794_116
; %bb.115:
	v_mov_b32_e32 v0, 0
	s_waitcnt lgkmcnt(0)
	global_store_dword v0, v7, s[10:11]
.LBB2794_116:
	s_or_b64 exec, exec, s[2:3]
                                        ; implicit-def: $vgpr0_vgpr1
                                        ; implicit-def: $vgpr6_vgpr7
                                        ; implicit-def: $vgpr2_vgpr3
.LBB2794_117:
	s_andn2_saveexec_b64 s[0:1], s[0:1]
	s_cbranch_execz .LBB2794_125
; %bb.118:
	v_cmp_lt_i64_e32 vcc, 1, v[0:1]
	s_and_saveexec_b64 s[0:1], vcc
	s_xor_b64 s[0:1], exec, s[0:1]
	s_cbranch_execz .LBB2794_120
; %bb.119:
	v_mov_b32_e32 v0, 0
	s_waitcnt lgkmcnt(0)
	global_store_dword v0, v6, s[10:11]
                                        ; implicit-def: $vgpr2_vgpr3
                                        ; implicit-def: $vgpr0_vgpr1
.LBB2794_120:
	s_andn2_saveexec_b64 s[0:1], s[0:1]
	s_cbranch_execz .LBB2794_125
; %bb.121:
	v_cmp_ne_u64_e32 vcc, 1, v[0:1]
	s_and_saveexec_b64 s[0:1], vcc
	s_xor_b64 s[0:1], exec, s[0:1]
	s_cbranch_execz .LBB2794_123
; %bb.122:
	v_mov_b32_e32 v0, 0
	s_waitcnt lgkmcnt(0)
	global_store_dword v0, v2, s[10:11]
                                        ; implicit-def: $vgpr2_vgpr3
.LBB2794_123:
	s_andn2_saveexec_b64 s[0:1], s[0:1]
	s_cbranch_execz .LBB2794_125
; %bb.124:
	v_mov_b32_e32 v0, 0
	s_waitcnt lgkmcnt(0)
	global_store_dword v0, v3, s[10:11]
.LBB2794_125:
	s_endpgm
	.section	.rodata,"a",@progbits
	.p2align	6, 0x0
	.amdhsa_kernel _ZN7rocprim17ROCPRIM_400000_NS6detail17trampoline_kernelINS0_14default_configENS1_20scan_config_selectorIiEEZZNS1_9scan_implILNS1_25lookback_scan_determinismE0ELb1ELb1ES3_N6thrust23THRUST_200600_302600_NS6detail15normal_iteratorINS9_10device_ptrIiEEEESE_i11max_functorIiEiEEDaPvRmT3_T4_T5_mT6_P12ihipStream_tbENKUlT_T0_E_clISt17integral_constantIbLb1EESU_EEDaSP_SQ_EUlSP_E_NS1_11comp_targetILNS1_3genE4ELNS1_11target_archE910ELNS1_3gpuE8ELNS1_3repE0EEENS1_30default_config_static_selectorELNS0_4arch9wavefront6targetE1EEEvT1_
		.amdhsa_group_segment_fixed_size 5120
		.amdhsa_private_segment_fixed_size 0
		.amdhsa_kernarg_size 96
		.amdhsa_user_sgpr_count 6
		.amdhsa_user_sgpr_private_segment_buffer 1
		.amdhsa_user_sgpr_dispatch_ptr 0
		.amdhsa_user_sgpr_queue_ptr 0
		.amdhsa_user_sgpr_kernarg_segment_ptr 1
		.amdhsa_user_sgpr_dispatch_id 0
		.amdhsa_user_sgpr_flat_scratch_init 0
		.amdhsa_user_sgpr_kernarg_preload_length 0
		.amdhsa_user_sgpr_kernarg_preload_offset 0
		.amdhsa_user_sgpr_private_segment_size 0
		.amdhsa_uses_dynamic_stack 0
		.amdhsa_system_sgpr_private_segment_wavefront_offset 0
		.amdhsa_system_sgpr_workgroup_id_x 1
		.amdhsa_system_sgpr_workgroup_id_y 0
		.amdhsa_system_sgpr_workgroup_id_z 0
		.amdhsa_system_sgpr_workgroup_info 0
		.amdhsa_system_vgpr_workitem_id 0
		.amdhsa_next_free_vgpr 41
		.amdhsa_next_free_sgpr 40
		.amdhsa_accum_offset 44
		.amdhsa_reserve_vcc 1
		.amdhsa_reserve_flat_scratch 0
		.amdhsa_float_round_mode_32 0
		.amdhsa_float_round_mode_16_64 0
		.amdhsa_float_denorm_mode_32 3
		.amdhsa_float_denorm_mode_16_64 3
		.amdhsa_dx10_clamp 1
		.amdhsa_ieee_mode 1
		.amdhsa_fp16_overflow 0
		.amdhsa_tg_split 0
		.amdhsa_exception_fp_ieee_invalid_op 0
		.amdhsa_exception_fp_denorm_src 0
		.amdhsa_exception_fp_ieee_div_zero 0
		.amdhsa_exception_fp_ieee_overflow 0
		.amdhsa_exception_fp_ieee_underflow 0
		.amdhsa_exception_fp_ieee_inexact 0
		.amdhsa_exception_int_div_zero 0
	.end_amdhsa_kernel
	.section	.text._ZN7rocprim17ROCPRIM_400000_NS6detail17trampoline_kernelINS0_14default_configENS1_20scan_config_selectorIiEEZZNS1_9scan_implILNS1_25lookback_scan_determinismE0ELb1ELb1ES3_N6thrust23THRUST_200600_302600_NS6detail15normal_iteratorINS9_10device_ptrIiEEEESE_i11max_functorIiEiEEDaPvRmT3_T4_T5_mT6_P12ihipStream_tbENKUlT_T0_E_clISt17integral_constantIbLb1EESU_EEDaSP_SQ_EUlSP_E_NS1_11comp_targetILNS1_3genE4ELNS1_11target_archE910ELNS1_3gpuE8ELNS1_3repE0EEENS1_30default_config_static_selectorELNS0_4arch9wavefront6targetE1EEEvT1_,"axG",@progbits,_ZN7rocprim17ROCPRIM_400000_NS6detail17trampoline_kernelINS0_14default_configENS1_20scan_config_selectorIiEEZZNS1_9scan_implILNS1_25lookback_scan_determinismE0ELb1ELb1ES3_N6thrust23THRUST_200600_302600_NS6detail15normal_iteratorINS9_10device_ptrIiEEEESE_i11max_functorIiEiEEDaPvRmT3_T4_T5_mT6_P12ihipStream_tbENKUlT_T0_E_clISt17integral_constantIbLb1EESU_EEDaSP_SQ_EUlSP_E_NS1_11comp_targetILNS1_3genE4ELNS1_11target_archE910ELNS1_3gpuE8ELNS1_3repE0EEENS1_30default_config_static_selectorELNS0_4arch9wavefront6targetE1EEEvT1_,comdat
.Lfunc_end2794:
	.size	_ZN7rocprim17ROCPRIM_400000_NS6detail17trampoline_kernelINS0_14default_configENS1_20scan_config_selectorIiEEZZNS1_9scan_implILNS1_25lookback_scan_determinismE0ELb1ELb1ES3_N6thrust23THRUST_200600_302600_NS6detail15normal_iteratorINS9_10device_ptrIiEEEESE_i11max_functorIiEiEEDaPvRmT3_T4_T5_mT6_P12ihipStream_tbENKUlT_T0_E_clISt17integral_constantIbLb1EESU_EEDaSP_SQ_EUlSP_E_NS1_11comp_targetILNS1_3genE4ELNS1_11target_archE910ELNS1_3gpuE8ELNS1_3repE0EEENS1_30default_config_static_selectorELNS0_4arch9wavefront6targetE1EEEvT1_, .Lfunc_end2794-_ZN7rocprim17ROCPRIM_400000_NS6detail17trampoline_kernelINS0_14default_configENS1_20scan_config_selectorIiEEZZNS1_9scan_implILNS1_25lookback_scan_determinismE0ELb1ELb1ES3_N6thrust23THRUST_200600_302600_NS6detail15normal_iteratorINS9_10device_ptrIiEEEESE_i11max_functorIiEiEEDaPvRmT3_T4_T5_mT6_P12ihipStream_tbENKUlT_T0_E_clISt17integral_constantIbLb1EESU_EEDaSP_SQ_EUlSP_E_NS1_11comp_targetILNS1_3genE4ELNS1_11target_archE910ELNS1_3gpuE8ELNS1_3repE0EEENS1_30default_config_static_selectorELNS0_4arch9wavefront6targetE1EEEvT1_
                                        ; -- End function
	.section	.AMDGPU.csdata,"",@progbits
; Kernel info:
; codeLenInByte = 4592
; NumSgprs: 44
; NumVgprs: 41
; NumAgprs: 0
; TotalNumVgprs: 41
; ScratchSize: 0
; MemoryBound: 0
; FloatMode: 240
; IeeeMode: 1
; LDSByteSize: 5120 bytes/workgroup (compile time only)
; SGPRBlocks: 5
; VGPRBlocks: 5
; NumSGPRsForWavesPerEU: 44
; NumVGPRsForWavesPerEU: 41
; AccumOffset: 44
; Occupancy: 6
; WaveLimiterHint : 1
; COMPUTE_PGM_RSRC2:SCRATCH_EN: 0
; COMPUTE_PGM_RSRC2:USER_SGPR: 6
; COMPUTE_PGM_RSRC2:TRAP_HANDLER: 0
; COMPUTE_PGM_RSRC2:TGID_X_EN: 1
; COMPUTE_PGM_RSRC2:TGID_Y_EN: 0
; COMPUTE_PGM_RSRC2:TGID_Z_EN: 0
; COMPUTE_PGM_RSRC2:TIDIG_COMP_CNT: 0
; COMPUTE_PGM_RSRC3_GFX90A:ACCUM_OFFSET: 10
; COMPUTE_PGM_RSRC3_GFX90A:TG_SPLIT: 0
	.section	.text._ZN7rocprim17ROCPRIM_400000_NS6detail17trampoline_kernelINS0_14default_configENS1_20scan_config_selectorIiEEZZNS1_9scan_implILNS1_25lookback_scan_determinismE0ELb1ELb1ES3_N6thrust23THRUST_200600_302600_NS6detail15normal_iteratorINS9_10device_ptrIiEEEESE_i11max_functorIiEiEEDaPvRmT3_T4_T5_mT6_P12ihipStream_tbENKUlT_T0_E_clISt17integral_constantIbLb1EESU_EEDaSP_SQ_EUlSP_E_NS1_11comp_targetILNS1_3genE3ELNS1_11target_archE908ELNS1_3gpuE7ELNS1_3repE0EEENS1_30default_config_static_selectorELNS0_4arch9wavefront6targetE1EEEvT1_,"axG",@progbits,_ZN7rocprim17ROCPRIM_400000_NS6detail17trampoline_kernelINS0_14default_configENS1_20scan_config_selectorIiEEZZNS1_9scan_implILNS1_25lookback_scan_determinismE0ELb1ELb1ES3_N6thrust23THRUST_200600_302600_NS6detail15normal_iteratorINS9_10device_ptrIiEEEESE_i11max_functorIiEiEEDaPvRmT3_T4_T5_mT6_P12ihipStream_tbENKUlT_T0_E_clISt17integral_constantIbLb1EESU_EEDaSP_SQ_EUlSP_E_NS1_11comp_targetILNS1_3genE3ELNS1_11target_archE908ELNS1_3gpuE7ELNS1_3repE0EEENS1_30default_config_static_selectorELNS0_4arch9wavefront6targetE1EEEvT1_,comdat
	.protected	_ZN7rocprim17ROCPRIM_400000_NS6detail17trampoline_kernelINS0_14default_configENS1_20scan_config_selectorIiEEZZNS1_9scan_implILNS1_25lookback_scan_determinismE0ELb1ELb1ES3_N6thrust23THRUST_200600_302600_NS6detail15normal_iteratorINS9_10device_ptrIiEEEESE_i11max_functorIiEiEEDaPvRmT3_T4_T5_mT6_P12ihipStream_tbENKUlT_T0_E_clISt17integral_constantIbLb1EESU_EEDaSP_SQ_EUlSP_E_NS1_11comp_targetILNS1_3genE3ELNS1_11target_archE908ELNS1_3gpuE7ELNS1_3repE0EEENS1_30default_config_static_selectorELNS0_4arch9wavefront6targetE1EEEvT1_ ; -- Begin function _ZN7rocprim17ROCPRIM_400000_NS6detail17trampoline_kernelINS0_14default_configENS1_20scan_config_selectorIiEEZZNS1_9scan_implILNS1_25lookback_scan_determinismE0ELb1ELb1ES3_N6thrust23THRUST_200600_302600_NS6detail15normal_iteratorINS9_10device_ptrIiEEEESE_i11max_functorIiEiEEDaPvRmT3_T4_T5_mT6_P12ihipStream_tbENKUlT_T0_E_clISt17integral_constantIbLb1EESU_EEDaSP_SQ_EUlSP_E_NS1_11comp_targetILNS1_3genE3ELNS1_11target_archE908ELNS1_3gpuE7ELNS1_3repE0EEENS1_30default_config_static_selectorELNS0_4arch9wavefront6targetE1EEEvT1_
	.globl	_ZN7rocprim17ROCPRIM_400000_NS6detail17trampoline_kernelINS0_14default_configENS1_20scan_config_selectorIiEEZZNS1_9scan_implILNS1_25lookback_scan_determinismE0ELb1ELb1ES3_N6thrust23THRUST_200600_302600_NS6detail15normal_iteratorINS9_10device_ptrIiEEEESE_i11max_functorIiEiEEDaPvRmT3_T4_T5_mT6_P12ihipStream_tbENKUlT_T0_E_clISt17integral_constantIbLb1EESU_EEDaSP_SQ_EUlSP_E_NS1_11comp_targetILNS1_3genE3ELNS1_11target_archE908ELNS1_3gpuE7ELNS1_3repE0EEENS1_30default_config_static_selectorELNS0_4arch9wavefront6targetE1EEEvT1_
	.p2align	8
	.type	_ZN7rocprim17ROCPRIM_400000_NS6detail17trampoline_kernelINS0_14default_configENS1_20scan_config_selectorIiEEZZNS1_9scan_implILNS1_25lookback_scan_determinismE0ELb1ELb1ES3_N6thrust23THRUST_200600_302600_NS6detail15normal_iteratorINS9_10device_ptrIiEEEESE_i11max_functorIiEiEEDaPvRmT3_T4_T5_mT6_P12ihipStream_tbENKUlT_T0_E_clISt17integral_constantIbLb1EESU_EEDaSP_SQ_EUlSP_E_NS1_11comp_targetILNS1_3genE3ELNS1_11target_archE908ELNS1_3gpuE7ELNS1_3repE0EEENS1_30default_config_static_selectorELNS0_4arch9wavefront6targetE1EEEvT1_,@function
_ZN7rocprim17ROCPRIM_400000_NS6detail17trampoline_kernelINS0_14default_configENS1_20scan_config_selectorIiEEZZNS1_9scan_implILNS1_25lookback_scan_determinismE0ELb1ELb1ES3_N6thrust23THRUST_200600_302600_NS6detail15normal_iteratorINS9_10device_ptrIiEEEESE_i11max_functorIiEiEEDaPvRmT3_T4_T5_mT6_P12ihipStream_tbENKUlT_T0_E_clISt17integral_constantIbLb1EESU_EEDaSP_SQ_EUlSP_E_NS1_11comp_targetILNS1_3genE3ELNS1_11target_archE908ELNS1_3gpuE7ELNS1_3repE0EEENS1_30default_config_static_selectorELNS0_4arch9wavefront6targetE1EEEvT1_: ; @_ZN7rocprim17ROCPRIM_400000_NS6detail17trampoline_kernelINS0_14default_configENS1_20scan_config_selectorIiEEZZNS1_9scan_implILNS1_25lookback_scan_determinismE0ELb1ELb1ES3_N6thrust23THRUST_200600_302600_NS6detail15normal_iteratorINS9_10device_ptrIiEEEESE_i11max_functorIiEiEEDaPvRmT3_T4_T5_mT6_P12ihipStream_tbENKUlT_T0_E_clISt17integral_constantIbLb1EESU_EEDaSP_SQ_EUlSP_E_NS1_11comp_targetILNS1_3genE3ELNS1_11target_archE908ELNS1_3gpuE7ELNS1_3repE0EEENS1_30default_config_static_selectorELNS0_4arch9wavefront6targetE1EEEvT1_
; %bb.0:
	.section	.rodata,"a",@progbits
	.p2align	6, 0x0
	.amdhsa_kernel _ZN7rocprim17ROCPRIM_400000_NS6detail17trampoline_kernelINS0_14default_configENS1_20scan_config_selectorIiEEZZNS1_9scan_implILNS1_25lookback_scan_determinismE0ELb1ELb1ES3_N6thrust23THRUST_200600_302600_NS6detail15normal_iteratorINS9_10device_ptrIiEEEESE_i11max_functorIiEiEEDaPvRmT3_T4_T5_mT6_P12ihipStream_tbENKUlT_T0_E_clISt17integral_constantIbLb1EESU_EEDaSP_SQ_EUlSP_E_NS1_11comp_targetILNS1_3genE3ELNS1_11target_archE908ELNS1_3gpuE7ELNS1_3repE0EEENS1_30default_config_static_selectorELNS0_4arch9wavefront6targetE1EEEvT1_
		.amdhsa_group_segment_fixed_size 0
		.amdhsa_private_segment_fixed_size 0
		.amdhsa_kernarg_size 96
		.amdhsa_user_sgpr_count 6
		.amdhsa_user_sgpr_private_segment_buffer 1
		.amdhsa_user_sgpr_dispatch_ptr 0
		.amdhsa_user_sgpr_queue_ptr 0
		.amdhsa_user_sgpr_kernarg_segment_ptr 1
		.amdhsa_user_sgpr_dispatch_id 0
		.amdhsa_user_sgpr_flat_scratch_init 0
		.amdhsa_user_sgpr_kernarg_preload_length 0
		.amdhsa_user_sgpr_kernarg_preload_offset 0
		.amdhsa_user_sgpr_private_segment_size 0
		.amdhsa_uses_dynamic_stack 0
		.amdhsa_system_sgpr_private_segment_wavefront_offset 0
		.amdhsa_system_sgpr_workgroup_id_x 1
		.amdhsa_system_sgpr_workgroup_id_y 0
		.amdhsa_system_sgpr_workgroup_id_z 0
		.amdhsa_system_sgpr_workgroup_info 0
		.amdhsa_system_vgpr_workitem_id 0
		.amdhsa_next_free_vgpr 1
		.amdhsa_next_free_sgpr 0
		.amdhsa_accum_offset 4
		.amdhsa_reserve_vcc 0
		.amdhsa_reserve_flat_scratch 0
		.amdhsa_float_round_mode_32 0
		.amdhsa_float_round_mode_16_64 0
		.amdhsa_float_denorm_mode_32 3
		.amdhsa_float_denorm_mode_16_64 3
		.amdhsa_dx10_clamp 1
		.amdhsa_ieee_mode 1
		.amdhsa_fp16_overflow 0
		.amdhsa_tg_split 0
		.amdhsa_exception_fp_ieee_invalid_op 0
		.amdhsa_exception_fp_denorm_src 0
		.amdhsa_exception_fp_ieee_div_zero 0
		.amdhsa_exception_fp_ieee_overflow 0
		.amdhsa_exception_fp_ieee_underflow 0
		.amdhsa_exception_fp_ieee_inexact 0
		.amdhsa_exception_int_div_zero 0
	.end_amdhsa_kernel
	.section	.text._ZN7rocprim17ROCPRIM_400000_NS6detail17trampoline_kernelINS0_14default_configENS1_20scan_config_selectorIiEEZZNS1_9scan_implILNS1_25lookback_scan_determinismE0ELb1ELb1ES3_N6thrust23THRUST_200600_302600_NS6detail15normal_iteratorINS9_10device_ptrIiEEEESE_i11max_functorIiEiEEDaPvRmT3_T4_T5_mT6_P12ihipStream_tbENKUlT_T0_E_clISt17integral_constantIbLb1EESU_EEDaSP_SQ_EUlSP_E_NS1_11comp_targetILNS1_3genE3ELNS1_11target_archE908ELNS1_3gpuE7ELNS1_3repE0EEENS1_30default_config_static_selectorELNS0_4arch9wavefront6targetE1EEEvT1_,"axG",@progbits,_ZN7rocprim17ROCPRIM_400000_NS6detail17trampoline_kernelINS0_14default_configENS1_20scan_config_selectorIiEEZZNS1_9scan_implILNS1_25lookback_scan_determinismE0ELb1ELb1ES3_N6thrust23THRUST_200600_302600_NS6detail15normal_iteratorINS9_10device_ptrIiEEEESE_i11max_functorIiEiEEDaPvRmT3_T4_T5_mT6_P12ihipStream_tbENKUlT_T0_E_clISt17integral_constantIbLb1EESU_EEDaSP_SQ_EUlSP_E_NS1_11comp_targetILNS1_3genE3ELNS1_11target_archE908ELNS1_3gpuE7ELNS1_3repE0EEENS1_30default_config_static_selectorELNS0_4arch9wavefront6targetE1EEEvT1_,comdat
.Lfunc_end2795:
	.size	_ZN7rocprim17ROCPRIM_400000_NS6detail17trampoline_kernelINS0_14default_configENS1_20scan_config_selectorIiEEZZNS1_9scan_implILNS1_25lookback_scan_determinismE0ELb1ELb1ES3_N6thrust23THRUST_200600_302600_NS6detail15normal_iteratorINS9_10device_ptrIiEEEESE_i11max_functorIiEiEEDaPvRmT3_T4_T5_mT6_P12ihipStream_tbENKUlT_T0_E_clISt17integral_constantIbLb1EESU_EEDaSP_SQ_EUlSP_E_NS1_11comp_targetILNS1_3genE3ELNS1_11target_archE908ELNS1_3gpuE7ELNS1_3repE0EEENS1_30default_config_static_selectorELNS0_4arch9wavefront6targetE1EEEvT1_, .Lfunc_end2795-_ZN7rocprim17ROCPRIM_400000_NS6detail17trampoline_kernelINS0_14default_configENS1_20scan_config_selectorIiEEZZNS1_9scan_implILNS1_25lookback_scan_determinismE0ELb1ELb1ES3_N6thrust23THRUST_200600_302600_NS6detail15normal_iteratorINS9_10device_ptrIiEEEESE_i11max_functorIiEiEEDaPvRmT3_T4_T5_mT6_P12ihipStream_tbENKUlT_T0_E_clISt17integral_constantIbLb1EESU_EEDaSP_SQ_EUlSP_E_NS1_11comp_targetILNS1_3genE3ELNS1_11target_archE908ELNS1_3gpuE7ELNS1_3repE0EEENS1_30default_config_static_selectorELNS0_4arch9wavefront6targetE1EEEvT1_
                                        ; -- End function
	.section	.AMDGPU.csdata,"",@progbits
; Kernel info:
; codeLenInByte = 0
; NumSgprs: 4
; NumVgprs: 0
; NumAgprs: 0
; TotalNumVgprs: 0
; ScratchSize: 0
; MemoryBound: 0
; FloatMode: 240
; IeeeMode: 1
; LDSByteSize: 0 bytes/workgroup (compile time only)
; SGPRBlocks: 0
; VGPRBlocks: 0
; NumSGPRsForWavesPerEU: 4
; NumVGPRsForWavesPerEU: 1
; AccumOffset: 4
; Occupancy: 8
; WaveLimiterHint : 0
; COMPUTE_PGM_RSRC2:SCRATCH_EN: 0
; COMPUTE_PGM_RSRC2:USER_SGPR: 6
; COMPUTE_PGM_RSRC2:TRAP_HANDLER: 0
; COMPUTE_PGM_RSRC2:TGID_X_EN: 1
; COMPUTE_PGM_RSRC2:TGID_Y_EN: 0
; COMPUTE_PGM_RSRC2:TGID_Z_EN: 0
; COMPUTE_PGM_RSRC2:TIDIG_COMP_CNT: 0
; COMPUTE_PGM_RSRC3_GFX90A:ACCUM_OFFSET: 0
; COMPUTE_PGM_RSRC3_GFX90A:TG_SPLIT: 0
	.section	.text._ZN7rocprim17ROCPRIM_400000_NS6detail17trampoline_kernelINS0_14default_configENS1_20scan_config_selectorIiEEZZNS1_9scan_implILNS1_25lookback_scan_determinismE0ELb1ELb1ES3_N6thrust23THRUST_200600_302600_NS6detail15normal_iteratorINS9_10device_ptrIiEEEESE_i11max_functorIiEiEEDaPvRmT3_T4_T5_mT6_P12ihipStream_tbENKUlT_T0_E_clISt17integral_constantIbLb1EESU_EEDaSP_SQ_EUlSP_E_NS1_11comp_targetILNS1_3genE2ELNS1_11target_archE906ELNS1_3gpuE6ELNS1_3repE0EEENS1_30default_config_static_selectorELNS0_4arch9wavefront6targetE1EEEvT1_,"axG",@progbits,_ZN7rocprim17ROCPRIM_400000_NS6detail17trampoline_kernelINS0_14default_configENS1_20scan_config_selectorIiEEZZNS1_9scan_implILNS1_25lookback_scan_determinismE0ELb1ELb1ES3_N6thrust23THRUST_200600_302600_NS6detail15normal_iteratorINS9_10device_ptrIiEEEESE_i11max_functorIiEiEEDaPvRmT3_T4_T5_mT6_P12ihipStream_tbENKUlT_T0_E_clISt17integral_constantIbLb1EESU_EEDaSP_SQ_EUlSP_E_NS1_11comp_targetILNS1_3genE2ELNS1_11target_archE906ELNS1_3gpuE6ELNS1_3repE0EEENS1_30default_config_static_selectorELNS0_4arch9wavefront6targetE1EEEvT1_,comdat
	.protected	_ZN7rocprim17ROCPRIM_400000_NS6detail17trampoline_kernelINS0_14default_configENS1_20scan_config_selectorIiEEZZNS1_9scan_implILNS1_25lookback_scan_determinismE0ELb1ELb1ES3_N6thrust23THRUST_200600_302600_NS6detail15normal_iteratorINS9_10device_ptrIiEEEESE_i11max_functorIiEiEEDaPvRmT3_T4_T5_mT6_P12ihipStream_tbENKUlT_T0_E_clISt17integral_constantIbLb1EESU_EEDaSP_SQ_EUlSP_E_NS1_11comp_targetILNS1_3genE2ELNS1_11target_archE906ELNS1_3gpuE6ELNS1_3repE0EEENS1_30default_config_static_selectorELNS0_4arch9wavefront6targetE1EEEvT1_ ; -- Begin function _ZN7rocprim17ROCPRIM_400000_NS6detail17trampoline_kernelINS0_14default_configENS1_20scan_config_selectorIiEEZZNS1_9scan_implILNS1_25lookback_scan_determinismE0ELb1ELb1ES3_N6thrust23THRUST_200600_302600_NS6detail15normal_iteratorINS9_10device_ptrIiEEEESE_i11max_functorIiEiEEDaPvRmT3_T4_T5_mT6_P12ihipStream_tbENKUlT_T0_E_clISt17integral_constantIbLb1EESU_EEDaSP_SQ_EUlSP_E_NS1_11comp_targetILNS1_3genE2ELNS1_11target_archE906ELNS1_3gpuE6ELNS1_3repE0EEENS1_30default_config_static_selectorELNS0_4arch9wavefront6targetE1EEEvT1_
	.globl	_ZN7rocprim17ROCPRIM_400000_NS6detail17trampoline_kernelINS0_14default_configENS1_20scan_config_selectorIiEEZZNS1_9scan_implILNS1_25lookback_scan_determinismE0ELb1ELb1ES3_N6thrust23THRUST_200600_302600_NS6detail15normal_iteratorINS9_10device_ptrIiEEEESE_i11max_functorIiEiEEDaPvRmT3_T4_T5_mT6_P12ihipStream_tbENKUlT_T0_E_clISt17integral_constantIbLb1EESU_EEDaSP_SQ_EUlSP_E_NS1_11comp_targetILNS1_3genE2ELNS1_11target_archE906ELNS1_3gpuE6ELNS1_3repE0EEENS1_30default_config_static_selectorELNS0_4arch9wavefront6targetE1EEEvT1_
	.p2align	8
	.type	_ZN7rocprim17ROCPRIM_400000_NS6detail17trampoline_kernelINS0_14default_configENS1_20scan_config_selectorIiEEZZNS1_9scan_implILNS1_25lookback_scan_determinismE0ELb1ELb1ES3_N6thrust23THRUST_200600_302600_NS6detail15normal_iteratorINS9_10device_ptrIiEEEESE_i11max_functorIiEiEEDaPvRmT3_T4_T5_mT6_P12ihipStream_tbENKUlT_T0_E_clISt17integral_constantIbLb1EESU_EEDaSP_SQ_EUlSP_E_NS1_11comp_targetILNS1_3genE2ELNS1_11target_archE906ELNS1_3gpuE6ELNS1_3repE0EEENS1_30default_config_static_selectorELNS0_4arch9wavefront6targetE1EEEvT1_,@function
_ZN7rocprim17ROCPRIM_400000_NS6detail17trampoline_kernelINS0_14default_configENS1_20scan_config_selectorIiEEZZNS1_9scan_implILNS1_25lookback_scan_determinismE0ELb1ELb1ES3_N6thrust23THRUST_200600_302600_NS6detail15normal_iteratorINS9_10device_ptrIiEEEESE_i11max_functorIiEiEEDaPvRmT3_T4_T5_mT6_P12ihipStream_tbENKUlT_T0_E_clISt17integral_constantIbLb1EESU_EEDaSP_SQ_EUlSP_E_NS1_11comp_targetILNS1_3genE2ELNS1_11target_archE906ELNS1_3gpuE6ELNS1_3repE0EEENS1_30default_config_static_selectorELNS0_4arch9wavefront6targetE1EEEvT1_: ; @_ZN7rocprim17ROCPRIM_400000_NS6detail17trampoline_kernelINS0_14default_configENS1_20scan_config_selectorIiEEZZNS1_9scan_implILNS1_25lookback_scan_determinismE0ELb1ELb1ES3_N6thrust23THRUST_200600_302600_NS6detail15normal_iteratorINS9_10device_ptrIiEEEESE_i11max_functorIiEiEEDaPvRmT3_T4_T5_mT6_P12ihipStream_tbENKUlT_T0_E_clISt17integral_constantIbLb1EESU_EEDaSP_SQ_EUlSP_E_NS1_11comp_targetILNS1_3genE2ELNS1_11target_archE906ELNS1_3gpuE6ELNS1_3repE0EEENS1_30default_config_static_selectorELNS0_4arch9wavefront6targetE1EEEvT1_
; %bb.0:
	.section	.rodata,"a",@progbits
	.p2align	6, 0x0
	.amdhsa_kernel _ZN7rocprim17ROCPRIM_400000_NS6detail17trampoline_kernelINS0_14default_configENS1_20scan_config_selectorIiEEZZNS1_9scan_implILNS1_25lookback_scan_determinismE0ELb1ELb1ES3_N6thrust23THRUST_200600_302600_NS6detail15normal_iteratorINS9_10device_ptrIiEEEESE_i11max_functorIiEiEEDaPvRmT3_T4_T5_mT6_P12ihipStream_tbENKUlT_T0_E_clISt17integral_constantIbLb1EESU_EEDaSP_SQ_EUlSP_E_NS1_11comp_targetILNS1_3genE2ELNS1_11target_archE906ELNS1_3gpuE6ELNS1_3repE0EEENS1_30default_config_static_selectorELNS0_4arch9wavefront6targetE1EEEvT1_
		.amdhsa_group_segment_fixed_size 0
		.amdhsa_private_segment_fixed_size 0
		.amdhsa_kernarg_size 96
		.amdhsa_user_sgpr_count 6
		.amdhsa_user_sgpr_private_segment_buffer 1
		.amdhsa_user_sgpr_dispatch_ptr 0
		.amdhsa_user_sgpr_queue_ptr 0
		.amdhsa_user_sgpr_kernarg_segment_ptr 1
		.amdhsa_user_sgpr_dispatch_id 0
		.amdhsa_user_sgpr_flat_scratch_init 0
		.amdhsa_user_sgpr_kernarg_preload_length 0
		.amdhsa_user_sgpr_kernarg_preload_offset 0
		.amdhsa_user_sgpr_private_segment_size 0
		.amdhsa_uses_dynamic_stack 0
		.amdhsa_system_sgpr_private_segment_wavefront_offset 0
		.amdhsa_system_sgpr_workgroup_id_x 1
		.amdhsa_system_sgpr_workgroup_id_y 0
		.amdhsa_system_sgpr_workgroup_id_z 0
		.amdhsa_system_sgpr_workgroup_info 0
		.amdhsa_system_vgpr_workitem_id 0
		.amdhsa_next_free_vgpr 1
		.amdhsa_next_free_sgpr 0
		.amdhsa_accum_offset 4
		.amdhsa_reserve_vcc 0
		.amdhsa_reserve_flat_scratch 0
		.amdhsa_float_round_mode_32 0
		.amdhsa_float_round_mode_16_64 0
		.amdhsa_float_denorm_mode_32 3
		.amdhsa_float_denorm_mode_16_64 3
		.amdhsa_dx10_clamp 1
		.amdhsa_ieee_mode 1
		.amdhsa_fp16_overflow 0
		.amdhsa_tg_split 0
		.amdhsa_exception_fp_ieee_invalid_op 0
		.amdhsa_exception_fp_denorm_src 0
		.amdhsa_exception_fp_ieee_div_zero 0
		.amdhsa_exception_fp_ieee_overflow 0
		.amdhsa_exception_fp_ieee_underflow 0
		.amdhsa_exception_fp_ieee_inexact 0
		.amdhsa_exception_int_div_zero 0
	.end_amdhsa_kernel
	.section	.text._ZN7rocprim17ROCPRIM_400000_NS6detail17trampoline_kernelINS0_14default_configENS1_20scan_config_selectorIiEEZZNS1_9scan_implILNS1_25lookback_scan_determinismE0ELb1ELb1ES3_N6thrust23THRUST_200600_302600_NS6detail15normal_iteratorINS9_10device_ptrIiEEEESE_i11max_functorIiEiEEDaPvRmT3_T4_T5_mT6_P12ihipStream_tbENKUlT_T0_E_clISt17integral_constantIbLb1EESU_EEDaSP_SQ_EUlSP_E_NS1_11comp_targetILNS1_3genE2ELNS1_11target_archE906ELNS1_3gpuE6ELNS1_3repE0EEENS1_30default_config_static_selectorELNS0_4arch9wavefront6targetE1EEEvT1_,"axG",@progbits,_ZN7rocprim17ROCPRIM_400000_NS6detail17trampoline_kernelINS0_14default_configENS1_20scan_config_selectorIiEEZZNS1_9scan_implILNS1_25lookback_scan_determinismE0ELb1ELb1ES3_N6thrust23THRUST_200600_302600_NS6detail15normal_iteratorINS9_10device_ptrIiEEEESE_i11max_functorIiEiEEDaPvRmT3_T4_T5_mT6_P12ihipStream_tbENKUlT_T0_E_clISt17integral_constantIbLb1EESU_EEDaSP_SQ_EUlSP_E_NS1_11comp_targetILNS1_3genE2ELNS1_11target_archE906ELNS1_3gpuE6ELNS1_3repE0EEENS1_30default_config_static_selectorELNS0_4arch9wavefront6targetE1EEEvT1_,comdat
.Lfunc_end2796:
	.size	_ZN7rocprim17ROCPRIM_400000_NS6detail17trampoline_kernelINS0_14default_configENS1_20scan_config_selectorIiEEZZNS1_9scan_implILNS1_25lookback_scan_determinismE0ELb1ELb1ES3_N6thrust23THRUST_200600_302600_NS6detail15normal_iteratorINS9_10device_ptrIiEEEESE_i11max_functorIiEiEEDaPvRmT3_T4_T5_mT6_P12ihipStream_tbENKUlT_T0_E_clISt17integral_constantIbLb1EESU_EEDaSP_SQ_EUlSP_E_NS1_11comp_targetILNS1_3genE2ELNS1_11target_archE906ELNS1_3gpuE6ELNS1_3repE0EEENS1_30default_config_static_selectorELNS0_4arch9wavefront6targetE1EEEvT1_, .Lfunc_end2796-_ZN7rocprim17ROCPRIM_400000_NS6detail17trampoline_kernelINS0_14default_configENS1_20scan_config_selectorIiEEZZNS1_9scan_implILNS1_25lookback_scan_determinismE0ELb1ELb1ES3_N6thrust23THRUST_200600_302600_NS6detail15normal_iteratorINS9_10device_ptrIiEEEESE_i11max_functorIiEiEEDaPvRmT3_T4_T5_mT6_P12ihipStream_tbENKUlT_T0_E_clISt17integral_constantIbLb1EESU_EEDaSP_SQ_EUlSP_E_NS1_11comp_targetILNS1_3genE2ELNS1_11target_archE906ELNS1_3gpuE6ELNS1_3repE0EEENS1_30default_config_static_selectorELNS0_4arch9wavefront6targetE1EEEvT1_
                                        ; -- End function
	.section	.AMDGPU.csdata,"",@progbits
; Kernel info:
; codeLenInByte = 0
; NumSgprs: 4
; NumVgprs: 0
; NumAgprs: 0
; TotalNumVgprs: 0
; ScratchSize: 0
; MemoryBound: 0
; FloatMode: 240
; IeeeMode: 1
; LDSByteSize: 0 bytes/workgroup (compile time only)
; SGPRBlocks: 0
; VGPRBlocks: 0
; NumSGPRsForWavesPerEU: 4
; NumVGPRsForWavesPerEU: 1
; AccumOffset: 4
; Occupancy: 8
; WaveLimiterHint : 0
; COMPUTE_PGM_RSRC2:SCRATCH_EN: 0
; COMPUTE_PGM_RSRC2:USER_SGPR: 6
; COMPUTE_PGM_RSRC2:TRAP_HANDLER: 0
; COMPUTE_PGM_RSRC2:TGID_X_EN: 1
; COMPUTE_PGM_RSRC2:TGID_Y_EN: 0
; COMPUTE_PGM_RSRC2:TGID_Z_EN: 0
; COMPUTE_PGM_RSRC2:TIDIG_COMP_CNT: 0
; COMPUTE_PGM_RSRC3_GFX90A:ACCUM_OFFSET: 0
; COMPUTE_PGM_RSRC3_GFX90A:TG_SPLIT: 0
	.section	.text._ZN7rocprim17ROCPRIM_400000_NS6detail17trampoline_kernelINS0_14default_configENS1_20scan_config_selectorIiEEZZNS1_9scan_implILNS1_25lookback_scan_determinismE0ELb1ELb1ES3_N6thrust23THRUST_200600_302600_NS6detail15normal_iteratorINS9_10device_ptrIiEEEESE_i11max_functorIiEiEEDaPvRmT3_T4_T5_mT6_P12ihipStream_tbENKUlT_T0_E_clISt17integral_constantIbLb1EESU_EEDaSP_SQ_EUlSP_E_NS1_11comp_targetILNS1_3genE10ELNS1_11target_archE1201ELNS1_3gpuE5ELNS1_3repE0EEENS1_30default_config_static_selectorELNS0_4arch9wavefront6targetE1EEEvT1_,"axG",@progbits,_ZN7rocprim17ROCPRIM_400000_NS6detail17trampoline_kernelINS0_14default_configENS1_20scan_config_selectorIiEEZZNS1_9scan_implILNS1_25lookback_scan_determinismE0ELb1ELb1ES3_N6thrust23THRUST_200600_302600_NS6detail15normal_iteratorINS9_10device_ptrIiEEEESE_i11max_functorIiEiEEDaPvRmT3_T4_T5_mT6_P12ihipStream_tbENKUlT_T0_E_clISt17integral_constantIbLb1EESU_EEDaSP_SQ_EUlSP_E_NS1_11comp_targetILNS1_3genE10ELNS1_11target_archE1201ELNS1_3gpuE5ELNS1_3repE0EEENS1_30default_config_static_selectorELNS0_4arch9wavefront6targetE1EEEvT1_,comdat
	.protected	_ZN7rocprim17ROCPRIM_400000_NS6detail17trampoline_kernelINS0_14default_configENS1_20scan_config_selectorIiEEZZNS1_9scan_implILNS1_25lookback_scan_determinismE0ELb1ELb1ES3_N6thrust23THRUST_200600_302600_NS6detail15normal_iteratorINS9_10device_ptrIiEEEESE_i11max_functorIiEiEEDaPvRmT3_T4_T5_mT6_P12ihipStream_tbENKUlT_T0_E_clISt17integral_constantIbLb1EESU_EEDaSP_SQ_EUlSP_E_NS1_11comp_targetILNS1_3genE10ELNS1_11target_archE1201ELNS1_3gpuE5ELNS1_3repE0EEENS1_30default_config_static_selectorELNS0_4arch9wavefront6targetE1EEEvT1_ ; -- Begin function _ZN7rocprim17ROCPRIM_400000_NS6detail17trampoline_kernelINS0_14default_configENS1_20scan_config_selectorIiEEZZNS1_9scan_implILNS1_25lookback_scan_determinismE0ELb1ELb1ES3_N6thrust23THRUST_200600_302600_NS6detail15normal_iteratorINS9_10device_ptrIiEEEESE_i11max_functorIiEiEEDaPvRmT3_T4_T5_mT6_P12ihipStream_tbENKUlT_T0_E_clISt17integral_constantIbLb1EESU_EEDaSP_SQ_EUlSP_E_NS1_11comp_targetILNS1_3genE10ELNS1_11target_archE1201ELNS1_3gpuE5ELNS1_3repE0EEENS1_30default_config_static_selectorELNS0_4arch9wavefront6targetE1EEEvT1_
	.globl	_ZN7rocprim17ROCPRIM_400000_NS6detail17trampoline_kernelINS0_14default_configENS1_20scan_config_selectorIiEEZZNS1_9scan_implILNS1_25lookback_scan_determinismE0ELb1ELb1ES3_N6thrust23THRUST_200600_302600_NS6detail15normal_iteratorINS9_10device_ptrIiEEEESE_i11max_functorIiEiEEDaPvRmT3_T4_T5_mT6_P12ihipStream_tbENKUlT_T0_E_clISt17integral_constantIbLb1EESU_EEDaSP_SQ_EUlSP_E_NS1_11comp_targetILNS1_3genE10ELNS1_11target_archE1201ELNS1_3gpuE5ELNS1_3repE0EEENS1_30default_config_static_selectorELNS0_4arch9wavefront6targetE1EEEvT1_
	.p2align	8
	.type	_ZN7rocprim17ROCPRIM_400000_NS6detail17trampoline_kernelINS0_14default_configENS1_20scan_config_selectorIiEEZZNS1_9scan_implILNS1_25lookback_scan_determinismE0ELb1ELb1ES3_N6thrust23THRUST_200600_302600_NS6detail15normal_iteratorINS9_10device_ptrIiEEEESE_i11max_functorIiEiEEDaPvRmT3_T4_T5_mT6_P12ihipStream_tbENKUlT_T0_E_clISt17integral_constantIbLb1EESU_EEDaSP_SQ_EUlSP_E_NS1_11comp_targetILNS1_3genE10ELNS1_11target_archE1201ELNS1_3gpuE5ELNS1_3repE0EEENS1_30default_config_static_selectorELNS0_4arch9wavefront6targetE1EEEvT1_,@function
_ZN7rocprim17ROCPRIM_400000_NS6detail17trampoline_kernelINS0_14default_configENS1_20scan_config_selectorIiEEZZNS1_9scan_implILNS1_25lookback_scan_determinismE0ELb1ELb1ES3_N6thrust23THRUST_200600_302600_NS6detail15normal_iteratorINS9_10device_ptrIiEEEESE_i11max_functorIiEiEEDaPvRmT3_T4_T5_mT6_P12ihipStream_tbENKUlT_T0_E_clISt17integral_constantIbLb1EESU_EEDaSP_SQ_EUlSP_E_NS1_11comp_targetILNS1_3genE10ELNS1_11target_archE1201ELNS1_3gpuE5ELNS1_3repE0EEENS1_30default_config_static_selectorELNS0_4arch9wavefront6targetE1EEEvT1_: ; @_ZN7rocprim17ROCPRIM_400000_NS6detail17trampoline_kernelINS0_14default_configENS1_20scan_config_selectorIiEEZZNS1_9scan_implILNS1_25lookback_scan_determinismE0ELb1ELb1ES3_N6thrust23THRUST_200600_302600_NS6detail15normal_iteratorINS9_10device_ptrIiEEEESE_i11max_functorIiEiEEDaPvRmT3_T4_T5_mT6_P12ihipStream_tbENKUlT_T0_E_clISt17integral_constantIbLb1EESU_EEDaSP_SQ_EUlSP_E_NS1_11comp_targetILNS1_3genE10ELNS1_11target_archE1201ELNS1_3gpuE5ELNS1_3repE0EEENS1_30default_config_static_selectorELNS0_4arch9wavefront6targetE1EEEvT1_
; %bb.0:
	.section	.rodata,"a",@progbits
	.p2align	6, 0x0
	.amdhsa_kernel _ZN7rocprim17ROCPRIM_400000_NS6detail17trampoline_kernelINS0_14default_configENS1_20scan_config_selectorIiEEZZNS1_9scan_implILNS1_25lookback_scan_determinismE0ELb1ELb1ES3_N6thrust23THRUST_200600_302600_NS6detail15normal_iteratorINS9_10device_ptrIiEEEESE_i11max_functorIiEiEEDaPvRmT3_T4_T5_mT6_P12ihipStream_tbENKUlT_T0_E_clISt17integral_constantIbLb1EESU_EEDaSP_SQ_EUlSP_E_NS1_11comp_targetILNS1_3genE10ELNS1_11target_archE1201ELNS1_3gpuE5ELNS1_3repE0EEENS1_30default_config_static_selectorELNS0_4arch9wavefront6targetE1EEEvT1_
		.amdhsa_group_segment_fixed_size 0
		.amdhsa_private_segment_fixed_size 0
		.amdhsa_kernarg_size 96
		.amdhsa_user_sgpr_count 6
		.amdhsa_user_sgpr_private_segment_buffer 1
		.amdhsa_user_sgpr_dispatch_ptr 0
		.amdhsa_user_sgpr_queue_ptr 0
		.amdhsa_user_sgpr_kernarg_segment_ptr 1
		.amdhsa_user_sgpr_dispatch_id 0
		.amdhsa_user_sgpr_flat_scratch_init 0
		.amdhsa_user_sgpr_kernarg_preload_length 0
		.amdhsa_user_sgpr_kernarg_preload_offset 0
		.amdhsa_user_sgpr_private_segment_size 0
		.amdhsa_uses_dynamic_stack 0
		.amdhsa_system_sgpr_private_segment_wavefront_offset 0
		.amdhsa_system_sgpr_workgroup_id_x 1
		.amdhsa_system_sgpr_workgroup_id_y 0
		.amdhsa_system_sgpr_workgroup_id_z 0
		.amdhsa_system_sgpr_workgroup_info 0
		.amdhsa_system_vgpr_workitem_id 0
		.amdhsa_next_free_vgpr 1
		.amdhsa_next_free_sgpr 0
		.amdhsa_accum_offset 4
		.amdhsa_reserve_vcc 0
		.amdhsa_reserve_flat_scratch 0
		.amdhsa_float_round_mode_32 0
		.amdhsa_float_round_mode_16_64 0
		.amdhsa_float_denorm_mode_32 3
		.amdhsa_float_denorm_mode_16_64 3
		.amdhsa_dx10_clamp 1
		.amdhsa_ieee_mode 1
		.amdhsa_fp16_overflow 0
		.amdhsa_tg_split 0
		.amdhsa_exception_fp_ieee_invalid_op 0
		.amdhsa_exception_fp_denorm_src 0
		.amdhsa_exception_fp_ieee_div_zero 0
		.amdhsa_exception_fp_ieee_overflow 0
		.amdhsa_exception_fp_ieee_underflow 0
		.amdhsa_exception_fp_ieee_inexact 0
		.amdhsa_exception_int_div_zero 0
	.end_amdhsa_kernel
	.section	.text._ZN7rocprim17ROCPRIM_400000_NS6detail17trampoline_kernelINS0_14default_configENS1_20scan_config_selectorIiEEZZNS1_9scan_implILNS1_25lookback_scan_determinismE0ELb1ELb1ES3_N6thrust23THRUST_200600_302600_NS6detail15normal_iteratorINS9_10device_ptrIiEEEESE_i11max_functorIiEiEEDaPvRmT3_T4_T5_mT6_P12ihipStream_tbENKUlT_T0_E_clISt17integral_constantIbLb1EESU_EEDaSP_SQ_EUlSP_E_NS1_11comp_targetILNS1_3genE10ELNS1_11target_archE1201ELNS1_3gpuE5ELNS1_3repE0EEENS1_30default_config_static_selectorELNS0_4arch9wavefront6targetE1EEEvT1_,"axG",@progbits,_ZN7rocprim17ROCPRIM_400000_NS6detail17trampoline_kernelINS0_14default_configENS1_20scan_config_selectorIiEEZZNS1_9scan_implILNS1_25lookback_scan_determinismE0ELb1ELb1ES3_N6thrust23THRUST_200600_302600_NS6detail15normal_iteratorINS9_10device_ptrIiEEEESE_i11max_functorIiEiEEDaPvRmT3_T4_T5_mT6_P12ihipStream_tbENKUlT_T0_E_clISt17integral_constantIbLb1EESU_EEDaSP_SQ_EUlSP_E_NS1_11comp_targetILNS1_3genE10ELNS1_11target_archE1201ELNS1_3gpuE5ELNS1_3repE0EEENS1_30default_config_static_selectorELNS0_4arch9wavefront6targetE1EEEvT1_,comdat
.Lfunc_end2797:
	.size	_ZN7rocprim17ROCPRIM_400000_NS6detail17trampoline_kernelINS0_14default_configENS1_20scan_config_selectorIiEEZZNS1_9scan_implILNS1_25lookback_scan_determinismE0ELb1ELb1ES3_N6thrust23THRUST_200600_302600_NS6detail15normal_iteratorINS9_10device_ptrIiEEEESE_i11max_functorIiEiEEDaPvRmT3_T4_T5_mT6_P12ihipStream_tbENKUlT_T0_E_clISt17integral_constantIbLb1EESU_EEDaSP_SQ_EUlSP_E_NS1_11comp_targetILNS1_3genE10ELNS1_11target_archE1201ELNS1_3gpuE5ELNS1_3repE0EEENS1_30default_config_static_selectorELNS0_4arch9wavefront6targetE1EEEvT1_, .Lfunc_end2797-_ZN7rocprim17ROCPRIM_400000_NS6detail17trampoline_kernelINS0_14default_configENS1_20scan_config_selectorIiEEZZNS1_9scan_implILNS1_25lookback_scan_determinismE0ELb1ELb1ES3_N6thrust23THRUST_200600_302600_NS6detail15normal_iteratorINS9_10device_ptrIiEEEESE_i11max_functorIiEiEEDaPvRmT3_T4_T5_mT6_P12ihipStream_tbENKUlT_T0_E_clISt17integral_constantIbLb1EESU_EEDaSP_SQ_EUlSP_E_NS1_11comp_targetILNS1_3genE10ELNS1_11target_archE1201ELNS1_3gpuE5ELNS1_3repE0EEENS1_30default_config_static_selectorELNS0_4arch9wavefront6targetE1EEEvT1_
                                        ; -- End function
	.section	.AMDGPU.csdata,"",@progbits
; Kernel info:
; codeLenInByte = 0
; NumSgprs: 4
; NumVgprs: 0
; NumAgprs: 0
; TotalNumVgprs: 0
; ScratchSize: 0
; MemoryBound: 0
; FloatMode: 240
; IeeeMode: 1
; LDSByteSize: 0 bytes/workgroup (compile time only)
; SGPRBlocks: 0
; VGPRBlocks: 0
; NumSGPRsForWavesPerEU: 4
; NumVGPRsForWavesPerEU: 1
; AccumOffset: 4
; Occupancy: 8
; WaveLimiterHint : 0
; COMPUTE_PGM_RSRC2:SCRATCH_EN: 0
; COMPUTE_PGM_RSRC2:USER_SGPR: 6
; COMPUTE_PGM_RSRC2:TRAP_HANDLER: 0
; COMPUTE_PGM_RSRC2:TGID_X_EN: 1
; COMPUTE_PGM_RSRC2:TGID_Y_EN: 0
; COMPUTE_PGM_RSRC2:TGID_Z_EN: 0
; COMPUTE_PGM_RSRC2:TIDIG_COMP_CNT: 0
; COMPUTE_PGM_RSRC3_GFX90A:ACCUM_OFFSET: 0
; COMPUTE_PGM_RSRC3_GFX90A:TG_SPLIT: 0
	.section	.text._ZN7rocprim17ROCPRIM_400000_NS6detail17trampoline_kernelINS0_14default_configENS1_20scan_config_selectorIiEEZZNS1_9scan_implILNS1_25lookback_scan_determinismE0ELb1ELb1ES3_N6thrust23THRUST_200600_302600_NS6detail15normal_iteratorINS9_10device_ptrIiEEEESE_i11max_functorIiEiEEDaPvRmT3_T4_T5_mT6_P12ihipStream_tbENKUlT_T0_E_clISt17integral_constantIbLb1EESU_EEDaSP_SQ_EUlSP_E_NS1_11comp_targetILNS1_3genE10ELNS1_11target_archE1200ELNS1_3gpuE4ELNS1_3repE0EEENS1_30default_config_static_selectorELNS0_4arch9wavefront6targetE1EEEvT1_,"axG",@progbits,_ZN7rocprim17ROCPRIM_400000_NS6detail17trampoline_kernelINS0_14default_configENS1_20scan_config_selectorIiEEZZNS1_9scan_implILNS1_25lookback_scan_determinismE0ELb1ELb1ES3_N6thrust23THRUST_200600_302600_NS6detail15normal_iteratorINS9_10device_ptrIiEEEESE_i11max_functorIiEiEEDaPvRmT3_T4_T5_mT6_P12ihipStream_tbENKUlT_T0_E_clISt17integral_constantIbLb1EESU_EEDaSP_SQ_EUlSP_E_NS1_11comp_targetILNS1_3genE10ELNS1_11target_archE1200ELNS1_3gpuE4ELNS1_3repE0EEENS1_30default_config_static_selectorELNS0_4arch9wavefront6targetE1EEEvT1_,comdat
	.protected	_ZN7rocprim17ROCPRIM_400000_NS6detail17trampoline_kernelINS0_14default_configENS1_20scan_config_selectorIiEEZZNS1_9scan_implILNS1_25lookback_scan_determinismE0ELb1ELb1ES3_N6thrust23THRUST_200600_302600_NS6detail15normal_iteratorINS9_10device_ptrIiEEEESE_i11max_functorIiEiEEDaPvRmT3_T4_T5_mT6_P12ihipStream_tbENKUlT_T0_E_clISt17integral_constantIbLb1EESU_EEDaSP_SQ_EUlSP_E_NS1_11comp_targetILNS1_3genE10ELNS1_11target_archE1200ELNS1_3gpuE4ELNS1_3repE0EEENS1_30default_config_static_selectorELNS0_4arch9wavefront6targetE1EEEvT1_ ; -- Begin function _ZN7rocprim17ROCPRIM_400000_NS6detail17trampoline_kernelINS0_14default_configENS1_20scan_config_selectorIiEEZZNS1_9scan_implILNS1_25lookback_scan_determinismE0ELb1ELb1ES3_N6thrust23THRUST_200600_302600_NS6detail15normal_iteratorINS9_10device_ptrIiEEEESE_i11max_functorIiEiEEDaPvRmT3_T4_T5_mT6_P12ihipStream_tbENKUlT_T0_E_clISt17integral_constantIbLb1EESU_EEDaSP_SQ_EUlSP_E_NS1_11comp_targetILNS1_3genE10ELNS1_11target_archE1200ELNS1_3gpuE4ELNS1_3repE0EEENS1_30default_config_static_selectorELNS0_4arch9wavefront6targetE1EEEvT1_
	.globl	_ZN7rocprim17ROCPRIM_400000_NS6detail17trampoline_kernelINS0_14default_configENS1_20scan_config_selectorIiEEZZNS1_9scan_implILNS1_25lookback_scan_determinismE0ELb1ELb1ES3_N6thrust23THRUST_200600_302600_NS6detail15normal_iteratorINS9_10device_ptrIiEEEESE_i11max_functorIiEiEEDaPvRmT3_T4_T5_mT6_P12ihipStream_tbENKUlT_T0_E_clISt17integral_constantIbLb1EESU_EEDaSP_SQ_EUlSP_E_NS1_11comp_targetILNS1_3genE10ELNS1_11target_archE1200ELNS1_3gpuE4ELNS1_3repE0EEENS1_30default_config_static_selectorELNS0_4arch9wavefront6targetE1EEEvT1_
	.p2align	8
	.type	_ZN7rocprim17ROCPRIM_400000_NS6detail17trampoline_kernelINS0_14default_configENS1_20scan_config_selectorIiEEZZNS1_9scan_implILNS1_25lookback_scan_determinismE0ELb1ELb1ES3_N6thrust23THRUST_200600_302600_NS6detail15normal_iteratorINS9_10device_ptrIiEEEESE_i11max_functorIiEiEEDaPvRmT3_T4_T5_mT6_P12ihipStream_tbENKUlT_T0_E_clISt17integral_constantIbLb1EESU_EEDaSP_SQ_EUlSP_E_NS1_11comp_targetILNS1_3genE10ELNS1_11target_archE1200ELNS1_3gpuE4ELNS1_3repE0EEENS1_30default_config_static_selectorELNS0_4arch9wavefront6targetE1EEEvT1_,@function
_ZN7rocprim17ROCPRIM_400000_NS6detail17trampoline_kernelINS0_14default_configENS1_20scan_config_selectorIiEEZZNS1_9scan_implILNS1_25lookback_scan_determinismE0ELb1ELb1ES3_N6thrust23THRUST_200600_302600_NS6detail15normal_iteratorINS9_10device_ptrIiEEEESE_i11max_functorIiEiEEDaPvRmT3_T4_T5_mT6_P12ihipStream_tbENKUlT_T0_E_clISt17integral_constantIbLb1EESU_EEDaSP_SQ_EUlSP_E_NS1_11comp_targetILNS1_3genE10ELNS1_11target_archE1200ELNS1_3gpuE4ELNS1_3repE0EEENS1_30default_config_static_selectorELNS0_4arch9wavefront6targetE1EEEvT1_: ; @_ZN7rocprim17ROCPRIM_400000_NS6detail17trampoline_kernelINS0_14default_configENS1_20scan_config_selectorIiEEZZNS1_9scan_implILNS1_25lookback_scan_determinismE0ELb1ELb1ES3_N6thrust23THRUST_200600_302600_NS6detail15normal_iteratorINS9_10device_ptrIiEEEESE_i11max_functorIiEiEEDaPvRmT3_T4_T5_mT6_P12ihipStream_tbENKUlT_T0_E_clISt17integral_constantIbLb1EESU_EEDaSP_SQ_EUlSP_E_NS1_11comp_targetILNS1_3genE10ELNS1_11target_archE1200ELNS1_3gpuE4ELNS1_3repE0EEENS1_30default_config_static_selectorELNS0_4arch9wavefront6targetE1EEEvT1_
; %bb.0:
	.section	.rodata,"a",@progbits
	.p2align	6, 0x0
	.amdhsa_kernel _ZN7rocprim17ROCPRIM_400000_NS6detail17trampoline_kernelINS0_14default_configENS1_20scan_config_selectorIiEEZZNS1_9scan_implILNS1_25lookback_scan_determinismE0ELb1ELb1ES3_N6thrust23THRUST_200600_302600_NS6detail15normal_iteratorINS9_10device_ptrIiEEEESE_i11max_functorIiEiEEDaPvRmT3_T4_T5_mT6_P12ihipStream_tbENKUlT_T0_E_clISt17integral_constantIbLb1EESU_EEDaSP_SQ_EUlSP_E_NS1_11comp_targetILNS1_3genE10ELNS1_11target_archE1200ELNS1_3gpuE4ELNS1_3repE0EEENS1_30default_config_static_selectorELNS0_4arch9wavefront6targetE1EEEvT1_
		.amdhsa_group_segment_fixed_size 0
		.amdhsa_private_segment_fixed_size 0
		.amdhsa_kernarg_size 96
		.amdhsa_user_sgpr_count 6
		.amdhsa_user_sgpr_private_segment_buffer 1
		.amdhsa_user_sgpr_dispatch_ptr 0
		.amdhsa_user_sgpr_queue_ptr 0
		.amdhsa_user_sgpr_kernarg_segment_ptr 1
		.amdhsa_user_sgpr_dispatch_id 0
		.amdhsa_user_sgpr_flat_scratch_init 0
		.amdhsa_user_sgpr_kernarg_preload_length 0
		.amdhsa_user_sgpr_kernarg_preload_offset 0
		.amdhsa_user_sgpr_private_segment_size 0
		.amdhsa_uses_dynamic_stack 0
		.amdhsa_system_sgpr_private_segment_wavefront_offset 0
		.amdhsa_system_sgpr_workgroup_id_x 1
		.amdhsa_system_sgpr_workgroup_id_y 0
		.amdhsa_system_sgpr_workgroup_id_z 0
		.amdhsa_system_sgpr_workgroup_info 0
		.amdhsa_system_vgpr_workitem_id 0
		.amdhsa_next_free_vgpr 1
		.amdhsa_next_free_sgpr 0
		.amdhsa_accum_offset 4
		.amdhsa_reserve_vcc 0
		.amdhsa_reserve_flat_scratch 0
		.amdhsa_float_round_mode_32 0
		.amdhsa_float_round_mode_16_64 0
		.amdhsa_float_denorm_mode_32 3
		.amdhsa_float_denorm_mode_16_64 3
		.amdhsa_dx10_clamp 1
		.amdhsa_ieee_mode 1
		.amdhsa_fp16_overflow 0
		.amdhsa_tg_split 0
		.amdhsa_exception_fp_ieee_invalid_op 0
		.amdhsa_exception_fp_denorm_src 0
		.amdhsa_exception_fp_ieee_div_zero 0
		.amdhsa_exception_fp_ieee_overflow 0
		.amdhsa_exception_fp_ieee_underflow 0
		.amdhsa_exception_fp_ieee_inexact 0
		.amdhsa_exception_int_div_zero 0
	.end_amdhsa_kernel
	.section	.text._ZN7rocprim17ROCPRIM_400000_NS6detail17trampoline_kernelINS0_14default_configENS1_20scan_config_selectorIiEEZZNS1_9scan_implILNS1_25lookback_scan_determinismE0ELb1ELb1ES3_N6thrust23THRUST_200600_302600_NS6detail15normal_iteratorINS9_10device_ptrIiEEEESE_i11max_functorIiEiEEDaPvRmT3_T4_T5_mT6_P12ihipStream_tbENKUlT_T0_E_clISt17integral_constantIbLb1EESU_EEDaSP_SQ_EUlSP_E_NS1_11comp_targetILNS1_3genE10ELNS1_11target_archE1200ELNS1_3gpuE4ELNS1_3repE0EEENS1_30default_config_static_selectorELNS0_4arch9wavefront6targetE1EEEvT1_,"axG",@progbits,_ZN7rocprim17ROCPRIM_400000_NS6detail17trampoline_kernelINS0_14default_configENS1_20scan_config_selectorIiEEZZNS1_9scan_implILNS1_25lookback_scan_determinismE0ELb1ELb1ES3_N6thrust23THRUST_200600_302600_NS6detail15normal_iteratorINS9_10device_ptrIiEEEESE_i11max_functorIiEiEEDaPvRmT3_T4_T5_mT6_P12ihipStream_tbENKUlT_T0_E_clISt17integral_constantIbLb1EESU_EEDaSP_SQ_EUlSP_E_NS1_11comp_targetILNS1_3genE10ELNS1_11target_archE1200ELNS1_3gpuE4ELNS1_3repE0EEENS1_30default_config_static_selectorELNS0_4arch9wavefront6targetE1EEEvT1_,comdat
.Lfunc_end2798:
	.size	_ZN7rocprim17ROCPRIM_400000_NS6detail17trampoline_kernelINS0_14default_configENS1_20scan_config_selectorIiEEZZNS1_9scan_implILNS1_25lookback_scan_determinismE0ELb1ELb1ES3_N6thrust23THRUST_200600_302600_NS6detail15normal_iteratorINS9_10device_ptrIiEEEESE_i11max_functorIiEiEEDaPvRmT3_T4_T5_mT6_P12ihipStream_tbENKUlT_T0_E_clISt17integral_constantIbLb1EESU_EEDaSP_SQ_EUlSP_E_NS1_11comp_targetILNS1_3genE10ELNS1_11target_archE1200ELNS1_3gpuE4ELNS1_3repE0EEENS1_30default_config_static_selectorELNS0_4arch9wavefront6targetE1EEEvT1_, .Lfunc_end2798-_ZN7rocprim17ROCPRIM_400000_NS6detail17trampoline_kernelINS0_14default_configENS1_20scan_config_selectorIiEEZZNS1_9scan_implILNS1_25lookback_scan_determinismE0ELb1ELb1ES3_N6thrust23THRUST_200600_302600_NS6detail15normal_iteratorINS9_10device_ptrIiEEEESE_i11max_functorIiEiEEDaPvRmT3_T4_T5_mT6_P12ihipStream_tbENKUlT_T0_E_clISt17integral_constantIbLb1EESU_EEDaSP_SQ_EUlSP_E_NS1_11comp_targetILNS1_3genE10ELNS1_11target_archE1200ELNS1_3gpuE4ELNS1_3repE0EEENS1_30default_config_static_selectorELNS0_4arch9wavefront6targetE1EEEvT1_
                                        ; -- End function
	.section	.AMDGPU.csdata,"",@progbits
; Kernel info:
; codeLenInByte = 0
; NumSgprs: 4
; NumVgprs: 0
; NumAgprs: 0
; TotalNumVgprs: 0
; ScratchSize: 0
; MemoryBound: 0
; FloatMode: 240
; IeeeMode: 1
; LDSByteSize: 0 bytes/workgroup (compile time only)
; SGPRBlocks: 0
; VGPRBlocks: 0
; NumSGPRsForWavesPerEU: 4
; NumVGPRsForWavesPerEU: 1
; AccumOffset: 4
; Occupancy: 8
; WaveLimiterHint : 0
; COMPUTE_PGM_RSRC2:SCRATCH_EN: 0
; COMPUTE_PGM_RSRC2:USER_SGPR: 6
; COMPUTE_PGM_RSRC2:TRAP_HANDLER: 0
; COMPUTE_PGM_RSRC2:TGID_X_EN: 1
; COMPUTE_PGM_RSRC2:TGID_Y_EN: 0
; COMPUTE_PGM_RSRC2:TGID_Z_EN: 0
; COMPUTE_PGM_RSRC2:TIDIG_COMP_CNT: 0
; COMPUTE_PGM_RSRC3_GFX90A:ACCUM_OFFSET: 0
; COMPUTE_PGM_RSRC3_GFX90A:TG_SPLIT: 0
	.section	.text._ZN7rocprim17ROCPRIM_400000_NS6detail17trampoline_kernelINS0_14default_configENS1_20scan_config_selectorIiEEZZNS1_9scan_implILNS1_25lookback_scan_determinismE0ELb1ELb1ES3_N6thrust23THRUST_200600_302600_NS6detail15normal_iteratorINS9_10device_ptrIiEEEESE_i11max_functorIiEiEEDaPvRmT3_T4_T5_mT6_P12ihipStream_tbENKUlT_T0_E_clISt17integral_constantIbLb1EESU_EEDaSP_SQ_EUlSP_E_NS1_11comp_targetILNS1_3genE9ELNS1_11target_archE1100ELNS1_3gpuE3ELNS1_3repE0EEENS1_30default_config_static_selectorELNS0_4arch9wavefront6targetE1EEEvT1_,"axG",@progbits,_ZN7rocprim17ROCPRIM_400000_NS6detail17trampoline_kernelINS0_14default_configENS1_20scan_config_selectorIiEEZZNS1_9scan_implILNS1_25lookback_scan_determinismE0ELb1ELb1ES3_N6thrust23THRUST_200600_302600_NS6detail15normal_iteratorINS9_10device_ptrIiEEEESE_i11max_functorIiEiEEDaPvRmT3_T4_T5_mT6_P12ihipStream_tbENKUlT_T0_E_clISt17integral_constantIbLb1EESU_EEDaSP_SQ_EUlSP_E_NS1_11comp_targetILNS1_3genE9ELNS1_11target_archE1100ELNS1_3gpuE3ELNS1_3repE0EEENS1_30default_config_static_selectorELNS0_4arch9wavefront6targetE1EEEvT1_,comdat
	.protected	_ZN7rocprim17ROCPRIM_400000_NS6detail17trampoline_kernelINS0_14default_configENS1_20scan_config_selectorIiEEZZNS1_9scan_implILNS1_25lookback_scan_determinismE0ELb1ELb1ES3_N6thrust23THRUST_200600_302600_NS6detail15normal_iteratorINS9_10device_ptrIiEEEESE_i11max_functorIiEiEEDaPvRmT3_T4_T5_mT6_P12ihipStream_tbENKUlT_T0_E_clISt17integral_constantIbLb1EESU_EEDaSP_SQ_EUlSP_E_NS1_11comp_targetILNS1_3genE9ELNS1_11target_archE1100ELNS1_3gpuE3ELNS1_3repE0EEENS1_30default_config_static_selectorELNS0_4arch9wavefront6targetE1EEEvT1_ ; -- Begin function _ZN7rocprim17ROCPRIM_400000_NS6detail17trampoline_kernelINS0_14default_configENS1_20scan_config_selectorIiEEZZNS1_9scan_implILNS1_25lookback_scan_determinismE0ELb1ELb1ES3_N6thrust23THRUST_200600_302600_NS6detail15normal_iteratorINS9_10device_ptrIiEEEESE_i11max_functorIiEiEEDaPvRmT3_T4_T5_mT6_P12ihipStream_tbENKUlT_T0_E_clISt17integral_constantIbLb1EESU_EEDaSP_SQ_EUlSP_E_NS1_11comp_targetILNS1_3genE9ELNS1_11target_archE1100ELNS1_3gpuE3ELNS1_3repE0EEENS1_30default_config_static_selectorELNS0_4arch9wavefront6targetE1EEEvT1_
	.globl	_ZN7rocprim17ROCPRIM_400000_NS6detail17trampoline_kernelINS0_14default_configENS1_20scan_config_selectorIiEEZZNS1_9scan_implILNS1_25lookback_scan_determinismE0ELb1ELb1ES3_N6thrust23THRUST_200600_302600_NS6detail15normal_iteratorINS9_10device_ptrIiEEEESE_i11max_functorIiEiEEDaPvRmT3_T4_T5_mT6_P12ihipStream_tbENKUlT_T0_E_clISt17integral_constantIbLb1EESU_EEDaSP_SQ_EUlSP_E_NS1_11comp_targetILNS1_3genE9ELNS1_11target_archE1100ELNS1_3gpuE3ELNS1_3repE0EEENS1_30default_config_static_selectorELNS0_4arch9wavefront6targetE1EEEvT1_
	.p2align	8
	.type	_ZN7rocprim17ROCPRIM_400000_NS6detail17trampoline_kernelINS0_14default_configENS1_20scan_config_selectorIiEEZZNS1_9scan_implILNS1_25lookback_scan_determinismE0ELb1ELb1ES3_N6thrust23THRUST_200600_302600_NS6detail15normal_iteratorINS9_10device_ptrIiEEEESE_i11max_functorIiEiEEDaPvRmT3_T4_T5_mT6_P12ihipStream_tbENKUlT_T0_E_clISt17integral_constantIbLb1EESU_EEDaSP_SQ_EUlSP_E_NS1_11comp_targetILNS1_3genE9ELNS1_11target_archE1100ELNS1_3gpuE3ELNS1_3repE0EEENS1_30default_config_static_selectorELNS0_4arch9wavefront6targetE1EEEvT1_,@function
_ZN7rocprim17ROCPRIM_400000_NS6detail17trampoline_kernelINS0_14default_configENS1_20scan_config_selectorIiEEZZNS1_9scan_implILNS1_25lookback_scan_determinismE0ELb1ELb1ES3_N6thrust23THRUST_200600_302600_NS6detail15normal_iteratorINS9_10device_ptrIiEEEESE_i11max_functorIiEiEEDaPvRmT3_T4_T5_mT6_P12ihipStream_tbENKUlT_T0_E_clISt17integral_constantIbLb1EESU_EEDaSP_SQ_EUlSP_E_NS1_11comp_targetILNS1_3genE9ELNS1_11target_archE1100ELNS1_3gpuE3ELNS1_3repE0EEENS1_30default_config_static_selectorELNS0_4arch9wavefront6targetE1EEEvT1_: ; @_ZN7rocprim17ROCPRIM_400000_NS6detail17trampoline_kernelINS0_14default_configENS1_20scan_config_selectorIiEEZZNS1_9scan_implILNS1_25lookback_scan_determinismE0ELb1ELb1ES3_N6thrust23THRUST_200600_302600_NS6detail15normal_iteratorINS9_10device_ptrIiEEEESE_i11max_functorIiEiEEDaPvRmT3_T4_T5_mT6_P12ihipStream_tbENKUlT_T0_E_clISt17integral_constantIbLb1EESU_EEDaSP_SQ_EUlSP_E_NS1_11comp_targetILNS1_3genE9ELNS1_11target_archE1100ELNS1_3gpuE3ELNS1_3repE0EEENS1_30default_config_static_selectorELNS0_4arch9wavefront6targetE1EEEvT1_
; %bb.0:
	.section	.rodata,"a",@progbits
	.p2align	6, 0x0
	.amdhsa_kernel _ZN7rocprim17ROCPRIM_400000_NS6detail17trampoline_kernelINS0_14default_configENS1_20scan_config_selectorIiEEZZNS1_9scan_implILNS1_25lookback_scan_determinismE0ELb1ELb1ES3_N6thrust23THRUST_200600_302600_NS6detail15normal_iteratorINS9_10device_ptrIiEEEESE_i11max_functorIiEiEEDaPvRmT3_T4_T5_mT6_P12ihipStream_tbENKUlT_T0_E_clISt17integral_constantIbLb1EESU_EEDaSP_SQ_EUlSP_E_NS1_11comp_targetILNS1_3genE9ELNS1_11target_archE1100ELNS1_3gpuE3ELNS1_3repE0EEENS1_30default_config_static_selectorELNS0_4arch9wavefront6targetE1EEEvT1_
		.amdhsa_group_segment_fixed_size 0
		.amdhsa_private_segment_fixed_size 0
		.amdhsa_kernarg_size 96
		.amdhsa_user_sgpr_count 6
		.amdhsa_user_sgpr_private_segment_buffer 1
		.amdhsa_user_sgpr_dispatch_ptr 0
		.amdhsa_user_sgpr_queue_ptr 0
		.amdhsa_user_sgpr_kernarg_segment_ptr 1
		.amdhsa_user_sgpr_dispatch_id 0
		.amdhsa_user_sgpr_flat_scratch_init 0
		.amdhsa_user_sgpr_kernarg_preload_length 0
		.amdhsa_user_sgpr_kernarg_preload_offset 0
		.amdhsa_user_sgpr_private_segment_size 0
		.amdhsa_uses_dynamic_stack 0
		.amdhsa_system_sgpr_private_segment_wavefront_offset 0
		.amdhsa_system_sgpr_workgroup_id_x 1
		.amdhsa_system_sgpr_workgroup_id_y 0
		.amdhsa_system_sgpr_workgroup_id_z 0
		.amdhsa_system_sgpr_workgroup_info 0
		.amdhsa_system_vgpr_workitem_id 0
		.amdhsa_next_free_vgpr 1
		.amdhsa_next_free_sgpr 0
		.amdhsa_accum_offset 4
		.amdhsa_reserve_vcc 0
		.amdhsa_reserve_flat_scratch 0
		.amdhsa_float_round_mode_32 0
		.amdhsa_float_round_mode_16_64 0
		.amdhsa_float_denorm_mode_32 3
		.amdhsa_float_denorm_mode_16_64 3
		.amdhsa_dx10_clamp 1
		.amdhsa_ieee_mode 1
		.amdhsa_fp16_overflow 0
		.amdhsa_tg_split 0
		.amdhsa_exception_fp_ieee_invalid_op 0
		.amdhsa_exception_fp_denorm_src 0
		.amdhsa_exception_fp_ieee_div_zero 0
		.amdhsa_exception_fp_ieee_overflow 0
		.amdhsa_exception_fp_ieee_underflow 0
		.amdhsa_exception_fp_ieee_inexact 0
		.amdhsa_exception_int_div_zero 0
	.end_amdhsa_kernel
	.section	.text._ZN7rocprim17ROCPRIM_400000_NS6detail17trampoline_kernelINS0_14default_configENS1_20scan_config_selectorIiEEZZNS1_9scan_implILNS1_25lookback_scan_determinismE0ELb1ELb1ES3_N6thrust23THRUST_200600_302600_NS6detail15normal_iteratorINS9_10device_ptrIiEEEESE_i11max_functorIiEiEEDaPvRmT3_T4_T5_mT6_P12ihipStream_tbENKUlT_T0_E_clISt17integral_constantIbLb1EESU_EEDaSP_SQ_EUlSP_E_NS1_11comp_targetILNS1_3genE9ELNS1_11target_archE1100ELNS1_3gpuE3ELNS1_3repE0EEENS1_30default_config_static_selectorELNS0_4arch9wavefront6targetE1EEEvT1_,"axG",@progbits,_ZN7rocprim17ROCPRIM_400000_NS6detail17trampoline_kernelINS0_14default_configENS1_20scan_config_selectorIiEEZZNS1_9scan_implILNS1_25lookback_scan_determinismE0ELb1ELb1ES3_N6thrust23THRUST_200600_302600_NS6detail15normal_iteratorINS9_10device_ptrIiEEEESE_i11max_functorIiEiEEDaPvRmT3_T4_T5_mT6_P12ihipStream_tbENKUlT_T0_E_clISt17integral_constantIbLb1EESU_EEDaSP_SQ_EUlSP_E_NS1_11comp_targetILNS1_3genE9ELNS1_11target_archE1100ELNS1_3gpuE3ELNS1_3repE0EEENS1_30default_config_static_selectorELNS0_4arch9wavefront6targetE1EEEvT1_,comdat
.Lfunc_end2799:
	.size	_ZN7rocprim17ROCPRIM_400000_NS6detail17trampoline_kernelINS0_14default_configENS1_20scan_config_selectorIiEEZZNS1_9scan_implILNS1_25lookback_scan_determinismE0ELb1ELb1ES3_N6thrust23THRUST_200600_302600_NS6detail15normal_iteratorINS9_10device_ptrIiEEEESE_i11max_functorIiEiEEDaPvRmT3_T4_T5_mT6_P12ihipStream_tbENKUlT_T0_E_clISt17integral_constantIbLb1EESU_EEDaSP_SQ_EUlSP_E_NS1_11comp_targetILNS1_3genE9ELNS1_11target_archE1100ELNS1_3gpuE3ELNS1_3repE0EEENS1_30default_config_static_selectorELNS0_4arch9wavefront6targetE1EEEvT1_, .Lfunc_end2799-_ZN7rocprim17ROCPRIM_400000_NS6detail17trampoline_kernelINS0_14default_configENS1_20scan_config_selectorIiEEZZNS1_9scan_implILNS1_25lookback_scan_determinismE0ELb1ELb1ES3_N6thrust23THRUST_200600_302600_NS6detail15normal_iteratorINS9_10device_ptrIiEEEESE_i11max_functorIiEiEEDaPvRmT3_T4_T5_mT6_P12ihipStream_tbENKUlT_T0_E_clISt17integral_constantIbLb1EESU_EEDaSP_SQ_EUlSP_E_NS1_11comp_targetILNS1_3genE9ELNS1_11target_archE1100ELNS1_3gpuE3ELNS1_3repE0EEENS1_30default_config_static_selectorELNS0_4arch9wavefront6targetE1EEEvT1_
                                        ; -- End function
	.section	.AMDGPU.csdata,"",@progbits
; Kernel info:
; codeLenInByte = 0
; NumSgprs: 4
; NumVgprs: 0
; NumAgprs: 0
; TotalNumVgprs: 0
; ScratchSize: 0
; MemoryBound: 0
; FloatMode: 240
; IeeeMode: 1
; LDSByteSize: 0 bytes/workgroup (compile time only)
; SGPRBlocks: 0
; VGPRBlocks: 0
; NumSGPRsForWavesPerEU: 4
; NumVGPRsForWavesPerEU: 1
; AccumOffset: 4
; Occupancy: 8
; WaveLimiterHint : 0
; COMPUTE_PGM_RSRC2:SCRATCH_EN: 0
; COMPUTE_PGM_RSRC2:USER_SGPR: 6
; COMPUTE_PGM_RSRC2:TRAP_HANDLER: 0
; COMPUTE_PGM_RSRC2:TGID_X_EN: 1
; COMPUTE_PGM_RSRC2:TGID_Y_EN: 0
; COMPUTE_PGM_RSRC2:TGID_Z_EN: 0
; COMPUTE_PGM_RSRC2:TIDIG_COMP_CNT: 0
; COMPUTE_PGM_RSRC3_GFX90A:ACCUM_OFFSET: 0
; COMPUTE_PGM_RSRC3_GFX90A:TG_SPLIT: 0
	.section	.text._ZN7rocprim17ROCPRIM_400000_NS6detail17trampoline_kernelINS0_14default_configENS1_20scan_config_selectorIiEEZZNS1_9scan_implILNS1_25lookback_scan_determinismE0ELb1ELb1ES3_N6thrust23THRUST_200600_302600_NS6detail15normal_iteratorINS9_10device_ptrIiEEEESE_i11max_functorIiEiEEDaPvRmT3_T4_T5_mT6_P12ihipStream_tbENKUlT_T0_E_clISt17integral_constantIbLb1EESU_EEDaSP_SQ_EUlSP_E_NS1_11comp_targetILNS1_3genE8ELNS1_11target_archE1030ELNS1_3gpuE2ELNS1_3repE0EEENS1_30default_config_static_selectorELNS0_4arch9wavefront6targetE1EEEvT1_,"axG",@progbits,_ZN7rocprim17ROCPRIM_400000_NS6detail17trampoline_kernelINS0_14default_configENS1_20scan_config_selectorIiEEZZNS1_9scan_implILNS1_25lookback_scan_determinismE0ELb1ELb1ES3_N6thrust23THRUST_200600_302600_NS6detail15normal_iteratorINS9_10device_ptrIiEEEESE_i11max_functorIiEiEEDaPvRmT3_T4_T5_mT6_P12ihipStream_tbENKUlT_T0_E_clISt17integral_constantIbLb1EESU_EEDaSP_SQ_EUlSP_E_NS1_11comp_targetILNS1_3genE8ELNS1_11target_archE1030ELNS1_3gpuE2ELNS1_3repE0EEENS1_30default_config_static_selectorELNS0_4arch9wavefront6targetE1EEEvT1_,comdat
	.protected	_ZN7rocprim17ROCPRIM_400000_NS6detail17trampoline_kernelINS0_14default_configENS1_20scan_config_selectorIiEEZZNS1_9scan_implILNS1_25lookback_scan_determinismE0ELb1ELb1ES3_N6thrust23THRUST_200600_302600_NS6detail15normal_iteratorINS9_10device_ptrIiEEEESE_i11max_functorIiEiEEDaPvRmT3_T4_T5_mT6_P12ihipStream_tbENKUlT_T0_E_clISt17integral_constantIbLb1EESU_EEDaSP_SQ_EUlSP_E_NS1_11comp_targetILNS1_3genE8ELNS1_11target_archE1030ELNS1_3gpuE2ELNS1_3repE0EEENS1_30default_config_static_selectorELNS0_4arch9wavefront6targetE1EEEvT1_ ; -- Begin function _ZN7rocprim17ROCPRIM_400000_NS6detail17trampoline_kernelINS0_14default_configENS1_20scan_config_selectorIiEEZZNS1_9scan_implILNS1_25lookback_scan_determinismE0ELb1ELb1ES3_N6thrust23THRUST_200600_302600_NS6detail15normal_iteratorINS9_10device_ptrIiEEEESE_i11max_functorIiEiEEDaPvRmT3_T4_T5_mT6_P12ihipStream_tbENKUlT_T0_E_clISt17integral_constantIbLb1EESU_EEDaSP_SQ_EUlSP_E_NS1_11comp_targetILNS1_3genE8ELNS1_11target_archE1030ELNS1_3gpuE2ELNS1_3repE0EEENS1_30default_config_static_selectorELNS0_4arch9wavefront6targetE1EEEvT1_
	.globl	_ZN7rocprim17ROCPRIM_400000_NS6detail17trampoline_kernelINS0_14default_configENS1_20scan_config_selectorIiEEZZNS1_9scan_implILNS1_25lookback_scan_determinismE0ELb1ELb1ES3_N6thrust23THRUST_200600_302600_NS6detail15normal_iteratorINS9_10device_ptrIiEEEESE_i11max_functorIiEiEEDaPvRmT3_T4_T5_mT6_P12ihipStream_tbENKUlT_T0_E_clISt17integral_constantIbLb1EESU_EEDaSP_SQ_EUlSP_E_NS1_11comp_targetILNS1_3genE8ELNS1_11target_archE1030ELNS1_3gpuE2ELNS1_3repE0EEENS1_30default_config_static_selectorELNS0_4arch9wavefront6targetE1EEEvT1_
	.p2align	8
	.type	_ZN7rocprim17ROCPRIM_400000_NS6detail17trampoline_kernelINS0_14default_configENS1_20scan_config_selectorIiEEZZNS1_9scan_implILNS1_25lookback_scan_determinismE0ELb1ELb1ES3_N6thrust23THRUST_200600_302600_NS6detail15normal_iteratorINS9_10device_ptrIiEEEESE_i11max_functorIiEiEEDaPvRmT3_T4_T5_mT6_P12ihipStream_tbENKUlT_T0_E_clISt17integral_constantIbLb1EESU_EEDaSP_SQ_EUlSP_E_NS1_11comp_targetILNS1_3genE8ELNS1_11target_archE1030ELNS1_3gpuE2ELNS1_3repE0EEENS1_30default_config_static_selectorELNS0_4arch9wavefront6targetE1EEEvT1_,@function
_ZN7rocprim17ROCPRIM_400000_NS6detail17trampoline_kernelINS0_14default_configENS1_20scan_config_selectorIiEEZZNS1_9scan_implILNS1_25lookback_scan_determinismE0ELb1ELb1ES3_N6thrust23THRUST_200600_302600_NS6detail15normal_iteratorINS9_10device_ptrIiEEEESE_i11max_functorIiEiEEDaPvRmT3_T4_T5_mT6_P12ihipStream_tbENKUlT_T0_E_clISt17integral_constantIbLb1EESU_EEDaSP_SQ_EUlSP_E_NS1_11comp_targetILNS1_3genE8ELNS1_11target_archE1030ELNS1_3gpuE2ELNS1_3repE0EEENS1_30default_config_static_selectorELNS0_4arch9wavefront6targetE1EEEvT1_: ; @_ZN7rocprim17ROCPRIM_400000_NS6detail17trampoline_kernelINS0_14default_configENS1_20scan_config_selectorIiEEZZNS1_9scan_implILNS1_25lookback_scan_determinismE0ELb1ELb1ES3_N6thrust23THRUST_200600_302600_NS6detail15normal_iteratorINS9_10device_ptrIiEEEESE_i11max_functorIiEiEEDaPvRmT3_T4_T5_mT6_P12ihipStream_tbENKUlT_T0_E_clISt17integral_constantIbLb1EESU_EEDaSP_SQ_EUlSP_E_NS1_11comp_targetILNS1_3genE8ELNS1_11target_archE1030ELNS1_3gpuE2ELNS1_3repE0EEENS1_30default_config_static_selectorELNS0_4arch9wavefront6targetE1EEEvT1_
; %bb.0:
	.section	.rodata,"a",@progbits
	.p2align	6, 0x0
	.amdhsa_kernel _ZN7rocprim17ROCPRIM_400000_NS6detail17trampoline_kernelINS0_14default_configENS1_20scan_config_selectorIiEEZZNS1_9scan_implILNS1_25lookback_scan_determinismE0ELb1ELb1ES3_N6thrust23THRUST_200600_302600_NS6detail15normal_iteratorINS9_10device_ptrIiEEEESE_i11max_functorIiEiEEDaPvRmT3_T4_T5_mT6_P12ihipStream_tbENKUlT_T0_E_clISt17integral_constantIbLb1EESU_EEDaSP_SQ_EUlSP_E_NS1_11comp_targetILNS1_3genE8ELNS1_11target_archE1030ELNS1_3gpuE2ELNS1_3repE0EEENS1_30default_config_static_selectorELNS0_4arch9wavefront6targetE1EEEvT1_
		.amdhsa_group_segment_fixed_size 0
		.amdhsa_private_segment_fixed_size 0
		.amdhsa_kernarg_size 96
		.amdhsa_user_sgpr_count 6
		.amdhsa_user_sgpr_private_segment_buffer 1
		.amdhsa_user_sgpr_dispatch_ptr 0
		.amdhsa_user_sgpr_queue_ptr 0
		.amdhsa_user_sgpr_kernarg_segment_ptr 1
		.amdhsa_user_sgpr_dispatch_id 0
		.amdhsa_user_sgpr_flat_scratch_init 0
		.amdhsa_user_sgpr_kernarg_preload_length 0
		.amdhsa_user_sgpr_kernarg_preload_offset 0
		.amdhsa_user_sgpr_private_segment_size 0
		.amdhsa_uses_dynamic_stack 0
		.amdhsa_system_sgpr_private_segment_wavefront_offset 0
		.amdhsa_system_sgpr_workgroup_id_x 1
		.amdhsa_system_sgpr_workgroup_id_y 0
		.amdhsa_system_sgpr_workgroup_id_z 0
		.amdhsa_system_sgpr_workgroup_info 0
		.amdhsa_system_vgpr_workitem_id 0
		.amdhsa_next_free_vgpr 1
		.amdhsa_next_free_sgpr 0
		.amdhsa_accum_offset 4
		.amdhsa_reserve_vcc 0
		.amdhsa_reserve_flat_scratch 0
		.amdhsa_float_round_mode_32 0
		.amdhsa_float_round_mode_16_64 0
		.amdhsa_float_denorm_mode_32 3
		.amdhsa_float_denorm_mode_16_64 3
		.amdhsa_dx10_clamp 1
		.amdhsa_ieee_mode 1
		.amdhsa_fp16_overflow 0
		.amdhsa_tg_split 0
		.amdhsa_exception_fp_ieee_invalid_op 0
		.amdhsa_exception_fp_denorm_src 0
		.amdhsa_exception_fp_ieee_div_zero 0
		.amdhsa_exception_fp_ieee_overflow 0
		.amdhsa_exception_fp_ieee_underflow 0
		.amdhsa_exception_fp_ieee_inexact 0
		.amdhsa_exception_int_div_zero 0
	.end_amdhsa_kernel
	.section	.text._ZN7rocprim17ROCPRIM_400000_NS6detail17trampoline_kernelINS0_14default_configENS1_20scan_config_selectorIiEEZZNS1_9scan_implILNS1_25lookback_scan_determinismE0ELb1ELb1ES3_N6thrust23THRUST_200600_302600_NS6detail15normal_iteratorINS9_10device_ptrIiEEEESE_i11max_functorIiEiEEDaPvRmT3_T4_T5_mT6_P12ihipStream_tbENKUlT_T0_E_clISt17integral_constantIbLb1EESU_EEDaSP_SQ_EUlSP_E_NS1_11comp_targetILNS1_3genE8ELNS1_11target_archE1030ELNS1_3gpuE2ELNS1_3repE0EEENS1_30default_config_static_selectorELNS0_4arch9wavefront6targetE1EEEvT1_,"axG",@progbits,_ZN7rocprim17ROCPRIM_400000_NS6detail17trampoline_kernelINS0_14default_configENS1_20scan_config_selectorIiEEZZNS1_9scan_implILNS1_25lookback_scan_determinismE0ELb1ELb1ES3_N6thrust23THRUST_200600_302600_NS6detail15normal_iteratorINS9_10device_ptrIiEEEESE_i11max_functorIiEiEEDaPvRmT3_T4_T5_mT6_P12ihipStream_tbENKUlT_T0_E_clISt17integral_constantIbLb1EESU_EEDaSP_SQ_EUlSP_E_NS1_11comp_targetILNS1_3genE8ELNS1_11target_archE1030ELNS1_3gpuE2ELNS1_3repE0EEENS1_30default_config_static_selectorELNS0_4arch9wavefront6targetE1EEEvT1_,comdat
.Lfunc_end2800:
	.size	_ZN7rocprim17ROCPRIM_400000_NS6detail17trampoline_kernelINS0_14default_configENS1_20scan_config_selectorIiEEZZNS1_9scan_implILNS1_25lookback_scan_determinismE0ELb1ELb1ES3_N6thrust23THRUST_200600_302600_NS6detail15normal_iteratorINS9_10device_ptrIiEEEESE_i11max_functorIiEiEEDaPvRmT3_T4_T5_mT6_P12ihipStream_tbENKUlT_T0_E_clISt17integral_constantIbLb1EESU_EEDaSP_SQ_EUlSP_E_NS1_11comp_targetILNS1_3genE8ELNS1_11target_archE1030ELNS1_3gpuE2ELNS1_3repE0EEENS1_30default_config_static_selectorELNS0_4arch9wavefront6targetE1EEEvT1_, .Lfunc_end2800-_ZN7rocprim17ROCPRIM_400000_NS6detail17trampoline_kernelINS0_14default_configENS1_20scan_config_selectorIiEEZZNS1_9scan_implILNS1_25lookback_scan_determinismE0ELb1ELb1ES3_N6thrust23THRUST_200600_302600_NS6detail15normal_iteratorINS9_10device_ptrIiEEEESE_i11max_functorIiEiEEDaPvRmT3_T4_T5_mT6_P12ihipStream_tbENKUlT_T0_E_clISt17integral_constantIbLb1EESU_EEDaSP_SQ_EUlSP_E_NS1_11comp_targetILNS1_3genE8ELNS1_11target_archE1030ELNS1_3gpuE2ELNS1_3repE0EEENS1_30default_config_static_selectorELNS0_4arch9wavefront6targetE1EEEvT1_
                                        ; -- End function
	.section	.AMDGPU.csdata,"",@progbits
; Kernel info:
; codeLenInByte = 0
; NumSgprs: 4
; NumVgprs: 0
; NumAgprs: 0
; TotalNumVgprs: 0
; ScratchSize: 0
; MemoryBound: 0
; FloatMode: 240
; IeeeMode: 1
; LDSByteSize: 0 bytes/workgroup (compile time only)
; SGPRBlocks: 0
; VGPRBlocks: 0
; NumSGPRsForWavesPerEU: 4
; NumVGPRsForWavesPerEU: 1
; AccumOffset: 4
; Occupancy: 8
; WaveLimiterHint : 0
; COMPUTE_PGM_RSRC2:SCRATCH_EN: 0
; COMPUTE_PGM_RSRC2:USER_SGPR: 6
; COMPUTE_PGM_RSRC2:TRAP_HANDLER: 0
; COMPUTE_PGM_RSRC2:TGID_X_EN: 1
; COMPUTE_PGM_RSRC2:TGID_Y_EN: 0
; COMPUTE_PGM_RSRC2:TGID_Z_EN: 0
; COMPUTE_PGM_RSRC2:TIDIG_COMP_CNT: 0
; COMPUTE_PGM_RSRC3_GFX90A:ACCUM_OFFSET: 0
; COMPUTE_PGM_RSRC3_GFX90A:TG_SPLIT: 0
	.section	.text._ZN7rocprim17ROCPRIM_400000_NS6detail17trampoline_kernelINS0_14default_configENS1_20scan_config_selectorIiEEZZNS1_9scan_implILNS1_25lookback_scan_determinismE0ELb1ELb1ES3_N6thrust23THRUST_200600_302600_NS6detail15normal_iteratorINS9_10device_ptrIiEEEESE_i11max_functorIiEiEEDaPvRmT3_T4_T5_mT6_P12ihipStream_tbENKUlT_T0_E_clISt17integral_constantIbLb1EESU_EEDaSP_SQ_EUlSP_E0_NS1_11comp_targetILNS1_3genE0ELNS1_11target_archE4294967295ELNS1_3gpuE0ELNS1_3repE0EEENS1_30default_config_static_selectorELNS0_4arch9wavefront6targetE1EEEvT1_,"axG",@progbits,_ZN7rocprim17ROCPRIM_400000_NS6detail17trampoline_kernelINS0_14default_configENS1_20scan_config_selectorIiEEZZNS1_9scan_implILNS1_25lookback_scan_determinismE0ELb1ELb1ES3_N6thrust23THRUST_200600_302600_NS6detail15normal_iteratorINS9_10device_ptrIiEEEESE_i11max_functorIiEiEEDaPvRmT3_T4_T5_mT6_P12ihipStream_tbENKUlT_T0_E_clISt17integral_constantIbLb1EESU_EEDaSP_SQ_EUlSP_E0_NS1_11comp_targetILNS1_3genE0ELNS1_11target_archE4294967295ELNS1_3gpuE0ELNS1_3repE0EEENS1_30default_config_static_selectorELNS0_4arch9wavefront6targetE1EEEvT1_,comdat
	.protected	_ZN7rocprim17ROCPRIM_400000_NS6detail17trampoline_kernelINS0_14default_configENS1_20scan_config_selectorIiEEZZNS1_9scan_implILNS1_25lookback_scan_determinismE0ELb1ELb1ES3_N6thrust23THRUST_200600_302600_NS6detail15normal_iteratorINS9_10device_ptrIiEEEESE_i11max_functorIiEiEEDaPvRmT3_T4_T5_mT6_P12ihipStream_tbENKUlT_T0_E_clISt17integral_constantIbLb1EESU_EEDaSP_SQ_EUlSP_E0_NS1_11comp_targetILNS1_3genE0ELNS1_11target_archE4294967295ELNS1_3gpuE0ELNS1_3repE0EEENS1_30default_config_static_selectorELNS0_4arch9wavefront6targetE1EEEvT1_ ; -- Begin function _ZN7rocprim17ROCPRIM_400000_NS6detail17trampoline_kernelINS0_14default_configENS1_20scan_config_selectorIiEEZZNS1_9scan_implILNS1_25lookback_scan_determinismE0ELb1ELb1ES3_N6thrust23THRUST_200600_302600_NS6detail15normal_iteratorINS9_10device_ptrIiEEEESE_i11max_functorIiEiEEDaPvRmT3_T4_T5_mT6_P12ihipStream_tbENKUlT_T0_E_clISt17integral_constantIbLb1EESU_EEDaSP_SQ_EUlSP_E0_NS1_11comp_targetILNS1_3genE0ELNS1_11target_archE4294967295ELNS1_3gpuE0ELNS1_3repE0EEENS1_30default_config_static_selectorELNS0_4arch9wavefront6targetE1EEEvT1_
	.globl	_ZN7rocprim17ROCPRIM_400000_NS6detail17trampoline_kernelINS0_14default_configENS1_20scan_config_selectorIiEEZZNS1_9scan_implILNS1_25lookback_scan_determinismE0ELb1ELb1ES3_N6thrust23THRUST_200600_302600_NS6detail15normal_iteratorINS9_10device_ptrIiEEEESE_i11max_functorIiEiEEDaPvRmT3_T4_T5_mT6_P12ihipStream_tbENKUlT_T0_E_clISt17integral_constantIbLb1EESU_EEDaSP_SQ_EUlSP_E0_NS1_11comp_targetILNS1_3genE0ELNS1_11target_archE4294967295ELNS1_3gpuE0ELNS1_3repE0EEENS1_30default_config_static_selectorELNS0_4arch9wavefront6targetE1EEEvT1_
	.p2align	8
	.type	_ZN7rocprim17ROCPRIM_400000_NS6detail17trampoline_kernelINS0_14default_configENS1_20scan_config_selectorIiEEZZNS1_9scan_implILNS1_25lookback_scan_determinismE0ELb1ELb1ES3_N6thrust23THRUST_200600_302600_NS6detail15normal_iteratorINS9_10device_ptrIiEEEESE_i11max_functorIiEiEEDaPvRmT3_T4_T5_mT6_P12ihipStream_tbENKUlT_T0_E_clISt17integral_constantIbLb1EESU_EEDaSP_SQ_EUlSP_E0_NS1_11comp_targetILNS1_3genE0ELNS1_11target_archE4294967295ELNS1_3gpuE0ELNS1_3repE0EEENS1_30default_config_static_selectorELNS0_4arch9wavefront6targetE1EEEvT1_,@function
_ZN7rocprim17ROCPRIM_400000_NS6detail17trampoline_kernelINS0_14default_configENS1_20scan_config_selectorIiEEZZNS1_9scan_implILNS1_25lookback_scan_determinismE0ELb1ELb1ES3_N6thrust23THRUST_200600_302600_NS6detail15normal_iteratorINS9_10device_ptrIiEEEESE_i11max_functorIiEiEEDaPvRmT3_T4_T5_mT6_P12ihipStream_tbENKUlT_T0_E_clISt17integral_constantIbLb1EESU_EEDaSP_SQ_EUlSP_E0_NS1_11comp_targetILNS1_3genE0ELNS1_11target_archE4294967295ELNS1_3gpuE0ELNS1_3repE0EEENS1_30default_config_static_selectorELNS0_4arch9wavefront6targetE1EEEvT1_: ; @_ZN7rocprim17ROCPRIM_400000_NS6detail17trampoline_kernelINS0_14default_configENS1_20scan_config_selectorIiEEZZNS1_9scan_implILNS1_25lookback_scan_determinismE0ELb1ELb1ES3_N6thrust23THRUST_200600_302600_NS6detail15normal_iteratorINS9_10device_ptrIiEEEESE_i11max_functorIiEiEEDaPvRmT3_T4_T5_mT6_P12ihipStream_tbENKUlT_T0_E_clISt17integral_constantIbLb1EESU_EEDaSP_SQ_EUlSP_E0_NS1_11comp_targetILNS1_3genE0ELNS1_11target_archE4294967295ELNS1_3gpuE0ELNS1_3repE0EEENS1_30default_config_static_selectorELNS0_4arch9wavefront6targetE1EEEvT1_
; %bb.0:
	.section	.rodata,"a",@progbits
	.p2align	6, 0x0
	.amdhsa_kernel _ZN7rocprim17ROCPRIM_400000_NS6detail17trampoline_kernelINS0_14default_configENS1_20scan_config_selectorIiEEZZNS1_9scan_implILNS1_25lookback_scan_determinismE0ELb1ELb1ES3_N6thrust23THRUST_200600_302600_NS6detail15normal_iteratorINS9_10device_ptrIiEEEESE_i11max_functorIiEiEEDaPvRmT3_T4_T5_mT6_P12ihipStream_tbENKUlT_T0_E_clISt17integral_constantIbLb1EESU_EEDaSP_SQ_EUlSP_E0_NS1_11comp_targetILNS1_3genE0ELNS1_11target_archE4294967295ELNS1_3gpuE0ELNS1_3repE0EEENS1_30default_config_static_selectorELNS0_4arch9wavefront6targetE1EEEvT1_
		.amdhsa_group_segment_fixed_size 0
		.amdhsa_private_segment_fixed_size 0
		.amdhsa_kernarg_size 32
		.amdhsa_user_sgpr_count 6
		.amdhsa_user_sgpr_private_segment_buffer 1
		.amdhsa_user_sgpr_dispatch_ptr 0
		.amdhsa_user_sgpr_queue_ptr 0
		.amdhsa_user_sgpr_kernarg_segment_ptr 1
		.amdhsa_user_sgpr_dispatch_id 0
		.amdhsa_user_sgpr_flat_scratch_init 0
		.amdhsa_user_sgpr_kernarg_preload_length 0
		.amdhsa_user_sgpr_kernarg_preload_offset 0
		.amdhsa_user_sgpr_private_segment_size 0
		.amdhsa_uses_dynamic_stack 0
		.amdhsa_system_sgpr_private_segment_wavefront_offset 0
		.amdhsa_system_sgpr_workgroup_id_x 1
		.amdhsa_system_sgpr_workgroup_id_y 0
		.amdhsa_system_sgpr_workgroup_id_z 0
		.amdhsa_system_sgpr_workgroup_info 0
		.amdhsa_system_vgpr_workitem_id 0
		.amdhsa_next_free_vgpr 1
		.amdhsa_next_free_sgpr 0
		.amdhsa_accum_offset 4
		.amdhsa_reserve_vcc 0
		.amdhsa_reserve_flat_scratch 0
		.amdhsa_float_round_mode_32 0
		.amdhsa_float_round_mode_16_64 0
		.amdhsa_float_denorm_mode_32 3
		.amdhsa_float_denorm_mode_16_64 3
		.amdhsa_dx10_clamp 1
		.amdhsa_ieee_mode 1
		.amdhsa_fp16_overflow 0
		.amdhsa_tg_split 0
		.amdhsa_exception_fp_ieee_invalid_op 0
		.amdhsa_exception_fp_denorm_src 0
		.amdhsa_exception_fp_ieee_div_zero 0
		.amdhsa_exception_fp_ieee_overflow 0
		.amdhsa_exception_fp_ieee_underflow 0
		.amdhsa_exception_fp_ieee_inexact 0
		.amdhsa_exception_int_div_zero 0
	.end_amdhsa_kernel
	.section	.text._ZN7rocprim17ROCPRIM_400000_NS6detail17trampoline_kernelINS0_14default_configENS1_20scan_config_selectorIiEEZZNS1_9scan_implILNS1_25lookback_scan_determinismE0ELb1ELb1ES3_N6thrust23THRUST_200600_302600_NS6detail15normal_iteratorINS9_10device_ptrIiEEEESE_i11max_functorIiEiEEDaPvRmT3_T4_T5_mT6_P12ihipStream_tbENKUlT_T0_E_clISt17integral_constantIbLb1EESU_EEDaSP_SQ_EUlSP_E0_NS1_11comp_targetILNS1_3genE0ELNS1_11target_archE4294967295ELNS1_3gpuE0ELNS1_3repE0EEENS1_30default_config_static_selectorELNS0_4arch9wavefront6targetE1EEEvT1_,"axG",@progbits,_ZN7rocprim17ROCPRIM_400000_NS6detail17trampoline_kernelINS0_14default_configENS1_20scan_config_selectorIiEEZZNS1_9scan_implILNS1_25lookback_scan_determinismE0ELb1ELb1ES3_N6thrust23THRUST_200600_302600_NS6detail15normal_iteratorINS9_10device_ptrIiEEEESE_i11max_functorIiEiEEDaPvRmT3_T4_T5_mT6_P12ihipStream_tbENKUlT_T0_E_clISt17integral_constantIbLb1EESU_EEDaSP_SQ_EUlSP_E0_NS1_11comp_targetILNS1_3genE0ELNS1_11target_archE4294967295ELNS1_3gpuE0ELNS1_3repE0EEENS1_30default_config_static_selectorELNS0_4arch9wavefront6targetE1EEEvT1_,comdat
.Lfunc_end2801:
	.size	_ZN7rocprim17ROCPRIM_400000_NS6detail17trampoline_kernelINS0_14default_configENS1_20scan_config_selectorIiEEZZNS1_9scan_implILNS1_25lookback_scan_determinismE0ELb1ELb1ES3_N6thrust23THRUST_200600_302600_NS6detail15normal_iteratorINS9_10device_ptrIiEEEESE_i11max_functorIiEiEEDaPvRmT3_T4_T5_mT6_P12ihipStream_tbENKUlT_T0_E_clISt17integral_constantIbLb1EESU_EEDaSP_SQ_EUlSP_E0_NS1_11comp_targetILNS1_3genE0ELNS1_11target_archE4294967295ELNS1_3gpuE0ELNS1_3repE0EEENS1_30default_config_static_selectorELNS0_4arch9wavefront6targetE1EEEvT1_, .Lfunc_end2801-_ZN7rocprim17ROCPRIM_400000_NS6detail17trampoline_kernelINS0_14default_configENS1_20scan_config_selectorIiEEZZNS1_9scan_implILNS1_25lookback_scan_determinismE0ELb1ELb1ES3_N6thrust23THRUST_200600_302600_NS6detail15normal_iteratorINS9_10device_ptrIiEEEESE_i11max_functorIiEiEEDaPvRmT3_T4_T5_mT6_P12ihipStream_tbENKUlT_T0_E_clISt17integral_constantIbLb1EESU_EEDaSP_SQ_EUlSP_E0_NS1_11comp_targetILNS1_3genE0ELNS1_11target_archE4294967295ELNS1_3gpuE0ELNS1_3repE0EEENS1_30default_config_static_selectorELNS0_4arch9wavefront6targetE1EEEvT1_
                                        ; -- End function
	.section	.AMDGPU.csdata,"",@progbits
; Kernel info:
; codeLenInByte = 0
; NumSgprs: 4
; NumVgprs: 0
; NumAgprs: 0
; TotalNumVgprs: 0
; ScratchSize: 0
; MemoryBound: 0
; FloatMode: 240
; IeeeMode: 1
; LDSByteSize: 0 bytes/workgroup (compile time only)
; SGPRBlocks: 0
; VGPRBlocks: 0
; NumSGPRsForWavesPerEU: 4
; NumVGPRsForWavesPerEU: 1
; AccumOffset: 4
; Occupancy: 8
; WaveLimiterHint : 0
; COMPUTE_PGM_RSRC2:SCRATCH_EN: 0
; COMPUTE_PGM_RSRC2:USER_SGPR: 6
; COMPUTE_PGM_RSRC2:TRAP_HANDLER: 0
; COMPUTE_PGM_RSRC2:TGID_X_EN: 1
; COMPUTE_PGM_RSRC2:TGID_Y_EN: 0
; COMPUTE_PGM_RSRC2:TGID_Z_EN: 0
; COMPUTE_PGM_RSRC2:TIDIG_COMP_CNT: 0
; COMPUTE_PGM_RSRC3_GFX90A:ACCUM_OFFSET: 0
; COMPUTE_PGM_RSRC3_GFX90A:TG_SPLIT: 0
	.section	.text._ZN7rocprim17ROCPRIM_400000_NS6detail17trampoline_kernelINS0_14default_configENS1_20scan_config_selectorIiEEZZNS1_9scan_implILNS1_25lookback_scan_determinismE0ELb1ELb1ES3_N6thrust23THRUST_200600_302600_NS6detail15normal_iteratorINS9_10device_ptrIiEEEESE_i11max_functorIiEiEEDaPvRmT3_T4_T5_mT6_P12ihipStream_tbENKUlT_T0_E_clISt17integral_constantIbLb1EESU_EEDaSP_SQ_EUlSP_E0_NS1_11comp_targetILNS1_3genE5ELNS1_11target_archE942ELNS1_3gpuE9ELNS1_3repE0EEENS1_30default_config_static_selectorELNS0_4arch9wavefront6targetE1EEEvT1_,"axG",@progbits,_ZN7rocprim17ROCPRIM_400000_NS6detail17trampoline_kernelINS0_14default_configENS1_20scan_config_selectorIiEEZZNS1_9scan_implILNS1_25lookback_scan_determinismE0ELb1ELb1ES3_N6thrust23THRUST_200600_302600_NS6detail15normal_iteratorINS9_10device_ptrIiEEEESE_i11max_functorIiEiEEDaPvRmT3_T4_T5_mT6_P12ihipStream_tbENKUlT_T0_E_clISt17integral_constantIbLb1EESU_EEDaSP_SQ_EUlSP_E0_NS1_11comp_targetILNS1_3genE5ELNS1_11target_archE942ELNS1_3gpuE9ELNS1_3repE0EEENS1_30default_config_static_selectorELNS0_4arch9wavefront6targetE1EEEvT1_,comdat
	.protected	_ZN7rocprim17ROCPRIM_400000_NS6detail17trampoline_kernelINS0_14default_configENS1_20scan_config_selectorIiEEZZNS1_9scan_implILNS1_25lookback_scan_determinismE0ELb1ELb1ES3_N6thrust23THRUST_200600_302600_NS6detail15normal_iteratorINS9_10device_ptrIiEEEESE_i11max_functorIiEiEEDaPvRmT3_T4_T5_mT6_P12ihipStream_tbENKUlT_T0_E_clISt17integral_constantIbLb1EESU_EEDaSP_SQ_EUlSP_E0_NS1_11comp_targetILNS1_3genE5ELNS1_11target_archE942ELNS1_3gpuE9ELNS1_3repE0EEENS1_30default_config_static_selectorELNS0_4arch9wavefront6targetE1EEEvT1_ ; -- Begin function _ZN7rocprim17ROCPRIM_400000_NS6detail17trampoline_kernelINS0_14default_configENS1_20scan_config_selectorIiEEZZNS1_9scan_implILNS1_25lookback_scan_determinismE0ELb1ELb1ES3_N6thrust23THRUST_200600_302600_NS6detail15normal_iteratorINS9_10device_ptrIiEEEESE_i11max_functorIiEiEEDaPvRmT3_T4_T5_mT6_P12ihipStream_tbENKUlT_T0_E_clISt17integral_constantIbLb1EESU_EEDaSP_SQ_EUlSP_E0_NS1_11comp_targetILNS1_3genE5ELNS1_11target_archE942ELNS1_3gpuE9ELNS1_3repE0EEENS1_30default_config_static_selectorELNS0_4arch9wavefront6targetE1EEEvT1_
	.globl	_ZN7rocprim17ROCPRIM_400000_NS6detail17trampoline_kernelINS0_14default_configENS1_20scan_config_selectorIiEEZZNS1_9scan_implILNS1_25lookback_scan_determinismE0ELb1ELb1ES3_N6thrust23THRUST_200600_302600_NS6detail15normal_iteratorINS9_10device_ptrIiEEEESE_i11max_functorIiEiEEDaPvRmT3_T4_T5_mT6_P12ihipStream_tbENKUlT_T0_E_clISt17integral_constantIbLb1EESU_EEDaSP_SQ_EUlSP_E0_NS1_11comp_targetILNS1_3genE5ELNS1_11target_archE942ELNS1_3gpuE9ELNS1_3repE0EEENS1_30default_config_static_selectorELNS0_4arch9wavefront6targetE1EEEvT1_
	.p2align	8
	.type	_ZN7rocprim17ROCPRIM_400000_NS6detail17trampoline_kernelINS0_14default_configENS1_20scan_config_selectorIiEEZZNS1_9scan_implILNS1_25lookback_scan_determinismE0ELb1ELb1ES3_N6thrust23THRUST_200600_302600_NS6detail15normal_iteratorINS9_10device_ptrIiEEEESE_i11max_functorIiEiEEDaPvRmT3_T4_T5_mT6_P12ihipStream_tbENKUlT_T0_E_clISt17integral_constantIbLb1EESU_EEDaSP_SQ_EUlSP_E0_NS1_11comp_targetILNS1_3genE5ELNS1_11target_archE942ELNS1_3gpuE9ELNS1_3repE0EEENS1_30default_config_static_selectorELNS0_4arch9wavefront6targetE1EEEvT1_,@function
_ZN7rocprim17ROCPRIM_400000_NS6detail17trampoline_kernelINS0_14default_configENS1_20scan_config_selectorIiEEZZNS1_9scan_implILNS1_25lookback_scan_determinismE0ELb1ELb1ES3_N6thrust23THRUST_200600_302600_NS6detail15normal_iteratorINS9_10device_ptrIiEEEESE_i11max_functorIiEiEEDaPvRmT3_T4_T5_mT6_P12ihipStream_tbENKUlT_T0_E_clISt17integral_constantIbLb1EESU_EEDaSP_SQ_EUlSP_E0_NS1_11comp_targetILNS1_3genE5ELNS1_11target_archE942ELNS1_3gpuE9ELNS1_3repE0EEENS1_30default_config_static_selectorELNS0_4arch9wavefront6targetE1EEEvT1_: ; @_ZN7rocprim17ROCPRIM_400000_NS6detail17trampoline_kernelINS0_14default_configENS1_20scan_config_selectorIiEEZZNS1_9scan_implILNS1_25lookback_scan_determinismE0ELb1ELb1ES3_N6thrust23THRUST_200600_302600_NS6detail15normal_iteratorINS9_10device_ptrIiEEEESE_i11max_functorIiEiEEDaPvRmT3_T4_T5_mT6_P12ihipStream_tbENKUlT_T0_E_clISt17integral_constantIbLb1EESU_EEDaSP_SQ_EUlSP_E0_NS1_11comp_targetILNS1_3genE5ELNS1_11target_archE942ELNS1_3gpuE9ELNS1_3repE0EEENS1_30default_config_static_selectorELNS0_4arch9wavefront6targetE1EEEvT1_
; %bb.0:
	.section	.rodata,"a",@progbits
	.p2align	6, 0x0
	.amdhsa_kernel _ZN7rocprim17ROCPRIM_400000_NS6detail17trampoline_kernelINS0_14default_configENS1_20scan_config_selectorIiEEZZNS1_9scan_implILNS1_25lookback_scan_determinismE0ELb1ELb1ES3_N6thrust23THRUST_200600_302600_NS6detail15normal_iteratorINS9_10device_ptrIiEEEESE_i11max_functorIiEiEEDaPvRmT3_T4_T5_mT6_P12ihipStream_tbENKUlT_T0_E_clISt17integral_constantIbLb1EESU_EEDaSP_SQ_EUlSP_E0_NS1_11comp_targetILNS1_3genE5ELNS1_11target_archE942ELNS1_3gpuE9ELNS1_3repE0EEENS1_30default_config_static_selectorELNS0_4arch9wavefront6targetE1EEEvT1_
		.amdhsa_group_segment_fixed_size 0
		.amdhsa_private_segment_fixed_size 0
		.amdhsa_kernarg_size 32
		.amdhsa_user_sgpr_count 6
		.amdhsa_user_sgpr_private_segment_buffer 1
		.amdhsa_user_sgpr_dispatch_ptr 0
		.amdhsa_user_sgpr_queue_ptr 0
		.amdhsa_user_sgpr_kernarg_segment_ptr 1
		.amdhsa_user_sgpr_dispatch_id 0
		.amdhsa_user_sgpr_flat_scratch_init 0
		.amdhsa_user_sgpr_kernarg_preload_length 0
		.amdhsa_user_sgpr_kernarg_preload_offset 0
		.amdhsa_user_sgpr_private_segment_size 0
		.amdhsa_uses_dynamic_stack 0
		.amdhsa_system_sgpr_private_segment_wavefront_offset 0
		.amdhsa_system_sgpr_workgroup_id_x 1
		.amdhsa_system_sgpr_workgroup_id_y 0
		.amdhsa_system_sgpr_workgroup_id_z 0
		.amdhsa_system_sgpr_workgroup_info 0
		.amdhsa_system_vgpr_workitem_id 0
		.amdhsa_next_free_vgpr 1
		.amdhsa_next_free_sgpr 0
		.amdhsa_accum_offset 4
		.amdhsa_reserve_vcc 0
		.amdhsa_reserve_flat_scratch 0
		.amdhsa_float_round_mode_32 0
		.amdhsa_float_round_mode_16_64 0
		.amdhsa_float_denorm_mode_32 3
		.amdhsa_float_denorm_mode_16_64 3
		.amdhsa_dx10_clamp 1
		.amdhsa_ieee_mode 1
		.amdhsa_fp16_overflow 0
		.amdhsa_tg_split 0
		.amdhsa_exception_fp_ieee_invalid_op 0
		.amdhsa_exception_fp_denorm_src 0
		.amdhsa_exception_fp_ieee_div_zero 0
		.amdhsa_exception_fp_ieee_overflow 0
		.amdhsa_exception_fp_ieee_underflow 0
		.amdhsa_exception_fp_ieee_inexact 0
		.amdhsa_exception_int_div_zero 0
	.end_amdhsa_kernel
	.section	.text._ZN7rocprim17ROCPRIM_400000_NS6detail17trampoline_kernelINS0_14default_configENS1_20scan_config_selectorIiEEZZNS1_9scan_implILNS1_25lookback_scan_determinismE0ELb1ELb1ES3_N6thrust23THRUST_200600_302600_NS6detail15normal_iteratorINS9_10device_ptrIiEEEESE_i11max_functorIiEiEEDaPvRmT3_T4_T5_mT6_P12ihipStream_tbENKUlT_T0_E_clISt17integral_constantIbLb1EESU_EEDaSP_SQ_EUlSP_E0_NS1_11comp_targetILNS1_3genE5ELNS1_11target_archE942ELNS1_3gpuE9ELNS1_3repE0EEENS1_30default_config_static_selectorELNS0_4arch9wavefront6targetE1EEEvT1_,"axG",@progbits,_ZN7rocprim17ROCPRIM_400000_NS6detail17trampoline_kernelINS0_14default_configENS1_20scan_config_selectorIiEEZZNS1_9scan_implILNS1_25lookback_scan_determinismE0ELb1ELb1ES3_N6thrust23THRUST_200600_302600_NS6detail15normal_iteratorINS9_10device_ptrIiEEEESE_i11max_functorIiEiEEDaPvRmT3_T4_T5_mT6_P12ihipStream_tbENKUlT_T0_E_clISt17integral_constantIbLb1EESU_EEDaSP_SQ_EUlSP_E0_NS1_11comp_targetILNS1_3genE5ELNS1_11target_archE942ELNS1_3gpuE9ELNS1_3repE0EEENS1_30default_config_static_selectorELNS0_4arch9wavefront6targetE1EEEvT1_,comdat
.Lfunc_end2802:
	.size	_ZN7rocprim17ROCPRIM_400000_NS6detail17trampoline_kernelINS0_14default_configENS1_20scan_config_selectorIiEEZZNS1_9scan_implILNS1_25lookback_scan_determinismE0ELb1ELb1ES3_N6thrust23THRUST_200600_302600_NS6detail15normal_iteratorINS9_10device_ptrIiEEEESE_i11max_functorIiEiEEDaPvRmT3_T4_T5_mT6_P12ihipStream_tbENKUlT_T0_E_clISt17integral_constantIbLb1EESU_EEDaSP_SQ_EUlSP_E0_NS1_11comp_targetILNS1_3genE5ELNS1_11target_archE942ELNS1_3gpuE9ELNS1_3repE0EEENS1_30default_config_static_selectorELNS0_4arch9wavefront6targetE1EEEvT1_, .Lfunc_end2802-_ZN7rocprim17ROCPRIM_400000_NS6detail17trampoline_kernelINS0_14default_configENS1_20scan_config_selectorIiEEZZNS1_9scan_implILNS1_25lookback_scan_determinismE0ELb1ELb1ES3_N6thrust23THRUST_200600_302600_NS6detail15normal_iteratorINS9_10device_ptrIiEEEESE_i11max_functorIiEiEEDaPvRmT3_T4_T5_mT6_P12ihipStream_tbENKUlT_T0_E_clISt17integral_constantIbLb1EESU_EEDaSP_SQ_EUlSP_E0_NS1_11comp_targetILNS1_3genE5ELNS1_11target_archE942ELNS1_3gpuE9ELNS1_3repE0EEENS1_30default_config_static_selectorELNS0_4arch9wavefront6targetE1EEEvT1_
                                        ; -- End function
	.section	.AMDGPU.csdata,"",@progbits
; Kernel info:
; codeLenInByte = 0
; NumSgprs: 4
; NumVgprs: 0
; NumAgprs: 0
; TotalNumVgprs: 0
; ScratchSize: 0
; MemoryBound: 0
; FloatMode: 240
; IeeeMode: 1
; LDSByteSize: 0 bytes/workgroup (compile time only)
; SGPRBlocks: 0
; VGPRBlocks: 0
; NumSGPRsForWavesPerEU: 4
; NumVGPRsForWavesPerEU: 1
; AccumOffset: 4
; Occupancy: 8
; WaveLimiterHint : 0
; COMPUTE_PGM_RSRC2:SCRATCH_EN: 0
; COMPUTE_PGM_RSRC2:USER_SGPR: 6
; COMPUTE_PGM_RSRC2:TRAP_HANDLER: 0
; COMPUTE_PGM_RSRC2:TGID_X_EN: 1
; COMPUTE_PGM_RSRC2:TGID_Y_EN: 0
; COMPUTE_PGM_RSRC2:TGID_Z_EN: 0
; COMPUTE_PGM_RSRC2:TIDIG_COMP_CNT: 0
; COMPUTE_PGM_RSRC3_GFX90A:ACCUM_OFFSET: 0
; COMPUTE_PGM_RSRC3_GFX90A:TG_SPLIT: 0
	.section	.text._ZN7rocprim17ROCPRIM_400000_NS6detail17trampoline_kernelINS0_14default_configENS1_20scan_config_selectorIiEEZZNS1_9scan_implILNS1_25lookback_scan_determinismE0ELb1ELb1ES3_N6thrust23THRUST_200600_302600_NS6detail15normal_iteratorINS9_10device_ptrIiEEEESE_i11max_functorIiEiEEDaPvRmT3_T4_T5_mT6_P12ihipStream_tbENKUlT_T0_E_clISt17integral_constantIbLb1EESU_EEDaSP_SQ_EUlSP_E0_NS1_11comp_targetILNS1_3genE4ELNS1_11target_archE910ELNS1_3gpuE8ELNS1_3repE0EEENS1_30default_config_static_selectorELNS0_4arch9wavefront6targetE1EEEvT1_,"axG",@progbits,_ZN7rocprim17ROCPRIM_400000_NS6detail17trampoline_kernelINS0_14default_configENS1_20scan_config_selectorIiEEZZNS1_9scan_implILNS1_25lookback_scan_determinismE0ELb1ELb1ES3_N6thrust23THRUST_200600_302600_NS6detail15normal_iteratorINS9_10device_ptrIiEEEESE_i11max_functorIiEiEEDaPvRmT3_T4_T5_mT6_P12ihipStream_tbENKUlT_T0_E_clISt17integral_constantIbLb1EESU_EEDaSP_SQ_EUlSP_E0_NS1_11comp_targetILNS1_3genE4ELNS1_11target_archE910ELNS1_3gpuE8ELNS1_3repE0EEENS1_30default_config_static_selectorELNS0_4arch9wavefront6targetE1EEEvT1_,comdat
	.protected	_ZN7rocprim17ROCPRIM_400000_NS6detail17trampoline_kernelINS0_14default_configENS1_20scan_config_selectorIiEEZZNS1_9scan_implILNS1_25lookback_scan_determinismE0ELb1ELb1ES3_N6thrust23THRUST_200600_302600_NS6detail15normal_iteratorINS9_10device_ptrIiEEEESE_i11max_functorIiEiEEDaPvRmT3_T4_T5_mT6_P12ihipStream_tbENKUlT_T0_E_clISt17integral_constantIbLb1EESU_EEDaSP_SQ_EUlSP_E0_NS1_11comp_targetILNS1_3genE4ELNS1_11target_archE910ELNS1_3gpuE8ELNS1_3repE0EEENS1_30default_config_static_selectorELNS0_4arch9wavefront6targetE1EEEvT1_ ; -- Begin function _ZN7rocprim17ROCPRIM_400000_NS6detail17trampoline_kernelINS0_14default_configENS1_20scan_config_selectorIiEEZZNS1_9scan_implILNS1_25lookback_scan_determinismE0ELb1ELb1ES3_N6thrust23THRUST_200600_302600_NS6detail15normal_iteratorINS9_10device_ptrIiEEEESE_i11max_functorIiEiEEDaPvRmT3_T4_T5_mT6_P12ihipStream_tbENKUlT_T0_E_clISt17integral_constantIbLb1EESU_EEDaSP_SQ_EUlSP_E0_NS1_11comp_targetILNS1_3genE4ELNS1_11target_archE910ELNS1_3gpuE8ELNS1_3repE0EEENS1_30default_config_static_selectorELNS0_4arch9wavefront6targetE1EEEvT1_
	.globl	_ZN7rocprim17ROCPRIM_400000_NS6detail17trampoline_kernelINS0_14default_configENS1_20scan_config_selectorIiEEZZNS1_9scan_implILNS1_25lookback_scan_determinismE0ELb1ELb1ES3_N6thrust23THRUST_200600_302600_NS6detail15normal_iteratorINS9_10device_ptrIiEEEESE_i11max_functorIiEiEEDaPvRmT3_T4_T5_mT6_P12ihipStream_tbENKUlT_T0_E_clISt17integral_constantIbLb1EESU_EEDaSP_SQ_EUlSP_E0_NS1_11comp_targetILNS1_3genE4ELNS1_11target_archE910ELNS1_3gpuE8ELNS1_3repE0EEENS1_30default_config_static_selectorELNS0_4arch9wavefront6targetE1EEEvT1_
	.p2align	8
	.type	_ZN7rocprim17ROCPRIM_400000_NS6detail17trampoline_kernelINS0_14default_configENS1_20scan_config_selectorIiEEZZNS1_9scan_implILNS1_25lookback_scan_determinismE0ELb1ELb1ES3_N6thrust23THRUST_200600_302600_NS6detail15normal_iteratorINS9_10device_ptrIiEEEESE_i11max_functorIiEiEEDaPvRmT3_T4_T5_mT6_P12ihipStream_tbENKUlT_T0_E_clISt17integral_constantIbLb1EESU_EEDaSP_SQ_EUlSP_E0_NS1_11comp_targetILNS1_3genE4ELNS1_11target_archE910ELNS1_3gpuE8ELNS1_3repE0EEENS1_30default_config_static_selectorELNS0_4arch9wavefront6targetE1EEEvT1_,@function
_ZN7rocprim17ROCPRIM_400000_NS6detail17trampoline_kernelINS0_14default_configENS1_20scan_config_selectorIiEEZZNS1_9scan_implILNS1_25lookback_scan_determinismE0ELb1ELb1ES3_N6thrust23THRUST_200600_302600_NS6detail15normal_iteratorINS9_10device_ptrIiEEEESE_i11max_functorIiEiEEDaPvRmT3_T4_T5_mT6_P12ihipStream_tbENKUlT_T0_E_clISt17integral_constantIbLb1EESU_EEDaSP_SQ_EUlSP_E0_NS1_11comp_targetILNS1_3genE4ELNS1_11target_archE910ELNS1_3gpuE8ELNS1_3repE0EEENS1_30default_config_static_selectorELNS0_4arch9wavefront6targetE1EEEvT1_: ; @_ZN7rocprim17ROCPRIM_400000_NS6detail17trampoline_kernelINS0_14default_configENS1_20scan_config_selectorIiEEZZNS1_9scan_implILNS1_25lookback_scan_determinismE0ELb1ELb1ES3_N6thrust23THRUST_200600_302600_NS6detail15normal_iteratorINS9_10device_ptrIiEEEESE_i11max_functorIiEiEEDaPvRmT3_T4_T5_mT6_P12ihipStream_tbENKUlT_T0_E_clISt17integral_constantIbLb1EESU_EEDaSP_SQ_EUlSP_E0_NS1_11comp_targetILNS1_3genE4ELNS1_11target_archE910ELNS1_3gpuE8ELNS1_3repE0EEENS1_30default_config_static_selectorELNS0_4arch9wavefront6targetE1EEEvT1_
; %bb.0:
	s_load_dwordx4 s[20:23], s[4:5], 0x0
	v_lshlrev_b32_e32 v14, 2, v0
	s_waitcnt lgkmcnt(0)
	s_load_dword s23, s[20:21], 0x0
	v_cmp_gt_u32_e32 vcc, s22, v0
	s_waitcnt lgkmcnt(0)
	v_mov_b32_e32 v1, s23
	s_and_saveexec_b64 s[0:1], vcc
	s_cbranch_execz .LBB2803_2
; %bb.1:
	global_load_dword v1, v14, s[20:21]
.LBB2803_2:
	s_or_b64 exec, exec, s[0:1]
	v_or_b32_e32 v2, 0x80, v0
	v_cmp_gt_u32_e64 s[0:1], s22, v2
	v_mov_b32_e32 v2, s23
	s_and_saveexec_b64 s[2:3], s[0:1]
	s_cbranch_execz .LBB2803_4
; %bb.3:
	global_load_dword v2, v14, s[20:21] offset:512
.LBB2803_4:
	s_or_b64 exec, exec, s[2:3]
	v_or_b32_e32 v3, 0x100, v0
	v_cmp_gt_u32_e64 s[2:3], s22, v3
	v_mov_b32_e32 v3, s23
	s_and_saveexec_b64 s[6:7], s[2:3]
	s_cbranch_execz .LBB2803_6
; %bb.5:
	global_load_dword v3, v14, s[20:21] offset:1024
.LBB2803_6:
	s_or_b64 exec, exec, s[6:7]
	v_or_b32_e32 v4, 0x180, v0
	v_cmp_gt_u32_e64 s[18:19], s22, v4
	v_mov_b32_e32 v4, s23
	s_and_saveexec_b64 s[6:7], s[18:19]
	s_cbranch_execz .LBB2803_8
; %bb.7:
	global_load_dword v4, v14, s[20:21] offset:1536
.LBB2803_8:
	s_or_b64 exec, exec, s[6:7]
	v_or_b32_e32 v5, 0x200, v0
	v_cmp_gt_u32_e64 s[6:7], s22, v5
	v_mov_b32_e32 v5, s23
	s_and_saveexec_b64 s[8:9], s[6:7]
	s_cbranch_execz .LBB2803_10
; %bb.9:
	global_load_dword v5, v14, s[20:21] offset:2048
.LBB2803_10:
	s_or_b64 exec, exec, s[8:9]
	v_or_b32_e32 v6, 0x280, v0
	v_cmp_gt_u32_e64 s[8:9], s22, v6
	v_mov_b32_e32 v6, s23
	s_and_saveexec_b64 s[10:11], s[8:9]
	s_cbranch_execz .LBB2803_12
; %bb.11:
	global_load_dword v6, v14, s[20:21] offset:2560
.LBB2803_12:
	s_or_b64 exec, exec, s[10:11]
	v_or_b32_e32 v7, 0x300, v0
	v_cmp_gt_u32_e64 s[10:11], s22, v7
	v_mov_b32_e32 v7, s23
	s_and_saveexec_b64 s[12:13], s[10:11]
	s_cbranch_execz .LBB2803_14
; %bb.13:
	global_load_dword v7, v14, s[20:21] offset:3072
.LBB2803_14:
	s_or_b64 exec, exec, s[12:13]
	v_or_b32_e32 v8, 0x380, v0
	v_cmp_gt_u32_e64 s[12:13], s22, v8
	v_mov_b32_e32 v8, s23
	s_and_saveexec_b64 s[14:15], s[12:13]
	s_cbranch_execz .LBB2803_16
; %bb.15:
	global_load_dword v8, v14, s[20:21] offset:3584
.LBB2803_16:
	s_or_b64 exec, exec, s[14:15]
	v_or_b32_e32 v10, 0x400, v0
	v_cmp_gt_u32_e64 s[14:15], s22, v10
	v_mov_b32_e32 v9, s23
	s_and_saveexec_b64 s[16:17], s[14:15]
	s_cbranch_execz .LBB2803_18
; %bb.17:
	v_lshlrev_b32_e32 v9, 2, v10
	global_load_dword v9, v9, s[20:21]
.LBB2803_18:
	s_or_b64 exec, exec, s[16:17]
	s_load_dword s24, s[4:5], 0x10
	v_or_b32_e32 v11, 0x480, v0
	v_cmp_gt_u32_e64 s[16:17], s22, v11
	v_mov_b32_e32 v10, s23
	s_and_saveexec_b64 s[22:23], s[16:17]
	s_cbranch_execz .LBB2803_20
; %bb.19:
	v_lshlrev_b32_e32 v10, 2, v11
	global_load_dword v10, v10, s[20:21]
.LBB2803_20:
	s_or_b64 exec, exec, s[22:23]
	s_waitcnt vmcnt(0)
	ds_write2st64_b32 v14, v1, v2 offset1:2
	ds_write2st64_b32 v14, v3, v4 offset0:4 offset1:6
	ds_write2st64_b32 v14, v5, v6 offset0:8 offset1:10
	;; [unrolled: 1-line block ×4, first 2 shown]
	v_mad_u32_u24 v1, v0, 36, v14
	s_waitcnt lgkmcnt(0)
	s_barrier
	ds_read2_b64 v[6:9], v1 offset1:1
	ds_read2_b64 v[2:5], v1 offset0:2 offset1:3
	ds_read_b64 v[10:11], v1 offset:32
	s_load_dwordx2 s[20:21], s[4:5], 0x18
	v_cmp_gt_u32_e64 s[4:5], 64, v0
	s_waitcnt lgkmcnt(0)
	v_max_i32_e32 v12, v6, v7
	v_max3_i32 v12, v12, v8, v9
	v_max3_i32 v12, v12, v2, v3
	;; [unrolled: 1-line block ×4, first 2 shown]
	v_lshrrev_b32_e32 v12, 3, v0
	v_and_b32_e32 v12, 12, v12
	v_add_u32_e32 v12, v14, v12
	s_barrier
	ds_write_b32 v12, v11
	s_waitcnt lgkmcnt(0)
	s_barrier
	s_and_saveexec_b64 s[22:23], s[4:5]
	s_cbranch_execz .LBB2803_22
; %bb.21:
	v_lshlrev_b32_e32 v12, 1, v0
	v_lshrrev_b32_e32 v13, 4, v0
	v_add_lshl_u32 v15, v13, v12, 2
	ds_read2_b32 v[12:13], v15 offset1:1
	v_mbcnt_lo_u32_b32 v16, -1, 0
	v_mbcnt_hi_u32_b32 v16, -1, v16
	v_and_b32_e32 v17, 15, v16
	v_cmp_eq_u32_e64 s[4:5], 0, v17
	s_waitcnt lgkmcnt(0)
	v_max_i32_e32 v13, v12, v13
	; wave barrier
	s_nop 1
	v_mov_b32_dpp v18, v13 row_shr:1 row_mask:0xf bank_mask:0xf
	v_max_i32_e32 v18, v18, v13
	v_cndmask_b32_e64 v13, v18, v13, s[4:5]
	v_cmp_lt_u32_e64 s[4:5], 1, v17
	s_nop 0
	v_mov_b32_dpp v18, v13 row_shr:2 row_mask:0xf bank_mask:0xf
	v_max_i32_e32 v18, v18, v13
	v_cndmask_b32_e64 v13, v13, v18, s[4:5]
	v_cmp_lt_u32_e64 s[4:5], 3, v17
	s_nop 0
	v_mov_b32_dpp v18, v13 row_shr:4 row_mask:0xf bank_mask:0xf
	v_max_i32_e32 v18, v18, v13
	v_cndmask_b32_e64 v13, v13, v18, s[4:5]
	v_cmp_lt_u32_e64 s[4:5], 7, v17
	s_nop 0
	v_mov_b32_dpp v18, v13 row_shr:8 row_mask:0xf bank_mask:0xf
	v_max_i32_e32 v18, v18, v13
	v_cndmask_b32_e64 v13, v13, v18, s[4:5]
	v_and_b32_e32 v18, 16, v16
	v_cmp_eq_u32_e64 s[4:5], 0, v18
	v_mov_b32_dpp v17, v13 row_bcast:15 row_mask:0xf bank_mask:0xf
	v_max_i32_e32 v17, v17, v13
	v_cndmask_b32_e64 v13, v17, v13, s[4:5]
	v_cmp_lt_u32_e64 s[4:5], 31, v16
	v_and_b32_e32 v18, 64, v16
	v_mov_b32_dpp v17, v13 row_bcast:31 row_mask:0xf bank_mask:0xf
	v_max_i32_e32 v17, v17, v13
	v_cndmask_b32_e64 v13, v13, v17, s[4:5]
	v_add_u32_e32 v17, -1, v16
	v_cmp_lt_i32_e64 s[4:5], v17, v18
	v_cndmask_b32_e64 v16, v17, v16, s[4:5]
	v_lshlrev_b32_e32 v16, 2, v16
	ds_bpermute_b32 v13, v16, v13
	v_cmp_eq_u32_e64 s[4:5], 0, v0
	s_waitcnt lgkmcnt(0)
	v_max_i32_e32 v12, v13, v12
	v_cndmask_b32_e64 v11, v12, v11, s[4:5]
	ds_write_b32 v15, v11
	; wave barrier
	ds_read_b32 v12, v15 offset:4
	s_waitcnt lgkmcnt(0)
	v_max_i32_e32 v11, v11, v12
	ds_write_b32 v15, v11 offset:4
.LBB2803_22:
	s_or_b64 exec, exec, s[22:23]
	v_cmp_ne_u32_e64 s[4:5], 0, v0
	v_mov_b32_e32 v12, s24
	s_waitcnt lgkmcnt(0)
	s_barrier
	s_and_saveexec_b64 s[22:23], s[4:5]
	s_cbranch_execz .LBB2803_24
; %bb.23:
	v_add_u32_e32 v11, -1, v0
	v_lshrrev_b32_e32 v12, 5, v11
	v_add_lshl_u32 v11, v12, v11, 2
	ds_read_b32 v11, v11
	s_waitcnt lgkmcnt(0)
	v_max_i32_e32 v12, s24, v11
.LBB2803_24:
	s_or_b64 exec, exec, s[22:23]
	v_max_i32_e32 v13, v12, v6
	v_max_i32_e32 v6, v13, v7
	;; [unrolled: 1-line block ×8, first 2 shown]
	s_movk_i32 s4, 0xffdc
	v_max_i32_e32 v5, v4, v10
	v_mad_i32_i24 v0, v0, s4, v1
	s_barrier
	ds_write2_b64 v1, v[12:13], v[6:7] offset1:1
	ds_write2_b64 v1, v[8:9], v[2:3] offset0:2 offset1:3
	ds_write_b64 v1, v[4:5] offset:32
	s_waitcnt lgkmcnt(0)
	s_barrier
	ds_read2st64_b32 v[8:9], v0 offset0:2 offset1:4
	ds_read2st64_b32 v[6:7], v0 offset0:6 offset1:8
	;; [unrolled: 1-line block ×4, first 2 shown]
	ds_read_b32 v10, v14 offset:4096
	v_mov_b32_e32 v3, s21
	v_add_co_u32_e64 v2, s[4:5], s20, v14
	v_addc_co_u32_e64 v3, s[4:5], 0, v3, s[4:5]
	s_and_saveexec_b64 s[4:5], vcc
	s_cbranch_execnz .LBB2803_35
; %bb.25:
	s_or_b64 exec, exec, s[4:5]
	s_and_saveexec_b64 s[4:5], s[0:1]
	s_cbranch_execnz .LBB2803_36
.LBB2803_26:
	s_or_b64 exec, exec, s[4:5]
	s_and_saveexec_b64 s[0:1], s[2:3]
	s_cbranch_execnz .LBB2803_37
.LBB2803_27:
	s_or_b64 exec, exec, s[0:1]
	s_and_saveexec_b64 s[0:1], s[18:19]
	s_cbranch_execnz .LBB2803_38
.LBB2803_28:
	s_or_b64 exec, exec, s[0:1]
	s_and_saveexec_b64 s[0:1], s[6:7]
	s_cbranch_execnz .LBB2803_39
.LBB2803_29:
	s_or_b64 exec, exec, s[0:1]
	s_and_saveexec_b64 s[0:1], s[8:9]
	s_cbranch_execnz .LBB2803_40
.LBB2803_30:
	s_or_b64 exec, exec, s[0:1]
	s_and_saveexec_b64 s[0:1], s[10:11]
	s_cbranch_execnz .LBB2803_41
.LBB2803_31:
	s_or_b64 exec, exec, s[0:1]
	s_and_saveexec_b64 s[0:1], s[12:13]
	s_cbranch_execnz .LBB2803_42
.LBB2803_32:
	s_or_b64 exec, exec, s[0:1]
	s_and_saveexec_b64 s[0:1], s[14:15]
	s_cbranch_execnz .LBB2803_43
.LBB2803_33:
	s_or_b64 exec, exec, s[0:1]
	s_and_saveexec_b64 s[0:1], s[16:17]
	s_cbranch_execnz .LBB2803_44
.LBB2803_34:
	s_endpgm
.LBB2803_35:
	ds_read_b32 v11, v14
	s_waitcnt lgkmcnt(0)
	global_store_dword v[2:3], v11, off
	s_or_b64 exec, exec, s[4:5]
	s_and_saveexec_b64 s[4:5], s[0:1]
	s_cbranch_execz .LBB2803_26
.LBB2803_36:
	s_waitcnt lgkmcnt(4)
	global_store_dword v[2:3], v8, off offset:512
	s_or_b64 exec, exec, s[4:5]
	s_and_saveexec_b64 s[0:1], s[2:3]
	s_cbranch_execz .LBB2803_27
.LBB2803_37:
	s_waitcnt lgkmcnt(4)
	global_store_dword v[2:3], v9, off offset:1024
	s_or_b64 exec, exec, s[0:1]
	s_and_saveexec_b64 s[0:1], s[18:19]
	s_cbranch_execz .LBB2803_28
.LBB2803_38:
	s_waitcnt lgkmcnt(3)
	global_store_dword v[2:3], v6, off offset:1536
	s_or_b64 exec, exec, s[0:1]
	s_and_saveexec_b64 s[0:1], s[6:7]
	s_cbranch_execz .LBB2803_29
.LBB2803_39:
	s_waitcnt lgkmcnt(3)
	global_store_dword v[2:3], v7, off offset:2048
	s_or_b64 exec, exec, s[0:1]
	s_and_saveexec_b64 s[0:1], s[8:9]
	s_cbranch_execz .LBB2803_30
.LBB2803_40:
	s_waitcnt lgkmcnt(2)
	global_store_dword v[2:3], v4, off offset:2560
	s_or_b64 exec, exec, s[0:1]
	s_and_saveexec_b64 s[0:1], s[10:11]
	s_cbranch_execz .LBB2803_31
.LBB2803_41:
	s_waitcnt lgkmcnt(2)
	global_store_dword v[2:3], v5, off offset:3072
	s_or_b64 exec, exec, s[0:1]
	s_and_saveexec_b64 s[0:1], s[12:13]
	s_cbranch_execz .LBB2803_32
.LBB2803_42:
	s_waitcnt lgkmcnt(1)
	global_store_dword v[2:3], v0, off offset:3584
	s_or_b64 exec, exec, s[0:1]
	s_and_saveexec_b64 s[0:1], s[14:15]
	s_cbranch_execz .LBB2803_33
.LBB2803_43:
	s_waitcnt lgkmcnt(2)
	v_add_co_u32_e32 v4, vcc, 0x1000, v2
	v_addc_co_u32_e32 v5, vcc, 0, v3, vcc
	s_waitcnt lgkmcnt(0)
	global_store_dword v[4:5], v10, off
	s_or_b64 exec, exec, s[0:1]
	s_and_saveexec_b64 s[0:1], s[16:17]
	s_cbranch_execz .LBB2803_34
.LBB2803_44:
	v_add_co_u32_e32 v2, vcc, 0x1000, v2
	v_addc_co_u32_e32 v3, vcc, 0, v3, vcc
	s_waitcnt lgkmcnt(1)
	global_store_dword v[2:3], v1, off offset:512
	s_endpgm
	.section	.rodata,"a",@progbits
	.p2align	6, 0x0
	.amdhsa_kernel _ZN7rocprim17ROCPRIM_400000_NS6detail17trampoline_kernelINS0_14default_configENS1_20scan_config_selectorIiEEZZNS1_9scan_implILNS1_25lookback_scan_determinismE0ELb1ELb1ES3_N6thrust23THRUST_200600_302600_NS6detail15normal_iteratorINS9_10device_ptrIiEEEESE_i11max_functorIiEiEEDaPvRmT3_T4_T5_mT6_P12ihipStream_tbENKUlT_T0_E_clISt17integral_constantIbLb1EESU_EEDaSP_SQ_EUlSP_E0_NS1_11comp_targetILNS1_3genE4ELNS1_11target_archE910ELNS1_3gpuE8ELNS1_3repE0EEENS1_30default_config_static_selectorELNS0_4arch9wavefront6targetE1EEEvT1_
		.amdhsa_group_segment_fixed_size 5120
		.amdhsa_private_segment_fixed_size 0
		.amdhsa_kernarg_size 32
		.amdhsa_user_sgpr_count 6
		.amdhsa_user_sgpr_private_segment_buffer 1
		.amdhsa_user_sgpr_dispatch_ptr 0
		.amdhsa_user_sgpr_queue_ptr 0
		.amdhsa_user_sgpr_kernarg_segment_ptr 1
		.amdhsa_user_sgpr_dispatch_id 0
		.amdhsa_user_sgpr_flat_scratch_init 0
		.amdhsa_user_sgpr_kernarg_preload_length 0
		.amdhsa_user_sgpr_kernarg_preload_offset 0
		.amdhsa_user_sgpr_private_segment_size 0
		.amdhsa_uses_dynamic_stack 0
		.amdhsa_system_sgpr_private_segment_wavefront_offset 0
		.amdhsa_system_sgpr_workgroup_id_x 1
		.amdhsa_system_sgpr_workgroup_id_y 0
		.amdhsa_system_sgpr_workgroup_id_z 0
		.amdhsa_system_sgpr_workgroup_info 0
		.amdhsa_system_vgpr_workitem_id 0
		.amdhsa_next_free_vgpr 19
		.amdhsa_next_free_sgpr 25
		.amdhsa_accum_offset 20
		.amdhsa_reserve_vcc 1
		.amdhsa_reserve_flat_scratch 0
		.amdhsa_float_round_mode_32 0
		.amdhsa_float_round_mode_16_64 0
		.amdhsa_float_denorm_mode_32 3
		.amdhsa_float_denorm_mode_16_64 3
		.amdhsa_dx10_clamp 1
		.amdhsa_ieee_mode 1
		.amdhsa_fp16_overflow 0
		.amdhsa_tg_split 0
		.amdhsa_exception_fp_ieee_invalid_op 0
		.amdhsa_exception_fp_denorm_src 0
		.amdhsa_exception_fp_ieee_div_zero 0
		.amdhsa_exception_fp_ieee_overflow 0
		.amdhsa_exception_fp_ieee_underflow 0
		.amdhsa_exception_fp_ieee_inexact 0
		.amdhsa_exception_int_div_zero 0
	.end_amdhsa_kernel
	.section	.text._ZN7rocprim17ROCPRIM_400000_NS6detail17trampoline_kernelINS0_14default_configENS1_20scan_config_selectorIiEEZZNS1_9scan_implILNS1_25lookback_scan_determinismE0ELb1ELb1ES3_N6thrust23THRUST_200600_302600_NS6detail15normal_iteratorINS9_10device_ptrIiEEEESE_i11max_functorIiEiEEDaPvRmT3_T4_T5_mT6_P12ihipStream_tbENKUlT_T0_E_clISt17integral_constantIbLb1EESU_EEDaSP_SQ_EUlSP_E0_NS1_11comp_targetILNS1_3genE4ELNS1_11target_archE910ELNS1_3gpuE8ELNS1_3repE0EEENS1_30default_config_static_selectorELNS0_4arch9wavefront6targetE1EEEvT1_,"axG",@progbits,_ZN7rocprim17ROCPRIM_400000_NS6detail17trampoline_kernelINS0_14default_configENS1_20scan_config_selectorIiEEZZNS1_9scan_implILNS1_25lookback_scan_determinismE0ELb1ELb1ES3_N6thrust23THRUST_200600_302600_NS6detail15normal_iteratorINS9_10device_ptrIiEEEESE_i11max_functorIiEiEEDaPvRmT3_T4_T5_mT6_P12ihipStream_tbENKUlT_T0_E_clISt17integral_constantIbLb1EESU_EEDaSP_SQ_EUlSP_E0_NS1_11comp_targetILNS1_3genE4ELNS1_11target_archE910ELNS1_3gpuE8ELNS1_3repE0EEENS1_30default_config_static_selectorELNS0_4arch9wavefront6targetE1EEEvT1_,comdat
.Lfunc_end2803:
	.size	_ZN7rocprim17ROCPRIM_400000_NS6detail17trampoline_kernelINS0_14default_configENS1_20scan_config_selectorIiEEZZNS1_9scan_implILNS1_25lookback_scan_determinismE0ELb1ELb1ES3_N6thrust23THRUST_200600_302600_NS6detail15normal_iteratorINS9_10device_ptrIiEEEESE_i11max_functorIiEiEEDaPvRmT3_T4_T5_mT6_P12ihipStream_tbENKUlT_T0_E_clISt17integral_constantIbLb1EESU_EEDaSP_SQ_EUlSP_E0_NS1_11comp_targetILNS1_3genE4ELNS1_11target_archE910ELNS1_3gpuE8ELNS1_3repE0EEENS1_30default_config_static_selectorELNS0_4arch9wavefront6targetE1EEEvT1_, .Lfunc_end2803-_ZN7rocprim17ROCPRIM_400000_NS6detail17trampoline_kernelINS0_14default_configENS1_20scan_config_selectorIiEEZZNS1_9scan_implILNS1_25lookback_scan_determinismE0ELb1ELb1ES3_N6thrust23THRUST_200600_302600_NS6detail15normal_iteratorINS9_10device_ptrIiEEEESE_i11max_functorIiEiEEDaPvRmT3_T4_T5_mT6_P12ihipStream_tbENKUlT_T0_E_clISt17integral_constantIbLb1EESU_EEDaSP_SQ_EUlSP_E0_NS1_11comp_targetILNS1_3genE4ELNS1_11target_archE910ELNS1_3gpuE8ELNS1_3repE0EEENS1_30default_config_static_selectorELNS0_4arch9wavefront6targetE1EEEvT1_
                                        ; -- End function
	.section	.AMDGPU.csdata,"",@progbits
; Kernel info:
; codeLenInByte = 1544
; NumSgprs: 29
; NumVgprs: 19
; NumAgprs: 0
; TotalNumVgprs: 19
; ScratchSize: 0
; MemoryBound: 0
; FloatMode: 240
; IeeeMode: 1
; LDSByteSize: 5120 bytes/workgroup (compile time only)
; SGPRBlocks: 3
; VGPRBlocks: 2
; NumSGPRsForWavesPerEU: 29
; NumVGPRsForWavesPerEU: 19
; AccumOffset: 20
; Occupancy: 6
; WaveLimiterHint : 0
; COMPUTE_PGM_RSRC2:SCRATCH_EN: 0
; COMPUTE_PGM_RSRC2:USER_SGPR: 6
; COMPUTE_PGM_RSRC2:TRAP_HANDLER: 0
; COMPUTE_PGM_RSRC2:TGID_X_EN: 1
; COMPUTE_PGM_RSRC2:TGID_Y_EN: 0
; COMPUTE_PGM_RSRC2:TGID_Z_EN: 0
; COMPUTE_PGM_RSRC2:TIDIG_COMP_CNT: 0
; COMPUTE_PGM_RSRC3_GFX90A:ACCUM_OFFSET: 4
; COMPUTE_PGM_RSRC3_GFX90A:TG_SPLIT: 0
	.section	.text._ZN7rocprim17ROCPRIM_400000_NS6detail17trampoline_kernelINS0_14default_configENS1_20scan_config_selectorIiEEZZNS1_9scan_implILNS1_25lookback_scan_determinismE0ELb1ELb1ES3_N6thrust23THRUST_200600_302600_NS6detail15normal_iteratorINS9_10device_ptrIiEEEESE_i11max_functorIiEiEEDaPvRmT3_T4_T5_mT6_P12ihipStream_tbENKUlT_T0_E_clISt17integral_constantIbLb1EESU_EEDaSP_SQ_EUlSP_E0_NS1_11comp_targetILNS1_3genE3ELNS1_11target_archE908ELNS1_3gpuE7ELNS1_3repE0EEENS1_30default_config_static_selectorELNS0_4arch9wavefront6targetE1EEEvT1_,"axG",@progbits,_ZN7rocprim17ROCPRIM_400000_NS6detail17trampoline_kernelINS0_14default_configENS1_20scan_config_selectorIiEEZZNS1_9scan_implILNS1_25lookback_scan_determinismE0ELb1ELb1ES3_N6thrust23THRUST_200600_302600_NS6detail15normal_iteratorINS9_10device_ptrIiEEEESE_i11max_functorIiEiEEDaPvRmT3_T4_T5_mT6_P12ihipStream_tbENKUlT_T0_E_clISt17integral_constantIbLb1EESU_EEDaSP_SQ_EUlSP_E0_NS1_11comp_targetILNS1_3genE3ELNS1_11target_archE908ELNS1_3gpuE7ELNS1_3repE0EEENS1_30default_config_static_selectorELNS0_4arch9wavefront6targetE1EEEvT1_,comdat
	.protected	_ZN7rocprim17ROCPRIM_400000_NS6detail17trampoline_kernelINS0_14default_configENS1_20scan_config_selectorIiEEZZNS1_9scan_implILNS1_25lookback_scan_determinismE0ELb1ELb1ES3_N6thrust23THRUST_200600_302600_NS6detail15normal_iteratorINS9_10device_ptrIiEEEESE_i11max_functorIiEiEEDaPvRmT3_T4_T5_mT6_P12ihipStream_tbENKUlT_T0_E_clISt17integral_constantIbLb1EESU_EEDaSP_SQ_EUlSP_E0_NS1_11comp_targetILNS1_3genE3ELNS1_11target_archE908ELNS1_3gpuE7ELNS1_3repE0EEENS1_30default_config_static_selectorELNS0_4arch9wavefront6targetE1EEEvT1_ ; -- Begin function _ZN7rocprim17ROCPRIM_400000_NS6detail17trampoline_kernelINS0_14default_configENS1_20scan_config_selectorIiEEZZNS1_9scan_implILNS1_25lookback_scan_determinismE0ELb1ELb1ES3_N6thrust23THRUST_200600_302600_NS6detail15normal_iteratorINS9_10device_ptrIiEEEESE_i11max_functorIiEiEEDaPvRmT3_T4_T5_mT6_P12ihipStream_tbENKUlT_T0_E_clISt17integral_constantIbLb1EESU_EEDaSP_SQ_EUlSP_E0_NS1_11comp_targetILNS1_3genE3ELNS1_11target_archE908ELNS1_3gpuE7ELNS1_3repE0EEENS1_30default_config_static_selectorELNS0_4arch9wavefront6targetE1EEEvT1_
	.globl	_ZN7rocprim17ROCPRIM_400000_NS6detail17trampoline_kernelINS0_14default_configENS1_20scan_config_selectorIiEEZZNS1_9scan_implILNS1_25lookback_scan_determinismE0ELb1ELb1ES3_N6thrust23THRUST_200600_302600_NS6detail15normal_iteratorINS9_10device_ptrIiEEEESE_i11max_functorIiEiEEDaPvRmT3_T4_T5_mT6_P12ihipStream_tbENKUlT_T0_E_clISt17integral_constantIbLb1EESU_EEDaSP_SQ_EUlSP_E0_NS1_11comp_targetILNS1_3genE3ELNS1_11target_archE908ELNS1_3gpuE7ELNS1_3repE0EEENS1_30default_config_static_selectorELNS0_4arch9wavefront6targetE1EEEvT1_
	.p2align	8
	.type	_ZN7rocprim17ROCPRIM_400000_NS6detail17trampoline_kernelINS0_14default_configENS1_20scan_config_selectorIiEEZZNS1_9scan_implILNS1_25lookback_scan_determinismE0ELb1ELb1ES3_N6thrust23THRUST_200600_302600_NS6detail15normal_iteratorINS9_10device_ptrIiEEEESE_i11max_functorIiEiEEDaPvRmT3_T4_T5_mT6_P12ihipStream_tbENKUlT_T0_E_clISt17integral_constantIbLb1EESU_EEDaSP_SQ_EUlSP_E0_NS1_11comp_targetILNS1_3genE3ELNS1_11target_archE908ELNS1_3gpuE7ELNS1_3repE0EEENS1_30default_config_static_selectorELNS0_4arch9wavefront6targetE1EEEvT1_,@function
_ZN7rocprim17ROCPRIM_400000_NS6detail17trampoline_kernelINS0_14default_configENS1_20scan_config_selectorIiEEZZNS1_9scan_implILNS1_25lookback_scan_determinismE0ELb1ELb1ES3_N6thrust23THRUST_200600_302600_NS6detail15normal_iteratorINS9_10device_ptrIiEEEESE_i11max_functorIiEiEEDaPvRmT3_T4_T5_mT6_P12ihipStream_tbENKUlT_T0_E_clISt17integral_constantIbLb1EESU_EEDaSP_SQ_EUlSP_E0_NS1_11comp_targetILNS1_3genE3ELNS1_11target_archE908ELNS1_3gpuE7ELNS1_3repE0EEENS1_30default_config_static_selectorELNS0_4arch9wavefront6targetE1EEEvT1_: ; @_ZN7rocprim17ROCPRIM_400000_NS6detail17trampoline_kernelINS0_14default_configENS1_20scan_config_selectorIiEEZZNS1_9scan_implILNS1_25lookback_scan_determinismE0ELb1ELb1ES3_N6thrust23THRUST_200600_302600_NS6detail15normal_iteratorINS9_10device_ptrIiEEEESE_i11max_functorIiEiEEDaPvRmT3_T4_T5_mT6_P12ihipStream_tbENKUlT_T0_E_clISt17integral_constantIbLb1EESU_EEDaSP_SQ_EUlSP_E0_NS1_11comp_targetILNS1_3genE3ELNS1_11target_archE908ELNS1_3gpuE7ELNS1_3repE0EEENS1_30default_config_static_selectorELNS0_4arch9wavefront6targetE1EEEvT1_
; %bb.0:
	.section	.rodata,"a",@progbits
	.p2align	6, 0x0
	.amdhsa_kernel _ZN7rocprim17ROCPRIM_400000_NS6detail17trampoline_kernelINS0_14default_configENS1_20scan_config_selectorIiEEZZNS1_9scan_implILNS1_25lookback_scan_determinismE0ELb1ELb1ES3_N6thrust23THRUST_200600_302600_NS6detail15normal_iteratorINS9_10device_ptrIiEEEESE_i11max_functorIiEiEEDaPvRmT3_T4_T5_mT6_P12ihipStream_tbENKUlT_T0_E_clISt17integral_constantIbLb1EESU_EEDaSP_SQ_EUlSP_E0_NS1_11comp_targetILNS1_3genE3ELNS1_11target_archE908ELNS1_3gpuE7ELNS1_3repE0EEENS1_30default_config_static_selectorELNS0_4arch9wavefront6targetE1EEEvT1_
		.amdhsa_group_segment_fixed_size 0
		.amdhsa_private_segment_fixed_size 0
		.amdhsa_kernarg_size 32
		.amdhsa_user_sgpr_count 6
		.amdhsa_user_sgpr_private_segment_buffer 1
		.amdhsa_user_sgpr_dispatch_ptr 0
		.amdhsa_user_sgpr_queue_ptr 0
		.amdhsa_user_sgpr_kernarg_segment_ptr 1
		.amdhsa_user_sgpr_dispatch_id 0
		.amdhsa_user_sgpr_flat_scratch_init 0
		.amdhsa_user_sgpr_kernarg_preload_length 0
		.amdhsa_user_sgpr_kernarg_preload_offset 0
		.amdhsa_user_sgpr_private_segment_size 0
		.amdhsa_uses_dynamic_stack 0
		.amdhsa_system_sgpr_private_segment_wavefront_offset 0
		.amdhsa_system_sgpr_workgroup_id_x 1
		.amdhsa_system_sgpr_workgroup_id_y 0
		.amdhsa_system_sgpr_workgroup_id_z 0
		.amdhsa_system_sgpr_workgroup_info 0
		.amdhsa_system_vgpr_workitem_id 0
		.amdhsa_next_free_vgpr 1
		.amdhsa_next_free_sgpr 0
		.amdhsa_accum_offset 4
		.amdhsa_reserve_vcc 0
		.amdhsa_reserve_flat_scratch 0
		.amdhsa_float_round_mode_32 0
		.amdhsa_float_round_mode_16_64 0
		.amdhsa_float_denorm_mode_32 3
		.amdhsa_float_denorm_mode_16_64 3
		.amdhsa_dx10_clamp 1
		.amdhsa_ieee_mode 1
		.amdhsa_fp16_overflow 0
		.amdhsa_tg_split 0
		.amdhsa_exception_fp_ieee_invalid_op 0
		.amdhsa_exception_fp_denorm_src 0
		.amdhsa_exception_fp_ieee_div_zero 0
		.amdhsa_exception_fp_ieee_overflow 0
		.amdhsa_exception_fp_ieee_underflow 0
		.amdhsa_exception_fp_ieee_inexact 0
		.amdhsa_exception_int_div_zero 0
	.end_amdhsa_kernel
	.section	.text._ZN7rocprim17ROCPRIM_400000_NS6detail17trampoline_kernelINS0_14default_configENS1_20scan_config_selectorIiEEZZNS1_9scan_implILNS1_25lookback_scan_determinismE0ELb1ELb1ES3_N6thrust23THRUST_200600_302600_NS6detail15normal_iteratorINS9_10device_ptrIiEEEESE_i11max_functorIiEiEEDaPvRmT3_T4_T5_mT6_P12ihipStream_tbENKUlT_T0_E_clISt17integral_constantIbLb1EESU_EEDaSP_SQ_EUlSP_E0_NS1_11comp_targetILNS1_3genE3ELNS1_11target_archE908ELNS1_3gpuE7ELNS1_3repE0EEENS1_30default_config_static_selectorELNS0_4arch9wavefront6targetE1EEEvT1_,"axG",@progbits,_ZN7rocprim17ROCPRIM_400000_NS6detail17trampoline_kernelINS0_14default_configENS1_20scan_config_selectorIiEEZZNS1_9scan_implILNS1_25lookback_scan_determinismE0ELb1ELb1ES3_N6thrust23THRUST_200600_302600_NS6detail15normal_iteratorINS9_10device_ptrIiEEEESE_i11max_functorIiEiEEDaPvRmT3_T4_T5_mT6_P12ihipStream_tbENKUlT_T0_E_clISt17integral_constantIbLb1EESU_EEDaSP_SQ_EUlSP_E0_NS1_11comp_targetILNS1_3genE3ELNS1_11target_archE908ELNS1_3gpuE7ELNS1_3repE0EEENS1_30default_config_static_selectorELNS0_4arch9wavefront6targetE1EEEvT1_,comdat
.Lfunc_end2804:
	.size	_ZN7rocprim17ROCPRIM_400000_NS6detail17trampoline_kernelINS0_14default_configENS1_20scan_config_selectorIiEEZZNS1_9scan_implILNS1_25lookback_scan_determinismE0ELb1ELb1ES3_N6thrust23THRUST_200600_302600_NS6detail15normal_iteratorINS9_10device_ptrIiEEEESE_i11max_functorIiEiEEDaPvRmT3_T4_T5_mT6_P12ihipStream_tbENKUlT_T0_E_clISt17integral_constantIbLb1EESU_EEDaSP_SQ_EUlSP_E0_NS1_11comp_targetILNS1_3genE3ELNS1_11target_archE908ELNS1_3gpuE7ELNS1_3repE0EEENS1_30default_config_static_selectorELNS0_4arch9wavefront6targetE1EEEvT1_, .Lfunc_end2804-_ZN7rocprim17ROCPRIM_400000_NS6detail17trampoline_kernelINS0_14default_configENS1_20scan_config_selectorIiEEZZNS1_9scan_implILNS1_25lookback_scan_determinismE0ELb1ELb1ES3_N6thrust23THRUST_200600_302600_NS6detail15normal_iteratorINS9_10device_ptrIiEEEESE_i11max_functorIiEiEEDaPvRmT3_T4_T5_mT6_P12ihipStream_tbENKUlT_T0_E_clISt17integral_constantIbLb1EESU_EEDaSP_SQ_EUlSP_E0_NS1_11comp_targetILNS1_3genE3ELNS1_11target_archE908ELNS1_3gpuE7ELNS1_3repE0EEENS1_30default_config_static_selectorELNS0_4arch9wavefront6targetE1EEEvT1_
                                        ; -- End function
	.section	.AMDGPU.csdata,"",@progbits
; Kernel info:
; codeLenInByte = 0
; NumSgprs: 4
; NumVgprs: 0
; NumAgprs: 0
; TotalNumVgprs: 0
; ScratchSize: 0
; MemoryBound: 0
; FloatMode: 240
; IeeeMode: 1
; LDSByteSize: 0 bytes/workgroup (compile time only)
; SGPRBlocks: 0
; VGPRBlocks: 0
; NumSGPRsForWavesPerEU: 4
; NumVGPRsForWavesPerEU: 1
; AccumOffset: 4
; Occupancy: 8
; WaveLimiterHint : 0
; COMPUTE_PGM_RSRC2:SCRATCH_EN: 0
; COMPUTE_PGM_RSRC2:USER_SGPR: 6
; COMPUTE_PGM_RSRC2:TRAP_HANDLER: 0
; COMPUTE_PGM_RSRC2:TGID_X_EN: 1
; COMPUTE_PGM_RSRC2:TGID_Y_EN: 0
; COMPUTE_PGM_RSRC2:TGID_Z_EN: 0
; COMPUTE_PGM_RSRC2:TIDIG_COMP_CNT: 0
; COMPUTE_PGM_RSRC3_GFX90A:ACCUM_OFFSET: 0
; COMPUTE_PGM_RSRC3_GFX90A:TG_SPLIT: 0
	.section	.text._ZN7rocprim17ROCPRIM_400000_NS6detail17trampoline_kernelINS0_14default_configENS1_20scan_config_selectorIiEEZZNS1_9scan_implILNS1_25lookback_scan_determinismE0ELb1ELb1ES3_N6thrust23THRUST_200600_302600_NS6detail15normal_iteratorINS9_10device_ptrIiEEEESE_i11max_functorIiEiEEDaPvRmT3_T4_T5_mT6_P12ihipStream_tbENKUlT_T0_E_clISt17integral_constantIbLb1EESU_EEDaSP_SQ_EUlSP_E0_NS1_11comp_targetILNS1_3genE2ELNS1_11target_archE906ELNS1_3gpuE6ELNS1_3repE0EEENS1_30default_config_static_selectorELNS0_4arch9wavefront6targetE1EEEvT1_,"axG",@progbits,_ZN7rocprim17ROCPRIM_400000_NS6detail17trampoline_kernelINS0_14default_configENS1_20scan_config_selectorIiEEZZNS1_9scan_implILNS1_25lookback_scan_determinismE0ELb1ELb1ES3_N6thrust23THRUST_200600_302600_NS6detail15normal_iteratorINS9_10device_ptrIiEEEESE_i11max_functorIiEiEEDaPvRmT3_T4_T5_mT6_P12ihipStream_tbENKUlT_T0_E_clISt17integral_constantIbLb1EESU_EEDaSP_SQ_EUlSP_E0_NS1_11comp_targetILNS1_3genE2ELNS1_11target_archE906ELNS1_3gpuE6ELNS1_3repE0EEENS1_30default_config_static_selectorELNS0_4arch9wavefront6targetE1EEEvT1_,comdat
	.protected	_ZN7rocprim17ROCPRIM_400000_NS6detail17trampoline_kernelINS0_14default_configENS1_20scan_config_selectorIiEEZZNS1_9scan_implILNS1_25lookback_scan_determinismE0ELb1ELb1ES3_N6thrust23THRUST_200600_302600_NS6detail15normal_iteratorINS9_10device_ptrIiEEEESE_i11max_functorIiEiEEDaPvRmT3_T4_T5_mT6_P12ihipStream_tbENKUlT_T0_E_clISt17integral_constantIbLb1EESU_EEDaSP_SQ_EUlSP_E0_NS1_11comp_targetILNS1_3genE2ELNS1_11target_archE906ELNS1_3gpuE6ELNS1_3repE0EEENS1_30default_config_static_selectorELNS0_4arch9wavefront6targetE1EEEvT1_ ; -- Begin function _ZN7rocprim17ROCPRIM_400000_NS6detail17trampoline_kernelINS0_14default_configENS1_20scan_config_selectorIiEEZZNS1_9scan_implILNS1_25lookback_scan_determinismE0ELb1ELb1ES3_N6thrust23THRUST_200600_302600_NS6detail15normal_iteratorINS9_10device_ptrIiEEEESE_i11max_functorIiEiEEDaPvRmT3_T4_T5_mT6_P12ihipStream_tbENKUlT_T0_E_clISt17integral_constantIbLb1EESU_EEDaSP_SQ_EUlSP_E0_NS1_11comp_targetILNS1_3genE2ELNS1_11target_archE906ELNS1_3gpuE6ELNS1_3repE0EEENS1_30default_config_static_selectorELNS0_4arch9wavefront6targetE1EEEvT1_
	.globl	_ZN7rocprim17ROCPRIM_400000_NS6detail17trampoline_kernelINS0_14default_configENS1_20scan_config_selectorIiEEZZNS1_9scan_implILNS1_25lookback_scan_determinismE0ELb1ELb1ES3_N6thrust23THRUST_200600_302600_NS6detail15normal_iteratorINS9_10device_ptrIiEEEESE_i11max_functorIiEiEEDaPvRmT3_T4_T5_mT6_P12ihipStream_tbENKUlT_T0_E_clISt17integral_constantIbLb1EESU_EEDaSP_SQ_EUlSP_E0_NS1_11comp_targetILNS1_3genE2ELNS1_11target_archE906ELNS1_3gpuE6ELNS1_3repE0EEENS1_30default_config_static_selectorELNS0_4arch9wavefront6targetE1EEEvT1_
	.p2align	8
	.type	_ZN7rocprim17ROCPRIM_400000_NS6detail17trampoline_kernelINS0_14default_configENS1_20scan_config_selectorIiEEZZNS1_9scan_implILNS1_25lookback_scan_determinismE0ELb1ELb1ES3_N6thrust23THRUST_200600_302600_NS6detail15normal_iteratorINS9_10device_ptrIiEEEESE_i11max_functorIiEiEEDaPvRmT3_T4_T5_mT6_P12ihipStream_tbENKUlT_T0_E_clISt17integral_constantIbLb1EESU_EEDaSP_SQ_EUlSP_E0_NS1_11comp_targetILNS1_3genE2ELNS1_11target_archE906ELNS1_3gpuE6ELNS1_3repE0EEENS1_30default_config_static_selectorELNS0_4arch9wavefront6targetE1EEEvT1_,@function
_ZN7rocprim17ROCPRIM_400000_NS6detail17trampoline_kernelINS0_14default_configENS1_20scan_config_selectorIiEEZZNS1_9scan_implILNS1_25lookback_scan_determinismE0ELb1ELb1ES3_N6thrust23THRUST_200600_302600_NS6detail15normal_iteratorINS9_10device_ptrIiEEEESE_i11max_functorIiEiEEDaPvRmT3_T4_T5_mT6_P12ihipStream_tbENKUlT_T0_E_clISt17integral_constantIbLb1EESU_EEDaSP_SQ_EUlSP_E0_NS1_11comp_targetILNS1_3genE2ELNS1_11target_archE906ELNS1_3gpuE6ELNS1_3repE0EEENS1_30default_config_static_selectorELNS0_4arch9wavefront6targetE1EEEvT1_: ; @_ZN7rocprim17ROCPRIM_400000_NS6detail17trampoline_kernelINS0_14default_configENS1_20scan_config_selectorIiEEZZNS1_9scan_implILNS1_25lookback_scan_determinismE0ELb1ELb1ES3_N6thrust23THRUST_200600_302600_NS6detail15normal_iteratorINS9_10device_ptrIiEEEESE_i11max_functorIiEiEEDaPvRmT3_T4_T5_mT6_P12ihipStream_tbENKUlT_T0_E_clISt17integral_constantIbLb1EESU_EEDaSP_SQ_EUlSP_E0_NS1_11comp_targetILNS1_3genE2ELNS1_11target_archE906ELNS1_3gpuE6ELNS1_3repE0EEENS1_30default_config_static_selectorELNS0_4arch9wavefront6targetE1EEEvT1_
; %bb.0:
	.section	.rodata,"a",@progbits
	.p2align	6, 0x0
	.amdhsa_kernel _ZN7rocprim17ROCPRIM_400000_NS6detail17trampoline_kernelINS0_14default_configENS1_20scan_config_selectorIiEEZZNS1_9scan_implILNS1_25lookback_scan_determinismE0ELb1ELb1ES3_N6thrust23THRUST_200600_302600_NS6detail15normal_iteratorINS9_10device_ptrIiEEEESE_i11max_functorIiEiEEDaPvRmT3_T4_T5_mT6_P12ihipStream_tbENKUlT_T0_E_clISt17integral_constantIbLb1EESU_EEDaSP_SQ_EUlSP_E0_NS1_11comp_targetILNS1_3genE2ELNS1_11target_archE906ELNS1_3gpuE6ELNS1_3repE0EEENS1_30default_config_static_selectorELNS0_4arch9wavefront6targetE1EEEvT1_
		.amdhsa_group_segment_fixed_size 0
		.amdhsa_private_segment_fixed_size 0
		.amdhsa_kernarg_size 32
		.amdhsa_user_sgpr_count 6
		.amdhsa_user_sgpr_private_segment_buffer 1
		.amdhsa_user_sgpr_dispatch_ptr 0
		.amdhsa_user_sgpr_queue_ptr 0
		.amdhsa_user_sgpr_kernarg_segment_ptr 1
		.amdhsa_user_sgpr_dispatch_id 0
		.amdhsa_user_sgpr_flat_scratch_init 0
		.amdhsa_user_sgpr_kernarg_preload_length 0
		.amdhsa_user_sgpr_kernarg_preload_offset 0
		.amdhsa_user_sgpr_private_segment_size 0
		.amdhsa_uses_dynamic_stack 0
		.amdhsa_system_sgpr_private_segment_wavefront_offset 0
		.amdhsa_system_sgpr_workgroup_id_x 1
		.amdhsa_system_sgpr_workgroup_id_y 0
		.amdhsa_system_sgpr_workgroup_id_z 0
		.amdhsa_system_sgpr_workgroup_info 0
		.amdhsa_system_vgpr_workitem_id 0
		.amdhsa_next_free_vgpr 1
		.amdhsa_next_free_sgpr 0
		.amdhsa_accum_offset 4
		.amdhsa_reserve_vcc 0
		.amdhsa_reserve_flat_scratch 0
		.amdhsa_float_round_mode_32 0
		.amdhsa_float_round_mode_16_64 0
		.amdhsa_float_denorm_mode_32 3
		.amdhsa_float_denorm_mode_16_64 3
		.amdhsa_dx10_clamp 1
		.amdhsa_ieee_mode 1
		.amdhsa_fp16_overflow 0
		.amdhsa_tg_split 0
		.amdhsa_exception_fp_ieee_invalid_op 0
		.amdhsa_exception_fp_denorm_src 0
		.amdhsa_exception_fp_ieee_div_zero 0
		.amdhsa_exception_fp_ieee_overflow 0
		.amdhsa_exception_fp_ieee_underflow 0
		.amdhsa_exception_fp_ieee_inexact 0
		.amdhsa_exception_int_div_zero 0
	.end_amdhsa_kernel
	.section	.text._ZN7rocprim17ROCPRIM_400000_NS6detail17trampoline_kernelINS0_14default_configENS1_20scan_config_selectorIiEEZZNS1_9scan_implILNS1_25lookback_scan_determinismE0ELb1ELb1ES3_N6thrust23THRUST_200600_302600_NS6detail15normal_iteratorINS9_10device_ptrIiEEEESE_i11max_functorIiEiEEDaPvRmT3_T4_T5_mT6_P12ihipStream_tbENKUlT_T0_E_clISt17integral_constantIbLb1EESU_EEDaSP_SQ_EUlSP_E0_NS1_11comp_targetILNS1_3genE2ELNS1_11target_archE906ELNS1_3gpuE6ELNS1_3repE0EEENS1_30default_config_static_selectorELNS0_4arch9wavefront6targetE1EEEvT1_,"axG",@progbits,_ZN7rocprim17ROCPRIM_400000_NS6detail17trampoline_kernelINS0_14default_configENS1_20scan_config_selectorIiEEZZNS1_9scan_implILNS1_25lookback_scan_determinismE0ELb1ELb1ES3_N6thrust23THRUST_200600_302600_NS6detail15normal_iteratorINS9_10device_ptrIiEEEESE_i11max_functorIiEiEEDaPvRmT3_T4_T5_mT6_P12ihipStream_tbENKUlT_T0_E_clISt17integral_constantIbLb1EESU_EEDaSP_SQ_EUlSP_E0_NS1_11comp_targetILNS1_3genE2ELNS1_11target_archE906ELNS1_3gpuE6ELNS1_3repE0EEENS1_30default_config_static_selectorELNS0_4arch9wavefront6targetE1EEEvT1_,comdat
.Lfunc_end2805:
	.size	_ZN7rocprim17ROCPRIM_400000_NS6detail17trampoline_kernelINS0_14default_configENS1_20scan_config_selectorIiEEZZNS1_9scan_implILNS1_25lookback_scan_determinismE0ELb1ELb1ES3_N6thrust23THRUST_200600_302600_NS6detail15normal_iteratorINS9_10device_ptrIiEEEESE_i11max_functorIiEiEEDaPvRmT3_T4_T5_mT6_P12ihipStream_tbENKUlT_T0_E_clISt17integral_constantIbLb1EESU_EEDaSP_SQ_EUlSP_E0_NS1_11comp_targetILNS1_3genE2ELNS1_11target_archE906ELNS1_3gpuE6ELNS1_3repE0EEENS1_30default_config_static_selectorELNS0_4arch9wavefront6targetE1EEEvT1_, .Lfunc_end2805-_ZN7rocprim17ROCPRIM_400000_NS6detail17trampoline_kernelINS0_14default_configENS1_20scan_config_selectorIiEEZZNS1_9scan_implILNS1_25lookback_scan_determinismE0ELb1ELb1ES3_N6thrust23THRUST_200600_302600_NS6detail15normal_iteratorINS9_10device_ptrIiEEEESE_i11max_functorIiEiEEDaPvRmT3_T4_T5_mT6_P12ihipStream_tbENKUlT_T0_E_clISt17integral_constantIbLb1EESU_EEDaSP_SQ_EUlSP_E0_NS1_11comp_targetILNS1_3genE2ELNS1_11target_archE906ELNS1_3gpuE6ELNS1_3repE0EEENS1_30default_config_static_selectorELNS0_4arch9wavefront6targetE1EEEvT1_
                                        ; -- End function
	.section	.AMDGPU.csdata,"",@progbits
; Kernel info:
; codeLenInByte = 0
; NumSgprs: 4
; NumVgprs: 0
; NumAgprs: 0
; TotalNumVgprs: 0
; ScratchSize: 0
; MemoryBound: 0
; FloatMode: 240
; IeeeMode: 1
; LDSByteSize: 0 bytes/workgroup (compile time only)
; SGPRBlocks: 0
; VGPRBlocks: 0
; NumSGPRsForWavesPerEU: 4
; NumVGPRsForWavesPerEU: 1
; AccumOffset: 4
; Occupancy: 8
; WaveLimiterHint : 0
; COMPUTE_PGM_RSRC2:SCRATCH_EN: 0
; COMPUTE_PGM_RSRC2:USER_SGPR: 6
; COMPUTE_PGM_RSRC2:TRAP_HANDLER: 0
; COMPUTE_PGM_RSRC2:TGID_X_EN: 1
; COMPUTE_PGM_RSRC2:TGID_Y_EN: 0
; COMPUTE_PGM_RSRC2:TGID_Z_EN: 0
; COMPUTE_PGM_RSRC2:TIDIG_COMP_CNT: 0
; COMPUTE_PGM_RSRC3_GFX90A:ACCUM_OFFSET: 0
; COMPUTE_PGM_RSRC3_GFX90A:TG_SPLIT: 0
	.section	.text._ZN7rocprim17ROCPRIM_400000_NS6detail17trampoline_kernelINS0_14default_configENS1_20scan_config_selectorIiEEZZNS1_9scan_implILNS1_25lookback_scan_determinismE0ELb1ELb1ES3_N6thrust23THRUST_200600_302600_NS6detail15normal_iteratorINS9_10device_ptrIiEEEESE_i11max_functorIiEiEEDaPvRmT3_T4_T5_mT6_P12ihipStream_tbENKUlT_T0_E_clISt17integral_constantIbLb1EESU_EEDaSP_SQ_EUlSP_E0_NS1_11comp_targetILNS1_3genE10ELNS1_11target_archE1201ELNS1_3gpuE5ELNS1_3repE0EEENS1_30default_config_static_selectorELNS0_4arch9wavefront6targetE1EEEvT1_,"axG",@progbits,_ZN7rocprim17ROCPRIM_400000_NS6detail17trampoline_kernelINS0_14default_configENS1_20scan_config_selectorIiEEZZNS1_9scan_implILNS1_25lookback_scan_determinismE0ELb1ELb1ES3_N6thrust23THRUST_200600_302600_NS6detail15normal_iteratorINS9_10device_ptrIiEEEESE_i11max_functorIiEiEEDaPvRmT3_T4_T5_mT6_P12ihipStream_tbENKUlT_T0_E_clISt17integral_constantIbLb1EESU_EEDaSP_SQ_EUlSP_E0_NS1_11comp_targetILNS1_3genE10ELNS1_11target_archE1201ELNS1_3gpuE5ELNS1_3repE0EEENS1_30default_config_static_selectorELNS0_4arch9wavefront6targetE1EEEvT1_,comdat
	.protected	_ZN7rocprim17ROCPRIM_400000_NS6detail17trampoline_kernelINS0_14default_configENS1_20scan_config_selectorIiEEZZNS1_9scan_implILNS1_25lookback_scan_determinismE0ELb1ELb1ES3_N6thrust23THRUST_200600_302600_NS6detail15normal_iteratorINS9_10device_ptrIiEEEESE_i11max_functorIiEiEEDaPvRmT3_T4_T5_mT6_P12ihipStream_tbENKUlT_T0_E_clISt17integral_constantIbLb1EESU_EEDaSP_SQ_EUlSP_E0_NS1_11comp_targetILNS1_3genE10ELNS1_11target_archE1201ELNS1_3gpuE5ELNS1_3repE0EEENS1_30default_config_static_selectorELNS0_4arch9wavefront6targetE1EEEvT1_ ; -- Begin function _ZN7rocprim17ROCPRIM_400000_NS6detail17trampoline_kernelINS0_14default_configENS1_20scan_config_selectorIiEEZZNS1_9scan_implILNS1_25lookback_scan_determinismE0ELb1ELb1ES3_N6thrust23THRUST_200600_302600_NS6detail15normal_iteratorINS9_10device_ptrIiEEEESE_i11max_functorIiEiEEDaPvRmT3_T4_T5_mT6_P12ihipStream_tbENKUlT_T0_E_clISt17integral_constantIbLb1EESU_EEDaSP_SQ_EUlSP_E0_NS1_11comp_targetILNS1_3genE10ELNS1_11target_archE1201ELNS1_3gpuE5ELNS1_3repE0EEENS1_30default_config_static_selectorELNS0_4arch9wavefront6targetE1EEEvT1_
	.globl	_ZN7rocprim17ROCPRIM_400000_NS6detail17trampoline_kernelINS0_14default_configENS1_20scan_config_selectorIiEEZZNS1_9scan_implILNS1_25lookback_scan_determinismE0ELb1ELb1ES3_N6thrust23THRUST_200600_302600_NS6detail15normal_iteratorINS9_10device_ptrIiEEEESE_i11max_functorIiEiEEDaPvRmT3_T4_T5_mT6_P12ihipStream_tbENKUlT_T0_E_clISt17integral_constantIbLb1EESU_EEDaSP_SQ_EUlSP_E0_NS1_11comp_targetILNS1_3genE10ELNS1_11target_archE1201ELNS1_3gpuE5ELNS1_3repE0EEENS1_30default_config_static_selectorELNS0_4arch9wavefront6targetE1EEEvT1_
	.p2align	8
	.type	_ZN7rocprim17ROCPRIM_400000_NS6detail17trampoline_kernelINS0_14default_configENS1_20scan_config_selectorIiEEZZNS1_9scan_implILNS1_25lookback_scan_determinismE0ELb1ELb1ES3_N6thrust23THRUST_200600_302600_NS6detail15normal_iteratorINS9_10device_ptrIiEEEESE_i11max_functorIiEiEEDaPvRmT3_T4_T5_mT6_P12ihipStream_tbENKUlT_T0_E_clISt17integral_constantIbLb1EESU_EEDaSP_SQ_EUlSP_E0_NS1_11comp_targetILNS1_3genE10ELNS1_11target_archE1201ELNS1_3gpuE5ELNS1_3repE0EEENS1_30default_config_static_selectorELNS0_4arch9wavefront6targetE1EEEvT1_,@function
_ZN7rocprim17ROCPRIM_400000_NS6detail17trampoline_kernelINS0_14default_configENS1_20scan_config_selectorIiEEZZNS1_9scan_implILNS1_25lookback_scan_determinismE0ELb1ELb1ES3_N6thrust23THRUST_200600_302600_NS6detail15normal_iteratorINS9_10device_ptrIiEEEESE_i11max_functorIiEiEEDaPvRmT3_T4_T5_mT6_P12ihipStream_tbENKUlT_T0_E_clISt17integral_constantIbLb1EESU_EEDaSP_SQ_EUlSP_E0_NS1_11comp_targetILNS1_3genE10ELNS1_11target_archE1201ELNS1_3gpuE5ELNS1_3repE0EEENS1_30default_config_static_selectorELNS0_4arch9wavefront6targetE1EEEvT1_: ; @_ZN7rocprim17ROCPRIM_400000_NS6detail17trampoline_kernelINS0_14default_configENS1_20scan_config_selectorIiEEZZNS1_9scan_implILNS1_25lookback_scan_determinismE0ELb1ELb1ES3_N6thrust23THRUST_200600_302600_NS6detail15normal_iteratorINS9_10device_ptrIiEEEESE_i11max_functorIiEiEEDaPvRmT3_T4_T5_mT6_P12ihipStream_tbENKUlT_T0_E_clISt17integral_constantIbLb1EESU_EEDaSP_SQ_EUlSP_E0_NS1_11comp_targetILNS1_3genE10ELNS1_11target_archE1201ELNS1_3gpuE5ELNS1_3repE0EEENS1_30default_config_static_selectorELNS0_4arch9wavefront6targetE1EEEvT1_
; %bb.0:
	.section	.rodata,"a",@progbits
	.p2align	6, 0x0
	.amdhsa_kernel _ZN7rocprim17ROCPRIM_400000_NS6detail17trampoline_kernelINS0_14default_configENS1_20scan_config_selectorIiEEZZNS1_9scan_implILNS1_25lookback_scan_determinismE0ELb1ELb1ES3_N6thrust23THRUST_200600_302600_NS6detail15normal_iteratorINS9_10device_ptrIiEEEESE_i11max_functorIiEiEEDaPvRmT3_T4_T5_mT6_P12ihipStream_tbENKUlT_T0_E_clISt17integral_constantIbLb1EESU_EEDaSP_SQ_EUlSP_E0_NS1_11comp_targetILNS1_3genE10ELNS1_11target_archE1201ELNS1_3gpuE5ELNS1_3repE0EEENS1_30default_config_static_selectorELNS0_4arch9wavefront6targetE1EEEvT1_
		.amdhsa_group_segment_fixed_size 0
		.amdhsa_private_segment_fixed_size 0
		.amdhsa_kernarg_size 32
		.amdhsa_user_sgpr_count 6
		.amdhsa_user_sgpr_private_segment_buffer 1
		.amdhsa_user_sgpr_dispatch_ptr 0
		.amdhsa_user_sgpr_queue_ptr 0
		.amdhsa_user_sgpr_kernarg_segment_ptr 1
		.amdhsa_user_sgpr_dispatch_id 0
		.amdhsa_user_sgpr_flat_scratch_init 0
		.amdhsa_user_sgpr_kernarg_preload_length 0
		.amdhsa_user_sgpr_kernarg_preload_offset 0
		.amdhsa_user_sgpr_private_segment_size 0
		.amdhsa_uses_dynamic_stack 0
		.amdhsa_system_sgpr_private_segment_wavefront_offset 0
		.amdhsa_system_sgpr_workgroup_id_x 1
		.amdhsa_system_sgpr_workgroup_id_y 0
		.amdhsa_system_sgpr_workgroup_id_z 0
		.amdhsa_system_sgpr_workgroup_info 0
		.amdhsa_system_vgpr_workitem_id 0
		.amdhsa_next_free_vgpr 1
		.amdhsa_next_free_sgpr 0
		.amdhsa_accum_offset 4
		.amdhsa_reserve_vcc 0
		.amdhsa_reserve_flat_scratch 0
		.amdhsa_float_round_mode_32 0
		.amdhsa_float_round_mode_16_64 0
		.amdhsa_float_denorm_mode_32 3
		.amdhsa_float_denorm_mode_16_64 3
		.amdhsa_dx10_clamp 1
		.amdhsa_ieee_mode 1
		.amdhsa_fp16_overflow 0
		.amdhsa_tg_split 0
		.amdhsa_exception_fp_ieee_invalid_op 0
		.amdhsa_exception_fp_denorm_src 0
		.amdhsa_exception_fp_ieee_div_zero 0
		.amdhsa_exception_fp_ieee_overflow 0
		.amdhsa_exception_fp_ieee_underflow 0
		.amdhsa_exception_fp_ieee_inexact 0
		.amdhsa_exception_int_div_zero 0
	.end_amdhsa_kernel
	.section	.text._ZN7rocprim17ROCPRIM_400000_NS6detail17trampoline_kernelINS0_14default_configENS1_20scan_config_selectorIiEEZZNS1_9scan_implILNS1_25lookback_scan_determinismE0ELb1ELb1ES3_N6thrust23THRUST_200600_302600_NS6detail15normal_iteratorINS9_10device_ptrIiEEEESE_i11max_functorIiEiEEDaPvRmT3_T4_T5_mT6_P12ihipStream_tbENKUlT_T0_E_clISt17integral_constantIbLb1EESU_EEDaSP_SQ_EUlSP_E0_NS1_11comp_targetILNS1_3genE10ELNS1_11target_archE1201ELNS1_3gpuE5ELNS1_3repE0EEENS1_30default_config_static_selectorELNS0_4arch9wavefront6targetE1EEEvT1_,"axG",@progbits,_ZN7rocprim17ROCPRIM_400000_NS6detail17trampoline_kernelINS0_14default_configENS1_20scan_config_selectorIiEEZZNS1_9scan_implILNS1_25lookback_scan_determinismE0ELb1ELb1ES3_N6thrust23THRUST_200600_302600_NS6detail15normal_iteratorINS9_10device_ptrIiEEEESE_i11max_functorIiEiEEDaPvRmT3_T4_T5_mT6_P12ihipStream_tbENKUlT_T0_E_clISt17integral_constantIbLb1EESU_EEDaSP_SQ_EUlSP_E0_NS1_11comp_targetILNS1_3genE10ELNS1_11target_archE1201ELNS1_3gpuE5ELNS1_3repE0EEENS1_30default_config_static_selectorELNS0_4arch9wavefront6targetE1EEEvT1_,comdat
.Lfunc_end2806:
	.size	_ZN7rocprim17ROCPRIM_400000_NS6detail17trampoline_kernelINS0_14default_configENS1_20scan_config_selectorIiEEZZNS1_9scan_implILNS1_25lookback_scan_determinismE0ELb1ELb1ES3_N6thrust23THRUST_200600_302600_NS6detail15normal_iteratorINS9_10device_ptrIiEEEESE_i11max_functorIiEiEEDaPvRmT3_T4_T5_mT6_P12ihipStream_tbENKUlT_T0_E_clISt17integral_constantIbLb1EESU_EEDaSP_SQ_EUlSP_E0_NS1_11comp_targetILNS1_3genE10ELNS1_11target_archE1201ELNS1_3gpuE5ELNS1_3repE0EEENS1_30default_config_static_selectorELNS0_4arch9wavefront6targetE1EEEvT1_, .Lfunc_end2806-_ZN7rocprim17ROCPRIM_400000_NS6detail17trampoline_kernelINS0_14default_configENS1_20scan_config_selectorIiEEZZNS1_9scan_implILNS1_25lookback_scan_determinismE0ELb1ELb1ES3_N6thrust23THRUST_200600_302600_NS6detail15normal_iteratorINS9_10device_ptrIiEEEESE_i11max_functorIiEiEEDaPvRmT3_T4_T5_mT6_P12ihipStream_tbENKUlT_T0_E_clISt17integral_constantIbLb1EESU_EEDaSP_SQ_EUlSP_E0_NS1_11comp_targetILNS1_3genE10ELNS1_11target_archE1201ELNS1_3gpuE5ELNS1_3repE0EEENS1_30default_config_static_selectorELNS0_4arch9wavefront6targetE1EEEvT1_
                                        ; -- End function
	.section	.AMDGPU.csdata,"",@progbits
; Kernel info:
; codeLenInByte = 0
; NumSgprs: 4
; NumVgprs: 0
; NumAgprs: 0
; TotalNumVgprs: 0
; ScratchSize: 0
; MemoryBound: 0
; FloatMode: 240
; IeeeMode: 1
; LDSByteSize: 0 bytes/workgroup (compile time only)
; SGPRBlocks: 0
; VGPRBlocks: 0
; NumSGPRsForWavesPerEU: 4
; NumVGPRsForWavesPerEU: 1
; AccumOffset: 4
; Occupancy: 8
; WaveLimiterHint : 0
; COMPUTE_PGM_RSRC2:SCRATCH_EN: 0
; COMPUTE_PGM_RSRC2:USER_SGPR: 6
; COMPUTE_PGM_RSRC2:TRAP_HANDLER: 0
; COMPUTE_PGM_RSRC2:TGID_X_EN: 1
; COMPUTE_PGM_RSRC2:TGID_Y_EN: 0
; COMPUTE_PGM_RSRC2:TGID_Z_EN: 0
; COMPUTE_PGM_RSRC2:TIDIG_COMP_CNT: 0
; COMPUTE_PGM_RSRC3_GFX90A:ACCUM_OFFSET: 0
; COMPUTE_PGM_RSRC3_GFX90A:TG_SPLIT: 0
	.section	.text._ZN7rocprim17ROCPRIM_400000_NS6detail17trampoline_kernelINS0_14default_configENS1_20scan_config_selectorIiEEZZNS1_9scan_implILNS1_25lookback_scan_determinismE0ELb1ELb1ES3_N6thrust23THRUST_200600_302600_NS6detail15normal_iteratorINS9_10device_ptrIiEEEESE_i11max_functorIiEiEEDaPvRmT3_T4_T5_mT6_P12ihipStream_tbENKUlT_T0_E_clISt17integral_constantIbLb1EESU_EEDaSP_SQ_EUlSP_E0_NS1_11comp_targetILNS1_3genE10ELNS1_11target_archE1200ELNS1_3gpuE4ELNS1_3repE0EEENS1_30default_config_static_selectorELNS0_4arch9wavefront6targetE1EEEvT1_,"axG",@progbits,_ZN7rocprim17ROCPRIM_400000_NS6detail17trampoline_kernelINS0_14default_configENS1_20scan_config_selectorIiEEZZNS1_9scan_implILNS1_25lookback_scan_determinismE0ELb1ELb1ES3_N6thrust23THRUST_200600_302600_NS6detail15normal_iteratorINS9_10device_ptrIiEEEESE_i11max_functorIiEiEEDaPvRmT3_T4_T5_mT6_P12ihipStream_tbENKUlT_T0_E_clISt17integral_constantIbLb1EESU_EEDaSP_SQ_EUlSP_E0_NS1_11comp_targetILNS1_3genE10ELNS1_11target_archE1200ELNS1_3gpuE4ELNS1_3repE0EEENS1_30default_config_static_selectorELNS0_4arch9wavefront6targetE1EEEvT1_,comdat
	.protected	_ZN7rocprim17ROCPRIM_400000_NS6detail17trampoline_kernelINS0_14default_configENS1_20scan_config_selectorIiEEZZNS1_9scan_implILNS1_25lookback_scan_determinismE0ELb1ELb1ES3_N6thrust23THRUST_200600_302600_NS6detail15normal_iteratorINS9_10device_ptrIiEEEESE_i11max_functorIiEiEEDaPvRmT3_T4_T5_mT6_P12ihipStream_tbENKUlT_T0_E_clISt17integral_constantIbLb1EESU_EEDaSP_SQ_EUlSP_E0_NS1_11comp_targetILNS1_3genE10ELNS1_11target_archE1200ELNS1_3gpuE4ELNS1_3repE0EEENS1_30default_config_static_selectorELNS0_4arch9wavefront6targetE1EEEvT1_ ; -- Begin function _ZN7rocprim17ROCPRIM_400000_NS6detail17trampoline_kernelINS0_14default_configENS1_20scan_config_selectorIiEEZZNS1_9scan_implILNS1_25lookback_scan_determinismE0ELb1ELb1ES3_N6thrust23THRUST_200600_302600_NS6detail15normal_iteratorINS9_10device_ptrIiEEEESE_i11max_functorIiEiEEDaPvRmT3_T4_T5_mT6_P12ihipStream_tbENKUlT_T0_E_clISt17integral_constantIbLb1EESU_EEDaSP_SQ_EUlSP_E0_NS1_11comp_targetILNS1_3genE10ELNS1_11target_archE1200ELNS1_3gpuE4ELNS1_3repE0EEENS1_30default_config_static_selectorELNS0_4arch9wavefront6targetE1EEEvT1_
	.globl	_ZN7rocprim17ROCPRIM_400000_NS6detail17trampoline_kernelINS0_14default_configENS1_20scan_config_selectorIiEEZZNS1_9scan_implILNS1_25lookback_scan_determinismE0ELb1ELb1ES3_N6thrust23THRUST_200600_302600_NS6detail15normal_iteratorINS9_10device_ptrIiEEEESE_i11max_functorIiEiEEDaPvRmT3_T4_T5_mT6_P12ihipStream_tbENKUlT_T0_E_clISt17integral_constantIbLb1EESU_EEDaSP_SQ_EUlSP_E0_NS1_11comp_targetILNS1_3genE10ELNS1_11target_archE1200ELNS1_3gpuE4ELNS1_3repE0EEENS1_30default_config_static_selectorELNS0_4arch9wavefront6targetE1EEEvT1_
	.p2align	8
	.type	_ZN7rocprim17ROCPRIM_400000_NS6detail17trampoline_kernelINS0_14default_configENS1_20scan_config_selectorIiEEZZNS1_9scan_implILNS1_25lookback_scan_determinismE0ELb1ELb1ES3_N6thrust23THRUST_200600_302600_NS6detail15normal_iteratorINS9_10device_ptrIiEEEESE_i11max_functorIiEiEEDaPvRmT3_T4_T5_mT6_P12ihipStream_tbENKUlT_T0_E_clISt17integral_constantIbLb1EESU_EEDaSP_SQ_EUlSP_E0_NS1_11comp_targetILNS1_3genE10ELNS1_11target_archE1200ELNS1_3gpuE4ELNS1_3repE0EEENS1_30default_config_static_selectorELNS0_4arch9wavefront6targetE1EEEvT1_,@function
_ZN7rocprim17ROCPRIM_400000_NS6detail17trampoline_kernelINS0_14default_configENS1_20scan_config_selectorIiEEZZNS1_9scan_implILNS1_25lookback_scan_determinismE0ELb1ELb1ES3_N6thrust23THRUST_200600_302600_NS6detail15normal_iteratorINS9_10device_ptrIiEEEESE_i11max_functorIiEiEEDaPvRmT3_T4_T5_mT6_P12ihipStream_tbENKUlT_T0_E_clISt17integral_constantIbLb1EESU_EEDaSP_SQ_EUlSP_E0_NS1_11comp_targetILNS1_3genE10ELNS1_11target_archE1200ELNS1_3gpuE4ELNS1_3repE0EEENS1_30default_config_static_selectorELNS0_4arch9wavefront6targetE1EEEvT1_: ; @_ZN7rocprim17ROCPRIM_400000_NS6detail17trampoline_kernelINS0_14default_configENS1_20scan_config_selectorIiEEZZNS1_9scan_implILNS1_25lookback_scan_determinismE0ELb1ELb1ES3_N6thrust23THRUST_200600_302600_NS6detail15normal_iteratorINS9_10device_ptrIiEEEESE_i11max_functorIiEiEEDaPvRmT3_T4_T5_mT6_P12ihipStream_tbENKUlT_T0_E_clISt17integral_constantIbLb1EESU_EEDaSP_SQ_EUlSP_E0_NS1_11comp_targetILNS1_3genE10ELNS1_11target_archE1200ELNS1_3gpuE4ELNS1_3repE0EEENS1_30default_config_static_selectorELNS0_4arch9wavefront6targetE1EEEvT1_
; %bb.0:
	.section	.rodata,"a",@progbits
	.p2align	6, 0x0
	.amdhsa_kernel _ZN7rocprim17ROCPRIM_400000_NS6detail17trampoline_kernelINS0_14default_configENS1_20scan_config_selectorIiEEZZNS1_9scan_implILNS1_25lookback_scan_determinismE0ELb1ELb1ES3_N6thrust23THRUST_200600_302600_NS6detail15normal_iteratorINS9_10device_ptrIiEEEESE_i11max_functorIiEiEEDaPvRmT3_T4_T5_mT6_P12ihipStream_tbENKUlT_T0_E_clISt17integral_constantIbLb1EESU_EEDaSP_SQ_EUlSP_E0_NS1_11comp_targetILNS1_3genE10ELNS1_11target_archE1200ELNS1_3gpuE4ELNS1_3repE0EEENS1_30default_config_static_selectorELNS0_4arch9wavefront6targetE1EEEvT1_
		.amdhsa_group_segment_fixed_size 0
		.amdhsa_private_segment_fixed_size 0
		.amdhsa_kernarg_size 32
		.amdhsa_user_sgpr_count 6
		.amdhsa_user_sgpr_private_segment_buffer 1
		.amdhsa_user_sgpr_dispatch_ptr 0
		.amdhsa_user_sgpr_queue_ptr 0
		.amdhsa_user_sgpr_kernarg_segment_ptr 1
		.amdhsa_user_sgpr_dispatch_id 0
		.amdhsa_user_sgpr_flat_scratch_init 0
		.amdhsa_user_sgpr_kernarg_preload_length 0
		.amdhsa_user_sgpr_kernarg_preload_offset 0
		.amdhsa_user_sgpr_private_segment_size 0
		.amdhsa_uses_dynamic_stack 0
		.amdhsa_system_sgpr_private_segment_wavefront_offset 0
		.amdhsa_system_sgpr_workgroup_id_x 1
		.amdhsa_system_sgpr_workgroup_id_y 0
		.amdhsa_system_sgpr_workgroup_id_z 0
		.amdhsa_system_sgpr_workgroup_info 0
		.amdhsa_system_vgpr_workitem_id 0
		.amdhsa_next_free_vgpr 1
		.amdhsa_next_free_sgpr 0
		.amdhsa_accum_offset 4
		.amdhsa_reserve_vcc 0
		.amdhsa_reserve_flat_scratch 0
		.amdhsa_float_round_mode_32 0
		.amdhsa_float_round_mode_16_64 0
		.amdhsa_float_denorm_mode_32 3
		.amdhsa_float_denorm_mode_16_64 3
		.amdhsa_dx10_clamp 1
		.amdhsa_ieee_mode 1
		.amdhsa_fp16_overflow 0
		.amdhsa_tg_split 0
		.amdhsa_exception_fp_ieee_invalid_op 0
		.amdhsa_exception_fp_denorm_src 0
		.amdhsa_exception_fp_ieee_div_zero 0
		.amdhsa_exception_fp_ieee_overflow 0
		.amdhsa_exception_fp_ieee_underflow 0
		.amdhsa_exception_fp_ieee_inexact 0
		.amdhsa_exception_int_div_zero 0
	.end_amdhsa_kernel
	.section	.text._ZN7rocprim17ROCPRIM_400000_NS6detail17trampoline_kernelINS0_14default_configENS1_20scan_config_selectorIiEEZZNS1_9scan_implILNS1_25lookback_scan_determinismE0ELb1ELb1ES3_N6thrust23THRUST_200600_302600_NS6detail15normal_iteratorINS9_10device_ptrIiEEEESE_i11max_functorIiEiEEDaPvRmT3_T4_T5_mT6_P12ihipStream_tbENKUlT_T0_E_clISt17integral_constantIbLb1EESU_EEDaSP_SQ_EUlSP_E0_NS1_11comp_targetILNS1_3genE10ELNS1_11target_archE1200ELNS1_3gpuE4ELNS1_3repE0EEENS1_30default_config_static_selectorELNS0_4arch9wavefront6targetE1EEEvT1_,"axG",@progbits,_ZN7rocprim17ROCPRIM_400000_NS6detail17trampoline_kernelINS0_14default_configENS1_20scan_config_selectorIiEEZZNS1_9scan_implILNS1_25lookback_scan_determinismE0ELb1ELb1ES3_N6thrust23THRUST_200600_302600_NS6detail15normal_iteratorINS9_10device_ptrIiEEEESE_i11max_functorIiEiEEDaPvRmT3_T4_T5_mT6_P12ihipStream_tbENKUlT_T0_E_clISt17integral_constantIbLb1EESU_EEDaSP_SQ_EUlSP_E0_NS1_11comp_targetILNS1_3genE10ELNS1_11target_archE1200ELNS1_3gpuE4ELNS1_3repE0EEENS1_30default_config_static_selectorELNS0_4arch9wavefront6targetE1EEEvT1_,comdat
.Lfunc_end2807:
	.size	_ZN7rocprim17ROCPRIM_400000_NS6detail17trampoline_kernelINS0_14default_configENS1_20scan_config_selectorIiEEZZNS1_9scan_implILNS1_25lookback_scan_determinismE0ELb1ELb1ES3_N6thrust23THRUST_200600_302600_NS6detail15normal_iteratorINS9_10device_ptrIiEEEESE_i11max_functorIiEiEEDaPvRmT3_T4_T5_mT6_P12ihipStream_tbENKUlT_T0_E_clISt17integral_constantIbLb1EESU_EEDaSP_SQ_EUlSP_E0_NS1_11comp_targetILNS1_3genE10ELNS1_11target_archE1200ELNS1_3gpuE4ELNS1_3repE0EEENS1_30default_config_static_selectorELNS0_4arch9wavefront6targetE1EEEvT1_, .Lfunc_end2807-_ZN7rocprim17ROCPRIM_400000_NS6detail17trampoline_kernelINS0_14default_configENS1_20scan_config_selectorIiEEZZNS1_9scan_implILNS1_25lookback_scan_determinismE0ELb1ELb1ES3_N6thrust23THRUST_200600_302600_NS6detail15normal_iteratorINS9_10device_ptrIiEEEESE_i11max_functorIiEiEEDaPvRmT3_T4_T5_mT6_P12ihipStream_tbENKUlT_T0_E_clISt17integral_constantIbLb1EESU_EEDaSP_SQ_EUlSP_E0_NS1_11comp_targetILNS1_3genE10ELNS1_11target_archE1200ELNS1_3gpuE4ELNS1_3repE0EEENS1_30default_config_static_selectorELNS0_4arch9wavefront6targetE1EEEvT1_
                                        ; -- End function
	.section	.AMDGPU.csdata,"",@progbits
; Kernel info:
; codeLenInByte = 0
; NumSgprs: 4
; NumVgprs: 0
; NumAgprs: 0
; TotalNumVgprs: 0
; ScratchSize: 0
; MemoryBound: 0
; FloatMode: 240
; IeeeMode: 1
; LDSByteSize: 0 bytes/workgroup (compile time only)
; SGPRBlocks: 0
; VGPRBlocks: 0
; NumSGPRsForWavesPerEU: 4
; NumVGPRsForWavesPerEU: 1
; AccumOffset: 4
; Occupancy: 8
; WaveLimiterHint : 0
; COMPUTE_PGM_RSRC2:SCRATCH_EN: 0
; COMPUTE_PGM_RSRC2:USER_SGPR: 6
; COMPUTE_PGM_RSRC2:TRAP_HANDLER: 0
; COMPUTE_PGM_RSRC2:TGID_X_EN: 1
; COMPUTE_PGM_RSRC2:TGID_Y_EN: 0
; COMPUTE_PGM_RSRC2:TGID_Z_EN: 0
; COMPUTE_PGM_RSRC2:TIDIG_COMP_CNT: 0
; COMPUTE_PGM_RSRC3_GFX90A:ACCUM_OFFSET: 0
; COMPUTE_PGM_RSRC3_GFX90A:TG_SPLIT: 0
	.section	.text._ZN7rocprim17ROCPRIM_400000_NS6detail17trampoline_kernelINS0_14default_configENS1_20scan_config_selectorIiEEZZNS1_9scan_implILNS1_25lookback_scan_determinismE0ELb1ELb1ES3_N6thrust23THRUST_200600_302600_NS6detail15normal_iteratorINS9_10device_ptrIiEEEESE_i11max_functorIiEiEEDaPvRmT3_T4_T5_mT6_P12ihipStream_tbENKUlT_T0_E_clISt17integral_constantIbLb1EESU_EEDaSP_SQ_EUlSP_E0_NS1_11comp_targetILNS1_3genE9ELNS1_11target_archE1100ELNS1_3gpuE3ELNS1_3repE0EEENS1_30default_config_static_selectorELNS0_4arch9wavefront6targetE1EEEvT1_,"axG",@progbits,_ZN7rocprim17ROCPRIM_400000_NS6detail17trampoline_kernelINS0_14default_configENS1_20scan_config_selectorIiEEZZNS1_9scan_implILNS1_25lookback_scan_determinismE0ELb1ELb1ES3_N6thrust23THRUST_200600_302600_NS6detail15normal_iteratorINS9_10device_ptrIiEEEESE_i11max_functorIiEiEEDaPvRmT3_T4_T5_mT6_P12ihipStream_tbENKUlT_T0_E_clISt17integral_constantIbLb1EESU_EEDaSP_SQ_EUlSP_E0_NS1_11comp_targetILNS1_3genE9ELNS1_11target_archE1100ELNS1_3gpuE3ELNS1_3repE0EEENS1_30default_config_static_selectorELNS0_4arch9wavefront6targetE1EEEvT1_,comdat
	.protected	_ZN7rocprim17ROCPRIM_400000_NS6detail17trampoline_kernelINS0_14default_configENS1_20scan_config_selectorIiEEZZNS1_9scan_implILNS1_25lookback_scan_determinismE0ELb1ELb1ES3_N6thrust23THRUST_200600_302600_NS6detail15normal_iteratorINS9_10device_ptrIiEEEESE_i11max_functorIiEiEEDaPvRmT3_T4_T5_mT6_P12ihipStream_tbENKUlT_T0_E_clISt17integral_constantIbLb1EESU_EEDaSP_SQ_EUlSP_E0_NS1_11comp_targetILNS1_3genE9ELNS1_11target_archE1100ELNS1_3gpuE3ELNS1_3repE0EEENS1_30default_config_static_selectorELNS0_4arch9wavefront6targetE1EEEvT1_ ; -- Begin function _ZN7rocprim17ROCPRIM_400000_NS6detail17trampoline_kernelINS0_14default_configENS1_20scan_config_selectorIiEEZZNS1_9scan_implILNS1_25lookback_scan_determinismE0ELb1ELb1ES3_N6thrust23THRUST_200600_302600_NS6detail15normal_iteratorINS9_10device_ptrIiEEEESE_i11max_functorIiEiEEDaPvRmT3_T4_T5_mT6_P12ihipStream_tbENKUlT_T0_E_clISt17integral_constantIbLb1EESU_EEDaSP_SQ_EUlSP_E0_NS1_11comp_targetILNS1_3genE9ELNS1_11target_archE1100ELNS1_3gpuE3ELNS1_3repE0EEENS1_30default_config_static_selectorELNS0_4arch9wavefront6targetE1EEEvT1_
	.globl	_ZN7rocprim17ROCPRIM_400000_NS6detail17trampoline_kernelINS0_14default_configENS1_20scan_config_selectorIiEEZZNS1_9scan_implILNS1_25lookback_scan_determinismE0ELb1ELb1ES3_N6thrust23THRUST_200600_302600_NS6detail15normal_iteratorINS9_10device_ptrIiEEEESE_i11max_functorIiEiEEDaPvRmT3_T4_T5_mT6_P12ihipStream_tbENKUlT_T0_E_clISt17integral_constantIbLb1EESU_EEDaSP_SQ_EUlSP_E0_NS1_11comp_targetILNS1_3genE9ELNS1_11target_archE1100ELNS1_3gpuE3ELNS1_3repE0EEENS1_30default_config_static_selectorELNS0_4arch9wavefront6targetE1EEEvT1_
	.p2align	8
	.type	_ZN7rocprim17ROCPRIM_400000_NS6detail17trampoline_kernelINS0_14default_configENS1_20scan_config_selectorIiEEZZNS1_9scan_implILNS1_25lookback_scan_determinismE0ELb1ELb1ES3_N6thrust23THRUST_200600_302600_NS6detail15normal_iteratorINS9_10device_ptrIiEEEESE_i11max_functorIiEiEEDaPvRmT3_T4_T5_mT6_P12ihipStream_tbENKUlT_T0_E_clISt17integral_constantIbLb1EESU_EEDaSP_SQ_EUlSP_E0_NS1_11comp_targetILNS1_3genE9ELNS1_11target_archE1100ELNS1_3gpuE3ELNS1_3repE0EEENS1_30default_config_static_selectorELNS0_4arch9wavefront6targetE1EEEvT1_,@function
_ZN7rocprim17ROCPRIM_400000_NS6detail17trampoline_kernelINS0_14default_configENS1_20scan_config_selectorIiEEZZNS1_9scan_implILNS1_25lookback_scan_determinismE0ELb1ELb1ES3_N6thrust23THRUST_200600_302600_NS6detail15normal_iteratorINS9_10device_ptrIiEEEESE_i11max_functorIiEiEEDaPvRmT3_T4_T5_mT6_P12ihipStream_tbENKUlT_T0_E_clISt17integral_constantIbLb1EESU_EEDaSP_SQ_EUlSP_E0_NS1_11comp_targetILNS1_3genE9ELNS1_11target_archE1100ELNS1_3gpuE3ELNS1_3repE0EEENS1_30default_config_static_selectorELNS0_4arch9wavefront6targetE1EEEvT1_: ; @_ZN7rocprim17ROCPRIM_400000_NS6detail17trampoline_kernelINS0_14default_configENS1_20scan_config_selectorIiEEZZNS1_9scan_implILNS1_25lookback_scan_determinismE0ELb1ELb1ES3_N6thrust23THRUST_200600_302600_NS6detail15normal_iteratorINS9_10device_ptrIiEEEESE_i11max_functorIiEiEEDaPvRmT3_T4_T5_mT6_P12ihipStream_tbENKUlT_T0_E_clISt17integral_constantIbLb1EESU_EEDaSP_SQ_EUlSP_E0_NS1_11comp_targetILNS1_3genE9ELNS1_11target_archE1100ELNS1_3gpuE3ELNS1_3repE0EEENS1_30default_config_static_selectorELNS0_4arch9wavefront6targetE1EEEvT1_
; %bb.0:
	.section	.rodata,"a",@progbits
	.p2align	6, 0x0
	.amdhsa_kernel _ZN7rocprim17ROCPRIM_400000_NS6detail17trampoline_kernelINS0_14default_configENS1_20scan_config_selectorIiEEZZNS1_9scan_implILNS1_25lookback_scan_determinismE0ELb1ELb1ES3_N6thrust23THRUST_200600_302600_NS6detail15normal_iteratorINS9_10device_ptrIiEEEESE_i11max_functorIiEiEEDaPvRmT3_T4_T5_mT6_P12ihipStream_tbENKUlT_T0_E_clISt17integral_constantIbLb1EESU_EEDaSP_SQ_EUlSP_E0_NS1_11comp_targetILNS1_3genE9ELNS1_11target_archE1100ELNS1_3gpuE3ELNS1_3repE0EEENS1_30default_config_static_selectorELNS0_4arch9wavefront6targetE1EEEvT1_
		.amdhsa_group_segment_fixed_size 0
		.amdhsa_private_segment_fixed_size 0
		.amdhsa_kernarg_size 32
		.amdhsa_user_sgpr_count 6
		.amdhsa_user_sgpr_private_segment_buffer 1
		.amdhsa_user_sgpr_dispatch_ptr 0
		.amdhsa_user_sgpr_queue_ptr 0
		.amdhsa_user_sgpr_kernarg_segment_ptr 1
		.amdhsa_user_sgpr_dispatch_id 0
		.amdhsa_user_sgpr_flat_scratch_init 0
		.amdhsa_user_sgpr_kernarg_preload_length 0
		.amdhsa_user_sgpr_kernarg_preload_offset 0
		.amdhsa_user_sgpr_private_segment_size 0
		.amdhsa_uses_dynamic_stack 0
		.amdhsa_system_sgpr_private_segment_wavefront_offset 0
		.amdhsa_system_sgpr_workgroup_id_x 1
		.amdhsa_system_sgpr_workgroup_id_y 0
		.amdhsa_system_sgpr_workgroup_id_z 0
		.amdhsa_system_sgpr_workgroup_info 0
		.amdhsa_system_vgpr_workitem_id 0
		.amdhsa_next_free_vgpr 1
		.amdhsa_next_free_sgpr 0
		.amdhsa_accum_offset 4
		.amdhsa_reserve_vcc 0
		.amdhsa_reserve_flat_scratch 0
		.amdhsa_float_round_mode_32 0
		.amdhsa_float_round_mode_16_64 0
		.amdhsa_float_denorm_mode_32 3
		.amdhsa_float_denorm_mode_16_64 3
		.amdhsa_dx10_clamp 1
		.amdhsa_ieee_mode 1
		.amdhsa_fp16_overflow 0
		.amdhsa_tg_split 0
		.amdhsa_exception_fp_ieee_invalid_op 0
		.amdhsa_exception_fp_denorm_src 0
		.amdhsa_exception_fp_ieee_div_zero 0
		.amdhsa_exception_fp_ieee_overflow 0
		.amdhsa_exception_fp_ieee_underflow 0
		.amdhsa_exception_fp_ieee_inexact 0
		.amdhsa_exception_int_div_zero 0
	.end_amdhsa_kernel
	.section	.text._ZN7rocprim17ROCPRIM_400000_NS6detail17trampoline_kernelINS0_14default_configENS1_20scan_config_selectorIiEEZZNS1_9scan_implILNS1_25lookback_scan_determinismE0ELb1ELb1ES3_N6thrust23THRUST_200600_302600_NS6detail15normal_iteratorINS9_10device_ptrIiEEEESE_i11max_functorIiEiEEDaPvRmT3_T4_T5_mT6_P12ihipStream_tbENKUlT_T0_E_clISt17integral_constantIbLb1EESU_EEDaSP_SQ_EUlSP_E0_NS1_11comp_targetILNS1_3genE9ELNS1_11target_archE1100ELNS1_3gpuE3ELNS1_3repE0EEENS1_30default_config_static_selectorELNS0_4arch9wavefront6targetE1EEEvT1_,"axG",@progbits,_ZN7rocprim17ROCPRIM_400000_NS6detail17trampoline_kernelINS0_14default_configENS1_20scan_config_selectorIiEEZZNS1_9scan_implILNS1_25lookback_scan_determinismE0ELb1ELb1ES3_N6thrust23THRUST_200600_302600_NS6detail15normal_iteratorINS9_10device_ptrIiEEEESE_i11max_functorIiEiEEDaPvRmT3_T4_T5_mT6_P12ihipStream_tbENKUlT_T0_E_clISt17integral_constantIbLb1EESU_EEDaSP_SQ_EUlSP_E0_NS1_11comp_targetILNS1_3genE9ELNS1_11target_archE1100ELNS1_3gpuE3ELNS1_3repE0EEENS1_30default_config_static_selectorELNS0_4arch9wavefront6targetE1EEEvT1_,comdat
.Lfunc_end2808:
	.size	_ZN7rocprim17ROCPRIM_400000_NS6detail17trampoline_kernelINS0_14default_configENS1_20scan_config_selectorIiEEZZNS1_9scan_implILNS1_25lookback_scan_determinismE0ELb1ELb1ES3_N6thrust23THRUST_200600_302600_NS6detail15normal_iteratorINS9_10device_ptrIiEEEESE_i11max_functorIiEiEEDaPvRmT3_T4_T5_mT6_P12ihipStream_tbENKUlT_T0_E_clISt17integral_constantIbLb1EESU_EEDaSP_SQ_EUlSP_E0_NS1_11comp_targetILNS1_3genE9ELNS1_11target_archE1100ELNS1_3gpuE3ELNS1_3repE0EEENS1_30default_config_static_selectorELNS0_4arch9wavefront6targetE1EEEvT1_, .Lfunc_end2808-_ZN7rocprim17ROCPRIM_400000_NS6detail17trampoline_kernelINS0_14default_configENS1_20scan_config_selectorIiEEZZNS1_9scan_implILNS1_25lookback_scan_determinismE0ELb1ELb1ES3_N6thrust23THRUST_200600_302600_NS6detail15normal_iteratorINS9_10device_ptrIiEEEESE_i11max_functorIiEiEEDaPvRmT3_T4_T5_mT6_P12ihipStream_tbENKUlT_T0_E_clISt17integral_constantIbLb1EESU_EEDaSP_SQ_EUlSP_E0_NS1_11comp_targetILNS1_3genE9ELNS1_11target_archE1100ELNS1_3gpuE3ELNS1_3repE0EEENS1_30default_config_static_selectorELNS0_4arch9wavefront6targetE1EEEvT1_
                                        ; -- End function
	.section	.AMDGPU.csdata,"",@progbits
; Kernel info:
; codeLenInByte = 0
; NumSgprs: 4
; NumVgprs: 0
; NumAgprs: 0
; TotalNumVgprs: 0
; ScratchSize: 0
; MemoryBound: 0
; FloatMode: 240
; IeeeMode: 1
; LDSByteSize: 0 bytes/workgroup (compile time only)
; SGPRBlocks: 0
; VGPRBlocks: 0
; NumSGPRsForWavesPerEU: 4
; NumVGPRsForWavesPerEU: 1
; AccumOffset: 4
; Occupancy: 8
; WaveLimiterHint : 0
; COMPUTE_PGM_RSRC2:SCRATCH_EN: 0
; COMPUTE_PGM_RSRC2:USER_SGPR: 6
; COMPUTE_PGM_RSRC2:TRAP_HANDLER: 0
; COMPUTE_PGM_RSRC2:TGID_X_EN: 1
; COMPUTE_PGM_RSRC2:TGID_Y_EN: 0
; COMPUTE_PGM_RSRC2:TGID_Z_EN: 0
; COMPUTE_PGM_RSRC2:TIDIG_COMP_CNT: 0
; COMPUTE_PGM_RSRC3_GFX90A:ACCUM_OFFSET: 0
; COMPUTE_PGM_RSRC3_GFX90A:TG_SPLIT: 0
	.section	.text._ZN7rocprim17ROCPRIM_400000_NS6detail17trampoline_kernelINS0_14default_configENS1_20scan_config_selectorIiEEZZNS1_9scan_implILNS1_25lookback_scan_determinismE0ELb1ELb1ES3_N6thrust23THRUST_200600_302600_NS6detail15normal_iteratorINS9_10device_ptrIiEEEESE_i11max_functorIiEiEEDaPvRmT3_T4_T5_mT6_P12ihipStream_tbENKUlT_T0_E_clISt17integral_constantIbLb1EESU_EEDaSP_SQ_EUlSP_E0_NS1_11comp_targetILNS1_3genE8ELNS1_11target_archE1030ELNS1_3gpuE2ELNS1_3repE0EEENS1_30default_config_static_selectorELNS0_4arch9wavefront6targetE1EEEvT1_,"axG",@progbits,_ZN7rocprim17ROCPRIM_400000_NS6detail17trampoline_kernelINS0_14default_configENS1_20scan_config_selectorIiEEZZNS1_9scan_implILNS1_25lookback_scan_determinismE0ELb1ELb1ES3_N6thrust23THRUST_200600_302600_NS6detail15normal_iteratorINS9_10device_ptrIiEEEESE_i11max_functorIiEiEEDaPvRmT3_T4_T5_mT6_P12ihipStream_tbENKUlT_T0_E_clISt17integral_constantIbLb1EESU_EEDaSP_SQ_EUlSP_E0_NS1_11comp_targetILNS1_3genE8ELNS1_11target_archE1030ELNS1_3gpuE2ELNS1_3repE0EEENS1_30default_config_static_selectorELNS0_4arch9wavefront6targetE1EEEvT1_,comdat
	.protected	_ZN7rocprim17ROCPRIM_400000_NS6detail17trampoline_kernelINS0_14default_configENS1_20scan_config_selectorIiEEZZNS1_9scan_implILNS1_25lookback_scan_determinismE0ELb1ELb1ES3_N6thrust23THRUST_200600_302600_NS6detail15normal_iteratorINS9_10device_ptrIiEEEESE_i11max_functorIiEiEEDaPvRmT3_T4_T5_mT6_P12ihipStream_tbENKUlT_T0_E_clISt17integral_constantIbLb1EESU_EEDaSP_SQ_EUlSP_E0_NS1_11comp_targetILNS1_3genE8ELNS1_11target_archE1030ELNS1_3gpuE2ELNS1_3repE0EEENS1_30default_config_static_selectorELNS0_4arch9wavefront6targetE1EEEvT1_ ; -- Begin function _ZN7rocprim17ROCPRIM_400000_NS6detail17trampoline_kernelINS0_14default_configENS1_20scan_config_selectorIiEEZZNS1_9scan_implILNS1_25lookback_scan_determinismE0ELb1ELb1ES3_N6thrust23THRUST_200600_302600_NS6detail15normal_iteratorINS9_10device_ptrIiEEEESE_i11max_functorIiEiEEDaPvRmT3_T4_T5_mT6_P12ihipStream_tbENKUlT_T0_E_clISt17integral_constantIbLb1EESU_EEDaSP_SQ_EUlSP_E0_NS1_11comp_targetILNS1_3genE8ELNS1_11target_archE1030ELNS1_3gpuE2ELNS1_3repE0EEENS1_30default_config_static_selectorELNS0_4arch9wavefront6targetE1EEEvT1_
	.globl	_ZN7rocprim17ROCPRIM_400000_NS6detail17trampoline_kernelINS0_14default_configENS1_20scan_config_selectorIiEEZZNS1_9scan_implILNS1_25lookback_scan_determinismE0ELb1ELb1ES3_N6thrust23THRUST_200600_302600_NS6detail15normal_iteratorINS9_10device_ptrIiEEEESE_i11max_functorIiEiEEDaPvRmT3_T4_T5_mT6_P12ihipStream_tbENKUlT_T0_E_clISt17integral_constantIbLb1EESU_EEDaSP_SQ_EUlSP_E0_NS1_11comp_targetILNS1_3genE8ELNS1_11target_archE1030ELNS1_3gpuE2ELNS1_3repE0EEENS1_30default_config_static_selectorELNS0_4arch9wavefront6targetE1EEEvT1_
	.p2align	8
	.type	_ZN7rocprim17ROCPRIM_400000_NS6detail17trampoline_kernelINS0_14default_configENS1_20scan_config_selectorIiEEZZNS1_9scan_implILNS1_25lookback_scan_determinismE0ELb1ELb1ES3_N6thrust23THRUST_200600_302600_NS6detail15normal_iteratorINS9_10device_ptrIiEEEESE_i11max_functorIiEiEEDaPvRmT3_T4_T5_mT6_P12ihipStream_tbENKUlT_T0_E_clISt17integral_constantIbLb1EESU_EEDaSP_SQ_EUlSP_E0_NS1_11comp_targetILNS1_3genE8ELNS1_11target_archE1030ELNS1_3gpuE2ELNS1_3repE0EEENS1_30default_config_static_selectorELNS0_4arch9wavefront6targetE1EEEvT1_,@function
_ZN7rocprim17ROCPRIM_400000_NS6detail17trampoline_kernelINS0_14default_configENS1_20scan_config_selectorIiEEZZNS1_9scan_implILNS1_25lookback_scan_determinismE0ELb1ELb1ES3_N6thrust23THRUST_200600_302600_NS6detail15normal_iteratorINS9_10device_ptrIiEEEESE_i11max_functorIiEiEEDaPvRmT3_T4_T5_mT6_P12ihipStream_tbENKUlT_T0_E_clISt17integral_constantIbLb1EESU_EEDaSP_SQ_EUlSP_E0_NS1_11comp_targetILNS1_3genE8ELNS1_11target_archE1030ELNS1_3gpuE2ELNS1_3repE0EEENS1_30default_config_static_selectorELNS0_4arch9wavefront6targetE1EEEvT1_: ; @_ZN7rocprim17ROCPRIM_400000_NS6detail17trampoline_kernelINS0_14default_configENS1_20scan_config_selectorIiEEZZNS1_9scan_implILNS1_25lookback_scan_determinismE0ELb1ELb1ES3_N6thrust23THRUST_200600_302600_NS6detail15normal_iteratorINS9_10device_ptrIiEEEESE_i11max_functorIiEiEEDaPvRmT3_T4_T5_mT6_P12ihipStream_tbENKUlT_T0_E_clISt17integral_constantIbLb1EESU_EEDaSP_SQ_EUlSP_E0_NS1_11comp_targetILNS1_3genE8ELNS1_11target_archE1030ELNS1_3gpuE2ELNS1_3repE0EEENS1_30default_config_static_selectorELNS0_4arch9wavefront6targetE1EEEvT1_
; %bb.0:
	.section	.rodata,"a",@progbits
	.p2align	6, 0x0
	.amdhsa_kernel _ZN7rocprim17ROCPRIM_400000_NS6detail17trampoline_kernelINS0_14default_configENS1_20scan_config_selectorIiEEZZNS1_9scan_implILNS1_25lookback_scan_determinismE0ELb1ELb1ES3_N6thrust23THRUST_200600_302600_NS6detail15normal_iteratorINS9_10device_ptrIiEEEESE_i11max_functorIiEiEEDaPvRmT3_T4_T5_mT6_P12ihipStream_tbENKUlT_T0_E_clISt17integral_constantIbLb1EESU_EEDaSP_SQ_EUlSP_E0_NS1_11comp_targetILNS1_3genE8ELNS1_11target_archE1030ELNS1_3gpuE2ELNS1_3repE0EEENS1_30default_config_static_selectorELNS0_4arch9wavefront6targetE1EEEvT1_
		.amdhsa_group_segment_fixed_size 0
		.amdhsa_private_segment_fixed_size 0
		.amdhsa_kernarg_size 32
		.amdhsa_user_sgpr_count 6
		.amdhsa_user_sgpr_private_segment_buffer 1
		.amdhsa_user_sgpr_dispatch_ptr 0
		.amdhsa_user_sgpr_queue_ptr 0
		.amdhsa_user_sgpr_kernarg_segment_ptr 1
		.amdhsa_user_sgpr_dispatch_id 0
		.amdhsa_user_sgpr_flat_scratch_init 0
		.amdhsa_user_sgpr_kernarg_preload_length 0
		.amdhsa_user_sgpr_kernarg_preload_offset 0
		.amdhsa_user_sgpr_private_segment_size 0
		.amdhsa_uses_dynamic_stack 0
		.amdhsa_system_sgpr_private_segment_wavefront_offset 0
		.amdhsa_system_sgpr_workgroup_id_x 1
		.amdhsa_system_sgpr_workgroup_id_y 0
		.amdhsa_system_sgpr_workgroup_id_z 0
		.amdhsa_system_sgpr_workgroup_info 0
		.amdhsa_system_vgpr_workitem_id 0
		.amdhsa_next_free_vgpr 1
		.amdhsa_next_free_sgpr 0
		.amdhsa_accum_offset 4
		.amdhsa_reserve_vcc 0
		.amdhsa_reserve_flat_scratch 0
		.amdhsa_float_round_mode_32 0
		.amdhsa_float_round_mode_16_64 0
		.amdhsa_float_denorm_mode_32 3
		.amdhsa_float_denorm_mode_16_64 3
		.amdhsa_dx10_clamp 1
		.amdhsa_ieee_mode 1
		.amdhsa_fp16_overflow 0
		.amdhsa_tg_split 0
		.amdhsa_exception_fp_ieee_invalid_op 0
		.amdhsa_exception_fp_denorm_src 0
		.amdhsa_exception_fp_ieee_div_zero 0
		.amdhsa_exception_fp_ieee_overflow 0
		.amdhsa_exception_fp_ieee_underflow 0
		.amdhsa_exception_fp_ieee_inexact 0
		.amdhsa_exception_int_div_zero 0
	.end_amdhsa_kernel
	.section	.text._ZN7rocprim17ROCPRIM_400000_NS6detail17trampoline_kernelINS0_14default_configENS1_20scan_config_selectorIiEEZZNS1_9scan_implILNS1_25lookback_scan_determinismE0ELb1ELb1ES3_N6thrust23THRUST_200600_302600_NS6detail15normal_iteratorINS9_10device_ptrIiEEEESE_i11max_functorIiEiEEDaPvRmT3_T4_T5_mT6_P12ihipStream_tbENKUlT_T0_E_clISt17integral_constantIbLb1EESU_EEDaSP_SQ_EUlSP_E0_NS1_11comp_targetILNS1_3genE8ELNS1_11target_archE1030ELNS1_3gpuE2ELNS1_3repE0EEENS1_30default_config_static_selectorELNS0_4arch9wavefront6targetE1EEEvT1_,"axG",@progbits,_ZN7rocprim17ROCPRIM_400000_NS6detail17trampoline_kernelINS0_14default_configENS1_20scan_config_selectorIiEEZZNS1_9scan_implILNS1_25lookback_scan_determinismE0ELb1ELb1ES3_N6thrust23THRUST_200600_302600_NS6detail15normal_iteratorINS9_10device_ptrIiEEEESE_i11max_functorIiEiEEDaPvRmT3_T4_T5_mT6_P12ihipStream_tbENKUlT_T0_E_clISt17integral_constantIbLb1EESU_EEDaSP_SQ_EUlSP_E0_NS1_11comp_targetILNS1_3genE8ELNS1_11target_archE1030ELNS1_3gpuE2ELNS1_3repE0EEENS1_30default_config_static_selectorELNS0_4arch9wavefront6targetE1EEEvT1_,comdat
.Lfunc_end2809:
	.size	_ZN7rocprim17ROCPRIM_400000_NS6detail17trampoline_kernelINS0_14default_configENS1_20scan_config_selectorIiEEZZNS1_9scan_implILNS1_25lookback_scan_determinismE0ELb1ELb1ES3_N6thrust23THRUST_200600_302600_NS6detail15normal_iteratorINS9_10device_ptrIiEEEESE_i11max_functorIiEiEEDaPvRmT3_T4_T5_mT6_P12ihipStream_tbENKUlT_T0_E_clISt17integral_constantIbLb1EESU_EEDaSP_SQ_EUlSP_E0_NS1_11comp_targetILNS1_3genE8ELNS1_11target_archE1030ELNS1_3gpuE2ELNS1_3repE0EEENS1_30default_config_static_selectorELNS0_4arch9wavefront6targetE1EEEvT1_, .Lfunc_end2809-_ZN7rocprim17ROCPRIM_400000_NS6detail17trampoline_kernelINS0_14default_configENS1_20scan_config_selectorIiEEZZNS1_9scan_implILNS1_25lookback_scan_determinismE0ELb1ELb1ES3_N6thrust23THRUST_200600_302600_NS6detail15normal_iteratorINS9_10device_ptrIiEEEESE_i11max_functorIiEiEEDaPvRmT3_T4_T5_mT6_P12ihipStream_tbENKUlT_T0_E_clISt17integral_constantIbLb1EESU_EEDaSP_SQ_EUlSP_E0_NS1_11comp_targetILNS1_3genE8ELNS1_11target_archE1030ELNS1_3gpuE2ELNS1_3repE0EEENS1_30default_config_static_selectorELNS0_4arch9wavefront6targetE1EEEvT1_
                                        ; -- End function
	.section	.AMDGPU.csdata,"",@progbits
; Kernel info:
; codeLenInByte = 0
; NumSgprs: 4
; NumVgprs: 0
; NumAgprs: 0
; TotalNumVgprs: 0
; ScratchSize: 0
; MemoryBound: 0
; FloatMode: 240
; IeeeMode: 1
; LDSByteSize: 0 bytes/workgroup (compile time only)
; SGPRBlocks: 0
; VGPRBlocks: 0
; NumSGPRsForWavesPerEU: 4
; NumVGPRsForWavesPerEU: 1
; AccumOffset: 4
; Occupancy: 8
; WaveLimiterHint : 0
; COMPUTE_PGM_RSRC2:SCRATCH_EN: 0
; COMPUTE_PGM_RSRC2:USER_SGPR: 6
; COMPUTE_PGM_RSRC2:TRAP_HANDLER: 0
; COMPUTE_PGM_RSRC2:TGID_X_EN: 1
; COMPUTE_PGM_RSRC2:TGID_Y_EN: 0
; COMPUTE_PGM_RSRC2:TGID_Z_EN: 0
; COMPUTE_PGM_RSRC2:TIDIG_COMP_CNT: 0
; COMPUTE_PGM_RSRC3_GFX90A:ACCUM_OFFSET: 0
; COMPUTE_PGM_RSRC3_GFX90A:TG_SPLIT: 0
	.section	.text._ZN7rocprim17ROCPRIM_400000_NS6detail17trampoline_kernelINS0_14default_configENS1_20scan_config_selectorIiEEZZNS1_9scan_implILNS1_25lookback_scan_determinismE0ELb1ELb1ES3_N6thrust23THRUST_200600_302600_NS6detail15normal_iteratorINS9_10device_ptrIiEEEESE_i11max_functorIiEiEEDaPvRmT3_T4_T5_mT6_P12ihipStream_tbENKUlT_T0_E_clISt17integral_constantIbLb1EEST_IbLb0EEEEDaSP_SQ_EUlSP_E_NS1_11comp_targetILNS1_3genE0ELNS1_11target_archE4294967295ELNS1_3gpuE0ELNS1_3repE0EEENS1_30default_config_static_selectorELNS0_4arch9wavefront6targetE1EEEvT1_,"axG",@progbits,_ZN7rocprim17ROCPRIM_400000_NS6detail17trampoline_kernelINS0_14default_configENS1_20scan_config_selectorIiEEZZNS1_9scan_implILNS1_25lookback_scan_determinismE0ELb1ELb1ES3_N6thrust23THRUST_200600_302600_NS6detail15normal_iteratorINS9_10device_ptrIiEEEESE_i11max_functorIiEiEEDaPvRmT3_T4_T5_mT6_P12ihipStream_tbENKUlT_T0_E_clISt17integral_constantIbLb1EEST_IbLb0EEEEDaSP_SQ_EUlSP_E_NS1_11comp_targetILNS1_3genE0ELNS1_11target_archE4294967295ELNS1_3gpuE0ELNS1_3repE0EEENS1_30default_config_static_selectorELNS0_4arch9wavefront6targetE1EEEvT1_,comdat
	.protected	_ZN7rocprim17ROCPRIM_400000_NS6detail17trampoline_kernelINS0_14default_configENS1_20scan_config_selectorIiEEZZNS1_9scan_implILNS1_25lookback_scan_determinismE0ELb1ELb1ES3_N6thrust23THRUST_200600_302600_NS6detail15normal_iteratorINS9_10device_ptrIiEEEESE_i11max_functorIiEiEEDaPvRmT3_T4_T5_mT6_P12ihipStream_tbENKUlT_T0_E_clISt17integral_constantIbLb1EEST_IbLb0EEEEDaSP_SQ_EUlSP_E_NS1_11comp_targetILNS1_3genE0ELNS1_11target_archE4294967295ELNS1_3gpuE0ELNS1_3repE0EEENS1_30default_config_static_selectorELNS0_4arch9wavefront6targetE1EEEvT1_ ; -- Begin function _ZN7rocprim17ROCPRIM_400000_NS6detail17trampoline_kernelINS0_14default_configENS1_20scan_config_selectorIiEEZZNS1_9scan_implILNS1_25lookback_scan_determinismE0ELb1ELb1ES3_N6thrust23THRUST_200600_302600_NS6detail15normal_iteratorINS9_10device_ptrIiEEEESE_i11max_functorIiEiEEDaPvRmT3_T4_T5_mT6_P12ihipStream_tbENKUlT_T0_E_clISt17integral_constantIbLb1EEST_IbLb0EEEEDaSP_SQ_EUlSP_E_NS1_11comp_targetILNS1_3genE0ELNS1_11target_archE4294967295ELNS1_3gpuE0ELNS1_3repE0EEENS1_30default_config_static_selectorELNS0_4arch9wavefront6targetE1EEEvT1_
	.globl	_ZN7rocprim17ROCPRIM_400000_NS6detail17trampoline_kernelINS0_14default_configENS1_20scan_config_selectorIiEEZZNS1_9scan_implILNS1_25lookback_scan_determinismE0ELb1ELb1ES3_N6thrust23THRUST_200600_302600_NS6detail15normal_iteratorINS9_10device_ptrIiEEEESE_i11max_functorIiEiEEDaPvRmT3_T4_T5_mT6_P12ihipStream_tbENKUlT_T0_E_clISt17integral_constantIbLb1EEST_IbLb0EEEEDaSP_SQ_EUlSP_E_NS1_11comp_targetILNS1_3genE0ELNS1_11target_archE4294967295ELNS1_3gpuE0ELNS1_3repE0EEENS1_30default_config_static_selectorELNS0_4arch9wavefront6targetE1EEEvT1_
	.p2align	8
	.type	_ZN7rocprim17ROCPRIM_400000_NS6detail17trampoline_kernelINS0_14default_configENS1_20scan_config_selectorIiEEZZNS1_9scan_implILNS1_25lookback_scan_determinismE0ELb1ELb1ES3_N6thrust23THRUST_200600_302600_NS6detail15normal_iteratorINS9_10device_ptrIiEEEESE_i11max_functorIiEiEEDaPvRmT3_T4_T5_mT6_P12ihipStream_tbENKUlT_T0_E_clISt17integral_constantIbLb1EEST_IbLb0EEEEDaSP_SQ_EUlSP_E_NS1_11comp_targetILNS1_3genE0ELNS1_11target_archE4294967295ELNS1_3gpuE0ELNS1_3repE0EEENS1_30default_config_static_selectorELNS0_4arch9wavefront6targetE1EEEvT1_,@function
_ZN7rocprim17ROCPRIM_400000_NS6detail17trampoline_kernelINS0_14default_configENS1_20scan_config_selectorIiEEZZNS1_9scan_implILNS1_25lookback_scan_determinismE0ELb1ELb1ES3_N6thrust23THRUST_200600_302600_NS6detail15normal_iteratorINS9_10device_ptrIiEEEESE_i11max_functorIiEiEEDaPvRmT3_T4_T5_mT6_P12ihipStream_tbENKUlT_T0_E_clISt17integral_constantIbLb1EEST_IbLb0EEEEDaSP_SQ_EUlSP_E_NS1_11comp_targetILNS1_3genE0ELNS1_11target_archE4294967295ELNS1_3gpuE0ELNS1_3repE0EEENS1_30default_config_static_selectorELNS0_4arch9wavefront6targetE1EEEvT1_: ; @_ZN7rocprim17ROCPRIM_400000_NS6detail17trampoline_kernelINS0_14default_configENS1_20scan_config_selectorIiEEZZNS1_9scan_implILNS1_25lookback_scan_determinismE0ELb1ELb1ES3_N6thrust23THRUST_200600_302600_NS6detail15normal_iteratorINS9_10device_ptrIiEEEESE_i11max_functorIiEiEEDaPvRmT3_T4_T5_mT6_P12ihipStream_tbENKUlT_T0_E_clISt17integral_constantIbLb1EEST_IbLb0EEEEDaSP_SQ_EUlSP_E_NS1_11comp_targetILNS1_3genE0ELNS1_11target_archE4294967295ELNS1_3gpuE0ELNS1_3repE0EEENS1_30default_config_static_selectorELNS0_4arch9wavefront6targetE1EEEvT1_
; %bb.0:
	.section	.rodata,"a",@progbits
	.p2align	6, 0x0
	.amdhsa_kernel _ZN7rocprim17ROCPRIM_400000_NS6detail17trampoline_kernelINS0_14default_configENS1_20scan_config_selectorIiEEZZNS1_9scan_implILNS1_25lookback_scan_determinismE0ELb1ELb1ES3_N6thrust23THRUST_200600_302600_NS6detail15normal_iteratorINS9_10device_ptrIiEEEESE_i11max_functorIiEiEEDaPvRmT3_T4_T5_mT6_P12ihipStream_tbENKUlT_T0_E_clISt17integral_constantIbLb1EEST_IbLb0EEEEDaSP_SQ_EUlSP_E_NS1_11comp_targetILNS1_3genE0ELNS1_11target_archE4294967295ELNS1_3gpuE0ELNS1_3repE0EEENS1_30default_config_static_selectorELNS0_4arch9wavefront6targetE1EEEvT1_
		.amdhsa_group_segment_fixed_size 0
		.amdhsa_private_segment_fixed_size 0
		.amdhsa_kernarg_size 96
		.amdhsa_user_sgpr_count 6
		.amdhsa_user_sgpr_private_segment_buffer 1
		.amdhsa_user_sgpr_dispatch_ptr 0
		.amdhsa_user_sgpr_queue_ptr 0
		.amdhsa_user_sgpr_kernarg_segment_ptr 1
		.amdhsa_user_sgpr_dispatch_id 0
		.amdhsa_user_sgpr_flat_scratch_init 0
		.amdhsa_user_sgpr_kernarg_preload_length 0
		.amdhsa_user_sgpr_kernarg_preload_offset 0
		.amdhsa_user_sgpr_private_segment_size 0
		.amdhsa_uses_dynamic_stack 0
		.amdhsa_system_sgpr_private_segment_wavefront_offset 0
		.amdhsa_system_sgpr_workgroup_id_x 1
		.amdhsa_system_sgpr_workgroup_id_y 0
		.amdhsa_system_sgpr_workgroup_id_z 0
		.amdhsa_system_sgpr_workgroup_info 0
		.amdhsa_system_vgpr_workitem_id 0
		.amdhsa_next_free_vgpr 1
		.amdhsa_next_free_sgpr 0
		.amdhsa_accum_offset 4
		.amdhsa_reserve_vcc 0
		.amdhsa_reserve_flat_scratch 0
		.amdhsa_float_round_mode_32 0
		.amdhsa_float_round_mode_16_64 0
		.amdhsa_float_denorm_mode_32 3
		.amdhsa_float_denorm_mode_16_64 3
		.amdhsa_dx10_clamp 1
		.amdhsa_ieee_mode 1
		.amdhsa_fp16_overflow 0
		.amdhsa_tg_split 0
		.amdhsa_exception_fp_ieee_invalid_op 0
		.amdhsa_exception_fp_denorm_src 0
		.amdhsa_exception_fp_ieee_div_zero 0
		.amdhsa_exception_fp_ieee_overflow 0
		.amdhsa_exception_fp_ieee_underflow 0
		.amdhsa_exception_fp_ieee_inexact 0
		.amdhsa_exception_int_div_zero 0
	.end_amdhsa_kernel
	.section	.text._ZN7rocprim17ROCPRIM_400000_NS6detail17trampoline_kernelINS0_14default_configENS1_20scan_config_selectorIiEEZZNS1_9scan_implILNS1_25lookback_scan_determinismE0ELb1ELb1ES3_N6thrust23THRUST_200600_302600_NS6detail15normal_iteratorINS9_10device_ptrIiEEEESE_i11max_functorIiEiEEDaPvRmT3_T4_T5_mT6_P12ihipStream_tbENKUlT_T0_E_clISt17integral_constantIbLb1EEST_IbLb0EEEEDaSP_SQ_EUlSP_E_NS1_11comp_targetILNS1_3genE0ELNS1_11target_archE4294967295ELNS1_3gpuE0ELNS1_3repE0EEENS1_30default_config_static_selectorELNS0_4arch9wavefront6targetE1EEEvT1_,"axG",@progbits,_ZN7rocprim17ROCPRIM_400000_NS6detail17trampoline_kernelINS0_14default_configENS1_20scan_config_selectorIiEEZZNS1_9scan_implILNS1_25lookback_scan_determinismE0ELb1ELb1ES3_N6thrust23THRUST_200600_302600_NS6detail15normal_iteratorINS9_10device_ptrIiEEEESE_i11max_functorIiEiEEDaPvRmT3_T4_T5_mT6_P12ihipStream_tbENKUlT_T0_E_clISt17integral_constantIbLb1EEST_IbLb0EEEEDaSP_SQ_EUlSP_E_NS1_11comp_targetILNS1_3genE0ELNS1_11target_archE4294967295ELNS1_3gpuE0ELNS1_3repE0EEENS1_30default_config_static_selectorELNS0_4arch9wavefront6targetE1EEEvT1_,comdat
.Lfunc_end2810:
	.size	_ZN7rocprim17ROCPRIM_400000_NS6detail17trampoline_kernelINS0_14default_configENS1_20scan_config_selectorIiEEZZNS1_9scan_implILNS1_25lookback_scan_determinismE0ELb1ELb1ES3_N6thrust23THRUST_200600_302600_NS6detail15normal_iteratorINS9_10device_ptrIiEEEESE_i11max_functorIiEiEEDaPvRmT3_T4_T5_mT6_P12ihipStream_tbENKUlT_T0_E_clISt17integral_constantIbLb1EEST_IbLb0EEEEDaSP_SQ_EUlSP_E_NS1_11comp_targetILNS1_3genE0ELNS1_11target_archE4294967295ELNS1_3gpuE0ELNS1_3repE0EEENS1_30default_config_static_selectorELNS0_4arch9wavefront6targetE1EEEvT1_, .Lfunc_end2810-_ZN7rocprim17ROCPRIM_400000_NS6detail17trampoline_kernelINS0_14default_configENS1_20scan_config_selectorIiEEZZNS1_9scan_implILNS1_25lookback_scan_determinismE0ELb1ELb1ES3_N6thrust23THRUST_200600_302600_NS6detail15normal_iteratorINS9_10device_ptrIiEEEESE_i11max_functorIiEiEEDaPvRmT3_T4_T5_mT6_P12ihipStream_tbENKUlT_T0_E_clISt17integral_constantIbLb1EEST_IbLb0EEEEDaSP_SQ_EUlSP_E_NS1_11comp_targetILNS1_3genE0ELNS1_11target_archE4294967295ELNS1_3gpuE0ELNS1_3repE0EEENS1_30default_config_static_selectorELNS0_4arch9wavefront6targetE1EEEvT1_
                                        ; -- End function
	.section	.AMDGPU.csdata,"",@progbits
; Kernel info:
; codeLenInByte = 0
; NumSgprs: 4
; NumVgprs: 0
; NumAgprs: 0
; TotalNumVgprs: 0
; ScratchSize: 0
; MemoryBound: 0
; FloatMode: 240
; IeeeMode: 1
; LDSByteSize: 0 bytes/workgroup (compile time only)
; SGPRBlocks: 0
; VGPRBlocks: 0
; NumSGPRsForWavesPerEU: 4
; NumVGPRsForWavesPerEU: 1
; AccumOffset: 4
; Occupancy: 8
; WaveLimiterHint : 0
; COMPUTE_PGM_RSRC2:SCRATCH_EN: 0
; COMPUTE_PGM_RSRC2:USER_SGPR: 6
; COMPUTE_PGM_RSRC2:TRAP_HANDLER: 0
; COMPUTE_PGM_RSRC2:TGID_X_EN: 1
; COMPUTE_PGM_RSRC2:TGID_Y_EN: 0
; COMPUTE_PGM_RSRC2:TGID_Z_EN: 0
; COMPUTE_PGM_RSRC2:TIDIG_COMP_CNT: 0
; COMPUTE_PGM_RSRC3_GFX90A:ACCUM_OFFSET: 0
; COMPUTE_PGM_RSRC3_GFX90A:TG_SPLIT: 0
	.section	.text._ZN7rocprim17ROCPRIM_400000_NS6detail17trampoline_kernelINS0_14default_configENS1_20scan_config_selectorIiEEZZNS1_9scan_implILNS1_25lookback_scan_determinismE0ELb1ELb1ES3_N6thrust23THRUST_200600_302600_NS6detail15normal_iteratorINS9_10device_ptrIiEEEESE_i11max_functorIiEiEEDaPvRmT3_T4_T5_mT6_P12ihipStream_tbENKUlT_T0_E_clISt17integral_constantIbLb1EEST_IbLb0EEEEDaSP_SQ_EUlSP_E_NS1_11comp_targetILNS1_3genE5ELNS1_11target_archE942ELNS1_3gpuE9ELNS1_3repE0EEENS1_30default_config_static_selectorELNS0_4arch9wavefront6targetE1EEEvT1_,"axG",@progbits,_ZN7rocprim17ROCPRIM_400000_NS6detail17trampoline_kernelINS0_14default_configENS1_20scan_config_selectorIiEEZZNS1_9scan_implILNS1_25lookback_scan_determinismE0ELb1ELb1ES3_N6thrust23THRUST_200600_302600_NS6detail15normal_iteratorINS9_10device_ptrIiEEEESE_i11max_functorIiEiEEDaPvRmT3_T4_T5_mT6_P12ihipStream_tbENKUlT_T0_E_clISt17integral_constantIbLb1EEST_IbLb0EEEEDaSP_SQ_EUlSP_E_NS1_11comp_targetILNS1_3genE5ELNS1_11target_archE942ELNS1_3gpuE9ELNS1_3repE0EEENS1_30default_config_static_selectorELNS0_4arch9wavefront6targetE1EEEvT1_,comdat
	.protected	_ZN7rocprim17ROCPRIM_400000_NS6detail17trampoline_kernelINS0_14default_configENS1_20scan_config_selectorIiEEZZNS1_9scan_implILNS1_25lookback_scan_determinismE0ELb1ELb1ES3_N6thrust23THRUST_200600_302600_NS6detail15normal_iteratorINS9_10device_ptrIiEEEESE_i11max_functorIiEiEEDaPvRmT3_T4_T5_mT6_P12ihipStream_tbENKUlT_T0_E_clISt17integral_constantIbLb1EEST_IbLb0EEEEDaSP_SQ_EUlSP_E_NS1_11comp_targetILNS1_3genE5ELNS1_11target_archE942ELNS1_3gpuE9ELNS1_3repE0EEENS1_30default_config_static_selectorELNS0_4arch9wavefront6targetE1EEEvT1_ ; -- Begin function _ZN7rocprim17ROCPRIM_400000_NS6detail17trampoline_kernelINS0_14default_configENS1_20scan_config_selectorIiEEZZNS1_9scan_implILNS1_25lookback_scan_determinismE0ELb1ELb1ES3_N6thrust23THRUST_200600_302600_NS6detail15normal_iteratorINS9_10device_ptrIiEEEESE_i11max_functorIiEiEEDaPvRmT3_T4_T5_mT6_P12ihipStream_tbENKUlT_T0_E_clISt17integral_constantIbLb1EEST_IbLb0EEEEDaSP_SQ_EUlSP_E_NS1_11comp_targetILNS1_3genE5ELNS1_11target_archE942ELNS1_3gpuE9ELNS1_3repE0EEENS1_30default_config_static_selectorELNS0_4arch9wavefront6targetE1EEEvT1_
	.globl	_ZN7rocprim17ROCPRIM_400000_NS6detail17trampoline_kernelINS0_14default_configENS1_20scan_config_selectorIiEEZZNS1_9scan_implILNS1_25lookback_scan_determinismE0ELb1ELb1ES3_N6thrust23THRUST_200600_302600_NS6detail15normal_iteratorINS9_10device_ptrIiEEEESE_i11max_functorIiEiEEDaPvRmT3_T4_T5_mT6_P12ihipStream_tbENKUlT_T0_E_clISt17integral_constantIbLb1EEST_IbLb0EEEEDaSP_SQ_EUlSP_E_NS1_11comp_targetILNS1_3genE5ELNS1_11target_archE942ELNS1_3gpuE9ELNS1_3repE0EEENS1_30default_config_static_selectorELNS0_4arch9wavefront6targetE1EEEvT1_
	.p2align	8
	.type	_ZN7rocprim17ROCPRIM_400000_NS6detail17trampoline_kernelINS0_14default_configENS1_20scan_config_selectorIiEEZZNS1_9scan_implILNS1_25lookback_scan_determinismE0ELb1ELb1ES3_N6thrust23THRUST_200600_302600_NS6detail15normal_iteratorINS9_10device_ptrIiEEEESE_i11max_functorIiEiEEDaPvRmT3_T4_T5_mT6_P12ihipStream_tbENKUlT_T0_E_clISt17integral_constantIbLb1EEST_IbLb0EEEEDaSP_SQ_EUlSP_E_NS1_11comp_targetILNS1_3genE5ELNS1_11target_archE942ELNS1_3gpuE9ELNS1_3repE0EEENS1_30default_config_static_selectorELNS0_4arch9wavefront6targetE1EEEvT1_,@function
_ZN7rocprim17ROCPRIM_400000_NS6detail17trampoline_kernelINS0_14default_configENS1_20scan_config_selectorIiEEZZNS1_9scan_implILNS1_25lookback_scan_determinismE0ELb1ELb1ES3_N6thrust23THRUST_200600_302600_NS6detail15normal_iteratorINS9_10device_ptrIiEEEESE_i11max_functorIiEiEEDaPvRmT3_T4_T5_mT6_P12ihipStream_tbENKUlT_T0_E_clISt17integral_constantIbLb1EEST_IbLb0EEEEDaSP_SQ_EUlSP_E_NS1_11comp_targetILNS1_3genE5ELNS1_11target_archE942ELNS1_3gpuE9ELNS1_3repE0EEENS1_30default_config_static_selectorELNS0_4arch9wavefront6targetE1EEEvT1_: ; @_ZN7rocprim17ROCPRIM_400000_NS6detail17trampoline_kernelINS0_14default_configENS1_20scan_config_selectorIiEEZZNS1_9scan_implILNS1_25lookback_scan_determinismE0ELb1ELb1ES3_N6thrust23THRUST_200600_302600_NS6detail15normal_iteratorINS9_10device_ptrIiEEEESE_i11max_functorIiEiEEDaPvRmT3_T4_T5_mT6_P12ihipStream_tbENKUlT_T0_E_clISt17integral_constantIbLb1EEST_IbLb0EEEEDaSP_SQ_EUlSP_E_NS1_11comp_targetILNS1_3genE5ELNS1_11target_archE942ELNS1_3gpuE9ELNS1_3repE0EEENS1_30default_config_static_selectorELNS0_4arch9wavefront6targetE1EEEvT1_
; %bb.0:
	.section	.rodata,"a",@progbits
	.p2align	6, 0x0
	.amdhsa_kernel _ZN7rocprim17ROCPRIM_400000_NS6detail17trampoline_kernelINS0_14default_configENS1_20scan_config_selectorIiEEZZNS1_9scan_implILNS1_25lookback_scan_determinismE0ELb1ELb1ES3_N6thrust23THRUST_200600_302600_NS6detail15normal_iteratorINS9_10device_ptrIiEEEESE_i11max_functorIiEiEEDaPvRmT3_T4_T5_mT6_P12ihipStream_tbENKUlT_T0_E_clISt17integral_constantIbLb1EEST_IbLb0EEEEDaSP_SQ_EUlSP_E_NS1_11comp_targetILNS1_3genE5ELNS1_11target_archE942ELNS1_3gpuE9ELNS1_3repE0EEENS1_30default_config_static_selectorELNS0_4arch9wavefront6targetE1EEEvT1_
		.amdhsa_group_segment_fixed_size 0
		.amdhsa_private_segment_fixed_size 0
		.amdhsa_kernarg_size 96
		.amdhsa_user_sgpr_count 6
		.amdhsa_user_sgpr_private_segment_buffer 1
		.amdhsa_user_sgpr_dispatch_ptr 0
		.amdhsa_user_sgpr_queue_ptr 0
		.amdhsa_user_sgpr_kernarg_segment_ptr 1
		.amdhsa_user_sgpr_dispatch_id 0
		.amdhsa_user_sgpr_flat_scratch_init 0
		.amdhsa_user_sgpr_kernarg_preload_length 0
		.amdhsa_user_sgpr_kernarg_preload_offset 0
		.amdhsa_user_sgpr_private_segment_size 0
		.amdhsa_uses_dynamic_stack 0
		.amdhsa_system_sgpr_private_segment_wavefront_offset 0
		.amdhsa_system_sgpr_workgroup_id_x 1
		.amdhsa_system_sgpr_workgroup_id_y 0
		.amdhsa_system_sgpr_workgroup_id_z 0
		.amdhsa_system_sgpr_workgroup_info 0
		.amdhsa_system_vgpr_workitem_id 0
		.amdhsa_next_free_vgpr 1
		.amdhsa_next_free_sgpr 0
		.amdhsa_accum_offset 4
		.amdhsa_reserve_vcc 0
		.amdhsa_reserve_flat_scratch 0
		.amdhsa_float_round_mode_32 0
		.amdhsa_float_round_mode_16_64 0
		.amdhsa_float_denorm_mode_32 3
		.amdhsa_float_denorm_mode_16_64 3
		.amdhsa_dx10_clamp 1
		.amdhsa_ieee_mode 1
		.amdhsa_fp16_overflow 0
		.amdhsa_tg_split 0
		.amdhsa_exception_fp_ieee_invalid_op 0
		.amdhsa_exception_fp_denorm_src 0
		.amdhsa_exception_fp_ieee_div_zero 0
		.amdhsa_exception_fp_ieee_overflow 0
		.amdhsa_exception_fp_ieee_underflow 0
		.amdhsa_exception_fp_ieee_inexact 0
		.amdhsa_exception_int_div_zero 0
	.end_amdhsa_kernel
	.section	.text._ZN7rocprim17ROCPRIM_400000_NS6detail17trampoline_kernelINS0_14default_configENS1_20scan_config_selectorIiEEZZNS1_9scan_implILNS1_25lookback_scan_determinismE0ELb1ELb1ES3_N6thrust23THRUST_200600_302600_NS6detail15normal_iteratorINS9_10device_ptrIiEEEESE_i11max_functorIiEiEEDaPvRmT3_T4_T5_mT6_P12ihipStream_tbENKUlT_T0_E_clISt17integral_constantIbLb1EEST_IbLb0EEEEDaSP_SQ_EUlSP_E_NS1_11comp_targetILNS1_3genE5ELNS1_11target_archE942ELNS1_3gpuE9ELNS1_3repE0EEENS1_30default_config_static_selectorELNS0_4arch9wavefront6targetE1EEEvT1_,"axG",@progbits,_ZN7rocprim17ROCPRIM_400000_NS6detail17trampoline_kernelINS0_14default_configENS1_20scan_config_selectorIiEEZZNS1_9scan_implILNS1_25lookback_scan_determinismE0ELb1ELb1ES3_N6thrust23THRUST_200600_302600_NS6detail15normal_iteratorINS9_10device_ptrIiEEEESE_i11max_functorIiEiEEDaPvRmT3_T4_T5_mT6_P12ihipStream_tbENKUlT_T0_E_clISt17integral_constantIbLb1EEST_IbLb0EEEEDaSP_SQ_EUlSP_E_NS1_11comp_targetILNS1_3genE5ELNS1_11target_archE942ELNS1_3gpuE9ELNS1_3repE0EEENS1_30default_config_static_selectorELNS0_4arch9wavefront6targetE1EEEvT1_,comdat
.Lfunc_end2811:
	.size	_ZN7rocprim17ROCPRIM_400000_NS6detail17trampoline_kernelINS0_14default_configENS1_20scan_config_selectorIiEEZZNS1_9scan_implILNS1_25lookback_scan_determinismE0ELb1ELb1ES3_N6thrust23THRUST_200600_302600_NS6detail15normal_iteratorINS9_10device_ptrIiEEEESE_i11max_functorIiEiEEDaPvRmT3_T4_T5_mT6_P12ihipStream_tbENKUlT_T0_E_clISt17integral_constantIbLb1EEST_IbLb0EEEEDaSP_SQ_EUlSP_E_NS1_11comp_targetILNS1_3genE5ELNS1_11target_archE942ELNS1_3gpuE9ELNS1_3repE0EEENS1_30default_config_static_selectorELNS0_4arch9wavefront6targetE1EEEvT1_, .Lfunc_end2811-_ZN7rocprim17ROCPRIM_400000_NS6detail17trampoline_kernelINS0_14default_configENS1_20scan_config_selectorIiEEZZNS1_9scan_implILNS1_25lookback_scan_determinismE0ELb1ELb1ES3_N6thrust23THRUST_200600_302600_NS6detail15normal_iteratorINS9_10device_ptrIiEEEESE_i11max_functorIiEiEEDaPvRmT3_T4_T5_mT6_P12ihipStream_tbENKUlT_T0_E_clISt17integral_constantIbLb1EEST_IbLb0EEEEDaSP_SQ_EUlSP_E_NS1_11comp_targetILNS1_3genE5ELNS1_11target_archE942ELNS1_3gpuE9ELNS1_3repE0EEENS1_30default_config_static_selectorELNS0_4arch9wavefront6targetE1EEEvT1_
                                        ; -- End function
	.section	.AMDGPU.csdata,"",@progbits
; Kernel info:
; codeLenInByte = 0
; NumSgprs: 4
; NumVgprs: 0
; NumAgprs: 0
; TotalNumVgprs: 0
; ScratchSize: 0
; MemoryBound: 0
; FloatMode: 240
; IeeeMode: 1
; LDSByteSize: 0 bytes/workgroup (compile time only)
; SGPRBlocks: 0
; VGPRBlocks: 0
; NumSGPRsForWavesPerEU: 4
; NumVGPRsForWavesPerEU: 1
; AccumOffset: 4
; Occupancy: 8
; WaveLimiterHint : 0
; COMPUTE_PGM_RSRC2:SCRATCH_EN: 0
; COMPUTE_PGM_RSRC2:USER_SGPR: 6
; COMPUTE_PGM_RSRC2:TRAP_HANDLER: 0
; COMPUTE_PGM_RSRC2:TGID_X_EN: 1
; COMPUTE_PGM_RSRC2:TGID_Y_EN: 0
; COMPUTE_PGM_RSRC2:TGID_Z_EN: 0
; COMPUTE_PGM_RSRC2:TIDIG_COMP_CNT: 0
; COMPUTE_PGM_RSRC3_GFX90A:ACCUM_OFFSET: 0
; COMPUTE_PGM_RSRC3_GFX90A:TG_SPLIT: 0
	.section	.text._ZN7rocprim17ROCPRIM_400000_NS6detail17trampoline_kernelINS0_14default_configENS1_20scan_config_selectorIiEEZZNS1_9scan_implILNS1_25lookback_scan_determinismE0ELb1ELb1ES3_N6thrust23THRUST_200600_302600_NS6detail15normal_iteratorINS9_10device_ptrIiEEEESE_i11max_functorIiEiEEDaPvRmT3_T4_T5_mT6_P12ihipStream_tbENKUlT_T0_E_clISt17integral_constantIbLb1EEST_IbLb0EEEEDaSP_SQ_EUlSP_E_NS1_11comp_targetILNS1_3genE4ELNS1_11target_archE910ELNS1_3gpuE8ELNS1_3repE0EEENS1_30default_config_static_selectorELNS0_4arch9wavefront6targetE1EEEvT1_,"axG",@progbits,_ZN7rocprim17ROCPRIM_400000_NS6detail17trampoline_kernelINS0_14default_configENS1_20scan_config_selectorIiEEZZNS1_9scan_implILNS1_25lookback_scan_determinismE0ELb1ELb1ES3_N6thrust23THRUST_200600_302600_NS6detail15normal_iteratorINS9_10device_ptrIiEEEESE_i11max_functorIiEiEEDaPvRmT3_T4_T5_mT6_P12ihipStream_tbENKUlT_T0_E_clISt17integral_constantIbLb1EEST_IbLb0EEEEDaSP_SQ_EUlSP_E_NS1_11comp_targetILNS1_3genE4ELNS1_11target_archE910ELNS1_3gpuE8ELNS1_3repE0EEENS1_30default_config_static_selectorELNS0_4arch9wavefront6targetE1EEEvT1_,comdat
	.protected	_ZN7rocprim17ROCPRIM_400000_NS6detail17trampoline_kernelINS0_14default_configENS1_20scan_config_selectorIiEEZZNS1_9scan_implILNS1_25lookback_scan_determinismE0ELb1ELb1ES3_N6thrust23THRUST_200600_302600_NS6detail15normal_iteratorINS9_10device_ptrIiEEEESE_i11max_functorIiEiEEDaPvRmT3_T4_T5_mT6_P12ihipStream_tbENKUlT_T0_E_clISt17integral_constantIbLb1EEST_IbLb0EEEEDaSP_SQ_EUlSP_E_NS1_11comp_targetILNS1_3genE4ELNS1_11target_archE910ELNS1_3gpuE8ELNS1_3repE0EEENS1_30default_config_static_selectorELNS0_4arch9wavefront6targetE1EEEvT1_ ; -- Begin function _ZN7rocprim17ROCPRIM_400000_NS6detail17trampoline_kernelINS0_14default_configENS1_20scan_config_selectorIiEEZZNS1_9scan_implILNS1_25lookback_scan_determinismE0ELb1ELb1ES3_N6thrust23THRUST_200600_302600_NS6detail15normal_iteratorINS9_10device_ptrIiEEEESE_i11max_functorIiEiEEDaPvRmT3_T4_T5_mT6_P12ihipStream_tbENKUlT_T0_E_clISt17integral_constantIbLb1EEST_IbLb0EEEEDaSP_SQ_EUlSP_E_NS1_11comp_targetILNS1_3genE4ELNS1_11target_archE910ELNS1_3gpuE8ELNS1_3repE0EEENS1_30default_config_static_selectorELNS0_4arch9wavefront6targetE1EEEvT1_
	.globl	_ZN7rocprim17ROCPRIM_400000_NS6detail17trampoline_kernelINS0_14default_configENS1_20scan_config_selectorIiEEZZNS1_9scan_implILNS1_25lookback_scan_determinismE0ELb1ELb1ES3_N6thrust23THRUST_200600_302600_NS6detail15normal_iteratorINS9_10device_ptrIiEEEESE_i11max_functorIiEiEEDaPvRmT3_T4_T5_mT6_P12ihipStream_tbENKUlT_T0_E_clISt17integral_constantIbLb1EEST_IbLb0EEEEDaSP_SQ_EUlSP_E_NS1_11comp_targetILNS1_3genE4ELNS1_11target_archE910ELNS1_3gpuE8ELNS1_3repE0EEENS1_30default_config_static_selectorELNS0_4arch9wavefront6targetE1EEEvT1_
	.p2align	8
	.type	_ZN7rocprim17ROCPRIM_400000_NS6detail17trampoline_kernelINS0_14default_configENS1_20scan_config_selectorIiEEZZNS1_9scan_implILNS1_25lookback_scan_determinismE0ELb1ELb1ES3_N6thrust23THRUST_200600_302600_NS6detail15normal_iteratorINS9_10device_ptrIiEEEESE_i11max_functorIiEiEEDaPvRmT3_T4_T5_mT6_P12ihipStream_tbENKUlT_T0_E_clISt17integral_constantIbLb1EEST_IbLb0EEEEDaSP_SQ_EUlSP_E_NS1_11comp_targetILNS1_3genE4ELNS1_11target_archE910ELNS1_3gpuE8ELNS1_3repE0EEENS1_30default_config_static_selectorELNS0_4arch9wavefront6targetE1EEEvT1_,@function
_ZN7rocprim17ROCPRIM_400000_NS6detail17trampoline_kernelINS0_14default_configENS1_20scan_config_selectorIiEEZZNS1_9scan_implILNS1_25lookback_scan_determinismE0ELb1ELb1ES3_N6thrust23THRUST_200600_302600_NS6detail15normal_iteratorINS9_10device_ptrIiEEEESE_i11max_functorIiEiEEDaPvRmT3_T4_T5_mT6_P12ihipStream_tbENKUlT_T0_E_clISt17integral_constantIbLb1EEST_IbLb0EEEEDaSP_SQ_EUlSP_E_NS1_11comp_targetILNS1_3genE4ELNS1_11target_archE910ELNS1_3gpuE8ELNS1_3repE0EEENS1_30default_config_static_selectorELNS0_4arch9wavefront6targetE1EEEvT1_: ; @_ZN7rocprim17ROCPRIM_400000_NS6detail17trampoline_kernelINS0_14default_configENS1_20scan_config_selectorIiEEZZNS1_9scan_implILNS1_25lookback_scan_determinismE0ELb1ELb1ES3_N6thrust23THRUST_200600_302600_NS6detail15normal_iteratorINS9_10device_ptrIiEEEESE_i11max_functorIiEiEEDaPvRmT3_T4_T5_mT6_P12ihipStream_tbENKUlT_T0_E_clISt17integral_constantIbLb1EEST_IbLb0EEEEDaSP_SQ_EUlSP_E_NS1_11comp_targetILNS1_3genE4ELNS1_11target_archE910ELNS1_3gpuE8ELNS1_3repE0EEENS1_30default_config_static_selectorELNS0_4arch9wavefront6targetE1EEEvT1_
; %bb.0:
	s_load_dwordx8 s[8:15], s[4:5], 0x0
	s_load_dword s1, s[4:5], 0x30
	s_mul_i32 s0, s6, 0x500
	v_lshlrev_b32_e32 v22, 2, v0
	s_waitcnt lgkmcnt(0)
	s_lshl_b64 s[10:11], s[10:11], 2
	s_add_u32 s27, s8, s10
	s_addc_u32 s28, s9, s11
	s_add_i32 s2, s1, -1
	s_mul_i32 s3, s2, 0x500
	s_sub_u32 s7, s14, s3
	s_subb_u32 s26, s15, 0
	s_mov_b32 s1, 0
	s_cmp_lg_u32 s6, s2
	s_cselect_b64 s[8:9], -1, 0
	s_lshl_b64 s[14:15], s[0:1], 2
	s_add_u32 s2, s27, s14
	s_addc_u32 s3, s28, s15
	s_mov_b64 s[0:1], -1
	s_and_b64 vcc, exec, s[8:9]
	s_cbranch_vccz .LBB2812_2
; %bb.1:
	v_mov_b32_e32 v1, s3
	v_add_co_u32_e32 v2, vcc, s2, v22
	v_addc_co_u32_e32 v3, vcc, 0, v1, vcc
	flat_load_dword v1, v[2:3]
	flat_load_dword v4, v[2:3] offset:512
	flat_load_dword v5, v[2:3] offset:1024
	;; [unrolled: 1-line block ×7, first 2 shown]
	v_add_co_u32_e32 v2, vcc, 0x1000, v2
	v_addc_co_u32_e32 v3, vcc, 0, v3, vcc
	flat_load_dword v11, v[2:3]
	flat_load_dword v12, v[2:3] offset:512
	s_mov_b64 s[0:1], 0
	s_waitcnt vmcnt(0) lgkmcnt(0)
	ds_write2st64_b32 v22, v1, v4 offset1:2
	ds_write2st64_b32 v22, v5, v6 offset0:4 offset1:6
	ds_write2st64_b32 v22, v7, v8 offset0:8 offset1:10
	;; [unrolled: 1-line block ×4, first 2 shown]
	s_waitcnt lgkmcnt(0)
	s_barrier
.LBB2812_2:
	s_load_dwordx2 s[24:25], s[4:5], 0x28
	s_andn2_b64 vcc, exec, s[0:1]
	v_cmp_gt_u32_e64 s[0:1], s7, v0
	s_cbranch_vccnz .LBB2812_24
; %bb.3:
	v_pk_mov_b32 v[2:3], s[2:3], s[2:3] op_sel:[0,1]
	flat_load_dword v1, v[2:3]
	s_waitcnt vmcnt(0) lgkmcnt(0)
	v_mov_b32_e32 v2, v1
	v_mov_b32_e32 v3, v1
	;; [unrolled: 1-line block ×9, first 2 shown]
	s_and_saveexec_b64 s[16:17], s[0:1]
	s_cbranch_execz .LBB2812_5
; %bb.4:
	v_mov_b32_e32 v11, s3
	v_add_co_u32_e32 v10, vcc, s2, v22
	v_addc_co_u32_e32 v11, vcc, 0, v11, vcc
	flat_load_dword v10, v[10:11]
.LBB2812_5:
	s_or_b64 exec, exec, s[16:17]
	v_or_b32_e32 v11, 0x80, v0
	v_cmp_gt_u32_e32 vcc, s7, v11
	s_and_saveexec_b64 s[0:1], vcc
	s_cbranch_execz .LBB2812_7
; %bb.6:
	v_mov_b32_e32 v1, s3
	v_add_co_u32_e32 v12, vcc, s2, v22
	v_addc_co_u32_e32 v13, vcc, 0, v1, vcc
	flat_load_dword v1, v[12:13] offset:512
.LBB2812_7:
	s_or_b64 exec, exec, s[0:1]
	v_or_b32_e32 v11, 0x100, v0
	v_cmp_gt_u32_e32 vcc, s7, v11
	s_and_saveexec_b64 s[0:1], vcc
	s_cbranch_execz .LBB2812_9
; %bb.8:
	v_mov_b32_e32 v2, s3
	v_add_co_u32_e32 v12, vcc, s2, v22
	v_addc_co_u32_e32 v13, vcc, 0, v2, vcc
	flat_load_dword v2, v[12:13] offset:1024
.LBB2812_9:
	;; [unrolled: 11-line block ×7, first 2 shown]
	s_or_b64 exec, exec, s[0:1]
	v_or_b32_e32 v11, 0x400, v0
	v_cmp_gt_u32_e32 vcc, s7, v11
	s_and_saveexec_b64 s[0:1], vcc
	s_cbranch_execz .LBB2812_21
; %bb.20:
	v_lshlrev_b32_e32 v8, 2, v11
	v_mov_b32_e32 v11, s3
	v_add_co_u32_e32 v12, vcc, s2, v8
	v_addc_co_u32_e32 v13, vcc, 0, v11, vcc
	flat_load_dword v8, v[12:13]
.LBB2812_21:
	s_or_b64 exec, exec, s[0:1]
	v_or_b32_e32 v11, 0x480, v0
	v_cmp_gt_u32_e32 vcc, s7, v11
	s_and_saveexec_b64 s[0:1], vcc
	s_cbranch_execz .LBB2812_23
; %bb.22:
	v_lshlrev_b32_e32 v9, 2, v11
	v_mov_b32_e32 v11, s3
	v_add_co_u32_e32 v12, vcc, s2, v9
	v_addc_co_u32_e32 v13, vcc, 0, v11, vcc
	flat_load_dword v9, v[12:13]
.LBB2812_23:
	s_or_b64 exec, exec, s[0:1]
	s_waitcnt vmcnt(0) lgkmcnt(0)
	ds_write2st64_b32 v22, v10, v1 offset1:2
	ds_write2st64_b32 v22, v2, v3 offset0:4 offset1:6
	ds_write2st64_b32 v22, v4, v5 offset0:8 offset1:10
	;; [unrolled: 1-line block ×4, first 2 shown]
	s_waitcnt lgkmcnt(0)
	s_barrier
.LBB2812_24:
	v_mul_u32_u24_e32 v23, 10, v0
	v_lshlrev_b32_e32 v24, 2, v23
	s_waitcnt lgkmcnt(0)
	ds_read2_b64 v[16:19], v24 offset1:1
	ds_read2_b64 v[12:15], v24 offset0:2 offset1:3
	ds_read_b64 v[20:21], v24 offset:32
	s_cmp_lg_u32 s6, 0
	v_cmp_gt_u32_e32 vcc, 64, v0
	s_waitcnt lgkmcnt(2)
	v_max_i32_e32 v1, v16, v17
	v_max3_i32 v25, v1, v18, v19
	v_lshrrev_b32_e32 v1, 5, v0
	s_waitcnt lgkmcnt(0)
	s_barrier
	s_cbranch_scc0 .LBB2812_53
; %bb.25:
	v_max3_i32 v2, v25, v12, v13
	v_max3_i32 v2, v2, v14, v15
	;; [unrolled: 1-line block ×3, first 2 shown]
	v_add_lshl_u32 v2, v1, v0, 2
	ds_write_b32 v2, v26
	s_waitcnt lgkmcnt(0)
	s_barrier
	s_and_saveexec_b64 s[2:3], vcc
	s_cbranch_execz .LBB2812_27
; %bb.26:
	v_lshlrev_b32_e32 v2, 1, v0
	v_lshrrev_b32_e32 v3, 4, v0
	v_add_lshl_u32 v4, v3, v2, 2
	ds_read2_b32 v[2:3], v4 offset1:1
	v_mbcnt_lo_u32_b32 v5, -1, 0
	v_mbcnt_hi_u32_b32 v5, -1, v5
	v_and_b32_e32 v6, 15, v5
	v_cmp_eq_u32_e64 s[0:1], 0, v6
	s_waitcnt lgkmcnt(0)
	v_max_i32_e32 v3, v2, v3
	; wave barrier
	s_nop 1
	v_mov_b32_dpp v7, v3 row_shr:1 row_mask:0xf bank_mask:0xf
	v_max_i32_e32 v7, v7, v3
	v_cndmask_b32_e64 v3, v7, v3, s[0:1]
	v_cmp_lt_u32_e64 s[0:1], 1, v6
	s_nop 0
	v_mov_b32_dpp v7, v3 row_shr:2 row_mask:0xf bank_mask:0xf
	v_max_i32_e32 v7, v7, v3
	v_cndmask_b32_e64 v3, v3, v7, s[0:1]
	v_cmp_lt_u32_e64 s[0:1], 3, v6
	;; [unrolled: 5-line block ×3, first 2 shown]
	s_nop 0
	v_mov_b32_dpp v7, v3 row_shr:8 row_mask:0xf bank_mask:0xf
	v_max_i32_e32 v7, v7, v3
	v_cndmask_b32_e64 v3, v3, v7, s[0:1]
	v_and_b32_e32 v7, 16, v5
	v_cmp_eq_u32_e64 s[0:1], 0, v7
	v_mov_b32_dpp v6, v3 row_bcast:15 row_mask:0xf bank_mask:0xf
	v_max_i32_e32 v6, v6, v3
	v_cndmask_b32_e64 v3, v6, v3, s[0:1]
	v_cmp_lt_u32_e64 s[0:1], 31, v5
	v_and_b32_e32 v7, 64, v5
	v_mov_b32_dpp v6, v3 row_bcast:31 row_mask:0xf bank_mask:0xf
	v_max_i32_e32 v6, v6, v3
	v_cndmask_b32_e64 v3, v3, v6, s[0:1]
	v_add_u32_e32 v6, -1, v5
	v_cmp_lt_i32_e64 s[0:1], v6, v7
	v_cndmask_b32_e64 v5, v6, v5, s[0:1]
	v_lshlrev_b32_e32 v5, 2, v5
	ds_bpermute_b32 v3, v5, v3
	v_cmp_eq_u32_e64 s[0:1], 0, v0
	s_waitcnt lgkmcnt(0)
	v_max_i32_e32 v2, v3, v2
	v_cndmask_b32_e64 v2, v2, v26, s[0:1]
	ds_write_b32 v4, v2
	; wave barrier
	ds_read_b32 v3, v4 offset:4
	s_waitcnt lgkmcnt(0)
	v_max_i32_e32 v2, v2, v3
	ds_write_b32 v4, v2 offset:4
.LBB2812_27:
	s_or_b64 exec, exec, s[2:3]
	v_cmp_eq_u32_e64 s[0:1], 0, v0
	v_cmp_ne_u32_e64 s[2:3], 0, v0
	s_waitcnt lgkmcnt(0)
	s_barrier
	s_and_saveexec_b64 s[16:17], s[2:3]
	s_cbranch_execz .LBB2812_29
; %bb.28:
	v_add_u32_e32 v2, -1, v0
	v_lshrrev_b32_e32 v3, 5, v2
	v_add_lshl_u32 v2, v3, v2, 2
	ds_read_b32 v26, v2
.LBB2812_29:
	s_or_b64 exec, exec, s[16:17]
	s_and_saveexec_b64 s[16:17], vcc
	s_cbranch_execz .LBB2812_52
; %bb.30:
	v_mov_b32_e32 v11, 0
	ds_read_b32 v2, v11 offset:520
	v_mbcnt_lo_u32_b32 v3, -1, 0
	v_mbcnt_hi_u32_b32 v5, -1, v3
	s_mov_b32 s21, 0
	v_cmp_eq_u32_e64 s[2:3], 0, v5
	s_and_saveexec_b64 s[18:19], s[2:3]
	s_cbranch_execz .LBB2812_32
; %bb.31:
	s_add_i32 s20, s6, 64
	s_lshl_b64 s[20:21], s[20:21], 3
	s_add_u32 s20, s24, s20
	v_mov_b32_e32 v3, 1
	s_addc_u32 s21, s25, s21
	s_waitcnt lgkmcnt(0)
	global_store_dwordx2 v11, v[2:3], s[20:21]
.LBB2812_32:
	s_or_b64 exec, exec, s[18:19]
	v_xad_u32 v4, v5, -1, s6
	v_add_u32_e32 v10, 64, v4
	v_lshlrev_b64 v[6:7], 3, v[10:11]
	v_mov_b32_e32 v3, s25
	v_add_co_u32_e32 v6, vcc, s24, v6
	v_addc_co_u32_e32 v7, vcc, v3, v7, vcc
	global_load_dwordx2 v[8:9], v[6:7], off glc
	s_waitcnt vmcnt(0)
	v_cmp_eq_u16_sdwa s[20:21], v9, v11 src0_sel:BYTE_0 src1_sel:DWORD
	s_and_saveexec_b64 s[18:19], s[20:21]
	s_cbranch_execz .LBB2812_38
; %bb.33:
	s_mov_b32 s22, 1
	s_mov_b64 s[20:21], 0
	v_mov_b32_e32 v3, 0
.LBB2812_34:                            ; =>This Loop Header: Depth=1
                                        ;     Child Loop BB2812_35 Depth 2
	s_max_u32 s23, s22, 1
.LBB2812_35:                            ;   Parent Loop BB2812_34 Depth=1
                                        ; =>  This Inner Loop Header: Depth=2
	s_add_i32 s23, s23, -1
	s_cmp_eq_u32 s23, 0
	s_sleep 1
	s_cbranch_scc0 .LBB2812_35
; %bb.36:                               ;   in Loop: Header=BB2812_34 Depth=1
	global_load_dwordx2 v[8:9], v[6:7], off glc
	s_cmp_lt_u32 s22, 32
	s_cselect_b64 s[30:31], -1, 0
	s_cmp_lg_u64 s[30:31], 0
	s_addc_u32 s22, s22, 0
	s_waitcnt vmcnt(0)
	v_cmp_ne_u16_sdwa s[30:31], v9, v3 src0_sel:BYTE_0 src1_sel:DWORD
	s_or_b64 s[20:21], s[30:31], s[20:21]
	s_andn2_b64 exec, exec, s[20:21]
	s_cbranch_execnz .LBB2812_34
; %bb.37:
	s_or_b64 exec, exec, s[20:21]
.LBB2812_38:
	s_or_b64 exec, exec, s[18:19]
	v_and_b32_e32 v27, 63, v5
	v_cmp_ne_u32_e32 vcc, 63, v27
	v_mov_b32_e32 v3, 2
	v_addc_co_u32_e32 v28, vcc, 0, v5, vcc
	v_cmp_eq_u16_sdwa s[18:19], v9, v3 src0_sel:BYTE_0 src1_sel:DWORD
	v_lshlrev_b64 v[6:7], v5, -1
	v_lshlrev_b32_e32 v28, 2, v28
	v_and_b32_e32 v10, s19, v7
	ds_bpermute_b32 v29, v28, v8
	v_or_b32_e32 v10, 0x80000000, v10
	v_and_b32_e32 v11, s18, v6
	v_ffbl_b32_e32 v10, v10
	v_add_u32_e32 v10, 32, v10
	v_ffbl_b32_e32 v11, v11
	v_min_u32_e32 v10, v11, v10
	s_waitcnt lgkmcnt(0)
	v_max_i32_e32 v11, v29, v8
	v_cmp_lt_u32_e32 vcc, v27, v10
	v_cndmask_b32_e32 v8, v8, v11, vcc
	v_cmp_gt_u32_e32 vcc, 62, v27
	v_cndmask_b32_e64 v11, 0, 1, vcc
	v_lshlrev_b32_e32 v11, 1, v11
	v_add_lshl_u32 v29, v11, v5, 2
	ds_bpermute_b32 v11, v29, v8
	v_add_u32_e32 v30, 2, v27
	v_cmp_gt_u32_e32 vcc, v30, v10
	v_add_u32_e32 v32, 4, v27
	v_add_u32_e32 v34, 8, v27
	s_waitcnt lgkmcnt(0)
	v_max_i32_e32 v11, v11, v8
	v_cndmask_b32_e32 v8, v11, v8, vcc
	v_cmp_gt_u32_e32 vcc, 60, v27
	v_cndmask_b32_e64 v11, 0, 1, vcc
	v_lshlrev_b32_e32 v11, 2, v11
	v_add_lshl_u32 v31, v11, v5, 2
	ds_bpermute_b32 v11, v31, v8
	v_cmp_gt_u32_e32 vcc, v32, v10
	v_add_u32_e32 v37, 16, v27
	v_add_u32_e32 v39, 32, v27
	s_waitcnt lgkmcnt(0)
	v_max_i32_e32 v11, v11, v8
	v_cndmask_b32_e32 v8, v11, v8, vcc
	v_cmp_gt_u32_e32 vcc, 56, v27
	v_cndmask_b32_e64 v11, 0, 1, vcc
	v_lshlrev_b32_e32 v11, 3, v11
	v_add_lshl_u32 v33, v11, v5, 2
	ds_bpermute_b32 v11, v33, v8
	v_cmp_gt_u32_e32 vcc, v34, v10
	s_waitcnt lgkmcnt(0)
	v_max_i32_e32 v11, v11, v8
	v_cndmask_b32_e32 v8, v11, v8, vcc
	v_cmp_gt_u32_e32 vcc, 48, v27
	v_cndmask_b32_e64 v11, 0, 1, vcc
	v_lshlrev_b32_e32 v11, 4, v11
	v_add_lshl_u32 v35, v11, v5, 2
	ds_bpermute_b32 v11, v35, v8
	v_cmp_gt_u32_e32 vcc, v37, v10
	;; [unrolled: 9-line block ×3, first 2 shown]
	s_waitcnt lgkmcnt(0)
	v_max_i32_e32 v5, v5, v8
	v_cndmask_b32_e32 v8, v5, v8, vcc
	v_mov_b32_e32 v5, 0
	s_branch .LBB2812_40
.LBB2812_39:                            ;   in Loop: Header=BB2812_40 Depth=1
	s_or_b64 exec, exec, s[18:19]
	v_cmp_eq_u16_sdwa s[18:19], v9, v3 src0_sel:BYTE_0 src1_sel:DWORD
	v_and_b32_e32 v10, s19, v7
	ds_bpermute_b32 v40, v28, v8
	v_or_b32_e32 v10, 0x80000000, v10
	v_and_b32_e32 v11, s18, v6
	v_ffbl_b32_e32 v10, v10
	v_add_u32_e32 v10, 32, v10
	v_ffbl_b32_e32 v11, v11
	v_min_u32_e32 v10, v11, v10
	s_waitcnt lgkmcnt(0)
	v_max_i32_e32 v11, v40, v8
	v_cmp_lt_u32_e32 vcc, v27, v10
	v_cndmask_b32_e32 v8, v8, v11, vcc
	ds_bpermute_b32 v11, v29, v8
	v_cmp_gt_u32_e32 vcc, v30, v10
	v_subrev_u32_e32 v4, 64, v4
	s_waitcnt lgkmcnt(0)
	v_max_i32_e32 v11, v11, v8
	v_cndmask_b32_e32 v8, v11, v8, vcc
	ds_bpermute_b32 v11, v31, v8
	v_cmp_gt_u32_e32 vcc, v32, v10
	s_waitcnt lgkmcnt(0)
	v_max_i32_e32 v11, v11, v8
	v_cndmask_b32_e32 v8, v11, v8, vcc
	ds_bpermute_b32 v11, v33, v8
	v_cmp_gt_u32_e32 vcc, v34, v10
	;; [unrolled: 5-line block ×4, first 2 shown]
	s_waitcnt lgkmcnt(0)
	v_max_i32_e32 v11, v11, v8
	v_cndmask_b32_e32 v8, v11, v8, vcc
	v_max_i32_e32 v8, v8, v36
.LBB2812_40:                            ; =>This Loop Header: Depth=1
                                        ;     Child Loop BB2812_43 Depth 2
                                        ;       Child Loop BB2812_44 Depth 3
	v_cmp_ne_u16_sdwa s[18:19], v9, v3 src0_sel:BYTE_0 src1_sel:DWORD
	v_cndmask_b32_e64 v9, 0, 1, s[18:19]
	;;#ASMSTART
	;;#ASMEND
	v_cmp_ne_u32_e32 vcc, 0, v9
	s_cmp_lg_u64 vcc, exec
	v_mov_b32_e32 v36, v8
	s_cbranch_scc1 .LBB2812_47
; %bb.41:                               ;   in Loop: Header=BB2812_40 Depth=1
	v_lshlrev_b64 v[8:9], 3, v[4:5]
	v_mov_b32_e32 v11, s25
	v_add_co_u32_e32 v10, vcc, s24, v8
	v_addc_co_u32_e32 v11, vcc, v11, v9, vcc
	global_load_dwordx2 v[8:9], v[10:11], off glc
	s_waitcnt vmcnt(0)
	v_cmp_eq_u16_sdwa s[20:21], v9, v5 src0_sel:BYTE_0 src1_sel:DWORD
	s_and_saveexec_b64 s[18:19], s[20:21]
	s_cbranch_execz .LBB2812_39
; %bb.42:                               ;   in Loop: Header=BB2812_40 Depth=1
	s_mov_b32 s22, 1
	s_mov_b64 s[20:21], 0
.LBB2812_43:                            ;   Parent Loop BB2812_40 Depth=1
                                        ; =>  This Loop Header: Depth=2
                                        ;       Child Loop BB2812_44 Depth 3
	s_max_u32 s23, s22, 1
.LBB2812_44:                            ;   Parent Loop BB2812_40 Depth=1
                                        ;     Parent Loop BB2812_43 Depth=2
                                        ; =>    This Inner Loop Header: Depth=3
	s_add_i32 s23, s23, -1
	s_cmp_eq_u32 s23, 0
	s_sleep 1
	s_cbranch_scc0 .LBB2812_44
; %bb.45:                               ;   in Loop: Header=BB2812_43 Depth=2
	global_load_dwordx2 v[8:9], v[10:11], off glc
	s_cmp_lt_u32 s22, 32
	s_cselect_b64 s[30:31], -1, 0
	s_cmp_lg_u64 s[30:31], 0
	s_addc_u32 s22, s22, 0
	s_waitcnt vmcnt(0)
	v_cmp_ne_u16_sdwa s[30:31], v9, v5 src0_sel:BYTE_0 src1_sel:DWORD
	s_or_b64 s[20:21], s[30:31], s[20:21]
	s_andn2_b64 exec, exec, s[20:21]
	s_cbranch_execnz .LBB2812_43
; %bb.46:                               ;   in Loop: Header=BB2812_40 Depth=1
	s_or_b64 exec, exec, s[20:21]
	s_branch .LBB2812_39
.LBB2812_47:                            ;   in Loop: Header=BB2812_40 Depth=1
                                        ; implicit-def: $vgpr8
                                        ; implicit-def: $vgpr9
	s_cbranch_execz .LBB2812_40
; %bb.48:
	s_and_saveexec_b64 s[18:19], s[2:3]
	s_cbranch_execz .LBB2812_50
; %bb.49:
	s_add_i32 s2, s6, 64
	s_mov_b32 s3, 0
	s_lshl_b64 s[2:3], s[2:3], 3
	s_add_u32 s2, s24, s2
	v_max_i32_e32 v2, v36, v2
	v_mov_b32_e32 v3, 2
	s_addc_u32 s3, s25, s3
	v_mov_b32_e32 v4, 0
	global_store_dwordx2 v4, v[2:3], s[2:3]
.LBB2812_50:
	s_or_b64 exec, exec, s[18:19]
	s_and_b64 exec, exec, s[0:1]
	s_cbranch_execz .LBB2812_52
; %bb.51:
	v_mov_b32_e32 v2, 0
	ds_write_b32 v2, v36
.LBB2812_52:
	s_or_b64 exec, exec, s[16:17]
	v_mov_b32_e32 v2, 0
	s_waitcnt lgkmcnt(0)
	s_barrier
	ds_read_b32 v2, v2
	s_waitcnt lgkmcnt(0)
	v_max_i32_e32 v3, v2, v26
	v_cndmask_b32_e64 v2, v3, v2, s[0:1]
	v_max_i32_e32 v3, v2, v16
	v_max_i32_e32 v4, v3, v17
	;; [unrolled: 1-line block ×9, first 2 shown]
	s_load_dwordx8 s[16:23], s[4:5], 0x38
	s_branch .LBB2812_63
.LBB2812_53:
                                        ; implicit-def: $vgpr2_vgpr3_vgpr4_vgpr5_vgpr6_vgpr7_vgpr8_vgpr9_vgpr10_vgpr11
	s_load_dwordx8 s[16:23], s[4:5], 0x38
	s_cbranch_execz .LBB2812_63
; %bb.54:
	s_load_dword s0, s[4:5], 0x20
	s_waitcnt lgkmcnt(0)
	s_cmp_eq_u64 s[20:21], 0
	v_mov_b32_e32 v26, s0
	s_cbranch_scc1 .LBB2812_56
; %bb.55:
	v_mov_b32_e32 v2, 0
	global_load_dword v4, v2, s[16:17]
	v_mov_b32_e32 v3, s28
	v_add_co_u32_e64 v2, vcc, -4, s27
	v_addc_co_u32_e32 v3, vcc, -1, v3, vcc
	flat_load_dword v2, v[2:3]
	s_waitcnt vmcnt(0) lgkmcnt(0)
	v_max_i32_e32 v26, v4, v2
.LBB2812_56:
	v_max3_i32 v2, v25, v12, v13
	v_max3_i32 v2, v2, v14, v15
	;; [unrolled: 1-line block ×3, first 2 shown]
	v_add_lshl_u32 v1, v1, v0, 2
	v_cmp_gt_u32_e32 vcc, 64, v0
	ds_write_b32 v1, v2
	s_waitcnt lgkmcnt(0)
	s_barrier
	s_and_saveexec_b64 s[0:1], vcc
	s_cbranch_execz .LBB2812_58
; %bb.57:
	v_lshlrev_b32_e32 v1, 1, v0
	v_lshrrev_b32_e32 v3, 4, v0
	v_add_lshl_u32 v1, v3, v1, 2
	ds_read2_b32 v[4:5], v1 offset1:1
	v_mbcnt_lo_u32_b32 v3, -1, 0
	v_mbcnt_hi_u32_b32 v3, -1, v3
	v_and_b32_e32 v6, 15, v3
	v_cmp_eq_u32_e32 vcc, 0, v6
	s_waitcnt lgkmcnt(0)
	v_max_i32_e32 v5, v4, v5
	; wave barrier
	s_nop 1
	v_mov_b32_dpp v7, v5 row_shr:1 row_mask:0xf bank_mask:0xf
	v_max_i32_e32 v7, v7, v5
	v_cndmask_b32_e32 v5, v7, v5, vcc
	v_cmp_lt_u32_e32 vcc, 1, v6
	s_nop 0
	v_mov_b32_dpp v7, v5 row_shr:2 row_mask:0xf bank_mask:0xf
	v_max_i32_e32 v7, v7, v5
	v_cndmask_b32_e32 v5, v5, v7, vcc
	v_cmp_lt_u32_e32 vcc, 3, v6
	;; [unrolled: 5-line block ×3, first 2 shown]
	s_nop 0
	v_mov_b32_dpp v7, v5 row_shr:8 row_mask:0xf bank_mask:0xf
	v_max_i32_e32 v7, v7, v5
	v_cndmask_b32_e32 v5, v5, v7, vcc
	v_and_b32_e32 v7, 16, v3
	v_cmp_eq_u32_e32 vcc, 0, v7
	v_mov_b32_dpp v6, v5 row_bcast:15 row_mask:0xf bank_mask:0xf
	v_max_i32_e32 v6, v6, v5
	v_cndmask_b32_e32 v5, v6, v5, vcc
	v_cmp_lt_u32_e32 vcc, 31, v3
	v_and_b32_e32 v7, 64, v3
	v_mov_b32_dpp v6, v5 row_bcast:31 row_mask:0xf bank_mask:0xf
	v_max_i32_e32 v6, v6, v5
	v_cndmask_b32_e32 v5, v5, v6, vcc
	v_add_u32_e32 v6, -1, v3
	v_cmp_lt_i32_e32 vcc, v6, v7
	v_cndmask_b32_e32 v3, v6, v3, vcc
	v_lshlrev_b32_e32 v3, 2, v3
	ds_bpermute_b32 v3, v3, v5
	v_cmp_eq_u32_e32 vcc, 0, v0
	s_waitcnt lgkmcnt(0)
	v_max_i32_e32 v3, v3, v4
	v_cndmask_b32_e32 v2, v3, v2, vcc
	ds_write_b32 v1, v2
	; wave barrier
	ds_read_b32 v3, v1 offset:4
	s_waitcnt lgkmcnt(0)
	v_max_i32_e32 v2, v2, v3
	ds_write_b32 v1, v2 offset:4
.LBB2812_58:
	s_or_b64 exec, exec, s[0:1]
	v_cmp_eq_u32_e32 vcc, 0, v0
	v_cmp_ne_u32_e64 s[0:1], 0, v0
	v_mov_b32_e32 v2, v26
	s_waitcnt lgkmcnt(0)
	s_barrier
	s_and_saveexec_b64 s[2:3], s[0:1]
	s_cbranch_execz .LBB2812_60
; %bb.59:
	v_add_u32_e32 v1, -1, v0
	v_lshrrev_b32_e32 v2, 5, v1
	v_add_lshl_u32 v1, v2, v1, 2
	ds_read_b32 v1, v1
	s_waitcnt lgkmcnt(0)
	v_max_i32_e32 v2, v26, v1
.LBB2812_60:
	s_or_b64 exec, exec, s[2:3]
	v_max_i32_e32 v3, v2, v16
	v_max_i32_e32 v4, v3, v17
	;; [unrolled: 1-line block ×9, first 2 shown]
	s_and_saveexec_b64 s[0:1], vcc
	s_cbranch_execz .LBB2812_62
; %bb.61:
	v_mov_b32_e32 v1, 0
	ds_read_b32 v12, v1 offset:520
	v_mov_b32_e32 v13, 2
	s_waitcnt lgkmcnt(0)
	v_max_i32_e32 v12, v26, v12
	global_store_dwordx2 v1, v[12:13], s[24:25] offset:512
.LBB2812_62:
	s_or_b64 exec, exec, s[0:1]
.LBB2812_63:
	s_add_u32 s0, s12, s10
	s_addc_u32 s1, s13, s11
	s_add_u32 s2, s0, s14
	s_addc_u32 s3, s1, s15
	s_mov_b64 s[0:1], -1
	s_and_b64 vcc, exec, s[8:9]
	s_waitcnt lgkmcnt(0)
	s_barrier
	s_cbranch_vccz .LBB2812_65
; %bb.64:
	ds_write2_b64 v24, v[2:3], v[4:5] offset1:1
	ds_write2_b64 v24, v[6:7], v[8:9] offset0:2 offset1:3
	ds_write_b64 v24, v[10:11] offset:32
	s_waitcnt lgkmcnt(0)
	s_barrier
	ds_read2st64_b32 v[12:13], v22 offset1:2
	ds_read2st64_b32 v[14:15], v22 offset0:4 offset1:6
	ds_read2st64_b32 v[16:17], v22 offset0:8 offset1:10
	;; [unrolled: 1-line block ×4, first 2 shown]
	v_mov_b32_e32 v1, s3
	v_add_co_u32_e32 v26, vcc, s2, v22
	v_addc_co_u32_e32 v27, vcc, 0, v1, vcc
	s_waitcnt lgkmcnt(4)
	flat_store_dword v[26:27], v12
	flat_store_dword v[26:27], v13 offset:512
	s_waitcnt lgkmcnt(0)
	flat_store_dword v[26:27], v14 offset:1024
	flat_store_dword v[26:27], v15 offset:1536
	;; [unrolled: 1-line block ×6, first 2 shown]
	v_add_co_u32_e32 v12, vcc, 0x1000, v26
	v_addc_co_u32_e32 v13, vcc, 0, v27, vcc
	flat_store_dword v[12:13], v20
	flat_store_dword v[12:13], v21 offset:512
	s_mov_b64 s[0:1], 0
.LBB2812_65:
	s_andn2_b64 vcc, exec, s[0:1]
	s_cbranch_vccnz .LBB2812_121
; %bb.66:
	s_movk_i32 s0, 0xffdc
	ds_write2_b64 v24, v[2:3], v[4:5] offset1:1
	ds_write2_b64 v24, v[6:7], v[8:9] offset0:2 offset1:3
	ds_write_b64 v24, v[10:11] offset:32
	v_mad_i32_i24 v10, v0, s0, v24
	s_waitcnt lgkmcnt(0)
	s_barrier
	ds_read2st64_b32 v[2:3], v10 offset1:2
	ds_read2st64_b32 v[6:7], v10 offset0:4 offset1:6
	ds_read2st64_b32 v[4:5], v10 offset0:8 offset1:10
	;; [unrolled: 1-line block ×4, first 2 shown]
	v_mov_b32_e32 v13, s3
	v_add_co_u32_e32 v12, vcc, s2, v22
	v_addc_co_u32_e32 v13, vcc, 0, v13, vcc
	v_mov_b32_e32 v1, 0
	v_cmp_gt_u32_e32 vcc, s7, v0
	s_and_saveexec_b64 s[0:1], vcc
	s_cbranch_execz .LBB2812_68
; %bb.67:
	s_waitcnt lgkmcnt(0)
	flat_store_dword v[12:13], v2
.LBB2812_68:
	s_or_b64 exec, exec, s[0:1]
	v_or_b32_e32 v14, 0x80, v0
	v_cmp_gt_u32_e32 vcc, s7, v14
	s_and_saveexec_b64 s[0:1], vcc
	s_cbranch_execz .LBB2812_70
; %bb.69:
	s_waitcnt lgkmcnt(0)
	flat_store_dword v[12:13], v3 offset:512
.LBB2812_70:
	s_or_b64 exec, exec, s[0:1]
	v_or_b32_e32 v14, 0x100, v0
	v_cmp_gt_u32_e32 vcc, s7, v14
	s_and_saveexec_b64 s[0:1], vcc
	s_cbranch_execz .LBB2812_72
; %bb.71:
	s_waitcnt lgkmcnt(0)
	flat_store_dword v[12:13], v6 offset:1024
.LBB2812_72:
	;; [unrolled: 9-line block ×7, first 2 shown]
	s_or_b64 exec, exec, s[0:1]
	v_or_b32_e32 v14, 0x400, v0
	v_cmp_gt_u32_e32 vcc, s7, v14
	s_and_saveexec_b64 s[0:1], vcc
	s_cbranch_execz .LBB2812_84
; %bb.83:
	v_add_co_u32_e32 v14, vcc, 0x1000, v12
	v_addc_co_u32_e32 v15, vcc, 0, v13, vcc
	s_waitcnt lgkmcnt(0)
	flat_store_dword v[14:15], v10
.LBB2812_84:
	s_or_b64 exec, exec, s[0:1]
	v_or_b32_e32 v14, 0x480, v0
	v_cmp_gt_u32_e32 vcc, s7, v14
	s_and_saveexec_b64 s[0:1], vcc
	s_cbranch_execz .LBB2812_86
; %bb.85:
	v_add_co_u32_e32 v12, vcc, 0x1000, v12
	v_addc_co_u32_e32 v13, vcc, 0, v13, vcc
	s_waitcnt lgkmcnt(0)
	flat_store_dword v[12:13], v11 offset:512
.LBB2812_86:
	s_or_b64 exec, exec, s[0:1]
	v_cmp_lt_u64_e64 s[0:1], s[22:23], 2
	s_and_b64 vcc, exec, s[0:1]
	s_cbranch_vccnz .LBB2812_121
; %bb.87:
	s_add_u32 s0, s7, -1
	s_addc_u32 s1, s26, -1
	s_add_u32 s2, 0, 0x99986000
	s_addc_u32 s3, 0, 0x59
	s_add_i32 s3, s3, 0x19999940
	s_mul_hi_u32 s7, s2, -10
	s_sub_i32 s7, s7, s2
	s_mul_i32 s8, s3, -10
	s_mul_i32 s4, s2, -10
	s_add_i32 s7, s7, s8
	s_mul_hi_u32 s5, s3, s4
	s_mul_i32 s6, s3, s4
	s_mul_i32 s9, s2, s7
	s_mul_hi_u32 s4, s2, s4
	s_mul_hi_u32 s8, s2, s7
	s_add_u32 s4, s4, s9
	s_addc_u32 s8, 0, s8
	s_add_u32 s4, s4, s6
	s_mul_hi_u32 s9, s3, s7
	s_addc_u32 s4, s8, s5
	s_addc_u32 s5, s9, 0
	s_mul_i32 s6, s3, s7
	s_add_u32 s4, s4, s6
	v_mov_b32_e32 v12, s4
	s_addc_u32 s5, 0, s5
	v_add_co_u32_e32 v12, vcc, s2, v12
	s_cmp_lg_u64 vcc, 0
	s_addc_u32 s2, s3, s5
	v_readfirstlane_b32 s5, v12
	s_mul_i32 s4, s0, s2
	s_mul_hi_u32 s6, s0, s5
	s_mul_hi_u32 s3, s0, s2
	s_add_u32 s4, s6, s4
	s_addc_u32 s3, 0, s3
	s_mul_hi_u32 s7, s1, s5
	s_mul_i32 s5, s1, s5
	s_add_u32 s4, s4, s5
	s_mul_hi_u32 s6, s1, s2
	s_addc_u32 s3, s3, s7
	s_addc_u32 s4, s6, 0
	s_mul_i32 s2, s1, s2
	s_add_u32 s2, s3, s2
	s_addc_u32 s3, 0, s4
	s_add_u32 s4, s2, 1
	s_addc_u32 s5, s3, 0
	s_add_u32 s6, s2, 2
	s_mul_i32 s8, s3, 10
	s_mul_hi_u32 s9, s2, 10
	s_addc_u32 s7, s3, 0
	s_add_i32 s9, s9, s8
	s_mul_i32 s8, s2, 10
	v_mov_b32_e32 v12, s8
	v_sub_co_u32_e32 v12, vcc, s0, v12
	s_cmp_lg_u64 vcc, 0
	s_subb_u32 s8, s1, s9
	v_subrev_co_u32_e32 v13, vcc, 10, v12
	s_cmp_lg_u64 vcc, 0
	s_subb_u32 s9, s8, 0
	v_readfirstlane_b32 s10, v13
	s_cmp_gt_u32 s10, 9
	s_cselect_b32 s10, -1, 0
	s_cmp_eq_u32 s9, 0
	s_cselect_b32 s9, s10, -1
	s_cmp_lg_u32 s9, 0
	s_cselect_b32 s4, s6, s4
	v_readfirstlane_b32 s6, v12
	s_cselect_b32 s5, s7, s5
	s_cmp_gt_u32 s6, 9
	s_cselect_b32 s6, -1, 0
	s_cmp_eq_u32 s8, 0
	s_cselect_b32 s6, s6, -1
	s_cmp_lg_u32 s6, 0
	s_cselect_b32 s3, s5, s3
	s_cselect_b32 s2, s4, s2
	v_cmp_eq_u64_e32 vcc, s[2:3], v[0:1]
	s_and_saveexec_b64 s[2:3], vcc
	s_cbranch_execz .LBB2812_121
; %bb.88:
	v_mul_hi_u32_u24_e32 v1, 10, v0
	v_mov_b32_e32 v12, s1
	v_sub_co_u32_e32 v0, vcc, s0, v23
	v_subb_co_u32_e32 v1, vcc, v12, v1, vcc
	v_cmp_lt_i64_e32 vcc, 4, v[0:1]
	s_and_saveexec_b64 s[0:1], vcc
	s_xor_b64 s[0:1], exec, s[0:1]
	s_cbranch_execz .LBB2812_106
; %bb.89:
	v_cmp_lt_i64_e32 vcc, 6, v[0:1]
	s_and_saveexec_b64 s[2:3], vcc
	s_xor_b64 s[2:3], exec, s[2:3]
	s_cbranch_execz .LBB2812_99
; %bb.90:
	;; [unrolled: 5-line block ×4, first 2 shown]
	v_mov_b32_e32 v0, 0
	s_waitcnt lgkmcnt(0)
	global_store_dword v0, v11, s[18:19]
                                        ; implicit-def: $vgpr10_vgpr11
.LBB2812_93:
	s_andn2_saveexec_b64 s[6:7], s[6:7]
	s_cbranch_execz .LBB2812_95
; %bb.94:
	v_mov_b32_e32 v0, 0
	s_waitcnt lgkmcnt(0)
	global_store_dword v0, v10, s[18:19]
.LBB2812_95:
	s_or_b64 exec, exec, s[6:7]
                                        ; implicit-def: $vgpr8_vgpr9
.LBB2812_96:
	s_andn2_saveexec_b64 s[4:5], s[4:5]
	s_cbranch_execz .LBB2812_98
; %bb.97:
	v_mov_b32_e32 v0, 0
	s_waitcnt lgkmcnt(0)
	global_store_dword v0, v9, s[18:19]
.LBB2812_98:
	s_or_b64 exec, exec, s[4:5]
                                        ; implicit-def: $vgpr4_vgpr5
                                        ; implicit-def: $vgpr0_vgpr1
                                        ; implicit-def: $vgpr8_vgpr9
.LBB2812_99:
	s_andn2_saveexec_b64 s[2:3], s[2:3]
	s_cbranch_execz .LBB2812_105
; %bb.100:
	v_cmp_lt_i64_e32 vcc, 5, v[0:1]
	s_and_saveexec_b64 s[4:5], vcc
	s_xor_b64 s[4:5], exec, s[4:5]
	s_cbranch_execz .LBB2812_102
; %bb.101:
	v_mov_b32_e32 v0, 0
	s_waitcnt lgkmcnt(0)
	global_store_dword v0, v8, s[18:19]
                                        ; implicit-def: $vgpr4_vgpr5
.LBB2812_102:
	s_andn2_saveexec_b64 s[4:5], s[4:5]
	s_cbranch_execz .LBB2812_104
; %bb.103:
	v_mov_b32_e32 v0, 0
	s_waitcnt lgkmcnt(0)
	global_store_dword v0, v5, s[18:19]
.LBB2812_104:
	s_or_b64 exec, exec, s[4:5]
.LBB2812_105:
	s_or_b64 exec, exec, s[2:3]
                                        ; implicit-def: $vgpr0_vgpr1
                                        ; implicit-def: $vgpr6_vgpr7
                                        ; implicit-def: $vgpr2_vgpr3
                                        ; implicit-def: $vgpr4_vgpr5
.LBB2812_106:
	s_andn2_saveexec_b64 s[0:1], s[0:1]
	s_cbranch_execz .LBB2812_121
; %bb.107:
	v_cmp_lt_i64_e32 vcc, 2, v[0:1]
	s_and_saveexec_b64 s[0:1], vcc
	s_xor_b64 s[0:1], exec, s[0:1]
	s_cbranch_execz .LBB2812_113
; %bb.108:
	v_cmp_lt_i64_e32 vcc, 3, v[0:1]
	s_and_saveexec_b64 s[2:3], vcc
	s_xor_b64 s[2:3], exec, s[2:3]
	s_cbranch_execz .LBB2812_110
; %bb.109:
	v_mov_b32_e32 v0, 0
	s_waitcnt lgkmcnt(0)
	global_store_dword v0, v4, s[18:19]
                                        ; implicit-def: $vgpr6_vgpr7
.LBB2812_110:
	s_andn2_saveexec_b64 s[2:3], s[2:3]
	s_cbranch_execz .LBB2812_112
; %bb.111:
	v_mov_b32_e32 v0, 0
	s_waitcnt lgkmcnt(0)
	global_store_dword v0, v7, s[18:19]
.LBB2812_112:
	s_or_b64 exec, exec, s[2:3]
                                        ; implicit-def: $vgpr0_vgpr1
                                        ; implicit-def: $vgpr6_vgpr7
                                        ; implicit-def: $vgpr2_vgpr3
.LBB2812_113:
	s_andn2_saveexec_b64 s[0:1], s[0:1]
	s_cbranch_execz .LBB2812_121
; %bb.114:
	v_cmp_lt_i64_e32 vcc, 1, v[0:1]
	s_and_saveexec_b64 s[0:1], vcc
	s_xor_b64 s[0:1], exec, s[0:1]
	s_cbranch_execz .LBB2812_116
; %bb.115:
	v_mov_b32_e32 v0, 0
	s_waitcnt lgkmcnt(0)
	global_store_dword v0, v6, s[18:19]
                                        ; implicit-def: $vgpr2_vgpr3
                                        ; implicit-def: $vgpr0_vgpr1
.LBB2812_116:
	s_andn2_saveexec_b64 s[0:1], s[0:1]
	s_cbranch_execz .LBB2812_121
; %bb.117:
	v_cmp_ne_u64_e32 vcc, 1, v[0:1]
	s_and_saveexec_b64 s[0:1], vcc
	s_xor_b64 s[0:1], exec, s[0:1]
	s_cbranch_execz .LBB2812_119
; %bb.118:
	v_mov_b32_e32 v0, 0
	s_waitcnt lgkmcnt(0)
	global_store_dword v0, v2, s[18:19]
                                        ; implicit-def: $vgpr2_vgpr3
.LBB2812_119:
	s_andn2_saveexec_b64 s[0:1], s[0:1]
	s_cbranch_execz .LBB2812_121
; %bb.120:
	v_mov_b32_e32 v0, 0
	s_waitcnt lgkmcnt(0)
	global_store_dword v0, v3, s[18:19]
.LBB2812_121:
	s_endpgm
	.section	.rodata,"a",@progbits
	.p2align	6, 0x0
	.amdhsa_kernel _ZN7rocprim17ROCPRIM_400000_NS6detail17trampoline_kernelINS0_14default_configENS1_20scan_config_selectorIiEEZZNS1_9scan_implILNS1_25lookback_scan_determinismE0ELb1ELb1ES3_N6thrust23THRUST_200600_302600_NS6detail15normal_iteratorINS9_10device_ptrIiEEEESE_i11max_functorIiEiEEDaPvRmT3_T4_T5_mT6_P12ihipStream_tbENKUlT_T0_E_clISt17integral_constantIbLb1EEST_IbLb0EEEEDaSP_SQ_EUlSP_E_NS1_11comp_targetILNS1_3genE4ELNS1_11target_archE910ELNS1_3gpuE8ELNS1_3repE0EEENS1_30default_config_static_selectorELNS0_4arch9wavefront6targetE1EEEvT1_
		.amdhsa_group_segment_fixed_size 5120
		.amdhsa_private_segment_fixed_size 0
		.amdhsa_kernarg_size 96
		.amdhsa_user_sgpr_count 6
		.amdhsa_user_sgpr_private_segment_buffer 1
		.amdhsa_user_sgpr_dispatch_ptr 0
		.amdhsa_user_sgpr_queue_ptr 0
		.amdhsa_user_sgpr_kernarg_segment_ptr 1
		.amdhsa_user_sgpr_dispatch_id 0
		.amdhsa_user_sgpr_flat_scratch_init 0
		.amdhsa_user_sgpr_kernarg_preload_length 0
		.amdhsa_user_sgpr_kernarg_preload_offset 0
		.amdhsa_user_sgpr_private_segment_size 0
		.amdhsa_uses_dynamic_stack 0
		.amdhsa_system_sgpr_private_segment_wavefront_offset 0
		.amdhsa_system_sgpr_workgroup_id_x 1
		.amdhsa_system_sgpr_workgroup_id_y 0
		.amdhsa_system_sgpr_workgroup_id_z 0
		.amdhsa_system_sgpr_workgroup_info 0
		.amdhsa_system_vgpr_workitem_id 0
		.amdhsa_next_free_vgpr 41
		.amdhsa_next_free_sgpr 32
		.amdhsa_accum_offset 44
		.amdhsa_reserve_vcc 1
		.amdhsa_reserve_flat_scratch 0
		.amdhsa_float_round_mode_32 0
		.amdhsa_float_round_mode_16_64 0
		.amdhsa_float_denorm_mode_32 3
		.amdhsa_float_denorm_mode_16_64 3
		.amdhsa_dx10_clamp 1
		.amdhsa_ieee_mode 1
		.amdhsa_fp16_overflow 0
		.amdhsa_tg_split 0
		.amdhsa_exception_fp_ieee_invalid_op 0
		.amdhsa_exception_fp_denorm_src 0
		.amdhsa_exception_fp_ieee_div_zero 0
		.amdhsa_exception_fp_ieee_overflow 0
		.amdhsa_exception_fp_ieee_underflow 0
		.amdhsa_exception_fp_ieee_inexact 0
		.amdhsa_exception_int_div_zero 0
	.end_amdhsa_kernel
	.section	.text._ZN7rocprim17ROCPRIM_400000_NS6detail17trampoline_kernelINS0_14default_configENS1_20scan_config_selectorIiEEZZNS1_9scan_implILNS1_25lookback_scan_determinismE0ELb1ELb1ES3_N6thrust23THRUST_200600_302600_NS6detail15normal_iteratorINS9_10device_ptrIiEEEESE_i11max_functorIiEiEEDaPvRmT3_T4_T5_mT6_P12ihipStream_tbENKUlT_T0_E_clISt17integral_constantIbLb1EEST_IbLb0EEEEDaSP_SQ_EUlSP_E_NS1_11comp_targetILNS1_3genE4ELNS1_11target_archE910ELNS1_3gpuE8ELNS1_3repE0EEENS1_30default_config_static_selectorELNS0_4arch9wavefront6targetE1EEEvT1_,"axG",@progbits,_ZN7rocprim17ROCPRIM_400000_NS6detail17trampoline_kernelINS0_14default_configENS1_20scan_config_selectorIiEEZZNS1_9scan_implILNS1_25lookback_scan_determinismE0ELb1ELb1ES3_N6thrust23THRUST_200600_302600_NS6detail15normal_iteratorINS9_10device_ptrIiEEEESE_i11max_functorIiEiEEDaPvRmT3_T4_T5_mT6_P12ihipStream_tbENKUlT_T0_E_clISt17integral_constantIbLb1EEST_IbLb0EEEEDaSP_SQ_EUlSP_E_NS1_11comp_targetILNS1_3genE4ELNS1_11target_archE910ELNS1_3gpuE8ELNS1_3repE0EEENS1_30default_config_static_selectorELNS0_4arch9wavefront6targetE1EEEvT1_,comdat
.Lfunc_end2812:
	.size	_ZN7rocprim17ROCPRIM_400000_NS6detail17trampoline_kernelINS0_14default_configENS1_20scan_config_selectorIiEEZZNS1_9scan_implILNS1_25lookback_scan_determinismE0ELb1ELb1ES3_N6thrust23THRUST_200600_302600_NS6detail15normal_iteratorINS9_10device_ptrIiEEEESE_i11max_functorIiEiEEDaPvRmT3_T4_T5_mT6_P12ihipStream_tbENKUlT_T0_E_clISt17integral_constantIbLb1EEST_IbLb0EEEEDaSP_SQ_EUlSP_E_NS1_11comp_targetILNS1_3genE4ELNS1_11target_archE910ELNS1_3gpuE8ELNS1_3repE0EEENS1_30default_config_static_selectorELNS0_4arch9wavefront6targetE1EEEvT1_, .Lfunc_end2812-_ZN7rocprim17ROCPRIM_400000_NS6detail17trampoline_kernelINS0_14default_configENS1_20scan_config_selectorIiEEZZNS1_9scan_implILNS1_25lookback_scan_determinismE0ELb1ELb1ES3_N6thrust23THRUST_200600_302600_NS6detail15normal_iteratorINS9_10device_ptrIiEEEESE_i11max_functorIiEiEEDaPvRmT3_T4_T5_mT6_P12ihipStream_tbENKUlT_T0_E_clISt17integral_constantIbLb1EEST_IbLb0EEEEDaSP_SQ_EUlSP_E_NS1_11comp_targetILNS1_3genE4ELNS1_11target_archE910ELNS1_3gpuE8ELNS1_3repE0EEENS1_30default_config_static_selectorELNS0_4arch9wavefront6targetE1EEEvT1_
                                        ; -- End function
	.section	.AMDGPU.csdata,"",@progbits
; Kernel info:
; codeLenInByte = 4500
; NumSgprs: 36
; NumVgprs: 41
; NumAgprs: 0
; TotalNumVgprs: 41
; ScratchSize: 0
; MemoryBound: 0
; FloatMode: 240
; IeeeMode: 1
; LDSByteSize: 5120 bytes/workgroup (compile time only)
; SGPRBlocks: 4
; VGPRBlocks: 5
; NumSGPRsForWavesPerEU: 36
; NumVGPRsForWavesPerEU: 41
; AccumOffset: 44
; Occupancy: 6
; WaveLimiterHint : 1
; COMPUTE_PGM_RSRC2:SCRATCH_EN: 0
; COMPUTE_PGM_RSRC2:USER_SGPR: 6
; COMPUTE_PGM_RSRC2:TRAP_HANDLER: 0
; COMPUTE_PGM_RSRC2:TGID_X_EN: 1
; COMPUTE_PGM_RSRC2:TGID_Y_EN: 0
; COMPUTE_PGM_RSRC2:TGID_Z_EN: 0
; COMPUTE_PGM_RSRC2:TIDIG_COMP_CNT: 0
; COMPUTE_PGM_RSRC3_GFX90A:ACCUM_OFFSET: 10
; COMPUTE_PGM_RSRC3_GFX90A:TG_SPLIT: 0
	.section	.text._ZN7rocprim17ROCPRIM_400000_NS6detail17trampoline_kernelINS0_14default_configENS1_20scan_config_selectorIiEEZZNS1_9scan_implILNS1_25lookback_scan_determinismE0ELb1ELb1ES3_N6thrust23THRUST_200600_302600_NS6detail15normal_iteratorINS9_10device_ptrIiEEEESE_i11max_functorIiEiEEDaPvRmT3_T4_T5_mT6_P12ihipStream_tbENKUlT_T0_E_clISt17integral_constantIbLb1EEST_IbLb0EEEEDaSP_SQ_EUlSP_E_NS1_11comp_targetILNS1_3genE3ELNS1_11target_archE908ELNS1_3gpuE7ELNS1_3repE0EEENS1_30default_config_static_selectorELNS0_4arch9wavefront6targetE1EEEvT1_,"axG",@progbits,_ZN7rocprim17ROCPRIM_400000_NS6detail17trampoline_kernelINS0_14default_configENS1_20scan_config_selectorIiEEZZNS1_9scan_implILNS1_25lookback_scan_determinismE0ELb1ELb1ES3_N6thrust23THRUST_200600_302600_NS6detail15normal_iteratorINS9_10device_ptrIiEEEESE_i11max_functorIiEiEEDaPvRmT3_T4_T5_mT6_P12ihipStream_tbENKUlT_T0_E_clISt17integral_constantIbLb1EEST_IbLb0EEEEDaSP_SQ_EUlSP_E_NS1_11comp_targetILNS1_3genE3ELNS1_11target_archE908ELNS1_3gpuE7ELNS1_3repE0EEENS1_30default_config_static_selectorELNS0_4arch9wavefront6targetE1EEEvT1_,comdat
	.protected	_ZN7rocprim17ROCPRIM_400000_NS6detail17trampoline_kernelINS0_14default_configENS1_20scan_config_selectorIiEEZZNS1_9scan_implILNS1_25lookback_scan_determinismE0ELb1ELb1ES3_N6thrust23THRUST_200600_302600_NS6detail15normal_iteratorINS9_10device_ptrIiEEEESE_i11max_functorIiEiEEDaPvRmT3_T4_T5_mT6_P12ihipStream_tbENKUlT_T0_E_clISt17integral_constantIbLb1EEST_IbLb0EEEEDaSP_SQ_EUlSP_E_NS1_11comp_targetILNS1_3genE3ELNS1_11target_archE908ELNS1_3gpuE7ELNS1_3repE0EEENS1_30default_config_static_selectorELNS0_4arch9wavefront6targetE1EEEvT1_ ; -- Begin function _ZN7rocprim17ROCPRIM_400000_NS6detail17trampoline_kernelINS0_14default_configENS1_20scan_config_selectorIiEEZZNS1_9scan_implILNS1_25lookback_scan_determinismE0ELb1ELb1ES3_N6thrust23THRUST_200600_302600_NS6detail15normal_iteratorINS9_10device_ptrIiEEEESE_i11max_functorIiEiEEDaPvRmT3_T4_T5_mT6_P12ihipStream_tbENKUlT_T0_E_clISt17integral_constantIbLb1EEST_IbLb0EEEEDaSP_SQ_EUlSP_E_NS1_11comp_targetILNS1_3genE3ELNS1_11target_archE908ELNS1_3gpuE7ELNS1_3repE0EEENS1_30default_config_static_selectorELNS0_4arch9wavefront6targetE1EEEvT1_
	.globl	_ZN7rocprim17ROCPRIM_400000_NS6detail17trampoline_kernelINS0_14default_configENS1_20scan_config_selectorIiEEZZNS1_9scan_implILNS1_25lookback_scan_determinismE0ELb1ELb1ES3_N6thrust23THRUST_200600_302600_NS6detail15normal_iteratorINS9_10device_ptrIiEEEESE_i11max_functorIiEiEEDaPvRmT3_T4_T5_mT6_P12ihipStream_tbENKUlT_T0_E_clISt17integral_constantIbLb1EEST_IbLb0EEEEDaSP_SQ_EUlSP_E_NS1_11comp_targetILNS1_3genE3ELNS1_11target_archE908ELNS1_3gpuE7ELNS1_3repE0EEENS1_30default_config_static_selectorELNS0_4arch9wavefront6targetE1EEEvT1_
	.p2align	8
	.type	_ZN7rocprim17ROCPRIM_400000_NS6detail17trampoline_kernelINS0_14default_configENS1_20scan_config_selectorIiEEZZNS1_9scan_implILNS1_25lookback_scan_determinismE0ELb1ELb1ES3_N6thrust23THRUST_200600_302600_NS6detail15normal_iteratorINS9_10device_ptrIiEEEESE_i11max_functorIiEiEEDaPvRmT3_T4_T5_mT6_P12ihipStream_tbENKUlT_T0_E_clISt17integral_constantIbLb1EEST_IbLb0EEEEDaSP_SQ_EUlSP_E_NS1_11comp_targetILNS1_3genE3ELNS1_11target_archE908ELNS1_3gpuE7ELNS1_3repE0EEENS1_30default_config_static_selectorELNS0_4arch9wavefront6targetE1EEEvT1_,@function
_ZN7rocprim17ROCPRIM_400000_NS6detail17trampoline_kernelINS0_14default_configENS1_20scan_config_selectorIiEEZZNS1_9scan_implILNS1_25lookback_scan_determinismE0ELb1ELb1ES3_N6thrust23THRUST_200600_302600_NS6detail15normal_iteratorINS9_10device_ptrIiEEEESE_i11max_functorIiEiEEDaPvRmT3_T4_T5_mT6_P12ihipStream_tbENKUlT_T0_E_clISt17integral_constantIbLb1EEST_IbLb0EEEEDaSP_SQ_EUlSP_E_NS1_11comp_targetILNS1_3genE3ELNS1_11target_archE908ELNS1_3gpuE7ELNS1_3repE0EEENS1_30default_config_static_selectorELNS0_4arch9wavefront6targetE1EEEvT1_: ; @_ZN7rocprim17ROCPRIM_400000_NS6detail17trampoline_kernelINS0_14default_configENS1_20scan_config_selectorIiEEZZNS1_9scan_implILNS1_25lookback_scan_determinismE0ELb1ELb1ES3_N6thrust23THRUST_200600_302600_NS6detail15normal_iteratorINS9_10device_ptrIiEEEESE_i11max_functorIiEiEEDaPvRmT3_T4_T5_mT6_P12ihipStream_tbENKUlT_T0_E_clISt17integral_constantIbLb1EEST_IbLb0EEEEDaSP_SQ_EUlSP_E_NS1_11comp_targetILNS1_3genE3ELNS1_11target_archE908ELNS1_3gpuE7ELNS1_3repE0EEENS1_30default_config_static_selectorELNS0_4arch9wavefront6targetE1EEEvT1_
; %bb.0:
	.section	.rodata,"a",@progbits
	.p2align	6, 0x0
	.amdhsa_kernel _ZN7rocprim17ROCPRIM_400000_NS6detail17trampoline_kernelINS0_14default_configENS1_20scan_config_selectorIiEEZZNS1_9scan_implILNS1_25lookback_scan_determinismE0ELb1ELb1ES3_N6thrust23THRUST_200600_302600_NS6detail15normal_iteratorINS9_10device_ptrIiEEEESE_i11max_functorIiEiEEDaPvRmT3_T4_T5_mT6_P12ihipStream_tbENKUlT_T0_E_clISt17integral_constantIbLb1EEST_IbLb0EEEEDaSP_SQ_EUlSP_E_NS1_11comp_targetILNS1_3genE3ELNS1_11target_archE908ELNS1_3gpuE7ELNS1_3repE0EEENS1_30default_config_static_selectorELNS0_4arch9wavefront6targetE1EEEvT1_
		.amdhsa_group_segment_fixed_size 0
		.amdhsa_private_segment_fixed_size 0
		.amdhsa_kernarg_size 96
		.amdhsa_user_sgpr_count 6
		.amdhsa_user_sgpr_private_segment_buffer 1
		.amdhsa_user_sgpr_dispatch_ptr 0
		.amdhsa_user_sgpr_queue_ptr 0
		.amdhsa_user_sgpr_kernarg_segment_ptr 1
		.amdhsa_user_sgpr_dispatch_id 0
		.amdhsa_user_sgpr_flat_scratch_init 0
		.amdhsa_user_sgpr_kernarg_preload_length 0
		.amdhsa_user_sgpr_kernarg_preload_offset 0
		.amdhsa_user_sgpr_private_segment_size 0
		.amdhsa_uses_dynamic_stack 0
		.amdhsa_system_sgpr_private_segment_wavefront_offset 0
		.amdhsa_system_sgpr_workgroup_id_x 1
		.amdhsa_system_sgpr_workgroup_id_y 0
		.amdhsa_system_sgpr_workgroup_id_z 0
		.amdhsa_system_sgpr_workgroup_info 0
		.amdhsa_system_vgpr_workitem_id 0
		.amdhsa_next_free_vgpr 1
		.amdhsa_next_free_sgpr 0
		.amdhsa_accum_offset 4
		.amdhsa_reserve_vcc 0
		.amdhsa_reserve_flat_scratch 0
		.amdhsa_float_round_mode_32 0
		.amdhsa_float_round_mode_16_64 0
		.amdhsa_float_denorm_mode_32 3
		.amdhsa_float_denorm_mode_16_64 3
		.amdhsa_dx10_clamp 1
		.amdhsa_ieee_mode 1
		.amdhsa_fp16_overflow 0
		.amdhsa_tg_split 0
		.amdhsa_exception_fp_ieee_invalid_op 0
		.amdhsa_exception_fp_denorm_src 0
		.amdhsa_exception_fp_ieee_div_zero 0
		.amdhsa_exception_fp_ieee_overflow 0
		.amdhsa_exception_fp_ieee_underflow 0
		.amdhsa_exception_fp_ieee_inexact 0
		.amdhsa_exception_int_div_zero 0
	.end_amdhsa_kernel
	.section	.text._ZN7rocprim17ROCPRIM_400000_NS6detail17trampoline_kernelINS0_14default_configENS1_20scan_config_selectorIiEEZZNS1_9scan_implILNS1_25lookback_scan_determinismE0ELb1ELb1ES3_N6thrust23THRUST_200600_302600_NS6detail15normal_iteratorINS9_10device_ptrIiEEEESE_i11max_functorIiEiEEDaPvRmT3_T4_T5_mT6_P12ihipStream_tbENKUlT_T0_E_clISt17integral_constantIbLb1EEST_IbLb0EEEEDaSP_SQ_EUlSP_E_NS1_11comp_targetILNS1_3genE3ELNS1_11target_archE908ELNS1_3gpuE7ELNS1_3repE0EEENS1_30default_config_static_selectorELNS0_4arch9wavefront6targetE1EEEvT1_,"axG",@progbits,_ZN7rocprim17ROCPRIM_400000_NS6detail17trampoline_kernelINS0_14default_configENS1_20scan_config_selectorIiEEZZNS1_9scan_implILNS1_25lookback_scan_determinismE0ELb1ELb1ES3_N6thrust23THRUST_200600_302600_NS6detail15normal_iteratorINS9_10device_ptrIiEEEESE_i11max_functorIiEiEEDaPvRmT3_T4_T5_mT6_P12ihipStream_tbENKUlT_T0_E_clISt17integral_constantIbLb1EEST_IbLb0EEEEDaSP_SQ_EUlSP_E_NS1_11comp_targetILNS1_3genE3ELNS1_11target_archE908ELNS1_3gpuE7ELNS1_3repE0EEENS1_30default_config_static_selectorELNS0_4arch9wavefront6targetE1EEEvT1_,comdat
.Lfunc_end2813:
	.size	_ZN7rocprim17ROCPRIM_400000_NS6detail17trampoline_kernelINS0_14default_configENS1_20scan_config_selectorIiEEZZNS1_9scan_implILNS1_25lookback_scan_determinismE0ELb1ELb1ES3_N6thrust23THRUST_200600_302600_NS6detail15normal_iteratorINS9_10device_ptrIiEEEESE_i11max_functorIiEiEEDaPvRmT3_T4_T5_mT6_P12ihipStream_tbENKUlT_T0_E_clISt17integral_constantIbLb1EEST_IbLb0EEEEDaSP_SQ_EUlSP_E_NS1_11comp_targetILNS1_3genE3ELNS1_11target_archE908ELNS1_3gpuE7ELNS1_3repE0EEENS1_30default_config_static_selectorELNS0_4arch9wavefront6targetE1EEEvT1_, .Lfunc_end2813-_ZN7rocprim17ROCPRIM_400000_NS6detail17trampoline_kernelINS0_14default_configENS1_20scan_config_selectorIiEEZZNS1_9scan_implILNS1_25lookback_scan_determinismE0ELb1ELb1ES3_N6thrust23THRUST_200600_302600_NS6detail15normal_iteratorINS9_10device_ptrIiEEEESE_i11max_functorIiEiEEDaPvRmT3_T4_T5_mT6_P12ihipStream_tbENKUlT_T0_E_clISt17integral_constantIbLb1EEST_IbLb0EEEEDaSP_SQ_EUlSP_E_NS1_11comp_targetILNS1_3genE3ELNS1_11target_archE908ELNS1_3gpuE7ELNS1_3repE0EEENS1_30default_config_static_selectorELNS0_4arch9wavefront6targetE1EEEvT1_
                                        ; -- End function
	.section	.AMDGPU.csdata,"",@progbits
; Kernel info:
; codeLenInByte = 0
; NumSgprs: 4
; NumVgprs: 0
; NumAgprs: 0
; TotalNumVgprs: 0
; ScratchSize: 0
; MemoryBound: 0
; FloatMode: 240
; IeeeMode: 1
; LDSByteSize: 0 bytes/workgroup (compile time only)
; SGPRBlocks: 0
; VGPRBlocks: 0
; NumSGPRsForWavesPerEU: 4
; NumVGPRsForWavesPerEU: 1
; AccumOffset: 4
; Occupancy: 8
; WaveLimiterHint : 0
; COMPUTE_PGM_RSRC2:SCRATCH_EN: 0
; COMPUTE_PGM_RSRC2:USER_SGPR: 6
; COMPUTE_PGM_RSRC2:TRAP_HANDLER: 0
; COMPUTE_PGM_RSRC2:TGID_X_EN: 1
; COMPUTE_PGM_RSRC2:TGID_Y_EN: 0
; COMPUTE_PGM_RSRC2:TGID_Z_EN: 0
; COMPUTE_PGM_RSRC2:TIDIG_COMP_CNT: 0
; COMPUTE_PGM_RSRC3_GFX90A:ACCUM_OFFSET: 0
; COMPUTE_PGM_RSRC3_GFX90A:TG_SPLIT: 0
	.section	.text._ZN7rocprim17ROCPRIM_400000_NS6detail17trampoline_kernelINS0_14default_configENS1_20scan_config_selectorIiEEZZNS1_9scan_implILNS1_25lookback_scan_determinismE0ELb1ELb1ES3_N6thrust23THRUST_200600_302600_NS6detail15normal_iteratorINS9_10device_ptrIiEEEESE_i11max_functorIiEiEEDaPvRmT3_T4_T5_mT6_P12ihipStream_tbENKUlT_T0_E_clISt17integral_constantIbLb1EEST_IbLb0EEEEDaSP_SQ_EUlSP_E_NS1_11comp_targetILNS1_3genE2ELNS1_11target_archE906ELNS1_3gpuE6ELNS1_3repE0EEENS1_30default_config_static_selectorELNS0_4arch9wavefront6targetE1EEEvT1_,"axG",@progbits,_ZN7rocprim17ROCPRIM_400000_NS6detail17trampoline_kernelINS0_14default_configENS1_20scan_config_selectorIiEEZZNS1_9scan_implILNS1_25lookback_scan_determinismE0ELb1ELb1ES3_N6thrust23THRUST_200600_302600_NS6detail15normal_iteratorINS9_10device_ptrIiEEEESE_i11max_functorIiEiEEDaPvRmT3_T4_T5_mT6_P12ihipStream_tbENKUlT_T0_E_clISt17integral_constantIbLb1EEST_IbLb0EEEEDaSP_SQ_EUlSP_E_NS1_11comp_targetILNS1_3genE2ELNS1_11target_archE906ELNS1_3gpuE6ELNS1_3repE0EEENS1_30default_config_static_selectorELNS0_4arch9wavefront6targetE1EEEvT1_,comdat
	.protected	_ZN7rocprim17ROCPRIM_400000_NS6detail17trampoline_kernelINS0_14default_configENS1_20scan_config_selectorIiEEZZNS1_9scan_implILNS1_25lookback_scan_determinismE0ELb1ELb1ES3_N6thrust23THRUST_200600_302600_NS6detail15normal_iteratorINS9_10device_ptrIiEEEESE_i11max_functorIiEiEEDaPvRmT3_T4_T5_mT6_P12ihipStream_tbENKUlT_T0_E_clISt17integral_constantIbLb1EEST_IbLb0EEEEDaSP_SQ_EUlSP_E_NS1_11comp_targetILNS1_3genE2ELNS1_11target_archE906ELNS1_3gpuE6ELNS1_3repE0EEENS1_30default_config_static_selectorELNS0_4arch9wavefront6targetE1EEEvT1_ ; -- Begin function _ZN7rocprim17ROCPRIM_400000_NS6detail17trampoline_kernelINS0_14default_configENS1_20scan_config_selectorIiEEZZNS1_9scan_implILNS1_25lookback_scan_determinismE0ELb1ELb1ES3_N6thrust23THRUST_200600_302600_NS6detail15normal_iteratorINS9_10device_ptrIiEEEESE_i11max_functorIiEiEEDaPvRmT3_T4_T5_mT6_P12ihipStream_tbENKUlT_T0_E_clISt17integral_constantIbLb1EEST_IbLb0EEEEDaSP_SQ_EUlSP_E_NS1_11comp_targetILNS1_3genE2ELNS1_11target_archE906ELNS1_3gpuE6ELNS1_3repE0EEENS1_30default_config_static_selectorELNS0_4arch9wavefront6targetE1EEEvT1_
	.globl	_ZN7rocprim17ROCPRIM_400000_NS6detail17trampoline_kernelINS0_14default_configENS1_20scan_config_selectorIiEEZZNS1_9scan_implILNS1_25lookback_scan_determinismE0ELb1ELb1ES3_N6thrust23THRUST_200600_302600_NS6detail15normal_iteratorINS9_10device_ptrIiEEEESE_i11max_functorIiEiEEDaPvRmT3_T4_T5_mT6_P12ihipStream_tbENKUlT_T0_E_clISt17integral_constantIbLb1EEST_IbLb0EEEEDaSP_SQ_EUlSP_E_NS1_11comp_targetILNS1_3genE2ELNS1_11target_archE906ELNS1_3gpuE6ELNS1_3repE0EEENS1_30default_config_static_selectorELNS0_4arch9wavefront6targetE1EEEvT1_
	.p2align	8
	.type	_ZN7rocprim17ROCPRIM_400000_NS6detail17trampoline_kernelINS0_14default_configENS1_20scan_config_selectorIiEEZZNS1_9scan_implILNS1_25lookback_scan_determinismE0ELb1ELb1ES3_N6thrust23THRUST_200600_302600_NS6detail15normal_iteratorINS9_10device_ptrIiEEEESE_i11max_functorIiEiEEDaPvRmT3_T4_T5_mT6_P12ihipStream_tbENKUlT_T0_E_clISt17integral_constantIbLb1EEST_IbLb0EEEEDaSP_SQ_EUlSP_E_NS1_11comp_targetILNS1_3genE2ELNS1_11target_archE906ELNS1_3gpuE6ELNS1_3repE0EEENS1_30default_config_static_selectorELNS0_4arch9wavefront6targetE1EEEvT1_,@function
_ZN7rocprim17ROCPRIM_400000_NS6detail17trampoline_kernelINS0_14default_configENS1_20scan_config_selectorIiEEZZNS1_9scan_implILNS1_25lookback_scan_determinismE0ELb1ELb1ES3_N6thrust23THRUST_200600_302600_NS6detail15normal_iteratorINS9_10device_ptrIiEEEESE_i11max_functorIiEiEEDaPvRmT3_T4_T5_mT6_P12ihipStream_tbENKUlT_T0_E_clISt17integral_constantIbLb1EEST_IbLb0EEEEDaSP_SQ_EUlSP_E_NS1_11comp_targetILNS1_3genE2ELNS1_11target_archE906ELNS1_3gpuE6ELNS1_3repE0EEENS1_30default_config_static_selectorELNS0_4arch9wavefront6targetE1EEEvT1_: ; @_ZN7rocprim17ROCPRIM_400000_NS6detail17trampoline_kernelINS0_14default_configENS1_20scan_config_selectorIiEEZZNS1_9scan_implILNS1_25lookback_scan_determinismE0ELb1ELb1ES3_N6thrust23THRUST_200600_302600_NS6detail15normal_iteratorINS9_10device_ptrIiEEEESE_i11max_functorIiEiEEDaPvRmT3_T4_T5_mT6_P12ihipStream_tbENKUlT_T0_E_clISt17integral_constantIbLb1EEST_IbLb0EEEEDaSP_SQ_EUlSP_E_NS1_11comp_targetILNS1_3genE2ELNS1_11target_archE906ELNS1_3gpuE6ELNS1_3repE0EEENS1_30default_config_static_selectorELNS0_4arch9wavefront6targetE1EEEvT1_
; %bb.0:
	.section	.rodata,"a",@progbits
	.p2align	6, 0x0
	.amdhsa_kernel _ZN7rocprim17ROCPRIM_400000_NS6detail17trampoline_kernelINS0_14default_configENS1_20scan_config_selectorIiEEZZNS1_9scan_implILNS1_25lookback_scan_determinismE0ELb1ELb1ES3_N6thrust23THRUST_200600_302600_NS6detail15normal_iteratorINS9_10device_ptrIiEEEESE_i11max_functorIiEiEEDaPvRmT3_T4_T5_mT6_P12ihipStream_tbENKUlT_T0_E_clISt17integral_constantIbLb1EEST_IbLb0EEEEDaSP_SQ_EUlSP_E_NS1_11comp_targetILNS1_3genE2ELNS1_11target_archE906ELNS1_3gpuE6ELNS1_3repE0EEENS1_30default_config_static_selectorELNS0_4arch9wavefront6targetE1EEEvT1_
		.amdhsa_group_segment_fixed_size 0
		.amdhsa_private_segment_fixed_size 0
		.amdhsa_kernarg_size 96
		.amdhsa_user_sgpr_count 6
		.amdhsa_user_sgpr_private_segment_buffer 1
		.amdhsa_user_sgpr_dispatch_ptr 0
		.amdhsa_user_sgpr_queue_ptr 0
		.amdhsa_user_sgpr_kernarg_segment_ptr 1
		.amdhsa_user_sgpr_dispatch_id 0
		.amdhsa_user_sgpr_flat_scratch_init 0
		.amdhsa_user_sgpr_kernarg_preload_length 0
		.amdhsa_user_sgpr_kernarg_preload_offset 0
		.amdhsa_user_sgpr_private_segment_size 0
		.amdhsa_uses_dynamic_stack 0
		.amdhsa_system_sgpr_private_segment_wavefront_offset 0
		.amdhsa_system_sgpr_workgroup_id_x 1
		.amdhsa_system_sgpr_workgroup_id_y 0
		.amdhsa_system_sgpr_workgroup_id_z 0
		.amdhsa_system_sgpr_workgroup_info 0
		.amdhsa_system_vgpr_workitem_id 0
		.amdhsa_next_free_vgpr 1
		.amdhsa_next_free_sgpr 0
		.amdhsa_accum_offset 4
		.amdhsa_reserve_vcc 0
		.amdhsa_reserve_flat_scratch 0
		.amdhsa_float_round_mode_32 0
		.amdhsa_float_round_mode_16_64 0
		.amdhsa_float_denorm_mode_32 3
		.amdhsa_float_denorm_mode_16_64 3
		.amdhsa_dx10_clamp 1
		.amdhsa_ieee_mode 1
		.amdhsa_fp16_overflow 0
		.amdhsa_tg_split 0
		.amdhsa_exception_fp_ieee_invalid_op 0
		.amdhsa_exception_fp_denorm_src 0
		.amdhsa_exception_fp_ieee_div_zero 0
		.amdhsa_exception_fp_ieee_overflow 0
		.amdhsa_exception_fp_ieee_underflow 0
		.amdhsa_exception_fp_ieee_inexact 0
		.amdhsa_exception_int_div_zero 0
	.end_amdhsa_kernel
	.section	.text._ZN7rocprim17ROCPRIM_400000_NS6detail17trampoline_kernelINS0_14default_configENS1_20scan_config_selectorIiEEZZNS1_9scan_implILNS1_25lookback_scan_determinismE0ELb1ELb1ES3_N6thrust23THRUST_200600_302600_NS6detail15normal_iteratorINS9_10device_ptrIiEEEESE_i11max_functorIiEiEEDaPvRmT3_T4_T5_mT6_P12ihipStream_tbENKUlT_T0_E_clISt17integral_constantIbLb1EEST_IbLb0EEEEDaSP_SQ_EUlSP_E_NS1_11comp_targetILNS1_3genE2ELNS1_11target_archE906ELNS1_3gpuE6ELNS1_3repE0EEENS1_30default_config_static_selectorELNS0_4arch9wavefront6targetE1EEEvT1_,"axG",@progbits,_ZN7rocprim17ROCPRIM_400000_NS6detail17trampoline_kernelINS0_14default_configENS1_20scan_config_selectorIiEEZZNS1_9scan_implILNS1_25lookback_scan_determinismE0ELb1ELb1ES3_N6thrust23THRUST_200600_302600_NS6detail15normal_iteratorINS9_10device_ptrIiEEEESE_i11max_functorIiEiEEDaPvRmT3_T4_T5_mT6_P12ihipStream_tbENKUlT_T0_E_clISt17integral_constantIbLb1EEST_IbLb0EEEEDaSP_SQ_EUlSP_E_NS1_11comp_targetILNS1_3genE2ELNS1_11target_archE906ELNS1_3gpuE6ELNS1_3repE0EEENS1_30default_config_static_selectorELNS0_4arch9wavefront6targetE1EEEvT1_,comdat
.Lfunc_end2814:
	.size	_ZN7rocprim17ROCPRIM_400000_NS6detail17trampoline_kernelINS0_14default_configENS1_20scan_config_selectorIiEEZZNS1_9scan_implILNS1_25lookback_scan_determinismE0ELb1ELb1ES3_N6thrust23THRUST_200600_302600_NS6detail15normal_iteratorINS9_10device_ptrIiEEEESE_i11max_functorIiEiEEDaPvRmT3_T4_T5_mT6_P12ihipStream_tbENKUlT_T0_E_clISt17integral_constantIbLb1EEST_IbLb0EEEEDaSP_SQ_EUlSP_E_NS1_11comp_targetILNS1_3genE2ELNS1_11target_archE906ELNS1_3gpuE6ELNS1_3repE0EEENS1_30default_config_static_selectorELNS0_4arch9wavefront6targetE1EEEvT1_, .Lfunc_end2814-_ZN7rocprim17ROCPRIM_400000_NS6detail17trampoline_kernelINS0_14default_configENS1_20scan_config_selectorIiEEZZNS1_9scan_implILNS1_25lookback_scan_determinismE0ELb1ELb1ES3_N6thrust23THRUST_200600_302600_NS6detail15normal_iteratorINS9_10device_ptrIiEEEESE_i11max_functorIiEiEEDaPvRmT3_T4_T5_mT6_P12ihipStream_tbENKUlT_T0_E_clISt17integral_constantIbLb1EEST_IbLb0EEEEDaSP_SQ_EUlSP_E_NS1_11comp_targetILNS1_3genE2ELNS1_11target_archE906ELNS1_3gpuE6ELNS1_3repE0EEENS1_30default_config_static_selectorELNS0_4arch9wavefront6targetE1EEEvT1_
                                        ; -- End function
	.section	.AMDGPU.csdata,"",@progbits
; Kernel info:
; codeLenInByte = 0
; NumSgprs: 4
; NumVgprs: 0
; NumAgprs: 0
; TotalNumVgprs: 0
; ScratchSize: 0
; MemoryBound: 0
; FloatMode: 240
; IeeeMode: 1
; LDSByteSize: 0 bytes/workgroup (compile time only)
; SGPRBlocks: 0
; VGPRBlocks: 0
; NumSGPRsForWavesPerEU: 4
; NumVGPRsForWavesPerEU: 1
; AccumOffset: 4
; Occupancy: 8
; WaveLimiterHint : 0
; COMPUTE_PGM_RSRC2:SCRATCH_EN: 0
; COMPUTE_PGM_RSRC2:USER_SGPR: 6
; COMPUTE_PGM_RSRC2:TRAP_HANDLER: 0
; COMPUTE_PGM_RSRC2:TGID_X_EN: 1
; COMPUTE_PGM_RSRC2:TGID_Y_EN: 0
; COMPUTE_PGM_RSRC2:TGID_Z_EN: 0
; COMPUTE_PGM_RSRC2:TIDIG_COMP_CNT: 0
; COMPUTE_PGM_RSRC3_GFX90A:ACCUM_OFFSET: 0
; COMPUTE_PGM_RSRC3_GFX90A:TG_SPLIT: 0
	.section	.text._ZN7rocprim17ROCPRIM_400000_NS6detail17trampoline_kernelINS0_14default_configENS1_20scan_config_selectorIiEEZZNS1_9scan_implILNS1_25lookback_scan_determinismE0ELb1ELb1ES3_N6thrust23THRUST_200600_302600_NS6detail15normal_iteratorINS9_10device_ptrIiEEEESE_i11max_functorIiEiEEDaPvRmT3_T4_T5_mT6_P12ihipStream_tbENKUlT_T0_E_clISt17integral_constantIbLb1EEST_IbLb0EEEEDaSP_SQ_EUlSP_E_NS1_11comp_targetILNS1_3genE10ELNS1_11target_archE1201ELNS1_3gpuE5ELNS1_3repE0EEENS1_30default_config_static_selectorELNS0_4arch9wavefront6targetE1EEEvT1_,"axG",@progbits,_ZN7rocprim17ROCPRIM_400000_NS6detail17trampoline_kernelINS0_14default_configENS1_20scan_config_selectorIiEEZZNS1_9scan_implILNS1_25lookback_scan_determinismE0ELb1ELb1ES3_N6thrust23THRUST_200600_302600_NS6detail15normal_iteratorINS9_10device_ptrIiEEEESE_i11max_functorIiEiEEDaPvRmT3_T4_T5_mT6_P12ihipStream_tbENKUlT_T0_E_clISt17integral_constantIbLb1EEST_IbLb0EEEEDaSP_SQ_EUlSP_E_NS1_11comp_targetILNS1_3genE10ELNS1_11target_archE1201ELNS1_3gpuE5ELNS1_3repE0EEENS1_30default_config_static_selectorELNS0_4arch9wavefront6targetE1EEEvT1_,comdat
	.protected	_ZN7rocprim17ROCPRIM_400000_NS6detail17trampoline_kernelINS0_14default_configENS1_20scan_config_selectorIiEEZZNS1_9scan_implILNS1_25lookback_scan_determinismE0ELb1ELb1ES3_N6thrust23THRUST_200600_302600_NS6detail15normal_iteratorINS9_10device_ptrIiEEEESE_i11max_functorIiEiEEDaPvRmT3_T4_T5_mT6_P12ihipStream_tbENKUlT_T0_E_clISt17integral_constantIbLb1EEST_IbLb0EEEEDaSP_SQ_EUlSP_E_NS1_11comp_targetILNS1_3genE10ELNS1_11target_archE1201ELNS1_3gpuE5ELNS1_3repE0EEENS1_30default_config_static_selectorELNS0_4arch9wavefront6targetE1EEEvT1_ ; -- Begin function _ZN7rocprim17ROCPRIM_400000_NS6detail17trampoline_kernelINS0_14default_configENS1_20scan_config_selectorIiEEZZNS1_9scan_implILNS1_25lookback_scan_determinismE0ELb1ELb1ES3_N6thrust23THRUST_200600_302600_NS6detail15normal_iteratorINS9_10device_ptrIiEEEESE_i11max_functorIiEiEEDaPvRmT3_T4_T5_mT6_P12ihipStream_tbENKUlT_T0_E_clISt17integral_constantIbLb1EEST_IbLb0EEEEDaSP_SQ_EUlSP_E_NS1_11comp_targetILNS1_3genE10ELNS1_11target_archE1201ELNS1_3gpuE5ELNS1_3repE0EEENS1_30default_config_static_selectorELNS0_4arch9wavefront6targetE1EEEvT1_
	.globl	_ZN7rocprim17ROCPRIM_400000_NS6detail17trampoline_kernelINS0_14default_configENS1_20scan_config_selectorIiEEZZNS1_9scan_implILNS1_25lookback_scan_determinismE0ELb1ELb1ES3_N6thrust23THRUST_200600_302600_NS6detail15normal_iteratorINS9_10device_ptrIiEEEESE_i11max_functorIiEiEEDaPvRmT3_T4_T5_mT6_P12ihipStream_tbENKUlT_T0_E_clISt17integral_constantIbLb1EEST_IbLb0EEEEDaSP_SQ_EUlSP_E_NS1_11comp_targetILNS1_3genE10ELNS1_11target_archE1201ELNS1_3gpuE5ELNS1_3repE0EEENS1_30default_config_static_selectorELNS0_4arch9wavefront6targetE1EEEvT1_
	.p2align	8
	.type	_ZN7rocprim17ROCPRIM_400000_NS6detail17trampoline_kernelINS0_14default_configENS1_20scan_config_selectorIiEEZZNS1_9scan_implILNS1_25lookback_scan_determinismE0ELb1ELb1ES3_N6thrust23THRUST_200600_302600_NS6detail15normal_iteratorINS9_10device_ptrIiEEEESE_i11max_functorIiEiEEDaPvRmT3_T4_T5_mT6_P12ihipStream_tbENKUlT_T0_E_clISt17integral_constantIbLb1EEST_IbLb0EEEEDaSP_SQ_EUlSP_E_NS1_11comp_targetILNS1_3genE10ELNS1_11target_archE1201ELNS1_3gpuE5ELNS1_3repE0EEENS1_30default_config_static_selectorELNS0_4arch9wavefront6targetE1EEEvT1_,@function
_ZN7rocprim17ROCPRIM_400000_NS6detail17trampoline_kernelINS0_14default_configENS1_20scan_config_selectorIiEEZZNS1_9scan_implILNS1_25lookback_scan_determinismE0ELb1ELb1ES3_N6thrust23THRUST_200600_302600_NS6detail15normal_iteratorINS9_10device_ptrIiEEEESE_i11max_functorIiEiEEDaPvRmT3_T4_T5_mT6_P12ihipStream_tbENKUlT_T0_E_clISt17integral_constantIbLb1EEST_IbLb0EEEEDaSP_SQ_EUlSP_E_NS1_11comp_targetILNS1_3genE10ELNS1_11target_archE1201ELNS1_3gpuE5ELNS1_3repE0EEENS1_30default_config_static_selectorELNS0_4arch9wavefront6targetE1EEEvT1_: ; @_ZN7rocprim17ROCPRIM_400000_NS6detail17trampoline_kernelINS0_14default_configENS1_20scan_config_selectorIiEEZZNS1_9scan_implILNS1_25lookback_scan_determinismE0ELb1ELb1ES3_N6thrust23THRUST_200600_302600_NS6detail15normal_iteratorINS9_10device_ptrIiEEEESE_i11max_functorIiEiEEDaPvRmT3_T4_T5_mT6_P12ihipStream_tbENKUlT_T0_E_clISt17integral_constantIbLb1EEST_IbLb0EEEEDaSP_SQ_EUlSP_E_NS1_11comp_targetILNS1_3genE10ELNS1_11target_archE1201ELNS1_3gpuE5ELNS1_3repE0EEENS1_30default_config_static_selectorELNS0_4arch9wavefront6targetE1EEEvT1_
; %bb.0:
	.section	.rodata,"a",@progbits
	.p2align	6, 0x0
	.amdhsa_kernel _ZN7rocprim17ROCPRIM_400000_NS6detail17trampoline_kernelINS0_14default_configENS1_20scan_config_selectorIiEEZZNS1_9scan_implILNS1_25lookback_scan_determinismE0ELb1ELb1ES3_N6thrust23THRUST_200600_302600_NS6detail15normal_iteratorINS9_10device_ptrIiEEEESE_i11max_functorIiEiEEDaPvRmT3_T4_T5_mT6_P12ihipStream_tbENKUlT_T0_E_clISt17integral_constantIbLb1EEST_IbLb0EEEEDaSP_SQ_EUlSP_E_NS1_11comp_targetILNS1_3genE10ELNS1_11target_archE1201ELNS1_3gpuE5ELNS1_3repE0EEENS1_30default_config_static_selectorELNS0_4arch9wavefront6targetE1EEEvT1_
		.amdhsa_group_segment_fixed_size 0
		.amdhsa_private_segment_fixed_size 0
		.amdhsa_kernarg_size 96
		.amdhsa_user_sgpr_count 6
		.amdhsa_user_sgpr_private_segment_buffer 1
		.amdhsa_user_sgpr_dispatch_ptr 0
		.amdhsa_user_sgpr_queue_ptr 0
		.amdhsa_user_sgpr_kernarg_segment_ptr 1
		.amdhsa_user_sgpr_dispatch_id 0
		.amdhsa_user_sgpr_flat_scratch_init 0
		.amdhsa_user_sgpr_kernarg_preload_length 0
		.amdhsa_user_sgpr_kernarg_preload_offset 0
		.amdhsa_user_sgpr_private_segment_size 0
		.amdhsa_uses_dynamic_stack 0
		.amdhsa_system_sgpr_private_segment_wavefront_offset 0
		.amdhsa_system_sgpr_workgroup_id_x 1
		.amdhsa_system_sgpr_workgroup_id_y 0
		.amdhsa_system_sgpr_workgroup_id_z 0
		.amdhsa_system_sgpr_workgroup_info 0
		.amdhsa_system_vgpr_workitem_id 0
		.amdhsa_next_free_vgpr 1
		.amdhsa_next_free_sgpr 0
		.amdhsa_accum_offset 4
		.amdhsa_reserve_vcc 0
		.amdhsa_reserve_flat_scratch 0
		.amdhsa_float_round_mode_32 0
		.amdhsa_float_round_mode_16_64 0
		.amdhsa_float_denorm_mode_32 3
		.amdhsa_float_denorm_mode_16_64 3
		.amdhsa_dx10_clamp 1
		.amdhsa_ieee_mode 1
		.amdhsa_fp16_overflow 0
		.amdhsa_tg_split 0
		.amdhsa_exception_fp_ieee_invalid_op 0
		.amdhsa_exception_fp_denorm_src 0
		.amdhsa_exception_fp_ieee_div_zero 0
		.amdhsa_exception_fp_ieee_overflow 0
		.amdhsa_exception_fp_ieee_underflow 0
		.amdhsa_exception_fp_ieee_inexact 0
		.amdhsa_exception_int_div_zero 0
	.end_amdhsa_kernel
	.section	.text._ZN7rocprim17ROCPRIM_400000_NS6detail17trampoline_kernelINS0_14default_configENS1_20scan_config_selectorIiEEZZNS1_9scan_implILNS1_25lookback_scan_determinismE0ELb1ELb1ES3_N6thrust23THRUST_200600_302600_NS6detail15normal_iteratorINS9_10device_ptrIiEEEESE_i11max_functorIiEiEEDaPvRmT3_T4_T5_mT6_P12ihipStream_tbENKUlT_T0_E_clISt17integral_constantIbLb1EEST_IbLb0EEEEDaSP_SQ_EUlSP_E_NS1_11comp_targetILNS1_3genE10ELNS1_11target_archE1201ELNS1_3gpuE5ELNS1_3repE0EEENS1_30default_config_static_selectorELNS0_4arch9wavefront6targetE1EEEvT1_,"axG",@progbits,_ZN7rocprim17ROCPRIM_400000_NS6detail17trampoline_kernelINS0_14default_configENS1_20scan_config_selectorIiEEZZNS1_9scan_implILNS1_25lookback_scan_determinismE0ELb1ELb1ES3_N6thrust23THRUST_200600_302600_NS6detail15normal_iteratorINS9_10device_ptrIiEEEESE_i11max_functorIiEiEEDaPvRmT3_T4_T5_mT6_P12ihipStream_tbENKUlT_T0_E_clISt17integral_constantIbLb1EEST_IbLb0EEEEDaSP_SQ_EUlSP_E_NS1_11comp_targetILNS1_3genE10ELNS1_11target_archE1201ELNS1_3gpuE5ELNS1_3repE0EEENS1_30default_config_static_selectorELNS0_4arch9wavefront6targetE1EEEvT1_,comdat
.Lfunc_end2815:
	.size	_ZN7rocprim17ROCPRIM_400000_NS6detail17trampoline_kernelINS0_14default_configENS1_20scan_config_selectorIiEEZZNS1_9scan_implILNS1_25lookback_scan_determinismE0ELb1ELb1ES3_N6thrust23THRUST_200600_302600_NS6detail15normal_iteratorINS9_10device_ptrIiEEEESE_i11max_functorIiEiEEDaPvRmT3_T4_T5_mT6_P12ihipStream_tbENKUlT_T0_E_clISt17integral_constantIbLb1EEST_IbLb0EEEEDaSP_SQ_EUlSP_E_NS1_11comp_targetILNS1_3genE10ELNS1_11target_archE1201ELNS1_3gpuE5ELNS1_3repE0EEENS1_30default_config_static_selectorELNS0_4arch9wavefront6targetE1EEEvT1_, .Lfunc_end2815-_ZN7rocprim17ROCPRIM_400000_NS6detail17trampoline_kernelINS0_14default_configENS1_20scan_config_selectorIiEEZZNS1_9scan_implILNS1_25lookback_scan_determinismE0ELb1ELb1ES3_N6thrust23THRUST_200600_302600_NS6detail15normal_iteratorINS9_10device_ptrIiEEEESE_i11max_functorIiEiEEDaPvRmT3_T4_T5_mT6_P12ihipStream_tbENKUlT_T0_E_clISt17integral_constantIbLb1EEST_IbLb0EEEEDaSP_SQ_EUlSP_E_NS1_11comp_targetILNS1_3genE10ELNS1_11target_archE1201ELNS1_3gpuE5ELNS1_3repE0EEENS1_30default_config_static_selectorELNS0_4arch9wavefront6targetE1EEEvT1_
                                        ; -- End function
	.section	.AMDGPU.csdata,"",@progbits
; Kernel info:
; codeLenInByte = 0
; NumSgprs: 4
; NumVgprs: 0
; NumAgprs: 0
; TotalNumVgprs: 0
; ScratchSize: 0
; MemoryBound: 0
; FloatMode: 240
; IeeeMode: 1
; LDSByteSize: 0 bytes/workgroup (compile time only)
; SGPRBlocks: 0
; VGPRBlocks: 0
; NumSGPRsForWavesPerEU: 4
; NumVGPRsForWavesPerEU: 1
; AccumOffset: 4
; Occupancy: 8
; WaveLimiterHint : 0
; COMPUTE_PGM_RSRC2:SCRATCH_EN: 0
; COMPUTE_PGM_RSRC2:USER_SGPR: 6
; COMPUTE_PGM_RSRC2:TRAP_HANDLER: 0
; COMPUTE_PGM_RSRC2:TGID_X_EN: 1
; COMPUTE_PGM_RSRC2:TGID_Y_EN: 0
; COMPUTE_PGM_RSRC2:TGID_Z_EN: 0
; COMPUTE_PGM_RSRC2:TIDIG_COMP_CNT: 0
; COMPUTE_PGM_RSRC3_GFX90A:ACCUM_OFFSET: 0
; COMPUTE_PGM_RSRC3_GFX90A:TG_SPLIT: 0
	.section	.text._ZN7rocprim17ROCPRIM_400000_NS6detail17trampoline_kernelINS0_14default_configENS1_20scan_config_selectorIiEEZZNS1_9scan_implILNS1_25lookback_scan_determinismE0ELb1ELb1ES3_N6thrust23THRUST_200600_302600_NS6detail15normal_iteratorINS9_10device_ptrIiEEEESE_i11max_functorIiEiEEDaPvRmT3_T4_T5_mT6_P12ihipStream_tbENKUlT_T0_E_clISt17integral_constantIbLb1EEST_IbLb0EEEEDaSP_SQ_EUlSP_E_NS1_11comp_targetILNS1_3genE10ELNS1_11target_archE1200ELNS1_3gpuE4ELNS1_3repE0EEENS1_30default_config_static_selectorELNS0_4arch9wavefront6targetE1EEEvT1_,"axG",@progbits,_ZN7rocprim17ROCPRIM_400000_NS6detail17trampoline_kernelINS0_14default_configENS1_20scan_config_selectorIiEEZZNS1_9scan_implILNS1_25lookback_scan_determinismE0ELb1ELb1ES3_N6thrust23THRUST_200600_302600_NS6detail15normal_iteratorINS9_10device_ptrIiEEEESE_i11max_functorIiEiEEDaPvRmT3_T4_T5_mT6_P12ihipStream_tbENKUlT_T0_E_clISt17integral_constantIbLb1EEST_IbLb0EEEEDaSP_SQ_EUlSP_E_NS1_11comp_targetILNS1_3genE10ELNS1_11target_archE1200ELNS1_3gpuE4ELNS1_3repE0EEENS1_30default_config_static_selectorELNS0_4arch9wavefront6targetE1EEEvT1_,comdat
	.protected	_ZN7rocprim17ROCPRIM_400000_NS6detail17trampoline_kernelINS0_14default_configENS1_20scan_config_selectorIiEEZZNS1_9scan_implILNS1_25lookback_scan_determinismE0ELb1ELb1ES3_N6thrust23THRUST_200600_302600_NS6detail15normal_iteratorINS9_10device_ptrIiEEEESE_i11max_functorIiEiEEDaPvRmT3_T4_T5_mT6_P12ihipStream_tbENKUlT_T0_E_clISt17integral_constantIbLb1EEST_IbLb0EEEEDaSP_SQ_EUlSP_E_NS1_11comp_targetILNS1_3genE10ELNS1_11target_archE1200ELNS1_3gpuE4ELNS1_3repE0EEENS1_30default_config_static_selectorELNS0_4arch9wavefront6targetE1EEEvT1_ ; -- Begin function _ZN7rocprim17ROCPRIM_400000_NS6detail17trampoline_kernelINS0_14default_configENS1_20scan_config_selectorIiEEZZNS1_9scan_implILNS1_25lookback_scan_determinismE0ELb1ELb1ES3_N6thrust23THRUST_200600_302600_NS6detail15normal_iteratorINS9_10device_ptrIiEEEESE_i11max_functorIiEiEEDaPvRmT3_T4_T5_mT6_P12ihipStream_tbENKUlT_T0_E_clISt17integral_constantIbLb1EEST_IbLb0EEEEDaSP_SQ_EUlSP_E_NS1_11comp_targetILNS1_3genE10ELNS1_11target_archE1200ELNS1_3gpuE4ELNS1_3repE0EEENS1_30default_config_static_selectorELNS0_4arch9wavefront6targetE1EEEvT1_
	.globl	_ZN7rocprim17ROCPRIM_400000_NS6detail17trampoline_kernelINS0_14default_configENS1_20scan_config_selectorIiEEZZNS1_9scan_implILNS1_25lookback_scan_determinismE0ELb1ELb1ES3_N6thrust23THRUST_200600_302600_NS6detail15normal_iteratorINS9_10device_ptrIiEEEESE_i11max_functorIiEiEEDaPvRmT3_T4_T5_mT6_P12ihipStream_tbENKUlT_T0_E_clISt17integral_constantIbLb1EEST_IbLb0EEEEDaSP_SQ_EUlSP_E_NS1_11comp_targetILNS1_3genE10ELNS1_11target_archE1200ELNS1_3gpuE4ELNS1_3repE0EEENS1_30default_config_static_selectorELNS0_4arch9wavefront6targetE1EEEvT1_
	.p2align	8
	.type	_ZN7rocprim17ROCPRIM_400000_NS6detail17trampoline_kernelINS0_14default_configENS1_20scan_config_selectorIiEEZZNS1_9scan_implILNS1_25lookback_scan_determinismE0ELb1ELb1ES3_N6thrust23THRUST_200600_302600_NS6detail15normal_iteratorINS9_10device_ptrIiEEEESE_i11max_functorIiEiEEDaPvRmT3_T4_T5_mT6_P12ihipStream_tbENKUlT_T0_E_clISt17integral_constantIbLb1EEST_IbLb0EEEEDaSP_SQ_EUlSP_E_NS1_11comp_targetILNS1_3genE10ELNS1_11target_archE1200ELNS1_3gpuE4ELNS1_3repE0EEENS1_30default_config_static_selectorELNS0_4arch9wavefront6targetE1EEEvT1_,@function
_ZN7rocprim17ROCPRIM_400000_NS6detail17trampoline_kernelINS0_14default_configENS1_20scan_config_selectorIiEEZZNS1_9scan_implILNS1_25lookback_scan_determinismE0ELb1ELb1ES3_N6thrust23THRUST_200600_302600_NS6detail15normal_iteratorINS9_10device_ptrIiEEEESE_i11max_functorIiEiEEDaPvRmT3_T4_T5_mT6_P12ihipStream_tbENKUlT_T0_E_clISt17integral_constantIbLb1EEST_IbLb0EEEEDaSP_SQ_EUlSP_E_NS1_11comp_targetILNS1_3genE10ELNS1_11target_archE1200ELNS1_3gpuE4ELNS1_3repE0EEENS1_30default_config_static_selectorELNS0_4arch9wavefront6targetE1EEEvT1_: ; @_ZN7rocprim17ROCPRIM_400000_NS6detail17trampoline_kernelINS0_14default_configENS1_20scan_config_selectorIiEEZZNS1_9scan_implILNS1_25lookback_scan_determinismE0ELb1ELb1ES3_N6thrust23THRUST_200600_302600_NS6detail15normal_iteratorINS9_10device_ptrIiEEEESE_i11max_functorIiEiEEDaPvRmT3_T4_T5_mT6_P12ihipStream_tbENKUlT_T0_E_clISt17integral_constantIbLb1EEST_IbLb0EEEEDaSP_SQ_EUlSP_E_NS1_11comp_targetILNS1_3genE10ELNS1_11target_archE1200ELNS1_3gpuE4ELNS1_3repE0EEENS1_30default_config_static_selectorELNS0_4arch9wavefront6targetE1EEEvT1_
; %bb.0:
	.section	.rodata,"a",@progbits
	.p2align	6, 0x0
	.amdhsa_kernel _ZN7rocprim17ROCPRIM_400000_NS6detail17trampoline_kernelINS0_14default_configENS1_20scan_config_selectorIiEEZZNS1_9scan_implILNS1_25lookback_scan_determinismE0ELb1ELb1ES3_N6thrust23THRUST_200600_302600_NS6detail15normal_iteratorINS9_10device_ptrIiEEEESE_i11max_functorIiEiEEDaPvRmT3_T4_T5_mT6_P12ihipStream_tbENKUlT_T0_E_clISt17integral_constantIbLb1EEST_IbLb0EEEEDaSP_SQ_EUlSP_E_NS1_11comp_targetILNS1_3genE10ELNS1_11target_archE1200ELNS1_3gpuE4ELNS1_3repE0EEENS1_30default_config_static_selectorELNS0_4arch9wavefront6targetE1EEEvT1_
		.amdhsa_group_segment_fixed_size 0
		.amdhsa_private_segment_fixed_size 0
		.amdhsa_kernarg_size 96
		.amdhsa_user_sgpr_count 6
		.amdhsa_user_sgpr_private_segment_buffer 1
		.amdhsa_user_sgpr_dispatch_ptr 0
		.amdhsa_user_sgpr_queue_ptr 0
		.amdhsa_user_sgpr_kernarg_segment_ptr 1
		.amdhsa_user_sgpr_dispatch_id 0
		.amdhsa_user_sgpr_flat_scratch_init 0
		.amdhsa_user_sgpr_kernarg_preload_length 0
		.amdhsa_user_sgpr_kernarg_preload_offset 0
		.amdhsa_user_sgpr_private_segment_size 0
		.amdhsa_uses_dynamic_stack 0
		.amdhsa_system_sgpr_private_segment_wavefront_offset 0
		.amdhsa_system_sgpr_workgroup_id_x 1
		.amdhsa_system_sgpr_workgroup_id_y 0
		.amdhsa_system_sgpr_workgroup_id_z 0
		.amdhsa_system_sgpr_workgroup_info 0
		.amdhsa_system_vgpr_workitem_id 0
		.amdhsa_next_free_vgpr 1
		.amdhsa_next_free_sgpr 0
		.amdhsa_accum_offset 4
		.amdhsa_reserve_vcc 0
		.amdhsa_reserve_flat_scratch 0
		.amdhsa_float_round_mode_32 0
		.amdhsa_float_round_mode_16_64 0
		.amdhsa_float_denorm_mode_32 3
		.amdhsa_float_denorm_mode_16_64 3
		.amdhsa_dx10_clamp 1
		.amdhsa_ieee_mode 1
		.amdhsa_fp16_overflow 0
		.amdhsa_tg_split 0
		.amdhsa_exception_fp_ieee_invalid_op 0
		.amdhsa_exception_fp_denorm_src 0
		.amdhsa_exception_fp_ieee_div_zero 0
		.amdhsa_exception_fp_ieee_overflow 0
		.amdhsa_exception_fp_ieee_underflow 0
		.amdhsa_exception_fp_ieee_inexact 0
		.amdhsa_exception_int_div_zero 0
	.end_amdhsa_kernel
	.section	.text._ZN7rocprim17ROCPRIM_400000_NS6detail17trampoline_kernelINS0_14default_configENS1_20scan_config_selectorIiEEZZNS1_9scan_implILNS1_25lookback_scan_determinismE0ELb1ELb1ES3_N6thrust23THRUST_200600_302600_NS6detail15normal_iteratorINS9_10device_ptrIiEEEESE_i11max_functorIiEiEEDaPvRmT3_T4_T5_mT6_P12ihipStream_tbENKUlT_T0_E_clISt17integral_constantIbLb1EEST_IbLb0EEEEDaSP_SQ_EUlSP_E_NS1_11comp_targetILNS1_3genE10ELNS1_11target_archE1200ELNS1_3gpuE4ELNS1_3repE0EEENS1_30default_config_static_selectorELNS0_4arch9wavefront6targetE1EEEvT1_,"axG",@progbits,_ZN7rocprim17ROCPRIM_400000_NS6detail17trampoline_kernelINS0_14default_configENS1_20scan_config_selectorIiEEZZNS1_9scan_implILNS1_25lookback_scan_determinismE0ELb1ELb1ES3_N6thrust23THRUST_200600_302600_NS6detail15normal_iteratorINS9_10device_ptrIiEEEESE_i11max_functorIiEiEEDaPvRmT3_T4_T5_mT6_P12ihipStream_tbENKUlT_T0_E_clISt17integral_constantIbLb1EEST_IbLb0EEEEDaSP_SQ_EUlSP_E_NS1_11comp_targetILNS1_3genE10ELNS1_11target_archE1200ELNS1_3gpuE4ELNS1_3repE0EEENS1_30default_config_static_selectorELNS0_4arch9wavefront6targetE1EEEvT1_,comdat
.Lfunc_end2816:
	.size	_ZN7rocprim17ROCPRIM_400000_NS6detail17trampoline_kernelINS0_14default_configENS1_20scan_config_selectorIiEEZZNS1_9scan_implILNS1_25lookback_scan_determinismE0ELb1ELb1ES3_N6thrust23THRUST_200600_302600_NS6detail15normal_iteratorINS9_10device_ptrIiEEEESE_i11max_functorIiEiEEDaPvRmT3_T4_T5_mT6_P12ihipStream_tbENKUlT_T0_E_clISt17integral_constantIbLb1EEST_IbLb0EEEEDaSP_SQ_EUlSP_E_NS1_11comp_targetILNS1_3genE10ELNS1_11target_archE1200ELNS1_3gpuE4ELNS1_3repE0EEENS1_30default_config_static_selectorELNS0_4arch9wavefront6targetE1EEEvT1_, .Lfunc_end2816-_ZN7rocprim17ROCPRIM_400000_NS6detail17trampoline_kernelINS0_14default_configENS1_20scan_config_selectorIiEEZZNS1_9scan_implILNS1_25lookback_scan_determinismE0ELb1ELb1ES3_N6thrust23THRUST_200600_302600_NS6detail15normal_iteratorINS9_10device_ptrIiEEEESE_i11max_functorIiEiEEDaPvRmT3_T4_T5_mT6_P12ihipStream_tbENKUlT_T0_E_clISt17integral_constantIbLb1EEST_IbLb0EEEEDaSP_SQ_EUlSP_E_NS1_11comp_targetILNS1_3genE10ELNS1_11target_archE1200ELNS1_3gpuE4ELNS1_3repE0EEENS1_30default_config_static_selectorELNS0_4arch9wavefront6targetE1EEEvT1_
                                        ; -- End function
	.section	.AMDGPU.csdata,"",@progbits
; Kernel info:
; codeLenInByte = 0
; NumSgprs: 4
; NumVgprs: 0
; NumAgprs: 0
; TotalNumVgprs: 0
; ScratchSize: 0
; MemoryBound: 0
; FloatMode: 240
; IeeeMode: 1
; LDSByteSize: 0 bytes/workgroup (compile time only)
; SGPRBlocks: 0
; VGPRBlocks: 0
; NumSGPRsForWavesPerEU: 4
; NumVGPRsForWavesPerEU: 1
; AccumOffset: 4
; Occupancy: 8
; WaveLimiterHint : 0
; COMPUTE_PGM_RSRC2:SCRATCH_EN: 0
; COMPUTE_PGM_RSRC2:USER_SGPR: 6
; COMPUTE_PGM_RSRC2:TRAP_HANDLER: 0
; COMPUTE_PGM_RSRC2:TGID_X_EN: 1
; COMPUTE_PGM_RSRC2:TGID_Y_EN: 0
; COMPUTE_PGM_RSRC2:TGID_Z_EN: 0
; COMPUTE_PGM_RSRC2:TIDIG_COMP_CNT: 0
; COMPUTE_PGM_RSRC3_GFX90A:ACCUM_OFFSET: 0
; COMPUTE_PGM_RSRC3_GFX90A:TG_SPLIT: 0
	.section	.text._ZN7rocprim17ROCPRIM_400000_NS6detail17trampoline_kernelINS0_14default_configENS1_20scan_config_selectorIiEEZZNS1_9scan_implILNS1_25lookback_scan_determinismE0ELb1ELb1ES3_N6thrust23THRUST_200600_302600_NS6detail15normal_iteratorINS9_10device_ptrIiEEEESE_i11max_functorIiEiEEDaPvRmT3_T4_T5_mT6_P12ihipStream_tbENKUlT_T0_E_clISt17integral_constantIbLb1EEST_IbLb0EEEEDaSP_SQ_EUlSP_E_NS1_11comp_targetILNS1_3genE9ELNS1_11target_archE1100ELNS1_3gpuE3ELNS1_3repE0EEENS1_30default_config_static_selectorELNS0_4arch9wavefront6targetE1EEEvT1_,"axG",@progbits,_ZN7rocprim17ROCPRIM_400000_NS6detail17trampoline_kernelINS0_14default_configENS1_20scan_config_selectorIiEEZZNS1_9scan_implILNS1_25lookback_scan_determinismE0ELb1ELb1ES3_N6thrust23THRUST_200600_302600_NS6detail15normal_iteratorINS9_10device_ptrIiEEEESE_i11max_functorIiEiEEDaPvRmT3_T4_T5_mT6_P12ihipStream_tbENKUlT_T0_E_clISt17integral_constantIbLb1EEST_IbLb0EEEEDaSP_SQ_EUlSP_E_NS1_11comp_targetILNS1_3genE9ELNS1_11target_archE1100ELNS1_3gpuE3ELNS1_3repE0EEENS1_30default_config_static_selectorELNS0_4arch9wavefront6targetE1EEEvT1_,comdat
	.protected	_ZN7rocprim17ROCPRIM_400000_NS6detail17trampoline_kernelINS0_14default_configENS1_20scan_config_selectorIiEEZZNS1_9scan_implILNS1_25lookback_scan_determinismE0ELb1ELb1ES3_N6thrust23THRUST_200600_302600_NS6detail15normal_iteratorINS9_10device_ptrIiEEEESE_i11max_functorIiEiEEDaPvRmT3_T4_T5_mT6_P12ihipStream_tbENKUlT_T0_E_clISt17integral_constantIbLb1EEST_IbLb0EEEEDaSP_SQ_EUlSP_E_NS1_11comp_targetILNS1_3genE9ELNS1_11target_archE1100ELNS1_3gpuE3ELNS1_3repE0EEENS1_30default_config_static_selectorELNS0_4arch9wavefront6targetE1EEEvT1_ ; -- Begin function _ZN7rocprim17ROCPRIM_400000_NS6detail17trampoline_kernelINS0_14default_configENS1_20scan_config_selectorIiEEZZNS1_9scan_implILNS1_25lookback_scan_determinismE0ELb1ELb1ES3_N6thrust23THRUST_200600_302600_NS6detail15normal_iteratorINS9_10device_ptrIiEEEESE_i11max_functorIiEiEEDaPvRmT3_T4_T5_mT6_P12ihipStream_tbENKUlT_T0_E_clISt17integral_constantIbLb1EEST_IbLb0EEEEDaSP_SQ_EUlSP_E_NS1_11comp_targetILNS1_3genE9ELNS1_11target_archE1100ELNS1_3gpuE3ELNS1_3repE0EEENS1_30default_config_static_selectorELNS0_4arch9wavefront6targetE1EEEvT1_
	.globl	_ZN7rocprim17ROCPRIM_400000_NS6detail17trampoline_kernelINS0_14default_configENS1_20scan_config_selectorIiEEZZNS1_9scan_implILNS1_25lookback_scan_determinismE0ELb1ELb1ES3_N6thrust23THRUST_200600_302600_NS6detail15normal_iteratorINS9_10device_ptrIiEEEESE_i11max_functorIiEiEEDaPvRmT3_T4_T5_mT6_P12ihipStream_tbENKUlT_T0_E_clISt17integral_constantIbLb1EEST_IbLb0EEEEDaSP_SQ_EUlSP_E_NS1_11comp_targetILNS1_3genE9ELNS1_11target_archE1100ELNS1_3gpuE3ELNS1_3repE0EEENS1_30default_config_static_selectorELNS0_4arch9wavefront6targetE1EEEvT1_
	.p2align	8
	.type	_ZN7rocprim17ROCPRIM_400000_NS6detail17trampoline_kernelINS0_14default_configENS1_20scan_config_selectorIiEEZZNS1_9scan_implILNS1_25lookback_scan_determinismE0ELb1ELb1ES3_N6thrust23THRUST_200600_302600_NS6detail15normal_iteratorINS9_10device_ptrIiEEEESE_i11max_functorIiEiEEDaPvRmT3_T4_T5_mT6_P12ihipStream_tbENKUlT_T0_E_clISt17integral_constantIbLb1EEST_IbLb0EEEEDaSP_SQ_EUlSP_E_NS1_11comp_targetILNS1_3genE9ELNS1_11target_archE1100ELNS1_3gpuE3ELNS1_3repE0EEENS1_30default_config_static_selectorELNS0_4arch9wavefront6targetE1EEEvT1_,@function
_ZN7rocprim17ROCPRIM_400000_NS6detail17trampoline_kernelINS0_14default_configENS1_20scan_config_selectorIiEEZZNS1_9scan_implILNS1_25lookback_scan_determinismE0ELb1ELb1ES3_N6thrust23THRUST_200600_302600_NS6detail15normal_iteratorINS9_10device_ptrIiEEEESE_i11max_functorIiEiEEDaPvRmT3_T4_T5_mT6_P12ihipStream_tbENKUlT_T0_E_clISt17integral_constantIbLb1EEST_IbLb0EEEEDaSP_SQ_EUlSP_E_NS1_11comp_targetILNS1_3genE9ELNS1_11target_archE1100ELNS1_3gpuE3ELNS1_3repE0EEENS1_30default_config_static_selectorELNS0_4arch9wavefront6targetE1EEEvT1_: ; @_ZN7rocprim17ROCPRIM_400000_NS6detail17trampoline_kernelINS0_14default_configENS1_20scan_config_selectorIiEEZZNS1_9scan_implILNS1_25lookback_scan_determinismE0ELb1ELb1ES3_N6thrust23THRUST_200600_302600_NS6detail15normal_iteratorINS9_10device_ptrIiEEEESE_i11max_functorIiEiEEDaPvRmT3_T4_T5_mT6_P12ihipStream_tbENKUlT_T0_E_clISt17integral_constantIbLb1EEST_IbLb0EEEEDaSP_SQ_EUlSP_E_NS1_11comp_targetILNS1_3genE9ELNS1_11target_archE1100ELNS1_3gpuE3ELNS1_3repE0EEENS1_30default_config_static_selectorELNS0_4arch9wavefront6targetE1EEEvT1_
; %bb.0:
	.section	.rodata,"a",@progbits
	.p2align	6, 0x0
	.amdhsa_kernel _ZN7rocprim17ROCPRIM_400000_NS6detail17trampoline_kernelINS0_14default_configENS1_20scan_config_selectorIiEEZZNS1_9scan_implILNS1_25lookback_scan_determinismE0ELb1ELb1ES3_N6thrust23THRUST_200600_302600_NS6detail15normal_iteratorINS9_10device_ptrIiEEEESE_i11max_functorIiEiEEDaPvRmT3_T4_T5_mT6_P12ihipStream_tbENKUlT_T0_E_clISt17integral_constantIbLb1EEST_IbLb0EEEEDaSP_SQ_EUlSP_E_NS1_11comp_targetILNS1_3genE9ELNS1_11target_archE1100ELNS1_3gpuE3ELNS1_3repE0EEENS1_30default_config_static_selectorELNS0_4arch9wavefront6targetE1EEEvT1_
		.amdhsa_group_segment_fixed_size 0
		.amdhsa_private_segment_fixed_size 0
		.amdhsa_kernarg_size 96
		.amdhsa_user_sgpr_count 6
		.amdhsa_user_sgpr_private_segment_buffer 1
		.amdhsa_user_sgpr_dispatch_ptr 0
		.amdhsa_user_sgpr_queue_ptr 0
		.amdhsa_user_sgpr_kernarg_segment_ptr 1
		.amdhsa_user_sgpr_dispatch_id 0
		.amdhsa_user_sgpr_flat_scratch_init 0
		.amdhsa_user_sgpr_kernarg_preload_length 0
		.amdhsa_user_sgpr_kernarg_preload_offset 0
		.amdhsa_user_sgpr_private_segment_size 0
		.amdhsa_uses_dynamic_stack 0
		.amdhsa_system_sgpr_private_segment_wavefront_offset 0
		.amdhsa_system_sgpr_workgroup_id_x 1
		.amdhsa_system_sgpr_workgroup_id_y 0
		.amdhsa_system_sgpr_workgroup_id_z 0
		.amdhsa_system_sgpr_workgroup_info 0
		.amdhsa_system_vgpr_workitem_id 0
		.amdhsa_next_free_vgpr 1
		.amdhsa_next_free_sgpr 0
		.amdhsa_accum_offset 4
		.amdhsa_reserve_vcc 0
		.amdhsa_reserve_flat_scratch 0
		.amdhsa_float_round_mode_32 0
		.amdhsa_float_round_mode_16_64 0
		.amdhsa_float_denorm_mode_32 3
		.amdhsa_float_denorm_mode_16_64 3
		.amdhsa_dx10_clamp 1
		.amdhsa_ieee_mode 1
		.amdhsa_fp16_overflow 0
		.amdhsa_tg_split 0
		.amdhsa_exception_fp_ieee_invalid_op 0
		.amdhsa_exception_fp_denorm_src 0
		.amdhsa_exception_fp_ieee_div_zero 0
		.amdhsa_exception_fp_ieee_overflow 0
		.amdhsa_exception_fp_ieee_underflow 0
		.amdhsa_exception_fp_ieee_inexact 0
		.amdhsa_exception_int_div_zero 0
	.end_amdhsa_kernel
	.section	.text._ZN7rocprim17ROCPRIM_400000_NS6detail17trampoline_kernelINS0_14default_configENS1_20scan_config_selectorIiEEZZNS1_9scan_implILNS1_25lookback_scan_determinismE0ELb1ELb1ES3_N6thrust23THRUST_200600_302600_NS6detail15normal_iteratorINS9_10device_ptrIiEEEESE_i11max_functorIiEiEEDaPvRmT3_T4_T5_mT6_P12ihipStream_tbENKUlT_T0_E_clISt17integral_constantIbLb1EEST_IbLb0EEEEDaSP_SQ_EUlSP_E_NS1_11comp_targetILNS1_3genE9ELNS1_11target_archE1100ELNS1_3gpuE3ELNS1_3repE0EEENS1_30default_config_static_selectorELNS0_4arch9wavefront6targetE1EEEvT1_,"axG",@progbits,_ZN7rocprim17ROCPRIM_400000_NS6detail17trampoline_kernelINS0_14default_configENS1_20scan_config_selectorIiEEZZNS1_9scan_implILNS1_25lookback_scan_determinismE0ELb1ELb1ES3_N6thrust23THRUST_200600_302600_NS6detail15normal_iteratorINS9_10device_ptrIiEEEESE_i11max_functorIiEiEEDaPvRmT3_T4_T5_mT6_P12ihipStream_tbENKUlT_T0_E_clISt17integral_constantIbLb1EEST_IbLb0EEEEDaSP_SQ_EUlSP_E_NS1_11comp_targetILNS1_3genE9ELNS1_11target_archE1100ELNS1_3gpuE3ELNS1_3repE0EEENS1_30default_config_static_selectorELNS0_4arch9wavefront6targetE1EEEvT1_,comdat
.Lfunc_end2817:
	.size	_ZN7rocprim17ROCPRIM_400000_NS6detail17trampoline_kernelINS0_14default_configENS1_20scan_config_selectorIiEEZZNS1_9scan_implILNS1_25lookback_scan_determinismE0ELb1ELb1ES3_N6thrust23THRUST_200600_302600_NS6detail15normal_iteratorINS9_10device_ptrIiEEEESE_i11max_functorIiEiEEDaPvRmT3_T4_T5_mT6_P12ihipStream_tbENKUlT_T0_E_clISt17integral_constantIbLb1EEST_IbLb0EEEEDaSP_SQ_EUlSP_E_NS1_11comp_targetILNS1_3genE9ELNS1_11target_archE1100ELNS1_3gpuE3ELNS1_3repE0EEENS1_30default_config_static_selectorELNS0_4arch9wavefront6targetE1EEEvT1_, .Lfunc_end2817-_ZN7rocprim17ROCPRIM_400000_NS6detail17trampoline_kernelINS0_14default_configENS1_20scan_config_selectorIiEEZZNS1_9scan_implILNS1_25lookback_scan_determinismE0ELb1ELb1ES3_N6thrust23THRUST_200600_302600_NS6detail15normal_iteratorINS9_10device_ptrIiEEEESE_i11max_functorIiEiEEDaPvRmT3_T4_T5_mT6_P12ihipStream_tbENKUlT_T0_E_clISt17integral_constantIbLb1EEST_IbLb0EEEEDaSP_SQ_EUlSP_E_NS1_11comp_targetILNS1_3genE9ELNS1_11target_archE1100ELNS1_3gpuE3ELNS1_3repE0EEENS1_30default_config_static_selectorELNS0_4arch9wavefront6targetE1EEEvT1_
                                        ; -- End function
	.section	.AMDGPU.csdata,"",@progbits
; Kernel info:
; codeLenInByte = 0
; NumSgprs: 4
; NumVgprs: 0
; NumAgprs: 0
; TotalNumVgprs: 0
; ScratchSize: 0
; MemoryBound: 0
; FloatMode: 240
; IeeeMode: 1
; LDSByteSize: 0 bytes/workgroup (compile time only)
; SGPRBlocks: 0
; VGPRBlocks: 0
; NumSGPRsForWavesPerEU: 4
; NumVGPRsForWavesPerEU: 1
; AccumOffset: 4
; Occupancy: 8
; WaveLimiterHint : 0
; COMPUTE_PGM_RSRC2:SCRATCH_EN: 0
; COMPUTE_PGM_RSRC2:USER_SGPR: 6
; COMPUTE_PGM_RSRC2:TRAP_HANDLER: 0
; COMPUTE_PGM_RSRC2:TGID_X_EN: 1
; COMPUTE_PGM_RSRC2:TGID_Y_EN: 0
; COMPUTE_PGM_RSRC2:TGID_Z_EN: 0
; COMPUTE_PGM_RSRC2:TIDIG_COMP_CNT: 0
; COMPUTE_PGM_RSRC3_GFX90A:ACCUM_OFFSET: 0
; COMPUTE_PGM_RSRC3_GFX90A:TG_SPLIT: 0
	.section	.text._ZN7rocprim17ROCPRIM_400000_NS6detail17trampoline_kernelINS0_14default_configENS1_20scan_config_selectorIiEEZZNS1_9scan_implILNS1_25lookback_scan_determinismE0ELb1ELb1ES3_N6thrust23THRUST_200600_302600_NS6detail15normal_iteratorINS9_10device_ptrIiEEEESE_i11max_functorIiEiEEDaPvRmT3_T4_T5_mT6_P12ihipStream_tbENKUlT_T0_E_clISt17integral_constantIbLb1EEST_IbLb0EEEEDaSP_SQ_EUlSP_E_NS1_11comp_targetILNS1_3genE8ELNS1_11target_archE1030ELNS1_3gpuE2ELNS1_3repE0EEENS1_30default_config_static_selectorELNS0_4arch9wavefront6targetE1EEEvT1_,"axG",@progbits,_ZN7rocprim17ROCPRIM_400000_NS6detail17trampoline_kernelINS0_14default_configENS1_20scan_config_selectorIiEEZZNS1_9scan_implILNS1_25lookback_scan_determinismE0ELb1ELb1ES3_N6thrust23THRUST_200600_302600_NS6detail15normal_iteratorINS9_10device_ptrIiEEEESE_i11max_functorIiEiEEDaPvRmT3_T4_T5_mT6_P12ihipStream_tbENKUlT_T0_E_clISt17integral_constantIbLb1EEST_IbLb0EEEEDaSP_SQ_EUlSP_E_NS1_11comp_targetILNS1_3genE8ELNS1_11target_archE1030ELNS1_3gpuE2ELNS1_3repE0EEENS1_30default_config_static_selectorELNS0_4arch9wavefront6targetE1EEEvT1_,comdat
	.protected	_ZN7rocprim17ROCPRIM_400000_NS6detail17trampoline_kernelINS0_14default_configENS1_20scan_config_selectorIiEEZZNS1_9scan_implILNS1_25lookback_scan_determinismE0ELb1ELb1ES3_N6thrust23THRUST_200600_302600_NS6detail15normal_iteratorINS9_10device_ptrIiEEEESE_i11max_functorIiEiEEDaPvRmT3_T4_T5_mT6_P12ihipStream_tbENKUlT_T0_E_clISt17integral_constantIbLb1EEST_IbLb0EEEEDaSP_SQ_EUlSP_E_NS1_11comp_targetILNS1_3genE8ELNS1_11target_archE1030ELNS1_3gpuE2ELNS1_3repE0EEENS1_30default_config_static_selectorELNS0_4arch9wavefront6targetE1EEEvT1_ ; -- Begin function _ZN7rocprim17ROCPRIM_400000_NS6detail17trampoline_kernelINS0_14default_configENS1_20scan_config_selectorIiEEZZNS1_9scan_implILNS1_25lookback_scan_determinismE0ELb1ELb1ES3_N6thrust23THRUST_200600_302600_NS6detail15normal_iteratorINS9_10device_ptrIiEEEESE_i11max_functorIiEiEEDaPvRmT3_T4_T5_mT6_P12ihipStream_tbENKUlT_T0_E_clISt17integral_constantIbLb1EEST_IbLb0EEEEDaSP_SQ_EUlSP_E_NS1_11comp_targetILNS1_3genE8ELNS1_11target_archE1030ELNS1_3gpuE2ELNS1_3repE0EEENS1_30default_config_static_selectorELNS0_4arch9wavefront6targetE1EEEvT1_
	.globl	_ZN7rocprim17ROCPRIM_400000_NS6detail17trampoline_kernelINS0_14default_configENS1_20scan_config_selectorIiEEZZNS1_9scan_implILNS1_25lookback_scan_determinismE0ELb1ELb1ES3_N6thrust23THRUST_200600_302600_NS6detail15normal_iteratorINS9_10device_ptrIiEEEESE_i11max_functorIiEiEEDaPvRmT3_T4_T5_mT6_P12ihipStream_tbENKUlT_T0_E_clISt17integral_constantIbLb1EEST_IbLb0EEEEDaSP_SQ_EUlSP_E_NS1_11comp_targetILNS1_3genE8ELNS1_11target_archE1030ELNS1_3gpuE2ELNS1_3repE0EEENS1_30default_config_static_selectorELNS0_4arch9wavefront6targetE1EEEvT1_
	.p2align	8
	.type	_ZN7rocprim17ROCPRIM_400000_NS6detail17trampoline_kernelINS0_14default_configENS1_20scan_config_selectorIiEEZZNS1_9scan_implILNS1_25lookback_scan_determinismE0ELb1ELb1ES3_N6thrust23THRUST_200600_302600_NS6detail15normal_iteratorINS9_10device_ptrIiEEEESE_i11max_functorIiEiEEDaPvRmT3_T4_T5_mT6_P12ihipStream_tbENKUlT_T0_E_clISt17integral_constantIbLb1EEST_IbLb0EEEEDaSP_SQ_EUlSP_E_NS1_11comp_targetILNS1_3genE8ELNS1_11target_archE1030ELNS1_3gpuE2ELNS1_3repE0EEENS1_30default_config_static_selectorELNS0_4arch9wavefront6targetE1EEEvT1_,@function
_ZN7rocprim17ROCPRIM_400000_NS6detail17trampoline_kernelINS0_14default_configENS1_20scan_config_selectorIiEEZZNS1_9scan_implILNS1_25lookback_scan_determinismE0ELb1ELb1ES3_N6thrust23THRUST_200600_302600_NS6detail15normal_iteratorINS9_10device_ptrIiEEEESE_i11max_functorIiEiEEDaPvRmT3_T4_T5_mT6_P12ihipStream_tbENKUlT_T0_E_clISt17integral_constantIbLb1EEST_IbLb0EEEEDaSP_SQ_EUlSP_E_NS1_11comp_targetILNS1_3genE8ELNS1_11target_archE1030ELNS1_3gpuE2ELNS1_3repE0EEENS1_30default_config_static_selectorELNS0_4arch9wavefront6targetE1EEEvT1_: ; @_ZN7rocprim17ROCPRIM_400000_NS6detail17trampoline_kernelINS0_14default_configENS1_20scan_config_selectorIiEEZZNS1_9scan_implILNS1_25lookback_scan_determinismE0ELb1ELb1ES3_N6thrust23THRUST_200600_302600_NS6detail15normal_iteratorINS9_10device_ptrIiEEEESE_i11max_functorIiEiEEDaPvRmT3_T4_T5_mT6_P12ihipStream_tbENKUlT_T0_E_clISt17integral_constantIbLb1EEST_IbLb0EEEEDaSP_SQ_EUlSP_E_NS1_11comp_targetILNS1_3genE8ELNS1_11target_archE1030ELNS1_3gpuE2ELNS1_3repE0EEENS1_30default_config_static_selectorELNS0_4arch9wavefront6targetE1EEEvT1_
; %bb.0:
	.section	.rodata,"a",@progbits
	.p2align	6, 0x0
	.amdhsa_kernel _ZN7rocprim17ROCPRIM_400000_NS6detail17trampoline_kernelINS0_14default_configENS1_20scan_config_selectorIiEEZZNS1_9scan_implILNS1_25lookback_scan_determinismE0ELb1ELb1ES3_N6thrust23THRUST_200600_302600_NS6detail15normal_iteratorINS9_10device_ptrIiEEEESE_i11max_functorIiEiEEDaPvRmT3_T4_T5_mT6_P12ihipStream_tbENKUlT_T0_E_clISt17integral_constantIbLb1EEST_IbLb0EEEEDaSP_SQ_EUlSP_E_NS1_11comp_targetILNS1_3genE8ELNS1_11target_archE1030ELNS1_3gpuE2ELNS1_3repE0EEENS1_30default_config_static_selectorELNS0_4arch9wavefront6targetE1EEEvT1_
		.amdhsa_group_segment_fixed_size 0
		.amdhsa_private_segment_fixed_size 0
		.amdhsa_kernarg_size 96
		.amdhsa_user_sgpr_count 6
		.amdhsa_user_sgpr_private_segment_buffer 1
		.amdhsa_user_sgpr_dispatch_ptr 0
		.amdhsa_user_sgpr_queue_ptr 0
		.amdhsa_user_sgpr_kernarg_segment_ptr 1
		.amdhsa_user_sgpr_dispatch_id 0
		.amdhsa_user_sgpr_flat_scratch_init 0
		.amdhsa_user_sgpr_kernarg_preload_length 0
		.amdhsa_user_sgpr_kernarg_preload_offset 0
		.amdhsa_user_sgpr_private_segment_size 0
		.amdhsa_uses_dynamic_stack 0
		.amdhsa_system_sgpr_private_segment_wavefront_offset 0
		.amdhsa_system_sgpr_workgroup_id_x 1
		.amdhsa_system_sgpr_workgroup_id_y 0
		.amdhsa_system_sgpr_workgroup_id_z 0
		.amdhsa_system_sgpr_workgroup_info 0
		.amdhsa_system_vgpr_workitem_id 0
		.amdhsa_next_free_vgpr 1
		.amdhsa_next_free_sgpr 0
		.amdhsa_accum_offset 4
		.amdhsa_reserve_vcc 0
		.amdhsa_reserve_flat_scratch 0
		.amdhsa_float_round_mode_32 0
		.amdhsa_float_round_mode_16_64 0
		.amdhsa_float_denorm_mode_32 3
		.amdhsa_float_denorm_mode_16_64 3
		.amdhsa_dx10_clamp 1
		.amdhsa_ieee_mode 1
		.amdhsa_fp16_overflow 0
		.amdhsa_tg_split 0
		.amdhsa_exception_fp_ieee_invalid_op 0
		.amdhsa_exception_fp_denorm_src 0
		.amdhsa_exception_fp_ieee_div_zero 0
		.amdhsa_exception_fp_ieee_overflow 0
		.amdhsa_exception_fp_ieee_underflow 0
		.amdhsa_exception_fp_ieee_inexact 0
		.amdhsa_exception_int_div_zero 0
	.end_amdhsa_kernel
	.section	.text._ZN7rocprim17ROCPRIM_400000_NS6detail17trampoline_kernelINS0_14default_configENS1_20scan_config_selectorIiEEZZNS1_9scan_implILNS1_25lookback_scan_determinismE0ELb1ELb1ES3_N6thrust23THRUST_200600_302600_NS6detail15normal_iteratorINS9_10device_ptrIiEEEESE_i11max_functorIiEiEEDaPvRmT3_T4_T5_mT6_P12ihipStream_tbENKUlT_T0_E_clISt17integral_constantIbLb1EEST_IbLb0EEEEDaSP_SQ_EUlSP_E_NS1_11comp_targetILNS1_3genE8ELNS1_11target_archE1030ELNS1_3gpuE2ELNS1_3repE0EEENS1_30default_config_static_selectorELNS0_4arch9wavefront6targetE1EEEvT1_,"axG",@progbits,_ZN7rocprim17ROCPRIM_400000_NS6detail17trampoline_kernelINS0_14default_configENS1_20scan_config_selectorIiEEZZNS1_9scan_implILNS1_25lookback_scan_determinismE0ELb1ELb1ES3_N6thrust23THRUST_200600_302600_NS6detail15normal_iteratorINS9_10device_ptrIiEEEESE_i11max_functorIiEiEEDaPvRmT3_T4_T5_mT6_P12ihipStream_tbENKUlT_T0_E_clISt17integral_constantIbLb1EEST_IbLb0EEEEDaSP_SQ_EUlSP_E_NS1_11comp_targetILNS1_3genE8ELNS1_11target_archE1030ELNS1_3gpuE2ELNS1_3repE0EEENS1_30default_config_static_selectorELNS0_4arch9wavefront6targetE1EEEvT1_,comdat
.Lfunc_end2818:
	.size	_ZN7rocprim17ROCPRIM_400000_NS6detail17trampoline_kernelINS0_14default_configENS1_20scan_config_selectorIiEEZZNS1_9scan_implILNS1_25lookback_scan_determinismE0ELb1ELb1ES3_N6thrust23THRUST_200600_302600_NS6detail15normal_iteratorINS9_10device_ptrIiEEEESE_i11max_functorIiEiEEDaPvRmT3_T4_T5_mT6_P12ihipStream_tbENKUlT_T0_E_clISt17integral_constantIbLb1EEST_IbLb0EEEEDaSP_SQ_EUlSP_E_NS1_11comp_targetILNS1_3genE8ELNS1_11target_archE1030ELNS1_3gpuE2ELNS1_3repE0EEENS1_30default_config_static_selectorELNS0_4arch9wavefront6targetE1EEEvT1_, .Lfunc_end2818-_ZN7rocprim17ROCPRIM_400000_NS6detail17trampoline_kernelINS0_14default_configENS1_20scan_config_selectorIiEEZZNS1_9scan_implILNS1_25lookback_scan_determinismE0ELb1ELb1ES3_N6thrust23THRUST_200600_302600_NS6detail15normal_iteratorINS9_10device_ptrIiEEEESE_i11max_functorIiEiEEDaPvRmT3_T4_T5_mT6_P12ihipStream_tbENKUlT_T0_E_clISt17integral_constantIbLb1EEST_IbLb0EEEEDaSP_SQ_EUlSP_E_NS1_11comp_targetILNS1_3genE8ELNS1_11target_archE1030ELNS1_3gpuE2ELNS1_3repE0EEENS1_30default_config_static_selectorELNS0_4arch9wavefront6targetE1EEEvT1_
                                        ; -- End function
	.section	.AMDGPU.csdata,"",@progbits
; Kernel info:
; codeLenInByte = 0
; NumSgprs: 4
; NumVgprs: 0
; NumAgprs: 0
; TotalNumVgprs: 0
; ScratchSize: 0
; MemoryBound: 0
; FloatMode: 240
; IeeeMode: 1
; LDSByteSize: 0 bytes/workgroup (compile time only)
; SGPRBlocks: 0
; VGPRBlocks: 0
; NumSGPRsForWavesPerEU: 4
; NumVGPRsForWavesPerEU: 1
; AccumOffset: 4
; Occupancy: 8
; WaveLimiterHint : 0
; COMPUTE_PGM_RSRC2:SCRATCH_EN: 0
; COMPUTE_PGM_RSRC2:USER_SGPR: 6
; COMPUTE_PGM_RSRC2:TRAP_HANDLER: 0
; COMPUTE_PGM_RSRC2:TGID_X_EN: 1
; COMPUTE_PGM_RSRC2:TGID_Y_EN: 0
; COMPUTE_PGM_RSRC2:TGID_Z_EN: 0
; COMPUTE_PGM_RSRC2:TIDIG_COMP_CNT: 0
; COMPUTE_PGM_RSRC3_GFX90A:ACCUM_OFFSET: 0
; COMPUTE_PGM_RSRC3_GFX90A:TG_SPLIT: 0
	.section	.text._ZN7rocprim17ROCPRIM_400000_NS6detail17trampoline_kernelINS0_14default_configENS1_20scan_config_selectorIiEEZZNS1_9scan_implILNS1_25lookback_scan_determinismE0ELb1ELb1ES3_N6thrust23THRUST_200600_302600_NS6detail15normal_iteratorINS9_10device_ptrIiEEEESE_i11max_functorIiEiEEDaPvRmT3_T4_T5_mT6_P12ihipStream_tbENKUlT_T0_E_clISt17integral_constantIbLb1EEST_IbLb0EEEEDaSP_SQ_EUlSP_E0_NS1_11comp_targetILNS1_3genE0ELNS1_11target_archE4294967295ELNS1_3gpuE0ELNS1_3repE0EEENS1_30default_config_static_selectorELNS0_4arch9wavefront6targetE1EEEvT1_,"axG",@progbits,_ZN7rocprim17ROCPRIM_400000_NS6detail17trampoline_kernelINS0_14default_configENS1_20scan_config_selectorIiEEZZNS1_9scan_implILNS1_25lookback_scan_determinismE0ELb1ELb1ES3_N6thrust23THRUST_200600_302600_NS6detail15normal_iteratorINS9_10device_ptrIiEEEESE_i11max_functorIiEiEEDaPvRmT3_T4_T5_mT6_P12ihipStream_tbENKUlT_T0_E_clISt17integral_constantIbLb1EEST_IbLb0EEEEDaSP_SQ_EUlSP_E0_NS1_11comp_targetILNS1_3genE0ELNS1_11target_archE4294967295ELNS1_3gpuE0ELNS1_3repE0EEENS1_30default_config_static_selectorELNS0_4arch9wavefront6targetE1EEEvT1_,comdat
	.protected	_ZN7rocprim17ROCPRIM_400000_NS6detail17trampoline_kernelINS0_14default_configENS1_20scan_config_selectorIiEEZZNS1_9scan_implILNS1_25lookback_scan_determinismE0ELb1ELb1ES3_N6thrust23THRUST_200600_302600_NS6detail15normal_iteratorINS9_10device_ptrIiEEEESE_i11max_functorIiEiEEDaPvRmT3_T4_T5_mT6_P12ihipStream_tbENKUlT_T0_E_clISt17integral_constantIbLb1EEST_IbLb0EEEEDaSP_SQ_EUlSP_E0_NS1_11comp_targetILNS1_3genE0ELNS1_11target_archE4294967295ELNS1_3gpuE0ELNS1_3repE0EEENS1_30default_config_static_selectorELNS0_4arch9wavefront6targetE1EEEvT1_ ; -- Begin function _ZN7rocprim17ROCPRIM_400000_NS6detail17trampoline_kernelINS0_14default_configENS1_20scan_config_selectorIiEEZZNS1_9scan_implILNS1_25lookback_scan_determinismE0ELb1ELb1ES3_N6thrust23THRUST_200600_302600_NS6detail15normal_iteratorINS9_10device_ptrIiEEEESE_i11max_functorIiEiEEDaPvRmT3_T4_T5_mT6_P12ihipStream_tbENKUlT_T0_E_clISt17integral_constantIbLb1EEST_IbLb0EEEEDaSP_SQ_EUlSP_E0_NS1_11comp_targetILNS1_3genE0ELNS1_11target_archE4294967295ELNS1_3gpuE0ELNS1_3repE0EEENS1_30default_config_static_selectorELNS0_4arch9wavefront6targetE1EEEvT1_
	.globl	_ZN7rocprim17ROCPRIM_400000_NS6detail17trampoline_kernelINS0_14default_configENS1_20scan_config_selectorIiEEZZNS1_9scan_implILNS1_25lookback_scan_determinismE0ELb1ELb1ES3_N6thrust23THRUST_200600_302600_NS6detail15normal_iteratorINS9_10device_ptrIiEEEESE_i11max_functorIiEiEEDaPvRmT3_T4_T5_mT6_P12ihipStream_tbENKUlT_T0_E_clISt17integral_constantIbLb1EEST_IbLb0EEEEDaSP_SQ_EUlSP_E0_NS1_11comp_targetILNS1_3genE0ELNS1_11target_archE4294967295ELNS1_3gpuE0ELNS1_3repE0EEENS1_30default_config_static_selectorELNS0_4arch9wavefront6targetE1EEEvT1_
	.p2align	8
	.type	_ZN7rocprim17ROCPRIM_400000_NS6detail17trampoline_kernelINS0_14default_configENS1_20scan_config_selectorIiEEZZNS1_9scan_implILNS1_25lookback_scan_determinismE0ELb1ELb1ES3_N6thrust23THRUST_200600_302600_NS6detail15normal_iteratorINS9_10device_ptrIiEEEESE_i11max_functorIiEiEEDaPvRmT3_T4_T5_mT6_P12ihipStream_tbENKUlT_T0_E_clISt17integral_constantIbLb1EEST_IbLb0EEEEDaSP_SQ_EUlSP_E0_NS1_11comp_targetILNS1_3genE0ELNS1_11target_archE4294967295ELNS1_3gpuE0ELNS1_3repE0EEENS1_30default_config_static_selectorELNS0_4arch9wavefront6targetE1EEEvT1_,@function
_ZN7rocprim17ROCPRIM_400000_NS6detail17trampoline_kernelINS0_14default_configENS1_20scan_config_selectorIiEEZZNS1_9scan_implILNS1_25lookback_scan_determinismE0ELb1ELb1ES3_N6thrust23THRUST_200600_302600_NS6detail15normal_iteratorINS9_10device_ptrIiEEEESE_i11max_functorIiEiEEDaPvRmT3_T4_T5_mT6_P12ihipStream_tbENKUlT_T0_E_clISt17integral_constantIbLb1EEST_IbLb0EEEEDaSP_SQ_EUlSP_E0_NS1_11comp_targetILNS1_3genE0ELNS1_11target_archE4294967295ELNS1_3gpuE0ELNS1_3repE0EEENS1_30default_config_static_selectorELNS0_4arch9wavefront6targetE1EEEvT1_: ; @_ZN7rocprim17ROCPRIM_400000_NS6detail17trampoline_kernelINS0_14default_configENS1_20scan_config_selectorIiEEZZNS1_9scan_implILNS1_25lookback_scan_determinismE0ELb1ELb1ES3_N6thrust23THRUST_200600_302600_NS6detail15normal_iteratorINS9_10device_ptrIiEEEESE_i11max_functorIiEiEEDaPvRmT3_T4_T5_mT6_P12ihipStream_tbENKUlT_T0_E_clISt17integral_constantIbLb1EEST_IbLb0EEEEDaSP_SQ_EUlSP_E0_NS1_11comp_targetILNS1_3genE0ELNS1_11target_archE4294967295ELNS1_3gpuE0ELNS1_3repE0EEENS1_30default_config_static_selectorELNS0_4arch9wavefront6targetE1EEEvT1_
; %bb.0:
	.section	.rodata,"a",@progbits
	.p2align	6, 0x0
	.amdhsa_kernel _ZN7rocprim17ROCPRIM_400000_NS6detail17trampoline_kernelINS0_14default_configENS1_20scan_config_selectorIiEEZZNS1_9scan_implILNS1_25lookback_scan_determinismE0ELb1ELb1ES3_N6thrust23THRUST_200600_302600_NS6detail15normal_iteratorINS9_10device_ptrIiEEEESE_i11max_functorIiEiEEDaPvRmT3_T4_T5_mT6_P12ihipStream_tbENKUlT_T0_E_clISt17integral_constantIbLb1EEST_IbLb0EEEEDaSP_SQ_EUlSP_E0_NS1_11comp_targetILNS1_3genE0ELNS1_11target_archE4294967295ELNS1_3gpuE0ELNS1_3repE0EEENS1_30default_config_static_selectorELNS0_4arch9wavefront6targetE1EEEvT1_
		.amdhsa_group_segment_fixed_size 0
		.amdhsa_private_segment_fixed_size 0
		.amdhsa_kernarg_size 32
		.amdhsa_user_sgpr_count 6
		.amdhsa_user_sgpr_private_segment_buffer 1
		.amdhsa_user_sgpr_dispatch_ptr 0
		.amdhsa_user_sgpr_queue_ptr 0
		.amdhsa_user_sgpr_kernarg_segment_ptr 1
		.amdhsa_user_sgpr_dispatch_id 0
		.amdhsa_user_sgpr_flat_scratch_init 0
		.amdhsa_user_sgpr_kernarg_preload_length 0
		.amdhsa_user_sgpr_kernarg_preload_offset 0
		.amdhsa_user_sgpr_private_segment_size 0
		.amdhsa_uses_dynamic_stack 0
		.amdhsa_system_sgpr_private_segment_wavefront_offset 0
		.amdhsa_system_sgpr_workgroup_id_x 1
		.amdhsa_system_sgpr_workgroup_id_y 0
		.amdhsa_system_sgpr_workgroup_id_z 0
		.amdhsa_system_sgpr_workgroup_info 0
		.amdhsa_system_vgpr_workitem_id 0
		.amdhsa_next_free_vgpr 1
		.amdhsa_next_free_sgpr 0
		.amdhsa_accum_offset 4
		.amdhsa_reserve_vcc 0
		.amdhsa_reserve_flat_scratch 0
		.amdhsa_float_round_mode_32 0
		.amdhsa_float_round_mode_16_64 0
		.amdhsa_float_denorm_mode_32 3
		.amdhsa_float_denorm_mode_16_64 3
		.amdhsa_dx10_clamp 1
		.amdhsa_ieee_mode 1
		.amdhsa_fp16_overflow 0
		.amdhsa_tg_split 0
		.amdhsa_exception_fp_ieee_invalid_op 0
		.amdhsa_exception_fp_denorm_src 0
		.amdhsa_exception_fp_ieee_div_zero 0
		.amdhsa_exception_fp_ieee_overflow 0
		.amdhsa_exception_fp_ieee_underflow 0
		.amdhsa_exception_fp_ieee_inexact 0
		.amdhsa_exception_int_div_zero 0
	.end_amdhsa_kernel
	.section	.text._ZN7rocprim17ROCPRIM_400000_NS6detail17trampoline_kernelINS0_14default_configENS1_20scan_config_selectorIiEEZZNS1_9scan_implILNS1_25lookback_scan_determinismE0ELb1ELb1ES3_N6thrust23THRUST_200600_302600_NS6detail15normal_iteratorINS9_10device_ptrIiEEEESE_i11max_functorIiEiEEDaPvRmT3_T4_T5_mT6_P12ihipStream_tbENKUlT_T0_E_clISt17integral_constantIbLb1EEST_IbLb0EEEEDaSP_SQ_EUlSP_E0_NS1_11comp_targetILNS1_3genE0ELNS1_11target_archE4294967295ELNS1_3gpuE0ELNS1_3repE0EEENS1_30default_config_static_selectorELNS0_4arch9wavefront6targetE1EEEvT1_,"axG",@progbits,_ZN7rocprim17ROCPRIM_400000_NS6detail17trampoline_kernelINS0_14default_configENS1_20scan_config_selectorIiEEZZNS1_9scan_implILNS1_25lookback_scan_determinismE0ELb1ELb1ES3_N6thrust23THRUST_200600_302600_NS6detail15normal_iteratorINS9_10device_ptrIiEEEESE_i11max_functorIiEiEEDaPvRmT3_T4_T5_mT6_P12ihipStream_tbENKUlT_T0_E_clISt17integral_constantIbLb1EEST_IbLb0EEEEDaSP_SQ_EUlSP_E0_NS1_11comp_targetILNS1_3genE0ELNS1_11target_archE4294967295ELNS1_3gpuE0ELNS1_3repE0EEENS1_30default_config_static_selectorELNS0_4arch9wavefront6targetE1EEEvT1_,comdat
.Lfunc_end2819:
	.size	_ZN7rocprim17ROCPRIM_400000_NS6detail17trampoline_kernelINS0_14default_configENS1_20scan_config_selectorIiEEZZNS1_9scan_implILNS1_25lookback_scan_determinismE0ELb1ELb1ES3_N6thrust23THRUST_200600_302600_NS6detail15normal_iteratorINS9_10device_ptrIiEEEESE_i11max_functorIiEiEEDaPvRmT3_T4_T5_mT6_P12ihipStream_tbENKUlT_T0_E_clISt17integral_constantIbLb1EEST_IbLb0EEEEDaSP_SQ_EUlSP_E0_NS1_11comp_targetILNS1_3genE0ELNS1_11target_archE4294967295ELNS1_3gpuE0ELNS1_3repE0EEENS1_30default_config_static_selectorELNS0_4arch9wavefront6targetE1EEEvT1_, .Lfunc_end2819-_ZN7rocprim17ROCPRIM_400000_NS6detail17trampoline_kernelINS0_14default_configENS1_20scan_config_selectorIiEEZZNS1_9scan_implILNS1_25lookback_scan_determinismE0ELb1ELb1ES3_N6thrust23THRUST_200600_302600_NS6detail15normal_iteratorINS9_10device_ptrIiEEEESE_i11max_functorIiEiEEDaPvRmT3_T4_T5_mT6_P12ihipStream_tbENKUlT_T0_E_clISt17integral_constantIbLb1EEST_IbLb0EEEEDaSP_SQ_EUlSP_E0_NS1_11comp_targetILNS1_3genE0ELNS1_11target_archE4294967295ELNS1_3gpuE0ELNS1_3repE0EEENS1_30default_config_static_selectorELNS0_4arch9wavefront6targetE1EEEvT1_
                                        ; -- End function
	.section	.AMDGPU.csdata,"",@progbits
; Kernel info:
; codeLenInByte = 0
; NumSgprs: 4
; NumVgprs: 0
; NumAgprs: 0
; TotalNumVgprs: 0
; ScratchSize: 0
; MemoryBound: 0
; FloatMode: 240
; IeeeMode: 1
; LDSByteSize: 0 bytes/workgroup (compile time only)
; SGPRBlocks: 0
; VGPRBlocks: 0
; NumSGPRsForWavesPerEU: 4
; NumVGPRsForWavesPerEU: 1
; AccumOffset: 4
; Occupancy: 8
; WaveLimiterHint : 0
; COMPUTE_PGM_RSRC2:SCRATCH_EN: 0
; COMPUTE_PGM_RSRC2:USER_SGPR: 6
; COMPUTE_PGM_RSRC2:TRAP_HANDLER: 0
; COMPUTE_PGM_RSRC2:TGID_X_EN: 1
; COMPUTE_PGM_RSRC2:TGID_Y_EN: 0
; COMPUTE_PGM_RSRC2:TGID_Z_EN: 0
; COMPUTE_PGM_RSRC2:TIDIG_COMP_CNT: 0
; COMPUTE_PGM_RSRC3_GFX90A:ACCUM_OFFSET: 0
; COMPUTE_PGM_RSRC3_GFX90A:TG_SPLIT: 0
	.section	.text._ZN7rocprim17ROCPRIM_400000_NS6detail17trampoline_kernelINS0_14default_configENS1_20scan_config_selectorIiEEZZNS1_9scan_implILNS1_25lookback_scan_determinismE0ELb1ELb1ES3_N6thrust23THRUST_200600_302600_NS6detail15normal_iteratorINS9_10device_ptrIiEEEESE_i11max_functorIiEiEEDaPvRmT3_T4_T5_mT6_P12ihipStream_tbENKUlT_T0_E_clISt17integral_constantIbLb1EEST_IbLb0EEEEDaSP_SQ_EUlSP_E0_NS1_11comp_targetILNS1_3genE5ELNS1_11target_archE942ELNS1_3gpuE9ELNS1_3repE0EEENS1_30default_config_static_selectorELNS0_4arch9wavefront6targetE1EEEvT1_,"axG",@progbits,_ZN7rocprim17ROCPRIM_400000_NS6detail17trampoline_kernelINS0_14default_configENS1_20scan_config_selectorIiEEZZNS1_9scan_implILNS1_25lookback_scan_determinismE0ELb1ELb1ES3_N6thrust23THRUST_200600_302600_NS6detail15normal_iteratorINS9_10device_ptrIiEEEESE_i11max_functorIiEiEEDaPvRmT3_T4_T5_mT6_P12ihipStream_tbENKUlT_T0_E_clISt17integral_constantIbLb1EEST_IbLb0EEEEDaSP_SQ_EUlSP_E0_NS1_11comp_targetILNS1_3genE5ELNS1_11target_archE942ELNS1_3gpuE9ELNS1_3repE0EEENS1_30default_config_static_selectorELNS0_4arch9wavefront6targetE1EEEvT1_,comdat
	.protected	_ZN7rocprim17ROCPRIM_400000_NS6detail17trampoline_kernelINS0_14default_configENS1_20scan_config_selectorIiEEZZNS1_9scan_implILNS1_25lookback_scan_determinismE0ELb1ELb1ES3_N6thrust23THRUST_200600_302600_NS6detail15normal_iteratorINS9_10device_ptrIiEEEESE_i11max_functorIiEiEEDaPvRmT3_T4_T5_mT6_P12ihipStream_tbENKUlT_T0_E_clISt17integral_constantIbLb1EEST_IbLb0EEEEDaSP_SQ_EUlSP_E0_NS1_11comp_targetILNS1_3genE5ELNS1_11target_archE942ELNS1_3gpuE9ELNS1_3repE0EEENS1_30default_config_static_selectorELNS0_4arch9wavefront6targetE1EEEvT1_ ; -- Begin function _ZN7rocprim17ROCPRIM_400000_NS6detail17trampoline_kernelINS0_14default_configENS1_20scan_config_selectorIiEEZZNS1_9scan_implILNS1_25lookback_scan_determinismE0ELb1ELb1ES3_N6thrust23THRUST_200600_302600_NS6detail15normal_iteratorINS9_10device_ptrIiEEEESE_i11max_functorIiEiEEDaPvRmT3_T4_T5_mT6_P12ihipStream_tbENKUlT_T0_E_clISt17integral_constantIbLb1EEST_IbLb0EEEEDaSP_SQ_EUlSP_E0_NS1_11comp_targetILNS1_3genE5ELNS1_11target_archE942ELNS1_3gpuE9ELNS1_3repE0EEENS1_30default_config_static_selectorELNS0_4arch9wavefront6targetE1EEEvT1_
	.globl	_ZN7rocprim17ROCPRIM_400000_NS6detail17trampoline_kernelINS0_14default_configENS1_20scan_config_selectorIiEEZZNS1_9scan_implILNS1_25lookback_scan_determinismE0ELb1ELb1ES3_N6thrust23THRUST_200600_302600_NS6detail15normal_iteratorINS9_10device_ptrIiEEEESE_i11max_functorIiEiEEDaPvRmT3_T4_T5_mT6_P12ihipStream_tbENKUlT_T0_E_clISt17integral_constantIbLb1EEST_IbLb0EEEEDaSP_SQ_EUlSP_E0_NS1_11comp_targetILNS1_3genE5ELNS1_11target_archE942ELNS1_3gpuE9ELNS1_3repE0EEENS1_30default_config_static_selectorELNS0_4arch9wavefront6targetE1EEEvT1_
	.p2align	8
	.type	_ZN7rocprim17ROCPRIM_400000_NS6detail17trampoline_kernelINS0_14default_configENS1_20scan_config_selectorIiEEZZNS1_9scan_implILNS1_25lookback_scan_determinismE0ELb1ELb1ES3_N6thrust23THRUST_200600_302600_NS6detail15normal_iteratorINS9_10device_ptrIiEEEESE_i11max_functorIiEiEEDaPvRmT3_T4_T5_mT6_P12ihipStream_tbENKUlT_T0_E_clISt17integral_constantIbLb1EEST_IbLb0EEEEDaSP_SQ_EUlSP_E0_NS1_11comp_targetILNS1_3genE5ELNS1_11target_archE942ELNS1_3gpuE9ELNS1_3repE0EEENS1_30default_config_static_selectorELNS0_4arch9wavefront6targetE1EEEvT1_,@function
_ZN7rocprim17ROCPRIM_400000_NS6detail17trampoline_kernelINS0_14default_configENS1_20scan_config_selectorIiEEZZNS1_9scan_implILNS1_25lookback_scan_determinismE0ELb1ELb1ES3_N6thrust23THRUST_200600_302600_NS6detail15normal_iteratorINS9_10device_ptrIiEEEESE_i11max_functorIiEiEEDaPvRmT3_T4_T5_mT6_P12ihipStream_tbENKUlT_T0_E_clISt17integral_constantIbLb1EEST_IbLb0EEEEDaSP_SQ_EUlSP_E0_NS1_11comp_targetILNS1_3genE5ELNS1_11target_archE942ELNS1_3gpuE9ELNS1_3repE0EEENS1_30default_config_static_selectorELNS0_4arch9wavefront6targetE1EEEvT1_: ; @_ZN7rocprim17ROCPRIM_400000_NS6detail17trampoline_kernelINS0_14default_configENS1_20scan_config_selectorIiEEZZNS1_9scan_implILNS1_25lookback_scan_determinismE0ELb1ELb1ES3_N6thrust23THRUST_200600_302600_NS6detail15normal_iteratorINS9_10device_ptrIiEEEESE_i11max_functorIiEiEEDaPvRmT3_T4_T5_mT6_P12ihipStream_tbENKUlT_T0_E_clISt17integral_constantIbLb1EEST_IbLb0EEEEDaSP_SQ_EUlSP_E0_NS1_11comp_targetILNS1_3genE5ELNS1_11target_archE942ELNS1_3gpuE9ELNS1_3repE0EEENS1_30default_config_static_selectorELNS0_4arch9wavefront6targetE1EEEvT1_
; %bb.0:
	.section	.rodata,"a",@progbits
	.p2align	6, 0x0
	.amdhsa_kernel _ZN7rocprim17ROCPRIM_400000_NS6detail17trampoline_kernelINS0_14default_configENS1_20scan_config_selectorIiEEZZNS1_9scan_implILNS1_25lookback_scan_determinismE0ELb1ELb1ES3_N6thrust23THRUST_200600_302600_NS6detail15normal_iteratorINS9_10device_ptrIiEEEESE_i11max_functorIiEiEEDaPvRmT3_T4_T5_mT6_P12ihipStream_tbENKUlT_T0_E_clISt17integral_constantIbLb1EEST_IbLb0EEEEDaSP_SQ_EUlSP_E0_NS1_11comp_targetILNS1_3genE5ELNS1_11target_archE942ELNS1_3gpuE9ELNS1_3repE0EEENS1_30default_config_static_selectorELNS0_4arch9wavefront6targetE1EEEvT1_
		.amdhsa_group_segment_fixed_size 0
		.amdhsa_private_segment_fixed_size 0
		.amdhsa_kernarg_size 32
		.amdhsa_user_sgpr_count 6
		.amdhsa_user_sgpr_private_segment_buffer 1
		.amdhsa_user_sgpr_dispatch_ptr 0
		.amdhsa_user_sgpr_queue_ptr 0
		.amdhsa_user_sgpr_kernarg_segment_ptr 1
		.amdhsa_user_sgpr_dispatch_id 0
		.amdhsa_user_sgpr_flat_scratch_init 0
		.amdhsa_user_sgpr_kernarg_preload_length 0
		.amdhsa_user_sgpr_kernarg_preload_offset 0
		.amdhsa_user_sgpr_private_segment_size 0
		.amdhsa_uses_dynamic_stack 0
		.amdhsa_system_sgpr_private_segment_wavefront_offset 0
		.amdhsa_system_sgpr_workgroup_id_x 1
		.amdhsa_system_sgpr_workgroup_id_y 0
		.amdhsa_system_sgpr_workgroup_id_z 0
		.amdhsa_system_sgpr_workgroup_info 0
		.amdhsa_system_vgpr_workitem_id 0
		.amdhsa_next_free_vgpr 1
		.amdhsa_next_free_sgpr 0
		.amdhsa_accum_offset 4
		.amdhsa_reserve_vcc 0
		.amdhsa_reserve_flat_scratch 0
		.amdhsa_float_round_mode_32 0
		.amdhsa_float_round_mode_16_64 0
		.amdhsa_float_denorm_mode_32 3
		.amdhsa_float_denorm_mode_16_64 3
		.amdhsa_dx10_clamp 1
		.amdhsa_ieee_mode 1
		.amdhsa_fp16_overflow 0
		.amdhsa_tg_split 0
		.amdhsa_exception_fp_ieee_invalid_op 0
		.amdhsa_exception_fp_denorm_src 0
		.amdhsa_exception_fp_ieee_div_zero 0
		.amdhsa_exception_fp_ieee_overflow 0
		.amdhsa_exception_fp_ieee_underflow 0
		.amdhsa_exception_fp_ieee_inexact 0
		.amdhsa_exception_int_div_zero 0
	.end_amdhsa_kernel
	.section	.text._ZN7rocprim17ROCPRIM_400000_NS6detail17trampoline_kernelINS0_14default_configENS1_20scan_config_selectorIiEEZZNS1_9scan_implILNS1_25lookback_scan_determinismE0ELb1ELb1ES3_N6thrust23THRUST_200600_302600_NS6detail15normal_iteratorINS9_10device_ptrIiEEEESE_i11max_functorIiEiEEDaPvRmT3_T4_T5_mT6_P12ihipStream_tbENKUlT_T0_E_clISt17integral_constantIbLb1EEST_IbLb0EEEEDaSP_SQ_EUlSP_E0_NS1_11comp_targetILNS1_3genE5ELNS1_11target_archE942ELNS1_3gpuE9ELNS1_3repE0EEENS1_30default_config_static_selectorELNS0_4arch9wavefront6targetE1EEEvT1_,"axG",@progbits,_ZN7rocprim17ROCPRIM_400000_NS6detail17trampoline_kernelINS0_14default_configENS1_20scan_config_selectorIiEEZZNS1_9scan_implILNS1_25lookback_scan_determinismE0ELb1ELb1ES3_N6thrust23THRUST_200600_302600_NS6detail15normal_iteratorINS9_10device_ptrIiEEEESE_i11max_functorIiEiEEDaPvRmT3_T4_T5_mT6_P12ihipStream_tbENKUlT_T0_E_clISt17integral_constantIbLb1EEST_IbLb0EEEEDaSP_SQ_EUlSP_E0_NS1_11comp_targetILNS1_3genE5ELNS1_11target_archE942ELNS1_3gpuE9ELNS1_3repE0EEENS1_30default_config_static_selectorELNS0_4arch9wavefront6targetE1EEEvT1_,comdat
.Lfunc_end2820:
	.size	_ZN7rocprim17ROCPRIM_400000_NS6detail17trampoline_kernelINS0_14default_configENS1_20scan_config_selectorIiEEZZNS1_9scan_implILNS1_25lookback_scan_determinismE0ELb1ELb1ES3_N6thrust23THRUST_200600_302600_NS6detail15normal_iteratorINS9_10device_ptrIiEEEESE_i11max_functorIiEiEEDaPvRmT3_T4_T5_mT6_P12ihipStream_tbENKUlT_T0_E_clISt17integral_constantIbLb1EEST_IbLb0EEEEDaSP_SQ_EUlSP_E0_NS1_11comp_targetILNS1_3genE5ELNS1_11target_archE942ELNS1_3gpuE9ELNS1_3repE0EEENS1_30default_config_static_selectorELNS0_4arch9wavefront6targetE1EEEvT1_, .Lfunc_end2820-_ZN7rocprim17ROCPRIM_400000_NS6detail17trampoline_kernelINS0_14default_configENS1_20scan_config_selectorIiEEZZNS1_9scan_implILNS1_25lookback_scan_determinismE0ELb1ELb1ES3_N6thrust23THRUST_200600_302600_NS6detail15normal_iteratorINS9_10device_ptrIiEEEESE_i11max_functorIiEiEEDaPvRmT3_T4_T5_mT6_P12ihipStream_tbENKUlT_T0_E_clISt17integral_constantIbLb1EEST_IbLb0EEEEDaSP_SQ_EUlSP_E0_NS1_11comp_targetILNS1_3genE5ELNS1_11target_archE942ELNS1_3gpuE9ELNS1_3repE0EEENS1_30default_config_static_selectorELNS0_4arch9wavefront6targetE1EEEvT1_
                                        ; -- End function
	.section	.AMDGPU.csdata,"",@progbits
; Kernel info:
; codeLenInByte = 0
; NumSgprs: 4
; NumVgprs: 0
; NumAgprs: 0
; TotalNumVgprs: 0
; ScratchSize: 0
; MemoryBound: 0
; FloatMode: 240
; IeeeMode: 1
; LDSByteSize: 0 bytes/workgroup (compile time only)
; SGPRBlocks: 0
; VGPRBlocks: 0
; NumSGPRsForWavesPerEU: 4
; NumVGPRsForWavesPerEU: 1
; AccumOffset: 4
; Occupancy: 8
; WaveLimiterHint : 0
; COMPUTE_PGM_RSRC2:SCRATCH_EN: 0
; COMPUTE_PGM_RSRC2:USER_SGPR: 6
; COMPUTE_PGM_RSRC2:TRAP_HANDLER: 0
; COMPUTE_PGM_RSRC2:TGID_X_EN: 1
; COMPUTE_PGM_RSRC2:TGID_Y_EN: 0
; COMPUTE_PGM_RSRC2:TGID_Z_EN: 0
; COMPUTE_PGM_RSRC2:TIDIG_COMP_CNT: 0
; COMPUTE_PGM_RSRC3_GFX90A:ACCUM_OFFSET: 0
; COMPUTE_PGM_RSRC3_GFX90A:TG_SPLIT: 0
	.section	.text._ZN7rocprim17ROCPRIM_400000_NS6detail17trampoline_kernelINS0_14default_configENS1_20scan_config_selectorIiEEZZNS1_9scan_implILNS1_25lookback_scan_determinismE0ELb1ELb1ES3_N6thrust23THRUST_200600_302600_NS6detail15normal_iteratorINS9_10device_ptrIiEEEESE_i11max_functorIiEiEEDaPvRmT3_T4_T5_mT6_P12ihipStream_tbENKUlT_T0_E_clISt17integral_constantIbLb1EEST_IbLb0EEEEDaSP_SQ_EUlSP_E0_NS1_11comp_targetILNS1_3genE4ELNS1_11target_archE910ELNS1_3gpuE8ELNS1_3repE0EEENS1_30default_config_static_selectorELNS0_4arch9wavefront6targetE1EEEvT1_,"axG",@progbits,_ZN7rocprim17ROCPRIM_400000_NS6detail17trampoline_kernelINS0_14default_configENS1_20scan_config_selectorIiEEZZNS1_9scan_implILNS1_25lookback_scan_determinismE0ELb1ELb1ES3_N6thrust23THRUST_200600_302600_NS6detail15normal_iteratorINS9_10device_ptrIiEEEESE_i11max_functorIiEiEEDaPvRmT3_T4_T5_mT6_P12ihipStream_tbENKUlT_T0_E_clISt17integral_constantIbLb1EEST_IbLb0EEEEDaSP_SQ_EUlSP_E0_NS1_11comp_targetILNS1_3genE4ELNS1_11target_archE910ELNS1_3gpuE8ELNS1_3repE0EEENS1_30default_config_static_selectorELNS0_4arch9wavefront6targetE1EEEvT1_,comdat
	.protected	_ZN7rocprim17ROCPRIM_400000_NS6detail17trampoline_kernelINS0_14default_configENS1_20scan_config_selectorIiEEZZNS1_9scan_implILNS1_25lookback_scan_determinismE0ELb1ELb1ES3_N6thrust23THRUST_200600_302600_NS6detail15normal_iteratorINS9_10device_ptrIiEEEESE_i11max_functorIiEiEEDaPvRmT3_T4_T5_mT6_P12ihipStream_tbENKUlT_T0_E_clISt17integral_constantIbLb1EEST_IbLb0EEEEDaSP_SQ_EUlSP_E0_NS1_11comp_targetILNS1_3genE4ELNS1_11target_archE910ELNS1_3gpuE8ELNS1_3repE0EEENS1_30default_config_static_selectorELNS0_4arch9wavefront6targetE1EEEvT1_ ; -- Begin function _ZN7rocprim17ROCPRIM_400000_NS6detail17trampoline_kernelINS0_14default_configENS1_20scan_config_selectorIiEEZZNS1_9scan_implILNS1_25lookback_scan_determinismE0ELb1ELb1ES3_N6thrust23THRUST_200600_302600_NS6detail15normal_iteratorINS9_10device_ptrIiEEEESE_i11max_functorIiEiEEDaPvRmT3_T4_T5_mT6_P12ihipStream_tbENKUlT_T0_E_clISt17integral_constantIbLb1EEST_IbLb0EEEEDaSP_SQ_EUlSP_E0_NS1_11comp_targetILNS1_3genE4ELNS1_11target_archE910ELNS1_3gpuE8ELNS1_3repE0EEENS1_30default_config_static_selectorELNS0_4arch9wavefront6targetE1EEEvT1_
	.globl	_ZN7rocprim17ROCPRIM_400000_NS6detail17trampoline_kernelINS0_14default_configENS1_20scan_config_selectorIiEEZZNS1_9scan_implILNS1_25lookback_scan_determinismE0ELb1ELb1ES3_N6thrust23THRUST_200600_302600_NS6detail15normal_iteratorINS9_10device_ptrIiEEEESE_i11max_functorIiEiEEDaPvRmT3_T4_T5_mT6_P12ihipStream_tbENKUlT_T0_E_clISt17integral_constantIbLb1EEST_IbLb0EEEEDaSP_SQ_EUlSP_E0_NS1_11comp_targetILNS1_3genE4ELNS1_11target_archE910ELNS1_3gpuE8ELNS1_3repE0EEENS1_30default_config_static_selectorELNS0_4arch9wavefront6targetE1EEEvT1_
	.p2align	8
	.type	_ZN7rocprim17ROCPRIM_400000_NS6detail17trampoline_kernelINS0_14default_configENS1_20scan_config_selectorIiEEZZNS1_9scan_implILNS1_25lookback_scan_determinismE0ELb1ELb1ES3_N6thrust23THRUST_200600_302600_NS6detail15normal_iteratorINS9_10device_ptrIiEEEESE_i11max_functorIiEiEEDaPvRmT3_T4_T5_mT6_P12ihipStream_tbENKUlT_T0_E_clISt17integral_constantIbLb1EEST_IbLb0EEEEDaSP_SQ_EUlSP_E0_NS1_11comp_targetILNS1_3genE4ELNS1_11target_archE910ELNS1_3gpuE8ELNS1_3repE0EEENS1_30default_config_static_selectorELNS0_4arch9wavefront6targetE1EEEvT1_,@function
_ZN7rocprim17ROCPRIM_400000_NS6detail17trampoline_kernelINS0_14default_configENS1_20scan_config_selectorIiEEZZNS1_9scan_implILNS1_25lookback_scan_determinismE0ELb1ELb1ES3_N6thrust23THRUST_200600_302600_NS6detail15normal_iteratorINS9_10device_ptrIiEEEESE_i11max_functorIiEiEEDaPvRmT3_T4_T5_mT6_P12ihipStream_tbENKUlT_T0_E_clISt17integral_constantIbLb1EEST_IbLb0EEEEDaSP_SQ_EUlSP_E0_NS1_11comp_targetILNS1_3genE4ELNS1_11target_archE910ELNS1_3gpuE8ELNS1_3repE0EEENS1_30default_config_static_selectorELNS0_4arch9wavefront6targetE1EEEvT1_: ; @_ZN7rocprim17ROCPRIM_400000_NS6detail17trampoline_kernelINS0_14default_configENS1_20scan_config_selectorIiEEZZNS1_9scan_implILNS1_25lookback_scan_determinismE0ELb1ELb1ES3_N6thrust23THRUST_200600_302600_NS6detail15normal_iteratorINS9_10device_ptrIiEEEESE_i11max_functorIiEiEEDaPvRmT3_T4_T5_mT6_P12ihipStream_tbENKUlT_T0_E_clISt17integral_constantIbLb1EEST_IbLb0EEEEDaSP_SQ_EUlSP_E0_NS1_11comp_targetILNS1_3genE4ELNS1_11target_archE910ELNS1_3gpuE8ELNS1_3repE0EEENS1_30default_config_static_selectorELNS0_4arch9wavefront6targetE1EEEvT1_
; %bb.0:
	s_load_dwordx4 s[20:23], s[4:5], 0x0
	v_lshlrev_b32_e32 v14, 2, v0
	s_waitcnt lgkmcnt(0)
	s_load_dword s23, s[20:21], 0x0
	v_cmp_gt_u32_e32 vcc, s22, v0
	s_waitcnt lgkmcnt(0)
	v_mov_b32_e32 v1, s23
	s_and_saveexec_b64 s[0:1], vcc
	s_cbranch_execz .LBB2821_2
; %bb.1:
	global_load_dword v1, v14, s[20:21]
.LBB2821_2:
	s_or_b64 exec, exec, s[0:1]
	v_or_b32_e32 v2, 0x80, v0
	v_cmp_gt_u32_e64 s[0:1], s22, v2
	v_mov_b32_e32 v2, s23
	s_and_saveexec_b64 s[2:3], s[0:1]
	s_cbranch_execz .LBB2821_4
; %bb.3:
	global_load_dword v2, v14, s[20:21] offset:512
.LBB2821_4:
	s_or_b64 exec, exec, s[2:3]
	v_or_b32_e32 v3, 0x100, v0
	v_cmp_gt_u32_e64 s[2:3], s22, v3
	v_mov_b32_e32 v3, s23
	s_and_saveexec_b64 s[6:7], s[2:3]
	s_cbranch_execz .LBB2821_6
; %bb.5:
	global_load_dword v3, v14, s[20:21] offset:1024
.LBB2821_6:
	;; [unrolled: 9-line block ×7, first 2 shown]
	s_or_b64 exec, exec, s[14:15]
	v_or_b32_e32 v10, 0x400, v0
	v_cmp_gt_u32_e64 s[14:15], s22, v10
	v_mov_b32_e32 v9, s23
	s_and_saveexec_b64 s[16:17], s[14:15]
	s_cbranch_execz .LBB2821_18
; %bb.17:
	v_lshlrev_b32_e32 v9, 2, v10
	global_load_dword v9, v9, s[20:21]
.LBB2821_18:
	s_or_b64 exec, exec, s[16:17]
	s_load_dword s24, s[4:5], 0x10
	v_or_b32_e32 v11, 0x480, v0
	v_cmp_gt_u32_e64 s[16:17], s22, v11
	v_mov_b32_e32 v10, s23
	s_and_saveexec_b64 s[22:23], s[16:17]
	s_cbranch_execz .LBB2821_20
; %bb.19:
	v_lshlrev_b32_e32 v10, 2, v11
	global_load_dword v10, v10, s[20:21]
.LBB2821_20:
	s_or_b64 exec, exec, s[22:23]
	s_waitcnt vmcnt(0)
	ds_write2st64_b32 v14, v1, v2 offset1:2
	ds_write2st64_b32 v14, v3, v4 offset0:4 offset1:6
	ds_write2st64_b32 v14, v5, v6 offset0:8 offset1:10
	;; [unrolled: 1-line block ×4, first 2 shown]
	v_mad_u32_u24 v1, v0, 36, v14
	s_waitcnt lgkmcnt(0)
	s_barrier
	ds_read2_b64 v[6:9], v1 offset1:1
	ds_read2_b64 v[2:5], v1 offset0:2 offset1:3
	ds_read_b64 v[10:11], v1 offset:32
	s_load_dwordx2 s[20:21], s[4:5], 0x18
	v_cmp_gt_u32_e64 s[4:5], 64, v0
	s_waitcnt lgkmcnt(0)
	v_max_i32_e32 v12, v6, v7
	v_max3_i32 v12, v12, v8, v9
	v_max3_i32 v12, v12, v2, v3
	;; [unrolled: 1-line block ×4, first 2 shown]
	v_lshrrev_b32_e32 v12, 3, v0
	v_and_b32_e32 v12, 12, v12
	v_add_u32_e32 v12, v14, v12
	s_barrier
	ds_write_b32 v12, v11
	s_waitcnt lgkmcnt(0)
	s_barrier
	s_and_saveexec_b64 s[22:23], s[4:5]
	s_cbranch_execz .LBB2821_22
; %bb.21:
	v_lshlrev_b32_e32 v12, 1, v0
	v_lshrrev_b32_e32 v13, 4, v0
	v_add_lshl_u32 v15, v13, v12, 2
	ds_read2_b32 v[12:13], v15 offset1:1
	v_mbcnt_lo_u32_b32 v16, -1, 0
	v_mbcnt_hi_u32_b32 v16, -1, v16
	v_and_b32_e32 v17, 15, v16
	v_cmp_eq_u32_e64 s[4:5], 0, v17
	s_waitcnt lgkmcnt(0)
	v_max_i32_e32 v13, v12, v13
	; wave barrier
	s_nop 1
	v_mov_b32_dpp v18, v13 row_shr:1 row_mask:0xf bank_mask:0xf
	v_max_i32_e32 v18, v18, v13
	v_cndmask_b32_e64 v13, v18, v13, s[4:5]
	v_cmp_lt_u32_e64 s[4:5], 1, v17
	s_nop 0
	v_mov_b32_dpp v18, v13 row_shr:2 row_mask:0xf bank_mask:0xf
	v_max_i32_e32 v18, v18, v13
	v_cndmask_b32_e64 v13, v13, v18, s[4:5]
	v_cmp_lt_u32_e64 s[4:5], 3, v17
	;; [unrolled: 5-line block ×3, first 2 shown]
	s_nop 0
	v_mov_b32_dpp v18, v13 row_shr:8 row_mask:0xf bank_mask:0xf
	v_max_i32_e32 v18, v18, v13
	v_cndmask_b32_e64 v13, v13, v18, s[4:5]
	v_and_b32_e32 v18, 16, v16
	v_cmp_eq_u32_e64 s[4:5], 0, v18
	v_mov_b32_dpp v17, v13 row_bcast:15 row_mask:0xf bank_mask:0xf
	v_max_i32_e32 v17, v17, v13
	v_cndmask_b32_e64 v13, v17, v13, s[4:5]
	v_cmp_lt_u32_e64 s[4:5], 31, v16
	v_and_b32_e32 v18, 64, v16
	v_mov_b32_dpp v17, v13 row_bcast:31 row_mask:0xf bank_mask:0xf
	v_max_i32_e32 v17, v17, v13
	v_cndmask_b32_e64 v13, v13, v17, s[4:5]
	v_add_u32_e32 v17, -1, v16
	v_cmp_lt_i32_e64 s[4:5], v17, v18
	v_cndmask_b32_e64 v16, v17, v16, s[4:5]
	v_lshlrev_b32_e32 v16, 2, v16
	ds_bpermute_b32 v13, v16, v13
	v_cmp_eq_u32_e64 s[4:5], 0, v0
	s_waitcnt lgkmcnt(0)
	v_max_i32_e32 v12, v13, v12
	v_cndmask_b32_e64 v11, v12, v11, s[4:5]
	ds_write_b32 v15, v11
	; wave barrier
	ds_read_b32 v12, v15 offset:4
	s_waitcnt lgkmcnt(0)
	v_max_i32_e32 v11, v11, v12
	ds_write_b32 v15, v11 offset:4
.LBB2821_22:
	s_or_b64 exec, exec, s[22:23]
	v_cmp_ne_u32_e64 s[4:5], 0, v0
	v_mov_b32_e32 v12, s24
	s_waitcnt lgkmcnt(0)
	s_barrier
	s_and_saveexec_b64 s[22:23], s[4:5]
	s_cbranch_execz .LBB2821_24
; %bb.23:
	v_add_u32_e32 v11, -1, v0
	v_lshrrev_b32_e32 v12, 5, v11
	v_add_lshl_u32 v11, v12, v11, 2
	ds_read_b32 v11, v11
	s_waitcnt lgkmcnt(0)
	v_max_i32_e32 v12, s24, v11
.LBB2821_24:
	s_or_b64 exec, exec, s[22:23]
	v_max_i32_e32 v13, v12, v6
	v_max_i32_e32 v6, v13, v7
	;; [unrolled: 1-line block ×8, first 2 shown]
	s_movk_i32 s4, 0xffdc
	v_max_i32_e32 v5, v4, v10
	v_mad_i32_i24 v0, v0, s4, v1
	s_barrier
	ds_write2_b64 v1, v[12:13], v[6:7] offset1:1
	ds_write2_b64 v1, v[8:9], v[2:3] offset0:2 offset1:3
	ds_write_b64 v1, v[4:5] offset:32
	s_waitcnt lgkmcnt(0)
	s_barrier
	ds_read2st64_b32 v[8:9], v0 offset0:2 offset1:4
	ds_read2st64_b32 v[6:7], v0 offset0:6 offset1:8
	;; [unrolled: 1-line block ×4, first 2 shown]
	ds_read_b32 v10, v14 offset:4096
	v_mov_b32_e32 v3, s21
	v_add_co_u32_e64 v2, s[4:5], s20, v14
	v_addc_co_u32_e64 v3, s[4:5], 0, v3, s[4:5]
	s_and_saveexec_b64 s[4:5], vcc
	s_cbranch_execnz .LBB2821_35
; %bb.25:
	s_or_b64 exec, exec, s[4:5]
	s_and_saveexec_b64 s[4:5], s[0:1]
	s_cbranch_execnz .LBB2821_36
.LBB2821_26:
	s_or_b64 exec, exec, s[4:5]
	s_and_saveexec_b64 s[0:1], s[2:3]
	s_cbranch_execnz .LBB2821_37
.LBB2821_27:
	s_or_b64 exec, exec, s[0:1]
	s_and_saveexec_b64 s[0:1], s[18:19]
	s_cbranch_execnz .LBB2821_38
.LBB2821_28:
	s_or_b64 exec, exec, s[0:1]
	s_and_saveexec_b64 s[0:1], s[6:7]
	s_cbranch_execnz .LBB2821_39
.LBB2821_29:
	s_or_b64 exec, exec, s[0:1]
	s_and_saveexec_b64 s[0:1], s[8:9]
	s_cbranch_execnz .LBB2821_40
.LBB2821_30:
	s_or_b64 exec, exec, s[0:1]
	s_and_saveexec_b64 s[0:1], s[10:11]
	s_cbranch_execnz .LBB2821_41
.LBB2821_31:
	s_or_b64 exec, exec, s[0:1]
	s_and_saveexec_b64 s[0:1], s[12:13]
	s_cbranch_execnz .LBB2821_42
.LBB2821_32:
	s_or_b64 exec, exec, s[0:1]
	s_and_saveexec_b64 s[0:1], s[14:15]
	s_cbranch_execnz .LBB2821_43
.LBB2821_33:
	s_or_b64 exec, exec, s[0:1]
	s_and_saveexec_b64 s[0:1], s[16:17]
	s_cbranch_execnz .LBB2821_44
.LBB2821_34:
	s_endpgm
.LBB2821_35:
	ds_read_b32 v11, v14
	s_waitcnt lgkmcnt(0)
	global_store_dword v[2:3], v11, off
	s_or_b64 exec, exec, s[4:5]
	s_and_saveexec_b64 s[4:5], s[0:1]
	s_cbranch_execz .LBB2821_26
.LBB2821_36:
	s_waitcnt lgkmcnt(4)
	global_store_dword v[2:3], v8, off offset:512
	s_or_b64 exec, exec, s[4:5]
	s_and_saveexec_b64 s[0:1], s[2:3]
	s_cbranch_execz .LBB2821_27
.LBB2821_37:
	s_waitcnt lgkmcnt(4)
	global_store_dword v[2:3], v9, off offset:1024
	s_or_b64 exec, exec, s[0:1]
	s_and_saveexec_b64 s[0:1], s[18:19]
	s_cbranch_execz .LBB2821_28
.LBB2821_38:
	s_waitcnt lgkmcnt(3)
	global_store_dword v[2:3], v6, off offset:1536
	s_or_b64 exec, exec, s[0:1]
	s_and_saveexec_b64 s[0:1], s[6:7]
	s_cbranch_execz .LBB2821_29
.LBB2821_39:
	s_waitcnt lgkmcnt(3)
	global_store_dword v[2:3], v7, off offset:2048
	s_or_b64 exec, exec, s[0:1]
	s_and_saveexec_b64 s[0:1], s[8:9]
	s_cbranch_execz .LBB2821_30
.LBB2821_40:
	s_waitcnt lgkmcnt(2)
	global_store_dword v[2:3], v4, off offset:2560
	s_or_b64 exec, exec, s[0:1]
	s_and_saveexec_b64 s[0:1], s[10:11]
	s_cbranch_execz .LBB2821_31
.LBB2821_41:
	s_waitcnt lgkmcnt(2)
	global_store_dword v[2:3], v5, off offset:3072
	s_or_b64 exec, exec, s[0:1]
	s_and_saveexec_b64 s[0:1], s[12:13]
	s_cbranch_execz .LBB2821_32
.LBB2821_42:
	s_waitcnt lgkmcnt(1)
	global_store_dword v[2:3], v0, off offset:3584
	s_or_b64 exec, exec, s[0:1]
	s_and_saveexec_b64 s[0:1], s[14:15]
	s_cbranch_execz .LBB2821_33
.LBB2821_43:
	s_waitcnt lgkmcnt(2)
	v_add_co_u32_e32 v4, vcc, 0x1000, v2
	v_addc_co_u32_e32 v5, vcc, 0, v3, vcc
	s_waitcnt lgkmcnt(0)
	global_store_dword v[4:5], v10, off
	s_or_b64 exec, exec, s[0:1]
	s_and_saveexec_b64 s[0:1], s[16:17]
	s_cbranch_execz .LBB2821_34
.LBB2821_44:
	v_add_co_u32_e32 v2, vcc, 0x1000, v2
	v_addc_co_u32_e32 v3, vcc, 0, v3, vcc
	s_waitcnt lgkmcnt(1)
	global_store_dword v[2:3], v1, off offset:512
	s_endpgm
	.section	.rodata,"a",@progbits
	.p2align	6, 0x0
	.amdhsa_kernel _ZN7rocprim17ROCPRIM_400000_NS6detail17trampoline_kernelINS0_14default_configENS1_20scan_config_selectorIiEEZZNS1_9scan_implILNS1_25lookback_scan_determinismE0ELb1ELb1ES3_N6thrust23THRUST_200600_302600_NS6detail15normal_iteratorINS9_10device_ptrIiEEEESE_i11max_functorIiEiEEDaPvRmT3_T4_T5_mT6_P12ihipStream_tbENKUlT_T0_E_clISt17integral_constantIbLb1EEST_IbLb0EEEEDaSP_SQ_EUlSP_E0_NS1_11comp_targetILNS1_3genE4ELNS1_11target_archE910ELNS1_3gpuE8ELNS1_3repE0EEENS1_30default_config_static_selectorELNS0_4arch9wavefront6targetE1EEEvT1_
		.amdhsa_group_segment_fixed_size 5120
		.amdhsa_private_segment_fixed_size 0
		.amdhsa_kernarg_size 32
		.amdhsa_user_sgpr_count 6
		.amdhsa_user_sgpr_private_segment_buffer 1
		.amdhsa_user_sgpr_dispatch_ptr 0
		.amdhsa_user_sgpr_queue_ptr 0
		.amdhsa_user_sgpr_kernarg_segment_ptr 1
		.amdhsa_user_sgpr_dispatch_id 0
		.amdhsa_user_sgpr_flat_scratch_init 0
		.amdhsa_user_sgpr_kernarg_preload_length 0
		.amdhsa_user_sgpr_kernarg_preload_offset 0
		.amdhsa_user_sgpr_private_segment_size 0
		.amdhsa_uses_dynamic_stack 0
		.amdhsa_system_sgpr_private_segment_wavefront_offset 0
		.amdhsa_system_sgpr_workgroup_id_x 1
		.amdhsa_system_sgpr_workgroup_id_y 0
		.amdhsa_system_sgpr_workgroup_id_z 0
		.amdhsa_system_sgpr_workgroup_info 0
		.amdhsa_system_vgpr_workitem_id 0
		.amdhsa_next_free_vgpr 19
		.amdhsa_next_free_sgpr 25
		.amdhsa_accum_offset 20
		.amdhsa_reserve_vcc 1
		.amdhsa_reserve_flat_scratch 0
		.amdhsa_float_round_mode_32 0
		.amdhsa_float_round_mode_16_64 0
		.amdhsa_float_denorm_mode_32 3
		.amdhsa_float_denorm_mode_16_64 3
		.amdhsa_dx10_clamp 1
		.amdhsa_ieee_mode 1
		.amdhsa_fp16_overflow 0
		.amdhsa_tg_split 0
		.amdhsa_exception_fp_ieee_invalid_op 0
		.amdhsa_exception_fp_denorm_src 0
		.amdhsa_exception_fp_ieee_div_zero 0
		.amdhsa_exception_fp_ieee_overflow 0
		.amdhsa_exception_fp_ieee_underflow 0
		.amdhsa_exception_fp_ieee_inexact 0
		.amdhsa_exception_int_div_zero 0
	.end_amdhsa_kernel
	.section	.text._ZN7rocprim17ROCPRIM_400000_NS6detail17trampoline_kernelINS0_14default_configENS1_20scan_config_selectorIiEEZZNS1_9scan_implILNS1_25lookback_scan_determinismE0ELb1ELb1ES3_N6thrust23THRUST_200600_302600_NS6detail15normal_iteratorINS9_10device_ptrIiEEEESE_i11max_functorIiEiEEDaPvRmT3_T4_T5_mT6_P12ihipStream_tbENKUlT_T0_E_clISt17integral_constantIbLb1EEST_IbLb0EEEEDaSP_SQ_EUlSP_E0_NS1_11comp_targetILNS1_3genE4ELNS1_11target_archE910ELNS1_3gpuE8ELNS1_3repE0EEENS1_30default_config_static_selectorELNS0_4arch9wavefront6targetE1EEEvT1_,"axG",@progbits,_ZN7rocprim17ROCPRIM_400000_NS6detail17trampoline_kernelINS0_14default_configENS1_20scan_config_selectorIiEEZZNS1_9scan_implILNS1_25lookback_scan_determinismE0ELb1ELb1ES3_N6thrust23THRUST_200600_302600_NS6detail15normal_iteratorINS9_10device_ptrIiEEEESE_i11max_functorIiEiEEDaPvRmT3_T4_T5_mT6_P12ihipStream_tbENKUlT_T0_E_clISt17integral_constantIbLb1EEST_IbLb0EEEEDaSP_SQ_EUlSP_E0_NS1_11comp_targetILNS1_3genE4ELNS1_11target_archE910ELNS1_3gpuE8ELNS1_3repE0EEENS1_30default_config_static_selectorELNS0_4arch9wavefront6targetE1EEEvT1_,comdat
.Lfunc_end2821:
	.size	_ZN7rocprim17ROCPRIM_400000_NS6detail17trampoline_kernelINS0_14default_configENS1_20scan_config_selectorIiEEZZNS1_9scan_implILNS1_25lookback_scan_determinismE0ELb1ELb1ES3_N6thrust23THRUST_200600_302600_NS6detail15normal_iteratorINS9_10device_ptrIiEEEESE_i11max_functorIiEiEEDaPvRmT3_T4_T5_mT6_P12ihipStream_tbENKUlT_T0_E_clISt17integral_constantIbLb1EEST_IbLb0EEEEDaSP_SQ_EUlSP_E0_NS1_11comp_targetILNS1_3genE4ELNS1_11target_archE910ELNS1_3gpuE8ELNS1_3repE0EEENS1_30default_config_static_selectorELNS0_4arch9wavefront6targetE1EEEvT1_, .Lfunc_end2821-_ZN7rocprim17ROCPRIM_400000_NS6detail17trampoline_kernelINS0_14default_configENS1_20scan_config_selectorIiEEZZNS1_9scan_implILNS1_25lookback_scan_determinismE0ELb1ELb1ES3_N6thrust23THRUST_200600_302600_NS6detail15normal_iteratorINS9_10device_ptrIiEEEESE_i11max_functorIiEiEEDaPvRmT3_T4_T5_mT6_P12ihipStream_tbENKUlT_T0_E_clISt17integral_constantIbLb1EEST_IbLb0EEEEDaSP_SQ_EUlSP_E0_NS1_11comp_targetILNS1_3genE4ELNS1_11target_archE910ELNS1_3gpuE8ELNS1_3repE0EEENS1_30default_config_static_selectorELNS0_4arch9wavefront6targetE1EEEvT1_
                                        ; -- End function
	.section	.AMDGPU.csdata,"",@progbits
; Kernel info:
; codeLenInByte = 1544
; NumSgprs: 29
; NumVgprs: 19
; NumAgprs: 0
; TotalNumVgprs: 19
; ScratchSize: 0
; MemoryBound: 0
; FloatMode: 240
; IeeeMode: 1
; LDSByteSize: 5120 bytes/workgroup (compile time only)
; SGPRBlocks: 3
; VGPRBlocks: 2
; NumSGPRsForWavesPerEU: 29
; NumVGPRsForWavesPerEU: 19
; AccumOffset: 20
; Occupancy: 6
; WaveLimiterHint : 0
; COMPUTE_PGM_RSRC2:SCRATCH_EN: 0
; COMPUTE_PGM_RSRC2:USER_SGPR: 6
; COMPUTE_PGM_RSRC2:TRAP_HANDLER: 0
; COMPUTE_PGM_RSRC2:TGID_X_EN: 1
; COMPUTE_PGM_RSRC2:TGID_Y_EN: 0
; COMPUTE_PGM_RSRC2:TGID_Z_EN: 0
; COMPUTE_PGM_RSRC2:TIDIG_COMP_CNT: 0
; COMPUTE_PGM_RSRC3_GFX90A:ACCUM_OFFSET: 4
; COMPUTE_PGM_RSRC3_GFX90A:TG_SPLIT: 0
	.section	.text._ZN7rocprim17ROCPRIM_400000_NS6detail17trampoline_kernelINS0_14default_configENS1_20scan_config_selectorIiEEZZNS1_9scan_implILNS1_25lookback_scan_determinismE0ELb1ELb1ES3_N6thrust23THRUST_200600_302600_NS6detail15normal_iteratorINS9_10device_ptrIiEEEESE_i11max_functorIiEiEEDaPvRmT3_T4_T5_mT6_P12ihipStream_tbENKUlT_T0_E_clISt17integral_constantIbLb1EEST_IbLb0EEEEDaSP_SQ_EUlSP_E0_NS1_11comp_targetILNS1_3genE3ELNS1_11target_archE908ELNS1_3gpuE7ELNS1_3repE0EEENS1_30default_config_static_selectorELNS0_4arch9wavefront6targetE1EEEvT1_,"axG",@progbits,_ZN7rocprim17ROCPRIM_400000_NS6detail17trampoline_kernelINS0_14default_configENS1_20scan_config_selectorIiEEZZNS1_9scan_implILNS1_25lookback_scan_determinismE0ELb1ELb1ES3_N6thrust23THRUST_200600_302600_NS6detail15normal_iteratorINS9_10device_ptrIiEEEESE_i11max_functorIiEiEEDaPvRmT3_T4_T5_mT6_P12ihipStream_tbENKUlT_T0_E_clISt17integral_constantIbLb1EEST_IbLb0EEEEDaSP_SQ_EUlSP_E0_NS1_11comp_targetILNS1_3genE3ELNS1_11target_archE908ELNS1_3gpuE7ELNS1_3repE0EEENS1_30default_config_static_selectorELNS0_4arch9wavefront6targetE1EEEvT1_,comdat
	.protected	_ZN7rocprim17ROCPRIM_400000_NS6detail17trampoline_kernelINS0_14default_configENS1_20scan_config_selectorIiEEZZNS1_9scan_implILNS1_25lookback_scan_determinismE0ELb1ELb1ES3_N6thrust23THRUST_200600_302600_NS6detail15normal_iteratorINS9_10device_ptrIiEEEESE_i11max_functorIiEiEEDaPvRmT3_T4_T5_mT6_P12ihipStream_tbENKUlT_T0_E_clISt17integral_constantIbLb1EEST_IbLb0EEEEDaSP_SQ_EUlSP_E0_NS1_11comp_targetILNS1_3genE3ELNS1_11target_archE908ELNS1_3gpuE7ELNS1_3repE0EEENS1_30default_config_static_selectorELNS0_4arch9wavefront6targetE1EEEvT1_ ; -- Begin function _ZN7rocprim17ROCPRIM_400000_NS6detail17trampoline_kernelINS0_14default_configENS1_20scan_config_selectorIiEEZZNS1_9scan_implILNS1_25lookback_scan_determinismE0ELb1ELb1ES3_N6thrust23THRUST_200600_302600_NS6detail15normal_iteratorINS9_10device_ptrIiEEEESE_i11max_functorIiEiEEDaPvRmT3_T4_T5_mT6_P12ihipStream_tbENKUlT_T0_E_clISt17integral_constantIbLb1EEST_IbLb0EEEEDaSP_SQ_EUlSP_E0_NS1_11comp_targetILNS1_3genE3ELNS1_11target_archE908ELNS1_3gpuE7ELNS1_3repE0EEENS1_30default_config_static_selectorELNS0_4arch9wavefront6targetE1EEEvT1_
	.globl	_ZN7rocprim17ROCPRIM_400000_NS6detail17trampoline_kernelINS0_14default_configENS1_20scan_config_selectorIiEEZZNS1_9scan_implILNS1_25lookback_scan_determinismE0ELb1ELb1ES3_N6thrust23THRUST_200600_302600_NS6detail15normal_iteratorINS9_10device_ptrIiEEEESE_i11max_functorIiEiEEDaPvRmT3_T4_T5_mT6_P12ihipStream_tbENKUlT_T0_E_clISt17integral_constantIbLb1EEST_IbLb0EEEEDaSP_SQ_EUlSP_E0_NS1_11comp_targetILNS1_3genE3ELNS1_11target_archE908ELNS1_3gpuE7ELNS1_3repE0EEENS1_30default_config_static_selectorELNS0_4arch9wavefront6targetE1EEEvT1_
	.p2align	8
	.type	_ZN7rocprim17ROCPRIM_400000_NS6detail17trampoline_kernelINS0_14default_configENS1_20scan_config_selectorIiEEZZNS1_9scan_implILNS1_25lookback_scan_determinismE0ELb1ELb1ES3_N6thrust23THRUST_200600_302600_NS6detail15normal_iteratorINS9_10device_ptrIiEEEESE_i11max_functorIiEiEEDaPvRmT3_T4_T5_mT6_P12ihipStream_tbENKUlT_T0_E_clISt17integral_constantIbLb1EEST_IbLb0EEEEDaSP_SQ_EUlSP_E0_NS1_11comp_targetILNS1_3genE3ELNS1_11target_archE908ELNS1_3gpuE7ELNS1_3repE0EEENS1_30default_config_static_selectorELNS0_4arch9wavefront6targetE1EEEvT1_,@function
_ZN7rocprim17ROCPRIM_400000_NS6detail17trampoline_kernelINS0_14default_configENS1_20scan_config_selectorIiEEZZNS1_9scan_implILNS1_25lookback_scan_determinismE0ELb1ELb1ES3_N6thrust23THRUST_200600_302600_NS6detail15normal_iteratorINS9_10device_ptrIiEEEESE_i11max_functorIiEiEEDaPvRmT3_T4_T5_mT6_P12ihipStream_tbENKUlT_T0_E_clISt17integral_constantIbLb1EEST_IbLb0EEEEDaSP_SQ_EUlSP_E0_NS1_11comp_targetILNS1_3genE3ELNS1_11target_archE908ELNS1_3gpuE7ELNS1_3repE0EEENS1_30default_config_static_selectorELNS0_4arch9wavefront6targetE1EEEvT1_: ; @_ZN7rocprim17ROCPRIM_400000_NS6detail17trampoline_kernelINS0_14default_configENS1_20scan_config_selectorIiEEZZNS1_9scan_implILNS1_25lookback_scan_determinismE0ELb1ELb1ES3_N6thrust23THRUST_200600_302600_NS6detail15normal_iteratorINS9_10device_ptrIiEEEESE_i11max_functorIiEiEEDaPvRmT3_T4_T5_mT6_P12ihipStream_tbENKUlT_T0_E_clISt17integral_constantIbLb1EEST_IbLb0EEEEDaSP_SQ_EUlSP_E0_NS1_11comp_targetILNS1_3genE3ELNS1_11target_archE908ELNS1_3gpuE7ELNS1_3repE0EEENS1_30default_config_static_selectorELNS0_4arch9wavefront6targetE1EEEvT1_
; %bb.0:
	.section	.rodata,"a",@progbits
	.p2align	6, 0x0
	.amdhsa_kernel _ZN7rocprim17ROCPRIM_400000_NS6detail17trampoline_kernelINS0_14default_configENS1_20scan_config_selectorIiEEZZNS1_9scan_implILNS1_25lookback_scan_determinismE0ELb1ELb1ES3_N6thrust23THRUST_200600_302600_NS6detail15normal_iteratorINS9_10device_ptrIiEEEESE_i11max_functorIiEiEEDaPvRmT3_T4_T5_mT6_P12ihipStream_tbENKUlT_T0_E_clISt17integral_constantIbLb1EEST_IbLb0EEEEDaSP_SQ_EUlSP_E0_NS1_11comp_targetILNS1_3genE3ELNS1_11target_archE908ELNS1_3gpuE7ELNS1_3repE0EEENS1_30default_config_static_selectorELNS0_4arch9wavefront6targetE1EEEvT1_
		.amdhsa_group_segment_fixed_size 0
		.amdhsa_private_segment_fixed_size 0
		.amdhsa_kernarg_size 32
		.amdhsa_user_sgpr_count 6
		.amdhsa_user_sgpr_private_segment_buffer 1
		.amdhsa_user_sgpr_dispatch_ptr 0
		.amdhsa_user_sgpr_queue_ptr 0
		.amdhsa_user_sgpr_kernarg_segment_ptr 1
		.amdhsa_user_sgpr_dispatch_id 0
		.amdhsa_user_sgpr_flat_scratch_init 0
		.amdhsa_user_sgpr_kernarg_preload_length 0
		.amdhsa_user_sgpr_kernarg_preload_offset 0
		.amdhsa_user_sgpr_private_segment_size 0
		.amdhsa_uses_dynamic_stack 0
		.amdhsa_system_sgpr_private_segment_wavefront_offset 0
		.amdhsa_system_sgpr_workgroup_id_x 1
		.amdhsa_system_sgpr_workgroup_id_y 0
		.amdhsa_system_sgpr_workgroup_id_z 0
		.amdhsa_system_sgpr_workgroup_info 0
		.amdhsa_system_vgpr_workitem_id 0
		.amdhsa_next_free_vgpr 1
		.amdhsa_next_free_sgpr 0
		.amdhsa_accum_offset 4
		.amdhsa_reserve_vcc 0
		.amdhsa_reserve_flat_scratch 0
		.amdhsa_float_round_mode_32 0
		.amdhsa_float_round_mode_16_64 0
		.amdhsa_float_denorm_mode_32 3
		.amdhsa_float_denorm_mode_16_64 3
		.amdhsa_dx10_clamp 1
		.amdhsa_ieee_mode 1
		.amdhsa_fp16_overflow 0
		.amdhsa_tg_split 0
		.amdhsa_exception_fp_ieee_invalid_op 0
		.amdhsa_exception_fp_denorm_src 0
		.amdhsa_exception_fp_ieee_div_zero 0
		.amdhsa_exception_fp_ieee_overflow 0
		.amdhsa_exception_fp_ieee_underflow 0
		.amdhsa_exception_fp_ieee_inexact 0
		.amdhsa_exception_int_div_zero 0
	.end_amdhsa_kernel
	.section	.text._ZN7rocprim17ROCPRIM_400000_NS6detail17trampoline_kernelINS0_14default_configENS1_20scan_config_selectorIiEEZZNS1_9scan_implILNS1_25lookback_scan_determinismE0ELb1ELb1ES3_N6thrust23THRUST_200600_302600_NS6detail15normal_iteratorINS9_10device_ptrIiEEEESE_i11max_functorIiEiEEDaPvRmT3_T4_T5_mT6_P12ihipStream_tbENKUlT_T0_E_clISt17integral_constantIbLb1EEST_IbLb0EEEEDaSP_SQ_EUlSP_E0_NS1_11comp_targetILNS1_3genE3ELNS1_11target_archE908ELNS1_3gpuE7ELNS1_3repE0EEENS1_30default_config_static_selectorELNS0_4arch9wavefront6targetE1EEEvT1_,"axG",@progbits,_ZN7rocprim17ROCPRIM_400000_NS6detail17trampoline_kernelINS0_14default_configENS1_20scan_config_selectorIiEEZZNS1_9scan_implILNS1_25lookback_scan_determinismE0ELb1ELb1ES3_N6thrust23THRUST_200600_302600_NS6detail15normal_iteratorINS9_10device_ptrIiEEEESE_i11max_functorIiEiEEDaPvRmT3_T4_T5_mT6_P12ihipStream_tbENKUlT_T0_E_clISt17integral_constantIbLb1EEST_IbLb0EEEEDaSP_SQ_EUlSP_E0_NS1_11comp_targetILNS1_3genE3ELNS1_11target_archE908ELNS1_3gpuE7ELNS1_3repE0EEENS1_30default_config_static_selectorELNS0_4arch9wavefront6targetE1EEEvT1_,comdat
.Lfunc_end2822:
	.size	_ZN7rocprim17ROCPRIM_400000_NS6detail17trampoline_kernelINS0_14default_configENS1_20scan_config_selectorIiEEZZNS1_9scan_implILNS1_25lookback_scan_determinismE0ELb1ELb1ES3_N6thrust23THRUST_200600_302600_NS6detail15normal_iteratorINS9_10device_ptrIiEEEESE_i11max_functorIiEiEEDaPvRmT3_T4_T5_mT6_P12ihipStream_tbENKUlT_T0_E_clISt17integral_constantIbLb1EEST_IbLb0EEEEDaSP_SQ_EUlSP_E0_NS1_11comp_targetILNS1_3genE3ELNS1_11target_archE908ELNS1_3gpuE7ELNS1_3repE0EEENS1_30default_config_static_selectorELNS0_4arch9wavefront6targetE1EEEvT1_, .Lfunc_end2822-_ZN7rocprim17ROCPRIM_400000_NS6detail17trampoline_kernelINS0_14default_configENS1_20scan_config_selectorIiEEZZNS1_9scan_implILNS1_25lookback_scan_determinismE0ELb1ELb1ES3_N6thrust23THRUST_200600_302600_NS6detail15normal_iteratorINS9_10device_ptrIiEEEESE_i11max_functorIiEiEEDaPvRmT3_T4_T5_mT6_P12ihipStream_tbENKUlT_T0_E_clISt17integral_constantIbLb1EEST_IbLb0EEEEDaSP_SQ_EUlSP_E0_NS1_11comp_targetILNS1_3genE3ELNS1_11target_archE908ELNS1_3gpuE7ELNS1_3repE0EEENS1_30default_config_static_selectorELNS0_4arch9wavefront6targetE1EEEvT1_
                                        ; -- End function
	.section	.AMDGPU.csdata,"",@progbits
; Kernel info:
; codeLenInByte = 0
; NumSgprs: 4
; NumVgprs: 0
; NumAgprs: 0
; TotalNumVgprs: 0
; ScratchSize: 0
; MemoryBound: 0
; FloatMode: 240
; IeeeMode: 1
; LDSByteSize: 0 bytes/workgroup (compile time only)
; SGPRBlocks: 0
; VGPRBlocks: 0
; NumSGPRsForWavesPerEU: 4
; NumVGPRsForWavesPerEU: 1
; AccumOffset: 4
; Occupancy: 8
; WaveLimiterHint : 0
; COMPUTE_PGM_RSRC2:SCRATCH_EN: 0
; COMPUTE_PGM_RSRC2:USER_SGPR: 6
; COMPUTE_PGM_RSRC2:TRAP_HANDLER: 0
; COMPUTE_PGM_RSRC2:TGID_X_EN: 1
; COMPUTE_PGM_RSRC2:TGID_Y_EN: 0
; COMPUTE_PGM_RSRC2:TGID_Z_EN: 0
; COMPUTE_PGM_RSRC2:TIDIG_COMP_CNT: 0
; COMPUTE_PGM_RSRC3_GFX90A:ACCUM_OFFSET: 0
; COMPUTE_PGM_RSRC3_GFX90A:TG_SPLIT: 0
	.section	.text._ZN7rocprim17ROCPRIM_400000_NS6detail17trampoline_kernelINS0_14default_configENS1_20scan_config_selectorIiEEZZNS1_9scan_implILNS1_25lookback_scan_determinismE0ELb1ELb1ES3_N6thrust23THRUST_200600_302600_NS6detail15normal_iteratorINS9_10device_ptrIiEEEESE_i11max_functorIiEiEEDaPvRmT3_T4_T5_mT6_P12ihipStream_tbENKUlT_T0_E_clISt17integral_constantIbLb1EEST_IbLb0EEEEDaSP_SQ_EUlSP_E0_NS1_11comp_targetILNS1_3genE2ELNS1_11target_archE906ELNS1_3gpuE6ELNS1_3repE0EEENS1_30default_config_static_selectorELNS0_4arch9wavefront6targetE1EEEvT1_,"axG",@progbits,_ZN7rocprim17ROCPRIM_400000_NS6detail17trampoline_kernelINS0_14default_configENS1_20scan_config_selectorIiEEZZNS1_9scan_implILNS1_25lookback_scan_determinismE0ELb1ELb1ES3_N6thrust23THRUST_200600_302600_NS6detail15normal_iteratorINS9_10device_ptrIiEEEESE_i11max_functorIiEiEEDaPvRmT3_T4_T5_mT6_P12ihipStream_tbENKUlT_T0_E_clISt17integral_constantIbLb1EEST_IbLb0EEEEDaSP_SQ_EUlSP_E0_NS1_11comp_targetILNS1_3genE2ELNS1_11target_archE906ELNS1_3gpuE6ELNS1_3repE0EEENS1_30default_config_static_selectorELNS0_4arch9wavefront6targetE1EEEvT1_,comdat
	.protected	_ZN7rocprim17ROCPRIM_400000_NS6detail17trampoline_kernelINS0_14default_configENS1_20scan_config_selectorIiEEZZNS1_9scan_implILNS1_25lookback_scan_determinismE0ELb1ELb1ES3_N6thrust23THRUST_200600_302600_NS6detail15normal_iteratorINS9_10device_ptrIiEEEESE_i11max_functorIiEiEEDaPvRmT3_T4_T5_mT6_P12ihipStream_tbENKUlT_T0_E_clISt17integral_constantIbLb1EEST_IbLb0EEEEDaSP_SQ_EUlSP_E0_NS1_11comp_targetILNS1_3genE2ELNS1_11target_archE906ELNS1_3gpuE6ELNS1_3repE0EEENS1_30default_config_static_selectorELNS0_4arch9wavefront6targetE1EEEvT1_ ; -- Begin function _ZN7rocprim17ROCPRIM_400000_NS6detail17trampoline_kernelINS0_14default_configENS1_20scan_config_selectorIiEEZZNS1_9scan_implILNS1_25lookback_scan_determinismE0ELb1ELb1ES3_N6thrust23THRUST_200600_302600_NS6detail15normal_iteratorINS9_10device_ptrIiEEEESE_i11max_functorIiEiEEDaPvRmT3_T4_T5_mT6_P12ihipStream_tbENKUlT_T0_E_clISt17integral_constantIbLb1EEST_IbLb0EEEEDaSP_SQ_EUlSP_E0_NS1_11comp_targetILNS1_3genE2ELNS1_11target_archE906ELNS1_3gpuE6ELNS1_3repE0EEENS1_30default_config_static_selectorELNS0_4arch9wavefront6targetE1EEEvT1_
	.globl	_ZN7rocprim17ROCPRIM_400000_NS6detail17trampoline_kernelINS0_14default_configENS1_20scan_config_selectorIiEEZZNS1_9scan_implILNS1_25lookback_scan_determinismE0ELb1ELb1ES3_N6thrust23THRUST_200600_302600_NS6detail15normal_iteratorINS9_10device_ptrIiEEEESE_i11max_functorIiEiEEDaPvRmT3_T4_T5_mT6_P12ihipStream_tbENKUlT_T0_E_clISt17integral_constantIbLb1EEST_IbLb0EEEEDaSP_SQ_EUlSP_E0_NS1_11comp_targetILNS1_3genE2ELNS1_11target_archE906ELNS1_3gpuE6ELNS1_3repE0EEENS1_30default_config_static_selectorELNS0_4arch9wavefront6targetE1EEEvT1_
	.p2align	8
	.type	_ZN7rocprim17ROCPRIM_400000_NS6detail17trampoline_kernelINS0_14default_configENS1_20scan_config_selectorIiEEZZNS1_9scan_implILNS1_25lookback_scan_determinismE0ELb1ELb1ES3_N6thrust23THRUST_200600_302600_NS6detail15normal_iteratorINS9_10device_ptrIiEEEESE_i11max_functorIiEiEEDaPvRmT3_T4_T5_mT6_P12ihipStream_tbENKUlT_T0_E_clISt17integral_constantIbLb1EEST_IbLb0EEEEDaSP_SQ_EUlSP_E0_NS1_11comp_targetILNS1_3genE2ELNS1_11target_archE906ELNS1_3gpuE6ELNS1_3repE0EEENS1_30default_config_static_selectorELNS0_4arch9wavefront6targetE1EEEvT1_,@function
_ZN7rocprim17ROCPRIM_400000_NS6detail17trampoline_kernelINS0_14default_configENS1_20scan_config_selectorIiEEZZNS1_9scan_implILNS1_25lookback_scan_determinismE0ELb1ELb1ES3_N6thrust23THRUST_200600_302600_NS6detail15normal_iteratorINS9_10device_ptrIiEEEESE_i11max_functorIiEiEEDaPvRmT3_T4_T5_mT6_P12ihipStream_tbENKUlT_T0_E_clISt17integral_constantIbLb1EEST_IbLb0EEEEDaSP_SQ_EUlSP_E0_NS1_11comp_targetILNS1_3genE2ELNS1_11target_archE906ELNS1_3gpuE6ELNS1_3repE0EEENS1_30default_config_static_selectorELNS0_4arch9wavefront6targetE1EEEvT1_: ; @_ZN7rocprim17ROCPRIM_400000_NS6detail17trampoline_kernelINS0_14default_configENS1_20scan_config_selectorIiEEZZNS1_9scan_implILNS1_25lookback_scan_determinismE0ELb1ELb1ES3_N6thrust23THRUST_200600_302600_NS6detail15normal_iteratorINS9_10device_ptrIiEEEESE_i11max_functorIiEiEEDaPvRmT3_T4_T5_mT6_P12ihipStream_tbENKUlT_T0_E_clISt17integral_constantIbLb1EEST_IbLb0EEEEDaSP_SQ_EUlSP_E0_NS1_11comp_targetILNS1_3genE2ELNS1_11target_archE906ELNS1_3gpuE6ELNS1_3repE0EEENS1_30default_config_static_selectorELNS0_4arch9wavefront6targetE1EEEvT1_
; %bb.0:
	.section	.rodata,"a",@progbits
	.p2align	6, 0x0
	.amdhsa_kernel _ZN7rocprim17ROCPRIM_400000_NS6detail17trampoline_kernelINS0_14default_configENS1_20scan_config_selectorIiEEZZNS1_9scan_implILNS1_25lookback_scan_determinismE0ELb1ELb1ES3_N6thrust23THRUST_200600_302600_NS6detail15normal_iteratorINS9_10device_ptrIiEEEESE_i11max_functorIiEiEEDaPvRmT3_T4_T5_mT6_P12ihipStream_tbENKUlT_T0_E_clISt17integral_constantIbLb1EEST_IbLb0EEEEDaSP_SQ_EUlSP_E0_NS1_11comp_targetILNS1_3genE2ELNS1_11target_archE906ELNS1_3gpuE6ELNS1_3repE0EEENS1_30default_config_static_selectorELNS0_4arch9wavefront6targetE1EEEvT1_
		.amdhsa_group_segment_fixed_size 0
		.amdhsa_private_segment_fixed_size 0
		.amdhsa_kernarg_size 32
		.amdhsa_user_sgpr_count 6
		.amdhsa_user_sgpr_private_segment_buffer 1
		.amdhsa_user_sgpr_dispatch_ptr 0
		.amdhsa_user_sgpr_queue_ptr 0
		.amdhsa_user_sgpr_kernarg_segment_ptr 1
		.amdhsa_user_sgpr_dispatch_id 0
		.amdhsa_user_sgpr_flat_scratch_init 0
		.amdhsa_user_sgpr_kernarg_preload_length 0
		.amdhsa_user_sgpr_kernarg_preload_offset 0
		.amdhsa_user_sgpr_private_segment_size 0
		.amdhsa_uses_dynamic_stack 0
		.amdhsa_system_sgpr_private_segment_wavefront_offset 0
		.amdhsa_system_sgpr_workgroup_id_x 1
		.amdhsa_system_sgpr_workgroup_id_y 0
		.amdhsa_system_sgpr_workgroup_id_z 0
		.amdhsa_system_sgpr_workgroup_info 0
		.amdhsa_system_vgpr_workitem_id 0
		.amdhsa_next_free_vgpr 1
		.amdhsa_next_free_sgpr 0
		.amdhsa_accum_offset 4
		.amdhsa_reserve_vcc 0
		.amdhsa_reserve_flat_scratch 0
		.amdhsa_float_round_mode_32 0
		.amdhsa_float_round_mode_16_64 0
		.amdhsa_float_denorm_mode_32 3
		.amdhsa_float_denorm_mode_16_64 3
		.amdhsa_dx10_clamp 1
		.amdhsa_ieee_mode 1
		.amdhsa_fp16_overflow 0
		.amdhsa_tg_split 0
		.amdhsa_exception_fp_ieee_invalid_op 0
		.amdhsa_exception_fp_denorm_src 0
		.amdhsa_exception_fp_ieee_div_zero 0
		.amdhsa_exception_fp_ieee_overflow 0
		.amdhsa_exception_fp_ieee_underflow 0
		.amdhsa_exception_fp_ieee_inexact 0
		.amdhsa_exception_int_div_zero 0
	.end_amdhsa_kernel
	.section	.text._ZN7rocprim17ROCPRIM_400000_NS6detail17trampoline_kernelINS0_14default_configENS1_20scan_config_selectorIiEEZZNS1_9scan_implILNS1_25lookback_scan_determinismE0ELb1ELb1ES3_N6thrust23THRUST_200600_302600_NS6detail15normal_iteratorINS9_10device_ptrIiEEEESE_i11max_functorIiEiEEDaPvRmT3_T4_T5_mT6_P12ihipStream_tbENKUlT_T0_E_clISt17integral_constantIbLb1EEST_IbLb0EEEEDaSP_SQ_EUlSP_E0_NS1_11comp_targetILNS1_3genE2ELNS1_11target_archE906ELNS1_3gpuE6ELNS1_3repE0EEENS1_30default_config_static_selectorELNS0_4arch9wavefront6targetE1EEEvT1_,"axG",@progbits,_ZN7rocprim17ROCPRIM_400000_NS6detail17trampoline_kernelINS0_14default_configENS1_20scan_config_selectorIiEEZZNS1_9scan_implILNS1_25lookback_scan_determinismE0ELb1ELb1ES3_N6thrust23THRUST_200600_302600_NS6detail15normal_iteratorINS9_10device_ptrIiEEEESE_i11max_functorIiEiEEDaPvRmT3_T4_T5_mT6_P12ihipStream_tbENKUlT_T0_E_clISt17integral_constantIbLb1EEST_IbLb0EEEEDaSP_SQ_EUlSP_E0_NS1_11comp_targetILNS1_3genE2ELNS1_11target_archE906ELNS1_3gpuE6ELNS1_3repE0EEENS1_30default_config_static_selectorELNS0_4arch9wavefront6targetE1EEEvT1_,comdat
.Lfunc_end2823:
	.size	_ZN7rocprim17ROCPRIM_400000_NS6detail17trampoline_kernelINS0_14default_configENS1_20scan_config_selectorIiEEZZNS1_9scan_implILNS1_25lookback_scan_determinismE0ELb1ELb1ES3_N6thrust23THRUST_200600_302600_NS6detail15normal_iteratorINS9_10device_ptrIiEEEESE_i11max_functorIiEiEEDaPvRmT3_T4_T5_mT6_P12ihipStream_tbENKUlT_T0_E_clISt17integral_constantIbLb1EEST_IbLb0EEEEDaSP_SQ_EUlSP_E0_NS1_11comp_targetILNS1_3genE2ELNS1_11target_archE906ELNS1_3gpuE6ELNS1_3repE0EEENS1_30default_config_static_selectorELNS0_4arch9wavefront6targetE1EEEvT1_, .Lfunc_end2823-_ZN7rocprim17ROCPRIM_400000_NS6detail17trampoline_kernelINS0_14default_configENS1_20scan_config_selectorIiEEZZNS1_9scan_implILNS1_25lookback_scan_determinismE0ELb1ELb1ES3_N6thrust23THRUST_200600_302600_NS6detail15normal_iteratorINS9_10device_ptrIiEEEESE_i11max_functorIiEiEEDaPvRmT3_T4_T5_mT6_P12ihipStream_tbENKUlT_T0_E_clISt17integral_constantIbLb1EEST_IbLb0EEEEDaSP_SQ_EUlSP_E0_NS1_11comp_targetILNS1_3genE2ELNS1_11target_archE906ELNS1_3gpuE6ELNS1_3repE0EEENS1_30default_config_static_selectorELNS0_4arch9wavefront6targetE1EEEvT1_
                                        ; -- End function
	.section	.AMDGPU.csdata,"",@progbits
; Kernel info:
; codeLenInByte = 0
; NumSgprs: 4
; NumVgprs: 0
; NumAgprs: 0
; TotalNumVgprs: 0
; ScratchSize: 0
; MemoryBound: 0
; FloatMode: 240
; IeeeMode: 1
; LDSByteSize: 0 bytes/workgroup (compile time only)
; SGPRBlocks: 0
; VGPRBlocks: 0
; NumSGPRsForWavesPerEU: 4
; NumVGPRsForWavesPerEU: 1
; AccumOffset: 4
; Occupancy: 8
; WaveLimiterHint : 0
; COMPUTE_PGM_RSRC2:SCRATCH_EN: 0
; COMPUTE_PGM_RSRC2:USER_SGPR: 6
; COMPUTE_PGM_RSRC2:TRAP_HANDLER: 0
; COMPUTE_PGM_RSRC2:TGID_X_EN: 1
; COMPUTE_PGM_RSRC2:TGID_Y_EN: 0
; COMPUTE_PGM_RSRC2:TGID_Z_EN: 0
; COMPUTE_PGM_RSRC2:TIDIG_COMP_CNT: 0
; COMPUTE_PGM_RSRC3_GFX90A:ACCUM_OFFSET: 0
; COMPUTE_PGM_RSRC3_GFX90A:TG_SPLIT: 0
	.section	.text._ZN7rocprim17ROCPRIM_400000_NS6detail17trampoline_kernelINS0_14default_configENS1_20scan_config_selectorIiEEZZNS1_9scan_implILNS1_25lookback_scan_determinismE0ELb1ELb1ES3_N6thrust23THRUST_200600_302600_NS6detail15normal_iteratorINS9_10device_ptrIiEEEESE_i11max_functorIiEiEEDaPvRmT3_T4_T5_mT6_P12ihipStream_tbENKUlT_T0_E_clISt17integral_constantIbLb1EEST_IbLb0EEEEDaSP_SQ_EUlSP_E0_NS1_11comp_targetILNS1_3genE10ELNS1_11target_archE1201ELNS1_3gpuE5ELNS1_3repE0EEENS1_30default_config_static_selectorELNS0_4arch9wavefront6targetE1EEEvT1_,"axG",@progbits,_ZN7rocprim17ROCPRIM_400000_NS6detail17trampoline_kernelINS0_14default_configENS1_20scan_config_selectorIiEEZZNS1_9scan_implILNS1_25lookback_scan_determinismE0ELb1ELb1ES3_N6thrust23THRUST_200600_302600_NS6detail15normal_iteratorINS9_10device_ptrIiEEEESE_i11max_functorIiEiEEDaPvRmT3_T4_T5_mT6_P12ihipStream_tbENKUlT_T0_E_clISt17integral_constantIbLb1EEST_IbLb0EEEEDaSP_SQ_EUlSP_E0_NS1_11comp_targetILNS1_3genE10ELNS1_11target_archE1201ELNS1_3gpuE5ELNS1_3repE0EEENS1_30default_config_static_selectorELNS0_4arch9wavefront6targetE1EEEvT1_,comdat
	.protected	_ZN7rocprim17ROCPRIM_400000_NS6detail17trampoline_kernelINS0_14default_configENS1_20scan_config_selectorIiEEZZNS1_9scan_implILNS1_25lookback_scan_determinismE0ELb1ELb1ES3_N6thrust23THRUST_200600_302600_NS6detail15normal_iteratorINS9_10device_ptrIiEEEESE_i11max_functorIiEiEEDaPvRmT3_T4_T5_mT6_P12ihipStream_tbENKUlT_T0_E_clISt17integral_constantIbLb1EEST_IbLb0EEEEDaSP_SQ_EUlSP_E0_NS1_11comp_targetILNS1_3genE10ELNS1_11target_archE1201ELNS1_3gpuE5ELNS1_3repE0EEENS1_30default_config_static_selectorELNS0_4arch9wavefront6targetE1EEEvT1_ ; -- Begin function _ZN7rocprim17ROCPRIM_400000_NS6detail17trampoline_kernelINS0_14default_configENS1_20scan_config_selectorIiEEZZNS1_9scan_implILNS1_25lookback_scan_determinismE0ELb1ELb1ES3_N6thrust23THRUST_200600_302600_NS6detail15normal_iteratorINS9_10device_ptrIiEEEESE_i11max_functorIiEiEEDaPvRmT3_T4_T5_mT6_P12ihipStream_tbENKUlT_T0_E_clISt17integral_constantIbLb1EEST_IbLb0EEEEDaSP_SQ_EUlSP_E0_NS1_11comp_targetILNS1_3genE10ELNS1_11target_archE1201ELNS1_3gpuE5ELNS1_3repE0EEENS1_30default_config_static_selectorELNS0_4arch9wavefront6targetE1EEEvT1_
	.globl	_ZN7rocprim17ROCPRIM_400000_NS6detail17trampoline_kernelINS0_14default_configENS1_20scan_config_selectorIiEEZZNS1_9scan_implILNS1_25lookback_scan_determinismE0ELb1ELb1ES3_N6thrust23THRUST_200600_302600_NS6detail15normal_iteratorINS9_10device_ptrIiEEEESE_i11max_functorIiEiEEDaPvRmT3_T4_T5_mT6_P12ihipStream_tbENKUlT_T0_E_clISt17integral_constantIbLb1EEST_IbLb0EEEEDaSP_SQ_EUlSP_E0_NS1_11comp_targetILNS1_3genE10ELNS1_11target_archE1201ELNS1_3gpuE5ELNS1_3repE0EEENS1_30default_config_static_selectorELNS0_4arch9wavefront6targetE1EEEvT1_
	.p2align	8
	.type	_ZN7rocprim17ROCPRIM_400000_NS6detail17trampoline_kernelINS0_14default_configENS1_20scan_config_selectorIiEEZZNS1_9scan_implILNS1_25lookback_scan_determinismE0ELb1ELb1ES3_N6thrust23THRUST_200600_302600_NS6detail15normal_iteratorINS9_10device_ptrIiEEEESE_i11max_functorIiEiEEDaPvRmT3_T4_T5_mT6_P12ihipStream_tbENKUlT_T0_E_clISt17integral_constantIbLb1EEST_IbLb0EEEEDaSP_SQ_EUlSP_E0_NS1_11comp_targetILNS1_3genE10ELNS1_11target_archE1201ELNS1_3gpuE5ELNS1_3repE0EEENS1_30default_config_static_selectorELNS0_4arch9wavefront6targetE1EEEvT1_,@function
_ZN7rocprim17ROCPRIM_400000_NS6detail17trampoline_kernelINS0_14default_configENS1_20scan_config_selectorIiEEZZNS1_9scan_implILNS1_25lookback_scan_determinismE0ELb1ELb1ES3_N6thrust23THRUST_200600_302600_NS6detail15normal_iteratorINS9_10device_ptrIiEEEESE_i11max_functorIiEiEEDaPvRmT3_T4_T5_mT6_P12ihipStream_tbENKUlT_T0_E_clISt17integral_constantIbLb1EEST_IbLb0EEEEDaSP_SQ_EUlSP_E0_NS1_11comp_targetILNS1_3genE10ELNS1_11target_archE1201ELNS1_3gpuE5ELNS1_3repE0EEENS1_30default_config_static_selectorELNS0_4arch9wavefront6targetE1EEEvT1_: ; @_ZN7rocprim17ROCPRIM_400000_NS6detail17trampoline_kernelINS0_14default_configENS1_20scan_config_selectorIiEEZZNS1_9scan_implILNS1_25lookback_scan_determinismE0ELb1ELb1ES3_N6thrust23THRUST_200600_302600_NS6detail15normal_iteratorINS9_10device_ptrIiEEEESE_i11max_functorIiEiEEDaPvRmT3_T4_T5_mT6_P12ihipStream_tbENKUlT_T0_E_clISt17integral_constantIbLb1EEST_IbLb0EEEEDaSP_SQ_EUlSP_E0_NS1_11comp_targetILNS1_3genE10ELNS1_11target_archE1201ELNS1_3gpuE5ELNS1_3repE0EEENS1_30default_config_static_selectorELNS0_4arch9wavefront6targetE1EEEvT1_
; %bb.0:
	.section	.rodata,"a",@progbits
	.p2align	6, 0x0
	.amdhsa_kernel _ZN7rocprim17ROCPRIM_400000_NS6detail17trampoline_kernelINS0_14default_configENS1_20scan_config_selectorIiEEZZNS1_9scan_implILNS1_25lookback_scan_determinismE0ELb1ELb1ES3_N6thrust23THRUST_200600_302600_NS6detail15normal_iteratorINS9_10device_ptrIiEEEESE_i11max_functorIiEiEEDaPvRmT3_T4_T5_mT6_P12ihipStream_tbENKUlT_T0_E_clISt17integral_constantIbLb1EEST_IbLb0EEEEDaSP_SQ_EUlSP_E0_NS1_11comp_targetILNS1_3genE10ELNS1_11target_archE1201ELNS1_3gpuE5ELNS1_3repE0EEENS1_30default_config_static_selectorELNS0_4arch9wavefront6targetE1EEEvT1_
		.amdhsa_group_segment_fixed_size 0
		.amdhsa_private_segment_fixed_size 0
		.amdhsa_kernarg_size 32
		.amdhsa_user_sgpr_count 6
		.amdhsa_user_sgpr_private_segment_buffer 1
		.amdhsa_user_sgpr_dispatch_ptr 0
		.amdhsa_user_sgpr_queue_ptr 0
		.amdhsa_user_sgpr_kernarg_segment_ptr 1
		.amdhsa_user_sgpr_dispatch_id 0
		.amdhsa_user_sgpr_flat_scratch_init 0
		.amdhsa_user_sgpr_kernarg_preload_length 0
		.amdhsa_user_sgpr_kernarg_preload_offset 0
		.amdhsa_user_sgpr_private_segment_size 0
		.amdhsa_uses_dynamic_stack 0
		.amdhsa_system_sgpr_private_segment_wavefront_offset 0
		.amdhsa_system_sgpr_workgroup_id_x 1
		.amdhsa_system_sgpr_workgroup_id_y 0
		.amdhsa_system_sgpr_workgroup_id_z 0
		.amdhsa_system_sgpr_workgroup_info 0
		.amdhsa_system_vgpr_workitem_id 0
		.amdhsa_next_free_vgpr 1
		.amdhsa_next_free_sgpr 0
		.amdhsa_accum_offset 4
		.amdhsa_reserve_vcc 0
		.amdhsa_reserve_flat_scratch 0
		.amdhsa_float_round_mode_32 0
		.amdhsa_float_round_mode_16_64 0
		.amdhsa_float_denorm_mode_32 3
		.amdhsa_float_denorm_mode_16_64 3
		.amdhsa_dx10_clamp 1
		.amdhsa_ieee_mode 1
		.amdhsa_fp16_overflow 0
		.amdhsa_tg_split 0
		.amdhsa_exception_fp_ieee_invalid_op 0
		.amdhsa_exception_fp_denorm_src 0
		.amdhsa_exception_fp_ieee_div_zero 0
		.amdhsa_exception_fp_ieee_overflow 0
		.amdhsa_exception_fp_ieee_underflow 0
		.amdhsa_exception_fp_ieee_inexact 0
		.amdhsa_exception_int_div_zero 0
	.end_amdhsa_kernel
	.section	.text._ZN7rocprim17ROCPRIM_400000_NS6detail17trampoline_kernelINS0_14default_configENS1_20scan_config_selectorIiEEZZNS1_9scan_implILNS1_25lookback_scan_determinismE0ELb1ELb1ES3_N6thrust23THRUST_200600_302600_NS6detail15normal_iteratorINS9_10device_ptrIiEEEESE_i11max_functorIiEiEEDaPvRmT3_T4_T5_mT6_P12ihipStream_tbENKUlT_T0_E_clISt17integral_constantIbLb1EEST_IbLb0EEEEDaSP_SQ_EUlSP_E0_NS1_11comp_targetILNS1_3genE10ELNS1_11target_archE1201ELNS1_3gpuE5ELNS1_3repE0EEENS1_30default_config_static_selectorELNS0_4arch9wavefront6targetE1EEEvT1_,"axG",@progbits,_ZN7rocprim17ROCPRIM_400000_NS6detail17trampoline_kernelINS0_14default_configENS1_20scan_config_selectorIiEEZZNS1_9scan_implILNS1_25lookback_scan_determinismE0ELb1ELb1ES3_N6thrust23THRUST_200600_302600_NS6detail15normal_iteratorINS9_10device_ptrIiEEEESE_i11max_functorIiEiEEDaPvRmT3_T4_T5_mT6_P12ihipStream_tbENKUlT_T0_E_clISt17integral_constantIbLb1EEST_IbLb0EEEEDaSP_SQ_EUlSP_E0_NS1_11comp_targetILNS1_3genE10ELNS1_11target_archE1201ELNS1_3gpuE5ELNS1_3repE0EEENS1_30default_config_static_selectorELNS0_4arch9wavefront6targetE1EEEvT1_,comdat
.Lfunc_end2824:
	.size	_ZN7rocprim17ROCPRIM_400000_NS6detail17trampoline_kernelINS0_14default_configENS1_20scan_config_selectorIiEEZZNS1_9scan_implILNS1_25lookback_scan_determinismE0ELb1ELb1ES3_N6thrust23THRUST_200600_302600_NS6detail15normal_iteratorINS9_10device_ptrIiEEEESE_i11max_functorIiEiEEDaPvRmT3_T4_T5_mT6_P12ihipStream_tbENKUlT_T0_E_clISt17integral_constantIbLb1EEST_IbLb0EEEEDaSP_SQ_EUlSP_E0_NS1_11comp_targetILNS1_3genE10ELNS1_11target_archE1201ELNS1_3gpuE5ELNS1_3repE0EEENS1_30default_config_static_selectorELNS0_4arch9wavefront6targetE1EEEvT1_, .Lfunc_end2824-_ZN7rocprim17ROCPRIM_400000_NS6detail17trampoline_kernelINS0_14default_configENS1_20scan_config_selectorIiEEZZNS1_9scan_implILNS1_25lookback_scan_determinismE0ELb1ELb1ES3_N6thrust23THRUST_200600_302600_NS6detail15normal_iteratorINS9_10device_ptrIiEEEESE_i11max_functorIiEiEEDaPvRmT3_T4_T5_mT6_P12ihipStream_tbENKUlT_T0_E_clISt17integral_constantIbLb1EEST_IbLb0EEEEDaSP_SQ_EUlSP_E0_NS1_11comp_targetILNS1_3genE10ELNS1_11target_archE1201ELNS1_3gpuE5ELNS1_3repE0EEENS1_30default_config_static_selectorELNS0_4arch9wavefront6targetE1EEEvT1_
                                        ; -- End function
	.section	.AMDGPU.csdata,"",@progbits
; Kernel info:
; codeLenInByte = 0
; NumSgprs: 4
; NumVgprs: 0
; NumAgprs: 0
; TotalNumVgprs: 0
; ScratchSize: 0
; MemoryBound: 0
; FloatMode: 240
; IeeeMode: 1
; LDSByteSize: 0 bytes/workgroup (compile time only)
; SGPRBlocks: 0
; VGPRBlocks: 0
; NumSGPRsForWavesPerEU: 4
; NumVGPRsForWavesPerEU: 1
; AccumOffset: 4
; Occupancy: 8
; WaveLimiterHint : 0
; COMPUTE_PGM_RSRC2:SCRATCH_EN: 0
; COMPUTE_PGM_RSRC2:USER_SGPR: 6
; COMPUTE_PGM_RSRC2:TRAP_HANDLER: 0
; COMPUTE_PGM_RSRC2:TGID_X_EN: 1
; COMPUTE_PGM_RSRC2:TGID_Y_EN: 0
; COMPUTE_PGM_RSRC2:TGID_Z_EN: 0
; COMPUTE_PGM_RSRC2:TIDIG_COMP_CNT: 0
; COMPUTE_PGM_RSRC3_GFX90A:ACCUM_OFFSET: 0
; COMPUTE_PGM_RSRC3_GFX90A:TG_SPLIT: 0
	.section	.text._ZN7rocprim17ROCPRIM_400000_NS6detail17trampoline_kernelINS0_14default_configENS1_20scan_config_selectorIiEEZZNS1_9scan_implILNS1_25lookback_scan_determinismE0ELb1ELb1ES3_N6thrust23THRUST_200600_302600_NS6detail15normal_iteratorINS9_10device_ptrIiEEEESE_i11max_functorIiEiEEDaPvRmT3_T4_T5_mT6_P12ihipStream_tbENKUlT_T0_E_clISt17integral_constantIbLb1EEST_IbLb0EEEEDaSP_SQ_EUlSP_E0_NS1_11comp_targetILNS1_3genE10ELNS1_11target_archE1200ELNS1_3gpuE4ELNS1_3repE0EEENS1_30default_config_static_selectorELNS0_4arch9wavefront6targetE1EEEvT1_,"axG",@progbits,_ZN7rocprim17ROCPRIM_400000_NS6detail17trampoline_kernelINS0_14default_configENS1_20scan_config_selectorIiEEZZNS1_9scan_implILNS1_25lookback_scan_determinismE0ELb1ELb1ES3_N6thrust23THRUST_200600_302600_NS6detail15normal_iteratorINS9_10device_ptrIiEEEESE_i11max_functorIiEiEEDaPvRmT3_T4_T5_mT6_P12ihipStream_tbENKUlT_T0_E_clISt17integral_constantIbLb1EEST_IbLb0EEEEDaSP_SQ_EUlSP_E0_NS1_11comp_targetILNS1_3genE10ELNS1_11target_archE1200ELNS1_3gpuE4ELNS1_3repE0EEENS1_30default_config_static_selectorELNS0_4arch9wavefront6targetE1EEEvT1_,comdat
	.protected	_ZN7rocprim17ROCPRIM_400000_NS6detail17trampoline_kernelINS0_14default_configENS1_20scan_config_selectorIiEEZZNS1_9scan_implILNS1_25lookback_scan_determinismE0ELb1ELb1ES3_N6thrust23THRUST_200600_302600_NS6detail15normal_iteratorINS9_10device_ptrIiEEEESE_i11max_functorIiEiEEDaPvRmT3_T4_T5_mT6_P12ihipStream_tbENKUlT_T0_E_clISt17integral_constantIbLb1EEST_IbLb0EEEEDaSP_SQ_EUlSP_E0_NS1_11comp_targetILNS1_3genE10ELNS1_11target_archE1200ELNS1_3gpuE4ELNS1_3repE0EEENS1_30default_config_static_selectorELNS0_4arch9wavefront6targetE1EEEvT1_ ; -- Begin function _ZN7rocprim17ROCPRIM_400000_NS6detail17trampoline_kernelINS0_14default_configENS1_20scan_config_selectorIiEEZZNS1_9scan_implILNS1_25lookback_scan_determinismE0ELb1ELb1ES3_N6thrust23THRUST_200600_302600_NS6detail15normal_iteratorINS9_10device_ptrIiEEEESE_i11max_functorIiEiEEDaPvRmT3_T4_T5_mT6_P12ihipStream_tbENKUlT_T0_E_clISt17integral_constantIbLb1EEST_IbLb0EEEEDaSP_SQ_EUlSP_E0_NS1_11comp_targetILNS1_3genE10ELNS1_11target_archE1200ELNS1_3gpuE4ELNS1_3repE0EEENS1_30default_config_static_selectorELNS0_4arch9wavefront6targetE1EEEvT1_
	.globl	_ZN7rocprim17ROCPRIM_400000_NS6detail17trampoline_kernelINS0_14default_configENS1_20scan_config_selectorIiEEZZNS1_9scan_implILNS1_25lookback_scan_determinismE0ELb1ELb1ES3_N6thrust23THRUST_200600_302600_NS6detail15normal_iteratorINS9_10device_ptrIiEEEESE_i11max_functorIiEiEEDaPvRmT3_T4_T5_mT6_P12ihipStream_tbENKUlT_T0_E_clISt17integral_constantIbLb1EEST_IbLb0EEEEDaSP_SQ_EUlSP_E0_NS1_11comp_targetILNS1_3genE10ELNS1_11target_archE1200ELNS1_3gpuE4ELNS1_3repE0EEENS1_30default_config_static_selectorELNS0_4arch9wavefront6targetE1EEEvT1_
	.p2align	8
	.type	_ZN7rocprim17ROCPRIM_400000_NS6detail17trampoline_kernelINS0_14default_configENS1_20scan_config_selectorIiEEZZNS1_9scan_implILNS1_25lookback_scan_determinismE0ELb1ELb1ES3_N6thrust23THRUST_200600_302600_NS6detail15normal_iteratorINS9_10device_ptrIiEEEESE_i11max_functorIiEiEEDaPvRmT3_T4_T5_mT6_P12ihipStream_tbENKUlT_T0_E_clISt17integral_constantIbLb1EEST_IbLb0EEEEDaSP_SQ_EUlSP_E0_NS1_11comp_targetILNS1_3genE10ELNS1_11target_archE1200ELNS1_3gpuE4ELNS1_3repE0EEENS1_30default_config_static_selectorELNS0_4arch9wavefront6targetE1EEEvT1_,@function
_ZN7rocprim17ROCPRIM_400000_NS6detail17trampoline_kernelINS0_14default_configENS1_20scan_config_selectorIiEEZZNS1_9scan_implILNS1_25lookback_scan_determinismE0ELb1ELb1ES3_N6thrust23THRUST_200600_302600_NS6detail15normal_iteratorINS9_10device_ptrIiEEEESE_i11max_functorIiEiEEDaPvRmT3_T4_T5_mT6_P12ihipStream_tbENKUlT_T0_E_clISt17integral_constantIbLb1EEST_IbLb0EEEEDaSP_SQ_EUlSP_E0_NS1_11comp_targetILNS1_3genE10ELNS1_11target_archE1200ELNS1_3gpuE4ELNS1_3repE0EEENS1_30default_config_static_selectorELNS0_4arch9wavefront6targetE1EEEvT1_: ; @_ZN7rocprim17ROCPRIM_400000_NS6detail17trampoline_kernelINS0_14default_configENS1_20scan_config_selectorIiEEZZNS1_9scan_implILNS1_25lookback_scan_determinismE0ELb1ELb1ES3_N6thrust23THRUST_200600_302600_NS6detail15normal_iteratorINS9_10device_ptrIiEEEESE_i11max_functorIiEiEEDaPvRmT3_T4_T5_mT6_P12ihipStream_tbENKUlT_T0_E_clISt17integral_constantIbLb1EEST_IbLb0EEEEDaSP_SQ_EUlSP_E0_NS1_11comp_targetILNS1_3genE10ELNS1_11target_archE1200ELNS1_3gpuE4ELNS1_3repE0EEENS1_30default_config_static_selectorELNS0_4arch9wavefront6targetE1EEEvT1_
; %bb.0:
	.section	.rodata,"a",@progbits
	.p2align	6, 0x0
	.amdhsa_kernel _ZN7rocprim17ROCPRIM_400000_NS6detail17trampoline_kernelINS0_14default_configENS1_20scan_config_selectorIiEEZZNS1_9scan_implILNS1_25lookback_scan_determinismE0ELb1ELb1ES3_N6thrust23THRUST_200600_302600_NS6detail15normal_iteratorINS9_10device_ptrIiEEEESE_i11max_functorIiEiEEDaPvRmT3_T4_T5_mT6_P12ihipStream_tbENKUlT_T0_E_clISt17integral_constantIbLb1EEST_IbLb0EEEEDaSP_SQ_EUlSP_E0_NS1_11comp_targetILNS1_3genE10ELNS1_11target_archE1200ELNS1_3gpuE4ELNS1_3repE0EEENS1_30default_config_static_selectorELNS0_4arch9wavefront6targetE1EEEvT1_
		.amdhsa_group_segment_fixed_size 0
		.amdhsa_private_segment_fixed_size 0
		.amdhsa_kernarg_size 32
		.amdhsa_user_sgpr_count 6
		.amdhsa_user_sgpr_private_segment_buffer 1
		.amdhsa_user_sgpr_dispatch_ptr 0
		.amdhsa_user_sgpr_queue_ptr 0
		.amdhsa_user_sgpr_kernarg_segment_ptr 1
		.amdhsa_user_sgpr_dispatch_id 0
		.amdhsa_user_sgpr_flat_scratch_init 0
		.amdhsa_user_sgpr_kernarg_preload_length 0
		.amdhsa_user_sgpr_kernarg_preload_offset 0
		.amdhsa_user_sgpr_private_segment_size 0
		.amdhsa_uses_dynamic_stack 0
		.amdhsa_system_sgpr_private_segment_wavefront_offset 0
		.amdhsa_system_sgpr_workgroup_id_x 1
		.amdhsa_system_sgpr_workgroup_id_y 0
		.amdhsa_system_sgpr_workgroup_id_z 0
		.amdhsa_system_sgpr_workgroup_info 0
		.amdhsa_system_vgpr_workitem_id 0
		.amdhsa_next_free_vgpr 1
		.amdhsa_next_free_sgpr 0
		.amdhsa_accum_offset 4
		.amdhsa_reserve_vcc 0
		.amdhsa_reserve_flat_scratch 0
		.amdhsa_float_round_mode_32 0
		.amdhsa_float_round_mode_16_64 0
		.amdhsa_float_denorm_mode_32 3
		.amdhsa_float_denorm_mode_16_64 3
		.amdhsa_dx10_clamp 1
		.amdhsa_ieee_mode 1
		.amdhsa_fp16_overflow 0
		.amdhsa_tg_split 0
		.amdhsa_exception_fp_ieee_invalid_op 0
		.amdhsa_exception_fp_denorm_src 0
		.amdhsa_exception_fp_ieee_div_zero 0
		.amdhsa_exception_fp_ieee_overflow 0
		.amdhsa_exception_fp_ieee_underflow 0
		.amdhsa_exception_fp_ieee_inexact 0
		.amdhsa_exception_int_div_zero 0
	.end_amdhsa_kernel
	.section	.text._ZN7rocprim17ROCPRIM_400000_NS6detail17trampoline_kernelINS0_14default_configENS1_20scan_config_selectorIiEEZZNS1_9scan_implILNS1_25lookback_scan_determinismE0ELb1ELb1ES3_N6thrust23THRUST_200600_302600_NS6detail15normal_iteratorINS9_10device_ptrIiEEEESE_i11max_functorIiEiEEDaPvRmT3_T4_T5_mT6_P12ihipStream_tbENKUlT_T0_E_clISt17integral_constantIbLb1EEST_IbLb0EEEEDaSP_SQ_EUlSP_E0_NS1_11comp_targetILNS1_3genE10ELNS1_11target_archE1200ELNS1_3gpuE4ELNS1_3repE0EEENS1_30default_config_static_selectorELNS0_4arch9wavefront6targetE1EEEvT1_,"axG",@progbits,_ZN7rocprim17ROCPRIM_400000_NS6detail17trampoline_kernelINS0_14default_configENS1_20scan_config_selectorIiEEZZNS1_9scan_implILNS1_25lookback_scan_determinismE0ELb1ELb1ES3_N6thrust23THRUST_200600_302600_NS6detail15normal_iteratorINS9_10device_ptrIiEEEESE_i11max_functorIiEiEEDaPvRmT3_T4_T5_mT6_P12ihipStream_tbENKUlT_T0_E_clISt17integral_constantIbLb1EEST_IbLb0EEEEDaSP_SQ_EUlSP_E0_NS1_11comp_targetILNS1_3genE10ELNS1_11target_archE1200ELNS1_3gpuE4ELNS1_3repE0EEENS1_30default_config_static_selectorELNS0_4arch9wavefront6targetE1EEEvT1_,comdat
.Lfunc_end2825:
	.size	_ZN7rocprim17ROCPRIM_400000_NS6detail17trampoline_kernelINS0_14default_configENS1_20scan_config_selectorIiEEZZNS1_9scan_implILNS1_25lookback_scan_determinismE0ELb1ELb1ES3_N6thrust23THRUST_200600_302600_NS6detail15normal_iteratorINS9_10device_ptrIiEEEESE_i11max_functorIiEiEEDaPvRmT3_T4_T5_mT6_P12ihipStream_tbENKUlT_T0_E_clISt17integral_constantIbLb1EEST_IbLb0EEEEDaSP_SQ_EUlSP_E0_NS1_11comp_targetILNS1_3genE10ELNS1_11target_archE1200ELNS1_3gpuE4ELNS1_3repE0EEENS1_30default_config_static_selectorELNS0_4arch9wavefront6targetE1EEEvT1_, .Lfunc_end2825-_ZN7rocprim17ROCPRIM_400000_NS6detail17trampoline_kernelINS0_14default_configENS1_20scan_config_selectorIiEEZZNS1_9scan_implILNS1_25lookback_scan_determinismE0ELb1ELb1ES3_N6thrust23THRUST_200600_302600_NS6detail15normal_iteratorINS9_10device_ptrIiEEEESE_i11max_functorIiEiEEDaPvRmT3_T4_T5_mT6_P12ihipStream_tbENKUlT_T0_E_clISt17integral_constantIbLb1EEST_IbLb0EEEEDaSP_SQ_EUlSP_E0_NS1_11comp_targetILNS1_3genE10ELNS1_11target_archE1200ELNS1_3gpuE4ELNS1_3repE0EEENS1_30default_config_static_selectorELNS0_4arch9wavefront6targetE1EEEvT1_
                                        ; -- End function
	.section	.AMDGPU.csdata,"",@progbits
; Kernel info:
; codeLenInByte = 0
; NumSgprs: 4
; NumVgprs: 0
; NumAgprs: 0
; TotalNumVgprs: 0
; ScratchSize: 0
; MemoryBound: 0
; FloatMode: 240
; IeeeMode: 1
; LDSByteSize: 0 bytes/workgroup (compile time only)
; SGPRBlocks: 0
; VGPRBlocks: 0
; NumSGPRsForWavesPerEU: 4
; NumVGPRsForWavesPerEU: 1
; AccumOffset: 4
; Occupancy: 8
; WaveLimiterHint : 0
; COMPUTE_PGM_RSRC2:SCRATCH_EN: 0
; COMPUTE_PGM_RSRC2:USER_SGPR: 6
; COMPUTE_PGM_RSRC2:TRAP_HANDLER: 0
; COMPUTE_PGM_RSRC2:TGID_X_EN: 1
; COMPUTE_PGM_RSRC2:TGID_Y_EN: 0
; COMPUTE_PGM_RSRC2:TGID_Z_EN: 0
; COMPUTE_PGM_RSRC2:TIDIG_COMP_CNT: 0
; COMPUTE_PGM_RSRC3_GFX90A:ACCUM_OFFSET: 0
; COMPUTE_PGM_RSRC3_GFX90A:TG_SPLIT: 0
	.section	.text._ZN7rocprim17ROCPRIM_400000_NS6detail17trampoline_kernelINS0_14default_configENS1_20scan_config_selectorIiEEZZNS1_9scan_implILNS1_25lookback_scan_determinismE0ELb1ELb1ES3_N6thrust23THRUST_200600_302600_NS6detail15normal_iteratorINS9_10device_ptrIiEEEESE_i11max_functorIiEiEEDaPvRmT3_T4_T5_mT6_P12ihipStream_tbENKUlT_T0_E_clISt17integral_constantIbLb1EEST_IbLb0EEEEDaSP_SQ_EUlSP_E0_NS1_11comp_targetILNS1_3genE9ELNS1_11target_archE1100ELNS1_3gpuE3ELNS1_3repE0EEENS1_30default_config_static_selectorELNS0_4arch9wavefront6targetE1EEEvT1_,"axG",@progbits,_ZN7rocprim17ROCPRIM_400000_NS6detail17trampoline_kernelINS0_14default_configENS1_20scan_config_selectorIiEEZZNS1_9scan_implILNS1_25lookback_scan_determinismE0ELb1ELb1ES3_N6thrust23THRUST_200600_302600_NS6detail15normal_iteratorINS9_10device_ptrIiEEEESE_i11max_functorIiEiEEDaPvRmT3_T4_T5_mT6_P12ihipStream_tbENKUlT_T0_E_clISt17integral_constantIbLb1EEST_IbLb0EEEEDaSP_SQ_EUlSP_E0_NS1_11comp_targetILNS1_3genE9ELNS1_11target_archE1100ELNS1_3gpuE3ELNS1_3repE0EEENS1_30default_config_static_selectorELNS0_4arch9wavefront6targetE1EEEvT1_,comdat
	.protected	_ZN7rocprim17ROCPRIM_400000_NS6detail17trampoline_kernelINS0_14default_configENS1_20scan_config_selectorIiEEZZNS1_9scan_implILNS1_25lookback_scan_determinismE0ELb1ELb1ES3_N6thrust23THRUST_200600_302600_NS6detail15normal_iteratorINS9_10device_ptrIiEEEESE_i11max_functorIiEiEEDaPvRmT3_T4_T5_mT6_P12ihipStream_tbENKUlT_T0_E_clISt17integral_constantIbLb1EEST_IbLb0EEEEDaSP_SQ_EUlSP_E0_NS1_11comp_targetILNS1_3genE9ELNS1_11target_archE1100ELNS1_3gpuE3ELNS1_3repE0EEENS1_30default_config_static_selectorELNS0_4arch9wavefront6targetE1EEEvT1_ ; -- Begin function _ZN7rocprim17ROCPRIM_400000_NS6detail17trampoline_kernelINS0_14default_configENS1_20scan_config_selectorIiEEZZNS1_9scan_implILNS1_25lookback_scan_determinismE0ELb1ELb1ES3_N6thrust23THRUST_200600_302600_NS6detail15normal_iteratorINS9_10device_ptrIiEEEESE_i11max_functorIiEiEEDaPvRmT3_T4_T5_mT6_P12ihipStream_tbENKUlT_T0_E_clISt17integral_constantIbLb1EEST_IbLb0EEEEDaSP_SQ_EUlSP_E0_NS1_11comp_targetILNS1_3genE9ELNS1_11target_archE1100ELNS1_3gpuE3ELNS1_3repE0EEENS1_30default_config_static_selectorELNS0_4arch9wavefront6targetE1EEEvT1_
	.globl	_ZN7rocprim17ROCPRIM_400000_NS6detail17trampoline_kernelINS0_14default_configENS1_20scan_config_selectorIiEEZZNS1_9scan_implILNS1_25lookback_scan_determinismE0ELb1ELb1ES3_N6thrust23THRUST_200600_302600_NS6detail15normal_iteratorINS9_10device_ptrIiEEEESE_i11max_functorIiEiEEDaPvRmT3_T4_T5_mT6_P12ihipStream_tbENKUlT_T0_E_clISt17integral_constantIbLb1EEST_IbLb0EEEEDaSP_SQ_EUlSP_E0_NS1_11comp_targetILNS1_3genE9ELNS1_11target_archE1100ELNS1_3gpuE3ELNS1_3repE0EEENS1_30default_config_static_selectorELNS0_4arch9wavefront6targetE1EEEvT1_
	.p2align	8
	.type	_ZN7rocprim17ROCPRIM_400000_NS6detail17trampoline_kernelINS0_14default_configENS1_20scan_config_selectorIiEEZZNS1_9scan_implILNS1_25lookback_scan_determinismE0ELb1ELb1ES3_N6thrust23THRUST_200600_302600_NS6detail15normal_iteratorINS9_10device_ptrIiEEEESE_i11max_functorIiEiEEDaPvRmT3_T4_T5_mT6_P12ihipStream_tbENKUlT_T0_E_clISt17integral_constantIbLb1EEST_IbLb0EEEEDaSP_SQ_EUlSP_E0_NS1_11comp_targetILNS1_3genE9ELNS1_11target_archE1100ELNS1_3gpuE3ELNS1_3repE0EEENS1_30default_config_static_selectorELNS0_4arch9wavefront6targetE1EEEvT1_,@function
_ZN7rocprim17ROCPRIM_400000_NS6detail17trampoline_kernelINS0_14default_configENS1_20scan_config_selectorIiEEZZNS1_9scan_implILNS1_25lookback_scan_determinismE0ELb1ELb1ES3_N6thrust23THRUST_200600_302600_NS6detail15normal_iteratorINS9_10device_ptrIiEEEESE_i11max_functorIiEiEEDaPvRmT3_T4_T5_mT6_P12ihipStream_tbENKUlT_T0_E_clISt17integral_constantIbLb1EEST_IbLb0EEEEDaSP_SQ_EUlSP_E0_NS1_11comp_targetILNS1_3genE9ELNS1_11target_archE1100ELNS1_3gpuE3ELNS1_3repE0EEENS1_30default_config_static_selectorELNS0_4arch9wavefront6targetE1EEEvT1_: ; @_ZN7rocprim17ROCPRIM_400000_NS6detail17trampoline_kernelINS0_14default_configENS1_20scan_config_selectorIiEEZZNS1_9scan_implILNS1_25lookback_scan_determinismE0ELb1ELb1ES3_N6thrust23THRUST_200600_302600_NS6detail15normal_iteratorINS9_10device_ptrIiEEEESE_i11max_functorIiEiEEDaPvRmT3_T4_T5_mT6_P12ihipStream_tbENKUlT_T0_E_clISt17integral_constantIbLb1EEST_IbLb0EEEEDaSP_SQ_EUlSP_E0_NS1_11comp_targetILNS1_3genE9ELNS1_11target_archE1100ELNS1_3gpuE3ELNS1_3repE0EEENS1_30default_config_static_selectorELNS0_4arch9wavefront6targetE1EEEvT1_
; %bb.0:
	.section	.rodata,"a",@progbits
	.p2align	6, 0x0
	.amdhsa_kernel _ZN7rocprim17ROCPRIM_400000_NS6detail17trampoline_kernelINS0_14default_configENS1_20scan_config_selectorIiEEZZNS1_9scan_implILNS1_25lookback_scan_determinismE0ELb1ELb1ES3_N6thrust23THRUST_200600_302600_NS6detail15normal_iteratorINS9_10device_ptrIiEEEESE_i11max_functorIiEiEEDaPvRmT3_T4_T5_mT6_P12ihipStream_tbENKUlT_T0_E_clISt17integral_constantIbLb1EEST_IbLb0EEEEDaSP_SQ_EUlSP_E0_NS1_11comp_targetILNS1_3genE9ELNS1_11target_archE1100ELNS1_3gpuE3ELNS1_3repE0EEENS1_30default_config_static_selectorELNS0_4arch9wavefront6targetE1EEEvT1_
		.amdhsa_group_segment_fixed_size 0
		.amdhsa_private_segment_fixed_size 0
		.amdhsa_kernarg_size 32
		.amdhsa_user_sgpr_count 6
		.amdhsa_user_sgpr_private_segment_buffer 1
		.amdhsa_user_sgpr_dispatch_ptr 0
		.amdhsa_user_sgpr_queue_ptr 0
		.amdhsa_user_sgpr_kernarg_segment_ptr 1
		.amdhsa_user_sgpr_dispatch_id 0
		.amdhsa_user_sgpr_flat_scratch_init 0
		.amdhsa_user_sgpr_kernarg_preload_length 0
		.amdhsa_user_sgpr_kernarg_preload_offset 0
		.amdhsa_user_sgpr_private_segment_size 0
		.amdhsa_uses_dynamic_stack 0
		.amdhsa_system_sgpr_private_segment_wavefront_offset 0
		.amdhsa_system_sgpr_workgroup_id_x 1
		.amdhsa_system_sgpr_workgroup_id_y 0
		.amdhsa_system_sgpr_workgroup_id_z 0
		.amdhsa_system_sgpr_workgroup_info 0
		.amdhsa_system_vgpr_workitem_id 0
		.amdhsa_next_free_vgpr 1
		.amdhsa_next_free_sgpr 0
		.amdhsa_accum_offset 4
		.amdhsa_reserve_vcc 0
		.amdhsa_reserve_flat_scratch 0
		.amdhsa_float_round_mode_32 0
		.amdhsa_float_round_mode_16_64 0
		.amdhsa_float_denorm_mode_32 3
		.amdhsa_float_denorm_mode_16_64 3
		.amdhsa_dx10_clamp 1
		.amdhsa_ieee_mode 1
		.amdhsa_fp16_overflow 0
		.amdhsa_tg_split 0
		.amdhsa_exception_fp_ieee_invalid_op 0
		.amdhsa_exception_fp_denorm_src 0
		.amdhsa_exception_fp_ieee_div_zero 0
		.amdhsa_exception_fp_ieee_overflow 0
		.amdhsa_exception_fp_ieee_underflow 0
		.amdhsa_exception_fp_ieee_inexact 0
		.amdhsa_exception_int_div_zero 0
	.end_amdhsa_kernel
	.section	.text._ZN7rocprim17ROCPRIM_400000_NS6detail17trampoline_kernelINS0_14default_configENS1_20scan_config_selectorIiEEZZNS1_9scan_implILNS1_25lookback_scan_determinismE0ELb1ELb1ES3_N6thrust23THRUST_200600_302600_NS6detail15normal_iteratorINS9_10device_ptrIiEEEESE_i11max_functorIiEiEEDaPvRmT3_T4_T5_mT6_P12ihipStream_tbENKUlT_T0_E_clISt17integral_constantIbLb1EEST_IbLb0EEEEDaSP_SQ_EUlSP_E0_NS1_11comp_targetILNS1_3genE9ELNS1_11target_archE1100ELNS1_3gpuE3ELNS1_3repE0EEENS1_30default_config_static_selectorELNS0_4arch9wavefront6targetE1EEEvT1_,"axG",@progbits,_ZN7rocprim17ROCPRIM_400000_NS6detail17trampoline_kernelINS0_14default_configENS1_20scan_config_selectorIiEEZZNS1_9scan_implILNS1_25lookback_scan_determinismE0ELb1ELb1ES3_N6thrust23THRUST_200600_302600_NS6detail15normal_iteratorINS9_10device_ptrIiEEEESE_i11max_functorIiEiEEDaPvRmT3_T4_T5_mT6_P12ihipStream_tbENKUlT_T0_E_clISt17integral_constantIbLb1EEST_IbLb0EEEEDaSP_SQ_EUlSP_E0_NS1_11comp_targetILNS1_3genE9ELNS1_11target_archE1100ELNS1_3gpuE3ELNS1_3repE0EEENS1_30default_config_static_selectorELNS0_4arch9wavefront6targetE1EEEvT1_,comdat
.Lfunc_end2826:
	.size	_ZN7rocprim17ROCPRIM_400000_NS6detail17trampoline_kernelINS0_14default_configENS1_20scan_config_selectorIiEEZZNS1_9scan_implILNS1_25lookback_scan_determinismE0ELb1ELb1ES3_N6thrust23THRUST_200600_302600_NS6detail15normal_iteratorINS9_10device_ptrIiEEEESE_i11max_functorIiEiEEDaPvRmT3_T4_T5_mT6_P12ihipStream_tbENKUlT_T0_E_clISt17integral_constantIbLb1EEST_IbLb0EEEEDaSP_SQ_EUlSP_E0_NS1_11comp_targetILNS1_3genE9ELNS1_11target_archE1100ELNS1_3gpuE3ELNS1_3repE0EEENS1_30default_config_static_selectorELNS0_4arch9wavefront6targetE1EEEvT1_, .Lfunc_end2826-_ZN7rocprim17ROCPRIM_400000_NS6detail17trampoline_kernelINS0_14default_configENS1_20scan_config_selectorIiEEZZNS1_9scan_implILNS1_25lookback_scan_determinismE0ELb1ELb1ES3_N6thrust23THRUST_200600_302600_NS6detail15normal_iteratorINS9_10device_ptrIiEEEESE_i11max_functorIiEiEEDaPvRmT3_T4_T5_mT6_P12ihipStream_tbENKUlT_T0_E_clISt17integral_constantIbLb1EEST_IbLb0EEEEDaSP_SQ_EUlSP_E0_NS1_11comp_targetILNS1_3genE9ELNS1_11target_archE1100ELNS1_3gpuE3ELNS1_3repE0EEENS1_30default_config_static_selectorELNS0_4arch9wavefront6targetE1EEEvT1_
                                        ; -- End function
	.section	.AMDGPU.csdata,"",@progbits
; Kernel info:
; codeLenInByte = 0
; NumSgprs: 4
; NumVgprs: 0
; NumAgprs: 0
; TotalNumVgprs: 0
; ScratchSize: 0
; MemoryBound: 0
; FloatMode: 240
; IeeeMode: 1
; LDSByteSize: 0 bytes/workgroup (compile time only)
; SGPRBlocks: 0
; VGPRBlocks: 0
; NumSGPRsForWavesPerEU: 4
; NumVGPRsForWavesPerEU: 1
; AccumOffset: 4
; Occupancy: 8
; WaveLimiterHint : 0
; COMPUTE_PGM_RSRC2:SCRATCH_EN: 0
; COMPUTE_PGM_RSRC2:USER_SGPR: 6
; COMPUTE_PGM_RSRC2:TRAP_HANDLER: 0
; COMPUTE_PGM_RSRC2:TGID_X_EN: 1
; COMPUTE_PGM_RSRC2:TGID_Y_EN: 0
; COMPUTE_PGM_RSRC2:TGID_Z_EN: 0
; COMPUTE_PGM_RSRC2:TIDIG_COMP_CNT: 0
; COMPUTE_PGM_RSRC3_GFX90A:ACCUM_OFFSET: 0
; COMPUTE_PGM_RSRC3_GFX90A:TG_SPLIT: 0
	.section	.text._ZN7rocprim17ROCPRIM_400000_NS6detail17trampoline_kernelINS0_14default_configENS1_20scan_config_selectorIiEEZZNS1_9scan_implILNS1_25lookback_scan_determinismE0ELb1ELb1ES3_N6thrust23THRUST_200600_302600_NS6detail15normal_iteratorINS9_10device_ptrIiEEEESE_i11max_functorIiEiEEDaPvRmT3_T4_T5_mT6_P12ihipStream_tbENKUlT_T0_E_clISt17integral_constantIbLb1EEST_IbLb0EEEEDaSP_SQ_EUlSP_E0_NS1_11comp_targetILNS1_3genE8ELNS1_11target_archE1030ELNS1_3gpuE2ELNS1_3repE0EEENS1_30default_config_static_selectorELNS0_4arch9wavefront6targetE1EEEvT1_,"axG",@progbits,_ZN7rocprim17ROCPRIM_400000_NS6detail17trampoline_kernelINS0_14default_configENS1_20scan_config_selectorIiEEZZNS1_9scan_implILNS1_25lookback_scan_determinismE0ELb1ELb1ES3_N6thrust23THRUST_200600_302600_NS6detail15normal_iteratorINS9_10device_ptrIiEEEESE_i11max_functorIiEiEEDaPvRmT3_T4_T5_mT6_P12ihipStream_tbENKUlT_T0_E_clISt17integral_constantIbLb1EEST_IbLb0EEEEDaSP_SQ_EUlSP_E0_NS1_11comp_targetILNS1_3genE8ELNS1_11target_archE1030ELNS1_3gpuE2ELNS1_3repE0EEENS1_30default_config_static_selectorELNS0_4arch9wavefront6targetE1EEEvT1_,comdat
	.protected	_ZN7rocprim17ROCPRIM_400000_NS6detail17trampoline_kernelINS0_14default_configENS1_20scan_config_selectorIiEEZZNS1_9scan_implILNS1_25lookback_scan_determinismE0ELb1ELb1ES3_N6thrust23THRUST_200600_302600_NS6detail15normal_iteratorINS9_10device_ptrIiEEEESE_i11max_functorIiEiEEDaPvRmT3_T4_T5_mT6_P12ihipStream_tbENKUlT_T0_E_clISt17integral_constantIbLb1EEST_IbLb0EEEEDaSP_SQ_EUlSP_E0_NS1_11comp_targetILNS1_3genE8ELNS1_11target_archE1030ELNS1_3gpuE2ELNS1_3repE0EEENS1_30default_config_static_selectorELNS0_4arch9wavefront6targetE1EEEvT1_ ; -- Begin function _ZN7rocprim17ROCPRIM_400000_NS6detail17trampoline_kernelINS0_14default_configENS1_20scan_config_selectorIiEEZZNS1_9scan_implILNS1_25lookback_scan_determinismE0ELb1ELb1ES3_N6thrust23THRUST_200600_302600_NS6detail15normal_iteratorINS9_10device_ptrIiEEEESE_i11max_functorIiEiEEDaPvRmT3_T4_T5_mT6_P12ihipStream_tbENKUlT_T0_E_clISt17integral_constantIbLb1EEST_IbLb0EEEEDaSP_SQ_EUlSP_E0_NS1_11comp_targetILNS1_3genE8ELNS1_11target_archE1030ELNS1_3gpuE2ELNS1_3repE0EEENS1_30default_config_static_selectorELNS0_4arch9wavefront6targetE1EEEvT1_
	.globl	_ZN7rocprim17ROCPRIM_400000_NS6detail17trampoline_kernelINS0_14default_configENS1_20scan_config_selectorIiEEZZNS1_9scan_implILNS1_25lookback_scan_determinismE0ELb1ELb1ES3_N6thrust23THRUST_200600_302600_NS6detail15normal_iteratorINS9_10device_ptrIiEEEESE_i11max_functorIiEiEEDaPvRmT3_T4_T5_mT6_P12ihipStream_tbENKUlT_T0_E_clISt17integral_constantIbLb1EEST_IbLb0EEEEDaSP_SQ_EUlSP_E0_NS1_11comp_targetILNS1_3genE8ELNS1_11target_archE1030ELNS1_3gpuE2ELNS1_3repE0EEENS1_30default_config_static_selectorELNS0_4arch9wavefront6targetE1EEEvT1_
	.p2align	8
	.type	_ZN7rocprim17ROCPRIM_400000_NS6detail17trampoline_kernelINS0_14default_configENS1_20scan_config_selectorIiEEZZNS1_9scan_implILNS1_25lookback_scan_determinismE0ELb1ELb1ES3_N6thrust23THRUST_200600_302600_NS6detail15normal_iteratorINS9_10device_ptrIiEEEESE_i11max_functorIiEiEEDaPvRmT3_T4_T5_mT6_P12ihipStream_tbENKUlT_T0_E_clISt17integral_constantIbLb1EEST_IbLb0EEEEDaSP_SQ_EUlSP_E0_NS1_11comp_targetILNS1_3genE8ELNS1_11target_archE1030ELNS1_3gpuE2ELNS1_3repE0EEENS1_30default_config_static_selectorELNS0_4arch9wavefront6targetE1EEEvT1_,@function
_ZN7rocprim17ROCPRIM_400000_NS6detail17trampoline_kernelINS0_14default_configENS1_20scan_config_selectorIiEEZZNS1_9scan_implILNS1_25lookback_scan_determinismE0ELb1ELb1ES3_N6thrust23THRUST_200600_302600_NS6detail15normal_iteratorINS9_10device_ptrIiEEEESE_i11max_functorIiEiEEDaPvRmT3_T4_T5_mT6_P12ihipStream_tbENKUlT_T0_E_clISt17integral_constantIbLb1EEST_IbLb0EEEEDaSP_SQ_EUlSP_E0_NS1_11comp_targetILNS1_3genE8ELNS1_11target_archE1030ELNS1_3gpuE2ELNS1_3repE0EEENS1_30default_config_static_selectorELNS0_4arch9wavefront6targetE1EEEvT1_: ; @_ZN7rocprim17ROCPRIM_400000_NS6detail17trampoline_kernelINS0_14default_configENS1_20scan_config_selectorIiEEZZNS1_9scan_implILNS1_25lookback_scan_determinismE0ELb1ELb1ES3_N6thrust23THRUST_200600_302600_NS6detail15normal_iteratorINS9_10device_ptrIiEEEESE_i11max_functorIiEiEEDaPvRmT3_T4_T5_mT6_P12ihipStream_tbENKUlT_T0_E_clISt17integral_constantIbLb1EEST_IbLb0EEEEDaSP_SQ_EUlSP_E0_NS1_11comp_targetILNS1_3genE8ELNS1_11target_archE1030ELNS1_3gpuE2ELNS1_3repE0EEENS1_30default_config_static_selectorELNS0_4arch9wavefront6targetE1EEEvT1_
; %bb.0:
	.section	.rodata,"a",@progbits
	.p2align	6, 0x0
	.amdhsa_kernel _ZN7rocprim17ROCPRIM_400000_NS6detail17trampoline_kernelINS0_14default_configENS1_20scan_config_selectorIiEEZZNS1_9scan_implILNS1_25lookback_scan_determinismE0ELb1ELb1ES3_N6thrust23THRUST_200600_302600_NS6detail15normal_iteratorINS9_10device_ptrIiEEEESE_i11max_functorIiEiEEDaPvRmT3_T4_T5_mT6_P12ihipStream_tbENKUlT_T0_E_clISt17integral_constantIbLb1EEST_IbLb0EEEEDaSP_SQ_EUlSP_E0_NS1_11comp_targetILNS1_3genE8ELNS1_11target_archE1030ELNS1_3gpuE2ELNS1_3repE0EEENS1_30default_config_static_selectorELNS0_4arch9wavefront6targetE1EEEvT1_
		.amdhsa_group_segment_fixed_size 0
		.amdhsa_private_segment_fixed_size 0
		.amdhsa_kernarg_size 32
		.amdhsa_user_sgpr_count 6
		.amdhsa_user_sgpr_private_segment_buffer 1
		.amdhsa_user_sgpr_dispatch_ptr 0
		.amdhsa_user_sgpr_queue_ptr 0
		.amdhsa_user_sgpr_kernarg_segment_ptr 1
		.amdhsa_user_sgpr_dispatch_id 0
		.amdhsa_user_sgpr_flat_scratch_init 0
		.amdhsa_user_sgpr_kernarg_preload_length 0
		.amdhsa_user_sgpr_kernarg_preload_offset 0
		.amdhsa_user_sgpr_private_segment_size 0
		.amdhsa_uses_dynamic_stack 0
		.amdhsa_system_sgpr_private_segment_wavefront_offset 0
		.amdhsa_system_sgpr_workgroup_id_x 1
		.amdhsa_system_sgpr_workgroup_id_y 0
		.amdhsa_system_sgpr_workgroup_id_z 0
		.amdhsa_system_sgpr_workgroup_info 0
		.amdhsa_system_vgpr_workitem_id 0
		.amdhsa_next_free_vgpr 1
		.amdhsa_next_free_sgpr 0
		.amdhsa_accum_offset 4
		.amdhsa_reserve_vcc 0
		.amdhsa_reserve_flat_scratch 0
		.amdhsa_float_round_mode_32 0
		.amdhsa_float_round_mode_16_64 0
		.amdhsa_float_denorm_mode_32 3
		.amdhsa_float_denorm_mode_16_64 3
		.amdhsa_dx10_clamp 1
		.amdhsa_ieee_mode 1
		.amdhsa_fp16_overflow 0
		.amdhsa_tg_split 0
		.amdhsa_exception_fp_ieee_invalid_op 0
		.amdhsa_exception_fp_denorm_src 0
		.amdhsa_exception_fp_ieee_div_zero 0
		.amdhsa_exception_fp_ieee_overflow 0
		.amdhsa_exception_fp_ieee_underflow 0
		.amdhsa_exception_fp_ieee_inexact 0
		.amdhsa_exception_int_div_zero 0
	.end_amdhsa_kernel
	.section	.text._ZN7rocprim17ROCPRIM_400000_NS6detail17trampoline_kernelINS0_14default_configENS1_20scan_config_selectorIiEEZZNS1_9scan_implILNS1_25lookback_scan_determinismE0ELb1ELb1ES3_N6thrust23THRUST_200600_302600_NS6detail15normal_iteratorINS9_10device_ptrIiEEEESE_i11max_functorIiEiEEDaPvRmT3_T4_T5_mT6_P12ihipStream_tbENKUlT_T0_E_clISt17integral_constantIbLb1EEST_IbLb0EEEEDaSP_SQ_EUlSP_E0_NS1_11comp_targetILNS1_3genE8ELNS1_11target_archE1030ELNS1_3gpuE2ELNS1_3repE0EEENS1_30default_config_static_selectorELNS0_4arch9wavefront6targetE1EEEvT1_,"axG",@progbits,_ZN7rocprim17ROCPRIM_400000_NS6detail17trampoline_kernelINS0_14default_configENS1_20scan_config_selectorIiEEZZNS1_9scan_implILNS1_25lookback_scan_determinismE0ELb1ELb1ES3_N6thrust23THRUST_200600_302600_NS6detail15normal_iteratorINS9_10device_ptrIiEEEESE_i11max_functorIiEiEEDaPvRmT3_T4_T5_mT6_P12ihipStream_tbENKUlT_T0_E_clISt17integral_constantIbLb1EEST_IbLb0EEEEDaSP_SQ_EUlSP_E0_NS1_11comp_targetILNS1_3genE8ELNS1_11target_archE1030ELNS1_3gpuE2ELNS1_3repE0EEENS1_30default_config_static_selectorELNS0_4arch9wavefront6targetE1EEEvT1_,comdat
.Lfunc_end2827:
	.size	_ZN7rocprim17ROCPRIM_400000_NS6detail17trampoline_kernelINS0_14default_configENS1_20scan_config_selectorIiEEZZNS1_9scan_implILNS1_25lookback_scan_determinismE0ELb1ELb1ES3_N6thrust23THRUST_200600_302600_NS6detail15normal_iteratorINS9_10device_ptrIiEEEESE_i11max_functorIiEiEEDaPvRmT3_T4_T5_mT6_P12ihipStream_tbENKUlT_T0_E_clISt17integral_constantIbLb1EEST_IbLb0EEEEDaSP_SQ_EUlSP_E0_NS1_11comp_targetILNS1_3genE8ELNS1_11target_archE1030ELNS1_3gpuE2ELNS1_3repE0EEENS1_30default_config_static_selectorELNS0_4arch9wavefront6targetE1EEEvT1_, .Lfunc_end2827-_ZN7rocprim17ROCPRIM_400000_NS6detail17trampoline_kernelINS0_14default_configENS1_20scan_config_selectorIiEEZZNS1_9scan_implILNS1_25lookback_scan_determinismE0ELb1ELb1ES3_N6thrust23THRUST_200600_302600_NS6detail15normal_iteratorINS9_10device_ptrIiEEEESE_i11max_functorIiEiEEDaPvRmT3_T4_T5_mT6_P12ihipStream_tbENKUlT_T0_E_clISt17integral_constantIbLb1EEST_IbLb0EEEEDaSP_SQ_EUlSP_E0_NS1_11comp_targetILNS1_3genE8ELNS1_11target_archE1030ELNS1_3gpuE2ELNS1_3repE0EEENS1_30default_config_static_selectorELNS0_4arch9wavefront6targetE1EEEvT1_
                                        ; -- End function
	.section	.AMDGPU.csdata,"",@progbits
; Kernel info:
; codeLenInByte = 0
; NumSgprs: 4
; NumVgprs: 0
; NumAgprs: 0
; TotalNumVgprs: 0
; ScratchSize: 0
; MemoryBound: 0
; FloatMode: 240
; IeeeMode: 1
; LDSByteSize: 0 bytes/workgroup (compile time only)
; SGPRBlocks: 0
; VGPRBlocks: 0
; NumSGPRsForWavesPerEU: 4
; NumVGPRsForWavesPerEU: 1
; AccumOffset: 4
; Occupancy: 8
; WaveLimiterHint : 0
; COMPUTE_PGM_RSRC2:SCRATCH_EN: 0
; COMPUTE_PGM_RSRC2:USER_SGPR: 6
; COMPUTE_PGM_RSRC2:TRAP_HANDLER: 0
; COMPUTE_PGM_RSRC2:TGID_X_EN: 1
; COMPUTE_PGM_RSRC2:TGID_Y_EN: 0
; COMPUTE_PGM_RSRC2:TGID_Z_EN: 0
; COMPUTE_PGM_RSRC2:TIDIG_COMP_CNT: 0
; COMPUTE_PGM_RSRC3_GFX90A:ACCUM_OFFSET: 0
; COMPUTE_PGM_RSRC3_GFX90A:TG_SPLIT: 0
	.section	.text._ZN7rocprim17ROCPRIM_400000_NS6detail17trampoline_kernelINS0_14default_configENS1_20scan_config_selectorIiEEZZNS1_9scan_implILNS1_25lookback_scan_determinismE0ELb1ELb1ES3_N6thrust23THRUST_200600_302600_NS6detail15normal_iteratorINS9_10device_ptrIiEEEESE_i11max_functorIiEiEEDaPvRmT3_T4_T5_mT6_P12ihipStream_tbENKUlT_T0_E_clISt17integral_constantIbLb0EEST_IbLb1EEEEDaSP_SQ_EUlSP_E_NS1_11comp_targetILNS1_3genE0ELNS1_11target_archE4294967295ELNS1_3gpuE0ELNS1_3repE0EEENS1_30default_config_static_selectorELNS0_4arch9wavefront6targetE1EEEvT1_,"axG",@progbits,_ZN7rocprim17ROCPRIM_400000_NS6detail17trampoline_kernelINS0_14default_configENS1_20scan_config_selectorIiEEZZNS1_9scan_implILNS1_25lookback_scan_determinismE0ELb1ELb1ES3_N6thrust23THRUST_200600_302600_NS6detail15normal_iteratorINS9_10device_ptrIiEEEESE_i11max_functorIiEiEEDaPvRmT3_T4_T5_mT6_P12ihipStream_tbENKUlT_T0_E_clISt17integral_constantIbLb0EEST_IbLb1EEEEDaSP_SQ_EUlSP_E_NS1_11comp_targetILNS1_3genE0ELNS1_11target_archE4294967295ELNS1_3gpuE0ELNS1_3repE0EEENS1_30default_config_static_selectorELNS0_4arch9wavefront6targetE1EEEvT1_,comdat
	.protected	_ZN7rocprim17ROCPRIM_400000_NS6detail17trampoline_kernelINS0_14default_configENS1_20scan_config_selectorIiEEZZNS1_9scan_implILNS1_25lookback_scan_determinismE0ELb1ELb1ES3_N6thrust23THRUST_200600_302600_NS6detail15normal_iteratorINS9_10device_ptrIiEEEESE_i11max_functorIiEiEEDaPvRmT3_T4_T5_mT6_P12ihipStream_tbENKUlT_T0_E_clISt17integral_constantIbLb0EEST_IbLb1EEEEDaSP_SQ_EUlSP_E_NS1_11comp_targetILNS1_3genE0ELNS1_11target_archE4294967295ELNS1_3gpuE0ELNS1_3repE0EEENS1_30default_config_static_selectorELNS0_4arch9wavefront6targetE1EEEvT1_ ; -- Begin function _ZN7rocprim17ROCPRIM_400000_NS6detail17trampoline_kernelINS0_14default_configENS1_20scan_config_selectorIiEEZZNS1_9scan_implILNS1_25lookback_scan_determinismE0ELb1ELb1ES3_N6thrust23THRUST_200600_302600_NS6detail15normal_iteratorINS9_10device_ptrIiEEEESE_i11max_functorIiEiEEDaPvRmT3_T4_T5_mT6_P12ihipStream_tbENKUlT_T0_E_clISt17integral_constantIbLb0EEST_IbLb1EEEEDaSP_SQ_EUlSP_E_NS1_11comp_targetILNS1_3genE0ELNS1_11target_archE4294967295ELNS1_3gpuE0ELNS1_3repE0EEENS1_30default_config_static_selectorELNS0_4arch9wavefront6targetE1EEEvT1_
	.globl	_ZN7rocprim17ROCPRIM_400000_NS6detail17trampoline_kernelINS0_14default_configENS1_20scan_config_selectorIiEEZZNS1_9scan_implILNS1_25lookback_scan_determinismE0ELb1ELb1ES3_N6thrust23THRUST_200600_302600_NS6detail15normal_iteratorINS9_10device_ptrIiEEEESE_i11max_functorIiEiEEDaPvRmT3_T4_T5_mT6_P12ihipStream_tbENKUlT_T0_E_clISt17integral_constantIbLb0EEST_IbLb1EEEEDaSP_SQ_EUlSP_E_NS1_11comp_targetILNS1_3genE0ELNS1_11target_archE4294967295ELNS1_3gpuE0ELNS1_3repE0EEENS1_30default_config_static_selectorELNS0_4arch9wavefront6targetE1EEEvT1_
	.p2align	8
	.type	_ZN7rocprim17ROCPRIM_400000_NS6detail17trampoline_kernelINS0_14default_configENS1_20scan_config_selectorIiEEZZNS1_9scan_implILNS1_25lookback_scan_determinismE0ELb1ELb1ES3_N6thrust23THRUST_200600_302600_NS6detail15normal_iteratorINS9_10device_ptrIiEEEESE_i11max_functorIiEiEEDaPvRmT3_T4_T5_mT6_P12ihipStream_tbENKUlT_T0_E_clISt17integral_constantIbLb0EEST_IbLb1EEEEDaSP_SQ_EUlSP_E_NS1_11comp_targetILNS1_3genE0ELNS1_11target_archE4294967295ELNS1_3gpuE0ELNS1_3repE0EEENS1_30default_config_static_selectorELNS0_4arch9wavefront6targetE1EEEvT1_,@function
_ZN7rocprim17ROCPRIM_400000_NS6detail17trampoline_kernelINS0_14default_configENS1_20scan_config_selectorIiEEZZNS1_9scan_implILNS1_25lookback_scan_determinismE0ELb1ELb1ES3_N6thrust23THRUST_200600_302600_NS6detail15normal_iteratorINS9_10device_ptrIiEEEESE_i11max_functorIiEiEEDaPvRmT3_T4_T5_mT6_P12ihipStream_tbENKUlT_T0_E_clISt17integral_constantIbLb0EEST_IbLb1EEEEDaSP_SQ_EUlSP_E_NS1_11comp_targetILNS1_3genE0ELNS1_11target_archE4294967295ELNS1_3gpuE0ELNS1_3repE0EEENS1_30default_config_static_selectorELNS0_4arch9wavefront6targetE1EEEvT1_: ; @_ZN7rocprim17ROCPRIM_400000_NS6detail17trampoline_kernelINS0_14default_configENS1_20scan_config_selectorIiEEZZNS1_9scan_implILNS1_25lookback_scan_determinismE0ELb1ELb1ES3_N6thrust23THRUST_200600_302600_NS6detail15normal_iteratorINS9_10device_ptrIiEEEESE_i11max_functorIiEiEEDaPvRmT3_T4_T5_mT6_P12ihipStream_tbENKUlT_T0_E_clISt17integral_constantIbLb0EEST_IbLb1EEEEDaSP_SQ_EUlSP_E_NS1_11comp_targetILNS1_3genE0ELNS1_11target_archE4294967295ELNS1_3gpuE0ELNS1_3repE0EEENS1_30default_config_static_selectorELNS0_4arch9wavefront6targetE1EEEvT1_
; %bb.0:
	.section	.rodata,"a",@progbits
	.p2align	6, 0x0
	.amdhsa_kernel _ZN7rocprim17ROCPRIM_400000_NS6detail17trampoline_kernelINS0_14default_configENS1_20scan_config_selectorIiEEZZNS1_9scan_implILNS1_25lookback_scan_determinismE0ELb1ELb1ES3_N6thrust23THRUST_200600_302600_NS6detail15normal_iteratorINS9_10device_ptrIiEEEESE_i11max_functorIiEiEEDaPvRmT3_T4_T5_mT6_P12ihipStream_tbENKUlT_T0_E_clISt17integral_constantIbLb0EEST_IbLb1EEEEDaSP_SQ_EUlSP_E_NS1_11comp_targetILNS1_3genE0ELNS1_11target_archE4294967295ELNS1_3gpuE0ELNS1_3repE0EEENS1_30default_config_static_selectorELNS0_4arch9wavefront6targetE1EEEvT1_
		.amdhsa_group_segment_fixed_size 0
		.amdhsa_private_segment_fixed_size 0
		.amdhsa_kernarg_size 96
		.amdhsa_user_sgpr_count 6
		.amdhsa_user_sgpr_private_segment_buffer 1
		.amdhsa_user_sgpr_dispatch_ptr 0
		.amdhsa_user_sgpr_queue_ptr 0
		.amdhsa_user_sgpr_kernarg_segment_ptr 1
		.amdhsa_user_sgpr_dispatch_id 0
		.amdhsa_user_sgpr_flat_scratch_init 0
		.amdhsa_user_sgpr_kernarg_preload_length 0
		.amdhsa_user_sgpr_kernarg_preload_offset 0
		.amdhsa_user_sgpr_private_segment_size 0
		.amdhsa_uses_dynamic_stack 0
		.amdhsa_system_sgpr_private_segment_wavefront_offset 0
		.amdhsa_system_sgpr_workgroup_id_x 1
		.amdhsa_system_sgpr_workgroup_id_y 0
		.amdhsa_system_sgpr_workgroup_id_z 0
		.amdhsa_system_sgpr_workgroup_info 0
		.amdhsa_system_vgpr_workitem_id 0
		.amdhsa_next_free_vgpr 1
		.amdhsa_next_free_sgpr 0
		.amdhsa_accum_offset 4
		.amdhsa_reserve_vcc 0
		.amdhsa_reserve_flat_scratch 0
		.amdhsa_float_round_mode_32 0
		.amdhsa_float_round_mode_16_64 0
		.amdhsa_float_denorm_mode_32 3
		.amdhsa_float_denorm_mode_16_64 3
		.amdhsa_dx10_clamp 1
		.amdhsa_ieee_mode 1
		.amdhsa_fp16_overflow 0
		.amdhsa_tg_split 0
		.amdhsa_exception_fp_ieee_invalid_op 0
		.amdhsa_exception_fp_denorm_src 0
		.amdhsa_exception_fp_ieee_div_zero 0
		.amdhsa_exception_fp_ieee_overflow 0
		.amdhsa_exception_fp_ieee_underflow 0
		.amdhsa_exception_fp_ieee_inexact 0
		.amdhsa_exception_int_div_zero 0
	.end_amdhsa_kernel
	.section	.text._ZN7rocprim17ROCPRIM_400000_NS6detail17trampoline_kernelINS0_14default_configENS1_20scan_config_selectorIiEEZZNS1_9scan_implILNS1_25lookback_scan_determinismE0ELb1ELb1ES3_N6thrust23THRUST_200600_302600_NS6detail15normal_iteratorINS9_10device_ptrIiEEEESE_i11max_functorIiEiEEDaPvRmT3_T4_T5_mT6_P12ihipStream_tbENKUlT_T0_E_clISt17integral_constantIbLb0EEST_IbLb1EEEEDaSP_SQ_EUlSP_E_NS1_11comp_targetILNS1_3genE0ELNS1_11target_archE4294967295ELNS1_3gpuE0ELNS1_3repE0EEENS1_30default_config_static_selectorELNS0_4arch9wavefront6targetE1EEEvT1_,"axG",@progbits,_ZN7rocprim17ROCPRIM_400000_NS6detail17trampoline_kernelINS0_14default_configENS1_20scan_config_selectorIiEEZZNS1_9scan_implILNS1_25lookback_scan_determinismE0ELb1ELb1ES3_N6thrust23THRUST_200600_302600_NS6detail15normal_iteratorINS9_10device_ptrIiEEEESE_i11max_functorIiEiEEDaPvRmT3_T4_T5_mT6_P12ihipStream_tbENKUlT_T0_E_clISt17integral_constantIbLb0EEST_IbLb1EEEEDaSP_SQ_EUlSP_E_NS1_11comp_targetILNS1_3genE0ELNS1_11target_archE4294967295ELNS1_3gpuE0ELNS1_3repE0EEENS1_30default_config_static_selectorELNS0_4arch9wavefront6targetE1EEEvT1_,comdat
.Lfunc_end2828:
	.size	_ZN7rocprim17ROCPRIM_400000_NS6detail17trampoline_kernelINS0_14default_configENS1_20scan_config_selectorIiEEZZNS1_9scan_implILNS1_25lookback_scan_determinismE0ELb1ELb1ES3_N6thrust23THRUST_200600_302600_NS6detail15normal_iteratorINS9_10device_ptrIiEEEESE_i11max_functorIiEiEEDaPvRmT3_T4_T5_mT6_P12ihipStream_tbENKUlT_T0_E_clISt17integral_constantIbLb0EEST_IbLb1EEEEDaSP_SQ_EUlSP_E_NS1_11comp_targetILNS1_3genE0ELNS1_11target_archE4294967295ELNS1_3gpuE0ELNS1_3repE0EEENS1_30default_config_static_selectorELNS0_4arch9wavefront6targetE1EEEvT1_, .Lfunc_end2828-_ZN7rocprim17ROCPRIM_400000_NS6detail17trampoline_kernelINS0_14default_configENS1_20scan_config_selectorIiEEZZNS1_9scan_implILNS1_25lookback_scan_determinismE0ELb1ELb1ES3_N6thrust23THRUST_200600_302600_NS6detail15normal_iteratorINS9_10device_ptrIiEEEESE_i11max_functorIiEiEEDaPvRmT3_T4_T5_mT6_P12ihipStream_tbENKUlT_T0_E_clISt17integral_constantIbLb0EEST_IbLb1EEEEDaSP_SQ_EUlSP_E_NS1_11comp_targetILNS1_3genE0ELNS1_11target_archE4294967295ELNS1_3gpuE0ELNS1_3repE0EEENS1_30default_config_static_selectorELNS0_4arch9wavefront6targetE1EEEvT1_
                                        ; -- End function
	.section	.AMDGPU.csdata,"",@progbits
; Kernel info:
; codeLenInByte = 0
; NumSgprs: 4
; NumVgprs: 0
; NumAgprs: 0
; TotalNumVgprs: 0
; ScratchSize: 0
; MemoryBound: 0
; FloatMode: 240
; IeeeMode: 1
; LDSByteSize: 0 bytes/workgroup (compile time only)
; SGPRBlocks: 0
; VGPRBlocks: 0
; NumSGPRsForWavesPerEU: 4
; NumVGPRsForWavesPerEU: 1
; AccumOffset: 4
; Occupancy: 8
; WaveLimiterHint : 0
; COMPUTE_PGM_RSRC2:SCRATCH_EN: 0
; COMPUTE_PGM_RSRC2:USER_SGPR: 6
; COMPUTE_PGM_RSRC2:TRAP_HANDLER: 0
; COMPUTE_PGM_RSRC2:TGID_X_EN: 1
; COMPUTE_PGM_RSRC2:TGID_Y_EN: 0
; COMPUTE_PGM_RSRC2:TGID_Z_EN: 0
; COMPUTE_PGM_RSRC2:TIDIG_COMP_CNT: 0
; COMPUTE_PGM_RSRC3_GFX90A:ACCUM_OFFSET: 0
; COMPUTE_PGM_RSRC3_GFX90A:TG_SPLIT: 0
	.section	.text._ZN7rocprim17ROCPRIM_400000_NS6detail17trampoline_kernelINS0_14default_configENS1_20scan_config_selectorIiEEZZNS1_9scan_implILNS1_25lookback_scan_determinismE0ELb1ELb1ES3_N6thrust23THRUST_200600_302600_NS6detail15normal_iteratorINS9_10device_ptrIiEEEESE_i11max_functorIiEiEEDaPvRmT3_T4_T5_mT6_P12ihipStream_tbENKUlT_T0_E_clISt17integral_constantIbLb0EEST_IbLb1EEEEDaSP_SQ_EUlSP_E_NS1_11comp_targetILNS1_3genE5ELNS1_11target_archE942ELNS1_3gpuE9ELNS1_3repE0EEENS1_30default_config_static_selectorELNS0_4arch9wavefront6targetE1EEEvT1_,"axG",@progbits,_ZN7rocprim17ROCPRIM_400000_NS6detail17trampoline_kernelINS0_14default_configENS1_20scan_config_selectorIiEEZZNS1_9scan_implILNS1_25lookback_scan_determinismE0ELb1ELb1ES3_N6thrust23THRUST_200600_302600_NS6detail15normal_iteratorINS9_10device_ptrIiEEEESE_i11max_functorIiEiEEDaPvRmT3_T4_T5_mT6_P12ihipStream_tbENKUlT_T0_E_clISt17integral_constantIbLb0EEST_IbLb1EEEEDaSP_SQ_EUlSP_E_NS1_11comp_targetILNS1_3genE5ELNS1_11target_archE942ELNS1_3gpuE9ELNS1_3repE0EEENS1_30default_config_static_selectorELNS0_4arch9wavefront6targetE1EEEvT1_,comdat
	.protected	_ZN7rocprim17ROCPRIM_400000_NS6detail17trampoline_kernelINS0_14default_configENS1_20scan_config_selectorIiEEZZNS1_9scan_implILNS1_25lookback_scan_determinismE0ELb1ELb1ES3_N6thrust23THRUST_200600_302600_NS6detail15normal_iteratorINS9_10device_ptrIiEEEESE_i11max_functorIiEiEEDaPvRmT3_T4_T5_mT6_P12ihipStream_tbENKUlT_T0_E_clISt17integral_constantIbLb0EEST_IbLb1EEEEDaSP_SQ_EUlSP_E_NS1_11comp_targetILNS1_3genE5ELNS1_11target_archE942ELNS1_3gpuE9ELNS1_3repE0EEENS1_30default_config_static_selectorELNS0_4arch9wavefront6targetE1EEEvT1_ ; -- Begin function _ZN7rocprim17ROCPRIM_400000_NS6detail17trampoline_kernelINS0_14default_configENS1_20scan_config_selectorIiEEZZNS1_9scan_implILNS1_25lookback_scan_determinismE0ELb1ELb1ES3_N6thrust23THRUST_200600_302600_NS6detail15normal_iteratorINS9_10device_ptrIiEEEESE_i11max_functorIiEiEEDaPvRmT3_T4_T5_mT6_P12ihipStream_tbENKUlT_T0_E_clISt17integral_constantIbLb0EEST_IbLb1EEEEDaSP_SQ_EUlSP_E_NS1_11comp_targetILNS1_3genE5ELNS1_11target_archE942ELNS1_3gpuE9ELNS1_3repE0EEENS1_30default_config_static_selectorELNS0_4arch9wavefront6targetE1EEEvT1_
	.globl	_ZN7rocprim17ROCPRIM_400000_NS6detail17trampoline_kernelINS0_14default_configENS1_20scan_config_selectorIiEEZZNS1_9scan_implILNS1_25lookback_scan_determinismE0ELb1ELb1ES3_N6thrust23THRUST_200600_302600_NS6detail15normal_iteratorINS9_10device_ptrIiEEEESE_i11max_functorIiEiEEDaPvRmT3_T4_T5_mT6_P12ihipStream_tbENKUlT_T0_E_clISt17integral_constantIbLb0EEST_IbLb1EEEEDaSP_SQ_EUlSP_E_NS1_11comp_targetILNS1_3genE5ELNS1_11target_archE942ELNS1_3gpuE9ELNS1_3repE0EEENS1_30default_config_static_selectorELNS0_4arch9wavefront6targetE1EEEvT1_
	.p2align	8
	.type	_ZN7rocprim17ROCPRIM_400000_NS6detail17trampoline_kernelINS0_14default_configENS1_20scan_config_selectorIiEEZZNS1_9scan_implILNS1_25lookback_scan_determinismE0ELb1ELb1ES3_N6thrust23THRUST_200600_302600_NS6detail15normal_iteratorINS9_10device_ptrIiEEEESE_i11max_functorIiEiEEDaPvRmT3_T4_T5_mT6_P12ihipStream_tbENKUlT_T0_E_clISt17integral_constantIbLb0EEST_IbLb1EEEEDaSP_SQ_EUlSP_E_NS1_11comp_targetILNS1_3genE5ELNS1_11target_archE942ELNS1_3gpuE9ELNS1_3repE0EEENS1_30default_config_static_selectorELNS0_4arch9wavefront6targetE1EEEvT1_,@function
_ZN7rocprim17ROCPRIM_400000_NS6detail17trampoline_kernelINS0_14default_configENS1_20scan_config_selectorIiEEZZNS1_9scan_implILNS1_25lookback_scan_determinismE0ELb1ELb1ES3_N6thrust23THRUST_200600_302600_NS6detail15normal_iteratorINS9_10device_ptrIiEEEESE_i11max_functorIiEiEEDaPvRmT3_T4_T5_mT6_P12ihipStream_tbENKUlT_T0_E_clISt17integral_constantIbLb0EEST_IbLb1EEEEDaSP_SQ_EUlSP_E_NS1_11comp_targetILNS1_3genE5ELNS1_11target_archE942ELNS1_3gpuE9ELNS1_3repE0EEENS1_30default_config_static_selectorELNS0_4arch9wavefront6targetE1EEEvT1_: ; @_ZN7rocprim17ROCPRIM_400000_NS6detail17trampoline_kernelINS0_14default_configENS1_20scan_config_selectorIiEEZZNS1_9scan_implILNS1_25lookback_scan_determinismE0ELb1ELb1ES3_N6thrust23THRUST_200600_302600_NS6detail15normal_iteratorINS9_10device_ptrIiEEEESE_i11max_functorIiEiEEDaPvRmT3_T4_T5_mT6_P12ihipStream_tbENKUlT_T0_E_clISt17integral_constantIbLb0EEST_IbLb1EEEEDaSP_SQ_EUlSP_E_NS1_11comp_targetILNS1_3genE5ELNS1_11target_archE942ELNS1_3gpuE9ELNS1_3repE0EEENS1_30default_config_static_selectorELNS0_4arch9wavefront6targetE1EEEvT1_
; %bb.0:
	.section	.rodata,"a",@progbits
	.p2align	6, 0x0
	.amdhsa_kernel _ZN7rocprim17ROCPRIM_400000_NS6detail17trampoline_kernelINS0_14default_configENS1_20scan_config_selectorIiEEZZNS1_9scan_implILNS1_25lookback_scan_determinismE0ELb1ELb1ES3_N6thrust23THRUST_200600_302600_NS6detail15normal_iteratorINS9_10device_ptrIiEEEESE_i11max_functorIiEiEEDaPvRmT3_T4_T5_mT6_P12ihipStream_tbENKUlT_T0_E_clISt17integral_constantIbLb0EEST_IbLb1EEEEDaSP_SQ_EUlSP_E_NS1_11comp_targetILNS1_3genE5ELNS1_11target_archE942ELNS1_3gpuE9ELNS1_3repE0EEENS1_30default_config_static_selectorELNS0_4arch9wavefront6targetE1EEEvT1_
		.amdhsa_group_segment_fixed_size 0
		.amdhsa_private_segment_fixed_size 0
		.amdhsa_kernarg_size 96
		.amdhsa_user_sgpr_count 6
		.amdhsa_user_sgpr_private_segment_buffer 1
		.amdhsa_user_sgpr_dispatch_ptr 0
		.amdhsa_user_sgpr_queue_ptr 0
		.amdhsa_user_sgpr_kernarg_segment_ptr 1
		.amdhsa_user_sgpr_dispatch_id 0
		.amdhsa_user_sgpr_flat_scratch_init 0
		.amdhsa_user_sgpr_kernarg_preload_length 0
		.amdhsa_user_sgpr_kernarg_preload_offset 0
		.amdhsa_user_sgpr_private_segment_size 0
		.amdhsa_uses_dynamic_stack 0
		.amdhsa_system_sgpr_private_segment_wavefront_offset 0
		.amdhsa_system_sgpr_workgroup_id_x 1
		.amdhsa_system_sgpr_workgroup_id_y 0
		.amdhsa_system_sgpr_workgroup_id_z 0
		.amdhsa_system_sgpr_workgroup_info 0
		.amdhsa_system_vgpr_workitem_id 0
		.amdhsa_next_free_vgpr 1
		.amdhsa_next_free_sgpr 0
		.amdhsa_accum_offset 4
		.amdhsa_reserve_vcc 0
		.amdhsa_reserve_flat_scratch 0
		.amdhsa_float_round_mode_32 0
		.amdhsa_float_round_mode_16_64 0
		.amdhsa_float_denorm_mode_32 3
		.amdhsa_float_denorm_mode_16_64 3
		.amdhsa_dx10_clamp 1
		.amdhsa_ieee_mode 1
		.amdhsa_fp16_overflow 0
		.amdhsa_tg_split 0
		.amdhsa_exception_fp_ieee_invalid_op 0
		.amdhsa_exception_fp_denorm_src 0
		.amdhsa_exception_fp_ieee_div_zero 0
		.amdhsa_exception_fp_ieee_overflow 0
		.amdhsa_exception_fp_ieee_underflow 0
		.amdhsa_exception_fp_ieee_inexact 0
		.amdhsa_exception_int_div_zero 0
	.end_amdhsa_kernel
	.section	.text._ZN7rocprim17ROCPRIM_400000_NS6detail17trampoline_kernelINS0_14default_configENS1_20scan_config_selectorIiEEZZNS1_9scan_implILNS1_25lookback_scan_determinismE0ELb1ELb1ES3_N6thrust23THRUST_200600_302600_NS6detail15normal_iteratorINS9_10device_ptrIiEEEESE_i11max_functorIiEiEEDaPvRmT3_T4_T5_mT6_P12ihipStream_tbENKUlT_T0_E_clISt17integral_constantIbLb0EEST_IbLb1EEEEDaSP_SQ_EUlSP_E_NS1_11comp_targetILNS1_3genE5ELNS1_11target_archE942ELNS1_3gpuE9ELNS1_3repE0EEENS1_30default_config_static_selectorELNS0_4arch9wavefront6targetE1EEEvT1_,"axG",@progbits,_ZN7rocprim17ROCPRIM_400000_NS6detail17trampoline_kernelINS0_14default_configENS1_20scan_config_selectorIiEEZZNS1_9scan_implILNS1_25lookback_scan_determinismE0ELb1ELb1ES3_N6thrust23THRUST_200600_302600_NS6detail15normal_iteratorINS9_10device_ptrIiEEEESE_i11max_functorIiEiEEDaPvRmT3_T4_T5_mT6_P12ihipStream_tbENKUlT_T0_E_clISt17integral_constantIbLb0EEST_IbLb1EEEEDaSP_SQ_EUlSP_E_NS1_11comp_targetILNS1_3genE5ELNS1_11target_archE942ELNS1_3gpuE9ELNS1_3repE0EEENS1_30default_config_static_selectorELNS0_4arch9wavefront6targetE1EEEvT1_,comdat
.Lfunc_end2829:
	.size	_ZN7rocprim17ROCPRIM_400000_NS6detail17trampoline_kernelINS0_14default_configENS1_20scan_config_selectorIiEEZZNS1_9scan_implILNS1_25lookback_scan_determinismE0ELb1ELb1ES3_N6thrust23THRUST_200600_302600_NS6detail15normal_iteratorINS9_10device_ptrIiEEEESE_i11max_functorIiEiEEDaPvRmT3_T4_T5_mT6_P12ihipStream_tbENKUlT_T0_E_clISt17integral_constantIbLb0EEST_IbLb1EEEEDaSP_SQ_EUlSP_E_NS1_11comp_targetILNS1_3genE5ELNS1_11target_archE942ELNS1_3gpuE9ELNS1_3repE0EEENS1_30default_config_static_selectorELNS0_4arch9wavefront6targetE1EEEvT1_, .Lfunc_end2829-_ZN7rocprim17ROCPRIM_400000_NS6detail17trampoline_kernelINS0_14default_configENS1_20scan_config_selectorIiEEZZNS1_9scan_implILNS1_25lookback_scan_determinismE0ELb1ELb1ES3_N6thrust23THRUST_200600_302600_NS6detail15normal_iteratorINS9_10device_ptrIiEEEESE_i11max_functorIiEiEEDaPvRmT3_T4_T5_mT6_P12ihipStream_tbENKUlT_T0_E_clISt17integral_constantIbLb0EEST_IbLb1EEEEDaSP_SQ_EUlSP_E_NS1_11comp_targetILNS1_3genE5ELNS1_11target_archE942ELNS1_3gpuE9ELNS1_3repE0EEENS1_30default_config_static_selectorELNS0_4arch9wavefront6targetE1EEEvT1_
                                        ; -- End function
	.section	.AMDGPU.csdata,"",@progbits
; Kernel info:
; codeLenInByte = 0
; NumSgprs: 4
; NumVgprs: 0
; NumAgprs: 0
; TotalNumVgprs: 0
; ScratchSize: 0
; MemoryBound: 0
; FloatMode: 240
; IeeeMode: 1
; LDSByteSize: 0 bytes/workgroup (compile time only)
; SGPRBlocks: 0
; VGPRBlocks: 0
; NumSGPRsForWavesPerEU: 4
; NumVGPRsForWavesPerEU: 1
; AccumOffset: 4
; Occupancy: 8
; WaveLimiterHint : 0
; COMPUTE_PGM_RSRC2:SCRATCH_EN: 0
; COMPUTE_PGM_RSRC2:USER_SGPR: 6
; COMPUTE_PGM_RSRC2:TRAP_HANDLER: 0
; COMPUTE_PGM_RSRC2:TGID_X_EN: 1
; COMPUTE_PGM_RSRC2:TGID_Y_EN: 0
; COMPUTE_PGM_RSRC2:TGID_Z_EN: 0
; COMPUTE_PGM_RSRC2:TIDIG_COMP_CNT: 0
; COMPUTE_PGM_RSRC3_GFX90A:ACCUM_OFFSET: 0
; COMPUTE_PGM_RSRC3_GFX90A:TG_SPLIT: 0
	.section	.text._ZN7rocprim17ROCPRIM_400000_NS6detail17trampoline_kernelINS0_14default_configENS1_20scan_config_selectorIiEEZZNS1_9scan_implILNS1_25lookback_scan_determinismE0ELb1ELb1ES3_N6thrust23THRUST_200600_302600_NS6detail15normal_iteratorINS9_10device_ptrIiEEEESE_i11max_functorIiEiEEDaPvRmT3_T4_T5_mT6_P12ihipStream_tbENKUlT_T0_E_clISt17integral_constantIbLb0EEST_IbLb1EEEEDaSP_SQ_EUlSP_E_NS1_11comp_targetILNS1_3genE4ELNS1_11target_archE910ELNS1_3gpuE8ELNS1_3repE0EEENS1_30default_config_static_selectorELNS0_4arch9wavefront6targetE1EEEvT1_,"axG",@progbits,_ZN7rocprim17ROCPRIM_400000_NS6detail17trampoline_kernelINS0_14default_configENS1_20scan_config_selectorIiEEZZNS1_9scan_implILNS1_25lookback_scan_determinismE0ELb1ELb1ES3_N6thrust23THRUST_200600_302600_NS6detail15normal_iteratorINS9_10device_ptrIiEEEESE_i11max_functorIiEiEEDaPvRmT3_T4_T5_mT6_P12ihipStream_tbENKUlT_T0_E_clISt17integral_constantIbLb0EEST_IbLb1EEEEDaSP_SQ_EUlSP_E_NS1_11comp_targetILNS1_3genE4ELNS1_11target_archE910ELNS1_3gpuE8ELNS1_3repE0EEENS1_30default_config_static_selectorELNS0_4arch9wavefront6targetE1EEEvT1_,comdat
	.protected	_ZN7rocprim17ROCPRIM_400000_NS6detail17trampoline_kernelINS0_14default_configENS1_20scan_config_selectorIiEEZZNS1_9scan_implILNS1_25lookback_scan_determinismE0ELb1ELb1ES3_N6thrust23THRUST_200600_302600_NS6detail15normal_iteratorINS9_10device_ptrIiEEEESE_i11max_functorIiEiEEDaPvRmT3_T4_T5_mT6_P12ihipStream_tbENKUlT_T0_E_clISt17integral_constantIbLb0EEST_IbLb1EEEEDaSP_SQ_EUlSP_E_NS1_11comp_targetILNS1_3genE4ELNS1_11target_archE910ELNS1_3gpuE8ELNS1_3repE0EEENS1_30default_config_static_selectorELNS0_4arch9wavefront6targetE1EEEvT1_ ; -- Begin function _ZN7rocprim17ROCPRIM_400000_NS6detail17trampoline_kernelINS0_14default_configENS1_20scan_config_selectorIiEEZZNS1_9scan_implILNS1_25lookback_scan_determinismE0ELb1ELb1ES3_N6thrust23THRUST_200600_302600_NS6detail15normal_iteratorINS9_10device_ptrIiEEEESE_i11max_functorIiEiEEDaPvRmT3_T4_T5_mT6_P12ihipStream_tbENKUlT_T0_E_clISt17integral_constantIbLb0EEST_IbLb1EEEEDaSP_SQ_EUlSP_E_NS1_11comp_targetILNS1_3genE4ELNS1_11target_archE910ELNS1_3gpuE8ELNS1_3repE0EEENS1_30default_config_static_selectorELNS0_4arch9wavefront6targetE1EEEvT1_
	.globl	_ZN7rocprim17ROCPRIM_400000_NS6detail17trampoline_kernelINS0_14default_configENS1_20scan_config_selectorIiEEZZNS1_9scan_implILNS1_25lookback_scan_determinismE0ELb1ELb1ES3_N6thrust23THRUST_200600_302600_NS6detail15normal_iteratorINS9_10device_ptrIiEEEESE_i11max_functorIiEiEEDaPvRmT3_T4_T5_mT6_P12ihipStream_tbENKUlT_T0_E_clISt17integral_constantIbLb0EEST_IbLb1EEEEDaSP_SQ_EUlSP_E_NS1_11comp_targetILNS1_3genE4ELNS1_11target_archE910ELNS1_3gpuE8ELNS1_3repE0EEENS1_30default_config_static_selectorELNS0_4arch9wavefront6targetE1EEEvT1_
	.p2align	8
	.type	_ZN7rocprim17ROCPRIM_400000_NS6detail17trampoline_kernelINS0_14default_configENS1_20scan_config_selectorIiEEZZNS1_9scan_implILNS1_25lookback_scan_determinismE0ELb1ELb1ES3_N6thrust23THRUST_200600_302600_NS6detail15normal_iteratorINS9_10device_ptrIiEEEESE_i11max_functorIiEiEEDaPvRmT3_T4_T5_mT6_P12ihipStream_tbENKUlT_T0_E_clISt17integral_constantIbLb0EEST_IbLb1EEEEDaSP_SQ_EUlSP_E_NS1_11comp_targetILNS1_3genE4ELNS1_11target_archE910ELNS1_3gpuE8ELNS1_3repE0EEENS1_30default_config_static_selectorELNS0_4arch9wavefront6targetE1EEEvT1_,@function
_ZN7rocprim17ROCPRIM_400000_NS6detail17trampoline_kernelINS0_14default_configENS1_20scan_config_selectorIiEEZZNS1_9scan_implILNS1_25lookback_scan_determinismE0ELb1ELb1ES3_N6thrust23THRUST_200600_302600_NS6detail15normal_iteratorINS9_10device_ptrIiEEEESE_i11max_functorIiEiEEDaPvRmT3_T4_T5_mT6_P12ihipStream_tbENKUlT_T0_E_clISt17integral_constantIbLb0EEST_IbLb1EEEEDaSP_SQ_EUlSP_E_NS1_11comp_targetILNS1_3genE4ELNS1_11target_archE910ELNS1_3gpuE8ELNS1_3repE0EEENS1_30default_config_static_selectorELNS0_4arch9wavefront6targetE1EEEvT1_: ; @_ZN7rocprim17ROCPRIM_400000_NS6detail17trampoline_kernelINS0_14default_configENS1_20scan_config_selectorIiEEZZNS1_9scan_implILNS1_25lookback_scan_determinismE0ELb1ELb1ES3_N6thrust23THRUST_200600_302600_NS6detail15normal_iteratorINS9_10device_ptrIiEEEESE_i11max_functorIiEiEEDaPvRmT3_T4_T5_mT6_P12ihipStream_tbENKUlT_T0_E_clISt17integral_constantIbLb0EEST_IbLb1EEEEDaSP_SQ_EUlSP_E_NS1_11comp_targetILNS1_3genE4ELNS1_11target_archE910ELNS1_3gpuE8ELNS1_3repE0EEENS1_30default_config_static_selectorELNS0_4arch9wavefront6targetE1EEEvT1_
; %bb.0:
	s_load_dword s33, s[4:5], 0x20
	s_load_dwordx2 s[6:7], s[4:5], 0x28
	v_cmp_ne_u32_e64 s[2:3], 0, v0
	v_cmp_eq_u32_e64 s[0:1], 0, v0
	s_and_saveexec_b64 s[8:9], s[0:1]
	s_cbranch_execz .LBB2830_4
; %bb.1:
	s_mov_b64 s[12:13], exec
	v_mbcnt_lo_u32_b32 v1, s12, 0
	v_mbcnt_hi_u32_b32 v1, s13, v1
	v_cmp_eq_u32_e32 vcc, 0, v1
                                        ; implicit-def: $vgpr2
	s_and_saveexec_b64 s[10:11], vcc
	s_cbranch_execz .LBB2830_3
; %bb.2:
	s_load_dwordx2 s[14:15], s[4:5], 0x58
	s_bcnt1_i32_b64 s12, s[12:13]
	v_mov_b32_e32 v2, 0
	v_mov_b32_e32 v3, s12
	s_waitcnt lgkmcnt(0)
	global_atomic_add v2, v2, v3, s[14:15] glc
.LBB2830_3:
	s_or_b64 exec, exec, s[10:11]
	s_waitcnt vmcnt(0)
	v_readfirstlane_b32 s10, v2
	v_add_u32_e32 v1, s10, v1
	v_mov_b32_e32 v2, 0
	ds_write_b32 v2, v1
.LBB2830_4:
	s_or_b64 exec, exec, s[8:9]
	s_load_dwordx8 s[16:23], s[4:5], 0x0
	s_load_dword s24, s[4:5], 0x30
	s_load_dwordx8 s[8:15], s[4:5], 0x38
	v_mov_b32_e32 v1, 0
	s_waitcnt lgkmcnt(0)
	s_barrier
	ds_read_b32 v1, v1
	s_lshl_b64 s[18:19], s[18:19], 2
	s_add_u32 s34, s16, s18
	s_addc_u32 s35, s17, s19
	s_add_i32 s16, s24, -1
	s_mul_i32 s17, s16, 0x500
	s_sub_u32 s30, s22, s17
	s_waitcnt lgkmcnt(0)
	v_readfirstlane_b32 s36, v1
	s_subb_u32 s31, s23, 0
	s_mul_i32 s4, s36, 0x500
	s_mov_b32 s5, 0
	s_cmp_lg_u32 s36, s16
	s_cselect_b64 s[16:17], -1, 0
	s_lshl_b64 s[22:23], s[4:5], 2
	s_add_u32 s24, s34, s22
	s_addc_u32 s25, s35, s23
	s_mov_b64 s[4:5], -1
	s_and_b64 vcc, exec, s[16:17]
	v_lshlrev_b32_e32 v22, 2, v0
	s_barrier
	s_cbranch_vccz .LBB2830_6
; %bb.5:
	v_mov_b32_e32 v1, s25
	v_add_co_u32_e32 v2, vcc, s24, v22
	v_addc_co_u32_e32 v3, vcc, 0, v1, vcc
	flat_load_dword v1, v[2:3]
	flat_load_dword v4, v[2:3] offset:512
	flat_load_dword v5, v[2:3] offset:1024
	flat_load_dword v6, v[2:3] offset:1536
	flat_load_dword v7, v[2:3] offset:2048
	flat_load_dword v8, v[2:3] offset:2560
	flat_load_dword v9, v[2:3] offset:3072
	flat_load_dword v10, v[2:3] offset:3584
	v_add_co_u32_e32 v2, vcc, 0x1000, v2
	v_addc_co_u32_e32 v3, vcc, 0, v3, vcc
	flat_load_dword v11, v[2:3]
	flat_load_dword v12, v[2:3] offset:512
	s_mov_b64 s[4:5], 0
	s_waitcnt vmcnt(0) lgkmcnt(0)
	ds_write2st64_b32 v22, v1, v4 offset1:2
	ds_write2st64_b32 v22, v5, v6 offset0:4 offset1:6
	ds_write2st64_b32 v22, v7, v8 offset0:8 offset1:10
	;; [unrolled: 1-line block ×4, first 2 shown]
	s_waitcnt lgkmcnt(0)
	s_barrier
.LBB2830_6:
	s_andn2_b64 vcc, exec, s[4:5]
	v_cmp_gt_u32_e64 s[4:5], s30, v0
	s_cbranch_vccnz .LBB2830_28
; %bb.7:
	v_pk_mov_b32 v[2:3], s[24:25], s[24:25] op_sel:[0,1]
	flat_load_dword v1, v[2:3]
	s_waitcnt vmcnt(0) lgkmcnt(0)
	v_mov_b32_e32 v2, v1
	v_mov_b32_e32 v3, v1
	v_mov_b32_e32 v4, v1
	v_mov_b32_e32 v5, v1
	v_mov_b32_e32 v6, v1
	v_mov_b32_e32 v7, v1
	v_mov_b32_e32 v8, v1
	v_mov_b32_e32 v9, v1
	v_mov_b32_e32 v10, v1
	s_and_saveexec_b64 s[26:27], s[4:5]
	s_cbranch_execz .LBB2830_9
; %bb.8:
	v_mov_b32_e32 v11, s25
	v_add_co_u32_e32 v10, vcc, s24, v22
	v_addc_co_u32_e32 v11, vcc, 0, v11, vcc
	flat_load_dword v10, v[10:11]
.LBB2830_9:
	s_or_b64 exec, exec, s[26:27]
	v_or_b32_e32 v11, 0x80, v0
	v_cmp_gt_u32_e32 vcc, s30, v11
	s_and_saveexec_b64 s[4:5], vcc
	s_cbranch_execz .LBB2830_11
; %bb.10:
	v_mov_b32_e32 v1, s25
	v_add_co_u32_e32 v12, vcc, s24, v22
	v_addc_co_u32_e32 v13, vcc, 0, v1, vcc
	flat_load_dword v1, v[12:13] offset:512
.LBB2830_11:
	s_or_b64 exec, exec, s[4:5]
	v_or_b32_e32 v11, 0x100, v0
	v_cmp_gt_u32_e32 vcc, s30, v11
	s_and_saveexec_b64 s[4:5], vcc
	s_cbranch_execz .LBB2830_13
; %bb.12:
	v_mov_b32_e32 v2, s25
	v_add_co_u32_e32 v12, vcc, s24, v22
	v_addc_co_u32_e32 v13, vcc, 0, v2, vcc
	flat_load_dword v2, v[12:13] offset:1024
.LBB2830_13:
	;; [unrolled: 11-line block ×7, first 2 shown]
	s_or_b64 exec, exec, s[4:5]
	v_or_b32_e32 v11, 0x400, v0
	v_cmp_gt_u32_e32 vcc, s30, v11
	s_and_saveexec_b64 s[4:5], vcc
	s_cbranch_execz .LBB2830_25
; %bb.24:
	v_lshlrev_b32_e32 v8, 2, v11
	v_mov_b32_e32 v11, s25
	v_add_co_u32_e32 v12, vcc, s24, v8
	v_addc_co_u32_e32 v13, vcc, 0, v11, vcc
	flat_load_dword v8, v[12:13]
.LBB2830_25:
	s_or_b64 exec, exec, s[4:5]
	v_or_b32_e32 v11, 0x480, v0
	v_cmp_gt_u32_e32 vcc, s30, v11
	s_and_saveexec_b64 s[4:5], vcc
	s_cbranch_execz .LBB2830_27
; %bb.26:
	v_lshlrev_b32_e32 v9, 2, v11
	v_mov_b32_e32 v11, s25
	v_add_co_u32_e32 v12, vcc, s24, v9
	v_addc_co_u32_e32 v13, vcc, 0, v11, vcc
	flat_load_dword v9, v[12:13]
.LBB2830_27:
	s_or_b64 exec, exec, s[4:5]
	s_waitcnt vmcnt(0) lgkmcnt(0)
	ds_write2st64_b32 v22, v10, v1 offset1:2
	ds_write2st64_b32 v22, v2, v3 offset0:4 offset1:6
	ds_write2st64_b32 v22, v4, v5 offset0:8 offset1:10
	;; [unrolled: 1-line block ×4, first 2 shown]
	s_waitcnt lgkmcnt(0)
	s_barrier
.LBB2830_28:
	v_mul_u32_u24_e32 v23, 10, v0
	v_lshlrev_b32_e32 v24, 2, v23
	ds_read2_b64 v[16:19], v24 offset1:1
	ds_read2_b64 v[12:15], v24 offset0:2 offset1:3
	ds_read_b64 v[20:21], v24 offset:32
	s_cmp_lg_u32 s36, 0
	v_cmp_gt_u32_e32 vcc, 64, v0
	s_waitcnt lgkmcnt(2)
	v_max_i32_e32 v1, v16, v17
	v_max3_i32 v25, v1, v18, v19
	v_lshrrev_b32_e32 v1, 5, v0
	s_waitcnt lgkmcnt(0)
	s_barrier
	s_cbranch_scc0 .LBB2830_53
; %bb.29:
	v_max3_i32 v2, v25, v12, v13
	v_max3_i32 v2, v2, v14, v15
	v_max3_i32 v26, v2, v20, v21
	v_add_lshl_u32 v2, v1, v0, 2
	ds_write_b32 v2, v26
	s_waitcnt lgkmcnt(0)
	s_barrier
	s_and_saveexec_b64 s[24:25], vcc
	s_cbranch_execz .LBB2830_31
; %bb.30:
	v_lshlrev_b32_e32 v2, 1, v0
	v_lshrrev_b32_e32 v3, 4, v0
	v_add_lshl_u32 v4, v3, v2, 2
	ds_read2_b32 v[2:3], v4 offset1:1
	v_mbcnt_lo_u32_b32 v5, -1, 0
	v_mbcnt_hi_u32_b32 v5, -1, v5
	v_and_b32_e32 v6, 15, v5
	v_cmp_eq_u32_e64 s[4:5], 0, v6
	s_waitcnt lgkmcnt(0)
	v_max_i32_e32 v3, v2, v3
	; wave barrier
	s_nop 1
	v_mov_b32_dpp v7, v3 row_shr:1 row_mask:0xf bank_mask:0xf
	v_max_i32_e32 v7, v7, v3
	v_cndmask_b32_e64 v3, v7, v3, s[4:5]
	v_cmp_lt_u32_e64 s[4:5], 1, v6
	s_nop 0
	v_mov_b32_dpp v7, v3 row_shr:2 row_mask:0xf bank_mask:0xf
	v_max_i32_e32 v7, v7, v3
	v_cndmask_b32_e64 v3, v3, v7, s[4:5]
	v_cmp_lt_u32_e64 s[4:5], 3, v6
	;; [unrolled: 5-line block ×3, first 2 shown]
	s_nop 0
	v_mov_b32_dpp v7, v3 row_shr:8 row_mask:0xf bank_mask:0xf
	v_max_i32_e32 v7, v7, v3
	v_cndmask_b32_e64 v3, v3, v7, s[4:5]
	v_and_b32_e32 v7, 16, v5
	v_cmp_eq_u32_e64 s[4:5], 0, v7
	v_mov_b32_dpp v6, v3 row_bcast:15 row_mask:0xf bank_mask:0xf
	v_max_i32_e32 v6, v6, v3
	v_cndmask_b32_e64 v3, v6, v3, s[4:5]
	v_cmp_lt_u32_e64 s[4:5], 31, v5
	v_and_b32_e32 v7, 64, v5
	v_mov_b32_dpp v6, v3 row_bcast:31 row_mask:0xf bank_mask:0xf
	v_max_i32_e32 v6, v6, v3
	v_cndmask_b32_e64 v3, v3, v6, s[4:5]
	v_add_u32_e32 v6, -1, v5
	v_cmp_lt_i32_e64 s[4:5], v6, v7
	v_cndmask_b32_e64 v5, v6, v5, s[4:5]
	v_lshlrev_b32_e32 v5, 2, v5
	ds_bpermute_b32 v3, v5, v3
	s_waitcnt lgkmcnt(0)
	v_max_i32_e32 v2, v3, v2
	v_cndmask_b32_e64 v2, v2, v26, s[0:1]
	ds_write_b32 v4, v2
	; wave barrier
	ds_read_b32 v3, v4 offset:4
	s_waitcnt lgkmcnt(0)
	v_max_i32_e32 v2, v2, v3
	ds_write_b32 v4, v2 offset:4
.LBB2830_31:
	s_or_b64 exec, exec, s[24:25]
	s_waitcnt lgkmcnt(0)
	s_barrier
	s_and_saveexec_b64 s[4:5], s[2:3]
	s_cbranch_execz .LBB2830_33
; %bb.32:
	v_add_u32_e32 v2, -1, v0
	v_lshrrev_b32_e32 v3, 5, v2
	v_add_lshl_u32 v2, v3, v2, 2
	ds_read_b32 v26, v2
.LBB2830_33:
	s_or_b64 exec, exec, s[4:5]
	s_and_saveexec_b64 s[24:25], vcc
	s_cbranch_execz .LBB2830_52
; %bb.34:
	v_mov_b32_e32 v9, 0
	ds_read_b32 v2, v9 offset:520
	v_mbcnt_lo_u32_b32 v3, -1, 0
	v_mbcnt_hi_u32_b32 v5, -1, v3
	s_mov_b32 s29, 0
	v_cmp_eq_u32_e64 s[4:5], 0, v5
	s_and_saveexec_b64 s[26:27], s[4:5]
	s_cbranch_execz .LBB2830_36
; %bb.35:
	s_add_i32 s28, s36, 64
	s_lshl_b64 s[28:29], s[28:29], 3
	s_add_u32 s28, s6, s28
	v_mov_b32_e32 v3, 1
	s_addc_u32 s29, s7, s29
	s_waitcnt lgkmcnt(0)
	global_store_dwordx2 v9, v[2:3], s[28:29]
.LBB2830_36:
	s_or_b64 exec, exec, s[26:27]
	v_xad_u32 v4, v5, -1, s36
	v_add_u32_e32 v8, 64, v4
	v_lshlrev_b64 v[6:7], 3, v[8:9]
	v_mov_b32_e32 v3, s7
	v_add_co_u32_e32 v10, vcc, s6, v6
	v_addc_co_u32_e32 v11, vcc, v3, v7, vcc
	global_load_dwordx2 v[6:7], v[10:11], off glc
	s_waitcnt vmcnt(0)
	v_cmp_eq_u16_sdwa s[28:29], v7, v9 src0_sel:BYTE_0 src1_sel:DWORD
	s_and_saveexec_b64 s[26:27], s[28:29]
	s_cbranch_execz .LBB2830_40
; %bb.37:
	s_mov_b64 s[28:29], 0
	v_mov_b32_e32 v3, 0
.LBB2830_38:                            ; =>This Inner Loop Header: Depth=1
	global_load_dwordx2 v[6:7], v[10:11], off glc
	s_waitcnt vmcnt(0)
	v_cmp_ne_u16_sdwa s[38:39], v7, v3 src0_sel:BYTE_0 src1_sel:DWORD
	s_or_b64 s[28:29], s[38:39], s[28:29]
	s_andn2_b64 exec, exec, s[28:29]
	s_cbranch_execnz .LBB2830_38
; %bb.39:
	s_or_b64 exec, exec, s[28:29]
.LBB2830_40:
	s_or_b64 exec, exec, s[26:27]
	v_and_b32_e32 v27, 63, v5
	v_cmp_ne_u32_e32 vcc, 63, v27
	v_mov_b32_e32 v3, 2
	v_addc_co_u32_e32 v28, vcc, 0, v5, vcc
	v_cmp_eq_u16_sdwa s[26:27], v7, v3 src0_sel:BYTE_0 src1_sel:DWORD
	v_lshlrev_b64 v[8:9], v5, -1
	v_lshlrev_b32_e32 v28, 2, v28
	v_and_b32_e32 v10, s27, v9
	ds_bpermute_b32 v29, v28, v6
	v_or_b32_e32 v10, 0x80000000, v10
	v_and_b32_e32 v11, s26, v8
	v_ffbl_b32_e32 v10, v10
	v_add_u32_e32 v10, 32, v10
	v_ffbl_b32_e32 v11, v11
	v_min_u32_e32 v10, v11, v10
	s_waitcnt lgkmcnt(0)
	v_max_i32_e32 v11, v29, v6
	v_cmp_lt_u32_e32 vcc, v27, v10
	v_cndmask_b32_e32 v6, v6, v11, vcc
	v_cmp_gt_u32_e32 vcc, 62, v27
	v_cndmask_b32_e64 v11, 0, 1, vcc
	v_lshlrev_b32_e32 v11, 1, v11
	v_add_lshl_u32 v29, v11, v5, 2
	ds_bpermute_b32 v11, v29, v6
	v_add_u32_e32 v30, 2, v27
	v_cmp_gt_u32_e32 vcc, v30, v10
	v_add_u32_e32 v32, 4, v27
	v_add_u32_e32 v34, 8, v27
	s_waitcnt lgkmcnt(0)
	v_max_i32_e32 v11, v11, v6
	v_cndmask_b32_e32 v6, v11, v6, vcc
	v_cmp_gt_u32_e32 vcc, 60, v27
	v_cndmask_b32_e64 v11, 0, 1, vcc
	v_lshlrev_b32_e32 v11, 2, v11
	v_add_lshl_u32 v31, v11, v5, 2
	ds_bpermute_b32 v11, v31, v6
	v_cmp_gt_u32_e32 vcc, v32, v10
	v_add_u32_e32 v37, 16, v27
	v_add_u32_e32 v39, 32, v27
	s_waitcnt lgkmcnt(0)
	v_max_i32_e32 v11, v11, v6
	v_cndmask_b32_e32 v6, v11, v6, vcc
	v_cmp_gt_u32_e32 vcc, 56, v27
	v_cndmask_b32_e64 v11, 0, 1, vcc
	v_lshlrev_b32_e32 v11, 3, v11
	v_add_lshl_u32 v33, v11, v5, 2
	ds_bpermute_b32 v11, v33, v6
	v_cmp_gt_u32_e32 vcc, v34, v10
	s_waitcnt lgkmcnt(0)
	v_max_i32_e32 v11, v11, v6
	v_cndmask_b32_e32 v6, v11, v6, vcc
	v_cmp_gt_u32_e32 vcc, 48, v27
	v_cndmask_b32_e64 v11, 0, 1, vcc
	v_lshlrev_b32_e32 v11, 4, v11
	v_add_lshl_u32 v35, v11, v5, 2
	ds_bpermute_b32 v11, v35, v6
	v_cmp_gt_u32_e32 vcc, v37, v10
	;; [unrolled: 9-line block ×3, first 2 shown]
	s_waitcnt lgkmcnt(0)
	v_max_i32_e32 v5, v5, v6
	v_cndmask_b32_e32 v6, v5, v6, vcc
	v_mov_b32_e32 v5, 0
	s_branch .LBB2830_42
.LBB2830_41:                            ;   in Loop: Header=BB2830_42 Depth=1
	s_or_b64 exec, exec, s[26:27]
	v_cmp_eq_u16_sdwa s[26:27], v7, v3 src0_sel:BYTE_0 src1_sel:DWORD
	v_and_b32_e32 v10, s27, v9
	ds_bpermute_b32 v40, v28, v6
	v_or_b32_e32 v10, 0x80000000, v10
	v_and_b32_e32 v11, s26, v8
	v_ffbl_b32_e32 v10, v10
	v_add_u32_e32 v10, 32, v10
	v_ffbl_b32_e32 v11, v11
	v_min_u32_e32 v10, v11, v10
	s_waitcnt lgkmcnt(0)
	v_max_i32_e32 v11, v40, v6
	v_cmp_lt_u32_e32 vcc, v27, v10
	v_cndmask_b32_e32 v6, v6, v11, vcc
	ds_bpermute_b32 v11, v29, v6
	v_cmp_gt_u32_e32 vcc, v30, v10
	v_subrev_u32_e32 v4, 64, v4
	s_waitcnt lgkmcnt(0)
	v_max_i32_e32 v11, v11, v6
	v_cndmask_b32_e32 v6, v11, v6, vcc
	ds_bpermute_b32 v11, v31, v6
	v_cmp_gt_u32_e32 vcc, v32, v10
	s_waitcnt lgkmcnt(0)
	v_max_i32_e32 v11, v11, v6
	v_cndmask_b32_e32 v6, v11, v6, vcc
	ds_bpermute_b32 v11, v33, v6
	v_cmp_gt_u32_e32 vcc, v34, v10
	;; [unrolled: 5-line block ×4, first 2 shown]
	s_waitcnt lgkmcnt(0)
	v_max_i32_e32 v11, v11, v6
	v_cndmask_b32_e32 v6, v11, v6, vcc
	v_max_i32_e32 v6, v6, v36
.LBB2830_42:                            ; =>This Loop Header: Depth=1
                                        ;     Child Loop BB2830_45 Depth 2
	v_cmp_ne_u16_sdwa s[26:27], v7, v3 src0_sel:BYTE_0 src1_sel:DWORD
	v_cndmask_b32_e64 v7, 0, 1, s[26:27]
	;;#ASMSTART
	;;#ASMEND
	v_cmp_ne_u32_e32 vcc, 0, v7
	s_cmp_lg_u64 vcc, exec
	v_mov_b32_e32 v36, v6
	s_cbranch_scc1 .LBB2830_47
; %bb.43:                               ;   in Loop: Header=BB2830_42 Depth=1
	v_lshlrev_b64 v[6:7], 3, v[4:5]
	v_mov_b32_e32 v11, s7
	v_add_co_u32_e32 v10, vcc, s6, v6
	v_addc_co_u32_e32 v11, vcc, v11, v7, vcc
	global_load_dwordx2 v[6:7], v[10:11], off glc
	s_waitcnt vmcnt(0)
	v_cmp_eq_u16_sdwa s[28:29], v7, v5 src0_sel:BYTE_0 src1_sel:DWORD
	s_and_saveexec_b64 s[26:27], s[28:29]
	s_cbranch_execz .LBB2830_41
; %bb.44:                               ;   in Loop: Header=BB2830_42 Depth=1
	s_mov_b64 s[28:29], 0
.LBB2830_45:                            ;   Parent Loop BB2830_42 Depth=1
                                        ; =>  This Inner Loop Header: Depth=2
	global_load_dwordx2 v[6:7], v[10:11], off glc
	s_waitcnt vmcnt(0)
	v_cmp_ne_u16_sdwa s[38:39], v7, v5 src0_sel:BYTE_0 src1_sel:DWORD
	s_or_b64 s[28:29], s[38:39], s[28:29]
	s_andn2_b64 exec, exec, s[28:29]
	s_cbranch_execnz .LBB2830_45
; %bb.46:                               ;   in Loop: Header=BB2830_42 Depth=1
	s_or_b64 exec, exec, s[28:29]
	s_branch .LBB2830_41
.LBB2830_47:                            ;   in Loop: Header=BB2830_42 Depth=1
                                        ; implicit-def: $vgpr6
                                        ; implicit-def: $vgpr7
	s_cbranch_execz .LBB2830_42
; %bb.48:
	s_and_saveexec_b64 s[26:27], s[4:5]
	s_cbranch_execz .LBB2830_50
; %bb.49:
	s_add_i32 s4, s36, 64
	s_mov_b32 s5, 0
	s_lshl_b64 s[4:5], s[4:5], 3
	s_add_u32 s4, s6, s4
	v_max_i32_e32 v2, v36, v2
	v_mov_b32_e32 v3, 2
	s_addc_u32 s5, s7, s5
	v_mov_b32_e32 v4, 0
	global_store_dwordx2 v4, v[2:3], s[4:5]
.LBB2830_50:
	s_or_b64 exec, exec, s[26:27]
	s_and_b64 exec, exec, s[0:1]
	s_cbranch_execz .LBB2830_52
; %bb.51:
	v_mov_b32_e32 v2, 0
	ds_write_b32 v2, v36
.LBB2830_52:
	s_or_b64 exec, exec, s[24:25]
	v_mov_b32_e32 v2, 0
	s_waitcnt lgkmcnt(0)
	s_barrier
	ds_read_b32 v2, v2
	s_waitcnt lgkmcnt(0)
	v_max_i32_e32 v3, v2, v26
	v_cndmask_b32_e64 v2, v3, v2, s[0:1]
	v_max_i32_e32 v3, v2, v16
	v_max_i32_e32 v4, v3, v17
	;; [unrolled: 1-line block ×9, first 2 shown]
	s_branch .LBB2830_63
.LBB2830_53:
                                        ; implicit-def: $vgpr2_vgpr3_vgpr4_vgpr5_vgpr6_vgpr7_vgpr8_vgpr9_vgpr10_vgpr11
	s_cbranch_execz .LBB2830_63
; %bb.54:
	s_cmp_eq_u64 s[12:13], 0
	v_mov_b32_e32 v26, s33
	s_cbranch_scc1 .LBB2830_56
; %bb.55:
	v_mov_b32_e32 v2, 0
	global_load_dword v4, v2, s[8:9]
	v_mov_b32_e32 v3, s35
	v_add_co_u32_e64 v2, vcc, -4, s34
	v_addc_co_u32_e32 v3, vcc, -1, v3, vcc
	flat_load_dword v2, v[2:3]
	s_waitcnt vmcnt(0) lgkmcnt(0)
	v_max_i32_e32 v26, v4, v2
.LBB2830_56:
	v_max3_i32 v2, v25, v12, v13
	v_max3_i32 v2, v2, v14, v15
	;; [unrolled: 1-line block ×3, first 2 shown]
	v_add_lshl_u32 v1, v1, v0, 2
	v_cmp_gt_u32_e32 vcc, 64, v0
	ds_write_b32 v1, v2
	s_waitcnt lgkmcnt(0)
	s_barrier
	s_and_saveexec_b64 s[4:5], vcc
	s_cbranch_execz .LBB2830_58
; %bb.57:
	v_lshlrev_b32_e32 v1, 1, v0
	v_lshrrev_b32_e32 v3, 4, v0
	v_add_lshl_u32 v1, v3, v1, 2
	ds_read2_b32 v[4:5], v1 offset1:1
	v_mbcnt_lo_u32_b32 v3, -1, 0
	v_mbcnt_hi_u32_b32 v3, -1, v3
	v_and_b32_e32 v6, 15, v3
	v_cmp_eq_u32_e32 vcc, 0, v6
	s_waitcnt lgkmcnt(0)
	v_max_i32_e32 v5, v4, v5
	; wave barrier
	s_nop 1
	v_mov_b32_dpp v7, v5 row_shr:1 row_mask:0xf bank_mask:0xf
	v_max_i32_e32 v7, v7, v5
	v_cndmask_b32_e32 v5, v7, v5, vcc
	v_cmp_lt_u32_e32 vcc, 1, v6
	s_nop 0
	v_mov_b32_dpp v7, v5 row_shr:2 row_mask:0xf bank_mask:0xf
	v_max_i32_e32 v7, v7, v5
	v_cndmask_b32_e32 v5, v5, v7, vcc
	v_cmp_lt_u32_e32 vcc, 3, v6
	;; [unrolled: 5-line block ×3, first 2 shown]
	s_nop 0
	v_mov_b32_dpp v7, v5 row_shr:8 row_mask:0xf bank_mask:0xf
	v_max_i32_e32 v7, v7, v5
	v_cndmask_b32_e32 v5, v5, v7, vcc
	v_and_b32_e32 v7, 16, v3
	v_cmp_eq_u32_e32 vcc, 0, v7
	v_mov_b32_dpp v6, v5 row_bcast:15 row_mask:0xf bank_mask:0xf
	v_max_i32_e32 v6, v6, v5
	v_cndmask_b32_e32 v5, v6, v5, vcc
	v_cmp_lt_u32_e32 vcc, 31, v3
	v_and_b32_e32 v7, 64, v3
	v_mov_b32_dpp v6, v5 row_bcast:31 row_mask:0xf bank_mask:0xf
	v_max_i32_e32 v6, v6, v5
	v_cndmask_b32_e32 v5, v5, v6, vcc
	v_add_u32_e32 v6, -1, v3
	v_cmp_lt_i32_e32 vcc, v6, v7
	v_cndmask_b32_e32 v3, v6, v3, vcc
	v_lshlrev_b32_e32 v3, 2, v3
	ds_bpermute_b32 v3, v3, v5
	s_waitcnt lgkmcnt(0)
	v_max_i32_e32 v3, v3, v4
	v_cndmask_b32_e64 v2, v3, v2, s[0:1]
	ds_write_b32 v1, v2
	; wave barrier
	ds_read_b32 v3, v1 offset:4
	s_waitcnt lgkmcnt(0)
	v_max_i32_e32 v2, v2, v3
	ds_write_b32 v1, v2 offset:4
.LBB2830_58:
	s_or_b64 exec, exec, s[4:5]
	v_mov_b32_e32 v2, v26
	s_waitcnt lgkmcnt(0)
	s_barrier
	s_and_saveexec_b64 s[4:5], s[2:3]
	s_cbranch_execz .LBB2830_60
; %bb.59:
	v_add_u32_e32 v1, -1, v0
	v_lshrrev_b32_e32 v2, 5, v1
	v_add_lshl_u32 v1, v2, v1, 2
	ds_read_b32 v1, v1
	s_waitcnt lgkmcnt(0)
	v_max_i32_e32 v2, v26, v1
.LBB2830_60:
	s_or_b64 exec, exec, s[4:5]
	v_max_i32_e32 v3, v2, v16
	v_max_i32_e32 v4, v3, v17
	;; [unrolled: 1-line block ×9, first 2 shown]
	s_and_saveexec_b64 s[2:3], s[0:1]
	s_cbranch_execz .LBB2830_62
; %bb.61:
	v_mov_b32_e32 v1, 0
	ds_read_b32 v12, v1 offset:520
	v_mov_b32_e32 v13, 2
	s_waitcnt lgkmcnt(0)
	v_max_i32_e32 v12, v26, v12
	global_store_dwordx2 v1, v[12:13], s[6:7] offset:512
.LBB2830_62:
	s_or_b64 exec, exec, s[2:3]
.LBB2830_63:
	s_add_u32 s0, s20, s18
	s_addc_u32 s1, s21, s19
	s_add_u32 s2, s0, s22
	s_addc_u32 s3, s1, s23
	s_mov_b64 s[0:1], -1
	s_and_b64 vcc, exec, s[16:17]
	s_barrier
	s_cbranch_vccz .LBB2830_65
; %bb.64:
	ds_write2_b64 v24, v[2:3], v[4:5] offset1:1
	ds_write2_b64 v24, v[6:7], v[8:9] offset0:2 offset1:3
	ds_write_b64 v24, v[10:11] offset:32
	s_waitcnt lgkmcnt(0)
	s_barrier
	ds_read2st64_b32 v[12:13], v22 offset1:2
	ds_read2st64_b32 v[14:15], v22 offset0:4 offset1:6
	ds_read2st64_b32 v[16:17], v22 offset0:8 offset1:10
	;; [unrolled: 1-line block ×4, first 2 shown]
	v_mov_b32_e32 v1, s3
	v_add_co_u32_e32 v26, vcc, s2, v22
	v_addc_co_u32_e32 v27, vcc, 0, v1, vcc
	s_waitcnt lgkmcnt(4)
	flat_store_dword v[26:27], v12
	flat_store_dword v[26:27], v13 offset:512
	s_waitcnt lgkmcnt(0)
	flat_store_dword v[26:27], v14 offset:1024
	flat_store_dword v[26:27], v15 offset:1536
	;; [unrolled: 1-line block ×6, first 2 shown]
	v_add_co_u32_e32 v12, vcc, 0x1000, v26
	v_addc_co_u32_e32 v13, vcc, 0, v27, vcc
	flat_store_dword v[12:13], v20
	flat_store_dword v[12:13], v21 offset:512
	s_mov_b64 s[0:1], 0
.LBB2830_65:
	s_andn2_b64 vcc, exec, s[0:1]
	s_cbranch_vccnz .LBB2830_121
; %bb.66:
	s_movk_i32 s0, 0xffdc
	ds_write2_b64 v24, v[2:3], v[4:5] offset1:1
	ds_write2_b64 v24, v[6:7], v[8:9] offset0:2 offset1:3
	ds_write_b64 v24, v[10:11] offset:32
	v_mad_i32_i24 v10, v0, s0, v24
	s_waitcnt lgkmcnt(0)
	s_barrier
	ds_read2st64_b32 v[2:3], v10 offset1:2
	ds_read2st64_b32 v[6:7], v10 offset0:4 offset1:6
	ds_read2st64_b32 v[4:5], v10 offset0:8 offset1:10
	;; [unrolled: 1-line block ×4, first 2 shown]
	v_mov_b32_e32 v13, s3
	v_add_co_u32_e32 v12, vcc, s2, v22
	v_addc_co_u32_e32 v13, vcc, 0, v13, vcc
	v_mov_b32_e32 v1, 0
	v_cmp_gt_u32_e32 vcc, s30, v0
	s_and_saveexec_b64 s[0:1], vcc
	s_cbranch_execz .LBB2830_68
; %bb.67:
	s_waitcnt lgkmcnt(0)
	flat_store_dword v[12:13], v2
.LBB2830_68:
	s_or_b64 exec, exec, s[0:1]
	v_or_b32_e32 v14, 0x80, v0
	v_cmp_gt_u32_e32 vcc, s30, v14
	s_and_saveexec_b64 s[0:1], vcc
	s_cbranch_execz .LBB2830_70
; %bb.69:
	s_waitcnt lgkmcnt(0)
	flat_store_dword v[12:13], v3 offset:512
.LBB2830_70:
	s_or_b64 exec, exec, s[0:1]
	v_or_b32_e32 v14, 0x100, v0
	v_cmp_gt_u32_e32 vcc, s30, v14
	s_and_saveexec_b64 s[0:1], vcc
	s_cbranch_execz .LBB2830_72
; %bb.71:
	s_waitcnt lgkmcnt(0)
	flat_store_dword v[12:13], v6 offset:1024
.LBB2830_72:
	;; [unrolled: 9-line block ×7, first 2 shown]
	s_or_b64 exec, exec, s[0:1]
	v_or_b32_e32 v14, 0x400, v0
	v_cmp_gt_u32_e32 vcc, s30, v14
	s_and_saveexec_b64 s[0:1], vcc
	s_cbranch_execz .LBB2830_84
; %bb.83:
	v_add_co_u32_e32 v14, vcc, 0x1000, v12
	v_addc_co_u32_e32 v15, vcc, 0, v13, vcc
	s_waitcnt lgkmcnt(0)
	flat_store_dword v[14:15], v10
.LBB2830_84:
	s_or_b64 exec, exec, s[0:1]
	v_or_b32_e32 v14, 0x480, v0
	v_cmp_gt_u32_e32 vcc, s30, v14
	s_and_saveexec_b64 s[0:1], vcc
	s_cbranch_execz .LBB2830_86
; %bb.85:
	v_add_co_u32_e32 v12, vcc, 0x1000, v12
	v_addc_co_u32_e32 v13, vcc, 0, v13, vcc
	s_waitcnt lgkmcnt(0)
	flat_store_dword v[12:13], v11 offset:512
.LBB2830_86:
	s_or_b64 exec, exec, s[0:1]
	v_cmp_lt_u64_e64 s[0:1], s[14:15], 2
	s_and_b64 vcc, exec, s[0:1]
	s_cbranch_vccnz .LBB2830_121
; %bb.87:
	s_add_u32 s0, s30, -1
	s_addc_u32 s1, s31, -1
	s_add_u32 s2, 0, 0x99986000
	s_addc_u32 s3, 0, 0x59
	s_add_i32 s3, s3, 0x19999940
	s_mul_hi_u32 s7, s2, -10
	s_sub_i32 s7, s7, s2
	s_mul_i32 s8, s3, -10
	s_mul_i32 s4, s2, -10
	s_add_i32 s7, s7, s8
	s_mul_hi_u32 s5, s3, s4
	s_mul_i32 s6, s3, s4
	s_mul_i32 s9, s2, s7
	s_mul_hi_u32 s4, s2, s4
	s_mul_hi_u32 s8, s2, s7
	s_add_u32 s4, s4, s9
	s_addc_u32 s8, 0, s8
	s_add_u32 s4, s4, s6
	s_mul_hi_u32 s9, s3, s7
	s_addc_u32 s4, s8, s5
	s_addc_u32 s5, s9, 0
	s_mul_i32 s6, s3, s7
	s_add_u32 s4, s4, s6
	v_mov_b32_e32 v12, s4
	s_addc_u32 s5, 0, s5
	v_add_co_u32_e32 v12, vcc, s2, v12
	s_cmp_lg_u64 vcc, 0
	s_addc_u32 s2, s3, s5
	v_readfirstlane_b32 s5, v12
	s_mul_i32 s4, s0, s2
	s_mul_hi_u32 s6, s0, s5
	s_mul_hi_u32 s3, s0, s2
	s_add_u32 s4, s6, s4
	s_addc_u32 s3, 0, s3
	s_mul_hi_u32 s7, s1, s5
	s_mul_i32 s5, s1, s5
	s_add_u32 s4, s4, s5
	s_mul_hi_u32 s6, s1, s2
	s_addc_u32 s3, s3, s7
	s_addc_u32 s4, s6, 0
	s_mul_i32 s2, s1, s2
	s_add_u32 s2, s3, s2
	s_addc_u32 s3, 0, s4
	s_add_u32 s4, s2, 1
	s_addc_u32 s5, s3, 0
	s_add_u32 s6, s2, 2
	s_mul_i32 s8, s3, 10
	s_mul_hi_u32 s9, s2, 10
	s_addc_u32 s7, s3, 0
	s_add_i32 s9, s9, s8
	s_mul_i32 s8, s2, 10
	v_mov_b32_e32 v12, s8
	v_sub_co_u32_e32 v12, vcc, s0, v12
	s_cmp_lg_u64 vcc, 0
	s_subb_u32 s8, s1, s9
	v_subrev_co_u32_e32 v13, vcc, 10, v12
	s_cmp_lg_u64 vcc, 0
	s_subb_u32 s9, s8, 0
	v_readfirstlane_b32 s12, v13
	s_cmp_gt_u32 s12, 9
	s_cselect_b32 s12, -1, 0
	s_cmp_eq_u32 s9, 0
	s_cselect_b32 s9, s12, -1
	s_cmp_lg_u32 s9, 0
	s_cselect_b32 s4, s6, s4
	v_readfirstlane_b32 s6, v12
	s_cselect_b32 s5, s7, s5
	s_cmp_gt_u32 s6, 9
	s_cselect_b32 s6, -1, 0
	s_cmp_eq_u32 s8, 0
	s_cselect_b32 s6, s6, -1
	s_cmp_lg_u32 s6, 0
	s_cselect_b32 s3, s5, s3
	s_cselect_b32 s2, s4, s2
	v_cmp_eq_u64_e32 vcc, s[2:3], v[0:1]
	s_and_saveexec_b64 s[2:3], vcc
	s_cbranch_execz .LBB2830_121
; %bb.88:
	v_mul_hi_u32_u24_e32 v1, 10, v0
	v_mov_b32_e32 v12, s1
	v_sub_co_u32_e32 v0, vcc, s0, v23
	v_subb_co_u32_e32 v1, vcc, v12, v1, vcc
	v_cmp_lt_i64_e32 vcc, 4, v[0:1]
	s_and_saveexec_b64 s[0:1], vcc
	s_xor_b64 s[0:1], exec, s[0:1]
	s_cbranch_execz .LBB2830_106
; %bb.89:
	v_cmp_lt_i64_e32 vcc, 6, v[0:1]
	s_and_saveexec_b64 s[2:3], vcc
	s_xor_b64 s[2:3], exec, s[2:3]
	s_cbranch_execz .LBB2830_99
; %bb.90:
	v_cmp_lt_i64_e32 vcc, 7, v[0:1]
	s_and_saveexec_b64 s[4:5], vcc
	s_xor_b64 s[4:5], exec, s[4:5]
	s_cbranch_execz .LBB2830_96
; %bb.91:
	v_cmp_lt_i64_e32 vcc, 8, v[0:1]
	s_and_saveexec_b64 s[6:7], vcc
	s_xor_b64 s[6:7], exec, s[6:7]
	s_cbranch_execz .LBB2830_93
; %bb.92:
	v_mov_b32_e32 v0, 0
	s_waitcnt lgkmcnt(0)
	global_store_dword v0, v11, s[10:11]
                                        ; implicit-def: $vgpr10_vgpr11
.LBB2830_93:
	s_andn2_saveexec_b64 s[6:7], s[6:7]
	s_cbranch_execz .LBB2830_95
; %bb.94:
	v_mov_b32_e32 v0, 0
	s_waitcnt lgkmcnt(0)
	global_store_dword v0, v10, s[10:11]
.LBB2830_95:
	s_or_b64 exec, exec, s[6:7]
                                        ; implicit-def: $vgpr8_vgpr9
.LBB2830_96:
	s_andn2_saveexec_b64 s[4:5], s[4:5]
	s_cbranch_execz .LBB2830_98
; %bb.97:
	v_mov_b32_e32 v0, 0
	s_waitcnt lgkmcnt(0)
	global_store_dword v0, v9, s[10:11]
.LBB2830_98:
	s_or_b64 exec, exec, s[4:5]
                                        ; implicit-def: $vgpr4_vgpr5
                                        ; implicit-def: $vgpr0_vgpr1
                                        ; implicit-def: $vgpr8_vgpr9
.LBB2830_99:
	s_andn2_saveexec_b64 s[2:3], s[2:3]
	s_cbranch_execz .LBB2830_105
; %bb.100:
	v_cmp_lt_i64_e32 vcc, 5, v[0:1]
	s_and_saveexec_b64 s[4:5], vcc
	s_xor_b64 s[4:5], exec, s[4:5]
	s_cbranch_execz .LBB2830_102
; %bb.101:
	v_mov_b32_e32 v0, 0
	s_waitcnt lgkmcnt(0)
	global_store_dword v0, v8, s[10:11]
                                        ; implicit-def: $vgpr4_vgpr5
.LBB2830_102:
	s_andn2_saveexec_b64 s[4:5], s[4:5]
	s_cbranch_execz .LBB2830_104
; %bb.103:
	v_mov_b32_e32 v0, 0
	s_waitcnt lgkmcnt(0)
	global_store_dword v0, v5, s[10:11]
.LBB2830_104:
	s_or_b64 exec, exec, s[4:5]
.LBB2830_105:
	s_or_b64 exec, exec, s[2:3]
                                        ; implicit-def: $vgpr0_vgpr1
                                        ; implicit-def: $vgpr6_vgpr7
                                        ; implicit-def: $vgpr2_vgpr3
                                        ; implicit-def: $vgpr4_vgpr5
.LBB2830_106:
	s_andn2_saveexec_b64 s[0:1], s[0:1]
	s_cbranch_execz .LBB2830_121
; %bb.107:
	v_cmp_lt_i64_e32 vcc, 2, v[0:1]
	s_and_saveexec_b64 s[0:1], vcc
	s_xor_b64 s[0:1], exec, s[0:1]
	s_cbranch_execz .LBB2830_113
; %bb.108:
	v_cmp_lt_i64_e32 vcc, 3, v[0:1]
	s_and_saveexec_b64 s[2:3], vcc
	s_xor_b64 s[2:3], exec, s[2:3]
	s_cbranch_execz .LBB2830_110
; %bb.109:
	v_mov_b32_e32 v0, 0
	s_waitcnt lgkmcnt(0)
	global_store_dword v0, v4, s[10:11]
                                        ; implicit-def: $vgpr6_vgpr7
.LBB2830_110:
	s_andn2_saveexec_b64 s[2:3], s[2:3]
	s_cbranch_execz .LBB2830_112
; %bb.111:
	v_mov_b32_e32 v0, 0
	s_waitcnt lgkmcnt(0)
	global_store_dword v0, v7, s[10:11]
.LBB2830_112:
	s_or_b64 exec, exec, s[2:3]
                                        ; implicit-def: $vgpr0_vgpr1
                                        ; implicit-def: $vgpr6_vgpr7
                                        ; implicit-def: $vgpr2_vgpr3
.LBB2830_113:
	s_andn2_saveexec_b64 s[0:1], s[0:1]
	s_cbranch_execz .LBB2830_121
; %bb.114:
	v_cmp_lt_i64_e32 vcc, 1, v[0:1]
	s_and_saveexec_b64 s[0:1], vcc
	s_xor_b64 s[0:1], exec, s[0:1]
	s_cbranch_execz .LBB2830_116
; %bb.115:
	v_mov_b32_e32 v0, 0
	s_waitcnt lgkmcnt(0)
	global_store_dword v0, v6, s[10:11]
                                        ; implicit-def: $vgpr2_vgpr3
                                        ; implicit-def: $vgpr0_vgpr1
.LBB2830_116:
	s_andn2_saveexec_b64 s[0:1], s[0:1]
	s_cbranch_execz .LBB2830_121
; %bb.117:
	v_cmp_ne_u64_e32 vcc, 1, v[0:1]
	s_and_saveexec_b64 s[0:1], vcc
	s_xor_b64 s[0:1], exec, s[0:1]
	s_cbranch_execz .LBB2830_119
; %bb.118:
	v_mov_b32_e32 v0, 0
	s_waitcnt lgkmcnt(0)
	global_store_dword v0, v2, s[10:11]
                                        ; implicit-def: $vgpr2_vgpr3
.LBB2830_119:
	s_andn2_saveexec_b64 s[0:1], s[0:1]
	s_cbranch_execz .LBB2830_121
; %bb.120:
	v_mov_b32_e32 v0, 0
	s_waitcnt lgkmcnt(0)
	global_store_dword v0, v3, s[10:11]
.LBB2830_121:
	s_endpgm
	.section	.rodata,"a",@progbits
	.p2align	6, 0x0
	.amdhsa_kernel _ZN7rocprim17ROCPRIM_400000_NS6detail17trampoline_kernelINS0_14default_configENS1_20scan_config_selectorIiEEZZNS1_9scan_implILNS1_25lookback_scan_determinismE0ELb1ELb1ES3_N6thrust23THRUST_200600_302600_NS6detail15normal_iteratorINS9_10device_ptrIiEEEESE_i11max_functorIiEiEEDaPvRmT3_T4_T5_mT6_P12ihipStream_tbENKUlT_T0_E_clISt17integral_constantIbLb0EEST_IbLb1EEEEDaSP_SQ_EUlSP_E_NS1_11comp_targetILNS1_3genE4ELNS1_11target_archE910ELNS1_3gpuE8ELNS1_3repE0EEENS1_30default_config_static_selectorELNS0_4arch9wavefront6targetE1EEEvT1_
		.amdhsa_group_segment_fixed_size 5120
		.amdhsa_private_segment_fixed_size 0
		.amdhsa_kernarg_size 96
		.amdhsa_user_sgpr_count 6
		.amdhsa_user_sgpr_private_segment_buffer 1
		.amdhsa_user_sgpr_dispatch_ptr 0
		.amdhsa_user_sgpr_queue_ptr 0
		.amdhsa_user_sgpr_kernarg_segment_ptr 1
		.amdhsa_user_sgpr_dispatch_id 0
		.amdhsa_user_sgpr_flat_scratch_init 0
		.amdhsa_user_sgpr_kernarg_preload_length 0
		.amdhsa_user_sgpr_kernarg_preload_offset 0
		.amdhsa_user_sgpr_private_segment_size 0
		.amdhsa_uses_dynamic_stack 0
		.amdhsa_system_sgpr_private_segment_wavefront_offset 0
		.amdhsa_system_sgpr_workgroup_id_x 1
		.amdhsa_system_sgpr_workgroup_id_y 0
		.amdhsa_system_sgpr_workgroup_id_z 0
		.amdhsa_system_sgpr_workgroup_info 0
		.amdhsa_system_vgpr_workitem_id 0
		.amdhsa_next_free_vgpr 41
		.amdhsa_next_free_sgpr 40
		.amdhsa_accum_offset 44
		.amdhsa_reserve_vcc 1
		.amdhsa_reserve_flat_scratch 0
		.amdhsa_float_round_mode_32 0
		.amdhsa_float_round_mode_16_64 0
		.amdhsa_float_denorm_mode_32 3
		.amdhsa_float_denorm_mode_16_64 3
		.amdhsa_dx10_clamp 1
		.amdhsa_ieee_mode 1
		.amdhsa_fp16_overflow 0
		.amdhsa_tg_split 0
		.amdhsa_exception_fp_ieee_invalid_op 0
		.amdhsa_exception_fp_denorm_src 0
		.amdhsa_exception_fp_ieee_div_zero 0
		.amdhsa_exception_fp_ieee_overflow 0
		.amdhsa_exception_fp_ieee_underflow 0
		.amdhsa_exception_fp_ieee_inexact 0
		.amdhsa_exception_int_div_zero 0
	.end_amdhsa_kernel
	.section	.text._ZN7rocprim17ROCPRIM_400000_NS6detail17trampoline_kernelINS0_14default_configENS1_20scan_config_selectorIiEEZZNS1_9scan_implILNS1_25lookback_scan_determinismE0ELb1ELb1ES3_N6thrust23THRUST_200600_302600_NS6detail15normal_iteratorINS9_10device_ptrIiEEEESE_i11max_functorIiEiEEDaPvRmT3_T4_T5_mT6_P12ihipStream_tbENKUlT_T0_E_clISt17integral_constantIbLb0EEST_IbLb1EEEEDaSP_SQ_EUlSP_E_NS1_11comp_targetILNS1_3genE4ELNS1_11target_archE910ELNS1_3gpuE8ELNS1_3repE0EEENS1_30default_config_static_selectorELNS0_4arch9wavefront6targetE1EEEvT1_,"axG",@progbits,_ZN7rocprim17ROCPRIM_400000_NS6detail17trampoline_kernelINS0_14default_configENS1_20scan_config_selectorIiEEZZNS1_9scan_implILNS1_25lookback_scan_determinismE0ELb1ELb1ES3_N6thrust23THRUST_200600_302600_NS6detail15normal_iteratorINS9_10device_ptrIiEEEESE_i11max_functorIiEiEEDaPvRmT3_T4_T5_mT6_P12ihipStream_tbENKUlT_T0_E_clISt17integral_constantIbLb0EEST_IbLb1EEEEDaSP_SQ_EUlSP_E_NS1_11comp_targetILNS1_3genE4ELNS1_11target_archE910ELNS1_3gpuE8ELNS1_3repE0EEENS1_30default_config_static_selectorELNS0_4arch9wavefront6targetE1EEEvT1_,comdat
.Lfunc_end2830:
	.size	_ZN7rocprim17ROCPRIM_400000_NS6detail17trampoline_kernelINS0_14default_configENS1_20scan_config_selectorIiEEZZNS1_9scan_implILNS1_25lookback_scan_determinismE0ELb1ELb1ES3_N6thrust23THRUST_200600_302600_NS6detail15normal_iteratorINS9_10device_ptrIiEEEESE_i11max_functorIiEiEEDaPvRmT3_T4_T5_mT6_P12ihipStream_tbENKUlT_T0_E_clISt17integral_constantIbLb0EEST_IbLb1EEEEDaSP_SQ_EUlSP_E_NS1_11comp_targetILNS1_3genE4ELNS1_11target_archE910ELNS1_3gpuE8ELNS1_3repE0EEENS1_30default_config_static_selectorELNS0_4arch9wavefront6targetE1EEEvT1_, .Lfunc_end2830-_ZN7rocprim17ROCPRIM_400000_NS6detail17trampoline_kernelINS0_14default_configENS1_20scan_config_selectorIiEEZZNS1_9scan_implILNS1_25lookback_scan_determinismE0ELb1ELb1ES3_N6thrust23THRUST_200600_302600_NS6detail15normal_iteratorINS9_10device_ptrIiEEEESE_i11max_functorIiEiEEDaPvRmT3_T4_T5_mT6_P12ihipStream_tbENKUlT_T0_E_clISt17integral_constantIbLb0EEST_IbLb1EEEEDaSP_SQ_EUlSP_E_NS1_11comp_targetILNS1_3genE4ELNS1_11target_archE910ELNS1_3gpuE8ELNS1_3repE0EEENS1_30default_config_static_selectorELNS0_4arch9wavefront6targetE1EEEvT1_
                                        ; -- End function
	.section	.AMDGPU.csdata,"",@progbits
; Kernel info:
; codeLenInByte = 4512
; NumSgprs: 44
; NumVgprs: 41
; NumAgprs: 0
; TotalNumVgprs: 41
; ScratchSize: 0
; MemoryBound: 0
; FloatMode: 240
; IeeeMode: 1
; LDSByteSize: 5120 bytes/workgroup (compile time only)
; SGPRBlocks: 5
; VGPRBlocks: 5
; NumSGPRsForWavesPerEU: 44
; NumVGPRsForWavesPerEU: 41
; AccumOffset: 44
; Occupancy: 6
; WaveLimiterHint : 1
; COMPUTE_PGM_RSRC2:SCRATCH_EN: 0
; COMPUTE_PGM_RSRC2:USER_SGPR: 6
; COMPUTE_PGM_RSRC2:TRAP_HANDLER: 0
; COMPUTE_PGM_RSRC2:TGID_X_EN: 1
; COMPUTE_PGM_RSRC2:TGID_Y_EN: 0
; COMPUTE_PGM_RSRC2:TGID_Z_EN: 0
; COMPUTE_PGM_RSRC2:TIDIG_COMP_CNT: 0
; COMPUTE_PGM_RSRC3_GFX90A:ACCUM_OFFSET: 10
; COMPUTE_PGM_RSRC3_GFX90A:TG_SPLIT: 0
	.section	.text._ZN7rocprim17ROCPRIM_400000_NS6detail17trampoline_kernelINS0_14default_configENS1_20scan_config_selectorIiEEZZNS1_9scan_implILNS1_25lookback_scan_determinismE0ELb1ELb1ES3_N6thrust23THRUST_200600_302600_NS6detail15normal_iteratorINS9_10device_ptrIiEEEESE_i11max_functorIiEiEEDaPvRmT3_T4_T5_mT6_P12ihipStream_tbENKUlT_T0_E_clISt17integral_constantIbLb0EEST_IbLb1EEEEDaSP_SQ_EUlSP_E_NS1_11comp_targetILNS1_3genE3ELNS1_11target_archE908ELNS1_3gpuE7ELNS1_3repE0EEENS1_30default_config_static_selectorELNS0_4arch9wavefront6targetE1EEEvT1_,"axG",@progbits,_ZN7rocprim17ROCPRIM_400000_NS6detail17trampoline_kernelINS0_14default_configENS1_20scan_config_selectorIiEEZZNS1_9scan_implILNS1_25lookback_scan_determinismE0ELb1ELb1ES3_N6thrust23THRUST_200600_302600_NS6detail15normal_iteratorINS9_10device_ptrIiEEEESE_i11max_functorIiEiEEDaPvRmT3_T4_T5_mT6_P12ihipStream_tbENKUlT_T0_E_clISt17integral_constantIbLb0EEST_IbLb1EEEEDaSP_SQ_EUlSP_E_NS1_11comp_targetILNS1_3genE3ELNS1_11target_archE908ELNS1_3gpuE7ELNS1_3repE0EEENS1_30default_config_static_selectorELNS0_4arch9wavefront6targetE1EEEvT1_,comdat
	.protected	_ZN7rocprim17ROCPRIM_400000_NS6detail17trampoline_kernelINS0_14default_configENS1_20scan_config_selectorIiEEZZNS1_9scan_implILNS1_25lookback_scan_determinismE0ELb1ELb1ES3_N6thrust23THRUST_200600_302600_NS6detail15normal_iteratorINS9_10device_ptrIiEEEESE_i11max_functorIiEiEEDaPvRmT3_T4_T5_mT6_P12ihipStream_tbENKUlT_T0_E_clISt17integral_constantIbLb0EEST_IbLb1EEEEDaSP_SQ_EUlSP_E_NS1_11comp_targetILNS1_3genE3ELNS1_11target_archE908ELNS1_3gpuE7ELNS1_3repE0EEENS1_30default_config_static_selectorELNS0_4arch9wavefront6targetE1EEEvT1_ ; -- Begin function _ZN7rocprim17ROCPRIM_400000_NS6detail17trampoline_kernelINS0_14default_configENS1_20scan_config_selectorIiEEZZNS1_9scan_implILNS1_25lookback_scan_determinismE0ELb1ELb1ES3_N6thrust23THRUST_200600_302600_NS6detail15normal_iteratorINS9_10device_ptrIiEEEESE_i11max_functorIiEiEEDaPvRmT3_T4_T5_mT6_P12ihipStream_tbENKUlT_T0_E_clISt17integral_constantIbLb0EEST_IbLb1EEEEDaSP_SQ_EUlSP_E_NS1_11comp_targetILNS1_3genE3ELNS1_11target_archE908ELNS1_3gpuE7ELNS1_3repE0EEENS1_30default_config_static_selectorELNS0_4arch9wavefront6targetE1EEEvT1_
	.globl	_ZN7rocprim17ROCPRIM_400000_NS6detail17trampoline_kernelINS0_14default_configENS1_20scan_config_selectorIiEEZZNS1_9scan_implILNS1_25lookback_scan_determinismE0ELb1ELb1ES3_N6thrust23THRUST_200600_302600_NS6detail15normal_iteratorINS9_10device_ptrIiEEEESE_i11max_functorIiEiEEDaPvRmT3_T4_T5_mT6_P12ihipStream_tbENKUlT_T0_E_clISt17integral_constantIbLb0EEST_IbLb1EEEEDaSP_SQ_EUlSP_E_NS1_11comp_targetILNS1_3genE3ELNS1_11target_archE908ELNS1_3gpuE7ELNS1_3repE0EEENS1_30default_config_static_selectorELNS0_4arch9wavefront6targetE1EEEvT1_
	.p2align	8
	.type	_ZN7rocprim17ROCPRIM_400000_NS6detail17trampoline_kernelINS0_14default_configENS1_20scan_config_selectorIiEEZZNS1_9scan_implILNS1_25lookback_scan_determinismE0ELb1ELb1ES3_N6thrust23THRUST_200600_302600_NS6detail15normal_iteratorINS9_10device_ptrIiEEEESE_i11max_functorIiEiEEDaPvRmT3_T4_T5_mT6_P12ihipStream_tbENKUlT_T0_E_clISt17integral_constantIbLb0EEST_IbLb1EEEEDaSP_SQ_EUlSP_E_NS1_11comp_targetILNS1_3genE3ELNS1_11target_archE908ELNS1_3gpuE7ELNS1_3repE0EEENS1_30default_config_static_selectorELNS0_4arch9wavefront6targetE1EEEvT1_,@function
_ZN7rocprim17ROCPRIM_400000_NS6detail17trampoline_kernelINS0_14default_configENS1_20scan_config_selectorIiEEZZNS1_9scan_implILNS1_25lookback_scan_determinismE0ELb1ELb1ES3_N6thrust23THRUST_200600_302600_NS6detail15normal_iteratorINS9_10device_ptrIiEEEESE_i11max_functorIiEiEEDaPvRmT3_T4_T5_mT6_P12ihipStream_tbENKUlT_T0_E_clISt17integral_constantIbLb0EEST_IbLb1EEEEDaSP_SQ_EUlSP_E_NS1_11comp_targetILNS1_3genE3ELNS1_11target_archE908ELNS1_3gpuE7ELNS1_3repE0EEENS1_30default_config_static_selectorELNS0_4arch9wavefront6targetE1EEEvT1_: ; @_ZN7rocprim17ROCPRIM_400000_NS6detail17trampoline_kernelINS0_14default_configENS1_20scan_config_selectorIiEEZZNS1_9scan_implILNS1_25lookback_scan_determinismE0ELb1ELb1ES3_N6thrust23THRUST_200600_302600_NS6detail15normal_iteratorINS9_10device_ptrIiEEEESE_i11max_functorIiEiEEDaPvRmT3_T4_T5_mT6_P12ihipStream_tbENKUlT_T0_E_clISt17integral_constantIbLb0EEST_IbLb1EEEEDaSP_SQ_EUlSP_E_NS1_11comp_targetILNS1_3genE3ELNS1_11target_archE908ELNS1_3gpuE7ELNS1_3repE0EEENS1_30default_config_static_selectorELNS0_4arch9wavefront6targetE1EEEvT1_
; %bb.0:
	.section	.rodata,"a",@progbits
	.p2align	6, 0x0
	.amdhsa_kernel _ZN7rocprim17ROCPRIM_400000_NS6detail17trampoline_kernelINS0_14default_configENS1_20scan_config_selectorIiEEZZNS1_9scan_implILNS1_25lookback_scan_determinismE0ELb1ELb1ES3_N6thrust23THRUST_200600_302600_NS6detail15normal_iteratorINS9_10device_ptrIiEEEESE_i11max_functorIiEiEEDaPvRmT3_T4_T5_mT6_P12ihipStream_tbENKUlT_T0_E_clISt17integral_constantIbLb0EEST_IbLb1EEEEDaSP_SQ_EUlSP_E_NS1_11comp_targetILNS1_3genE3ELNS1_11target_archE908ELNS1_3gpuE7ELNS1_3repE0EEENS1_30default_config_static_selectorELNS0_4arch9wavefront6targetE1EEEvT1_
		.amdhsa_group_segment_fixed_size 0
		.amdhsa_private_segment_fixed_size 0
		.amdhsa_kernarg_size 96
		.amdhsa_user_sgpr_count 6
		.amdhsa_user_sgpr_private_segment_buffer 1
		.amdhsa_user_sgpr_dispatch_ptr 0
		.amdhsa_user_sgpr_queue_ptr 0
		.amdhsa_user_sgpr_kernarg_segment_ptr 1
		.amdhsa_user_sgpr_dispatch_id 0
		.amdhsa_user_sgpr_flat_scratch_init 0
		.amdhsa_user_sgpr_kernarg_preload_length 0
		.amdhsa_user_sgpr_kernarg_preload_offset 0
		.amdhsa_user_sgpr_private_segment_size 0
		.amdhsa_uses_dynamic_stack 0
		.amdhsa_system_sgpr_private_segment_wavefront_offset 0
		.amdhsa_system_sgpr_workgroup_id_x 1
		.amdhsa_system_sgpr_workgroup_id_y 0
		.amdhsa_system_sgpr_workgroup_id_z 0
		.amdhsa_system_sgpr_workgroup_info 0
		.amdhsa_system_vgpr_workitem_id 0
		.amdhsa_next_free_vgpr 1
		.amdhsa_next_free_sgpr 0
		.amdhsa_accum_offset 4
		.amdhsa_reserve_vcc 0
		.amdhsa_reserve_flat_scratch 0
		.amdhsa_float_round_mode_32 0
		.amdhsa_float_round_mode_16_64 0
		.amdhsa_float_denorm_mode_32 3
		.amdhsa_float_denorm_mode_16_64 3
		.amdhsa_dx10_clamp 1
		.amdhsa_ieee_mode 1
		.amdhsa_fp16_overflow 0
		.amdhsa_tg_split 0
		.amdhsa_exception_fp_ieee_invalid_op 0
		.amdhsa_exception_fp_denorm_src 0
		.amdhsa_exception_fp_ieee_div_zero 0
		.amdhsa_exception_fp_ieee_overflow 0
		.amdhsa_exception_fp_ieee_underflow 0
		.amdhsa_exception_fp_ieee_inexact 0
		.amdhsa_exception_int_div_zero 0
	.end_amdhsa_kernel
	.section	.text._ZN7rocprim17ROCPRIM_400000_NS6detail17trampoline_kernelINS0_14default_configENS1_20scan_config_selectorIiEEZZNS1_9scan_implILNS1_25lookback_scan_determinismE0ELb1ELb1ES3_N6thrust23THRUST_200600_302600_NS6detail15normal_iteratorINS9_10device_ptrIiEEEESE_i11max_functorIiEiEEDaPvRmT3_T4_T5_mT6_P12ihipStream_tbENKUlT_T0_E_clISt17integral_constantIbLb0EEST_IbLb1EEEEDaSP_SQ_EUlSP_E_NS1_11comp_targetILNS1_3genE3ELNS1_11target_archE908ELNS1_3gpuE7ELNS1_3repE0EEENS1_30default_config_static_selectorELNS0_4arch9wavefront6targetE1EEEvT1_,"axG",@progbits,_ZN7rocprim17ROCPRIM_400000_NS6detail17trampoline_kernelINS0_14default_configENS1_20scan_config_selectorIiEEZZNS1_9scan_implILNS1_25lookback_scan_determinismE0ELb1ELb1ES3_N6thrust23THRUST_200600_302600_NS6detail15normal_iteratorINS9_10device_ptrIiEEEESE_i11max_functorIiEiEEDaPvRmT3_T4_T5_mT6_P12ihipStream_tbENKUlT_T0_E_clISt17integral_constantIbLb0EEST_IbLb1EEEEDaSP_SQ_EUlSP_E_NS1_11comp_targetILNS1_3genE3ELNS1_11target_archE908ELNS1_3gpuE7ELNS1_3repE0EEENS1_30default_config_static_selectorELNS0_4arch9wavefront6targetE1EEEvT1_,comdat
.Lfunc_end2831:
	.size	_ZN7rocprim17ROCPRIM_400000_NS6detail17trampoline_kernelINS0_14default_configENS1_20scan_config_selectorIiEEZZNS1_9scan_implILNS1_25lookback_scan_determinismE0ELb1ELb1ES3_N6thrust23THRUST_200600_302600_NS6detail15normal_iteratorINS9_10device_ptrIiEEEESE_i11max_functorIiEiEEDaPvRmT3_T4_T5_mT6_P12ihipStream_tbENKUlT_T0_E_clISt17integral_constantIbLb0EEST_IbLb1EEEEDaSP_SQ_EUlSP_E_NS1_11comp_targetILNS1_3genE3ELNS1_11target_archE908ELNS1_3gpuE7ELNS1_3repE0EEENS1_30default_config_static_selectorELNS0_4arch9wavefront6targetE1EEEvT1_, .Lfunc_end2831-_ZN7rocprim17ROCPRIM_400000_NS6detail17trampoline_kernelINS0_14default_configENS1_20scan_config_selectorIiEEZZNS1_9scan_implILNS1_25lookback_scan_determinismE0ELb1ELb1ES3_N6thrust23THRUST_200600_302600_NS6detail15normal_iteratorINS9_10device_ptrIiEEEESE_i11max_functorIiEiEEDaPvRmT3_T4_T5_mT6_P12ihipStream_tbENKUlT_T0_E_clISt17integral_constantIbLb0EEST_IbLb1EEEEDaSP_SQ_EUlSP_E_NS1_11comp_targetILNS1_3genE3ELNS1_11target_archE908ELNS1_3gpuE7ELNS1_3repE0EEENS1_30default_config_static_selectorELNS0_4arch9wavefront6targetE1EEEvT1_
                                        ; -- End function
	.section	.AMDGPU.csdata,"",@progbits
; Kernel info:
; codeLenInByte = 0
; NumSgprs: 4
; NumVgprs: 0
; NumAgprs: 0
; TotalNumVgprs: 0
; ScratchSize: 0
; MemoryBound: 0
; FloatMode: 240
; IeeeMode: 1
; LDSByteSize: 0 bytes/workgroup (compile time only)
; SGPRBlocks: 0
; VGPRBlocks: 0
; NumSGPRsForWavesPerEU: 4
; NumVGPRsForWavesPerEU: 1
; AccumOffset: 4
; Occupancy: 8
; WaveLimiterHint : 0
; COMPUTE_PGM_RSRC2:SCRATCH_EN: 0
; COMPUTE_PGM_RSRC2:USER_SGPR: 6
; COMPUTE_PGM_RSRC2:TRAP_HANDLER: 0
; COMPUTE_PGM_RSRC2:TGID_X_EN: 1
; COMPUTE_PGM_RSRC2:TGID_Y_EN: 0
; COMPUTE_PGM_RSRC2:TGID_Z_EN: 0
; COMPUTE_PGM_RSRC2:TIDIG_COMP_CNT: 0
; COMPUTE_PGM_RSRC3_GFX90A:ACCUM_OFFSET: 0
; COMPUTE_PGM_RSRC3_GFX90A:TG_SPLIT: 0
	.section	.text._ZN7rocprim17ROCPRIM_400000_NS6detail17trampoline_kernelINS0_14default_configENS1_20scan_config_selectorIiEEZZNS1_9scan_implILNS1_25lookback_scan_determinismE0ELb1ELb1ES3_N6thrust23THRUST_200600_302600_NS6detail15normal_iteratorINS9_10device_ptrIiEEEESE_i11max_functorIiEiEEDaPvRmT3_T4_T5_mT6_P12ihipStream_tbENKUlT_T0_E_clISt17integral_constantIbLb0EEST_IbLb1EEEEDaSP_SQ_EUlSP_E_NS1_11comp_targetILNS1_3genE2ELNS1_11target_archE906ELNS1_3gpuE6ELNS1_3repE0EEENS1_30default_config_static_selectorELNS0_4arch9wavefront6targetE1EEEvT1_,"axG",@progbits,_ZN7rocprim17ROCPRIM_400000_NS6detail17trampoline_kernelINS0_14default_configENS1_20scan_config_selectorIiEEZZNS1_9scan_implILNS1_25lookback_scan_determinismE0ELb1ELb1ES3_N6thrust23THRUST_200600_302600_NS6detail15normal_iteratorINS9_10device_ptrIiEEEESE_i11max_functorIiEiEEDaPvRmT3_T4_T5_mT6_P12ihipStream_tbENKUlT_T0_E_clISt17integral_constantIbLb0EEST_IbLb1EEEEDaSP_SQ_EUlSP_E_NS1_11comp_targetILNS1_3genE2ELNS1_11target_archE906ELNS1_3gpuE6ELNS1_3repE0EEENS1_30default_config_static_selectorELNS0_4arch9wavefront6targetE1EEEvT1_,comdat
	.protected	_ZN7rocprim17ROCPRIM_400000_NS6detail17trampoline_kernelINS0_14default_configENS1_20scan_config_selectorIiEEZZNS1_9scan_implILNS1_25lookback_scan_determinismE0ELb1ELb1ES3_N6thrust23THRUST_200600_302600_NS6detail15normal_iteratorINS9_10device_ptrIiEEEESE_i11max_functorIiEiEEDaPvRmT3_T4_T5_mT6_P12ihipStream_tbENKUlT_T0_E_clISt17integral_constantIbLb0EEST_IbLb1EEEEDaSP_SQ_EUlSP_E_NS1_11comp_targetILNS1_3genE2ELNS1_11target_archE906ELNS1_3gpuE6ELNS1_3repE0EEENS1_30default_config_static_selectorELNS0_4arch9wavefront6targetE1EEEvT1_ ; -- Begin function _ZN7rocprim17ROCPRIM_400000_NS6detail17trampoline_kernelINS0_14default_configENS1_20scan_config_selectorIiEEZZNS1_9scan_implILNS1_25lookback_scan_determinismE0ELb1ELb1ES3_N6thrust23THRUST_200600_302600_NS6detail15normal_iteratorINS9_10device_ptrIiEEEESE_i11max_functorIiEiEEDaPvRmT3_T4_T5_mT6_P12ihipStream_tbENKUlT_T0_E_clISt17integral_constantIbLb0EEST_IbLb1EEEEDaSP_SQ_EUlSP_E_NS1_11comp_targetILNS1_3genE2ELNS1_11target_archE906ELNS1_3gpuE6ELNS1_3repE0EEENS1_30default_config_static_selectorELNS0_4arch9wavefront6targetE1EEEvT1_
	.globl	_ZN7rocprim17ROCPRIM_400000_NS6detail17trampoline_kernelINS0_14default_configENS1_20scan_config_selectorIiEEZZNS1_9scan_implILNS1_25lookback_scan_determinismE0ELb1ELb1ES3_N6thrust23THRUST_200600_302600_NS6detail15normal_iteratorINS9_10device_ptrIiEEEESE_i11max_functorIiEiEEDaPvRmT3_T4_T5_mT6_P12ihipStream_tbENKUlT_T0_E_clISt17integral_constantIbLb0EEST_IbLb1EEEEDaSP_SQ_EUlSP_E_NS1_11comp_targetILNS1_3genE2ELNS1_11target_archE906ELNS1_3gpuE6ELNS1_3repE0EEENS1_30default_config_static_selectorELNS0_4arch9wavefront6targetE1EEEvT1_
	.p2align	8
	.type	_ZN7rocprim17ROCPRIM_400000_NS6detail17trampoline_kernelINS0_14default_configENS1_20scan_config_selectorIiEEZZNS1_9scan_implILNS1_25lookback_scan_determinismE0ELb1ELb1ES3_N6thrust23THRUST_200600_302600_NS6detail15normal_iteratorINS9_10device_ptrIiEEEESE_i11max_functorIiEiEEDaPvRmT3_T4_T5_mT6_P12ihipStream_tbENKUlT_T0_E_clISt17integral_constantIbLb0EEST_IbLb1EEEEDaSP_SQ_EUlSP_E_NS1_11comp_targetILNS1_3genE2ELNS1_11target_archE906ELNS1_3gpuE6ELNS1_3repE0EEENS1_30default_config_static_selectorELNS0_4arch9wavefront6targetE1EEEvT1_,@function
_ZN7rocprim17ROCPRIM_400000_NS6detail17trampoline_kernelINS0_14default_configENS1_20scan_config_selectorIiEEZZNS1_9scan_implILNS1_25lookback_scan_determinismE0ELb1ELb1ES3_N6thrust23THRUST_200600_302600_NS6detail15normal_iteratorINS9_10device_ptrIiEEEESE_i11max_functorIiEiEEDaPvRmT3_T4_T5_mT6_P12ihipStream_tbENKUlT_T0_E_clISt17integral_constantIbLb0EEST_IbLb1EEEEDaSP_SQ_EUlSP_E_NS1_11comp_targetILNS1_3genE2ELNS1_11target_archE906ELNS1_3gpuE6ELNS1_3repE0EEENS1_30default_config_static_selectorELNS0_4arch9wavefront6targetE1EEEvT1_: ; @_ZN7rocprim17ROCPRIM_400000_NS6detail17trampoline_kernelINS0_14default_configENS1_20scan_config_selectorIiEEZZNS1_9scan_implILNS1_25lookback_scan_determinismE0ELb1ELb1ES3_N6thrust23THRUST_200600_302600_NS6detail15normal_iteratorINS9_10device_ptrIiEEEESE_i11max_functorIiEiEEDaPvRmT3_T4_T5_mT6_P12ihipStream_tbENKUlT_T0_E_clISt17integral_constantIbLb0EEST_IbLb1EEEEDaSP_SQ_EUlSP_E_NS1_11comp_targetILNS1_3genE2ELNS1_11target_archE906ELNS1_3gpuE6ELNS1_3repE0EEENS1_30default_config_static_selectorELNS0_4arch9wavefront6targetE1EEEvT1_
; %bb.0:
	.section	.rodata,"a",@progbits
	.p2align	6, 0x0
	.amdhsa_kernel _ZN7rocprim17ROCPRIM_400000_NS6detail17trampoline_kernelINS0_14default_configENS1_20scan_config_selectorIiEEZZNS1_9scan_implILNS1_25lookback_scan_determinismE0ELb1ELb1ES3_N6thrust23THRUST_200600_302600_NS6detail15normal_iteratorINS9_10device_ptrIiEEEESE_i11max_functorIiEiEEDaPvRmT3_T4_T5_mT6_P12ihipStream_tbENKUlT_T0_E_clISt17integral_constantIbLb0EEST_IbLb1EEEEDaSP_SQ_EUlSP_E_NS1_11comp_targetILNS1_3genE2ELNS1_11target_archE906ELNS1_3gpuE6ELNS1_3repE0EEENS1_30default_config_static_selectorELNS0_4arch9wavefront6targetE1EEEvT1_
		.amdhsa_group_segment_fixed_size 0
		.amdhsa_private_segment_fixed_size 0
		.amdhsa_kernarg_size 96
		.amdhsa_user_sgpr_count 6
		.amdhsa_user_sgpr_private_segment_buffer 1
		.amdhsa_user_sgpr_dispatch_ptr 0
		.amdhsa_user_sgpr_queue_ptr 0
		.amdhsa_user_sgpr_kernarg_segment_ptr 1
		.amdhsa_user_sgpr_dispatch_id 0
		.amdhsa_user_sgpr_flat_scratch_init 0
		.amdhsa_user_sgpr_kernarg_preload_length 0
		.amdhsa_user_sgpr_kernarg_preload_offset 0
		.amdhsa_user_sgpr_private_segment_size 0
		.amdhsa_uses_dynamic_stack 0
		.amdhsa_system_sgpr_private_segment_wavefront_offset 0
		.amdhsa_system_sgpr_workgroup_id_x 1
		.amdhsa_system_sgpr_workgroup_id_y 0
		.amdhsa_system_sgpr_workgroup_id_z 0
		.amdhsa_system_sgpr_workgroup_info 0
		.amdhsa_system_vgpr_workitem_id 0
		.amdhsa_next_free_vgpr 1
		.amdhsa_next_free_sgpr 0
		.amdhsa_accum_offset 4
		.amdhsa_reserve_vcc 0
		.amdhsa_reserve_flat_scratch 0
		.amdhsa_float_round_mode_32 0
		.amdhsa_float_round_mode_16_64 0
		.amdhsa_float_denorm_mode_32 3
		.amdhsa_float_denorm_mode_16_64 3
		.amdhsa_dx10_clamp 1
		.amdhsa_ieee_mode 1
		.amdhsa_fp16_overflow 0
		.amdhsa_tg_split 0
		.amdhsa_exception_fp_ieee_invalid_op 0
		.amdhsa_exception_fp_denorm_src 0
		.amdhsa_exception_fp_ieee_div_zero 0
		.amdhsa_exception_fp_ieee_overflow 0
		.amdhsa_exception_fp_ieee_underflow 0
		.amdhsa_exception_fp_ieee_inexact 0
		.amdhsa_exception_int_div_zero 0
	.end_amdhsa_kernel
	.section	.text._ZN7rocprim17ROCPRIM_400000_NS6detail17trampoline_kernelINS0_14default_configENS1_20scan_config_selectorIiEEZZNS1_9scan_implILNS1_25lookback_scan_determinismE0ELb1ELb1ES3_N6thrust23THRUST_200600_302600_NS6detail15normal_iteratorINS9_10device_ptrIiEEEESE_i11max_functorIiEiEEDaPvRmT3_T4_T5_mT6_P12ihipStream_tbENKUlT_T0_E_clISt17integral_constantIbLb0EEST_IbLb1EEEEDaSP_SQ_EUlSP_E_NS1_11comp_targetILNS1_3genE2ELNS1_11target_archE906ELNS1_3gpuE6ELNS1_3repE0EEENS1_30default_config_static_selectorELNS0_4arch9wavefront6targetE1EEEvT1_,"axG",@progbits,_ZN7rocprim17ROCPRIM_400000_NS6detail17trampoline_kernelINS0_14default_configENS1_20scan_config_selectorIiEEZZNS1_9scan_implILNS1_25lookback_scan_determinismE0ELb1ELb1ES3_N6thrust23THRUST_200600_302600_NS6detail15normal_iteratorINS9_10device_ptrIiEEEESE_i11max_functorIiEiEEDaPvRmT3_T4_T5_mT6_P12ihipStream_tbENKUlT_T0_E_clISt17integral_constantIbLb0EEST_IbLb1EEEEDaSP_SQ_EUlSP_E_NS1_11comp_targetILNS1_3genE2ELNS1_11target_archE906ELNS1_3gpuE6ELNS1_3repE0EEENS1_30default_config_static_selectorELNS0_4arch9wavefront6targetE1EEEvT1_,comdat
.Lfunc_end2832:
	.size	_ZN7rocprim17ROCPRIM_400000_NS6detail17trampoline_kernelINS0_14default_configENS1_20scan_config_selectorIiEEZZNS1_9scan_implILNS1_25lookback_scan_determinismE0ELb1ELb1ES3_N6thrust23THRUST_200600_302600_NS6detail15normal_iteratorINS9_10device_ptrIiEEEESE_i11max_functorIiEiEEDaPvRmT3_T4_T5_mT6_P12ihipStream_tbENKUlT_T0_E_clISt17integral_constantIbLb0EEST_IbLb1EEEEDaSP_SQ_EUlSP_E_NS1_11comp_targetILNS1_3genE2ELNS1_11target_archE906ELNS1_3gpuE6ELNS1_3repE0EEENS1_30default_config_static_selectorELNS0_4arch9wavefront6targetE1EEEvT1_, .Lfunc_end2832-_ZN7rocprim17ROCPRIM_400000_NS6detail17trampoline_kernelINS0_14default_configENS1_20scan_config_selectorIiEEZZNS1_9scan_implILNS1_25lookback_scan_determinismE0ELb1ELb1ES3_N6thrust23THRUST_200600_302600_NS6detail15normal_iteratorINS9_10device_ptrIiEEEESE_i11max_functorIiEiEEDaPvRmT3_T4_T5_mT6_P12ihipStream_tbENKUlT_T0_E_clISt17integral_constantIbLb0EEST_IbLb1EEEEDaSP_SQ_EUlSP_E_NS1_11comp_targetILNS1_3genE2ELNS1_11target_archE906ELNS1_3gpuE6ELNS1_3repE0EEENS1_30default_config_static_selectorELNS0_4arch9wavefront6targetE1EEEvT1_
                                        ; -- End function
	.section	.AMDGPU.csdata,"",@progbits
; Kernel info:
; codeLenInByte = 0
; NumSgprs: 4
; NumVgprs: 0
; NumAgprs: 0
; TotalNumVgprs: 0
; ScratchSize: 0
; MemoryBound: 0
; FloatMode: 240
; IeeeMode: 1
; LDSByteSize: 0 bytes/workgroup (compile time only)
; SGPRBlocks: 0
; VGPRBlocks: 0
; NumSGPRsForWavesPerEU: 4
; NumVGPRsForWavesPerEU: 1
; AccumOffset: 4
; Occupancy: 8
; WaveLimiterHint : 0
; COMPUTE_PGM_RSRC2:SCRATCH_EN: 0
; COMPUTE_PGM_RSRC2:USER_SGPR: 6
; COMPUTE_PGM_RSRC2:TRAP_HANDLER: 0
; COMPUTE_PGM_RSRC2:TGID_X_EN: 1
; COMPUTE_PGM_RSRC2:TGID_Y_EN: 0
; COMPUTE_PGM_RSRC2:TGID_Z_EN: 0
; COMPUTE_PGM_RSRC2:TIDIG_COMP_CNT: 0
; COMPUTE_PGM_RSRC3_GFX90A:ACCUM_OFFSET: 0
; COMPUTE_PGM_RSRC3_GFX90A:TG_SPLIT: 0
	.section	.text._ZN7rocprim17ROCPRIM_400000_NS6detail17trampoline_kernelINS0_14default_configENS1_20scan_config_selectorIiEEZZNS1_9scan_implILNS1_25lookback_scan_determinismE0ELb1ELb1ES3_N6thrust23THRUST_200600_302600_NS6detail15normal_iteratorINS9_10device_ptrIiEEEESE_i11max_functorIiEiEEDaPvRmT3_T4_T5_mT6_P12ihipStream_tbENKUlT_T0_E_clISt17integral_constantIbLb0EEST_IbLb1EEEEDaSP_SQ_EUlSP_E_NS1_11comp_targetILNS1_3genE10ELNS1_11target_archE1201ELNS1_3gpuE5ELNS1_3repE0EEENS1_30default_config_static_selectorELNS0_4arch9wavefront6targetE1EEEvT1_,"axG",@progbits,_ZN7rocprim17ROCPRIM_400000_NS6detail17trampoline_kernelINS0_14default_configENS1_20scan_config_selectorIiEEZZNS1_9scan_implILNS1_25lookback_scan_determinismE0ELb1ELb1ES3_N6thrust23THRUST_200600_302600_NS6detail15normal_iteratorINS9_10device_ptrIiEEEESE_i11max_functorIiEiEEDaPvRmT3_T4_T5_mT6_P12ihipStream_tbENKUlT_T0_E_clISt17integral_constantIbLb0EEST_IbLb1EEEEDaSP_SQ_EUlSP_E_NS1_11comp_targetILNS1_3genE10ELNS1_11target_archE1201ELNS1_3gpuE5ELNS1_3repE0EEENS1_30default_config_static_selectorELNS0_4arch9wavefront6targetE1EEEvT1_,comdat
	.protected	_ZN7rocprim17ROCPRIM_400000_NS6detail17trampoline_kernelINS0_14default_configENS1_20scan_config_selectorIiEEZZNS1_9scan_implILNS1_25lookback_scan_determinismE0ELb1ELb1ES3_N6thrust23THRUST_200600_302600_NS6detail15normal_iteratorINS9_10device_ptrIiEEEESE_i11max_functorIiEiEEDaPvRmT3_T4_T5_mT6_P12ihipStream_tbENKUlT_T0_E_clISt17integral_constantIbLb0EEST_IbLb1EEEEDaSP_SQ_EUlSP_E_NS1_11comp_targetILNS1_3genE10ELNS1_11target_archE1201ELNS1_3gpuE5ELNS1_3repE0EEENS1_30default_config_static_selectorELNS0_4arch9wavefront6targetE1EEEvT1_ ; -- Begin function _ZN7rocprim17ROCPRIM_400000_NS6detail17trampoline_kernelINS0_14default_configENS1_20scan_config_selectorIiEEZZNS1_9scan_implILNS1_25lookback_scan_determinismE0ELb1ELb1ES3_N6thrust23THRUST_200600_302600_NS6detail15normal_iteratorINS9_10device_ptrIiEEEESE_i11max_functorIiEiEEDaPvRmT3_T4_T5_mT6_P12ihipStream_tbENKUlT_T0_E_clISt17integral_constantIbLb0EEST_IbLb1EEEEDaSP_SQ_EUlSP_E_NS1_11comp_targetILNS1_3genE10ELNS1_11target_archE1201ELNS1_3gpuE5ELNS1_3repE0EEENS1_30default_config_static_selectorELNS0_4arch9wavefront6targetE1EEEvT1_
	.globl	_ZN7rocprim17ROCPRIM_400000_NS6detail17trampoline_kernelINS0_14default_configENS1_20scan_config_selectorIiEEZZNS1_9scan_implILNS1_25lookback_scan_determinismE0ELb1ELb1ES3_N6thrust23THRUST_200600_302600_NS6detail15normal_iteratorINS9_10device_ptrIiEEEESE_i11max_functorIiEiEEDaPvRmT3_T4_T5_mT6_P12ihipStream_tbENKUlT_T0_E_clISt17integral_constantIbLb0EEST_IbLb1EEEEDaSP_SQ_EUlSP_E_NS1_11comp_targetILNS1_3genE10ELNS1_11target_archE1201ELNS1_3gpuE5ELNS1_3repE0EEENS1_30default_config_static_selectorELNS0_4arch9wavefront6targetE1EEEvT1_
	.p2align	8
	.type	_ZN7rocprim17ROCPRIM_400000_NS6detail17trampoline_kernelINS0_14default_configENS1_20scan_config_selectorIiEEZZNS1_9scan_implILNS1_25lookback_scan_determinismE0ELb1ELb1ES3_N6thrust23THRUST_200600_302600_NS6detail15normal_iteratorINS9_10device_ptrIiEEEESE_i11max_functorIiEiEEDaPvRmT3_T4_T5_mT6_P12ihipStream_tbENKUlT_T0_E_clISt17integral_constantIbLb0EEST_IbLb1EEEEDaSP_SQ_EUlSP_E_NS1_11comp_targetILNS1_3genE10ELNS1_11target_archE1201ELNS1_3gpuE5ELNS1_3repE0EEENS1_30default_config_static_selectorELNS0_4arch9wavefront6targetE1EEEvT1_,@function
_ZN7rocprim17ROCPRIM_400000_NS6detail17trampoline_kernelINS0_14default_configENS1_20scan_config_selectorIiEEZZNS1_9scan_implILNS1_25lookback_scan_determinismE0ELb1ELb1ES3_N6thrust23THRUST_200600_302600_NS6detail15normal_iteratorINS9_10device_ptrIiEEEESE_i11max_functorIiEiEEDaPvRmT3_T4_T5_mT6_P12ihipStream_tbENKUlT_T0_E_clISt17integral_constantIbLb0EEST_IbLb1EEEEDaSP_SQ_EUlSP_E_NS1_11comp_targetILNS1_3genE10ELNS1_11target_archE1201ELNS1_3gpuE5ELNS1_3repE0EEENS1_30default_config_static_selectorELNS0_4arch9wavefront6targetE1EEEvT1_: ; @_ZN7rocprim17ROCPRIM_400000_NS6detail17trampoline_kernelINS0_14default_configENS1_20scan_config_selectorIiEEZZNS1_9scan_implILNS1_25lookback_scan_determinismE0ELb1ELb1ES3_N6thrust23THRUST_200600_302600_NS6detail15normal_iteratorINS9_10device_ptrIiEEEESE_i11max_functorIiEiEEDaPvRmT3_T4_T5_mT6_P12ihipStream_tbENKUlT_T0_E_clISt17integral_constantIbLb0EEST_IbLb1EEEEDaSP_SQ_EUlSP_E_NS1_11comp_targetILNS1_3genE10ELNS1_11target_archE1201ELNS1_3gpuE5ELNS1_3repE0EEENS1_30default_config_static_selectorELNS0_4arch9wavefront6targetE1EEEvT1_
; %bb.0:
	.section	.rodata,"a",@progbits
	.p2align	6, 0x0
	.amdhsa_kernel _ZN7rocprim17ROCPRIM_400000_NS6detail17trampoline_kernelINS0_14default_configENS1_20scan_config_selectorIiEEZZNS1_9scan_implILNS1_25lookback_scan_determinismE0ELb1ELb1ES3_N6thrust23THRUST_200600_302600_NS6detail15normal_iteratorINS9_10device_ptrIiEEEESE_i11max_functorIiEiEEDaPvRmT3_T4_T5_mT6_P12ihipStream_tbENKUlT_T0_E_clISt17integral_constantIbLb0EEST_IbLb1EEEEDaSP_SQ_EUlSP_E_NS1_11comp_targetILNS1_3genE10ELNS1_11target_archE1201ELNS1_3gpuE5ELNS1_3repE0EEENS1_30default_config_static_selectorELNS0_4arch9wavefront6targetE1EEEvT1_
		.amdhsa_group_segment_fixed_size 0
		.amdhsa_private_segment_fixed_size 0
		.amdhsa_kernarg_size 96
		.amdhsa_user_sgpr_count 6
		.amdhsa_user_sgpr_private_segment_buffer 1
		.amdhsa_user_sgpr_dispatch_ptr 0
		.amdhsa_user_sgpr_queue_ptr 0
		.amdhsa_user_sgpr_kernarg_segment_ptr 1
		.amdhsa_user_sgpr_dispatch_id 0
		.amdhsa_user_sgpr_flat_scratch_init 0
		.amdhsa_user_sgpr_kernarg_preload_length 0
		.amdhsa_user_sgpr_kernarg_preload_offset 0
		.amdhsa_user_sgpr_private_segment_size 0
		.amdhsa_uses_dynamic_stack 0
		.amdhsa_system_sgpr_private_segment_wavefront_offset 0
		.amdhsa_system_sgpr_workgroup_id_x 1
		.amdhsa_system_sgpr_workgroup_id_y 0
		.amdhsa_system_sgpr_workgroup_id_z 0
		.amdhsa_system_sgpr_workgroup_info 0
		.amdhsa_system_vgpr_workitem_id 0
		.amdhsa_next_free_vgpr 1
		.amdhsa_next_free_sgpr 0
		.amdhsa_accum_offset 4
		.amdhsa_reserve_vcc 0
		.amdhsa_reserve_flat_scratch 0
		.amdhsa_float_round_mode_32 0
		.amdhsa_float_round_mode_16_64 0
		.amdhsa_float_denorm_mode_32 3
		.amdhsa_float_denorm_mode_16_64 3
		.amdhsa_dx10_clamp 1
		.amdhsa_ieee_mode 1
		.amdhsa_fp16_overflow 0
		.amdhsa_tg_split 0
		.amdhsa_exception_fp_ieee_invalid_op 0
		.amdhsa_exception_fp_denorm_src 0
		.amdhsa_exception_fp_ieee_div_zero 0
		.amdhsa_exception_fp_ieee_overflow 0
		.amdhsa_exception_fp_ieee_underflow 0
		.amdhsa_exception_fp_ieee_inexact 0
		.amdhsa_exception_int_div_zero 0
	.end_amdhsa_kernel
	.section	.text._ZN7rocprim17ROCPRIM_400000_NS6detail17trampoline_kernelINS0_14default_configENS1_20scan_config_selectorIiEEZZNS1_9scan_implILNS1_25lookback_scan_determinismE0ELb1ELb1ES3_N6thrust23THRUST_200600_302600_NS6detail15normal_iteratorINS9_10device_ptrIiEEEESE_i11max_functorIiEiEEDaPvRmT3_T4_T5_mT6_P12ihipStream_tbENKUlT_T0_E_clISt17integral_constantIbLb0EEST_IbLb1EEEEDaSP_SQ_EUlSP_E_NS1_11comp_targetILNS1_3genE10ELNS1_11target_archE1201ELNS1_3gpuE5ELNS1_3repE0EEENS1_30default_config_static_selectorELNS0_4arch9wavefront6targetE1EEEvT1_,"axG",@progbits,_ZN7rocprim17ROCPRIM_400000_NS6detail17trampoline_kernelINS0_14default_configENS1_20scan_config_selectorIiEEZZNS1_9scan_implILNS1_25lookback_scan_determinismE0ELb1ELb1ES3_N6thrust23THRUST_200600_302600_NS6detail15normal_iteratorINS9_10device_ptrIiEEEESE_i11max_functorIiEiEEDaPvRmT3_T4_T5_mT6_P12ihipStream_tbENKUlT_T0_E_clISt17integral_constantIbLb0EEST_IbLb1EEEEDaSP_SQ_EUlSP_E_NS1_11comp_targetILNS1_3genE10ELNS1_11target_archE1201ELNS1_3gpuE5ELNS1_3repE0EEENS1_30default_config_static_selectorELNS0_4arch9wavefront6targetE1EEEvT1_,comdat
.Lfunc_end2833:
	.size	_ZN7rocprim17ROCPRIM_400000_NS6detail17trampoline_kernelINS0_14default_configENS1_20scan_config_selectorIiEEZZNS1_9scan_implILNS1_25lookback_scan_determinismE0ELb1ELb1ES3_N6thrust23THRUST_200600_302600_NS6detail15normal_iteratorINS9_10device_ptrIiEEEESE_i11max_functorIiEiEEDaPvRmT3_T4_T5_mT6_P12ihipStream_tbENKUlT_T0_E_clISt17integral_constantIbLb0EEST_IbLb1EEEEDaSP_SQ_EUlSP_E_NS1_11comp_targetILNS1_3genE10ELNS1_11target_archE1201ELNS1_3gpuE5ELNS1_3repE0EEENS1_30default_config_static_selectorELNS0_4arch9wavefront6targetE1EEEvT1_, .Lfunc_end2833-_ZN7rocprim17ROCPRIM_400000_NS6detail17trampoline_kernelINS0_14default_configENS1_20scan_config_selectorIiEEZZNS1_9scan_implILNS1_25lookback_scan_determinismE0ELb1ELb1ES3_N6thrust23THRUST_200600_302600_NS6detail15normal_iteratorINS9_10device_ptrIiEEEESE_i11max_functorIiEiEEDaPvRmT3_T4_T5_mT6_P12ihipStream_tbENKUlT_T0_E_clISt17integral_constantIbLb0EEST_IbLb1EEEEDaSP_SQ_EUlSP_E_NS1_11comp_targetILNS1_3genE10ELNS1_11target_archE1201ELNS1_3gpuE5ELNS1_3repE0EEENS1_30default_config_static_selectorELNS0_4arch9wavefront6targetE1EEEvT1_
                                        ; -- End function
	.section	.AMDGPU.csdata,"",@progbits
; Kernel info:
; codeLenInByte = 0
; NumSgprs: 4
; NumVgprs: 0
; NumAgprs: 0
; TotalNumVgprs: 0
; ScratchSize: 0
; MemoryBound: 0
; FloatMode: 240
; IeeeMode: 1
; LDSByteSize: 0 bytes/workgroup (compile time only)
; SGPRBlocks: 0
; VGPRBlocks: 0
; NumSGPRsForWavesPerEU: 4
; NumVGPRsForWavesPerEU: 1
; AccumOffset: 4
; Occupancy: 8
; WaveLimiterHint : 0
; COMPUTE_PGM_RSRC2:SCRATCH_EN: 0
; COMPUTE_PGM_RSRC2:USER_SGPR: 6
; COMPUTE_PGM_RSRC2:TRAP_HANDLER: 0
; COMPUTE_PGM_RSRC2:TGID_X_EN: 1
; COMPUTE_PGM_RSRC2:TGID_Y_EN: 0
; COMPUTE_PGM_RSRC2:TGID_Z_EN: 0
; COMPUTE_PGM_RSRC2:TIDIG_COMP_CNT: 0
; COMPUTE_PGM_RSRC3_GFX90A:ACCUM_OFFSET: 0
; COMPUTE_PGM_RSRC3_GFX90A:TG_SPLIT: 0
	.section	.text._ZN7rocprim17ROCPRIM_400000_NS6detail17trampoline_kernelINS0_14default_configENS1_20scan_config_selectorIiEEZZNS1_9scan_implILNS1_25lookback_scan_determinismE0ELb1ELb1ES3_N6thrust23THRUST_200600_302600_NS6detail15normal_iteratorINS9_10device_ptrIiEEEESE_i11max_functorIiEiEEDaPvRmT3_T4_T5_mT6_P12ihipStream_tbENKUlT_T0_E_clISt17integral_constantIbLb0EEST_IbLb1EEEEDaSP_SQ_EUlSP_E_NS1_11comp_targetILNS1_3genE10ELNS1_11target_archE1200ELNS1_3gpuE4ELNS1_3repE0EEENS1_30default_config_static_selectorELNS0_4arch9wavefront6targetE1EEEvT1_,"axG",@progbits,_ZN7rocprim17ROCPRIM_400000_NS6detail17trampoline_kernelINS0_14default_configENS1_20scan_config_selectorIiEEZZNS1_9scan_implILNS1_25lookback_scan_determinismE0ELb1ELb1ES3_N6thrust23THRUST_200600_302600_NS6detail15normal_iteratorINS9_10device_ptrIiEEEESE_i11max_functorIiEiEEDaPvRmT3_T4_T5_mT6_P12ihipStream_tbENKUlT_T0_E_clISt17integral_constantIbLb0EEST_IbLb1EEEEDaSP_SQ_EUlSP_E_NS1_11comp_targetILNS1_3genE10ELNS1_11target_archE1200ELNS1_3gpuE4ELNS1_3repE0EEENS1_30default_config_static_selectorELNS0_4arch9wavefront6targetE1EEEvT1_,comdat
	.protected	_ZN7rocprim17ROCPRIM_400000_NS6detail17trampoline_kernelINS0_14default_configENS1_20scan_config_selectorIiEEZZNS1_9scan_implILNS1_25lookback_scan_determinismE0ELb1ELb1ES3_N6thrust23THRUST_200600_302600_NS6detail15normal_iteratorINS9_10device_ptrIiEEEESE_i11max_functorIiEiEEDaPvRmT3_T4_T5_mT6_P12ihipStream_tbENKUlT_T0_E_clISt17integral_constantIbLb0EEST_IbLb1EEEEDaSP_SQ_EUlSP_E_NS1_11comp_targetILNS1_3genE10ELNS1_11target_archE1200ELNS1_3gpuE4ELNS1_3repE0EEENS1_30default_config_static_selectorELNS0_4arch9wavefront6targetE1EEEvT1_ ; -- Begin function _ZN7rocprim17ROCPRIM_400000_NS6detail17trampoline_kernelINS0_14default_configENS1_20scan_config_selectorIiEEZZNS1_9scan_implILNS1_25lookback_scan_determinismE0ELb1ELb1ES3_N6thrust23THRUST_200600_302600_NS6detail15normal_iteratorINS9_10device_ptrIiEEEESE_i11max_functorIiEiEEDaPvRmT3_T4_T5_mT6_P12ihipStream_tbENKUlT_T0_E_clISt17integral_constantIbLb0EEST_IbLb1EEEEDaSP_SQ_EUlSP_E_NS1_11comp_targetILNS1_3genE10ELNS1_11target_archE1200ELNS1_3gpuE4ELNS1_3repE0EEENS1_30default_config_static_selectorELNS0_4arch9wavefront6targetE1EEEvT1_
	.globl	_ZN7rocprim17ROCPRIM_400000_NS6detail17trampoline_kernelINS0_14default_configENS1_20scan_config_selectorIiEEZZNS1_9scan_implILNS1_25lookback_scan_determinismE0ELb1ELb1ES3_N6thrust23THRUST_200600_302600_NS6detail15normal_iteratorINS9_10device_ptrIiEEEESE_i11max_functorIiEiEEDaPvRmT3_T4_T5_mT6_P12ihipStream_tbENKUlT_T0_E_clISt17integral_constantIbLb0EEST_IbLb1EEEEDaSP_SQ_EUlSP_E_NS1_11comp_targetILNS1_3genE10ELNS1_11target_archE1200ELNS1_3gpuE4ELNS1_3repE0EEENS1_30default_config_static_selectorELNS0_4arch9wavefront6targetE1EEEvT1_
	.p2align	8
	.type	_ZN7rocprim17ROCPRIM_400000_NS6detail17trampoline_kernelINS0_14default_configENS1_20scan_config_selectorIiEEZZNS1_9scan_implILNS1_25lookback_scan_determinismE0ELb1ELb1ES3_N6thrust23THRUST_200600_302600_NS6detail15normal_iteratorINS9_10device_ptrIiEEEESE_i11max_functorIiEiEEDaPvRmT3_T4_T5_mT6_P12ihipStream_tbENKUlT_T0_E_clISt17integral_constantIbLb0EEST_IbLb1EEEEDaSP_SQ_EUlSP_E_NS1_11comp_targetILNS1_3genE10ELNS1_11target_archE1200ELNS1_3gpuE4ELNS1_3repE0EEENS1_30default_config_static_selectorELNS0_4arch9wavefront6targetE1EEEvT1_,@function
_ZN7rocprim17ROCPRIM_400000_NS6detail17trampoline_kernelINS0_14default_configENS1_20scan_config_selectorIiEEZZNS1_9scan_implILNS1_25lookback_scan_determinismE0ELb1ELb1ES3_N6thrust23THRUST_200600_302600_NS6detail15normal_iteratorINS9_10device_ptrIiEEEESE_i11max_functorIiEiEEDaPvRmT3_T4_T5_mT6_P12ihipStream_tbENKUlT_T0_E_clISt17integral_constantIbLb0EEST_IbLb1EEEEDaSP_SQ_EUlSP_E_NS1_11comp_targetILNS1_3genE10ELNS1_11target_archE1200ELNS1_3gpuE4ELNS1_3repE0EEENS1_30default_config_static_selectorELNS0_4arch9wavefront6targetE1EEEvT1_: ; @_ZN7rocprim17ROCPRIM_400000_NS6detail17trampoline_kernelINS0_14default_configENS1_20scan_config_selectorIiEEZZNS1_9scan_implILNS1_25lookback_scan_determinismE0ELb1ELb1ES3_N6thrust23THRUST_200600_302600_NS6detail15normal_iteratorINS9_10device_ptrIiEEEESE_i11max_functorIiEiEEDaPvRmT3_T4_T5_mT6_P12ihipStream_tbENKUlT_T0_E_clISt17integral_constantIbLb0EEST_IbLb1EEEEDaSP_SQ_EUlSP_E_NS1_11comp_targetILNS1_3genE10ELNS1_11target_archE1200ELNS1_3gpuE4ELNS1_3repE0EEENS1_30default_config_static_selectorELNS0_4arch9wavefront6targetE1EEEvT1_
; %bb.0:
	.section	.rodata,"a",@progbits
	.p2align	6, 0x0
	.amdhsa_kernel _ZN7rocprim17ROCPRIM_400000_NS6detail17trampoline_kernelINS0_14default_configENS1_20scan_config_selectorIiEEZZNS1_9scan_implILNS1_25lookback_scan_determinismE0ELb1ELb1ES3_N6thrust23THRUST_200600_302600_NS6detail15normal_iteratorINS9_10device_ptrIiEEEESE_i11max_functorIiEiEEDaPvRmT3_T4_T5_mT6_P12ihipStream_tbENKUlT_T0_E_clISt17integral_constantIbLb0EEST_IbLb1EEEEDaSP_SQ_EUlSP_E_NS1_11comp_targetILNS1_3genE10ELNS1_11target_archE1200ELNS1_3gpuE4ELNS1_3repE0EEENS1_30default_config_static_selectorELNS0_4arch9wavefront6targetE1EEEvT1_
		.amdhsa_group_segment_fixed_size 0
		.amdhsa_private_segment_fixed_size 0
		.amdhsa_kernarg_size 96
		.amdhsa_user_sgpr_count 6
		.amdhsa_user_sgpr_private_segment_buffer 1
		.amdhsa_user_sgpr_dispatch_ptr 0
		.amdhsa_user_sgpr_queue_ptr 0
		.amdhsa_user_sgpr_kernarg_segment_ptr 1
		.amdhsa_user_sgpr_dispatch_id 0
		.amdhsa_user_sgpr_flat_scratch_init 0
		.amdhsa_user_sgpr_kernarg_preload_length 0
		.amdhsa_user_sgpr_kernarg_preload_offset 0
		.amdhsa_user_sgpr_private_segment_size 0
		.amdhsa_uses_dynamic_stack 0
		.amdhsa_system_sgpr_private_segment_wavefront_offset 0
		.amdhsa_system_sgpr_workgroup_id_x 1
		.amdhsa_system_sgpr_workgroup_id_y 0
		.amdhsa_system_sgpr_workgroup_id_z 0
		.amdhsa_system_sgpr_workgroup_info 0
		.amdhsa_system_vgpr_workitem_id 0
		.amdhsa_next_free_vgpr 1
		.amdhsa_next_free_sgpr 0
		.amdhsa_accum_offset 4
		.amdhsa_reserve_vcc 0
		.amdhsa_reserve_flat_scratch 0
		.amdhsa_float_round_mode_32 0
		.amdhsa_float_round_mode_16_64 0
		.amdhsa_float_denorm_mode_32 3
		.amdhsa_float_denorm_mode_16_64 3
		.amdhsa_dx10_clamp 1
		.amdhsa_ieee_mode 1
		.amdhsa_fp16_overflow 0
		.amdhsa_tg_split 0
		.amdhsa_exception_fp_ieee_invalid_op 0
		.amdhsa_exception_fp_denorm_src 0
		.amdhsa_exception_fp_ieee_div_zero 0
		.amdhsa_exception_fp_ieee_overflow 0
		.amdhsa_exception_fp_ieee_underflow 0
		.amdhsa_exception_fp_ieee_inexact 0
		.amdhsa_exception_int_div_zero 0
	.end_amdhsa_kernel
	.section	.text._ZN7rocprim17ROCPRIM_400000_NS6detail17trampoline_kernelINS0_14default_configENS1_20scan_config_selectorIiEEZZNS1_9scan_implILNS1_25lookback_scan_determinismE0ELb1ELb1ES3_N6thrust23THRUST_200600_302600_NS6detail15normal_iteratorINS9_10device_ptrIiEEEESE_i11max_functorIiEiEEDaPvRmT3_T4_T5_mT6_P12ihipStream_tbENKUlT_T0_E_clISt17integral_constantIbLb0EEST_IbLb1EEEEDaSP_SQ_EUlSP_E_NS1_11comp_targetILNS1_3genE10ELNS1_11target_archE1200ELNS1_3gpuE4ELNS1_3repE0EEENS1_30default_config_static_selectorELNS0_4arch9wavefront6targetE1EEEvT1_,"axG",@progbits,_ZN7rocprim17ROCPRIM_400000_NS6detail17trampoline_kernelINS0_14default_configENS1_20scan_config_selectorIiEEZZNS1_9scan_implILNS1_25lookback_scan_determinismE0ELb1ELb1ES3_N6thrust23THRUST_200600_302600_NS6detail15normal_iteratorINS9_10device_ptrIiEEEESE_i11max_functorIiEiEEDaPvRmT3_T4_T5_mT6_P12ihipStream_tbENKUlT_T0_E_clISt17integral_constantIbLb0EEST_IbLb1EEEEDaSP_SQ_EUlSP_E_NS1_11comp_targetILNS1_3genE10ELNS1_11target_archE1200ELNS1_3gpuE4ELNS1_3repE0EEENS1_30default_config_static_selectorELNS0_4arch9wavefront6targetE1EEEvT1_,comdat
.Lfunc_end2834:
	.size	_ZN7rocprim17ROCPRIM_400000_NS6detail17trampoline_kernelINS0_14default_configENS1_20scan_config_selectorIiEEZZNS1_9scan_implILNS1_25lookback_scan_determinismE0ELb1ELb1ES3_N6thrust23THRUST_200600_302600_NS6detail15normal_iteratorINS9_10device_ptrIiEEEESE_i11max_functorIiEiEEDaPvRmT3_T4_T5_mT6_P12ihipStream_tbENKUlT_T0_E_clISt17integral_constantIbLb0EEST_IbLb1EEEEDaSP_SQ_EUlSP_E_NS1_11comp_targetILNS1_3genE10ELNS1_11target_archE1200ELNS1_3gpuE4ELNS1_3repE0EEENS1_30default_config_static_selectorELNS0_4arch9wavefront6targetE1EEEvT1_, .Lfunc_end2834-_ZN7rocprim17ROCPRIM_400000_NS6detail17trampoline_kernelINS0_14default_configENS1_20scan_config_selectorIiEEZZNS1_9scan_implILNS1_25lookback_scan_determinismE0ELb1ELb1ES3_N6thrust23THRUST_200600_302600_NS6detail15normal_iteratorINS9_10device_ptrIiEEEESE_i11max_functorIiEiEEDaPvRmT3_T4_T5_mT6_P12ihipStream_tbENKUlT_T0_E_clISt17integral_constantIbLb0EEST_IbLb1EEEEDaSP_SQ_EUlSP_E_NS1_11comp_targetILNS1_3genE10ELNS1_11target_archE1200ELNS1_3gpuE4ELNS1_3repE0EEENS1_30default_config_static_selectorELNS0_4arch9wavefront6targetE1EEEvT1_
                                        ; -- End function
	.section	.AMDGPU.csdata,"",@progbits
; Kernel info:
; codeLenInByte = 0
; NumSgprs: 4
; NumVgprs: 0
; NumAgprs: 0
; TotalNumVgprs: 0
; ScratchSize: 0
; MemoryBound: 0
; FloatMode: 240
; IeeeMode: 1
; LDSByteSize: 0 bytes/workgroup (compile time only)
; SGPRBlocks: 0
; VGPRBlocks: 0
; NumSGPRsForWavesPerEU: 4
; NumVGPRsForWavesPerEU: 1
; AccumOffset: 4
; Occupancy: 8
; WaveLimiterHint : 0
; COMPUTE_PGM_RSRC2:SCRATCH_EN: 0
; COMPUTE_PGM_RSRC2:USER_SGPR: 6
; COMPUTE_PGM_RSRC2:TRAP_HANDLER: 0
; COMPUTE_PGM_RSRC2:TGID_X_EN: 1
; COMPUTE_PGM_RSRC2:TGID_Y_EN: 0
; COMPUTE_PGM_RSRC2:TGID_Z_EN: 0
; COMPUTE_PGM_RSRC2:TIDIG_COMP_CNT: 0
; COMPUTE_PGM_RSRC3_GFX90A:ACCUM_OFFSET: 0
; COMPUTE_PGM_RSRC3_GFX90A:TG_SPLIT: 0
	.section	.text._ZN7rocprim17ROCPRIM_400000_NS6detail17trampoline_kernelINS0_14default_configENS1_20scan_config_selectorIiEEZZNS1_9scan_implILNS1_25lookback_scan_determinismE0ELb1ELb1ES3_N6thrust23THRUST_200600_302600_NS6detail15normal_iteratorINS9_10device_ptrIiEEEESE_i11max_functorIiEiEEDaPvRmT3_T4_T5_mT6_P12ihipStream_tbENKUlT_T0_E_clISt17integral_constantIbLb0EEST_IbLb1EEEEDaSP_SQ_EUlSP_E_NS1_11comp_targetILNS1_3genE9ELNS1_11target_archE1100ELNS1_3gpuE3ELNS1_3repE0EEENS1_30default_config_static_selectorELNS0_4arch9wavefront6targetE1EEEvT1_,"axG",@progbits,_ZN7rocprim17ROCPRIM_400000_NS6detail17trampoline_kernelINS0_14default_configENS1_20scan_config_selectorIiEEZZNS1_9scan_implILNS1_25lookback_scan_determinismE0ELb1ELb1ES3_N6thrust23THRUST_200600_302600_NS6detail15normal_iteratorINS9_10device_ptrIiEEEESE_i11max_functorIiEiEEDaPvRmT3_T4_T5_mT6_P12ihipStream_tbENKUlT_T0_E_clISt17integral_constantIbLb0EEST_IbLb1EEEEDaSP_SQ_EUlSP_E_NS1_11comp_targetILNS1_3genE9ELNS1_11target_archE1100ELNS1_3gpuE3ELNS1_3repE0EEENS1_30default_config_static_selectorELNS0_4arch9wavefront6targetE1EEEvT1_,comdat
	.protected	_ZN7rocprim17ROCPRIM_400000_NS6detail17trampoline_kernelINS0_14default_configENS1_20scan_config_selectorIiEEZZNS1_9scan_implILNS1_25lookback_scan_determinismE0ELb1ELb1ES3_N6thrust23THRUST_200600_302600_NS6detail15normal_iteratorINS9_10device_ptrIiEEEESE_i11max_functorIiEiEEDaPvRmT3_T4_T5_mT6_P12ihipStream_tbENKUlT_T0_E_clISt17integral_constantIbLb0EEST_IbLb1EEEEDaSP_SQ_EUlSP_E_NS1_11comp_targetILNS1_3genE9ELNS1_11target_archE1100ELNS1_3gpuE3ELNS1_3repE0EEENS1_30default_config_static_selectorELNS0_4arch9wavefront6targetE1EEEvT1_ ; -- Begin function _ZN7rocprim17ROCPRIM_400000_NS6detail17trampoline_kernelINS0_14default_configENS1_20scan_config_selectorIiEEZZNS1_9scan_implILNS1_25lookback_scan_determinismE0ELb1ELb1ES3_N6thrust23THRUST_200600_302600_NS6detail15normal_iteratorINS9_10device_ptrIiEEEESE_i11max_functorIiEiEEDaPvRmT3_T4_T5_mT6_P12ihipStream_tbENKUlT_T0_E_clISt17integral_constantIbLb0EEST_IbLb1EEEEDaSP_SQ_EUlSP_E_NS1_11comp_targetILNS1_3genE9ELNS1_11target_archE1100ELNS1_3gpuE3ELNS1_3repE0EEENS1_30default_config_static_selectorELNS0_4arch9wavefront6targetE1EEEvT1_
	.globl	_ZN7rocprim17ROCPRIM_400000_NS6detail17trampoline_kernelINS0_14default_configENS1_20scan_config_selectorIiEEZZNS1_9scan_implILNS1_25lookback_scan_determinismE0ELb1ELb1ES3_N6thrust23THRUST_200600_302600_NS6detail15normal_iteratorINS9_10device_ptrIiEEEESE_i11max_functorIiEiEEDaPvRmT3_T4_T5_mT6_P12ihipStream_tbENKUlT_T0_E_clISt17integral_constantIbLb0EEST_IbLb1EEEEDaSP_SQ_EUlSP_E_NS1_11comp_targetILNS1_3genE9ELNS1_11target_archE1100ELNS1_3gpuE3ELNS1_3repE0EEENS1_30default_config_static_selectorELNS0_4arch9wavefront6targetE1EEEvT1_
	.p2align	8
	.type	_ZN7rocprim17ROCPRIM_400000_NS6detail17trampoline_kernelINS0_14default_configENS1_20scan_config_selectorIiEEZZNS1_9scan_implILNS1_25lookback_scan_determinismE0ELb1ELb1ES3_N6thrust23THRUST_200600_302600_NS6detail15normal_iteratorINS9_10device_ptrIiEEEESE_i11max_functorIiEiEEDaPvRmT3_T4_T5_mT6_P12ihipStream_tbENKUlT_T0_E_clISt17integral_constantIbLb0EEST_IbLb1EEEEDaSP_SQ_EUlSP_E_NS1_11comp_targetILNS1_3genE9ELNS1_11target_archE1100ELNS1_3gpuE3ELNS1_3repE0EEENS1_30default_config_static_selectorELNS0_4arch9wavefront6targetE1EEEvT1_,@function
_ZN7rocprim17ROCPRIM_400000_NS6detail17trampoline_kernelINS0_14default_configENS1_20scan_config_selectorIiEEZZNS1_9scan_implILNS1_25lookback_scan_determinismE0ELb1ELb1ES3_N6thrust23THRUST_200600_302600_NS6detail15normal_iteratorINS9_10device_ptrIiEEEESE_i11max_functorIiEiEEDaPvRmT3_T4_T5_mT6_P12ihipStream_tbENKUlT_T0_E_clISt17integral_constantIbLb0EEST_IbLb1EEEEDaSP_SQ_EUlSP_E_NS1_11comp_targetILNS1_3genE9ELNS1_11target_archE1100ELNS1_3gpuE3ELNS1_3repE0EEENS1_30default_config_static_selectorELNS0_4arch9wavefront6targetE1EEEvT1_: ; @_ZN7rocprim17ROCPRIM_400000_NS6detail17trampoline_kernelINS0_14default_configENS1_20scan_config_selectorIiEEZZNS1_9scan_implILNS1_25lookback_scan_determinismE0ELb1ELb1ES3_N6thrust23THRUST_200600_302600_NS6detail15normal_iteratorINS9_10device_ptrIiEEEESE_i11max_functorIiEiEEDaPvRmT3_T4_T5_mT6_P12ihipStream_tbENKUlT_T0_E_clISt17integral_constantIbLb0EEST_IbLb1EEEEDaSP_SQ_EUlSP_E_NS1_11comp_targetILNS1_3genE9ELNS1_11target_archE1100ELNS1_3gpuE3ELNS1_3repE0EEENS1_30default_config_static_selectorELNS0_4arch9wavefront6targetE1EEEvT1_
; %bb.0:
	.section	.rodata,"a",@progbits
	.p2align	6, 0x0
	.amdhsa_kernel _ZN7rocprim17ROCPRIM_400000_NS6detail17trampoline_kernelINS0_14default_configENS1_20scan_config_selectorIiEEZZNS1_9scan_implILNS1_25lookback_scan_determinismE0ELb1ELb1ES3_N6thrust23THRUST_200600_302600_NS6detail15normal_iteratorINS9_10device_ptrIiEEEESE_i11max_functorIiEiEEDaPvRmT3_T4_T5_mT6_P12ihipStream_tbENKUlT_T0_E_clISt17integral_constantIbLb0EEST_IbLb1EEEEDaSP_SQ_EUlSP_E_NS1_11comp_targetILNS1_3genE9ELNS1_11target_archE1100ELNS1_3gpuE3ELNS1_3repE0EEENS1_30default_config_static_selectorELNS0_4arch9wavefront6targetE1EEEvT1_
		.amdhsa_group_segment_fixed_size 0
		.amdhsa_private_segment_fixed_size 0
		.amdhsa_kernarg_size 96
		.amdhsa_user_sgpr_count 6
		.amdhsa_user_sgpr_private_segment_buffer 1
		.amdhsa_user_sgpr_dispatch_ptr 0
		.amdhsa_user_sgpr_queue_ptr 0
		.amdhsa_user_sgpr_kernarg_segment_ptr 1
		.amdhsa_user_sgpr_dispatch_id 0
		.amdhsa_user_sgpr_flat_scratch_init 0
		.amdhsa_user_sgpr_kernarg_preload_length 0
		.amdhsa_user_sgpr_kernarg_preload_offset 0
		.amdhsa_user_sgpr_private_segment_size 0
		.amdhsa_uses_dynamic_stack 0
		.amdhsa_system_sgpr_private_segment_wavefront_offset 0
		.amdhsa_system_sgpr_workgroup_id_x 1
		.amdhsa_system_sgpr_workgroup_id_y 0
		.amdhsa_system_sgpr_workgroup_id_z 0
		.amdhsa_system_sgpr_workgroup_info 0
		.amdhsa_system_vgpr_workitem_id 0
		.amdhsa_next_free_vgpr 1
		.amdhsa_next_free_sgpr 0
		.amdhsa_accum_offset 4
		.amdhsa_reserve_vcc 0
		.amdhsa_reserve_flat_scratch 0
		.amdhsa_float_round_mode_32 0
		.amdhsa_float_round_mode_16_64 0
		.amdhsa_float_denorm_mode_32 3
		.amdhsa_float_denorm_mode_16_64 3
		.amdhsa_dx10_clamp 1
		.amdhsa_ieee_mode 1
		.amdhsa_fp16_overflow 0
		.amdhsa_tg_split 0
		.amdhsa_exception_fp_ieee_invalid_op 0
		.amdhsa_exception_fp_denorm_src 0
		.amdhsa_exception_fp_ieee_div_zero 0
		.amdhsa_exception_fp_ieee_overflow 0
		.amdhsa_exception_fp_ieee_underflow 0
		.amdhsa_exception_fp_ieee_inexact 0
		.amdhsa_exception_int_div_zero 0
	.end_amdhsa_kernel
	.section	.text._ZN7rocprim17ROCPRIM_400000_NS6detail17trampoline_kernelINS0_14default_configENS1_20scan_config_selectorIiEEZZNS1_9scan_implILNS1_25lookback_scan_determinismE0ELb1ELb1ES3_N6thrust23THRUST_200600_302600_NS6detail15normal_iteratorINS9_10device_ptrIiEEEESE_i11max_functorIiEiEEDaPvRmT3_T4_T5_mT6_P12ihipStream_tbENKUlT_T0_E_clISt17integral_constantIbLb0EEST_IbLb1EEEEDaSP_SQ_EUlSP_E_NS1_11comp_targetILNS1_3genE9ELNS1_11target_archE1100ELNS1_3gpuE3ELNS1_3repE0EEENS1_30default_config_static_selectorELNS0_4arch9wavefront6targetE1EEEvT1_,"axG",@progbits,_ZN7rocprim17ROCPRIM_400000_NS6detail17trampoline_kernelINS0_14default_configENS1_20scan_config_selectorIiEEZZNS1_9scan_implILNS1_25lookback_scan_determinismE0ELb1ELb1ES3_N6thrust23THRUST_200600_302600_NS6detail15normal_iteratorINS9_10device_ptrIiEEEESE_i11max_functorIiEiEEDaPvRmT3_T4_T5_mT6_P12ihipStream_tbENKUlT_T0_E_clISt17integral_constantIbLb0EEST_IbLb1EEEEDaSP_SQ_EUlSP_E_NS1_11comp_targetILNS1_3genE9ELNS1_11target_archE1100ELNS1_3gpuE3ELNS1_3repE0EEENS1_30default_config_static_selectorELNS0_4arch9wavefront6targetE1EEEvT1_,comdat
.Lfunc_end2835:
	.size	_ZN7rocprim17ROCPRIM_400000_NS6detail17trampoline_kernelINS0_14default_configENS1_20scan_config_selectorIiEEZZNS1_9scan_implILNS1_25lookback_scan_determinismE0ELb1ELb1ES3_N6thrust23THRUST_200600_302600_NS6detail15normal_iteratorINS9_10device_ptrIiEEEESE_i11max_functorIiEiEEDaPvRmT3_T4_T5_mT6_P12ihipStream_tbENKUlT_T0_E_clISt17integral_constantIbLb0EEST_IbLb1EEEEDaSP_SQ_EUlSP_E_NS1_11comp_targetILNS1_3genE9ELNS1_11target_archE1100ELNS1_3gpuE3ELNS1_3repE0EEENS1_30default_config_static_selectorELNS0_4arch9wavefront6targetE1EEEvT1_, .Lfunc_end2835-_ZN7rocprim17ROCPRIM_400000_NS6detail17trampoline_kernelINS0_14default_configENS1_20scan_config_selectorIiEEZZNS1_9scan_implILNS1_25lookback_scan_determinismE0ELb1ELb1ES3_N6thrust23THRUST_200600_302600_NS6detail15normal_iteratorINS9_10device_ptrIiEEEESE_i11max_functorIiEiEEDaPvRmT3_T4_T5_mT6_P12ihipStream_tbENKUlT_T0_E_clISt17integral_constantIbLb0EEST_IbLb1EEEEDaSP_SQ_EUlSP_E_NS1_11comp_targetILNS1_3genE9ELNS1_11target_archE1100ELNS1_3gpuE3ELNS1_3repE0EEENS1_30default_config_static_selectorELNS0_4arch9wavefront6targetE1EEEvT1_
                                        ; -- End function
	.section	.AMDGPU.csdata,"",@progbits
; Kernel info:
; codeLenInByte = 0
; NumSgprs: 4
; NumVgprs: 0
; NumAgprs: 0
; TotalNumVgprs: 0
; ScratchSize: 0
; MemoryBound: 0
; FloatMode: 240
; IeeeMode: 1
; LDSByteSize: 0 bytes/workgroup (compile time only)
; SGPRBlocks: 0
; VGPRBlocks: 0
; NumSGPRsForWavesPerEU: 4
; NumVGPRsForWavesPerEU: 1
; AccumOffset: 4
; Occupancy: 8
; WaveLimiterHint : 0
; COMPUTE_PGM_RSRC2:SCRATCH_EN: 0
; COMPUTE_PGM_RSRC2:USER_SGPR: 6
; COMPUTE_PGM_RSRC2:TRAP_HANDLER: 0
; COMPUTE_PGM_RSRC2:TGID_X_EN: 1
; COMPUTE_PGM_RSRC2:TGID_Y_EN: 0
; COMPUTE_PGM_RSRC2:TGID_Z_EN: 0
; COMPUTE_PGM_RSRC2:TIDIG_COMP_CNT: 0
; COMPUTE_PGM_RSRC3_GFX90A:ACCUM_OFFSET: 0
; COMPUTE_PGM_RSRC3_GFX90A:TG_SPLIT: 0
	.section	.text._ZN7rocprim17ROCPRIM_400000_NS6detail17trampoline_kernelINS0_14default_configENS1_20scan_config_selectorIiEEZZNS1_9scan_implILNS1_25lookback_scan_determinismE0ELb1ELb1ES3_N6thrust23THRUST_200600_302600_NS6detail15normal_iteratorINS9_10device_ptrIiEEEESE_i11max_functorIiEiEEDaPvRmT3_T4_T5_mT6_P12ihipStream_tbENKUlT_T0_E_clISt17integral_constantIbLb0EEST_IbLb1EEEEDaSP_SQ_EUlSP_E_NS1_11comp_targetILNS1_3genE8ELNS1_11target_archE1030ELNS1_3gpuE2ELNS1_3repE0EEENS1_30default_config_static_selectorELNS0_4arch9wavefront6targetE1EEEvT1_,"axG",@progbits,_ZN7rocprim17ROCPRIM_400000_NS6detail17trampoline_kernelINS0_14default_configENS1_20scan_config_selectorIiEEZZNS1_9scan_implILNS1_25lookback_scan_determinismE0ELb1ELb1ES3_N6thrust23THRUST_200600_302600_NS6detail15normal_iteratorINS9_10device_ptrIiEEEESE_i11max_functorIiEiEEDaPvRmT3_T4_T5_mT6_P12ihipStream_tbENKUlT_T0_E_clISt17integral_constantIbLb0EEST_IbLb1EEEEDaSP_SQ_EUlSP_E_NS1_11comp_targetILNS1_3genE8ELNS1_11target_archE1030ELNS1_3gpuE2ELNS1_3repE0EEENS1_30default_config_static_selectorELNS0_4arch9wavefront6targetE1EEEvT1_,comdat
	.protected	_ZN7rocprim17ROCPRIM_400000_NS6detail17trampoline_kernelINS0_14default_configENS1_20scan_config_selectorIiEEZZNS1_9scan_implILNS1_25lookback_scan_determinismE0ELb1ELb1ES3_N6thrust23THRUST_200600_302600_NS6detail15normal_iteratorINS9_10device_ptrIiEEEESE_i11max_functorIiEiEEDaPvRmT3_T4_T5_mT6_P12ihipStream_tbENKUlT_T0_E_clISt17integral_constantIbLb0EEST_IbLb1EEEEDaSP_SQ_EUlSP_E_NS1_11comp_targetILNS1_3genE8ELNS1_11target_archE1030ELNS1_3gpuE2ELNS1_3repE0EEENS1_30default_config_static_selectorELNS0_4arch9wavefront6targetE1EEEvT1_ ; -- Begin function _ZN7rocprim17ROCPRIM_400000_NS6detail17trampoline_kernelINS0_14default_configENS1_20scan_config_selectorIiEEZZNS1_9scan_implILNS1_25lookback_scan_determinismE0ELb1ELb1ES3_N6thrust23THRUST_200600_302600_NS6detail15normal_iteratorINS9_10device_ptrIiEEEESE_i11max_functorIiEiEEDaPvRmT3_T4_T5_mT6_P12ihipStream_tbENKUlT_T0_E_clISt17integral_constantIbLb0EEST_IbLb1EEEEDaSP_SQ_EUlSP_E_NS1_11comp_targetILNS1_3genE8ELNS1_11target_archE1030ELNS1_3gpuE2ELNS1_3repE0EEENS1_30default_config_static_selectorELNS0_4arch9wavefront6targetE1EEEvT1_
	.globl	_ZN7rocprim17ROCPRIM_400000_NS6detail17trampoline_kernelINS0_14default_configENS1_20scan_config_selectorIiEEZZNS1_9scan_implILNS1_25lookback_scan_determinismE0ELb1ELb1ES3_N6thrust23THRUST_200600_302600_NS6detail15normal_iteratorINS9_10device_ptrIiEEEESE_i11max_functorIiEiEEDaPvRmT3_T4_T5_mT6_P12ihipStream_tbENKUlT_T0_E_clISt17integral_constantIbLb0EEST_IbLb1EEEEDaSP_SQ_EUlSP_E_NS1_11comp_targetILNS1_3genE8ELNS1_11target_archE1030ELNS1_3gpuE2ELNS1_3repE0EEENS1_30default_config_static_selectorELNS0_4arch9wavefront6targetE1EEEvT1_
	.p2align	8
	.type	_ZN7rocprim17ROCPRIM_400000_NS6detail17trampoline_kernelINS0_14default_configENS1_20scan_config_selectorIiEEZZNS1_9scan_implILNS1_25lookback_scan_determinismE0ELb1ELb1ES3_N6thrust23THRUST_200600_302600_NS6detail15normal_iteratorINS9_10device_ptrIiEEEESE_i11max_functorIiEiEEDaPvRmT3_T4_T5_mT6_P12ihipStream_tbENKUlT_T0_E_clISt17integral_constantIbLb0EEST_IbLb1EEEEDaSP_SQ_EUlSP_E_NS1_11comp_targetILNS1_3genE8ELNS1_11target_archE1030ELNS1_3gpuE2ELNS1_3repE0EEENS1_30default_config_static_selectorELNS0_4arch9wavefront6targetE1EEEvT1_,@function
_ZN7rocprim17ROCPRIM_400000_NS6detail17trampoline_kernelINS0_14default_configENS1_20scan_config_selectorIiEEZZNS1_9scan_implILNS1_25lookback_scan_determinismE0ELb1ELb1ES3_N6thrust23THRUST_200600_302600_NS6detail15normal_iteratorINS9_10device_ptrIiEEEESE_i11max_functorIiEiEEDaPvRmT3_T4_T5_mT6_P12ihipStream_tbENKUlT_T0_E_clISt17integral_constantIbLb0EEST_IbLb1EEEEDaSP_SQ_EUlSP_E_NS1_11comp_targetILNS1_3genE8ELNS1_11target_archE1030ELNS1_3gpuE2ELNS1_3repE0EEENS1_30default_config_static_selectorELNS0_4arch9wavefront6targetE1EEEvT1_: ; @_ZN7rocprim17ROCPRIM_400000_NS6detail17trampoline_kernelINS0_14default_configENS1_20scan_config_selectorIiEEZZNS1_9scan_implILNS1_25lookback_scan_determinismE0ELb1ELb1ES3_N6thrust23THRUST_200600_302600_NS6detail15normal_iteratorINS9_10device_ptrIiEEEESE_i11max_functorIiEiEEDaPvRmT3_T4_T5_mT6_P12ihipStream_tbENKUlT_T0_E_clISt17integral_constantIbLb0EEST_IbLb1EEEEDaSP_SQ_EUlSP_E_NS1_11comp_targetILNS1_3genE8ELNS1_11target_archE1030ELNS1_3gpuE2ELNS1_3repE0EEENS1_30default_config_static_selectorELNS0_4arch9wavefront6targetE1EEEvT1_
; %bb.0:
	.section	.rodata,"a",@progbits
	.p2align	6, 0x0
	.amdhsa_kernel _ZN7rocprim17ROCPRIM_400000_NS6detail17trampoline_kernelINS0_14default_configENS1_20scan_config_selectorIiEEZZNS1_9scan_implILNS1_25lookback_scan_determinismE0ELb1ELb1ES3_N6thrust23THRUST_200600_302600_NS6detail15normal_iteratorINS9_10device_ptrIiEEEESE_i11max_functorIiEiEEDaPvRmT3_T4_T5_mT6_P12ihipStream_tbENKUlT_T0_E_clISt17integral_constantIbLb0EEST_IbLb1EEEEDaSP_SQ_EUlSP_E_NS1_11comp_targetILNS1_3genE8ELNS1_11target_archE1030ELNS1_3gpuE2ELNS1_3repE0EEENS1_30default_config_static_selectorELNS0_4arch9wavefront6targetE1EEEvT1_
		.amdhsa_group_segment_fixed_size 0
		.amdhsa_private_segment_fixed_size 0
		.amdhsa_kernarg_size 96
		.amdhsa_user_sgpr_count 6
		.amdhsa_user_sgpr_private_segment_buffer 1
		.amdhsa_user_sgpr_dispatch_ptr 0
		.amdhsa_user_sgpr_queue_ptr 0
		.amdhsa_user_sgpr_kernarg_segment_ptr 1
		.amdhsa_user_sgpr_dispatch_id 0
		.amdhsa_user_sgpr_flat_scratch_init 0
		.amdhsa_user_sgpr_kernarg_preload_length 0
		.amdhsa_user_sgpr_kernarg_preload_offset 0
		.amdhsa_user_sgpr_private_segment_size 0
		.amdhsa_uses_dynamic_stack 0
		.amdhsa_system_sgpr_private_segment_wavefront_offset 0
		.amdhsa_system_sgpr_workgroup_id_x 1
		.amdhsa_system_sgpr_workgroup_id_y 0
		.amdhsa_system_sgpr_workgroup_id_z 0
		.amdhsa_system_sgpr_workgroup_info 0
		.amdhsa_system_vgpr_workitem_id 0
		.amdhsa_next_free_vgpr 1
		.amdhsa_next_free_sgpr 0
		.amdhsa_accum_offset 4
		.amdhsa_reserve_vcc 0
		.amdhsa_reserve_flat_scratch 0
		.amdhsa_float_round_mode_32 0
		.amdhsa_float_round_mode_16_64 0
		.amdhsa_float_denorm_mode_32 3
		.amdhsa_float_denorm_mode_16_64 3
		.amdhsa_dx10_clamp 1
		.amdhsa_ieee_mode 1
		.amdhsa_fp16_overflow 0
		.amdhsa_tg_split 0
		.amdhsa_exception_fp_ieee_invalid_op 0
		.amdhsa_exception_fp_denorm_src 0
		.amdhsa_exception_fp_ieee_div_zero 0
		.amdhsa_exception_fp_ieee_overflow 0
		.amdhsa_exception_fp_ieee_underflow 0
		.amdhsa_exception_fp_ieee_inexact 0
		.amdhsa_exception_int_div_zero 0
	.end_amdhsa_kernel
	.section	.text._ZN7rocprim17ROCPRIM_400000_NS6detail17trampoline_kernelINS0_14default_configENS1_20scan_config_selectorIiEEZZNS1_9scan_implILNS1_25lookback_scan_determinismE0ELb1ELb1ES3_N6thrust23THRUST_200600_302600_NS6detail15normal_iteratorINS9_10device_ptrIiEEEESE_i11max_functorIiEiEEDaPvRmT3_T4_T5_mT6_P12ihipStream_tbENKUlT_T0_E_clISt17integral_constantIbLb0EEST_IbLb1EEEEDaSP_SQ_EUlSP_E_NS1_11comp_targetILNS1_3genE8ELNS1_11target_archE1030ELNS1_3gpuE2ELNS1_3repE0EEENS1_30default_config_static_selectorELNS0_4arch9wavefront6targetE1EEEvT1_,"axG",@progbits,_ZN7rocprim17ROCPRIM_400000_NS6detail17trampoline_kernelINS0_14default_configENS1_20scan_config_selectorIiEEZZNS1_9scan_implILNS1_25lookback_scan_determinismE0ELb1ELb1ES3_N6thrust23THRUST_200600_302600_NS6detail15normal_iteratorINS9_10device_ptrIiEEEESE_i11max_functorIiEiEEDaPvRmT3_T4_T5_mT6_P12ihipStream_tbENKUlT_T0_E_clISt17integral_constantIbLb0EEST_IbLb1EEEEDaSP_SQ_EUlSP_E_NS1_11comp_targetILNS1_3genE8ELNS1_11target_archE1030ELNS1_3gpuE2ELNS1_3repE0EEENS1_30default_config_static_selectorELNS0_4arch9wavefront6targetE1EEEvT1_,comdat
.Lfunc_end2836:
	.size	_ZN7rocprim17ROCPRIM_400000_NS6detail17trampoline_kernelINS0_14default_configENS1_20scan_config_selectorIiEEZZNS1_9scan_implILNS1_25lookback_scan_determinismE0ELb1ELb1ES3_N6thrust23THRUST_200600_302600_NS6detail15normal_iteratorINS9_10device_ptrIiEEEESE_i11max_functorIiEiEEDaPvRmT3_T4_T5_mT6_P12ihipStream_tbENKUlT_T0_E_clISt17integral_constantIbLb0EEST_IbLb1EEEEDaSP_SQ_EUlSP_E_NS1_11comp_targetILNS1_3genE8ELNS1_11target_archE1030ELNS1_3gpuE2ELNS1_3repE0EEENS1_30default_config_static_selectorELNS0_4arch9wavefront6targetE1EEEvT1_, .Lfunc_end2836-_ZN7rocprim17ROCPRIM_400000_NS6detail17trampoline_kernelINS0_14default_configENS1_20scan_config_selectorIiEEZZNS1_9scan_implILNS1_25lookback_scan_determinismE0ELb1ELb1ES3_N6thrust23THRUST_200600_302600_NS6detail15normal_iteratorINS9_10device_ptrIiEEEESE_i11max_functorIiEiEEDaPvRmT3_T4_T5_mT6_P12ihipStream_tbENKUlT_T0_E_clISt17integral_constantIbLb0EEST_IbLb1EEEEDaSP_SQ_EUlSP_E_NS1_11comp_targetILNS1_3genE8ELNS1_11target_archE1030ELNS1_3gpuE2ELNS1_3repE0EEENS1_30default_config_static_selectorELNS0_4arch9wavefront6targetE1EEEvT1_
                                        ; -- End function
	.section	.AMDGPU.csdata,"",@progbits
; Kernel info:
; codeLenInByte = 0
; NumSgprs: 4
; NumVgprs: 0
; NumAgprs: 0
; TotalNumVgprs: 0
; ScratchSize: 0
; MemoryBound: 0
; FloatMode: 240
; IeeeMode: 1
; LDSByteSize: 0 bytes/workgroup (compile time only)
; SGPRBlocks: 0
; VGPRBlocks: 0
; NumSGPRsForWavesPerEU: 4
; NumVGPRsForWavesPerEU: 1
; AccumOffset: 4
; Occupancy: 8
; WaveLimiterHint : 0
; COMPUTE_PGM_RSRC2:SCRATCH_EN: 0
; COMPUTE_PGM_RSRC2:USER_SGPR: 6
; COMPUTE_PGM_RSRC2:TRAP_HANDLER: 0
; COMPUTE_PGM_RSRC2:TGID_X_EN: 1
; COMPUTE_PGM_RSRC2:TGID_Y_EN: 0
; COMPUTE_PGM_RSRC2:TGID_Z_EN: 0
; COMPUTE_PGM_RSRC2:TIDIG_COMP_CNT: 0
; COMPUTE_PGM_RSRC3_GFX90A:ACCUM_OFFSET: 0
; COMPUTE_PGM_RSRC3_GFX90A:TG_SPLIT: 0
	.section	.text._ZN7rocprim17ROCPRIM_400000_NS6detail17trampoline_kernelINS0_14default_configENS1_20scan_config_selectorIiEEZZNS1_9scan_implILNS1_25lookback_scan_determinismE0ELb1ELb1ES3_N6thrust23THRUST_200600_302600_NS6detail15normal_iteratorINS9_10device_ptrIiEEEESE_i11max_functorIiEiEEDaPvRmT3_T4_T5_mT6_P12ihipStream_tbENKUlT_T0_E_clISt17integral_constantIbLb0EEST_IbLb1EEEEDaSP_SQ_EUlSP_E0_NS1_11comp_targetILNS1_3genE0ELNS1_11target_archE4294967295ELNS1_3gpuE0ELNS1_3repE0EEENS1_30default_config_static_selectorELNS0_4arch9wavefront6targetE1EEEvT1_,"axG",@progbits,_ZN7rocprim17ROCPRIM_400000_NS6detail17trampoline_kernelINS0_14default_configENS1_20scan_config_selectorIiEEZZNS1_9scan_implILNS1_25lookback_scan_determinismE0ELb1ELb1ES3_N6thrust23THRUST_200600_302600_NS6detail15normal_iteratorINS9_10device_ptrIiEEEESE_i11max_functorIiEiEEDaPvRmT3_T4_T5_mT6_P12ihipStream_tbENKUlT_T0_E_clISt17integral_constantIbLb0EEST_IbLb1EEEEDaSP_SQ_EUlSP_E0_NS1_11comp_targetILNS1_3genE0ELNS1_11target_archE4294967295ELNS1_3gpuE0ELNS1_3repE0EEENS1_30default_config_static_selectorELNS0_4arch9wavefront6targetE1EEEvT1_,comdat
	.protected	_ZN7rocprim17ROCPRIM_400000_NS6detail17trampoline_kernelINS0_14default_configENS1_20scan_config_selectorIiEEZZNS1_9scan_implILNS1_25lookback_scan_determinismE0ELb1ELb1ES3_N6thrust23THRUST_200600_302600_NS6detail15normal_iteratorINS9_10device_ptrIiEEEESE_i11max_functorIiEiEEDaPvRmT3_T4_T5_mT6_P12ihipStream_tbENKUlT_T0_E_clISt17integral_constantIbLb0EEST_IbLb1EEEEDaSP_SQ_EUlSP_E0_NS1_11comp_targetILNS1_3genE0ELNS1_11target_archE4294967295ELNS1_3gpuE0ELNS1_3repE0EEENS1_30default_config_static_selectorELNS0_4arch9wavefront6targetE1EEEvT1_ ; -- Begin function _ZN7rocprim17ROCPRIM_400000_NS6detail17trampoline_kernelINS0_14default_configENS1_20scan_config_selectorIiEEZZNS1_9scan_implILNS1_25lookback_scan_determinismE0ELb1ELb1ES3_N6thrust23THRUST_200600_302600_NS6detail15normal_iteratorINS9_10device_ptrIiEEEESE_i11max_functorIiEiEEDaPvRmT3_T4_T5_mT6_P12ihipStream_tbENKUlT_T0_E_clISt17integral_constantIbLb0EEST_IbLb1EEEEDaSP_SQ_EUlSP_E0_NS1_11comp_targetILNS1_3genE0ELNS1_11target_archE4294967295ELNS1_3gpuE0ELNS1_3repE0EEENS1_30default_config_static_selectorELNS0_4arch9wavefront6targetE1EEEvT1_
	.globl	_ZN7rocprim17ROCPRIM_400000_NS6detail17trampoline_kernelINS0_14default_configENS1_20scan_config_selectorIiEEZZNS1_9scan_implILNS1_25lookback_scan_determinismE0ELb1ELb1ES3_N6thrust23THRUST_200600_302600_NS6detail15normal_iteratorINS9_10device_ptrIiEEEESE_i11max_functorIiEiEEDaPvRmT3_T4_T5_mT6_P12ihipStream_tbENKUlT_T0_E_clISt17integral_constantIbLb0EEST_IbLb1EEEEDaSP_SQ_EUlSP_E0_NS1_11comp_targetILNS1_3genE0ELNS1_11target_archE4294967295ELNS1_3gpuE0ELNS1_3repE0EEENS1_30default_config_static_selectorELNS0_4arch9wavefront6targetE1EEEvT1_
	.p2align	8
	.type	_ZN7rocprim17ROCPRIM_400000_NS6detail17trampoline_kernelINS0_14default_configENS1_20scan_config_selectorIiEEZZNS1_9scan_implILNS1_25lookback_scan_determinismE0ELb1ELb1ES3_N6thrust23THRUST_200600_302600_NS6detail15normal_iteratorINS9_10device_ptrIiEEEESE_i11max_functorIiEiEEDaPvRmT3_T4_T5_mT6_P12ihipStream_tbENKUlT_T0_E_clISt17integral_constantIbLb0EEST_IbLb1EEEEDaSP_SQ_EUlSP_E0_NS1_11comp_targetILNS1_3genE0ELNS1_11target_archE4294967295ELNS1_3gpuE0ELNS1_3repE0EEENS1_30default_config_static_selectorELNS0_4arch9wavefront6targetE1EEEvT1_,@function
_ZN7rocprim17ROCPRIM_400000_NS6detail17trampoline_kernelINS0_14default_configENS1_20scan_config_selectorIiEEZZNS1_9scan_implILNS1_25lookback_scan_determinismE0ELb1ELb1ES3_N6thrust23THRUST_200600_302600_NS6detail15normal_iteratorINS9_10device_ptrIiEEEESE_i11max_functorIiEiEEDaPvRmT3_T4_T5_mT6_P12ihipStream_tbENKUlT_T0_E_clISt17integral_constantIbLb0EEST_IbLb1EEEEDaSP_SQ_EUlSP_E0_NS1_11comp_targetILNS1_3genE0ELNS1_11target_archE4294967295ELNS1_3gpuE0ELNS1_3repE0EEENS1_30default_config_static_selectorELNS0_4arch9wavefront6targetE1EEEvT1_: ; @_ZN7rocprim17ROCPRIM_400000_NS6detail17trampoline_kernelINS0_14default_configENS1_20scan_config_selectorIiEEZZNS1_9scan_implILNS1_25lookback_scan_determinismE0ELb1ELb1ES3_N6thrust23THRUST_200600_302600_NS6detail15normal_iteratorINS9_10device_ptrIiEEEESE_i11max_functorIiEiEEDaPvRmT3_T4_T5_mT6_P12ihipStream_tbENKUlT_T0_E_clISt17integral_constantIbLb0EEST_IbLb1EEEEDaSP_SQ_EUlSP_E0_NS1_11comp_targetILNS1_3genE0ELNS1_11target_archE4294967295ELNS1_3gpuE0ELNS1_3repE0EEENS1_30default_config_static_selectorELNS0_4arch9wavefront6targetE1EEEvT1_
; %bb.0:
	.section	.rodata,"a",@progbits
	.p2align	6, 0x0
	.amdhsa_kernel _ZN7rocprim17ROCPRIM_400000_NS6detail17trampoline_kernelINS0_14default_configENS1_20scan_config_selectorIiEEZZNS1_9scan_implILNS1_25lookback_scan_determinismE0ELb1ELb1ES3_N6thrust23THRUST_200600_302600_NS6detail15normal_iteratorINS9_10device_ptrIiEEEESE_i11max_functorIiEiEEDaPvRmT3_T4_T5_mT6_P12ihipStream_tbENKUlT_T0_E_clISt17integral_constantIbLb0EEST_IbLb1EEEEDaSP_SQ_EUlSP_E0_NS1_11comp_targetILNS1_3genE0ELNS1_11target_archE4294967295ELNS1_3gpuE0ELNS1_3repE0EEENS1_30default_config_static_selectorELNS0_4arch9wavefront6targetE1EEEvT1_
		.amdhsa_group_segment_fixed_size 0
		.amdhsa_private_segment_fixed_size 0
		.amdhsa_kernarg_size 32
		.amdhsa_user_sgpr_count 6
		.amdhsa_user_sgpr_private_segment_buffer 1
		.amdhsa_user_sgpr_dispatch_ptr 0
		.amdhsa_user_sgpr_queue_ptr 0
		.amdhsa_user_sgpr_kernarg_segment_ptr 1
		.amdhsa_user_sgpr_dispatch_id 0
		.amdhsa_user_sgpr_flat_scratch_init 0
		.amdhsa_user_sgpr_kernarg_preload_length 0
		.amdhsa_user_sgpr_kernarg_preload_offset 0
		.amdhsa_user_sgpr_private_segment_size 0
		.amdhsa_uses_dynamic_stack 0
		.amdhsa_system_sgpr_private_segment_wavefront_offset 0
		.amdhsa_system_sgpr_workgroup_id_x 1
		.amdhsa_system_sgpr_workgroup_id_y 0
		.amdhsa_system_sgpr_workgroup_id_z 0
		.amdhsa_system_sgpr_workgroup_info 0
		.amdhsa_system_vgpr_workitem_id 0
		.amdhsa_next_free_vgpr 1
		.amdhsa_next_free_sgpr 0
		.amdhsa_accum_offset 4
		.amdhsa_reserve_vcc 0
		.amdhsa_reserve_flat_scratch 0
		.amdhsa_float_round_mode_32 0
		.amdhsa_float_round_mode_16_64 0
		.amdhsa_float_denorm_mode_32 3
		.amdhsa_float_denorm_mode_16_64 3
		.amdhsa_dx10_clamp 1
		.amdhsa_ieee_mode 1
		.amdhsa_fp16_overflow 0
		.amdhsa_tg_split 0
		.amdhsa_exception_fp_ieee_invalid_op 0
		.amdhsa_exception_fp_denorm_src 0
		.amdhsa_exception_fp_ieee_div_zero 0
		.amdhsa_exception_fp_ieee_overflow 0
		.amdhsa_exception_fp_ieee_underflow 0
		.amdhsa_exception_fp_ieee_inexact 0
		.amdhsa_exception_int_div_zero 0
	.end_amdhsa_kernel
	.section	.text._ZN7rocprim17ROCPRIM_400000_NS6detail17trampoline_kernelINS0_14default_configENS1_20scan_config_selectorIiEEZZNS1_9scan_implILNS1_25lookback_scan_determinismE0ELb1ELb1ES3_N6thrust23THRUST_200600_302600_NS6detail15normal_iteratorINS9_10device_ptrIiEEEESE_i11max_functorIiEiEEDaPvRmT3_T4_T5_mT6_P12ihipStream_tbENKUlT_T0_E_clISt17integral_constantIbLb0EEST_IbLb1EEEEDaSP_SQ_EUlSP_E0_NS1_11comp_targetILNS1_3genE0ELNS1_11target_archE4294967295ELNS1_3gpuE0ELNS1_3repE0EEENS1_30default_config_static_selectorELNS0_4arch9wavefront6targetE1EEEvT1_,"axG",@progbits,_ZN7rocprim17ROCPRIM_400000_NS6detail17trampoline_kernelINS0_14default_configENS1_20scan_config_selectorIiEEZZNS1_9scan_implILNS1_25lookback_scan_determinismE0ELb1ELb1ES3_N6thrust23THRUST_200600_302600_NS6detail15normal_iteratorINS9_10device_ptrIiEEEESE_i11max_functorIiEiEEDaPvRmT3_T4_T5_mT6_P12ihipStream_tbENKUlT_T0_E_clISt17integral_constantIbLb0EEST_IbLb1EEEEDaSP_SQ_EUlSP_E0_NS1_11comp_targetILNS1_3genE0ELNS1_11target_archE4294967295ELNS1_3gpuE0ELNS1_3repE0EEENS1_30default_config_static_selectorELNS0_4arch9wavefront6targetE1EEEvT1_,comdat
.Lfunc_end2837:
	.size	_ZN7rocprim17ROCPRIM_400000_NS6detail17trampoline_kernelINS0_14default_configENS1_20scan_config_selectorIiEEZZNS1_9scan_implILNS1_25lookback_scan_determinismE0ELb1ELb1ES3_N6thrust23THRUST_200600_302600_NS6detail15normal_iteratorINS9_10device_ptrIiEEEESE_i11max_functorIiEiEEDaPvRmT3_T4_T5_mT6_P12ihipStream_tbENKUlT_T0_E_clISt17integral_constantIbLb0EEST_IbLb1EEEEDaSP_SQ_EUlSP_E0_NS1_11comp_targetILNS1_3genE0ELNS1_11target_archE4294967295ELNS1_3gpuE0ELNS1_3repE0EEENS1_30default_config_static_selectorELNS0_4arch9wavefront6targetE1EEEvT1_, .Lfunc_end2837-_ZN7rocprim17ROCPRIM_400000_NS6detail17trampoline_kernelINS0_14default_configENS1_20scan_config_selectorIiEEZZNS1_9scan_implILNS1_25lookback_scan_determinismE0ELb1ELb1ES3_N6thrust23THRUST_200600_302600_NS6detail15normal_iteratorINS9_10device_ptrIiEEEESE_i11max_functorIiEiEEDaPvRmT3_T4_T5_mT6_P12ihipStream_tbENKUlT_T0_E_clISt17integral_constantIbLb0EEST_IbLb1EEEEDaSP_SQ_EUlSP_E0_NS1_11comp_targetILNS1_3genE0ELNS1_11target_archE4294967295ELNS1_3gpuE0ELNS1_3repE0EEENS1_30default_config_static_selectorELNS0_4arch9wavefront6targetE1EEEvT1_
                                        ; -- End function
	.section	.AMDGPU.csdata,"",@progbits
; Kernel info:
; codeLenInByte = 0
; NumSgprs: 4
; NumVgprs: 0
; NumAgprs: 0
; TotalNumVgprs: 0
; ScratchSize: 0
; MemoryBound: 0
; FloatMode: 240
; IeeeMode: 1
; LDSByteSize: 0 bytes/workgroup (compile time only)
; SGPRBlocks: 0
; VGPRBlocks: 0
; NumSGPRsForWavesPerEU: 4
; NumVGPRsForWavesPerEU: 1
; AccumOffset: 4
; Occupancy: 8
; WaveLimiterHint : 0
; COMPUTE_PGM_RSRC2:SCRATCH_EN: 0
; COMPUTE_PGM_RSRC2:USER_SGPR: 6
; COMPUTE_PGM_RSRC2:TRAP_HANDLER: 0
; COMPUTE_PGM_RSRC2:TGID_X_EN: 1
; COMPUTE_PGM_RSRC2:TGID_Y_EN: 0
; COMPUTE_PGM_RSRC2:TGID_Z_EN: 0
; COMPUTE_PGM_RSRC2:TIDIG_COMP_CNT: 0
; COMPUTE_PGM_RSRC3_GFX90A:ACCUM_OFFSET: 0
; COMPUTE_PGM_RSRC3_GFX90A:TG_SPLIT: 0
	.section	.text._ZN7rocprim17ROCPRIM_400000_NS6detail17trampoline_kernelINS0_14default_configENS1_20scan_config_selectorIiEEZZNS1_9scan_implILNS1_25lookback_scan_determinismE0ELb1ELb1ES3_N6thrust23THRUST_200600_302600_NS6detail15normal_iteratorINS9_10device_ptrIiEEEESE_i11max_functorIiEiEEDaPvRmT3_T4_T5_mT6_P12ihipStream_tbENKUlT_T0_E_clISt17integral_constantIbLb0EEST_IbLb1EEEEDaSP_SQ_EUlSP_E0_NS1_11comp_targetILNS1_3genE5ELNS1_11target_archE942ELNS1_3gpuE9ELNS1_3repE0EEENS1_30default_config_static_selectorELNS0_4arch9wavefront6targetE1EEEvT1_,"axG",@progbits,_ZN7rocprim17ROCPRIM_400000_NS6detail17trampoline_kernelINS0_14default_configENS1_20scan_config_selectorIiEEZZNS1_9scan_implILNS1_25lookback_scan_determinismE0ELb1ELb1ES3_N6thrust23THRUST_200600_302600_NS6detail15normal_iteratorINS9_10device_ptrIiEEEESE_i11max_functorIiEiEEDaPvRmT3_T4_T5_mT6_P12ihipStream_tbENKUlT_T0_E_clISt17integral_constantIbLb0EEST_IbLb1EEEEDaSP_SQ_EUlSP_E0_NS1_11comp_targetILNS1_3genE5ELNS1_11target_archE942ELNS1_3gpuE9ELNS1_3repE0EEENS1_30default_config_static_selectorELNS0_4arch9wavefront6targetE1EEEvT1_,comdat
	.protected	_ZN7rocprim17ROCPRIM_400000_NS6detail17trampoline_kernelINS0_14default_configENS1_20scan_config_selectorIiEEZZNS1_9scan_implILNS1_25lookback_scan_determinismE0ELb1ELb1ES3_N6thrust23THRUST_200600_302600_NS6detail15normal_iteratorINS9_10device_ptrIiEEEESE_i11max_functorIiEiEEDaPvRmT3_T4_T5_mT6_P12ihipStream_tbENKUlT_T0_E_clISt17integral_constantIbLb0EEST_IbLb1EEEEDaSP_SQ_EUlSP_E0_NS1_11comp_targetILNS1_3genE5ELNS1_11target_archE942ELNS1_3gpuE9ELNS1_3repE0EEENS1_30default_config_static_selectorELNS0_4arch9wavefront6targetE1EEEvT1_ ; -- Begin function _ZN7rocprim17ROCPRIM_400000_NS6detail17trampoline_kernelINS0_14default_configENS1_20scan_config_selectorIiEEZZNS1_9scan_implILNS1_25lookback_scan_determinismE0ELb1ELb1ES3_N6thrust23THRUST_200600_302600_NS6detail15normal_iteratorINS9_10device_ptrIiEEEESE_i11max_functorIiEiEEDaPvRmT3_T4_T5_mT6_P12ihipStream_tbENKUlT_T0_E_clISt17integral_constantIbLb0EEST_IbLb1EEEEDaSP_SQ_EUlSP_E0_NS1_11comp_targetILNS1_3genE5ELNS1_11target_archE942ELNS1_3gpuE9ELNS1_3repE0EEENS1_30default_config_static_selectorELNS0_4arch9wavefront6targetE1EEEvT1_
	.globl	_ZN7rocprim17ROCPRIM_400000_NS6detail17trampoline_kernelINS0_14default_configENS1_20scan_config_selectorIiEEZZNS1_9scan_implILNS1_25lookback_scan_determinismE0ELb1ELb1ES3_N6thrust23THRUST_200600_302600_NS6detail15normal_iteratorINS9_10device_ptrIiEEEESE_i11max_functorIiEiEEDaPvRmT3_T4_T5_mT6_P12ihipStream_tbENKUlT_T0_E_clISt17integral_constantIbLb0EEST_IbLb1EEEEDaSP_SQ_EUlSP_E0_NS1_11comp_targetILNS1_3genE5ELNS1_11target_archE942ELNS1_3gpuE9ELNS1_3repE0EEENS1_30default_config_static_selectorELNS0_4arch9wavefront6targetE1EEEvT1_
	.p2align	8
	.type	_ZN7rocprim17ROCPRIM_400000_NS6detail17trampoline_kernelINS0_14default_configENS1_20scan_config_selectorIiEEZZNS1_9scan_implILNS1_25lookback_scan_determinismE0ELb1ELb1ES3_N6thrust23THRUST_200600_302600_NS6detail15normal_iteratorINS9_10device_ptrIiEEEESE_i11max_functorIiEiEEDaPvRmT3_T4_T5_mT6_P12ihipStream_tbENKUlT_T0_E_clISt17integral_constantIbLb0EEST_IbLb1EEEEDaSP_SQ_EUlSP_E0_NS1_11comp_targetILNS1_3genE5ELNS1_11target_archE942ELNS1_3gpuE9ELNS1_3repE0EEENS1_30default_config_static_selectorELNS0_4arch9wavefront6targetE1EEEvT1_,@function
_ZN7rocprim17ROCPRIM_400000_NS6detail17trampoline_kernelINS0_14default_configENS1_20scan_config_selectorIiEEZZNS1_9scan_implILNS1_25lookback_scan_determinismE0ELb1ELb1ES3_N6thrust23THRUST_200600_302600_NS6detail15normal_iteratorINS9_10device_ptrIiEEEESE_i11max_functorIiEiEEDaPvRmT3_T4_T5_mT6_P12ihipStream_tbENKUlT_T0_E_clISt17integral_constantIbLb0EEST_IbLb1EEEEDaSP_SQ_EUlSP_E0_NS1_11comp_targetILNS1_3genE5ELNS1_11target_archE942ELNS1_3gpuE9ELNS1_3repE0EEENS1_30default_config_static_selectorELNS0_4arch9wavefront6targetE1EEEvT1_: ; @_ZN7rocprim17ROCPRIM_400000_NS6detail17trampoline_kernelINS0_14default_configENS1_20scan_config_selectorIiEEZZNS1_9scan_implILNS1_25lookback_scan_determinismE0ELb1ELb1ES3_N6thrust23THRUST_200600_302600_NS6detail15normal_iteratorINS9_10device_ptrIiEEEESE_i11max_functorIiEiEEDaPvRmT3_T4_T5_mT6_P12ihipStream_tbENKUlT_T0_E_clISt17integral_constantIbLb0EEST_IbLb1EEEEDaSP_SQ_EUlSP_E0_NS1_11comp_targetILNS1_3genE5ELNS1_11target_archE942ELNS1_3gpuE9ELNS1_3repE0EEENS1_30default_config_static_selectorELNS0_4arch9wavefront6targetE1EEEvT1_
; %bb.0:
	.section	.rodata,"a",@progbits
	.p2align	6, 0x0
	.amdhsa_kernel _ZN7rocprim17ROCPRIM_400000_NS6detail17trampoline_kernelINS0_14default_configENS1_20scan_config_selectorIiEEZZNS1_9scan_implILNS1_25lookback_scan_determinismE0ELb1ELb1ES3_N6thrust23THRUST_200600_302600_NS6detail15normal_iteratorINS9_10device_ptrIiEEEESE_i11max_functorIiEiEEDaPvRmT3_T4_T5_mT6_P12ihipStream_tbENKUlT_T0_E_clISt17integral_constantIbLb0EEST_IbLb1EEEEDaSP_SQ_EUlSP_E0_NS1_11comp_targetILNS1_3genE5ELNS1_11target_archE942ELNS1_3gpuE9ELNS1_3repE0EEENS1_30default_config_static_selectorELNS0_4arch9wavefront6targetE1EEEvT1_
		.amdhsa_group_segment_fixed_size 0
		.amdhsa_private_segment_fixed_size 0
		.amdhsa_kernarg_size 32
		.amdhsa_user_sgpr_count 6
		.amdhsa_user_sgpr_private_segment_buffer 1
		.amdhsa_user_sgpr_dispatch_ptr 0
		.amdhsa_user_sgpr_queue_ptr 0
		.amdhsa_user_sgpr_kernarg_segment_ptr 1
		.amdhsa_user_sgpr_dispatch_id 0
		.amdhsa_user_sgpr_flat_scratch_init 0
		.amdhsa_user_sgpr_kernarg_preload_length 0
		.amdhsa_user_sgpr_kernarg_preload_offset 0
		.amdhsa_user_sgpr_private_segment_size 0
		.amdhsa_uses_dynamic_stack 0
		.amdhsa_system_sgpr_private_segment_wavefront_offset 0
		.amdhsa_system_sgpr_workgroup_id_x 1
		.amdhsa_system_sgpr_workgroup_id_y 0
		.amdhsa_system_sgpr_workgroup_id_z 0
		.amdhsa_system_sgpr_workgroup_info 0
		.amdhsa_system_vgpr_workitem_id 0
		.amdhsa_next_free_vgpr 1
		.amdhsa_next_free_sgpr 0
		.amdhsa_accum_offset 4
		.amdhsa_reserve_vcc 0
		.amdhsa_reserve_flat_scratch 0
		.amdhsa_float_round_mode_32 0
		.amdhsa_float_round_mode_16_64 0
		.amdhsa_float_denorm_mode_32 3
		.amdhsa_float_denorm_mode_16_64 3
		.amdhsa_dx10_clamp 1
		.amdhsa_ieee_mode 1
		.amdhsa_fp16_overflow 0
		.amdhsa_tg_split 0
		.amdhsa_exception_fp_ieee_invalid_op 0
		.amdhsa_exception_fp_denorm_src 0
		.amdhsa_exception_fp_ieee_div_zero 0
		.amdhsa_exception_fp_ieee_overflow 0
		.amdhsa_exception_fp_ieee_underflow 0
		.amdhsa_exception_fp_ieee_inexact 0
		.amdhsa_exception_int_div_zero 0
	.end_amdhsa_kernel
	.section	.text._ZN7rocprim17ROCPRIM_400000_NS6detail17trampoline_kernelINS0_14default_configENS1_20scan_config_selectorIiEEZZNS1_9scan_implILNS1_25lookback_scan_determinismE0ELb1ELb1ES3_N6thrust23THRUST_200600_302600_NS6detail15normal_iteratorINS9_10device_ptrIiEEEESE_i11max_functorIiEiEEDaPvRmT3_T4_T5_mT6_P12ihipStream_tbENKUlT_T0_E_clISt17integral_constantIbLb0EEST_IbLb1EEEEDaSP_SQ_EUlSP_E0_NS1_11comp_targetILNS1_3genE5ELNS1_11target_archE942ELNS1_3gpuE9ELNS1_3repE0EEENS1_30default_config_static_selectorELNS0_4arch9wavefront6targetE1EEEvT1_,"axG",@progbits,_ZN7rocprim17ROCPRIM_400000_NS6detail17trampoline_kernelINS0_14default_configENS1_20scan_config_selectorIiEEZZNS1_9scan_implILNS1_25lookback_scan_determinismE0ELb1ELb1ES3_N6thrust23THRUST_200600_302600_NS6detail15normal_iteratorINS9_10device_ptrIiEEEESE_i11max_functorIiEiEEDaPvRmT3_T4_T5_mT6_P12ihipStream_tbENKUlT_T0_E_clISt17integral_constantIbLb0EEST_IbLb1EEEEDaSP_SQ_EUlSP_E0_NS1_11comp_targetILNS1_3genE5ELNS1_11target_archE942ELNS1_3gpuE9ELNS1_3repE0EEENS1_30default_config_static_selectorELNS0_4arch9wavefront6targetE1EEEvT1_,comdat
.Lfunc_end2838:
	.size	_ZN7rocprim17ROCPRIM_400000_NS6detail17trampoline_kernelINS0_14default_configENS1_20scan_config_selectorIiEEZZNS1_9scan_implILNS1_25lookback_scan_determinismE0ELb1ELb1ES3_N6thrust23THRUST_200600_302600_NS6detail15normal_iteratorINS9_10device_ptrIiEEEESE_i11max_functorIiEiEEDaPvRmT3_T4_T5_mT6_P12ihipStream_tbENKUlT_T0_E_clISt17integral_constantIbLb0EEST_IbLb1EEEEDaSP_SQ_EUlSP_E0_NS1_11comp_targetILNS1_3genE5ELNS1_11target_archE942ELNS1_3gpuE9ELNS1_3repE0EEENS1_30default_config_static_selectorELNS0_4arch9wavefront6targetE1EEEvT1_, .Lfunc_end2838-_ZN7rocprim17ROCPRIM_400000_NS6detail17trampoline_kernelINS0_14default_configENS1_20scan_config_selectorIiEEZZNS1_9scan_implILNS1_25lookback_scan_determinismE0ELb1ELb1ES3_N6thrust23THRUST_200600_302600_NS6detail15normal_iteratorINS9_10device_ptrIiEEEESE_i11max_functorIiEiEEDaPvRmT3_T4_T5_mT6_P12ihipStream_tbENKUlT_T0_E_clISt17integral_constantIbLb0EEST_IbLb1EEEEDaSP_SQ_EUlSP_E0_NS1_11comp_targetILNS1_3genE5ELNS1_11target_archE942ELNS1_3gpuE9ELNS1_3repE0EEENS1_30default_config_static_selectorELNS0_4arch9wavefront6targetE1EEEvT1_
                                        ; -- End function
	.section	.AMDGPU.csdata,"",@progbits
; Kernel info:
; codeLenInByte = 0
; NumSgprs: 4
; NumVgprs: 0
; NumAgprs: 0
; TotalNumVgprs: 0
; ScratchSize: 0
; MemoryBound: 0
; FloatMode: 240
; IeeeMode: 1
; LDSByteSize: 0 bytes/workgroup (compile time only)
; SGPRBlocks: 0
; VGPRBlocks: 0
; NumSGPRsForWavesPerEU: 4
; NumVGPRsForWavesPerEU: 1
; AccumOffset: 4
; Occupancy: 8
; WaveLimiterHint : 0
; COMPUTE_PGM_RSRC2:SCRATCH_EN: 0
; COMPUTE_PGM_RSRC2:USER_SGPR: 6
; COMPUTE_PGM_RSRC2:TRAP_HANDLER: 0
; COMPUTE_PGM_RSRC2:TGID_X_EN: 1
; COMPUTE_PGM_RSRC2:TGID_Y_EN: 0
; COMPUTE_PGM_RSRC2:TGID_Z_EN: 0
; COMPUTE_PGM_RSRC2:TIDIG_COMP_CNT: 0
; COMPUTE_PGM_RSRC3_GFX90A:ACCUM_OFFSET: 0
; COMPUTE_PGM_RSRC3_GFX90A:TG_SPLIT: 0
	.section	.text._ZN7rocprim17ROCPRIM_400000_NS6detail17trampoline_kernelINS0_14default_configENS1_20scan_config_selectorIiEEZZNS1_9scan_implILNS1_25lookback_scan_determinismE0ELb1ELb1ES3_N6thrust23THRUST_200600_302600_NS6detail15normal_iteratorINS9_10device_ptrIiEEEESE_i11max_functorIiEiEEDaPvRmT3_T4_T5_mT6_P12ihipStream_tbENKUlT_T0_E_clISt17integral_constantIbLb0EEST_IbLb1EEEEDaSP_SQ_EUlSP_E0_NS1_11comp_targetILNS1_3genE4ELNS1_11target_archE910ELNS1_3gpuE8ELNS1_3repE0EEENS1_30default_config_static_selectorELNS0_4arch9wavefront6targetE1EEEvT1_,"axG",@progbits,_ZN7rocprim17ROCPRIM_400000_NS6detail17trampoline_kernelINS0_14default_configENS1_20scan_config_selectorIiEEZZNS1_9scan_implILNS1_25lookback_scan_determinismE0ELb1ELb1ES3_N6thrust23THRUST_200600_302600_NS6detail15normal_iteratorINS9_10device_ptrIiEEEESE_i11max_functorIiEiEEDaPvRmT3_T4_T5_mT6_P12ihipStream_tbENKUlT_T0_E_clISt17integral_constantIbLb0EEST_IbLb1EEEEDaSP_SQ_EUlSP_E0_NS1_11comp_targetILNS1_3genE4ELNS1_11target_archE910ELNS1_3gpuE8ELNS1_3repE0EEENS1_30default_config_static_selectorELNS0_4arch9wavefront6targetE1EEEvT1_,comdat
	.protected	_ZN7rocprim17ROCPRIM_400000_NS6detail17trampoline_kernelINS0_14default_configENS1_20scan_config_selectorIiEEZZNS1_9scan_implILNS1_25lookback_scan_determinismE0ELb1ELb1ES3_N6thrust23THRUST_200600_302600_NS6detail15normal_iteratorINS9_10device_ptrIiEEEESE_i11max_functorIiEiEEDaPvRmT3_T4_T5_mT6_P12ihipStream_tbENKUlT_T0_E_clISt17integral_constantIbLb0EEST_IbLb1EEEEDaSP_SQ_EUlSP_E0_NS1_11comp_targetILNS1_3genE4ELNS1_11target_archE910ELNS1_3gpuE8ELNS1_3repE0EEENS1_30default_config_static_selectorELNS0_4arch9wavefront6targetE1EEEvT1_ ; -- Begin function _ZN7rocprim17ROCPRIM_400000_NS6detail17trampoline_kernelINS0_14default_configENS1_20scan_config_selectorIiEEZZNS1_9scan_implILNS1_25lookback_scan_determinismE0ELb1ELb1ES3_N6thrust23THRUST_200600_302600_NS6detail15normal_iteratorINS9_10device_ptrIiEEEESE_i11max_functorIiEiEEDaPvRmT3_T4_T5_mT6_P12ihipStream_tbENKUlT_T0_E_clISt17integral_constantIbLb0EEST_IbLb1EEEEDaSP_SQ_EUlSP_E0_NS1_11comp_targetILNS1_3genE4ELNS1_11target_archE910ELNS1_3gpuE8ELNS1_3repE0EEENS1_30default_config_static_selectorELNS0_4arch9wavefront6targetE1EEEvT1_
	.globl	_ZN7rocprim17ROCPRIM_400000_NS6detail17trampoline_kernelINS0_14default_configENS1_20scan_config_selectorIiEEZZNS1_9scan_implILNS1_25lookback_scan_determinismE0ELb1ELb1ES3_N6thrust23THRUST_200600_302600_NS6detail15normal_iteratorINS9_10device_ptrIiEEEESE_i11max_functorIiEiEEDaPvRmT3_T4_T5_mT6_P12ihipStream_tbENKUlT_T0_E_clISt17integral_constantIbLb0EEST_IbLb1EEEEDaSP_SQ_EUlSP_E0_NS1_11comp_targetILNS1_3genE4ELNS1_11target_archE910ELNS1_3gpuE8ELNS1_3repE0EEENS1_30default_config_static_selectorELNS0_4arch9wavefront6targetE1EEEvT1_
	.p2align	8
	.type	_ZN7rocprim17ROCPRIM_400000_NS6detail17trampoline_kernelINS0_14default_configENS1_20scan_config_selectorIiEEZZNS1_9scan_implILNS1_25lookback_scan_determinismE0ELb1ELb1ES3_N6thrust23THRUST_200600_302600_NS6detail15normal_iteratorINS9_10device_ptrIiEEEESE_i11max_functorIiEiEEDaPvRmT3_T4_T5_mT6_P12ihipStream_tbENKUlT_T0_E_clISt17integral_constantIbLb0EEST_IbLb1EEEEDaSP_SQ_EUlSP_E0_NS1_11comp_targetILNS1_3genE4ELNS1_11target_archE910ELNS1_3gpuE8ELNS1_3repE0EEENS1_30default_config_static_selectorELNS0_4arch9wavefront6targetE1EEEvT1_,@function
_ZN7rocprim17ROCPRIM_400000_NS6detail17trampoline_kernelINS0_14default_configENS1_20scan_config_selectorIiEEZZNS1_9scan_implILNS1_25lookback_scan_determinismE0ELb1ELb1ES3_N6thrust23THRUST_200600_302600_NS6detail15normal_iteratorINS9_10device_ptrIiEEEESE_i11max_functorIiEiEEDaPvRmT3_T4_T5_mT6_P12ihipStream_tbENKUlT_T0_E_clISt17integral_constantIbLb0EEST_IbLb1EEEEDaSP_SQ_EUlSP_E0_NS1_11comp_targetILNS1_3genE4ELNS1_11target_archE910ELNS1_3gpuE8ELNS1_3repE0EEENS1_30default_config_static_selectorELNS0_4arch9wavefront6targetE1EEEvT1_: ; @_ZN7rocprim17ROCPRIM_400000_NS6detail17trampoline_kernelINS0_14default_configENS1_20scan_config_selectorIiEEZZNS1_9scan_implILNS1_25lookback_scan_determinismE0ELb1ELb1ES3_N6thrust23THRUST_200600_302600_NS6detail15normal_iteratorINS9_10device_ptrIiEEEESE_i11max_functorIiEiEEDaPvRmT3_T4_T5_mT6_P12ihipStream_tbENKUlT_T0_E_clISt17integral_constantIbLb0EEST_IbLb1EEEEDaSP_SQ_EUlSP_E0_NS1_11comp_targetILNS1_3genE4ELNS1_11target_archE910ELNS1_3gpuE8ELNS1_3repE0EEENS1_30default_config_static_selectorELNS0_4arch9wavefront6targetE1EEEvT1_
; %bb.0:
	s_load_dwordx4 s[20:23], s[4:5], 0x0
	v_lshlrev_b32_e32 v14, 2, v0
	s_waitcnt lgkmcnt(0)
	s_load_dword s23, s[20:21], 0x0
	v_cmp_gt_u32_e32 vcc, s22, v0
	s_waitcnt lgkmcnt(0)
	v_mov_b32_e32 v1, s23
	s_and_saveexec_b64 s[0:1], vcc
	s_cbranch_execz .LBB2839_2
; %bb.1:
	global_load_dword v1, v14, s[20:21]
.LBB2839_2:
	s_or_b64 exec, exec, s[0:1]
	v_or_b32_e32 v2, 0x80, v0
	v_cmp_gt_u32_e64 s[0:1], s22, v2
	v_mov_b32_e32 v2, s23
	s_and_saveexec_b64 s[2:3], s[0:1]
	s_cbranch_execz .LBB2839_4
; %bb.3:
	global_load_dword v2, v14, s[20:21] offset:512
.LBB2839_4:
	s_or_b64 exec, exec, s[2:3]
	v_or_b32_e32 v3, 0x100, v0
	v_cmp_gt_u32_e64 s[2:3], s22, v3
	v_mov_b32_e32 v3, s23
	s_and_saveexec_b64 s[6:7], s[2:3]
	s_cbranch_execz .LBB2839_6
; %bb.5:
	global_load_dword v3, v14, s[20:21] offset:1024
.LBB2839_6:
	;; [unrolled: 9-line block ×7, first 2 shown]
	s_or_b64 exec, exec, s[14:15]
	v_or_b32_e32 v10, 0x400, v0
	v_cmp_gt_u32_e64 s[14:15], s22, v10
	v_mov_b32_e32 v9, s23
	s_and_saveexec_b64 s[16:17], s[14:15]
	s_cbranch_execz .LBB2839_18
; %bb.17:
	v_lshlrev_b32_e32 v9, 2, v10
	global_load_dword v9, v9, s[20:21]
.LBB2839_18:
	s_or_b64 exec, exec, s[16:17]
	s_load_dword s24, s[4:5], 0x10
	v_or_b32_e32 v11, 0x480, v0
	v_cmp_gt_u32_e64 s[16:17], s22, v11
	v_mov_b32_e32 v10, s23
	s_and_saveexec_b64 s[22:23], s[16:17]
	s_cbranch_execz .LBB2839_20
; %bb.19:
	v_lshlrev_b32_e32 v10, 2, v11
	global_load_dword v10, v10, s[20:21]
.LBB2839_20:
	s_or_b64 exec, exec, s[22:23]
	s_waitcnt vmcnt(0)
	ds_write2st64_b32 v14, v1, v2 offset1:2
	ds_write2st64_b32 v14, v3, v4 offset0:4 offset1:6
	ds_write2st64_b32 v14, v5, v6 offset0:8 offset1:10
	;; [unrolled: 1-line block ×4, first 2 shown]
	v_mad_u32_u24 v1, v0, 36, v14
	s_waitcnt lgkmcnt(0)
	s_barrier
	ds_read2_b64 v[6:9], v1 offset1:1
	ds_read2_b64 v[2:5], v1 offset0:2 offset1:3
	ds_read_b64 v[10:11], v1 offset:32
	s_load_dwordx2 s[20:21], s[4:5], 0x18
	v_cmp_gt_u32_e64 s[4:5], 64, v0
	s_waitcnt lgkmcnt(0)
	v_max_i32_e32 v12, v6, v7
	v_max3_i32 v12, v12, v8, v9
	v_max3_i32 v12, v12, v2, v3
	v_max3_i32 v12, v12, v4, v5
	v_max3_i32 v11, v12, v10, v11
	v_lshrrev_b32_e32 v12, 3, v0
	v_and_b32_e32 v12, 12, v12
	v_add_u32_e32 v12, v14, v12
	s_barrier
	ds_write_b32 v12, v11
	s_waitcnt lgkmcnt(0)
	s_barrier
	s_and_saveexec_b64 s[22:23], s[4:5]
	s_cbranch_execz .LBB2839_22
; %bb.21:
	v_lshlrev_b32_e32 v12, 1, v0
	v_lshrrev_b32_e32 v13, 4, v0
	v_add_lshl_u32 v15, v13, v12, 2
	ds_read2_b32 v[12:13], v15 offset1:1
	v_mbcnt_lo_u32_b32 v16, -1, 0
	v_mbcnt_hi_u32_b32 v16, -1, v16
	v_and_b32_e32 v17, 15, v16
	v_cmp_eq_u32_e64 s[4:5], 0, v17
	s_waitcnt lgkmcnt(0)
	v_max_i32_e32 v13, v12, v13
	; wave barrier
	s_nop 1
	v_mov_b32_dpp v18, v13 row_shr:1 row_mask:0xf bank_mask:0xf
	v_max_i32_e32 v18, v18, v13
	v_cndmask_b32_e64 v13, v18, v13, s[4:5]
	v_cmp_lt_u32_e64 s[4:5], 1, v17
	s_nop 0
	v_mov_b32_dpp v18, v13 row_shr:2 row_mask:0xf bank_mask:0xf
	v_max_i32_e32 v18, v18, v13
	v_cndmask_b32_e64 v13, v13, v18, s[4:5]
	v_cmp_lt_u32_e64 s[4:5], 3, v17
	;; [unrolled: 5-line block ×3, first 2 shown]
	s_nop 0
	v_mov_b32_dpp v18, v13 row_shr:8 row_mask:0xf bank_mask:0xf
	v_max_i32_e32 v18, v18, v13
	v_cndmask_b32_e64 v13, v13, v18, s[4:5]
	v_and_b32_e32 v18, 16, v16
	v_cmp_eq_u32_e64 s[4:5], 0, v18
	v_mov_b32_dpp v17, v13 row_bcast:15 row_mask:0xf bank_mask:0xf
	v_max_i32_e32 v17, v17, v13
	v_cndmask_b32_e64 v13, v17, v13, s[4:5]
	v_cmp_lt_u32_e64 s[4:5], 31, v16
	v_and_b32_e32 v18, 64, v16
	v_mov_b32_dpp v17, v13 row_bcast:31 row_mask:0xf bank_mask:0xf
	v_max_i32_e32 v17, v17, v13
	v_cndmask_b32_e64 v13, v13, v17, s[4:5]
	v_add_u32_e32 v17, -1, v16
	v_cmp_lt_i32_e64 s[4:5], v17, v18
	v_cndmask_b32_e64 v16, v17, v16, s[4:5]
	v_lshlrev_b32_e32 v16, 2, v16
	ds_bpermute_b32 v13, v16, v13
	v_cmp_eq_u32_e64 s[4:5], 0, v0
	s_waitcnt lgkmcnt(0)
	v_max_i32_e32 v12, v13, v12
	v_cndmask_b32_e64 v11, v12, v11, s[4:5]
	ds_write_b32 v15, v11
	; wave barrier
	ds_read_b32 v12, v15 offset:4
	s_waitcnt lgkmcnt(0)
	v_max_i32_e32 v11, v11, v12
	ds_write_b32 v15, v11 offset:4
.LBB2839_22:
	s_or_b64 exec, exec, s[22:23]
	v_cmp_ne_u32_e64 s[4:5], 0, v0
	v_mov_b32_e32 v12, s24
	s_waitcnt lgkmcnt(0)
	s_barrier
	s_and_saveexec_b64 s[22:23], s[4:5]
	s_cbranch_execz .LBB2839_24
; %bb.23:
	v_add_u32_e32 v11, -1, v0
	v_lshrrev_b32_e32 v12, 5, v11
	v_add_lshl_u32 v11, v12, v11, 2
	ds_read_b32 v11, v11
	s_waitcnt lgkmcnt(0)
	v_max_i32_e32 v12, s24, v11
.LBB2839_24:
	s_or_b64 exec, exec, s[22:23]
	v_max_i32_e32 v13, v12, v6
	v_max_i32_e32 v6, v13, v7
	;; [unrolled: 1-line block ×8, first 2 shown]
	s_movk_i32 s4, 0xffdc
	v_max_i32_e32 v5, v4, v10
	v_mad_i32_i24 v0, v0, s4, v1
	s_barrier
	ds_write2_b64 v1, v[12:13], v[6:7] offset1:1
	ds_write2_b64 v1, v[8:9], v[2:3] offset0:2 offset1:3
	ds_write_b64 v1, v[4:5] offset:32
	s_waitcnt lgkmcnt(0)
	s_barrier
	ds_read2st64_b32 v[8:9], v0 offset0:2 offset1:4
	ds_read2st64_b32 v[6:7], v0 offset0:6 offset1:8
	;; [unrolled: 1-line block ×4, first 2 shown]
	ds_read_b32 v10, v14 offset:4096
	v_mov_b32_e32 v3, s21
	v_add_co_u32_e64 v2, s[4:5], s20, v14
	v_addc_co_u32_e64 v3, s[4:5], 0, v3, s[4:5]
	s_and_saveexec_b64 s[4:5], vcc
	s_cbranch_execnz .LBB2839_35
; %bb.25:
	s_or_b64 exec, exec, s[4:5]
	s_and_saveexec_b64 s[4:5], s[0:1]
	s_cbranch_execnz .LBB2839_36
.LBB2839_26:
	s_or_b64 exec, exec, s[4:5]
	s_and_saveexec_b64 s[0:1], s[2:3]
	s_cbranch_execnz .LBB2839_37
.LBB2839_27:
	s_or_b64 exec, exec, s[0:1]
	s_and_saveexec_b64 s[0:1], s[18:19]
	s_cbranch_execnz .LBB2839_38
.LBB2839_28:
	s_or_b64 exec, exec, s[0:1]
	s_and_saveexec_b64 s[0:1], s[6:7]
	s_cbranch_execnz .LBB2839_39
.LBB2839_29:
	s_or_b64 exec, exec, s[0:1]
	s_and_saveexec_b64 s[0:1], s[8:9]
	s_cbranch_execnz .LBB2839_40
.LBB2839_30:
	s_or_b64 exec, exec, s[0:1]
	s_and_saveexec_b64 s[0:1], s[10:11]
	s_cbranch_execnz .LBB2839_41
.LBB2839_31:
	s_or_b64 exec, exec, s[0:1]
	s_and_saveexec_b64 s[0:1], s[12:13]
	s_cbranch_execnz .LBB2839_42
.LBB2839_32:
	s_or_b64 exec, exec, s[0:1]
	s_and_saveexec_b64 s[0:1], s[14:15]
	s_cbranch_execnz .LBB2839_43
.LBB2839_33:
	s_or_b64 exec, exec, s[0:1]
	s_and_saveexec_b64 s[0:1], s[16:17]
	s_cbranch_execnz .LBB2839_44
.LBB2839_34:
	s_endpgm
.LBB2839_35:
	ds_read_b32 v11, v14
	s_waitcnt lgkmcnt(0)
	global_store_dword v[2:3], v11, off
	s_or_b64 exec, exec, s[4:5]
	s_and_saveexec_b64 s[4:5], s[0:1]
	s_cbranch_execz .LBB2839_26
.LBB2839_36:
	s_waitcnt lgkmcnt(4)
	global_store_dword v[2:3], v8, off offset:512
	s_or_b64 exec, exec, s[4:5]
	s_and_saveexec_b64 s[0:1], s[2:3]
	s_cbranch_execz .LBB2839_27
.LBB2839_37:
	s_waitcnt lgkmcnt(4)
	global_store_dword v[2:3], v9, off offset:1024
	s_or_b64 exec, exec, s[0:1]
	s_and_saveexec_b64 s[0:1], s[18:19]
	s_cbranch_execz .LBB2839_28
.LBB2839_38:
	s_waitcnt lgkmcnt(3)
	global_store_dword v[2:3], v6, off offset:1536
	s_or_b64 exec, exec, s[0:1]
	s_and_saveexec_b64 s[0:1], s[6:7]
	s_cbranch_execz .LBB2839_29
.LBB2839_39:
	s_waitcnt lgkmcnt(3)
	global_store_dword v[2:3], v7, off offset:2048
	s_or_b64 exec, exec, s[0:1]
	s_and_saveexec_b64 s[0:1], s[8:9]
	s_cbranch_execz .LBB2839_30
.LBB2839_40:
	s_waitcnt lgkmcnt(2)
	global_store_dword v[2:3], v4, off offset:2560
	s_or_b64 exec, exec, s[0:1]
	s_and_saveexec_b64 s[0:1], s[10:11]
	s_cbranch_execz .LBB2839_31
.LBB2839_41:
	s_waitcnt lgkmcnt(2)
	global_store_dword v[2:3], v5, off offset:3072
	s_or_b64 exec, exec, s[0:1]
	s_and_saveexec_b64 s[0:1], s[12:13]
	s_cbranch_execz .LBB2839_32
.LBB2839_42:
	s_waitcnt lgkmcnt(1)
	global_store_dword v[2:3], v0, off offset:3584
	s_or_b64 exec, exec, s[0:1]
	s_and_saveexec_b64 s[0:1], s[14:15]
	s_cbranch_execz .LBB2839_33
.LBB2839_43:
	s_waitcnt lgkmcnt(2)
	v_add_co_u32_e32 v4, vcc, 0x1000, v2
	v_addc_co_u32_e32 v5, vcc, 0, v3, vcc
	s_waitcnt lgkmcnt(0)
	global_store_dword v[4:5], v10, off
	s_or_b64 exec, exec, s[0:1]
	s_and_saveexec_b64 s[0:1], s[16:17]
	s_cbranch_execz .LBB2839_34
.LBB2839_44:
	v_add_co_u32_e32 v2, vcc, 0x1000, v2
	v_addc_co_u32_e32 v3, vcc, 0, v3, vcc
	s_waitcnt lgkmcnt(1)
	global_store_dword v[2:3], v1, off offset:512
	s_endpgm
	.section	.rodata,"a",@progbits
	.p2align	6, 0x0
	.amdhsa_kernel _ZN7rocprim17ROCPRIM_400000_NS6detail17trampoline_kernelINS0_14default_configENS1_20scan_config_selectorIiEEZZNS1_9scan_implILNS1_25lookback_scan_determinismE0ELb1ELb1ES3_N6thrust23THRUST_200600_302600_NS6detail15normal_iteratorINS9_10device_ptrIiEEEESE_i11max_functorIiEiEEDaPvRmT3_T4_T5_mT6_P12ihipStream_tbENKUlT_T0_E_clISt17integral_constantIbLb0EEST_IbLb1EEEEDaSP_SQ_EUlSP_E0_NS1_11comp_targetILNS1_3genE4ELNS1_11target_archE910ELNS1_3gpuE8ELNS1_3repE0EEENS1_30default_config_static_selectorELNS0_4arch9wavefront6targetE1EEEvT1_
		.amdhsa_group_segment_fixed_size 5120
		.amdhsa_private_segment_fixed_size 0
		.amdhsa_kernarg_size 32
		.amdhsa_user_sgpr_count 6
		.amdhsa_user_sgpr_private_segment_buffer 1
		.amdhsa_user_sgpr_dispatch_ptr 0
		.amdhsa_user_sgpr_queue_ptr 0
		.amdhsa_user_sgpr_kernarg_segment_ptr 1
		.amdhsa_user_sgpr_dispatch_id 0
		.amdhsa_user_sgpr_flat_scratch_init 0
		.amdhsa_user_sgpr_kernarg_preload_length 0
		.amdhsa_user_sgpr_kernarg_preload_offset 0
		.amdhsa_user_sgpr_private_segment_size 0
		.amdhsa_uses_dynamic_stack 0
		.amdhsa_system_sgpr_private_segment_wavefront_offset 0
		.amdhsa_system_sgpr_workgroup_id_x 1
		.amdhsa_system_sgpr_workgroup_id_y 0
		.amdhsa_system_sgpr_workgroup_id_z 0
		.amdhsa_system_sgpr_workgroup_info 0
		.amdhsa_system_vgpr_workitem_id 0
		.amdhsa_next_free_vgpr 19
		.amdhsa_next_free_sgpr 25
		.amdhsa_accum_offset 20
		.amdhsa_reserve_vcc 1
		.amdhsa_reserve_flat_scratch 0
		.amdhsa_float_round_mode_32 0
		.amdhsa_float_round_mode_16_64 0
		.amdhsa_float_denorm_mode_32 3
		.amdhsa_float_denorm_mode_16_64 3
		.amdhsa_dx10_clamp 1
		.amdhsa_ieee_mode 1
		.amdhsa_fp16_overflow 0
		.amdhsa_tg_split 0
		.amdhsa_exception_fp_ieee_invalid_op 0
		.amdhsa_exception_fp_denorm_src 0
		.amdhsa_exception_fp_ieee_div_zero 0
		.amdhsa_exception_fp_ieee_overflow 0
		.amdhsa_exception_fp_ieee_underflow 0
		.amdhsa_exception_fp_ieee_inexact 0
		.amdhsa_exception_int_div_zero 0
	.end_amdhsa_kernel
	.section	.text._ZN7rocprim17ROCPRIM_400000_NS6detail17trampoline_kernelINS0_14default_configENS1_20scan_config_selectorIiEEZZNS1_9scan_implILNS1_25lookback_scan_determinismE0ELb1ELb1ES3_N6thrust23THRUST_200600_302600_NS6detail15normal_iteratorINS9_10device_ptrIiEEEESE_i11max_functorIiEiEEDaPvRmT3_T4_T5_mT6_P12ihipStream_tbENKUlT_T0_E_clISt17integral_constantIbLb0EEST_IbLb1EEEEDaSP_SQ_EUlSP_E0_NS1_11comp_targetILNS1_3genE4ELNS1_11target_archE910ELNS1_3gpuE8ELNS1_3repE0EEENS1_30default_config_static_selectorELNS0_4arch9wavefront6targetE1EEEvT1_,"axG",@progbits,_ZN7rocprim17ROCPRIM_400000_NS6detail17trampoline_kernelINS0_14default_configENS1_20scan_config_selectorIiEEZZNS1_9scan_implILNS1_25lookback_scan_determinismE0ELb1ELb1ES3_N6thrust23THRUST_200600_302600_NS6detail15normal_iteratorINS9_10device_ptrIiEEEESE_i11max_functorIiEiEEDaPvRmT3_T4_T5_mT6_P12ihipStream_tbENKUlT_T0_E_clISt17integral_constantIbLb0EEST_IbLb1EEEEDaSP_SQ_EUlSP_E0_NS1_11comp_targetILNS1_3genE4ELNS1_11target_archE910ELNS1_3gpuE8ELNS1_3repE0EEENS1_30default_config_static_selectorELNS0_4arch9wavefront6targetE1EEEvT1_,comdat
.Lfunc_end2839:
	.size	_ZN7rocprim17ROCPRIM_400000_NS6detail17trampoline_kernelINS0_14default_configENS1_20scan_config_selectorIiEEZZNS1_9scan_implILNS1_25lookback_scan_determinismE0ELb1ELb1ES3_N6thrust23THRUST_200600_302600_NS6detail15normal_iteratorINS9_10device_ptrIiEEEESE_i11max_functorIiEiEEDaPvRmT3_T4_T5_mT6_P12ihipStream_tbENKUlT_T0_E_clISt17integral_constantIbLb0EEST_IbLb1EEEEDaSP_SQ_EUlSP_E0_NS1_11comp_targetILNS1_3genE4ELNS1_11target_archE910ELNS1_3gpuE8ELNS1_3repE0EEENS1_30default_config_static_selectorELNS0_4arch9wavefront6targetE1EEEvT1_, .Lfunc_end2839-_ZN7rocprim17ROCPRIM_400000_NS6detail17trampoline_kernelINS0_14default_configENS1_20scan_config_selectorIiEEZZNS1_9scan_implILNS1_25lookback_scan_determinismE0ELb1ELb1ES3_N6thrust23THRUST_200600_302600_NS6detail15normal_iteratorINS9_10device_ptrIiEEEESE_i11max_functorIiEiEEDaPvRmT3_T4_T5_mT6_P12ihipStream_tbENKUlT_T0_E_clISt17integral_constantIbLb0EEST_IbLb1EEEEDaSP_SQ_EUlSP_E0_NS1_11comp_targetILNS1_3genE4ELNS1_11target_archE910ELNS1_3gpuE8ELNS1_3repE0EEENS1_30default_config_static_selectorELNS0_4arch9wavefront6targetE1EEEvT1_
                                        ; -- End function
	.section	.AMDGPU.csdata,"",@progbits
; Kernel info:
; codeLenInByte = 1544
; NumSgprs: 29
; NumVgprs: 19
; NumAgprs: 0
; TotalNumVgprs: 19
; ScratchSize: 0
; MemoryBound: 0
; FloatMode: 240
; IeeeMode: 1
; LDSByteSize: 5120 bytes/workgroup (compile time only)
; SGPRBlocks: 3
; VGPRBlocks: 2
; NumSGPRsForWavesPerEU: 29
; NumVGPRsForWavesPerEU: 19
; AccumOffset: 20
; Occupancy: 6
; WaveLimiterHint : 0
; COMPUTE_PGM_RSRC2:SCRATCH_EN: 0
; COMPUTE_PGM_RSRC2:USER_SGPR: 6
; COMPUTE_PGM_RSRC2:TRAP_HANDLER: 0
; COMPUTE_PGM_RSRC2:TGID_X_EN: 1
; COMPUTE_PGM_RSRC2:TGID_Y_EN: 0
; COMPUTE_PGM_RSRC2:TGID_Z_EN: 0
; COMPUTE_PGM_RSRC2:TIDIG_COMP_CNT: 0
; COMPUTE_PGM_RSRC3_GFX90A:ACCUM_OFFSET: 4
; COMPUTE_PGM_RSRC3_GFX90A:TG_SPLIT: 0
	.section	.text._ZN7rocprim17ROCPRIM_400000_NS6detail17trampoline_kernelINS0_14default_configENS1_20scan_config_selectorIiEEZZNS1_9scan_implILNS1_25lookback_scan_determinismE0ELb1ELb1ES3_N6thrust23THRUST_200600_302600_NS6detail15normal_iteratorINS9_10device_ptrIiEEEESE_i11max_functorIiEiEEDaPvRmT3_T4_T5_mT6_P12ihipStream_tbENKUlT_T0_E_clISt17integral_constantIbLb0EEST_IbLb1EEEEDaSP_SQ_EUlSP_E0_NS1_11comp_targetILNS1_3genE3ELNS1_11target_archE908ELNS1_3gpuE7ELNS1_3repE0EEENS1_30default_config_static_selectorELNS0_4arch9wavefront6targetE1EEEvT1_,"axG",@progbits,_ZN7rocprim17ROCPRIM_400000_NS6detail17trampoline_kernelINS0_14default_configENS1_20scan_config_selectorIiEEZZNS1_9scan_implILNS1_25lookback_scan_determinismE0ELb1ELb1ES3_N6thrust23THRUST_200600_302600_NS6detail15normal_iteratorINS9_10device_ptrIiEEEESE_i11max_functorIiEiEEDaPvRmT3_T4_T5_mT6_P12ihipStream_tbENKUlT_T0_E_clISt17integral_constantIbLb0EEST_IbLb1EEEEDaSP_SQ_EUlSP_E0_NS1_11comp_targetILNS1_3genE3ELNS1_11target_archE908ELNS1_3gpuE7ELNS1_3repE0EEENS1_30default_config_static_selectorELNS0_4arch9wavefront6targetE1EEEvT1_,comdat
	.protected	_ZN7rocprim17ROCPRIM_400000_NS6detail17trampoline_kernelINS0_14default_configENS1_20scan_config_selectorIiEEZZNS1_9scan_implILNS1_25lookback_scan_determinismE0ELb1ELb1ES3_N6thrust23THRUST_200600_302600_NS6detail15normal_iteratorINS9_10device_ptrIiEEEESE_i11max_functorIiEiEEDaPvRmT3_T4_T5_mT6_P12ihipStream_tbENKUlT_T0_E_clISt17integral_constantIbLb0EEST_IbLb1EEEEDaSP_SQ_EUlSP_E0_NS1_11comp_targetILNS1_3genE3ELNS1_11target_archE908ELNS1_3gpuE7ELNS1_3repE0EEENS1_30default_config_static_selectorELNS0_4arch9wavefront6targetE1EEEvT1_ ; -- Begin function _ZN7rocprim17ROCPRIM_400000_NS6detail17trampoline_kernelINS0_14default_configENS1_20scan_config_selectorIiEEZZNS1_9scan_implILNS1_25lookback_scan_determinismE0ELb1ELb1ES3_N6thrust23THRUST_200600_302600_NS6detail15normal_iteratorINS9_10device_ptrIiEEEESE_i11max_functorIiEiEEDaPvRmT3_T4_T5_mT6_P12ihipStream_tbENKUlT_T0_E_clISt17integral_constantIbLb0EEST_IbLb1EEEEDaSP_SQ_EUlSP_E0_NS1_11comp_targetILNS1_3genE3ELNS1_11target_archE908ELNS1_3gpuE7ELNS1_3repE0EEENS1_30default_config_static_selectorELNS0_4arch9wavefront6targetE1EEEvT1_
	.globl	_ZN7rocprim17ROCPRIM_400000_NS6detail17trampoline_kernelINS0_14default_configENS1_20scan_config_selectorIiEEZZNS1_9scan_implILNS1_25lookback_scan_determinismE0ELb1ELb1ES3_N6thrust23THRUST_200600_302600_NS6detail15normal_iteratorINS9_10device_ptrIiEEEESE_i11max_functorIiEiEEDaPvRmT3_T4_T5_mT6_P12ihipStream_tbENKUlT_T0_E_clISt17integral_constantIbLb0EEST_IbLb1EEEEDaSP_SQ_EUlSP_E0_NS1_11comp_targetILNS1_3genE3ELNS1_11target_archE908ELNS1_3gpuE7ELNS1_3repE0EEENS1_30default_config_static_selectorELNS0_4arch9wavefront6targetE1EEEvT1_
	.p2align	8
	.type	_ZN7rocprim17ROCPRIM_400000_NS6detail17trampoline_kernelINS0_14default_configENS1_20scan_config_selectorIiEEZZNS1_9scan_implILNS1_25lookback_scan_determinismE0ELb1ELb1ES3_N6thrust23THRUST_200600_302600_NS6detail15normal_iteratorINS9_10device_ptrIiEEEESE_i11max_functorIiEiEEDaPvRmT3_T4_T5_mT6_P12ihipStream_tbENKUlT_T0_E_clISt17integral_constantIbLb0EEST_IbLb1EEEEDaSP_SQ_EUlSP_E0_NS1_11comp_targetILNS1_3genE3ELNS1_11target_archE908ELNS1_3gpuE7ELNS1_3repE0EEENS1_30default_config_static_selectorELNS0_4arch9wavefront6targetE1EEEvT1_,@function
_ZN7rocprim17ROCPRIM_400000_NS6detail17trampoline_kernelINS0_14default_configENS1_20scan_config_selectorIiEEZZNS1_9scan_implILNS1_25lookback_scan_determinismE0ELb1ELb1ES3_N6thrust23THRUST_200600_302600_NS6detail15normal_iteratorINS9_10device_ptrIiEEEESE_i11max_functorIiEiEEDaPvRmT3_T4_T5_mT6_P12ihipStream_tbENKUlT_T0_E_clISt17integral_constantIbLb0EEST_IbLb1EEEEDaSP_SQ_EUlSP_E0_NS1_11comp_targetILNS1_3genE3ELNS1_11target_archE908ELNS1_3gpuE7ELNS1_3repE0EEENS1_30default_config_static_selectorELNS0_4arch9wavefront6targetE1EEEvT1_: ; @_ZN7rocprim17ROCPRIM_400000_NS6detail17trampoline_kernelINS0_14default_configENS1_20scan_config_selectorIiEEZZNS1_9scan_implILNS1_25lookback_scan_determinismE0ELb1ELb1ES3_N6thrust23THRUST_200600_302600_NS6detail15normal_iteratorINS9_10device_ptrIiEEEESE_i11max_functorIiEiEEDaPvRmT3_T4_T5_mT6_P12ihipStream_tbENKUlT_T0_E_clISt17integral_constantIbLb0EEST_IbLb1EEEEDaSP_SQ_EUlSP_E0_NS1_11comp_targetILNS1_3genE3ELNS1_11target_archE908ELNS1_3gpuE7ELNS1_3repE0EEENS1_30default_config_static_selectorELNS0_4arch9wavefront6targetE1EEEvT1_
; %bb.0:
	.section	.rodata,"a",@progbits
	.p2align	6, 0x0
	.amdhsa_kernel _ZN7rocprim17ROCPRIM_400000_NS6detail17trampoline_kernelINS0_14default_configENS1_20scan_config_selectorIiEEZZNS1_9scan_implILNS1_25lookback_scan_determinismE0ELb1ELb1ES3_N6thrust23THRUST_200600_302600_NS6detail15normal_iteratorINS9_10device_ptrIiEEEESE_i11max_functorIiEiEEDaPvRmT3_T4_T5_mT6_P12ihipStream_tbENKUlT_T0_E_clISt17integral_constantIbLb0EEST_IbLb1EEEEDaSP_SQ_EUlSP_E0_NS1_11comp_targetILNS1_3genE3ELNS1_11target_archE908ELNS1_3gpuE7ELNS1_3repE0EEENS1_30default_config_static_selectorELNS0_4arch9wavefront6targetE1EEEvT1_
		.amdhsa_group_segment_fixed_size 0
		.amdhsa_private_segment_fixed_size 0
		.amdhsa_kernarg_size 32
		.amdhsa_user_sgpr_count 6
		.amdhsa_user_sgpr_private_segment_buffer 1
		.amdhsa_user_sgpr_dispatch_ptr 0
		.amdhsa_user_sgpr_queue_ptr 0
		.amdhsa_user_sgpr_kernarg_segment_ptr 1
		.amdhsa_user_sgpr_dispatch_id 0
		.amdhsa_user_sgpr_flat_scratch_init 0
		.amdhsa_user_sgpr_kernarg_preload_length 0
		.amdhsa_user_sgpr_kernarg_preload_offset 0
		.amdhsa_user_sgpr_private_segment_size 0
		.amdhsa_uses_dynamic_stack 0
		.amdhsa_system_sgpr_private_segment_wavefront_offset 0
		.amdhsa_system_sgpr_workgroup_id_x 1
		.amdhsa_system_sgpr_workgroup_id_y 0
		.amdhsa_system_sgpr_workgroup_id_z 0
		.amdhsa_system_sgpr_workgroup_info 0
		.amdhsa_system_vgpr_workitem_id 0
		.amdhsa_next_free_vgpr 1
		.amdhsa_next_free_sgpr 0
		.amdhsa_accum_offset 4
		.amdhsa_reserve_vcc 0
		.amdhsa_reserve_flat_scratch 0
		.amdhsa_float_round_mode_32 0
		.amdhsa_float_round_mode_16_64 0
		.amdhsa_float_denorm_mode_32 3
		.amdhsa_float_denorm_mode_16_64 3
		.amdhsa_dx10_clamp 1
		.amdhsa_ieee_mode 1
		.amdhsa_fp16_overflow 0
		.amdhsa_tg_split 0
		.amdhsa_exception_fp_ieee_invalid_op 0
		.amdhsa_exception_fp_denorm_src 0
		.amdhsa_exception_fp_ieee_div_zero 0
		.amdhsa_exception_fp_ieee_overflow 0
		.amdhsa_exception_fp_ieee_underflow 0
		.amdhsa_exception_fp_ieee_inexact 0
		.amdhsa_exception_int_div_zero 0
	.end_amdhsa_kernel
	.section	.text._ZN7rocprim17ROCPRIM_400000_NS6detail17trampoline_kernelINS0_14default_configENS1_20scan_config_selectorIiEEZZNS1_9scan_implILNS1_25lookback_scan_determinismE0ELb1ELb1ES3_N6thrust23THRUST_200600_302600_NS6detail15normal_iteratorINS9_10device_ptrIiEEEESE_i11max_functorIiEiEEDaPvRmT3_T4_T5_mT6_P12ihipStream_tbENKUlT_T0_E_clISt17integral_constantIbLb0EEST_IbLb1EEEEDaSP_SQ_EUlSP_E0_NS1_11comp_targetILNS1_3genE3ELNS1_11target_archE908ELNS1_3gpuE7ELNS1_3repE0EEENS1_30default_config_static_selectorELNS0_4arch9wavefront6targetE1EEEvT1_,"axG",@progbits,_ZN7rocprim17ROCPRIM_400000_NS6detail17trampoline_kernelINS0_14default_configENS1_20scan_config_selectorIiEEZZNS1_9scan_implILNS1_25lookback_scan_determinismE0ELb1ELb1ES3_N6thrust23THRUST_200600_302600_NS6detail15normal_iteratorINS9_10device_ptrIiEEEESE_i11max_functorIiEiEEDaPvRmT3_T4_T5_mT6_P12ihipStream_tbENKUlT_T0_E_clISt17integral_constantIbLb0EEST_IbLb1EEEEDaSP_SQ_EUlSP_E0_NS1_11comp_targetILNS1_3genE3ELNS1_11target_archE908ELNS1_3gpuE7ELNS1_3repE0EEENS1_30default_config_static_selectorELNS0_4arch9wavefront6targetE1EEEvT1_,comdat
.Lfunc_end2840:
	.size	_ZN7rocprim17ROCPRIM_400000_NS6detail17trampoline_kernelINS0_14default_configENS1_20scan_config_selectorIiEEZZNS1_9scan_implILNS1_25lookback_scan_determinismE0ELb1ELb1ES3_N6thrust23THRUST_200600_302600_NS6detail15normal_iteratorINS9_10device_ptrIiEEEESE_i11max_functorIiEiEEDaPvRmT3_T4_T5_mT6_P12ihipStream_tbENKUlT_T0_E_clISt17integral_constantIbLb0EEST_IbLb1EEEEDaSP_SQ_EUlSP_E0_NS1_11comp_targetILNS1_3genE3ELNS1_11target_archE908ELNS1_3gpuE7ELNS1_3repE0EEENS1_30default_config_static_selectorELNS0_4arch9wavefront6targetE1EEEvT1_, .Lfunc_end2840-_ZN7rocprim17ROCPRIM_400000_NS6detail17trampoline_kernelINS0_14default_configENS1_20scan_config_selectorIiEEZZNS1_9scan_implILNS1_25lookback_scan_determinismE0ELb1ELb1ES3_N6thrust23THRUST_200600_302600_NS6detail15normal_iteratorINS9_10device_ptrIiEEEESE_i11max_functorIiEiEEDaPvRmT3_T4_T5_mT6_P12ihipStream_tbENKUlT_T0_E_clISt17integral_constantIbLb0EEST_IbLb1EEEEDaSP_SQ_EUlSP_E0_NS1_11comp_targetILNS1_3genE3ELNS1_11target_archE908ELNS1_3gpuE7ELNS1_3repE0EEENS1_30default_config_static_selectorELNS0_4arch9wavefront6targetE1EEEvT1_
                                        ; -- End function
	.section	.AMDGPU.csdata,"",@progbits
; Kernel info:
; codeLenInByte = 0
; NumSgprs: 4
; NumVgprs: 0
; NumAgprs: 0
; TotalNumVgprs: 0
; ScratchSize: 0
; MemoryBound: 0
; FloatMode: 240
; IeeeMode: 1
; LDSByteSize: 0 bytes/workgroup (compile time only)
; SGPRBlocks: 0
; VGPRBlocks: 0
; NumSGPRsForWavesPerEU: 4
; NumVGPRsForWavesPerEU: 1
; AccumOffset: 4
; Occupancy: 8
; WaveLimiterHint : 0
; COMPUTE_PGM_RSRC2:SCRATCH_EN: 0
; COMPUTE_PGM_RSRC2:USER_SGPR: 6
; COMPUTE_PGM_RSRC2:TRAP_HANDLER: 0
; COMPUTE_PGM_RSRC2:TGID_X_EN: 1
; COMPUTE_PGM_RSRC2:TGID_Y_EN: 0
; COMPUTE_PGM_RSRC2:TGID_Z_EN: 0
; COMPUTE_PGM_RSRC2:TIDIG_COMP_CNT: 0
; COMPUTE_PGM_RSRC3_GFX90A:ACCUM_OFFSET: 0
; COMPUTE_PGM_RSRC3_GFX90A:TG_SPLIT: 0
	.section	.text._ZN7rocprim17ROCPRIM_400000_NS6detail17trampoline_kernelINS0_14default_configENS1_20scan_config_selectorIiEEZZNS1_9scan_implILNS1_25lookback_scan_determinismE0ELb1ELb1ES3_N6thrust23THRUST_200600_302600_NS6detail15normal_iteratorINS9_10device_ptrIiEEEESE_i11max_functorIiEiEEDaPvRmT3_T4_T5_mT6_P12ihipStream_tbENKUlT_T0_E_clISt17integral_constantIbLb0EEST_IbLb1EEEEDaSP_SQ_EUlSP_E0_NS1_11comp_targetILNS1_3genE2ELNS1_11target_archE906ELNS1_3gpuE6ELNS1_3repE0EEENS1_30default_config_static_selectorELNS0_4arch9wavefront6targetE1EEEvT1_,"axG",@progbits,_ZN7rocprim17ROCPRIM_400000_NS6detail17trampoline_kernelINS0_14default_configENS1_20scan_config_selectorIiEEZZNS1_9scan_implILNS1_25lookback_scan_determinismE0ELb1ELb1ES3_N6thrust23THRUST_200600_302600_NS6detail15normal_iteratorINS9_10device_ptrIiEEEESE_i11max_functorIiEiEEDaPvRmT3_T4_T5_mT6_P12ihipStream_tbENKUlT_T0_E_clISt17integral_constantIbLb0EEST_IbLb1EEEEDaSP_SQ_EUlSP_E0_NS1_11comp_targetILNS1_3genE2ELNS1_11target_archE906ELNS1_3gpuE6ELNS1_3repE0EEENS1_30default_config_static_selectorELNS0_4arch9wavefront6targetE1EEEvT1_,comdat
	.protected	_ZN7rocprim17ROCPRIM_400000_NS6detail17trampoline_kernelINS0_14default_configENS1_20scan_config_selectorIiEEZZNS1_9scan_implILNS1_25lookback_scan_determinismE0ELb1ELb1ES3_N6thrust23THRUST_200600_302600_NS6detail15normal_iteratorINS9_10device_ptrIiEEEESE_i11max_functorIiEiEEDaPvRmT3_T4_T5_mT6_P12ihipStream_tbENKUlT_T0_E_clISt17integral_constantIbLb0EEST_IbLb1EEEEDaSP_SQ_EUlSP_E0_NS1_11comp_targetILNS1_3genE2ELNS1_11target_archE906ELNS1_3gpuE6ELNS1_3repE0EEENS1_30default_config_static_selectorELNS0_4arch9wavefront6targetE1EEEvT1_ ; -- Begin function _ZN7rocprim17ROCPRIM_400000_NS6detail17trampoline_kernelINS0_14default_configENS1_20scan_config_selectorIiEEZZNS1_9scan_implILNS1_25lookback_scan_determinismE0ELb1ELb1ES3_N6thrust23THRUST_200600_302600_NS6detail15normal_iteratorINS9_10device_ptrIiEEEESE_i11max_functorIiEiEEDaPvRmT3_T4_T5_mT6_P12ihipStream_tbENKUlT_T0_E_clISt17integral_constantIbLb0EEST_IbLb1EEEEDaSP_SQ_EUlSP_E0_NS1_11comp_targetILNS1_3genE2ELNS1_11target_archE906ELNS1_3gpuE6ELNS1_3repE0EEENS1_30default_config_static_selectorELNS0_4arch9wavefront6targetE1EEEvT1_
	.globl	_ZN7rocprim17ROCPRIM_400000_NS6detail17trampoline_kernelINS0_14default_configENS1_20scan_config_selectorIiEEZZNS1_9scan_implILNS1_25lookback_scan_determinismE0ELb1ELb1ES3_N6thrust23THRUST_200600_302600_NS6detail15normal_iteratorINS9_10device_ptrIiEEEESE_i11max_functorIiEiEEDaPvRmT3_T4_T5_mT6_P12ihipStream_tbENKUlT_T0_E_clISt17integral_constantIbLb0EEST_IbLb1EEEEDaSP_SQ_EUlSP_E0_NS1_11comp_targetILNS1_3genE2ELNS1_11target_archE906ELNS1_3gpuE6ELNS1_3repE0EEENS1_30default_config_static_selectorELNS0_4arch9wavefront6targetE1EEEvT1_
	.p2align	8
	.type	_ZN7rocprim17ROCPRIM_400000_NS6detail17trampoline_kernelINS0_14default_configENS1_20scan_config_selectorIiEEZZNS1_9scan_implILNS1_25lookback_scan_determinismE0ELb1ELb1ES3_N6thrust23THRUST_200600_302600_NS6detail15normal_iteratorINS9_10device_ptrIiEEEESE_i11max_functorIiEiEEDaPvRmT3_T4_T5_mT6_P12ihipStream_tbENKUlT_T0_E_clISt17integral_constantIbLb0EEST_IbLb1EEEEDaSP_SQ_EUlSP_E0_NS1_11comp_targetILNS1_3genE2ELNS1_11target_archE906ELNS1_3gpuE6ELNS1_3repE0EEENS1_30default_config_static_selectorELNS0_4arch9wavefront6targetE1EEEvT1_,@function
_ZN7rocprim17ROCPRIM_400000_NS6detail17trampoline_kernelINS0_14default_configENS1_20scan_config_selectorIiEEZZNS1_9scan_implILNS1_25lookback_scan_determinismE0ELb1ELb1ES3_N6thrust23THRUST_200600_302600_NS6detail15normal_iteratorINS9_10device_ptrIiEEEESE_i11max_functorIiEiEEDaPvRmT3_T4_T5_mT6_P12ihipStream_tbENKUlT_T0_E_clISt17integral_constantIbLb0EEST_IbLb1EEEEDaSP_SQ_EUlSP_E0_NS1_11comp_targetILNS1_3genE2ELNS1_11target_archE906ELNS1_3gpuE6ELNS1_3repE0EEENS1_30default_config_static_selectorELNS0_4arch9wavefront6targetE1EEEvT1_: ; @_ZN7rocprim17ROCPRIM_400000_NS6detail17trampoline_kernelINS0_14default_configENS1_20scan_config_selectorIiEEZZNS1_9scan_implILNS1_25lookback_scan_determinismE0ELb1ELb1ES3_N6thrust23THRUST_200600_302600_NS6detail15normal_iteratorINS9_10device_ptrIiEEEESE_i11max_functorIiEiEEDaPvRmT3_T4_T5_mT6_P12ihipStream_tbENKUlT_T0_E_clISt17integral_constantIbLb0EEST_IbLb1EEEEDaSP_SQ_EUlSP_E0_NS1_11comp_targetILNS1_3genE2ELNS1_11target_archE906ELNS1_3gpuE6ELNS1_3repE0EEENS1_30default_config_static_selectorELNS0_4arch9wavefront6targetE1EEEvT1_
; %bb.0:
	.section	.rodata,"a",@progbits
	.p2align	6, 0x0
	.amdhsa_kernel _ZN7rocprim17ROCPRIM_400000_NS6detail17trampoline_kernelINS0_14default_configENS1_20scan_config_selectorIiEEZZNS1_9scan_implILNS1_25lookback_scan_determinismE0ELb1ELb1ES3_N6thrust23THRUST_200600_302600_NS6detail15normal_iteratorINS9_10device_ptrIiEEEESE_i11max_functorIiEiEEDaPvRmT3_T4_T5_mT6_P12ihipStream_tbENKUlT_T0_E_clISt17integral_constantIbLb0EEST_IbLb1EEEEDaSP_SQ_EUlSP_E0_NS1_11comp_targetILNS1_3genE2ELNS1_11target_archE906ELNS1_3gpuE6ELNS1_3repE0EEENS1_30default_config_static_selectorELNS0_4arch9wavefront6targetE1EEEvT1_
		.amdhsa_group_segment_fixed_size 0
		.amdhsa_private_segment_fixed_size 0
		.amdhsa_kernarg_size 32
		.amdhsa_user_sgpr_count 6
		.amdhsa_user_sgpr_private_segment_buffer 1
		.amdhsa_user_sgpr_dispatch_ptr 0
		.amdhsa_user_sgpr_queue_ptr 0
		.amdhsa_user_sgpr_kernarg_segment_ptr 1
		.amdhsa_user_sgpr_dispatch_id 0
		.amdhsa_user_sgpr_flat_scratch_init 0
		.amdhsa_user_sgpr_kernarg_preload_length 0
		.amdhsa_user_sgpr_kernarg_preload_offset 0
		.amdhsa_user_sgpr_private_segment_size 0
		.amdhsa_uses_dynamic_stack 0
		.amdhsa_system_sgpr_private_segment_wavefront_offset 0
		.amdhsa_system_sgpr_workgroup_id_x 1
		.amdhsa_system_sgpr_workgroup_id_y 0
		.amdhsa_system_sgpr_workgroup_id_z 0
		.amdhsa_system_sgpr_workgroup_info 0
		.amdhsa_system_vgpr_workitem_id 0
		.amdhsa_next_free_vgpr 1
		.amdhsa_next_free_sgpr 0
		.amdhsa_accum_offset 4
		.amdhsa_reserve_vcc 0
		.amdhsa_reserve_flat_scratch 0
		.amdhsa_float_round_mode_32 0
		.amdhsa_float_round_mode_16_64 0
		.amdhsa_float_denorm_mode_32 3
		.amdhsa_float_denorm_mode_16_64 3
		.amdhsa_dx10_clamp 1
		.amdhsa_ieee_mode 1
		.amdhsa_fp16_overflow 0
		.amdhsa_tg_split 0
		.amdhsa_exception_fp_ieee_invalid_op 0
		.amdhsa_exception_fp_denorm_src 0
		.amdhsa_exception_fp_ieee_div_zero 0
		.amdhsa_exception_fp_ieee_overflow 0
		.amdhsa_exception_fp_ieee_underflow 0
		.amdhsa_exception_fp_ieee_inexact 0
		.amdhsa_exception_int_div_zero 0
	.end_amdhsa_kernel
	.section	.text._ZN7rocprim17ROCPRIM_400000_NS6detail17trampoline_kernelINS0_14default_configENS1_20scan_config_selectorIiEEZZNS1_9scan_implILNS1_25lookback_scan_determinismE0ELb1ELb1ES3_N6thrust23THRUST_200600_302600_NS6detail15normal_iteratorINS9_10device_ptrIiEEEESE_i11max_functorIiEiEEDaPvRmT3_T4_T5_mT6_P12ihipStream_tbENKUlT_T0_E_clISt17integral_constantIbLb0EEST_IbLb1EEEEDaSP_SQ_EUlSP_E0_NS1_11comp_targetILNS1_3genE2ELNS1_11target_archE906ELNS1_3gpuE6ELNS1_3repE0EEENS1_30default_config_static_selectorELNS0_4arch9wavefront6targetE1EEEvT1_,"axG",@progbits,_ZN7rocprim17ROCPRIM_400000_NS6detail17trampoline_kernelINS0_14default_configENS1_20scan_config_selectorIiEEZZNS1_9scan_implILNS1_25lookback_scan_determinismE0ELb1ELb1ES3_N6thrust23THRUST_200600_302600_NS6detail15normal_iteratorINS9_10device_ptrIiEEEESE_i11max_functorIiEiEEDaPvRmT3_T4_T5_mT6_P12ihipStream_tbENKUlT_T0_E_clISt17integral_constantIbLb0EEST_IbLb1EEEEDaSP_SQ_EUlSP_E0_NS1_11comp_targetILNS1_3genE2ELNS1_11target_archE906ELNS1_3gpuE6ELNS1_3repE0EEENS1_30default_config_static_selectorELNS0_4arch9wavefront6targetE1EEEvT1_,comdat
.Lfunc_end2841:
	.size	_ZN7rocprim17ROCPRIM_400000_NS6detail17trampoline_kernelINS0_14default_configENS1_20scan_config_selectorIiEEZZNS1_9scan_implILNS1_25lookback_scan_determinismE0ELb1ELb1ES3_N6thrust23THRUST_200600_302600_NS6detail15normal_iteratorINS9_10device_ptrIiEEEESE_i11max_functorIiEiEEDaPvRmT3_T4_T5_mT6_P12ihipStream_tbENKUlT_T0_E_clISt17integral_constantIbLb0EEST_IbLb1EEEEDaSP_SQ_EUlSP_E0_NS1_11comp_targetILNS1_3genE2ELNS1_11target_archE906ELNS1_3gpuE6ELNS1_3repE0EEENS1_30default_config_static_selectorELNS0_4arch9wavefront6targetE1EEEvT1_, .Lfunc_end2841-_ZN7rocprim17ROCPRIM_400000_NS6detail17trampoline_kernelINS0_14default_configENS1_20scan_config_selectorIiEEZZNS1_9scan_implILNS1_25lookback_scan_determinismE0ELb1ELb1ES3_N6thrust23THRUST_200600_302600_NS6detail15normal_iteratorINS9_10device_ptrIiEEEESE_i11max_functorIiEiEEDaPvRmT3_T4_T5_mT6_P12ihipStream_tbENKUlT_T0_E_clISt17integral_constantIbLb0EEST_IbLb1EEEEDaSP_SQ_EUlSP_E0_NS1_11comp_targetILNS1_3genE2ELNS1_11target_archE906ELNS1_3gpuE6ELNS1_3repE0EEENS1_30default_config_static_selectorELNS0_4arch9wavefront6targetE1EEEvT1_
                                        ; -- End function
	.section	.AMDGPU.csdata,"",@progbits
; Kernel info:
; codeLenInByte = 0
; NumSgprs: 4
; NumVgprs: 0
; NumAgprs: 0
; TotalNumVgprs: 0
; ScratchSize: 0
; MemoryBound: 0
; FloatMode: 240
; IeeeMode: 1
; LDSByteSize: 0 bytes/workgroup (compile time only)
; SGPRBlocks: 0
; VGPRBlocks: 0
; NumSGPRsForWavesPerEU: 4
; NumVGPRsForWavesPerEU: 1
; AccumOffset: 4
; Occupancy: 8
; WaveLimiterHint : 0
; COMPUTE_PGM_RSRC2:SCRATCH_EN: 0
; COMPUTE_PGM_RSRC2:USER_SGPR: 6
; COMPUTE_PGM_RSRC2:TRAP_HANDLER: 0
; COMPUTE_PGM_RSRC2:TGID_X_EN: 1
; COMPUTE_PGM_RSRC2:TGID_Y_EN: 0
; COMPUTE_PGM_RSRC2:TGID_Z_EN: 0
; COMPUTE_PGM_RSRC2:TIDIG_COMP_CNT: 0
; COMPUTE_PGM_RSRC3_GFX90A:ACCUM_OFFSET: 0
; COMPUTE_PGM_RSRC3_GFX90A:TG_SPLIT: 0
	.section	.text._ZN7rocprim17ROCPRIM_400000_NS6detail17trampoline_kernelINS0_14default_configENS1_20scan_config_selectorIiEEZZNS1_9scan_implILNS1_25lookback_scan_determinismE0ELb1ELb1ES3_N6thrust23THRUST_200600_302600_NS6detail15normal_iteratorINS9_10device_ptrIiEEEESE_i11max_functorIiEiEEDaPvRmT3_T4_T5_mT6_P12ihipStream_tbENKUlT_T0_E_clISt17integral_constantIbLb0EEST_IbLb1EEEEDaSP_SQ_EUlSP_E0_NS1_11comp_targetILNS1_3genE10ELNS1_11target_archE1201ELNS1_3gpuE5ELNS1_3repE0EEENS1_30default_config_static_selectorELNS0_4arch9wavefront6targetE1EEEvT1_,"axG",@progbits,_ZN7rocprim17ROCPRIM_400000_NS6detail17trampoline_kernelINS0_14default_configENS1_20scan_config_selectorIiEEZZNS1_9scan_implILNS1_25lookback_scan_determinismE0ELb1ELb1ES3_N6thrust23THRUST_200600_302600_NS6detail15normal_iteratorINS9_10device_ptrIiEEEESE_i11max_functorIiEiEEDaPvRmT3_T4_T5_mT6_P12ihipStream_tbENKUlT_T0_E_clISt17integral_constantIbLb0EEST_IbLb1EEEEDaSP_SQ_EUlSP_E0_NS1_11comp_targetILNS1_3genE10ELNS1_11target_archE1201ELNS1_3gpuE5ELNS1_3repE0EEENS1_30default_config_static_selectorELNS0_4arch9wavefront6targetE1EEEvT1_,comdat
	.protected	_ZN7rocprim17ROCPRIM_400000_NS6detail17trampoline_kernelINS0_14default_configENS1_20scan_config_selectorIiEEZZNS1_9scan_implILNS1_25lookback_scan_determinismE0ELb1ELb1ES3_N6thrust23THRUST_200600_302600_NS6detail15normal_iteratorINS9_10device_ptrIiEEEESE_i11max_functorIiEiEEDaPvRmT3_T4_T5_mT6_P12ihipStream_tbENKUlT_T0_E_clISt17integral_constantIbLb0EEST_IbLb1EEEEDaSP_SQ_EUlSP_E0_NS1_11comp_targetILNS1_3genE10ELNS1_11target_archE1201ELNS1_3gpuE5ELNS1_3repE0EEENS1_30default_config_static_selectorELNS0_4arch9wavefront6targetE1EEEvT1_ ; -- Begin function _ZN7rocprim17ROCPRIM_400000_NS6detail17trampoline_kernelINS0_14default_configENS1_20scan_config_selectorIiEEZZNS1_9scan_implILNS1_25lookback_scan_determinismE0ELb1ELb1ES3_N6thrust23THRUST_200600_302600_NS6detail15normal_iteratorINS9_10device_ptrIiEEEESE_i11max_functorIiEiEEDaPvRmT3_T4_T5_mT6_P12ihipStream_tbENKUlT_T0_E_clISt17integral_constantIbLb0EEST_IbLb1EEEEDaSP_SQ_EUlSP_E0_NS1_11comp_targetILNS1_3genE10ELNS1_11target_archE1201ELNS1_3gpuE5ELNS1_3repE0EEENS1_30default_config_static_selectorELNS0_4arch9wavefront6targetE1EEEvT1_
	.globl	_ZN7rocprim17ROCPRIM_400000_NS6detail17trampoline_kernelINS0_14default_configENS1_20scan_config_selectorIiEEZZNS1_9scan_implILNS1_25lookback_scan_determinismE0ELb1ELb1ES3_N6thrust23THRUST_200600_302600_NS6detail15normal_iteratorINS9_10device_ptrIiEEEESE_i11max_functorIiEiEEDaPvRmT3_T4_T5_mT6_P12ihipStream_tbENKUlT_T0_E_clISt17integral_constantIbLb0EEST_IbLb1EEEEDaSP_SQ_EUlSP_E0_NS1_11comp_targetILNS1_3genE10ELNS1_11target_archE1201ELNS1_3gpuE5ELNS1_3repE0EEENS1_30default_config_static_selectorELNS0_4arch9wavefront6targetE1EEEvT1_
	.p2align	8
	.type	_ZN7rocprim17ROCPRIM_400000_NS6detail17trampoline_kernelINS0_14default_configENS1_20scan_config_selectorIiEEZZNS1_9scan_implILNS1_25lookback_scan_determinismE0ELb1ELb1ES3_N6thrust23THRUST_200600_302600_NS6detail15normal_iteratorINS9_10device_ptrIiEEEESE_i11max_functorIiEiEEDaPvRmT3_T4_T5_mT6_P12ihipStream_tbENKUlT_T0_E_clISt17integral_constantIbLb0EEST_IbLb1EEEEDaSP_SQ_EUlSP_E0_NS1_11comp_targetILNS1_3genE10ELNS1_11target_archE1201ELNS1_3gpuE5ELNS1_3repE0EEENS1_30default_config_static_selectorELNS0_4arch9wavefront6targetE1EEEvT1_,@function
_ZN7rocprim17ROCPRIM_400000_NS6detail17trampoline_kernelINS0_14default_configENS1_20scan_config_selectorIiEEZZNS1_9scan_implILNS1_25lookback_scan_determinismE0ELb1ELb1ES3_N6thrust23THRUST_200600_302600_NS6detail15normal_iteratorINS9_10device_ptrIiEEEESE_i11max_functorIiEiEEDaPvRmT3_T4_T5_mT6_P12ihipStream_tbENKUlT_T0_E_clISt17integral_constantIbLb0EEST_IbLb1EEEEDaSP_SQ_EUlSP_E0_NS1_11comp_targetILNS1_3genE10ELNS1_11target_archE1201ELNS1_3gpuE5ELNS1_3repE0EEENS1_30default_config_static_selectorELNS0_4arch9wavefront6targetE1EEEvT1_: ; @_ZN7rocprim17ROCPRIM_400000_NS6detail17trampoline_kernelINS0_14default_configENS1_20scan_config_selectorIiEEZZNS1_9scan_implILNS1_25lookback_scan_determinismE0ELb1ELb1ES3_N6thrust23THRUST_200600_302600_NS6detail15normal_iteratorINS9_10device_ptrIiEEEESE_i11max_functorIiEiEEDaPvRmT3_T4_T5_mT6_P12ihipStream_tbENKUlT_T0_E_clISt17integral_constantIbLb0EEST_IbLb1EEEEDaSP_SQ_EUlSP_E0_NS1_11comp_targetILNS1_3genE10ELNS1_11target_archE1201ELNS1_3gpuE5ELNS1_3repE0EEENS1_30default_config_static_selectorELNS0_4arch9wavefront6targetE1EEEvT1_
; %bb.0:
	.section	.rodata,"a",@progbits
	.p2align	6, 0x0
	.amdhsa_kernel _ZN7rocprim17ROCPRIM_400000_NS6detail17trampoline_kernelINS0_14default_configENS1_20scan_config_selectorIiEEZZNS1_9scan_implILNS1_25lookback_scan_determinismE0ELb1ELb1ES3_N6thrust23THRUST_200600_302600_NS6detail15normal_iteratorINS9_10device_ptrIiEEEESE_i11max_functorIiEiEEDaPvRmT3_T4_T5_mT6_P12ihipStream_tbENKUlT_T0_E_clISt17integral_constantIbLb0EEST_IbLb1EEEEDaSP_SQ_EUlSP_E0_NS1_11comp_targetILNS1_3genE10ELNS1_11target_archE1201ELNS1_3gpuE5ELNS1_3repE0EEENS1_30default_config_static_selectorELNS0_4arch9wavefront6targetE1EEEvT1_
		.amdhsa_group_segment_fixed_size 0
		.amdhsa_private_segment_fixed_size 0
		.amdhsa_kernarg_size 32
		.amdhsa_user_sgpr_count 6
		.amdhsa_user_sgpr_private_segment_buffer 1
		.amdhsa_user_sgpr_dispatch_ptr 0
		.amdhsa_user_sgpr_queue_ptr 0
		.amdhsa_user_sgpr_kernarg_segment_ptr 1
		.amdhsa_user_sgpr_dispatch_id 0
		.amdhsa_user_sgpr_flat_scratch_init 0
		.amdhsa_user_sgpr_kernarg_preload_length 0
		.amdhsa_user_sgpr_kernarg_preload_offset 0
		.amdhsa_user_sgpr_private_segment_size 0
		.amdhsa_uses_dynamic_stack 0
		.amdhsa_system_sgpr_private_segment_wavefront_offset 0
		.amdhsa_system_sgpr_workgroup_id_x 1
		.amdhsa_system_sgpr_workgroup_id_y 0
		.amdhsa_system_sgpr_workgroup_id_z 0
		.amdhsa_system_sgpr_workgroup_info 0
		.amdhsa_system_vgpr_workitem_id 0
		.amdhsa_next_free_vgpr 1
		.amdhsa_next_free_sgpr 0
		.amdhsa_accum_offset 4
		.amdhsa_reserve_vcc 0
		.amdhsa_reserve_flat_scratch 0
		.amdhsa_float_round_mode_32 0
		.amdhsa_float_round_mode_16_64 0
		.amdhsa_float_denorm_mode_32 3
		.amdhsa_float_denorm_mode_16_64 3
		.amdhsa_dx10_clamp 1
		.amdhsa_ieee_mode 1
		.amdhsa_fp16_overflow 0
		.amdhsa_tg_split 0
		.amdhsa_exception_fp_ieee_invalid_op 0
		.amdhsa_exception_fp_denorm_src 0
		.amdhsa_exception_fp_ieee_div_zero 0
		.amdhsa_exception_fp_ieee_overflow 0
		.amdhsa_exception_fp_ieee_underflow 0
		.amdhsa_exception_fp_ieee_inexact 0
		.amdhsa_exception_int_div_zero 0
	.end_amdhsa_kernel
	.section	.text._ZN7rocprim17ROCPRIM_400000_NS6detail17trampoline_kernelINS0_14default_configENS1_20scan_config_selectorIiEEZZNS1_9scan_implILNS1_25lookback_scan_determinismE0ELb1ELb1ES3_N6thrust23THRUST_200600_302600_NS6detail15normal_iteratorINS9_10device_ptrIiEEEESE_i11max_functorIiEiEEDaPvRmT3_T4_T5_mT6_P12ihipStream_tbENKUlT_T0_E_clISt17integral_constantIbLb0EEST_IbLb1EEEEDaSP_SQ_EUlSP_E0_NS1_11comp_targetILNS1_3genE10ELNS1_11target_archE1201ELNS1_3gpuE5ELNS1_3repE0EEENS1_30default_config_static_selectorELNS0_4arch9wavefront6targetE1EEEvT1_,"axG",@progbits,_ZN7rocprim17ROCPRIM_400000_NS6detail17trampoline_kernelINS0_14default_configENS1_20scan_config_selectorIiEEZZNS1_9scan_implILNS1_25lookback_scan_determinismE0ELb1ELb1ES3_N6thrust23THRUST_200600_302600_NS6detail15normal_iteratorINS9_10device_ptrIiEEEESE_i11max_functorIiEiEEDaPvRmT3_T4_T5_mT6_P12ihipStream_tbENKUlT_T0_E_clISt17integral_constantIbLb0EEST_IbLb1EEEEDaSP_SQ_EUlSP_E0_NS1_11comp_targetILNS1_3genE10ELNS1_11target_archE1201ELNS1_3gpuE5ELNS1_3repE0EEENS1_30default_config_static_selectorELNS0_4arch9wavefront6targetE1EEEvT1_,comdat
.Lfunc_end2842:
	.size	_ZN7rocprim17ROCPRIM_400000_NS6detail17trampoline_kernelINS0_14default_configENS1_20scan_config_selectorIiEEZZNS1_9scan_implILNS1_25lookback_scan_determinismE0ELb1ELb1ES3_N6thrust23THRUST_200600_302600_NS6detail15normal_iteratorINS9_10device_ptrIiEEEESE_i11max_functorIiEiEEDaPvRmT3_T4_T5_mT6_P12ihipStream_tbENKUlT_T0_E_clISt17integral_constantIbLb0EEST_IbLb1EEEEDaSP_SQ_EUlSP_E0_NS1_11comp_targetILNS1_3genE10ELNS1_11target_archE1201ELNS1_3gpuE5ELNS1_3repE0EEENS1_30default_config_static_selectorELNS0_4arch9wavefront6targetE1EEEvT1_, .Lfunc_end2842-_ZN7rocprim17ROCPRIM_400000_NS6detail17trampoline_kernelINS0_14default_configENS1_20scan_config_selectorIiEEZZNS1_9scan_implILNS1_25lookback_scan_determinismE0ELb1ELb1ES3_N6thrust23THRUST_200600_302600_NS6detail15normal_iteratorINS9_10device_ptrIiEEEESE_i11max_functorIiEiEEDaPvRmT3_T4_T5_mT6_P12ihipStream_tbENKUlT_T0_E_clISt17integral_constantIbLb0EEST_IbLb1EEEEDaSP_SQ_EUlSP_E0_NS1_11comp_targetILNS1_3genE10ELNS1_11target_archE1201ELNS1_3gpuE5ELNS1_3repE0EEENS1_30default_config_static_selectorELNS0_4arch9wavefront6targetE1EEEvT1_
                                        ; -- End function
	.section	.AMDGPU.csdata,"",@progbits
; Kernel info:
; codeLenInByte = 0
; NumSgprs: 4
; NumVgprs: 0
; NumAgprs: 0
; TotalNumVgprs: 0
; ScratchSize: 0
; MemoryBound: 0
; FloatMode: 240
; IeeeMode: 1
; LDSByteSize: 0 bytes/workgroup (compile time only)
; SGPRBlocks: 0
; VGPRBlocks: 0
; NumSGPRsForWavesPerEU: 4
; NumVGPRsForWavesPerEU: 1
; AccumOffset: 4
; Occupancy: 8
; WaveLimiterHint : 0
; COMPUTE_PGM_RSRC2:SCRATCH_EN: 0
; COMPUTE_PGM_RSRC2:USER_SGPR: 6
; COMPUTE_PGM_RSRC2:TRAP_HANDLER: 0
; COMPUTE_PGM_RSRC2:TGID_X_EN: 1
; COMPUTE_PGM_RSRC2:TGID_Y_EN: 0
; COMPUTE_PGM_RSRC2:TGID_Z_EN: 0
; COMPUTE_PGM_RSRC2:TIDIG_COMP_CNT: 0
; COMPUTE_PGM_RSRC3_GFX90A:ACCUM_OFFSET: 0
; COMPUTE_PGM_RSRC3_GFX90A:TG_SPLIT: 0
	.section	.text._ZN7rocprim17ROCPRIM_400000_NS6detail17trampoline_kernelINS0_14default_configENS1_20scan_config_selectorIiEEZZNS1_9scan_implILNS1_25lookback_scan_determinismE0ELb1ELb1ES3_N6thrust23THRUST_200600_302600_NS6detail15normal_iteratorINS9_10device_ptrIiEEEESE_i11max_functorIiEiEEDaPvRmT3_T4_T5_mT6_P12ihipStream_tbENKUlT_T0_E_clISt17integral_constantIbLb0EEST_IbLb1EEEEDaSP_SQ_EUlSP_E0_NS1_11comp_targetILNS1_3genE10ELNS1_11target_archE1200ELNS1_3gpuE4ELNS1_3repE0EEENS1_30default_config_static_selectorELNS0_4arch9wavefront6targetE1EEEvT1_,"axG",@progbits,_ZN7rocprim17ROCPRIM_400000_NS6detail17trampoline_kernelINS0_14default_configENS1_20scan_config_selectorIiEEZZNS1_9scan_implILNS1_25lookback_scan_determinismE0ELb1ELb1ES3_N6thrust23THRUST_200600_302600_NS6detail15normal_iteratorINS9_10device_ptrIiEEEESE_i11max_functorIiEiEEDaPvRmT3_T4_T5_mT6_P12ihipStream_tbENKUlT_T0_E_clISt17integral_constantIbLb0EEST_IbLb1EEEEDaSP_SQ_EUlSP_E0_NS1_11comp_targetILNS1_3genE10ELNS1_11target_archE1200ELNS1_3gpuE4ELNS1_3repE0EEENS1_30default_config_static_selectorELNS0_4arch9wavefront6targetE1EEEvT1_,comdat
	.protected	_ZN7rocprim17ROCPRIM_400000_NS6detail17trampoline_kernelINS0_14default_configENS1_20scan_config_selectorIiEEZZNS1_9scan_implILNS1_25lookback_scan_determinismE0ELb1ELb1ES3_N6thrust23THRUST_200600_302600_NS6detail15normal_iteratorINS9_10device_ptrIiEEEESE_i11max_functorIiEiEEDaPvRmT3_T4_T5_mT6_P12ihipStream_tbENKUlT_T0_E_clISt17integral_constantIbLb0EEST_IbLb1EEEEDaSP_SQ_EUlSP_E0_NS1_11comp_targetILNS1_3genE10ELNS1_11target_archE1200ELNS1_3gpuE4ELNS1_3repE0EEENS1_30default_config_static_selectorELNS0_4arch9wavefront6targetE1EEEvT1_ ; -- Begin function _ZN7rocprim17ROCPRIM_400000_NS6detail17trampoline_kernelINS0_14default_configENS1_20scan_config_selectorIiEEZZNS1_9scan_implILNS1_25lookback_scan_determinismE0ELb1ELb1ES3_N6thrust23THRUST_200600_302600_NS6detail15normal_iteratorINS9_10device_ptrIiEEEESE_i11max_functorIiEiEEDaPvRmT3_T4_T5_mT6_P12ihipStream_tbENKUlT_T0_E_clISt17integral_constantIbLb0EEST_IbLb1EEEEDaSP_SQ_EUlSP_E0_NS1_11comp_targetILNS1_3genE10ELNS1_11target_archE1200ELNS1_3gpuE4ELNS1_3repE0EEENS1_30default_config_static_selectorELNS0_4arch9wavefront6targetE1EEEvT1_
	.globl	_ZN7rocprim17ROCPRIM_400000_NS6detail17trampoline_kernelINS0_14default_configENS1_20scan_config_selectorIiEEZZNS1_9scan_implILNS1_25lookback_scan_determinismE0ELb1ELb1ES3_N6thrust23THRUST_200600_302600_NS6detail15normal_iteratorINS9_10device_ptrIiEEEESE_i11max_functorIiEiEEDaPvRmT3_T4_T5_mT6_P12ihipStream_tbENKUlT_T0_E_clISt17integral_constantIbLb0EEST_IbLb1EEEEDaSP_SQ_EUlSP_E0_NS1_11comp_targetILNS1_3genE10ELNS1_11target_archE1200ELNS1_3gpuE4ELNS1_3repE0EEENS1_30default_config_static_selectorELNS0_4arch9wavefront6targetE1EEEvT1_
	.p2align	8
	.type	_ZN7rocprim17ROCPRIM_400000_NS6detail17trampoline_kernelINS0_14default_configENS1_20scan_config_selectorIiEEZZNS1_9scan_implILNS1_25lookback_scan_determinismE0ELb1ELb1ES3_N6thrust23THRUST_200600_302600_NS6detail15normal_iteratorINS9_10device_ptrIiEEEESE_i11max_functorIiEiEEDaPvRmT3_T4_T5_mT6_P12ihipStream_tbENKUlT_T0_E_clISt17integral_constantIbLb0EEST_IbLb1EEEEDaSP_SQ_EUlSP_E0_NS1_11comp_targetILNS1_3genE10ELNS1_11target_archE1200ELNS1_3gpuE4ELNS1_3repE0EEENS1_30default_config_static_selectorELNS0_4arch9wavefront6targetE1EEEvT1_,@function
_ZN7rocprim17ROCPRIM_400000_NS6detail17trampoline_kernelINS0_14default_configENS1_20scan_config_selectorIiEEZZNS1_9scan_implILNS1_25lookback_scan_determinismE0ELb1ELb1ES3_N6thrust23THRUST_200600_302600_NS6detail15normal_iteratorINS9_10device_ptrIiEEEESE_i11max_functorIiEiEEDaPvRmT3_T4_T5_mT6_P12ihipStream_tbENKUlT_T0_E_clISt17integral_constantIbLb0EEST_IbLb1EEEEDaSP_SQ_EUlSP_E0_NS1_11comp_targetILNS1_3genE10ELNS1_11target_archE1200ELNS1_3gpuE4ELNS1_3repE0EEENS1_30default_config_static_selectorELNS0_4arch9wavefront6targetE1EEEvT1_: ; @_ZN7rocprim17ROCPRIM_400000_NS6detail17trampoline_kernelINS0_14default_configENS1_20scan_config_selectorIiEEZZNS1_9scan_implILNS1_25lookback_scan_determinismE0ELb1ELb1ES3_N6thrust23THRUST_200600_302600_NS6detail15normal_iteratorINS9_10device_ptrIiEEEESE_i11max_functorIiEiEEDaPvRmT3_T4_T5_mT6_P12ihipStream_tbENKUlT_T0_E_clISt17integral_constantIbLb0EEST_IbLb1EEEEDaSP_SQ_EUlSP_E0_NS1_11comp_targetILNS1_3genE10ELNS1_11target_archE1200ELNS1_3gpuE4ELNS1_3repE0EEENS1_30default_config_static_selectorELNS0_4arch9wavefront6targetE1EEEvT1_
; %bb.0:
	.section	.rodata,"a",@progbits
	.p2align	6, 0x0
	.amdhsa_kernel _ZN7rocprim17ROCPRIM_400000_NS6detail17trampoline_kernelINS0_14default_configENS1_20scan_config_selectorIiEEZZNS1_9scan_implILNS1_25lookback_scan_determinismE0ELb1ELb1ES3_N6thrust23THRUST_200600_302600_NS6detail15normal_iteratorINS9_10device_ptrIiEEEESE_i11max_functorIiEiEEDaPvRmT3_T4_T5_mT6_P12ihipStream_tbENKUlT_T0_E_clISt17integral_constantIbLb0EEST_IbLb1EEEEDaSP_SQ_EUlSP_E0_NS1_11comp_targetILNS1_3genE10ELNS1_11target_archE1200ELNS1_3gpuE4ELNS1_3repE0EEENS1_30default_config_static_selectorELNS0_4arch9wavefront6targetE1EEEvT1_
		.amdhsa_group_segment_fixed_size 0
		.amdhsa_private_segment_fixed_size 0
		.amdhsa_kernarg_size 32
		.amdhsa_user_sgpr_count 6
		.amdhsa_user_sgpr_private_segment_buffer 1
		.amdhsa_user_sgpr_dispatch_ptr 0
		.amdhsa_user_sgpr_queue_ptr 0
		.amdhsa_user_sgpr_kernarg_segment_ptr 1
		.amdhsa_user_sgpr_dispatch_id 0
		.amdhsa_user_sgpr_flat_scratch_init 0
		.amdhsa_user_sgpr_kernarg_preload_length 0
		.amdhsa_user_sgpr_kernarg_preload_offset 0
		.amdhsa_user_sgpr_private_segment_size 0
		.amdhsa_uses_dynamic_stack 0
		.amdhsa_system_sgpr_private_segment_wavefront_offset 0
		.amdhsa_system_sgpr_workgroup_id_x 1
		.amdhsa_system_sgpr_workgroup_id_y 0
		.amdhsa_system_sgpr_workgroup_id_z 0
		.amdhsa_system_sgpr_workgroup_info 0
		.amdhsa_system_vgpr_workitem_id 0
		.amdhsa_next_free_vgpr 1
		.amdhsa_next_free_sgpr 0
		.amdhsa_accum_offset 4
		.amdhsa_reserve_vcc 0
		.amdhsa_reserve_flat_scratch 0
		.amdhsa_float_round_mode_32 0
		.amdhsa_float_round_mode_16_64 0
		.amdhsa_float_denorm_mode_32 3
		.amdhsa_float_denorm_mode_16_64 3
		.amdhsa_dx10_clamp 1
		.amdhsa_ieee_mode 1
		.amdhsa_fp16_overflow 0
		.amdhsa_tg_split 0
		.amdhsa_exception_fp_ieee_invalid_op 0
		.amdhsa_exception_fp_denorm_src 0
		.amdhsa_exception_fp_ieee_div_zero 0
		.amdhsa_exception_fp_ieee_overflow 0
		.amdhsa_exception_fp_ieee_underflow 0
		.amdhsa_exception_fp_ieee_inexact 0
		.amdhsa_exception_int_div_zero 0
	.end_amdhsa_kernel
	.section	.text._ZN7rocprim17ROCPRIM_400000_NS6detail17trampoline_kernelINS0_14default_configENS1_20scan_config_selectorIiEEZZNS1_9scan_implILNS1_25lookback_scan_determinismE0ELb1ELb1ES3_N6thrust23THRUST_200600_302600_NS6detail15normal_iteratorINS9_10device_ptrIiEEEESE_i11max_functorIiEiEEDaPvRmT3_T4_T5_mT6_P12ihipStream_tbENKUlT_T0_E_clISt17integral_constantIbLb0EEST_IbLb1EEEEDaSP_SQ_EUlSP_E0_NS1_11comp_targetILNS1_3genE10ELNS1_11target_archE1200ELNS1_3gpuE4ELNS1_3repE0EEENS1_30default_config_static_selectorELNS0_4arch9wavefront6targetE1EEEvT1_,"axG",@progbits,_ZN7rocprim17ROCPRIM_400000_NS6detail17trampoline_kernelINS0_14default_configENS1_20scan_config_selectorIiEEZZNS1_9scan_implILNS1_25lookback_scan_determinismE0ELb1ELb1ES3_N6thrust23THRUST_200600_302600_NS6detail15normal_iteratorINS9_10device_ptrIiEEEESE_i11max_functorIiEiEEDaPvRmT3_T4_T5_mT6_P12ihipStream_tbENKUlT_T0_E_clISt17integral_constantIbLb0EEST_IbLb1EEEEDaSP_SQ_EUlSP_E0_NS1_11comp_targetILNS1_3genE10ELNS1_11target_archE1200ELNS1_3gpuE4ELNS1_3repE0EEENS1_30default_config_static_selectorELNS0_4arch9wavefront6targetE1EEEvT1_,comdat
.Lfunc_end2843:
	.size	_ZN7rocprim17ROCPRIM_400000_NS6detail17trampoline_kernelINS0_14default_configENS1_20scan_config_selectorIiEEZZNS1_9scan_implILNS1_25lookback_scan_determinismE0ELb1ELb1ES3_N6thrust23THRUST_200600_302600_NS6detail15normal_iteratorINS9_10device_ptrIiEEEESE_i11max_functorIiEiEEDaPvRmT3_T4_T5_mT6_P12ihipStream_tbENKUlT_T0_E_clISt17integral_constantIbLb0EEST_IbLb1EEEEDaSP_SQ_EUlSP_E0_NS1_11comp_targetILNS1_3genE10ELNS1_11target_archE1200ELNS1_3gpuE4ELNS1_3repE0EEENS1_30default_config_static_selectorELNS0_4arch9wavefront6targetE1EEEvT1_, .Lfunc_end2843-_ZN7rocprim17ROCPRIM_400000_NS6detail17trampoline_kernelINS0_14default_configENS1_20scan_config_selectorIiEEZZNS1_9scan_implILNS1_25lookback_scan_determinismE0ELb1ELb1ES3_N6thrust23THRUST_200600_302600_NS6detail15normal_iteratorINS9_10device_ptrIiEEEESE_i11max_functorIiEiEEDaPvRmT3_T4_T5_mT6_P12ihipStream_tbENKUlT_T0_E_clISt17integral_constantIbLb0EEST_IbLb1EEEEDaSP_SQ_EUlSP_E0_NS1_11comp_targetILNS1_3genE10ELNS1_11target_archE1200ELNS1_3gpuE4ELNS1_3repE0EEENS1_30default_config_static_selectorELNS0_4arch9wavefront6targetE1EEEvT1_
                                        ; -- End function
	.section	.AMDGPU.csdata,"",@progbits
; Kernel info:
; codeLenInByte = 0
; NumSgprs: 4
; NumVgprs: 0
; NumAgprs: 0
; TotalNumVgprs: 0
; ScratchSize: 0
; MemoryBound: 0
; FloatMode: 240
; IeeeMode: 1
; LDSByteSize: 0 bytes/workgroup (compile time only)
; SGPRBlocks: 0
; VGPRBlocks: 0
; NumSGPRsForWavesPerEU: 4
; NumVGPRsForWavesPerEU: 1
; AccumOffset: 4
; Occupancy: 8
; WaveLimiterHint : 0
; COMPUTE_PGM_RSRC2:SCRATCH_EN: 0
; COMPUTE_PGM_RSRC2:USER_SGPR: 6
; COMPUTE_PGM_RSRC2:TRAP_HANDLER: 0
; COMPUTE_PGM_RSRC2:TGID_X_EN: 1
; COMPUTE_PGM_RSRC2:TGID_Y_EN: 0
; COMPUTE_PGM_RSRC2:TGID_Z_EN: 0
; COMPUTE_PGM_RSRC2:TIDIG_COMP_CNT: 0
; COMPUTE_PGM_RSRC3_GFX90A:ACCUM_OFFSET: 0
; COMPUTE_PGM_RSRC3_GFX90A:TG_SPLIT: 0
	.section	.text._ZN7rocprim17ROCPRIM_400000_NS6detail17trampoline_kernelINS0_14default_configENS1_20scan_config_selectorIiEEZZNS1_9scan_implILNS1_25lookback_scan_determinismE0ELb1ELb1ES3_N6thrust23THRUST_200600_302600_NS6detail15normal_iteratorINS9_10device_ptrIiEEEESE_i11max_functorIiEiEEDaPvRmT3_T4_T5_mT6_P12ihipStream_tbENKUlT_T0_E_clISt17integral_constantIbLb0EEST_IbLb1EEEEDaSP_SQ_EUlSP_E0_NS1_11comp_targetILNS1_3genE9ELNS1_11target_archE1100ELNS1_3gpuE3ELNS1_3repE0EEENS1_30default_config_static_selectorELNS0_4arch9wavefront6targetE1EEEvT1_,"axG",@progbits,_ZN7rocprim17ROCPRIM_400000_NS6detail17trampoline_kernelINS0_14default_configENS1_20scan_config_selectorIiEEZZNS1_9scan_implILNS1_25lookback_scan_determinismE0ELb1ELb1ES3_N6thrust23THRUST_200600_302600_NS6detail15normal_iteratorINS9_10device_ptrIiEEEESE_i11max_functorIiEiEEDaPvRmT3_T4_T5_mT6_P12ihipStream_tbENKUlT_T0_E_clISt17integral_constantIbLb0EEST_IbLb1EEEEDaSP_SQ_EUlSP_E0_NS1_11comp_targetILNS1_3genE9ELNS1_11target_archE1100ELNS1_3gpuE3ELNS1_3repE0EEENS1_30default_config_static_selectorELNS0_4arch9wavefront6targetE1EEEvT1_,comdat
	.protected	_ZN7rocprim17ROCPRIM_400000_NS6detail17trampoline_kernelINS0_14default_configENS1_20scan_config_selectorIiEEZZNS1_9scan_implILNS1_25lookback_scan_determinismE0ELb1ELb1ES3_N6thrust23THRUST_200600_302600_NS6detail15normal_iteratorINS9_10device_ptrIiEEEESE_i11max_functorIiEiEEDaPvRmT3_T4_T5_mT6_P12ihipStream_tbENKUlT_T0_E_clISt17integral_constantIbLb0EEST_IbLb1EEEEDaSP_SQ_EUlSP_E0_NS1_11comp_targetILNS1_3genE9ELNS1_11target_archE1100ELNS1_3gpuE3ELNS1_3repE0EEENS1_30default_config_static_selectorELNS0_4arch9wavefront6targetE1EEEvT1_ ; -- Begin function _ZN7rocprim17ROCPRIM_400000_NS6detail17trampoline_kernelINS0_14default_configENS1_20scan_config_selectorIiEEZZNS1_9scan_implILNS1_25lookback_scan_determinismE0ELb1ELb1ES3_N6thrust23THRUST_200600_302600_NS6detail15normal_iteratorINS9_10device_ptrIiEEEESE_i11max_functorIiEiEEDaPvRmT3_T4_T5_mT6_P12ihipStream_tbENKUlT_T0_E_clISt17integral_constantIbLb0EEST_IbLb1EEEEDaSP_SQ_EUlSP_E0_NS1_11comp_targetILNS1_3genE9ELNS1_11target_archE1100ELNS1_3gpuE3ELNS1_3repE0EEENS1_30default_config_static_selectorELNS0_4arch9wavefront6targetE1EEEvT1_
	.globl	_ZN7rocprim17ROCPRIM_400000_NS6detail17trampoline_kernelINS0_14default_configENS1_20scan_config_selectorIiEEZZNS1_9scan_implILNS1_25lookback_scan_determinismE0ELb1ELb1ES3_N6thrust23THRUST_200600_302600_NS6detail15normal_iteratorINS9_10device_ptrIiEEEESE_i11max_functorIiEiEEDaPvRmT3_T4_T5_mT6_P12ihipStream_tbENKUlT_T0_E_clISt17integral_constantIbLb0EEST_IbLb1EEEEDaSP_SQ_EUlSP_E0_NS1_11comp_targetILNS1_3genE9ELNS1_11target_archE1100ELNS1_3gpuE3ELNS1_3repE0EEENS1_30default_config_static_selectorELNS0_4arch9wavefront6targetE1EEEvT1_
	.p2align	8
	.type	_ZN7rocprim17ROCPRIM_400000_NS6detail17trampoline_kernelINS0_14default_configENS1_20scan_config_selectorIiEEZZNS1_9scan_implILNS1_25lookback_scan_determinismE0ELb1ELb1ES3_N6thrust23THRUST_200600_302600_NS6detail15normal_iteratorINS9_10device_ptrIiEEEESE_i11max_functorIiEiEEDaPvRmT3_T4_T5_mT6_P12ihipStream_tbENKUlT_T0_E_clISt17integral_constantIbLb0EEST_IbLb1EEEEDaSP_SQ_EUlSP_E0_NS1_11comp_targetILNS1_3genE9ELNS1_11target_archE1100ELNS1_3gpuE3ELNS1_3repE0EEENS1_30default_config_static_selectorELNS0_4arch9wavefront6targetE1EEEvT1_,@function
_ZN7rocprim17ROCPRIM_400000_NS6detail17trampoline_kernelINS0_14default_configENS1_20scan_config_selectorIiEEZZNS1_9scan_implILNS1_25lookback_scan_determinismE0ELb1ELb1ES3_N6thrust23THRUST_200600_302600_NS6detail15normal_iteratorINS9_10device_ptrIiEEEESE_i11max_functorIiEiEEDaPvRmT3_T4_T5_mT6_P12ihipStream_tbENKUlT_T0_E_clISt17integral_constantIbLb0EEST_IbLb1EEEEDaSP_SQ_EUlSP_E0_NS1_11comp_targetILNS1_3genE9ELNS1_11target_archE1100ELNS1_3gpuE3ELNS1_3repE0EEENS1_30default_config_static_selectorELNS0_4arch9wavefront6targetE1EEEvT1_: ; @_ZN7rocprim17ROCPRIM_400000_NS6detail17trampoline_kernelINS0_14default_configENS1_20scan_config_selectorIiEEZZNS1_9scan_implILNS1_25lookback_scan_determinismE0ELb1ELb1ES3_N6thrust23THRUST_200600_302600_NS6detail15normal_iteratorINS9_10device_ptrIiEEEESE_i11max_functorIiEiEEDaPvRmT3_T4_T5_mT6_P12ihipStream_tbENKUlT_T0_E_clISt17integral_constantIbLb0EEST_IbLb1EEEEDaSP_SQ_EUlSP_E0_NS1_11comp_targetILNS1_3genE9ELNS1_11target_archE1100ELNS1_3gpuE3ELNS1_3repE0EEENS1_30default_config_static_selectorELNS0_4arch9wavefront6targetE1EEEvT1_
; %bb.0:
	.section	.rodata,"a",@progbits
	.p2align	6, 0x0
	.amdhsa_kernel _ZN7rocprim17ROCPRIM_400000_NS6detail17trampoline_kernelINS0_14default_configENS1_20scan_config_selectorIiEEZZNS1_9scan_implILNS1_25lookback_scan_determinismE0ELb1ELb1ES3_N6thrust23THRUST_200600_302600_NS6detail15normal_iteratorINS9_10device_ptrIiEEEESE_i11max_functorIiEiEEDaPvRmT3_T4_T5_mT6_P12ihipStream_tbENKUlT_T0_E_clISt17integral_constantIbLb0EEST_IbLb1EEEEDaSP_SQ_EUlSP_E0_NS1_11comp_targetILNS1_3genE9ELNS1_11target_archE1100ELNS1_3gpuE3ELNS1_3repE0EEENS1_30default_config_static_selectorELNS0_4arch9wavefront6targetE1EEEvT1_
		.amdhsa_group_segment_fixed_size 0
		.amdhsa_private_segment_fixed_size 0
		.amdhsa_kernarg_size 32
		.amdhsa_user_sgpr_count 6
		.amdhsa_user_sgpr_private_segment_buffer 1
		.amdhsa_user_sgpr_dispatch_ptr 0
		.amdhsa_user_sgpr_queue_ptr 0
		.amdhsa_user_sgpr_kernarg_segment_ptr 1
		.amdhsa_user_sgpr_dispatch_id 0
		.amdhsa_user_sgpr_flat_scratch_init 0
		.amdhsa_user_sgpr_kernarg_preload_length 0
		.amdhsa_user_sgpr_kernarg_preload_offset 0
		.amdhsa_user_sgpr_private_segment_size 0
		.amdhsa_uses_dynamic_stack 0
		.amdhsa_system_sgpr_private_segment_wavefront_offset 0
		.amdhsa_system_sgpr_workgroup_id_x 1
		.amdhsa_system_sgpr_workgroup_id_y 0
		.amdhsa_system_sgpr_workgroup_id_z 0
		.amdhsa_system_sgpr_workgroup_info 0
		.amdhsa_system_vgpr_workitem_id 0
		.amdhsa_next_free_vgpr 1
		.amdhsa_next_free_sgpr 0
		.amdhsa_accum_offset 4
		.amdhsa_reserve_vcc 0
		.amdhsa_reserve_flat_scratch 0
		.amdhsa_float_round_mode_32 0
		.amdhsa_float_round_mode_16_64 0
		.amdhsa_float_denorm_mode_32 3
		.amdhsa_float_denorm_mode_16_64 3
		.amdhsa_dx10_clamp 1
		.amdhsa_ieee_mode 1
		.amdhsa_fp16_overflow 0
		.amdhsa_tg_split 0
		.amdhsa_exception_fp_ieee_invalid_op 0
		.amdhsa_exception_fp_denorm_src 0
		.amdhsa_exception_fp_ieee_div_zero 0
		.amdhsa_exception_fp_ieee_overflow 0
		.amdhsa_exception_fp_ieee_underflow 0
		.amdhsa_exception_fp_ieee_inexact 0
		.amdhsa_exception_int_div_zero 0
	.end_amdhsa_kernel
	.section	.text._ZN7rocprim17ROCPRIM_400000_NS6detail17trampoline_kernelINS0_14default_configENS1_20scan_config_selectorIiEEZZNS1_9scan_implILNS1_25lookback_scan_determinismE0ELb1ELb1ES3_N6thrust23THRUST_200600_302600_NS6detail15normal_iteratorINS9_10device_ptrIiEEEESE_i11max_functorIiEiEEDaPvRmT3_T4_T5_mT6_P12ihipStream_tbENKUlT_T0_E_clISt17integral_constantIbLb0EEST_IbLb1EEEEDaSP_SQ_EUlSP_E0_NS1_11comp_targetILNS1_3genE9ELNS1_11target_archE1100ELNS1_3gpuE3ELNS1_3repE0EEENS1_30default_config_static_selectorELNS0_4arch9wavefront6targetE1EEEvT1_,"axG",@progbits,_ZN7rocprim17ROCPRIM_400000_NS6detail17trampoline_kernelINS0_14default_configENS1_20scan_config_selectorIiEEZZNS1_9scan_implILNS1_25lookback_scan_determinismE0ELb1ELb1ES3_N6thrust23THRUST_200600_302600_NS6detail15normal_iteratorINS9_10device_ptrIiEEEESE_i11max_functorIiEiEEDaPvRmT3_T4_T5_mT6_P12ihipStream_tbENKUlT_T0_E_clISt17integral_constantIbLb0EEST_IbLb1EEEEDaSP_SQ_EUlSP_E0_NS1_11comp_targetILNS1_3genE9ELNS1_11target_archE1100ELNS1_3gpuE3ELNS1_3repE0EEENS1_30default_config_static_selectorELNS0_4arch9wavefront6targetE1EEEvT1_,comdat
.Lfunc_end2844:
	.size	_ZN7rocprim17ROCPRIM_400000_NS6detail17trampoline_kernelINS0_14default_configENS1_20scan_config_selectorIiEEZZNS1_9scan_implILNS1_25lookback_scan_determinismE0ELb1ELb1ES3_N6thrust23THRUST_200600_302600_NS6detail15normal_iteratorINS9_10device_ptrIiEEEESE_i11max_functorIiEiEEDaPvRmT3_T4_T5_mT6_P12ihipStream_tbENKUlT_T0_E_clISt17integral_constantIbLb0EEST_IbLb1EEEEDaSP_SQ_EUlSP_E0_NS1_11comp_targetILNS1_3genE9ELNS1_11target_archE1100ELNS1_3gpuE3ELNS1_3repE0EEENS1_30default_config_static_selectorELNS0_4arch9wavefront6targetE1EEEvT1_, .Lfunc_end2844-_ZN7rocprim17ROCPRIM_400000_NS6detail17trampoline_kernelINS0_14default_configENS1_20scan_config_selectorIiEEZZNS1_9scan_implILNS1_25lookback_scan_determinismE0ELb1ELb1ES3_N6thrust23THRUST_200600_302600_NS6detail15normal_iteratorINS9_10device_ptrIiEEEESE_i11max_functorIiEiEEDaPvRmT3_T4_T5_mT6_P12ihipStream_tbENKUlT_T0_E_clISt17integral_constantIbLb0EEST_IbLb1EEEEDaSP_SQ_EUlSP_E0_NS1_11comp_targetILNS1_3genE9ELNS1_11target_archE1100ELNS1_3gpuE3ELNS1_3repE0EEENS1_30default_config_static_selectorELNS0_4arch9wavefront6targetE1EEEvT1_
                                        ; -- End function
	.section	.AMDGPU.csdata,"",@progbits
; Kernel info:
; codeLenInByte = 0
; NumSgprs: 4
; NumVgprs: 0
; NumAgprs: 0
; TotalNumVgprs: 0
; ScratchSize: 0
; MemoryBound: 0
; FloatMode: 240
; IeeeMode: 1
; LDSByteSize: 0 bytes/workgroup (compile time only)
; SGPRBlocks: 0
; VGPRBlocks: 0
; NumSGPRsForWavesPerEU: 4
; NumVGPRsForWavesPerEU: 1
; AccumOffset: 4
; Occupancy: 8
; WaveLimiterHint : 0
; COMPUTE_PGM_RSRC2:SCRATCH_EN: 0
; COMPUTE_PGM_RSRC2:USER_SGPR: 6
; COMPUTE_PGM_RSRC2:TRAP_HANDLER: 0
; COMPUTE_PGM_RSRC2:TGID_X_EN: 1
; COMPUTE_PGM_RSRC2:TGID_Y_EN: 0
; COMPUTE_PGM_RSRC2:TGID_Z_EN: 0
; COMPUTE_PGM_RSRC2:TIDIG_COMP_CNT: 0
; COMPUTE_PGM_RSRC3_GFX90A:ACCUM_OFFSET: 0
; COMPUTE_PGM_RSRC3_GFX90A:TG_SPLIT: 0
	.section	.text._ZN7rocprim17ROCPRIM_400000_NS6detail17trampoline_kernelINS0_14default_configENS1_20scan_config_selectorIiEEZZNS1_9scan_implILNS1_25lookback_scan_determinismE0ELb1ELb1ES3_N6thrust23THRUST_200600_302600_NS6detail15normal_iteratorINS9_10device_ptrIiEEEESE_i11max_functorIiEiEEDaPvRmT3_T4_T5_mT6_P12ihipStream_tbENKUlT_T0_E_clISt17integral_constantIbLb0EEST_IbLb1EEEEDaSP_SQ_EUlSP_E0_NS1_11comp_targetILNS1_3genE8ELNS1_11target_archE1030ELNS1_3gpuE2ELNS1_3repE0EEENS1_30default_config_static_selectorELNS0_4arch9wavefront6targetE1EEEvT1_,"axG",@progbits,_ZN7rocprim17ROCPRIM_400000_NS6detail17trampoline_kernelINS0_14default_configENS1_20scan_config_selectorIiEEZZNS1_9scan_implILNS1_25lookback_scan_determinismE0ELb1ELb1ES3_N6thrust23THRUST_200600_302600_NS6detail15normal_iteratorINS9_10device_ptrIiEEEESE_i11max_functorIiEiEEDaPvRmT3_T4_T5_mT6_P12ihipStream_tbENKUlT_T0_E_clISt17integral_constantIbLb0EEST_IbLb1EEEEDaSP_SQ_EUlSP_E0_NS1_11comp_targetILNS1_3genE8ELNS1_11target_archE1030ELNS1_3gpuE2ELNS1_3repE0EEENS1_30default_config_static_selectorELNS0_4arch9wavefront6targetE1EEEvT1_,comdat
	.protected	_ZN7rocprim17ROCPRIM_400000_NS6detail17trampoline_kernelINS0_14default_configENS1_20scan_config_selectorIiEEZZNS1_9scan_implILNS1_25lookback_scan_determinismE0ELb1ELb1ES3_N6thrust23THRUST_200600_302600_NS6detail15normal_iteratorINS9_10device_ptrIiEEEESE_i11max_functorIiEiEEDaPvRmT3_T4_T5_mT6_P12ihipStream_tbENKUlT_T0_E_clISt17integral_constantIbLb0EEST_IbLb1EEEEDaSP_SQ_EUlSP_E0_NS1_11comp_targetILNS1_3genE8ELNS1_11target_archE1030ELNS1_3gpuE2ELNS1_3repE0EEENS1_30default_config_static_selectorELNS0_4arch9wavefront6targetE1EEEvT1_ ; -- Begin function _ZN7rocprim17ROCPRIM_400000_NS6detail17trampoline_kernelINS0_14default_configENS1_20scan_config_selectorIiEEZZNS1_9scan_implILNS1_25lookback_scan_determinismE0ELb1ELb1ES3_N6thrust23THRUST_200600_302600_NS6detail15normal_iteratorINS9_10device_ptrIiEEEESE_i11max_functorIiEiEEDaPvRmT3_T4_T5_mT6_P12ihipStream_tbENKUlT_T0_E_clISt17integral_constantIbLb0EEST_IbLb1EEEEDaSP_SQ_EUlSP_E0_NS1_11comp_targetILNS1_3genE8ELNS1_11target_archE1030ELNS1_3gpuE2ELNS1_3repE0EEENS1_30default_config_static_selectorELNS0_4arch9wavefront6targetE1EEEvT1_
	.globl	_ZN7rocprim17ROCPRIM_400000_NS6detail17trampoline_kernelINS0_14default_configENS1_20scan_config_selectorIiEEZZNS1_9scan_implILNS1_25lookback_scan_determinismE0ELb1ELb1ES3_N6thrust23THRUST_200600_302600_NS6detail15normal_iteratorINS9_10device_ptrIiEEEESE_i11max_functorIiEiEEDaPvRmT3_T4_T5_mT6_P12ihipStream_tbENKUlT_T0_E_clISt17integral_constantIbLb0EEST_IbLb1EEEEDaSP_SQ_EUlSP_E0_NS1_11comp_targetILNS1_3genE8ELNS1_11target_archE1030ELNS1_3gpuE2ELNS1_3repE0EEENS1_30default_config_static_selectorELNS0_4arch9wavefront6targetE1EEEvT1_
	.p2align	8
	.type	_ZN7rocprim17ROCPRIM_400000_NS6detail17trampoline_kernelINS0_14default_configENS1_20scan_config_selectorIiEEZZNS1_9scan_implILNS1_25lookback_scan_determinismE0ELb1ELb1ES3_N6thrust23THRUST_200600_302600_NS6detail15normal_iteratorINS9_10device_ptrIiEEEESE_i11max_functorIiEiEEDaPvRmT3_T4_T5_mT6_P12ihipStream_tbENKUlT_T0_E_clISt17integral_constantIbLb0EEST_IbLb1EEEEDaSP_SQ_EUlSP_E0_NS1_11comp_targetILNS1_3genE8ELNS1_11target_archE1030ELNS1_3gpuE2ELNS1_3repE0EEENS1_30default_config_static_selectorELNS0_4arch9wavefront6targetE1EEEvT1_,@function
_ZN7rocprim17ROCPRIM_400000_NS6detail17trampoline_kernelINS0_14default_configENS1_20scan_config_selectorIiEEZZNS1_9scan_implILNS1_25lookback_scan_determinismE0ELb1ELb1ES3_N6thrust23THRUST_200600_302600_NS6detail15normal_iteratorINS9_10device_ptrIiEEEESE_i11max_functorIiEiEEDaPvRmT3_T4_T5_mT6_P12ihipStream_tbENKUlT_T0_E_clISt17integral_constantIbLb0EEST_IbLb1EEEEDaSP_SQ_EUlSP_E0_NS1_11comp_targetILNS1_3genE8ELNS1_11target_archE1030ELNS1_3gpuE2ELNS1_3repE0EEENS1_30default_config_static_selectorELNS0_4arch9wavefront6targetE1EEEvT1_: ; @_ZN7rocprim17ROCPRIM_400000_NS6detail17trampoline_kernelINS0_14default_configENS1_20scan_config_selectorIiEEZZNS1_9scan_implILNS1_25lookback_scan_determinismE0ELb1ELb1ES3_N6thrust23THRUST_200600_302600_NS6detail15normal_iteratorINS9_10device_ptrIiEEEESE_i11max_functorIiEiEEDaPvRmT3_T4_T5_mT6_P12ihipStream_tbENKUlT_T0_E_clISt17integral_constantIbLb0EEST_IbLb1EEEEDaSP_SQ_EUlSP_E0_NS1_11comp_targetILNS1_3genE8ELNS1_11target_archE1030ELNS1_3gpuE2ELNS1_3repE0EEENS1_30default_config_static_selectorELNS0_4arch9wavefront6targetE1EEEvT1_
; %bb.0:
	.section	.rodata,"a",@progbits
	.p2align	6, 0x0
	.amdhsa_kernel _ZN7rocprim17ROCPRIM_400000_NS6detail17trampoline_kernelINS0_14default_configENS1_20scan_config_selectorIiEEZZNS1_9scan_implILNS1_25lookback_scan_determinismE0ELb1ELb1ES3_N6thrust23THRUST_200600_302600_NS6detail15normal_iteratorINS9_10device_ptrIiEEEESE_i11max_functorIiEiEEDaPvRmT3_T4_T5_mT6_P12ihipStream_tbENKUlT_T0_E_clISt17integral_constantIbLb0EEST_IbLb1EEEEDaSP_SQ_EUlSP_E0_NS1_11comp_targetILNS1_3genE8ELNS1_11target_archE1030ELNS1_3gpuE2ELNS1_3repE0EEENS1_30default_config_static_selectorELNS0_4arch9wavefront6targetE1EEEvT1_
		.amdhsa_group_segment_fixed_size 0
		.amdhsa_private_segment_fixed_size 0
		.amdhsa_kernarg_size 32
		.amdhsa_user_sgpr_count 6
		.amdhsa_user_sgpr_private_segment_buffer 1
		.amdhsa_user_sgpr_dispatch_ptr 0
		.amdhsa_user_sgpr_queue_ptr 0
		.amdhsa_user_sgpr_kernarg_segment_ptr 1
		.amdhsa_user_sgpr_dispatch_id 0
		.amdhsa_user_sgpr_flat_scratch_init 0
		.amdhsa_user_sgpr_kernarg_preload_length 0
		.amdhsa_user_sgpr_kernarg_preload_offset 0
		.amdhsa_user_sgpr_private_segment_size 0
		.amdhsa_uses_dynamic_stack 0
		.amdhsa_system_sgpr_private_segment_wavefront_offset 0
		.amdhsa_system_sgpr_workgroup_id_x 1
		.amdhsa_system_sgpr_workgroup_id_y 0
		.amdhsa_system_sgpr_workgroup_id_z 0
		.amdhsa_system_sgpr_workgroup_info 0
		.amdhsa_system_vgpr_workitem_id 0
		.amdhsa_next_free_vgpr 1
		.amdhsa_next_free_sgpr 0
		.amdhsa_accum_offset 4
		.amdhsa_reserve_vcc 0
		.amdhsa_reserve_flat_scratch 0
		.amdhsa_float_round_mode_32 0
		.amdhsa_float_round_mode_16_64 0
		.amdhsa_float_denorm_mode_32 3
		.amdhsa_float_denorm_mode_16_64 3
		.amdhsa_dx10_clamp 1
		.amdhsa_ieee_mode 1
		.amdhsa_fp16_overflow 0
		.amdhsa_tg_split 0
		.amdhsa_exception_fp_ieee_invalid_op 0
		.amdhsa_exception_fp_denorm_src 0
		.amdhsa_exception_fp_ieee_div_zero 0
		.amdhsa_exception_fp_ieee_overflow 0
		.amdhsa_exception_fp_ieee_underflow 0
		.amdhsa_exception_fp_ieee_inexact 0
		.amdhsa_exception_int_div_zero 0
	.end_amdhsa_kernel
	.section	.text._ZN7rocprim17ROCPRIM_400000_NS6detail17trampoline_kernelINS0_14default_configENS1_20scan_config_selectorIiEEZZNS1_9scan_implILNS1_25lookback_scan_determinismE0ELb1ELb1ES3_N6thrust23THRUST_200600_302600_NS6detail15normal_iteratorINS9_10device_ptrIiEEEESE_i11max_functorIiEiEEDaPvRmT3_T4_T5_mT6_P12ihipStream_tbENKUlT_T0_E_clISt17integral_constantIbLb0EEST_IbLb1EEEEDaSP_SQ_EUlSP_E0_NS1_11comp_targetILNS1_3genE8ELNS1_11target_archE1030ELNS1_3gpuE2ELNS1_3repE0EEENS1_30default_config_static_selectorELNS0_4arch9wavefront6targetE1EEEvT1_,"axG",@progbits,_ZN7rocprim17ROCPRIM_400000_NS6detail17trampoline_kernelINS0_14default_configENS1_20scan_config_selectorIiEEZZNS1_9scan_implILNS1_25lookback_scan_determinismE0ELb1ELb1ES3_N6thrust23THRUST_200600_302600_NS6detail15normal_iteratorINS9_10device_ptrIiEEEESE_i11max_functorIiEiEEDaPvRmT3_T4_T5_mT6_P12ihipStream_tbENKUlT_T0_E_clISt17integral_constantIbLb0EEST_IbLb1EEEEDaSP_SQ_EUlSP_E0_NS1_11comp_targetILNS1_3genE8ELNS1_11target_archE1030ELNS1_3gpuE2ELNS1_3repE0EEENS1_30default_config_static_selectorELNS0_4arch9wavefront6targetE1EEEvT1_,comdat
.Lfunc_end2845:
	.size	_ZN7rocprim17ROCPRIM_400000_NS6detail17trampoline_kernelINS0_14default_configENS1_20scan_config_selectorIiEEZZNS1_9scan_implILNS1_25lookback_scan_determinismE0ELb1ELb1ES3_N6thrust23THRUST_200600_302600_NS6detail15normal_iteratorINS9_10device_ptrIiEEEESE_i11max_functorIiEiEEDaPvRmT3_T4_T5_mT6_P12ihipStream_tbENKUlT_T0_E_clISt17integral_constantIbLb0EEST_IbLb1EEEEDaSP_SQ_EUlSP_E0_NS1_11comp_targetILNS1_3genE8ELNS1_11target_archE1030ELNS1_3gpuE2ELNS1_3repE0EEENS1_30default_config_static_selectorELNS0_4arch9wavefront6targetE1EEEvT1_, .Lfunc_end2845-_ZN7rocprim17ROCPRIM_400000_NS6detail17trampoline_kernelINS0_14default_configENS1_20scan_config_selectorIiEEZZNS1_9scan_implILNS1_25lookback_scan_determinismE0ELb1ELb1ES3_N6thrust23THRUST_200600_302600_NS6detail15normal_iteratorINS9_10device_ptrIiEEEESE_i11max_functorIiEiEEDaPvRmT3_T4_T5_mT6_P12ihipStream_tbENKUlT_T0_E_clISt17integral_constantIbLb0EEST_IbLb1EEEEDaSP_SQ_EUlSP_E0_NS1_11comp_targetILNS1_3genE8ELNS1_11target_archE1030ELNS1_3gpuE2ELNS1_3repE0EEENS1_30default_config_static_selectorELNS0_4arch9wavefront6targetE1EEEvT1_
                                        ; -- End function
	.section	.AMDGPU.csdata,"",@progbits
; Kernel info:
; codeLenInByte = 0
; NumSgprs: 4
; NumVgprs: 0
; NumAgprs: 0
; TotalNumVgprs: 0
; ScratchSize: 0
; MemoryBound: 0
; FloatMode: 240
; IeeeMode: 1
; LDSByteSize: 0 bytes/workgroup (compile time only)
; SGPRBlocks: 0
; VGPRBlocks: 0
; NumSGPRsForWavesPerEU: 4
; NumVGPRsForWavesPerEU: 1
; AccumOffset: 4
; Occupancy: 8
; WaveLimiterHint : 0
; COMPUTE_PGM_RSRC2:SCRATCH_EN: 0
; COMPUTE_PGM_RSRC2:USER_SGPR: 6
; COMPUTE_PGM_RSRC2:TRAP_HANDLER: 0
; COMPUTE_PGM_RSRC2:TGID_X_EN: 1
; COMPUTE_PGM_RSRC2:TGID_Y_EN: 0
; COMPUTE_PGM_RSRC2:TGID_Z_EN: 0
; COMPUTE_PGM_RSRC2:TIDIG_COMP_CNT: 0
; COMPUTE_PGM_RSRC3_GFX90A:ACCUM_OFFSET: 0
; COMPUTE_PGM_RSRC3_GFX90A:TG_SPLIT: 0
	.section	.text._ZN7rocprim17ROCPRIM_400000_NS6detail17trampoline_kernelINS0_14default_configENS1_20scan_config_selectorIsEEZZNS1_9scan_implILNS1_25lookback_scan_determinismE0ELb0ELb0ES3_N6thrust23THRUST_200600_302600_NS6detail15normal_iteratorINS9_10device_ptrIsEEEESE_s11max_functorIsEsEEDaPvRmT3_T4_T5_mT6_P12ihipStream_tbENKUlT_T0_E_clISt17integral_constantIbLb0EESU_EEDaSP_SQ_EUlSP_E_NS1_11comp_targetILNS1_3genE0ELNS1_11target_archE4294967295ELNS1_3gpuE0ELNS1_3repE0EEENS1_30default_config_static_selectorELNS0_4arch9wavefront6targetE1EEEvT1_,"axG",@progbits,_ZN7rocprim17ROCPRIM_400000_NS6detail17trampoline_kernelINS0_14default_configENS1_20scan_config_selectorIsEEZZNS1_9scan_implILNS1_25lookback_scan_determinismE0ELb0ELb0ES3_N6thrust23THRUST_200600_302600_NS6detail15normal_iteratorINS9_10device_ptrIsEEEESE_s11max_functorIsEsEEDaPvRmT3_T4_T5_mT6_P12ihipStream_tbENKUlT_T0_E_clISt17integral_constantIbLb0EESU_EEDaSP_SQ_EUlSP_E_NS1_11comp_targetILNS1_3genE0ELNS1_11target_archE4294967295ELNS1_3gpuE0ELNS1_3repE0EEENS1_30default_config_static_selectorELNS0_4arch9wavefront6targetE1EEEvT1_,comdat
	.protected	_ZN7rocprim17ROCPRIM_400000_NS6detail17trampoline_kernelINS0_14default_configENS1_20scan_config_selectorIsEEZZNS1_9scan_implILNS1_25lookback_scan_determinismE0ELb0ELb0ES3_N6thrust23THRUST_200600_302600_NS6detail15normal_iteratorINS9_10device_ptrIsEEEESE_s11max_functorIsEsEEDaPvRmT3_T4_T5_mT6_P12ihipStream_tbENKUlT_T0_E_clISt17integral_constantIbLb0EESU_EEDaSP_SQ_EUlSP_E_NS1_11comp_targetILNS1_3genE0ELNS1_11target_archE4294967295ELNS1_3gpuE0ELNS1_3repE0EEENS1_30default_config_static_selectorELNS0_4arch9wavefront6targetE1EEEvT1_ ; -- Begin function _ZN7rocprim17ROCPRIM_400000_NS6detail17trampoline_kernelINS0_14default_configENS1_20scan_config_selectorIsEEZZNS1_9scan_implILNS1_25lookback_scan_determinismE0ELb0ELb0ES3_N6thrust23THRUST_200600_302600_NS6detail15normal_iteratorINS9_10device_ptrIsEEEESE_s11max_functorIsEsEEDaPvRmT3_T4_T5_mT6_P12ihipStream_tbENKUlT_T0_E_clISt17integral_constantIbLb0EESU_EEDaSP_SQ_EUlSP_E_NS1_11comp_targetILNS1_3genE0ELNS1_11target_archE4294967295ELNS1_3gpuE0ELNS1_3repE0EEENS1_30default_config_static_selectorELNS0_4arch9wavefront6targetE1EEEvT1_
	.globl	_ZN7rocprim17ROCPRIM_400000_NS6detail17trampoline_kernelINS0_14default_configENS1_20scan_config_selectorIsEEZZNS1_9scan_implILNS1_25lookback_scan_determinismE0ELb0ELb0ES3_N6thrust23THRUST_200600_302600_NS6detail15normal_iteratorINS9_10device_ptrIsEEEESE_s11max_functorIsEsEEDaPvRmT3_T4_T5_mT6_P12ihipStream_tbENKUlT_T0_E_clISt17integral_constantIbLb0EESU_EEDaSP_SQ_EUlSP_E_NS1_11comp_targetILNS1_3genE0ELNS1_11target_archE4294967295ELNS1_3gpuE0ELNS1_3repE0EEENS1_30default_config_static_selectorELNS0_4arch9wavefront6targetE1EEEvT1_
	.p2align	8
	.type	_ZN7rocprim17ROCPRIM_400000_NS6detail17trampoline_kernelINS0_14default_configENS1_20scan_config_selectorIsEEZZNS1_9scan_implILNS1_25lookback_scan_determinismE0ELb0ELb0ES3_N6thrust23THRUST_200600_302600_NS6detail15normal_iteratorINS9_10device_ptrIsEEEESE_s11max_functorIsEsEEDaPvRmT3_T4_T5_mT6_P12ihipStream_tbENKUlT_T0_E_clISt17integral_constantIbLb0EESU_EEDaSP_SQ_EUlSP_E_NS1_11comp_targetILNS1_3genE0ELNS1_11target_archE4294967295ELNS1_3gpuE0ELNS1_3repE0EEENS1_30default_config_static_selectorELNS0_4arch9wavefront6targetE1EEEvT1_,@function
_ZN7rocprim17ROCPRIM_400000_NS6detail17trampoline_kernelINS0_14default_configENS1_20scan_config_selectorIsEEZZNS1_9scan_implILNS1_25lookback_scan_determinismE0ELb0ELb0ES3_N6thrust23THRUST_200600_302600_NS6detail15normal_iteratorINS9_10device_ptrIsEEEESE_s11max_functorIsEsEEDaPvRmT3_T4_T5_mT6_P12ihipStream_tbENKUlT_T0_E_clISt17integral_constantIbLb0EESU_EEDaSP_SQ_EUlSP_E_NS1_11comp_targetILNS1_3genE0ELNS1_11target_archE4294967295ELNS1_3gpuE0ELNS1_3repE0EEENS1_30default_config_static_selectorELNS0_4arch9wavefront6targetE1EEEvT1_: ; @_ZN7rocprim17ROCPRIM_400000_NS6detail17trampoline_kernelINS0_14default_configENS1_20scan_config_selectorIsEEZZNS1_9scan_implILNS1_25lookback_scan_determinismE0ELb0ELb0ES3_N6thrust23THRUST_200600_302600_NS6detail15normal_iteratorINS9_10device_ptrIsEEEESE_s11max_functorIsEsEEDaPvRmT3_T4_T5_mT6_P12ihipStream_tbENKUlT_T0_E_clISt17integral_constantIbLb0EESU_EEDaSP_SQ_EUlSP_E_NS1_11comp_targetILNS1_3genE0ELNS1_11target_archE4294967295ELNS1_3gpuE0ELNS1_3repE0EEENS1_30default_config_static_selectorELNS0_4arch9wavefront6targetE1EEEvT1_
; %bb.0:
	.section	.rodata,"a",@progbits
	.p2align	6, 0x0
	.amdhsa_kernel _ZN7rocprim17ROCPRIM_400000_NS6detail17trampoline_kernelINS0_14default_configENS1_20scan_config_selectorIsEEZZNS1_9scan_implILNS1_25lookback_scan_determinismE0ELb0ELb0ES3_N6thrust23THRUST_200600_302600_NS6detail15normal_iteratorINS9_10device_ptrIsEEEESE_s11max_functorIsEsEEDaPvRmT3_T4_T5_mT6_P12ihipStream_tbENKUlT_T0_E_clISt17integral_constantIbLb0EESU_EEDaSP_SQ_EUlSP_E_NS1_11comp_targetILNS1_3genE0ELNS1_11target_archE4294967295ELNS1_3gpuE0ELNS1_3repE0EEENS1_30default_config_static_selectorELNS0_4arch9wavefront6targetE1EEEvT1_
		.amdhsa_group_segment_fixed_size 0
		.amdhsa_private_segment_fixed_size 0
		.amdhsa_kernarg_size 96
		.amdhsa_user_sgpr_count 6
		.amdhsa_user_sgpr_private_segment_buffer 1
		.amdhsa_user_sgpr_dispatch_ptr 0
		.amdhsa_user_sgpr_queue_ptr 0
		.amdhsa_user_sgpr_kernarg_segment_ptr 1
		.amdhsa_user_sgpr_dispatch_id 0
		.amdhsa_user_sgpr_flat_scratch_init 0
		.amdhsa_user_sgpr_kernarg_preload_length 0
		.amdhsa_user_sgpr_kernarg_preload_offset 0
		.amdhsa_user_sgpr_private_segment_size 0
		.amdhsa_uses_dynamic_stack 0
		.amdhsa_system_sgpr_private_segment_wavefront_offset 0
		.amdhsa_system_sgpr_workgroup_id_x 1
		.amdhsa_system_sgpr_workgroup_id_y 0
		.amdhsa_system_sgpr_workgroup_id_z 0
		.amdhsa_system_sgpr_workgroup_info 0
		.amdhsa_system_vgpr_workitem_id 0
		.amdhsa_next_free_vgpr 1
		.amdhsa_next_free_sgpr 0
		.amdhsa_accum_offset 4
		.amdhsa_reserve_vcc 0
		.amdhsa_reserve_flat_scratch 0
		.amdhsa_float_round_mode_32 0
		.amdhsa_float_round_mode_16_64 0
		.amdhsa_float_denorm_mode_32 3
		.amdhsa_float_denorm_mode_16_64 3
		.amdhsa_dx10_clamp 1
		.amdhsa_ieee_mode 1
		.amdhsa_fp16_overflow 0
		.amdhsa_tg_split 0
		.amdhsa_exception_fp_ieee_invalid_op 0
		.amdhsa_exception_fp_denorm_src 0
		.amdhsa_exception_fp_ieee_div_zero 0
		.amdhsa_exception_fp_ieee_overflow 0
		.amdhsa_exception_fp_ieee_underflow 0
		.amdhsa_exception_fp_ieee_inexact 0
		.amdhsa_exception_int_div_zero 0
	.end_amdhsa_kernel
	.section	.text._ZN7rocprim17ROCPRIM_400000_NS6detail17trampoline_kernelINS0_14default_configENS1_20scan_config_selectorIsEEZZNS1_9scan_implILNS1_25lookback_scan_determinismE0ELb0ELb0ES3_N6thrust23THRUST_200600_302600_NS6detail15normal_iteratorINS9_10device_ptrIsEEEESE_s11max_functorIsEsEEDaPvRmT3_T4_T5_mT6_P12ihipStream_tbENKUlT_T0_E_clISt17integral_constantIbLb0EESU_EEDaSP_SQ_EUlSP_E_NS1_11comp_targetILNS1_3genE0ELNS1_11target_archE4294967295ELNS1_3gpuE0ELNS1_3repE0EEENS1_30default_config_static_selectorELNS0_4arch9wavefront6targetE1EEEvT1_,"axG",@progbits,_ZN7rocprim17ROCPRIM_400000_NS6detail17trampoline_kernelINS0_14default_configENS1_20scan_config_selectorIsEEZZNS1_9scan_implILNS1_25lookback_scan_determinismE0ELb0ELb0ES3_N6thrust23THRUST_200600_302600_NS6detail15normal_iteratorINS9_10device_ptrIsEEEESE_s11max_functorIsEsEEDaPvRmT3_T4_T5_mT6_P12ihipStream_tbENKUlT_T0_E_clISt17integral_constantIbLb0EESU_EEDaSP_SQ_EUlSP_E_NS1_11comp_targetILNS1_3genE0ELNS1_11target_archE4294967295ELNS1_3gpuE0ELNS1_3repE0EEENS1_30default_config_static_selectorELNS0_4arch9wavefront6targetE1EEEvT1_,comdat
.Lfunc_end2846:
	.size	_ZN7rocprim17ROCPRIM_400000_NS6detail17trampoline_kernelINS0_14default_configENS1_20scan_config_selectorIsEEZZNS1_9scan_implILNS1_25lookback_scan_determinismE0ELb0ELb0ES3_N6thrust23THRUST_200600_302600_NS6detail15normal_iteratorINS9_10device_ptrIsEEEESE_s11max_functorIsEsEEDaPvRmT3_T4_T5_mT6_P12ihipStream_tbENKUlT_T0_E_clISt17integral_constantIbLb0EESU_EEDaSP_SQ_EUlSP_E_NS1_11comp_targetILNS1_3genE0ELNS1_11target_archE4294967295ELNS1_3gpuE0ELNS1_3repE0EEENS1_30default_config_static_selectorELNS0_4arch9wavefront6targetE1EEEvT1_, .Lfunc_end2846-_ZN7rocprim17ROCPRIM_400000_NS6detail17trampoline_kernelINS0_14default_configENS1_20scan_config_selectorIsEEZZNS1_9scan_implILNS1_25lookback_scan_determinismE0ELb0ELb0ES3_N6thrust23THRUST_200600_302600_NS6detail15normal_iteratorINS9_10device_ptrIsEEEESE_s11max_functorIsEsEEDaPvRmT3_T4_T5_mT6_P12ihipStream_tbENKUlT_T0_E_clISt17integral_constantIbLb0EESU_EEDaSP_SQ_EUlSP_E_NS1_11comp_targetILNS1_3genE0ELNS1_11target_archE4294967295ELNS1_3gpuE0ELNS1_3repE0EEENS1_30default_config_static_selectorELNS0_4arch9wavefront6targetE1EEEvT1_
                                        ; -- End function
	.section	.AMDGPU.csdata,"",@progbits
; Kernel info:
; codeLenInByte = 0
; NumSgprs: 4
; NumVgprs: 0
; NumAgprs: 0
; TotalNumVgprs: 0
; ScratchSize: 0
; MemoryBound: 0
; FloatMode: 240
; IeeeMode: 1
; LDSByteSize: 0 bytes/workgroup (compile time only)
; SGPRBlocks: 0
; VGPRBlocks: 0
; NumSGPRsForWavesPerEU: 4
; NumVGPRsForWavesPerEU: 1
; AccumOffset: 4
; Occupancy: 8
; WaveLimiterHint : 0
; COMPUTE_PGM_RSRC2:SCRATCH_EN: 0
; COMPUTE_PGM_RSRC2:USER_SGPR: 6
; COMPUTE_PGM_RSRC2:TRAP_HANDLER: 0
; COMPUTE_PGM_RSRC2:TGID_X_EN: 1
; COMPUTE_PGM_RSRC2:TGID_Y_EN: 0
; COMPUTE_PGM_RSRC2:TGID_Z_EN: 0
; COMPUTE_PGM_RSRC2:TIDIG_COMP_CNT: 0
; COMPUTE_PGM_RSRC3_GFX90A:ACCUM_OFFSET: 0
; COMPUTE_PGM_RSRC3_GFX90A:TG_SPLIT: 0
	.section	.text._ZN7rocprim17ROCPRIM_400000_NS6detail17trampoline_kernelINS0_14default_configENS1_20scan_config_selectorIsEEZZNS1_9scan_implILNS1_25lookback_scan_determinismE0ELb0ELb0ES3_N6thrust23THRUST_200600_302600_NS6detail15normal_iteratorINS9_10device_ptrIsEEEESE_s11max_functorIsEsEEDaPvRmT3_T4_T5_mT6_P12ihipStream_tbENKUlT_T0_E_clISt17integral_constantIbLb0EESU_EEDaSP_SQ_EUlSP_E_NS1_11comp_targetILNS1_3genE5ELNS1_11target_archE942ELNS1_3gpuE9ELNS1_3repE0EEENS1_30default_config_static_selectorELNS0_4arch9wavefront6targetE1EEEvT1_,"axG",@progbits,_ZN7rocprim17ROCPRIM_400000_NS6detail17trampoline_kernelINS0_14default_configENS1_20scan_config_selectorIsEEZZNS1_9scan_implILNS1_25lookback_scan_determinismE0ELb0ELb0ES3_N6thrust23THRUST_200600_302600_NS6detail15normal_iteratorINS9_10device_ptrIsEEEESE_s11max_functorIsEsEEDaPvRmT3_T4_T5_mT6_P12ihipStream_tbENKUlT_T0_E_clISt17integral_constantIbLb0EESU_EEDaSP_SQ_EUlSP_E_NS1_11comp_targetILNS1_3genE5ELNS1_11target_archE942ELNS1_3gpuE9ELNS1_3repE0EEENS1_30default_config_static_selectorELNS0_4arch9wavefront6targetE1EEEvT1_,comdat
	.protected	_ZN7rocprim17ROCPRIM_400000_NS6detail17trampoline_kernelINS0_14default_configENS1_20scan_config_selectorIsEEZZNS1_9scan_implILNS1_25lookback_scan_determinismE0ELb0ELb0ES3_N6thrust23THRUST_200600_302600_NS6detail15normal_iteratorINS9_10device_ptrIsEEEESE_s11max_functorIsEsEEDaPvRmT3_T4_T5_mT6_P12ihipStream_tbENKUlT_T0_E_clISt17integral_constantIbLb0EESU_EEDaSP_SQ_EUlSP_E_NS1_11comp_targetILNS1_3genE5ELNS1_11target_archE942ELNS1_3gpuE9ELNS1_3repE0EEENS1_30default_config_static_selectorELNS0_4arch9wavefront6targetE1EEEvT1_ ; -- Begin function _ZN7rocprim17ROCPRIM_400000_NS6detail17trampoline_kernelINS0_14default_configENS1_20scan_config_selectorIsEEZZNS1_9scan_implILNS1_25lookback_scan_determinismE0ELb0ELb0ES3_N6thrust23THRUST_200600_302600_NS6detail15normal_iteratorINS9_10device_ptrIsEEEESE_s11max_functorIsEsEEDaPvRmT3_T4_T5_mT6_P12ihipStream_tbENKUlT_T0_E_clISt17integral_constantIbLb0EESU_EEDaSP_SQ_EUlSP_E_NS1_11comp_targetILNS1_3genE5ELNS1_11target_archE942ELNS1_3gpuE9ELNS1_3repE0EEENS1_30default_config_static_selectorELNS0_4arch9wavefront6targetE1EEEvT1_
	.globl	_ZN7rocprim17ROCPRIM_400000_NS6detail17trampoline_kernelINS0_14default_configENS1_20scan_config_selectorIsEEZZNS1_9scan_implILNS1_25lookback_scan_determinismE0ELb0ELb0ES3_N6thrust23THRUST_200600_302600_NS6detail15normal_iteratorINS9_10device_ptrIsEEEESE_s11max_functorIsEsEEDaPvRmT3_T4_T5_mT6_P12ihipStream_tbENKUlT_T0_E_clISt17integral_constantIbLb0EESU_EEDaSP_SQ_EUlSP_E_NS1_11comp_targetILNS1_3genE5ELNS1_11target_archE942ELNS1_3gpuE9ELNS1_3repE0EEENS1_30default_config_static_selectorELNS0_4arch9wavefront6targetE1EEEvT1_
	.p2align	8
	.type	_ZN7rocprim17ROCPRIM_400000_NS6detail17trampoline_kernelINS0_14default_configENS1_20scan_config_selectorIsEEZZNS1_9scan_implILNS1_25lookback_scan_determinismE0ELb0ELb0ES3_N6thrust23THRUST_200600_302600_NS6detail15normal_iteratorINS9_10device_ptrIsEEEESE_s11max_functorIsEsEEDaPvRmT3_T4_T5_mT6_P12ihipStream_tbENKUlT_T0_E_clISt17integral_constantIbLb0EESU_EEDaSP_SQ_EUlSP_E_NS1_11comp_targetILNS1_3genE5ELNS1_11target_archE942ELNS1_3gpuE9ELNS1_3repE0EEENS1_30default_config_static_selectorELNS0_4arch9wavefront6targetE1EEEvT1_,@function
_ZN7rocprim17ROCPRIM_400000_NS6detail17trampoline_kernelINS0_14default_configENS1_20scan_config_selectorIsEEZZNS1_9scan_implILNS1_25lookback_scan_determinismE0ELb0ELb0ES3_N6thrust23THRUST_200600_302600_NS6detail15normal_iteratorINS9_10device_ptrIsEEEESE_s11max_functorIsEsEEDaPvRmT3_T4_T5_mT6_P12ihipStream_tbENKUlT_T0_E_clISt17integral_constantIbLb0EESU_EEDaSP_SQ_EUlSP_E_NS1_11comp_targetILNS1_3genE5ELNS1_11target_archE942ELNS1_3gpuE9ELNS1_3repE0EEENS1_30default_config_static_selectorELNS0_4arch9wavefront6targetE1EEEvT1_: ; @_ZN7rocprim17ROCPRIM_400000_NS6detail17trampoline_kernelINS0_14default_configENS1_20scan_config_selectorIsEEZZNS1_9scan_implILNS1_25lookback_scan_determinismE0ELb0ELb0ES3_N6thrust23THRUST_200600_302600_NS6detail15normal_iteratorINS9_10device_ptrIsEEEESE_s11max_functorIsEsEEDaPvRmT3_T4_T5_mT6_P12ihipStream_tbENKUlT_T0_E_clISt17integral_constantIbLb0EESU_EEDaSP_SQ_EUlSP_E_NS1_11comp_targetILNS1_3genE5ELNS1_11target_archE942ELNS1_3gpuE9ELNS1_3repE0EEENS1_30default_config_static_selectorELNS0_4arch9wavefront6targetE1EEEvT1_
; %bb.0:
	.section	.rodata,"a",@progbits
	.p2align	6, 0x0
	.amdhsa_kernel _ZN7rocprim17ROCPRIM_400000_NS6detail17trampoline_kernelINS0_14default_configENS1_20scan_config_selectorIsEEZZNS1_9scan_implILNS1_25lookback_scan_determinismE0ELb0ELb0ES3_N6thrust23THRUST_200600_302600_NS6detail15normal_iteratorINS9_10device_ptrIsEEEESE_s11max_functorIsEsEEDaPvRmT3_T4_T5_mT6_P12ihipStream_tbENKUlT_T0_E_clISt17integral_constantIbLb0EESU_EEDaSP_SQ_EUlSP_E_NS1_11comp_targetILNS1_3genE5ELNS1_11target_archE942ELNS1_3gpuE9ELNS1_3repE0EEENS1_30default_config_static_selectorELNS0_4arch9wavefront6targetE1EEEvT1_
		.amdhsa_group_segment_fixed_size 0
		.amdhsa_private_segment_fixed_size 0
		.amdhsa_kernarg_size 96
		.amdhsa_user_sgpr_count 6
		.amdhsa_user_sgpr_private_segment_buffer 1
		.amdhsa_user_sgpr_dispatch_ptr 0
		.amdhsa_user_sgpr_queue_ptr 0
		.amdhsa_user_sgpr_kernarg_segment_ptr 1
		.amdhsa_user_sgpr_dispatch_id 0
		.amdhsa_user_sgpr_flat_scratch_init 0
		.amdhsa_user_sgpr_kernarg_preload_length 0
		.amdhsa_user_sgpr_kernarg_preload_offset 0
		.amdhsa_user_sgpr_private_segment_size 0
		.amdhsa_uses_dynamic_stack 0
		.amdhsa_system_sgpr_private_segment_wavefront_offset 0
		.amdhsa_system_sgpr_workgroup_id_x 1
		.amdhsa_system_sgpr_workgroup_id_y 0
		.amdhsa_system_sgpr_workgroup_id_z 0
		.amdhsa_system_sgpr_workgroup_info 0
		.amdhsa_system_vgpr_workitem_id 0
		.amdhsa_next_free_vgpr 1
		.amdhsa_next_free_sgpr 0
		.amdhsa_accum_offset 4
		.amdhsa_reserve_vcc 0
		.amdhsa_reserve_flat_scratch 0
		.amdhsa_float_round_mode_32 0
		.amdhsa_float_round_mode_16_64 0
		.amdhsa_float_denorm_mode_32 3
		.amdhsa_float_denorm_mode_16_64 3
		.amdhsa_dx10_clamp 1
		.amdhsa_ieee_mode 1
		.amdhsa_fp16_overflow 0
		.amdhsa_tg_split 0
		.amdhsa_exception_fp_ieee_invalid_op 0
		.amdhsa_exception_fp_denorm_src 0
		.amdhsa_exception_fp_ieee_div_zero 0
		.amdhsa_exception_fp_ieee_overflow 0
		.amdhsa_exception_fp_ieee_underflow 0
		.amdhsa_exception_fp_ieee_inexact 0
		.amdhsa_exception_int_div_zero 0
	.end_amdhsa_kernel
	.section	.text._ZN7rocprim17ROCPRIM_400000_NS6detail17trampoline_kernelINS0_14default_configENS1_20scan_config_selectorIsEEZZNS1_9scan_implILNS1_25lookback_scan_determinismE0ELb0ELb0ES3_N6thrust23THRUST_200600_302600_NS6detail15normal_iteratorINS9_10device_ptrIsEEEESE_s11max_functorIsEsEEDaPvRmT3_T4_T5_mT6_P12ihipStream_tbENKUlT_T0_E_clISt17integral_constantIbLb0EESU_EEDaSP_SQ_EUlSP_E_NS1_11comp_targetILNS1_3genE5ELNS1_11target_archE942ELNS1_3gpuE9ELNS1_3repE0EEENS1_30default_config_static_selectorELNS0_4arch9wavefront6targetE1EEEvT1_,"axG",@progbits,_ZN7rocprim17ROCPRIM_400000_NS6detail17trampoline_kernelINS0_14default_configENS1_20scan_config_selectorIsEEZZNS1_9scan_implILNS1_25lookback_scan_determinismE0ELb0ELb0ES3_N6thrust23THRUST_200600_302600_NS6detail15normal_iteratorINS9_10device_ptrIsEEEESE_s11max_functorIsEsEEDaPvRmT3_T4_T5_mT6_P12ihipStream_tbENKUlT_T0_E_clISt17integral_constantIbLb0EESU_EEDaSP_SQ_EUlSP_E_NS1_11comp_targetILNS1_3genE5ELNS1_11target_archE942ELNS1_3gpuE9ELNS1_3repE0EEENS1_30default_config_static_selectorELNS0_4arch9wavefront6targetE1EEEvT1_,comdat
.Lfunc_end2847:
	.size	_ZN7rocprim17ROCPRIM_400000_NS6detail17trampoline_kernelINS0_14default_configENS1_20scan_config_selectorIsEEZZNS1_9scan_implILNS1_25lookback_scan_determinismE0ELb0ELb0ES3_N6thrust23THRUST_200600_302600_NS6detail15normal_iteratorINS9_10device_ptrIsEEEESE_s11max_functorIsEsEEDaPvRmT3_T4_T5_mT6_P12ihipStream_tbENKUlT_T0_E_clISt17integral_constantIbLb0EESU_EEDaSP_SQ_EUlSP_E_NS1_11comp_targetILNS1_3genE5ELNS1_11target_archE942ELNS1_3gpuE9ELNS1_3repE0EEENS1_30default_config_static_selectorELNS0_4arch9wavefront6targetE1EEEvT1_, .Lfunc_end2847-_ZN7rocprim17ROCPRIM_400000_NS6detail17trampoline_kernelINS0_14default_configENS1_20scan_config_selectorIsEEZZNS1_9scan_implILNS1_25lookback_scan_determinismE0ELb0ELb0ES3_N6thrust23THRUST_200600_302600_NS6detail15normal_iteratorINS9_10device_ptrIsEEEESE_s11max_functorIsEsEEDaPvRmT3_T4_T5_mT6_P12ihipStream_tbENKUlT_T0_E_clISt17integral_constantIbLb0EESU_EEDaSP_SQ_EUlSP_E_NS1_11comp_targetILNS1_3genE5ELNS1_11target_archE942ELNS1_3gpuE9ELNS1_3repE0EEENS1_30default_config_static_selectorELNS0_4arch9wavefront6targetE1EEEvT1_
                                        ; -- End function
	.section	.AMDGPU.csdata,"",@progbits
; Kernel info:
; codeLenInByte = 0
; NumSgprs: 4
; NumVgprs: 0
; NumAgprs: 0
; TotalNumVgprs: 0
; ScratchSize: 0
; MemoryBound: 0
; FloatMode: 240
; IeeeMode: 1
; LDSByteSize: 0 bytes/workgroup (compile time only)
; SGPRBlocks: 0
; VGPRBlocks: 0
; NumSGPRsForWavesPerEU: 4
; NumVGPRsForWavesPerEU: 1
; AccumOffset: 4
; Occupancy: 8
; WaveLimiterHint : 0
; COMPUTE_PGM_RSRC2:SCRATCH_EN: 0
; COMPUTE_PGM_RSRC2:USER_SGPR: 6
; COMPUTE_PGM_RSRC2:TRAP_HANDLER: 0
; COMPUTE_PGM_RSRC2:TGID_X_EN: 1
; COMPUTE_PGM_RSRC2:TGID_Y_EN: 0
; COMPUTE_PGM_RSRC2:TGID_Z_EN: 0
; COMPUTE_PGM_RSRC2:TIDIG_COMP_CNT: 0
; COMPUTE_PGM_RSRC3_GFX90A:ACCUM_OFFSET: 0
; COMPUTE_PGM_RSRC3_GFX90A:TG_SPLIT: 0
	.section	.text._ZN7rocprim17ROCPRIM_400000_NS6detail17trampoline_kernelINS0_14default_configENS1_20scan_config_selectorIsEEZZNS1_9scan_implILNS1_25lookback_scan_determinismE0ELb0ELb0ES3_N6thrust23THRUST_200600_302600_NS6detail15normal_iteratorINS9_10device_ptrIsEEEESE_s11max_functorIsEsEEDaPvRmT3_T4_T5_mT6_P12ihipStream_tbENKUlT_T0_E_clISt17integral_constantIbLb0EESU_EEDaSP_SQ_EUlSP_E_NS1_11comp_targetILNS1_3genE4ELNS1_11target_archE910ELNS1_3gpuE8ELNS1_3repE0EEENS1_30default_config_static_selectorELNS0_4arch9wavefront6targetE1EEEvT1_,"axG",@progbits,_ZN7rocprim17ROCPRIM_400000_NS6detail17trampoline_kernelINS0_14default_configENS1_20scan_config_selectorIsEEZZNS1_9scan_implILNS1_25lookback_scan_determinismE0ELb0ELb0ES3_N6thrust23THRUST_200600_302600_NS6detail15normal_iteratorINS9_10device_ptrIsEEEESE_s11max_functorIsEsEEDaPvRmT3_T4_T5_mT6_P12ihipStream_tbENKUlT_T0_E_clISt17integral_constantIbLb0EESU_EEDaSP_SQ_EUlSP_E_NS1_11comp_targetILNS1_3genE4ELNS1_11target_archE910ELNS1_3gpuE8ELNS1_3repE0EEENS1_30default_config_static_selectorELNS0_4arch9wavefront6targetE1EEEvT1_,comdat
	.protected	_ZN7rocprim17ROCPRIM_400000_NS6detail17trampoline_kernelINS0_14default_configENS1_20scan_config_selectorIsEEZZNS1_9scan_implILNS1_25lookback_scan_determinismE0ELb0ELb0ES3_N6thrust23THRUST_200600_302600_NS6detail15normal_iteratorINS9_10device_ptrIsEEEESE_s11max_functorIsEsEEDaPvRmT3_T4_T5_mT6_P12ihipStream_tbENKUlT_T0_E_clISt17integral_constantIbLb0EESU_EEDaSP_SQ_EUlSP_E_NS1_11comp_targetILNS1_3genE4ELNS1_11target_archE910ELNS1_3gpuE8ELNS1_3repE0EEENS1_30default_config_static_selectorELNS0_4arch9wavefront6targetE1EEEvT1_ ; -- Begin function _ZN7rocprim17ROCPRIM_400000_NS6detail17trampoline_kernelINS0_14default_configENS1_20scan_config_selectorIsEEZZNS1_9scan_implILNS1_25lookback_scan_determinismE0ELb0ELb0ES3_N6thrust23THRUST_200600_302600_NS6detail15normal_iteratorINS9_10device_ptrIsEEEESE_s11max_functorIsEsEEDaPvRmT3_T4_T5_mT6_P12ihipStream_tbENKUlT_T0_E_clISt17integral_constantIbLb0EESU_EEDaSP_SQ_EUlSP_E_NS1_11comp_targetILNS1_3genE4ELNS1_11target_archE910ELNS1_3gpuE8ELNS1_3repE0EEENS1_30default_config_static_selectorELNS0_4arch9wavefront6targetE1EEEvT1_
	.globl	_ZN7rocprim17ROCPRIM_400000_NS6detail17trampoline_kernelINS0_14default_configENS1_20scan_config_selectorIsEEZZNS1_9scan_implILNS1_25lookback_scan_determinismE0ELb0ELb0ES3_N6thrust23THRUST_200600_302600_NS6detail15normal_iteratorINS9_10device_ptrIsEEEESE_s11max_functorIsEsEEDaPvRmT3_T4_T5_mT6_P12ihipStream_tbENKUlT_T0_E_clISt17integral_constantIbLb0EESU_EEDaSP_SQ_EUlSP_E_NS1_11comp_targetILNS1_3genE4ELNS1_11target_archE910ELNS1_3gpuE8ELNS1_3repE0EEENS1_30default_config_static_selectorELNS0_4arch9wavefront6targetE1EEEvT1_
	.p2align	8
	.type	_ZN7rocprim17ROCPRIM_400000_NS6detail17trampoline_kernelINS0_14default_configENS1_20scan_config_selectorIsEEZZNS1_9scan_implILNS1_25lookback_scan_determinismE0ELb0ELb0ES3_N6thrust23THRUST_200600_302600_NS6detail15normal_iteratorINS9_10device_ptrIsEEEESE_s11max_functorIsEsEEDaPvRmT3_T4_T5_mT6_P12ihipStream_tbENKUlT_T0_E_clISt17integral_constantIbLb0EESU_EEDaSP_SQ_EUlSP_E_NS1_11comp_targetILNS1_3genE4ELNS1_11target_archE910ELNS1_3gpuE8ELNS1_3repE0EEENS1_30default_config_static_selectorELNS0_4arch9wavefront6targetE1EEEvT1_,@function
_ZN7rocprim17ROCPRIM_400000_NS6detail17trampoline_kernelINS0_14default_configENS1_20scan_config_selectorIsEEZZNS1_9scan_implILNS1_25lookback_scan_determinismE0ELb0ELb0ES3_N6thrust23THRUST_200600_302600_NS6detail15normal_iteratorINS9_10device_ptrIsEEEESE_s11max_functorIsEsEEDaPvRmT3_T4_T5_mT6_P12ihipStream_tbENKUlT_T0_E_clISt17integral_constantIbLb0EESU_EEDaSP_SQ_EUlSP_E_NS1_11comp_targetILNS1_3genE4ELNS1_11target_archE910ELNS1_3gpuE8ELNS1_3repE0EEENS1_30default_config_static_selectorELNS0_4arch9wavefront6targetE1EEEvT1_: ; @_ZN7rocprim17ROCPRIM_400000_NS6detail17trampoline_kernelINS0_14default_configENS1_20scan_config_selectorIsEEZZNS1_9scan_implILNS1_25lookback_scan_determinismE0ELb0ELb0ES3_N6thrust23THRUST_200600_302600_NS6detail15normal_iteratorINS9_10device_ptrIsEEEESE_s11max_functorIsEsEEDaPvRmT3_T4_T5_mT6_P12ihipStream_tbENKUlT_T0_E_clISt17integral_constantIbLb0EESU_EEDaSP_SQ_EUlSP_E_NS1_11comp_targetILNS1_3genE4ELNS1_11target_archE910ELNS1_3gpuE8ELNS1_3repE0EEENS1_30default_config_static_selectorELNS0_4arch9wavefront6targetE1EEEvT1_
; %bb.0:
	s_load_dwordx8 s[12:19], s[4:5], 0x0
	s_load_dword s1, s[4:5], 0x30
	s_mul_i32 s0, s6, 0x600
	v_lshlrev_b32_e32 v20, 1, v0
	s_waitcnt lgkmcnt(0)
	s_lshl_b64 s[14:15], s[14:15], 1
	s_add_u32 s2, s12, s14
	s_addc_u32 s3, s13, s15
	s_add_i32 s7, s1, -1
	s_mul_i32 s8, s7, 0x600
	s_sub_u32 s26, s18, s8
	s_subb_u32 s27, s19, 0
	s_mov_b32 s1, 0
	s_cmp_lg_u32 s6, s7
	s_cselect_b64 s[18:19], -1, 0
	s_lshl_b64 s[20:21], s[0:1], 1
	s_add_u32 s2, s2, s20
	s_addc_u32 s3, s3, s21
	s_mov_b64 s[0:1], -1
	s_and_b64 vcc, exec, s[18:19]
	s_cbranch_vccz .LBB2848_2
; %bb.1:
	v_mov_b32_e32 v1, s3
	v_add_co_u32_e32 v2, vcc, s2, v20
	v_addc_co_u32_e32 v3, vcc, 0, v1, vcc
	flat_load_ushort v1, v[2:3]
	flat_load_ushort v4, v[2:3] offset:128
	flat_load_ushort v5, v[2:3] offset:256
	;; [unrolled: 1-line block ×23, first 2 shown]
	s_mov_b64 s[0:1], 0
	s_waitcnt vmcnt(0) lgkmcnt(0)
	ds_write_b16 v20, v1
	ds_write_b16 v20, v4 offset:128
	ds_write_b16 v20, v5 offset:256
	;; [unrolled: 1-line block ×23, first 2 shown]
	s_waitcnt lgkmcnt(0)
	; wave barrier
.LBB2848_2:
	s_load_dwordx2 s[22:23], s[4:5], 0x28
	s_andn2_b64 vcc, exec, s[0:1]
	v_cmp_gt_u32_e64 s[0:1], s26, v0
	s_cbranch_vccnz .LBB2848_52
; %bb.3:
	v_pk_mov_b32 v[2:3], s[2:3], s[2:3] op_sel:[0,1]
	flat_load_ushort v1, v[2:3]
	s_waitcnt vmcnt(0) lgkmcnt(0)
	v_mov_b32_e32 v2, v1
	s_and_saveexec_b64 s[8:9], s[0:1]
	s_cbranch_execz .LBB2848_5
; %bb.4:
	v_mov_b32_e32 v3, s3
	v_add_co_u32_e32 v2, vcc, s2, v20
	v_addc_co_u32_e32 v3, vcc, 0, v3, vcc
	flat_load_ushort v2, v[2:3]
.LBB2848_5:
	s_or_b64 exec, exec, s[8:9]
	v_or_b32_e32 v3, 64, v0
	v_cmp_gt_u32_e32 vcc, s26, v3
	v_mov_b32_e32 v3, v1
	s_and_saveexec_b64 s[0:1], vcc
	s_cbranch_execz .LBB2848_7
; %bb.6:
	v_mov_b32_e32 v3, s3
	v_add_co_u32_e32 v4, vcc, s2, v20
	v_addc_co_u32_e32 v5, vcc, 0, v3, vcc
	flat_load_ushort v3, v[4:5] offset:128
.LBB2848_7:
	s_or_b64 exec, exec, s[0:1]
	v_or_b32_e32 v4, 0x80, v0
	v_cmp_gt_u32_e32 vcc, s26, v4
	v_mov_b32_e32 v4, v1
	s_and_saveexec_b64 s[0:1], vcc
	s_cbranch_execz .LBB2848_9
; %bb.8:
	v_mov_b32_e32 v5, s3
	v_add_co_u32_e32 v4, vcc, s2, v20
	v_addc_co_u32_e32 v5, vcc, 0, v5, vcc
	flat_load_ushort v4, v[4:5] offset:256
.LBB2848_9:
	;; [unrolled: 12-line block ×22, first 2 shown]
	s_or_b64 exec, exec, s[0:1]
	v_or_b32_e32 v26, 0x5c0, v0
	v_cmp_gt_u32_e32 vcc, s26, v26
	s_and_saveexec_b64 s[0:1], vcc
	s_cbranch_execz .LBB2848_51
; %bb.50:
	v_mov_b32_e32 v1, s3
	v_add_co_u32_e32 v26, vcc, s2, v20
	v_addc_co_u32_e32 v27, vcc, 0, v1, vcc
	flat_load_ushort v1, v[26:27] offset:2944
.LBB2848_51:
	s_or_b64 exec, exec, s[0:1]
	s_waitcnt vmcnt(0) lgkmcnt(0)
	ds_write_b16 v20, v2
	ds_write_b16 v20, v3 offset:128
	ds_write_b16 v20, v4 offset:256
	;; [unrolled: 1-line block ×23, first 2 shown]
	s_waitcnt lgkmcnt(0)
	; wave barrier
.LBB2848_52:
	v_mul_u32_u24_e32 v21, 24, v0
	v_lshlrev_b32_e32 v22, 1, v21
	s_waitcnt lgkmcnt(0)
	ds_read_b128 v[10:13], v22
	ds_read_b128 v[6:9], v22 offset:16
	ds_read_b128 v[2:5], v22 offset:32
	s_cmp_lg_u32 s6, 0
	v_mbcnt_lo_u32_b32 v33, -1, 0
	s_waitcnt lgkmcnt(2)
	v_lshrrev_b32_e32 v32, 16, v11
	v_lshrrev_b32_e32 v31, 16, v12
	v_lshrrev_b32_e32 v30, 16, v13
	s_waitcnt lgkmcnt(1)
	v_lshrrev_b32_e32 v29, 16, v6
	v_lshrrev_b32_e32 v28, 16, v7
	;; [unrolled: 1-line block ×4, first 2 shown]
	s_waitcnt lgkmcnt(0)
	v_lshrrev_b32_e32 v25, 16, v2
	v_lshrrev_b32_e32 v24, 16, v3
	;; [unrolled: 1-line block ×4, first 2 shown]
	v_cmp_eq_u32_e32 vcc, 63, v0
	s_waitcnt lgkmcnt(0)
	; wave barrier
	s_cbranch_scc0 .LBB2848_75
; %bb.53:
	v_max_i16_sdwa v14, v10, v10 dst_sel:DWORD dst_unused:UNUSED_PAD src0_sel:DWORD src1_sel:WORD_1
	v_max3_i16 v14, v14, v11, v32
	v_max3_i16 v14, v14, v12, v31
	;; [unrolled: 1-line block ×11, first 2 shown]
	v_mbcnt_hi_u32_b32 v15, -1, v33
	v_and_b32_e32 v17, 0xffff, v14
	v_and_b32_e32 v16, 15, v15
	v_cmp_eq_u32_e64 s[0:1], 0, v16
	v_mov_b32_dpp v17, v17 row_shr:1 row_mask:0xf bank_mask:0xf
	v_max_i16_e32 v17, v17, v14
	v_cndmask_b32_e64 v14, v17, v14, s[0:1]
	v_and_b32_e32 v17, 0xffff, v14
	v_cmp_lt_u32_e64 s[0:1], 1, v16
	s_nop 0
	v_mov_b32_dpp v17, v17 row_shr:2 row_mask:0xf bank_mask:0xf
	v_max_i16_e32 v17, v17, v14
	v_cndmask_b32_e64 v14, v14, v17, s[0:1]
	v_and_b32_e32 v17, 0xffff, v14
	v_cmp_lt_u32_e64 s[0:1], 3, v16
	s_nop 0
	;; [unrolled: 6-line block ×3, first 2 shown]
	v_mov_b32_dpp v17, v17 row_shr:8 row_mask:0xf bank_mask:0xf
	v_max_i16_e32 v17, v17, v14
	v_cndmask_b32_e64 v14, v14, v17, s[0:1]
	v_and_b32_e32 v16, 0xffff, v14
	v_and_b32_e32 v17, 16, v15
	v_cmp_eq_u32_e64 s[0:1], 0, v17
	v_mov_b32_dpp v16, v16 row_bcast:15 row_mask:0xf bank_mask:0xf
	v_max_i16_e32 v16, v16, v14
	v_cndmask_b32_e64 v14, v16, v14, s[0:1]
	v_and_b32_e32 v16, 0xffff, v14
	v_cmp_lt_u32_e64 s[0:1], 31, v15
	s_nop 0
	v_mov_b32_dpp v16, v16 row_bcast:31 row_mask:0xf bank_mask:0xf
	v_max_i16_e32 v16, v16, v14
	v_cndmask_b32_e64 v14, v14, v16, s[0:1]
	s_and_saveexec_b64 s[0:1], vcc
	s_cbranch_execz .LBB2848_55
; %bb.54:
	v_mov_b32_e32 v16, 0
	ds_write_b16 v16, v14
.LBB2848_55:
	s_or_b64 exec, exec, s[0:1]
	v_add_u32_e32 v16, -1, v15
	v_and_b32_e32 v17, 64, v15
	v_cmp_lt_i32_e32 vcc, v16, v17
	v_cndmask_b32_e32 v16, v16, v15, vcc
	v_and_b32_e32 v14, 0xffff, v14
	v_lshlrev_b32_e32 v16, 2, v16
	ds_bpermute_b32 v34, v16, v14
	v_cmp_gt_u32_e32 vcc, 64, v0
	s_waitcnt lgkmcnt(0)
	; wave barrier
	s_waitcnt lgkmcnt(0)
	s_and_saveexec_b64 s[24:25], vcc
	s_cbranch_execz .LBB2848_74
; %bb.56:
	v_mov_b32_e32 v17, 0
	ds_read_u16 v35, v17
	s_mov_b32 s9, 0
	v_cmp_eq_u32_e64 s[0:1], 0, v15
	s_and_saveexec_b64 s[2:3], s[0:1]
	s_cbranch_execz .LBB2848_58
; %bb.57:
	s_add_i32 s8, s6, 64
	s_lshl_b64 s[8:9], s[8:9], 2
	s_add_u32 s8, s22, s8
	s_waitcnt lgkmcnt(0)
	v_or_b32_e32 v14, 0x10000, v35
	s_addc_u32 s9, s23, s9
	global_store_dword v17, v14, s[8:9]
.LBB2848_58:
	s_or_b64 exec, exec, s[2:3]
	v_xad_u32 v14, v15, -1, s6
	v_add_u32_e32 v16, 64, v14
	v_lshlrev_b64 v[18:19], 2, v[16:17]
	v_mov_b32_e32 v16, s23
	v_add_co_u32_e32 v18, vcc, s22, v18
	v_addc_co_u32_e32 v19, vcc, v16, v19, vcc
	global_load_dword v48, v[18:19], off glc
	s_waitcnt vmcnt(0)
	v_lshrrev_b32_e32 v37, 16, v48
	v_cmp_eq_u16_sdwa s[8:9], v37, v17 src0_sel:BYTE_0 src1_sel:DWORD
	s_and_saveexec_b64 s[2:3], s[8:9]
	s_cbranch_execz .LBB2848_62
; %bb.59:
	s_mov_b64 s[8:9], 0
	v_mov_b32_e32 v16, 0
.LBB2848_60:                            ; =>This Inner Loop Header: Depth=1
	global_load_dword v48, v[18:19], off glc
	s_waitcnt vmcnt(0)
	v_lshrrev_b32_e32 v37, 16, v48
	v_cmp_ne_u16_sdwa s[10:11], v37, v16 src0_sel:BYTE_0 src1_sel:DWORD
	s_or_b64 s[8:9], s[10:11], s[8:9]
	s_andn2_b64 exec, exec, s[8:9]
	s_cbranch_execnz .LBB2848_60
; %bb.61:
	s_or_b64 exec, exec, s[8:9]
.LBB2848_62:
	s_or_b64 exec, exec, s[2:3]
	v_and_b32_e32 v38, 63, v15
	v_cmp_ne_u32_e32 vcc, 63, v38
	v_mov_b32_e32 v36, 2
	v_addc_co_u32_e32 v39, vcc, 0, v15, vcc
	v_cmp_eq_u16_sdwa s[2:3], v37, v36 src0_sel:BYTE_0 src1_sel:DWORD
	v_lshlrev_b64 v[16:17], v15, -1
	v_and_b32_e32 v40, 0xffff, v48
	v_lshlrev_b32_e32 v39, 2, v39
	v_and_b32_e32 v18, s3, v17
	ds_bpermute_b32 v41, v39, v40
	v_or_b32_e32 v18, 0x80000000, v18
	v_and_b32_e32 v19, s2, v16
	v_ffbl_b32_e32 v18, v18
	v_add_u32_e32 v18, 32, v18
	v_ffbl_b32_e32 v19, v19
	v_min_u32_e32 v18, v19, v18
	s_waitcnt lgkmcnt(0)
	v_max_i16_e32 v19, v41, v48
	v_cmp_lt_u32_e32 vcc, v38, v18
	v_cmp_gt_u32_e64 s[2:3], 62, v38
	v_cndmask_b32_e32 v42, v40, v19, vcc
	v_cndmask_b32_e64 v40, 0, 1, s[2:3]
	v_lshlrev_b32_e32 v40, 1, v40
	v_add_lshl_u32 v40, v40, v15, 2
	ds_bpermute_b32 v43, v40, v42
	v_cndmask_b32_e32 v19, v48, v19, vcc
	v_add_u32_e32 v41, 2, v38
	v_cmp_gt_u32_e64 s[2:3], v41, v18
	v_cmp_gt_u32_e64 s[8:9], 60, v38
	s_waitcnt lgkmcnt(0)
	v_max_i16_e32 v43, v43, v19
	v_cndmask_b32_e64 v44, v43, v42, s[2:3]
	v_cndmask_b32_e64 v42, 0, 1, s[8:9]
	v_lshlrev_b32_e32 v42, 2, v42
	v_add_lshl_u32 v42, v42, v15, 2
	ds_bpermute_b32 v45, v42, v44
	v_cndmask_b32_e64 v19, v43, v19, s[2:3]
	v_add_u32_e32 v43, 4, v38
	v_cmp_gt_u32_e64 s[2:3], v43, v18
	v_cmp_gt_u32_e64 s[8:9], 56, v38
	s_waitcnt lgkmcnt(0)
	v_max_i16_e32 v51, v45, v19
	v_cndmask_b32_e64 v46, v51, v44, s[2:3]
	v_cndmask_b32_e64 v44, 0, 1, s[8:9]
	v_lshlrev_b32_e32 v44, 3, v44
	v_add_lshl_u32 v44, v44, v15, 2
	ds_bpermute_b32 v47, v44, v46
	v_cndmask_b32_e64 v49, v51, v19, s[2:3]
	v_add_u32_e32 v45, 8, v38
	v_cmp_gt_u32_e64 s[8:9], v45, v18
	v_cmp_gt_u32_e64 s[10:11], 48, v38
	s_waitcnt lgkmcnt(0)
	v_max_i16_e32 v52, v47, v49
	v_cndmask_b32_e64 v50, v52, v46, s[8:9]
	v_cndmask_b32_e64 v46, 0, 1, s[10:11]
	v_lshlrev_b32_e32 v46, 4, v46
	v_add_lshl_u32 v46, v46, v15, 2
	ds_bpermute_b32 v53, v46, v50
	v_cmp_gt_u32_e64 s[12:13], 32, v38
	v_cndmask_b32_e64 v54, v52, v49, s[8:9]
	v_add_u32_e32 v47, 16, v38
	v_cndmask_b32_e64 v49, 0, 1, s[12:13]
	s_waitcnt lgkmcnt(0)
	v_max_i16_e32 v53, v53, v54
	v_cmp_gt_u32_e64 s[10:11], v47, v18
	v_lshlrev_b32_e32 v49, 5, v49
	v_cndmask_b32_e64 v50, v53, v50, s[10:11]
	v_add_lshl_u32 v49, v49, v15, 2
	ds_bpermute_b32 v15, v49, v50
	v_cndmask_b32_e32 v19, v48, v19, vcc
	v_cndmask_b32_e64 v19, v51, v19, s[2:3]
	v_add_u32_e32 v50, 32, v38
	v_cndmask_b32_e64 v54, v53, v54, s[10:11]
	v_cndmask_b32_e64 v19, v52, v19, s[8:9]
	s_waitcnt lgkmcnt(0)
	v_max_i16_e32 v15, v15, v54
	v_cndmask_b32_e64 v19, v53, v19, s[10:11]
	v_cmp_gt_u32_e32 vcc, v50, v18
	v_cndmask_b32_e32 v18, v15, v19, vcc
	v_mov_b32_e32 v15, 0
	s_branch .LBB2848_64
.LBB2848_63:                            ;   in Loop: Header=BB2848_64 Depth=1
	s_or_b64 exec, exec, s[2:3]
	v_cmp_eq_u16_sdwa s[2:3], v37, v36 src0_sel:BYTE_0 src1_sel:DWORD
	v_and_b32_e32 v52, 0xffff, v51
	v_and_b32_e32 v18, s3, v17
	ds_bpermute_b32 v53, v39, v52
	v_or_b32_e32 v18, 0x80000000, v18
	v_and_b32_e32 v19, s2, v16
	v_ffbl_b32_e32 v18, v18
	v_add_u32_e32 v18, 32, v18
	v_ffbl_b32_e32 v19, v19
	v_min_u32_e32 v18, v19, v18
	s_waitcnt lgkmcnt(0)
	v_max_i16_e32 v19, v53, v51
	v_cmp_lt_u32_e32 vcc, v38, v18
	v_cndmask_b32_e32 v52, v52, v19, vcc
	ds_bpermute_b32 v53, v40, v52
	v_cndmask_b32_e32 v19, v51, v19, vcc
	v_cmp_gt_u32_e64 s[2:3], v41, v18
	v_cmp_gt_u32_e64 s[8:9], v45, v18
	v_subrev_u32_e32 v14, 64, v14
	s_waitcnt lgkmcnt(0)
	v_max_i16_e32 v53, v53, v19
	v_cndmask_b32_e64 v52, v53, v52, s[2:3]
	ds_bpermute_b32 v54, v42, v52
	v_cndmask_b32_e64 v19, v53, v19, s[2:3]
	v_cmp_gt_u32_e64 s[2:3], v43, v18
	s_waitcnt lgkmcnt(0)
	v_max_i16_e32 v53, v54, v19
	v_cndmask_b32_e64 v52, v53, v52, s[2:3]
	ds_bpermute_b32 v54, v44, v52
	v_cndmask_b32_e64 v55, v53, v19, s[2:3]
	v_cndmask_b32_e32 v19, v51, v19, vcc
	v_cmp_gt_u32_e32 vcc, v47, v18
	v_cndmask_b32_e64 v19, v53, v19, s[2:3]
	s_waitcnt lgkmcnt(0)
	v_max_i16_e32 v54, v54, v55
	v_cndmask_b32_e64 v52, v54, v52, s[8:9]
	ds_bpermute_b32 v56, v46, v52
	v_cndmask_b32_e64 v51, v54, v55, s[8:9]
	v_cndmask_b32_e64 v19, v54, v19, s[8:9]
	s_waitcnt lgkmcnt(0)
	v_max_i16_e32 v55, v56, v51
	v_cndmask_b32_e32 v52, v55, v52, vcc
	ds_bpermute_b32 v52, v49, v52
	v_cndmask_b32_e32 v51, v55, v51, vcc
	v_cndmask_b32_e32 v19, v55, v19, vcc
	v_cmp_gt_u32_e32 vcc, v50, v18
	s_waitcnt lgkmcnt(0)
	v_max_i16_e32 v51, v52, v51
	v_cndmask_b32_e32 v18, v51, v19, vcc
	v_max_i16_e32 v18, v18, v48
.LBB2848_64:                            ; =>This Loop Header: Depth=1
                                        ;     Child Loop BB2848_67 Depth 2
	v_cmp_ne_u16_sdwa s[2:3], v37, v36 src0_sel:BYTE_0 src1_sel:DWORD
	v_cndmask_b32_e64 v19, 0, 1, s[2:3]
	;;#ASMSTART
	;;#ASMEND
	v_cmp_ne_u32_e32 vcc, 0, v19
	s_cmp_lg_u64 vcc, exec
	v_mov_b32_e32 v48, v18
	s_cbranch_scc1 .LBB2848_69
; %bb.65:                               ;   in Loop: Header=BB2848_64 Depth=1
	v_lshlrev_b64 v[18:19], 2, v[14:15]
	v_mov_b32_e32 v37, s23
	v_add_co_u32_e32 v18, vcc, s22, v18
	v_addc_co_u32_e32 v19, vcc, v37, v19, vcc
	global_load_dword v51, v[18:19], off glc
	s_waitcnt vmcnt(0)
	v_lshrrev_b32_e32 v37, 16, v51
	v_cmp_eq_u16_sdwa s[8:9], v37, v15 src0_sel:BYTE_0 src1_sel:DWORD
	s_and_saveexec_b64 s[2:3], s[8:9]
	s_cbranch_execz .LBB2848_63
; %bb.66:                               ;   in Loop: Header=BB2848_64 Depth=1
	s_mov_b64 s[8:9], 0
.LBB2848_67:                            ;   Parent Loop BB2848_64 Depth=1
                                        ; =>  This Inner Loop Header: Depth=2
	global_load_dword v51, v[18:19], off glc
	s_waitcnt vmcnt(0)
	v_lshrrev_b32_e32 v37, 16, v51
	v_cmp_ne_u16_sdwa s[10:11], v37, v15 src0_sel:BYTE_0 src1_sel:DWORD
	s_or_b64 s[8:9], s[10:11], s[8:9]
	s_andn2_b64 exec, exec, s[8:9]
	s_cbranch_execnz .LBB2848_67
; %bb.68:                               ;   in Loop: Header=BB2848_64 Depth=1
	s_or_b64 exec, exec, s[8:9]
	s_branch .LBB2848_63
.LBB2848_69:                            ;   in Loop: Header=BB2848_64 Depth=1
                                        ; implicit-def: $vgpr18
                                        ; implicit-def: $vgpr37
	s_cbranch_execz .LBB2848_64
; %bb.70:
	s_and_saveexec_b64 s[2:3], s[0:1]
	s_cbranch_execz .LBB2848_72
; %bb.71:
	s_add_i32 s0, s6, 64
	s_mov_b32 s1, 0
	s_lshl_b64 s[0:1], s[0:1], 2
	v_max_i16_e32 v14, v48, v35
	s_add_u32 s0, s22, s0
	v_or_b32_e32 v14, 0x20000, v14
	s_addc_u32 s1, s23, s1
	v_mov_b32_e32 v15, 0
	global_store_dword v15, v14, s[0:1]
.LBB2848_72:
	s_or_b64 exec, exec, s[2:3]
	v_cmp_eq_u32_e32 vcc, 0, v0
	s_and_b64 exec, exec, vcc
	s_cbranch_execz .LBB2848_74
; %bb.73:
	v_mov_b32_e32 v14, 0
	ds_write_b16 v14, v48
.LBB2848_74:
	s_or_b64 exec, exec, s[24:25]
	v_mov_b32_e32 v14, 0
	s_waitcnt lgkmcnt(0)
	; wave barrier
	s_waitcnt lgkmcnt(0)
	ds_read_u16 v14, v14
	v_max_i16_e32 v15, v34, v10
	v_cmp_eq_u32_e32 vcc, 0, v0
	v_cndmask_b32_e32 v15, v15, v10, vcc
	s_waitcnt lgkmcnt(0)
	v_max_i16_e32 v14, v14, v15
	v_max_i16_sdwa v15, v14, v10 dst_sel:DWORD dst_unused:UNUSED_PAD src0_sel:DWORD src1_sel:WORD_1
	v_max_i16_e32 v16, v15, v11
	v_max_i16_e32 v17, v16, v32
	;; [unrolled: 1-line block ×22, first 2 shown]
	s_load_dwordx8 s[4:11], s[4:5], 0x38
	s_branch .LBB2848_85
.LBB2848_75:
                                        ; implicit-def: $vgpr14
                                        ; implicit-def: $vgpr15
                                        ; implicit-def: $vgpr16
                                        ; implicit-def: $vgpr17
                                        ; implicit-def: $vgpr18
                                        ; implicit-def: $vgpr19
                                        ; implicit-def: $vgpr35
                                        ; implicit-def: $vgpr37
                                        ; implicit-def: $vgpr34
                                        ; implicit-def: $vgpr36
                                        ; implicit-def: $vgpr38
                                        ; implicit-def: $vgpr39
                                        ; implicit-def: $vgpr40
                                        ; implicit-def: $vgpr41
                                        ; implicit-def: $vgpr43
                                        ; implicit-def: $vgpr45
                                        ; implicit-def: $vgpr42
                                        ; implicit-def: $vgpr44
                                        ; implicit-def: $vgpr46
                                        ; implicit-def: $vgpr47
                                        ; implicit-def: $vgpr48
                                        ; implicit-def: $vgpr49
                                        ; implicit-def: $vgpr50
                                        ; implicit-def: $vgpr51
	s_load_dwordx8 s[4:11], s[4:5], 0x38
	s_cbranch_execz .LBB2848_85
; %bb.76:
	s_waitcnt lgkmcnt(0)
	s_cmp_lg_u64 s[8:9], 0
	s_cselect_b64 s[2:3], -1, 0
	v_cmp_eq_u32_e64 s[0:1], 0, v0
	v_cmp_ne_u32_e32 vcc, 0, v0
	s_and_b64 s[2:3], s[0:1], s[2:3]
	v_mov_b32_e32 v14, v10
	s_and_saveexec_b64 s[0:1], s[2:3]
	s_cbranch_execz .LBB2848_78
; %bb.77:
	v_mov_b32_e32 v14, 0
	global_load_ushort v14, v14, s[4:5]
	s_waitcnt vmcnt(0)
	v_max_i16_e32 v14, v14, v10
.LBB2848_78:
	s_or_b64 exec, exec, s[0:1]
	v_max_i16_sdwa v15, v14, v10 dst_sel:DWORD dst_unused:UNUSED_PAD src0_sel:DWORD src1_sel:WORD_1
	v_max_i16_e32 v16, v15, v11
	v_max_i16_e32 v17, v16, v32
	;; [unrolled: 1-line block ×22, first 2 shown]
	v_mbcnt_hi_u32_b32 v33, -1, v33
	v_and_b32_e32 v52, 15, v33
	v_mov_b32_dpp v53, v51 row_shr:1 row_mask:0xf bank_mask:0xf
	v_max_i16_e32 v53, v53, v51
	v_cmp_eq_u32_e64 s[0:1], 0, v52
	v_cndmask_b32_e64 v53, v53, v51, s[0:1]
	v_and_b32_e32 v54, 0xffff, v53
	v_cmp_lt_u32_e64 s[0:1], 1, v52
	s_nop 0
	v_mov_b32_dpp v54, v54 row_shr:2 row_mask:0xf bank_mask:0xf
	v_max_i16_e32 v54, v54, v53
	v_cndmask_b32_e64 v53, v53, v54, s[0:1]
	v_and_b32_e32 v54, 0xffff, v53
	v_cmp_lt_u32_e64 s[0:1], 3, v52
	s_nop 0
	v_mov_b32_dpp v54, v54 row_shr:4 row_mask:0xf bank_mask:0xf
	v_max_i16_e32 v54, v54, v53
	;; [unrolled: 6-line block ×3, first 2 shown]
	v_cndmask_b32_e64 v52, v53, v54, s[0:1]
	v_and_b32_e32 v53, 0xffff, v52
	v_and_b32_e32 v54, 16, v33
	v_cmp_eq_u32_e64 s[0:1], 0, v54
	v_mov_b32_dpp v53, v53 row_bcast:15 row_mask:0xf bank_mask:0xf
	v_max_i16_e32 v53, v53, v52
	v_cndmask_b32_e64 v52, v53, v52, s[0:1]
	v_and_b32_e32 v53, 0xffff, v52
	v_cmp_lt_u32_e64 s[0:1], 31, v33
	s_nop 0
	v_mov_b32_dpp v53, v53 row_bcast:31 row_mask:0xf bank_mask:0xf
	v_max_i16_e32 v53, v53, v52
	v_cndmask_b32_e64 v52, v52, v53, s[0:1]
	v_cmp_eq_u32_e64 s[0:1], 63, v0
	s_and_saveexec_b64 s[2:3], s[0:1]
	s_cbranch_execz .LBB2848_80
; %bb.79:
	v_mov_b32_e32 v53, 0
	ds_write_b16 v53, v52
.LBB2848_80:
	s_or_b64 exec, exec, s[2:3]
	v_add_u32_e32 v53, -1, v33
	v_and_b32_e32 v54, 64, v33
	v_cmp_lt_i32_e64 s[2:3], v53, v54
	v_cndmask_b32_e64 v33, v53, v33, s[2:3]
	v_and_b32_e32 v52, 0xffff, v52
	v_lshlrev_b32_e32 v33, 2, v33
	ds_bpermute_b32 v33, v33, v52
	s_waitcnt lgkmcnt(0)
	; wave barrier
	s_waitcnt lgkmcnt(0)
	s_and_saveexec_b64 s[2:3], vcc
	s_cbranch_execz .LBB2848_82
; %bb.81:
	v_max_i16_e32 v14, v33, v14
	v_max_i16_sdwa v15, v14, v10 dst_sel:DWORD dst_unused:UNUSED_PAD src0_sel:DWORD src1_sel:WORD_1
	v_max_i16_e32 v16, v15, v11
	v_max_i16_e32 v17, v16, v32
	;; [unrolled: 1-line block ×22, first 2 shown]
	;;#ASMSTART
	;;#ASMEND
.LBB2848_82:
	s_or_b64 exec, exec, s[2:3]
	s_and_saveexec_b64 s[2:3], s[0:1]
	s_cbranch_execz .LBB2848_84
; %bb.83:
	s_mov_b32 s0, 0x20000
	v_mov_b32_e32 v1, 0
	v_or_b32_sdwa v2, v51, s0 dst_sel:DWORD dst_unused:UNUSED_PAD src0_sel:WORD_0 src1_sel:DWORD
	global_store_dword v1, v2, s[22:23] offset:256
.LBB2848_84:
	s_or_b64 exec, exec, s[2:3]
.LBB2848_85:
	s_add_u32 s0, s16, s14
	s_addc_u32 s1, s17, s15
	s_add_u32 s2, s0, s20
	s_addc_u32 s3, s1, s21
	s_mov_b64 s[0:1], -1
	s_and_b64 vcc, exec, s[18:19]
	s_waitcnt lgkmcnt(0)
	; wave barrier
	s_waitcnt lgkmcnt(0)
	s_cbranch_vccz .LBB2848_87
; %bb.86:
	s_mov_b32 s0, 0x5040100
	v_perm_b32 v5, v37, v35, s0
	v_perm_b32 v4, v19, v18, s0
	v_perm_b32 v3, v17, v16, s0
	v_perm_b32 v2, v15, v14, s0
	ds_write_b128 v22, v[2:5]
	v_perm_b32 v5, v45, v43, s0
	v_perm_b32 v4, v41, v40, s0
	;; [unrolled: 1-line block ×4, first 2 shown]
	ds_write_b128 v22, v[2:5] offset:16
	v_perm_b32 v5, v51, v50, s0
	v_perm_b32 v4, v49, v48, s0
	;; [unrolled: 1-line block ×4, first 2 shown]
	ds_write_b128 v22, v[2:5] offset:32
	s_waitcnt lgkmcnt(0)
	; wave barrier
	s_waitcnt lgkmcnt(0)
	ds_read_u16 v1, v20
	ds_read_u16 v4, v20 offset:128
	ds_read_u16 v5, v20 offset:256
	;; [unrolled: 1-line block ×23, first 2 shown]
	v_mov_b32_e32 v3, s3
	v_add_co_u32_e32 v2, vcc, s2, v20
	v_addc_co_u32_e32 v3, vcc, 0, v3, vcc
	s_waitcnt lgkmcnt(14)
	flat_store_short v[2:3], v1
	flat_store_short v[2:3], v4 offset:128
	flat_store_short v[2:3], v5 offset:256
	flat_store_short v[2:3], v6 offset:384
	flat_store_short v[2:3], v7 offset:512
	flat_store_short v[2:3], v8 offset:640
	flat_store_short v[2:3], v9 offset:768
	flat_store_short v[2:3], v10 offset:896
	flat_store_short v[2:3], v11 offset:1024
	flat_store_short v[2:3], v12 offset:1152
	s_waitcnt lgkmcnt(0)
	flat_store_short v[2:3], v13 offset:1280
	flat_store_short v[2:3], v23 offset:1408
	;; [unrolled: 1-line block ×14, first 2 shown]
	s_mov_b64 s[0:1], 0
.LBB2848_87:
	s_andn2_b64 vcc, exec, s[0:1]
	s_cbranch_vccnz .LBB2848_144
; %bb.88:
	s_mov_b32 s0, 0x5040100
	v_perm_b32 v5, v37, v35, s0
	v_perm_b32 v4, v19, v18, s0
	;; [unrolled: 1-line block ×4, first 2 shown]
	ds_write_b128 v22, v[2:5]
	v_perm_b32 v5, v45, v43, s0
	v_perm_b32 v4, v41, v40, s0
	;; [unrolled: 1-line block ×4, first 2 shown]
	ds_write_b128 v22, v[2:5] offset:16
	v_perm_b32 v5, v51, v50, s0
	v_perm_b32 v4, v49, v48, s0
	;; [unrolled: 1-line block ×4, first 2 shown]
	s_movk_i32 s0, 0xffd2
	ds_write_b128 v22, v[2:5] offset:32
	v_mad_i32_i24 v2, v0, s0, v22
	s_waitcnt lgkmcnt(0)
	; wave barrier
	s_waitcnt lgkmcnt(0)
	ds_read_u16 v5, v2
	ds_read_u16 v4, v2 offset:128
	ds_read_u16 v7, v2 offset:256
	;; [unrolled: 1-line block ×23, first 2 shown]
	v_mov_b32_e32 v3, s3
	v_add_co_u32_e32 v2, vcc, s2, v20
	v_addc_co_u32_e32 v3, vcc, 0, v3, vcc
	v_mov_b32_e32 v1, 0
	v_cmp_gt_u32_e32 vcc, s26, v0
	s_and_saveexec_b64 s[0:1], vcc
	s_cbranch_execz .LBB2848_90
; %bb.89:
	s_waitcnt lgkmcnt(0)
	flat_store_short v[2:3], v5
.LBB2848_90:
	s_or_b64 exec, exec, s[0:1]
	v_or_b32_e32 v20, 64, v0
	v_cmp_gt_u32_e32 vcc, s26, v20
	s_and_saveexec_b64 s[0:1], vcc
	s_cbranch_execz .LBB2848_92
; %bb.91:
	s_waitcnt lgkmcnt(0)
	flat_store_short v[2:3], v4 offset:128
.LBB2848_92:
	s_or_b64 exec, exec, s[0:1]
	v_or_b32_e32 v20, 0x80, v0
	v_cmp_gt_u32_e32 vcc, s26, v20
	s_and_saveexec_b64 s[0:1], vcc
	s_cbranch_execz .LBB2848_94
; %bb.93:
	s_waitcnt lgkmcnt(0)
	flat_store_short v[2:3], v7 offset:256
.LBB2848_94:
	;; [unrolled: 9-line block ×23, first 2 shown]
	s_or_b64 exec, exec, s[0:1]
	v_cmp_lt_u64_e64 s[0:1], s[10:11], 2
	s_and_b64 vcc, exec, s[0:1]
	s_cbranch_vccnz .LBB2848_144
; %bb.137:
	s_add_u32 s0, s26, -1
	s_addc_u32 s1, s27, -1
	s_add_u32 s2, 0, 0xaaaa0000
	s_addc_u32 s3, 0, 42
	s_add_i32 s3, s3, 0xaaaaa80
	s_mul_hi_u32 s9, s2, 0xffffffe8
	s_sub_i32 s9, s9, s2
	s_mul_i32 s10, s3, 0xffffffe8
	s_mul_i32 s4, s2, 0xffffffe8
	s_add_i32 s9, s9, s10
	s_mul_hi_u32 s5, s3, s4
	s_mul_i32 s8, s3, s4
	s_mul_i32 s11, s2, s9
	s_mul_hi_u32 s4, s2, s4
	s_mul_hi_u32 s10, s2, s9
	s_add_u32 s4, s4, s11
	s_addc_u32 s10, 0, s10
	s_add_u32 s4, s4, s8
	s_mul_hi_u32 s11, s3, s9
	s_addc_u32 s4, s10, s5
	s_addc_u32 s5, s11, 0
	s_mul_i32 s8, s3, s9
	s_add_u32 s4, s4, s8
	v_mov_b32_e32 v2, s4
	s_addc_u32 s5, 0, s5
	v_add_co_u32_e32 v2, vcc, s2, v2
	s_cmp_lg_u64 vcc, 0
	s_addc_u32 s2, s3, s5
	v_readfirstlane_b32 s5, v2
	s_mul_i32 s4, s0, s2
	s_mul_hi_u32 s8, s0, s5
	s_mul_hi_u32 s3, s0, s2
	s_add_u32 s4, s8, s4
	s_addc_u32 s3, 0, s3
	s_mul_hi_u32 s9, s1, s5
	s_mul_i32 s5, s1, s5
	s_add_u32 s4, s4, s5
	s_mul_hi_u32 s8, s1, s2
	s_addc_u32 s3, s3, s9
	s_addc_u32 s4, s8, 0
	s_mul_i32 s2, s1, s2
	s_add_u32 s2, s3, s2
	s_addc_u32 s3, 0, s4
	s_add_u32 s4, s2, 1
	s_addc_u32 s5, s3, 0
	s_add_u32 s8, s2, 2
	s_mul_i32 s10, s3, 24
	s_mul_hi_u32 s11, s2, 24
	s_addc_u32 s9, s3, 0
	s_add_i32 s11, s11, s10
	s_mul_i32 s10, s2, 24
	v_mov_b32_e32 v2, s10
	v_sub_co_u32_e32 v2, vcc, s0, v2
	s_cmp_lg_u64 vcc, 0
	s_subb_u32 s10, s1, s11
	v_subrev_co_u32_e32 v3, vcc, 24, v2
	s_cmp_lg_u64 vcc, 0
	s_subb_u32 s11, s10, 0
	v_readfirstlane_b32 s12, v3
	s_cmp_gt_u32 s12, 23
	s_cselect_b32 s12, -1, 0
	s_cmp_eq_u32 s11, 0
	s_cselect_b32 s11, s12, -1
	s_cmp_lg_u32 s11, 0
	s_cselect_b32 s4, s8, s4
	v_readfirstlane_b32 s8, v2
	s_cselect_b32 s5, s9, s5
	s_cmp_gt_u32 s8, 23
	s_cselect_b32 s8, -1, 0
	s_cmp_eq_u32 s10, 0
	s_cselect_b32 s8, s8, -1
	s_cmp_lg_u32 s8, 0
	s_cselect_b32 s3, s5, s3
	s_cselect_b32 s2, s4, s2
	v_cmp_eq_u64_e32 vcc, s[2:3], v[0:1]
	s_and_saveexec_b64 s[2:3], vcc
	s_cbranch_execz .LBB2848_144
; %bb.138:
	v_mul_hi_u32_u24_e32 v1, 24, v0
	v_mov_b32_e32 v2, s1
	v_sub_co_u32_e32 v0, vcc, s0, v21
	v_subb_co_u32_e32 v1, vcc, v2, v1, vcc
	v_cmp_lt_i64_e32 vcc, 11, v[0:1]
	s_mov_b64 s[0:1], 0
	s_mov_b64 s[10:11], 0
	;; [unrolled: 1-line block ×4, first 2 shown]
	s_and_saveexec_b64 s[2:3], vcc
	s_xor_b64 s[2:3], exec, s[2:3]
	s_cbranch_execnz .LBB2848_145
; %bb.139:
	s_andn2_saveexec_b64 s[2:3], s[2:3]
	s_cbranch_execnz .LBB2848_190
.LBB2848_140:
	s_or_b64 exec, exec, s[2:3]
	s_and_saveexec_b64 s[2:3], s[10:11]
	s_cbranch_execnz .LBB2848_207
.LBB2848_141:
	s_or_b64 exec, exec, s[2:3]
	s_and_saveexec_b64 s[2:3], s[8:9]
	s_cbranch_execnz .LBB2848_208
.LBB2848_142:
	s_or_b64 exec, exec, s[2:3]
	s_and_saveexec_b64 s[2:3], s[4:5]
	s_xor_b64 s[2:3], exec, s[2:3]
	s_cbranch_execnz .LBB2848_209
.LBB2848_143:
	s_or_b64 exec, exec, s[2:3]
	s_and_b64 exec, exec, s[0:1]
	s_cbranch_execnz .LBB2848_210
.LBB2848_144:
	s_endpgm
.LBB2848_145:
	v_cmp_lt_i64_e32 vcc, 17, v[0:1]
	s_and_saveexec_b64 s[12:13], vcc
	s_xor_b64 s[12:13], exec, s[12:13]
	s_cbranch_execz .LBB2848_167
; %bb.146:
	v_cmp_lt_i64_e32 vcc, 20, v[0:1]
                                        ; implicit-def: $vgpr10
	s_and_saveexec_b64 s[14:15], vcc
	s_xor_b64 s[14:15], exec, s[14:15]
	s_cbranch_execz .LBB2848_156
; %bb.147:
	v_cmp_lt_i64_e32 vcc, 21, v[0:1]
	s_mov_b64 s[16:17], 0
                                        ; implicit-def: $vgpr10
	s_and_saveexec_b64 s[4:5], vcc
	s_xor_b64 s[4:5], exec, s[4:5]
	s_cbranch_execz .LBB2848_153
; %bb.148:
	v_cmp_lt_i64_e32 vcc, 22, v[0:1]
	s_and_saveexec_b64 s[16:17], vcc
	s_xor_b64 s[16:17], exec, s[16:17]
	s_cbranch_execz .LBB2848_150
; %bb.149:
	v_mov_b32_e32 v2, 0
	s_waitcnt lgkmcnt(0)
	global_store_short v2, v29, s[6:7]
                                        ; implicit-def: $vgpr28
.LBB2848_150:
	s_or_saveexec_b64 s[16:17], s[16:17]
	s_mov_b64 s[18:19], 0
	s_xor_b64 exec, exec, s[16:17]
; %bb.151:
	s_mov_b64 s[18:19], exec
; %bb.152:
	s_or_b64 exec, exec, s[16:17]
	s_and_b64 s[16:17], s[18:19], exec
	s_waitcnt lgkmcnt(0)
	v_mov_b32_e32 v10, v28
                                        ; implicit-def: $vgpr11
.LBB2848_153:
	s_andn2_saveexec_b64 s[4:5], s[4:5]
; %bb.154:
	s_mov_b64 s[8:9], exec
                                        ; implicit-def: $vgpr10
; %bb.155:
	s_or_b64 exec, exec, s[4:5]
	s_and_b64 s[4:5], s[16:17], exec
	s_and_b64 s[8:9], s[8:9], exec
                                        ; implicit-def: $vgpr26
                                        ; implicit-def: $vgpr12
                                        ; implicit-def: $vgpr23
.LBB2848_156:
	s_andn2_saveexec_b64 s[14:15], s[14:15]
	s_cbranch_execz .LBB2848_166
; %bb.157:
	v_cmp_lt_i64_e32 vcc, 18, v[0:1]
	s_mov_b64 s[16:17], 0
	s_and_saveexec_b64 s[10:11], vcc
	s_xor_b64 s[10:11], exec, s[10:11]
	s_cbranch_execz .LBB2848_163
; %bb.158:
	v_cmp_lt_i64_e32 vcc, 19, v[0:1]
	s_and_saveexec_b64 s[18:19], vcc
	s_xor_b64 s[18:19], exec, s[18:19]
; %bb.159:
	s_mov_b64 s[16:17], exec
                                        ; implicit-def: $vgpr23
; %bb.160:
	s_andn2_saveexec_b64 s[18:19], s[18:19]
	s_cbranch_execz .LBB2848_162
; %bb.161:
	v_mov_b32_e32 v2, 0
	s_waitcnt lgkmcnt(0)
	global_store_short v2, v23, s[6:7]
                                        ; implicit-def: $vgpr12
.LBB2848_162:
	s_or_b64 exec, exec, s[18:19]
	s_and_b64 s[16:17], s[16:17], exec
                                        ; implicit-def: $vgpr26
.LBB2848_163:
	s_andn2_saveexec_b64 s[10:11], s[10:11]
	s_cbranch_execz .LBB2848_165
; %bb.164:
	v_mov_b32_e32 v2, 0
	s_waitcnt lgkmcnt(0)
	global_store_short v2, v26, s[6:7]
                                        ; implicit-def: $vgpr12
.LBB2848_165:
	s_or_b64 exec, exec, s[10:11]
	s_and_b64 s[10:11], s[16:17], exec
                                        ; implicit-def: $vgpr10
                                        ; implicit-def: $vgpr11
.LBB2848_166:
	s_or_b64 exec, exec, s[14:15]
	s_and_b64 s[4:5], s[4:5], exec
	s_and_b64 s[8:9], s[8:9], exec
	;; [unrolled: 1-line block ×3, first 2 shown]
                                        ; implicit-def: $vgpr18
                                        ; implicit-def: $vgpr13
                                        ; implicit-def: $vgpr14
                                        ; implicit-def: $vgpr24
                                        ; implicit-def: $vgpr27
.LBB2848_167:
	s_andn2_saveexec_b64 s[12:13], s[12:13]
	s_cbranch_execz .LBB2848_189
; %bb.168:
	v_cmp_lt_i64_e32 vcc, 14, v[0:1]
	s_mov_b64 s[14:15], s[4:5]
	s_and_saveexec_b64 s[16:17], vcc
	s_xor_b64 s[16:17], exec, s[16:17]
	s_cbranch_execz .LBB2848_178
; %bb.169:
	v_cmp_lt_i64_e32 vcc, 15, v[0:1]
	s_and_saveexec_b64 s[14:15], vcc
	s_xor_b64 s[14:15], exec, s[14:15]
	s_cbranch_execz .LBB2848_175
; %bb.170:
	v_cmp_lt_i64_e32 vcc, 16, v[0:1]
	s_and_saveexec_b64 s[18:19], vcc
	s_xor_b64 s[18:19], exec, s[18:19]
	s_cbranch_execz .LBB2848_172
; %bb.171:
	v_mov_b32_e32 v2, 0
	s_waitcnt lgkmcnt(0)
	global_store_short v2, v27, s[6:7]
                                        ; implicit-def: $vgpr24
.LBB2848_172:
	s_andn2_saveexec_b64 s[18:19], s[18:19]
	s_cbranch_execz .LBB2848_174
; %bb.173:
	v_mov_b32_e32 v2, 0
	s_waitcnt lgkmcnt(0)
	global_store_short v2, v24, s[6:7]
.LBB2848_174:
	s_or_b64 exec, exec, s[18:19]
                                        ; implicit-def: $vgpr10
.LBB2848_175:
	s_or_saveexec_b64 s[14:15], s[14:15]
	s_mov_b64 s[18:19], s[4:5]
	s_xor_b64 exec, exec, s[14:15]
; %bb.176:
	s_or_b64 s[18:19], s[4:5], exec
; %bb.177:
	s_or_b64 exec, exec, s[14:15]
	s_andn2_b64 s[14:15], s[4:5], exec
	s_and_b64 s[18:19], s[18:19], exec
	s_or_b64 s[14:15], s[14:15], s[18:19]
                                        ; implicit-def: $vgpr18
                                        ; implicit-def: $vgpr13
                                        ; implicit-def: $vgpr14
.LBB2848_178:
	s_or_saveexec_b64 s[16:17], s[16:17]
	s_mov_b64 s[18:19], s[8:9]
                                        ; implicit-def: $vgpr11
	s_xor_b64 exec, exec, s[16:17]
	s_cbranch_execz .LBB2848_188
; %bb.179:
	v_cmp_lt_i64_e32 vcc, 12, v[0:1]
	s_mov_b64 s[20:21], s[8:9]
	s_mov_b64 s[22:23], s[14:15]
                                        ; implicit-def: $vgpr10
                                        ; implicit-def: $vgpr11
	s_and_saveexec_b64 s[18:19], vcc
	s_xor_b64 s[18:19], exec, s[18:19]
	s_cbranch_execz .LBB2848_185
; %bb.180:
	v_cmp_lt_i64_e32 vcc, 13, v[0:1]
	s_mov_b64 s[20:21], s[14:15]
	s_and_saveexec_b64 s[22:23], vcc
	s_xor_b64 s[22:23], exec, s[22:23]
; %bb.181:
	s_or_b64 s[20:21], s[14:15], exec
                                        ; implicit-def: $vgpr13
; %bb.182:
	s_or_saveexec_b64 s[22:23], s[22:23]
	s_mov_b64 s[24:25], s[8:9]
	s_xor_b64 exec, exec, s[22:23]
; %bb.183:
	s_or_b64 s[24:25], s[8:9], exec
                                        ; implicit-def: $vgpr14
; %bb.184:
	s_or_b64 exec, exec, s[22:23]
	s_andn2_b64 s[22:23], s[14:15], exec
	s_and_b64 s[20:21], s[20:21], exec
	s_or_b64 s[22:23], s[22:23], s[20:21]
	s_andn2_b64 s[20:21], s[8:9], exec
	s_and_b64 s[24:25], s[24:25], exec
	s_or_b64 s[20:21], s[20:21], s[24:25]
	s_waitcnt lgkmcnt(0)
	v_mov_b32_e32 v10, v14
	v_mov_b32_e32 v11, v13
                                        ; implicit-def: $vgpr18
.LBB2848_185:
	s_andn2_saveexec_b64 s[18:19], s[18:19]
	s_cbranch_execz .LBB2848_187
; %bb.186:
	s_or_b64 s[20:21], s[20:21], exec
                                        ; implicit-def: $vgpr10
	s_waitcnt lgkmcnt(0)
	v_mov_b32_e32 v11, v18
.LBB2848_187:
	s_or_b64 exec, exec, s[18:19]
	s_andn2_b64 s[14:15], s[14:15], exec
	s_and_b64 s[18:19], s[22:23], exec
	s_or_b64 s[14:15], s[14:15], s[18:19]
	s_andn2_b64 s[18:19], s[8:9], exec
	s_and_b64 s[20:21], s[20:21], exec
	s_or_b64 s[18:19], s[18:19], s[20:21]
.LBB2848_188:
	s_or_b64 exec, exec, s[16:17]
	s_andn2_b64 s[4:5], s[4:5], exec
	s_and_b64 s[14:15], s[14:15], exec
	s_or_b64 s[4:5], s[4:5], s[14:15]
	s_andn2_b64 s[8:9], s[8:9], exec
	s_and_b64 s[14:15], s[18:19], exec
	s_or_b64 s[8:9], s[8:9], s[14:15]
                                        ; implicit-def: $vgpr12
.LBB2848_189:
	s_or_b64 exec, exec, s[12:13]
	s_and_b64 s[4:5], s[4:5], exec
	s_and_b64 s[8:9], s[8:9], exec
	;; [unrolled: 1-line block ×3, first 2 shown]
                                        ; implicit-def: $vgpr17
                                        ; implicit-def: $vgpr15
                                        ; implicit-def: $vgpr16
                                        ; implicit-def: $vgpr25
                                        ; implicit-def: $vgpr22
                                        ; implicit-def: $vgpr19
	s_andn2_saveexec_b64 s[2:3], s[2:3]
	s_cbranch_execz .LBB2848_140
.LBB2848_190:
	v_cmp_lt_i64_e32 vcc, 5, v[0:1]
	s_mov_b64 s[14:15], -1
	s_mov_b64 s[12:13], s[10:11]
	s_mov_b64 s[16:17], s[8:9]
	;; [unrolled: 1-line block ×3, first 2 shown]
                                        ; implicit-def: $vgpr10
                                        ; implicit-def: $vgpr11
                                        ; implicit-def: $vgpr12
	s_and_saveexec_b64 s[0:1], vcc
	s_cbranch_execz .LBB2848_206
; %bb.191:
	v_cmp_lt_i64_e32 vcc, 8, v[0:1]
	s_mov_b64 s[12:13], s[10:11]
                                        ; implicit-def: $vgpr12
	s_and_saveexec_b64 s[14:15], vcc
	s_xor_b64 s[14:15], exec, s[14:15]
	s_cbranch_execz .LBB2848_201
; %bb.192:
	v_cmp_lt_i64_e32 vcc, 9, v[0:1]
	s_and_saveexec_b64 s[12:13], vcc
	s_xor_b64 s[12:13], exec, s[12:13]
	s_cbranch_execz .LBB2848_198
; %bb.193:
	v_cmp_lt_i64_e32 vcc, 10, v[0:1]
	s_and_saveexec_b64 s[16:17], vcc
	s_xor_b64 s[16:17], exec, s[16:17]
; %bb.194:
                                        ; implicit-def: $vgpr22
; %bb.195:
	s_andn2_saveexec_b64 s[16:17], s[16:17]
	s_cbranch_execz .LBB2848_197
; %bb.196:
	s_waitcnt lgkmcnt(0)
	v_mov_b32_e32 v19, v22
.LBB2848_197:
	s_or_b64 exec, exec, s[16:17]
                                        ; implicit-def: $vgpr25
.LBB2848_198:
	s_andn2_saveexec_b64 s[12:13], s[12:13]
	s_cbranch_execz .LBB2848_200
; %bb.199:
	s_waitcnt lgkmcnt(0)
	v_mov_b32_e32 v19, v25
.LBB2848_200:
	s_or_b64 exec, exec, s[12:13]
	s_or_b64 s[12:13], s[10:11], exec
	s_waitcnt lgkmcnt(0)
	v_mov_b32_e32 v12, v19
                                        ; implicit-def: $vgpr17
                                        ; implicit-def: $vgpr15
                                        ; implicit-def: $vgpr16
.LBB2848_201:
	s_or_saveexec_b64 s[14:15], s[14:15]
	s_mov_b64 s[16:17], s[8:9]
	s_mov_b64 s[20:21], s[4:5]
                                        ; implicit-def: $vgpr10
                                        ; implicit-def: $vgpr11
	s_xor_b64 exec, exec, s[14:15]
	s_cbranch_execz .LBB2848_205
; %bb.202:
	v_cmp_lt_i64_e32 vcc, 6, v[0:1]
	s_mov_b64 s[20:21], -1
	s_mov_b64 s[18:19], s[12:13]
	s_mov_b64 s[16:17], s[8:9]
	s_and_saveexec_b64 s[22:23], vcc
; %bb.203:
	v_cmp_lt_i64_e32 vcc, 7, v[0:1]
	s_andn2_b64 s[18:19], s[12:13], exec
	s_and_b64 s[24:25], vcc, exec
	s_xor_b64 s[20:21], exec, -1
	s_or_b64 s[16:17], s[8:9], exec
	s_or_b64 s[18:19], s[18:19], s[24:25]
                                        ; implicit-def: $vgpr17
; %bb.204:
	s_or_b64 exec, exec, s[22:23]
	s_andn2_b64 s[22:23], s[4:5], exec
	s_and_b64 s[20:21], s[20:21], exec
	s_or_b64 s[20:21], s[22:23], s[20:21]
	s_andn2_b64 s[22:23], s[8:9], exec
	s_and_b64 s[16:17], s[16:17], exec
	s_andn2_b64 s[12:13], s[12:13], exec
	s_and_b64 s[18:19], s[18:19], exec
	s_or_b64 s[16:17], s[22:23], s[16:17]
	s_or_b64 s[12:13], s[12:13], s[18:19]
	s_waitcnt lgkmcnt(0)
	v_mov_b32_e32 v10, v17
	v_mov_b32_e32 v11, v15
	;; [unrolled: 1-line block ×3, first 2 shown]
.LBB2848_205:
	s_or_b64 exec, exec, s[14:15]
	s_andn2_b64 s[18:19], s[4:5], exec
	s_and_b64 s[20:21], s[20:21], exec
	s_or_b64 s[18:19], s[18:19], s[20:21]
	s_andn2_b64 s[20:21], s[8:9], exec
	s_and_b64 s[16:17], s[16:17], exec
	s_or_b64 s[16:17], s[20:21], s[16:17]
	s_andn2_b64 s[20:21], s[10:11], exec
	s_and_b64 s[12:13], s[12:13], exec
	s_xor_b64 s[14:15], exec, -1
	s_or_b64 s[12:13], s[20:21], s[12:13]
.LBB2848_206:
	s_or_b64 exec, exec, s[0:1]
	s_and_b64 s[0:1], s[14:15], exec
	s_andn2_b64 s[4:5], s[4:5], exec
	s_and_b64 s[14:15], s[18:19], exec
	s_or_b64 s[4:5], s[4:5], s[14:15]
	s_andn2_b64 s[8:9], s[8:9], exec
	s_and_b64 s[14:15], s[16:17], exec
	s_andn2_b64 s[10:11], s[10:11], exec
	s_and_b64 s[12:13], s[12:13], exec
	s_or_b64 s[8:9], s[8:9], s[14:15]
	s_or_b64 s[10:11], s[10:11], s[12:13]
	s_or_b64 exec, exec, s[2:3]
	s_and_saveexec_b64 s[2:3], s[10:11]
	s_cbranch_execz .LBB2848_141
.LBB2848_207:
	v_mov_b32_e32 v2, 0
	s_andn2_b64 s[8:9], s[8:9], exec
	s_waitcnt lgkmcnt(0)
	global_store_short v2, v12, s[6:7]
                                        ; implicit-def: $vgpr10
                                        ; implicit-def: $vgpr11
	s_or_b64 exec, exec, s[2:3]
	s_and_saveexec_b64 s[2:3], s[8:9]
	s_cbranch_execz .LBB2848_142
.LBB2848_208:
	v_mov_b32_e32 v2, 0
	s_waitcnt lgkmcnt(0)
	global_store_short v2, v11, s[6:7]
                                        ; implicit-def: $vgpr10
	s_or_b64 exec, exec, s[2:3]
	s_and_saveexec_b64 s[2:3], s[4:5]
	s_xor_b64 s[2:3], exec, s[2:3]
	s_cbranch_execz .LBB2848_143
.LBB2848_209:
	v_mov_b32_e32 v2, 0
	s_waitcnt lgkmcnt(0)
	global_store_short v2, v10, s[6:7]
	s_or_b64 exec, exec, s[2:3]
	s_and_b64 exec, exec, s[0:1]
	s_cbranch_execz .LBB2848_144
.LBB2848_210:
	v_cmp_lt_i64_e32 vcc, 2, v[0:1]
	s_and_saveexec_b64 s[0:1], vcc
	s_xor_b64 s[0:1], exec, s[0:1]
	s_cbranch_execz .LBB2848_220
; %bb.211:
	v_cmp_lt_i64_e32 vcc, 3, v[0:1]
	s_and_saveexec_b64 s[2:3], vcc
	s_xor_b64 s[2:3], exec, s[2:3]
	s_cbranch_execz .LBB2848_217
; %bb.212:
	;; [unrolled: 5-line block ×3, first 2 shown]
	v_mov_b32_e32 v0, 0
	s_waitcnt lgkmcnt(0)
	global_store_short v0, v9, s[6:7]
                                        ; implicit-def: $vgpr6
.LBB2848_214:
	s_andn2_saveexec_b64 s[4:5], s[4:5]
	s_cbranch_execz .LBB2848_216
; %bb.215:
	v_mov_b32_e32 v0, 0
	s_waitcnt lgkmcnt(0)
	global_store_short v0, v6, s[6:7]
.LBB2848_216:
	s_or_b64 exec, exec, s[4:5]
                                        ; implicit-def: $vgpr8
.LBB2848_217:
	s_andn2_saveexec_b64 s[2:3], s[2:3]
	s_cbranch_execz .LBB2848_219
; %bb.218:
	v_mov_b32_e32 v0, 0
	s_waitcnt lgkmcnt(0)
	global_store_short v0, v8, s[6:7]
.LBB2848_219:
	s_or_b64 exec, exec, s[2:3]
                                        ; implicit-def: $vgpr0_vgpr1
                                        ; implicit-def: $vgpr7
                                        ; implicit-def: $vgpr4
                                        ; implicit-def: $vgpr5
.LBB2848_220:
	s_andn2_saveexec_b64 s[0:1], s[0:1]
	s_cbranch_execz .LBB2848_144
; %bb.221:
	v_cmp_lt_i64_e32 vcc, 1, v[0:1]
	s_and_saveexec_b64 s[0:1], vcc
	s_xor_b64 s[0:1], exec, s[0:1]
	s_cbranch_execz .LBB2848_223
; %bb.222:
	v_mov_b32_e32 v0, 0
	s_waitcnt lgkmcnt(0)
	global_store_short v0, v7, s[6:7]
                                        ; implicit-def: $vgpr4
                                        ; implicit-def: $vgpr0_vgpr1
                                        ; implicit-def: $vgpr5
.LBB2848_223:
	s_andn2_saveexec_b64 s[0:1], s[0:1]
	s_cbranch_execz .LBB2848_144
; %bb.224:
	v_cmp_ne_u64_e32 vcc, 1, v[0:1]
	s_and_saveexec_b64 s[0:1], vcc
	s_xor_b64 s[0:1], exec, s[0:1]
	s_cbranch_execz .LBB2848_226
; %bb.225:
	v_mov_b32_e32 v0, 0
	s_waitcnt lgkmcnt(0)
	global_store_short v0, v5, s[6:7]
                                        ; implicit-def: $vgpr4
.LBB2848_226:
	s_andn2_saveexec_b64 s[0:1], s[0:1]
	s_cbranch_execz .LBB2848_144
; %bb.227:
	v_mov_b32_e32 v0, 0
	s_waitcnt lgkmcnt(0)
	global_store_short v0, v4, s[6:7]
	s_endpgm
	.section	.rodata,"a",@progbits
	.p2align	6, 0x0
	.amdhsa_kernel _ZN7rocprim17ROCPRIM_400000_NS6detail17trampoline_kernelINS0_14default_configENS1_20scan_config_selectorIsEEZZNS1_9scan_implILNS1_25lookback_scan_determinismE0ELb0ELb0ES3_N6thrust23THRUST_200600_302600_NS6detail15normal_iteratorINS9_10device_ptrIsEEEESE_s11max_functorIsEsEEDaPvRmT3_T4_T5_mT6_P12ihipStream_tbENKUlT_T0_E_clISt17integral_constantIbLb0EESU_EEDaSP_SQ_EUlSP_E_NS1_11comp_targetILNS1_3genE4ELNS1_11target_archE910ELNS1_3gpuE8ELNS1_3repE0EEENS1_30default_config_static_selectorELNS0_4arch9wavefront6targetE1EEEvT1_
		.amdhsa_group_segment_fixed_size 3072
		.amdhsa_private_segment_fixed_size 0
		.amdhsa_kernarg_size 96
		.amdhsa_user_sgpr_count 6
		.amdhsa_user_sgpr_private_segment_buffer 1
		.amdhsa_user_sgpr_dispatch_ptr 0
		.amdhsa_user_sgpr_queue_ptr 0
		.amdhsa_user_sgpr_kernarg_segment_ptr 1
		.amdhsa_user_sgpr_dispatch_id 0
		.amdhsa_user_sgpr_flat_scratch_init 0
		.amdhsa_user_sgpr_kernarg_preload_length 0
		.amdhsa_user_sgpr_kernarg_preload_offset 0
		.amdhsa_user_sgpr_private_segment_size 0
		.amdhsa_uses_dynamic_stack 0
		.amdhsa_system_sgpr_private_segment_wavefront_offset 0
		.amdhsa_system_sgpr_workgroup_id_x 1
		.amdhsa_system_sgpr_workgroup_id_y 0
		.amdhsa_system_sgpr_workgroup_id_z 0
		.amdhsa_system_sgpr_workgroup_info 0
		.amdhsa_system_vgpr_workitem_id 0
		.amdhsa_next_free_vgpr 57
		.amdhsa_next_free_sgpr 28
		.amdhsa_accum_offset 60
		.amdhsa_reserve_vcc 1
		.amdhsa_reserve_flat_scratch 0
		.amdhsa_float_round_mode_32 0
		.amdhsa_float_round_mode_16_64 0
		.amdhsa_float_denorm_mode_32 3
		.amdhsa_float_denorm_mode_16_64 3
		.amdhsa_dx10_clamp 1
		.amdhsa_ieee_mode 1
		.amdhsa_fp16_overflow 0
		.amdhsa_tg_split 0
		.amdhsa_exception_fp_ieee_invalid_op 0
		.amdhsa_exception_fp_denorm_src 0
		.amdhsa_exception_fp_ieee_div_zero 0
		.amdhsa_exception_fp_ieee_overflow 0
		.amdhsa_exception_fp_ieee_underflow 0
		.amdhsa_exception_fp_ieee_inexact 0
		.amdhsa_exception_int_div_zero 0
	.end_amdhsa_kernel
	.section	.text._ZN7rocprim17ROCPRIM_400000_NS6detail17trampoline_kernelINS0_14default_configENS1_20scan_config_selectorIsEEZZNS1_9scan_implILNS1_25lookback_scan_determinismE0ELb0ELb0ES3_N6thrust23THRUST_200600_302600_NS6detail15normal_iteratorINS9_10device_ptrIsEEEESE_s11max_functorIsEsEEDaPvRmT3_T4_T5_mT6_P12ihipStream_tbENKUlT_T0_E_clISt17integral_constantIbLb0EESU_EEDaSP_SQ_EUlSP_E_NS1_11comp_targetILNS1_3genE4ELNS1_11target_archE910ELNS1_3gpuE8ELNS1_3repE0EEENS1_30default_config_static_selectorELNS0_4arch9wavefront6targetE1EEEvT1_,"axG",@progbits,_ZN7rocprim17ROCPRIM_400000_NS6detail17trampoline_kernelINS0_14default_configENS1_20scan_config_selectorIsEEZZNS1_9scan_implILNS1_25lookback_scan_determinismE0ELb0ELb0ES3_N6thrust23THRUST_200600_302600_NS6detail15normal_iteratorINS9_10device_ptrIsEEEESE_s11max_functorIsEsEEDaPvRmT3_T4_T5_mT6_P12ihipStream_tbENKUlT_T0_E_clISt17integral_constantIbLb0EESU_EEDaSP_SQ_EUlSP_E_NS1_11comp_targetILNS1_3genE4ELNS1_11target_archE910ELNS1_3gpuE8ELNS1_3repE0EEENS1_30default_config_static_selectorELNS0_4arch9wavefront6targetE1EEEvT1_,comdat
.Lfunc_end2848:
	.size	_ZN7rocprim17ROCPRIM_400000_NS6detail17trampoline_kernelINS0_14default_configENS1_20scan_config_selectorIsEEZZNS1_9scan_implILNS1_25lookback_scan_determinismE0ELb0ELb0ES3_N6thrust23THRUST_200600_302600_NS6detail15normal_iteratorINS9_10device_ptrIsEEEESE_s11max_functorIsEsEEDaPvRmT3_T4_T5_mT6_P12ihipStream_tbENKUlT_T0_E_clISt17integral_constantIbLb0EESU_EEDaSP_SQ_EUlSP_E_NS1_11comp_targetILNS1_3genE4ELNS1_11target_archE910ELNS1_3gpuE8ELNS1_3repE0EEENS1_30default_config_static_selectorELNS0_4arch9wavefront6targetE1EEEvT1_, .Lfunc_end2848-_ZN7rocprim17ROCPRIM_400000_NS6detail17trampoline_kernelINS0_14default_configENS1_20scan_config_selectorIsEEZZNS1_9scan_implILNS1_25lookback_scan_determinismE0ELb0ELb0ES3_N6thrust23THRUST_200600_302600_NS6detail15normal_iteratorINS9_10device_ptrIsEEEESE_s11max_functorIsEsEEDaPvRmT3_T4_T5_mT6_P12ihipStream_tbENKUlT_T0_E_clISt17integral_constantIbLb0EESU_EEDaSP_SQ_EUlSP_E_NS1_11comp_targetILNS1_3genE4ELNS1_11target_archE910ELNS1_3gpuE8ELNS1_3repE0EEENS1_30default_config_static_selectorELNS0_4arch9wavefront6targetE1EEEvT1_
                                        ; -- End function
	.section	.AMDGPU.csdata,"",@progbits
; Kernel info:
; codeLenInByte = 7928
; NumSgprs: 32
; NumVgprs: 57
; NumAgprs: 0
; TotalNumVgprs: 57
; ScratchSize: 0
; MemoryBound: 0
; FloatMode: 240
; IeeeMode: 1
; LDSByteSize: 3072 bytes/workgroup (compile time only)
; SGPRBlocks: 3
; VGPRBlocks: 7
; NumSGPRsForWavesPerEU: 32
; NumVGPRsForWavesPerEU: 57
; AccumOffset: 60
; Occupancy: 6
; WaveLimiterHint : 1
; COMPUTE_PGM_RSRC2:SCRATCH_EN: 0
; COMPUTE_PGM_RSRC2:USER_SGPR: 6
; COMPUTE_PGM_RSRC2:TRAP_HANDLER: 0
; COMPUTE_PGM_RSRC2:TGID_X_EN: 1
; COMPUTE_PGM_RSRC2:TGID_Y_EN: 0
; COMPUTE_PGM_RSRC2:TGID_Z_EN: 0
; COMPUTE_PGM_RSRC2:TIDIG_COMP_CNT: 0
; COMPUTE_PGM_RSRC3_GFX90A:ACCUM_OFFSET: 14
; COMPUTE_PGM_RSRC3_GFX90A:TG_SPLIT: 0
	.section	.text._ZN7rocprim17ROCPRIM_400000_NS6detail17trampoline_kernelINS0_14default_configENS1_20scan_config_selectorIsEEZZNS1_9scan_implILNS1_25lookback_scan_determinismE0ELb0ELb0ES3_N6thrust23THRUST_200600_302600_NS6detail15normal_iteratorINS9_10device_ptrIsEEEESE_s11max_functorIsEsEEDaPvRmT3_T4_T5_mT6_P12ihipStream_tbENKUlT_T0_E_clISt17integral_constantIbLb0EESU_EEDaSP_SQ_EUlSP_E_NS1_11comp_targetILNS1_3genE3ELNS1_11target_archE908ELNS1_3gpuE7ELNS1_3repE0EEENS1_30default_config_static_selectorELNS0_4arch9wavefront6targetE1EEEvT1_,"axG",@progbits,_ZN7rocprim17ROCPRIM_400000_NS6detail17trampoline_kernelINS0_14default_configENS1_20scan_config_selectorIsEEZZNS1_9scan_implILNS1_25lookback_scan_determinismE0ELb0ELb0ES3_N6thrust23THRUST_200600_302600_NS6detail15normal_iteratorINS9_10device_ptrIsEEEESE_s11max_functorIsEsEEDaPvRmT3_T4_T5_mT6_P12ihipStream_tbENKUlT_T0_E_clISt17integral_constantIbLb0EESU_EEDaSP_SQ_EUlSP_E_NS1_11comp_targetILNS1_3genE3ELNS1_11target_archE908ELNS1_3gpuE7ELNS1_3repE0EEENS1_30default_config_static_selectorELNS0_4arch9wavefront6targetE1EEEvT1_,comdat
	.protected	_ZN7rocprim17ROCPRIM_400000_NS6detail17trampoline_kernelINS0_14default_configENS1_20scan_config_selectorIsEEZZNS1_9scan_implILNS1_25lookback_scan_determinismE0ELb0ELb0ES3_N6thrust23THRUST_200600_302600_NS6detail15normal_iteratorINS9_10device_ptrIsEEEESE_s11max_functorIsEsEEDaPvRmT3_T4_T5_mT6_P12ihipStream_tbENKUlT_T0_E_clISt17integral_constantIbLb0EESU_EEDaSP_SQ_EUlSP_E_NS1_11comp_targetILNS1_3genE3ELNS1_11target_archE908ELNS1_3gpuE7ELNS1_3repE0EEENS1_30default_config_static_selectorELNS0_4arch9wavefront6targetE1EEEvT1_ ; -- Begin function _ZN7rocprim17ROCPRIM_400000_NS6detail17trampoline_kernelINS0_14default_configENS1_20scan_config_selectorIsEEZZNS1_9scan_implILNS1_25lookback_scan_determinismE0ELb0ELb0ES3_N6thrust23THRUST_200600_302600_NS6detail15normal_iteratorINS9_10device_ptrIsEEEESE_s11max_functorIsEsEEDaPvRmT3_T4_T5_mT6_P12ihipStream_tbENKUlT_T0_E_clISt17integral_constantIbLb0EESU_EEDaSP_SQ_EUlSP_E_NS1_11comp_targetILNS1_3genE3ELNS1_11target_archE908ELNS1_3gpuE7ELNS1_3repE0EEENS1_30default_config_static_selectorELNS0_4arch9wavefront6targetE1EEEvT1_
	.globl	_ZN7rocprim17ROCPRIM_400000_NS6detail17trampoline_kernelINS0_14default_configENS1_20scan_config_selectorIsEEZZNS1_9scan_implILNS1_25lookback_scan_determinismE0ELb0ELb0ES3_N6thrust23THRUST_200600_302600_NS6detail15normal_iteratorINS9_10device_ptrIsEEEESE_s11max_functorIsEsEEDaPvRmT3_T4_T5_mT6_P12ihipStream_tbENKUlT_T0_E_clISt17integral_constantIbLb0EESU_EEDaSP_SQ_EUlSP_E_NS1_11comp_targetILNS1_3genE3ELNS1_11target_archE908ELNS1_3gpuE7ELNS1_3repE0EEENS1_30default_config_static_selectorELNS0_4arch9wavefront6targetE1EEEvT1_
	.p2align	8
	.type	_ZN7rocprim17ROCPRIM_400000_NS6detail17trampoline_kernelINS0_14default_configENS1_20scan_config_selectorIsEEZZNS1_9scan_implILNS1_25lookback_scan_determinismE0ELb0ELb0ES3_N6thrust23THRUST_200600_302600_NS6detail15normal_iteratorINS9_10device_ptrIsEEEESE_s11max_functorIsEsEEDaPvRmT3_T4_T5_mT6_P12ihipStream_tbENKUlT_T0_E_clISt17integral_constantIbLb0EESU_EEDaSP_SQ_EUlSP_E_NS1_11comp_targetILNS1_3genE3ELNS1_11target_archE908ELNS1_3gpuE7ELNS1_3repE0EEENS1_30default_config_static_selectorELNS0_4arch9wavefront6targetE1EEEvT1_,@function
_ZN7rocprim17ROCPRIM_400000_NS6detail17trampoline_kernelINS0_14default_configENS1_20scan_config_selectorIsEEZZNS1_9scan_implILNS1_25lookback_scan_determinismE0ELb0ELb0ES3_N6thrust23THRUST_200600_302600_NS6detail15normal_iteratorINS9_10device_ptrIsEEEESE_s11max_functorIsEsEEDaPvRmT3_T4_T5_mT6_P12ihipStream_tbENKUlT_T0_E_clISt17integral_constantIbLb0EESU_EEDaSP_SQ_EUlSP_E_NS1_11comp_targetILNS1_3genE3ELNS1_11target_archE908ELNS1_3gpuE7ELNS1_3repE0EEENS1_30default_config_static_selectorELNS0_4arch9wavefront6targetE1EEEvT1_: ; @_ZN7rocprim17ROCPRIM_400000_NS6detail17trampoline_kernelINS0_14default_configENS1_20scan_config_selectorIsEEZZNS1_9scan_implILNS1_25lookback_scan_determinismE0ELb0ELb0ES3_N6thrust23THRUST_200600_302600_NS6detail15normal_iteratorINS9_10device_ptrIsEEEESE_s11max_functorIsEsEEDaPvRmT3_T4_T5_mT6_P12ihipStream_tbENKUlT_T0_E_clISt17integral_constantIbLb0EESU_EEDaSP_SQ_EUlSP_E_NS1_11comp_targetILNS1_3genE3ELNS1_11target_archE908ELNS1_3gpuE7ELNS1_3repE0EEENS1_30default_config_static_selectorELNS0_4arch9wavefront6targetE1EEEvT1_
; %bb.0:
	.section	.rodata,"a",@progbits
	.p2align	6, 0x0
	.amdhsa_kernel _ZN7rocprim17ROCPRIM_400000_NS6detail17trampoline_kernelINS0_14default_configENS1_20scan_config_selectorIsEEZZNS1_9scan_implILNS1_25lookback_scan_determinismE0ELb0ELb0ES3_N6thrust23THRUST_200600_302600_NS6detail15normal_iteratorINS9_10device_ptrIsEEEESE_s11max_functorIsEsEEDaPvRmT3_T4_T5_mT6_P12ihipStream_tbENKUlT_T0_E_clISt17integral_constantIbLb0EESU_EEDaSP_SQ_EUlSP_E_NS1_11comp_targetILNS1_3genE3ELNS1_11target_archE908ELNS1_3gpuE7ELNS1_3repE0EEENS1_30default_config_static_selectorELNS0_4arch9wavefront6targetE1EEEvT1_
		.amdhsa_group_segment_fixed_size 0
		.amdhsa_private_segment_fixed_size 0
		.amdhsa_kernarg_size 96
		.amdhsa_user_sgpr_count 6
		.amdhsa_user_sgpr_private_segment_buffer 1
		.amdhsa_user_sgpr_dispatch_ptr 0
		.amdhsa_user_sgpr_queue_ptr 0
		.amdhsa_user_sgpr_kernarg_segment_ptr 1
		.amdhsa_user_sgpr_dispatch_id 0
		.amdhsa_user_sgpr_flat_scratch_init 0
		.amdhsa_user_sgpr_kernarg_preload_length 0
		.amdhsa_user_sgpr_kernarg_preload_offset 0
		.amdhsa_user_sgpr_private_segment_size 0
		.amdhsa_uses_dynamic_stack 0
		.amdhsa_system_sgpr_private_segment_wavefront_offset 0
		.amdhsa_system_sgpr_workgroup_id_x 1
		.amdhsa_system_sgpr_workgroup_id_y 0
		.amdhsa_system_sgpr_workgroup_id_z 0
		.amdhsa_system_sgpr_workgroup_info 0
		.amdhsa_system_vgpr_workitem_id 0
		.amdhsa_next_free_vgpr 1
		.amdhsa_next_free_sgpr 0
		.amdhsa_accum_offset 4
		.amdhsa_reserve_vcc 0
		.amdhsa_reserve_flat_scratch 0
		.amdhsa_float_round_mode_32 0
		.amdhsa_float_round_mode_16_64 0
		.amdhsa_float_denorm_mode_32 3
		.amdhsa_float_denorm_mode_16_64 3
		.amdhsa_dx10_clamp 1
		.amdhsa_ieee_mode 1
		.amdhsa_fp16_overflow 0
		.amdhsa_tg_split 0
		.amdhsa_exception_fp_ieee_invalid_op 0
		.amdhsa_exception_fp_denorm_src 0
		.amdhsa_exception_fp_ieee_div_zero 0
		.amdhsa_exception_fp_ieee_overflow 0
		.amdhsa_exception_fp_ieee_underflow 0
		.amdhsa_exception_fp_ieee_inexact 0
		.amdhsa_exception_int_div_zero 0
	.end_amdhsa_kernel
	.section	.text._ZN7rocprim17ROCPRIM_400000_NS6detail17trampoline_kernelINS0_14default_configENS1_20scan_config_selectorIsEEZZNS1_9scan_implILNS1_25lookback_scan_determinismE0ELb0ELb0ES3_N6thrust23THRUST_200600_302600_NS6detail15normal_iteratorINS9_10device_ptrIsEEEESE_s11max_functorIsEsEEDaPvRmT3_T4_T5_mT6_P12ihipStream_tbENKUlT_T0_E_clISt17integral_constantIbLb0EESU_EEDaSP_SQ_EUlSP_E_NS1_11comp_targetILNS1_3genE3ELNS1_11target_archE908ELNS1_3gpuE7ELNS1_3repE0EEENS1_30default_config_static_selectorELNS0_4arch9wavefront6targetE1EEEvT1_,"axG",@progbits,_ZN7rocprim17ROCPRIM_400000_NS6detail17trampoline_kernelINS0_14default_configENS1_20scan_config_selectorIsEEZZNS1_9scan_implILNS1_25lookback_scan_determinismE0ELb0ELb0ES3_N6thrust23THRUST_200600_302600_NS6detail15normal_iteratorINS9_10device_ptrIsEEEESE_s11max_functorIsEsEEDaPvRmT3_T4_T5_mT6_P12ihipStream_tbENKUlT_T0_E_clISt17integral_constantIbLb0EESU_EEDaSP_SQ_EUlSP_E_NS1_11comp_targetILNS1_3genE3ELNS1_11target_archE908ELNS1_3gpuE7ELNS1_3repE0EEENS1_30default_config_static_selectorELNS0_4arch9wavefront6targetE1EEEvT1_,comdat
.Lfunc_end2849:
	.size	_ZN7rocprim17ROCPRIM_400000_NS6detail17trampoline_kernelINS0_14default_configENS1_20scan_config_selectorIsEEZZNS1_9scan_implILNS1_25lookback_scan_determinismE0ELb0ELb0ES3_N6thrust23THRUST_200600_302600_NS6detail15normal_iteratorINS9_10device_ptrIsEEEESE_s11max_functorIsEsEEDaPvRmT3_T4_T5_mT6_P12ihipStream_tbENKUlT_T0_E_clISt17integral_constantIbLb0EESU_EEDaSP_SQ_EUlSP_E_NS1_11comp_targetILNS1_3genE3ELNS1_11target_archE908ELNS1_3gpuE7ELNS1_3repE0EEENS1_30default_config_static_selectorELNS0_4arch9wavefront6targetE1EEEvT1_, .Lfunc_end2849-_ZN7rocprim17ROCPRIM_400000_NS6detail17trampoline_kernelINS0_14default_configENS1_20scan_config_selectorIsEEZZNS1_9scan_implILNS1_25lookback_scan_determinismE0ELb0ELb0ES3_N6thrust23THRUST_200600_302600_NS6detail15normal_iteratorINS9_10device_ptrIsEEEESE_s11max_functorIsEsEEDaPvRmT3_T4_T5_mT6_P12ihipStream_tbENKUlT_T0_E_clISt17integral_constantIbLb0EESU_EEDaSP_SQ_EUlSP_E_NS1_11comp_targetILNS1_3genE3ELNS1_11target_archE908ELNS1_3gpuE7ELNS1_3repE0EEENS1_30default_config_static_selectorELNS0_4arch9wavefront6targetE1EEEvT1_
                                        ; -- End function
	.section	.AMDGPU.csdata,"",@progbits
; Kernel info:
; codeLenInByte = 0
; NumSgprs: 4
; NumVgprs: 0
; NumAgprs: 0
; TotalNumVgprs: 0
; ScratchSize: 0
; MemoryBound: 0
; FloatMode: 240
; IeeeMode: 1
; LDSByteSize: 0 bytes/workgroup (compile time only)
; SGPRBlocks: 0
; VGPRBlocks: 0
; NumSGPRsForWavesPerEU: 4
; NumVGPRsForWavesPerEU: 1
; AccumOffset: 4
; Occupancy: 8
; WaveLimiterHint : 0
; COMPUTE_PGM_RSRC2:SCRATCH_EN: 0
; COMPUTE_PGM_RSRC2:USER_SGPR: 6
; COMPUTE_PGM_RSRC2:TRAP_HANDLER: 0
; COMPUTE_PGM_RSRC2:TGID_X_EN: 1
; COMPUTE_PGM_RSRC2:TGID_Y_EN: 0
; COMPUTE_PGM_RSRC2:TGID_Z_EN: 0
; COMPUTE_PGM_RSRC2:TIDIG_COMP_CNT: 0
; COMPUTE_PGM_RSRC3_GFX90A:ACCUM_OFFSET: 0
; COMPUTE_PGM_RSRC3_GFX90A:TG_SPLIT: 0
	.section	.text._ZN7rocprim17ROCPRIM_400000_NS6detail17trampoline_kernelINS0_14default_configENS1_20scan_config_selectorIsEEZZNS1_9scan_implILNS1_25lookback_scan_determinismE0ELb0ELb0ES3_N6thrust23THRUST_200600_302600_NS6detail15normal_iteratorINS9_10device_ptrIsEEEESE_s11max_functorIsEsEEDaPvRmT3_T4_T5_mT6_P12ihipStream_tbENKUlT_T0_E_clISt17integral_constantIbLb0EESU_EEDaSP_SQ_EUlSP_E_NS1_11comp_targetILNS1_3genE2ELNS1_11target_archE906ELNS1_3gpuE6ELNS1_3repE0EEENS1_30default_config_static_selectorELNS0_4arch9wavefront6targetE1EEEvT1_,"axG",@progbits,_ZN7rocprim17ROCPRIM_400000_NS6detail17trampoline_kernelINS0_14default_configENS1_20scan_config_selectorIsEEZZNS1_9scan_implILNS1_25lookback_scan_determinismE0ELb0ELb0ES3_N6thrust23THRUST_200600_302600_NS6detail15normal_iteratorINS9_10device_ptrIsEEEESE_s11max_functorIsEsEEDaPvRmT3_T4_T5_mT6_P12ihipStream_tbENKUlT_T0_E_clISt17integral_constantIbLb0EESU_EEDaSP_SQ_EUlSP_E_NS1_11comp_targetILNS1_3genE2ELNS1_11target_archE906ELNS1_3gpuE6ELNS1_3repE0EEENS1_30default_config_static_selectorELNS0_4arch9wavefront6targetE1EEEvT1_,comdat
	.protected	_ZN7rocprim17ROCPRIM_400000_NS6detail17trampoline_kernelINS0_14default_configENS1_20scan_config_selectorIsEEZZNS1_9scan_implILNS1_25lookback_scan_determinismE0ELb0ELb0ES3_N6thrust23THRUST_200600_302600_NS6detail15normal_iteratorINS9_10device_ptrIsEEEESE_s11max_functorIsEsEEDaPvRmT3_T4_T5_mT6_P12ihipStream_tbENKUlT_T0_E_clISt17integral_constantIbLb0EESU_EEDaSP_SQ_EUlSP_E_NS1_11comp_targetILNS1_3genE2ELNS1_11target_archE906ELNS1_3gpuE6ELNS1_3repE0EEENS1_30default_config_static_selectorELNS0_4arch9wavefront6targetE1EEEvT1_ ; -- Begin function _ZN7rocprim17ROCPRIM_400000_NS6detail17trampoline_kernelINS0_14default_configENS1_20scan_config_selectorIsEEZZNS1_9scan_implILNS1_25lookback_scan_determinismE0ELb0ELb0ES3_N6thrust23THRUST_200600_302600_NS6detail15normal_iteratorINS9_10device_ptrIsEEEESE_s11max_functorIsEsEEDaPvRmT3_T4_T5_mT6_P12ihipStream_tbENKUlT_T0_E_clISt17integral_constantIbLb0EESU_EEDaSP_SQ_EUlSP_E_NS1_11comp_targetILNS1_3genE2ELNS1_11target_archE906ELNS1_3gpuE6ELNS1_3repE0EEENS1_30default_config_static_selectorELNS0_4arch9wavefront6targetE1EEEvT1_
	.globl	_ZN7rocprim17ROCPRIM_400000_NS6detail17trampoline_kernelINS0_14default_configENS1_20scan_config_selectorIsEEZZNS1_9scan_implILNS1_25lookback_scan_determinismE0ELb0ELb0ES3_N6thrust23THRUST_200600_302600_NS6detail15normal_iteratorINS9_10device_ptrIsEEEESE_s11max_functorIsEsEEDaPvRmT3_T4_T5_mT6_P12ihipStream_tbENKUlT_T0_E_clISt17integral_constantIbLb0EESU_EEDaSP_SQ_EUlSP_E_NS1_11comp_targetILNS1_3genE2ELNS1_11target_archE906ELNS1_3gpuE6ELNS1_3repE0EEENS1_30default_config_static_selectorELNS0_4arch9wavefront6targetE1EEEvT1_
	.p2align	8
	.type	_ZN7rocprim17ROCPRIM_400000_NS6detail17trampoline_kernelINS0_14default_configENS1_20scan_config_selectorIsEEZZNS1_9scan_implILNS1_25lookback_scan_determinismE0ELb0ELb0ES3_N6thrust23THRUST_200600_302600_NS6detail15normal_iteratorINS9_10device_ptrIsEEEESE_s11max_functorIsEsEEDaPvRmT3_T4_T5_mT6_P12ihipStream_tbENKUlT_T0_E_clISt17integral_constantIbLb0EESU_EEDaSP_SQ_EUlSP_E_NS1_11comp_targetILNS1_3genE2ELNS1_11target_archE906ELNS1_3gpuE6ELNS1_3repE0EEENS1_30default_config_static_selectorELNS0_4arch9wavefront6targetE1EEEvT1_,@function
_ZN7rocprim17ROCPRIM_400000_NS6detail17trampoline_kernelINS0_14default_configENS1_20scan_config_selectorIsEEZZNS1_9scan_implILNS1_25lookback_scan_determinismE0ELb0ELb0ES3_N6thrust23THRUST_200600_302600_NS6detail15normal_iteratorINS9_10device_ptrIsEEEESE_s11max_functorIsEsEEDaPvRmT3_T4_T5_mT6_P12ihipStream_tbENKUlT_T0_E_clISt17integral_constantIbLb0EESU_EEDaSP_SQ_EUlSP_E_NS1_11comp_targetILNS1_3genE2ELNS1_11target_archE906ELNS1_3gpuE6ELNS1_3repE0EEENS1_30default_config_static_selectorELNS0_4arch9wavefront6targetE1EEEvT1_: ; @_ZN7rocprim17ROCPRIM_400000_NS6detail17trampoline_kernelINS0_14default_configENS1_20scan_config_selectorIsEEZZNS1_9scan_implILNS1_25lookback_scan_determinismE0ELb0ELb0ES3_N6thrust23THRUST_200600_302600_NS6detail15normal_iteratorINS9_10device_ptrIsEEEESE_s11max_functorIsEsEEDaPvRmT3_T4_T5_mT6_P12ihipStream_tbENKUlT_T0_E_clISt17integral_constantIbLb0EESU_EEDaSP_SQ_EUlSP_E_NS1_11comp_targetILNS1_3genE2ELNS1_11target_archE906ELNS1_3gpuE6ELNS1_3repE0EEENS1_30default_config_static_selectorELNS0_4arch9wavefront6targetE1EEEvT1_
; %bb.0:
	.section	.rodata,"a",@progbits
	.p2align	6, 0x0
	.amdhsa_kernel _ZN7rocprim17ROCPRIM_400000_NS6detail17trampoline_kernelINS0_14default_configENS1_20scan_config_selectorIsEEZZNS1_9scan_implILNS1_25lookback_scan_determinismE0ELb0ELb0ES3_N6thrust23THRUST_200600_302600_NS6detail15normal_iteratorINS9_10device_ptrIsEEEESE_s11max_functorIsEsEEDaPvRmT3_T4_T5_mT6_P12ihipStream_tbENKUlT_T0_E_clISt17integral_constantIbLb0EESU_EEDaSP_SQ_EUlSP_E_NS1_11comp_targetILNS1_3genE2ELNS1_11target_archE906ELNS1_3gpuE6ELNS1_3repE0EEENS1_30default_config_static_selectorELNS0_4arch9wavefront6targetE1EEEvT1_
		.amdhsa_group_segment_fixed_size 0
		.amdhsa_private_segment_fixed_size 0
		.amdhsa_kernarg_size 96
		.amdhsa_user_sgpr_count 6
		.amdhsa_user_sgpr_private_segment_buffer 1
		.amdhsa_user_sgpr_dispatch_ptr 0
		.amdhsa_user_sgpr_queue_ptr 0
		.amdhsa_user_sgpr_kernarg_segment_ptr 1
		.amdhsa_user_sgpr_dispatch_id 0
		.amdhsa_user_sgpr_flat_scratch_init 0
		.amdhsa_user_sgpr_kernarg_preload_length 0
		.amdhsa_user_sgpr_kernarg_preload_offset 0
		.amdhsa_user_sgpr_private_segment_size 0
		.amdhsa_uses_dynamic_stack 0
		.amdhsa_system_sgpr_private_segment_wavefront_offset 0
		.amdhsa_system_sgpr_workgroup_id_x 1
		.amdhsa_system_sgpr_workgroup_id_y 0
		.amdhsa_system_sgpr_workgroup_id_z 0
		.amdhsa_system_sgpr_workgroup_info 0
		.amdhsa_system_vgpr_workitem_id 0
		.amdhsa_next_free_vgpr 1
		.amdhsa_next_free_sgpr 0
		.amdhsa_accum_offset 4
		.amdhsa_reserve_vcc 0
		.amdhsa_reserve_flat_scratch 0
		.amdhsa_float_round_mode_32 0
		.amdhsa_float_round_mode_16_64 0
		.amdhsa_float_denorm_mode_32 3
		.amdhsa_float_denorm_mode_16_64 3
		.amdhsa_dx10_clamp 1
		.amdhsa_ieee_mode 1
		.amdhsa_fp16_overflow 0
		.amdhsa_tg_split 0
		.amdhsa_exception_fp_ieee_invalid_op 0
		.amdhsa_exception_fp_denorm_src 0
		.amdhsa_exception_fp_ieee_div_zero 0
		.amdhsa_exception_fp_ieee_overflow 0
		.amdhsa_exception_fp_ieee_underflow 0
		.amdhsa_exception_fp_ieee_inexact 0
		.amdhsa_exception_int_div_zero 0
	.end_amdhsa_kernel
	.section	.text._ZN7rocprim17ROCPRIM_400000_NS6detail17trampoline_kernelINS0_14default_configENS1_20scan_config_selectorIsEEZZNS1_9scan_implILNS1_25lookback_scan_determinismE0ELb0ELb0ES3_N6thrust23THRUST_200600_302600_NS6detail15normal_iteratorINS9_10device_ptrIsEEEESE_s11max_functorIsEsEEDaPvRmT3_T4_T5_mT6_P12ihipStream_tbENKUlT_T0_E_clISt17integral_constantIbLb0EESU_EEDaSP_SQ_EUlSP_E_NS1_11comp_targetILNS1_3genE2ELNS1_11target_archE906ELNS1_3gpuE6ELNS1_3repE0EEENS1_30default_config_static_selectorELNS0_4arch9wavefront6targetE1EEEvT1_,"axG",@progbits,_ZN7rocprim17ROCPRIM_400000_NS6detail17trampoline_kernelINS0_14default_configENS1_20scan_config_selectorIsEEZZNS1_9scan_implILNS1_25lookback_scan_determinismE0ELb0ELb0ES3_N6thrust23THRUST_200600_302600_NS6detail15normal_iteratorINS9_10device_ptrIsEEEESE_s11max_functorIsEsEEDaPvRmT3_T4_T5_mT6_P12ihipStream_tbENKUlT_T0_E_clISt17integral_constantIbLb0EESU_EEDaSP_SQ_EUlSP_E_NS1_11comp_targetILNS1_3genE2ELNS1_11target_archE906ELNS1_3gpuE6ELNS1_3repE0EEENS1_30default_config_static_selectorELNS0_4arch9wavefront6targetE1EEEvT1_,comdat
.Lfunc_end2850:
	.size	_ZN7rocprim17ROCPRIM_400000_NS6detail17trampoline_kernelINS0_14default_configENS1_20scan_config_selectorIsEEZZNS1_9scan_implILNS1_25lookback_scan_determinismE0ELb0ELb0ES3_N6thrust23THRUST_200600_302600_NS6detail15normal_iteratorINS9_10device_ptrIsEEEESE_s11max_functorIsEsEEDaPvRmT3_T4_T5_mT6_P12ihipStream_tbENKUlT_T0_E_clISt17integral_constantIbLb0EESU_EEDaSP_SQ_EUlSP_E_NS1_11comp_targetILNS1_3genE2ELNS1_11target_archE906ELNS1_3gpuE6ELNS1_3repE0EEENS1_30default_config_static_selectorELNS0_4arch9wavefront6targetE1EEEvT1_, .Lfunc_end2850-_ZN7rocprim17ROCPRIM_400000_NS6detail17trampoline_kernelINS0_14default_configENS1_20scan_config_selectorIsEEZZNS1_9scan_implILNS1_25lookback_scan_determinismE0ELb0ELb0ES3_N6thrust23THRUST_200600_302600_NS6detail15normal_iteratorINS9_10device_ptrIsEEEESE_s11max_functorIsEsEEDaPvRmT3_T4_T5_mT6_P12ihipStream_tbENKUlT_T0_E_clISt17integral_constantIbLb0EESU_EEDaSP_SQ_EUlSP_E_NS1_11comp_targetILNS1_3genE2ELNS1_11target_archE906ELNS1_3gpuE6ELNS1_3repE0EEENS1_30default_config_static_selectorELNS0_4arch9wavefront6targetE1EEEvT1_
                                        ; -- End function
	.section	.AMDGPU.csdata,"",@progbits
; Kernel info:
; codeLenInByte = 0
; NumSgprs: 4
; NumVgprs: 0
; NumAgprs: 0
; TotalNumVgprs: 0
; ScratchSize: 0
; MemoryBound: 0
; FloatMode: 240
; IeeeMode: 1
; LDSByteSize: 0 bytes/workgroup (compile time only)
; SGPRBlocks: 0
; VGPRBlocks: 0
; NumSGPRsForWavesPerEU: 4
; NumVGPRsForWavesPerEU: 1
; AccumOffset: 4
; Occupancy: 8
; WaveLimiterHint : 0
; COMPUTE_PGM_RSRC2:SCRATCH_EN: 0
; COMPUTE_PGM_RSRC2:USER_SGPR: 6
; COMPUTE_PGM_RSRC2:TRAP_HANDLER: 0
; COMPUTE_PGM_RSRC2:TGID_X_EN: 1
; COMPUTE_PGM_RSRC2:TGID_Y_EN: 0
; COMPUTE_PGM_RSRC2:TGID_Z_EN: 0
; COMPUTE_PGM_RSRC2:TIDIG_COMP_CNT: 0
; COMPUTE_PGM_RSRC3_GFX90A:ACCUM_OFFSET: 0
; COMPUTE_PGM_RSRC3_GFX90A:TG_SPLIT: 0
	.section	.text._ZN7rocprim17ROCPRIM_400000_NS6detail17trampoline_kernelINS0_14default_configENS1_20scan_config_selectorIsEEZZNS1_9scan_implILNS1_25lookback_scan_determinismE0ELb0ELb0ES3_N6thrust23THRUST_200600_302600_NS6detail15normal_iteratorINS9_10device_ptrIsEEEESE_s11max_functorIsEsEEDaPvRmT3_T4_T5_mT6_P12ihipStream_tbENKUlT_T0_E_clISt17integral_constantIbLb0EESU_EEDaSP_SQ_EUlSP_E_NS1_11comp_targetILNS1_3genE10ELNS1_11target_archE1201ELNS1_3gpuE5ELNS1_3repE0EEENS1_30default_config_static_selectorELNS0_4arch9wavefront6targetE1EEEvT1_,"axG",@progbits,_ZN7rocprim17ROCPRIM_400000_NS6detail17trampoline_kernelINS0_14default_configENS1_20scan_config_selectorIsEEZZNS1_9scan_implILNS1_25lookback_scan_determinismE0ELb0ELb0ES3_N6thrust23THRUST_200600_302600_NS6detail15normal_iteratorINS9_10device_ptrIsEEEESE_s11max_functorIsEsEEDaPvRmT3_T4_T5_mT6_P12ihipStream_tbENKUlT_T0_E_clISt17integral_constantIbLb0EESU_EEDaSP_SQ_EUlSP_E_NS1_11comp_targetILNS1_3genE10ELNS1_11target_archE1201ELNS1_3gpuE5ELNS1_3repE0EEENS1_30default_config_static_selectorELNS0_4arch9wavefront6targetE1EEEvT1_,comdat
	.protected	_ZN7rocprim17ROCPRIM_400000_NS6detail17trampoline_kernelINS0_14default_configENS1_20scan_config_selectorIsEEZZNS1_9scan_implILNS1_25lookback_scan_determinismE0ELb0ELb0ES3_N6thrust23THRUST_200600_302600_NS6detail15normal_iteratorINS9_10device_ptrIsEEEESE_s11max_functorIsEsEEDaPvRmT3_T4_T5_mT6_P12ihipStream_tbENKUlT_T0_E_clISt17integral_constantIbLb0EESU_EEDaSP_SQ_EUlSP_E_NS1_11comp_targetILNS1_3genE10ELNS1_11target_archE1201ELNS1_3gpuE5ELNS1_3repE0EEENS1_30default_config_static_selectorELNS0_4arch9wavefront6targetE1EEEvT1_ ; -- Begin function _ZN7rocprim17ROCPRIM_400000_NS6detail17trampoline_kernelINS0_14default_configENS1_20scan_config_selectorIsEEZZNS1_9scan_implILNS1_25lookback_scan_determinismE0ELb0ELb0ES3_N6thrust23THRUST_200600_302600_NS6detail15normal_iteratorINS9_10device_ptrIsEEEESE_s11max_functorIsEsEEDaPvRmT3_T4_T5_mT6_P12ihipStream_tbENKUlT_T0_E_clISt17integral_constantIbLb0EESU_EEDaSP_SQ_EUlSP_E_NS1_11comp_targetILNS1_3genE10ELNS1_11target_archE1201ELNS1_3gpuE5ELNS1_3repE0EEENS1_30default_config_static_selectorELNS0_4arch9wavefront6targetE1EEEvT1_
	.globl	_ZN7rocprim17ROCPRIM_400000_NS6detail17trampoline_kernelINS0_14default_configENS1_20scan_config_selectorIsEEZZNS1_9scan_implILNS1_25lookback_scan_determinismE0ELb0ELb0ES3_N6thrust23THRUST_200600_302600_NS6detail15normal_iteratorINS9_10device_ptrIsEEEESE_s11max_functorIsEsEEDaPvRmT3_T4_T5_mT6_P12ihipStream_tbENKUlT_T0_E_clISt17integral_constantIbLb0EESU_EEDaSP_SQ_EUlSP_E_NS1_11comp_targetILNS1_3genE10ELNS1_11target_archE1201ELNS1_3gpuE5ELNS1_3repE0EEENS1_30default_config_static_selectorELNS0_4arch9wavefront6targetE1EEEvT1_
	.p2align	8
	.type	_ZN7rocprim17ROCPRIM_400000_NS6detail17trampoline_kernelINS0_14default_configENS1_20scan_config_selectorIsEEZZNS1_9scan_implILNS1_25lookback_scan_determinismE0ELb0ELb0ES3_N6thrust23THRUST_200600_302600_NS6detail15normal_iteratorINS9_10device_ptrIsEEEESE_s11max_functorIsEsEEDaPvRmT3_T4_T5_mT6_P12ihipStream_tbENKUlT_T0_E_clISt17integral_constantIbLb0EESU_EEDaSP_SQ_EUlSP_E_NS1_11comp_targetILNS1_3genE10ELNS1_11target_archE1201ELNS1_3gpuE5ELNS1_3repE0EEENS1_30default_config_static_selectorELNS0_4arch9wavefront6targetE1EEEvT1_,@function
_ZN7rocprim17ROCPRIM_400000_NS6detail17trampoline_kernelINS0_14default_configENS1_20scan_config_selectorIsEEZZNS1_9scan_implILNS1_25lookback_scan_determinismE0ELb0ELb0ES3_N6thrust23THRUST_200600_302600_NS6detail15normal_iteratorINS9_10device_ptrIsEEEESE_s11max_functorIsEsEEDaPvRmT3_T4_T5_mT6_P12ihipStream_tbENKUlT_T0_E_clISt17integral_constantIbLb0EESU_EEDaSP_SQ_EUlSP_E_NS1_11comp_targetILNS1_3genE10ELNS1_11target_archE1201ELNS1_3gpuE5ELNS1_3repE0EEENS1_30default_config_static_selectorELNS0_4arch9wavefront6targetE1EEEvT1_: ; @_ZN7rocprim17ROCPRIM_400000_NS6detail17trampoline_kernelINS0_14default_configENS1_20scan_config_selectorIsEEZZNS1_9scan_implILNS1_25lookback_scan_determinismE0ELb0ELb0ES3_N6thrust23THRUST_200600_302600_NS6detail15normal_iteratorINS9_10device_ptrIsEEEESE_s11max_functorIsEsEEDaPvRmT3_T4_T5_mT6_P12ihipStream_tbENKUlT_T0_E_clISt17integral_constantIbLb0EESU_EEDaSP_SQ_EUlSP_E_NS1_11comp_targetILNS1_3genE10ELNS1_11target_archE1201ELNS1_3gpuE5ELNS1_3repE0EEENS1_30default_config_static_selectorELNS0_4arch9wavefront6targetE1EEEvT1_
; %bb.0:
	.section	.rodata,"a",@progbits
	.p2align	6, 0x0
	.amdhsa_kernel _ZN7rocprim17ROCPRIM_400000_NS6detail17trampoline_kernelINS0_14default_configENS1_20scan_config_selectorIsEEZZNS1_9scan_implILNS1_25lookback_scan_determinismE0ELb0ELb0ES3_N6thrust23THRUST_200600_302600_NS6detail15normal_iteratorINS9_10device_ptrIsEEEESE_s11max_functorIsEsEEDaPvRmT3_T4_T5_mT6_P12ihipStream_tbENKUlT_T0_E_clISt17integral_constantIbLb0EESU_EEDaSP_SQ_EUlSP_E_NS1_11comp_targetILNS1_3genE10ELNS1_11target_archE1201ELNS1_3gpuE5ELNS1_3repE0EEENS1_30default_config_static_selectorELNS0_4arch9wavefront6targetE1EEEvT1_
		.amdhsa_group_segment_fixed_size 0
		.amdhsa_private_segment_fixed_size 0
		.amdhsa_kernarg_size 96
		.amdhsa_user_sgpr_count 6
		.amdhsa_user_sgpr_private_segment_buffer 1
		.amdhsa_user_sgpr_dispatch_ptr 0
		.amdhsa_user_sgpr_queue_ptr 0
		.amdhsa_user_sgpr_kernarg_segment_ptr 1
		.amdhsa_user_sgpr_dispatch_id 0
		.amdhsa_user_sgpr_flat_scratch_init 0
		.amdhsa_user_sgpr_kernarg_preload_length 0
		.amdhsa_user_sgpr_kernarg_preload_offset 0
		.amdhsa_user_sgpr_private_segment_size 0
		.amdhsa_uses_dynamic_stack 0
		.amdhsa_system_sgpr_private_segment_wavefront_offset 0
		.amdhsa_system_sgpr_workgroup_id_x 1
		.amdhsa_system_sgpr_workgroup_id_y 0
		.amdhsa_system_sgpr_workgroup_id_z 0
		.amdhsa_system_sgpr_workgroup_info 0
		.amdhsa_system_vgpr_workitem_id 0
		.amdhsa_next_free_vgpr 1
		.amdhsa_next_free_sgpr 0
		.amdhsa_accum_offset 4
		.amdhsa_reserve_vcc 0
		.amdhsa_reserve_flat_scratch 0
		.amdhsa_float_round_mode_32 0
		.amdhsa_float_round_mode_16_64 0
		.amdhsa_float_denorm_mode_32 3
		.amdhsa_float_denorm_mode_16_64 3
		.amdhsa_dx10_clamp 1
		.amdhsa_ieee_mode 1
		.amdhsa_fp16_overflow 0
		.amdhsa_tg_split 0
		.amdhsa_exception_fp_ieee_invalid_op 0
		.amdhsa_exception_fp_denorm_src 0
		.amdhsa_exception_fp_ieee_div_zero 0
		.amdhsa_exception_fp_ieee_overflow 0
		.amdhsa_exception_fp_ieee_underflow 0
		.amdhsa_exception_fp_ieee_inexact 0
		.amdhsa_exception_int_div_zero 0
	.end_amdhsa_kernel
	.section	.text._ZN7rocprim17ROCPRIM_400000_NS6detail17trampoline_kernelINS0_14default_configENS1_20scan_config_selectorIsEEZZNS1_9scan_implILNS1_25lookback_scan_determinismE0ELb0ELb0ES3_N6thrust23THRUST_200600_302600_NS6detail15normal_iteratorINS9_10device_ptrIsEEEESE_s11max_functorIsEsEEDaPvRmT3_T4_T5_mT6_P12ihipStream_tbENKUlT_T0_E_clISt17integral_constantIbLb0EESU_EEDaSP_SQ_EUlSP_E_NS1_11comp_targetILNS1_3genE10ELNS1_11target_archE1201ELNS1_3gpuE5ELNS1_3repE0EEENS1_30default_config_static_selectorELNS0_4arch9wavefront6targetE1EEEvT1_,"axG",@progbits,_ZN7rocprim17ROCPRIM_400000_NS6detail17trampoline_kernelINS0_14default_configENS1_20scan_config_selectorIsEEZZNS1_9scan_implILNS1_25lookback_scan_determinismE0ELb0ELb0ES3_N6thrust23THRUST_200600_302600_NS6detail15normal_iteratorINS9_10device_ptrIsEEEESE_s11max_functorIsEsEEDaPvRmT3_T4_T5_mT6_P12ihipStream_tbENKUlT_T0_E_clISt17integral_constantIbLb0EESU_EEDaSP_SQ_EUlSP_E_NS1_11comp_targetILNS1_3genE10ELNS1_11target_archE1201ELNS1_3gpuE5ELNS1_3repE0EEENS1_30default_config_static_selectorELNS0_4arch9wavefront6targetE1EEEvT1_,comdat
.Lfunc_end2851:
	.size	_ZN7rocprim17ROCPRIM_400000_NS6detail17trampoline_kernelINS0_14default_configENS1_20scan_config_selectorIsEEZZNS1_9scan_implILNS1_25lookback_scan_determinismE0ELb0ELb0ES3_N6thrust23THRUST_200600_302600_NS6detail15normal_iteratorINS9_10device_ptrIsEEEESE_s11max_functorIsEsEEDaPvRmT3_T4_T5_mT6_P12ihipStream_tbENKUlT_T0_E_clISt17integral_constantIbLb0EESU_EEDaSP_SQ_EUlSP_E_NS1_11comp_targetILNS1_3genE10ELNS1_11target_archE1201ELNS1_3gpuE5ELNS1_3repE0EEENS1_30default_config_static_selectorELNS0_4arch9wavefront6targetE1EEEvT1_, .Lfunc_end2851-_ZN7rocprim17ROCPRIM_400000_NS6detail17trampoline_kernelINS0_14default_configENS1_20scan_config_selectorIsEEZZNS1_9scan_implILNS1_25lookback_scan_determinismE0ELb0ELb0ES3_N6thrust23THRUST_200600_302600_NS6detail15normal_iteratorINS9_10device_ptrIsEEEESE_s11max_functorIsEsEEDaPvRmT3_T4_T5_mT6_P12ihipStream_tbENKUlT_T0_E_clISt17integral_constantIbLb0EESU_EEDaSP_SQ_EUlSP_E_NS1_11comp_targetILNS1_3genE10ELNS1_11target_archE1201ELNS1_3gpuE5ELNS1_3repE0EEENS1_30default_config_static_selectorELNS0_4arch9wavefront6targetE1EEEvT1_
                                        ; -- End function
	.section	.AMDGPU.csdata,"",@progbits
; Kernel info:
; codeLenInByte = 0
; NumSgprs: 4
; NumVgprs: 0
; NumAgprs: 0
; TotalNumVgprs: 0
; ScratchSize: 0
; MemoryBound: 0
; FloatMode: 240
; IeeeMode: 1
; LDSByteSize: 0 bytes/workgroup (compile time only)
; SGPRBlocks: 0
; VGPRBlocks: 0
; NumSGPRsForWavesPerEU: 4
; NumVGPRsForWavesPerEU: 1
; AccumOffset: 4
; Occupancy: 8
; WaveLimiterHint : 0
; COMPUTE_PGM_RSRC2:SCRATCH_EN: 0
; COMPUTE_PGM_RSRC2:USER_SGPR: 6
; COMPUTE_PGM_RSRC2:TRAP_HANDLER: 0
; COMPUTE_PGM_RSRC2:TGID_X_EN: 1
; COMPUTE_PGM_RSRC2:TGID_Y_EN: 0
; COMPUTE_PGM_RSRC2:TGID_Z_EN: 0
; COMPUTE_PGM_RSRC2:TIDIG_COMP_CNT: 0
; COMPUTE_PGM_RSRC3_GFX90A:ACCUM_OFFSET: 0
; COMPUTE_PGM_RSRC3_GFX90A:TG_SPLIT: 0
	.section	.text._ZN7rocprim17ROCPRIM_400000_NS6detail17trampoline_kernelINS0_14default_configENS1_20scan_config_selectorIsEEZZNS1_9scan_implILNS1_25lookback_scan_determinismE0ELb0ELb0ES3_N6thrust23THRUST_200600_302600_NS6detail15normal_iteratorINS9_10device_ptrIsEEEESE_s11max_functorIsEsEEDaPvRmT3_T4_T5_mT6_P12ihipStream_tbENKUlT_T0_E_clISt17integral_constantIbLb0EESU_EEDaSP_SQ_EUlSP_E_NS1_11comp_targetILNS1_3genE10ELNS1_11target_archE1200ELNS1_3gpuE4ELNS1_3repE0EEENS1_30default_config_static_selectorELNS0_4arch9wavefront6targetE1EEEvT1_,"axG",@progbits,_ZN7rocprim17ROCPRIM_400000_NS6detail17trampoline_kernelINS0_14default_configENS1_20scan_config_selectorIsEEZZNS1_9scan_implILNS1_25lookback_scan_determinismE0ELb0ELb0ES3_N6thrust23THRUST_200600_302600_NS6detail15normal_iteratorINS9_10device_ptrIsEEEESE_s11max_functorIsEsEEDaPvRmT3_T4_T5_mT6_P12ihipStream_tbENKUlT_T0_E_clISt17integral_constantIbLb0EESU_EEDaSP_SQ_EUlSP_E_NS1_11comp_targetILNS1_3genE10ELNS1_11target_archE1200ELNS1_3gpuE4ELNS1_3repE0EEENS1_30default_config_static_selectorELNS0_4arch9wavefront6targetE1EEEvT1_,comdat
	.protected	_ZN7rocprim17ROCPRIM_400000_NS6detail17trampoline_kernelINS0_14default_configENS1_20scan_config_selectorIsEEZZNS1_9scan_implILNS1_25lookback_scan_determinismE0ELb0ELb0ES3_N6thrust23THRUST_200600_302600_NS6detail15normal_iteratorINS9_10device_ptrIsEEEESE_s11max_functorIsEsEEDaPvRmT3_T4_T5_mT6_P12ihipStream_tbENKUlT_T0_E_clISt17integral_constantIbLb0EESU_EEDaSP_SQ_EUlSP_E_NS1_11comp_targetILNS1_3genE10ELNS1_11target_archE1200ELNS1_3gpuE4ELNS1_3repE0EEENS1_30default_config_static_selectorELNS0_4arch9wavefront6targetE1EEEvT1_ ; -- Begin function _ZN7rocprim17ROCPRIM_400000_NS6detail17trampoline_kernelINS0_14default_configENS1_20scan_config_selectorIsEEZZNS1_9scan_implILNS1_25lookback_scan_determinismE0ELb0ELb0ES3_N6thrust23THRUST_200600_302600_NS6detail15normal_iteratorINS9_10device_ptrIsEEEESE_s11max_functorIsEsEEDaPvRmT3_T4_T5_mT6_P12ihipStream_tbENKUlT_T0_E_clISt17integral_constantIbLb0EESU_EEDaSP_SQ_EUlSP_E_NS1_11comp_targetILNS1_3genE10ELNS1_11target_archE1200ELNS1_3gpuE4ELNS1_3repE0EEENS1_30default_config_static_selectorELNS0_4arch9wavefront6targetE1EEEvT1_
	.globl	_ZN7rocprim17ROCPRIM_400000_NS6detail17trampoline_kernelINS0_14default_configENS1_20scan_config_selectorIsEEZZNS1_9scan_implILNS1_25lookback_scan_determinismE0ELb0ELb0ES3_N6thrust23THRUST_200600_302600_NS6detail15normal_iteratorINS9_10device_ptrIsEEEESE_s11max_functorIsEsEEDaPvRmT3_T4_T5_mT6_P12ihipStream_tbENKUlT_T0_E_clISt17integral_constantIbLb0EESU_EEDaSP_SQ_EUlSP_E_NS1_11comp_targetILNS1_3genE10ELNS1_11target_archE1200ELNS1_3gpuE4ELNS1_3repE0EEENS1_30default_config_static_selectorELNS0_4arch9wavefront6targetE1EEEvT1_
	.p2align	8
	.type	_ZN7rocprim17ROCPRIM_400000_NS6detail17trampoline_kernelINS0_14default_configENS1_20scan_config_selectorIsEEZZNS1_9scan_implILNS1_25lookback_scan_determinismE0ELb0ELb0ES3_N6thrust23THRUST_200600_302600_NS6detail15normal_iteratorINS9_10device_ptrIsEEEESE_s11max_functorIsEsEEDaPvRmT3_T4_T5_mT6_P12ihipStream_tbENKUlT_T0_E_clISt17integral_constantIbLb0EESU_EEDaSP_SQ_EUlSP_E_NS1_11comp_targetILNS1_3genE10ELNS1_11target_archE1200ELNS1_3gpuE4ELNS1_3repE0EEENS1_30default_config_static_selectorELNS0_4arch9wavefront6targetE1EEEvT1_,@function
_ZN7rocprim17ROCPRIM_400000_NS6detail17trampoline_kernelINS0_14default_configENS1_20scan_config_selectorIsEEZZNS1_9scan_implILNS1_25lookback_scan_determinismE0ELb0ELb0ES3_N6thrust23THRUST_200600_302600_NS6detail15normal_iteratorINS9_10device_ptrIsEEEESE_s11max_functorIsEsEEDaPvRmT3_T4_T5_mT6_P12ihipStream_tbENKUlT_T0_E_clISt17integral_constantIbLb0EESU_EEDaSP_SQ_EUlSP_E_NS1_11comp_targetILNS1_3genE10ELNS1_11target_archE1200ELNS1_3gpuE4ELNS1_3repE0EEENS1_30default_config_static_selectorELNS0_4arch9wavefront6targetE1EEEvT1_: ; @_ZN7rocprim17ROCPRIM_400000_NS6detail17trampoline_kernelINS0_14default_configENS1_20scan_config_selectorIsEEZZNS1_9scan_implILNS1_25lookback_scan_determinismE0ELb0ELb0ES3_N6thrust23THRUST_200600_302600_NS6detail15normal_iteratorINS9_10device_ptrIsEEEESE_s11max_functorIsEsEEDaPvRmT3_T4_T5_mT6_P12ihipStream_tbENKUlT_T0_E_clISt17integral_constantIbLb0EESU_EEDaSP_SQ_EUlSP_E_NS1_11comp_targetILNS1_3genE10ELNS1_11target_archE1200ELNS1_3gpuE4ELNS1_3repE0EEENS1_30default_config_static_selectorELNS0_4arch9wavefront6targetE1EEEvT1_
; %bb.0:
	.section	.rodata,"a",@progbits
	.p2align	6, 0x0
	.amdhsa_kernel _ZN7rocprim17ROCPRIM_400000_NS6detail17trampoline_kernelINS0_14default_configENS1_20scan_config_selectorIsEEZZNS1_9scan_implILNS1_25lookback_scan_determinismE0ELb0ELb0ES3_N6thrust23THRUST_200600_302600_NS6detail15normal_iteratorINS9_10device_ptrIsEEEESE_s11max_functorIsEsEEDaPvRmT3_T4_T5_mT6_P12ihipStream_tbENKUlT_T0_E_clISt17integral_constantIbLb0EESU_EEDaSP_SQ_EUlSP_E_NS1_11comp_targetILNS1_3genE10ELNS1_11target_archE1200ELNS1_3gpuE4ELNS1_3repE0EEENS1_30default_config_static_selectorELNS0_4arch9wavefront6targetE1EEEvT1_
		.amdhsa_group_segment_fixed_size 0
		.amdhsa_private_segment_fixed_size 0
		.amdhsa_kernarg_size 96
		.amdhsa_user_sgpr_count 6
		.amdhsa_user_sgpr_private_segment_buffer 1
		.amdhsa_user_sgpr_dispatch_ptr 0
		.amdhsa_user_sgpr_queue_ptr 0
		.amdhsa_user_sgpr_kernarg_segment_ptr 1
		.amdhsa_user_sgpr_dispatch_id 0
		.amdhsa_user_sgpr_flat_scratch_init 0
		.amdhsa_user_sgpr_kernarg_preload_length 0
		.amdhsa_user_sgpr_kernarg_preload_offset 0
		.amdhsa_user_sgpr_private_segment_size 0
		.amdhsa_uses_dynamic_stack 0
		.amdhsa_system_sgpr_private_segment_wavefront_offset 0
		.amdhsa_system_sgpr_workgroup_id_x 1
		.amdhsa_system_sgpr_workgroup_id_y 0
		.amdhsa_system_sgpr_workgroup_id_z 0
		.amdhsa_system_sgpr_workgroup_info 0
		.amdhsa_system_vgpr_workitem_id 0
		.amdhsa_next_free_vgpr 1
		.amdhsa_next_free_sgpr 0
		.amdhsa_accum_offset 4
		.amdhsa_reserve_vcc 0
		.amdhsa_reserve_flat_scratch 0
		.amdhsa_float_round_mode_32 0
		.amdhsa_float_round_mode_16_64 0
		.amdhsa_float_denorm_mode_32 3
		.amdhsa_float_denorm_mode_16_64 3
		.amdhsa_dx10_clamp 1
		.amdhsa_ieee_mode 1
		.amdhsa_fp16_overflow 0
		.amdhsa_tg_split 0
		.amdhsa_exception_fp_ieee_invalid_op 0
		.amdhsa_exception_fp_denorm_src 0
		.amdhsa_exception_fp_ieee_div_zero 0
		.amdhsa_exception_fp_ieee_overflow 0
		.amdhsa_exception_fp_ieee_underflow 0
		.amdhsa_exception_fp_ieee_inexact 0
		.amdhsa_exception_int_div_zero 0
	.end_amdhsa_kernel
	.section	.text._ZN7rocprim17ROCPRIM_400000_NS6detail17trampoline_kernelINS0_14default_configENS1_20scan_config_selectorIsEEZZNS1_9scan_implILNS1_25lookback_scan_determinismE0ELb0ELb0ES3_N6thrust23THRUST_200600_302600_NS6detail15normal_iteratorINS9_10device_ptrIsEEEESE_s11max_functorIsEsEEDaPvRmT3_T4_T5_mT6_P12ihipStream_tbENKUlT_T0_E_clISt17integral_constantIbLb0EESU_EEDaSP_SQ_EUlSP_E_NS1_11comp_targetILNS1_3genE10ELNS1_11target_archE1200ELNS1_3gpuE4ELNS1_3repE0EEENS1_30default_config_static_selectorELNS0_4arch9wavefront6targetE1EEEvT1_,"axG",@progbits,_ZN7rocprim17ROCPRIM_400000_NS6detail17trampoline_kernelINS0_14default_configENS1_20scan_config_selectorIsEEZZNS1_9scan_implILNS1_25lookback_scan_determinismE0ELb0ELb0ES3_N6thrust23THRUST_200600_302600_NS6detail15normal_iteratorINS9_10device_ptrIsEEEESE_s11max_functorIsEsEEDaPvRmT3_T4_T5_mT6_P12ihipStream_tbENKUlT_T0_E_clISt17integral_constantIbLb0EESU_EEDaSP_SQ_EUlSP_E_NS1_11comp_targetILNS1_3genE10ELNS1_11target_archE1200ELNS1_3gpuE4ELNS1_3repE0EEENS1_30default_config_static_selectorELNS0_4arch9wavefront6targetE1EEEvT1_,comdat
.Lfunc_end2852:
	.size	_ZN7rocprim17ROCPRIM_400000_NS6detail17trampoline_kernelINS0_14default_configENS1_20scan_config_selectorIsEEZZNS1_9scan_implILNS1_25lookback_scan_determinismE0ELb0ELb0ES3_N6thrust23THRUST_200600_302600_NS6detail15normal_iteratorINS9_10device_ptrIsEEEESE_s11max_functorIsEsEEDaPvRmT3_T4_T5_mT6_P12ihipStream_tbENKUlT_T0_E_clISt17integral_constantIbLb0EESU_EEDaSP_SQ_EUlSP_E_NS1_11comp_targetILNS1_3genE10ELNS1_11target_archE1200ELNS1_3gpuE4ELNS1_3repE0EEENS1_30default_config_static_selectorELNS0_4arch9wavefront6targetE1EEEvT1_, .Lfunc_end2852-_ZN7rocprim17ROCPRIM_400000_NS6detail17trampoline_kernelINS0_14default_configENS1_20scan_config_selectorIsEEZZNS1_9scan_implILNS1_25lookback_scan_determinismE0ELb0ELb0ES3_N6thrust23THRUST_200600_302600_NS6detail15normal_iteratorINS9_10device_ptrIsEEEESE_s11max_functorIsEsEEDaPvRmT3_T4_T5_mT6_P12ihipStream_tbENKUlT_T0_E_clISt17integral_constantIbLb0EESU_EEDaSP_SQ_EUlSP_E_NS1_11comp_targetILNS1_3genE10ELNS1_11target_archE1200ELNS1_3gpuE4ELNS1_3repE0EEENS1_30default_config_static_selectorELNS0_4arch9wavefront6targetE1EEEvT1_
                                        ; -- End function
	.section	.AMDGPU.csdata,"",@progbits
; Kernel info:
; codeLenInByte = 0
; NumSgprs: 4
; NumVgprs: 0
; NumAgprs: 0
; TotalNumVgprs: 0
; ScratchSize: 0
; MemoryBound: 0
; FloatMode: 240
; IeeeMode: 1
; LDSByteSize: 0 bytes/workgroup (compile time only)
; SGPRBlocks: 0
; VGPRBlocks: 0
; NumSGPRsForWavesPerEU: 4
; NumVGPRsForWavesPerEU: 1
; AccumOffset: 4
; Occupancy: 8
; WaveLimiterHint : 0
; COMPUTE_PGM_RSRC2:SCRATCH_EN: 0
; COMPUTE_PGM_RSRC2:USER_SGPR: 6
; COMPUTE_PGM_RSRC2:TRAP_HANDLER: 0
; COMPUTE_PGM_RSRC2:TGID_X_EN: 1
; COMPUTE_PGM_RSRC2:TGID_Y_EN: 0
; COMPUTE_PGM_RSRC2:TGID_Z_EN: 0
; COMPUTE_PGM_RSRC2:TIDIG_COMP_CNT: 0
; COMPUTE_PGM_RSRC3_GFX90A:ACCUM_OFFSET: 0
; COMPUTE_PGM_RSRC3_GFX90A:TG_SPLIT: 0
	.section	.text._ZN7rocprim17ROCPRIM_400000_NS6detail17trampoline_kernelINS0_14default_configENS1_20scan_config_selectorIsEEZZNS1_9scan_implILNS1_25lookback_scan_determinismE0ELb0ELb0ES3_N6thrust23THRUST_200600_302600_NS6detail15normal_iteratorINS9_10device_ptrIsEEEESE_s11max_functorIsEsEEDaPvRmT3_T4_T5_mT6_P12ihipStream_tbENKUlT_T0_E_clISt17integral_constantIbLb0EESU_EEDaSP_SQ_EUlSP_E_NS1_11comp_targetILNS1_3genE9ELNS1_11target_archE1100ELNS1_3gpuE3ELNS1_3repE0EEENS1_30default_config_static_selectorELNS0_4arch9wavefront6targetE1EEEvT1_,"axG",@progbits,_ZN7rocprim17ROCPRIM_400000_NS6detail17trampoline_kernelINS0_14default_configENS1_20scan_config_selectorIsEEZZNS1_9scan_implILNS1_25lookback_scan_determinismE0ELb0ELb0ES3_N6thrust23THRUST_200600_302600_NS6detail15normal_iteratorINS9_10device_ptrIsEEEESE_s11max_functorIsEsEEDaPvRmT3_T4_T5_mT6_P12ihipStream_tbENKUlT_T0_E_clISt17integral_constantIbLb0EESU_EEDaSP_SQ_EUlSP_E_NS1_11comp_targetILNS1_3genE9ELNS1_11target_archE1100ELNS1_3gpuE3ELNS1_3repE0EEENS1_30default_config_static_selectorELNS0_4arch9wavefront6targetE1EEEvT1_,comdat
	.protected	_ZN7rocprim17ROCPRIM_400000_NS6detail17trampoline_kernelINS0_14default_configENS1_20scan_config_selectorIsEEZZNS1_9scan_implILNS1_25lookback_scan_determinismE0ELb0ELb0ES3_N6thrust23THRUST_200600_302600_NS6detail15normal_iteratorINS9_10device_ptrIsEEEESE_s11max_functorIsEsEEDaPvRmT3_T4_T5_mT6_P12ihipStream_tbENKUlT_T0_E_clISt17integral_constantIbLb0EESU_EEDaSP_SQ_EUlSP_E_NS1_11comp_targetILNS1_3genE9ELNS1_11target_archE1100ELNS1_3gpuE3ELNS1_3repE0EEENS1_30default_config_static_selectorELNS0_4arch9wavefront6targetE1EEEvT1_ ; -- Begin function _ZN7rocprim17ROCPRIM_400000_NS6detail17trampoline_kernelINS0_14default_configENS1_20scan_config_selectorIsEEZZNS1_9scan_implILNS1_25lookback_scan_determinismE0ELb0ELb0ES3_N6thrust23THRUST_200600_302600_NS6detail15normal_iteratorINS9_10device_ptrIsEEEESE_s11max_functorIsEsEEDaPvRmT3_T4_T5_mT6_P12ihipStream_tbENKUlT_T0_E_clISt17integral_constantIbLb0EESU_EEDaSP_SQ_EUlSP_E_NS1_11comp_targetILNS1_3genE9ELNS1_11target_archE1100ELNS1_3gpuE3ELNS1_3repE0EEENS1_30default_config_static_selectorELNS0_4arch9wavefront6targetE1EEEvT1_
	.globl	_ZN7rocprim17ROCPRIM_400000_NS6detail17trampoline_kernelINS0_14default_configENS1_20scan_config_selectorIsEEZZNS1_9scan_implILNS1_25lookback_scan_determinismE0ELb0ELb0ES3_N6thrust23THRUST_200600_302600_NS6detail15normal_iteratorINS9_10device_ptrIsEEEESE_s11max_functorIsEsEEDaPvRmT3_T4_T5_mT6_P12ihipStream_tbENKUlT_T0_E_clISt17integral_constantIbLb0EESU_EEDaSP_SQ_EUlSP_E_NS1_11comp_targetILNS1_3genE9ELNS1_11target_archE1100ELNS1_3gpuE3ELNS1_3repE0EEENS1_30default_config_static_selectorELNS0_4arch9wavefront6targetE1EEEvT1_
	.p2align	8
	.type	_ZN7rocprim17ROCPRIM_400000_NS6detail17trampoline_kernelINS0_14default_configENS1_20scan_config_selectorIsEEZZNS1_9scan_implILNS1_25lookback_scan_determinismE0ELb0ELb0ES3_N6thrust23THRUST_200600_302600_NS6detail15normal_iteratorINS9_10device_ptrIsEEEESE_s11max_functorIsEsEEDaPvRmT3_T4_T5_mT6_P12ihipStream_tbENKUlT_T0_E_clISt17integral_constantIbLb0EESU_EEDaSP_SQ_EUlSP_E_NS1_11comp_targetILNS1_3genE9ELNS1_11target_archE1100ELNS1_3gpuE3ELNS1_3repE0EEENS1_30default_config_static_selectorELNS0_4arch9wavefront6targetE1EEEvT1_,@function
_ZN7rocprim17ROCPRIM_400000_NS6detail17trampoline_kernelINS0_14default_configENS1_20scan_config_selectorIsEEZZNS1_9scan_implILNS1_25lookback_scan_determinismE0ELb0ELb0ES3_N6thrust23THRUST_200600_302600_NS6detail15normal_iteratorINS9_10device_ptrIsEEEESE_s11max_functorIsEsEEDaPvRmT3_T4_T5_mT6_P12ihipStream_tbENKUlT_T0_E_clISt17integral_constantIbLb0EESU_EEDaSP_SQ_EUlSP_E_NS1_11comp_targetILNS1_3genE9ELNS1_11target_archE1100ELNS1_3gpuE3ELNS1_3repE0EEENS1_30default_config_static_selectorELNS0_4arch9wavefront6targetE1EEEvT1_: ; @_ZN7rocprim17ROCPRIM_400000_NS6detail17trampoline_kernelINS0_14default_configENS1_20scan_config_selectorIsEEZZNS1_9scan_implILNS1_25lookback_scan_determinismE0ELb0ELb0ES3_N6thrust23THRUST_200600_302600_NS6detail15normal_iteratorINS9_10device_ptrIsEEEESE_s11max_functorIsEsEEDaPvRmT3_T4_T5_mT6_P12ihipStream_tbENKUlT_T0_E_clISt17integral_constantIbLb0EESU_EEDaSP_SQ_EUlSP_E_NS1_11comp_targetILNS1_3genE9ELNS1_11target_archE1100ELNS1_3gpuE3ELNS1_3repE0EEENS1_30default_config_static_selectorELNS0_4arch9wavefront6targetE1EEEvT1_
; %bb.0:
	.section	.rodata,"a",@progbits
	.p2align	6, 0x0
	.amdhsa_kernel _ZN7rocprim17ROCPRIM_400000_NS6detail17trampoline_kernelINS0_14default_configENS1_20scan_config_selectorIsEEZZNS1_9scan_implILNS1_25lookback_scan_determinismE0ELb0ELb0ES3_N6thrust23THRUST_200600_302600_NS6detail15normal_iteratorINS9_10device_ptrIsEEEESE_s11max_functorIsEsEEDaPvRmT3_T4_T5_mT6_P12ihipStream_tbENKUlT_T0_E_clISt17integral_constantIbLb0EESU_EEDaSP_SQ_EUlSP_E_NS1_11comp_targetILNS1_3genE9ELNS1_11target_archE1100ELNS1_3gpuE3ELNS1_3repE0EEENS1_30default_config_static_selectorELNS0_4arch9wavefront6targetE1EEEvT1_
		.amdhsa_group_segment_fixed_size 0
		.amdhsa_private_segment_fixed_size 0
		.amdhsa_kernarg_size 96
		.amdhsa_user_sgpr_count 6
		.amdhsa_user_sgpr_private_segment_buffer 1
		.amdhsa_user_sgpr_dispatch_ptr 0
		.amdhsa_user_sgpr_queue_ptr 0
		.amdhsa_user_sgpr_kernarg_segment_ptr 1
		.amdhsa_user_sgpr_dispatch_id 0
		.amdhsa_user_sgpr_flat_scratch_init 0
		.amdhsa_user_sgpr_kernarg_preload_length 0
		.amdhsa_user_sgpr_kernarg_preload_offset 0
		.amdhsa_user_sgpr_private_segment_size 0
		.amdhsa_uses_dynamic_stack 0
		.amdhsa_system_sgpr_private_segment_wavefront_offset 0
		.amdhsa_system_sgpr_workgroup_id_x 1
		.amdhsa_system_sgpr_workgroup_id_y 0
		.amdhsa_system_sgpr_workgroup_id_z 0
		.amdhsa_system_sgpr_workgroup_info 0
		.amdhsa_system_vgpr_workitem_id 0
		.amdhsa_next_free_vgpr 1
		.amdhsa_next_free_sgpr 0
		.amdhsa_accum_offset 4
		.amdhsa_reserve_vcc 0
		.amdhsa_reserve_flat_scratch 0
		.amdhsa_float_round_mode_32 0
		.amdhsa_float_round_mode_16_64 0
		.amdhsa_float_denorm_mode_32 3
		.amdhsa_float_denorm_mode_16_64 3
		.amdhsa_dx10_clamp 1
		.amdhsa_ieee_mode 1
		.amdhsa_fp16_overflow 0
		.amdhsa_tg_split 0
		.amdhsa_exception_fp_ieee_invalid_op 0
		.amdhsa_exception_fp_denorm_src 0
		.amdhsa_exception_fp_ieee_div_zero 0
		.amdhsa_exception_fp_ieee_overflow 0
		.amdhsa_exception_fp_ieee_underflow 0
		.amdhsa_exception_fp_ieee_inexact 0
		.amdhsa_exception_int_div_zero 0
	.end_amdhsa_kernel
	.section	.text._ZN7rocprim17ROCPRIM_400000_NS6detail17trampoline_kernelINS0_14default_configENS1_20scan_config_selectorIsEEZZNS1_9scan_implILNS1_25lookback_scan_determinismE0ELb0ELb0ES3_N6thrust23THRUST_200600_302600_NS6detail15normal_iteratorINS9_10device_ptrIsEEEESE_s11max_functorIsEsEEDaPvRmT3_T4_T5_mT6_P12ihipStream_tbENKUlT_T0_E_clISt17integral_constantIbLb0EESU_EEDaSP_SQ_EUlSP_E_NS1_11comp_targetILNS1_3genE9ELNS1_11target_archE1100ELNS1_3gpuE3ELNS1_3repE0EEENS1_30default_config_static_selectorELNS0_4arch9wavefront6targetE1EEEvT1_,"axG",@progbits,_ZN7rocprim17ROCPRIM_400000_NS6detail17trampoline_kernelINS0_14default_configENS1_20scan_config_selectorIsEEZZNS1_9scan_implILNS1_25lookback_scan_determinismE0ELb0ELb0ES3_N6thrust23THRUST_200600_302600_NS6detail15normal_iteratorINS9_10device_ptrIsEEEESE_s11max_functorIsEsEEDaPvRmT3_T4_T5_mT6_P12ihipStream_tbENKUlT_T0_E_clISt17integral_constantIbLb0EESU_EEDaSP_SQ_EUlSP_E_NS1_11comp_targetILNS1_3genE9ELNS1_11target_archE1100ELNS1_3gpuE3ELNS1_3repE0EEENS1_30default_config_static_selectorELNS0_4arch9wavefront6targetE1EEEvT1_,comdat
.Lfunc_end2853:
	.size	_ZN7rocprim17ROCPRIM_400000_NS6detail17trampoline_kernelINS0_14default_configENS1_20scan_config_selectorIsEEZZNS1_9scan_implILNS1_25lookback_scan_determinismE0ELb0ELb0ES3_N6thrust23THRUST_200600_302600_NS6detail15normal_iteratorINS9_10device_ptrIsEEEESE_s11max_functorIsEsEEDaPvRmT3_T4_T5_mT6_P12ihipStream_tbENKUlT_T0_E_clISt17integral_constantIbLb0EESU_EEDaSP_SQ_EUlSP_E_NS1_11comp_targetILNS1_3genE9ELNS1_11target_archE1100ELNS1_3gpuE3ELNS1_3repE0EEENS1_30default_config_static_selectorELNS0_4arch9wavefront6targetE1EEEvT1_, .Lfunc_end2853-_ZN7rocprim17ROCPRIM_400000_NS6detail17trampoline_kernelINS0_14default_configENS1_20scan_config_selectorIsEEZZNS1_9scan_implILNS1_25lookback_scan_determinismE0ELb0ELb0ES3_N6thrust23THRUST_200600_302600_NS6detail15normal_iteratorINS9_10device_ptrIsEEEESE_s11max_functorIsEsEEDaPvRmT3_T4_T5_mT6_P12ihipStream_tbENKUlT_T0_E_clISt17integral_constantIbLb0EESU_EEDaSP_SQ_EUlSP_E_NS1_11comp_targetILNS1_3genE9ELNS1_11target_archE1100ELNS1_3gpuE3ELNS1_3repE0EEENS1_30default_config_static_selectorELNS0_4arch9wavefront6targetE1EEEvT1_
                                        ; -- End function
	.section	.AMDGPU.csdata,"",@progbits
; Kernel info:
; codeLenInByte = 0
; NumSgprs: 4
; NumVgprs: 0
; NumAgprs: 0
; TotalNumVgprs: 0
; ScratchSize: 0
; MemoryBound: 0
; FloatMode: 240
; IeeeMode: 1
; LDSByteSize: 0 bytes/workgroup (compile time only)
; SGPRBlocks: 0
; VGPRBlocks: 0
; NumSGPRsForWavesPerEU: 4
; NumVGPRsForWavesPerEU: 1
; AccumOffset: 4
; Occupancy: 8
; WaveLimiterHint : 0
; COMPUTE_PGM_RSRC2:SCRATCH_EN: 0
; COMPUTE_PGM_RSRC2:USER_SGPR: 6
; COMPUTE_PGM_RSRC2:TRAP_HANDLER: 0
; COMPUTE_PGM_RSRC2:TGID_X_EN: 1
; COMPUTE_PGM_RSRC2:TGID_Y_EN: 0
; COMPUTE_PGM_RSRC2:TGID_Z_EN: 0
; COMPUTE_PGM_RSRC2:TIDIG_COMP_CNT: 0
; COMPUTE_PGM_RSRC3_GFX90A:ACCUM_OFFSET: 0
; COMPUTE_PGM_RSRC3_GFX90A:TG_SPLIT: 0
	.section	.text._ZN7rocprim17ROCPRIM_400000_NS6detail17trampoline_kernelINS0_14default_configENS1_20scan_config_selectorIsEEZZNS1_9scan_implILNS1_25lookback_scan_determinismE0ELb0ELb0ES3_N6thrust23THRUST_200600_302600_NS6detail15normal_iteratorINS9_10device_ptrIsEEEESE_s11max_functorIsEsEEDaPvRmT3_T4_T5_mT6_P12ihipStream_tbENKUlT_T0_E_clISt17integral_constantIbLb0EESU_EEDaSP_SQ_EUlSP_E_NS1_11comp_targetILNS1_3genE8ELNS1_11target_archE1030ELNS1_3gpuE2ELNS1_3repE0EEENS1_30default_config_static_selectorELNS0_4arch9wavefront6targetE1EEEvT1_,"axG",@progbits,_ZN7rocprim17ROCPRIM_400000_NS6detail17trampoline_kernelINS0_14default_configENS1_20scan_config_selectorIsEEZZNS1_9scan_implILNS1_25lookback_scan_determinismE0ELb0ELb0ES3_N6thrust23THRUST_200600_302600_NS6detail15normal_iteratorINS9_10device_ptrIsEEEESE_s11max_functorIsEsEEDaPvRmT3_T4_T5_mT6_P12ihipStream_tbENKUlT_T0_E_clISt17integral_constantIbLb0EESU_EEDaSP_SQ_EUlSP_E_NS1_11comp_targetILNS1_3genE8ELNS1_11target_archE1030ELNS1_3gpuE2ELNS1_3repE0EEENS1_30default_config_static_selectorELNS0_4arch9wavefront6targetE1EEEvT1_,comdat
	.protected	_ZN7rocprim17ROCPRIM_400000_NS6detail17trampoline_kernelINS0_14default_configENS1_20scan_config_selectorIsEEZZNS1_9scan_implILNS1_25lookback_scan_determinismE0ELb0ELb0ES3_N6thrust23THRUST_200600_302600_NS6detail15normal_iteratorINS9_10device_ptrIsEEEESE_s11max_functorIsEsEEDaPvRmT3_T4_T5_mT6_P12ihipStream_tbENKUlT_T0_E_clISt17integral_constantIbLb0EESU_EEDaSP_SQ_EUlSP_E_NS1_11comp_targetILNS1_3genE8ELNS1_11target_archE1030ELNS1_3gpuE2ELNS1_3repE0EEENS1_30default_config_static_selectorELNS0_4arch9wavefront6targetE1EEEvT1_ ; -- Begin function _ZN7rocprim17ROCPRIM_400000_NS6detail17trampoline_kernelINS0_14default_configENS1_20scan_config_selectorIsEEZZNS1_9scan_implILNS1_25lookback_scan_determinismE0ELb0ELb0ES3_N6thrust23THRUST_200600_302600_NS6detail15normal_iteratorINS9_10device_ptrIsEEEESE_s11max_functorIsEsEEDaPvRmT3_T4_T5_mT6_P12ihipStream_tbENKUlT_T0_E_clISt17integral_constantIbLb0EESU_EEDaSP_SQ_EUlSP_E_NS1_11comp_targetILNS1_3genE8ELNS1_11target_archE1030ELNS1_3gpuE2ELNS1_3repE0EEENS1_30default_config_static_selectorELNS0_4arch9wavefront6targetE1EEEvT1_
	.globl	_ZN7rocprim17ROCPRIM_400000_NS6detail17trampoline_kernelINS0_14default_configENS1_20scan_config_selectorIsEEZZNS1_9scan_implILNS1_25lookback_scan_determinismE0ELb0ELb0ES3_N6thrust23THRUST_200600_302600_NS6detail15normal_iteratorINS9_10device_ptrIsEEEESE_s11max_functorIsEsEEDaPvRmT3_T4_T5_mT6_P12ihipStream_tbENKUlT_T0_E_clISt17integral_constantIbLb0EESU_EEDaSP_SQ_EUlSP_E_NS1_11comp_targetILNS1_3genE8ELNS1_11target_archE1030ELNS1_3gpuE2ELNS1_3repE0EEENS1_30default_config_static_selectorELNS0_4arch9wavefront6targetE1EEEvT1_
	.p2align	8
	.type	_ZN7rocprim17ROCPRIM_400000_NS6detail17trampoline_kernelINS0_14default_configENS1_20scan_config_selectorIsEEZZNS1_9scan_implILNS1_25lookback_scan_determinismE0ELb0ELb0ES3_N6thrust23THRUST_200600_302600_NS6detail15normal_iteratorINS9_10device_ptrIsEEEESE_s11max_functorIsEsEEDaPvRmT3_T4_T5_mT6_P12ihipStream_tbENKUlT_T0_E_clISt17integral_constantIbLb0EESU_EEDaSP_SQ_EUlSP_E_NS1_11comp_targetILNS1_3genE8ELNS1_11target_archE1030ELNS1_3gpuE2ELNS1_3repE0EEENS1_30default_config_static_selectorELNS0_4arch9wavefront6targetE1EEEvT1_,@function
_ZN7rocprim17ROCPRIM_400000_NS6detail17trampoline_kernelINS0_14default_configENS1_20scan_config_selectorIsEEZZNS1_9scan_implILNS1_25lookback_scan_determinismE0ELb0ELb0ES3_N6thrust23THRUST_200600_302600_NS6detail15normal_iteratorINS9_10device_ptrIsEEEESE_s11max_functorIsEsEEDaPvRmT3_T4_T5_mT6_P12ihipStream_tbENKUlT_T0_E_clISt17integral_constantIbLb0EESU_EEDaSP_SQ_EUlSP_E_NS1_11comp_targetILNS1_3genE8ELNS1_11target_archE1030ELNS1_3gpuE2ELNS1_3repE0EEENS1_30default_config_static_selectorELNS0_4arch9wavefront6targetE1EEEvT1_: ; @_ZN7rocprim17ROCPRIM_400000_NS6detail17trampoline_kernelINS0_14default_configENS1_20scan_config_selectorIsEEZZNS1_9scan_implILNS1_25lookback_scan_determinismE0ELb0ELb0ES3_N6thrust23THRUST_200600_302600_NS6detail15normal_iteratorINS9_10device_ptrIsEEEESE_s11max_functorIsEsEEDaPvRmT3_T4_T5_mT6_P12ihipStream_tbENKUlT_T0_E_clISt17integral_constantIbLb0EESU_EEDaSP_SQ_EUlSP_E_NS1_11comp_targetILNS1_3genE8ELNS1_11target_archE1030ELNS1_3gpuE2ELNS1_3repE0EEENS1_30default_config_static_selectorELNS0_4arch9wavefront6targetE1EEEvT1_
; %bb.0:
	.section	.rodata,"a",@progbits
	.p2align	6, 0x0
	.amdhsa_kernel _ZN7rocprim17ROCPRIM_400000_NS6detail17trampoline_kernelINS0_14default_configENS1_20scan_config_selectorIsEEZZNS1_9scan_implILNS1_25lookback_scan_determinismE0ELb0ELb0ES3_N6thrust23THRUST_200600_302600_NS6detail15normal_iteratorINS9_10device_ptrIsEEEESE_s11max_functorIsEsEEDaPvRmT3_T4_T5_mT6_P12ihipStream_tbENKUlT_T0_E_clISt17integral_constantIbLb0EESU_EEDaSP_SQ_EUlSP_E_NS1_11comp_targetILNS1_3genE8ELNS1_11target_archE1030ELNS1_3gpuE2ELNS1_3repE0EEENS1_30default_config_static_selectorELNS0_4arch9wavefront6targetE1EEEvT1_
		.amdhsa_group_segment_fixed_size 0
		.amdhsa_private_segment_fixed_size 0
		.amdhsa_kernarg_size 96
		.amdhsa_user_sgpr_count 6
		.amdhsa_user_sgpr_private_segment_buffer 1
		.amdhsa_user_sgpr_dispatch_ptr 0
		.amdhsa_user_sgpr_queue_ptr 0
		.amdhsa_user_sgpr_kernarg_segment_ptr 1
		.amdhsa_user_sgpr_dispatch_id 0
		.amdhsa_user_sgpr_flat_scratch_init 0
		.amdhsa_user_sgpr_kernarg_preload_length 0
		.amdhsa_user_sgpr_kernarg_preload_offset 0
		.amdhsa_user_sgpr_private_segment_size 0
		.amdhsa_uses_dynamic_stack 0
		.amdhsa_system_sgpr_private_segment_wavefront_offset 0
		.amdhsa_system_sgpr_workgroup_id_x 1
		.amdhsa_system_sgpr_workgroup_id_y 0
		.amdhsa_system_sgpr_workgroup_id_z 0
		.amdhsa_system_sgpr_workgroup_info 0
		.amdhsa_system_vgpr_workitem_id 0
		.amdhsa_next_free_vgpr 1
		.amdhsa_next_free_sgpr 0
		.amdhsa_accum_offset 4
		.amdhsa_reserve_vcc 0
		.amdhsa_reserve_flat_scratch 0
		.amdhsa_float_round_mode_32 0
		.amdhsa_float_round_mode_16_64 0
		.amdhsa_float_denorm_mode_32 3
		.amdhsa_float_denorm_mode_16_64 3
		.amdhsa_dx10_clamp 1
		.amdhsa_ieee_mode 1
		.amdhsa_fp16_overflow 0
		.amdhsa_tg_split 0
		.amdhsa_exception_fp_ieee_invalid_op 0
		.amdhsa_exception_fp_denorm_src 0
		.amdhsa_exception_fp_ieee_div_zero 0
		.amdhsa_exception_fp_ieee_overflow 0
		.amdhsa_exception_fp_ieee_underflow 0
		.amdhsa_exception_fp_ieee_inexact 0
		.amdhsa_exception_int_div_zero 0
	.end_amdhsa_kernel
	.section	.text._ZN7rocprim17ROCPRIM_400000_NS6detail17trampoline_kernelINS0_14default_configENS1_20scan_config_selectorIsEEZZNS1_9scan_implILNS1_25lookback_scan_determinismE0ELb0ELb0ES3_N6thrust23THRUST_200600_302600_NS6detail15normal_iteratorINS9_10device_ptrIsEEEESE_s11max_functorIsEsEEDaPvRmT3_T4_T5_mT6_P12ihipStream_tbENKUlT_T0_E_clISt17integral_constantIbLb0EESU_EEDaSP_SQ_EUlSP_E_NS1_11comp_targetILNS1_3genE8ELNS1_11target_archE1030ELNS1_3gpuE2ELNS1_3repE0EEENS1_30default_config_static_selectorELNS0_4arch9wavefront6targetE1EEEvT1_,"axG",@progbits,_ZN7rocprim17ROCPRIM_400000_NS6detail17trampoline_kernelINS0_14default_configENS1_20scan_config_selectorIsEEZZNS1_9scan_implILNS1_25lookback_scan_determinismE0ELb0ELb0ES3_N6thrust23THRUST_200600_302600_NS6detail15normal_iteratorINS9_10device_ptrIsEEEESE_s11max_functorIsEsEEDaPvRmT3_T4_T5_mT6_P12ihipStream_tbENKUlT_T0_E_clISt17integral_constantIbLb0EESU_EEDaSP_SQ_EUlSP_E_NS1_11comp_targetILNS1_3genE8ELNS1_11target_archE1030ELNS1_3gpuE2ELNS1_3repE0EEENS1_30default_config_static_selectorELNS0_4arch9wavefront6targetE1EEEvT1_,comdat
.Lfunc_end2854:
	.size	_ZN7rocprim17ROCPRIM_400000_NS6detail17trampoline_kernelINS0_14default_configENS1_20scan_config_selectorIsEEZZNS1_9scan_implILNS1_25lookback_scan_determinismE0ELb0ELb0ES3_N6thrust23THRUST_200600_302600_NS6detail15normal_iteratorINS9_10device_ptrIsEEEESE_s11max_functorIsEsEEDaPvRmT3_T4_T5_mT6_P12ihipStream_tbENKUlT_T0_E_clISt17integral_constantIbLb0EESU_EEDaSP_SQ_EUlSP_E_NS1_11comp_targetILNS1_3genE8ELNS1_11target_archE1030ELNS1_3gpuE2ELNS1_3repE0EEENS1_30default_config_static_selectorELNS0_4arch9wavefront6targetE1EEEvT1_, .Lfunc_end2854-_ZN7rocprim17ROCPRIM_400000_NS6detail17trampoline_kernelINS0_14default_configENS1_20scan_config_selectorIsEEZZNS1_9scan_implILNS1_25lookback_scan_determinismE0ELb0ELb0ES3_N6thrust23THRUST_200600_302600_NS6detail15normal_iteratorINS9_10device_ptrIsEEEESE_s11max_functorIsEsEEDaPvRmT3_T4_T5_mT6_P12ihipStream_tbENKUlT_T0_E_clISt17integral_constantIbLb0EESU_EEDaSP_SQ_EUlSP_E_NS1_11comp_targetILNS1_3genE8ELNS1_11target_archE1030ELNS1_3gpuE2ELNS1_3repE0EEENS1_30default_config_static_selectorELNS0_4arch9wavefront6targetE1EEEvT1_
                                        ; -- End function
	.section	.AMDGPU.csdata,"",@progbits
; Kernel info:
; codeLenInByte = 0
; NumSgprs: 4
; NumVgprs: 0
; NumAgprs: 0
; TotalNumVgprs: 0
; ScratchSize: 0
; MemoryBound: 0
; FloatMode: 240
; IeeeMode: 1
; LDSByteSize: 0 bytes/workgroup (compile time only)
; SGPRBlocks: 0
; VGPRBlocks: 0
; NumSGPRsForWavesPerEU: 4
; NumVGPRsForWavesPerEU: 1
; AccumOffset: 4
; Occupancy: 8
; WaveLimiterHint : 0
; COMPUTE_PGM_RSRC2:SCRATCH_EN: 0
; COMPUTE_PGM_RSRC2:USER_SGPR: 6
; COMPUTE_PGM_RSRC2:TRAP_HANDLER: 0
; COMPUTE_PGM_RSRC2:TGID_X_EN: 1
; COMPUTE_PGM_RSRC2:TGID_Y_EN: 0
; COMPUTE_PGM_RSRC2:TGID_Z_EN: 0
; COMPUTE_PGM_RSRC2:TIDIG_COMP_CNT: 0
; COMPUTE_PGM_RSRC3_GFX90A:ACCUM_OFFSET: 0
; COMPUTE_PGM_RSRC3_GFX90A:TG_SPLIT: 0
	.section	.text._ZN7rocprim17ROCPRIM_400000_NS6detail17trampoline_kernelINS0_14default_configENS1_20scan_config_selectorIsEEZZNS1_9scan_implILNS1_25lookback_scan_determinismE0ELb0ELb0ES3_N6thrust23THRUST_200600_302600_NS6detail15normal_iteratorINS9_10device_ptrIsEEEESE_s11max_functorIsEsEEDaPvRmT3_T4_T5_mT6_P12ihipStream_tbENKUlT_T0_E_clISt17integral_constantIbLb0EESU_EEDaSP_SQ_EUlSP_E0_NS1_11comp_targetILNS1_3genE0ELNS1_11target_archE4294967295ELNS1_3gpuE0ELNS1_3repE0EEENS1_30default_config_static_selectorELNS0_4arch9wavefront6targetE1EEEvT1_,"axG",@progbits,_ZN7rocprim17ROCPRIM_400000_NS6detail17trampoline_kernelINS0_14default_configENS1_20scan_config_selectorIsEEZZNS1_9scan_implILNS1_25lookback_scan_determinismE0ELb0ELb0ES3_N6thrust23THRUST_200600_302600_NS6detail15normal_iteratorINS9_10device_ptrIsEEEESE_s11max_functorIsEsEEDaPvRmT3_T4_T5_mT6_P12ihipStream_tbENKUlT_T0_E_clISt17integral_constantIbLb0EESU_EEDaSP_SQ_EUlSP_E0_NS1_11comp_targetILNS1_3genE0ELNS1_11target_archE4294967295ELNS1_3gpuE0ELNS1_3repE0EEENS1_30default_config_static_selectorELNS0_4arch9wavefront6targetE1EEEvT1_,comdat
	.protected	_ZN7rocprim17ROCPRIM_400000_NS6detail17trampoline_kernelINS0_14default_configENS1_20scan_config_selectorIsEEZZNS1_9scan_implILNS1_25lookback_scan_determinismE0ELb0ELb0ES3_N6thrust23THRUST_200600_302600_NS6detail15normal_iteratorINS9_10device_ptrIsEEEESE_s11max_functorIsEsEEDaPvRmT3_T4_T5_mT6_P12ihipStream_tbENKUlT_T0_E_clISt17integral_constantIbLb0EESU_EEDaSP_SQ_EUlSP_E0_NS1_11comp_targetILNS1_3genE0ELNS1_11target_archE4294967295ELNS1_3gpuE0ELNS1_3repE0EEENS1_30default_config_static_selectorELNS0_4arch9wavefront6targetE1EEEvT1_ ; -- Begin function _ZN7rocprim17ROCPRIM_400000_NS6detail17trampoline_kernelINS0_14default_configENS1_20scan_config_selectorIsEEZZNS1_9scan_implILNS1_25lookback_scan_determinismE0ELb0ELb0ES3_N6thrust23THRUST_200600_302600_NS6detail15normal_iteratorINS9_10device_ptrIsEEEESE_s11max_functorIsEsEEDaPvRmT3_T4_T5_mT6_P12ihipStream_tbENKUlT_T0_E_clISt17integral_constantIbLb0EESU_EEDaSP_SQ_EUlSP_E0_NS1_11comp_targetILNS1_3genE0ELNS1_11target_archE4294967295ELNS1_3gpuE0ELNS1_3repE0EEENS1_30default_config_static_selectorELNS0_4arch9wavefront6targetE1EEEvT1_
	.globl	_ZN7rocprim17ROCPRIM_400000_NS6detail17trampoline_kernelINS0_14default_configENS1_20scan_config_selectorIsEEZZNS1_9scan_implILNS1_25lookback_scan_determinismE0ELb0ELb0ES3_N6thrust23THRUST_200600_302600_NS6detail15normal_iteratorINS9_10device_ptrIsEEEESE_s11max_functorIsEsEEDaPvRmT3_T4_T5_mT6_P12ihipStream_tbENKUlT_T0_E_clISt17integral_constantIbLb0EESU_EEDaSP_SQ_EUlSP_E0_NS1_11comp_targetILNS1_3genE0ELNS1_11target_archE4294967295ELNS1_3gpuE0ELNS1_3repE0EEENS1_30default_config_static_selectorELNS0_4arch9wavefront6targetE1EEEvT1_
	.p2align	8
	.type	_ZN7rocprim17ROCPRIM_400000_NS6detail17trampoline_kernelINS0_14default_configENS1_20scan_config_selectorIsEEZZNS1_9scan_implILNS1_25lookback_scan_determinismE0ELb0ELb0ES3_N6thrust23THRUST_200600_302600_NS6detail15normal_iteratorINS9_10device_ptrIsEEEESE_s11max_functorIsEsEEDaPvRmT3_T4_T5_mT6_P12ihipStream_tbENKUlT_T0_E_clISt17integral_constantIbLb0EESU_EEDaSP_SQ_EUlSP_E0_NS1_11comp_targetILNS1_3genE0ELNS1_11target_archE4294967295ELNS1_3gpuE0ELNS1_3repE0EEENS1_30default_config_static_selectorELNS0_4arch9wavefront6targetE1EEEvT1_,@function
_ZN7rocprim17ROCPRIM_400000_NS6detail17trampoline_kernelINS0_14default_configENS1_20scan_config_selectorIsEEZZNS1_9scan_implILNS1_25lookback_scan_determinismE0ELb0ELb0ES3_N6thrust23THRUST_200600_302600_NS6detail15normal_iteratorINS9_10device_ptrIsEEEESE_s11max_functorIsEsEEDaPvRmT3_T4_T5_mT6_P12ihipStream_tbENKUlT_T0_E_clISt17integral_constantIbLb0EESU_EEDaSP_SQ_EUlSP_E0_NS1_11comp_targetILNS1_3genE0ELNS1_11target_archE4294967295ELNS1_3gpuE0ELNS1_3repE0EEENS1_30default_config_static_selectorELNS0_4arch9wavefront6targetE1EEEvT1_: ; @_ZN7rocprim17ROCPRIM_400000_NS6detail17trampoline_kernelINS0_14default_configENS1_20scan_config_selectorIsEEZZNS1_9scan_implILNS1_25lookback_scan_determinismE0ELb0ELb0ES3_N6thrust23THRUST_200600_302600_NS6detail15normal_iteratorINS9_10device_ptrIsEEEESE_s11max_functorIsEsEEDaPvRmT3_T4_T5_mT6_P12ihipStream_tbENKUlT_T0_E_clISt17integral_constantIbLb0EESU_EEDaSP_SQ_EUlSP_E0_NS1_11comp_targetILNS1_3genE0ELNS1_11target_archE4294967295ELNS1_3gpuE0ELNS1_3repE0EEENS1_30default_config_static_selectorELNS0_4arch9wavefront6targetE1EEEvT1_
; %bb.0:
	.section	.rodata,"a",@progbits
	.p2align	6, 0x0
	.amdhsa_kernel _ZN7rocprim17ROCPRIM_400000_NS6detail17trampoline_kernelINS0_14default_configENS1_20scan_config_selectorIsEEZZNS1_9scan_implILNS1_25lookback_scan_determinismE0ELb0ELb0ES3_N6thrust23THRUST_200600_302600_NS6detail15normal_iteratorINS9_10device_ptrIsEEEESE_s11max_functorIsEsEEDaPvRmT3_T4_T5_mT6_P12ihipStream_tbENKUlT_T0_E_clISt17integral_constantIbLb0EESU_EEDaSP_SQ_EUlSP_E0_NS1_11comp_targetILNS1_3genE0ELNS1_11target_archE4294967295ELNS1_3gpuE0ELNS1_3repE0EEENS1_30default_config_static_selectorELNS0_4arch9wavefront6targetE1EEEvT1_
		.amdhsa_group_segment_fixed_size 0
		.amdhsa_private_segment_fixed_size 0
		.amdhsa_kernarg_size 32
		.amdhsa_user_sgpr_count 6
		.amdhsa_user_sgpr_private_segment_buffer 1
		.amdhsa_user_sgpr_dispatch_ptr 0
		.amdhsa_user_sgpr_queue_ptr 0
		.amdhsa_user_sgpr_kernarg_segment_ptr 1
		.amdhsa_user_sgpr_dispatch_id 0
		.amdhsa_user_sgpr_flat_scratch_init 0
		.amdhsa_user_sgpr_kernarg_preload_length 0
		.amdhsa_user_sgpr_kernarg_preload_offset 0
		.amdhsa_user_sgpr_private_segment_size 0
		.amdhsa_uses_dynamic_stack 0
		.amdhsa_system_sgpr_private_segment_wavefront_offset 0
		.amdhsa_system_sgpr_workgroup_id_x 1
		.amdhsa_system_sgpr_workgroup_id_y 0
		.amdhsa_system_sgpr_workgroup_id_z 0
		.amdhsa_system_sgpr_workgroup_info 0
		.amdhsa_system_vgpr_workitem_id 0
		.amdhsa_next_free_vgpr 1
		.amdhsa_next_free_sgpr 0
		.amdhsa_accum_offset 4
		.amdhsa_reserve_vcc 0
		.amdhsa_reserve_flat_scratch 0
		.amdhsa_float_round_mode_32 0
		.amdhsa_float_round_mode_16_64 0
		.amdhsa_float_denorm_mode_32 3
		.amdhsa_float_denorm_mode_16_64 3
		.amdhsa_dx10_clamp 1
		.amdhsa_ieee_mode 1
		.amdhsa_fp16_overflow 0
		.amdhsa_tg_split 0
		.amdhsa_exception_fp_ieee_invalid_op 0
		.amdhsa_exception_fp_denorm_src 0
		.amdhsa_exception_fp_ieee_div_zero 0
		.amdhsa_exception_fp_ieee_overflow 0
		.amdhsa_exception_fp_ieee_underflow 0
		.amdhsa_exception_fp_ieee_inexact 0
		.amdhsa_exception_int_div_zero 0
	.end_amdhsa_kernel
	.section	.text._ZN7rocprim17ROCPRIM_400000_NS6detail17trampoline_kernelINS0_14default_configENS1_20scan_config_selectorIsEEZZNS1_9scan_implILNS1_25lookback_scan_determinismE0ELb0ELb0ES3_N6thrust23THRUST_200600_302600_NS6detail15normal_iteratorINS9_10device_ptrIsEEEESE_s11max_functorIsEsEEDaPvRmT3_T4_T5_mT6_P12ihipStream_tbENKUlT_T0_E_clISt17integral_constantIbLb0EESU_EEDaSP_SQ_EUlSP_E0_NS1_11comp_targetILNS1_3genE0ELNS1_11target_archE4294967295ELNS1_3gpuE0ELNS1_3repE0EEENS1_30default_config_static_selectorELNS0_4arch9wavefront6targetE1EEEvT1_,"axG",@progbits,_ZN7rocprim17ROCPRIM_400000_NS6detail17trampoline_kernelINS0_14default_configENS1_20scan_config_selectorIsEEZZNS1_9scan_implILNS1_25lookback_scan_determinismE0ELb0ELb0ES3_N6thrust23THRUST_200600_302600_NS6detail15normal_iteratorINS9_10device_ptrIsEEEESE_s11max_functorIsEsEEDaPvRmT3_T4_T5_mT6_P12ihipStream_tbENKUlT_T0_E_clISt17integral_constantIbLb0EESU_EEDaSP_SQ_EUlSP_E0_NS1_11comp_targetILNS1_3genE0ELNS1_11target_archE4294967295ELNS1_3gpuE0ELNS1_3repE0EEENS1_30default_config_static_selectorELNS0_4arch9wavefront6targetE1EEEvT1_,comdat
.Lfunc_end2855:
	.size	_ZN7rocprim17ROCPRIM_400000_NS6detail17trampoline_kernelINS0_14default_configENS1_20scan_config_selectorIsEEZZNS1_9scan_implILNS1_25lookback_scan_determinismE0ELb0ELb0ES3_N6thrust23THRUST_200600_302600_NS6detail15normal_iteratorINS9_10device_ptrIsEEEESE_s11max_functorIsEsEEDaPvRmT3_T4_T5_mT6_P12ihipStream_tbENKUlT_T0_E_clISt17integral_constantIbLb0EESU_EEDaSP_SQ_EUlSP_E0_NS1_11comp_targetILNS1_3genE0ELNS1_11target_archE4294967295ELNS1_3gpuE0ELNS1_3repE0EEENS1_30default_config_static_selectorELNS0_4arch9wavefront6targetE1EEEvT1_, .Lfunc_end2855-_ZN7rocprim17ROCPRIM_400000_NS6detail17trampoline_kernelINS0_14default_configENS1_20scan_config_selectorIsEEZZNS1_9scan_implILNS1_25lookback_scan_determinismE0ELb0ELb0ES3_N6thrust23THRUST_200600_302600_NS6detail15normal_iteratorINS9_10device_ptrIsEEEESE_s11max_functorIsEsEEDaPvRmT3_T4_T5_mT6_P12ihipStream_tbENKUlT_T0_E_clISt17integral_constantIbLb0EESU_EEDaSP_SQ_EUlSP_E0_NS1_11comp_targetILNS1_3genE0ELNS1_11target_archE4294967295ELNS1_3gpuE0ELNS1_3repE0EEENS1_30default_config_static_selectorELNS0_4arch9wavefront6targetE1EEEvT1_
                                        ; -- End function
	.section	.AMDGPU.csdata,"",@progbits
; Kernel info:
; codeLenInByte = 0
; NumSgprs: 4
; NumVgprs: 0
; NumAgprs: 0
; TotalNumVgprs: 0
; ScratchSize: 0
; MemoryBound: 0
; FloatMode: 240
; IeeeMode: 1
; LDSByteSize: 0 bytes/workgroup (compile time only)
; SGPRBlocks: 0
; VGPRBlocks: 0
; NumSGPRsForWavesPerEU: 4
; NumVGPRsForWavesPerEU: 1
; AccumOffset: 4
; Occupancy: 8
; WaveLimiterHint : 0
; COMPUTE_PGM_RSRC2:SCRATCH_EN: 0
; COMPUTE_PGM_RSRC2:USER_SGPR: 6
; COMPUTE_PGM_RSRC2:TRAP_HANDLER: 0
; COMPUTE_PGM_RSRC2:TGID_X_EN: 1
; COMPUTE_PGM_RSRC2:TGID_Y_EN: 0
; COMPUTE_PGM_RSRC2:TGID_Z_EN: 0
; COMPUTE_PGM_RSRC2:TIDIG_COMP_CNT: 0
; COMPUTE_PGM_RSRC3_GFX90A:ACCUM_OFFSET: 0
; COMPUTE_PGM_RSRC3_GFX90A:TG_SPLIT: 0
	.section	.text._ZN7rocprim17ROCPRIM_400000_NS6detail17trampoline_kernelINS0_14default_configENS1_20scan_config_selectorIsEEZZNS1_9scan_implILNS1_25lookback_scan_determinismE0ELb0ELb0ES3_N6thrust23THRUST_200600_302600_NS6detail15normal_iteratorINS9_10device_ptrIsEEEESE_s11max_functorIsEsEEDaPvRmT3_T4_T5_mT6_P12ihipStream_tbENKUlT_T0_E_clISt17integral_constantIbLb0EESU_EEDaSP_SQ_EUlSP_E0_NS1_11comp_targetILNS1_3genE5ELNS1_11target_archE942ELNS1_3gpuE9ELNS1_3repE0EEENS1_30default_config_static_selectorELNS0_4arch9wavefront6targetE1EEEvT1_,"axG",@progbits,_ZN7rocprim17ROCPRIM_400000_NS6detail17trampoline_kernelINS0_14default_configENS1_20scan_config_selectorIsEEZZNS1_9scan_implILNS1_25lookback_scan_determinismE0ELb0ELb0ES3_N6thrust23THRUST_200600_302600_NS6detail15normal_iteratorINS9_10device_ptrIsEEEESE_s11max_functorIsEsEEDaPvRmT3_T4_T5_mT6_P12ihipStream_tbENKUlT_T0_E_clISt17integral_constantIbLb0EESU_EEDaSP_SQ_EUlSP_E0_NS1_11comp_targetILNS1_3genE5ELNS1_11target_archE942ELNS1_3gpuE9ELNS1_3repE0EEENS1_30default_config_static_selectorELNS0_4arch9wavefront6targetE1EEEvT1_,comdat
	.protected	_ZN7rocprim17ROCPRIM_400000_NS6detail17trampoline_kernelINS0_14default_configENS1_20scan_config_selectorIsEEZZNS1_9scan_implILNS1_25lookback_scan_determinismE0ELb0ELb0ES3_N6thrust23THRUST_200600_302600_NS6detail15normal_iteratorINS9_10device_ptrIsEEEESE_s11max_functorIsEsEEDaPvRmT3_T4_T5_mT6_P12ihipStream_tbENKUlT_T0_E_clISt17integral_constantIbLb0EESU_EEDaSP_SQ_EUlSP_E0_NS1_11comp_targetILNS1_3genE5ELNS1_11target_archE942ELNS1_3gpuE9ELNS1_3repE0EEENS1_30default_config_static_selectorELNS0_4arch9wavefront6targetE1EEEvT1_ ; -- Begin function _ZN7rocprim17ROCPRIM_400000_NS6detail17trampoline_kernelINS0_14default_configENS1_20scan_config_selectorIsEEZZNS1_9scan_implILNS1_25lookback_scan_determinismE0ELb0ELb0ES3_N6thrust23THRUST_200600_302600_NS6detail15normal_iteratorINS9_10device_ptrIsEEEESE_s11max_functorIsEsEEDaPvRmT3_T4_T5_mT6_P12ihipStream_tbENKUlT_T0_E_clISt17integral_constantIbLb0EESU_EEDaSP_SQ_EUlSP_E0_NS1_11comp_targetILNS1_3genE5ELNS1_11target_archE942ELNS1_3gpuE9ELNS1_3repE0EEENS1_30default_config_static_selectorELNS0_4arch9wavefront6targetE1EEEvT1_
	.globl	_ZN7rocprim17ROCPRIM_400000_NS6detail17trampoline_kernelINS0_14default_configENS1_20scan_config_selectorIsEEZZNS1_9scan_implILNS1_25lookback_scan_determinismE0ELb0ELb0ES3_N6thrust23THRUST_200600_302600_NS6detail15normal_iteratorINS9_10device_ptrIsEEEESE_s11max_functorIsEsEEDaPvRmT3_T4_T5_mT6_P12ihipStream_tbENKUlT_T0_E_clISt17integral_constantIbLb0EESU_EEDaSP_SQ_EUlSP_E0_NS1_11comp_targetILNS1_3genE5ELNS1_11target_archE942ELNS1_3gpuE9ELNS1_3repE0EEENS1_30default_config_static_selectorELNS0_4arch9wavefront6targetE1EEEvT1_
	.p2align	8
	.type	_ZN7rocprim17ROCPRIM_400000_NS6detail17trampoline_kernelINS0_14default_configENS1_20scan_config_selectorIsEEZZNS1_9scan_implILNS1_25lookback_scan_determinismE0ELb0ELb0ES3_N6thrust23THRUST_200600_302600_NS6detail15normal_iteratorINS9_10device_ptrIsEEEESE_s11max_functorIsEsEEDaPvRmT3_T4_T5_mT6_P12ihipStream_tbENKUlT_T0_E_clISt17integral_constantIbLb0EESU_EEDaSP_SQ_EUlSP_E0_NS1_11comp_targetILNS1_3genE5ELNS1_11target_archE942ELNS1_3gpuE9ELNS1_3repE0EEENS1_30default_config_static_selectorELNS0_4arch9wavefront6targetE1EEEvT1_,@function
_ZN7rocprim17ROCPRIM_400000_NS6detail17trampoline_kernelINS0_14default_configENS1_20scan_config_selectorIsEEZZNS1_9scan_implILNS1_25lookback_scan_determinismE0ELb0ELb0ES3_N6thrust23THRUST_200600_302600_NS6detail15normal_iteratorINS9_10device_ptrIsEEEESE_s11max_functorIsEsEEDaPvRmT3_T4_T5_mT6_P12ihipStream_tbENKUlT_T0_E_clISt17integral_constantIbLb0EESU_EEDaSP_SQ_EUlSP_E0_NS1_11comp_targetILNS1_3genE5ELNS1_11target_archE942ELNS1_3gpuE9ELNS1_3repE0EEENS1_30default_config_static_selectorELNS0_4arch9wavefront6targetE1EEEvT1_: ; @_ZN7rocprim17ROCPRIM_400000_NS6detail17trampoline_kernelINS0_14default_configENS1_20scan_config_selectorIsEEZZNS1_9scan_implILNS1_25lookback_scan_determinismE0ELb0ELb0ES3_N6thrust23THRUST_200600_302600_NS6detail15normal_iteratorINS9_10device_ptrIsEEEESE_s11max_functorIsEsEEDaPvRmT3_T4_T5_mT6_P12ihipStream_tbENKUlT_T0_E_clISt17integral_constantIbLb0EESU_EEDaSP_SQ_EUlSP_E0_NS1_11comp_targetILNS1_3genE5ELNS1_11target_archE942ELNS1_3gpuE9ELNS1_3repE0EEENS1_30default_config_static_selectorELNS0_4arch9wavefront6targetE1EEEvT1_
; %bb.0:
	.section	.rodata,"a",@progbits
	.p2align	6, 0x0
	.amdhsa_kernel _ZN7rocprim17ROCPRIM_400000_NS6detail17trampoline_kernelINS0_14default_configENS1_20scan_config_selectorIsEEZZNS1_9scan_implILNS1_25lookback_scan_determinismE0ELb0ELb0ES3_N6thrust23THRUST_200600_302600_NS6detail15normal_iteratorINS9_10device_ptrIsEEEESE_s11max_functorIsEsEEDaPvRmT3_T4_T5_mT6_P12ihipStream_tbENKUlT_T0_E_clISt17integral_constantIbLb0EESU_EEDaSP_SQ_EUlSP_E0_NS1_11comp_targetILNS1_3genE5ELNS1_11target_archE942ELNS1_3gpuE9ELNS1_3repE0EEENS1_30default_config_static_selectorELNS0_4arch9wavefront6targetE1EEEvT1_
		.amdhsa_group_segment_fixed_size 0
		.amdhsa_private_segment_fixed_size 0
		.amdhsa_kernarg_size 32
		.amdhsa_user_sgpr_count 6
		.amdhsa_user_sgpr_private_segment_buffer 1
		.amdhsa_user_sgpr_dispatch_ptr 0
		.amdhsa_user_sgpr_queue_ptr 0
		.amdhsa_user_sgpr_kernarg_segment_ptr 1
		.amdhsa_user_sgpr_dispatch_id 0
		.amdhsa_user_sgpr_flat_scratch_init 0
		.amdhsa_user_sgpr_kernarg_preload_length 0
		.amdhsa_user_sgpr_kernarg_preload_offset 0
		.amdhsa_user_sgpr_private_segment_size 0
		.amdhsa_uses_dynamic_stack 0
		.amdhsa_system_sgpr_private_segment_wavefront_offset 0
		.amdhsa_system_sgpr_workgroup_id_x 1
		.amdhsa_system_sgpr_workgroup_id_y 0
		.amdhsa_system_sgpr_workgroup_id_z 0
		.amdhsa_system_sgpr_workgroup_info 0
		.amdhsa_system_vgpr_workitem_id 0
		.amdhsa_next_free_vgpr 1
		.amdhsa_next_free_sgpr 0
		.amdhsa_accum_offset 4
		.amdhsa_reserve_vcc 0
		.amdhsa_reserve_flat_scratch 0
		.amdhsa_float_round_mode_32 0
		.amdhsa_float_round_mode_16_64 0
		.amdhsa_float_denorm_mode_32 3
		.amdhsa_float_denorm_mode_16_64 3
		.amdhsa_dx10_clamp 1
		.amdhsa_ieee_mode 1
		.amdhsa_fp16_overflow 0
		.amdhsa_tg_split 0
		.amdhsa_exception_fp_ieee_invalid_op 0
		.amdhsa_exception_fp_denorm_src 0
		.amdhsa_exception_fp_ieee_div_zero 0
		.amdhsa_exception_fp_ieee_overflow 0
		.amdhsa_exception_fp_ieee_underflow 0
		.amdhsa_exception_fp_ieee_inexact 0
		.amdhsa_exception_int_div_zero 0
	.end_amdhsa_kernel
	.section	.text._ZN7rocprim17ROCPRIM_400000_NS6detail17trampoline_kernelINS0_14default_configENS1_20scan_config_selectorIsEEZZNS1_9scan_implILNS1_25lookback_scan_determinismE0ELb0ELb0ES3_N6thrust23THRUST_200600_302600_NS6detail15normal_iteratorINS9_10device_ptrIsEEEESE_s11max_functorIsEsEEDaPvRmT3_T4_T5_mT6_P12ihipStream_tbENKUlT_T0_E_clISt17integral_constantIbLb0EESU_EEDaSP_SQ_EUlSP_E0_NS1_11comp_targetILNS1_3genE5ELNS1_11target_archE942ELNS1_3gpuE9ELNS1_3repE0EEENS1_30default_config_static_selectorELNS0_4arch9wavefront6targetE1EEEvT1_,"axG",@progbits,_ZN7rocprim17ROCPRIM_400000_NS6detail17trampoline_kernelINS0_14default_configENS1_20scan_config_selectorIsEEZZNS1_9scan_implILNS1_25lookback_scan_determinismE0ELb0ELb0ES3_N6thrust23THRUST_200600_302600_NS6detail15normal_iteratorINS9_10device_ptrIsEEEESE_s11max_functorIsEsEEDaPvRmT3_T4_T5_mT6_P12ihipStream_tbENKUlT_T0_E_clISt17integral_constantIbLb0EESU_EEDaSP_SQ_EUlSP_E0_NS1_11comp_targetILNS1_3genE5ELNS1_11target_archE942ELNS1_3gpuE9ELNS1_3repE0EEENS1_30default_config_static_selectorELNS0_4arch9wavefront6targetE1EEEvT1_,comdat
.Lfunc_end2856:
	.size	_ZN7rocprim17ROCPRIM_400000_NS6detail17trampoline_kernelINS0_14default_configENS1_20scan_config_selectorIsEEZZNS1_9scan_implILNS1_25lookback_scan_determinismE0ELb0ELb0ES3_N6thrust23THRUST_200600_302600_NS6detail15normal_iteratorINS9_10device_ptrIsEEEESE_s11max_functorIsEsEEDaPvRmT3_T4_T5_mT6_P12ihipStream_tbENKUlT_T0_E_clISt17integral_constantIbLb0EESU_EEDaSP_SQ_EUlSP_E0_NS1_11comp_targetILNS1_3genE5ELNS1_11target_archE942ELNS1_3gpuE9ELNS1_3repE0EEENS1_30default_config_static_selectorELNS0_4arch9wavefront6targetE1EEEvT1_, .Lfunc_end2856-_ZN7rocprim17ROCPRIM_400000_NS6detail17trampoline_kernelINS0_14default_configENS1_20scan_config_selectorIsEEZZNS1_9scan_implILNS1_25lookback_scan_determinismE0ELb0ELb0ES3_N6thrust23THRUST_200600_302600_NS6detail15normal_iteratorINS9_10device_ptrIsEEEESE_s11max_functorIsEsEEDaPvRmT3_T4_T5_mT6_P12ihipStream_tbENKUlT_T0_E_clISt17integral_constantIbLb0EESU_EEDaSP_SQ_EUlSP_E0_NS1_11comp_targetILNS1_3genE5ELNS1_11target_archE942ELNS1_3gpuE9ELNS1_3repE0EEENS1_30default_config_static_selectorELNS0_4arch9wavefront6targetE1EEEvT1_
                                        ; -- End function
	.section	.AMDGPU.csdata,"",@progbits
; Kernel info:
; codeLenInByte = 0
; NumSgprs: 4
; NumVgprs: 0
; NumAgprs: 0
; TotalNumVgprs: 0
; ScratchSize: 0
; MemoryBound: 0
; FloatMode: 240
; IeeeMode: 1
; LDSByteSize: 0 bytes/workgroup (compile time only)
; SGPRBlocks: 0
; VGPRBlocks: 0
; NumSGPRsForWavesPerEU: 4
; NumVGPRsForWavesPerEU: 1
; AccumOffset: 4
; Occupancy: 8
; WaveLimiterHint : 0
; COMPUTE_PGM_RSRC2:SCRATCH_EN: 0
; COMPUTE_PGM_RSRC2:USER_SGPR: 6
; COMPUTE_PGM_RSRC2:TRAP_HANDLER: 0
; COMPUTE_PGM_RSRC2:TGID_X_EN: 1
; COMPUTE_PGM_RSRC2:TGID_Y_EN: 0
; COMPUTE_PGM_RSRC2:TGID_Z_EN: 0
; COMPUTE_PGM_RSRC2:TIDIG_COMP_CNT: 0
; COMPUTE_PGM_RSRC3_GFX90A:ACCUM_OFFSET: 0
; COMPUTE_PGM_RSRC3_GFX90A:TG_SPLIT: 0
	.section	.text._ZN7rocprim17ROCPRIM_400000_NS6detail17trampoline_kernelINS0_14default_configENS1_20scan_config_selectorIsEEZZNS1_9scan_implILNS1_25lookback_scan_determinismE0ELb0ELb0ES3_N6thrust23THRUST_200600_302600_NS6detail15normal_iteratorINS9_10device_ptrIsEEEESE_s11max_functorIsEsEEDaPvRmT3_T4_T5_mT6_P12ihipStream_tbENKUlT_T0_E_clISt17integral_constantIbLb0EESU_EEDaSP_SQ_EUlSP_E0_NS1_11comp_targetILNS1_3genE4ELNS1_11target_archE910ELNS1_3gpuE8ELNS1_3repE0EEENS1_30default_config_static_selectorELNS0_4arch9wavefront6targetE1EEEvT1_,"axG",@progbits,_ZN7rocprim17ROCPRIM_400000_NS6detail17trampoline_kernelINS0_14default_configENS1_20scan_config_selectorIsEEZZNS1_9scan_implILNS1_25lookback_scan_determinismE0ELb0ELb0ES3_N6thrust23THRUST_200600_302600_NS6detail15normal_iteratorINS9_10device_ptrIsEEEESE_s11max_functorIsEsEEDaPvRmT3_T4_T5_mT6_P12ihipStream_tbENKUlT_T0_E_clISt17integral_constantIbLb0EESU_EEDaSP_SQ_EUlSP_E0_NS1_11comp_targetILNS1_3genE4ELNS1_11target_archE910ELNS1_3gpuE8ELNS1_3repE0EEENS1_30default_config_static_selectorELNS0_4arch9wavefront6targetE1EEEvT1_,comdat
	.protected	_ZN7rocprim17ROCPRIM_400000_NS6detail17trampoline_kernelINS0_14default_configENS1_20scan_config_selectorIsEEZZNS1_9scan_implILNS1_25lookback_scan_determinismE0ELb0ELb0ES3_N6thrust23THRUST_200600_302600_NS6detail15normal_iteratorINS9_10device_ptrIsEEEESE_s11max_functorIsEsEEDaPvRmT3_T4_T5_mT6_P12ihipStream_tbENKUlT_T0_E_clISt17integral_constantIbLb0EESU_EEDaSP_SQ_EUlSP_E0_NS1_11comp_targetILNS1_3genE4ELNS1_11target_archE910ELNS1_3gpuE8ELNS1_3repE0EEENS1_30default_config_static_selectorELNS0_4arch9wavefront6targetE1EEEvT1_ ; -- Begin function _ZN7rocprim17ROCPRIM_400000_NS6detail17trampoline_kernelINS0_14default_configENS1_20scan_config_selectorIsEEZZNS1_9scan_implILNS1_25lookback_scan_determinismE0ELb0ELb0ES3_N6thrust23THRUST_200600_302600_NS6detail15normal_iteratorINS9_10device_ptrIsEEEESE_s11max_functorIsEsEEDaPvRmT3_T4_T5_mT6_P12ihipStream_tbENKUlT_T0_E_clISt17integral_constantIbLb0EESU_EEDaSP_SQ_EUlSP_E0_NS1_11comp_targetILNS1_3genE4ELNS1_11target_archE910ELNS1_3gpuE8ELNS1_3repE0EEENS1_30default_config_static_selectorELNS0_4arch9wavefront6targetE1EEEvT1_
	.globl	_ZN7rocprim17ROCPRIM_400000_NS6detail17trampoline_kernelINS0_14default_configENS1_20scan_config_selectorIsEEZZNS1_9scan_implILNS1_25lookback_scan_determinismE0ELb0ELb0ES3_N6thrust23THRUST_200600_302600_NS6detail15normal_iteratorINS9_10device_ptrIsEEEESE_s11max_functorIsEsEEDaPvRmT3_T4_T5_mT6_P12ihipStream_tbENKUlT_T0_E_clISt17integral_constantIbLb0EESU_EEDaSP_SQ_EUlSP_E0_NS1_11comp_targetILNS1_3genE4ELNS1_11target_archE910ELNS1_3gpuE8ELNS1_3repE0EEENS1_30default_config_static_selectorELNS0_4arch9wavefront6targetE1EEEvT1_
	.p2align	8
	.type	_ZN7rocprim17ROCPRIM_400000_NS6detail17trampoline_kernelINS0_14default_configENS1_20scan_config_selectorIsEEZZNS1_9scan_implILNS1_25lookback_scan_determinismE0ELb0ELb0ES3_N6thrust23THRUST_200600_302600_NS6detail15normal_iteratorINS9_10device_ptrIsEEEESE_s11max_functorIsEsEEDaPvRmT3_T4_T5_mT6_P12ihipStream_tbENKUlT_T0_E_clISt17integral_constantIbLb0EESU_EEDaSP_SQ_EUlSP_E0_NS1_11comp_targetILNS1_3genE4ELNS1_11target_archE910ELNS1_3gpuE8ELNS1_3repE0EEENS1_30default_config_static_selectorELNS0_4arch9wavefront6targetE1EEEvT1_,@function
_ZN7rocprim17ROCPRIM_400000_NS6detail17trampoline_kernelINS0_14default_configENS1_20scan_config_selectorIsEEZZNS1_9scan_implILNS1_25lookback_scan_determinismE0ELb0ELb0ES3_N6thrust23THRUST_200600_302600_NS6detail15normal_iteratorINS9_10device_ptrIsEEEESE_s11max_functorIsEsEEDaPvRmT3_T4_T5_mT6_P12ihipStream_tbENKUlT_T0_E_clISt17integral_constantIbLb0EESU_EEDaSP_SQ_EUlSP_E0_NS1_11comp_targetILNS1_3genE4ELNS1_11target_archE910ELNS1_3gpuE8ELNS1_3repE0EEENS1_30default_config_static_selectorELNS0_4arch9wavefront6targetE1EEEvT1_: ; @_ZN7rocprim17ROCPRIM_400000_NS6detail17trampoline_kernelINS0_14default_configENS1_20scan_config_selectorIsEEZZNS1_9scan_implILNS1_25lookback_scan_determinismE0ELb0ELb0ES3_N6thrust23THRUST_200600_302600_NS6detail15normal_iteratorINS9_10device_ptrIsEEEESE_s11max_functorIsEsEEDaPvRmT3_T4_T5_mT6_P12ihipStream_tbENKUlT_T0_E_clISt17integral_constantIbLb0EESU_EEDaSP_SQ_EUlSP_E0_NS1_11comp_targetILNS1_3genE4ELNS1_11target_archE910ELNS1_3gpuE8ELNS1_3repE0EEENS1_30default_config_static_selectorELNS0_4arch9wavefront6targetE1EEEvT1_
; %bb.0:
	s_load_dwordx4 s[52:55], s[4:5], 0x0
	v_mov_b32_e32 v1, 0
	v_lshlrev_b32_e32 v14, 1, v0
	s_waitcnt lgkmcnt(0)
	global_load_ushort v2, v1, s[52:53]
	v_cmp_gt_u32_e32 vcc, s54, v0
	s_waitcnt vmcnt(0)
	v_mov_b32_e32 v3, v2
	s_and_saveexec_b64 s[0:1], vcc
	s_cbranch_execz .LBB2857_2
; %bb.1:
	global_load_ushort v3, v14, s[52:53]
.LBB2857_2:
	s_or_b64 exec, exec, s[0:1]
	v_or_b32_e32 v1, 64, v0
	v_cmp_gt_u32_e64 s[0:1], s54, v1
	v_mov_b32_e32 v4, v2
	s_and_saveexec_b64 s[2:3], s[0:1]
	s_cbranch_execz .LBB2857_4
; %bb.3:
	global_load_ushort v4, v14, s[52:53] offset:128
.LBB2857_4:
	s_or_b64 exec, exec, s[2:3]
	v_or_b32_e32 v1, 0x80, v0
	v_cmp_gt_u32_e64 s[2:3], s54, v1
	v_mov_b32_e32 v5, v2
	s_and_saveexec_b64 s[6:7], s[2:3]
	s_cbranch_execz .LBB2857_6
; %bb.5:
	global_load_ushort v5, v14, s[52:53] offset:256
.LBB2857_6:
	;; [unrolled: 9-line block ×22, first 2 shown]
	s_or_b64 exec, exec, s[46:47]
	v_or_b32_e32 v1, 0x5c0, v0
	v_cmp_gt_u32_e64 s[46:47], s54, v1
	v_cmp_le_u32_e64 s[50:51], s54, v1
	s_and_saveexec_b64 s[54:55], s[50:51]
	s_xor_b64 s[50:51], exec, s[54:55]
; %bb.47:
	v_mov_b32_e32 v1, 0
; %bb.48:
	s_andn2_saveexec_b64 s[50:51], s[50:51]
	s_cbranch_execz .LBB2857_50
; %bb.49:
	global_load_ushort v2, v14, s[52:53] offset:2944
	v_mov_b32_e32 v1, 0
.LBB2857_50:
	s_or_b64 exec, exec, s[50:51]
	s_waitcnt vmcnt(0)
	ds_write_b16 v14, v3
	ds_write_b16 v14, v4 offset:128
	ds_write_b16 v14, v5 offset:256
	;; [unrolled: 1-line block ×23, first 2 shown]
	v_mad_u32_u24 v15, v0, 46, v14
	s_waitcnt lgkmcnt(0)
	; wave barrier
	s_waitcnt lgkmcnt(0)
	ds_read_b128 v[2:5], v15
	ds_read_b128 v[10:13], v15 offset:16
	ds_read_b128 v[6:9], v15 offset:32
	v_mbcnt_lo_u32_b32 v39, -1, 0
	v_mbcnt_hi_u32_b32 v39, -1, v39
	s_waitcnt lgkmcnt(2)
	v_max_i16_sdwa v16, v2, v2 dst_sel:DWORD dst_unused:UNUSED_PAD src0_sel:DWORD src1_sel:WORD_1
	v_max_i16_e32 v17, v16, v3
	v_max_i16_sdwa v19, v17, v3 dst_sel:DWORD dst_unused:UNUSED_PAD src0_sel:DWORD src1_sel:WORD_1
	v_max_i16_e32 v21, v19, v4
	;; [unrolled: 2-line block ×3, first 2 shown]
	v_max_i16_sdwa v29, v26, v5 dst_sel:DWORD dst_unused:UNUSED_PAD src0_sel:DWORD src1_sel:WORD_1
	s_waitcnt lgkmcnt(1)
	v_max_i16_e32 v18, v29, v10
	v_max_i16_sdwa v20, v18, v10 dst_sel:DWORD dst_unused:UNUSED_PAD src0_sel:DWORD src1_sel:WORD_1
	v_max_i16_e32 v22, v20, v11
	v_max_i16_sdwa v25, v22, v11 dst_sel:DWORD dst_unused:UNUSED_PAD src0_sel:DWORD src1_sel:WORD_1
	;; [unrolled: 2-line block ×4, first 2 shown]
	s_waitcnt lgkmcnt(0)
	v_max_i16_e32 v24, v35, v6
	v_max_i16_sdwa v27, v24, v6 dst_sel:DWORD dst_unused:UNUSED_PAD src0_sel:DWORD src1_sel:WORD_1
	v_max_i16_e32 v30, v27, v7
	v_max_i16_sdwa v32, v30, v7 dst_sel:DWORD dst_unused:UNUSED_PAD src0_sel:DWORD src1_sel:WORD_1
	;; [unrolled: 2-line block ×4, first 2 shown]
	v_and_b32_e32 v40, 15, v39
	s_load_dwordx2 s[50:51], s[4:5], 0x18
	v_mov_b32_dpp v41, v38 row_shr:1 row_mask:0xf bank_mask:0xf
	v_max_i16_e32 v41, v41, v38
	v_cmp_eq_u32_e64 s[4:5], 0, v40
	v_cndmask_b32_e64 v41, v41, v38, s[4:5]
	v_and_b32_e32 v42, 0xffff, v41
	v_cmp_lt_u32_e64 s[4:5], 1, v40
	s_waitcnt lgkmcnt(0)
	v_mov_b32_dpp v42, v42 row_shr:2 row_mask:0xf bank_mask:0xf
	v_max_i16_e32 v42, v42, v41
	v_cndmask_b32_e64 v41, v41, v42, s[4:5]
	v_and_b32_e32 v42, 0xffff, v41
	v_cmp_lt_u32_e64 s[4:5], 3, v40
	; wave barrier
	s_nop 0
	v_mov_b32_dpp v42, v42 row_shr:4 row_mask:0xf bank_mask:0xf
	v_max_i16_e32 v42, v42, v41
	v_cndmask_b32_e64 v41, v41, v42, s[4:5]
	v_and_b32_e32 v42, 0xffff, v41
	v_cmp_lt_u32_e64 s[4:5], 7, v40
	s_nop 0
	v_mov_b32_dpp v42, v42 row_shr:8 row_mask:0xf bank_mask:0xf
	v_max_i16_e32 v42, v42, v41
	v_cndmask_b32_e64 v40, v41, v42, s[4:5]
	v_and_b32_e32 v41, 0xffff, v40
	v_and_b32_e32 v42, 16, v39
	v_cmp_eq_u32_e64 s[4:5], 0, v42
	v_mov_b32_dpp v41, v41 row_bcast:15 row_mask:0xf bank_mask:0xf
	v_max_i16_e32 v41, v41, v40
	v_cndmask_b32_e64 v40, v41, v40, s[4:5]
	v_and_b32_e32 v41, 0xffff, v40
	v_cmp_lt_u32_e64 s[4:5], 31, v39
	s_nop 0
	v_mov_b32_dpp v41, v41 row_bcast:31 row_mask:0xf bank_mask:0xf
	v_max_i16_e32 v41, v41, v40
	v_cndmask_b32_e64 v40, v40, v41, s[4:5]
	v_cmp_eq_u32_e64 s[4:5], 63, v0
	s_and_saveexec_b64 s[52:53], s[4:5]
	s_cbranch_execz .LBB2857_52
; %bb.51:
	v_mov_b32_e32 v41, 0
	ds_write_b16 v41, v40
.LBB2857_52:
	s_or_b64 exec, exec, s[52:53]
	v_add_u32_e32 v41, -1, v39
	v_and_b32_e32 v42, 64, v39
	v_cmp_lt_i32_e64 s[4:5], v41, v42
	v_cndmask_b32_e64 v39, v41, v39, s[4:5]
	v_and_b32_e32 v40, 0xffff, v40
	v_lshlrev_b32_e32 v39, 2, v39
	ds_bpermute_b32 v39, v39, v40
	v_cmp_ne_u32_e64 s[4:5], 0, v0
	s_waitcnt lgkmcnt(0)
	; wave barrier
	s_waitcnt lgkmcnt(0)
	s_and_saveexec_b64 s[52:53], s[4:5]
	s_cbranch_execz .LBB2857_54
; %bb.53:
	v_max_i16_e32 v39, v39, v2
	v_max_i16_sdwa v16, v39, v2 dst_sel:DWORD dst_unused:UNUSED_PAD src0_sel:DWORD src1_sel:WORD_1
	v_max_i16_e32 v17, v16, v3
	v_max_i16_sdwa v19, v17, v3 dst_sel:DWORD dst_unused:UNUSED_PAD src0_sel:DWORD src1_sel:WORD_1
	;; [unrolled: 2-line block ×12, first 2 shown]
	v_mov_b32_e32 v2, v39
	;;#ASMSTART
	;;#ASMEND
.LBB2857_54:
	s_or_b64 exec, exec, s[52:53]
	s_mov_b32 s4, 0x5040100
	v_perm_b32 v5, v29, v26, s4
	v_perm_b32 v4, v23, v21, s4
	v_perm_b32 v3, v19, v17, s4
	v_perm_b32 v2, v16, v2, s4
	s_waitcnt lgkmcnt(0)
	; wave barrier
	ds_write_b128 v15, v[2:5]
	v_perm_b32 v5, v35, v33, s4
	v_perm_b32 v4, v31, v28, s4
	;; [unrolled: 1-line block ×4, first 2 shown]
	ds_write_b128 v15, v[2:5] offset:16
	v_perm_b32 v5, v38, v37, s4
	v_perm_b32 v4, v36, v34, s4
	;; [unrolled: 1-line block ×4, first 2 shown]
	s_movk_i32 s4, 0xffd2
	ds_write_b128 v15, v[2:5] offset:32
	v_mad_i32_i24 v2, v0, s4, v15
	s_waitcnt lgkmcnt(0)
	; wave barrier
	s_waitcnt lgkmcnt(0)
	ds_read_u16 v25, v2 offset:128
	ds_read_u16 v24, v2 offset:256
	;; [unrolled: 1-line block ×23, first 2 shown]
	v_lshlrev_b64 v[0:1], 1, v[0:1]
	v_mov_b32_e32 v26, s51
	v_add_co_u32_e64 v0, s[4:5], s50, v0
	v_addc_co_u32_e64 v1, s[4:5], v26, v1, s[4:5]
	s_and_saveexec_b64 s[4:5], vcc
	s_cbranch_execnz .LBB2857_79
; %bb.55:
	s_or_b64 exec, exec, s[4:5]
	s_and_saveexec_b64 s[4:5], s[0:1]
	s_cbranch_execnz .LBB2857_80
.LBB2857_56:
	s_or_b64 exec, exec, s[4:5]
	s_and_saveexec_b64 s[0:1], s[2:3]
	s_cbranch_execnz .LBB2857_81
.LBB2857_57:
	s_or_b64 exec, exec, s[0:1]
	s_and_saveexec_b64 s[0:1], s[48:49]
	s_cbranch_execnz .LBB2857_82
.LBB2857_58:
	s_or_b64 exec, exec, s[0:1]
	s_and_saveexec_b64 s[0:1], s[6:7]
	s_cbranch_execnz .LBB2857_83
.LBB2857_59:
	s_or_b64 exec, exec, s[0:1]
	s_and_saveexec_b64 s[0:1], s[8:9]
	s_cbranch_execnz .LBB2857_84
.LBB2857_60:
	s_or_b64 exec, exec, s[0:1]
	s_and_saveexec_b64 s[0:1], s[10:11]
	s_cbranch_execnz .LBB2857_85
.LBB2857_61:
	s_or_b64 exec, exec, s[0:1]
	s_and_saveexec_b64 s[0:1], s[12:13]
	s_cbranch_execnz .LBB2857_86
.LBB2857_62:
	s_or_b64 exec, exec, s[0:1]
	s_and_saveexec_b64 s[0:1], s[14:15]
	s_cbranch_execnz .LBB2857_87
.LBB2857_63:
	s_or_b64 exec, exec, s[0:1]
	s_and_saveexec_b64 s[0:1], s[16:17]
	s_cbranch_execnz .LBB2857_88
.LBB2857_64:
	s_or_b64 exec, exec, s[0:1]
	s_and_saveexec_b64 s[0:1], s[18:19]
	s_cbranch_execnz .LBB2857_89
.LBB2857_65:
	s_or_b64 exec, exec, s[0:1]
	s_and_saveexec_b64 s[0:1], s[20:21]
	s_cbranch_execnz .LBB2857_90
.LBB2857_66:
	s_or_b64 exec, exec, s[0:1]
	s_and_saveexec_b64 s[0:1], s[22:23]
	s_cbranch_execnz .LBB2857_91
.LBB2857_67:
	s_or_b64 exec, exec, s[0:1]
	s_and_saveexec_b64 s[0:1], s[24:25]
	s_cbranch_execnz .LBB2857_92
.LBB2857_68:
	s_or_b64 exec, exec, s[0:1]
	s_and_saveexec_b64 s[0:1], s[26:27]
	s_cbranch_execnz .LBB2857_93
.LBB2857_69:
	s_or_b64 exec, exec, s[0:1]
	s_and_saveexec_b64 s[0:1], s[28:29]
	s_cbranch_execnz .LBB2857_94
.LBB2857_70:
	s_or_b64 exec, exec, s[0:1]
	s_and_saveexec_b64 s[0:1], s[30:31]
	s_cbranch_execnz .LBB2857_95
.LBB2857_71:
	s_or_b64 exec, exec, s[0:1]
	s_and_saveexec_b64 s[0:1], s[34:35]
	s_cbranch_execnz .LBB2857_96
.LBB2857_72:
	s_or_b64 exec, exec, s[0:1]
	s_and_saveexec_b64 s[0:1], s[36:37]
	s_cbranch_execnz .LBB2857_97
.LBB2857_73:
	s_or_b64 exec, exec, s[0:1]
	s_and_saveexec_b64 s[0:1], s[38:39]
	s_cbranch_execnz .LBB2857_98
.LBB2857_74:
	s_or_b64 exec, exec, s[0:1]
	s_and_saveexec_b64 s[0:1], s[40:41]
	s_cbranch_execnz .LBB2857_99
.LBB2857_75:
	s_or_b64 exec, exec, s[0:1]
	s_and_saveexec_b64 s[0:1], s[42:43]
	s_cbranch_execnz .LBB2857_100
.LBB2857_76:
	s_or_b64 exec, exec, s[0:1]
	s_and_saveexec_b64 s[0:1], s[44:45]
	s_cbranch_execnz .LBB2857_101
.LBB2857_77:
	s_or_b64 exec, exec, s[0:1]
	s_and_saveexec_b64 s[0:1], s[46:47]
	s_cbranch_execnz .LBB2857_102
.LBB2857_78:
	s_endpgm
.LBB2857_79:
	ds_read_u16 v14, v14
	s_waitcnt lgkmcnt(0)
	global_store_short v[0:1], v14, off
	s_or_b64 exec, exec, s[4:5]
	s_and_saveexec_b64 s[4:5], s[0:1]
	s_cbranch_execz .LBB2857_56
.LBB2857_80:
	s_waitcnt lgkmcnt(14)
	global_store_short v[0:1], v25, off offset:128
	s_or_b64 exec, exec, s[4:5]
	s_and_saveexec_b64 s[0:1], s[2:3]
	s_cbranch_execz .LBB2857_57
.LBB2857_81:
	s_waitcnt lgkmcnt(14)
	global_store_short v[0:1], v24, off offset:256
	s_or_b64 exec, exec, s[0:1]
	s_and_saveexec_b64 s[0:1], s[48:49]
	s_cbranch_execz .LBB2857_58
.LBB2857_82:
	s_waitcnt lgkmcnt(14)
	global_store_short v[0:1], v23, off offset:384
	s_or_b64 exec, exec, s[0:1]
	s_and_saveexec_b64 s[0:1], s[6:7]
	s_cbranch_execz .LBB2857_59
.LBB2857_83:
	s_waitcnt lgkmcnt(14)
	global_store_short v[0:1], v22, off offset:512
	s_or_b64 exec, exec, s[0:1]
	s_and_saveexec_b64 s[0:1], s[8:9]
	s_cbranch_execz .LBB2857_60
.LBB2857_84:
	s_waitcnt lgkmcnt(14)
	global_store_short v[0:1], v21, off offset:640
	s_or_b64 exec, exec, s[0:1]
	s_and_saveexec_b64 s[0:1], s[10:11]
	s_cbranch_execz .LBB2857_61
.LBB2857_85:
	s_waitcnt lgkmcnt(14)
	global_store_short v[0:1], v20, off offset:768
	s_or_b64 exec, exec, s[0:1]
	s_and_saveexec_b64 s[0:1], s[12:13]
	s_cbranch_execz .LBB2857_62
.LBB2857_86:
	s_waitcnt lgkmcnt(14)
	global_store_short v[0:1], v19, off offset:896
	s_or_b64 exec, exec, s[0:1]
	s_and_saveexec_b64 s[0:1], s[14:15]
	s_cbranch_execz .LBB2857_63
.LBB2857_87:
	s_waitcnt lgkmcnt(14)
	global_store_short v[0:1], v18, off offset:1024
	s_or_b64 exec, exec, s[0:1]
	s_and_saveexec_b64 s[0:1], s[16:17]
	s_cbranch_execz .LBB2857_64
.LBB2857_88:
	s_waitcnt lgkmcnt(14)
	global_store_short v[0:1], v17, off offset:1152
	s_or_b64 exec, exec, s[0:1]
	s_and_saveexec_b64 s[0:1], s[18:19]
	s_cbranch_execz .LBB2857_65
.LBB2857_89:
	s_waitcnt lgkmcnt(13)
	global_store_short v[0:1], v16, off offset:1280
	s_or_b64 exec, exec, s[0:1]
	s_and_saveexec_b64 s[0:1], s[20:21]
	s_cbranch_execz .LBB2857_66
.LBB2857_90:
	s_waitcnt lgkmcnt(12)
	global_store_short v[0:1], v15, off offset:1408
	s_or_b64 exec, exec, s[0:1]
	s_and_saveexec_b64 s[0:1], s[22:23]
	s_cbranch_execz .LBB2857_67
.LBB2857_91:
	s_waitcnt lgkmcnt(11)
	global_store_short v[0:1], v13, off offset:1536
	s_or_b64 exec, exec, s[0:1]
	s_and_saveexec_b64 s[0:1], s[24:25]
	s_cbranch_execz .LBB2857_68
.LBB2857_92:
	s_waitcnt lgkmcnt(10)
	global_store_short v[0:1], v12, off offset:1664
	s_or_b64 exec, exec, s[0:1]
	s_and_saveexec_b64 s[0:1], s[26:27]
	s_cbranch_execz .LBB2857_69
.LBB2857_93:
	s_waitcnt lgkmcnt(9)
	global_store_short v[0:1], v11, off offset:1792
	s_or_b64 exec, exec, s[0:1]
	s_and_saveexec_b64 s[0:1], s[28:29]
	s_cbranch_execz .LBB2857_70
.LBB2857_94:
	s_waitcnt lgkmcnt(8)
	global_store_short v[0:1], v10, off offset:1920
	s_or_b64 exec, exec, s[0:1]
	s_and_saveexec_b64 s[0:1], s[30:31]
	s_cbranch_execz .LBB2857_71
.LBB2857_95:
	s_waitcnt lgkmcnt(1)
	global_store_short v[0:1], v9, off offset:2048
	s_or_b64 exec, exec, s[0:1]
	s_and_saveexec_b64 s[0:1], s[34:35]
	s_cbranch_execz .LBB2857_72
.LBB2857_96:
	s_waitcnt lgkmcnt(7)
	global_store_short v[0:1], v8, off offset:2176
	s_or_b64 exec, exec, s[0:1]
	s_and_saveexec_b64 s[0:1], s[36:37]
	s_cbranch_execz .LBB2857_73
.LBB2857_97:
	s_waitcnt lgkmcnt(6)
	global_store_short v[0:1], v7, off offset:2304
	s_or_b64 exec, exec, s[0:1]
	s_and_saveexec_b64 s[0:1], s[38:39]
	s_cbranch_execz .LBB2857_74
.LBB2857_98:
	s_waitcnt lgkmcnt(5)
	global_store_short v[0:1], v6, off offset:2432
	s_or_b64 exec, exec, s[0:1]
	s_and_saveexec_b64 s[0:1], s[40:41]
	s_cbranch_execz .LBB2857_75
.LBB2857_99:
	s_waitcnt lgkmcnt(4)
	global_store_short v[0:1], v5, off offset:2560
	s_or_b64 exec, exec, s[0:1]
	s_and_saveexec_b64 s[0:1], s[42:43]
	s_cbranch_execz .LBB2857_76
.LBB2857_100:
	s_waitcnt lgkmcnt(3)
	global_store_short v[0:1], v4, off offset:2688
	s_or_b64 exec, exec, s[0:1]
	s_and_saveexec_b64 s[0:1], s[44:45]
	s_cbranch_execz .LBB2857_77
.LBB2857_101:
	s_waitcnt lgkmcnt(2)
	global_store_short v[0:1], v3, off offset:2816
	s_or_b64 exec, exec, s[0:1]
	s_and_saveexec_b64 s[0:1], s[46:47]
	s_cbranch_execz .LBB2857_78
.LBB2857_102:
	s_waitcnt lgkmcnt(0)
	global_store_short v[0:1], v2, off offset:2944
	s_endpgm
	.section	.rodata,"a",@progbits
	.p2align	6, 0x0
	.amdhsa_kernel _ZN7rocprim17ROCPRIM_400000_NS6detail17trampoline_kernelINS0_14default_configENS1_20scan_config_selectorIsEEZZNS1_9scan_implILNS1_25lookback_scan_determinismE0ELb0ELb0ES3_N6thrust23THRUST_200600_302600_NS6detail15normal_iteratorINS9_10device_ptrIsEEEESE_s11max_functorIsEsEEDaPvRmT3_T4_T5_mT6_P12ihipStream_tbENKUlT_T0_E_clISt17integral_constantIbLb0EESU_EEDaSP_SQ_EUlSP_E0_NS1_11comp_targetILNS1_3genE4ELNS1_11target_archE910ELNS1_3gpuE8ELNS1_3repE0EEENS1_30default_config_static_selectorELNS0_4arch9wavefront6targetE1EEEvT1_
		.amdhsa_group_segment_fixed_size 3072
		.amdhsa_private_segment_fixed_size 0
		.amdhsa_kernarg_size 32
		.amdhsa_user_sgpr_count 6
		.amdhsa_user_sgpr_private_segment_buffer 1
		.amdhsa_user_sgpr_dispatch_ptr 0
		.amdhsa_user_sgpr_queue_ptr 0
		.amdhsa_user_sgpr_kernarg_segment_ptr 1
		.amdhsa_user_sgpr_dispatch_id 0
		.amdhsa_user_sgpr_flat_scratch_init 0
		.amdhsa_user_sgpr_kernarg_preload_length 0
		.amdhsa_user_sgpr_kernarg_preload_offset 0
		.amdhsa_user_sgpr_private_segment_size 0
		.amdhsa_uses_dynamic_stack 0
		.amdhsa_system_sgpr_private_segment_wavefront_offset 0
		.amdhsa_system_sgpr_workgroup_id_x 1
		.amdhsa_system_sgpr_workgroup_id_y 0
		.amdhsa_system_sgpr_workgroup_id_z 0
		.amdhsa_system_sgpr_workgroup_info 0
		.amdhsa_system_vgpr_workitem_id 0
		.amdhsa_next_free_vgpr 43
		.amdhsa_next_free_sgpr 56
		.amdhsa_accum_offset 44
		.amdhsa_reserve_vcc 1
		.amdhsa_reserve_flat_scratch 0
		.amdhsa_float_round_mode_32 0
		.amdhsa_float_round_mode_16_64 0
		.amdhsa_float_denorm_mode_32 3
		.amdhsa_float_denorm_mode_16_64 3
		.amdhsa_dx10_clamp 1
		.amdhsa_ieee_mode 1
		.amdhsa_fp16_overflow 0
		.amdhsa_tg_split 0
		.amdhsa_exception_fp_ieee_invalid_op 0
		.amdhsa_exception_fp_denorm_src 0
		.amdhsa_exception_fp_ieee_div_zero 0
		.amdhsa_exception_fp_ieee_overflow 0
		.amdhsa_exception_fp_ieee_underflow 0
		.amdhsa_exception_fp_ieee_inexact 0
		.amdhsa_exception_int_div_zero 0
	.end_amdhsa_kernel
	.section	.text._ZN7rocprim17ROCPRIM_400000_NS6detail17trampoline_kernelINS0_14default_configENS1_20scan_config_selectorIsEEZZNS1_9scan_implILNS1_25lookback_scan_determinismE0ELb0ELb0ES3_N6thrust23THRUST_200600_302600_NS6detail15normal_iteratorINS9_10device_ptrIsEEEESE_s11max_functorIsEsEEDaPvRmT3_T4_T5_mT6_P12ihipStream_tbENKUlT_T0_E_clISt17integral_constantIbLb0EESU_EEDaSP_SQ_EUlSP_E0_NS1_11comp_targetILNS1_3genE4ELNS1_11target_archE910ELNS1_3gpuE8ELNS1_3repE0EEENS1_30default_config_static_selectorELNS0_4arch9wavefront6targetE1EEEvT1_,"axG",@progbits,_ZN7rocprim17ROCPRIM_400000_NS6detail17trampoline_kernelINS0_14default_configENS1_20scan_config_selectorIsEEZZNS1_9scan_implILNS1_25lookback_scan_determinismE0ELb0ELb0ES3_N6thrust23THRUST_200600_302600_NS6detail15normal_iteratorINS9_10device_ptrIsEEEESE_s11max_functorIsEsEEDaPvRmT3_T4_T5_mT6_P12ihipStream_tbENKUlT_T0_E_clISt17integral_constantIbLb0EESU_EEDaSP_SQ_EUlSP_E0_NS1_11comp_targetILNS1_3genE4ELNS1_11target_archE910ELNS1_3gpuE8ELNS1_3repE0EEENS1_30default_config_static_selectorELNS0_4arch9wavefront6targetE1EEEvT1_,comdat
.Lfunc_end2857:
	.size	_ZN7rocprim17ROCPRIM_400000_NS6detail17trampoline_kernelINS0_14default_configENS1_20scan_config_selectorIsEEZZNS1_9scan_implILNS1_25lookback_scan_determinismE0ELb0ELb0ES3_N6thrust23THRUST_200600_302600_NS6detail15normal_iteratorINS9_10device_ptrIsEEEESE_s11max_functorIsEsEEDaPvRmT3_T4_T5_mT6_P12ihipStream_tbENKUlT_T0_E_clISt17integral_constantIbLb0EESU_EEDaSP_SQ_EUlSP_E0_NS1_11comp_targetILNS1_3genE4ELNS1_11target_archE910ELNS1_3gpuE8ELNS1_3repE0EEENS1_30default_config_static_selectorELNS0_4arch9wavefront6targetE1EEEvT1_, .Lfunc_end2857-_ZN7rocprim17ROCPRIM_400000_NS6detail17trampoline_kernelINS0_14default_configENS1_20scan_config_selectorIsEEZZNS1_9scan_implILNS1_25lookback_scan_determinismE0ELb0ELb0ES3_N6thrust23THRUST_200600_302600_NS6detail15normal_iteratorINS9_10device_ptrIsEEEESE_s11max_functorIsEsEEDaPvRmT3_T4_T5_mT6_P12ihipStream_tbENKUlT_T0_E_clISt17integral_constantIbLb0EESU_EEDaSP_SQ_EUlSP_E0_NS1_11comp_targetILNS1_3genE4ELNS1_11target_archE910ELNS1_3gpuE8ELNS1_3repE0EEENS1_30default_config_static_selectorELNS0_4arch9wavefront6targetE1EEEvT1_
                                        ; -- End function
	.section	.AMDGPU.csdata,"",@progbits
; Kernel info:
; codeLenInByte = 3120
; NumSgprs: 60
; NumVgprs: 43
; NumAgprs: 0
; TotalNumVgprs: 43
; ScratchSize: 0
; MemoryBound: 0
; FloatMode: 240
; IeeeMode: 1
; LDSByteSize: 3072 bytes/workgroup (compile time only)
; SGPRBlocks: 7
; VGPRBlocks: 5
; NumSGPRsForWavesPerEU: 60
; NumVGPRsForWavesPerEU: 43
; AccumOffset: 44
; Occupancy: 6
; WaveLimiterHint : 0
; COMPUTE_PGM_RSRC2:SCRATCH_EN: 0
; COMPUTE_PGM_RSRC2:USER_SGPR: 6
; COMPUTE_PGM_RSRC2:TRAP_HANDLER: 0
; COMPUTE_PGM_RSRC2:TGID_X_EN: 1
; COMPUTE_PGM_RSRC2:TGID_Y_EN: 0
; COMPUTE_PGM_RSRC2:TGID_Z_EN: 0
; COMPUTE_PGM_RSRC2:TIDIG_COMP_CNT: 0
; COMPUTE_PGM_RSRC3_GFX90A:ACCUM_OFFSET: 10
; COMPUTE_PGM_RSRC3_GFX90A:TG_SPLIT: 0
	.section	.text._ZN7rocprim17ROCPRIM_400000_NS6detail17trampoline_kernelINS0_14default_configENS1_20scan_config_selectorIsEEZZNS1_9scan_implILNS1_25lookback_scan_determinismE0ELb0ELb0ES3_N6thrust23THRUST_200600_302600_NS6detail15normal_iteratorINS9_10device_ptrIsEEEESE_s11max_functorIsEsEEDaPvRmT3_T4_T5_mT6_P12ihipStream_tbENKUlT_T0_E_clISt17integral_constantIbLb0EESU_EEDaSP_SQ_EUlSP_E0_NS1_11comp_targetILNS1_3genE3ELNS1_11target_archE908ELNS1_3gpuE7ELNS1_3repE0EEENS1_30default_config_static_selectorELNS0_4arch9wavefront6targetE1EEEvT1_,"axG",@progbits,_ZN7rocprim17ROCPRIM_400000_NS6detail17trampoline_kernelINS0_14default_configENS1_20scan_config_selectorIsEEZZNS1_9scan_implILNS1_25lookback_scan_determinismE0ELb0ELb0ES3_N6thrust23THRUST_200600_302600_NS6detail15normal_iteratorINS9_10device_ptrIsEEEESE_s11max_functorIsEsEEDaPvRmT3_T4_T5_mT6_P12ihipStream_tbENKUlT_T0_E_clISt17integral_constantIbLb0EESU_EEDaSP_SQ_EUlSP_E0_NS1_11comp_targetILNS1_3genE3ELNS1_11target_archE908ELNS1_3gpuE7ELNS1_3repE0EEENS1_30default_config_static_selectorELNS0_4arch9wavefront6targetE1EEEvT1_,comdat
	.protected	_ZN7rocprim17ROCPRIM_400000_NS6detail17trampoline_kernelINS0_14default_configENS1_20scan_config_selectorIsEEZZNS1_9scan_implILNS1_25lookback_scan_determinismE0ELb0ELb0ES3_N6thrust23THRUST_200600_302600_NS6detail15normal_iteratorINS9_10device_ptrIsEEEESE_s11max_functorIsEsEEDaPvRmT3_T4_T5_mT6_P12ihipStream_tbENKUlT_T0_E_clISt17integral_constantIbLb0EESU_EEDaSP_SQ_EUlSP_E0_NS1_11comp_targetILNS1_3genE3ELNS1_11target_archE908ELNS1_3gpuE7ELNS1_3repE0EEENS1_30default_config_static_selectorELNS0_4arch9wavefront6targetE1EEEvT1_ ; -- Begin function _ZN7rocprim17ROCPRIM_400000_NS6detail17trampoline_kernelINS0_14default_configENS1_20scan_config_selectorIsEEZZNS1_9scan_implILNS1_25lookback_scan_determinismE0ELb0ELb0ES3_N6thrust23THRUST_200600_302600_NS6detail15normal_iteratorINS9_10device_ptrIsEEEESE_s11max_functorIsEsEEDaPvRmT3_T4_T5_mT6_P12ihipStream_tbENKUlT_T0_E_clISt17integral_constantIbLb0EESU_EEDaSP_SQ_EUlSP_E0_NS1_11comp_targetILNS1_3genE3ELNS1_11target_archE908ELNS1_3gpuE7ELNS1_3repE0EEENS1_30default_config_static_selectorELNS0_4arch9wavefront6targetE1EEEvT1_
	.globl	_ZN7rocprim17ROCPRIM_400000_NS6detail17trampoline_kernelINS0_14default_configENS1_20scan_config_selectorIsEEZZNS1_9scan_implILNS1_25lookback_scan_determinismE0ELb0ELb0ES3_N6thrust23THRUST_200600_302600_NS6detail15normal_iteratorINS9_10device_ptrIsEEEESE_s11max_functorIsEsEEDaPvRmT3_T4_T5_mT6_P12ihipStream_tbENKUlT_T0_E_clISt17integral_constantIbLb0EESU_EEDaSP_SQ_EUlSP_E0_NS1_11comp_targetILNS1_3genE3ELNS1_11target_archE908ELNS1_3gpuE7ELNS1_3repE0EEENS1_30default_config_static_selectorELNS0_4arch9wavefront6targetE1EEEvT1_
	.p2align	8
	.type	_ZN7rocprim17ROCPRIM_400000_NS6detail17trampoline_kernelINS0_14default_configENS1_20scan_config_selectorIsEEZZNS1_9scan_implILNS1_25lookback_scan_determinismE0ELb0ELb0ES3_N6thrust23THRUST_200600_302600_NS6detail15normal_iteratorINS9_10device_ptrIsEEEESE_s11max_functorIsEsEEDaPvRmT3_T4_T5_mT6_P12ihipStream_tbENKUlT_T0_E_clISt17integral_constantIbLb0EESU_EEDaSP_SQ_EUlSP_E0_NS1_11comp_targetILNS1_3genE3ELNS1_11target_archE908ELNS1_3gpuE7ELNS1_3repE0EEENS1_30default_config_static_selectorELNS0_4arch9wavefront6targetE1EEEvT1_,@function
_ZN7rocprim17ROCPRIM_400000_NS6detail17trampoline_kernelINS0_14default_configENS1_20scan_config_selectorIsEEZZNS1_9scan_implILNS1_25lookback_scan_determinismE0ELb0ELb0ES3_N6thrust23THRUST_200600_302600_NS6detail15normal_iteratorINS9_10device_ptrIsEEEESE_s11max_functorIsEsEEDaPvRmT3_T4_T5_mT6_P12ihipStream_tbENKUlT_T0_E_clISt17integral_constantIbLb0EESU_EEDaSP_SQ_EUlSP_E0_NS1_11comp_targetILNS1_3genE3ELNS1_11target_archE908ELNS1_3gpuE7ELNS1_3repE0EEENS1_30default_config_static_selectorELNS0_4arch9wavefront6targetE1EEEvT1_: ; @_ZN7rocprim17ROCPRIM_400000_NS6detail17trampoline_kernelINS0_14default_configENS1_20scan_config_selectorIsEEZZNS1_9scan_implILNS1_25lookback_scan_determinismE0ELb0ELb0ES3_N6thrust23THRUST_200600_302600_NS6detail15normal_iteratorINS9_10device_ptrIsEEEESE_s11max_functorIsEsEEDaPvRmT3_T4_T5_mT6_P12ihipStream_tbENKUlT_T0_E_clISt17integral_constantIbLb0EESU_EEDaSP_SQ_EUlSP_E0_NS1_11comp_targetILNS1_3genE3ELNS1_11target_archE908ELNS1_3gpuE7ELNS1_3repE0EEENS1_30default_config_static_selectorELNS0_4arch9wavefront6targetE1EEEvT1_
; %bb.0:
	.section	.rodata,"a",@progbits
	.p2align	6, 0x0
	.amdhsa_kernel _ZN7rocprim17ROCPRIM_400000_NS6detail17trampoline_kernelINS0_14default_configENS1_20scan_config_selectorIsEEZZNS1_9scan_implILNS1_25lookback_scan_determinismE0ELb0ELb0ES3_N6thrust23THRUST_200600_302600_NS6detail15normal_iteratorINS9_10device_ptrIsEEEESE_s11max_functorIsEsEEDaPvRmT3_T4_T5_mT6_P12ihipStream_tbENKUlT_T0_E_clISt17integral_constantIbLb0EESU_EEDaSP_SQ_EUlSP_E0_NS1_11comp_targetILNS1_3genE3ELNS1_11target_archE908ELNS1_3gpuE7ELNS1_3repE0EEENS1_30default_config_static_selectorELNS0_4arch9wavefront6targetE1EEEvT1_
		.amdhsa_group_segment_fixed_size 0
		.amdhsa_private_segment_fixed_size 0
		.amdhsa_kernarg_size 32
		.amdhsa_user_sgpr_count 6
		.amdhsa_user_sgpr_private_segment_buffer 1
		.amdhsa_user_sgpr_dispatch_ptr 0
		.amdhsa_user_sgpr_queue_ptr 0
		.amdhsa_user_sgpr_kernarg_segment_ptr 1
		.amdhsa_user_sgpr_dispatch_id 0
		.amdhsa_user_sgpr_flat_scratch_init 0
		.amdhsa_user_sgpr_kernarg_preload_length 0
		.amdhsa_user_sgpr_kernarg_preload_offset 0
		.amdhsa_user_sgpr_private_segment_size 0
		.amdhsa_uses_dynamic_stack 0
		.amdhsa_system_sgpr_private_segment_wavefront_offset 0
		.amdhsa_system_sgpr_workgroup_id_x 1
		.amdhsa_system_sgpr_workgroup_id_y 0
		.amdhsa_system_sgpr_workgroup_id_z 0
		.amdhsa_system_sgpr_workgroup_info 0
		.amdhsa_system_vgpr_workitem_id 0
		.amdhsa_next_free_vgpr 1
		.amdhsa_next_free_sgpr 0
		.amdhsa_accum_offset 4
		.amdhsa_reserve_vcc 0
		.amdhsa_reserve_flat_scratch 0
		.amdhsa_float_round_mode_32 0
		.amdhsa_float_round_mode_16_64 0
		.amdhsa_float_denorm_mode_32 3
		.amdhsa_float_denorm_mode_16_64 3
		.amdhsa_dx10_clamp 1
		.amdhsa_ieee_mode 1
		.amdhsa_fp16_overflow 0
		.amdhsa_tg_split 0
		.amdhsa_exception_fp_ieee_invalid_op 0
		.amdhsa_exception_fp_denorm_src 0
		.amdhsa_exception_fp_ieee_div_zero 0
		.amdhsa_exception_fp_ieee_overflow 0
		.amdhsa_exception_fp_ieee_underflow 0
		.amdhsa_exception_fp_ieee_inexact 0
		.amdhsa_exception_int_div_zero 0
	.end_amdhsa_kernel
	.section	.text._ZN7rocprim17ROCPRIM_400000_NS6detail17trampoline_kernelINS0_14default_configENS1_20scan_config_selectorIsEEZZNS1_9scan_implILNS1_25lookback_scan_determinismE0ELb0ELb0ES3_N6thrust23THRUST_200600_302600_NS6detail15normal_iteratorINS9_10device_ptrIsEEEESE_s11max_functorIsEsEEDaPvRmT3_T4_T5_mT6_P12ihipStream_tbENKUlT_T0_E_clISt17integral_constantIbLb0EESU_EEDaSP_SQ_EUlSP_E0_NS1_11comp_targetILNS1_3genE3ELNS1_11target_archE908ELNS1_3gpuE7ELNS1_3repE0EEENS1_30default_config_static_selectorELNS0_4arch9wavefront6targetE1EEEvT1_,"axG",@progbits,_ZN7rocprim17ROCPRIM_400000_NS6detail17trampoline_kernelINS0_14default_configENS1_20scan_config_selectorIsEEZZNS1_9scan_implILNS1_25lookback_scan_determinismE0ELb0ELb0ES3_N6thrust23THRUST_200600_302600_NS6detail15normal_iteratorINS9_10device_ptrIsEEEESE_s11max_functorIsEsEEDaPvRmT3_T4_T5_mT6_P12ihipStream_tbENKUlT_T0_E_clISt17integral_constantIbLb0EESU_EEDaSP_SQ_EUlSP_E0_NS1_11comp_targetILNS1_3genE3ELNS1_11target_archE908ELNS1_3gpuE7ELNS1_3repE0EEENS1_30default_config_static_selectorELNS0_4arch9wavefront6targetE1EEEvT1_,comdat
.Lfunc_end2858:
	.size	_ZN7rocprim17ROCPRIM_400000_NS6detail17trampoline_kernelINS0_14default_configENS1_20scan_config_selectorIsEEZZNS1_9scan_implILNS1_25lookback_scan_determinismE0ELb0ELb0ES3_N6thrust23THRUST_200600_302600_NS6detail15normal_iteratorINS9_10device_ptrIsEEEESE_s11max_functorIsEsEEDaPvRmT3_T4_T5_mT6_P12ihipStream_tbENKUlT_T0_E_clISt17integral_constantIbLb0EESU_EEDaSP_SQ_EUlSP_E0_NS1_11comp_targetILNS1_3genE3ELNS1_11target_archE908ELNS1_3gpuE7ELNS1_3repE0EEENS1_30default_config_static_selectorELNS0_4arch9wavefront6targetE1EEEvT1_, .Lfunc_end2858-_ZN7rocprim17ROCPRIM_400000_NS6detail17trampoline_kernelINS0_14default_configENS1_20scan_config_selectorIsEEZZNS1_9scan_implILNS1_25lookback_scan_determinismE0ELb0ELb0ES3_N6thrust23THRUST_200600_302600_NS6detail15normal_iteratorINS9_10device_ptrIsEEEESE_s11max_functorIsEsEEDaPvRmT3_T4_T5_mT6_P12ihipStream_tbENKUlT_T0_E_clISt17integral_constantIbLb0EESU_EEDaSP_SQ_EUlSP_E0_NS1_11comp_targetILNS1_3genE3ELNS1_11target_archE908ELNS1_3gpuE7ELNS1_3repE0EEENS1_30default_config_static_selectorELNS0_4arch9wavefront6targetE1EEEvT1_
                                        ; -- End function
	.section	.AMDGPU.csdata,"",@progbits
; Kernel info:
; codeLenInByte = 0
; NumSgprs: 4
; NumVgprs: 0
; NumAgprs: 0
; TotalNumVgprs: 0
; ScratchSize: 0
; MemoryBound: 0
; FloatMode: 240
; IeeeMode: 1
; LDSByteSize: 0 bytes/workgroup (compile time only)
; SGPRBlocks: 0
; VGPRBlocks: 0
; NumSGPRsForWavesPerEU: 4
; NumVGPRsForWavesPerEU: 1
; AccumOffset: 4
; Occupancy: 8
; WaveLimiterHint : 0
; COMPUTE_PGM_RSRC2:SCRATCH_EN: 0
; COMPUTE_PGM_RSRC2:USER_SGPR: 6
; COMPUTE_PGM_RSRC2:TRAP_HANDLER: 0
; COMPUTE_PGM_RSRC2:TGID_X_EN: 1
; COMPUTE_PGM_RSRC2:TGID_Y_EN: 0
; COMPUTE_PGM_RSRC2:TGID_Z_EN: 0
; COMPUTE_PGM_RSRC2:TIDIG_COMP_CNT: 0
; COMPUTE_PGM_RSRC3_GFX90A:ACCUM_OFFSET: 0
; COMPUTE_PGM_RSRC3_GFX90A:TG_SPLIT: 0
	.section	.text._ZN7rocprim17ROCPRIM_400000_NS6detail17trampoline_kernelINS0_14default_configENS1_20scan_config_selectorIsEEZZNS1_9scan_implILNS1_25lookback_scan_determinismE0ELb0ELb0ES3_N6thrust23THRUST_200600_302600_NS6detail15normal_iteratorINS9_10device_ptrIsEEEESE_s11max_functorIsEsEEDaPvRmT3_T4_T5_mT6_P12ihipStream_tbENKUlT_T0_E_clISt17integral_constantIbLb0EESU_EEDaSP_SQ_EUlSP_E0_NS1_11comp_targetILNS1_3genE2ELNS1_11target_archE906ELNS1_3gpuE6ELNS1_3repE0EEENS1_30default_config_static_selectorELNS0_4arch9wavefront6targetE1EEEvT1_,"axG",@progbits,_ZN7rocprim17ROCPRIM_400000_NS6detail17trampoline_kernelINS0_14default_configENS1_20scan_config_selectorIsEEZZNS1_9scan_implILNS1_25lookback_scan_determinismE0ELb0ELb0ES3_N6thrust23THRUST_200600_302600_NS6detail15normal_iteratorINS9_10device_ptrIsEEEESE_s11max_functorIsEsEEDaPvRmT3_T4_T5_mT6_P12ihipStream_tbENKUlT_T0_E_clISt17integral_constantIbLb0EESU_EEDaSP_SQ_EUlSP_E0_NS1_11comp_targetILNS1_3genE2ELNS1_11target_archE906ELNS1_3gpuE6ELNS1_3repE0EEENS1_30default_config_static_selectorELNS0_4arch9wavefront6targetE1EEEvT1_,comdat
	.protected	_ZN7rocprim17ROCPRIM_400000_NS6detail17trampoline_kernelINS0_14default_configENS1_20scan_config_selectorIsEEZZNS1_9scan_implILNS1_25lookback_scan_determinismE0ELb0ELb0ES3_N6thrust23THRUST_200600_302600_NS6detail15normal_iteratorINS9_10device_ptrIsEEEESE_s11max_functorIsEsEEDaPvRmT3_T4_T5_mT6_P12ihipStream_tbENKUlT_T0_E_clISt17integral_constantIbLb0EESU_EEDaSP_SQ_EUlSP_E0_NS1_11comp_targetILNS1_3genE2ELNS1_11target_archE906ELNS1_3gpuE6ELNS1_3repE0EEENS1_30default_config_static_selectorELNS0_4arch9wavefront6targetE1EEEvT1_ ; -- Begin function _ZN7rocprim17ROCPRIM_400000_NS6detail17trampoline_kernelINS0_14default_configENS1_20scan_config_selectorIsEEZZNS1_9scan_implILNS1_25lookback_scan_determinismE0ELb0ELb0ES3_N6thrust23THRUST_200600_302600_NS6detail15normal_iteratorINS9_10device_ptrIsEEEESE_s11max_functorIsEsEEDaPvRmT3_T4_T5_mT6_P12ihipStream_tbENKUlT_T0_E_clISt17integral_constantIbLb0EESU_EEDaSP_SQ_EUlSP_E0_NS1_11comp_targetILNS1_3genE2ELNS1_11target_archE906ELNS1_3gpuE6ELNS1_3repE0EEENS1_30default_config_static_selectorELNS0_4arch9wavefront6targetE1EEEvT1_
	.globl	_ZN7rocprim17ROCPRIM_400000_NS6detail17trampoline_kernelINS0_14default_configENS1_20scan_config_selectorIsEEZZNS1_9scan_implILNS1_25lookback_scan_determinismE0ELb0ELb0ES3_N6thrust23THRUST_200600_302600_NS6detail15normal_iteratorINS9_10device_ptrIsEEEESE_s11max_functorIsEsEEDaPvRmT3_T4_T5_mT6_P12ihipStream_tbENKUlT_T0_E_clISt17integral_constantIbLb0EESU_EEDaSP_SQ_EUlSP_E0_NS1_11comp_targetILNS1_3genE2ELNS1_11target_archE906ELNS1_3gpuE6ELNS1_3repE0EEENS1_30default_config_static_selectorELNS0_4arch9wavefront6targetE1EEEvT1_
	.p2align	8
	.type	_ZN7rocprim17ROCPRIM_400000_NS6detail17trampoline_kernelINS0_14default_configENS1_20scan_config_selectorIsEEZZNS1_9scan_implILNS1_25lookback_scan_determinismE0ELb0ELb0ES3_N6thrust23THRUST_200600_302600_NS6detail15normal_iteratorINS9_10device_ptrIsEEEESE_s11max_functorIsEsEEDaPvRmT3_T4_T5_mT6_P12ihipStream_tbENKUlT_T0_E_clISt17integral_constantIbLb0EESU_EEDaSP_SQ_EUlSP_E0_NS1_11comp_targetILNS1_3genE2ELNS1_11target_archE906ELNS1_3gpuE6ELNS1_3repE0EEENS1_30default_config_static_selectorELNS0_4arch9wavefront6targetE1EEEvT1_,@function
_ZN7rocprim17ROCPRIM_400000_NS6detail17trampoline_kernelINS0_14default_configENS1_20scan_config_selectorIsEEZZNS1_9scan_implILNS1_25lookback_scan_determinismE0ELb0ELb0ES3_N6thrust23THRUST_200600_302600_NS6detail15normal_iteratorINS9_10device_ptrIsEEEESE_s11max_functorIsEsEEDaPvRmT3_T4_T5_mT6_P12ihipStream_tbENKUlT_T0_E_clISt17integral_constantIbLb0EESU_EEDaSP_SQ_EUlSP_E0_NS1_11comp_targetILNS1_3genE2ELNS1_11target_archE906ELNS1_3gpuE6ELNS1_3repE0EEENS1_30default_config_static_selectorELNS0_4arch9wavefront6targetE1EEEvT1_: ; @_ZN7rocprim17ROCPRIM_400000_NS6detail17trampoline_kernelINS0_14default_configENS1_20scan_config_selectorIsEEZZNS1_9scan_implILNS1_25lookback_scan_determinismE0ELb0ELb0ES3_N6thrust23THRUST_200600_302600_NS6detail15normal_iteratorINS9_10device_ptrIsEEEESE_s11max_functorIsEsEEDaPvRmT3_T4_T5_mT6_P12ihipStream_tbENKUlT_T0_E_clISt17integral_constantIbLb0EESU_EEDaSP_SQ_EUlSP_E0_NS1_11comp_targetILNS1_3genE2ELNS1_11target_archE906ELNS1_3gpuE6ELNS1_3repE0EEENS1_30default_config_static_selectorELNS0_4arch9wavefront6targetE1EEEvT1_
; %bb.0:
	.section	.rodata,"a",@progbits
	.p2align	6, 0x0
	.amdhsa_kernel _ZN7rocprim17ROCPRIM_400000_NS6detail17trampoline_kernelINS0_14default_configENS1_20scan_config_selectorIsEEZZNS1_9scan_implILNS1_25lookback_scan_determinismE0ELb0ELb0ES3_N6thrust23THRUST_200600_302600_NS6detail15normal_iteratorINS9_10device_ptrIsEEEESE_s11max_functorIsEsEEDaPvRmT3_T4_T5_mT6_P12ihipStream_tbENKUlT_T0_E_clISt17integral_constantIbLb0EESU_EEDaSP_SQ_EUlSP_E0_NS1_11comp_targetILNS1_3genE2ELNS1_11target_archE906ELNS1_3gpuE6ELNS1_3repE0EEENS1_30default_config_static_selectorELNS0_4arch9wavefront6targetE1EEEvT1_
		.amdhsa_group_segment_fixed_size 0
		.amdhsa_private_segment_fixed_size 0
		.amdhsa_kernarg_size 32
		.amdhsa_user_sgpr_count 6
		.amdhsa_user_sgpr_private_segment_buffer 1
		.amdhsa_user_sgpr_dispatch_ptr 0
		.amdhsa_user_sgpr_queue_ptr 0
		.amdhsa_user_sgpr_kernarg_segment_ptr 1
		.amdhsa_user_sgpr_dispatch_id 0
		.amdhsa_user_sgpr_flat_scratch_init 0
		.amdhsa_user_sgpr_kernarg_preload_length 0
		.amdhsa_user_sgpr_kernarg_preload_offset 0
		.amdhsa_user_sgpr_private_segment_size 0
		.amdhsa_uses_dynamic_stack 0
		.amdhsa_system_sgpr_private_segment_wavefront_offset 0
		.amdhsa_system_sgpr_workgroup_id_x 1
		.amdhsa_system_sgpr_workgroup_id_y 0
		.amdhsa_system_sgpr_workgroup_id_z 0
		.amdhsa_system_sgpr_workgroup_info 0
		.amdhsa_system_vgpr_workitem_id 0
		.amdhsa_next_free_vgpr 1
		.amdhsa_next_free_sgpr 0
		.amdhsa_accum_offset 4
		.amdhsa_reserve_vcc 0
		.amdhsa_reserve_flat_scratch 0
		.amdhsa_float_round_mode_32 0
		.amdhsa_float_round_mode_16_64 0
		.amdhsa_float_denorm_mode_32 3
		.amdhsa_float_denorm_mode_16_64 3
		.amdhsa_dx10_clamp 1
		.amdhsa_ieee_mode 1
		.amdhsa_fp16_overflow 0
		.amdhsa_tg_split 0
		.amdhsa_exception_fp_ieee_invalid_op 0
		.amdhsa_exception_fp_denorm_src 0
		.amdhsa_exception_fp_ieee_div_zero 0
		.amdhsa_exception_fp_ieee_overflow 0
		.amdhsa_exception_fp_ieee_underflow 0
		.amdhsa_exception_fp_ieee_inexact 0
		.amdhsa_exception_int_div_zero 0
	.end_amdhsa_kernel
	.section	.text._ZN7rocprim17ROCPRIM_400000_NS6detail17trampoline_kernelINS0_14default_configENS1_20scan_config_selectorIsEEZZNS1_9scan_implILNS1_25lookback_scan_determinismE0ELb0ELb0ES3_N6thrust23THRUST_200600_302600_NS6detail15normal_iteratorINS9_10device_ptrIsEEEESE_s11max_functorIsEsEEDaPvRmT3_T4_T5_mT6_P12ihipStream_tbENKUlT_T0_E_clISt17integral_constantIbLb0EESU_EEDaSP_SQ_EUlSP_E0_NS1_11comp_targetILNS1_3genE2ELNS1_11target_archE906ELNS1_3gpuE6ELNS1_3repE0EEENS1_30default_config_static_selectorELNS0_4arch9wavefront6targetE1EEEvT1_,"axG",@progbits,_ZN7rocprim17ROCPRIM_400000_NS6detail17trampoline_kernelINS0_14default_configENS1_20scan_config_selectorIsEEZZNS1_9scan_implILNS1_25lookback_scan_determinismE0ELb0ELb0ES3_N6thrust23THRUST_200600_302600_NS6detail15normal_iteratorINS9_10device_ptrIsEEEESE_s11max_functorIsEsEEDaPvRmT3_T4_T5_mT6_P12ihipStream_tbENKUlT_T0_E_clISt17integral_constantIbLb0EESU_EEDaSP_SQ_EUlSP_E0_NS1_11comp_targetILNS1_3genE2ELNS1_11target_archE906ELNS1_3gpuE6ELNS1_3repE0EEENS1_30default_config_static_selectorELNS0_4arch9wavefront6targetE1EEEvT1_,comdat
.Lfunc_end2859:
	.size	_ZN7rocprim17ROCPRIM_400000_NS6detail17trampoline_kernelINS0_14default_configENS1_20scan_config_selectorIsEEZZNS1_9scan_implILNS1_25lookback_scan_determinismE0ELb0ELb0ES3_N6thrust23THRUST_200600_302600_NS6detail15normal_iteratorINS9_10device_ptrIsEEEESE_s11max_functorIsEsEEDaPvRmT3_T4_T5_mT6_P12ihipStream_tbENKUlT_T0_E_clISt17integral_constantIbLb0EESU_EEDaSP_SQ_EUlSP_E0_NS1_11comp_targetILNS1_3genE2ELNS1_11target_archE906ELNS1_3gpuE6ELNS1_3repE0EEENS1_30default_config_static_selectorELNS0_4arch9wavefront6targetE1EEEvT1_, .Lfunc_end2859-_ZN7rocprim17ROCPRIM_400000_NS6detail17trampoline_kernelINS0_14default_configENS1_20scan_config_selectorIsEEZZNS1_9scan_implILNS1_25lookback_scan_determinismE0ELb0ELb0ES3_N6thrust23THRUST_200600_302600_NS6detail15normal_iteratorINS9_10device_ptrIsEEEESE_s11max_functorIsEsEEDaPvRmT3_T4_T5_mT6_P12ihipStream_tbENKUlT_T0_E_clISt17integral_constantIbLb0EESU_EEDaSP_SQ_EUlSP_E0_NS1_11comp_targetILNS1_3genE2ELNS1_11target_archE906ELNS1_3gpuE6ELNS1_3repE0EEENS1_30default_config_static_selectorELNS0_4arch9wavefront6targetE1EEEvT1_
                                        ; -- End function
	.section	.AMDGPU.csdata,"",@progbits
; Kernel info:
; codeLenInByte = 0
; NumSgprs: 4
; NumVgprs: 0
; NumAgprs: 0
; TotalNumVgprs: 0
; ScratchSize: 0
; MemoryBound: 0
; FloatMode: 240
; IeeeMode: 1
; LDSByteSize: 0 bytes/workgroup (compile time only)
; SGPRBlocks: 0
; VGPRBlocks: 0
; NumSGPRsForWavesPerEU: 4
; NumVGPRsForWavesPerEU: 1
; AccumOffset: 4
; Occupancy: 8
; WaveLimiterHint : 0
; COMPUTE_PGM_RSRC2:SCRATCH_EN: 0
; COMPUTE_PGM_RSRC2:USER_SGPR: 6
; COMPUTE_PGM_RSRC2:TRAP_HANDLER: 0
; COMPUTE_PGM_RSRC2:TGID_X_EN: 1
; COMPUTE_PGM_RSRC2:TGID_Y_EN: 0
; COMPUTE_PGM_RSRC2:TGID_Z_EN: 0
; COMPUTE_PGM_RSRC2:TIDIG_COMP_CNT: 0
; COMPUTE_PGM_RSRC3_GFX90A:ACCUM_OFFSET: 0
; COMPUTE_PGM_RSRC3_GFX90A:TG_SPLIT: 0
	.section	.text._ZN7rocprim17ROCPRIM_400000_NS6detail17trampoline_kernelINS0_14default_configENS1_20scan_config_selectorIsEEZZNS1_9scan_implILNS1_25lookback_scan_determinismE0ELb0ELb0ES3_N6thrust23THRUST_200600_302600_NS6detail15normal_iteratorINS9_10device_ptrIsEEEESE_s11max_functorIsEsEEDaPvRmT3_T4_T5_mT6_P12ihipStream_tbENKUlT_T0_E_clISt17integral_constantIbLb0EESU_EEDaSP_SQ_EUlSP_E0_NS1_11comp_targetILNS1_3genE10ELNS1_11target_archE1201ELNS1_3gpuE5ELNS1_3repE0EEENS1_30default_config_static_selectorELNS0_4arch9wavefront6targetE1EEEvT1_,"axG",@progbits,_ZN7rocprim17ROCPRIM_400000_NS6detail17trampoline_kernelINS0_14default_configENS1_20scan_config_selectorIsEEZZNS1_9scan_implILNS1_25lookback_scan_determinismE0ELb0ELb0ES3_N6thrust23THRUST_200600_302600_NS6detail15normal_iteratorINS9_10device_ptrIsEEEESE_s11max_functorIsEsEEDaPvRmT3_T4_T5_mT6_P12ihipStream_tbENKUlT_T0_E_clISt17integral_constantIbLb0EESU_EEDaSP_SQ_EUlSP_E0_NS1_11comp_targetILNS1_3genE10ELNS1_11target_archE1201ELNS1_3gpuE5ELNS1_3repE0EEENS1_30default_config_static_selectorELNS0_4arch9wavefront6targetE1EEEvT1_,comdat
	.protected	_ZN7rocprim17ROCPRIM_400000_NS6detail17trampoline_kernelINS0_14default_configENS1_20scan_config_selectorIsEEZZNS1_9scan_implILNS1_25lookback_scan_determinismE0ELb0ELb0ES3_N6thrust23THRUST_200600_302600_NS6detail15normal_iteratorINS9_10device_ptrIsEEEESE_s11max_functorIsEsEEDaPvRmT3_T4_T5_mT6_P12ihipStream_tbENKUlT_T0_E_clISt17integral_constantIbLb0EESU_EEDaSP_SQ_EUlSP_E0_NS1_11comp_targetILNS1_3genE10ELNS1_11target_archE1201ELNS1_3gpuE5ELNS1_3repE0EEENS1_30default_config_static_selectorELNS0_4arch9wavefront6targetE1EEEvT1_ ; -- Begin function _ZN7rocprim17ROCPRIM_400000_NS6detail17trampoline_kernelINS0_14default_configENS1_20scan_config_selectorIsEEZZNS1_9scan_implILNS1_25lookback_scan_determinismE0ELb0ELb0ES3_N6thrust23THRUST_200600_302600_NS6detail15normal_iteratorINS9_10device_ptrIsEEEESE_s11max_functorIsEsEEDaPvRmT3_T4_T5_mT6_P12ihipStream_tbENKUlT_T0_E_clISt17integral_constantIbLb0EESU_EEDaSP_SQ_EUlSP_E0_NS1_11comp_targetILNS1_3genE10ELNS1_11target_archE1201ELNS1_3gpuE5ELNS1_3repE0EEENS1_30default_config_static_selectorELNS0_4arch9wavefront6targetE1EEEvT1_
	.globl	_ZN7rocprim17ROCPRIM_400000_NS6detail17trampoline_kernelINS0_14default_configENS1_20scan_config_selectorIsEEZZNS1_9scan_implILNS1_25lookback_scan_determinismE0ELb0ELb0ES3_N6thrust23THRUST_200600_302600_NS6detail15normal_iteratorINS9_10device_ptrIsEEEESE_s11max_functorIsEsEEDaPvRmT3_T4_T5_mT6_P12ihipStream_tbENKUlT_T0_E_clISt17integral_constantIbLb0EESU_EEDaSP_SQ_EUlSP_E0_NS1_11comp_targetILNS1_3genE10ELNS1_11target_archE1201ELNS1_3gpuE5ELNS1_3repE0EEENS1_30default_config_static_selectorELNS0_4arch9wavefront6targetE1EEEvT1_
	.p2align	8
	.type	_ZN7rocprim17ROCPRIM_400000_NS6detail17trampoline_kernelINS0_14default_configENS1_20scan_config_selectorIsEEZZNS1_9scan_implILNS1_25lookback_scan_determinismE0ELb0ELb0ES3_N6thrust23THRUST_200600_302600_NS6detail15normal_iteratorINS9_10device_ptrIsEEEESE_s11max_functorIsEsEEDaPvRmT3_T4_T5_mT6_P12ihipStream_tbENKUlT_T0_E_clISt17integral_constantIbLb0EESU_EEDaSP_SQ_EUlSP_E0_NS1_11comp_targetILNS1_3genE10ELNS1_11target_archE1201ELNS1_3gpuE5ELNS1_3repE0EEENS1_30default_config_static_selectorELNS0_4arch9wavefront6targetE1EEEvT1_,@function
_ZN7rocprim17ROCPRIM_400000_NS6detail17trampoline_kernelINS0_14default_configENS1_20scan_config_selectorIsEEZZNS1_9scan_implILNS1_25lookback_scan_determinismE0ELb0ELb0ES3_N6thrust23THRUST_200600_302600_NS6detail15normal_iteratorINS9_10device_ptrIsEEEESE_s11max_functorIsEsEEDaPvRmT3_T4_T5_mT6_P12ihipStream_tbENKUlT_T0_E_clISt17integral_constantIbLb0EESU_EEDaSP_SQ_EUlSP_E0_NS1_11comp_targetILNS1_3genE10ELNS1_11target_archE1201ELNS1_3gpuE5ELNS1_3repE0EEENS1_30default_config_static_selectorELNS0_4arch9wavefront6targetE1EEEvT1_: ; @_ZN7rocprim17ROCPRIM_400000_NS6detail17trampoline_kernelINS0_14default_configENS1_20scan_config_selectorIsEEZZNS1_9scan_implILNS1_25lookback_scan_determinismE0ELb0ELb0ES3_N6thrust23THRUST_200600_302600_NS6detail15normal_iteratorINS9_10device_ptrIsEEEESE_s11max_functorIsEsEEDaPvRmT3_T4_T5_mT6_P12ihipStream_tbENKUlT_T0_E_clISt17integral_constantIbLb0EESU_EEDaSP_SQ_EUlSP_E0_NS1_11comp_targetILNS1_3genE10ELNS1_11target_archE1201ELNS1_3gpuE5ELNS1_3repE0EEENS1_30default_config_static_selectorELNS0_4arch9wavefront6targetE1EEEvT1_
; %bb.0:
	.section	.rodata,"a",@progbits
	.p2align	6, 0x0
	.amdhsa_kernel _ZN7rocprim17ROCPRIM_400000_NS6detail17trampoline_kernelINS0_14default_configENS1_20scan_config_selectorIsEEZZNS1_9scan_implILNS1_25lookback_scan_determinismE0ELb0ELb0ES3_N6thrust23THRUST_200600_302600_NS6detail15normal_iteratorINS9_10device_ptrIsEEEESE_s11max_functorIsEsEEDaPvRmT3_T4_T5_mT6_P12ihipStream_tbENKUlT_T0_E_clISt17integral_constantIbLb0EESU_EEDaSP_SQ_EUlSP_E0_NS1_11comp_targetILNS1_3genE10ELNS1_11target_archE1201ELNS1_3gpuE5ELNS1_3repE0EEENS1_30default_config_static_selectorELNS0_4arch9wavefront6targetE1EEEvT1_
		.amdhsa_group_segment_fixed_size 0
		.amdhsa_private_segment_fixed_size 0
		.amdhsa_kernarg_size 32
		.amdhsa_user_sgpr_count 6
		.amdhsa_user_sgpr_private_segment_buffer 1
		.amdhsa_user_sgpr_dispatch_ptr 0
		.amdhsa_user_sgpr_queue_ptr 0
		.amdhsa_user_sgpr_kernarg_segment_ptr 1
		.amdhsa_user_sgpr_dispatch_id 0
		.amdhsa_user_sgpr_flat_scratch_init 0
		.amdhsa_user_sgpr_kernarg_preload_length 0
		.amdhsa_user_sgpr_kernarg_preload_offset 0
		.amdhsa_user_sgpr_private_segment_size 0
		.amdhsa_uses_dynamic_stack 0
		.amdhsa_system_sgpr_private_segment_wavefront_offset 0
		.amdhsa_system_sgpr_workgroup_id_x 1
		.amdhsa_system_sgpr_workgroup_id_y 0
		.amdhsa_system_sgpr_workgroup_id_z 0
		.amdhsa_system_sgpr_workgroup_info 0
		.amdhsa_system_vgpr_workitem_id 0
		.amdhsa_next_free_vgpr 1
		.amdhsa_next_free_sgpr 0
		.amdhsa_accum_offset 4
		.amdhsa_reserve_vcc 0
		.amdhsa_reserve_flat_scratch 0
		.amdhsa_float_round_mode_32 0
		.amdhsa_float_round_mode_16_64 0
		.amdhsa_float_denorm_mode_32 3
		.amdhsa_float_denorm_mode_16_64 3
		.amdhsa_dx10_clamp 1
		.amdhsa_ieee_mode 1
		.amdhsa_fp16_overflow 0
		.amdhsa_tg_split 0
		.amdhsa_exception_fp_ieee_invalid_op 0
		.amdhsa_exception_fp_denorm_src 0
		.amdhsa_exception_fp_ieee_div_zero 0
		.amdhsa_exception_fp_ieee_overflow 0
		.amdhsa_exception_fp_ieee_underflow 0
		.amdhsa_exception_fp_ieee_inexact 0
		.amdhsa_exception_int_div_zero 0
	.end_amdhsa_kernel
	.section	.text._ZN7rocprim17ROCPRIM_400000_NS6detail17trampoline_kernelINS0_14default_configENS1_20scan_config_selectorIsEEZZNS1_9scan_implILNS1_25lookback_scan_determinismE0ELb0ELb0ES3_N6thrust23THRUST_200600_302600_NS6detail15normal_iteratorINS9_10device_ptrIsEEEESE_s11max_functorIsEsEEDaPvRmT3_T4_T5_mT6_P12ihipStream_tbENKUlT_T0_E_clISt17integral_constantIbLb0EESU_EEDaSP_SQ_EUlSP_E0_NS1_11comp_targetILNS1_3genE10ELNS1_11target_archE1201ELNS1_3gpuE5ELNS1_3repE0EEENS1_30default_config_static_selectorELNS0_4arch9wavefront6targetE1EEEvT1_,"axG",@progbits,_ZN7rocprim17ROCPRIM_400000_NS6detail17trampoline_kernelINS0_14default_configENS1_20scan_config_selectorIsEEZZNS1_9scan_implILNS1_25lookback_scan_determinismE0ELb0ELb0ES3_N6thrust23THRUST_200600_302600_NS6detail15normal_iteratorINS9_10device_ptrIsEEEESE_s11max_functorIsEsEEDaPvRmT3_T4_T5_mT6_P12ihipStream_tbENKUlT_T0_E_clISt17integral_constantIbLb0EESU_EEDaSP_SQ_EUlSP_E0_NS1_11comp_targetILNS1_3genE10ELNS1_11target_archE1201ELNS1_3gpuE5ELNS1_3repE0EEENS1_30default_config_static_selectorELNS0_4arch9wavefront6targetE1EEEvT1_,comdat
.Lfunc_end2860:
	.size	_ZN7rocprim17ROCPRIM_400000_NS6detail17trampoline_kernelINS0_14default_configENS1_20scan_config_selectorIsEEZZNS1_9scan_implILNS1_25lookback_scan_determinismE0ELb0ELb0ES3_N6thrust23THRUST_200600_302600_NS6detail15normal_iteratorINS9_10device_ptrIsEEEESE_s11max_functorIsEsEEDaPvRmT3_T4_T5_mT6_P12ihipStream_tbENKUlT_T0_E_clISt17integral_constantIbLb0EESU_EEDaSP_SQ_EUlSP_E0_NS1_11comp_targetILNS1_3genE10ELNS1_11target_archE1201ELNS1_3gpuE5ELNS1_3repE0EEENS1_30default_config_static_selectorELNS0_4arch9wavefront6targetE1EEEvT1_, .Lfunc_end2860-_ZN7rocprim17ROCPRIM_400000_NS6detail17trampoline_kernelINS0_14default_configENS1_20scan_config_selectorIsEEZZNS1_9scan_implILNS1_25lookback_scan_determinismE0ELb0ELb0ES3_N6thrust23THRUST_200600_302600_NS6detail15normal_iteratorINS9_10device_ptrIsEEEESE_s11max_functorIsEsEEDaPvRmT3_T4_T5_mT6_P12ihipStream_tbENKUlT_T0_E_clISt17integral_constantIbLb0EESU_EEDaSP_SQ_EUlSP_E0_NS1_11comp_targetILNS1_3genE10ELNS1_11target_archE1201ELNS1_3gpuE5ELNS1_3repE0EEENS1_30default_config_static_selectorELNS0_4arch9wavefront6targetE1EEEvT1_
                                        ; -- End function
	.section	.AMDGPU.csdata,"",@progbits
; Kernel info:
; codeLenInByte = 0
; NumSgprs: 4
; NumVgprs: 0
; NumAgprs: 0
; TotalNumVgprs: 0
; ScratchSize: 0
; MemoryBound: 0
; FloatMode: 240
; IeeeMode: 1
; LDSByteSize: 0 bytes/workgroup (compile time only)
; SGPRBlocks: 0
; VGPRBlocks: 0
; NumSGPRsForWavesPerEU: 4
; NumVGPRsForWavesPerEU: 1
; AccumOffset: 4
; Occupancy: 8
; WaveLimiterHint : 0
; COMPUTE_PGM_RSRC2:SCRATCH_EN: 0
; COMPUTE_PGM_RSRC2:USER_SGPR: 6
; COMPUTE_PGM_RSRC2:TRAP_HANDLER: 0
; COMPUTE_PGM_RSRC2:TGID_X_EN: 1
; COMPUTE_PGM_RSRC2:TGID_Y_EN: 0
; COMPUTE_PGM_RSRC2:TGID_Z_EN: 0
; COMPUTE_PGM_RSRC2:TIDIG_COMP_CNT: 0
; COMPUTE_PGM_RSRC3_GFX90A:ACCUM_OFFSET: 0
; COMPUTE_PGM_RSRC3_GFX90A:TG_SPLIT: 0
	.section	.text._ZN7rocprim17ROCPRIM_400000_NS6detail17trampoline_kernelINS0_14default_configENS1_20scan_config_selectorIsEEZZNS1_9scan_implILNS1_25lookback_scan_determinismE0ELb0ELb0ES3_N6thrust23THRUST_200600_302600_NS6detail15normal_iteratorINS9_10device_ptrIsEEEESE_s11max_functorIsEsEEDaPvRmT3_T4_T5_mT6_P12ihipStream_tbENKUlT_T0_E_clISt17integral_constantIbLb0EESU_EEDaSP_SQ_EUlSP_E0_NS1_11comp_targetILNS1_3genE10ELNS1_11target_archE1200ELNS1_3gpuE4ELNS1_3repE0EEENS1_30default_config_static_selectorELNS0_4arch9wavefront6targetE1EEEvT1_,"axG",@progbits,_ZN7rocprim17ROCPRIM_400000_NS6detail17trampoline_kernelINS0_14default_configENS1_20scan_config_selectorIsEEZZNS1_9scan_implILNS1_25lookback_scan_determinismE0ELb0ELb0ES3_N6thrust23THRUST_200600_302600_NS6detail15normal_iteratorINS9_10device_ptrIsEEEESE_s11max_functorIsEsEEDaPvRmT3_T4_T5_mT6_P12ihipStream_tbENKUlT_T0_E_clISt17integral_constantIbLb0EESU_EEDaSP_SQ_EUlSP_E0_NS1_11comp_targetILNS1_3genE10ELNS1_11target_archE1200ELNS1_3gpuE4ELNS1_3repE0EEENS1_30default_config_static_selectorELNS0_4arch9wavefront6targetE1EEEvT1_,comdat
	.protected	_ZN7rocprim17ROCPRIM_400000_NS6detail17trampoline_kernelINS0_14default_configENS1_20scan_config_selectorIsEEZZNS1_9scan_implILNS1_25lookback_scan_determinismE0ELb0ELb0ES3_N6thrust23THRUST_200600_302600_NS6detail15normal_iteratorINS9_10device_ptrIsEEEESE_s11max_functorIsEsEEDaPvRmT3_T4_T5_mT6_P12ihipStream_tbENKUlT_T0_E_clISt17integral_constantIbLb0EESU_EEDaSP_SQ_EUlSP_E0_NS1_11comp_targetILNS1_3genE10ELNS1_11target_archE1200ELNS1_3gpuE4ELNS1_3repE0EEENS1_30default_config_static_selectorELNS0_4arch9wavefront6targetE1EEEvT1_ ; -- Begin function _ZN7rocprim17ROCPRIM_400000_NS6detail17trampoline_kernelINS0_14default_configENS1_20scan_config_selectorIsEEZZNS1_9scan_implILNS1_25lookback_scan_determinismE0ELb0ELb0ES3_N6thrust23THRUST_200600_302600_NS6detail15normal_iteratorINS9_10device_ptrIsEEEESE_s11max_functorIsEsEEDaPvRmT3_T4_T5_mT6_P12ihipStream_tbENKUlT_T0_E_clISt17integral_constantIbLb0EESU_EEDaSP_SQ_EUlSP_E0_NS1_11comp_targetILNS1_3genE10ELNS1_11target_archE1200ELNS1_3gpuE4ELNS1_3repE0EEENS1_30default_config_static_selectorELNS0_4arch9wavefront6targetE1EEEvT1_
	.globl	_ZN7rocprim17ROCPRIM_400000_NS6detail17trampoline_kernelINS0_14default_configENS1_20scan_config_selectorIsEEZZNS1_9scan_implILNS1_25lookback_scan_determinismE0ELb0ELb0ES3_N6thrust23THRUST_200600_302600_NS6detail15normal_iteratorINS9_10device_ptrIsEEEESE_s11max_functorIsEsEEDaPvRmT3_T4_T5_mT6_P12ihipStream_tbENKUlT_T0_E_clISt17integral_constantIbLb0EESU_EEDaSP_SQ_EUlSP_E0_NS1_11comp_targetILNS1_3genE10ELNS1_11target_archE1200ELNS1_3gpuE4ELNS1_3repE0EEENS1_30default_config_static_selectorELNS0_4arch9wavefront6targetE1EEEvT1_
	.p2align	8
	.type	_ZN7rocprim17ROCPRIM_400000_NS6detail17trampoline_kernelINS0_14default_configENS1_20scan_config_selectorIsEEZZNS1_9scan_implILNS1_25lookback_scan_determinismE0ELb0ELb0ES3_N6thrust23THRUST_200600_302600_NS6detail15normal_iteratorINS9_10device_ptrIsEEEESE_s11max_functorIsEsEEDaPvRmT3_T4_T5_mT6_P12ihipStream_tbENKUlT_T0_E_clISt17integral_constantIbLb0EESU_EEDaSP_SQ_EUlSP_E0_NS1_11comp_targetILNS1_3genE10ELNS1_11target_archE1200ELNS1_3gpuE4ELNS1_3repE0EEENS1_30default_config_static_selectorELNS0_4arch9wavefront6targetE1EEEvT1_,@function
_ZN7rocprim17ROCPRIM_400000_NS6detail17trampoline_kernelINS0_14default_configENS1_20scan_config_selectorIsEEZZNS1_9scan_implILNS1_25lookback_scan_determinismE0ELb0ELb0ES3_N6thrust23THRUST_200600_302600_NS6detail15normal_iteratorINS9_10device_ptrIsEEEESE_s11max_functorIsEsEEDaPvRmT3_T4_T5_mT6_P12ihipStream_tbENKUlT_T0_E_clISt17integral_constantIbLb0EESU_EEDaSP_SQ_EUlSP_E0_NS1_11comp_targetILNS1_3genE10ELNS1_11target_archE1200ELNS1_3gpuE4ELNS1_3repE0EEENS1_30default_config_static_selectorELNS0_4arch9wavefront6targetE1EEEvT1_: ; @_ZN7rocprim17ROCPRIM_400000_NS6detail17trampoline_kernelINS0_14default_configENS1_20scan_config_selectorIsEEZZNS1_9scan_implILNS1_25lookback_scan_determinismE0ELb0ELb0ES3_N6thrust23THRUST_200600_302600_NS6detail15normal_iteratorINS9_10device_ptrIsEEEESE_s11max_functorIsEsEEDaPvRmT3_T4_T5_mT6_P12ihipStream_tbENKUlT_T0_E_clISt17integral_constantIbLb0EESU_EEDaSP_SQ_EUlSP_E0_NS1_11comp_targetILNS1_3genE10ELNS1_11target_archE1200ELNS1_3gpuE4ELNS1_3repE0EEENS1_30default_config_static_selectorELNS0_4arch9wavefront6targetE1EEEvT1_
; %bb.0:
	.section	.rodata,"a",@progbits
	.p2align	6, 0x0
	.amdhsa_kernel _ZN7rocprim17ROCPRIM_400000_NS6detail17trampoline_kernelINS0_14default_configENS1_20scan_config_selectorIsEEZZNS1_9scan_implILNS1_25lookback_scan_determinismE0ELb0ELb0ES3_N6thrust23THRUST_200600_302600_NS6detail15normal_iteratorINS9_10device_ptrIsEEEESE_s11max_functorIsEsEEDaPvRmT3_T4_T5_mT6_P12ihipStream_tbENKUlT_T0_E_clISt17integral_constantIbLb0EESU_EEDaSP_SQ_EUlSP_E0_NS1_11comp_targetILNS1_3genE10ELNS1_11target_archE1200ELNS1_3gpuE4ELNS1_3repE0EEENS1_30default_config_static_selectorELNS0_4arch9wavefront6targetE1EEEvT1_
		.amdhsa_group_segment_fixed_size 0
		.amdhsa_private_segment_fixed_size 0
		.amdhsa_kernarg_size 32
		.amdhsa_user_sgpr_count 6
		.amdhsa_user_sgpr_private_segment_buffer 1
		.amdhsa_user_sgpr_dispatch_ptr 0
		.amdhsa_user_sgpr_queue_ptr 0
		.amdhsa_user_sgpr_kernarg_segment_ptr 1
		.amdhsa_user_sgpr_dispatch_id 0
		.amdhsa_user_sgpr_flat_scratch_init 0
		.amdhsa_user_sgpr_kernarg_preload_length 0
		.amdhsa_user_sgpr_kernarg_preload_offset 0
		.amdhsa_user_sgpr_private_segment_size 0
		.amdhsa_uses_dynamic_stack 0
		.amdhsa_system_sgpr_private_segment_wavefront_offset 0
		.amdhsa_system_sgpr_workgroup_id_x 1
		.amdhsa_system_sgpr_workgroup_id_y 0
		.amdhsa_system_sgpr_workgroup_id_z 0
		.amdhsa_system_sgpr_workgroup_info 0
		.amdhsa_system_vgpr_workitem_id 0
		.amdhsa_next_free_vgpr 1
		.amdhsa_next_free_sgpr 0
		.amdhsa_accum_offset 4
		.amdhsa_reserve_vcc 0
		.amdhsa_reserve_flat_scratch 0
		.amdhsa_float_round_mode_32 0
		.amdhsa_float_round_mode_16_64 0
		.amdhsa_float_denorm_mode_32 3
		.amdhsa_float_denorm_mode_16_64 3
		.amdhsa_dx10_clamp 1
		.amdhsa_ieee_mode 1
		.amdhsa_fp16_overflow 0
		.amdhsa_tg_split 0
		.amdhsa_exception_fp_ieee_invalid_op 0
		.amdhsa_exception_fp_denorm_src 0
		.amdhsa_exception_fp_ieee_div_zero 0
		.amdhsa_exception_fp_ieee_overflow 0
		.amdhsa_exception_fp_ieee_underflow 0
		.amdhsa_exception_fp_ieee_inexact 0
		.amdhsa_exception_int_div_zero 0
	.end_amdhsa_kernel
	.section	.text._ZN7rocprim17ROCPRIM_400000_NS6detail17trampoline_kernelINS0_14default_configENS1_20scan_config_selectorIsEEZZNS1_9scan_implILNS1_25lookback_scan_determinismE0ELb0ELb0ES3_N6thrust23THRUST_200600_302600_NS6detail15normal_iteratorINS9_10device_ptrIsEEEESE_s11max_functorIsEsEEDaPvRmT3_T4_T5_mT6_P12ihipStream_tbENKUlT_T0_E_clISt17integral_constantIbLb0EESU_EEDaSP_SQ_EUlSP_E0_NS1_11comp_targetILNS1_3genE10ELNS1_11target_archE1200ELNS1_3gpuE4ELNS1_3repE0EEENS1_30default_config_static_selectorELNS0_4arch9wavefront6targetE1EEEvT1_,"axG",@progbits,_ZN7rocprim17ROCPRIM_400000_NS6detail17trampoline_kernelINS0_14default_configENS1_20scan_config_selectorIsEEZZNS1_9scan_implILNS1_25lookback_scan_determinismE0ELb0ELb0ES3_N6thrust23THRUST_200600_302600_NS6detail15normal_iteratorINS9_10device_ptrIsEEEESE_s11max_functorIsEsEEDaPvRmT3_T4_T5_mT6_P12ihipStream_tbENKUlT_T0_E_clISt17integral_constantIbLb0EESU_EEDaSP_SQ_EUlSP_E0_NS1_11comp_targetILNS1_3genE10ELNS1_11target_archE1200ELNS1_3gpuE4ELNS1_3repE0EEENS1_30default_config_static_selectorELNS0_4arch9wavefront6targetE1EEEvT1_,comdat
.Lfunc_end2861:
	.size	_ZN7rocprim17ROCPRIM_400000_NS6detail17trampoline_kernelINS0_14default_configENS1_20scan_config_selectorIsEEZZNS1_9scan_implILNS1_25lookback_scan_determinismE0ELb0ELb0ES3_N6thrust23THRUST_200600_302600_NS6detail15normal_iteratorINS9_10device_ptrIsEEEESE_s11max_functorIsEsEEDaPvRmT3_T4_T5_mT6_P12ihipStream_tbENKUlT_T0_E_clISt17integral_constantIbLb0EESU_EEDaSP_SQ_EUlSP_E0_NS1_11comp_targetILNS1_3genE10ELNS1_11target_archE1200ELNS1_3gpuE4ELNS1_3repE0EEENS1_30default_config_static_selectorELNS0_4arch9wavefront6targetE1EEEvT1_, .Lfunc_end2861-_ZN7rocprim17ROCPRIM_400000_NS6detail17trampoline_kernelINS0_14default_configENS1_20scan_config_selectorIsEEZZNS1_9scan_implILNS1_25lookback_scan_determinismE0ELb0ELb0ES3_N6thrust23THRUST_200600_302600_NS6detail15normal_iteratorINS9_10device_ptrIsEEEESE_s11max_functorIsEsEEDaPvRmT3_T4_T5_mT6_P12ihipStream_tbENKUlT_T0_E_clISt17integral_constantIbLb0EESU_EEDaSP_SQ_EUlSP_E0_NS1_11comp_targetILNS1_3genE10ELNS1_11target_archE1200ELNS1_3gpuE4ELNS1_3repE0EEENS1_30default_config_static_selectorELNS0_4arch9wavefront6targetE1EEEvT1_
                                        ; -- End function
	.section	.AMDGPU.csdata,"",@progbits
; Kernel info:
; codeLenInByte = 0
; NumSgprs: 4
; NumVgprs: 0
; NumAgprs: 0
; TotalNumVgprs: 0
; ScratchSize: 0
; MemoryBound: 0
; FloatMode: 240
; IeeeMode: 1
; LDSByteSize: 0 bytes/workgroup (compile time only)
; SGPRBlocks: 0
; VGPRBlocks: 0
; NumSGPRsForWavesPerEU: 4
; NumVGPRsForWavesPerEU: 1
; AccumOffset: 4
; Occupancy: 8
; WaveLimiterHint : 0
; COMPUTE_PGM_RSRC2:SCRATCH_EN: 0
; COMPUTE_PGM_RSRC2:USER_SGPR: 6
; COMPUTE_PGM_RSRC2:TRAP_HANDLER: 0
; COMPUTE_PGM_RSRC2:TGID_X_EN: 1
; COMPUTE_PGM_RSRC2:TGID_Y_EN: 0
; COMPUTE_PGM_RSRC2:TGID_Z_EN: 0
; COMPUTE_PGM_RSRC2:TIDIG_COMP_CNT: 0
; COMPUTE_PGM_RSRC3_GFX90A:ACCUM_OFFSET: 0
; COMPUTE_PGM_RSRC3_GFX90A:TG_SPLIT: 0
	.section	.text._ZN7rocprim17ROCPRIM_400000_NS6detail17trampoline_kernelINS0_14default_configENS1_20scan_config_selectorIsEEZZNS1_9scan_implILNS1_25lookback_scan_determinismE0ELb0ELb0ES3_N6thrust23THRUST_200600_302600_NS6detail15normal_iteratorINS9_10device_ptrIsEEEESE_s11max_functorIsEsEEDaPvRmT3_T4_T5_mT6_P12ihipStream_tbENKUlT_T0_E_clISt17integral_constantIbLb0EESU_EEDaSP_SQ_EUlSP_E0_NS1_11comp_targetILNS1_3genE9ELNS1_11target_archE1100ELNS1_3gpuE3ELNS1_3repE0EEENS1_30default_config_static_selectorELNS0_4arch9wavefront6targetE1EEEvT1_,"axG",@progbits,_ZN7rocprim17ROCPRIM_400000_NS6detail17trampoline_kernelINS0_14default_configENS1_20scan_config_selectorIsEEZZNS1_9scan_implILNS1_25lookback_scan_determinismE0ELb0ELb0ES3_N6thrust23THRUST_200600_302600_NS6detail15normal_iteratorINS9_10device_ptrIsEEEESE_s11max_functorIsEsEEDaPvRmT3_T4_T5_mT6_P12ihipStream_tbENKUlT_T0_E_clISt17integral_constantIbLb0EESU_EEDaSP_SQ_EUlSP_E0_NS1_11comp_targetILNS1_3genE9ELNS1_11target_archE1100ELNS1_3gpuE3ELNS1_3repE0EEENS1_30default_config_static_selectorELNS0_4arch9wavefront6targetE1EEEvT1_,comdat
	.protected	_ZN7rocprim17ROCPRIM_400000_NS6detail17trampoline_kernelINS0_14default_configENS1_20scan_config_selectorIsEEZZNS1_9scan_implILNS1_25lookback_scan_determinismE0ELb0ELb0ES3_N6thrust23THRUST_200600_302600_NS6detail15normal_iteratorINS9_10device_ptrIsEEEESE_s11max_functorIsEsEEDaPvRmT3_T4_T5_mT6_P12ihipStream_tbENKUlT_T0_E_clISt17integral_constantIbLb0EESU_EEDaSP_SQ_EUlSP_E0_NS1_11comp_targetILNS1_3genE9ELNS1_11target_archE1100ELNS1_3gpuE3ELNS1_3repE0EEENS1_30default_config_static_selectorELNS0_4arch9wavefront6targetE1EEEvT1_ ; -- Begin function _ZN7rocprim17ROCPRIM_400000_NS6detail17trampoline_kernelINS0_14default_configENS1_20scan_config_selectorIsEEZZNS1_9scan_implILNS1_25lookback_scan_determinismE0ELb0ELb0ES3_N6thrust23THRUST_200600_302600_NS6detail15normal_iteratorINS9_10device_ptrIsEEEESE_s11max_functorIsEsEEDaPvRmT3_T4_T5_mT6_P12ihipStream_tbENKUlT_T0_E_clISt17integral_constantIbLb0EESU_EEDaSP_SQ_EUlSP_E0_NS1_11comp_targetILNS1_3genE9ELNS1_11target_archE1100ELNS1_3gpuE3ELNS1_3repE0EEENS1_30default_config_static_selectorELNS0_4arch9wavefront6targetE1EEEvT1_
	.globl	_ZN7rocprim17ROCPRIM_400000_NS6detail17trampoline_kernelINS0_14default_configENS1_20scan_config_selectorIsEEZZNS1_9scan_implILNS1_25lookback_scan_determinismE0ELb0ELb0ES3_N6thrust23THRUST_200600_302600_NS6detail15normal_iteratorINS9_10device_ptrIsEEEESE_s11max_functorIsEsEEDaPvRmT3_T4_T5_mT6_P12ihipStream_tbENKUlT_T0_E_clISt17integral_constantIbLb0EESU_EEDaSP_SQ_EUlSP_E0_NS1_11comp_targetILNS1_3genE9ELNS1_11target_archE1100ELNS1_3gpuE3ELNS1_3repE0EEENS1_30default_config_static_selectorELNS0_4arch9wavefront6targetE1EEEvT1_
	.p2align	8
	.type	_ZN7rocprim17ROCPRIM_400000_NS6detail17trampoline_kernelINS0_14default_configENS1_20scan_config_selectorIsEEZZNS1_9scan_implILNS1_25lookback_scan_determinismE0ELb0ELb0ES3_N6thrust23THRUST_200600_302600_NS6detail15normal_iteratorINS9_10device_ptrIsEEEESE_s11max_functorIsEsEEDaPvRmT3_T4_T5_mT6_P12ihipStream_tbENKUlT_T0_E_clISt17integral_constantIbLb0EESU_EEDaSP_SQ_EUlSP_E0_NS1_11comp_targetILNS1_3genE9ELNS1_11target_archE1100ELNS1_3gpuE3ELNS1_3repE0EEENS1_30default_config_static_selectorELNS0_4arch9wavefront6targetE1EEEvT1_,@function
_ZN7rocprim17ROCPRIM_400000_NS6detail17trampoline_kernelINS0_14default_configENS1_20scan_config_selectorIsEEZZNS1_9scan_implILNS1_25lookback_scan_determinismE0ELb0ELb0ES3_N6thrust23THRUST_200600_302600_NS6detail15normal_iteratorINS9_10device_ptrIsEEEESE_s11max_functorIsEsEEDaPvRmT3_T4_T5_mT6_P12ihipStream_tbENKUlT_T0_E_clISt17integral_constantIbLb0EESU_EEDaSP_SQ_EUlSP_E0_NS1_11comp_targetILNS1_3genE9ELNS1_11target_archE1100ELNS1_3gpuE3ELNS1_3repE0EEENS1_30default_config_static_selectorELNS0_4arch9wavefront6targetE1EEEvT1_: ; @_ZN7rocprim17ROCPRIM_400000_NS6detail17trampoline_kernelINS0_14default_configENS1_20scan_config_selectorIsEEZZNS1_9scan_implILNS1_25lookback_scan_determinismE0ELb0ELb0ES3_N6thrust23THRUST_200600_302600_NS6detail15normal_iteratorINS9_10device_ptrIsEEEESE_s11max_functorIsEsEEDaPvRmT3_T4_T5_mT6_P12ihipStream_tbENKUlT_T0_E_clISt17integral_constantIbLb0EESU_EEDaSP_SQ_EUlSP_E0_NS1_11comp_targetILNS1_3genE9ELNS1_11target_archE1100ELNS1_3gpuE3ELNS1_3repE0EEENS1_30default_config_static_selectorELNS0_4arch9wavefront6targetE1EEEvT1_
; %bb.0:
	.section	.rodata,"a",@progbits
	.p2align	6, 0x0
	.amdhsa_kernel _ZN7rocprim17ROCPRIM_400000_NS6detail17trampoline_kernelINS0_14default_configENS1_20scan_config_selectorIsEEZZNS1_9scan_implILNS1_25lookback_scan_determinismE0ELb0ELb0ES3_N6thrust23THRUST_200600_302600_NS6detail15normal_iteratorINS9_10device_ptrIsEEEESE_s11max_functorIsEsEEDaPvRmT3_T4_T5_mT6_P12ihipStream_tbENKUlT_T0_E_clISt17integral_constantIbLb0EESU_EEDaSP_SQ_EUlSP_E0_NS1_11comp_targetILNS1_3genE9ELNS1_11target_archE1100ELNS1_3gpuE3ELNS1_3repE0EEENS1_30default_config_static_selectorELNS0_4arch9wavefront6targetE1EEEvT1_
		.amdhsa_group_segment_fixed_size 0
		.amdhsa_private_segment_fixed_size 0
		.amdhsa_kernarg_size 32
		.amdhsa_user_sgpr_count 6
		.amdhsa_user_sgpr_private_segment_buffer 1
		.amdhsa_user_sgpr_dispatch_ptr 0
		.amdhsa_user_sgpr_queue_ptr 0
		.amdhsa_user_sgpr_kernarg_segment_ptr 1
		.amdhsa_user_sgpr_dispatch_id 0
		.amdhsa_user_sgpr_flat_scratch_init 0
		.amdhsa_user_sgpr_kernarg_preload_length 0
		.amdhsa_user_sgpr_kernarg_preload_offset 0
		.amdhsa_user_sgpr_private_segment_size 0
		.amdhsa_uses_dynamic_stack 0
		.amdhsa_system_sgpr_private_segment_wavefront_offset 0
		.amdhsa_system_sgpr_workgroup_id_x 1
		.amdhsa_system_sgpr_workgroup_id_y 0
		.amdhsa_system_sgpr_workgroup_id_z 0
		.amdhsa_system_sgpr_workgroup_info 0
		.amdhsa_system_vgpr_workitem_id 0
		.amdhsa_next_free_vgpr 1
		.amdhsa_next_free_sgpr 0
		.amdhsa_accum_offset 4
		.amdhsa_reserve_vcc 0
		.amdhsa_reserve_flat_scratch 0
		.amdhsa_float_round_mode_32 0
		.amdhsa_float_round_mode_16_64 0
		.amdhsa_float_denorm_mode_32 3
		.amdhsa_float_denorm_mode_16_64 3
		.amdhsa_dx10_clamp 1
		.amdhsa_ieee_mode 1
		.amdhsa_fp16_overflow 0
		.amdhsa_tg_split 0
		.amdhsa_exception_fp_ieee_invalid_op 0
		.amdhsa_exception_fp_denorm_src 0
		.amdhsa_exception_fp_ieee_div_zero 0
		.amdhsa_exception_fp_ieee_overflow 0
		.amdhsa_exception_fp_ieee_underflow 0
		.amdhsa_exception_fp_ieee_inexact 0
		.amdhsa_exception_int_div_zero 0
	.end_amdhsa_kernel
	.section	.text._ZN7rocprim17ROCPRIM_400000_NS6detail17trampoline_kernelINS0_14default_configENS1_20scan_config_selectorIsEEZZNS1_9scan_implILNS1_25lookback_scan_determinismE0ELb0ELb0ES3_N6thrust23THRUST_200600_302600_NS6detail15normal_iteratorINS9_10device_ptrIsEEEESE_s11max_functorIsEsEEDaPvRmT3_T4_T5_mT6_P12ihipStream_tbENKUlT_T0_E_clISt17integral_constantIbLb0EESU_EEDaSP_SQ_EUlSP_E0_NS1_11comp_targetILNS1_3genE9ELNS1_11target_archE1100ELNS1_3gpuE3ELNS1_3repE0EEENS1_30default_config_static_selectorELNS0_4arch9wavefront6targetE1EEEvT1_,"axG",@progbits,_ZN7rocprim17ROCPRIM_400000_NS6detail17trampoline_kernelINS0_14default_configENS1_20scan_config_selectorIsEEZZNS1_9scan_implILNS1_25lookback_scan_determinismE0ELb0ELb0ES3_N6thrust23THRUST_200600_302600_NS6detail15normal_iteratorINS9_10device_ptrIsEEEESE_s11max_functorIsEsEEDaPvRmT3_T4_T5_mT6_P12ihipStream_tbENKUlT_T0_E_clISt17integral_constantIbLb0EESU_EEDaSP_SQ_EUlSP_E0_NS1_11comp_targetILNS1_3genE9ELNS1_11target_archE1100ELNS1_3gpuE3ELNS1_3repE0EEENS1_30default_config_static_selectorELNS0_4arch9wavefront6targetE1EEEvT1_,comdat
.Lfunc_end2862:
	.size	_ZN7rocprim17ROCPRIM_400000_NS6detail17trampoline_kernelINS0_14default_configENS1_20scan_config_selectorIsEEZZNS1_9scan_implILNS1_25lookback_scan_determinismE0ELb0ELb0ES3_N6thrust23THRUST_200600_302600_NS6detail15normal_iteratorINS9_10device_ptrIsEEEESE_s11max_functorIsEsEEDaPvRmT3_T4_T5_mT6_P12ihipStream_tbENKUlT_T0_E_clISt17integral_constantIbLb0EESU_EEDaSP_SQ_EUlSP_E0_NS1_11comp_targetILNS1_3genE9ELNS1_11target_archE1100ELNS1_3gpuE3ELNS1_3repE0EEENS1_30default_config_static_selectorELNS0_4arch9wavefront6targetE1EEEvT1_, .Lfunc_end2862-_ZN7rocprim17ROCPRIM_400000_NS6detail17trampoline_kernelINS0_14default_configENS1_20scan_config_selectorIsEEZZNS1_9scan_implILNS1_25lookback_scan_determinismE0ELb0ELb0ES3_N6thrust23THRUST_200600_302600_NS6detail15normal_iteratorINS9_10device_ptrIsEEEESE_s11max_functorIsEsEEDaPvRmT3_T4_T5_mT6_P12ihipStream_tbENKUlT_T0_E_clISt17integral_constantIbLb0EESU_EEDaSP_SQ_EUlSP_E0_NS1_11comp_targetILNS1_3genE9ELNS1_11target_archE1100ELNS1_3gpuE3ELNS1_3repE0EEENS1_30default_config_static_selectorELNS0_4arch9wavefront6targetE1EEEvT1_
                                        ; -- End function
	.section	.AMDGPU.csdata,"",@progbits
; Kernel info:
; codeLenInByte = 0
; NumSgprs: 4
; NumVgprs: 0
; NumAgprs: 0
; TotalNumVgprs: 0
; ScratchSize: 0
; MemoryBound: 0
; FloatMode: 240
; IeeeMode: 1
; LDSByteSize: 0 bytes/workgroup (compile time only)
; SGPRBlocks: 0
; VGPRBlocks: 0
; NumSGPRsForWavesPerEU: 4
; NumVGPRsForWavesPerEU: 1
; AccumOffset: 4
; Occupancy: 8
; WaveLimiterHint : 0
; COMPUTE_PGM_RSRC2:SCRATCH_EN: 0
; COMPUTE_PGM_RSRC2:USER_SGPR: 6
; COMPUTE_PGM_RSRC2:TRAP_HANDLER: 0
; COMPUTE_PGM_RSRC2:TGID_X_EN: 1
; COMPUTE_PGM_RSRC2:TGID_Y_EN: 0
; COMPUTE_PGM_RSRC2:TGID_Z_EN: 0
; COMPUTE_PGM_RSRC2:TIDIG_COMP_CNT: 0
; COMPUTE_PGM_RSRC3_GFX90A:ACCUM_OFFSET: 0
; COMPUTE_PGM_RSRC3_GFX90A:TG_SPLIT: 0
	.section	.text._ZN7rocprim17ROCPRIM_400000_NS6detail17trampoline_kernelINS0_14default_configENS1_20scan_config_selectorIsEEZZNS1_9scan_implILNS1_25lookback_scan_determinismE0ELb0ELb0ES3_N6thrust23THRUST_200600_302600_NS6detail15normal_iteratorINS9_10device_ptrIsEEEESE_s11max_functorIsEsEEDaPvRmT3_T4_T5_mT6_P12ihipStream_tbENKUlT_T0_E_clISt17integral_constantIbLb0EESU_EEDaSP_SQ_EUlSP_E0_NS1_11comp_targetILNS1_3genE8ELNS1_11target_archE1030ELNS1_3gpuE2ELNS1_3repE0EEENS1_30default_config_static_selectorELNS0_4arch9wavefront6targetE1EEEvT1_,"axG",@progbits,_ZN7rocprim17ROCPRIM_400000_NS6detail17trampoline_kernelINS0_14default_configENS1_20scan_config_selectorIsEEZZNS1_9scan_implILNS1_25lookback_scan_determinismE0ELb0ELb0ES3_N6thrust23THRUST_200600_302600_NS6detail15normal_iteratorINS9_10device_ptrIsEEEESE_s11max_functorIsEsEEDaPvRmT3_T4_T5_mT6_P12ihipStream_tbENKUlT_T0_E_clISt17integral_constantIbLb0EESU_EEDaSP_SQ_EUlSP_E0_NS1_11comp_targetILNS1_3genE8ELNS1_11target_archE1030ELNS1_3gpuE2ELNS1_3repE0EEENS1_30default_config_static_selectorELNS0_4arch9wavefront6targetE1EEEvT1_,comdat
	.protected	_ZN7rocprim17ROCPRIM_400000_NS6detail17trampoline_kernelINS0_14default_configENS1_20scan_config_selectorIsEEZZNS1_9scan_implILNS1_25lookback_scan_determinismE0ELb0ELb0ES3_N6thrust23THRUST_200600_302600_NS6detail15normal_iteratorINS9_10device_ptrIsEEEESE_s11max_functorIsEsEEDaPvRmT3_T4_T5_mT6_P12ihipStream_tbENKUlT_T0_E_clISt17integral_constantIbLb0EESU_EEDaSP_SQ_EUlSP_E0_NS1_11comp_targetILNS1_3genE8ELNS1_11target_archE1030ELNS1_3gpuE2ELNS1_3repE0EEENS1_30default_config_static_selectorELNS0_4arch9wavefront6targetE1EEEvT1_ ; -- Begin function _ZN7rocprim17ROCPRIM_400000_NS6detail17trampoline_kernelINS0_14default_configENS1_20scan_config_selectorIsEEZZNS1_9scan_implILNS1_25lookback_scan_determinismE0ELb0ELb0ES3_N6thrust23THRUST_200600_302600_NS6detail15normal_iteratorINS9_10device_ptrIsEEEESE_s11max_functorIsEsEEDaPvRmT3_T4_T5_mT6_P12ihipStream_tbENKUlT_T0_E_clISt17integral_constantIbLb0EESU_EEDaSP_SQ_EUlSP_E0_NS1_11comp_targetILNS1_3genE8ELNS1_11target_archE1030ELNS1_3gpuE2ELNS1_3repE0EEENS1_30default_config_static_selectorELNS0_4arch9wavefront6targetE1EEEvT1_
	.globl	_ZN7rocprim17ROCPRIM_400000_NS6detail17trampoline_kernelINS0_14default_configENS1_20scan_config_selectorIsEEZZNS1_9scan_implILNS1_25lookback_scan_determinismE0ELb0ELb0ES3_N6thrust23THRUST_200600_302600_NS6detail15normal_iteratorINS9_10device_ptrIsEEEESE_s11max_functorIsEsEEDaPvRmT3_T4_T5_mT6_P12ihipStream_tbENKUlT_T0_E_clISt17integral_constantIbLb0EESU_EEDaSP_SQ_EUlSP_E0_NS1_11comp_targetILNS1_3genE8ELNS1_11target_archE1030ELNS1_3gpuE2ELNS1_3repE0EEENS1_30default_config_static_selectorELNS0_4arch9wavefront6targetE1EEEvT1_
	.p2align	8
	.type	_ZN7rocprim17ROCPRIM_400000_NS6detail17trampoline_kernelINS0_14default_configENS1_20scan_config_selectorIsEEZZNS1_9scan_implILNS1_25lookback_scan_determinismE0ELb0ELb0ES3_N6thrust23THRUST_200600_302600_NS6detail15normal_iteratorINS9_10device_ptrIsEEEESE_s11max_functorIsEsEEDaPvRmT3_T4_T5_mT6_P12ihipStream_tbENKUlT_T0_E_clISt17integral_constantIbLb0EESU_EEDaSP_SQ_EUlSP_E0_NS1_11comp_targetILNS1_3genE8ELNS1_11target_archE1030ELNS1_3gpuE2ELNS1_3repE0EEENS1_30default_config_static_selectorELNS0_4arch9wavefront6targetE1EEEvT1_,@function
_ZN7rocprim17ROCPRIM_400000_NS6detail17trampoline_kernelINS0_14default_configENS1_20scan_config_selectorIsEEZZNS1_9scan_implILNS1_25lookback_scan_determinismE0ELb0ELb0ES3_N6thrust23THRUST_200600_302600_NS6detail15normal_iteratorINS9_10device_ptrIsEEEESE_s11max_functorIsEsEEDaPvRmT3_T4_T5_mT6_P12ihipStream_tbENKUlT_T0_E_clISt17integral_constantIbLb0EESU_EEDaSP_SQ_EUlSP_E0_NS1_11comp_targetILNS1_3genE8ELNS1_11target_archE1030ELNS1_3gpuE2ELNS1_3repE0EEENS1_30default_config_static_selectorELNS0_4arch9wavefront6targetE1EEEvT1_: ; @_ZN7rocprim17ROCPRIM_400000_NS6detail17trampoline_kernelINS0_14default_configENS1_20scan_config_selectorIsEEZZNS1_9scan_implILNS1_25lookback_scan_determinismE0ELb0ELb0ES3_N6thrust23THRUST_200600_302600_NS6detail15normal_iteratorINS9_10device_ptrIsEEEESE_s11max_functorIsEsEEDaPvRmT3_T4_T5_mT6_P12ihipStream_tbENKUlT_T0_E_clISt17integral_constantIbLb0EESU_EEDaSP_SQ_EUlSP_E0_NS1_11comp_targetILNS1_3genE8ELNS1_11target_archE1030ELNS1_3gpuE2ELNS1_3repE0EEENS1_30default_config_static_selectorELNS0_4arch9wavefront6targetE1EEEvT1_
; %bb.0:
	.section	.rodata,"a",@progbits
	.p2align	6, 0x0
	.amdhsa_kernel _ZN7rocprim17ROCPRIM_400000_NS6detail17trampoline_kernelINS0_14default_configENS1_20scan_config_selectorIsEEZZNS1_9scan_implILNS1_25lookback_scan_determinismE0ELb0ELb0ES3_N6thrust23THRUST_200600_302600_NS6detail15normal_iteratorINS9_10device_ptrIsEEEESE_s11max_functorIsEsEEDaPvRmT3_T4_T5_mT6_P12ihipStream_tbENKUlT_T0_E_clISt17integral_constantIbLb0EESU_EEDaSP_SQ_EUlSP_E0_NS1_11comp_targetILNS1_3genE8ELNS1_11target_archE1030ELNS1_3gpuE2ELNS1_3repE0EEENS1_30default_config_static_selectorELNS0_4arch9wavefront6targetE1EEEvT1_
		.amdhsa_group_segment_fixed_size 0
		.amdhsa_private_segment_fixed_size 0
		.amdhsa_kernarg_size 32
		.amdhsa_user_sgpr_count 6
		.amdhsa_user_sgpr_private_segment_buffer 1
		.amdhsa_user_sgpr_dispatch_ptr 0
		.amdhsa_user_sgpr_queue_ptr 0
		.amdhsa_user_sgpr_kernarg_segment_ptr 1
		.amdhsa_user_sgpr_dispatch_id 0
		.amdhsa_user_sgpr_flat_scratch_init 0
		.amdhsa_user_sgpr_kernarg_preload_length 0
		.amdhsa_user_sgpr_kernarg_preload_offset 0
		.amdhsa_user_sgpr_private_segment_size 0
		.amdhsa_uses_dynamic_stack 0
		.amdhsa_system_sgpr_private_segment_wavefront_offset 0
		.amdhsa_system_sgpr_workgroup_id_x 1
		.amdhsa_system_sgpr_workgroup_id_y 0
		.amdhsa_system_sgpr_workgroup_id_z 0
		.amdhsa_system_sgpr_workgroup_info 0
		.amdhsa_system_vgpr_workitem_id 0
		.amdhsa_next_free_vgpr 1
		.amdhsa_next_free_sgpr 0
		.amdhsa_accum_offset 4
		.amdhsa_reserve_vcc 0
		.amdhsa_reserve_flat_scratch 0
		.amdhsa_float_round_mode_32 0
		.amdhsa_float_round_mode_16_64 0
		.amdhsa_float_denorm_mode_32 3
		.amdhsa_float_denorm_mode_16_64 3
		.amdhsa_dx10_clamp 1
		.amdhsa_ieee_mode 1
		.amdhsa_fp16_overflow 0
		.amdhsa_tg_split 0
		.amdhsa_exception_fp_ieee_invalid_op 0
		.amdhsa_exception_fp_denorm_src 0
		.amdhsa_exception_fp_ieee_div_zero 0
		.amdhsa_exception_fp_ieee_overflow 0
		.amdhsa_exception_fp_ieee_underflow 0
		.amdhsa_exception_fp_ieee_inexact 0
		.amdhsa_exception_int_div_zero 0
	.end_amdhsa_kernel
	.section	.text._ZN7rocprim17ROCPRIM_400000_NS6detail17trampoline_kernelINS0_14default_configENS1_20scan_config_selectorIsEEZZNS1_9scan_implILNS1_25lookback_scan_determinismE0ELb0ELb0ES3_N6thrust23THRUST_200600_302600_NS6detail15normal_iteratorINS9_10device_ptrIsEEEESE_s11max_functorIsEsEEDaPvRmT3_T4_T5_mT6_P12ihipStream_tbENKUlT_T0_E_clISt17integral_constantIbLb0EESU_EEDaSP_SQ_EUlSP_E0_NS1_11comp_targetILNS1_3genE8ELNS1_11target_archE1030ELNS1_3gpuE2ELNS1_3repE0EEENS1_30default_config_static_selectorELNS0_4arch9wavefront6targetE1EEEvT1_,"axG",@progbits,_ZN7rocprim17ROCPRIM_400000_NS6detail17trampoline_kernelINS0_14default_configENS1_20scan_config_selectorIsEEZZNS1_9scan_implILNS1_25lookback_scan_determinismE0ELb0ELb0ES3_N6thrust23THRUST_200600_302600_NS6detail15normal_iteratorINS9_10device_ptrIsEEEESE_s11max_functorIsEsEEDaPvRmT3_T4_T5_mT6_P12ihipStream_tbENKUlT_T0_E_clISt17integral_constantIbLb0EESU_EEDaSP_SQ_EUlSP_E0_NS1_11comp_targetILNS1_3genE8ELNS1_11target_archE1030ELNS1_3gpuE2ELNS1_3repE0EEENS1_30default_config_static_selectorELNS0_4arch9wavefront6targetE1EEEvT1_,comdat
.Lfunc_end2863:
	.size	_ZN7rocprim17ROCPRIM_400000_NS6detail17trampoline_kernelINS0_14default_configENS1_20scan_config_selectorIsEEZZNS1_9scan_implILNS1_25lookback_scan_determinismE0ELb0ELb0ES3_N6thrust23THRUST_200600_302600_NS6detail15normal_iteratorINS9_10device_ptrIsEEEESE_s11max_functorIsEsEEDaPvRmT3_T4_T5_mT6_P12ihipStream_tbENKUlT_T0_E_clISt17integral_constantIbLb0EESU_EEDaSP_SQ_EUlSP_E0_NS1_11comp_targetILNS1_3genE8ELNS1_11target_archE1030ELNS1_3gpuE2ELNS1_3repE0EEENS1_30default_config_static_selectorELNS0_4arch9wavefront6targetE1EEEvT1_, .Lfunc_end2863-_ZN7rocprim17ROCPRIM_400000_NS6detail17trampoline_kernelINS0_14default_configENS1_20scan_config_selectorIsEEZZNS1_9scan_implILNS1_25lookback_scan_determinismE0ELb0ELb0ES3_N6thrust23THRUST_200600_302600_NS6detail15normal_iteratorINS9_10device_ptrIsEEEESE_s11max_functorIsEsEEDaPvRmT3_T4_T5_mT6_P12ihipStream_tbENKUlT_T0_E_clISt17integral_constantIbLb0EESU_EEDaSP_SQ_EUlSP_E0_NS1_11comp_targetILNS1_3genE8ELNS1_11target_archE1030ELNS1_3gpuE2ELNS1_3repE0EEENS1_30default_config_static_selectorELNS0_4arch9wavefront6targetE1EEEvT1_
                                        ; -- End function
	.section	.AMDGPU.csdata,"",@progbits
; Kernel info:
; codeLenInByte = 0
; NumSgprs: 4
; NumVgprs: 0
; NumAgprs: 0
; TotalNumVgprs: 0
; ScratchSize: 0
; MemoryBound: 0
; FloatMode: 240
; IeeeMode: 1
; LDSByteSize: 0 bytes/workgroup (compile time only)
; SGPRBlocks: 0
; VGPRBlocks: 0
; NumSGPRsForWavesPerEU: 4
; NumVGPRsForWavesPerEU: 1
; AccumOffset: 4
; Occupancy: 8
; WaveLimiterHint : 0
; COMPUTE_PGM_RSRC2:SCRATCH_EN: 0
; COMPUTE_PGM_RSRC2:USER_SGPR: 6
; COMPUTE_PGM_RSRC2:TRAP_HANDLER: 0
; COMPUTE_PGM_RSRC2:TGID_X_EN: 1
; COMPUTE_PGM_RSRC2:TGID_Y_EN: 0
; COMPUTE_PGM_RSRC2:TGID_Z_EN: 0
; COMPUTE_PGM_RSRC2:TIDIG_COMP_CNT: 0
; COMPUTE_PGM_RSRC3_GFX90A:ACCUM_OFFSET: 0
; COMPUTE_PGM_RSRC3_GFX90A:TG_SPLIT: 0
	.section	.text._ZN7rocprim17ROCPRIM_400000_NS6detail17trampoline_kernelINS0_14default_configENS1_20scan_config_selectorIsEEZZNS1_9scan_implILNS1_25lookback_scan_determinismE0ELb0ELb0ES3_N6thrust23THRUST_200600_302600_NS6detail15normal_iteratorINS9_10device_ptrIsEEEESE_s11max_functorIsEsEEDaPvRmT3_T4_T5_mT6_P12ihipStream_tbENKUlT_T0_E_clISt17integral_constantIbLb1EESU_EEDaSP_SQ_EUlSP_E_NS1_11comp_targetILNS1_3genE0ELNS1_11target_archE4294967295ELNS1_3gpuE0ELNS1_3repE0EEENS1_30default_config_static_selectorELNS0_4arch9wavefront6targetE1EEEvT1_,"axG",@progbits,_ZN7rocprim17ROCPRIM_400000_NS6detail17trampoline_kernelINS0_14default_configENS1_20scan_config_selectorIsEEZZNS1_9scan_implILNS1_25lookback_scan_determinismE0ELb0ELb0ES3_N6thrust23THRUST_200600_302600_NS6detail15normal_iteratorINS9_10device_ptrIsEEEESE_s11max_functorIsEsEEDaPvRmT3_T4_T5_mT6_P12ihipStream_tbENKUlT_T0_E_clISt17integral_constantIbLb1EESU_EEDaSP_SQ_EUlSP_E_NS1_11comp_targetILNS1_3genE0ELNS1_11target_archE4294967295ELNS1_3gpuE0ELNS1_3repE0EEENS1_30default_config_static_selectorELNS0_4arch9wavefront6targetE1EEEvT1_,comdat
	.protected	_ZN7rocprim17ROCPRIM_400000_NS6detail17trampoline_kernelINS0_14default_configENS1_20scan_config_selectorIsEEZZNS1_9scan_implILNS1_25lookback_scan_determinismE0ELb0ELb0ES3_N6thrust23THRUST_200600_302600_NS6detail15normal_iteratorINS9_10device_ptrIsEEEESE_s11max_functorIsEsEEDaPvRmT3_T4_T5_mT6_P12ihipStream_tbENKUlT_T0_E_clISt17integral_constantIbLb1EESU_EEDaSP_SQ_EUlSP_E_NS1_11comp_targetILNS1_3genE0ELNS1_11target_archE4294967295ELNS1_3gpuE0ELNS1_3repE0EEENS1_30default_config_static_selectorELNS0_4arch9wavefront6targetE1EEEvT1_ ; -- Begin function _ZN7rocprim17ROCPRIM_400000_NS6detail17trampoline_kernelINS0_14default_configENS1_20scan_config_selectorIsEEZZNS1_9scan_implILNS1_25lookback_scan_determinismE0ELb0ELb0ES3_N6thrust23THRUST_200600_302600_NS6detail15normal_iteratorINS9_10device_ptrIsEEEESE_s11max_functorIsEsEEDaPvRmT3_T4_T5_mT6_P12ihipStream_tbENKUlT_T0_E_clISt17integral_constantIbLb1EESU_EEDaSP_SQ_EUlSP_E_NS1_11comp_targetILNS1_3genE0ELNS1_11target_archE4294967295ELNS1_3gpuE0ELNS1_3repE0EEENS1_30default_config_static_selectorELNS0_4arch9wavefront6targetE1EEEvT1_
	.globl	_ZN7rocprim17ROCPRIM_400000_NS6detail17trampoline_kernelINS0_14default_configENS1_20scan_config_selectorIsEEZZNS1_9scan_implILNS1_25lookback_scan_determinismE0ELb0ELb0ES3_N6thrust23THRUST_200600_302600_NS6detail15normal_iteratorINS9_10device_ptrIsEEEESE_s11max_functorIsEsEEDaPvRmT3_T4_T5_mT6_P12ihipStream_tbENKUlT_T0_E_clISt17integral_constantIbLb1EESU_EEDaSP_SQ_EUlSP_E_NS1_11comp_targetILNS1_3genE0ELNS1_11target_archE4294967295ELNS1_3gpuE0ELNS1_3repE0EEENS1_30default_config_static_selectorELNS0_4arch9wavefront6targetE1EEEvT1_
	.p2align	8
	.type	_ZN7rocprim17ROCPRIM_400000_NS6detail17trampoline_kernelINS0_14default_configENS1_20scan_config_selectorIsEEZZNS1_9scan_implILNS1_25lookback_scan_determinismE0ELb0ELb0ES3_N6thrust23THRUST_200600_302600_NS6detail15normal_iteratorINS9_10device_ptrIsEEEESE_s11max_functorIsEsEEDaPvRmT3_T4_T5_mT6_P12ihipStream_tbENKUlT_T0_E_clISt17integral_constantIbLb1EESU_EEDaSP_SQ_EUlSP_E_NS1_11comp_targetILNS1_3genE0ELNS1_11target_archE4294967295ELNS1_3gpuE0ELNS1_3repE0EEENS1_30default_config_static_selectorELNS0_4arch9wavefront6targetE1EEEvT1_,@function
_ZN7rocprim17ROCPRIM_400000_NS6detail17trampoline_kernelINS0_14default_configENS1_20scan_config_selectorIsEEZZNS1_9scan_implILNS1_25lookback_scan_determinismE0ELb0ELb0ES3_N6thrust23THRUST_200600_302600_NS6detail15normal_iteratorINS9_10device_ptrIsEEEESE_s11max_functorIsEsEEDaPvRmT3_T4_T5_mT6_P12ihipStream_tbENKUlT_T0_E_clISt17integral_constantIbLb1EESU_EEDaSP_SQ_EUlSP_E_NS1_11comp_targetILNS1_3genE0ELNS1_11target_archE4294967295ELNS1_3gpuE0ELNS1_3repE0EEENS1_30default_config_static_selectorELNS0_4arch9wavefront6targetE1EEEvT1_: ; @_ZN7rocprim17ROCPRIM_400000_NS6detail17trampoline_kernelINS0_14default_configENS1_20scan_config_selectorIsEEZZNS1_9scan_implILNS1_25lookback_scan_determinismE0ELb0ELb0ES3_N6thrust23THRUST_200600_302600_NS6detail15normal_iteratorINS9_10device_ptrIsEEEESE_s11max_functorIsEsEEDaPvRmT3_T4_T5_mT6_P12ihipStream_tbENKUlT_T0_E_clISt17integral_constantIbLb1EESU_EEDaSP_SQ_EUlSP_E_NS1_11comp_targetILNS1_3genE0ELNS1_11target_archE4294967295ELNS1_3gpuE0ELNS1_3repE0EEENS1_30default_config_static_selectorELNS0_4arch9wavefront6targetE1EEEvT1_
; %bb.0:
	.section	.rodata,"a",@progbits
	.p2align	6, 0x0
	.amdhsa_kernel _ZN7rocprim17ROCPRIM_400000_NS6detail17trampoline_kernelINS0_14default_configENS1_20scan_config_selectorIsEEZZNS1_9scan_implILNS1_25lookback_scan_determinismE0ELb0ELb0ES3_N6thrust23THRUST_200600_302600_NS6detail15normal_iteratorINS9_10device_ptrIsEEEESE_s11max_functorIsEsEEDaPvRmT3_T4_T5_mT6_P12ihipStream_tbENKUlT_T0_E_clISt17integral_constantIbLb1EESU_EEDaSP_SQ_EUlSP_E_NS1_11comp_targetILNS1_3genE0ELNS1_11target_archE4294967295ELNS1_3gpuE0ELNS1_3repE0EEENS1_30default_config_static_selectorELNS0_4arch9wavefront6targetE1EEEvT1_
		.amdhsa_group_segment_fixed_size 0
		.amdhsa_private_segment_fixed_size 0
		.amdhsa_kernarg_size 96
		.amdhsa_user_sgpr_count 6
		.amdhsa_user_sgpr_private_segment_buffer 1
		.amdhsa_user_sgpr_dispatch_ptr 0
		.amdhsa_user_sgpr_queue_ptr 0
		.amdhsa_user_sgpr_kernarg_segment_ptr 1
		.amdhsa_user_sgpr_dispatch_id 0
		.amdhsa_user_sgpr_flat_scratch_init 0
		.amdhsa_user_sgpr_kernarg_preload_length 0
		.amdhsa_user_sgpr_kernarg_preload_offset 0
		.amdhsa_user_sgpr_private_segment_size 0
		.amdhsa_uses_dynamic_stack 0
		.amdhsa_system_sgpr_private_segment_wavefront_offset 0
		.amdhsa_system_sgpr_workgroup_id_x 1
		.amdhsa_system_sgpr_workgroup_id_y 0
		.amdhsa_system_sgpr_workgroup_id_z 0
		.amdhsa_system_sgpr_workgroup_info 0
		.amdhsa_system_vgpr_workitem_id 0
		.amdhsa_next_free_vgpr 1
		.amdhsa_next_free_sgpr 0
		.amdhsa_accum_offset 4
		.amdhsa_reserve_vcc 0
		.amdhsa_reserve_flat_scratch 0
		.amdhsa_float_round_mode_32 0
		.amdhsa_float_round_mode_16_64 0
		.amdhsa_float_denorm_mode_32 3
		.amdhsa_float_denorm_mode_16_64 3
		.amdhsa_dx10_clamp 1
		.amdhsa_ieee_mode 1
		.amdhsa_fp16_overflow 0
		.amdhsa_tg_split 0
		.amdhsa_exception_fp_ieee_invalid_op 0
		.amdhsa_exception_fp_denorm_src 0
		.amdhsa_exception_fp_ieee_div_zero 0
		.amdhsa_exception_fp_ieee_overflow 0
		.amdhsa_exception_fp_ieee_underflow 0
		.amdhsa_exception_fp_ieee_inexact 0
		.amdhsa_exception_int_div_zero 0
	.end_amdhsa_kernel
	.section	.text._ZN7rocprim17ROCPRIM_400000_NS6detail17trampoline_kernelINS0_14default_configENS1_20scan_config_selectorIsEEZZNS1_9scan_implILNS1_25lookback_scan_determinismE0ELb0ELb0ES3_N6thrust23THRUST_200600_302600_NS6detail15normal_iteratorINS9_10device_ptrIsEEEESE_s11max_functorIsEsEEDaPvRmT3_T4_T5_mT6_P12ihipStream_tbENKUlT_T0_E_clISt17integral_constantIbLb1EESU_EEDaSP_SQ_EUlSP_E_NS1_11comp_targetILNS1_3genE0ELNS1_11target_archE4294967295ELNS1_3gpuE0ELNS1_3repE0EEENS1_30default_config_static_selectorELNS0_4arch9wavefront6targetE1EEEvT1_,"axG",@progbits,_ZN7rocprim17ROCPRIM_400000_NS6detail17trampoline_kernelINS0_14default_configENS1_20scan_config_selectorIsEEZZNS1_9scan_implILNS1_25lookback_scan_determinismE0ELb0ELb0ES3_N6thrust23THRUST_200600_302600_NS6detail15normal_iteratorINS9_10device_ptrIsEEEESE_s11max_functorIsEsEEDaPvRmT3_T4_T5_mT6_P12ihipStream_tbENKUlT_T0_E_clISt17integral_constantIbLb1EESU_EEDaSP_SQ_EUlSP_E_NS1_11comp_targetILNS1_3genE0ELNS1_11target_archE4294967295ELNS1_3gpuE0ELNS1_3repE0EEENS1_30default_config_static_selectorELNS0_4arch9wavefront6targetE1EEEvT1_,comdat
.Lfunc_end2864:
	.size	_ZN7rocprim17ROCPRIM_400000_NS6detail17trampoline_kernelINS0_14default_configENS1_20scan_config_selectorIsEEZZNS1_9scan_implILNS1_25lookback_scan_determinismE0ELb0ELb0ES3_N6thrust23THRUST_200600_302600_NS6detail15normal_iteratorINS9_10device_ptrIsEEEESE_s11max_functorIsEsEEDaPvRmT3_T4_T5_mT6_P12ihipStream_tbENKUlT_T0_E_clISt17integral_constantIbLb1EESU_EEDaSP_SQ_EUlSP_E_NS1_11comp_targetILNS1_3genE0ELNS1_11target_archE4294967295ELNS1_3gpuE0ELNS1_3repE0EEENS1_30default_config_static_selectorELNS0_4arch9wavefront6targetE1EEEvT1_, .Lfunc_end2864-_ZN7rocprim17ROCPRIM_400000_NS6detail17trampoline_kernelINS0_14default_configENS1_20scan_config_selectorIsEEZZNS1_9scan_implILNS1_25lookback_scan_determinismE0ELb0ELb0ES3_N6thrust23THRUST_200600_302600_NS6detail15normal_iteratorINS9_10device_ptrIsEEEESE_s11max_functorIsEsEEDaPvRmT3_T4_T5_mT6_P12ihipStream_tbENKUlT_T0_E_clISt17integral_constantIbLb1EESU_EEDaSP_SQ_EUlSP_E_NS1_11comp_targetILNS1_3genE0ELNS1_11target_archE4294967295ELNS1_3gpuE0ELNS1_3repE0EEENS1_30default_config_static_selectorELNS0_4arch9wavefront6targetE1EEEvT1_
                                        ; -- End function
	.section	.AMDGPU.csdata,"",@progbits
; Kernel info:
; codeLenInByte = 0
; NumSgprs: 4
; NumVgprs: 0
; NumAgprs: 0
; TotalNumVgprs: 0
; ScratchSize: 0
; MemoryBound: 0
; FloatMode: 240
; IeeeMode: 1
; LDSByteSize: 0 bytes/workgroup (compile time only)
; SGPRBlocks: 0
; VGPRBlocks: 0
; NumSGPRsForWavesPerEU: 4
; NumVGPRsForWavesPerEU: 1
; AccumOffset: 4
; Occupancy: 8
; WaveLimiterHint : 0
; COMPUTE_PGM_RSRC2:SCRATCH_EN: 0
; COMPUTE_PGM_RSRC2:USER_SGPR: 6
; COMPUTE_PGM_RSRC2:TRAP_HANDLER: 0
; COMPUTE_PGM_RSRC2:TGID_X_EN: 1
; COMPUTE_PGM_RSRC2:TGID_Y_EN: 0
; COMPUTE_PGM_RSRC2:TGID_Z_EN: 0
; COMPUTE_PGM_RSRC2:TIDIG_COMP_CNT: 0
; COMPUTE_PGM_RSRC3_GFX90A:ACCUM_OFFSET: 0
; COMPUTE_PGM_RSRC3_GFX90A:TG_SPLIT: 0
	.section	.text._ZN7rocprim17ROCPRIM_400000_NS6detail17trampoline_kernelINS0_14default_configENS1_20scan_config_selectorIsEEZZNS1_9scan_implILNS1_25lookback_scan_determinismE0ELb0ELb0ES3_N6thrust23THRUST_200600_302600_NS6detail15normal_iteratorINS9_10device_ptrIsEEEESE_s11max_functorIsEsEEDaPvRmT3_T4_T5_mT6_P12ihipStream_tbENKUlT_T0_E_clISt17integral_constantIbLb1EESU_EEDaSP_SQ_EUlSP_E_NS1_11comp_targetILNS1_3genE5ELNS1_11target_archE942ELNS1_3gpuE9ELNS1_3repE0EEENS1_30default_config_static_selectorELNS0_4arch9wavefront6targetE1EEEvT1_,"axG",@progbits,_ZN7rocprim17ROCPRIM_400000_NS6detail17trampoline_kernelINS0_14default_configENS1_20scan_config_selectorIsEEZZNS1_9scan_implILNS1_25lookback_scan_determinismE0ELb0ELb0ES3_N6thrust23THRUST_200600_302600_NS6detail15normal_iteratorINS9_10device_ptrIsEEEESE_s11max_functorIsEsEEDaPvRmT3_T4_T5_mT6_P12ihipStream_tbENKUlT_T0_E_clISt17integral_constantIbLb1EESU_EEDaSP_SQ_EUlSP_E_NS1_11comp_targetILNS1_3genE5ELNS1_11target_archE942ELNS1_3gpuE9ELNS1_3repE0EEENS1_30default_config_static_selectorELNS0_4arch9wavefront6targetE1EEEvT1_,comdat
	.protected	_ZN7rocprim17ROCPRIM_400000_NS6detail17trampoline_kernelINS0_14default_configENS1_20scan_config_selectorIsEEZZNS1_9scan_implILNS1_25lookback_scan_determinismE0ELb0ELb0ES3_N6thrust23THRUST_200600_302600_NS6detail15normal_iteratorINS9_10device_ptrIsEEEESE_s11max_functorIsEsEEDaPvRmT3_T4_T5_mT6_P12ihipStream_tbENKUlT_T0_E_clISt17integral_constantIbLb1EESU_EEDaSP_SQ_EUlSP_E_NS1_11comp_targetILNS1_3genE5ELNS1_11target_archE942ELNS1_3gpuE9ELNS1_3repE0EEENS1_30default_config_static_selectorELNS0_4arch9wavefront6targetE1EEEvT1_ ; -- Begin function _ZN7rocprim17ROCPRIM_400000_NS6detail17trampoline_kernelINS0_14default_configENS1_20scan_config_selectorIsEEZZNS1_9scan_implILNS1_25lookback_scan_determinismE0ELb0ELb0ES3_N6thrust23THRUST_200600_302600_NS6detail15normal_iteratorINS9_10device_ptrIsEEEESE_s11max_functorIsEsEEDaPvRmT3_T4_T5_mT6_P12ihipStream_tbENKUlT_T0_E_clISt17integral_constantIbLb1EESU_EEDaSP_SQ_EUlSP_E_NS1_11comp_targetILNS1_3genE5ELNS1_11target_archE942ELNS1_3gpuE9ELNS1_3repE0EEENS1_30default_config_static_selectorELNS0_4arch9wavefront6targetE1EEEvT1_
	.globl	_ZN7rocprim17ROCPRIM_400000_NS6detail17trampoline_kernelINS0_14default_configENS1_20scan_config_selectorIsEEZZNS1_9scan_implILNS1_25lookback_scan_determinismE0ELb0ELb0ES3_N6thrust23THRUST_200600_302600_NS6detail15normal_iteratorINS9_10device_ptrIsEEEESE_s11max_functorIsEsEEDaPvRmT3_T4_T5_mT6_P12ihipStream_tbENKUlT_T0_E_clISt17integral_constantIbLb1EESU_EEDaSP_SQ_EUlSP_E_NS1_11comp_targetILNS1_3genE5ELNS1_11target_archE942ELNS1_3gpuE9ELNS1_3repE0EEENS1_30default_config_static_selectorELNS0_4arch9wavefront6targetE1EEEvT1_
	.p2align	8
	.type	_ZN7rocprim17ROCPRIM_400000_NS6detail17trampoline_kernelINS0_14default_configENS1_20scan_config_selectorIsEEZZNS1_9scan_implILNS1_25lookback_scan_determinismE0ELb0ELb0ES3_N6thrust23THRUST_200600_302600_NS6detail15normal_iteratorINS9_10device_ptrIsEEEESE_s11max_functorIsEsEEDaPvRmT3_T4_T5_mT6_P12ihipStream_tbENKUlT_T0_E_clISt17integral_constantIbLb1EESU_EEDaSP_SQ_EUlSP_E_NS1_11comp_targetILNS1_3genE5ELNS1_11target_archE942ELNS1_3gpuE9ELNS1_3repE0EEENS1_30default_config_static_selectorELNS0_4arch9wavefront6targetE1EEEvT1_,@function
_ZN7rocprim17ROCPRIM_400000_NS6detail17trampoline_kernelINS0_14default_configENS1_20scan_config_selectorIsEEZZNS1_9scan_implILNS1_25lookback_scan_determinismE0ELb0ELb0ES3_N6thrust23THRUST_200600_302600_NS6detail15normal_iteratorINS9_10device_ptrIsEEEESE_s11max_functorIsEsEEDaPvRmT3_T4_T5_mT6_P12ihipStream_tbENKUlT_T0_E_clISt17integral_constantIbLb1EESU_EEDaSP_SQ_EUlSP_E_NS1_11comp_targetILNS1_3genE5ELNS1_11target_archE942ELNS1_3gpuE9ELNS1_3repE0EEENS1_30default_config_static_selectorELNS0_4arch9wavefront6targetE1EEEvT1_: ; @_ZN7rocprim17ROCPRIM_400000_NS6detail17trampoline_kernelINS0_14default_configENS1_20scan_config_selectorIsEEZZNS1_9scan_implILNS1_25lookback_scan_determinismE0ELb0ELb0ES3_N6thrust23THRUST_200600_302600_NS6detail15normal_iteratorINS9_10device_ptrIsEEEESE_s11max_functorIsEsEEDaPvRmT3_T4_T5_mT6_P12ihipStream_tbENKUlT_T0_E_clISt17integral_constantIbLb1EESU_EEDaSP_SQ_EUlSP_E_NS1_11comp_targetILNS1_3genE5ELNS1_11target_archE942ELNS1_3gpuE9ELNS1_3repE0EEENS1_30default_config_static_selectorELNS0_4arch9wavefront6targetE1EEEvT1_
; %bb.0:
	.section	.rodata,"a",@progbits
	.p2align	6, 0x0
	.amdhsa_kernel _ZN7rocprim17ROCPRIM_400000_NS6detail17trampoline_kernelINS0_14default_configENS1_20scan_config_selectorIsEEZZNS1_9scan_implILNS1_25lookback_scan_determinismE0ELb0ELb0ES3_N6thrust23THRUST_200600_302600_NS6detail15normal_iteratorINS9_10device_ptrIsEEEESE_s11max_functorIsEsEEDaPvRmT3_T4_T5_mT6_P12ihipStream_tbENKUlT_T0_E_clISt17integral_constantIbLb1EESU_EEDaSP_SQ_EUlSP_E_NS1_11comp_targetILNS1_3genE5ELNS1_11target_archE942ELNS1_3gpuE9ELNS1_3repE0EEENS1_30default_config_static_selectorELNS0_4arch9wavefront6targetE1EEEvT1_
		.amdhsa_group_segment_fixed_size 0
		.amdhsa_private_segment_fixed_size 0
		.amdhsa_kernarg_size 96
		.amdhsa_user_sgpr_count 6
		.amdhsa_user_sgpr_private_segment_buffer 1
		.amdhsa_user_sgpr_dispatch_ptr 0
		.amdhsa_user_sgpr_queue_ptr 0
		.amdhsa_user_sgpr_kernarg_segment_ptr 1
		.amdhsa_user_sgpr_dispatch_id 0
		.amdhsa_user_sgpr_flat_scratch_init 0
		.amdhsa_user_sgpr_kernarg_preload_length 0
		.amdhsa_user_sgpr_kernarg_preload_offset 0
		.amdhsa_user_sgpr_private_segment_size 0
		.amdhsa_uses_dynamic_stack 0
		.amdhsa_system_sgpr_private_segment_wavefront_offset 0
		.amdhsa_system_sgpr_workgroup_id_x 1
		.amdhsa_system_sgpr_workgroup_id_y 0
		.amdhsa_system_sgpr_workgroup_id_z 0
		.amdhsa_system_sgpr_workgroup_info 0
		.amdhsa_system_vgpr_workitem_id 0
		.amdhsa_next_free_vgpr 1
		.amdhsa_next_free_sgpr 0
		.amdhsa_accum_offset 4
		.amdhsa_reserve_vcc 0
		.amdhsa_reserve_flat_scratch 0
		.amdhsa_float_round_mode_32 0
		.amdhsa_float_round_mode_16_64 0
		.amdhsa_float_denorm_mode_32 3
		.amdhsa_float_denorm_mode_16_64 3
		.amdhsa_dx10_clamp 1
		.amdhsa_ieee_mode 1
		.amdhsa_fp16_overflow 0
		.amdhsa_tg_split 0
		.amdhsa_exception_fp_ieee_invalid_op 0
		.amdhsa_exception_fp_denorm_src 0
		.amdhsa_exception_fp_ieee_div_zero 0
		.amdhsa_exception_fp_ieee_overflow 0
		.amdhsa_exception_fp_ieee_underflow 0
		.amdhsa_exception_fp_ieee_inexact 0
		.amdhsa_exception_int_div_zero 0
	.end_amdhsa_kernel
	.section	.text._ZN7rocprim17ROCPRIM_400000_NS6detail17trampoline_kernelINS0_14default_configENS1_20scan_config_selectorIsEEZZNS1_9scan_implILNS1_25lookback_scan_determinismE0ELb0ELb0ES3_N6thrust23THRUST_200600_302600_NS6detail15normal_iteratorINS9_10device_ptrIsEEEESE_s11max_functorIsEsEEDaPvRmT3_T4_T5_mT6_P12ihipStream_tbENKUlT_T0_E_clISt17integral_constantIbLb1EESU_EEDaSP_SQ_EUlSP_E_NS1_11comp_targetILNS1_3genE5ELNS1_11target_archE942ELNS1_3gpuE9ELNS1_3repE0EEENS1_30default_config_static_selectorELNS0_4arch9wavefront6targetE1EEEvT1_,"axG",@progbits,_ZN7rocprim17ROCPRIM_400000_NS6detail17trampoline_kernelINS0_14default_configENS1_20scan_config_selectorIsEEZZNS1_9scan_implILNS1_25lookback_scan_determinismE0ELb0ELb0ES3_N6thrust23THRUST_200600_302600_NS6detail15normal_iteratorINS9_10device_ptrIsEEEESE_s11max_functorIsEsEEDaPvRmT3_T4_T5_mT6_P12ihipStream_tbENKUlT_T0_E_clISt17integral_constantIbLb1EESU_EEDaSP_SQ_EUlSP_E_NS1_11comp_targetILNS1_3genE5ELNS1_11target_archE942ELNS1_3gpuE9ELNS1_3repE0EEENS1_30default_config_static_selectorELNS0_4arch9wavefront6targetE1EEEvT1_,comdat
.Lfunc_end2865:
	.size	_ZN7rocprim17ROCPRIM_400000_NS6detail17trampoline_kernelINS0_14default_configENS1_20scan_config_selectorIsEEZZNS1_9scan_implILNS1_25lookback_scan_determinismE0ELb0ELb0ES3_N6thrust23THRUST_200600_302600_NS6detail15normal_iteratorINS9_10device_ptrIsEEEESE_s11max_functorIsEsEEDaPvRmT3_T4_T5_mT6_P12ihipStream_tbENKUlT_T0_E_clISt17integral_constantIbLb1EESU_EEDaSP_SQ_EUlSP_E_NS1_11comp_targetILNS1_3genE5ELNS1_11target_archE942ELNS1_3gpuE9ELNS1_3repE0EEENS1_30default_config_static_selectorELNS0_4arch9wavefront6targetE1EEEvT1_, .Lfunc_end2865-_ZN7rocprim17ROCPRIM_400000_NS6detail17trampoline_kernelINS0_14default_configENS1_20scan_config_selectorIsEEZZNS1_9scan_implILNS1_25lookback_scan_determinismE0ELb0ELb0ES3_N6thrust23THRUST_200600_302600_NS6detail15normal_iteratorINS9_10device_ptrIsEEEESE_s11max_functorIsEsEEDaPvRmT3_T4_T5_mT6_P12ihipStream_tbENKUlT_T0_E_clISt17integral_constantIbLb1EESU_EEDaSP_SQ_EUlSP_E_NS1_11comp_targetILNS1_3genE5ELNS1_11target_archE942ELNS1_3gpuE9ELNS1_3repE0EEENS1_30default_config_static_selectorELNS0_4arch9wavefront6targetE1EEEvT1_
                                        ; -- End function
	.section	.AMDGPU.csdata,"",@progbits
; Kernel info:
; codeLenInByte = 0
; NumSgprs: 4
; NumVgprs: 0
; NumAgprs: 0
; TotalNumVgprs: 0
; ScratchSize: 0
; MemoryBound: 0
; FloatMode: 240
; IeeeMode: 1
; LDSByteSize: 0 bytes/workgroup (compile time only)
; SGPRBlocks: 0
; VGPRBlocks: 0
; NumSGPRsForWavesPerEU: 4
; NumVGPRsForWavesPerEU: 1
; AccumOffset: 4
; Occupancy: 8
; WaveLimiterHint : 0
; COMPUTE_PGM_RSRC2:SCRATCH_EN: 0
; COMPUTE_PGM_RSRC2:USER_SGPR: 6
; COMPUTE_PGM_RSRC2:TRAP_HANDLER: 0
; COMPUTE_PGM_RSRC2:TGID_X_EN: 1
; COMPUTE_PGM_RSRC2:TGID_Y_EN: 0
; COMPUTE_PGM_RSRC2:TGID_Z_EN: 0
; COMPUTE_PGM_RSRC2:TIDIG_COMP_CNT: 0
; COMPUTE_PGM_RSRC3_GFX90A:ACCUM_OFFSET: 0
; COMPUTE_PGM_RSRC3_GFX90A:TG_SPLIT: 0
	.section	.text._ZN7rocprim17ROCPRIM_400000_NS6detail17trampoline_kernelINS0_14default_configENS1_20scan_config_selectorIsEEZZNS1_9scan_implILNS1_25lookback_scan_determinismE0ELb0ELb0ES3_N6thrust23THRUST_200600_302600_NS6detail15normal_iteratorINS9_10device_ptrIsEEEESE_s11max_functorIsEsEEDaPvRmT3_T4_T5_mT6_P12ihipStream_tbENKUlT_T0_E_clISt17integral_constantIbLb1EESU_EEDaSP_SQ_EUlSP_E_NS1_11comp_targetILNS1_3genE4ELNS1_11target_archE910ELNS1_3gpuE8ELNS1_3repE0EEENS1_30default_config_static_selectorELNS0_4arch9wavefront6targetE1EEEvT1_,"axG",@progbits,_ZN7rocprim17ROCPRIM_400000_NS6detail17trampoline_kernelINS0_14default_configENS1_20scan_config_selectorIsEEZZNS1_9scan_implILNS1_25lookback_scan_determinismE0ELb0ELb0ES3_N6thrust23THRUST_200600_302600_NS6detail15normal_iteratorINS9_10device_ptrIsEEEESE_s11max_functorIsEsEEDaPvRmT3_T4_T5_mT6_P12ihipStream_tbENKUlT_T0_E_clISt17integral_constantIbLb1EESU_EEDaSP_SQ_EUlSP_E_NS1_11comp_targetILNS1_3genE4ELNS1_11target_archE910ELNS1_3gpuE8ELNS1_3repE0EEENS1_30default_config_static_selectorELNS0_4arch9wavefront6targetE1EEEvT1_,comdat
	.protected	_ZN7rocprim17ROCPRIM_400000_NS6detail17trampoline_kernelINS0_14default_configENS1_20scan_config_selectorIsEEZZNS1_9scan_implILNS1_25lookback_scan_determinismE0ELb0ELb0ES3_N6thrust23THRUST_200600_302600_NS6detail15normal_iteratorINS9_10device_ptrIsEEEESE_s11max_functorIsEsEEDaPvRmT3_T4_T5_mT6_P12ihipStream_tbENKUlT_T0_E_clISt17integral_constantIbLb1EESU_EEDaSP_SQ_EUlSP_E_NS1_11comp_targetILNS1_3genE4ELNS1_11target_archE910ELNS1_3gpuE8ELNS1_3repE0EEENS1_30default_config_static_selectorELNS0_4arch9wavefront6targetE1EEEvT1_ ; -- Begin function _ZN7rocprim17ROCPRIM_400000_NS6detail17trampoline_kernelINS0_14default_configENS1_20scan_config_selectorIsEEZZNS1_9scan_implILNS1_25lookback_scan_determinismE0ELb0ELb0ES3_N6thrust23THRUST_200600_302600_NS6detail15normal_iteratorINS9_10device_ptrIsEEEESE_s11max_functorIsEsEEDaPvRmT3_T4_T5_mT6_P12ihipStream_tbENKUlT_T0_E_clISt17integral_constantIbLb1EESU_EEDaSP_SQ_EUlSP_E_NS1_11comp_targetILNS1_3genE4ELNS1_11target_archE910ELNS1_3gpuE8ELNS1_3repE0EEENS1_30default_config_static_selectorELNS0_4arch9wavefront6targetE1EEEvT1_
	.globl	_ZN7rocprim17ROCPRIM_400000_NS6detail17trampoline_kernelINS0_14default_configENS1_20scan_config_selectorIsEEZZNS1_9scan_implILNS1_25lookback_scan_determinismE0ELb0ELb0ES3_N6thrust23THRUST_200600_302600_NS6detail15normal_iteratorINS9_10device_ptrIsEEEESE_s11max_functorIsEsEEDaPvRmT3_T4_T5_mT6_P12ihipStream_tbENKUlT_T0_E_clISt17integral_constantIbLb1EESU_EEDaSP_SQ_EUlSP_E_NS1_11comp_targetILNS1_3genE4ELNS1_11target_archE910ELNS1_3gpuE8ELNS1_3repE0EEENS1_30default_config_static_selectorELNS0_4arch9wavefront6targetE1EEEvT1_
	.p2align	8
	.type	_ZN7rocprim17ROCPRIM_400000_NS6detail17trampoline_kernelINS0_14default_configENS1_20scan_config_selectorIsEEZZNS1_9scan_implILNS1_25lookback_scan_determinismE0ELb0ELb0ES3_N6thrust23THRUST_200600_302600_NS6detail15normal_iteratorINS9_10device_ptrIsEEEESE_s11max_functorIsEsEEDaPvRmT3_T4_T5_mT6_P12ihipStream_tbENKUlT_T0_E_clISt17integral_constantIbLb1EESU_EEDaSP_SQ_EUlSP_E_NS1_11comp_targetILNS1_3genE4ELNS1_11target_archE910ELNS1_3gpuE8ELNS1_3repE0EEENS1_30default_config_static_selectorELNS0_4arch9wavefront6targetE1EEEvT1_,@function
_ZN7rocprim17ROCPRIM_400000_NS6detail17trampoline_kernelINS0_14default_configENS1_20scan_config_selectorIsEEZZNS1_9scan_implILNS1_25lookback_scan_determinismE0ELb0ELb0ES3_N6thrust23THRUST_200600_302600_NS6detail15normal_iteratorINS9_10device_ptrIsEEEESE_s11max_functorIsEsEEDaPvRmT3_T4_T5_mT6_P12ihipStream_tbENKUlT_T0_E_clISt17integral_constantIbLb1EESU_EEDaSP_SQ_EUlSP_E_NS1_11comp_targetILNS1_3genE4ELNS1_11target_archE910ELNS1_3gpuE8ELNS1_3repE0EEENS1_30default_config_static_selectorELNS0_4arch9wavefront6targetE1EEEvT1_: ; @_ZN7rocprim17ROCPRIM_400000_NS6detail17trampoline_kernelINS0_14default_configENS1_20scan_config_selectorIsEEZZNS1_9scan_implILNS1_25lookback_scan_determinismE0ELb0ELb0ES3_N6thrust23THRUST_200600_302600_NS6detail15normal_iteratorINS9_10device_ptrIsEEEESE_s11max_functorIsEsEEDaPvRmT3_T4_T5_mT6_P12ihipStream_tbENKUlT_T0_E_clISt17integral_constantIbLb1EESU_EEDaSP_SQ_EUlSP_E_NS1_11comp_targetILNS1_3genE4ELNS1_11target_archE910ELNS1_3gpuE8ELNS1_3repE0EEENS1_30default_config_static_selectorELNS0_4arch9wavefront6targetE1EEEvT1_
; %bb.0:
	s_load_dwordx2 s[34:35], s[4:5], 0x28
	v_cmp_ne_u32_e64 s[0:1], 0, v0
	v_cmp_eq_u32_e64 s[2:3], 0, v0
	s_and_saveexec_b64 s[6:7], s[2:3]
	s_cbranch_execz .LBB2866_4
; %bb.1:
	s_mov_b64 s[10:11], exec
	v_mbcnt_lo_u32_b32 v1, s10, 0
	v_mbcnt_hi_u32_b32 v1, s11, v1
	v_cmp_eq_u32_e32 vcc, 0, v1
                                        ; implicit-def: $vgpr2
	s_and_saveexec_b64 s[8:9], vcc
	s_cbranch_execz .LBB2866_3
; %bb.2:
	s_load_dwordx2 s[12:13], s[4:5], 0x58
	s_bcnt1_i32_b64 s10, s[10:11]
	v_mov_b32_e32 v2, 0
	v_mov_b32_e32 v3, s10
	s_waitcnt lgkmcnt(0)
	global_atomic_add v2, v2, v3, s[12:13] glc
.LBB2866_3:
	s_or_b64 exec, exec, s[8:9]
	s_waitcnt vmcnt(0)
	v_readfirstlane_b32 s8, v2
	v_add_u32_e32 v1, s8, v1
	v_mov_b32_e32 v2, 0
	ds_write_b32 v2, v1
.LBB2866_4:
	s_or_b64 exec, exec, s[6:7]
	s_load_dwordx8 s[24:31], s[4:5], 0x0
	s_load_dword s6, s[4:5], 0x30
	s_load_dwordx8 s[16:23], s[4:5], 0x38
	v_mov_b32_e32 v1, 0
	s_waitcnt lgkmcnt(0)
	; wave barrier
	s_waitcnt lgkmcnt(0)
	ds_read_b32 v1, v1
	s_lshl_b64 s[14:15], s[26:27], 1
	s_add_u32 s7, s24, s14
	s_addc_u32 s8, s25, s15
	s_add_i32 s6, s6, -1
	s_mul_i32 s9, s6, 0x600
	s_sub_u32 s33, s30, s9
	s_waitcnt lgkmcnt(0)
	v_readfirstlane_b32 s37, v1
	s_subb_u32 s36, s31, 0
	s_mul_i32 s4, s37, 0x600
	s_mov_b32 s5, 0
	s_cmp_lg_u32 s37, s6
	s_cselect_b64 s[24:25], -1, 0
	s_lshl_b64 s[26:27], s[4:5], 1
	s_add_u32 s6, s7, s26
	s_addc_u32 s7, s8, s27
	s_mov_b64 s[4:5], -1
	s_and_b64 vcc, exec, s[24:25]
	v_lshlrev_b32_e32 v20, 1, v0
	s_waitcnt lgkmcnt(0)
	; wave barrier
	s_cbranch_vccz .LBB2866_6
; %bb.5:
	v_mov_b32_e32 v1, s7
	v_add_co_u32_e32 v2, vcc, s6, v20
	v_addc_co_u32_e32 v3, vcc, 0, v1, vcc
	flat_load_ushort v1, v[2:3]
	flat_load_ushort v4, v[2:3] offset:128
	flat_load_ushort v5, v[2:3] offset:256
	;; [unrolled: 1-line block ×23, first 2 shown]
	s_mov_b64 s[4:5], 0
	s_waitcnt vmcnt(0) lgkmcnt(0)
	ds_write_b16 v20, v1
	ds_write_b16 v20, v4 offset:128
	ds_write_b16 v20, v5 offset:256
	;; [unrolled: 1-line block ×23, first 2 shown]
	s_waitcnt lgkmcnt(0)
	; wave barrier
.LBB2866_6:
	s_andn2_b64 vcc, exec, s[4:5]
	v_cmp_gt_u32_e64 s[4:5], s33, v0
	s_cbranch_vccnz .LBB2866_56
; %bb.7:
	v_pk_mov_b32 v[2:3], s[6:7], s[6:7] op_sel:[0,1]
	flat_load_ushort v1, v[2:3]
	s_waitcnt vmcnt(0) lgkmcnt(0)
	v_mov_b32_e32 v2, v1
	s_and_saveexec_b64 s[8:9], s[4:5]
	s_cbranch_execz .LBB2866_9
; %bb.8:
	v_mov_b32_e32 v3, s7
	v_add_co_u32_e32 v2, vcc, s6, v20
	v_addc_co_u32_e32 v3, vcc, 0, v3, vcc
	flat_load_ushort v2, v[2:3]
.LBB2866_9:
	s_or_b64 exec, exec, s[8:9]
	v_or_b32_e32 v3, 64, v0
	v_cmp_gt_u32_e32 vcc, s33, v3
	v_mov_b32_e32 v3, v1
	s_and_saveexec_b64 s[4:5], vcc
	s_cbranch_execz .LBB2866_11
; %bb.10:
	v_mov_b32_e32 v3, s7
	v_add_co_u32_e32 v4, vcc, s6, v20
	v_addc_co_u32_e32 v5, vcc, 0, v3, vcc
	flat_load_ushort v3, v[4:5] offset:128
.LBB2866_11:
	s_or_b64 exec, exec, s[4:5]
	v_or_b32_e32 v4, 0x80, v0
	v_cmp_gt_u32_e32 vcc, s33, v4
	v_mov_b32_e32 v4, v1
	s_and_saveexec_b64 s[4:5], vcc
	s_cbranch_execz .LBB2866_13
; %bb.12:
	v_mov_b32_e32 v5, s7
	v_add_co_u32_e32 v4, vcc, s6, v20
	v_addc_co_u32_e32 v5, vcc, 0, v5, vcc
	flat_load_ushort v4, v[4:5] offset:256
.LBB2866_13:
	;; [unrolled: 12-line block ×22, first 2 shown]
	s_or_b64 exec, exec, s[4:5]
	v_or_b32_e32 v26, 0x5c0, v0
	v_cmp_gt_u32_e32 vcc, s33, v26
	s_and_saveexec_b64 s[4:5], vcc
	s_cbranch_execz .LBB2866_55
; %bb.54:
	v_mov_b32_e32 v1, s7
	v_add_co_u32_e32 v26, vcc, s6, v20
	v_addc_co_u32_e32 v27, vcc, 0, v1, vcc
	flat_load_ushort v1, v[26:27] offset:2944
.LBB2866_55:
	s_or_b64 exec, exec, s[4:5]
	s_waitcnt vmcnt(0) lgkmcnt(0)
	ds_write_b16 v20, v2
	ds_write_b16 v20, v3 offset:128
	ds_write_b16 v20, v4 offset:256
	;; [unrolled: 1-line block ×23, first 2 shown]
	s_waitcnt lgkmcnt(0)
	; wave barrier
.LBB2866_56:
	v_mul_u32_u24_e32 v21, 24, v0
	v_lshlrev_b32_e32 v22, 1, v21
	s_waitcnt lgkmcnt(0)
	ds_read_b128 v[10:13], v22
	ds_read_b128 v[6:9], v22 offset:16
	ds_read_b128 v[2:5], v22 offset:32
	s_cmp_lg_u32 s37, 0
	v_mbcnt_lo_u32_b32 v33, -1, 0
	s_waitcnt lgkmcnt(2)
	v_lshrrev_b32_e32 v32, 16, v11
	v_lshrrev_b32_e32 v31, 16, v12
	;; [unrolled: 1-line block ×3, first 2 shown]
	s_waitcnt lgkmcnt(1)
	v_lshrrev_b32_e32 v29, 16, v6
	v_lshrrev_b32_e32 v28, 16, v7
	;; [unrolled: 1-line block ×4, first 2 shown]
	s_waitcnt lgkmcnt(0)
	v_lshrrev_b32_e32 v25, 16, v2
	v_lshrrev_b32_e32 v24, 16, v3
	;; [unrolled: 1-line block ×4, first 2 shown]
	v_cmp_eq_u32_e32 vcc, 63, v0
	s_waitcnt lgkmcnt(0)
	; wave barrier
	s_cbranch_scc0 .LBB2866_83
; %bb.57:
	v_max_i16_sdwa v14, v10, v10 dst_sel:DWORD dst_unused:UNUSED_PAD src0_sel:DWORD src1_sel:WORD_1
	v_max3_i16 v14, v14, v11, v32
	v_max3_i16 v14, v14, v12, v31
	;; [unrolled: 1-line block ×11, first 2 shown]
	v_mbcnt_hi_u32_b32 v15, -1, v33
	v_and_b32_e32 v17, 0xffff, v14
	v_and_b32_e32 v16, 15, v15
	v_cmp_eq_u32_e64 s[4:5], 0, v16
	v_mov_b32_dpp v17, v17 row_shr:1 row_mask:0xf bank_mask:0xf
	v_max_i16_e32 v17, v17, v14
	v_cndmask_b32_e64 v14, v17, v14, s[4:5]
	v_and_b32_e32 v17, 0xffff, v14
	v_cmp_lt_u32_e64 s[4:5], 1, v16
	s_nop 0
	v_mov_b32_dpp v17, v17 row_shr:2 row_mask:0xf bank_mask:0xf
	v_max_i16_e32 v17, v17, v14
	v_cndmask_b32_e64 v14, v14, v17, s[4:5]
	v_and_b32_e32 v17, 0xffff, v14
	v_cmp_lt_u32_e64 s[4:5], 3, v16
	s_nop 0
	;; [unrolled: 6-line block ×3, first 2 shown]
	v_mov_b32_dpp v17, v17 row_shr:8 row_mask:0xf bank_mask:0xf
	v_max_i16_e32 v17, v17, v14
	v_cndmask_b32_e64 v14, v14, v17, s[4:5]
	v_and_b32_e32 v16, 0xffff, v14
	v_and_b32_e32 v17, 16, v15
	v_cmp_eq_u32_e64 s[4:5], 0, v17
	v_mov_b32_dpp v16, v16 row_bcast:15 row_mask:0xf bank_mask:0xf
	v_max_i16_e32 v16, v16, v14
	v_cndmask_b32_e64 v14, v16, v14, s[4:5]
	v_and_b32_e32 v16, 0xffff, v14
	v_cmp_lt_u32_e64 s[4:5], 31, v15
	s_nop 0
	v_mov_b32_dpp v16, v16 row_bcast:31 row_mask:0xf bank_mask:0xf
	v_max_i16_e32 v16, v16, v14
	v_cndmask_b32_e64 v14, v14, v16, s[4:5]
	s_and_saveexec_b64 s[4:5], vcc
	s_cbranch_execz .LBB2866_59
; %bb.58:
	v_mov_b32_e32 v16, 0
	ds_write_b16 v16, v14
.LBB2866_59:
	s_or_b64 exec, exec, s[4:5]
	v_add_u32_e32 v16, -1, v15
	v_and_b32_e32 v17, 64, v15
	v_cmp_lt_i32_e32 vcc, v16, v17
	v_cndmask_b32_e32 v16, v16, v15, vcc
	v_and_b32_e32 v14, 0xffff, v14
	v_lshlrev_b32_e32 v16, 2, v16
	ds_bpermute_b32 v34, v16, v14
	v_cmp_gt_u32_e32 vcc, 64, v0
	s_waitcnt lgkmcnt(0)
	; wave barrier
	s_waitcnt lgkmcnt(0)
	s_and_saveexec_b64 s[30:31], vcc
	s_cbranch_execz .LBB2866_82
; %bb.60:
	v_mov_b32_e32 v19, 0
	ds_read_u16 v35, v19
	s_mov_b32 s9, 0
	v_cmp_eq_u32_e64 s[4:5], 0, v15
	s_and_saveexec_b64 s[6:7], s[4:5]
	s_cbranch_execz .LBB2866_62
; %bb.61:
	s_add_i32 s8, s37, 64
	s_lshl_b64 s[8:9], s[8:9], 2
	s_add_u32 s8, s34, s8
	s_waitcnt lgkmcnt(0)
	v_or_b32_e32 v14, 0x10000, v35
	s_addc_u32 s9, s35, s9
	global_store_dword v19, v14, s[8:9]
.LBB2866_62:
	s_or_b64 exec, exec, s[6:7]
	v_xad_u32 v14, v15, -1, s37
	v_add_u32_e32 v18, 64, v14
	v_lshlrev_b64 v[16:17], 2, v[18:19]
	v_mov_b32_e32 v18, s35
	v_add_co_u32_e32 v16, vcc, s34, v16
	v_addc_co_u32_e32 v17, vcc, v18, v17, vcc
	global_load_dword v18, v[16:17], off glc
	s_waitcnt vmcnt(0)
	v_lshrrev_b32_e32 v39, 16, v18
	v_cmp_eq_u16_sdwa s[8:9], v39, v19 src0_sel:BYTE_0 src1_sel:DWORD
	s_and_saveexec_b64 s[6:7], s[8:9]
	s_cbranch_execz .LBB2866_68
; %bb.63:
	s_mov_b32 s10, 1
	s_mov_b64 s[8:9], 0
	v_mov_b32_e32 v19, 0
.LBB2866_64:                            ; =>This Loop Header: Depth=1
                                        ;     Child Loop BB2866_65 Depth 2
	s_max_u32 s11, s10, 1
.LBB2866_65:                            ;   Parent Loop BB2866_64 Depth=1
                                        ; =>  This Inner Loop Header: Depth=2
	s_add_i32 s11, s11, -1
	s_cmp_eq_u32 s11, 0
	s_sleep 1
	s_cbranch_scc0 .LBB2866_65
; %bb.66:                               ;   in Loop: Header=BB2866_64 Depth=1
	global_load_dword v18, v[16:17], off glc
	s_cmp_lt_u32 s10, 32
	s_cselect_b64 s[12:13], -1, 0
	s_cmp_lg_u64 s[12:13], 0
	s_addc_u32 s10, s10, 0
	s_waitcnt vmcnt(0)
	v_lshrrev_b32_e32 v39, 16, v18
	v_cmp_ne_u16_sdwa s[12:13], v39, v19 src0_sel:BYTE_0 src1_sel:DWORD
	s_or_b64 s[8:9], s[12:13], s[8:9]
	s_andn2_b64 exec, exec, s[8:9]
	s_cbranch_execnz .LBB2866_64
; %bb.67:
	s_or_b64 exec, exec, s[8:9]
.LBB2866_68:
	s_or_b64 exec, exec, s[6:7]
	v_and_b32_e32 v37, 63, v15
	v_cmp_ne_u32_e32 vcc, 63, v37
	v_mov_b32_e32 v36, 2
	v_addc_co_u32_e32 v38, vcc, 0, v15, vcc
	v_cmp_eq_u16_sdwa s[6:7], v39, v36 src0_sel:BYTE_0 src1_sel:DWORD
	v_lshlrev_b64 v[16:17], v15, -1
	v_and_b32_e32 v41, 0xffff, v18
	v_lshlrev_b32_e32 v38, 2, v38
	v_and_b32_e32 v19, s7, v17
	ds_bpermute_b32 v42, v38, v41
	v_or_b32_e32 v19, 0x80000000, v19
	v_and_b32_e32 v40, s6, v16
	v_ffbl_b32_e32 v19, v19
	v_add_u32_e32 v19, 32, v19
	v_ffbl_b32_e32 v40, v40
	v_cmp_gt_u32_e64 s[6:7], 62, v37
	v_min_u32_e32 v19, v40, v19
	v_cndmask_b32_e64 v40, 0, 1, s[6:7]
	s_waitcnt lgkmcnt(0)
	v_max_i16_e32 v42, v42, v18
	v_cmp_lt_u32_e32 vcc, v37, v19
	v_lshlrev_b32_e32 v40, 1, v40
	v_cndmask_b32_e32 v43, v41, v42, vcc
	v_add_lshl_u32 v40, v40, v15, 2
	ds_bpermute_b32 v44, v40, v43
	v_cmp_gt_u32_e64 s[8:9], 60, v37
	v_cndmask_b32_e32 v45, v18, v42, vcc
	v_add_u32_e32 v41, 2, v37
	v_cndmask_b32_e64 v42, 0, 1, s[8:9]
	s_waitcnt lgkmcnt(0)
	v_max_i16_e32 v44, v44, v45
	v_cmp_gt_u32_e64 s[6:7], v41, v19
	v_lshlrev_b32_e32 v42, 2, v42
	v_cndmask_b32_e64 v46, v44, v43, s[6:7]
	v_add_lshl_u32 v42, v42, v15, 2
	ds_bpermute_b32 v47, v42, v46
	v_cmp_gt_u32_e64 s[8:9], 56, v37
	v_cndmask_b32_e64 v48, v44, v45, s[6:7]
	v_add_u32_e32 v43, 4, v37
	v_cndmask_b32_e64 v44, 0, 1, s[8:9]
	s_waitcnt lgkmcnt(0)
	v_max_i16_e32 v51, v47, v48
	v_cmp_gt_u32_e64 s[6:7], v43, v19
	v_lshlrev_b32_e32 v44, 3, v44
	v_cndmask_b32_e64 v46, v51, v46, s[6:7]
	v_add_lshl_u32 v44, v44, v15, 2
	ds_bpermute_b32 v47, v44, v46
	v_cndmask_b32_e64 v49, v51, v48, s[6:7]
	v_add_u32_e32 v45, 8, v37
	v_cmp_gt_u32_e64 s[8:9], v45, v19
	v_cmp_gt_u32_e64 s[10:11], 48, v37
	s_waitcnt lgkmcnt(0)
	v_max_i16_e32 v52, v47, v49
	v_cndmask_b32_e64 v50, v52, v46, s[8:9]
	v_cndmask_b32_e64 v46, 0, 1, s[10:11]
	v_lshlrev_b32_e32 v46, 4, v46
	v_add_lshl_u32 v46, v46, v15, 2
	ds_bpermute_b32 v53, v46, v50
	v_cmp_gt_u32_e64 s[12:13], 32, v37
	v_cndmask_b32_e64 v54, v52, v49, s[8:9]
	v_add_u32_e32 v47, 16, v37
	v_cndmask_b32_e64 v49, 0, 1, s[12:13]
	s_waitcnt lgkmcnt(0)
	v_max_i16_e32 v53, v53, v54
	v_cmp_gt_u32_e64 s[10:11], v47, v19
	v_lshlrev_b32_e32 v49, 5, v49
	v_cndmask_b32_e64 v50, v53, v50, s[10:11]
	v_add_lshl_u32 v49, v49, v15, 2
	ds_bpermute_b32 v15, v49, v50
	v_cndmask_b32_e32 v18, v18, v48, vcc
	v_cndmask_b32_e64 v18, v51, v18, s[6:7]
	v_add_u32_e32 v50, 32, v37
	v_cndmask_b32_e64 v54, v53, v54, s[10:11]
	v_cndmask_b32_e64 v18, v52, v18, s[8:9]
	s_waitcnt lgkmcnt(0)
	v_max_i16_e32 v15, v15, v54
	v_cndmask_b32_e64 v18, v53, v18, s[10:11]
	v_cmp_gt_u32_e32 vcc, v50, v19
	v_cndmask_b32_e32 v18, v15, v18, vcc
	v_mov_b32_e32 v15, 0
	s_branch .LBB2866_70
.LBB2866_69:                            ;   in Loop: Header=BB2866_70 Depth=1
	s_or_b64 exec, exec, s[6:7]
	v_cmp_eq_u16_sdwa s[6:7], v39, v36 src0_sel:BYTE_0 src1_sel:DWORD
	v_and_b32_e32 v52, 0xffff, v51
	v_and_b32_e32 v18, s7, v17
	ds_bpermute_b32 v53, v38, v52
	v_or_b32_e32 v18, 0x80000000, v18
	v_and_b32_e32 v19, s6, v16
	v_ffbl_b32_e32 v18, v18
	v_add_u32_e32 v18, 32, v18
	v_ffbl_b32_e32 v19, v19
	v_min_u32_e32 v18, v19, v18
	s_waitcnt lgkmcnt(0)
	v_max_i16_e32 v19, v53, v51
	v_cmp_lt_u32_e32 vcc, v37, v18
	v_cndmask_b32_e32 v52, v52, v19, vcc
	ds_bpermute_b32 v53, v40, v52
	v_cndmask_b32_e32 v19, v51, v19, vcc
	v_cmp_gt_u32_e64 s[6:7], v41, v18
	v_cmp_gt_u32_e64 s[8:9], v45, v18
	v_subrev_u32_e32 v14, 64, v14
	s_waitcnt lgkmcnt(0)
	v_max_i16_e32 v53, v53, v19
	v_cndmask_b32_e64 v52, v53, v52, s[6:7]
	ds_bpermute_b32 v54, v42, v52
	v_cndmask_b32_e64 v19, v53, v19, s[6:7]
	v_cmp_gt_u32_e64 s[6:7], v43, v18
	s_waitcnt lgkmcnt(0)
	v_max_i16_e32 v53, v54, v19
	v_cndmask_b32_e64 v52, v53, v52, s[6:7]
	ds_bpermute_b32 v54, v44, v52
	v_cndmask_b32_e64 v55, v53, v19, s[6:7]
	v_cndmask_b32_e32 v19, v51, v19, vcc
	v_cmp_gt_u32_e32 vcc, v47, v18
	v_cndmask_b32_e64 v19, v53, v19, s[6:7]
	s_waitcnt lgkmcnt(0)
	v_max_i16_e32 v54, v54, v55
	v_cndmask_b32_e64 v52, v54, v52, s[8:9]
	ds_bpermute_b32 v56, v46, v52
	v_cndmask_b32_e64 v51, v54, v55, s[8:9]
	v_cndmask_b32_e64 v19, v54, v19, s[8:9]
	s_waitcnt lgkmcnt(0)
	v_max_i16_e32 v55, v56, v51
	v_cndmask_b32_e32 v52, v55, v52, vcc
	ds_bpermute_b32 v52, v49, v52
	v_cndmask_b32_e32 v51, v55, v51, vcc
	v_cndmask_b32_e32 v19, v55, v19, vcc
	v_cmp_gt_u32_e32 vcc, v50, v18
	s_waitcnt lgkmcnt(0)
	v_max_i16_e32 v51, v52, v51
	v_cndmask_b32_e32 v18, v51, v19, vcc
	v_max_i16_e32 v18, v18, v48
.LBB2866_70:                            ; =>This Loop Header: Depth=1
                                        ;     Child Loop BB2866_73 Depth 2
                                        ;       Child Loop BB2866_74 Depth 3
	v_cmp_ne_u16_sdwa s[6:7], v39, v36 src0_sel:BYTE_0 src1_sel:DWORD
	v_cndmask_b32_e64 v19, 0, 1, s[6:7]
	;;#ASMSTART
	;;#ASMEND
	v_cmp_ne_u32_e32 vcc, 0, v19
	s_cmp_lg_u64 vcc, exec
	v_mov_b32_e32 v48, v18
	s_cbranch_scc1 .LBB2866_77
; %bb.71:                               ;   in Loop: Header=BB2866_70 Depth=1
	v_lshlrev_b64 v[18:19], 2, v[14:15]
	v_mov_b32_e32 v39, s35
	v_add_co_u32_e32 v18, vcc, s34, v18
	v_addc_co_u32_e32 v19, vcc, v39, v19, vcc
	global_load_dword v51, v[18:19], off glc
	s_waitcnt vmcnt(0)
	v_lshrrev_b32_e32 v39, 16, v51
	v_cmp_eq_u16_sdwa s[8:9], v39, v15 src0_sel:BYTE_0 src1_sel:DWORD
	s_and_saveexec_b64 s[6:7], s[8:9]
	s_cbranch_execz .LBB2866_69
; %bb.72:                               ;   in Loop: Header=BB2866_70 Depth=1
	s_mov_b32 s10, 1
	s_mov_b64 s[8:9], 0
.LBB2866_73:                            ;   Parent Loop BB2866_70 Depth=1
                                        ; =>  This Loop Header: Depth=2
                                        ;       Child Loop BB2866_74 Depth 3
	s_max_u32 s11, s10, 1
.LBB2866_74:                            ;   Parent Loop BB2866_70 Depth=1
                                        ;     Parent Loop BB2866_73 Depth=2
                                        ; =>    This Inner Loop Header: Depth=3
	s_add_i32 s11, s11, -1
	s_cmp_eq_u32 s11, 0
	s_sleep 1
	s_cbranch_scc0 .LBB2866_74
; %bb.75:                               ;   in Loop: Header=BB2866_73 Depth=2
	global_load_dword v51, v[18:19], off glc
	s_cmp_lt_u32 s10, 32
	s_cselect_b64 s[12:13], -1, 0
	s_cmp_lg_u64 s[12:13], 0
	s_addc_u32 s10, s10, 0
	s_waitcnt vmcnt(0)
	v_lshrrev_b32_e32 v39, 16, v51
	v_cmp_ne_u16_sdwa s[12:13], v39, v15 src0_sel:BYTE_0 src1_sel:DWORD
	s_or_b64 s[8:9], s[12:13], s[8:9]
	s_andn2_b64 exec, exec, s[8:9]
	s_cbranch_execnz .LBB2866_73
; %bb.76:                               ;   in Loop: Header=BB2866_70 Depth=1
	s_or_b64 exec, exec, s[8:9]
	s_branch .LBB2866_69
.LBB2866_77:                            ;   in Loop: Header=BB2866_70 Depth=1
                                        ; implicit-def: $vgpr18
                                        ; implicit-def: $vgpr39
	s_cbranch_execz .LBB2866_70
; %bb.78:
	s_and_saveexec_b64 s[6:7], s[4:5]
	s_cbranch_execz .LBB2866_80
; %bb.79:
	s_add_i32 s4, s37, 64
	s_mov_b32 s5, 0
	s_lshl_b64 s[4:5], s[4:5], 2
	v_max_i16_e32 v14, v48, v35
	s_add_u32 s4, s34, s4
	v_or_b32_e32 v14, 0x20000, v14
	s_addc_u32 s5, s35, s5
	v_mov_b32_e32 v15, 0
	global_store_dword v15, v14, s[4:5]
.LBB2866_80:
	s_or_b64 exec, exec, s[6:7]
	s_and_b64 exec, exec, s[2:3]
	s_cbranch_execz .LBB2866_82
; %bb.81:
	v_mov_b32_e32 v14, 0
	ds_write_b16 v14, v48
.LBB2866_82:
	s_or_b64 exec, exec, s[30:31]
	v_mov_b32_e32 v14, 0
	s_waitcnt lgkmcnt(0)
	; wave barrier
	s_waitcnt lgkmcnt(0)
	ds_read_u16 v14, v14
	v_max_i16_e32 v15, v34, v10
	v_cndmask_b32_e64 v15, v15, v10, s[2:3]
	s_waitcnt lgkmcnt(0)
	v_max_i16_e32 v14, v14, v15
	v_max_i16_sdwa v15, v14, v10 dst_sel:DWORD dst_unused:UNUSED_PAD src0_sel:DWORD src1_sel:WORD_1
	v_max_i16_e32 v16, v15, v11
	v_max_i16_e32 v17, v16, v32
	;; [unrolled: 1-line block ×22, first 2 shown]
	s_branch .LBB2866_93
.LBB2866_83:
                                        ; implicit-def: $vgpr14
                                        ; implicit-def: $vgpr15
                                        ; implicit-def: $vgpr16
                                        ; implicit-def: $vgpr17
                                        ; implicit-def: $vgpr18
                                        ; implicit-def: $vgpr19
                                        ; implicit-def: $vgpr35
                                        ; implicit-def: $vgpr37
                                        ; implicit-def: $vgpr34
                                        ; implicit-def: $vgpr36
                                        ; implicit-def: $vgpr38
                                        ; implicit-def: $vgpr39
                                        ; implicit-def: $vgpr40
                                        ; implicit-def: $vgpr41
                                        ; implicit-def: $vgpr43
                                        ; implicit-def: $vgpr45
                                        ; implicit-def: $vgpr42
                                        ; implicit-def: $vgpr44
                                        ; implicit-def: $vgpr46
                                        ; implicit-def: $vgpr47
                                        ; implicit-def: $vgpr48
                                        ; implicit-def: $vgpr49
                                        ; implicit-def: $vgpr50
                                        ; implicit-def: $vgpr51
	s_cbranch_execz .LBB2866_93
; %bb.84:
	s_cmp_lg_u64 s[20:21], 0
	s_cselect_b64 s[4:5], -1, 0
	s_and_b64 s[4:5], s[2:3], s[4:5]
	v_mov_b32_e32 v14, v10
	s_and_saveexec_b64 s[2:3], s[4:5]
	s_cbranch_execz .LBB2866_86
; %bb.85:
	v_mov_b32_e32 v14, 0
	global_load_ushort v14, v14, s[16:17]
	s_waitcnt vmcnt(0)
	v_max_i16_e32 v14, v14, v10
.LBB2866_86:
	s_or_b64 exec, exec, s[2:3]
	v_max_i16_sdwa v15, v14, v10 dst_sel:DWORD dst_unused:UNUSED_PAD src0_sel:DWORD src1_sel:WORD_1
	v_max_i16_e32 v16, v15, v11
	v_max_i16_e32 v17, v16, v32
	;; [unrolled: 1-line block ×22, first 2 shown]
	v_mbcnt_hi_u32_b32 v33, -1, v33
	v_and_b32_e32 v52, 15, v33
	v_mov_b32_dpp v53, v51 row_shr:1 row_mask:0xf bank_mask:0xf
	v_max_i16_e32 v53, v53, v51
	v_cmp_eq_u32_e32 vcc, 0, v52
	v_cndmask_b32_e32 v53, v53, v51, vcc
	v_and_b32_e32 v54, 0xffff, v53
	v_cmp_lt_u32_e32 vcc, 1, v52
	s_nop 0
	v_mov_b32_dpp v54, v54 row_shr:2 row_mask:0xf bank_mask:0xf
	v_max_i16_e32 v54, v54, v53
	v_cndmask_b32_e32 v53, v53, v54, vcc
	v_and_b32_e32 v54, 0xffff, v53
	v_cmp_lt_u32_e32 vcc, 3, v52
	s_nop 0
	v_mov_b32_dpp v54, v54 row_shr:4 row_mask:0xf bank_mask:0xf
	v_max_i16_e32 v54, v54, v53
	;; [unrolled: 6-line block ×3, first 2 shown]
	v_cndmask_b32_e32 v52, v53, v54, vcc
	v_and_b32_e32 v53, 0xffff, v52
	v_and_b32_e32 v54, 16, v33
	v_cmp_eq_u32_e32 vcc, 0, v54
	v_mov_b32_dpp v53, v53 row_bcast:15 row_mask:0xf bank_mask:0xf
	v_max_i16_e32 v53, v53, v52
	v_cndmask_b32_e32 v52, v53, v52, vcc
	v_and_b32_e32 v53, 0xffff, v52
	v_cmp_lt_u32_e32 vcc, 31, v33
	s_nop 0
	v_mov_b32_dpp v53, v53 row_bcast:31 row_mask:0xf bank_mask:0xf
	v_max_i16_e32 v53, v53, v52
	v_cndmask_b32_e32 v52, v52, v53, vcc
	v_cmp_eq_u32_e32 vcc, 63, v0
	s_and_saveexec_b64 s[2:3], vcc
	s_cbranch_execz .LBB2866_88
; %bb.87:
	v_mov_b32_e32 v53, 0
	ds_write_b16 v53, v52
.LBB2866_88:
	s_or_b64 exec, exec, s[2:3]
	v_add_u32_e32 v53, -1, v33
	v_and_b32_e32 v54, 64, v33
	v_cmp_lt_i32_e64 s[2:3], v53, v54
	v_cndmask_b32_e64 v33, v53, v33, s[2:3]
	v_and_b32_e32 v52, 0xffff, v52
	v_lshlrev_b32_e32 v33, 2, v33
	ds_bpermute_b32 v33, v33, v52
	s_waitcnt lgkmcnt(0)
	; wave barrier
	s_waitcnt lgkmcnt(0)
	s_and_saveexec_b64 s[2:3], s[0:1]
	s_cbranch_execz .LBB2866_90
; %bb.89:
	v_max_i16_e32 v14, v33, v14
	v_max_i16_sdwa v15, v14, v10 dst_sel:DWORD dst_unused:UNUSED_PAD src0_sel:DWORD src1_sel:WORD_1
	v_max_i16_e32 v16, v15, v11
	v_max_i16_e32 v17, v16, v32
	;; [unrolled: 1-line block ×22, first 2 shown]
	;;#ASMSTART
	;;#ASMEND
.LBB2866_90:
	s_or_b64 exec, exec, s[2:3]
	s_and_saveexec_b64 s[0:1], vcc
	s_cbranch_execz .LBB2866_92
; %bb.91:
	s_mov_b32 s2, 0x20000
	v_mov_b32_e32 v1, 0
	v_or_b32_sdwa v2, v51, s2 dst_sel:DWORD dst_unused:UNUSED_PAD src0_sel:WORD_0 src1_sel:DWORD
	global_store_dword v1, v2, s[34:35] offset:256
.LBB2866_92:
	s_or_b64 exec, exec, s[0:1]
.LBB2866_93:
	s_add_u32 s0, s28, s14
	s_addc_u32 s1, s29, s15
	s_add_u32 s2, s0, s26
	s_addc_u32 s3, s1, s27
	s_mov_b64 s[0:1], -1
	s_and_b64 vcc, exec, s[24:25]
	s_waitcnt lgkmcnt(0)
	; wave barrier
	s_cbranch_vccz .LBB2866_95
; %bb.94:
	s_mov_b32 s0, 0x5040100
	v_perm_b32 v5, v37, v35, s0
	v_perm_b32 v4, v19, v18, s0
	;; [unrolled: 1-line block ×4, first 2 shown]
	ds_write_b128 v22, v[2:5]
	v_perm_b32 v5, v45, v43, s0
	v_perm_b32 v4, v41, v40, s0
	;; [unrolled: 1-line block ×4, first 2 shown]
	ds_write_b128 v22, v[2:5] offset:16
	v_perm_b32 v5, v51, v50, s0
	v_perm_b32 v4, v49, v48, s0
	;; [unrolled: 1-line block ×4, first 2 shown]
	ds_write_b128 v22, v[2:5] offset:32
	s_waitcnt lgkmcnt(0)
	; wave barrier
	s_waitcnt lgkmcnt(0)
	ds_read_u16 v1, v20
	ds_read_u16 v4, v20 offset:128
	ds_read_u16 v5, v20 offset:256
	;; [unrolled: 1-line block ×23, first 2 shown]
	v_mov_b32_e32 v3, s3
	v_add_co_u32_e32 v2, vcc, s2, v20
	v_addc_co_u32_e32 v3, vcc, 0, v3, vcc
	s_waitcnt lgkmcnt(14)
	flat_store_short v[2:3], v1
	flat_store_short v[2:3], v4 offset:128
	flat_store_short v[2:3], v5 offset:256
	;; [unrolled: 1-line block ×9, first 2 shown]
	s_waitcnt lgkmcnt(0)
	flat_store_short v[2:3], v13 offset:1280
	flat_store_short v[2:3], v23 offset:1408
	;; [unrolled: 1-line block ×14, first 2 shown]
	s_mov_b64 s[0:1], 0
.LBB2866_95:
	s_andn2_b64 vcc, exec, s[0:1]
	s_cbranch_vccnz .LBB2866_152
; %bb.96:
	s_mov_b32 s0, 0x5040100
	v_perm_b32 v5, v37, v35, s0
	v_perm_b32 v4, v19, v18, s0
	;; [unrolled: 1-line block ×4, first 2 shown]
	ds_write_b128 v22, v[2:5]
	v_perm_b32 v5, v45, v43, s0
	v_perm_b32 v4, v41, v40, s0
	;; [unrolled: 1-line block ×4, first 2 shown]
	ds_write_b128 v22, v[2:5] offset:16
	v_perm_b32 v5, v51, v50, s0
	v_perm_b32 v4, v49, v48, s0
	v_perm_b32 v3, v47, v46, s0
	v_perm_b32 v2, v44, v42, s0
	s_movk_i32 s0, 0xffd2
	ds_write_b128 v22, v[2:5] offset:32
	v_mad_i32_i24 v2, v0, s0, v22
	s_waitcnt lgkmcnt(0)
	; wave barrier
	s_waitcnt lgkmcnt(0)
	ds_read_u16 v5, v2
	ds_read_u16 v4, v2 offset:128
	ds_read_u16 v7, v2 offset:256
	;; [unrolled: 1-line block ×23, first 2 shown]
	v_mov_b32_e32 v3, s3
	v_add_co_u32_e32 v2, vcc, s2, v20
	v_addc_co_u32_e32 v3, vcc, 0, v3, vcc
	v_mov_b32_e32 v1, 0
	v_cmp_gt_u32_e32 vcc, s33, v0
	s_and_saveexec_b64 s[0:1], vcc
	s_cbranch_execz .LBB2866_98
; %bb.97:
	s_waitcnt lgkmcnt(0)
	flat_store_short v[2:3], v5
.LBB2866_98:
	s_or_b64 exec, exec, s[0:1]
	v_or_b32_e32 v20, 64, v0
	v_cmp_gt_u32_e32 vcc, s33, v20
	s_and_saveexec_b64 s[0:1], vcc
	s_cbranch_execz .LBB2866_100
; %bb.99:
	s_waitcnt lgkmcnt(0)
	flat_store_short v[2:3], v4 offset:128
.LBB2866_100:
	s_or_b64 exec, exec, s[0:1]
	v_or_b32_e32 v20, 0x80, v0
	v_cmp_gt_u32_e32 vcc, s33, v20
	s_and_saveexec_b64 s[0:1], vcc
	s_cbranch_execz .LBB2866_102
; %bb.101:
	s_waitcnt lgkmcnt(0)
	flat_store_short v[2:3], v7 offset:256
.LBB2866_102:
	;; [unrolled: 9-line block ×23, first 2 shown]
	s_or_b64 exec, exec, s[0:1]
	v_cmp_lt_u64_e64 s[0:1], s[22:23], 2
	s_and_b64 vcc, exec, s[0:1]
	s_cbranch_vccnz .LBB2866_152
; %bb.145:
	s_add_u32 s0, s33, -1
	s_addc_u32 s1, s36, -1
	s_add_u32 s2, 0, 0xaaaa0000
	s_addc_u32 s3, 0, 42
	s_add_i32 s3, s3, 0xaaaaa80
	s_mul_hi_u32 s7, s2, 0xffffffe8
	s_sub_i32 s7, s7, s2
	s_mul_i32 s8, s3, 0xffffffe8
	s_mul_i32 s4, s2, 0xffffffe8
	s_add_i32 s7, s7, s8
	s_mul_hi_u32 s5, s3, s4
	s_mul_i32 s6, s3, s4
	s_mul_i32 s9, s2, s7
	s_mul_hi_u32 s4, s2, s4
	s_mul_hi_u32 s8, s2, s7
	s_add_u32 s4, s4, s9
	s_addc_u32 s8, 0, s8
	s_add_u32 s4, s4, s6
	s_mul_hi_u32 s9, s3, s7
	s_addc_u32 s4, s8, s5
	s_addc_u32 s5, s9, 0
	s_mul_i32 s6, s3, s7
	s_add_u32 s4, s4, s6
	v_mov_b32_e32 v2, s4
	s_addc_u32 s5, 0, s5
	v_add_co_u32_e32 v2, vcc, s2, v2
	s_cmp_lg_u64 vcc, 0
	s_addc_u32 s2, s3, s5
	v_readfirstlane_b32 s5, v2
	s_mul_i32 s4, s0, s2
	s_mul_hi_u32 s6, s0, s5
	s_mul_hi_u32 s3, s0, s2
	s_add_u32 s4, s6, s4
	s_addc_u32 s3, 0, s3
	s_mul_hi_u32 s7, s1, s5
	s_mul_i32 s5, s1, s5
	s_add_u32 s4, s4, s5
	s_mul_hi_u32 s6, s1, s2
	s_addc_u32 s3, s3, s7
	s_addc_u32 s4, s6, 0
	s_mul_i32 s2, s1, s2
	s_add_u32 s2, s3, s2
	s_addc_u32 s3, 0, s4
	s_add_u32 s4, s2, 1
	s_addc_u32 s5, s3, 0
	s_add_u32 s6, s2, 2
	s_mul_i32 s8, s3, 24
	s_mul_hi_u32 s9, s2, 24
	s_addc_u32 s7, s3, 0
	s_add_i32 s9, s9, s8
	s_mul_i32 s8, s2, 24
	v_mov_b32_e32 v2, s8
	v_sub_co_u32_e32 v2, vcc, s0, v2
	s_cmp_lg_u64 vcc, 0
	s_subb_u32 s8, s1, s9
	v_subrev_co_u32_e32 v3, vcc, 24, v2
	s_cmp_lg_u64 vcc, 0
	s_subb_u32 s9, s8, 0
	v_readfirstlane_b32 s10, v3
	s_cmp_gt_u32 s10, 23
	s_cselect_b32 s10, -1, 0
	s_cmp_eq_u32 s9, 0
	s_cselect_b32 s9, s10, -1
	s_cmp_lg_u32 s9, 0
	s_cselect_b32 s4, s6, s4
	v_readfirstlane_b32 s6, v2
	s_cselect_b32 s5, s7, s5
	s_cmp_gt_u32 s6, 23
	s_cselect_b32 s6, -1, 0
	s_cmp_eq_u32 s8, 0
	s_cselect_b32 s6, s6, -1
	s_cmp_lg_u32 s6, 0
	s_cselect_b32 s3, s5, s3
	s_cselect_b32 s2, s4, s2
	v_cmp_eq_u64_e32 vcc, s[2:3], v[0:1]
	s_and_saveexec_b64 s[2:3], vcc
	s_cbranch_execz .LBB2866_152
; %bb.146:
	v_mul_hi_u32_u24_e32 v1, 24, v0
	v_mov_b32_e32 v2, s1
	v_sub_co_u32_e32 v0, vcc, s0, v21
	v_subb_co_u32_e32 v1, vcc, v2, v1, vcc
	v_cmp_lt_i64_e32 vcc, 11, v[0:1]
	s_mov_b64 s[0:1], 0
	s_mov_b64 s[8:9], 0
	;; [unrolled: 1-line block ×4, first 2 shown]
	s_and_saveexec_b64 s[2:3], vcc
	s_xor_b64 s[2:3], exec, s[2:3]
	s_cbranch_execnz .LBB2866_153
; %bb.147:
	s_andn2_saveexec_b64 s[2:3], s[2:3]
	s_cbranch_execnz .LBB2866_198
.LBB2866_148:
	s_or_b64 exec, exec, s[2:3]
	s_and_saveexec_b64 s[2:3], s[8:9]
	s_cbranch_execnz .LBB2866_215
.LBB2866_149:
	s_or_b64 exec, exec, s[2:3]
	s_and_saveexec_b64 s[2:3], s[6:7]
	s_cbranch_execnz .LBB2866_216
.LBB2866_150:
	s_or_b64 exec, exec, s[2:3]
	s_and_saveexec_b64 s[2:3], s[4:5]
	s_xor_b64 s[2:3], exec, s[2:3]
	s_cbranch_execnz .LBB2866_217
.LBB2866_151:
	s_or_b64 exec, exec, s[2:3]
	s_and_b64 exec, exec, s[0:1]
	s_cbranch_execnz .LBB2866_218
.LBB2866_152:
	s_endpgm
.LBB2866_153:
	v_cmp_lt_i64_e32 vcc, 17, v[0:1]
	s_and_saveexec_b64 s[10:11], vcc
	s_xor_b64 s[10:11], exec, s[10:11]
	s_cbranch_execz .LBB2866_175
; %bb.154:
	v_cmp_lt_i64_e32 vcc, 20, v[0:1]
                                        ; implicit-def: $vgpr10
	s_and_saveexec_b64 s[12:13], vcc
	s_xor_b64 s[12:13], exec, s[12:13]
	s_cbranch_execz .LBB2866_164
; %bb.155:
	v_cmp_lt_i64_e32 vcc, 21, v[0:1]
	s_mov_b64 s[14:15], 0
                                        ; implicit-def: $vgpr10
	s_and_saveexec_b64 s[4:5], vcc
	s_xor_b64 s[4:5], exec, s[4:5]
	s_cbranch_execz .LBB2866_161
; %bb.156:
	v_cmp_lt_i64_e32 vcc, 22, v[0:1]
	s_and_saveexec_b64 s[14:15], vcc
	s_xor_b64 s[14:15], exec, s[14:15]
	s_cbranch_execz .LBB2866_158
; %bb.157:
	v_mov_b32_e32 v2, 0
	s_waitcnt lgkmcnt(0)
	global_store_short v2, v29, s[18:19]
                                        ; implicit-def: $vgpr28
.LBB2866_158:
	s_or_saveexec_b64 s[14:15], s[14:15]
	s_mov_b64 s[16:17], 0
	s_xor_b64 exec, exec, s[14:15]
; %bb.159:
	s_mov_b64 s[16:17], exec
; %bb.160:
	s_or_b64 exec, exec, s[14:15]
	s_and_b64 s[14:15], s[16:17], exec
	s_waitcnt lgkmcnt(0)
	v_mov_b32_e32 v10, v28
                                        ; implicit-def: $vgpr11
.LBB2866_161:
	s_andn2_saveexec_b64 s[4:5], s[4:5]
; %bb.162:
	s_mov_b64 s[6:7], exec
                                        ; implicit-def: $vgpr10
; %bb.163:
	s_or_b64 exec, exec, s[4:5]
	s_and_b64 s[4:5], s[14:15], exec
	s_and_b64 s[6:7], s[6:7], exec
                                        ; implicit-def: $vgpr26
                                        ; implicit-def: $vgpr12
                                        ; implicit-def: $vgpr23
.LBB2866_164:
	s_andn2_saveexec_b64 s[12:13], s[12:13]
	s_cbranch_execz .LBB2866_174
; %bb.165:
	v_cmp_lt_i64_e32 vcc, 18, v[0:1]
	s_mov_b64 s[14:15], 0
	s_and_saveexec_b64 s[8:9], vcc
	s_xor_b64 s[8:9], exec, s[8:9]
	s_cbranch_execz .LBB2866_171
; %bb.166:
	v_cmp_lt_i64_e32 vcc, 19, v[0:1]
	s_and_saveexec_b64 s[16:17], vcc
	s_xor_b64 s[16:17], exec, s[16:17]
; %bb.167:
	s_mov_b64 s[14:15], exec
                                        ; implicit-def: $vgpr23
; %bb.168:
	s_andn2_saveexec_b64 s[16:17], s[16:17]
	s_cbranch_execz .LBB2866_170
; %bb.169:
	v_mov_b32_e32 v2, 0
	s_waitcnt lgkmcnt(0)
	global_store_short v2, v23, s[18:19]
                                        ; implicit-def: $vgpr12
.LBB2866_170:
	s_or_b64 exec, exec, s[16:17]
	s_and_b64 s[14:15], s[14:15], exec
                                        ; implicit-def: $vgpr26
.LBB2866_171:
	s_andn2_saveexec_b64 s[8:9], s[8:9]
	s_cbranch_execz .LBB2866_173
; %bb.172:
	v_mov_b32_e32 v2, 0
	s_waitcnt lgkmcnt(0)
	global_store_short v2, v26, s[18:19]
                                        ; implicit-def: $vgpr12
.LBB2866_173:
	s_or_b64 exec, exec, s[8:9]
	s_and_b64 s[8:9], s[14:15], exec
                                        ; implicit-def: $vgpr10
                                        ; implicit-def: $vgpr11
.LBB2866_174:
	s_or_b64 exec, exec, s[12:13]
	s_and_b64 s[4:5], s[4:5], exec
	s_and_b64 s[6:7], s[6:7], exec
	;; [unrolled: 1-line block ×3, first 2 shown]
                                        ; implicit-def: $vgpr18
                                        ; implicit-def: $vgpr13
                                        ; implicit-def: $vgpr14
                                        ; implicit-def: $vgpr24
                                        ; implicit-def: $vgpr27
.LBB2866_175:
	s_andn2_saveexec_b64 s[10:11], s[10:11]
	s_cbranch_execz .LBB2866_197
; %bb.176:
	v_cmp_lt_i64_e32 vcc, 14, v[0:1]
	s_mov_b64 s[12:13], s[4:5]
	s_and_saveexec_b64 s[14:15], vcc
	s_xor_b64 s[14:15], exec, s[14:15]
	s_cbranch_execz .LBB2866_186
; %bb.177:
	v_cmp_lt_i64_e32 vcc, 15, v[0:1]
	s_and_saveexec_b64 s[12:13], vcc
	s_xor_b64 s[12:13], exec, s[12:13]
	s_cbranch_execz .LBB2866_183
; %bb.178:
	v_cmp_lt_i64_e32 vcc, 16, v[0:1]
	s_and_saveexec_b64 s[16:17], vcc
	s_xor_b64 s[16:17], exec, s[16:17]
	s_cbranch_execz .LBB2866_180
; %bb.179:
	v_mov_b32_e32 v2, 0
	s_waitcnt lgkmcnt(0)
	global_store_short v2, v27, s[18:19]
                                        ; implicit-def: $vgpr24
.LBB2866_180:
	s_andn2_saveexec_b64 s[16:17], s[16:17]
	s_cbranch_execz .LBB2866_182
; %bb.181:
	v_mov_b32_e32 v2, 0
	s_waitcnt lgkmcnt(0)
	global_store_short v2, v24, s[18:19]
.LBB2866_182:
	s_or_b64 exec, exec, s[16:17]
                                        ; implicit-def: $vgpr10
.LBB2866_183:
	s_or_saveexec_b64 s[12:13], s[12:13]
	s_mov_b64 s[16:17], s[4:5]
	s_xor_b64 exec, exec, s[12:13]
; %bb.184:
	s_or_b64 s[16:17], s[4:5], exec
; %bb.185:
	s_or_b64 exec, exec, s[12:13]
	s_andn2_b64 s[12:13], s[4:5], exec
	s_and_b64 s[16:17], s[16:17], exec
	s_or_b64 s[12:13], s[12:13], s[16:17]
                                        ; implicit-def: $vgpr18
                                        ; implicit-def: $vgpr13
                                        ; implicit-def: $vgpr14
.LBB2866_186:
	s_or_saveexec_b64 s[14:15], s[14:15]
	s_mov_b64 s[16:17], s[6:7]
                                        ; implicit-def: $vgpr11
	s_xor_b64 exec, exec, s[14:15]
	s_cbranch_execz .LBB2866_196
; %bb.187:
	v_cmp_lt_i64_e32 vcc, 12, v[0:1]
	s_mov_b64 s[20:21], s[6:7]
	s_mov_b64 s[22:23], s[12:13]
                                        ; implicit-def: $vgpr10
                                        ; implicit-def: $vgpr11
	s_and_saveexec_b64 s[16:17], vcc
	s_xor_b64 s[16:17], exec, s[16:17]
	s_cbranch_execz .LBB2866_193
; %bb.188:
	v_cmp_lt_i64_e32 vcc, 13, v[0:1]
	s_mov_b64 s[20:21], s[12:13]
	s_and_saveexec_b64 s[22:23], vcc
	s_xor_b64 s[22:23], exec, s[22:23]
; %bb.189:
	s_or_b64 s[20:21], s[12:13], exec
                                        ; implicit-def: $vgpr13
; %bb.190:
	s_or_saveexec_b64 s[22:23], s[22:23]
	s_mov_b64 s[24:25], s[6:7]
	s_xor_b64 exec, exec, s[22:23]
; %bb.191:
	s_or_b64 s[24:25], s[6:7], exec
                                        ; implicit-def: $vgpr14
; %bb.192:
	s_or_b64 exec, exec, s[22:23]
	s_andn2_b64 s[22:23], s[12:13], exec
	s_and_b64 s[20:21], s[20:21], exec
	s_or_b64 s[22:23], s[22:23], s[20:21]
	s_andn2_b64 s[20:21], s[6:7], exec
	s_and_b64 s[24:25], s[24:25], exec
	s_or_b64 s[20:21], s[20:21], s[24:25]
	s_waitcnt lgkmcnt(0)
	v_mov_b32_e32 v10, v14
	v_mov_b32_e32 v11, v13
                                        ; implicit-def: $vgpr18
.LBB2866_193:
	s_andn2_saveexec_b64 s[16:17], s[16:17]
	s_cbranch_execz .LBB2866_195
; %bb.194:
	s_or_b64 s[20:21], s[20:21], exec
                                        ; implicit-def: $vgpr10
	s_waitcnt lgkmcnt(0)
	v_mov_b32_e32 v11, v18
.LBB2866_195:
	s_or_b64 exec, exec, s[16:17]
	s_andn2_b64 s[12:13], s[12:13], exec
	s_and_b64 s[16:17], s[22:23], exec
	s_or_b64 s[12:13], s[12:13], s[16:17]
	s_andn2_b64 s[16:17], s[6:7], exec
	s_and_b64 s[20:21], s[20:21], exec
	s_or_b64 s[16:17], s[16:17], s[20:21]
.LBB2866_196:
	s_or_b64 exec, exec, s[14:15]
	s_andn2_b64 s[4:5], s[4:5], exec
	s_and_b64 s[12:13], s[12:13], exec
	s_or_b64 s[4:5], s[4:5], s[12:13]
	s_andn2_b64 s[6:7], s[6:7], exec
	s_and_b64 s[12:13], s[16:17], exec
	s_or_b64 s[6:7], s[6:7], s[12:13]
                                        ; implicit-def: $vgpr12
.LBB2866_197:
	s_or_b64 exec, exec, s[10:11]
	s_and_b64 s[4:5], s[4:5], exec
	s_and_b64 s[6:7], s[6:7], exec
	s_and_b64 s[8:9], s[8:9], exec
                                        ; implicit-def: $vgpr17
                                        ; implicit-def: $vgpr15
                                        ; implicit-def: $vgpr16
                                        ; implicit-def: $vgpr25
                                        ; implicit-def: $vgpr22
                                        ; implicit-def: $vgpr19
	s_andn2_saveexec_b64 s[2:3], s[2:3]
	s_cbranch_execz .LBB2866_148
.LBB2866_198:
	v_cmp_lt_i64_e32 vcc, 5, v[0:1]
	s_mov_b64 s[12:13], -1
	s_mov_b64 s[10:11], s[8:9]
	s_mov_b64 s[14:15], s[6:7]
	s_mov_b64 s[16:17], s[4:5]
                                        ; implicit-def: $vgpr10
                                        ; implicit-def: $vgpr11
                                        ; implicit-def: $vgpr12
	s_and_saveexec_b64 s[0:1], vcc
	s_cbranch_execz .LBB2866_214
; %bb.199:
	v_cmp_lt_i64_e32 vcc, 8, v[0:1]
	s_mov_b64 s[10:11], s[8:9]
                                        ; implicit-def: $vgpr12
	s_and_saveexec_b64 s[12:13], vcc
	s_xor_b64 s[12:13], exec, s[12:13]
	s_cbranch_execz .LBB2866_209
; %bb.200:
	v_cmp_lt_i64_e32 vcc, 9, v[0:1]
	s_and_saveexec_b64 s[10:11], vcc
	s_xor_b64 s[10:11], exec, s[10:11]
	s_cbranch_execz .LBB2866_206
; %bb.201:
	v_cmp_lt_i64_e32 vcc, 10, v[0:1]
	s_and_saveexec_b64 s[14:15], vcc
	s_xor_b64 s[14:15], exec, s[14:15]
; %bb.202:
                                        ; implicit-def: $vgpr22
; %bb.203:
	s_andn2_saveexec_b64 s[14:15], s[14:15]
	s_cbranch_execz .LBB2866_205
; %bb.204:
	s_waitcnt lgkmcnt(0)
	v_mov_b32_e32 v19, v22
.LBB2866_205:
	s_or_b64 exec, exec, s[14:15]
                                        ; implicit-def: $vgpr25
.LBB2866_206:
	s_andn2_saveexec_b64 s[10:11], s[10:11]
	s_cbranch_execz .LBB2866_208
; %bb.207:
	s_waitcnt lgkmcnt(0)
	v_mov_b32_e32 v19, v25
.LBB2866_208:
	s_or_b64 exec, exec, s[10:11]
	s_or_b64 s[10:11], s[8:9], exec
	s_waitcnt lgkmcnt(0)
	v_mov_b32_e32 v12, v19
                                        ; implicit-def: $vgpr17
                                        ; implicit-def: $vgpr15
                                        ; implicit-def: $vgpr16
.LBB2866_209:
	s_or_saveexec_b64 s[12:13], s[12:13]
	s_mov_b64 s[14:15], s[6:7]
	s_mov_b64 s[20:21], s[4:5]
                                        ; implicit-def: $vgpr10
                                        ; implicit-def: $vgpr11
	s_xor_b64 exec, exec, s[12:13]
	s_cbranch_execz .LBB2866_213
; %bb.210:
	v_cmp_lt_i64_e32 vcc, 6, v[0:1]
	s_mov_b64 s[20:21], -1
	s_mov_b64 s[16:17], s[10:11]
	s_mov_b64 s[14:15], s[6:7]
	s_and_saveexec_b64 s[22:23], vcc
; %bb.211:
	v_cmp_lt_i64_e32 vcc, 7, v[0:1]
	s_andn2_b64 s[16:17], s[10:11], exec
	s_and_b64 s[24:25], vcc, exec
	s_xor_b64 s[20:21], exec, -1
	s_or_b64 s[14:15], s[6:7], exec
	s_or_b64 s[16:17], s[16:17], s[24:25]
                                        ; implicit-def: $vgpr17
; %bb.212:
	s_or_b64 exec, exec, s[22:23]
	s_andn2_b64 s[22:23], s[4:5], exec
	s_and_b64 s[20:21], s[20:21], exec
	s_or_b64 s[20:21], s[22:23], s[20:21]
	s_andn2_b64 s[22:23], s[6:7], exec
	s_and_b64 s[14:15], s[14:15], exec
	s_andn2_b64 s[10:11], s[10:11], exec
	s_and_b64 s[16:17], s[16:17], exec
	s_or_b64 s[14:15], s[22:23], s[14:15]
	s_or_b64 s[10:11], s[10:11], s[16:17]
	s_waitcnt lgkmcnt(0)
	v_mov_b32_e32 v10, v17
	v_mov_b32_e32 v11, v15
	;; [unrolled: 1-line block ×3, first 2 shown]
.LBB2866_213:
	s_or_b64 exec, exec, s[12:13]
	s_andn2_b64 s[16:17], s[4:5], exec
	s_and_b64 s[20:21], s[20:21], exec
	s_or_b64 s[16:17], s[16:17], s[20:21]
	s_andn2_b64 s[20:21], s[6:7], exec
	s_and_b64 s[14:15], s[14:15], exec
	s_or_b64 s[14:15], s[20:21], s[14:15]
	s_andn2_b64 s[20:21], s[8:9], exec
	s_and_b64 s[10:11], s[10:11], exec
	s_xor_b64 s[12:13], exec, -1
	s_or_b64 s[10:11], s[20:21], s[10:11]
.LBB2866_214:
	s_or_b64 exec, exec, s[0:1]
	s_and_b64 s[0:1], s[12:13], exec
	s_andn2_b64 s[4:5], s[4:5], exec
	s_and_b64 s[12:13], s[16:17], exec
	s_or_b64 s[4:5], s[4:5], s[12:13]
	s_andn2_b64 s[6:7], s[6:7], exec
	s_and_b64 s[12:13], s[14:15], exec
	s_andn2_b64 s[8:9], s[8:9], exec
	s_and_b64 s[10:11], s[10:11], exec
	s_or_b64 s[6:7], s[6:7], s[12:13]
	s_or_b64 s[8:9], s[8:9], s[10:11]
	s_or_b64 exec, exec, s[2:3]
	s_and_saveexec_b64 s[2:3], s[8:9]
	s_cbranch_execz .LBB2866_149
.LBB2866_215:
	v_mov_b32_e32 v2, 0
	s_andn2_b64 s[6:7], s[6:7], exec
	s_waitcnt lgkmcnt(0)
	global_store_short v2, v12, s[18:19]
                                        ; implicit-def: $vgpr10
                                        ; implicit-def: $vgpr11
	s_or_b64 exec, exec, s[2:3]
	s_and_saveexec_b64 s[2:3], s[6:7]
	s_cbranch_execz .LBB2866_150
.LBB2866_216:
	v_mov_b32_e32 v2, 0
	s_waitcnt lgkmcnt(0)
	global_store_short v2, v11, s[18:19]
                                        ; implicit-def: $vgpr10
	s_or_b64 exec, exec, s[2:3]
	s_and_saveexec_b64 s[2:3], s[4:5]
	s_xor_b64 s[2:3], exec, s[2:3]
	s_cbranch_execz .LBB2866_151
.LBB2866_217:
	v_mov_b32_e32 v2, 0
	s_waitcnt lgkmcnt(0)
	global_store_short v2, v10, s[18:19]
	s_or_b64 exec, exec, s[2:3]
	s_and_b64 exec, exec, s[0:1]
	s_cbranch_execz .LBB2866_152
.LBB2866_218:
	v_cmp_lt_i64_e32 vcc, 2, v[0:1]
	s_and_saveexec_b64 s[0:1], vcc
	s_xor_b64 s[0:1], exec, s[0:1]
	s_cbranch_execz .LBB2866_228
; %bb.219:
	v_cmp_lt_i64_e32 vcc, 3, v[0:1]
	s_and_saveexec_b64 s[2:3], vcc
	s_xor_b64 s[2:3], exec, s[2:3]
	s_cbranch_execz .LBB2866_225
; %bb.220:
	;; [unrolled: 5-line block ×3, first 2 shown]
	v_mov_b32_e32 v0, 0
	s_waitcnt lgkmcnt(0)
	global_store_short v0, v9, s[18:19]
                                        ; implicit-def: $vgpr6
.LBB2866_222:
	s_andn2_saveexec_b64 s[4:5], s[4:5]
	s_cbranch_execz .LBB2866_224
; %bb.223:
	v_mov_b32_e32 v0, 0
	s_waitcnt lgkmcnt(0)
	global_store_short v0, v6, s[18:19]
.LBB2866_224:
	s_or_b64 exec, exec, s[4:5]
                                        ; implicit-def: $vgpr8
.LBB2866_225:
	s_andn2_saveexec_b64 s[2:3], s[2:3]
	s_cbranch_execz .LBB2866_227
; %bb.226:
	v_mov_b32_e32 v0, 0
	s_waitcnt lgkmcnt(0)
	global_store_short v0, v8, s[18:19]
.LBB2866_227:
	s_or_b64 exec, exec, s[2:3]
                                        ; implicit-def: $vgpr0_vgpr1
                                        ; implicit-def: $vgpr7
                                        ; implicit-def: $vgpr4
                                        ; implicit-def: $vgpr5
.LBB2866_228:
	s_andn2_saveexec_b64 s[0:1], s[0:1]
	s_cbranch_execz .LBB2866_152
; %bb.229:
	v_cmp_lt_i64_e32 vcc, 1, v[0:1]
	s_and_saveexec_b64 s[0:1], vcc
	s_xor_b64 s[0:1], exec, s[0:1]
	s_cbranch_execz .LBB2866_231
; %bb.230:
	v_mov_b32_e32 v0, 0
	s_waitcnt lgkmcnt(0)
	global_store_short v0, v7, s[18:19]
                                        ; implicit-def: $vgpr4
                                        ; implicit-def: $vgpr0_vgpr1
                                        ; implicit-def: $vgpr5
.LBB2866_231:
	s_andn2_saveexec_b64 s[0:1], s[0:1]
	s_cbranch_execz .LBB2866_152
; %bb.232:
	v_cmp_ne_u64_e32 vcc, 1, v[0:1]
	s_and_saveexec_b64 s[0:1], vcc
	s_xor_b64 s[0:1], exec, s[0:1]
	s_cbranch_execz .LBB2866_234
; %bb.233:
	v_mov_b32_e32 v0, 0
	s_waitcnt lgkmcnt(0)
	global_store_short v0, v5, s[18:19]
                                        ; implicit-def: $vgpr4
.LBB2866_234:
	s_andn2_saveexec_b64 s[0:1], s[0:1]
	s_cbranch_execz .LBB2866_152
; %bb.235:
	v_mov_b32_e32 v0, 0
	s_waitcnt lgkmcnt(0)
	global_store_short v0, v4, s[18:19]
	s_endpgm
	.section	.rodata,"a",@progbits
	.p2align	6, 0x0
	.amdhsa_kernel _ZN7rocprim17ROCPRIM_400000_NS6detail17trampoline_kernelINS0_14default_configENS1_20scan_config_selectorIsEEZZNS1_9scan_implILNS1_25lookback_scan_determinismE0ELb0ELb0ES3_N6thrust23THRUST_200600_302600_NS6detail15normal_iteratorINS9_10device_ptrIsEEEESE_s11max_functorIsEsEEDaPvRmT3_T4_T5_mT6_P12ihipStream_tbENKUlT_T0_E_clISt17integral_constantIbLb1EESU_EEDaSP_SQ_EUlSP_E_NS1_11comp_targetILNS1_3genE4ELNS1_11target_archE910ELNS1_3gpuE8ELNS1_3repE0EEENS1_30default_config_static_selectorELNS0_4arch9wavefront6targetE1EEEvT1_
		.amdhsa_group_segment_fixed_size 3072
		.amdhsa_private_segment_fixed_size 0
		.amdhsa_kernarg_size 96
		.amdhsa_user_sgpr_count 6
		.amdhsa_user_sgpr_private_segment_buffer 1
		.amdhsa_user_sgpr_dispatch_ptr 0
		.amdhsa_user_sgpr_queue_ptr 0
		.amdhsa_user_sgpr_kernarg_segment_ptr 1
		.amdhsa_user_sgpr_dispatch_id 0
		.amdhsa_user_sgpr_flat_scratch_init 0
		.amdhsa_user_sgpr_kernarg_preload_length 0
		.amdhsa_user_sgpr_kernarg_preload_offset 0
		.amdhsa_user_sgpr_private_segment_size 0
		.amdhsa_uses_dynamic_stack 0
		.amdhsa_system_sgpr_private_segment_wavefront_offset 0
		.amdhsa_system_sgpr_workgroup_id_x 1
		.amdhsa_system_sgpr_workgroup_id_y 0
		.amdhsa_system_sgpr_workgroup_id_z 0
		.amdhsa_system_sgpr_workgroup_info 0
		.amdhsa_system_vgpr_workitem_id 0
		.amdhsa_next_free_vgpr 57
		.amdhsa_next_free_sgpr 38
		.amdhsa_accum_offset 60
		.amdhsa_reserve_vcc 1
		.amdhsa_reserve_flat_scratch 0
		.amdhsa_float_round_mode_32 0
		.amdhsa_float_round_mode_16_64 0
		.amdhsa_float_denorm_mode_32 3
		.amdhsa_float_denorm_mode_16_64 3
		.amdhsa_dx10_clamp 1
		.amdhsa_ieee_mode 1
		.amdhsa_fp16_overflow 0
		.amdhsa_tg_split 0
		.amdhsa_exception_fp_ieee_invalid_op 0
		.amdhsa_exception_fp_denorm_src 0
		.amdhsa_exception_fp_ieee_div_zero 0
		.amdhsa_exception_fp_ieee_overflow 0
		.amdhsa_exception_fp_ieee_underflow 0
		.amdhsa_exception_fp_ieee_inexact 0
		.amdhsa_exception_int_div_zero 0
	.end_amdhsa_kernel
	.section	.text._ZN7rocprim17ROCPRIM_400000_NS6detail17trampoline_kernelINS0_14default_configENS1_20scan_config_selectorIsEEZZNS1_9scan_implILNS1_25lookback_scan_determinismE0ELb0ELb0ES3_N6thrust23THRUST_200600_302600_NS6detail15normal_iteratorINS9_10device_ptrIsEEEESE_s11max_functorIsEsEEDaPvRmT3_T4_T5_mT6_P12ihipStream_tbENKUlT_T0_E_clISt17integral_constantIbLb1EESU_EEDaSP_SQ_EUlSP_E_NS1_11comp_targetILNS1_3genE4ELNS1_11target_archE910ELNS1_3gpuE8ELNS1_3repE0EEENS1_30default_config_static_selectorELNS0_4arch9wavefront6targetE1EEEvT1_,"axG",@progbits,_ZN7rocprim17ROCPRIM_400000_NS6detail17trampoline_kernelINS0_14default_configENS1_20scan_config_selectorIsEEZZNS1_9scan_implILNS1_25lookback_scan_determinismE0ELb0ELb0ES3_N6thrust23THRUST_200600_302600_NS6detail15normal_iteratorINS9_10device_ptrIsEEEESE_s11max_functorIsEsEEDaPvRmT3_T4_T5_mT6_P12ihipStream_tbENKUlT_T0_E_clISt17integral_constantIbLb1EESU_EEDaSP_SQ_EUlSP_E_NS1_11comp_targetILNS1_3genE4ELNS1_11target_archE910ELNS1_3gpuE8ELNS1_3repE0EEENS1_30default_config_static_selectorELNS0_4arch9wavefront6targetE1EEEvT1_,comdat
.Lfunc_end2866:
	.size	_ZN7rocprim17ROCPRIM_400000_NS6detail17trampoline_kernelINS0_14default_configENS1_20scan_config_selectorIsEEZZNS1_9scan_implILNS1_25lookback_scan_determinismE0ELb0ELb0ES3_N6thrust23THRUST_200600_302600_NS6detail15normal_iteratorINS9_10device_ptrIsEEEESE_s11max_functorIsEsEEDaPvRmT3_T4_T5_mT6_P12ihipStream_tbENKUlT_T0_E_clISt17integral_constantIbLb1EESU_EEDaSP_SQ_EUlSP_E_NS1_11comp_targetILNS1_3genE4ELNS1_11target_archE910ELNS1_3gpuE8ELNS1_3repE0EEENS1_30default_config_static_selectorELNS0_4arch9wavefront6targetE1EEEvT1_, .Lfunc_end2866-_ZN7rocprim17ROCPRIM_400000_NS6detail17trampoline_kernelINS0_14default_configENS1_20scan_config_selectorIsEEZZNS1_9scan_implILNS1_25lookback_scan_determinismE0ELb0ELb0ES3_N6thrust23THRUST_200600_302600_NS6detail15normal_iteratorINS9_10device_ptrIsEEEESE_s11max_functorIsEsEEDaPvRmT3_T4_T5_mT6_P12ihipStream_tbENKUlT_T0_E_clISt17integral_constantIbLb1EESU_EEDaSP_SQ_EUlSP_E_NS1_11comp_targetILNS1_3genE4ELNS1_11target_archE910ELNS1_3gpuE8ELNS1_3repE0EEENS1_30default_config_static_selectorELNS0_4arch9wavefront6targetE1EEEvT1_
                                        ; -- End function
	.section	.AMDGPU.csdata,"",@progbits
; Kernel info:
; codeLenInByte = 8072
; NumSgprs: 42
; NumVgprs: 57
; NumAgprs: 0
; TotalNumVgprs: 57
; ScratchSize: 0
; MemoryBound: 0
; FloatMode: 240
; IeeeMode: 1
; LDSByteSize: 3072 bytes/workgroup (compile time only)
; SGPRBlocks: 5
; VGPRBlocks: 7
; NumSGPRsForWavesPerEU: 42
; NumVGPRsForWavesPerEU: 57
; AccumOffset: 60
; Occupancy: 6
; WaveLimiterHint : 1
; COMPUTE_PGM_RSRC2:SCRATCH_EN: 0
; COMPUTE_PGM_RSRC2:USER_SGPR: 6
; COMPUTE_PGM_RSRC2:TRAP_HANDLER: 0
; COMPUTE_PGM_RSRC2:TGID_X_EN: 1
; COMPUTE_PGM_RSRC2:TGID_Y_EN: 0
; COMPUTE_PGM_RSRC2:TGID_Z_EN: 0
; COMPUTE_PGM_RSRC2:TIDIG_COMP_CNT: 0
; COMPUTE_PGM_RSRC3_GFX90A:ACCUM_OFFSET: 14
; COMPUTE_PGM_RSRC3_GFX90A:TG_SPLIT: 0
	.section	.text._ZN7rocprim17ROCPRIM_400000_NS6detail17trampoline_kernelINS0_14default_configENS1_20scan_config_selectorIsEEZZNS1_9scan_implILNS1_25lookback_scan_determinismE0ELb0ELb0ES3_N6thrust23THRUST_200600_302600_NS6detail15normal_iteratorINS9_10device_ptrIsEEEESE_s11max_functorIsEsEEDaPvRmT3_T4_T5_mT6_P12ihipStream_tbENKUlT_T0_E_clISt17integral_constantIbLb1EESU_EEDaSP_SQ_EUlSP_E_NS1_11comp_targetILNS1_3genE3ELNS1_11target_archE908ELNS1_3gpuE7ELNS1_3repE0EEENS1_30default_config_static_selectorELNS0_4arch9wavefront6targetE1EEEvT1_,"axG",@progbits,_ZN7rocprim17ROCPRIM_400000_NS6detail17trampoline_kernelINS0_14default_configENS1_20scan_config_selectorIsEEZZNS1_9scan_implILNS1_25lookback_scan_determinismE0ELb0ELb0ES3_N6thrust23THRUST_200600_302600_NS6detail15normal_iteratorINS9_10device_ptrIsEEEESE_s11max_functorIsEsEEDaPvRmT3_T4_T5_mT6_P12ihipStream_tbENKUlT_T0_E_clISt17integral_constantIbLb1EESU_EEDaSP_SQ_EUlSP_E_NS1_11comp_targetILNS1_3genE3ELNS1_11target_archE908ELNS1_3gpuE7ELNS1_3repE0EEENS1_30default_config_static_selectorELNS0_4arch9wavefront6targetE1EEEvT1_,comdat
	.protected	_ZN7rocprim17ROCPRIM_400000_NS6detail17trampoline_kernelINS0_14default_configENS1_20scan_config_selectorIsEEZZNS1_9scan_implILNS1_25lookback_scan_determinismE0ELb0ELb0ES3_N6thrust23THRUST_200600_302600_NS6detail15normal_iteratorINS9_10device_ptrIsEEEESE_s11max_functorIsEsEEDaPvRmT3_T4_T5_mT6_P12ihipStream_tbENKUlT_T0_E_clISt17integral_constantIbLb1EESU_EEDaSP_SQ_EUlSP_E_NS1_11comp_targetILNS1_3genE3ELNS1_11target_archE908ELNS1_3gpuE7ELNS1_3repE0EEENS1_30default_config_static_selectorELNS0_4arch9wavefront6targetE1EEEvT1_ ; -- Begin function _ZN7rocprim17ROCPRIM_400000_NS6detail17trampoline_kernelINS0_14default_configENS1_20scan_config_selectorIsEEZZNS1_9scan_implILNS1_25lookback_scan_determinismE0ELb0ELb0ES3_N6thrust23THRUST_200600_302600_NS6detail15normal_iteratorINS9_10device_ptrIsEEEESE_s11max_functorIsEsEEDaPvRmT3_T4_T5_mT6_P12ihipStream_tbENKUlT_T0_E_clISt17integral_constantIbLb1EESU_EEDaSP_SQ_EUlSP_E_NS1_11comp_targetILNS1_3genE3ELNS1_11target_archE908ELNS1_3gpuE7ELNS1_3repE0EEENS1_30default_config_static_selectorELNS0_4arch9wavefront6targetE1EEEvT1_
	.globl	_ZN7rocprim17ROCPRIM_400000_NS6detail17trampoline_kernelINS0_14default_configENS1_20scan_config_selectorIsEEZZNS1_9scan_implILNS1_25lookback_scan_determinismE0ELb0ELb0ES3_N6thrust23THRUST_200600_302600_NS6detail15normal_iteratorINS9_10device_ptrIsEEEESE_s11max_functorIsEsEEDaPvRmT3_T4_T5_mT6_P12ihipStream_tbENKUlT_T0_E_clISt17integral_constantIbLb1EESU_EEDaSP_SQ_EUlSP_E_NS1_11comp_targetILNS1_3genE3ELNS1_11target_archE908ELNS1_3gpuE7ELNS1_3repE0EEENS1_30default_config_static_selectorELNS0_4arch9wavefront6targetE1EEEvT1_
	.p2align	8
	.type	_ZN7rocprim17ROCPRIM_400000_NS6detail17trampoline_kernelINS0_14default_configENS1_20scan_config_selectorIsEEZZNS1_9scan_implILNS1_25lookback_scan_determinismE0ELb0ELb0ES3_N6thrust23THRUST_200600_302600_NS6detail15normal_iteratorINS9_10device_ptrIsEEEESE_s11max_functorIsEsEEDaPvRmT3_T4_T5_mT6_P12ihipStream_tbENKUlT_T0_E_clISt17integral_constantIbLb1EESU_EEDaSP_SQ_EUlSP_E_NS1_11comp_targetILNS1_3genE3ELNS1_11target_archE908ELNS1_3gpuE7ELNS1_3repE0EEENS1_30default_config_static_selectorELNS0_4arch9wavefront6targetE1EEEvT1_,@function
_ZN7rocprim17ROCPRIM_400000_NS6detail17trampoline_kernelINS0_14default_configENS1_20scan_config_selectorIsEEZZNS1_9scan_implILNS1_25lookback_scan_determinismE0ELb0ELb0ES3_N6thrust23THRUST_200600_302600_NS6detail15normal_iteratorINS9_10device_ptrIsEEEESE_s11max_functorIsEsEEDaPvRmT3_T4_T5_mT6_P12ihipStream_tbENKUlT_T0_E_clISt17integral_constantIbLb1EESU_EEDaSP_SQ_EUlSP_E_NS1_11comp_targetILNS1_3genE3ELNS1_11target_archE908ELNS1_3gpuE7ELNS1_3repE0EEENS1_30default_config_static_selectorELNS0_4arch9wavefront6targetE1EEEvT1_: ; @_ZN7rocprim17ROCPRIM_400000_NS6detail17trampoline_kernelINS0_14default_configENS1_20scan_config_selectorIsEEZZNS1_9scan_implILNS1_25lookback_scan_determinismE0ELb0ELb0ES3_N6thrust23THRUST_200600_302600_NS6detail15normal_iteratorINS9_10device_ptrIsEEEESE_s11max_functorIsEsEEDaPvRmT3_T4_T5_mT6_P12ihipStream_tbENKUlT_T0_E_clISt17integral_constantIbLb1EESU_EEDaSP_SQ_EUlSP_E_NS1_11comp_targetILNS1_3genE3ELNS1_11target_archE908ELNS1_3gpuE7ELNS1_3repE0EEENS1_30default_config_static_selectorELNS0_4arch9wavefront6targetE1EEEvT1_
; %bb.0:
	.section	.rodata,"a",@progbits
	.p2align	6, 0x0
	.amdhsa_kernel _ZN7rocprim17ROCPRIM_400000_NS6detail17trampoline_kernelINS0_14default_configENS1_20scan_config_selectorIsEEZZNS1_9scan_implILNS1_25lookback_scan_determinismE0ELb0ELb0ES3_N6thrust23THRUST_200600_302600_NS6detail15normal_iteratorINS9_10device_ptrIsEEEESE_s11max_functorIsEsEEDaPvRmT3_T4_T5_mT6_P12ihipStream_tbENKUlT_T0_E_clISt17integral_constantIbLb1EESU_EEDaSP_SQ_EUlSP_E_NS1_11comp_targetILNS1_3genE3ELNS1_11target_archE908ELNS1_3gpuE7ELNS1_3repE0EEENS1_30default_config_static_selectorELNS0_4arch9wavefront6targetE1EEEvT1_
		.amdhsa_group_segment_fixed_size 0
		.amdhsa_private_segment_fixed_size 0
		.amdhsa_kernarg_size 96
		.amdhsa_user_sgpr_count 6
		.amdhsa_user_sgpr_private_segment_buffer 1
		.amdhsa_user_sgpr_dispatch_ptr 0
		.amdhsa_user_sgpr_queue_ptr 0
		.amdhsa_user_sgpr_kernarg_segment_ptr 1
		.amdhsa_user_sgpr_dispatch_id 0
		.amdhsa_user_sgpr_flat_scratch_init 0
		.amdhsa_user_sgpr_kernarg_preload_length 0
		.amdhsa_user_sgpr_kernarg_preload_offset 0
		.amdhsa_user_sgpr_private_segment_size 0
		.amdhsa_uses_dynamic_stack 0
		.amdhsa_system_sgpr_private_segment_wavefront_offset 0
		.amdhsa_system_sgpr_workgroup_id_x 1
		.amdhsa_system_sgpr_workgroup_id_y 0
		.amdhsa_system_sgpr_workgroup_id_z 0
		.amdhsa_system_sgpr_workgroup_info 0
		.amdhsa_system_vgpr_workitem_id 0
		.amdhsa_next_free_vgpr 1
		.amdhsa_next_free_sgpr 0
		.amdhsa_accum_offset 4
		.amdhsa_reserve_vcc 0
		.amdhsa_reserve_flat_scratch 0
		.amdhsa_float_round_mode_32 0
		.amdhsa_float_round_mode_16_64 0
		.amdhsa_float_denorm_mode_32 3
		.amdhsa_float_denorm_mode_16_64 3
		.amdhsa_dx10_clamp 1
		.amdhsa_ieee_mode 1
		.amdhsa_fp16_overflow 0
		.amdhsa_tg_split 0
		.amdhsa_exception_fp_ieee_invalid_op 0
		.amdhsa_exception_fp_denorm_src 0
		.amdhsa_exception_fp_ieee_div_zero 0
		.amdhsa_exception_fp_ieee_overflow 0
		.amdhsa_exception_fp_ieee_underflow 0
		.amdhsa_exception_fp_ieee_inexact 0
		.amdhsa_exception_int_div_zero 0
	.end_amdhsa_kernel
	.section	.text._ZN7rocprim17ROCPRIM_400000_NS6detail17trampoline_kernelINS0_14default_configENS1_20scan_config_selectorIsEEZZNS1_9scan_implILNS1_25lookback_scan_determinismE0ELb0ELb0ES3_N6thrust23THRUST_200600_302600_NS6detail15normal_iteratorINS9_10device_ptrIsEEEESE_s11max_functorIsEsEEDaPvRmT3_T4_T5_mT6_P12ihipStream_tbENKUlT_T0_E_clISt17integral_constantIbLb1EESU_EEDaSP_SQ_EUlSP_E_NS1_11comp_targetILNS1_3genE3ELNS1_11target_archE908ELNS1_3gpuE7ELNS1_3repE0EEENS1_30default_config_static_selectorELNS0_4arch9wavefront6targetE1EEEvT1_,"axG",@progbits,_ZN7rocprim17ROCPRIM_400000_NS6detail17trampoline_kernelINS0_14default_configENS1_20scan_config_selectorIsEEZZNS1_9scan_implILNS1_25lookback_scan_determinismE0ELb0ELb0ES3_N6thrust23THRUST_200600_302600_NS6detail15normal_iteratorINS9_10device_ptrIsEEEESE_s11max_functorIsEsEEDaPvRmT3_T4_T5_mT6_P12ihipStream_tbENKUlT_T0_E_clISt17integral_constantIbLb1EESU_EEDaSP_SQ_EUlSP_E_NS1_11comp_targetILNS1_3genE3ELNS1_11target_archE908ELNS1_3gpuE7ELNS1_3repE0EEENS1_30default_config_static_selectorELNS0_4arch9wavefront6targetE1EEEvT1_,comdat
.Lfunc_end2867:
	.size	_ZN7rocprim17ROCPRIM_400000_NS6detail17trampoline_kernelINS0_14default_configENS1_20scan_config_selectorIsEEZZNS1_9scan_implILNS1_25lookback_scan_determinismE0ELb0ELb0ES3_N6thrust23THRUST_200600_302600_NS6detail15normal_iteratorINS9_10device_ptrIsEEEESE_s11max_functorIsEsEEDaPvRmT3_T4_T5_mT6_P12ihipStream_tbENKUlT_T0_E_clISt17integral_constantIbLb1EESU_EEDaSP_SQ_EUlSP_E_NS1_11comp_targetILNS1_3genE3ELNS1_11target_archE908ELNS1_3gpuE7ELNS1_3repE0EEENS1_30default_config_static_selectorELNS0_4arch9wavefront6targetE1EEEvT1_, .Lfunc_end2867-_ZN7rocprim17ROCPRIM_400000_NS6detail17trampoline_kernelINS0_14default_configENS1_20scan_config_selectorIsEEZZNS1_9scan_implILNS1_25lookback_scan_determinismE0ELb0ELb0ES3_N6thrust23THRUST_200600_302600_NS6detail15normal_iteratorINS9_10device_ptrIsEEEESE_s11max_functorIsEsEEDaPvRmT3_T4_T5_mT6_P12ihipStream_tbENKUlT_T0_E_clISt17integral_constantIbLb1EESU_EEDaSP_SQ_EUlSP_E_NS1_11comp_targetILNS1_3genE3ELNS1_11target_archE908ELNS1_3gpuE7ELNS1_3repE0EEENS1_30default_config_static_selectorELNS0_4arch9wavefront6targetE1EEEvT1_
                                        ; -- End function
	.section	.AMDGPU.csdata,"",@progbits
; Kernel info:
; codeLenInByte = 0
; NumSgprs: 4
; NumVgprs: 0
; NumAgprs: 0
; TotalNumVgprs: 0
; ScratchSize: 0
; MemoryBound: 0
; FloatMode: 240
; IeeeMode: 1
; LDSByteSize: 0 bytes/workgroup (compile time only)
; SGPRBlocks: 0
; VGPRBlocks: 0
; NumSGPRsForWavesPerEU: 4
; NumVGPRsForWavesPerEU: 1
; AccumOffset: 4
; Occupancy: 8
; WaveLimiterHint : 0
; COMPUTE_PGM_RSRC2:SCRATCH_EN: 0
; COMPUTE_PGM_RSRC2:USER_SGPR: 6
; COMPUTE_PGM_RSRC2:TRAP_HANDLER: 0
; COMPUTE_PGM_RSRC2:TGID_X_EN: 1
; COMPUTE_PGM_RSRC2:TGID_Y_EN: 0
; COMPUTE_PGM_RSRC2:TGID_Z_EN: 0
; COMPUTE_PGM_RSRC2:TIDIG_COMP_CNT: 0
; COMPUTE_PGM_RSRC3_GFX90A:ACCUM_OFFSET: 0
; COMPUTE_PGM_RSRC3_GFX90A:TG_SPLIT: 0
	.section	.text._ZN7rocprim17ROCPRIM_400000_NS6detail17trampoline_kernelINS0_14default_configENS1_20scan_config_selectorIsEEZZNS1_9scan_implILNS1_25lookback_scan_determinismE0ELb0ELb0ES3_N6thrust23THRUST_200600_302600_NS6detail15normal_iteratorINS9_10device_ptrIsEEEESE_s11max_functorIsEsEEDaPvRmT3_T4_T5_mT6_P12ihipStream_tbENKUlT_T0_E_clISt17integral_constantIbLb1EESU_EEDaSP_SQ_EUlSP_E_NS1_11comp_targetILNS1_3genE2ELNS1_11target_archE906ELNS1_3gpuE6ELNS1_3repE0EEENS1_30default_config_static_selectorELNS0_4arch9wavefront6targetE1EEEvT1_,"axG",@progbits,_ZN7rocprim17ROCPRIM_400000_NS6detail17trampoline_kernelINS0_14default_configENS1_20scan_config_selectorIsEEZZNS1_9scan_implILNS1_25lookback_scan_determinismE0ELb0ELb0ES3_N6thrust23THRUST_200600_302600_NS6detail15normal_iteratorINS9_10device_ptrIsEEEESE_s11max_functorIsEsEEDaPvRmT3_T4_T5_mT6_P12ihipStream_tbENKUlT_T0_E_clISt17integral_constantIbLb1EESU_EEDaSP_SQ_EUlSP_E_NS1_11comp_targetILNS1_3genE2ELNS1_11target_archE906ELNS1_3gpuE6ELNS1_3repE0EEENS1_30default_config_static_selectorELNS0_4arch9wavefront6targetE1EEEvT1_,comdat
	.protected	_ZN7rocprim17ROCPRIM_400000_NS6detail17trampoline_kernelINS0_14default_configENS1_20scan_config_selectorIsEEZZNS1_9scan_implILNS1_25lookback_scan_determinismE0ELb0ELb0ES3_N6thrust23THRUST_200600_302600_NS6detail15normal_iteratorINS9_10device_ptrIsEEEESE_s11max_functorIsEsEEDaPvRmT3_T4_T5_mT6_P12ihipStream_tbENKUlT_T0_E_clISt17integral_constantIbLb1EESU_EEDaSP_SQ_EUlSP_E_NS1_11comp_targetILNS1_3genE2ELNS1_11target_archE906ELNS1_3gpuE6ELNS1_3repE0EEENS1_30default_config_static_selectorELNS0_4arch9wavefront6targetE1EEEvT1_ ; -- Begin function _ZN7rocprim17ROCPRIM_400000_NS6detail17trampoline_kernelINS0_14default_configENS1_20scan_config_selectorIsEEZZNS1_9scan_implILNS1_25lookback_scan_determinismE0ELb0ELb0ES3_N6thrust23THRUST_200600_302600_NS6detail15normal_iteratorINS9_10device_ptrIsEEEESE_s11max_functorIsEsEEDaPvRmT3_T4_T5_mT6_P12ihipStream_tbENKUlT_T0_E_clISt17integral_constantIbLb1EESU_EEDaSP_SQ_EUlSP_E_NS1_11comp_targetILNS1_3genE2ELNS1_11target_archE906ELNS1_3gpuE6ELNS1_3repE0EEENS1_30default_config_static_selectorELNS0_4arch9wavefront6targetE1EEEvT1_
	.globl	_ZN7rocprim17ROCPRIM_400000_NS6detail17trampoline_kernelINS0_14default_configENS1_20scan_config_selectorIsEEZZNS1_9scan_implILNS1_25lookback_scan_determinismE0ELb0ELb0ES3_N6thrust23THRUST_200600_302600_NS6detail15normal_iteratorINS9_10device_ptrIsEEEESE_s11max_functorIsEsEEDaPvRmT3_T4_T5_mT6_P12ihipStream_tbENKUlT_T0_E_clISt17integral_constantIbLb1EESU_EEDaSP_SQ_EUlSP_E_NS1_11comp_targetILNS1_3genE2ELNS1_11target_archE906ELNS1_3gpuE6ELNS1_3repE0EEENS1_30default_config_static_selectorELNS0_4arch9wavefront6targetE1EEEvT1_
	.p2align	8
	.type	_ZN7rocprim17ROCPRIM_400000_NS6detail17trampoline_kernelINS0_14default_configENS1_20scan_config_selectorIsEEZZNS1_9scan_implILNS1_25lookback_scan_determinismE0ELb0ELb0ES3_N6thrust23THRUST_200600_302600_NS6detail15normal_iteratorINS9_10device_ptrIsEEEESE_s11max_functorIsEsEEDaPvRmT3_T4_T5_mT6_P12ihipStream_tbENKUlT_T0_E_clISt17integral_constantIbLb1EESU_EEDaSP_SQ_EUlSP_E_NS1_11comp_targetILNS1_3genE2ELNS1_11target_archE906ELNS1_3gpuE6ELNS1_3repE0EEENS1_30default_config_static_selectorELNS0_4arch9wavefront6targetE1EEEvT1_,@function
_ZN7rocprim17ROCPRIM_400000_NS6detail17trampoline_kernelINS0_14default_configENS1_20scan_config_selectorIsEEZZNS1_9scan_implILNS1_25lookback_scan_determinismE0ELb0ELb0ES3_N6thrust23THRUST_200600_302600_NS6detail15normal_iteratorINS9_10device_ptrIsEEEESE_s11max_functorIsEsEEDaPvRmT3_T4_T5_mT6_P12ihipStream_tbENKUlT_T0_E_clISt17integral_constantIbLb1EESU_EEDaSP_SQ_EUlSP_E_NS1_11comp_targetILNS1_3genE2ELNS1_11target_archE906ELNS1_3gpuE6ELNS1_3repE0EEENS1_30default_config_static_selectorELNS0_4arch9wavefront6targetE1EEEvT1_: ; @_ZN7rocprim17ROCPRIM_400000_NS6detail17trampoline_kernelINS0_14default_configENS1_20scan_config_selectorIsEEZZNS1_9scan_implILNS1_25lookback_scan_determinismE0ELb0ELb0ES3_N6thrust23THRUST_200600_302600_NS6detail15normal_iteratorINS9_10device_ptrIsEEEESE_s11max_functorIsEsEEDaPvRmT3_T4_T5_mT6_P12ihipStream_tbENKUlT_T0_E_clISt17integral_constantIbLb1EESU_EEDaSP_SQ_EUlSP_E_NS1_11comp_targetILNS1_3genE2ELNS1_11target_archE906ELNS1_3gpuE6ELNS1_3repE0EEENS1_30default_config_static_selectorELNS0_4arch9wavefront6targetE1EEEvT1_
; %bb.0:
	.section	.rodata,"a",@progbits
	.p2align	6, 0x0
	.amdhsa_kernel _ZN7rocprim17ROCPRIM_400000_NS6detail17trampoline_kernelINS0_14default_configENS1_20scan_config_selectorIsEEZZNS1_9scan_implILNS1_25lookback_scan_determinismE0ELb0ELb0ES3_N6thrust23THRUST_200600_302600_NS6detail15normal_iteratorINS9_10device_ptrIsEEEESE_s11max_functorIsEsEEDaPvRmT3_T4_T5_mT6_P12ihipStream_tbENKUlT_T0_E_clISt17integral_constantIbLb1EESU_EEDaSP_SQ_EUlSP_E_NS1_11comp_targetILNS1_3genE2ELNS1_11target_archE906ELNS1_3gpuE6ELNS1_3repE0EEENS1_30default_config_static_selectorELNS0_4arch9wavefront6targetE1EEEvT1_
		.amdhsa_group_segment_fixed_size 0
		.amdhsa_private_segment_fixed_size 0
		.amdhsa_kernarg_size 96
		.amdhsa_user_sgpr_count 6
		.amdhsa_user_sgpr_private_segment_buffer 1
		.amdhsa_user_sgpr_dispatch_ptr 0
		.amdhsa_user_sgpr_queue_ptr 0
		.amdhsa_user_sgpr_kernarg_segment_ptr 1
		.amdhsa_user_sgpr_dispatch_id 0
		.amdhsa_user_sgpr_flat_scratch_init 0
		.amdhsa_user_sgpr_kernarg_preload_length 0
		.amdhsa_user_sgpr_kernarg_preload_offset 0
		.amdhsa_user_sgpr_private_segment_size 0
		.amdhsa_uses_dynamic_stack 0
		.amdhsa_system_sgpr_private_segment_wavefront_offset 0
		.amdhsa_system_sgpr_workgroup_id_x 1
		.amdhsa_system_sgpr_workgroup_id_y 0
		.amdhsa_system_sgpr_workgroup_id_z 0
		.amdhsa_system_sgpr_workgroup_info 0
		.amdhsa_system_vgpr_workitem_id 0
		.amdhsa_next_free_vgpr 1
		.amdhsa_next_free_sgpr 0
		.amdhsa_accum_offset 4
		.amdhsa_reserve_vcc 0
		.amdhsa_reserve_flat_scratch 0
		.amdhsa_float_round_mode_32 0
		.amdhsa_float_round_mode_16_64 0
		.amdhsa_float_denorm_mode_32 3
		.amdhsa_float_denorm_mode_16_64 3
		.amdhsa_dx10_clamp 1
		.amdhsa_ieee_mode 1
		.amdhsa_fp16_overflow 0
		.amdhsa_tg_split 0
		.amdhsa_exception_fp_ieee_invalid_op 0
		.amdhsa_exception_fp_denorm_src 0
		.amdhsa_exception_fp_ieee_div_zero 0
		.amdhsa_exception_fp_ieee_overflow 0
		.amdhsa_exception_fp_ieee_underflow 0
		.amdhsa_exception_fp_ieee_inexact 0
		.amdhsa_exception_int_div_zero 0
	.end_amdhsa_kernel
	.section	.text._ZN7rocprim17ROCPRIM_400000_NS6detail17trampoline_kernelINS0_14default_configENS1_20scan_config_selectorIsEEZZNS1_9scan_implILNS1_25lookback_scan_determinismE0ELb0ELb0ES3_N6thrust23THRUST_200600_302600_NS6detail15normal_iteratorINS9_10device_ptrIsEEEESE_s11max_functorIsEsEEDaPvRmT3_T4_T5_mT6_P12ihipStream_tbENKUlT_T0_E_clISt17integral_constantIbLb1EESU_EEDaSP_SQ_EUlSP_E_NS1_11comp_targetILNS1_3genE2ELNS1_11target_archE906ELNS1_3gpuE6ELNS1_3repE0EEENS1_30default_config_static_selectorELNS0_4arch9wavefront6targetE1EEEvT1_,"axG",@progbits,_ZN7rocprim17ROCPRIM_400000_NS6detail17trampoline_kernelINS0_14default_configENS1_20scan_config_selectorIsEEZZNS1_9scan_implILNS1_25lookback_scan_determinismE0ELb0ELb0ES3_N6thrust23THRUST_200600_302600_NS6detail15normal_iteratorINS9_10device_ptrIsEEEESE_s11max_functorIsEsEEDaPvRmT3_T4_T5_mT6_P12ihipStream_tbENKUlT_T0_E_clISt17integral_constantIbLb1EESU_EEDaSP_SQ_EUlSP_E_NS1_11comp_targetILNS1_3genE2ELNS1_11target_archE906ELNS1_3gpuE6ELNS1_3repE0EEENS1_30default_config_static_selectorELNS0_4arch9wavefront6targetE1EEEvT1_,comdat
.Lfunc_end2868:
	.size	_ZN7rocprim17ROCPRIM_400000_NS6detail17trampoline_kernelINS0_14default_configENS1_20scan_config_selectorIsEEZZNS1_9scan_implILNS1_25lookback_scan_determinismE0ELb0ELb0ES3_N6thrust23THRUST_200600_302600_NS6detail15normal_iteratorINS9_10device_ptrIsEEEESE_s11max_functorIsEsEEDaPvRmT3_T4_T5_mT6_P12ihipStream_tbENKUlT_T0_E_clISt17integral_constantIbLb1EESU_EEDaSP_SQ_EUlSP_E_NS1_11comp_targetILNS1_3genE2ELNS1_11target_archE906ELNS1_3gpuE6ELNS1_3repE0EEENS1_30default_config_static_selectorELNS0_4arch9wavefront6targetE1EEEvT1_, .Lfunc_end2868-_ZN7rocprim17ROCPRIM_400000_NS6detail17trampoline_kernelINS0_14default_configENS1_20scan_config_selectorIsEEZZNS1_9scan_implILNS1_25lookback_scan_determinismE0ELb0ELb0ES3_N6thrust23THRUST_200600_302600_NS6detail15normal_iteratorINS9_10device_ptrIsEEEESE_s11max_functorIsEsEEDaPvRmT3_T4_T5_mT6_P12ihipStream_tbENKUlT_T0_E_clISt17integral_constantIbLb1EESU_EEDaSP_SQ_EUlSP_E_NS1_11comp_targetILNS1_3genE2ELNS1_11target_archE906ELNS1_3gpuE6ELNS1_3repE0EEENS1_30default_config_static_selectorELNS0_4arch9wavefront6targetE1EEEvT1_
                                        ; -- End function
	.section	.AMDGPU.csdata,"",@progbits
; Kernel info:
; codeLenInByte = 0
; NumSgprs: 4
; NumVgprs: 0
; NumAgprs: 0
; TotalNumVgprs: 0
; ScratchSize: 0
; MemoryBound: 0
; FloatMode: 240
; IeeeMode: 1
; LDSByteSize: 0 bytes/workgroup (compile time only)
; SGPRBlocks: 0
; VGPRBlocks: 0
; NumSGPRsForWavesPerEU: 4
; NumVGPRsForWavesPerEU: 1
; AccumOffset: 4
; Occupancy: 8
; WaveLimiterHint : 0
; COMPUTE_PGM_RSRC2:SCRATCH_EN: 0
; COMPUTE_PGM_RSRC2:USER_SGPR: 6
; COMPUTE_PGM_RSRC2:TRAP_HANDLER: 0
; COMPUTE_PGM_RSRC2:TGID_X_EN: 1
; COMPUTE_PGM_RSRC2:TGID_Y_EN: 0
; COMPUTE_PGM_RSRC2:TGID_Z_EN: 0
; COMPUTE_PGM_RSRC2:TIDIG_COMP_CNT: 0
; COMPUTE_PGM_RSRC3_GFX90A:ACCUM_OFFSET: 0
; COMPUTE_PGM_RSRC3_GFX90A:TG_SPLIT: 0
	.section	.text._ZN7rocprim17ROCPRIM_400000_NS6detail17trampoline_kernelINS0_14default_configENS1_20scan_config_selectorIsEEZZNS1_9scan_implILNS1_25lookback_scan_determinismE0ELb0ELb0ES3_N6thrust23THRUST_200600_302600_NS6detail15normal_iteratorINS9_10device_ptrIsEEEESE_s11max_functorIsEsEEDaPvRmT3_T4_T5_mT6_P12ihipStream_tbENKUlT_T0_E_clISt17integral_constantIbLb1EESU_EEDaSP_SQ_EUlSP_E_NS1_11comp_targetILNS1_3genE10ELNS1_11target_archE1201ELNS1_3gpuE5ELNS1_3repE0EEENS1_30default_config_static_selectorELNS0_4arch9wavefront6targetE1EEEvT1_,"axG",@progbits,_ZN7rocprim17ROCPRIM_400000_NS6detail17trampoline_kernelINS0_14default_configENS1_20scan_config_selectorIsEEZZNS1_9scan_implILNS1_25lookback_scan_determinismE0ELb0ELb0ES3_N6thrust23THRUST_200600_302600_NS6detail15normal_iteratorINS9_10device_ptrIsEEEESE_s11max_functorIsEsEEDaPvRmT3_T4_T5_mT6_P12ihipStream_tbENKUlT_T0_E_clISt17integral_constantIbLb1EESU_EEDaSP_SQ_EUlSP_E_NS1_11comp_targetILNS1_3genE10ELNS1_11target_archE1201ELNS1_3gpuE5ELNS1_3repE0EEENS1_30default_config_static_selectorELNS0_4arch9wavefront6targetE1EEEvT1_,comdat
	.protected	_ZN7rocprim17ROCPRIM_400000_NS6detail17trampoline_kernelINS0_14default_configENS1_20scan_config_selectorIsEEZZNS1_9scan_implILNS1_25lookback_scan_determinismE0ELb0ELb0ES3_N6thrust23THRUST_200600_302600_NS6detail15normal_iteratorINS9_10device_ptrIsEEEESE_s11max_functorIsEsEEDaPvRmT3_T4_T5_mT6_P12ihipStream_tbENKUlT_T0_E_clISt17integral_constantIbLb1EESU_EEDaSP_SQ_EUlSP_E_NS1_11comp_targetILNS1_3genE10ELNS1_11target_archE1201ELNS1_3gpuE5ELNS1_3repE0EEENS1_30default_config_static_selectorELNS0_4arch9wavefront6targetE1EEEvT1_ ; -- Begin function _ZN7rocprim17ROCPRIM_400000_NS6detail17trampoline_kernelINS0_14default_configENS1_20scan_config_selectorIsEEZZNS1_9scan_implILNS1_25lookback_scan_determinismE0ELb0ELb0ES3_N6thrust23THRUST_200600_302600_NS6detail15normal_iteratorINS9_10device_ptrIsEEEESE_s11max_functorIsEsEEDaPvRmT3_T4_T5_mT6_P12ihipStream_tbENKUlT_T0_E_clISt17integral_constantIbLb1EESU_EEDaSP_SQ_EUlSP_E_NS1_11comp_targetILNS1_3genE10ELNS1_11target_archE1201ELNS1_3gpuE5ELNS1_3repE0EEENS1_30default_config_static_selectorELNS0_4arch9wavefront6targetE1EEEvT1_
	.globl	_ZN7rocprim17ROCPRIM_400000_NS6detail17trampoline_kernelINS0_14default_configENS1_20scan_config_selectorIsEEZZNS1_9scan_implILNS1_25lookback_scan_determinismE0ELb0ELb0ES3_N6thrust23THRUST_200600_302600_NS6detail15normal_iteratorINS9_10device_ptrIsEEEESE_s11max_functorIsEsEEDaPvRmT3_T4_T5_mT6_P12ihipStream_tbENKUlT_T0_E_clISt17integral_constantIbLb1EESU_EEDaSP_SQ_EUlSP_E_NS1_11comp_targetILNS1_3genE10ELNS1_11target_archE1201ELNS1_3gpuE5ELNS1_3repE0EEENS1_30default_config_static_selectorELNS0_4arch9wavefront6targetE1EEEvT1_
	.p2align	8
	.type	_ZN7rocprim17ROCPRIM_400000_NS6detail17trampoline_kernelINS0_14default_configENS1_20scan_config_selectorIsEEZZNS1_9scan_implILNS1_25lookback_scan_determinismE0ELb0ELb0ES3_N6thrust23THRUST_200600_302600_NS6detail15normal_iteratorINS9_10device_ptrIsEEEESE_s11max_functorIsEsEEDaPvRmT3_T4_T5_mT6_P12ihipStream_tbENKUlT_T0_E_clISt17integral_constantIbLb1EESU_EEDaSP_SQ_EUlSP_E_NS1_11comp_targetILNS1_3genE10ELNS1_11target_archE1201ELNS1_3gpuE5ELNS1_3repE0EEENS1_30default_config_static_selectorELNS0_4arch9wavefront6targetE1EEEvT1_,@function
_ZN7rocprim17ROCPRIM_400000_NS6detail17trampoline_kernelINS0_14default_configENS1_20scan_config_selectorIsEEZZNS1_9scan_implILNS1_25lookback_scan_determinismE0ELb0ELb0ES3_N6thrust23THRUST_200600_302600_NS6detail15normal_iteratorINS9_10device_ptrIsEEEESE_s11max_functorIsEsEEDaPvRmT3_T4_T5_mT6_P12ihipStream_tbENKUlT_T0_E_clISt17integral_constantIbLb1EESU_EEDaSP_SQ_EUlSP_E_NS1_11comp_targetILNS1_3genE10ELNS1_11target_archE1201ELNS1_3gpuE5ELNS1_3repE0EEENS1_30default_config_static_selectorELNS0_4arch9wavefront6targetE1EEEvT1_: ; @_ZN7rocprim17ROCPRIM_400000_NS6detail17trampoline_kernelINS0_14default_configENS1_20scan_config_selectorIsEEZZNS1_9scan_implILNS1_25lookback_scan_determinismE0ELb0ELb0ES3_N6thrust23THRUST_200600_302600_NS6detail15normal_iteratorINS9_10device_ptrIsEEEESE_s11max_functorIsEsEEDaPvRmT3_T4_T5_mT6_P12ihipStream_tbENKUlT_T0_E_clISt17integral_constantIbLb1EESU_EEDaSP_SQ_EUlSP_E_NS1_11comp_targetILNS1_3genE10ELNS1_11target_archE1201ELNS1_3gpuE5ELNS1_3repE0EEENS1_30default_config_static_selectorELNS0_4arch9wavefront6targetE1EEEvT1_
; %bb.0:
	.section	.rodata,"a",@progbits
	.p2align	6, 0x0
	.amdhsa_kernel _ZN7rocprim17ROCPRIM_400000_NS6detail17trampoline_kernelINS0_14default_configENS1_20scan_config_selectorIsEEZZNS1_9scan_implILNS1_25lookback_scan_determinismE0ELb0ELb0ES3_N6thrust23THRUST_200600_302600_NS6detail15normal_iteratorINS9_10device_ptrIsEEEESE_s11max_functorIsEsEEDaPvRmT3_T4_T5_mT6_P12ihipStream_tbENKUlT_T0_E_clISt17integral_constantIbLb1EESU_EEDaSP_SQ_EUlSP_E_NS1_11comp_targetILNS1_3genE10ELNS1_11target_archE1201ELNS1_3gpuE5ELNS1_3repE0EEENS1_30default_config_static_selectorELNS0_4arch9wavefront6targetE1EEEvT1_
		.amdhsa_group_segment_fixed_size 0
		.amdhsa_private_segment_fixed_size 0
		.amdhsa_kernarg_size 96
		.amdhsa_user_sgpr_count 6
		.amdhsa_user_sgpr_private_segment_buffer 1
		.amdhsa_user_sgpr_dispatch_ptr 0
		.amdhsa_user_sgpr_queue_ptr 0
		.amdhsa_user_sgpr_kernarg_segment_ptr 1
		.amdhsa_user_sgpr_dispatch_id 0
		.amdhsa_user_sgpr_flat_scratch_init 0
		.amdhsa_user_sgpr_kernarg_preload_length 0
		.amdhsa_user_sgpr_kernarg_preload_offset 0
		.amdhsa_user_sgpr_private_segment_size 0
		.amdhsa_uses_dynamic_stack 0
		.amdhsa_system_sgpr_private_segment_wavefront_offset 0
		.amdhsa_system_sgpr_workgroup_id_x 1
		.amdhsa_system_sgpr_workgroup_id_y 0
		.amdhsa_system_sgpr_workgroup_id_z 0
		.amdhsa_system_sgpr_workgroup_info 0
		.amdhsa_system_vgpr_workitem_id 0
		.amdhsa_next_free_vgpr 1
		.amdhsa_next_free_sgpr 0
		.amdhsa_accum_offset 4
		.amdhsa_reserve_vcc 0
		.amdhsa_reserve_flat_scratch 0
		.amdhsa_float_round_mode_32 0
		.amdhsa_float_round_mode_16_64 0
		.amdhsa_float_denorm_mode_32 3
		.amdhsa_float_denorm_mode_16_64 3
		.amdhsa_dx10_clamp 1
		.amdhsa_ieee_mode 1
		.amdhsa_fp16_overflow 0
		.amdhsa_tg_split 0
		.amdhsa_exception_fp_ieee_invalid_op 0
		.amdhsa_exception_fp_denorm_src 0
		.amdhsa_exception_fp_ieee_div_zero 0
		.amdhsa_exception_fp_ieee_overflow 0
		.amdhsa_exception_fp_ieee_underflow 0
		.amdhsa_exception_fp_ieee_inexact 0
		.amdhsa_exception_int_div_zero 0
	.end_amdhsa_kernel
	.section	.text._ZN7rocprim17ROCPRIM_400000_NS6detail17trampoline_kernelINS0_14default_configENS1_20scan_config_selectorIsEEZZNS1_9scan_implILNS1_25lookback_scan_determinismE0ELb0ELb0ES3_N6thrust23THRUST_200600_302600_NS6detail15normal_iteratorINS9_10device_ptrIsEEEESE_s11max_functorIsEsEEDaPvRmT3_T4_T5_mT6_P12ihipStream_tbENKUlT_T0_E_clISt17integral_constantIbLb1EESU_EEDaSP_SQ_EUlSP_E_NS1_11comp_targetILNS1_3genE10ELNS1_11target_archE1201ELNS1_3gpuE5ELNS1_3repE0EEENS1_30default_config_static_selectorELNS0_4arch9wavefront6targetE1EEEvT1_,"axG",@progbits,_ZN7rocprim17ROCPRIM_400000_NS6detail17trampoline_kernelINS0_14default_configENS1_20scan_config_selectorIsEEZZNS1_9scan_implILNS1_25lookback_scan_determinismE0ELb0ELb0ES3_N6thrust23THRUST_200600_302600_NS6detail15normal_iteratorINS9_10device_ptrIsEEEESE_s11max_functorIsEsEEDaPvRmT3_T4_T5_mT6_P12ihipStream_tbENKUlT_T0_E_clISt17integral_constantIbLb1EESU_EEDaSP_SQ_EUlSP_E_NS1_11comp_targetILNS1_3genE10ELNS1_11target_archE1201ELNS1_3gpuE5ELNS1_3repE0EEENS1_30default_config_static_selectorELNS0_4arch9wavefront6targetE1EEEvT1_,comdat
.Lfunc_end2869:
	.size	_ZN7rocprim17ROCPRIM_400000_NS6detail17trampoline_kernelINS0_14default_configENS1_20scan_config_selectorIsEEZZNS1_9scan_implILNS1_25lookback_scan_determinismE0ELb0ELb0ES3_N6thrust23THRUST_200600_302600_NS6detail15normal_iteratorINS9_10device_ptrIsEEEESE_s11max_functorIsEsEEDaPvRmT3_T4_T5_mT6_P12ihipStream_tbENKUlT_T0_E_clISt17integral_constantIbLb1EESU_EEDaSP_SQ_EUlSP_E_NS1_11comp_targetILNS1_3genE10ELNS1_11target_archE1201ELNS1_3gpuE5ELNS1_3repE0EEENS1_30default_config_static_selectorELNS0_4arch9wavefront6targetE1EEEvT1_, .Lfunc_end2869-_ZN7rocprim17ROCPRIM_400000_NS6detail17trampoline_kernelINS0_14default_configENS1_20scan_config_selectorIsEEZZNS1_9scan_implILNS1_25lookback_scan_determinismE0ELb0ELb0ES3_N6thrust23THRUST_200600_302600_NS6detail15normal_iteratorINS9_10device_ptrIsEEEESE_s11max_functorIsEsEEDaPvRmT3_T4_T5_mT6_P12ihipStream_tbENKUlT_T0_E_clISt17integral_constantIbLb1EESU_EEDaSP_SQ_EUlSP_E_NS1_11comp_targetILNS1_3genE10ELNS1_11target_archE1201ELNS1_3gpuE5ELNS1_3repE0EEENS1_30default_config_static_selectorELNS0_4arch9wavefront6targetE1EEEvT1_
                                        ; -- End function
	.section	.AMDGPU.csdata,"",@progbits
; Kernel info:
; codeLenInByte = 0
; NumSgprs: 4
; NumVgprs: 0
; NumAgprs: 0
; TotalNumVgprs: 0
; ScratchSize: 0
; MemoryBound: 0
; FloatMode: 240
; IeeeMode: 1
; LDSByteSize: 0 bytes/workgroup (compile time only)
; SGPRBlocks: 0
; VGPRBlocks: 0
; NumSGPRsForWavesPerEU: 4
; NumVGPRsForWavesPerEU: 1
; AccumOffset: 4
; Occupancy: 8
; WaveLimiterHint : 0
; COMPUTE_PGM_RSRC2:SCRATCH_EN: 0
; COMPUTE_PGM_RSRC2:USER_SGPR: 6
; COMPUTE_PGM_RSRC2:TRAP_HANDLER: 0
; COMPUTE_PGM_RSRC2:TGID_X_EN: 1
; COMPUTE_PGM_RSRC2:TGID_Y_EN: 0
; COMPUTE_PGM_RSRC2:TGID_Z_EN: 0
; COMPUTE_PGM_RSRC2:TIDIG_COMP_CNT: 0
; COMPUTE_PGM_RSRC3_GFX90A:ACCUM_OFFSET: 0
; COMPUTE_PGM_RSRC3_GFX90A:TG_SPLIT: 0
	.section	.text._ZN7rocprim17ROCPRIM_400000_NS6detail17trampoline_kernelINS0_14default_configENS1_20scan_config_selectorIsEEZZNS1_9scan_implILNS1_25lookback_scan_determinismE0ELb0ELb0ES3_N6thrust23THRUST_200600_302600_NS6detail15normal_iteratorINS9_10device_ptrIsEEEESE_s11max_functorIsEsEEDaPvRmT3_T4_T5_mT6_P12ihipStream_tbENKUlT_T0_E_clISt17integral_constantIbLb1EESU_EEDaSP_SQ_EUlSP_E_NS1_11comp_targetILNS1_3genE10ELNS1_11target_archE1200ELNS1_3gpuE4ELNS1_3repE0EEENS1_30default_config_static_selectorELNS0_4arch9wavefront6targetE1EEEvT1_,"axG",@progbits,_ZN7rocprim17ROCPRIM_400000_NS6detail17trampoline_kernelINS0_14default_configENS1_20scan_config_selectorIsEEZZNS1_9scan_implILNS1_25lookback_scan_determinismE0ELb0ELb0ES3_N6thrust23THRUST_200600_302600_NS6detail15normal_iteratorINS9_10device_ptrIsEEEESE_s11max_functorIsEsEEDaPvRmT3_T4_T5_mT6_P12ihipStream_tbENKUlT_T0_E_clISt17integral_constantIbLb1EESU_EEDaSP_SQ_EUlSP_E_NS1_11comp_targetILNS1_3genE10ELNS1_11target_archE1200ELNS1_3gpuE4ELNS1_3repE0EEENS1_30default_config_static_selectorELNS0_4arch9wavefront6targetE1EEEvT1_,comdat
	.protected	_ZN7rocprim17ROCPRIM_400000_NS6detail17trampoline_kernelINS0_14default_configENS1_20scan_config_selectorIsEEZZNS1_9scan_implILNS1_25lookback_scan_determinismE0ELb0ELb0ES3_N6thrust23THRUST_200600_302600_NS6detail15normal_iteratorINS9_10device_ptrIsEEEESE_s11max_functorIsEsEEDaPvRmT3_T4_T5_mT6_P12ihipStream_tbENKUlT_T0_E_clISt17integral_constantIbLb1EESU_EEDaSP_SQ_EUlSP_E_NS1_11comp_targetILNS1_3genE10ELNS1_11target_archE1200ELNS1_3gpuE4ELNS1_3repE0EEENS1_30default_config_static_selectorELNS0_4arch9wavefront6targetE1EEEvT1_ ; -- Begin function _ZN7rocprim17ROCPRIM_400000_NS6detail17trampoline_kernelINS0_14default_configENS1_20scan_config_selectorIsEEZZNS1_9scan_implILNS1_25lookback_scan_determinismE0ELb0ELb0ES3_N6thrust23THRUST_200600_302600_NS6detail15normal_iteratorINS9_10device_ptrIsEEEESE_s11max_functorIsEsEEDaPvRmT3_T4_T5_mT6_P12ihipStream_tbENKUlT_T0_E_clISt17integral_constantIbLb1EESU_EEDaSP_SQ_EUlSP_E_NS1_11comp_targetILNS1_3genE10ELNS1_11target_archE1200ELNS1_3gpuE4ELNS1_3repE0EEENS1_30default_config_static_selectorELNS0_4arch9wavefront6targetE1EEEvT1_
	.globl	_ZN7rocprim17ROCPRIM_400000_NS6detail17trampoline_kernelINS0_14default_configENS1_20scan_config_selectorIsEEZZNS1_9scan_implILNS1_25lookback_scan_determinismE0ELb0ELb0ES3_N6thrust23THRUST_200600_302600_NS6detail15normal_iteratorINS9_10device_ptrIsEEEESE_s11max_functorIsEsEEDaPvRmT3_T4_T5_mT6_P12ihipStream_tbENKUlT_T0_E_clISt17integral_constantIbLb1EESU_EEDaSP_SQ_EUlSP_E_NS1_11comp_targetILNS1_3genE10ELNS1_11target_archE1200ELNS1_3gpuE4ELNS1_3repE0EEENS1_30default_config_static_selectorELNS0_4arch9wavefront6targetE1EEEvT1_
	.p2align	8
	.type	_ZN7rocprim17ROCPRIM_400000_NS6detail17trampoline_kernelINS0_14default_configENS1_20scan_config_selectorIsEEZZNS1_9scan_implILNS1_25lookback_scan_determinismE0ELb0ELb0ES3_N6thrust23THRUST_200600_302600_NS6detail15normal_iteratorINS9_10device_ptrIsEEEESE_s11max_functorIsEsEEDaPvRmT3_T4_T5_mT6_P12ihipStream_tbENKUlT_T0_E_clISt17integral_constantIbLb1EESU_EEDaSP_SQ_EUlSP_E_NS1_11comp_targetILNS1_3genE10ELNS1_11target_archE1200ELNS1_3gpuE4ELNS1_3repE0EEENS1_30default_config_static_selectorELNS0_4arch9wavefront6targetE1EEEvT1_,@function
_ZN7rocprim17ROCPRIM_400000_NS6detail17trampoline_kernelINS0_14default_configENS1_20scan_config_selectorIsEEZZNS1_9scan_implILNS1_25lookback_scan_determinismE0ELb0ELb0ES3_N6thrust23THRUST_200600_302600_NS6detail15normal_iteratorINS9_10device_ptrIsEEEESE_s11max_functorIsEsEEDaPvRmT3_T4_T5_mT6_P12ihipStream_tbENKUlT_T0_E_clISt17integral_constantIbLb1EESU_EEDaSP_SQ_EUlSP_E_NS1_11comp_targetILNS1_3genE10ELNS1_11target_archE1200ELNS1_3gpuE4ELNS1_3repE0EEENS1_30default_config_static_selectorELNS0_4arch9wavefront6targetE1EEEvT1_: ; @_ZN7rocprim17ROCPRIM_400000_NS6detail17trampoline_kernelINS0_14default_configENS1_20scan_config_selectorIsEEZZNS1_9scan_implILNS1_25lookback_scan_determinismE0ELb0ELb0ES3_N6thrust23THRUST_200600_302600_NS6detail15normal_iteratorINS9_10device_ptrIsEEEESE_s11max_functorIsEsEEDaPvRmT3_T4_T5_mT6_P12ihipStream_tbENKUlT_T0_E_clISt17integral_constantIbLb1EESU_EEDaSP_SQ_EUlSP_E_NS1_11comp_targetILNS1_3genE10ELNS1_11target_archE1200ELNS1_3gpuE4ELNS1_3repE0EEENS1_30default_config_static_selectorELNS0_4arch9wavefront6targetE1EEEvT1_
; %bb.0:
	.section	.rodata,"a",@progbits
	.p2align	6, 0x0
	.amdhsa_kernel _ZN7rocprim17ROCPRIM_400000_NS6detail17trampoline_kernelINS0_14default_configENS1_20scan_config_selectorIsEEZZNS1_9scan_implILNS1_25lookback_scan_determinismE0ELb0ELb0ES3_N6thrust23THRUST_200600_302600_NS6detail15normal_iteratorINS9_10device_ptrIsEEEESE_s11max_functorIsEsEEDaPvRmT3_T4_T5_mT6_P12ihipStream_tbENKUlT_T0_E_clISt17integral_constantIbLb1EESU_EEDaSP_SQ_EUlSP_E_NS1_11comp_targetILNS1_3genE10ELNS1_11target_archE1200ELNS1_3gpuE4ELNS1_3repE0EEENS1_30default_config_static_selectorELNS0_4arch9wavefront6targetE1EEEvT1_
		.amdhsa_group_segment_fixed_size 0
		.amdhsa_private_segment_fixed_size 0
		.amdhsa_kernarg_size 96
		.amdhsa_user_sgpr_count 6
		.amdhsa_user_sgpr_private_segment_buffer 1
		.amdhsa_user_sgpr_dispatch_ptr 0
		.amdhsa_user_sgpr_queue_ptr 0
		.amdhsa_user_sgpr_kernarg_segment_ptr 1
		.amdhsa_user_sgpr_dispatch_id 0
		.amdhsa_user_sgpr_flat_scratch_init 0
		.amdhsa_user_sgpr_kernarg_preload_length 0
		.amdhsa_user_sgpr_kernarg_preload_offset 0
		.amdhsa_user_sgpr_private_segment_size 0
		.amdhsa_uses_dynamic_stack 0
		.amdhsa_system_sgpr_private_segment_wavefront_offset 0
		.amdhsa_system_sgpr_workgroup_id_x 1
		.amdhsa_system_sgpr_workgroup_id_y 0
		.amdhsa_system_sgpr_workgroup_id_z 0
		.amdhsa_system_sgpr_workgroup_info 0
		.amdhsa_system_vgpr_workitem_id 0
		.amdhsa_next_free_vgpr 1
		.amdhsa_next_free_sgpr 0
		.amdhsa_accum_offset 4
		.amdhsa_reserve_vcc 0
		.amdhsa_reserve_flat_scratch 0
		.amdhsa_float_round_mode_32 0
		.amdhsa_float_round_mode_16_64 0
		.amdhsa_float_denorm_mode_32 3
		.amdhsa_float_denorm_mode_16_64 3
		.amdhsa_dx10_clamp 1
		.amdhsa_ieee_mode 1
		.amdhsa_fp16_overflow 0
		.amdhsa_tg_split 0
		.amdhsa_exception_fp_ieee_invalid_op 0
		.amdhsa_exception_fp_denorm_src 0
		.amdhsa_exception_fp_ieee_div_zero 0
		.amdhsa_exception_fp_ieee_overflow 0
		.amdhsa_exception_fp_ieee_underflow 0
		.amdhsa_exception_fp_ieee_inexact 0
		.amdhsa_exception_int_div_zero 0
	.end_amdhsa_kernel
	.section	.text._ZN7rocprim17ROCPRIM_400000_NS6detail17trampoline_kernelINS0_14default_configENS1_20scan_config_selectorIsEEZZNS1_9scan_implILNS1_25lookback_scan_determinismE0ELb0ELb0ES3_N6thrust23THRUST_200600_302600_NS6detail15normal_iteratorINS9_10device_ptrIsEEEESE_s11max_functorIsEsEEDaPvRmT3_T4_T5_mT6_P12ihipStream_tbENKUlT_T0_E_clISt17integral_constantIbLb1EESU_EEDaSP_SQ_EUlSP_E_NS1_11comp_targetILNS1_3genE10ELNS1_11target_archE1200ELNS1_3gpuE4ELNS1_3repE0EEENS1_30default_config_static_selectorELNS0_4arch9wavefront6targetE1EEEvT1_,"axG",@progbits,_ZN7rocprim17ROCPRIM_400000_NS6detail17trampoline_kernelINS0_14default_configENS1_20scan_config_selectorIsEEZZNS1_9scan_implILNS1_25lookback_scan_determinismE0ELb0ELb0ES3_N6thrust23THRUST_200600_302600_NS6detail15normal_iteratorINS9_10device_ptrIsEEEESE_s11max_functorIsEsEEDaPvRmT3_T4_T5_mT6_P12ihipStream_tbENKUlT_T0_E_clISt17integral_constantIbLb1EESU_EEDaSP_SQ_EUlSP_E_NS1_11comp_targetILNS1_3genE10ELNS1_11target_archE1200ELNS1_3gpuE4ELNS1_3repE0EEENS1_30default_config_static_selectorELNS0_4arch9wavefront6targetE1EEEvT1_,comdat
.Lfunc_end2870:
	.size	_ZN7rocprim17ROCPRIM_400000_NS6detail17trampoline_kernelINS0_14default_configENS1_20scan_config_selectorIsEEZZNS1_9scan_implILNS1_25lookback_scan_determinismE0ELb0ELb0ES3_N6thrust23THRUST_200600_302600_NS6detail15normal_iteratorINS9_10device_ptrIsEEEESE_s11max_functorIsEsEEDaPvRmT3_T4_T5_mT6_P12ihipStream_tbENKUlT_T0_E_clISt17integral_constantIbLb1EESU_EEDaSP_SQ_EUlSP_E_NS1_11comp_targetILNS1_3genE10ELNS1_11target_archE1200ELNS1_3gpuE4ELNS1_3repE0EEENS1_30default_config_static_selectorELNS0_4arch9wavefront6targetE1EEEvT1_, .Lfunc_end2870-_ZN7rocprim17ROCPRIM_400000_NS6detail17trampoline_kernelINS0_14default_configENS1_20scan_config_selectorIsEEZZNS1_9scan_implILNS1_25lookback_scan_determinismE0ELb0ELb0ES3_N6thrust23THRUST_200600_302600_NS6detail15normal_iteratorINS9_10device_ptrIsEEEESE_s11max_functorIsEsEEDaPvRmT3_T4_T5_mT6_P12ihipStream_tbENKUlT_T0_E_clISt17integral_constantIbLb1EESU_EEDaSP_SQ_EUlSP_E_NS1_11comp_targetILNS1_3genE10ELNS1_11target_archE1200ELNS1_3gpuE4ELNS1_3repE0EEENS1_30default_config_static_selectorELNS0_4arch9wavefront6targetE1EEEvT1_
                                        ; -- End function
	.section	.AMDGPU.csdata,"",@progbits
; Kernel info:
; codeLenInByte = 0
; NumSgprs: 4
; NumVgprs: 0
; NumAgprs: 0
; TotalNumVgprs: 0
; ScratchSize: 0
; MemoryBound: 0
; FloatMode: 240
; IeeeMode: 1
; LDSByteSize: 0 bytes/workgroup (compile time only)
; SGPRBlocks: 0
; VGPRBlocks: 0
; NumSGPRsForWavesPerEU: 4
; NumVGPRsForWavesPerEU: 1
; AccumOffset: 4
; Occupancy: 8
; WaveLimiterHint : 0
; COMPUTE_PGM_RSRC2:SCRATCH_EN: 0
; COMPUTE_PGM_RSRC2:USER_SGPR: 6
; COMPUTE_PGM_RSRC2:TRAP_HANDLER: 0
; COMPUTE_PGM_RSRC2:TGID_X_EN: 1
; COMPUTE_PGM_RSRC2:TGID_Y_EN: 0
; COMPUTE_PGM_RSRC2:TGID_Z_EN: 0
; COMPUTE_PGM_RSRC2:TIDIG_COMP_CNT: 0
; COMPUTE_PGM_RSRC3_GFX90A:ACCUM_OFFSET: 0
; COMPUTE_PGM_RSRC3_GFX90A:TG_SPLIT: 0
	.section	.text._ZN7rocprim17ROCPRIM_400000_NS6detail17trampoline_kernelINS0_14default_configENS1_20scan_config_selectorIsEEZZNS1_9scan_implILNS1_25lookback_scan_determinismE0ELb0ELb0ES3_N6thrust23THRUST_200600_302600_NS6detail15normal_iteratorINS9_10device_ptrIsEEEESE_s11max_functorIsEsEEDaPvRmT3_T4_T5_mT6_P12ihipStream_tbENKUlT_T0_E_clISt17integral_constantIbLb1EESU_EEDaSP_SQ_EUlSP_E_NS1_11comp_targetILNS1_3genE9ELNS1_11target_archE1100ELNS1_3gpuE3ELNS1_3repE0EEENS1_30default_config_static_selectorELNS0_4arch9wavefront6targetE1EEEvT1_,"axG",@progbits,_ZN7rocprim17ROCPRIM_400000_NS6detail17trampoline_kernelINS0_14default_configENS1_20scan_config_selectorIsEEZZNS1_9scan_implILNS1_25lookback_scan_determinismE0ELb0ELb0ES3_N6thrust23THRUST_200600_302600_NS6detail15normal_iteratorINS9_10device_ptrIsEEEESE_s11max_functorIsEsEEDaPvRmT3_T4_T5_mT6_P12ihipStream_tbENKUlT_T0_E_clISt17integral_constantIbLb1EESU_EEDaSP_SQ_EUlSP_E_NS1_11comp_targetILNS1_3genE9ELNS1_11target_archE1100ELNS1_3gpuE3ELNS1_3repE0EEENS1_30default_config_static_selectorELNS0_4arch9wavefront6targetE1EEEvT1_,comdat
	.protected	_ZN7rocprim17ROCPRIM_400000_NS6detail17trampoline_kernelINS0_14default_configENS1_20scan_config_selectorIsEEZZNS1_9scan_implILNS1_25lookback_scan_determinismE0ELb0ELb0ES3_N6thrust23THRUST_200600_302600_NS6detail15normal_iteratorINS9_10device_ptrIsEEEESE_s11max_functorIsEsEEDaPvRmT3_T4_T5_mT6_P12ihipStream_tbENKUlT_T0_E_clISt17integral_constantIbLb1EESU_EEDaSP_SQ_EUlSP_E_NS1_11comp_targetILNS1_3genE9ELNS1_11target_archE1100ELNS1_3gpuE3ELNS1_3repE0EEENS1_30default_config_static_selectorELNS0_4arch9wavefront6targetE1EEEvT1_ ; -- Begin function _ZN7rocprim17ROCPRIM_400000_NS6detail17trampoline_kernelINS0_14default_configENS1_20scan_config_selectorIsEEZZNS1_9scan_implILNS1_25lookback_scan_determinismE0ELb0ELb0ES3_N6thrust23THRUST_200600_302600_NS6detail15normal_iteratorINS9_10device_ptrIsEEEESE_s11max_functorIsEsEEDaPvRmT3_T4_T5_mT6_P12ihipStream_tbENKUlT_T0_E_clISt17integral_constantIbLb1EESU_EEDaSP_SQ_EUlSP_E_NS1_11comp_targetILNS1_3genE9ELNS1_11target_archE1100ELNS1_3gpuE3ELNS1_3repE0EEENS1_30default_config_static_selectorELNS0_4arch9wavefront6targetE1EEEvT1_
	.globl	_ZN7rocprim17ROCPRIM_400000_NS6detail17trampoline_kernelINS0_14default_configENS1_20scan_config_selectorIsEEZZNS1_9scan_implILNS1_25lookback_scan_determinismE0ELb0ELb0ES3_N6thrust23THRUST_200600_302600_NS6detail15normal_iteratorINS9_10device_ptrIsEEEESE_s11max_functorIsEsEEDaPvRmT3_T4_T5_mT6_P12ihipStream_tbENKUlT_T0_E_clISt17integral_constantIbLb1EESU_EEDaSP_SQ_EUlSP_E_NS1_11comp_targetILNS1_3genE9ELNS1_11target_archE1100ELNS1_3gpuE3ELNS1_3repE0EEENS1_30default_config_static_selectorELNS0_4arch9wavefront6targetE1EEEvT1_
	.p2align	8
	.type	_ZN7rocprim17ROCPRIM_400000_NS6detail17trampoline_kernelINS0_14default_configENS1_20scan_config_selectorIsEEZZNS1_9scan_implILNS1_25lookback_scan_determinismE0ELb0ELb0ES3_N6thrust23THRUST_200600_302600_NS6detail15normal_iteratorINS9_10device_ptrIsEEEESE_s11max_functorIsEsEEDaPvRmT3_T4_T5_mT6_P12ihipStream_tbENKUlT_T0_E_clISt17integral_constantIbLb1EESU_EEDaSP_SQ_EUlSP_E_NS1_11comp_targetILNS1_3genE9ELNS1_11target_archE1100ELNS1_3gpuE3ELNS1_3repE0EEENS1_30default_config_static_selectorELNS0_4arch9wavefront6targetE1EEEvT1_,@function
_ZN7rocprim17ROCPRIM_400000_NS6detail17trampoline_kernelINS0_14default_configENS1_20scan_config_selectorIsEEZZNS1_9scan_implILNS1_25lookback_scan_determinismE0ELb0ELb0ES3_N6thrust23THRUST_200600_302600_NS6detail15normal_iteratorINS9_10device_ptrIsEEEESE_s11max_functorIsEsEEDaPvRmT3_T4_T5_mT6_P12ihipStream_tbENKUlT_T0_E_clISt17integral_constantIbLb1EESU_EEDaSP_SQ_EUlSP_E_NS1_11comp_targetILNS1_3genE9ELNS1_11target_archE1100ELNS1_3gpuE3ELNS1_3repE0EEENS1_30default_config_static_selectorELNS0_4arch9wavefront6targetE1EEEvT1_: ; @_ZN7rocprim17ROCPRIM_400000_NS6detail17trampoline_kernelINS0_14default_configENS1_20scan_config_selectorIsEEZZNS1_9scan_implILNS1_25lookback_scan_determinismE0ELb0ELb0ES3_N6thrust23THRUST_200600_302600_NS6detail15normal_iteratorINS9_10device_ptrIsEEEESE_s11max_functorIsEsEEDaPvRmT3_T4_T5_mT6_P12ihipStream_tbENKUlT_T0_E_clISt17integral_constantIbLb1EESU_EEDaSP_SQ_EUlSP_E_NS1_11comp_targetILNS1_3genE9ELNS1_11target_archE1100ELNS1_3gpuE3ELNS1_3repE0EEENS1_30default_config_static_selectorELNS0_4arch9wavefront6targetE1EEEvT1_
; %bb.0:
	.section	.rodata,"a",@progbits
	.p2align	6, 0x0
	.amdhsa_kernel _ZN7rocprim17ROCPRIM_400000_NS6detail17trampoline_kernelINS0_14default_configENS1_20scan_config_selectorIsEEZZNS1_9scan_implILNS1_25lookback_scan_determinismE0ELb0ELb0ES3_N6thrust23THRUST_200600_302600_NS6detail15normal_iteratorINS9_10device_ptrIsEEEESE_s11max_functorIsEsEEDaPvRmT3_T4_T5_mT6_P12ihipStream_tbENKUlT_T0_E_clISt17integral_constantIbLb1EESU_EEDaSP_SQ_EUlSP_E_NS1_11comp_targetILNS1_3genE9ELNS1_11target_archE1100ELNS1_3gpuE3ELNS1_3repE0EEENS1_30default_config_static_selectorELNS0_4arch9wavefront6targetE1EEEvT1_
		.amdhsa_group_segment_fixed_size 0
		.amdhsa_private_segment_fixed_size 0
		.amdhsa_kernarg_size 96
		.amdhsa_user_sgpr_count 6
		.amdhsa_user_sgpr_private_segment_buffer 1
		.amdhsa_user_sgpr_dispatch_ptr 0
		.amdhsa_user_sgpr_queue_ptr 0
		.amdhsa_user_sgpr_kernarg_segment_ptr 1
		.amdhsa_user_sgpr_dispatch_id 0
		.amdhsa_user_sgpr_flat_scratch_init 0
		.amdhsa_user_sgpr_kernarg_preload_length 0
		.amdhsa_user_sgpr_kernarg_preload_offset 0
		.amdhsa_user_sgpr_private_segment_size 0
		.amdhsa_uses_dynamic_stack 0
		.amdhsa_system_sgpr_private_segment_wavefront_offset 0
		.amdhsa_system_sgpr_workgroup_id_x 1
		.amdhsa_system_sgpr_workgroup_id_y 0
		.amdhsa_system_sgpr_workgroup_id_z 0
		.amdhsa_system_sgpr_workgroup_info 0
		.amdhsa_system_vgpr_workitem_id 0
		.amdhsa_next_free_vgpr 1
		.amdhsa_next_free_sgpr 0
		.amdhsa_accum_offset 4
		.amdhsa_reserve_vcc 0
		.amdhsa_reserve_flat_scratch 0
		.amdhsa_float_round_mode_32 0
		.amdhsa_float_round_mode_16_64 0
		.amdhsa_float_denorm_mode_32 3
		.amdhsa_float_denorm_mode_16_64 3
		.amdhsa_dx10_clamp 1
		.amdhsa_ieee_mode 1
		.amdhsa_fp16_overflow 0
		.amdhsa_tg_split 0
		.amdhsa_exception_fp_ieee_invalid_op 0
		.amdhsa_exception_fp_denorm_src 0
		.amdhsa_exception_fp_ieee_div_zero 0
		.amdhsa_exception_fp_ieee_overflow 0
		.amdhsa_exception_fp_ieee_underflow 0
		.amdhsa_exception_fp_ieee_inexact 0
		.amdhsa_exception_int_div_zero 0
	.end_amdhsa_kernel
	.section	.text._ZN7rocprim17ROCPRIM_400000_NS6detail17trampoline_kernelINS0_14default_configENS1_20scan_config_selectorIsEEZZNS1_9scan_implILNS1_25lookback_scan_determinismE0ELb0ELb0ES3_N6thrust23THRUST_200600_302600_NS6detail15normal_iteratorINS9_10device_ptrIsEEEESE_s11max_functorIsEsEEDaPvRmT3_T4_T5_mT6_P12ihipStream_tbENKUlT_T0_E_clISt17integral_constantIbLb1EESU_EEDaSP_SQ_EUlSP_E_NS1_11comp_targetILNS1_3genE9ELNS1_11target_archE1100ELNS1_3gpuE3ELNS1_3repE0EEENS1_30default_config_static_selectorELNS0_4arch9wavefront6targetE1EEEvT1_,"axG",@progbits,_ZN7rocprim17ROCPRIM_400000_NS6detail17trampoline_kernelINS0_14default_configENS1_20scan_config_selectorIsEEZZNS1_9scan_implILNS1_25lookback_scan_determinismE0ELb0ELb0ES3_N6thrust23THRUST_200600_302600_NS6detail15normal_iteratorINS9_10device_ptrIsEEEESE_s11max_functorIsEsEEDaPvRmT3_T4_T5_mT6_P12ihipStream_tbENKUlT_T0_E_clISt17integral_constantIbLb1EESU_EEDaSP_SQ_EUlSP_E_NS1_11comp_targetILNS1_3genE9ELNS1_11target_archE1100ELNS1_3gpuE3ELNS1_3repE0EEENS1_30default_config_static_selectorELNS0_4arch9wavefront6targetE1EEEvT1_,comdat
.Lfunc_end2871:
	.size	_ZN7rocprim17ROCPRIM_400000_NS6detail17trampoline_kernelINS0_14default_configENS1_20scan_config_selectorIsEEZZNS1_9scan_implILNS1_25lookback_scan_determinismE0ELb0ELb0ES3_N6thrust23THRUST_200600_302600_NS6detail15normal_iteratorINS9_10device_ptrIsEEEESE_s11max_functorIsEsEEDaPvRmT3_T4_T5_mT6_P12ihipStream_tbENKUlT_T0_E_clISt17integral_constantIbLb1EESU_EEDaSP_SQ_EUlSP_E_NS1_11comp_targetILNS1_3genE9ELNS1_11target_archE1100ELNS1_3gpuE3ELNS1_3repE0EEENS1_30default_config_static_selectorELNS0_4arch9wavefront6targetE1EEEvT1_, .Lfunc_end2871-_ZN7rocprim17ROCPRIM_400000_NS6detail17trampoline_kernelINS0_14default_configENS1_20scan_config_selectorIsEEZZNS1_9scan_implILNS1_25lookback_scan_determinismE0ELb0ELb0ES3_N6thrust23THRUST_200600_302600_NS6detail15normal_iteratorINS9_10device_ptrIsEEEESE_s11max_functorIsEsEEDaPvRmT3_T4_T5_mT6_P12ihipStream_tbENKUlT_T0_E_clISt17integral_constantIbLb1EESU_EEDaSP_SQ_EUlSP_E_NS1_11comp_targetILNS1_3genE9ELNS1_11target_archE1100ELNS1_3gpuE3ELNS1_3repE0EEENS1_30default_config_static_selectorELNS0_4arch9wavefront6targetE1EEEvT1_
                                        ; -- End function
	.section	.AMDGPU.csdata,"",@progbits
; Kernel info:
; codeLenInByte = 0
; NumSgprs: 4
; NumVgprs: 0
; NumAgprs: 0
; TotalNumVgprs: 0
; ScratchSize: 0
; MemoryBound: 0
; FloatMode: 240
; IeeeMode: 1
; LDSByteSize: 0 bytes/workgroup (compile time only)
; SGPRBlocks: 0
; VGPRBlocks: 0
; NumSGPRsForWavesPerEU: 4
; NumVGPRsForWavesPerEU: 1
; AccumOffset: 4
; Occupancy: 8
; WaveLimiterHint : 0
; COMPUTE_PGM_RSRC2:SCRATCH_EN: 0
; COMPUTE_PGM_RSRC2:USER_SGPR: 6
; COMPUTE_PGM_RSRC2:TRAP_HANDLER: 0
; COMPUTE_PGM_RSRC2:TGID_X_EN: 1
; COMPUTE_PGM_RSRC2:TGID_Y_EN: 0
; COMPUTE_PGM_RSRC2:TGID_Z_EN: 0
; COMPUTE_PGM_RSRC2:TIDIG_COMP_CNT: 0
; COMPUTE_PGM_RSRC3_GFX90A:ACCUM_OFFSET: 0
; COMPUTE_PGM_RSRC3_GFX90A:TG_SPLIT: 0
	.section	.text._ZN7rocprim17ROCPRIM_400000_NS6detail17trampoline_kernelINS0_14default_configENS1_20scan_config_selectorIsEEZZNS1_9scan_implILNS1_25lookback_scan_determinismE0ELb0ELb0ES3_N6thrust23THRUST_200600_302600_NS6detail15normal_iteratorINS9_10device_ptrIsEEEESE_s11max_functorIsEsEEDaPvRmT3_T4_T5_mT6_P12ihipStream_tbENKUlT_T0_E_clISt17integral_constantIbLb1EESU_EEDaSP_SQ_EUlSP_E_NS1_11comp_targetILNS1_3genE8ELNS1_11target_archE1030ELNS1_3gpuE2ELNS1_3repE0EEENS1_30default_config_static_selectorELNS0_4arch9wavefront6targetE1EEEvT1_,"axG",@progbits,_ZN7rocprim17ROCPRIM_400000_NS6detail17trampoline_kernelINS0_14default_configENS1_20scan_config_selectorIsEEZZNS1_9scan_implILNS1_25lookback_scan_determinismE0ELb0ELb0ES3_N6thrust23THRUST_200600_302600_NS6detail15normal_iteratorINS9_10device_ptrIsEEEESE_s11max_functorIsEsEEDaPvRmT3_T4_T5_mT6_P12ihipStream_tbENKUlT_T0_E_clISt17integral_constantIbLb1EESU_EEDaSP_SQ_EUlSP_E_NS1_11comp_targetILNS1_3genE8ELNS1_11target_archE1030ELNS1_3gpuE2ELNS1_3repE0EEENS1_30default_config_static_selectorELNS0_4arch9wavefront6targetE1EEEvT1_,comdat
	.protected	_ZN7rocprim17ROCPRIM_400000_NS6detail17trampoline_kernelINS0_14default_configENS1_20scan_config_selectorIsEEZZNS1_9scan_implILNS1_25lookback_scan_determinismE0ELb0ELb0ES3_N6thrust23THRUST_200600_302600_NS6detail15normal_iteratorINS9_10device_ptrIsEEEESE_s11max_functorIsEsEEDaPvRmT3_T4_T5_mT6_P12ihipStream_tbENKUlT_T0_E_clISt17integral_constantIbLb1EESU_EEDaSP_SQ_EUlSP_E_NS1_11comp_targetILNS1_3genE8ELNS1_11target_archE1030ELNS1_3gpuE2ELNS1_3repE0EEENS1_30default_config_static_selectorELNS0_4arch9wavefront6targetE1EEEvT1_ ; -- Begin function _ZN7rocprim17ROCPRIM_400000_NS6detail17trampoline_kernelINS0_14default_configENS1_20scan_config_selectorIsEEZZNS1_9scan_implILNS1_25lookback_scan_determinismE0ELb0ELb0ES3_N6thrust23THRUST_200600_302600_NS6detail15normal_iteratorINS9_10device_ptrIsEEEESE_s11max_functorIsEsEEDaPvRmT3_T4_T5_mT6_P12ihipStream_tbENKUlT_T0_E_clISt17integral_constantIbLb1EESU_EEDaSP_SQ_EUlSP_E_NS1_11comp_targetILNS1_3genE8ELNS1_11target_archE1030ELNS1_3gpuE2ELNS1_3repE0EEENS1_30default_config_static_selectorELNS0_4arch9wavefront6targetE1EEEvT1_
	.globl	_ZN7rocprim17ROCPRIM_400000_NS6detail17trampoline_kernelINS0_14default_configENS1_20scan_config_selectorIsEEZZNS1_9scan_implILNS1_25lookback_scan_determinismE0ELb0ELb0ES3_N6thrust23THRUST_200600_302600_NS6detail15normal_iteratorINS9_10device_ptrIsEEEESE_s11max_functorIsEsEEDaPvRmT3_T4_T5_mT6_P12ihipStream_tbENKUlT_T0_E_clISt17integral_constantIbLb1EESU_EEDaSP_SQ_EUlSP_E_NS1_11comp_targetILNS1_3genE8ELNS1_11target_archE1030ELNS1_3gpuE2ELNS1_3repE0EEENS1_30default_config_static_selectorELNS0_4arch9wavefront6targetE1EEEvT1_
	.p2align	8
	.type	_ZN7rocprim17ROCPRIM_400000_NS6detail17trampoline_kernelINS0_14default_configENS1_20scan_config_selectorIsEEZZNS1_9scan_implILNS1_25lookback_scan_determinismE0ELb0ELb0ES3_N6thrust23THRUST_200600_302600_NS6detail15normal_iteratorINS9_10device_ptrIsEEEESE_s11max_functorIsEsEEDaPvRmT3_T4_T5_mT6_P12ihipStream_tbENKUlT_T0_E_clISt17integral_constantIbLb1EESU_EEDaSP_SQ_EUlSP_E_NS1_11comp_targetILNS1_3genE8ELNS1_11target_archE1030ELNS1_3gpuE2ELNS1_3repE0EEENS1_30default_config_static_selectorELNS0_4arch9wavefront6targetE1EEEvT1_,@function
_ZN7rocprim17ROCPRIM_400000_NS6detail17trampoline_kernelINS0_14default_configENS1_20scan_config_selectorIsEEZZNS1_9scan_implILNS1_25lookback_scan_determinismE0ELb0ELb0ES3_N6thrust23THRUST_200600_302600_NS6detail15normal_iteratorINS9_10device_ptrIsEEEESE_s11max_functorIsEsEEDaPvRmT3_T4_T5_mT6_P12ihipStream_tbENKUlT_T0_E_clISt17integral_constantIbLb1EESU_EEDaSP_SQ_EUlSP_E_NS1_11comp_targetILNS1_3genE8ELNS1_11target_archE1030ELNS1_3gpuE2ELNS1_3repE0EEENS1_30default_config_static_selectorELNS0_4arch9wavefront6targetE1EEEvT1_: ; @_ZN7rocprim17ROCPRIM_400000_NS6detail17trampoline_kernelINS0_14default_configENS1_20scan_config_selectorIsEEZZNS1_9scan_implILNS1_25lookback_scan_determinismE0ELb0ELb0ES3_N6thrust23THRUST_200600_302600_NS6detail15normal_iteratorINS9_10device_ptrIsEEEESE_s11max_functorIsEsEEDaPvRmT3_T4_T5_mT6_P12ihipStream_tbENKUlT_T0_E_clISt17integral_constantIbLb1EESU_EEDaSP_SQ_EUlSP_E_NS1_11comp_targetILNS1_3genE8ELNS1_11target_archE1030ELNS1_3gpuE2ELNS1_3repE0EEENS1_30default_config_static_selectorELNS0_4arch9wavefront6targetE1EEEvT1_
; %bb.0:
	.section	.rodata,"a",@progbits
	.p2align	6, 0x0
	.amdhsa_kernel _ZN7rocprim17ROCPRIM_400000_NS6detail17trampoline_kernelINS0_14default_configENS1_20scan_config_selectorIsEEZZNS1_9scan_implILNS1_25lookback_scan_determinismE0ELb0ELb0ES3_N6thrust23THRUST_200600_302600_NS6detail15normal_iteratorINS9_10device_ptrIsEEEESE_s11max_functorIsEsEEDaPvRmT3_T4_T5_mT6_P12ihipStream_tbENKUlT_T0_E_clISt17integral_constantIbLb1EESU_EEDaSP_SQ_EUlSP_E_NS1_11comp_targetILNS1_3genE8ELNS1_11target_archE1030ELNS1_3gpuE2ELNS1_3repE0EEENS1_30default_config_static_selectorELNS0_4arch9wavefront6targetE1EEEvT1_
		.amdhsa_group_segment_fixed_size 0
		.amdhsa_private_segment_fixed_size 0
		.amdhsa_kernarg_size 96
		.amdhsa_user_sgpr_count 6
		.amdhsa_user_sgpr_private_segment_buffer 1
		.amdhsa_user_sgpr_dispatch_ptr 0
		.amdhsa_user_sgpr_queue_ptr 0
		.amdhsa_user_sgpr_kernarg_segment_ptr 1
		.amdhsa_user_sgpr_dispatch_id 0
		.amdhsa_user_sgpr_flat_scratch_init 0
		.amdhsa_user_sgpr_kernarg_preload_length 0
		.amdhsa_user_sgpr_kernarg_preload_offset 0
		.amdhsa_user_sgpr_private_segment_size 0
		.amdhsa_uses_dynamic_stack 0
		.amdhsa_system_sgpr_private_segment_wavefront_offset 0
		.amdhsa_system_sgpr_workgroup_id_x 1
		.amdhsa_system_sgpr_workgroup_id_y 0
		.amdhsa_system_sgpr_workgroup_id_z 0
		.amdhsa_system_sgpr_workgroup_info 0
		.amdhsa_system_vgpr_workitem_id 0
		.amdhsa_next_free_vgpr 1
		.amdhsa_next_free_sgpr 0
		.amdhsa_accum_offset 4
		.amdhsa_reserve_vcc 0
		.amdhsa_reserve_flat_scratch 0
		.amdhsa_float_round_mode_32 0
		.amdhsa_float_round_mode_16_64 0
		.amdhsa_float_denorm_mode_32 3
		.amdhsa_float_denorm_mode_16_64 3
		.amdhsa_dx10_clamp 1
		.amdhsa_ieee_mode 1
		.amdhsa_fp16_overflow 0
		.amdhsa_tg_split 0
		.amdhsa_exception_fp_ieee_invalid_op 0
		.amdhsa_exception_fp_denorm_src 0
		.amdhsa_exception_fp_ieee_div_zero 0
		.amdhsa_exception_fp_ieee_overflow 0
		.amdhsa_exception_fp_ieee_underflow 0
		.amdhsa_exception_fp_ieee_inexact 0
		.amdhsa_exception_int_div_zero 0
	.end_amdhsa_kernel
	.section	.text._ZN7rocprim17ROCPRIM_400000_NS6detail17trampoline_kernelINS0_14default_configENS1_20scan_config_selectorIsEEZZNS1_9scan_implILNS1_25lookback_scan_determinismE0ELb0ELb0ES3_N6thrust23THRUST_200600_302600_NS6detail15normal_iteratorINS9_10device_ptrIsEEEESE_s11max_functorIsEsEEDaPvRmT3_T4_T5_mT6_P12ihipStream_tbENKUlT_T0_E_clISt17integral_constantIbLb1EESU_EEDaSP_SQ_EUlSP_E_NS1_11comp_targetILNS1_3genE8ELNS1_11target_archE1030ELNS1_3gpuE2ELNS1_3repE0EEENS1_30default_config_static_selectorELNS0_4arch9wavefront6targetE1EEEvT1_,"axG",@progbits,_ZN7rocprim17ROCPRIM_400000_NS6detail17trampoline_kernelINS0_14default_configENS1_20scan_config_selectorIsEEZZNS1_9scan_implILNS1_25lookback_scan_determinismE0ELb0ELb0ES3_N6thrust23THRUST_200600_302600_NS6detail15normal_iteratorINS9_10device_ptrIsEEEESE_s11max_functorIsEsEEDaPvRmT3_T4_T5_mT6_P12ihipStream_tbENKUlT_T0_E_clISt17integral_constantIbLb1EESU_EEDaSP_SQ_EUlSP_E_NS1_11comp_targetILNS1_3genE8ELNS1_11target_archE1030ELNS1_3gpuE2ELNS1_3repE0EEENS1_30default_config_static_selectorELNS0_4arch9wavefront6targetE1EEEvT1_,comdat
.Lfunc_end2872:
	.size	_ZN7rocprim17ROCPRIM_400000_NS6detail17trampoline_kernelINS0_14default_configENS1_20scan_config_selectorIsEEZZNS1_9scan_implILNS1_25lookback_scan_determinismE0ELb0ELb0ES3_N6thrust23THRUST_200600_302600_NS6detail15normal_iteratorINS9_10device_ptrIsEEEESE_s11max_functorIsEsEEDaPvRmT3_T4_T5_mT6_P12ihipStream_tbENKUlT_T0_E_clISt17integral_constantIbLb1EESU_EEDaSP_SQ_EUlSP_E_NS1_11comp_targetILNS1_3genE8ELNS1_11target_archE1030ELNS1_3gpuE2ELNS1_3repE0EEENS1_30default_config_static_selectorELNS0_4arch9wavefront6targetE1EEEvT1_, .Lfunc_end2872-_ZN7rocprim17ROCPRIM_400000_NS6detail17trampoline_kernelINS0_14default_configENS1_20scan_config_selectorIsEEZZNS1_9scan_implILNS1_25lookback_scan_determinismE0ELb0ELb0ES3_N6thrust23THRUST_200600_302600_NS6detail15normal_iteratorINS9_10device_ptrIsEEEESE_s11max_functorIsEsEEDaPvRmT3_T4_T5_mT6_P12ihipStream_tbENKUlT_T0_E_clISt17integral_constantIbLb1EESU_EEDaSP_SQ_EUlSP_E_NS1_11comp_targetILNS1_3genE8ELNS1_11target_archE1030ELNS1_3gpuE2ELNS1_3repE0EEENS1_30default_config_static_selectorELNS0_4arch9wavefront6targetE1EEEvT1_
                                        ; -- End function
	.section	.AMDGPU.csdata,"",@progbits
; Kernel info:
; codeLenInByte = 0
; NumSgprs: 4
; NumVgprs: 0
; NumAgprs: 0
; TotalNumVgprs: 0
; ScratchSize: 0
; MemoryBound: 0
; FloatMode: 240
; IeeeMode: 1
; LDSByteSize: 0 bytes/workgroup (compile time only)
; SGPRBlocks: 0
; VGPRBlocks: 0
; NumSGPRsForWavesPerEU: 4
; NumVGPRsForWavesPerEU: 1
; AccumOffset: 4
; Occupancy: 8
; WaveLimiterHint : 0
; COMPUTE_PGM_RSRC2:SCRATCH_EN: 0
; COMPUTE_PGM_RSRC2:USER_SGPR: 6
; COMPUTE_PGM_RSRC2:TRAP_HANDLER: 0
; COMPUTE_PGM_RSRC2:TGID_X_EN: 1
; COMPUTE_PGM_RSRC2:TGID_Y_EN: 0
; COMPUTE_PGM_RSRC2:TGID_Z_EN: 0
; COMPUTE_PGM_RSRC2:TIDIG_COMP_CNT: 0
; COMPUTE_PGM_RSRC3_GFX90A:ACCUM_OFFSET: 0
; COMPUTE_PGM_RSRC3_GFX90A:TG_SPLIT: 0
	.section	.text._ZN7rocprim17ROCPRIM_400000_NS6detail17trampoline_kernelINS0_14default_configENS1_20scan_config_selectorIsEEZZNS1_9scan_implILNS1_25lookback_scan_determinismE0ELb0ELb0ES3_N6thrust23THRUST_200600_302600_NS6detail15normal_iteratorINS9_10device_ptrIsEEEESE_s11max_functorIsEsEEDaPvRmT3_T4_T5_mT6_P12ihipStream_tbENKUlT_T0_E_clISt17integral_constantIbLb1EESU_EEDaSP_SQ_EUlSP_E0_NS1_11comp_targetILNS1_3genE0ELNS1_11target_archE4294967295ELNS1_3gpuE0ELNS1_3repE0EEENS1_30default_config_static_selectorELNS0_4arch9wavefront6targetE1EEEvT1_,"axG",@progbits,_ZN7rocprim17ROCPRIM_400000_NS6detail17trampoline_kernelINS0_14default_configENS1_20scan_config_selectorIsEEZZNS1_9scan_implILNS1_25lookback_scan_determinismE0ELb0ELb0ES3_N6thrust23THRUST_200600_302600_NS6detail15normal_iteratorINS9_10device_ptrIsEEEESE_s11max_functorIsEsEEDaPvRmT3_T4_T5_mT6_P12ihipStream_tbENKUlT_T0_E_clISt17integral_constantIbLb1EESU_EEDaSP_SQ_EUlSP_E0_NS1_11comp_targetILNS1_3genE0ELNS1_11target_archE4294967295ELNS1_3gpuE0ELNS1_3repE0EEENS1_30default_config_static_selectorELNS0_4arch9wavefront6targetE1EEEvT1_,comdat
	.protected	_ZN7rocprim17ROCPRIM_400000_NS6detail17trampoline_kernelINS0_14default_configENS1_20scan_config_selectorIsEEZZNS1_9scan_implILNS1_25lookback_scan_determinismE0ELb0ELb0ES3_N6thrust23THRUST_200600_302600_NS6detail15normal_iteratorINS9_10device_ptrIsEEEESE_s11max_functorIsEsEEDaPvRmT3_T4_T5_mT6_P12ihipStream_tbENKUlT_T0_E_clISt17integral_constantIbLb1EESU_EEDaSP_SQ_EUlSP_E0_NS1_11comp_targetILNS1_3genE0ELNS1_11target_archE4294967295ELNS1_3gpuE0ELNS1_3repE0EEENS1_30default_config_static_selectorELNS0_4arch9wavefront6targetE1EEEvT1_ ; -- Begin function _ZN7rocprim17ROCPRIM_400000_NS6detail17trampoline_kernelINS0_14default_configENS1_20scan_config_selectorIsEEZZNS1_9scan_implILNS1_25lookback_scan_determinismE0ELb0ELb0ES3_N6thrust23THRUST_200600_302600_NS6detail15normal_iteratorINS9_10device_ptrIsEEEESE_s11max_functorIsEsEEDaPvRmT3_T4_T5_mT6_P12ihipStream_tbENKUlT_T0_E_clISt17integral_constantIbLb1EESU_EEDaSP_SQ_EUlSP_E0_NS1_11comp_targetILNS1_3genE0ELNS1_11target_archE4294967295ELNS1_3gpuE0ELNS1_3repE0EEENS1_30default_config_static_selectorELNS0_4arch9wavefront6targetE1EEEvT1_
	.globl	_ZN7rocprim17ROCPRIM_400000_NS6detail17trampoline_kernelINS0_14default_configENS1_20scan_config_selectorIsEEZZNS1_9scan_implILNS1_25lookback_scan_determinismE0ELb0ELb0ES3_N6thrust23THRUST_200600_302600_NS6detail15normal_iteratorINS9_10device_ptrIsEEEESE_s11max_functorIsEsEEDaPvRmT3_T4_T5_mT6_P12ihipStream_tbENKUlT_T0_E_clISt17integral_constantIbLb1EESU_EEDaSP_SQ_EUlSP_E0_NS1_11comp_targetILNS1_3genE0ELNS1_11target_archE4294967295ELNS1_3gpuE0ELNS1_3repE0EEENS1_30default_config_static_selectorELNS0_4arch9wavefront6targetE1EEEvT1_
	.p2align	8
	.type	_ZN7rocprim17ROCPRIM_400000_NS6detail17trampoline_kernelINS0_14default_configENS1_20scan_config_selectorIsEEZZNS1_9scan_implILNS1_25lookback_scan_determinismE0ELb0ELb0ES3_N6thrust23THRUST_200600_302600_NS6detail15normal_iteratorINS9_10device_ptrIsEEEESE_s11max_functorIsEsEEDaPvRmT3_T4_T5_mT6_P12ihipStream_tbENKUlT_T0_E_clISt17integral_constantIbLb1EESU_EEDaSP_SQ_EUlSP_E0_NS1_11comp_targetILNS1_3genE0ELNS1_11target_archE4294967295ELNS1_3gpuE0ELNS1_3repE0EEENS1_30default_config_static_selectorELNS0_4arch9wavefront6targetE1EEEvT1_,@function
_ZN7rocprim17ROCPRIM_400000_NS6detail17trampoline_kernelINS0_14default_configENS1_20scan_config_selectorIsEEZZNS1_9scan_implILNS1_25lookback_scan_determinismE0ELb0ELb0ES3_N6thrust23THRUST_200600_302600_NS6detail15normal_iteratorINS9_10device_ptrIsEEEESE_s11max_functorIsEsEEDaPvRmT3_T4_T5_mT6_P12ihipStream_tbENKUlT_T0_E_clISt17integral_constantIbLb1EESU_EEDaSP_SQ_EUlSP_E0_NS1_11comp_targetILNS1_3genE0ELNS1_11target_archE4294967295ELNS1_3gpuE0ELNS1_3repE0EEENS1_30default_config_static_selectorELNS0_4arch9wavefront6targetE1EEEvT1_: ; @_ZN7rocprim17ROCPRIM_400000_NS6detail17trampoline_kernelINS0_14default_configENS1_20scan_config_selectorIsEEZZNS1_9scan_implILNS1_25lookback_scan_determinismE0ELb0ELb0ES3_N6thrust23THRUST_200600_302600_NS6detail15normal_iteratorINS9_10device_ptrIsEEEESE_s11max_functorIsEsEEDaPvRmT3_T4_T5_mT6_P12ihipStream_tbENKUlT_T0_E_clISt17integral_constantIbLb1EESU_EEDaSP_SQ_EUlSP_E0_NS1_11comp_targetILNS1_3genE0ELNS1_11target_archE4294967295ELNS1_3gpuE0ELNS1_3repE0EEENS1_30default_config_static_selectorELNS0_4arch9wavefront6targetE1EEEvT1_
; %bb.0:
	.section	.rodata,"a",@progbits
	.p2align	6, 0x0
	.amdhsa_kernel _ZN7rocprim17ROCPRIM_400000_NS6detail17trampoline_kernelINS0_14default_configENS1_20scan_config_selectorIsEEZZNS1_9scan_implILNS1_25lookback_scan_determinismE0ELb0ELb0ES3_N6thrust23THRUST_200600_302600_NS6detail15normal_iteratorINS9_10device_ptrIsEEEESE_s11max_functorIsEsEEDaPvRmT3_T4_T5_mT6_P12ihipStream_tbENKUlT_T0_E_clISt17integral_constantIbLb1EESU_EEDaSP_SQ_EUlSP_E0_NS1_11comp_targetILNS1_3genE0ELNS1_11target_archE4294967295ELNS1_3gpuE0ELNS1_3repE0EEENS1_30default_config_static_selectorELNS0_4arch9wavefront6targetE1EEEvT1_
		.amdhsa_group_segment_fixed_size 0
		.amdhsa_private_segment_fixed_size 0
		.amdhsa_kernarg_size 32
		.amdhsa_user_sgpr_count 6
		.amdhsa_user_sgpr_private_segment_buffer 1
		.amdhsa_user_sgpr_dispatch_ptr 0
		.amdhsa_user_sgpr_queue_ptr 0
		.amdhsa_user_sgpr_kernarg_segment_ptr 1
		.amdhsa_user_sgpr_dispatch_id 0
		.amdhsa_user_sgpr_flat_scratch_init 0
		.amdhsa_user_sgpr_kernarg_preload_length 0
		.amdhsa_user_sgpr_kernarg_preload_offset 0
		.amdhsa_user_sgpr_private_segment_size 0
		.amdhsa_uses_dynamic_stack 0
		.amdhsa_system_sgpr_private_segment_wavefront_offset 0
		.amdhsa_system_sgpr_workgroup_id_x 1
		.amdhsa_system_sgpr_workgroup_id_y 0
		.amdhsa_system_sgpr_workgroup_id_z 0
		.amdhsa_system_sgpr_workgroup_info 0
		.amdhsa_system_vgpr_workitem_id 0
		.amdhsa_next_free_vgpr 1
		.amdhsa_next_free_sgpr 0
		.amdhsa_accum_offset 4
		.amdhsa_reserve_vcc 0
		.amdhsa_reserve_flat_scratch 0
		.amdhsa_float_round_mode_32 0
		.amdhsa_float_round_mode_16_64 0
		.amdhsa_float_denorm_mode_32 3
		.amdhsa_float_denorm_mode_16_64 3
		.amdhsa_dx10_clamp 1
		.amdhsa_ieee_mode 1
		.amdhsa_fp16_overflow 0
		.amdhsa_tg_split 0
		.amdhsa_exception_fp_ieee_invalid_op 0
		.amdhsa_exception_fp_denorm_src 0
		.amdhsa_exception_fp_ieee_div_zero 0
		.amdhsa_exception_fp_ieee_overflow 0
		.amdhsa_exception_fp_ieee_underflow 0
		.amdhsa_exception_fp_ieee_inexact 0
		.amdhsa_exception_int_div_zero 0
	.end_amdhsa_kernel
	.section	.text._ZN7rocprim17ROCPRIM_400000_NS6detail17trampoline_kernelINS0_14default_configENS1_20scan_config_selectorIsEEZZNS1_9scan_implILNS1_25lookback_scan_determinismE0ELb0ELb0ES3_N6thrust23THRUST_200600_302600_NS6detail15normal_iteratorINS9_10device_ptrIsEEEESE_s11max_functorIsEsEEDaPvRmT3_T4_T5_mT6_P12ihipStream_tbENKUlT_T0_E_clISt17integral_constantIbLb1EESU_EEDaSP_SQ_EUlSP_E0_NS1_11comp_targetILNS1_3genE0ELNS1_11target_archE4294967295ELNS1_3gpuE0ELNS1_3repE0EEENS1_30default_config_static_selectorELNS0_4arch9wavefront6targetE1EEEvT1_,"axG",@progbits,_ZN7rocprim17ROCPRIM_400000_NS6detail17trampoline_kernelINS0_14default_configENS1_20scan_config_selectorIsEEZZNS1_9scan_implILNS1_25lookback_scan_determinismE0ELb0ELb0ES3_N6thrust23THRUST_200600_302600_NS6detail15normal_iteratorINS9_10device_ptrIsEEEESE_s11max_functorIsEsEEDaPvRmT3_T4_T5_mT6_P12ihipStream_tbENKUlT_T0_E_clISt17integral_constantIbLb1EESU_EEDaSP_SQ_EUlSP_E0_NS1_11comp_targetILNS1_3genE0ELNS1_11target_archE4294967295ELNS1_3gpuE0ELNS1_3repE0EEENS1_30default_config_static_selectorELNS0_4arch9wavefront6targetE1EEEvT1_,comdat
.Lfunc_end2873:
	.size	_ZN7rocprim17ROCPRIM_400000_NS6detail17trampoline_kernelINS0_14default_configENS1_20scan_config_selectorIsEEZZNS1_9scan_implILNS1_25lookback_scan_determinismE0ELb0ELb0ES3_N6thrust23THRUST_200600_302600_NS6detail15normal_iteratorINS9_10device_ptrIsEEEESE_s11max_functorIsEsEEDaPvRmT3_T4_T5_mT6_P12ihipStream_tbENKUlT_T0_E_clISt17integral_constantIbLb1EESU_EEDaSP_SQ_EUlSP_E0_NS1_11comp_targetILNS1_3genE0ELNS1_11target_archE4294967295ELNS1_3gpuE0ELNS1_3repE0EEENS1_30default_config_static_selectorELNS0_4arch9wavefront6targetE1EEEvT1_, .Lfunc_end2873-_ZN7rocprim17ROCPRIM_400000_NS6detail17trampoline_kernelINS0_14default_configENS1_20scan_config_selectorIsEEZZNS1_9scan_implILNS1_25lookback_scan_determinismE0ELb0ELb0ES3_N6thrust23THRUST_200600_302600_NS6detail15normal_iteratorINS9_10device_ptrIsEEEESE_s11max_functorIsEsEEDaPvRmT3_T4_T5_mT6_P12ihipStream_tbENKUlT_T0_E_clISt17integral_constantIbLb1EESU_EEDaSP_SQ_EUlSP_E0_NS1_11comp_targetILNS1_3genE0ELNS1_11target_archE4294967295ELNS1_3gpuE0ELNS1_3repE0EEENS1_30default_config_static_selectorELNS0_4arch9wavefront6targetE1EEEvT1_
                                        ; -- End function
	.section	.AMDGPU.csdata,"",@progbits
; Kernel info:
; codeLenInByte = 0
; NumSgprs: 4
; NumVgprs: 0
; NumAgprs: 0
; TotalNumVgprs: 0
; ScratchSize: 0
; MemoryBound: 0
; FloatMode: 240
; IeeeMode: 1
; LDSByteSize: 0 bytes/workgroup (compile time only)
; SGPRBlocks: 0
; VGPRBlocks: 0
; NumSGPRsForWavesPerEU: 4
; NumVGPRsForWavesPerEU: 1
; AccumOffset: 4
; Occupancy: 8
; WaveLimiterHint : 0
; COMPUTE_PGM_RSRC2:SCRATCH_EN: 0
; COMPUTE_PGM_RSRC2:USER_SGPR: 6
; COMPUTE_PGM_RSRC2:TRAP_HANDLER: 0
; COMPUTE_PGM_RSRC2:TGID_X_EN: 1
; COMPUTE_PGM_RSRC2:TGID_Y_EN: 0
; COMPUTE_PGM_RSRC2:TGID_Z_EN: 0
; COMPUTE_PGM_RSRC2:TIDIG_COMP_CNT: 0
; COMPUTE_PGM_RSRC3_GFX90A:ACCUM_OFFSET: 0
; COMPUTE_PGM_RSRC3_GFX90A:TG_SPLIT: 0
	.section	.text._ZN7rocprim17ROCPRIM_400000_NS6detail17trampoline_kernelINS0_14default_configENS1_20scan_config_selectorIsEEZZNS1_9scan_implILNS1_25lookback_scan_determinismE0ELb0ELb0ES3_N6thrust23THRUST_200600_302600_NS6detail15normal_iteratorINS9_10device_ptrIsEEEESE_s11max_functorIsEsEEDaPvRmT3_T4_T5_mT6_P12ihipStream_tbENKUlT_T0_E_clISt17integral_constantIbLb1EESU_EEDaSP_SQ_EUlSP_E0_NS1_11comp_targetILNS1_3genE5ELNS1_11target_archE942ELNS1_3gpuE9ELNS1_3repE0EEENS1_30default_config_static_selectorELNS0_4arch9wavefront6targetE1EEEvT1_,"axG",@progbits,_ZN7rocprim17ROCPRIM_400000_NS6detail17trampoline_kernelINS0_14default_configENS1_20scan_config_selectorIsEEZZNS1_9scan_implILNS1_25lookback_scan_determinismE0ELb0ELb0ES3_N6thrust23THRUST_200600_302600_NS6detail15normal_iteratorINS9_10device_ptrIsEEEESE_s11max_functorIsEsEEDaPvRmT3_T4_T5_mT6_P12ihipStream_tbENKUlT_T0_E_clISt17integral_constantIbLb1EESU_EEDaSP_SQ_EUlSP_E0_NS1_11comp_targetILNS1_3genE5ELNS1_11target_archE942ELNS1_3gpuE9ELNS1_3repE0EEENS1_30default_config_static_selectorELNS0_4arch9wavefront6targetE1EEEvT1_,comdat
	.protected	_ZN7rocprim17ROCPRIM_400000_NS6detail17trampoline_kernelINS0_14default_configENS1_20scan_config_selectorIsEEZZNS1_9scan_implILNS1_25lookback_scan_determinismE0ELb0ELb0ES3_N6thrust23THRUST_200600_302600_NS6detail15normal_iteratorINS9_10device_ptrIsEEEESE_s11max_functorIsEsEEDaPvRmT3_T4_T5_mT6_P12ihipStream_tbENKUlT_T0_E_clISt17integral_constantIbLb1EESU_EEDaSP_SQ_EUlSP_E0_NS1_11comp_targetILNS1_3genE5ELNS1_11target_archE942ELNS1_3gpuE9ELNS1_3repE0EEENS1_30default_config_static_selectorELNS0_4arch9wavefront6targetE1EEEvT1_ ; -- Begin function _ZN7rocprim17ROCPRIM_400000_NS6detail17trampoline_kernelINS0_14default_configENS1_20scan_config_selectorIsEEZZNS1_9scan_implILNS1_25lookback_scan_determinismE0ELb0ELb0ES3_N6thrust23THRUST_200600_302600_NS6detail15normal_iteratorINS9_10device_ptrIsEEEESE_s11max_functorIsEsEEDaPvRmT3_T4_T5_mT6_P12ihipStream_tbENKUlT_T0_E_clISt17integral_constantIbLb1EESU_EEDaSP_SQ_EUlSP_E0_NS1_11comp_targetILNS1_3genE5ELNS1_11target_archE942ELNS1_3gpuE9ELNS1_3repE0EEENS1_30default_config_static_selectorELNS0_4arch9wavefront6targetE1EEEvT1_
	.globl	_ZN7rocprim17ROCPRIM_400000_NS6detail17trampoline_kernelINS0_14default_configENS1_20scan_config_selectorIsEEZZNS1_9scan_implILNS1_25lookback_scan_determinismE0ELb0ELb0ES3_N6thrust23THRUST_200600_302600_NS6detail15normal_iteratorINS9_10device_ptrIsEEEESE_s11max_functorIsEsEEDaPvRmT3_T4_T5_mT6_P12ihipStream_tbENKUlT_T0_E_clISt17integral_constantIbLb1EESU_EEDaSP_SQ_EUlSP_E0_NS1_11comp_targetILNS1_3genE5ELNS1_11target_archE942ELNS1_3gpuE9ELNS1_3repE0EEENS1_30default_config_static_selectorELNS0_4arch9wavefront6targetE1EEEvT1_
	.p2align	8
	.type	_ZN7rocprim17ROCPRIM_400000_NS6detail17trampoline_kernelINS0_14default_configENS1_20scan_config_selectorIsEEZZNS1_9scan_implILNS1_25lookback_scan_determinismE0ELb0ELb0ES3_N6thrust23THRUST_200600_302600_NS6detail15normal_iteratorINS9_10device_ptrIsEEEESE_s11max_functorIsEsEEDaPvRmT3_T4_T5_mT6_P12ihipStream_tbENKUlT_T0_E_clISt17integral_constantIbLb1EESU_EEDaSP_SQ_EUlSP_E0_NS1_11comp_targetILNS1_3genE5ELNS1_11target_archE942ELNS1_3gpuE9ELNS1_3repE0EEENS1_30default_config_static_selectorELNS0_4arch9wavefront6targetE1EEEvT1_,@function
_ZN7rocprim17ROCPRIM_400000_NS6detail17trampoline_kernelINS0_14default_configENS1_20scan_config_selectorIsEEZZNS1_9scan_implILNS1_25lookback_scan_determinismE0ELb0ELb0ES3_N6thrust23THRUST_200600_302600_NS6detail15normal_iteratorINS9_10device_ptrIsEEEESE_s11max_functorIsEsEEDaPvRmT3_T4_T5_mT6_P12ihipStream_tbENKUlT_T0_E_clISt17integral_constantIbLb1EESU_EEDaSP_SQ_EUlSP_E0_NS1_11comp_targetILNS1_3genE5ELNS1_11target_archE942ELNS1_3gpuE9ELNS1_3repE0EEENS1_30default_config_static_selectorELNS0_4arch9wavefront6targetE1EEEvT1_: ; @_ZN7rocprim17ROCPRIM_400000_NS6detail17trampoline_kernelINS0_14default_configENS1_20scan_config_selectorIsEEZZNS1_9scan_implILNS1_25lookback_scan_determinismE0ELb0ELb0ES3_N6thrust23THRUST_200600_302600_NS6detail15normal_iteratorINS9_10device_ptrIsEEEESE_s11max_functorIsEsEEDaPvRmT3_T4_T5_mT6_P12ihipStream_tbENKUlT_T0_E_clISt17integral_constantIbLb1EESU_EEDaSP_SQ_EUlSP_E0_NS1_11comp_targetILNS1_3genE5ELNS1_11target_archE942ELNS1_3gpuE9ELNS1_3repE0EEENS1_30default_config_static_selectorELNS0_4arch9wavefront6targetE1EEEvT1_
; %bb.0:
	.section	.rodata,"a",@progbits
	.p2align	6, 0x0
	.amdhsa_kernel _ZN7rocprim17ROCPRIM_400000_NS6detail17trampoline_kernelINS0_14default_configENS1_20scan_config_selectorIsEEZZNS1_9scan_implILNS1_25lookback_scan_determinismE0ELb0ELb0ES3_N6thrust23THRUST_200600_302600_NS6detail15normal_iteratorINS9_10device_ptrIsEEEESE_s11max_functorIsEsEEDaPvRmT3_T4_T5_mT6_P12ihipStream_tbENKUlT_T0_E_clISt17integral_constantIbLb1EESU_EEDaSP_SQ_EUlSP_E0_NS1_11comp_targetILNS1_3genE5ELNS1_11target_archE942ELNS1_3gpuE9ELNS1_3repE0EEENS1_30default_config_static_selectorELNS0_4arch9wavefront6targetE1EEEvT1_
		.amdhsa_group_segment_fixed_size 0
		.amdhsa_private_segment_fixed_size 0
		.amdhsa_kernarg_size 32
		.amdhsa_user_sgpr_count 6
		.amdhsa_user_sgpr_private_segment_buffer 1
		.amdhsa_user_sgpr_dispatch_ptr 0
		.amdhsa_user_sgpr_queue_ptr 0
		.amdhsa_user_sgpr_kernarg_segment_ptr 1
		.amdhsa_user_sgpr_dispatch_id 0
		.amdhsa_user_sgpr_flat_scratch_init 0
		.amdhsa_user_sgpr_kernarg_preload_length 0
		.amdhsa_user_sgpr_kernarg_preload_offset 0
		.amdhsa_user_sgpr_private_segment_size 0
		.amdhsa_uses_dynamic_stack 0
		.amdhsa_system_sgpr_private_segment_wavefront_offset 0
		.amdhsa_system_sgpr_workgroup_id_x 1
		.amdhsa_system_sgpr_workgroup_id_y 0
		.amdhsa_system_sgpr_workgroup_id_z 0
		.amdhsa_system_sgpr_workgroup_info 0
		.amdhsa_system_vgpr_workitem_id 0
		.amdhsa_next_free_vgpr 1
		.amdhsa_next_free_sgpr 0
		.amdhsa_accum_offset 4
		.amdhsa_reserve_vcc 0
		.amdhsa_reserve_flat_scratch 0
		.amdhsa_float_round_mode_32 0
		.amdhsa_float_round_mode_16_64 0
		.amdhsa_float_denorm_mode_32 3
		.amdhsa_float_denorm_mode_16_64 3
		.amdhsa_dx10_clamp 1
		.amdhsa_ieee_mode 1
		.amdhsa_fp16_overflow 0
		.amdhsa_tg_split 0
		.amdhsa_exception_fp_ieee_invalid_op 0
		.amdhsa_exception_fp_denorm_src 0
		.amdhsa_exception_fp_ieee_div_zero 0
		.amdhsa_exception_fp_ieee_overflow 0
		.amdhsa_exception_fp_ieee_underflow 0
		.amdhsa_exception_fp_ieee_inexact 0
		.amdhsa_exception_int_div_zero 0
	.end_amdhsa_kernel
	.section	.text._ZN7rocprim17ROCPRIM_400000_NS6detail17trampoline_kernelINS0_14default_configENS1_20scan_config_selectorIsEEZZNS1_9scan_implILNS1_25lookback_scan_determinismE0ELb0ELb0ES3_N6thrust23THRUST_200600_302600_NS6detail15normal_iteratorINS9_10device_ptrIsEEEESE_s11max_functorIsEsEEDaPvRmT3_T4_T5_mT6_P12ihipStream_tbENKUlT_T0_E_clISt17integral_constantIbLb1EESU_EEDaSP_SQ_EUlSP_E0_NS1_11comp_targetILNS1_3genE5ELNS1_11target_archE942ELNS1_3gpuE9ELNS1_3repE0EEENS1_30default_config_static_selectorELNS0_4arch9wavefront6targetE1EEEvT1_,"axG",@progbits,_ZN7rocprim17ROCPRIM_400000_NS6detail17trampoline_kernelINS0_14default_configENS1_20scan_config_selectorIsEEZZNS1_9scan_implILNS1_25lookback_scan_determinismE0ELb0ELb0ES3_N6thrust23THRUST_200600_302600_NS6detail15normal_iteratorINS9_10device_ptrIsEEEESE_s11max_functorIsEsEEDaPvRmT3_T4_T5_mT6_P12ihipStream_tbENKUlT_T0_E_clISt17integral_constantIbLb1EESU_EEDaSP_SQ_EUlSP_E0_NS1_11comp_targetILNS1_3genE5ELNS1_11target_archE942ELNS1_3gpuE9ELNS1_3repE0EEENS1_30default_config_static_selectorELNS0_4arch9wavefront6targetE1EEEvT1_,comdat
.Lfunc_end2874:
	.size	_ZN7rocprim17ROCPRIM_400000_NS6detail17trampoline_kernelINS0_14default_configENS1_20scan_config_selectorIsEEZZNS1_9scan_implILNS1_25lookback_scan_determinismE0ELb0ELb0ES3_N6thrust23THRUST_200600_302600_NS6detail15normal_iteratorINS9_10device_ptrIsEEEESE_s11max_functorIsEsEEDaPvRmT3_T4_T5_mT6_P12ihipStream_tbENKUlT_T0_E_clISt17integral_constantIbLb1EESU_EEDaSP_SQ_EUlSP_E0_NS1_11comp_targetILNS1_3genE5ELNS1_11target_archE942ELNS1_3gpuE9ELNS1_3repE0EEENS1_30default_config_static_selectorELNS0_4arch9wavefront6targetE1EEEvT1_, .Lfunc_end2874-_ZN7rocprim17ROCPRIM_400000_NS6detail17trampoline_kernelINS0_14default_configENS1_20scan_config_selectorIsEEZZNS1_9scan_implILNS1_25lookback_scan_determinismE0ELb0ELb0ES3_N6thrust23THRUST_200600_302600_NS6detail15normal_iteratorINS9_10device_ptrIsEEEESE_s11max_functorIsEsEEDaPvRmT3_T4_T5_mT6_P12ihipStream_tbENKUlT_T0_E_clISt17integral_constantIbLb1EESU_EEDaSP_SQ_EUlSP_E0_NS1_11comp_targetILNS1_3genE5ELNS1_11target_archE942ELNS1_3gpuE9ELNS1_3repE0EEENS1_30default_config_static_selectorELNS0_4arch9wavefront6targetE1EEEvT1_
                                        ; -- End function
	.section	.AMDGPU.csdata,"",@progbits
; Kernel info:
; codeLenInByte = 0
; NumSgprs: 4
; NumVgprs: 0
; NumAgprs: 0
; TotalNumVgprs: 0
; ScratchSize: 0
; MemoryBound: 0
; FloatMode: 240
; IeeeMode: 1
; LDSByteSize: 0 bytes/workgroup (compile time only)
; SGPRBlocks: 0
; VGPRBlocks: 0
; NumSGPRsForWavesPerEU: 4
; NumVGPRsForWavesPerEU: 1
; AccumOffset: 4
; Occupancy: 8
; WaveLimiterHint : 0
; COMPUTE_PGM_RSRC2:SCRATCH_EN: 0
; COMPUTE_PGM_RSRC2:USER_SGPR: 6
; COMPUTE_PGM_RSRC2:TRAP_HANDLER: 0
; COMPUTE_PGM_RSRC2:TGID_X_EN: 1
; COMPUTE_PGM_RSRC2:TGID_Y_EN: 0
; COMPUTE_PGM_RSRC2:TGID_Z_EN: 0
; COMPUTE_PGM_RSRC2:TIDIG_COMP_CNT: 0
; COMPUTE_PGM_RSRC3_GFX90A:ACCUM_OFFSET: 0
; COMPUTE_PGM_RSRC3_GFX90A:TG_SPLIT: 0
	.section	.text._ZN7rocprim17ROCPRIM_400000_NS6detail17trampoline_kernelINS0_14default_configENS1_20scan_config_selectorIsEEZZNS1_9scan_implILNS1_25lookback_scan_determinismE0ELb0ELb0ES3_N6thrust23THRUST_200600_302600_NS6detail15normal_iteratorINS9_10device_ptrIsEEEESE_s11max_functorIsEsEEDaPvRmT3_T4_T5_mT6_P12ihipStream_tbENKUlT_T0_E_clISt17integral_constantIbLb1EESU_EEDaSP_SQ_EUlSP_E0_NS1_11comp_targetILNS1_3genE4ELNS1_11target_archE910ELNS1_3gpuE8ELNS1_3repE0EEENS1_30default_config_static_selectorELNS0_4arch9wavefront6targetE1EEEvT1_,"axG",@progbits,_ZN7rocprim17ROCPRIM_400000_NS6detail17trampoline_kernelINS0_14default_configENS1_20scan_config_selectorIsEEZZNS1_9scan_implILNS1_25lookback_scan_determinismE0ELb0ELb0ES3_N6thrust23THRUST_200600_302600_NS6detail15normal_iteratorINS9_10device_ptrIsEEEESE_s11max_functorIsEsEEDaPvRmT3_T4_T5_mT6_P12ihipStream_tbENKUlT_T0_E_clISt17integral_constantIbLb1EESU_EEDaSP_SQ_EUlSP_E0_NS1_11comp_targetILNS1_3genE4ELNS1_11target_archE910ELNS1_3gpuE8ELNS1_3repE0EEENS1_30default_config_static_selectorELNS0_4arch9wavefront6targetE1EEEvT1_,comdat
	.protected	_ZN7rocprim17ROCPRIM_400000_NS6detail17trampoline_kernelINS0_14default_configENS1_20scan_config_selectorIsEEZZNS1_9scan_implILNS1_25lookback_scan_determinismE0ELb0ELb0ES3_N6thrust23THRUST_200600_302600_NS6detail15normal_iteratorINS9_10device_ptrIsEEEESE_s11max_functorIsEsEEDaPvRmT3_T4_T5_mT6_P12ihipStream_tbENKUlT_T0_E_clISt17integral_constantIbLb1EESU_EEDaSP_SQ_EUlSP_E0_NS1_11comp_targetILNS1_3genE4ELNS1_11target_archE910ELNS1_3gpuE8ELNS1_3repE0EEENS1_30default_config_static_selectorELNS0_4arch9wavefront6targetE1EEEvT1_ ; -- Begin function _ZN7rocprim17ROCPRIM_400000_NS6detail17trampoline_kernelINS0_14default_configENS1_20scan_config_selectorIsEEZZNS1_9scan_implILNS1_25lookback_scan_determinismE0ELb0ELb0ES3_N6thrust23THRUST_200600_302600_NS6detail15normal_iteratorINS9_10device_ptrIsEEEESE_s11max_functorIsEsEEDaPvRmT3_T4_T5_mT6_P12ihipStream_tbENKUlT_T0_E_clISt17integral_constantIbLb1EESU_EEDaSP_SQ_EUlSP_E0_NS1_11comp_targetILNS1_3genE4ELNS1_11target_archE910ELNS1_3gpuE8ELNS1_3repE0EEENS1_30default_config_static_selectorELNS0_4arch9wavefront6targetE1EEEvT1_
	.globl	_ZN7rocprim17ROCPRIM_400000_NS6detail17trampoline_kernelINS0_14default_configENS1_20scan_config_selectorIsEEZZNS1_9scan_implILNS1_25lookback_scan_determinismE0ELb0ELb0ES3_N6thrust23THRUST_200600_302600_NS6detail15normal_iteratorINS9_10device_ptrIsEEEESE_s11max_functorIsEsEEDaPvRmT3_T4_T5_mT6_P12ihipStream_tbENKUlT_T0_E_clISt17integral_constantIbLb1EESU_EEDaSP_SQ_EUlSP_E0_NS1_11comp_targetILNS1_3genE4ELNS1_11target_archE910ELNS1_3gpuE8ELNS1_3repE0EEENS1_30default_config_static_selectorELNS0_4arch9wavefront6targetE1EEEvT1_
	.p2align	8
	.type	_ZN7rocprim17ROCPRIM_400000_NS6detail17trampoline_kernelINS0_14default_configENS1_20scan_config_selectorIsEEZZNS1_9scan_implILNS1_25lookback_scan_determinismE0ELb0ELb0ES3_N6thrust23THRUST_200600_302600_NS6detail15normal_iteratorINS9_10device_ptrIsEEEESE_s11max_functorIsEsEEDaPvRmT3_T4_T5_mT6_P12ihipStream_tbENKUlT_T0_E_clISt17integral_constantIbLb1EESU_EEDaSP_SQ_EUlSP_E0_NS1_11comp_targetILNS1_3genE4ELNS1_11target_archE910ELNS1_3gpuE8ELNS1_3repE0EEENS1_30default_config_static_selectorELNS0_4arch9wavefront6targetE1EEEvT1_,@function
_ZN7rocprim17ROCPRIM_400000_NS6detail17trampoline_kernelINS0_14default_configENS1_20scan_config_selectorIsEEZZNS1_9scan_implILNS1_25lookback_scan_determinismE0ELb0ELb0ES3_N6thrust23THRUST_200600_302600_NS6detail15normal_iteratorINS9_10device_ptrIsEEEESE_s11max_functorIsEsEEDaPvRmT3_T4_T5_mT6_P12ihipStream_tbENKUlT_T0_E_clISt17integral_constantIbLb1EESU_EEDaSP_SQ_EUlSP_E0_NS1_11comp_targetILNS1_3genE4ELNS1_11target_archE910ELNS1_3gpuE8ELNS1_3repE0EEENS1_30default_config_static_selectorELNS0_4arch9wavefront6targetE1EEEvT1_: ; @_ZN7rocprim17ROCPRIM_400000_NS6detail17trampoline_kernelINS0_14default_configENS1_20scan_config_selectorIsEEZZNS1_9scan_implILNS1_25lookback_scan_determinismE0ELb0ELb0ES3_N6thrust23THRUST_200600_302600_NS6detail15normal_iteratorINS9_10device_ptrIsEEEESE_s11max_functorIsEsEEDaPvRmT3_T4_T5_mT6_P12ihipStream_tbENKUlT_T0_E_clISt17integral_constantIbLb1EESU_EEDaSP_SQ_EUlSP_E0_NS1_11comp_targetILNS1_3genE4ELNS1_11target_archE910ELNS1_3gpuE8ELNS1_3repE0EEENS1_30default_config_static_selectorELNS0_4arch9wavefront6targetE1EEEvT1_
; %bb.0:
	s_load_dwordx4 s[52:55], s[4:5], 0x0
	v_mov_b32_e32 v1, 0
	v_lshlrev_b32_e32 v14, 1, v0
	s_waitcnt lgkmcnt(0)
	global_load_ushort v2, v1, s[52:53]
	v_cmp_gt_u32_e32 vcc, s54, v0
	s_waitcnt vmcnt(0)
	v_mov_b32_e32 v3, v2
	s_and_saveexec_b64 s[0:1], vcc
	s_cbranch_execz .LBB2875_2
; %bb.1:
	global_load_ushort v3, v14, s[52:53]
.LBB2875_2:
	s_or_b64 exec, exec, s[0:1]
	v_or_b32_e32 v1, 64, v0
	v_cmp_gt_u32_e64 s[0:1], s54, v1
	v_mov_b32_e32 v4, v2
	s_and_saveexec_b64 s[2:3], s[0:1]
	s_cbranch_execz .LBB2875_4
; %bb.3:
	global_load_ushort v4, v14, s[52:53] offset:128
.LBB2875_4:
	s_or_b64 exec, exec, s[2:3]
	v_or_b32_e32 v1, 0x80, v0
	v_cmp_gt_u32_e64 s[2:3], s54, v1
	v_mov_b32_e32 v5, v2
	s_and_saveexec_b64 s[6:7], s[2:3]
	s_cbranch_execz .LBB2875_6
; %bb.5:
	global_load_ushort v5, v14, s[52:53] offset:256
.LBB2875_6:
	;; [unrolled: 9-line block ×22, first 2 shown]
	s_or_b64 exec, exec, s[46:47]
	v_or_b32_e32 v1, 0x5c0, v0
	v_cmp_gt_u32_e64 s[46:47], s54, v1
	v_cmp_le_u32_e64 s[50:51], s54, v1
	s_and_saveexec_b64 s[54:55], s[50:51]
	s_xor_b64 s[50:51], exec, s[54:55]
; %bb.47:
	v_mov_b32_e32 v1, 0
; %bb.48:
	s_andn2_saveexec_b64 s[50:51], s[50:51]
	s_cbranch_execz .LBB2875_50
; %bb.49:
	global_load_ushort v2, v14, s[52:53] offset:2944
	v_mov_b32_e32 v1, 0
.LBB2875_50:
	s_or_b64 exec, exec, s[50:51]
	s_waitcnt vmcnt(0)
	ds_write_b16 v14, v3
	ds_write_b16 v14, v4 offset:128
	ds_write_b16 v14, v5 offset:256
	;; [unrolled: 1-line block ×23, first 2 shown]
	v_mad_u32_u24 v15, v0, 46, v14
	s_waitcnt lgkmcnt(0)
	; wave barrier
	s_waitcnt lgkmcnt(0)
	ds_read_b128 v[2:5], v15
	ds_read_b128 v[10:13], v15 offset:16
	ds_read_b128 v[6:9], v15 offset:32
	v_mbcnt_lo_u32_b32 v39, -1, 0
	v_mbcnt_hi_u32_b32 v39, -1, v39
	s_waitcnt lgkmcnt(2)
	v_max_i16_sdwa v16, v2, v2 dst_sel:DWORD dst_unused:UNUSED_PAD src0_sel:DWORD src1_sel:WORD_1
	v_max_i16_e32 v17, v16, v3
	v_max_i16_sdwa v19, v17, v3 dst_sel:DWORD dst_unused:UNUSED_PAD src0_sel:DWORD src1_sel:WORD_1
	v_max_i16_e32 v21, v19, v4
	;; [unrolled: 2-line block ×3, first 2 shown]
	v_max_i16_sdwa v29, v26, v5 dst_sel:DWORD dst_unused:UNUSED_PAD src0_sel:DWORD src1_sel:WORD_1
	s_waitcnt lgkmcnt(1)
	v_max_i16_e32 v18, v29, v10
	v_max_i16_sdwa v20, v18, v10 dst_sel:DWORD dst_unused:UNUSED_PAD src0_sel:DWORD src1_sel:WORD_1
	v_max_i16_e32 v22, v20, v11
	v_max_i16_sdwa v25, v22, v11 dst_sel:DWORD dst_unused:UNUSED_PAD src0_sel:DWORD src1_sel:WORD_1
	;; [unrolled: 2-line block ×4, first 2 shown]
	s_waitcnt lgkmcnt(0)
	v_max_i16_e32 v24, v35, v6
	v_max_i16_sdwa v27, v24, v6 dst_sel:DWORD dst_unused:UNUSED_PAD src0_sel:DWORD src1_sel:WORD_1
	v_max_i16_e32 v30, v27, v7
	v_max_i16_sdwa v32, v30, v7 dst_sel:DWORD dst_unused:UNUSED_PAD src0_sel:DWORD src1_sel:WORD_1
	;; [unrolled: 2-line block ×4, first 2 shown]
	v_and_b32_e32 v40, 15, v39
	s_load_dwordx2 s[50:51], s[4:5], 0x18
	v_mov_b32_dpp v41, v38 row_shr:1 row_mask:0xf bank_mask:0xf
	v_max_i16_e32 v41, v41, v38
	v_cmp_eq_u32_e64 s[4:5], 0, v40
	v_cndmask_b32_e64 v41, v41, v38, s[4:5]
	v_and_b32_e32 v42, 0xffff, v41
	v_cmp_lt_u32_e64 s[4:5], 1, v40
	s_waitcnt lgkmcnt(0)
	v_mov_b32_dpp v42, v42 row_shr:2 row_mask:0xf bank_mask:0xf
	v_max_i16_e32 v42, v42, v41
	v_cndmask_b32_e64 v41, v41, v42, s[4:5]
	v_and_b32_e32 v42, 0xffff, v41
	v_cmp_lt_u32_e64 s[4:5], 3, v40
	; wave barrier
	s_nop 0
	v_mov_b32_dpp v42, v42 row_shr:4 row_mask:0xf bank_mask:0xf
	v_max_i16_e32 v42, v42, v41
	v_cndmask_b32_e64 v41, v41, v42, s[4:5]
	v_and_b32_e32 v42, 0xffff, v41
	v_cmp_lt_u32_e64 s[4:5], 7, v40
	s_nop 0
	v_mov_b32_dpp v42, v42 row_shr:8 row_mask:0xf bank_mask:0xf
	v_max_i16_e32 v42, v42, v41
	v_cndmask_b32_e64 v40, v41, v42, s[4:5]
	v_and_b32_e32 v41, 0xffff, v40
	v_and_b32_e32 v42, 16, v39
	v_cmp_eq_u32_e64 s[4:5], 0, v42
	v_mov_b32_dpp v41, v41 row_bcast:15 row_mask:0xf bank_mask:0xf
	v_max_i16_e32 v41, v41, v40
	v_cndmask_b32_e64 v40, v41, v40, s[4:5]
	v_and_b32_e32 v41, 0xffff, v40
	v_cmp_lt_u32_e64 s[4:5], 31, v39
	s_nop 0
	v_mov_b32_dpp v41, v41 row_bcast:31 row_mask:0xf bank_mask:0xf
	v_max_i16_e32 v41, v41, v40
	v_cndmask_b32_e64 v40, v40, v41, s[4:5]
	v_cmp_eq_u32_e64 s[4:5], 63, v0
	s_and_saveexec_b64 s[52:53], s[4:5]
	s_cbranch_execz .LBB2875_52
; %bb.51:
	v_mov_b32_e32 v41, 0
	ds_write_b16 v41, v40
.LBB2875_52:
	s_or_b64 exec, exec, s[52:53]
	v_add_u32_e32 v41, -1, v39
	v_and_b32_e32 v42, 64, v39
	v_cmp_lt_i32_e64 s[4:5], v41, v42
	v_cndmask_b32_e64 v39, v41, v39, s[4:5]
	v_and_b32_e32 v40, 0xffff, v40
	v_lshlrev_b32_e32 v39, 2, v39
	ds_bpermute_b32 v39, v39, v40
	v_cmp_ne_u32_e64 s[4:5], 0, v0
	s_waitcnt lgkmcnt(0)
	; wave barrier
	s_waitcnt lgkmcnt(0)
	s_and_saveexec_b64 s[52:53], s[4:5]
	s_cbranch_execz .LBB2875_54
; %bb.53:
	v_max_i16_e32 v39, v39, v2
	v_max_i16_sdwa v16, v39, v2 dst_sel:DWORD dst_unused:UNUSED_PAD src0_sel:DWORD src1_sel:WORD_1
	v_max_i16_e32 v17, v16, v3
	v_max_i16_sdwa v19, v17, v3 dst_sel:DWORD dst_unused:UNUSED_PAD src0_sel:DWORD src1_sel:WORD_1
	;; [unrolled: 2-line block ×12, first 2 shown]
	v_mov_b32_e32 v2, v39
	;;#ASMSTART
	;;#ASMEND
.LBB2875_54:
	s_or_b64 exec, exec, s[52:53]
	s_mov_b32 s4, 0x5040100
	v_perm_b32 v5, v29, v26, s4
	v_perm_b32 v4, v23, v21, s4
	v_perm_b32 v3, v19, v17, s4
	v_perm_b32 v2, v16, v2, s4
	s_waitcnt lgkmcnt(0)
	; wave barrier
	ds_write_b128 v15, v[2:5]
	v_perm_b32 v5, v35, v33, s4
	v_perm_b32 v4, v31, v28, s4
	;; [unrolled: 1-line block ×4, first 2 shown]
	ds_write_b128 v15, v[2:5] offset:16
	v_perm_b32 v5, v38, v37, s4
	v_perm_b32 v4, v36, v34, s4
	;; [unrolled: 1-line block ×4, first 2 shown]
	s_movk_i32 s4, 0xffd2
	ds_write_b128 v15, v[2:5] offset:32
	v_mad_i32_i24 v2, v0, s4, v15
	s_waitcnt lgkmcnt(0)
	; wave barrier
	s_waitcnt lgkmcnt(0)
	ds_read_u16 v25, v2 offset:128
	ds_read_u16 v24, v2 offset:256
	;; [unrolled: 1-line block ×23, first 2 shown]
	v_lshlrev_b64 v[0:1], 1, v[0:1]
	v_mov_b32_e32 v26, s51
	v_add_co_u32_e64 v0, s[4:5], s50, v0
	v_addc_co_u32_e64 v1, s[4:5], v26, v1, s[4:5]
	s_and_saveexec_b64 s[4:5], vcc
	s_cbranch_execnz .LBB2875_79
; %bb.55:
	s_or_b64 exec, exec, s[4:5]
	s_and_saveexec_b64 s[4:5], s[0:1]
	s_cbranch_execnz .LBB2875_80
.LBB2875_56:
	s_or_b64 exec, exec, s[4:5]
	s_and_saveexec_b64 s[0:1], s[2:3]
	s_cbranch_execnz .LBB2875_81
.LBB2875_57:
	s_or_b64 exec, exec, s[0:1]
	s_and_saveexec_b64 s[0:1], s[48:49]
	s_cbranch_execnz .LBB2875_82
.LBB2875_58:
	s_or_b64 exec, exec, s[0:1]
	s_and_saveexec_b64 s[0:1], s[6:7]
	s_cbranch_execnz .LBB2875_83
.LBB2875_59:
	s_or_b64 exec, exec, s[0:1]
	s_and_saveexec_b64 s[0:1], s[8:9]
	s_cbranch_execnz .LBB2875_84
.LBB2875_60:
	s_or_b64 exec, exec, s[0:1]
	s_and_saveexec_b64 s[0:1], s[10:11]
	s_cbranch_execnz .LBB2875_85
.LBB2875_61:
	s_or_b64 exec, exec, s[0:1]
	s_and_saveexec_b64 s[0:1], s[12:13]
	s_cbranch_execnz .LBB2875_86
.LBB2875_62:
	s_or_b64 exec, exec, s[0:1]
	s_and_saveexec_b64 s[0:1], s[14:15]
	s_cbranch_execnz .LBB2875_87
.LBB2875_63:
	s_or_b64 exec, exec, s[0:1]
	s_and_saveexec_b64 s[0:1], s[16:17]
	s_cbranch_execnz .LBB2875_88
.LBB2875_64:
	s_or_b64 exec, exec, s[0:1]
	s_and_saveexec_b64 s[0:1], s[18:19]
	s_cbranch_execnz .LBB2875_89
.LBB2875_65:
	s_or_b64 exec, exec, s[0:1]
	s_and_saveexec_b64 s[0:1], s[20:21]
	s_cbranch_execnz .LBB2875_90
.LBB2875_66:
	s_or_b64 exec, exec, s[0:1]
	s_and_saveexec_b64 s[0:1], s[22:23]
	s_cbranch_execnz .LBB2875_91
.LBB2875_67:
	s_or_b64 exec, exec, s[0:1]
	s_and_saveexec_b64 s[0:1], s[24:25]
	s_cbranch_execnz .LBB2875_92
.LBB2875_68:
	s_or_b64 exec, exec, s[0:1]
	s_and_saveexec_b64 s[0:1], s[26:27]
	s_cbranch_execnz .LBB2875_93
.LBB2875_69:
	s_or_b64 exec, exec, s[0:1]
	s_and_saveexec_b64 s[0:1], s[28:29]
	s_cbranch_execnz .LBB2875_94
.LBB2875_70:
	s_or_b64 exec, exec, s[0:1]
	s_and_saveexec_b64 s[0:1], s[30:31]
	s_cbranch_execnz .LBB2875_95
.LBB2875_71:
	s_or_b64 exec, exec, s[0:1]
	s_and_saveexec_b64 s[0:1], s[34:35]
	s_cbranch_execnz .LBB2875_96
.LBB2875_72:
	s_or_b64 exec, exec, s[0:1]
	s_and_saveexec_b64 s[0:1], s[36:37]
	s_cbranch_execnz .LBB2875_97
.LBB2875_73:
	s_or_b64 exec, exec, s[0:1]
	s_and_saveexec_b64 s[0:1], s[38:39]
	s_cbranch_execnz .LBB2875_98
.LBB2875_74:
	s_or_b64 exec, exec, s[0:1]
	s_and_saveexec_b64 s[0:1], s[40:41]
	s_cbranch_execnz .LBB2875_99
.LBB2875_75:
	s_or_b64 exec, exec, s[0:1]
	s_and_saveexec_b64 s[0:1], s[42:43]
	s_cbranch_execnz .LBB2875_100
.LBB2875_76:
	s_or_b64 exec, exec, s[0:1]
	s_and_saveexec_b64 s[0:1], s[44:45]
	s_cbranch_execnz .LBB2875_101
.LBB2875_77:
	s_or_b64 exec, exec, s[0:1]
	s_and_saveexec_b64 s[0:1], s[46:47]
	s_cbranch_execnz .LBB2875_102
.LBB2875_78:
	s_endpgm
.LBB2875_79:
	ds_read_u16 v14, v14
	s_waitcnt lgkmcnt(0)
	global_store_short v[0:1], v14, off
	s_or_b64 exec, exec, s[4:5]
	s_and_saveexec_b64 s[4:5], s[0:1]
	s_cbranch_execz .LBB2875_56
.LBB2875_80:
	s_waitcnt lgkmcnt(14)
	global_store_short v[0:1], v25, off offset:128
	s_or_b64 exec, exec, s[4:5]
	s_and_saveexec_b64 s[0:1], s[2:3]
	s_cbranch_execz .LBB2875_57
.LBB2875_81:
	s_waitcnt lgkmcnt(14)
	global_store_short v[0:1], v24, off offset:256
	s_or_b64 exec, exec, s[0:1]
	s_and_saveexec_b64 s[0:1], s[48:49]
	s_cbranch_execz .LBB2875_58
.LBB2875_82:
	s_waitcnt lgkmcnt(14)
	global_store_short v[0:1], v23, off offset:384
	s_or_b64 exec, exec, s[0:1]
	s_and_saveexec_b64 s[0:1], s[6:7]
	s_cbranch_execz .LBB2875_59
.LBB2875_83:
	s_waitcnt lgkmcnt(14)
	global_store_short v[0:1], v22, off offset:512
	s_or_b64 exec, exec, s[0:1]
	s_and_saveexec_b64 s[0:1], s[8:9]
	s_cbranch_execz .LBB2875_60
.LBB2875_84:
	s_waitcnt lgkmcnt(14)
	global_store_short v[0:1], v21, off offset:640
	s_or_b64 exec, exec, s[0:1]
	s_and_saveexec_b64 s[0:1], s[10:11]
	s_cbranch_execz .LBB2875_61
.LBB2875_85:
	s_waitcnt lgkmcnt(14)
	global_store_short v[0:1], v20, off offset:768
	s_or_b64 exec, exec, s[0:1]
	s_and_saveexec_b64 s[0:1], s[12:13]
	s_cbranch_execz .LBB2875_62
.LBB2875_86:
	s_waitcnt lgkmcnt(14)
	global_store_short v[0:1], v19, off offset:896
	s_or_b64 exec, exec, s[0:1]
	s_and_saveexec_b64 s[0:1], s[14:15]
	s_cbranch_execz .LBB2875_63
.LBB2875_87:
	s_waitcnt lgkmcnt(14)
	global_store_short v[0:1], v18, off offset:1024
	s_or_b64 exec, exec, s[0:1]
	s_and_saveexec_b64 s[0:1], s[16:17]
	s_cbranch_execz .LBB2875_64
.LBB2875_88:
	s_waitcnt lgkmcnt(14)
	global_store_short v[0:1], v17, off offset:1152
	s_or_b64 exec, exec, s[0:1]
	s_and_saveexec_b64 s[0:1], s[18:19]
	s_cbranch_execz .LBB2875_65
.LBB2875_89:
	s_waitcnt lgkmcnt(13)
	global_store_short v[0:1], v16, off offset:1280
	s_or_b64 exec, exec, s[0:1]
	s_and_saveexec_b64 s[0:1], s[20:21]
	s_cbranch_execz .LBB2875_66
.LBB2875_90:
	s_waitcnt lgkmcnt(12)
	global_store_short v[0:1], v15, off offset:1408
	s_or_b64 exec, exec, s[0:1]
	s_and_saveexec_b64 s[0:1], s[22:23]
	s_cbranch_execz .LBB2875_67
.LBB2875_91:
	s_waitcnt lgkmcnt(11)
	global_store_short v[0:1], v13, off offset:1536
	s_or_b64 exec, exec, s[0:1]
	s_and_saveexec_b64 s[0:1], s[24:25]
	s_cbranch_execz .LBB2875_68
.LBB2875_92:
	s_waitcnt lgkmcnt(10)
	global_store_short v[0:1], v12, off offset:1664
	s_or_b64 exec, exec, s[0:1]
	s_and_saveexec_b64 s[0:1], s[26:27]
	s_cbranch_execz .LBB2875_69
.LBB2875_93:
	s_waitcnt lgkmcnt(9)
	global_store_short v[0:1], v11, off offset:1792
	s_or_b64 exec, exec, s[0:1]
	s_and_saveexec_b64 s[0:1], s[28:29]
	s_cbranch_execz .LBB2875_70
.LBB2875_94:
	s_waitcnt lgkmcnt(8)
	global_store_short v[0:1], v10, off offset:1920
	s_or_b64 exec, exec, s[0:1]
	s_and_saveexec_b64 s[0:1], s[30:31]
	s_cbranch_execz .LBB2875_71
.LBB2875_95:
	s_waitcnt lgkmcnt(1)
	global_store_short v[0:1], v9, off offset:2048
	s_or_b64 exec, exec, s[0:1]
	s_and_saveexec_b64 s[0:1], s[34:35]
	s_cbranch_execz .LBB2875_72
.LBB2875_96:
	s_waitcnt lgkmcnt(7)
	global_store_short v[0:1], v8, off offset:2176
	s_or_b64 exec, exec, s[0:1]
	s_and_saveexec_b64 s[0:1], s[36:37]
	s_cbranch_execz .LBB2875_73
.LBB2875_97:
	s_waitcnt lgkmcnt(6)
	global_store_short v[0:1], v7, off offset:2304
	s_or_b64 exec, exec, s[0:1]
	s_and_saveexec_b64 s[0:1], s[38:39]
	s_cbranch_execz .LBB2875_74
.LBB2875_98:
	s_waitcnt lgkmcnt(5)
	global_store_short v[0:1], v6, off offset:2432
	s_or_b64 exec, exec, s[0:1]
	s_and_saveexec_b64 s[0:1], s[40:41]
	s_cbranch_execz .LBB2875_75
.LBB2875_99:
	s_waitcnt lgkmcnt(4)
	global_store_short v[0:1], v5, off offset:2560
	s_or_b64 exec, exec, s[0:1]
	s_and_saveexec_b64 s[0:1], s[42:43]
	s_cbranch_execz .LBB2875_76
.LBB2875_100:
	s_waitcnt lgkmcnt(3)
	global_store_short v[0:1], v4, off offset:2688
	s_or_b64 exec, exec, s[0:1]
	s_and_saveexec_b64 s[0:1], s[44:45]
	s_cbranch_execz .LBB2875_77
.LBB2875_101:
	s_waitcnt lgkmcnt(2)
	global_store_short v[0:1], v3, off offset:2816
	s_or_b64 exec, exec, s[0:1]
	s_and_saveexec_b64 s[0:1], s[46:47]
	s_cbranch_execz .LBB2875_78
.LBB2875_102:
	s_waitcnt lgkmcnt(0)
	global_store_short v[0:1], v2, off offset:2944
	s_endpgm
	.section	.rodata,"a",@progbits
	.p2align	6, 0x0
	.amdhsa_kernel _ZN7rocprim17ROCPRIM_400000_NS6detail17trampoline_kernelINS0_14default_configENS1_20scan_config_selectorIsEEZZNS1_9scan_implILNS1_25lookback_scan_determinismE0ELb0ELb0ES3_N6thrust23THRUST_200600_302600_NS6detail15normal_iteratorINS9_10device_ptrIsEEEESE_s11max_functorIsEsEEDaPvRmT3_T4_T5_mT6_P12ihipStream_tbENKUlT_T0_E_clISt17integral_constantIbLb1EESU_EEDaSP_SQ_EUlSP_E0_NS1_11comp_targetILNS1_3genE4ELNS1_11target_archE910ELNS1_3gpuE8ELNS1_3repE0EEENS1_30default_config_static_selectorELNS0_4arch9wavefront6targetE1EEEvT1_
		.amdhsa_group_segment_fixed_size 3072
		.amdhsa_private_segment_fixed_size 0
		.amdhsa_kernarg_size 32
		.amdhsa_user_sgpr_count 6
		.amdhsa_user_sgpr_private_segment_buffer 1
		.amdhsa_user_sgpr_dispatch_ptr 0
		.amdhsa_user_sgpr_queue_ptr 0
		.amdhsa_user_sgpr_kernarg_segment_ptr 1
		.amdhsa_user_sgpr_dispatch_id 0
		.amdhsa_user_sgpr_flat_scratch_init 0
		.amdhsa_user_sgpr_kernarg_preload_length 0
		.amdhsa_user_sgpr_kernarg_preload_offset 0
		.amdhsa_user_sgpr_private_segment_size 0
		.amdhsa_uses_dynamic_stack 0
		.amdhsa_system_sgpr_private_segment_wavefront_offset 0
		.amdhsa_system_sgpr_workgroup_id_x 1
		.amdhsa_system_sgpr_workgroup_id_y 0
		.amdhsa_system_sgpr_workgroup_id_z 0
		.amdhsa_system_sgpr_workgroup_info 0
		.amdhsa_system_vgpr_workitem_id 0
		.amdhsa_next_free_vgpr 43
		.amdhsa_next_free_sgpr 56
		.amdhsa_accum_offset 44
		.amdhsa_reserve_vcc 1
		.amdhsa_reserve_flat_scratch 0
		.amdhsa_float_round_mode_32 0
		.amdhsa_float_round_mode_16_64 0
		.amdhsa_float_denorm_mode_32 3
		.amdhsa_float_denorm_mode_16_64 3
		.amdhsa_dx10_clamp 1
		.amdhsa_ieee_mode 1
		.amdhsa_fp16_overflow 0
		.amdhsa_tg_split 0
		.amdhsa_exception_fp_ieee_invalid_op 0
		.amdhsa_exception_fp_denorm_src 0
		.amdhsa_exception_fp_ieee_div_zero 0
		.amdhsa_exception_fp_ieee_overflow 0
		.amdhsa_exception_fp_ieee_underflow 0
		.amdhsa_exception_fp_ieee_inexact 0
		.amdhsa_exception_int_div_zero 0
	.end_amdhsa_kernel
	.section	.text._ZN7rocprim17ROCPRIM_400000_NS6detail17trampoline_kernelINS0_14default_configENS1_20scan_config_selectorIsEEZZNS1_9scan_implILNS1_25lookback_scan_determinismE0ELb0ELb0ES3_N6thrust23THRUST_200600_302600_NS6detail15normal_iteratorINS9_10device_ptrIsEEEESE_s11max_functorIsEsEEDaPvRmT3_T4_T5_mT6_P12ihipStream_tbENKUlT_T0_E_clISt17integral_constantIbLb1EESU_EEDaSP_SQ_EUlSP_E0_NS1_11comp_targetILNS1_3genE4ELNS1_11target_archE910ELNS1_3gpuE8ELNS1_3repE0EEENS1_30default_config_static_selectorELNS0_4arch9wavefront6targetE1EEEvT1_,"axG",@progbits,_ZN7rocprim17ROCPRIM_400000_NS6detail17trampoline_kernelINS0_14default_configENS1_20scan_config_selectorIsEEZZNS1_9scan_implILNS1_25lookback_scan_determinismE0ELb0ELb0ES3_N6thrust23THRUST_200600_302600_NS6detail15normal_iteratorINS9_10device_ptrIsEEEESE_s11max_functorIsEsEEDaPvRmT3_T4_T5_mT6_P12ihipStream_tbENKUlT_T0_E_clISt17integral_constantIbLb1EESU_EEDaSP_SQ_EUlSP_E0_NS1_11comp_targetILNS1_3genE4ELNS1_11target_archE910ELNS1_3gpuE8ELNS1_3repE0EEENS1_30default_config_static_selectorELNS0_4arch9wavefront6targetE1EEEvT1_,comdat
.Lfunc_end2875:
	.size	_ZN7rocprim17ROCPRIM_400000_NS6detail17trampoline_kernelINS0_14default_configENS1_20scan_config_selectorIsEEZZNS1_9scan_implILNS1_25lookback_scan_determinismE0ELb0ELb0ES3_N6thrust23THRUST_200600_302600_NS6detail15normal_iteratorINS9_10device_ptrIsEEEESE_s11max_functorIsEsEEDaPvRmT3_T4_T5_mT6_P12ihipStream_tbENKUlT_T0_E_clISt17integral_constantIbLb1EESU_EEDaSP_SQ_EUlSP_E0_NS1_11comp_targetILNS1_3genE4ELNS1_11target_archE910ELNS1_3gpuE8ELNS1_3repE0EEENS1_30default_config_static_selectorELNS0_4arch9wavefront6targetE1EEEvT1_, .Lfunc_end2875-_ZN7rocprim17ROCPRIM_400000_NS6detail17trampoline_kernelINS0_14default_configENS1_20scan_config_selectorIsEEZZNS1_9scan_implILNS1_25lookback_scan_determinismE0ELb0ELb0ES3_N6thrust23THRUST_200600_302600_NS6detail15normal_iteratorINS9_10device_ptrIsEEEESE_s11max_functorIsEsEEDaPvRmT3_T4_T5_mT6_P12ihipStream_tbENKUlT_T0_E_clISt17integral_constantIbLb1EESU_EEDaSP_SQ_EUlSP_E0_NS1_11comp_targetILNS1_3genE4ELNS1_11target_archE910ELNS1_3gpuE8ELNS1_3repE0EEENS1_30default_config_static_selectorELNS0_4arch9wavefront6targetE1EEEvT1_
                                        ; -- End function
	.section	.AMDGPU.csdata,"",@progbits
; Kernel info:
; codeLenInByte = 3120
; NumSgprs: 60
; NumVgprs: 43
; NumAgprs: 0
; TotalNumVgprs: 43
; ScratchSize: 0
; MemoryBound: 0
; FloatMode: 240
; IeeeMode: 1
; LDSByteSize: 3072 bytes/workgroup (compile time only)
; SGPRBlocks: 7
; VGPRBlocks: 5
; NumSGPRsForWavesPerEU: 60
; NumVGPRsForWavesPerEU: 43
; AccumOffset: 44
; Occupancy: 6
; WaveLimiterHint : 0
; COMPUTE_PGM_RSRC2:SCRATCH_EN: 0
; COMPUTE_PGM_RSRC2:USER_SGPR: 6
; COMPUTE_PGM_RSRC2:TRAP_HANDLER: 0
; COMPUTE_PGM_RSRC2:TGID_X_EN: 1
; COMPUTE_PGM_RSRC2:TGID_Y_EN: 0
; COMPUTE_PGM_RSRC2:TGID_Z_EN: 0
; COMPUTE_PGM_RSRC2:TIDIG_COMP_CNT: 0
; COMPUTE_PGM_RSRC3_GFX90A:ACCUM_OFFSET: 10
; COMPUTE_PGM_RSRC3_GFX90A:TG_SPLIT: 0
	.section	.text._ZN7rocprim17ROCPRIM_400000_NS6detail17trampoline_kernelINS0_14default_configENS1_20scan_config_selectorIsEEZZNS1_9scan_implILNS1_25lookback_scan_determinismE0ELb0ELb0ES3_N6thrust23THRUST_200600_302600_NS6detail15normal_iteratorINS9_10device_ptrIsEEEESE_s11max_functorIsEsEEDaPvRmT3_T4_T5_mT6_P12ihipStream_tbENKUlT_T0_E_clISt17integral_constantIbLb1EESU_EEDaSP_SQ_EUlSP_E0_NS1_11comp_targetILNS1_3genE3ELNS1_11target_archE908ELNS1_3gpuE7ELNS1_3repE0EEENS1_30default_config_static_selectorELNS0_4arch9wavefront6targetE1EEEvT1_,"axG",@progbits,_ZN7rocprim17ROCPRIM_400000_NS6detail17trampoline_kernelINS0_14default_configENS1_20scan_config_selectorIsEEZZNS1_9scan_implILNS1_25lookback_scan_determinismE0ELb0ELb0ES3_N6thrust23THRUST_200600_302600_NS6detail15normal_iteratorINS9_10device_ptrIsEEEESE_s11max_functorIsEsEEDaPvRmT3_T4_T5_mT6_P12ihipStream_tbENKUlT_T0_E_clISt17integral_constantIbLb1EESU_EEDaSP_SQ_EUlSP_E0_NS1_11comp_targetILNS1_3genE3ELNS1_11target_archE908ELNS1_3gpuE7ELNS1_3repE0EEENS1_30default_config_static_selectorELNS0_4arch9wavefront6targetE1EEEvT1_,comdat
	.protected	_ZN7rocprim17ROCPRIM_400000_NS6detail17trampoline_kernelINS0_14default_configENS1_20scan_config_selectorIsEEZZNS1_9scan_implILNS1_25lookback_scan_determinismE0ELb0ELb0ES3_N6thrust23THRUST_200600_302600_NS6detail15normal_iteratorINS9_10device_ptrIsEEEESE_s11max_functorIsEsEEDaPvRmT3_T4_T5_mT6_P12ihipStream_tbENKUlT_T0_E_clISt17integral_constantIbLb1EESU_EEDaSP_SQ_EUlSP_E0_NS1_11comp_targetILNS1_3genE3ELNS1_11target_archE908ELNS1_3gpuE7ELNS1_3repE0EEENS1_30default_config_static_selectorELNS0_4arch9wavefront6targetE1EEEvT1_ ; -- Begin function _ZN7rocprim17ROCPRIM_400000_NS6detail17trampoline_kernelINS0_14default_configENS1_20scan_config_selectorIsEEZZNS1_9scan_implILNS1_25lookback_scan_determinismE0ELb0ELb0ES3_N6thrust23THRUST_200600_302600_NS6detail15normal_iteratorINS9_10device_ptrIsEEEESE_s11max_functorIsEsEEDaPvRmT3_T4_T5_mT6_P12ihipStream_tbENKUlT_T0_E_clISt17integral_constantIbLb1EESU_EEDaSP_SQ_EUlSP_E0_NS1_11comp_targetILNS1_3genE3ELNS1_11target_archE908ELNS1_3gpuE7ELNS1_3repE0EEENS1_30default_config_static_selectorELNS0_4arch9wavefront6targetE1EEEvT1_
	.globl	_ZN7rocprim17ROCPRIM_400000_NS6detail17trampoline_kernelINS0_14default_configENS1_20scan_config_selectorIsEEZZNS1_9scan_implILNS1_25lookback_scan_determinismE0ELb0ELb0ES3_N6thrust23THRUST_200600_302600_NS6detail15normal_iteratorINS9_10device_ptrIsEEEESE_s11max_functorIsEsEEDaPvRmT3_T4_T5_mT6_P12ihipStream_tbENKUlT_T0_E_clISt17integral_constantIbLb1EESU_EEDaSP_SQ_EUlSP_E0_NS1_11comp_targetILNS1_3genE3ELNS1_11target_archE908ELNS1_3gpuE7ELNS1_3repE0EEENS1_30default_config_static_selectorELNS0_4arch9wavefront6targetE1EEEvT1_
	.p2align	8
	.type	_ZN7rocprim17ROCPRIM_400000_NS6detail17trampoline_kernelINS0_14default_configENS1_20scan_config_selectorIsEEZZNS1_9scan_implILNS1_25lookback_scan_determinismE0ELb0ELb0ES3_N6thrust23THRUST_200600_302600_NS6detail15normal_iteratorINS9_10device_ptrIsEEEESE_s11max_functorIsEsEEDaPvRmT3_T4_T5_mT6_P12ihipStream_tbENKUlT_T0_E_clISt17integral_constantIbLb1EESU_EEDaSP_SQ_EUlSP_E0_NS1_11comp_targetILNS1_3genE3ELNS1_11target_archE908ELNS1_3gpuE7ELNS1_3repE0EEENS1_30default_config_static_selectorELNS0_4arch9wavefront6targetE1EEEvT1_,@function
_ZN7rocprim17ROCPRIM_400000_NS6detail17trampoline_kernelINS0_14default_configENS1_20scan_config_selectorIsEEZZNS1_9scan_implILNS1_25lookback_scan_determinismE0ELb0ELb0ES3_N6thrust23THRUST_200600_302600_NS6detail15normal_iteratorINS9_10device_ptrIsEEEESE_s11max_functorIsEsEEDaPvRmT3_T4_T5_mT6_P12ihipStream_tbENKUlT_T0_E_clISt17integral_constantIbLb1EESU_EEDaSP_SQ_EUlSP_E0_NS1_11comp_targetILNS1_3genE3ELNS1_11target_archE908ELNS1_3gpuE7ELNS1_3repE0EEENS1_30default_config_static_selectorELNS0_4arch9wavefront6targetE1EEEvT1_: ; @_ZN7rocprim17ROCPRIM_400000_NS6detail17trampoline_kernelINS0_14default_configENS1_20scan_config_selectorIsEEZZNS1_9scan_implILNS1_25lookback_scan_determinismE0ELb0ELb0ES3_N6thrust23THRUST_200600_302600_NS6detail15normal_iteratorINS9_10device_ptrIsEEEESE_s11max_functorIsEsEEDaPvRmT3_T4_T5_mT6_P12ihipStream_tbENKUlT_T0_E_clISt17integral_constantIbLb1EESU_EEDaSP_SQ_EUlSP_E0_NS1_11comp_targetILNS1_3genE3ELNS1_11target_archE908ELNS1_3gpuE7ELNS1_3repE0EEENS1_30default_config_static_selectorELNS0_4arch9wavefront6targetE1EEEvT1_
; %bb.0:
	.section	.rodata,"a",@progbits
	.p2align	6, 0x0
	.amdhsa_kernel _ZN7rocprim17ROCPRIM_400000_NS6detail17trampoline_kernelINS0_14default_configENS1_20scan_config_selectorIsEEZZNS1_9scan_implILNS1_25lookback_scan_determinismE0ELb0ELb0ES3_N6thrust23THRUST_200600_302600_NS6detail15normal_iteratorINS9_10device_ptrIsEEEESE_s11max_functorIsEsEEDaPvRmT3_T4_T5_mT6_P12ihipStream_tbENKUlT_T0_E_clISt17integral_constantIbLb1EESU_EEDaSP_SQ_EUlSP_E0_NS1_11comp_targetILNS1_3genE3ELNS1_11target_archE908ELNS1_3gpuE7ELNS1_3repE0EEENS1_30default_config_static_selectorELNS0_4arch9wavefront6targetE1EEEvT1_
		.amdhsa_group_segment_fixed_size 0
		.amdhsa_private_segment_fixed_size 0
		.amdhsa_kernarg_size 32
		.amdhsa_user_sgpr_count 6
		.amdhsa_user_sgpr_private_segment_buffer 1
		.amdhsa_user_sgpr_dispatch_ptr 0
		.amdhsa_user_sgpr_queue_ptr 0
		.amdhsa_user_sgpr_kernarg_segment_ptr 1
		.amdhsa_user_sgpr_dispatch_id 0
		.amdhsa_user_sgpr_flat_scratch_init 0
		.amdhsa_user_sgpr_kernarg_preload_length 0
		.amdhsa_user_sgpr_kernarg_preload_offset 0
		.amdhsa_user_sgpr_private_segment_size 0
		.amdhsa_uses_dynamic_stack 0
		.amdhsa_system_sgpr_private_segment_wavefront_offset 0
		.amdhsa_system_sgpr_workgroup_id_x 1
		.amdhsa_system_sgpr_workgroup_id_y 0
		.amdhsa_system_sgpr_workgroup_id_z 0
		.amdhsa_system_sgpr_workgroup_info 0
		.amdhsa_system_vgpr_workitem_id 0
		.amdhsa_next_free_vgpr 1
		.amdhsa_next_free_sgpr 0
		.amdhsa_accum_offset 4
		.amdhsa_reserve_vcc 0
		.amdhsa_reserve_flat_scratch 0
		.amdhsa_float_round_mode_32 0
		.amdhsa_float_round_mode_16_64 0
		.amdhsa_float_denorm_mode_32 3
		.amdhsa_float_denorm_mode_16_64 3
		.amdhsa_dx10_clamp 1
		.amdhsa_ieee_mode 1
		.amdhsa_fp16_overflow 0
		.amdhsa_tg_split 0
		.amdhsa_exception_fp_ieee_invalid_op 0
		.amdhsa_exception_fp_denorm_src 0
		.amdhsa_exception_fp_ieee_div_zero 0
		.amdhsa_exception_fp_ieee_overflow 0
		.amdhsa_exception_fp_ieee_underflow 0
		.amdhsa_exception_fp_ieee_inexact 0
		.amdhsa_exception_int_div_zero 0
	.end_amdhsa_kernel
	.section	.text._ZN7rocprim17ROCPRIM_400000_NS6detail17trampoline_kernelINS0_14default_configENS1_20scan_config_selectorIsEEZZNS1_9scan_implILNS1_25lookback_scan_determinismE0ELb0ELb0ES3_N6thrust23THRUST_200600_302600_NS6detail15normal_iteratorINS9_10device_ptrIsEEEESE_s11max_functorIsEsEEDaPvRmT3_T4_T5_mT6_P12ihipStream_tbENKUlT_T0_E_clISt17integral_constantIbLb1EESU_EEDaSP_SQ_EUlSP_E0_NS1_11comp_targetILNS1_3genE3ELNS1_11target_archE908ELNS1_3gpuE7ELNS1_3repE0EEENS1_30default_config_static_selectorELNS0_4arch9wavefront6targetE1EEEvT1_,"axG",@progbits,_ZN7rocprim17ROCPRIM_400000_NS6detail17trampoline_kernelINS0_14default_configENS1_20scan_config_selectorIsEEZZNS1_9scan_implILNS1_25lookback_scan_determinismE0ELb0ELb0ES3_N6thrust23THRUST_200600_302600_NS6detail15normal_iteratorINS9_10device_ptrIsEEEESE_s11max_functorIsEsEEDaPvRmT3_T4_T5_mT6_P12ihipStream_tbENKUlT_T0_E_clISt17integral_constantIbLb1EESU_EEDaSP_SQ_EUlSP_E0_NS1_11comp_targetILNS1_3genE3ELNS1_11target_archE908ELNS1_3gpuE7ELNS1_3repE0EEENS1_30default_config_static_selectorELNS0_4arch9wavefront6targetE1EEEvT1_,comdat
.Lfunc_end2876:
	.size	_ZN7rocprim17ROCPRIM_400000_NS6detail17trampoline_kernelINS0_14default_configENS1_20scan_config_selectorIsEEZZNS1_9scan_implILNS1_25lookback_scan_determinismE0ELb0ELb0ES3_N6thrust23THRUST_200600_302600_NS6detail15normal_iteratorINS9_10device_ptrIsEEEESE_s11max_functorIsEsEEDaPvRmT3_T4_T5_mT6_P12ihipStream_tbENKUlT_T0_E_clISt17integral_constantIbLb1EESU_EEDaSP_SQ_EUlSP_E0_NS1_11comp_targetILNS1_3genE3ELNS1_11target_archE908ELNS1_3gpuE7ELNS1_3repE0EEENS1_30default_config_static_selectorELNS0_4arch9wavefront6targetE1EEEvT1_, .Lfunc_end2876-_ZN7rocprim17ROCPRIM_400000_NS6detail17trampoline_kernelINS0_14default_configENS1_20scan_config_selectorIsEEZZNS1_9scan_implILNS1_25lookback_scan_determinismE0ELb0ELb0ES3_N6thrust23THRUST_200600_302600_NS6detail15normal_iteratorINS9_10device_ptrIsEEEESE_s11max_functorIsEsEEDaPvRmT3_T4_T5_mT6_P12ihipStream_tbENKUlT_T0_E_clISt17integral_constantIbLb1EESU_EEDaSP_SQ_EUlSP_E0_NS1_11comp_targetILNS1_3genE3ELNS1_11target_archE908ELNS1_3gpuE7ELNS1_3repE0EEENS1_30default_config_static_selectorELNS0_4arch9wavefront6targetE1EEEvT1_
                                        ; -- End function
	.section	.AMDGPU.csdata,"",@progbits
; Kernel info:
; codeLenInByte = 0
; NumSgprs: 4
; NumVgprs: 0
; NumAgprs: 0
; TotalNumVgprs: 0
; ScratchSize: 0
; MemoryBound: 0
; FloatMode: 240
; IeeeMode: 1
; LDSByteSize: 0 bytes/workgroup (compile time only)
; SGPRBlocks: 0
; VGPRBlocks: 0
; NumSGPRsForWavesPerEU: 4
; NumVGPRsForWavesPerEU: 1
; AccumOffset: 4
; Occupancy: 8
; WaveLimiterHint : 0
; COMPUTE_PGM_RSRC2:SCRATCH_EN: 0
; COMPUTE_PGM_RSRC2:USER_SGPR: 6
; COMPUTE_PGM_RSRC2:TRAP_HANDLER: 0
; COMPUTE_PGM_RSRC2:TGID_X_EN: 1
; COMPUTE_PGM_RSRC2:TGID_Y_EN: 0
; COMPUTE_PGM_RSRC2:TGID_Z_EN: 0
; COMPUTE_PGM_RSRC2:TIDIG_COMP_CNT: 0
; COMPUTE_PGM_RSRC3_GFX90A:ACCUM_OFFSET: 0
; COMPUTE_PGM_RSRC3_GFX90A:TG_SPLIT: 0
	.section	.text._ZN7rocprim17ROCPRIM_400000_NS6detail17trampoline_kernelINS0_14default_configENS1_20scan_config_selectorIsEEZZNS1_9scan_implILNS1_25lookback_scan_determinismE0ELb0ELb0ES3_N6thrust23THRUST_200600_302600_NS6detail15normal_iteratorINS9_10device_ptrIsEEEESE_s11max_functorIsEsEEDaPvRmT3_T4_T5_mT6_P12ihipStream_tbENKUlT_T0_E_clISt17integral_constantIbLb1EESU_EEDaSP_SQ_EUlSP_E0_NS1_11comp_targetILNS1_3genE2ELNS1_11target_archE906ELNS1_3gpuE6ELNS1_3repE0EEENS1_30default_config_static_selectorELNS0_4arch9wavefront6targetE1EEEvT1_,"axG",@progbits,_ZN7rocprim17ROCPRIM_400000_NS6detail17trampoline_kernelINS0_14default_configENS1_20scan_config_selectorIsEEZZNS1_9scan_implILNS1_25lookback_scan_determinismE0ELb0ELb0ES3_N6thrust23THRUST_200600_302600_NS6detail15normal_iteratorINS9_10device_ptrIsEEEESE_s11max_functorIsEsEEDaPvRmT3_T4_T5_mT6_P12ihipStream_tbENKUlT_T0_E_clISt17integral_constantIbLb1EESU_EEDaSP_SQ_EUlSP_E0_NS1_11comp_targetILNS1_3genE2ELNS1_11target_archE906ELNS1_3gpuE6ELNS1_3repE0EEENS1_30default_config_static_selectorELNS0_4arch9wavefront6targetE1EEEvT1_,comdat
	.protected	_ZN7rocprim17ROCPRIM_400000_NS6detail17trampoline_kernelINS0_14default_configENS1_20scan_config_selectorIsEEZZNS1_9scan_implILNS1_25lookback_scan_determinismE0ELb0ELb0ES3_N6thrust23THRUST_200600_302600_NS6detail15normal_iteratorINS9_10device_ptrIsEEEESE_s11max_functorIsEsEEDaPvRmT3_T4_T5_mT6_P12ihipStream_tbENKUlT_T0_E_clISt17integral_constantIbLb1EESU_EEDaSP_SQ_EUlSP_E0_NS1_11comp_targetILNS1_3genE2ELNS1_11target_archE906ELNS1_3gpuE6ELNS1_3repE0EEENS1_30default_config_static_selectorELNS0_4arch9wavefront6targetE1EEEvT1_ ; -- Begin function _ZN7rocprim17ROCPRIM_400000_NS6detail17trampoline_kernelINS0_14default_configENS1_20scan_config_selectorIsEEZZNS1_9scan_implILNS1_25lookback_scan_determinismE0ELb0ELb0ES3_N6thrust23THRUST_200600_302600_NS6detail15normal_iteratorINS9_10device_ptrIsEEEESE_s11max_functorIsEsEEDaPvRmT3_T4_T5_mT6_P12ihipStream_tbENKUlT_T0_E_clISt17integral_constantIbLb1EESU_EEDaSP_SQ_EUlSP_E0_NS1_11comp_targetILNS1_3genE2ELNS1_11target_archE906ELNS1_3gpuE6ELNS1_3repE0EEENS1_30default_config_static_selectorELNS0_4arch9wavefront6targetE1EEEvT1_
	.globl	_ZN7rocprim17ROCPRIM_400000_NS6detail17trampoline_kernelINS0_14default_configENS1_20scan_config_selectorIsEEZZNS1_9scan_implILNS1_25lookback_scan_determinismE0ELb0ELb0ES3_N6thrust23THRUST_200600_302600_NS6detail15normal_iteratorINS9_10device_ptrIsEEEESE_s11max_functorIsEsEEDaPvRmT3_T4_T5_mT6_P12ihipStream_tbENKUlT_T0_E_clISt17integral_constantIbLb1EESU_EEDaSP_SQ_EUlSP_E0_NS1_11comp_targetILNS1_3genE2ELNS1_11target_archE906ELNS1_3gpuE6ELNS1_3repE0EEENS1_30default_config_static_selectorELNS0_4arch9wavefront6targetE1EEEvT1_
	.p2align	8
	.type	_ZN7rocprim17ROCPRIM_400000_NS6detail17trampoline_kernelINS0_14default_configENS1_20scan_config_selectorIsEEZZNS1_9scan_implILNS1_25lookback_scan_determinismE0ELb0ELb0ES3_N6thrust23THRUST_200600_302600_NS6detail15normal_iteratorINS9_10device_ptrIsEEEESE_s11max_functorIsEsEEDaPvRmT3_T4_T5_mT6_P12ihipStream_tbENKUlT_T0_E_clISt17integral_constantIbLb1EESU_EEDaSP_SQ_EUlSP_E0_NS1_11comp_targetILNS1_3genE2ELNS1_11target_archE906ELNS1_3gpuE6ELNS1_3repE0EEENS1_30default_config_static_selectorELNS0_4arch9wavefront6targetE1EEEvT1_,@function
_ZN7rocprim17ROCPRIM_400000_NS6detail17trampoline_kernelINS0_14default_configENS1_20scan_config_selectorIsEEZZNS1_9scan_implILNS1_25lookback_scan_determinismE0ELb0ELb0ES3_N6thrust23THRUST_200600_302600_NS6detail15normal_iteratorINS9_10device_ptrIsEEEESE_s11max_functorIsEsEEDaPvRmT3_T4_T5_mT6_P12ihipStream_tbENKUlT_T0_E_clISt17integral_constantIbLb1EESU_EEDaSP_SQ_EUlSP_E0_NS1_11comp_targetILNS1_3genE2ELNS1_11target_archE906ELNS1_3gpuE6ELNS1_3repE0EEENS1_30default_config_static_selectorELNS0_4arch9wavefront6targetE1EEEvT1_: ; @_ZN7rocprim17ROCPRIM_400000_NS6detail17trampoline_kernelINS0_14default_configENS1_20scan_config_selectorIsEEZZNS1_9scan_implILNS1_25lookback_scan_determinismE0ELb0ELb0ES3_N6thrust23THRUST_200600_302600_NS6detail15normal_iteratorINS9_10device_ptrIsEEEESE_s11max_functorIsEsEEDaPvRmT3_T4_T5_mT6_P12ihipStream_tbENKUlT_T0_E_clISt17integral_constantIbLb1EESU_EEDaSP_SQ_EUlSP_E0_NS1_11comp_targetILNS1_3genE2ELNS1_11target_archE906ELNS1_3gpuE6ELNS1_3repE0EEENS1_30default_config_static_selectorELNS0_4arch9wavefront6targetE1EEEvT1_
; %bb.0:
	.section	.rodata,"a",@progbits
	.p2align	6, 0x0
	.amdhsa_kernel _ZN7rocprim17ROCPRIM_400000_NS6detail17trampoline_kernelINS0_14default_configENS1_20scan_config_selectorIsEEZZNS1_9scan_implILNS1_25lookback_scan_determinismE0ELb0ELb0ES3_N6thrust23THRUST_200600_302600_NS6detail15normal_iteratorINS9_10device_ptrIsEEEESE_s11max_functorIsEsEEDaPvRmT3_T4_T5_mT6_P12ihipStream_tbENKUlT_T0_E_clISt17integral_constantIbLb1EESU_EEDaSP_SQ_EUlSP_E0_NS1_11comp_targetILNS1_3genE2ELNS1_11target_archE906ELNS1_3gpuE6ELNS1_3repE0EEENS1_30default_config_static_selectorELNS0_4arch9wavefront6targetE1EEEvT1_
		.amdhsa_group_segment_fixed_size 0
		.amdhsa_private_segment_fixed_size 0
		.amdhsa_kernarg_size 32
		.amdhsa_user_sgpr_count 6
		.amdhsa_user_sgpr_private_segment_buffer 1
		.amdhsa_user_sgpr_dispatch_ptr 0
		.amdhsa_user_sgpr_queue_ptr 0
		.amdhsa_user_sgpr_kernarg_segment_ptr 1
		.amdhsa_user_sgpr_dispatch_id 0
		.amdhsa_user_sgpr_flat_scratch_init 0
		.amdhsa_user_sgpr_kernarg_preload_length 0
		.amdhsa_user_sgpr_kernarg_preload_offset 0
		.amdhsa_user_sgpr_private_segment_size 0
		.amdhsa_uses_dynamic_stack 0
		.amdhsa_system_sgpr_private_segment_wavefront_offset 0
		.amdhsa_system_sgpr_workgroup_id_x 1
		.amdhsa_system_sgpr_workgroup_id_y 0
		.amdhsa_system_sgpr_workgroup_id_z 0
		.amdhsa_system_sgpr_workgroup_info 0
		.amdhsa_system_vgpr_workitem_id 0
		.amdhsa_next_free_vgpr 1
		.amdhsa_next_free_sgpr 0
		.amdhsa_accum_offset 4
		.amdhsa_reserve_vcc 0
		.amdhsa_reserve_flat_scratch 0
		.amdhsa_float_round_mode_32 0
		.amdhsa_float_round_mode_16_64 0
		.amdhsa_float_denorm_mode_32 3
		.amdhsa_float_denorm_mode_16_64 3
		.amdhsa_dx10_clamp 1
		.amdhsa_ieee_mode 1
		.amdhsa_fp16_overflow 0
		.amdhsa_tg_split 0
		.amdhsa_exception_fp_ieee_invalid_op 0
		.amdhsa_exception_fp_denorm_src 0
		.amdhsa_exception_fp_ieee_div_zero 0
		.amdhsa_exception_fp_ieee_overflow 0
		.amdhsa_exception_fp_ieee_underflow 0
		.amdhsa_exception_fp_ieee_inexact 0
		.amdhsa_exception_int_div_zero 0
	.end_amdhsa_kernel
	.section	.text._ZN7rocprim17ROCPRIM_400000_NS6detail17trampoline_kernelINS0_14default_configENS1_20scan_config_selectorIsEEZZNS1_9scan_implILNS1_25lookback_scan_determinismE0ELb0ELb0ES3_N6thrust23THRUST_200600_302600_NS6detail15normal_iteratorINS9_10device_ptrIsEEEESE_s11max_functorIsEsEEDaPvRmT3_T4_T5_mT6_P12ihipStream_tbENKUlT_T0_E_clISt17integral_constantIbLb1EESU_EEDaSP_SQ_EUlSP_E0_NS1_11comp_targetILNS1_3genE2ELNS1_11target_archE906ELNS1_3gpuE6ELNS1_3repE0EEENS1_30default_config_static_selectorELNS0_4arch9wavefront6targetE1EEEvT1_,"axG",@progbits,_ZN7rocprim17ROCPRIM_400000_NS6detail17trampoline_kernelINS0_14default_configENS1_20scan_config_selectorIsEEZZNS1_9scan_implILNS1_25lookback_scan_determinismE0ELb0ELb0ES3_N6thrust23THRUST_200600_302600_NS6detail15normal_iteratorINS9_10device_ptrIsEEEESE_s11max_functorIsEsEEDaPvRmT3_T4_T5_mT6_P12ihipStream_tbENKUlT_T0_E_clISt17integral_constantIbLb1EESU_EEDaSP_SQ_EUlSP_E0_NS1_11comp_targetILNS1_3genE2ELNS1_11target_archE906ELNS1_3gpuE6ELNS1_3repE0EEENS1_30default_config_static_selectorELNS0_4arch9wavefront6targetE1EEEvT1_,comdat
.Lfunc_end2877:
	.size	_ZN7rocprim17ROCPRIM_400000_NS6detail17trampoline_kernelINS0_14default_configENS1_20scan_config_selectorIsEEZZNS1_9scan_implILNS1_25lookback_scan_determinismE0ELb0ELb0ES3_N6thrust23THRUST_200600_302600_NS6detail15normal_iteratorINS9_10device_ptrIsEEEESE_s11max_functorIsEsEEDaPvRmT3_T4_T5_mT6_P12ihipStream_tbENKUlT_T0_E_clISt17integral_constantIbLb1EESU_EEDaSP_SQ_EUlSP_E0_NS1_11comp_targetILNS1_3genE2ELNS1_11target_archE906ELNS1_3gpuE6ELNS1_3repE0EEENS1_30default_config_static_selectorELNS0_4arch9wavefront6targetE1EEEvT1_, .Lfunc_end2877-_ZN7rocprim17ROCPRIM_400000_NS6detail17trampoline_kernelINS0_14default_configENS1_20scan_config_selectorIsEEZZNS1_9scan_implILNS1_25lookback_scan_determinismE0ELb0ELb0ES3_N6thrust23THRUST_200600_302600_NS6detail15normal_iteratorINS9_10device_ptrIsEEEESE_s11max_functorIsEsEEDaPvRmT3_T4_T5_mT6_P12ihipStream_tbENKUlT_T0_E_clISt17integral_constantIbLb1EESU_EEDaSP_SQ_EUlSP_E0_NS1_11comp_targetILNS1_3genE2ELNS1_11target_archE906ELNS1_3gpuE6ELNS1_3repE0EEENS1_30default_config_static_selectorELNS0_4arch9wavefront6targetE1EEEvT1_
                                        ; -- End function
	.section	.AMDGPU.csdata,"",@progbits
; Kernel info:
; codeLenInByte = 0
; NumSgprs: 4
; NumVgprs: 0
; NumAgprs: 0
; TotalNumVgprs: 0
; ScratchSize: 0
; MemoryBound: 0
; FloatMode: 240
; IeeeMode: 1
; LDSByteSize: 0 bytes/workgroup (compile time only)
; SGPRBlocks: 0
; VGPRBlocks: 0
; NumSGPRsForWavesPerEU: 4
; NumVGPRsForWavesPerEU: 1
; AccumOffset: 4
; Occupancy: 8
; WaveLimiterHint : 0
; COMPUTE_PGM_RSRC2:SCRATCH_EN: 0
; COMPUTE_PGM_RSRC2:USER_SGPR: 6
; COMPUTE_PGM_RSRC2:TRAP_HANDLER: 0
; COMPUTE_PGM_RSRC2:TGID_X_EN: 1
; COMPUTE_PGM_RSRC2:TGID_Y_EN: 0
; COMPUTE_PGM_RSRC2:TGID_Z_EN: 0
; COMPUTE_PGM_RSRC2:TIDIG_COMP_CNT: 0
; COMPUTE_PGM_RSRC3_GFX90A:ACCUM_OFFSET: 0
; COMPUTE_PGM_RSRC3_GFX90A:TG_SPLIT: 0
	.section	.text._ZN7rocprim17ROCPRIM_400000_NS6detail17trampoline_kernelINS0_14default_configENS1_20scan_config_selectorIsEEZZNS1_9scan_implILNS1_25lookback_scan_determinismE0ELb0ELb0ES3_N6thrust23THRUST_200600_302600_NS6detail15normal_iteratorINS9_10device_ptrIsEEEESE_s11max_functorIsEsEEDaPvRmT3_T4_T5_mT6_P12ihipStream_tbENKUlT_T0_E_clISt17integral_constantIbLb1EESU_EEDaSP_SQ_EUlSP_E0_NS1_11comp_targetILNS1_3genE10ELNS1_11target_archE1201ELNS1_3gpuE5ELNS1_3repE0EEENS1_30default_config_static_selectorELNS0_4arch9wavefront6targetE1EEEvT1_,"axG",@progbits,_ZN7rocprim17ROCPRIM_400000_NS6detail17trampoline_kernelINS0_14default_configENS1_20scan_config_selectorIsEEZZNS1_9scan_implILNS1_25lookback_scan_determinismE0ELb0ELb0ES3_N6thrust23THRUST_200600_302600_NS6detail15normal_iteratorINS9_10device_ptrIsEEEESE_s11max_functorIsEsEEDaPvRmT3_T4_T5_mT6_P12ihipStream_tbENKUlT_T0_E_clISt17integral_constantIbLb1EESU_EEDaSP_SQ_EUlSP_E0_NS1_11comp_targetILNS1_3genE10ELNS1_11target_archE1201ELNS1_3gpuE5ELNS1_3repE0EEENS1_30default_config_static_selectorELNS0_4arch9wavefront6targetE1EEEvT1_,comdat
	.protected	_ZN7rocprim17ROCPRIM_400000_NS6detail17trampoline_kernelINS0_14default_configENS1_20scan_config_selectorIsEEZZNS1_9scan_implILNS1_25lookback_scan_determinismE0ELb0ELb0ES3_N6thrust23THRUST_200600_302600_NS6detail15normal_iteratorINS9_10device_ptrIsEEEESE_s11max_functorIsEsEEDaPvRmT3_T4_T5_mT6_P12ihipStream_tbENKUlT_T0_E_clISt17integral_constantIbLb1EESU_EEDaSP_SQ_EUlSP_E0_NS1_11comp_targetILNS1_3genE10ELNS1_11target_archE1201ELNS1_3gpuE5ELNS1_3repE0EEENS1_30default_config_static_selectorELNS0_4arch9wavefront6targetE1EEEvT1_ ; -- Begin function _ZN7rocprim17ROCPRIM_400000_NS6detail17trampoline_kernelINS0_14default_configENS1_20scan_config_selectorIsEEZZNS1_9scan_implILNS1_25lookback_scan_determinismE0ELb0ELb0ES3_N6thrust23THRUST_200600_302600_NS6detail15normal_iteratorINS9_10device_ptrIsEEEESE_s11max_functorIsEsEEDaPvRmT3_T4_T5_mT6_P12ihipStream_tbENKUlT_T0_E_clISt17integral_constantIbLb1EESU_EEDaSP_SQ_EUlSP_E0_NS1_11comp_targetILNS1_3genE10ELNS1_11target_archE1201ELNS1_3gpuE5ELNS1_3repE0EEENS1_30default_config_static_selectorELNS0_4arch9wavefront6targetE1EEEvT1_
	.globl	_ZN7rocprim17ROCPRIM_400000_NS6detail17trampoline_kernelINS0_14default_configENS1_20scan_config_selectorIsEEZZNS1_9scan_implILNS1_25lookback_scan_determinismE0ELb0ELb0ES3_N6thrust23THRUST_200600_302600_NS6detail15normal_iteratorINS9_10device_ptrIsEEEESE_s11max_functorIsEsEEDaPvRmT3_T4_T5_mT6_P12ihipStream_tbENKUlT_T0_E_clISt17integral_constantIbLb1EESU_EEDaSP_SQ_EUlSP_E0_NS1_11comp_targetILNS1_3genE10ELNS1_11target_archE1201ELNS1_3gpuE5ELNS1_3repE0EEENS1_30default_config_static_selectorELNS0_4arch9wavefront6targetE1EEEvT1_
	.p2align	8
	.type	_ZN7rocprim17ROCPRIM_400000_NS6detail17trampoline_kernelINS0_14default_configENS1_20scan_config_selectorIsEEZZNS1_9scan_implILNS1_25lookback_scan_determinismE0ELb0ELb0ES3_N6thrust23THRUST_200600_302600_NS6detail15normal_iteratorINS9_10device_ptrIsEEEESE_s11max_functorIsEsEEDaPvRmT3_T4_T5_mT6_P12ihipStream_tbENKUlT_T0_E_clISt17integral_constantIbLb1EESU_EEDaSP_SQ_EUlSP_E0_NS1_11comp_targetILNS1_3genE10ELNS1_11target_archE1201ELNS1_3gpuE5ELNS1_3repE0EEENS1_30default_config_static_selectorELNS0_4arch9wavefront6targetE1EEEvT1_,@function
_ZN7rocprim17ROCPRIM_400000_NS6detail17trampoline_kernelINS0_14default_configENS1_20scan_config_selectorIsEEZZNS1_9scan_implILNS1_25lookback_scan_determinismE0ELb0ELb0ES3_N6thrust23THRUST_200600_302600_NS6detail15normal_iteratorINS9_10device_ptrIsEEEESE_s11max_functorIsEsEEDaPvRmT3_T4_T5_mT6_P12ihipStream_tbENKUlT_T0_E_clISt17integral_constantIbLb1EESU_EEDaSP_SQ_EUlSP_E0_NS1_11comp_targetILNS1_3genE10ELNS1_11target_archE1201ELNS1_3gpuE5ELNS1_3repE0EEENS1_30default_config_static_selectorELNS0_4arch9wavefront6targetE1EEEvT1_: ; @_ZN7rocprim17ROCPRIM_400000_NS6detail17trampoline_kernelINS0_14default_configENS1_20scan_config_selectorIsEEZZNS1_9scan_implILNS1_25lookback_scan_determinismE0ELb0ELb0ES3_N6thrust23THRUST_200600_302600_NS6detail15normal_iteratorINS9_10device_ptrIsEEEESE_s11max_functorIsEsEEDaPvRmT3_T4_T5_mT6_P12ihipStream_tbENKUlT_T0_E_clISt17integral_constantIbLb1EESU_EEDaSP_SQ_EUlSP_E0_NS1_11comp_targetILNS1_3genE10ELNS1_11target_archE1201ELNS1_3gpuE5ELNS1_3repE0EEENS1_30default_config_static_selectorELNS0_4arch9wavefront6targetE1EEEvT1_
; %bb.0:
	.section	.rodata,"a",@progbits
	.p2align	6, 0x0
	.amdhsa_kernel _ZN7rocprim17ROCPRIM_400000_NS6detail17trampoline_kernelINS0_14default_configENS1_20scan_config_selectorIsEEZZNS1_9scan_implILNS1_25lookback_scan_determinismE0ELb0ELb0ES3_N6thrust23THRUST_200600_302600_NS6detail15normal_iteratorINS9_10device_ptrIsEEEESE_s11max_functorIsEsEEDaPvRmT3_T4_T5_mT6_P12ihipStream_tbENKUlT_T0_E_clISt17integral_constantIbLb1EESU_EEDaSP_SQ_EUlSP_E0_NS1_11comp_targetILNS1_3genE10ELNS1_11target_archE1201ELNS1_3gpuE5ELNS1_3repE0EEENS1_30default_config_static_selectorELNS0_4arch9wavefront6targetE1EEEvT1_
		.amdhsa_group_segment_fixed_size 0
		.amdhsa_private_segment_fixed_size 0
		.amdhsa_kernarg_size 32
		.amdhsa_user_sgpr_count 6
		.amdhsa_user_sgpr_private_segment_buffer 1
		.amdhsa_user_sgpr_dispatch_ptr 0
		.amdhsa_user_sgpr_queue_ptr 0
		.amdhsa_user_sgpr_kernarg_segment_ptr 1
		.amdhsa_user_sgpr_dispatch_id 0
		.amdhsa_user_sgpr_flat_scratch_init 0
		.amdhsa_user_sgpr_kernarg_preload_length 0
		.amdhsa_user_sgpr_kernarg_preload_offset 0
		.amdhsa_user_sgpr_private_segment_size 0
		.amdhsa_uses_dynamic_stack 0
		.amdhsa_system_sgpr_private_segment_wavefront_offset 0
		.amdhsa_system_sgpr_workgroup_id_x 1
		.amdhsa_system_sgpr_workgroup_id_y 0
		.amdhsa_system_sgpr_workgroup_id_z 0
		.amdhsa_system_sgpr_workgroup_info 0
		.amdhsa_system_vgpr_workitem_id 0
		.amdhsa_next_free_vgpr 1
		.amdhsa_next_free_sgpr 0
		.amdhsa_accum_offset 4
		.amdhsa_reserve_vcc 0
		.amdhsa_reserve_flat_scratch 0
		.amdhsa_float_round_mode_32 0
		.amdhsa_float_round_mode_16_64 0
		.amdhsa_float_denorm_mode_32 3
		.amdhsa_float_denorm_mode_16_64 3
		.amdhsa_dx10_clamp 1
		.amdhsa_ieee_mode 1
		.amdhsa_fp16_overflow 0
		.amdhsa_tg_split 0
		.amdhsa_exception_fp_ieee_invalid_op 0
		.amdhsa_exception_fp_denorm_src 0
		.amdhsa_exception_fp_ieee_div_zero 0
		.amdhsa_exception_fp_ieee_overflow 0
		.amdhsa_exception_fp_ieee_underflow 0
		.amdhsa_exception_fp_ieee_inexact 0
		.amdhsa_exception_int_div_zero 0
	.end_amdhsa_kernel
	.section	.text._ZN7rocprim17ROCPRIM_400000_NS6detail17trampoline_kernelINS0_14default_configENS1_20scan_config_selectorIsEEZZNS1_9scan_implILNS1_25lookback_scan_determinismE0ELb0ELb0ES3_N6thrust23THRUST_200600_302600_NS6detail15normal_iteratorINS9_10device_ptrIsEEEESE_s11max_functorIsEsEEDaPvRmT3_T4_T5_mT6_P12ihipStream_tbENKUlT_T0_E_clISt17integral_constantIbLb1EESU_EEDaSP_SQ_EUlSP_E0_NS1_11comp_targetILNS1_3genE10ELNS1_11target_archE1201ELNS1_3gpuE5ELNS1_3repE0EEENS1_30default_config_static_selectorELNS0_4arch9wavefront6targetE1EEEvT1_,"axG",@progbits,_ZN7rocprim17ROCPRIM_400000_NS6detail17trampoline_kernelINS0_14default_configENS1_20scan_config_selectorIsEEZZNS1_9scan_implILNS1_25lookback_scan_determinismE0ELb0ELb0ES3_N6thrust23THRUST_200600_302600_NS6detail15normal_iteratorINS9_10device_ptrIsEEEESE_s11max_functorIsEsEEDaPvRmT3_T4_T5_mT6_P12ihipStream_tbENKUlT_T0_E_clISt17integral_constantIbLb1EESU_EEDaSP_SQ_EUlSP_E0_NS1_11comp_targetILNS1_3genE10ELNS1_11target_archE1201ELNS1_3gpuE5ELNS1_3repE0EEENS1_30default_config_static_selectorELNS0_4arch9wavefront6targetE1EEEvT1_,comdat
.Lfunc_end2878:
	.size	_ZN7rocprim17ROCPRIM_400000_NS6detail17trampoline_kernelINS0_14default_configENS1_20scan_config_selectorIsEEZZNS1_9scan_implILNS1_25lookback_scan_determinismE0ELb0ELb0ES3_N6thrust23THRUST_200600_302600_NS6detail15normal_iteratorINS9_10device_ptrIsEEEESE_s11max_functorIsEsEEDaPvRmT3_T4_T5_mT6_P12ihipStream_tbENKUlT_T0_E_clISt17integral_constantIbLb1EESU_EEDaSP_SQ_EUlSP_E0_NS1_11comp_targetILNS1_3genE10ELNS1_11target_archE1201ELNS1_3gpuE5ELNS1_3repE0EEENS1_30default_config_static_selectorELNS0_4arch9wavefront6targetE1EEEvT1_, .Lfunc_end2878-_ZN7rocprim17ROCPRIM_400000_NS6detail17trampoline_kernelINS0_14default_configENS1_20scan_config_selectorIsEEZZNS1_9scan_implILNS1_25lookback_scan_determinismE0ELb0ELb0ES3_N6thrust23THRUST_200600_302600_NS6detail15normal_iteratorINS9_10device_ptrIsEEEESE_s11max_functorIsEsEEDaPvRmT3_T4_T5_mT6_P12ihipStream_tbENKUlT_T0_E_clISt17integral_constantIbLb1EESU_EEDaSP_SQ_EUlSP_E0_NS1_11comp_targetILNS1_3genE10ELNS1_11target_archE1201ELNS1_3gpuE5ELNS1_3repE0EEENS1_30default_config_static_selectorELNS0_4arch9wavefront6targetE1EEEvT1_
                                        ; -- End function
	.section	.AMDGPU.csdata,"",@progbits
; Kernel info:
; codeLenInByte = 0
; NumSgprs: 4
; NumVgprs: 0
; NumAgprs: 0
; TotalNumVgprs: 0
; ScratchSize: 0
; MemoryBound: 0
; FloatMode: 240
; IeeeMode: 1
; LDSByteSize: 0 bytes/workgroup (compile time only)
; SGPRBlocks: 0
; VGPRBlocks: 0
; NumSGPRsForWavesPerEU: 4
; NumVGPRsForWavesPerEU: 1
; AccumOffset: 4
; Occupancy: 8
; WaveLimiterHint : 0
; COMPUTE_PGM_RSRC2:SCRATCH_EN: 0
; COMPUTE_PGM_RSRC2:USER_SGPR: 6
; COMPUTE_PGM_RSRC2:TRAP_HANDLER: 0
; COMPUTE_PGM_RSRC2:TGID_X_EN: 1
; COMPUTE_PGM_RSRC2:TGID_Y_EN: 0
; COMPUTE_PGM_RSRC2:TGID_Z_EN: 0
; COMPUTE_PGM_RSRC2:TIDIG_COMP_CNT: 0
; COMPUTE_PGM_RSRC3_GFX90A:ACCUM_OFFSET: 0
; COMPUTE_PGM_RSRC3_GFX90A:TG_SPLIT: 0
	.section	.text._ZN7rocprim17ROCPRIM_400000_NS6detail17trampoline_kernelINS0_14default_configENS1_20scan_config_selectorIsEEZZNS1_9scan_implILNS1_25lookback_scan_determinismE0ELb0ELb0ES3_N6thrust23THRUST_200600_302600_NS6detail15normal_iteratorINS9_10device_ptrIsEEEESE_s11max_functorIsEsEEDaPvRmT3_T4_T5_mT6_P12ihipStream_tbENKUlT_T0_E_clISt17integral_constantIbLb1EESU_EEDaSP_SQ_EUlSP_E0_NS1_11comp_targetILNS1_3genE10ELNS1_11target_archE1200ELNS1_3gpuE4ELNS1_3repE0EEENS1_30default_config_static_selectorELNS0_4arch9wavefront6targetE1EEEvT1_,"axG",@progbits,_ZN7rocprim17ROCPRIM_400000_NS6detail17trampoline_kernelINS0_14default_configENS1_20scan_config_selectorIsEEZZNS1_9scan_implILNS1_25lookback_scan_determinismE0ELb0ELb0ES3_N6thrust23THRUST_200600_302600_NS6detail15normal_iteratorINS9_10device_ptrIsEEEESE_s11max_functorIsEsEEDaPvRmT3_T4_T5_mT6_P12ihipStream_tbENKUlT_T0_E_clISt17integral_constantIbLb1EESU_EEDaSP_SQ_EUlSP_E0_NS1_11comp_targetILNS1_3genE10ELNS1_11target_archE1200ELNS1_3gpuE4ELNS1_3repE0EEENS1_30default_config_static_selectorELNS0_4arch9wavefront6targetE1EEEvT1_,comdat
	.protected	_ZN7rocprim17ROCPRIM_400000_NS6detail17trampoline_kernelINS0_14default_configENS1_20scan_config_selectorIsEEZZNS1_9scan_implILNS1_25lookback_scan_determinismE0ELb0ELb0ES3_N6thrust23THRUST_200600_302600_NS6detail15normal_iteratorINS9_10device_ptrIsEEEESE_s11max_functorIsEsEEDaPvRmT3_T4_T5_mT6_P12ihipStream_tbENKUlT_T0_E_clISt17integral_constantIbLb1EESU_EEDaSP_SQ_EUlSP_E0_NS1_11comp_targetILNS1_3genE10ELNS1_11target_archE1200ELNS1_3gpuE4ELNS1_3repE0EEENS1_30default_config_static_selectorELNS0_4arch9wavefront6targetE1EEEvT1_ ; -- Begin function _ZN7rocprim17ROCPRIM_400000_NS6detail17trampoline_kernelINS0_14default_configENS1_20scan_config_selectorIsEEZZNS1_9scan_implILNS1_25lookback_scan_determinismE0ELb0ELb0ES3_N6thrust23THRUST_200600_302600_NS6detail15normal_iteratorINS9_10device_ptrIsEEEESE_s11max_functorIsEsEEDaPvRmT3_T4_T5_mT6_P12ihipStream_tbENKUlT_T0_E_clISt17integral_constantIbLb1EESU_EEDaSP_SQ_EUlSP_E0_NS1_11comp_targetILNS1_3genE10ELNS1_11target_archE1200ELNS1_3gpuE4ELNS1_3repE0EEENS1_30default_config_static_selectorELNS0_4arch9wavefront6targetE1EEEvT1_
	.globl	_ZN7rocprim17ROCPRIM_400000_NS6detail17trampoline_kernelINS0_14default_configENS1_20scan_config_selectorIsEEZZNS1_9scan_implILNS1_25lookback_scan_determinismE0ELb0ELb0ES3_N6thrust23THRUST_200600_302600_NS6detail15normal_iteratorINS9_10device_ptrIsEEEESE_s11max_functorIsEsEEDaPvRmT3_T4_T5_mT6_P12ihipStream_tbENKUlT_T0_E_clISt17integral_constantIbLb1EESU_EEDaSP_SQ_EUlSP_E0_NS1_11comp_targetILNS1_3genE10ELNS1_11target_archE1200ELNS1_3gpuE4ELNS1_3repE0EEENS1_30default_config_static_selectorELNS0_4arch9wavefront6targetE1EEEvT1_
	.p2align	8
	.type	_ZN7rocprim17ROCPRIM_400000_NS6detail17trampoline_kernelINS0_14default_configENS1_20scan_config_selectorIsEEZZNS1_9scan_implILNS1_25lookback_scan_determinismE0ELb0ELb0ES3_N6thrust23THRUST_200600_302600_NS6detail15normal_iteratorINS9_10device_ptrIsEEEESE_s11max_functorIsEsEEDaPvRmT3_T4_T5_mT6_P12ihipStream_tbENKUlT_T0_E_clISt17integral_constantIbLb1EESU_EEDaSP_SQ_EUlSP_E0_NS1_11comp_targetILNS1_3genE10ELNS1_11target_archE1200ELNS1_3gpuE4ELNS1_3repE0EEENS1_30default_config_static_selectorELNS0_4arch9wavefront6targetE1EEEvT1_,@function
_ZN7rocprim17ROCPRIM_400000_NS6detail17trampoline_kernelINS0_14default_configENS1_20scan_config_selectorIsEEZZNS1_9scan_implILNS1_25lookback_scan_determinismE0ELb0ELb0ES3_N6thrust23THRUST_200600_302600_NS6detail15normal_iteratorINS9_10device_ptrIsEEEESE_s11max_functorIsEsEEDaPvRmT3_T4_T5_mT6_P12ihipStream_tbENKUlT_T0_E_clISt17integral_constantIbLb1EESU_EEDaSP_SQ_EUlSP_E0_NS1_11comp_targetILNS1_3genE10ELNS1_11target_archE1200ELNS1_3gpuE4ELNS1_3repE0EEENS1_30default_config_static_selectorELNS0_4arch9wavefront6targetE1EEEvT1_: ; @_ZN7rocprim17ROCPRIM_400000_NS6detail17trampoline_kernelINS0_14default_configENS1_20scan_config_selectorIsEEZZNS1_9scan_implILNS1_25lookback_scan_determinismE0ELb0ELb0ES3_N6thrust23THRUST_200600_302600_NS6detail15normal_iteratorINS9_10device_ptrIsEEEESE_s11max_functorIsEsEEDaPvRmT3_T4_T5_mT6_P12ihipStream_tbENKUlT_T0_E_clISt17integral_constantIbLb1EESU_EEDaSP_SQ_EUlSP_E0_NS1_11comp_targetILNS1_3genE10ELNS1_11target_archE1200ELNS1_3gpuE4ELNS1_3repE0EEENS1_30default_config_static_selectorELNS0_4arch9wavefront6targetE1EEEvT1_
; %bb.0:
	.section	.rodata,"a",@progbits
	.p2align	6, 0x0
	.amdhsa_kernel _ZN7rocprim17ROCPRIM_400000_NS6detail17trampoline_kernelINS0_14default_configENS1_20scan_config_selectorIsEEZZNS1_9scan_implILNS1_25lookback_scan_determinismE0ELb0ELb0ES3_N6thrust23THRUST_200600_302600_NS6detail15normal_iteratorINS9_10device_ptrIsEEEESE_s11max_functorIsEsEEDaPvRmT3_T4_T5_mT6_P12ihipStream_tbENKUlT_T0_E_clISt17integral_constantIbLb1EESU_EEDaSP_SQ_EUlSP_E0_NS1_11comp_targetILNS1_3genE10ELNS1_11target_archE1200ELNS1_3gpuE4ELNS1_3repE0EEENS1_30default_config_static_selectorELNS0_4arch9wavefront6targetE1EEEvT1_
		.amdhsa_group_segment_fixed_size 0
		.amdhsa_private_segment_fixed_size 0
		.amdhsa_kernarg_size 32
		.amdhsa_user_sgpr_count 6
		.amdhsa_user_sgpr_private_segment_buffer 1
		.amdhsa_user_sgpr_dispatch_ptr 0
		.amdhsa_user_sgpr_queue_ptr 0
		.amdhsa_user_sgpr_kernarg_segment_ptr 1
		.amdhsa_user_sgpr_dispatch_id 0
		.amdhsa_user_sgpr_flat_scratch_init 0
		.amdhsa_user_sgpr_kernarg_preload_length 0
		.amdhsa_user_sgpr_kernarg_preload_offset 0
		.amdhsa_user_sgpr_private_segment_size 0
		.amdhsa_uses_dynamic_stack 0
		.amdhsa_system_sgpr_private_segment_wavefront_offset 0
		.amdhsa_system_sgpr_workgroup_id_x 1
		.amdhsa_system_sgpr_workgroup_id_y 0
		.amdhsa_system_sgpr_workgroup_id_z 0
		.amdhsa_system_sgpr_workgroup_info 0
		.amdhsa_system_vgpr_workitem_id 0
		.amdhsa_next_free_vgpr 1
		.amdhsa_next_free_sgpr 0
		.amdhsa_accum_offset 4
		.amdhsa_reserve_vcc 0
		.amdhsa_reserve_flat_scratch 0
		.amdhsa_float_round_mode_32 0
		.amdhsa_float_round_mode_16_64 0
		.amdhsa_float_denorm_mode_32 3
		.amdhsa_float_denorm_mode_16_64 3
		.amdhsa_dx10_clamp 1
		.amdhsa_ieee_mode 1
		.amdhsa_fp16_overflow 0
		.amdhsa_tg_split 0
		.amdhsa_exception_fp_ieee_invalid_op 0
		.amdhsa_exception_fp_denorm_src 0
		.amdhsa_exception_fp_ieee_div_zero 0
		.amdhsa_exception_fp_ieee_overflow 0
		.amdhsa_exception_fp_ieee_underflow 0
		.amdhsa_exception_fp_ieee_inexact 0
		.amdhsa_exception_int_div_zero 0
	.end_amdhsa_kernel
	.section	.text._ZN7rocprim17ROCPRIM_400000_NS6detail17trampoline_kernelINS0_14default_configENS1_20scan_config_selectorIsEEZZNS1_9scan_implILNS1_25lookback_scan_determinismE0ELb0ELb0ES3_N6thrust23THRUST_200600_302600_NS6detail15normal_iteratorINS9_10device_ptrIsEEEESE_s11max_functorIsEsEEDaPvRmT3_T4_T5_mT6_P12ihipStream_tbENKUlT_T0_E_clISt17integral_constantIbLb1EESU_EEDaSP_SQ_EUlSP_E0_NS1_11comp_targetILNS1_3genE10ELNS1_11target_archE1200ELNS1_3gpuE4ELNS1_3repE0EEENS1_30default_config_static_selectorELNS0_4arch9wavefront6targetE1EEEvT1_,"axG",@progbits,_ZN7rocprim17ROCPRIM_400000_NS6detail17trampoline_kernelINS0_14default_configENS1_20scan_config_selectorIsEEZZNS1_9scan_implILNS1_25lookback_scan_determinismE0ELb0ELb0ES3_N6thrust23THRUST_200600_302600_NS6detail15normal_iteratorINS9_10device_ptrIsEEEESE_s11max_functorIsEsEEDaPvRmT3_T4_T5_mT6_P12ihipStream_tbENKUlT_T0_E_clISt17integral_constantIbLb1EESU_EEDaSP_SQ_EUlSP_E0_NS1_11comp_targetILNS1_3genE10ELNS1_11target_archE1200ELNS1_3gpuE4ELNS1_3repE0EEENS1_30default_config_static_selectorELNS0_4arch9wavefront6targetE1EEEvT1_,comdat
.Lfunc_end2879:
	.size	_ZN7rocprim17ROCPRIM_400000_NS6detail17trampoline_kernelINS0_14default_configENS1_20scan_config_selectorIsEEZZNS1_9scan_implILNS1_25lookback_scan_determinismE0ELb0ELb0ES3_N6thrust23THRUST_200600_302600_NS6detail15normal_iteratorINS9_10device_ptrIsEEEESE_s11max_functorIsEsEEDaPvRmT3_T4_T5_mT6_P12ihipStream_tbENKUlT_T0_E_clISt17integral_constantIbLb1EESU_EEDaSP_SQ_EUlSP_E0_NS1_11comp_targetILNS1_3genE10ELNS1_11target_archE1200ELNS1_3gpuE4ELNS1_3repE0EEENS1_30default_config_static_selectorELNS0_4arch9wavefront6targetE1EEEvT1_, .Lfunc_end2879-_ZN7rocprim17ROCPRIM_400000_NS6detail17trampoline_kernelINS0_14default_configENS1_20scan_config_selectorIsEEZZNS1_9scan_implILNS1_25lookback_scan_determinismE0ELb0ELb0ES3_N6thrust23THRUST_200600_302600_NS6detail15normal_iteratorINS9_10device_ptrIsEEEESE_s11max_functorIsEsEEDaPvRmT3_T4_T5_mT6_P12ihipStream_tbENKUlT_T0_E_clISt17integral_constantIbLb1EESU_EEDaSP_SQ_EUlSP_E0_NS1_11comp_targetILNS1_3genE10ELNS1_11target_archE1200ELNS1_3gpuE4ELNS1_3repE0EEENS1_30default_config_static_selectorELNS0_4arch9wavefront6targetE1EEEvT1_
                                        ; -- End function
	.section	.AMDGPU.csdata,"",@progbits
; Kernel info:
; codeLenInByte = 0
; NumSgprs: 4
; NumVgprs: 0
; NumAgprs: 0
; TotalNumVgprs: 0
; ScratchSize: 0
; MemoryBound: 0
; FloatMode: 240
; IeeeMode: 1
; LDSByteSize: 0 bytes/workgroup (compile time only)
; SGPRBlocks: 0
; VGPRBlocks: 0
; NumSGPRsForWavesPerEU: 4
; NumVGPRsForWavesPerEU: 1
; AccumOffset: 4
; Occupancy: 8
; WaveLimiterHint : 0
; COMPUTE_PGM_RSRC2:SCRATCH_EN: 0
; COMPUTE_PGM_RSRC2:USER_SGPR: 6
; COMPUTE_PGM_RSRC2:TRAP_HANDLER: 0
; COMPUTE_PGM_RSRC2:TGID_X_EN: 1
; COMPUTE_PGM_RSRC2:TGID_Y_EN: 0
; COMPUTE_PGM_RSRC2:TGID_Z_EN: 0
; COMPUTE_PGM_RSRC2:TIDIG_COMP_CNT: 0
; COMPUTE_PGM_RSRC3_GFX90A:ACCUM_OFFSET: 0
; COMPUTE_PGM_RSRC3_GFX90A:TG_SPLIT: 0
	.section	.text._ZN7rocprim17ROCPRIM_400000_NS6detail17trampoline_kernelINS0_14default_configENS1_20scan_config_selectorIsEEZZNS1_9scan_implILNS1_25lookback_scan_determinismE0ELb0ELb0ES3_N6thrust23THRUST_200600_302600_NS6detail15normal_iteratorINS9_10device_ptrIsEEEESE_s11max_functorIsEsEEDaPvRmT3_T4_T5_mT6_P12ihipStream_tbENKUlT_T0_E_clISt17integral_constantIbLb1EESU_EEDaSP_SQ_EUlSP_E0_NS1_11comp_targetILNS1_3genE9ELNS1_11target_archE1100ELNS1_3gpuE3ELNS1_3repE0EEENS1_30default_config_static_selectorELNS0_4arch9wavefront6targetE1EEEvT1_,"axG",@progbits,_ZN7rocprim17ROCPRIM_400000_NS6detail17trampoline_kernelINS0_14default_configENS1_20scan_config_selectorIsEEZZNS1_9scan_implILNS1_25lookback_scan_determinismE0ELb0ELb0ES3_N6thrust23THRUST_200600_302600_NS6detail15normal_iteratorINS9_10device_ptrIsEEEESE_s11max_functorIsEsEEDaPvRmT3_T4_T5_mT6_P12ihipStream_tbENKUlT_T0_E_clISt17integral_constantIbLb1EESU_EEDaSP_SQ_EUlSP_E0_NS1_11comp_targetILNS1_3genE9ELNS1_11target_archE1100ELNS1_3gpuE3ELNS1_3repE0EEENS1_30default_config_static_selectorELNS0_4arch9wavefront6targetE1EEEvT1_,comdat
	.protected	_ZN7rocprim17ROCPRIM_400000_NS6detail17trampoline_kernelINS0_14default_configENS1_20scan_config_selectorIsEEZZNS1_9scan_implILNS1_25lookback_scan_determinismE0ELb0ELb0ES3_N6thrust23THRUST_200600_302600_NS6detail15normal_iteratorINS9_10device_ptrIsEEEESE_s11max_functorIsEsEEDaPvRmT3_T4_T5_mT6_P12ihipStream_tbENKUlT_T0_E_clISt17integral_constantIbLb1EESU_EEDaSP_SQ_EUlSP_E0_NS1_11comp_targetILNS1_3genE9ELNS1_11target_archE1100ELNS1_3gpuE3ELNS1_3repE0EEENS1_30default_config_static_selectorELNS0_4arch9wavefront6targetE1EEEvT1_ ; -- Begin function _ZN7rocprim17ROCPRIM_400000_NS6detail17trampoline_kernelINS0_14default_configENS1_20scan_config_selectorIsEEZZNS1_9scan_implILNS1_25lookback_scan_determinismE0ELb0ELb0ES3_N6thrust23THRUST_200600_302600_NS6detail15normal_iteratorINS9_10device_ptrIsEEEESE_s11max_functorIsEsEEDaPvRmT3_T4_T5_mT6_P12ihipStream_tbENKUlT_T0_E_clISt17integral_constantIbLb1EESU_EEDaSP_SQ_EUlSP_E0_NS1_11comp_targetILNS1_3genE9ELNS1_11target_archE1100ELNS1_3gpuE3ELNS1_3repE0EEENS1_30default_config_static_selectorELNS0_4arch9wavefront6targetE1EEEvT1_
	.globl	_ZN7rocprim17ROCPRIM_400000_NS6detail17trampoline_kernelINS0_14default_configENS1_20scan_config_selectorIsEEZZNS1_9scan_implILNS1_25lookback_scan_determinismE0ELb0ELb0ES3_N6thrust23THRUST_200600_302600_NS6detail15normal_iteratorINS9_10device_ptrIsEEEESE_s11max_functorIsEsEEDaPvRmT3_T4_T5_mT6_P12ihipStream_tbENKUlT_T0_E_clISt17integral_constantIbLb1EESU_EEDaSP_SQ_EUlSP_E0_NS1_11comp_targetILNS1_3genE9ELNS1_11target_archE1100ELNS1_3gpuE3ELNS1_3repE0EEENS1_30default_config_static_selectorELNS0_4arch9wavefront6targetE1EEEvT1_
	.p2align	8
	.type	_ZN7rocprim17ROCPRIM_400000_NS6detail17trampoline_kernelINS0_14default_configENS1_20scan_config_selectorIsEEZZNS1_9scan_implILNS1_25lookback_scan_determinismE0ELb0ELb0ES3_N6thrust23THRUST_200600_302600_NS6detail15normal_iteratorINS9_10device_ptrIsEEEESE_s11max_functorIsEsEEDaPvRmT3_T4_T5_mT6_P12ihipStream_tbENKUlT_T0_E_clISt17integral_constantIbLb1EESU_EEDaSP_SQ_EUlSP_E0_NS1_11comp_targetILNS1_3genE9ELNS1_11target_archE1100ELNS1_3gpuE3ELNS1_3repE0EEENS1_30default_config_static_selectorELNS0_4arch9wavefront6targetE1EEEvT1_,@function
_ZN7rocprim17ROCPRIM_400000_NS6detail17trampoline_kernelINS0_14default_configENS1_20scan_config_selectorIsEEZZNS1_9scan_implILNS1_25lookback_scan_determinismE0ELb0ELb0ES3_N6thrust23THRUST_200600_302600_NS6detail15normal_iteratorINS9_10device_ptrIsEEEESE_s11max_functorIsEsEEDaPvRmT3_T4_T5_mT6_P12ihipStream_tbENKUlT_T0_E_clISt17integral_constantIbLb1EESU_EEDaSP_SQ_EUlSP_E0_NS1_11comp_targetILNS1_3genE9ELNS1_11target_archE1100ELNS1_3gpuE3ELNS1_3repE0EEENS1_30default_config_static_selectorELNS0_4arch9wavefront6targetE1EEEvT1_: ; @_ZN7rocprim17ROCPRIM_400000_NS6detail17trampoline_kernelINS0_14default_configENS1_20scan_config_selectorIsEEZZNS1_9scan_implILNS1_25lookback_scan_determinismE0ELb0ELb0ES3_N6thrust23THRUST_200600_302600_NS6detail15normal_iteratorINS9_10device_ptrIsEEEESE_s11max_functorIsEsEEDaPvRmT3_T4_T5_mT6_P12ihipStream_tbENKUlT_T0_E_clISt17integral_constantIbLb1EESU_EEDaSP_SQ_EUlSP_E0_NS1_11comp_targetILNS1_3genE9ELNS1_11target_archE1100ELNS1_3gpuE3ELNS1_3repE0EEENS1_30default_config_static_selectorELNS0_4arch9wavefront6targetE1EEEvT1_
; %bb.0:
	.section	.rodata,"a",@progbits
	.p2align	6, 0x0
	.amdhsa_kernel _ZN7rocprim17ROCPRIM_400000_NS6detail17trampoline_kernelINS0_14default_configENS1_20scan_config_selectorIsEEZZNS1_9scan_implILNS1_25lookback_scan_determinismE0ELb0ELb0ES3_N6thrust23THRUST_200600_302600_NS6detail15normal_iteratorINS9_10device_ptrIsEEEESE_s11max_functorIsEsEEDaPvRmT3_T4_T5_mT6_P12ihipStream_tbENKUlT_T0_E_clISt17integral_constantIbLb1EESU_EEDaSP_SQ_EUlSP_E0_NS1_11comp_targetILNS1_3genE9ELNS1_11target_archE1100ELNS1_3gpuE3ELNS1_3repE0EEENS1_30default_config_static_selectorELNS0_4arch9wavefront6targetE1EEEvT1_
		.amdhsa_group_segment_fixed_size 0
		.amdhsa_private_segment_fixed_size 0
		.amdhsa_kernarg_size 32
		.amdhsa_user_sgpr_count 6
		.amdhsa_user_sgpr_private_segment_buffer 1
		.amdhsa_user_sgpr_dispatch_ptr 0
		.amdhsa_user_sgpr_queue_ptr 0
		.amdhsa_user_sgpr_kernarg_segment_ptr 1
		.amdhsa_user_sgpr_dispatch_id 0
		.amdhsa_user_sgpr_flat_scratch_init 0
		.amdhsa_user_sgpr_kernarg_preload_length 0
		.amdhsa_user_sgpr_kernarg_preload_offset 0
		.amdhsa_user_sgpr_private_segment_size 0
		.amdhsa_uses_dynamic_stack 0
		.amdhsa_system_sgpr_private_segment_wavefront_offset 0
		.amdhsa_system_sgpr_workgroup_id_x 1
		.amdhsa_system_sgpr_workgroup_id_y 0
		.amdhsa_system_sgpr_workgroup_id_z 0
		.amdhsa_system_sgpr_workgroup_info 0
		.amdhsa_system_vgpr_workitem_id 0
		.amdhsa_next_free_vgpr 1
		.amdhsa_next_free_sgpr 0
		.amdhsa_accum_offset 4
		.amdhsa_reserve_vcc 0
		.amdhsa_reserve_flat_scratch 0
		.amdhsa_float_round_mode_32 0
		.amdhsa_float_round_mode_16_64 0
		.amdhsa_float_denorm_mode_32 3
		.amdhsa_float_denorm_mode_16_64 3
		.amdhsa_dx10_clamp 1
		.amdhsa_ieee_mode 1
		.amdhsa_fp16_overflow 0
		.amdhsa_tg_split 0
		.amdhsa_exception_fp_ieee_invalid_op 0
		.amdhsa_exception_fp_denorm_src 0
		.amdhsa_exception_fp_ieee_div_zero 0
		.amdhsa_exception_fp_ieee_overflow 0
		.amdhsa_exception_fp_ieee_underflow 0
		.amdhsa_exception_fp_ieee_inexact 0
		.amdhsa_exception_int_div_zero 0
	.end_amdhsa_kernel
	.section	.text._ZN7rocprim17ROCPRIM_400000_NS6detail17trampoline_kernelINS0_14default_configENS1_20scan_config_selectorIsEEZZNS1_9scan_implILNS1_25lookback_scan_determinismE0ELb0ELb0ES3_N6thrust23THRUST_200600_302600_NS6detail15normal_iteratorINS9_10device_ptrIsEEEESE_s11max_functorIsEsEEDaPvRmT3_T4_T5_mT6_P12ihipStream_tbENKUlT_T0_E_clISt17integral_constantIbLb1EESU_EEDaSP_SQ_EUlSP_E0_NS1_11comp_targetILNS1_3genE9ELNS1_11target_archE1100ELNS1_3gpuE3ELNS1_3repE0EEENS1_30default_config_static_selectorELNS0_4arch9wavefront6targetE1EEEvT1_,"axG",@progbits,_ZN7rocprim17ROCPRIM_400000_NS6detail17trampoline_kernelINS0_14default_configENS1_20scan_config_selectorIsEEZZNS1_9scan_implILNS1_25lookback_scan_determinismE0ELb0ELb0ES3_N6thrust23THRUST_200600_302600_NS6detail15normal_iteratorINS9_10device_ptrIsEEEESE_s11max_functorIsEsEEDaPvRmT3_T4_T5_mT6_P12ihipStream_tbENKUlT_T0_E_clISt17integral_constantIbLb1EESU_EEDaSP_SQ_EUlSP_E0_NS1_11comp_targetILNS1_3genE9ELNS1_11target_archE1100ELNS1_3gpuE3ELNS1_3repE0EEENS1_30default_config_static_selectorELNS0_4arch9wavefront6targetE1EEEvT1_,comdat
.Lfunc_end2880:
	.size	_ZN7rocprim17ROCPRIM_400000_NS6detail17trampoline_kernelINS0_14default_configENS1_20scan_config_selectorIsEEZZNS1_9scan_implILNS1_25lookback_scan_determinismE0ELb0ELb0ES3_N6thrust23THRUST_200600_302600_NS6detail15normal_iteratorINS9_10device_ptrIsEEEESE_s11max_functorIsEsEEDaPvRmT3_T4_T5_mT6_P12ihipStream_tbENKUlT_T0_E_clISt17integral_constantIbLb1EESU_EEDaSP_SQ_EUlSP_E0_NS1_11comp_targetILNS1_3genE9ELNS1_11target_archE1100ELNS1_3gpuE3ELNS1_3repE0EEENS1_30default_config_static_selectorELNS0_4arch9wavefront6targetE1EEEvT1_, .Lfunc_end2880-_ZN7rocprim17ROCPRIM_400000_NS6detail17trampoline_kernelINS0_14default_configENS1_20scan_config_selectorIsEEZZNS1_9scan_implILNS1_25lookback_scan_determinismE0ELb0ELb0ES3_N6thrust23THRUST_200600_302600_NS6detail15normal_iteratorINS9_10device_ptrIsEEEESE_s11max_functorIsEsEEDaPvRmT3_T4_T5_mT6_P12ihipStream_tbENKUlT_T0_E_clISt17integral_constantIbLb1EESU_EEDaSP_SQ_EUlSP_E0_NS1_11comp_targetILNS1_3genE9ELNS1_11target_archE1100ELNS1_3gpuE3ELNS1_3repE0EEENS1_30default_config_static_selectorELNS0_4arch9wavefront6targetE1EEEvT1_
                                        ; -- End function
	.section	.AMDGPU.csdata,"",@progbits
; Kernel info:
; codeLenInByte = 0
; NumSgprs: 4
; NumVgprs: 0
; NumAgprs: 0
; TotalNumVgprs: 0
; ScratchSize: 0
; MemoryBound: 0
; FloatMode: 240
; IeeeMode: 1
; LDSByteSize: 0 bytes/workgroup (compile time only)
; SGPRBlocks: 0
; VGPRBlocks: 0
; NumSGPRsForWavesPerEU: 4
; NumVGPRsForWavesPerEU: 1
; AccumOffset: 4
; Occupancy: 8
; WaveLimiterHint : 0
; COMPUTE_PGM_RSRC2:SCRATCH_EN: 0
; COMPUTE_PGM_RSRC2:USER_SGPR: 6
; COMPUTE_PGM_RSRC2:TRAP_HANDLER: 0
; COMPUTE_PGM_RSRC2:TGID_X_EN: 1
; COMPUTE_PGM_RSRC2:TGID_Y_EN: 0
; COMPUTE_PGM_RSRC2:TGID_Z_EN: 0
; COMPUTE_PGM_RSRC2:TIDIG_COMP_CNT: 0
; COMPUTE_PGM_RSRC3_GFX90A:ACCUM_OFFSET: 0
; COMPUTE_PGM_RSRC3_GFX90A:TG_SPLIT: 0
	.section	.text._ZN7rocprim17ROCPRIM_400000_NS6detail17trampoline_kernelINS0_14default_configENS1_20scan_config_selectorIsEEZZNS1_9scan_implILNS1_25lookback_scan_determinismE0ELb0ELb0ES3_N6thrust23THRUST_200600_302600_NS6detail15normal_iteratorINS9_10device_ptrIsEEEESE_s11max_functorIsEsEEDaPvRmT3_T4_T5_mT6_P12ihipStream_tbENKUlT_T0_E_clISt17integral_constantIbLb1EESU_EEDaSP_SQ_EUlSP_E0_NS1_11comp_targetILNS1_3genE8ELNS1_11target_archE1030ELNS1_3gpuE2ELNS1_3repE0EEENS1_30default_config_static_selectorELNS0_4arch9wavefront6targetE1EEEvT1_,"axG",@progbits,_ZN7rocprim17ROCPRIM_400000_NS6detail17trampoline_kernelINS0_14default_configENS1_20scan_config_selectorIsEEZZNS1_9scan_implILNS1_25lookback_scan_determinismE0ELb0ELb0ES3_N6thrust23THRUST_200600_302600_NS6detail15normal_iteratorINS9_10device_ptrIsEEEESE_s11max_functorIsEsEEDaPvRmT3_T4_T5_mT6_P12ihipStream_tbENKUlT_T0_E_clISt17integral_constantIbLb1EESU_EEDaSP_SQ_EUlSP_E0_NS1_11comp_targetILNS1_3genE8ELNS1_11target_archE1030ELNS1_3gpuE2ELNS1_3repE0EEENS1_30default_config_static_selectorELNS0_4arch9wavefront6targetE1EEEvT1_,comdat
	.protected	_ZN7rocprim17ROCPRIM_400000_NS6detail17trampoline_kernelINS0_14default_configENS1_20scan_config_selectorIsEEZZNS1_9scan_implILNS1_25lookback_scan_determinismE0ELb0ELb0ES3_N6thrust23THRUST_200600_302600_NS6detail15normal_iteratorINS9_10device_ptrIsEEEESE_s11max_functorIsEsEEDaPvRmT3_T4_T5_mT6_P12ihipStream_tbENKUlT_T0_E_clISt17integral_constantIbLb1EESU_EEDaSP_SQ_EUlSP_E0_NS1_11comp_targetILNS1_3genE8ELNS1_11target_archE1030ELNS1_3gpuE2ELNS1_3repE0EEENS1_30default_config_static_selectorELNS0_4arch9wavefront6targetE1EEEvT1_ ; -- Begin function _ZN7rocprim17ROCPRIM_400000_NS6detail17trampoline_kernelINS0_14default_configENS1_20scan_config_selectorIsEEZZNS1_9scan_implILNS1_25lookback_scan_determinismE0ELb0ELb0ES3_N6thrust23THRUST_200600_302600_NS6detail15normal_iteratorINS9_10device_ptrIsEEEESE_s11max_functorIsEsEEDaPvRmT3_T4_T5_mT6_P12ihipStream_tbENKUlT_T0_E_clISt17integral_constantIbLb1EESU_EEDaSP_SQ_EUlSP_E0_NS1_11comp_targetILNS1_3genE8ELNS1_11target_archE1030ELNS1_3gpuE2ELNS1_3repE0EEENS1_30default_config_static_selectorELNS0_4arch9wavefront6targetE1EEEvT1_
	.globl	_ZN7rocprim17ROCPRIM_400000_NS6detail17trampoline_kernelINS0_14default_configENS1_20scan_config_selectorIsEEZZNS1_9scan_implILNS1_25lookback_scan_determinismE0ELb0ELb0ES3_N6thrust23THRUST_200600_302600_NS6detail15normal_iteratorINS9_10device_ptrIsEEEESE_s11max_functorIsEsEEDaPvRmT3_T4_T5_mT6_P12ihipStream_tbENKUlT_T0_E_clISt17integral_constantIbLb1EESU_EEDaSP_SQ_EUlSP_E0_NS1_11comp_targetILNS1_3genE8ELNS1_11target_archE1030ELNS1_3gpuE2ELNS1_3repE0EEENS1_30default_config_static_selectorELNS0_4arch9wavefront6targetE1EEEvT1_
	.p2align	8
	.type	_ZN7rocprim17ROCPRIM_400000_NS6detail17trampoline_kernelINS0_14default_configENS1_20scan_config_selectorIsEEZZNS1_9scan_implILNS1_25lookback_scan_determinismE0ELb0ELb0ES3_N6thrust23THRUST_200600_302600_NS6detail15normal_iteratorINS9_10device_ptrIsEEEESE_s11max_functorIsEsEEDaPvRmT3_T4_T5_mT6_P12ihipStream_tbENKUlT_T0_E_clISt17integral_constantIbLb1EESU_EEDaSP_SQ_EUlSP_E0_NS1_11comp_targetILNS1_3genE8ELNS1_11target_archE1030ELNS1_3gpuE2ELNS1_3repE0EEENS1_30default_config_static_selectorELNS0_4arch9wavefront6targetE1EEEvT1_,@function
_ZN7rocprim17ROCPRIM_400000_NS6detail17trampoline_kernelINS0_14default_configENS1_20scan_config_selectorIsEEZZNS1_9scan_implILNS1_25lookback_scan_determinismE0ELb0ELb0ES3_N6thrust23THRUST_200600_302600_NS6detail15normal_iteratorINS9_10device_ptrIsEEEESE_s11max_functorIsEsEEDaPvRmT3_T4_T5_mT6_P12ihipStream_tbENKUlT_T0_E_clISt17integral_constantIbLb1EESU_EEDaSP_SQ_EUlSP_E0_NS1_11comp_targetILNS1_3genE8ELNS1_11target_archE1030ELNS1_3gpuE2ELNS1_3repE0EEENS1_30default_config_static_selectorELNS0_4arch9wavefront6targetE1EEEvT1_: ; @_ZN7rocprim17ROCPRIM_400000_NS6detail17trampoline_kernelINS0_14default_configENS1_20scan_config_selectorIsEEZZNS1_9scan_implILNS1_25lookback_scan_determinismE0ELb0ELb0ES3_N6thrust23THRUST_200600_302600_NS6detail15normal_iteratorINS9_10device_ptrIsEEEESE_s11max_functorIsEsEEDaPvRmT3_T4_T5_mT6_P12ihipStream_tbENKUlT_T0_E_clISt17integral_constantIbLb1EESU_EEDaSP_SQ_EUlSP_E0_NS1_11comp_targetILNS1_3genE8ELNS1_11target_archE1030ELNS1_3gpuE2ELNS1_3repE0EEENS1_30default_config_static_selectorELNS0_4arch9wavefront6targetE1EEEvT1_
; %bb.0:
	.section	.rodata,"a",@progbits
	.p2align	6, 0x0
	.amdhsa_kernel _ZN7rocprim17ROCPRIM_400000_NS6detail17trampoline_kernelINS0_14default_configENS1_20scan_config_selectorIsEEZZNS1_9scan_implILNS1_25lookback_scan_determinismE0ELb0ELb0ES3_N6thrust23THRUST_200600_302600_NS6detail15normal_iteratorINS9_10device_ptrIsEEEESE_s11max_functorIsEsEEDaPvRmT3_T4_T5_mT6_P12ihipStream_tbENKUlT_T0_E_clISt17integral_constantIbLb1EESU_EEDaSP_SQ_EUlSP_E0_NS1_11comp_targetILNS1_3genE8ELNS1_11target_archE1030ELNS1_3gpuE2ELNS1_3repE0EEENS1_30default_config_static_selectorELNS0_4arch9wavefront6targetE1EEEvT1_
		.amdhsa_group_segment_fixed_size 0
		.amdhsa_private_segment_fixed_size 0
		.amdhsa_kernarg_size 32
		.amdhsa_user_sgpr_count 6
		.amdhsa_user_sgpr_private_segment_buffer 1
		.amdhsa_user_sgpr_dispatch_ptr 0
		.amdhsa_user_sgpr_queue_ptr 0
		.amdhsa_user_sgpr_kernarg_segment_ptr 1
		.amdhsa_user_sgpr_dispatch_id 0
		.amdhsa_user_sgpr_flat_scratch_init 0
		.amdhsa_user_sgpr_kernarg_preload_length 0
		.amdhsa_user_sgpr_kernarg_preload_offset 0
		.amdhsa_user_sgpr_private_segment_size 0
		.amdhsa_uses_dynamic_stack 0
		.amdhsa_system_sgpr_private_segment_wavefront_offset 0
		.amdhsa_system_sgpr_workgroup_id_x 1
		.amdhsa_system_sgpr_workgroup_id_y 0
		.amdhsa_system_sgpr_workgroup_id_z 0
		.amdhsa_system_sgpr_workgroup_info 0
		.amdhsa_system_vgpr_workitem_id 0
		.amdhsa_next_free_vgpr 1
		.amdhsa_next_free_sgpr 0
		.amdhsa_accum_offset 4
		.amdhsa_reserve_vcc 0
		.amdhsa_reserve_flat_scratch 0
		.amdhsa_float_round_mode_32 0
		.amdhsa_float_round_mode_16_64 0
		.amdhsa_float_denorm_mode_32 3
		.amdhsa_float_denorm_mode_16_64 3
		.amdhsa_dx10_clamp 1
		.amdhsa_ieee_mode 1
		.amdhsa_fp16_overflow 0
		.amdhsa_tg_split 0
		.amdhsa_exception_fp_ieee_invalid_op 0
		.amdhsa_exception_fp_denorm_src 0
		.amdhsa_exception_fp_ieee_div_zero 0
		.amdhsa_exception_fp_ieee_overflow 0
		.amdhsa_exception_fp_ieee_underflow 0
		.amdhsa_exception_fp_ieee_inexact 0
		.amdhsa_exception_int_div_zero 0
	.end_amdhsa_kernel
	.section	.text._ZN7rocprim17ROCPRIM_400000_NS6detail17trampoline_kernelINS0_14default_configENS1_20scan_config_selectorIsEEZZNS1_9scan_implILNS1_25lookback_scan_determinismE0ELb0ELb0ES3_N6thrust23THRUST_200600_302600_NS6detail15normal_iteratorINS9_10device_ptrIsEEEESE_s11max_functorIsEsEEDaPvRmT3_T4_T5_mT6_P12ihipStream_tbENKUlT_T0_E_clISt17integral_constantIbLb1EESU_EEDaSP_SQ_EUlSP_E0_NS1_11comp_targetILNS1_3genE8ELNS1_11target_archE1030ELNS1_3gpuE2ELNS1_3repE0EEENS1_30default_config_static_selectorELNS0_4arch9wavefront6targetE1EEEvT1_,"axG",@progbits,_ZN7rocprim17ROCPRIM_400000_NS6detail17trampoline_kernelINS0_14default_configENS1_20scan_config_selectorIsEEZZNS1_9scan_implILNS1_25lookback_scan_determinismE0ELb0ELb0ES3_N6thrust23THRUST_200600_302600_NS6detail15normal_iteratorINS9_10device_ptrIsEEEESE_s11max_functorIsEsEEDaPvRmT3_T4_T5_mT6_P12ihipStream_tbENKUlT_T0_E_clISt17integral_constantIbLb1EESU_EEDaSP_SQ_EUlSP_E0_NS1_11comp_targetILNS1_3genE8ELNS1_11target_archE1030ELNS1_3gpuE2ELNS1_3repE0EEENS1_30default_config_static_selectorELNS0_4arch9wavefront6targetE1EEEvT1_,comdat
.Lfunc_end2881:
	.size	_ZN7rocprim17ROCPRIM_400000_NS6detail17trampoline_kernelINS0_14default_configENS1_20scan_config_selectorIsEEZZNS1_9scan_implILNS1_25lookback_scan_determinismE0ELb0ELb0ES3_N6thrust23THRUST_200600_302600_NS6detail15normal_iteratorINS9_10device_ptrIsEEEESE_s11max_functorIsEsEEDaPvRmT3_T4_T5_mT6_P12ihipStream_tbENKUlT_T0_E_clISt17integral_constantIbLb1EESU_EEDaSP_SQ_EUlSP_E0_NS1_11comp_targetILNS1_3genE8ELNS1_11target_archE1030ELNS1_3gpuE2ELNS1_3repE0EEENS1_30default_config_static_selectorELNS0_4arch9wavefront6targetE1EEEvT1_, .Lfunc_end2881-_ZN7rocprim17ROCPRIM_400000_NS6detail17trampoline_kernelINS0_14default_configENS1_20scan_config_selectorIsEEZZNS1_9scan_implILNS1_25lookback_scan_determinismE0ELb0ELb0ES3_N6thrust23THRUST_200600_302600_NS6detail15normal_iteratorINS9_10device_ptrIsEEEESE_s11max_functorIsEsEEDaPvRmT3_T4_T5_mT6_P12ihipStream_tbENKUlT_T0_E_clISt17integral_constantIbLb1EESU_EEDaSP_SQ_EUlSP_E0_NS1_11comp_targetILNS1_3genE8ELNS1_11target_archE1030ELNS1_3gpuE2ELNS1_3repE0EEENS1_30default_config_static_selectorELNS0_4arch9wavefront6targetE1EEEvT1_
                                        ; -- End function
	.section	.AMDGPU.csdata,"",@progbits
; Kernel info:
; codeLenInByte = 0
; NumSgprs: 4
; NumVgprs: 0
; NumAgprs: 0
; TotalNumVgprs: 0
; ScratchSize: 0
; MemoryBound: 0
; FloatMode: 240
; IeeeMode: 1
; LDSByteSize: 0 bytes/workgroup (compile time only)
; SGPRBlocks: 0
; VGPRBlocks: 0
; NumSGPRsForWavesPerEU: 4
; NumVGPRsForWavesPerEU: 1
; AccumOffset: 4
; Occupancy: 8
; WaveLimiterHint : 0
; COMPUTE_PGM_RSRC2:SCRATCH_EN: 0
; COMPUTE_PGM_RSRC2:USER_SGPR: 6
; COMPUTE_PGM_RSRC2:TRAP_HANDLER: 0
; COMPUTE_PGM_RSRC2:TGID_X_EN: 1
; COMPUTE_PGM_RSRC2:TGID_Y_EN: 0
; COMPUTE_PGM_RSRC2:TGID_Z_EN: 0
; COMPUTE_PGM_RSRC2:TIDIG_COMP_CNT: 0
; COMPUTE_PGM_RSRC3_GFX90A:ACCUM_OFFSET: 0
; COMPUTE_PGM_RSRC3_GFX90A:TG_SPLIT: 0
	.section	.text._ZN7rocprim17ROCPRIM_400000_NS6detail17trampoline_kernelINS0_14default_configENS1_20scan_config_selectorIsEEZZNS1_9scan_implILNS1_25lookback_scan_determinismE0ELb0ELb0ES3_N6thrust23THRUST_200600_302600_NS6detail15normal_iteratorINS9_10device_ptrIsEEEESE_s11max_functorIsEsEEDaPvRmT3_T4_T5_mT6_P12ihipStream_tbENKUlT_T0_E_clISt17integral_constantIbLb1EEST_IbLb0EEEEDaSP_SQ_EUlSP_E_NS1_11comp_targetILNS1_3genE0ELNS1_11target_archE4294967295ELNS1_3gpuE0ELNS1_3repE0EEENS1_30default_config_static_selectorELNS0_4arch9wavefront6targetE1EEEvT1_,"axG",@progbits,_ZN7rocprim17ROCPRIM_400000_NS6detail17trampoline_kernelINS0_14default_configENS1_20scan_config_selectorIsEEZZNS1_9scan_implILNS1_25lookback_scan_determinismE0ELb0ELb0ES3_N6thrust23THRUST_200600_302600_NS6detail15normal_iteratorINS9_10device_ptrIsEEEESE_s11max_functorIsEsEEDaPvRmT3_T4_T5_mT6_P12ihipStream_tbENKUlT_T0_E_clISt17integral_constantIbLb1EEST_IbLb0EEEEDaSP_SQ_EUlSP_E_NS1_11comp_targetILNS1_3genE0ELNS1_11target_archE4294967295ELNS1_3gpuE0ELNS1_3repE0EEENS1_30default_config_static_selectorELNS0_4arch9wavefront6targetE1EEEvT1_,comdat
	.protected	_ZN7rocprim17ROCPRIM_400000_NS6detail17trampoline_kernelINS0_14default_configENS1_20scan_config_selectorIsEEZZNS1_9scan_implILNS1_25lookback_scan_determinismE0ELb0ELb0ES3_N6thrust23THRUST_200600_302600_NS6detail15normal_iteratorINS9_10device_ptrIsEEEESE_s11max_functorIsEsEEDaPvRmT3_T4_T5_mT6_P12ihipStream_tbENKUlT_T0_E_clISt17integral_constantIbLb1EEST_IbLb0EEEEDaSP_SQ_EUlSP_E_NS1_11comp_targetILNS1_3genE0ELNS1_11target_archE4294967295ELNS1_3gpuE0ELNS1_3repE0EEENS1_30default_config_static_selectorELNS0_4arch9wavefront6targetE1EEEvT1_ ; -- Begin function _ZN7rocprim17ROCPRIM_400000_NS6detail17trampoline_kernelINS0_14default_configENS1_20scan_config_selectorIsEEZZNS1_9scan_implILNS1_25lookback_scan_determinismE0ELb0ELb0ES3_N6thrust23THRUST_200600_302600_NS6detail15normal_iteratorINS9_10device_ptrIsEEEESE_s11max_functorIsEsEEDaPvRmT3_T4_T5_mT6_P12ihipStream_tbENKUlT_T0_E_clISt17integral_constantIbLb1EEST_IbLb0EEEEDaSP_SQ_EUlSP_E_NS1_11comp_targetILNS1_3genE0ELNS1_11target_archE4294967295ELNS1_3gpuE0ELNS1_3repE0EEENS1_30default_config_static_selectorELNS0_4arch9wavefront6targetE1EEEvT1_
	.globl	_ZN7rocprim17ROCPRIM_400000_NS6detail17trampoline_kernelINS0_14default_configENS1_20scan_config_selectorIsEEZZNS1_9scan_implILNS1_25lookback_scan_determinismE0ELb0ELb0ES3_N6thrust23THRUST_200600_302600_NS6detail15normal_iteratorINS9_10device_ptrIsEEEESE_s11max_functorIsEsEEDaPvRmT3_T4_T5_mT6_P12ihipStream_tbENKUlT_T0_E_clISt17integral_constantIbLb1EEST_IbLb0EEEEDaSP_SQ_EUlSP_E_NS1_11comp_targetILNS1_3genE0ELNS1_11target_archE4294967295ELNS1_3gpuE0ELNS1_3repE0EEENS1_30default_config_static_selectorELNS0_4arch9wavefront6targetE1EEEvT1_
	.p2align	8
	.type	_ZN7rocprim17ROCPRIM_400000_NS6detail17trampoline_kernelINS0_14default_configENS1_20scan_config_selectorIsEEZZNS1_9scan_implILNS1_25lookback_scan_determinismE0ELb0ELb0ES3_N6thrust23THRUST_200600_302600_NS6detail15normal_iteratorINS9_10device_ptrIsEEEESE_s11max_functorIsEsEEDaPvRmT3_T4_T5_mT6_P12ihipStream_tbENKUlT_T0_E_clISt17integral_constantIbLb1EEST_IbLb0EEEEDaSP_SQ_EUlSP_E_NS1_11comp_targetILNS1_3genE0ELNS1_11target_archE4294967295ELNS1_3gpuE0ELNS1_3repE0EEENS1_30default_config_static_selectorELNS0_4arch9wavefront6targetE1EEEvT1_,@function
_ZN7rocprim17ROCPRIM_400000_NS6detail17trampoline_kernelINS0_14default_configENS1_20scan_config_selectorIsEEZZNS1_9scan_implILNS1_25lookback_scan_determinismE0ELb0ELb0ES3_N6thrust23THRUST_200600_302600_NS6detail15normal_iteratorINS9_10device_ptrIsEEEESE_s11max_functorIsEsEEDaPvRmT3_T4_T5_mT6_P12ihipStream_tbENKUlT_T0_E_clISt17integral_constantIbLb1EEST_IbLb0EEEEDaSP_SQ_EUlSP_E_NS1_11comp_targetILNS1_3genE0ELNS1_11target_archE4294967295ELNS1_3gpuE0ELNS1_3repE0EEENS1_30default_config_static_selectorELNS0_4arch9wavefront6targetE1EEEvT1_: ; @_ZN7rocprim17ROCPRIM_400000_NS6detail17trampoline_kernelINS0_14default_configENS1_20scan_config_selectorIsEEZZNS1_9scan_implILNS1_25lookback_scan_determinismE0ELb0ELb0ES3_N6thrust23THRUST_200600_302600_NS6detail15normal_iteratorINS9_10device_ptrIsEEEESE_s11max_functorIsEsEEDaPvRmT3_T4_T5_mT6_P12ihipStream_tbENKUlT_T0_E_clISt17integral_constantIbLb1EEST_IbLb0EEEEDaSP_SQ_EUlSP_E_NS1_11comp_targetILNS1_3genE0ELNS1_11target_archE4294967295ELNS1_3gpuE0ELNS1_3repE0EEENS1_30default_config_static_selectorELNS0_4arch9wavefront6targetE1EEEvT1_
; %bb.0:
	.section	.rodata,"a",@progbits
	.p2align	6, 0x0
	.amdhsa_kernel _ZN7rocprim17ROCPRIM_400000_NS6detail17trampoline_kernelINS0_14default_configENS1_20scan_config_selectorIsEEZZNS1_9scan_implILNS1_25lookback_scan_determinismE0ELb0ELb0ES3_N6thrust23THRUST_200600_302600_NS6detail15normal_iteratorINS9_10device_ptrIsEEEESE_s11max_functorIsEsEEDaPvRmT3_T4_T5_mT6_P12ihipStream_tbENKUlT_T0_E_clISt17integral_constantIbLb1EEST_IbLb0EEEEDaSP_SQ_EUlSP_E_NS1_11comp_targetILNS1_3genE0ELNS1_11target_archE4294967295ELNS1_3gpuE0ELNS1_3repE0EEENS1_30default_config_static_selectorELNS0_4arch9wavefront6targetE1EEEvT1_
		.amdhsa_group_segment_fixed_size 0
		.amdhsa_private_segment_fixed_size 0
		.amdhsa_kernarg_size 96
		.amdhsa_user_sgpr_count 6
		.amdhsa_user_sgpr_private_segment_buffer 1
		.amdhsa_user_sgpr_dispatch_ptr 0
		.amdhsa_user_sgpr_queue_ptr 0
		.amdhsa_user_sgpr_kernarg_segment_ptr 1
		.amdhsa_user_sgpr_dispatch_id 0
		.amdhsa_user_sgpr_flat_scratch_init 0
		.amdhsa_user_sgpr_kernarg_preload_length 0
		.amdhsa_user_sgpr_kernarg_preload_offset 0
		.amdhsa_user_sgpr_private_segment_size 0
		.amdhsa_uses_dynamic_stack 0
		.amdhsa_system_sgpr_private_segment_wavefront_offset 0
		.amdhsa_system_sgpr_workgroup_id_x 1
		.amdhsa_system_sgpr_workgroup_id_y 0
		.amdhsa_system_sgpr_workgroup_id_z 0
		.amdhsa_system_sgpr_workgroup_info 0
		.amdhsa_system_vgpr_workitem_id 0
		.amdhsa_next_free_vgpr 1
		.amdhsa_next_free_sgpr 0
		.amdhsa_accum_offset 4
		.amdhsa_reserve_vcc 0
		.amdhsa_reserve_flat_scratch 0
		.amdhsa_float_round_mode_32 0
		.amdhsa_float_round_mode_16_64 0
		.amdhsa_float_denorm_mode_32 3
		.amdhsa_float_denorm_mode_16_64 3
		.amdhsa_dx10_clamp 1
		.amdhsa_ieee_mode 1
		.amdhsa_fp16_overflow 0
		.amdhsa_tg_split 0
		.amdhsa_exception_fp_ieee_invalid_op 0
		.amdhsa_exception_fp_denorm_src 0
		.amdhsa_exception_fp_ieee_div_zero 0
		.amdhsa_exception_fp_ieee_overflow 0
		.amdhsa_exception_fp_ieee_underflow 0
		.amdhsa_exception_fp_ieee_inexact 0
		.amdhsa_exception_int_div_zero 0
	.end_amdhsa_kernel
	.section	.text._ZN7rocprim17ROCPRIM_400000_NS6detail17trampoline_kernelINS0_14default_configENS1_20scan_config_selectorIsEEZZNS1_9scan_implILNS1_25lookback_scan_determinismE0ELb0ELb0ES3_N6thrust23THRUST_200600_302600_NS6detail15normal_iteratorINS9_10device_ptrIsEEEESE_s11max_functorIsEsEEDaPvRmT3_T4_T5_mT6_P12ihipStream_tbENKUlT_T0_E_clISt17integral_constantIbLb1EEST_IbLb0EEEEDaSP_SQ_EUlSP_E_NS1_11comp_targetILNS1_3genE0ELNS1_11target_archE4294967295ELNS1_3gpuE0ELNS1_3repE0EEENS1_30default_config_static_selectorELNS0_4arch9wavefront6targetE1EEEvT1_,"axG",@progbits,_ZN7rocprim17ROCPRIM_400000_NS6detail17trampoline_kernelINS0_14default_configENS1_20scan_config_selectorIsEEZZNS1_9scan_implILNS1_25lookback_scan_determinismE0ELb0ELb0ES3_N6thrust23THRUST_200600_302600_NS6detail15normal_iteratorINS9_10device_ptrIsEEEESE_s11max_functorIsEsEEDaPvRmT3_T4_T5_mT6_P12ihipStream_tbENKUlT_T0_E_clISt17integral_constantIbLb1EEST_IbLb0EEEEDaSP_SQ_EUlSP_E_NS1_11comp_targetILNS1_3genE0ELNS1_11target_archE4294967295ELNS1_3gpuE0ELNS1_3repE0EEENS1_30default_config_static_selectorELNS0_4arch9wavefront6targetE1EEEvT1_,comdat
.Lfunc_end2882:
	.size	_ZN7rocprim17ROCPRIM_400000_NS6detail17trampoline_kernelINS0_14default_configENS1_20scan_config_selectorIsEEZZNS1_9scan_implILNS1_25lookback_scan_determinismE0ELb0ELb0ES3_N6thrust23THRUST_200600_302600_NS6detail15normal_iteratorINS9_10device_ptrIsEEEESE_s11max_functorIsEsEEDaPvRmT3_T4_T5_mT6_P12ihipStream_tbENKUlT_T0_E_clISt17integral_constantIbLb1EEST_IbLb0EEEEDaSP_SQ_EUlSP_E_NS1_11comp_targetILNS1_3genE0ELNS1_11target_archE4294967295ELNS1_3gpuE0ELNS1_3repE0EEENS1_30default_config_static_selectorELNS0_4arch9wavefront6targetE1EEEvT1_, .Lfunc_end2882-_ZN7rocprim17ROCPRIM_400000_NS6detail17trampoline_kernelINS0_14default_configENS1_20scan_config_selectorIsEEZZNS1_9scan_implILNS1_25lookback_scan_determinismE0ELb0ELb0ES3_N6thrust23THRUST_200600_302600_NS6detail15normal_iteratorINS9_10device_ptrIsEEEESE_s11max_functorIsEsEEDaPvRmT3_T4_T5_mT6_P12ihipStream_tbENKUlT_T0_E_clISt17integral_constantIbLb1EEST_IbLb0EEEEDaSP_SQ_EUlSP_E_NS1_11comp_targetILNS1_3genE0ELNS1_11target_archE4294967295ELNS1_3gpuE0ELNS1_3repE0EEENS1_30default_config_static_selectorELNS0_4arch9wavefront6targetE1EEEvT1_
                                        ; -- End function
	.section	.AMDGPU.csdata,"",@progbits
; Kernel info:
; codeLenInByte = 0
; NumSgprs: 4
; NumVgprs: 0
; NumAgprs: 0
; TotalNumVgprs: 0
; ScratchSize: 0
; MemoryBound: 0
; FloatMode: 240
; IeeeMode: 1
; LDSByteSize: 0 bytes/workgroup (compile time only)
; SGPRBlocks: 0
; VGPRBlocks: 0
; NumSGPRsForWavesPerEU: 4
; NumVGPRsForWavesPerEU: 1
; AccumOffset: 4
; Occupancy: 8
; WaveLimiterHint : 0
; COMPUTE_PGM_RSRC2:SCRATCH_EN: 0
; COMPUTE_PGM_RSRC2:USER_SGPR: 6
; COMPUTE_PGM_RSRC2:TRAP_HANDLER: 0
; COMPUTE_PGM_RSRC2:TGID_X_EN: 1
; COMPUTE_PGM_RSRC2:TGID_Y_EN: 0
; COMPUTE_PGM_RSRC2:TGID_Z_EN: 0
; COMPUTE_PGM_RSRC2:TIDIG_COMP_CNT: 0
; COMPUTE_PGM_RSRC3_GFX90A:ACCUM_OFFSET: 0
; COMPUTE_PGM_RSRC3_GFX90A:TG_SPLIT: 0
	.section	.text._ZN7rocprim17ROCPRIM_400000_NS6detail17trampoline_kernelINS0_14default_configENS1_20scan_config_selectorIsEEZZNS1_9scan_implILNS1_25lookback_scan_determinismE0ELb0ELb0ES3_N6thrust23THRUST_200600_302600_NS6detail15normal_iteratorINS9_10device_ptrIsEEEESE_s11max_functorIsEsEEDaPvRmT3_T4_T5_mT6_P12ihipStream_tbENKUlT_T0_E_clISt17integral_constantIbLb1EEST_IbLb0EEEEDaSP_SQ_EUlSP_E_NS1_11comp_targetILNS1_3genE5ELNS1_11target_archE942ELNS1_3gpuE9ELNS1_3repE0EEENS1_30default_config_static_selectorELNS0_4arch9wavefront6targetE1EEEvT1_,"axG",@progbits,_ZN7rocprim17ROCPRIM_400000_NS6detail17trampoline_kernelINS0_14default_configENS1_20scan_config_selectorIsEEZZNS1_9scan_implILNS1_25lookback_scan_determinismE0ELb0ELb0ES3_N6thrust23THRUST_200600_302600_NS6detail15normal_iteratorINS9_10device_ptrIsEEEESE_s11max_functorIsEsEEDaPvRmT3_T4_T5_mT6_P12ihipStream_tbENKUlT_T0_E_clISt17integral_constantIbLb1EEST_IbLb0EEEEDaSP_SQ_EUlSP_E_NS1_11comp_targetILNS1_3genE5ELNS1_11target_archE942ELNS1_3gpuE9ELNS1_3repE0EEENS1_30default_config_static_selectorELNS0_4arch9wavefront6targetE1EEEvT1_,comdat
	.protected	_ZN7rocprim17ROCPRIM_400000_NS6detail17trampoline_kernelINS0_14default_configENS1_20scan_config_selectorIsEEZZNS1_9scan_implILNS1_25lookback_scan_determinismE0ELb0ELb0ES3_N6thrust23THRUST_200600_302600_NS6detail15normal_iteratorINS9_10device_ptrIsEEEESE_s11max_functorIsEsEEDaPvRmT3_T4_T5_mT6_P12ihipStream_tbENKUlT_T0_E_clISt17integral_constantIbLb1EEST_IbLb0EEEEDaSP_SQ_EUlSP_E_NS1_11comp_targetILNS1_3genE5ELNS1_11target_archE942ELNS1_3gpuE9ELNS1_3repE0EEENS1_30default_config_static_selectorELNS0_4arch9wavefront6targetE1EEEvT1_ ; -- Begin function _ZN7rocprim17ROCPRIM_400000_NS6detail17trampoline_kernelINS0_14default_configENS1_20scan_config_selectorIsEEZZNS1_9scan_implILNS1_25lookback_scan_determinismE0ELb0ELb0ES3_N6thrust23THRUST_200600_302600_NS6detail15normal_iteratorINS9_10device_ptrIsEEEESE_s11max_functorIsEsEEDaPvRmT3_T4_T5_mT6_P12ihipStream_tbENKUlT_T0_E_clISt17integral_constantIbLb1EEST_IbLb0EEEEDaSP_SQ_EUlSP_E_NS1_11comp_targetILNS1_3genE5ELNS1_11target_archE942ELNS1_3gpuE9ELNS1_3repE0EEENS1_30default_config_static_selectorELNS0_4arch9wavefront6targetE1EEEvT1_
	.globl	_ZN7rocprim17ROCPRIM_400000_NS6detail17trampoline_kernelINS0_14default_configENS1_20scan_config_selectorIsEEZZNS1_9scan_implILNS1_25lookback_scan_determinismE0ELb0ELb0ES3_N6thrust23THRUST_200600_302600_NS6detail15normal_iteratorINS9_10device_ptrIsEEEESE_s11max_functorIsEsEEDaPvRmT3_T4_T5_mT6_P12ihipStream_tbENKUlT_T0_E_clISt17integral_constantIbLb1EEST_IbLb0EEEEDaSP_SQ_EUlSP_E_NS1_11comp_targetILNS1_3genE5ELNS1_11target_archE942ELNS1_3gpuE9ELNS1_3repE0EEENS1_30default_config_static_selectorELNS0_4arch9wavefront6targetE1EEEvT1_
	.p2align	8
	.type	_ZN7rocprim17ROCPRIM_400000_NS6detail17trampoline_kernelINS0_14default_configENS1_20scan_config_selectorIsEEZZNS1_9scan_implILNS1_25lookback_scan_determinismE0ELb0ELb0ES3_N6thrust23THRUST_200600_302600_NS6detail15normal_iteratorINS9_10device_ptrIsEEEESE_s11max_functorIsEsEEDaPvRmT3_T4_T5_mT6_P12ihipStream_tbENKUlT_T0_E_clISt17integral_constantIbLb1EEST_IbLb0EEEEDaSP_SQ_EUlSP_E_NS1_11comp_targetILNS1_3genE5ELNS1_11target_archE942ELNS1_3gpuE9ELNS1_3repE0EEENS1_30default_config_static_selectorELNS0_4arch9wavefront6targetE1EEEvT1_,@function
_ZN7rocprim17ROCPRIM_400000_NS6detail17trampoline_kernelINS0_14default_configENS1_20scan_config_selectorIsEEZZNS1_9scan_implILNS1_25lookback_scan_determinismE0ELb0ELb0ES3_N6thrust23THRUST_200600_302600_NS6detail15normal_iteratorINS9_10device_ptrIsEEEESE_s11max_functorIsEsEEDaPvRmT3_T4_T5_mT6_P12ihipStream_tbENKUlT_T0_E_clISt17integral_constantIbLb1EEST_IbLb0EEEEDaSP_SQ_EUlSP_E_NS1_11comp_targetILNS1_3genE5ELNS1_11target_archE942ELNS1_3gpuE9ELNS1_3repE0EEENS1_30default_config_static_selectorELNS0_4arch9wavefront6targetE1EEEvT1_: ; @_ZN7rocprim17ROCPRIM_400000_NS6detail17trampoline_kernelINS0_14default_configENS1_20scan_config_selectorIsEEZZNS1_9scan_implILNS1_25lookback_scan_determinismE0ELb0ELb0ES3_N6thrust23THRUST_200600_302600_NS6detail15normal_iteratorINS9_10device_ptrIsEEEESE_s11max_functorIsEsEEDaPvRmT3_T4_T5_mT6_P12ihipStream_tbENKUlT_T0_E_clISt17integral_constantIbLb1EEST_IbLb0EEEEDaSP_SQ_EUlSP_E_NS1_11comp_targetILNS1_3genE5ELNS1_11target_archE942ELNS1_3gpuE9ELNS1_3repE0EEENS1_30default_config_static_selectorELNS0_4arch9wavefront6targetE1EEEvT1_
; %bb.0:
	.section	.rodata,"a",@progbits
	.p2align	6, 0x0
	.amdhsa_kernel _ZN7rocprim17ROCPRIM_400000_NS6detail17trampoline_kernelINS0_14default_configENS1_20scan_config_selectorIsEEZZNS1_9scan_implILNS1_25lookback_scan_determinismE0ELb0ELb0ES3_N6thrust23THRUST_200600_302600_NS6detail15normal_iteratorINS9_10device_ptrIsEEEESE_s11max_functorIsEsEEDaPvRmT3_T4_T5_mT6_P12ihipStream_tbENKUlT_T0_E_clISt17integral_constantIbLb1EEST_IbLb0EEEEDaSP_SQ_EUlSP_E_NS1_11comp_targetILNS1_3genE5ELNS1_11target_archE942ELNS1_3gpuE9ELNS1_3repE0EEENS1_30default_config_static_selectorELNS0_4arch9wavefront6targetE1EEEvT1_
		.amdhsa_group_segment_fixed_size 0
		.amdhsa_private_segment_fixed_size 0
		.amdhsa_kernarg_size 96
		.amdhsa_user_sgpr_count 6
		.amdhsa_user_sgpr_private_segment_buffer 1
		.amdhsa_user_sgpr_dispatch_ptr 0
		.amdhsa_user_sgpr_queue_ptr 0
		.amdhsa_user_sgpr_kernarg_segment_ptr 1
		.amdhsa_user_sgpr_dispatch_id 0
		.amdhsa_user_sgpr_flat_scratch_init 0
		.amdhsa_user_sgpr_kernarg_preload_length 0
		.amdhsa_user_sgpr_kernarg_preload_offset 0
		.amdhsa_user_sgpr_private_segment_size 0
		.amdhsa_uses_dynamic_stack 0
		.amdhsa_system_sgpr_private_segment_wavefront_offset 0
		.amdhsa_system_sgpr_workgroup_id_x 1
		.amdhsa_system_sgpr_workgroup_id_y 0
		.amdhsa_system_sgpr_workgroup_id_z 0
		.amdhsa_system_sgpr_workgroup_info 0
		.amdhsa_system_vgpr_workitem_id 0
		.amdhsa_next_free_vgpr 1
		.amdhsa_next_free_sgpr 0
		.amdhsa_accum_offset 4
		.amdhsa_reserve_vcc 0
		.amdhsa_reserve_flat_scratch 0
		.amdhsa_float_round_mode_32 0
		.amdhsa_float_round_mode_16_64 0
		.amdhsa_float_denorm_mode_32 3
		.amdhsa_float_denorm_mode_16_64 3
		.amdhsa_dx10_clamp 1
		.amdhsa_ieee_mode 1
		.amdhsa_fp16_overflow 0
		.amdhsa_tg_split 0
		.amdhsa_exception_fp_ieee_invalid_op 0
		.amdhsa_exception_fp_denorm_src 0
		.amdhsa_exception_fp_ieee_div_zero 0
		.amdhsa_exception_fp_ieee_overflow 0
		.amdhsa_exception_fp_ieee_underflow 0
		.amdhsa_exception_fp_ieee_inexact 0
		.amdhsa_exception_int_div_zero 0
	.end_amdhsa_kernel
	.section	.text._ZN7rocprim17ROCPRIM_400000_NS6detail17trampoline_kernelINS0_14default_configENS1_20scan_config_selectorIsEEZZNS1_9scan_implILNS1_25lookback_scan_determinismE0ELb0ELb0ES3_N6thrust23THRUST_200600_302600_NS6detail15normal_iteratorINS9_10device_ptrIsEEEESE_s11max_functorIsEsEEDaPvRmT3_T4_T5_mT6_P12ihipStream_tbENKUlT_T0_E_clISt17integral_constantIbLb1EEST_IbLb0EEEEDaSP_SQ_EUlSP_E_NS1_11comp_targetILNS1_3genE5ELNS1_11target_archE942ELNS1_3gpuE9ELNS1_3repE0EEENS1_30default_config_static_selectorELNS0_4arch9wavefront6targetE1EEEvT1_,"axG",@progbits,_ZN7rocprim17ROCPRIM_400000_NS6detail17trampoline_kernelINS0_14default_configENS1_20scan_config_selectorIsEEZZNS1_9scan_implILNS1_25lookback_scan_determinismE0ELb0ELb0ES3_N6thrust23THRUST_200600_302600_NS6detail15normal_iteratorINS9_10device_ptrIsEEEESE_s11max_functorIsEsEEDaPvRmT3_T4_T5_mT6_P12ihipStream_tbENKUlT_T0_E_clISt17integral_constantIbLb1EEST_IbLb0EEEEDaSP_SQ_EUlSP_E_NS1_11comp_targetILNS1_3genE5ELNS1_11target_archE942ELNS1_3gpuE9ELNS1_3repE0EEENS1_30default_config_static_selectorELNS0_4arch9wavefront6targetE1EEEvT1_,comdat
.Lfunc_end2883:
	.size	_ZN7rocprim17ROCPRIM_400000_NS6detail17trampoline_kernelINS0_14default_configENS1_20scan_config_selectorIsEEZZNS1_9scan_implILNS1_25lookback_scan_determinismE0ELb0ELb0ES3_N6thrust23THRUST_200600_302600_NS6detail15normal_iteratorINS9_10device_ptrIsEEEESE_s11max_functorIsEsEEDaPvRmT3_T4_T5_mT6_P12ihipStream_tbENKUlT_T0_E_clISt17integral_constantIbLb1EEST_IbLb0EEEEDaSP_SQ_EUlSP_E_NS1_11comp_targetILNS1_3genE5ELNS1_11target_archE942ELNS1_3gpuE9ELNS1_3repE0EEENS1_30default_config_static_selectorELNS0_4arch9wavefront6targetE1EEEvT1_, .Lfunc_end2883-_ZN7rocprim17ROCPRIM_400000_NS6detail17trampoline_kernelINS0_14default_configENS1_20scan_config_selectorIsEEZZNS1_9scan_implILNS1_25lookback_scan_determinismE0ELb0ELb0ES3_N6thrust23THRUST_200600_302600_NS6detail15normal_iteratorINS9_10device_ptrIsEEEESE_s11max_functorIsEsEEDaPvRmT3_T4_T5_mT6_P12ihipStream_tbENKUlT_T0_E_clISt17integral_constantIbLb1EEST_IbLb0EEEEDaSP_SQ_EUlSP_E_NS1_11comp_targetILNS1_3genE5ELNS1_11target_archE942ELNS1_3gpuE9ELNS1_3repE0EEENS1_30default_config_static_selectorELNS0_4arch9wavefront6targetE1EEEvT1_
                                        ; -- End function
	.section	.AMDGPU.csdata,"",@progbits
; Kernel info:
; codeLenInByte = 0
; NumSgprs: 4
; NumVgprs: 0
; NumAgprs: 0
; TotalNumVgprs: 0
; ScratchSize: 0
; MemoryBound: 0
; FloatMode: 240
; IeeeMode: 1
; LDSByteSize: 0 bytes/workgroup (compile time only)
; SGPRBlocks: 0
; VGPRBlocks: 0
; NumSGPRsForWavesPerEU: 4
; NumVGPRsForWavesPerEU: 1
; AccumOffset: 4
; Occupancy: 8
; WaveLimiterHint : 0
; COMPUTE_PGM_RSRC2:SCRATCH_EN: 0
; COMPUTE_PGM_RSRC2:USER_SGPR: 6
; COMPUTE_PGM_RSRC2:TRAP_HANDLER: 0
; COMPUTE_PGM_RSRC2:TGID_X_EN: 1
; COMPUTE_PGM_RSRC2:TGID_Y_EN: 0
; COMPUTE_PGM_RSRC2:TGID_Z_EN: 0
; COMPUTE_PGM_RSRC2:TIDIG_COMP_CNT: 0
; COMPUTE_PGM_RSRC3_GFX90A:ACCUM_OFFSET: 0
; COMPUTE_PGM_RSRC3_GFX90A:TG_SPLIT: 0
	.section	.text._ZN7rocprim17ROCPRIM_400000_NS6detail17trampoline_kernelINS0_14default_configENS1_20scan_config_selectorIsEEZZNS1_9scan_implILNS1_25lookback_scan_determinismE0ELb0ELb0ES3_N6thrust23THRUST_200600_302600_NS6detail15normal_iteratorINS9_10device_ptrIsEEEESE_s11max_functorIsEsEEDaPvRmT3_T4_T5_mT6_P12ihipStream_tbENKUlT_T0_E_clISt17integral_constantIbLb1EEST_IbLb0EEEEDaSP_SQ_EUlSP_E_NS1_11comp_targetILNS1_3genE4ELNS1_11target_archE910ELNS1_3gpuE8ELNS1_3repE0EEENS1_30default_config_static_selectorELNS0_4arch9wavefront6targetE1EEEvT1_,"axG",@progbits,_ZN7rocprim17ROCPRIM_400000_NS6detail17trampoline_kernelINS0_14default_configENS1_20scan_config_selectorIsEEZZNS1_9scan_implILNS1_25lookback_scan_determinismE0ELb0ELb0ES3_N6thrust23THRUST_200600_302600_NS6detail15normal_iteratorINS9_10device_ptrIsEEEESE_s11max_functorIsEsEEDaPvRmT3_T4_T5_mT6_P12ihipStream_tbENKUlT_T0_E_clISt17integral_constantIbLb1EEST_IbLb0EEEEDaSP_SQ_EUlSP_E_NS1_11comp_targetILNS1_3genE4ELNS1_11target_archE910ELNS1_3gpuE8ELNS1_3repE0EEENS1_30default_config_static_selectorELNS0_4arch9wavefront6targetE1EEEvT1_,comdat
	.protected	_ZN7rocprim17ROCPRIM_400000_NS6detail17trampoline_kernelINS0_14default_configENS1_20scan_config_selectorIsEEZZNS1_9scan_implILNS1_25lookback_scan_determinismE0ELb0ELb0ES3_N6thrust23THRUST_200600_302600_NS6detail15normal_iteratorINS9_10device_ptrIsEEEESE_s11max_functorIsEsEEDaPvRmT3_T4_T5_mT6_P12ihipStream_tbENKUlT_T0_E_clISt17integral_constantIbLb1EEST_IbLb0EEEEDaSP_SQ_EUlSP_E_NS1_11comp_targetILNS1_3genE4ELNS1_11target_archE910ELNS1_3gpuE8ELNS1_3repE0EEENS1_30default_config_static_selectorELNS0_4arch9wavefront6targetE1EEEvT1_ ; -- Begin function _ZN7rocprim17ROCPRIM_400000_NS6detail17trampoline_kernelINS0_14default_configENS1_20scan_config_selectorIsEEZZNS1_9scan_implILNS1_25lookback_scan_determinismE0ELb0ELb0ES3_N6thrust23THRUST_200600_302600_NS6detail15normal_iteratorINS9_10device_ptrIsEEEESE_s11max_functorIsEsEEDaPvRmT3_T4_T5_mT6_P12ihipStream_tbENKUlT_T0_E_clISt17integral_constantIbLb1EEST_IbLb0EEEEDaSP_SQ_EUlSP_E_NS1_11comp_targetILNS1_3genE4ELNS1_11target_archE910ELNS1_3gpuE8ELNS1_3repE0EEENS1_30default_config_static_selectorELNS0_4arch9wavefront6targetE1EEEvT1_
	.globl	_ZN7rocprim17ROCPRIM_400000_NS6detail17trampoline_kernelINS0_14default_configENS1_20scan_config_selectorIsEEZZNS1_9scan_implILNS1_25lookback_scan_determinismE0ELb0ELb0ES3_N6thrust23THRUST_200600_302600_NS6detail15normal_iteratorINS9_10device_ptrIsEEEESE_s11max_functorIsEsEEDaPvRmT3_T4_T5_mT6_P12ihipStream_tbENKUlT_T0_E_clISt17integral_constantIbLb1EEST_IbLb0EEEEDaSP_SQ_EUlSP_E_NS1_11comp_targetILNS1_3genE4ELNS1_11target_archE910ELNS1_3gpuE8ELNS1_3repE0EEENS1_30default_config_static_selectorELNS0_4arch9wavefront6targetE1EEEvT1_
	.p2align	8
	.type	_ZN7rocprim17ROCPRIM_400000_NS6detail17trampoline_kernelINS0_14default_configENS1_20scan_config_selectorIsEEZZNS1_9scan_implILNS1_25lookback_scan_determinismE0ELb0ELb0ES3_N6thrust23THRUST_200600_302600_NS6detail15normal_iteratorINS9_10device_ptrIsEEEESE_s11max_functorIsEsEEDaPvRmT3_T4_T5_mT6_P12ihipStream_tbENKUlT_T0_E_clISt17integral_constantIbLb1EEST_IbLb0EEEEDaSP_SQ_EUlSP_E_NS1_11comp_targetILNS1_3genE4ELNS1_11target_archE910ELNS1_3gpuE8ELNS1_3repE0EEENS1_30default_config_static_selectorELNS0_4arch9wavefront6targetE1EEEvT1_,@function
_ZN7rocprim17ROCPRIM_400000_NS6detail17trampoline_kernelINS0_14default_configENS1_20scan_config_selectorIsEEZZNS1_9scan_implILNS1_25lookback_scan_determinismE0ELb0ELb0ES3_N6thrust23THRUST_200600_302600_NS6detail15normal_iteratorINS9_10device_ptrIsEEEESE_s11max_functorIsEsEEDaPvRmT3_T4_T5_mT6_P12ihipStream_tbENKUlT_T0_E_clISt17integral_constantIbLb1EEST_IbLb0EEEEDaSP_SQ_EUlSP_E_NS1_11comp_targetILNS1_3genE4ELNS1_11target_archE910ELNS1_3gpuE8ELNS1_3repE0EEENS1_30default_config_static_selectorELNS0_4arch9wavefront6targetE1EEEvT1_: ; @_ZN7rocprim17ROCPRIM_400000_NS6detail17trampoline_kernelINS0_14default_configENS1_20scan_config_selectorIsEEZZNS1_9scan_implILNS1_25lookback_scan_determinismE0ELb0ELb0ES3_N6thrust23THRUST_200600_302600_NS6detail15normal_iteratorINS9_10device_ptrIsEEEESE_s11max_functorIsEsEEDaPvRmT3_T4_T5_mT6_P12ihipStream_tbENKUlT_T0_E_clISt17integral_constantIbLb1EEST_IbLb0EEEEDaSP_SQ_EUlSP_E_NS1_11comp_targetILNS1_3genE4ELNS1_11target_archE910ELNS1_3gpuE8ELNS1_3repE0EEENS1_30default_config_static_selectorELNS0_4arch9wavefront6targetE1EEEvT1_
; %bb.0:
	s_load_dwordx8 s[12:19], s[4:5], 0x0
	s_load_dword s1, s[4:5], 0x30
	s_mul_i32 s0, s6, 0x600
	v_lshlrev_b32_e32 v20, 1, v0
	s_waitcnt lgkmcnt(0)
	s_lshl_b64 s[14:15], s[14:15], 1
	s_add_u32 s2, s12, s14
	s_addc_u32 s3, s13, s15
	s_add_i32 s7, s1, -1
	s_mul_i32 s8, s7, 0x600
	s_sub_u32 s26, s18, s8
	s_subb_u32 s27, s19, 0
	s_mov_b32 s1, 0
	s_cmp_lg_u32 s6, s7
	s_cselect_b64 s[18:19], -1, 0
	s_lshl_b64 s[20:21], s[0:1], 1
	s_add_u32 s2, s2, s20
	s_addc_u32 s3, s3, s21
	s_mov_b64 s[0:1], -1
	s_and_b64 vcc, exec, s[18:19]
	s_cbranch_vccz .LBB2884_2
; %bb.1:
	v_mov_b32_e32 v1, s3
	v_add_co_u32_e32 v2, vcc, s2, v20
	v_addc_co_u32_e32 v3, vcc, 0, v1, vcc
	flat_load_ushort v1, v[2:3]
	flat_load_ushort v4, v[2:3] offset:128
	flat_load_ushort v5, v[2:3] offset:256
	;; [unrolled: 1-line block ×23, first 2 shown]
	s_mov_b64 s[0:1], 0
	s_waitcnt vmcnt(0) lgkmcnt(0)
	ds_write_b16 v20, v1
	ds_write_b16 v20, v4 offset:128
	ds_write_b16 v20, v5 offset:256
	;; [unrolled: 1-line block ×23, first 2 shown]
	s_waitcnt lgkmcnt(0)
	; wave barrier
.LBB2884_2:
	s_load_dwordx2 s[22:23], s[4:5], 0x28
	s_andn2_b64 vcc, exec, s[0:1]
	v_cmp_gt_u32_e64 s[0:1], s26, v0
	s_cbranch_vccnz .LBB2884_52
; %bb.3:
	v_pk_mov_b32 v[2:3], s[2:3], s[2:3] op_sel:[0,1]
	flat_load_ushort v1, v[2:3]
	s_waitcnt vmcnt(0) lgkmcnt(0)
	v_mov_b32_e32 v2, v1
	s_and_saveexec_b64 s[8:9], s[0:1]
	s_cbranch_execz .LBB2884_5
; %bb.4:
	v_mov_b32_e32 v3, s3
	v_add_co_u32_e32 v2, vcc, s2, v20
	v_addc_co_u32_e32 v3, vcc, 0, v3, vcc
	flat_load_ushort v2, v[2:3]
.LBB2884_5:
	s_or_b64 exec, exec, s[8:9]
	v_or_b32_e32 v3, 64, v0
	v_cmp_gt_u32_e32 vcc, s26, v3
	v_mov_b32_e32 v3, v1
	s_and_saveexec_b64 s[0:1], vcc
	s_cbranch_execz .LBB2884_7
; %bb.6:
	v_mov_b32_e32 v3, s3
	v_add_co_u32_e32 v4, vcc, s2, v20
	v_addc_co_u32_e32 v5, vcc, 0, v3, vcc
	flat_load_ushort v3, v[4:5] offset:128
.LBB2884_7:
	s_or_b64 exec, exec, s[0:1]
	v_or_b32_e32 v4, 0x80, v0
	v_cmp_gt_u32_e32 vcc, s26, v4
	v_mov_b32_e32 v4, v1
	s_and_saveexec_b64 s[0:1], vcc
	s_cbranch_execz .LBB2884_9
; %bb.8:
	v_mov_b32_e32 v5, s3
	v_add_co_u32_e32 v4, vcc, s2, v20
	v_addc_co_u32_e32 v5, vcc, 0, v5, vcc
	flat_load_ushort v4, v[4:5] offset:256
.LBB2884_9:
	;; [unrolled: 12-line block ×22, first 2 shown]
	s_or_b64 exec, exec, s[0:1]
	v_or_b32_e32 v26, 0x5c0, v0
	v_cmp_gt_u32_e32 vcc, s26, v26
	s_and_saveexec_b64 s[0:1], vcc
	s_cbranch_execz .LBB2884_51
; %bb.50:
	v_mov_b32_e32 v1, s3
	v_add_co_u32_e32 v26, vcc, s2, v20
	v_addc_co_u32_e32 v27, vcc, 0, v1, vcc
	flat_load_ushort v1, v[26:27] offset:2944
.LBB2884_51:
	s_or_b64 exec, exec, s[0:1]
	s_waitcnt vmcnt(0) lgkmcnt(0)
	ds_write_b16 v20, v2
	ds_write_b16 v20, v3 offset:128
	ds_write_b16 v20, v4 offset:256
	;; [unrolled: 1-line block ×23, first 2 shown]
	s_waitcnt lgkmcnt(0)
	; wave barrier
.LBB2884_52:
	v_mul_u32_u24_e32 v21, 24, v0
	v_lshlrev_b32_e32 v22, 1, v21
	s_waitcnt lgkmcnt(0)
	ds_read_b128 v[10:13], v22
	ds_read_b128 v[6:9], v22 offset:16
	ds_read_b128 v[2:5], v22 offset:32
	s_cmp_lg_u32 s6, 0
	v_mbcnt_lo_u32_b32 v33, -1, 0
	s_waitcnt lgkmcnt(2)
	v_lshrrev_b32_e32 v32, 16, v11
	v_lshrrev_b32_e32 v31, 16, v12
	;; [unrolled: 1-line block ×3, first 2 shown]
	s_waitcnt lgkmcnt(1)
	v_lshrrev_b32_e32 v29, 16, v6
	v_lshrrev_b32_e32 v28, 16, v7
	;; [unrolled: 1-line block ×4, first 2 shown]
	s_waitcnt lgkmcnt(0)
	v_lshrrev_b32_e32 v25, 16, v2
	v_lshrrev_b32_e32 v24, 16, v3
	;; [unrolled: 1-line block ×4, first 2 shown]
	v_cmp_eq_u32_e32 vcc, 63, v0
	s_waitcnt lgkmcnt(0)
	; wave barrier
	s_cbranch_scc0 .LBB2884_79
; %bb.53:
	v_max_i16_sdwa v14, v10, v10 dst_sel:DWORD dst_unused:UNUSED_PAD src0_sel:DWORD src1_sel:WORD_1
	v_max3_i16 v14, v14, v11, v32
	v_max3_i16 v14, v14, v12, v31
	;; [unrolled: 1-line block ×11, first 2 shown]
	v_mbcnt_hi_u32_b32 v15, -1, v33
	v_and_b32_e32 v17, 0xffff, v14
	v_and_b32_e32 v16, 15, v15
	v_cmp_eq_u32_e64 s[0:1], 0, v16
	v_mov_b32_dpp v17, v17 row_shr:1 row_mask:0xf bank_mask:0xf
	v_max_i16_e32 v17, v17, v14
	v_cndmask_b32_e64 v14, v17, v14, s[0:1]
	v_and_b32_e32 v17, 0xffff, v14
	v_cmp_lt_u32_e64 s[0:1], 1, v16
	s_nop 0
	v_mov_b32_dpp v17, v17 row_shr:2 row_mask:0xf bank_mask:0xf
	v_max_i16_e32 v17, v17, v14
	v_cndmask_b32_e64 v14, v14, v17, s[0:1]
	v_and_b32_e32 v17, 0xffff, v14
	v_cmp_lt_u32_e64 s[0:1], 3, v16
	s_nop 0
	;; [unrolled: 6-line block ×3, first 2 shown]
	v_mov_b32_dpp v17, v17 row_shr:8 row_mask:0xf bank_mask:0xf
	v_max_i16_e32 v17, v17, v14
	v_cndmask_b32_e64 v14, v14, v17, s[0:1]
	v_and_b32_e32 v16, 0xffff, v14
	v_and_b32_e32 v17, 16, v15
	v_cmp_eq_u32_e64 s[0:1], 0, v17
	v_mov_b32_dpp v16, v16 row_bcast:15 row_mask:0xf bank_mask:0xf
	v_max_i16_e32 v16, v16, v14
	v_cndmask_b32_e64 v14, v16, v14, s[0:1]
	v_and_b32_e32 v16, 0xffff, v14
	v_cmp_lt_u32_e64 s[0:1], 31, v15
	s_nop 0
	v_mov_b32_dpp v16, v16 row_bcast:31 row_mask:0xf bank_mask:0xf
	v_max_i16_e32 v16, v16, v14
	v_cndmask_b32_e64 v14, v14, v16, s[0:1]
	s_and_saveexec_b64 s[0:1], vcc
	s_cbranch_execz .LBB2884_55
; %bb.54:
	v_mov_b32_e32 v16, 0
	ds_write_b16 v16, v14
.LBB2884_55:
	s_or_b64 exec, exec, s[0:1]
	v_add_u32_e32 v16, -1, v15
	v_and_b32_e32 v17, 64, v15
	v_cmp_lt_i32_e32 vcc, v16, v17
	v_cndmask_b32_e32 v16, v16, v15, vcc
	v_and_b32_e32 v14, 0xffff, v14
	v_lshlrev_b32_e32 v16, 2, v16
	ds_bpermute_b32 v34, v16, v14
	v_cmp_gt_u32_e32 vcc, 64, v0
	s_waitcnt lgkmcnt(0)
	; wave barrier
	s_waitcnt lgkmcnt(0)
	s_and_saveexec_b64 s[24:25], vcc
	s_cbranch_execz .LBB2884_78
; %bb.56:
	v_mov_b32_e32 v19, 0
	ds_read_u16 v35, v19
	s_mov_b32 s9, 0
	v_cmp_eq_u32_e64 s[0:1], 0, v15
	s_and_saveexec_b64 s[2:3], s[0:1]
	s_cbranch_execz .LBB2884_58
; %bb.57:
	s_add_i32 s8, s6, 64
	s_lshl_b64 s[8:9], s[8:9], 2
	s_add_u32 s8, s22, s8
	s_waitcnt lgkmcnt(0)
	v_or_b32_e32 v14, 0x10000, v35
	s_addc_u32 s9, s23, s9
	global_store_dword v19, v14, s[8:9]
.LBB2884_58:
	s_or_b64 exec, exec, s[2:3]
	v_xad_u32 v14, v15, -1, s6
	v_add_u32_e32 v18, 64, v14
	v_lshlrev_b64 v[16:17], 2, v[18:19]
	v_mov_b32_e32 v18, s23
	v_add_co_u32_e32 v16, vcc, s22, v16
	v_addc_co_u32_e32 v17, vcc, v18, v17, vcc
	global_load_dword v18, v[16:17], off glc
	s_waitcnt vmcnt(0)
	v_lshrrev_b32_e32 v39, 16, v18
	v_cmp_eq_u16_sdwa s[8:9], v39, v19 src0_sel:BYTE_0 src1_sel:DWORD
	s_and_saveexec_b64 s[2:3], s[8:9]
	s_cbranch_execz .LBB2884_64
; %bb.59:
	s_mov_b32 s7, 1
	s_mov_b64 s[8:9], 0
	v_mov_b32_e32 v19, 0
.LBB2884_60:                            ; =>This Loop Header: Depth=1
                                        ;     Child Loop BB2884_61 Depth 2
	s_max_u32 s10, s7, 1
.LBB2884_61:                            ;   Parent Loop BB2884_60 Depth=1
                                        ; =>  This Inner Loop Header: Depth=2
	s_add_i32 s10, s10, -1
	s_cmp_eq_u32 s10, 0
	s_sleep 1
	s_cbranch_scc0 .LBB2884_61
; %bb.62:                               ;   in Loop: Header=BB2884_60 Depth=1
	global_load_dword v18, v[16:17], off glc
	s_cmp_lt_u32 s7, 32
	s_cselect_b64 s[10:11], -1, 0
	s_cmp_lg_u64 s[10:11], 0
	s_addc_u32 s7, s7, 0
	s_waitcnt vmcnt(0)
	v_lshrrev_b32_e32 v39, 16, v18
	v_cmp_ne_u16_sdwa s[10:11], v39, v19 src0_sel:BYTE_0 src1_sel:DWORD
	s_or_b64 s[8:9], s[10:11], s[8:9]
	s_andn2_b64 exec, exec, s[8:9]
	s_cbranch_execnz .LBB2884_60
; %bb.63:
	s_or_b64 exec, exec, s[8:9]
.LBB2884_64:
	s_or_b64 exec, exec, s[2:3]
	v_and_b32_e32 v37, 63, v15
	v_cmp_ne_u32_e32 vcc, 63, v37
	v_mov_b32_e32 v36, 2
	v_addc_co_u32_e32 v38, vcc, 0, v15, vcc
	v_cmp_eq_u16_sdwa s[2:3], v39, v36 src0_sel:BYTE_0 src1_sel:DWORD
	v_lshlrev_b64 v[16:17], v15, -1
	v_and_b32_e32 v41, 0xffff, v18
	v_lshlrev_b32_e32 v38, 2, v38
	v_and_b32_e32 v19, s3, v17
	ds_bpermute_b32 v42, v38, v41
	v_or_b32_e32 v19, 0x80000000, v19
	v_and_b32_e32 v40, s2, v16
	v_ffbl_b32_e32 v19, v19
	v_add_u32_e32 v19, 32, v19
	v_ffbl_b32_e32 v40, v40
	v_cmp_gt_u32_e64 s[2:3], 62, v37
	v_min_u32_e32 v19, v40, v19
	v_cndmask_b32_e64 v40, 0, 1, s[2:3]
	s_waitcnt lgkmcnt(0)
	v_max_i16_e32 v42, v42, v18
	v_cmp_lt_u32_e32 vcc, v37, v19
	v_lshlrev_b32_e32 v40, 1, v40
	v_cndmask_b32_e32 v43, v41, v42, vcc
	v_add_lshl_u32 v40, v40, v15, 2
	ds_bpermute_b32 v44, v40, v43
	v_cmp_gt_u32_e64 s[8:9], 60, v37
	v_cndmask_b32_e32 v45, v18, v42, vcc
	v_add_u32_e32 v41, 2, v37
	v_cndmask_b32_e64 v42, 0, 1, s[8:9]
	s_waitcnt lgkmcnt(0)
	v_max_i16_e32 v44, v44, v45
	v_cmp_gt_u32_e64 s[2:3], v41, v19
	v_lshlrev_b32_e32 v42, 2, v42
	v_cndmask_b32_e64 v46, v44, v43, s[2:3]
	v_add_lshl_u32 v42, v42, v15, 2
	ds_bpermute_b32 v47, v42, v46
	v_cmp_gt_u32_e64 s[8:9], 56, v37
	v_cndmask_b32_e64 v48, v44, v45, s[2:3]
	v_add_u32_e32 v43, 4, v37
	v_cndmask_b32_e64 v44, 0, 1, s[8:9]
	s_waitcnt lgkmcnt(0)
	v_max_i16_e32 v51, v47, v48
	v_cmp_gt_u32_e64 s[2:3], v43, v19
	v_lshlrev_b32_e32 v44, 3, v44
	v_cndmask_b32_e64 v46, v51, v46, s[2:3]
	v_add_lshl_u32 v44, v44, v15, 2
	ds_bpermute_b32 v47, v44, v46
	v_cndmask_b32_e64 v49, v51, v48, s[2:3]
	v_add_u32_e32 v45, 8, v37
	v_cmp_gt_u32_e64 s[8:9], v45, v19
	v_cmp_gt_u32_e64 s[10:11], 48, v37
	s_waitcnt lgkmcnt(0)
	v_max_i16_e32 v52, v47, v49
	v_cndmask_b32_e64 v50, v52, v46, s[8:9]
	v_cndmask_b32_e64 v46, 0, 1, s[10:11]
	v_lshlrev_b32_e32 v46, 4, v46
	v_add_lshl_u32 v46, v46, v15, 2
	ds_bpermute_b32 v53, v46, v50
	v_cmp_gt_u32_e64 s[12:13], 32, v37
	v_cndmask_b32_e64 v54, v52, v49, s[8:9]
	v_add_u32_e32 v47, 16, v37
	v_cndmask_b32_e64 v49, 0, 1, s[12:13]
	s_waitcnt lgkmcnt(0)
	v_max_i16_e32 v53, v53, v54
	v_cmp_gt_u32_e64 s[10:11], v47, v19
	v_lshlrev_b32_e32 v49, 5, v49
	v_cndmask_b32_e64 v50, v53, v50, s[10:11]
	v_add_lshl_u32 v49, v49, v15, 2
	ds_bpermute_b32 v15, v49, v50
	v_cndmask_b32_e32 v18, v18, v48, vcc
	v_cndmask_b32_e64 v18, v51, v18, s[2:3]
	v_add_u32_e32 v50, 32, v37
	v_cndmask_b32_e64 v54, v53, v54, s[10:11]
	v_cndmask_b32_e64 v18, v52, v18, s[8:9]
	s_waitcnt lgkmcnt(0)
	v_max_i16_e32 v15, v15, v54
	v_cndmask_b32_e64 v18, v53, v18, s[10:11]
	v_cmp_gt_u32_e32 vcc, v50, v19
	v_cndmask_b32_e32 v18, v15, v18, vcc
	v_mov_b32_e32 v15, 0
	s_branch .LBB2884_66
.LBB2884_65:                            ;   in Loop: Header=BB2884_66 Depth=1
	s_or_b64 exec, exec, s[2:3]
	v_cmp_eq_u16_sdwa s[2:3], v39, v36 src0_sel:BYTE_0 src1_sel:DWORD
	v_and_b32_e32 v52, 0xffff, v51
	v_and_b32_e32 v18, s3, v17
	ds_bpermute_b32 v53, v38, v52
	v_or_b32_e32 v18, 0x80000000, v18
	v_and_b32_e32 v19, s2, v16
	v_ffbl_b32_e32 v18, v18
	v_add_u32_e32 v18, 32, v18
	v_ffbl_b32_e32 v19, v19
	v_min_u32_e32 v18, v19, v18
	s_waitcnt lgkmcnt(0)
	v_max_i16_e32 v19, v53, v51
	v_cmp_lt_u32_e32 vcc, v37, v18
	v_cndmask_b32_e32 v52, v52, v19, vcc
	ds_bpermute_b32 v53, v40, v52
	v_cndmask_b32_e32 v19, v51, v19, vcc
	v_cmp_gt_u32_e64 s[2:3], v41, v18
	v_cmp_gt_u32_e64 s[8:9], v45, v18
	v_subrev_u32_e32 v14, 64, v14
	s_waitcnt lgkmcnt(0)
	v_max_i16_e32 v53, v53, v19
	v_cndmask_b32_e64 v52, v53, v52, s[2:3]
	ds_bpermute_b32 v54, v42, v52
	v_cndmask_b32_e64 v19, v53, v19, s[2:3]
	v_cmp_gt_u32_e64 s[2:3], v43, v18
	s_waitcnt lgkmcnt(0)
	v_max_i16_e32 v53, v54, v19
	v_cndmask_b32_e64 v52, v53, v52, s[2:3]
	ds_bpermute_b32 v54, v44, v52
	v_cndmask_b32_e64 v55, v53, v19, s[2:3]
	v_cndmask_b32_e32 v19, v51, v19, vcc
	v_cmp_gt_u32_e32 vcc, v47, v18
	v_cndmask_b32_e64 v19, v53, v19, s[2:3]
	s_waitcnt lgkmcnt(0)
	v_max_i16_e32 v54, v54, v55
	v_cndmask_b32_e64 v52, v54, v52, s[8:9]
	ds_bpermute_b32 v56, v46, v52
	v_cndmask_b32_e64 v51, v54, v55, s[8:9]
	v_cndmask_b32_e64 v19, v54, v19, s[8:9]
	s_waitcnt lgkmcnt(0)
	v_max_i16_e32 v55, v56, v51
	v_cndmask_b32_e32 v52, v55, v52, vcc
	ds_bpermute_b32 v52, v49, v52
	v_cndmask_b32_e32 v51, v55, v51, vcc
	v_cndmask_b32_e32 v19, v55, v19, vcc
	v_cmp_gt_u32_e32 vcc, v50, v18
	s_waitcnt lgkmcnt(0)
	v_max_i16_e32 v51, v52, v51
	v_cndmask_b32_e32 v18, v51, v19, vcc
	v_max_i16_e32 v18, v18, v48
.LBB2884_66:                            ; =>This Loop Header: Depth=1
                                        ;     Child Loop BB2884_69 Depth 2
                                        ;       Child Loop BB2884_70 Depth 3
	v_cmp_ne_u16_sdwa s[2:3], v39, v36 src0_sel:BYTE_0 src1_sel:DWORD
	v_cndmask_b32_e64 v19, 0, 1, s[2:3]
	;;#ASMSTART
	;;#ASMEND
	v_cmp_ne_u32_e32 vcc, 0, v19
	s_cmp_lg_u64 vcc, exec
	v_mov_b32_e32 v48, v18
	s_cbranch_scc1 .LBB2884_73
; %bb.67:                               ;   in Loop: Header=BB2884_66 Depth=1
	v_lshlrev_b64 v[18:19], 2, v[14:15]
	v_mov_b32_e32 v39, s23
	v_add_co_u32_e32 v18, vcc, s22, v18
	v_addc_co_u32_e32 v19, vcc, v39, v19, vcc
	global_load_dword v51, v[18:19], off glc
	s_waitcnt vmcnt(0)
	v_lshrrev_b32_e32 v39, 16, v51
	v_cmp_eq_u16_sdwa s[8:9], v39, v15 src0_sel:BYTE_0 src1_sel:DWORD
	s_and_saveexec_b64 s[2:3], s[8:9]
	s_cbranch_execz .LBB2884_65
; %bb.68:                               ;   in Loop: Header=BB2884_66 Depth=1
	s_mov_b32 s7, 1
	s_mov_b64 s[8:9], 0
.LBB2884_69:                            ;   Parent Loop BB2884_66 Depth=1
                                        ; =>  This Loop Header: Depth=2
                                        ;       Child Loop BB2884_70 Depth 3
	s_max_u32 s10, s7, 1
.LBB2884_70:                            ;   Parent Loop BB2884_66 Depth=1
                                        ;     Parent Loop BB2884_69 Depth=2
                                        ; =>    This Inner Loop Header: Depth=3
	s_add_i32 s10, s10, -1
	s_cmp_eq_u32 s10, 0
	s_sleep 1
	s_cbranch_scc0 .LBB2884_70
; %bb.71:                               ;   in Loop: Header=BB2884_69 Depth=2
	global_load_dword v51, v[18:19], off glc
	s_cmp_lt_u32 s7, 32
	s_cselect_b64 s[10:11], -1, 0
	s_cmp_lg_u64 s[10:11], 0
	s_addc_u32 s7, s7, 0
	s_waitcnt vmcnt(0)
	v_lshrrev_b32_e32 v39, 16, v51
	v_cmp_ne_u16_sdwa s[10:11], v39, v15 src0_sel:BYTE_0 src1_sel:DWORD
	s_or_b64 s[8:9], s[10:11], s[8:9]
	s_andn2_b64 exec, exec, s[8:9]
	s_cbranch_execnz .LBB2884_69
; %bb.72:                               ;   in Loop: Header=BB2884_66 Depth=1
	s_or_b64 exec, exec, s[8:9]
	s_branch .LBB2884_65
.LBB2884_73:                            ;   in Loop: Header=BB2884_66 Depth=1
                                        ; implicit-def: $vgpr18
                                        ; implicit-def: $vgpr39
	s_cbranch_execz .LBB2884_66
; %bb.74:
	s_and_saveexec_b64 s[2:3], s[0:1]
	s_cbranch_execz .LBB2884_76
; %bb.75:
	s_add_i32 s0, s6, 64
	s_mov_b32 s1, 0
	s_lshl_b64 s[0:1], s[0:1], 2
	v_max_i16_e32 v14, v48, v35
	s_add_u32 s0, s22, s0
	v_or_b32_e32 v14, 0x20000, v14
	s_addc_u32 s1, s23, s1
	v_mov_b32_e32 v15, 0
	global_store_dword v15, v14, s[0:1]
.LBB2884_76:
	s_or_b64 exec, exec, s[2:3]
	v_cmp_eq_u32_e32 vcc, 0, v0
	s_and_b64 exec, exec, vcc
	s_cbranch_execz .LBB2884_78
; %bb.77:
	v_mov_b32_e32 v14, 0
	ds_write_b16 v14, v48
.LBB2884_78:
	s_or_b64 exec, exec, s[24:25]
	v_mov_b32_e32 v14, 0
	s_waitcnt lgkmcnt(0)
	; wave barrier
	s_waitcnt lgkmcnt(0)
	ds_read_u16 v14, v14
	v_max_i16_e32 v15, v34, v10
	v_cmp_eq_u32_e32 vcc, 0, v0
	v_cndmask_b32_e32 v15, v15, v10, vcc
	s_waitcnt lgkmcnt(0)
	v_max_i16_e32 v14, v14, v15
	v_max_i16_sdwa v15, v14, v10 dst_sel:DWORD dst_unused:UNUSED_PAD src0_sel:DWORD src1_sel:WORD_1
	v_max_i16_e32 v16, v15, v11
	v_max_i16_e32 v17, v16, v32
	;; [unrolled: 1-line block ×22, first 2 shown]
	s_load_dwordx8 s[4:11], s[4:5], 0x38
	s_branch .LBB2884_89
.LBB2884_79:
                                        ; implicit-def: $vgpr14
                                        ; implicit-def: $vgpr15
                                        ; implicit-def: $vgpr16
                                        ; implicit-def: $vgpr17
                                        ; implicit-def: $vgpr18
                                        ; implicit-def: $vgpr19
                                        ; implicit-def: $vgpr35
                                        ; implicit-def: $vgpr37
                                        ; implicit-def: $vgpr34
                                        ; implicit-def: $vgpr36
                                        ; implicit-def: $vgpr38
                                        ; implicit-def: $vgpr39
                                        ; implicit-def: $vgpr40
                                        ; implicit-def: $vgpr41
                                        ; implicit-def: $vgpr43
                                        ; implicit-def: $vgpr45
                                        ; implicit-def: $vgpr42
                                        ; implicit-def: $vgpr44
                                        ; implicit-def: $vgpr46
                                        ; implicit-def: $vgpr47
                                        ; implicit-def: $vgpr48
                                        ; implicit-def: $vgpr49
                                        ; implicit-def: $vgpr50
                                        ; implicit-def: $vgpr51
	s_load_dwordx8 s[4:11], s[4:5], 0x38
	s_cbranch_execz .LBB2884_89
; %bb.80:
	s_waitcnt lgkmcnt(0)
	s_cmp_lg_u64 s[8:9], 0
	s_cselect_b64 s[2:3], -1, 0
	v_cmp_eq_u32_e64 s[0:1], 0, v0
	v_cmp_ne_u32_e32 vcc, 0, v0
	s_and_b64 s[2:3], s[0:1], s[2:3]
	v_mov_b32_e32 v14, v10
	s_and_saveexec_b64 s[0:1], s[2:3]
	s_cbranch_execz .LBB2884_82
; %bb.81:
	v_mov_b32_e32 v14, 0
	global_load_ushort v14, v14, s[4:5]
	s_waitcnt vmcnt(0)
	v_max_i16_e32 v14, v14, v10
.LBB2884_82:
	s_or_b64 exec, exec, s[0:1]
	v_max_i16_sdwa v15, v14, v10 dst_sel:DWORD dst_unused:UNUSED_PAD src0_sel:DWORD src1_sel:WORD_1
	v_max_i16_e32 v16, v15, v11
	v_max_i16_e32 v17, v16, v32
	v_max_i16_e32 v18, v17, v12
	v_max_i16_e32 v19, v18, v31
	v_max_i16_e32 v35, v19, v13
	v_max_i16_e32 v37, v35, v30
	v_max_i16_e32 v34, v37, v6
	v_max_i16_e32 v36, v34, v29
	v_max_i16_e32 v38, v36, v7
	v_max_i16_e32 v39, v38, v28
	v_max_i16_e32 v40, v39, v8
	v_max_i16_e32 v41, v40, v27
	v_max_i16_e32 v43, v41, v9
	v_max_i16_e32 v45, v43, v26
	v_max_i16_e32 v42, v45, v2
	v_max_i16_e32 v44, v42, v25
	v_max_i16_e32 v46, v44, v3
	v_max_i16_e32 v47, v46, v24
	v_max_i16_e32 v48, v47, v4
	v_max_i16_e32 v49, v48, v23
	v_max_i16_e32 v50, v49, v5
	v_max_i16_e32 v51, v50, v1
	v_mbcnt_hi_u32_b32 v33, -1, v33
	v_and_b32_e32 v52, 15, v33
	v_mov_b32_dpp v53, v51 row_shr:1 row_mask:0xf bank_mask:0xf
	v_max_i16_e32 v53, v53, v51
	v_cmp_eq_u32_e64 s[0:1], 0, v52
	v_cndmask_b32_e64 v53, v53, v51, s[0:1]
	v_and_b32_e32 v54, 0xffff, v53
	v_cmp_lt_u32_e64 s[0:1], 1, v52
	s_nop 0
	v_mov_b32_dpp v54, v54 row_shr:2 row_mask:0xf bank_mask:0xf
	v_max_i16_e32 v54, v54, v53
	v_cndmask_b32_e64 v53, v53, v54, s[0:1]
	v_and_b32_e32 v54, 0xffff, v53
	v_cmp_lt_u32_e64 s[0:1], 3, v52
	s_nop 0
	v_mov_b32_dpp v54, v54 row_shr:4 row_mask:0xf bank_mask:0xf
	v_max_i16_e32 v54, v54, v53
	;; [unrolled: 6-line block ×3, first 2 shown]
	v_cndmask_b32_e64 v52, v53, v54, s[0:1]
	v_and_b32_e32 v53, 0xffff, v52
	v_and_b32_e32 v54, 16, v33
	v_cmp_eq_u32_e64 s[0:1], 0, v54
	v_mov_b32_dpp v53, v53 row_bcast:15 row_mask:0xf bank_mask:0xf
	v_max_i16_e32 v53, v53, v52
	v_cndmask_b32_e64 v52, v53, v52, s[0:1]
	v_and_b32_e32 v53, 0xffff, v52
	v_cmp_lt_u32_e64 s[0:1], 31, v33
	s_nop 0
	v_mov_b32_dpp v53, v53 row_bcast:31 row_mask:0xf bank_mask:0xf
	v_max_i16_e32 v53, v53, v52
	v_cndmask_b32_e64 v52, v52, v53, s[0:1]
	v_cmp_eq_u32_e64 s[0:1], 63, v0
	s_and_saveexec_b64 s[2:3], s[0:1]
	s_cbranch_execz .LBB2884_84
; %bb.83:
	v_mov_b32_e32 v53, 0
	ds_write_b16 v53, v52
.LBB2884_84:
	s_or_b64 exec, exec, s[2:3]
	v_add_u32_e32 v53, -1, v33
	v_and_b32_e32 v54, 64, v33
	v_cmp_lt_i32_e64 s[2:3], v53, v54
	v_cndmask_b32_e64 v33, v53, v33, s[2:3]
	v_and_b32_e32 v52, 0xffff, v52
	v_lshlrev_b32_e32 v33, 2, v33
	ds_bpermute_b32 v33, v33, v52
	s_waitcnt lgkmcnt(0)
	; wave barrier
	s_waitcnt lgkmcnt(0)
	s_and_saveexec_b64 s[2:3], vcc
	s_cbranch_execz .LBB2884_86
; %bb.85:
	v_max_i16_e32 v14, v33, v14
	v_max_i16_sdwa v15, v14, v10 dst_sel:DWORD dst_unused:UNUSED_PAD src0_sel:DWORD src1_sel:WORD_1
	v_max_i16_e32 v16, v15, v11
	v_max_i16_e32 v17, v16, v32
	;; [unrolled: 1-line block ×22, first 2 shown]
	;;#ASMSTART
	;;#ASMEND
.LBB2884_86:
	s_or_b64 exec, exec, s[2:3]
	s_and_saveexec_b64 s[2:3], s[0:1]
	s_cbranch_execz .LBB2884_88
; %bb.87:
	s_mov_b32 s0, 0x20000
	v_mov_b32_e32 v1, 0
	v_or_b32_sdwa v2, v51, s0 dst_sel:DWORD dst_unused:UNUSED_PAD src0_sel:WORD_0 src1_sel:DWORD
	global_store_dword v1, v2, s[22:23] offset:256
.LBB2884_88:
	s_or_b64 exec, exec, s[2:3]
.LBB2884_89:
	s_add_u32 s0, s16, s14
	s_addc_u32 s1, s17, s15
	s_add_u32 s2, s0, s20
	s_addc_u32 s3, s1, s21
	s_mov_b64 s[0:1], -1
	s_and_b64 vcc, exec, s[18:19]
	s_waitcnt lgkmcnt(0)
	; wave barrier
	s_waitcnt lgkmcnt(0)
	s_cbranch_vccz .LBB2884_91
; %bb.90:
	s_mov_b32 s0, 0x5040100
	v_perm_b32 v5, v37, v35, s0
	v_perm_b32 v4, v19, v18, s0
	;; [unrolled: 1-line block ×4, first 2 shown]
	ds_write_b128 v22, v[2:5]
	v_perm_b32 v5, v45, v43, s0
	v_perm_b32 v4, v41, v40, s0
	;; [unrolled: 1-line block ×4, first 2 shown]
	ds_write_b128 v22, v[2:5] offset:16
	v_perm_b32 v5, v51, v50, s0
	v_perm_b32 v4, v49, v48, s0
	;; [unrolled: 1-line block ×4, first 2 shown]
	ds_write_b128 v22, v[2:5] offset:32
	s_waitcnt lgkmcnt(0)
	; wave barrier
	s_waitcnt lgkmcnt(0)
	ds_read_u16 v1, v20
	ds_read_u16 v4, v20 offset:128
	ds_read_u16 v5, v20 offset:256
	;; [unrolled: 1-line block ×23, first 2 shown]
	v_mov_b32_e32 v3, s3
	v_add_co_u32_e32 v2, vcc, s2, v20
	v_addc_co_u32_e32 v3, vcc, 0, v3, vcc
	s_waitcnt lgkmcnt(14)
	flat_store_short v[2:3], v1
	flat_store_short v[2:3], v4 offset:128
	flat_store_short v[2:3], v5 offset:256
	;; [unrolled: 1-line block ×9, first 2 shown]
	s_waitcnt lgkmcnt(0)
	flat_store_short v[2:3], v13 offset:1280
	flat_store_short v[2:3], v23 offset:1408
	;; [unrolled: 1-line block ×14, first 2 shown]
	s_mov_b64 s[0:1], 0
.LBB2884_91:
	s_andn2_b64 vcc, exec, s[0:1]
	s_cbranch_vccnz .LBB2884_148
; %bb.92:
	s_mov_b32 s0, 0x5040100
	v_perm_b32 v5, v37, v35, s0
	v_perm_b32 v4, v19, v18, s0
	;; [unrolled: 1-line block ×4, first 2 shown]
	ds_write_b128 v22, v[2:5]
	v_perm_b32 v5, v45, v43, s0
	v_perm_b32 v4, v41, v40, s0
	;; [unrolled: 1-line block ×4, first 2 shown]
	ds_write_b128 v22, v[2:5] offset:16
	v_perm_b32 v5, v51, v50, s0
	v_perm_b32 v4, v49, v48, s0
	;; [unrolled: 1-line block ×4, first 2 shown]
	s_movk_i32 s0, 0xffd2
	ds_write_b128 v22, v[2:5] offset:32
	v_mad_i32_i24 v2, v0, s0, v22
	s_waitcnt lgkmcnt(0)
	; wave barrier
	s_waitcnt lgkmcnt(0)
	ds_read_u16 v5, v2
	ds_read_u16 v4, v2 offset:128
	ds_read_u16 v7, v2 offset:256
	;; [unrolled: 1-line block ×23, first 2 shown]
	v_mov_b32_e32 v3, s3
	v_add_co_u32_e32 v2, vcc, s2, v20
	v_addc_co_u32_e32 v3, vcc, 0, v3, vcc
	v_mov_b32_e32 v1, 0
	v_cmp_gt_u32_e32 vcc, s26, v0
	s_and_saveexec_b64 s[0:1], vcc
	s_cbranch_execz .LBB2884_94
; %bb.93:
	s_waitcnt lgkmcnt(0)
	flat_store_short v[2:3], v5
.LBB2884_94:
	s_or_b64 exec, exec, s[0:1]
	v_or_b32_e32 v20, 64, v0
	v_cmp_gt_u32_e32 vcc, s26, v20
	s_and_saveexec_b64 s[0:1], vcc
	s_cbranch_execz .LBB2884_96
; %bb.95:
	s_waitcnt lgkmcnt(0)
	flat_store_short v[2:3], v4 offset:128
.LBB2884_96:
	s_or_b64 exec, exec, s[0:1]
	v_or_b32_e32 v20, 0x80, v0
	v_cmp_gt_u32_e32 vcc, s26, v20
	s_and_saveexec_b64 s[0:1], vcc
	s_cbranch_execz .LBB2884_98
; %bb.97:
	s_waitcnt lgkmcnt(0)
	flat_store_short v[2:3], v7 offset:256
.LBB2884_98:
	;; [unrolled: 9-line block ×23, first 2 shown]
	s_or_b64 exec, exec, s[0:1]
	v_cmp_lt_u64_e64 s[0:1], s[10:11], 2
	s_and_b64 vcc, exec, s[0:1]
	s_cbranch_vccnz .LBB2884_148
; %bb.141:
	s_add_u32 s0, s26, -1
	s_addc_u32 s1, s27, -1
	s_add_u32 s2, 0, 0xaaaa0000
	s_addc_u32 s3, 0, 42
	s_add_i32 s3, s3, 0xaaaaa80
	s_mul_hi_u32 s9, s2, 0xffffffe8
	s_sub_i32 s9, s9, s2
	s_mul_i32 s10, s3, 0xffffffe8
	s_mul_i32 s4, s2, 0xffffffe8
	s_add_i32 s9, s9, s10
	s_mul_hi_u32 s5, s3, s4
	s_mul_i32 s8, s3, s4
	s_mul_i32 s11, s2, s9
	s_mul_hi_u32 s4, s2, s4
	s_mul_hi_u32 s10, s2, s9
	s_add_u32 s4, s4, s11
	s_addc_u32 s10, 0, s10
	s_add_u32 s4, s4, s8
	s_mul_hi_u32 s11, s3, s9
	s_addc_u32 s4, s10, s5
	s_addc_u32 s5, s11, 0
	s_mul_i32 s8, s3, s9
	s_add_u32 s4, s4, s8
	v_mov_b32_e32 v2, s4
	s_addc_u32 s5, 0, s5
	v_add_co_u32_e32 v2, vcc, s2, v2
	s_cmp_lg_u64 vcc, 0
	s_addc_u32 s2, s3, s5
	v_readfirstlane_b32 s5, v2
	s_mul_i32 s4, s0, s2
	s_mul_hi_u32 s8, s0, s5
	s_mul_hi_u32 s3, s0, s2
	s_add_u32 s4, s8, s4
	s_addc_u32 s3, 0, s3
	s_mul_hi_u32 s9, s1, s5
	s_mul_i32 s5, s1, s5
	s_add_u32 s4, s4, s5
	s_mul_hi_u32 s8, s1, s2
	s_addc_u32 s3, s3, s9
	s_addc_u32 s4, s8, 0
	s_mul_i32 s2, s1, s2
	s_add_u32 s2, s3, s2
	s_addc_u32 s3, 0, s4
	s_add_u32 s4, s2, 1
	s_addc_u32 s5, s3, 0
	s_add_u32 s8, s2, 2
	s_mul_i32 s10, s3, 24
	s_mul_hi_u32 s11, s2, 24
	s_addc_u32 s9, s3, 0
	s_add_i32 s11, s11, s10
	s_mul_i32 s10, s2, 24
	v_mov_b32_e32 v2, s10
	v_sub_co_u32_e32 v2, vcc, s0, v2
	s_cmp_lg_u64 vcc, 0
	s_subb_u32 s10, s1, s11
	v_subrev_co_u32_e32 v3, vcc, 24, v2
	s_cmp_lg_u64 vcc, 0
	s_subb_u32 s11, s10, 0
	v_readfirstlane_b32 s12, v3
	s_cmp_gt_u32 s12, 23
	s_cselect_b32 s12, -1, 0
	s_cmp_eq_u32 s11, 0
	s_cselect_b32 s11, s12, -1
	s_cmp_lg_u32 s11, 0
	s_cselect_b32 s4, s8, s4
	v_readfirstlane_b32 s8, v2
	s_cselect_b32 s5, s9, s5
	s_cmp_gt_u32 s8, 23
	s_cselect_b32 s8, -1, 0
	s_cmp_eq_u32 s10, 0
	s_cselect_b32 s8, s8, -1
	s_cmp_lg_u32 s8, 0
	s_cselect_b32 s3, s5, s3
	s_cselect_b32 s2, s4, s2
	v_cmp_eq_u64_e32 vcc, s[2:3], v[0:1]
	s_and_saveexec_b64 s[2:3], vcc
	s_cbranch_execz .LBB2884_148
; %bb.142:
	v_mul_hi_u32_u24_e32 v1, 24, v0
	v_mov_b32_e32 v2, s1
	v_sub_co_u32_e32 v0, vcc, s0, v21
	v_subb_co_u32_e32 v1, vcc, v2, v1, vcc
	v_cmp_lt_i64_e32 vcc, 11, v[0:1]
	s_mov_b64 s[0:1], 0
	s_mov_b64 s[10:11], 0
	;; [unrolled: 1-line block ×4, first 2 shown]
	s_and_saveexec_b64 s[2:3], vcc
	s_xor_b64 s[2:3], exec, s[2:3]
	s_cbranch_execnz .LBB2884_149
; %bb.143:
	s_andn2_saveexec_b64 s[2:3], s[2:3]
	s_cbranch_execnz .LBB2884_194
.LBB2884_144:
	s_or_b64 exec, exec, s[2:3]
	s_and_saveexec_b64 s[2:3], s[10:11]
	s_cbranch_execnz .LBB2884_211
.LBB2884_145:
	s_or_b64 exec, exec, s[2:3]
	s_and_saveexec_b64 s[2:3], s[8:9]
	s_cbranch_execnz .LBB2884_212
.LBB2884_146:
	s_or_b64 exec, exec, s[2:3]
	s_and_saveexec_b64 s[2:3], s[4:5]
	s_xor_b64 s[2:3], exec, s[2:3]
	s_cbranch_execnz .LBB2884_213
.LBB2884_147:
	s_or_b64 exec, exec, s[2:3]
	s_and_b64 exec, exec, s[0:1]
	s_cbranch_execnz .LBB2884_214
.LBB2884_148:
	s_endpgm
.LBB2884_149:
	v_cmp_lt_i64_e32 vcc, 17, v[0:1]
	s_and_saveexec_b64 s[12:13], vcc
	s_xor_b64 s[12:13], exec, s[12:13]
	s_cbranch_execz .LBB2884_171
; %bb.150:
	v_cmp_lt_i64_e32 vcc, 20, v[0:1]
                                        ; implicit-def: $vgpr10
	s_and_saveexec_b64 s[14:15], vcc
	s_xor_b64 s[14:15], exec, s[14:15]
	s_cbranch_execz .LBB2884_160
; %bb.151:
	v_cmp_lt_i64_e32 vcc, 21, v[0:1]
	s_mov_b64 s[16:17], 0
                                        ; implicit-def: $vgpr10
	s_and_saveexec_b64 s[4:5], vcc
	s_xor_b64 s[4:5], exec, s[4:5]
	s_cbranch_execz .LBB2884_157
; %bb.152:
	v_cmp_lt_i64_e32 vcc, 22, v[0:1]
	s_and_saveexec_b64 s[16:17], vcc
	s_xor_b64 s[16:17], exec, s[16:17]
	s_cbranch_execz .LBB2884_154
; %bb.153:
	v_mov_b32_e32 v2, 0
	s_waitcnt lgkmcnt(0)
	global_store_short v2, v29, s[6:7]
                                        ; implicit-def: $vgpr28
.LBB2884_154:
	s_or_saveexec_b64 s[16:17], s[16:17]
	s_mov_b64 s[18:19], 0
	s_xor_b64 exec, exec, s[16:17]
; %bb.155:
	s_mov_b64 s[18:19], exec
; %bb.156:
	s_or_b64 exec, exec, s[16:17]
	s_and_b64 s[16:17], s[18:19], exec
	s_waitcnt lgkmcnt(0)
	v_mov_b32_e32 v10, v28
                                        ; implicit-def: $vgpr11
.LBB2884_157:
	s_andn2_saveexec_b64 s[4:5], s[4:5]
; %bb.158:
	s_mov_b64 s[8:9], exec
                                        ; implicit-def: $vgpr10
; %bb.159:
	s_or_b64 exec, exec, s[4:5]
	s_and_b64 s[4:5], s[16:17], exec
	s_and_b64 s[8:9], s[8:9], exec
                                        ; implicit-def: $vgpr26
                                        ; implicit-def: $vgpr12
                                        ; implicit-def: $vgpr23
.LBB2884_160:
	s_andn2_saveexec_b64 s[14:15], s[14:15]
	s_cbranch_execz .LBB2884_170
; %bb.161:
	v_cmp_lt_i64_e32 vcc, 18, v[0:1]
	s_mov_b64 s[16:17], 0
	s_and_saveexec_b64 s[10:11], vcc
	s_xor_b64 s[10:11], exec, s[10:11]
	s_cbranch_execz .LBB2884_167
; %bb.162:
	v_cmp_lt_i64_e32 vcc, 19, v[0:1]
	s_and_saveexec_b64 s[18:19], vcc
	s_xor_b64 s[18:19], exec, s[18:19]
; %bb.163:
	s_mov_b64 s[16:17], exec
                                        ; implicit-def: $vgpr23
; %bb.164:
	s_andn2_saveexec_b64 s[18:19], s[18:19]
	s_cbranch_execz .LBB2884_166
; %bb.165:
	v_mov_b32_e32 v2, 0
	s_waitcnt lgkmcnt(0)
	global_store_short v2, v23, s[6:7]
                                        ; implicit-def: $vgpr12
.LBB2884_166:
	s_or_b64 exec, exec, s[18:19]
	s_and_b64 s[16:17], s[16:17], exec
                                        ; implicit-def: $vgpr26
.LBB2884_167:
	s_andn2_saveexec_b64 s[10:11], s[10:11]
	s_cbranch_execz .LBB2884_169
; %bb.168:
	v_mov_b32_e32 v2, 0
	s_waitcnt lgkmcnt(0)
	global_store_short v2, v26, s[6:7]
                                        ; implicit-def: $vgpr12
.LBB2884_169:
	s_or_b64 exec, exec, s[10:11]
	s_and_b64 s[10:11], s[16:17], exec
                                        ; implicit-def: $vgpr10
                                        ; implicit-def: $vgpr11
.LBB2884_170:
	s_or_b64 exec, exec, s[14:15]
	s_and_b64 s[4:5], s[4:5], exec
	s_and_b64 s[8:9], s[8:9], exec
	;; [unrolled: 1-line block ×3, first 2 shown]
                                        ; implicit-def: $vgpr18
                                        ; implicit-def: $vgpr13
                                        ; implicit-def: $vgpr14
                                        ; implicit-def: $vgpr24
                                        ; implicit-def: $vgpr27
.LBB2884_171:
	s_andn2_saveexec_b64 s[12:13], s[12:13]
	s_cbranch_execz .LBB2884_193
; %bb.172:
	v_cmp_lt_i64_e32 vcc, 14, v[0:1]
	s_mov_b64 s[14:15], s[4:5]
	s_and_saveexec_b64 s[16:17], vcc
	s_xor_b64 s[16:17], exec, s[16:17]
	s_cbranch_execz .LBB2884_182
; %bb.173:
	v_cmp_lt_i64_e32 vcc, 15, v[0:1]
	s_and_saveexec_b64 s[14:15], vcc
	s_xor_b64 s[14:15], exec, s[14:15]
	s_cbranch_execz .LBB2884_179
; %bb.174:
	v_cmp_lt_i64_e32 vcc, 16, v[0:1]
	s_and_saveexec_b64 s[18:19], vcc
	s_xor_b64 s[18:19], exec, s[18:19]
	s_cbranch_execz .LBB2884_176
; %bb.175:
	v_mov_b32_e32 v2, 0
	s_waitcnt lgkmcnt(0)
	global_store_short v2, v27, s[6:7]
                                        ; implicit-def: $vgpr24
.LBB2884_176:
	s_andn2_saveexec_b64 s[18:19], s[18:19]
	s_cbranch_execz .LBB2884_178
; %bb.177:
	v_mov_b32_e32 v2, 0
	s_waitcnt lgkmcnt(0)
	global_store_short v2, v24, s[6:7]
.LBB2884_178:
	s_or_b64 exec, exec, s[18:19]
                                        ; implicit-def: $vgpr10
.LBB2884_179:
	s_or_saveexec_b64 s[14:15], s[14:15]
	s_mov_b64 s[18:19], s[4:5]
	s_xor_b64 exec, exec, s[14:15]
; %bb.180:
	s_or_b64 s[18:19], s[4:5], exec
; %bb.181:
	s_or_b64 exec, exec, s[14:15]
	s_andn2_b64 s[14:15], s[4:5], exec
	s_and_b64 s[18:19], s[18:19], exec
	s_or_b64 s[14:15], s[14:15], s[18:19]
                                        ; implicit-def: $vgpr18
                                        ; implicit-def: $vgpr13
                                        ; implicit-def: $vgpr14
.LBB2884_182:
	s_or_saveexec_b64 s[16:17], s[16:17]
	s_mov_b64 s[18:19], s[8:9]
                                        ; implicit-def: $vgpr11
	s_xor_b64 exec, exec, s[16:17]
	s_cbranch_execz .LBB2884_192
; %bb.183:
	v_cmp_lt_i64_e32 vcc, 12, v[0:1]
	s_mov_b64 s[20:21], s[8:9]
	s_mov_b64 s[22:23], s[14:15]
                                        ; implicit-def: $vgpr10
                                        ; implicit-def: $vgpr11
	s_and_saveexec_b64 s[18:19], vcc
	s_xor_b64 s[18:19], exec, s[18:19]
	s_cbranch_execz .LBB2884_189
; %bb.184:
	v_cmp_lt_i64_e32 vcc, 13, v[0:1]
	s_mov_b64 s[20:21], s[14:15]
	s_and_saveexec_b64 s[22:23], vcc
	s_xor_b64 s[22:23], exec, s[22:23]
; %bb.185:
	s_or_b64 s[20:21], s[14:15], exec
                                        ; implicit-def: $vgpr13
; %bb.186:
	s_or_saveexec_b64 s[22:23], s[22:23]
	s_mov_b64 s[24:25], s[8:9]
	s_xor_b64 exec, exec, s[22:23]
; %bb.187:
	s_or_b64 s[24:25], s[8:9], exec
                                        ; implicit-def: $vgpr14
; %bb.188:
	s_or_b64 exec, exec, s[22:23]
	s_andn2_b64 s[22:23], s[14:15], exec
	s_and_b64 s[20:21], s[20:21], exec
	s_or_b64 s[22:23], s[22:23], s[20:21]
	s_andn2_b64 s[20:21], s[8:9], exec
	s_and_b64 s[24:25], s[24:25], exec
	s_or_b64 s[20:21], s[20:21], s[24:25]
	s_waitcnt lgkmcnt(0)
	v_mov_b32_e32 v10, v14
	v_mov_b32_e32 v11, v13
                                        ; implicit-def: $vgpr18
.LBB2884_189:
	s_andn2_saveexec_b64 s[18:19], s[18:19]
	s_cbranch_execz .LBB2884_191
; %bb.190:
	s_or_b64 s[20:21], s[20:21], exec
                                        ; implicit-def: $vgpr10
	s_waitcnt lgkmcnt(0)
	v_mov_b32_e32 v11, v18
.LBB2884_191:
	s_or_b64 exec, exec, s[18:19]
	s_andn2_b64 s[14:15], s[14:15], exec
	s_and_b64 s[18:19], s[22:23], exec
	s_or_b64 s[14:15], s[14:15], s[18:19]
	s_andn2_b64 s[18:19], s[8:9], exec
	s_and_b64 s[20:21], s[20:21], exec
	s_or_b64 s[18:19], s[18:19], s[20:21]
.LBB2884_192:
	s_or_b64 exec, exec, s[16:17]
	s_andn2_b64 s[4:5], s[4:5], exec
	s_and_b64 s[14:15], s[14:15], exec
	s_or_b64 s[4:5], s[4:5], s[14:15]
	s_andn2_b64 s[8:9], s[8:9], exec
	s_and_b64 s[14:15], s[18:19], exec
	s_or_b64 s[8:9], s[8:9], s[14:15]
                                        ; implicit-def: $vgpr12
.LBB2884_193:
	s_or_b64 exec, exec, s[12:13]
	s_and_b64 s[4:5], s[4:5], exec
	s_and_b64 s[8:9], s[8:9], exec
	;; [unrolled: 1-line block ×3, first 2 shown]
                                        ; implicit-def: $vgpr17
                                        ; implicit-def: $vgpr15
                                        ; implicit-def: $vgpr16
                                        ; implicit-def: $vgpr25
                                        ; implicit-def: $vgpr22
                                        ; implicit-def: $vgpr19
	s_andn2_saveexec_b64 s[2:3], s[2:3]
	s_cbranch_execz .LBB2884_144
.LBB2884_194:
	v_cmp_lt_i64_e32 vcc, 5, v[0:1]
	s_mov_b64 s[14:15], -1
	s_mov_b64 s[12:13], s[10:11]
	s_mov_b64 s[16:17], s[8:9]
	;; [unrolled: 1-line block ×3, first 2 shown]
                                        ; implicit-def: $vgpr10
                                        ; implicit-def: $vgpr11
                                        ; implicit-def: $vgpr12
	s_and_saveexec_b64 s[0:1], vcc
	s_cbranch_execz .LBB2884_210
; %bb.195:
	v_cmp_lt_i64_e32 vcc, 8, v[0:1]
	s_mov_b64 s[12:13], s[10:11]
                                        ; implicit-def: $vgpr12
	s_and_saveexec_b64 s[14:15], vcc
	s_xor_b64 s[14:15], exec, s[14:15]
	s_cbranch_execz .LBB2884_205
; %bb.196:
	v_cmp_lt_i64_e32 vcc, 9, v[0:1]
	s_and_saveexec_b64 s[12:13], vcc
	s_xor_b64 s[12:13], exec, s[12:13]
	s_cbranch_execz .LBB2884_202
; %bb.197:
	v_cmp_lt_i64_e32 vcc, 10, v[0:1]
	s_and_saveexec_b64 s[16:17], vcc
	s_xor_b64 s[16:17], exec, s[16:17]
; %bb.198:
                                        ; implicit-def: $vgpr22
; %bb.199:
	s_andn2_saveexec_b64 s[16:17], s[16:17]
	s_cbranch_execz .LBB2884_201
; %bb.200:
	s_waitcnt lgkmcnt(0)
	v_mov_b32_e32 v19, v22
.LBB2884_201:
	s_or_b64 exec, exec, s[16:17]
                                        ; implicit-def: $vgpr25
.LBB2884_202:
	s_andn2_saveexec_b64 s[12:13], s[12:13]
	s_cbranch_execz .LBB2884_204
; %bb.203:
	s_waitcnt lgkmcnt(0)
	v_mov_b32_e32 v19, v25
.LBB2884_204:
	s_or_b64 exec, exec, s[12:13]
	s_or_b64 s[12:13], s[10:11], exec
	s_waitcnt lgkmcnt(0)
	v_mov_b32_e32 v12, v19
                                        ; implicit-def: $vgpr17
                                        ; implicit-def: $vgpr15
                                        ; implicit-def: $vgpr16
.LBB2884_205:
	s_or_saveexec_b64 s[14:15], s[14:15]
	s_mov_b64 s[16:17], s[8:9]
	s_mov_b64 s[20:21], s[4:5]
                                        ; implicit-def: $vgpr10
                                        ; implicit-def: $vgpr11
	s_xor_b64 exec, exec, s[14:15]
	s_cbranch_execz .LBB2884_209
; %bb.206:
	v_cmp_lt_i64_e32 vcc, 6, v[0:1]
	s_mov_b64 s[20:21], -1
	s_mov_b64 s[18:19], s[12:13]
	s_mov_b64 s[16:17], s[8:9]
	s_and_saveexec_b64 s[22:23], vcc
; %bb.207:
	v_cmp_lt_i64_e32 vcc, 7, v[0:1]
	s_andn2_b64 s[18:19], s[12:13], exec
	s_and_b64 s[24:25], vcc, exec
	s_xor_b64 s[20:21], exec, -1
	s_or_b64 s[16:17], s[8:9], exec
	s_or_b64 s[18:19], s[18:19], s[24:25]
                                        ; implicit-def: $vgpr17
; %bb.208:
	s_or_b64 exec, exec, s[22:23]
	s_andn2_b64 s[22:23], s[4:5], exec
	s_and_b64 s[20:21], s[20:21], exec
	s_or_b64 s[20:21], s[22:23], s[20:21]
	s_andn2_b64 s[22:23], s[8:9], exec
	s_and_b64 s[16:17], s[16:17], exec
	s_andn2_b64 s[12:13], s[12:13], exec
	s_and_b64 s[18:19], s[18:19], exec
	s_or_b64 s[16:17], s[22:23], s[16:17]
	s_or_b64 s[12:13], s[12:13], s[18:19]
	s_waitcnt lgkmcnt(0)
	v_mov_b32_e32 v10, v17
	v_mov_b32_e32 v11, v15
	;; [unrolled: 1-line block ×3, first 2 shown]
.LBB2884_209:
	s_or_b64 exec, exec, s[14:15]
	s_andn2_b64 s[18:19], s[4:5], exec
	s_and_b64 s[20:21], s[20:21], exec
	s_or_b64 s[18:19], s[18:19], s[20:21]
	s_andn2_b64 s[20:21], s[8:9], exec
	s_and_b64 s[16:17], s[16:17], exec
	s_or_b64 s[16:17], s[20:21], s[16:17]
	s_andn2_b64 s[20:21], s[10:11], exec
	s_and_b64 s[12:13], s[12:13], exec
	s_xor_b64 s[14:15], exec, -1
	s_or_b64 s[12:13], s[20:21], s[12:13]
.LBB2884_210:
	s_or_b64 exec, exec, s[0:1]
	s_and_b64 s[0:1], s[14:15], exec
	s_andn2_b64 s[4:5], s[4:5], exec
	s_and_b64 s[14:15], s[18:19], exec
	s_or_b64 s[4:5], s[4:5], s[14:15]
	s_andn2_b64 s[8:9], s[8:9], exec
	s_and_b64 s[14:15], s[16:17], exec
	s_andn2_b64 s[10:11], s[10:11], exec
	s_and_b64 s[12:13], s[12:13], exec
	s_or_b64 s[8:9], s[8:9], s[14:15]
	s_or_b64 s[10:11], s[10:11], s[12:13]
	s_or_b64 exec, exec, s[2:3]
	s_and_saveexec_b64 s[2:3], s[10:11]
	s_cbranch_execz .LBB2884_145
.LBB2884_211:
	v_mov_b32_e32 v2, 0
	s_andn2_b64 s[8:9], s[8:9], exec
	s_waitcnt lgkmcnt(0)
	global_store_short v2, v12, s[6:7]
                                        ; implicit-def: $vgpr10
                                        ; implicit-def: $vgpr11
	s_or_b64 exec, exec, s[2:3]
	s_and_saveexec_b64 s[2:3], s[8:9]
	s_cbranch_execz .LBB2884_146
.LBB2884_212:
	v_mov_b32_e32 v2, 0
	s_waitcnt lgkmcnt(0)
	global_store_short v2, v11, s[6:7]
                                        ; implicit-def: $vgpr10
	s_or_b64 exec, exec, s[2:3]
	s_and_saveexec_b64 s[2:3], s[4:5]
	s_xor_b64 s[2:3], exec, s[2:3]
	s_cbranch_execz .LBB2884_147
.LBB2884_213:
	v_mov_b32_e32 v2, 0
	s_waitcnt lgkmcnt(0)
	global_store_short v2, v10, s[6:7]
	s_or_b64 exec, exec, s[2:3]
	s_and_b64 exec, exec, s[0:1]
	s_cbranch_execz .LBB2884_148
.LBB2884_214:
	v_cmp_lt_i64_e32 vcc, 2, v[0:1]
	s_and_saveexec_b64 s[0:1], vcc
	s_xor_b64 s[0:1], exec, s[0:1]
	s_cbranch_execz .LBB2884_224
; %bb.215:
	v_cmp_lt_i64_e32 vcc, 3, v[0:1]
	s_and_saveexec_b64 s[2:3], vcc
	s_xor_b64 s[2:3], exec, s[2:3]
	s_cbranch_execz .LBB2884_221
; %bb.216:
	;; [unrolled: 5-line block ×3, first 2 shown]
	v_mov_b32_e32 v0, 0
	s_waitcnt lgkmcnt(0)
	global_store_short v0, v9, s[6:7]
                                        ; implicit-def: $vgpr6
.LBB2884_218:
	s_andn2_saveexec_b64 s[4:5], s[4:5]
	s_cbranch_execz .LBB2884_220
; %bb.219:
	v_mov_b32_e32 v0, 0
	s_waitcnt lgkmcnt(0)
	global_store_short v0, v6, s[6:7]
.LBB2884_220:
	s_or_b64 exec, exec, s[4:5]
                                        ; implicit-def: $vgpr8
.LBB2884_221:
	s_andn2_saveexec_b64 s[2:3], s[2:3]
	s_cbranch_execz .LBB2884_223
; %bb.222:
	v_mov_b32_e32 v0, 0
	s_waitcnt lgkmcnt(0)
	global_store_short v0, v8, s[6:7]
.LBB2884_223:
	s_or_b64 exec, exec, s[2:3]
                                        ; implicit-def: $vgpr0_vgpr1
                                        ; implicit-def: $vgpr7
                                        ; implicit-def: $vgpr4
                                        ; implicit-def: $vgpr5
.LBB2884_224:
	s_andn2_saveexec_b64 s[0:1], s[0:1]
	s_cbranch_execz .LBB2884_148
; %bb.225:
	v_cmp_lt_i64_e32 vcc, 1, v[0:1]
	s_and_saveexec_b64 s[0:1], vcc
	s_xor_b64 s[0:1], exec, s[0:1]
	s_cbranch_execz .LBB2884_227
; %bb.226:
	v_mov_b32_e32 v0, 0
	s_waitcnt lgkmcnt(0)
	global_store_short v0, v7, s[6:7]
                                        ; implicit-def: $vgpr4
                                        ; implicit-def: $vgpr0_vgpr1
                                        ; implicit-def: $vgpr5
.LBB2884_227:
	s_andn2_saveexec_b64 s[0:1], s[0:1]
	s_cbranch_execz .LBB2884_148
; %bb.228:
	v_cmp_ne_u64_e32 vcc, 1, v[0:1]
	s_and_saveexec_b64 s[0:1], vcc
	s_xor_b64 s[0:1], exec, s[0:1]
	s_cbranch_execz .LBB2884_230
; %bb.229:
	v_mov_b32_e32 v0, 0
	s_waitcnt lgkmcnt(0)
	global_store_short v0, v5, s[6:7]
                                        ; implicit-def: $vgpr4
.LBB2884_230:
	s_andn2_saveexec_b64 s[0:1], s[0:1]
	s_cbranch_execz .LBB2884_148
; %bb.231:
	v_mov_b32_e32 v0, 0
	s_waitcnt lgkmcnt(0)
	global_store_short v0, v4, s[6:7]
	s_endpgm
	.section	.rodata,"a",@progbits
	.p2align	6, 0x0
	.amdhsa_kernel _ZN7rocprim17ROCPRIM_400000_NS6detail17trampoline_kernelINS0_14default_configENS1_20scan_config_selectorIsEEZZNS1_9scan_implILNS1_25lookback_scan_determinismE0ELb0ELb0ES3_N6thrust23THRUST_200600_302600_NS6detail15normal_iteratorINS9_10device_ptrIsEEEESE_s11max_functorIsEsEEDaPvRmT3_T4_T5_mT6_P12ihipStream_tbENKUlT_T0_E_clISt17integral_constantIbLb1EEST_IbLb0EEEEDaSP_SQ_EUlSP_E_NS1_11comp_targetILNS1_3genE4ELNS1_11target_archE910ELNS1_3gpuE8ELNS1_3repE0EEENS1_30default_config_static_selectorELNS0_4arch9wavefront6targetE1EEEvT1_
		.amdhsa_group_segment_fixed_size 3072
		.amdhsa_private_segment_fixed_size 0
		.amdhsa_kernarg_size 96
		.amdhsa_user_sgpr_count 6
		.amdhsa_user_sgpr_private_segment_buffer 1
		.amdhsa_user_sgpr_dispatch_ptr 0
		.amdhsa_user_sgpr_queue_ptr 0
		.amdhsa_user_sgpr_kernarg_segment_ptr 1
		.amdhsa_user_sgpr_dispatch_id 0
		.amdhsa_user_sgpr_flat_scratch_init 0
		.amdhsa_user_sgpr_kernarg_preload_length 0
		.amdhsa_user_sgpr_kernarg_preload_offset 0
		.amdhsa_user_sgpr_private_segment_size 0
		.amdhsa_uses_dynamic_stack 0
		.amdhsa_system_sgpr_private_segment_wavefront_offset 0
		.amdhsa_system_sgpr_workgroup_id_x 1
		.amdhsa_system_sgpr_workgroup_id_y 0
		.amdhsa_system_sgpr_workgroup_id_z 0
		.amdhsa_system_sgpr_workgroup_info 0
		.amdhsa_system_vgpr_workitem_id 0
		.amdhsa_next_free_vgpr 57
		.amdhsa_next_free_sgpr 28
		.amdhsa_accum_offset 60
		.amdhsa_reserve_vcc 1
		.amdhsa_reserve_flat_scratch 0
		.amdhsa_float_round_mode_32 0
		.amdhsa_float_round_mode_16_64 0
		.amdhsa_float_denorm_mode_32 3
		.amdhsa_float_denorm_mode_16_64 3
		.amdhsa_dx10_clamp 1
		.amdhsa_ieee_mode 1
		.amdhsa_fp16_overflow 0
		.amdhsa_tg_split 0
		.amdhsa_exception_fp_ieee_invalid_op 0
		.amdhsa_exception_fp_denorm_src 0
		.amdhsa_exception_fp_ieee_div_zero 0
		.amdhsa_exception_fp_ieee_overflow 0
		.amdhsa_exception_fp_ieee_underflow 0
		.amdhsa_exception_fp_ieee_inexact 0
		.amdhsa_exception_int_div_zero 0
	.end_amdhsa_kernel
	.section	.text._ZN7rocprim17ROCPRIM_400000_NS6detail17trampoline_kernelINS0_14default_configENS1_20scan_config_selectorIsEEZZNS1_9scan_implILNS1_25lookback_scan_determinismE0ELb0ELb0ES3_N6thrust23THRUST_200600_302600_NS6detail15normal_iteratorINS9_10device_ptrIsEEEESE_s11max_functorIsEsEEDaPvRmT3_T4_T5_mT6_P12ihipStream_tbENKUlT_T0_E_clISt17integral_constantIbLb1EEST_IbLb0EEEEDaSP_SQ_EUlSP_E_NS1_11comp_targetILNS1_3genE4ELNS1_11target_archE910ELNS1_3gpuE8ELNS1_3repE0EEENS1_30default_config_static_selectorELNS0_4arch9wavefront6targetE1EEEvT1_,"axG",@progbits,_ZN7rocprim17ROCPRIM_400000_NS6detail17trampoline_kernelINS0_14default_configENS1_20scan_config_selectorIsEEZZNS1_9scan_implILNS1_25lookback_scan_determinismE0ELb0ELb0ES3_N6thrust23THRUST_200600_302600_NS6detail15normal_iteratorINS9_10device_ptrIsEEEESE_s11max_functorIsEsEEDaPvRmT3_T4_T5_mT6_P12ihipStream_tbENKUlT_T0_E_clISt17integral_constantIbLb1EEST_IbLb0EEEEDaSP_SQ_EUlSP_E_NS1_11comp_targetILNS1_3genE4ELNS1_11target_archE910ELNS1_3gpuE8ELNS1_3repE0EEENS1_30default_config_static_selectorELNS0_4arch9wavefront6targetE1EEEvT1_,comdat
.Lfunc_end2884:
	.size	_ZN7rocprim17ROCPRIM_400000_NS6detail17trampoline_kernelINS0_14default_configENS1_20scan_config_selectorIsEEZZNS1_9scan_implILNS1_25lookback_scan_determinismE0ELb0ELb0ES3_N6thrust23THRUST_200600_302600_NS6detail15normal_iteratorINS9_10device_ptrIsEEEESE_s11max_functorIsEsEEDaPvRmT3_T4_T5_mT6_P12ihipStream_tbENKUlT_T0_E_clISt17integral_constantIbLb1EEST_IbLb0EEEEDaSP_SQ_EUlSP_E_NS1_11comp_targetILNS1_3genE4ELNS1_11target_archE910ELNS1_3gpuE8ELNS1_3repE0EEENS1_30default_config_static_selectorELNS0_4arch9wavefront6targetE1EEEvT1_, .Lfunc_end2884-_ZN7rocprim17ROCPRIM_400000_NS6detail17trampoline_kernelINS0_14default_configENS1_20scan_config_selectorIsEEZZNS1_9scan_implILNS1_25lookback_scan_determinismE0ELb0ELb0ES3_N6thrust23THRUST_200600_302600_NS6detail15normal_iteratorINS9_10device_ptrIsEEEESE_s11max_functorIsEsEEDaPvRmT3_T4_T5_mT6_P12ihipStream_tbENKUlT_T0_E_clISt17integral_constantIbLb1EEST_IbLb0EEEEDaSP_SQ_EUlSP_E_NS1_11comp_targetILNS1_3genE4ELNS1_11target_archE910ELNS1_3gpuE8ELNS1_3repE0EEENS1_30default_config_static_selectorELNS0_4arch9wavefront6targetE1EEEvT1_
                                        ; -- End function
	.section	.AMDGPU.csdata,"",@progbits
; Kernel info:
; codeLenInByte = 8008
; NumSgprs: 32
; NumVgprs: 57
; NumAgprs: 0
; TotalNumVgprs: 57
; ScratchSize: 0
; MemoryBound: 0
; FloatMode: 240
; IeeeMode: 1
; LDSByteSize: 3072 bytes/workgroup (compile time only)
; SGPRBlocks: 3
; VGPRBlocks: 7
; NumSGPRsForWavesPerEU: 32
; NumVGPRsForWavesPerEU: 57
; AccumOffset: 60
; Occupancy: 6
; WaveLimiterHint : 1
; COMPUTE_PGM_RSRC2:SCRATCH_EN: 0
; COMPUTE_PGM_RSRC2:USER_SGPR: 6
; COMPUTE_PGM_RSRC2:TRAP_HANDLER: 0
; COMPUTE_PGM_RSRC2:TGID_X_EN: 1
; COMPUTE_PGM_RSRC2:TGID_Y_EN: 0
; COMPUTE_PGM_RSRC2:TGID_Z_EN: 0
; COMPUTE_PGM_RSRC2:TIDIG_COMP_CNT: 0
; COMPUTE_PGM_RSRC3_GFX90A:ACCUM_OFFSET: 14
; COMPUTE_PGM_RSRC3_GFX90A:TG_SPLIT: 0
	.section	.text._ZN7rocprim17ROCPRIM_400000_NS6detail17trampoline_kernelINS0_14default_configENS1_20scan_config_selectorIsEEZZNS1_9scan_implILNS1_25lookback_scan_determinismE0ELb0ELb0ES3_N6thrust23THRUST_200600_302600_NS6detail15normal_iteratorINS9_10device_ptrIsEEEESE_s11max_functorIsEsEEDaPvRmT3_T4_T5_mT6_P12ihipStream_tbENKUlT_T0_E_clISt17integral_constantIbLb1EEST_IbLb0EEEEDaSP_SQ_EUlSP_E_NS1_11comp_targetILNS1_3genE3ELNS1_11target_archE908ELNS1_3gpuE7ELNS1_3repE0EEENS1_30default_config_static_selectorELNS0_4arch9wavefront6targetE1EEEvT1_,"axG",@progbits,_ZN7rocprim17ROCPRIM_400000_NS6detail17trampoline_kernelINS0_14default_configENS1_20scan_config_selectorIsEEZZNS1_9scan_implILNS1_25lookback_scan_determinismE0ELb0ELb0ES3_N6thrust23THRUST_200600_302600_NS6detail15normal_iteratorINS9_10device_ptrIsEEEESE_s11max_functorIsEsEEDaPvRmT3_T4_T5_mT6_P12ihipStream_tbENKUlT_T0_E_clISt17integral_constantIbLb1EEST_IbLb0EEEEDaSP_SQ_EUlSP_E_NS1_11comp_targetILNS1_3genE3ELNS1_11target_archE908ELNS1_3gpuE7ELNS1_3repE0EEENS1_30default_config_static_selectorELNS0_4arch9wavefront6targetE1EEEvT1_,comdat
	.protected	_ZN7rocprim17ROCPRIM_400000_NS6detail17trampoline_kernelINS0_14default_configENS1_20scan_config_selectorIsEEZZNS1_9scan_implILNS1_25lookback_scan_determinismE0ELb0ELb0ES3_N6thrust23THRUST_200600_302600_NS6detail15normal_iteratorINS9_10device_ptrIsEEEESE_s11max_functorIsEsEEDaPvRmT3_T4_T5_mT6_P12ihipStream_tbENKUlT_T0_E_clISt17integral_constantIbLb1EEST_IbLb0EEEEDaSP_SQ_EUlSP_E_NS1_11comp_targetILNS1_3genE3ELNS1_11target_archE908ELNS1_3gpuE7ELNS1_3repE0EEENS1_30default_config_static_selectorELNS0_4arch9wavefront6targetE1EEEvT1_ ; -- Begin function _ZN7rocprim17ROCPRIM_400000_NS6detail17trampoline_kernelINS0_14default_configENS1_20scan_config_selectorIsEEZZNS1_9scan_implILNS1_25lookback_scan_determinismE0ELb0ELb0ES3_N6thrust23THRUST_200600_302600_NS6detail15normal_iteratorINS9_10device_ptrIsEEEESE_s11max_functorIsEsEEDaPvRmT3_T4_T5_mT6_P12ihipStream_tbENKUlT_T0_E_clISt17integral_constantIbLb1EEST_IbLb0EEEEDaSP_SQ_EUlSP_E_NS1_11comp_targetILNS1_3genE3ELNS1_11target_archE908ELNS1_3gpuE7ELNS1_3repE0EEENS1_30default_config_static_selectorELNS0_4arch9wavefront6targetE1EEEvT1_
	.globl	_ZN7rocprim17ROCPRIM_400000_NS6detail17trampoline_kernelINS0_14default_configENS1_20scan_config_selectorIsEEZZNS1_9scan_implILNS1_25lookback_scan_determinismE0ELb0ELb0ES3_N6thrust23THRUST_200600_302600_NS6detail15normal_iteratorINS9_10device_ptrIsEEEESE_s11max_functorIsEsEEDaPvRmT3_T4_T5_mT6_P12ihipStream_tbENKUlT_T0_E_clISt17integral_constantIbLb1EEST_IbLb0EEEEDaSP_SQ_EUlSP_E_NS1_11comp_targetILNS1_3genE3ELNS1_11target_archE908ELNS1_3gpuE7ELNS1_3repE0EEENS1_30default_config_static_selectorELNS0_4arch9wavefront6targetE1EEEvT1_
	.p2align	8
	.type	_ZN7rocprim17ROCPRIM_400000_NS6detail17trampoline_kernelINS0_14default_configENS1_20scan_config_selectorIsEEZZNS1_9scan_implILNS1_25lookback_scan_determinismE0ELb0ELb0ES3_N6thrust23THRUST_200600_302600_NS6detail15normal_iteratorINS9_10device_ptrIsEEEESE_s11max_functorIsEsEEDaPvRmT3_T4_T5_mT6_P12ihipStream_tbENKUlT_T0_E_clISt17integral_constantIbLb1EEST_IbLb0EEEEDaSP_SQ_EUlSP_E_NS1_11comp_targetILNS1_3genE3ELNS1_11target_archE908ELNS1_3gpuE7ELNS1_3repE0EEENS1_30default_config_static_selectorELNS0_4arch9wavefront6targetE1EEEvT1_,@function
_ZN7rocprim17ROCPRIM_400000_NS6detail17trampoline_kernelINS0_14default_configENS1_20scan_config_selectorIsEEZZNS1_9scan_implILNS1_25lookback_scan_determinismE0ELb0ELb0ES3_N6thrust23THRUST_200600_302600_NS6detail15normal_iteratorINS9_10device_ptrIsEEEESE_s11max_functorIsEsEEDaPvRmT3_T4_T5_mT6_P12ihipStream_tbENKUlT_T0_E_clISt17integral_constantIbLb1EEST_IbLb0EEEEDaSP_SQ_EUlSP_E_NS1_11comp_targetILNS1_3genE3ELNS1_11target_archE908ELNS1_3gpuE7ELNS1_3repE0EEENS1_30default_config_static_selectorELNS0_4arch9wavefront6targetE1EEEvT1_: ; @_ZN7rocprim17ROCPRIM_400000_NS6detail17trampoline_kernelINS0_14default_configENS1_20scan_config_selectorIsEEZZNS1_9scan_implILNS1_25lookback_scan_determinismE0ELb0ELb0ES3_N6thrust23THRUST_200600_302600_NS6detail15normal_iteratorINS9_10device_ptrIsEEEESE_s11max_functorIsEsEEDaPvRmT3_T4_T5_mT6_P12ihipStream_tbENKUlT_T0_E_clISt17integral_constantIbLb1EEST_IbLb0EEEEDaSP_SQ_EUlSP_E_NS1_11comp_targetILNS1_3genE3ELNS1_11target_archE908ELNS1_3gpuE7ELNS1_3repE0EEENS1_30default_config_static_selectorELNS0_4arch9wavefront6targetE1EEEvT1_
; %bb.0:
	.section	.rodata,"a",@progbits
	.p2align	6, 0x0
	.amdhsa_kernel _ZN7rocprim17ROCPRIM_400000_NS6detail17trampoline_kernelINS0_14default_configENS1_20scan_config_selectorIsEEZZNS1_9scan_implILNS1_25lookback_scan_determinismE0ELb0ELb0ES3_N6thrust23THRUST_200600_302600_NS6detail15normal_iteratorINS9_10device_ptrIsEEEESE_s11max_functorIsEsEEDaPvRmT3_T4_T5_mT6_P12ihipStream_tbENKUlT_T0_E_clISt17integral_constantIbLb1EEST_IbLb0EEEEDaSP_SQ_EUlSP_E_NS1_11comp_targetILNS1_3genE3ELNS1_11target_archE908ELNS1_3gpuE7ELNS1_3repE0EEENS1_30default_config_static_selectorELNS0_4arch9wavefront6targetE1EEEvT1_
		.amdhsa_group_segment_fixed_size 0
		.amdhsa_private_segment_fixed_size 0
		.amdhsa_kernarg_size 96
		.amdhsa_user_sgpr_count 6
		.amdhsa_user_sgpr_private_segment_buffer 1
		.amdhsa_user_sgpr_dispatch_ptr 0
		.amdhsa_user_sgpr_queue_ptr 0
		.amdhsa_user_sgpr_kernarg_segment_ptr 1
		.amdhsa_user_sgpr_dispatch_id 0
		.amdhsa_user_sgpr_flat_scratch_init 0
		.amdhsa_user_sgpr_kernarg_preload_length 0
		.amdhsa_user_sgpr_kernarg_preload_offset 0
		.amdhsa_user_sgpr_private_segment_size 0
		.amdhsa_uses_dynamic_stack 0
		.amdhsa_system_sgpr_private_segment_wavefront_offset 0
		.amdhsa_system_sgpr_workgroup_id_x 1
		.amdhsa_system_sgpr_workgroup_id_y 0
		.amdhsa_system_sgpr_workgroup_id_z 0
		.amdhsa_system_sgpr_workgroup_info 0
		.amdhsa_system_vgpr_workitem_id 0
		.amdhsa_next_free_vgpr 1
		.amdhsa_next_free_sgpr 0
		.amdhsa_accum_offset 4
		.amdhsa_reserve_vcc 0
		.amdhsa_reserve_flat_scratch 0
		.amdhsa_float_round_mode_32 0
		.amdhsa_float_round_mode_16_64 0
		.amdhsa_float_denorm_mode_32 3
		.amdhsa_float_denorm_mode_16_64 3
		.amdhsa_dx10_clamp 1
		.amdhsa_ieee_mode 1
		.amdhsa_fp16_overflow 0
		.amdhsa_tg_split 0
		.amdhsa_exception_fp_ieee_invalid_op 0
		.amdhsa_exception_fp_denorm_src 0
		.amdhsa_exception_fp_ieee_div_zero 0
		.amdhsa_exception_fp_ieee_overflow 0
		.amdhsa_exception_fp_ieee_underflow 0
		.amdhsa_exception_fp_ieee_inexact 0
		.amdhsa_exception_int_div_zero 0
	.end_amdhsa_kernel
	.section	.text._ZN7rocprim17ROCPRIM_400000_NS6detail17trampoline_kernelINS0_14default_configENS1_20scan_config_selectorIsEEZZNS1_9scan_implILNS1_25lookback_scan_determinismE0ELb0ELb0ES3_N6thrust23THRUST_200600_302600_NS6detail15normal_iteratorINS9_10device_ptrIsEEEESE_s11max_functorIsEsEEDaPvRmT3_T4_T5_mT6_P12ihipStream_tbENKUlT_T0_E_clISt17integral_constantIbLb1EEST_IbLb0EEEEDaSP_SQ_EUlSP_E_NS1_11comp_targetILNS1_3genE3ELNS1_11target_archE908ELNS1_3gpuE7ELNS1_3repE0EEENS1_30default_config_static_selectorELNS0_4arch9wavefront6targetE1EEEvT1_,"axG",@progbits,_ZN7rocprim17ROCPRIM_400000_NS6detail17trampoline_kernelINS0_14default_configENS1_20scan_config_selectorIsEEZZNS1_9scan_implILNS1_25lookback_scan_determinismE0ELb0ELb0ES3_N6thrust23THRUST_200600_302600_NS6detail15normal_iteratorINS9_10device_ptrIsEEEESE_s11max_functorIsEsEEDaPvRmT3_T4_T5_mT6_P12ihipStream_tbENKUlT_T0_E_clISt17integral_constantIbLb1EEST_IbLb0EEEEDaSP_SQ_EUlSP_E_NS1_11comp_targetILNS1_3genE3ELNS1_11target_archE908ELNS1_3gpuE7ELNS1_3repE0EEENS1_30default_config_static_selectorELNS0_4arch9wavefront6targetE1EEEvT1_,comdat
.Lfunc_end2885:
	.size	_ZN7rocprim17ROCPRIM_400000_NS6detail17trampoline_kernelINS0_14default_configENS1_20scan_config_selectorIsEEZZNS1_9scan_implILNS1_25lookback_scan_determinismE0ELb0ELb0ES3_N6thrust23THRUST_200600_302600_NS6detail15normal_iteratorINS9_10device_ptrIsEEEESE_s11max_functorIsEsEEDaPvRmT3_T4_T5_mT6_P12ihipStream_tbENKUlT_T0_E_clISt17integral_constantIbLb1EEST_IbLb0EEEEDaSP_SQ_EUlSP_E_NS1_11comp_targetILNS1_3genE3ELNS1_11target_archE908ELNS1_3gpuE7ELNS1_3repE0EEENS1_30default_config_static_selectorELNS0_4arch9wavefront6targetE1EEEvT1_, .Lfunc_end2885-_ZN7rocprim17ROCPRIM_400000_NS6detail17trampoline_kernelINS0_14default_configENS1_20scan_config_selectorIsEEZZNS1_9scan_implILNS1_25lookback_scan_determinismE0ELb0ELb0ES3_N6thrust23THRUST_200600_302600_NS6detail15normal_iteratorINS9_10device_ptrIsEEEESE_s11max_functorIsEsEEDaPvRmT3_T4_T5_mT6_P12ihipStream_tbENKUlT_T0_E_clISt17integral_constantIbLb1EEST_IbLb0EEEEDaSP_SQ_EUlSP_E_NS1_11comp_targetILNS1_3genE3ELNS1_11target_archE908ELNS1_3gpuE7ELNS1_3repE0EEENS1_30default_config_static_selectorELNS0_4arch9wavefront6targetE1EEEvT1_
                                        ; -- End function
	.section	.AMDGPU.csdata,"",@progbits
; Kernel info:
; codeLenInByte = 0
; NumSgprs: 4
; NumVgprs: 0
; NumAgprs: 0
; TotalNumVgprs: 0
; ScratchSize: 0
; MemoryBound: 0
; FloatMode: 240
; IeeeMode: 1
; LDSByteSize: 0 bytes/workgroup (compile time only)
; SGPRBlocks: 0
; VGPRBlocks: 0
; NumSGPRsForWavesPerEU: 4
; NumVGPRsForWavesPerEU: 1
; AccumOffset: 4
; Occupancy: 8
; WaveLimiterHint : 0
; COMPUTE_PGM_RSRC2:SCRATCH_EN: 0
; COMPUTE_PGM_RSRC2:USER_SGPR: 6
; COMPUTE_PGM_RSRC2:TRAP_HANDLER: 0
; COMPUTE_PGM_RSRC2:TGID_X_EN: 1
; COMPUTE_PGM_RSRC2:TGID_Y_EN: 0
; COMPUTE_PGM_RSRC2:TGID_Z_EN: 0
; COMPUTE_PGM_RSRC2:TIDIG_COMP_CNT: 0
; COMPUTE_PGM_RSRC3_GFX90A:ACCUM_OFFSET: 0
; COMPUTE_PGM_RSRC3_GFX90A:TG_SPLIT: 0
	.section	.text._ZN7rocprim17ROCPRIM_400000_NS6detail17trampoline_kernelINS0_14default_configENS1_20scan_config_selectorIsEEZZNS1_9scan_implILNS1_25lookback_scan_determinismE0ELb0ELb0ES3_N6thrust23THRUST_200600_302600_NS6detail15normal_iteratorINS9_10device_ptrIsEEEESE_s11max_functorIsEsEEDaPvRmT3_T4_T5_mT6_P12ihipStream_tbENKUlT_T0_E_clISt17integral_constantIbLb1EEST_IbLb0EEEEDaSP_SQ_EUlSP_E_NS1_11comp_targetILNS1_3genE2ELNS1_11target_archE906ELNS1_3gpuE6ELNS1_3repE0EEENS1_30default_config_static_selectorELNS0_4arch9wavefront6targetE1EEEvT1_,"axG",@progbits,_ZN7rocprim17ROCPRIM_400000_NS6detail17trampoline_kernelINS0_14default_configENS1_20scan_config_selectorIsEEZZNS1_9scan_implILNS1_25lookback_scan_determinismE0ELb0ELb0ES3_N6thrust23THRUST_200600_302600_NS6detail15normal_iteratorINS9_10device_ptrIsEEEESE_s11max_functorIsEsEEDaPvRmT3_T4_T5_mT6_P12ihipStream_tbENKUlT_T0_E_clISt17integral_constantIbLb1EEST_IbLb0EEEEDaSP_SQ_EUlSP_E_NS1_11comp_targetILNS1_3genE2ELNS1_11target_archE906ELNS1_3gpuE6ELNS1_3repE0EEENS1_30default_config_static_selectorELNS0_4arch9wavefront6targetE1EEEvT1_,comdat
	.protected	_ZN7rocprim17ROCPRIM_400000_NS6detail17trampoline_kernelINS0_14default_configENS1_20scan_config_selectorIsEEZZNS1_9scan_implILNS1_25lookback_scan_determinismE0ELb0ELb0ES3_N6thrust23THRUST_200600_302600_NS6detail15normal_iteratorINS9_10device_ptrIsEEEESE_s11max_functorIsEsEEDaPvRmT3_T4_T5_mT6_P12ihipStream_tbENKUlT_T0_E_clISt17integral_constantIbLb1EEST_IbLb0EEEEDaSP_SQ_EUlSP_E_NS1_11comp_targetILNS1_3genE2ELNS1_11target_archE906ELNS1_3gpuE6ELNS1_3repE0EEENS1_30default_config_static_selectorELNS0_4arch9wavefront6targetE1EEEvT1_ ; -- Begin function _ZN7rocprim17ROCPRIM_400000_NS6detail17trampoline_kernelINS0_14default_configENS1_20scan_config_selectorIsEEZZNS1_9scan_implILNS1_25lookback_scan_determinismE0ELb0ELb0ES3_N6thrust23THRUST_200600_302600_NS6detail15normal_iteratorINS9_10device_ptrIsEEEESE_s11max_functorIsEsEEDaPvRmT3_T4_T5_mT6_P12ihipStream_tbENKUlT_T0_E_clISt17integral_constantIbLb1EEST_IbLb0EEEEDaSP_SQ_EUlSP_E_NS1_11comp_targetILNS1_3genE2ELNS1_11target_archE906ELNS1_3gpuE6ELNS1_3repE0EEENS1_30default_config_static_selectorELNS0_4arch9wavefront6targetE1EEEvT1_
	.globl	_ZN7rocprim17ROCPRIM_400000_NS6detail17trampoline_kernelINS0_14default_configENS1_20scan_config_selectorIsEEZZNS1_9scan_implILNS1_25lookback_scan_determinismE0ELb0ELb0ES3_N6thrust23THRUST_200600_302600_NS6detail15normal_iteratorINS9_10device_ptrIsEEEESE_s11max_functorIsEsEEDaPvRmT3_T4_T5_mT6_P12ihipStream_tbENKUlT_T0_E_clISt17integral_constantIbLb1EEST_IbLb0EEEEDaSP_SQ_EUlSP_E_NS1_11comp_targetILNS1_3genE2ELNS1_11target_archE906ELNS1_3gpuE6ELNS1_3repE0EEENS1_30default_config_static_selectorELNS0_4arch9wavefront6targetE1EEEvT1_
	.p2align	8
	.type	_ZN7rocprim17ROCPRIM_400000_NS6detail17trampoline_kernelINS0_14default_configENS1_20scan_config_selectorIsEEZZNS1_9scan_implILNS1_25lookback_scan_determinismE0ELb0ELb0ES3_N6thrust23THRUST_200600_302600_NS6detail15normal_iteratorINS9_10device_ptrIsEEEESE_s11max_functorIsEsEEDaPvRmT3_T4_T5_mT6_P12ihipStream_tbENKUlT_T0_E_clISt17integral_constantIbLb1EEST_IbLb0EEEEDaSP_SQ_EUlSP_E_NS1_11comp_targetILNS1_3genE2ELNS1_11target_archE906ELNS1_3gpuE6ELNS1_3repE0EEENS1_30default_config_static_selectorELNS0_4arch9wavefront6targetE1EEEvT1_,@function
_ZN7rocprim17ROCPRIM_400000_NS6detail17trampoline_kernelINS0_14default_configENS1_20scan_config_selectorIsEEZZNS1_9scan_implILNS1_25lookback_scan_determinismE0ELb0ELb0ES3_N6thrust23THRUST_200600_302600_NS6detail15normal_iteratorINS9_10device_ptrIsEEEESE_s11max_functorIsEsEEDaPvRmT3_T4_T5_mT6_P12ihipStream_tbENKUlT_T0_E_clISt17integral_constantIbLb1EEST_IbLb0EEEEDaSP_SQ_EUlSP_E_NS1_11comp_targetILNS1_3genE2ELNS1_11target_archE906ELNS1_3gpuE6ELNS1_3repE0EEENS1_30default_config_static_selectorELNS0_4arch9wavefront6targetE1EEEvT1_: ; @_ZN7rocprim17ROCPRIM_400000_NS6detail17trampoline_kernelINS0_14default_configENS1_20scan_config_selectorIsEEZZNS1_9scan_implILNS1_25lookback_scan_determinismE0ELb0ELb0ES3_N6thrust23THRUST_200600_302600_NS6detail15normal_iteratorINS9_10device_ptrIsEEEESE_s11max_functorIsEsEEDaPvRmT3_T4_T5_mT6_P12ihipStream_tbENKUlT_T0_E_clISt17integral_constantIbLb1EEST_IbLb0EEEEDaSP_SQ_EUlSP_E_NS1_11comp_targetILNS1_3genE2ELNS1_11target_archE906ELNS1_3gpuE6ELNS1_3repE0EEENS1_30default_config_static_selectorELNS0_4arch9wavefront6targetE1EEEvT1_
; %bb.0:
	.section	.rodata,"a",@progbits
	.p2align	6, 0x0
	.amdhsa_kernel _ZN7rocprim17ROCPRIM_400000_NS6detail17trampoline_kernelINS0_14default_configENS1_20scan_config_selectorIsEEZZNS1_9scan_implILNS1_25lookback_scan_determinismE0ELb0ELb0ES3_N6thrust23THRUST_200600_302600_NS6detail15normal_iteratorINS9_10device_ptrIsEEEESE_s11max_functorIsEsEEDaPvRmT3_T4_T5_mT6_P12ihipStream_tbENKUlT_T0_E_clISt17integral_constantIbLb1EEST_IbLb0EEEEDaSP_SQ_EUlSP_E_NS1_11comp_targetILNS1_3genE2ELNS1_11target_archE906ELNS1_3gpuE6ELNS1_3repE0EEENS1_30default_config_static_selectorELNS0_4arch9wavefront6targetE1EEEvT1_
		.amdhsa_group_segment_fixed_size 0
		.amdhsa_private_segment_fixed_size 0
		.amdhsa_kernarg_size 96
		.amdhsa_user_sgpr_count 6
		.amdhsa_user_sgpr_private_segment_buffer 1
		.amdhsa_user_sgpr_dispatch_ptr 0
		.amdhsa_user_sgpr_queue_ptr 0
		.amdhsa_user_sgpr_kernarg_segment_ptr 1
		.amdhsa_user_sgpr_dispatch_id 0
		.amdhsa_user_sgpr_flat_scratch_init 0
		.amdhsa_user_sgpr_kernarg_preload_length 0
		.amdhsa_user_sgpr_kernarg_preload_offset 0
		.amdhsa_user_sgpr_private_segment_size 0
		.amdhsa_uses_dynamic_stack 0
		.amdhsa_system_sgpr_private_segment_wavefront_offset 0
		.amdhsa_system_sgpr_workgroup_id_x 1
		.amdhsa_system_sgpr_workgroup_id_y 0
		.amdhsa_system_sgpr_workgroup_id_z 0
		.amdhsa_system_sgpr_workgroup_info 0
		.amdhsa_system_vgpr_workitem_id 0
		.amdhsa_next_free_vgpr 1
		.amdhsa_next_free_sgpr 0
		.amdhsa_accum_offset 4
		.amdhsa_reserve_vcc 0
		.amdhsa_reserve_flat_scratch 0
		.amdhsa_float_round_mode_32 0
		.amdhsa_float_round_mode_16_64 0
		.amdhsa_float_denorm_mode_32 3
		.amdhsa_float_denorm_mode_16_64 3
		.amdhsa_dx10_clamp 1
		.amdhsa_ieee_mode 1
		.amdhsa_fp16_overflow 0
		.amdhsa_tg_split 0
		.amdhsa_exception_fp_ieee_invalid_op 0
		.amdhsa_exception_fp_denorm_src 0
		.amdhsa_exception_fp_ieee_div_zero 0
		.amdhsa_exception_fp_ieee_overflow 0
		.amdhsa_exception_fp_ieee_underflow 0
		.amdhsa_exception_fp_ieee_inexact 0
		.amdhsa_exception_int_div_zero 0
	.end_amdhsa_kernel
	.section	.text._ZN7rocprim17ROCPRIM_400000_NS6detail17trampoline_kernelINS0_14default_configENS1_20scan_config_selectorIsEEZZNS1_9scan_implILNS1_25lookback_scan_determinismE0ELb0ELb0ES3_N6thrust23THRUST_200600_302600_NS6detail15normal_iteratorINS9_10device_ptrIsEEEESE_s11max_functorIsEsEEDaPvRmT3_T4_T5_mT6_P12ihipStream_tbENKUlT_T0_E_clISt17integral_constantIbLb1EEST_IbLb0EEEEDaSP_SQ_EUlSP_E_NS1_11comp_targetILNS1_3genE2ELNS1_11target_archE906ELNS1_3gpuE6ELNS1_3repE0EEENS1_30default_config_static_selectorELNS0_4arch9wavefront6targetE1EEEvT1_,"axG",@progbits,_ZN7rocprim17ROCPRIM_400000_NS6detail17trampoline_kernelINS0_14default_configENS1_20scan_config_selectorIsEEZZNS1_9scan_implILNS1_25lookback_scan_determinismE0ELb0ELb0ES3_N6thrust23THRUST_200600_302600_NS6detail15normal_iteratorINS9_10device_ptrIsEEEESE_s11max_functorIsEsEEDaPvRmT3_T4_T5_mT6_P12ihipStream_tbENKUlT_T0_E_clISt17integral_constantIbLb1EEST_IbLb0EEEEDaSP_SQ_EUlSP_E_NS1_11comp_targetILNS1_3genE2ELNS1_11target_archE906ELNS1_3gpuE6ELNS1_3repE0EEENS1_30default_config_static_selectorELNS0_4arch9wavefront6targetE1EEEvT1_,comdat
.Lfunc_end2886:
	.size	_ZN7rocprim17ROCPRIM_400000_NS6detail17trampoline_kernelINS0_14default_configENS1_20scan_config_selectorIsEEZZNS1_9scan_implILNS1_25lookback_scan_determinismE0ELb0ELb0ES3_N6thrust23THRUST_200600_302600_NS6detail15normal_iteratorINS9_10device_ptrIsEEEESE_s11max_functorIsEsEEDaPvRmT3_T4_T5_mT6_P12ihipStream_tbENKUlT_T0_E_clISt17integral_constantIbLb1EEST_IbLb0EEEEDaSP_SQ_EUlSP_E_NS1_11comp_targetILNS1_3genE2ELNS1_11target_archE906ELNS1_3gpuE6ELNS1_3repE0EEENS1_30default_config_static_selectorELNS0_4arch9wavefront6targetE1EEEvT1_, .Lfunc_end2886-_ZN7rocprim17ROCPRIM_400000_NS6detail17trampoline_kernelINS0_14default_configENS1_20scan_config_selectorIsEEZZNS1_9scan_implILNS1_25lookback_scan_determinismE0ELb0ELb0ES3_N6thrust23THRUST_200600_302600_NS6detail15normal_iteratorINS9_10device_ptrIsEEEESE_s11max_functorIsEsEEDaPvRmT3_T4_T5_mT6_P12ihipStream_tbENKUlT_T0_E_clISt17integral_constantIbLb1EEST_IbLb0EEEEDaSP_SQ_EUlSP_E_NS1_11comp_targetILNS1_3genE2ELNS1_11target_archE906ELNS1_3gpuE6ELNS1_3repE0EEENS1_30default_config_static_selectorELNS0_4arch9wavefront6targetE1EEEvT1_
                                        ; -- End function
	.section	.AMDGPU.csdata,"",@progbits
; Kernel info:
; codeLenInByte = 0
; NumSgprs: 4
; NumVgprs: 0
; NumAgprs: 0
; TotalNumVgprs: 0
; ScratchSize: 0
; MemoryBound: 0
; FloatMode: 240
; IeeeMode: 1
; LDSByteSize: 0 bytes/workgroup (compile time only)
; SGPRBlocks: 0
; VGPRBlocks: 0
; NumSGPRsForWavesPerEU: 4
; NumVGPRsForWavesPerEU: 1
; AccumOffset: 4
; Occupancy: 8
; WaveLimiterHint : 0
; COMPUTE_PGM_RSRC2:SCRATCH_EN: 0
; COMPUTE_PGM_RSRC2:USER_SGPR: 6
; COMPUTE_PGM_RSRC2:TRAP_HANDLER: 0
; COMPUTE_PGM_RSRC2:TGID_X_EN: 1
; COMPUTE_PGM_RSRC2:TGID_Y_EN: 0
; COMPUTE_PGM_RSRC2:TGID_Z_EN: 0
; COMPUTE_PGM_RSRC2:TIDIG_COMP_CNT: 0
; COMPUTE_PGM_RSRC3_GFX90A:ACCUM_OFFSET: 0
; COMPUTE_PGM_RSRC3_GFX90A:TG_SPLIT: 0
	.section	.text._ZN7rocprim17ROCPRIM_400000_NS6detail17trampoline_kernelINS0_14default_configENS1_20scan_config_selectorIsEEZZNS1_9scan_implILNS1_25lookback_scan_determinismE0ELb0ELb0ES3_N6thrust23THRUST_200600_302600_NS6detail15normal_iteratorINS9_10device_ptrIsEEEESE_s11max_functorIsEsEEDaPvRmT3_T4_T5_mT6_P12ihipStream_tbENKUlT_T0_E_clISt17integral_constantIbLb1EEST_IbLb0EEEEDaSP_SQ_EUlSP_E_NS1_11comp_targetILNS1_3genE10ELNS1_11target_archE1201ELNS1_3gpuE5ELNS1_3repE0EEENS1_30default_config_static_selectorELNS0_4arch9wavefront6targetE1EEEvT1_,"axG",@progbits,_ZN7rocprim17ROCPRIM_400000_NS6detail17trampoline_kernelINS0_14default_configENS1_20scan_config_selectorIsEEZZNS1_9scan_implILNS1_25lookback_scan_determinismE0ELb0ELb0ES3_N6thrust23THRUST_200600_302600_NS6detail15normal_iteratorINS9_10device_ptrIsEEEESE_s11max_functorIsEsEEDaPvRmT3_T4_T5_mT6_P12ihipStream_tbENKUlT_T0_E_clISt17integral_constantIbLb1EEST_IbLb0EEEEDaSP_SQ_EUlSP_E_NS1_11comp_targetILNS1_3genE10ELNS1_11target_archE1201ELNS1_3gpuE5ELNS1_3repE0EEENS1_30default_config_static_selectorELNS0_4arch9wavefront6targetE1EEEvT1_,comdat
	.protected	_ZN7rocprim17ROCPRIM_400000_NS6detail17trampoline_kernelINS0_14default_configENS1_20scan_config_selectorIsEEZZNS1_9scan_implILNS1_25lookback_scan_determinismE0ELb0ELb0ES3_N6thrust23THRUST_200600_302600_NS6detail15normal_iteratorINS9_10device_ptrIsEEEESE_s11max_functorIsEsEEDaPvRmT3_T4_T5_mT6_P12ihipStream_tbENKUlT_T0_E_clISt17integral_constantIbLb1EEST_IbLb0EEEEDaSP_SQ_EUlSP_E_NS1_11comp_targetILNS1_3genE10ELNS1_11target_archE1201ELNS1_3gpuE5ELNS1_3repE0EEENS1_30default_config_static_selectorELNS0_4arch9wavefront6targetE1EEEvT1_ ; -- Begin function _ZN7rocprim17ROCPRIM_400000_NS6detail17trampoline_kernelINS0_14default_configENS1_20scan_config_selectorIsEEZZNS1_9scan_implILNS1_25lookback_scan_determinismE0ELb0ELb0ES3_N6thrust23THRUST_200600_302600_NS6detail15normal_iteratorINS9_10device_ptrIsEEEESE_s11max_functorIsEsEEDaPvRmT3_T4_T5_mT6_P12ihipStream_tbENKUlT_T0_E_clISt17integral_constantIbLb1EEST_IbLb0EEEEDaSP_SQ_EUlSP_E_NS1_11comp_targetILNS1_3genE10ELNS1_11target_archE1201ELNS1_3gpuE5ELNS1_3repE0EEENS1_30default_config_static_selectorELNS0_4arch9wavefront6targetE1EEEvT1_
	.globl	_ZN7rocprim17ROCPRIM_400000_NS6detail17trampoline_kernelINS0_14default_configENS1_20scan_config_selectorIsEEZZNS1_9scan_implILNS1_25lookback_scan_determinismE0ELb0ELb0ES3_N6thrust23THRUST_200600_302600_NS6detail15normal_iteratorINS9_10device_ptrIsEEEESE_s11max_functorIsEsEEDaPvRmT3_T4_T5_mT6_P12ihipStream_tbENKUlT_T0_E_clISt17integral_constantIbLb1EEST_IbLb0EEEEDaSP_SQ_EUlSP_E_NS1_11comp_targetILNS1_3genE10ELNS1_11target_archE1201ELNS1_3gpuE5ELNS1_3repE0EEENS1_30default_config_static_selectorELNS0_4arch9wavefront6targetE1EEEvT1_
	.p2align	8
	.type	_ZN7rocprim17ROCPRIM_400000_NS6detail17trampoline_kernelINS0_14default_configENS1_20scan_config_selectorIsEEZZNS1_9scan_implILNS1_25lookback_scan_determinismE0ELb0ELb0ES3_N6thrust23THRUST_200600_302600_NS6detail15normal_iteratorINS9_10device_ptrIsEEEESE_s11max_functorIsEsEEDaPvRmT3_T4_T5_mT6_P12ihipStream_tbENKUlT_T0_E_clISt17integral_constantIbLb1EEST_IbLb0EEEEDaSP_SQ_EUlSP_E_NS1_11comp_targetILNS1_3genE10ELNS1_11target_archE1201ELNS1_3gpuE5ELNS1_3repE0EEENS1_30default_config_static_selectorELNS0_4arch9wavefront6targetE1EEEvT1_,@function
_ZN7rocprim17ROCPRIM_400000_NS6detail17trampoline_kernelINS0_14default_configENS1_20scan_config_selectorIsEEZZNS1_9scan_implILNS1_25lookback_scan_determinismE0ELb0ELb0ES3_N6thrust23THRUST_200600_302600_NS6detail15normal_iteratorINS9_10device_ptrIsEEEESE_s11max_functorIsEsEEDaPvRmT3_T4_T5_mT6_P12ihipStream_tbENKUlT_T0_E_clISt17integral_constantIbLb1EEST_IbLb0EEEEDaSP_SQ_EUlSP_E_NS1_11comp_targetILNS1_3genE10ELNS1_11target_archE1201ELNS1_3gpuE5ELNS1_3repE0EEENS1_30default_config_static_selectorELNS0_4arch9wavefront6targetE1EEEvT1_: ; @_ZN7rocprim17ROCPRIM_400000_NS6detail17trampoline_kernelINS0_14default_configENS1_20scan_config_selectorIsEEZZNS1_9scan_implILNS1_25lookback_scan_determinismE0ELb0ELb0ES3_N6thrust23THRUST_200600_302600_NS6detail15normal_iteratorINS9_10device_ptrIsEEEESE_s11max_functorIsEsEEDaPvRmT3_T4_T5_mT6_P12ihipStream_tbENKUlT_T0_E_clISt17integral_constantIbLb1EEST_IbLb0EEEEDaSP_SQ_EUlSP_E_NS1_11comp_targetILNS1_3genE10ELNS1_11target_archE1201ELNS1_3gpuE5ELNS1_3repE0EEENS1_30default_config_static_selectorELNS0_4arch9wavefront6targetE1EEEvT1_
; %bb.0:
	.section	.rodata,"a",@progbits
	.p2align	6, 0x0
	.amdhsa_kernel _ZN7rocprim17ROCPRIM_400000_NS6detail17trampoline_kernelINS0_14default_configENS1_20scan_config_selectorIsEEZZNS1_9scan_implILNS1_25lookback_scan_determinismE0ELb0ELb0ES3_N6thrust23THRUST_200600_302600_NS6detail15normal_iteratorINS9_10device_ptrIsEEEESE_s11max_functorIsEsEEDaPvRmT3_T4_T5_mT6_P12ihipStream_tbENKUlT_T0_E_clISt17integral_constantIbLb1EEST_IbLb0EEEEDaSP_SQ_EUlSP_E_NS1_11comp_targetILNS1_3genE10ELNS1_11target_archE1201ELNS1_3gpuE5ELNS1_3repE0EEENS1_30default_config_static_selectorELNS0_4arch9wavefront6targetE1EEEvT1_
		.amdhsa_group_segment_fixed_size 0
		.amdhsa_private_segment_fixed_size 0
		.amdhsa_kernarg_size 96
		.amdhsa_user_sgpr_count 6
		.amdhsa_user_sgpr_private_segment_buffer 1
		.amdhsa_user_sgpr_dispatch_ptr 0
		.amdhsa_user_sgpr_queue_ptr 0
		.amdhsa_user_sgpr_kernarg_segment_ptr 1
		.amdhsa_user_sgpr_dispatch_id 0
		.amdhsa_user_sgpr_flat_scratch_init 0
		.amdhsa_user_sgpr_kernarg_preload_length 0
		.amdhsa_user_sgpr_kernarg_preload_offset 0
		.amdhsa_user_sgpr_private_segment_size 0
		.amdhsa_uses_dynamic_stack 0
		.amdhsa_system_sgpr_private_segment_wavefront_offset 0
		.amdhsa_system_sgpr_workgroup_id_x 1
		.amdhsa_system_sgpr_workgroup_id_y 0
		.amdhsa_system_sgpr_workgroup_id_z 0
		.amdhsa_system_sgpr_workgroup_info 0
		.amdhsa_system_vgpr_workitem_id 0
		.amdhsa_next_free_vgpr 1
		.amdhsa_next_free_sgpr 0
		.amdhsa_accum_offset 4
		.amdhsa_reserve_vcc 0
		.amdhsa_reserve_flat_scratch 0
		.amdhsa_float_round_mode_32 0
		.amdhsa_float_round_mode_16_64 0
		.amdhsa_float_denorm_mode_32 3
		.amdhsa_float_denorm_mode_16_64 3
		.amdhsa_dx10_clamp 1
		.amdhsa_ieee_mode 1
		.amdhsa_fp16_overflow 0
		.amdhsa_tg_split 0
		.amdhsa_exception_fp_ieee_invalid_op 0
		.amdhsa_exception_fp_denorm_src 0
		.amdhsa_exception_fp_ieee_div_zero 0
		.amdhsa_exception_fp_ieee_overflow 0
		.amdhsa_exception_fp_ieee_underflow 0
		.amdhsa_exception_fp_ieee_inexact 0
		.amdhsa_exception_int_div_zero 0
	.end_amdhsa_kernel
	.section	.text._ZN7rocprim17ROCPRIM_400000_NS6detail17trampoline_kernelINS0_14default_configENS1_20scan_config_selectorIsEEZZNS1_9scan_implILNS1_25lookback_scan_determinismE0ELb0ELb0ES3_N6thrust23THRUST_200600_302600_NS6detail15normal_iteratorINS9_10device_ptrIsEEEESE_s11max_functorIsEsEEDaPvRmT3_T4_T5_mT6_P12ihipStream_tbENKUlT_T0_E_clISt17integral_constantIbLb1EEST_IbLb0EEEEDaSP_SQ_EUlSP_E_NS1_11comp_targetILNS1_3genE10ELNS1_11target_archE1201ELNS1_3gpuE5ELNS1_3repE0EEENS1_30default_config_static_selectorELNS0_4arch9wavefront6targetE1EEEvT1_,"axG",@progbits,_ZN7rocprim17ROCPRIM_400000_NS6detail17trampoline_kernelINS0_14default_configENS1_20scan_config_selectorIsEEZZNS1_9scan_implILNS1_25lookback_scan_determinismE0ELb0ELb0ES3_N6thrust23THRUST_200600_302600_NS6detail15normal_iteratorINS9_10device_ptrIsEEEESE_s11max_functorIsEsEEDaPvRmT3_T4_T5_mT6_P12ihipStream_tbENKUlT_T0_E_clISt17integral_constantIbLb1EEST_IbLb0EEEEDaSP_SQ_EUlSP_E_NS1_11comp_targetILNS1_3genE10ELNS1_11target_archE1201ELNS1_3gpuE5ELNS1_3repE0EEENS1_30default_config_static_selectorELNS0_4arch9wavefront6targetE1EEEvT1_,comdat
.Lfunc_end2887:
	.size	_ZN7rocprim17ROCPRIM_400000_NS6detail17trampoline_kernelINS0_14default_configENS1_20scan_config_selectorIsEEZZNS1_9scan_implILNS1_25lookback_scan_determinismE0ELb0ELb0ES3_N6thrust23THRUST_200600_302600_NS6detail15normal_iteratorINS9_10device_ptrIsEEEESE_s11max_functorIsEsEEDaPvRmT3_T4_T5_mT6_P12ihipStream_tbENKUlT_T0_E_clISt17integral_constantIbLb1EEST_IbLb0EEEEDaSP_SQ_EUlSP_E_NS1_11comp_targetILNS1_3genE10ELNS1_11target_archE1201ELNS1_3gpuE5ELNS1_3repE0EEENS1_30default_config_static_selectorELNS0_4arch9wavefront6targetE1EEEvT1_, .Lfunc_end2887-_ZN7rocprim17ROCPRIM_400000_NS6detail17trampoline_kernelINS0_14default_configENS1_20scan_config_selectorIsEEZZNS1_9scan_implILNS1_25lookback_scan_determinismE0ELb0ELb0ES3_N6thrust23THRUST_200600_302600_NS6detail15normal_iteratorINS9_10device_ptrIsEEEESE_s11max_functorIsEsEEDaPvRmT3_T4_T5_mT6_P12ihipStream_tbENKUlT_T0_E_clISt17integral_constantIbLb1EEST_IbLb0EEEEDaSP_SQ_EUlSP_E_NS1_11comp_targetILNS1_3genE10ELNS1_11target_archE1201ELNS1_3gpuE5ELNS1_3repE0EEENS1_30default_config_static_selectorELNS0_4arch9wavefront6targetE1EEEvT1_
                                        ; -- End function
	.section	.AMDGPU.csdata,"",@progbits
; Kernel info:
; codeLenInByte = 0
; NumSgprs: 4
; NumVgprs: 0
; NumAgprs: 0
; TotalNumVgprs: 0
; ScratchSize: 0
; MemoryBound: 0
; FloatMode: 240
; IeeeMode: 1
; LDSByteSize: 0 bytes/workgroup (compile time only)
; SGPRBlocks: 0
; VGPRBlocks: 0
; NumSGPRsForWavesPerEU: 4
; NumVGPRsForWavesPerEU: 1
; AccumOffset: 4
; Occupancy: 8
; WaveLimiterHint : 0
; COMPUTE_PGM_RSRC2:SCRATCH_EN: 0
; COMPUTE_PGM_RSRC2:USER_SGPR: 6
; COMPUTE_PGM_RSRC2:TRAP_HANDLER: 0
; COMPUTE_PGM_RSRC2:TGID_X_EN: 1
; COMPUTE_PGM_RSRC2:TGID_Y_EN: 0
; COMPUTE_PGM_RSRC2:TGID_Z_EN: 0
; COMPUTE_PGM_RSRC2:TIDIG_COMP_CNT: 0
; COMPUTE_PGM_RSRC3_GFX90A:ACCUM_OFFSET: 0
; COMPUTE_PGM_RSRC3_GFX90A:TG_SPLIT: 0
	.section	.text._ZN7rocprim17ROCPRIM_400000_NS6detail17trampoline_kernelINS0_14default_configENS1_20scan_config_selectorIsEEZZNS1_9scan_implILNS1_25lookback_scan_determinismE0ELb0ELb0ES3_N6thrust23THRUST_200600_302600_NS6detail15normal_iteratorINS9_10device_ptrIsEEEESE_s11max_functorIsEsEEDaPvRmT3_T4_T5_mT6_P12ihipStream_tbENKUlT_T0_E_clISt17integral_constantIbLb1EEST_IbLb0EEEEDaSP_SQ_EUlSP_E_NS1_11comp_targetILNS1_3genE10ELNS1_11target_archE1200ELNS1_3gpuE4ELNS1_3repE0EEENS1_30default_config_static_selectorELNS0_4arch9wavefront6targetE1EEEvT1_,"axG",@progbits,_ZN7rocprim17ROCPRIM_400000_NS6detail17trampoline_kernelINS0_14default_configENS1_20scan_config_selectorIsEEZZNS1_9scan_implILNS1_25lookback_scan_determinismE0ELb0ELb0ES3_N6thrust23THRUST_200600_302600_NS6detail15normal_iteratorINS9_10device_ptrIsEEEESE_s11max_functorIsEsEEDaPvRmT3_T4_T5_mT6_P12ihipStream_tbENKUlT_T0_E_clISt17integral_constantIbLb1EEST_IbLb0EEEEDaSP_SQ_EUlSP_E_NS1_11comp_targetILNS1_3genE10ELNS1_11target_archE1200ELNS1_3gpuE4ELNS1_3repE0EEENS1_30default_config_static_selectorELNS0_4arch9wavefront6targetE1EEEvT1_,comdat
	.protected	_ZN7rocprim17ROCPRIM_400000_NS6detail17trampoline_kernelINS0_14default_configENS1_20scan_config_selectorIsEEZZNS1_9scan_implILNS1_25lookback_scan_determinismE0ELb0ELb0ES3_N6thrust23THRUST_200600_302600_NS6detail15normal_iteratorINS9_10device_ptrIsEEEESE_s11max_functorIsEsEEDaPvRmT3_T4_T5_mT6_P12ihipStream_tbENKUlT_T0_E_clISt17integral_constantIbLb1EEST_IbLb0EEEEDaSP_SQ_EUlSP_E_NS1_11comp_targetILNS1_3genE10ELNS1_11target_archE1200ELNS1_3gpuE4ELNS1_3repE0EEENS1_30default_config_static_selectorELNS0_4arch9wavefront6targetE1EEEvT1_ ; -- Begin function _ZN7rocprim17ROCPRIM_400000_NS6detail17trampoline_kernelINS0_14default_configENS1_20scan_config_selectorIsEEZZNS1_9scan_implILNS1_25lookback_scan_determinismE0ELb0ELb0ES3_N6thrust23THRUST_200600_302600_NS6detail15normal_iteratorINS9_10device_ptrIsEEEESE_s11max_functorIsEsEEDaPvRmT3_T4_T5_mT6_P12ihipStream_tbENKUlT_T0_E_clISt17integral_constantIbLb1EEST_IbLb0EEEEDaSP_SQ_EUlSP_E_NS1_11comp_targetILNS1_3genE10ELNS1_11target_archE1200ELNS1_3gpuE4ELNS1_3repE0EEENS1_30default_config_static_selectorELNS0_4arch9wavefront6targetE1EEEvT1_
	.globl	_ZN7rocprim17ROCPRIM_400000_NS6detail17trampoline_kernelINS0_14default_configENS1_20scan_config_selectorIsEEZZNS1_9scan_implILNS1_25lookback_scan_determinismE0ELb0ELb0ES3_N6thrust23THRUST_200600_302600_NS6detail15normal_iteratorINS9_10device_ptrIsEEEESE_s11max_functorIsEsEEDaPvRmT3_T4_T5_mT6_P12ihipStream_tbENKUlT_T0_E_clISt17integral_constantIbLb1EEST_IbLb0EEEEDaSP_SQ_EUlSP_E_NS1_11comp_targetILNS1_3genE10ELNS1_11target_archE1200ELNS1_3gpuE4ELNS1_3repE0EEENS1_30default_config_static_selectorELNS0_4arch9wavefront6targetE1EEEvT1_
	.p2align	8
	.type	_ZN7rocprim17ROCPRIM_400000_NS6detail17trampoline_kernelINS0_14default_configENS1_20scan_config_selectorIsEEZZNS1_9scan_implILNS1_25lookback_scan_determinismE0ELb0ELb0ES3_N6thrust23THRUST_200600_302600_NS6detail15normal_iteratorINS9_10device_ptrIsEEEESE_s11max_functorIsEsEEDaPvRmT3_T4_T5_mT6_P12ihipStream_tbENKUlT_T0_E_clISt17integral_constantIbLb1EEST_IbLb0EEEEDaSP_SQ_EUlSP_E_NS1_11comp_targetILNS1_3genE10ELNS1_11target_archE1200ELNS1_3gpuE4ELNS1_3repE0EEENS1_30default_config_static_selectorELNS0_4arch9wavefront6targetE1EEEvT1_,@function
_ZN7rocprim17ROCPRIM_400000_NS6detail17trampoline_kernelINS0_14default_configENS1_20scan_config_selectorIsEEZZNS1_9scan_implILNS1_25lookback_scan_determinismE0ELb0ELb0ES3_N6thrust23THRUST_200600_302600_NS6detail15normal_iteratorINS9_10device_ptrIsEEEESE_s11max_functorIsEsEEDaPvRmT3_T4_T5_mT6_P12ihipStream_tbENKUlT_T0_E_clISt17integral_constantIbLb1EEST_IbLb0EEEEDaSP_SQ_EUlSP_E_NS1_11comp_targetILNS1_3genE10ELNS1_11target_archE1200ELNS1_3gpuE4ELNS1_3repE0EEENS1_30default_config_static_selectorELNS0_4arch9wavefront6targetE1EEEvT1_: ; @_ZN7rocprim17ROCPRIM_400000_NS6detail17trampoline_kernelINS0_14default_configENS1_20scan_config_selectorIsEEZZNS1_9scan_implILNS1_25lookback_scan_determinismE0ELb0ELb0ES3_N6thrust23THRUST_200600_302600_NS6detail15normal_iteratorINS9_10device_ptrIsEEEESE_s11max_functorIsEsEEDaPvRmT3_T4_T5_mT6_P12ihipStream_tbENKUlT_T0_E_clISt17integral_constantIbLb1EEST_IbLb0EEEEDaSP_SQ_EUlSP_E_NS1_11comp_targetILNS1_3genE10ELNS1_11target_archE1200ELNS1_3gpuE4ELNS1_3repE0EEENS1_30default_config_static_selectorELNS0_4arch9wavefront6targetE1EEEvT1_
; %bb.0:
	.section	.rodata,"a",@progbits
	.p2align	6, 0x0
	.amdhsa_kernel _ZN7rocprim17ROCPRIM_400000_NS6detail17trampoline_kernelINS0_14default_configENS1_20scan_config_selectorIsEEZZNS1_9scan_implILNS1_25lookback_scan_determinismE0ELb0ELb0ES3_N6thrust23THRUST_200600_302600_NS6detail15normal_iteratorINS9_10device_ptrIsEEEESE_s11max_functorIsEsEEDaPvRmT3_T4_T5_mT6_P12ihipStream_tbENKUlT_T0_E_clISt17integral_constantIbLb1EEST_IbLb0EEEEDaSP_SQ_EUlSP_E_NS1_11comp_targetILNS1_3genE10ELNS1_11target_archE1200ELNS1_3gpuE4ELNS1_3repE0EEENS1_30default_config_static_selectorELNS0_4arch9wavefront6targetE1EEEvT1_
		.amdhsa_group_segment_fixed_size 0
		.amdhsa_private_segment_fixed_size 0
		.amdhsa_kernarg_size 96
		.amdhsa_user_sgpr_count 6
		.amdhsa_user_sgpr_private_segment_buffer 1
		.amdhsa_user_sgpr_dispatch_ptr 0
		.amdhsa_user_sgpr_queue_ptr 0
		.amdhsa_user_sgpr_kernarg_segment_ptr 1
		.amdhsa_user_sgpr_dispatch_id 0
		.amdhsa_user_sgpr_flat_scratch_init 0
		.amdhsa_user_sgpr_kernarg_preload_length 0
		.amdhsa_user_sgpr_kernarg_preload_offset 0
		.amdhsa_user_sgpr_private_segment_size 0
		.amdhsa_uses_dynamic_stack 0
		.amdhsa_system_sgpr_private_segment_wavefront_offset 0
		.amdhsa_system_sgpr_workgroup_id_x 1
		.amdhsa_system_sgpr_workgroup_id_y 0
		.amdhsa_system_sgpr_workgroup_id_z 0
		.amdhsa_system_sgpr_workgroup_info 0
		.amdhsa_system_vgpr_workitem_id 0
		.amdhsa_next_free_vgpr 1
		.amdhsa_next_free_sgpr 0
		.amdhsa_accum_offset 4
		.amdhsa_reserve_vcc 0
		.amdhsa_reserve_flat_scratch 0
		.amdhsa_float_round_mode_32 0
		.amdhsa_float_round_mode_16_64 0
		.amdhsa_float_denorm_mode_32 3
		.amdhsa_float_denorm_mode_16_64 3
		.amdhsa_dx10_clamp 1
		.amdhsa_ieee_mode 1
		.amdhsa_fp16_overflow 0
		.amdhsa_tg_split 0
		.amdhsa_exception_fp_ieee_invalid_op 0
		.amdhsa_exception_fp_denorm_src 0
		.amdhsa_exception_fp_ieee_div_zero 0
		.amdhsa_exception_fp_ieee_overflow 0
		.amdhsa_exception_fp_ieee_underflow 0
		.amdhsa_exception_fp_ieee_inexact 0
		.amdhsa_exception_int_div_zero 0
	.end_amdhsa_kernel
	.section	.text._ZN7rocprim17ROCPRIM_400000_NS6detail17trampoline_kernelINS0_14default_configENS1_20scan_config_selectorIsEEZZNS1_9scan_implILNS1_25lookback_scan_determinismE0ELb0ELb0ES3_N6thrust23THRUST_200600_302600_NS6detail15normal_iteratorINS9_10device_ptrIsEEEESE_s11max_functorIsEsEEDaPvRmT3_T4_T5_mT6_P12ihipStream_tbENKUlT_T0_E_clISt17integral_constantIbLb1EEST_IbLb0EEEEDaSP_SQ_EUlSP_E_NS1_11comp_targetILNS1_3genE10ELNS1_11target_archE1200ELNS1_3gpuE4ELNS1_3repE0EEENS1_30default_config_static_selectorELNS0_4arch9wavefront6targetE1EEEvT1_,"axG",@progbits,_ZN7rocprim17ROCPRIM_400000_NS6detail17trampoline_kernelINS0_14default_configENS1_20scan_config_selectorIsEEZZNS1_9scan_implILNS1_25lookback_scan_determinismE0ELb0ELb0ES3_N6thrust23THRUST_200600_302600_NS6detail15normal_iteratorINS9_10device_ptrIsEEEESE_s11max_functorIsEsEEDaPvRmT3_T4_T5_mT6_P12ihipStream_tbENKUlT_T0_E_clISt17integral_constantIbLb1EEST_IbLb0EEEEDaSP_SQ_EUlSP_E_NS1_11comp_targetILNS1_3genE10ELNS1_11target_archE1200ELNS1_3gpuE4ELNS1_3repE0EEENS1_30default_config_static_selectorELNS0_4arch9wavefront6targetE1EEEvT1_,comdat
.Lfunc_end2888:
	.size	_ZN7rocprim17ROCPRIM_400000_NS6detail17trampoline_kernelINS0_14default_configENS1_20scan_config_selectorIsEEZZNS1_9scan_implILNS1_25lookback_scan_determinismE0ELb0ELb0ES3_N6thrust23THRUST_200600_302600_NS6detail15normal_iteratorINS9_10device_ptrIsEEEESE_s11max_functorIsEsEEDaPvRmT3_T4_T5_mT6_P12ihipStream_tbENKUlT_T0_E_clISt17integral_constantIbLb1EEST_IbLb0EEEEDaSP_SQ_EUlSP_E_NS1_11comp_targetILNS1_3genE10ELNS1_11target_archE1200ELNS1_3gpuE4ELNS1_3repE0EEENS1_30default_config_static_selectorELNS0_4arch9wavefront6targetE1EEEvT1_, .Lfunc_end2888-_ZN7rocprim17ROCPRIM_400000_NS6detail17trampoline_kernelINS0_14default_configENS1_20scan_config_selectorIsEEZZNS1_9scan_implILNS1_25lookback_scan_determinismE0ELb0ELb0ES3_N6thrust23THRUST_200600_302600_NS6detail15normal_iteratorINS9_10device_ptrIsEEEESE_s11max_functorIsEsEEDaPvRmT3_T4_T5_mT6_P12ihipStream_tbENKUlT_T0_E_clISt17integral_constantIbLb1EEST_IbLb0EEEEDaSP_SQ_EUlSP_E_NS1_11comp_targetILNS1_3genE10ELNS1_11target_archE1200ELNS1_3gpuE4ELNS1_3repE0EEENS1_30default_config_static_selectorELNS0_4arch9wavefront6targetE1EEEvT1_
                                        ; -- End function
	.section	.AMDGPU.csdata,"",@progbits
; Kernel info:
; codeLenInByte = 0
; NumSgprs: 4
; NumVgprs: 0
; NumAgprs: 0
; TotalNumVgprs: 0
; ScratchSize: 0
; MemoryBound: 0
; FloatMode: 240
; IeeeMode: 1
; LDSByteSize: 0 bytes/workgroup (compile time only)
; SGPRBlocks: 0
; VGPRBlocks: 0
; NumSGPRsForWavesPerEU: 4
; NumVGPRsForWavesPerEU: 1
; AccumOffset: 4
; Occupancy: 8
; WaveLimiterHint : 0
; COMPUTE_PGM_RSRC2:SCRATCH_EN: 0
; COMPUTE_PGM_RSRC2:USER_SGPR: 6
; COMPUTE_PGM_RSRC2:TRAP_HANDLER: 0
; COMPUTE_PGM_RSRC2:TGID_X_EN: 1
; COMPUTE_PGM_RSRC2:TGID_Y_EN: 0
; COMPUTE_PGM_RSRC2:TGID_Z_EN: 0
; COMPUTE_PGM_RSRC2:TIDIG_COMP_CNT: 0
; COMPUTE_PGM_RSRC3_GFX90A:ACCUM_OFFSET: 0
; COMPUTE_PGM_RSRC3_GFX90A:TG_SPLIT: 0
	.section	.text._ZN7rocprim17ROCPRIM_400000_NS6detail17trampoline_kernelINS0_14default_configENS1_20scan_config_selectorIsEEZZNS1_9scan_implILNS1_25lookback_scan_determinismE0ELb0ELb0ES3_N6thrust23THRUST_200600_302600_NS6detail15normal_iteratorINS9_10device_ptrIsEEEESE_s11max_functorIsEsEEDaPvRmT3_T4_T5_mT6_P12ihipStream_tbENKUlT_T0_E_clISt17integral_constantIbLb1EEST_IbLb0EEEEDaSP_SQ_EUlSP_E_NS1_11comp_targetILNS1_3genE9ELNS1_11target_archE1100ELNS1_3gpuE3ELNS1_3repE0EEENS1_30default_config_static_selectorELNS0_4arch9wavefront6targetE1EEEvT1_,"axG",@progbits,_ZN7rocprim17ROCPRIM_400000_NS6detail17trampoline_kernelINS0_14default_configENS1_20scan_config_selectorIsEEZZNS1_9scan_implILNS1_25lookback_scan_determinismE0ELb0ELb0ES3_N6thrust23THRUST_200600_302600_NS6detail15normal_iteratorINS9_10device_ptrIsEEEESE_s11max_functorIsEsEEDaPvRmT3_T4_T5_mT6_P12ihipStream_tbENKUlT_T0_E_clISt17integral_constantIbLb1EEST_IbLb0EEEEDaSP_SQ_EUlSP_E_NS1_11comp_targetILNS1_3genE9ELNS1_11target_archE1100ELNS1_3gpuE3ELNS1_3repE0EEENS1_30default_config_static_selectorELNS0_4arch9wavefront6targetE1EEEvT1_,comdat
	.protected	_ZN7rocprim17ROCPRIM_400000_NS6detail17trampoline_kernelINS0_14default_configENS1_20scan_config_selectorIsEEZZNS1_9scan_implILNS1_25lookback_scan_determinismE0ELb0ELb0ES3_N6thrust23THRUST_200600_302600_NS6detail15normal_iteratorINS9_10device_ptrIsEEEESE_s11max_functorIsEsEEDaPvRmT3_T4_T5_mT6_P12ihipStream_tbENKUlT_T0_E_clISt17integral_constantIbLb1EEST_IbLb0EEEEDaSP_SQ_EUlSP_E_NS1_11comp_targetILNS1_3genE9ELNS1_11target_archE1100ELNS1_3gpuE3ELNS1_3repE0EEENS1_30default_config_static_selectorELNS0_4arch9wavefront6targetE1EEEvT1_ ; -- Begin function _ZN7rocprim17ROCPRIM_400000_NS6detail17trampoline_kernelINS0_14default_configENS1_20scan_config_selectorIsEEZZNS1_9scan_implILNS1_25lookback_scan_determinismE0ELb0ELb0ES3_N6thrust23THRUST_200600_302600_NS6detail15normal_iteratorINS9_10device_ptrIsEEEESE_s11max_functorIsEsEEDaPvRmT3_T4_T5_mT6_P12ihipStream_tbENKUlT_T0_E_clISt17integral_constantIbLb1EEST_IbLb0EEEEDaSP_SQ_EUlSP_E_NS1_11comp_targetILNS1_3genE9ELNS1_11target_archE1100ELNS1_3gpuE3ELNS1_3repE0EEENS1_30default_config_static_selectorELNS0_4arch9wavefront6targetE1EEEvT1_
	.globl	_ZN7rocprim17ROCPRIM_400000_NS6detail17trampoline_kernelINS0_14default_configENS1_20scan_config_selectorIsEEZZNS1_9scan_implILNS1_25lookback_scan_determinismE0ELb0ELb0ES3_N6thrust23THRUST_200600_302600_NS6detail15normal_iteratorINS9_10device_ptrIsEEEESE_s11max_functorIsEsEEDaPvRmT3_T4_T5_mT6_P12ihipStream_tbENKUlT_T0_E_clISt17integral_constantIbLb1EEST_IbLb0EEEEDaSP_SQ_EUlSP_E_NS1_11comp_targetILNS1_3genE9ELNS1_11target_archE1100ELNS1_3gpuE3ELNS1_3repE0EEENS1_30default_config_static_selectorELNS0_4arch9wavefront6targetE1EEEvT1_
	.p2align	8
	.type	_ZN7rocprim17ROCPRIM_400000_NS6detail17trampoline_kernelINS0_14default_configENS1_20scan_config_selectorIsEEZZNS1_9scan_implILNS1_25lookback_scan_determinismE0ELb0ELb0ES3_N6thrust23THRUST_200600_302600_NS6detail15normal_iteratorINS9_10device_ptrIsEEEESE_s11max_functorIsEsEEDaPvRmT3_T4_T5_mT6_P12ihipStream_tbENKUlT_T0_E_clISt17integral_constantIbLb1EEST_IbLb0EEEEDaSP_SQ_EUlSP_E_NS1_11comp_targetILNS1_3genE9ELNS1_11target_archE1100ELNS1_3gpuE3ELNS1_3repE0EEENS1_30default_config_static_selectorELNS0_4arch9wavefront6targetE1EEEvT1_,@function
_ZN7rocprim17ROCPRIM_400000_NS6detail17trampoline_kernelINS0_14default_configENS1_20scan_config_selectorIsEEZZNS1_9scan_implILNS1_25lookback_scan_determinismE0ELb0ELb0ES3_N6thrust23THRUST_200600_302600_NS6detail15normal_iteratorINS9_10device_ptrIsEEEESE_s11max_functorIsEsEEDaPvRmT3_T4_T5_mT6_P12ihipStream_tbENKUlT_T0_E_clISt17integral_constantIbLb1EEST_IbLb0EEEEDaSP_SQ_EUlSP_E_NS1_11comp_targetILNS1_3genE9ELNS1_11target_archE1100ELNS1_3gpuE3ELNS1_3repE0EEENS1_30default_config_static_selectorELNS0_4arch9wavefront6targetE1EEEvT1_: ; @_ZN7rocprim17ROCPRIM_400000_NS6detail17trampoline_kernelINS0_14default_configENS1_20scan_config_selectorIsEEZZNS1_9scan_implILNS1_25lookback_scan_determinismE0ELb0ELb0ES3_N6thrust23THRUST_200600_302600_NS6detail15normal_iteratorINS9_10device_ptrIsEEEESE_s11max_functorIsEsEEDaPvRmT3_T4_T5_mT6_P12ihipStream_tbENKUlT_T0_E_clISt17integral_constantIbLb1EEST_IbLb0EEEEDaSP_SQ_EUlSP_E_NS1_11comp_targetILNS1_3genE9ELNS1_11target_archE1100ELNS1_3gpuE3ELNS1_3repE0EEENS1_30default_config_static_selectorELNS0_4arch9wavefront6targetE1EEEvT1_
; %bb.0:
	.section	.rodata,"a",@progbits
	.p2align	6, 0x0
	.amdhsa_kernel _ZN7rocprim17ROCPRIM_400000_NS6detail17trampoline_kernelINS0_14default_configENS1_20scan_config_selectorIsEEZZNS1_9scan_implILNS1_25lookback_scan_determinismE0ELb0ELb0ES3_N6thrust23THRUST_200600_302600_NS6detail15normal_iteratorINS9_10device_ptrIsEEEESE_s11max_functorIsEsEEDaPvRmT3_T4_T5_mT6_P12ihipStream_tbENKUlT_T0_E_clISt17integral_constantIbLb1EEST_IbLb0EEEEDaSP_SQ_EUlSP_E_NS1_11comp_targetILNS1_3genE9ELNS1_11target_archE1100ELNS1_3gpuE3ELNS1_3repE0EEENS1_30default_config_static_selectorELNS0_4arch9wavefront6targetE1EEEvT1_
		.amdhsa_group_segment_fixed_size 0
		.amdhsa_private_segment_fixed_size 0
		.amdhsa_kernarg_size 96
		.amdhsa_user_sgpr_count 6
		.amdhsa_user_sgpr_private_segment_buffer 1
		.amdhsa_user_sgpr_dispatch_ptr 0
		.amdhsa_user_sgpr_queue_ptr 0
		.amdhsa_user_sgpr_kernarg_segment_ptr 1
		.amdhsa_user_sgpr_dispatch_id 0
		.amdhsa_user_sgpr_flat_scratch_init 0
		.amdhsa_user_sgpr_kernarg_preload_length 0
		.amdhsa_user_sgpr_kernarg_preload_offset 0
		.amdhsa_user_sgpr_private_segment_size 0
		.amdhsa_uses_dynamic_stack 0
		.amdhsa_system_sgpr_private_segment_wavefront_offset 0
		.amdhsa_system_sgpr_workgroup_id_x 1
		.amdhsa_system_sgpr_workgroup_id_y 0
		.amdhsa_system_sgpr_workgroup_id_z 0
		.amdhsa_system_sgpr_workgroup_info 0
		.amdhsa_system_vgpr_workitem_id 0
		.amdhsa_next_free_vgpr 1
		.amdhsa_next_free_sgpr 0
		.amdhsa_accum_offset 4
		.amdhsa_reserve_vcc 0
		.amdhsa_reserve_flat_scratch 0
		.amdhsa_float_round_mode_32 0
		.amdhsa_float_round_mode_16_64 0
		.amdhsa_float_denorm_mode_32 3
		.amdhsa_float_denorm_mode_16_64 3
		.amdhsa_dx10_clamp 1
		.amdhsa_ieee_mode 1
		.amdhsa_fp16_overflow 0
		.amdhsa_tg_split 0
		.amdhsa_exception_fp_ieee_invalid_op 0
		.amdhsa_exception_fp_denorm_src 0
		.amdhsa_exception_fp_ieee_div_zero 0
		.amdhsa_exception_fp_ieee_overflow 0
		.amdhsa_exception_fp_ieee_underflow 0
		.amdhsa_exception_fp_ieee_inexact 0
		.amdhsa_exception_int_div_zero 0
	.end_amdhsa_kernel
	.section	.text._ZN7rocprim17ROCPRIM_400000_NS6detail17trampoline_kernelINS0_14default_configENS1_20scan_config_selectorIsEEZZNS1_9scan_implILNS1_25lookback_scan_determinismE0ELb0ELb0ES3_N6thrust23THRUST_200600_302600_NS6detail15normal_iteratorINS9_10device_ptrIsEEEESE_s11max_functorIsEsEEDaPvRmT3_T4_T5_mT6_P12ihipStream_tbENKUlT_T0_E_clISt17integral_constantIbLb1EEST_IbLb0EEEEDaSP_SQ_EUlSP_E_NS1_11comp_targetILNS1_3genE9ELNS1_11target_archE1100ELNS1_3gpuE3ELNS1_3repE0EEENS1_30default_config_static_selectorELNS0_4arch9wavefront6targetE1EEEvT1_,"axG",@progbits,_ZN7rocprim17ROCPRIM_400000_NS6detail17trampoline_kernelINS0_14default_configENS1_20scan_config_selectorIsEEZZNS1_9scan_implILNS1_25lookback_scan_determinismE0ELb0ELb0ES3_N6thrust23THRUST_200600_302600_NS6detail15normal_iteratorINS9_10device_ptrIsEEEESE_s11max_functorIsEsEEDaPvRmT3_T4_T5_mT6_P12ihipStream_tbENKUlT_T0_E_clISt17integral_constantIbLb1EEST_IbLb0EEEEDaSP_SQ_EUlSP_E_NS1_11comp_targetILNS1_3genE9ELNS1_11target_archE1100ELNS1_3gpuE3ELNS1_3repE0EEENS1_30default_config_static_selectorELNS0_4arch9wavefront6targetE1EEEvT1_,comdat
.Lfunc_end2889:
	.size	_ZN7rocprim17ROCPRIM_400000_NS6detail17trampoline_kernelINS0_14default_configENS1_20scan_config_selectorIsEEZZNS1_9scan_implILNS1_25lookback_scan_determinismE0ELb0ELb0ES3_N6thrust23THRUST_200600_302600_NS6detail15normal_iteratorINS9_10device_ptrIsEEEESE_s11max_functorIsEsEEDaPvRmT3_T4_T5_mT6_P12ihipStream_tbENKUlT_T0_E_clISt17integral_constantIbLb1EEST_IbLb0EEEEDaSP_SQ_EUlSP_E_NS1_11comp_targetILNS1_3genE9ELNS1_11target_archE1100ELNS1_3gpuE3ELNS1_3repE0EEENS1_30default_config_static_selectorELNS0_4arch9wavefront6targetE1EEEvT1_, .Lfunc_end2889-_ZN7rocprim17ROCPRIM_400000_NS6detail17trampoline_kernelINS0_14default_configENS1_20scan_config_selectorIsEEZZNS1_9scan_implILNS1_25lookback_scan_determinismE0ELb0ELb0ES3_N6thrust23THRUST_200600_302600_NS6detail15normal_iteratorINS9_10device_ptrIsEEEESE_s11max_functorIsEsEEDaPvRmT3_T4_T5_mT6_P12ihipStream_tbENKUlT_T0_E_clISt17integral_constantIbLb1EEST_IbLb0EEEEDaSP_SQ_EUlSP_E_NS1_11comp_targetILNS1_3genE9ELNS1_11target_archE1100ELNS1_3gpuE3ELNS1_3repE0EEENS1_30default_config_static_selectorELNS0_4arch9wavefront6targetE1EEEvT1_
                                        ; -- End function
	.section	.AMDGPU.csdata,"",@progbits
; Kernel info:
; codeLenInByte = 0
; NumSgprs: 4
; NumVgprs: 0
; NumAgprs: 0
; TotalNumVgprs: 0
; ScratchSize: 0
; MemoryBound: 0
; FloatMode: 240
; IeeeMode: 1
; LDSByteSize: 0 bytes/workgroup (compile time only)
; SGPRBlocks: 0
; VGPRBlocks: 0
; NumSGPRsForWavesPerEU: 4
; NumVGPRsForWavesPerEU: 1
; AccumOffset: 4
; Occupancy: 8
; WaveLimiterHint : 0
; COMPUTE_PGM_RSRC2:SCRATCH_EN: 0
; COMPUTE_PGM_RSRC2:USER_SGPR: 6
; COMPUTE_PGM_RSRC2:TRAP_HANDLER: 0
; COMPUTE_PGM_RSRC2:TGID_X_EN: 1
; COMPUTE_PGM_RSRC2:TGID_Y_EN: 0
; COMPUTE_PGM_RSRC2:TGID_Z_EN: 0
; COMPUTE_PGM_RSRC2:TIDIG_COMP_CNT: 0
; COMPUTE_PGM_RSRC3_GFX90A:ACCUM_OFFSET: 0
; COMPUTE_PGM_RSRC3_GFX90A:TG_SPLIT: 0
	.section	.text._ZN7rocprim17ROCPRIM_400000_NS6detail17trampoline_kernelINS0_14default_configENS1_20scan_config_selectorIsEEZZNS1_9scan_implILNS1_25lookback_scan_determinismE0ELb0ELb0ES3_N6thrust23THRUST_200600_302600_NS6detail15normal_iteratorINS9_10device_ptrIsEEEESE_s11max_functorIsEsEEDaPvRmT3_T4_T5_mT6_P12ihipStream_tbENKUlT_T0_E_clISt17integral_constantIbLb1EEST_IbLb0EEEEDaSP_SQ_EUlSP_E_NS1_11comp_targetILNS1_3genE8ELNS1_11target_archE1030ELNS1_3gpuE2ELNS1_3repE0EEENS1_30default_config_static_selectorELNS0_4arch9wavefront6targetE1EEEvT1_,"axG",@progbits,_ZN7rocprim17ROCPRIM_400000_NS6detail17trampoline_kernelINS0_14default_configENS1_20scan_config_selectorIsEEZZNS1_9scan_implILNS1_25lookback_scan_determinismE0ELb0ELb0ES3_N6thrust23THRUST_200600_302600_NS6detail15normal_iteratorINS9_10device_ptrIsEEEESE_s11max_functorIsEsEEDaPvRmT3_T4_T5_mT6_P12ihipStream_tbENKUlT_T0_E_clISt17integral_constantIbLb1EEST_IbLb0EEEEDaSP_SQ_EUlSP_E_NS1_11comp_targetILNS1_3genE8ELNS1_11target_archE1030ELNS1_3gpuE2ELNS1_3repE0EEENS1_30default_config_static_selectorELNS0_4arch9wavefront6targetE1EEEvT1_,comdat
	.protected	_ZN7rocprim17ROCPRIM_400000_NS6detail17trampoline_kernelINS0_14default_configENS1_20scan_config_selectorIsEEZZNS1_9scan_implILNS1_25lookback_scan_determinismE0ELb0ELb0ES3_N6thrust23THRUST_200600_302600_NS6detail15normal_iteratorINS9_10device_ptrIsEEEESE_s11max_functorIsEsEEDaPvRmT3_T4_T5_mT6_P12ihipStream_tbENKUlT_T0_E_clISt17integral_constantIbLb1EEST_IbLb0EEEEDaSP_SQ_EUlSP_E_NS1_11comp_targetILNS1_3genE8ELNS1_11target_archE1030ELNS1_3gpuE2ELNS1_3repE0EEENS1_30default_config_static_selectorELNS0_4arch9wavefront6targetE1EEEvT1_ ; -- Begin function _ZN7rocprim17ROCPRIM_400000_NS6detail17trampoline_kernelINS0_14default_configENS1_20scan_config_selectorIsEEZZNS1_9scan_implILNS1_25lookback_scan_determinismE0ELb0ELb0ES3_N6thrust23THRUST_200600_302600_NS6detail15normal_iteratorINS9_10device_ptrIsEEEESE_s11max_functorIsEsEEDaPvRmT3_T4_T5_mT6_P12ihipStream_tbENKUlT_T0_E_clISt17integral_constantIbLb1EEST_IbLb0EEEEDaSP_SQ_EUlSP_E_NS1_11comp_targetILNS1_3genE8ELNS1_11target_archE1030ELNS1_3gpuE2ELNS1_3repE0EEENS1_30default_config_static_selectorELNS0_4arch9wavefront6targetE1EEEvT1_
	.globl	_ZN7rocprim17ROCPRIM_400000_NS6detail17trampoline_kernelINS0_14default_configENS1_20scan_config_selectorIsEEZZNS1_9scan_implILNS1_25lookback_scan_determinismE0ELb0ELb0ES3_N6thrust23THRUST_200600_302600_NS6detail15normal_iteratorINS9_10device_ptrIsEEEESE_s11max_functorIsEsEEDaPvRmT3_T4_T5_mT6_P12ihipStream_tbENKUlT_T0_E_clISt17integral_constantIbLb1EEST_IbLb0EEEEDaSP_SQ_EUlSP_E_NS1_11comp_targetILNS1_3genE8ELNS1_11target_archE1030ELNS1_3gpuE2ELNS1_3repE0EEENS1_30default_config_static_selectorELNS0_4arch9wavefront6targetE1EEEvT1_
	.p2align	8
	.type	_ZN7rocprim17ROCPRIM_400000_NS6detail17trampoline_kernelINS0_14default_configENS1_20scan_config_selectorIsEEZZNS1_9scan_implILNS1_25lookback_scan_determinismE0ELb0ELb0ES3_N6thrust23THRUST_200600_302600_NS6detail15normal_iteratorINS9_10device_ptrIsEEEESE_s11max_functorIsEsEEDaPvRmT3_T4_T5_mT6_P12ihipStream_tbENKUlT_T0_E_clISt17integral_constantIbLb1EEST_IbLb0EEEEDaSP_SQ_EUlSP_E_NS1_11comp_targetILNS1_3genE8ELNS1_11target_archE1030ELNS1_3gpuE2ELNS1_3repE0EEENS1_30default_config_static_selectorELNS0_4arch9wavefront6targetE1EEEvT1_,@function
_ZN7rocprim17ROCPRIM_400000_NS6detail17trampoline_kernelINS0_14default_configENS1_20scan_config_selectorIsEEZZNS1_9scan_implILNS1_25lookback_scan_determinismE0ELb0ELb0ES3_N6thrust23THRUST_200600_302600_NS6detail15normal_iteratorINS9_10device_ptrIsEEEESE_s11max_functorIsEsEEDaPvRmT3_T4_T5_mT6_P12ihipStream_tbENKUlT_T0_E_clISt17integral_constantIbLb1EEST_IbLb0EEEEDaSP_SQ_EUlSP_E_NS1_11comp_targetILNS1_3genE8ELNS1_11target_archE1030ELNS1_3gpuE2ELNS1_3repE0EEENS1_30default_config_static_selectorELNS0_4arch9wavefront6targetE1EEEvT1_: ; @_ZN7rocprim17ROCPRIM_400000_NS6detail17trampoline_kernelINS0_14default_configENS1_20scan_config_selectorIsEEZZNS1_9scan_implILNS1_25lookback_scan_determinismE0ELb0ELb0ES3_N6thrust23THRUST_200600_302600_NS6detail15normal_iteratorINS9_10device_ptrIsEEEESE_s11max_functorIsEsEEDaPvRmT3_T4_T5_mT6_P12ihipStream_tbENKUlT_T0_E_clISt17integral_constantIbLb1EEST_IbLb0EEEEDaSP_SQ_EUlSP_E_NS1_11comp_targetILNS1_3genE8ELNS1_11target_archE1030ELNS1_3gpuE2ELNS1_3repE0EEENS1_30default_config_static_selectorELNS0_4arch9wavefront6targetE1EEEvT1_
; %bb.0:
	.section	.rodata,"a",@progbits
	.p2align	6, 0x0
	.amdhsa_kernel _ZN7rocprim17ROCPRIM_400000_NS6detail17trampoline_kernelINS0_14default_configENS1_20scan_config_selectorIsEEZZNS1_9scan_implILNS1_25lookback_scan_determinismE0ELb0ELb0ES3_N6thrust23THRUST_200600_302600_NS6detail15normal_iteratorINS9_10device_ptrIsEEEESE_s11max_functorIsEsEEDaPvRmT3_T4_T5_mT6_P12ihipStream_tbENKUlT_T0_E_clISt17integral_constantIbLb1EEST_IbLb0EEEEDaSP_SQ_EUlSP_E_NS1_11comp_targetILNS1_3genE8ELNS1_11target_archE1030ELNS1_3gpuE2ELNS1_3repE0EEENS1_30default_config_static_selectorELNS0_4arch9wavefront6targetE1EEEvT1_
		.amdhsa_group_segment_fixed_size 0
		.amdhsa_private_segment_fixed_size 0
		.amdhsa_kernarg_size 96
		.amdhsa_user_sgpr_count 6
		.amdhsa_user_sgpr_private_segment_buffer 1
		.amdhsa_user_sgpr_dispatch_ptr 0
		.amdhsa_user_sgpr_queue_ptr 0
		.amdhsa_user_sgpr_kernarg_segment_ptr 1
		.amdhsa_user_sgpr_dispatch_id 0
		.amdhsa_user_sgpr_flat_scratch_init 0
		.amdhsa_user_sgpr_kernarg_preload_length 0
		.amdhsa_user_sgpr_kernarg_preload_offset 0
		.amdhsa_user_sgpr_private_segment_size 0
		.amdhsa_uses_dynamic_stack 0
		.amdhsa_system_sgpr_private_segment_wavefront_offset 0
		.amdhsa_system_sgpr_workgroup_id_x 1
		.amdhsa_system_sgpr_workgroup_id_y 0
		.amdhsa_system_sgpr_workgroup_id_z 0
		.amdhsa_system_sgpr_workgroup_info 0
		.amdhsa_system_vgpr_workitem_id 0
		.amdhsa_next_free_vgpr 1
		.amdhsa_next_free_sgpr 0
		.amdhsa_accum_offset 4
		.amdhsa_reserve_vcc 0
		.amdhsa_reserve_flat_scratch 0
		.amdhsa_float_round_mode_32 0
		.amdhsa_float_round_mode_16_64 0
		.amdhsa_float_denorm_mode_32 3
		.amdhsa_float_denorm_mode_16_64 3
		.amdhsa_dx10_clamp 1
		.amdhsa_ieee_mode 1
		.amdhsa_fp16_overflow 0
		.amdhsa_tg_split 0
		.amdhsa_exception_fp_ieee_invalid_op 0
		.amdhsa_exception_fp_denorm_src 0
		.amdhsa_exception_fp_ieee_div_zero 0
		.amdhsa_exception_fp_ieee_overflow 0
		.amdhsa_exception_fp_ieee_underflow 0
		.amdhsa_exception_fp_ieee_inexact 0
		.amdhsa_exception_int_div_zero 0
	.end_amdhsa_kernel
	.section	.text._ZN7rocprim17ROCPRIM_400000_NS6detail17trampoline_kernelINS0_14default_configENS1_20scan_config_selectorIsEEZZNS1_9scan_implILNS1_25lookback_scan_determinismE0ELb0ELb0ES3_N6thrust23THRUST_200600_302600_NS6detail15normal_iteratorINS9_10device_ptrIsEEEESE_s11max_functorIsEsEEDaPvRmT3_T4_T5_mT6_P12ihipStream_tbENKUlT_T0_E_clISt17integral_constantIbLb1EEST_IbLb0EEEEDaSP_SQ_EUlSP_E_NS1_11comp_targetILNS1_3genE8ELNS1_11target_archE1030ELNS1_3gpuE2ELNS1_3repE0EEENS1_30default_config_static_selectorELNS0_4arch9wavefront6targetE1EEEvT1_,"axG",@progbits,_ZN7rocprim17ROCPRIM_400000_NS6detail17trampoline_kernelINS0_14default_configENS1_20scan_config_selectorIsEEZZNS1_9scan_implILNS1_25lookback_scan_determinismE0ELb0ELb0ES3_N6thrust23THRUST_200600_302600_NS6detail15normal_iteratorINS9_10device_ptrIsEEEESE_s11max_functorIsEsEEDaPvRmT3_T4_T5_mT6_P12ihipStream_tbENKUlT_T0_E_clISt17integral_constantIbLb1EEST_IbLb0EEEEDaSP_SQ_EUlSP_E_NS1_11comp_targetILNS1_3genE8ELNS1_11target_archE1030ELNS1_3gpuE2ELNS1_3repE0EEENS1_30default_config_static_selectorELNS0_4arch9wavefront6targetE1EEEvT1_,comdat
.Lfunc_end2890:
	.size	_ZN7rocprim17ROCPRIM_400000_NS6detail17trampoline_kernelINS0_14default_configENS1_20scan_config_selectorIsEEZZNS1_9scan_implILNS1_25lookback_scan_determinismE0ELb0ELb0ES3_N6thrust23THRUST_200600_302600_NS6detail15normal_iteratorINS9_10device_ptrIsEEEESE_s11max_functorIsEsEEDaPvRmT3_T4_T5_mT6_P12ihipStream_tbENKUlT_T0_E_clISt17integral_constantIbLb1EEST_IbLb0EEEEDaSP_SQ_EUlSP_E_NS1_11comp_targetILNS1_3genE8ELNS1_11target_archE1030ELNS1_3gpuE2ELNS1_3repE0EEENS1_30default_config_static_selectorELNS0_4arch9wavefront6targetE1EEEvT1_, .Lfunc_end2890-_ZN7rocprim17ROCPRIM_400000_NS6detail17trampoline_kernelINS0_14default_configENS1_20scan_config_selectorIsEEZZNS1_9scan_implILNS1_25lookback_scan_determinismE0ELb0ELb0ES3_N6thrust23THRUST_200600_302600_NS6detail15normal_iteratorINS9_10device_ptrIsEEEESE_s11max_functorIsEsEEDaPvRmT3_T4_T5_mT6_P12ihipStream_tbENKUlT_T0_E_clISt17integral_constantIbLb1EEST_IbLb0EEEEDaSP_SQ_EUlSP_E_NS1_11comp_targetILNS1_3genE8ELNS1_11target_archE1030ELNS1_3gpuE2ELNS1_3repE0EEENS1_30default_config_static_selectorELNS0_4arch9wavefront6targetE1EEEvT1_
                                        ; -- End function
	.section	.AMDGPU.csdata,"",@progbits
; Kernel info:
; codeLenInByte = 0
; NumSgprs: 4
; NumVgprs: 0
; NumAgprs: 0
; TotalNumVgprs: 0
; ScratchSize: 0
; MemoryBound: 0
; FloatMode: 240
; IeeeMode: 1
; LDSByteSize: 0 bytes/workgroup (compile time only)
; SGPRBlocks: 0
; VGPRBlocks: 0
; NumSGPRsForWavesPerEU: 4
; NumVGPRsForWavesPerEU: 1
; AccumOffset: 4
; Occupancy: 8
; WaveLimiterHint : 0
; COMPUTE_PGM_RSRC2:SCRATCH_EN: 0
; COMPUTE_PGM_RSRC2:USER_SGPR: 6
; COMPUTE_PGM_RSRC2:TRAP_HANDLER: 0
; COMPUTE_PGM_RSRC2:TGID_X_EN: 1
; COMPUTE_PGM_RSRC2:TGID_Y_EN: 0
; COMPUTE_PGM_RSRC2:TGID_Z_EN: 0
; COMPUTE_PGM_RSRC2:TIDIG_COMP_CNT: 0
; COMPUTE_PGM_RSRC3_GFX90A:ACCUM_OFFSET: 0
; COMPUTE_PGM_RSRC3_GFX90A:TG_SPLIT: 0
	.section	.text._ZN7rocprim17ROCPRIM_400000_NS6detail17trampoline_kernelINS0_14default_configENS1_20scan_config_selectorIsEEZZNS1_9scan_implILNS1_25lookback_scan_determinismE0ELb0ELb0ES3_N6thrust23THRUST_200600_302600_NS6detail15normal_iteratorINS9_10device_ptrIsEEEESE_s11max_functorIsEsEEDaPvRmT3_T4_T5_mT6_P12ihipStream_tbENKUlT_T0_E_clISt17integral_constantIbLb1EEST_IbLb0EEEEDaSP_SQ_EUlSP_E0_NS1_11comp_targetILNS1_3genE0ELNS1_11target_archE4294967295ELNS1_3gpuE0ELNS1_3repE0EEENS1_30default_config_static_selectorELNS0_4arch9wavefront6targetE1EEEvT1_,"axG",@progbits,_ZN7rocprim17ROCPRIM_400000_NS6detail17trampoline_kernelINS0_14default_configENS1_20scan_config_selectorIsEEZZNS1_9scan_implILNS1_25lookback_scan_determinismE0ELb0ELb0ES3_N6thrust23THRUST_200600_302600_NS6detail15normal_iteratorINS9_10device_ptrIsEEEESE_s11max_functorIsEsEEDaPvRmT3_T4_T5_mT6_P12ihipStream_tbENKUlT_T0_E_clISt17integral_constantIbLb1EEST_IbLb0EEEEDaSP_SQ_EUlSP_E0_NS1_11comp_targetILNS1_3genE0ELNS1_11target_archE4294967295ELNS1_3gpuE0ELNS1_3repE0EEENS1_30default_config_static_selectorELNS0_4arch9wavefront6targetE1EEEvT1_,comdat
	.protected	_ZN7rocprim17ROCPRIM_400000_NS6detail17trampoline_kernelINS0_14default_configENS1_20scan_config_selectorIsEEZZNS1_9scan_implILNS1_25lookback_scan_determinismE0ELb0ELb0ES3_N6thrust23THRUST_200600_302600_NS6detail15normal_iteratorINS9_10device_ptrIsEEEESE_s11max_functorIsEsEEDaPvRmT3_T4_T5_mT6_P12ihipStream_tbENKUlT_T0_E_clISt17integral_constantIbLb1EEST_IbLb0EEEEDaSP_SQ_EUlSP_E0_NS1_11comp_targetILNS1_3genE0ELNS1_11target_archE4294967295ELNS1_3gpuE0ELNS1_3repE0EEENS1_30default_config_static_selectorELNS0_4arch9wavefront6targetE1EEEvT1_ ; -- Begin function _ZN7rocprim17ROCPRIM_400000_NS6detail17trampoline_kernelINS0_14default_configENS1_20scan_config_selectorIsEEZZNS1_9scan_implILNS1_25lookback_scan_determinismE0ELb0ELb0ES3_N6thrust23THRUST_200600_302600_NS6detail15normal_iteratorINS9_10device_ptrIsEEEESE_s11max_functorIsEsEEDaPvRmT3_T4_T5_mT6_P12ihipStream_tbENKUlT_T0_E_clISt17integral_constantIbLb1EEST_IbLb0EEEEDaSP_SQ_EUlSP_E0_NS1_11comp_targetILNS1_3genE0ELNS1_11target_archE4294967295ELNS1_3gpuE0ELNS1_3repE0EEENS1_30default_config_static_selectorELNS0_4arch9wavefront6targetE1EEEvT1_
	.globl	_ZN7rocprim17ROCPRIM_400000_NS6detail17trampoline_kernelINS0_14default_configENS1_20scan_config_selectorIsEEZZNS1_9scan_implILNS1_25lookback_scan_determinismE0ELb0ELb0ES3_N6thrust23THRUST_200600_302600_NS6detail15normal_iteratorINS9_10device_ptrIsEEEESE_s11max_functorIsEsEEDaPvRmT3_T4_T5_mT6_P12ihipStream_tbENKUlT_T0_E_clISt17integral_constantIbLb1EEST_IbLb0EEEEDaSP_SQ_EUlSP_E0_NS1_11comp_targetILNS1_3genE0ELNS1_11target_archE4294967295ELNS1_3gpuE0ELNS1_3repE0EEENS1_30default_config_static_selectorELNS0_4arch9wavefront6targetE1EEEvT1_
	.p2align	8
	.type	_ZN7rocprim17ROCPRIM_400000_NS6detail17trampoline_kernelINS0_14default_configENS1_20scan_config_selectorIsEEZZNS1_9scan_implILNS1_25lookback_scan_determinismE0ELb0ELb0ES3_N6thrust23THRUST_200600_302600_NS6detail15normal_iteratorINS9_10device_ptrIsEEEESE_s11max_functorIsEsEEDaPvRmT3_T4_T5_mT6_P12ihipStream_tbENKUlT_T0_E_clISt17integral_constantIbLb1EEST_IbLb0EEEEDaSP_SQ_EUlSP_E0_NS1_11comp_targetILNS1_3genE0ELNS1_11target_archE4294967295ELNS1_3gpuE0ELNS1_3repE0EEENS1_30default_config_static_selectorELNS0_4arch9wavefront6targetE1EEEvT1_,@function
_ZN7rocprim17ROCPRIM_400000_NS6detail17trampoline_kernelINS0_14default_configENS1_20scan_config_selectorIsEEZZNS1_9scan_implILNS1_25lookback_scan_determinismE0ELb0ELb0ES3_N6thrust23THRUST_200600_302600_NS6detail15normal_iteratorINS9_10device_ptrIsEEEESE_s11max_functorIsEsEEDaPvRmT3_T4_T5_mT6_P12ihipStream_tbENKUlT_T0_E_clISt17integral_constantIbLb1EEST_IbLb0EEEEDaSP_SQ_EUlSP_E0_NS1_11comp_targetILNS1_3genE0ELNS1_11target_archE4294967295ELNS1_3gpuE0ELNS1_3repE0EEENS1_30default_config_static_selectorELNS0_4arch9wavefront6targetE1EEEvT1_: ; @_ZN7rocprim17ROCPRIM_400000_NS6detail17trampoline_kernelINS0_14default_configENS1_20scan_config_selectorIsEEZZNS1_9scan_implILNS1_25lookback_scan_determinismE0ELb0ELb0ES3_N6thrust23THRUST_200600_302600_NS6detail15normal_iteratorINS9_10device_ptrIsEEEESE_s11max_functorIsEsEEDaPvRmT3_T4_T5_mT6_P12ihipStream_tbENKUlT_T0_E_clISt17integral_constantIbLb1EEST_IbLb0EEEEDaSP_SQ_EUlSP_E0_NS1_11comp_targetILNS1_3genE0ELNS1_11target_archE4294967295ELNS1_3gpuE0ELNS1_3repE0EEENS1_30default_config_static_selectorELNS0_4arch9wavefront6targetE1EEEvT1_
; %bb.0:
	.section	.rodata,"a",@progbits
	.p2align	6, 0x0
	.amdhsa_kernel _ZN7rocprim17ROCPRIM_400000_NS6detail17trampoline_kernelINS0_14default_configENS1_20scan_config_selectorIsEEZZNS1_9scan_implILNS1_25lookback_scan_determinismE0ELb0ELb0ES3_N6thrust23THRUST_200600_302600_NS6detail15normal_iteratorINS9_10device_ptrIsEEEESE_s11max_functorIsEsEEDaPvRmT3_T4_T5_mT6_P12ihipStream_tbENKUlT_T0_E_clISt17integral_constantIbLb1EEST_IbLb0EEEEDaSP_SQ_EUlSP_E0_NS1_11comp_targetILNS1_3genE0ELNS1_11target_archE4294967295ELNS1_3gpuE0ELNS1_3repE0EEENS1_30default_config_static_selectorELNS0_4arch9wavefront6targetE1EEEvT1_
		.amdhsa_group_segment_fixed_size 0
		.amdhsa_private_segment_fixed_size 0
		.amdhsa_kernarg_size 32
		.amdhsa_user_sgpr_count 6
		.amdhsa_user_sgpr_private_segment_buffer 1
		.amdhsa_user_sgpr_dispatch_ptr 0
		.amdhsa_user_sgpr_queue_ptr 0
		.amdhsa_user_sgpr_kernarg_segment_ptr 1
		.amdhsa_user_sgpr_dispatch_id 0
		.amdhsa_user_sgpr_flat_scratch_init 0
		.amdhsa_user_sgpr_kernarg_preload_length 0
		.amdhsa_user_sgpr_kernarg_preload_offset 0
		.amdhsa_user_sgpr_private_segment_size 0
		.amdhsa_uses_dynamic_stack 0
		.amdhsa_system_sgpr_private_segment_wavefront_offset 0
		.amdhsa_system_sgpr_workgroup_id_x 1
		.amdhsa_system_sgpr_workgroup_id_y 0
		.amdhsa_system_sgpr_workgroup_id_z 0
		.amdhsa_system_sgpr_workgroup_info 0
		.amdhsa_system_vgpr_workitem_id 0
		.amdhsa_next_free_vgpr 1
		.amdhsa_next_free_sgpr 0
		.amdhsa_accum_offset 4
		.amdhsa_reserve_vcc 0
		.amdhsa_reserve_flat_scratch 0
		.amdhsa_float_round_mode_32 0
		.amdhsa_float_round_mode_16_64 0
		.amdhsa_float_denorm_mode_32 3
		.amdhsa_float_denorm_mode_16_64 3
		.amdhsa_dx10_clamp 1
		.amdhsa_ieee_mode 1
		.amdhsa_fp16_overflow 0
		.amdhsa_tg_split 0
		.amdhsa_exception_fp_ieee_invalid_op 0
		.amdhsa_exception_fp_denorm_src 0
		.amdhsa_exception_fp_ieee_div_zero 0
		.amdhsa_exception_fp_ieee_overflow 0
		.amdhsa_exception_fp_ieee_underflow 0
		.amdhsa_exception_fp_ieee_inexact 0
		.amdhsa_exception_int_div_zero 0
	.end_amdhsa_kernel
	.section	.text._ZN7rocprim17ROCPRIM_400000_NS6detail17trampoline_kernelINS0_14default_configENS1_20scan_config_selectorIsEEZZNS1_9scan_implILNS1_25lookback_scan_determinismE0ELb0ELb0ES3_N6thrust23THRUST_200600_302600_NS6detail15normal_iteratorINS9_10device_ptrIsEEEESE_s11max_functorIsEsEEDaPvRmT3_T4_T5_mT6_P12ihipStream_tbENKUlT_T0_E_clISt17integral_constantIbLb1EEST_IbLb0EEEEDaSP_SQ_EUlSP_E0_NS1_11comp_targetILNS1_3genE0ELNS1_11target_archE4294967295ELNS1_3gpuE0ELNS1_3repE0EEENS1_30default_config_static_selectorELNS0_4arch9wavefront6targetE1EEEvT1_,"axG",@progbits,_ZN7rocprim17ROCPRIM_400000_NS6detail17trampoline_kernelINS0_14default_configENS1_20scan_config_selectorIsEEZZNS1_9scan_implILNS1_25lookback_scan_determinismE0ELb0ELb0ES3_N6thrust23THRUST_200600_302600_NS6detail15normal_iteratorINS9_10device_ptrIsEEEESE_s11max_functorIsEsEEDaPvRmT3_T4_T5_mT6_P12ihipStream_tbENKUlT_T0_E_clISt17integral_constantIbLb1EEST_IbLb0EEEEDaSP_SQ_EUlSP_E0_NS1_11comp_targetILNS1_3genE0ELNS1_11target_archE4294967295ELNS1_3gpuE0ELNS1_3repE0EEENS1_30default_config_static_selectorELNS0_4arch9wavefront6targetE1EEEvT1_,comdat
.Lfunc_end2891:
	.size	_ZN7rocprim17ROCPRIM_400000_NS6detail17trampoline_kernelINS0_14default_configENS1_20scan_config_selectorIsEEZZNS1_9scan_implILNS1_25lookback_scan_determinismE0ELb0ELb0ES3_N6thrust23THRUST_200600_302600_NS6detail15normal_iteratorINS9_10device_ptrIsEEEESE_s11max_functorIsEsEEDaPvRmT3_T4_T5_mT6_P12ihipStream_tbENKUlT_T0_E_clISt17integral_constantIbLb1EEST_IbLb0EEEEDaSP_SQ_EUlSP_E0_NS1_11comp_targetILNS1_3genE0ELNS1_11target_archE4294967295ELNS1_3gpuE0ELNS1_3repE0EEENS1_30default_config_static_selectorELNS0_4arch9wavefront6targetE1EEEvT1_, .Lfunc_end2891-_ZN7rocprim17ROCPRIM_400000_NS6detail17trampoline_kernelINS0_14default_configENS1_20scan_config_selectorIsEEZZNS1_9scan_implILNS1_25lookback_scan_determinismE0ELb0ELb0ES3_N6thrust23THRUST_200600_302600_NS6detail15normal_iteratorINS9_10device_ptrIsEEEESE_s11max_functorIsEsEEDaPvRmT3_T4_T5_mT6_P12ihipStream_tbENKUlT_T0_E_clISt17integral_constantIbLb1EEST_IbLb0EEEEDaSP_SQ_EUlSP_E0_NS1_11comp_targetILNS1_3genE0ELNS1_11target_archE4294967295ELNS1_3gpuE0ELNS1_3repE0EEENS1_30default_config_static_selectorELNS0_4arch9wavefront6targetE1EEEvT1_
                                        ; -- End function
	.section	.AMDGPU.csdata,"",@progbits
; Kernel info:
; codeLenInByte = 0
; NumSgprs: 4
; NumVgprs: 0
; NumAgprs: 0
; TotalNumVgprs: 0
; ScratchSize: 0
; MemoryBound: 0
; FloatMode: 240
; IeeeMode: 1
; LDSByteSize: 0 bytes/workgroup (compile time only)
; SGPRBlocks: 0
; VGPRBlocks: 0
; NumSGPRsForWavesPerEU: 4
; NumVGPRsForWavesPerEU: 1
; AccumOffset: 4
; Occupancy: 8
; WaveLimiterHint : 0
; COMPUTE_PGM_RSRC2:SCRATCH_EN: 0
; COMPUTE_PGM_RSRC2:USER_SGPR: 6
; COMPUTE_PGM_RSRC2:TRAP_HANDLER: 0
; COMPUTE_PGM_RSRC2:TGID_X_EN: 1
; COMPUTE_PGM_RSRC2:TGID_Y_EN: 0
; COMPUTE_PGM_RSRC2:TGID_Z_EN: 0
; COMPUTE_PGM_RSRC2:TIDIG_COMP_CNT: 0
; COMPUTE_PGM_RSRC3_GFX90A:ACCUM_OFFSET: 0
; COMPUTE_PGM_RSRC3_GFX90A:TG_SPLIT: 0
	.section	.text._ZN7rocprim17ROCPRIM_400000_NS6detail17trampoline_kernelINS0_14default_configENS1_20scan_config_selectorIsEEZZNS1_9scan_implILNS1_25lookback_scan_determinismE0ELb0ELb0ES3_N6thrust23THRUST_200600_302600_NS6detail15normal_iteratorINS9_10device_ptrIsEEEESE_s11max_functorIsEsEEDaPvRmT3_T4_T5_mT6_P12ihipStream_tbENKUlT_T0_E_clISt17integral_constantIbLb1EEST_IbLb0EEEEDaSP_SQ_EUlSP_E0_NS1_11comp_targetILNS1_3genE5ELNS1_11target_archE942ELNS1_3gpuE9ELNS1_3repE0EEENS1_30default_config_static_selectorELNS0_4arch9wavefront6targetE1EEEvT1_,"axG",@progbits,_ZN7rocprim17ROCPRIM_400000_NS6detail17trampoline_kernelINS0_14default_configENS1_20scan_config_selectorIsEEZZNS1_9scan_implILNS1_25lookback_scan_determinismE0ELb0ELb0ES3_N6thrust23THRUST_200600_302600_NS6detail15normal_iteratorINS9_10device_ptrIsEEEESE_s11max_functorIsEsEEDaPvRmT3_T4_T5_mT6_P12ihipStream_tbENKUlT_T0_E_clISt17integral_constantIbLb1EEST_IbLb0EEEEDaSP_SQ_EUlSP_E0_NS1_11comp_targetILNS1_3genE5ELNS1_11target_archE942ELNS1_3gpuE9ELNS1_3repE0EEENS1_30default_config_static_selectorELNS0_4arch9wavefront6targetE1EEEvT1_,comdat
	.protected	_ZN7rocprim17ROCPRIM_400000_NS6detail17trampoline_kernelINS0_14default_configENS1_20scan_config_selectorIsEEZZNS1_9scan_implILNS1_25lookback_scan_determinismE0ELb0ELb0ES3_N6thrust23THRUST_200600_302600_NS6detail15normal_iteratorINS9_10device_ptrIsEEEESE_s11max_functorIsEsEEDaPvRmT3_T4_T5_mT6_P12ihipStream_tbENKUlT_T0_E_clISt17integral_constantIbLb1EEST_IbLb0EEEEDaSP_SQ_EUlSP_E0_NS1_11comp_targetILNS1_3genE5ELNS1_11target_archE942ELNS1_3gpuE9ELNS1_3repE0EEENS1_30default_config_static_selectorELNS0_4arch9wavefront6targetE1EEEvT1_ ; -- Begin function _ZN7rocprim17ROCPRIM_400000_NS6detail17trampoline_kernelINS0_14default_configENS1_20scan_config_selectorIsEEZZNS1_9scan_implILNS1_25lookback_scan_determinismE0ELb0ELb0ES3_N6thrust23THRUST_200600_302600_NS6detail15normal_iteratorINS9_10device_ptrIsEEEESE_s11max_functorIsEsEEDaPvRmT3_T4_T5_mT6_P12ihipStream_tbENKUlT_T0_E_clISt17integral_constantIbLb1EEST_IbLb0EEEEDaSP_SQ_EUlSP_E0_NS1_11comp_targetILNS1_3genE5ELNS1_11target_archE942ELNS1_3gpuE9ELNS1_3repE0EEENS1_30default_config_static_selectorELNS0_4arch9wavefront6targetE1EEEvT1_
	.globl	_ZN7rocprim17ROCPRIM_400000_NS6detail17trampoline_kernelINS0_14default_configENS1_20scan_config_selectorIsEEZZNS1_9scan_implILNS1_25lookback_scan_determinismE0ELb0ELb0ES3_N6thrust23THRUST_200600_302600_NS6detail15normal_iteratorINS9_10device_ptrIsEEEESE_s11max_functorIsEsEEDaPvRmT3_T4_T5_mT6_P12ihipStream_tbENKUlT_T0_E_clISt17integral_constantIbLb1EEST_IbLb0EEEEDaSP_SQ_EUlSP_E0_NS1_11comp_targetILNS1_3genE5ELNS1_11target_archE942ELNS1_3gpuE9ELNS1_3repE0EEENS1_30default_config_static_selectorELNS0_4arch9wavefront6targetE1EEEvT1_
	.p2align	8
	.type	_ZN7rocprim17ROCPRIM_400000_NS6detail17trampoline_kernelINS0_14default_configENS1_20scan_config_selectorIsEEZZNS1_9scan_implILNS1_25lookback_scan_determinismE0ELb0ELb0ES3_N6thrust23THRUST_200600_302600_NS6detail15normal_iteratorINS9_10device_ptrIsEEEESE_s11max_functorIsEsEEDaPvRmT3_T4_T5_mT6_P12ihipStream_tbENKUlT_T0_E_clISt17integral_constantIbLb1EEST_IbLb0EEEEDaSP_SQ_EUlSP_E0_NS1_11comp_targetILNS1_3genE5ELNS1_11target_archE942ELNS1_3gpuE9ELNS1_3repE0EEENS1_30default_config_static_selectorELNS0_4arch9wavefront6targetE1EEEvT1_,@function
_ZN7rocprim17ROCPRIM_400000_NS6detail17trampoline_kernelINS0_14default_configENS1_20scan_config_selectorIsEEZZNS1_9scan_implILNS1_25lookback_scan_determinismE0ELb0ELb0ES3_N6thrust23THRUST_200600_302600_NS6detail15normal_iteratorINS9_10device_ptrIsEEEESE_s11max_functorIsEsEEDaPvRmT3_T4_T5_mT6_P12ihipStream_tbENKUlT_T0_E_clISt17integral_constantIbLb1EEST_IbLb0EEEEDaSP_SQ_EUlSP_E0_NS1_11comp_targetILNS1_3genE5ELNS1_11target_archE942ELNS1_3gpuE9ELNS1_3repE0EEENS1_30default_config_static_selectorELNS0_4arch9wavefront6targetE1EEEvT1_: ; @_ZN7rocprim17ROCPRIM_400000_NS6detail17trampoline_kernelINS0_14default_configENS1_20scan_config_selectorIsEEZZNS1_9scan_implILNS1_25lookback_scan_determinismE0ELb0ELb0ES3_N6thrust23THRUST_200600_302600_NS6detail15normal_iteratorINS9_10device_ptrIsEEEESE_s11max_functorIsEsEEDaPvRmT3_T4_T5_mT6_P12ihipStream_tbENKUlT_T0_E_clISt17integral_constantIbLb1EEST_IbLb0EEEEDaSP_SQ_EUlSP_E0_NS1_11comp_targetILNS1_3genE5ELNS1_11target_archE942ELNS1_3gpuE9ELNS1_3repE0EEENS1_30default_config_static_selectorELNS0_4arch9wavefront6targetE1EEEvT1_
; %bb.0:
	.section	.rodata,"a",@progbits
	.p2align	6, 0x0
	.amdhsa_kernel _ZN7rocprim17ROCPRIM_400000_NS6detail17trampoline_kernelINS0_14default_configENS1_20scan_config_selectorIsEEZZNS1_9scan_implILNS1_25lookback_scan_determinismE0ELb0ELb0ES3_N6thrust23THRUST_200600_302600_NS6detail15normal_iteratorINS9_10device_ptrIsEEEESE_s11max_functorIsEsEEDaPvRmT3_T4_T5_mT6_P12ihipStream_tbENKUlT_T0_E_clISt17integral_constantIbLb1EEST_IbLb0EEEEDaSP_SQ_EUlSP_E0_NS1_11comp_targetILNS1_3genE5ELNS1_11target_archE942ELNS1_3gpuE9ELNS1_3repE0EEENS1_30default_config_static_selectorELNS0_4arch9wavefront6targetE1EEEvT1_
		.amdhsa_group_segment_fixed_size 0
		.amdhsa_private_segment_fixed_size 0
		.amdhsa_kernarg_size 32
		.amdhsa_user_sgpr_count 6
		.amdhsa_user_sgpr_private_segment_buffer 1
		.amdhsa_user_sgpr_dispatch_ptr 0
		.amdhsa_user_sgpr_queue_ptr 0
		.amdhsa_user_sgpr_kernarg_segment_ptr 1
		.amdhsa_user_sgpr_dispatch_id 0
		.amdhsa_user_sgpr_flat_scratch_init 0
		.amdhsa_user_sgpr_kernarg_preload_length 0
		.amdhsa_user_sgpr_kernarg_preload_offset 0
		.amdhsa_user_sgpr_private_segment_size 0
		.amdhsa_uses_dynamic_stack 0
		.amdhsa_system_sgpr_private_segment_wavefront_offset 0
		.amdhsa_system_sgpr_workgroup_id_x 1
		.amdhsa_system_sgpr_workgroup_id_y 0
		.amdhsa_system_sgpr_workgroup_id_z 0
		.amdhsa_system_sgpr_workgroup_info 0
		.amdhsa_system_vgpr_workitem_id 0
		.amdhsa_next_free_vgpr 1
		.amdhsa_next_free_sgpr 0
		.amdhsa_accum_offset 4
		.amdhsa_reserve_vcc 0
		.amdhsa_reserve_flat_scratch 0
		.amdhsa_float_round_mode_32 0
		.amdhsa_float_round_mode_16_64 0
		.amdhsa_float_denorm_mode_32 3
		.amdhsa_float_denorm_mode_16_64 3
		.amdhsa_dx10_clamp 1
		.amdhsa_ieee_mode 1
		.amdhsa_fp16_overflow 0
		.amdhsa_tg_split 0
		.amdhsa_exception_fp_ieee_invalid_op 0
		.amdhsa_exception_fp_denorm_src 0
		.amdhsa_exception_fp_ieee_div_zero 0
		.amdhsa_exception_fp_ieee_overflow 0
		.amdhsa_exception_fp_ieee_underflow 0
		.amdhsa_exception_fp_ieee_inexact 0
		.amdhsa_exception_int_div_zero 0
	.end_amdhsa_kernel
	.section	.text._ZN7rocprim17ROCPRIM_400000_NS6detail17trampoline_kernelINS0_14default_configENS1_20scan_config_selectorIsEEZZNS1_9scan_implILNS1_25lookback_scan_determinismE0ELb0ELb0ES3_N6thrust23THRUST_200600_302600_NS6detail15normal_iteratorINS9_10device_ptrIsEEEESE_s11max_functorIsEsEEDaPvRmT3_T4_T5_mT6_P12ihipStream_tbENKUlT_T0_E_clISt17integral_constantIbLb1EEST_IbLb0EEEEDaSP_SQ_EUlSP_E0_NS1_11comp_targetILNS1_3genE5ELNS1_11target_archE942ELNS1_3gpuE9ELNS1_3repE0EEENS1_30default_config_static_selectorELNS0_4arch9wavefront6targetE1EEEvT1_,"axG",@progbits,_ZN7rocprim17ROCPRIM_400000_NS6detail17trampoline_kernelINS0_14default_configENS1_20scan_config_selectorIsEEZZNS1_9scan_implILNS1_25lookback_scan_determinismE0ELb0ELb0ES3_N6thrust23THRUST_200600_302600_NS6detail15normal_iteratorINS9_10device_ptrIsEEEESE_s11max_functorIsEsEEDaPvRmT3_T4_T5_mT6_P12ihipStream_tbENKUlT_T0_E_clISt17integral_constantIbLb1EEST_IbLb0EEEEDaSP_SQ_EUlSP_E0_NS1_11comp_targetILNS1_3genE5ELNS1_11target_archE942ELNS1_3gpuE9ELNS1_3repE0EEENS1_30default_config_static_selectorELNS0_4arch9wavefront6targetE1EEEvT1_,comdat
.Lfunc_end2892:
	.size	_ZN7rocprim17ROCPRIM_400000_NS6detail17trampoline_kernelINS0_14default_configENS1_20scan_config_selectorIsEEZZNS1_9scan_implILNS1_25lookback_scan_determinismE0ELb0ELb0ES3_N6thrust23THRUST_200600_302600_NS6detail15normal_iteratorINS9_10device_ptrIsEEEESE_s11max_functorIsEsEEDaPvRmT3_T4_T5_mT6_P12ihipStream_tbENKUlT_T0_E_clISt17integral_constantIbLb1EEST_IbLb0EEEEDaSP_SQ_EUlSP_E0_NS1_11comp_targetILNS1_3genE5ELNS1_11target_archE942ELNS1_3gpuE9ELNS1_3repE0EEENS1_30default_config_static_selectorELNS0_4arch9wavefront6targetE1EEEvT1_, .Lfunc_end2892-_ZN7rocprim17ROCPRIM_400000_NS6detail17trampoline_kernelINS0_14default_configENS1_20scan_config_selectorIsEEZZNS1_9scan_implILNS1_25lookback_scan_determinismE0ELb0ELb0ES3_N6thrust23THRUST_200600_302600_NS6detail15normal_iteratorINS9_10device_ptrIsEEEESE_s11max_functorIsEsEEDaPvRmT3_T4_T5_mT6_P12ihipStream_tbENKUlT_T0_E_clISt17integral_constantIbLb1EEST_IbLb0EEEEDaSP_SQ_EUlSP_E0_NS1_11comp_targetILNS1_3genE5ELNS1_11target_archE942ELNS1_3gpuE9ELNS1_3repE0EEENS1_30default_config_static_selectorELNS0_4arch9wavefront6targetE1EEEvT1_
                                        ; -- End function
	.section	.AMDGPU.csdata,"",@progbits
; Kernel info:
; codeLenInByte = 0
; NumSgprs: 4
; NumVgprs: 0
; NumAgprs: 0
; TotalNumVgprs: 0
; ScratchSize: 0
; MemoryBound: 0
; FloatMode: 240
; IeeeMode: 1
; LDSByteSize: 0 bytes/workgroup (compile time only)
; SGPRBlocks: 0
; VGPRBlocks: 0
; NumSGPRsForWavesPerEU: 4
; NumVGPRsForWavesPerEU: 1
; AccumOffset: 4
; Occupancy: 8
; WaveLimiterHint : 0
; COMPUTE_PGM_RSRC2:SCRATCH_EN: 0
; COMPUTE_PGM_RSRC2:USER_SGPR: 6
; COMPUTE_PGM_RSRC2:TRAP_HANDLER: 0
; COMPUTE_PGM_RSRC2:TGID_X_EN: 1
; COMPUTE_PGM_RSRC2:TGID_Y_EN: 0
; COMPUTE_PGM_RSRC2:TGID_Z_EN: 0
; COMPUTE_PGM_RSRC2:TIDIG_COMP_CNT: 0
; COMPUTE_PGM_RSRC3_GFX90A:ACCUM_OFFSET: 0
; COMPUTE_PGM_RSRC3_GFX90A:TG_SPLIT: 0
	.section	.text._ZN7rocprim17ROCPRIM_400000_NS6detail17trampoline_kernelINS0_14default_configENS1_20scan_config_selectorIsEEZZNS1_9scan_implILNS1_25lookback_scan_determinismE0ELb0ELb0ES3_N6thrust23THRUST_200600_302600_NS6detail15normal_iteratorINS9_10device_ptrIsEEEESE_s11max_functorIsEsEEDaPvRmT3_T4_T5_mT6_P12ihipStream_tbENKUlT_T0_E_clISt17integral_constantIbLb1EEST_IbLb0EEEEDaSP_SQ_EUlSP_E0_NS1_11comp_targetILNS1_3genE4ELNS1_11target_archE910ELNS1_3gpuE8ELNS1_3repE0EEENS1_30default_config_static_selectorELNS0_4arch9wavefront6targetE1EEEvT1_,"axG",@progbits,_ZN7rocprim17ROCPRIM_400000_NS6detail17trampoline_kernelINS0_14default_configENS1_20scan_config_selectorIsEEZZNS1_9scan_implILNS1_25lookback_scan_determinismE0ELb0ELb0ES3_N6thrust23THRUST_200600_302600_NS6detail15normal_iteratorINS9_10device_ptrIsEEEESE_s11max_functorIsEsEEDaPvRmT3_T4_T5_mT6_P12ihipStream_tbENKUlT_T0_E_clISt17integral_constantIbLb1EEST_IbLb0EEEEDaSP_SQ_EUlSP_E0_NS1_11comp_targetILNS1_3genE4ELNS1_11target_archE910ELNS1_3gpuE8ELNS1_3repE0EEENS1_30default_config_static_selectorELNS0_4arch9wavefront6targetE1EEEvT1_,comdat
	.protected	_ZN7rocprim17ROCPRIM_400000_NS6detail17trampoline_kernelINS0_14default_configENS1_20scan_config_selectorIsEEZZNS1_9scan_implILNS1_25lookback_scan_determinismE0ELb0ELb0ES3_N6thrust23THRUST_200600_302600_NS6detail15normal_iteratorINS9_10device_ptrIsEEEESE_s11max_functorIsEsEEDaPvRmT3_T4_T5_mT6_P12ihipStream_tbENKUlT_T0_E_clISt17integral_constantIbLb1EEST_IbLb0EEEEDaSP_SQ_EUlSP_E0_NS1_11comp_targetILNS1_3genE4ELNS1_11target_archE910ELNS1_3gpuE8ELNS1_3repE0EEENS1_30default_config_static_selectorELNS0_4arch9wavefront6targetE1EEEvT1_ ; -- Begin function _ZN7rocprim17ROCPRIM_400000_NS6detail17trampoline_kernelINS0_14default_configENS1_20scan_config_selectorIsEEZZNS1_9scan_implILNS1_25lookback_scan_determinismE0ELb0ELb0ES3_N6thrust23THRUST_200600_302600_NS6detail15normal_iteratorINS9_10device_ptrIsEEEESE_s11max_functorIsEsEEDaPvRmT3_T4_T5_mT6_P12ihipStream_tbENKUlT_T0_E_clISt17integral_constantIbLb1EEST_IbLb0EEEEDaSP_SQ_EUlSP_E0_NS1_11comp_targetILNS1_3genE4ELNS1_11target_archE910ELNS1_3gpuE8ELNS1_3repE0EEENS1_30default_config_static_selectorELNS0_4arch9wavefront6targetE1EEEvT1_
	.globl	_ZN7rocprim17ROCPRIM_400000_NS6detail17trampoline_kernelINS0_14default_configENS1_20scan_config_selectorIsEEZZNS1_9scan_implILNS1_25lookback_scan_determinismE0ELb0ELb0ES3_N6thrust23THRUST_200600_302600_NS6detail15normal_iteratorINS9_10device_ptrIsEEEESE_s11max_functorIsEsEEDaPvRmT3_T4_T5_mT6_P12ihipStream_tbENKUlT_T0_E_clISt17integral_constantIbLb1EEST_IbLb0EEEEDaSP_SQ_EUlSP_E0_NS1_11comp_targetILNS1_3genE4ELNS1_11target_archE910ELNS1_3gpuE8ELNS1_3repE0EEENS1_30default_config_static_selectorELNS0_4arch9wavefront6targetE1EEEvT1_
	.p2align	8
	.type	_ZN7rocprim17ROCPRIM_400000_NS6detail17trampoline_kernelINS0_14default_configENS1_20scan_config_selectorIsEEZZNS1_9scan_implILNS1_25lookback_scan_determinismE0ELb0ELb0ES3_N6thrust23THRUST_200600_302600_NS6detail15normal_iteratorINS9_10device_ptrIsEEEESE_s11max_functorIsEsEEDaPvRmT3_T4_T5_mT6_P12ihipStream_tbENKUlT_T0_E_clISt17integral_constantIbLb1EEST_IbLb0EEEEDaSP_SQ_EUlSP_E0_NS1_11comp_targetILNS1_3genE4ELNS1_11target_archE910ELNS1_3gpuE8ELNS1_3repE0EEENS1_30default_config_static_selectorELNS0_4arch9wavefront6targetE1EEEvT1_,@function
_ZN7rocprim17ROCPRIM_400000_NS6detail17trampoline_kernelINS0_14default_configENS1_20scan_config_selectorIsEEZZNS1_9scan_implILNS1_25lookback_scan_determinismE0ELb0ELb0ES3_N6thrust23THRUST_200600_302600_NS6detail15normal_iteratorINS9_10device_ptrIsEEEESE_s11max_functorIsEsEEDaPvRmT3_T4_T5_mT6_P12ihipStream_tbENKUlT_T0_E_clISt17integral_constantIbLb1EEST_IbLb0EEEEDaSP_SQ_EUlSP_E0_NS1_11comp_targetILNS1_3genE4ELNS1_11target_archE910ELNS1_3gpuE8ELNS1_3repE0EEENS1_30default_config_static_selectorELNS0_4arch9wavefront6targetE1EEEvT1_: ; @_ZN7rocprim17ROCPRIM_400000_NS6detail17trampoline_kernelINS0_14default_configENS1_20scan_config_selectorIsEEZZNS1_9scan_implILNS1_25lookback_scan_determinismE0ELb0ELb0ES3_N6thrust23THRUST_200600_302600_NS6detail15normal_iteratorINS9_10device_ptrIsEEEESE_s11max_functorIsEsEEDaPvRmT3_T4_T5_mT6_P12ihipStream_tbENKUlT_T0_E_clISt17integral_constantIbLb1EEST_IbLb0EEEEDaSP_SQ_EUlSP_E0_NS1_11comp_targetILNS1_3genE4ELNS1_11target_archE910ELNS1_3gpuE8ELNS1_3repE0EEENS1_30default_config_static_selectorELNS0_4arch9wavefront6targetE1EEEvT1_
; %bb.0:
	s_load_dwordx4 s[52:55], s[4:5], 0x0
	v_mov_b32_e32 v1, 0
	v_lshlrev_b32_e32 v14, 1, v0
	s_waitcnt lgkmcnt(0)
	global_load_ushort v2, v1, s[52:53]
	v_cmp_gt_u32_e32 vcc, s54, v0
	s_waitcnt vmcnt(0)
	v_mov_b32_e32 v3, v2
	s_and_saveexec_b64 s[0:1], vcc
	s_cbranch_execz .LBB2893_2
; %bb.1:
	global_load_ushort v3, v14, s[52:53]
.LBB2893_2:
	s_or_b64 exec, exec, s[0:1]
	v_or_b32_e32 v1, 64, v0
	v_cmp_gt_u32_e64 s[0:1], s54, v1
	v_mov_b32_e32 v4, v2
	s_and_saveexec_b64 s[2:3], s[0:1]
	s_cbranch_execz .LBB2893_4
; %bb.3:
	global_load_ushort v4, v14, s[52:53] offset:128
.LBB2893_4:
	s_or_b64 exec, exec, s[2:3]
	v_or_b32_e32 v1, 0x80, v0
	v_cmp_gt_u32_e64 s[2:3], s54, v1
	v_mov_b32_e32 v5, v2
	s_and_saveexec_b64 s[6:7], s[2:3]
	s_cbranch_execz .LBB2893_6
; %bb.5:
	global_load_ushort v5, v14, s[52:53] offset:256
.LBB2893_6:
	;; [unrolled: 9-line block ×22, first 2 shown]
	s_or_b64 exec, exec, s[46:47]
	v_or_b32_e32 v1, 0x5c0, v0
	v_cmp_gt_u32_e64 s[46:47], s54, v1
	v_cmp_le_u32_e64 s[50:51], s54, v1
	s_and_saveexec_b64 s[54:55], s[50:51]
	s_xor_b64 s[50:51], exec, s[54:55]
; %bb.47:
	v_mov_b32_e32 v1, 0
; %bb.48:
	s_andn2_saveexec_b64 s[50:51], s[50:51]
	s_cbranch_execz .LBB2893_50
; %bb.49:
	global_load_ushort v2, v14, s[52:53] offset:2944
	v_mov_b32_e32 v1, 0
.LBB2893_50:
	s_or_b64 exec, exec, s[50:51]
	s_waitcnt vmcnt(0)
	ds_write_b16 v14, v3
	ds_write_b16 v14, v4 offset:128
	ds_write_b16 v14, v5 offset:256
	;; [unrolled: 1-line block ×23, first 2 shown]
	v_mad_u32_u24 v15, v0, 46, v14
	s_waitcnt lgkmcnt(0)
	; wave barrier
	s_waitcnt lgkmcnt(0)
	ds_read_b128 v[2:5], v15
	ds_read_b128 v[10:13], v15 offset:16
	ds_read_b128 v[6:9], v15 offset:32
	v_mbcnt_lo_u32_b32 v39, -1, 0
	v_mbcnt_hi_u32_b32 v39, -1, v39
	s_waitcnt lgkmcnt(2)
	v_max_i16_sdwa v16, v2, v2 dst_sel:DWORD dst_unused:UNUSED_PAD src0_sel:DWORD src1_sel:WORD_1
	v_max_i16_e32 v17, v16, v3
	v_max_i16_sdwa v19, v17, v3 dst_sel:DWORD dst_unused:UNUSED_PAD src0_sel:DWORD src1_sel:WORD_1
	v_max_i16_e32 v21, v19, v4
	;; [unrolled: 2-line block ×3, first 2 shown]
	v_max_i16_sdwa v29, v26, v5 dst_sel:DWORD dst_unused:UNUSED_PAD src0_sel:DWORD src1_sel:WORD_1
	s_waitcnt lgkmcnt(1)
	v_max_i16_e32 v18, v29, v10
	v_max_i16_sdwa v20, v18, v10 dst_sel:DWORD dst_unused:UNUSED_PAD src0_sel:DWORD src1_sel:WORD_1
	v_max_i16_e32 v22, v20, v11
	v_max_i16_sdwa v25, v22, v11 dst_sel:DWORD dst_unused:UNUSED_PAD src0_sel:DWORD src1_sel:WORD_1
	;; [unrolled: 2-line block ×4, first 2 shown]
	s_waitcnt lgkmcnt(0)
	v_max_i16_e32 v24, v35, v6
	v_max_i16_sdwa v27, v24, v6 dst_sel:DWORD dst_unused:UNUSED_PAD src0_sel:DWORD src1_sel:WORD_1
	v_max_i16_e32 v30, v27, v7
	v_max_i16_sdwa v32, v30, v7 dst_sel:DWORD dst_unused:UNUSED_PAD src0_sel:DWORD src1_sel:WORD_1
	;; [unrolled: 2-line block ×4, first 2 shown]
	v_and_b32_e32 v40, 15, v39
	s_load_dwordx2 s[50:51], s[4:5], 0x18
	v_mov_b32_dpp v41, v38 row_shr:1 row_mask:0xf bank_mask:0xf
	v_max_i16_e32 v41, v41, v38
	v_cmp_eq_u32_e64 s[4:5], 0, v40
	v_cndmask_b32_e64 v41, v41, v38, s[4:5]
	v_and_b32_e32 v42, 0xffff, v41
	v_cmp_lt_u32_e64 s[4:5], 1, v40
	s_waitcnt lgkmcnt(0)
	v_mov_b32_dpp v42, v42 row_shr:2 row_mask:0xf bank_mask:0xf
	v_max_i16_e32 v42, v42, v41
	v_cndmask_b32_e64 v41, v41, v42, s[4:5]
	v_and_b32_e32 v42, 0xffff, v41
	v_cmp_lt_u32_e64 s[4:5], 3, v40
	; wave barrier
	s_nop 0
	v_mov_b32_dpp v42, v42 row_shr:4 row_mask:0xf bank_mask:0xf
	v_max_i16_e32 v42, v42, v41
	v_cndmask_b32_e64 v41, v41, v42, s[4:5]
	v_and_b32_e32 v42, 0xffff, v41
	v_cmp_lt_u32_e64 s[4:5], 7, v40
	s_nop 0
	v_mov_b32_dpp v42, v42 row_shr:8 row_mask:0xf bank_mask:0xf
	v_max_i16_e32 v42, v42, v41
	v_cndmask_b32_e64 v40, v41, v42, s[4:5]
	v_and_b32_e32 v41, 0xffff, v40
	v_and_b32_e32 v42, 16, v39
	v_cmp_eq_u32_e64 s[4:5], 0, v42
	v_mov_b32_dpp v41, v41 row_bcast:15 row_mask:0xf bank_mask:0xf
	v_max_i16_e32 v41, v41, v40
	v_cndmask_b32_e64 v40, v41, v40, s[4:5]
	v_and_b32_e32 v41, 0xffff, v40
	v_cmp_lt_u32_e64 s[4:5], 31, v39
	s_nop 0
	v_mov_b32_dpp v41, v41 row_bcast:31 row_mask:0xf bank_mask:0xf
	v_max_i16_e32 v41, v41, v40
	v_cndmask_b32_e64 v40, v40, v41, s[4:5]
	v_cmp_eq_u32_e64 s[4:5], 63, v0
	s_and_saveexec_b64 s[52:53], s[4:5]
	s_cbranch_execz .LBB2893_52
; %bb.51:
	v_mov_b32_e32 v41, 0
	ds_write_b16 v41, v40
.LBB2893_52:
	s_or_b64 exec, exec, s[52:53]
	v_add_u32_e32 v41, -1, v39
	v_and_b32_e32 v42, 64, v39
	v_cmp_lt_i32_e64 s[4:5], v41, v42
	v_cndmask_b32_e64 v39, v41, v39, s[4:5]
	v_and_b32_e32 v40, 0xffff, v40
	v_lshlrev_b32_e32 v39, 2, v39
	ds_bpermute_b32 v39, v39, v40
	v_cmp_ne_u32_e64 s[4:5], 0, v0
	s_waitcnt lgkmcnt(0)
	; wave barrier
	s_waitcnt lgkmcnt(0)
	s_and_saveexec_b64 s[52:53], s[4:5]
	s_cbranch_execz .LBB2893_54
; %bb.53:
	v_max_i16_e32 v39, v39, v2
	v_max_i16_sdwa v16, v39, v2 dst_sel:DWORD dst_unused:UNUSED_PAD src0_sel:DWORD src1_sel:WORD_1
	v_max_i16_e32 v17, v16, v3
	v_max_i16_sdwa v19, v17, v3 dst_sel:DWORD dst_unused:UNUSED_PAD src0_sel:DWORD src1_sel:WORD_1
	;; [unrolled: 2-line block ×12, first 2 shown]
	v_mov_b32_e32 v2, v39
	;;#ASMSTART
	;;#ASMEND
.LBB2893_54:
	s_or_b64 exec, exec, s[52:53]
	s_mov_b32 s4, 0x5040100
	v_perm_b32 v5, v29, v26, s4
	v_perm_b32 v4, v23, v21, s4
	v_perm_b32 v3, v19, v17, s4
	v_perm_b32 v2, v16, v2, s4
	s_waitcnt lgkmcnt(0)
	; wave barrier
	ds_write_b128 v15, v[2:5]
	v_perm_b32 v5, v35, v33, s4
	v_perm_b32 v4, v31, v28, s4
	;; [unrolled: 1-line block ×4, first 2 shown]
	ds_write_b128 v15, v[2:5] offset:16
	v_perm_b32 v5, v38, v37, s4
	v_perm_b32 v4, v36, v34, s4
	;; [unrolled: 1-line block ×4, first 2 shown]
	s_movk_i32 s4, 0xffd2
	ds_write_b128 v15, v[2:5] offset:32
	v_mad_i32_i24 v2, v0, s4, v15
	s_waitcnt lgkmcnt(0)
	; wave barrier
	s_waitcnt lgkmcnt(0)
	ds_read_u16 v25, v2 offset:128
	ds_read_u16 v24, v2 offset:256
	ds_read_u16 v23, v2 offset:384
	ds_read_u16 v22, v2 offset:512
	ds_read_u16 v21, v2 offset:640
	ds_read_u16 v20, v2 offset:768
	ds_read_u16 v19, v2 offset:896
	ds_read_u16 v18, v2 offset:1024
	ds_read_u16 v17, v2 offset:1152
	ds_read_u16 v16, v2 offset:1280
	ds_read_u16 v15, v2 offset:1408
	ds_read_u16 v13, v2 offset:1536
	ds_read_u16 v12, v2 offset:1664
	ds_read_u16 v11, v2 offset:1792
	ds_read_u16 v10, v2 offset:1920
	ds_read_u16 v8, v2 offset:2176
	ds_read_u16 v7, v2 offset:2304
	ds_read_u16 v6, v2 offset:2432
	ds_read_u16 v5, v2 offset:2560
	ds_read_u16 v4, v2 offset:2688
	ds_read_u16 v3, v2 offset:2816
	ds_read_u16 v9, v14 offset:2048
	ds_read_u16 v2, v2 offset:2944
	v_lshlrev_b64 v[0:1], 1, v[0:1]
	v_mov_b32_e32 v26, s51
	v_add_co_u32_e64 v0, s[4:5], s50, v0
	v_addc_co_u32_e64 v1, s[4:5], v26, v1, s[4:5]
	s_and_saveexec_b64 s[4:5], vcc
	s_cbranch_execnz .LBB2893_79
; %bb.55:
	s_or_b64 exec, exec, s[4:5]
	s_and_saveexec_b64 s[4:5], s[0:1]
	s_cbranch_execnz .LBB2893_80
.LBB2893_56:
	s_or_b64 exec, exec, s[4:5]
	s_and_saveexec_b64 s[0:1], s[2:3]
	s_cbranch_execnz .LBB2893_81
.LBB2893_57:
	s_or_b64 exec, exec, s[0:1]
	s_and_saveexec_b64 s[0:1], s[48:49]
	s_cbranch_execnz .LBB2893_82
.LBB2893_58:
	s_or_b64 exec, exec, s[0:1]
	s_and_saveexec_b64 s[0:1], s[6:7]
	s_cbranch_execnz .LBB2893_83
.LBB2893_59:
	s_or_b64 exec, exec, s[0:1]
	s_and_saveexec_b64 s[0:1], s[8:9]
	s_cbranch_execnz .LBB2893_84
.LBB2893_60:
	s_or_b64 exec, exec, s[0:1]
	s_and_saveexec_b64 s[0:1], s[10:11]
	s_cbranch_execnz .LBB2893_85
.LBB2893_61:
	s_or_b64 exec, exec, s[0:1]
	s_and_saveexec_b64 s[0:1], s[12:13]
	s_cbranch_execnz .LBB2893_86
.LBB2893_62:
	s_or_b64 exec, exec, s[0:1]
	s_and_saveexec_b64 s[0:1], s[14:15]
	s_cbranch_execnz .LBB2893_87
.LBB2893_63:
	s_or_b64 exec, exec, s[0:1]
	s_and_saveexec_b64 s[0:1], s[16:17]
	s_cbranch_execnz .LBB2893_88
.LBB2893_64:
	s_or_b64 exec, exec, s[0:1]
	s_and_saveexec_b64 s[0:1], s[18:19]
	s_cbranch_execnz .LBB2893_89
.LBB2893_65:
	s_or_b64 exec, exec, s[0:1]
	s_and_saveexec_b64 s[0:1], s[20:21]
	s_cbranch_execnz .LBB2893_90
.LBB2893_66:
	s_or_b64 exec, exec, s[0:1]
	s_and_saveexec_b64 s[0:1], s[22:23]
	s_cbranch_execnz .LBB2893_91
.LBB2893_67:
	s_or_b64 exec, exec, s[0:1]
	s_and_saveexec_b64 s[0:1], s[24:25]
	s_cbranch_execnz .LBB2893_92
.LBB2893_68:
	s_or_b64 exec, exec, s[0:1]
	s_and_saveexec_b64 s[0:1], s[26:27]
	s_cbranch_execnz .LBB2893_93
.LBB2893_69:
	s_or_b64 exec, exec, s[0:1]
	s_and_saveexec_b64 s[0:1], s[28:29]
	s_cbranch_execnz .LBB2893_94
.LBB2893_70:
	s_or_b64 exec, exec, s[0:1]
	s_and_saveexec_b64 s[0:1], s[30:31]
	s_cbranch_execnz .LBB2893_95
.LBB2893_71:
	s_or_b64 exec, exec, s[0:1]
	s_and_saveexec_b64 s[0:1], s[34:35]
	s_cbranch_execnz .LBB2893_96
.LBB2893_72:
	s_or_b64 exec, exec, s[0:1]
	s_and_saveexec_b64 s[0:1], s[36:37]
	s_cbranch_execnz .LBB2893_97
.LBB2893_73:
	s_or_b64 exec, exec, s[0:1]
	s_and_saveexec_b64 s[0:1], s[38:39]
	s_cbranch_execnz .LBB2893_98
.LBB2893_74:
	s_or_b64 exec, exec, s[0:1]
	s_and_saveexec_b64 s[0:1], s[40:41]
	s_cbranch_execnz .LBB2893_99
.LBB2893_75:
	s_or_b64 exec, exec, s[0:1]
	s_and_saveexec_b64 s[0:1], s[42:43]
	s_cbranch_execnz .LBB2893_100
.LBB2893_76:
	s_or_b64 exec, exec, s[0:1]
	s_and_saveexec_b64 s[0:1], s[44:45]
	s_cbranch_execnz .LBB2893_101
.LBB2893_77:
	s_or_b64 exec, exec, s[0:1]
	s_and_saveexec_b64 s[0:1], s[46:47]
	s_cbranch_execnz .LBB2893_102
.LBB2893_78:
	s_endpgm
.LBB2893_79:
	ds_read_u16 v14, v14
	s_waitcnt lgkmcnt(0)
	global_store_short v[0:1], v14, off
	s_or_b64 exec, exec, s[4:5]
	s_and_saveexec_b64 s[4:5], s[0:1]
	s_cbranch_execz .LBB2893_56
.LBB2893_80:
	s_waitcnt lgkmcnt(14)
	global_store_short v[0:1], v25, off offset:128
	s_or_b64 exec, exec, s[4:5]
	s_and_saveexec_b64 s[0:1], s[2:3]
	s_cbranch_execz .LBB2893_57
.LBB2893_81:
	s_waitcnt lgkmcnt(14)
	global_store_short v[0:1], v24, off offset:256
	s_or_b64 exec, exec, s[0:1]
	s_and_saveexec_b64 s[0:1], s[48:49]
	s_cbranch_execz .LBB2893_58
.LBB2893_82:
	s_waitcnt lgkmcnt(14)
	global_store_short v[0:1], v23, off offset:384
	s_or_b64 exec, exec, s[0:1]
	s_and_saveexec_b64 s[0:1], s[6:7]
	s_cbranch_execz .LBB2893_59
.LBB2893_83:
	s_waitcnt lgkmcnt(14)
	global_store_short v[0:1], v22, off offset:512
	s_or_b64 exec, exec, s[0:1]
	s_and_saveexec_b64 s[0:1], s[8:9]
	s_cbranch_execz .LBB2893_60
.LBB2893_84:
	s_waitcnt lgkmcnt(14)
	global_store_short v[0:1], v21, off offset:640
	s_or_b64 exec, exec, s[0:1]
	s_and_saveexec_b64 s[0:1], s[10:11]
	s_cbranch_execz .LBB2893_61
.LBB2893_85:
	s_waitcnt lgkmcnt(14)
	global_store_short v[0:1], v20, off offset:768
	s_or_b64 exec, exec, s[0:1]
	s_and_saveexec_b64 s[0:1], s[12:13]
	s_cbranch_execz .LBB2893_62
.LBB2893_86:
	s_waitcnt lgkmcnt(14)
	global_store_short v[0:1], v19, off offset:896
	s_or_b64 exec, exec, s[0:1]
	s_and_saveexec_b64 s[0:1], s[14:15]
	s_cbranch_execz .LBB2893_63
.LBB2893_87:
	s_waitcnt lgkmcnt(14)
	global_store_short v[0:1], v18, off offset:1024
	s_or_b64 exec, exec, s[0:1]
	s_and_saveexec_b64 s[0:1], s[16:17]
	s_cbranch_execz .LBB2893_64
.LBB2893_88:
	s_waitcnt lgkmcnt(14)
	global_store_short v[0:1], v17, off offset:1152
	s_or_b64 exec, exec, s[0:1]
	s_and_saveexec_b64 s[0:1], s[18:19]
	s_cbranch_execz .LBB2893_65
.LBB2893_89:
	s_waitcnt lgkmcnt(13)
	global_store_short v[0:1], v16, off offset:1280
	s_or_b64 exec, exec, s[0:1]
	s_and_saveexec_b64 s[0:1], s[20:21]
	s_cbranch_execz .LBB2893_66
.LBB2893_90:
	s_waitcnt lgkmcnt(12)
	global_store_short v[0:1], v15, off offset:1408
	s_or_b64 exec, exec, s[0:1]
	s_and_saveexec_b64 s[0:1], s[22:23]
	s_cbranch_execz .LBB2893_67
.LBB2893_91:
	s_waitcnt lgkmcnt(11)
	global_store_short v[0:1], v13, off offset:1536
	s_or_b64 exec, exec, s[0:1]
	s_and_saveexec_b64 s[0:1], s[24:25]
	s_cbranch_execz .LBB2893_68
.LBB2893_92:
	s_waitcnt lgkmcnt(10)
	global_store_short v[0:1], v12, off offset:1664
	s_or_b64 exec, exec, s[0:1]
	s_and_saveexec_b64 s[0:1], s[26:27]
	s_cbranch_execz .LBB2893_69
.LBB2893_93:
	s_waitcnt lgkmcnt(9)
	global_store_short v[0:1], v11, off offset:1792
	s_or_b64 exec, exec, s[0:1]
	s_and_saveexec_b64 s[0:1], s[28:29]
	s_cbranch_execz .LBB2893_70
.LBB2893_94:
	s_waitcnt lgkmcnt(8)
	global_store_short v[0:1], v10, off offset:1920
	s_or_b64 exec, exec, s[0:1]
	s_and_saveexec_b64 s[0:1], s[30:31]
	s_cbranch_execz .LBB2893_71
.LBB2893_95:
	s_waitcnt lgkmcnt(1)
	global_store_short v[0:1], v9, off offset:2048
	s_or_b64 exec, exec, s[0:1]
	s_and_saveexec_b64 s[0:1], s[34:35]
	s_cbranch_execz .LBB2893_72
.LBB2893_96:
	s_waitcnt lgkmcnt(7)
	global_store_short v[0:1], v8, off offset:2176
	s_or_b64 exec, exec, s[0:1]
	s_and_saveexec_b64 s[0:1], s[36:37]
	s_cbranch_execz .LBB2893_73
.LBB2893_97:
	s_waitcnt lgkmcnt(6)
	global_store_short v[0:1], v7, off offset:2304
	s_or_b64 exec, exec, s[0:1]
	s_and_saveexec_b64 s[0:1], s[38:39]
	s_cbranch_execz .LBB2893_74
.LBB2893_98:
	s_waitcnt lgkmcnt(5)
	global_store_short v[0:1], v6, off offset:2432
	s_or_b64 exec, exec, s[0:1]
	s_and_saveexec_b64 s[0:1], s[40:41]
	s_cbranch_execz .LBB2893_75
.LBB2893_99:
	s_waitcnt lgkmcnt(4)
	global_store_short v[0:1], v5, off offset:2560
	s_or_b64 exec, exec, s[0:1]
	s_and_saveexec_b64 s[0:1], s[42:43]
	s_cbranch_execz .LBB2893_76
.LBB2893_100:
	s_waitcnt lgkmcnt(3)
	global_store_short v[0:1], v4, off offset:2688
	s_or_b64 exec, exec, s[0:1]
	s_and_saveexec_b64 s[0:1], s[44:45]
	s_cbranch_execz .LBB2893_77
.LBB2893_101:
	s_waitcnt lgkmcnt(2)
	global_store_short v[0:1], v3, off offset:2816
	s_or_b64 exec, exec, s[0:1]
	s_and_saveexec_b64 s[0:1], s[46:47]
	s_cbranch_execz .LBB2893_78
.LBB2893_102:
	s_waitcnt lgkmcnt(0)
	global_store_short v[0:1], v2, off offset:2944
	s_endpgm
	.section	.rodata,"a",@progbits
	.p2align	6, 0x0
	.amdhsa_kernel _ZN7rocprim17ROCPRIM_400000_NS6detail17trampoline_kernelINS0_14default_configENS1_20scan_config_selectorIsEEZZNS1_9scan_implILNS1_25lookback_scan_determinismE0ELb0ELb0ES3_N6thrust23THRUST_200600_302600_NS6detail15normal_iteratorINS9_10device_ptrIsEEEESE_s11max_functorIsEsEEDaPvRmT3_T4_T5_mT6_P12ihipStream_tbENKUlT_T0_E_clISt17integral_constantIbLb1EEST_IbLb0EEEEDaSP_SQ_EUlSP_E0_NS1_11comp_targetILNS1_3genE4ELNS1_11target_archE910ELNS1_3gpuE8ELNS1_3repE0EEENS1_30default_config_static_selectorELNS0_4arch9wavefront6targetE1EEEvT1_
		.amdhsa_group_segment_fixed_size 3072
		.amdhsa_private_segment_fixed_size 0
		.amdhsa_kernarg_size 32
		.amdhsa_user_sgpr_count 6
		.amdhsa_user_sgpr_private_segment_buffer 1
		.amdhsa_user_sgpr_dispatch_ptr 0
		.amdhsa_user_sgpr_queue_ptr 0
		.amdhsa_user_sgpr_kernarg_segment_ptr 1
		.amdhsa_user_sgpr_dispatch_id 0
		.amdhsa_user_sgpr_flat_scratch_init 0
		.amdhsa_user_sgpr_kernarg_preload_length 0
		.amdhsa_user_sgpr_kernarg_preload_offset 0
		.amdhsa_user_sgpr_private_segment_size 0
		.amdhsa_uses_dynamic_stack 0
		.amdhsa_system_sgpr_private_segment_wavefront_offset 0
		.amdhsa_system_sgpr_workgroup_id_x 1
		.amdhsa_system_sgpr_workgroup_id_y 0
		.amdhsa_system_sgpr_workgroup_id_z 0
		.amdhsa_system_sgpr_workgroup_info 0
		.amdhsa_system_vgpr_workitem_id 0
		.amdhsa_next_free_vgpr 43
		.amdhsa_next_free_sgpr 56
		.amdhsa_accum_offset 44
		.amdhsa_reserve_vcc 1
		.amdhsa_reserve_flat_scratch 0
		.amdhsa_float_round_mode_32 0
		.amdhsa_float_round_mode_16_64 0
		.amdhsa_float_denorm_mode_32 3
		.amdhsa_float_denorm_mode_16_64 3
		.amdhsa_dx10_clamp 1
		.amdhsa_ieee_mode 1
		.amdhsa_fp16_overflow 0
		.amdhsa_tg_split 0
		.amdhsa_exception_fp_ieee_invalid_op 0
		.amdhsa_exception_fp_denorm_src 0
		.amdhsa_exception_fp_ieee_div_zero 0
		.amdhsa_exception_fp_ieee_overflow 0
		.amdhsa_exception_fp_ieee_underflow 0
		.amdhsa_exception_fp_ieee_inexact 0
		.amdhsa_exception_int_div_zero 0
	.end_amdhsa_kernel
	.section	.text._ZN7rocprim17ROCPRIM_400000_NS6detail17trampoline_kernelINS0_14default_configENS1_20scan_config_selectorIsEEZZNS1_9scan_implILNS1_25lookback_scan_determinismE0ELb0ELb0ES3_N6thrust23THRUST_200600_302600_NS6detail15normal_iteratorINS9_10device_ptrIsEEEESE_s11max_functorIsEsEEDaPvRmT3_T4_T5_mT6_P12ihipStream_tbENKUlT_T0_E_clISt17integral_constantIbLb1EEST_IbLb0EEEEDaSP_SQ_EUlSP_E0_NS1_11comp_targetILNS1_3genE4ELNS1_11target_archE910ELNS1_3gpuE8ELNS1_3repE0EEENS1_30default_config_static_selectorELNS0_4arch9wavefront6targetE1EEEvT1_,"axG",@progbits,_ZN7rocprim17ROCPRIM_400000_NS6detail17trampoline_kernelINS0_14default_configENS1_20scan_config_selectorIsEEZZNS1_9scan_implILNS1_25lookback_scan_determinismE0ELb0ELb0ES3_N6thrust23THRUST_200600_302600_NS6detail15normal_iteratorINS9_10device_ptrIsEEEESE_s11max_functorIsEsEEDaPvRmT3_T4_T5_mT6_P12ihipStream_tbENKUlT_T0_E_clISt17integral_constantIbLb1EEST_IbLb0EEEEDaSP_SQ_EUlSP_E0_NS1_11comp_targetILNS1_3genE4ELNS1_11target_archE910ELNS1_3gpuE8ELNS1_3repE0EEENS1_30default_config_static_selectorELNS0_4arch9wavefront6targetE1EEEvT1_,comdat
.Lfunc_end2893:
	.size	_ZN7rocprim17ROCPRIM_400000_NS6detail17trampoline_kernelINS0_14default_configENS1_20scan_config_selectorIsEEZZNS1_9scan_implILNS1_25lookback_scan_determinismE0ELb0ELb0ES3_N6thrust23THRUST_200600_302600_NS6detail15normal_iteratorINS9_10device_ptrIsEEEESE_s11max_functorIsEsEEDaPvRmT3_T4_T5_mT6_P12ihipStream_tbENKUlT_T0_E_clISt17integral_constantIbLb1EEST_IbLb0EEEEDaSP_SQ_EUlSP_E0_NS1_11comp_targetILNS1_3genE4ELNS1_11target_archE910ELNS1_3gpuE8ELNS1_3repE0EEENS1_30default_config_static_selectorELNS0_4arch9wavefront6targetE1EEEvT1_, .Lfunc_end2893-_ZN7rocprim17ROCPRIM_400000_NS6detail17trampoline_kernelINS0_14default_configENS1_20scan_config_selectorIsEEZZNS1_9scan_implILNS1_25lookback_scan_determinismE0ELb0ELb0ES3_N6thrust23THRUST_200600_302600_NS6detail15normal_iteratorINS9_10device_ptrIsEEEESE_s11max_functorIsEsEEDaPvRmT3_T4_T5_mT6_P12ihipStream_tbENKUlT_T0_E_clISt17integral_constantIbLb1EEST_IbLb0EEEEDaSP_SQ_EUlSP_E0_NS1_11comp_targetILNS1_3genE4ELNS1_11target_archE910ELNS1_3gpuE8ELNS1_3repE0EEENS1_30default_config_static_selectorELNS0_4arch9wavefront6targetE1EEEvT1_
                                        ; -- End function
	.section	.AMDGPU.csdata,"",@progbits
; Kernel info:
; codeLenInByte = 3120
; NumSgprs: 60
; NumVgprs: 43
; NumAgprs: 0
; TotalNumVgprs: 43
; ScratchSize: 0
; MemoryBound: 0
; FloatMode: 240
; IeeeMode: 1
; LDSByteSize: 3072 bytes/workgroup (compile time only)
; SGPRBlocks: 7
; VGPRBlocks: 5
; NumSGPRsForWavesPerEU: 60
; NumVGPRsForWavesPerEU: 43
; AccumOffset: 44
; Occupancy: 6
; WaveLimiterHint : 0
; COMPUTE_PGM_RSRC2:SCRATCH_EN: 0
; COMPUTE_PGM_RSRC2:USER_SGPR: 6
; COMPUTE_PGM_RSRC2:TRAP_HANDLER: 0
; COMPUTE_PGM_RSRC2:TGID_X_EN: 1
; COMPUTE_PGM_RSRC2:TGID_Y_EN: 0
; COMPUTE_PGM_RSRC2:TGID_Z_EN: 0
; COMPUTE_PGM_RSRC2:TIDIG_COMP_CNT: 0
; COMPUTE_PGM_RSRC3_GFX90A:ACCUM_OFFSET: 10
; COMPUTE_PGM_RSRC3_GFX90A:TG_SPLIT: 0
	.section	.text._ZN7rocprim17ROCPRIM_400000_NS6detail17trampoline_kernelINS0_14default_configENS1_20scan_config_selectorIsEEZZNS1_9scan_implILNS1_25lookback_scan_determinismE0ELb0ELb0ES3_N6thrust23THRUST_200600_302600_NS6detail15normal_iteratorINS9_10device_ptrIsEEEESE_s11max_functorIsEsEEDaPvRmT3_T4_T5_mT6_P12ihipStream_tbENKUlT_T0_E_clISt17integral_constantIbLb1EEST_IbLb0EEEEDaSP_SQ_EUlSP_E0_NS1_11comp_targetILNS1_3genE3ELNS1_11target_archE908ELNS1_3gpuE7ELNS1_3repE0EEENS1_30default_config_static_selectorELNS0_4arch9wavefront6targetE1EEEvT1_,"axG",@progbits,_ZN7rocprim17ROCPRIM_400000_NS6detail17trampoline_kernelINS0_14default_configENS1_20scan_config_selectorIsEEZZNS1_9scan_implILNS1_25lookback_scan_determinismE0ELb0ELb0ES3_N6thrust23THRUST_200600_302600_NS6detail15normal_iteratorINS9_10device_ptrIsEEEESE_s11max_functorIsEsEEDaPvRmT3_T4_T5_mT6_P12ihipStream_tbENKUlT_T0_E_clISt17integral_constantIbLb1EEST_IbLb0EEEEDaSP_SQ_EUlSP_E0_NS1_11comp_targetILNS1_3genE3ELNS1_11target_archE908ELNS1_3gpuE7ELNS1_3repE0EEENS1_30default_config_static_selectorELNS0_4arch9wavefront6targetE1EEEvT1_,comdat
	.protected	_ZN7rocprim17ROCPRIM_400000_NS6detail17trampoline_kernelINS0_14default_configENS1_20scan_config_selectorIsEEZZNS1_9scan_implILNS1_25lookback_scan_determinismE0ELb0ELb0ES3_N6thrust23THRUST_200600_302600_NS6detail15normal_iteratorINS9_10device_ptrIsEEEESE_s11max_functorIsEsEEDaPvRmT3_T4_T5_mT6_P12ihipStream_tbENKUlT_T0_E_clISt17integral_constantIbLb1EEST_IbLb0EEEEDaSP_SQ_EUlSP_E0_NS1_11comp_targetILNS1_3genE3ELNS1_11target_archE908ELNS1_3gpuE7ELNS1_3repE0EEENS1_30default_config_static_selectorELNS0_4arch9wavefront6targetE1EEEvT1_ ; -- Begin function _ZN7rocprim17ROCPRIM_400000_NS6detail17trampoline_kernelINS0_14default_configENS1_20scan_config_selectorIsEEZZNS1_9scan_implILNS1_25lookback_scan_determinismE0ELb0ELb0ES3_N6thrust23THRUST_200600_302600_NS6detail15normal_iteratorINS9_10device_ptrIsEEEESE_s11max_functorIsEsEEDaPvRmT3_T4_T5_mT6_P12ihipStream_tbENKUlT_T0_E_clISt17integral_constantIbLb1EEST_IbLb0EEEEDaSP_SQ_EUlSP_E0_NS1_11comp_targetILNS1_3genE3ELNS1_11target_archE908ELNS1_3gpuE7ELNS1_3repE0EEENS1_30default_config_static_selectorELNS0_4arch9wavefront6targetE1EEEvT1_
	.globl	_ZN7rocprim17ROCPRIM_400000_NS6detail17trampoline_kernelINS0_14default_configENS1_20scan_config_selectorIsEEZZNS1_9scan_implILNS1_25lookback_scan_determinismE0ELb0ELb0ES3_N6thrust23THRUST_200600_302600_NS6detail15normal_iteratorINS9_10device_ptrIsEEEESE_s11max_functorIsEsEEDaPvRmT3_T4_T5_mT6_P12ihipStream_tbENKUlT_T0_E_clISt17integral_constantIbLb1EEST_IbLb0EEEEDaSP_SQ_EUlSP_E0_NS1_11comp_targetILNS1_3genE3ELNS1_11target_archE908ELNS1_3gpuE7ELNS1_3repE0EEENS1_30default_config_static_selectorELNS0_4arch9wavefront6targetE1EEEvT1_
	.p2align	8
	.type	_ZN7rocprim17ROCPRIM_400000_NS6detail17trampoline_kernelINS0_14default_configENS1_20scan_config_selectorIsEEZZNS1_9scan_implILNS1_25lookback_scan_determinismE0ELb0ELb0ES3_N6thrust23THRUST_200600_302600_NS6detail15normal_iteratorINS9_10device_ptrIsEEEESE_s11max_functorIsEsEEDaPvRmT3_T4_T5_mT6_P12ihipStream_tbENKUlT_T0_E_clISt17integral_constantIbLb1EEST_IbLb0EEEEDaSP_SQ_EUlSP_E0_NS1_11comp_targetILNS1_3genE3ELNS1_11target_archE908ELNS1_3gpuE7ELNS1_3repE0EEENS1_30default_config_static_selectorELNS0_4arch9wavefront6targetE1EEEvT1_,@function
_ZN7rocprim17ROCPRIM_400000_NS6detail17trampoline_kernelINS0_14default_configENS1_20scan_config_selectorIsEEZZNS1_9scan_implILNS1_25lookback_scan_determinismE0ELb0ELb0ES3_N6thrust23THRUST_200600_302600_NS6detail15normal_iteratorINS9_10device_ptrIsEEEESE_s11max_functorIsEsEEDaPvRmT3_T4_T5_mT6_P12ihipStream_tbENKUlT_T0_E_clISt17integral_constantIbLb1EEST_IbLb0EEEEDaSP_SQ_EUlSP_E0_NS1_11comp_targetILNS1_3genE3ELNS1_11target_archE908ELNS1_3gpuE7ELNS1_3repE0EEENS1_30default_config_static_selectorELNS0_4arch9wavefront6targetE1EEEvT1_: ; @_ZN7rocprim17ROCPRIM_400000_NS6detail17trampoline_kernelINS0_14default_configENS1_20scan_config_selectorIsEEZZNS1_9scan_implILNS1_25lookback_scan_determinismE0ELb0ELb0ES3_N6thrust23THRUST_200600_302600_NS6detail15normal_iteratorINS9_10device_ptrIsEEEESE_s11max_functorIsEsEEDaPvRmT3_T4_T5_mT6_P12ihipStream_tbENKUlT_T0_E_clISt17integral_constantIbLb1EEST_IbLb0EEEEDaSP_SQ_EUlSP_E0_NS1_11comp_targetILNS1_3genE3ELNS1_11target_archE908ELNS1_3gpuE7ELNS1_3repE0EEENS1_30default_config_static_selectorELNS0_4arch9wavefront6targetE1EEEvT1_
; %bb.0:
	.section	.rodata,"a",@progbits
	.p2align	6, 0x0
	.amdhsa_kernel _ZN7rocprim17ROCPRIM_400000_NS6detail17trampoline_kernelINS0_14default_configENS1_20scan_config_selectorIsEEZZNS1_9scan_implILNS1_25lookback_scan_determinismE0ELb0ELb0ES3_N6thrust23THRUST_200600_302600_NS6detail15normal_iteratorINS9_10device_ptrIsEEEESE_s11max_functorIsEsEEDaPvRmT3_T4_T5_mT6_P12ihipStream_tbENKUlT_T0_E_clISt17integral_constantIbLb1EEST_IbLb0EEEEDaSP_SQ_EUlSP_E0_NS1_11comp_targetILNS1_3genE3ELNS1_11target_archE908ELNS1_3gpuE7ELNS1_3repE0EEENS1_30default_config_static_selectorELNS0_4arch9wavefront6targetE1EEEvT1_
		.amdhsa_group_segment_fixed_size 0
		.amdhsa_private_segment_fixed_size 0
		.amdhsa_kernarg_size 32
		.amdhsa_user_sgpr_count 6
		.amdhsa_user_sgpr_private_segment_buffer 1
		.amdhsa_user_sgpr_dispatch_ptr 0
		.amdhsa_user_sgpr_queue_ptr 0
		.amdhsa_user_sgpr_kernarg_segment_ptr 1
		.amdhsa_user_sgpr_dispatch_id 0
		.amdhsa_user_sgpr_flat_scratch_init 0
		.amdhsa_user_sgpr_kernarg_preload_length 0
		.amdhsa_user_sgpr_kernarg_preload_offset 0
		.amdhsa_user_sgpr_private_segment_size 0
		.amdhsa_uses_dynamic_stack 0
		.amdhsa_system_sgpr_private_segment_wavefront_offset 0
		.amdhsa_system_sgpr_workgroup_id_x 1
		.amdhsa_system_sgpr_workgroup_id_y 0
		.amdhsa_system_sgpr_workgroup_id_z 0
		.amdhsa_system_sgpr_workgroup_info 0
		.amdhsa_system_vgpr_workitem_id 0
		.amdhsa_next_free_vgpr 1
		.amdhsa_next_free_sgpr 0
		.amdhsa_accum_offset 4
		.amdhsa_reserve_vcc 0
		.amdhsa_reserve_flat_scratch 0
		.amdhsa_float_round_mode_32 0
		.amdhsa_float_round_mode_16_64 0
		.amdhsa_float_denorm_mode_32 3
		.amdhsa_float_denorm_mode_16_64 3
		.amdhsa_dx10_clamp 1
		.amdhsa_ieee_mode 1
		.amdhsa_fp16_overflow 0
		.amdhsa_tg_split 0
		.amdhsa_exception_fp_ieee_invalid_op 0
		.amdhsa_exception_fp_denorm_src 0
		.amdhsa_exception_fp_ieee_div_zero 0
		.amdhsa_exception_fp_ieee_overflow 0
		.amdhsa_exception_fp_ieee_underflow 0
		.amdhsa_exception_fp_ieee_inexact 0
		.amdhsa_exception_int_div_zero 0
	.end_amdhsa_kernel
	.section	.text._ZN7rocprim17ROCPRIM_400000_NS6detail17trampoline_kernelINS0_14default_configENS1_20scan_config_selectorIsEEZZNS1_9scan_implILNS1_25lookback_scan_determinismE0ELb0ELb0ES3_N6thrust23THRUST_200600_302600_NS6detail15normal_iteratorINS9_10device_ptrIsEEEESE_s11max_functorIsEsEEDaPvRmT3_T4_T5_mT6_P12ihipStream_tbENKUlT_T0_E_clISt17integral_constantIbLb1EEST_IbLb0EEEEDaSP_SQ_EUlSP_E0_NS1_11comp_targetILNS1_3genE3ELNS1_11target_archE908ELNS1_3gpuE7ELNS1_3repE0EEENS1_30default_config_static_selectorELNS0_4arch9wavefront6targetE1EEEvT1_,"axG",@progbits,_ZN7rocprim17ROCPRIM_400000_NS6detail17trampoline_kernelINS0_14default_configENS1_20scan_config_selectorIsEEZZNS1_9scan_implILNS1_25lookback_scan_determinismE0ELb0ELb0ES3_N6thrust23THRUST_200600_302600_NS6detail15normal_iteratorINS9_10device_ptrIsEEEESE_s11max_functorIsEsEEDaPvRmT3_T4_T5_mT6_P12ihipStream_tbENKUlT_T0_E_clISt17integral_constantIbLb1EEST_IbLb0EEEEDaSP_SQ_EUlSP_E0_NS1_11comp_targetILNS1_3genE3ELNS1_11target_archE908ELNS1_3gpuE7ELNS1_3repE0EEENS1_30default_config_static_selectorELNS0_4arch9wavefront6targetE1EEEvT1_,comdat
.Lfunc_end2894:
	.size	_ZN7rocprim17ROCPRIM_400000_NS6detail17trampoline_kernelINS0_14default_configENS1_20scan_config_selectorIsEEZZNS1_9scan_implILNS1_25lookback_scan_determinismE0ELb0ELb0ES3_N6thrust23THRUST_200600_302600_NS6detail15normal_iteratorINS9_10device_ptrIsEEEESE_s11max_functorIsEsEEDaPvRmT3_T4_T5_mT6_P12ihipStream_tbENKUlT_T0_E_clISt17integral_constantIbLb1EEST_IbLb0EEEEDaSP_SQ_EUlSP_E0_NS1_11comp_targetILNS1_3genE3ELNS1_11target_archE908ELNS1_3gpuE7ELNS1_3repE0EEENS1_30default_config_static_selectorELNS0_4arch9wavefront6targetE1EEEvT1_, .Lfunc_end2894-_ZN7rocprim17ROCPRIM_400000_NS6detail17trampoline_kernelINS0_14default_configENS1_20scan_config_selectorIsEEZZNS1_9scan_implILNS1_25lookback_scan_determinismE0ELb0ELb0ES3_N6thrust23THRUST_200600_302600_NS6detail15normal_iteratorINS9_10device_ptrIsEEEESE_s11max_functorIsEsEEDaPvRmT3_T4_T5_mT6_P12ihipStream_tbENKUlT_T0_E_clISt17integral_constantIbLb1EEST_IbLb0EEEEDaSP_SQ_EUlSP_E0_NS1_11comp_targetILNS1_3genE3ELNS1_11target_archE908ELNS1_3gpuE7ELNS1_3repE0EEENS1_30default_config_static_selectorELNS0_4arch9wavefront6targetE1EEEvT1_
                                        ; -- End function
	.section	.AMDGPU.csdata,"",@progbits
; Kernel info:
; codeLenInByte = 0
; NumSgprs: 4
; NumVgprs: 0
; NumAgprs: 0
; TotalNumVgprs: 0
; ScratchSize: 0
; MemoryBound: 0
; FloatMode: 240
; IeeeMode: 1
; LDSByteSize: 0 bytes/workgroup (compile time only)
; SGPRBlocks: 0
; VGPRBlocks: 0
; NumSGPRsForWavesPerEU: 4
; NumVGPRsForWavesPerEU: 1
; AccumOffset: 4
; Occupancy: 8
; WaveLimiterHint : 0
; COMPUTE_PGM_RSRC2:SCRATCH_EN: 0
; COMPUTE_PGM_RSRC2:USER_SGPR: 6
; COMPUTE_PGM_RSRC2:TRAP_HANDLER: 0
; COMPUTE_PGM_RSRC2:TGID_X_EN: 1
; COMPUTE_PGM_RSRC2:TGID_Y_EN: 0
; COMPUTE_PGM_RSRC2:TGID_Z_EN: 0
; COMPUTE_PGM_RSRC2:TIDIG_COMP_CNT: 0
; COMPUTE_PGM_RSRC3_GFX90A:ACCUM_OFFSET: 0
; COMPUTE_PGM_RSRC3_GFX90A:TG_SPLIT: 0
	.section	.text._ZN7rocprim17ROCPRIM_400000_NS6detail17trampoline_kernelINS0_14default_configENS1_20scan_config_selectorIsEEZZNS1_9scan_implILNS1_25lookback_scan_determinismE0ELb0ELb0ES3_N6thrust23THRUST_200600_302600_NS6detail15normal_iteratorINS9_10device_ptrIsEEEESE_s11max_functorIsEsEEDaPvRmT3_T4_T5_mT6_P12ihipStream_tbENKUlT_T0_E_clISt17integral_constantIbLb1EEST_IbLb0EEEEDaSP_SQ_EUlSP_E0_NS1_11comp_targetILNS1_3genE2ELNS1_11target_archE906ELNS1_3gpuE6ELNS1_3repE0EEENS1_30default_config_static_selectorELNS0_4arch9wavefront6targetE1EEEvT1_,"axG",@progbits,_ZN7rocprim17ROCPRIM_400000_NS6detail17trampoline_kernelINS0_14default_configENS1_20scan_config_selectorIsEEZZNS1_9scan_implILNS1_25lookback_scan_determinismE0ELb0ELb0ES3_N6thrust23THRUST_200600_302600_NS6detail15normal_iteratorINS9_10device_ptrIsEEEESE_s11max_functorIsEsEEDaPvRmT3_T4_T5_mT6_P12ihipStream_tbENKUlT_T0_E_clISt17integral_constantIbLb1EEST_IbLb0EEEEDaSP_SQ_EUlSP_E0_NS1_11comp_targetILNS1_3genE2ELNS1_11target_archE906ELNS1_3gpuE6ELNS1_3repE0EEENS1_30default_config_static_selectorELNS0_4arch9wavefront6targetE1EEEvT1_,comdat
	.protected	_ZN7rocprim17ROCPRIM_400000_NS6detail17trampoline_kernelINS0_14default_configENS1_20scan_config_selectorIsEEZZNS1_9scan_implILNS1_25lookback_scan_determinismE0ELb0ELb0ES3_N6thrust23THRUST_200600_302600_NS6detail15normal_iteratorINS9_10device_ptrIsEEEESE_s11max_functorIsEsEEDaPvRmT3_T4_T5_mT6_P12ihipStream_tbENKUlT_T0_E_clISt17integral_constantIbLb1EEST_IbLb0EEEEDaSP_SQ_EUlSP_E0_NS1_11comp_targetILNS1_3genE2ELNS1_11target_archE906ELNS1_3gpuE6ELNS1_3repE0EEENS1_30default_config_static_selectorELNS0_4arch9wavefront6targetE1EEEvT1_ ; -- Begin function _ZN7rocprim17ROCPRIM_400000_NS6detail17trampoline_kernelINS0_14default_configENS1_20scan_config_selectorIsEEZZNS1_9scan_implILNS1_25lookback_scan_determinismE0ELb0ELb0ES3_N6thrust23THRUST_200600_302600_NS6detail15normal_iteratorINS9_10device_ptrIsEEEESE_s11max_functorIsEsEEDaPvRmT3_T4_T5_mT6_P12ihipStream_tbENKUlT_T0_E_clISt17integral_constantIbLb1EEST_IbLb0EEEEDaSP_SQ_EUlSP_E0_NS1_11comp_targetILNS1_3genE2ELNS1_11target_archE906ELNS1_3gpuE6ELNS1_3repE0EEENS1_30default_config_static_selectorELNS0_4arch9wavefront6targetE1EEEvT1_
	.globl	_ZN7rocprim17ROCPRIM_400000_NS6detail17trampoline_kernelINS0_14default_configENS1_20scan_config_selectorIsEEZZNS1_9scan_implILNS1_25lookback_scan_determinismE0ELb0ELb0ES3_N6thrust23THRUST_200600_302600_NS6detail15normal_iteratorINS9_10device_ptrIsEEEESE_s11max_functorIsEsEEDaPvRmT3_T4_T5_mT6_P12ihipStream_tbENKUlT_T0_E_clISt17integral_constantIbLb1EEST_IbLb0EEEEDaSP_SQ_EUlSP_E0_NS1_11comp_targetILNS1_3genE2ELNS1_11target_archE906ELNS1_3gpuE6ELNS1_3repE0EEENS1_30default_config_static_selectorELNS0_4arch9wavefront6targetE1EEEvT1_
	.p2align	8
	.type	_ZN7rocprim17ROCPRIM_400000_NS6detail17trampoline_kernelINS0_14default_configENS1_20scan_config_selectorIsEEZZNS1_9scan_implILNS1_25lookback_scan_determinismE0ELb0ELb0ES3_N6thrust23THRUST_200600_302600_NS6detail15normal_iteratorINS9_10device_ptrIsEEEESE_s11max_functorIsEsEEDaPvRmT3_T4_T5_mT6_P12ihipStream_tbENKUlT_T0_E_clISt17integral_constantIbLb1EEST_IbLb0EEEEDaSP_SQ_EUlSP_E0_NS1_11comp_targetILNS1_3genE2ELNS1_11target_archE906ELNS1_3gpuE6ELNS1_3repE0EEENS1_30default_config_static_selectorELNS0_4arch9wavefront6targetE1EEEvT1_,@function
_ZN7rocprim17ROCPRIM_400000_NS6detail17trampoline_kernelINS0_14default_configENS1_20scan_config_selectorIsEEZZNS1_9scan_implILNS1_25lookback_scan_determinismE0ELb0ELb0ES3_N6thrust23THRUST_200600_302600_NS6detail15normal_iteratorINS9_10device_ptrIsEEEESE_s11max_functorIsEsEEDaPvRmT3_T4_T5_mT6_P12ihipStream_tbENKUlT_T0_E_clISt17integral_constantIbLb1EEST_IbLb0EEEEDaSP_SQ_EUlSP_E0_NS1_11comp_targetILNS1_3genE2ELNS1_11target_archE906ELNS1_3gpuE6ELNS1_3repE0EEENS1_30default_config_static_selectorELNS0_4arch9wavefront6targetE1EEEvT1_: ; @_ZN7rocprim17ROCPRIM_400000_NS6detail17trampoline_kernelINS0_14default_configENS1_20scan_config_selectorIsEEZZNS1_9scan_implILNS1_25lookback_scan_determinismE0ELb0ELb0ES3_N6thrust23THRUST_200600_302600_NS6detail15normal_iteratorINS9_10device_ptrIsEEEESE_s11max_functorIsEsEEDaPvRmT3_T4_T5_mT6_P12ihipStream_tbENKUlT_T0_E_clISt17integral_constantIbLb1EEST_IbLb0EEEEDaSP_SQ_EUlSP_E0_NS1_11comp_targetILNS1_3genE2ELNS1_11target_archE906ELNS1_3gpuE6ELNS1_3repE0EEENS1_30default_config_static_selectorELNS0_4arch9wavefront6targetE1EEEvT1_
; %bb.0:
	.section	.rodata,"a",@progbits
	.p2align	6, 0x0
	.amdhsa_kernel _ZN7rocprim17ROCPRIM_400000_NS6detail17trampoline_kernelINS0_14default_configENS1_20scan_config_selectorIsEEZZNS1_9scan_implILNS1_25lookback_scan_determinismE0ELb0ELb0ES3_N6thrust23THRUST_200600_302600_NS6detail15normal_iteratorINS9_10device_ptrIsEEEESE_s11max_functorIsEsEEDaPvRmT3_T4_T5_mT6_P12ihipStream_tbENKUlT_T0_E_clISt17integral_constantIbLb1EEST_IbLb0EEEEDaSP_SQ_EUlSP_E0_NS1_11comp_targetILNS1_3genE2ELNS1_11target_archE906ELNS1_3gpuE6ELNS1_3repE0EEENS1_30default_config_static_selectorELNS0_4arch9wavefront6targetE1EEEvT1_
		.amdhsa_group_segment_fixed_size 0
		.amdhsa_private_segment_fixed_size 0
		.amdhsa_kernarg_size 32
		.amdhsa_user_sgpr_count 6
		.amdhsa_user_sgpr_private_segment_buffer 1
		.amdhsa_user_sgpr_dispatch_ptr 0
		.amdhsa_user_sgpr_queue_ptr 0
		.amdhsa_user_sgpr_kernarg_segment_ptr 1
		.amdhsa_user_sgpr_dispatch_id 0
		.amdhsa_user_sgpr_flat_scratch_init 0
		.amdhsa_user_sgpr_kernarg_preload_length 0
		.amdhsa_user_sgpr_kernarg_preload_offset 0
		.amdhsa_user_sgpr_private_segment_size 0
		.amdhsa_uses_dynamic_stack 0
		.amdhsa_system_sgpr_private_segment_wavefront_offset 0
		.amdhsa_system_sgpr_workgroup_id_x 1
		.amdhsa_system_sgpr_workgroup_id_y 0
		.amdhsa_system_sgpr_workgroup_id_z 0
		.amdhsa_system_sgpr_workgroup_info 0
		.amdhsa_system_vgpr_workitem_id 0
		.amdhsa_next_free_vgpr 1
		.amdhsa_next_free_sgpr 0
		.amdhsa_accum_offset 4
		.amdhsa_reserve_vcc 0
		.amdhsa_reserve_flat_scratch 0
		.amdhsa_float_round_mode_32 0
		.amdhsa_float_round_mode_16_64 0
		.amdhsa_float_denorm_mode_32 3
		.amdhsa_float_denorm_mode_16_64 3
		.amdhsa_dx10_clamp 1
		.amdhsa_ieee_mode 1
		.amdhsa_fp16_overflow 0
		.amdhsa_tg_split 0
		.amdhsa_exception_fp_ieee_invalid_op 0
		.amdhsa_exception_fp_denorm_src 0
		.amdhsa_exception_fp_ieee_div_zero 0
		.amdhsa_exception_fp_ieee_overflow 0
		.amdhsa_exception_fp_ieee_underflow 0
		.amdhsa_exception_fp_ieee_inexact 0
		.amdhsa_exception_int_div_zero 0
	.end_amdhsa_kernel
	.section	.text._ZN7rocprim17ROCPRIM_400000_NS6detail17trampoline_kernelINS0_14default_configENS1_20scan_config_selectorIsEEZZNS1_9scan_implILNS1_25lookback_scan_determinismE0ELb0ELb0ES3_N6thrust23THRUST_200600_302600_NS6detail15normal_iteratorINS9_10device_ptrIsEEEESE_s11max_functorIsEsEEDaPvRmT3_T4_T5_mT6_P12ihipStream_tbENKUlT_T0_E_clISt17integral_constantIbLb1EEST_IbLb0EEEEDaSP_SQ_EUlSP_E0_NS1_11comp_targetILNS1_3genE2ELNS1_11target_archE906ELNS1_3gpuE6ELNS1_3repE0EEENS1_30default_config_static_selectorELNS0_4arch9wavefront6targetE1EEEvT1_,"axG",@progbits,_ZN7rocprim17ROCPRIM_400000_NS6detail17trampoline_kernelINS0_14default_configENS1_20scan_config_selectorIsEEZZNS1_9scan_implILNS1_25lookback_scan_determinismE0ELb0ELb0ES3_N6thrust23THRUST_200600_302600_NS6detail15normal_iteratorINS9_10device_ptrIsEEEESE_s11max_functorIsEsEEDaPvRmT3_T4_T5_mT6_P12ihipStream_tbENKUlT_T0_E_clISt17integral_constantIbLb1EEST_IbLb0EEEEDaSP_SQ_EUlSP_E0_NS1_11comp_targetILNS1_3genE2ELNS1_11target_archE906ELNS1_3gpuE6ELNS1_3repE0EEENS1_30default_config_static_selectorELNS0_4arch9wavefront6targetE1EEEvT1_,comdat
.Lfunc_end2895:
	.size	_ZN7rocprim17ROCPRIM_400000_NS6detail17trampoline_kernelINS0_14default_configENS1_20scan_config_selectorIsEEZZNS1_9scan_implILNS1_25lookback_scan_determinismE0ELb0ELb0ES3_N6thrust23THRUST_200600_302600_NS6detail15normal_iteratorINS9_10device_ptrIsEEEESE_s11max_functorIsEsEEDaPvRmT3_T4_T5_mT6_P12ihipStream_tbENKUlT_T0_E_clISt17integral_constantIbLb1EEST_IbLb0EEEEDaSP_SQ_EUlSP_E0_NS1_11comp_targetILNS1_3genE2ELNS1_11target_archE906ELNS1_3gpuE6ELNS1_3repE0EEENS1_30default_config_static_selectorELNS0_4arch9wavefront6targetE1EEEvT1_, .Lfunc_end2895-_ZN7rocprim17ROCPRIM_400000_NS6detail17trampoline_kernelINS0_14default_configENS1_20scan_config_selectorIsEEZZNS1_9scan_implILNS1_25lookback_scan_determinismE0ELb0ELb0ES3_N6thrust23THRUST_200600_302600_NS6detail15normal_iteratorINS9_10device_ptrIsEEEESE_s11max_functorIsEsEEDaPvRmT3_T4_T5_mT6_P12ihipStream_tbENKUlT_T0_E_clISt17integral_constantIbLb1EEST_IbLb0EEEEDaSP_SQ_EUlSP_E0_NS1_11comp_targetILNS1_3genE2ELNS1_11target_archE906ELNS1_3gpuE6ELNS1_3repE0EEENS1_30default_config_static_selectorELNS0_4arch9wavefront6targetE1EEEvT1_
                                        ; -- End function
	.section	.AMDGPU.csdata,"",@progbits
; Kernel info:
; codeLenInByte = 0
; NumSgprs: 4
; NumVgprs: 0
; NumAgprs: 0
; TotalNumVgprs: 0
; ScratchSize: 0
; MemoryBound: 0
; FloatMode: 240
; IeeeMode: 1
; LDSByteSize: 0 bytes/workgroup (compile time only)
; SGPRBlocks: 0
; VGPRBlocks: 0
; NumSGPRsForWavesPerEU: 4
; NumVGPRsForWavesPerEU: 1
; AccumOffset: 4
; Occupancy: 8
; WaveLimiterHint : 0
; COMPUTE_PGM_RSRC2:SCRATCH_EN: 0
; COMPUTE_PGM_RSRC2:USER_SGPR: 6
; COMPUTE_PGM_RSRC2:TRAP_HANDLER: 0
; COMPUTE_PGM_RSRC2:TGID_X_EN: 1
; COMPUTE_PGM_RSRC2:TGID_Y_EN: 0
; COMPUTE_PGM_RSRC2:TGID_Z_EN: 0
; COMPUTE_PGM_RSRC2:TIDIG_COMP_CNT: 0
; COMPUTE_PGM_RSRC3_GFX90A:ACCUM_OFFSET: 0
; COMPUTE_PGM_RSRC3_GFX90A:TG_SPLIT: 0
	.section	.text._ZN7rocprim17ROCPRIM_400000_NS6detail17trampoline_kernelINS0_14default_configENS1_20scan_config_selectorIsEEZZNS1_9scan_implILNS1_25lookback_scan_determinismE0ELb0ELb0ES3_N6thrust23THRUST_200600_302600_NS6detail15normal_iteratorINS9_10device_ptrIsEEEESE_s11max_functorIsEsEEDaPvRmT3_T4_T5_mT6_P12ihipStream_tbENKUlT_T0_E_clISt17integral_constantIbLb1EEST_IbLb0EEEEDaSP_SQ_EUlSP_E0_NS1_11comp_targetILNS1_3genE10ELNS1_11target_archE1201ELNS1_3gpuE5ELNS1_3repE0EEENS1_30default_config_static_selectorELNS0_4arch9wavefront6targetE1EEEvT1_,"axG",@progbits,_ZN7rocprim17ROCPRIM_400000_NS6detail17trampoline_kernelINS0_14default_configENS1_20scan_config_selectorIsEEZZNS1_9scan_implILNS1_25lookback_scan_determinismE0ELb0ELb0ES3_N6thrust23THRUST_200600_302600_NS6detail15normal_iteratorINS9_10device_ptrIsEEEESE_s11max_functorIsEsEEDaPvRmT3_T4_T5_mT6_P12ihipStream_tbENKUlT_T0_E_clISt17integral_constantIbLb1EEST_IbLb0EEEEDaSP_SQ_EUlSP_E0_NS1_11comp_targetILNS1_3genE10ELNS1_11target_archE1201ELNS1_3gpuE5ELNS1_3repE0EEENS1_30default_config_static_selectorELNS0_4arch9wavefront6targetE1EEEvT1_,comdat
	.protected	_ZN7rocprim17ROCPRIM_400000_NS6detail17trampoline_kernelINS0_14default_configENS1_20scan_config_selectorIsEEZZNS1_9scan_implILNS1_25lookback_scan_determinismE0ELb0ELb0ES3_N6thrust23THRUST_200600_302600_NS6detail15normal_iteratorINS9_10device_ptrIsEEEESE_s11max_functorIsEsEEDaPvRmT3_T4_T5_mT6_P12ihipStream_tbENKUlT_T0_E_clISt17integral_constantIbLb1EEST_IbLb0EEEEDaSP_SQ_EUlSP_E0_NS1_11comp_targetILNS1_3genE10ELNS1_11target_archE1201ELNS1_3gpuE5ELNS1_3repE0EEENS1_30default_config_static_selectorELNS0_4arch9wavefront6targetE1EEEvT1_ ; -- Begin function _ZN7rocprim17ROCPRIM_400000_NS6detail17trampoline_kernelINS0_14default_configENS1_20scan_config_selectorIsEEZZNS1_9scan_implILNS1_25lookback_scan_determinismE0ELb0ELb0ES3_N6thrust23THRUST_200600_302600_NS6detail15normal_iteratorINS9_10device_ptrIsEEEESE_s11max_functorIsEsEEDaPvRmT3_T4_T5_mT6_P12ihipStream_tbENKUlT_T0_E_clISt17integral_constantIbLb1EEST_IbLb0EEEEDaSP_SQ_EUlSP_E0_NS1_11comp_targetILNS1_3genE10ELNS1_11target_archE1201ELNS1_3gpuE5ELNS1_3repE0EEENS1_30default_config_static_selectorELNS0_4arch9wavefront6targetE1EEEvT1_
	.globl	_ZN7rocprim17ROCPRIM_400000_NS6detail17trampoline_kernelINS0_14default_configENS1_20scan_config_selectorIsEEZZNS1_9scan_implILNS1_25lookback_scan_determinismE0ELb0ELb0ES3_N6thrust23THRUST_200600_302600_NS6detail15normal_iteratorINS9_10device_ptrIsEEEESE_s11max_functorIsEsEEDaPvRmT3_T4_T5_mT6_P12ihipStream_tbENKUlT_T0_E_clISt17integral_constantIbLb1EEST_IbLb0EEEEDaSP_SQ_EUlSP_E0_NS1_11comp_targetILNS1_3genE10ELNS1_11target_archE1201ELNS1_3gpuE5ELNS1_3repE0EEENS1_30default_config_static_selectorELNS0_4arch9wavefront6targetE1EEEvT1_
	.p2align	8
	.type	_ZN7rocprim17ROCPRIM_400000_NS6detail17trampoline_kernelINS0_14default_configENS1_20scan_config_selectorIsEEZZNS1_9scan_implILNS1_25lookback_scan_determinismE0ELb0ELb0ES3_N6thrust23THRUST_200600_302600_NS6detail15normal_iteratorINS9_10device_ptrIsEEEESE_s11max_functorIsEsEEDaPvRmT3_T4_T5_mT6_P12ihipStream_tbENKUlT_T0_E_clISt17integral_constantIbLb1EEST_IbLb0EEEEDaSP_SQ_EUlSP_E0_NS1_11comp_targetILNS1_3genE10ELNS1_11target_archE1201ELNS1_3gpuE5ELNS1_3repE0EEENS1_30default_config_static_selectorELNS0_4arch9wavefront6targetE1EEEvT1_,@function
_ZN7rocprim17ROCPRIM_400000_NS6detail17trampoline_kernelINS0_14default_configENS1_20scan_config_selectorIsEEZZNS1_9scan_implILNS1_25lookback_scan_determinismE0ELb0ELb0ES3_N6thrust23THRUST_200600_302600_NS6detail15normal_iteratorINS9_10device_ptrIsEEEESE_s11max_functorIsEsEEDaPvRmT3_T4_T5_mT6_P12ihipStream_tbENKUlT_T0_E_clISt17integral_constantIbLb1EEST_IbLb0EEEEDaSP_SQ_EUlSP_E0_NS1_11comp_targetILNS1_3genE10ELNS1_11target_archE1201ELNS1_3gpuE5ELNS1_3repE0EEENS1_30default_config_static_selectorELNS0_4arch9wavefront6targetE1EEEvT1_: ; @_ZN7rocprim17ROCPRIM_400000_NS6detail17trampoline_kernelINS0_14default_configENS1_20scan_config_selectorIsEEZZNS1_9scan_implILNS1_25lookback_scan_determinismE0ELb0ELb0ES3_N6thrust23THRUST_200600_302600_NS6detail15normal_iteratorINS9_10device_ptrIsEEEESE_s11max_functorIsEsEEDaPvRmT3_T4_T5_mT6_P12ihipStream_tbENKUlT_T0_E_clISt17integral_constantIbLb1EEST_IbLb0EEEEDaSP_SQ_EUlSP_E0_NS1_11comp_targetILNS1_3genE10ELNS1_11target_archE1201ELNS1_3gpuE5ELNS1_3repE0EEENS1_30default_config_static_selectorELNS0_4arch9wavefront6targetE1EEEvT1_
; %bb.0:
	.section	.rodata,"a",@progbits
	.p2align	6, 0x0
	.amdhsa_kernel _ZN7rocprim17ROCPRIM_400000_NS6detail17trampoline_kernelINS0_14default_configENS1_20scan_config_selectorIsEEZZNS1_9scan_implILNS1_25lookback_scan_determinismE0ELb0ELb0ES3_N6thrust23THRUST_200600_302600_NS6detail15normal_iteratorINS9_10device_ptrIsEEEESE_s11max_functorIsEsEEDaPvRmT3_T4_T5_mT6_P12ihipStream_tbENKUlT_T0_E_clISt17integral_constantIbLb1EEST_IbLb0EEEEDaSP_SQ_EUlSP_E0_NS1_11comp_targetILNS1_3genE10ELNS1_11target_archE1201ELNS1_3gpuE5ELNS1_3repE0EEENS1_30default_config_static_selectorELNS0_4arch9wavefront6targetE1EEEvT1_
		.amdhsa_group_segment_fixed_size 0
		.amdhsa_private_segment_fixed_size 0
		.amdhsa_kernarg_size 32
		.amdhsa_user_sgpr_count 6
		.amdhsa_user_sgpr_private_segment_buffer 1
		.amdhsa_user_sgpr_dispatch_ptr 0
		.amdhsa_user_sgpr_queue_ptr 0
		.amdhsa_user_sgpr_kernarg_segment_ptr 1
		.amdhsa_user_sgpr_dispatch_id 0
		.amdhsa_user_sgpr_flat_scratch_init 0
		.amdhsa_user_sgpr_kernarg_preload_length 0
		.amdhsa_user_sgpr_kernarg_preload_offset 0
		.amdhsa_user_sgpr_private_segment_size 0
		.amdhsa_uses_dynamic_stack 0
		.amdhsa_system_sgpr_private_segment_wavefront_offset 0
		.amdhsa_system_sgpr_workgroup_id_x 1
		.amdhsa_system_sgpr_workgroup_id_y 0
		.amdhsa_system_sgpr_workgroup_id_z 0
		.amdhsa_system_sgpr_workgroup_info 0
		.amdhsa_system_vgpr_workitem_id 0
		.amdhsa_next_free_vgpr 1
		.amdhsa_next_free_sgpr 0
		.amdhsa_accum_offset 4
		.amdhsa_reserve_vcc 0
		.amdhsa_reserve_flat_scratch 0
		.amdhsa_float_round_mode_32 0
		.amdhsa_float_round_mode_16_64 0
		.amdhsa_float_denorm_mode_32 3
		.amdhsa_float_denorm_mode_16_64 3
		.amdhsa_dx10_clamp 1
		.amdhsa_ieee_mode 1
		.amdhsa_fp16_overflow 0
		.amdhsa_tg_split 0
		.amdhsa_exception_fp_ieee_invalid_op 0
		.amdhsa_exception_fp_denorm_src 0
		.amdhsa_exception_fp_ieee_div_zero 0
		.amdhsa_exception_fp_ieee_overflow 0
		.amdhsa_exception_fp_ieee_underflow 0
		.amdhsa_exception_fp_ieee_inexact 0
		.amdhsa_exception_int_div_zero 0
	.end_amdhsa_kernel
	.section	.text._ZN7rocprim17ROCPRIM_400000_NS6detail17trampoline_kernelINS0_14default_configENS1_20scan_config_selectorIsEEZZNS1_9scan_implILNS1_25lookback_scan_determinismE0ELb0ELb0ES3_N6thrust23THRUST_200600_302600_NS6detail15normal_iteratorINS9_10device_ptrIsEEEESE_s11max_functorIsEsEEDaPvRmT3_T4_T5_mT6_P12ihipStream_tbENKUlT_T0_E_clISt17integral_constantIbLb1EEST_IbLb0EEEEDaSP_SQ_EUlSP_E0_NS1_11comp_targetILNS1_3genE10ELNS1_11target_archE1201ELNS1_3gpuE5ELNS1_3repE0EEENS1_30default_config_static_selectorELNS0_4arch9wavefront6targetE1EEEvT1_,"axG",@progbits,_ZN7rocprim17ROCPRIM_400000_NS6detail17trampoline_kernelINS0_14default_configENS1_20scan_config_selectorIsEEZZNS1_9scan_implILNS1_25lookback_scan_determinismE0ELb0ELb0ES3_N6thrust23THRUST_200600_302600_NS6detail15normal_iteratorINS9_10device_ptrIsEEEESE_s11max_functorIsEsEEDaPvRmT3_T4_T5_mT6_P12ihipStream_tbENKUlT_T0_E_clISt17integral_constantIbLb1EEST_IbLb0EEEEDaSP_SQ_EUlSP_E0_NS1_11comp_targetILNS1_3genE10ELNS1_11target_archE1201ELNS1_3gpuE5ELNS1_3repE0EEENS1_30default_config_static_selectorELNS0_4arch9wavefront6targetE1EEEvT1_,comdat
.Lfunc_end2896:
	.size	_ZN7rocprim17ROCPRIM_400000_NS6detail17trampoline_kernelINS0_14default_configENS1_20scan_config_selectorIsEEZZNS1_9scan_implILNS1_25lookback_scan_determinismE0ELb0ELb0ES3_N6thrust23THRUST_200600_302600_NS6detail15normal_iteratorINS9_10device_ptrIsEEEESE_s11max_functorIsEsEEDaPvRmT3_T4_T5_mT6_P12ihipStream_tbENKUlT_T0_E_clISt17integral_constantIbLb1EEST_IbLb0EEEEDaSP_SQ_EUlSP_E0_NS1_11comp_targetILNS1_3genE10ELNS1_11target_archE1201ELNS1_3gpuE5ELNS1_3repE0EEENS1_30default_config_static_selectorELNS0_4arch9wavefront6targetE1EEEvT1_, .Lfunc_end2896-_ZN7rocprim17ROCPRIM_400000_NS6detail17trampoline_kernelINS0_14default_configENS1_20scan_config_selectorIsEEZZNS1_9scan_implILNS1_25lookback_scan_determinismE0ELb0ELb0ES3_N6thrust23THRUST_200600_302600_NS6detail15normal_iteratorINS9_10device_ptrIsEEEESE_s11max_functorIsEsEEDaPvRmT3_T4_T5_mT6_P12ihipStream_tbENKUlT_T0_E_clISt17integral_constantIbLb1EEST_IbLb0EEEEDaSP_SQ_EUlSP_E0_NS1_11comp_targetILNS1_3genE10ELNS1_11target_archE1201ELNS1_3gpuE5ELNS1_3repE0EEENS1_30default_config_static_selectorELNS0_4arch9wavefront6targetE1EEEvT1_
                                        ; -- End function
	.section	.AMDGPU.csdata,"",@progbits
; Kernel info:
; codeLenInByte = 0
; NumSgprs: 4
; NumVgprs: 0
; NumAgprs: 0
; TotalNumVgprs: 0
; ScratchSize: 0
; MemoryBound: 0
; FloatMode: 240
; IeeeMode: 1
; LDSByteSize: 0 bytes/workgroup (compile time only)
; SGPRBlocks: 0
; VGPRBlocks: 0
; NumSGPRsForWavesPerEU: 4
; NumVGPRsForWavesPerEU: 1
; AccumOffset: 4
; Occupancy: 8
; WaveLimiterHint : 0
; COMPUTE_PGM_RSRC2:SCRATCH_EN: 0
; COMPUTE_PGM_RSRC2:USER_SGPR: 6
; COMPUTE_PGM_RSRC2:TRAP_HANDLER: 0
; COMPUTE_PGM_RSRC2:TGID_X_EN: 1
; COMPUTE_PGM_RSRC2:TGID_Y_EN: 0
; COMPUTE_PGM_RSRC2:TGID_Z_EN: 0
; COMPUTE_PGM_RSRC2:TIDIG_COMP_CNT: 0
; COMPUTE_PGM_RSRC3_GFX90A:ACCUM_OFFSET: 0
; COMPUTE_PGM_RSRC3_GFX90A:TG_SPLIT: 0
	.section	.text._ZN7rocprim17ROCPRIM_400000_NS6detail17trampoline_kernelINS0_14default_configENS1_20scan_config_selectorIsEEZZNS1_9scan_implILNS1_25lookback_scan_determinismE0ELb0ELb0ES3_N6thrust23THRUST_200600_302600_NS6detail15normal_iteratorINS9_10device_ptrIsEEEESE_s11max_functorIsEsEEDaPvRmT3_T4_T5_mT6_P12ihipStream_tbENKUlT_T0_E_clISt17integral_constantIbLb1EEST_IbLb0EEEEDaSP_SQ_EUlSP_E0_NS1_11comp_targetILNS1_3genE10ELNS1_11target_archE1200ELNS1_3gpuE4ELNS1_3repE0EEENS1_30default_config_static_selectorELNS0_4arch9wavefront6targetE1EEEvT1_,"axG",@progbits,_ZN7rocprim17ROCPRIM_400000_NS6detail17trampoline_kernelINS0_14default_configENS1_20scan_config_selectorIsEEZZNS1_9scan_implILNS1_25lookback_scan_determinismE0ELb0ELb0ES3_N6thrust23THRUST_200600_302600_NS6detail15normal_iteratorINS9_10device_ptrIsEEEESE_s11max_functorIsEsEEDaPvRmT3_T4_T5_mT6_P12ihipStream_tbENKUlT_T0_E_clISt17integral_constantIbLb1EEST_IbLb0EEEEDaSP_SQ_EUlSP_E0_NS1_11comp_targetILNS1_3genE10ELNS1_11target_archE1200ELNS1_3gpuE4ELNS1_3repE0EEENS1_30default_config_static_selectorELNS0_4arch9wavefront6targetE1EEEvT1_,comdat
	.protected	_ZN7rocprim17ROCPRIM_400000_NS6detail17trampoline_kernelINS0_14default_configENS1_20scan_config_selectorIsEEZZNS1_9scan_implILNS1_25lookback_scan_determinismE0ELb0ELb0ES3_N6thrust23THRUST_200600_302600_NS6detail15normal_iteratorINS9_10device_ptrIsEEEESE_s11max_functorIsEsEEDaPvRmT3_T4_T5_mT6_P12ihipStream_tbENKUlT_T0_E_clISt17integral_constantIbLb1EEST_IbLb0EEEEDaSP_SQ_EUlSP_E0_NS1_11comp_targetILNS1_3genE10ELNS1_11target_archE1200ELNS1_3gpuE4ELNS1_3repE0EEENS1_30default_config_static_selectorELNS0_4arch9wavefront6targetE1EEEvT1_ ; -- Begin function _ZN7rocprim17ROCPRIM_400000_NS6detail17trampoline_kernelINS0_14default_configENS1_20scan_config_selectorIsEEZZNS1_9scan_implILNS1_25lookback_scan_determinismE0ELb0ELb0ES3_N6thrust23THRUST_200600_302600_NS6detail15normal_iteratorINS9_10device_ptrIsEEEESE_s11max_functorIsEsEEDaPvRmT3_T4_T5_mT6_P12ihipStream_tbENKUlT_T0_E_clISt17integral_constantIbLb1EEST_IbLb0EEEEDaSP_SQ_EUlSP_E0_NS1_11comp_targetILNS1_3genE10ELNS1_11target_archE1200ELNS1_3gpuE4ELNS1_3repE0EEENS1_30default_config_static_selectorELNS0_4arch9wavefront6targetE1EEEvT1_
	.globl	_ZN7rocprim17ROCPRIM_400000_NS6detail17trampoline_kernelINS0_14default_configENS1_20scan_config_selectorIsEEZZNS1_9scan_implILNS1_25lookback_scan_determinismE0ELb0ELb0ES3_N6thrust23THRUST_200600_302600_NS6detail15normal_iteratorINS9_10device_ptrIsEEEESE_s11max_functorIsEsEEDaPvRmT3_T4_T5_mT6_P12ihipStream_tbENKUlT_T0_E_clISt17integral_constantIbLb1EEST_IbLb0EEEEDaSP_SQ_EUlSP_E0_NS1_11comp_targetILNS1_3genE10ELNS1_11target_archE1200ELNS1_3gpuE4ELNS1_3repE0EEENS1_30default_config_static_selectorELNS0_4arch9wavefront6targetE1EEEvT1_
	.p2align	8
	.type	_ZN7rocprim17ROCPRIM_400000_NS6detail17trampoline_kernelINS0_14default_configENS1_20scan_config_selectorIsEEZZNS1_9scan_implILNS1_25lookback_scan_determinismE0ELb0ELb0ES3_N6thrust23THRUST_200600_302600_NS6detail15normal_iteratorINS9_10device_ptrIsEEEESE_s11max_functorIsEsEEDaPvRmT3_T4_T5_mT6_P12ihipStream_tbENKUlT_T0_E_clISt17integral_constantIbLb1EEST_IbLb0EEEEDaSP_SQ_EUlSP_E0_NS1_11comp_targetILNS1_3genE10ELNS1_11target_archE1200ELNS1_3gpuE4ELNS1_3repE0EEENS1_30default_config_static_selectorELNS0_4arch9wavefront6targetE1EEEvT1_,@function
_ZN7rocprim17ROCPRIM_400000_NS6detail17trampoline_kernelINS0_14default_configENS1_20scan_config_selectorIsEEZZNS1_9scan_implILNS1_25lookback_scan_determinismE0ELb0ELb0ES3_N6thrust23THRUST_200600_302600_NS6detail15normal_iteratorINS9_10device_ptrIsEEEESE_s11max_functorIsEsEEDaPvRmT3_T4_T5_mT6_P12ihipStream_tbENKUlT_T0_E_clISt17integral_constantIbLb1EEST_IbLb0EEEEDaSP_SQ_EUlSP_E0_NS1_11comp_targetILNS1_3genE10ELNS1_11target_archE1200ELNS1_3gpuE4ELNS1_3repE0EEENS1_30default_config_static_selectorELNS0_4arch9wavefront6targetE1EEEvT1_: ; @_ZN7rocprim17ROCPRIM_400000_NS6detail17trampoline_kernelINS0_14default_configENS1_20scan_config_selectorIsEEZZNS1_9scan_implILNS1_25lookback_scan_determinismE0ELb0ELb0ES3_N6thrust23THRUST_200600_302600_NS6detail15normal_iteratorINS9_10device_ptrIsEEEESE_s11max_functorIsEsEEDaPvRmT3_T4_T5_mT6_P12ihipStream_tbENKUlT_T0_E_clISt17integral_constantIbLb1EEST_IbLb0EEEEDaSP_SQ_EUlSP_E0_NS1_11comp_targetILNS1_3genE10ELNS1_11target_archE1200ELNS1_3gpuE4ELNS1_3repE0EEENS1_30default_config_static_selectorELNS0_4arch9wavefront6targetE1EEEvT1_
; %bb.0:
	.section	.rodata,"a",@progbits
	.p2align	6, 0x0
	.amdhsa_kernel _ZN7rocprim17ROCPRIM_400000_NS6detail17trampoline_kernelINS0_14default_configENS1_20scan_config_selectorIsEEZZNS1_9scan_implILNS1_25lookback_scan_determinismE0ELb0ELb0ES3_N6thrust23THRUST_200600_302600_NS6detail15normal_iteratorINS9_10device_ptrIsEEEESE_s11max_functorIsEsEEDaPvRmT3_T4_T5_mT6_P12ihipStream_tbENKUlT_T0_E_clISt17integral_constantIbLb1EEST_IbLb0EEEEDaSP_SQ_EUlSP_E0_NS1_11comp_targetILNS1_3genE10ELNS1_11target_archE1200ELNS1_3gpuE4ELNS1_3repE0EEENS1_30default_config_static_selectorELNS0_4arch9wavefront6targetE1EEEvT1_
		.amdhsa_group_segment_fixed_size 0
		.amdhsa_private_segment_fixed_size 0
		.amdhsa_kernarg_size 32
		.amdhsa_user_sgpr_count 6
		.amdhsa_user_sgpr_private_segment_buffer 1
		.amdhsa_user_sgpr_dispatch_ptr 0
		.amdhsa_user_sgpr_queue_ptr 0
		.amdhsa_user_sgpr_kernarg_segment_ptr 1
		.amdhsa_user_sgpr_dispatch_id 0
		.amdhsa_user_sgpr_flat_scratch_init 0
		.amdhsa_user_sgpr_kernarg_preload_length 0
		.amdhsa_user_sgpr_kernarg_preload_offset 0
		.amdhsa_user_sgpr_private_segment_size 0
		.amdhsa_uses_dynamic_stack 0
		.amdhsa_system_sgpr_private_segment_wavefront_offset 0
		.amdhsa_system_sgpr_workgroup_id_x 1
		.amdhsa_system_sgpr_workgroup_id_y 0
		.amdhsa_system_sgpr_workgroup_id_z 0
		.amdhsa_system_sgpr_workgroup_info 0
		.amdhsa_system_vgpr_workitem_id 0
		.amdhsa_next_free_vgpr 1
		.amdhsa_next_free_sgpr 0
		.amdhsa_accum_offset 4
		.amdhsa_reserve_vcc 0
		.amdhsa_reserve_flat_scratch 0
		.amdhsa_float_round_mode_32 0
		.amdhsa_float_round_mode_16_64 0
		.amdhsa_float_denorm_mode_32 3
		.amdhsa_float_denorm_mode_16_64 3
		.amdhsa_dx10_clamp 1
		.amdhsa_ieee_mode 1
		.amdhsa_fp16_overflow 0
		.amdhsa_tg_split 0
		.amdhsa_exception_fp_ieee_invalid_op 0
		.amdhsa_exception_fp_denorm_src 0
		.amdhsa_exception_fp_ieee_div_zero 0
		.amdhsa_exception_fp_ieee_overflow 0
		.amdhsa_exception_fp_ieee_underflow 0
		.amdhsa_exception_fp_ieee_inexact 0
		.amdhsa_exception_int_div_zero 0
	.end_amdhsa_kernel
	.section	.text._ZN7rocprim17ROCPRIM_400000_NS6detail17trampoline_kernelINS0_14default_configENS1_20scan_config_selectorIsEEZZNS1_9scan_implILNS1_25lookback_scan_determinismE0ELb0ELb0ES3_N6thrust23THRUST_200600_302600_NS6detail15normal_iteratorINS9_10device_ptrIsEEEESE_s11max_functorIsEsEEDaPvRmT3_T4_T5_mT6_P12ihipStream_tbENKUlT_T0_E_clISt17integral_constantIbLb1EEST_IbLb0EEEEDaSP_SQ_EUlSP_E0_NS1_11comp_targetILNS1_3genE10ELNS1_11target_archE1200ELNS1_3gpuE4ELNS1_3repE0EEENS1_30default_config_static_selectorELNS0_4arch9wavefront6targetE1EEEvT1_,"axG",@progbits,_ZN7rocprim17ROCPRIM_400000_NS6detail17trampoline_kernelINS0_14default_configENS1_20scan_config_selectorIsEEZZNS1_9scan_implILNS1_25lookback_scan_determinismE0ELb0ELb0ES3_N6thrust23THRUST_200600_302600_NS6detail15normal_iteratorINS9_10device_ptrIsEEEESE_s11max_functorIsEsEEDaPvRmT3_T4_T5_mT6_P12ihipStream_tbENKUlT_T0_E_clISt17integral_constantIbLb1EEST_IbLb0EEEEDaSP_SQ_EUlSP_E0_NS1_11comp_targetILNS1_3genE10ELNS1_11target_archE1200ELNS1_3gpuE4ELNS1_3repE0EEENS1_30default_config_static_selectorELNS0_4arch9wavefront6targetE1EEEvT1_,comdat
.Lfunc_end2897:
	.size	_ZN7rocprim17ROCPRIM_400000_NS6detail17trampoline_kernelINS0_14default_configENS1_20scan_config_selectorIsEEZZNS1_9scan_implILNS1_25lookback_scan_determinismE0ELb0ELb0ES3_N6thrust23THRUST_200600_302600_NS6detail15normal_iteratorINS9_10device_ptrIsEEEESE_s11max_functorIsEsEEDaPvRmT3_T4_T5_mT6_P12ihipStream_tbENKUlT_T0_E_clISt17integral_constantIbLb1EEST_IbLb0EEEEDaSP_SQ_EUlSP_E0_NS1_11comp_targetILNS1_3genE10ELNS1_11target_archE1200ELNS1_3gpuE4ELNS1_3repE0EEENS1_30default_config_static_selectorELNS0_4arch9wavefront6targetE1EEEvT1_, .Lfunc_end2897-_ZN7rocprim17ROCPRIM_400000_NS6detail17trampoline_kernelINS0_14default_configENS1_20scan_config_selectorIsEEZZNS1_9scan_implILNS1_25lookback_scan_determinismE0ELb0ELb0ES3_N6thrust23THRUST_200600_302600_NS6detail15normal_iteratorINS9_10device_ptrIsEEEESE_s11max_functorIsEsEEDaPvRmT3_T4_T5_mT6_P12ihipStream_tbENKUlT_T0_E_clISt17integral_constantIbLb1EEST_IbLb0EEEEDaSP_SQ_EUlSP_E0_NS1_11comp_targetILNS1_3genE10ELNS1_11target_archE1200ELNS1_3gpuE4ELNS1_3repE0EEENS1_30default_config_static_selectorELNS0_4arch9wavefront6targetE1EEEvT1_
                                        ; -- End function
	.section	.AMDGPU.csdata,"",@progbits
; Kernel info:
; codeLenInByte = 0
; NumSgprs: 4
; NumVgprs: 0
; NumAgprs: 0
; TotalNumVgprs: 0
; ScratchSize: 0
; MemoryBound: 0
; FloatMode: 240
; IeeeMode: 1
; LDSByteSize: 0 bytes/workgroup (compile time only)
; SGPRBlocks: 0
; VGPRBlocks: 0
; NumSGPRsForWavesPerEU: 4
; NumVGPRsForWavesPerEU: 1
; AccumOffset: 4
; Occupancy: 8
; WaveLimiterHint : 0
; COMPUTE_PGM_RSRC2:SCRATCH_EN: 0
; COMPUTE_PGM_RSRC2:USER_SGPR: 6
; COMPUTE_PGM_RSRC2:TRAP_HANDLER: 0
; COMPUTE_PGM_RSRC2:TGID_X_EN: 1
; COMPUTE_PGM_RSRC2:TGID_Y_EN: 0
; COMPUTE_PGM_RSRC2:TGID_Z_EN: 0
; COMPUTE_PGM_RSRC2:TIDIG_COMP_CNT: 0
; COMPUTE_PGM_RSRC3_GFX90A:ACCUM_OFFSET: 0
; COMPUTE_PGM_RSRC3_GFX90A:TG_SPLIT: 0
	.section	.text._ZN7rocprim17ROCPRIM_400000_NS6detail17trampoline_kernelINS0_14default_configENS1_20scan_config_selectorIsEEZZNS1_9scan_implILNS1_25lookback_scan_determinismE0ELb0ELb0ES3_N6thrust23THRUST_200600_302600_NS6detail15normal_iteratorINS9_10device_ptrIsEEEESE_s11max_functorIsEsEEDaPvRmT3_T4_T5_mT6_P12ihipStream_tbENKUlT_T0_E_clISt17integral_constantIbLb1EEST_IbLb0EEEEDaSP_SQ_EUlSP_E0_NS1_11comp_targetILNS1_3genE9ELNS1_11target_archE1100ELNS1_3gpuE3ELNS1_3repE0EEENS1_30default_config_static_selectorELNS0_4arch9wavefront6targetE1EEEvT1_,"axG",@progbits,_ZN7rocprim17ROCPRIM_400000_NS6detail17trampoline_kernelINS0_14default_configENS1_20scan_config_selectorIsEEZZNS1_9scan_implILNS1_25lookback_scan_determinismE0ELb0ELb0ES3_N6thrust23THRUST_200600_302600_NS6detail15normal_iteratorINS9_10device_ptrIsEEEESE_s11max_functorIsEsEEDaPvRmT3_T4_T5_mT6_P12ihipStream_tbENKUlT_T0_E_clISt17integral_constantIbLb1EEST_IbLb0EEEEDaSP_SQ_EUlSP_E0_NS1_11comp_targetILNS1_3genE9ELNS1_11target_archE1100ELNS1_3gpuE3ELNS1_3repE0EEENS1_30default_config_static_selectorELNS0_4arch9wavefront6targetE1EEEvT1_,comdat
	.protected	_ZN7rocprim17ROCPRIM_400000_NS6detail17trampoline_kernelINS0_14default_configENS1_20scan_config_selectorIsEEZZNS1_9scan_implILNS1_25lookback_scan_determinismE0ELb0ELb0ES3_N6thrust23THRUST_200600_302600_NS6detail15normal_iteratorINS9_10device_ptrIsEEEESE_s11max_functorIsEsEEDaPvRmT3_T4_T5_mT6_P12ihipStream_tbENKUlT_T0_E_clISt17integral_constantIbLb1EEST_IbLb0EEEEDaSP_SQ_EUlSP_E0_NS1_11comp_targetILNS1_3genE9ELNS1_11target_archE1100ELNS1_3gpuE3ELNS1_3repE0EEENS1_30default_config_static_selectorELNS0_4arch9wavefront6targetE1EEEvT1_ ; -- Begin function _ZN7rocprim17ROCPRIM_400000_NS6detail17trampoline_kernelINS0_14default_configENS1_20scan_config_selectorIsEEZZNS1_9scan_implILNS1_25lookback_scan_determinismE0ELb0ELb0ES3_N6thrust23THRUST_200600_302600_NS6detail15normal_iteratorINS9_10device_ptrIsEEEESE_s11max_functorIsEsEEDaPvRmT3_T4_T5_mT6_P12ihipStream_tbENKUlT_T0_E_clISt17integral_constantIbLb1EEST_IbLb0EEEEDaSP_SQ_EUlSP_E0_NS1_11comp_targetILNS1_3genE9ELNS1_11target_archE1100ELNS1_3gpuE3ELNS1_3repE0EEENS1_30default_config_static_selectorELNS0_4arch9wavefront6targetE1EEEvT1_
	.globl	_ZN7rocprim17ROCPRIM_400000_NS6detail17trampoline_kernelINS0_14default_configENS1_20scan_config_selectorIsEEZZNS1_9scan_implILNS1_25lookback_scan_determinismE0ELb0ELb0ES3_N6thrust23THRUST_200600_302600_NS6detail15normal_iteratorINS9_10device_ptrIsEEEESE_s11max_functorIsEsEEDaPvRmT3_T4_T5_mT6_P12ihipStream_tbENKUlT_T0_E_clISt17integral_constantIbLb1EEST_IbLb0EEEEDaSP_SQ_EUlSP_E0_NS1_11comp_targetILNS1_3genE9ELNS1_11target_archE1100ELNS1_3gpuE3ELNS1_3repE0EEENS1_30default_config_static_selectorELNS0_4arch9wavefront6targetE1EEEvT1_
	.p2align	8
	.type	_ZN7rocprim17ROCPRIM_400000_NS6detail17trampoline_kernelINS0_14default_configENS1_20scan_config_selectorIsEEZZNS1_9scan_implILNS1_25lookback_scan_determinismE0ELb0ELb0ES3_N6thrust23THRUST_200600_302600_NS6detail15normal_iteratorINS9_10device_ptrIsEEEESE_s11max_functorIsEsEEDaPvRmT3_T4_T5_mT6_P12ihipStream_tbENKUlT_T0_E_clISt17integral_constantIbLb1EEST_IbLb0EEEEDaSP_SQ_EUlSP_E0_NS1_11comp_targetILNS1_3genE9ELNS1_11target_archE1100ELNS1_3gpuE3ELNS1_3repE0EEENS1_30default_config_static_selectorELNS0_4arch9wavefront6targetE1EEEvT1_,@function
_ZN7rocprim17ROCPRIM_400000_NS6detail17trampoline_kernelINS0_14default_configENS1_20scan_config_selectorIsEEZZNS1_9scan_implILNS1_25lookback_scan_determinismE0ELb0ELb0ES3_N6thrust23THRUST_200600_302600_NS6detail15normal_iteratorINS9_10device_ptrIsEEEESE_s11max_functorIsEsEEDaPvRmT3_T4_T5_mT6_P12ihipStream_tbENKUlT_T0_E_clISt17integral_constantIbLb1EEST_IbLb0EEEEDaSP_SQ_EUlSP_E0_NS1_11comp_targetILNS1_3genE9ELNS1_11target_archE1100ELNS1_3gpuE3ELNS1_3repE0EEENS1_30default_config_static_selectorELNS0_4arch9wavefront6targetE1EEEvT1_: ; @_ZN7rocprim17ROCPRIM_400000_NS6detail17trampoline_kernelINS0_14default_configENS1_20scan_config_selectorIsEEZZNS1_9scan_implILNS1_25lookback_scan_determinismE0ELb0ELb0ES3_N6thrust23THRUST_200600_302600_NS6detail15normal_iteratorINS9_10device_ptrIsEEEESE_s11max_functorIsEsEEDaPvRmT3_T4_T5_mT6_P12ihipStream_tbENKUlT_T0_E_clISt17integral_constantIbLb1EEST_IbLb0EEEEDaSP_SQ_EUlSP_E0_NS1_11comp_targetILNS1_3genE9ELNS1_11target_archE1100ELNS1_3gpuE3ELNS1_3repE0EEENS1_30default_config_static_selectorELNS0_4arch9wavefront6targetE1EEEvT1_
; %bb.0:
	.section	.rodata,"a",@progbits
	.p2align	6, 0x0
	.amdhsa_kernel _ZN7rocprim17ROCPRIM_400000_NS6detail17trampoline_kernelINS0_14default_configENS1_20scan_config_selectorIsEEZZNS1_9scan_implILNS1_25lookback_scan_determinismE0ELb0ELb0ES3_N6thrust23THRUST_200600_302600_NS6detail15normal_iteratorINS9_10device_ptrIsEEEESE_s11max_functorIsEsEEDaPvRmT3_T4_T5_mT6_P12ihipStream_tbENKUlT_T0_E_clISt17integral_constantIbLb1EEST_IbLb0EEEEDaSP_SQ_EUlSP_E0_NS1_11comp_targetILNS1_3genE9ELNS1_11target_archE1100ELNS1_3gpuE3ELNS1_3repE0EEENS1_30default_config_static_selectorELNS0_4arch9wavefront6targetE1EEEvT1_
		.amdhsa_group_segment_fixed_size 0
		.amdhsa_private_segment_fixed_size 0
		.amdhsa_kernarg_size 32
		.amdhsa_user_sgpr_count 6
		.amdhsa_user_sgpr_private_segment_buffer 1
		.amdhsa_user_sgpr_dispatch_ptr 0
		.amdhsa_user_sgpr_queue_ptr 0
		.amdhsa_user_sgpr_kernarg_segment_ptr 1
		.amdhsa_user_sgpr_dispatch_id 0
		.amdhsa_user_sgpr_flat_scratch_init 0
		.amdhsa_user_sgpr_kernarg_preload_length 0
		.amdhsa_user_sgpr_kernarg_preload_offset 0
		.amdhsa_user_sgpr_private_segment_size 0
		.amdhsa_uses_dynamic_stack 0
		.amdhsa_system_sgpr_private_segment_wavefront_offset 0
		.amdhsa_system_sgpr_workgroup_id_x 1
		.amdhsa_system_sgpr_workgroup_id_y 0
		.amdhsa_system_sgpr_workgroup_id_z 0
		.amdhsa_system_sgpr_workgroup_info 0
		.amdhsa_system_vgpr_workitem_id 0
		.amdhsa_next_free_vgpr 1
		.amdhsa_next_free_sgpr 0
		.amdhsa_accum_offset 4
		.amdhsa_reserve_vcc 0
		.amdhsa_reserve_flat_scratch 0
		.amdhsa_float_round_mode_32 0
		.amdhsa_float_round_mode_16_64 0
		.amdhsa_float_denorm_mode_32 3
		.amdhsa_float_denorm_mode_16_64 3
		.amdhsa_dx10_clamp 1
		.amdhsa_ieee_mode 1
		.amdhsa_fp16_overflow 0
		.amdhsa_tg_split 0
		.amdhsa_exception_fp_ieee_invalid_op 0
		.amdhsa_exception_fp_denorm_src 0
		.amdhsa_exception_fp_ieee_div_zero 0
		.amdhsa_exception_fp_ieee_overflow 0
		.amdhsa_exception_fp_ieee_underflow 0
		.amdhsa_exception_fp_ieee_inexact 0
		.amdhsa_exception_int_div_zero 0
	.end_amdhsa_kernel
	.section	.text._ZN7rocprim17ROCPRIM_400000_NS6detail17trampoline_kernelINS0_14default_configENS1_20scan_config_selectorIsEEZZNS1_9scan_implILNS1_25lookback_scan_determinismE0ELb0ELb0ES3_N6thrust23THRUST_200600_302600_NS6detail15normal_iteratorINS9_10device_ptrIsEEEESE_s11max_functorIsEsEEDaPvRmT3_T4_T5_mT6_P12ihipStream_tbENKUlT_T0_E_clISt17integral_constantIbLb1EEST_IbLb0EEEEDaSP_SQ_EUlSP_E0_NS1_11comp_targetILNS1_3genE9ELNS1_11target_archE1100ELNS1_3gpuE3ELNS1_3repE0EEENS1_30default_config_static_selectorELNS0_4arch9wavefront6targetE1EEEvT1_,"axG",@progbits,_ZN7rocprim17ROCPRIM_400000_NS6detail17trampoline_kernelINS0_14default_configENS1_20scan_config_selectorIsEEZZNS1_9scan_implILNS1_25lookback_scan_determinismE0ELb0ELb0ES3_N6thrust23THRUST_200600_302600_NS6detail15normal_iteratorINS9_10device_ptrIsEEEESE_s11max_functorIsEsEEDaPvRmT3_T4_T5_mT6_P12ihipStream_tbENKUlT_T0_E_clISt17integral_constantIbLb1EEST_IbLb0EEEEDaSP_SQ_EUlSP_E0_NS1_11comp_targetILNS1_3genE9ELNS1_11target_archE1100ELNS1_3gpuE3ELNS1_3repE0EEENS1_30default_config_static_selectorELNS0_4arch9wavefront6targetE1EEEvT1_,comdat
.Lfunc_end2898:
	.size	_ZN7rocprim17ROCPRIM_400000_NS6detail17trampoline_kernelINS0_14default_configENS1_20scan_config_selectorIsEEZZNS1_9scan_implILNS1_25lookback_scan_determinismE0ELb0ELb0ES3_N6thrust23THRUST_200600_302600_NS6detail15normal_iteratorINS9_10device_ptrIsEEEESE_s11max_functorIsEsEEDaPvRmT3_T4_T5_mT6_P12ihipStream_tbENKUlT_T0_E_clISt17integral_constantIbLb1EEST_IbLb0EEEEDaSP_SQ_EUlSP_E0_NS1_11comp_targetILNS1_3genE9ELNS1_11target_archE1100ELNS1_3gpuE3ELNS1_3repE0EEENS1_30default_config_static_selectorELNS0_4arch9wavefront6targetE1EEEvT1_, .Lfunc_end2898-_ZN7rocprim17ROCPRIM_400000_NS6detail17trampoline_kernelINS0_14default_configENS1_20scan_config_selectorIsEEZZNS1_9scan_implILNS1_25lookback_scan_determinismE0ELb0ELb0ES3_N6thrust23THRUST_200600_302600_NS6detail15normal_iteratorINS9_10device_ptrIsEEEESE_s11max_functorIsEsEEDaPvRmT3_T4_T5_mT6_P12ihipStream_tbENKUlT_T0_E_clISt17integral_constantIbLb1EEST_IbLb0EEEEDaSP_SQ_EUlSP_E0_NS1_11comp_targetILNS1_3genE9ELNS1_11target_archE1100ELNS1_3gpuE3ELNS1_3repE0EEENS1_30default_config_static_selectorELNS0_4arch9wavefront6targetE1EEEvT1_
                                        ; -- End function
	.section	.AMDGPU.csdata,"",@progbits
; Kernel info:
; codeLenInByte = 0
; NumSgprs: 4
; NumVgprs: 0
; NumAgprs: 0
; TotalNumVgprs: 0
; ScratchSize: 0
; MemoryBound: 0
; FloatMode: 240
; IeeeMode: 1
; LDSByteSize: 0 bytes/workgroup (compile time only)
; SGPRBlocks: 0
; VGPRBlocks: 0
; NumSGPRsForWavesPerEU: 4
; NumVGPRsForWavesPerEU: 1
; AccumOffset: 4
; Occupancy: 8
; WaveLimiterHint : 0
; COMPUTE_PGM_RSRC2:SCRATCH_EN: 0
; COMPUTE_PGM_RSRC2:USER_SGPR: 6
; COMPUTE_PGM_RSRC2:TRAP_HANDLER: 0
; COMPUTE_PGM_RSRC2:TGID_X_EN: 1
; COMPUTE_PGM_RSRC2:TGID_Y_EN: 0
; COMPUTE_PGM_RSRC2:TGID_Z_EN: 0
; COMPUTE_PGM_RSRC2:TIDIG_COMP_CNT: 0
; COMPUTE_PGM_RSRC3_GFX90A:ACCUM_OFFSET: 0
; COMPUTE_PGM_RSRC3_GFX90A:TG_SPLIT: 0
	.section	.text._ZN7rocprim17ROCPRIM_400000_NS6detail17trampoline_kernelINS0_14default_configENS1_20scan_config_selectorIsEEZZNS1_9scan_implILNS1_25lookback_scan_determinismE0ELb0ELb0ES3_N6thrust23THRUST_200600_302600_NS6detail15normal_iteratorINS9_10device_ptrIsEEEESE_s11max_functorIsEsEEDaPvRmT3_T4_T5_mT6_P12ihipStream_tbENKUlT_T0_E_clISt17integral_constantIbLb1EEST_IbLb0EEEEDaSP_SQ_EUlSP_E0_NS1_11comp_targetILNS1_3genE8ELNS1_11target_archE1030ELNS1_3gpuE2ELNS1_3repE0EEENS1_30default_config_static_selectorELNS0_4arch9wavefront6targetE1EEEvT1_,"axG",@progbits,_ZN7rocprim17ROCPRIM_400000_NS6detail17trampoline_kernelINS0_14default_configENS1_20scan_config_selectorIsEEZZNS1_9scan_implILNS1_25lookback_scan_determinismE0ELb0ELb0ES3_N6thrust23THRUST_200600_302600_NS6detail15normal_iteratorINS9_10device_ptrIsEEEESE_s11max_functorIsEsEEDaPvRmT3_T4_T5_mT6_P12ihipStream_tbENKUlT_T0_E_clISt17integral_constantIbLb1EEST_IbLb0EEEEDaSP_SQ_EUlSP_E0_NS1_11comp_targetILNS1_3genE8ELNS1_11target_archE1030ELNS1_3gpuE2ELNS1_3repE0EEENS1_30default_config_static_selectorELNS0_4arch9wavefront6targetE1EEEvT1_,comdat
	.protected	_ZN7rocprim17ROCPRIM_400000_NS6detail17trampoline_kernelINS0_14default_configENS1_20scan_config_selectorIsEEZZNS1_9scan_implILNS1_25lookback_scan_determinismE0ELb0ELb0ES3_N6thrust23THRUST_200600_302600_NS6detail15normal_iteratorINS9_10device_ptrIsEEEESE_s11max_functorIsEsEEDaPvRmT3_T4_T5_mT6_P12ihipStream_tbENKUlT_T0_E_clISt17integral_constantIbLb1EEST_IbLb0EEEEDaSP_SQ_EUlSP_E0_NS1_11comp_targetILNS1_3genE8ELNS1_11target_archE1030ELNS1_3gpuE2ELNS1_3repE0EEENS1_30default_config_static_selectorELNS0_4arch9wavefront6targetE1EEEvT1_ ; -- Begin function _ZN7rocprim17ROCPRIM_400000_NS6detail17trampoline_kernelINS0_14default_configENS1_20scan_config_selectorIsEEZZNS1_9scan_implILNS1_25lookback_scan_determinismE0ELb0ELb0ES3_N6thrust23THRUST_200600_302600_NS6detail15normal_iteratorINS9_10device_ptrIsEEEESE_s11max_functorIsEsEEDaPvRmT3_T4_T5_mT6_P12ihipStream_tbENKUlT_T0_E_clISt17integral_constantIbLb1EEST_IbLb0EEEEDaSP_SQ_EUlSP_E0_NS1_11comp_targetILNS1_3genE8ELNS1_11target_archE1030ELNS1_3gpuE2ELNS1_3repE0EEENS1_30default_config_static_selectorELNS0_4arch9wavefront6targetE1EEEvT1_
	.globl	_ZN7rocprim17ROCPRIM_400000_NS6detail17trampoline_kernelINS0_14default_configENS1_20scan_config_selectorIsEEZZNS1_9scan_implILNS1_25lookback_scan_determinismE0ELb0ELb0ES3_N6thrust23THRUST_200600_302600_NS6detail15normal_iteratorINS9_10device_ptrIsEEEESE_s11max_functorIsEsEEDaPvRmT3_T4_T5_mT6_P12ihipStream_tbENKUlT_T0_E_clISt17integral_constantIbLb1EEST_IbLb0EEEEDaSP_SQ_EUlSP_E0_NS1_11comp_targetILNS1_3genE8ELNS1_11target_archE1030ELNS1_3gpuE2ELNS1_3repE0EEENS1_30default_config_static_selectorELNS0_4arch9wavefront6targetE1EEEvT1_
	.p2align	8
	.type	_ZN7rocprim17ROCPRIM_400000_NS6detail17trampoline_kernelINS0_14default_configENS1_20scan_config_selectorIsEEZZNS1_9scan_implILNS1_25lookback_scan_determinismE0ELb0ELb0ES3_N6thrust23THRUST_200600_302600_NS6detail15normal_iteratorINS9_10device_ptrIsEEEESE_s11max_functorIsEsEEDaPvRmT3_T4_T5_mT6_P12ihipStream_tbENKUlT_T0_E_clISt17integral_constantIbLb1EEST_IbLb0EEEEDaSP_SQ_EUlSP_E0_NS1_11comp_targetILNS1_3genE8ELNS1_11target_archE1030ELNS1_3gpuE2ELNS1_3repE0EEENS1_30default_config_static_selectorELNS0_4arch9wavefront6targetE1EEEvT1_,@function
_ZN7rocprim17ROCPRIM_400000_NS6detail17trampoline_kernelINS0_14default_configENS1_20scan_config_selectorIsEEZZNS1_9scan_implILNS1_25lookback_scan_determinismE0ELb0ELb0ES3_N6thrust23THRUST_200600_302600_NS6detail15normal_iteratorINS9_10device_ptrIsEEEESE_s11max_functorIsEsEEDaPvRmT3_T4_T5_mT6_P12ihipStream_tbENKUlT_T0_E_clISt17integral_constantIbLb1EEST_IbLb0EEEEDaSP_SQ_EUlSP_E0_NS1_11comp_targetILNS1_3genE8ELNS1_11target_archE1030ELNS1_3gpuE2ELNS1_3repE0EEENS1_30default_config_static_selectorELNS0_4arch9wavefront6targetE1EEEvT1_: ; @_ZN7rocprim17ROCPRIM_400000_NS6detail17trampoline_kernelINS0_14default_configENS1_20scan_config_selectorIsEEZZNS1_9scan_implILNS1_25lookback_scan_determinismE0ELb0ELb0ES3_N6thrust23THRUST_200600_302600_NS6detail15normal_iteratorINS9_10device_ptrIsEEEESE_s11max_functorIsEsEEDaPvRmT3_T4_T5_mT6_P12ihipStream_tbENKUlT_T0_E_clISt17integral_constantIbLb1EEST_IbLb0EEEEDaSP_SQ_EUlSP_E0_NS1_11comp_targetILNS1_3genE8ELNS1_11target_archE1030ELNS1_3gpuE2ELNS1_3repE0EEENS1_30default_config_static_selectorELNS0_4arch9wavefront6targetE1EEEvT1_
; %bb.0:
	.section	.rodata,"a",@progbits
	.p2align	6, 0x0
	.amdhsa_kernel _ZN7rocprim17ROCPRIM_400000_NS6detail17trampoline_kernelINS0_14default_configENS1_20scan_config_selectorIsEEZZNS1_9scan_implILNS1_25lookback_scan_determinismE0ELb0ELb0ES3_N6thrust23THRUST_200600_302600_NS6detail15normal_iteratorINS9_10device_ptrIsEEEESE_s11max_functorIsEsEEDaPvRmT3_T4_T5_mT6_P12ihipStream_tbENKUlT_T0_E_clISt17integral_constantIbLb1EEST_IbLb0EEEEDaSP_SQ_EUlSP_E0_NS1_11comp_targetILNS1_3genE8ELNS1_11target_archE1030ELNS1_3gpuE2ELNS1_3repE0EEENS1_30default_config_static_selectorELNS0_4arch9wavefront6targetE1EEEvT1_
		.amdhsa_group_segment_fixed_size 0
		.amdhsa_private_segment_fixed_size 0
		.amdhsa_kernarg_size 32
		.amdhsa_user_sgpr_count 6
		.amdhsa_user_sgpr_private_segment_buffer 1
		.amdhsa_user_sgpr_dispatch_ptr 0
		.amdhsa_user_sgpr_queue_ptr 0
		.amdhsa_user_sgpr_kernarg_segment_ptr 1
		.amdhsa_user_sgpr_dispatch_id 0
		.amdhsa_user_sgpr_flat_scratch_init 0
		.amdhsa_user_sgpr_kernarg_preload_length 0
		.amdhsa_user_sgpr_kernarg_preload_offset 0
		.amdhsa_user_sgpr_private_segment_size 0
		.amdhsa_uses_dynamic_stack 0
		.amdhsa_system_sgpr_private_segment_wavefront_offset 0
		.amdhsa_system_sgpr_workgroup_id_x 1
		.amdhsa_system_sgpr_workgroup_id_y 0
		.amdhsa_system_sgpr_workgroup_id_z 0
		.amdhsa_system_sgpr_workgroup_info 0
		.amdhsa_system_vgpr_workitem_id 0
		.amdhsa_next_free_vgpr 1
		.amdhsa_next_free_sgpr 0
		.amdhsa_accum_offset 4
		.amdhsa_reserve_vcc 0
		.amdhsa_reserve_flat_scratch 0
		.amdhsa_float_round_mode_32 0
		.amdhsa_float_round_mode_16_64 0
		.amdhsa_float_denorm_mode_32 3
		.amdhsa_float_denorm_mode_16_64 3
		.amdhsa_dx10_clamp 1
		.amdhsa_ieee_mode 1
		.amdhsa_fp16_overflow 0
		.amdhsa_tg_split 0
		.amdhsa_exception_fp_ieee_invalid_op 0
		.amdhsa_exception_fp_denorm_src 0
		.amdhsa_exception_fp_ieee_div_zero 0
		.amdhsa_exception_fp_ieee_overflow 0
		.amdhsa_exception_fp_ieee_underflow 0
		.amdhsa_exception_fp_ieee_inexact 0
		.amdhsa_exception_int_div_zero 0
	.end_amdhsa_kernel
	.section	.text._ZN7rocprim17ROCPRIM_400000_NS6detail17trampoline_kernelINS0_14default_configENS1_20scan_config_selectorIsEEZZNS1_9scan_implILNS1_25lookback_scan_determinismE0ELb0ELb0ES3_N6thrust23THRUST_200600_302600_NS6detail15normal_iteratorINS9_10device_ptrIsEEEESE_s11max_functorIsEsEEDaPvRmT3_T4_T5_mT6_P12ihipStream_tbENKUlT_T0_E_clISt17integral_constantIbLb1EEST_IbLb0EEEEDaSP_SQ_EUlSP_E0_NS1_11comp_targetILNS1_3genE8ELNS1_11target_archE1030ELNS1_3gpuE2ELNS1_3repE0EEENS1_30default_config_static_selectorELNS0_4arch9wavefront6targetE1EEEvT1_,"axG",@progbits,_ZN7rocprim17ROCPRIM_400000_NS6detail17trampoline_kernelINS0_14default_configENS1_20scan_config_selectorIsEEZZNS1_9scan_implILNS1_25lookback_scan_determinismE0ELb0ELb0ES3_N6thrust23THRUST_200600_302600_NS6detail15normal_iteratorINS9_10device_ptrIsEEEESE_s11max_functorIsEsEEDaPvRmT3_T4_T5_mT6_P12ihipStream_tbENKUlT_T0_E_clISt17integral_constantIbLb1EEST_IbLb0EEEEDaSP_SQ_EUlSP_E0_NS1_11comp_targetILNS1_3genE8ELNS1_11target_archE1030ELNS1_3gpuE2ELNS1_3repE0EEENS1_30default_config_static_selectorELNS0_4arch9wavefront6targetE1EEEvT1_,comdat
.Lfunc_end2899:
	.size	_ZN7rocprim17ROCPRIM_400000_NS6detail17trampoline_kernelINS0_14default_configENS1_20scan_config_selectorIsEEZZNS1_9scan_implILNS1_25lookback_scan_determinismE0ELb0ELb0ES3_N6thrust23THRUST_200600_302600_NS6detail15normal_iteratorINS9_10device_ptrIsEEEESE_s11max_functorIsEsEEDaPvRmT3_T4_T5_mT6_P12ihipStream_tbENKUlT_T0_E_clISt17integral_constantIbLb1EEST_IbLb0EEEEDaSP_SQ_EUlSP_E0_NS1_11comp_targetILNS1_3genE8ELNS1_11target_archE1030ELNS1_3gpuE2ELNS1_3repE0EEENS1_30default_config_static_selectorELNS0_4arch9wavefront6targetE1EEEvT1_, .Lfunc_end2899-_ZN7rocprim17ROCPRIM_400000_NS6detail17trampoline_kernelINS0_14default_configENS1_20scan_config_selectorIsEEZZNS1_9scan_implILNS1_25lookback_scan_determinismE0ELb0ELb0ES3_N6thrust23THRUST_200600_302600_NS6detail15normal_iteratorINS9_10device_ptrIsEEEESE_s11max_functorIsEsEEDaPvRmT3_T4_T5_mT6_P12ihipStream_tbENKUlT_T0_E_clISt17integral_constantIbLb1EEST_IbLb0EEEEDaSP_SQ_EUlSP_E0_NS1_11comp_targetILNS1_3genE8ELNS1_11target_archE1030ELNS1_3gpuE2ELNS1_3repE0EEENS1_30default_config_static_selectorELNS0_4arch9wavefront6targetE1EEEvT1_
                                        ; -- End function
	.section	.AMDGPU.csdata,"",@progbits
; Kernel info:
; codeLenInByte = 0
; NumSgprs: 4
; NumVgprs: 0
; NumAgprs: 0
; TotalNumVgprs: 0
; ScratchSize: 0
; MemoryBound: 0
; FloatMode: 240
; IeeeMode: 1
; LDSByteSize: 0 bytes/workgroup (compile time only)
; SGPRBlocks: 0
; VGPRBlocks: 0
; NumSGPRsForWavesPerEU: 4
; NumVGPRsForWavesPerEU: 1
; AccumOffset: 4
; Occupancy: 8
; WaveLimiterHint : 0
; COMPUTE_PGM_RSRC2:SCRATCH_EN: 0
; COMPUTE_PGM_RSRC2:USER_SGPR: 6
; COMPUTE_PGM_RSRC2:TRAP_HANDLER: 0
; COMPUTE_PGM_RSRC2:TGID_X_EN: 1
; COMPUTE_PGM_RSRC2:TGID_Y_EN: 0
; COMPUTE_PGM_RSRC2:TGID_Z_EN: 0
; COMPUTE_PGM_RSRC2:TIDIG_COMP_CNT: 0
; COMPUTE_PGM_RSRC3_GFX90A:ACCUM_OFFSET: 0
; COMPUTE_PGM_RSRC3_GFX90A:TG_SPLIT: 0
	.section	.text._ZN7rocprim17ROCPRIM_400000_NS6detail17trampoline_kernelINS0_14default_configENS1_20scan_config_selectorIsEEZZNS1_9scan_implILNS1_25lookback_scan_determinismE0ELb0ELb0ES3_N6thrust23THRUST_200600_302600_NS6detail15normal_iteratorINS9_10device_ptrIsEEEESE_s11max_functorIsEsEEDaPvRmT3_T4_T5_mT6_P12ihipStream_tbENKUlT_T0_E_clISt17integral_constantIbLb0EEST_IbLb1EEEEDaSP_SQ_EUlSP_E_NS1_11comp_targetILNS1_3genE0ELNS1_11target_archE4294967295ELNS1_3gpuE0ELNS1_3repE0EEENS1_30default_config_static_selectorELNS0_4arch9wavefront6targetE1EEEvT1_,"axG",@progbits,_ZN7rocprim17ROCPRIM_400000_NS6detail17trampoline_kernelINS0_14default_configENS1_20scan_config_selectorIsEEZZNS1_9scan_implILNS1_25lookback_scan_determinismE0ELb0ELb0ES3_N6thrust23THRUST_200600_302600_NS6detail15normal_iteratorINS9_10device_ptrIsEEEESE_s11max_functorIsEsEEDaPvRmT3_T4_T5_mT6_P12ihipStream_tbENKUlT_T0_E_clISt17integral_constantIbLb0EEST_IbLb1EEEEDaSP_SQ_EUlSP_E_NS1_11comp_targetILNS1_3genE0ELNS1_11target_archE4294967295ELNS1_3gpuE0ELNS1_3repE0EEENS1_30default_config_static_selectorELNS0_4arch9wavefront6targetE1EEEvT1_,comdat
	.protected	_ZN7rocprim17ROCPRIM_400000_NS6detail17trampoline_kernelINS0_14default_configENS1_20scan_config_selectorIsEEZZNS1_9scan_implILNS1_25lookback_scan_determinismE0ELb0ELb0ES3_N6thrust23THRUST_200600_302600_NS6detail15normal_iteratorINS9_10device_ptrIsEEEESE_s11max_functorIsEsEEDaPvRmT3_T4_T5_mT6_P12ihipStream_tbENKUlT_T0_E_clISt17integral_constantIbLb0EEST_IbLb1EEEEDaSP_SQ_EUlSP_E_NS1_11comp_targetILNS1_3genE0ELNS1_11target_archE4294967295ELNS1_3gpuE0ELNS1_3repE0EEENS1_30default_config_static_selectorELNS0_4arch9wavefront6targetE1EEEvT1_ ; -- Begin function _ZN7rocprim17ROCPRIM_400000_NS6detail17trampoline_kernelINS0_14default_configENS1_20scan_config_selectorIsEEZZNS1_9scan_implILNS1_25lookback_scan_determinismE0ELb0ELb0ES3_N6thrust23THRUST_200600_302600_NS6detail15normal_iteratorINS9_10device_ptrIsEEEESE_s11max_functorIsEsEEDaPvRmT3_T4_T5_mT6_P12ihipStream_tbENKUlT_T0_E_clISt17integral_constantIbLb0EEST_IbLb1EEEEDaSP_SQ_EUlSP_E_NS1_11comp_targetILNS1_3genE0ELNS1_11target_archE4294967295ELNS1_3gpuE0ELNS1_3repE0EEENS1_30default_config_static_selectorELNS0_4arch9wavefront6targetE1EEEvT1_
	.globl	_ZN7rocprim17ROCPRIM_400000_NS6detail17trampoline_kernelINS0_14default_configENS1_20scan_config_selectorIsEEZZNS1_9scan_implILNS1_25lookback_scan_determinismE0ELb0ELb0ES3_N6thrust23THRUST_200600_302600_NS6detail15normal_iteratorINS9_10device_ptrIsEEEESE_s11max_functorIsEsEEDaPvRmT3_T4_T5_mT6_P12ihipStream_tbENKUlT_T0_E_clISt17integral_constantIbLb0EEST_IbLb1EEEEDaSP_SQ_EUlSP_E_NS1_11comp_targetILNS1_3genE0ELNS1_11target_archE4294967295ELNS1_3gpuE0ELNS1_3repE0EEENS1_30default_config_static_selectorELNS0_4arch9wavefront6targetE1EEEvT1_
	.p2align	8
	.type	_ZN7rocprim17ROCPRIM_400000_NS6detail17trampoline_kernelINS0_14default_configENS1_20scan_config_selectorIsEEZZNS1_9scan_implILNS1_25lookback_scan_determinismE0ELb0ELb0ES3_N6thrust23THRUST_200600_302600_NS6detail15normal_iteratorINS9_10device_ptrIsEEEESE_s11max_functorIsEsEEDaPvRmT3_T4_T5_mT6_P12ihipStream_tbENKUlT_T0_E_clISt17integral_constantIbLb0EEST_IbLb1EEEEDaSP_SQ_EUlSP_E_NS1_11comp_targetILNS1_3genE0ELNS1_11target_archE4294967295ELNS1_3gpuE0ELNS1_3repE0EEENS1_30default_config_static_selectorELNS0_4arch9wavefront6targetE1EEEvT1_,@function
_ZN7rocprim17ROCPRIM_400000_NS6detail17trampoline_kernelINS0_14default_configENS1_20scan_config_selectorIsEEZZNS1_9scan_implILNS1_25lookback_scan_determinismE0ELb0ELb0ES3_N6thrust23THRUST_200600_302600_NS6detail15normal_iteratorINS9_10device_ptrIsEEEESE_s11max_functorIsEsEEDaPvRmT3_T4_T5_mT6_P12ihipStream_tbENKUlT_T0_E_clISt17integral_constantIbLb0EEST_IbLb1EEEEDaSP_SQ_EUlSP_E_NS1_11comp_targetILNS1_3genE0ELNS1_11target_archE4294967295ELNS1_3gpuE0ELNS1_3repE0EEENS1_30default_config_static_selectorELNS0_4arch9wavefront6targetE1EEEvT1_: ; @_ZN7rocprim17ROCPRIM_400000_NS6detail17trampoline_kernelINS0_14default_configENS1_20scan_config_selectorIsEEZZNS1_9scan_implILNS1_25lookback_scan_determinismE0ELb0ELb0ES3_N6thrust23THRUST_200600_302600_NS6detail15normal_iteratorINS9_10device_ptrIsEEEESE_s11max_functorIsEsEEDaPvRmT3_T4_T5_mT6_P12ihipStream_tbENKUlT_T0_E_clISt17integral_constantIbLb0EEST_IbLb1EEEEDaSP_SQ_EUlSP_E_NS1_11comp_targetILNS1_3genE0ELNS1_11target_archE4294967295ELNS1_3gpuE0ELNS1_3repE0EEENS1_30default_config_static_selectorELNS0_4arch9wavefront6targetE1EEEvT1_
; %bb.0:
	.section	.rodata,"a",@progbits
	.p2align	6, 0x0
	.amdhsa_kernel _ZN7rocprim17ROCPRIM_400000_NS6detail17trampoline_kernelINS0_14default_configENS1_20scan_config_selectorIsEEZZNS1_9scan_implILNS1_25lookback_scan_determinismE0ELb0ELb0ES3_N6thrust23THRUST_200600_302600_NS6detail15normal_iteratorINS9_10device_ptrIsEEEESE_s11max_functorIsEsEEDaPvRmT3_T4_T5_mT6_P12ihipStream_tbENKUlT_T0_E_clISt17integral_constantIbLb0EEST_IbLb1EEEEDaSP_SQ_EUlSP_E_NS1_11comp_targetILNS1_3genE0ELNS1_11target_archE4294967295ELNS1_3gpuE0ELNS1_3repE0EEENS1_30default_config_static_selectorELNS0_4arch9wavefront6targetE1EEEvT1_
		.amdhsa_group_segment_fixed_size 0
		.amdhsa_private_segment_fixed_size 0
		.amdhsa_kernarg_size 96
		.amdhsa_user_sgpr_count 6
		.amdhsa_user_sgpr_private_segment_buffer 1
		.amdhsa_user_sgpr_dispatch_ptr 0
		.amdhsa_user_sgpr_queue_ptr 0
		.amdhsa_user_sgpr_kernarg_segment_ptr 1
		.amdhsa_user_sgpr_dispatch_id 0
		.amdhsa_user_sgpr_flat_scratch_init 0
		.amdhsa_user_sgpr_kernarg_preload_length 0
		.amdhsa_user_sgpr_kernarg_preload_offset 0
		.amdhsa_user_sgpr_private_segment_size 0
		.amdhsa_uses_dynamic_stack 0
		.amdhsa_system_sgpr_private_segment_wavefront_offset 0
		.amdhsa_system_sgpr_workgroup_id_x 1
		.amdhsa_system_sgpr_workgroup_id_y 0
		.amdhsa_system_sgpr_workgroup_id_z 0
		.amdhsa_system_sgpr_workgroup_info 0
		.amdhsa_system_vgpr_workitem_id 0
		.amdhsa_next_free_vgpr 1
		.amdhsa_next_free_sgpr 0
		.amdhsa_accum_offset 4
		.amdhsa_reserve_vcc 0
		.amdhsa_reserve_flat_scratch 0
		.amdhsa_float_round_mode_32 0
		.amdhsa_float_round_mode_16_64 0
		.amdhsa_float_denorm_mode_32 3
		.amdhsa_float_denorm_mode_16_64 3
		.amdhsa_dx10_clamp 1
		.amdhsa_ieee_mode 1
		.amdhsa_fp16_overflow 0
		.amdhsa_tg_split 0
		.amdhsa_exception_fp_ieee_invalid_op 0
		.amdhsa_exception_fp_denorm_src 0
		.amdhsa_exception_fp_ieee_div_zero 0
		.amdhsa_exception_fp_ieee_overflow 0
		.amdhsa_exception_fp_ieee_underflow 0
		.amdhsa_exception_fp_ieee_inexact 0
		.amdhsa_exception_int_div_zero 0
	.end_amdhsa_kernel
	.section	.text._ZN7rocprim17ROCPRIM_400000_NS6detail17trampoline_kernelINS0_14default_configENS1_20scan_config_selectorIsEEZZNS1_9scan_implILNS1_25lookback_scan_determinismE0ELb0ELb0ES3_N6thrust23THRUST_200600_302600_NS6detail15normal_iteratorINS9_10device_ptrIsEEEESE_s11max_functorIsEsEEDaPvRmT3_T4_T5_mT6_P12ihipStream_tbENKUlT_T0_E_clISt17integral_constantIbLb0EEST_IbLb1EEEEDaSP_SQ_EUlSP_E_NS1_11comp_targetILNS1_3genE0ELNS1_11target_archE4294967295ELNS1_3gpuE0ELNS1_3repE0EEENS1_30default_config_static_selectorELNS0_4arch9wavefront6targetE1EEEvT1_,"axG",@progbits,_ZN7rocprim17ROCPRIM_400000_NS6detail17trampoline_kernelINS0_14default_configENS1_20scan_config_selectorIsEEZZNS1_9scan_implILNS1_25lookback_scan_determinismE0ELb0ELb0ES3_N6thrust23THRUST_200600_302600_NS6detail15normal_iteratorINS9_10device_ptrIsEEEESE_s11max_functorIsEsEEDaPvRmT3_T4_T5_mT6_P12ihipStream_tbENKUlT_T0_E_clISt17integral_constantIbLb0EEST_IbLb1EEEEDaSP_SQ_EUlSP_E_NS1_11comp_targetILNS1_3genE0ELNS1_11target_archE4294967295ELNS1_3gpuE0ELNS1_3repE0EEENS1_30default_config_static_selectorELNS0_4arch9wavefront6targetE1EEEvT1_,comdat
.Lfunc_end2900:
	.size	_ZN7rocprim17ROCPRIM_400000_NS6detail17trampoline_kernelINS0_14default_configENS1_20scan_config_selectorIsEEZZNS1_9scan_implILNS1_25lookback_scan_determinismE0ELb0ELb0ES3_N6thrust23THRUST_200600_302600_NS6detail15normal_iteratorINS9_10device_ptrIsEEEESE_s11max_functorIsEsEEDaPvRmT3_T4_T5_mT6_P12ihipStream_tbENKUlT_T0_E_clISt17integral_constantIbLb0EEST_IbLb1EEEEDaSP_SQ_EUlSP_E_NS1_11comp_targetILNS1_3genE0ELNS1_11target_archE4294967295ELNS1_3gpuE0ELNS1_3repE0EEENS1_30default_config_static_selectorELNS0_4arch9wavefront6targetE1EEEvT1_, .Lfunc_end2900-_ZN7rocprim17ROCPRIM_400000_NS6detail17trampoline_kernelINS0_14default_configENS1_20scan_config_selectorIsEEZZNS1_9scan_implILNS1_25lookback_scan_determinismE0ELb0ELb0ES3_N6thrust23THRUST_200600_302600_NS6detail15normal_iteratorINS9_10device_ptrIsEEEESE_s11max_functorIsEsEEDaPvRmT3_T4_T5_mT6_P12ihipStream_tbENKUlT_T0_E_clISt17integral_constantIbLb0EEST_IbLb1EEEEDaSP_SQ_EUlSP_E_NS1_11comp_targetILNS1_3genE0ELNS1_11target_archE4294967295ELNS1_3gpuE0ELNS1_3repE0EEENS1_30default_config_static_selectorELNS0_4arch9wavefront6targetE1EEEvT1_
                                        ; -- End function
	.section	.AMDGPU.csdata,"",@progbits
; Kernel info:
; codeLenInByte = 0
; NumSgprs: 4
; NumVgprs: 0
; NumAgprs: 0
; TotalNumVgprs: 0
; ScratchSize: 0
; MemoryBound: 0
; FloatMode: 240
; IeeeMode: 1
; LDSByteSize: 0 bytes/workgroup (compile time only)
; SGPRBlocks: 0
; VGPRBlocks: 0
; NumSGPRsForWavesPerEU: 4
; NumVGPRsForWavesPerEU: 1
; AccumOffset: 4
; Occupancy: 8
; WaveLimiterHint : 0
; COMPUTE_PGM_RSRC2:SCRATCH_EN: 0
; COMPUTE_PGM_RSRC2:USER_SGPR: 6
; COMPUTE_PGM_RSRC2:TRAP_HANDLER: 0
; COMPUTE_PGM_RSRC2:TGID_X_EN: 1
; COMPUTE_PGM_RSRC2:TGID_Y_EN: 0
; COMPUTE_PGM_RSRC2:TGID_Z_EN: 0
; COMPUTE_PGM_RSRC2:TIDIG_COMP_CNT: 0
; COMPUTE_PGM_RSRC3_GFX90A:ACCUM_OFFSET: 0
; COMPUTE_PGM_RSRC3_GFX90A:TG_SPLIT: 0
	.section	.text._ZN7rocprim17ROCPRIM_400000_NS6detail17trampoline_kernelINS0_14default_configENS1_20scan_config_selectorIsEEZZNS1_9scan_implILNS1_25lookback_scan_determinismE0ELb0ELb0ES3_N6thrust23THRUST_200600_302600_NS6detail15normal_iteratorINS9_10device_ptrIsEEEESE_s11max_functorIsEsEEDaPvRmT3_T4_T5_mT6_P12ihipStream_tbENKUlT_T0_E_clISt17integral_constantIbLb0EEST_IbLb1EEEEDaSP_SQ_EUlSP_E_NS1_11comp_targetILNS1_3genE5ELNS1_11target_archE942ELNS1_3gpuE9ELNS1_3repE0EEENS1_30default_config_static_selectorELNS0_4arch9wavefront6targetE1EEEvT1_,"axG",@progbits,_ZN7rocprim17ROCPRIM_400000_NS6detail17trampoline_kernelINS0_14default_configENS1_20scan_config_selectorIsEEZZNS1_9scan_implILNS1_25lookback_scan_determinismE0ELb0ELb0ES3_N6thrust23THRUST_200600_302600_NS6detail15normal_iteratorINS9_10device_ptrIsEEEESE_s11max_functorIsEsEEDaPvRmT3_T4_T5_mT6_P12ihipStream_tbENKUlT_T0_E_clISt17integral_constantIbLb0EEST_IbLb1EEEEDaSP_SQ_EUlSP_E_NS1_11comp_targetILNS1_3genE5ELNS1_11target_archE942ELNS1_3gpuE9ELNS1_3repE0EEENS1_30default_config_static_selectorELNS0_4arch9wavefront6targetE1EEEvT1_,comdat
	.protected	_ZN7rocprim17ROCPRIM_400000_NS6detail17trampoline_kernelINS0_14default_configENS1_20scan_config_selectorIsEEZZNS1_9scan_implILNS1_25lookback_scan_determinismE0ELb0ELb0ES3_N6thrust23THRUST_200600_302600_NS6detail15normal_iteratorINS9_10device_ptrIsEEEESE_s11max_functorIsEsEEDaPvRmT3_T4_T5_mT6_P12ihipStream_tbENKUlT_T0_E_clISt17integral_constantIbLb0EEST_IbLb1EEEEDaSP_SQ_EUlSP_E_NS1_11comp_targetILNS1_3genE5ELNS1_11target_archE942ELNS1_3gpuE9ELNS1_3repE0EEENS1_30default_config_static_selectorELNS0_4arch9wavefront6targetE1EEEvT1_ ; -- Begin function _ZN7rocprim17ROCPRIM_400000_NS6detail17trampoline_kernelINS0_14default_configENS1_20scan_config_selectorIsEEZZNS1_9scan_implILNS1_25lookback_scan_determinismE0ELb0ELb0ES3_N6thrust23THRUST_200600_302600_NS6detail15normal_iteratorINS9_10device_ptrIsEEEESE_s11max_functorIsEsEEDaPvRmT3_T4_T5_mT6_P12ihipStream_tbENKUlT_T0_E_clISt17integral_constantIbLb0EEST_IbLb1EEEEDaSP_SQ_EUlSP_E_NS1_11comp_targetILNS1_3genE5ELNS1_11target_archE942ELNS1_3gpuE9ELNS1_3repE0EEENS1_30default_config_static_selectorELNS0_4arch9wavefront6targetE1EEEvT1_
	.globl	_ZN7rocprim17ROCPRIM_400000_NS6detail17trampoline_kernelINS0_14default_configENS1_20scan_config_selectorIsEEZZNS1_9scan_implILNS1_25lookback_scan_determinismE0ELb0ELb0ES3_N6thrust23THRUST_200600_302600_NS6detail15normal_iteratorINS9_10device_ptrIsEEEESE_s11max_functorIsEsEEDaPvRmT3_T4_T5_mT6_P12ihipStream_tbENKUlT_T0_E_clISt17integral_constantIbLb0EEST_IbLb1EEEEDaSP_SQ_EUlSP_E_NS1_11comp_targetILNS1_3genE5ELNS1_11target_archE942ELNS1_3gpuE9ELNS1_3repE0EEENS1_30default_config_static_selectorELNS0_4arch9wavefront6targetE1EEEvT1_
	.p2align	8
	.type	_ZN7rocprim17ROCPRIM_400000_NS6detail17trampoline_kernelINS0_14default_configENS1_20scan_config_selectorIsEEZZNS1_9scan_implILNS1_25lookback_scan_determinismE0ELb0ELb0ES3_N6thrust23THRUST_200600_302600_NS6detail15normal_iteratorINS9_10device_ptrIsEEEESE_s11max_functorIsEsEEDaPvRmT3_T4_T5_mT6_P12ihipStream_tbENKUlT_T0_E_clISt17integral_constantIbLb0EEST_IbLb1EEEEDaSP_SQ_EUlSP_E_NS1_11comp_targetILNS1_3genE5ELNS1_11target_archE942ELNS1_3gpuE9ELNS1_3repE0EEENS1_30default_config_static_selectorELNS0_4arch9wavefront6targetE1EEEvT1_,@function
_ZN7rocprim17ROCPRIM_400000_NS6detail17trampoline_kernelINS0_14default_configENS1_20scan_config_selectorIsEEZZNS1_9scan_implILNS1_25lookback_scan_determinismE0ELb0ELb0ES3_N6thrust23THRUST_200600_302600_NS6detail15normal_iteratorINS9_10device_ptrIsEEEESE_s11max_functorIsEsEEDaPvRmT3_T4_T5_mT6_P12ihipStream_tbENKUlT_T0_E_clISt17integral_constantIbLb0EEST_IbLb1EEEEDaSP_SQ_EUlSP_E_NS1_11comp_targetILNS1_3genE5ELNS1_11target_archE942ELNS1_3gpuE9ELNS1_3repE0EEENS1_30default_config_static_selectorELNS0_4arch9wavefront6targetE1EEEvT1_: ; @_ZN7rocprim17ROCPRIM_400000_NS6detail17trampoline_kernelINS0_14default_configENS1_20scan_config_selectorIsEEZZNS1_9scan_implILNS1_25lookback_scan_determinismE0ELb0ELb0ES3_N6thrust23THRUST_200600_302600_NS6detail15normal_iteratorINS9_10device_ptrIsEEEESE_s11max_functorIsEsEEDaPvRmT3_T4_T5_mT6_P12ihipStream_tbENKUlT_T0_E_clISt17integral_constantIbLb0EEST_IbLb1EEEEDaSP_SQ_EUlSP_E_NS1_11comp_targetILNS1_3genE5ELNS1_11target_archE942ELNS1_3gpuE9ELNS1_3repE0EEENS1_30default_config_static_selectorELNS0_4arch9wavefront6targetE1EEEvT1_
; %bb.0:
	.section	.rodata,"a",@progbits
	.p2align	6, 0x0
	.amdhsa_kernel _ZN7rocprim17ROCPRIM_400000_NS6detail17trampoline_kernelINS0_14default_configENS1_20scan_config_selectorIsEEZZNS1_9scan_implILNS1_25lookback_scan_determinismE0ELb0ELb0ES3_N6thrust23THRUST_200600_302600_NS6detail15normal_iteratorINS9_10device_ptrIsEEEESE_s11max_functorIsEsEEDaPvRmT3_T4_T5_mT6_P12ihipStream_tbENKUlT_T0_E_clISt17integral_constantIbLb0EEST_IbLb1EEEEDaSP_SQ_EUlSP_E_NS1_11comp_targetILNS1_3genE5ELNS1_11target_archE942ELNS1_3gpuE9ELNS1_3repE0EEENS1_30default_config_static_selectorELNS0_4arch9wavefront6targetE1EEEvT1_
		.amdhsa_group_segment_fixed_size 0
		.amdhsa_private_segment_fixed_size 0
		.amdhsa_kernarg_size 96
		.amdhsa_user_sgpr_count 6
		.amdhsa_user_sgpr_private_segment_buffer 1
		.amdhsa_user_sgpr_dispatch_ptr 0
		.amdhsa_user_sgpr_queue_ptr 0
		.amdhsa_user_sgpr_kernarg_segment_ptr 1
		.amdhsa_user_sgpr_dispatch_id 0
		.amdhsa_user_sgpr_flat_scratch_init 0
		.amdhsa_user_sgpr_kernarg_preload_length 0
		.amdhsa_user_sgpr_kernarg_preload_offset 0
		.amdhsa_user_sgpr_private_segment_size 0
		.amdhsa_uses_dynamic_stack 0
		.amdhsa_system_sgpr_private_segment_wavefront_offset 0
		.amdhsa_system_sgpr_workgroup_id_x 1
		.amdhsa_system_sgpr_workgroup_id_y 0
		.amdhsa_system_sgpr_workgroup_id_z 0
		.amdhsa_system_sgpr_workgroup_info 0
		.amdhsa_system_vgpr_workitem_id 0
		.amdhsa_next_free_vgpr 1
		.amdhsa_next_free_sgpr 0
		.amdhsa_accum_offset 4
		.amdhsa_reserve_vcc 0
		.amdhsa_reserve_flat_scratch 0
		.amdhsa_float_round_mode_32 0
		.amdhsa_float_round_mode_16_64 0
		.amdhsa_float_denorm_mode_32 3
		.amdhsa_float_denorm_mode_16_64 3
		.amdhsa_dx10_clamp 1
		.amdhsa_ieee_mode 1
		.amdhsa_fp16_overflow 0
		.amdhsa_tg_split 0
		.amdhsa_exception_fp_ieee_invalid_op 0
		.amdhsa_exception_fp_denorm_src 0
		.amdhsa_exception_fp_ieee_div_zero 0
		.amdhsa_exception_fp_ieee_overflow 0
		.amdhsa_exception_fp_ieee_underflow 0
		.amdhsa_exception_fp_ieee_inexact 0
		.amdhsa_exception_int_div_zero 0
	.end_amdhsa_kernel
	.section	.text._ZN7rocprim17ROCPRIM_400000_NS6detail17trampoline_kernelINS0_14default_configENS1_20scan_config_selectorIsEEZZNS1_9scan_implILNS1_25lookback_scan_determinismE0ELb0ELb0ES3_N6thrust23THRUST_200600_302600_NS6detail15normal_iteratorINS9_10device_ptrIsEEEESE_s11max_functorIsEsEEDaPvRmT3_T4_T5_mT6_P12ihipStream_tbENKUlT_T0_E_clISt17integral_constantIbLb0EEST_IbLb1EEEEDaSP_SQ_EUlSP_E_NS1_11comp_targetILNS1_3genE5ELNS1_11target_archE942ELNS1_3gpuE9ELNS1_3repE0EEENS1_30default_config_static_selectorELNS0_4arch9wavefront6targetE1EEEvT1_,"axG",@progbits,_ZN7rocprim17ROCPRIM_400000_NS6detail17trampoline_kernelINS0_14default_configENS1_20scan_config_selectorIsEEZZNS1_9scan_implILNS1_25lookback_scan_determinismE0ELb0ELb0ES3_N6thrust23THRUST_200600_302600_NS6detail15normal_iteratorINS9_10device_ptrIsEEEESE_s11max_functorIsEsEEDaPvRmT3_T4_T5_mT6_P12ihipStream_tbENKUlT_T0_E_clISt17integral_constantIbLb0EEST_IbLb1EEEEDaSP_SQ_EUlSP_E_NS1_11comp_targetILNS1_3genE5ELNS1_11target_archE942ELNS1_3gpuE9ELNS1_3repE0EEENS1_30default_config_static_selectorELNS0_4arch9wavefront6targetE1EEEvT1_,comdat
.Lfunc_end2901:
	.size	_ZN7rocprim17ROCPRIM_400000_NS6detail17trampoline_kernelINS0_14default_configENS1_20scan_config_selectorIsEEZZNS1_9scan_implILNS1_25lookback_scan_determinismE0ELb0ELb0ES3_N6thrust23THRUST_200600_302600_NS6detail15normal_iteratorINS9_10device_ptrIsEEEESE_s11max_functorIsEsEEDaPvRmT3_T4_T5_mT6_P12ihipStream_tbENKUlT_T0_E_clISt17integral_constantIbLb0EEST_IbLb1EEEEDaSP_SQ_EUlSP_E_NS1_11comp_targetILNS1_3genE5ELNS1_11target_archE942ELNS1_3gpuE9ELNS1_3repE0EEENS1_30default_config_static_selectorELNS0_4arch9wavefront6targetE1EEEvT1_, .Lfunc_end2901-_ZN7rocprim17ROCPRIM_400000_NS6detail17trampoline_kernelINS0_14default_configENS1_20scan_config_selectorIsEEZZNS1_9scan_implILNS1_25lookback_scan_determinismE0ELb0ELb0ES3_N6thrust23THRUST_200600_302600_NS6detail15normal_iteratorINS9_10device_ptrIsEEEESE_s11max_functorIsEsEEDaPvRmT3_T4_T5_mT6_P12ihipStream_tbENKUlT_T0_E_clISt17integral_constantIbLb0EEST_IbLb1EEEEDaSP_SQ_EUlSP_E_NS1_11comp_targetILNS1_3genE5ELNS1_11target_archE942ELNS1_3gpuE9ELNS1_3repE0EEENS1_30default_config_static_selectorELNS0_4arch9wavefront6targetE1EEEvT1_
                                        ; -- End function
	.section	.AMDGPU.csdata,"",@progbits
; Kernel info:
; codeLenInByte = 0
; NumSgprs: 4
; NumVgprs: 0
; NumAgprs: 0
; TotalNumVgprs: 0
; ScratchSize: 0
; MemoryBound: 0
; FloatMode: 240
; IeeeMode: 1
; LDSByteSize: 0 bytes/workgroup (compile time only)
; SGPRBlocks: 0
; VGPRBlocks: 0
; NumSGPRsForWavesPerEU: 4
; NumVGPRsForWavesPerEU: 1
; AccumOffset: 4
; Occupancy: 8
; WaveLimiterHint : 0
; COMPUTE_PGM_RSRC2:SCRATCH_EN: 0
; COMPUTE_PGM_RSRC2:USER_SGPR: 6
; COMPUTE_PGM_RSRC2:TRAP_HANDLER: 0
; COMPUTE_PGM_RSRC2:TGID_X_EN: 1
; COMPUTE_PGM_RSRC2:TGID_Y_EN: 0
; COMPUTE_PGM_RSRC2:TGID_Z_EN: 0
; COMPUTE_PGM_RSRC2:TIDIG_COMP_CNT: 0
; COMPUTE_PGM_RSRC3_GFX90A:ACCUM_OFFSET: 0
; COMPUTE_PGM_RSRC3_GFX90A:TG_SPLIT: 0
	.section	.text._ZN7rocprim17ROCPRIM_400000_NS6detail17trampoline_kernelINS0_14default_configENS1_20scan_config_selectorIsEEZZNS1_9scan_implILNS1_25lookback_scan_determinismE0ELb0ELb0ES3_N6thrust23THRUST_200600_302600_NS6detail15normal_iteratorINS9_10device_ptrIsEEEESE_s11max_functorIsEsEEDaPvRmT3_T4_T5_mT6_P12ihipStream_tbENKUlT_T0_E_clISt17integral_constantIbLb0EEST_IbLb1EEEEDaSP_SQ_EUlSP_E_NS1_11comp_targetILNS1_3genE4ELNS1_11target_archE910ELNS1_3gpuE8ELNS1_3repE0EEENS1_30default_config_static_selectorELNS0_4arch9wavefront6targetE1EEEvT1_,"axG",@progbits,_ZN7rocprim17ROCPRIM_400000_NS6detail17trampoline_kernelINS0_14default_configENS1_20scan_config_selectorIsEEZZNS1_9scan_implILNS1_25lookback_scan_determinismE0ELb0ELb0ES3_N6thrust23THRUST_200600_302600_NS6detail15normal_iteratorINS9_10device_ptrIsEEEESE_s11max_functorIsEsEEDaPvRmT3_T4_T5_mT6_P12ihipStream_tbENKUlT_T0_E_clISt17integral_constantIbLb0EEST_IbLb1EEEEDaSP_SQ_EUlSP_E_NS1_11comp_targetILNS1_3genE4ELNS1_11target_archE910ELNS1_3gpuE8ELNS1_3repE0EEENS1_30default_config_static_selectorELNS0_4arch9wavefront6targetE1EEEvT1_,comdat
	.protected	_ZN7rocprim17ROCPRIM_400000_NS6detail17trampoline_kernelINS0_14default_configENS1_20scan_config_selectorIsEEZZNS1_9scan_implILNS1_25lookback_scan_determinismE0ELb0ELb0ES3_N6thrust23THRUST_200600_302600_NS6detail15normal_iteratorINS9_10device_ptrIsEEEESE_s11max_functorIsEsEEDaPvRmT3_T4_T5_mT6_P12ihipStream_tbENKUlT_T0_E_clISt17integral_constantIbLb0EEST_IbLb1EEEEDaSP_SQ_EUlSP_E_NS1_11comp_targetILNS1_3genE4ELNS1_11target_archE910ELNS1_3gpuE8ELNS1_3repE0EEENS1_30default_config_static_selectorELNS0_4arch9wavefront6targetE1EEEvT1_ ; -- Begin function _ZN7rocprim17ROCPRIM_400000_NS6detail17trampoline_kernelINS0_14default_configENS1_20scan_config_selectorIsEEZZNS1_9scan_implILNS1_25lookback_scan_determinismE0ELb0ELb0ES3_N6thrust23THRUST_200600_302600_NS6detail15normal_iteratorINS9_10device_ptrIsEEEESE_s11max_functorIsEsEEDaPvRmT3_T4_T5_mT6_P12ihipStream_tbENKUlT_T0_E_clISt17integral_constantIbLb0EEST_IbLb1EEEEDaSP_SQ_EUlSP_E_NS1_11comp_targetILNS1_3genE4ELNS1_11target_archE910ELNS1_3gpuE8ELNS1_3repE0EEENS1_30default_config_static_selectorELNS0_4arch9wavefront6targetE1EEEvT1_
	.globl	_ZN7rocprim17ROCPRIM_400000_NS6detail17trampoline_kernelINS0_14default_configENS1_20scan_config_selectorIsEEZZNS1_9scan_implILNS1_25lookback_scan_determinismE0ELb0ELb0ES3_N6thrust23THRUST_200600_302600_NS6detail15normal_iteratorINS9_10device_ptrIsEEEESE_s11max_functorIsEsEEDaPvRmT3_T4_T5_mT6_P12ihipStream_tbENKUlT_T0_E_clISt17integral_constantIbLb0EEST_IbLb1EEEEDaSP_SQ_EUlSP_E_NS1_11comp_targetILNS1_3genE4ELNS1_11target_archE910ELNS1_3gpuE8ELNS1_3repE0EEENS1_30default_config_static_selectorELNS0_4arch9wavefront6targetE1EEEvT1_
	.p2align	8
	.type	_ZN7rocprim17ROCPRIM_400000_NS6detail17trampoline_kernelINS0_14default_configENS1_20scan_config_selectorIsEEZZNS1_9scan_implILNS1_25lookback_scan_determinismE0ELb0ELb0ES3_N6thrust23THRUST_200600_302600_NS6detail15normal_iteratorINS9_10device_ptrIsEEEESE_s11max_functorIsEsEEDaPvRmT3_T4_T5_mT6_P12ihipStream_tbENKUlT_T0_E_clISt17integral_constantIbLb0EEST_IbLb1EEEEDaSP_SQ_EUlSP_E_NS1_11comp_targetILNS1_3genE4ELNS1_11target_archE910ELNS1_3gpuE8ELNS1_3repE0EEENS1_30default_config_static_selectorELNS0_4arch9wavefront6targetE1EEEvT1_,@function
_ZN7rocprim17ROCPRIM_400000_NS6detail17trampoline_kernelINS0_14default_configENS1_20scan_config_selectorIsEEZZNS1_9scan_implILNS1_25lookback_scan_determinismE0ELb0ELb0ES3_N6thrust23THRUST_200600_302600_NS6detail15normal_iteratorINS9_10device_ptrIsEEEESE_s11max_functorIsEsEEDaPvRmT3_T4_T5_mT6_P12ihipStream_tbENKUlT_T0_E_clISt17integral_constantIbLb0EEST_IbLb1EEEEDaSP_SQ_EUlSP_E_NS1_11comp_targetILNS1_3genE4ELNS1_11target_archE910ELNS1_3gpuE8ELNS1_3repE0EEENS1_30default_config_static_selectorELNS0_4arch9wavefront6targetE1EEEvT1_: ; @_ZN7rocprim17ROCPRIM_400000_NS6detail17trampoline_kernelINS0_14default_configENS1_20scan_config_selectorIsEEZZNS1_9scan_implILNS1_25lookback_scan_determinismE0ELb0ELb0ES3_N6thrust23THRUST_200600_302600_NS6detail15normal_iteratorINS9_10device_ptrIsEEEESE_s11max_functorIsEsEEDaPvRmT3_T4_T5_mT6_P12ihipStream_tbENKUlT_T0_E_clISt17integral_constantIbLb0EEST_IbLb1EEEEDaSP_SQ_EUlSP_E_NS1_11comp_targetILNS1_3genE4ELNS1_11target_archE910ELNS1_3gpuE8ELNS1_3repE0EEENS1_30default_config_static_selectorELNS0_4arch9wavefront6targetE1EEEvT1_
; %bb.0:
	s_load_dwordx2 s[34:35], s[4:5], 0x28
	v_cmp_ne_u32_e64 s[0:1], 0, v0
	v_cmp_eq_u32_e64 s[2:3], 0, v0
	s_and_saveexec_b64 s[6:7], s[2:3]
	s_cbranch_execz .LBB2902_4
; %bb.1:
	s_mov_b64 s[10:11], exec
	v_mbcnt_lo_u32_b32 v1, s10, 0
	v_mbcnt_hi_u32_b32 v1, s11, v1
	v_cmp_eq_u32_e32 vcc, 0, v1
                                        ; implicit-def: $vgpr2
	s_and_saveexec_b64 s[8:9], vcc
	s_cbranch_execz .LBB2902_3
; %bb.2:
	s_load_dwordx2 s[12:13], s[4:5], 0x58
	s_bcnt1_i32_b64 s10, s[10:11]
	v_mov_b32_e32 v2, 0
	v_mov_b32_e32 v3, s10
	s_waitcnt lgkmcnt(0)
	global_atomic_add v2, v2, v3, s[12:13] glc
.LBB2902_3:
	s_or_b64 exec, exec, s[8:9]
	s_waitcnt vmcnt(0)
	v_readfirstlane_b32 s8, v2
	v_add_u32_e32 v1, s8, v1
	v_mov_b32_e32 v2, 0
	ds_write_b32 v2, v1
.LBB2902_4:
	s_or_b64 exec, exec, s[6:7]
	s_load_dwordx8 s[24:31], s[4:5], 0x0
	s_load_dword s6, s[4:5], 0x30
	s_load_dwordx8 s[16:23], s[4:5], 0x38
	v_mov_b32_e32 v1, 0
	s_waitcnt lgkmcnt(0)
	; wave barrier
	s_waitcnt lgkmcnt(0)
	ds_read_b32 v1, v1
	s_lshl_b64 s[14:15], s[26:27], 1
	s_add_u32 s7, s24, s14
	s_addc_u32 s8, s25, s15
	s_add_i32 s6, s6, -1
	s_mul_i32 s9, s6, 0x600
	s_sub_u32 s33, s30, s9
	s_waitcnt lgkmcnt(0)
	v_readfirstlane_b32 s37, v1
	s_subb_u32 s36, s31, 0
	s_mul_i32 s4, s37, 0x600
	s_mov_b32 s5, 0
	s_cmp_lg_u32 s37, s6
	s_cselect_b64 s[24:25], -1, 0
	s_lshl_b64 s[26:27], s[4:5], 1
	s_add_u32 s6, s7, s26
	s_addc_u32 s7, s8, s27
	s_mov_b64 s[4:5], -1
	s_and_b64 vcc, exec, s[24:25]
	v_lshlrev_b32_e32 v20, 1, v0
	s_waitcnt lgkmcnt(0)
	; wave barrier
	s_cbranch_vccz .LBB2902_6
; %bb.5:
	v_mov_b32_e32 v1, s7
	v_add_co_u32_e32 v2, vcc, s6, v20
	v_addc_co_u32_e32 v3, vcc, 0, v1, vcc
	flat_load_ushort v1, v[2:3]
	flat_load_ushort v4, v[2:3] offset:128
	flat_load_ushort v5, v[2:3] offset:256
	;; [unrolled: 1-line block ×23, first 2 shown]
	s_mov_b64 s[4:5], 0
	s_waitcnt vmcnt(0) lgkmcnt(0)
	ds_write_b16 v20, v1
	ds_write_b16 v20, v4 offset:128
	ds_write_b16 v20, v5 offset:256
	;; [unrolled: 1-line block ×23, first 2 shown]
	s_waitcnt lgkmcnt(0)
	; wave barrier
.LBB2902_6:
	s_andn2_b64 vcc, exec, s[4:5]
	v_cmp_gt_u32_e64 s[4:5], s33, v0
	s_cbranch_vccnz .LBB2902_56
; %bb.7:
	v_pk_mov_b32 v[2:3], s[6:7], s[6:7] op_sel:[0,1]
	flat_load_ushort v1, v[2:3]
	s_waitcnt vmcnt(0) lgkmcnt(0)
	v_mov_b32_e32 v2, v1
	s_and_saveexec_b64 s[8:9], s[4:5]
	s_cbranch_execz .LBB2902_9
; %bb.8:
	v_mov_b32_e32 v3, s7
	v_add_co_u32_e32 v2, vcc, s6, v20
	v_addc_co_u32_e32 v3, vcc, 0, v3, vcc
	flat_load_ushort v2, v[2:3]
.LBB2902_9:
	s_or_b64 exec, exec, s[8:9]
	v_or_b32_e32 v3, 64, v0
	v_cmp_gt_u32_e32 vcc, s33, v3
	v_mov_b32_e32 v3, v1
	s_and_saveexec_b64 s[4:5], vcc
	s_cbranch_execz .LBB2902_11
; %bb.10:
	v_mov_b32_e32 v3, s7
	v_add_co_u32_e32 v4, vcc, s6, v20
	v_addc_co_u32_e32 v5, vcc, 0, v3, vcc
	flat_load_ushort v3, v[4:5] offset:128
.LBB2902_11:
	s_or_b64 exec, exec, s[4:5]
	v_or_b32_e32 v4, 0x80, v0
	v_cmp_gt_u32_e32 vcc, s33, v4
	v_mov_b32_e32 v4, v1
	s_and_saveexec_b64 s[4:5], vcc
	s_cbranch_execz .LBB2902_13
; %bb.12:
	v_mov_b32_e32 v5, s7
	v_add_co_u32_e32 v4, vcc, s6, v20
	v_addc_co_u32_e32 v5, vcc, 0, v5, vcc
	flat_load_ushort v4, v[4:5] offset:256
.LBB2902_13:
	;; [unrolled: 12-line block ×22, first 2 shown]
	s_or_b64 exec, exec, s[4:5]
	v_or_b32_e32 v26, 0x5c0, v0
	v_cmp_gt_u32_e32 vcc, s33, v26
	s_and_saveexec_b64 s[4:5], vcc
	s_cbranch_execz .LBB2902_55
; %bb.54:
	v_mov_b32_e32 v1, s7
	v_add_co_u32_e32 v26, vcc, s6, v20
	v_addc_co_u32_e32 v27, vcc, 0, v1, vcc
	flat_load_ushort v1, v[26:27] offset:2944
.LBB2902_55:
	s_or_b64 exec, exec, s[4:5]
	s_waitcnt vmcnt(0) lgkmcnt(0)
	ds_write_b16 v20, v2
	ds_write_b16 v20, v3 offset:128
	ds_write_b16 v20, v4 offset:256
	;; [unrolled: 1-line block ×23, first 2 shown]
	s_waitcnt lgkmcnt(0)
	; wave barrier
.LBB2902_56:
	v_mul_u32_u24_e32 v21, 24, v0
	v_lshlrev_b32_e32 v22, 1, v21
	s_waitcnt lgkmcnt(0)
	ds_read_b128 v[10:13], v22
	ds_read_b128 v[6:9], v22 offset:16
	ds_read_b128 v[2:5], v22 offset:32
	s_cmp_lg_u32 s37, 0
	v_mbcnt_lo_u32_b32 v33, -1, 0
	s_waitcnt lgkmcnt(2)
	v_lshrrev_b32_e32 v32, 16, v11
	v_lshrrev_b32_e32 v31, 16, v12
	;; [unrolled: 1-line block ×3, first 2 shown]
	s_waitcnt lgkmcnt(1)
	v_lshrrev_b32_e32 v29, 16, v6
	v_lshrrev_b32_e32 v28, 16, v7
	;; [unrolled: 1-line block ×4, first 2 shown]
	s_waitcnt lgkmcnt(0)
	v_lshrrev_b32_e32 v25, 16, v2
	v_lshrrev_b32_e32 v24, 16, v3
	;; [unrolled: 1-line block ×4, first 2 shown]
	v_cmp_eq_u32_e32 vcc, 63, v0
	s_waitcnt lgkmcnt(0)
	; wave barrier
	s_cbranch_scc0 .LBB2902_79
; %bb.57:
	v_max_i16_sdwa v14, v10, v10 dst_sel:DWORD dst_unused:UNUSED_PAD src0_sel:DWORD src1_sel:WORD_1
	v_max3_i16 v14, v14, v11, v32
	v_max3_i16 v14, v14, v12, v31
	;; [unrolled: 1-line block ×11, first 2 shown]
	v_mbcnt_hi_u32_b32 v15, -1, v33
	v_and_b32_e32 v17, 0xffff, v14
	v_and_b32_e32 v16, 15, v15
	v_cmp_eq_u32_e64 s[4:5], 0, v16
	v_mov_b32_dpp v17, v17 row_shr:1 row_mask:0xf bank_mask:0xf
	v_max_i16_e32 v17, v17, v14
	v_cndmask_b32_e64 v14, v17, v14, s[4:5]
	v_and_b32_e32 v17, 0xffff, v14
	v_cmp_lt_u32_e64 s[4:5], 1, v16
	s_nop 0
	v_mov_b32_dpp v17, v17 row_shr:2 row_mask:0xf bank_mask:0xf
	v_max_i16_e32 v17, v17, v14
	v_cndmask_b32_e64 v14, v14, v17, s[4:5]
	v_and_b32_e32 v17, 0xffff, v14
	v_cmp_lt_u32_e64 s[4:5], 3, v16
	s_nop 0
	;; [unrolled: 6-line block ×3, first 2 shown]
	v_mov_b32_dpp v17, v17 row_shr:8 row_mask:0xf bank_mask:0xf
	v_max_i16_e32 v17, v17, v14
	v_cndmask_b32_e64 v14, v14, v17, s[4:5]
	v_and_b32_e32 v16, 0xffff, v14
	v_and_b32_e32 v17, 16, v15
	v_cmp_eq_u32_e64 s[4:5], 0, v17
	v_mov_b32_dpp v16, v16 row_bcast:15 row_mask:0xf bank_mask:0xf
	v_max_i16_e32 v16, v16, v14
	v_cndmask_b32_e64 v14, v16, v14, s[4:5]
	v_and_b32_e32 v16, 0xffff, v14
	v_cmp_lt_u32_e64 s[4:5], 31, v15
	s_nop 0
	v_mov_b32_dpp v16, v16 row_bcast:31 row_mask:0xf bank_mask:0xf
	v_max_i16_e32 v16, v16, v14
	v_cndmask_b32_e64 v14, v14, v16, s[4:5]
	s_and_saveexec_b64 s[4:5], vcc
	s_cbranch_execz .LBB2902_59
; %bb.58:
	v_mov_b32_e32 v16, 0
	ds_write_b16 v16, v14
.LBB2902_59:
	s_or_b64 exec, exec, s[4:5]
	v_add_u32_e32 v16, -1, v15
	v_and_b32_e32 v17, 64, v15
	v_cmp_lt_i32_e32 vcc, v16, v17
	v_cndmask_b32_e32 v16, v16, v15, vcc
	v_and_b32_e32 v14, 0xffff, v14
	v_lshlrev_b32_e32 v16, 2, v16
	ds_bpermute_b32 v34, v16, v14
	v_cmp_gt_u32_e32 vcc, 64, v0
	s_waitcnt lgkmcnt(0)
	; wave barrier
	s_waitcnt lgkmcnt(0)
	s_and_saveexec_b64 s[30:31], vcc
	s_cbranch_execz .LBB2902_78
; %bb.60:
	v_mov_b32_e32 v17, 0
	ds_read_u16 v35, v17
	s_mov_b32 s9, 0
	v_cmp_eq_u32_e64 s[4:5], 0, v15
	s_and_saveexec_b64 s[6:7], s[4:5]
	s_cbranch_execz .LBB2902_62
; %bb.61:
	s_add_i32 s8, s37, 64
	s_lshl_b64 s[8:9], s[8:9], 2
	s_add_u32 s8, s34, s8
	s_waitcnt lgkmcnt(0)
	v_or_b32_e32 v14, 0x10000, v35
	s_addc_u32 s9, s35, s9
	global_store_dword v17, v14, s[8:9]
.LBB2902_62:
	s_or_b64 exec, exec, s[6:7]
	v_xad_u32 v14, v15, -1, s37
	v_add_u32_e32 v16, 64, v14
	v_lshlrev_b64 v[18:19], 2, v[16:17]
	v_mov_b32_e32 v16, s35
	v_add_co_u32_e32 v18, vcc, s34, v18
	v_addc_co_u32_e32 v19, vcc, v16, v19, vcc
	global_load_dword v48, v[18:19], off glc
	s_waitcnt vmcnt(0)
	v_lshrrev_b32_e32 v37, 16, v48
	v_cmp_eq_u16_sdwa s[8:9], v37, v17 src0_sel:BYTE_0 src1_sel:DWORD
	s_and_saveexec_b64 s[6:7], s[8:9]
	s_cbranch_execz .LBB2902_66
; %bb.63:
	s_mov_b64 s[8:9], 0
	v_mov_b32_e32 v16, 0
.LBB2902_64:                            ; =>This Inner Loop Header: Depth=1
	global_load_dword v48, v[18:19], off glc
	s_waitcnt vmcnt(0)
	v_lshrrev_b32_e32 v37, 16, v48
	v_cmp_ne_u16_sdwa s[10:11], v37, v16 src0_sel:BYTE_0 src1_sel:DWORD
	s_or_b64 s[8:9], s[10:11], s[8:9]
	s_andn2_b64 exec, exec, s[8:9]
	s_cbranch_execnz .LBB2902_64
; %bb.65:
	s_or_b64 exec, exec, s[8:9]
.LBB2902_66:
	s_or_b64 exec, exec, s[6:7]
	v_and_b32_e32 v38, 63, v15
	v_cmp_ne_u32_e32 vcc, 63, v38
	v_mov_b32_e32 v36, 2
	v_addc_co_u32_e32 v39, vcc, 0, v15, vcc
	v_cmp_eq_u16_sdwa s[6:7], v37, v36 src0_sel:BYTE_0 src1_sel:DWORD
	v_lshlrev_b64 v[16:17], v15, -1
	v_and_b32_e32 v40, 0xffff, v48
	v_lshlrev_b32_e32 v39, 2, v39
	v_and_b32_e32 v18, s7, v17
	ds_bpermute_b32 v41, v39, v40
	v_or_b32_e32 v18, 0x80000000, v18
	v_and_b32_e32 v19, s6, v16
	v_ffbl_b32_e32 v18, v18
	v_add_u32_e32 v18, 32, v18
	v_ffbl_b32_e32 v19, v19
	v_min_u32_e32 v18, v19, v18
	s_waitcnt lgkmcnt(0)
	v_max_i16_e32 v19, v41, v48
	v_cmp_lt_u32_e32 vcc, v38, v18
	v_cmp_gt_u32_e64 s[6:7], 62, v38
	v_cndmask_b32_e32 v42, v40, v19, vcc
	v_cndmask_b32_e64 v40, 0, 1, s[6:7]
	v_lshlrev_b32_e32 v40, 1, v40
	v_add_lshl_u32 v40, v40, v15, 2
	ds_bpermute_b32 v43, v40, v42
	v_cndmask_b32_e32 v19, v48, v19, vcc
	v_add_u32_e32 v41, 2, v38
	v_cmp_gt_u32_e64 s[6:7], v41, v18
	v_cmp_gt_u32_e64 s[8:9], 60, v38
	s_waitcnt lgkmcnt(0)
	v_max_i16_e32 v43, v43, v19
	v_cndmask_b32_e64 v44, v43, v42, s[6:7]
	v_cndmask_b32_e64 v42, 0, 1, s[8:9]
	v_lshlrev_b32_e32 v42, 2, v42
	v_add_lshl_u32 v42, v42, v15, 2
	ds_bpermute_b32 v45, v42, v44
	v_cndmask_b32_e64 v19, v43, v19, s[6:7]
	v_add_u32_e32 v43, 4, v38
	v_cmp_gt_u32_e64 s[6:7], v43, v18
	v_cmp_gt_u32_e64 s[8:9], 56, v38
	s_waitcnt lgkmcnt(0)
	v_max_i16_e32 v51, v45, v19
	v_cndmask_b32_e64 v46, v51, v44, s[6:7]
	v_cndmask_b32_e64 v44, 0, 1, s[8:9]
	v_lshlrev_b32_e32 v44, 3, v44
	v_add_lshl_u32 v44, v44, v15, 2
	ds_bpermute_b32 v47, v44, v46
	v_cndmask_b32_e64 v49, v51, v19, s[6:7]
	v_add_u32_e32 v45, 8, v38
	v_cmp_gt_u32_e64 s[8:9], v45, v18
	v_cmp_gt_u32_e64 s[10:11], 48, v38
	s_waitcnt lgkmcnt(0)
	v_max_i16_e32 v52, v47, v49
	v_cndmask_b32_e64 v50, v52, v46, s[8:9]
	v_cndmask_b32_e64 v46, 0, 1, s[10:11]
	v_lshlrev_b32_e32 v46, 4, v46
	v_add_lshl_u32 v46, v46, v15, 2
	ds_bpermute_b32 v53, v46, v50
	v_cmp_gt_u32_e64 s[12:13], 32, v38
	v_cndmask_b32_e64 v54, v52, v49, s[8:9]
	v_add_u32_e32 v47, 16, v38
	v_cndmask_b32_e64 v49, 0, 1, s[12:13]
	s_waitcnt lgkmcnt(0)
	v_max_i16_e32 v53, v53, v54
	v_cmp_gt_u32_e64 s[10:11], v47, v18
	v_lshlrev_b32_e32 v49, 5, v49
	v_cndmask_b32_e64 v50, v53, v50, s[10:11]
	v_add_lshl_u32 v49, v49, v15, 2
	ds_bpermute_b32 v15, v49, v50
	v_cndmask_b32_e32 v19, v48, v19, vcc
	v_cndmask_b32_e64 v19, v51, v19, s[6:7]
	v_add_u32_e32 v50, 32, v38
	v_cndmask_b32_e64 v54, v53, v54, s[10:11]
	v_cndmask_b32_e64 v19, v52, v19, s[8:9]
	s_waitcnt lgkmcnt(0)
	v_max_i16_e32 v15, v15, v54
	v_cndmask_b32_e64 v19, v53, v19, s[10:11]
	v_cmp_gt_u32_e32 vcc, v50, v18
	v_cndmask_b32_e32 v18, v15, v19, vcc
	v_mov_b32_e32 v15, 0
	s_branch .LBB2902_68
.LBB2902_67:                            ;   in Loop: Header=BB2902_68 Depth=1
	s_or_b64 exec, exec, s[6:7]
	v_cmp_eq_u16_sdwa s[6:7], v37, v36 src0_sel:BYTE_0 src1_sel:DWORD
	v_and_b32_e32 v52, 0xffff, v51
	v_and_b32_e32 v18, s7, v17
	ds_bpermute_b32 v53, v39, v52
	v_or_b32_e32 v18, 0x80000000, v18
	v_and_b32_e32 v19, s6, v16
	v_ffbl_b32_e32 v18, v18
	v_add_u32_e32 v18, 32, v18
	v_ffbl_b32_e32 v19, v19
	v_min_u32_e32 v18, v19, v18
	s_waitcnt lgkmcnt(0)
	v_max_i16_e32 v19, v53, v51
	v_cmp_lt_u32_e32 vcc, v38, v18
	v_cndmask_b32_e32 v52, v52, v19, vcc
	ds_bpermute_b32 v53, v40, v52
	v_cndmask_b32_e32 v19, v51, v19, vcc
	v_cmp_gt_u32_e64 s[6:7], v41, v18
	v_cmp_gt_u32_e64 s[8:9], v45, v18
	v_subrev_u32_e32 v14, 64, v14
	s_waitcnt lgkmcnt(0)
	v_max_i16_e32 v53, v53, v19
	v_cndmask_b32_e64 v52, v53, v52, s[6:7]
	ds_bpermute_b32 v54, v42, v52
	v_cndmask_b32_e64 v19, v53, v19, s[6:7]
	v_cmp_gt_u32_e64 s[6:7], v43, v18
	s_waitcnt lgkmcnt(0)
	v_max_i16_e32 v53, v54, v19
	v_cndmask_b32_e64 v52, v53, v52, s[6:7]
	ds_bpermute_b32 v54, v44, v52
	v_cndmask_b32_e64 v55, v53, v19, s[6:7]
	v_cndmask_b32_e32 v19, v51, v19, vcc
	v_cmp_gt_u32_e32 vcc, v47, v18
	v_cndmask_b32_e64 v19, v53, v19, s[6:7]
	s_waitcnt lgkmcnt(0)
	v_max_i16_e32 v54, v54, v55
	v_cndmask_b32_e64 v52, v54, v52, s[8:9]
	ds_bpermute_b32 v56, v46, v52
	v_cndmask_b32_e64 v51, v54, v55, s[8:9]
	v_cndmask_b32_e64 v19, v54, v19, s[8:9]
	s_waitcnt lgkmcnt(0)
	v_max_i16_e32 v55, v56, v51
	v_cndmask_b32_e32 v52, v55, v52, vcc
	ds_bpermute_b32 v52, v49, v52
	v_cndmask_b32_e32 v51, v55, v51, vcc
	v_cndmask_b32_e32 v19, v55, v19, vcc
	v_cmp_gt_u32_e32 vcc, v50, v18
	s_waitcnt lgkmcnt(0)
	v_max_i16_e32 v51, v52, v51
	v_cndmask_b32_e32 v18, v51, v19, vcc
	v_max_i16_e32 v18, v18, v48
.LBB2902_68:                            ; =>This Loop Header: Depth=1
                                        ;     Child Loop BB2902_71 Depth 2
	v_cmp_ne_u16_sdwa s[6:7], v37, v36 src0_sel:BYTE_0 src1_sel:DWORD
	v_cndmask_b32_e64 v19, 0, 1, s[6:7]
	;;#ASMSTART
	;;#ASMEND
	v_cmp_ne_u32_e32 vcc, 0, v19
	s_cmp_lg_u64 vcc, exec
	v_mov_b32_e32 v48, v18
	s_cbranch_scc1 .LBB2902_73
; %bb.69:                               ;   in Loop: Header=BB2902_68 Depth=1
	v_lshlrev_b64 v[18:19], 2, v[14:15]
	v_mov_b32_e32 v37, s35
	v_add_co_u32_e32 v18, vcc, s34, v18
	v_addc_co_u32_e32 v19, vcc, v37, v19, vcc
	global_load_dword v51, v[18:19], off glc
	s_waitcnt vmcnt(0)
	v_lshrrev_b32_e32 v37, 16, v51
	v_cmp_eq_u16_sdwa s[8:9], v37, v15 src0_sel:BYTE_0 src1_sel:DWORD
	s_and_saveexec_b64 s[6:7], s[8:9]
	s_cbranch_execz .LBB2902_67
; %bb.70:                               ;   in Loop: Header=BB2902_68 Depth=1
	s_mov_b64 s[8:9], 0
.LBB2902_71:                            ;   Parent Loop BB2902_68 Depth=1
                                        ; =>  This Inner Loop Header: Depth=2
	global_load_dword v51, v[18:19], off glc
	s_waitcnt vmcnt(0)
	v_lshrrev_b32_e32 v37, 16, v51
	v_cmp_ne_u16_sdwa s[10:11], v37, v15 src0_sel:BYTE_0 src1_sel:DWORD
	s_or_b64 s[8:9], s[10:11], s[8:9]
	s_andn2_b64 exec, exec, s[8:9]
	s_cbranch_execnz .LBB2902_71
; %bb.72:                               ;   in Loop: Header=BB2902_68 Depth=1
	s_or_b64 exec, exec, s[8:9]
	s_branch .LBB2902_67
.LBB2902_73:                            ;   in Loop: Header=BB2902_68 Depth=1
                                        ; implicit-def: $vgpr18
                                        ; implicit-def: $vgpr37
	s_cbranch_execz .LBB2902_68
; %bb.74:
	s_and_saveexec_b64 s[6:7], s[4:5]
	s_cbranch_execz .LBB2902_76
; %bb.75:
	s_add_i32 s4, s37, 64
	s_mov_b32 s5, 0
	s_lshl_b64 s[4:5], s[4:5], 2
	v_max_i16_e32 v14, v48, v35
	s_add_u32 s4, s34, s4
	v_or_b32_e32 v14, 0x20000, v14
	s_addc_u32 s5, s35, s5
	v_mov_b32_e32 v15, 0
	global_store_dword v15, v14, s[4:5]
.LBB2902_76:
	s_or_b64 exec, exec, s[6:7]
	s_and_b64 exec, exec, s[2:3]
	s_cbranch_execz .LBB2902_78
; %bb.77:
	v_mov_b32_e32 v14, 0
	ds_write_b16 v14, v48
.LBB2902_78:
	s_or_b64 exec, exec, s[30:31]
	v_mov_b32_e32 v14, 0
	s_waitcnt lgkmcnt(0)
	; wave barrier
	s_waitcnt lgkmcnt(0)
	ds_read_u16 v14, v14
	v_max_i16_e32 v15, v34, v10
	v_cndmask_b32_e64 v15, v15, v10, s[2:3]
	s_waitcnt lgkmcnt(0)
	v_max_i16_e32 v14, v14, v15
	v_max_i16_sdwa v15, v14, v10 dst_sel:DWORD dst_unused:UNUSED_PAD src0_sel:DWORD src1_sel:WORD_1
	v_max_i16_e32 v16, v15, v11
	v_max_i16_e32 v17, v16, v32
	;; [unrolled: 1-line block ×22, first 2 shown]
	s_branch .LBB2902_89
.LBB2902_79:
                                        ; implicit-def: $vgpr14
                                        ; implicit-def: $vgpr15
                                        ; implicit-def: $vgpr16
                                        ; implicit-def: $vgpr17
                                        ; implicit-def: $vgpr18
                                        ; implicit-def: $vgpr19
                                        ; implicit-def: $vgpr35
                                        ; implicit-def: $vgpr37
                                        ; implicit-def: $vgpr34
                                        ; implicit-def: $vgpr36
                                        ; implicit-def: $vgpr38
                                        ; implicit-def: $vgpr39
                                        ; implicit-def: $vgpr40
                                        ; implicit-def: $vgpr41
                                        ; implicit-def: $vgpr43
                                        ; implicit-def: $vgpr45
                                        ; implicit-def: $vgpr42
                                        ; implicit-def: $vgpr44
                                        ; implicit-def: $vgpr46
                                        ; implicit-def: $vgpr47
                                        ; implicit-def: $vgpr48
                                        ; implicit-def: $vgpr49
                                        ; implicit-def: $vgpr50
                                        ; implicit-def: $vgpr51
	s_cbranch_execz .LBB2902_89
; %bb.80:
	s_cmp_lg_u64 s[20:21], 0
	s_cselect_b64 s[4:5], -1, 0
	s_and_b64 s[4:5], s[2:3], s[4:5]
	v_mov_b32_e32 v14, v10
	s_and_saveexec_b64 s[2:3], s[4:5]
	s_cbranch_execz .LBB2902_82
; %bb.81:
	v_mov_b32_e32 v14, 0
	global_load_ushort v14, v14, s[16:17]
	s_waitcnt vmcnt(0)
	v_max_i16_e32 v14, v14, v10
.LBB2902_82:
	s_or_b64 exec, exec, s[2:3]
	v_max_i16_sdwa v15, v14, v10 dst_sel:DWORD dst_unused:UNUSED_PAD src0_sel:DWORD src1_sel:WORD_1
	v_max_i16_e32 v16, v15, v11
	v_max_i16_e32 v17, v16, v32
	;; [unrolled: 1-line block ×22, first 2 shown]
	v_mbcnt_hi_u32_b32 v33, -1, v33
	v_and_b32_e32 v52, 15, v33
	v_mov_b32_dpp v53, v51 row_shr:1 row_mask:0xf bank_mask:0xf
	v_max_i16_e32 v53, v53, v51
	v_cmp_eq_u32_e32 vcc, 0, v52
	v_cndmask_b32_e32 v53, v53, v51, vcc
	v_and_b32_e32 v54, 0xffff, v53
	v_cmp_lt_u32_e32 vcc, 1, v52
	s_nop 0
	v_mov_b32_dpp v54, v54 row_shr:2 row_mask:0xf bank_mask:0xf
	v_max_i16_e32 v54, v54, v53
	v_cndmask_b32_e32 v53, v53, v54, vcc
	v_and_b32_e32 v54, 0xffff, v53
	v_cmp_lt_u32_e32 vcc, 3, v52
	s_nop 0
	v_mov_b32_dpp v54, v54 row_shr:4 row_mask:0xf bank_mask:0xf
	v_max_i16_e32 v54, v54, v53
	;; [unrolled: 6-line block ×3, first 2 shown]
	v_cndmask_b32_e32 v52, v53, v54, vcc
	v_and_b32_e32 v53, 0xffff, v52
	v_and_b32_e32 v54, 16, v33
	v_cmp_eq_u32_e32 vcc, 0, v54
	v_mov_b32_dpp v53, v53 row_bcast:15 row_mask:0xf bank_mask:0xf
	v_max_i16_e32 v53, v53, v52
	v_cndmask_b32_e32 v52, v53, v52, vcc
	v_and_b32_e32 v53, 0xffff, v52
	v_cmp_lt_u32_e32 vcc, 31, v33
	s_nop 0
	v_mov_b32_dpp v53, v53 row_bcast:31 row_mask:0xf bank_mask:0xf
	v_max_i16_e32 v53, v53, v52
	v_cndmask_b32_e32 v52, v52, v53, vcc
	v_cmp_eq_u32_e32 vcc, 63, v0
	s_and_saveexec_b64 s[2:3], vcc
	s_cbranch_execz .LBB2902_84
; %bb.83:
	v_mov_b32_e32 v53, 0
	ds_write_b16 v53, v52
.LBB2902_84:
	s_or_b64 exec, exec, s[2:3]
	v_add_u32_e32 v53, -1, v33
	v_and_b32_e32 v54, 64, v33
	v_cmp_lt_i32_e64 s[2:3], v53, v54
	v_cndmask_b32_e64 v33, v53, v33, s[2:3]
	v_and_b32_e32 v52, 0xffff, v52
	v_lshlrev_b32_e32 v33, 2, v33
	ds_bpermute_b32 v33, v33, v52
	s_waitcnt lgkmcnt(0)
	; wave barrier
	s_waitcnt lgkmcnt(0)
	s_and_saveexec_b64 s[2:3], s[0:1]
	s_cbranch_execz .LBB2902_86
; %bb.85:
	v_max_i16_e32 v14, v33, v14
	v_max_i16_sdwa v15, v14, v10 dst_sel:DWORD dst_unused:UNUSED_PAD src0_sel:DWORD src1_sel:WORD_1
	v_max_i16_e32 v16, v15, v11
	v_max_i16_e32 v17, v16, v32
	;; [unrolled: 1-line block ×22, first 2 shown]
	;;#ASMSTART
	;;#ASMEND
.LBB2902_86:
	s_or_b64 exec, exec, s[2:3]
	s_and_saveexec_b64 s[0:1], vcc
	s_cbranch_execz .LBB2902_88
; %bb.87:
	s_mov_b32 s2, 0x20000
	v_mov_b32_e32 v1, 0
	v_or_b32_sdwa v2, v51, s2 dst_sel:DWORD dst_unused:UNUSED_PAD src0_sel:WORD_0 src1_sel:DWORD
	global_store_dword v1, v2, s[34:35] offset:256
.LBB2902_88:
	s_or_b64 exec, exec, s[0:1]
.LBB2902_89:
	s_add_u32 s0, s28, s14
	s_addc_u32 s1, s29, s15
	s_add_u32 s2, s0, s26
	s_addc_u32 s3, s1, s27
	s_mov_b64 s[0:1], -1
	s_and_b64 vcc, exec, s[24:25]
	s_waitcnt lgkmcnt(0)
	; wave barrier
	s_cbranch_vccz .LBB2902_91
; %bb.90:
	s_mov_b32 s0, 0x5040100
	v_perm_b32 v5, v37, v35, s0
	v_perm_b32 v4, v19, v18, s0
	;; [unrolled: 1-line block ×4, first 2 shown]
	ds_write_b128 v22, v[2:5]
	v_perm_b32 v5, v45, v43, s0
	v_perm_b32 v4, v41, v40, s0
	v_perm_b32 v3, v39, v38, s0
	v_perm_b32 v2, v36, v34, s0
	ds_write_b128 v22, v[2:5] offset:16
	v_perm_b32 v5, v51, v50, s0
	v_perm_b32 v4, v49, v48, s0
	;; [unrolled: 1-line block ×4, first 2 shown]
	ds_write_b128 v22, v[2:5] offset:32
	s_waitcnt lgkmcnt(0)
	; wave barrier
	s_waitcnt lgkmcnt(0)
	ds_read_u16 v1, v20
	ds_read_u16 v4, v20 offset:128
	ds_read_u16 v5, v20 offset:256
	;; [unrolled: 1-line block ×23, first 2 shown]
	v_mov_b32_e32 v3, s3
	v_add_co_u32_e32 v2, vcc, s2, v20
	v_addc_co_u32_e32 v3, vcc, 0, v3, vcc
	s_waitcnt lgkmcnt(14)
	flat_store_short v[2:3], v1
	flat_store_short v[2:3], v4 offset:128
	flat_store_short v[2:3], v5 offset:256
	;; [unrolled: 1-line block ×9, first 2 shown]
	s_waitcnt lgkmcnt(0)
	flat_store_short v[2:3], v13 offset:1280
	flat_store_short v[2:3], v23 offset:1408
	;; [unrolled: 1-line block ×14, first 2 shown]
	s_mov_b64 s[0:1], 0
.LBB2902_91:
	s_andn2_b64 vcc, exec, s[0:1]
	s_cbranch_vccnz .LBB2902_148
; %bb.92:
	s_mov_b32 s0, 0x5040100
	v_perm_b32 v5, v37, v35, s0
	v_perm_b32 v4, v19, v18, s0
	;; [unrolled: 1-line block ×4, first 2 shown]
	ds_write_b128 v22, v[2:5]
	v_perm_b32 v5, v45, v43, s0
	v_perm_b32 v4, v41, v40, s0
	;; [unrolled: 1-line block ×4, first 2 shown]
	ds_write_b128 v22, v[2:5] offset:16
	v_perm_b32 v5, v51, v50, s0
	v_perm_b32 v4, v49, v48, s0
	;; [unrolled: 1-line block ×4, first 2 shown]
	s_movk_i32 s0, 0xffd2
	ds_write_b128 v22, v[2:5] offset:32
	v_mad_i32_i24 v2, v0, s0, v22
	s_waitcnt lgkmcnt(0)
	; wave barrier
	s_waitcnt lgkmcnt(0)
	ds_read_u16 v5, v2
	ds_read_u16 v4, v2 offset:128
	ds_read_u16 v7, v2 offset:256
	;; [unrolled: 1-line block ×23, first 2 shown]
	v_mov_b32_e32 v3, s3
	v_add_co_u32_e32 v2, vcc, s2, v20
	v_addc_co_u32_e32 v3, vcc, 0, v3, vcc
	v_mov_b32_e32 v1, 0
	v_cmp_gt_u32_e32 vcc, s33, v0
	s_and_saveexec_b64 s[0:1], vcc
	s_cbranch_execz .LBB2902_94
; %bb.93:
	s_waitcnt lgkmcnt(0)
	flat_store_short v[2:3], v5
.LBB2902_94:
	s_or_b64 exec, exec, s[0:1]
	v_or_b32_e32 v20, 64, v0
	v_cmp_gt_u32_e32 vcc, s33, v20
	s_and_saveexec_b64 s[0:1], vcc
	s_cbranch_execz .LBB2902_96
; %bb.95:
	s_waitcnt lgkmcnt(0)
	flat_store_short v[2:3], v4 offset:128
.LBB2902_96:
	s_or_b64 exec, exec, s[0:1]
	v_or_b32_e32 v20, 0x80, v0
	v_cmp_gt_u32_e32 vcc, s33, v20
	s_and_saveexec_b64 s[0:1], vcc
	s_cbranch_execz .LBB2902_98
; %bb.97:
	s_waitcnt lgkmcnt(0)
	flat_store_short v[2:3], v7 offset:256
.LBB2902_98:
	;; [unrolled: 9-line block ×23, first 2 shown]
	s_or_b64 exec, exec, s[0:1]
	v_cmp_lt_u64_e64 s[0:1], s[22:23], 2
	s_and_b64 vcc, exec, s[0:1]
	s_cbranch_vccnz .LBB2902_148
; %bb.141:
	s_add_u32 s0, s33, -1
	s_addc_u32 s1, s36, -1
	s_add_u32 s2, 0, 0xaaaa0000
	s_addc_u32 s3, 0, 42
	s_add_i32 s3, s3, 0xaaaaa80
	s_mul_hi_u32 s7, s2, 0xffffffe8
	s_sub_i32 s7, s7, s2
	s_mul_i32 s8, s3, 0xffffffe8
	s_mul_i32 s4, s2, 0xffffffe8
	s_add_i32 s7, s7, s8
	s_mul_hi_u32 s5, s3, s4
	s_mul_i32 s6, s3, s4
	s_mul_i32 s9, s2, s7
	s_mul_hi_u32 s4, s2, s4
	s_mul_hi_u32 s8, s2, s7
	s_add_u32 s4, s4, s9
	s_addc_u32 s8, 0, s8
	s_add_u32 s4, s4, s6
	s_mul_hi_u32 s9, s3, s7
	s_addc_u32 s4, s8, s5
	s_addc_u32 s5, s9, 0
	s_mul_i32 s6, s3, s7
	s_add_u32 s4, s4, s6
	v_mov_b32_e32 v2, s4
	s_addc_u32 s5, 0, s5
	v_add_co_u32_e32 v2, vcc, s2, v2
	s_cmp_lg_u64 vcc, 0
	s_addc_u32 s2, s3, s5
	v_readfirstlane_b32 s5, v2
	s_mul_i32 s4, s0, s2
	s_mul_hi_u32 s6, s0, s5
	s_mul_hi_u32 s3, s0, s2
	s_add_u32 s4, s6, s4
	s_addc_u32 s3, 0, s3
	s_mul_hi_u32 s7, s1, s5
	s_mul_i32 s5, s1, s5
	s_add_u32 s4, s4, s5
	s_mul_hi_u32 s6, s1, s2
	s_addc_u32 s3, s3, s7
	s_addc_u32 s4, s6, 0
	s_mul_i32 s2, s1, s2
	s_add_u32 s2, s3, s2
	s_addc_u32 s3, 0, s4
	s_add_u32 s4, s2, 1
	s_addc_u32 s5, s3, 0
	s_add_u32 s6, s2, 2
	s_mul_i32 s8, s3, 24
	s_mul_hi_u32 s9, s2, 24
	s_addc_u32 s7, s3, 0
	s_add_i32 s9, s9, s8
	s_mul_i32 s8, s2, 24
	v_mov_b32_e32 v2, s8
	v_sub_co_u32_e32 v2, vcc, s0, v2
	s_cmp_lg_u64 vcc, 0
	s_subb_u32 s8, s1, s9
	v_subrev_co_u32_e32 v3, vcc, 24, v2
	s_cmp_lg_u64 vcc, 0
	s_subb_u32 s9, s8, 0
	v_readfirstlane_b32 s10, v3
	s_cmp_gt_u32 s10, 23
	s_cselect_b32 s10, -1, 0
	s_cmp_eq_u32 s9, 0
	s_cselect_b32 s9, s10, -1
	s_cmp_lg_u32 s9, 0
	s_cselect_b32 s4, s6, s4
	v_readfirstlane_b32 s6, v2
	s_cselect_b32 s5, s7, s5
	s_cmp_gt_u32 s6, 23
	s_cselect_b32 s6, -1, 0
	s_cmp_eq_u32 s8, 0
	s_cselect_b32 s6, s6, -1
	s_cmp_lg_u32 s6, 0
	s_cselect_b32 s3, s5, s3
	s_cselect_b32 s2, s4, s2
	v_cmp_eq_u64_e32 vcc, s[2:3], v[0:1]
	s_and_saveexec_b64 s[2:3], vcc
	s_cbranch_execz .LBB2902_148
; %bb.142:
	v_mul_hi_u32_u24_e32 v1, 24, v0
	v_mov_b32_e32 v2, s1
	v_sub_co_u32_e32 v0, vcc, s0, v21
	v_subb_co_u32_e32 v1, vcc, v2, v1, vcc
	v_cmp_lt_i64_e32 vcc, 11, v[0:1]
	s_mov_b64 s[0:1], 0
	s_mov_b64 s[8:9], 0
	;; [unrolled: 1-line block ×4, first 2 shown]
	s_and_saveexec_b64 s[2:3], vcc
	s_xor_b64 s[2:3], exec, s[2:3]
	s_cbranch_execnz .LBB2902_149
; %bb.143:
	s_andn2_saveexec_b64 s[2:3], s[2:3]
	s_cbranch_execnz .LBB2902_194
.LBB2902_144:
	s_or_b64 exec, exec, s[2:3]
	s_and_saveexec_b64 s[2:3], s[8:9]
	s_cbranch_execnz .LBB2902_211
.LBB2902_145:
	s_or_b64 exec, exec, s[2:3]
	s_and_saveexec_b64 s[2:3], s[6:7]
	s_cbranch_execnz .LBB2902_212
.LBB2902_146:
	s_or_b64 exec, exec, s[2:3]
	s_and_saveexec_b64 s[2:3], s[4:5]
	s_xor_b64 s[2:3], exec, s[2:3]
	s_cbranch_execnz .LBB2902_213
.LBB2902_147:
	s_or_b64 exec, exec, s[2:3]
	s_and_b64 exec, exec, s[0:1]
	s_cbranch_execnz .LBB2902_214
.LBB2902_148:
	s_endpgm
.LBB2902_149:
	v_cmp_lt_i64_e32 vcc, 17, v[0:1]
	s_and_saveexec_b64 s[10:11], vcc
	s_xor_b64 s[10:11], exec, s[10:11]
	s_cbranch_execz .LBB2902_171
; %bb.150:
	v_cmp_lt_i64_e32 vcc, 20, v[0:1]
                                        ; implicit-def: $vgpr10
	s_and_saveexec_b64 s[12:13], vcc
	s_xor_b64 s[12:13], exec, s[12:13]
	s_cbranch_execz .LBB2902_160
; %bb.151:
	v_cmp_lt_i64_e32 vcc, 21, v[0:1]
	s_mov_b64 s[14:15], 0
                                        ; implicit-def: $vgpr10
	s_and_saveexec_b64 s[4:5], vcc
	s_xor_b64 s[4:5], exec, s[4:5]
	s_cbranch_execz .LBB2902_157
; %bb.152:
	v_cmp_lt_i64_e32 vcc, 22, v[0:1]
	s_and_saveexec_b64 s[14:15], vcc
	s_xor_b64 s[14:15], exec, s[14:15]
	s_cbranch_execz .LBB2902_154
; %bb.153:
	v_mov_b32_e32 v2, 0
	s_waitcnt lgkmcnt(0)
	global_store_short v2, v29, s[18:19]
                                        ; implicit-def: $vgpr28
.LBB2902_154:
	s_or_saveexec_b64 s[14:15], s[14:15]
	s_mov_b64 s[16:17], 0
	s_xor_b64 exec, exec, s[14:15]
; %bb.155:
	s_mov_b64 s[16:17], exec
; %bb.156:
	s_or_b64 exec, exec, s[14:15]
	s_and_b64 s[14:15], s[16:17], exec
	s_waitcnt lgkmcnt(0)
	v_mov_b32_e32 v10, v28
                                        ; implicit-def: $vgpr11
.LBB2902_157:
	s_andn2_saveexec_b64 s[4:5], s[4:5]
; %bb.158:
	s_mov_b64 s[6:7], exec
                                        ; implicit-def: $vgpr10
; %bb.159:
	s_or_b64 exec, exec, s[4:5]
	s_and_b64 s[4:5], s[14:15], exec
	s_and_b64 s[6:7], s[6:7], exec
                                        ; implicit-def: $vgpr26
                                        ; implicit-def: $vgpr12
                                        ; implicit-def: $vgpr23
.LBB2902_160:
	s_andn2_saveexec_b64 s[12:13], s[12:13]
	s_cbranch_execz .LBB2902_170
; %bb.161:
	v_cmp_lt_i64_e32 vcc, 18, v[0:1]
	s_mov_b64 s[14:15], 0
	s_and_saveexec_b64 s[8:9], vcc
	s_xor_b64 s[8:9], exec, s[8:9]
	s_cbranch_execz .LBB2902_167
; %bb.162:
	v_cmp_lt_i64_e32 vcc, 19, v[0:1]
	s_and_saveexec_b64 s[16:17], vcc
	s_xor_b64 s[16:17], exec, s[16:17]
; %bb.163:
	s_mov_b64 s[14:15], exec
                                        ; implicit-def: $vgpr23
; %bb.164:
	s_andn2_saveexec_b64 s[16:17], s[16:17]
	s_cbranch_execz .LBB2902_166
; %bb.165:
	v_mov_b32_e32 v2, 0
	s_waitcnt lgkmcnt(0)
	global_store_short v2, v23, s[18:19]
                                        ; implicit-def: $vgpr12
.LBB2902_166:
	s_or_b64 exec, exec, s[16:17]
	s_and_b64 s[14:15], s[14:15], exec
                                        ; implicit-def: $vgpr26
.LBB2902_167:
	s_andn2_saveexec_b64 s[8:9], s[8:9]
	s_cbranch_execz .LBB2902_169
; %bb.168:
	v_mov_b32_e32 v2, 0
	s_waitcnt lgkmcnt(0)
	global_store_short v2, v26, s[18:19]
                                        ; implicit-def: $vgpr12
.LBB2902_169:
	s_or_b64 exec, exec, s[8:9]
	s_and_b64 s[8:9], s[14:15], exec
                                        ; implicit-def: $vgpr10
                                        ; implicit-def: $vgpr11
.LBB2902_170:
	s_or_b64 exec, exec, s[12:13]
	s_and_b64 s[4:5], s[4:5], exec
	s_and_b64 s[6:7], s[6:7], exec
	;; [unrolled: 1-line block ×3, first 2 shown]
                                        ; implicit-def: $vgpr18
                                        ; implicit-def: $vgpr13
                                        ; implicit-def: $vgpr14
                                        ; implicit-def: $vgpr24
                                        ; implicit-def: $vgpr27
.LBB2902_171:
	s_andn2_saveexec_b64 s[10:11], s[10:11]
	s_cbranch_execz .LBB2902_193
; %bb.172:
	v_cmp_lt_i64_e32 vcc, 14, v[0:1]
	s_mov_b64 s[12:13], s[4:5]
	s_and_saveexec_b64 s[14:15], vcc
	s_xor_b64 s[14:15], exec, s[14:15]
	s_cbranch_execz .LBB2902_182
; %bb.173:
	v_cmp_lt_i64_e32 vcc, 15, v[0:1]
	s_and_saveexec_b64 s[12:13], vcc
	s_xor_b64 s[12:13], exec, s[12:13]
	s_cbranch_execz .LBB2902_179
; %bb.174:
	v_cmp_lt_i64_e32 vcc, 16, v[0:1]
	s_and_saveexec_b64 s[16:17], vcc
	s_xor_b64 s[16:17], exec, s[16:17]
	s_cbranch_execz .LBB2902_176
; %bb.175:
	v_mov_b32_e32 v2, 0
	s_waitcnt lgkmcnt(0)
	global_store_short v2, v27, s[18:19]
                                        ; implicit-def: $vgpr24
.LBB2902_176:
	s_andn2_saveexec_b64 s[16:17], s[16:17]
	s_cbranch_execz .LBB2902_178
; %bb.177:
	v_mov_b32_e32 v2, 0
	s_waitcnt lgkmcnt(0)
	global_store_short v2, v24, s[18:19]
.LBB2902_178:
	s_or_b64 exec, exec, s[16:17]
                                        ; implicit-def: $vgpr10
.LBB2902_179:
	s_or_saveexec_b64 s[12:13], s[12:13]
	s_mov_b64 s[16:17], s[4:5]
	s_xor_b64 exec, exec, s[12:13]
; %bb.180:
	s_or_b64 s[16:17], s[4:5], exec
; %bb.181:
	s_or_b64 exec, exec, s[12:13]
	s_andn2_b64 s[12:13], s[4:5], exec
	s_and_b64 s[16:17], s[16:17], exec
	s_or_b64 s[12:13], s[12:13], s[16:17]
                                        ; implicit-def: $vgpr18
                                        ; implicit-def: $vgpr13
                                        ; implicit-def: $vgpr14
.LBB2902_182:
	s_or_saveexec_b64 s[14:15], s[14:15]
	s_mov_b64 s[16:17], s[6:7]
                                        ; implicit-def: $vgpr11
	s_xor_b64 exec, exec, s[14:15]
	s_cbranch_execz .LBB2902_192
; %bb.183:
	v_cmp_lt_i64_e32 vcc, 12, v[0:1]
	s_mov_b64 s[20:21], s[6:7]
	s_mov_b64 s[22:23], s[12:13]
                                        ; implicit-def: $vgpr10
                                        ; implicit-def: $vgpr11
	s_and_saveexec_b64 s[16:17], vcc
	s_xor_b64 s[16:17], exec, s[16:17]
	s_cbranch_execz .LBB2902_189
; %bb.184:
	v_cmp_lt_i64_e32 vcc, 13, v[0:1]
	s_mov_b64 s[20:21], s[12:13]
	s_and_saveexec_b64 s[22:23], vcc
	s_xor_b64 s[22:23], exec, s[22:23]
; %bb.185:
	s_or_b64 s[20:21], s[12:13], exec
                                        ; implicit-def: $vgpr13
; %bb.186:
	s_or_saveexec_b64 s[22:23], s[22:23]
	s_mov_b64 s[24:25], s[6:7]
	s_xor_b64 exec, exec, s[22:23]
; %bb.187:
	s_or_b64 s[24:25], s[6:7], exec
                                        ; implicit-def: $vgpr14
; %bb.188:
	s_or_b64 exec, exec, s[22:23]
	s_andn2_b64 s[22:23], s[12:13], exec
	s_and_b64 s[20:21], s[20:21], exec
	s_or_b64 s[22:23], s[22:23], s[20:21]
	s_andn2_b64 s[20:21], s[6:7], exec
	s_and_b64 s[24:25], s[24:25], exec
	s_or_b64 s[20:21], s[20:21], s[24:25]
	s_waitcnt lgkmcnt(0)
	v_mov_b32_e32 v10, v14
	v_mov_b32_e32 v11, v13
                                        ; implicit-def: $vgpr18
.LBB2902_189:
	s_andn2_saveexec_b64 s[16:17], s[16:17]
	s_cbranch_execz .LBB2902_191
; %bb.190:
	s_or_b64 s[20:21], s[20:21], exec
                                        ; implicit-def: $vgpr10
	s_waitcnt lgkmcnt(0)
	v_mov_b32_e32 v11, v18
.LBB2902_191:
	s_or_b64 exec, exec, s[16:17]
	s_andn2_b64 s[12:13], s[12:13], exec
	s_and_b64 s[16:17], s[22:23], exec
	s_or_b64 s[12:13], s[12:13], s[16:17]
	s_andn2_b64 s[16:17], s[6:7], exec
	s_and_b64 s[20:21], s[20:21], exec
	s_or_b64 s[16:17], s[16:17], s[20:21]
.LBB2902_192:
	s_or_b64 exec, exec, s[14:15]
	s_andn2_b64 s[4:5], s[4:5], exec
	s_and_b64 s[12:13], s[12:13], exec
	s_or_b64 s[4:5], s[4:5], s[12:13]
	s_andn2_b64 s[6:7], s[6:7], exec
	s_and_b64 s[12:13], s[16:17], exec
	s_or_b64 s[6:7], s[6:7], s[12:13]
                                        ; implicit-def: $vgpr12
.LBB2902_193:
	s_or_b64 exec, exec, s[10:11]
	s_and_b64 s[4:5], s[4:5], exec
	s_and_b64 s[6:7], s[6:7], exec
	;; [unrolled: 1-line block ×3, first 2 shown]
                                        ; implicit-def: $vgpr17
                                        ; implicit-def: $vgpr15
                                        ; implicit-def: $vgpr16
                                        ; implicit-def: $vgpr25
                                        ; implicit-def: $vgpr22
                                        ; implicit-def: $vgpr19
	s_andn2_saveexec_b64 s[2:3], s[2:3]
	s_cbranch_execz .LBB2902_144
.LBB2902_194:
	v_cmp_lt_i64_e32 vcc, 5, v[0:1]
	s_mov_b64 s[12:13], -1
	s_mov_b64 s[10:11], s[8:9]
	s_mov_b64 s[14:15], s[6:7]
	;; [unrolled: 1-line block ×3, first 2 shown]
                                        ; implicit-def: $vgpr10
                                        ; implicit-def: $vgpr11
                                        ; implicit-def: $vgpr12
	s_and_saveexec_b64 s[0:1], vcc
	s_cbranch_execz .LBB2902_210
; %bb.195:
	v_cmp_lt_i64_e32 vcc, 8, v[0:1]
	s_mov_b64 s[10:11], s[8:9]
                                        ; implicit-def: $vgpr12
	s_and_saveexec_b64 s[12:13], vcc
	s_xor_b64 s[12:13], exec, s[12:13]
	s_cbranch_execz .LBB2902_205
; %bb.196:
	v_cmp_lt_i64_e32 vcc, 9, v[0:1]
	s_and_saveexec_b64 s[10:11], vcc
	s_xor_b64 s[10:11], exec, s[10:11]
	s_cbranch_execz .LBB2902_202
; %bb.197:
	v_cmp_lt_i64_e32 vcc, 10, v[0:1]
	s_and_saveexec_b64 s[14:15], vcc
	s_xor_b64 s[14:15], exec, s[14:15]
; %bb.198:
                                        ; implicit-def: $vgpr22
; %bb.199:
	s_andn2_saveexec_b64 s[14:15], s[14:15]
	s_cbranch_execz .LBB2902_201
; %bb.200:
	s_waitcnt lgkmcnt(0)
	v_mov_b32_e32 v19, v22
.LBB2902_201:
	s_or_b64 exec, exec, s[14:15]
                                        ; implicit-def: $vgpr25
.LBB2902_202:
	s_andn2_saveexec_b64 s[10:11], s[10:11]
	s_cbranch_execz .LBB2902_204
; %bb.203:
	s_waitcnt lgkmcnt(0)
	v_mov_b32_e32 v19, v25
.LBB2902_204:
	s_or_b64 exec, exec, s[10:11]
	s_or_b64 s[10:11], s[8:9], exec
	s_waitcnt lgkmcnt(0)
	v_mov_b32_e32 v12, v19
                                        ; implicit-def: $vgpr17
                                        ; implicit-def: $vgpr15
                                        ; implicit-def: $vgpr16
.LBB2902_205:
	s_or_saveexec_b64 s[12:13], s[12:13]
	s_mov_b64 s[14:15], s[6:7]
	s_mov_b64 s[20:21], s[4:5]
                                        ; implicit-def: $vgpr10
                                        ; implicit-def: $vgpr11
	s_xor_b64 exec, exec, s[12:13]
	s_cbranch_execz .LBB2902_209
; %bb.206:
	v_cmp_lt_i64_e32 vcc, 6, v[0:1]
	s_mov_b64 s[20:21], -1
	s_mov_b64 s[16:17], s[10:11]
	s_mov_b64 s[14:15], s[6:7]
	s_and_saveexec_b64 s[22:23], vcc
; %bb.207:
	v_cmp_lt_i64_e32 vcc, 7, v[0:1]
	s_andn2_b64 s[16:17], s[10:11], exec
	s_and_b64 s[24:25], vcc, exec
	s_xor_b64 s[20:21], exec, -1
	s_or_b64 s[14:15], s[6:7], exec
	s_or_b64 s[16:17], s[16:17], s[24:25]
                                        ; implicit-def: $vgpr17
; %bb.208:
	s_or_b64 exec, exec, s[22:23]
	s_andn2_b64 s[22:23], s[4:5], exec
	s_and_b64 s[20:21], s[20:21], exec
	s_or_b64 s[20:21], s[22:23], s[20:21]
	s_andn2_b64 s[22:23], s[6:7], exec
	s_and_b64 s[14:15], s[14:15], exec
	s_andn2_b64 s[10:11], s[10:11], exec
	s_and_b64 s[16:17], s[16:17], exec
	s_or_b64 s[14:15], s[22:23], s[14:15]
	s_or_b64 s[10:11], s[10:11], s[16:17]
	s_waitcnt lgkmcnt(0)
	v_mov_b32_e32 v10, v17
	v_mov_b32_e32 v11, v15
	;; [unrolled: 1-line block ×3, first 2 shown]
.LBB2902_209:
	s_or_b64 exec, exec, s[12:13]
	s_andn2_b64 s[16:17], s[4:5], exec
	s_and_b64 s[20:21], s[20:21], exec
	s_or_b64 s[16:17], s[16:17], s[20:21]
	s_andn2_b64 s[20:21], s[6:7], exec
	s_and_b64 s[14:15], s[14:15], exec
	s_or_b64 s[14:15], s[20:21], s[14:15]
	s_andn2_b64 s[20:21], s[8:9], exec
	s_and_b64 s[10:11], s[10:11], exec
	s_xor_b64 s[12:13], exec, -1
	s_or_b64 s[10:11], s[20:21], s[10:11]
.LBB2902_210:
	s_or_b64 exec, exec, s[0:1]
	s_and_b64 s[0:1], s[12:13], exec
	s_andn2_b64 s[4:5], s[4:5], exec
	s_and_b64 s[12:13], s[16:17], exec
	s_or_b64 s[4:5], s[4:5], s[12:13]
	s_andn2_b64 s[6:7], s[6:7], exec
	s_and_b64 s[12:13], s[14:15], exec
	s_andn2_b64 s[8:9], s[8:9], exec
	s_and_b64 s[10:11], s[10:11], exec
	s_or_b64 s[6:7], s[6:7], s[12:13]
	s_or_b64 s[8:9], s[8:9], s[10:11]
	s_or_b64 exec, exec, s[2:3]
	s_and_saveexec_b64 s[2:3], s[8:9]
	s_cbranch_execz .LBB2902_145
.LBB2902_211:
	v_mov_b32_e32 v2, 0
	s_andn2_b64 s[6:7], s[6:7], exec
	s_waitcnt lgkmcnt(0)
	global_store_short v2, v12, s[18:19]
                                        ; implicit-def: $vgpr10
                                        ; implicit-def: $vgpr11
	s_or_b64 exec, exec, s[2:3]
	s_and_saveexec_b64 s[2:3], s[6:7]
	s_cbranch_execz .LBB2902_146
.LBB2902_212:
	v_mov_b32_e32 v2, 0
	s_waitcnt lgkmcnt(0)
	global_store_short v2, v11, s[18:19]
                                        ; implicit-def: $vgpr10
	s_or_b64 exec, exec, s[2:3]
	s_and_saveexec_b64 s[2:3], s[4:5]
	s_xor_b64 s[2:3], exec, s[2:3]
	s_cbranch_execz .LBB2902_147
.LBB2902_213:
	v_mov_b32_e32 v2, 0
	s_waitcnt lgkmcnt(0)
	global_store_short v2, v10, s[18:19]
	s_or_b64 exec, exec, s[2:3]
	s_and_b64 exec, exec, s[0:1]
	s_cbranch_execz .LBB2902_148
.LBB2902_214:
	v_cmp_lt_i64_e32 vcc, 2, v[0:1]
	s_and_saveexec_b64 s[0:1], vcc
	s_xor_b64 s[0:1], exec, s[0:1]
	s_cbranch_execz .LBB2902_224
; %bb.215:
	v_cmp_lt_i64_e32 vcc, 3, v[0:1]
	s_and_saveexec_b64 s[2:3], vcc
	s_xor_b64 s[2:3], exec, s[2:3]
	s_cbranch_execz .LBB2902_221
; %bb.216:
	;; [unrolled: 5-line block ×3, first 2 shown]
	v_mov_b32_e32 v0, 0
	s_waitcnt lgkmcnt(0)
	global_store_short v0, v9, s[18:19]
                                        ; implicit-def: $vgpr6
.LBB2902_218:
	s_andn2_saveexec_b64 s[4:5], s[4:5]
	s_cbranch_execz .LBB2902_220
; %bb.219:
	v_mov_b32_e32 v0, 0
	s_waitcnt lgkmcnt(0)
	global_store_short v0, v6, s[18:19]
.LBB2902_220:
	s_or_b64 exec, exec, s[4:5]
                                        ; implicit-def: $vgpr8
.LBB2902_221:
	s_andn2_saveexec_b64 s[2:3], s[2:3]
	s_cbranch_execz .LBB2902_223
; %bb.222:
	v_mov_b32_e32 v0, 0
	s_waitcnt lgkmcnt(0)
	global_store_short v0, v8, s[18:19]
.LBB2902_223:
	s_or_b64 exec, exec, s[2:3]
                                        ; implicit-def: $vgpr0_vgpr1
                                        ; implicit-def: $vgpr7
                                        ; implicit-def: $vgpr4
                                        ; implicit-def: $vgpr5
.LBB2902_224:
	s_andn2_saveexec_b64 s[0:1], s[0:1]
	s_cbranch_execz .LBB2902_148
; %bb.225:
	v_cmp_lt_i64_e32 vcc, 1, v[0:1]
	s_and_saveexec_b64 s[0:1], vcc
	s_xor_b64 s[0:1], exec, s[0:1]
	s_cbranch_execz .LBB2902_227
; %bb.226:
	v_mov_b32_e32 v0, 0
	s_waitcnt lgkmcnt(0)
	global_store_short v0, v7, s[18:19]
                                        ; implicit-def: $vgpr4
                                        ; implicit-def: $vgpr0_vgpr1
                                        ; implicit-def: $vgpr5
.LBB2902_227:
	s_andn2_saveexec_b64 s[0:1], s[0:1]
	s_cbranch_execz .LBB2902_148
; %bb.228:
	v_cmp_ne_u64_e32 vcc, 1, v[0:1]
	s_and_saveexec_b64 s[0:1], vcc
	s_xor_b64 s[0:1], exec, s[0:1]
	s_cbranch_execz .LBB2902_230
; %bb.229:
	v_mov_b32_e32 v0, 0
	s_waitcnt lgkmcnt(0)
	global_store_short v0, v5, s[18:19]
                                        ; implicit-def: $vgpr4
.LBB2902_230:
	s_andn2_saveexec_b64 s[0:1], s[0:1]
	s_cbranch_execz .LBB2902_148
; %bb.231:
	v_mov_b32_e32 v0, 0
	s_waitcnt lgkmcnt(0)
	global_store_short v0, v4, s[18:19]
	s_endpgm
	.section	.rodata,"a",@progbits
	.p2align	6, 0x0
	.amdhsa_kernel _ZN7rocprim17ROCPRIM_400000_NS6detail17trampoline_kernelINS0_14default_configENS1_20scan_config_selectorIsEEZZNS1_9scan_implILNS1_25lookback_scan_determinismE0ELb0ELb0ES3_N6thrust23THRUST_200600_302600_NS6detail15normal_iteratorINS9_10device_ptrIsEEEESE_s11max_functorIsEsEEDaPvRmT3_T4_T5_mT6_P12ihipStream_tbENKUlT_T0_E_clISt17integral_constantIbLb0EEST_IbLb1EEEEDaSP_SQ_EUlSP_E_NS1_11comp_targetILNS1_3genE4ELNS1_11target_archE910ELNS1_3gpuE8ELNS1_3repE0EEENS1_30default_config_static_selectorELNS0_4arch9wavefront6targetE1EEEvT1_
		.amdhsa_group_segment_fixed_size 3072
		.amdhsa_private_segment_fixed_size 0
		.amdhsa_kernarg_size 96
		.amdhsa_user_sgpr_count 6
		.amdhsa_user_sgpr_private_segment_buffer 1
		.amdhsa_user_sgpr_dispatch_ptr 0
		.amdhsa_user_sgpr_queue_ptr 0
		.amdhsa_user_sgpr_kernarg_segment_ptr 1
		.amdhsa_user_sgpr_dispatch_id 0
		.amdhsa_user_sgpr_flat_scratch_init 0
		.amdhsa_user_sgpr_kernarg_preload_length 0
		.amdhsa_user_sgpr_kernarg_preload_offset 0
		.amdhsa_user_sgpr_private_segment_size 0
		.amdhsa_uses_dynamic_stack 0
		.amdhsa_system_sgpr_private_segment_wavefront_offset 0
		.amdhsa_system_sgpr_workgroup_id_x 1
		.amdhsa_system_sgpr_workgroup_id_y 0
		.amdhsa_system_sgpr_workgroup_id_z 0
		.amdhsa_system_sgpr_workgroup_info 0
		.amdhsa_system_vgpr_workitem_id 0
		.amdhsa_next_free_vgpr 57
		.amdhsa_next_free_sgpr 38
		.amdhsa_accum_offset 60
		.amdhsa_reserve_vcc 1
		.amdhsa_reserve_flat_scratch 0
		.amdhsa_float_round_mode_32 0
		.amdhsa_float_round_mode_16_64 0
		.amdhsa_float_denorm_mode_32 3
		.amdhsa_float_denorm_mode_16_64 3
		.amdhsa_dx10_clamp 1
		.amdhsa_ieee_mode 1
		.amdhsa_fp16_overflow 0
		.amdhsa_tg_split 0
		.amdhsa_exception_fp_ieee_invalid_op 0
		.amdhsa_exception_fp_denorm_src 0
		.amdhsa_exception_fp_ieee_div_zero 0
		.amdhsa_exception_fp_ieee_overflow 0
		.amdhsa_exception_fp_ieee_underflow 0
		.amdhsa_exception_fp_ieee_inexact 0
		.amdhsa_exception_int_div_zero 0
	.end_amdhsa_kernel
	.section	.text._ZN7rocprim17ROCPRIM_400000_NS6detail17trampoline_kernelINS0_14default_configENS1_20scan_config_selectorIsEEZZNS1_9scan_implILNS1_25lookback_scan_determinismE0ELb0ELb0ES3_N6thrust23THRUST_200600_302600_NS6detail15normal_iteratorINS9_10device_ptrIsEEEESE_s11max_functorIsEsEEDaPvRmT3_T4_T5_mT6_P12ihipStream_tbENKUlT_T0_E_clISt17integral_constantIbLb0EEST_IbLb1EEEEDaSP_SQ_EUlSP_E_NS1_11comp_targetILNS1_3genE4ELNS1_11target_archE910ELNS1_3gpuE8ELNS1_3repE0EEENS1_30default_config_static_selectorELNS0_4arch9wavefront6targetE1EEEvT1_,"axG",@progbits,_ZN7rocprim17ROCPRIM_400000_NS6detail17trampoline_kernelINS0_14default_configENS1_20scan_config_selectorIsEEZZNS1_9scan_implILNS1_25lookback_scan_determinismE0ELb0ELb0ES3_N6thrust23THRUST_200600_302600_NS6detail15normal_iteratorINS9_10device_ptrIsEEEESE_s11max_functorIsEsEEDaPvRmT3_T4_T5_mT6_P12ihipStream_tbENKUlT_T0_E_clISt17integral_constantIbLb0EEST_IbLb1EEEEDaSP_SQ_EUlSP_E_NS1_11comp_targetILNS1_3genE4ELNS1_11target_archE910ELNS1_3gpuE8ELNS1_3repE0EEENS1_30default_config_static_selectorELNS0_4arch9wavefront6targetE1EEEvT1_,comdat
.Lfunc_end2902:
	.size	_ZN7rocprim17ROCPRIM_400000_NS6detail17trampoline_kernelINS0_14default_configENS1_20scan_config_selectorIsEEZZNS1_9scan_implILNS1_25lookback_scan_determinismE0ELb0ELb0ES3_N6thrust23THRUST_200600_302600_NS6detail15normal_iteratorINS9_10device_ptrIsEEEESE_s11max_functorIsEsEEDaPvRmT3_T4_T5_mT6_P12ihipStream_tbENKUlT_T0_E_clISt17integral_constantIbLb0EEST_IbLb1EEEEDaSP_SQ_EUlSP_E_NS1_11comp_targetILNS1_3genE4ELNS1_11target_archE910ELNS1_3gpuE8ELNS1_3repE0EEENS1_30default_config_static_selectorELNS0_4arch9wavefront6targetE1EEEvT1_, .Lfunc_end2902-_ZN7rocprim17ROCPRIM_400000_NS6detail17trampoline_kernelINS0_14default_configENS1_20scan_config_selectorIsEEZZNS1_9scan_implILNS1_25lookback_scan_determinismE0ELb0ELb0ES3_N6thrust23THRUST_200600_302600_NS6detail15normal_iteratorINS9_10device_ptrIsEEEESE_s11max_functorIsEsEEDaPvRmT3_T4_T5_mT6_P12ihipStream_tbENKUlT_T0_E_clISt17integral_constantIbLb0EEST_IbLb1EEEEDaSP_SQ_EUlSP_E_NS1_11comp_targetILNS1_3genE4ELNS1_11target_archE910ELNS1_3gpuE8ELNS1_3repE0EEENS1_30default_config_static_selectorELNS0_4arch9wavefront6targetE1EEEvT1_
                                        ; -- End function
	.section	.AMDGPU.csdata,"",@progbits
; Kernel info:
; codeLenInByte = 7992
; NumSgprs: 42
; NumVgprs: 57
; NumAgprs: 0
; TotalNumVgprs: 57
; ScratchSize: 0
; MemoryBound: 0
; FloatMode: 240
; IeeeMode: 1
; LDSByteSize: 3072 bytes/workgroup (compile time only)
; SGPRBlocks: 5
; VGPRBlocks: 7
; NumSGPRsForWavesPerEU: 42
; NumVGPRsForWavesPerEU: 57
; AccumOffset: 60
; Occupancy: 6
; WaveLimiterHint : 1
; COMPUTE_PGM_RSRC2:SCRATCH_EN: 0
; COMPUTE_PGM_RSRC2:USER_SGPR: 6
; COMPUTE_PGM_RSRC2:TRAP_HANDLER: 0
; COMPUTE_PGM_RSRC2:TGID_X_EN: 1
; COMPUTE_PGM_RSRC2:TGID_Y_EN: 0
; COMPUTE_PGM_RSRC2:TGID_Z_EN: 0
; COMPUTE_PGM_RSRC2:TIDIG_COMP_CNT: 0
; COMPUTE_PGM_RSRC3_GFX90A:ACCUM_OFFSET: 14
; COMPUTE_PGM_RSRC3_GFX90A:TG_SPLIT: 0
	.section	.text._ZN7rocprim17ROCPRIM_400000_NS6detail17trampoline_kernelINS0_14default_configENS1_20scan_config_selectorIsEEZZNS1_9scan_implILNS1_25lookback_scan_determinismE0ELb0ELb0ES3_N6thrust23THRUST_200600_302600_NS6detail15normal_iteratorINS9_10device_ptrIsEEEESE_s11max_functorIsEsEEDaPvRmT3_T4_T5_mT6_P12ihipStream_tbENKUlT_T0_E_clISt17integral_constantIbLb0EEST_IbLb1EEEEDaSP_SQ_EUlSP_E_NS1_11comp_targetILNS1_3genE3ELNS1_11target_archE908ELNS1_3gpuE7ELNS1_3repE0EEENS1_30default_config_static_selectorELNS0_4arch9wavefront6targetE1EEEvT1_,"axG",@progbits,_ZN7rocprim17ROCPRIM_400000_NS6detail17trampoline_kernelINS0_14default_configENS1_20scan_config_selectorIsEEZZNS1_9scan_implILNS1_25lookback_scan_determinismE0ELb0ELb0ES3_N6thrust23THRUST_200600_302600_NS6detail15normal_iteratorINS9_10device_ptrIsEEEESE_s11max_functorIsEsEEDaPvRmT3_T4_T5_mT6_P12ihipStream_tbENKUlT_T0_E_clISt17integral_constantIbLb0EEST_IbLb1EEEEDaSP_SQ_EUlSP_E_NS1_11comp_targetILNS1_3genE3ELNS1_11target_archE908ELNS1_3gpuE7ELNS1_3repE0EEENS1_30default_config_static_selectorELNS0_4arch9wavefront6targetE1EEEvT1_,comdat
	.protected	_ZN7rocprim17ROCPRIM_400000_NS6detail17trampoline_kernelINS0_14default_configENS1_20scan_config_selectorIsEEZZNS1_9scan_implILNS1_25lookback_scan_determinismE0ELb0ELb0ES3_N6thrust23THRUST_200600_302600_NS6detail15normal_iteratorINS9_10device_ptrIsEEEESE_s11max_functorIsEsEEDaPvRmT3_T4_T5_mT6_P12ihipStream_tbENKUlT_T0_E_clISt17integral_constantIbLb0EEST_IbLb1EEEEDaSP_SQ_EUlSP_E_NS1_11comp_targetILNS1_3genE3ELNS1_11target_archE908ELNS1_3gpuE7ELNS1_3repE0EEENS1_30default_config_static_selectorELNS0_4arch9wavefront6targetE1EEEvT1_ ; -- Begin function _ZN7rocprim17ROCPRIM_400000_NS6detail17trampoline_kernelINS0_14default_configENS1_20scan_config_selectorIsEEZZNS1_9scan_implILNS1_25lookback_scan_determinismE0ELb0ELb0ES3_N6thrust23THRUST_200600_302600_NS6detail15normal_iteratorINS9_10device_ptrIsEEEESE_s11max_functorIsEsEEDaPvRmT3_T4_T5_mT6_P12ihipStream_tbENKUlT_T0_E_clISt17integral_constantIbLb0EEST_IbLb1EEEEDaSP_SQ_EUlSP_E_NS1_11comp_targetILNS1_3genE3ELNS1_11target_archE908ELNS1_3gpuE7ELNS1_3repE0EEENS1_30default_config_static_selectorELNS0_4arch9wavefront6targetE1EEEvT1_
	.globl	_ZN7rocprim17ROCPRIM_400000_NS6detail17trampoline_kernelINS0_14default_configENS1_20scan_config_selectorIsEEZZNS1_9scan_implILNS1_25lookback_scan_determinismE0ELb0ELb0ES3_N6thrust23THRUST_200600_302600_NS6detail15normal_iteratorINS9_10device_ptrIsEEEESE_s11max_functorIsEsEEDaPvRmT3_T4_T5_mT6_P12ihipStream_tbENKUlT_T0_E_clISt17integral_constantIbLb0EEST_IbLb1EEEEDaSP_SQ_EUlSP_E_NS1_11comp_targetILNS1_3genE3ELNS1_11target_archE908ELNS1_3gpuE7ELNS1_3repE0EEENS1_30default_config_static_selectorELNS0_4arch9wavefront6targetE1EEEvT1_
	.p2align	8
	.type	_ZN7rocprim17ROCPRIM_400000_NS6detail17trampoline_kernelINS0_14default_configENS1_20scan_config_selectorIsEEZZNS1_9scan_implILNS1_25lookback_scan_determinismE0ELb0ELb0ES3_N6thrust23THRUST_200600_302600_NS6detail15normal_iteratorINS9_10device_ptrIsEEEESE_s11max_functorIsEsEEDaPvRmT3_T4_T5_mT6_P12ihipStream_tbENKUlT_T0_E_clISt17integral_constantIbLb0EEST_IbLb1EEEEDaSP_SQ_EUlSP_E_NS1_11comp_targetILNS1_3genE3ELNS1_11target_archE908ELNS1_3gpuE7ELNS1_3repE0EEENS1_30default_config_static_selectorELNS0_4arch9wavefront6targetE1EEEvT1_,@function
_ZN7rocprim17ROCPRIM_400000_NS6detail17trampoline_kernelINS0_14default_configENS1_20scan_config_selectorIsEEZZNS1_9scan_implILNS1_25lookback_scan_determinismE0ELb0ELb0ES3_N6thrust23THRUST_200600_302600_NS6detail15normal_iteratorINS9_10device_ptrIsEEEESE_s11max_functorIsEsEEDaPvRmT3_T4_T5_mT6_P12ihipStream_tbENKUlT_T0_E_clISt17integral_constantIbLb0EEST_IbLb1EEEEDaSP_SQ_EUlSP_E_NS1_11comp_targetILNS1_3genE3ELNS1_11target_archE908ELNS1_3gpuE7ELNS1_3repE0EEENS1_30default_config_static_selectorELNS0_4arch9wavefront6targetE1EEEvT1_: ; @_ZN7rocprim17ROCPRIM_400000_NS6detail17trampoline_kernelINS0_14default_configENS1_20scan_config_selectorIsEEZZNS1_9scan_implILNS1_25lookback_scan_determinismE0ELb0ELb0ES3_N6thrust23THRUST_200600_302600_NS6detail15normal_iteratorINS9_10device_ptrIsEEEESE_s11max_functorIsEsEEDaPvRmT3_T4_T5_mT6_P12ihipStream_tbENKUlT_T0_E_clISt17integral_constantIbLb0EEST_IbLb1EEEEDaSP_SQ_EUlSP_E_NS1_11comp_targetILNS1_3genE3ELNS1_11target_archE908ELNS1_3gpuE7ELNS1_3repE0EEENS1_30default_config_static_selectorELNS0_4arch9wavefront6targetE1EEEvT1_
; %bb.0:
	.section	.rodata,"a",@progbits
	.p2align	6, 0x0
	.amdhsa_kernel _ZN7rocprim17ROCPRIM_400000_NS6detail17trampoline_kernelINS0_14default_configENS1_20scan_config_selectorIsEEZZNS1_9scan_implILNS1_25lookback_scan_determinismE0ELb0ELb0ES3_N6thrust23THRUST_200600_302600_NS6detail15normal_iteratorINS9_10device_ptrIsEEEESE_s11max_functorIsEsEEDaPvRmT3_T4_T5_mT6_P12ihipStream_tbENKUlT_T0_E_clISt17integral_constantIbLb0EEST_IbLb1EEEEDaSP_SQ_EUlSP_E_NS1_11comp_targetILNS1_3genE3ELNS1_11target_archE908ELNS1_3gpuE7ELNS1_3repE0EEENS1_30default_config_static_selectorELNS0_4arch9wavefront6targetE1EEEvT1_
		.amdhsa_group_segment_fixed_size 0
		.amdhsa_private_segment_fixed_size 0
		.amdhsa_kernarg_size 96
		.amdhsa_user_sgpr_count 6
		.amdhsa_user_sgpr_private_segment_buffer 1
		.amdhsa_user_sgpr_dispatch_ptr 0
		.amdhsa_user_sgpr_queue_ptr 0
		.amdhsa_user_sgpr_kernarg_segment_ptr 1
		.amdhsa_user_sgpr_dispatch_id 0
		.amdhsa_user_sgpr_flat_scratch_init 0
		.amdhsa_user_sgpr_kernarg_preload_length 0
		.amdhsa_user_sgpr_kernarg_preload_offset 0
		.amdhsa_user_sgpr_private_segment_size 0
		.amdhsa_uses_dynamic_stack 0
		.amdhsa_system_sgpr_private_segment_wavefront_offset 0
		.amdhsa_system_sgpr_workgroup_id_x 1
		.amdhsa_system_sgpr_workgroup_id_y 0
		.amdhsa_system_sgpr_workgroup_id_z 0
		.amdhsa_system_sgpr_workgroup_info 0
		.amdhsa_system_vgpr_workitem_id 0
		.amdhsa_next_free_vgpr 1
		.amdhsa_next_free_sgpr 0
		.amdhsa_accum_offset 4
		.amdhsa_reserve_vcc 0
		.amdhsa_reserve_flat_scratch 0
		.amdhsa_float_round_mode_32 0
		.amdhsa_float_round_mode_16_64 0
		.amdhsa_float_denorm_mode_32 3
		.amdhsa_float_denorm_mode_16_64 3
		.amdhsa_dx10_clamp 1
		.amdhsa_ieee_mode 1
		.amdhsa_fp16_overflow 0
		.amdhsa_tg_split 0
		.amdhsa_exception_fp_ieee_invalid_op 0
		.amdhsa_exception_fp_denorm_src 0
		.amdhsa_exception_fp_ieee_div_zero 0
		.amdhsa_exception_fp_ieee_overflow 0
		.amdhsa_exception_fp_ieee_underflow 0
		.amdhsa_exception_fp_ieee_inexact 0
		.amdhsa_exception_int_div_zero 0
	.end_amdhsa_kernel
	.section	.text._ZN7rocprim17ROCPRIM_400000_NS6detail17trampoline_kernelINS0_14default_configENS1_20scan_config_selectorIsEEZZNS1_9scan_implILNS1_25lookback_scan_determinismE0ELb0ELb0ES3_N6thrust23THRUST_200600_302600_NS6detail15normal_iteratorINS9_10device_ptrIsEEEESE_s11max_functorIsEsEEDaPvRmT3_T4_T5_mT6_P12ihipStream_tbENKUlT_T0_E_clISt17integral_constantIbLb0EEST_IbLb1EEEEDaSP_SQ_EUlSP_E_NS1_11comp_targetILNS1_3genE3ELNS1_11target_archE908ELNS1_3gpuE7ELNS1_3repE0EEENS1_30default_config_static_selectorELNS0_4arch9wavefront6targetE1EEEvT1_,"axG",@progbits,_ZN7rocprim17ROCPRIM_400000_NS6detail17trampoline_kernelINS0_14default_configENS1_20scan_config_selectorIsEEZZNS1_9scan_implILNS1_25lookback_scan_determinismE0ELb0ELb0ES3_N6thrust23THRUST_200600_302600_NS6detail15normal_iteratorINS9_10device_ptrIsEEEESE_s11max_functorIsEsEEDaPvRmT3_T4_T5_mT6_P12ihipStream_tbENKUlT_T0_E_clISt17integral_constantIbLb0EEST_IbLb1EEEEDaSP_SQ_EUlSP_E_NS1_11comp_targetILNS1_3genE3ELNS1_11target_archE908ELNS1_3gpuE7ELNS1_3repE0EEENS1_30default_config_static_selectorELNS0_4arch9wavefront6targetE1EEEvT1_,comdat
.Lfunc_end2903:
	.size	_ZN7rocprim17ROCPRIM_400000_NS6detail17trampoline_kernelINS0_14default_configENS1_20scan_config_selectorIsEEZZNS1_9scan_implILNS1_25lookback_scan_determinismE0ELb0ELb0ES3_N6thrust23THRUST_200600_302600_NS6detail15normal_iteratorINS9_10device_ptrIsEEEESE_s11max_functorIsEsEEDaPvRmT3_T4_T5_mT6_P12ihipStream_tbENKUlT_T0_E_clISt17integral_constantIbLb0EEST_IbLb1EEEEDaSP_SQ_EUlSP_E_NS1_11comp_targetILNS1_3genE3ELNS1_11target_archE908ELNS1_3gpuE7ELNS1_3repE0EEENS1_30default_config_static_selectorELNS0_4arch9wavefront6targetE1EEEvT1_, .Lfunc_end2903-_ZN7rocprim17ROCPRIM_400000_NS6detail17trampoline_kernelINS0_14default_configENS1_20scan_config_selectorIsEEZZNS1_9scan_implILNS1_25lookback_scan_determinismE0ELb0ELb0ES3_N6thrust23THRUST_200600_302600_NS6detail15normal_iteratorINS9_10device_ptrIsEEEESE_s11max_functorIsEsEEDaPvRmT3_T4_T5_mT6_P12ihipStream_tbENKUlT_T0_E_clISt17integral_constantIbLb0EEST_IbLb1EEEEDaSP_SQ_EUlSP_E_NS1_11comp_targetILNS1_3genE3ELNS1_11target_archE908ELNS1_3gpuE7ELNS1_3repE0EEENS1_30default_config_static_selectorELNS0_4arch9wavefront6targetE1EEEvT1_
                                        ; -- End function
	.section	.AMDGPU.csdata,"",@progbits
; Kernel info:
; codeLenInByte = 0
; NumSgprs: 4
; NumVgprs: 0
; NumAgprs: 0
; TotalNumVgprs: 0
; ScratchSize: 0
; MemoryBound: 0
; FloatMode: 240
; IeeeMode: 1
; LDSByteSize: 0 bytes/workgroup (compile time only)
; SGPRBlocks: 0
; VGPRBlocks: 0
; NumSGPRsForWavesPerEU: 4
; NumVGPRsForWavesPerEU: 1
; AccumOffset: 4
; Occupancy: 8
; WaveLimiterHint : 0
; COMPUTE_PGM_RSRC2:SCRATCH_EN: 0
; COMPUTE_PGM_RSRC2:USER_SGPR: 6
; COMPUTE_PGM_RSRC2:TRAP_HANDLER: 0
; COMPUTE_PGM_RSRC2:TGID_X_EN: 1
; COMPUTE_PGM_RSRC2:TGID_Y_EN: 0
; COMPUTE_PGM_RSRC2:TGID_Z_EN: 0
; COMPUTE_PGM_RSRC2:TIDIG_COMP_CNT: 0
; COMPUTE_PGM_RSRC3_GFX90A:ACCUM_OFFSET: 0
; COMPUTE_PGM_RSRC3_GFX90A:TG_SPLIT: 0
	.section	.text._ZN7rocprim17ROCPRIM_400000_NS6detail17trampoline_kernelINS0_14default_configENS1_20scan_config_selectorIsEEZZNS1_9scan_implILNS1_25lookback_scan_determinismE0ELb0ELb0ES3_N6thrust23THRUST_200600_302600_NS6detail15normal_iteratorINS9_10device_ptrIsEEEESE_s11max_functorIsEsEEDaPvRmT3_T4_T5_mT6_P12ihipStream_tbENKUlT_T0_E_clISt17integral_constantIbLb0EEST_IbLb1EEEEDaSP_SQ_EUlSP_E_NS1_11comp_targetILNS1_3genE2ELNS1_11target_archE906ELNS1_3gpuE6ELNS1_3repE0EEENS1_30default_config_static_selectorELNS0_4arch9wavefront6targetE1EEEvT1_,"axG",@progbits,_ZN7rocprim17ROCPRIM_400000_NS6detail17trampoline_kernelINS0_14default_configENS1_20scan_config_selectorIsEEZZNS1_9scan_implILNS1_25lookback_scan_determinismE0ELb0ELb0ES3_N6thrust23THRUST_200600_302600_NS6detail15normal_iteratorINS9_10device_ptrIsEEEESE_s11max_functorIsEsEEDaPvRmT3_T4_T5_mT6_P12ihipStream_tbENKUlT_T0_E_clISt17integral_constantIbLb0EEST_IbLb1EEEEDaSP_SQ_EUlSP_E_NS1_11comp_targetILNS1_3genE2ELNS1_11target_archE906ELNS1_3gpuE6ELNS1_3repE0EEENS1_30default_config_static_selectorELNS0_4arch9wavefront6targetE1EEEvT1_,comdat
	.protected	_ZN7rocprim17ROCPRIM_400000_NS6detail17trampoline_kernelINS0_14default_configENS1_20scan_config_selectorIsEEZZNS1_9scan_implILNS1_25lookback_scan_determinismE0ELb0ELb0ES3_N6thrust23THRUST_200600_302600_NS6detail15normal_iteratorINS9_10device_ptrIsEEEESE_s11max_functorIsEsEEDaPvRmT3_T4_T5_mT6_P12ihipStream_tbENKUlT_T0_E_clISt17integral_constantIbLb0EEST_IbLb1EEEEDaSP_SQ_EUlSP_E_NS1_11comp_targetILNS1_3genE2ELNS1_11target_archE906ELNS1_3gpuE6ELNS1_3repE0EEENS1_30default_config_static_selectorELNS0_4arch9wavefront6targetE1EEEvT1_ ; -- Begin function _ZN7rocprim17ROCPRIM_400000_NS6detail17trampoline_kernelINS0_14default_configENS1_20scan_config_selectorIsEEZZNS1_9scan_implILNS1_25lookback_scan_determinismE0ELb0ELb0ES3_N6thrust23THRUST_200600_302600_NS6detail15normal_iteratorINS9_10device_ptrIsEEEESE_s11max_functorIsEsEEDaPvRmT3_T4_T5_mT6_P12ihipStream_tbENKUlT_T0_E_clISt17integral_constantIbLb0EEST_IbLb1EEEEDaSP_SQ_EUlSP_E_NS1_11comp_targetILNS1_3genE2ELNS1_11target_archE906ELNS1_3gpuE6ELNS1_3repE0EEENS1_30default_config_static_selectorELNS0_4arch9wavefront6targetE1EEEvT1_
	.globl	_ZN7rocprim17ROCPRIM_400000_NS6detail17trampoline_kernelINS0_14default_configENS1_20scan_config_selectorIsEEZZNS1_9scan_implILNS1_25lookback_scan_determinismE0ELb0ELb0ES3_N6thrust23THRUST_200600_302600_NS6detail15normal_iteratorINS9_10device_ptrIsEEEESE_s11max_functorIsEsEEDaPvRmT3_T4_T5_mT6_P12ihipStream_tbENKUlT_T0_E_clISt17integral_constantIbLb0EEST_IbLb1EEEEDaSP_SQ_EUlSP_E_NS1_11comp_targetILNS1_3genE2ELNS1_11target_archE906ELNS1_3gpuE6ELNS1_3repE0EEENS1_30default_config_static_selectorELNS0_4arch9wavefront6targetE1EEEvT1_
	.p2align	8
	.type	_ZN7rocprim17ROCPRIM_400000_NS6detail17trampoline_kernelINS0_14default_configENS1_20scan_config_selectorIsEEZZNS1_9scan_implILNS1_25lookback_scan_determinismE0ELb0ELb0ES3_N6thrust23THRUST_200600_302600_NS6detail15normal_iteratorINS9_10device_ptrIsEEEESE_s11max_functorIsEsEEDaPvRmT3_T4_T5_mT6_P12ihipStream_tbENKUlT_T0_E_clISt17integral_constantIbLb0EEST_IbLb1EEEEDaSP_SQ_EUlSP_E_NS1_11comp_targetILNS1_3genE2ELNS1_11target_archE906ELNS1_3gpuE6ELNS1_3repE0EEENS1_30default_config_static_selectorELNS0_4arch9wavefront6targetE1EEEvT1_,@function
_ZN7rocprim17ROCPRIM_400000_NS6detail17trampoline_kernelINS0_14default_configENS1_20scan_config_selectorIsEEZZNS1_9scan_implILNS1_25lookback_scan_determinismE0ELb0ELb0ES3_N6thrust23THRUST_200600_302600_NS6detail15normal_iteratorINS9_10device_ptrIsEEEESE_s11max_functorIsEsEEDaPvRmT3_T4_T5_mT6_P12ihipStream_tbENKUlT_T0_E_clISt17integral_constantIbLb0EEST_IbLb1EEEEDaSP_SQ_EUlSP_E_NS1_11comp_targetILNS1_3genE2ELNS1_11target_archE906ELNS1_3gpuE6ELNS1_3repE0EEENS1_30default_config_static_selectorELNS0_4arch9wavefront6targetE1EEEvT1_: ; @_ZN7rocprim17ROCPRIM_400000_NS6detail17trampoline_kernelINS0_14default_configENS1_20scan_config_selectorIsEEZZNS1_9scan_implILNS1_25lookback_scan_determinismE0ELb0ELb0ES3_N6thrust23THRUST_200600_302600_NS6detail15normal_iteratorINS9_10device_ptrIsEEEESE_s11max_functorIsEsEEDaPvRmT3_T4_T5_mT6_P12ihipStream_tbENKUlT_T0_E_clISt17integral_constantIbLb0EEST_IbLb1EEEEDaSP_SQ_EUlSP_E_NS1_11comp_targetILNS1_3genE2ELNS1_11target_archE906ELNS1_3gpuE6ELNS1_3repE0EEENS1_30default_config_static_selectorELNS0_4arch9wavefront6targetE1EEEvT1_
; %bb.0:
	.section	.rodata,"a",@progbits
	.p2align	6, 0x0
	.amdhsa_kernel _ZN7rocprim17ROCPRIM_400000_NS6detail17trampoline_kernelINS0_14default_configENS1_20scan_config_selectorIsEEZZNS1_9scan_implILNS1_25lookback_scan_determinismE0ELb0ELb0ES3_N6thrust23THRUST_200600_302600_NS6detail15normal_iteratorINS9_10device_ptrIsEEEESE_s11max_functorIsEsEEDaPvRmT3_T4_T5_mT6_P12ihipStream_tbENKUlT_T0_E_clISt17integral_constantIbLb0EEST_IbLb1EEEEDaSP_SQ_EUlSP_E_NS1_11comp_targetILNS1_3genE2ELNS1_11target_archE906ELNS1_3gpuE6ELNS1_3repE0EEENS1_30default_config_static_selectorELNS0_4arch9wavefront6targetE1EEEvT1_
		.amdhsa_group_segment_fixed_size 0
		.amdhsa_private_segment_fixed_size 0
		.amdhsa_kernarg_size 96
		.amdhsa_user_sgpr_count 6
		.amdhsa_user_sgpr_private_segment_buffer 1
		.amdhsa_user_sgpr_dispatch_ptr 0
		.amdhsa_user_sgpr_queue_ptr 0
		.amdhsa_user_sgpr_kernarg_segment_ptr 1
		.amdhsa_user_sgpr_dispatch_id 0
		.amdhsa_user_sgpr_flat_scratch_init 0
		.amdhsa_user_sgpr_kernarg_preload_length 0
		.amdhsa_user_sgpr_kernarg_preload_offset 0
		.amdhsa_user_sgpr_private_segment_size 0
		.amdhsa_uses_dynamic_stack 0
		.amdhsa_system_sgpr_private_segment_wavefront_offset 0
		.amdhsa_system_sgpr_workgroup_id_x 1
		.amdhsa_system_sgpr_workgroup_id_y 0
		.amdhsa_system_sgpr_workgroup_id_z 0
		.amdhsa_system_sgpr_workgroup_info 0
		.amdhsa_system_vgpr_workitem_id 0
		.amdhsa_next_free_vgpr 1
		.amdhsa_next_free_sgpr 0
		.amdhsa_accum_offset 4
		.amdhsa_reserve_vcc 0
		.amdhsa_reserve_flat_scratch 0
		.amdhsa_float_round_mode_32 0
		.amdhsa_float_round_mode_16_64 0
		.amdhsa_float_denorm_mode_32 3
		.amdhsa_float_denorm_mode_16_64 3
		.amdhsa_dx10_clamp 1
		.amdhsa_ieee_mode 1
		.amdhsa_fp16_overflow 0
		.amdhsa_tg_split 0
		.amdhsa_exception_fp_ieee_invalid_op 0
		.amdhsa_exception_fp_denorm_src 0
		.amdhsa_exception_fp_ieee_div_zero 0
		.amdhsa_exception_fp_ieee_overflow 0
		.amdhsa_exception_fp_ieee_underflow 0
		.amdhsa_exception_fp_ieee_inexact 0
		.amdhsa_exception_int_div_zero 0
	.end_amdhsa_kernel
	.section	.text._ZN7rocprim17ROCPRIM_400000_NS6detail17trampoline_kernelINS0_14default_configENS1_20scan_config_selectorIsEEZZNS1_9scan_implILNS1_25lookback_scan_determinismE0ELb0ELb0ES3_N6thrust23THRUST_200600_302600_NS6detail15normal_iteratorINS9_10device_ptrIsEEEESE_s11max_functorIsEsEEDaPvRmT3_T4_T5_mT6_P12ihipStream_tbENKUlT_T0_E_clISt17integral_constantIbLb0EEST_IbLb1EEEEDaSP_SQ_EUlSP_E_NS1_11comp_targetILNS1_3genE2ELNS1_11target_archE906ELNS1_3gpuE6ELNS1_3repE0EEENS1_30default_config_static_selectorELNS0_4arch9wavefront6targetE1EEEvT1_,"axG",@progbits,_ZN7rocprim17ROCPRIM_400000_NS6detail17trampoline_kernelINS0_14default_configENS1_20scan_config_selectorIsEEZZNS1_9scan_implILNS1_25lookback_scan_determinismE0ELb0ELb0ES3_N6thrust23THRUST_200600_302600_NS6detail15normal_iteratorINS9_10device_ptrIsEEEESE_s11max_functorIsEsEEDaPvRmT3_T4_T5_mT6_P12ihipStream_tbENKUlT_T0_E_clISt17integral_constantIbLb0EEST_IbLb1EEEEDaSP_SQ_EUlSP_E_NS1_11comp_targetILNS1_3genE2ELNS1_11target_archE906ELNS1_3gpuE6ELNS1_3repE0EEENS1_30default_config_static_selectorELNS0_4arch9wavefront6targetE1EEEvT1_,comdat
.Lfunc_end2904:
	.size	_ZN7rocprim17ROCPRIM_400000_NS6detail17trampoline_kernelINS0_14default_configENS1_20scan_config_selectorIsEEZZNS1_9scan_implILNS1_25lookback_scan_determinismE0ELb0ELb0ES3_N6thrust23THRUST_200600_302600_NS6detail15normal_iteratorINS9_10device_ptrIsEEEESE_s11max_functorIsEsEEDaPvRmT3_T4_T5_mT6_P12ihipStream_tbENKUlT_T0_E_clISt17integral_constantIbLb0EEST_IbLb1EEEEDaSP_SQ_EUlSP_E_NS1_11comp_targetILNS1_3genE2ELNS1_11target_archE906ELNS1_3gpuE6ELNS1_3repE0EEENS1_30default_config_static_selectorELNS0_4arch9wavefront6targetE1EEEvT1_, .Lfunc_end2904-_ZN7rocprim17ROCPRIM_400000_NS6detail17trampoline_kernelINS0_14default_configENS1_20scan_config_selectorIsEEZZNS1_9scan_implILNS1_25lookback_scan_determinismE0ELb0ELb0ES3_N6thrust23THRUST_200600_302600_NS6detail15normal_iteratorINS9_10device_ptrIsEEEESE_s11max_functorIsEsEEDaPvRmT3_T4_T5_mT6_P12ihipStream_tbENKUlT_T0_E_clISt17integral_constantIbLb0EEST_IbLb1EEEEDaSP_SQ_EUlSP_E_NS1_11comp_targetILNS1_3genE2ELNS1_11target_archE906ELNS1_3gpuE6ELNS1_3repE0EEENS1_30default_config_static_selectorELNS0_4arch9wavefront6targetE1EEEvT1_
                                        ; -- End function
	.section	.AMDGPU.csdata,"",@progbits
; Kernel info:
; codeLenInByte = 0
; NumSgprs: 4
; NumVgprs: 0
; NumAgprs: 0
; TotalNumVgprs: 0
; ScratchSize: 0
; MemoryBound: 0
; FloatMode: 240
; IeeeMode: 1
; LDSByteSize: 0 bytes/workgroup (compile time only)
; SGPRBlocks: 0
; VGPRBlocks: 0
; NumSGPRsForWavesPerEU: 4
; NumVGPRsForWavesPerEU: 1
; AccumOffset: 4
; Occupancy: 8
; WaveLimiterHint : 0
; COMPUTE_PGM_RSRC2:SCRATCH_EN: 0
; COMPUTE_PGM_RSRC2:USER_SGPR: 6
; COMPUTE_PGM_RSRC2:TRAP_HANDLER: 0
; COMPUTE_PGM_RSRC2:TGID_X_EN: 1
; COMPUTE_PGM_RSRC2:TGID_Y_EN: 0
; COMPUTE_PGM_RSRC2:TGID_Z_EN: 0
; COMPUTE_PGM_RSRC2:TIDIG_COMP_CNT: 0
; COMPUTE_PGM_RSRC3_GFX90A:ACCUM_OFFSET: 0
; COMPUTE_PGM_RSRC3_GFX90A:TG_SPLIT: 0
	.section	.text._ZN7rocprim17ROCPRIM_400000_NS6detail17trampoline_kernelINS0_14default_configENS1_20scan_config_selectorIsEEZZNS1_9scan_implILNS1_25lookback_scan_determinismE0ELb0ELb0ES3_N6thrust23THRUST_200600_302600_NS6detail15normal_iteratorINS9_10device_ptrIsEEEESE_s11max_functorIsEsEEDaPvRmT3_T4_T5_mT6_P12ihipStream_tbENKUlT_T0_E_clISt17integral_constantIbLb0EEST_IbLb1EEEEDaSP_SQ_EUlSP_E_NS1_11comp_targetILNS1_3genE10ELNS1_11target_archE1201ELNS1_3gpuE5ELNS1_3repE0EEENS1_30default_config_static_selectorELNS0_4arch9wavefront6targetE1EEEvT1_,"axG",@progbits,_ZN7rocprim17ROCPRIM_400000_NS6detail17trampoline_kernelINS0_14default_configENS1_20scan_config_selectorIsEEZZNS1_9scan_implILNS1_25lookback_scan_determinismE0ELb0ELb0ES3_N6thrust23THRUST_200600_302600_NS6detail15normal_iteratorINS9_10device_ptrIsEEEESE_s11max_functorIsEsEEDaPvRmT3_T4_T5_mT6_P12ihipStream_tbENKUlT_T0_E_clISt17integral_constantIbLb0EEST_IbLb1EEEEDaSP_SQ_EUlSP_E_NS1_11comp_targetILNS1_3genE10ELNS1_11target_archE1201ELNS1_3gpuE5ELNS1_3repE0EEENS1_30default_config_static_selectorELNS0_4arch9wavefront6targetE1EEEvT1_,comdat
	.protected	_ZN7rocprim17ROCPRIM_400000_NS6detail17trampoline_kernelINS0_14default_configENS1_20scan_config_selectorIsEEZZNS1_9scan_implILNS1_25lookback_scan_determinismE0ELb0ELb0ES3_N6thrust23THRUST_200600_302600_NS6detail15normal_iteratorINS9_10device_ptrIsEEEESE_s11max_functorIsEsEEDaPvRmT3_T4_T5_mT6_P12ihipStream_tbENKUlT_T0_E_clISt17integral_constantIbLb0EEST_IbLb1EEEEDaSP_SQ_EUlSP_E_NS1_11comp_targetILNS1_3genE10ELNS1_11target_archE1201ELNS1_3gpuE5ELNS1_3repE0EEENS1_30default_config_static_selectorELNS0_4arch9wavefront6targetE1EEEvT1_ ; -- Begin function _ZN7rocprim17ROCPRIM_400000_NS6detail17trampoline_kernelINS0_14default_configENS1_20scan_config_selectorIsEEZZNS1_9scan_implILNS1_25lookback_scan_determinismE0ELb0ELb0ES3_N6thrust23THRUST_200600_302600_NS6detail15normal_iteratorINS9_10device_ptrIsEEEESE_s11max_functorIsEsEEDaPvRmT3_T4_T5_mT6_P12ihipStream_tbENKUlT_T0_E_clISt17integral_constantIbLb0EEST_IbLb1EEEEDaSP_SQ_EUlSP_E_NS1_11comp_targetILNS1_3genE10ELNS1_11target_archE1201ELNS1_3gpuE5ELNS1_3repE0EEENS1_30default_config_static_selectorELNS0_4arch9wavefront6targetE1EEEvT1_
	.globl	_ZN7rocprim17ROCPRIM_400000_NS6detail17trampoline_kernelINS0_14default_configENS1_20scan_config_selectorIsEEZZNS1_9scan_implILNS1_25lookback_scan_determinismE0ELb0ELb0ES3_N6thrust23THRUST_200600_302600_NS6detail15normal_iteratorINS9_10device_ptrIsEEEESE_s11max_functorIsEsEEDaPvRmT3_T4_T5_mT6_P12ihipStream_tbENKUlT_T0_E_clISt17integral_constantIbLb0EEST_IbLb1EEEEDaSP_SQ_EUlSP_E_NS1_11comp_targetILNS1_3genE10ELNS1_11target_archE1201ELNS1_3gpuE5ELNS1_3repE0EEENS1_30default_config_static_selectorELNS0_4arch9wavefront6targetE1EEEvT1_
	.p2align	8
	.type	_ZN7rocprim17ROCPRIM_400000_NS6detail17trampoline_kernelINS0_14default_configENS1_20scan_config_selectorIsEEZZNS1_9scan_implILNS1_25lookback_scan_determinismE0ELb0ELb0ES3_N6thrust23THRUST_200600_302600_NS6detail15normal_iteratorINS9_10device_ptrIsEEEESE_s11max_functorIsEsEEDaPvRmT3_T4_T5_mT6_P12ihipStream_tbENKUlT_T0_E_clISt17integral_constantIbLb0EEST_IbLb1EEEEDaSP_SQ_EUlSP_E_NS1_11comp_targetILNS1_3genE10ELNS1_11target_archE1201ELNS1_3gpuE5ELNS1_3repE0EEENS1_30default_config_static_selectorELNS0_4arch9wavefront6targetE1EEEvT1_,@function
_ZN7rocprim17ROCPRIM_400000_NS6detail17trampoline_kernelINS0_14default_configENS1_20scan_config_selectorIsEEZZNS1_9scan_implILNS1_25lookback_scan_determinismE0ELb0ELb0ES3_N6thrust23THRUST_200600_302600_NS6detail15normal_iteratorINS9_10device_ptrIsEEEESE_s11max_functorIsEsEEDaPvRmT3_T4_T5_mT6_P12ihipStream_tbENKUlT_T0_E_clISt17integral_constantIbLb0EEST_IbLb1EEEEDaSP_SQ_EUlSP_E_NS1_11comp_targetILNS1_3genE10ELNS1_11target_archE1201ELNS1_3gpuE5ELNS1_3repE0EEENS1_30default_config_static_selectorELNS0_4arch9wavefront6targetE1EEEvT1_: ; @_ZN7rocprim17ROCPRIM_400000_NS6detail17trampoline_kernelINS0_14default_configENS1_20scan_config_selectorIsEEZZNS1_9scan_implILNS1_25lookback_scan_determinismE0ELb0ELb0ES3_N6thrust23THRUST_200600_302600_NS6detail15normal_iteratorINS9_10device_ptrIsEEEESE_s11max_functorIsEsEEDaPvRmT3_T4_T5_mT6_P12ihipStream_tbENKUlT_T0_E_clISt17integral_constantIbLb0EEST_IbLb1EEEEDaSP_SQ_EUlSP_E_NS1_11comp_targetILNS1_3genE10ELNS1_11target_archE1201ELNS1_3gpuE5ELNS1_3repE0EEENS1_30default_config_static_selectorELNS0_4arch9wavefront6targetE1EEEvT1_
; %bb.0:
	.section	.rodata,"a",@progbits
	.p2align	6, 0x0
	.amdhsa_kernel _ZN7rocprim17ROCPRIM_400000_NS6detail17trampoline_kernelINS0_14default_configENS1_20scan_config_selectorIsEEZZNS1_9scan_implILNS1_25lookback_scan_determinismE0ELb0ELb0ES3_N6thrust23THRUST_200600_302600_NS6detail15normal_iteratorINS9_10device_ptrIsEEEESE_s11max_functorIsEsEEDaPvRmT3_T4_T5_mT6_P12ihipStream_tbENKUlT_T0_E_clISt17integral_constantIbLb0EEST_IbLb1EEEEDaSP_SQ_EUlSP_E_NS1_11comp_targetILNS1_3genE10ELNS1_11target_archE1201ELNS1_3gpuE5ELNS1_3repE0EEENS1_30default_config_static_selectorELNS0_4arch9wavefront6targetE1EEEvT1_
		.amdhsa_group_segment_fixed_size 0
		.amdhsa_private_segment_fixed_size 0
		.amdhsa_kernarg_size 96
		.amdhsa_user_sgpr_count 6
		.amdhsa_user_sgpr_private_segment_buffer 1
		.amdhsa_user_sgpr_dispatch_ptr 0
		.amdhsa_user_sgpr_queue_ptr 0
		.amdhsa_user_sgpr_kernarg_segment_ptr 1
		.amdhsa_user_sgpr_dispatch_id 0
		.amdhsa_user_sgpr_flat_scratch_init 0
		.amdhsa_user_sgpr_kernarg_preload_length 0
		.amdhsa_user_sgpr_kernarg_preload_offset 0
		.amdhsa_user_sgpr_private_segment_size 0
		.amdhsa_uses_dynamic_stack 0
		.amdhsa_system_sgpr_private_segment_wavefront_offset 0
		.amdhsa_system_sgpr_workgroup_id_x 1
		.amdhsa_system_sgpr_workgroup_id_y 0
		.amdhsa_system_sgpr_workgroup_id_z 0
		.amdhsa_system_sgpr_workgroup_info 0
		.amdhsa_system_vgpr_workitem_id 0
		.amdhsa_next_free_vgpr 1
		.amdhsa_next_free_sgpr 0
		.amdhsa_accum_offset 4
		.amdhsa_reserve_vcc 0
		.amdhsa_reserve_flat_scratch 0
		.amdhsa_float_round_mode_32 0
		.amdhsa_float_round_mode_16_64 0
		.amdhsa_float_denorm_mode_32 3
		.amdhsa_float_denorm_mode_16_64 3
		.amdhsa_dx10_clamp 1
		.amdhsa_ieee_mode 1
		.amdhsa_fp16_overflow 0
		.amdhsa_tg_split 0
		.amdhsa_exception_fp_ieee_invalid_op 0
		.amdhsa_exception_fp_denorm_src 0
		.amdhsa_exception_fp_ieee_div_zero 0
		.amdhsa_exception_fp_ieee_overflow 0
		.amdhsa_exception_fp_ieee_underflow 0
		.amdhsa_exception_fp_ieee_inexact 0
		.amdhsa_exception_int_div_zero 0
	.end_amdhsa_kernel
	.section	.text._ZN7rocprim17ROCPRIM_400000_NS6detail17trampoline_kernelINS0_14default_configENS1_20scan_config_selectorIsEEZZNS1_9scan_implILNS1_25lookback_scan_determinismE0ELb0ELb0ES3_N6thrust23THRUST_200600_302600_NS6detail15normal_iteratorINS9_10device_ptrIsEEEESE_s11max_functorIsEsEEDaPvRmT3_T4_T5_mT6_P12ihipStream_tbENKUlT_T0_E_clISt17integral_constantIbLb0EEST_IbLb1EEEEDaSP_SQ_EUlSP_E_NS1_11comp_targetILNS1_3genE10ELNS1_11target_archE1201ELNS1_3gpuE5ELNS1_3repE0EEENS1_30default_config_static_selectorELNS0_4arch9wavefront6targetE1EEEvT1_,"axG",@progbits,_ZN7rocprim17ROCPRIM_400000_NS6detail17trampoline_kernelINS0_14default_configENS1_20scan_config_selectorIsEEZZNS1_9scan_implILNS1_25lookback_scan_determinismE0ELb0ELb0ES3_N6thrust23THRUST_200600_302600_NS6detail15normal_iteratorINS9_10device_ptrIsEEEESE_s11max_functorIsEsEEDaPvRmT3_T4_T5_mT6_P12ihipStream_tbENKUlT_T0_E_clISt17integral_constantIbLb0EEST_IbLb1EEEEDaSP_SQ_EUlSP_E_NS1_11comp_targetILNS1_3genE10ELNS1_11target_archE1201ELNS1_3gpuE5ELNS1_3repE0EEENS1_30default_config_static_selectorELNS0_4arch9wavefront6targetE1EEEvT1_,comdat
.Lfunc_end2905:
	.size	_ZN7rocprim17ROCPRIM_400000_NS6detail17trampoline_kernelINS0_14default_configENS1_20scan_config_selectorIsEEZZNS1_9scan_implILNS1_25lookback_scan_determinismE0ELb0ELb0ES3_N6thrust23THRUST_200600_302600_NS6detail15normal_iteratorINS9_10device_ptrIsEEEESE_s11max_functorIsEsEEDaPvRmT3_T4_T5_mT6_P12ihipStream_tbENKUlT_T0_E_clISt17integral_constantIbLb0EEST_IbLb1EEEEDaSP_SQ_EUlSP_E_NS1_11comp_targetILNS1_3genE10ELNS1_11target_archE1201ELNS1_3gpuE5ELNS1_3repE0EEENS1_30default_config_static_selectorELNS0_4arch9wavefront6targetE1EEEvT1_, .Lfunc_end2905-_ZN7rocprim17ROCPRIM_400000_NS6detail17trampoline_kernelINS0_14default_configENS1_20scan_config_selectorIsEEZZNS1_9scan_implILNS1_25lookback_scan_determinismE0ELb0ELb0ES3_N6thrust23THRUST_200600_302600_NS6detail15normal_iteratorINS9_10device_ptrIsEEEESE_s11max_functorIsEsEEDaPvRmT3_T4_T5_mT6_P12ihipStream_tbENKUlT_T0_E_clISt17integral_constantIbLb0EEST_IbLb1EEEEDaSP_SQ_EUlSP_E_NS1_11comp_targetILNS1_3genE10ELNS1_11target_archE1201ELNS1_3gpuE5ELNS1_3repE0EEENS1_30default_config_static_selectorELNS0_4arch9wavefront6targetE1EEEvT1_
                                        ; -- End function
	.section	.AMDGPU.csdata,"",@progbits
; Kernel info:
; codeLenInByte = 0
; NumSgprs: 4
; NumVgprs: 0
; NumAgprs: 0
; TotalNumVgprs: 0
; ScratchSize: 0
; MemoryBound: 0
; FloatMode: 240
; IeeeMode: 1
; LDSByteSize: 0 bytes/workgroup (compile time only)
; SGPRBlocks: 0
; VGPRBlocks: 0
; NumSGPRsForWavesPerEU: 4
; NumVGPRsForWavesPerEU: 1
; AccumOffset: 4
; Occupancy: 8
; WaveLimiterHint : 0
; COMPUTE_PGM_RSRC2:SCRATCH_EN: 0
; COMPUTE_PGM_RSRC2:USER_SGPR: 6
; COMPUTE_PGM_RSRC2:TRAP_HANDLER: 0
; COMPUTE_PGM_RSRC2:TGID_X_EN: 1
; COMPUTE_PGM_RSRC2:TGID_Y_EN: 0
; COMPUTE_PGM_RSRC2:TGID_Z_EN: 0
; COMPUTE_PGM_RSRC2:TIDIG_COMP_CNT: 0
; COMPUTE_PGM_RSRC3_GFX90A:ACCUM_OFFSET: 0
; COMPUTE_PGM_RSRC3_GFX90A:TG_SPLIT: 0
	.section	.text._ZN7rocprim17ROCPRIM_400000_NS6detail17trampoline_kernelINS0_14default_configENS1_20scan_config_selectorIsEEZZNS1_9scan_implILNS1_25lookback_scan_determinismE0ELb0ELb0ES3_N6thrust23THRUST_200600_302600_NS6detail15normal_iteratorINS9_10device_ptrIsEEEESE_s11max_functorIsEsEEDaPvRmT3_T4_T5_mT6_P12ihipStream_tbENKUlT_T0_E_clISt17integral_constantIbLb0EEST_IbLb1EEEEDaSP_SQ_EUlSP_E_NS1_11comp_targetILNS1_3genE10ELNS1_11target_archE1200ELNS1_3gpuE4ELNS1_3repE0EEENS1_30default_config_static_selectorELNS0_4arch9wavefront6targetE1EEEvT1_,"axG",@progbits,_ZN7rocprim17ROCPRIM_400000_NS6detail17trampoline_kernelINS0_14default_configENS1_20scan_config_selectorIsEEZZNS1_9scan_implILNS1_25lookback_scan_determinismE0ELb0ELb0ES3_N6thrust23THRUST_200600_302600_NS6detail15normal_iteratorINS9_10device_ptrIsEEEESE_s11max_functorIsEsEEDaPvRmT3_T4_T5_mT6_P12ihipStream_tbENKUlT_T0_E_clISt17integral_constantIbLb0EEST_IbLb1EEEEDaSP_SQ_EUlSP_E_NS1_11comp_targetILNS1_3genE10ELNS1_11target_archE1200ELNS1_3gpuE4ELNS1_3repE0EEENS1_30default_config_static_selectorELNS0_4arch9wavefront6targetE1EEEvT1_,comdat
	.protected	_ZN7rocprim17ROCPRIM_400000_NS6detail17trampoline_kernelINS0_14default_configENS1_20scan_config_selectorIsEEZZNS1_9scan_implILNS1_25lookback_scan_determinismE0ELb0ELb0ES3_N6thrust23THRUST_200600_302600_NS6detail15normal_iteratorINS9_10device_ptrIsEEEESE_s11max_functorIsEsEEDaPvRmT3_T4_T5_mT6_P12ihipStream_tbENKUlT_T0_E_clISt17integral_constantIbLb0EEST_IbLb1EEEEDaSP_SQ_EUlSP_E_NS1_11comp_targetILNS1_3genE10ELNS1_11target_archE1200ELNS1_3gpuE4ELNS1_3repE0EEENS1_30default_config_static_selectorELNS0_4arch9wavefront6targetE1EEEvT1_ ; -- Begin function _ZN7rocprim17ROCPRIM_400000_NS6detail17trampoline_kernelINS0_14default_configENS1_20scan_config_selectorIsEEZZNS1_9scan_implILNS1_25lookback_scan_determinismE0ELb0ELb0ES3_N6thrust23THRUST_200600_302600_NS6detail15normal_iteratorINS9_10device_ptrIsEEEESE_s11max_functorIsEsEEDaPvRmT3_T4_T5_mT6_P12ihipStream_tbENKUlT_T0_E_clISt17integral_constantIbLb0EEST_IbLb1EEEEDaSP_SQ_EUlSP_E_NS1_11comp_targetILNS1_3genE10ELNS1_11target_archE1200ELNS1_3gpuE4ELNS1_3repE0EEENS1_30default_config_static_selectorELNS0_4arch9wavefront6targetE1EEEvT1_
	.globl	_ZN7rocprim17ROCPRIM_400000_NS6detail17trampoline_kernelINS0_14default_configENS1_20scan_config_selectorIsEEZZNS1_9scan_implILNS1_25lookback_scan_determinismE0ELb0ELb0ES3_N6thrust23THRUST_200600_302600_NS6detail15normal_iteratorINS9_10device_ptrIsEEEESE_s11max_functorIsEsEEDaPvRmT3_T4_T5_mT6_P12ihipStream_tbENKUlT_T0_E_clISt17integral_constantIbLb0EEST_IbLb1EEEEDaSP_SQ_EUlSP_E_NS1_11comp_targetILNS1_3genE10ELNS1_11target_archE1200ELNS1_3gpuE4ELNS1_3repE0EEENS1_30default_config_static_selectorELNS0_4arch9wavefront6targetE1EEEvT1_
	.p2align	8
	.type	_ZN7rocprim17ROCPRIM_400000_NS6detail17trampoline_kernelINS0_14default_configENS1_20scan_config_selectorIsEEZZNS1_9scan_implILNS1_25lookback_scan_determinismE0ELb0ELb0ES3_N6thrust23THRUST_200600_302600_NS6detail15normal_iteratorINS9_10device_ptrIsEEEESE_s11max_functorIsEsEEDaPvRmT3_T4_T5_mT6_P12ihipStream_tbENKUlT_T0_E_clISt17integral_constantIbLb0EEST_IbLb1EEEEDaSP_SQ_EUlSP_E_NS1_11comp_targetILNS1_3genE10ELNS1_11target_archE1200ELNS1_3gpuE4ELNS1_3repE0EEENS1_30default_config_static_selectorELNS0_4arch9wavefront6targetE1EEEvT1_,@function
_ZN7rocprim17ROCPRIM_400000_NS6detail17trampoline_kernelINS0_14default_configENS1_20scan_config_selectorIsEEZZNS1_9scan_implILNS1_25lookback_scan_determinismE0ELb0ELb0ES3_N6thrust23THRUST_200600_302600_NS6detail15normal_iteratorINS9_10device_ptrIsEEEESE_s11max_functorIsEsEEDaPvRmT3_T4_T5_mT6_P12ihipStream_tbENKUlT_T0_E_clISt17integral_constantIbLb0EEST_IbLb1EEEEDaSP_SQ_EUlSP_E_NS1_11comp_targetILNS1_3genE10ELNS1_11target_archE1200ELNS1_3gpuE4ELNS1_3repE0EEENS1_30default_config_static_selectorELNS0_4arch9wavefront6targetE1EEEvT1_: ; @_ZN7rocprim17ROCPRIM_400000_NS6detail17trampoline_kernelINS0_14default_configENS1_20scan_config_selectorIsEEZZNS1_9scan_implILNS1_25lookback_scan_determinismE0ELb0ELb0ES3_N6thrust23THRUST_200600_302600_NS6detail15normal_iteratorINS9_10device_ptrIsEEEESE_s11max_functorIsEsEEDaPvRmT3_T4_T5_mT6_P12ihipStream_tbENKUlT_T0_E_clISt17integral_constantIbLb0EEST_IbLb1EEEEDaSP_SQ_EUlSP_E_NS1_11comp_targetILNS1_3genE10ELNS1_11target_archE1200ELNS1_3gpuE4ELNS1_3repE0EEENS1_30default_config_static_selectorELNS0_4arch9wavefront6targetE1EEEvT1_
; %bb.0:
	.section	.rodata,"a",@progbits
	.p2align	6, 0x0
	.amdhsa_kernel _ZN7rocprim17ROCPRIM_400000_NS6detail17trampoline_kernelINS0_14default_configENS1_20scan_config_selectorIsEEZZNS1_9scan_implILNS1_25lookback_scan_determinismE0ELb0ELb0ES3_N6thrust23THRUST_200600_302600_NS6detail15normal_iteratorINS9_10device_ptrIsEEEESE_s11max_functorIsEsEEDaPvRmT3_T4_T5_mT6_P12ihipStream_tbENKUlT_T0_E_clISt17integral_constantIbLb0EEST_IbLb1EEEEDaSP_SQ_EUlSP_E_NS1_11comp_targetILNS1_3genE10ELNS1_11target_archE1200ELNS1_3gpuE4ELNS1_3repE0EEENS1_30default_config_static_selectorELNS0_4arch9wavefront6targetE1EEEvT1_
		.amdhsa_group_segment_fixed_size 0
		.amdhsa_private_segment_fixed_size 0
		.amdhsa_kernarg_size 96
		.amdhsa_user_sgpr_count 6
		.amdhsa_user_sgpr_private_segment_buffer 1
		.amdhsa_user_sgpr_dispatch_ptr 0
		.amdhsa_user_sgpr_queue_ptr 0
		.amdhsa_user_sgpr_kernarg_segment_ptr 1
		.amdhsa_user_sgpr_dispatch_id 0
		.amdhsa_user_sgpr_flat_scratch_init 0
		.amdhsa_user_sgpr_kernarg_preload_length 0
		.amdhsa_user_sgpr_kernarg_preload_offset 0
		.amdhsa_user_sgpr_private_segment_size 0
		.amdhsa_uses_dynamic_stack 0
		.amdhsa_system_sgpr_private_segment_wavefront_offset 0
		.amdhsa_system_sgpr_workgroup_id_x 1
		.amdhsa_system_sgpr_workgroup_id_y 0
		.amdhsa_system_sgpr_workgroup_id_z 0
		.amdhsa_system_sgpr_workgroup_info 0
		.amdhsa_system_vgpr_workitem_id 0
		.amdhsa_next_free_vgpr 1
		.amdhsa_next_free_sgpr 0
		.amdhsa_accum_offset 4
		.amdhsa_reserve_vcc 0
		.amdhsa_reserve_flat_scratch 0
		.amdhsa_float_round_mode_32 0
		.amdhsa_float_round_mode_16_64 0
		.amdhsa_float_denorm_mode_32 3
		.amdhsa_float_denorm_mode_16_64 3
		.amdhsa_dx10_clamp 1
		.amdhsa_ieee_mode 1
		.amdhsa_fp16_overflow 0
		.amdhsa_tg_split 0
		.amdhsa_exception_fp_ieee_invalid_op 0
		.amdhsa_exception_fp_denorm_src 0
		.amdhsa_exception_fp_ieee_div_zero 0
		.amdhsa_exception_fp_ieee_overflow 0
		.amdhsa_exception_fp_ieee_underflow 0
		.amdhsa_exception_fp_ieee_inexact 0
		.amdhsa_exception_int_div_zero 0
	.end_amdhsa_kernel
	.section	.text._ZN7rocprim17ROCPRIM_400000_NS6detail17trampoline_kernelINS0_14default_configENS1_20scan_config_selectorIsEEZZNS1_9scan_implILNS1_25lookback_scan_determinismE0ELb0ELb0ES3_N6thrust23THRUST_200600_302600_NS6detail15normal_iteratorINS9_10device_ptrIsEEEESE_s11max_functorIsEsEEDaPvRmT3_T4_T5_mT6_P12ihipStream_tbENKUlT_T0_E_clISt17integral_constantIbLb0EEST_IbLb1EEEEDaSP_SQ_EUlSP_E_NS1_11comp_targetILNS1_3genE10ELNS1_11target_archE1200ELNS1_3gpuE4ELNS1_3repE0EEENS1_30default_config_static_selectorELNS0_4arch9wavefront6targetE1EEEvT1_,"axG",@progbits,_ZN7rocprim17ROCPRIM_400000_NS6detail17trampoline_kernelINS0_14default_configENS1_20scan_config_selectorIsEEZZNS1_9scan_implILNS1_25lookback_scan_determinismE0ELb0ELb0ES3_N6thrust23THRUST_200600_302600_NS6detail15normal_iteratorINS9_10device_ptrIsEEEESE_s11max_functorIsEsEEDaPvRmT3_T4_T5_mT6_P12ihipStream_tbENKUlT_T0_E_clISt17integral_constantIbLb0EEST_IbLb1EEEEDaSP_SQ_EUlSP_E_NS1_11comp_targetILNS1_3genE10ELNS1_11target_archE1200ELNS1_3gpuE4ELNS1_3repE0EEENS1_30default_config_static_selectorELNS0_4arch9wavefront6targetE1EEEvT1_,comdat
.Lfunc_end2906:
	.size	_ZN7rocprim17ROCPRIM_400000_NS6detail17trampoline_kernelINS0_14default_configENS1_20scan_config_selectorIsEEZZNS1_9scan_implILNS1_25lookback_scan_determinismE0ELb0ELb0ES3_N6thrust23THRUST_200600_302600_NS6detail15normal_iteratorINS9_10device_ptrIsEEEESE_s11max_functorIsEsEEDaPvRmT3_T4_T5_mT6_P12ihipStream_tbENKUlT_T0_E_clISt17integral_constantIbLb0EEST_IbLb1EEEEDaSP_SQ_EUlSP_E_NS1_11comp_targetILNS1_3genE10ELNS1_11target_archE1200ELNS1_3gpuE4ELNS1_3repE0EEENS1_30default_config_static_selectorELNS0_4arch9wavefront6targetE1EEEvT1_, .Lfunc_end2906-_ZN7rocprim17ROCPRIM_400000_NS6detail17trampoline_kernelINS0_14default_configENS1_20scan_config_selectorIsEEZZNS1_9scan_implILNS1_25lookback_scan_determinismE0ELb0ELb0ES3_N6thrust23THRUST_200600_302600_NS6detail15normal_iteratorINS9_10device_ptrIsEEEESE_s11max_functorIsEsEEDaPvRmT3_T4_T5_mT6_P12ihipStream_tbENKUlT_T0_E_clISt17integral_constantIbLb0EEST_IbLb1EEEEDaSP_SQ_EUlSP_E_NS1_11comp_targetILNS1_3genE10ELNS1_11target_archE1200ELNS1_3gpuE4ELNS1_3repE0EEENS1_30default_config_static_selectorELNS0_4arch9wavefront6targetE1EEEvT1_
                                        ; -- End function
	.section	.AMDGPU.csdata,"",@progbits
; Kernel info:
; codeLenInByte = 0
; NumSgprs: 4
; NumVgprs: 0
; NumAgprs: 0
; TotalNumVgprs: 0
; ScratchSize: 0
; MemoryBound: 0
; FloatMode: 240
; IeeeMode: 1
; LDSByteSize: 0 bytes/workgroup (compile time only)
; SGPRBlocks: 0
; VGPRBlocks: 0
; NumSGPRsForWavesPerEU: 4
; NumVGPRsForWavesPerEU: 1
; AccumOffset: 4
; Occupancy: 8
; WaveLimiterHint : 0
; COMPUTE_PGM_RSRC2:SCRATCH_EN: 0
; COMPUTE_PGM_RSRC2:USER_SGPR: 6
; COMPUTE_PGM_RSRC2:TRAP_HANDLER: 0
; COMPUTE_PGM_RSRC2:TGID_X_EN: 1
; COMPUTE_PGM_RSRC2:TGID_Y_EN: 0
; COMPUTE_PGM_RSRC2:TGID_Z_EN: 0
; COMPUTE_PGM_RSRC2:TIDIG_COMP_CNT: 0
; COMPUTE_PGM_RSRC3_GFX90A:ACCUM_OFFSET: 0
; COMPUTE_PGM_RSRC3_GFX90A:TG_SPLIT: 0
	.section	.text._ZN7rocprim17ROCPRIM_400000_NS6detail17trampoline_kernelINS0_14default_configENS1_20scan_config_selectorIsEEZZNS1_9scan_implILNS1_25lookback_scan_determinismE0ELb0ELb0ES3_N6thrust23THRUST_200600_302600_NS6detail15normal_iteratorINS9_10device_ptrIsEEEESE_s11max_functorIsEsEEDaPvRmT3_T4_T5_mT6_P12ihipStream_tbENKUlT_T0_E_clISt17integral_constantIbLb0EEST_IbLb1EEEEDaSP_SQ_EUlSP_E_NS1_11comp_targetILNS1_3genE9ELNS1_11target_archE1100ELNS1_3gpuE3ELNS1_3repE0EEENS1_30default_config_static_selectorELNS0_4arch9wavefront6targetE1EEEvT1_,"axG",@progbits,_ZN7rocprim17ROCPRIM_400000_NS6detail17trampoline_kernelINS0_14default_configENS1_20scan_config_selectorIsEEZZNS1_9scan_implILNS1_25lookback_scan_determinismE0ELb0ELb0ES3_N6thrust23THRUST_200600_302600_NS6detail15normal_iteratorINS9_10device_ptrIsEEEESE_s11max_functorIsEsEEDaPvRmT3_T4_T5_mT6_P12ihipStream_tbENKUlT_T0_E_clISt17integral_constantIbLb0EEST_IbLb1EEEEDaSP_SQ_EUlSP_E_NS1_11comp_targetILNS1_3genE9ELNS1_11target_archE1100ELNS1_3gpuE3ELNS1_3repE0EEENS1_30default_config_static_selectorELNS0_4arch9wavefront6targetE1EEEvT1_,comdat
	.protected	_ZN7rocprim17ROCPRIM_400000_NS6detail17trampoline_kernelINS0_14default_configENS1_20scan_config_selectorIsEEZZNS1_9scan_implILNS1_25lookback_scan_determinismE0ELb0ELb0ES3_N6thrust23THRUST_200600_302600_NS6detail15normal_iteratorINS9_10device_ptrIsEEEESE_s11max_functorIsEsEEDaPvRmT3_T4_T5_mT6_P12ihipStream_tbENKUlT_T0_E_clISt17integral_constantIbLb0EEST_IbLb1EEEEDaSP_SQ_EUlSP_E_NS1_11comp_targetILNS1_3genE9ELNS1_11target_archE1100ELNS1_3gpuE3ELNS1_3repE0EEENS1_30default_config_static_selectorELNS0_4arch9wavefront6targetE1EEEvT1_ ; -- Begin function _ZN7rocprim17ROCPRIM_400000_NS6detail17trampoline_kernelINS0_14default_configENS1_20scan_config_selectorIsEEZZNS1_9scan_implILNS1_25lookback_scan_determinismE0ELb0ELb0ES3_N6thrust23THRUST_200600_302600_NS6detail15normal_iteratorINS9_10device_ptrIsEEEESE_s11max_functorIsEsEEDaPvRmT3_T4_T5_mT6_P12ihipStream_tbENKUlT_T0_E_clISt17integral_constantIbLb0EEST_IbLb1EEEEDaSP_SQ_EUlSP_E_NS1_11comp_targetILNS1_3genE9ELNS1_11target_archE1100ELNS1_3gpuE3ELNS1_3repE0EEENS1_30default_config_static_selectorELNS0_4arch9wavefront6targetE1EEEvT1_
	.globl	_ZN7rocprim17ROCPRIM_400000_NS6detail17trampoline_kernelINS0_14default_configENS1_20scan_config_selectorIsEEZZNS1_9scan_implILNS1_25lookback_scan_determinismE0ELb0ELb0ES3_N6thrust23THRUST_200600_302600_NS6detail15normal_iteratorINS9_10device_ptrIsEEEESE_s11max_functorIsEsEEDaPvRmT3_T4_T5_mT6_P12ihipStream_tbENKUlT_T0_E_clISt17integral_constantIbLb0EEST_IbLb1EEEEDaSP_SQ_EUlSP_E_NS1_11comp_targetILNS1_3genE9ELNS1_11target_archE1100ELNS1_3gpuE3ELNS1_3repE0EEENS1_30default_config_static_selectorELNS0_4arch9wavefront6targetE1EEEvT1_
	.p2align	8
	.type	_ZN7rocprim17ROCPRIM_400000_NS6detail17trampoline_kernelINS0_14default_configENS1_20scan_config_selectorIsEEZZNS1_9scan_implILNS1_25lookback_scan_determinismE0ELb0ELb0ES3_N6thrust23THRUST_200600_302600_NS6detail15normal_iteratorINS9_10device_ptrIsEEEESE_s11max_functorIsEsEEDaPvRmT3_T4_T5_mT6_P12ihipStream_tbENKUlT_T0_E_clISt17integral_constantIbLb0EEST_IbLb1EEEEDaSP_SQ_EUlSP_E_NS1_11comp_targetILNS1_3genE9ELNS1_11target_archE1100ELNS1_3gpuE3ELNS1_3repE0EEENS1_30default_config_static_selectorELNS0_4arch9wavefront6targetE1EEEvT1_,@function
_ZN7rocprim17ROCPRIM_400000_NS6detail17trampoline_kernelINS0_14default_configENS1_20scan_config_selectorIsEEZZNS1_9scan_implILNS1_25lookback_scan_determinismE0ELb0ELb0ES3_N6thrust23THRUST_200600_302600_NS6detail15normal_iteratorINS9_10device_ptrIsEEEESE_s11max_functorIsEsEEDaPvRmT3_T4_T5_mT6_P12ihipStream_tbENKUlT_T0_E_clISt17integral_constantIbLb0EEST_IbLb1EEEEDaSP_SQ_EUlSP_E_NS1_11comp_targetILNS1_3genE9ELNS1_11target_archE1100ELNS1_3gpuE3ELNS1_3repE0EEENS1_30default_config_static_selectorELNS0_4arch9wavefront6targetE1EEEvT1_: ; @_ZN7rocprim17ROCPRIM_400000_NS6detail17trampoline_kernelINS0_14default_configENS1_20scan_config_selectorIsEEZZNS1_9scan_implILNS1_25lookback_scan_determinismE0ELb0ELb0ES3_N6thrust23THRUST_200600_302600_NS6detail15normal_iteratorINS9_10device_ptrIsEEEESE_s11max_functorIsEsEEDaPvRmT3_T4_T5_mT6_P12ihipStream_tbENKUlT_T0_E_clISt17integral_constantIbLb0EEST_IbLb1EEEEDaSP_SQ_EUlSP_E_NS1_11comp_targetILNS1_3genE9ELNS1_11target_archE1100ELNS1_3gpuE3ELNS1_3repE0EEENS1_30default_config_static_selectorELNS0_4arch9wavefront6targetE1EEEvT1_
; %bb.0:
	.section	.rodata,"a",@progbits
	.p2align	6, 0x0
	.amdhsa_kernel _ZN7rocprim17ROCPRIM_400000_NS6detail17trampoline_kernelINS0_14default_configENS1_20scan_config_selectorIsEEZZNS1_9scan_implILNS1_25lookback_scan_determinismE0ELb0ELb0ES3_N6thrust23THRUST_200600_302600_NS6detail15normal_iteratorINS9_10device_ptrIsEEEESE_s11max_functorIsEsEEDaPvRmT3_T4_T5_mT6_P12ihipStream_tbENKUlT_T0_E_clISt17integral_constantIbLb0EEST_IbLb1EEEEDaSP_SQ_EUlSP_E_NS1_11comp_targetILNS1_3genE9ELNS1_11target_archE1100ELNS1_3gpuE3ELNS1_3repE0EEENS1_30default_config_static_selectorELNS0_4arch9wavefront6targetE1EEEvT1_
		.amdhsa_group_segment_fixed_size 0
		.amdhsa_private_segment_fixed_size 0
		.amdhsa_kernarg_size 96
		.amdhsa_user_sgpr_count 6
		.amdhsa_user_sgpr_private_segment_buffer 1
		.amdhsa_user_sgpr_dispatch_ptr 0
		.amdhsa_user_sgpr_queue_ptr 0
		.amdhsa_user_sgpr_kernarg_segment_ptr 1
		.amdhsa_user_sgpr_dispatch_id 0
		.amdhsa_user_sgpr_flat_scratch_init 0
		.amdhsa_user_sgpr_kernarg_preload_length 0
		.amdhsa_user_sgpr_kernarg_preload_offset 0
		.amdhsa_user_sgpr_private_segment_size 0
		.amdhsa_uses_dynamic_stack 0
		.amdhsa_system_sgpr_private_segment_wavefront_offset 0
		.amdhsa_system_sgpr_workgroup_id_x 1
		.amdhsa_system_sgpr_workgroup_id_y 0
		.amdhsa_system_sgpr_workgroup_id_z 0
		.amdhsa_system_sgpr_workgroup_info 0
		.amdhsa_system_vgpr_workitem_id 0
		.amdhsa_next_free_vgpr 1
		.amdhsa_next_free_sgpr 0
		.amdhsa_accum_offset 4
		.amdhsa_reserve_vcc 0
		.amdhsa_reserve_flat_scratch 0
		.amdhsa_float_round_mode_32 0
		.amdhsa_float_round_mode_16_64 0
		.amdhsa_float_denorm_mode_32 3
		.amdhsa_float_denorm_mode_16_64 3
		.amdhsa_dx10_clamp 1
		.amdhsa_ieee_mode 1
		.amdhsa_fp16_overflow 0
		.amdhsa_tg_split 0
		.amdhsa_exception_fp_ieee_invalid_op 0
		.amdhsa_exception_fp_denorm_src 0
		.amdhsa_exception_fp_ieee_div_zero 0
		.amdhsa_exception_fp_ieee_overflow 0
		.amdhsa_exception_fp_ieee_underflow 0
		.amdhsa_exception_fp_ieee_inexact 0
		.amdhsa_exception_int_div_zero 0
	.end_amdhsa_kernel
	.section	.text._ZN7rocprim17ROCPRIM_400000_NS6detail17trampoline_kernelINS0_14default_configENS1_20scan_config_selectorIsEEZZNS1_9scan_implILNS1_25lookback_scan_determinismE0ELb0ELb0ES3_N6thrust23THRUST_200600_302600_NS6detail15normal_iteratorINS9_10device_ptrIsEEEESE_s11max_functorIsEsEEDaPvRmT3_T4_T5_mT6_P12ihipStream_tbENKUlT_T0_E_clISt17integral_constantIbLb0EEST_IbLb1EEEEDaSP_SQ_EUlSP_E_NS1_11comp_targetILNS1_3genE9ELNS1_11target_archE1100ELNS1_3gpuE3ELNS1_3repE0EEENS1_30default_config_static_selectorELNS0_4arch9wavefront6targetE1EEEvT1_,"axG",@progbits,_ZN7rocprim17ROCPRIM_400000_NS6detail17trampoline_kernelINS0_14default_configENS1_20scan_config_selectorIsEEZZNS1_9scan_implILNS1_25lookback_scan_determinismE0ELb0ELb0ES3_N6thrust23THRUST_200600_302600_NS6detail15normal_iteratorINS9_10device_ptrIsEEEESE_s11max_functorIsEsEEDaPvRmT3_T4_T5_mT6_P12ihipStream_tbENKUlT_T0_E_clISt17integral_constantIbLb0EEST_IbLb1EEEEDaSP_SQ_EUlSP_E_NS1_11comp_targetILNS1_3genE9ELNS1_11target_archE1100ELNS1_3gpuE3ELNS1_3repE0EEENS1_30default_config_static_selectorELNS0_4arch9wavefront6targetE1EEEvT1_,comdat
.Lfunc_end2907:
	.size	_ZN7rocprim17ROCPRIM_400000_NS6detail17trampoline_kernelINS0_14default_configENS1_20scan_config_selectorIsEEZZNS1_9scan_implILNS1_25lookback_scan_determinismE0ELb0ELb0ES3_N6thrust23THRUST_200600_302600_NS6detail15normal_iteratorINS9_10device_ptrIsEEEESE_s11max_functorIsEsEEDaPvRmT3_T4_T5_mT6_P12ihipStream_tbENKUlT_T0_E_clISt17integral_constantIbLb0EEST_IbLb1EEEEDaSP_SQ_EUlSP_E_NS1_11comp_targetILNS1_3genE9ELNS1_11target_archE1100ELNS1_3gpuE3ELNS1_3repE0EEENS1_30default_config_static_selectorELNS0_4arch9wavefront6targetE1EEEvT1_, .Lfunc_end2907-_ZN7rocprim17ROCPRIM_400000_NS6detail17trampoline_kernelINS0_14default_configENS1_20scan_config_selectorIsEEZZNS1_9scan_implILNS1_25lookback_scan_determinismE0ELb0ELb0ES3_N6thrust23THRUST_200600_302600_NS6detail15normal_iteratorINS9_10device_ptrIsEEEESE_s11max_functorIsEsEEDaPvRmT3_T4_T5_mT6_P12ihipStream_tbENKUlT_T0_E_clISt17integral_constantIbLb0EEST_IbLb1EEEEDaSP_SQ_EUlSP_E_NS1_11comp_targetILNS1_3genE9ELNS1_11target_archE1100ELNS1_3gpuE3ELNS1_3repE0EEENS1_30default_config_static_selectorELNS0_4arch9wavefront6targetE1EEEvT1_
                                        ; -- End function
	.section	.AMDGPU.csdata,"",@progbits
; Kernel info:
; codeLenInByte = 0
; NumSgprs: 4
; NumVgprs: 0
; NumAgprs: 0
; TotalNumVgprs: 0
; ScratchSize: 0
; MemoryBound: 0
; FloatMode: 240
; IeeeMode: 1
; LDSByteSize: 0 bytes/workgroup (compile time only)
; SGPRBlocks: 0
; VGPRBlocks: 0
; NumSGPRsForWavesPerEU: 4
; NumVGPRsForWavesPerEU: 1
; AccumOffset: 4
; Occupancy: 8
; WaveLimiterHint : 0
; COMPUTE_PGM_RSRC2:SCRATCH_EN: 0
; COMPUTE_PGM_RSRC2:USER_SGPR: 6
; COMPUTE_PGM_RSRC2:TRAP_HANDLER: 0
; COMPUTE_PGM_RSRC2:TGID_X_EN: 1
; COMPUTE_PGM_RSRC2:TGID_Y_EN: 0
; COMPUTE_PGM_RSRC2:TGID_Z_EN: 0
; COMPUTE_PGM_RSRC2:TIDIG_COMP_CNT: 0
; COMPUTE_PGM_RSRC3_GFX90A:ACCUM_OFFSET: 0
; COMPUTE_PGM_RSRC3_GFX90A:TG_SPLIT: 0
	.section	.text._ZN7rocprim17ROCPRIM_400000_NS6detail17trampoline_kernelINS0_14default_configENS1_20scan_config_selectorIsEEZZNS1_9scan_implILNS1_25lookback_scan_determinismE0ELb0ELb0ES3_N6thrust23THRUST_200600_302600_NS6detail15normal_iteratorINS9_10device_ptrIsEEEESE_s11max_functorIsEsEEDaPvRmT3_T4_T5_mT6_P12ihipStream_tbENKUlT_T0_E_clISt17integral_constantIbLb0EEST_IbLb1EEEEDaSP_SQ_EUlSP_E_NS1_11comp_targetILNS1_3genE8ELNS1_11target_archE1030ELNS1_3gpuE2ELNS1_3repE0EEENS1_30default_config_static_selectorELNS0_4arch9wavefront6targetE1EEEvT1_,"axG",@progbits,_ZN7rocprim17ROCPRIM_400000_NS6detail17trampoline_kernelINS0_14default_configENS1_20scan_config_selectorIsEEZZNS1_9scan_implILNS1_25lookback_scan_determinismE0ELb0ELb0ES3_N6thrust23THRUST_200600_302600_NS6detail15normal_iteratorINS9_10device_ptrIsEEEESE_s11max_functorIsEsEEDaPvRmT3_T4_T5_mT6_P12ihipStream_tbENKUlT_T0_E_clISt17integral_constantIbLb0EEST_IbLb1EEEEDaSP_SQ_EUlSP_E_NS1_11comp_targetILNS1_3genE8ELNS1_11target_archE1030ELNS1_3gpuE2ELNS1_3repE0EEENS1_30default_config_static_selectorELNS0_4arch9wavefront6targetE1EEEvT1_,comdat
	.protected	_ZN7rocprim17ROCPRIM_400000_NS6detail17trampoline_kernelINS0_14default_configENS1_20scan_config_selectorIsEEZZNS1_9scan_implILNS1_25lookback_scan_determinismE0ELb0ELb0ES3_N6thrust23THRUST_200600_302600_NS6detail15normal_iteratorINS9_10device_ptrIsEEEESE_s11max_functorIsEsEEDaPvRmT3_T4_T5_mT6_P12ihipStream_tbENKUlT_T0_E_clISt17integral_constantIbLb0EEST_IbLb1EEEEDaSP_SQ_EUlSP_E_NS1_11comp_targetILNS1_3genE8ELNS1_11target_archE1030ELNS1_3gpuE2ELNS1_3repE0EEENS1_30default_config_static_selectorELNS0_4arch9wavefront6targetE1EEEvT1_ ; -- Begin function _ZN7rocprim17ROCPRIM_400000_NS6detail17trampoline_kernelINS0_14default_configENS1_20scan_config_selectorIsEEZZNS1_9scan_implILNS1_25lookback_scan_determinismE0ELb0ELb0ES3_N6thrust23THRUST_200600_302600_NS6detail15normal_iteratorINS9_10device_ptrIsEEEESE_s11max_functorIsEsEEDaPvRmT3_T4_T5_mT6_P12ihipStream_tbENKUlT_T0_E_clISt17integral_constantIbLb0EEST_IbLb1EEEEDaSP_SQ_EUlSP_E_NS1_11comp_targetILNS1_3genE8ELNS1_11target_archE1030ELNS1_3gpuE2ELNS1_3repE0EEENS1_30default_config_static_selectorELNS0_4arch9wavefront6targetE1EEEvT1_
	.globl	_ZN7rocprim17ROCPRIM_400000_NS6detail17trampoline_kernelINS0_14default_configENS1_20scan_config_selectorIsEEZZNS1_9scan_implILNS1_25lookback_scan_determinismE0ELb0ELb0ES3_N6thrust23THRUST_200600_302600_NS6detail15normal_iteratorINS9_10device_ptrIsEEEESE_s11max_functorIsEsEEDaPvRmT3_T4_T5_mT6_P12ihipStream_tbENKUlT_T0_E_clISt17integral_constantIbLb0EEST_IbLb1EEEEDaSP_SQ_EUlSP_E_NS1_11comp_targetILNS1_3genE8ELNS1_11target_archE1030ELNS1_3gpuE2ELNS1_3repE0EEENS1_30default_config_static_selectorELNS0_4arch9wavefront6targetE1EEEvT1_
	.p2align	8
	.type	_ZN7rocprim17ROCPRIM_400000_NS6detail17trampoline_kernelINS0_14default_configENS1_20scan_config_selectorIsEEZZNS1_9scan_implILNS1_25lookback_scan_determinismE0ELb0ELb0ES3_N6thrust23THRUST_200600_302600_NS6detail15normal_iteratorINS9_10device_ptrIsEEEESE_s11max_functorIsEsEEDaPvRmT3_T4_T5_mT6_P12ihipStream_tbENKUlT_T0_E_clISt17integral_constantIbLb0EEST_IbLb1EEEEDaSP_SQ_EUlSP_E_NS1_11comp_targetILNS1_3genE8ELNS1_11target_archE1030ELNS1_3gpuE2ELNS1_3repE0EEENS1_30default_config_static_selectorELNS0_4arch9wavefront6targetE1EEEvT1_,@function
_ZN7rocprim17ROCPRIM_400000_NS6detail17trampoline_kernelINS0_14default_configENS1_20scan_config_selectorIsEEZZNS1_9scan_implILNS1_25lookback_scan_determinismE0ELb0ELb0ES3_N6thrust23THRUST_200600_302600_NS6detail15normal_iteratorINS9_10device_ptrIsEEEESE_s11max_functorIsEsEEDaPvRmT3_T4_T5_mT6_P12ihipStream_tbENKUlT_T0_E_clISt17integral_constantIbLb0EEST_IbLb1EEEEDaSP_SQ_EUlSP_E_NS1_11comp_targetILNS1_3genE8ELNS1_11target_archE1030ELNS1_3gpuE2ELNS1_3repE0EEENS1_30default_config_static_selectorELNS0_4arch9wavefront6targetE1EEEvT1_: ; @_ZN7rocprim17ROCPRIM_400000_NS6detail17trampoline_kernelINS0_14default_configENS1_20scan_config_selectorIsEEZZNS1_9scan_implILNS1_25lookback_scan_determinismE0ELb0ELb0ES3_N6thrust23THRUST_200600_302600_NS6detail15normal_iteratorINS9_10device_ptrIsEEEESE_s11max_functorIsEsEEDaPvRmT3_T4_T5_mT6_P12ihipStream_tbENKUlT_T0_E_clISt17integral_constantIbLb0EEST_IbLb1EEEEDaSP_SQ_EUlSP_E_NS1_11comp_targetILNS1_3genE8ELNS1_11target_archE1030ELNS1_3gpuE2ELNS1_3repE0EEENS1_30default_config_static_selectorELNS0_4arch9wavefront6targetE1EEEvT1_
; %bb.0:
	.section	.rodata,"a",@progbits
	.p2align	6, 0x0
	.amdhsa_kernel _ZN7rocprim17ROCPRIM_400000_NS6detail17trampoline_kernelINS0_14default_configENS1_20scan_config_selectorIsEEZZNS1_9scan_implILNS1_25lookback_scan_determinismE0ELb0ELb0ES3_N6thrust23THRUST_200600_302600_NS6detail15normal_iteratorINS9_10device_ptrIsEEEESE_s11max_functorIsEsEEDaPvRmT3_T4_T5_mT6_P12ihipStream_tbENKUlT_T0_E_clISt17integral_constantIbLb0EEST_IbLb1EEEEDaSP_SQ_EUlSP_E_NS1_11comp_targetILNS1_3genE8ELNS1_11target_archE1030ELNS1_3gpuE2ELNS1_3repE0EEENS1_30default_config_static_selectorELNS0_4arch9wavefront6targetE1EEEvT1_
		.amdhsa_group_segment_fixed_size 0
		.amdhsa_private_segment_fixed_size 0
		.amdhsa_kernarg_size 96
		.amdhsa_user_sgpr_count 6
		.amdhsa_user_sgpr_private_segment_buffer 1
		.amdhsa_user_sgpr_dispatch_ptr 0
		.amdhsa_user_sgpr_queue_ptr 0
		.amdhsa_user_sgpr_kernarg_segment_ptr 1
		.amdhsa_user_sgpr_dispatch_id 0
		.amdhsa_user_sgpr_flat_scratch_init 0
		.amdhsa_user_sgpr_kernarg_preload_length 0
		.amdhsa_user_sgpr_kernarg_preload_offset 0
		.amdhsa_user_sgpr_private_segment_size 0
		.amdhsa_uses_dynamic_stack 0
		.amdhsa_system_sgpr_private_segment_wavefront_offset 0
		.amdhsa_system_sgpr_workgroup_id_x 1
		.amdhsa_system_sgpr_workgroup_id_y 0
		.amdhsa_system_sgpr_workgroup_id_z 0
		.amdhsa_system_sgpr_workgroup_info 0
		.amdhsa_system_vgpr_workitem_id 0
		.amdhsa_next_free_vgpr 1
		.amdhsa_next_free_sgpr 0
		.amdhsa_accum_offset 4
		.amdhsa_reserve_vcc 0
		.amdhsa_reserve_flat_scratch 0
		.amdhsa_float_round_mode_32 0
		.amdhsa_float_round_mode_16_64 0
		.amdhsa_float_denorm_mode_32 3
		.amdhsa_float_denorm_mode_16_64 3
		.amdhsa_dx10_clamp 1
		.amdhsa_ieee_mode 1
		.amdhsa_fp16_overflow 0
		.amdhsa_tg_split 0
		.amdhsa_exception_fp_ieee_invalid_op 0
		.amdhsa_exception_fp_denorm_src 0
		.amdhsa_exception_fp_ieee_div_zero 0
		.amdhsa_exception_fp_ieee_overflow 0
		.amdhsa_exception_fp_ieee_underflow 0
		.amdhsa_exception_fp_ieee_inexact 0
		.amdhsa_exception_int_div_zero 0
	.end_amdhsa_kernel
	.section	.text._ZN7rocprim17ROCPRIM_400000_NS6detail17trampoline_kernelINS0_14default_configENS1_20scan_config_selectorIsEEZZNS1_9scan_implILNS1_25lookback_scan_determinismE0ELb0ELb0ES3_N6thrust23THRUST_200600_302600_NS6detail15normal_iteratorINS9_10device_ptrIsEEEESE_s11max_functorIsEsEEDaPvRmT3_T4_T5_mT6_P12ihipStream_tbENKUlT_T0_E_clISt17integral_constantIbLb0EEST_IbLb1EEEEDaSP_SQ_EUlSP_E_NS1_11comp_targetILNS1_3genE8ELNS1_11target_archE1030ELNS1_3gpuE2ELNS1_3repE0EEENS1_30default_config_static_selectorELNS0_4arch9wavefront6targetE1EEEvT1_,"axG",@progbits,_ZN7rocprim17ROCPRIM_400000_NS6detail17trampoline_kernelINS0_14default_configENS1_20scan_config_selectorIsEEZZNS1_9scan_implILNS1_25lookback_scan_determinismE0ELb0ELb0ES3_N6thrust23THRUST_200600_302600_NS6detail15normal_iteratorINS9_10device_ptrIsEEEESE_s11max_functorIsEsEEDaPvRmT3_T4_T5_mT6_P12ihipStream_tbENKUlT_T0_E_clISt17integral_constantIbLb0EEST_IbLb1EEEEDaSP_SQ_EUlSP_E_NS1_11comp_targetILNS1_3genE8ELNS1_11target_archE1030ELNS1_3gpuE2ELNS1_3repE0EEENS1_30default_config_static_selectorELNS0_4arch9wavefront6targetE1EEEvT1_,comdat
.Lfunc_end2908:
	.size	_ZN7rocprim17ROCPRIM_400000_NS6detail17trampoline_kernelINS0_14default_configENS1_20scan_config_selectorIsEEZZNS1_9scan_implILNS1_25lookback_scan_determinismE0ELb0ELb0ES3_N6thrust23THRUST_200600_302600_NS6detail15normal_iteratorINS9_10device_ptrIsEEEESE_s11max_functorIsEsEEDaPvRmT3_T4_T5_mT6_P12ihipStream_tbENKUlT_T0_E_clISt17integral_constantIbLb0EEST_IbLb1EEEEDaSP_SQ_EUlSP_E_NS1_11comp_targetILNS1_3genE8ELNS1_11target_archE1030ELNS1_3gpuE2ELNS1_3repE0EEENS1_30default_config_static_selectorELNS0_4arch9wavefront6targetE1EEEvT1_, .Lfunc_end2908-_ZN7rocprim17ROCPRIM_400000_NS6detail17trampoline_kernelINS0_14default_configENS1_20scan_config_selectorIsEEZZNS1_9scan_implILNS1_25lookback_scan_determinismE0ELb0ELb0ES3_N6thrust23THRUST_200600_302600_NS6detail15normal_iteratorINS9_10device_ptrIsEEEESE_s11max_functorIsEsEEDaPvRmT3_T4_T5_mT6_P12ihipStream_tbENKUlT_T0_E_clISt17integral_constantIbLb0EEST_IbLb1EEEEDaSP_SQ_EUlSP_E_NS1_11comp_targetILNS1_3genE8ELNS1_11target_archE1030ELNS1_3gpuE2ELNS1_3repE0EEENS1_30default_config_static_selectorELNS0_4arch9wavefront6targetE1EEEvT1_
                                        ; -- End function
	.section	.AMDGPU.csdata,"",@progbits
; Kernel info:
; codeLenInByte = 0
; NumSgprs: 4
; NumVgprs: 0
; NumAgprs: 0
; TotalNumVgprs: 0
; ScratchSize: 0
; MemoryBound: 0
; FloatMode: 240
; IeeeMode: 1
; LDSByteSize: 0 bytes/workgroup (compile time only)
; SGPRBlocks: 0
; VGPRBlocks: 0
; NumSGPRsForWavesPerEU: 4
; NumVGPRsForWavesPerEU: 1
; AccumOffset: 4
; Occupancy: 8
; WaveLimiterHint : 0
; COMPUTE_PGM_RSRC2:SCRATCH_EN: 0
; COMPUTE_PGM_RSRC2:USER_SGPR: 6
; COMPUTE_PGM_RSRC2:TRAP_HANDLER: 0
; COMPUTE_PGM_RSRC2:TGID_X_EN: 1
; COMPUTE_PGM_RSRC2:TGID_Y_EN: 0
; COMPUTE_PGM_RSRC2:TGID_Z_EN: 0
; COMPUTE_PGM_RSRC2:TIDIG_COMP_CNT: 0
; COMPUTE_PGM_RSRC3_GFX90A:ACCUM_OFFSET: 0
; COMPUTE_PGM_RSRC3_GFX90A:TG_SPLIT: 0
	.section	.text._ZN7rocprim17ROCPRIM_400000_NS6detail17trampoline_kernelINS0_14default_configENS1_20scan_config_selectorIsEEZZNS1_9scan_implILNS1_25lookback_scan_determinismE0ELb0ELb0ES3_N6thrust23THRUST_200600_302600_NS6detail15normal_iteratorINS9_10device_ptrIsEEEESE_s11max_functorIsEsEEDaPvRmT3_T4_T5_mT6_P12ihipStream_tbENKUlT_T0_E_clISt17integral_constantIbLb0EEST_IbLb1EEEEDaSP_SQ_EUlSP_E0_NS1_11comp_targetILNS1_3genE0ELNS1_11target_archE4294967295ELNS1_3gpuE0ELNS1_3repE0EEENS1_30default_config_static_selectorELNS0_4arch9wavefront6targetE1EEEvT1_,"axG",@progbits,_ZN7rocprim17ROCPRIM_400000_NS6detail17trampoline_kernelINS0_14default_configENS1_20scan_config_selectorIsEEZZNS1_9scan_implILNS1_25lookback_scan_determinismE0ELb0ELb0ES3_N6thrust23THRUST_200600_302600_NS6detail15normal_iteratorINS9_10device_ptrIsEEEESE_s11max_functorIsEsEEDaPvRmT3_T4_T5_mT6_P12ihipStream_tbENKUlT_T0_E_clISt17integral_constantIbLb0EEST_IbLb1EEEEDaSP_SQ_EUlSP_E0_NS1_11comp_targetILNS1_3genE0ELNS1_11target_archE4294967295ELNS1_3gpuE0ELNS1_3repE0EEENS1_30default_config_static_selectorELNS0_4arch9wavefront6targetE1EEEvT1_,comdat
	.protected	_ZN7rocprim17ROCPRIM_400000_NS6detail17trampoline_kernelINS0_14default_configENS1_20scan_config_selectorIsEEZZNS1_9scan_implILNS1_25lookback_scan_determinismE0ELb0ELb0ES3_N6thrust23THRUST_200600_302600_NS6detail15normal_iteratorINS9_10device_ptrIsEEEESE_s11max_functorIsEsEEDaPvRmT3_T4_T5_mT6_P12ihipStream_tbENKUlT_T0_E_clISt17integral_constantIbLb0EEST_IbLb1EEEEDaSP_SQ_EUlSP_E0_NS1_11comp_targetILNS1_3genE0ELNS1_11target_archE4294967295ELNS1_3gpuE0ELNS1_3repE0EEENS1_30default_config_static_selectorELNS0_4arch9wavefront6targetE1EEEvT1_ ; -- Begin function _ZN7rocprim17ROCPRIM_400000_NS6detail17trampoline_kernelINS0_14default_configENS1_20scan_config_selectorIsEEZZNS1_9scan_implILNS1_25lookback_scan_determinismE0ELb0ELb0ES3_N6thrust23THRUST_200600_302600_NS6detail15normal_iteratorINS9_10device_ptrIsEEEESE_s11max_functorIsEsEEDaPvRmT3_T4_T5_mT6_P12ihipStream_tbENKUlT_T0_E_clISt17integral_constantIbLb0EEST_IbLb1EEEEDaSP_SQ_EUlSP_E0_NS1_11comp_targetILNS1_3genE0ELNS1_11target_archE4294967295ELNS1_3gpuE0ELNS1_3repE0EEENS1_30default_config_static_selectorELNS0_4arch9wavefront6targetE1EEEvT1_
	.globl	_ZN7rocprim17ROCPRIM_400000_NS6detail17trampoline_kernelINS0_14default_configENS1_20scan_config_selectorIsEEZZNS1_9scan_implILNS1_25lookback_scan_determinismE0ELb0ELb0ES3_N6thrust23THRUST_200600_302600_NS6detail15normal_iteratorINS9_10device_ptrIsEEEESE_s11max_functorIsEsEEDaPvRmT3_T4_T5_mT6_P12ihipStream_tbENKUlT_T0_E_clISt17integral_constantIbLb0EEST_IbLb1EEEEDaSP_SQ_EUlSP_E0_NS1_11comp_targetILNS1_3genE0ELNS1_11target_archE4294967295ELNS1_3gpuE0ELNS1_3repE0EEENS1_30default_config_static_selectorELNS0_4arch9wavefront6targetE1EEEvT1_
	.p2align	8
	.type	_ZN7rocprim17ROCPRIM_400000_NS6detail17trampoline_kernelINS0_14default_configENS1_20scan_config_selectorIsEEZZNS1_9scan_implILNS1_25lookback_scan_determinismE0ELb0ELb0ES3_N6thrust23THRUST_200600_302600_NS6detail15normal_iteratorINS9_10device_ptrIsEEEESE_s11max_functorIsEsEEDaPvRmT3_T4_T5_mT6_P12ihipStream_tbENKUlT_T0_E_clISt17integral_constantIbLb0EEST_IbLb1EEEEDaSP_SQ_EUlSP_E0_NS1_11comp_targetILNS1_3genE0ELNS1_11target_archE4294967295ELNS1_3gpuE0ELNS1_3repE0EEENS1_30default_config_static_selectorELNS0_4arch9wavefront6targetE1EEEvT1_,@function
_ZN7rocprim17ROCPRIM_400000_NS6detail17trampoline_kernelINS0_14default_configENS1_20scan_config_selectorIsEEZZNS1_9scan_implILNS1_25lookback_scan_determinismE0ELb0ELb0ES3_N6thrust23THRUST_200600_302600_NS6detail15normal_iteratorINS9_10device_ptrIsEEEESE_s11max_functorIsEsEEDaPvRmT3_T4_T5_mT6_P12ihipStream_tbENKUlT_T0_E_clISt17integral_constantIbLb0EEST_IbLb1EEEEDaSP_SQ_EUlSP_E0_NS1_11comp_targetILNS1_3genE0ELNS1_11target_archE4294967295ELNS1_3gpuE0ELNS1_3repE0EEENS1_30default_config_static_selectorELNS0_4arch9wavefront6targetE1EEEvT1_: ; @_ZN7rocprim17ROCPRIM_400000_NS6detail17trampoline_kernelINS0_14default_configENS1_20scan_config_selectorIsEEZZNS1_9scan_implILNS1_25lookback_scan_determinismE0ELb0ELb0ES3_N6thrust23THRUST_200600_302600_NS6detail15normal_iteratorINS9_10device_ptrIsEEEESE_s11max_functorIsEsEEDaPvRmT3_T4_T5_mT6_P12ihipStream_tbENKUlT_T0_E_clISt17integral_constantIbLb0EEST_IbLb1EEEEDaSP_SQ_EUlSP_E0_NS1_11comp_targetILNS1_3genE0ELNS1_11target_archE4294967295ELNS1_3gpuE0ELNS1_3repE0EEENS1_30default_config_static_selectorELNS0_4arch9wavefront6targetE1EEEvT1_
; %bb.0:
	.section	.rodata,"a",@progbits
	.p2align	6, 0x0
	.amdhsa_kernel _ZN7rocprim17ROCPRIM_400000_NS6detail17trampoline_kernelINS0_14default_configENS1_20scan_config_selectorIsEEZZNS1_9scan_implILNS1_25lookback_scan_determinismE0ELb0ELb0ES3_N6thrust23THRUST_200600_302600_NS6detail15normal_iteratorINS9_10device_ptrIsEEEESE_s11max_functorIsEsEEDaPvRmT3_T4_T5_mT6_P12ihipStream_tbENKUlT_T0_E_clISt17integral_constantIbLb0EEST_IbLb1EEEEDaSP_SQ_EUlSP_E0_NS1_11comp_targetILNS1_3genE0ELNS1_11target_archE4294967295ELNS1_3gpuE0ELNS1_3repE0EEENS1_30default_config_static_selectorELNS0_4arch9wavefront6targetE1EEEvT1_
		.amdhsa_group_segment_fixed_size 0
		.amdhsa_private_segment_fixed_size 0
		.amdhsa_kernarg_size 32
		.amdhsa_user_sgpr_count 6
		.amdhsa_user_sgpr_private_segment_buffer 1
		.amdhsa_user_sgpr_dispatch_ptr 0
		.amdhsa_user_sgpr_queue_ptr 0
		.amdhsa_user_sgpr_kernarg_segment_ptr 1
		.amdhsa_user_sgpr_dispatch_id 0
		.amdhsa_user_sgpr_flat_scratch_init 0
		.amdhsa_user_sgpr_kernarg_preload_length 0
		.amdhsa_user_sgpr_kernarg_preload_offset 0
		.amdhsa_user_sgpr_private_segment_size 0
		.amdhsa_uses_dynamic_stack 0
		.amdhsa_system_sgpr_private_segment_wavefront_offset 0
		.amdhsa_system_sgpr_workgroup_id_x 1
		.amdhsa_system_sgpr_workgroup_id_y 0
		.amdhsa_system_sgpr_workgroup_id_z 0
		.amdhsa_system_sgpr_workgroup_info 0
		.amdhsa_system_vgpr_workitem_id 0
		.amdhsa_next_free_vgpr 1
		.amdhsa_next_free_sgpr 0
		.amdhsa_accum_offset 4
		.amdhsa_reserve_vcc 0
		.amdhsa_reserve_flat_scratch 0
		.amdhsa_float_round_mode_32 0
		.amdhsa_float_round_mode_16_64 0
		.amdhsa_float_denorm_mode_32 3
		.amdhsa_float_denorm_mode_16_64 3
		.amdhsa_dx10_clamp 1
		.amdhsa_ieee_mode 1
		.amdhsa_fp16_overflow 0
		.amdhsa_tg_split 0
		.amdhsa_exception_fp_ieee_invalid_op 0
		.amdhsa_exception_fp_denorm_src 0
		.amdhsa_exception_fp_ieee_div_zero 0
		.amdhsa_exception_fp_ieee_overflow 0
		.amdhsa_exception_fp_ieee_underflow 0
		.amdhsa_exception_fp_ieee_inexact 0
		.amdhsa_exception_int_div_zero 0
	.end_amdhsa_kernel
	.section	.text._ZN7rocprim17ROCPRIM_400000_NS6detail17trampoline_kernelINS0_14default_configENS1_20scan_config_selectorIsEEZZNS1_9scan_implILNS1_25lookback_scan_determinismE0ELb0ELb0ES3_N6thrust23THRUST_200600_302600_NS6detail15normal_iteratorINS9_10device_ptrIsEEEESE_s11max_functorIsEsEEDaPvRmT3_T4_T5_mT6_P12ihipStream_tbENKUlT_T0_E_clISt17integral_constantIbLb0EEST_IbLb1EEEEDaSP_SQ_EUlSP_E0_NS1_11comp_targetILNS1_3genE0ELNS1_11target_archE4294967295ELNS1_3gpuE0ELNS1_3repE0EEENS1_30default_config_static_selectorELNS0_4arch9wavefront6targetE1EEEvT1_,"axG",@progbits,_ZN7rocprim17ROCPRIM_400000_NS6detail17trampoline_kernelINS0_14default_configENS1_20scan_config_selectorIsEEZZNS1_9scan_implILNS1_25lookback_scan_determinismE0ELb0ELb0ES3_N6thrust23THRUST_200600_302600_NS6detail15normal_iteratorINS9_10device_ptrIsEEEESE_s11max_functorIsEsEEDaPvRmT3_T4_T5_mT6_P12ihipStream_tbENKUlT_T0_E_clISt17integral_constantIbLb0EEST_IbLb1EEEEDaSP_SQ_EUlSP_E0_NS1_11comp_targetILNS1_3genE0ELNS1_11target_archE4294967295ELNS1_3gpuE0ELNS1_3repE0EEENS1_30default_config_static_selectorELNS0_4arch9wavefront6targetE1EEEvT1_,comdat
.Lfunc_end2909:
	.size	_ZN7rocprim17ROCPRIM_400000_NS6detail17trampoline_kernelINS0_14default_configENS1_20scan_config_selectorIsEEZZNS1_9scan_implILNS1_25lookback_scan_determinismE0ELb0ELb0ES3_N6thrust23THRUST_200600_302600_NS6detail15normal_iteratorINS9_10device_ptrIsEEEESE_s11max_functorIsEsEEDaPvRmT3_T4_T5_mT6_P12ihipStream_tbENKUlT_T0_E_clISt17integral_constantIbLb0EEST_IbLb1EEEEDaSP_SQ_EUlSP_E0_NS1_11comp_targetILNS1_3genE0ELNS1_11target_archE4294967295ELNS1_3gpuE0ELNS1_3repE0EEENS1_30default_config_static_selectorELNS0_4arch9wavefront6targetE1EEEvT1_, .Lfunc_end2909-_ZN7rocprim17ROCPRIM_400000_NS6detail17trampoline_kernelINS0_14default_configENS1_20scan_config_selectorIsEEZZNS1_9scan_implILNS1_25lookback_scan_determinismE0ELb0ELb0ES3_N6thrust23THRUST_200600_302600_NS6detail15normal_iteratorINS9_10device_ptrIsEEEESE_s11max_functorIsEsEEDaPvRmT3_T4_T5_mT6_P12ihipStream_tbENKUlT_T0_E_clISt17integral_constantIbLb0EEST_IbLb1EEEEDaSP_SQ_EUlSP_E0_NS1_11comp_targetILNS1_3genE0ELNS1_11target_archE4294967295ELNS1_3gpuE0ELNS1_3repE0EEENS1_30default_config_static_selectorELNS0_4arch9wavefront6targetE1EEEvT1_
                                        ; -- End function
	.section	.AMDGPU.csdata,"",@progbits
; Kernel info:
; codeLenInByte = 0
; NumSgprs: 4
; NumVgprs: 0
; NumAgprs: 0
; TotalNumVgprs: 0
; ScratchSize: 0
; MemoryBound: 0
; FloatMode: 240
; IeeeMode: 1
; LDSByteSize: 0 bytes/workgroup (compile time only)
; SGPRBlocks: 0
; VGPRBlocks: 0
; NumSGPRsForWavesPerEU: 4
; NumVGPRsForWavesPerEU: 1
; AccumOffset: 4
; Occupancy: 8
; WaveLimiterHint : 0
; COMPUTE_PGM_RSRC2:SCRATCH_EN: 0
; COMPUTE_PGM_RSRC2:USER_SGPR: 6
; COMPUTE_PGM_RSRC2:TRAP_HANDLER: 0
; COMPUTE_PGM_RSRC2:TGID_X_EN: 1
; COMPUTE_PGM_RSRC2:TGID_Y_EN: 0
; COMPUTE_PGM_RSRC2:TGID_Z_EN: 0
; COMPUTE_PGM_RSRC2:TIDIG_COMP_CNT: 0
; COMPUTE_PGM_RSRC3_GFX90A:ACCUM_OFFSET: 0
; COMPUTE_PGM_RSRC3_GFX90A:TG_SPLIT: 0
	.section	.text._ZN7rocprim17ROCPRIM_400000_NS6detail17trampoline_kernelINS0_14default_configENS1_20scan_config_selectorIsEEZZNS1_9scan_implILNS1_25lookback_scan_determinismE0ELb0ELb0ES3_N6thrust23THRUST_200600_302600_NS6detail15normal_iteratorINS9_10device_ptrIsEEEESE_s11max_functorIsEsEEDaPvRmT3_T4_T5_mT6_P12ihipStream_tbENKUlT_T0_E_clISt17integral_constantIbLb0EEST_IbLb1EEEEDaSP_SQ_EUlSP_E0_NS1_11comp_targetILNS1_3genE5ELNS1_11target_archE942ELNS1_3gpuE9ELNS1_3repE0EEENS1_30default_config_static_selectorELNS0_4arch9wavefront6targetE1EEEvT1_,"axG",@progbits,_ZN7rocprim17ROCPRIM_400000_NS6detail17trampoline_kernelINS0_14default_configENS1_20scan_config_selectorIsEEZZNS1_9scan_implILNS1_25lookback_scan_determinismE0ELb0ELb0ES3_N6thrust23THRUST_200600_302600_NS6detail15normal_iteratorINS9_10device_ptrIsEEEESE_s11max_functorIsEsEEDaPvRmT3_T4_T5_mT6_P12ihipStream_tbENKUlT_T0_E_clISt17integral_constantIbLb0EEST_IbLb1EEEEDaSP_SQ_EUlSP_E0_NS1_11comp_targetILNS1_3genE5ELNS1_11target_archE942ELNS1_3gpuE9ELNS1_3repE0EEENS1_30default_config_static_selectorELNS0_4arch9wavefront6targetE1EEEvT1_,comdat
	.protected	_ZN7rocprim17ROCPRIM_400000_NS6detail17trampoline_kernelINS0_14default_configENS1_20scan_config_selectorIsEEZZNS1_9scan_implILNS1_25lookback_scan_determinismE0ELb0ELb0ES3_N6thrust23THRUST_200600_302600_NS6detail15normal_iteratorINS9_10device_ptrIsEEEESE_s11max_functorIsEsEEDaPvRmT3_T4_T5_mT6_P12ihipStream_tbENKUlT_T0_E_clISt17integral_constantIbLb0EEST_IbLb1EEEEDaSP_SQ_EUlSP_E0_NS1_11comp_targetILNS1_3genE5ELNS1_11target_archE942ELNS1_3gpuE9ELNS1_3repE0EEENS1_30default_config_static_selectorELNS0_4arch9wavefront6targetE1EEEvT1_ ; -- Begin function _ZN7rocprim17ROCPRIM_400000_NS6detail17trampoline_kernelINS0_14default_configENS1_20scan_config_selectorIsEEZZNS1_9scan_implILNS1_25lookback_scan_determinismE0ELb0ELb0ES3_N6thrust23THRUST_200600_302600_NS6detail15normal_iteratorINS9_10device_ptrIsEEEESE_s11max_functorIsEsEEDaPvRmT3_T4_T5_mT6_P12ihipStream_tbENKUlT_T0_E_clISt17integral_constantIbLb0EEST_IbLb1EEEEDaSP_SQ_EUlSP_E0_NS1_11comp_targetILNS1_3genE5ELNS1_11target_archE942ELNS1_3gpuE9ELNS1_3repE0EEENS1_30default_config_static_selectorELNS0_4arch9wavefront6targetE1EEEvT1_
	.globl	_ZN7rocprim17ROCPRIM_400000_NS6detail17trampoline_kernelINS0_14default_configENS1_20scan_config_selectorIsEEZZNS1_9scan_implILNS1_25lookback_scan_determinismE0ELb0ELb0ES3_N6thrust23THRUST_200600_302600_NS6detail15normal_iteratorINS9_10device_ptrIsEEEESE_s11max_functorIsEsEEDaPvRmT3_T4_T5_mT6_P12ihipStream_tbENKUlT_T0_E_clISt17integral_constantIbLb0EEST_IbLb1EEEEDaSP_SQ_EUlSP_E0_NS1_11comp_targetILNS1_3genE5ELNS1_11target_archE942ELNS1_3gpuE9ELNS1_3repE0EEENS1_30default_config_static_selectorELNS0_4arch9wavefront6targetE1EEEvT1_
	.p2align	8
	.type	_ZN7rocprim17ROCPRIM_400000_NS6detail17trampoline_kernelINS0_14default_configENS1_20scan_config_selectorIsEEZZNS1_9scan_implILNS1_25lookback_scan_determinismE0ELb0ELb0ES3_N6thrust23THRUST_200600_302600_NS6detail15normal_iteratorINS9_10device_ptrIsEEEESE_s11max_functorIsEsEEDaPvRmT3_T4_T5_mT6_P12ihipStream_tbENKUlT_T0_E_clISt17integral_constantIbLb0EEST_IbLb1EEEEDaSP_SQ_EUlSP_E0_NS1_11comp_targetILNS1_3genE5ELNS1_11target_archE942ELNS1_3gpuE9ELNS1_3repE0EEENS1_30default_config_static_selectorELNS0_4arch9wavefront6targetE1EEEvT1_,@function
_ZN7rocprim17ROCPRIM_400000_NS6detail17trampoline_kernelINS0_14default_configENS1_20scan_config_selectorIsEEZZNS1_9scan_implILNS1_25lookback_scan_determinismE0ELb0ELb0ES3_N6thrust23THRUST_200600_302600_NS6detail15normal_iteratorINS9_10device_ptrIsEEEESE_s11max_functorIsEsEEDaPvRmT3_T4_T5_mT6_P12ihipStream_tbENKUlT_T0_E_clISt17integral_constantIbLb0EEST_IbLb1EEEEDaSP_SQ_EUlSP_E0_NS1_11comp_targetILNS1_3genE5ELNS1_11target_archE942ELNS1_3gpuE9ELNS1_3repE0EEENS1_30default_config_static_selectorELNS0_4arch9wavefront6targetE1EEEvT1_: ; @_ZN7rocprim17ROCPRIM_400000_NS6detail17trampoline_kernelINS0_14default_configENS1_20scan_config_selectorIsEEZZNS1_9scan_implILNS1_25lookback_scan_determinismE0ELb0ELb0ES3_N6thrust23THRUST_200600_302600_NS6detail15normal_iteratorINS9_10device_ptrIsEEEESE_s11max_functorIsEsEEDaPvRmT3_T4_T5_mT6_P12ihipStream_tbENKUlT_T0_E_clISt17integral_constantIbLb0EEST_IbLb1EEEEDaSP_SQ_EUlSP_E0_NS1_11comp_targetILNS1_3genE5ELNS1_11target_archE942ELNS1_3gpuE9ELNS1_3repE0EEENS1_30default_config_static_selectorELNS0_4arch9wavefront6targetE1EEEvT1_
; %bb.0:
	.section	.rodata,"a",@progbits
	.p2align	6, 0x0
	.amdhsa_kernel _ZN7rocprim17ROCPRIM_400000_NS6detail17trampoline_kernelINS0_14default_configENS1_20scan_config_selectorIsEEZZNS1_9scan_implILNS1_25lookback_scan_determinismE0ELb0ELb0ES3_N6thrust23THRUST_200600_302600_NS6detail15normal_iteratorINS9_10device_ptrIsEEEESE_s11max_functorIsEsEEDaPvRmT3_T4_T5_mT6_P12ihipStream_tbENKUlT_T0_E_clISt17integral_constantIbLb0EEST_IbLb1EEEEDaSP_SQ_EUlSP_E0_NS1_11comp_targetILNS1_3genE5ELNS1_11target_archE942ELNS1_3gpuE9ELNS1_3repE0EEENS1_30default_config_static_selectorELNS0_4arch9wavefront6targetE1EEEvT1_
		.amdhsa_group_segment_fixed_size 0
		.amdhsa_private_segment_fixed_size 0
		.amdhsa_kernarg_size 32
		.amdhsa_user_sgpr_count 6
		.amdhsa_user_sgpr_private_segment_buffer 1
		.amdhsa_user_sgpr_dispatch_ptr 0
		.amdhsa_user_sgpr_queue_ptr 0
		.amdhsa_user_sgpr_kernarg_segment_ptr 1
		.amdhsa_user_sgpr_dispatch_id 0
		.amdhsa_user_sgpr_flat_scratch_init 0
		.amdhsa_user_sgpr_kernarg_preload_length 0
		.amdhsa_user_sgpr_kernarg_preload_offset 0
		.amdhsa_user_sgpr_private_segment_size 0
		.amdhsa_uses_dynamic_stack 0
		.amdhsa_system_sgpr_private_segment_wavefront_offset 0
		.amdhsa_system_sgpr_workgroup_id_x 1
		.amdhsa_system_sgpr_workgroup_id_y 0
		.amdhsa_system_sgpr_workgroup_id_z 0
		.amdhsa_system_sgpr_workgroup_info 0
		.amdhsa_system_vgpr_workitem_id 0
		.amdhsa_next_free_vgpr 1
		.amdhsa_next_free_sgpr 0
		.amdhsa_accum_offset 4
		.amdhsa_reserve_vcc 0
		.amdhsa_reserve_flat_scratch 0
		.amdhsa_float_round_mode_32 0
		.amdhsa_float_round_mode_16_64 0
		.amdhsa_float_denorm_mode_32 3
		.amdhsa_float_denorm_mode_16_64 3
		.amdhsa_dx10_clamp 1
		.amdhsa_ieee_mode 1
		.amdhsa_fp16_overflow 0
		.amdhsa_tg_split 0
		.amdhsa_exception_fp_ieee_invalid_op 0
		.amdhsa_exception_fp_denorm_src 0
		.amdhsa_exception_fp_ieee_div_zero 0
		.amdhsa_exception_fp_ieee_overflow 0
		.amdhsa_exception_fp_ieee_underflow 0
		.amdhsa_exception_fp_ieee_inexact 0
		.amdhsa_exception_int_div_zero 0
	.end_amdhsa_kernel
	.section	.text._ZN7rocprim17ROCPRIM_400000_NS6detail17trampoline_kernelINS0_14default_configENS1_20scan_config_selectorIsEEZZNS1_9scan_implILNS1_25lookback_scan_determinismE0ELb0ELb0ES3_N6thrust23THRUST_200600_302600_NS6detail15normal_iteratorINS9_10device_ptrIsEEEESE_s11max_functorIsEsEEDaPvRmT3_T4_T5_mT6_P12ihipStream_tbENKUlT_T0_E_clISt17integral_constantIbLb0EEST_IbLb1EEEEDaSP_SQ_EUlSP_E0_NS1_11comp_targetILNS1_3genE5ELNS1_11target_archE942ELNS1_3gpuE9ELNS1_3repE0EEENS1_30default_config_static_selectorELNS0_4arch9wavefront6targetE1EEEvT1_,"axG",@progbits,_ZN7rocprim17ROCPRIM_400000_NS6detail17trampoline_kernelINS0_14default_configENS1_20scan_config_selectorIsEEZZNS1_9scan_implILNS1_25lookback_scan_determinismE0ELb0ELb0ES3_N6thrust23THRUST_200600_302600_NS6detail15normal_iteratorINS9_10device_ptrIsEEEESE_s11max_functorIsEsEEDaPvRmT3_T4_T5_mT6_P12ihipStream_tbENKUlT_T0_E_clISt17integral_constantIbLb0EEST_IbLb1EEEEDaSP_SQ_EUlSP_E0_NS1_11comp_targetILNS1_3genE5ELNS1_11target_archE942ELNS1_3gpuE9ELNS1_3repE0EEENS1_30default_config_static_selectorELNS0_4arch9wavefront6targetE1EEEvT1_,comdat
.Lfunc_end2910:
	.size	_ZN7rocprim17ROCPRIM_400000_NS6detail17trampoline_kernelINS0_14default_configENS1_20scan_config_selectorIsEEZZNS1_9scan_implILNS1_25lookback_scan_determinismE0ELb0ELb0ES3_N6thrust23THRUST_200600_302600_NS6detail15normal_iteratorINS9_10device_ptrIsEEEESE_s11max_functorIsEsEEDaPvRmT3_T4_T5_mT6_P12ihipStream_tbENKUlT_T0_E_clISt17integral_constantIbLb0EEST_IbLb1EEEEDaSP_SQ_EUlSP_E0_NS1_11comp_targetILNS1_3genE5ELNS1_11target_archE942ELNS1_3gpuE9ELNS1_3repE0EEENS1_30default_config_static_selectorELNS0_4arch9wavefront6targetE1EEEvT1_, .Lfunc_end2910-_ZN7rocprim17ROCPRIM_400000_NS6detail17trampoline_kernelINS0_14default_configENS1_20scan_config_selectorIsEEZZNS1_9scan_implILNS1_25lookback_scan_determinismE0ELb0ELb0ES3_N6thrust23THRUST_200600_302600_NS6detail15normal_iteratorINS9_10device_ptrIsEEEESE_s11max_functorIsEsEEDaPvRmT3_T4_T5_mT6_P12ihipStream_tbENKUlT_T0_E_clISt17integral_constantIbLb0EEST_IbLb1EEEEDaSP_SQ_EUlSP_E0_NS1_11comp_targetILNS1_3genE5ELNS1_11target_archE942ELNS1_3gpuE9ELNS1_3repE0EEENS1_30default_config_static_selectorELNS0_4arch9wavefront6targetE1EEEvT1_
                                        ; -- End function
	.section	.AMDGPU.csdata,"",@progbits
; Kernel info:
; codeLenInByte = 0
; NumSgprs: 4
; NumVgprs: 0
; NumAgprs: 0
; TotalNumVgprs: 0
; ScratchSize: 0
; MemoryBound: 0
; FloatMode: 240
; IeeeMode: 1
; LDSByteSize: 0 bytes/workgroup (compile time only)
; SGPRBlocks: 0
; VGPRBlocks: 0
; NumSGPRsForWavesPerEU: 4
; NumVGPRsForWavesPerEU: 1
; AccumOffset: 4
; Occupancy: 8
; WaveLimiterHint : 0
; COMPUTE_PGM_RSRC2:SCRATCH_EN: 0
; COMPUTE_PGM_RSRC2:USER_SGPR: 6
; COMPUTE_PGM_RSRC2:TRAP_HANDLER: 0
; COMPUTE_PGM_RSRC2:TGID_X_EN: 1
; COMPUTE_PGM_RSRC2:TGID_Y_EN: 0
; COMPUTE_PGM_RSRC2:TGID_Z_EN: 0
; COMPUTE_PGM_RSRC2:TIDIG_COMP_CNT: 0
; COMPUTE_PGM_RSRC3_GFX90A:ACCUM_OFFSET: 0
; COMPUTE_PGM_RSRC3_GFX90A:TG_SPLIT: 0
	.section	.text._ZN7rocprim17ROCPRIM_400000_NS6detail17trampoline_kernelINS0_14default_configENS1_20scan_config_selectorIsEEZZNS1_9scan_implILNS1_25lookback_scan_determinismE0ELb0ELb0ES3_N6thrust23THRUST_200600_302600_NS6detail15normal_iteratorINS9_10device_ptrIsEEEESE_s11max_functorIsEsEEDaPvRmT3_T4_T5_mT6_P12ihipStream_tbENKUlT_T0_E_clISt17integral_constantIbLb0EEST_IbLb1EEEEDaSP_SQ_EUlSP_E0_NS1_11comp_targetILNS1_3genE4ELNS1_11target_archE910ELNS1_3gpuE8ELNS1_3repE0EEENS1_30default_config_static_selectorELNS0_4arch9wavefront6targetE1EEEvT1_,"axG",@progbits,_ZN7rocprim17ROCPRIM_400000_NS6detail17trampoline_kernelINS0_14default_configENS1_20scan_config_selectorIsEEZZNS1_9scan_implILNS1_25lookback_scan_determinismE0ELb0ELb0ES3_N6thrust23THRUST_200600_302600_NS6detail15normal_iteratorINS9_10device_ptrIsEEEESE_s11max_functorIsEsEEDaPvRmT3_T4_T5_mT6_P12ihipStream_tbENKUlT_T0_E_clISt17integral_constantIbLb0EEST_IbLb1EEEEDaSP_SQ_EUlSP_E0_NS1_11comp_targetILNS1_3genE4ELNS1_11target_archE910ELNS1_3gpuE8ELNS1_3repE0EEENS1_30default_config_static_selectorELNS0_4arch9wavefront6targetE1EEEvT1_,comdat
	.protected	_ZN7rocprim17ROCPRIM_400000_NS6detail17trampoline_kernelINS0_14default_configENS1_20scan_config_selectorIsEEZZNS1_9scan_implILNS1_25lookback_scan_determinismE0ELb0ELb0ES3_N6thrust23THRUST_200600_302600_NS6detail15normal_iteratorINS9_10device_ptrIsEEEESE_s11max_functorIsEsEEDaPvRmT3_T4_T5_mT6_P12ihipStream_tbENKUlT_T0_E_clISt17integral_constantIbLb0EEST_IbLb1EEEEDaSP_SQ_EUlSP_E0_NS1_11comp_targetILNS1_3genE4ELNS1_11target_archE910ELNS1_3gpuE8ELNS1_3repE0EEENS1_30default_config_static_selectorELNS0_4arch9wavefront6targetE1EEEvT1_ ; -- Begin function _ZN7rocprim17ROCPRIM_400000_NS6detail17trampoline_kernelINS0_14default_configENS1_20scan_config_selectorIsEEZZNS1_9scan_implILNS1_25lookback_scan_determinismE0ELb0ELb0ES3_N6thrust23THRUST_200600_302600_NS6detail15normal_iteratorINS9_10device_ptrIsEEEESE_s11max_functorIsEsEEDaPvRmT3_T4_T5_mT6_P12ihipStream_tbENKUlT_T0_E_clISt17integral_constantIbLb0EEST_IbLb1EEEEDaSP_SQ_EUlSP_E0_NS1_11comp_targetILNS1_3genE4ELNS1_11target_archE910ELNS1_3gpuE8ELNS1_3repE0EEENS1_30default_config_static_selectorELNS0_4arch9wavefront6targetE1EEEvT1_
	.globl	_ZN7rocprim17ROCPRIM_400000_NS6detail17trampoline_kernelINS0_14default_configENS1_20scan_config_selectorIsEEZZNS1_9scan_implILNS1_25lookback_scan_determinismE0ELb0ELb0ES3_N6thrust23THRUST_200600_302600_NS6detail15normal_iteratorINS9_10device_ptrIsEEEESE_s11max_functorIsEsEEDaPvRmT3_T4_T5_mT6_P12ihipStream_tbENKUlT_T0_E_clISt17integral_constantIbLb0EEST_IbLb1EEEEDaSP_SQ_EUlSP_E0_NS1_11comp_targetILNS1_3genE4ELNS1_11target_archE910ELNS1_3gpuE8ELNS1_3repE0EEENS1_30default_config_static_selectorELNS0_4arch9wavefront6targetE1EEEvT1_
	.p2align	8
	.type	_ZN7rocprim17ROCPRIM_400000_NS6detail17trampoline_kernelINS0_14default_configENS1_20scan_config_selectorIsEEZZNS1_9scan_implILNS1_25lookback_scan_determinismE0ELb0ELb0ES3_N6thrust23THRUST_200600_302600_NS6detail15normal_iteratorINS9_10device_ptrIsEEEESE_s11max_functorIsEsEEDaPvRmT3_T4_T5_mT6_P12ihipStream_tbENKUlT_T0_E_clISt17integral_constantIbLb0EEST_IbLb1EEEEDaSP_SQ_EUlSP_E0_NS1_11comp_targetILNS1_3genE4ELNS1_11target_archE910ELNS1_3gpuE8ELNS1_3repE0EEENS1_30default_config_static_selectorELNS0_4arch9wavefront6targetE1EEEvT1_,@function
_ZN7rocprim17ROCPRIM_400000_NS6detail17trampoline_kernelINS0_14default_configENS1_20scan_config_selectorIsEEZZNS1_9scan_implILNS1_25lookback_scan_determinismE0ELb0ELb0ES3_N6thrust23THRUST_200600_302600_NS6detail15normal_iteratorINS9_10device_ptrIsEEEESE_s11max_functorIsEsEEDaPvRmT3_T4_T5_mT6_P12ihipStream_tbENKUlT_T0_E_clISt17integral_constantIbLb0EEST_IbLb1EEEEDaSP_SQ_EUlSP_E0_NS1_11comp_targetILNS1_3genE4ELNS1_11target_archE910ELNS1_3gpuE8ELNS1_3repE0EEENS1_30default_config_static_selectorELNS0_4arch9wavefront6targetE1EEEvT1_: ; @_ZN7rocprim17ROCPRIM_400000_NS6detail17trampoline_kernelINS0_14default_configENS1_20scan_config_selectorIsEEZZNS1_9scan_implILNS1_25lookback_scan_determinismE0ELb0ELb0ES3_N6thrust23THRUST_200600_302600_NS6detail15normal_iteratorINS9_10device_ptrIsEEEESE_s11max_functorIsEsEEDaPvRmT3_T4_T5_mT6_P12ihipStream_tbENKUlT_T0_E_clISt17integral_constantIbLb0EEST_IbLb1EEEEDaSP_SQ_EUlSP_E0_NS1_11comp_targetILNS1_3genE4ELNS1_11target_archE910ELNS1_3gpuE8ELNS1_3repE0EEENS1_30default_config_static_selectorELNS0_4arch9wavefront6targetE1EEEvT1_
; %bb.0:
	s_load_dwordx4 s[52:55], s[4:5], 0x0
	v_mov_b32_e32 v1, 0
	v_lshlrev_b32_e32 v14, 1, v0
	s_waitcnt lgkmcnt(0)
	global_load_ushort v2, v1, s[52:53]
	v_cmp_gt_u32_e32 vcc, s54, v0
	s_waitcnt vmcnt(0)
	v_mov_b32_e32 v3, v2
	s_and_saveexec_b64 s[0:1], vcc
	s_cbranch_execz .LBB2911_2
; %bb.1:
	global_load_ushort v3, v14, s[52:53]
.LBB2911_2:
	s_or_b64 exec, exec, s[0:1]
	v_or_b32_e32 v1, 64, v0
	v_cmp_gt_u32_e64 s[0:1], s54, v1
	v_mov_b32_e32 v4, v2
	s_and_saveexec_b64 s[2:3], s[0:1]
	s_cbranch_execz .LBB2911_4
; %bb.3:
	global_load_ushort v4, v14, s[52:53] offset:128
.LBB2911_4:
	s_or_b64 exec, exec, s[2:3]
	v_or_b32_e32 v1, 0x80, v0
	v_cmp_gt_u32_e64 s[2:3], s54, v1
	v_mov_b32_e32 v5, v2
	s_and_saveexec_b64 s[6:7], s[2:3]
	s_cbranch_execz .LBB2911_6
; %bb.5:
	global_load_ushort v5, v14, s[52:53] offset:256
.LBB2911_6:
	s_or_b64 exec, exec, s[6:7]
	v_or_b32_e32 v1, 0xc0, v0
	v_cmp_gt_u32_e64 s[48:49], s54, v1
	v_mov_b32_e32 v6, v2
	s_and_saveexec_b64 s[6:7], s[48:49]
	s_cbranch_execz .LBB2911_8
; %bb.7:
	global_load_ushort v6, v14, s[52:53] offset:384
.LBB2911_8:
	s_or_b64 exec, exec, s[6:7]
	v_or_b32_e32 v1, 0x100, v0
	v_cmp_gt_u32_e64 s[6:7], s54, v1
	v_mov_b32_e32 v7, v2
	s_and_saveexec_b64 s[8:9], s[6:7]
	s_cbranch_execz .LBB2911_10
; %bb.9:
	global_load_ushort v7, v14, s[52:53] offset:512
.LBB2911_10:
	s_or_b64 exec, exec, s[8:9]
	v_or_b32_e32 v1, 0x140, v0
	v_cmp_gt_u32_e64 s[8:9], s54, v1
	v_mov_b32_e32 v8, v2
	s_and_saveexec_b64 s[10:11], s[8:9]
	s_cbranch_execz .LBB2911_12
; %bb.11:
	global_load_ushort v8, v14, s[52:53] offset:640
.LBB2911_12:
	s_or_b64 exec, exec, s[10:11]
	v_or_b32_e32 v1, 0x180, v0
	v_cmp_gt_u32_e64 s[10:11], s54, v1
	v_mov_b32_e32 v9, v2
	s_and_saveexec_b64 s[12:13], s[10:11]
	s_cbranch_execz .LBB2911_14
; %bb.13:
	global_load_ushort v9, v14, s[52:53] offset:768
.LBB2911_14:
	s_or_b64 exec, exec, s[12:13]
	v_or_b32_e32 v1, 0x1c0, v0
	v_cmp_gt_u32_e64 s[12:13], s54, v1
	v_mov_b32_e32 v10, v2
	s_and_saveexec_b64 s[14:15], s[12:13]
	s_cbranch_execz .LBB2911_16
; %bb.15:
	global_load_ushort v10, v14, s[52:53] offset:896
.LBB2911_16:
	s_or_b64 exec, exec, s[14:15]
	v_or_b32_e32 v1, 0x200, v0
	v_cmp_gt_u32_e64 s[14:15], s54, v1
	v_mov_b32_e32 v11, v2
	s_and_saveexec_b64 s[16:17], s[14:15]
	s_cbranch_execz .LBB2911_18
; %bb.17:
	global_load_ushort v11, v14, s[52:53] offset:1024
.LBB2911_18:
	s_or_b64 exec, exec, s[16:17]
	v_or_b32_e32 v1, 0x240, v0
	v_cmp_gt_u32_e64 s[16:17], s54, v1
	v_mov_b32_e32 v12, v2
	s_and_saveexec_b64 s[18:19], s[16:17]
	s_cbranch_execz .LBB2911_20
; %bb.19:
	global_load_ushort v12, v14, s[52:53] offset:1152
.LBB2911_20:
	s_or_b64 exec, exec, s[18:19]
	v_or_b32_e32 v1, 0x280, v0
	v_cmp_gt_u32_e64 s[18:19], s54, v1
	v_mov_b32_e32 v13, v2
	s_and_saveexec_b64 s[20:21], s[18:19]
	s_cbranch_execz .LBB2911_22
; %bb.21:
	global_load_ushort v13, v14, s[52:53] offset:1280
.LBB2911_22:
	s_or_b64 exec, exec, s[20:21]
	v_or_b32_e32 v1, 0x2c0, v0
	v_cmp_gt_u32_e64 s[20:21], s54, v1
	v_mov_b32_e32 v15, v2
	s_and_saveexec_b64 s[22:23], s[20:21]
	s_cbranch_execz .LBB2911_24
; %bb.23:
	global_load_ushort v15, v14, s[52:53] offset:1408
.LBB2911_24:
	s_or_b64 exec, exec, s[22:23]
	v_or_b32_e32 v1, 0x300, v0
	v_cmp_gt_u32_e64 s[22:23], s54, v1
	v_mov_b32_e32 v16, v2
	s_and_saveexec_b64 s[24:25], s[22:23]
	s_cbranch_execz .LBB2911_26
; %bb.25:
	global_load_ushort v16, v14, s[52:53] offset:1536
.LBB2911_26:
	s_or_b64 exec, exec, s[24:25]
	v_or_b32_e32 v1, 0x340, v0
	v_cmp_gt_u32_e64 s[24:25], s54, v1
	v_mov_b32_e32 v17, v2
	s_and_saveexec_b64 s[26:27], s[24:25]
	s_cbranch_execz .LBB2911_28
; %bb.27:
	global_load_ushort v17, v14, s[52:53] offset:1664
.LBB2911_28:
	s_or_b64 exec, exec, s[26:27]
	v_or_b32_e32 v1, 0x380, v0
	v_cmp_gt_u32_e64 s[26:27], s54, v1
	v_mov_b32_e32 v18, v2
	s_and_saveexec_b64 s[28:29], s[26:27]
	s_cbranch_execz .LBB2911_30
; %bb.29:
	global_load_ushort v18, v14, s[52:53] offset:1792
.LBB2911_30:
	s_or_b64 exec, exec, s[28:29]
	v_or_b32_e32 v1, 0x3c0, v0
	v_cmp_gt_u32_e64 s[28:29], s54, v1
	v_mov_b32_e32 v19, v2
	s_and_saveexec_b64 s[30:31], s[28:29]
	s_cbranch_execz .LBB2911_32
; %bb.31:
	global_load_ushort v19, v14, s[52:53] offset:1920
.LBB2911_32:
	s_or_b64 exec, exec, s[30:31]
	v_or_b32_e32 v1, 0x400, v0
	v_cmp_gt_u32_e64 s[30:31], s54, v1
	v_mov_b32_e32 v20, v2
	s_and_saveexec_b64 s[34:35], s[30:31]
	s_cbranch_execz .LBB2911_34
; %bb.33:
	global_load_ushort v20, v14, s[52:53] offset:2048
.LBB2911_34:
	s_or_b64 exec, exec, s[34:35]
	v_or_b32_e32 v1, 0x440, v0
	v_cmp_gt_u32_e64 s[34:35], s54, v1
	v_mov_b32_e32 v21, v2
	s_and_saveexec_b64 s[36:37], s[34:35]
	s_cbranch_execz .LBB2911_36
; %bb.35:
	global_load_ushort v21, v14, s[52:53] offset:2176
.LBB2911_36:
	s_or_b64 exec, exec, s[36:37]
	v_or_b32_e32 v1, 0x480, v0
	v_cmp_gt_u32_e64 s[36:37], s54, v1
	v_mov_b32_e32 v22, v2
	s_and_saveexec_b64 s[38:39], s[36:37]
	s_cbranch_execz .LBB2911_38
; %bb.37:
	global_load_ushort v22, v14, s[52:53] offset:2304
.LBB2911_38:
	s_or_b64 exec, exec, s[38:39]
	v_or_b32_e32 v1, 0x4c0, v0
	v_cmp_gt_u32_e64 s[38:39], s54, v1
	v_mov_b32_e32 v23, v2
	s_and_saveexec_b64 s[40:41], s[38:39]
	s_cbranch_execz .LBB2911_40
; %bb.39:
	global_load_ushort v23, v14, s[52:53] offset:2432
.LBB2911_40:
	s_or_b64 exec, exec, s[40:41]
	v_or_b32_e32 v1, 0x500, v0
	v_cmp_gt_u32_e64 s[40:41], s54, v1
	v_mov_b32_e32 v24, v2
	s_and_saveexec_b64 s[42:43], s[40:41]
	s_cbranch_execz .LBB2911_42
; %bb.41:
	global_load_ushort v24, v14, s[52:53] offset:2560
.LBB2911_42:
	s_or_b64 exec, exec, s[42:43]
	v_or_b32_e32 v1, 0x540, v0
	v_cmp_gt_u32_e64 s[42:43], s54, v1
	v_mov_b32_e32 v25, v2
	s_and_saveexec_b64 s[44:45], s[42:43]
	s_cbranch_execz .LBB2911_44
; %bb.43:
	global_load_ushort v25, v14, s[52:53] offset:2688
.LBB2911_44:
	s_or_b64 exec, exec, s[44:45]
	v_or_b32_e32 v1, 0x580, v0
	v_cmp_gt_u32_e64 s[44:45], s54, v1
	v_mov_b32_e32 v26, v2
	s_and_saveexec_b64 s[46:47], s[44:45]
	s_cbranch_execz .LBB2911_46
; %bb.45:
	global_load_ushort v26, v14, s[52:53] offset:2816
.LBB2911_46:
	s_or_b64 exec, exec, s[46:47]
	v_or_b32_e32 v1, 0x5c0, v0
	v_cmp_gt_u32_e64 s[46:47], s54, v1
	v_cmp_le_u32_e64 s[50:51], s54, v1
	s_and_saveexec_b64 s[54:55], s[50:51]
	s_xor_b64 s[50:51], exec, s[54:55]
; %bb.47:
	v_mov_b32_e32 v1, 0
; %bb.48:
	s_andn2_saveexec_b64 s[50:51], s[50:51]
	s_cbranch_execz .LBB2911_50
; %bb.49:
	global_load_ushort v2, v14, s[52:53] offset:2944
	v_mov_b32_e32 v1, 0
.LBB2911_50:
	s_or_b64 exec, exec, s[50:51]
	s_waitcnt vmcnt(0)
	ds_write_b16 v14, v3
	ds_write_b16 v14, v4 offset:128
	ds_write_b16 v14, v5 offset:256
	;; [unrolled: 1-line block ×23, first 2 shown]
	v_mad_u32_u24 v15, v0, 46, v14
	s_waitcnt lgkmcnt(0)
	; wave barrier
	s_waitcnt lgkmcnt(0)
	ds_read_b128 v[2:5], v15
	ds_read_b128 v[10:13], v15 offset:16
	ds_read_b128 v[6:9], v15 offset:32
	v_mbcnt_lo_u32_b32 v39, -1, 0
	v_mbcnt_hi_u32_b32 v39, -1, v39
	s_waitcnt lgkmcnt(2)
	v_max_i16_sdwa v16, v2, v2 dst_sel:DWORD dst_unused:UNUSED_PAD src0_sel:DWORD src1_sel:WORD_1
	v_max_i16_e32 v17, v16, v3
	v_max_i16_sdwa v19, v17, v3 dst_sel:DWORD dst_unused:UNUSED_PAD src0_sel:DWORD src1_sel:WORD_1
	v_max_i16_e32 v21, v19, v4
	;; [unrolled: 2-line block ×3, first 2 shown]
	v_max_i16_sdwa v29, v26, v5 dst_sel:DWORD dst_unused:UNUSED_PAD src0_sel:DWORD src1_sel:WORD_1
	s_waitcnt lgkmcnt(1)
	v_max_i16_e32 v18, v29, v10
	v_max_i16_sdwa v20, v18, v10 dst_sel:DWORD dst_unused:UNUSED_PAD src0_sel:DWORD src1_sel:WORD_1
	v_max_i16_e32 v22, v20, v11
	v_max_i16_sdwa v25, v22, v11 dst_sel:DWORD dst_unused:UNUSED_PAD src0_sel:DWORD src1_sel:WORD_1
	;; [unrolled: 2-line block ×4, first 2 shown]
	s_waitcnt lgkmcnt(0)
	v_max_i16_e32 v24, v35, v6
	v_max_i16_sdwa v27, v24, v6 dst_sel:DWORD dst_unused:UNUSED_PAD src0_sel:DWORD src1_sel:WORD_1
	v_max_i16_e32 v30, v27, v7
	v_max_i16_sdwa v32, v30, v7 dst_sel:DWORD dst_unused:UNUSED_PAD src0_sel:DWORD src1_sel:WORD_1
	v_max_i16_e32 v34, v32, v8
	v_max_i16_sdwa v36, v34, v8 dst_sel:DWORD dst_unused:UNUSED_PAD src0_sel:DWORD src1_sel:WORD_1
	v_max_i16_e32 v37, v36, v9
	v_max_i16_sdwa v38, v37, v9 dst_sel:DWORD dst_unused:UNUSED_PAD src0_sel:DWORD src1_sel:WORD_1
	v_and_b32_e32 v40, 15, v39
	s_load_dwordx2 s[50:51], s[4:5], 0x18
	v_mov_b32_dpp v41, v38 row_shr:1 row_mask:0xf bank_mask:0xf
	v_max_i16_e32 v41, v41, v38
	v_cmp_eq_u32_e64 s[4:5], 0, v40
	v_cndmask_b32_e64 v41, v41, v38, s[4:5]
	v_and_b32_e32 v42, 0xffff, v41
	v_cmp_lt_u32_e64 s[4:5], 1, v40
	s_waitcnt lgkmcnt(0)
	v_mov_b32_dpp v42, v42 row_shr:2 row_mask:0xf bank_mask:0xf
	v_max_i16_e32 v42, v42, v41
	v_cndmask_b32_e64 v41, v41, v42, s[4:5]
	v_and_b32_e32 v42, 0xffff, v41
	v_cmp_lt_u32_e64 s[4:5], 3, v40
	; wave barrier
	s_nop 0
	v_mov_b32_dpp v42, v42 row_shr:4 row_mask:0xf bank_mask:0xf
	v_max_i16_e32 v42, v42, v41
	v_cndmask_b32_e64 v41, v41, v42, s[4:5]
	v_and_b32_e32 v42, 0xffff, v41
	v_cmp_lt_u32_e64 s[4:5], 7, v40
	s_nop 0
	v_mov_b32_dpp v42, v42 row_shr:8 row_mask:0xf bank_mask:0xf
	v_max_i16_e32 v42, v42, v41
	v_cndmask_b32_e64 v40, v41, v42, s[4:5]
	v_and_b32_e32 v41, 0xffff, v40
	v_and_b32_e32 v42, 16, v39
	v_cmp_eq_u32_e64 s[4:5], 0, v42
	v_mov_b32_dpp v41, v41 row_bcast:15 row_mask:0xf bank_mask:0xf
	v_max_i16_e32 v41, v41, v40
	v_cndmask_b32_e64 v40, v41, v40, s[4:5]
	v_and_b32_e32 v41, 0xffff, v40
	v_cmp_lt_u32_e64 s[4:5], 31, v39
	s_nop 0
	v_mov_b32_dpp v41, v41 row_bcast:31 row_mask:0xf bank_mask:0xf
	v_max_i16_e32 v41, v41, v40
	v_cndmask_b32_e64 v40, v40, v41, s[4:5]
	v_cmp_eq_u32_e64 s[4:5], 63, v0
	s_and_saveexec_b64 s[52:53], s[4:5]
	s_cbranch_execz .LBB2911_52
; %bb.51:
	v_mov_b32_e32 v41, 0
	ds_write_b16 v41, v40
.LBB2911_52:
	s_or_b64 exec, exec, s[52:53]
	v_add_u32_e32 v41, -1, v39
	v_and_b32_e32 v42, 64, v39
	v_cmp_lt_i32_e64 s[4:5], v41, v42
	v_cndmask_b32_e64 v39, v41, v39, s[4:5]
	v_and_b32_e32 v40, 0xffff, v40
	v_lshlrev_b32_e32 v39, 2, v39
	ds_bpermute_b32 v39, v39, v40
	v_cmp_ne_u32_e64 s[4:5], 0, v0
	s_waitcnt lgkmcnt(0)
	; wave barrier
	s_waitcnt lgkmcnt(0)
	s_and_saveexec_b64 s[52:53], s[4:5]
	s_cbranch_execz .LBB2911_54
; %bb.53:
	v_max_i16_e32 v39, v39, v2
	v_max_i16_sdwa v16, v39, v2 dst_sel:DWORD dst_unused:UNUSED_PAD src0_sel:DWORD src1_sel:WORD_1
	v_max_i16_e32 v17, v16, v3
	v_max_i16_sdwa v19, v17, v3 dst_sel:DWORD dst_unused:UNUSED_PAD src0_sel:DWORD src1_sel:WORD_1
	;; [unrolled: 2-line block ×12, first 2 shown]
	v_mov_b32_e32 v2, v39
	;;#ASMSTART
	;;#ASMEND
.LBB2911_54:
	s_or_b64 exec, exec, s[52:53]
	s_mov_b32 s4, 0x5040100
	v_perm_b32 v5, v29, v26, s4
	v_perm_b32 v4, v23, v21, s4
	;; [unrolled: 1-line block ×4, first 2 shown]
	s_waitcnt lgkmcnt(0)
	; wave barrier
	ds_write_b128 v15, v[2:5]
	v_perm_b32 v5, v35, v33, s4
	v_perm_b32 v4, v31, v28, s4
	;; [unrolled: 1-line block ×4, first 2 shown]
	ds_write_b128 v15, v[2:5] offset:16
	v_perm_b32 v5, v38, v37, s4
	v_perm_b32 v4, v36, v34, s4
	;; [unrolled: 1-line block ×4, first 2 shown]
	s_movk_i32 s4, 0xffd2
	ds_write_b128 v15, v[2:5] offset:32
	v_mad_i32_i24 v2, v0, s4, v15
	s_waitcnt lgkmcnt(0)
	; wave barrier
	s_waitcnt lgkmcnt(0)
	ds_read_u16 v25, v2 offset:128
	ds_read_u16 v24, v2 offset:256
	;; [unrolled: 1-line block ×23, first 2 shown]
	v_lshlrev_b64 v[0:1], 1, v[0:1]
	v_mov_b32_e32 v26, s51
	v_add_co_u32_e64 v0, s[4:5], s50, v0
	v_addc_co_u32_e64 v1, s[4:5], v26, v1, s[4:5]
	s_and_saveexec_b64 s[4:5], vcc
	s_cbranch_execnz .LBB2911_79
; %bb.55:
	s_or_b64 exec, exec, s[4:5]
	s_and_saveexec_b64 s[4:5], s[0:1]
	s_cbranch_execnz .LBB2911_80
.LBB2911_56:
	s_or_b64 exec, exec, s[4:5]
	s_and_saveexec_b64 s[0:1], s[2:3]
	s_cbranch_execnz .LBB2911_81
.LBB2911_57:
	s_or_b64 exec, exec, s[0:1]
	s_and_saveexec_b64 s[0:1], s[48:49]
	s_cbranch_execnz .LBB2911_82
.LBB2911_58:
	s_or_b64 exec, exec, s[0:1]
	s_and_saveexec_b64 s[0:1], s[6:7]
	s_cbranch_execnz .LBB2911_83
.LBB2911_59:
	s_or_b64 exec, exec, s[0:1]
	s_and_saveexec_b64 s[0:1], s[8:9]
	s_cbranch_execnz .LBB2911_84
.LBB2911_60:
	s_or_b64 exec, exec, s[0:1]
	s_and_saveexec_b64 s[0:1], s[10:11]
	s_cbranch_execnz .LBB2911_85
.LBB2911_61:
	s_or_b64 exec, exec, s[0:1]
	s_and_saveexec_b64 s[0:1], s[12:13]
	s_cbranch_execnz .LBB2911_86
.LBB2911_62:
	s_or_b64 exec, exec, s[0:1]
	s_and_saveexec_b64 s[0:1], s[14:15]
	s_cbranch_execnz .LBB2911_87
.LBB2911_63:
	s_or_b64 exec, exec, s[0:1]
	s_and_saveexec_b64 s[0:1], s[16:17]
	s_cbranch_execnz .LBB2911_88
.LBB2911_64:
	s_or_b64 exec, exec, s[0:1]
	s_and_saveexec_b64 s[0:1], s[18:19]
	s_cbranch_execnz .LBB2911_89
.LBB2911_65:
	s_or_b64 exec, exec, s[0:1]
	s_and_saveexec_b64 s[0:1], s[20:21]
	s_cbranch_execnz .LBB2911_90
.LBB2911_66:
	s_or_b64 exec, exec, s[0:1]
	s_and_saveexec_b64 s[0:1], s[22:23]
	s_cbranch_execnz .LBB2911_91
.LBB2911_67:
	s_or_b64 exec, exec, s[0:1]
	s_and_saveexec_b64 s[0:1], s[24:25]
	s_cbranch_execnz .LBB2911_92
.LBB2911_68:
	s_or_b64 exec, exec, s[0:1]
	s_and_saveexec_b64 s[0:1], s[26:27]
	s_cbranch_execnz .LBB2911_93
.LBB2911_69:
	s_or_b64 exec, exec, s[0:1]
	s_and_saveexec_b64 s[0:1], s[28:29]
	s_cbranch_execnz .LBB2911_94
.LBB2911_70:
	s_or_b64 exec, exec, s[0:1]
	s_and_saveexec_b64 s[0:1], s[30:31]
	s_cbranch_execnz .LBB2911_95
.LBB2911_71:
	s_or_b64 exec, exec, s[0:1]
	s_and_saveexec_b64 s[0:1], s[34:35]
	s_cbranch_execnz .LBB2911_96
.LBB2911_72:
	s_or_b64 exec, exec, s[0:1]
	s_and_saveexec_b64 s[0:1], s[36:37]
	s_cbranch_execnz .LBB2911_97
.LBB2911_73:
	s_or_b64 exec, exec, s[0:1]
	s_and_saveexec_b64 s[0:1], s[38:39]
	s_cbranch_execnz .LBB2911_98
.LBB2911_74:
	s_or_b64 exec, exec, s[0:1]
	s_and_saveexec_b64 s[0:1], s[40:41]
	s_cbranch_execnz .LBB2911_99
.LBB2911_75:
	s_or_b64 exec, exec, s[0:1]
	s_and_saveexec_b64 s[0:1], s[42:43]
	s_cbranch_execnz .LBB2911_100
.LBB2911_76:
	s_or_b64 exec, exec, s[0:1]
	s_and_saveexec_b64 s[0:1], s[44:45]
	s_cbranch_execnz .LBB2911_101
.LBB2911_77:
	s_or_b64 exec, exec, s[0:1]
	s_and_saveexec_b64 s[0:1], s[46:47]
	s_cbranch_execnz .LBB2911_102
.LBB2911_78:
	s_endpgm
.LBB2911_79:
	ds_read_u16 v14, v14
	s_waitcnt lgkmcnt(0)
	global_store_short v[0:1], v14, off
	s_or_b64 exec, exec, s[4:5]
	s_and_saveexec_b64 s[4:5], s[0:1]
	s_cbranch_execz .LBB2911_56
.LBB2911_80:
	s_waitcnt lgkmcnt(14)
	global_store_short v[0:1], v25, off offset:128
	s_or_b64 exec, exec, s[4:5]
	s_and_saveexec_b64 s[0:1], s[2:3]
	s_cbranch_execz .LBB2911_57
.LBB2911_81:
	s_waitcnt lgkmcnt(14)
	global_store_short v[0:1], v24, off offset:256
	s_or_b64 exec, exec, s[0:1]
	s_and_saveexec_b64 s[0:1], s[48:49]
	s_cbranch_execz .LBB2911_58
.LBB2911_82:
	s_waitcnt lgkmcnt(14)
	global_store_short v[0:1], v23, off offset:384
	s_or_b64 exec, exec, s[0:1]
	s_and_saveexec_b64 s[0:1], s[6:7]
	s_cbranch_execz .LBB2911_59
.LBB2911_83:
	s_waitcnt lgkmcnt(14)
	global_store_short v[0:1], v22, off offset:512
	s_or_b64 exec, exec, s[0:1]
	s_and_saveexec_b64 s[0:1], s[8:9]
	s_cbranch_execz .LBB2911_60
.LBB2911_84:
	s_waitcnt lgkmcnt(14)
	global_store_short v[0:1], v21, off offset:640
	s_or_b64 exec, exec, s[0:1]
	s_and_saveexec_b64 s[0:1], s[10:11]
	s_cbranch_execz .LBB2911_61
.LBB2911_85:
	s_waitcnt lgkmcnt(14)
	global_store_short v[0:1], v20, off offset:768
	s_or_b64 exec, exec, s[0:1]
	s_and_saveexec_b64 s[0:1], s[12:13]
	s_cbranch_execz .LBB2911_62
.LBB2911_86:
	s_waitcnt lgkmcnt(14)
	global_store_short v[0:1], v19, off offset:896
	s_or_b64 exec, exec, s[0:1]
	s_and_saveexec_b64 s[0:1], s[14:15]
	s_cbranch_execz .LBB2911_63
.LBB2911_87:
	s_waitcnt lgkmcnt(14)
	global_store_short v[0:1], v18, off offset:1024
	s_or_b64 exec, exec, s[0:1]
	s_and_saveexec_b64 s[0:1], s[16:17]
	s_cbranch_execz .LBB2911_64
.LBB2911_88:
	s_waitcnt lgkmcnt(14)
	global_store_short v[0:1], v17, off offset:1152
	s_or_b64 exec, exec, s[0:1]
	s_and_saveexec_b64 s[0:1], s[18:19]
	s_cbranch_execz .LBB2911_65
.LBB2911_89:
	s_waitcnt lgkmcnt(13)
	global_store_short v[0:1], v16, off offset:1280
	s_or_b64 exec, exec, s[0:1]
	s_and_saveexec_b64 s[0:1], s[20:21]
	s_cbranch_execz .LBB2911_66
.LBB2911_90:
	s_waitcnt lgkmcnt(12)
	global_store_short v[0:1], v15, off offset:1408
	s_or_b64 exec, exec, s[0:1]
	s_and_saveexec_b64 s[0:1], s[22:23]
	s_cbranch_execz .LBB2911_67
.LBB2911_91:
	s_waitcnt lgkmcnt(11)
	global_store_short v[0:1], v13, off offset:1536
	s_or_b64 exec, exec, s[0:1]
	s_and_saveexec_b64 s[0:1], s[24:25]
	s_cbranch_execz .LBB2911_68
.LBB2911_92:
	s_waitcnt lgkmcnt(10)
	global_store_short v[0:1], v12, off offset:1664
	s_or_b64 exec, exec, s[0:1]
	s_and_saveexec_b64 s[0:1], s[26:27]
	s_cbranch_execz .LBB2911_69
.LBB2911_93:
	s_waitcnt lgkmcnt(9)
	global_store_short v[0:1], v11, off offset:1792
	s_or_b64 exec, exec, s[0:1]
	s_and_saveexec_b64 s[0:1], s[28:29]
	s_cbranch_execz .LBB2911_70
.LBB2911_94:
	s_waitcnt lgkmcnt(8)
	global_store_short v[0:1], v10, off offset:1920
	s_or_b64 exec, exec, s[0:1]
	s_and_saveexec_b64 s[0:1], s[30:31]
	s_cbranch_execz .LBB2911_71
.LBB2911_95:
	s_waitcnt lgkmcnt(1)
	global_store_short v[0:1], v9, off offset:2048
	s_or_b64 exec, exec, s[0:1]
	s_and_saveexec_b64 s[0:1], s[34:35]
	s_cbranch_execz .LBB2911_72
.LBB2911_96:
	s_waitcnt lgkmcnt(7)
	global_store_short v[0:1], v8, off offset:2176
	s_or_b64 exec, exec, s[0:1]
	s_and_saveexec_b64 s[0:1], s[36:37]
	s_cbranch_execz .LBB2911_73
.LBB2911_97:
	s_waitcnt lgkmcnt(6)
	global_store_short v[0:1], v7, off offset:2304
	s_or_b64 exec, exec, s[0:1]
	s_and_saveexec_b64 s[0:1], s[38:39]
	s_cbranch_execz .LBB2911_74
.LBB2911_98:
	s_waitcnt lgkmcnt(5)
	global_store_short v[0:1], v6, off offset:2432
	s_or_b64 exec, exec, s[0:1]
	s_and_saveexec_b64 s[0:1], s[40:41]
	s_cbranch_execz .LBB2911_75
.LBB2911_99:
	s_waitcnt lgkmcnt(4)
	global_store_short v[0:1], v5, off offset:2560
	s_or_b64 exec, exec, s[0:1]
	s_and_saveexec_b64 s[0:1], s[42:43]
	s_cbranch_execz .LBB2911_76
.LBB2911_100:
	s_waitcnt lgkmcnt(3)
	global_store_short v[0:1], v4, off offset:2688
	s_or_b64 exec, exec, s[0:1]
	s_and_saveexec_b64 s[0:1], s[44:45]
	s_cbranch_execz .LBB2911_77
.LBB2911_101:
	s_waitcnt lgkmcnt(2)
	global_store_short v[0:1], v3, off offset:2816
	s_or_b64 exec, exec, s[0:1]
	s_and_saveexec_b64 s[0:1], s[46:47]
	s_cbranch_execz .LBB2911_78
.LBB2911_102:
	s_waitcnt lgkmcnt(0)
	global_store_short v[0:1], v2, off offset:2944
	s_endpgm
	.section	.rodata,"a",@progbits
	.p2align	6, 0x0
	.amdhsa_kernel _ZN7rocprim17ROCPRIM_400000_NS6detail17trampoline_kernelINS0_14default_configENS1_20scan_config_selectorIsEEZZNS1_9scan_implILNS1_25lookback_scan_determinismE0ELb0ELb0ES3_N6thrust23THRUST_200600_302600_NS6detail15normal_iteratorINS9_10device_ptrIsEEEESE_s11max_functorIsEsEEDaPvRmT3_T4_T5_mT6_P12ihipStream_tbENKUlT_T0_E_clISt17integral_constantIbLb0EEST_IbLb1EEEEDaSP_SQ_EUlSP_E0_NS1_11comp_targetILNS1_3genE4ELNS1_11target_archE910ELNS1_3gpuE8ELNS1_3repE0EEENS1_30default_config_static_selectorELNS0_4arch9wavefront6targetE1EEEvT1_
		.amdhsa_group_segment_fixed_size 3072
		.amdhsa_private_segment_fixed_size 0
		.amdhsa_kernarg_size 32
		.amdhsa_user_sgpr_count 6
		.amdhsa_user_sgpr_private_segment_buffer 1
		.amdhsa_user_sgpr_dispatch_ptr 0
		.amdhsa_user_sgpr_queue_ptr 0
		.amdhsa_user_sgpr_kernarg_segment_ptr 1
		.amdhsa_user_sgpr_dispatch_id 0
		.amdhsa_user_sgpr_flat_scratch_init 0
		.amdhsa_user_sgpr_kernarg_preload_length 0
		.amdhsa_user_sgpr_kernarg_preload_offset 0
		.amdhsa_user_sgpr_private_segment_size 0
		.amdhsa_uses_dynamic_stack 0
		.amdhsa_system_sgpr_private_segment_wavefront_offset 0
		.amdhsa_system_sgpr_workgroup_id_x 1
		.amdhsa_system_sgpr_workgroup_id_y 0
		.amdhsa_system_sgpr_workgroup_id_z 0
		.amdhsa_system_sgpr_workgroup_info 0
		.amdhsa_system_vgpr_workitem_id 0
		.amdhsa_next_free_vgpr 43
		.amdhsa_next_free_sgpr 56
		.amdhsa_accum_offset 44
		.amdhsa_reserve_vcc 1
		.amdhsa_reserve_flat_scratch 0
		.amdhsa_float_round_mode_32 0
		.amdhsa_float_round_mode_16_64 0
		.amdhsa_float_denorm_mode_32 3
		.amdhsa_float_denorm_mode_16_64 3
		.amdhsa_dx10_clamp 1
		.amdhsa_ieee_mode 1
		.amdhsa_fp16_overflow 0
		.amdhsa_tg_split 0
		.amdhsa_exception_fp_ieee_invalid_op 0
		.amdhsa_exception_fp_denorm_src 0
		.amdhsa_exception_fp_ieee_div_zero 0
		.amdhsa_exception_fp_ieee_overflow 0
		.amdhsa_exception_fp_ieee_underflow 0
		.amdhsa_exception_fp_ieee_inexact 0
		.amdhsa_exception_int_div_zero 0
	.end_amdhsa_kernel
	.section	.text._ZN7rocprim17ROCPRIM_400000_NS6detail17trampoline_kernelINS0_14default_configENS1_20scan_config_selectorIsEEZZNS1_9scan_implILNS1_25lookback_scan_determinismE0ELb0ELb0ES3_N6thrust23THRUST_200600_302600_NS6detail15normal_iteratorINS9_10device_ptrIsEEEESE_s11max_functorIsEsEEDaPvRmT3_T4_T5_mT6_P12ihipStream_tbENKUlT_T0_E_clISt17integral_constantIbLb0EEST_IbLb1EEEEDaSP_SQ_EUlSP_E0_NS1_11comp_targetILNS1_3genE4ELNS1_11target_archE910ELNS1_3gpuE8ELNS1_3repE0EEENS1_30default_config_static_selectorELNS0_4arch9wavefront6targetE1EEEvT1_,"axG",@progbits,_ZN7rocprim17ROCPRIM_400000_NS6detail17trampoline_kernelINS0_14default_configENS1_20scan_config_selectorIsEEZZNS1_9scan_implILNS1_25lookback_scan_determinismE0ELb0ELb0ES3_N6thrust23THRUST_200600_302600_NS6detail15normal_iteratorINS9_10device_ptrIsEEEESE_s11max_functorIsEsEEDaPvRmT3_T4_T5_mT6_P12ihipStream_tbENKUlT_T0_E_clISt17integral_constantIbLb0EEST_IbLb1EEEEDaSP_SQ_EUlSP_E0_NS1_11comp_targetILNS1_3genE4ELNS1_11target_archE910ELNS1_3gpuE8ELNS1_3repE0EEENS1_30default_config_static_selectorELNS0_4arch9wavefront6targetE1EEEvT1_,comdat
.Lfunc_end2911:
	.size	_ZN7rocprim17ROCPRIM_400000_NS6detail17trampoline_kernelINS0_14default_configENS1_20scan_config_selectorIsEEZZNS1_9scan_implILNS1_25lookback_scan_determinismE0ELb0ELb0ES3_N6thrust23THRUST_200600_302600_NS6detail15normal_iteratorINS9_10device_ptrIsEEEESE_s11max_functorIsEsEEDaPvRmT3_T4_T5_mT6_P12ihipStream_tbENKUlT_T0_E_clISt17integral_constantIbLb0EEST_IbLb1EEEEDaSP_SQ_EUlSP_E0_NS1_11comp_targetILNS1_3genE4ELNS1_11target_archE910ELNS1_3gpuE8ELNS1_3repE0EEENS1_30default_config_static_selectorELNS0_4arch9wavefront6targetE1EEEvT1_, .Lfunc_end2911-_ZN7rocprim17ROCPRIM_400000_NS6detail17trampoline_kernelINS0_14default_configENS1_20scan_config_selectorIsEEZZNS1_9scan_implILNS1_25lookback_scan_determinismE0ELb0ELb0ES3_N6thrust23THRUST_200600_302600_NS6detail15normal_iteratorINS9_10device_ptrIsEEEESE_s11max_functorIsEsEEDaPvRmT3_T4_T5_mT6_P12ihipStream_tbENKUlT_T0_E_clISt17integral_constantIbLb0EEST_IbLb1EEEEDaSP_SQ_EUlSP_E0_NS1_11comp_targetILNS1_3genE4ELNS1_11target_archE910ELNS1_3gpuE8ELNS1_3repE0EEENS1_30default_config_static_selectorELNS0_4arch9wavefront6targetE1EEEvT1_
                                        ; -- End function
	.section	.AMDGPU.csdata,"",@progbits
; Kernel info:
; codeLenInByte = 3120
; NumSgprs: 60
; NumVgprs: 43
; NumAgprs: 0
; TotalNumVgprs: 43
; ScratchSize: 0
; MemoryBound: 0
; FloatMode: 240
; IeeeMode: 1
; LDSByteSize: 3072 bytes/workgroup (compile time only)
; SGPRBlocks: 7
; VGPRBlocks: 5
; NumSGPRsForWavesPerEU: 60
; NumVGPRsForWavesPerEU: 43
; AccumOffset: 44
; Occupancy: 6
; WaveLimiterHint : 0
; COMPUTE_PGM_RSRC2:SCRATCH_EN: 0
; COMPUTE_PGM_RSRC2:USER_SGPR: 6
; COMPUTE_PGM_RSRC2:TRAP_HANDLER: 0
; COMPUTE_PGM_RSRC2:TGID_X_EN: 1
; COMPUTE_PGM_RSRC2:TGID_Y_EN: 0
; COMPUTE_PGM_RSRC2:TGID_Z_EN: 0
; COMPUTE_PGM_RSRC2:TIDIG_COMP_CNT: 0
; COMPUTE_PGM_RSRC3_GFX90A:ACCUM_OFFSET: 10
; COMPUTE_PGM_RSRC3_GFX90A:TG_SPLIT: 0
	.section	.text._ZN7rocprim17ROCPRIM_400000_NS6detail17trampoline_kernelINS0_14default_configENS1_20scan_config_selectorIsEEZZNS1_9scan_implILNS1_25lookback_scan_determinismE0ELb0ELb0ES3_N6thrust23THRUST_200600_302600_NS6detail15normal_iteratorINS9_10device_ptrIsEEEESE_s11max_functorIsEsEEDaPvRmT3_T4_T5_mT6_P12ihipStream_tbENKUlT_T0_E_clISt17integral_constantIbLb0EEST_IbLb1EEEEDaSP_SQ_EUlSP_E0_NS1_11comp_targetILNS1_3genE3ELNS1_11target_archE908ELNS1_3gpuE7ELNS1_3repE0EEENS1_30default_config_static_selectorELNS0_4arch9wavefront6targetE1EEEvT1_,"axG",@progbits,_ZN7rocprim17ROCPRIM_400000_NS6detail17trampoline_kernelINS0_14default_configENS1_20scan_config_selectorIsEEZZNS1_9scan_implILNS1_25lookback_scan_determinismE0ELb0ELb0ES3_N6thrust23THRUST_200600_302600_NS6detail15normal_iteratorINS9_10device_ptrIsEEEESE_s11max_functorIsEsEEDaPvRmT3_T4_T5_mT6_P12ihipStream_tbENKUlT_T0_E_clISt17integral_constantIbLb0EEST_IbLb1EEEEDaSP_SQ_EUlSP_E0_NS1_11comp_targetILNS1_3genE3ELNS1_11target_archE908ELNS1_3gpuE7ELNS1_3repE0EEENS1_30default_config_static_selectorELNS0_4arch9wavefront6targetE1EEEvT1_,comdat
	.protected	_ZN7rocprim17ROCPRIM_400000_NS6detail17trampoline_kernelINS0_14default_configENS1_20scan_config_selectorIsEEZZNS1_9scan_implILNS1_25lookback_scan_determinismE0ELb0ELb0ES3_N6thrust23THRUST_200600_302600_NS6detail15normal_iteratorINS9_10device_ptrIsEEEESE_s11max_functorIsEsEEDaPvRmT3_T4_T5_mT6_P12ihipStream_tbENKUlT_T0_E_clISt17integral_constantIbLb0EEST_IbLb1EEEEDaSP_SQ_EUlSP_E0_NS1_11comp_targetILNS1_3genE3ELNS1_11target_archE908ELNS1_3gpuE7ELNS1_3repE0EEENS1_30default_config_static_selectorELNS0_4arch9wavefront6targetE1EEEvT1_ ; -- Begin function _ZN7rocprim17ROCPRIM_400000_NS6detail17trampoline_kernelINS0_14default_configENS1_20scan_config_selectorIsEEZZNS1_9scan_implILNS1_25lookback_scan_determinismE0ELb0ELb0ES3_N6thrust23THRUST_200600_302600_NS6detail15normal_iteratorINS9_10device_ptrIsEEEESE_s11max_functorIsEsEEDaPvRmT3_T4_T5_mT6_P12ihipStream_tbENKUlT_T0_E_clISt17integral_constantIbLb0EEST_IbLb1EEEEDaSP_SQ_EUlSP_E0_NS1_11comp_targetILNS1_3genE3ELNS1_11target_archE908ELNS1_3gpuE7ELNS1_3repE0EEENS1_30default_config_static_selectorELNS0_4arch9wavefront6targetE1EEEvT1_
	.globl	_ZN7rocprim17ROCPRIM_400000_NS6detail17trampoline_kernelINS0_14default_configENS1_20scan_config_selectorIsEEZZNS1_9scan_implILNS1_25lookback_scan_determinismE0ELb0ELb0ES3_N6thrust23THRUST_200600_302600_NS6detail15normal_iteratorINS9_10device_ptrIsEEEESE_s11max_functorIsEsEEDaPvRmT3_T4_T5_mT6_P12ihipStream_tbENKUlT_T0_E_clISt17integral_constantIbLb0EEST_IbLb1EEEEDaSP_SQ_EUlSP_E0_NS1_11comp_targetILNS1_3genE3ELNS1_11target_archE908ELNS1_3gpuE7ELNS1_3repE0EEENS1_30default_config_static_selectorELNS0_4arch9wavefront6targetE1EEEvT1_
	.p2align	8
	.type	_ZN7rocprim17ROCPRIM_400000_NS6detail17trampoline_kernelINS0_14default_configENS1_20scan_config_selectorIsEEZZNS1_9scan_implILNS1_25lookback_scan_determinismE0ELb0ELb0ES3_N6thrust23THRUST_200600_302600_NS6detail15normal_iteratorINS9_10device_ptrIsEEEESE_s11max_functorIsEsEEDaPvRmT3_T4_T5_mT6_P12ihipStream_tbENKUlT_T0_E_clISt17integral_constantIbLb0EEST_IbLb1EEEEDaSP_SQ_EUlSP_E0_NS1_11comp_targetILNS1_3genE3ELNS1_11target_archE908ELNS1_3gpuE7ELNS1_3repE0EEENS1_30default_config_static_selectorELNS0_4arch9wavefront6targetE1EEEvT1_,@function
_ZN7rocprim17ROCPRIM_400000_NS6detail17trampoline_kernelINS0_14default_configENS1_20scan_config_selectorIsEEZZNS1_9scan_implILNS1_25lookback_scan_determinismE0ELb0ELb0ES3_N6thrust23THRUST_200600_302600_NS6detail15normal_iteratorINS9_10device_ptrIsEEEESE_s11max_functorIsEsEEDaPvRmT3_T4_T5_mT6_P12ihipStream_tbENKUlT_T0_E_clISt17integral_constantIbLb0EEST_IbLb1EEEEDaSP_SQ_EUlSP_E0_NS1_11comp_targetILNS1_3genE3ELNS1_11target_archE908ELNS1_3gpuE7ELNS1_3repE0EEENS1_30default_config_static_selectorELNS0_4arch9wavefront6targetE1EEEvT1_: ; @_ZN7rocprim17ROCPRIM_400000_NS6detail17trampoline_kernelINS0_14default_configENS1_20scan_config_selectorIsEEZZNS1_9scan_implILNS1_25lookback_scan_determinismE0ELb0ELb0ES3_N6thrust23THRUST_200600_302600_NS6detail15normal_iteratorINS9_10device_ptrIsEEEESE_s11max_functorIsEsEEDaPvRmT3_T4_T5_mT6_P12ihipStream_tbENKUlT_T0_E_clISt17integral_constantIbLb0EEST_IbLb1EEEEDaSP_SQ_EUlSP_E0_NS1_11comp_targetILNS1_3genE3ELNS1_11target_archE908ELNS1_3gpuE7ELNS1_3repE0EEENS1_30default_config_static_selectorELNS0_4arch9wavefront6targetE1EEEvT1_
; %bb.0:
	.section	.rodata,"a",@progbits
	.p2align	6, 0x0
	.amdhsa_kernel _ZN7rocprim17ROCPRIM_400000_NS6detail17trampoline_kernelINS0_14default_configENS1_20scan_config_selectorIsEEZZNS1_9scan_implILNS1_25lookback_scan_determinismE0ELb0ELb0ES3_N6thrust23THRUST_200600_302600_NS6detail15normal_iteratorINS9_10device_ptrIsEEEESE_s11max_functorIsEsEEDaPvRmT3_T4_T5_mT6_P12ihipStream_tbENKUlT_T0_E_clISt17integral_constantIbLb0EEST_IbLb1EEEEDaSP_SQ_EUlSP_E0_NS1_11comp_targetILNS1_3genE3ELNS1_11target_archE908ELNS1_3gpuE7ELNS1_3repE0EEENS1_30default_config_static_selectorELNS0_4arch9wavefront6targetE1EEEvT1_
		.amdhsa_group_segment_fixed_size 0
		.amdhsa_private_segment_fixed_size 0
		.amdhsa_kernarg_size 32
		.amdhsa_user_sgpr_count 6
		.amdhsa_user_sgpr_private_segment_buffer 1
		.amdhsa_user_sgpr_dispatch_ptr 0
		.amdhsa_user_sgpr_queue_ptr 0
		.amdhsa_user_sgpr_kernarg_segment_ptr 1
		.amdhsa_user_sgpr_dispatch_id 0
		.amdhsa_user_sgpr_flat_scratch_init 0
		.amdhsa_user_sgpr_kernarg_preload_length 0
		.amdhsa_user_sgpr_kernarg_preload_offset 0
		.amdhsa_user_sgpr_private_segment_size 0
		.amdhsa_uses_dynamic_stack 0
		.amdhsa_system_sgpr_private_segment_wavefront_offset 0
		.amdhsa_system_sgpr_workgroup_id_x 1
		.amdhsa_system_sgpr_workgroup_id_y 0
		.amdhsa_system_sgpr_workgroup_id_z 0
		.amdhsa_system_sgpr_workgroup_info 0
		.amdhsa_system_vgpr_workitem_id 0
		.amdhsa_next_free_vgpr 1
		.amdhsa_next_free_sgpr 0
		.amdhsa_accum_offset 4
		.amdhsa_reserve_vcc 0
		.amdhsa_reserve_flat_scratch 0
		.amdhsa_float_round_mode_32 0
		.amdhsa_float_round_mode_16_64 0
		.amdhsa_float_denorm_mode_32 3
		.amdhsa_float_denorm_mode_16_64 3
		.amdhsa_dx10_clamp 1
		.amdhsa_ieee_mode 1
		.amdhsa_fp16_overflow 0
		.amdhsa_tg_split 0
		.amdhsa_exception_fp_ieee_invalid_op 0
		.amdhsa_exception_fp_denorm_src 0
		.amdhsa_exception_fp_ieee_div_zero 0
		.amdhsa_exception_fp_ieee_overflow 0
		.amdhsa_exception_fp_ieee_underflow 0
		.amdhsa_exception_fp_ieee_inexact 0
		.amdhsa_exception_int_div_zero 0
	.end_amdhsa_kernel
	.section	.text._ZN7rocprim17ROCPRIM_400000_NS6detail17trampoline_kernelINS0_14default_configENS1_20scan_config_selectorIsEEZZNS1_9scan_implILNS1_25lookback_scan_determinismE0ELb0ELb0ES3_N6thrust23THRUST_200600_302600_NS6detail15normal_iteratorINS9_10device_ptrIsEEEESE_s11max_functorIsEsEEDaPvRmT3_T4_T5_mT6_P12ihipStream_tbENKUlT_T0_E_clISt17integral_constantIbLb0EEST_IbLb1EEEEDaSP_SQ_EUlSP_E0_NS1_11comp_targetILNS1_3genE3ELNS1_11target_archE908ELNS1_3gpuE7ELNS1_3repE0EEENS1_30default_config_static_selectorELNS0_4arch9wavefront6targetE1EEEvT1_,"axG",@progbits,_ZN7rocprim17ROCPRIM_400000_NS6detail17trampoline_kernelINS0_14default_configENS1_20scan_config_selectorIsEEZZNS1_9scan_implILNS1_25lookback_scan_determinismE0ELb0ELb0ES3_N6thrust23THRUST_200600_302600_NS6detail15normal_iteratorINS9_10device_ptrIsEEEESE_s11max_functorIsEsEEDaPvRmT3_T4_T5_mT6_P12ihipStream_tbENKUlT_T0_E_clISt17integral_constantIbLb0EEST_IbLb1EEEEDaSP_SQ_EUlSP_E0_NS1_11comp_targetILNS1_3genE3ELNS1_11target_archE908ELNS1_3gpuE7ELNS1_3repE0EEENS1_30default_config_static_selectorELNS0_4arch9wavefront6targetE1EEEvT1_,comdat
.Lfunc_end2912:
	.size	_ZN7rocprim17ROCPRIM_400000_NS6detail17trampoline_kernelINS0_14default_configENS1_20scan_config_selectorIsEEZZNS1_9scan_implILNS1_25lookback_scan_determinismE0ELb0ELb0ES3_N6thrust23THRUST_200600_302600_NS6detail15normal_iteratorINS9_10device_ptrIsEEEESE_s11max_functorIsEsEEDaPvRmT3_T4_T5_mT6_P12ihipStream_tbENKUlT_T0_E_clISt17integral_constantIbLb0EEST_IbLb1EEEEDaSP_SQ_EUlSP_E0_NS1_11comp_targetILNS1_3genE3ELNS1_11target_archE908ELNS1_3gpuE7ELNS1_3repE0EEENS1_30default_config_static_selectorELNS0_4arch9wavefront6targetE1EEEvT1_, .Lfunc_end2912-_ZN7rocprim17ROCPRIM_400000_NS6detail17trampoline_kernelINS0_14default_configENS1_20scan_config_selectorIsEEZZNS1_9scan_implILNS1_25lookback_scan_determinismE0ELb0ELb0ES3_N6thrust23THRUST_200600_302600_NS6detail15normal_iteratorINS9_10device_ptrIsEEEESE_s11max_functorIsEsEEDaPvRmT3_T4_T5_mT6_P12ihipStream_tbENKUlT_T0_E_clISt17integral_constantIbLb0EEST_IbLb1EEEEDaSP_SQ_EUlSP_E0_NS1_11comp_targetILNS1_3genE3ELNS1_11target_archE908ELNS1_3gpuE7ELNS1_3repE0EEENS1_30default_config_static_selectorELNS0_4arch9wavefront6targetE1EEEvT1_
                                        ; -- End function
	.section	.AMDGPU.csdata,"",@progbits
; Kernel info:
; codeLenInByte = 0
; NumSgprs: 4
; NumVgprs: 0
; NumAgprs: 0
; TotalNumVgprs: 0
; ScratchSize: 0
; MemoryBound: 0
; FloatMode: 240
; IeeeMode: 1
; LDSByteSize: 0 bytes/workgroup (compile time only)
; SGPRBlocks: 0
; VGPRBlocks: 0
; NumSGPRsForWavesPerEU: 4
; NumVGPRsForWavesPerEU: 1
; AccumOffset: 4
; Occupancy: 8
; WaveLimiterHint : 0
; COMPUTE_PGM_RSRC2:SCRATCH_EN: 0
; COMPUTE_PGM_RSRC2:USER_SGPR: 6
; COMPUTE_PGM_RSRC2:TRAP_HANDLER: 0
; COMPUTE_PGM_RSRC2:TGID_X_EN: 1
; COMPUTE_PGM_RSRC2:TGID_Y_EN: 0
; COMPUTE_PGM_RSRC2:TGID_Z_EN: 0
; COMPUTE_PGM_RSRC2:TIDIG_COMP_CNT: 0
; COMPUTE_PGM_RSRC3_GFX90A:ACCUM_OFFSET: 0
; COMPUTE_PGM_RSRC3_GFX90A:TG_SPLIT: 0
	.section	.text._ZN7rocprim17ROCPRIM_400000_NS6detail17trampoline_kernelINS0_14default_configENS1_20scan_config_selectorIsEEZZNS1_9scan_implILNS1_25lookback_scan_determinismE0ELb0ELb0ES3_N6thrust23THRUST_200600_302600_NS6detail15normal_iteratorINS9_10device_ptrIsEEEESE_s11max_functorIsEsEEDaPvRmT3_T4_T5_mT6_P12ihipStream_tbENKUlT_T0_E_clISt17integral_constantIbLb0EEST_IbLb1EEEEDaSP_SQ_EUlSP_E0_NS1_11comp_targetILNS1_3genE2ELNS1_11target_archE906ELNS1_3gpuE6ELNS1_3repE0EEENS1_30default_config_static_selectorELNS0_4arch9wavefront6targetE1EEEvT1_,"axG",@progbits,_ZN7rocprim17ROCPRIM_400000_NS6detail17trampoline_kernelINS0_14default_configENS1_20scan_config_selectorIsEEZZNS1_9scan_implILNS1_25lookback_scan_determinismE0ELb0ELb0ES3_N6thrust23THRUST_200600_302600_NS6detail15normal_iteratorINS9_10device_ptrIsEEEESE_s11max_functorIsEsEEDaPvRmT3_T4_T5_mT6_P12ihipStream_tbENKUlT_T0_E_clISt17integral_constantIbLb0EEST_IbLb1EEEEDaSP_SQ_EUlSP_E0_NS1_11comp_targetILNS1_3genE2ELNS1_11target_archE906ELNS1_3gpuE6ELNS1_3repE0EEENS1_30default_config_static_selectorELNS0_4arch9wavefront6targetE1EEEvT1_,comdat
	.protected	_ZN7rocprim17ROCPRIM_400000_NS6detail17trampoline_kernelINS0_14default_configENS1_20scan_config_selectorIsEEZZNS1_9scan_implILNS1_25lookback_scan_determinismE0ELb0ELb0ES3_N6thrust23THRUST_200600_302600_NS6detail15normal_iteratorINS9_10device_ptrIsEEEESE_s11max_functorIsEsEEDaPvRmT3_T4_T5_mT6_P12ihipStream_tbENKUlT_T0_E_clISt17integral_constantIbLb0EEST_IbLb1EEEEDaSP_SQ_EUlSP_E0_NS1_11comp_targetILNS1_3genE2ELNS1_11target_archE906ELNS1_3gpuE6ELNS1_3repE0EEENS1_30default_config_static_selectorELNS0_4arch9wavefront6targetE1EEEvT1_ ; -- Begin function _ZN7rocprim17ROCPRIM_400000_NS6detail17trampoline_kernelINS0_14default_configENS1_20scan_config_selectorIsEEZZNS1_9scan_implILNS1_25lookback_scan_determinismE0ELb0ELb0ES3_N6thrust23THRUST_200600_302600_NS6detail15normal_iteratorINS9_10device_ptrIsEEEESE_s11max_functorIsEsEEDaPvRmT3_T4_T5_mT6_P12ihipStream_tbENKUlT_T0_E_clISt17integral_constantIbLb0EEST_IbLb1EEEEDaSP_SQ_EUlSP_E0_NS1_11comp_targetILNS1_3genE2ELNS1_11target_archE906ELNS1_3gpuE6ELNS1_3repE0EEENS1_30default_config_static_selectorELNS0_4arch9wavefront6targetE1EEEvT1_
	.globl	_ZN7rocprim17ROCPRIM_400000_NS6detail17trampoline_kernelINS0_14default_configENS1_20scan_config_selectorIsEEZZNS1_9scan_implILNS1_25lookback_scan_determinismE0ELb0ELb0ES3_N6thrust23THRUST_200600_302600_NS6detail15normal_iteratorINS9_10device_ptrIsEEEESE_s11max_functorIsEsEEDaPvRmT3_T4_T5_mT6_P12ihipStream_tbENKUlT_T0_E_clISt17integral_constantIbLb0EEST_IbLb1EEEEDaSP_SQ_EUlSP_E0_NS1_11comp_targetILNS1_3genE2ELNS1_11target_archE906ELNS1_3gpuE6ELNS1_3repE0EEENS1_30default_config_static_selectorELNS0_4arch9wavefront6targetE1EEEvT1_
	.p2align	8
	.type	_ZN7rocprim17ROCPRIM_400000_NS6detail17trampoline_kernelINS0_14default_configENS1_20scan_config_selectorIsEEZZNS1_9scan_implILNS1_25lookback_scan_determinismE0ELb0ELb0ES3_N6thrust23THRUST_200600_302600_NS6detail15normal_iteratorINS9_10device_ptrIsEEEESE_s11max_functorIsEsEEDaPvRmT3_T4_T5_mT6_P12ihipStream_tbENKUlT_T0_E_clISt17integral_constantIbLb0EEST_IbLb1EEEEDaSP_SQ_EUlSP_E0_NS1_11comp_targetILNS1_3genE2ELNS1_11target_archE906ELNS1_3gpuE6ELNS1_3repE0EEENS1_30default_config_static_selectorELNS0_4arch9wavefront6targetE1EEEvT1_,@function
_ZN7rocprim17ROCPRIM_400000_NS6detail17trampoline_kernelINS0_14default_configENS1_20scan_config_selectorIsEEZZNS1_9scan_implILNS1_25lookback_scan_determinismE0ELb0ELb0ES3_N6thrust23THRUST_200600_302600_NS6detail15normal_iteratorINS9_10device_ptrIsEEEESE_s11max_functorIsEsEEDaPvRmT3_T4_T5_mT6_P12ihipStream_tbENKUlT_T0_E_clISt17integral_constantIbLb0EEST_IbLb1EEEEDaSP_SQ_EUlSP_E0_NS1_11comp_targetILNS1_3genE2ELNS1_11target_archE906ELNS1_3gpuE6ELNS1_3repE0EEENS1_30default_config_static_selectorELNS0_4arch9wavefront6targetE1EEEvT1_: ; @_ZN7rocprim17ROCPRIM_400000_NS6detail17trampoline_kernelINS0_14default_configENS1_20scan_config_selectorIsEEZZNS1_9scan_implILNS1_25lookback_scan_determinismE0ELb0ELb0ES3_N6thrust23THRUST_200600_302600_NS6detail15normal_iteratorINS9_10device_ptrIsEEEESE_s11max_functorIsEsEEDaPvRmT3_T4_T5_mT6_P12ihipStream_tbENKUlT_T0_E_clISt17integral_constantIbLb0EEST_IbLb1EEEEDaSP_SQ_EUlSP_E0_NS1_11comp_targetILNS1_3genE2ELNS1_11target_archE906ELNS1_3gpuE6ELNS1_3repE0EEENS1_30default_config_static_selectorELNS0_4arch9wavefront6targetE1EEEvT1_
; %bb.0:
	.section	.rodata,"a",@progbits
	.p2align	6, 0x0
	.amdhsa_kernel _ZN7rocprim17ROCPRIM_400000_NS6detail17trampoline_kernelINS0_14default_configENS1_20scan_config_selectorIsEEZZNS1_9scan_implILNS1_25lookback_scan_determinismE0ELb0ELb0ES3_N6thrust23THRUST_200600_302600_NS6detail15normal_iteratorINS9_10device_ptrIsEEEESE_s11max_functorIsEsEEDaPvRmT3_T4_T5_mT6_P12ihipStream_tbENKUlT_T0_E_clISt17integral_constantIbLb0EEST_IbLb1EEEEDaSP_SQ_EUlSP_E0_NS1_11comp_targetILNS1_3genE2ELNS1_11target_archE906ELNS1_3gpuE6ELNS1_3repE0EEENS1_30default_config_static_selectorELNS0_4arch9wavefront6targetE1EEEvT1_
		.amdhsa_group_segment_fixed_size 0
		.amdhsa_private_segment_fixed_size 0
		.amdhsa_kernarg_size 32
		.amdhsa_user_sgpr_count 6
		.amdhsa_user_sgpr_private_segment_buffer 1
		.amdhsa_user_sgpr_dispatch_ptr 0
		.amdhsa_user_sgpr_queue_ptr 0
		.amdhsa_user_sgpr_kernarg_segment_ptr 1
		.amdhsa_user_sgpr_dispatch_id 0
		.amdhsa_user_sgpr_flat_scratch_init 0
		.amdhsa_user_sgpr_kernarg_preload_length 0
		.amdhsa_user_sgpr_kernarg_preload_offset 0
		.amdhsa_user_sgpr_private_segment_size 0
		.amdhsa_uses_dynamic_stack 0
		.amdhsa_system_sgpr_private_segment_wavefront_offset 0
		.amdhsa_system_sgpr_workgroup_id_x 1
		.amdhsa_system_sgpr_workgroup_id_y 0
		.amdhsa_system_sgpr_workgroup_id_z 0
		.amdhsa_system_sgpr_workgroup_info 0
		.amdhsa_system_vgpr_workitem_id 0
		.amdhsa_next_free_vgpr 1
		.amdhsa_next_free_sgpr 0
		.amdhsa_accum_offset 4
		.amdhsa_reserve_vcc 0
		.amdhsa_reserve_flat_scratch 0
		.amdhsa_float_round_mode_32 0
		.amdhsa_float_round_mode_16_64 0
		.amdhsa_float_denorm_mode_32 3
		.amdhsa_float_denorm_mode_16_64 3
		.amdhsa_dx10_clamp 1
		.amdhsa_ieee_mode 1
		.amdhsa_fp16_overflow 0
		.amdhsa_tg_split 0
		.amdhsa_exception_fp_ieee_invalid_op 0
		.amdhsa_exception_fp_denorm_src 0
		.amdhsa_exception_fp_ieee_div_zero 0
		.amdhsa_exception_fp_ieee_overflow 0
		.amdhsa_exception_fp_ieee_underflow 0
		.amdhsa_exception_fp_ieee_inexact 0
		.amdhsa_exception_int_div_zero 0
	.end_amdhsa_kernel
	.section	.text._ZN7rocprim17ROCPRIM_400000_NS6detail17trampoline_kernelINS0_14default_configENS1_20scan_config_selectorIsEEZZNS1_9scan_implILNS1_25lookback_scan_determinismE0ELb0ELb0ES3_N6thrust23THRUST_200600_302600_NS6detail15normal_iteratorINS9_10device_ptrIsEEEESE_s11max_functorIsEsEEDaPvRmT3_T4_T5_mT6_P12ihipStream_tbENKUlT_T0_E_clISt17integral_constantIbLb0EEST_IbLb1EEEEDaSP_SQ_EUlSP_E0_NS1_11comp_targetILNS1_3genE2ELNS1_11target_archE906ELNS1_3gpuE6ELNS1_3repE0EEENS1_30default_config_static_selectorELNS0_4arch9wavefront6targetE1EEEvT1_,"axG",@progbits,_ZN7rocprim17ROCPRIM_400000_NS6detail17trampoline_kernelINS0_14default_configENS1_20scan_config_selectorIsEEZZNS1_9scan_implILNS1_25lookback_scan_determinismE0ELb0ELb0ES3_N6thrust23THRUST_200600_302600_NS6detail15normal_iteratorINS9_10device_ptrIsEEEESE_s11max_functorIsEsEEDaPvRmT3_T4_T5_mT6_P12ihipStream_tbENKUlT_T0_E_clISt17integral_constantIbLb0EEST_IbLb1EEEEDaSP_SQ_EUlSP_E0_NS1_11comp_targetILNS1_3genE2ELNS1_11target_archE906ELNS1_3gpuE6ELNS1_3repE0EEENS1_30default_config_static_selectorELNS0_4arch9wavefront6targetE1EEEvT1_,comdat
.Lfunc_end2913:
	.size	_ZN7rocprim17ROCPRIM_400000_NS6detail17trampoline_kernelINS0_14default_configENS1_20scan_config_selectorIsEEZZNS1_9scan_implILNS1_25lookback_scan_determinismE0ELb0ELb0ES3_N6thrust23THRUST_200600_302600_NS6detail15normal_iteratorINS9_10device_ptrIsEEEESE_s11max_functorIsEsEEDaPvRmT3_T4_T5_mT6_P12ihipStream_tbENKUlT_T0_E_clISt17integral_constantIbLb0EEST_IbLb1EEEEDaSP_SQ_EUlSP_E0_NS1_11comp_targetILNS1_3genE2ELNS1_11target_archE906ELNS1_3gpuE6ELNS1_3repE0EEENS1_30default_config_static_selectorELNS0_4arch9wavefront6targetE1EEEvT1_, .Lfunc_end2913-_ZN7rocprim17ROCPRIM_400000_NS6detail17trampoline_kernelINS0_14default_configENS1_20scan_config_selectorIsEEZZNS1_9scan_implILNS1_25lookback_scan_determinismE0ELb0ELb0ES3_N6thrust23THRUST_200600_302600_NS6detail15normal_iteratorINS9_10device_ptrIsEEEESE_s11max_functorIsEsEEDaPvRmT3_T4_T5_mT6_P12ihipStream_tbENKUlT_T0_E_clISt17integral_constantIbLb0EEST_IbLb1EEEEDaSP_SQ_EUlSP_E0_NS1_11comp_targetILNS1_3genE2ELNS1_11target_archE906ELNS1_3gpuE6ELNS1_3repE0EEENS1_30default_config_static_selectorELNS0_4arch9wavefront6targetE1EEEvT1_
                                        ; -- End function
	.section	.AMDGPU.csdata,"",@progbits
; Kernel info:
; codeLenInByte = 0
; NumSgprs: 4
; NumVgprs: 0
; NumAgprs: 0
; TotalNumVgprs: 0
; ScratchSize: 0
; MemoryBound: 0
; FloatMode: 240
; IeeeMode: 1
; LDSByteSize: 0 bytes/workgroup (compile time only)
; SGPRBlocks: 0
; VGPRBlocks: 0
; NumSGPRsForWavesPerEU: 4
; NumVGPRsForWavesPerEU: 1
; AccumOffset: 4
; Occupancy: 8
; WaveLimiterHint : 0
; COMPUTE_PGM_RSRC2:SCRATCH_EN: 0
; COMPUTE_PGM_RSRC2:USER_SGPR: 6
; COMPUTE_PGM_RSRC2:TRAP_HANDLER: 0
; COMPUTE_PGM_RSRC2:TGID_X_EN: 1
; COMPUTE_PGM_RSRC2:TGID_Y_EN: 0
; COMPUTE_PGM_RSRC2:TGID_Z_EN: 0
; COMPUTE_PGM_RSRC2:TIDIG_COMP_CNT: 0
; COMPUTE_PGM_RSRC3_GFX90A:ACCUM_OFFSET: 0
; COMPUTE_PGM_RSRC3_GFX90A:TG_SPLIT: 0
	.section	.text._ZN7rocprim17ROCPRIM_400000_NS6detail17trampoline_kernelINS0_14default_configENS1_20scan_config_selectorIsEEZZNS1_9scan_implILNS1_25lookback_scan_determinismE0ELb0ELb0ES3_N6thrust23THRUST_200600_302600_NS6detail15normal_iteratorINS9_10device_ptrIsEEEESE_s11max_functorIsEsEEDaPvRmT3_T4_T5_mT6_P12ihipStream_tbENKUlT_T0_E_clISt17integral_constantIbLb0EEST_IbLb1EEEEDaSP_SQ_EUlSP_E0_NS1_11comp_targetILNS1_3genE10ELNS1_11target_archE1201ELNS1_3gpuE5ELNS1_3repE0EEENS1_30default_config_static_selectorELNS0_4arch9wavefront6targetE1EEEvT1_,"axG",@progbits,_ZN7rocprim17ROCPRIM_400000_NS6detail17trampoline_kernelINS0_14default_configENS1_20scan_config_selectorIsEEZZNS1_9scan_implILNS1_25lookback_scan_determinismE0ELb0ELb0ES3_N6thrust23THRUST_200600_302600_NS6detail15normal_iteratorINS9_10device_ptrIsEEEESE_s11max_functorIsEsEEDaPvRmT3_T4_T5_mT6_P12ihipStream_tbENKUlT_T0_E_clISt17integral_constantIbLb0EEST_IbLb1EEEEDaSP_SQ_EUlSP_E0_NS1_11comp_targetILNS1_3genE10ELNS1_11target_archE1201ELNS1_3gpuE5ELNS1_3repE0EEENS1_30default_config_static_selectorELNS0_4arch9wavefront6targetE1EEEvT1_,comdat
	.protected	_ZN7rocprim17ROCPRIM_400000_NS6detail17trampoline_kernelINS0_14default_configENS1_20scan_config_selectorIsEEZZNS1_9scan_implILNS1_25lookback_scan_determinismE0ELb0ELb0ES3_N6thrust23THRUST_200600_302600_NS6detail15normal_iteratorINS9_10device_ptrIsEEEESE_s11max_functorIsEsEEDaPvRmT3_T4_T5_mT6_P12ihipStream_tbENKUlT_T0_E_clISt17integral_constantIbLb0EEST_IbLb1EEEEDaSP_SQ_EUlSP_E0_NS1_11comp_targetILNS1_3genE10ELNS1_11target_archE1201ELNS1_3gpuE5ELNS1_3repE0EEENS1_30default_config_static_selectorELNS0_4arch9wavefront6targetE1EEEvT1_ ; -- Begin function _ZN7rocprim17ROCPRIM_400000_NS6detail17trampoline_kernelINS0_14default_configENS1_20scan_config_selectorIsEEZZNS1_9scan_implILNS1_25lookback_scan_determinismE0ELb0ELb0ES3_N6thrust23THRUST_200600_302600_NS6detail15normal_iteratorINS9_10device_ptrIsEEEESE_s11max_functorIsEsEEDaPvRmT3_T4_T5_mT6_P12ihipStream_tbENKUlT_T0_E_clISt17integral_constantIbLb0EEST_IbLb1EEEEDaSP_SQ_EUlSP_E0_NS1_11comp_targetILNS1_3genE10ELNS1_11target_archE1201ELNS1_3gpuE5ELNS1_3repE0EEENS1_30default_config_static_selectorELNS0_4arch9wavefront6targetE1EEEvT1_
	.globl	_ZN7rocprim17ROCPRIM_400000_NS6detail17trampoline_kernelINS0_14default_configENS1_20scan_config_selectorIsEEZZNS1_9scan_implILNS1_25lookback_scan_determinismE0ELb0ELb0ES3_N6thrust23THRUST_200600_302600_NS6detail15normal_iteratorINS9_10device_ptrIsEEEESE_s11max_functorIsEsEEDaPvRmT3_T4_T5_mT6_P12ihipStream_tbENKUlT_T0_E_clISt17integral_constantIbLb0EEST_IbLb1EEEEDaSP_SQ_EUlSP_E0_NS1_11comp_targetILNS1_3genE10ELNS1_11target_archE1201ELNS1_3gpuE5ELNS1_3repE0EEENS1_30default_config_static_selectorELNS0_4arch9wavefront6targetE1EEEvT1_
	.p2align	8
	.type	_ZN7rocprim17ROCPRIM_400000_NS6detail17trampoline_kernelINS0_14default_configENS1_20scan_config_selectorIsEEZZNS1_9scan_implILNS1_25lookback_scan_determinismE0ELb0ELb0ES3_N6thrust23THRUST_200600_302600_NS6detail15normal_iteratorINS9_10device_ptrIsEEEESE_s11max_functorIsEsEEDaPvRmT3_T4_T5_mT6_P12ihipStream_tbENKUlT_T0_E_clISt17integral_constantIbLb0EEST_IbLb1EEEEDaSP_SQ_EUlSP_E0_NS1_11comp_targetILNS1_3genE10ELNS1_11target_archE1201ELNS1_3gpuE5ELNS1_3repE0EEENS1_30default_config_static_selectorELNS0_4arch9wavefront6targetE1EEEvT1_,@function
_ZN7rocprim17ROCPRIM_400000_NS6detail17trampoline_kernelINS0_14default_configENS1_20scan_config_selectorIsEEZZNS1_9scan_implILNS1_25lookback_scan_determinismE0ELb0ELb0ES3_N6thrust23THRUST_200600_302600_NS6detail15normal_iteratorINS9_10device_ptrIsEEEESE_s11max_functorIsEsEEDaPvRmT3_T4_T5_mT6_P12ihipStream_tbENKUlT_T0_E_clISt17integral_constantIbLb0EEST_IbLb1EEEEDaSP_SQ_EUlSP_E0_NS1_11comp_targetILNS1_3genE10ELNS1_11target_archE1201ELNS1_3gpuE5ELNS1_3repE0EEENS1_30default_config_static_selectorELNS0_4arch9wavefront6targetE1EEEvT1_: ; @_ZN7rocprim17ROCPRIM_400000_NS6detail17trampoline_kernelINS0_14default_configENS1_20scan_config_selectorIsEEZZNS1_9scan_implILNS1_25lookback_scan_determinismE0ELb0ELb0ES3_N6thrust23THRUST_200600_302600_NS6detail15normal_iteratorINS9_10device_ptrIsEEEESE_s11max_functorIsEsEEDaPvRmT3_T4_T5_mT6_P12ihipStream_tbENKUlT_T0_E_clISt17integral_constantIbLb0EEST_IbLb1EEEEDaSP_SQ_EUlSP_E0_NS1_11comp_targetILNS1_3genE10ELNS1_11target_archE1201ELNS1_3gpuE5ELNS1_3repE0EEENS1_30default_config_static_selectorELNS0_4arch9wavefront6targetE1EEEvT1_
; %bb.0:
	.section	.rodata,"a",@progbits
	.p2align	6, 0x0
	.amdhsa_kernel _ZN7rocprim17ROCPRIM_400000_NS6detail17trampoline_kernelINS0_14default_configENS1_20scan_config_selectorIsEEZZNS1_9scan_implILNS1_25lookback_scan_determinismE0ELb0ELb0ES3_N6thrust23THRUST_200600_302600_NS6detail15normal_iteratorINS9_10device_ptrIsEEEESE_s11max_functorIsEsEEDaPvRmT3_T4_T5_mT6_P12ihipStream_tbENKUlT_T0_E_clISt17integral_constantIbLb0EEST_IbLb1EEEEDaSP_SQ_EUlSP_E0_NS1_11comp_targetILNS1_3genE10ELNS1_11target_archE1201ELNS1_3gpuE5ELNS1_3repE0EEENS1_30default_config_static_selectorELNS0_4arch9wavefront6targetE1EEEvT1_
		.amdhsa_group_segment_fixed_size 0
		.amdhsa_private_segment_fixed_size 0
		.amdhsa_kernarg_size 32
		.amdhsa_user_sgpr_count 6
		.amdhsa_user_sgpr_private_segment_buffer 1
		.amdhsa_user_sgpr_dispatch_ptr 0
		.amdhsa_user_sgpr_queue_ptr 0
		.amdhsa_user_sgpr_kernarg_segment_ptr 1
		.amdhsa_user_sgpr_dispatch_id 0
		.amdhsa_user_sgpr_flat_scratch_init 0
		.amdhsa_user_sgpr_kernarg_preload_length 0
		.amdhsa_user_sgpr_kernarg_preload_offset 0
		.amdhsa_user_sgpr_private_segment_size 0
		.amdhsa_uses_dynamic_stack 0
		.amdhsa_system_sgpr_private_segment_wavefront_offset 0
		.amdhsa_system_sgpr_workgroup_id_x 1
		.amdhsa_system_sgpr_workgroup_id_y 0
		.amdhsa_system_sgpr_workgroup_id_z 0
		.amdhsa_system_sgpr_workgroup_info 0
		.amdhsa_system_vgpr_workitem_id 0
		.amdhsa_next_free_vgpr 1
		.amdhsa_next_free_sgpr 0
		.amdhsa_accum_offset 4
		.amdhsa_reserve_vcc 0
		.amdhsa_reserve_flat_scratch 0
		.amdhsa_float_round_mode_32 0
		.amdhsa_float_round_mode_16_64 0
		.amdhsa_float_denorm_mode_32 3
		.amdhsa_float_denorm_mode_16_64 3
		.amdhsa_dx10_clamp 1
		.amdhsa_ieee_mode 1
		.amdhsa_fp16_overflow 0
		.amdhsa_tg_split 0
		.amdhsa_exception_fp_ieee_invalid_op 0
		.amdhsa_exception_fp_denorm_src 0
		.amdhsa_exception_fp_ieee_div_zero 0
		.amdhsa_exception_fp_ieee_overflow 0
		.amdhsa_exception_fp_ieee_underflow 0
		.amdhsa_exception_fp_ieee_inexact 0
		.amdhsa_exception_int_div_zero 0
	.end_amdhsa_kernel
	.section	.text._ZN7rocprim17ROCPRIM_400000_NS6detail17trampoline_kernelINS0_14default_configENS1_20scan_config_selectorIsEEZZNS1_9scan_implILNS1_25lookback_scan_determinismE0ELb0ELb0ES3_N6thrust23THRUST_200600_302600_NS6detail15normal_iteratorINS9_10device_ptrIsEEEESE_s11max_functorIsEsEEDaPvRmT3_T4_T5_mT6_P12ihipStream_tbENKUlT_T0_E_clISt17integral_constantIbLb0EEST_IbLb1EEEEDaSP_SQ_EUlSP_E0_NS1_11comp_targetILNS1_3genE10ELNS1_11target_archE1201ELNS1_3gpuE5ELNS1_3repE0EEENS1_30default_config_static_selectorELNS0_4arch9wavefront6targetE1EEEvT1_,"axG",@progbits,_ZN7rocprim17ROCPRIM_400000_NS6detail17trampoline_kernelINS0_14default_configENS1_20scan_config_selectorIsEEZZNS1_9scan_implILNS1_25lookback_scan_determinismE0ELb0ELb0ES3_N6thrust23THRUST_200600_302600_NS6detail15normal_iteratorINS9_10device_ptrIsEEEESE_s11max_functorIsEsEEDaPvRmT3_T4_T5_mT6_P12ihipStream_tbENKUlT_T0_E_clISt17integral_constantIbLb0EEST_IbLb1EEEEDaSP_SQ_EUlSP_E0_NS1_11comp_targetILNS1_3genE10ELNS1_11target_archE1201ELNS1_3gpuE5ELNS1_3repE0EEENS1_30default_config_static_selectorELNS0_4arch9wavefront6targetE1EEEvT1_,comdat
.Lfunc_end2914:
	.size	_ZN7rocprim17ROCPRIM_400000_NS6detail17trampoline_kernelINS0_14default_configENS1_20scan_config_selectorIsEEZZNS1_9scan_implILNS1_25lookback_scan_determinismE0ELb0ELb0ES3_N6thrust23THRUST_200600_302600_NS6detail15normal_iteratorINS9_10device_ptrIsEEEESE_s11max_functorIsEsEEDaPvRmT3_T4_T5_mT6_P12ihipStream_tbENKUlT_T0_E_clISt17integral_constantIbLb0EEST_IbLb1EEEEDaSP_SQ_EUlSP_E0_NS1_11comp_targetILNS1_3genE10ELNS1_11target_archE1201ELNS1_3gpuE5ELNS1_3repE0EEENS1_30default_config_static_selectorELNS0_4arch9wavefront6targetE1EEEvT1_, .Lfunc_end2914-_ZN7rocprim17ROCPRIM_400000_NS6detail17trampoline_kernelINS0_14default_configENS1_20scan_config_selectorIsEEZZNS1_9scan_implILNS1_25lookback_scan_determinismE0ELb0ELb0ES3_N6thrust23THRUST_200600_302600_NS6detail15normal_iteratorINS9_10device_ptrIsEEEESE_s11max_functorIsEsEEDaPvRmT3_T4_T5_mT6_P12ihipStream_tbENKUlT_T0_E_clISt17integral_constantIbLb0EEST_IbLb1EEEEDaSP_SQ_EUlSP_E0_NS1_11comp_targetILNS1_3genE10ELNS1_11target_archE1201ELNS1_3gpuE5ELNS1_3repE0EEENS1_30default_config_static_selectorELNS0_4arch9wavefront6targetE1EEEvT1_
                                        ; -- End function
	.section	.AMDGPU.csdata,"",@progbits
; Kernel info:
; codeLenInByte = 0
; NumSgprs: 4
; NumVgprs: 0
; NumAgprs: 0
; TotalNumVgprs: 0
; ScratchSize: 0
; MemoryBound: 0
; FloatMode: 240
; IeeeMode: 1
; LDSByteSize: 0 bytes/workgroup (compile time only)
; SGPRBlocks: 0
; VGPRBlocks: 0
; NumSGPRsForWavesPerEU: 4
; NumVGPRsForWavesPerEU: 1
; AccumOffset: 4
; Occupancy: 8
; WaveLimiterHint : 0
; COMPUTE_PGM_RSRC2:SCRATCH_EN: 0
; COMPUTE_PGM_RSRC2:USER_SGPR: 6
; COMPUTE_PGM_RSRC2:TRAP_HANDLER: 0
; COMPUTE_PGM_RSRC2:TGID_X_EN: 1
; COMPUTE_PGM_RSRC2:TGID_Y_EN: 0
; COMPUTE_PGM_RSRC2:TGID_Z_EN: 0
; COMPUTE_PGM_RSRC2:TIDIG_COMP_CNT: 0
; COMPUTE_PGM_RSRC3_GFX90A:ACCUM_OFFSET: 0
; COMPUTE_PGM_RSRC3_GFX90A:TG_SPLIT: 0
	.section	.text._ZN7rocprim17ROCPRIM_400000_NS6detail17trampoline_kernelINS0_14default_configENS1_20scan_config_selectorIsEEZZNS1_9scan_implILNS1_25lookback_scan_determinismE0ELb0ELb0ES3_N6thrust23THRUST_200600_302600_NS6detail15normal_iteratorINS9_10device_ptrIsEEEESE_s11max_functorIsEsEEDaPvRmT3_T4_T5_mT6_P12ihipStream_tbENKUlT_T0_E_clISt17integral_constantIbLb0EEST_IbLb1EEEEDaSP_SQ_EUlSP_E0_NS1_11comp_targetILNS1_3genE10ELNS1_11target_archE1200ELNS1_3gpuE4ELNS1_3repE0EEENS1_30default_config_static_selectorELNS0_4arch9wavefront6targetE1EEEvT1_,"axG",@progbits,_ZN7rocprim17ROCPRIM_400000_NS6detail17trampoline_kernelINS0_14default_configENS1_20scan_config_selectorIsEEZZNS1_9scan_implILNS1_25lookback_scan_determinismE0ELb0ELb0ES3_N6thrust23THRUST_200600_302600_NS6detail15normal_iteratorINS9_10device_ptrIsEEEESE_s11max_functorIsEsEEDaPvRmT3_T4_T5_mT6_P12ihipStream_tbENKUlT_T0_E_clISt17integral_constantIbLb0EEST_IbLb1EEEEDaSP_SQ_EUlSP_E0_NS1_11comp_targetILNS1_3genE10ELNS1_11target_archE1200ELNS1_3gpuE4ELNS1_3repE0EEENS1_30default_config_static_selectorELNS0_4arch9wavefront6targetE1EEEvT1_,comdat
	.protected	_ZN7rocprim17ROCPRIM_400000_NS6detail17trampoline_kernelINS0_14default_configENS1_20scan_config_selectorIsEEZZNS1_9scan_implILNS1_25lookback_scan_determinismE0ELb0ELb0ES3_N6thrust23THRUST_200600_302600_NS6detail15normal_iteratorINS9_10device_ptrIsEEEESE_s11max_functorIsEsEEDaPvRmT3_T4_T5_mT6_P12ihipStream_tbENKUlT_T0_E_clISt17integral_constantIbLb0EEST_IbLb1EEEEDaSP_SQ_EUlSP_E0_NS1_11comp_targetILNS1_3genE10ELNS1_11target_archE1200ELNS1_3gpuE4ELNS1_3repE0EEENS1_30default_config_static_selectorELNS0_4arch9wavefront6targetE1EEEvT1_ ; -- Begin function _ZN7rocprim17ROCPRIM_400000_NS6detail17trampoline_kernelINS0_14default_configENS1_20scan_config_selectorIsEEZZNS1_9scan_implILNS1_25lookback_scan_determinismE0ELb0ELb0ES3_N6thrust23THRUST_200600_302600_NS6detail15normal_iteratorINS9_10device_ptrIsEEEESE_s11max_functorIsEsEEDaPvRmT3_T4_T5_mT6_P12ihipStream_tbENKUlT_T0_E_clISt17integral_constantIbLb0EEST_IbLb1EEEEDaSP_SQ_EUlSP_E0_NS1_11comp_targetILNS1_3genE10ELNS1_11target_archE1200ELNS1_3gpuE4ELNS1_3repE0EEENS1_30default_config_static_selectorELNS0_4arch9wavefront6targetE1EEEvT1_
	.globl	_ZN7rocprim17ROCPRIM_400000_NS6detail17trampoline_kernelINS0_14default_configENS1_20scan_config_selectorIsEEZZNS1_9scan_implILNS1_25lookback_scan_determinismE0ELb0ELb0ES3_N6thrust23THRUST_200600_302600_NS6detail15normal_iteratorINS9_10device_ptrIsEEEESE_s11max_functorIsEsEEDaPvRmT3_T4_T5_mT6_P12ihipStream_tbENKUlT_T0_E_clISt17integral_constantIbLb0EEST_IbLb1EEEEDaSP_SQ_EUlSP_E0_NS1_11comp_targetILNS1_3genE10ELNS1_11target_archE1200ELNS1_3gpuE4ELNS1_3repE0EEENS1_30default_config_static_selectorELNS0_4arch9wavefront6targetE1EEEvT1_
	.p2align	8
	.type	_ZN7rocprim17ROCPRIM_400000_NS6detail17trampoline_kernelINS0_14default_configENS1_20scan_config_selectorIsEEZZNS1_9scan_implILNS1_25lookback_scan_determinismE0ELb0ELb0ES3_N6thrust23THRUST_200600_302600_NS6detail15normal_iteratorINS9_10device_ptrIsEEEESE_s11max_functorIsEsEEDaPvRmT3_T4_T5_mT6_P12ihipStream_tbENKUlT_T0_E_clISt17integral_constantIbLb0EEST_IbLb1EEEEDaSP_SQ_EUlSP_E0_NS1_11comp_targetILNS1_3genE10ELNS1_11target_archE1200ELNS1_3gpuE4ELNS1_3repE0EEENS1_30default_config_static_selectorELNS0_4arch9wavefront6targetE1EEEvT1_,@function
_ZN7rocprim17ROCPRIM_400000_NS6detail17trampoline_kernelINS0_14default_configENS1_20scan_config_selectorIsEEZZNS1_9scan_implILNS1_25lookback_scan_determinismE0ELb0ELb0ES3_N6thrust23THRUST_200600_302600_NS6detail15normal_iteratorINS9_10device_ptrIsEEEESE_s11max_functorIsEsEEDaPvRmT3_T4_T5_mT6_P12ihipStream_tbENKUlT_T0_E_clISt17integral_constantIbLb0EEST_IbLb1EEEEDaSP_SQ_EUlSP_E0_NS1_11comp_targetILNS1_3genE10ELNS1_11target_archE1200ELNS1_3gpuE4ELNS1_3repE0EEENS1_30default_config_static_selectorELNS0_4arch9wavefront6targetE1EEEvT1_: ; @_ZN7rocprim17ROCPRIM_400000_NS6detail17trampoline_kernelINS0_14default_configENS1_20scan_config_selectorIsEEZZNS1_9scan_implILNS1_25lookback_scan_determinismE0ELb0ELb0ES3_N6thrust23THRUST_200600_302600_NS6detail15normal_iteratorINS9_10device_ptrIsEEEESE_s11max_functorIsEsEEDaPvRmT3_T4_T5_mT6_P12ihipStream_tbENKUlT_T0_E_clISt17integral_constantIbLb0EEST_IbLb1EEEEDaSP_SQ_EUlSP_E0_NS1_11comp_targetILNS1_3genE10ELNS1_11target_archE1200ELNS1_3gpuE4ELNS1_3repE0EEENS1_30default_config_static_selectorELNS0_4arch9wavefront6targetE1EEEvT1_
; %bb.0:
	.section	.rodata,"a",@progbits
	.p2align	6, 0x0
	.amdhsa_kernel _ZN7rocprim17ROCPRIM_400000_NS6detail17trampoline_kernelINS0_14default_configENS1_20scan_config_selectorIsEEZZNS1_9scan_implILNS1_25lookback_scan_determinismE0ELb0ELb0ES3_N6thrust23THRUST_200600_302600_NS6detail15normal_iteratorINS9_10device_ptrIsEEEESE_s11max_functorIsEsEEDaPvRmT3_T4_T5_mT6_P12ihipStream_tbENKUlT_T0_E_clISt17integral_constantIbLb0EEST_IbLb1EEEEDaSP_SQ_EUlSP_E0_NS1_11comp_targetILNS1_3genE10ELNS1_11target_archE1200ELNS1_3gpuE4ELNS1_3repE0EEENS1_30default_config_static_selectorELNS0_4arch9wavefront6targetE1EEEvT1_
		.amdhsa_group_segment_fixed_size 0
		.amdhsa_private_segment_fixed_size 0
		.amdhsa_kernarg_size 32
		.amdhsa_user_sgpr_count 6
		.amdhsa_user_sgpr_private_segment_buffer 1
		.amdhsa_user_sgpr_dispatch_ptr 0
		.amdhsa_user_sgpr_queue_ptr 0
		.amdhsa_user_sgpr_kernarg_segment_ptr 1
		.amdhsa_user_sgpr_dispatch_id 0
		.amdhsa_user_sgpr_flat_scratch_init 0
		.amdhsa_user_sgpr_kernarg_preload_length 0
		.amdhsa_user_sgpr_kernarg_preload_offset 0
		.amdhsa_user_sgpr_private_segment_size 0
		.amdhsa_uses_dynamic_stack 0
		.amdhsa_system_sgpr_private_segment_wavefront_offset 0
		.amdhsa_system_sgpr_workgroup_id_x 1
		.amdhsa_system_sgpr_workgroup_id_y 0
		.amdhsa_system_sgpr_workgroup_id_z 0
		.amdhsa_system_sgpr_workgroup_info 0
		.amdhsa_system_vgpr_workitem_id 0
		.amdhsa_next_free_vgpr 1
		.amdhsa_next_free_sgpr 0
		.amdhsa_accum_offset 4
		.amdhsa_reserve_vcc 0
		.amdhsa_reserve_flat_scratch 0
		.amdhsa_float_round_mode_32 0
		.amdhsa_float_round_mode_16_64 0
		.amdhsa_float_denorm_mode_32 3
		.amdhsa_float_denorm_mode_16_64 3
		.amdhsa_dx10_clamp 1
		.amdhsa_ieee_mode 1
		.amdhsa_fp16_overflow 0
		.amdhsa_tg_split 0
		.amdhsa_exception_fp_ieee_invalid_op 0
		.amdhsa_exception_fp_denorm_src 0
		.amdhsa_exception_fp_ieee_div_zero 0
		.amdhsa_exception_fp_ieee_overflow 0
		.amdhsa_exception_fp_ieee_underflow 0
		.amdhsa_exception_fp_ieee_inexact 0
		.amdhsa_exception_int_div_zero 0
	.end_amdhsa_kernel
	.section	.text._ZN7rocprim17ROCPRIM_400000_NS6detail17trampoline_kernelINS0_14default_configENS1_20scan_config_selectorIsEEZZNS1_9scan_implILNS1_25lookback_scan_determinismE0ELb0ELb0ES3_N6thrust23THRUST_200600_302600_NS6detail15normal_iteratorINS9_10device_ptrIsEEEESE_s11max_functorIsEsEEDaPvRmT3_T4_T5_mT6_P12ihipStream_tbENKUlT_T0_E_clISt17integral_constantIbLb0EEST_IbLb1EEEEDaSP_SQ_EUlSP_E0_NS1_11comp_targetILNS1_3genE10ELNS1_11target_archE1200ELNS1_3gpuE4ELNS1_3repE0EEENS1_30default_config_static_selectorELNS0_4arch9wavefront6targetE1EEEvT1_,"axG",@progbits,_ZN7rocprim17ROCPRIM_400000_NS6detail17trampoline_kernelINS0_14default_configENS1_20scan_config_selectorIsEEZZNS1_9scan_implILNS1_25lookback_scan_determinismE0ELb0ELb0ES3_N6thrust23THRUST_200600_302600_NS6detail15normal_iteratorINS9_10device_ptrIsEEEESE_s11max_functorIsEsEEDaPvRmT3_T4_T5_mT6_P12ihipStream_tbENKUlT_T0_E_clISt17integral_constantIbLb0EEST_IbLb1EEEEDaSP_SQ_EUlSP_E0_NS1_11comp_targetILNS1_3genE10ELNS1_11target_archE1200ELNS1_3gpuE4ELNS1_3repE0EEENS1_30default_config_static_selectorELNS0_4arch9wavefront6targetE1EEEvT1_,comdat
.Lfunc_end2915:
	.size	_ZN7rocprim17ROCPRIM_400000_NS6detail17trampoline_kernelINS0_14default_configENS1_20scan_config_selectorIsEEZZNS1_9scan_implILNS1_25lookback_scan_determinismE0ELb0ELb0ES3_N6thrust23THRUST_200600_302600_NS6detail15normal_iteratorINS9_10device_ptrIsEEEESE_s11max_functorIsEsEEDaPvRmT3_T4_T5_mT6_P12ihipStream_tbENKUlT_T0_E_clISt17integral_constantIbLb0EEST_IbLb1EEEEDaSP_SQ_EUlSP_E0_NS1_11comp_targetILNS1_3genE10ELNS1_11target_archE1200ELNS1_3gpuE4ELNS1_3repE0EEENS1_30default_config_static_selectorELNS0_4arch9wavefront6targetE1EEEvT1_, .Lfunc_end2915-_ZN7rocprim17ROCPRIM_400000_NS6detail17trampoline_kernelINS0_14default_configENS1_20scan_config_selectorIsEEZZNS1_9scan_implILNS1_25lookback_scan_determinismE0ELb0ELb0ES3_N6thrust23THRUST_200600_302600_NS6detail15normal_iteratorINS9_10device_ptrIsEEEESE_s11max_functorIsEsEEDaPvRmT3_T4_T5_mT6_P12ihipStream_tbENKUlT_T0_E_clISt17integral_constantIbLb0EEST_IbLb1EEEEDaSP_SQ_EUlSP_E0_NS1_11comp_targetILNS1_3genE10ELNS1_11target_archE1200ELNS1_3gpuE4ELNS1_3repE0EEENS1_30default_config_static_selectorELNS0_4arch9wavefront6targetE1EEEvT1_
                                        ; -- End function
	.section	.AMDGPU.csdata,"",@progbits
; Kernel info:
; codeLenInByte = 0
; NumSgprs: 4
; NumVgprs: 0
; NumAgprs: 0
; TotalNumVgprs: 0
; ScratchSize: 0
; MemoryBound: 0
; FloatMode: 240
; IeeeMode: 1
; LDSByteSize: 0 bytes/workgroup (compile time only)
; SGPRBlocks: 0
; VGPRBlocks: 0
; NumSGPRsForWavesPerEU: 4
; NumVGPRsForWavesPerEU: 1
; AccumOffset: 4
; Occupancy: 8
; WaveLimiterHint : 0
; COMPUTE_PGM_RSRC2:SCRATCH_EN: 0
; COMPUTE_PGM_RSRC2:USER_SGPR: 6
; COMPUTE_PGM_RSRC2:TRAP_HANDLER: 0
; COMPUTE_PGM_RSRC2:TGID_X_EN: 1
; COMPUTE_PGM_RSRC2:TGID_Y_EN: 0
; COMPUTE_PGM_RSRC2:TGID_Z_EN: 0
; COMPUTE_PGM_RSRC2:TIDIG_COMP_CNT: 0
; COMPUTE_PGM_RSRC3_GFX90A:ACCUM_OFFSET: 0
; COMPUTE_PGM_RSRC3_GFX90A:TG_SPLIT: 0
	.section	.text._ZN7rocprim17ROCPRIM_400000_NS6detail17trampoline_kernelINS0_14default_configENS1_20scan_config_selectorIsEEZZNS1_9scan_implILNS1_25lookback_scan_determinismE0ELb0ELb0ES3_N6thrust23THRUST_200600_302600_NS6detail15normal_iteratorINS9_10device_ptrIsEEEESE_s11max_functorIsEsEEDaPvRmT3_T4_T5_mT6_P12ihipStream_tbENKUlT_T0_E_clISt17integral_constantIbLb0EEST_IbLb1EEEEDaSP_SQ_EUlSP_E0_NS1_11comp_targetILNS1_3genE9ELNS1_11target_archE1100ELNS1_3gpuE3ELNS1_3repE0EEENS1_30default_config_static_selectorELNS0_4arch9wavefront6targetE1EEEvT1_,"axG",@progbits,_ZN7rocprim17ROCPRIM_400000_NS6detail17trampoline_kernelINS0_14default_configENS1_20scan_config_selectorIsEEZZNS1_9scan_implILNS1_25lookback_scan_determinismE0ELb0ELb0ES3_N6thrust23THRUST_200600_302600_NS6detail15normal_iteratorINS9_10device_ptrIsEEEESE_s11max_functorIsEsEEDaPvRmT3_T4_T5_mT6_P12ihipStream_tbENKUlT_T0_E_clISt17integral_constantIbLb0EEST_IbLb1EEEEDaSP_SQ_EUlSP_E0_NS1_11comp_targetILNS1_3genE9ELNS1_11target_archE1100ELNS1_3gpuE3ELNS1_3repE0EEENS1_30default_config_static_selectorELNS0_4arch9wavefront6targetE1EEEvT1_,comdat
	.protected	_ZN7rocprim17ROCPRIM_400000_NS6detail17trampoline_kernelINS0_14default_configENS1_20scan_config_selectorIsEEZZNS1_9scan_implILNS1_25lookback_scan_determinismE0ELb0ELb0ES3_N6thrust23THRUST_200600_302600_NS6detail15normal_iteratorINS9_10device_ptrIsEEEESE_s11max_functorIsEsEEDaPvRmT3_T4_T5_mT6_P12ihipStream_tbENKUlT_T0_E_clISt17integral_constantIbLb0EEST_IbLb1EEEEDaSP_SQ_EUlSP_E0_NS1_11comp_targetILNS1_3genE9ELNS1_11target_archE1100ELNS1_3gpuE3ELNS1_3repE0EEENS1_30default_config_static_selectorELNS0_4arch9wavefront6targetE1EEEvT1_ ; -- Begin function _ZN7rocprim17ROCPRIM_400000_NS6detail17trampoline_kernelINS0_14default_configENS1_20scan_config_selectorIsEEZZNS1_9scan_implILNS1_25lookback_scan_determinismE0ELb0ELb0ES3_N6thrust23THRUST_200600_302600_NS6detail15normal_iteratorINS9_10device_ptrIsEEEESE_s11max_functorIsEsEEDaPvRmT3_T4_T5_mT6_P12ihipStream_tbENKUlT_T0_E_clISt17integral_constantIbLb0EEST_IbLb1EEEEDaSP_SQ_EUlSP_E0_NS1_11comp_targetILNS1_3genE9ELNS1_11target_archE1100ELNS1_3gpuE3ELNS1_3repE0EEENS1_30default_config_static_selectorELNS0_4arch9wavefront6targetE1EEEvT1_
	.globl	_ZN7rocprim17ROCPRIM_400000_NS6detail17trampoline_kernelINS0_14default_configENS1_20scan_config_selectorIsEEZZNS1_9scan_implILNS1_25lookback_scan_determinismE0ELb0ELb0ES3_N6thrust23THRUST_200600_302600_NS6detail15normal_iteratorINS9_10device_ptrIsEEEESE_s11max_functorIsEsEEDaPvRmT3_T4_T5_mT6_P12ihipStream_tbENKUlT_T0_E_clISt17integral_constantIbLb0EEST_IbLb1EEEEDaSP_SQ_EUlSP_E0_NS1_11comp_targetILNS1_3genE9ELNS1_11target_archE1100ELNS1_3gpuE3ELNS1_3repE0EEENS1_30default_config_static_selectorELNS0_4arch9wavefront6targetE1EEEvT1_
	.p2align	8
	.type	_ZN7rocprim17ROCPRIM_400000_NS6detail17trampoline_kernelINS0_14default_configENS1_20scan_config_selectorIsEEZZNS1_9scan_implILNS1_25lookback_scan_determinismE0ELb0ELb0ES3_N6thrust23THRUST_200600_302600_NS6detail15normal_iteratorINS9_10device_ptrIsEEEESE_s11max_functorIsEsEEDaPvRmT3_T4_T5_mT6_P12ihipStream_tbENKUlT_T0_E_clISt17integral_constantIbLb0EEST_IbLb1EEEEDaSP_SQ_EUlSP_E0_NS1_11comp_targetILNS1_3genE9ELNS1_11target_archE1100ELNS1_3gpuE3ELNS1_3repE0EEENS1_30default_config_static_selectorELNS0_4arch9wavefront6targetE1EEEvT1_,@function
_ZN7rocprim17ROCPRIM_400000_NS6detail17trampoline_kernelINS0_14default_configENS1_20scan_config_selectorIsEEZZNS1_9scan_implILNS1_25lookback_scan_determinismE0ELb0ELb0ES3_N6thrust23THRUST_200600_302600_NS6detail15normal_iteratorINS9_10device_ptrIsEEEESE_s11max_functorIsEsEEDaPvRmT3_T4_T5_mT6_P12ihipStream_tbENKUlT_T0_E_clISt17integral_constantIbLb0EEST_IbLb1EEEEDaSP_SQ_EUlSP_E0_NS1_11comp_targetILNS1_3genE9ELNS1_11target_archE1100ELNS1_3gpuE3ELNS1_3repE0EEENS1_30default_config_static_selectorELNS0_4arch9wavefront6targetE1EEEvT1_: ; @_ZN7rocprim17ROCPRIM_400000_NS6detail17trampoline_kernelINS0_14default_configENS1_20scan_config_selectorIsEEZZNS1_9scan_implILNS1_25lookback_scan_determinismE0ELb0ELb0ES3_N6thrust23THRUST_200600_302600_NS6detail15normal_iteratorINS9_10device_ptrIsEEEESE_s11max_functorIsEsEEDaPvRmT3_T4_T5_mT6_P12ihipStream_tbENKUlT_T0_E_clISt17integral_constantIbLb0EEST_IbLb1EEEEDaSP_SQ_EUlSP_E0_NS1_11comp_targetILNS1_3genE9ELNS1_11target_archE1100ELNS1_3gpuE3ELNS1_3repE0EEENS1_30default_config_static_selectorELNS0_4arch9wavefront6targetE1EEEvT1_
; %bb.0:
	.section	.rodata,"a",@progbits
	.p2align	6, 0x0
	.amdhsa_kernel _ZN7rocprim17ROCPRIM_400000_NS6detail17trampoline_kernelINS0_14default_configENS1_20scan_config_selectorIsEEZZNS1_9scan_implILNS1_25lookback_scan_determinismE0ELb0ELb0ES3_N6thrust23THRUST_200600_302600_NS6detail15normal_iteratorINS9_10device_ptrIsEEEESE_s11max_functorIsEsEEDaPvRmT3_T4_T5_mT6_P12ihipStream_tbENKUlT_T0_E_clISt17integral_constantIbLb0EEST_IbLb1EEEEDaSP_SQ_EUlSP_E0_NS1_11comp_targetILNS1_3genE9ELNS1_11target_archE1100ELNS1_3gpuE3ELNS1_3repE0EEENS1_30default_config_static_selectorELNS0_4arch9wavefront6targetE1EEEvT1_
		.amdhsa_group_segment_fixed_size 0
		.amdhsa_private_segment_fixed_size 0
		.amdhsa_kernarg_size 32
		.amdhsa_user_sgpr_count 6
		.amdhsa_user_sgpr_private_segment_buffer 1
		.amdhsa_user_sgpr_dispatch_ptr 0
		.amdhsa_user_sgpr_queue_ptr 0
		.amdhsa_user_sgpr_kernarg_segment_ptr 1
		.amdhsa_user_sgpr_dispatch_id 0
		.amdhsa_user_sgpr_flat_scratch_init 0
		.amdhsa_user_sgpr_kernarg_preload_length 0
		.amdhsa_user_sgpr_kernarg_preload_offset 0
		.amdhsa_user_sgpr_private_segment_size 0
		.amdhsa_uses_dynamic_stack 0
		.amdhsa_system_sgpr_private_segment_wavefront_offset 0
		.amdhsa_system_sgpr_workgroup_id_x 1
		.amdhsa_system_sgpr_workgroup_id_y 0
		.amdhsa_system_sgpr_workgroup_id_z 0
		.amdhsa_system_sgpr_workgroup_info 0
		.amdhsa_system_vgpr_workitem_id 0
		.amdhsa_next_free_vgpr 1
		.amdhsa_next_free_sgpr 0
		.amdhsa_accum_offset 4
		.amdhsa_reserve_vcc 0
		.amdhsa_reserve_flat_scratch 0
		.amdhsa_float_round_mode_32 0
		.amdhsa_float_round_mode_16_64 0
		.amdhsa_float_denorm_mode_32 3
		.amdhsa_float_denorm_mode_16_64 3
		.amdhsa_dx10_clamp 1
		.amdhsa_ieee_mode 1
		.amdhsa_fp16_overflow 0
		.amdhsa_tg_split 0
		.amdhsa_exception_fp_ieee_invalid_op 0
		.amdhsa_exception_fp_denorm_src 0
		.amdhsa_exception_fp_ieee_div_zero 0
		.amdhsa_exception_fp_ieee_overflow 0
		.amdhsa_exception_fp_ieee_underflow 0
		.amdhsa_exception_fp_ieee_inexact 0
		.amdhsa_exception_int_div_zero 0
	.end_amdhsa_kernel
	.section	.text._ZN7rocprim17ROCPRIM_400000_NS6detail17trampoline_kernelINS0_14default_configENS1_20scan_config_selectorIsEEZZNS1_9scan_implILNS1_25lookback_scan_determinismE0ELb0ELb0ES3_N6thrust23THRUST_200600_302600_NS6detail15normal_iteratorINS9_10device_ptrIsEEEESE_s11max_functorIsEsEEDaPvRmT3_T4_T5_mT6_P12ihipStream_tbENKUlT_T0_E_clISt17integral_constantIbLb0EEST_IbLb1EEEEDaSP_SQ_EUlSP_E0_NS1_11comp_targetILNS1_3genE9ELNS1_11target_archE1100ELNS1_3gpuE3ELNS1_3repE0EEENS1_30default_config_static_selectorELNS0_4arch9wavefront6targetE1EEEvT1_,"axG",@progbits,_ZN7rocprim17ROCPRIM_400000_NS6detail17trampoline_kernelINS0_14default_configENS1_20scan_config_selectorIsEEZZNS1_9scan_implILNS1_25lookback_scan_determinismE0ELb0ELb0ES3_N6thrust23THRUST_200600_302600_NS6detail15normal_iteratorINS9_10device_ptrIsEEEESE_s11max_functorIsEsEEDaPvRmT3_T4_T5_mT6_P12ihipStream_tbENKUlT_T0_E_clISt17integral_constantIbLb0EEST_IbLb1EEEEDaSP_SQ_EUlSP_E0_NS1_11comp_targetILNS1_3genE9ELNS1_11target_archE1100ELNS1_3gpuE3ELNS1_3repE0EEENS1_30default_config_static_selectorELNS0_4arch9wavefront6targetE1EEEvT1_,comdat
.Lfunc_end2916:
	.size	_ZN7rocprim17ROCPRIM_400000_NS6detail17trampoline_kernelINS0_14default_configENS1_20scan_config_selectorIsEEZZNS1_9scan_implILNS1_25lookback_scan_determinismE0ELb0ELb0ES3_N6thrust23THRUST_200600_302600_NS6detail15normal_iteratorINS9_10device_ptrIsEEEESE_s11max_functorIsEsEEDaPvRmT3_T4_T5_mT6_P12ihipStream_tbENKUlT_T0_E_clISt17integral_constantIbLb0EEST_IbLb1EEEEDaSP_SQ_EUlSP_E0_NS1_11comp_targetILNS1_3genE9ELNS1_11target_archE1100ELNS1_3gpuE3ELNS1_3repE0EEENS1_30default_config_static_selectorELNS0_4arch9wavefront6targetE1EEEvT1_, .Lfunc_end2916-_ZN7rocprim17ROCPRIM_400000_NS6detail17trampoline_kernelINS0_14default_configENS1_20scan_config_selectorIsEEZZNS1_9scan_implILNS1_25lookback_scan_determinismE0ELb0ELb0ES3_N6thrust23THRUST_200600_302600_NS6detail15normal_iteratorINS9_10device_ptrIsEEEESE_s11max_functorIsEsEEDaPvRmT3_T4_T5_mT6_P12ihipStream_tbENKUlT_T0_E_clISt17integral_constantIbLb0EEST_IbLb1EEEEDaSP_SQ_EUlSP_E0_NS1_11comp_targetILNS1_3genE9ELNS1_11target_archE1100ELNS1_3gpuE3ELNS1_3repE0EEENS1_30default_config_static_selectorELNS0_4arch9wavefront6targetE1EEEvT1_
                                        ; -- End function
	.section	.AMDGPU.csdata,"",@progbits
; Kernel info:
; codeLenInByte = 0
; NumSgprs: 4
; NumVgprs: 0
; NumAgprs: 0
; TotalNumVgprs: 0
; ScratchSize: 0
; MemoryBound: 0
; FloatMode: 240
; IeeeMode: 1
; LDSByteSize: 0 bytes/workgroup (compile time only)
; SGPRBlocks: 0
; VGPRBlocks: 0
; NumSGPRsForWavesPerEU: 4
; NumVGPRsForWavesPerEU: 1
; AccumOffset: 4
; Occupancy: 8
; WaveLimiterHint : 0
; COMPUTE_PGM_RSRC2:SCRATCH_EN: 0
; COMPUTE_PGM_RSRC2:USER_SGPR: 6
; COMPUTE_PGM_RSRC2:TRAP_HANDLER: 0
; COMPUTE_PGM_RSRC2:TGID_X_EN: 1
; COMPUTE_PGM_RSRC2:TGID_Y_EN: 0
; COMPUTE_PGM_RSRC2:TGID_Z_EN: 0
; COMPUTE_PGM_RSRC2:TIDIG_COMP_CNT: 0
; COMPUTE_PGM_RSRC3_GFX90A:ACCUM_OFFSET: 0
; COMPUTE_PGM_RSRC3_GFX90A:TG_SPLIT: 0
	.section	.text._ZN7rocprim17ROCPRIM_400000_NS6detail17trampoline_kernelINS0_14default_configENS1_20scan_config_selectorIsEEZZNS1_9scan_implILNS1_25lookback_scan_determinismE0ELb0ELb0ES3_N6thrust23THRUST_200600_302600_NS6detail15normal_iteratorINS9_10device_ptrIsEEEESE_s11max_functorIsEsEEDaPvRmT3_T4_T5_mT6_P12ihipStream_tbENKUlT_T0_E_clISt17integral_constantIbLb0EEST_IbLb1EEEEDaSP_SQ_EUlSP_E0_NS1_11comp_targetILNS1_3genE8ELNS1_11target_archE1030ELNS1_3gpuE2ELNS1_3repE0EEENS1_30default_config_static_selectorELNS0_4arch9wavefront6targetE1EEEvT1_,"axG",@progbits,_ZN7rocprim17ROCPRIM_400000_NS6detail17trampoline_kernelINS0_14default_configENS1_20scan_config_selectorIsEEZZNS1_9scan_implILNS1_25lookback_scan_determinismE0ELb0ELb0ES3_N6thrust23THRUST_200600_302600_NS6detail15normal_iteratorINS9_10device_ptrIsEEEESE_s11max_functorIsEsEEDaPvRmT3_T4_T5_mT6_P12ihipStream_tbENKUlT_T0_E_clISt17integral_constantIbLb0EEST_IbLb1EEEEDaSP_SQ_EUlSP_E0_NS1_11comp_targetILNS1_3genE8ELNS1_11target_archE1030ELNS1_3gpuE2ELNS1_3repE0EEENS1_30default_config_static_selectorELNS0_4arch9wavefront6targetE1EEEvT1_,comdat
	.protected	_ZN7rocprim17ROCPRIM_400000_NS6detail17trampoline_kernelINS0_14default_configENS1_20scan_config_selectorIsEEZZNS1_9scan_implILNS1_25lookback_scan_determinismE0ELb0ELb0ES3_N6thrust23THRUST_200600_302600_NS6detail15normal_iteratorINS9_10device_ptrIsEEEESE_s11max_functorIsEsEEDaPvRmT3_T4_T5_mT6_P12ihipStream_tbENKUlT_T0_E_clISt17integral_constantIbLb0EEST_IbLb1EEEEDaSP_SQ_EUlSP_E0_NS1_11comp_targetILNS1_3genE8ELNS1_11target_archE1030ELNS1_3gpuE2ELNS1_3repE0EEENS1_30default_config_static_selectorELNS0_4arch9wavefront6targetE1EEEvT1_ ; -- Begin function _ZN7rocprim17ROCPRIM_400000_NS6detail17trampoline_kernelINS0_14default_configENS1_20scan_config_selectorIsEEZZNS1_9scan_implILNS1_25lookback_scan_determinismE0ELb0ELb0ES3_N6thrust23THRUST_200600_302600_NS6detail15normal_iteratorINS9_10device_ptrIsEEEESE_s11max_functorIsEsEEDaPvRmT3_T4_T5_mT6_P12ihipStream_tbENKUlT_T0_E_clISt17integral_constantIbLb0EEST_IbLb1EEEEDaSP_SQ_EUlSP_E0_NS1_11comp_targetILNS1_3genE8ELNS1_11target_archE1030ELNS1_3gpuE2ELNS1_3repE0EEENS1_30default_config_static_selectorELNS0_4arch9wavefront6targetE1EEEvT1_
	.globl	_ZN7rocprim17ROCPRIM_400000_NS6detail17trampoline_kernelINS0_14default_configENS1_20scan_config_selectorIsEEZZNS1_9scan_implILNS1_25lookback_scan_determinismE0ELb0ELb0ES3_N6thrust23THRUST_200600_302600_NS6detail15normal_iteratorINS9_10device_ptrIsEEEESE_s11max_functorIsEsEEDaPvRmT3_T4_T5_mT6_P12ihipStream_tbENKUlT_T0_E_clISt17integral_constantIbLb0EEST_IbLb1EEEEDaSP_SQ_EUlSP_E0_NS1_11comp_targetILNS1_3genE8ELNS1_11target_archE1030ELNS1_3gpuE2ELNS1_3repE0EEENS1_30default_config_static_selectorELNS0_4arch9wavefront6targetE1EEEvT1_
	.p2align	8
	.type	_ZN7rocprim17ROCPRIM_400000_NS6detail17trampoline_kernelINS0_14default_configENS1_20scan_config_selectorIsEEZZNS1_9scan_implILNS1_25lookback_scan_determinismE0ELb0ELb0ES3_N6thrust23THRUST_200600_302600_NS6detail15normal_iteratorINS9_10device_ptrIsEEEESE_s11max_functorIsEsEEDaPvRmT3_T4_T5_mT6_P12ihipStream_tbENKUlT_T0_E_clISt17integral_constantIbLb0EEST_IbLb1EEEEDaSP_SQ_EUlSP_E0_NS1_11comp_targetILNS1_3genE8ELNS1_11target_archE1030ELNS1_3gpuE2ELNS1_3repE0EEENS1_30default_config_static_selectorELNS0_4arch9wavefront6targetE1EEEvT1_,@function
_ZN7rocprim17ROCPRIM_400000_NS6detail17trampoline_kernelINS0_14default_configENS1_20scan_config_selectorIsEEZZNS1_9scan_implILNS1_25lookback_scan_determinismE0ELb0ELb0ES3_N6thrust23THRUST_200600_302600_NS6detail15normal_iteratorINS9_10device_ptrIsEEEESE_s11max_functorIsEsEEDaPvRmT3_T4_T5_mT6_P12ihipStream_tbENKUlT_T0_E_clISt17integral_constantIbLb0EEST_IbLb1EEEEDaSP_SQ_EUlSP_E0_NS1_11comp_targetILNS1_3genE8ELNS1_11target_archE1030ELNS1_3gpuE2ELNS1_3repE0EEENS1_30default_config_static_selectorELNS0_4arch9wavefront6targetE1EEEvT1_: ; @_ZN7rocprim17ROCPRIM_400000_NS6detail17trampoline_kernelINS0_14default_configENS1_20scan_config_selectorIsEEZZNS1_9scan_implILNS1_25lookback_scan_determinismE0ELb0ELb0ES3_N6thrust23THRUST_200600_302600_NS6detail15normal_iteratorINS9_10device_ptrIsEEEESE_s11max_functorIsEsEEDaPvRmT3_T4_T5_mT6_P12ihipStream_tbENKUlT_T0_E_clISt17integral_constantIbLb0EEST_IbLb1EEEEDaSP_SQ_EUlSP_E0_NS1_11comp_targetILNS1_3genE8ELNS1_11target_archE1030ELNS1_3gpuE2ELNS1_3repE0EEENS1_30default_config_static_selectorELNS0_4arch9wavefront6targetE1EEEvT1_
; %bb.0:
	.section	.rodata,"a",@progbits
	.p2align	6, 0x0
	.amdhsa_kernel _ZN7rocprim17ROCPRIM_400000_NS6detail17trampoline_kernelINS0_14default_configENS1_20scan_config_selectorIsEEZZNS1_9scan_implILNS1_25lookback_scan_determinismE0ELb0ELb0ES3_N6thrust23THRUST_200600_302600_NS6detail15normal_iteratorINS9_10device_ptrIsEEEESE_s11max_functorIsEsEEDaPvRmT3_T4_T5_mT6_P12ihipStream_tbENKUlT_T0_E_clISt17integral_constantIbLb0EEST_IbLb1EEEEDaSP_SQ_EUlSP_E0_NS1_11comp_targetILNS1_3genE8ELNS1_11target_archE1030ELNS1_3gpuE2ELNS1_3repE0EEENS1_30default_config_static_selectorELNS0_4arch9wavefront6targetE1EEEvT1_
		.amdhsa_group_segment_fixed_size 0
		.amdhsa_private_segment_fixed_size 0
		.amdhsa_kernarg_size 32
		.amdhsa_user_sgpr_count 6
		.amdhsa_user_sgpr_private_segment_buffer 1
		.amdhsa_user_sgpr_dispatch_ptr 0
		.amdhsa_user_sgpr_queue_ptr 0
		.amdhsa_user_sgpr_kernarg_segment_ptr 1
		.amdhsa_user_sgpr_dispatch_id 0
		.amdhsa_user_sgpr_flat_scratch_init 0
		.amdhsa_user_sgpr_kernarg_preload_length 0
		.amdhsa_user_sgpr_kernarg_preload_offset 0
		.amdhsa_user_sgpr_private_segment_size 0
		.amdhsa_uses_dynamic_stack 0
		.amdhsa_system_sgpr_private_segment_wavefront_offset 0
		.amdhsa_system_sgpr_workgroup_id_x 1
		.amdhsa_system_sgpr_workgroup_id_y 0
		.amdhsa_system_sgpr_workgroup_id_z 0
		.amdhsa_system_sgpr_workgroup_info 0
		.amdhsa_system_vgpr_workitem_id 0
		.amdhsa_next_free_vgpr 1
		.amdhsa_next_free_sgpr 0
		.amdhsa_accum_offset 4
		.amdhsa_reserve_vcc 0
		.amdhsa_reserve_flat_scratch 0
		.amdhsa_float_round_mode_32 0
		.amdhsa_float_round_mode_16_64 0
		.amdhsa_float_denorm_mode_32 3
		.amdhsa_float_denorm_mode_16_64 3
		.amdhsa_dx10_clamp 1
		.amdhsa_ieee_mode 1
		.amdhsa_fp16_overflow 0
		.amdhsa_tg_split 0
		.amdhsa_exception_fp_ieee_invalid_op 0
		.amdhsa_exception_fp_denorm_src 0
		.amdhsa_exception_fp_ieee_div_zero 0
		.amdhsa_exception_fp_ieee_overflow 0
		.amdhsa_exception_fp_ieee_underflow 0
		.amdhsa_exception_fp_ieee_inexact 0
		.amdhsa_exception_int_div_zero 0
	.end_amdhsa_kernel
	.section	.text._ZN7rocprim17ROCPRIM_400000_NS6detail17trampoline_kernelINS0_14default_configENS1_20scan_config_selectorIsEEZZNS1_9scan_implILNS1_25lookback_scan_determinismE0ELb0ELb0ES3_N6thrust23THRUST_200600_302600_NS6detail15normal_iteratorINS9_10device_ptrIsEEEESE_s11max_functorIsEsEEDaPvRmT3_T4_T5_mT6_P12ihipStream_tbENKUlT_T0_E_clISt17integral_constantIbLb0EEST_IbLb1EEEEDaSP_SQ_EUlSP_E0_NS1_11comp_targetILNS1_3genE8ELNS1_11target_archE1030ELNS1_3gpuE2ELNS1_3repE0EEENS1_30default_config_static_selectorELNS0_4arch9wavefront6targetE1EEEvT1_,"axG",@progbits,_ZN7rocprim17ROCPRIM_400000_NS6detail17trampoline_kernelINS0_14default_configENS1_20scan_config_selectorIsEEZZNS1_9scan_implILNS1_25lookback_scan_determinismE0ELb0ELb0ES3_N6thrust23THRUST_200600_302600_NS6detail15normal_iteratorINS9_10device_ptrIsEEEESE_s11max_functorIsEsEEDaPvRmT3_T4_T5_mT6_P12ihipStream_tbENKUlT_T0_E_clISt17integral_constantIbLb0EEST_IbLb1EEEEDaSP_SQ_EUlSP_E0_NS1_11comp_targetILNS1_3genE8ELNS1_11target_archE1030ELNS1_3gpuE2ELNS1_3repE0EEENS1_30default_config_static_selectorELNS0_4arch9wavefront6targetE1EEEvT1_,comdat
.Lfunc_end2917:
	.size	_ZN7rocprim17ROCPRIM_400000_NS6detail17trampoline_kernelINS0_14default_configENS1_20scan_config_selectorIsEEZZNS1_9scan_implILNS1_25lookback_scan_determinismE0ELb0ELb0ES3_N6thrust23THRUST_200600_302600_NS6detail15normal_iteratorINS9_10device_ptrIsEEEESE_s11max_functorIsEsEEDaPvRmT3_T4_T5_mT6_P12ihipStream_tbENKUlT_T0_E_clISt17integral_constantIbLb0EEST_IbLb1EEEEDaSP_SQ_EUlSP_E0_NS1_11comp_targetILNS1_3genE8ELNS1_11target_archE1030ELNS1_3gpuE2ELNS1_3repE0EEENS1_30default_config_static_selectorELNS0_4arch9wavefront6targetE1EEEvT1_, .Lfunc_end2917-_ZN7rocprim17ROCPRIM_400000_NS6detail17trampoline_kernelINS0_14default_configENS1_20scan_config_selectorIsEEZZNS1_9scan_implILNS1_25lookback_scan_determinismE0ELb0ELb0ES3_N6thrust23THRUST_200600_302600_NS6detail15normal_iteratorINS9_10device_ptrIsEEEESE_s11max_functorIsEsEEDaPvRmT3_T4_T5_mT6_P12ihipStream_tbENKUlT_T0_E_clISt17integral_constantIbLb0EEST_IbLb1EEEEDaSP_SQ_EUlSP_E0_NS1_11comp_targetILNS1_3genE8ELNS1_11target_archE1030ELNS1_3gpuE2ELNS1_3repE0EEENS1_30default_config_static_selectorELNS0_4arch9wavefront6targetE1EEEvT1_
                                        ; -- End function
	.section	.AMDGPU.csdata,"",@progbits
; Kernel info:
; codeLenInByte = 0
; NumSgprs: 4
; NumVgprs: 0
; NumAgprs: 0
; TotalNumVgprs: 0
; ScratchSize: 0
; MemoryBound: 0
; FloatMode: 240
; IeeeMode: 1
; LDSByteSize: 0 bytes/workgroup (compile time only)
; SGPRBlocks: 0
; VGPRBlocks: 0
; NumSGPRsForWavesPerEU: 4
; NumVGPRsForWavesPerEU: 1
; AccumOffset: 4
; Occupancy: 8
; WaveLimiterHint : 0
; COMPUTE_PGM_RSRC2:SCRATCH_EN: 0
; COMPUTE_PGM_RSRC2:USER_SGPR: 6
; COMPUTE_PGM_RSRC2:TRAP_HANDLER: 0
; COMPUTE_PGM_RSRC2:TGID_X_EN: 1
; COMPUTE_PGM_RSRC2:TGID_Y_EN: 0
; COMPUTE_PGM_RSRC2:TGID_Z_EN: 0
; COMPUTE_PGM_RSRC2:TIDIG_COMP_CNT: 0
; COMPUTE_PGM_RSRC3_GFX90A:ACCUM_OFFSET: 0
; COMPUTE_PGM_RSRC3_GFX90A:TG_SPLIT: 0
	.section	.text._ZN7rocprim17ROCPRIM_400000_NS6detail17trampoline_kernelINS0_14default_configENS1_20scan_config_selectorIsEEZZNS1_9scan_implILNS1_25lookback_scan_determinismE0ELb1ELb1ES3_N6thrust23THRUST_200600_302600_NS6detail15normal_iteratorINS9_10device_ptrIsEEEESE_s11max_functorIsEsEEDaPvRmT3_T4_T5_mT6_P12ihipStream_tbENKUlT_T0_E_clISt17integral_constantIbLb0EESU_EEDaSP_SQ_EUlSP_E_NS1_11comp_targetILNS1_3genE0ELNS1_11target_archE4294967295ELNS1_3gpuE0ELNS1_3repE0EEENS1_30default_config_static_selectorELNS0_4arch9wavefront6targetE1EEEvT1_,"axG",@progbits,_ZN7rocprim17ROCPRIM_400000_NS6detail17trampoline_kernelINS0_14default_configENS1_20scan_config_selectorIsEEZZNS1_9scan_implILNS1_25lookback_scan_determinismE0ELb1ELb1ES3_N6thrust23THRUST_200600_302600_NS6detail15normal_iteratorINS9_10device_ptrIsEEEESE_s11max_functorIsEsEEDaPvRmT3_T4_T5_mT6_P12ihipStream_tbENKUlT_T0_E_clISt17integral_constantIbLb0EESU_EEDaSP_SQ_EUlSP_E_NS1_11comp_targetILNS1_3genE0ELNS1_11target_archE4294967295ELNS1_3gpuE0ELNS1_3repE0EEENS1_30default_config_static_selectorELNS0_4arch9wavefront6targetE1EEEvT1_,comdat
	.protected	_ZN7rocprim17ROCPRIM_400000_NS6detail17trampoline_kernelINS0_14default_configENS1_20scan_config_selectorIsEEZZNS1_9scan_implILNS1_25lookback_scan_determinismE0ELb1ELb1ES3_N6thrust23THRUST_200600_302600_NS6detail15normal_iteratorINS9_10device_ptrIsEEEESE_s11max_functorIsEsEEDaPvRmT3_T4_T5_mT6_P12ihipStream_tbENKUlT_T0_E_clISt17integral_constantIbLb0EESU_EEDaSP_SQ_EUlSP_E_NS1_11comp_targetILNS1_3genE0ELNS1_11target_archE4294967295ELNS1_3gpuE0ELNS1_3repE0EEENS1_30default_config_static_selectorELNS0_4arch9wavefront6targetE1EEEvT1_ ; -- Begin function _ZN7rocprim17ROCPRIM_400000_NS6detail17trampoline_kernelINS0_14default_configENS1_20scan_config_selectorIsEEZZNS1_9scan_implILNS1_25lookback_scan_determinismE0ELb1ELb1ES3_N6thrust23THRUST_200600_302600_NS6detail15normal_iteratorINS9_10device_ptrIsEEEESE_s11max_functorIsEsEEDaPvRmT3_T4_T5_mT6_P12ihipStream_tbENKUlT_T0_E_clISt17integral_constantIbLb0EESU_EEDaSP_SQ_EUlSP_E_NS1_11comp_targetILNS1_3genE0ELNS1_11target_archE4294967295ELNS1_3gpuE0ELNS1_3repE0EEENS1_30default_config_static_selectorELNS0_4arch9wavefront6targetE1EEEvT1_
	.globl	_ZN7rocprim17ROCPRIM_400000_NS6detail17trampoline_kernelINS0_14default_configENS1_20scan_config_selectorIsEEZZNS1_9scan_implILNS1_25lookback_scan_determinismE0ELb1ELb1ES3_N6thrust23THRUST_200600_302600_NS6detail15normal_iteratorINS9_10device_ptrIsEEEESE_s11max_functorIsEsEEDaPvRmT3_T4_T5_mT6_P12ihipStream_tbENKUlT_T0_E_clISt17integral_constantIbLb0EESU_EEDaSP_SQ_EUlSP_E_NS1_11comp_targetILNS1_3genE0ELNS1_11target_archE4294967295ELNS1_3gpuE0ELNS1_3repE0EEENS1_30default_config_static_selectorELNS0_4arch9wavefront6targetE1EEEvT1_
	.p2align	8
	.type	_ZN7rocprim17ROCPRIM_400000_NS6detail17trampoline_kernelINS0_14default_configENS1_20scan_config_selectorIsEEZZNS1_9scan_implILNS1_25lookback_scan_determinismE0ELb1ELb1ES3_N6thrust23THRUST_200600_302600_NS6detail15normal_iteratorINS9_10device_ptrIsEEEESE_s11max_functorIsEsEEDaPvRmT3_T4_T5_mT6_P12ihipStream_tbENKUlT_T0_E_clISt17integral_constantIbLb0EESU_EEDaSP_SQ_EUlSP_E_NS1_11comp_targetILNS1_3genE0ELNS1_11target_archE4294967295ELNS1_3gpuE0ELNS1_3repE0EEENS1_30default_config_static_selectorELNS0_4arch9wavefront6targetE1EEEvT1_,@function
_ZN7rocprim17ROCPRIM_400000_NS6detail17trampoline_kernelINS0_14default_configENS1_20scan_config_selectorIsEEZZNS1_9scan_implILNS1_25lookback_scan_determinismE0ELb1ELb1ES3_N6thrust23THRUST_200600_302600_NS6detail15normal_iteratorINS9_10device_ptrIsEEEESE_s11max_functorIsEsEEDaPvRmT3_T4_T5_mT6_P12ihipStream_tbENKUlT_T0_E_clISt17integral_constantIbLb0EESU_EEDaSP_SQ_EUlSP_E_NS1_11comp_targetILNS1_3genE0ELNS1_11target_archE4294967295ELNS1_3gpuE0ELNS1_3repE0EEENS1_30default_config_static_selectorELNS0_4arch9wavefront6targetE1EEEvT1_: ; @_ZN7rocprim17ROCPRIM_400000_NS6detail17trampoline_kernelINS0_14default_configENS1_20scan_config_selectorIsEEZZNS1_9scan_implILNS1_25lookback_scan_determinismE0ELb1ELb1ES3_N6thrust23THRUST_200600_302600_NS6detail15normal_iteratorINS9_10device_ptrIsEEEESE_s11max_functorIsEsEEDaPvRmT3_T4_T5_mT6_P12ihipStream_tbENKUlT_T0_E_clISt17integral_constantIbLb0EESU_EEDaSP_SQ_EUlSP_E_NS1_11comp_targetILNS1_3genE0ELNS1_11target_archE4294967295ELNS1_3gpuE0ELNS1_3repE0EEENS1_30default_config_static_selectorELNS0_4arch9wavefront6targetE1EEEvT1_
; %bb.0:
	.section	.rodata,"a",@progbits
	.p2align	6, 0x0
	.amdhsa_kernel _ZN7rocprim17ROCPRIM_400000_NS6detail17trampoline_kernelINS0_14default_configENS1_20scan_config_selectorIsEEZZNS1_9scan_implILNS1_25lookback_scan_determinismE0ELb1ELb1ES3_N6thrust23THRUST_200600_302600_NS6detail15normal_iteratorINS9_10device_ptrIsEEEESE_s11max_functorIsEsEEDaPvRmT3_T4_T5_mT6_P12ihipStream_tbENKUlT_T0_E_clISt17integral_constantIbLb0EESU_EEDaSP_SQ_EUlSP_E_NS1_11comp_targetILNS1_3genE0ELNS1_11target_archE4294967295ELNS1_3gpuE0ELNS1_3repE0EEENS1_30default_config_static_selectorELNS0_4arch9wavefront6targetE1EEEvT1_
		.amdhsa_group_segment_fixed_size 0
		.amdhsa_private_segment_fixed_size 0
		.amdhsa_kernarg_size 96
		.amdhsa_user_sgpr_count 6
		.amdhsa_user_sgpr_private_segment_buffer 1
		.amdhsa_user_sgpr_dispatch_ptr 0
		.amdhsa_user_sgpr_queue_ptr 0
		.amdhsa_user_sgpr_kernarg_segment_ptr 1
		.amdhsa_user_sgpr_dispatch_id 0
		.amdhsa_user_sgpr_flat_scratch_init 0
		.amdhsa_user_sgpr_kernarg_preload_length 0
		.amdhsa_user_sgpr_kernarg_preload_offset 0
		.amdhsa_user_sgpr_private_segment_size 0
		.amdhsa_uses_dynamic_stack 0
		.amdhsa_system_sgpr_private_segment_wavefront_offset 0
		.amdhsa_system_sgpr_workgroup_id_x 1
		.amdhsa_system_sgpr_workgroup_id_y 0
		.amdhsa_system_sgpr_workgroup_id_z 0
		.amdhsa_system_sgpr_workgroup_info 0
		.amdhsa_system_vgpr_workitem_id 0
		.amdhsa_next_free_vgpr 1
		.amdhsa_next_free_sgpr 0
		.amdhsa_accum_offset 4
		.amdhsa_reserve_vcc 0
		.amdhsa_reserve_flat_scratch 0
		.amdhsa_float_round_mode_32 0
		.amdhsa_float_round_mode_16_64 0
		.amdhsa_float_denorm_mode_32 3
		.amdhsa_float_denorm_mode_16_64 3
		.amdhsa_dx10_clamp 1
		.amdhsa_ieee_mode 1
		.amdhsa_fp16_overflow 0
		.amdhsa_tg_split 0
		.amdhsa_exception_fp_ieee_invalid_op 0
		.amdhsa_exception_fp_denorm_src 0
		.amdhsa_exception_fp_ieee_div_zero 0
		.amdhsa_exception_fp_ieee_overflow 0
		.amdhsa_exception_fp_ieee_underflow 0
		.amdhsa_exception_fp_ieee_inexact 0
		.amdhsa_exception_int_div_zero 0
	.end_amdhsa_kernel
	.section	.text._ZN7rocprim17ROCPRIM_400000_NS6detail17trampoline_kernelINS0_14default_configENS1_20scan_config_selectorIsEEZZNS1_9scan_implILNS1_25lookback_scan_determinismE0ELb1ELb1ES3_N6thrust23THRUST_200600_302600_NS6detail15normal_iteratorINS9_10device_ptrIsEEEESE_s11max_functorIsEsEEDaPvRmT3_T4_T5_mT6_P12ihipStream_tbENKUlT_T0_E_clISt17integral_constantIbLb0EESU_EEDaSP_SQ_EUlSP_E_NS1_11comp_targetILNS1_3genE0ELNS1_11target_archE4294967295ELNS1_3gpuE0ELNS1_3repE0EEENS1_30default_config_static_selectorELNS0_4arch9wavefront6targetE1EEEvT1_,"axG",@progbits,_ZN7rocprim17ROCPRIM_400000_NS6detail17trampoline_kernelINS0_14default_configENS1_20scan_config_selectorIsEEZZNS1_9scan_implILNS1_25lookback_scan_determinismE0ELb1ELb1ES3_N6thrust23THRUST_200600_302600_NS6detail15normal_iteratorINS9_10device_ptrIsEEEESE_s11max_functorIsEsEEDaPvRmT3_T4_T5_mT6_P12ihipStream_tbENKUlT_T0_E_clISt17integral_constantIbLb0EESU_EEDaSP_SQ_EUlSP_E_NS1_11comp_targetILNS1_3genE0ELNS1_11target_archE4294967295ELNS1_3gpuE0ELNS1_3repE0EEENS1_30default_config_static_selectorELNS0_4arch9wavefront6targetE1EEEvT1_,comdat
.Lfunc_end2918:
	.size	_ZN7rocprim17ROCPRIM_400000_NS6detail17trampoline_kernelINS0_14default_configENS1_20scan_config_selectorIsEEZZNS1_9scan_implILNS1_25lookback_scan_determinismE0ELb1ELb1ES3_N6thrust23THRUST_200600_302600_NS6detail15normal_iteratorINS9_10device_ptrIsEEEESE_s11max_functorIsEsEEDaPvRmT3_T4_T5_mT6_P12ihipStream_tbENKUlT_T0_E_clISt17integral_constantIbLb0EESU_EEDaSP_SQ_EUlSP_E_NS1_11comp_targetILNS1_3genE0ELNS1_11target_archE4294967295ELNS1_3gpuE0ELNS1_3repE0EEENS1_30default_config_static_selectorELNS0_4arch9wavefront6targetE1EEEvT1_, .Lfunc_end2918-_ZN7rocprim17ROCPRIM_400000_NS6detail17trampoline_kernelINS0_14default_configENS1_20scan_config_selectorIsEEZZNS1_9scan_implILNS1_25lookback_scan_determinismE0ELb1ELb1ES3_N6thrust23THRUST_200600_302600_NS6detail15normal_iteratorINS9_10device_ptrIsEEEESE_s11max_functorIsEsEEDaPvRmT3_T4_T5_mT6_P12ihipStream_tbENKUlT_T0_E_clISt17integral_constantIbLb0EESU_EEDaSP_SQ_EUlSP_E_NS1_11comp_targetILNS1_3genE0ELNS1_11target_archE4294967295ELNS1_3gpuE0ELNS1_3repE0EEENS1_30default_config_static_selectorELNS0_4arch9wavefront6targetE1EEEvT1_
                                        ; -- End function
	.section	.AMDGPU.csdata,"",@progbits
; Kernel info:
; codeLenInByte = 0
; NumSgprs: 4
; NumVgprs: 0
; NumAgprs: 0
; TotalNumVgprs: 0
; ScratchSize: 0
; MemoryBound: 0
; FloatMode: 240
; IeeeMode: 1
; LDSByteSize: 0 bytes/workgroup (compile time only)
; SGPRBlocks: 0
; VGPRBlocks: 0
; NumSGPRsForWavesPerEU: 4
; NumVGPRsForWavesPerEU: 1
; AccumOffset: 4
; Occupancy: 8
; WaveLimiterHint : 0
; COMPUTE_PGM_RSRC2:SCRATCH_EN: 0
; COMPUTE_PGM_RSRC2:USER_SGPR: 6
; COMPUTE_PGM_RSRC2:TRAP_HANDLER: 0
; COMPUTE_PGM_RSRC2:TGID_X_EN: 1
; COMPUTE_PGM_RSRC2:TGID_Y_EN: 0
; COMPUTE_PGM_RSRC2:TGID_Z_EN: 0
; COMPUTE_PGM_RSRC2:TIDIG_COMP_CNT: 0
; COMPUTE_PGM_RSRC3_GFX90A:ACCUM_OFFSET: 0
; COMPUTE_PGM_RSRC3_GFX90A:TG_SPLIT: 0
	.section	.text._ZN7rocprim17ROCPRIM_400000_NS6detail17trampoline_kernelINS0_14default_configENS1_20scan_config_selectorIsEEZZNS1_9scan_implILNS1_25lookback_scan_determinismE0ELb1ELb1ES3_N6thrust23THRUST_200600_302600_NS6detail15normal_iteratorINS9_10device_ptrIsEEEESE_s11max_functorIsEsEEDaPvRmT3_T4_T5_mT6_P12ihipStream_tbENKUlT_T0_E_clISt17integral_constantIbLb0EESU_EEDaSP_SQ_EUlSP_E_NS1_11comp_targetILNS1_3genE5ELNS1_11target_archE942ELNS1_3gpuE9ELNS1_3repE0EEENS1_30default_config_static_selectorELNS0_4arch9wavefront6targetE1EEEvT1_,"axG",@progbits,_ZN7rocprim17ROCPRIM_400000_NS6detail17trampoline_kernelINS0_14default_configENS1_20scan_config_selectorIsEEZZNS1_9scan_implILNS1_25lookback_scan_determinismE0ELb1ELb1ES3_N6thrust23THRUST_200600_302600_NS6detail15normal_iteratorINS9_10device_ptrIsEEEESE_s11max_functorIsEsEEDaPvRmT3_T4_T5_mT6_P12ihipStream_tbENKUlT_T0_E_clISt17integral_constantIbLb0EESU_EEDaSP_SQ_EUlSP_E_NS1_11comp_targetILNS1_3genE5ELNS1_11target_archE942ELNS1_3gpuE9ELNS1_3repE0EEENS1_30default_config_static_selectorELNS0_4arch9wavefront6targetE1EEEvT1_,comdat
	.protected	_ZN7rocprim17ROCPRIM_400000_NS6detail17trampoline_kernelINS0_14default_configENS1_20scan_config_selectorIsEEZZNS1_9scan_implILNS1_25lookback_scan_determinismE0ELb1ELb1ES3_N6thrust23THRUST_200600_302600_NS6detail15normal_iteratorINS9_10device_ptrIsEEEESE_s11max_functorIsEsEEDaPvRmT3_T4_T5_mT6_P12ihipStream_tbENKUlT_T0_E_clISt17integral_constantIbLb0EESU_EEDaSP_SQ_EUlSP_E_NS1_11comp_targetILNS1_3genE5ELNS1_11target_archE942ELNS1_3gpuE9ELNS1_3repE0EEENS1_30default_config_static_selectorELNS0_4arch9wavefront6targetE1EEEvT1_ ; -- Begin function _ZN7rocprim17ROCPRIM_400000_NS6detail17trampoline_kernelINS0_14default_configENS1_20scan_config_selectorIsEEZZNS1_9scan_implILNS1_25lookback_scan_determinismE0ELb1ELb1ES3_N6thrust23THRUST_200600_302600_NS6detail15normal_iteratorINS9_10device_ptrIsEEEESE_s11max_functorIsEsEEDaPvRmT3_T4_T5_mT6_P12ihipStream_tbENKUlT_T0_E_clISt17integral_constantIbLb0EESU_EEDaSP_SQ_EUlSP_E_NS1_11comp_targetILNS1_3genE5ELNS1_11target_archE942ELNS1_3gpuE9ELNS1_3repE0EEENS1_30default_config_static_selectorELNS0_4arch9wavefront6targetE1EEEvT1_
	.globl	_ZN7rocprim17ROCPRIM_400000_NS6detail17trampoline_kernelINS0_14default_configENS1_20scan_config_selectorIsEEZZNS1_9scan_implILNS1_25lookback_scan_determinismE0ELb1ELb1ES3_N6thrust23THRUST_200600_302600_NS6detail15normal_iteratorINS9_10device_ptrIsEEEESE_s11max_functorIsEsEEDaPvRmT3_T4_T5_mT6_P12ihipStream_tbENKUlT_T0_E_clISt17integral_constantIbLb0EESU_EEDaSP_SQ_EUlSP_E_NS1_11comp_targetILNS1_3genE5ELNS1_11target_archE942ELNS1_3gpuE9ELNS1_3repE0EEENS1_30default_config_static_selectorELNS0_4arch9wavefront6targetE1EEEvT1_
	.p2align	8
	.type	_ZN7rocprim17ROCPRIM_400000_NS6detail17trampoline_kernelINS0_14default_configENS1_20scan_config_selectorIsEEZZNS1_9scan_implILNS1_25lookback_scan_determinismE0ELb1ELb1ES3_N6thrust23THRUST_200600_302600_NS6detail15normal_iteratorINS9_10device_ptrIsEEEESE_s11max_functorIsEsEEDaPvRmT3_T4_T5_mT6_P12ihipStream_tbENKUlT_T0_E_clISt17integral_constantIbLb0EESU_EEDaSP_SQ_EUlSP_E_NS1_11comp_targetILNS1_3genE5ELNS1_11target_archE942ELNS1_3gpuE9ELNS1_3repE0EEENS1_30default_config_static_selectorELNS0_4arch9wavefront6targetE1EEEvT1_,@function
_ZN7rocprim17ROCPRIM_400000_NS6detail17trampoline_kernelINS0_14default_configENS1_20scan_config_selectorIsEEZZNS1_9scan_implILNS1_25lookback_scan_determinismE0ELb1ELb1ES3_N6thrust23THRUST_200600_302600_NS6detail15normal_iteratorINS9_10device_ptrIsEEEESE_s11max_functorIsEsEEDaPvRmT3_T4_T5_mT6_P12ihipStream_tbENKUlT_T0_E_clISt17integral_constantIbLb0EESU_EEDaSP_SQ_EUlSP_E_NS1_11comp_targetILNS1_3genE5ELNS1_11target_archE942ELNS1_3gpuE9ELNS1_3repE0EEENS1_30default_config_static_selectorELNS0_4arch9wavefront6targetE1EEEvT1_: ; @_ZN7rocprim17ROCPRIM_400000_NS6detail17trampoline_kernelINS0_14default_configENS1_20scan_config_selectorIsEEZZNS1_9scan_implILNS1_25lookback_scan_determinismE0ELb1ELb1ES3_N6thrust23THRUST_200600_302600_NS6detail15normal_iteratorINS9_10device_ptrIsEEEESE_s11max_functorIsEsEEDaPvRmT3_T4_T5_mT6_P12ihipStream_tbENKUlT_T0_E_clISt17integral_constantIbLb0EESU_EEDaSP_SQ_EUlSP_E_NS1_11comp_targetILNS1_3genE5ELNS1_11target_archE942ELNS1_3gpuE9ELNS1_3repE0EEENS1_30default_config_static_selectorELNS0_4arch9wavefront6targetE1EEEvT1_
; %bb.0:
	.section	.rodata,"a",@progbits
	.p2align	6, 0x0
	.amdhsa_kernel _ZN7rocprim17ROCPRIM_400000_NS6detail17trampoline_kernelINS0_14default_configENS1_20scan_config_selectorIsEEZZNS1_9scan_implILNS1_25lookback_scan_determinismE0ELb1ELb1ES3_N6thrust23THRUST_200600_302600_NS6detail15normal_iteratorINS9_10device_ptrIsEEEESE_s11max_functorIsEsEEDaPvRmT3_T4_T5_mT6_P12ihipStream_tbENKUlT_T0_E_clISt17integral_constantIbLb0EESU_EEDaSP_SQ_EUlSP_E_NS1_11comp_targetILNS1_3genE5ELNS1_11target_archE942ELNS1_3gpuE9ELNS1_3repE0EEENS1_30default_config_static_selectorELNS0_4arch9wavefront6targetE1EEEvT1_
		.amdhsa_group_segment_fixed_size 0
		.amdhsa_private_segment_fixed_size 0
		.amdhsa_kernarg_size 96
		.amdhsa_user_sgpr_count 6
		.amdhsa_user_sgpr_private_segment_buffer 1
		.amdhsa_user_sgpr_dispatch_ptr 0
		.amdhsa_user_sgpr_queue_ptr 0
		.amdhsa_user_sgpr_kernarg_segment_ptr 1
		.amdhsa_user_sgpr_dispatch_id 0
		.amdhsa_user_sgpr_flat_scratch_init 0
		.amdhsa_user_sgpr_kernarg_preload_length 0
		.amdhsa_user_sgpr_kernarg_preload_offset 0
		.amdhsa_user_sgpr_private_segment_size 0
		.amdhsa_uses_dynamic_stack 0
		.amdhsa_system_sgpr_private_segment_wavefront_offset 0
		.amdhsa_system_sgpr_workgroup_id_x 1
		.amdhsa_system_sgpr_workgroup_id_y 0
		.amdhsa_system_sgpr_workgroup_id_z 0
		.amdhsa_system_sgpr_workgroup_info 0
		.amdhsa_system_vgpr_workitem_id 0
		.amdhsa_next_free_vgpr 1
		.amdhsa_next_free_sgpr 0
		.amdhsa_accum_offset 4
		.amdhsa_reserve_vcc 0
		.amdhsa_reserve_flat_scratch 0
		.amdhsa_float_round_mode_32 0
		.amdhsa_float_round_mode_16_64 0
		.amdhsa_float_denorm_mode_32 3
		.amdhsa_float_denorm_mode_16_64 3
		.amdhsa_dx10_clamp 1
		.amdhsa_ieee_mode 1
		.amdhsa_fp16_overflow 0
		.amdhsa_tg_split 0
		.amdhsa_exception_fp_ieee_invalid_op 0
		.amdhsa_exception_fp_denorm_src 0
		.amdhsa_exception_fp_ieee_div_zero 0
		.amdhsa_exception_fp_ieee_overflow 0
		.amdhsa_exception_fp_ieee_underflow 0
		.amdhsa_exception_fp_ieee_inexact 0
		.amdhsa_exception_int_div_zero 0
	.end_amdhsa_kernel
	.section	.text._ZN7rocprim17ROCPRIM_400000_NS6detail17trampoline_kernelINS0_14default_configENS1_20scan_config_selectorIsEEZZNS1_9scan_implILNS1_25lookback_scan_determinismE0ELb1ELb1ES3_N6thrust23THRUST_200600_302600_NS6detail15normal_iteratorINS9_10device_ptrIsEEEESE_s11max_functorIsEsEEDaPvRmT3_T4_T5_mT6_P12ihipStream_tbENKUlT_T0_E_clISt17integral_constantIbLb0EESU_EEDaSP_SQ_EUlSP_E_NS1_11comp_targetILNS1_3genE5ELNS1_11target_archE942ELNS1_3gpuE9ELNS1_3repE0EEENS1_30default_config_static_selectorELNS0_4arch9wavefront6targetE1EEEvT1_,"axG",@progbits,_ZN7rocprim17ROCPRIM_400000_NS6detail17trampoline_kernelINS0_14default_configENS1_20scan_config_selectorIsEEZZNS1_9scan_implILNS1_25lookback_scan_determinismE0ELb1ELb1ES3_N6thrust23THRUST_200600_302600_NS6detail15normal_iteratorINS9_10device_ptrIsEEEESE_s11max_functorIsEsEEDaPvRmT3_T4_T5_mT6_P12ihipStream_tbENKUlT_T0_E_clISt17integral_constantIbLb0EESU_EEDaSP_SQ_EUlSP_E_NS1_11comp_targetILNS1_3genE5ELNS1_11target_archE942ELNS1_3gpuE9ELNS1_3repE0EEENS1_30default_config_static_selectorELNS0_4arch9wavefront6targetE1EEEvT1_,comdat
.Lfunc_end2919:
	.size	_ZN7rocprim17ROCPRIM_400000_NS6detail17trampoline_kernelINS0_14default_configENS1_20scan_config_selectorIsEEZZNS1_9scan_implILNS1_25lookback_scan_determinismE0ELb1ELb1ES3_N6thrust23THRUST_200600_302600_NS6detail15normal_iteratorINS9_10device_ptrIsEEEESE_s11max_functorIsEsEEDaPvRmT3_T4_T5_mT6_P12ihipStream_tbENKUlT_T0_E_clISt17integral_constantIbLb0EESU_EEDaSP_SQ_EUlSP_E_NS1_11comp_targetILNS1_3genE5ELNS1_11target_archE942ELNS1_3gpuE9ELNS1_3repE0EEENS1_30default_config_static_selectorELNS0_4arch9wavefront6targetE1EEEvT1_, .Lfunc_end2919-_ZN7rocprim17ROCPRIM_400000_NS6detail17trampoline_kernelINS0_14default_configENS1_20scan_config_selectorIsEEZZNS1_9scan_implILNS1_25lookback_scan_determinismE0ELb1ELb1ES3_N6thrust23THRUST_200600_302600_NS6detail15normal_iteratorINS9_10device_ptrIsEEEESE_s11max_functorIsEsEEDaPvRmT3_T4_T5_mT6_P12ihipStream_tbENKUlT_T0_E_clISt17integral_constantIbLb0EESU_EEDaSP_SQ_EUlSP_E_NS1_11comp_targetILNS1_3genE5ELNS1_11target_archE942ELNS1_3gpuE9ELNS1_3repE0EEENS1_30default_config_static_selectorELNS0_4arch9wavefront6targetE1EEEvT1_
                                        ; -- End function
	.section	.AMDGPU.csdata,"",@progbits
; Kernel info:
; codeLenInByte = 0
; NumSgprs: 4
; NumVgprs: 0
; NumAgprs: 0
; TotalNumVgprs: 0
; ScratchSize: 0
; MemoryBound: 0
; FloatMode: 240
; IeeeMode: 1
; LDSByteSize: 0 bytes/workgroup (compile time only)
; SGPRBlocks: 0
; VGPRBlocks: 0
; NumSGPRsForWavesPerEU: 4
; NumVGPRsForWavesPerEU: 1
; AccumOffset: 4
; Occupancy: 8
; WaveLimiterHint : 0
; COMPUTE_PGM_RSRC2:SCRATCH_EN: 0
; COMPUTE_PGM_RSRC2:USER_SGPR: 6
; COMPUTE_PGM_RSRC2:TRAP_HANDLER: 0
; COMPUTE_PGM_RSRC2:TGID_X_EN: 1
; COMPUTE_PGM_RSRC2:TGID_Y_EN: 0
; COMPUTE_PGM_RSRC2:TGID_Z_EN: 0
; COMPUTE_PGM_RSRC2:TIDIG_COMP_CNT: 0
; COMPUTE_PGM_RSRC3_GFX90A:ACCUM_OFFSET: 0
; COMPUTE_PGM_RSRC3_GFX90A:TG_SPLIT: 0
	.section	.text._ZN7rocprim17ROCPRIM_400000_NS6detail17trampoline_kernelINS0_14default_configENS1_20scan_config_selectorIsEEZZNS1_9scan_implILNS1_25lookback_scan_determinismE0ELb1ELb1ES3_N6thrust23THRUST_200600_302600_NS6detail15normal_iteratorINS9_10device_ptrIsEEEESE_s11max_functorIsEsEEDaPvRmT3_T4_T5_mT6_P12ihipStream_tbENKUlT_T0_E_clISt17integral_constantIbLb0EESU_EEDaSP_SQ_EUlSP_E_NS1_11comp_targetILNS1_3genE4ELNS1_11target_archE910ELNS1_3gpuE8ELNS1_3repE0EEENS1_30default_config_static_selectorELNS0_4arch9wavefront6targetE1EEEvT1_,"axG",@progbits,_ZN7rocprim17ROCPRIM_400000_NS6detail17trampoline_kernelINS0_14default_configENS1_20scan_config_selectorIsEEZZNS1_9scan_implILNS1_25lookback_scan_determinismE0ELb1ELb1ES3_N6thrust23THRUST_200600_302600_NS6detail15normal_iteratorINS9_10device_ptrIsEEEESE_s11max_functorIsEsEEDaPvRmT3_T4_T5_mT6_P12ihipStream_tbENKUlT_T0_E_clISt17integral_constantIbLb0EESU_EEDaSP_SQ_EUlSP_E_NS1_11comp_targetILNS1_3genE4ELNS1_11target_archE910ELNS1_3gpuE8ELNS1_3repE0EEENS1_30default_config_static_selectorELNS0_4arch9wavefront6targetE1EEEvT1_,comdat
	.protected	_ZN7rocprim17ROCPRIM_400000_NS6detail17trampoline_kernelINS0_14default_configENS1_20scan_config_selectorIsEEZZNS1_9scan_implILNS1_25lookback_scan_determinismE0ELb1ELb1ES3_N6thrust23THRUST_200600_302600_NS6detail15normal_iteratorINS9_10device_ptrIsEEEESE_s11max_functorIsEsEEDaPvRmT3_T4_T5_mT6_P12ihipStream_tbENKUlT_T0_E_clISt17integral_constantIbLb0EESU_EEDaSP_SQ_EUlSP_E_NS1_11comp_targetILNS1_3genE4ELNS1_11target_archE910ELNS1_3gpuE8ELNS1_3repE0EEENS1_30default_config_static_selectorELNS0_4arch9wavefront6targetE1EEEvT1_ ; -- Begin function _ZN7rocprim17ROCPRIM_400000_NS6detail17trampoline_kernelINS0_14default_configENS1_20scan_config_selectorIsEEZZNS1_9scan_implILNS1_25lookback_scan_determinismE0ELb1ELb1ES3_N6thrust23THRUST_200600_302600_NS6detail15normal_iteratorINS9_10device_ptrIsEEEESE_s11max_functorIsEsEEDaPvRmT3_T4_T5_mT6_P12ihipStream_tbENKUlT_T0_E_clISt17integral_constantIbLb0EESU_EEDaSP_SQ_EUlSP_E_NS1_11comp_targetILNS1_3genE4ELNS1_11target_archE910ELNS1_3gpuE8ELNS1_3repE0EEENS1_30default_config_static_selectorELNS0_4arch9wavefront6targetE1EEEvT1_
	.globl	_ZN7rocprim17ROCPRIM_400000_NS6detail17trampoline_kernelINS0_14default_configENS1_20scan_config_selectorIsEEZZNS1_9scan_implILNS1_25lookback_scan_determinismE0ELb1ELb1ES3_N6thrust23THRUST_200600_302600_NS6detail15normal_iteratorINS9_10device_ptrIsEEEESE_s11max_functorIsEsEEDaPvRmT3_T4_T5_mT6_P12ihipStream_tbENKUlT_T0_E_clISt17integral_constantIbLb0EESU_EEDaSP_SQ_EUlSP_E_NS1_11comp_targetILNS1_3genE4ELNS1_11target_archE910ELNS1_3gpuE8ELNS1_3repE0EEENS1_30default_config_static_selectorELNS0_4arch9wavefront6targetE1EEEvT1_
	.p2align	8
	.type	_ZN7rocprim17ROCPRIM_400000_NS6detail17trampoline_kernelINS0_14default_configENS1_20scan_config_selectorIsEEZZNS1_9scan_implILNS1_25lookback_scan_determinismE0ELb1ELb1ES3_N6thrust23THRUST_200600_302600_NS6detail15normal_iteratorINS9_10device_ptrIsEEEESE_s11max_functorIsEsEEDaPvRmT3_T4_T5_mT6_P12ihipStream_tbENKUlT_T0_E_clISt17integral_constantIbLb0EESU_EEDaSP_SQ_EUlSP_E_NS1_11comp_targetILNS1_3genE4ELNS1_11target_archE910ELNS1_3gpuE8ELNS1_3repE0EEENS1_30default_config_static_selectorELNS0_4arch9wavefront6targetE1EEEvT1_,@function
_ZN7rocprim17ROCPRIM_400000_NS6detail17trampoline_kernelINS0_14default_configENS1_20scan_config_selectorIsEEZZNS1_9scan_implILNS1_25lookback_scan_determinismE0ELb1ELb1ES3_N6thrust23THRUST_200600_302600_NS6detail15normal_iteratorINS9_10device_ptrIsEEEESE_s11max_functorIsEsEEDaPvRmT3_T4_T5_mT6_P12ihipStream_tbENKUlT_T0_E_clISt17integral_constantIbLb0EESU_EEDaSP_SQ_EUlSP_E_NS1_11comp_targetILNS1_3genE4ELNS1_11target_archE910ELNS1_3gpuE8ELNS1_3repE0EEENS1_30default_config_static_selectorELNS0_4arch9wavefront6targetE1EEEvT1_: ; @_ZN7rocprim17ROCPRIM_400000_NS6detail17trampoline_kernelINS0_14default_configENS1_20scan_config_selectorIsEEZZNS1_9scan_implILNS1_25lookback_scan_determinismE0ELb1ELb1ES3_N6thrust23THRUST_200600_302600_NS6detail15normal_iteratorINS9_10device_ptrIsEEEESE_s11max_functorIsEsEEDaPvRmT3_T4_T5_mT6_P12ihipStream_tbENKUlT_T0_E_clISt17integral_constantIbLb0EESU_EEDaSP_SQ_EUlSP_E_NS1_11comp_targetILNS1_3genE4ELNS1_11target_archE910ELNS1_3gpuE8ELNS1_3repE0EEENS1_30default_config_static_selectorELNS0_4arch9wavefront6targetE1EEEvT1_
; %bb.0:
	s_load_dwordx8 s[12:19], s[4:5], 0x0
	s_load_dword s1, s[4:5], 0x30
	s_mul_i32 s0, s6, 0x600
	v_lshlrev_b32_e32 v20, 1, v0
	s_waitcnt lgkmcnt(0)
	s_lshl_b64 s[20:21], s[14:15], 1
	s_add_u32 s27, s12, s20
	s_addc_u32 s28, s13, s21
	s_add_i32 s2, s1, -1
	s_mul_i32 s3, s2, 0x600
	s_sub_u32 s7, s18, s3
	s_subb_u32 s26, s19, 0
	s_mov_b32 s1, 0
	s_cmp_lg_u32 s6, s2
	s_cselect_b64 s[18:19], -1, 0
	s_lshl_b64 s[22:23], s[0:1], 1
	s_add_u32 s2, s27, s22
	s_addc_u32 s3, s28, s23
	s_mov_b64 s[0:1], -1
	s_and_b64 vcc, exec, s[18:19]
	s_cbranch_vccz .LBB2920_2
; %bb.1:
	v_mov_b32_e32 v1, s3
	v_add_co_u32_e32 v2, vcc, s2, v20
	v_addc_co_u32_e32 v3, vcc, 0, v1, vcc
	flat_load_ushort v1, v[2:3]
	flat_load_ushort v4, v[2:3] offset:128
	flat_load_ushort v5, v[2:3] offset:256
	;; [unrolled: 1-line block ×23, first 2 shown]
	s_mov_b64 s[0:1], 0
	s_waitcnt vmcnt(0) lgkmcnt(0)
	ds_write_b16 v20, v1
	ds_write_b16 v20, v4 offset:128
	ds_write_b16 v20, v5 offset:256
	;; [unrolled: 1-line block ×23, first 2 shown]
	s_waitcnt lgkmcnt(0)
	; wave barrier
.LBB2920_2:
	s_load_dwordx2 s[24:25], s[4:5], 0x28
	s_andn2_b64 vcc, exec, s[0:1]
	v_cmp_gt_u32_e64 s[0:1], s7, v0
	s_cbranch_vccnz .LBB2920_52
; %bb.3:
	v_pk_mov_b32 v[2:3], s[2:3], s[2:3] op_sel:[0,1]
	flat_load_ushort v1, v[2:3]
	s_waitcnt vmcnt(0) lgkmcnt(0)
	v_mov_b32_e32 v2, v1
	s_and_saveexec_b64 s[8:9], s[0:1]
	s_cbranch_execz .LBB2920_5
; %bb.4:
	v_mov_b32_e32 v3, s3
	v_add_co_u32_e32 v2, vcc, s2, v20
	v_addc_co_u32_e32 v3, vcc, 0, v3, vcc
	flat_load_ushort v2, v[2:3]
.LBB2920_5:
	s_or_b64 exec, exec, s[8:9]
	v_or_b32_e32 v3, 64, v0
	v_cmp_gt_u32_e32 vcc, s7, v3
	v_mov_b32_e32 v3, v1
	s_and_saveexec_b64 s[0:1], vcc
	s_cbranch_execz .LBB2920_7
; %bb.6:
	v_mov_b32_e32 v3, s3
	v_add_co_u32_e32 v4, vcc, s2, v20
	v_addc_co_u32_e32 v5, vcc, 0, v3, vcc
	flat_load_ushort v3, v[4:5] offset:128
.LBB2920_7:
	s_or_b64 exec, exec, s[0:1]
	v_or_b32_e32 v4, 0x80, v0
	v_cmp_gt_u32_e32 vcc, s7, v4
	v_mov_b32_e32 v4, v1
	s_and_saveexec_b64 s[0:1], vcc
	s_cbranch_execz .LBB2920_9
; %bb.8:
	v_mov_b32_e32 v5, s3
	v_add_co_u32_e32 v4, vcc, s2, v20
	v_addc_co_u32_e32 v5, vcc, 0, v5, vcc
	flat_load_ushort v4, v[4:5] offset:256
.LBB2920_9:
	s_or_b64 exec, exec, s[0:1]
	v_or_b32_e32 v5, 0xc0, v0
	v_cmp_gt_u32_e32 vcc, s7, v5
	v_mov_b32_e32 v5, v1
	s_and_saveexec_b64 s[0:1], vcc
	s_cbranch_execz .LBB2920_11
; %bb.10:
	v_mov_b32_e32 v5, s3
	v_add_co_u32_e32 v6, vcc, s2, v20
	v_addc_co_u32_e32 v7, vcc, 0, v5, vcc
	flat_load_ushort v5, v[6:7] offset:384
.LBB2920_11:
	s_or_b64 exec, exec, s[0:1]
	v_or_b32_e32 v6, 0x100, v0
	v_cmp_gt_u32_e32 vcc, s7, v6
	v_mov_b32_e32 v6, v1
	s_and_saveexec_b64 s[0:1], vcc
	s_cbranch_execz .LBB2920_13
; %bb.12:
	v_mov_b32_e32 v7, s3
	v_add_co_u32_e32 v6, vcc, s2, v20
	v_addc_co_u32_e32 v7, vcc, 0, v7, vcc
	flat_load_ushort v6, v[6:7] offset:512
.LBB2920_13:
	s_or_b64 exec, exec, s[0:1]
	v_or_b32_e32 v7, 0x140, v0
	v_cmp_gt_u32_e32 vcc, s7, v7
	v_mov_b32_e32 v7, v1
	s_and_saveexec_b64 s[0:1], vcc
	s_cbranch_execz .LBB2920_15
; %bb.14:
	v_mov_b32_e32 v7, s3
	v_add_co_u32_e32 v8, vcc, s2, v20
	v_addc_co_u32_e32 v9, vcc, 0, v7, vcc
	flat_load_ushort v7, v[8:9] offset:640
.LBB2920_15:
	s_or_b64 exec, exec, s[0:1]
	v_or_b32_e32 v8, 0x180, v0
	v_cmp_gt_u32_e32 vcc, s7, v8
	v_mov_b32_e32 v8, v1
	s_and_saveexec_b64 s[0:1], vcc
	s_cbranch_execz .LBB2920_17
; %bb.16:
	v_mov_b32_e32 v9, s3
	v_add_co_u32_e32 v8, vcc, s2, v20
	v_addc_co_u32_e32 v9, vcc, 0, v9, vcc
	flat_load_ushort v8, v[8:9] offset:768
.LBB2920_17:
	s_or_b64 exec, exec, s[0:1]
	v_or_b32_e32 v9, 0x1c0, v0
	v_cmp_gt_u32_e32 vcc, s7, v9
	v_mov_b32_e32 v9, v1
	s_and_saveexec_b64 s[0:1], vcc
	s_cbranch_execz .LBB2920_19
; %bb.18:
	v_mov_b32_e32 v9, s3
	v_add_co_u32_e32 v10, vcc, s2, v20
	v_addc_co_u32_e32 v11, vcc, 0, v9, vcc
	flat_load_ushort v9, v[10:11] offset:896
.LBB2920_19:
	s_or_b64 exec, exec, s[0:1]
	v_or_b32_e32 v10, 0x200, v0
	v_cmp_gt_u32_e32 vcc, s7, v10
	v_mov_b32_e32 v10, v1
	s_and_saveexec_b64 s[0:1], vcc
	s_cbranch_execz .LBB2920_21
; %bb.20:
	v_mov_b32_e32 v11, s3
	v_add_co_u32_e32 v10, vcc, s2, v20
	v_addc_co_u32_e32 v11, vcc, 0, v11, vcc
	flat_load_ushort v10, v[10:11] offset:1024
.LBB2920_21:
	s_or_b64 exec, exec, s[0:1]
	v_or_b32_e32 v11, 0x240, v0
	v_cmp_gt_u32_e32 vcc, s7, v11
	v_mov_b32_e32 v11, v1
	s_and_saveexec_b64 s[0:1], vcc
	s_cbranch_execz .LBB2920_23
; %bb.22:
	v_mov_b32_e32 v11, s3
	v_add_co_u32_e32 v12, vcc, s2, v20
	v_addc_co_u32_e32 v13, vcc, 0, v11, vcc
	flat_load_ushort v11, v[12:13] offset:1152
.LBB2920_23:
	s_or_b64 exec, exec, s[0:1]
	v_or_b32_e32 v12, 0x280, v0
	v_cmp_gt_u32_e32 vcc, s7, v12
	v_mov_b32_e32 v12, v1
	s_and_saveexec_b64 s[0:1], vcc
	s_cbranch_execz .LBB2920_25
; %bb.24:
	v_mov_b32_e32 v13, s3
	v_add_co_u32_e32 v12, vcc, s2, v20
	v_addc_co_u32_e32 v13, vcc, 0, v13, vcc
	flat_load_ushort v12, v[12:13] offset:1280
.LBB2920_25:
	s_or_b64 exec, exec, s[0:1]
	v_or_b32_e32 v13, 0x2c0, v0
	v_cmp_gt_u32_e32 vcc, s7, v13
	v_mov_b32_e32 v13, v1
	s_and_saveexec_b64 s[0:1], vcc
	s_cbranch_execz .LBB2920_27
; %bb.26:
	v_mov_b32_e32 v13, s3
	v_add_co_u32_e32 v14, vcc, s2, v20
	v_addc_co_u32_e32 v15, vcc, 0, v13, vcc
	flat_load_ushort v13, v[14:15] offset:1408
.LBB2920_27:
	s_or_b64 exec, exec, s[0:1]
	v_or_b32_e32 v14, 0x300, v0
	v_cmp_gt_u32_e32 vcc, s7, v14
	v_mov_b32_e32 v14, v1
	s_and_saveexec_b64 s[0:1], vcc
	s_cbranch_execz .LBB2920_29
; %bb.28:
	v_mov_b32_e32 v15, s3
	v_add_co_u32_e32 v14, vcc, s2, v20
	v_addc_co_u32_e32 v15, vcc, 0, v15, vcc
	flat_load_ushort v14, v[14:15] offset:1536
.LBB2920_29:
	s_or_b64 exec, exec, s[0:1]
	v_or_b32_e32 v15, 0x340, v0
	v_cmp_gt_u32_e32 vcc, s7, v15
	v_mov_b32_e32 v15, v1
	s_and_saveexec_b64 s[0:1], vcc
	s_cbranch_execz .LBB2920_31
; %bb.30:
	v_mov_b32_e32 v15, s3
	v_add_co_u32_e32 v16, vcc, s2, v20
	v_addc_co_u32_e32 v17, vcc, 0, v15, vcc
	flat_load_ushort v15, v[16:17] offset:1664
.LBB2920_31:
	s_or_b64 exec, exec, s[0:1]
	v_or_b32_e32 v16, 0x380, v0
	v_cmp_gt_u32_e32 vcc, s7, v16
	v_mov_b32_e32 v16, v1
	s_and_saveexec_b64 s[0:1], vcc
	s_cbranch_execz .LBB2920_33
; %bb.32:
	v_mov_b32_e32 v17, s3
	v_add_co_u32_e32 v16, vcc, s2, v20
	v_addc_co_u32_e32 v17, vcc, 0, v17, vcc
	flat_load_ushort v16, v[16:17] offset:1792
.LBB2920_33:
	s_or_b64 exec, exec, s[0:1]
	v_or_b32_e32 v17, 0x3c0, v0
	v_cmp_gt_u32_e32 vcc, s7, v17
	v_mov_b32_e32 v17, v1
	s_and_saveexec_b64 s[0:1], vcc
	s_cbranch_execz .LBB2920_35
; %bb.34:
	v_mov_b32_e32 v17, s3
	v_add_co_u32_e32 v18, vcc, s2, v20
	v_addc_co_u32_e32 v19, vcc, 0, v17, vcc
	flat_load_ushort v17, v[18:19] offset:1920
.LBB2920_35:
	s_or_b64 exec, exec, s[0:1]
	v_or_b32_e32 v18, 0x400, v0
	v_cmp_gt_u32_e32 vcc, s7, v18
	v_mov_b32_e32 v18, v1
	s_and_saveexec_b64 s[0:1], vcc
	s_cbranch_execz .LBB2920_37
; %bb.36:
	v_mov_b32_e32 v19, s3
	v_add_co_u32_e32 v18, vcc, s2, v20
	v_addc_co_u32_e32 v19, vcc, 0, v19, vcc
	flat_load_ushort v18, v[18:19] offset:2048
.LBB2920_37:
	s_or_b64 exec, exec, s[0:1]
	v_or_b32_e32 v19, 0x440, v0
	v_cmp_gt_u32_e32 vcc, s7, v19
	v_mov_b32_e32 v19, v1
	s_and_saveexec_b64 s[0:1], vcc
	s_cbranch_execz .LBB2920_39
; %bb.38:
	v_mov_b32_e32 v19, s3
	v_add_co_u32_e32 v22, vcc, s2, v20
	v_addc_co_u32_e32 v23, vcc, 0, v19, vcc
	flat_load_ushort v19, v[22:23] offset:2176
.LBB2920_39:
	s_or_b64 exec, exec, s[0:1]
	v_or_b32_e32 v21, 0x480, v0
	v_cmp_gt_u32_e32 vcc, s7, v21
	v_mov_b32_e32 v21, v1
	s_and_saveexec_b64 s[0:1], vcc
	s_cbranch_execz .LBB2920_41
; %bb.40:
	v_mov_b32_e32 v21, s3
	v_add_co_u32_e32 v22, vcc, s2, v20
	v_addc_co_u32_e32 v23, vcc, 0, v21, vcc
	flat_load_ushort v21, v[22:23] offset:2304
.LBB2920_41:
	s_or_b64 exec, exec, s[0:1]
	v_or_b32_e32 v22, 0x4c0, v0
	v_cmp_gt_u32_e32 vcc, s7, v22
	v_mov_b32_e32 v22, v1
	s_and_saveexec_b64 s[0:1], vcc
	s_cbranch_execz .LBB2920_43
; %bb.42:
	v_mov_b32_e32 v23, s3
	v_add_co_u32_e32 v22, vcc, s2, v20
	v_addc_co_u32_e32 v23, vcc, 0, v23, vcc
	flat_load_ushort v22, v[22:23] offset:2432
.LBB2920_43:
	s_or_b64 exec, exec, s[0:1]
	v_or_b32_e32 v23, 0x500, v0
	v_cmp_gt_u32_e32 vcc, s7, v23
	v_mov_b32_e32 v23, v1
	s_and_saveexec_b64 s[0:1], vcc
	s_cbranch_execz .LBB2920_45
; %bb.44:
	v_mov_b32_e32 v23, s3
	v_add_co_u32_e32 v24, vcc, s2, v20
	v_addc_co_u32_e32 v25, vcc, 0, v23, vcc
	flat_load_ushort v23, v[24:25] offset:2560
.LBB2920_45:
	s_or_b64 exec, exec, s[0:1]
	v_or_b32_e32 v24, 0x540, v0
	v_cmp_gt_u32_e32 vcc, s7, v24
	v_mov_b32_e32 v24, v1
	s_and_saveexec_b64 s[0:1], vcc
	s_cbranch_execz .LBB2920_47
; %bb.46:
	v_mov_b32_e32 v25, s3
	v_add_co_u32_e32 v24, vcc, s2, v20
	v_addc_co_u32_e32 v25, vcc, 0, v25, vcc
	flat_load_ushort v24, v[24:25] offset:2688
.LBB2920_47:
	s_or_b64 exec, exec, s[0:1]
	v_or_b32_e32 v25, 0x580, v0
	v_cmp_gt_u32_e32 vcc, s7, v25
	v_mov_b32_e32 v25, v1
	s_and_saveexec_b64 s[0:1], vcc
	s_cbranch_execz .LBB2920_49
; %bb.48:
	v_mov_b32_e32 v25, s3
	v_add_co_u32_e32 v26, vcc, s2, v20
	v_addc_co_u32_e32 v27, vcc, 0, v25, vcc
	flat_load_ushort v25, v[26:27] offset:2816
.LBB2920_49:
	s_or_b64 exec, exec, s[0:1]
	v_or_b32_e32 v26, 0x5c0, v0
	v_cmp_gt_u32_e32 vcc, s7, v26
	s_and_saveexec_b64 s[0:1], vcc
	s_cbranch_execz .LBB2920_51
; %bb.50:
	v_mov_b32_e32 v1, s3
	v_add_co_u32_e32 v26, vcc, s2, v20
	v_addc_co_u32_e32 v27, vcc, 0, v1, vcc
	flat_load_ushort v1, v[26:27] offset:2944
.LBB2920_51:
	s_or_b64 exec, exec, s[0:1]
	s_waitcnt vmcnt(0) lgkmcnt(0)
	ds_write_b16 v20, v2
	ds_write_b16 v20, v3 offset:128
	ds_write_b16 v20, v4 offset:256
	;; [unrolled: 1-line block ×23, first 2 shown]
	s_waitcnt lgkmcnt(0)
	; wave barrier
.LBB2920_52:
	v_mul_u32_u24_e32 v21, 24, v0
	v_lshlrev_b32_e32 v22, 1, v21
	s_waitcnt lgkmcnt(0)
	ds_read_b128 v[10:13], v22
	ds_read_b128 v[6:9], v22 offset:16
	ds_read_b128 v[2:5], v22 offset:32
	s_cmp_lg_u32 s6, 0
	v_mbcnt_lo_u32_b32 v33, -1, 0
	s_waitcnt lgkmcnt(2)
	v_lshrrev_b32_e32 v31, 16, v11
	v_max_i16_sdwa v14, v10, v10 dst_sel:DWORD dst_unused:UNUSED_PAD src0_sel:DWORD src1_sel:WORD_1
	v_lshrrev_b32_e32 v30, 16, v12
	v_lshrrev_b32_e32 v29, 16, v13
	s_waitcnt lgkmcnt(1)
	v_lshrrev_b32_e32 v28, 16, v6
	v_lshrrev_b32_e32 v27, 16, v7
	;; [unrolled: 1-line block ×4, first 2 shown]
	s_waitcnt lgkmcnt(0)
	v_lshrrev_b32_e32 v24, 16, v2
	v_lshrrev_b32_e32 v23, 16, v3
	;; [unrolled: 1-line block ×4, first 2 shown]
	v_max3_i16 v34, v14, v11, v31
	v_cmp_eq_u32_e32 vcc, 63, v0
	s_waitcnt lgkmcnt(0)
	; wave barrier
	s_cbranch_scc0 .LBB2920_75
; %bb.53:
	v_max3_i16 v14, v34, v12, v30
	v_max3_i16 v14, v14, v13, v29
	;; [unrolled: 1-line block ×10, first 2 shown]
	v_mbcnt_hi_u32_b32 v15, -1, v33
	v_and_b32_e32 v17, 0xffff, v14
	v_and_b32_e32 v16, 15, v15
	v_cmp_eq_u32_e64 s[0:1], 0, v16
	v_mov_b32_dpp v17, v17 row_shr:1 row_mask:0xf bank_mask:0xf
	v_max_i16_e32 v17, v17, v14
	v_cndmask_b32_e64 v14, v17, v14, s[0:1]
	v_and_b32_e32 v17, 0xffff, v14
	v_cmp_lt_u32_e64 s[0:1], 1, v16
	s_nop 0
	v_mov_b32_dpp v17, v17 row_shr:2 row_mask:0xf bank_mask:0xf
	v_max_i16_e32 v17, v17, v14
	v_cndmask_b32_e64 v14, v14, v17, s[0:1]
	v_and_b32_e32 v17, 0xffff, v14
	v_cmp_lt_u32_e64 s[0:1], 3, v16
	s_nop 0
	v_mov_b32_dpp v17, v17 row_shr:4 row_mask:0xf bank_mask:0xf
	v_max_i16_e32 v17, v17, v14
	v_cndmask_b32_e64 v14, v14, v17, s[0:1]
	v_and_b32_e32 v17, 0xffff, v14
	v_cmp_lt_u32_e64 s[0:1], 7, v16
	s_nop 0
	v_mov_b32_dpp v17, v17 row_shr:8 row_mask:0xf bank_mask:0xf
	v_max_i16_e32 v17, v17, v14
	v_cndmask_b32_e64 v14, v14, v17, s[0:1]
	v_and_b32_e32 v16, 0xffff, v14
	v_and_b32_e32 v17, 16, v15
	v_cmp_eq_u32_e64 s[0:1], 0, v17
	v_mov_b32_dpp v16, v16 row_bcast:15 row_mask:0xf bank_mask:0xf
	v_max_i16_e32 v16, v16, v14
	v_cndmask_b32_e64 v14, v16, v14, s[0:1]
	v_and_b32_e32 v16, 0xffff, v14
	v_cmp_lt_u32_e64 s[0:1], 31, v15
	s_nop 0
	v_mov_b32_dpp v16, v16 row_bcast:31 row_mask:0xf bank_mask:0xf
	v_max_i16_e32 v16, v16, v14
	v_cndmask_b32_e64 v14, v14, v16, s[0:1]
	s_and_saveexec_b64 s[0:1], vcc
	s_cbranch_execz .LBB2920_55
; %bb.54:
	v_mov_b32_e32 v16, 0
	ds_write_b16 v16, v14
.LBB2920_55:
	s_or_b64 exec, exec, s[0:1]
	v_add_u32_e32 v16, -1, v15
	v_and_b32_e32 v17, 64, v15
	v_cmp_lt_i32_e32 vcc, v16, v17
	v_cndmask_b32_e32 v16, v16, v15, vcc
	v_and_b32_e32 v14, 0xffff, v14
	v_lshlrev_b32_e32 v16, 2, v16
	ds_bpermute_b32 v35, v16, v14
	v_cmp_gt_u32_e32 vcc, 64, v0
	s_waitcnt lgkmcnt(0)
	; wave barrier
	s_waitcnt lgkmcnt(0)
	s_and_saveexec_b64 s[14:15], vcc
	s_cbranch_execz .LBB2920_74
; %bb.56:
	v_mov_b32_e32 v17, 0
	ds_read_u16 v36, v17
	s_mov_b32 s9, 0
	v_cmp_eq_u32_e64 s[0:1], 0, v15
	s_and_saveexec_b64 s[2:3], s[0:1]
	s_cbranch_execz .LBB2920_58
; %bb.57:
	s_add_i32 s8, s6, 64
	s_lshl_b64 s[8:9], s[8:9], 2
	s_add_u32 s8, s24, s8
	s_waitcnt lgkmcnt(0)
	v_or_b32_e32 v14, 0x10000, v36
	s_addc_u32 s9, s25, s9
	global_store_dword v17, v14, s[8:9]
.LBB2920_58:
	s_or_b64 exec, exec, s[2:3]
	v_xad_u32 v14, v15, -1, s6
	v_add_u32_e32 v16, 64, v14
	v_lshlrev_b64 v[18:19], 2, v[16:17]
	v_mov_b32_e32 v16, s25
	v_add_co_u32_e32 v18, vcc, s24, v18
	v_addc_co_u32_e32 v19, vcc, v16, v19, vcc
	global_load_dword v49, v[18:19], off glc
	s_waitcnt vmcnt(0)
	v_lshrrev_b32_e32 v38, 16, v49
	v_cmp_eq_u16_sdwa s[8:9], v38, v17 src0_sel:BYTE_0 src1_sel:DWORD
	s_and_saveexec_b64 s[2:3], s[8:9]
	s_cbranch_execz .LBB2920_62
; %bb.59:
	s_mov_b64 s[8:9], 0
	v_mov_b32_e32 v16, 0
.LBB2920_60:                            ; =>This Inner Loop Header: Depth=1
	global_load_dword v49, v[18:19], off glc
	s_waitcnt vmcnt(0)
	v_lshrrev_b32_e32 v38, 16, v49
	v_cmp_ne_u16_sdwa s[10:11], v38, v16 src0_sel:BYTE_0 src1_sel:DWORD
	s_or_b64 s[8:9], s[10:11], s[8:9]
	s_andn2_b64 exec, exec, s[8:9]
	s_cbranch_execnz .LBB2920_60
; %bb.61:
	s_or_b64 exec, exec, s[8:9]
.LBB2920_62:
	s_or_b64 exec, exec, s[2:3]
	v_and_b32_e32 v39, 63, v15
	v_cmp_ne_u32_e32 vcc, 63, v39
	v_mov_b32_e32 v37, 2
	v_addc_co_u32_e32 v40, vcc, 0, v15, vcc
	v_cmp_eq_u16_sdwa s[2:3], v38, v37 src0_sel:BYTE_0 src1_sel:DWORD
	v_lshlrev_b64 v[16:17], v15, -1
	v_and_b32_e32 v41, 0xffff, v49
	v_lshlrev_b32_e32 v40, 2, v40
	v_and_b32_e32 v18, s3, v17
	ds_bpermute_b32 v42, v40, v41
	v_or_b32_e32 v18, 0x80000000, v18
	v_and_b32_e32 v19, s2, v16
	v_ffbl_b32_e32 v18, v18
	v_add_u32_e32 v18, 32, v18
	v_ffbl_b32_e32 v19, v19
	v_min_u32_e32 v18, v19, v18
	s_waitcnt lgkmcnt(0)
	v_max_i16_e32 v19, v42, v49
	v_cmp_lt_u32_e32 vcc, v39, v18
	v_cmp_gt_u32_e64 s[2:3], 62, v39
	v_cndmask_b32_e32 v43, v41, v19, vcc
	v_cndmask_b32_e64 v41, 0, 1, s[2:3]
	v_lshlrev_b32_e32 v41, 1, v41
	v_add_lshl_u32 v41, v41, v15, 2
	ds_bpermute_b32 v44, v41, v43
	v_cndmask_b32_e32 v19, v49, v19, vcc
	v_add_u32_e32 v42, 2, v39
	v_cmp_gt_u32_e64 s[2:3], v42, v18
	v_cmp_gt_u32_e64 s[8:9], 60, v39
	s_waitcnt lgkmcnt(0)
	v_max_i16_e32 v44, v44, v19
	v_cndmask_b32_e64 v45, v44, v43, s[2:3]
	v_cndmask_b32_e64 v43, 0, 1, s[8:9]
	v_lshlrev_b32_e32 v43, 2, v43
	v_add_lshl_u32 v43, v43, v15, 2
	ds_bpermute_b32 v46, v43, v45
	v_cndmask_b32_e64 v19, v44, v19, s[2:3]
	v_add_u32_e32 v44, 4, v39
	v_cmp_gt_u32_e64 s[2:3], v44, v18
	v_cmp_gt_u32_e64 s[8:9], 56, v39
	s_waitcnt lgkmcnt(0)
	v_max_i16_e32 v52, v46, v19
	v_cndmask_b32_e64 v47, v52, v45, s[2:3]
	v_cndmask_b32_e64 v45, 0, 1, s[8:9]
	v_lshlrev_b32_e32 v45, 3, v45
	v_add_lshl_u32 v45, v45, v15, 2
	ds_bpermute_b32 v48, v45, v47
	v_cndmask_b32_e64 v50, v52, v19, s[2:3]
	v_add_u32_e32 v46, 8, v39
	v_cmp_gt_u32_e64 s[8:9], v46, v18
	v_cmp_gt_u32_e64 s[10:11], 48, v39
	s_waitcnt lgkmcnt(0)
	v_max_i16_e32 v53, v48, v50
	v_cndmask_b32_e64 v51, v53, v47, s[8:9]
	v_cndmask_b32_e64 v47, 0, 1, s[10:11]
	v_lshlrev_b32_e32 v47, 4, v47
	v_add_lshl_u32 v47, v47, v15, 2
	ds_bpermute_b32 v54, v47, v51
	v_cmp_gt_u32_e64 s[12:13], 32, v39
	v_cndmask_b32_e64 v55, v53, v50, s[8:9]
	v_add_u32_e32 v48, 16, v39
	v_cndmask_b32_e64 v50, 0, 1, s[12:13]
	s_waitcnt lgkmcnt(0)
	v_max_i16_e32 v54, v54, v55
	v_cmp_gt_u32_e64 s[10:11], v48, v18
	v_lshlrev_b32_e32 v50, 5, v50
	v_cndmask_b32_e64 v51, v54, v51, s[10:11]
	v_add_lshl_u32 v50, v50, v15, 2
	ds_bpermute_b32 v15, v50, v51
	v_cndmask_b32_e32 v19, v49, v19, vcc
	v_cndmask_b32_e64 v19, v52, v19, s[2:3]
	v_add_u32_e32 v51, 32, v39
	v_cndmask_b32_e64 v55, v54, v55, s[10:11]
	v_cndmask_b32_e64 v19, v53, v19, s[8:9]
	s_waitcnt lgkmcnt(0)
	v_max_i16_e32 v15, v15, v55
	v_cndmask_b32_e64 v19, v54, v19, s[10:11]
	v_cmp_gt_u32_e32 vcc, v51, v18
	v_cndmask_b32_e32 v18, v15, v19, vcc
	v_mov_b32_e32 v15, 0
	s_branch .LBB2920_64
.LBB2920_63:                            ;   in Loop: Header=BB2920_64 Depth=1
	s_or_b64 exec, exec, s[2:3]
	v_cmp_eq_u16_sdwa s[2:3], v38, v37 src0_sel:BYTE_0 src1_sel:DWORD
	v_and_b32_e32 v53, 0xffff, v52
	v_and_b32_e32 v18, s3, v17
	ds_bpermute_b32 v54, v40, v53
	v_or_b32_e32 v18, 0x80000000, v18
	v_and_b32_e32 v19, s2, v16
	v_ffbl_b32_e32 v18, v18
	v_add_u32_e32 v18, 32, v18
	v_ffbl_b32_e32 v19, v19
	v_min_u32_e32 v18, v19, v18
	s_waitcnt lgkmcnt(0)
	v_max_i16_e32 v19, v54, v52
	v_cmp_lt_u32_e32 vcc, v39, v18
	v_cndmask_b32_e32 v53, v53, v19, vcc
	ds_bpermute_b32 v54, v41, v53
	v_cndmask_b32_e32 v19, v52, v19, vcc
	v_cmp_gt_u32_e64 s[2:3], v42, v18
	v_cmp_gt_u32_e64 s[8:9], v46, v18
	v_subrev_u32_e32 v14, 64, v14
	s_waitcnt lgkmcnt(0)
	v_max_i16_e32 v54, v54, v19
	v_cndmask_b32_e64 v53, v54, v53, s[2:3]
	ds_bpermute_b32 v55, v43, v53
	v_cndmask_b32_e64 v19, v54, v19, s[2:3]
	v_cmp_gt_u32_e64 s[2:3], v44, v18
	s_waitcnt lgkmcnt(0)
	v_max_i16_e32 v54, v55, v19
	v_cndmask_b32_e64 v53, v54, v53, s[2:3]
	ds_bpermute_b32 v55, v45, v53
	v_cndmask_b32_e64 v56, v54, v19, s[2:3]
	v_cndmask_b32_e32 v19, v52, v19, vcc
	v_cmp_gt_u32_e32 vcc, v48, v18
	v_cndmask_b32_e64 v19, v54, v19, s[2:3]
	s_waitcnt lgkmcnt(0)
	v_max_i16_e32 v55, v55, v56
	v_cndmask_b32_e64 v53, v55, v53, s[8:9]
	ds_bpermute_b32 v57, v47, v53
	v_cndmask_b32_e64 v52, v55, v56, s[8:9]
	v_cndmask_b32_e64 v19, v55, v19, s[8:9]
	s_waitcnt lgkmcnt(0)
	v_max_i16_e32 v56, v57, v52
	v_cndmask_b32_e32 v53, v56, v53, vcc
	ds_bpermute_b32 v53, v50, v53
	v_cndmask_b32_e32 v52, v56, v52, vcc
	v_cndmask_b32_e32 v19, v56, v19, vcc
	v_cmp_gt_u32_e32 vcc, v51, v18
	s_waitcnt lgkmcnt(0)
	v_max_i16_e32 v52, v53, v52
	v_cndmask_b32_e32 v18, v52, v19, vcc
	v_max_i16_e32 v18, v18, v49
.LBB2920_64:                            ; =>This Loop Header: Depth=1
                                        ;     Child Loop BB2920_67 Depth 2
	v_cmp_ne_u16_sdwa s[2:3], v38, v37 src0_sel:BYTE_0 src1_sel:DWORD
	v_cndmask_b32_e64 v19, 0, 1, s[2:3]
	;;#ASMSTART
	;;#ASMEND
	v_cmp_ne_u32_e32 vcc, 0, v19
	s_cmp_lg_u64 vcc, exec
	v_mov_b32_e32 v49, v18
	s_cbranch_scc1 .LBB2920_69
; %bb.65:                               ;   in Loop: Header=BB2920_64 Depth=1
	v_lshlrev_b64 v[18:19], 2, v[14:15]
	v_mov_b32_e32 v38, s25
	v_add_co_u32_e32 v18, vcc, s24, v18
	v_addc_co_u32_e32 v19, vcc, v38, v19, vcc
	global_load_dword v52, v[18:19], off glc
	s_waitcnt vmcnt(0)
	v_lshrrev_b32_e32 v38, 16, v52
	v_cmp_eq_u16_sdwa s[8:9], v38, v15 src0_sel:BYTE_0 src1_sel:DWORD
	s_and_saveexec_b64 s[2:3], s[8:9]
	s_cbranch_execz .LBB2920_63
; %bb.66:                               ;   in Loop: Header=BB2920_64 Depth=1
	s_mov_b64 s[8:9], 0
.LBB2920_67:                            ;   Parent Loop BB2920_64 Depth=1
                                        ; =>  This Inner Loop Header: Depth=2
	global_load_dword v52, v[18:19], off glc
	s_waitcnt vmcnt(0)
	v_lshrrev_b32_e32 v38, 16, v52
	v_cmp_ne_u16_sdwa s[10:11], v38, v15 src0_sel:BYTE_0 src1_sel:DWORD
	s_or_b64 s[8:9], s[10:11], s[8:9]
	s_andn2_b64 exec, exec, s[8:9]
	s_cbranch_execnz .LBB2920_67
; %bb.68:                               ;   in Loop: Header=BB2920_64 Depth=1
	s_or_b64 exec, exec, s[8:9]
	s_branch .LBB2920_63
.LBB2920_69:                            ;   in Loop: Header=BB2920_64 Depth=1
                                        ; implicit-def: $vgpr18
                                        ; implicit-def: $vgpr38
	s_cbranch_execz .LBB2920_64
; %bb.70:
	s_and_saveexec_b64 s[2:3], s[0:1]
	s_cbranch_execz .LBB2920_72
; %bb.71:
	s_add_i32 s0, s6, 64
	s_mov_b32 s1, 0
	s_lshl_b64 s[0:1], s[0:1], 2
	v_max_i16_e32 v14, v49, v36
	s_add_u32 s0, s24, s0
	v_or_b32_e32 v14, 0x20000, v14
	s_addc_u32 s1, s25, s1
	v_mov_b32_e32 v15, 0
	global_store_dword v15, v14, s[0:1]
.LBB2920_72:
	s_or_b64 exec, exec, s[2:3]
	v_cmp_eq_u32_e32 vcc, 0, v0
	s_and_b64 exec, exec, vcc
	s_cbranch_execz .LBB2920_74
; %bb.73:
	v_mov_b32_e32 v14, 0
	ds_write_b16 v14, v49
.LBB2920_74:
	s_or_b64 exec, exec, s[14:15]
	v_mov_b32_e32 v14, 0
	s_waitcnt lgkmcnt(0)
	; wave barrier
	s_waitcnt lgkmcnt(0)
	ds_read_u16 v14, v14
	v_cmp_eq_u32_e32 vcc, 0, v0
	s_waitcnt lgkmcnt(0)
	v_max_i16_e32 v15, v14, v35
	v_cndmask_b32_e32 v15, v15, v14, vcc
	v_max_i16_e32 v14, v15, v10
	v_max_i16_sdwa v16, v14, v10 dst_sel:DWORD dst_unused:UNUSED_PAD src0_sel:DWORD src1_sel:WORD_1
	v_max_i16_e32 v17, v16, v11
	v_max_i16_e32 v18, v17, v31
	;; [unrolled: 1-line block ×21, first 2 shown]
	s_load_dwordx8 s[8:15], s[4:5], 0x38
	s_branch .LBB2920_83
.LBB2920_75:
                                        ; implicit-def: $vgpr15
                                        ; implicit-def: $vgpr14
                                        ; implicit-def: $vgpr16
                                        ; implicit-def: $vgpr17
                                        ; implicit-def: $vgpr18
                                        ; implicit-def: $vgpr35
                                        ; implicit-def: $vgpr37
                                        ; implicit-def: $vgpr39
                                        ; implicit-def: $vgpr19
                                        ; implicit-def: $vgpr36
                                        ; implicit-def: $vgpr38
                                        ; implicit-def: $vgpr40
                                        ; implicit-def: $vgpr41
                                        ; implicit-def: $vgpr43
                                        ; implicit-def: $vgpr45
                                        ; implicit-def: $vgpr47
                                        ; implicit-def: $vgpr42
                                        ; implicit-def: $vgpr44
                                        ; implicit-def: $vgpr46
                                        ; implicit-def: $vgpr48
                                        ; implicit-def: $vgpr49
                                        ; implicit-def: $vgpr50
                                        ; implicit-def: $vgpr51
                                        ; implicit-def: $vgpr52
	s_load_dwordx8 s[8:15], s[4:5], 0x38
	s_cbranch_execz .LBB2920_83
; %bb.76:
	s_load_dword s0, s[4:5], 0x20
	s_waitcnt lgkmcnt(0)
	s_cmp_eq_u64 s[12:13], 0
	v_mov_b32_e32 v52, s0
	s_cbranch_scc1 .LBB2920_78
; %bb.77:
	v_mov_b32_e32 v14, 0
	global_load_ushort v16, v14, s[8:9]
	v_mov_b32_e32 v15, s28
	v_add_co_u32_e64 v14, vcc, -2, s27
	v_addc_co_u32_e32 v15, vcc, -1, v15, vcc
	flat_load_ushort v14, v[14:15]
	s_waitcnt vmcnt(0) lgkmcnt(0)
	v_max_i16_e32 v52, v16, v14
.LBB2920_78:
	v_max3_i16 v14, v34, v12, v30
	v_max3_i16 v14, v14, v13, v29
	;; [unrolled: 1-line block ×10, first 2 shown]
	v_mbcnt_hi_u32_b32 v14, -1, v33
	v_and_b32_e32 v17, 0xffff, v15
	v_and_b32_e32 v16, 15, v14
	v_cmp_eq_u32_e32 vcc, 0, v16
	v_mov_b32_dpp v17, v17 row_shr:1 row_mask:0xf bank_mask:0xf
	v_max_i16_e32 v17, v17, v15
	v_cndmask_b32_e32 v15, v17, v15, vcc
	v_and_b32_e32 v17, 0xffff, v15
	v_cmp_lt_u32_e32 vcc, 1, v16
	s_nop 0
	v_mov_b32_dpp v17, v17 row_shr:2 row_mask:0xf bank_mask:0xf
	v_max_i16_e32 v17, v17, v15
	v_cndmask_b32_e32 v15, v15, v17, vcc
	v_and_b32_e32 v17, 0xffff, v15
	v_cmp_lt_u32_e32 vcc, 3, v16
	s_nop 0
	;; [unrolled: 6-line block ×3, first 2 shown]
	v_mov_b32_dpp v17, v17 row_shr:8 row_mask:0xf bank_mask:0xf
	v_max_i16_e32 v17, v17, v15
	v_cndmask_b32_e32 v15, v15, v17, vcc
	v_and_b32_e32 v16, 0xffff, v15
	v_and_b32_e32 v17, 16, v14
	v_cmp_eq_u32_e32 vcc, 0, v17
	v_mov_b32_dpp v16, v16 row_bcast:15 row_mask:0xf bank_mask:0xf
	v_max_i16_e32 v16, v16, v15
	v_cndmask_b32_e32 v15, v16, v15, vcc
	v_and_b32_e32 v16, 0xffff, v15
	v_cmp_lt_u32_e32 vcc, 31, v14
	s_nop 0
	v_mov_b32_dpp v16, v16 row_bcast:31 row_mask:0xf bank_mask:0xf
	v_max_i16_e32 v16, v16, v15
	v_cndmask_b32_e32 v15, v15, v16, vcc
	v_cmp_eq_u32_e32 vcc, 63, v0
	s_and_saveexec_b64 s[0:1], vcc
	s_cbranch_execz .LBB2920_80
; %bb.79:
	v_mov_b32_e32 v16, 0
	ds_write_b16 v16, v15
.LBB2920_80:
	s_or_b64 exec, exec, s[0:1]
	v_add_u32_e32 v16, -1, v14
	v_and_b32_e32 v17, 64, v14
	v_cmp_lt_i32_e32 vcc, v16, v17
	v_cndmask_b32_e32 v16, v16, v14, vcc
	v_max_i16_e32 v15, v52, v15
	v_lshlrev_b32_e32 v16, 2, v16
	ds_bpermute_b32 v15, v16, v15
	v_cmp_eq_u32_e32 vcc, 0, v14
	v_cmp_eq_u32_e64 s[0:1], 0, v0
	s_or_b64 vcc, s[0:1], vcc
	s_waitcnt lgkmcnt(0)
	v_cndmask_b32_e32 v15, v15, v52, vcc
	v_max_i16_e32 v14, v15, v10
	v_max_i16_sdwa v16, v14, v10 dst_sel:DWORD dst_unused:UNUSED_PAD src0_sel:DWORD src1_sel:WORD_1
	v_max_i16_e32 v17, v16, v11
	v_max_i16_e32 v18, v17, v31
	;; [unrolled: 1-line block ×20, first 2 shown]
	; wave barrier
	s_and_saveexec_b64 s[2:3], s[0:1]
	s_cbranch_execz .LBB2920_82
; %bb.81:
	v_mov_b32_e32 v1, 0
	ds_read_u16 v2, v1
	v_mov_b32_e32 v15, v52
	s_waitcnt lgkmcnt(0)
	v_max_i16_e32 v2, v52, v2
	v_or_b32_e32 v2, 0x20000, v2
	global_store_dword v1, v2, s[24:25] offset:256
.LBB2920_82:
	s_or_b64 exec, exec, s[2:3]
	v_max_i16_e32 v52, v51, v5
.LBB2920_83:
	s_add_u32 s0, s16, s20
	s_addc_u32 s1, s17, s21
	s_add_u32 s2, s0, s22
	s_addc_u32 s3, s1, s23
	s_mov_b64 s[0:1], -1
	s_and_b64 vcc, exec, s[18:19]
	s_waitcnt lgkmcnt(0)
	; wave barrier
	s_waitcnt lgkmcnt(0)
	s_cbranch_vccz .LBB2920_85
; %bb.84:
	s_mov_b32 s0, 0x5040100
	v_perm_b32 v5, v39, v37, s0
	v_perm_b32 v4, v35, v18, s0
	;; [unrolled: 1-line block ×4, first 2 shown]
	ds_write_b128 v22, v[2:5]
	v_perm_b32 v5, v47, v45, s0
	v_perm_b32 v4, v43, v41, s0
	;; [unrolled: 1-line block ×4, first 2 shown]
	ds_write_b128 v22, v[2:5] offset:16
	v_perm_b32 v5, v52, v51, s0
	v_perm_b32 v4, v50, v49, s0
	;; [unrolled: 1-line block ×4, first 2 shown]
	ds_write_b128 v22, v[2:5] offset:32
	s_waitcnt lgkmcnt(0)
	; wave barrier
	s_waitcnt lgkmcnt(0)
	ds_read_u16 v1, v20
	ds_read_u16 v4, v20 offset:128
	ds_read_u16 v5, v20 offset:256
	;; [unrolled: 1-line block ×23, first 2 shown]
	v_mov_b32_e32 v3, s3
	v_add_co_u32_e32 v2, vcc, s2, v20
	v_addc_co_u32_e32 v3, vcc, 0, v3, vcc
	s_waitcnt lgkmcnt(14)
	flat_store_short v[2:3], v1
	flat_store_short v[2:3], v4 offset:128
	flat_store_short v[2:3], v5 offset:256
	;; [unrolled: 1-line block ×9, first 2 shown]
	s_waitcnt lgkmcnt(0)
	flat_store_short v[2:3], v13 offset:1280
	flat_store_short v[2:3], v23 offset:1408
	;; [unrolled: 1-line block ×14, first 2 shown]
	s_mov_b64 s[0:1], 0
.LBB2920_85:
	s_andn2_b64 vcc, exec, s[0:1]
	s_cbranch_vccnz .LBB2920_142
; %bb.86:
	s_mov_b32 s0, 0x5040100
	v_perm_b32 v5, v39, v37, s0
	v_perm_b32 v4, v35, v18, s0
	;; [unrolled: 1-line block ×4, first 2 shown]
	ds_write_b128 v22, v[2:5]
	v_perm_b32 v5, v47, v45, s0
	v_perm_b32 v4, v43, v41, s0
	v_perm_b32 v3, v40, v38, s0
	v_perm_b32 v2, v36, v19, s0
	ds_write_b128 v22, v[2:5] offset:16
	v_perm_b32 v5, v52, v51, s0
	v_perm_b32 v4, v50, v49, s0
	;; [unrolled: 1-line block ×4, first 2 shown]
	s_movk_i32 s0, 0xffd2
	ds_write_b128 v22, v[2:5] offset:32
	v_mad_i32_i24 v2, v0, s0, v22
	s_waitcnt lgkmcnt(0)
	; wave barrier
	s_waitcnt lgkmcnt(0)
	ds_read_u16 v5, v2
	ds_read_u16 v4, v2 offset:128
	ds_read_u16 v7, v2 offset:256
	;; [unrolled: 1-line block ×23, first 2 shown]
	v_mov_b32_e32 v3, s3
	v_add_co_u32_e32 v2, vcc, s2, v20
	v_addc_co_u32_e32 v3, vcc, 0, v3, vcc
	v_mov_b32_e32 v1, 0
	v_cmp_gt_u32_e32 vcc, s7, v0
	s_and_saveexec_b64 s[0:1], vcc
	s_cbranch_execz .LBB2920_88
; %bb.87:
	s_waitcnt lgkmcnt(0)
	flat_store_short v[2:3], v5
.LBB2920_88:
	s_or_b64 exec, exec, s[0:1]
	v_or_b32_e32 v20, 64, v0
	v_cmp_gt_u32_e32 vcc, s7, v20
	s_and_saveexec_b64 s[0:1], vcc
	s_cbranch_execz .LBB2920_90
; %bb.89:
	s_waitcnt lgkmcnt(0)
	flat_store_short v[2:3], v4 offset:128
.LBB2920_90:
	s_or_b64 exec, exec, s[0:1]
	v_or_b32_e32 v20, 0x80, v0
	v_cmp_gt_u32_e32 vcc, s7, v20
	s_and_saveexec_b64 s[0:1], vcc
	s_cbranch_execz .LBB2920_92
; %bb.91:
	s_waitcnt lgkmcnt(0)
	flat_store_short v[2:3], v7 offset:256
.LBB2920_92:
	;; [unrolled: 9-line block ×23, first 2 shown]
	s_or_b64 exec, exec, s[0:1]
	v_cmp_lt_u64_e64 s[0:1], s[14:15], 2
	s_and_b64 vcc, exec, s[0:1]
	s_cbranch_vccnz .LBB2920_142
; %bb.135:
	s_add_u32 s0, s7, -1
	s_addc_u32 s1, s26, -1
	s_add_u32 s2, 0, 0xaaaa0000
	s_addc_u32 s3, 0, 42
	s_add_i32 s3, s3, 0xaaaaa80
	s_mul_hi_u32 s7, s2, 0xffffffe8
	s_sub_i32 s7, s7, s2
	s_mul_i32 s8, s3, 0xffffffe8
	s_mul_i32 s4, s2, 0xffffffe8
	s_add_i32 s7, s7, s8
	s_mul_hi_u32 s5, s3, s4
	s_mul_i32 s6, s3, s4
	s_mul_i32 s9, s2, s7
	s_mul_hi_u32 s4, s2, s4
	s_mul_hi_u32 s8, s2, s7
	s_add_u32 s4, s4, s9
	s_addc_u32 s8, 0, s8
	s_add_u32 s4, s4, s6
	s_mul_hi_u32 s9, s3, s7
	s_addc_u32 s4, s8, s5
	s_addc_u32 s5, s9, 0
	s_mul_i32 s6, s3, s7
	s_add_u32 s4, s4, s6
	v_mov_b32_e32 v2, s4
	s_addc_u32 s5, 0, s5
	v_add_co_u32_e32 v2, vcc, s2, v2
	s_cmp_lg_u64 vcc, 0
	s_addc_u32 s2, s3, s5
	v_readfirstlane_b32 s5, v2
	s_mul_i32 s4, s0, s2
	s_mul_hi_u32 s6, s0, s5
	s_mul_hi_u32 s3, s0, s2
	s_add_u32 s4, s6, s4
	s_addc_u32 s3, 0, s3
	s_mul_hi_u32 s7, s1, s5
	s_mul_i32 s5, s1, s5
	s_add_u32 s4, s4, s5
	s_mul_hi_u32 s6, s1, s2
	s_addc_u32 s3, s3, s7
	s_addc_u32 s4, s6, 0
	s_mul_i32 s2, s1, s2
	s_add_u32 s2, s3, s2
	s_addc_u32 s3, 0, s4
	s_add_u32 s4, s2, 1
	s_addc_u32 s5, s3, 0
	s_add_u32 s6, s2, 2
	s_mul_i32 s8, s3, 24
	s_mul_hi_u32 s9, s2, 24
	s_addc_u32 s7, s3, 0
	s_add_i32 s9, s9, s8
	s_mul_i32 s8, s2, 24
	v_mov_b32_e32 v2, s8
	v_sub_co_u32_e32 v2, vcc, s0, v2
	s_cmp_lg_u64 vcc, 0
	s_subb_u32 s8, s1, s9
	v_subrev_co_u32_e32 v3, vcc, 24, v2
	s_cmp_lg_u64 vcc, 0
	s_subb_u32 s9, s8, 0
	v_readfirstlane_b32 s12, v3
	s_cmp_gt_u32 s12, 23
	s_cselect_b32 s12, -1, 0
	s_cmp_eq_u32 s9, 0
	s_cselect_b32 s9, s12, -1
	s_cmp_lg_u32 s9, 0
	s_cselect_b32 s4, s6, s4
	v_readfirstlane_b32 s6, v2
	s_cselect_b32 s5, s7, s5
	s_cmp_gt_u32 s6, 23
	s_cselect_b32 s6, -1, 0
	s_cmp_eq_u32 s8, 0
	s_cselect_b32 s6, s6, -1
	s_cmp_lg_u32 s6, 0
	s_cselect_b32 s3, s5, s3
	s_cselect_b32 s2, s4, s2
	v_cmp_eq_u64_e32 vcc, s[2:3], v[0:1]
	s_and_saveexec_b64 s[2:3], vcc
	s_cbranch_execz .LBB2920_142
; %bb.136:
	v_mul_hi_u32_u24_e32 v1, 24, v0
	v_mov_b32_e32 v2, s1
	v_sub_co_u32_e32 v0, vcc, s0, v21
	v_subb_co_u32_e32 v1, vcc, v2, v1, vcc
	v_cmp_lt_i64_e32 vcc, 11, v[0:1]
	s_mov_b64 s[0:1], 0
	s_mov_b64 s[8:9], 0
	;; [unrolled: 1-line block ×4, first 2 shown]
	s_and_saveexec_b64 s[2:3], vcc
	s_xor_b64 s[2:3], exec, s[2:3]
	s_cbranch_execnz .LBB2920_143
; %bb.137:
	s_andn2_saveexec_b64 s[2:3], s[2:3]
	s_cbranch_execnz .LBB2920_188
.LBB2920_138:
	s_or_b64 exec, exec, s[2:3]
	s_and_saveexec_b64 s[2:3], s[8:9]
	s_cbranch_execnz .LBB2920_205
.LBB2920_139:
	s_or_b64 exec, exec, s[2:3]
	s_and_saveexec_b64 s[2:3], s[6:7]
	s_cbranch_execnz .LBB2920_206
.LBB2920_140:
	s_or_b64 exec, exec, s[2:3]
	s_and_saveexec_b64 s[2:3], s[4:5]
	s_xor_b64 s[2:3], exec, s[2:3]
	s_cbranch_execnz .LBB2920_207
.LBB2920_141:
	s_or_b64 exec, exec, s[2:3]
	s_and_b64 exec, exec, s[0:1]
	s_cbranch_execnz .LBB2920_208
.LBB2920_142:
	s_endpgm
.LBB2920_143:
	v_cmp_lt_i64_e32 vcc, 17, v[0:1]
	s_and_saveexec_b64 s[12:13], vcc
	s_xor_b64 s[12:13], exec, s[12:13]
	s_cbranch_execz .LBB2920_165
; %bb.144:
	v_cmp_lt_i64_e32 vcc, 20, v[0:1]
                                        ; implicit-def: $vgpr10
	s_and_saveexec_b64 s[14:15], vcc
	s_xor_b64 s[14:15], exec, s[14:15]
	s_cbranch_execz .LBB2920_154
; %bb.145:
	v_cmp_lt_i64_e32 vcc, 21, v[0:1]
	s_mov_b64 s[16:17], 0
                                        ; implicit-def: $vgpr10
	s_and_saveexec_b64 s[4:5], vcc
	s_xor_b64 s[4:5], exec, s[4:5]
	s_cbranch_execz .LBB2920_151
; %bb.146:
	v_cmp_lt_i64_e32 vcc, 22, v[0:1]
	s_and_saveexec_b64 s[16:17], vcc
	s_xor_b64 s[16:17], exec, s[16:17]
	s_cbranch_execz .LBB2920_148
; %bb.147:
	v_mov_b32_e32 v2, 0
	s_waitcnt lgkmcnt(0)
	global_store_short v2, v29, s[10:11]
                                        ; implicit-def: $vgpr28
.LBB2920_148:
	s_or_saveexec_b64 s[16:17], s[16:17]
	s_mov_b64 s[18:19], 0
	s_xor_b64 exec, exec, s[16:17]
; %bb.149:
	s_mov_b64 s[18:19], exec
; %bb.150:
	s_or_b64 exec, exec, s[16:17]
	s_and_b64 s[16:17], s[18:19], exec
	s_waitcnt lgkmcnt(0)
	v_mov_b32_e32 v10, v28
                                        ; implicit-def: $vgpr11
.LBB2920_151:
	s_andn2_saveexec_b64 s[4:5], s[4:5]
; %bb.152:
	s_mov_b64 s[6:7], exec
                                        ; implicit-def: $vgpr10
; %bb.153:
	s_or_b64 exec, exec, s[4:5]
	s_and_b64 s[4:5], s[16:17], exec
	s_and_b64 s[6:7], s[6:7], exec
                                        ; implicit-def: $vgpr26
                                        ; implicit-def: $vgpr12
                                        ; implicit-def: $vgpr23
.LBB2920_154:
	s_andn2_saveexec_b64 s[14:15], s[14:15]
	s_cbranch_execz .LBB2920_164
; %bb.155:
	v_cmp_lt_i64_e32 vcc, 18, v[0:1]
	s_mov_b64 s[16:17], 0
	s_and_saveexec_b64 s[8:9], vcc
	s_xor_b64 s[8:9], exec, s[8:9]
	s_cbranch_execz .LBB2920_161
; %bb.156:
	v_cmp_lt_i64_e32 vcc, 19, v[0:1]
	s_and_saveexec_b64 s[18:19], vcc
	s_xor_b64 s[18:19], exec, s[18:19]
; %bb.157:
	s_mov_b64 s[16:17], exec
                                        ; implicit-def: $vgpr23
; %bb.158:
	s_andn2_saveexec_b64 s[18:19], s[18:19]
	s_cbranch_execz .LBB2920_160
; %bb.159:
	v_mov_b32_e32 v2, 0
	s_waitcnt lgkmcnt(0)
	global_store_short v2, v23, s[10:11]
                                        ; implicit-def: $vgpr12
.LBB2920_160:
	s_or_b64 exec, exec, s[18:19]
	s_and_b64 s[16:17], s[16:17], exec
                                        ; implicit-def: $vgpr26
.LBB2920_161:
	s_andn2_saveexec_b64 s[8:9], s[8:9]
	s_cbranch_execz .LBB2920_163
; %bb.162:
	v_mov_b32_e32 v2, 0
	s_waitcnt lgkmcnt(0)
	global_store_short v2, v26, s[10:11]
                                        ; implicit-def: $vgpr12
.LBB2920_163:
	s_or_b64 exec, exec, s[8:9]
	s_and_b64 s[8:9], s[16:17], exec
                                        ; implicit-def: $vgpr10
                                        ; implicit-def: $vgpr11
.LBB2920_164:
	s_or_b64 exec, exec, s[14:15]
	s_and_b64 s[4:5], s[4:5], exec
	s_and_b64 s[6:7], s[6:7], exec
	;; [unrolled: 1-line block ×3, first 2 shown]
                                        ; implicit-def: $vgpr18
                                        ; implicit-def: $vgpr13
                                        ; implicit-def: $vgpr14
                                        ; implicit-def: $vgpr24
                                        ; implicit-def: $vgpr27
.LBB2920_165:
	s_andn2_saveexec_b64 s[12:13], s[12:13]
	s_cbranch_execz .LBB2920_187
; %bb.166:
	v_cmp_lt_i64_e32 vcc, 14, v[0:1]
	s_mov_b64 s[14:15], s[4:5]
	s_and_saveexec_b64 s[16:17], vcc
	s_xor_b64 s[16:17], exec, s[16:17]
	s_cbranch_execz .LBB2920_176
; %bb.167:
	v_cmp_lt_i64_e32 vcc, 15, v[0:1]
	s_and_saveexec_b64 s[14:15], vcc
	s_xor_b64 s[14:15], exec, s[14:15]
	s_cbranch_execz .LBB2920_173
; %bb.168:
	v_cmp_lt_i64_e32 vcc, 16, v[0:1]
	s_and_saveexec_b64 s[18:19], vcc
	s_xor_b64 s[18:19], exec, s[18:19]
	s_cbranch_execz .LBB2920_170
; %bb.169:
	v_mov_b32_e32 v2, 0
	s_waitcnt lgkmcnt(0)
	global_store_short v2, v27, s[10:11]
                                        ; implicit-def: $vgpr24
.LBB2920_170:
	s_andn2_saveexec_b64 s[18:19], s[18:19]
	s_cbranch_execz .LBB2920_172
; %bb.171:
	v_mov_b32_e32 v2, 0
	s_waitcnt lgkmcnt(0)
	global_store_short v2, v24, s[10:11]
.LBB2920_172:
	s_or_b64 exec, exec, s[18:19]
                                        ; implicit-def: $vgpr10
.LBB2920_173:
	s_or_saveexec_b64 s[14:15], s[14:15]
	s_mov_b64 s[18:19], s[4:5]
	s_xor_b64 exec, exec, s[14:15]
; %bb.174:
	s_or_b64 s[18:19], s[4:5], exec
; %bb.175:
	s_or_b64 exec, exec, s[14:15]
	s_andn2_b64 s[14:15], s[4:5], exec
	s_and_b64 s[18:19], s[18:19], exec
	s_or_b64 s[14:15], s[14:15], s[18:19]
                                        ; implicit-def: $vgpr18
                                        ; implicit-def: $vgpr13
                                        ; implicit-def: $vgpr14
.LBB2920_176:
	s_or_saveexec_b64 s[16:17], s[16:17]
	s_mov_b64 s[18:19], s[6:7]
                                        ; implicit-def: $vgpr11
	s_xor_b64 exec, exec, s[16:17]
	s_cbranch_execz .LBB2920_186
; %bb.177:
	v_cmp_lt_i64_e32 vcc, 12, v[0:1]
	s_mov_b64 s[20:21], s[6:7]
	s_mov_b64 s[22:23], s[14:15]
                                        ; implicit-def: $vgpr10
                                        ; implicit-def: $vgpr11
	s_and_saveexec_b64 s[18:19], vcc
	s_xor_b64 s[18:19], exec, s[18:19]
	s_cbranch_execz .LBB2920_183
; %bb.178:
	v_cmp_lt_i64_e32 vcc, 13, v[0:1]
	s_mov_b64 s[20:21], s[14:15]
	s_and_saveexec_b64 s[22:23], vcc
	s_xor_b64 s[22:23], exec, s[22:23]
; %bb.179:
	s_or_b64 s[20:21], s[14:15], exec
                                        ; implicit-def: $vgpr13
; %bb.180:
	s_or_saveexec_b64 s[22:23], s[22:23]
	s_mov_b64 s[24:25], s[6:7]
	s_xor_b64 exec, exec, s[22:23]
; %bb.181:
	s_or_b64 s[24:25], s[6:7], exec
                                        ; implicit-def: $vgpr14
; %bb.182:
	s_or_b64 exec, exec, s[22:23]
	s_andn2_b64 s[22:23], s[14:15], exec
	s_and_b64 s[20:21], s[20:21], exec
	s_or_b64 s[22:23], s[22:23], s[20:21]
	s_andn2_b64 s[20:21], s[6:7], exec
	s_and_b64 s[24:25], s[24:25], exec
	s_or_b64 s[20:21], s[20:21], s[24:25]
	s_waitcnt lgkmcnt(0)
	v_mov_b32_e32 v10, v14
	v_mov_b32_e32 v11, v13
                                        ; implicit-def: $vgpr18
.LBB2920_183:
	s_andn2_saveexec_b64 s[18:19], s[18:19]
	s_cbranch_execz .LBB2920_185
; %bb.184:
	s_or_b64 s[20:21], s[20:21], exec
                                        ; implicit-def: $vgpr10
	s_waitcnt lgkmcnt(0)
	v_mov_b32_e32 v11, v18
.LBB2920_185:
	s_or_b64 exec, exec, s[18:19]
	s_andn2_b64 s[14:15], s[14:15], exec
	s_and_b64 s[18:19], s[22:23], exec
	s_or_b64 s[14:15], s[14:15], s[18:19]
	s_andn2_b64 s[18:19], s[6:7], exec
	s_and_b64 s[20:21], s[20:21], exec
	s_or_b64 s[18:19], s[18:19], s[20:21]
.LBB2920_186:
	s_or_b64 exec, exec, s[16:17]
	s_andn2_b64 s[4:5], s[4:5], exec
	s_and_b64 s[14:15], s[14:15], exec
	s_or_b64 s[4:5], s[4:5], s[14:15]
	s_andn2_b64 s[6:7], s[6:7], exec
	s_and_b64 s[14:15], s[18:19], exec
	s_or_b64 s[6:7], s[6:7], s[14:15]
                                        ; implicit-def: $vgpr12
.LBB2920_187:
	s_or_b64 exec, exec, s[12:13]
	s_and_b64 s[4:5], s[4:5], exec
	s_and_b64 s[6:7], s[6:7], exec
	;; [unrolled: 1-line block ×3, first 2 shown]
                                        ; implicit-def: $vgpr17
                                        ; implicit-def: $vgpr15
                                        ; implicit-def: $vgpr16
                                        ; implicit-def: $vgpr25
                                        ; implicit-def: $vgpr22
                                        ; implicit-def: $vgpr19
	s_andn2_saveexec_b64 s[2:3], s[2:3]
	s_cbranch_execz .LBB2920_138
.LBB2920_188:
	v_cmp_lt_i64_e32 vcc, 5, v[0:1]
	s_mov_b64 s[14:15], -1
	s_mov_b64 s[12:13], s[8:9]
	s_mov_b64 s[16:17], s[6:7]
	;; [unrolled: 1-line block ×3, first 2 shown]
                                        ; implicit-def: $vgpr10
                                        ; implicit-def: $vgpr11
                                        ; implicit-def: $vgpr12
	s_and_saveexec_b64 s[0:1], vcc
	s_cbranch_execz .LBB2920_204
; %bb.189:
	v_cmp_lt_i64_e32 vcc, 8, v[0:1]
	s_mov_b64 s[12:13], s[8:9]
                                        ; implicit-def: $vgpr12
	s_and_saveexec_b64 s[14:15], vcc
	s_xor_b64 s[14:15], exec, s[14:15]
	s_cbranch_execz .LBB2920_199
; %bb.190:
	v_cmp_lt_i64_e32 vcc, 9, v[0:1]
	s_and_saveexec_b64 s[12:13], vcc
	s_xor_b64 s[12:13], exec, s[12:13]
	s_cbranch_execz .LBB2920_196
; %bb.191:
	v_cmp_lt_i64_e32 vcc, 10, v[0:1]
	s_and_saveexec_b64 s[16:17], vcc
	s_xor_b64 s[16:17], exec, s[16:17]
; %bb.192:
                                        ; implicit-def: $vgpr22
; %bb.193:
	s_andn2_saveexec_b64 s[16:17], s[16:17]
	s_cbranch_execz .LBB2920_195
; %bb.194:
	s_waitcnt lgkmcnt(0)
	v_mov_b32_e32 v19, v22
.LBB2920_195:
	s_or_b64 exec, exec, s[16:17]
                                        ; implicit-def: $vgpr25
.LBB2920_196:
	s_andn2_saveexec_b64 s[12:13], s[12:13]
	s_cbranch_execz .LBB2920_198
; %bb.197:
	s_waitcnt lgkmcnt(0)
	v_mov_b32_e32 v19, v25
.LBB2920_198:
	s_or_b64 exec, exec, s[12:13]
	s_or_b64 s[12:13], s[8:9], exec
	s_waitcnt lgkmcnt(0)
	v_mov_b32_e32 v12, v19
                                        ; implicit-def: $vgpr17
                                        ; implicit-def: $vgpr15
                                        ; implicit-def: $vgpr16
.LBB2920_199:
	s_or_saveexec_b64 s[14:15], s[14:15]
	s_mov_b64 s[16:17], s[6:7]
	s_mov_b64 s[20:21], s[4:5]
                                        ; implicit-def: $vgpr10
                                        ; implicit-def: $vgpr11
	s_xor_b64 exec, exec, s[14:15]
	s_cbranch_execz .LBB2920_203
; %bb.200:
	v_cmp_lt_i64_e32 vcc, 6, v[0:1]
	s_mov_b64 s[20:21], -1
	s_mov_b64 s[18:19], s[12:13]
	s_mov_b64 s[16:17], s[6:7]
	s_and_saveexec_b64 s[22:23], vcc
; %bb.201:
	v_cmp_lt_i64_e32 vcc, 7, v[0:1]
	s_andn2_b64 s[18:19], s[12:13], exec
	s_and_b64 s[24:25], vcc, exec
	s_xor_b64 s[20:21], exec, -1
	s_or_b64 s[16:17], s[6:7], exec
	s_or_b64 s[18:19], s[18:19], s[24:25]
                                        ; implicit-def: $vgpr17
; %bb.202:
	s_or_b64 exec, exec, s[22:23]
	s_andn2_b64 s[22:23], s[4:5], exec
	s_and_b64 s[20:21], s[20:21], exec
	s_or_b64 s[20:21], s[22:23], s[20:21]
	s_andn2_b64 s[22:23], s[6:7], exec
	s_and_b64 s[16:17], s[16:17], exec
	s_andn2_b64 s[12:13], s[12:13], exec
	s_and_b64 s[18:19], s[18:19], exec
	s_or_b64 s[16:17], s[22:23], s[16:17]
	s_or_b64 s[12:13], s[12:13], s[18:19]
	s_waitcnt lgkmcnt(0)
	v_mov_b32_e32 v10, v17
	v_mov_b32_e32 v11, v15
	;; [unrolled: 1-line block ×3, first 2 shown]
.LBB2920_203:
	s_or_b64 exec, exec, s[14:15]
	s_andn2_b64 s[18:19], s[4:5], exec
	s_and_b64 s[20:21], s[20:21], exec
	s_or_b64 s[18:19], s[18:19], s[20:21]
	s_andn2_b64 s[20:21], s[6:7], exec
	s_and_b64 s[16:17], s[16:17], exec
	s_or_b64 s[16:17], s[20:21], s[16:17]
	s_andn2_b64 s[20:21], s[8:9], exec
	s_and_b64 s[12:13], s[12:13], exec
	s_xor_b64 s[14:15], exec, -1
	s_or_b64 s[12:13], s[20:21], s[12:13]
.LBB2920_204:
	s_or_b64 exec, exec, s[0:1]
	s_and_b64 s[0:1], s[14:15], exec
	s_andn2_b64 s[4:5], s[4:5], exec
	s_and_b64 s[14:15], s[18:19], exec
	s_or_b64 s[4:5], s[4:5], s[14:15]
	s_andn2_b64 s[6:7], s[6:7], exec
	s_and_b64 s[14:15], s[16:17], exec
	s_andn2_b64 s[8:9], s[8:9], exec
	s_and_b64 s[12:13], s[12:13], exec
	s_or_b64 s[6:7], s[6:7], s[14:15]
	s_or_b64 s[8:9], s[8:9], s[12:13]
	s_or_b64 exec, exec, s[2:3]
	s_and_saveexec_b64 s[2:3], s[8:9]
	s_cbranch_execz .LBB2920_139
.LBB2920_205:
	v_mov_b32_e32 v2, 0
	s_andn2_b64 s[6:7], s[6:7], exec
	s_waitcnt lgkmcnt(0)
	global_store_short v2, v12, s[10:11]
                                        ; implicit-def: $vgpr10
                                        ; implicit-def: $vgpr11
	s_or_b64 exec, exec, s[2:3]
	s_and_saveexec_b64 s[2:3], s[6:7]
	s_cbranch_execz .LBB2920_140
.LBB2920_206:
	v_mov_b32_e32 v2, 0
	s_waitcnt lgkmcnt(0)
	global_store_short v2, v11, s[10:11]
                                        ; implicit-def: $vgpr10
	s_or_b64 exec, exec, s[2:3]
	s_and_saveexec_b64 s[2:3], s[4:5]
	s_xor_b64 s[2:3], exec, s[2:3]
	s_cbranch_execz .LBB2920_141
.LBB2920_207:
	v_mov_b32_e32 v2, 0
	s_waitcnt lgkmcnt(0)
	global_store_short v2, v10, s[10:11]
	s_or_b64 exec, exec, s[2:3]
	s_and_b64 exec, exec, s[0:1]
	s_cbranch_execz .LBB2920_142
.LBB2920_208:
	v_cmp_lt_i64_e32 vcc, 2, v[0:1]
	s_and_saveexec_b64 s[0:1], vcc
	s_xor_b64 s[0:1], exec, s[0:1]
	s_cbranch_execz .LBB2920_218
; %bb.209:
	v_cmp_lt_i64_e32 vcc, 3, v[0:1]
	s_and_saveexec_b64 s[2:3], vcc
	s_xor_b64 s[2:3], exec, s[2:3]
	s_cbranch_execz .LBB2920_215
; %bb.210:
	;; [unrolled: 5-line block ×3, first 2 shown]
	v_mov_b32_e32 v0, 0
	s_waitcnt lgkmcnt(0)
	global_store_short v0, v9, s[10:11]
                                        ; implicit-def: $vgpr6
.LBB2920_212:
	s_andn2_saveexec_b64 s[4:5], s[4:5]
	s_cbranch_execz .LBB2920_214
; %bb.213:
	v_mov_b32_e32 v0, 0
	s_waitcnt lgkmcnt(0)
	global_store_short v0, v6, s[10:11]
.LBB2920_214:
	s_or_b64 exec, exec, s[4:5]
                                        ; implicit-def: $vgpr8
.LBB2920_215:
	s_andn2_saveexec_b64 s[2:3], s[2:3]
	s_cbranch_execz .LBB2920_217
; %bb.216:
	v_mov_b32_e32 v0, 0
	s_waitcnt lgkmcnt(0)
	global_store_short v0, v8, s[10:11]
.LBB2920_217:
	s_or_b64 exec, exec, s[2:3]
                                        ; implicit-def: $vgpr0_vgpr1
                                        ; implicit-def: $vgpr7
                                        ; implicit-def: $vgpr4
                                        ; implicit-def: $vgpr5
.LBB2920_218:
	s_andn2_saveexec_b64 s[0:1], s[0:1]
	s_cbranch_execz .LBB2920_142
; %bb.219:
	v_cmp_lt_i64_e32 vcc, 1, v[0:1]
	s_and_saveexec_b64 s[0:1], vcc
	s_xor_b64 s[0:1], exec, s[0:1]
	s_cbranch_execz .LBB2920_221
; %bb.220:
	v_mov_b32_e32 v0, 0
	s_waitcnt lgkmcnt(0)
	global_store_short v0, v7, s[10:11]
                                        ; implicit-def: $vgpr4
                                        ; implicit-def: $vgpr0_vgpr1
                                        ; implicit-def: $vgpr5
.LBB2920_221:
	s_andn2_saveexec_b64 s[0:1], s[0:1]
	s_cbranch_execz .LBB2920_142
; %bb.222:
	v_cmp_ne_u64_e32 vcc, 1, v[0:1]
	s_and_saveexec_b64 s[0:1], vcc
	s_xor_b64 s[0:1], exec, s[0:1]
	s_cbranch_execz .LBB2920_224
; %bb.223:
	v_mov_b32_e32 v0, 0
	s_waitcnt lgkmcnt(0)
	global_store_short v0, v5, s[10:11]
                                        ; implicit-def: $vgpr4
.LBB2920_224:
	s_andn2_saveexec_b64 s[0:1], s[0:1]
	s_cbranch_execz .LBB2920_142
; %bb.225:
	v_mov_b32_e32 v0, 0
	s_waitcnt lgkmcnt(0)
	global_store_short v0, v4, s[10:11]
	s_endpgm
	.section	.rodata,"a",@progbits
	.p2align	6, 0x0
	.amdhsa_kernel _ZN7rocprim17ROCPRIM_400000_NS6detail17trampoline_kernelINS0_14default_configENS1_20scan_config_selectorIsEEZZNS1_9scan_implILNS1_25lookback_scan_determinismE0ELb1ELb1ES3_N6thrust23THRUST_200600_302600_NS6detail15normal_iteratorINS9_10device_ptrIsEEEESE_s11max_functorIsEsEEDaPvRmT3_T4_T5_mT6_P12ihipStream_tbENKUlT_T0_E_clISt17integral_constantIbLb0EESU_EEDaSP_SQ_EUlSP_E_NS1_11comp_targetILNS1_3genE4ELNS1_11target_archE910ELNS1_3gpuE8ELNS1_3repE0EEENS1_30default_config_static_selectorELNS0_4arch9wavefront6targetE1EEEvT1_
		.amdhsa_group_segment_fixed_size 3072
		.amdhsa_private_segment_fixed_size 0
		.amdhsa_kernarg_size 96
		.amdhsa_user_sgpr_count 6
		.amdhsa_user_sgpr_private_segment_buffer 1
		.amdhsa_user_sgpr_dispatch_ptr 0
		.amdhsa_user_sgpr_queue_ptr 0
		.amdhsa_user_sgpr_kernarg_segment_ptr 1
		.amdhsa_user_sgpr_dispatch_id 0
		.amdhsa_user_sgpr_flat_scratch_init 0
		.amdhsa_user_sgpr_kernarg_preload_length 0
		.amdhsa_user_sgpr_kernarg_preload_offset 0
		.amdhsa_user_sgpr_private_segment_size 0
		.amdhsa_uses_dynamic_stack 0
		.amdhsa_system_sgpr_private_segment_wavefront_offset 0
		.amdhsa_system_sgpr_workgroup_id_x 1
		.amdhsa_system_sgpr_workgroup_id_y 0
		.amdhsa_system_sgpr_workgroup_id_z 0
		.amdhsa_system_sgpr_workgroup_info 0
		.amdhsa_system_vgpr_workitem_id 0
		.amdhsa_next_free_vgpr 58
		.amdhsa_next_free_sgpr 29
		.amdhsa_accum_offset 60
		.amdhsa_reserve_vcc 1
		.amdhsa_reserve_flat_scratch 0
		.amdhsa_float_round_mode_32 0
		.amdhsa_float_round_mode_16_64 0
		.amdhsa_float_denorm_mode_32 3
		.amdhsa_float_denorm_mode_16_64 3
		.amdhsa_dx10_clamp 1
		.amdhsa_ieee_mode 1
		.amdhsa_fp16_overflow 0
		.amdhsa_tg_split 0
		.amdhsa_exception_fp_ieee_invalid_op 0
		.amdhsa_exception_fp_denorm_src 0
		.amdhsa_exception_fp_ieee_div_zero 0
		.amdhsa_exception_fp_ieee_overflow 0
		.amdhsa_exception_fp_ieee_underflow 0
		.amdhsa_exception_fp_ieee_inexact 0
		.amdhsa_exception_int_div_zero 0
	.end_amdhsa_kernel
	.section	.text._ZN7rocprim17ROCPRIM_400000_NS6detail17trampoline_kernelINS0_14default_configENS1_20scan_config_selectorIsEEZZNS1_9scan_implILNS1_25lookback_scan_determinismE0ELb1ELb1ES3_N6thrust23THRUST_200600_302600_NS6detail15normal_iteratorINS9_10device_ptrIsEEEESE_s11max_functorIsEsEEDaPvRmT3_T4_T5_mT6_P12ihipStream_tbENKUlT_T0_E_clISt17integral_constantIbLb0EESU_EEDaSP_SQ_EUlSP_E_NS1_11comp_targetILNS1_3genE4ELNS1_11target_archE910ELNS1_3gpuE8ELNS1_3repE0EEENS1_30default_config_static_selectorELNS0_4arch9wavefront6targetE1EEEvT1_,"axG",@progbits,_ZN7rocprim17ROCPRIM_400000_NS6detail17trampoline_kernelINS0_14default_configENS1_20scan_config_selectorIsEEZZNS1_9scan_implILNS1_25lookback_scan_determinismE0ELb1ELb1ES3_N6thrust23THRUST_200600_302600_NS6detail15normal_iteratorINS9_10device_ptrIsEEEESE_s11max_functorIsEsEEDaPvRmT3_T4_T5_mT6_P12ihipStream_tbENKUlT_T0_E_clISt17integral_constantIbLb0EESU_EEDaSP_SQ_EUlSP_E_NS1_11comp_targetILNS1_3genE4ELNS1_11target_archE910ELNS1_3gpuE8ELNS1_3repE0EEENS1_30default_config_static_selectorELNS0_4arch9wavefront6targetE1EEEvT1_,comdat
.Lfunc_end2920:
	.size	_ZN7rocprim17ROCPRIM_400000_NS6detail17trampoline_kernelINS0_14default_configENS1_20scan_config_selectorIsEEZZNS1_9scan_implILNS1_25lookback_scan_determinismE0ELb1ELb1ES3_N6thrust23THRUST_200600_302600_NS6detail15normal_iteratorINS9_10device_ptrIsEEEESE_s11max_functorIsEsEEDaPvRmT3_T4_T5_mT6_P12ihipStream_tbENKUlT_T0_E_clISt17integral_constantIbLb0EESU_EEDaSP_SQ_EUlSP_E_NS1_11comp_targetILNS1_3genE4ELNS1_11target_archE910ELNS1_3gpuE8ELNS1_3repE0EEENS1_30default_config_static_selectorELNS0_4arch9wavefront6targetE1EEEvT1_, .Lfunc_end2920-_ZN7rocprim17ROCPRIM_400000_NS6detail17trampoline_kernelINS0_14default_configENS1_20scan_config_selectorIsEEZZNS1_9scan_implILNS1_25lookback_scan_determinismE0ELb1ELb1ES3_N6thrust23THRUST_200600_302600_NS6detail15normal_iteratorINS9_10device_ptrIsEEEESE_s11max_functorIsEsEEDaPvRmT3_T4_T5_mT6_P12ihipStream_tbENKUlT_T0_E_clISt17integral_constantIbLb0EESU_EEDaSP_SQ_EUlSP_E_NS1_11comp_targetILNS1_3genE4ELNS1_11target_archE910ELNS1_3gpuE8ELNS1_3repE0EEENS1_30default_config_static_selectorELNS0_4arch9wavefront6targetE1EEEvT1_
                                        ; -- End function
	.section	.AMDGPU.csdata,"",@progbits
; Kernel info:
; codeLenInByte = 7868
; NumSgprs: 33
; NumVgprs: 58
; NumAgprs: 0
; TotalNumVgprs: 58
; ScratchSize: 0
; MemoryBound: 0
; FloatMode: 240
; IeeeMode: 1
; LDSByteSize: 3072 bytes/workgroup (compile time only)
; SGPRBlocks: 4
; VGPRBlocks: 7
; NumSGPRsForWavesPerEU: 33
; NumVGPRsForWavesPerEU: 58
; AccumOffset: 60
; Occupancy: 6
; WaveLimiterHint : 1
; COMPUTE_PGM_RSRC2:SCRATCH_EN: 0
; COMPUTE_PGM_RSRC2:USER_SGPR: 6
; COMPUTE_PGM_RSRC2:TRAP_HANDLER: 0
; COMPUTE_PGM_RSRC2:TGID_X_EN: 1
; COMPUTE_PGM_RSRC2:TGID_Y_EN: 0
; COMPUTE_PGM_RSRC2:TGID_Z_EN: 0
; COMPUTE_PGM_RSRC2:TIDIG_COMP_CNT: 0
; COMPUTE_PGM_RSRC3_GFX90A:ACCUM_OFFSET: 14
; COMPUTE_PGM_RSRC3_GFX90A:TG_SPLIT: 0
	.section	.text._ZN7rocprim17ROCPRIM_400000_NS6detail17trampoline_kernelINS0_14default_configENS1_20scan_config_selectorIsEEZZNS1_9scan_implILNS1_25lookback_scan_determinismE0ELb1ELb1ES3_N6thrust23THRUST_200600_302600_NS6detail15normal_iteratorINS9_10device_ptrIsEEEESE_s11max_functorIsEsEEDaPvRmT3_T4_T5_mT6_P12ihipStream_tbENKUlT_T0_E_clISt17integral_constantIbLb0EESU_EEDaSP_SQ_EUlSP_E_NS1_11comp_targetILNS1_3genE3ELNS1_11target_archE908ELNS1_3gpuE7ELNS1_3repE0EEENS1_30default_config_static_selectorELNS0_4arch9wavefront6targetE1EEEvT1_,"axG",@progbits,_ZN7rocprim17ROCPRIM_400000_NS6detail17trampoline_kernelINS0_14default_configENS1_20scan_config_selectorIsEEZZNS1_9scan_implILNS1_25lookback_scan_determinismE0ELb1ELb1ES3_N6thrust23THRUST_200600_302600_NS6detail15normal_iteratorINS9_10device_ptrIsEEEESE_s11max_functorIsEsEEDaPvRmT3_T4_T5_mT6_P12ihipStream_tbENKUlT_T0_E_clISt17integral_constantIbLb0EESU_EEDaSP_SQ_EUlSP_E_NS1_11comp_targetILNS1_3genE3ELNS1_11target_archE908ELNS1_3gpuE7ELNS1_3repE0EEENS1_30default_config_static_selectorELNS0_4arch9wavefront6targetE1EEEvT1_,comdat
	.protected	_ZN7rocprim17ROCPRIM_400000_NS6detail17trampoline_kernelINS0_14default_configENS1_20scan_config_selectorIsEEZZNS1_9scan_implILNS1_25lookback_scan_determinismE0ELb1ELb1ES3_N6thrust23THRUST_200600_302600_NS6detail15normal_iteratorINS9_10device_ptrIsEEEESE_s11max_functorIsEsEEDaPvRmT3_T4_T5_mT6_P12ihipStream_tbENKUlT_T0_E_clISt17integral_constantIbLb0EESU_EEDaSP_SQ_EUlSP_E_NS1_11comp_targetILNS1_3genE3ELNS1_11target_archE908ELNS1_3gpuE7ELNS1_3repE0EEENS1_30default_config_static_selectorELNS0_4arch9wavefront6targetE1EEEvT1_ ; -- Begin function _ZN7rocprim17ROCPRIM_400000_NS6detail17trampoline_kernelINS0_14default_configENS1_20scan_config_selectorIsEEZZNS1_9scan_implILNS1_25lookback_scan_determinismE0ELb1ELb1ES3_N6thrust23THRUST_200600_302600_NS6detail15normal_iteratorINS9_10device_ptrIsEEEESE_s11max_functorIsEsEEDaPvRmT3_T4_T5_mT6_P12ihipStream_tbENKUlT_T0_E_clISt17integral_constantIbLb0EESU_EEDaSP_SQ_EUlSP_E_NS1_11comp_targetILNS1_3genE3ELNS1_11target_archE908ELNS1_3gpuE7ELNS1_3repE0EEENS1_30default_config_static_selectorELNS0_4arch9wavefront6targetE1EEEvT1_
	.globl	_ZN7rocprim17ROCPRIM_400000_NS6detail17trampoline_kernelINS0_14default_configENS1_20scan_config_selectorIsEEZZNS1_9scan_implILNS1_25lookback_scan_determinismE0ELb1ELb1ES3_N6thrust23THRUST_200600_302600_NS6detail15normal_iteratorINS9_10device_ptrIsEEEESE_s11max_functorIsEsEEDaPvRmT3_T4_T5_mT6_P12ihipStream_tbENKUlT_T0_E_clISt17integral_constantIbLb0EESU_EEDaSP_SQ_EUlSP_E_NS1_11comp_targetILNS1_3genE3ELNS1_11target_archE908ELNS1_3gpuE7ELNS1_3repE0EEENS1_30default_config_static_selectorELNS0_4arch9wavefront6targetE1EEEvT1_
	.p2align	8
	.type	_ZN7rocprim17ROCPRIM_400000_NS6detail17trampoline_kernelINS0_14default_configENS1_20scan_config_selectorIsEEZZNS1_9scan_implILNS1_25lookback_scan_determinismE0ELb1ELb1ES3_N6thrust23THRUST_200600_302600_NS6detail15normal_iteratorINS9_10device_ptrIsEEEESE_s11max_functorIsEsEEDaPvRmT3_T4_T5_mT6_P12ihipStream_tbENKUlT_T0_E_clISt17integral_constantIbLb0EESU_EEDaSP_SQ_EUlSP_E_NS1_11comp_targetILNS1_3genE3ELNS1_11target_archE908ELNS1_3gpuE7ELNS1_3repE0EEENS1_30default_config_static_selectorELNS0_4arch9wavefront6targetE1EEEvT1_,@function
_ZN7rocprim17ROCPRIM_400000_NS6detail17trampoline_kernelINS0_14default_configENS1_20scan_config_selectorIsEEZZNS1_9scan_implILNS1_25lookback_scan_determinismE0ELb1ELb1ES3_N6thrust23THRUST_200600_302600_NS6detail15normal_iteratorINS9_10device_ptrIsEEEESE_s11max_functorIsEsEEDaPvRmT3_T4_T5_mT6_P12ihipStream_tbENKUlT_T0_E_clISt17integral_constantIbLb0EESU_EEDaSP_SQ_EUlSP_E_NS1_11comp_targetILNS1_3genE3ELNS1_11target_archE908ELNS1_3gpuE7ELNS1_3repE0EEENS1_30default_config_static_selectorELNS0_4arch9wavefront6targetE1EEEvT1_: ; @_ZN7rocprim17ROCPRIM_400000_NS6detail17trampoline_kernelINS0_14default_configENS1_20scan_config_selectorIsEEZZNS1_9scan_implILNS1_25lookback_scan_determinismE0ELb1ELb1ES3_N6thrust23THRUST_200600_302600_NS6detail15normal_iteratorINS9_10device_ptrIsEEEESE_s11max_functorIsEsEEDaPvRmT3_T4_T5_mT6_P12ihipStream_tbENKUlT_T0_E_clISt17integral_constantIbLb0EESU_EEDaSP_SQ_EUlSP_E_NS1_11comp_targetILNS1_3genE3ELNS1_11target_archE908ELNS1_3gpuE7ELNS1_3repE0EEENS1_30default_config_static_selectorELNS0_4arch9wavefront6targetE1EEEvT1_
; %bb.0:
	.section	.rodata,"a",@progbits
	.p2align	6, 0x0
	.amdhsa_kernel _ZN7rocprim17ROCPRIM_400000_NS6detail17trampoline_kernelINS0_14default_configENS1_20scan_config_selectorIsEEZZNS1_9scan_implILNS1_25lookback_scan_determinismE0ELb1ELb1ES3_N6thrust23THRUST_200600_302600_NS6detail15normal_iteratorINS9_10device_ptrIsEEEESE_s11max_functorIsEsEEDaPvRmT3_T4_T5_mT6_P12ihipStream_tbENKUlT_T0_E_clISt17integral_constantIbLb0EESU_EEDaSP_SQ_EUlSP_E_NS1_11comp_targetILNS1_3genE3ELNS1_11target_archE908ELNS1_3gpuE7ELNS1_3repE0EEENS1_30default_config_static_selectorELNS0_4arch9wavefront6targetE1EEEvT1_
		.amdhsa_group_segment_fixed_size 0
		.amdhsa_private_segment_fixed_size 0
		.amdhsa_kernarg_size 96
		.amdhsa_user_sgpr_count 6
		.amdhsa_user_sgpr_private_segment_buffer 1
		.amdhsa_user_sgpr_dispatch_ptr 0
		.amdhsa_user_sgpr_queue_ptr 0
		.amdhsa_user_sgpr_kernarg_segment_ptr 1
		.amdhsa_user_sgpr_dispatch_id 0
		.amdhsa_user_sgpr_flat_scratch_init 0
		.amdhsa_user_sgpr_kernarg_preload_length 0
		.amdhsa_user_sgpr_kernarg_preload_offset 0
		.amdhsa_user_sgpr_private_segment_size 0
		.amdhsa_uses_dynamic_stack 0
		.amdhsa_system_sgpr_private_segment_wavefront_offset 0
		.amdhsa_system_sgpr_workgroup_id_x 1
		.amdhsa_system_sgpr_workgroup_id_y 0
		.amdhsa_system_sgpr_workgroup_id_z 0
		.amdhsa_system_sgpr_workgroup_info 0
		.amdhsa_system_vgpr_workitem_id 0
		.amdhsa_next_free_vgpr 1
		.amdhsa_next_free_sgpr 0
		.amdhsa_accum_offset 4
		.amdhsa_reserve_vcc 0
		.amdhsa_reserve_flat_scratch 0
		.amdhsa_float_round_mode_32 0
		.amdhsa_float_round_mode_16_64 0
		.amdhsa_float_denorm_mode_32 3
		.amdhsa_float_denorm_mode_16_64 3
		.amdhsa_dx10_clamp 1
		.amdhsa_ieee_mode 1
		.amdhsa_fp16_overflow 0
		.amdhsa_tg_split 0
		.amdhsa_exception_fp_ieee_invalid_op 0
		.amdhsa_exception_fp_denorm_src 0
		.amdhsa_exception_fp_ieee_div_zero 0
		.amdhsa_exception_fp_ieee_overflow 0
		.amdhsa_exception_fp_ieee_underflow 0
		.amdhsa_exception_fp_ieee_inexact 0
		.amdhsa_exception_int_div_zero 0
	.end_amdhsa_kernel
	.section	.text._ZN7rocprim17ROCPRIM_400000_NS6detail17trampoline_kernelINS0_14default_configENS1_20scan_config_selectorIsEEZZNS1_9scan_implILNS1_25lookback_scan_determinismE0ELb1ELb1ES3_N6thrust23THRUST_200600_302600_NS6detail15normal_iteratorINS9_10device_ptrIsEEEESE_s11max_functorIsEsEEDaPvRmT3_T4_T5_mT6_P12ihipStream_tbENKUlT_T0_E_clISt17integral_constantIbLb0EESU_EEDaSP_SQ_EUlSP_E_NS1_11comp_targetILNS1_3genE3ELNS1_11target_archE908ELNS1_3gpuE7ELNS1_3repE0EEENS1_30default_config_static_selectorELNS0_4arch9wavefront6targetE1EEEvT1_,"axG",@progbits,_ZN7rocprim17ROCPRIM_400000_NS6detail17trampoline_kernelINS0_14default_configENS1_20scan_config_selectorIsEEZZNS1_9scan_implILNS1_25lookback_scan_determinismE0ELb1ELb1ES3_N6thrust23THRUST_200600_302600_NS6detail15normal_iteratorINS9_10device_ptrIsEEEESE_s11max_functorIsEsEEDaPvRmT3_T4_T5_mT6_P12ihipStream_tbENKUlT_T0_E_clISt17integral_constantIbLb0EESU_EEDaSP_SQ_EUlSP_E_NS1_11comp_targetILNS1_3genE3ELNS1_11target_archE908ELNS1_3gpuE7ELNS1_3repE0EEENS1_30default_config_static_selectorELNS0_4arch9wavefront6targetE1EEEvT1_,comdat
.Lfunc_end2921:
	.size	_ZN7rocprim17ROCPRIM_400000_NS6detail17trampoline_kernelINS0_14default_configENS1_20scan_config_selectorIsEEZZNS1_9scan_implILNS1_25lookback_scan_determinismE0ELb1ELb1ES3_N6thrust23THRUST_200600_302600_NS6detail15normal_iteratorINS9_10device_ptrIsEEEESE_s11max_functorIsEsEEDaPvRmT3_T4_T5_mT6_P12ihipStream_tbENKUlT_T0_E_clISt17integral_constantIbLb0EESU_EEDaSP_SQ_EUlSP_E_NS1_11comp_targetILNS1_3genE3ELNS1_11target_archE908ELNS1_3gpuE7ELNS1_3repE0EEENS1_30default_config_static_selectorELNS0_4arch9wavefront6targetE1EEEvT1_, .Lfunc_end2921-_ZN7rocprim17ROCPRIM_400000_NS6detail17trampoline_kernelINS0_14default_configENS1_20scan_config_selectorIsEEZZNS1_9scan_implILNS1_25lookback_scan_determinismE0ELb1ELb1ES3_N6thrust23THRUST_200600_302600_NS6detail15normal_iteratorINS9_10device_ptrIsEEEESE_s11max_functorIsEsEEDaPvRmT3_T4_T5_mT6_P12ihipStream_tbENKUlT_T0_E_clISt17integral_constantIbLb0EESU_EEDaSP_SQ_EUlSP_E_NS1_11comp_targetILNS1_3genE3ELNS1_11target_archE908ELNS1_3gpuE7ELNS1_3repE0EEENS1_30default_config_static_selectorELNS0_4arch9wavefront6targetE1EEEvT1_
                                        ; -- End function
	.section	.AMDGPU.csdata,"",@progbits
; Kernel info:
; codeLenInByte = 0
; NumSgprs: 4
; NumVgprs: 0
; NumAgprs: 0
; TotalNumVgprs: 0
; ScratchSize: 0
; MemoryBound: 0
; FloatMode: 240
; IeeeMode: 1
; LDSByteSize: 0 bytes/workgroup (compile time only)
; SGPRBlocks: 0
; VGPRBlocks: 0
; NumSGPRsForWavesPerEU: 4
; NumVGPRsForWavesPerEU: 1
; AccumOffset: 4
; Occupancy: 8
; WaveLimiterHint : 0
; COMPUTE_PGM_RSRC2:SCRATCH_EN: 0
; COMPUTE_PGM_RSRC2:USER_SGPR: 6
; COMPUTE_PGM_RSRC2:TRAP_HANDLER: 0
; COMPUTE_PGM_RSRC2:TGID_X_EN: 1
; COMPUTE_PGM_RSRC2:TGID_Y_EN: 0
; COMPUTE_PGM_RSRC2:TGID_Z_EN: 0
; COMPUTE_PGM_RSRC2:TIDIG_COMP_CNT: 0
; COMPUTE_PGM_RSRC3_GFX90A:ACCUM_OFFSET: 0
; COMPUTE_PGM_RSRC3_GFX90A:TG_SPLIT: 0
	.section	.text._ZN7rocprim17ROCPRIM_400000_NS6detail17trampoline_kernelINS0_14default_configENS1_20scan_config_selectorIsEEZZNS1_9scan_implILNS1_25lookback_scan_determinismE0ELb1ELb1ES3_N6thrust23THRUST_200600_302600_NS6detail15normal_iteratorINS9_10device_ptrIsEEEESE_s11max_functorIsEsEEDaPvRmT3_T4_T5_mT6_P12ihipStream_tbENKUlT_T0_E_clISt17integral_constantIbLb0EESU_EEDaSP_SQ_EUlSP_E_NS1_11comp_targetILNS1_3genE2ELNS1_11target_archE906ELNS1_3gpuE6ELNS1_3repE0EEENS1_30default_config_static_selectorELNS0_4arch9wavefront6targetE1EEEvT1_,"axG",@progbits,_ZN7rocprim17ROCPRIM_400000_NS6detail17trampoline_kernelINS0_14default_configENS1_20scan_config_selectorIsEEZZNS1_9scan_implILNS1_25lookback_scan_determinismE0ELb1ELb1ES3_N6thrust23THRUST_200600_302600_NS6detail15normal_iteratorINS9_10device_ptrIsEEEESE_s11max_functorIsEsEEDaPvRmT3_T4_T5_mT6_P12ihipStream_tbENKUlT_T0_E_clISt17integral_constantIbLb0EESU_EEDaSP_SQ_EUlSP_E_NS1_11comp_targetILNS1_3genE2ELNS1_11target_archE906ELNS1_3gpuE6ELNS1_3repE0EEENS1_30default_config_static_selectorELNS0_4arch9wavefront6targetE1EEEvT1_,comdat
	.protected	_ZN7rocprim17ROCPRIM_400000_NS6detail17trampoline_kernelINS0_14default_configENS1_20scan_config_selectorIsEEZZNS1_9scan_implILNS1_25lookback_scan_determinismE0ELb1ELb1ES3_N6thrust23THRUST_200600_302600_NS6detail15normal_iteratorINS9_10device_ptrIsEEEESE_s11max_functorIsEsEEDaPvRmT3_T4_T5_mT6_P12ihipStream_tbENKUlT_T0_E_clISt17integral_constantIbLb0EESU_EEDaSP_SQ_EUlSP_E_NS1_11comp_targetILNS1_3genE2ELNS1_11target_archE906ELNS1_3gpuE6ELNS1_3repE0EEENS1_30default_config_static_selectorELNS0_4arch9wavefront6targetE1EEEvT1_ ; -- Begin function _ZN7rocprim17ROCPRIM_400000_NS6detail17trampoline_kernelINS0_14default_configENS1_20scan_config_selectorIsEEZZNS1_9scan_implILNS1_25lookback_scan_determinismE0ELb1ELb1ES3_N6thrust23THRUST_200600_302600_NS6detail15normal_iteratorINS9_10device_ptrIsEEEESE_s11max_functorIsEsEEDaPvRmT3_T4_T5_mT6_P12ihipStream_tbENKUlT_T0_E_clISt17integral_constantIbLb0EESU_EEDaSP_SQ_EUlSP_E_NS1_11comp_targetILNS1_3genE2ELNS1_11target_archE906ELNS1_3gpuE6ELNS1_3repE0EEENS1_30default_config_static_selectorELNS0_4arch9wavefront6targetE1EEEvT1_
	.globl	_ZN7rocprim17ROCPRIM_400000_NS6detail17trampoline_kernelINS0_14default_configENS1_20scan_config_selectorIsEEZZNS1_9scan_implILNS1_25lookback_scan_determinismE0ELb1ELb1ES3_N6thrust23THRUST_200600_302600_NS6detail15normal_iteratorINS9_10device_ptrIsEEEESE_s11max_functorIsEsEEDaPvRmT3_T4_T5_mT6_P12ihipStream_tbENKUlT_T0_E_clISt17integral_constantIbLb0EESU_EEDaSP_SQ_EUlSP_E_NS1_11comp_targetILNS1_3genE2ELNS1_11target_archE906ELNS1_3gpuE6ELNS1_3repE0EEENS1_30default_config_static_selectorELNS0_4arch9wavefront6targetE1EEEvT1_
	.p2align	8
	.type	_ZN7rocprim17ROCPRIM_400000_NS6detail17trampoline_kernelINS0_14default_configENS1_20scan_config_selectorIsEEZZNS1_9scan_implILNS1_25lookback_scan_determinismE0ELb1ELb1ES3_N6thrust23THRUST_200600_302600_NS6detail15normal_iteratorINS9_10device_ptrIsEEEESE_s11max_functorIsEsEEDaPvRmT3_T4_T5_mT6_P12ihipStream_tbENKUlT_T0_E_clISt17integral_constantIbLb0EESU_EEDaSP_SQ_EUlSP_E_NS1_11comp_targetILNS1_3genE2ELNS1_11target_archE906ELNS1_3gpuE6ELNS1_3repE0EEENS1_30default_config_static_selectorELNS0_4arch9wavefront6targetE1EEEvT1_,@function
_ZN7rocprim17ROCPRIM_400000_NS6detail17trampoline_kernelINS0_14default_configENS1_20scan_config_selectorIsEEZZNS1_9scan_implILNS1_25lookback_scan_determinismE0ELb1ELb1ES3_N6thrust23THRUST_200600_302600_NS6detail15normal_iteratorINS9_10device_ptrIsEEEESE_s11max_functorIsEsEEDaPvRmT3_T4_T5_mT6_P12ihipStream_tbENKUlT_T0_E_clISt17integral_constantIbLb0EESU_EEDaSP_SQ_EUlSP_E_NS1_11comp_targetILNS1_3genE2ELNS1_11target_archE906ELNS1_3gpuE6ELNS1_3repE0EEENS1_30default_config_static_selectorELNS0_4arch9wavefront6targetE1EEEvT1_: ; @_ZN7rocprim17ROCPRIM_400000_NS6detail17trampoline_kernelINS0_14default_configENS1_20scan_config_selectorIsEEZZNS1_9scan_implILNS1_25lookback_scan_determinismE0ELb1ELb1ES3_N6thrust23THRUST_200600_302600_NS6detail15normal_iteratorINS9_10device_ptrIsEEEESE_s11max_functorIsEsEEDaPvRmT3_T4_T5_mT6_P12ihipStream_tbENKUlT_T0_E_clISt17integral_constantIbLb0EESU_EEDaSP_SQ_EUlSP_E_NS1_11comp_targetILNS1_3genE2ELNS1_11target_archE906ELNS1_3gpuE6ELNS1_3repE0EEENS1_30default_config_static_selectorELNS0_4arch9wavefront6targetE1EEEvT1_
; %bb.0:
	.section	.rodata,"a",@progbits
	.p2align	6, 0x0
	.amdhsa_kernel _ZN7rocprim17ROCPRIM_400000_NS6detail17trampoline_kernelINS0_14default_configENS1_20scan_config_selectorIsEEZZNS1_9scan_implILNS1_25lookback_scan_determinismE0ELb1ELb1ES3_N6thrust23THRUST_200600_302600_NS6detail15normal_iteratorINS9_10device_ptrIsEEEESE_s11max_functorIsEsEEDaPvRmT3_T4_T5_mT6_P12ihipStream_tbENKUlT_T0_E_clISt17integral_constantIbLb0EESU_EEDaSP_SQ_EUlSP_E_NS1_11comp_targetILNS1_3genE2ELNS1_11target_archE906ELNS1_3gpuE6ELNS1_3repE0EEENS1_30default_config_static_selectorELNS0_4arch9wavefront6targetE1EEEvT1_
		.amdhsa_group_segment_fixed_size 0
		.amdhsa_private_segment_fixed_size 0
		.amdhsa_kernarg_size 96
		.amdhsa_user_sgpr_count 6
		.amdhsa_user_sgpr_private_segment_buffer 1
		.amdhsa_user_sgpr_dispatch_ptr 0
		.amdhsa_user_sgpr_queue_ptr 0
		.amdhsa_user_sgpr_kernarg_segment_ptr 1
		.amdhsa_user_sgpr_dispatch_id 0
		.amdhsa_user_sgpr_flat_scratch_init 0
		.amdhsa_user_sgpr_kernarg_preload_length 0
		.amdhsa_user_sgpr_kernarg_preload_offset 0
		.amdhsa_user_sgpr_private_segment_size 0
		.amdhsa_uses_dynamic_stack 0
		.amdhsa_system_sgpr_private_segment_wavefront_offset 0
		.amdhsa_system_sgpr_workgroup_id_x 1
		.amdhsa_system_sgpr_workgroup_id_y 0
		.amdhsa_system_sgpr_workgroup_id_z 0
		.amdhsa_system_sgpr_workgroup_info 0
		.amdhsa_system_vgpr_workitem_id 0
		.amdhsa_next_free_vgpr 1
		.amdhsa_next_free_sgpr 0
		.amdhsa_accum_offset 4
		.amdhsa_reserve_vcc 0
		.amdhsa_reserve_flat_scratch 0
		.amdhsa_float_round_mode_32 0
		.amdhsa_float_round_mode_16_64 0
		.amdhsa_float_denorm_mode_32 3
		.amdhsa_float_denorm_mode_16_64 3
		.amdhsa_dx10_clamp 1
		.amdhsa_ieee_mode 1
		.amdhsa_fp16_overflow 0
		.amdhsa_tg_split 0
		.amdhsa_exception_fp_ieee_invalid_op 0
		.amdhsa_exception_fp_denorm_src 0
		.amdhsa_exception_fp_ieee_div_zero 0
		.amdhsa_exception_fp_ieee_overflow 0
		.amdhsa_exception_fp_ieee_underflow 0
		.amdhsa_exception_fp_ieee_inexact 0
		.amdhsa_exception_int_div_zero 0
	.end_amdhsa_kernel
	.section	.text._ZN7rocprim17ROCPRIM_400000_NS6detail17trampoline_kernelINS0_14default_configENS1_20scan_config_selectorIsEEZZNS1_9scan_implILNS1_25lookback_scan_determinismE0ELb1ELb1ES3_N6thrust23THRUST_200600_302600_NS6detail15normal_iteratorINS9_10device_ptrIsEEEESE_s11max_functorIsEsEEDaPvRmT3_T4_T5_mT6_P12ihipStream_tbENKUlT_T0_E_clISt17integral_constantIbLb0EESU_EEDaSP_SQ_EUlSP_E_NS1_11comp_targetILNS1_3genE2ELNS1_11target_archE906ELNS1_3gpuE6ELNS1_3repE0EEENS1_30default_config_static_selectorELNS0_4arch9wavefront6targetE1EEEvT1_,"axG",@progbits,_ZN7rocprim17ROCPRIM_400000_NS6detail17trampoline_kernelINS0_14default_configENS1_20scan_config_selectorIsEEZZNS1_9scan_implILNS1_25lookback_scan_determinismE0ELb1ELb1ES3_N6thrust23THRUST_200600_302600_NS6detail15normal_iteratorINS9_10device_ptrIsEEEESE_s11max_functorIsEsEEDaPvRmT3_T4_T5_mT6_P12ihipStream_tbENKUlT_T0_E_clISt17integral_constantIbLb0EESU_EEDaSP_SQ_EUlSP_E_NS1_11comp_targetILNS1_3genE2ELNS1_11target_archE906ELNS1_3gpuE6ELNS1_3repE0EEENS1_30default_config_static_selectorELNS0_4arch9wavefront6targetE1EEEvT1_,comdat
.Lfunc_end2922:
	.size	_ZN7rocprim17ROCPRIM_400000_NS6detail17trampoline_kernelINS0_14default_configENS1_20scan_config_selectorIsEEZZNS1_9scan_implILNS1_25lookback_scan_determinismE0ELb1ELb1ES3_N6thrust23THRUST_200600_302600_NS6detail15normal_iteratorINS9_10device_ptrIsEEEESE_s11max_functorIsEsEEDaPvRmT3_T4_T5_mT6_P12ihipStream_tbENKUlT_T0_E_clISt17integral_constantIbLb0EESU_EEDaSP_SQ_EUlSP_E_NS1_11comp_targetILNS1_3genE2ELNS1_11target_archE906ELNS1_3gpuE6ELNS1_3repE0EEENS1_30default_config_static_selectorELNS0_4arch9wavefront6targetE1EEEvT1_, .Lfunc_end2922-_ZN7rocprim17ROCPRIM_400000_NS6detail17trampoline_kernelINS0_14default_configENS1_20scan_config_selectorIsEEZZNS1_9scan_implILNS1_25lookback_scan_determinismE0ELb1ELb1ES3_N6thrust23THRUST_200600_302600_NS6detail15normal_iteratorINS9_10device_ptrIsEEEESE_s11max_functorIsEsEEDaPvRmT3_T4_T5_mT6_P12ihipStream_tbENKUlT_T0_E_clISt17integral_constantIbLb0EESU_EEDaSP_SQ_EUlSP_E_NS1_11comp_targetILNS1_3genE2ELNS1_11target_archE906ELNS1_3gpuE6ELNS1_3repE0EEENS1_30default_config_static_selectorELNS0_4arch9wavefront6targetE1EEEvT1_
                                        ; -- End function
	.section	.AMDGPU.csdata,"",@progbits
; Kernel info:
; codeLenInByte = 0
; NumSgprs: 4
; NumVgprs: 0
; NumAgprs: 0
; TotalNumVgprs: 0
; ScratchSize: 0
; MemoryBound: 0
; FloatMode: 240
; IeeeMode: 1
; LDSByteSize: 0 bytes/workgroup (compile time only)
; SGPRBlocks: 0
; VGPRBlocks: 0
; NumSGPRsForWavesPerEU: 4
; NumVGPRsForWavesPerEU: 1
; AccumOffset: 4
; Occupancy: 8
; WaveLimiterHint : 0
; COMPUTE_PGM_RSRC2:SCRATCH_EN: 0
; COMPUTE_PGM_RSRC2:USER_SGPR: 6
; COMPUTE_PGM_RSRC2:TRAP_HANDLER: 0
; COMPUTE_PGM_RSRC2:TGID_X_EN: 1
; COMPUTE_PGM_RSRC2:TGID_Y_EN: 0
; COMPUTE_PGM_RSRC2:TGID_Z_EN: 0
; COMPUTE_PGM_RSRC2:TIDIG_COMP_CNT: 0
; COMPUTE_PGM_RSRC3_GFX90A:ACCUM_OFFSET: 0
; COMPUTE_PGM_RSRC3_GFX90A:TG_SPLIT: 0
	.section	.text._ZN7rocprim17ROCPRIM_400000_NS6detail17trampoline_kernelINS0_14default_configENS1_20scan_config_selectorIsEEZZNS1_9scan_implILNS1_25lookback_scan_determinismE0ELb1ELb1ES3_N6thrust23THRUST_200600_302600_NS6detail15normal_iteratorINS9_10device_ptrIsEEEESE_s11max_functorIsEsEEDaPvRmT3_T4_T5_mT6_P12ihipStream_tbENKUlT_T0_E_clISt17integral_constantIbLb0EESU_EEDaSP_SQ_EUlSP_E_NS1_11comp_targetILNS1_3genE10ELNS1_11target_archE1201ELNS1_3gpuE5ELNS1_3repE0EEENS1_30default_config_static_selectorELNS0_4arch9wavefront6targetE1EEEvT1_,"axG",@progbits,_ZN7rocprim17ROCPRIM_400000_NS6detail17trampoline_kernelINS0_14default_configENS1_20scan_config_selectorIsEEZZNS1_9scan_implILNS1_25lookback_scan_determinismE0ELb1ELb1ES3_N6thrust23THRUST_200600_302600_NS6detail15normal_iteratorINS9_10device_ptrIsEEEESE_s11max_functorIsEsEEDaPvRmT3_T4_T5_mT6_P12ihipStream_tbENKUlT_T0_E_clISt17integral_constantIbLb0EESU_EEDaSP_SQ_EUlSP_E_NS1_11comp_targetILNS1_3genE10ELNS1_11target_archE1201ELNS1_3gpuE5ELNS1_3repE0EEENS1_30default_config_static_selectorELNS0_4arch9wavefront6targetE1EEEvT1_,comdat
	.protected	_ZN7rocprim17ROCPRIM_400000_NS6detail17trampoline_kernelINS0_14default_configENS1_20scan_config_selectorIsEEZZNS1_9scan_implILNS1_25lookback_scan_determinismE0ELb1ELb1ES3_N6thrust23THRUST_200600_302600_NS6detail15normal_iteratorINS9_10device_ptrIsEEEESE_s11max_functorIsEsEEDaPvRmT3_T4_T5_mT6_P12ihipStream_tbENKUlT_T0_E_clISt17integral_constantIbLb0EESU_EEDaSP_SQ_EUlSP_E_NS1_11comp_targetILNS1_3genE10ELNS1_11target_archE1201ELNS1_3gpuE5ELNS1_3repE0EEENS1_30default_config_static_selectorELNS0_4arch9wavefront6targetE1EEEvT1_ ; -- Begin function _ZN7rocprim17ROCPRIM_400000_NS6detail17trampoline_kernelINS0_14default_configENS1_20scan_config_selectorIsEEZZNS1_9scan_implILNS1_25lookback_scan_determinismE0ELb1ELb1ES3_N6thrust23THRUST_200600_302600_NS6detail15normal_iteratorINS9_10device_ptrIsEEEESE_s11max_functorIsEsEEDaPvRmT3_T4_T5_mT6_P12ihipStream_tbENKUlT_T0_E_clISt17integral_constantIbLb0EESU_EEDaSP_SQ_EUlSP_E_NS1_11comp_targetILNS1_3genE10ELNS1_11target_archE1201ELNS1_3gpuE5ELNS1_3repE0EEENS1_30default_config_static_selectorELNS0_4arch9wavefront6targetE1EEEvT1_
	.globl	_ZN7rocprim17ROCPRIM_400000_NS6detail17trampoline_kernelINS0_14default_configENS1_20scan_config_selectorIsEEZZNS1_9scan_implILNS1_25lookback_scan_determinismE0ELb1ELb1ES3_N6thrust23THRUST_200600_302600_NS6detail15normal_iteratorINS9_10device_ptrIsEEEESE_s11max_functorIsEsEEDaPvRmT3_T4_T5_mT6_P12ihipStream_tbENKUlT_T0_E_clISt17integral_constantIbLb0EESU_EEDaSP_SQ_EUlSP_E_NS1_11comp_targetILNS1_3genE10ELNS1_11target_archE1201ELNS1_3gpuE5ELNS1_3repE0EEENS1_30default_config_static_selectorELNS0_4arch9wavefront6targetE1EEEvT1_
	.p2align	8
	.type	_ZN7rocprim17ROCPRIM_400000_NS6detail17trampoline_kernelINS0_14default_configENS1_20scan_config_selectorIsEEZZNS1_9scan_implILNS1_25lookback_scan_determinismE0ELb1ELb1ES3_N6thrust23THRUST_200600_302600_NS6detail15normal_iteratorINS9_10device_ptrIsEEEESE_s11max_functorIsEsEEDaPvRmT3_T4_T5_mT6_P12ihipStream_tbENKUlT_T0_E_clISt17integral_constantIbLb0EESU_EEDaSP_SQ_EUlSP_E_NS1_11comp_targetILNS1_3genE10ELNS1_11target_archE1201ELNS1_3gpuE5ELNS1_3repE0EEENS1_30default_config_static_selectorELNS0_4arch9wavefront6targetE1EEEvT1_,@function
_ZN7rocprim17ROCPRIM_400000_NS6detail17trampoline_kernelINS0_14default_configENS1_20scan_config_selectorIsEEZZNS1_9scan_implILNS1_25lookback_scan_determinismE0ELb1ELb1ES3_N6thrust23THRUST_200600_302600_NS6detail15normal_iteratorINS9_10device_ptrIsEEEESE_s11max_functorIsEsEEDaPvRmT3_T4_T5_mT6_P12ihipStream_tbENKUlT_T0_E_clISt17integral_constantIbLb0EESU_EEDaSP_SQ_EUlSP_E_NS1_11comp_targetILNS1_3genE10ELNS1_11target_archE1201ELNS1_3gpuE5ELNS1_3repE0EEENS1_30default_config_static_selectorELNS0_4arch9wavefront6targetE1EEEvT1_: ; @_ZN7rocprim17ROCPRIM_400000_NS6detail17trampoline_kernelINS0_14default_configENS1_20scan_config_selectorIsEEZZNS1_9scan_implILNS1_25lookback_scan_determinismE0ELb1ELb1ES3_N6thrust23THRUST_200600_302600_NS6detail15normal_iteratorINS9_10device_ptrIsEEEESE_s11max_functorIsEsEEDaPvRmT3_T4_T5_mT6_P12ihipStream_tbENKUlT_T0_E_clISt17integral_constantIbLb0EESU_EEDaSP_SQ_EUlSP_E_NS1_11comp_targetILNS1_3genE10ELNS1_11target_archE1201ELNS1_3gpuE5ELNS1_3repE0EEENS1_30default_config_static_selectorELNS0_4arch9wavefront6targetE1EEEvT1_
; %bb.0:
	.section	.rodata,"a",@progbits
	.p2align	6, 0x0
	.amdhsa_kernel _ZN7rocprim17ROCPRIM_400000_NS6detail17trampoline_kernelINS0_14default_configENS1_20scan_config_selectorIsEEZZNS1_9scan_implILNS1_25lookback_scan_determinismE0ELb1ELb1ES3_N6thrust23THRUST_200600_302600_NS6detail15normal_iteratorINS9_10device_ptrIsEEEESE_s11max_functorIsEsEEDaPvRmT3_T4_T5_mT6_P12ihipStream_tbENKUlT_T0_E_clISt17integral_constantIbLb0EESU_EEDaSP_SQ_EUlSP_E_NS1_11comp_targetILNS1_3genE10ELNS1_11target_archE1201ELNS1_3gpuE5ELNS1_3repE0EEENS1_30default_config_static_selectorELNS0_4arch9wavefront6targetE1EEEvT1_
		.amdhsa_group_segment_fixed_size 0
		.amdhsa_private_segment_fixed_size 0
		.amdhsa_kernarg_size 96
		.amdhsa_user_sgpr_count 6
		.amdhsa_user_sgpr_private_segment_buffer 1
		.amdhsa_user_sgpr_dispatch_ptr 0
		.amdhsa_user_sgpr_queue_ptr 0
		.amdhsa_user_sgpr_kernarg_segment_ptr 1
		.amdhsa_user_sgpr_dispatch_id 0
		.amdhsa_user_sgpr_flat_scratch_init 0
		.amdhsa_user_sgpr_kernarg_preload_length 0
		.amdhsa_user_sgpr_kernarg_preload_offset 0
		.amdhsa_user_sgpr_private_segment_size 0
		.amdhsa_uses_dynamic_stack 0
		.amdhsa_system_sgpr_private_segment_wavefront_offset 0
		.amdhsa_system_sgpr_workgroup_id_x 1
		.amdhsa_system_sgpr_workgroup_id_y 0
		.amdhsa_system_sgpr_workgroup_id_z 0
		.amdhsa_system_sgpr_workgroup_info 0
		.amdhsa_system_vgpr_workitem_id 0
		.amdhsa_next_free_vgpr 1
		.amdhsa_next_free_sgpr 0
		.amdhsa_accum_offset 4
		.amdhsa_reserve_vcc 0
		.amdhsa_reserve_flat_scratch 0
		.amdhsa_float_round_mode_32 0
		.amdhsa_float_round_mode_16_64 0
		.amdhsa_float_denorm_mode_32 3
		.amdhsa_float_denorm_mode_16_64 3
		.amdhsa_dx10_clamp 1
		.amdhsa_ieee_mode 1
		.amdhsa_fp16_overflow 0
		.amdhsa_tg_split 0
		.amdhsa_exception_fp_ieee_invalid_op 0
		.amdhsa_exception_fp_denorm_src 0
		.amdhsa_exception_fp_ieee_div_zero 0
		.amdhsa_exception_fp_ieee_overflow 0
		.amdhsa_exception_fp_ieee_underflow 0
		.amdhsa_exception_fp_ieee_inexact 0
		.amdhsa_exception_int_div_zero 0
	.end_amdhsa_kernel
	.section	.text._ZN7rocprim17ROCPRIM_400000_NS6detail17trampoline_kernelINS0_14default_configENS1_20scan_config_selectorIsEEZZNS1_9scan_implILNS1_25lookback_scan_determinismE0ELb1ELb1ES3_N6thrust23THRUST_200600_302600_NS6detail15normal_iteratorINS9_10device_ptrIsEEEESE_s11max_functorIsEsEEDaPvRmT3_T4_T5_mT6_P12ihipStream_tbENKUlT_T0_E_clISt17integral_constantIbLb0EESU_EEDaSP_SQ_EUlSP_E_NS1_11comp_targetILNS1_3genE10ELNS1_11target_archE1201ELNS1_3gpuE5ELNS1_3repE0EEENS1_30default_config_static_selectorELNS0_4arch9wavefront6targetE1EEEvT1_,"axG",@progbits,_ZN7rocprim17ROCPRIM_400000_NS6detail17trampoline_kernelINS0_14default_configENS1_20scan_config_selectorIsEEZZNS1_9scan_implILNS1_25lookback_scan_determinismE0ELb1ELb1ES3_N6thrust23THRUST_200600_302600_NS6detail15normal_iteratorINS9_10device_ptrIsEEEESE_s11max_functorIsEsEEDaPvRmT3_T4_T5_mT6_P12ihipStream_tbENKUlT_T0_E_clISt17integral_constantIbLb0EESU_EEDaSP_SQ_EUlSP_E_NS1_11comp_targetILNS1_3genE10ELNS1_11target_archE1201ELNS1_3gpuE5ELNS1_3repE0EEENS1_30default_config_static_selectorELNS0_4arch9wavefront6targetE1EEEvT1_,comdat
.Lfunc_end2923:
	.size	_ZN7rocprim17ROCPRIM_400000_NS6detail17trampoline_kernelINS0_14default_configENS1_20scan_config_selectorIsEEZZNS1_9scan_implILNS1_25lookback_scan_determinismE0ELb1ELb1ES3_N6thrust23THRUST_200600_302600_NS6detail15normal_iteratorINS9_10device_ptrIsEEEESE_s11max_functorIsEsEEDaPvRmT3_T4_T5_mT6_P12ihipStream_tbENKUlT_T0_E_clISt17integral_constantIbLb0EESU_EEDaSP_SQ_EUlSP_E_NS1_11comp_targetILNS1_3genE10ELNS1_11target_archE1201ELNS1_3gpuE5ELNS1_3repE0EEENS1_30default_config_static_selectorELNS0_4arch9wavefront6targetE1EEEvT1_, .Lfunc_end2923-_ZN7rocprim17ROCPRIM_400000_NS6detail17trampoline_kernelINS0_14default_configENS1_20scan_config_selectorIsEEZZNS1_9scan_implILNS1_25lookback_scan_determinismE0ELb1ELb1ES3_N6thrust23THRUST_200600_302600_NS6detail15normal_iteratorINS9_10device_ptrIsEEEESE_s11max_functorIsEsEEDaPvRmT3_T4_T5_mT6_P12ihipStream_tbENKUlT_T0_E_clISt17integral_constantIbLb0EESU_EEDaSP_SQ_EUlSP_E_NS1_11comp_targetILNS1_3genE10ELNS1_11target_archE1201ELNS1_3gpuE5ELNS1_3repE0EEENS1_30default_config_static_selectorELNS0_4arch9wavefront6targetE1EEEvT1_
                                        ; -- End function
	.section	.AMDGPU.csdata,"",@progbits
; Kernel info:
; codeLenInByte = 0
; NumSgprs: 4
; NumVgprs: 0
; NumAgprs: 0
; TotalNumVgprs: 0
; ScratchSize: 0
; MemoryBound: 0
; FloatMode: 240
; IeeeMode: 1
; LDSByteSize: 0 bytes/workgroup (compile time only)
; SGPRBlocks: 0
; VGPRBlocks: 0
; NumSGPRsForWavesPerEU: 4
; NumVGPRsForWavesPerEU: 1
; AccumOffset: 4
; Occupancy: 8
; WaveLimiterHint : 0
; COMPUTE_PGM_RSRC2:SCRATCH_EN: 0
; COMPUTE_PGM_RSRC2:USER_SGPR: 6
; COMPUTE_PGM_RSRC2:TRAP_HANDLER: 0
; COMPUTE_PGM_RSRC2:TGID_X_EN: 1
; COMPUTE_PGM_RSRC2:TGID_Y_EN: 0
; COMPUTE_PGM_RSRC2:TGID_Z_EN: 0
; COMPUTE_PGM_RSRC2:TIDIG_COMP_CNT: 0
; COMPUTE_PGM_RSRC3_GFX90A:ACCUM_OFFSET: 0
; COMPUTE_PGM_RSRC3_GFX90A:TG_SPLIT: 0
	.section	.text._ZN7rocprim17ROCPRIM_400000_NS6detail17trampoline_kernelINS0_14default_configENS1_20scan_config_selectorIsEEZZNS1_9scan_implILNS1_25lookback_scan_determinismE0ELb1ELb1ES3_N6thrust23THRUST_200600_302600_NS6detail15normal_iteratorINS9_10device_ptrIsEEEESE_s11max_functorIsEsEEDaPvRmT3_T4_T5_mT6_P12ihipStream_tbENKUlT_T0_E_clISt17integral_constantIbLb0EESU_EEDaSP_SQ_EUlSP_E_NS1_11comp_targetILNS1_3genE10ELNS1_11target_archE1200ELNS1_3gpuE4ELNS1_3repE0EEENS1_30default_config_static_selectorELNS0_4arch9wavefront6targetE1EEEvT1_,"axG",@progbits,_ZN7rocprim17ROCPRIM_400000_NS6detail17trampoline_kernelINS0_14default_configENS1_20scan_config_selectorIsEEZZNS1_9scan_implILNS1_25lookback_scan_determinismE0ELb1ELb1ES3_N6thrust23THRUST_200600_302600_NS6detail15normal_iteratorINS9_10device_ptrIsEEEESE_s11max_functorIsEsEEDaPvRmT3_T4_T5_mT6_P12ihipStream_tbENKUlT_T0_E_clISt17integral_constantIbLb0EESU_EEDaSP_SQ_EUlSP_E_NS1_11comp_targetILNS1_3genE10ELNS1_11target_archE1200ELNS1_3gpuE4ELNS1_3repE0EEENS1_30default_config_static_selectorELNS0_4arch9wavefront6targetE1EEEvT1_,comdat
	.protected	_ZN7rocprim17ROCPRIM_400000_NS6detail17trampoline_kernelINS0_14default_configENS1_20scan_config_selectorIsEEZZNS1_9scan_implILNS1_25lookback_scan_determinismE0ELb1ELb1ES3_N6thrust23THRUST_200600_302600_NS6detail15normal_iteratorINS9_10device_ptrIsEEEESE_s11max_functorIsEsEEDaPvRmT3_T4_T5_mT6_P12ihipStream_tbENKUlT_T0_E_clISt17integral_constantIbLb0EESU_EEDaSP_SQ_EUlSP_E_NS1_11comp_targetILNS1_3genE10ELNS1_11target_archE1200ELNS1_3gpuE4ELNS1_3repE0EEENS1_30default_config_static_selectorELNS0_4arch9wavefront6targetE1EEEvT1_ ; -- Begin function _ZN7rocprim17ROCPRIM_400000_NS6detail17trampoline_kernelINS0_14default_configENS1_20scan_config_selectorIsEEZZNS1_9scan_implILNS1_25lookback_scan_determinismE0ELb1ELb1ES3_N6thrust23THRUST_200600_302600_NS6detail15normal_iteratorINS9_10device_ptrIsEEEESE_s11max_functorIsEsEEDaPvRmT3_T4_T5_mT6_P12ihipStream_tbENKUlT_T0_E_clISt17integral_constantIbLb0EESU_EEDaSP_SQ_EUlSP_E_NS1_11comp_targetILNS1_3genE10ELNS1_11target_archE1200ELNS1_3gpuE4ELNS1_3repE0EEENS1_30default_config_static_selectorELNS0_4arch9wavefront6targetE1EEEvT1_
	.globl	_ZN7rocprim17ROCPRIM_400000_NS6detail17trampoline_kernelINS0_14default_configENS1_20scan_config_selectorIsEEZZNS1_9scan_implILNS1_25lookback_scan_determinismE0ELb1ELb1ES3_N6thrust23THRUST_200600_302600_NS6detail15normal_iteratorINS9_10device_ptrIsEEEESE_s11max_functorIsEsEEDaPvRmT3_T4_T5_mT6_P12ihipStream_tbENKUlT_T0_E_clISt17integral_constantIbLb0EESU_EEDaSP_SQ_EUlSP_E_NS1_11comp_targetILNS1_3genE10ELNS1_11target_archE1200ELNS1_3gpuE4ELNS1_3repE0EEENS1_30default_config_static_selectorELNS0_4arch9wavefront6targetE1EEEvT1_
	.p2align	8
	.type	_ZN7rocprim17ROCPRIM_400000_NS6detail17trampoline_kernelINS0_14default_configENS1_20scan_config_selectorIsEEZZNS1_9scan_implILNS1_25lookback_scan_determinismE0ELb1ELb1ES3_N6thrust23THRUST_200600_302600_NS6detail15normal_iteratorINS9_10device_ptrIsEEEESE_s11max_functorIsEsEEDaPvRmT3_T4_T5_mT6_P12ihipStream_tbENKUlT_T0_E_clISt17integral_constantIbLb0EESU_EEDaSP_SQ_EUlSP_E_NS1_11comp_targetILNS1_3genE10ELNS1_11target_archE1200ELNS1_3gpuE4ELNS1_3repE0EEENS1_30default_config_static_selectorELNS0_4arch9wavefront6targetE1EEEvT1_,@function
_ZN7rocprim17ROCPRIM_400000_NS6detail17trampoline_kernelINS0_14default_configENS1_20scan_config_selectorIsEEZZNS1_9scan_implILNS1_25lookback_scan_determinismE0ELb1ELb1ES3_N6thrust23THRUST_200600_302600_NS6detail15normal_iteratorINS9_10device_ptrIsEEEESE_s11max_functorIsEsEEDaPvRmT3_T4_T5_mT6_P12ihipStream_tbENKUlT_T0_E_clISt17integral_constantIbLb0EESU_EEDaSP_SQ_EUlSP_E_NS1_11comp_targetILNS1_3genE10ELNS1_11target_archE1200ELNS1_3gpuE4ELNS1_3repE0EEENS1_30default_config_static_selectorELNS0_4arch9wavefront6targetE1EEEvT1_: ; @_ZN7rocprim17ROCPRIM_400000_NS6detail17trampoline_kernelINS0_14default_configENS1_20scan_config_selectorIsEEZZNS1_9scan_implILNS1_25lookback_scan_determinismE0ELb1ELb1ES3_N6thrust23THRUST_200600_302600_NS6detail15normal_iteratorINS9_10device_ptrIsEEEESE_s11max_functorIsEsEEDaPvRmT3_T4_T5_mT6_P12ihipStream_tbENKUlT_T0_E_clISt17integral_constantIbLb0EESU_EEDaSP_SQ_EUlSP_E_NS1_11comp_targetILNS1_3genE10ELNS1_11target_archE1200ELNS1_3gpuE4ELNS1_3repE0EEENS1_30default_config_static_selectorELNS0_4arch9wavefront6targetE1EEEvT1_
; %bb.0:
	.section	.rodata,"a",@progbits
	.p2align	6, 0x0
	.amdhsa_kernel _ZN7rocprim17ROCPRIM_400000_NS6detail17trampoline_kernelINS0_14default_configENS1_20scan_config_selectorIsEEZZNS1_9scan_implILNS1_25lookback_scan_determinismE0ELb1ELb1ES3_N6thrust23THRUST_200600_302600_NS6detail15normal_iteratorINS9_10device_ptrIsEEEESE_s11max_functorIsEsEEDaPvRmT3_T4_T5_mT6_P12ihipStream_tbENKUlT_T0_E_clISt17integral_constantIbLb0EESU_EEDaSP_SQ_EUlSP_E_NS1_11comp_targetILNS1_3genE10ELNS1_11target_archE1200ELNS1_3gpuE4ELNS1_3repE0EEENS1_30default_config_static_selectorELNS0_4arch9wavefront6targetE1EEEvT1_
		.amdhsa_group_segment_fixed_size 0
		.amdhsa_private_segment_fixed_size 0
		.amdhsa_kernarg_size 96
		.amdhsa_user_sgpr_count 6
		.amdhsa_user_sgpr_private_segment_buffer 1
		.amdhsa_user_sgpr_dispatch_ptr 0
		.amdhsa_user_sgpr_queue_ptr 0
		.amdhsa_user_sgpr_kernarg_segment_ptr 1
		.amdhsa_user_sgpr_dispatch_id 0
		.amdhsa_user_sgpr_flat_scratch_init 0
		.amdhsa_user_sgpr_kernarg_preload_length 0
		.amdhsa_user_sgpr_kernarg_preload_offset 0
		.amdhsa_user_sgpr_private_segment_size 0
		.amdhsa_uses_dynamic_stack 0
		.amdhsa_system_sgpr_private_segment_wavefront_offset 0
		.amdhsa_system_sgpr_workgroup_id_x 1
		.amdhsa_system_sgpr_workgroup_id_y 0
		.amdhsa_system_sgpr_workgroup_id_z 0
		.amdhsa_system_sgpr_workgroup_info 0
		.amdhsa_system_vgpr_workitem_id 0
		.amdhsa_next_free_vgpr 1
		.amdhsa_next_free_sgpr 0
		.amdhsa_accum_offset 4
		.amdhsa_reserve_vcc 0
		.amdhsa_reserve_flat_scratch 0
		.amdhsa_float_round_mode_32 0
		.amdhsa_float_round_mode_16_64 0
		.amdhsa_float_denorm_mode_32 3
		.amdhsa_float_denorm_mode_16_64 3
		.amdhsa_dx10_clamp 1
		.amdhsa_ieee_mode 1
		.amdhsa_fp16_overflow 0
		.amdhsa_tg_split 0
		.amdhsa_exception_fp_ieee_invalid_op 0
		.amdhsa_exception_fp_denorm_src 0
		.amdhsa_exception_fp_ieee_div_zero 0
		.amdhsa_exception_fp_ieee_overflow 0
		.amdhsa_exception_fp_ieee_underflow 0
		.amdhsa_exception_fp_ieee_inexact 0
		.amdhsa_exception_int_div_zero 0
	.end_amdhsa_kernel
	.section	.text._ZN7rocprim17ROCPRIM_400000_NS6detail17trampoline_kernelINS0_14default_configENS1_20scan_config_selectorIsEEZZNS1_9scan_implILNS1_25lookback_scan_determinismE0ELb1ELb1ES3_N6thrust23THRUST_200600_302600_NS6detail15normal_iteratorINS9_10device_ptrIsEEEESE_s11max_functorIsEsEEDaPvRmT3_T4_T5_mT6_P12ihipStream_tbENKUlT_T0_E_clISt17integral_constantIbLb0EESU_EEDaSP_SQ_EUlSP_E_NS1_11comp_targetILNS1_3genE10ELNS1_11target_archE1200ELNS1_3gpuE4ELNS1_3repE0EEENS1_30default_config_static_selectorELNS0_4arch9wavefront6targetE1EEEvT1_,"axG",@progbits,_ZN7rocprim17ROCPRIM_400000_NS6detail17trampoline_kernelINS0_14default_configENS1_20scan_config_selectorIsEEZZNS1_9scan_implILNS1_25lookback_scan_determinismE0ELb1ELb1ES3_N6thrust23THRUST_200600_302600_NS6detail15normal_iteratorINS9_10device_ptrIsEEEESE_s11max_functorIsEsEEDaPvRmT3_T4_T5_mT6_P12ihipStream_tbENKUlT_T0_E_clISt17integral_constantIbLb0EESU_EEDaSP_SQ_EUlSP_E_NS1_11comp_targetILNS1_3genE10ELNS1_11target_archE1200ELNS1_3gpuE4ELNS1_3repE0EEENS1_30default_config_static_selectorELNS0_4arch9wavefront6targetE1EEEvT1_,comdat
.Lfunc_end2924:
	.size	_ZN7rocprim17ROCPRIM_400000_NS6detail17trampoline_kernelINS0_14default_configENS1_20scan_config_selectorIsEEZZNS1_9scan_implILNS1_25lookback_scan_determinismE0ELb1ELb1ES3_N6thrust23THRUST_200600_302600_NS6detail15normal_iteratorINS9_10device_ptrIsEEEESE_s11max_functorIsEsEEDaPvRmT3_T4_T5_mT6_P12ihipStream_tbENKUlT_T0_E_clISt17integral_constantIbLb0EESU_EEDaSP_SQ_EUlSP_E_NS1_11comp_targetILNS1_3genE10ELNS1_11target_archE1200ELNS1_3gpuE4ELNS1_3repE0EEENS1_30default_config_static_selectorELNS0_4arch9wavefront6targetE1EEEvT1_, .Lfunc_end2924-_ZN7rocprim17ROCPRIM_400000_NS6detail17trampoline_kernelINS0_14default_configENS1_20scan_config_selectorIsEEZZNS1_9scan_implILNS1_25lookback_scan_determinismE0ELb1ELb1ES3_N6thrust23THRUST_200600_302600_NS6detail15normal_iteratorINS9_10device_ptrIsEEEESE_s11max_functorIsEsEEDaPvRmT3_T4_T5_mT6_P12ihipStream_tbENKUlT_T0_E_clISt17integral_constantIbLb0EESU_EEDaSP_SQ_EUlSP_E_NS1_11comp_targetILNS1_3genE10ELNS1_11target_archE1200ELNS1_3gpuE4ELNS1_3repE0EEENS1_30default_config_static_selectorELNS0_4arch9wavefront6targetE1EEEvT1_
                                        ; -- End function
	.section	.AMDGPU.csdata,"",@progbits
; Kernel info:
; codeLenInByte = 0
; NumSgprs: 4
; NumVgprs: 0
; NumAgprs: 0
; TotalNumVgprs: 0
; ScratchSize: 0
; MemoryBound: 0
; FloatMode: 240
; IeeeMode: 1
; LDSByteSize: 0 bytes/workgroup (compile time only)
; SGPRBlocks: 0
; VGPRBlocks: 0
; NumSGPRsForWavesPerEU: 4
; NumVGPRsForWavesPerEU: 1
; AccumOffset: 4
; Occupancy: 8
; WaveLimiterHint : 0
; COMPUTE_PGM_RSRC2:SCRATCH_EN: 0
; COMPUTE_PGM_RSRC2:USER_SGPR: 6
; COMPUTE_PGM_RSRC2:TRAP_HANDLER: 0
; COMPUTE_PGM_RSRC2:TGID_X_EN: 1
; COMPUTE_PGM_RSRC2:TGID_Y_EN: 0
; COMPUTE_PGM_RSRC2:TGID_Z_EN: 0
; COMPUTE_PGM_RSRC2:TIDIG_COMP_CNT: 0
; COMPUTE_PGM_RSRC3_GFX90A:ACCUM_OFFSET: 0
; COMPUTE_PGM_RSRC3_GFX90A:TG_SPLIT: 0
	.section	.text._ZN7rocprim17ROCPRIM_400000_NS6detail17trampoline_kernelINS0_14default_configENS1_20scan_config_selectorIsEEZZNS1_9scan_implILNS1_25lookback_scan_determinismE0ELb1ELb1ES3_N6thrust23THRUST_200600_302600_NS6detail15normal_iteratorINS9_10device_ptrIsEEEESE_s11max_functorIsEsEEDaPvRmT3_T4_T5_mT6_P12ihipStream_tbENKUlT_T0_E_clISt17integral_constantIbLb0EESU_EEDaSP_SQ_EUlSP_E_NS1_11comp_targetILNS1_3genE9ELNS1_11target_archE1100ELNS1_3gpuE3ELNS1_3repE0EEENS1_30default_config_static_selectorELNS0_4arch9wavefront6targetE1EEEvT1_,"axG",@progbits,_ZN7rocprim17ROCPRIM_400000_NS6detail17trampoline_kernelINS0_14default_configENS1_20scan_config_selectorIsEEZZNS1_9scan_implILNS1_25lookback_scan_determinismE0ELb1ELb1ES3_N6thrust23THRUST_200600_302600_NS6detail15normal_iteratorINS9_10device_ptrIsEEEESE_s11max_functorIsEsEEDaPvRmT3_T4_T5_mT6_P12ihipStream_tbENKUlT_T0_E_clISt17integral_constantIbLb0EESU_EEDaSP_SQ_EUlSP_E_NS1_11comp_targetILNS1_3genE9ELNS1_11target_archE1100ELNS1_3gpuE3ELNS1_3repE0EEENS1_30default_config_static_selectorELNS0_4arch9wavefront6targetE1EEEvT1_,comdat
	.protected	_ZN7rocprim17ROCPRIM_400000_NS6detail17trampoline_kernelINS0_14default_configENS1_20scan_config_selectorIsEEZZNS1_9scan_implILNS1_25lookback_scan_determinismE0ELb1ELb1ES3_N6thrust23THRUST_200600_302600_NS6detail15normal_iteratorINS9_10device_ptrIsEEEESE_s11max_functorIsEsEEDaPvRmT3_T4_T5_mT6_P12ihipStream_tbENKUlT_T0_E_clISt17integral_constantIbLb0EESU_EEDaSP_SQ_EUlSP_E_NS1_11comp_targetILNS1_3genE9ELNS1_11target_archE1100ELNS1_3gpuE3ELNS1_3repE0EEENS1_30default_config_static_selectorELNS0_4arch9wavefront6targetE1EEEvT1_ ; -- Begin function _ZN7rocprim17ROCPRIM_400000_NS6detail17trampoline_kernelINS0_14default_configENS1_20scan_config_selectorIsEEZZNS1_9scan_implILNS1_25lookback_scan_determinismE0ELb1ELb1ES3_N6thrust23THRUST_200600_302600_NS6detail15normal_iteratorINS9_10device_ptrIsEEEESE_s11max_functorIsEsEEDaPvRmT3_T4_T5_mT6_P12ihipStream_tbENKUlT_T0_E_clISt17integral_constantIbLb0EESU_EEDaSP_SQ_EUlSP_E_NS1_11comp_targetILNS1_3genE9ELNS1_11target_archE1100ELNS1_3gpuE3ELNS1_3repE0EEENS1_30default_config_static_selectorELNS0_4arch9wavefront6targetE1EEEvT1_
	.globl	_ZN7rocprim17ROCPRIM_400000_NS6detail17trampoline_kernelINS0_14default_configENS1_20scan_config_selectorIsEEZZNS1_9scan_implILNS1_25lookback_scan_determinismE0ELb1ELb1ES3_N6thrust23THRUST_200600_302600_NS6detail15normal_iteratorINS9_10device_ptrIsEEEESE_s11max_functorIsEsEEDaPvRmT3_T4_T5_mT6_P12ihipStream_tbENKUlT_T0_E_clISt17integral_constantIbLb0EESU_EEDaSP_SQ_EUlSP_E_NS1_11comp_targetILNS1_3genE9ELNS1_11target_archE1100ELNS1_3gpuE3ELNS1_3repE0EEENS1_30default_config_static_selectorELNS0_4arch9wavefront6targetE1EEEvT1_
	.p2align	8
	.type	_ZN7rocprim17ROCPRIM_400000_NS6detail17trampoline_kernelINS0_14default_configENS1_20scan_config_selectorIsEEZZNS1_9scan_implILNS1_25lookback_scan_determinismE0ELb1ELb1ES3_N6thrust23THRUST_200600_302600_NS6detail15normal_iteratorINS9_10device_ptrIsEEEESE_s11max_functorIsEsEEDaPvRmT3_T4_T5_mT6_P12ihipStream_tbENKUlT_T0_E_clISt17integral_constantIbLb0EESU_EEDaSP_SQ_EUlSP_E_NS1_11comp_targetILNS1_3genE9ELNS1_11target_archE1100ELNS1_3gpuE3ELNS1_3repE0EEENS1_30default_config_static_selectorELNS0_4arch9wavefront6targetE1EEEvT1_,@function
_ZN7rocprim17ROCPRIM_400000_NS6detail17trampoline_kernelINS0_14default_configENS1_20scan_config_selectorIsEEZZNS1_9scan_implILNS1_25lookback_scan_determinismE0ELb1ELb1ES3_N6thrust23THRUST_200600_302600_NS6detail15normal_iteratorINS9_10device_ptrIsEEEESE_s11max_functorIsEsEEDaPvRmT3_T4_T5_mT6_P12ihipStream_tbENKUlT_T0_E_clISt17integral_constantIbLb0EESU_EEDaSP_SQ_EUlSP_E_NS1_11comp_targetILNS1_3genE9ELNS1_11target_archE1100ELNS1_3gpuE3ELNS1_3repE0EEENS1_30default_config_static_selectorELNS0_4arch9wavefront6targetE1EEEvT1_: ; @_ZN7rocprim17ROCPRIM_400000_NS6detail17trampoline_kernelINS0_14default_configENS1_20scan_config_selectorIsEEZZNS1_9scan_implILNS1_25lookback_scan_determinismE0ELb1ELb1ES3_N6thrust23THRUST_200600_302600_NS6detail15normal_iteratorINS9_10device_ptrIsEEEESE_s11max_functorIsEsEEDaPvRmT3_T4_T5_mT6_P12ihipStream_tbENKUlT_T0_E_clISt17integral_constantIbLb0EESU_EEDaSP_SQ_EUlSP_E_NS1_11comp_targetILNS1_3genE9ELNS1_11target_archE1100ELNS1_3gpuE3ELNS1_3repE0EEENS1_30default_config_static_selectorELNS0_4arch9wavefront6targetE1EEEvT1_
; %bb.0:
	.section	.rodata,"a",@progbits
	.p2align	6, 0x0
	.amdhsa_kernel _ZN7rocprim17ROCPRIM_400000_NS6detail17trampoline_kernelINS0_14default_configENS1_20scan_config_selectorIsEEZZNS1_9scan_implILNS1_25lookback_scan_determinismE0ELb1ELb1ES3_N6thrust23THRUST_200600_302600_NS6detail15normal_iteratorINS9_10device_ptrIsEEEESE_s11max_functorIsEsEEDaPvRmT3_T4_T5_mT6_P12ihipStream_tbENKUlT_T0_E_clISt17integral_constantIbLb0EESU_EEDaSP_SQ_EUlSP_E_NS1_11comp_targetILNS1_3genE9ELNS1_11target_archE1100ELNS1_3gpuE3ELNS1_3repE0EEENS1_30default_config_static_selectorELNS0_4arch9wavefront6targetE1EEEvT1_
		.amdhsa_group_segment_fixed_size 0
		.amdhsa_private_segment_fixed_size 0
		.amdhsa_kernarg_size 96
		.amdhsa_user_sgpr_count 6
		.amdhsa_user_sgpr_private_segment_buffer 1
		.amdhsa_user_sgpr_dispatch_ptr 0
		.amdhsa_user_sgpr_queue_ptr 0
		.amdhsa_user_sgpr_kernarg_segment_ptr 1
		.amdhsa_user_sgpr_dispatch_id 0
		.amdhsa_user_sgpr_flat_scratch_init 0
		.amdhsa_user_sgpr_kernarg_preload_length 0
		.amdhsa_user_sgpr_kernarg_preload_offset 0
		.amdhsa_user_sgpr_private_segment_size 0
		.amdhsa_uses_dynamic_stack 0
		.amdhsa_system_sgpr_private_segment_wavefront_offset 0
		.amdhsa_system_sgpr_workgroup_id_x 1
		.amdhsa_system_sgpr_workgroup_id_y 0
		.amdhsa_system_sgpr_workgroup_id_z 0
		.amdhsa_system_sgpr_workgroup_info 0
		.amdhsa_system_vgpr_workitem_id 0
		.amdhsa_next_free_vgpr 1
		.amdhsa_next_free_sgpr 0
		.amdhsa_accum_offset 4
		.amdhsa_reserve_vcc 0
		.amdhsa_reserve_flat_scratch 0
		.amdhsa_float_round_mode_32 0
		.amdhsa_float_round_mode_16_64 0
		.amdhsa_float_denorm_mode_32 3
		.amdhsa_float_denorm_mode_16_64 3
		.amdhsa_dx10_clamp 1
		.amdhsa_ieee_mode 1
		.amdhsa_fp16_overflow 0
		.amdhsa_tg_split 0
		.amdhsa_exception_fp_ieee_invalid_op 0
		.amdhsa_exception_fp_denorm_src 0
		.amdhsa_exception_fp_ieee_div_zero 0
		.amdhsa_exception_fp_ieee_overflow 0
		.amdhsa_exception_fp_ieee_underflow 0
		.amdhsa_exception_fp_ieee_inexact 0
		.amdhsa_exception_int_div_zero 0
	.end_amdhsa_kernel
	.section	.text._ZN7rocprim17ROCPRIM_400000_NS6detail17trampoline_kernelINS0_14default_configENS1_20scan_config_selectorIsEEZZNS1_9scan_implILNS1_25lookback_scan_determinismE0ELb1ELb1ES3_N6thrust23THRUST_200600_302600_NS6detail15normal_iteratorINS9_10device_ptrIsEEEESE_s11max_functorIsEsEEDaPvRmT3_T4_T5_mT6_P12ihipStream_tbENKUlT_T0_E_clISt17integral_constantIbLb0EESU_EEDaSP_SQ_EUlSP_E_NS1_11comp_targetILNS1_3genE9ELNS1_11target_archE1100ELNS1_3gpuE3ELNS1_3repE0EEENS1_30default_config_static_selectorELNS0_4arch9wavefront6targetE1EEEvT1_,"axG",@progbits,_ZN7rocprim17ROCPRIM_400000_NS6detail17trampoline_kernelINS0_14default_configENS1_20scan_config_selectorIsEEZZNS1_9scan_implILNS1_25lookback_scan_determinismE0ELb1ELb1ES3_N6thrust23THRUST_200600_302600_NS6detail15normal_iteratorINS9_10device_ptrIsEEEESE_s11max_functorIsEsEEDaPvRmT3_T4_T5_mT6_P12ihipStream_tbENKUlT_T0_E_clISt17integral_constantIbLb0EESU_EEDaSP_SQ_EUlSP_E_NS1_11comp_targetILNS1_3genE9ELNS1_11target_archE1100ELNS1_3gpuE3ELNS1_3repE0EEENS1_30default_config_static_selectorELNS0_4arch9wavefront6targetE1EEEvT1_,comdat
.Lfunc_end2925:
	.size	_ZN7rocprim17ROCPRIM_400000_NS6detail17trampoline_kernelINS0_14default_configENS1_20scan_config_selectorIsEEZZNS1_9scan_implILNS1_25lookback_scan_determinismE0ELb1ELb1ES3_N6thrust23THRUST_200600_302600_NS6detail15normal_iteratorINS9_10device_ptrIsEEEESE_s11max_functorIsEsEEDaPvRmT3_T4_T5_mT6_P12ihipStream_tbENKUlT_T0_E_clISt17integral_constantIbLb0EESU_EEDaSP_SQ_EUlSP_E_NS1_11comp_targetILNS1_3genE9ELNS1_11target_archE1100ELNS1_3gpuE3ELNS1_3repE0EEENS1_30default_config_static_selectorELNS0_4arch9wavefront6targetE1EEEvT1_, .Lfunc_end2925-_ZN7rocprim17ROCPRIM_400000_NS6detail17trampoline_kernelINS0_14default_configENS1_20scan_config_selectorIsEEZZNS1_9scan_implILNS1_25lookback_scan_determinismE0ELb1ELb1ES3_N6thrust23THRUST_200600_302600_NS6detail15normal_iteratorINS9_10device_ptrIsEEEESE_s11max_functorIsEsEEDaPvRmT3_T4_T5_mT6_P12ihipStream_tbENKUlT_T0_E_clISt17integral_constantIbLb0EESU_EEDaSP_SQ_EUlSP_E_NS1_11comp_targetILNS1_3genE9ELNS1_11target_archE1100ELNS1_3gpuE3ELNS1_3repE0EEENS1_30default_config_static_selectorELNS0_4arch9wavefront6targetE1EEEvT1_
                                        ; -- End function
	.section	.AMDGPU.csdata,"",@progbits
; Kernel info:
; codeLenInByte = 0
; NumSgprs: 4
; NumVgprs: 0
; NumAgprs: 0
; TotalNumVgprs: 0
; ScratchSize: 0
; MemoryBound: 0
; FloatMode: 240
; IeeeMode: 1
; LDSByteSize: 0 bytes/workgroup (compile time only)
; SGPRBlocks: 0
; VGPRBlocks: 0
; NumSGPRsForWavesPerEU: 4
; NumVGPRsForWavesPerEU: 1
; AccumOffset: 4
; Occupancy: 8
; WaveLimiterHint : 0
; COMPUTE_PGM_RSRC2:SCRATCH_EN: 0
; COMPUTE_PGM_RSRC2:USER_SGPR: 6
; COMPUTE_PGM_RSRC2:TRAP_HANDLER: 0
; COMPUTE_PGM_RSRC2:TGID_X_EN: 1
; COMPUTE_PGM_RSRC2:TGID_Y_EN: 0
; COMPUTE_PGM_RSRC2:TGID_Z_EN: 0
; COMPUTE_PGM_RSRC2:TIDIG_COMP_CNT: 0
; COMPUTE_PGM_RSRC3_GFX90A:ACCUM_OFFSET: 0
; COMPUTE_PGM_RSRC3_GFX90A:TG_SPLIT: 0
	.section	.text._ZN7rocprim17ROCPRIM_400000_NS6detail17trampoline_kernelINS0_14default_configENS1_20scan_config_selectorIsEEZZNS1_9scan_implILNS1_25lookback_scan_determinismE0ELb1ELb1ES3_N6thrust23THRUST_200600_302600_NS6detail15normal_iteratorINS9_10device_ptrIsEEEESE_s11max_functorIsEsEEDaPvRmT3_T4_T5_mT6_P12ihipStream_tbENKUlT_T0_E_clISt17integral_constantIbLb0EESU_EEDaSP_SQ_EUlSP_E_NS1_11comp_targetILNS1_3genE8ELNS1_11target_archE1030ELNS1_3gpuE2ELNS1_3repE0EEENS1_30default_config_static_selectorELNS0_4arch9wavefront6targetE1EEEvT1_,"axG",@progbits,_ZN7rocprim17ROCPRIM_400000_NS6detail17trampoline_kernelINS0_14default_configENS1_20scan_config_selectorIsEEZZNS1_9scan_implILNS1_25lookback_scan_determinismE0ELb1ELb1ES3_N6thrust23THRUST_200600_302600_NS6detail15normal_iteratorINS9_10device_ptrIsEEEESE_s11max_functorIsEsEEDaPvRmT3_T4_T5_mT6_P12ihipStream_tbENKUlT_T0_E_clISt17integral_constantIbLb0EESU_EEDaSP_SQ_EUlSP_E_NS1_11comp_targetILNS1_3genE8ELNS1_11target_archE1030ELNS1_3gpuE2ELNS1_3repE0EEENS1_30default_config_static_selectorELNS0_4arch9wavefront6targetE1EEEvT1_,comdat
	.protected	_ZN7rocprim17ROCPRIM_400000_NS6detail17trampoline_kernelINS0_14default_configENS1_20scan_config_selectorIsEEZZNS1_9scan_implILNS1_25lookback_scan_determinismE0ELb1ELb1ES3_N6thrust23THRUST_200600_302600_NS6detail15normal_iteratorINS9_10device_ptrIsEEEESE_s11max_functorIsEsEEDaPvRmT3_T4_T5_mT6_P12ihipStream_tbENKUlT_T0_E_clISt17integral_constantIbLb0EESU_EEDaSP_SQ_EUlSP_E_NS1_11comp_targetILNS1_3genE8ELNS1_11target_archE1030ELNS1_3gpuE2ELNS1_3repE0EEENS1_30default_config_static_selectorELNS0_4arch9wavefront6targetE1EEEvT1_ ; -- Begin function _ZN7rocprim17ROCPRIM_400000_NS6detail17trampoline_kernelINS0_14default_configENS1_20scan_config_selectorIsEEZZNS1_9scan_implILNS1_25lookback_scan_determinismE0ELb1ELb1ES3_N6thrust23THRUST_200600_302600_NS6detail15normal_iteratorINS9_10device_ptrIsEEEESE_s11max_functorIsEsEEDaPvRmT3_T4_T5_mT6_P12ihipStream_tbENKUlT_T0_E_clISt17integral_constantIbLb0EESU_EEDaSP_SQ_EUlSP_E_NS1_11comp_targetILNS1_3genE8ELNS1_11target_archE1030ELNS1_3gpuE2ELNS1_3repE0EEENS1_30default_config_static_selectorELNS0_4arch9wavefront6targetE1EEEvT1_
	.globl	_ZN7rocprim17ROCPRIM_400000_NS6detail17trampoline_kernelINS0_14default_configENS1_20scan_config_selectorIsEEZZNS1_9scan_implILNS1_25lookback_scan_determinismE0ELb1ELb1ES3_N6thrust23THRUST_200600_302600_NS6detail15normal_iteratorINS9_10device_ptrIsEEEESE_s11max_functorIsEsEEDaPvRmT3_T4_T5_mT6_P12ihipStream_tbENKUlT_T0_E_clISt17integral_constantIbLb0EESU_EEDaSP_SQ_EUlSP_E_NS1_11comp_targetILNS1_3genE8ELNS1_11target_archE1030ELNS1_3gpuE2ELNS1_3repE0EEENS1_30default_config_static_selectorELNS0_4arch9wavefront6targetE1EEEvT1_
	.p2align	8
	.type	_ZN7rocprim17ROCPRIM_400000_NS6detail17trampoline_kernelINS0_14default_configENS1_20scan_config_selectorIsEEZZNS1_9scan_implILNS1_25lookback_scan_determinismE0ELb1ELb1ES3_N6thrust23THRUST_200600_302600_NS6detail15normal_iteratorINS9_10device_ptrIsEEEESE_s11max_functorIsEsEEDaPvRmT3_T4_T5_mT6_P12ihipStream_tbENKUlT_T0_E_clISt17integral_constantIbLb0EESU_EEDaSP_SQ_EUlSP_E_NS1_11comp_targetILNS1_3genE8ELNS1_11target_archE1030ELNS1_3gpuE2ELNS1_3repE0EEENS1_30default_config_static_selectorELNS0_4arch9wavefront6targetE1EEEvT1_,@function
_ZN7rocprim17ROCPRIM_400000_NS6detail17trampoline_kernelINS0_14default_configENS1_20scan_config_selectorIsEEZZNS1_9scan_implILNS1_25lookback_scan_determinismE0ELb1ELb1ES3_N6thrust23THRUST_200600_302600_NS6detail15normal_iteratorINS9_10device_ptrIsEEEESE_s11max_functorIsEsEEDaPvRmT3_T4_T5_mT6_P12ihipStream_tbENKUlT_T0_E_clISt17integral_constantIbLb0EESU_EEDaSP_SQ_EUlSP_E_NS1_11comp_targetILNS1_3genE8ELNS1_11target_archE1030ELNS1_3gpuE2ELNS1_3repE0EEENS1_30default_config_static_selectorELNS0_4arch9wavefront6targetE1EEEvT1_: ; @_ZN7rocprim17ROCPRIM_400000_NS6detail17trampoline_kernelINS0_14default_configENS1_20scan_config_selectorIsEEZZNS1_9scan_implILNS1_25lookback_scan_determinismE0ELb1ELb1ES3_N6thrust23THRUST_200600_302600_NS6detail15normal_iteratorINS9_10device_ptrIsEEEESE_s11max_functorIsEsEEDaPvRmT3_T4_T5_mT6_P12ihipStream_tbENKUlT_T0_E_clISt17integral_constantIbLb0EESU_EEDaSP_SQ_EUlSP_E_NS1_11comp_targetILNS1_3genE8ELNS1_11target_archE1030ELNS1_3gpuE2ELNS1_3repE0EEENS1_30default_config_static_selectorELNS0_4arch9wavefront6targetE1EEEvT1_
; %bb.0:
	.section	.rodata,"a",@progbits
	.p2align	6, 0x0
	.amdhsa_kernel _ZN7rocprim17ROCPRIM_400000_NS6detail17trampoline_kernelINS0_14default_configENS1_20scan_config_selectorIsEEZZNS1_9scan_implILNS1_25lookback_scan_determinismE0ELb1ELb1ES3_N6thrust23THRUST_200600_302600_NS6detail15normal_iteratorINS9_10device_ptrIsEEEESE_s11max_functorIsEsEEDaPvRmT3_T4_T5_mT6_P12ihipStream_tbENKUlT_T0_E_clISt17integral_constantIbLb0EESU_EEDaSP_SQ_EUlSP_E_NS1_11comp_targetILNS1_3genE8ELNS1_11target_archE1030ELNS1_3gpuE2ELNS1_3repE0EEENS1_30default_config_static_selectorELNS0_4arch9wavefront6targetE1EEEvT1_
		.amdhsa_group_segment_fixed_size 0
		.amdhsa_private_segment_fixed_size 0
		.amdhsa_kernarg_size 96
		.amdhsa_user_sgpr_count 6
		.amdhsa_user_sgpr_private_segment_buffer 1
		.amdhsa_user_sgpr_dispatch_ptr 0
		.amdhsa_user_sgpr_queue_ptr 0
		.amdhsa_user_sgpr_kernarg_segment_ptr 1
		.amdhsa_user_sgpr_dispatch_id 0
		.amdhsa_user_sgpr_flat_scratch_init 0
		.amdhsa_user_sgpr_kernarg_preload_length 0
		.amdhsa_user_sgpr_kernarg_preload_offset 0
		.amdhsa_user_sgpr_private_segment_size 0
		.amdhsa_uses_dynamic_stack 0
		.amdhsa_system_sgpr_private_segment_wavefront_offset 0
		.amdhsa_system_sgpr_workgroup_id_x 1
		.amdhsa_system_sgpr_workgroup_id_y 0
		.amdhsa_system_sgpr_workgroup_id_z 0
		.amdhsa_system_sgpr_workgroup_info 0
		.amdhsa_system_vgpr_workitem_id 0
		.amdhsa_next_free_vgpr 1
		.amdhsa_next_free_sgpr 0
		.amdhsa_accum_offset 4
		.amdhsa_reserve_vcc 0
		.amdhsa_reserve_flat_scratch 0
		.amdhsa_float_round_mode_32 0
		.amdhsa_float_round_mode_16_64 0
		.amdhsa_float_denorm_mode_32 3
		.amdhsa_float_denorm_mode_16_64 3
		.amdhsa_dx10_clamp 1
		.amdhsa_ieee_mode 1
		.amdhsa_fp16_overflow 0
		.amdhsa_tg_split 0
		.amdhsa_exception_fp_ieee_invalid_op 0
		.amdhsa_exception_fp_denorm_src 0
		.amdhsa_exception_fp_ieee_div_zero 0
		.amdhsa_exception_fp_ieee_overflow 0
		.amdhsa_exception_fp_ieee_underflow 0
		.amdhsa_exception_fp_ieee_inexact 0
		.amdhsa_exception_int_div_zero 0
	.end_amdhsa_kernel
	.section	.text._ZN7rocprim17ROCPRIM_400000_NS6detail17trampoline_kernelINS0_14default_configENS1_20scan_config_selectorIsEEZZNS1_9scan_implILNS1_25lookback_scan_determinismE0ELb1ELb1ES3_N6thrust23THRUST_200600_302600_NS6detail15normal_iteratorINS9_10device_ptrIsEEEESE_s11max_functorIsEsEEDaPvRmT3_T4_T5_mT6_P12ihipStream_tbENKUlT_T0_E_clISt17integral_constantIbLb0EESU_EEDaSP_SQ_EUlSP_E_NS1_11comp_targetILNS1_3genE8ELNS1_11target_archE1030ELNS1_3gpuE2ELNS1_3repE0EEENS1_30default_config_static_selectorELNS0_4arch9wavefront6targetE1EEEvT1_,"axG",@progbits,_ZN7rocprim17ROCPRIM_400000_NS6detail17trampoline_kernelINS0_14default_configENS1_20scan_config_selectorIsEEZZNS1_9scan_implILNS1_25lookback_scan_determinismE0ELb1ELb1ES3_N6thrust23THRUST_200600_302600_NS6detail15normal_iteratorINS9_10device_ptrIsEEEESE_s11max_functorIsEsEEDaPvRmT3_T4_T5_mT6_P12ihipStream_tbENKUlT_T0_E_clISt17integral_constantIbLb0EESU_EEDaSP_SQ_EUlSP_E_NS1_11comp_targetILNS1_3genE8ELNS1_11target_archE1030ELNS1_3gpuE2ELNS1_3repE0EEENS1_30default_config_static_selectorELNS0_4arch9wavefront6targetE1EEEvT1_,comdat
.Lfunc_end2926:
	.size	_ZN7rocprim17ROCPRIM_400000_NS6detail17trampoline_kernelINS0_14default_configENS1_20scan_config_selectorIsEEZZNS1_9scan_implILNS1_25lookback_scan_determinismE0ELb1ELb1ES3_N6thrust23THRUST_200600_302600_NS6detail15normal_iteratorINS9_10device_ptrIsEEEESE_s11max_functorIsEsEEDaPvRmT3_T4_T5_mT6_P12ihipStream_tbENKUlT_T0_E_clISt17integral_constantIbLb0EESU_EEDaSP_SQ_EUlSP_E_NS1_11comp_targetILNS1_3genE8ELNS1_11target_archE1030ELNS1_3gpuE2ELNS1_3repE0EEENS1_30default_config_static_selectorELNS0_4arch9wavefront6targetE1EEEvT1_, .Lfunc_end2926-_ZN7rocprim17ROCPRIM_400000_NS6detail17trampoline_kernelINS0_14default_configENS1_20scan_config_selectorIsEEZZNS1_9scan_implILNS1_25lookback_scan_determinismE0ELb1ELb1ES3_N6thrust23THRUST_200600_302600_NS6detail15normal_iteratorINS9_10device_ptrIsEEEESE_s11max_functorIsEsEEDaPvRmT3_T4_T5_mT6_P12ihipStream_tbENKUlT_T0_E_clISt17integral_constantIbLb0EESU_EEDaSP_SQ_EUlSP_E_NS1_11comp_targetILNS1_3genE8ELNS1_11target_archE1030ELNS1_3gpuE2ELNS1_3repE0EEENS1_30default_config_static_selectorELNS0_4arch9wavefront6targetE1EEEvT1_
                                        ; -- End function
	.section	.AMDGPU.csdata,"",@progbits
; Kernel info:
; codeLenInByte = 0
; NumSgprs: 4
; NumVgprs: 0
; NumAgprs: 0
; TotalNumVgprs: 0
; ScratchSize: 0
; MemoryBound: 0
; FloatMode: 240
; IeeeMode: 1
; LDSByteSize: 0 bytes/workgroup (compile time only)
; SGPRBlocks: 0
; VGPRBlocks: 0
; NumSGPRsForWavesPerEU: 4
; NumVGPRsForWavesPerEU: 1
; AccumOffset: 4
; Occupancy: 8
; WaveLimiterHint : 0
; COMPUTE_PGM_RSRC2:SCRATCH_EN: 0
; COMPUTE_PGM_RSRC2:USER_SGPR: 6
; COMPUTE_PGM_RSRC2:TRAP_HANDLER: 0
; COMPUTE_PGM_RSRC2:TGID_X_EN: 1
; COMPUTE_PGM_RSRC2:TGID_Y_EN: 0
; COMPUTE_PGM_RSRC2:TGID_Z_EN: 0
; COMPUTE_PGM_RSRC2:TIDIG_COMP_CNT: 0
; COMPUTE_PGM_RSRC3_GFX90A:ACCUM_OFFSET: 0
; COMPUTE_PGM_RSRC3_GFX90A:TG_SPLIT: 0
	.section	.text._ZN7rocprim17ROCPRIM_400000_NS6detail17trampoline_kernelINS0_14default_configENS1_20scan_config_selectorIsEEZZNS1_9scan_implILNS1_25lookback_scan_determinismE0ELb1ELb1ES3_N6thrust23THRUST_200600_302600_NS6detail15normal_iteratorINS9_10device_ptrIsEEEESE_s11max_functorIsEsEEDaPvRmT3_T4_T5_mT6_P12ihipStream_tbENKUlT_T0_E_clISt17integral_constantIbLb0EESU_EEDaSP_SQ_EUlSP_E0_NS1_11comp_targetILNS1_3genE0ELNS1_11target_archE4294967295ELNS1_3gpuE0ELNS1_3repE0EEENS1_30default_config_static_selectorELNS0_4arch9wavefront6targetE1EEEvT1_,"axG",@progbits,_ZN7rocprim17ROCPRIM_400000_NS6detail17trampoline_kernelINS0_14default_configENS1_20scan_config_selectorIsEEZZNS1_9scan_implILNS1_25lookback_scan_determinismE0ELb1ELb1ES3_N6thrust23THRUST_200600_302600_NS6detail15normal_iteratorINS9_10device_ptrIsEEEESE_s11max_functorIsEsEEDaPvRmT3_T4_T5_mT6_P12ihipStream_tbENKUlT_T0_E_clISt17integral_constantIbLb0EESU_EEDaSP_SQ_EUlSP_E0_NS1_11comp_targetILNS1_3genE0ELNS1_11target_archE4294967295ELNS1_3gpuE0ELNS1_3repE0EEENS1_30default_config_static_selectorELNS0_4arch9wavefront6targetE1EEEvT1_,comdat
	.protected	_ZN7rocprim17ROCPRIM_400000_NS6detail17trampoline_kernelINS0_14default_configENS1_20scan_config_selectorIsEEZZNS1_9scan_implILNS1_25lookback_scan_determinismE0ELb1ELb1ES3_N6thrust23THRUST_200600_302600_NS6detail15normal_iteratorINS9_10device_ptrIsEEEESE_s11max_functorIsEsEEDaPvRmT3_T4_T5_mT6_P12ihipStream_tbENKUlT_T0_E_clISt17integral_constantIbLb0EESU_EEDaSP_SQ_EUlSP_E0_NS1_11comp_targetILNS1_3genE0ELNS1_11target_archE4294967295ELNS1_3gpuE0ELNS1_3repE0EEENS1_30default_config_static_selectorELNS0_4arch9wavefront6targetE1EEEvT1_ ; -- Begin function _ZN7rocprim17ROCPRIM_400000_NS6detail17trampoline_kernelINS0_14default_configENS1_20scan_config_selectorIsEEZZNS1_9scan_implILNS1_25lookback_scan_determinismE0ELb1ELb1ES3_N6thrust23THRUST_200600_302600_NS6detail15normal_iteratorINS9_10device_ptrIsEEEESE_s11max_functorIsEsEEDaPvRmT3_T4_T5_mT6_P12ihipStream_tbENKUlT_T0_E_clISt17integral_constantIbLb0EESU_EEDaSP_SQ_EUlSP_E0_NS1_11comp_targetILNS1_3genE0ELNS1_11target_archE4294967295ELNS1_3gpuE0ELNS1_3repE0EEENS1_30default_config_static_selectorELNS0_4arch9wavefront6targetE1EEEvT1_
	.globl	_ZN7rocprim17ROCPRIM_400000_NS6detail17trampoline_kernelINS0_14default_configENS1_20scan_config_selectorIsEEZZNS1_9scan_implILNS1_25lookback_scan_determinismE0ELb1ELb1ES3_N6thrust23THRUST_200600_302600_NS6detail15normal_iteratorINS9_10device_ptrIsEEEESE_s11max_functorIsEsEEDaPvRmT3_T4_T5_mT6_P12ihipStream_tbENKUlT_T0_E_clISt17integral_constantIbLb0EESU_EEDaSP_SQ_EUlSP_E0_NS1_11comp_targetILNS1_3genE0ELNS1_11target_archE4294967295ELNS1_3gpuE0ELNS1_3repE0EEENS1_30default_config_static_selectorELNS0_4arch9wavefront6targetE1EEEvT1_
	.p2align	8
	.type	_ZN7rocprim17ROCPRIM_400000_NS6detail17trampoline_kernelINS0_14default_configENS1_20scan_config_selectorIsEEZZNS1_9scan_implILNS1_25lookback_scan_determinismE0ELb1ELb1ES3_N6thrust23THRUST_200600_302600_NS6detail15normal_iteratorINS9_10device_ptrIsEEEESE_s11max_functorIsEsEEDaPvRmT3_T4_T5_mT6_P12ihipStream_tbENKUlT_T0_E_clISt17integral_constantIbLb0EESU_EEDaSP_SQ_EUlSP_E0_NS1_11comp_targetILNS1_3genE0ELNS1_11target_archE4294967295ELNS1_3gpuE0ELNS1_3repE0EEENS1_30default_config_static_selectorELNS0_4arch9wavefront6targetE1EEEvT1_,@function
_ZN7rocprim17ROCPRIM_400000_NS6detail17trampoline_kernelINS0_14default_configENS1_20scan_config_selectorIsEEZZNS1_9scan_implILNS1_25lookback_scan_determinismE0ELb1ELb1ES3_N6thrust23THRUST_200600_302600_NS6detail15normal_iteratorINS9_10device_ptrIsEEEESE_s11max_functorIsEsEEDaPvRmT3_T4_T5_mT6_P12ihipStream_tbENKUlT_T0_E_clISt17integral_constantIbLb0EESU_EEDaSP_SQ_EUlSP_E0_NS1_11comp_targetILNS1_3genE0ELNS1_11target_archE4294967295ELNS1_3gpuE0ELNS1_3repE0EEENS1_30default_config_static_selectorELNS0_4arch9wavefront6targetE1EEEvT1_: ; @_ZN7rocprim17ROCPRIM_400000_NS6detail17trampoline_kernelINS0_14default_configENS1_20scan_config_selectorIsEEZZNS1_9scan_implILNS1_25lookback_scan_determinismE0ELb1ELb1ES3_N6thrust23THRUST_200600_302600_NS6detail15normal_iteratorINS9_10device_ptrIsEEEESE_s11max_functorIsEsEEDaPvRmT3_T4_T5_mT6_P12ihipStream_tbENKUlT_T0_E_clISt17integral_constantIbLb0EESU_EEDaSP_SQ_EUlSP_E0_NS1_11comp_targetILNS1_3genE0ELNS1_11target_archE4294967295ELNS1_3gpuE0ELNS1_3repE0EEENS1_30default_config_static_selectorELNS0_4arch9wavefront6targetE1EEEvT1_
; %bb.0:
	.section	.rodata,"a",@progbits
	.p2align	6, 0x0
	.amdhsa_kernel _ZN7rocprim17ROCPRIM_400000_NS6detail17trampoline_kernelINS0_14default_configENS1_20scan_config_selectorIsEEZZNS1_9scan_implILNS1_25lookback_scan_determinismE0ELb1ELb1ES3_N6thrust23THRUST_200600_302600_NS6detail15normal_iteratorINS9_10device_ptrIsEEEESE_s11max_functorIsEsEEDaPvRmT3_T4_T5_mT6_P12ihipStream_tbENKUlT_T0_E_clISt17integral_constantIbLb0EESU_EEDaSP_SQ_EUlSP_E0_NS1_11comp_targetILNS1_3genE0ELNS1_11target_archE4294967295ELNS1_3gpuE0ELNS1_3repE0EEENS1_30default_config_static_selectorELNS0_4arch9wavefront6targetE1EEEvT1_
		.amdhsa_group_segment_fixed_size 0
		.amdhsa_private_segment_fixed_size 0
		.amdhsa_kernarg_size 32
		.amdhsa_user_sgpr_count 6
		.amdhsa_user_sgpr_private_segment_buffer 1
		.amdhsa_user_sgpr_dispatch_ptr 0
		.amdhsa_user_sgpr_queue_ptr 0
		.amdhsa_user_sgpr_kernarg_segment_ptr 1
		.amdhsa_user_sgpr_dispatch_id 0
		.amdhsa_user_sgpr_flat_scratch_init 0
		.amdhsa_user_sgpr_kernarg_preload_length 0
		.amdhsa_user_sgpr_kernarg_preload_offset 0
		.amdhsa_user_sgpr_private_segment_size 0
		.amdhsa_uses_dynamic_stack 0
		.amdhsa_system_sgpr_private_segment_wavefront_offset 0
		.amdhsa_system_sgpr_workgroup_id_x 1
		.amdhsa_system_sgpr_workgroup_id_y 0
		.amdhsa_system_sgpr_workgroup_id_z 0
		.amdhsa_system_sgpr_workgroup_info 0
		.amdhsa_system_vgpr_workitem_id 0
		.amdhsa_next_free_vgpr 1
		.amdhsa_next_free_sgpr 0
		.amdhsa_accum_offset 4
		.amdhsa_reserve_vcc 0
		.amdhsa_reserve_flat_scratch 0
		.amdhsa_float_round_mode_32 0
		.amdhsa_float_round_mode_16_64 0
		.amdhsa_float_denorm_mode_32 3
		.amdhsa_float_denorm_mode_16_64 3
		.amdhsa_dx10_clamp 1
		.amdhsa_ieee_mode 1
		.amdhsa_fp16_overflow 0
		.amdhsa_tg_split 0
		.amdhsa_exception_fp_ieee_invalid_op 0
		.amdhsa_exception_fp_denorm_src 0
		.amdhsa_exception_fp_ieee_div_zero 0
		.amdhsa_exception_fp_ieee_overflow 0
		.amdhsa_exception_fp_ieee_underflow 0
		.amdhsa_exception_fp_ieee_inexact 0
		.amdhsa_exception_int_div_zero 0
	.end_amdhsa_kernel
	.section	.text._ZN7rocprim17ROCPRIM_400000_NS6detail17trampoline_kernelINS0_14default_configENS1_20scan_config_selectorIsEEZZNS1_9scan_implILNS1_25lookback_scan_determinismE0ELb1ELb1ES3_N6thrust23THRUST_200600_302600_NS6detail15normal_iteratorINS9_10device_ptrIsEEEESE_s11max_functorIsEsEEDaPvRmT3_T4_T5_mT6_P12ihipStream_tbENKUlT_T0_E_clISt17integral_constantIbLb0EESU_EEDaSP_SQ_EUlSP_E0_NS1_11comp_targetILNS1_3genE0ELNS1_11target_archE4294967295ELNS1_3gpuE0ELNS1_3repE0EEENS1_30default_config_static_selectorELNS0_4arch9wavefront6targetE1EEEvT1_,"axG",@progbits,_ZN7rocprim17ROCPRIM_400000_NS6detail17trampoline_kernelINS0_14default_configENS1_20scan_config_selectorIsEEZZNS1_9scan_implILNS1_25lookback_scan_determinismE0ELb1ELb1ES3_N6thrust23THRUST_200600_302600_NS6detail15normal_iteratorINS9_10device_ptrIsEEEESE_s11max_functorIsEsEEDaPvRmT3_T4_T5_mT6_P12ihipStream_tbENKUlT_T0_E_clISt17integral_constantIbLb0EESU_EEDaSP_SQ_EUlSP_E0_NS1_11comp_targetILNS1_3genE0ELNS1_11target_archE4294967295ELNS1_3gpuE0ELNS1_3repE0EEENS1_30default_config_static_selectorELNS0_4arch9wavefront6targetE1EEEvT1_,comdat
.Lfunc_end2927:
	.size	_ZN7rocprim17ROCPRIM_400000_NS6detail17trampoline_kernelINS0_14default_configENS1_20scan_config_selectorIsEEZZNS1_9scan_implILNS1_25lookback_scan_determinismE0ELb1ELb1ES3_N6thrust23THRUST_200600_302600_NS6detail15normal_iteratorINS9_10device_ptrIsEEEESE_s11max_functorIsEsEEDaPvRmT3_T4_T5_mT6_P12ihipStream_tbENKUlT_T0_E_clISt17integral_constantIbLb0EESU_EEDaSP_SQ_EUlSP_E0_NS1_11comp_targetILNS1_3genE0ELNS1_11target_archE4294967295ELNS1_3gpuE0ELNS1_3repE0EEENS1_30default_config_static_selectorELNS0_4arch9wavefront6targetE1EEEvT1_, .Lfunc_end2927-_ZN7rocprim17ROCPRIM_400000_NS6detail17trampoline_kernelINS0_14default_configENS1_20scan_config_selectorIsEEZZNS1_9scan_implILNS1_25lookback_scan_determinismE0ELb1ELb1ES3_N6thrust23THRUST_200600_302600_NS6detail15normal_iteratorINS9_10device_ptrIsEEEESE_s11max_functorIsEsEEDaPvRmT3_T4_T5_mT6_P12ihipStream_tbENKUlT_T0_E_clISt17integral_constantIbLb0EESU_EEDaSP_SQ_EUlSP_E0_NS1_11comp_targetILNS1_3genE0ELNS1_11target_archE4294967295ELNS1_3gpuE0ELNS1_3repE0EEENS1_30default_config_static_selectorELNS0_4arch9wavefront6targetE1EEEvT1_
                                        ; -- End function
	.section	.AMDGPU.csdata,"",@progbits
; Kernel info:
; codeLenInByte = 0
; NumSgprs: 4
; NumVgprs: 0
; NumAgprs: 0
; TotalNumVgprs: 0
; ScratchSize: 0
; MemoryBound: 0
; FloatMode: 240
; IeeeMode: 1
; LDSByteSize: 0 bytes/workgroup (compile time only)
; SGPRBlocks: 0
; VGPRBlocks: 0
; NumSGPRsForWavesPerEU: 4
; NumVGPRsForWavesPerEU: 1
; AccumOffset: 4
; Occupancy: 8
; WaveLimiterHint : 0
; COMPUTE_PGM_RSRC2:SCRATCH_EN: 0
; COMPUTE_PGM_RSRC2:USER_SGPR: 6
; COMPUTE_PGM_RSRC2:TRAP_HANDLER: 0
; COMPUTE_PGM_RSRC2:TGID_X_EN: 1
; COMPUTE_PGM_RSRC2:TGID_Y_EN: 0
; COMPUTE_PGM_RSRC2:TGID_Z_EN: 0
; COMPUTE_PGM_RSRC2:TIDIG_COMP_CNT: 0
; COMPUTE_PGM_RSRC3_GFX90A:ACCUM_OFFSET: 0
; COMPUTE_PGM_RSRC3_GFX90A:TG_SPLIT: 0
	.section	.text._ZN7rocprim17ROCPRIM_400000_NS6detail17trampoline_kernelINS0_14default_configENS1_20scan_config_selectorIsEEZZNS1_9scan_implILNS1_25lookback_scan_determinismE0ELb1ELb1ES3_N6thrust23THRUST_200600_302600_NS6detail15normal_iteratorINS9_10device_ptrIsEEEESE_s11max_functorIsEsEEDaPvRmT3_T4_T5_mT6_P12ihipStream_tbENKUlT_T0_E_clISt17integral_constantIbLb0EESU_EEDaSP_SQ_EUlSP_E0_NS1_11comp_targetILNS1_3genE5ELNS1_11target_archE942ELNS1_3gpuE9ELNS1_3repE0EEENS1_30default_config_static_selectorELNS0_4arch9wavefront6targetE1EEEvT1_,"axG",@progbits,_ZN7rocprim17ROCPRIM_400000_NS6detail17trampoline_kernelINS0_14default_configENS1_20scan_config_selectorIsEEZZNS1_9scan_implILNS1_25lookback_scan_determinismE0ELb1ELb1ES3_N6thrust23THRUST_200600_302600_NS6detail15normal_iteratorINS9_10device_ptrIsEEEESE_s11max_functorIsEsEEDaPvRmT3_T4_T5_mT6_P12ihipStream_tbENKUlT_T0_E_clISt17integral_constantIbLb0EESU_EEDaSP_SQ_EUlSP_E0_NS1_11comp_targetILNS1_3genE5ELNS1_11target_archE942ELNS1_3gpuE9ELNS1_3repE0EEENS1_30default_config_static_selectorELNS0_4arch9wavefront6targetE1EEEvT1_,comdat
	.protected	_ZN7rocprim17ROCPRIM_400000_NS6detail17trampoline_kernelINS0_14default_configENS1_20scan_config_selectorIsEEZZNS1_9scan_implILNS1_25lookback_scan_determinismE0ELb1ELb1ES3_N6thrust23THRUST_200600_302600_NS6detail15normal_iteratorINS9_10device_ptrIsEEEESE_s11max_functorIsEsEEDaPvRmT3_T4_T5_mT6_P12ihipStream_tbENKUlT_T0_E_clISt17integral_constantIbLb0EESU_EEDaSP_SQ_EUlSP_E0_NS1_11comp_targetILNS1_3genE5ELNS1_11target_archE942ELNS1_3gpuE9ELNS1_3repE0EEENS1_30default_config_static_selectorELNS0_4arch9wavefront6targetE1EEEvT1_ ; -- Begin function _ZN7rocprim17ROCPRIM_400000_NS6detail17trampoline_kernelINS0_14default_configENS1_20scan_config_selectorIsEEZZNS1_9scan_implILNS1_25lookback_scan_determinismE0ELb1ELb1ES3_N6thrust23THRUST_200600_302600_NS6detail15normal_iteratorINS9_10device_ptrIsEEEESE_s11max_functorIsEsEEDaPvRmT3_T4_T5_mT6_P12ihipStream_tbENKUlT_T0_E_clISt17integral_constantIbLb0EESU_EEDaSP_SQ_EUlSP_E0_NS1_11comp_targetILNS1_3genE5ELNS1_11target_archE942ELNS1_3gpuE9ELNS1_3repE0EEENS1_30default_config_static_selectorELNS0_4arch9wavefront6targetE1EEEvT1_
	.globl	_ZN7rocprim17ROCPRIM_400000_NS6detail17trampoline_kernelINS0_14default_configENS1_20scan_config_selectorIsEEZZNS1_9scan_implILNS1_25lookback_scan_determinismE0ELb1ELb1ES3_N6thrust23THRUST_200600_302600_NS6detail15normal_iteratorINS9_10device_ptrIsEEEESE_s11max_functorIsEsEEDaPvRmT3_T4_T5_mT6_P12ihipStream_tbENKUlT_T0_E_clISt17integral_constantIbLb0EESU_EEDaSP_SQ_EUlSP_E0_NS1_11comp_targetILNS1_3genE5ELNS1_11target_archE942ELNS1_3gpuE9ELNS1_3repE0EEENS1_30default_config_static_selectorELNS0_4arch9wavefront6targetE1EEEvT1_
	.p2align	8
	.type	_ZN7rocprim17ROCPRIM_400000_NS6detail17trampoline_kernelINS0_14default_configENS1_20scan_config_selectorIsEEZZNS1_9scan_implILNS1_25lookback_scan_determinismE0ELb1ELb1ES3_N6thrust23THRUST_200600_302600_NS6detail15normal_iteratorINS9_10device_ptrIsEEEESE_s11max_functorIsEsEEDaPvRmT3_T4_T5_mT6_P12ihipStream_tbENKUlT_T0_E_clISt17integral_constantIbLb0EESU_EEDaSP_SQ_EUlSP_E0_NS1_11comp_targetILNS1_3genE5ELNS1_11target_archE942ELNS1_3gpuE9ELNS1_3repE0EEENS1_30default_config_static_selectorELNS0_4arch9wavefront6targetE1EEEvT1_,@function
_ZN7rocprim17ROCPRIM_400000_NS6detail17trampoline_kernelINS0_14default_configENS1_20scan_config_selectorIsEEZZNS1_9scan_implILNS1_25lookback_scan_determinismE0ELb1ELb1ES3_N6thrust23THRUST_200600_302600_NS6detail15normal_iteratorINS9_10device_ptrIsEEEESE_s11max_functorIsEsEEDaPvRmT3_T4_T5_mT6_P12ihipStream_tbENKUlT_T0_E_clISt17integral_constantIbLb0EESU_EEDaSP_SQ_EUlSP_E0_NS1_11comp_targetILNS1_3genE5ELNS1_11target_archE942ELNS1_3gpuE9ELNS1_3repE0EEENS1_30default_config_static_selectorELNS0_4arch9wavefront6targetE1EEEvT1_: ; @_ZN7rocprim17ROCPRIM_400000_NS6detail17trampoline_kernelINS0_14default_configENS1_20scan_config_selectorIsEEZZNS1_9scan_implILNS1_25lookback_scan_determinismE0ELb1ELb1ES3_N6thrust23THRUST_200600_302600_NS6detail15normal_iteratorINS9_10device_ptrIsEEEESE_s11max_functorIsEsEEDaPvRmT3_T4_T5_mT6_P12ihipStream_tbENKUlT_T0_E_clISt17integral_constantIbLb0EESU_EEDaSP_SQ_EUlSP_E0_NS1_11comp_targetILNS1_3genE5ELNS1_11target_archE942ELNS1_3gpuE9ELNS1_3repE0EEENS1_30default_config_static_selectorELNS0_4arch9wavefront6targetE1EEEvT1_
; %bb.0:
	.section	.rodata,"a",@progbits
	.p2align	6, 0x0
	.amdhsa_kernel _ZN7rocprim17ROCPRIM_400000_NS6detail17trampoline_kernelINS0_14default_configENS1_20scan_config_selectorIsEEZZNS1_9scan_implILNS1_25lookback_scan_determinismE0ELb1ELb1ES3_N6thrust23THRUST_200600_302600_NS6detail15normal_iteratorINS9_10device_ptrIsEEEESE_s11max_functorIsEsEEDaPvRmT3_T4_T5_mT6_P12ihipStream_tbENKUlT_T0_E_clISt17integral_constantIbLb0EESU_EEDaSP_SQ_EUlSP_E0_NS1_11comp_targetILNS1_3genE5ELNS1_11target_archE942ELNS1_3gpuE9ELNS1_3repE0EEENS1_30default_config_static_selectorELNS0_4arch9wavefront6targetE1EEEvT1_
		.amdhsa_group_segment_fixed_size 0
		.amdhsa_private_segment_fixed_size 0
		.amdhsa_kernarg_size 32
		.amdhsa_user_sgpr_count 6
		.amdhsa_user_sgpr_private_segment_buffer 1
		.amdhsa_user_sgpr_dispatch_ptr 0
		.amdhsa_user_sgpr_queue_ptr 0
		.amdhsa_user_sgpr_kernarg_segment_ptr 1
		.amdhsa_user_sgpr_dispatch_id 0
		.amdhsa_user_sgpr_flat_scratch_init 0
		.amdhsa_user_sgpr_kernarg_preload_length 0
		.amdhsa_user_sgpr_kernarg_preload_offset 0
		.amdhsa_user_sgpr_private_segment_size 0
		.amdhsa_uses_dynamic_stack 0
		.amdhsa_system_sgpr_private_segment_wavefront_offset 0
		.amdhsa_system_sgpr_workgroup_id_x 1
		.amdhsa_system_sgpr_workgroup_id_y 0
		.amdhsa_system_sgpr_workgroup_id_z 0
		.amdhsa_system_sgpr_workgroup_info 0
		.amdhsa_system_vgpr_workitem_id 0
		.amdhsa_next_free_vgpr 1
		.amdhsa_next_free_sgpr 0
		.amdhsa_accum_offset 4
		.amdhsa_reserve_vcc 0
		.amdhsa_reserve_flat_scratch 0
		.amdhsa_float_round_mode_32 0
		.amdhsa_float_round_mode_16_64 0
		.amdhsa_float_denorm_mode_32 3
		.amdhsa_float_denorm_mode_16_64 3
		.amdhsa_dx10_clamp 1
		.amdhsa_ieee_mode 1
		.amdhsa_fp16_overflow 0
		.amdhsa_tg_split 0
		.amdhsa_exception_fp_ieee_invalid_op 0
		.amdhsa_exception_fp_denorm_src 0
		.amdhsa_exception_fp_ieee_div_zero 0
		.amdhsa_exception_fp_ieee_overflow 0
		.amdhsa_exception_fp_ieee_underflow 0
		.amdhsa_exception_fp_ieee_inexact 0
		.amdhsa_exception_int_div_zero 0
	.end_amdhsa_kernel
	.section	.text._ZN7rocprim17ROCPRIM_400000_NS6detail17trampoline_kernelINS0_14default_configENS1_20scan_config_selectorIsEEZZNS1_9scan_implILNS1_25lookback_scan_determinismE0ELb1ELb1ES3_N6thrust23THRUST_200600_302600_NS6detail15normal_iteratorINS9_10device_ptrIsEEEESE_s11max_functorIsEsEEDaPvRmT3_T4_T5_mT6_P12ihipStream_tbENKUlT_T0_E_clISt17integral_constantIbLb0EESU_EEDaSP_SQ_EUlSP_E0_NS1_11comp_targetILNS1_3genE5ELNS1_11target_archE942ELNS1_3gpuE9ELNS1_3repE0EEENS1_30default_config_static_selectorELNS0_4arch9wavefront6targetE1EEEvT1_,"axG",@progbits,_ZN7rocprim17ROCPRIM_400000_NS6detail17trampoline_kernelINS0_14default_configENS1_20scan_config_selectorIsEEZZNS1_9scan_implILNS1_25lookback_scan_determinismE0ELb1ELb1ES3_N6thrust23THRUST_200600_302600_NS6detail15normal_iteratorINS9_10device_ptrIsEEEESE_s11max_functorIsEsEEDaPvRmT3_T4_T5_mT6_P12ihipStream_tbENKUlT_T0_E_clISt17integral_constantIbLb0EESU_EEDaSP_SQ_EUlSP_E0_NS1_11comp_targetILNS1_3genE5ELNS1_11target_archE942ELNS1_3gpuE9ELNS1_3repE0EEENS1_30default_config_static_selectorELNS0_4arch9wavefront6targetE1EEEvT1_,comdat
.Lfunc_end2928:
	.size	_ZN7rocprim17ROCPRIM_400000_NS6detail17trampoline_kernelINS0_14default_configENS1_20scan_config_selectorIsEEZZNS1_9scan_implILNS1_25lookback_scan_determinismE0ELb1ELb1ES3_N6thrust23THRUST_200600_302600_NS6detail15normal_iteratorINS9_10device_ptrIsEEEESE_s11max_functorIsEsEEDaPvRmT3_T4_T5_mT6_P12ihipStream_tbENKUlT_T0_E_clISt17integral_constantIbLb0EESU_EEDaSP_SQ_EUlSP_E0_NS1_11comp_targetILNS1_3genE5ELNS1_11target_archE942ELNS1_3gpuE9ELNS1_3repE0EEENS1_30default_config_static_selectorELNS0_4arch9wavefront6targetE1EEEvT1_, .Lfunc_end2928-_ZN7rocprim17ROCPRIM_400000_NS6detail17trampoline_kernelINS0_14default_configENS1_20scan_config_selectorIsEEZZNS1_9scan_implILNS1_25lookback_scan_determinismE0ELb1ELb1ES3_N6thrust23THRUST_200600_302600_NS6detail15normal_iteratorINS9_10device_ptrIsEEEESE_s11max_functorIsEsEEDaPvRmT3_T4_T5_mT6_P12ihipStream_tbENKUlT_T0_E_clISt17integral_constantIbLb0EESU_EEDaSP_SQ_EUlSP_E0_NS1_11comp_targetILNS1_3genE5ELNS1_11target_archE942ELNS1_3gpuE9ELNS1_3repE0EEENS1_30default_config_static_selectorELNS0_4arch9wavefront6targetE1EEEvT1_
                                        ; -- End function
	.section	.AMDGPU.csdata,"",@progbits
; Kernel info:
; codeLenInByte = 0
; NumSgprs: 4
; NumVgprs: 0
; NumAgprs: 0
; TotalNumVgprs: 0
; ScratchSize: 0
; MemoryBound: 0
; FloatMode: 240
; IeeeMode: 1
; LDSByteSize: 0 bytes/workgroup (compile time only)
; SGPRBlocks: 0
; VGPRBlocks: 0
; NumSGPRsForWavesPerEU: 4
; NumVGPRsForWavesPerEU: 1
; AccumOffset: 4
; Occupancy: 8
; WaveLimiterHint : 0
; COMPUTE_PGM_RSRC2:SCRATCH_EN: 0
; COMPUTE_PGM_RSRC2:USER_SGPR: 6
; COMPUTE_PGM_RSRC2:TRAP_HANDLER: 0
; COMPUTE_PGM_RSRC2:TGID_X_EN: 1
; COMPUTE_PGM_RSRC2:TGID_Y_EN: 0
; COMPUTE_PGM_RSRC2:TGID_Z_EN: 0
; COMPUTE_PGM_RSRC2:TIDIG_COMP_CNT: 0
; COMPUTE_PGM_RSRC3_GFX90A:ACCUM_OFFSET: 0
; COMPUTE_PGM_RSRC3_GFX90A:TG_SPLIT: 0
	.section	.text._ZN7rocprim17ROCPRIM_400000_NS6detail17trampoline_kernelINS0_14default_configENS1_20scan_config_selectorIsEEZZNS1_9scan_implILNS1_25lookback_scan_determinismE0ELb1ELb1ES3_N6thrust23THRUST_200600_302600_NS6detail15normal_iteratorINS9_10device_ptrIsEEEESE_s11max_functorIsEsEEDaPvRmT3_T4_T5_mT6_P12ihipStream_tbENKUlT_T0_E_clISt17integral_constantIbLb0EESU_EEDaSP_SQ_EUlSP_E0_NS1_11comp_targetILNS1_3genE4ELNS1_11target_archE910ELNS1_3gpuE8ELNS1_3repE0EEENS1_30default_config_static_selectorELNS0_4arch9wavefront6targetE1EEEvT1_,"axG",@progbits,_ZN7rocprim17ROCPRIM_400000_NS6detail17trampoline_kernelINS0_14default_configENS1_20scan_config_selectorIsEEZZNS1_9scan_implILNS1_25lookback_scan_determinismE0ELb1ELb1ES3_N6thrust23THRUST_200600_302600_NS6detail15normal_iteratorINS9_10device_ptrIsEEEESE_s11max_functorIsEsEEDaPvRmT3_T4_T5_mT6_P12ihipStream_tbENKUlT_T0_E_clISt17integral_constantIbLb0EESU_EEDaSP_SQ_EUlSP_E0_NS1_11comp_targetILNS1_3genE4ELNS1_11target_archE910ELNS1_3gpuE8ELNS1_3repE0EEENS1_30default_config_static_selectorELNS0_4arch9wavefront6targetE1EEEvT1_,comdat
	.protected	_ZN7rocprim17ROCPRIM_400000_NS6detail17trampoline_kernelINS0_14default_configENS1_20scan_config_selectorIsEEZZNS1_9scan_implILNS1_25lookback_scan_determinismE0ELb1ELb1ES3_N6thrust23THRUST_200600_302600_NS6detail15normal_iteratorINS9_10device_ptrIsEEEESE_s11max_functorIsEsEEDaPvRmT3_T4_T5_mT6_P12ihipStream_tbENKUlT_T0_E_clISt17integral_constantIbLb0EESU_EEDaSP_SQ_EUlSP_E0_NS1_11comp_targetILNS1_3genE4ELNS1_11target_archE910ELNS1_3gpuE8ELNS1_3repE0EEENS1_30default_config_static_selectorELNS0_4arch9wavefront6targetE1EEEvT1_ ; -- Begin function _ZN7rocprim17ROCPRIM_400000_NS6detail17trampoline_kernelINS0_14default_configENS1_20scan_config_selectorIsEEZZNS1_9scan_implILNS1_25lookback_scan_determinismE0ELb1ELb1ES3_N6thrust23THRUST_200600_302600_NS6detail15normal_iteratorINS9_10device_ptrIsEEEESE_s11max_functorIsEsEEDaPvRmT3_T4_T5_mT6_P12ihipStream_tbENKUlT_T0_E_clISt17integral_constantIbLb0EESU_EEDaSP_SQ_EUlSP_E0_NS1_11comp_targetILNS1_3genE4ELNS1_11target_archE910ELNS1_3gpuE8ELNS1_3repE0EEENS1_30default_config_static_selectorELNS0_4arch9wavefront6targetE1EEEvT1_
	.globl	_ZN7rocprim17ROCPRIM_400000_NS6detail17trampoline_kernelINS0_14default_configENS1_20scan_config_selectorIsEEZZNS1_9scan_implILNS1_25lookback_scan_determinismE0ELb1ELb1ES3_N6thrust23THRUST_200600_302600_NS6detail15normal_iteratorINS9_10device_ptrIsEEEESE_s11max_functorIsEsEEDaPvRmT3_T4_T5_mT6_P12ihipStream_tbENKUlT_T0_E_clISt17integral_constantIbLb0EESU_EEDaSP_SQ_EUlSP_E0_NS1_11comp_targetILNS1_3genE4ELNS1_11target_archE910ELNS1_3gpuE8ELNS1_3repE0EEENS1_30default_config_static_selectorELNS0_4arch9wavefront6targetE1EEEvT1_
	.p2align	8
	.type	_ZN7rocprim17ROCPRIM_400000_NS6detail17trampoline_kernelINS0_14default_configENS1_20scan_config_selectorIsEEZZNS1_9scan_implILNS1_25lookback_scan_determinismE0ELb1ELb1ES3_N6thrust23THRUST_200600_302600_NS6detail15normal_iteratorINS9_10device_ptrIsEEEESE_s11max_functorIsEsEEDaPvRmT3_T4_T5_mT6_P12ihipStream_tbENKUlT_T0_E_clISt17integral_constantIbLb0EESU_EEDaSP_SQ_EUlSP_E0_NS1_11comp_targetILNS1_3genE4ELNS1_11target_archE910ELNS1_3gpuE8ELNS1_3repE0EEENS1_30default_config_static_selectorELNS0_4arch9wavefront6targetE1EEEvT1_,@function
_ZN7rocprim17ROCPRIM_400000_NS6detail17trampoline_kernelINS0_14default_configENS1_20scan_config_selectorIsEEZZNS1_9scan_implILNS1_25lookback_scan_determinismE0ELb1ELb1ES3_N6thrust23THRUST_200600_302600_NS6detail15normal_iteratorINS9_10device_ptrIsEEEESE_s11max_functorIsEsEEDaPvRmT3_T4_T5_mT6_P12ihipStream_tbENKUlT_T0_E_clISt17integral_constantIbLb0EESU_EEDaSP_SQ_EUlSP_E0_NS1_11comp_targetILNS1_3genE4ELNS1_11target_archE910ELNS1_3gpuE8ELNS1_3repE0EEENS1_30default_config_static_selectorELNS0_4arch9wavefront6targetE1EEEvT1_: ; @_ZN7rocprim17ROCPRIM_400000_NS6detail17trampoline_kernelINS0_14default_configENS1_20scan_config_selectorIsEEZZNS1_9scan_implILNS1_25lookback_scan_determinismE0ELb1ELb1ES3_N6thrust23THRUST_200600_302600_NS6detail15normal_iteratorINS9_10device_ptrIsEEEESE_s11max_functorIsEsEEDaPvRmT3_T4_T5_mT6_P12ihipStream_tbENKUlT_T0_E_clISt17integral_constantIbLb0EESU_EEDaSP_SQ_EUlSP_E0_NS1_11comp_targetILNS1_3genE4ELNS1_11target_archE910ELNS1_3gpuE8ELNS1_3repE0EEENS1_30default_config_static_selectorELNS0_4arch9wavefront6targetE1EEEvT1_
; %bb.0:
	s_load_dwordx4 s[52:55], s[4:5], 0x0
	v_mov_b32_e32 v1, 0
	v_lshlrev_b32_e32 v14, 1, v0
	s_waitcnt lgkmcnt(0)
	global_load_ushort v2, v1, s[52:53]
	v_cmp_gt_u32_e32 vcc, s54, v0
	s_waitcnt vmcnt(0)
	v_mov_b32_e32 v3, v2
	s_and_saveexec_b64 s[0:1], vcc
	s_cbranch_execz .LBB2929_2
; %bb.1:
	global_load_ushort v3, v14, s[52:53]
.LBB2929_2:
	s_or_b64 exec, exec, s[0:1]
	v_or_b32_e32 v1, 64, v0
	v_cmp_gt_u32_e64 s[0:1], s54, v1
	v_mov_b32_e32 v4, v2
	s_and_saveexec_b64 s[2:3], s[0:1]
	s_cbranch_execz .LBB2929_4
; %bb.3:
	global_load_ushort v4, v14, s[52:53] offset:128
.LBB2929_4:
	s_or_b64 exec, exec, s[2:3]
	v_or_b32_e32 v1, 0x80, v0
	v_cmp_gt_u32_e64 s[2:3], s54, v1
	v_mov_b32_e32 v5, v2
	s_and_saveexec_b64 s[6:7], s[2:3]
	s_cbranch_execz .LBB2929_6
; %bb.5:
	global_load_ushort v5, v14, s[52:53] offset:256
.LBB2929_6:
	;; [unrolled: 9-line block ×22, first 2 shown]
	s_or_b64 exec, exec, s[46:47]
	v_or_b32_e32 v1, 0x5c0, v0
	v_cmp_gt_u32_e64 s[46:47], s54, v1
	v_cmp_le_u32_e64 s[50:51], s54, v1
	s_and_saveexec_b64 s[54:55], s[50:51]
	s_xor_b64 s[50:51], exec, s[54:55]
; %bb.47:
	v_mov_b32_e32 v1, 0
; %bb.48:
	s_or_saveexec_b64 s[50:51], s[50:51]
	s_load_dword s33, s[4:5], 0x10
	s_load_dwordx2 s[54:55], s[4:5], 0x18
	s_xor_b64 exec, exec, s[50:51]
	s_cbranch_execz .LBB2929_50
; %bb.49:
	global_load_ushort v2, v14, s[52:53] offset:2944
	v_mov_b32_e32 v1, 0
.LBB2929_50:
	s_or_b64 exec, exec, s[50:51]
	s_waitcnt vmcnt(0)
	ds_write_b16 v14, v3
	ds_write_b16 v14, v4 offset:128
	ds_write_b16 v14, v5 offset:256
	;; [unrolled: 1-line block ×23, first 2 shown]
	v_mad_u32_u24 v15, v0, 46, v14
	s_waitcnt lgkmcnt(0)
	; wave barrier
	s_waitcnt lgkmcnt(0)
	ds_read_b128 v[10:13], v15
	ds_read_b128 v[6:9], v15 offset:16
	ds_read_b128 v[2:5], v15 offset:32
	s_waitcnt lgkmcnt(0)
	; wave barrier
	s_waitcnt lgkmcnt(0)
	v_lshrrev_b32_e32 v25, 16, v11
	v_max_i16_sdwa v27, v10, v10 dst_sel:DWORD dst_unused:UNUSED_PAD src0_sel:DWORD src1_sel:WORD_1
	v_lshrrev_b32_e32 v24, 16, v12
	v_max3_i16 v27, v27, v11, v25
	v_lshrrev_b32_e32 v23, 16, v13
	v_max3_i16 v27, v27, v12, v24
	;; [unrolled: 2-line block ×10, first 2 shown]
	v_max3_i16 v27, v27, v5, v26
	v_mbcnt_lo_u32_b32 v26, -1, 0
	v_mbcnt_hi_u32_b32 v26, -1, v26
	v_and_b32_e32 v29, 0xffff, v27
	v_and_b32_e32 v28, 15, v26
	v_cmp_eq_u32_e64 s[4:5], 0, v28
	v_mov_b32_dpp v29, v29 row_shr:1 row_mask:0xf bank_mask:0xf
	v_max_i16_e32 v29, v29, v27
	v_cndmask_b32_e64 v27, v29, v27, s[4:5]
	v_and_b32_e32 v29, 0xffff, v27
	v_cmp_lt_u32_e64 s[4:5], 1, v28
	s_nop 0
	v_mov_b32_dpp v29, v29 row_shr:2 row_mask:0xf bank_mask:0xf
	v_max_i16_e32 v29, v29, v27
	v_cndmask_b32_e64 v27, v27, v29, s[4:5]
	v_and_b32_e32 v29, 0xffff, v27
	v_cmp_lt_u32_e64 s[4:5], 3, v28
	s_nop 0
	;; [unrolled: 6-line block ×3, first 2 shown]
	v_mov_b32_dpp v29, v29 row_shr:8 row_mask:0xf bank_mask:0xf
	v_max_i16_e32 v29, v29, v27
	v_cndmask_b32_e64 v27, v27, v29, s[4:5]
	v_and_b32_e32 v28, 0xffff, v27
	v_and_b32_e32 v29, 16, v26
	v_cmp_eq_u32_e64 s[4:5], 0, v29
	v_mov_b32_dpp v28, v28 row_bcast:15 row_mask:0xf bank_mask:0xf
	v_max_i16_e32 v28, v28, v27
	v_cndmask_b32_e64 v27, v28, v27, s[4:5]
	v_and_b32_e32 v28, 0xffff, v27
	v_cmp_lt_u32_e64 s[4:5], 31, v26
	s_nop 0
	v_mov_b32_dpp v28, v28 row_bcast:31 row_mask:0xf bank_mask:0xf
	v_max_i16_e32 v28, v28, v27
	v_cndmask_b32_e64 v27, v27, v28, s[4:5]
	v_cmp_eq_u32_e64 s[4:5], 63, v0
	s_and_saveexec_b64 s[50:51], s[4:5]
	s_cbranch_execz .LBB2929_52
; %bb.51:
	v_mov_b32_e32 v28, 0
	ds_write_b16 v28, v27
.LBB2929_52:
	s_or_b64 exec, exec, s[50:51]
	v_add_u32_e32 v28, -1, v26
	v_and_b32_e32 v29, 64, v26
	v_cmp_lt_i32_e64 s[4:5], v28, v29
	v_cndmask_b32_e64 v28, v28, v26, s[4:5]
	v_max_i16_e32 v27, s33, v27
	v_lshlrev_b32_e32 v28, 2, v28
	ds_bpermute_b32 v27, v28, v27
	v_cmp_eq_u32_e64 s[4:5], 0, v26
	v_cmp_eq_u32_e64 s[50:51], 0, v0
	v_mov_b32_e32 v26, s33
	s_or_b64 s[4:5], s[50:51], s[4:5]
	s_waitcnt lgkmcnt(0)
	v_cndmask_b32_e64 v26, v27, v26, s[4:5]
	v_max_i16_e32 v27, v26, v10
	v_max_i16_sdwa v10, v27, v10 dst_sel:DWORD dst_unused:UNUSED_PAD src0_sel:DWORD src1_sel:WORD_1
	v_max_i16_e32 v11, v10, v11
	v_max_i16_e32 v25, v11, v25
	;; [unrolled: 1-line block ×20, first 2 shown]
	s_mov_b32 s4, 0x5040100
	v_max_i16_e32 v31, v16, v5
	v_perm_b32 v2, v27, v26, s4
	v_perm_b32 v3, v11, v10, s4
	;; [unrolled: 1-line block ×4, first 2 shown]
	s_waitcnt lgkmcnt(0)
	; wave barrier
	s_waitcnt lgkmcnt(0)
	s_waitcnt lgkmcnt(0)
	; wave barrier
	ds_write_b128 v15, v[2:5]
	v_perm_b32 v2, v6, v23, s4
	v_perm_b32 v3, v7, v22, s4
	;; [unrolled: 1-line block ×4, first 2 shown]
	ds_write_b128 v15, v[2:5] offset:16
	v_perm_b32 v2, v28, v19, s4
	v_perm_b32 v3, v29, v18, s4
	;; [unrolled: 1-line block ×4, first 2 shown]
	s_movk_i32 s4, 0xffd2
	ds_write_b128 v15, v[2:5] offset:32
	v_mad_i32_i24 v2, v0, s4, v15
	s_waitcnt lgkmcnt(0)
	; wave barrier
	s_waitcnt lgkmcnt(0)
	ds_read_u16 v25, v2 offset:128
	ds_read_u16 v24, v2 offset:256
	;; [unrolled: 1-line block ×23, first 2 shown]
	v_lshlrev_b64 v[0:1], 1, v[0:1]
	v_mov_b32_e32 v26, s55
	v_add_co_u32_e64 v0, s[4:5], s54, v0
	v_addc_co_u32_e64 v1, s[4:5], v26, v1, s[4:5]
	s_and_saveexec_b64 s[4:5], vcc
	s_cbranch_execnz .LBB2929_77
; %bb.53:
	s_or_b64 exec, exec, s[4:5]
	s_and_saveexec_b64 s[4:5], s[0:1]
	s_cbranch_execnz .LBB2929_78
.LBB2929_54:
	s_or_b64 exec, exec, s[4:5]
	s_and_saveexec_b64 s[0:1], s[2:3]
	s_cbranch_execnz .LBB2929_79
.LBB2929_55:
	s_or_b64 exec, exec, s[0:1]
	s_and_saveexec_b64 s[0:1], s[48:49]
	s_cbranch_execnz .LBB2929_80
.LBB2929_56:
	s_or_b64 exec, exec, s[0:1]
	s_and_saveexec_b64 s[0:1], s[6:7]
	s_cbranch_execnz .LBB2929_81
.LBB2929_57:
	s_or_b64 exec, exec, s[0:1]
	s_and_saveexec_b64 s[0:1], s[8:9]
	s_cbranch_execnz .LBB2929_82
.LBB2929_58:
	s_or_b64 exec, exec, s[0:1]
	s_and_saveexec_b64 s[0:1], s[10:11]
	s_cbranch_execnz .LBB2929_83
.LBB2929_59:
	s_or_b64 exec, exec, s[0:1]
	s_and_saveexec_b64 s[0:1], s[12:13]
	s_cbranch_execnz .LBB2929_84
.LBB2929_60:
	s_or_b64 exec, exec, s[0:1]
	s_and_saveexec_b64 s[0:1], s[14:15]
	s_cbranch_execnz .LBB2929_85
.LBB2929_61:
	s_or_b64 exec, exec, s[0:1]
	s_and_saveexec_b64 s[0:1], s[16:17]
	s_cbranch_execnz .LBB2929_86
.LBB2929_62:
	s_or_b64 exec, exec, s[0:1]
	s_and_saveexec_b64 s[0:1], s[18:19]
	s_cbranch_execnz .LBB2929_87
.LBB2929_63:
	s_or_b64 exec, exec, s[0:1]
	s_and_saveexec_b64 s[0:1], s[20:21]
	s_cbranch_execnz .LBB2929_88
.LBB2929_64:
	s_or_b64 exec, exec, s[0:1]
	s_and_saveexec_b64 s[0:1], s[22:23]
	s_cbranch_execnz .LBB2929_89
.LBB2929_65:
	s_or_b64 exec, exec, s[0:1]
	s_and_saveexec_b64 s[0:1], s[24:25]
	s_cbranch_execnz .LBB2929_90
.LBB2929_66:
	s_or_b64 exec, exec, s[0:1]
	s_and_saveexec_b64 s[0:1], s[26:27]
	s_cbranch_execnz .LBB2929_91
.LBB2929_67:
	s_or_b64 exec, exec, s[0:1]
	s_and_saveexec_b64 s[0:1], s[28:29]
	s_cbranch_execnz .LBB2929_92
.LBB2929_68:
	s_or_b64 exec, exec, s[0:1]
	s_and_saveexec_b64 s[0:1], s[30:31]
	s_cbranch_execnz .LBB2929_93
.LBB2929_69:
	s_or_b64 exec, exec, s[0:1]
	s_and_saveexec_b64 s[0:1], s[34:35]
	s_cbranch_execnz .LBB2929_94
.LBB2929_70:
	s_or_b64 exec, exec, s[0:1]
	s_and_saveexec_b64 s[0:1], s[36:37]
	s_cbranch_execnz .LBB2929_95
.LBB2929_71:
	s_or_b64 exec, exec, s[0:1]
	s_and_saveexec_b64 s[0:1], s[38:39]
	s_cbranch_execnz .LBB2929_96
.LBB2929_72:
	s_or_b64 exec, exec, s[0:1]
	s_and_saveexec_b64 s[0:1], s[40:41]
	s_cbranch_execnz .LBB2929_97
.LBB2929_73:
	s_or_b64 exec, exec, s[0:1]
	s_and_saveexec_b64 s[0:1], s[42:43]
	s_cbranch_execnz .LBB2929_98
.LBB2929_74:
	s_or_b64 exec, exec, s[0:1]
	s_and_saveexec_b64 s[0:1], s[44:45]
	s_cbranch_execnz .LBB2929_99
.LBB2929_75:
	s_or_b64 exec, exec, s[0:1]
	s_and_saveexec_b64 s[0:1], s[46:47]
	s_cbranch_execnz .LBB2929_100
.LBB2929_76:
	s_endpgm
.LBB2929_77:
	ds_read_u16 v14, v14
	s_waitcnt lgkmcnt(0)
	global_store_short v[0:1], v14, off
	s_or_b64 exec, exec, s[4:5]
	s_and_saveexec_b64 s[4:5], s[0:1]
	s_cbranch_execz .LBB2929_54
.LBB2929_78:
	s_waitcnt lgkmcnt(14)
	global_store_short v[0:1], v25, off offset:128
	s_or_b64 exec, exec, s[4:5]
	s_and_saveexec_b64 s[0:1], s[2:3]
	s_cbranch_execz .LBB2929_55
.LBB2929_79:
	s_waitcnt lgkmcnt(14)
	global_store_short v[0:1], v24, off offset:256
	s_or_b64 exec, exec, s[0:1]
	s_and_saveexec_b64 s[0:1], s[48:49]
	s_cbranch_execz .LBB2929_56
.LBB2929_80:
	s_waitcnt lgkmcnt(14)
	global_store_short v[0:1], v23, off offset:384
	s_or_b64 exec, exec, s[0:1]
	s_and_saveexec_b64 s[0:1], s[6:7]
	s_cbranch_execz .LBB2929_57
.LBB2929_81:
	s_waitcnt lgkmcnt(14)
	global_store_short v[0:1], v22, off offset:512
	s_or_b64 exec, exec, s[0:1]
	s_and_saveexec_b64 s[0:1], s[8:9]
	s_cbranch_execz .LBB2929_58
.LBB2929_82:
	s_waitcnt lgkmcnt(14)
	global_store_short v[0:1], v21, off offset:640
	s_or_b64 exec, exec, s[0:1]
	s_and_saveexec_b64 s[0:1], s[10:11]
	s_cbranch_execz .LBB2929_59
.LBB2929_83:
	s_waitcnt lgkmcnt(14)
	global_store_short v[0:1], v20, off offset:768
	s_or_b64 exec, exec, s[0:1]
	s_and_saveexec_b64 s[0:1], s[12:13]
	s_cbranch_execz .LBB2929_60
.LBB2929_84:
	s_waitcnt lgkmcnt(14)
	global_store_short v[0:1], v19, off offset:896
	s_or_b64 exec, exec, s[0:1]
	s_and_saveexec_b64 s[0:1], s[14:15]
	s_cbranch_execz .LBB2929_61
.LBB2929_85:
	s_waitcnt lgkmcnt(14)
	global_store_short v[0:1], v18, off offset:1024
	s_or_b64 exec, exec, s[0:1]
	s_and_saveexec_b64 s[0:1], s[16:17]
	s_cbranch_execz .LBB2929_62
.LBB2929_86:
	s_waitcnt lgkmcnt(14)
	global_store_short v[0:1], v17, off offset:1152
	s_or_b64 exec, exec, s[0:1]
	s_and_saveexec_b64 s[0:1], s[18:19]
	s_cbranch_execz .LBB2929_63
.LBB2929_87:
	s_waitcnt lgkmcnt(13)
	global_store_short v[0:1], v16, off offset:1280
	s_or_b64 exec, exec, s[0:1]
	s_and_saveexec_b64 s[0:1], s[20:21]
	s_cbranch_execz .LBB2929_64
.LBB2929_88:
	s_waitcnt lgkmcnt(12)
	global_store_short v[0:1], v15, off offset:1408
	s_or_b64 exec, exec, s[0:1]
	s_and_saveexec_b64 s[0:1], s[22:23]
	s_cbranch_execz .LBB2929_65
.LBB2929_89:
	s_waitcnt lgkmcnt(11)
	global_store_short v[0:1], v13, off offset:1536
	s_or_b64 exec, exec, s[0:1]
	s_and_saveexec_b64 s[0:1], s[24:25]
	s_cbranch_execz .LBB2929_66
.LBB2929_90:
	s_waitcnt lgkmcnt(10)
	global_store_short v[0:1], v12, off offset:1664
	s_or_b64 exec, exec, s[0:1]
	s_and_saveexec_b64 s[0:1], s[26:27]
	s_cbranch_execz .LBB2929_67
.LBB2929_91:
	s_waitcnt lgkmcnt(9)
	global_store_short v[0:1], v11, off offset:1792
	s_or_b64 exec, exec, s[0:1]
	s_and_saveexec_b64 s[0:1], s[28:29]
	s_cbranch_execz .LBB2929_68
.LBB2929_92:
	s_waitcnt lgkmcnt(8)
	global_store_short v[0:1], v10, off offset:1920
	s_or_b64 exec, exec, s[0:1]
	s_and_saveexec_b64 s[0:1], s[30:31]
	s_cbranch_execz .LBB2929_69
.LBB2929_93:
	s_waitcnt lgkmcnt(1)
	global_store_short v[0:1], v9, off offset:2048
	s_or_b64 exec, exec, s[0:1]
	s_and_saveexec_b64 s[0:1], s[34:35]
	s_cbranch_execz .LBB2929_70
.LBB2929_94:
	s_waitcnt lgkmcnt(7)
	global_store_short v[0:1], v8, off offset:2176
	s_or_b64 exec, exec, s[0:1]
	s_and_saveexec_b64 s[0:1], s[36:37]
	s_cbranch_execz .LBB2929_71
.LBB2929_95:
	s_waitcnt lgkmcnt(6)
	global_store_short v[0:1], v7, off offset:2304
	s_or_b64 exec, exec, s[0:1]
	s_and_saveexec_b64 s[0:1], s[38:39]
	s_cbranch_execz .LBB2929_72
.LBB2929_96:
	s_waitcnt lgkmcnt(5)
	global_store_short v[0:1], v6, off offset:2432
	s_or_b64 exec, exec, s[0:1]
	s_and_saveexec_b64 s[0:1], s[40:41]
	s_cbranch_execz .LBB2929_73
.LBB2929_97:
	s_waitcnt lgkmcnt(4)
	global_store_short v[0:1], v5, off offset:2560
	s_or_b64 exec, exec, s[0:1]
	s_and_saveexec_b64 s[0:1], s[42:43]
	s_cbranch_execz .LBB2929_74
.LBB2929_98:
	s_waitcnt lgkmcnt(3)
	global_store_short v[0:1], v4, off offset:2688
	s_or_b64 exec, exec, s[0:1]
	s_and_saveexec_b64 s[0:1], s[44:45]
	s_cbranch_execz .LBB2929_75
.LBB2929_99:
	s_waitcnt lgkmcnt(2)
	global_store_short v[0:1], v3, off offset:2816
	s_or_b64 exec, exec, s[0:1]
	s_and_saveexec_b64 s[0:1], s[46:47]
	s_cbranch_execz .LBB2929_76
.LBB2929_100:
	s_waitcnt lgkmcnt(0)
	global_store_short v[0:1], v2, off offset:2944
	s_endpgm
	.section	.rodata,"a",@progbits
	.p2align	6, 0x0
	.amdhsa_kernel _ZN7rocprim17ROCPRIM_400000_NS6detail17trampoline_kernelINS0_14default_configENS1_20scan_config_selectorIsEEZZNS1_9scan_implILNS1_25lookback_scan_determinismE0ELb1ELb1ES3_N6thrust23THRUST_200600_302600_NS6detail15normal_iteratorINS9_10device_ptrIsEEEESE_s11max_functorIsEsEEDaPvRmT3_T4_T5_mT6_P12ihipStream_tbENKUlT_T0_E_clISt17integral_constantIbLb0EESU_EEDaSP_SQ_EUlSP_E0_NS1_11comp_targetILNS1_3genE4ELNS1_11target_archE910ELNS1_3gpuE8ELNS1_3repE0EEENS1_30default_config_static_selectorELNS0_4arch9wavefront6targetE1EEEvT1_
		.amdhsa_group_segment_fixed_size 3072
		.amdhsa_private_segment_fixed_size 0
		.amdhsa_kernarg_size 32
		.amdhsa_user_sgpr_count 6
		.amdhsa_user_sgpr_private_segment_buffer 1
		.amdhsa_user_sgpr_dispatch_ptr 0
		.amdhsa_user_sgpr_queue_ptr 0
		.amdhsa_user_sgpr_kernarg_segment_ptr 1
		.amdhsa_user_sgpr_dispatch_id 0
		.amdhsa_user_sgpr_flat_scratch_init 0
		.amdhsa_user_sgpr_kernarg_preload_length 0
		.amdhsa_user_sgpr_kernarg_preload_offset 0
		.amdhsa_user_sgpr_private_segment_size 0
		.amdhsa_uses_dynamic_stack 0
		.amdhsa_system_sgpr_private_segment_wavefront_offset 0
		.amdhsa_system_sgpr_workgroup_id_x 1
		.amdhsa_system_sgpr_workgroup_id_y 0
		.amdhsa_system_sgpr_workgroup_id_z 0
		.amdhsa_system_sgpr_workgroup_info 0
		.amdhsa_system_vgpr_workitem_id 0
		.amdhsa_next_free_vgpr 32
		.amdhsa_next_free_sgpr 56
		.amdhsa_accum_offset 32
		.amdhsa_reserve_vcc 1
		.amdhsa_reserve_flat_scratch 0
		.amdhsa_float_round_mode_32 0
		.amdhsa_float_round_mode_16_64 0
		.amdhsa_float_denorm_mode_32 3
		.amdhsa_float_denorm_mode_16_64 3
		.amdhsa_dx10_clamp 1
		.amdhsa_ieee_mode 1
		.amdhsa_fp16_overflow 0
		.amdhsa_tg_split 0
		.amdhsa_exception_fp_ieee_invalid_op 0
		.amdhsa_exception_fp_denorm_src 0
		.amdhsa_exception_fp_ieee_div_zero 0
		.amdhsa_exception_fp_ieee_overflow 0
		.amdhsa_exception_fp_ieee_underflow 0
		.amdhsa_exception_fp_ieee_inexact 0
		.amdhsa_exception_int_div_zero 0
	.end_amdhsa_kernel
	.section	.text._ZN7rocprim17ROCPRIM_400000_NS6detail17trampoline_kernelINS0_14default_configENS1_20scan_config_selectorIsEEZZNS1_9scan_implILNS1_25lookback_scan_determinismE0ELb1ELb1ES3_N6thrust23THRUST_200600_302600_NS6detail15normal_iteratorINS9_10device_ptrIsEEEESE_s11max_functorIsEsEEDaPvRmT3_T4_T5_mT6_P12ihipStream_tbENKUlT_T0_E_clISt17integral_constantIbLb0EESU_EEDaSP_SQ_EUlSP_E0_NS1_11comp_targetILNS1_3genE4ELNS1_11target_archE910ELNS1_3gpuE8ELNS1_3repE0EEENS1_30default_config_static_selectorELNS0_4arch9wavefront6targetE1EEEvT1_,"axG",@progbits,_ZN7rocprim17ROCPRIM_400000_NS6detail17trampoline_kernelINS0_14default_configENS1_20scan_config_selectorIsEEZZNS1_9scan_implILNS1_25lookback_scan_determinismE0ELb1ELb1ES3_N6thrust23THRUST_200600_302600_NS6detail15normal_iteratorINS9_10device_ptrIsEEEESE_s11max_functorIsEsEEDaPvRmT3_T4_T5_mT6_P12ihipStream_tbENKUlT_T0_E_clISt17integral_constantIbLb0EESU_EEDaSP_SQ_EUlSP_E0_NS1_11comp_targetILNS1_3genE4ELNS1_11target_archE910ELNS1_3gpuE8ELNS1_3repE0EEENS1_30default_config_static_selectorELNS0_4arch9wavefront6targetE1EEEvT1_,comdat
.Lfunc_end2929:
	.size	_ZN7rocprim17ROCPRIM_400000_NS6detail17trampoline_kernelINS0_14default_configENS1_20scan_config_selectorIsEEZZNS1_9scan_implILNS1_25lookback_scan_determinismE0ELb1ELb1ES3_N6thrust23THRUST_200600_302600_NS6detail15normal_iteratorINS9_10device_ptrIsEEEESE_s11max_functorIsEsEEDaPvRmT3_T4_T5_mT6_P12ihipStream_tbENKUlT_T0_E_clISt17integral_constantIbLb0EESU_EEDaSP_SQ_EUlSP_E0_NS1_11comp_targetILNS1_3genE4ELNS1_11target_archE910ELNS1_3gpuE8ELNS1_3repE0EEENS1_30default_config_static_selectorELNS0_4arch9wavefront6targetE1EEEvT1_, .Lfunc_end2929-_ZN7rocprim17ROCPRIM_400000_NS6detail17trampoline_kernelINS0_14default_configENS1_20scan_config_selectorIsEEZZNS1_9scan_implILNS1_25lookback_scan_determinismE0ELb1ELb1ES3_N6thrust23THRUST_200600_302600_NS6detail15normal_iteratorINS9_10device_ptrIsEEEESE_s11max_functorIsEsEEDaPvRmT3_T4_T5_mT6_P12ihipStream_tbENKUlT_T0_E_clISt17integral_constantIbLb0EESU_EEDaSP_SQ_EUlSP_E0_NS1_11comp_targetILNS1_3genE4ELNS1_11target_archE910ELNS1_3gpuE8ELNS1_3repE0EEENS1_30default_config_static_selectorELNS0_4arch9wavefront6targetE1EEEvT1_
                                        ; -- End function
	.section	.AMDGPU.csdata,"",@progbits
; Kernel info:
; codeLenInByte = 3096
; NumSgprs: 60
; NumVgprs: 32
; NumAgprs: 0
; TotalNumVgprs: 32
; ScratchSize: 0
; MemoryBound: 0
; FloatMode: 240
; IeeeMode: 1
; LDSByteSize: 3072 bytes/workgroup (compile time only)
; SGPRBlocks: 7
; VGPRBlocks: 3
; NumSGPRsForWavesPerEU: 60
; NumVGPRsForWavesPerEU: 32
; AccumOffset: 32
; Occupancy: 6
; WaveLimiterHint : 0
; COMPUTE_PGM_RSRC2:SCRATCH_EN: 0
; COMPUTE_PGM_RSRC2:USER_SGPR: 6
; COMPUTE_PGM_RSRC2:TRAP_HANDLER: 0
; COMPUTE_PGM_RSRC2:TGID_X_EN: 1
; COMPUTE_PGM_RSRC2:TGID_Y_EN: 0
; COMPUTE_PGM_RSRC2:TGID_Z_EN: 0
; COMPUTE_PGM_RSRC2:TIDIG_COMP_CNT: 0
; COMPUTE_PGM_RSRC3_GFX90A:ACCUM_OFFSET: 7
; COMPUTE_PGM_RSRC3_GFX90A:TG_SPLIT: 0
	.section	.text._ZN7rocprim17ROCPRIM_400000_NS6detail17trampoline_kernelINS0_14default_configENS1_20scan_config_selectorIsEEZZNS1_9scan_implILNS1_25lookback_scan_determinismE0ELb1ELb1ES3_N6thrust23THRUST_200600_302600_NS6detail15normal_iteratorINS9_10device_ptrIsEEEESE_s11max_functorIsEsEEDaPvRmT3_T4_T5_mT6_P12ihipStream_tbENKUlT_T0_E_clISt17integral_constantIbLb0EESU_EEDaSP_SQ_EUlSP_E0_NS1_11comp_targetILNS1_3genE3ELNS1_11target_archE908ELNS1_3gpuE7ELNS1_3repE0EEENS1_30default_config_static_selectorELNS0_4arch9wavefront6targetE1EEEvT1_,"axG",@progbits,_ZN7rocprim17ROCPRIM_400000_NS6detail17trampoline_kernelINS0_14default_configENS1_20scan_config_selectorIsEEZZNS1_9scan_implILNS1_25lookback_scan_determinismE0ELb1ELb1ES3_N6thrust23THRUST_200600_302600_NS6detail15normal_iteratorINS9_10device_ptrIsEEEESE_s11max_functorIsEsEEDaPvRmT3_T4_T5_mT6_P12ihipStream_tbENKUlT_T0_E_clISt17integral_constantIbLb0EESU_EEDaSP_SQ_EUlSP_E0_NS1_11comp_targetILNS1_3genE3ELNS1_11target_archE908ELNS1_3gpuE7ELNS1_3repE0EEENS1_30default_config_static_selectorELNS0_4arch9wavefront6targetE1EEEvT1_,comdat
	.protected	_ZN7rocprim17ROCPRIM_400000_NS6detail17trampoline_kernelINS0_14default_configENS1_20scan_config_selectorIsEEZZNS1_9scan_implILNS1_25lookback_scan_determinismE0ELb1ELb1ES3_N6thrust23THRUST_200600_302600_NS6detail15normal_iteratorINS9_10device_ptrIsEEEESE_s11max_functorIsEsEEDaPvRmT3_T4_T5_mT6_P12ihipStream_tbENKUlT_T0_E_clISt17integral_constantIbLb0EESU_EEDaSP_SQ_EUlSP_E0_NS1_11comp_targetILNS1_3genE3ELNS1_11target_archE908ELNS1_3gpuE7ELNS1_3repE0EEENS1_30default_config_static_selectorELNS0_4arch9wavefront6targetE1EEEvT1_ ; -- Begin function _ZN7rocprim17ROCPRIM_400000_NS6detail17trampoline_kernelINS0_14default_configENS1_20scan_config_selectorIsEEZZNS1_9scan_implILNS1_25lookback_scan_determinismE0ELb1ELb1ES3_N6thrust23THRUST_200600_302600_NS6detail15normal_iteratorINS9_10device_ptrIsEEEESE_s11max_functorIsEsEEDaPvRmT3_T4_T5_mT6_P12ihipStream_tbENKUlT_T0_E_clISt17integral_constantIbLb0EESU_EEDaSP_SQ_EUlSP_E0_NS1_11comp_targetILNS1_3genE3ELNS1_11target_archE908ELNS1_3gpuE7ELNS1_3repE0EEENS1_30default_config_static_selectorELNS0_4arch9wavefront6targetE1EEEvT1_
	.globl	_ZN7rocprim17ROCPRIM_400000_NS6detail17trampoline_kernelINS0_14default_configENS1_20scan_config_selectorIsEEZZNS1_9scan_implILNS1_25lookback_scan_determinismE0ELb1ELb1ES3_N6thrust23THRUST_200600_302600_NS6detail15normal_iteratorINS9_10device_ptrIsEEEESE_s11max_functorIsEsEEDaPvRmT3_T4_T5_mT6_P12ihipStream_tbENKUlT_T0_E_clISt17integral_constantIbLb0EESU_EEDaSP_SQ_EUlSP_E0_NS1_11comp_targetILNS1_3genE3ELNS1_11target_archE908ELNS1_3gpuE7ELNS1_3repE0EEENS1_30default_config_static_selectorELNS0_4arch9wavefront6targetE1EEEvT1_
	.p2align	8
	.type	_ZN7rocprim17ROCPRIM_400000_NS6detail17trampoline_kernelINS0_14default_configENS1_20scan_config_selectorIsEEZZNS1_9scan_implILNS1_25lookback_scan_determinismE0ELb1ELb1ES3_N6thrust23THRUST_200600_302600_NS6detail15normal_iteratorINS9_10device_ptrIsEEEESE_s11max_functorIsEsEEDaPvRmT3_T4_T5_mT6_P12ihipStream_tbENKUlT_T0_E_clISt17integral_constantIbLb0EESU_EEDaSP_SQ_EUlSP_E0_NS1_11comp_targetILNS1_3genE3ELNS1_11target_archE908ELNS1_3gpuE7ELNS1_3repE0EEENS1_30default_config_static_selectorELNS0_4arch9wavefront6targetE1EEEvT1_,@function
_ZN7rocprim17ROCPRIM_400000_NS6detail17trampoline_kernelINS0_14default_configENS1_20scan_config_selectorIsEEZZNS1_9scan_implILNS1_25lookback_scan_determinismE0ELb1ELb1ES3_N6thrust23THRUST_200600_302600_NS6detail15normal_iteratorINS9_10device_ptrIsEEEESE_s11max_functorIsEsEEDaPvRmT3_T4_T5_mT6_P12ihipStream_tbENKUlT_T0_E_clISt17integral_constantIbLb0EESU_EEDaSP_SQ_EUlSP_E0_NS1_11comp_targetILNS1_3genE3ELNS1_11target_archE908ELNS1_3gpuE7ELNS1_3repE0EEENS1_30default_config_static_selectorELNS0_4arch9wavefront6targetE1EEEvT1_: ; @_ZN7rocprim17ROCPRIM_400000_NS6detail17trampoline_kernelINS0_14default_configENS1_20scan_config_selectorIsEEZZNS1_9scan_implILNS1_25lookback_scan_determinismE0ELb1ELb1ES3_N6thrust23THRUST_200600_302600_NS6detail15normal_iteratorINS9_10device_ptrIsEEEESE_s11max_functorIsEsEEDaPvRmT3_T4_T5_mT6_P12ihipStream_tbENKUlT_T0_E_clISt17integral_constantIbLb0EESU_EEDaSP_SQ_EUlSP_E0_NS1_11comp_targetILNS1_3genE3ELNS1_11target_archE908ELNS1_3gpuE7ELNS1_3repE0EEENS1_30default_config_static_selectorELNS0_4arch9wavefront6targetE1EEEvT1_
; %bb.0:
	.section	.rodata,"a",@progbits
	.p2align	6, 0x0
	.amdhsa_kernel _ZN7rocprim17ROCPRIM_400000_NS6detail17trampoline_kernelINS0_14default_configENS1_20scan_config_selectorIsEEZZNS1_9scan_implILNS1_25lookback_scan_determinismE0ELb1ELb1ES3_N6thrust23THRUST_200600_302600_NS6detail15normal_iteratorINS9_10device_ptrIsEEEESE_s11max_functorIsEsEEDaPvRmT3_T4_T5_mT6_P12ihipStream_tbENKUlT_T0_E_clISt17integral_constantIbLb0EESU_EEDaSP_SQ_EUlSP_E0_NS1_11comp_targetILNS1_3genE3ELNS1_11target_archE908ELNS1_3gpuE7ELNS1_3repE0EEENS1_30default_config_static_selectorELNS0_4arch9wavefront6targetE1EEEvT1_
		.amdhsa_group_segment_fixed_size 0
		.amdhsa_private_segment_fixed_size 0
		.amdhsa_kernarg_size 32
		.amdhsa_user_sgpr_count 6
		.amdhsa_user_sgpr_private_segment_buffer 1
		.amdhsa_user_sgpr_dispatch_ptr 0
		.amdhsa_user_sgpr_queue_ptr 0
		.amdhsa_user_sgpr_kernarg_segment_ptr 1
		.amdhsa_user_sgpr_dispatch_id 0
		.amdhsa_user_sgpr_flat_scratch_init 0
		.amdhsa_user_sgpr_kernarg_preload_length 0
		.amdhsa_user_sgpr_kernarg_preload_offset 0
		.amdhsa_user_sgpr_private_segment_size 0
		.amdhsa_uses_dynamic_stack 0
		.amdhsa_system_sgpr_private_segment_wavefront_offset 0
		.amdhsa_system_sgpr_workgroup_id_x 1
		.amdhsa_system_sgpr_workgroup_id_y 0
		.amdhsa_system_sgpr_workgroup_id_z 0
		.amdhsa_system_sgpr_workgroup_info 0
		.amdhsa_system_vgpr_workitem_id 0
		.amdhsa_next_free_vgpr 1
		.amdhsa_next_free_sgpr 0
		.amdhsa_accum_offset 4
		.amdhsa_reserve_vcc 0
		.amdhsa_reserve_flat_scratch 0
		.amdhsa_float_round_mode_32 0
		.amdhsa_float_round_mode_16_64 0
		.amdhsa_float_denorm_mode_32 3
		.amdhsa_float_denorm_mode_16_64 3
		.amdhsa_dx10_clamp 1
		.amdhsa_ieee_mode 1
		.amdhsa_fp16_overflow 0
		.amdhsa_tg_split 0
		.amdhsa_exception_fp_ieee_invalid_op 0
		.amdhsa_exception_fp_denorm_src 0
		.amdhsa_exception_fp_ieee_div_zero 0
		.amdhsa_exception_fp_ieee_overflow 0
		.amdhsa_exception_fp_ieee_underflow 0
		.amdhsa_exception_fp_ieee_inexact 0
		.amdhsa_exception_int_div_zero 0
	.end_amdhsa_kernel
	.section	.text._ZN7rocprim17ROCPRIM_400000_NS6detail17trampoline_kernelINS0_14default_configENS1_20scan_config_selectorIsEEZZNS1_9scan_implILNS1_25lookback_scan_determinismE0ELb1ELb1ES3_N6thrust23THRUST_200600_302600_NS6detail15normal_iteratorINS9_10device_ptrIsEEEESE_s11max_functorIsEsEEDaPvRmT3_T4_T5_mT6_P12ihipStream_tbENKUlT_T0_E_clISt17integral_constantIbLb0EESU_EEDaSP_SQ_EUlSP_E0_NS1_11comp_targetILNS1_3genE3ELNS1_11target_archE908ELNS1_3gpuE7ELNS1_3repE0EEENS1_30default_config_static_selectorELNS0_4arch9wavefront6targetE1EEEvT1_,"axG",@progbits,_ZN7rocprim17ROCPRIM_400000_NS6detail17trampoline_kernelINS0_14default_configENS1_20scan_config_selectorIsEEZZNS1_9scan_implILNS1_25lookback_scan_determinismE0ELb1ELb1ES3_N6thrust23THRUST_200600_302600_NS6detail15normal_iteratorINS9_10device_ptrIsEEEESE_s11max_functorIsEsEEDaPvRmT3_T4_T5_mT6_P12ihipStream_tbENKUlT_T0_E_clISt17integral_constantIbLb0EESU_EEDaSP_SQ_EUlSP_E0_NS1_11comp_targetILNS1_3genE3ELNS1_11target_archE908ELNS1_3gpuE7ELNS1_3repE0EEENS1_30default_config_static_selectorELNS0_4arch9wavefront6targetE1EEEvT1_,comdat
.Lfunc_end2930:
	.size	_ZN7rocprim17ROCPRIM_400000_NS6detail17trampoline_kernelINS0_14default_configENS1_20scan_config_selectorIsEEZZNS1_9scan_implILNS1_25lookback_scan_determinismE0ELb1ELb1ES3_N6thrust23THRUST_200600_302600_NS6detail15normal_iteratorINS9_10device_ptrIsEEEESE_s11max_functorIsEsEEDaPvRmT3_T4_T5_mT6_P12ihipStream_tbENKUlT_T0_E_clISt17integral_constantIbLb0EESU_EEDaSP_SQ_EUlSP_E0_NS1_11comp_targetILNS1_3genE3ELNS1_11target_archE908ELNS1_3gpuE7ELNS1_3repE0EEENS1_30default_config_static_selectorELNS0_4arch9wavefront6targetE1EEEvT1_, .Lfunc_end2930-_ZN7rocprim17ROCPRIM_400000_NS6detail17trampoline_kernelINS0_14default_configENS1_20scan_config_selectorIsEEZZNS1_9scan_implILNS1_25lookback_scan_determinismE0ELb1ELb1ES3_N6thrust23THRUST_200600_302600_NS6detail15normal_iteratorINS9_10device_ptrIsEEEESE_s11max_functorIsEsEEDaPvRmT3_T4_T5_mT6_P12ihipStream_tbENKUlT_T0_E_clISt17integral_constantIbLb0EESU_EEDaSP_SQ_EUlSP_E0_NS1_11comp_targetILNS1_3genE3ELNS1_11target_archE908ELNS1_3gpuE7ELNS1_3repE0EEENS1_30default_config_static_selectorELNS0_4arch9wavefront6targetE1EEEvT1_
                                        ; -- End function
	.section	.AMDGPU.csdata,"",@progbits
; Kernel info:
; codeLenInByte = 0
; NumSgprs: 4
; NumVgprs: 0
; NumAgprs: 0
; TotalNumVgprs: 0
; ScratchSize: 0
; MemoryBound: 0
; FloatMode: 240
; IeeeMode: 1
; LDSByteSize: 0 bytes/workgroup (compile time only)
; SGPRBlocks: 0
; VGPRBlocks: 0
; NumSGPRsForWavesPerEU: 4
; NumVGPRsForWavesPerEU: 1
; AccumOffset: 4
; Occupancy: 8
; WaveLimiterHint : 0
; COMPUTE_PGM_RSRC2:SCRATCH_EN: 0
; COMPUTE_PGM_RSRC2:USER_SGPR: 6
; COMPUTE_PGM_RSRC2:TRAP_HANDLER: 0
; COMPUTE_PGM_RSRC2:TGID_X_EN: 1
; COMPUTE_PGM_RSRC2:TGID_Y_EN: 0
; COMPUTE_PGM_RSRC2:TGID_Z_EN: 0
; COMPUTE_PGM_RSRC2:TIDIG_COMP_CNT: 0
; COMPUTE_PGM_RSRC3_GFX90A:ACCUM_OFFSET: 0
; COMPUTE_PGM_RSRC3_GFX90A:TG_SPLIT: 0
	.section	.text._ZN7rocprim17ROCPRIM_400000_NS6detail17trampoline_kernelINS0_14default_configENS1_20scan_config_selectorIsEEZZNS1_9scan_implILNS1_25lookback_scan_determinismE0ELb1ELb1ES3_N6thrust23THRUST_200600_302600_NS6detail15normal_iteratorINS9_10device_ptrIsEEEESE_s11max_functorIsEsEEDaPvRmT3_T4_T5_mT6_P12ihipStream_tbENKUlT_T0_E_clISt17integral_constantIbLb0EESU_EEDaSP_SQ_EUlSP_E0_NS1_11comp_targetILNS1_3genE2ELNS1_11target_archE906ELNS1_3gpuE6ELNS1_3repE0EEENS1_30default_config_static_selectorELNS0_4arch9wavefront6targetE1EEEvT1_,"axG",@progbits,_ZN7rocprim17ROCPRIM_400000_NS6detail17trampoline_kernelINS0_14default_configENS1_20scan_config_selectorIsEEZZNS1_9scan_implILNS1_25lookback_scan_determinismE0ELb1ELb1ES3_N6thrust23THRUST_200600_302600_NS6detail15normal_iteratorINS9_10device_ptrIsEEEESE_s11max_functorIsEsEEDaPvRmT3_T4_T5_mT6_P12ihipStream_tbENKUlT_T0_E_clISt17integral_constantIbLb0EESU_EEDaSP_SQ_EUlSP_E0_NS1_11comp_targetILNS1_3genE2ELNS1_11target_archE906ELNS1_3gpuE6ELNS1_3repE0EEENS1_30default_config_static_selectorELNS0_4arch9wavefront6targetE1EEEvT1_,comdat
	.protected	_ZN7rocprim17ROCPRIM_400000_NS6detail17trampoline_kernelINS0_14default_configENS1_20scan_config_selectorIsEEZZNS1_9scan_implILNS1_25lookback_scan_determinismE0ELb1ELb1ES3_N6thrust23THRUST_200600_302600_NS6detail15normal_iteratorINS9_10device_ptrIsEEEESE_s11max_functorIsEsEEDaPvRmT3_T4_T5_mT6_P12ihipStream_tbENKUlT_T0_E_clISt17integral_constantIbLb0EESU_EEDaSP_SQ_EUlSP_E0_NS1_11comp_targetILNS1_3genE2ELNS1_11target_archE906ELNS1_3gpuE6ELNS1_3repE0EEENS1_30default_config_static_selectorELNS0_4arch9wavefront6targetE1EEEvT1_ ; -- Begin function _ZN7rocprim17ROCPRIM_400000_NS6detail17trampoline_kernelINS0_14default_configENS1_20scan_config_selectorIsEEZZNS1_9scan_implILNS1_25lookback_scan_determinismE0ELb1ELb1ES3_N6thrust23THRUST_200600_302600_NS6detail15normal_iteratorINS9_10device_ptrIsEEEESE_s11max_functorIsEsEEDaPvRmT3_T4_T5_mT6_P12ihipStream_tbENKUlT_T0_E_clISt17integral_constantIbLb0EESU_EEDaSP_SQ_EUlSP_E0_NS1_11comp_targetILNS1_3genE2ELNS1_11target_archE906ELNS1_3gpuE6ELNS1_3repE0EEENS1_30default_config_static_selectorELNS0_4arch9wavefront6targetE1EEEvT1_
	.globl	_ZN7rocprim17ROCPRIM_400000_NS6detail17trampoline_kernelINS0_14default_configENS1_20scan_config_selectorIsEEZZNS1_9scan_implILNS1_25lookback_scan_determinismE0ELb1ELb1ES3_N6thrust23THRUST_200600_302600_NS6detail15normal_iteratorINS9_10device_ptrIsEEEESE_s11max_functorIsEsEEDaPvRmT3_T4_T5_mT6_P12ihipStream_tbENKUlT_T0_E_clISt17integral_constantIbLb0EESU_EEDaSP_SQ_EUlSP_E0_NS1_11comp_targetILNS1_3genE2ELNS1_11target_archE906ELNS1_3gpuE6ELNS1_3repE0EEENS1_30default_config_static_selectorELNS0_4arch9wavefront6targetE1EEEvT1_
	.p2align	8
	.type	_ZN7rocprim17ROCPRIM_400000_NS6detail17trampoline_kernelINS0_14default_configENS1_20scan_config_selectorIsEEZZNS1_9scan_implILNS1_25lookback_scan_determinismE0ELb1ELb1ES3_N6thrust23THRUST_200600_302600_NS6detail15normal_iteratorINS9_10device_ptrIsEEEESE_s11max_functorIsEsEEDaPvRmT3_T4_T5_mT6_P12ihipStream_tbENKUlT_T0_E_clISt17integral_constantIbLb0EESU_EEDaSP_SQ_EUlSP_E0_NS1_11comp_targetILNS1_3genE2ELNS1_11target_archE906ELNS1_3gpuE6ELNS1_3repE0EEENS1_30default_config_static_selectorELNS0_4arch9wavefront6targetE1EEEvT1_,@function
_ZN7rocprim17ROCPRIM_400000_NS6detail17trampoline_kernelINS0_14default_configENS1_20scan_config_selectorIsEEZZNS1_9scan_implILNS1_25lookback_scan_determinismE0ELb1ELb1ES3_N6thrust23THRUST_200600_302600_NS6detail15normal_iteratorINS9_10device_ptrIsEEEESE_s11max_functorIsEsEEDaPvRmT3_T4_T5_mT6_P12ihipStream_tbENKUlT_T0_E_clISt17integral_constantIbLb0EESU_EEDaSP_SQ_EUlSP_E0_NS1_11comp_targetILNS1_3genE2ELNS1_11target_archE906ELNS1_3gpuE6ELNS1_3repE0EEENS1_30default_config_static_selectorELNS0_4arch9wavefront6targetE1EEEvT1_: ; @_ZN7rocprim17ROCPRIM_400000_NS6detail17trampoline_kernelINS0_14default_configENS1_20scan_config_selectorIsEEZZNS1_9scan_implILNS1_25lookback_scan_determinismE0ELb1ELb1ES3_N6thrust23THRUST_200600_302600_NS6detail15normal_iteratorINS9_10device_ptrIsEEEESE_s11max_functorIsEsEEDaPvRmT3_T4_T5_mT6_P12ihipStream_tbENKUlT_T0_E_clISt17integral_constantIbLb0EESU_EEDaSP_SQ_EUlSP_E0_NS1_11comp_targetILNS1_3genE2ELNS1_11target_archE906ELNS1_3gpuE6ELNS1_3repE0EEENS1_30default_config_static_selectorELNS0_4arch9wavefront6targetE1EEEvT1_
; %bb.0:
	.section	.rodata,"a",@progbits
	.p2align	6, 0x0
	.amdhsa_kernel _ZN7rocprim17ROCPRIM_400000_NS6detail17trampoline_kernelINS0_14default_configENS1_20scan_config_selectorIsEEZZNS1_9scan_implILNS1_25lookback_scan_determinismE0ELb1ELb1ES3_N6thrust23THRUST_200600_302600_NS6detail15normal_iteratorINS9_10device_ptrIsEEEESE_s11max_functorIsEsEEDaPvRmT3_T4_T5_mT6_P12ihipStream_tbENKUlT_T0_E_clISt17integral_constantIbLb0EESU_EEDaSP_SQ_EUlSP_E0_NS1_11comp_targetILNS1_3genE2ELNS1_11target_archE906ELNS1_3gpuE6ELNS1_3repE0EEENS1_30default_config_static_selectorELNS0_4arch9wavefront6targetE1EEEvT1_
		.amdhsa_group_segment_fixed_size 0
		.amdhsa_private_segment_fixed_size 0
		.amdhsa_kernarg_size 32
		.amdhsa_user_sgpr_count 6
		.amdhsa_user_sgpr_private_segment_buffer 1
		.amdhsa_user_sgpr_dispatch_ptr 0
		.amdhsa_user_sgpr_queue_ptr 0
		.amdhsa_user_sgpr_kernarg_segment_ptr 1
		.amdhsa_user_sgpr_dispatch_id 0
		.amdhsa_user_sgpr_flat_scratch_init 0
		.amdhsa_user_sgpr_kernarg_preload_length 0
		.amdhsa_user_sgpr_kernarg_preload_offset 0
		.amdhsa_user_sgpr_private_segment_size 0
		.amdhsa_uses_dynamic_stack 0
		.amdhsa_system_sgpr_private_segment_wavefront_offset 0
		.amdhsa_system_sgpr_workgroup_id_x 1
		.amdhsa_system_sgpr_workgroup_id_y 0
		.amdhsa_system_sgpr_workgroup_id_z 0
		.amdhsa_system_sgpr_workgroup_info 0
		.amdhsa_system_vgpr_workitem_id 0
		.amdhsa_next_free_vgpr 1
		.amdhsa_next_free_sgpr 0
		.amdhsa_accum_offset 4
		.amdhsa_reserve_vcc 0
		.amdhsa_reserve_flat_scratch 0
		.amdhsa_float_round_mode_32 0
		.amdhsa_float_round_mode_16_64 0
		.amdhsa_float_denorm_mode_32 3
		.amdhsa_float_denorm_mode_16_64 3
		.amdhsa_dx10_clamp 1
		.amdhsa_ieee_mode 1
		.amdhsa_fp16_overflow 0
		.amdhsa_tg_split 0
		.amdhsa_exception_fp_ieee_invalid_op 0
		.amdhsa_exception_fp_denorm_src 0
		.amdhsa_exception_fp_ieee_div_zero 0
		.amdhsa_exception_fp_ieee_overflow 0
		.amdhsa_exception_fp_ieee_underflow 0
		.amdhsa_exception_fp_ieee_inexact 0
		.amdhsa_exception_int_div_zero 0
	.end_amdhsa_kernel
	.section	.text._ZN7rocprim17ROCPRIM_400000_NS6detail17trampoline_kernelINS0_14default_configENS1_20scan_config_selectorIsEEZZNS1_9scan_implILNS1_25lookback_scan_determinismE0ELb1ELb1ES3_N6thrust23THRUST_200600_302600_NS6detail15normal_iteratorINS9_10device_ptrIsEEEESE_s11max_functorIsEsEEDaPvRmT3_T4_T5_mT6_P12ihipStream_tbENKUlT_T0_E_clISt17integral_constantIbLb0EESU_EEDaSP_SQ_EUlSP_E0_NS1_11comp_targetILNS1_3genE2ELNS1_11target_archE906ELNS1_3gpuE6ELNS1_3repE0EEENS1_30default_config_static_selectorELNS0_4arch9wavefront6targetE1EEEvT1_,"axG",@progbits,_ZN7rocprim17ROCPRIM_400000_NS6detail17trampoline_kernelINS0_14default_configENS1_20scan_config_selectorIsEEZZNS1_9scan_implILNS1_25lookback_scan_determinismE0ELb1ELb1ES3_N6thrust23THRUST_200600_302600_NS6detail15normal_iteratorINS9_10device_ptrIsEEEESE_s11max_functorIsEsEEDaPvRmT3_T4_T5_mT6_P12ihipStream_tbENKUlT_T0_E_clISt17integral_constantIbLb0EESU_EEDaSP_SQ_EUlSP_E0_NS1_11comp_targetILNS1_3genE2ELNS1_11target_archE906ELNS1_3gpuE6ELNS1_3repE0EEENS1_30default_config_static_selectorELNS0_4arch9wavefront6targetE1EEEvT1_,comdat
.Lfunc_end2931:
	.size	_ZN7rocprim17ROCPRIM_400000_NS6detail17trampoline_kernelINS0_14default_configENS1_20scan_config_selectorIsEEZZNS1_9scan_implILNS1_25lookback_scan_determinismE0ELb1ELb1ES3_N6thrust23THRUST_200600_302600_NS6detail15normal_iteratorINS9_10device_ptrIsEEEESE_s11max_functorIsEsEEDaPvRmT3_T4_T5_mT6_P12ihipStream_tbENKUlT_T0_E_clISt17integral_constantIbLb0EESU_EEDaSP_SQ_EUlSP_E0_NS1_11comp_targetILNS1_3genE2ELNS1_11target_archE906ELNS1_3gpuE6ELNS1_3repE0EEENS1_30default_config_static_selectorELNS0_4arch9wavefront6targetE1EEEvT1_, .Lfunc_end2931-_ZN7rocprim17ROCPRIM_400000_NS6detail17trampoline_kernelINS0_14default_configENS1_20scan_config_selectorIsEEZZNS1_9scan_implILNS1_25lookback_scan_determinismE0ELb1ELb1ES3_N6thrust23THRUST_200600_302600_NS6detail15normal_iteratorINS9_10device_ptrIsEEEESE_s11max_functorIsEsEEDaPvRmT3_T4_T5_mT6_P12ihipStream_tbENKUlT_T0_E_clISt17integral_constantIbLb0EESU_EEDaSP_SQ_EUlSP_E0_NS1_11comp_targetILNS1_3genE2ELNS1_11target_archE906ELNS1_3gpuE6ELNS1_3repE0EEENS1_30default_config_static_selectorELNS0_4arch9wavefront6targetE1EEEvT1_
                                        ; -- End function
	.section	.AMDGPU.csdata,"",@progbits
; Kernel info:
; codeLenInByte = 0
; NumSgprs: 4
; NumVgprs: 0
; NumAgprs: 0
; TotalNumVgprs: 0
; ScratchSize: 0
; MemoryBound: 0
; FloatMode: 240
; IeeeMode: 1
; LDSByteSize: 0 bytes/workgroup (compile time only)
; SGPRBlocks: 0
; VGPRBlocks: 0
; NumSGPRsForWavesPerEU: 4
; NumVGPRsForWavesPerEU: 1
; AccumOffset: 4
; Occupancy: 8
; WaveLimiterHint : 0
; COMPUTE_PGM_RSRC2:SCRATCH_EN: 0
; COMPUTE_PGM_RSRC2:USER_SGPR: 6
; COMPUTE_PGM_RSRC2:TRAP_HANDLER: 0
; COMPUTE_PGM_RSRC2:TGID_X_EN: 1
; COMPUTE_PGM_RSRC2:TGID_Y_EN: 0
; COMPUTE_PGM_RSRC2:TGID_Z_EN: 0
; COMPUTE_PGM_RSRC2:TIDIG_COMP_CNT: 0
; COMPUTE_PGM_RSRC3_GFX90A:ACCUM_OFFSET: 0
; COMPUTE_PGM_RSRC3_GFX90A:TG_SPLIT: 0
	.section	.text._ZN7rocprim17ROCPRIM_400000_NS6detail17trampoline_kernelINS0_14default_configENS1_20scan_config_selectorIsEEZZNS1_9scan_implILNS1_25lookback_scan_determinismE0ELb1ELb1ES3_N6thrust23THRUST_200600_302600_NS6detail15normal_iteratorINS9_10device_ptrIsEEEESE_s11max_functorIsEsEEDaPvRmT3_T4_T5_mT6_P12ihipStream_tbENKUlT_T0_E_clISt17integral_constantIbLb0EESU_EEDaSP_SQ_EUlSP_E0_NS1_11comp_targetILNS1_3genE10ELNS1_11target_archE1201ELNS1_3gpuE5ELNS1_3repE0EEENS1_30default_config_static_selectorELNS0_4arch9wavefront6targetE1EEEvT1_,"axG",@progbits,_ZN7rocprim17ROCPRIM_400000_NS6detail17trampoline_kernelINS0_14default_configENS1_20scan_config_selectorIsEEZZNS1_9scan_implILNS1_25lookback_scan_determinismE0ELb1ELb1ES3_N6thrust23THRUST_200600_302600_NS6detail15normal_iteratorINS9_10device_ptrIsEEEESE_s11max_functorIsEsEEDaPvRmT3_T4_T5_mT6_P12ihipStream_tbENKUlT_T0_E_clISt17integral_constantIbLb0EESU_EEDaSP_SQ_EUlSP_E0_NS1_11comp_targetILNS1_3genE10ELNS1_11target_archE1201ELNS1_3gpuE5ELNS1_3repE0EEENS1_30default_config_static_selectorELNS0_4arch9wavefront6targetE1EEEvT1_,comdat
	.protected	_ZN7rocprim17ROCPRIM_400000_NS6detail17trampoline_kernelINS0_14default_configENS1_20scan_config_selectorIsEEZZNS1_9scan_implILNS1_25lookback_scan_determinismE0ELb1ELb1ES3_N6thrust23THRUST_200600_302600_NS6detail15normal_iteratorINS9_10device_ptrIsEEEESE_s11max_functorIsEsEEDaPvRmT3_T4_T5_mT6_P12ihipStream_tbENKUlT_T0_E_clISt17integral_constantIbLb0EESU_EEDaSP_SQ_EUlSP_E0_NS1_11comp_targetILNS1_3genE10ELNS1_11target_archE1201ELNS1_3gpuE5ELNS1_3repE0EEENS1_30default_config_static_selectorELNS0_4arch9wavefront6targetE1EEEvT1_ ; -- Begin function _ZN7rocprim17ROCPRIM_400000_NS6detail17trampoline_kernelINS0_14default_configENS1_20scan_config_selectorIsEEZZNS1_9scan_implILNS1_25lookback_scan_determinismE0ELb1ELb1ES3_N6thrust23THRUST_200600_302600_NS6detail15normal_iteratorINS9_10device_ptrIsEEEESE_s11max_functorIsEsEEDaPvRmT3_T4_T5_mT6_P12ihipStream_tbENKUlT_T0_E_clISt17integral_constantIbLb0EESU_EEDaSP_SQ_EUlSP_E0_NS1_11comp_targetILNS1_3genE10ELNS1_11target_archE1201ELNS1_3gpuE5ELNS1_3repE0EEENS1_30default_config_static_selectorELNS0_4arch9wavefront6targetE1EEEvT1_
	.globl	_ZN7rocprim17ROCPRIM_400000_NS6detail17trampoline_kernelINS0_14default_configENS1_20scan_config_selectorIsEEZZNS1_9scan_implILNS1_25lookback_scan_determinismE0ELb1ELb1ES3_N6thrust23THRUST_200600_302600_NS6detail15normal_iteratorINS9_10device_ptrIsEEEESE_s11max_functorIsEsEEDaPvRmT3_T4_T5_mT6_P12ihipStream_tbENKUlT_T0_E_clISt17integral_constantIbLb0EESU_EEDaSP_SQ_EUlSP_E0_NS1_11comp_targetILNS1_3genE10ELNS1_11target_archE1201ELNS1_3gpuE5ELNS1_3repE0EEENS1_30default_config_static_selectorELNS0_4arch9wavefront6targetE1EEEvT1_
	.p2align	8
	.type	_ZN7rocprim17ROCPRIM_400000_NS6detail17trampoline_kernelINS0_14default_configENS1_20scan_config_selectorIsEEZZNS1_9scan_implILNS1_25lookback_scan_determinismE0ELb1ELb1ES3_N6thrust23THRUST_200600_302600_NS6detail15normal_iteratorINS9_10device_ptrIsEEEESE_s11max_functorIsEsEEDaPvRmT3_T4_T5_mT6_P12ihipStream_tbENKUlT_T0_E_clISt17integral_constantIbLb0EESU_EEDaSP_SQ_EUlSP_E0_NS1_11comp_targetILNS1_3genE10ELNS1_11target_archE1201ELNS1_3gpuE5ELNS1_3repE0EEENS1_30default_config_static_selectorELNS0_4arch9wavefront6targetE1EEEvT1_,@function
_ZN7rocprim17ROCPRIM_400000_NS6detail17trampoline_kernelINS0_14default_configENS1_20scan_config_selectorIsEEZZNS1_9scan_implILNS1_25lookback_scan_determinismE0ELb1ELb1ES3_N6thrust23THRUST_200600_302600_NS6detail15normal_iteratorINS9_10device_ptrIsEEEESE_s11max_functorIsEsEEDaPvRmT3_T4_T5_mT6_P12ihipStream_tbENKUlT_T0_E_clISt17integral_constantIbLb0EESU_EEDaSP_SQ_EUlSP_E0_NS1_11comp_targetILNS1_3genE10ELNS1_11target_archE1201ELNS1_3gpuE5ELNS1_3repE0EEENS1_30default_config_static_selectorELNS0_4arch9wavefront6targetE1EEEvT1_: ; @_ZN7rocprim17ROCPRIM_400000_NS6detail17trampoline_kernelINS0_14default_configENS1_20scan_config_selectorIsEEZZNS1_9scan_implILNS1_25lookback_scan_determinismE0ELb1ELb1ES3_N6thrust23THRUST_200600_302600_NS6detail15normal_iteratorINS9_10device_ptrIsEEEESE_s11max_functorIsEsEEDaPvRmT3_T4_T5_mT6_P12ihipStream_tbENKUlT_T0_E_clISt17integral_constantIbLb0EESU_EEDaSP_SQ_EUlSP_E0_NS1_11comp_targetILNS1_3genE10ELNS1_11target_archE1201ELNS1_3gpuE5ELNS1_3repE0EEENS1_30default_config_static_selectorELNS0_4arch9wavefront6targetE1EEEvT1_
; %bb.0:
	.section	.rodata,"a",@progbits
	.p2align	6, 0x0
	.amdhsa_kernel _ZN7rocprim17ROCPRIM_400000_NS6detail17trampoline_kernelINS0_14default_configENS1_20scan_config_selectorIsEEZZNS1_9scan_implILNS1_25lookback_scan_determinismE0ELb1ELb1ES3_N6thrust23THRUST_200600_302600_NS6detail15normal_iteratorINS9_10device_ptrIsEEEESE_s11max_functorIsEsEEDaPvRmT3_T4_T5_mT6_P12ihipStream_tbENKUlT_T0_E_clISt17integral_constantIbLb0EESU_EEDaSP_SQ_EUlSP_E0_NS1_11comp_targetILNS1_3genE10ELNS1_11target_archE1201ELNS1_3gpuE5ELNS1_3repE0EEENS1_30default_config_static_selectorELNS0_4arch9wavefront6targetE1EEEvT1_
		.amdhsa_group_segment_fixed_size 0
		.amdhsa_private_segment_fixed_size 0
		.amdhsa_kernarg_size 32
		.amdhsa_user_sgpr_count 6
		.amdhsa_user_sgpr_private_segment_buffer 1
		.amdhsa_user_sgpr_dispatch_ptr 0
		.amdhsa_user_sgpr_queue_ptr 0
		.amdhsa_user_sgpr_kernarg_segment_ptr 1
		.amdhsa_user_sgpr_dispatch_id 0
		.amdhsa_user_sgpr_flat_scratch_init 0
		.amdhsa_user_sgpr_kernarg_preload_length 0
		.amdhsa_user_sgpr_kernarg_preload_offset 0
		.amdhsa_user_sgpr_private_segment_size 0
		.amdhsa_uses_dynamic_stack 0
		.amdhsa_system_sgpr_private_segment_wavefront_offset 0
		.amdhsa_system_sgpr_workgroup_id_x 1
		.amdhsa_system_sgpr_workgroup_id_y 0
		.amdhsa_system_sgpr_workgroup_id_z 0
		.amdhsa_system_sgpr_workgroup_info 0
		.amdhsa_system_vgpr_workitem_id 0
		.amdhsa_next_free_vgpr 1
		.amdhsa_next_free_sgpr 0
		.amdhsa_accum_offset 4
		.amdhsa_reserve_vcc 0
		.amdhsa_reserve_flat_scratch 0
		.amdhsa_float_round_mode_32 0
		.amdhsa_float_round_mode_16_64 0
		.amdhsa_float_denorm_mode_32 3
		.amdhsa_float_denorm_mode_16_64 3
		.amdhsa_dx10_clamp 1
		.amdhsa_ieee_mode 1
		.amdhsa_fp16_overflow 0
		.amdhsa_tg_split 0
		.amdhsa_exception_fp_ieee_invalid_op 0
		.amdhsa_exception_fp_denorm_src 0
		.amdhsa_exception_fp_ieee_div_zero 0
		.amdhsa_exception_fp_ieee_overflow 0
		.amdhsa_exception_fp_ieee_underflow 0
		.amdhsa_exception_fp_ieee_inexact 0
		.amdhsa_exception_int_div_zero 0
	.end_amdhsa_kernel
	.section	.text._ZN7rocprim17ROCPRIM_400000_NS6detail17trampoline_kernelINS0_14default_configENS1_20scan_config_selectorIsEEZZNS1_9scan_implILNS1_25lookback_scan_determinismE0ELb1ELb1ES3_N6thrust23THRUST_200600_302600_NS6detail15normal_iteratorINS9_10device_ptrIsEEEESE_s11max_functorIsEsEEDaPvRmT3_T4_T5_mT6_P12ihipStream_tbENKUlT_T0_E_clISt17integral_constantIbLb0EESU_EEDaSP_SQ_EUlSP_E0_NS1_11comp_targetILNS1_3genE10ELNS1_11target_archE1201ELNS1_3gpuE5ELNS1_3repE0EEENS1_30default_config_static_selectorELNS0_4arch9wavefront6targetE1EEEvT1_,"axG",@progbits,_ZN7rocprim17ROCPRIM_400000_NS6detail17trampoline_kernelINS0_14default_configENS1_20scan_config_selectorIsEEZZNS1_9scan_implILNS1_25lookback_scan_determinismE0ELb1ELb1ES3_N6thrust23THRUST_200600_302600_NS6detail15normal_iteratorINS9_10device_ptrIsEEEESE_s11max_functorIsEsEEDaPvRmT3_T4_T5_mT6_P12ihipStream_tbENKUlT_T0_E_clISt17integral_constantIbLb0EESU_EEDaSP_SQ_EUlSP_E0_NS1_11comp_targetILNS1_3genE10ELNS1_11target_archE1201ELNS1_3gpuE5ELNS1_3repE0EEENS1_30default_config_static_selectorELNS0_4arch9wavefront6targetE1EEEvT1_,comdat
.Lfunc_end2932:
	.size	_ZN7rocprim17ROCPRIM_400000_NS6detail17trampoline_kernelINS0_14default_configENS1_20scan_config_selectorIsEEZZNS1_9scan_implILNS1_25lookback_scan_determinismE0ELb1ELb1ES3_N6thrust23THRUST_200600_302600_NS6detail15normal_iteratorINS9_10device_ptrIsEEEESE_s11max_functorIsEsEEDaPvRmT3_T4_T5_mT6_P12ihipStream_tbENKUlT_T0_E_clISt17integral_constantIbLb0EESU_EEDaSP_SQ_EUlSP_E0_NS1_11comp_targetILNS1_3genE10ELNS1_11target_archE1201ELNS1_3gpuE5ELNS1_3repE0EEENS1_30default_config_static_selectorELNS0_4arch9wavefront6targetE1EEEvT1_, .Lfunc_end2932-_ZN7rocprim17ROCPRIM_400000_NS6detail17trampoline_kernelINS0_14default_configENS1_20scan_config_selectorIsEEZZNS1_9scan_implILNS1_25lookback_scan_determinismE0ELb1ELb1ES3_N6thrust23THRUST_200600_302600_NS6detail15normal_iteratorINS9_10device_ptrIsEEEESE_s11max_functorIsEsEEDaPvRmT3_T4_T5_mT6_P12ihipStream_tbENKUlT_T0_E_clISt17integral_constantIbLb0EESU_EEDaSP_SQ_EUlSP_E0_NS1_11comp_targetILNS1_3genE10ELNS1_11target_archE1201ELNS1_3gpuE5ELNS1_3repE0EEENS1_30default_config_static_selectorELNS0_4arch9wavefront6targetE1EEEvT1_
                                        ; -- End function
	.section	.AMDGPU.csdata,"",@progbits
; Kernel info:
; codeLenInByte = 0
; NumSgprs: 4
; NumVgprs: 0
; NumAgprs: 0
; TotalNumVgprs: 0
; ScratchSize: 0
; MemoryBound: 0
; FloatMode: 240
; IeeeMode: 1
; LDSByteSize: 0 bytes/workgroup (compile time only)
; SGPRBlocks: 0
; VGPRBlocks: 0
; NumSGPRsForWavesPerEU: 4
; NumVGPRsForWavesPerEU: 1
; AccumOffset: 4
; Occupancy: 8
; WaveLimiterHint : 0
; COMPUTE_PGM_RSRC2:SCRATCH_EN: 0
; COMPUTE_PGM_RSRC2:USER_SGPR: 6
; COMPUTE_PGM_RSRC2:TRAP_HANDLER: 0
; COMPUTE_PGM_RSRC2:TGID_X_EN: 1
; COMPUTE_PGM_RSRC2:TGID_Y_EN: 0
; COMPUTE_PGM_RSRC2:TGID_Z_EN: 0
; COMPUTE_PGM_RSRC2:TIDIG_COMP_CNT: 0
; COMPUTE_PGM_RSRC3_GFX90A:ACCUM_OFFSET: 0
; COMPUTE_PGM_RSRC3_GFX90A:TG_SPLIT: 0
	.section	.text._ZN7rocprim17ROCPRIM_400000_NS6detail17trampoline_kernelINS0_14default_configENS1_20scan_config_selectorIsEEZZNS1_9scan_implILNS1_25lookback_scan_determinismE0ELb1ELb1ES3_N6thrust23THRUST_200600_302600_NS6detail15normal_iteratorINS9_10device_ptrIsEEEESE_s11max_functorIsEsEEDaPvRmT3_T4_T5_mT6_P12ihipStream_tbENKUlT_T0_E_clISt17integral_constantIbLb0EESU_EEDaSP_SQ_EUlSP_E0_NS1_11comp_targetILNS1_3genE10ELNS1_11target_archE1200ELNS1_3gpuE4ELNS1_3repE0EEENS1_30default_config_static_selectorELNS0_4arch9wavefront6targetE1EEEvT1_,"axG",@progbits,_ZN7rocprim17ROCPRIM_400000_NS6detail17trampoline_kernelINS0_14default_configENS1_20scan_config_selectorIsEEZZNS1_9scan_implILNS1_25lookback_scan_determinismE0ELb1ELb1ES3_N6thrust23THRUST_200600_302600_NS6detail15normal_iteratorINS9_10device_ptrIsEEEESE_s11max_functorIsEsEEDaPvRmT3_T4_T5_mT6_P12ihipStream_tbENKUlT_T0_E_clISt17integral_constantIbLb0EESU_EEDaSP_SQ_EUlSP_E0_NS1_11comp_targetILNS1_3genE10ELNS1_11target_archE1200ELNS1_3gpuE4ELNS1_3repE0EEENS1_30default_config_static_selectorELNS0_4arch9wavefront6targetE1EEEvT1_,comdat
	.protected	_ZN7rocprim17ROCPRIM_400000_NS6detail17trampoline_kernelINS0_14default_configENS1_20scan_config_selectorIsEEZZNS1_9scan_implILNS1_25lookback_scan_determinismE0ELb1ELb1ES3_N6thrust23THRUST_200600_302600_NS6detail15normal_iteratorINS9_10device_ptrIsEEEESE_s11max_functorIsEsEEDaPvRmT3_T4_T5_mT6_P12ihipStream_tbENKUlT_T0_E_clISt17integral_constantIbLb0EESU_EEDaSP_SQ_EUlSP_E0_NS1_11comp_targetILNS1_3genE10ELNS1_11target_archE1200ELNS1_3gpuE4ELNS1_3repE0EEENS1_30default_config_static_selectorELNS0_4arch9wavefront6targetE1EEEvT1_ ; -- Begin function _ZN7rocprim17ROCPRIM_400000_NS6detail17trampoline_kernelINS0_14default_configENS1_20scan_config_selectorIsEEZZNS1_9scan_implILNS1_25lookback_scan_determinismE0ELb1ELb1ES3_N6thrust23THRUST_200600_302600_NS6detail15normal_iteratorINS9_10device_ptrIsEEEESE_s11max_functorIsEsEEDaPvRmT3_T4_T5_mT6_P12ihipStream_tbENKUlT_T0_E_clISt17integral_constantIbLb0EESU_EEDaSP_SQ_EUlSP_E0_NS1_11comp_targetILNS1_3genE10ELNS1_11target_archE1200ELNS1_3gpuE4ELNS1_3repE0EEENS1_30default_config_static_selectorELNS0_4arch9wavefront6targetE1EEEvT1_
	.globl	_ZN7rocprim17ROCPRIM_400000_NS6detail17trampoline_kernelINS0_14default_configENS1_20scan_config_selectorIsEEZZNS1_9scan_implILNS1_25lookback_scan_determinismE0ELb1ELb1ES3_N6thrust23THRUST_200600_302600_NS6detail15normal_iteratorINS9_10device_ptrIsEEEESE_s11max_functorIsEsEEDaPvRmT3_T4_T5_mT6_P12ihipStream_tbENKUlT_T0_E_clISt17integral_constantIbLb0EESU_EEDaSP_SQ_EUlSP_E0_NS1_11comp_targetILNS1_3genE10ELNS1_11target_archE1200ELNS1_3gpuE4ELNS1_3repE0EEENS1_30default_config_static_selectorELNS0_4arch9wavefront6targetE1EEEvT1_
	.p2align	8
	.type	_ZN7rocprim17ROCPRIM_400000_NS6detail17trampoline_kernelINS0_14default_configENS1_20scan_config_selectorIsEEZZNS1_9scan_implILNS1_25lookback_scan_determinismE0ELb1ELb1ES3_N6thrust23THRUST_200600_302600_NS6detail15normal_iteratorINS9_10device_ptrIsEEEESE_s11max_functorIsEsEEDaPvRmT3_T4_T5_mT6_P12ihipStream_tbENKUlT_T0_E_clISt17integral_constantIbLb0EESU_EEDaSP_SQ_EUlSP_E0_NS1_11comp_targetILNS1_3genE10ELNS1_11target_archE1200ELNS1_3gpuE4ELNS1_3repE0EEENS1_30default_config_static_selectorELNS0_4arch9wavefront6targetE1EEEvT1_,@function
_ZN7rocprim17ROCPRIM_400000_NS6detail17trampoline_kernelINS0_14default_configENS1_20scan_config_selectorIsEEZZNS1_9scan_implILNS1_25lookback_scan_determinismE0ELb1ELb1ES3_N6thrust23THRUST_200600_302600_NS6detail15normal_iteratorINS9_10device_ptrIsEEEESE_s11max_functorIsEsEEDaPvRmT3_T4_T5_mT6_P12ihipStream_tbENKUlT_T0_E_clISt17integral_constantIbLb0EESU_EEDaSP_SQ_EUlSP_E0_NS1_11comp_targetILNS1_3genE10ELNS1_11target_archE1200ELNS1_3gpuE4ELNS1_3repE0EEENS1_30default_config_static_selectorELNS0_4arch9wavefront6targetE1EEEvT1_: ; @_ZN7rocprim17ROCPRIM_400000_NS6detail17trampoline_kernelINS0_14default_configENS1_20scan_config_selectorIsEEZZNS1_9scan_implILNS1_25lookback_scan_determinismE0ELb1ELb1ES3_N6thrust23THRUST_200600_302600_NS6detail15normal_iteratorINS9_10device_ptrIsEEEESE_s11max_functorIsEsEEDaPvRmT3_T4_T5_mT6_P12ihipStream_tbENKUlT_T0_E_clISt17integral_constantIbLb0EESU_EEDaSP_SQ_EUlSP_E0_NS1_11comp_targetILNS1_3genE10ELNS1_11target_archE1200ELNS1_3gpuE4ELNS1_3repE0EEENS1_30default_config_static_selectorELNS0_4arch9wavefront6targetE1EEEvT1_
; %bb.0:
	.section	.rodata,"a",@progbits
	.p2align	6, 0x0
	.amdhsa_kernel _ZN7rocprim17ROCPRIM_400000_NS6detail17trampoline_kernelINS0_14default_configENS1_20scan_config_selectorIsEEZZNS1_9scan_implILNS1_25lookback_scan_determinismE0ELb1ELb1ES3_N6thrust23THRUST_200600_302600_NS6detail15normal_iteratorINS9_10device_ptrIsEEEESE_s11max_functorIsEsEEDaPvRmT3_T4_T5_mT6_P12ihipStream_tbENKUlT_T0_E_clISt17integral_constantIbLb0EESU_EEDaSP_SQ_EUlSP_E0_NS1_11comp_targetILNS1_3genE10ELNS1_11target_archE1200ELNS1_3gpuE4ELNS1_3repE0EEENS1_30default_config_static_selectorELNS0_4arch9wavefront6targetE1EEEvT1_
		.amdhsa_group_segment_fixed_size 0
		.amdhsa_private_segment_fixed_size 0
		.amdhsa_kernarg_size 32
		.amdhsa_user_sgpr_count 6
		.amdhsa_user_sgpr_private_segment_buffer 1
		.amdhsa_user_sgpr_dispatch_ptr 0
		.amdhsa_user_sgpr_queue_ptr 0
		.amdhsa_user_sgpr_kernarg_segment_ptr 1
		.amdhsa_user_sgpr_dispatch_id 0
		.amdhsa_user_sgpr_flat_scratch_init 0
		.amdhsa_user_sgpr_kernarg_preload_length 0
		.amdhsa_user_sgpr_kernarg_preload_offset 0
		.amdhsa_user_sgpr_private_segment_size 0
		.amdhsa_uses_dynamic_stack 0
		.amdhsa_system_sgpr_private_segment_wavefront_offset 0
		.amdhsa_system_sgpr_workgroup_id_x 1
		.amdhsa_system_sgpr_workgroup_id_y 0
		.amdhsa_system_sgpr_workgroup_id_z 0
		.amdhsa_system_sgpr_workgroup_info 0
		.amdhsa_system_vgpr_workitem_id 0
		.amdhsa_next_free_vgpr 1
		.amdhsa_next_free_sgpr 0
		.amdhsa_accum_offset 4
		.amdhsa_reserve_vcc 0
		.amdhsa_reserve_flat_scratch 0
		.amdhsa_float_round_mode_32 0
		.amdhsa_float_round_mode_16_64 0
		.amdhsa_float_denorm_mode_32 3
		.amdhsa_float_denorm_mode_16_64 3
		.amdhsa_dx10_clamp 1
		.amdhsa_ieee_mode 1
		.amdhsa_fp16_overflow 0
		.amdhsa_tg_split 0
		.amdhsa_exception_fp_ieee_invalid_op 0
		.amdhsa_exception_fp_denorm_src 0
		.amdhsa_exception_fp_ieee_div_zero 0
		.amdhsa_exception_fp_ieee_overflow 0
		.amdhsa_exception_fp_ieee_underflow 0
		.amdhsa_exception_fp_ieee_inexact 0
		.amdhsa_exception_int_div_zero 0
	.end_amdhsa_kernel
	.section	.text._ZN7rocprim17ROCPRIM_400000_NS6detail17trampoline_kernelINS0_14default_configENS1_20scan_config_selectorIsEEZZNS1_9scan_implILNS1_25lookback_scan_determinismE0ELb1ELb1ES3_N6thrust23THRUST_200600_302600_NS6detail15normal_iteratorINS9_10device_ptrIsEEEESE_s11max_functorIsEsEEDaPvRmT3_T4_T5_mT6_P12ihipStream_tbENKUlT_T0_E_clISt17integral_constantIbLb0EESU_EEDaSP_SQ_EUlSP_E0_NS1_11comp_targetILNS1_3genE10ELNS1_11target_archE1200ELNS1_3gpuE4ELNS1_3repE0EEENS1_30default_config_static_selectorELNS0_4arch9wavefront6targetE1EEEvT1_,"axG",@progbits,_ZN7rocprim17ROCPRIM_400000_NS6detail17trampoline_kernelINS0_14default_configENS1_20scan_config_selectorIsEEZZNS1_9scan_implILNS1_25lookback_scan_determinismE0ELb1ELb1ES3_N6thrust23THRUST_200600_302600_NS6detail15normal_iteratorINS9_10device_ptrIsEEEESE_s11max_functorIsEsEEDaPvRmT3_T4_T5_mT6_P12ihipStream_tbENKUlT_T0_E_clISt17integral_constantIbLb0EESU_EEDaSP_SQ_EUlSP_E0_NS1_11comp_targetILNS1_3genE10ELNS1_11target_archE1200ELNS1_3gpuE4ELNS1_3repE0EEENS1_30default_config_static_selectorELNS0_4arch9wavefront6targetE1EEEvT1_,comdat
.Lfunc_end2933:
	.size	_ZN7rocprim17ROCPRIM_400000_NS6detail17trampoline_kernelINS0_14default_configENS1_20scan_config_selectorIsEEZZNS1_9scan_implILNS1_25lookback_scan_determinismE0ELb1ELb1ES3_N6thrust23THRUST_200600_302600_NS6detail15normal_iteratorINS9_10device_ptrIsEEEESE_s11max_functorIsEsEEDaPvRmT3_T4_T5_mT6_P12ihipStream_tbENKUlT_T0_E_clISt17integral_constantIbLb0EESU_EEDaSP_SQ_EUlSP_E0_NS1_11comp_targetILNS1_3genE10ELNS1_11target_archE1200ELNS1_3gpuE4ELNS1_3repE0EEENS1_30default_config_static_selectorELNS0_4arch9wavefront6targetE1EEEvT1_, .Lfunc_end2933-_ZN7rocprim17ROCPRIM_400000_NS6detail17trampoline_kernelINS0_14default_configENS1_20scan_config_selectorIsEEZZNS1_9scan_implILNS1_25lookback_scan_determinismE0ELb1ELb1ES3_N6thrust23THRUST_200600_302600_NS6detail15normal_iteratorINS9_10device_ptrIsEEEESE_s11max_functorIsEsEEDaPvRmT3_T4_T5_mT6_P12ihipStream_tbENKUlT_T0_E_clISt17integral_constantIbLb0EESU_EEDaSP_SQ_EUlSP_E0_NS1_11comp_targetILNS1_3genE10ELNS1_11target_archE1200ELNS1_3gpuE4ELNS1_3repE0EEENS1_30default_config_static_selectorELNS0_4arch9wavefront6targetE1EEEvT1_
                                        ; -- End function
	.section	.AMDGPU.csdata,"",@progbits
; Kernel info:
; codeLenInByte = 0
; NumSgprs: 4
; NumVgprs: 0
; NumAgprs: 0
; TotalNumVgprs: 0
; ScratchSize: 0
; MemoryBound: 0
; FloatMode: 240
; IeeeMode: 1
; LDSByteSize: 0 bytes/workgroup (compile time only)
; SGPRBlocks: 0
; VGPRBlocks: 0
; NumSGPRsForWavesPerEU: 4
; NumVGPRsForWavesPerEU: 1
; AccumOffset: 4
; Occupancy: 8
; WaveLimiterHint : 0
; COMPUTE_PGM_RSRC2:SCRATCH_EN: 0
; COMPUTE_PGM_RSRC2:USER_SGPR: 6
; COMPUTE_PGM_RSRC2:TRAP_HANDLER: 0
; COMPUTE_PGM_RSRC2:TGID_X_EN: 1
; COMPUTE_PGM_RSRC2:TGID_Y_EN: 0
; COMPUTE_PGM_RSRC2:TGID_Z_EN: 0
; COMPUTE_PGM_RSRC2:TIDIG_COMP_CNT: 0
; COMPUTE_PGM_RSRC3_GFX90A:ACCUM_OFFSET: 0
; COMPUTE_PGM_RSRC3_GFX90A:TG_SPLIT: 0
	.section	.text._ZN7rocprim17ROCPRIM_400000_NS6detail17trampoline_kernelINS0_14default_configENS1_20scan_config_selectorIsEEZZNS1_9scan_implILNS1_25lookback_scan_determinismE0ELb1ELb1ES3_N6thrust23THRUST_200600_302600_NS6detail15normal_iteratorINS9_10device_ptrIsEEEESE_s11max_functorIsEsEEDaPvRmT3_T4_T5_mT6_P12ihipStream_tbENKUlT_T0_E_clISt17integral_constantIbLb0EESU_EEDaSP_SQ_EUlSP_E0_NS1_11comp_targetILNS1_3genE9ELNS1_11target_archE1100ELNS1_3gpuE3ELNS1_3repE0EEENS1_30default_config_static_selectorELNS0_4arch9wavefront6targetE1EEEvT1_,"axG",@progbits,_ZN7rocprim17ROCPRIM_400000_NS6detail17trampoline_kernelINS0_14default_configENS1_20scan_config_selectorIsEEZZNS1_9scan_implILNS1_25lookback_scan_determinismE0ELb1ELb1ES3_N6thrust23THRUST_200600_302600_NS6detail15normal_iteratorINS9_10device_ptrIsEEEESE_s11max_functorIsEsEEDaPvRmT3_T4_T5_mT6_P12ihipStream_tbENKUlT_T0_E_clISt17integral_constantIbLb0EESU_EEDaSP_SQ_EUlSP_E0_NS1_11comp_targetILNS1_3genE9ELNS1_11target_archE1100ELNS1_3gpuE3ELNS1_3repE0EEENS1_30default_config_static_selectorELNS0_4arch9wavefront6targetE1EEEvT1_,comdat
	.protected	_ZN7rocprim17ROCPRIM_400000_NS6detail17trampoline_kernelINS0_14default_configENS1_20scan_config_selectorIsEEZZNS1_9scan_implILNS1_25lookback_scan_determinismE0ELb1ELb1ES3_N6thrust23THRUST_200600_302600_NS6detail15normal_iteratorINS9_10device_ptrIsEEEESE_s11max_functorIsEsEEDaPvRmT3_T4_T5_mT6_P12ihipStream_tbENKUlT_T0_E_clISt17integral_constantIbLb0EESU_EEDaSP_SQ_EUlSP_E0_NS1_11comp_targetILNS1_3genE9ELNS1_11target_archE1100ELNS1_3gpuE3ELNS1_3repE0EEENS1_30default_config_static_selectorELNS0_4arch9wavefront6targetE1EEEvT1_ ; -- Begin function _ZN7rocprim17ROCPRIM_400000_NS6detail17trampoline_kernelINS0_14default_configENS1_20scan_config_selectorIsEEZZNS1_9scan_implILNS1_25lookback_scan_determinismE0ELb1ELb1ES3_N6thrust23THRUST_200600_302600_NS6detail15normal_iteratorINS9_10device_ptrIsEEEESE_s11max_functorIsEsEEDaPvRmT3_T4_T5_mT6_P12ihipStream_tbENKUlT_T0_E_clISt17integral_constantIbLb0EESU_EEDaSP_SQ_EUlSP_E0_NS1_11comp_targetILNS1_3genE9ELNS1_11target_archE1100ELNS1_3gpuE3ELNS1_3repE0EEENS1_30default_config_static_selectorELNS0_4arch9wavefront6targetE1EEEvT1_
	.globl	_ZN7rocprim17ROCPRIM_400000_NS6detail17trampoline_kernelINS0_14default_configENS1_20scan_config_selectorIsEEZZNS1_9scan_implILNS1_25lookback_scan_determinismE0ELb1ELb1ES3_N6thrust23THRUST_200600_302600_NS6detail15normal_iteratorINS9_10device_ptrIsEEEESE_s11max_functorIsEsEEDaPvRmT3_T4_T5_mT6_P12ihipStream_tbENKUlT_T0_E_clISt17integral_constantIbLb0EESU_EEDaSP_SQ_EUlSP_E0_NS1_11comp_targetILNS1_3genE9ELNS1_11target_archE1100ELNS1_3gpuE3ELNS1_3repE0EEENS1_30default_config_static_selectorELNS0_4arch9wavefront6targetE1EEEvT1_
	.p2align	8
	.type	_ZN7rocprim17ROCPRIM_400000_NS6detail17trampoline_kernelINS0_14default_configENS1_20scan_config_selectorIsEEZZNS1_9scan_implILNS1_25lookback_scan_determinismE0ELb1ELb1ES3_N6thrust23THRUST_200600_302600_NS6detail15normal_iteratorINS9_10device_ptrIsEEEESE_s11max_functorIsEsEEDaPvRmT3_T4_T5_mT6_P12ihipStream_tbENKUlT_T0_E_clISt17integral_constantIbLb0EESU_EEDaSP_SQ_EUlSP_E0_NS1_11comp_targetILNS1_3genE9ELNS1_11target_archE1100ELNS1_3gpuE3ELNS1_3repE0EEENS1_30default_config_static_selectorELNS0_4arch9wavefront6targetE1EEEvT1_,@function
_ZN7rocprim17ROCPRIM_400000_NS6detail17trampoline_kernelINS0_14default_configENS1_20scan_config_selectorIsEEZZNS1_9scan_implILNS1_25lookback_scan_determinismE0ELb1ELb1ES3_N6thrust23THRUST_200600_302600_NS6detail15normal_iteratorINS9_10device_ptrIsEEEESE_s11max_functorIsEsEEDaPvRmT3_T4_T5_mT6_P12ihipStream_tbENKUlT_T0_E_clISt17integral_constantIbLb0EESU_EEDaSP_SQ_EUlSP_E0_NS1_11comp_targetILNS1_3genE9ELNS1_11target_archE1100ELNS1_3gpuE3ELNS1_3repE0EEENS1_30default_config_static_selectorELNS0_4arch9wavefront6targetE1EEEvT1_: ; @_ZN7rocprim17ROCPRIM_400000_NS6detail17trampoline_kernelINS0_14default_configENS1_20scan_config_selectorIsEEZZNS1_9scan_implILNS1_25lookback_scan_determinismE0ELb1ELb1ES3_N6thrust23THRUST_200600_302600_NS6detail15normal_iteratorINS9_10device_ptrIsEEEESE_s11max_functorIsEsEEDaPvRmT3_T4_T5_mT6_P12ihipStream_tbENKUlT_T0_E_clISt17integral_constantIbLb0EESU_EEDaSP_SQ_EUlSP_E0_NS1_11comp_targetILNS1_3genE9ELNS1_11target_archE1100ELNS1_3gpuE3ELNS1_3repE0EEENS1_30default_config_static_selectorELNS0_4arch9wavefront6targetE1EEEvT1_
; %bb.0:
	.section	.rodata,"a",@progbits
	.p2align	6, 0x0
	.amdhsa_kernel _ZN7rocprim17ROCPRIM_400000_NS6detail17trampoline_kernelINS0_14default_configENS1_20scan_config_selectorIsEEZZNS1_9scan_implILNS1_25lookback_scan_determinismE0ELb1ELb1ES3_N6thrust23THRUST_200600_302600_NS6detail15normal_iteratorINS9_10device_ptrIsEEEESE_s11max_functorIsEsEEDaPvRmT3_T4_T5_mT6_P12ihipStream_tbENKUlT_T0_E_clISt17integral_constantIbLb0EESU_EEDaSP_SQ_EUlSP_E0_NS1_11comp_targetILNS1_3genE9ELNS1_11target_archE1100ELNS1_3gpuE3ELNS1_3repE0EEENS1_30default_config_static_selectorELNS0_4arch9wavefront6targetE1EEEvT1_
		.amdhsa_group_segment_fixed_size 0
		.amdhsa_private_segment_fixed_size 0
		.amdhsa_kernarg_size 32
		.amdhsa_user_sgpr_count 6
		.amdhsa_user_sgpr_private_segment_buffer 1
		.amdhsa_user_sgpr_dispatch_ptr 0
		.amdhsa_user_sgpr_queue_ptr 0
		.amdhsa_user_sgpr_kernarg_segment_ptr 1
		.amdhsa_user_sgpr_dispatch_id 0
		.amdhsa_user_sgpr_flat_scratch_init 0
		.amdhsa_user_sgpr_kernarg_preload_length 0
		.amdhsa_user_sgpr_kernarg_preload_offset 0
		.amdhsa_user_sgpr_private_segment_size 0
		.amdhsa_uses_dynamic_stack 0
		.amdhsa_system_sgpr_private_segment_wavefront_offset 0
		.amdhsa_system_sgpr_workgroup_id_x 1
		.amdhsa_system_sgpr_workgroup_id_y 0
		.amdhsa_system_sgpr_workgroup_id_z 0
		.amdhsa_system_sgpr_workgroup_info 0
		.amdhsa_system_vgpr_workitem_id 0
		.amdhsa_next_free_vgpr 1
		.amdhsa_next_free_sgpr 0
		.amdhsa_accum_offset 4
		.amdhsa_reserve_vcc 0
		.amdhsa_reserve_flat_scratch 0
		.amdhsa_float_round_mode_32 0
		.amdhsa_float_round_mode_16_64 0
		.amdhsa_float_denorm_mode_32 3
		.amdhsa_float_denorm_mode_16_64 3
		.amdhsa_dx10_clamp 1
		.amdhsa_ieee_mode 1
		.amdhsa_fp16_overflow 0
		.amdhsa_tg_split 0
		.amdhsa_exception_fp_ieee_invalid_op 0
		.amdhsa_exception_fp_denorm_src 0
		.amdhsa_exception_fp_ieee_div_zero 0
		.amdhsa_exception_fp_ieee_overflow 0
		.amdhsa_exception_fp_ieee_underflow 0
		.amdhsa_exception_fp_ieee_inexact 0
		.amdhsa_exception_int_div_zero 0
	.end_amdhsa_kernel
	.section	.text._ZN7rocprim17ROCPRIM_400000_NS6detail17trampoline_kernelINS0_14default_configENS1_20scan_config_selectorIsEEZZNS1_9scan_implILNS1_25lookback_scan_determinismE0ELb1ELb1ES3_N6thrust23THRUST_200600_302600_NS6detail15normal_iteratorINS9_10device_ptrIsEEEESE_s11max_functorIsEsEEDaPvRmT3_T4_T5_mT6_P12ihipStream_tbENKUlT_T0_E_clISt17integral_constantIbLb0EESU_EEDaSP_SQ_EUlSP_E0_NS1_11comp_targetILNS1_3genE9ELNS1_11target_archE1100ELNS1_3gpuE3ELNS1_3repE0EEENS1_30default_config_static_selectorELNS0_4arch9wavefront6targetE1EEEvT1_,"axG",@progbits,_ZN7rocprim17ROCPRIM_400000_NS6detail17trampoline_kernelINS0_14default_configENS1_20scan_config_selectorIsEEZZNS1_9scan_implILNS1_25lookback_scan_determinismE0ELb1ELb1ES3_N6thrust23THRUST_200600_302600_NS6detail15normal_iteratorINS9_10device_ptrIsEEEESE_s11max_functorIsEsEEDaPvRmT3_T4_T5_mT6_P12ihipStream_tbENKUlT_T0_E_clISt17integral_constantIbLb0EESU_EEDaSP_SQ_EUlSP_E0_NS1_11comp_targetILNS1_3genE9ELNS1_11target_archE1100ELNS1_3gpuE3ELNS1_3repE0EEENS1_30default_config_static_selectorELNS0_4arch9wavefront6targetE1EEEvT1_,comdat
.Lfunc_end2934:
	.size	_ZN7rocprim17ROCPRIM_400000_NS6detail17trampoline_kernelINS0_14default_configENS1_20scan_config_selectorIsEEZZNS1_9scan_implILNS1_25lookback_scan_determinismE0ELb1ELb1ES3_N6thrust23THRUST_200600_302600_NS6detail15normal_iteratorINS9_10device_ptrIsEEEESE_s11max_functorIsEsEEDaPvRmT3_T4_T5_mT6_P12ihipStream_tbENKUlT_T0_E_clISt17integral_constantIbLb0EESU_EEDaSP_SQ_EUlSP_E0_NS1_11comp_targetILNS1_3genE9ELNS1_11target_archE1100ELNS1_3gpuE3ELNS1_3repE0EEENS1_30default_config_static_selectorELNS0_4arch9wavefront6targetE1EEEvT1_, .Lfunc_end2934-_ZN7rocprim17ROCPRIM_400000_NS6detail17trampoline_kernelINS0_14default_configENS1_20scan_config_selectorIsEEZZNS1_9scan_implILNS1_25lookback_scan_determinismE0ELb1ELb1ES3_N6thrust23THRUST_200600_302600_NS6detail15normal_iteratorINS9_10device_ptrIsEEEESE_s11max_functorIsEsEEDaPvRmT3_T4_T5_mT6_P12ihipStream_tbENKUlT_T0_E_clISt17integral_constantIbLb0EESU_EEDaSP_SQ_EUlSP_E0_NS1_11comp_targetILNS1_3genE9ELNS1_11target_archE1100ELNS1_3gpuE3ELNS1_3repE0EEENS1_30default_config_static_selectorELNS0_4arch9wavefront6targetE1EEEvT1_
                                        ; -- End function
	.section	.AMDGPU.csdata,"",@progbits
; Kernel info:
; codeLenInByte = 0
; NumSgprs: 4
; NumVgprs: 0
; NumAgprs: 0
; TotalNumVgprs: 0
; ScratchSize: 0
; MemoryBound: 0
; FloatMode: 240
; IeeeMode: 1
; LDSByteSize: 0 bytes/workgroup (compile time only)
; SGPRBlocks: 0
; VGPRBlocks: 0
; NumSGPRsForWavesPerEU: 4
; NumVGPRsForWavesPerEU: 1
; AccumOffset: 4
; Occupancy: 8
; WaveLimiterHint : 0
; COMPUTE_PGM_RSRC2:SCRATCH_EN: 0
; COMPUTE_PGM_RSRC2:USER_SGPR: 6
; COMPUTE_PGM_RSRC2:TRAP_HANDLER: 0
; COMPUTE_PGM_RSRC2:TGID_X_EN: 1
; COMPUTE_PGM_RSRC2:TGID_Y_EN: 0
; COMPUTE_PGM_RSRC2:TGID_Z_EN: 0
; COMPUTE_PGM_RSRC2:TIDIG_COMP_CNT: 0
; COMPUTE_PGM_RSRC3_GFX90A:ACCUM_OFFSET: 0
; COMPUTE_PGM_RSRC3_GFX90A:TG_SPLIT: 0
	.section	.text._ZN7rocprim17ROCPRIM_400000_NS6detail17trampoline_kernelINS0_14default_configENS1_20scan_config_selectorIsEEZZNS1_9scan_implILNS1_25lookback_scan_determinismE0ELb1ELb1ES3_N6thrust23THRUST_200600_302600_NS6detail15normal_iteratorINS9_10device_ptrIsEEEESE_s11max_functorIsEsEEDaPvRmT3_T4_T5_mT6_P12ihipStream_tbENKUlT_T0_E_clISt17integral_constantIbLb0EESU_EEDaSP_SQ_EUlSP_E0_NS1_11comp_targetILNS1_3genE8ELNS1_11target_archE1030ELNS1_3gpuE2ELNS1_3repE0EEENS1_30default_config_static_selectorELNS0_4arch9wavefront6targetE1EEEvT1_,"axG",@progbits,_ZN7rocprim17ROCPRIM_400000_NS6detail17trampoline_kernelINS0_14default_configENS1_20scan_config_selectorIsEEZZNS1_9scan_implILNS1_25lookback_scan_determinismE0ELb1ELb1ES3_N6thrust23THRUST_200600_302600_NS6detail15normal_iteratorINS9_10device_ptrIsEEEESE_s11max_functorIsEsEEDaPvRmT3_T4_T5_mT6_P12ihipStream_tbENKUlT_T0_E_clISt17integral_constantIbLb0EESU_EEDaSP_SQ_EUlSP_E0_NS1_11comp_targetILNS1_3genE8ELNS1_11target_archE1030ELNS1_3gpuE2ELNS1_3repE0EEENS1_30default_config_static_selectorELNS0_4arch9wavefront6targetE1EEEvT1_,comdat
	.protected	_ZN7rocprim17ROCPRIM_400000_NS6detail17trampoline_kernelINS0_14default_configENS1_20scan_config_selectorIsEEZZNS1_9scan_implILNS1_25lookback_scan_determinismE0ELb1ELb1ES3_N6thrust23THRUST_200600_302600_NS6detail15normal_iteratorINS9_10device_ptrIsEEEESE_s11max_functorIsEsEEDaPvRmT3_T4_T5_mT6_P12ihipStream_tbENKUlT_T0_E_clISt17integral_constantIbLb0EESU_EEDaSP_SQ_EUlSP_E0_NS1_11comp_targetILNS1_3genE8ELNS1_11target_archE1030ELNS1_3gpuE2ELNS1_3repE0EEENS1_30default_config_static_selectorELNS0_4arch9wavefront6targetE1EEEvT1_ ; -- Begin function _ZN7rocprim17ROCPRIM_400000_NS6detail17trampoline_kernelINS0_14default_configENS1_20scan_config_selectorIsEEZZNS1_9scan_implILNS1_25lookback_scan_determinismE0ELb1ELb1ES3_N6thrust23THRUST_200600_302600_NS6detail15normal_iteratorINS9_10device_ptrIsEEEESE_s11max_functorIsEsEEDaPvRmT3_T4_T5_mT6_P12ihipStream_tbENKUlT_T0_E_clISt17integral_constantIbLb0EESU_EEDaSP_SQ_EUlSP_E0_NS1_11comp_targetILNS1_3genE8ELNS1_11target_archE1030ELNS1_3gpuE2ELNS1_3repE0EEENS1_30default_config_static_selectorELNS0_4arch9wavefront6targetE1EEEvT1_
	.globl	_ZN7rocprim17ROCPRIM_400000_NS6detail17trampoline_kernelINS0_14default_configENS1_20scan_config_selectorIsEEZZNS1_9scan_implILNS1_25lookback_scan_determinismE0ELb1ELb1ES3_N6thrust23THRUST_200600_302600_NS6detail15normal_iteratorINS9_10device_ptrIsEEEESE_s11max_functorIsEsEEDaPvRmT3_T4_T5_mT6_P12ihipStream_tbENKUlT_T0_E_clISt17integral_constantIbLb0EESU_EEDaSP_SQ_EUlSP_E0_NS1_11comp_targetILNS1_3genE8ELNS1_11target_archE1030ELNS1_3gpuE2ELNS1_3repE0EEENS1_30default_config_static_selectorELNS0_4arch9wavefront6targetE1EEEvT1_
	.p2align	8
	.type	_ZN7rocprim17ROCPRIM_400000_NS6detail17trampoline_kernelINS0_14default_configENS1_20scan_config_selectorIsEEZZNS1_9scan_implILNS1_25lookback_scan_determinismE0ELb1ELb1ES3_N6thrust23THRUST_200600_302600_NS6detail15normal_iteratorINS9_10device_ptrIsEEEESE_s11max_functorIsEsEEDaPvRmT3_T4_T5_mT6_P12ihipStream_tbENKUlT_T0_E_clISt17integral_constantIbLb0EESU_EEDaSP_SQ_EUlSP_E0_NS1_11comp_targetILNS1_3genE8ELNS1_11target_archE1030ELNS1_3gpuE2ELNS1_3repE0EEENS1_30default_config_static_selectorELNS0_4arch9wavefront6targetE1EEEvT1_,@function
_ZN7rocprim17ROCPRIM_400000_NS6detail17trampoline_kernelINS0_14default_configENS1_20scan_config_selectorIsEEZZNS1_9scan_implILNS1_25lookback_scan_determinismE0ELb1ELb1ES3_N6thrust23THRUST_200600_302600_NS6detail15normal_iteratorINS9_10device_ptrIsEEEESE_s11max_functorIsEsEEDaPvRmT3_T4_T5_mT6_P12ihipStream_tbENKUlT_T0_E_clISt17integral_constantIbLb0EESU_EEDaSP_SQ_EUlSP_E0_NS1_11comp_targetILNS1_3genE8ELNS1_11target_archE1030ELNS1_3gpuE2ELNS1_3repE0EEENS1_30default_config_static_selectorELNS0_4arch9wavefront6targetE1EEEvT1_: ; @_ZN7rocprim17ROCPRIM_400000_NS6detail17trampoline_kernelINS0_14default_configENS1_20scan_config_selectorIsEEZZNS1_9scan_implILNS1_25lookback_scan_determinismE0ELb1ELb1ES3_N6thrust23THRUST_200600_302600_NS6detail15normal_iteratorINS9_10device_ptrIsEEEESE_s11max_functorIsEsEEDaPvRmT3_T4_T5_mT6_P12ihipStream_tbENKUlT_T0_E_clISt17integral_constantIbLb0EESU_EEDaSP_SQ_EUlSP_E0_NS1_11comp_targetILNS1_3genE8ELNS1_11target_archE1030ELNS1_3gpuE2ELNS1_3repE0EEENS1_30default_config_static_selectorELNS0_4arch9wavefront6targetE1EEEvT1_
; %bb.0:
	.section	.rodata,"a",@progbits
	.p2align	6, 0x0
	.amdhsa_kernel _ZN7rocprim17ROCPRIM_400000_NS6detail17trampoline_kernelINS0_14default_configENS1_20scan_config_selectorIsEEZZNS1_9scan_implILNS1_25lookback_scan_determinismE0ELb1ELb1ES3_N6thrust23THRUST_200600_302600_NS6detail15normal_iteratorINS9_10device_ptrIsEEEESE_s11max_functorIsEsEEDaPvRmT3_T4_T5_mT6_P12ihipStream_tbENKUlT_T0_E_clISt17integral_constantIbLb0EESU_EEDaSP_SQ_EUlSP_E0_NS1_11comp_targetILNS1_3genE8ELNS1_11target_archE1030ELNS1_3gpuE2ELNS1_3repE0EEENS1_30default_config_static_selectorELNS0_4arch9wavefront6targetE1EEEvT1_
		.amdhsa_group_segment_fixed_size 0
		.amdhsa_private_segment_fixed_size 0
		.amdhsa_kernarg_size 32
		.amdhsa_user_sgpr_count 6
		.amdhsa_user_sgpr_private_segment_buffer 1
		.amdhsa_user_sgpr_dispatch_ptr 0
		.amdhsa_user_sgpr_queue_ptr 0
		.amdhsa_user_sgpr_kernarg_segment_ptr 1
		.amdhsa_user_sgpr_dispatch_id 0
		.amdhsa_user_sgpr_flat_scratch_init 0
		.amdhsa_user_sgpr_kernarg_preload_length 0
		.amdhsa_user_sgpr_kernarg_preload_offset 0
		.amdhsa_user_sgpr_private_segment_size 0
		.amdhsa_uses_dynamic_stack 0
		.amdhsa_system_sgpr_private_segment_wavefront_offset 0
		.amdhsa_system_sgpr_workgroup_id_x 1
		.amdhsa_system_sgpr_workgroup_id_y 0
		.amdhsa_system_sgpr_workgroup_id_z 0
		.amdhsa_system_sgpr_workgroup_info 0
		.amdhsa_system_vgpr_workitem_id 0
		.amdhsa_next_free_vgpr 1
		.amdhsa_next_free_sgpr 0
		.amdhsa_accum_offset 4
		.amdhsa_reserve_vcc 0
		.amdhsa_reserve_flat_scratch 0
		.amdhsa_float_round_mode_32 0
		.amdhsa_float_round_mode_16_64 0
		.amdhsa_float_denorm_mode_32 3
		.amdhsa_float_denorm_mode_16_64 3
		.amdhsa_dx10_clamp 1
		.amdhsa_ieee_mode 1
		.amdhsa_fp16_overflow 0
		.amdhsa_tg_split 0
		.amdhsa_exception_fp_ieee_invalid_op 0
		.amdhsa_exception_fp_denorm_src 0
		.amdhsa_exception_fp_ieee_div_zero 0
		.amdhsa_exception_fp_ieee_overflow 0
		.amdhsa_exception_fp_ieee_underflow 0
		.amdhsa_exception_fp_ieee_inexact 0
		.amdhsa_exception_int_div_zero 0
	.end_amdhsa_kernel
	.section	.text._ZN7rocprim17ROCPRIM_400000_NS6detail17trampoline_kernelINS0_14default_configENS1_20scan_config_selectorIsEEZZNS1_9scan_implILNS1_25lookback_scan_determinismE0ELb1ELb1ES3_N6thrust23THRUST_200600_302600_NS6detail15normal_iteratorINS9_10device_ptrIsEEEESE_s11max_functorIsEsEEDaPvRmT3_T4_T5_mT6_P12ihipStream_tbENKUlT_T0_E_clISt17integral_constantIbLb0EESU_EEDaSP_SQ_EUlSP_E0_NS1_11comp_targetILNS1_3genE8ELNS1_11target_archE1030ELNS1_3gpuE2ELNS1_3repE0EEENS1_30default_config_static_selectorELNS0_4arch9wavefront6targetE1EEEvT1_,"axG",@progbits,_ZN7rocprim17ROCPRIM_400000_NS6detail17trampoline_kernelINS0_14default_configENS1_20scan_config_selectorIsEEZZNS1_9scan_implILNS1_25lookback_scan_determinismE0ELb1ELb1ES3_N6thrust23THRUST_200600_302600_NS6detail15normal_iteratorINS9_10device_ptrIsEEEESE_s11max_functorIsEsEEDaPvRmT3_T4_T5_mT6_P12ihipStream_tbENKUlT_T0_E_clISt17integral_constantIbLb0EESU_EEDaSP_SQ_EUlSP_E0_NS1_11comp_targetILNS1_3genE8ELNS1_11target_archE1030ELNS1_3gpuE2ELNS1_3repE0EEENS1_30default_config_static_selectorELNS0_4arch9wavefront6targetE1EEEvT1_,comdat
.Lfunc_end2935:
	.size	_ZN7rocprim17ROCPRIM_400000_NS6detail17trampoline_kernelINS0_14default_configENS1_20scan_config_selectorIsEEZZNS1_9scan_implILNS1_25lookback_scan_determinismE0ELb1ELb1ES3_N6thrust23THRUST_200600_302600_NS6detail15normal_iteratorINS9_10device_ptrIsEEEESE_s11max_functorIsEsEEDaPvRmT3_T4_T5_mT6_P12ihipStream_tbENKUlT_T0_E_clISt17integral_constantIbLb0EESU_EEDaSP_SQ_EUlSP_E0_NS1_11comp_targetILNS1_3genE8ELNS1_11target_archE1030ELNS1_3gpuE2ELNS1_3repE0EEENS1_30default_config_static_selectorELNS0_4arch9wavefront6targetE1EEEvT1_, .Lfunc_end2935-_ZN7rocprim17ROCPRIM_400000_NS6detail17trampoline_kernelINS0_14default_configENS1_20scan_config_selectorIsEEZZNS1_9scan_implILNS1_25lookback_scan_determinismE0ELb1ELb1ES3_N6thrust23THRUST_200600_302600_NS6detail15normal_iteratorINS9_10device_ptrIsEEEESE_s11max_functorIsEsEEDaPvRmT3_T4_T5_mT6_P12ihipStream_tbENKUlT_T0_E_clISt17integral_constantIbLb0EESU_EEDaSP_SQ_EUlSP_E0_NS1_11comp_targetILNS1_3genE8ELNS1_11target_archE1030ELNS1_3gpuE2ELNS1_3repE0EEENS1_30default_config_static_selectorELNS0_4arch9wavefront6targetE1EEEvT1_
                                        ; -- End function
	.section	.AMDGPU.csdata,"",@progbits
; Kernel info:
; codeLenInByte = 0
; NumSgprs: 4
; NumVgprs: 0
; NumAgprs: 0
; TotalNumVgprs: 0
; ScratchSize: 0
; MemoryBound: 0
; FloatMode: 240
; IeeeMode: 1
; LDSByteSize: 0 bytes/workgroup (compile time only)
; SGPRBlocks: 0
; VGPRBlocks: 0
; NumSGPRsForWavesPerEU: 4
; NumVGPRsForWavesPerEU: 1
; AccumOffset: 4
; Occupancy: 8
; WaveLimiterHint : 0
; COMPUTE_PGM_RSRC2:SCRATCH_EN: 0
; COMPUTE_PGM_RSRC2:USER_SGPR: 6
; COMPUTE_PGM_RSRC2:TRAP_HANDLER: 0
; COMPUTE_PGM_RSRC2:TGID_X_EN: 1
; COMPUTE_PGM_RSRC2:TGID_Y_EN: 0
; COMPUTE_PGM_RSRC2:TGID_Z_EN: 0
; COMPUTE_PGM_RSRC2:TIDIG_COMP_CNT: 0
; COMPUTE_PGM_RSRC3_GFX90A:ACCUM_OFFSET: 0
; COMPUTE_PGM_RSRC3_GFX90A:TG_SPLIT: 0
	.section	.text._ZN7rocprim17ROCPRIM_400000_NS6detail17trampoline_kernelINS0_14default_configENS1_20scan_config_selectorIsEEZZNS1_9scan_implILNS1_25lookback_scan_determinismE0ELb1ELb1ES3_N6thrust23THRUST_200600_302600_NS6detail15normal_iteratorINS9_10device_ptrIsEEEESE_s11max_functorIsEsEEDaPvRmT3_T4_T5_mT6_P12ihipStream_tbENKUlT_T0_E_clISt17integral_constantIbLb1EESU_EEDaSP_SQ_EUlSP_E_NS1_11comp_targetILNS1_3genE0ELNS1_11target_archE4294967295ELNS1_3gpuE0ELNS1_3repE0EEENS1_30default_config_static_selectorELNS0_4arch9wavefront6targetE1EEEvT1_,"axG",@progbits,_ZN7rocprim17ROCPRIM_400000_NS6detail17trampoline_kernelINS0_14default_configENS1_20scan_config_selectorIsEEZZNS1_9scan_implILNS1_25lookback_scan_determinismE0ELb1ELb1ES3_N6thrust23THRUST_200600_302600_NS6detail15normal_iteratorINS9_10device_ptrIsEEEESE_s11max_functorIsEsEEDaPvRmT3_T4_T5_mT6_P12ihipStream_tbENKUlT_T0_E_clISt17integral_constantIbLb1EESU_EEDaSP_SQ_EUlSP_E_NS1_11comp_targetILNS1_3genE0ELNS1_11target_archE4294967295ELNS1_3gpuE0ELNS1_3repE0EEENS1_30default_config_static_selectorELNS0_4arch9wavefront6targetE1EEEvT1_,comdat
	.protected	_ZN7rocprim17ROCPRIM_400000_NS6detail17trampoline_kernelINS0_14default_configENS1_20scan_config_selectorIsEEZZNS1_9scan_implILNS1_25lookback_scan_determinismE0ELb1ELb1ES3_N6thrust23THRUST_200600_302600_NS6detail15normal_iteratorINS9_10device_ptrIsEEEESE_s11max_functorIsEsEEDaPvRmT3_T4_T5_mT6_P12ihipStream_tbENKUlT_T0_E_clISt17integral_constantIbLb1EESU_EEDaSP_SQ_EUlSP_E_NS1_11comp_targetILNS1_3genE0ELNS1_11target_archE4294967295ELNS1_3gpuE0ELNS1_3repE0EEENS1_30default_config_static_selectorELNS0_4arch9wavefront6targetE1EEEvT1_ ; -- Begin function _ZN7rocprim17ROCPRIM_400000_NS6detail17trampoline_kernelINS0_14default_configENS1_20scan_config_selectorIsEEZZNS1_9scan_implILNS1_25lookback_scan_determinismE0ELb1ELb1ES3_N6thrust23THRUST_200600_302600_NS6detail15normal_iteratorINS9_10device_ptrIsEEEESE_s11max_functorIsEsEEDaPvRmT3_T4_T5_mT6_P12ihipStream_tbENKUlT_T0_E_clISt17integral_constantIbLb1EESU_EEDaSP_SQ_EUlSP_E_NS1_11comp_targetILNS1_3genE0ELNS1_11target_archE4294967295ELNS1_3gpuE0ELNS1_3repE0EEENS1_30default_config_static_selectorELNS0_4arch9wavefront6targetE1EEEvT1_
	.globl	_ZN7rocprim17ROCPRIM_400000_NS6detail17trampoline_kernelINS0_14default_configENS1_20scan_config_selectorIsEEZZNS1_9scan_implILNS1_25lookback_scan_determinismE0ELb1ELb1ES3_N6thrust23THRUST_200600_302600_NS6detail15normal_iteratorINS9_10device_ptrIsEEEESE_s11max_functorIsEsEEDaPvRmT3_T4_T5_mT6_P12ihipStream_tbENKUlT_T0_E_clISt17integral_constantIbLb1EESU_EEDaSP_SQ_EUlSP_E_NS1_11comp_targetILNS1_3genE0ELNS1_11target_archE4294967295ELNS1_3gpuE0ELNS1_3repE0EEENS1_30default_config_static_selectorELNS0_4arch9wavefront6targetE1EEEvT1_
	.p2align	8
	.type	_ZN7rocprim17ROCPRIM_400000_NS6detail17trampoline_kernelINS0_14default_configENS1_20scan_config_selectorIsEEZZNS1_9scan_implILNS1_25lookback_scan_determinismE0ELb1ELb1ES3_N6thrust23THRUST_200600_302600_NS6detail15normal_iteratorINS9_10device_ptrIsEEEESE_s11max_functorIsEsEEDaPvRmT3_T4_T5_mT6_P12ihipStream_tbENKUlT_T0_E_clISt17integral_constantIbLb1EESU_EEDaSP_SQ_EUlSP_E_NS1_11comp_targetILNS1_3genE0ELNS1_11target_archE4294967295ELNS1_3gpuE0ELNS1_3repE0EEENS1_30default_config_static_selectorELNS0_4arch9wavefront6targetE1EEEvT1_,@function
_ZN7rocprim17ROCPRIM_400000_NS6detail17trampoline_kernelINS0_14default_configENS1_20scan_config_selectorIsEEZZNS1_9scan_implILNS1_25lookback_scan_determinismE0ELb1ELb1ES3_N6thrust23THRUST_200600_302600_NS6detail15normal_iteratorINS9_10device_ptrIsEEEESE_s11max_functorIsEsEEDaPvRmT3_T4_T5_mT6_P12ihipStream_tbENKUlT_T0_E_clISt17integral_constantIbLb1EESU_EEDaSP_SQ_EUlSP_E_NS1_11comp_targetILNS1_3genE0ELNS1_11target_archE4294967295ELNS1_3gpuE0ELNS1_3repE0EEENS1_30default_config_static_selectorELNS0_4arch9wavefront6targetE1EEEvT1_: ; @_ZN7rocprim17ROCPRIM_400000_NS6detail17trampoline_kernelINS0_14default_configENS1_20scan_config_selectorIsEEZZNS1_9scan_implILNS1_25lookback_scan_determinismE0ELb1ELb1ES3_N6thrust23THRUST_200600_302600_NS6detail15normal_iteratorINS9_10device_ptrIsEEEESE_s11max_functorIsEsEEDaPvRmT3_T4_T5_mT6_P12ihipStream_tbENKUlT_T0_E_clISt17integral_constantIbLb1EESU_EEDaSP_SQ_EUlSP_E_NS1_11comp_targetILNS1_3genE0ELNS1_11target_archE4294967295ELNS1_3gpuE0ELNS1_3repE0EEENS1_30default_config_static_selectorELNS0_4arch9wavefront6targetE1EEEvT1_
; %bb.0:
	.section	.rodata,"a",@progbits
	.p2align	6, 0x0
	.amdhsa_kernel _ZN7rocprim17ROCPRIM_400000_NS6detail17trampoline_kernelINS0_14default_configENS1_20scan_config_selectorIsEEZZNS1_9scan_implILNS1_25lookback_scan_determinismE0ELb1ELb1ES3_N6thrust23THRUST_200600_302600_NS6detail15normal_iteratorINS9_10device_ptrIsEEEESE_s11max_functorIsEsEEDaPvRmT3_T4_T5_mT6_P12ihipStream_tbENKUlT_T0_E_clISt17integral_constantIbLb1EESU_EEDaSP_SQ_EUlSP_E_NS1_11comp_targetILNS1_3genE0ELNS1_11target_archE4294967295ELNS1_3gpuE0ELNS1_3repE0EEENS1_30default_config_static_selectorELNS0_4arch9wavefront6targetE1EEEvT1_
		.amdhsa_group_segment_fixed_size 0
		.amdhsa_private_segment_fixed_size 0
		.amdhsa_kernarg_size 96
		.amdhsa_user_sgpr_count 6
		.amdhsa_user_sgpr_private_segment_buffer 1
		.amdhsa_user_sgpr_dispatch_ptr 0
		.amdhsa_user_sgpr_queue_ptr 0
		.amdhsa_user_sgpr_kernarg_segment_ptr 1
		.amdhsa_user_sgpr_dispatch_id 0
		.amdhsa_user_sgpr_flat_scratch_init 0
		.amdhsa_user_sgpr_kernarg_preload_length 0
		.amdhsa_user_sgpr_kernarg_preload_offset 0
		.amdhsa_user_sgpr_private_segment_size 0
		.amdhsa_uses_dynamic_stack 0
		.amdhsa_system_sgpr_private_segment_wavefront_offset 0
		.amdhsa_system_sgpr_workgroup_id_x 1
		.amdhsa_system_sgpr_workgroup_id_y 0
		.amdhsa_system_sgpr_workgroup_id_z 0
		.amdhsa_system_sgpr_workgroup_info 0
		.amdhsa_system_vgpr_workitem_id 0
		.amdhsa_next_free_vgpr 1
		.amdhsa_next_free_sgpr 0
		.amdhsa_accum_offset 4
		.amdhsa_reserve_vcc 0
		.amdhsa_reserve_flat_scratch 0
		.amdhsa_float_round_mode_32 0
		.amdhsa_float_round_mode_16_64 0
		.amdhsa_float_denorm_mode_32 3
		.amdhsa_float_denorm_mode_16_64 3
		.amdhsa_dx10_clamp 1
		.amdhsa_ieee_mode 1
		.amdhsa_fp16_overflow 0
		.amdhsa_tg_split 0
		.amdhsa_exception_fp_ieee_invalid_op 0
		.amdhsa_exception_fp_denorm_src 0
		.amdhsa_exception_fp_ieee_div_zero 0
		.amdhsa_exception_fp_ieee_overflow 0
		.amdhsa_exception_fp_ieee_underflow 0
		.amdhsa_exception_fp_ieee_inexact 0
		.amdhsa_exception_int_div_zero 0
	.end_amdhsa_kernel
	.section	.text._ZN7rocprim17ROCPRIM_400000_NS6detail17trampoline_kernelINS0_14default_configENS1_20scan_config_selectorIsEEZZNS1_9scan_implILNS1_25lookback_scan_determinismE0ELb1ELb1ES3_N6thrust23THRUST_200600_302600_NS6detail15normal_iteratorINS9_10device_ptrIsEEEESE_s11max_functorIsEsEEDaPvRmT3_T4_T5_mT6_P12ihipStream_tbENKUlT_T0_E_clISt17integral_constantIbLb1EESU_EEDaSP_SQ_EUlSP_E_NS1_11comp_targetILNS1_3genE0ELNS1_11target_archE4294967295ELNS1_3gpuE0ELNS1_3repE0EEENS1_30default_config_static_selectorELNS0_4arch9wavefront6targetE1EEEvT1_,"axG",@progbits,_ZN7rocprim17ROCPRIM_400000_NS6detail17trampoline_kernelINS0_14default_configENS1_20scan_config_selectorIsEEZZNS1_9scan_implILNS1_25lookback_scan_determinismE0ELb1ELb1ES3_N6thrust23THRUST_200600_302600_NS6detail15normal_iteratorINS9_10device_ptrIsEEEESE_s11max_functorIsEsEEDaPvRmT3_T4_T5_mT6_P12ihipStream_tbENKUlT_T0_E_clISt17integral_constantIbLb1EESU_EEDaSP_SQ_EUlSP_E_NS1_11comp_targetILNS1_3genE0ELNS1_11target_archE4294967295ELNS1_3gpuE0ELNS1_3repE0EEENS1_30default_config_static_selectorELNS0_4arch9wavefront6targetE1EEEvT1_,comdat
.Lfunc_end2936:
	.size	_ZN7rocprim17ROCPRIM_400000_NS6detail17trampoline_kernelINS0_14default_configENS1_20scan_config_selectorIsEEZZNS1_9scan_implILNS1_25lookback_scan_determinismE0ELb1ELb1ES3_N6thrust23THRUST_200600_302600_NS6detail15normal_iteratorINS9_10device_ptrIsEEEESE_s11max_functorIsEsEEDaPvRmT3_T4_T5_mT6_P12ihipStream_tbENKUlT_T0_E_clISt17integral_constantIbLb1EESU_EEDaSP_SQ_EUlSP_E_NS1_11comp_targetILNS1_3genE0ELNS1_11target_archE4294967295ELNS1_3gpuE0ELNS1_3repE0EEENS1_30default_config_static_selectorELNS0_4arch9wavefront6targetE1EEEvT1_, .Lfunc_end2936-_ZN7rocprim17ROCPRIM_400000_NS6detail17trampoline_kernelINS0_14default_configENS1_20scan_config_selectorIsEEZZNS1_9scan_implILNS1_25lookback_scan_determinismE0ELb1ELb1ES3_N6thrust23THRUST_200600_302600_NS6detail15normal_iteratorINS9_10device_ptrIsEEEESE_s11max_functorIsEsEEDaPvRmT3_T4_T5_mT6_P12ihipStream_tbENKUlT_T0_E_clISt17integral_constantIbLb1EESU_EEDaSP_SQ_EUlSP_E_NS1_11comp_targetILNS1_3genE0ELNS1_11target_archE4294967295ELNS1_3gpuE0ELNS1_3repE0EEENS1_30default_config_static_selectorELNS0_4arch9wavefront6targetE1EEEvT1_
                                        ; -- End function
	.section	.AMDGPU.csdata,"",@progbits
; Kernel info:
; codeLenInByte = 0
; NumSgprs: 4
; NumVgprs: 0
; NumAgprs: 0
; TotalNumVgprs: 0
; ScratchSize: 0
; MemoryBound: 0
; FloatMode: 240
; IeeeMode: 1
; LDSByteSize: 0 bytes/workgroup (compile time only)
; SGPRBlocks: 0
; VGPRBlocks: 0
; NumSGPRsForWavesPerEU: 4
; NumVGPRsForWavesPerEU: 1
; AccumOffset: 4
; Occupancy: 8
; WaveLimiterHint : 0
; COMPUTE_PGM_RSRC2:SCRATCH_EN: 0
; COMPUTE_PGM_RSRC2:USER_SGPR: 6
; COMPUTE_PGM_RSRC2:TRAP_HANDLER: 0
; COMPUTE_PGM_RSRC2:TGID_X_EN: 1
; COMPUTE_PGM_RSRC2:TGID_Y_EN: 0
; COMPUTE_PGM_RSRC2:TGID_Z_EN: 0
; COMPUTE_PGM_RSRC2:TIDIG_COMP_CNT: 0
; COMPUTE_PGM_RSRC3_GFX90A:ACCUM_OFFSET: 0
; COMPUTE_PGM_RSRC3_GFX90A:TG_SPLIT: 0
	.section	.text._ZN7rocprim17ROCPRIM_400000_NS6detail17trampoline_kernelINS0_14default_configENS1_20scan_config_selectorIsEEZZNS1_9scan_implILNS1_25lookback_scan_determinismE0ELb1ELb1ES3_N6thrust23THRUST_200600_302600_NS6detail15normal_iteratorINS9_10device_ptrIsEEEESE_s11max_functorIsEsEEDaPvRmT3_T4_T5_mT6_P12ihipStream_tbENKUlT_T0_E_clISt17integral_constantIbLb1EESU_EEDaSP_SQ_EUlSP_E_NS1_11comp_targetILNS1_3genE5ELNS1_11target_archE942ELNS1_3gpuE9ELNS1_3repE0EEENS1_30default_config_static_selectorELNS0_4arch9wavefront6targetE1EEEvT1_,"axG",@progbits,_ZN7rocprim17ROCPRIM_400000_NS6detail17trampoline_kernelINS0_14default_configENS1_20scan_config_selectorIsEEZZNS1_9scan_implILNS1_25lookback_scan_determinismE0ELb1ELb1ES3_N6thrust23THRUST_200600_302600_NS6detail15normal_iteratorINS9_10device_ptrIsEEEESE_s11max_functorIsEsEEDaPvRmT3_T4_T5_mT6_P12ihipStream_tbENKUlT_T0_E_clISt17integral_constantIbLb1EESU_EEDaSP_SQ_EUlSP_E_NS1_11comp_targetILNS1_3genE5ELNS1_11target_archE942ELNS1_3gpuE9ELNS1_3repE0EEENS1_30default_config_static_selectorELNS0_4arch9wavefront6targetE1EEEvT1_,comdat
	.protected	_ZN7rocprim17ROCPRIM_400000_NS6detail17trampoline_kernelINS0_14default_configENS1_20scan_config_selectorIsEEZZNS1_9scan_implILNS1_25lookback_scan_determinismE0ELb1ELb1ES3_N6thrust23THRUST_200600_302600_NS6detail15normal_iteratorINS9_10device_ptrIsEEEESE_s11max_functorIsEsEEDaPvRmT3_T4_T5_mT6_P12ihipStream_tbENKUlT_T0_E_clISt17integral_constantIbLb1EESU_EEDaSP_SQ_EUlSP_E_NS1_11comp_targetILNS1_3genE5ELNS1_11target_archE942ELNS1_3gpuE9ELNS1_3repE0EEENS1_30default_config_static_selectorELNS0_4arch9wavefront6targetE1EEEvT1_ ; -- Begin function _ZN7rocprim17ROCPRIM_400000_NS6detail17trampoline_kernelINS0_14default_configENS1_20scan_config_selectorIsEEZZNS1_9scan_implILNS1_25lookback_scan_determinismE0ELb1ELb1ES3_N6thrust23THRUST_200600_302600_NS6detail15normal_iteratorINS9_10device_ptrIsEEEESE_s11max_functorIsEsEEDaPvRmT3_T4_T5_mT6_P12ihipStream_tbENKUlT_T0_E_clISt17integral_constantIbLb1EESU_EEDaSP_SQ_EUlSP_E_NS1_11comp_targetILNS1_3genE5ELNS1_11target_archE942ELNS1_3gpuE9ELNS1_3repE0EEENS1_30default_config_static_selectorELNS0_4arch9wavefront6targetE1EEEvT1_
	.globl	_ZN7rocprim17ROCPRIM_400000_NS6detail17trampoline_kernelINS0_14default_configENS1_20scan_config_selectorIsEEZZNS1_9scan_implILNS1_25lookback_scan_determinismE0ELb1ELb1ES3_N6thrust23THRUST_200600_302600_NS6detail15normal_iteratorINS9_10device_ptrIsEEEESE_s11max_functorIsEsEEDaPvRmT3_T4_T5_mT6_P12ihipStream_tbENKUlT_T0_E_clISt17integral_constantIbLb1EESU_EEDaSP_SQ_EUlSP_E_NS1_11comp_targetILNS1_3genE5ELNS1_11target_archE942ELNS1_3gpuE9ELNS1_3repE0EEENS1_30default_config_static_selectorELNS0_4arch9wavefront6targetE1EEEvT1_
	.p2align	8
	.type	_ZN7rocprim17ROCPRIM_400000_NS6detail17trampoline_kernelINS0_14default_configENS1_20scan_config_selectorIsEEZZNS1_9scan_implILNS1_25lookback_scan_determinismE0ELb1ELb1ES3_N6thrust23THRUST_200600_302600_NS6detail15normal_iteratorINS9_10device_ptrIsEEEESE_s11max_functorIsEsEEDaPvRmT3_T4_T5_mT6_P12ihipStream_tbENKUlT_T0_E_clISt17integral_constantIbLb1EESU_EEDaSP_SQ_EUlSP_E_NS1_11comp_targetILNS1_3genE5ELNS1_11target_archE942ELNS1_3gpuE9ELNS1_3repE0EEENS1_30default_config_static_selectorELNS0_4arch9wavefront6targetE1EEEvT1_,@function
_ZN7rocprim17ROCPRIM_400000_NS6detail17trampoline_kernelINS0_14default_configENS1_20scan_config_selectorIsEEZZNS1_9scan_implILNS1_25lookback_scan_determinismE0ELb1ELb1ES3_N6thrust23THRUST_200600_302600_NS6detail15normal_iteratorINS9_10device_ptrIsEEEESE_s11max_functorIsEsEEDaPvRmT3_T4_T5_mT6_P12ihipStream_tbENKUlT_T0_E_clISt17integral_constantIbLb1EESU_EEDaSP_SQ_EUlSP_E_NS1_11comp_targetILNS1_3genE5ELNS1_11target_archE942ELNS1_3gpuE9ELNS1_3repE0EEENS1_30default_config_static_selectorELNS0_4arch9wavefront6targetE1EEEvT1_: ; @_ZN7rocprim17ROCPRIM_400000_NS6detail17trampoline_kernelINS0_14default_configENS1_20scan_config_selectorIsEEZZNS1_9scan_implILNS1_25lookback_scan_determinismE0ELb1ELb1ES3_N6thrust23THRUST_200600_302600_NS6detail15normal_iteratorINS9_10device_ptrIsEEEESE_s11max_functorIsEsEEDaPvRmT3_T4_T5_mT6_P12ihipStream_tbENKUlT_T0_E_clISt17integral_constantIbLb1EESU_EEDaSP_SQ_EUlSP_E_NS1_11comp_targetILNS1_3genE5ELNS1_11target_archE942ELNS1_3gpuE9ELNS1_3repE0EEENS1_30default_config_static_selectorELNS0_4arch9wavefront6targetE1EEEvT1_
; %bb.0:
	.section	.rodata,"a",@progbits
	.p2align	6, 0x0
	.amdhsa_kernel _ZN7rocprim17ROCPRIM_400000_NS6detail17trampoline_kernelINS0_14default_configENS1_20scan_config_selectorIsEEZZNS1_9scan_implILNS1_25lookback_scan_determinismE0ELb1ELb1ES3_N6thrust23THRUST_200600_302600_NS6detail15normal_iteratorINS9_10device_ptrIsEEEESE_s11max_functorIsEsEEDaPvRmT3_T4_T5_mT6_P12ihipStream_tbENKUlT_T0_E_clISt17integral_constantIbLb1EESU_EEDaSP_SQ_EUlSP_E_NS1_11comp_targetILNS1_3genE5ELNS1_11target_archE942ELNS1_3gpuE9ELNS1_3repE0EEENS1_30default_config_static_selectorELNS0_4arch9wavefront6targetE1EEEvT1_
		.amdhsa_group_segment_fixed_size 0
		.amdhsa_private_segment_fixed_size 0
		.amdhsa_kernarg_size 96
		.amdhsa_user_sgpr_count 6
		.amdhsa_user_sgpr_private_segment_buffer 1
		.amdhsa_user_sgpr_dispatch_ptr 0
		.amdhsa_user_sgpr_queue_ptr 0
		.amdhsa_user_sgpr_kernarg_segment_ptr 1
		.amdhsa_user_sgpr_dispatch_id 0
		.amdhsa_user_sgpr_flat_scratch_init 0
		.amdhsa_user_sgpr_kernarg_preload_length 0
		.amdhsa_user_sgpr_kernarg_preload_offset 0
		.amdhsa_user_sgpr_private_segment_size 0
		.amdhsa_uses_dynamic_stack 0
		.amdhsa_system_sgpr_private_segment_wavefront_offset 0
		.amdhsa_system_sgpr_workgroup_id_x 1
		.amdhsa_system_sgpr_workgroup_id_y 0
		.amdhsa_system_sgpr_workgroup_id_z 0
		.amdhsa_system_sgpr_workgroup_info 0
		.amdhsa_system_vgpr_workitem_id 0
		.amdhsa_next_free_vgpr 1
		.amdhsa_next_free_sgpr 0
		.amdhsa_accum_offset 4
		.amdhsa_reserve_vcc 0
		.amdhsa_reserve_flat_scratch 0
		.amdhsa_float_round_mode_32 0
		.amdhsa_float_round_mode_16_64 0
		.amdhsa_float_denorm_mode_32 3
		.amdhsa_float_denorm_mode_16_64 3
		.amdhsa_dx10_clamp 1
		.amdhsa_ieee_mode 1
		.amdhsa_fp16_overflow 0
		.amdhsa_tg_split 0
		.amdhsa_exception_fp_ieee_invalid_op 0
		.amdhsa_exception_fp_denorm_src 0
		.amdhsa_exception_fp_ieee_div_zero 0
		.amdhsa_exception_fp_ieee_overflow 0
		.amdhsa_exception_fp_ieee_underflow 0
		.amdhsa_exception_fp_ieee_inexact 0
		.amdhsa_exception_int_div_zero 0
	.end_amdhsa_kernel
	.section	.text._ZN7rocprim17ROCPRIM_400000_NS6detail17trampoline_kernelINS0_14default_configENS1_20scan_config_selectorIsEEZZNS1_9scan_implILNS1_25lookback_scan_determinismE0ELb1ELb1ES3_N6thrust23THRUST_200600_302600_NS6detail15normal_iteratorINS9_10device_ptrIsEEEESE_s11max_functorIsEsEEDaPvRmT3_T4_T5_mT6_P12ihipStream_tbENKUlT_T0_E_clISt17integral_constantIbLb1EESU_EEDaSP_SQ_EUlSP_E_NS1_11comp_targetILNS1_3genE5ELNS1_11target_archE942ELNS1_3gpuE9ELNS1_3repE0EEENS1_30default_config_static_selectorELNS0_4arch9wavefront6targetE1EEEvT1_,"axG",@progbits,_ZN7rocprim17ROCPRIM_400000_NS6detail17trampoline_kernelINS0_14default_configENS1_20scan_config_selectorIsEEZZNS1_9scan_implILNS1_25lookback_scan_determinismE0ELb1ELb1ES3_N6thrust23THRUST_200600_302600_NS6detail15normal_iteratorINS9_10device_ptrIsEEEESE_s11max_functorIsEsEEDaPvRmT3_T4_T5_mT6_P12ihipStream_tbENKUlT_T0_E_clISt17integral_constantIbLb1EESU_EEDaSP_SQ_EUlSP_E_NS1_11comp_targetILNS1_3genE5ELNS1_11target_archE942ELNS1_3gpuE9ELNS1_3repE0EEENS1_30default_config_static_selectorELNS0_4arch9wavefront6targetE1EEEvT1_,comdat
.Lfunc_end2937:
	.size	_ZN7rocprim17ROCPRIM_400000_NS6detail17trampoline_kernelINS0_14default_configENS1_20scan_config_selectorIsEEZZNS1_9scan_implILNS1_25lookback_scan_determinismE0ELb1ELb1ES3_N6thrust23THRUST_200600_302600_NS6detail15normal_iteratorINS9_10device_ptrIsEEEESE_s11max_functorIsEsEEDaPvRmT3_T4_T5_mT6_P12ihipStream_tbENKUlT_T0_E_clISt17integral_constantIbLb1EESU_EEDaSP_SQ_EUlSP_E_NS1_11comp_targetILNS1_3genE5ELNS1_11target_archE942ELNS1_3gpuE9ELNS1_3repE0EEENS1_30default_config_static_selectorELNS0_4arch9wavefront6targetE1EEEvT1_, .Lfunc_end2937-_ZN7rocprim17ROCPRIM_400000_NS6detail17trampoline_kernelINS0_14default_configENS1_20scan_config_selectorIsEEZZNS1_9scan_implILNS1_25lookback_scan_determinismE0ELb1ELb1ES3_N6thrust23THRUST_200600_302600_NS6detail15normal_iteratorINS9_10device_ptrIsEEEESE_s11max_functorIsEsEEDaPvRmT3_T4_T5_mT6_P12ihipStream_tbENKUlT_T0_E_clISt17integral_constantIbLb1EESU_EEDaSP_SQ_EUlSP_E_NS1_11comp_targetILNS1_3genE5ELNS1_11target_archE942ELNS1_3gpuE9ELNS1_3repE0EEENS1_30default_config_static_selectorELNS0_4arch9wavefront6targetE1EEEvT1_
                                        ; -- End function
	.section	.AMDGPU.csdata,"",@progbits
; Kernel info:
; codeLenInByte = 0
; NumSgprs: 4
; NumVgprs: 0
; NumAgprs: 0
; TotalNumVgprs: 0
; ScratchSize: 0
; MemoryBound: 0
; FloatMode: 240
; IeeeMode: 1
; LDSByteSize: 0 bytes/workgroup (compile time only)
; SGPRBlocks: 0
; VGPRBlocks: 0
; NumSGPRsForWavesPerEU: 4
; NumVGPRsForWavesPerEU: 1
; AccumOffset: 4
; Occupancy: 8
; WaveLimiterHint : 0
; COMPUTE_PGM_RSRC2:SCRATCH_EN: 0
; COMPUTE_PGM_RSRC2:USER_SGPR: 6
; COMPUTE_PGM_RSRC2:TRAP_HANDLER: 0
; COMPUTE_PGM_RSRC2:TGID_X_EN: 1
; COMPUTE_PGM_RSRC2:TGID_Y_EN: 0
; COMPUTE_PGM_RSRC2:TGID_Z_EN: 0
; COMPUTE_PGM_RSRC2:TIDIG_COMP_CNT: 0
; COMPUTE_PGM_RSRC3_GFX90A:ACCUM_OFFSET: 0
; COMPUTE_PGM_RSRC3_GFX90A:TG_SPLIT: 0
	.section	.text._ZN7rocprim17ROCPRIM_400000_NS6detail17trampoline_kernelINS0_14default_configENS1_20scan_config_selectorIsEEZZNS1_9scan_implILNS1_25lookback_scan_determinismE0ELb1ELb1ES3_N6thrust23THRUST_200600_302600_NS6detail15normal_iteratorINS9_10device_ptrIsEEEESE_s11max_functorIsEsEEDaPvRmT3_T4_T5_mT6_P12ihipStream_tbENKUlT_T0_E_clISt17integral_constantIbLb1EESU_EEDaSP_SQ_EUlSP_E_NS1_11comp_targetILNS1_3genE4ELNS1_11target_archE910ELNS1_3gpuE8ELNS1_3repE0EEENS1_30default_config_static_selectorELNS0_4arch9wavefront6targetE1EEEvT1_,"axG",@progbits,_ZN7rocprim17ROCPRIM_400000_NS6detail17trampoline_kernelINS0_14default_configENS1_20scan_config_selectorIsEEZZNS1_9scan_implILNS1_25lookback_scan_determinismE0ELb1ELb1ES3_N6thrust23THRUST_200600_302600_NS6detail15normal_iteratorINS9_10device_ptrIsEEEESE_s11max_functorIsEsEEDaPvRmT3_T4_T5_mT6_P12ihipStream_tbENKUlT_T0_E_clISt17integral_constantIbLb1EESU_EEDaSP_SQ_EUlSP_E_NS1_11comp_targetILNS1_3genE4ELNS1_11target_archE910ELNS1_3gpuE8ELNS1_3repE0EEENS1_30default_config_static_selectorELNS0_4arch9wavefront6targetE1EEEvT1_,comdat
	.protected	_ZN7rocprim17ROCPRIM_400000_NS6detail17trampoline_kernelINS0_14default_configENS1_20scan_config_selectorIsEEZZNS1_9scan_implILNS1_25lookback_scan_determinismE0ELb1ELb1ES3_N6thrust23THRUST_200600_302600_NS6detail15normal_iteratorINS9_10device_ptrIsEEEESE_s11max_functorIsEsEEDaPvRmT3_T4_T5_mT6_P12ihipStream_tbENKUlT_T0_E_clISt17integral_constantIbLb1EESU_EEDaSP_SQ_EUlSP_E_NS1_11comp_targetILNS1_3genE4ELNS1_11target_archE910ELNS1_3gpuE8ELNS1_3repE0EEENS1_30default_config_static_selectorELNS0_4arch9wavefront6targetE1EEEvT1_ ; -- Begin function _ZN7rocprim17ROCPRIM_400000_NS6detail17trampoline_kernelINS0_14default_configENS1_20scan_config_selectorIsEEZZNS1_9scan_implILNS1_25lookback_scan_determinismE0ELb1ELb1ES3_N6thrust23THRUST_200600_302600_NS6detail15normal_iteratorINS9_10device_ptrIsEEEESE_s11max_functorIsEsEEDaPvRmT3_T4_T5_mT6_P12ihipStream_tbENKUlT_T0_E_clISt17integral_constantIbLb1EESU_EEDaSP_SQ_EUlSP_E_NS1_11comp_targetILNS1_3genE4ELNS1_11target_archE910ELNS1_3gpuE8ELNS1_3repE0EEENS1_30default_config_static_selectorELNS0_4arch9wavefront6targetE1EEEvT1_
	.globl	_ZN7rocprim17ROCPRIM_400000_NS6detail17trampoline_kernelINS0_14default_configENS1_20scan_config_selectorIsEEZZNS1_9scan_implILNS1_25lookback_scan_determinismE0ELb1ELb1ES3_N6thrust23THRUST_200600_302600_NS6detail15normal_iteratorINS9_10device_ptrIsEEEESE_s11max_functorIsEsEEDaPvRmT3_T4_T5_mT6_P12ihipStream_tbENKUlT_T0_E_clISt17integral_constantIbLb1EESU_EEDaSP_SQ_EUlSP_E_NS1_11comp_targetILNS1_3genE4ELNS1_11target_archE910ELNS1_3gpuE8ELNS1_3repE0EEENS1_30default_config_static_selectorELNS0_4arch9wavefront6targetE1EEEvT1_
	.p2align	8
	.type	_ZN7rocprim17ROCPRIM_400000_NS6detail17trampoline_kernelINS0_14default_configENS1_20scan_config_selectorIsEEZZNS1_9scan_implILNS1_25lookback_scan_determinismE0ELb1ELb1ES3_N6thrust23THRUST_200600_302600_NS6detail15normal_iteratorINS9_10device_ptrIsEEEESE_s11max_functorIsEsEEDaPvRmT3_T4_T5_mT6_P12ihipStream_tbENKUlT_T0_E_clISt17integral_constantIbLb1EESU_EEDaSP_SQ_EUlSP_E_NS1_11comp_targetILNS1_3genE4ELNS1_11target_archE910ELNS1_3gpuE8ELNS1_3repE0EEENS1_30default_config_static_selectorELNS0_4arch9wavefront6targetE1EEEvT1_,@function
_ZN7rocprim17ROCPRIM_400000_NS6detail17trampoline_kernelINS0_14default_configENS1_20scan_config_selectorIsEEZZNS1_9scan_implILNS1_25lookback_scan_determinismE0ELb1ELb1ES3_N6thrust23THRUST_200600_302600_NS6detail15normal_iteratorINS9_10device_ptrIsEEEESE_s11max_functorIsEsEEDaPvRmT3_T4_T5_mT6_P12ihipStream_tbENKUlT_T0_E_clISt17integral_constantIbLb1EESU_EEDaSP_SQ_EUlSP_E_NS1_11comp_targetILNS1_3genE4ELNS1_11target_archE910ELNS1_3gpuE8ELNS1_3repE0EEENS1_30default_config_static_selectorELNS0_4arch9wavefront6targetE1EEEvT1_: ; @_ZN7rocprim17ROCPRIM_400000_NS6detail17trampoline_kernelINS0_14default_configENS1_20scan_config_selectorIsEEZZNS1_9scan_implILNS1_25lookback_scan_determinismE0ELb1ELb1ES3_N6thrust23THRUST_200600_302600_NS6detail15normal_iteratorINS9_10device_ptrIsEEEESE_s11max_functorIsEsEEDaPvRmT3_T4_T5_mT6_P12ihipStream_tbENKUlT_T0_E_clISt17integral_constantIbLb1EESU_EEDaSP_SQ_EUlSP_E_NS1_11comp_targetILNS1_3genE4ELNS1_11target_archE910ELNS1_3gpuE8ELNS1_3repE0EEENS1_30default_config_static_selectorELNS0_4arch9wavefront6targetE1EEEvT1_
; %bb.0:
	s_load_dword s35, s[4:5], 0x20
	s_load_dwordx2 s[28:29], s[4:5], 0x28
	v_cmp_eq_u32_e64 s[0:1], 0, v0
	s_and_saveexec_b64 s[2:3], s[0:1]
	s_cbranch_execz .LBB2938_4
; %bb.1:
	s_mov_b64 s[8:9], exec
	v_mbcnt_lo_u32_b32 v1, s8, 0
	v_mbcnt_hi_u32_b32 v1, s9, v1
	v_cmp_eq_u32_e32 vcc, 0, v1
                                        ; implicit-def: $vgpr2
	s_and_saveexec_b64 s[6:7], vcc
	s_cbranch_execz .LBB2938_3
; %bb.2:
	s_load_dwordx2 s[10:11], s[4:5], 0x58
	s_bcnt1_i32_b64 s8, s[8:9]
	v_mov_b32_e32 v2, 0
	v_mov_b32_e32 v3, s8
	s_waitcnt lgkmcnt(0)
	global_atomic_add v2, v2, v3, s[10:11] glc
.LBB2938_3:
	s_or_b64 exec, exec, s[6:7]
	s_waitcnt vmcnt(0)
	v_readfirstlane_b32 s6, v2
	v_add_u32_e32 v1, s6, v1
	v_mov_b32_e32 v2, 0
	ds_write_b32 v2, v1
.LBB2938_4:
	s_or_b64 exec, exec, s[2:3]
	s_load_dwordx8 s[20:27], s[4:5], 0x0
	s_load_dword s2, s[4:5], 0x30
	s_load_dwordx8 s[12:19], s[4:5], 0x38
	v_mov_b32_e32 v1, 0
	s_waitcnt lgkmcnt(0)
	; wave barrier
	s_waitcnt lgkmcnt(0)
	ds_read_b32 v1, v1
	s_lshl_b64 s[22:23], s[22:23], 1
	s_add_u32 s36, s20, s22
	s_addc_u32 s37, s21, s23
	s_add_i32 s2, s2, -1
	s_mul_i32 s3, s2, 0x600
	s_sub_u32 s33, s26, s3
	s_waitcnt lgkmcnt(0)
	v_readfirstlane_b32 s38, v1
	s_subb_u32 s34, s27, 0
	s_mul_i32 s4, s38, 0x600
	s_mov_b32 s5, 0
	s_cmp_lg_u32 s38, s2
	s_cselect_b64 s[20:21], -1, 0
	s_lshl_b64 s[26:27], s[4:5], 1
	s_add_u32 s4, s36, s26
	s_addc_u32 s5, s37, s27
	s_mov_b64 s[2:3], -1
	s_and_b64 vcc, exec, s[20:21]
	v_lshlrev_b32_e32 v20, 1, v0
	s_waitcnt lgkmcnt(0)
	; wave barrier
	s_cbranch_vccz .LBB2938_6
; %bb.5:
	v_mov_b32_e32 v1, s5
	v_add_co_u32_e32 v2, vcc, s4, v20
	v_addc_co_u32_e32 v3, vcc, 0, v1, vcc
	flat_load_ushort v1, v[2:3]
	flat_load_ushort v4, v[2:3] offset:128
	flat_load_ushort v5, v[2:3] offset:256
	;; [unrolled: 1-line block ×23, first 2 shown]
	s_mov_b64 s[2:3], 0
	s_waitcnt vmcnt(0) lgkmcnt(0)
	ds_write_b16 v20, v1
	ds_write_b16 v20, v4 offset:128
	ds_write_b16 v20, v5 offset:256
	;; [unrolled: 1-line block ×23, first 2 shown]
	s_waitcnt lgkmcnt(0)
	; wave barrier
.LBB2938_6:
	s_andn2_b64 vcc, exec, s[2:3]
	v_cmp_gt_u32_e64 s[2:3], s33, v0
	s_cbranch_vccnz .LBB2938_56
; %bb.7:
	v_pk_mov_b32 v[2:3], s[4:5], s[4:5] op_sel:[0,1]
	flat_load_ushort v1, v[2:3]
	s_waitcnt vmcnt(0) lgkmcnt(0)
	v_mov_b32_e32 v2, v1
	s_and_saveexec_b64 s[6:7], s[2:3]
	s_cbranch_execz .LBB2938_9
; %bb.8:
	v_mov_b32_e32 v3, s5
	v_add_co_u32_e32 v2, vcc, s4, v20
	v_addc_co_u32_e32 v3, vcc, 0, v3, vcc
	flat_load_ushort v2, v[2:3]
.LBB2938_9:
	s_or_b64 exec, exec, s[6:7]
	v_or_b32_e32 v3, 64, v0
	v_cmp_gt_u32_e32 vcc, s33, v3
	v_mov_b32_e32 v3, v1
	s_and_saveexec_b64 s[2:3], vcc
	s_cbranch_execz .LBB2938_11
; %bb.10:
	v_mov_b32_e32 v3, s5
	v_add_co_u32_e32 v4, vcc, s4, v20
	v_addc_co_u32_e32 v5, vcc, 0, v3, vcc
	flat_load_ushort v3, v[4:5] offset:128
.LBB2938_11:
	s_or_b64 exec, exec, s[2:3]
	v_or_b32_e32 v4, 0x80, v0
	v_cmp_gt_u32_e32 vcc, s33, v4
	v_mov_b32_e32 v4, v1
	s_and_saveexec_b64 s[2:3], vcc
	s_cbranch_execz .LBB2938_13
; %bb.12:
	v_mov_b32_e32 v5, s5
	v_add_co_u32_e32 v4, vcc, s4, v20
	v_addc_co_u32_e32 v5, vcc, 0, v5, vcc
	flat_load_ushort v4, v[4:5] offset:256
.LBB2938_13:
	;; [unrolled: 12-line block ×22, first 2 shown]
	s_or_b64 exec, exec, s[2:3]
	v_or_b32_e32 v26, 0x5c0, v0
	v_cmp_gt_u32_e32 vcc, s33, v26
	s_and_saveexec_b64 s[2:3], vcc
	s_cbranch_execz .LBB2938_55
; %bb.54:
	v_mov_b32_e32 v1, s5
	v_add_co_u32_e32 v26, vcc, s4, v20
	v_addc_co_u32_e32 v27, vcc, 0, v1, vcc
	flat_load_ushort v1, v[26:27] offset:2944
.LBB2938_55:
	s_or_b64 exec, exec, s[2:3]
	s_waitcnt vmcnt(0) lgkmcnt(0)
	ds_write_b16 v20, v2
	ds_write_b16 v20, v3 offset:128
	ds_write_b16 v20, v4 offset:256
	;; [unrolled: 1-line block ×23, first 2 shown]
	s_waitcnt lgkmcnt(0)
	; wave barrier
.LBB2938_56:
	v_mul_u32_u24_e32 v21, 24, v0
	v_lshlrev_b32_e32 v22, 1, v21
	s_waitcnt lgkmcnt(0)
	ds_read_b128 v[10:13], v22
	ds_read_b128 v[6:9], v22 offset:16
	ds_read_b128 v[2:5], v22 offset:32
	s_cmp_lg_u32 s38, 0
	v_mbcnt_lo_u32_b32 v33, -1, 0
	s_waitcnt lgkmcnt(2)
	v_lshrrev_b32_e32 v31, 16, v11
	v_max_i16_sdwa v14, v10, v10 dst_sel:DWORD dst_unused:UNUSED_PAD src0_sel:DWORD src1_sel:WORD_1
	v_lshrrev_b32_e32 v30, 16, v12
	v_lshrrev_b32_e32 v29, 16, v13
	s_waitcnt lgkmcnt(1)
	v_lshrrev_b32_e32 v28, 16, v6
	v_lshrrev_b32_e32 v27, 16, v7
	;; [unrolled: 1-line block ×4, first 2 shown]
	s_waitcnt lgkmcnt(0)
	v_lshrrev_b32_e32 v24, 16, v2
	v_lshrrev_b32_e32 v23, 16, v3
	;; [unrolled: 1-line block ×4, first 2 shown]
	v_max3_i16 v34, v14, v11, v31
	v_cmp_eq_u32_e32 vcc, 63, v0
	s_waitcnt lgkmcnt(0)
	; wave barrier
	s_cbranch_scc0 .LBB2938_83
; %bb.57:
	v_max3_i16 v14, v34, v12, v30
	v_max3_i16 v14, v14, v13, v29
	;; [unrolled: 1-line block ×10, first 2 shown]
	v_mbcnt_hi_u32_b32 v15, -1, v33
	v_and_b32_e32 v17, 0xffff, v14
	v_and_b32_e32 v16, 15, v15
	v_cmp_eq_u32_e64 s[2:3], 0, v16
	v_mov_b32_dpp v17, v17 row_shr:1 row_mask:0xf bank_mask:0xf
	v_max_i16_e32 v17, v17, v14
	v_cndmask_b32_e64 v14, v17, v14, s[2:3]
	v_and_b32_e32 v17, 0xffff, v14
	v_cmp_lt_u32_e64 s[2:3], 1, v16
	s_nop 0
	v_mov_b32_dpp v17, v17 row_shr:2 row_mask:0xf bank_mask:0xf
	v_max_i16_e32 v17, v17, v14
	v_cndmask_b32_e64 v14, v14, v17, s[2:3]
	v_and_b32_e32 v17, 0xffff, v14
	v_cmp_lt_u32_e64 s[2:3], 3, v16
	s_nop 0
	;; [unrolled: 6-line block ×3, first 2 shown]
	v_mov_b32_dpp v17, v17 row_shr:8 row_mask:0xf bank_mask:0xf
	v_max_i16_e32 v17, v17, v14
	v_cndmask_b32_e64 v14, v14, v17, s[2:3]
	v_and_b32_e32 v16, 0xffff, v14
	v_and_b32_e32 v17, 16, v15
	v_cmp_eq_u32_e64 s[2:3], 0, v17
	v_mov_b32_dpp v16, v16 row_bcast:15 row_mask:0xf bank_mask:0xf
	v_max_i16_e32 v16, v16, v14
	v_cndmask_b32_e64 v14, v16, v14, s[2:3]
	v_and_b32_e32 v16, 0xffff, v14
	v_cmp_lt_u32_e64 s[2:3], 31, v15
	s_nop 0
	v_mov_b32_dpp v16, v16 row_bcast:31 row_mask:0xf bank_mask:0xf
	v_max_i16_e32 v16, v16, v14
	v_cndmask_b32_e64 v14, v14, v16, s[2:3]
	s_and_saveexec_b64 s[2:3], vcc
	s_cbranch_execz .LBB2938_59
; %bb.58:
	v_mov_b32_e32 v16, 0
	ds_write_b16 v16, v14
.LBB2938_59:
	s_or_b64 exec, exec, s[2:3]
	v_add_u32_e32 v16, -1, v15
	v_and_b32_e32 v17, 64, v15
	v_cmp_lt_i32_e32 vcc, v16, v17
	v_cndmask_b32_e32 v16, v16, v15, vcc
	v_and_b32_e32 v14, 0xffff, v14
	v_lshlrev_b32_e32 v16, 2, v16
	ds_bpermute_b32 v35, v16, v14
	v_cmp_gt_u32_e32 vcc, 64, v0
	s_waitcnt lgkmcnt(0)
	; wave barrier
	s_waitcnt lgkmcnt(0)
	s_and_saveexec_b64 s[30:31], vcc
	s_cbranch_execz .LBB2938_82
; %bb.60:
	v_mov_b32_e32 v19, 0
	ds_read_u16 v36, v19
	s_mov_b32 s7, 0
	v_cmp_eq_u32_e64 s[2:3], 0, v15
	s_and_saveexec_b64 s[4:5], s[2:3]
	s_cbranch_execz .LBB2938_62
; %bb.61:
	s_add_i32 s6, s38, 64
	s_lshl_b64 s[6:7], s[6:7], 2
	s_add_u32 s6, s28, s6
	s_waitcnt lgkmcnt(0)
	v_or_b32_e32 v14, 0x10000, v36
	s_addc_u32 s7, s29, s7
	global_store_dword v19, v14, s[6:7]
.LBB2938_62:
	s_or_b64 exec, exec, s[4:5]
	v_xad_u32 v14, v15, -1, s38
	v_add_u32_e32 v18, 64, v14
	v_lshlrev_b64 v[16:17], 2, v[18:19]
	v_mov_b32_e32 v18, s29
	v_add_co_u32_e32 v16, vcc, s28, v16
	v_addc_co_u32_e32 v17, vcc, v18, v17, vcc
	global_load_dword v18, v[16:17], off glc
	s_waitcnt vmcnt(0)
	v_lshrrev_b32_e32 v40, 16, v18
	v_cmp_eq_u16_sdwa s[6:7], v40, v19 src0_sel:BYTE_0 src1_sel:DWORD
	s_and_saveexec_b64 s[4:5], s[6:7]
	s_cbranch_execz .LBB2938_68
; %bb.63:
	s_mov_b32 s8, 1
	s_mov_b64 s[6:7], 0
	v_mov_b32_e32 v19, 0
.LBB2938_64:                            ; =>This Loop Header: Depth=1
                                        ;     Child Loop BB2938_65 Depth 2
	s_max_u32 s9, s8, 1
.LBB2938_65:                            ;   Parent Loop BB2938_64 Depth=1
                                        ; =>  This Inner Loop Header: Depth=2
	s_add_i32 s9, s9, -1
	s_cmp_eq_u32 s9, 0
	s_sleep 1
	s_cbranch_scc0 .LBB2938_65
; %bb.66:                               ;   in Loop: Header=BB2938_64 Depth=1
	global_load_dword v18, v[16:17], off glc
	s_cmp_lt_u32 s8, 32
	s_cselect_b64 s[10:11], -1, 0
	s_cmp_lg_u64 s[10:11], 0
	s_addc_u32 s8, s8, 0
	s_waitcnt vmcnt(0)
	v_lshrrev_b32_e32 v40, 16, v18
	v_cmp_ne_u16_sdwa s[10:11], v40, v19 src0_sel:BYTE_0 src1_sel:DWORD
	s_or_b64 s[6:7], s[10:11], s[6:7]
	s_andn2_b64 exec, exec, s[6:7]
	s_cbranch_execnz .LBB2938_64
; %bb.67:
	s_or_b64 exec, exec, s[6:7]
.LBB2938_68:
	s_or_b64 exec, exec, s[4:5]
	v_and_b32_e32 v38, 63, v15
	v_cmp_ne_u32_e32 vcc, 63, v38
	v_mov_b32_e32 v37, 2
	v_addc_co_u32_e32 v39, vcc, 0, v15, vcc
	v_cmp_eq_u16_sdwa s[4:5], v40, v37 src0_sel:BYTE_0 src1_sel:DWORD
	v_lshlrev_b64 v[16:17], v15, -1
	v_and_b32_e32 v42, 0xffff, v18
	v_lshlrev_b32_e32 v39, 2, v39
	v_and_b32_e32 v19, s5, v17
	ds_bpermute_b32 v43, v39, v42
	v_or_b32_e32 v19, 0x80000000, v19
	v_and_b32_e32 v41, s4, v16
	v_ffbl_b32_e32 v19, v19
	v_add_u32_e32 v19, 32, v19
	v_ffbl_b32_e32 v41, v41
	v_cmp_gt_u32_e64 s[4:5], 62, v38
	v_min_u32_e32 v19, v41, v19
	v_cndmask_b32_e64 v41, 0, 1, s[4:5]
	s_waitcnt lgkmcnt(0)
	v_max_i16_e32 v43, v43, v18
	v_cmp_lt_u32_e32 vcc, v38, v19
	v_lshlrev_b32_e32 v41, 1, v41
	v_cndmask_b32_e32 v44, v42, v43, vcc
	v_add_lshl_u32 v41, v41, v15, 2
	ds_bpermute_b32 v45, v41, v44
	v_cmp_gt_u32_e64 s[6:7], 60, v38
	v_cndmask_b32_e32 v46, v18, v43, vcc
	v_add_u32_e32 v42, 2, v38
	v_cndmask_b32_e64 v43, 0, 1, s[6:7]
	s_waitcnt lgkmcnt(0)
	v_max_i16_e32 v45, v45, v46
	v_cmp_gt_u32_e64 s[4:5], v42, v19
	v_lshlrev_b32_e32 v43, 2, v43
	v_cndmask_b32_e64 v47, v45, v44, s[4:5]
	v_add_lshl_u32 v43, v43, v15, 2
	ds_bpermute_b32 v48, v43, v47
	v_cmp_gt_u32_e64 s[6:7], 56, v38
	v_cndmask_b32_e64 v49, v45, v46, s[4:5]
	v_add_u32_e32 v44, 4, v38
	v_cndmask_b32_e64 v45, 0, 1, s[6:7]
	s_waitcnt lgkmcnt(0)
	v_max_i16_e32 v52, v48, v49
	v_cmp_gt_u32_e64 s[4:5], v44, v19
	v_lshlrev_b32_e32 v45, 3, v45
	v_cndmask_b32_e64 v47, v52, v47, s[4:5]
	v_add_lshl_u32 v45, v45, v15, 2
	ds_bpermute_b32 v48, v45, v47
	v_cndmask_b32_e64 v50, v52, v49, s[4:5]
	v_add_u32_e32 v46, 8, v38
	v_cmp_gt_u32_e64 s[6:7], v46, v19
	v_cmp_gt_u32_e64 s[8:9], 48, v38
	s_waitcnt lgkmcnt(0)
	v_max_i16_e32 v53, v48, v50
	v_cndmask_b32_e64 v51, v53, v47, s[6:7]
	v_cndmask_b32_e64 v47, 0, 1, s[8:9]
	v_lshlrev_b32_e32 v47, 4, v47
	v_add_lshl_u32 v47, v47, v15, 2
	ds_bpermute_b32 v54, v47, v51
	v_cmp_gt_u32_e64 s[10:11], 32, v38
	v_cndmask_b32_e64 v55, v53, v50, s[6:7]
	v_add_u32_e32 v48, 16, v38
	v_cndmask_b32_e64 v50, 0, 1, s[10:11]
	s_waitcnt lgkmcnt(0)
	v_max_i16_e32 v54, v54, v55
	v_cmp_gt_u32_e64 s[8:9], v48, v19
	v_lshlrev_b32_e32 v50, 5, v50
	v_cndmask_b32_e64 v51, v54, v51, s[8:9]
	v_add_lshl_u32 v50, v50, v15, 2
	ds_bpermute_b32 v15, v50, v51
	v_cndmask_b32_e32 v18, v18, v49, vcc
	v_cndmask_b32_e64 v18, v52, v18, s[4:5]
	v_add_u32_e32 v51, 32, v38
	v_cndmask_b32_e64 v55, v54, v55, s[8:9]
	v_cndmask_b32_e64 v18, v53, v18, s[6:7]
	s_waitcnt lgkmcnt(0)
	v_max_i16_e32 v15, v15, v55
	v_cndmask_b32_e64 v18, v54, v18, s[8:9]
	v_cmp_gt_u32_e32 vcc, v51, v19
	v_cndmask_b32_e32 v18, v15, v18, vcc
	v_mov_b32_e32 v15, 0
	s_branch .LBB2938_70
.LBB2938_69:                            ;   in Loop: Header=BB2938_70 Depth=1
	s_or_b64 exec, exec, s[4:5]
	v_cmp_eq_u16_sdwa s[4:5], v40, v37 src0_sel:BYTE_0 src1_sel:DWORD
	v_and_b32_e32 v53, 0xffff, v52
	v_and_b32_e32 v18, s5, v17
	ds_bpermute_b32 v54, v39, v53
	v_or_b32_e32 v18, 0x80000000, v18
	v_and_b32_e32 v19, s4, v16
	v_ffbl_b32_e32 v18, v18
	v_add_u32_e32 v18, 32, v18
	v_ffbl_b32_e32 v19, v19
	v_min_u32_e32 v18, v19, v18
	s_waitcnt lgkmcnt(0)
	v_max_i16_e32 v19, v54, v52
	v_cmp_lt_u32_e32 vcc, v38, v18
	v_cndmask_b32_e32 v53, v53, v19, vcc
	ds_bpermute_b32 v54, v41, v53
	v_cndmask_b32_e32 v19, v52, v19, vcc
	v_cmp_gt_u32_e64 s[4:5], v42, v18
	v_cmp_gt_u32_e64 s[6:7], v46, v18
	v_subrev_u32_e32 v14, 64, v14
	s_waitcnt lgkmcnt(0)
	v_max_i16_e32 v54, v54, v19
	v_cndmask_b32_e64 v53, v54, v53, s[4:5]
	ds_bpermute_b32 v55, v43, v53
	v_cndmask_b32_e64 v19, v54, v19, s[4:5]
	v_cmp_gt_u32_e64 s[4:5], v44, v18
	s_waitcnt lgkmcnt(0)
	v_max_i16_e32 v54, v55, v19
	v_cndmask_b32_e64 v53, v54, v53, s[4:5]
	ds_bpermute_b32 v55, v45, v53
	v_cndmask_b32_e64 v56, v54, v19, s[4:5]
	v_cndmask_b32_e32 v19, v52, v19, vcc
	v_cmp_gt_u32_e32 vcc, v48, v18
	v_cndmask_b32_e64 v19, v54, v19, s[4:5]
	s_waitcnt lgkmcnt(0)
	v_max_i16_e32 v55, v55, v56
	v_cndmask_b32_e64 v53, v55, v53, s[6:7]
	ds_bpermute_b32 v57, v47, v53
	v_cndmask_b32_e64 v52, v55, v56, s[6:7]
	v_cndmask_b32_e64 v19, v55, v19, s[6:7]
	s_waitcnt lgkmcnt(0)
	v_max_i16_e32 v56, v57, v52
	v_cndmask_b32_e32 v53, v56, v53, vcc
	ds_bpermute_b32 v53, v50, v53
	v_cndmask_b32_e32 v52, v56, v52, vcc
	v_cndmask_b32_e32 v19, v56, v19, vcc
	v_cmp_gt_u32_e32 vcc, v51, v18
	s_waitcnt lgkmcnt(0)
	v_max_i16_e32 v52, v53, v52
	v_cndmask_b32_e32 v18, v52, v19, vcc
	v_max_i16_e32 v18, v18, v49
.LBB2938_70:                            ; =>This Loop Header: Depth=1
                                        ;     Child Loop BB2938_73 Depth 2
                                        ;       Child Loop BB2938_74 Depth 3
	v_cmp_ne_u16_sdwa s[4:5], v40, v37 src0_sel:BYTE_0 src1_sel:DWORD
	v_cndmask_b32_e64 v19, 0, 1, s[4:5]
	;;#ASMSTART
	;;#ASMEND
	v_cmp_ne_u32_e32 vcc, 0, v19
	s_cmp_lg_u64 vcc, exec
	v_mov_b32_e32 v49, v18
	s_cbranch_scc1 .LBB2938_77
; %bb.71:                               ;   in Loop: Header=BB2938_70 Depth=1
	v_lshlrev_b64 v[18:19], 2, v[14:15]
	v_mov_b32_e32 v40, s29
	v_add_co_u32_e32 v18, vcc, s28, v18
	v_addc_co_u32_e32 v19, vcc, v40, v19, vcc
	global_load_dword v52, v[18:19], off glc
	s_waitcnt vmcnt(0)
	v_lshrrev_b32_e32 v40, 16, v52
	v_cmp_eq_u16_sdwa s[6:7], v40, v15 src0_sel:BYTE_0 src1_sel:DWORD
	s_and_saveexec_b64 s[4:5], s[6:7]
	s_cbranch_execz .LBB2938_69
; %bb.72:                               ;   in Loop: Header=BB2938_70 Depth=1
	s_mov_b32 s8, 1
	s_mov_b64 s[6:7], 0
.LBB2938_73:                            ;   Parent Loop BB2938_70 Depth=1
                                        ; =>  This Loop Header: Depth=2
                                        ;       Child Loop BB2938_74 Depth 3
	s_max_u32 s9, s8, 1
.LBB2938_74:                            ;   Parent Loop BB2938_70 Depth=1
                                        ;     Parent Loop BB2938_73 Depth=2
                                        ; =>    This Inner Loop Header: Depth=3
	s_add_i32 s9, s9, -1
	s_cmp_eq_u32 s9, 0
	s_sleep 1
	s_cbranch_scc0 .LBB2938_74
; %bb.75:                               ;   in Loop: Header=BB2938_73 Depth=2
	global_load_dword v52, v[18:19], off glc
	s_cmp_lt_u32 s8, 32
	s_cselect_b64 s[10:11], -1, 0
	s_cmp_lg_u64 s[10:11], 0
	s_addc_u32 s8, s8, 0
	s_waitcnt vmcnt(0)
	v_lshrrev_b32_e32 v40, 16, v52
	v_cmp_ne_u16_sdwa s[10:11], v40, v15 src0_sel:BYTE_0 src1_sel:DWORD
	s_or_b64 s[6:7], s[10:11], s[6:7]
	s_andn2_b64 exec, exec, s[6:7]
	s_cbranch_execnz .LBB2938_73
; %bb.76:                               ;   in Loop: Header=BB2938_70 Depth=1
	s_or_b64 exec, exec, s[6:7]
	s_branch .LBB2938_69
.LBB2938_77:                            ;   in Loop: Header=BB2938_70 Depth=1
                                        ; implicit-def: $vgpr18
                                        ; implicit-def: $vgpr40
	s_cbranch_execz .LBB2938_70
; %bb.78:
	s_and_saveexec_b64 s[4:5], s[2:3]
	s_cbranch_execz .LBB2938_80
; %bb.79:
	s_add_i32 s2, s38, 64
	s_mov_b32 s3, 0
	s_lshl_b64 s[2:3], s[2:3], 2
	v_max_i16_e32 v14, v49, v36
	s_add_u32 s2, s28, s2
	v_or_b32_e32 v14, 0x20000, v14
	s_addc_u32 s3, s29, s3
	v_mov_b32_e32 v15, 0
	global_store_dword v15, v14, s[2:3]
.LBB2938_80:
	s_or_b64 exec, exec, s[4:5]
	s_and_b64 exec, exec, s[0:1]
	s_cbranch_execz .LBB2938_82
; %bb.81:
	v_mov_b32_e32 v14, 0
	ds_write_b16 v14, v49
.LBB2938_82:
	s_or_b64 exec, exec, s[30:31]
	v_mov_b32_e32 v14, 0
	s_waitcnt lgkmcnt(0)
	; wave barrier
	s_waitcnt lgkmcnt(0)
	ds_read_u16 v14, v14
	s_waitcnt lgkmcnt(0)
	v_max_i16_e32 v15, v14, v35
	v_cndmask_b32_e64 v15, v15, v14, s[0:1]
	v_max_i16_e32 v14, v15, v10
	v_max_i16_sdwa v16, v14, v10 dst_sel:DWORD dst_unused:UNUSED_PAD src0_sel:DWORD src1_sel:WORD_1
	v_max_i16_e32 v17, v16, v11
	v_max_i16_e32 v18, v17, v31
	;; [unrolled: 1-line block ×21, first 2 shown]
	s_branch .LBB2938_91
.LBB2938_83:
                                        ; implicit-def: $vgpr15
                                        ; implicit-def: $vgpr14
                                        ; implicit-def: $vgpr16
                                        ; implicit-def: $vgpr17
                                        ; implicit-def: $vgpr18
                                        ; implicit-def: $vgpr35
                                        ; implicit-def: $vgpr37
                                        ; implicit-def: $vgpr39
                                        ; implicit-def: $vgpr19
                                        ; implicit-def: $vgpr36
                                        ; implicit-def: $vgpr38
                                        ; implicit-def: $vgpr40
                                        ; implicit-def: $vgpr41
                                        ; implicit-def: $vgpr43
                                        ; implicit-def: $vgpr45
                                        ; implicit-def: $vgpr47
                                        ; implicit-def: $vgpr42
                                        ; implicit-def: $vgpr44
                                        ; implicit-def: $vgpr46
                                        ; implicit-def: $vgpr48
                                        ; implicit-def: $vgpr49
                                        ; implicit-def: $vgpr50
                                        ; implicit-def: $vgpr51
                                        ; implicit-def: $vgpr52
	s_cbranch_execz .LBB2938_91
; %bb.84:
	s_cmp_eq_u64 s[16:17], 0
	v_mov_b32_e32 v52, s35
	s_cbranch_scc1 .LBB2938_86
; %bb.85:
	v_mov_b32_e32 v14, 0
	global_load_ushort v16, v14, s[12:13]
	v_mov_b32_e32 v15, s37
	v_add_co_u32_e64 v14, vcc, -2, s36
	v_addc_co_u32_e32 v15, vcc, -1, v15, vcc
	flat_load_ushort v14, v[14:15]
	s_waitcnt vmcnt(0) lgkmcnt(0)
	v_max_i16_e32 v52, v16, v14
.LBB2938_86:
	v_max3_i16 v14, v34, v12, v30
	v_max3_i16 v14, v14, v13, v29
	v_max3_i16 v14, v14, v6, v28
	v_max3_i16 v14, v14, v7, v27
	v_max3_i16 v14, v14, v8, v26
	v_max3_i16 v14, v14, v9, v25
	v_max3_i16 v14, v14, v2, v24
	v_max3_i16 v14, v14, v3, v23
	v_max3_i16 v14, v14, v4, v1
	v_max3_i16 v15, v14, v5, v32
	v_mbcnt_hi_u32_b32 v14, -1, v33
	v_and_b32_e32 v17, 0xffff, v15
	v_and_b32_e32 v16, 15, v14
	v_cmp_eq_u32_e32 vcc, 0, v16
	v_mov_b32_dpp v17, v17 row_shr:1 row_mask:0xf bank_mask:0xf
	v_max_i16_e32 v17, v17, v15
	v_cndmask_b32_e32 v15, v17, v15, vcc
	v_and_b32_e32 v17, 0xffff, v15
	v_cmp_lt_u32_e32 vcc, 1, v16
	s_nop 0
	v_mov_b32_dpp v17, v17 row_shr:2 row_mask:0xf bank_mask:0xf
	v_max_i16_e32 v17, v17, v15
	v_cndmask_b32_e32 v15, v15, v17, vcc
	v_and_b32_e32 v17, 0xffff, v15
	v_cmp_lt_u32_e32 vcc, 3, v16
	s_nop 0
	;; [unrolled: 6-line block ×3, first 2 shown]
	v_mov_b32_dpp v17, v17 row_shr:8 row_mask:0xf bank_mask:0xf
	v_max_i16_e32 v17, v17, v15
	v_cndmask_b32_e32 v15, v15, v17, vcc
	v_and_b32_e32 v16, 0xffff, v15
	v_and_b32_e32 v17, 16, v14
	v_cmp_eq_u32_e32 vcc, 0, v17
	v_mov_b32_dpp v16, v16 row_bcast:15 row_mask:0xf bank_mask:0xf
	v_max_i16_e32 v16, v16, v15
	v_cndmask_b32_e32 v15, v16, v15, vcc
	v_and_b32_e32 v16, 0xffff, v15
	v_cmp_lt_u32_e32 vcc, 31, v14
	s_nop 0
	v_mov_b32_dpp v16, v16 row_bcast:31 row_mask:0xf bank_mask:0xf
	v_max_i16_e32 v16, v16, v15
	v_cndmask_b32_e32 v15, v15, v16, vcc
	v_cmp_eq_u32_e32 vcc, 63, v0
	s_and_saveexec_b64 s[2:3], vcc
	s_cbranch_execz .LBB2938_88
; %bb.87:
	v_mov_b32_e32 v16, 0
	ds_write_b16 v16, v15
.LBB2938_88:
	s_or_b64 exec, exec, s[2:3]
	v_add_u32_e32 v16, -1, v14
	v_and_b32_e32 v17, 64, v14
	v_cmp_lt_i32_e32 vcc, v16, v17
	v_cndmask_b32_e32 v16, v16, v14, vcc
	v_max_i16_e32 v15, v52, v15
	v_lshlrev_b32_e32 v16, 2, v16
	ds_bpermute_b32 v15, v16, v15
	v_cmp_eq_u32_e32 vcc, 0, v14
	s_or_b64 vcc, s[0:1], vcc
	s_waitcnt lgkmcnt(0)
	; wave barrier
	s_waitcnt lgkmcnt(0)
	v_cndmask_b32_e32 v15, v15, v52, vcc
	v_max_i16_e32 v14, v15, v10
	v_max_i16_sdwa v16, v14, v10 dst_sel:DWORD dst_unused:UNUSED_PAD src0_sel:DWORD src1_sel:WORD_1
	v_max_i16_e32 v17, v16, v11
	v_max_i16_e32 v18, v17, v31
	;; [unrolled: 1-line block ×20, first 2 shown]
	s_and_saveexec_b64 s[2:3], s[0:1]
	s_cbranch_execz .LBB2938_90
; %bb.89:
	v_mov_b32_e32 v1, 0
	ds_read_u16 v2, v1
	v_mov_b32_e32 v15, v52
	s_waitcnt lgkmcnt(0)
	v_max_i16_e32 v2, v52, v2
	v_or_b32_e32 v2, 0x20000, v2
	global_store_dword v1, v2, s[28:29] offset:256
.LBB2938_90:
	s_or_b64 exec, exec, s[2:3]
	v_max_i16_e32 v52, v51, v5
.LBB2938_91:
	s_add_u32 s0, s24, s22
	s_addc_u32 s1, s25, s23
	s_add_u32 s2, s0, s26
	s_addc_u32 s3, s1, s27
	s_mov_b64 s[0:1], -1
	s_and_b64 vcc, exec, s[20:21]
	s_waitcnt lgkmcnt(0)
	; wave barrier
	s_cbranch_vccz .LBB2938_93
; %bb.92:
	s_mov_b32 s0, 0x5040100
	v_perm_b32 v5, v39, v37, s0
	v_perm_b32 v4, v35, v18, s0
	;; [unrolled: 1-line block ×4, first 2 shown]
	ds_write_b128 v22, v[2:5]
	v_perm_b32 v5, v47, v45, s0
	v_perm_b32 v4, v43, v41, s0
	v_perm_b32 v3, v40, v38, s0
	v_perm_b32 v2, v36, v19, s0
	ds_write_b128 v22, v[2:5] offset:16
	v_perm_b32 v5, v52, v51, s0
	v_perm_b32 v4, v50, v49, s0
	;; [unrolled: 1-line block ×4, first 2 shown]
	ds_write_b128 v22, v[2:5] offset:32
	s_waitcnt lgkmcnt(0)
	; wave barrier
	s_waitcnt lgkmcnt(0)
	ds_read_u16 v1, v20
	ds_read_u16 v4, v20 offset:128
	ds_read_u16 v5, v20 offset:256
	;; [unrolled: 1-line block ×23, first 2 shown]
	v_mov_b32_e32 v3, s3
	v_add_co_u32_e32 v2, vcc, s2, v20
	v_addc_co_u32_e32 v3, vcc, 0, v3, vcc
	s_waitcnt lgkmcnt(14)
	flat_store_short v[2:3], v1
	flat_store_short v[2:3], v4 offset:128
	flat_store_short v[2:3], v5 offset:256
	;; [unrolled: 1-line block ×9, first 2 shown]
	s_waitcnt lgkmcnt(0)
	flat_store_short v[2:3], v13 offset:1280
	flat_store_short v[2:3], v23 offset:1408
	;; [unrolled: 1-line block ×14, first 2 shown]
	s_mov_b64 s[0:1], 0
.LBB2938_93:
	s_andn2_b64 vcc, exec, s[0:1]
	s_cbranch_vccnz .LBB2938_150
; %bb.94:
	s_mov_b32 s0, 0x5040100
	v_perm_b32 v5, v39, v37, s0
	v_perm_b32 v4, v35, v18, s0
	;; [unrolled: 1-line block ×4, first 2 shown]
	ds_write_b128 v22, v[2:5]
	v_perm_b32 v5, v47, v45, s0
	v_perm_b32 v4, v43, v41, s0
	;; [unrolled: 1-line block ×4, first 2 shown]
	ds_write_b128 v22, v[2:5] offset:16
	v_perm_b32 v5, v52, v51, s0
	v_perm_b32 v4, v50, v49, s0
	v_perm_b32 v3, v48, v46, s0
	v_perm_b32 v2, v44, v42, s0
	s_movk_i32 s0, 0xffd2
	ds_write_b128 v22, v[2:5] offset:32
	v_mad_i32_i24 v2, v0, s0, v22
	s_waitcnt lgkmcnt(0)
	; wave barrier
	s_waitcnt lgkmcnt(0)
	ds_read_u16 v5, v2
	ds_read_u16 v4, v2 offset:128
	ds_read_u16 v7, v2 offset:256
	;; [unrolled: 1-line block ×23, first 2 shown]
	v_mov_b32_e32 v3, s3
	v_add_co_u32_e32 v2, vcc, s2, v20
	v_addc_co_u32_e32 v3, vcc, 0, v3, vcc
	v_mov_b32_e32 v1, 0
	v_cmp_gt_u32_e32 vcc, s33, v0
	s_and_saveexec_b64 s[0:1], vcc
	s_cbranch_execz .LBB2938_96
; %bb.95:
	s_waitcnt lgkmcnt(0)
	flat_store_short v[2:3], v5
.LBB2938_96:
	s_or_b64 exec, exec, s[0:1]
	v_or_b32_e32 v20, 64, v0
	v_cmp_gt_u32_e32 vcc, s33, v20
	s_and_saveexec_b64 s[0:1], vcc
	s_cbranch_execz .LBB2938_98
; %bb.97:
	s_waitcnt lgkmcnt(0)
	flat_store_short v[2:3], v4 offset:128
.LBB2938_98:
	s_or_b64 exec, exec, s[0:1]
	v_or_b32_e32 v20, 0x80, v0
	v_cmp_gt_u32_e32 vcc, s33, v20
	s_and_saveexec_b64 s[0:1], vcc
	s_cbranch_execz .LBB2938_100
; %bb.99:
	s_waitcnt lgkmcnt(0)
	flat_store_short v[2:3], v7 offset:256
.LBB2938_100:
	;; [unrolled: 9-line block ×23, first 2 shown]
	s_or_b64 exec, exec, s[0:1]
	v_cmp_lt_u64_e64 s[0:1], s[18:19], 2
	s_and_b64 vcc, exec, s[0:1]
	s_cbranch_vccnz .LBB2938_150
; %bb.143:
	s_add_u32 s0, s33, -1
	s_addc_u32 s1, s34, -1
	s_add_u32 s2, 0, 0xaaaa0000
	s_addc_u32 s3, 0, 42
	s_add_i32 s3, s3, 0xaaaaa80
	s_mul_hi_u32 s7, s2, 0xffffffe8
	s_sub_i32 s7, s7, s2
	s_mul_i32 s8, s3, 0xffffffe8
	s_mul_i32 s4, s2, 0xffffffe8
	s_add_i32 s7, s7, s8
	s_mul_hi_u32 s5, s3, s4
	s_mul_i32 s6, s3, s4
	s_mul_i32 s9, s2, s7
	s_mul_hi_u32 s4, s2, s4
	s_mul_hi_u32 s8, s2, s7
	s_add_u32 s4, s4, s9
	s_addc_u32 s8, 0, s8
	s_add_u32 s4, s4, s6
	s_mul_hi_u32 s9, s3, s7
	s_addc_u32 s4, s8, s5
	s_addc_u32 s5, s9, 0
	s_mul_i32 s6, s3, s7
	s_add_u32 s4, s4, s6
	v_mov_b32_e32 v2, s4
	s_addc_u32 s5, 0, s5
	v_add_co_u32_e32 v2, vcc, s2, v2
	s_cmp_lg_u64 vcc, 0
	s_addc_u32 s2, s3, s5
	v_readfirstlane_b32 s5, v2
	s_mul_i32 s4, s0, s2
	s_mul_hi_u32 s6, s0, s5
	s_mul_hi_u32 s3, s0, s2
	s_add_u32 s4, s6, s4
	s_addc_u32 s3, 0, s3
	s_mul_hi_u32 s7, s1, s5
	s_mul_i32 s5, s1, s5
	s_add_u32 s4, s4, s5
	s_mul_hi_u32 s6, s1, s2
	s_addc_u32 s3, s3, s7
	s_addc_u32 s4, s6, 0
	s_mul_i32 s2, s1, s2
	s_add_u32 s2, s3, s2
	s_addc_u32 s3, 0, s4
	s_add_u32 s4, s2, 1
	s_addc_u32 s5, s3, 0
	s_add_u32 s6, s2, 2
	s_mul_i32 s8, s3, 24
	s_mul_hi_u32 s9, s2, 24
	s_addc_u32 s7, s3, 0
	s_add_i32 s9, s9, s8
	s_mul_i32 s8, s2, 24
	v_mov_b32_e32 v2, s8
	v_sub_co_u32_e32 v2, vcc, s0, v2
	s_cmp_lg_u64 vcc, 0
	s_subb_u32 s8, s1, s9
	v_subrev_co_u32_e32 v3, vcc, 24, v2
	s_cmp_lg_u64 vcc, 0
	s_subb_u32 s9, s8, 0
	v_readfirstlane_b32 s10, v3
	s_cmp_gt_u32 s10, 23
	s_cselect_b32 s10, -1, 0
	s_cmp_eq_u32 s9, 0
	s_cselect_b32 s9, s10, -1
	s_cmp_lg_u32 s9, 0
	s_cselect_b32 s4, s6, s4
	v_readfirstlane_b32 s6, v2
	s_cselect_b32 s5, s7, s5
	s_cmp_gt_u32 s6, 23
	s_cselect_b32 s6, -1, 0
	s_cmp_eq_u32 s8, 0
	s_cselect_b32 s6, s6, -1
	s_cmp_lg_u32 s6, 0
	s_cselect_b32 s3, s5, s3
	s_cselect_b32 s2, s4, s2
	v_cmp_eq_u64_e32 vcc, s[2:3], v[0:1]
	s_and_saveexec_b64 s[2:3], vcc
	s_cbranch_execz .LBB2938_150
; %bb.144:
	v_mul_hi_u32_u24_e32 v1, 24, v0
	v_mov_b32_e32 v2, s1
	v_sub_co_u32_e32 v0, vcc, s0, v21
	v_subb_co_u32_e32 v1, vcc, v2, v1, vcc
	v_cmp_lt_i64_e32 vcc, 11, v[0:1]
	s_mov_b64 s[0:1], 0
	s_mov_b64 s[8:9], 0
	;; [unrolled: 1-line block ×4, first 2 shown]
	s_and_saveexec_b64 s[2:3], vcc
	s_xor_b64 s[2:3], exec, s[2:3]
	s_cbranch_execnz .LBB2938_151
; %bb.145:
	s_andn2_saveexec_b64 s[2:3], s[2:3]
	s_cbranch_execnz .LBB2938_196
.LBB2938_146:
	s_or_b64 exec, exec, s[2:3]
	s_and_saveexec_b64 s[2:3], s[8:9]
	s_cbranch_execnz .LBB2938_213
.LBB2938_147:
	s_or_b64 exec, exec, s[2:3]
	s_and_saveexec_b64 s[2:3], s[6:7]
	s_cbranch_execnz .LBB2938_214
.LBB2938_148:
	s_or_b64 exec, exec, s[2:3]
	s_and_saveexec_b64 s[2:3], s[4:5]
	s_xor_b64 s[2:3], exec, s[2:3]
	s_cbranch_execnz .LBB2938_215
.LBB2938_149:
	s_or_b64 exec, exec, s[2:3]
	s_and_b64 exec, exec, s[0:1]
	s_cbranch_execnz .LBB2938_216
.LBB2938_150:
	s_endpgm
.LBB2938_151:
	v_cmp_lt_i64_e32 vcc, 17, v[0:1]
	s_and_saveexec_b64 s[10:11], vcc
	s_xor_b64 s[10:11], exec, s[10:11]
	s_cbranch_execz .LBB2938_173
; %bb.152:
	v_cmp_lt_i64_e32 vcc, 20, v[0:1]
                                        ; implicit-def: $vgpr10
	s_and_saveexec_b64 s[12:13], vcc
	s_xor_b64 s[12:13], exec, s[12:13]
	s_cbranch_execz .LBB2938_162
; %bb.153:
	v_cmp_lt_i64_e32 vcc, 21, v[0:1]
	s_mov_b64 s[16:17], 0
                                        ; implicit-def: $vgpr10
	s_and_saveexec_b64 s[4:5], vcc
	s_xor_b64 s[4:5], exec, s[4:5]
	s_cbranch_execz .LBB2938_159
; %bb.154:
	v_cmp_lt_i64_e32 vcc, 22, v[0:1]
	s_and_saveexec_b64 s[16:17], vcc
	s_xor_b64 s[16:17], exec, s[16:17]
	s_cbranch_execz .LBB2938_156
; %bb.155:
	v_mov_b32_e32 v2, 0
	s_waitcnt lgkmcnt(0)
	global_store_short v2, v29, s[14:15]
                                        ; implicit-def: $vgpr28
.LBB2938_156:
	s_or_saveexec_b64 s[16:17], s[16:17]
	s_mov_b64 s[18:19], 0
	s_xor_b64 exec, exec, s[16:17]
; %bb.157:
	s_mov_b64 s[18:19], exec
; %bb.158:
	s_or_b64 exec, exec, s[16:17]
	s_and_b64 s[16:17], s[18:19], exec
	s_waitcnt lgkmcnt(0)
	v_mov_b32_e32 v10, v28
                                        ; implicit-def: $vgpr11
.LBB2938_159:
	s_andn2_saveexec_b64 s[4:5], s[4:5]
; %bb.160:
	s_mov_b64 s[6:7], exec
                                        ; implicit-def: $vgpr10
; %bb.161:
	s_or_b64 exec, exec, s[4:5]
	s_and_b64 s[4:5], s[16:17], exec
	s_and_b64 s[6:7], s[6:7], exec
                                        ; implicit-def: $vgpr26
                                        ; implicit-def: $vgpr12
                                        ; implicit-def: $vgpr23
.LBB2938_162:
	s_andn2_saveexec_b64 s[12:13], s[12:13]
	s_cbranch_execz .LBB2938_172
; %bb.163:
	v_cmp_lt_i64_e32 vcc, 18, v[0:1]
	s_mov_b64 s[16:17], 0
	s_and_saveexec_b64 s[8:9], vcc
	s_xor_b64 s[8:9], exec, s[8:9]
	s_cbranch_execz .LBB2938_169
; %bb.164:
	v_cmp_lt_i64_e32 vcc, 19, v[0:1]
	s_and_saveexec_b64 s[18:19], vcc
	s_xor_b64 s[18:19], exec, s[18:19]
; %bb.165:
	s_mov_b64 s[16:17], exec
                                        ; implicit-def: $vgpr23
; %bb.166:
	s_andn2_saveexec_b64 s[18:19], s[18:19]
	s_cbranch_execz .LBB2938_168
; %bb.167:
	v_mov_b32_e32 v2, 0
	s_waitcnt lgkmcnt(0)
	global_store_short v2, v23, s[14:15]
                                        ; implicit-def: $vgpr12
.LBB2938_168:
	s_or_b64 exec, exec, s[18:19]
	s_and_b64 s[16:17], s[16:17], exec
                                        ; implicit-def: $vgpr26
.LBB2938_169:
	s_andn2_saveexec_b64 s[8:9], s[8:9]
	s_cbranch_execz .LBB2938_171
; %bb.170:
	v_mov_b32_e32 v2, 0
	s_waitcnt lgkmcnt(0)
	global_store_short v2, v26, s[14:15]
                                        ; implicit-def: $vgpr12
.LBB2938_171:
	s_or_b64 exec, exec, s[8:9]
	s_and_b64 s[8:9], s[16:17], exec
                                        ; implicit-def: $vgpr10
                                        ; implicit-def: $vgpr11
.LBB2938_172:
	s_or_b64 exec, exec, s[12:13]
	s_and_b64 s[4:5], s[4:5], exec
	s_and_b64 s[6:7], s[6:7], exec
	;; [unrolled: 1-line block ×3, first 2 shown]
                                        ; implicit-def: $vgpr18
                                        ; implicit-def: $vgpr13
                                        ; implicit-def: $vgpr14
                                        ; implicit-def: $vgpr24
                                        ; implicit-def: $vgpr27
.LBB2938_173:
	s_andn2_saveexec_b64 s[10:11], s[10:11]
	s_cbranch_execz .LBB2938_195
; %bb.174:
	v_cmp_lt_i64_e32 vcc, 14, v[0:1]
	s_mov_b64 s[12:13], s[4:5]
	s_and_saveexec_b64 s[16:17], vcc
	s_xor_b64 s[16:17], exec, s[16:17]
	s_cbranch_execz .LBB2938_184
; %bb.175:
	v_cmp_lt_i64_e32 vcc, 15, v[0:1]
	s_and_saveexec_b64 s[12:13], vcc
	s_xor_b64 s[12:13], exec, s[12:13]
	s_cbranch_execz .LBB2938_181
; %bb.176:
	v_cmp_lt_i64_e32 vcc, 16, v[0:1]
	s_and_saveexec_b64 s[18:19], vcc
	s_xor_b64 s[18:19], exec, s[18:19]
	s_cbranch_execz .LBB2938_178
; %bb.177:
	v_mov_b32_e32 v2, 0
	s_waitcnt lgkmcnt(0)
	global_store_short v2, v27, s[14:15]
                                        ; implicit-def: $vgpr24
.LBB2938_178:
	s_andn2_saveexec_b64 s[18:19], s[18:19]
	s_cbranch_execz .LBB2938_180
; %bb.179:
	v_mov_b32_e32 v2, 0
	s_waitcnt lgkmcnt(0)
	global_store_short v2, v24, s[14:15]
.LBB2938_180:
	s_or_b64 exec, exec, s[18:19]
                                        ; implicit-def: $vgpr10
.LBB2938_181:
	s_or_saveexec_b64 s[12:13], s[12:13]
	s_mov_b64 s[18:19], s[4:5]
	s_xor_b64 exec, exec, s[12:13]
; %bb.182:
	s_or_b64 s[18:19], s[4:5], exec
; %bb.183:
	s_or_b64 exec, exec, s[12:13]
	s_andn2_b64 s[12:13], s[4:5], exec
	s_and_b64 s[18:19], s[18:19], exec
	s_or_b64 s[12:13], s[12:13], s[18:19]
                                        ; implicit-def: $vgpr18
                                        ; implicit-def: $vgpr13
                                        ; implicit-def: $vgpr14
.LBB2938_184:
	s_or_saveexec_b64 s[16:17], s[16:17]
	s_mov_b64 s[18:19], s[6:7]
                                        ; implicit-def: $vgpr11
	s_xor_b64 exec, exec, s[16:17]
	s_cbranch_execz .LBB2938_194
; %bb.185:
	v_cmp_lt_i64_e32 vcc, 12, v[0:1]
	s_mov_b64 s[20:21], s[6:7]
	s_mov_b64 s[22:23], s[12:13]
                                        ; implicit-def: $vgpr10
                                        ; implicit-def: $vgpr11
	s_and_saveexec_b64 s[18:19], vcc
	s_xor_b64 s[18:19], exec, s[18:19]
	s_cbranch_execz .LBB2938_191
; %bb.186:
	v_cmp_lt_i64_e32 vcc, 13, v[0:1]
	s_mov_b64 s[20:21], s[12:13]
	s_and_saveexec_b64 s[22:23], vcc
	s_xor_b64 s[22:23], exec, s[22:23]
; %bb.187:
	s_or_b64 s[20:21], s[12:13], exec
                                        ; implicit-def: $vgpr13
; %bb.188:
	s_or_saveexec_b64 s[22:23], s[22:23]
	s_mov_b64 s[24:25], s[6:7]
	s_xor_b64 exec, exec, s[22:23]
; %bb.189:
	s_or_b64 s[24:25], s[6:7], exec
                                        ; implicit-def: $vgpr14
; %bb.190:
	s_or_b64 exec, exec, s[22:23]
	s_andn2_b64 s[22:23], s[12:13], exec
	s_and_b64 s[20:21], s[20:21], exec
	s_or_b64 s[22:23], s[22:23], s[20:21]
	s_andn2_b64 s[20:21], s[6:7], exec
	s_and_b64 s[24:25], s[24:25], exec
	s_or_b64 s[20:21], s[20:21], s[24:25]
	s_waitcnt lgkmcnt(0)
	v_mov_b32_e32 v10, v14
	v_mov_b32_e32 v11, v13
                                        ; implicit-def: $vgpr18
.LBB2938_191:
	s_andn2_saveexec_b64 s[18:19], s[18:19]
	s_cbranch_execz .LBB2938_193
; %bb.192:
	s_or_b64 s[20:21], s[20:21], exec
                                        ; implicit-def: $vgpr10
	s_waitcnt lgkmcnt(0)
	v_mov_b32_e32 v11, v18
.LBB2938_193:
	s_or_b64 exec, exec, s[18:19]
	s_andn2_b64 s[12:13], s[12:13], exec
	s_and_b64 s[18:19], s[22:23], exec
	s_or_b64 s[12:13], s[12:13], s[18:19]
	s_andn2_b64 s[18:19], s[6:7], exec
	s_and_b64 s[20:21], s[20:21], exec
	s_or_b64 s[18:19], s[18:19], s[20:21]
.LBB2938_194:
	s_or_b64 exec, exec, s[16:17]
	s_andn2_b64 s[4:5], s[4:5], exec
	s_and_b64 s[12:13], s[12:13], exec
	s_or_b64 s[4:5], s[4:5], s[12:13]
	s_andn2_b64 s[6:7], s[6:7], exec
	s_and_b64 s[12:13], s[18:19], exec
	s_or_b64 s[6:7], s[6:7], s[12:13]
                                        ; implicit-def: $vgpr12
.LBB2938_195:
	s_or_b64 exec, exec, s[10:11]
	s_and_b64 s[4:5], s[4:5], exec
	s_and_b64 s[6:7], s[6:7], exec
	;; [unrolled: 1-line block ×3, first 2 shown]
                                        ; implicit-def: $vgpr17
                                        ; implicit-def: $vgpr15
                                        ; implicit-def: $vgpr16
                                        ; implicit-def: $vgpr25
                                        ; implicit-def: $vgpr22
                                        ; implicit-def: $vgpr19
	s_andn2_saveexec_b64 s[2:3], s[2:3]
	s_cbranch_execz .LBB2938_146
.LBB2938_196:
	v_cmp_lt_i64_e32 vcc, 5, v[0:1]
	s_mov_b64 s[12:13], -1
	s_mov_b64 s[10:11], s[8:9]
	s_mov_b64 s[16:17], s[6:7]
	;; [unrolled: 1-line block ×3, first 2 shown]
                                        ; implicit-def: $vgpr10
                                        ; implicit-def: $vgpr11
                                        ; implicit-def: $vgpr12
	s_and_saveexec_b64 s[0:1], vcc
	s_cbranch_execz .LBB2938_212
; %bb.197:
	v_cmp_lt_i64_e32 vcc, 8, v[0:1]
	s_mov_b64 s[10:11], s[8:9]
                                        ; implicit-def: $vgpr12
	s_and_saveexec_b64 s[12:13], vcc
	s_xor_b64 s[12:13], exec, s[12:13]
	s_cbranch_execz .LBB2938_207
; %bb.198:
	v_cmp_lt_i64_e32 vcc, 9, v[0:1]
	s_and_saveexec_b64 s[10:11], vcc
	s_xor_b64 s[10:11], exec, s[10:11]
	s_cbranch_execz .LBB2938_204
; %bb.199:
	v_cmp_lt_i64_e32 vcc, 10, v[0:1]
	s_and_saveexec_b64 s[16:17], vcc
	s_xor_b64 s[16:17], exec, s[16:17]
; %bb.200:
                                        ; implicit-def: $vgpr22
; %bb.201:
	s_andn2_saveexec_b64 s[16:17], s[16:17]
	s_cbranch_execz .LBB2938_203
; %bb.202:
	s_waitcnt lgkmcnt(0)
	v_mov_b32_e32 v19, v22
.LBB2938_203:
	s_or_b64 exec, exec, s[16:17]
                                        ; implicit-def: $vgpr25
.LBB2938_204:
	s_andn2_saveexec_b64 s[10:11], s[10:11]
	s_cbranch_execz .LBB2938_206
; %bb.205:
	s_waitcnt lgkmcnt(0)
	v_mov_b32_e32 v19, v25
.LBB2938_206:
	s_or_b64 exec, exec, s[10:11]
	s_or_b64 s[10:11], s[8:9], exec
	s_waitcnt lgkmcnt(0)
	v_mov_b32_e32 v12, v19
                                        ; implicit-def: $vgpr17
                                        ; implicit-def: $vgpr15
                                        ; implicit-def: $vgpr16
.LBB2938_207:
	s_or_saveexec_b64 s[12:13], s[12:13]
	s_mov_b64 s[16:17], s[6:7]
	s_mov_b64 s[20:21], s[4:5]
                                        ; implicit-def: $vgpr10
                                        ; implicit-def: $vgpr11
	s_xor_b64 exec, exec, s[12:13]
	s_cbranch_execz .LBB2938_211
; %bb.208:
	v_cmp_lt_i64_e32 vcc, 6, v[0:1]
	s_mov_b64 s[20:21], -1
	s_mov_b64 s[18:19], s[10:11]
	s_mov_b64 s[16:17], s[6:7]
	s_and_saveexec_b64 s[22:23], vcc
; %bb.209:
	v_cmp_lt_i64_e32 vcc, 7, v[0:1]
	s_andn2_b64 s[18:19], s[10:11], exec
	s_and_b64 s[24:25], vcc, exec
	s_xor_b64 s[20:21], exec, -1
	s_or_b64 s[16:17], s[6:7], exec
	s_or_b64 s[18:19], s[18:19], s[24:25]
                                        ; implicit-def: $vgpr17
; %bb.210:
	s_or_b64 exec, exec, s[22:23]
	s_andn2_b64 s[22:23], s[4:5], exec
	s_and_b64 s[20:21], s[20:21], exec
	s_or_b64 s[20:21], s[22:23], s[20:21]
	s_andn2_b64 s[22:23], s[6:7], exec
	s_and_b64 s[16:17], s[16:17], exec
	s_andn2_b64 s[10:11], s[10:11], exec
	s_and_b64 s[18:19], s[18:19], exec
	s_or_b64 s[16:17], s[22:23], s[16:17]
	s_or_b64 s[10:11], s[10:11], s[18:19]
	s_waitcnt lgkmcnt(0)
	v_mov_b32_e32 v10, v17
	v_mov_b32_e32 v11, v15
	;; [unrolled: 1-line block ×3, first 2 shown]
.LBB2938_211:
	s_or_b64 exec, exec, s[12:13]
	s_andn2_b64 s[18:19], s[4:5], exec
	s_and_b64 s[20:21], s[20:21], exec
	s_or_b64 s[18:19], s[18:19], s[20:21]
	s_andn2_b64 s[20:21], s[6:7], exec
	s_and_b64 s[16:17], s[16:17], exec
	s_or_b64 s[16:17], s[20:21], s[16:17]
	s_andn2_b64 s[20:21], s[8:9], exec
	s_and_b64 s[10:11], s[10:11], exec
	s_xor_b64 s[12:13], exec, -1
	s_or_b64 s[10:11], s[20:21], s[10:11]
.LBB2938_212:
	s_or_b64 exec, exec, s[0:1]
	s_and_b64 s[0:1], s[12:13], exec
	s_andn2_b64 s[4:5], s[4:5], exec
	s_and_b64 s[12:13], s[18:19], exec
	s_or_b64 s[4:5], s[4:5], s[12:13]
	s_andn2_b64 s[6:7], s[6:7], exec
	s_and_b64 s[12:13], s[16:17], exec
	s_andn2_b64 s[8:9], s[8:9], exec
	s_and_b64 s[10:11], s[10:11], exec
	s_or_b64 s[6:7], s[6:7], s[12:13]
	s_or_b64 s[8:9], s[8:9], s[10:11]
	s_or_b64 exec, exec, s[2:3]
	s_and_saveexec_b64 s[2:3], s[8:9]
	s_cbranch_execz .LBB2938_147
.LBB2938_213:
	v_mov_b32_e32 v2, 0
	s_andn2_b64 s[6:7], s[6:7], exec
	s_waitcnt lgkmcnt(0)
	global_store_short v2, v12, s[14:15]
                                        ; implicit-def: $vgpr10
                                        ; implicit-def: $vgpr11
	s_or_b64 exec, exec, s[2:3]
	s_and_saveexec_b64 s[2:3], s[6:7]
	s_cbranch_execz .LBB2938_148
.LBB2938_214:
	v_mov_b32_e32 v2, 0
	s_waitcnt lgkmcnt(0)
	global_store_short v2, v11, s[14:15]
                                        ; implicit-def: $vgpr10
	s_or_b64 exec, exec, s[2:3]
	s_and_saveexec_b64 s[2:3], s[4:5]
	s_xor_b64 s[2:3], exec, s[2:3]
	s_cbranch_execz .LBB2938_149
.LBB2938_215:
	v_mov_b32_e32 v2, 0
	s_waitcnt lgkmcnt(0)
	global_store_short v2, v10, s[14:15]
	s_or_b64 exec, exec, s[2:3]
	s_and_b64 exec, exec, s[0:1]
	s_cbranch_execz .LBB2938_150
.LBB2938_216:
	v_cmp_lt_i64_e32 vcc, 2, v[0:1]
	s_and_saveexec_b64 s[0:1], vcc
	s_xor_b64 s[0:1], exec, s[0:1]
	s_cbranch_execz .LBB2938_226
; %bb.217:
	v_cmp_lt_i64_e32 vcc, 3, v[0:1]
	s_and_saveexec_b64 s[2:3], vcc
	s_xor_b64 s[2:3], exec, s[2:3]
	s_cbranch_execz .LBB2938_223
; %bb.218:
	;; [unrolled: 5-line block ×3, first 2 shown]
	v_mov_b32_e32 v0, 0
	s_waitcnt lgkmcnt(0)
	global_store_short v0, v9, s[14:15]
                                        ; implicit-def: $vgpr6
.LBB2938_220:
	s_andn2_saveexec_b64 s[4:5], s[4:5]
	s_cbranch_execz .LBB2938_222
; %bb.221:
	v_mov_b32_e32 v0, 0
	s_waitcnt lgkmcnt(0)
	global_store_short v0, v6, s[14:15]
.LBB2938_222:
	s_or_b64 exec, exec, s[4:5]
                                        ; implicit-def: $vgpr8
.LBB2938_223:
	s_andn2_saveexec_b64 s[2:3], s[2:3]
	s_cbranch_execz .LBB2938_225
; %bb.224:
	v_mov_b32_e32 v0, 0
	s_waitcnt lgkmcnt(0)
	global_store_short v0, v8, s[14:15]
.LBB2938_225:
	s_or_b64 exec, exec, s[2:3]
                                        ; implicit-def: $vgpr0_vgpr1
                                        ; implicit-def: $vgpr7
                                        ; implicit-def: $vgpr4
                                        ; implicit-def: $vgpr5
.LBB2938_226:
	s_andn2_saveexec_b64 s[0:1], s[0:1]
	s_cbranch_execz .LBB2938_150
; %bb.227:
	v_cmp_lt_i64_e32 vcc, 1, v[0:1]
	s_and_saveexec_b64 s[0:1], vcc
	s_xor_b64 s[0:1], exec, s[0:1]
	s_cbranch_execz .LBB2938_229
; %bb.228:
	v_mov_b32_e32 v0, 0
	s_waitcnt lgkmcnt(0)
	global_store_short v0, v7, s[14:15]
                                        ; implicit-def: $vgpr4
                                        ; implicit-def: $vgpr0_vgpr1
                                        ; implicit-def: $vgpr5
.LBB2938_229:
	s_andn2_saveexec_b64 s[0:1], s[0:1]
	s_cbranch_execz .LBB2938_150
; %bb.230:
	v_cmp_ne_u64_e32 vcc, 1, v[0:1]
	s_and_saveexec_b64 s[0:1], vcc
	s_xor_b64 s[0:1], exec, s[0:1]
	s_cbranch_execz .LBB2938_232
; %bb.231:
	v_mov_b32_e32 v0, 0
	s_waitcnt lgkmcnt(0)
	global_store_short v0, v5, s[14:15]
                                        ; implicit-def: $vgpr4
.LBB2938_232:
	s_andn2_saveexec_b64 s[0:1], s[0:1]
	s_cbranch_execz .LBB2938_150
; %bb.233:
	v_mov_b32_e32 v0, 0
	s_waitcnt lgkmcnt(0)
	global_store_short v0, v4, s[14:15]
	s_endpgm
	.section	.rodata,"a",@progbits
	.p2align	6, 0x0
	.amdhsa_kernel _ZN7rocprim17ROCPRIM_400000_NS6detail17trampoline_kernelINS0_14default_configENS1_20scan_config_selectorIsEEZZNS1_9scan_implILNS1_25lookback_scan_determinismE0ELb1ELb1ES3_N6thrust23THRUST_200600_302600_NS6detail15normal_iteratorINS9_10device_ptrIsEEEESE_s11max_functorIsEsEEDaPvRmT3_T4_T5_mT6_P12ihipStream_tbENKUlT_T0_E_clISt17integral_constantIbLb1EESU_EEDaSP_SQ_EUlSP_E_NS1_11comp_targetILNS1_3genE4ELNS1_11target_archE910ELNS1_3gpuE8ELNS1_3repE0EEENS1_30default_config_static_selectorELNS0_4arch9wavefront6targetE1EEEvT1_
		.amdhsa_group_segment_fixed_size 3072
		.amdhsa_private_segment_fixed_size 0
		.amdhsa_kernarg_size 96
		.amdhsa_user_sgpr_count 6
		.amdhsa_user_sgpr_private_segment_buffer 1
		.amdhsa_user_sgpr_dispatch_ptr 0
		.amdhsa_user_sgpr_queue_ptr 0
		.amdhsa_user_sgpr_kernarg_segment_ptr 1
		.amdhsa_user_sgpr_dispatch_id 0
		.amdhsa_user_sgpr_flat_scratch_init 0
		.amdhsa_user_sgpr_kernarg_preload_length 0
		.amdhsa_user_sgpr_kernarg_preload_offset 0
		.amdhsa_user_sgpr_private_segment_size 0
		.amdhsa_uses_dynamic_stack 0
		.amdhsa_system_sgpr_private_segment_wavefront_offset 0
		.amdhsa_system_sgpr_workgroup_id_x 1
		.amdhsa_system_sgpr_workgroup_id_y 0
		.amdhsa_system_sgpr_workgroup_id_z 0
		.amdhsa_system_sgpr_workgroup_info 0
		.amdhsa_system_vgpr_workitem_id 0
		.amdhsa_next_free_vgpr 58
		.amdhsa_next_free_sgpr 39
		.amdhsa_accum_offset 60
		.amdhsa_reserve_vcc 1
		.amdhsa_reserve_flat_scratch 0
		.amdhsa_float_round_mode_32 0
		.amdhsa_float_round_mode_16_64 0
		.amdhsa_float_denorm_mode_32 3
		.amdhsa_float_denorm_mode_16_64 3
		.amdhsa_dx10_clamp 1
		.amdhsa_ieee_mode 1
		.amdhsa_fp16_overflow 0
		.amdhsa_tg_split 0
		.amdhsa_exception_fp_ieee_invalid_op 0
		.amdhsa_exception_fp_denorm_src 0
		.amdhsa_exception_fp_ieee_div_zero 0
		.amdhsa_exception_fp_ieee_overflow 0
		.amdhsa_exception_fp_ieee_underflow 0
		.amdhsa_exception_fp_ieee_inexact 0
		.amdhsa_exception_int_div_zero 0
	.end_amdhsa_kernel
	.section	.text._ZN7rocprim17ROCPRIM_400000_NS6detail17trampoline_kernelINS0_14default_configENS1_20scan_config_selectorIsEEZZNS1_9scan_implILNS1_25lookback_scan_determinismE0ELb1ELb1ES3_N6thrust23THRUST_200600_302600_NS6detail15normal_iteratorINS9_10device_ptrIsEEEESE_s11max_functorIsEsEEDaPvRmT3_T4_T5_mT6_P12ihipStream_tbENKUlT_T0_E_clISt17integral_constantIbLb1EESU_EEDaSP_SQ_EUlSP_E_NS1_11comp_targetILNS1_3genE4ELNS1_11target_archE910ELNS1_3gpuE8ELNS1_3repE0EEENS1_30default_config_static_selectorELNS0_4arch9wavefront6targetE1EEEvT1_,"axG",@progbits,_ZN7rocprim17ROCPRIM_400000_NS6detail17trampoline_kernelINS0_14default_configENS1_20scan_config_selectorIsEEZZNS1_9scan_implILNS1_25lookback_scan_determinismE0ELb1ELb1ES3_N6thrust23THRUST_200600_302600_NS6detail15normal_iteratorINS9_10device_ptrIsEEEESE_s11max_functorIsEsEEDaPvRmT3_T4_T5_mT6_P12ihipStream_tbENKUlT_T0_E_clISt17integral_constantIbLb1EESU_EEDaSP_SQ_EUlSP_E_NS1_11comp_targetILNS1_3genE4ELNS1_11target_archE910ELNS1_3gpuE8ELNS1_3repE0EEENS1_30default_config_static_selectorELNS0_4arch9wavefront6targetE1EEEvT1_,comdat
.Lfunc_end2938:
	.size	_ZN7rocprim17ROCPRIM_400000_NS6detail17trampoline_kernelINS0_14default_configENS1_20scan_config_selectorIsEEZZNS1_9scan_implILNS1_25lookback_scan_determinismE0ELb1ELb1ES3_N6thrust23THRUST_200600_302600_NS6detail15normal_iteratorINS9_10device_ptrIsEEEESE_s11max_functorIsEsEEDaPvRmT3_T4_T5_mT6_P12ihipStream_tbENKUlT_T0_E_clISt17integral_constantIbLb1EESU_EEDaSP_SQ_EUlSP_E_NS1_11comp_targetILNS1_3genE4ELNS1_11target_archE910ELNS1_3gpuE8ELNS1_3repE0EEENS1_30default_config_static_selectorELNS0_4arch9wavefront6targetE1EEEvT1_, .Lfunc_end2938-_ZN7rocprim17ROCPRIM_400000_NS6detail17trampoline_kernelINS0_14default_configENS1_20scan_config_selectorIsEEZZNS1_9scan_implILNS1_25lookback_scan_determinismE0ELb1ELb1ES3_N6thrust23THRUST_200600_302600_NS6detail15normal_iteratorINS9_10device_ptrIsEEEESE_s11max_functorIsEsEEDaPvRmT3_T4_T5_mT6_P12ihipStream_tbENKUlT_T0_E_clISt17integral_constantIbLb1EESU_EEDaSP_SQ_EUlSP_E_NS1_11comp_targetILNS1_3genE4ELNS1_11target_archE910ELNS1_3gpuE8ELNS1_3repE0EEENS1_30default_config_static_selectorELNS0_4arch9wavefront6targetE1EEEvT1_
                                        ; -- End function
	.section	.AMDGPU.csdata,"",@progbits
; Kernel info:
; codeLenInByte = 8064
; NumSgprs: 43
; NumVgprs: 58
; NumAgprs: 0
; TotalNumVgprs: 58
; ScratchSize: 0
; MemoryBound: 0
; FloatMode: 240
; IeeeMode: 1
; LDSByteSize: 3072 bytes/workgroup (compile time only)
; SGPRBlocks: 5
; VGPRBlocks: 7
; NumSGPRsForWavesPerEU: 43
; NumVGPRsForWavesPerEU: 58
; AccumOffset: 60
; Occupancy: 6
; WaveLimiterHint : 1
; COMPUTE_PGM_RSRC2:SCRATCH_EN: 0
; COMPUTE_PGM_RSRC2:USER_SGPR: 6
; COMPUTE_PGM_RSRC2:TRAP_HANDLER: 0
; COMPUTE_PGM_RSRC2:TGID_X_EN: 1
; COMPUTE_PGM_RSRC2:TGID_Y_EN: 0
; COMPUTE_PGM_RSRC2:TGID_Z_EN: 0
; COMPUTE_PGM_RSRC2:TIDIG_COMP_CNT: 0
; COMPUTE_PGM_RSRC3_GFX90A:ACCUM_OFFSET: 14
; COMPUTE_PGM_RSRC3_GFX90A:TG_SPLIT: 0
	.section	.text._ZN7rocprim17ROCPRIM_400000_NS6detail17trampoline_kernelINS0_14default_configENS1_20scan_config_selectorIsEEZZNS1_9scan_implILNS1_25lookback_scan_determinismE0ELb1ELb1ES3_N6thrust23THRUST_200600_302600_NS6detail15normal_iteratorINS9_10device_ptrIsEEEESE_s11max_functorIsEsEEDaPvRmT3_T4_T5_mT6_P12ihipStream_tbENKUlT_T0_E_clISt17integral_constantIbLb1EESU_EEDaSP_SQ_EUlSP_E_NS1_11comp_targetILNS1_3genE3ELNS1_11target_archE908ELNS1_3gpuE7ELNS1_3repE0EEENS1_30default_config_static_selectorELNS0_4arch9wavefront6targetE1EEEvT1_,"axG",@progbits,_ZN7rocprim17ROCPRIM_400000_NS6detail17trampoline_kernelINS0_14default_configENS1_20scan_config_selectorIsEEZZNS1_9scan_implILNS1_25lookback_scan_determinismE0ELb1ELb1ES3_N6thrust23THRUST_200600_302600_NS6detail15normal_iteratorINS9_10device_ptrIsEEEESE_s11max_functorIsEsEEDaPvRmT3_T4_T5_mT6_P12ihipStream_tbENKUlT_T0_E_clISt17integral_constantIbLb1EESU_EEDaSP_SQ_EUlSP_E_NS1_11comp_targetILNS1_3genE3ELNS1_11target_archE908ELNS1_3gpuE7ELNS1_3repE0EEENS1_30default_config_static_selectorELNS0_4arch9wavefront6targetE1EEEvT1_,comdat
	.protected	_ZN7rocprim17ROCPRIM_400000_NS6detail17trampoline_kernelINS0_14default_configENS1_20scan_config_selectorIsEEZZNS1_9scan_implILNS1_25lookback_scan_determinismE0ELb1ELb1ES3_N6thrust23THRUST_200600_302600_NS6detail15normal_iteratorINS9_10device_ptrIsEEEESE_s11max_functorIsEsEEDaPvRmT3_T4_T5_mT6_P12ihipStream_tbENKUlT_T0_E_clISt17integral_constantIbLb1EESU_EEDaSP_SQ_EUlSP_E_NS1_11comp_targetILNS1_3genE3ELNS1_11target_archE908ELNS1_3gpuE7ELNS1_3repE0EEENS1_30default_config_static_selectorELNS0_4arch9wavefront6targetE1EEEvT1_ ; -- Begin function _ZN7rocprim17ROCPRIM_400000_NS6detail17trampoline_kernelINS0_14default_configENS1_20scan_config_selectorIsEEZZNS1_9scan_implILNS1_25lookback_scan_determinismE0ELb1ELb1ES3_N6thrust23THRUST_200600_302600_NS6detail15normal_iteratorINS9_10device_ptrIsEEEESE_s11max_functorIsEsEEDaPvRmT3_T4_T5_mT6_P12ihipStream_tbENKUlT_T0_E_clISt17integral_constantIbLb1EESU_EEDaSP_SQ_EUlSP_E_NS1_11comp_targetILNS1_3genE3ELNS1_11target_archE908ELNS1_3gpuE7ELNS1_3repE0EEENS1_30default_config_static_selectorELNS0_4arch9wavefront6targetE1EEEvT1_
	.globl	_ZN7rocprim17ROCPRIM_400000_NS6detail17trampoline_kernelINS0_14default_configENS1_20scan_config_selectorIsEEZZNS1_9scan_implILNS1_25lookback_scan_determinismE0ELb1ELb1ES3_N6thrust23THRUST_200600_302600_NS6detail15normal_iteratorINS9_10device_ptrIsEEEESE_s11max_functorIsEsEEDaPvRmT3_T4_T5_mT6_P12ihipStream_tbENKUlT_T0_E_clISt17integral_constantIbLb1EESU_EEDaSP_SQ_EUlSP_E_NS1_11comp_targetILNS1_3genE3ELNS1_11target_archE908ELNS1_3gpuE7ELNS1_3repE0EEENS1_30default_config_static_selectorELNS0_4arch9wavefront6targetE1EEEvT1_
	.p2align	8
	.type	_ZN7rocprim17ROCPRIM_400000_NS6detail17trampoline_kernelINS0_14default_configENS1_20scan_config_selectorIsEEZZNS1_9scan_implILNS1_25lookback_scan_determinismE0ELb1ELb1ES3_N6thrust23THRUST_200600_302600_NS6detail15normal_iteratorINS9_10device_ptrIsEEEESE_s11max_functorIsEsEEDaPvRmT3_T4_T5_mT6_P12ihipStream_tbENKUlT_T0_E_clISt17integral_constantIbLb1EESU_EEDaSP_SQ_EUlSP_E_NS1_11comp_targetILNS1_3genE3ELNS1_11target_archE908ELNS1_3gpuE7ELNS1_3repE0EEENS1_30default_config_static_selectorELNS0_4arch9wavefront6targetE1EEEvT1_,@function
_ZN7rocprim17ROCPRIM_400000_NS6detail17trampoline_kernelINS0_14default_configENS1_20scan_config_selectorIsEEZZNS1_9scan_implILNS1_25lookback_scan_determinismE0ELb1ELb1ES3_N6thrust23THRUST_200600_302600_NS6detail15normal_iteratorINS9_10device_ptrIsEEEESE_s11max_functorIsEsEEDaPvRmT3_T4_T5_mT6_P12ihipStream_tbENKUlT_T0_E_clISt17integral_constantIbLb1EESU_EEDaSP_SQ_EUlSP_E_NS1_11comp_targetILNS1_3genE3ELNS1_11target_archE908ELNS1_3gpuE7ELNS1_3repE0EEENS1_30default_config_static_selectorELNS0_4arch9wavefront6targetE1EEEvT1_: ; @_ZN7rocprim17ROCPRIM_400000_NS6detail17trampoline_kernelINS0_14default_configENS1_20scan_config_selectorIsEEZZNS1_9scan_implILNS1_25lookback_scan_determinismE0ELb1ELb1ES3_N6thrust23THRUST_200600_302600_NS6detail15normal_iteratorINS9_10device_ptrIsEEEESE_s11max_functorIsEsEEDaPvRmT3_T4_T5_mT6_P12ihipStream_tbENKUlT_T0_E_clISt17integral_constantIbLb1EESU_EEDaSP_SQ_EUlSP_E_NS1_11comp_targetILNS1_3genE3ELNS1_11target_archE908ELNS1_3gpuE7ELNS1_3repE0EEENS1_30default_config_static_selectorELNS0_4arch9wavefront6targetE1EEEvT1_
; %bb.0:
	.section	.rodata,"a",@progbits
	.p2align	6, 0x0
	.amdhsa_kernel _ZN7rocprim17ROCPRIM_400000_NS6detail17trampoline_kernelINS0_14default_configENS1_20scan_config_selectorIsEEZZNS1_9scan_implILNS1_25lookback_scan_determinismE0ELb1ELb1ES3_N6thrust23THRUST_200600_302600_NS6detail15normal_iteratorINS9_10device_ptrIsEEEESE_s11max_functorIsEsEEDaPvRmT3_T4_T5_mT6_P12ihipStream_tbENKUlT_T0_E_clISt17integral_constantIbLb1EESU_EEDaSP_SQ_EUlSP_E_NS1_11comp_targetILNS1_3genE3ELNS1_11target_archE908ELNS1_3gpuE7ELNS1_3repE0EEENS1_30default_config_static_selectorELNS0_4arch9wavefront6targetE1EEEvT1_
		.amdhsa_group_segment_fixed_size 0
		.amdhsa_private_segment_fixed_size 0
		.amdhsa_kernarg_size 96
		.amdhsa_user_sgpr_count 6
		.amdhsa_user_sgpr_private_segment_buffer 1
		.amdhsa_user_sgpr_dispatch_ptr 0
		.amdhsa_user_sgpr_queue_ptr 0
		.amdhsa_user_sgpr_kernarg_segment_ptr 1
		.amdhsa_user_sgpr_dispatch_id 0
		.amdhsa_user_sgpr_flat_scratch_init 0
		.amdhsa_user_sgpr_kernarg_preload_length 0
		.amdhsa_user_sgpr_kernarg_preload_offset 0
		.amdhsa_user_sgpr_private_segment_size 0
		.amdhsa_uses_dynamic_stack 0
		.amdhsa_system_sgpr_private_segment_wavefront_offset 0
		.amdhsa_system_sgpr_workgroup_id_x 1
		.amdhsa_system_sgpr_workgroup_id_y 0
		.amdhsa_system_sgpr_workgroup_id_z 0
		.amdhsa_system_sgpr_workgroup_info 0
		.amdhsa_system_vgpr_workitem_id 0
		.amdhsa_next_free_vgpr 1
		.amdhsa_next_free_sgpr 0
		.amdhsa_accum_offset 4
		.amdhsa_reserve_vcc 0
		.amdhsa_reserve_flat_scratch 0
		.amdhsa_float_round_mode_32 0
		.amdhsa_float_round_mode_16_64 0
		.amdhsa_float_denorm_mode_32 3
		.amdhsa_float_denorm_mode_16_64 3
		.amdhsa_dx10_clamp 1
		.amdhsa_ieee_mode 1
		.amdhsa_fp16_overflow 0
		.amdhsa_tg_split 0
		.amdhsa_exception_fp_ieee_invalid_op 0
		.amdhsa_exception_fp_denorm_src 0
		.amdhsa_exception_fp_ieee_div_zero 0
		.amdhsa_exception_fp_ieee_overflow 0
		.amdhsa_exception_fp_ieee_underflow 0
		.amdhsa_exception_fp_ieee_inexact 0
		.amdhsa_exception_int_div_zero 0
	.end_amdhsa_kernel
	.section	.text._ZN7rocprim17ROCPRIM_400000_NS6detail17trampoline_kernelINS0_14default_configENS1_20scan_config_selectorIsEEZZNS1_9scan_implILNS1_25lookback_scan_determinismE0ELb1ELb1ES3_N6thrust23THRUST_200600_302600_NS6detail15normal_iteratorINS9_10device_ptrIsEEEESE_s11max_functorIsEsEEDaPvRmT3_T4_T5_mT6_P12ihipStream_tbENKUlT_T0_E_clISt17integral_constantIbLb1EESU_EEDaSP_SQ_EUlSP_E_NS1_11comp_targetILNS1_3genE3ELNS1_11target_archE908ELNS1_3gpuE7ELNS1_3repE0EEENS1_30default_config_static_selectorELNS0_4arch9wavefront6targetE1EEEvT1_,"axG",@progbits,_ZN7rocprim17ROCPRIM_400000_NS6detail17trampoline_kernelINS0_14default_configENS1_20scan_config_selectorIsEEZZNS1_9scan_implILNS1_25lookback_scan_determinismE0ELb1ELb1ES3_N6thrust23THRUST_200600_302600_NS6detail15normal_iteratorINS9_10device_ptrIsEEEESE_s11max_functorIsEsEEDaPvRmT3_T4_T5_mT6_P12ihipStream_tbENKUlT_T0_E_clISt17integral_constantIbLb1EESU_EEDaSP_SQ_EUlSP_E_NS1_11comp_targetILNS1_3genE3ELNS1_11target_archE908ELNS1_3gpuE7ELNS1_3repE0EEENS1_30default_config_static_selectorELNS0_4arch9wavefront6targetE1EEEvT1_,comdat
.Lfunc_end2939:
	.size	_ZN7rocprim17ROCPRIM_400000_NS6detail17trampoline_kernelINS0_14default_configENS1_20scan_config_selectorIsEEZZNS1_9scan_implILNS1_25lookback_scan_determinismE0ELb1ELb1ES3_N6thrust23THRUST_200600_302600_NS6detail15normal_iteratorINS9_10device_ptrIsEEEESE_s11max_functorIsEsEEDaPvRmT3_T4_T5_mT6_P12ihipStream_tbENKUlT_T0_E_clISt17integral_constantIbLb1EESU_EEDaSP_SQ_EUlSP_E_NS1_11comp_targetILNS1_3genE3ELNS1_11target_archE908ELNS1_3gpuE7ELNS1_3repE0EEENS1_30default_config_static_selectorELNS0_4arch9wavefront6targetE1EEEvT1_, .Lfunc_end2939-_ZN7rocprim17ROCPRIM_400000_NS6detail17trampoline_kernelINS0_14default_configENS1_20scan_config_selectorIsEEZZNS1_9scan_implILNS1_25lookback_scan_determinismE0ELb1ELb1ES3_N6thrust23THRUST_200600_302600_NS6detail15normal_iteratorINS9_10device_ptrIsEEEESE_s11max_functorIsEsEEDaPvRmT3_T4_T5_mT6_P12ihipStream_tbENKUlT_T0_E_clISt17integral_constantIbLb1EESU_EEDaSP_SQ_EUlSP_E_NS1_11comp_targetILNS1_3genE3ELNS1_11target_archE908ELNS1_3gpuE7ELNS1_3repE0EEENS1_30default_config_static_selectorELNS0_4arch9wavefront6targetE1EEEvT1_
                                        ; -- End function
	.section	.AMDGPU.csdata,"",@progbits
; Kernel info:
; codeLenInByte = 0
; NumSgprs: 4
; NumVgprs: 0
; NumAgprs: 0
; TotalNumVgprs: 0
; ScratchSize: 0
; MemoryBound: 0
; FloatMode: 240
; IeeeMode: 1
; LDSByteSize: 0 bytes/workgroup (compile time only)
; SGPRBlocks: 0
; VGPRBlocks: 0
; NumSGPRsForWavesPerEU: 4
; NumVGPRsForWavesPerEU: 1
; AccumOffset: 4
; Occupancy: 8
; WaveLimiterHint : 0
; COMPUTE_PGM_RSRC2:SCRATCH_EN: 0
; COMPUTE_PGM_RSRC2:USER_SGPR: 6
; COMPUTE_PGM_RSRC2:TRAP_HANDLER: 0
; COMPUTE_PGM_RSRC2:TGID_X_EN: 1
; COMPUTE_PGM_RSRC2:TGID_Y_EN: 0
; COMPUTE_PGM_RSRC2:TGID_Z_EN: 0
; COMPUTE_PGM_RSRC2:TIDIG_COMP_CNT: 0
; COMPUTE_PGM_RSRC3_GFX90A:ACCUM_OFFSET: 0
; COMPUTE_PGM_RSRC3_GFX90A:TG_SPLIT: 0
	.section	.text._ZN7rocprim17ROCPRIM_400000_NS6detail17trampoline_kernelINS0_14default_configENS1_20scan_config_selectorIsEEZZNS1_9scan_implILNS1_25lookback_scan_determinismE0ELb1ELb1ES3_N6thrust23THRUST_200600_302600_NS6detail15normal_iteratorINS9_10device_ptrIsEEEESE_s11max_functorIsEsEEDaPvRmT3_T4_T5_mT6_P12ihipStream_tbENKUlT_T0_E_clISt17integral_constantIbLb1EESU_EEDaSP_SQ_EUlSP_E_NS1_11comp_targetILNS1_3genE2ELNS1_11target_archE906ELNS1_3gpuE6ELNS1_3repE0EEENS1_30default_config_static_selectorELNS0_4arch9wavefront6targetE1EEEvT1_,"axG",@progbits,_ZN7rocprim17ROCPRIM_400000_NS6detail17trampoline_kernelINS0_14default_configENS1_20scan_config_selectorIsEEZZNS1_9scan_implILNS1_25lookback_scan_determinismE0ELb1ELb1ES3_N6thrust23THRUST_200600_302600_NS6detail15normal_iteratorINS9_10device_ptrIsEEEESE_s11max_functorIsEsEEDaPvRmT3_T4_T5_mT6_P12ihipStream_tbENKUlT_T0_E_clISt17integral_constantIbLb1EESU_EEDaSP_SQ_EUlSP_E_NS1_11comp_targetILNS1_3genE2ELNS1_11target_archE906ELNS1_3gpuE6ELNS1_3repE0EEENS1_30default_config_static_selectorELNS0_4arch9wavefront6targetE1EEEvT1_,comdat
	.protected	_ZN7rocprim17ROCPRIM_400000_NS6detail17trampoline_kernelINS0_14default_configENS1_20scan_config_selectorIsEEZZNS1_9scan_implILNS1_25lookback_scan_determinismE0ELb1ELb1ES3_N6thrust23THRUST_200600_302600_NS6detail15normal_iteratorINS9_10device_ptrIsEEEESE_s11max_functorIsEsEEDaPvRmT3_T4_T5_mT6_P12ihipStream_tbENKUlT_T0_E_clISt17integral_constantIbLb1EESU_EEDaSP_SQ_EUlSP_E_NS1_11comp_targetILNS1_3genE2ELNS1_11target_archE906ELNS1_3gpuE6ELNS1_3repE0EEENS1_30default_config_static_selectorELNS0_4arch9wavefront6targetE1EEEvT1_ ; -- Begin function _ZN7rocprim17ROCPRIM_400000_NS6detail17trampoline_kernelINS0_14default_configENS1_20scan_config_selectorIsEEZZNS1_9scan_implILNS1_25lookback_scan_determinismE0ELb1ELb1ES3_N6thrust23THRUST_200600_302600_NS6detail15normal_iteratorINS9_10device_ptrIsEEEESE_s11max_functorIsEsEEDaPvRmT3_T4_T5_mT6_P12ihipStream_tbENKUlT_T0_E_clISt17integral_constantIbLb1EESU_EEDaSP_SQ_EUlSP_E_NS1_11comp_targetILNS1_3genE2ELNS1_11target_archE906ELNS1_3gpuE6ELNS1_3repE0EEENS1_30default_config_static_selectorELNS0_4arch9wavefront6targetE1EEEvT1_
	.globl	_ZN7rocprim17ROCPRIM_400000_NS6detail17trampoline_kernelINS0_14default_configENS1_20scan_config_selectorIsEEZZNS1_9scan_implILNS1_25lookback_scan_determinismE0ELb1ELb1ES3_N6thrust23THRUST_200600_302600_NS6detail15normal_iteratorINS9_10device_ptrIsEEEESE_s11max_functorIsEsEEDaPvRmT3_T4_T5_mT6_P12ihipStream_tbENKUlT_T0_E_clISt17integral_constantIbLb1EESU_EEDaSP_SQ_EUlSP_E_NS1_11comp_targetILNS1_3genE2ELNS1_11target_archE906ELNS1_3gpuE6ELNS1_3repE0EEENS1_30default_config_static_selectorELNS0_4arch9wavefront6targetE1EEEvT1_
	.p2align	8
	.type	_ZN7rocprim17ROCPRIM_400000_NS6detail17trampoline_kernelINS0_14default_configENS1_20scan_config_selectorIsEEZZNS1_9scan_implILNS1_25lookback_scan_determinismE0ELb1ELb1ES3_N6thrust23THRUST_200600_302600_NS6detail15normal_iteratorINS9_10device_ptrIsEEEESE_s11max_functorIsEsEEDaPvRmT3_T4_T5_mT6_P12ihipStream_tbENKUlT_T0_E_clISt17integral_constantIbLb1EESU_EEDaSP_SQ_EUlSP_E_NS1_11comp_targetILNS1_3genE2ELNS1_11target_archE906ELNS1_3gpuE6ELNS1_3repE0EEENS1_30default_config_static_selectorELNS0_4arch9wavefront6targetE1EEEvT1_,@function
_ZN7rocprim17ROCPRIM_400000_NS6detail17trampoline_kernelINS0_14default_configENS1_20scan_config_selectorIsEEZZNS1_9scan_implILNS1_25lookback_scan_determinismE0ELb1ELb1ES3_N6thrust23THRUST_200600_302600_NS6detail15normal_iteratorINS9_10device_ptrIsEEEESE_s11max_functorIsEsEEDaPvRmT3_T4_T5_mT6_P12ihipStream_tbENKUlT_T0_E_clISt17integral_constantIbLb1EESU_EEDaSP_SQ_EUlSP_E_NS1_11comp_targetILNS1_3genE2ELNS1_11target_archE906ELNS1_3gpuE6ELNS1_3repE0EEENS1_30default_config_static_selectorELNS0_4arch9wavefront6targetE1EEEvT1_: ; @_ZN7rocprim17ROCPRIM_400000_NS6detail17trampoline_kernelINS0_14default_configENS1_20scan_config_selectorIsEEZZNS1_9scan_implILNS1_25lookback_scan_determinismE0ELb1ELb1ES3_N6thrust23THRUST_200600_302600_NS6detail15normal_iteratorINS9_10device_ptrIsEEEESE_s11max_functorIsEsEEDaPvRmT3_T4_T5_mT6_P12ihipStream_tbENKUlT_T0_E_clISt17integral_constantIbLb1EESU_EEDaSP_SQ_EUlSP_E_NS1_11comp_targetILNS1_3genE2ELNS1_11target_archE906ELNS1_3gpuE6ELNS1_3repE0EEENS1_30default_config_static_selectorELNS0_4arch9wavefront6targetE1EEEvT1_
; %bb.0:
	.section	.rodata,"a",@progbits
	.p2align	6, 0x0
	.amdhsa_kernel _ZN7rocprim17ROCPRIM_400000_NS6detail17trampoline_kernelINS0_14default_configENS1_20scan_config_selectorIsEEZZNS1_9scan_implILNS1_25lookback_scan_determinismE0ELb1ELb1ES3_N6thrust23THRUST_200600_302600_NS6detail15normal_iteratorINS9_10device_ptrIsEEEESE_s11max_functorIsEsEEDaPvRmT3_T4_T5_mT6_P12ihipStream_tbENKUlT_T0_E_clISt17integral_constantIbLb1EESU_EEDaSP_SQ_EUlSP_E_NS1_11comp_targetILNS1_3genE2ELNS1_11target_archE906ELNS1_3gpuE6ELNS1_3repE0EEENS1_30default_config_static_selectorELNS0_4arch9wavefront6targetE1EEEvT1_
		.amdhsa_group_segment_fixed_size 0
		.amdhsa_private_segment_fixed_size 0
		.amdhsa_kernarg_size 96
		.amdhsa_user_sgpr_count 6
		.amdhsa_user_sgpr_private_segment_buffer 1
		.amdhsa_user_sgpr_dispatch_ptr 0
		.amdhsa_user_sgpr_queue_ptr 0
		.amdhsa_user_sgpr_kernarg_segment_ptr 1
		.amdhsa_user_sgpr_dispatch_id 0
		.amdhsa_user_sgpr_flat_scratch_init 0
		.amdhsa_user_sgpr_kernarg_preload_length 0
		.amdhsa_user_sgpr_kernarg_preload_offset 0
		.amdhsa_user_sgpr_private_segment_size 0
		.amdhsa_uses_dynamic_stack 0
		.amdhsa_system_sgpr_private_segment_wavefront_offset 0
		.amdhsa_system_sgpr_workgroup_id_x 1
		.amdhsa_system_sgpr_workgroup_id_y 0
		.amdhsa_system_sgpr_workgroup_id_z 0
		.amdhsa_system_sgpr_workgroup_info 0
		.amdhsa_system_vgpr_workitem_id 0
		.amdhsa_next_free_vgpr 1
		.amdhsa_next_free_sgpr 0
		.amdhsa_accum_offset 4
		.amdhsa_reserve_vcc 0
		.amdhsa_reserve_flat_scratch 0
		.amdhsa_float_round_mode_32 0
		.amdhsa_float_round_mode_16_64 0
		.amdhsa_float_denorm_mode_32 3
		.amdhsa_float_denorm_mode_16_64 3
		.amdhsa_dx10_clamp 1
		.amdhsa_ieee_mode 1
		.amdhsa_fp16_overflow 0
		.amdhsa_tg_split 0
		.amdhsa_exception_fp_ieee_invalid_op 0
		.amdhsa_exception_fp_denorm_src 0
		.amdhsa_exception_fp_ieee_div_zero 0
		.amdhsa_exception_fp_ieee_overflow 0
		.amdhsa_exception_fp_ieee_underflow 0
		.amdhsa_exception_fp_ieee_inexact 0
		.amdhsa_exception_int_div_zero 0
	.end_amdhsa_kernel
	.section	.text._ZN7rocprim17ROCPRIM_400000_NS6detail17trampoline_kernelINS0_14default_configENS1_20scan_config_selectorIsEEZZNS1_9scan_implILNS1_25lookback_scan_determinismE0ELb1ELb1ES3_N6thrust23THRUST_200600_302600_NS6detail15normal_iteratorINS9_10device_ptrIsEEEESE_s11max_functorIsEsEEDaPvRmT3_T4_T5_mT6_P12ihipStream_tbENKUlT_T0_E_clISt17integral_constantIbLb1EESU_EEDaSP_SQ_EUlSP_E_NS1_11comp_targetILNS1_3genE2ELNS1_11target_archE906ELNS1_3gpuE6ELNS1_3repE0EEENS1_30default_config_static_selectorELNS0_4arch9wavefront6targetE1EEEvT1_,"axG",@progbits,_ZN7rocprim17ROCPRIM_400000_NS6detail17trampoline_kernelINS0_14default_configENS1_20scan_config_selectorIsEEZZNS1_9scan_implILNS1_25lookback_scan_determinismE0ELb1ELb1ES3_N6thrust23THRUST_200600_302600_NS6detail15normal_iteratorINS9_10device_ptrIsEEEESE_s11max_functorIsEsEEDaPvRmT3_T4_T5_mT6_P12ihipStream_tbENKUlT_T0_E_clISt17integral_constantIbLb1EESU_EEDaSP_SQ_EUlSP_E_NS1_11comp_targetILNS1_3genE2ELNS1_11target_archE906ELNS1_3gpuE6ELNS1_3repE0EEENS1_30default_config_static_selectorELNS0_4arch9wavefront6targetE1EEEvT1_,comdat
.Lfunc_end2940:
	.size	_ZN7rocprim17ROCPRIM_400000_NS6detail17trampoline_kernelINS0_14default_configENS1_20scan_config_selectorIsEEZZNS1_9scan_implILNS1_25lookback_scan_determinismE0ELb1ELb1ES3_N6thrust23THRUST_200600_302600_NS6detail15normal_iteratorINS9_10device_ptrIsEEEESE_s11max_functorIsEsEEDaPvRmT3_T4_T5_mT6_P12ihipStream_tbENKUlT_T0_E_clISt17integral_constantIbLb1EESU_EEDaSP_SQ_EUlSP_E_NS1_11comp_targetILNS1_3genE2ELNS1_11target_archE906ELNS1_3gpuE6ELNS1_3repE0EEENS1_30default_config_static_selectorELNS0_4arch9wavefront6targetE1EEEvT1_, .Lfunc_end2940-_ZN7rocprim17ROCPRIM_400000_NS6detail17trampoline_kernelINS0_14default_configENS1_20scan_config_selectorIsEEZZNS1_9scan_implILNS1_25lookback_scan_determinismE0ELb1ELb1ES3_N6thrust23THRUST_200600_302600_NS6detail15normal_iteratorINS9_10device_ptrIsEEEESE_s11max_functorIsEsEEDaPvRmT3_T4_T5_mT6_P12ihipStream_tbENKUlT_T0_E_clISt17integral_constantIbLb1EESU_EEDaSP_SQ_EUlSP_E_NS1_11comp_targetILNS1_3genE2ELNS1_11target_archE906ELNS1_3gpuE6ELNS1_3repE0EEENS1_30default_config_static_selectorELNS0_4arch9wavefront6targetE1EEEvT1_
                                        ; -- End function
	.section	.AMDGPU.csdata,"",@progbits
; Kernel info:
; codeLenInByte = 0
; NumSgprs: 4
; NumVgprs: 0
; NumAgprs: 0
; TotalNumVgprs: 0
; ScratchSize: 0
; MemoryBound: 0
; FloatMode: 240
; IeeeMode: 1
; LDSByteSize: 0 bytes/workgroup (compile time only)
; SGPRBlocks: 0
; VGPRBlocks: 0
; NumSGPRsForWavesPerEU: 4
; NumVGPRsForWavesPerEU: 1
; AccumOffset: 4
; Occupancy: 8
; WaveLimiterHint : 0
; COMPUTE_PGM_RSRC2:SCRATCH_EN: 0
; COMPUTE_PGM_RSRC2:USER_SGPR: 6
; COMPUTE_PGM_RSRC2:TRAP_HANDLER: 0
; COMPUTE_PGM_RSRC2:TGID_X_EN: 1
; COMPUTE_PGM_RSRC2:TGID_Y_EN: 0
; COMPUTE_PGM_RSRC2:TGID_Z_EN: 0
; COMPUTE_PGM_RSRC2:TIDIG_COMP_CNT: 0
; COMPUTE_PGM_RSRC3_GFX90A:ACCUM_OFFSET: 0
; COMPUTE_PGM_RSRC3_GFX90A:TG_SPLIT: 0
	.section	.text._ZN7rocprim17ROCPRIM_400000_NS6detail17trampoline_kernelINS0_14default_configENS1_20scan_config_selectorIsEEZZNS1_9scan_implILNS1_25lookback_scan_determinismE0ELb1ELb1ES3_N6thrust23THRUST_200600_302600_NS6detail15normal_iteratorINS9_10device_ptrIsEEEESE_s11max_functorIsEsEEDaPvRmT3_T4_T5_mT6_P12ihipStream_tbENKUlT_T0_E_clISt17integral_constantIbLb1EESU_EEDaSP_SQ_EUlSP_E_NS1_11comp_targetILNS1_3genE10ELNS1_11target_archE1201ELNS1_3gpuE5ELNS1_3repE0EEENS1_30default_config_static_selectorELNS0_4arch9wavefront6targetE1EEEvT1_,"axG",@progbits,_ZN7rocprim17ROCPRIM_400000_NS6detail17trampoline_kernelINS0_14default_configENS1_20scan_config_selectorIsEEZZNS1_9scan_implILNS1_25lookback_scan_determinismE0ELb1ELb1ES3_N6thrust23THRUST_200600_302600_NS6detail15normal_iteratorINS9_10device_ptrIsEEEESE_s11max_functorIsEsEEDaPvRmT3_T4_T5_mT6_P12ihipStream_tbENKUlT_T0_E_clISt17integral_constantIbLb1EESU_EEDaSP_SQ_EUlSP_E_NS1_11comp_targetILNS1_3genE10ELNS1_11target_archE1201ELNS1_3gpuE5ELNS1_3repE0EEENS1_30default_config_static_selectorELNS0_4arch9wavefront6targetE1EEEvT1_,comdat
	.protected	_ZN7rocprim17ROCPRIM_400000_NS6detail17trampoline_kernelINS0_14default_configENS1_20scan_config_selectorIsEEZZNS1_9scan_implILNS1_25lookback_scan_determinismE0ELb1ELb1ES3_N6thrust23THRUST_200600_302600_NS6detail15normal_iteratorINS9_10device_ptrIsEEEESE_s11max_functorIsEsEEDaPvRmT3_T4_T5_mT6_P12ihipStream_tbENKUlT_T0_E_clISt17integral_constantIbLb1EESU_EEDaSP_SQ_EUlSP_E_NS1_11comp_targetILNS1_3genE10ELNS1_11target_archE1201ELNS1_3gpuE5ELNS1_3repE0EEENS1_30default_config_static_selectorELNS0_4arch9wavefront6targetE1EEEvT1_ ; -- Begin function _ZN7rocprim17ROCPRIM_400000_NS6detail17trampoline_kernelINS0_14default_configENS1_20scan_config_selectorIsEEZZNS1_9scan_implILNS1_25lookback_scan_determinismE0ELb1ELb1ES3_N6thrust23THRUST_200600_302600_NS6detail15normal_iteratorINS9_10device_ptrIsEEEESE_s11max_functorIsEsEEDaPvRmT3_T4_T5_mT6_P12ihipStream_tbENKUlT_T0_E_clISt17integral_constantIbLb1EESU_EEDaSP_SQ_EUlSP_E_NS1_11comp_targetILNS1_3genE10ELNS1_11target_archE1201ELNS1_3gpuE5ELNS1_3repE0EEENS1_30default_config_static_selectorELNS0_4arch9wavefront6targetE1EEEvT1_
	.globl	_ZN7rocprim17ROCPRIM_400000_NS6detail17trampoline_kernelINS0_14default_configENS1_20scan_config_selectorIsEEZZNS1_9scan_implILNS1_25lookback_scan_determinismE0ELb1ELb1ES3_N6thrust23THRUST_200600_302600_NS6detail15normal_iteratorINS9_10device_ptrIsEEEESE_s11max_functorIsEsEEDaPvRmT3_T4_T5_mT6_P12ihipStream_tbENKUlT_T0_E_clISt17integral_constantIbLb1EESU_EEDaSP_SQ_EUlSP_E_NS1_11comp_targetILNS1_3genE10ELNS1_11target_archE1201ELNS1_3gpuE5ELNS1_3repE0EEENS1_30default_config_static_selectorELNS0_4arch9wavefront6targetE1EEEvT1_
	.p2align	8
	.type	_ZN7rocprim17ROCPRIM_400000_NS6detail17trampoline_kernelINS0_14default_configENS1_20scan_config_selectorIsEEZZNS1_9scan_implILNS1_25lookback_scan_determinismE0ELb1ELb1ES3_N6thrust23THRUST_200600_302600_NS6detail15normal_iteratorINS9_10device_ptrIsEEEESE_s11max_functorIsEsEEDaPvRmT3_T4_T5_mT6_P12ihipStream_tbENKUlT_T0_E_clISt17integral_constantIbLb1EESU_EEDaSP_SQ_EUlSP_E_NS1_11comp_targetILNS1_3genE10ELNS1_11target_archE1201ELNS1_3gpuE5ELNS1_3repE0EEENS1_30default_config_static_selectorELNS0_4arch9wavefront6targetE1EEEvT1_,@function
_ZN7rocprim17ROCPRIM_400000_NS6detail17trampoline_kernelINS0_14default_configENS1_20scan_config_selectorIsEEZZNS1_9scan_implILNS1_25lookback_scan_determinismE0ELb1ELb1ES3_N6thrust23THRUST_200600_302600_NS6detail15normal_iteratorINS9_10device_ptrIsEEEESE_s11max_functorIsEsEEDaPvRmT3_T4_T5_mT6_P12ihipStream_tbENKUlT_T0_E_clISt17integral_constantIbLb1EESU_EEDaSP_SQ_EUlSP_E_NS1_11comp_targetILNS1_3genE10ELNS1_11target_archE1201ELNS1_3gpuE5ELNS1_3repE0EEENS1_30default_config_static_selectorELNS0_4arch9wavefront6targetE1EEEvT1_: ; @_ZN7rocprim17ROCPRIM_400000_NS6detail17trampoline_kernelINS0_14default_configENS1_20scan_config_selectorIsEEZZNS1_9scan_implILNS1_25lookback_scan_determinismE0ELb1ELb1ES3_N6thrust23THRUST_200600_302600_NS6detail15normal_iteratorINS9_10device_ptrIsEEEESE_s11max_functorIsEsEEDaPvRmT3_T4_T5_mT6_P12ihipStream_tbENKUlT_T0_E_clISt17integral_constantIbLb1EESU_EEDaSP_SQ_EUlSP_E_NS1_11comp_targetILNS1_3genE10ELNS1_11target_archE1201ELNS1_3gpuE5ELNS1_3repE0EEENS1_30default_config_static_selectorELNS0_4arch9wavefront6targetE1EEEvT1_
; %bb.0:
	.section	.rodata,"a",@progbits
	.p2align	6, 0x0
	.amdhsa_kernel _ZN7rocprim17ROCPRIM_400000_NS6detail17trampoline_kernelINS0_14default_configENS1_20scan_config_selectorIsEEZZNS1_9scan_implILNS1_25lookback_scan_determinismE0ELb1ELb1ES3_N6thrust23THRUST_200600_302600_NS6detail15normal_iteratorINS9_10device_ptrIsEEEESE_s11max_functorIsEsEEDaPvRmT3_T4_T5_mT6_P12ihipStream_tbENKUlT_T0_E_clISt17integral_constantIbLb1EESU_EEDaSP_SQ_EUlSP_E_NS1_11comp_targetILNS1_3genE10ELNS1_11target_archE1201ELNS1_3gpuE5ELNS1_3repE0EEENS1_30default_config_static_selectorELNS0_4arch9wavefront6targetE1EEEvT1_
		.amdhsa_group_segment_fixed_size 0
		.amdhsa_private_segment_fixed_size 0
		.amdhsa_kernarg_size 96
		.amdhsa_user_sgpr_count 6
		.amdhsa_user_sgpr_private_segment_buffer 1
		.amdhsa_user_sgpr_dispatch_ptr 0
		.amdhsa_user_sgpr_queue_ptr 0
		.amdhsa_user_sgpr_kernarg_segment_ptr 1
		.amdhsa_user_sgpr_dispatch_id 0
		.amdhsa_user_sgpr_flat_scratch_init 0
		.amdhsa_user_sgpr_kernarg_preload_length 0
		.amdhsa_user_sgpr_kernarg_preload_offset 0
		.amdhsa_user_sgpr_private_segment_size 0
		.amdhsa_uses_dynamic_stack 0
		.amdhsa_system_sgpr_private_segment_wavefront_offset 0
		.amdhsa_system_sgpr_workgroup_id_x 1
		.amdhsa_system_sgpr_workgroup_id_y 0
		.amdhsa_system_sgpr_workgroup_id_z 0
		.amdhsa_system_sgpr_workgroup_info 0
		.amdhsa_system_vgpr_workitem_id 0
		.amdhsa_next_free_vgpr 1
		.amdhsa_next_free_sgpr 0
		.amdhsa_accum_offset 4
		.amdhsa_reserve_vcc 0
		.amdhsa_reserve_flat_scratch 0
		.amdhsa_float_round_mode_32 0
		.amdhsa_float_round_mode_16_64 0
		.amdhsa_float_denorm_mode_32 3
		.amdhsa_float_denorm_mode_16_64 3
		.amdhsa_dx10_clamp 1
		.amdhsa_ieee_mode 1
		.amdhsa_fp16_overflow 0
		.amdhsa_tg_split 0
		.amdhsa_exception_fp_ieee_invalid_op 0
		.amdhsa_exception_fp_denorm_src 0
		.amdhsa_exception_fp_ieee_div_zero 0
		.amdhsa_exception_fp_ieee_overflow 0
		.amdhsa_exception_fp_ieee_underflow 0
		.amdhsa_exception_fp_ieee_inexact 0
		.amdhsa_exception_int_div_zero 0
	.end_amdhsa_kernel
	.section	.text._ZN7rocprim17ROCPRIM_400000_NS6detail17trampoline_kernelINS0_14default_configENS1_20scan_config_selectorIsEEZZNS1_9scan_implILNS1_25lookback_scan_determinismE0ELb1ELb1ES3_N6thrust23THRUST_200600_302600_NS6detail15normal_iteratorINS9_10device_ptrIsEEEESE_s11max_functorIsEsEEDaPvRmT3_T4_T5_mT6_P12ihipStream_tbENKUlT_T0_E_clISt17integral_constantIbLb1EESU_EEDaSP_SQ_EUlSP_E_NS1_11comp_targetILNS1_3genE10ELNS1_11target_archE1201ELNS1_3gpuE5ELNS1_3repE0EEENS1_30default_config_static_selectorELNS0_4arch9wavefront6targetE1EEEvT1_,"axG",@progbits,_ZN7rocprim17ROCPRIM_400000_NS6detail17trampoline_kernelINS0_14default_configENS1_20scan_config_selectorIsEEZZNS1_9scan_implILNS1_25lookback_scan_determinismE0ELb1ELb1ES3_N6thrust23THRUST_200600_302600_NS6detail15normal_iteratorINS9_10device_ptrIsEEEESE_s11max_functorIsEsEEDaPvRmT3_T4_T5_mT6_P12ihipStream_tbENKUlT_T0_E_clISt17integral_constantIbLb1EESU_EEDaSP_SQ_EUlSP_E_NS1_11comp_targetILNS1_3genE10ELNS1_11target_archE1201ELNS1_3gpuE5ELNS1_3repE0EEENS1_30default_config_static_selectorELNS0_4arch9wavefront6targetE1EEEvT1_,comdat
.Lfunc_end2941:
	.size	_ZN7rocprim17ROCPRIM_400000_NS6detail17trampoline_kernelINS0_14default_configENS1_20scan_config_selectorIsEEZZNS1_9scan_implILNS1_25lookback_scan_determinismE0ELb1ELb1ES3_N6thrust23THRUST_200600_302600_NS6detail15normal_iteratorINS9_10device_ptrIsEEEESE_s11max_functorIsEsEEDaPvRmT3_T4_T5_mT6_P12ihipStream_tbENKUlT_T0_E_clISt17integral_constantIbLb1EESU_EEDaSP_SQ_EUlSP_E_NS1_11comp_targetILNS1_3genE10ELNS1_11target_archE1201ELNS1_3gpuE5ELNS1_3repE0EEENS1_30default_config_static_selectorELNS0_4arch9wavefront6targetE1EEEvT1_, .Lfunc_end2941-_ZN7rocprim17ROCPRIM_400000_NS6detail17trampoline_kernelINS0_14default_configENS1_20scan_config_selectorIsEEZZNS1_9scan_implILNS1_25lookback_scan_determinismE0ELb1ELb1ES3_N6thrust23THRUST_200600_302600_NS6detail15normal_iteratorINS9_10device_ptrIsEEEESE_s11max_functorIsEsEEDaPvRmT3_T4_T5_mT6_P12ihipStream_tbENKUlT_T0_E_clISt17integral_constantIbLb1EESU_EEDaSP_SQ_EUlSP_E_NS1_11comp_targetILNS1_3genE10ELNS1_11target_archE1201ELNS1_3gpuE5ELNS1_3repE0EEENS1_30default_config_static_selectorELNS0_4arch9wavefront6targetE1EEEvT1_
                                        ; -- End function
	.section	.AMDGPU.csdata,"",@progbits
; Kernel info:
; codeLenInByte = 0
; NumSgprs: 4
; NumVgprs: 0
; NumAgprs: 0
; TotalNumVgprs: 0
; ScratchSize: 0
; MemoryBound: 0
; FloatMode: 240
; IeeeMode: 1
; LDSByteSize: 0 bytes/workgroup (compile time only)
; SGPRBlocks: 0
; VGPRBlocks: 0
; NumSGPRsForWavesPerEU: 4
; NumVGPRsForWavesPerEU: 1
; AccumOffset: 4
; Occupancy: 8
; WaveLimiterHint : 0
; COMPUTE_PGM_RSRC2:SCRATCH_EN: 0
; COMPUTE_PGM_RSRC2:USER_SGPR: 6
; COMPUTE_PGM_RSRC2:TRAP_HANDLER: 0
; COMPUTE_PGM_RSRC2:TGID_X_EN: 1
; COMPUTE_PGM_RSRC2:TGID_Y_EN: 0
; COMPUTE_PGM_RSRC2:TGID_Z_EN: 0
; COMPUTE_PGM_RSRC2:TIDIG_COMP_CNT: 0
; COMPUTE_PGM_RSRC3_GFX90A:ACCUM_OFFSET: 0
; COMPUTE_PGM_RSRC3_GFX90A:TG_SPLIT: 0
	.section	.text._ZN7rocprim17ROCPRIM_400000_NS6detail17trampoline_kernelINS0_14default_configENS1_20scan_config_selectorIsEEZZNS1_9scan_implILNS1_25lookback_scan_determinismE0ELb1ELb1ES3_N6thrust23THRUST_200600_302600_NS6detail15normal_iteratorINS9_10device_ptrIsEEEESE_s11max_functorIsEsEEDaPvRmT3_T4_T5_mT6_P12ihipStream_tbENKUlT_T0_E_clISt17integral_constantIbLb1EESU_EEDaSP_SQ_EUlSP_E_NS1_11comp_targetILNS1_3genE10ELNS1_11target_archE1200ELNS1_3gpuE4ELNS1_3repE0EEENS1_30default_config_static_selectorELNS0_4arch9wavefront6targetE1EEEvT1_,"axG",@progbits,_ZN7rocprim17ROCPRIM_400000_NS6detail17trampoline_kernelINS0_14default_configENS1_20scan_config_selectorIsEEZZNS1_9scan_implILNS1_25lookback_scan_determinismE0ELb1ELb1ES3_N6thrust23THRUST_200600_302600_NS6detail15normal_iteratorINS9_10device_ptrIsEEEESE_s11max_functorIsEsEEDaPvRmT3_T4_T5_mT6_P12ihipStream_tbENKUlT_T0_E_clISt17integral_constantIbLb1EESU_EEDaSP_SQ_EUlSP_E_NS1_11comp_targetILNS1_3genE10ELNS1_11target_archE1200ELNS1_3gpuE4ELNS1_3repE0EEENS1_30default_config_static_selectorELNS0_4arch9wavefront6targetE1EEEvT1_,comdat
	.protected	_ZN7rocprim17ROCPRIM_400000_NS6detail17trampoline_kernelINS0_14default_configENS1_20scan_config_selectorIsEEZZNS1_9scan_implILNS1_25lookback_scan_determinismE0ELb1ELb1ES3_N6thrust23THRUST_200600_302600_NS6detail15normal_iteratorINS9_10device_ptrIsEEEESE_s11max_functorIsEsEEDaPvRmT3_T4_T5_mT6_P12ihipStream_tbENKUlT_T0_E_clISt17integral_constantIbLb1EESU_EEDaSP_SQ_EUlSP_E_NS1_11comp_targetILNS1_3genE10ELNS1_11target_archE1200ELNS1_3gpuE4ELNS1_3repE0EEENS1_30default_config_static_selectorELNS0_4arch9wavefront6targetE1EEEvT1_ ; -- Begin function _ZN7rocprim17ROCPRIM_400000_NS6detail17trampoline_kernelINS0_14default_configENS1_20scan_config_selectorIsEEZZNS1_9scan_implILNS1_25lookback_scan_determinismE0ELb1ELb1ES3_N6thrust23THRUST_200600_302600_NS6detail15normal_iteratorINS9_10device_ptrIsEEEESE_s11max_functorIsEsEEDaPvRmT3_T4_T5_mT6_P12ihipStream_tbENKUlT_T0_E_clISt17integral_constantIbLb1EESU_EEDaSP_SQ_EUlSP_E_NS1_11comp_targetILNS1_3genE10ELNS1_11target_archE1200ELNS1_3gpuE4ELNS1_3repE0EEENS1_30default_config_static_selectorELNS0_4arch9wavefront6targetE1EEEvT1_
	.globl	_ZN7rocprim17ROCPRIM_400000_NS6detail17trampoline_kernelINS0_14default_configENS1_20scan_config_selectorIsEEZZNS1_9scan_implILNS1_25lookback_scan_determinismE0ELb1ELb1ES3_N6thrust23THRUST_200600_302600_NS6detail15normal_iteratorINS9_10device_ptrIsEEEESE_s11max_functorIsEsEEDaPvRmT3_T4_T5_mT6_P12ihipStream_tbENKUlT_T0_E_clISt17integral_constantIbLb1EESU_EEDaSP_SQ_EUlSP_E_NS1_11comp_targetILNS1_3genE10ELNS1_11target_archE1200ELNS1_3gpuE4ELNS1_3repE0EEENS1_30default_config_static_selectorELNS0_4arch9wavefront6targetE1EEEvT1_
	.p2align	8
	.type	_ZN7rocprim17ROCPRIM_400000_NS6detail17trampoline_kernelINS0_14default_configENS1_20scan_config_selectorIsEEZZNS1_9scan_implILNS1_25lookback_scan_determinismE0ELb1ELb1ES3_N6thrust23THRUST_200600_302600_NS6detail15normal_iteratorINS9_10device_ptrIsEEEESE_s11max_functorIsEsEEDaPvRmT3_T4_T5_mT6_P12ihipStream_tbENKUlT_T0_E_clISt17integral_constantIbLb1EESU_EEDaSP_SQ_EUlSP_E_NS1_11comp_targetILNS1_3genE10ELNS1_11target_archE1200ELNS1_3gpuE4ELNS1_3repE0EEENS1_30default_config_static_selectorELNS0_4arch9wavefront6targetE1EEEvT1_,@function
_ZN7rocprim17ROCPRIM_400000_NS6detail17trampoline_kernelINS0_14default_configENS1_20scan_config_selectorIsEEZZNS1_9scan_implILNS1_25lookback_scan_determinismE0ELb1ELb1ES3_N6thrust23THRUST_200600_302600_NS6detail15normal_iteratorINS9_10device_ptrIsEEEESE_s11max_functorIsEsEEDaPvRmT3_T4_T5_mT6_P12ihipStream_tbENKUlT_T0_E_clISt17integral_constantIbLb1EESU_EEDaSP_SQ_EUlSP_E_NS1_11comp_targetILNS1_3genE10ELNS1_11target_archE1200ELNS1_3gpuE4ELNS1_3repE0EEENS1_30default_config_static_selectorELNS0_4arch9wavefront6targetE1EEEvT1_: ; @_ZN7rocprim17ROCPRIM_400000_NS6detail17trampoline_kernelINS0_14default_configENS1_20scan_config_selectorIsEEZZNS1_9scan_implILNS1_25lookback_scan_determinismE0ELb1ELb1ES3_N6thrust23THRUST_200600_302600_NS6detail15normal_iteratorINS9_10device_ptrIsEEEESE_s11max_functorIsEsEEDaPvRmT3_T4_T5_mT6_P12ihipStream_tbENKUlT_T0_E_clISt17integral_constantIbLb1EESU_EEDaSP_SQ_EUlSP_E_NS1_11comp_targetILNS1_3genE10ELNS1_11target_archE1200ELNS1_3gpuE4ELNS1_3repE0EEENS1_30default_config_static_selectorELNS0_4arch9wavefront6targetE1EEEvT1_
; %bb.0:
	.section	.rodata,"a",@progbits
	.p2align	6, 0x0
	.amdhsa_kernel _ZN7rocprim17ROCPRIM_400000_NS6detail17trampoline_kernelINS0_14default_configENS1_20scan_config_selectorIsEEZZNS1_9scan_implILNS1_25lookback_scan_determinismE0ELb1ELb1ES3_N6thrust23THRUST_200600_302600_NS6detail15normal_iteratorINS9_10device_ptrIsEEEESE_s11max_functorIsEsEEDaPvRmT3_T4_T5_mT6_P12ihipStream_tbENKUlT_T0_E_clISt17integral_constantIbLb1EESU_EEDaSP_SQ_EUlSP_E_NS1_11comp_targetILNS1_3genE10ELNS1_11target_archE1200ELNS1_3gpuE4ELNS1_3repE0EEENS1_30default_config_static_selectorELNS0_4arch9wavefront6targetE1EEEvT1_
		.amdhsa_group_segment_fixed_size 0
		.amdhsa_private_segment_fixed_size 0
		.amdhsa_kernarg_size 96
		.amdhsa_user_sgpr_count 6
		.amdhsa_user_sgpr_private_segment_buffer 1
		.amdhsa_user_sgpr_dispatch_ptr 0
		.amdhsa_user_sgpr_queue_ptr 0
		.amdhsa_user_sgpr_kernarg_segment_ptr 1
		.amdhsa_user_sgpr_dispatch_id 0
		.amdhsa_user_sgpr_flat_scratch_init 0
		.amdhsa_user_sgpr_kernarg_preload_length 0
		.amdhsa_user_sgpr_kernarg_preload_offset 0
		.amdhsa_user_sgpr_private_segment_size 0
		.amdhsa_uses_dynamic_stack 0
		.amdhsa_system_sgpr_private_segment_wavefront_offset 0
		.amdhsa_system_sgpr_workgroup_id_x 1
		.amdhsa_system_sgpr_workgroup_id_y 0
		.amdhsa_system_sgpr_workgroup_id_z 0
		.amdhsa_system_sgpr_workgroup_info 0
		.amdhsa_system_vgpr_workitem_id 0
		.amdhsa_next_free_vgpr 1
		.amdhsa_next_free_sgpr 0
		.amdhsa_accum_offset 4
		.amdhsa_reserve_vcc 0
		.amdhsa_reserve_flat_scratch 0
		.amdhsa_float_round_mode_32 0
		.amdhsa_float_round_mode_16_64 0
		.amdhsa_float_denorm_mode_32 3
		.amdhsa_float_denorm_mode_16_64 3
		.amdhsa_dx10_clamp 1
		.amdhsa_ieee_mode 1
		.amdhsa_fp16_overflow 0
		.amdhsa_tg_split 0
		.amdhsa_exception_fp_ieee_invalid_op 0
		.amdhsa_exception_fp_denorm_src 0
		.amdhsa_exception_fp_ieee_div_zero 0
		.amdhsa_exception_fp_ieee_overflow 0
		.amdhsa_exception_fp_ieee_underflow 0
		.amdhsa_exception_fp_ieee_inexact 0
		.amdhsa_exception_int_div_zero 0
	.end_amdhsa_kernel
	.section	.text._ZN7rocprim17ROCPRIM_400000_NS6detail17trampoline_kernelINS0_14default_configENS1_20scan_config_selectorIsEEZZNS1_9scan_implILNS1_25lookback_scan_determinismE0ELb1ELb1ES3_N6thrust23THRUST_200600_302600_NS6detail15normal_iteratorINS9_10device_ptrIsEEEESE_s11max_functorIsEsEEDaPvRmT3_T4_T5_mT6_P12ihipStream_tbENKUlT_T0_E_clISt17integral_constantIbLb1EESU_EEDaSP_SQ_EUlSP_E_NS1_11comp_targetILNS1_3genE10ELNS1_11target_archE1200ELNS1_3gpuE4ELNS1_3repE0EEENS1_30default_config_static_selectorELNS0_4arch9wavefront6targetE1EEEvT1_,"axG",@progbits,_ZN7rocprim17ROCPRIM_400000_NS6detail17trampoline_kernelINS0_14default_configENS1_20scan_config_selectorIsEEZZNS1_9scan_implILNS1_25lookback_scan_determinismE0ELb1ELb1ES3_N6thrust23THRUST_200600_302600_NS6detail15normal_iteratorINS9_10device_ptrIsEEEESE_s11max_functorIsEsEEDaPvRmT3_T4_T5_mT6_P12ihipStream_tbENKUlT_T0_E_clISt17integral_constantIbLb1EESU_EEDaSP_SQ_EUlSP_E_NS1_11comp_targetILNS1_3genE10ELNS1_11target_archE1200ELNS1_3gpuE4ELNS1_3repE0EEENS1_30default_config_static_selectorELNS0_4arch9wavefront6targetE1EEEvT1_,comdat
.Lfunc_end2942:
	.size	_ZN7rocprim17ROCPRIM_400000_NS6detail17trampoline_kernelINS0_14default_configENS1_20scan_config_selectorIsEEZZNS1_9scan_implILNS1_25lookback_scan_determinismE0ELb1ELb1ES3_N6thrust23THRUST_200600_302600_NS6detail15normal_iteratorINS9_10device_ptrIsEEEESE_s11max_functorIsEsEEDaPvRmT3_T4_T5_mT6_P12ihipStream_tbENKUlT_T0_E_clISt17integral_constantIbLb1EESU_EEDaSP_SQ_EUlSP_E_NS1_11comp_targetILNS1_3genE10ELNS1_11target_archE1200ELNS1_3gpuE4ELNS1_3repE0EEENS1_30default_config_static_selectorELNS0_4arch9wavefront6targetE1EEEvT1_, .Lfunc_end2942-_ZN7rocprim17ROCPRIM_400000_NS6detail17trampoline_kernelINS0_14default_configENS1_20scan_config_selectorIsEEZZNS1_9scan_implILNS1_25lookback_scan_determinismE0ELb1ELb1ES3_N6thrust23THRUST_200600_302600_NS6detail15normal_iteratorINS9_10device_ptrIsEEEESE_s11max_functorIsEsEEDaPvRmT3_T4_T5_mT6_P12ihipStream_tbENKUlT_T0_E_clISt17integral_constantIbLb1EESU_EEDaSP_SQ_EUlSP_E_NS1_11comp_targetILNS1_3genE10ELNS1_11target_archE1200ELNS1_3gpuE4ELNS1_3repE0EEENS1_30default_config_static_selectorELNS0_4arch9wavefront6targetE1EEEvT1_
                                        ; -- End function
	.section	.AMDGPU.csdata,"",@progbits
; Kernel info:
; codeLenInByte = 0
; NumSgprs: 4
; NumVgprs: 0
; NumAgprs: 0
; TotalNumVgprs: 0
; ScratchSize: 0
; MemoryBound: 0
; FloatMode: 240
; IeeeMode: 1
; LDSByteSize: 0 bytes/workgroup (compile time only)
; SGPRBlocks: 0
; VGPRBlocks: 0
; NumSGPRsForWavesPerEU: 4
; NumVGPRsForWavesPerEU: 1
; AccumOffset: 4
; Occupancy: 8
; WaveLimiterHint : 0
; COMPUTE_PGM_RSRC2:SCRATCH_EN: 0
; COMPUTE_PGM_RSRC2:USER_SGPR: 6
; COMPUTE_PGM_RSRC2:TRAP_HANDLER: 0
; COMPUTE_PGM_RSRC2:TGID_X_EN: 1
; COMPUTE_PGM_RSRC2:TGID_Y_EN: 0
; COMPUTE_PGM_RSRC2:TGID_Z_EN: 0
; COMPUTE_PGM_RSRC2:TIDIG_COMP_CNT: 0
; COMPUTE_PGM_RSRC3_GFX90A:ACCUM_OFFSET: 0
; COMPUTE_PGM_RSRC3_GFX90A:TG_SPLIT: 0
	.section	.text._ZN7rocprim17ROCPRIM_400000_NS6detail17trampoline_kernelINS0_14default_configENS1_20scan_config_selectorIsEEZZNS1_9scan_implILNS1_25lookback_scan_determinismE0ELb1ELb1ES3_N6thrust23THRUST_200600_302600_NS6detail15normal_iteratorINS9_10device_ptrIsEEEESE_s11max_functorIsEsEEDaPvRmT3_T4_T5_mT6_P12ihipStream_tbENKUlT_T0_E_clISt17integral_constantIbLb1EESU_EEDaSP_SQ_EUlSP_E_NS1_11comp_targetILNS1_3genE9ELNS1_11target_archE1100ELNS1_3gpuE3ELNS1_3repE0EEENS1_30default_config_static_selectorELNS0_4arch9wavefront6targetE1EEEvT1_,"axG",@progbits,_ZN7rocprim17ROCPRIM_400000_NS6detail17trampoline_kernelINS0_14default_configENS1_20scan_config_selectorIsEEZZNS1_9scan_implILNS1_25lookback_scan_determinismE0ELb1ELb1ES3_N6thrust23THRUST_200600_302600_NS6detail15normal_iteratorINS9_10device_ptrIsEEEESE_s11max_functorIsEsEEDaPvRmT3_T4_T5_mT6_P12ihipStream_tbENKUlT_T0_E_clISt17integral_constantIbLb1EESU_EEDaSP_SQ_EUlSP_E_NS1_11comp_targetILNS1_3genE9ELNS1_11target_archE1100ELNS1_3gpuE3ELNS1_3repE0EEENS1_30default_config_static_selectorELNS0_4arch9wavefront6targetE1EEEvT1_,comdat
	.protected	_ZN7rocprim17ROCPRIM_400000_NS6detail17trampoline_kernelINS0_14default_configENS1_20scan_config_selectorIsEEZZNS1_9scan_implILNS1_25lookback_scan_determinismE0ELb1ELb1ES3_N6thrust23THRUST_200600_302600_NS6detail15normal_iteratorINS9_10device_ptrIsEEEESE_s11max_functorIsEsEEDaPvRmT3_T4_T5_mT6_P12ihipStream_tbENKUlT_T0_E_clISt17integral_constantIbLb1EESU_EEDaSP_SQ_EUlSP_E_NS1_11comp_targetILNS1_3genE9ELNS1_11target_archE1100ELNS1_3gpuE3ELNS1_3repE0EEENS1_30default_config_static_selectorELNS0_4arch9wavefront6targetE1EEEvT1_ ; -- Begin function _ZN7rocprim17ROCPRIM_400000_NS6detail17trampoline_kernelINS0_14default_configENS1_20scan_config_selectorIsEEZZNS1_9scan_implILNS1_25lookback_scan_determinismE0ELb1ELb1ES3_N6thrust23THRUST_200600_302600_NS6detail15normal_iteratorINS9_10device_ptrIsEEEESE_s11max_functorIsEsEEDaPvRmT3_T4_T5_mT6_P12ihipStream_tbENKUlT_T0_E_clISt17integral_constantIbLb1EESU_EEDaSP_SQ_EUlSP_E_NS1_11comp_targetILNS1_3genE9ELNS1_11target_archE1100ELNS1_3gpuE3ELNS1_3repE0EEENS1_30default_config_static_selectorELNS0_4arch9wavefront6targetE1EEEvT1_
	.globl	_ZN7rocprim17ROCPRIM_400000_NS6detail17trampoline_kernelINS0_14default_configENS1_20scan_config_selectorIsEEZZNS1_9scan_implILNS1_25lookback_scan_determinismE0ELb1ELb1ES3_N6thrust23THRUST_200600_302600_NS6detail15normal_iteratorINS9_10device_ptrIsEEEESE_s11max_functorIsEsEEDaPvRmT3_T4_T5_mT6_P12ihipStream_tbENKUlT_T0_E_clISt17integral_constantIbLb1EESU_EEDaSP_SQ_EUlSP_E_NS1_11comp_targetILNS1_3genE9ELNS1_11target_archE1100ELNS1_3gpuE3ELNS1_3repE0EEENS1_30default_config_static_selectorELNS0_4arch9wavefront6targetE1EEEvT1_
	.p2align	8
	.type	_ZN7rocprim17ROCPRIM_400000_NS6detail17trampoline_kernelINS0_14default_configENS1_20scan_config_selectorIsEEZZNS1_9scan_implILNS1_25lookback_scan_determinismE0ELb1ELb1ES3_N6thrust23THRUST_200600_302600_NS6detail15normal_iteratorINS9_10device_ptrIsEEEESE_s11max_functorIsEsEEDaPvRmT3_T4_T5_mT6_P12ihipStream_tbENKUlT_T0_E_clISt17integral_constantIbLb1EESU_EEDaSP_SQ_EUlSP_E_NS1_11comp_targetILNS1_3genE9ELNS1_11target_archE1100ELNS1_3gpuE3ELNS1_3repE0EEENS1_30default_config_static_selectorELNS0_4arch9wavefront6targetE1EEEvT1_,@function
_ZN7rocprim17ROCPRIM_400000_NS6detail17trampoline_kernelINS0_14default_configENS1_20scan_config_selectorIsEEZZNS1_9scan_implILNS1_25lookback_scan_determinismE0ELb1ELb1ES3_N6thrust23THRUST_200600_302600_NS6detail15normal_iteratorINS9_10device_ptrIsEEEESE_s11max_functorIsEsEEDaPvRmT3_T4_T5_mT6_P12ihipStream_tbENKUlT_T0_E_clISt17integral_constantIbLb1EESU_EEDaSP_SQ_EUlSP_E_NS1_11comp_targetILNS1_3genE9ELNS1_11target_archE1100ELNS1_3gpuE3ELNS1_3repE0EEENS1_30default_config_static_selectorELNS0_4arch9wavefront6targetE1EEEvT1_: ; @_ZN7rocprim17ROCPRIM_400000_NS6detail17trampoline_kernelINS0_14default_configENS1_20scan_config_selectorIsEEZZNS1_9scan_implILNS1_25lookback_scan_determinismE0ELb1ELb1ES3_N6thrust23THRUST_200600_302600_NS6detail15normal_iteratorINS9_10device_ptrIsEEEESE_s11max_functorIsEsEEDaPvRmT3_T4_T5_mT6_P12ihipStream_tbENKUlT_T0_E_clISt17integral_constantIbLb1EESU_EEDaSP_SQ_EUlSP_E_NS1_11comp_targetILNS1_3genE9ELNS1_11target_archE1100ELNS1_3gpuE3ELNS1_3repE0EEENS1_30default_config_static_selectorELNS0_4arch9wavefront6targetE1EEEvT1_
; %bb.0:
	.section	.rodata,"a",@progbits
	.p2align	6, 0x0
	.amdhsa_kernel _ZN7rocprim17ROCPRIM_400000_NS6detail17trampoline_kernelINS0_14default_configENS1_20scan_config_selectorIsEEZZNS1_9scan_implILNS1_25lookback_scan_determinismE0ELb1ELb1ES3_N6thrust23THRUST_200600_302600_NS6detail15normal_iteratorINS9_10device_ptrIsEEEESE_s11max_functorIsEsEEDaPvRmT3_T4_T5_mT6_P12ihipStream_tbENKUlT_T0_E_clISt17integral_constantIbLb1EESU_EEDaSP_SQ_EUlSP_E_NS1_11comp_targetILNS1_3genE9ELNS1_11target_archE1100ELNS1_3gpuE3ELNS1_3repE0EEENS1_30default_config_static_selectorELNS0_4arch9wavefront6targetE1EEEvT1_
		.amdhsa_group_segment_fixed_size 0
		.amdhsa_private_segment_fixed_size 0
		.amdhsa_kernarg_size 96
		.amdhsa_user_sgpr_count 6
		.amdhsa_user_sgpr_private_segment_buffer 1
		.amdhsa_user_sgpr_dispatch_ptr 0
		.amdhsa_user_sgpr_queue_ptr 0
		.amdhsa_user_sgpr_kernarg_segment_ptr 1
		.amdhsa_user_sgpr_dispatch_id 0
		.amdhsa_user_sgpr_flat_scratch_init 0
		.amdhsa_user_sgpr_kernarg_preload_length 0
		.amdhsa_user_sgpr_kernarg_preload_offset 0
		.amdhsa_user_sgpr_private_segment_size 0
		.amdhsa_uses_dynamic_stack 0
		.amdhsa_system_sgpr_private_segment_wavefront_offset 0
		.amdhsa_system_sgpr_workgroup_id_x 1
		.amdhsa_system_sgpr_workgroup_id_y 0
		.amdhsa_system_sgpr_workgroup_id_z 0
		.amdhsa_system_sgpr_workgroup_info 0
		.amdhsa_system_vgpr_workitem_id 0
		.amdhsa_next_free_vgpr 1
		.amdhsa_next_free_sgpr 0
		.amdhsa_accum_offset 4
		.amdhsa_reserve_vcc 0
		.amdhsa_reserve_flat_scratch 0
		.amdhsa_float_round_mode_32 0
		.amdhsa_float_round_mode_16_64 0
		.amdhsa_float_denorm_mode_32 3
		.amdhsa_float_denorm_mode_16_64 3
		.amdhsa_dx10_clamp 1
		.amdhsa_ieee_mode 1
		.amdhsa_fp16_overflow 0
		.amdhsa_tg_split 0
		.amdhsa_exception_fp_ieee_invalid_op 0
		.amdhsa_exception_fp_denorm_src 0
		.amdhsa_exception_fp_ieee_div_zero 0
		.amdhsa_exception_fp_ieee_overflow 0
		.amdhsa_exception_fp_ieee_underflow 0
		.amdhsa_exception_fp_ieee_inexact 0
		.amdhsa_exception_int_div_zero 0
	.end_amdhsa_kernel
	.section	.text._ZN7rocprim17ROCPRIM_400000_NS6detail17trampoline_kernelINS0_14default_configENS1_20scan_config_selectorIsEEZZNS1_9scan_implILNS1_25lookback_scan_determinismE0ELb1ELb1ES3_N6thrust23THRUST_200600_302600_NS6detail15normal_iteratorINS9_10device_ptrIsEEEESE_s11max_functorIsEsEEDaPvRmT3_T4_T5_mT6_P12ihipStream_tbENKUlT_T0_E_clISt17integral_constantIbLb1EESU_EEDaSP_SQ_EUlSP_E_NS1_11comp_targetILNS1_3genE9ELNS1_11target_archE1100ELNS1_3gpuE3ELNS1_3repE0EEENS1_30default_config_static_selectorELNS0_4arch9wavefront6targetE1EEEvT1_,"axG",@progbits,_ZN7rocprim17ROCPRIM_400000_NS6detail17trampoline_kernelINS0_14default_configENS1_20scan_config_selectorIsEEZZNS1_9scan_implILNS1_25lookback_scan_determinismE0ELb1ELb1ES3_N6thrust23THRUST_200600_302600_NS6detail15normal_iteratorINS9_10device_ptrIsEEEESE_s11max_functorIsEsEEDaPvRmT3_T4_T5_mT6_P12ihipStream_tbENKUlT_T0_E_clISt17integral_constantIbLb1EESU_EEDaSP_SQ_EUlSP_E_NS1_11comp_targetILNS1_3genE9ELNS1_11target_archE1100ELNS1_3gpuE3ELNS1_3repE0EEENS1_30default_config_static_selectorELNS0_4arch9wavefront6targetE1EEEvT1_,comdat
.Lfunc_end2943:
	.size	_ZN7rocprim17ROCPRIM_400000_NS6detail17trampoline_kernelINS0_14default_configENS1_20scan_config_selectorIsEEZZNS1_9scan_implILNS1_25lookback_scan_determinismE0ELb1ELb1ES3_N6thrust23THRUST_200600_302600_NS6detail15normal_iteratorINS9_10device_ptrIsEEEESE_s11max_functorIsEsEEDaPvRmT3_T4_T5_mT6_P12ihipStream_tbENKUlT_T0_E_clISt17integral_constantIbLb1EESU_EEDaSP_SQ_EUlSP_E_NS1_11comp_targetILNS1_3genE9ELNS1_11target_archE1100ELNS1_3gpuE3ELNS1_3repE0EEENS1_30default_config_static_selectorELNS0_4arch9wavefront6targetE1EEEvT1_, .Lfunc_end2943-_ZN7rocprim17ROCPRIM_400000_NS6detail17trampoline_kernelINS0_14default_configENS1_20scan_config_selectorIsEEZZNS1_9scan_implILNS1_25lookback_scan_determinismE0ELb1ELb1ES3_N6thrust23THRUST_200600_302600_NS6detail15normal_iteratorINS9_10device_ptrIsEEEESE_s11max_functorIsEsEEDaPvRmT3_T4_T5_mT6_P12ihipStream_tbENKUlT_T0_E_clISt17integral_constantIbLb1EESU_EEDaSP_SQ_EUlSP_E_NS1_11comp_targetILNS1_3genE9ELNS1_11target_archE1100ELNS1_3gpuE3ELNS1_3repE0EEENS1_30default_config_static_selectorELNS0_4arch9wavefront6targetE1EEEvT1_
                                        ; -- End function
	.section	.AMDGPU.csdata,"",@progbits
; Kernel info:
; codeLenInByte = 0
; NumSgprs: 4
; NumVgprs: 0
; NumAgprs: 0
; TotalNumVgprs: 0
; ScratchSize: 0
; MemoryBound: 0
; FloatMode: 240
; IeeeMode: 1
; LDSByteSize: 0 bytes/workgroup (compile time only)
; SGPRBlocks: 0
; VGPRBlocks: 0
; NumSGPRsForWavesPerEU: 4
; NumVGPRsForWavesPerEU: 1
; AccumOffset: 4
; Occupancy: 8
; WaveLimiterHint : 0
; COMPUTE_PGM_RSRC2:SCRATCH_EN: 0
; COMPUTE_PGM_RSRC2:USER_SGPR: 6
; COMPUTE_PGM_RSRC2:TRAP_HANDLER: 0
; COMPUTE_PGM_RSRC2:TGID_X_EN: 1
; COMPUTE_PGM_RSRC2:TGID_Y_EN: 0
; COMPUTE_PGM_RSRC2:TGID_Z_EN: 0
; COMPUTE_PGM_RSRC2:TIDIG_COMP_CNT: 0
; COMPUTE_PGM_RSRC3_GFX90A:ACCUM_OFFSET: 0
; COMPUTE_PGM_RSRC3_GFX90A:TG_SPLIT: 0
	.section	.text._ZN7rocprim17ROCPRIM_400000_NS6detail17trampoline_kernelINS0_14default_configENS1_20scan_config_selectorIsEEZZNS1_9scan_implILNS1_25lookback_scan_determinismE0ELb1ELb1ES3_N6thrust23THRUST_200600_302600_NS6detail15normal_iteratorINS9_10device_ptrIsEEEESE_s11max_functorIsEsEEDaPvRmT3_T4_T5_mT6_P12ihipStream_tbENKUlT_T0_E_clISt17integral_constantIbLb1EESU_EEDaSP_SQ_EUlSP_E_NS1_11comp_targetILNS1_3genE8ELNS1_11target_archE1030ELNS1_3gpuE2ELNS1_3repE0EEENS1_30default_config_static_selectorELNS0_4arch9wavefront6targetE1EEEvT1_,"axG",@progbits,_ZN7rocprim17ROCPRIM_400000_NS6detail17trampoline_kernelINS0_14default_configENS1_20scan_config_selectorIsEEZZNS1_9scan_implILNS1_25lookback_scan_determinismE0ELb1ELb1ES3_N6thrust23THRUST_200600_302600_NS6detail15normal_iteratorINS9_10device_ptrIsEEEESE_s11max_functorIsEsEEDaPvRmT3_T4_T5_mT6_P12ihipStream_tbENKUlT_T0_E_clISt17integral_constantIbLb1EESU_EEDaSP_SQ_EUlSP_E_NS1_11comp_targetILNS1_3genE8ELNS1_11target_archE1030ELNS1_3gpuE2ELNS1_3repE0EEENS1_30default_config_static_selectorELNS0_4arch9wavefront6targetE1EEEvT1_,comdat
	.protected	_ZN7rocprim17ROCPRIM_400000_NS6detail17trampoline_kernelINS0_14default_configENS1_20scan_config_selectorIsEEZZNS1_9scan_implILNS1_25lookback_scan_determinismE0ELb1ELb1ES3_N6thrust23THRUST_200600_302600_NS6detail15normal_iteratorINS9_10device_ptrIsEEEESE_s11max_functorIsEsEEDaPvRmT3_T4_T5_mT6_P12ihipStream_tbENKUlT_T0_E_clISt17integral_constantIbLb1EESU_EEDaSP_SQ_EUlSP_E_NS1_11comp_targetILNS1_3genE8ELNS1_11target_archE1030ELNS1_3gpuE2ELNS1_3repE0EEENS1_30default_config_static_selectorELNS0_4arch9wavefront6targetE1EEEvT1_ ; -- Begin function _ZN7rocprim17ROCPRIM_400000_NS6detail17trampoline_kernelINS0_14default_configENS1_20scan_config_selectorIsEEZZNS1_9scan_implILNS1_25lookback_scan_determinismE0ELb1ELb1ES3_N6thrust23THRUST_200600_302600_NS6detail15normal_iteratorINS9_10device_ptrIsEEEESE_s11max_functorIsEsEEDaPvRmT3_T4_T5_mT6_P12ihipStream_tbENKUlT_T0_E_clISt17integral_constantIbLb1EESU_EEDaSP_SQ_EUlSP_E_NS1_11comp_targetILNS1_3genE8ELNS1_11target_archE1030ELNS1_3gpuE2ELNS1_3repE0EEENS1_30default_config_static_selectorELNS0_4arch9wavefront6targetE1EEEvT1_
	.globl	_ZN7rocprim17ROCPRIM_400000_NS6detail17trampoline_kernelINS0_14default_configENS1_20scan_config_selectorIsEEZZNS1_9scan_implILNS1_25lookback_scan_determinismE0ELb1ELb1ES3_N6thrust23THRUST_200600_302600_NS6detail15normal_iteratorINS9_10device_ptrIsEEEESE_s11max_functorIsEsEEDaPvRmT3_T4_T5_mT6_P12ihipStream_tbENKUlT_T0_E_clISt17integral_constantIbLb1EESU_EEDaSP_SQ_EUlSP_E_NS1_11comp_targetILNS1_3genE8ELNS1_11target_archE1030ELNS1_3gpuE2ELNS1_3repE0EEENS1_30default_config_static_selectorELNS0_4arch9wavefront6targetE1EEEvT1_
	.p2align	8
	.type	_ZN7rocprim17ROCPRIM_400000_NS6detail17trampoline_kernelINS0_14default_configENS1_20scan_config_selectorIsEEZZNS1_9scan_implILNS1_25lookback_scan_determinismE0ELb1ELb1ES3_N6thrust23THRUST_200600_302600_NS6detail15normal_iteratorINS9_10device_ptrIsEEEESE_s11max_functorIsEsEEDaPvRmT3_T4_T5_mT6_P12ihipStream_tbENKUlT_T0_E_clISt17integral_constantIbLb1EESU_EEDaSP_SQ_EUlSP_E_NS1_11comp_targetILNS1_3genE8ELNS1_11target_archE1030ELNS1_3gpuE2ELNS1_3repE0EEENS1_30default_config_static_selectorELNS0_4arch9wavefront6targetE1EEEvT1_,@function
_ZN7rocprim17ROCPRIM_400000_NS6detail17trampoline_kernelINS0_14default_configENS1_20scan_config_selectorIsEEZZNS1_9scan_implILNS1_25lookback_scan_determinismE0ELb1ELb1ES3_N6thrust23THRUST_200600_302600_NS6detail15normal_iteratorINS9_10device_ptrIsEEEESE_s11max_functorIsEsEEDaPvRmT3_T4_T5_mT6_P12ihipStream_tbENKUlT_T0_E_clISt17integral_constantIbLb1EESU_EEDaSP_SQ_EUlSP_E_NS1_11comp_targetILNS1_3genE8ELNS1_11target_archE1030ELNS1_3gpuE2ELNS1_3repE0EEENS1_30default_config_static_selectorELNS0_4arch9wavefront6targetE1EEEvT1_: ; @_ZN7rocprim17ROCPRIM_400000_NS6detail17trampoline_kernelINS0_14default_configENS1_20scan_config_selectorIsEEZZNS1_9scan_implILNS1_25lookback_scan_determinismE0ELb1ELb1ES3_N6thrust23THRUST_200600_302600_NS6detail15normal_iteratorINS9_10device_ptrIsEEEESE_s11max_functorIsEsEEDaPvRmT3_T4_T5_mT6_P12ihipStream_tbENKUlT_T0_E_clISt17integral_constantIbLb1EESU_EEDaSP_SQ_EUlSP_E_NS1_11comp_targetILNS1_3genE8ELNS1_11target_archE1030ELNS1_3gpuE2ELNS1_3repE0EEENS1_30default_config_static_selectorELNS0_4arch9wavefront6targetE1EEEvT1_
; %bb.0:
	.section	.rodata,"a",@progbits
	.p2align	6, 0x0
	.amdhsa_kernel _ZN7rocprim17ROCPRIM_400000_NS6detail17trampoline_kernelINS0_14default_configENS1_20scan_config_selectorIsEEZZNS1_9scan_implILNS1_25lookback_scan_determinismE0ELb1ELb1ES3_N6thrust23THRUST_200600_302600_NS6detail15normal_iteratorINS9_10device_ptrIsEEEESE_s11max_functorIsEsEEDaPvRmT3_T4_T5_mT6_P12ihipStream_tbENKUlT_T0_E_clISt17integral_constantIbLb1EESU_EEDaSP_SQ_EUlSP_E_NS1_11comp_targetILNS1_3genE8ELNS1_11target_archE1030ELNS1_3gpuE2ELNS1_3repE0EEENS1_30default_config_static_selectorELNS0_4arch9wavefront6targetE1EEEvT1_
		.amdhsa_group_segment_fixed_size 0
		.amdhsa_private_segment_fixed_size 0
		.amdhsa_kernarg_size 96
		.amdhsa_user_sgpr_count 6
		.amdhsa_user_sgpr_private_segment_buffer 1
		.amdhsa_user_sgpr_dispatch_ptr 0
		.amdhsa_user_sgpr_queue_ptr 0
		.amdhsa_user_sgpr_kernarg_segment_ptr 1
		.amdhsa_user_sgpr_dispatch_id 0
		.amdhsa_user_sgpr_flat_scratch_init 0
		.amdhsa_user_sgpr_kernarg_preload_length 0
		.amdhsa_user_sgpr_kernarg_preload_offset 0
		.amdhsa_user_sgpr_private_segment_size 0
		.amdhsa_uses_dynamic_stack 0
		.amdhsa_system_sgpr_private_segment_wavefront_offset 0
		.amdhsa_system_sgpr_workgroup_id_x 1
		.amdhsa_system_sgpr_workgroup_id_y 0
		.amdhsa_system_sgpr_workgroup_id_z 0
		.amdhsa_system_sgpr_workgroup_info 0
		.amdhsa_system_vgpr_workitem_id 0
		.amdhsa_next_free_vgpr 1
		.amdhsa_next_free_sgpr 0
		.amdhsa_accum_offset 4
		.amdhsa_reserve_vcc 0
		.amdhsa_reserve_flat_scratch 0
		.amdhsa_float_round_mode_32 0
		.amdhsa_float_round_mode_16_64 0
		.amdhsa_float_denorm_mode_32 3
		.amdhsa_float_denorm_mode_16_64 3
		.amdhsa_dx10_clamp 1
		.amdhsa_ieee_mode 1
		.amdhsa_fp16_overflow 0
		.amdhsa_tg_split 0
		.amdhsa_exception_fp_ieee_invalid_op 0
		.amdhsa_exception_fp_denorm_src 0
		.amdhsa_exception_fp_ieee_div_zero 0
		.amdhsa_exception_fp_ieee_overflow 0
		.amdhsa_exception_fp_ieee_underflow 0
		.amdhsa_exception_fp_ieee_inexact 0
		.amdhsa_exception_int_div_zero 0
	.end_amdhsa_kernel
	.section	.text._ZN7rocprim17ROCPRIM_400000_NS6detail17trampoline_kernelINS0_14default_configENS1_20scan_config_selectorIsEEZZNS1_9scan_implILNS1_25lookback_scan_determinismE0ELb1ELb1ES3_N6thrust23THRUST_200600_302600_NS6detail15normal_iteratorINS9_10device_ptrIsEEEESE_s11max_functorIsEsEEDaPvRmT3_T4_T5_mT6_P12ihipStream_tbENKUlT_T0_E_clISt17integral_constantIbLb1EESU_EEDaSP_SQ_EUlSP_E_NS1_11comp_targetILNS1_3genE8ELNS1_11target_archE1030ELNS1_3gpuE2ELNS1_3repE0EEENS1_30default_config_static_selectorELNS0_4arch9wavefront6targetE1EEEvT1_,"axG",@progbits,_ZN7rocprim17ROCPRIM_400000_NS6detail17trampoline_kernelINS0_14default_configENS1_20scan_config_selectorIsEEZZNS1_9scan_implILNS1_25lookback_scan_determinismE0ELb1ELb1ES3_N6thrust23THRUST_200600_302600_NS6detail15normal_iteratorINS9_10device_ptrIsEEEESE_s11max_functorIsEsEEDaPvRmT3_T4_T5_mT6_P12ihipStream_tbENKUlT_T0_E_clISt17integral_constantIbLb1EESU_EEDaSP_SQ_EUlSP_E_NS1_11comp_targetILNS1_3genE8ELNS1_11target_archE1030ELNS1_3gpuE2ELNS1_3repE0EEENS1_30default_config_static_selectorELNS0_4arch9wavefront6targetE1EEEvT1_,comdat
.Lfunc_end2944:
	.size	_ZN7rocprim17ROCPRIM_400000_NS6detail17trampoline_kernelINS0_14default_configENS1_20scan_config_selectorIsEEZZNS1_9scan_implILNS1_25lookback_scan_determinismE0ELb1ELb1ES3_N6thrust23THRUST_200600_302600_NS6detail15normal_iteratorINS9_10device_ptrIsEEEESE_s11max_functorIsEsEEDaPvRmT3_T4_T5_mT6_P12ihipStream_tbENKUlT_T0_E_clISt17integral_constantIbLb1EESU_EEDaSP_SQ_EUlSP_E_NS1_11comp_targetILNS1_3genE8ELNS1_11target_archE1030ELNS1_3gpuE2ELNS1_3repE0EEENS1_30default_config_static_selectorELNS0_4arch9wavefront6targetE1EEEvT1_, .Lfunc_end2944-_ZN7rocprim17ROCPRIM_400000_NS6detail17trampoline_kernelINS0_14default_configENS1_20scan_config_selectorIsEEZZNS1_9scan_implILNS1_25lookback_scan_determinismE0ELb1ELb1ES3_N6thrust23THRUST_200600_302600_NS6detail15normal_iteratorINS9_10device_ptrIsEEEESE_s11max_functorIsEsEEDaPvRmT3_T4_T5_mT6_P12ihipStream_tbENKUlT_T0_E_clISt17integral_constantIbLb1EESU_EEDaSP_SQ_EUlSP_E_NS1_11comp_targetILNS1_3genE8ELNS1_11target_archE1030ELNS1_3gpuE2ELNS1_3repE0EEENS1_30default_config_static_selectorELNS0_4arch9wavefront6targetE1EEEvT1_
                                        ; -- End function
	.section	.AMDGPU.csdata,"",@progbits
; Kernel info:
; codeLenInByte = 0
; NumSgprs: 4
; NumVgprs: 0
; NumAgprs: 0
; TotalNumVgprs: 0
; ScratchSize: 0
; MemoryBound: 0
; FloatMode: 240
; IeeeMode: 1
; LDSByteSize: 0 bytes/workgroup (compile time only)
; SGPRBlocks: 0
; VGPRBlocks: 0
; NumSGPRsForWavesPerEU: 4
; NumVGPRsForWavesPerEU: 1
; AccumOffset: 4
; Occupancy: 8
; WaveLimiterHint : 0
; COMPUTE_PGM_RSRC2:SCRATCH_EN: 0
; COMPUTE_PGM_RSRC2:USER_SGPR: 6
; COMPUTE_PGM_RSRC2:TRAP_HANDLER: 0
; COMPUTE_PGM_RSRC2:TGID_X_EN: 1
; COMPUTE_PGM_RSRC2:TGID_Y_EN: 0
; COMPUTE_PGM_RSRC2:TGID_Z_EN: 0
; COMPUTE_PGM_RSRC2:TIDIG_COMP_CNT: 0
; COMPUTE_PGM_RSRC3_GFX90A:ACCUM_OFFSET: 0
; COMPUTE_PGM_RSRC3_GFX90A:TG_SPLIT: 0
	.section	.text._ZN7rocprim17ROCPRIM_400000_NS6detail17trampoline_kernelINS0_14default_configENS1_20scan_config_selectorIsEEZZNS1_9scan_implILNS1_25lookback_scan_determinismE0ELb1ELb1ES3_N6thrust23THRUST_200600_302600_NS6detail15normal_iteratorINS9_10device_ptrIsEEEESE_s11max_functorIsEsEEDaPvRmT3_T4_T5_mT6_P12ihipStream_tbENKUlT_T0_E_clISt17integral_constantIbLb1EESU_EEDaSP_SQ_EUlSP_E0_NS1_11comp_targetILNS1_3genE0ELNS1_11target_archE4294967295ELNS1_3gpuE0ELNS1_3repE0EEENS1_30default_config_static_selectorELNS0_4arch9wavefront6targetE1EEEvT1_,"axG",@progbits,_ZN7rocprim17ROCPRIM_400000_NS6detail17trampoline_kernelINS0_14default_configENS1_20scan_config_selectorIsEEZZNS1_9scan_implILNS1_25lookback_scan_determinismE0ELb1ELb1ES3_N6thrust23THRUST_200600_302600_NS6detail15normal_iteratorINS9_10device_ptrIsEEEESE_s11max_functorIsEsEEDaPvRmT3_T4_T5_mT6_P12ihipStream_tbENKUlT_T0_E_clISt17integral_constantIbLb1EESU_EEDaSP_SQ_EUlSP_E0_NS1_11comp_targetILNS1_3genE0ELNS1_11target_archE4294967295ELNS1_3gpuE0ELNS1_3repE0EEENS1_30default_config_static_selectorELNS0_4arch9wavefront6targetE1EEEvT1_,comdat
	.protected	_ZN7rocprim17ROCPRIM_400000_NS6detail17trampoline_kernelINS0_14default_configENS1_20scan_config_selectorIsEEZZNS1_9scan_implILNS1_25lookback_scan_determinismE0ELb1ELb1ES3_N6thrust23THRUST_200600_302600_NS6detail15normal_iteratorINS9_10device_ptrIsEEEESE_s11max_functorIsEsEEDaPvRmT3_T4_T5_mT6_P12ihipStream_tbENKUlT_T0_E_clISt17integral_constantIbLb1EESU_EEDaSP_SQ_EUlSP_E0_NS1_11comp_targetILNS1_3genE0ELNS1_11target_archE4294967295ELNS1_3gpuE0ELNS1_3repE0EEENS1_30default_config_static_selectorELNS0_4arch9wavefront6targetE1EEEvT1_ ; -- Begin function _ZN7rocprim17ROCPRIM_400000_NS6detail17trampoline_kernelINS0_14default_configENS1_20scan_config_selectorIsEEZZNS1_9scan_implILNS1_25lookback_scan_determinismE0ELb1ELb1ES3_N6thrust23THRUST_200600_302600_NS6detail15normal_iteratorINS9_10device_ptrIsEEEESE_s11max_functorIsEsEEDaPvRmT3_T4_T5_mT6_P12ihipStream_tbENKUlT_T0_E_clISt17integral_constantIbLb1EESU_EEDaSP_SQ_EUlSP_E0_NS1_11comp_targetILNS1_3genE0ELNS1_11target_archE4294967295ELNS1_3gpuE0ELNS1_3repE0EEENS1_30default_config_static_selectorELNS0_4arch9wavefront6targetE1EEEvT1_
	.globl	_ZN7rocprim17ROCPRIM_400000_NS6detail17trampoline_kernelINS0_14default_configENS1_20scan_config_selectorIsEEZZNS1_9scan_implILNS1_25lookback_scan_determinismE0ELb1ELb1ES3_N6thrust23THRUST_200600_302600_NS6detail15normal_iteratorINS9_10device_ptrIsEEEESE_s11max_functorIsEsEEDaPvRmT3_T4_T5_mT6_P12ihipStream_tbENKUlT_T0_E_clISt17integral_constantIbLb1EESU_EEDaSP_SQ_EUlSP_E0_NS1_11comp_targetILNS1_3genE0ELNS1_11target_archE4294967295ELNS1_3gpuE0ELNS1_3repE0EEENS1_30default_config_static_selectorELNS0_4arch9wavefront6targetE1EEEvT1_
	.p2align	8
	.type	_ZN7rocprim17ROCPRIM_400000_NS6detail17trampoline_kernelINS0_14default_configENS1_20scan_config_selectorIsEEZZNS1_9scan_implILNS1_25lookback_scan_determinismE0ELb1ELb1ES3_N6thrust23THRUST_200600_302600_NS6detail15normal_iteratorINS9_10device_ptrIsEEEESE_s11max_functorIsEsEEDaPvRmT3_T4_T5_mT6_P12ihipStream_tbENKUlT_T0_E_clISt17integral_constantIbLb1EESU_EEDaSP_SQ_EUlSP_E0_NS1_11comp_targetILNS1_3genE0ELNS1_11target_archE4294967295ELNS1_3gpuE0ELNS1_3repE0EEENS1_30default_config_static_selectorELNS0_4arch9wavefront6targetE1EEEvT1_,@function
_ZN7rocprim17ROCPRIM_400000_NS6detail17trampoline_kernelINS0_14default_configENS1_20scan_config_selectorIsEEZZNS1_9scan_implILNS1_25lookback_scan_determinismE0ELb1ELb1ES3_N6thrust23THRUST_200600_302600_NS6detail15normal_iteratorINS9_10device_ptrIsEEEESE_s11max_functorIsEsEEDaPvRmT3_T4_T5_mT6_P12ihipStream_tbENKUlT_T0_E_clISt17integral_constantIbLb1EESU_EEDaSP_SQ_EUlSP_E0_NS1_11comp_targetILNS1_3genE0ELNS1_11target_archE4294967295ELNS1_3gpuE0ELNS1_3repE0EEENS1_30default_config_static_selectorELNS0_4arch9wavefront6targetE1EEEvT1_: ; @_ZN7rocprim17ROCPRIM_400000_NS6detail17trampoline_kernelINS0_14default_configENS1_20scan_config_selectorIsEEZZNS1_9scan_implILNS1_25lookback_scan_determinismE0ELb1ELb1ES3_N6thrust23THRUST_200600_302600_NS6detail15normal_iteratorINS9_10device_ptrIsEEEESE_s11max_functorIsEsEEDaPvRmT3_T4_T5_mT6_P12ihipStream_tbENKUlT_T0_E_clISt17integral_constantIbLb1EESU_EEDaSP_SQ_EUlSP_E0_NS1_11comp_targetILNS1_3genE0ELNS1_11target_archE4294967295ELNS1_3gpuE0ELNS1_3repE0EEENS1_30default_config_static_selectorELNS0_4arch9wavefront6targetE1EEEvT1_
; %bb.0:
	.section	.rodata,"a",@progbits
	.p2align	6, 0x0
	.amdhsa_kernel _ZN7rocprim17ROCPRIM_400000_NS6detail17trampoline_kernelINS0_14default_configENS1_20scan_config_selectorIsEEZZNS1_9scan_implILNS1_25lookback_scan_determinismE0ELb1ELb1ES3_N6thrust23THRUST_200600_302600_NS6detail15normal_iteratorINS9_10device_ptrIsEEEESE_s11max_functorIsEsEEDaPvRmT3_T4_T5_mT6_P12ihipStream_tbENKUlT_T0_E_clISt17integral_constantIbLb1EESU_EEDaSP_SQ_EUlSP_E0_NS1_11comp_targetILNS1_3genE0ELNS1_11target_archE4294967295ELNS1_3gpuE0ELNS1_3repE0EEENS1_30default_config_static_selectorELNS0_4arch9wavefront6targetE1EEEvT1_
		.amdhsa_group_segment_fixed_size 0
		.amdhsa_private_segment_fixed_size 0
		.amdhsa_kernarg_size 32
		.amdhsa_user_sgpr_count 6
		.amdhsa_user_sgpr_private_segment_buffer 1
		.amdhsa_user_sgpr_dispatch_ptr 0
		.amdhsa_user_sgpr_queue_ptr 0
		.amdhsa_user_sgpr_kernarg_segment_ptr 1
		.amdhsa_user_sgpr_dispatch_id 0
		.amdhsa_user_sgpr_flat_scratch_init 0
		.amdhsa_user_sgpr_kernarg_preload_length 0
		.amdhsa_user_sgpr_kernarg_preload_offset 0
		.amdhsa_user_sgpr_private_segment_size 0
		.amdhsa_uses_dynamic_stack 0
		.amdhsa_system_sgpr_private_segment_wavefront_offset 0
		.amdhsa_system_sgpr_workgroup_id_x 1
		.amdhsa_system_sgpr_workgroup_id_y 0
		.amdhsa_system_sgpr_workgroup_id_z 0
		.amdhsa_system_sgpr_workgroup_info 0
		.amdhsa_system_vgpr_workitem_id 0
		.amdhsa_next_free_vgpr 1
		.amdhsa_next_free_sgpr 0
		.amdhsa_accum_offset 4
		.amdhsa_reserve_vcc 0
		.amdhsa_reserve_flat_scratch 0
		.amdhsa_float_round_mode_32 0
		.amdhsa_float_round_mode_16_64 0
		.amdhsa_float_denorm_mode_32 3
		.amdhsa_float_denorm_mode_16_64 3
		.amdhsa_dx10_clamp 1
		.amdhsa_ieee_mode 1
		.amdhsa_fp16_overflow 0
		.amdhsa_tg_split 0
		.amdhsa_exception_fp_ieee_invalid_op 0
		.amdhsa_exception_fp_denorm_src 0
		.amdhsa_exception_fp_ieee_div_zero 0
		.amdhsa_exception_fp_ieee_overflow 0
		.amdhsa_exception_fp_ieee_underflow 0
		.amdhsa_exception_fp_ieee_inexact 0
		.amdhsa_exception_int_div_zero 0
	.end_amdhsa_kernel
	.section	.text._ZN7rocprim17ROCPRIM_400000_NS6detail17trampoline_kernelINS0_14default_configENS1_20scan_config_selectorIsEEZZNS1_9scan_implILNS1_25lookback_scan_determinismE0ELb1ELb1ES3_N6thrust23THRUST_200600_302600_NS6detail15normal_iteratorINS9_10device_ptrIsEEEESE_s11max_functorIsEsEEDaPvRmT3_T4_T5_mT6_P12ihipStream_tbENKUlT_T0_E_clISt17integral_constantIbLb1EESU_EEDaSP_SQ_EUlSP_E0_NS1_11comp_targetILNS1_3genE0ELNS1_11target_archE4294967295ELNS1_3gpuE0ELNS1_3repE0EEENS1_30default_config_static_selectorELNS0_4arch9wavefront6targetE1EEEvT1_,"axG",@progbits,_ZN7rocprim17ROCPRIM_400000_NS6detail17trampoline_kernelINS0_14default_configENS1_20scan_config_selectorIsEEZZNS1_9scan_implILNS1_25lookback_scan_determinismE0ELb1ELb1ES3_N6thrust23THRUST_200600_302600_NS6detail15normal_iteratorINS9_10device_ptrIsEEEESE_s11max_functorIsEsEEDaPvRmT3_T4_T5_mT6_P12ihipStream_tbENKUlT_T0_E_clISt17integral_constantIbLb1EESU_EEDaSP_SQ_EUlSP_E0_NS1_11comp_targetILNS1_3genE0ELNS1_11target_archE4294967295ELNS1_3gpuE0ELNS1_3repE0EEENS1_30default_config_static_selectorELNS0_4arch9wavefront6targetE1EEEvT1_,comdat
.Lfunc_end2945:
	.size	_ZN7rocprim17ROCPRIM_400000_NS6detail17trampoline_kernelINS0_14default_configENS1_20scan_config_selectorIsEEZZNS1_9scan_implILNS1_25lookback_scan_determinismE0ELb1ELb1ES3_N6thrust23THRUST_200600_302600_NS6detail15normal_iteratorINS9_10device_ptrIsEEEESE_s11max_functorIsEsEEDaPvRmT3_T4_T5_mT6_P12ihipStream_tbENKUlT_T0_E_clISt17integral_constantIbLb1EESU_EEDaSP_SQ_EUlSP_E0_NS1_11comp_targetILNS1_3genE0ELNS1_11target_archE4294967295ELNS1_3gpuE0ELNS1_3repE0EEENS1_30default_config_static_selectorELNS0_4arch9wavefront6targetE1EEEvT1_, .Lfunc_end2945-_ZN7rocprim17ROCPRIM_400000_NS6detail17trampoline_kernelINS0_14default_configENS1_20scan_config_selectorIsEEZZNS1_9scan_implILNS1_25lookback_scan_determinismE0ELb1ELb1ES3_N6thrust23THRUST_200600_302600_NS6detail15normal_iteratorINS9_10device_ptrIsEEEESE_s11max_functorIsEsEEDaPvRmT3_T4_T5_mT6_P12ihipStream_tbENKUlT_T0_E_clISt17integral_constantIbLb1EESU_EEDaSP_SQ_EUlSP_E0_NS1_11comp_targetILNS1_3genE0ELNS1_11target_archE4294967295ELNS1_3gpuE0ELNS1_3repE0EEENS1_30default_config_static_selectorELNS0_4arch9wavefront6targetE1EEEvT1_
                                        ; -- End function
	.section	.AMDGPU.csdata,"",@progbits
; Kernel info:
; codeLenInByte = 0
; NumSgprs: 4
; NumVgprs: 0
; NumAgprs: 0
; TotalNumVgprs: 0
; ScratchSize: 0
; MemoryBound: 0
; FloatMode: 240
; IeeeMode: 1
; LDSByteSize: 0 bytes/workgroup (compile time only)
; SGPRBlocks: 0
; VGPRBlocks: 0
; NumSGPRsForWavesPerEU: 4
; NumVGPRsForWavesPerEU: 1
; AccumOffset: 4
; Occupancy: 8
; WaveLimiterHint : 0
; COMPUTE_PGM_RSRC2:SCRATCH_EN: 0
; COMPUTE_PGM_RSRC2:USER_SGPR: 6
; COMPUTE_PGM_RSRC2:TRAP_HANDLER: 0
; COMPUTE_PGM_RSRC2:TGID_X_EN: 1
; COMPUTE_PGM_RSRC2:TGID_Y_EN: 0
; COMPUTE_PGM_RSRC2:TGID_Z_EN: 0
; COMPUTE_PGM_RSRC2:TIDIG_COMP_CNT: 0
; COMPUTE_PGM_RSRC3_GFX90A:ACCUM_OFFSET: 0
; COMPUTE_PGM_RSRC3_GFX90A:TG_SPLIT: 0
	.section	.text._ZN7rocprim17ROCPRIM_400000_NS6detail17trampoline_kernelINS0_14default_configENS1_20scan_config_selectorIsEEZZNS1_9scan_implILNS1_25lookback_scan_determinismE0ELb1ELb1ES3_N6thrust23THRUST_200600_302600_NS6detail15normal_iteratorINS9_10device_ptrIsEEEESE_s11max_functorIsEsEEDaPvRmT3_T4_T5_mT6_P12ihipStream_tbENKUlT_T0_E_clISt17integral_constantIbLb1EESU_EEDaSP_SQ_EUlSP_E0_NS1_11comp_targetILNS1_3genE5ELNS1_11target_archE942ELNS1_3gpuE9ELNS1_3repE0EEENS1_30default_config_static_selectorELNS0_4arch9wavefront6targetE1EEEvT1_,"axG",@progbits,_ZN7rocprim17ROCPRIM_400000_NS6detail17trampoline_kernelINS0_14default_configENS1_20scan_config_selectorIsEEZZNS1_9scan_implILNS1_25lookback_scan_determinismE0ELb1ELb1ES3_N6thrust23THRUST_200600_302600_NS6detail15normal_iteratorINS9_10device_ptrIsEEEESE_s11max_functorIsEsEEDaPvRmT3_T4_T5_mT6_P12ihipStream_tbENKUlT_T0_E_clISt17integral_constantIbLb1EESU_EEDaSP_SQ_EUlSP_E0_NS1_11comp_targetILNS1_3genE5ELNS1_11target_archE942ELNS1_3gpuE9ELNS1_3repE0EEENS1_30default_config_static_selectorELNS0_4arch9wavefront6targetE1EEEvT1_,comdat
	.protected	_ZN7rocprim17ROCPRIM_400000_NS6detail17trampoline_kernelINS0_14default_configENS1_20scan_config_selectorIsEEZZNS1_9scan_implILNS1_25lookback_scan_determinismE0ELb1ELb1ES3_N6thrust23THRUST_200600_302600_NS6detail15normal_iteratorINS9_10device_ptrIsEEEESE_s11max_functorIsEsEEDaPvRmT3_T4_T5_mT6_P12ihipStream_tbENKUlT_T0_E_clISt17integral_constantIbLb1EESU_EEDaSP_SQ_EUlSP_E0_NS1_11comp_targetILNS1_3genE5ELNS1_11target_archE942ELNS1_3gpuE9ELNS1_3repE0EEENS1_30default_config_static_selectorELNS0_4arch9wavefront6targetE1EEEvT1_ ; -- Begin function _ZN7rocprim17ROCPRIM_400000_NS6detail17trampoline_kernelINS0_14default_configENS1_20scan_config_selectorIsEEZZNS1_9scan_implILNS1_25lookback_scan_determinismE0ELb1ELb1ES3_N6thrust23THRUST_200600_302600_NS6detail15normal_iteratorINS9_10device_ptrIsEEEESE_s11max_functorIsEsEEDaPvRmT3_T4_T5_mT6_P12ihipStream_tbENKUlT_T0_E_clISt17integral_constantIbLb1EESU_EEDaSP_SQ_EUlSP_E0_NS1_11comp_targetILNS1_3genE5ELNS1_11target_archE942ELNS1_3gpuE9ELNS1_3repE0EEENS1_30default_config_static_selectorELNS0_4arch9wavefront6targetE1EEEvT1_
	.globl	_ZN7rocprim17ROCPRIM_400000_NS6detail17trampoline_kernelINS0_14default_configENS1_20scan_config_selectorIsEEZZNS1_9scan_implILNS1_25lookback_scan_determinismE0ELb1ELb1ES3_N6thrust23THRUST_200600_302600_NS6detail15normal_iteratorINS9_10device_ptrIsEEEESE_s11max_functorIsEsEEDaPvRmT3_T4_T5_mT6_P12ihipStream_tbENKUlT_T0_E_clISt17integral_constantIbLb1EESU_EEDaSP_SQ_EUlSP_E0_NS1_11comp_targetILNS1_3genE5ELNS1_11target_archE942ELNS1_3gpuE9ELNS1_3repE0EEENS1_30default_config_static_selectorELNS0_4arch9wavefront6targetE1EEEvT1_
	.p2align	8
	.type	_ZN7rocprim17ROCPRIM_400000_NS6detail17trampoline_kernelINS0_14default_configENS1_20scan_config_selectorIsEEZZNS1_9scan_implILNS1_25lookback_scan_determinismE0ELb1ELb1ES3_N6thrust23THRUST_200600_302600_NS6detail15normal_iteratorINS9_10device_ptrIsEEEESE_s11max_functorIsEsEEDaPvRmT3_T4_T5_mT6_P12ihipStream_tbENKUlT_T0_E_clISt17integral_constantIbLb1EESU_EEDaSP_SQ_EUlSP_E0_NS1_11comp_targetILNS1_3genE5ELNS1_11target_archE942ELNS1_3gpuE9ELNS1_3repE0EEENS1_30default_config_static_selectorELNS0_4arch9wavefront6targetE1EEEvT1_,@function
_ZN7rocprim17ROCPRIM_400000_NS6detail17trampoline_kernelINS0_14default_configENS1_20scan_config_selectorIsEEZZNS1_9scan_implILNS1_25lookback_scan_determinismE0ELb1ELb1ES3_N6thrust23THRUST_200600_302600_NS6detail15normal_iteratorINS9_10device_ptrIsEEEESE_s11max_functorIsEsEEDaPvRmT3_T4_T5_mT6_P12ihipStream_tbENKUlT_T0_E_clISt17integral_constantIbLb1EESU_EEDaSP_SQ_EUlSP_E0_NS1_11comp_targetILNS1_3genE5ELNS1_11target_archE942ELNS1_3gpuE9ELNS1_3repE0EEENS1_30default_config_static_selectorELNS0_4arch9wavefront6targetE1EEEvT1_: ; @_ZN7rocprim17ROCPRIM_400000_NS6detail17trampoline_kernelINS0_14default_configENS1_20scan_config_selectorIsEEZZNS1_9scan_implILNS1_25lookback_scan_determinismE0ELb1ELb1ES3_N6thrust23THRUST_200600_302600_NS6detail15normal_iteratorINS9_10device_ptrIsEEEESE_s11max_functorIsEsEEDaPvRmT3_T4_T5_mT6_P12ihipStream_tbENKUlT_T0_E_clISt17integral_constantIbLb1EESU_EEDaSP_SQ_EUlSP_E0_NS1_11comp_targetILNS1_3genE5ELNS1_11target_archE942ELNS1_3gpuE9ELNS1_3repE0EEENS1_30default_config_static_selectorELNS0_4arch9wavefront6targetE1EEEvT1_
; %bb.0:
	.section	.rodata,"a",@progbits
	.p2align	6, 0x0
	.amdhsa_kernel _ZN7rocprim17ROCPRIM_400000_NS6detail17trampoline_kernelINS0_14default_configENS1_20scan_config_selectorIsEEZZNS1_9scan_implILNS1_25lookback_scan_determinismE0ELb1ELb1ES3_N6thrust23THRUST_200600_302600_NS6detail15normal_iteratorINS9_10device_ptrIsEEEESE_s11max_functorIsEsEEDaPvRmT3_T4_T5_mT6_P12ihipStream_tbENKUlT_T0_E_clISt17integral_constantIbLb1EESU_EEDaSP_SQ_EUlSP_E0_NS1_11comp_targetILNS1_3genE5ELNS1_11target_archE942ELNS1_3gpuE9ELNS1_3repE0EEENS1_30default_config_static_selectorELNS0_4arch9wavefront6targetE1EEEvT1_
		.amdhsa_group_segment_fixed_size 0
		.amdhsa_private_segment_fixed_size 0
		.amdhsa_kernarg_size 32
		.amdhsa_user_sgpr_count 6
		.amdhsa_user_sgpr_private_segment_buffer 1
		.amdhsa_user_sgpr_dispatch_ptr 0
		.amdhsa_user_sgpr_queue_ptr 0
		.amdhsa_user_sgpr_kernarg_segment_ptr 1
		.amdhsa_user_sgpr_dispatch_id 0
		.amdhsa_user_sgpr_flat_scratch_init 0
		.amdhsa_user_sgpr_kernarg_preload_length 0
		.amdhsa_user_sgpr_kernarg_preload_offset 0
		.amdhsa_user_sgpr_private_segment_size 0
		.amdhsa_uses_dynamic_stack 0
		.amdhsa_system_sgpr_private_segment_wavefront_offset 0
		.amdhsa_system_sgpr_workgroup_id_x 1
		.amdhsa_system_sgpr_workgroup_id_y 0
		.amdhsa_system_sgpr_workgroup_id_z 0
		.amdhsa_system_sgpr_workgroup_info 0
		.amdhsa_system_vgpr_workitem_id 0
		.amdhsa_next_free_vgpr 1
		.amdhsa_next_free_sgpr 0
		.amdhsa_accum_offset 4
		.amdhsa_reserve_vcc 0
		.amdhsa_reserve_flat_scratch 0
		.amdhsa_float_round_mode_32 0
		.amdhsa_float_round_mode_16_64 0
		.amdhsa_float_denorm_mode_32 3
		.amdhsa_float_denorm_mode_16_64 3
		.amdhsa_dx10_clamp 1
		.amdhsa_ieee_mode 1
		.amdhsa_fp16_overflow 0
		.amdhsa_tg_split 0
		.amdhsa_exception_fp_ieee_invalid_op 0
		.amdhsa_exception_fp_denorm_src 0
		.amdhsa_exception_fp_ieee_div_zero 0
		.amdhsa_exception_fp_ieee_overflow 0
		.amdhsa_exception_fp_ieee_underflow 0
		.amdhsa_exception_fp_ieee_inexact 0
		.amdhsa_exception_int_div_zero 0
	.end_amdhsa_kernel
	.section	.text._ZN7rocprim17ROCPRIM_400000_NS6detail17trampoline_kernelINS0_14default_configENS1_20scan_config_selectorIsEEZZNS1_9scan_implILNS1_25lookback_scan_determinismE0ELb1ELb1ES3_N6thrust23THRUST_200600_302600_NS6detail15normal_iteratorINS9_10device_ptrIsEEEESE_s11max_functorIsEsEEDaPvRmT3_T4_T5_mT6_P12ihipStream_tbENKUlT_T0_E_clISt17integral_constantIbLb1EESU_EEDaSP_SQ_EUlSP_E0_NS1_11comp_targetILNS1_3genE5ELNS1_11target_archE942ELNS1_3gpuE9ELNS1_3repE0EEENS1_30default_config_static_selectorELNS0_4arch9wavefront6targetE1EEEvT1_,"axG",@progbits,_ZN7rocprim17ROCPRIM_400000_NS6detail17trampoline_kernelINS0_14default_configENS1_20scan_config_selectorIsEEZZNS1_9scan_implILNS1_25lookback_scan_determinismE0ELb1ELb1ES3_N6thrust23THRUST_200600_302600_NS6detail15normal_iteratorINS9_10device_ptrIsEEEESE_s11max_functorIsEsEEDaPvRmT3_T4_T5_mT6_P12ihipStream_tbENKUlT_T0_E_clISt17integral_constantIbLb1EESU_EEDaSP_SQ_EUlSP_E0_NS1_11comp_targetILNS1_3genE5ELNS1_11target_archE942ELNS1_3gpuE9ELNS1_3repE0EEENS1_30default_config_static_selectorELNS0_4arch9wavefront6targetE1EEEvT1_,comdat
.Lfunc_end2946:
	.size	_ZN7rocprim17ROCPRIM_400000_NS6detail17trampoline_kernelINS0_14default_configENS1_20scan_config_selectorIsEEZZNS1_9scan_implILNS1_25lookback_scan_determinismE0ELb1ELb1ES3_N6thrust23THRUST_200600_302600_NS6detail15normal_iteratorINS9_10device_ptrIsEEEESE_s11max_functorIsEsEEDaPvRmT3_T4_T5_mT6_P12ihipStream_tbENKUlT_T0_E_clISt17integral_constantIbLb1EESU_EEDaSP_SQ_EUlSP_E0_NS1_11comp_targetILNS1_3genE5ELNS1_11target_archE942ELNS1_3gpuE9ELNS1_3repE0EEENS1_30default_config_static_selectorELNS0_4arch9wavefront6targetE1EEEvT1_, .Lfunc_end2946-_ZN7rocprim17ROCPRIM_400000_NS6detail17trampoline_kernelINS0_14default_configENS1_20scan_config_selectorIsEEZZNS1_9scan_implILNS1_25lookback_scan_determinismE0ELb1ELb1ES3_N6thrust23THRUST_200600_302600_NS6detail15normal_iteratorINS9_10device_ptrIsEEEESE_s11max_functorIsEsEEDaPvRmT3_T4_T5_mT6_P12ihipStream_tbENKUlT_T0_E_clISt17integral_constantIbLb1EESU_EEDaSP_SQ_EUlSP_E0_NS1_11comp_targetILNS1_3genE5ELNS1_11target_archE942ELNS1_3gpuE9ELNS1_3repE0EEENS1_30default_config_static_selectorELNS0_4arch9wavefront6targetE1EEEvT1_
                                        ; -- End function
	.section	.AMDGPU.csdata,"",@progbits
; Kernel info:
; codeLenInByte = 0
; NumSgprs: 4
; NumVgprs: 0
; NumAgprs: 0
; TotalNumVgprs: 0
; ScratchSize: 0
; MemoryBound: 0
; FloatMode: 240
; IeeeMode: 1
; LDSByteSize: 0 bytes/workgroup (compile time only)
; SGPRBlocks: 0
; VGPRBlocks: 0
; NumSGPRsForWavesPerEU: 4
; NumVGPRsForWavesPerEU: 1
; AccumOffset: 4
; Occupancy: 8
; WaveLimiterHint : 0
; COMPUTE_PGM_RSRC2:SCRATCH_EN: 0
; COMPUTE_PGM_RSRC2:USER_SGPR: 6
; COMPUTE_PGM_RSRC2:TRAP_HANDLER: 0
; COMPUTE_PGM_RSRC2:TGID_X_EN: 1
; COMPUTE_PGM_RSRC2:TGID_Y_EN: 0
; COMPUTE_PGM_RSRC2:TGID_Z_EN: 0
; COMPUTE_PGM_RSRC2:TIDIG_COMP_CNT: 0
; COMPUTE_PGM_RSRC3_GFX90A:ACCUM_OFFSET: 0
; COMPUTE_PGM_RSRC3_GFX90A:TG_SPLIT: 0
	.section	.text._ZN7rocprim17ROCPRIM_400000_NS6detail17trampoline_kernelINS0_14default_configENS1_20scan_config_selectorIsEEZZNS1_9scan_implILNS1_25lookback_scan_determinismE0ELb1ELb1ES3_N6thrust23THRUST_200600_302600_NS6detail15normal_iteratorINS9_10device_ptrIsEEEESE_s11max_functorIsEsEEDaPvRmT3_T4_T5_mT6_P12ihipStream_tbENKUlT_T0_E_clISt17integral_constantIbLb1EESU_EEDaSP_SQ_EUlSP_E0_NS1_11comp_targetILNS1_3genE4ELNS1_11target_archE910ELNS1_3gpuE8ELNS1_3repE0EEENS1_30default_config_static_selectorELNS0_4arch9wavefront6targetE1EEEvT1_,"axG",@progbits,_ZN7rocprim17ROCPRIM_400000_NS6detail17trampoline_kernelINS0_14default_configENS1_20scan_config_selectorIsEEZZNS1_9scan_implILNS1_25lookback_scan_determinismE0ELb1ELb1ES3_N6thrust23THRUST_200600_302600_NS6detail15normal_iteratorINS9_10device_ptrIsEEEESE_s11max_functorIsEsEEDaPvRmT3_T4_T5_mT6_P12ihipStream_tbENKUlT_T0_E_clISt17integral_constantIbLb1EESU_EEDaSP_SQ_EUlSP_E0_NS1_11comp_targetILNS1_3genE4ELNS1_11target_archE910ELNS1_3gpuE8ELNS1_3repE0EEENS1_30default_config_static_selectorELNS0_4arch9wavefront6targetE1EEEvT1_,comdat
	.protected	_ZN7rocprim17ROCPRIM_400000_NS6detail17trampoline_kernelINS0_14default_configENS1_20scan_config_selectorIsEEZZNS1_9scan_implILNS1_25lookback_scan_determinismE0ELb1ELb1ES3_N6thrust23THRUST_200600_302600_NS6detail15normal_iteratorINS9_10device_ptrIsEEEESE_s11max_functorIsEsEEDaPvRmT3_T4_T5_mT6_P12ihipStream_tbENKUlT_T0_E_clISt17integral_constantIbLb1EESU_EEDaSP_SQ_EUlSP_E0_NS1_11comp_targetILNS1_3genE4ELNS1_11target_archE910ELNS1_3gpuE8ELNS1_3repE0EEENS1_30default_config_static_selectorELNS0_4arch9wavefront6targetE1EEEvT1_ ; -- Begin function _ZN7rocprim17ROCPRIM_400000_NS6detail17trampoline_kernelINS0_14default_configENS1_20scan_config_selectorIsEEZZNS1_9scan_implILNS1_25lookback_scan_determinismE0ELb1ELb1ES3_N6thrust23THRUST_200600_302600_NS6detail15normal_iteratorINS9_10device_ptrIsEEEESE_s11max_functorIsEsEEDaPvRmT3_T4_T5_mT6_P12ihipStream_tbENKUlT_T0_E_clISt17integral_constantIbLb1EESU_EEDaSP_SQ_EUlSP_E0_NS1_11comp_targetILNS1_3genE4ELNS1_11target_archE910ELNS1_3gpuE8ELNS1_3repE0EEENS1_30default_config_static_selectorELNS0_4arch9wavefront6targetE1EEEvT1_
	.globl	_ZN7rocprim17ROCPRIM_400000_NS6detail17trampoline_kernelINS0_14default_configENS1_20scan_config_selectorIsEEZZNS1_9scan_implILNS1_25lookback_scan_determinismE0ELb1ELb1ES3_N6thrust23THRUST_200600_302600_NS6detail15normal_iteratorINS9_10device_ptrIsEEEESE_s11max_functorIsEsEEDaPvRmT3_T4_T5_mT6_P12ihipStream_tbENKUlT_T0_E_clISt17integral_constantIbLb1EESU_EEDaSP_SQ_EUlSP_E0_NS1_11comp_targetILNS1_3genE4ELNS1_11target_archE910ELNS1_3gpuE8ELNS1_3repE0EEENS1_30default_config_static_selectorELNS0_4arch9wavefront6targetE1EEEvT1_
	.p2align	8
	.type	_ZN7rocprim17ROCPRIM_400000_NS6detail17trampoline_kernelINS0_14default_configENS1_20scan_config_selectorIsEEZZNS1_9scan_implILNS1_25lookback_scan_determinismE0ELb1ELb1ES3_N6thrust23THRUST_200600_302600_NS6detail15normal_iteratorINS9_10device_ptrIsEEEESE_s11max_functorIsEsEEDaPvRmT3_T4_T5_mT6_P12ihipStream_tbENKUlT_T0_E_clISt17integral_constantIbLb1EESU_EEDaSP_SQ_EUlSP_E0_NS1_11comp_targetILNS1_3genE4ELNS1_11target_archE910ELNS1_3gpuE8ELNS1_3repE0EEENS1_30default_config_static_selectorELNS0_4arch9wavefront6targetE1EEEvT1_,@function
_ZN7rocprim17ROCPRIM_400000_NS6detail17trampoline_kernelINS0_14default_configENS1_20scan_config_selectorIsEEZZNS1_9scan_implILNS1_25lookback_scan_determinismE0ELb1ELb1ES3_N6thrust23THRUST_200600_302600_NS6detail15normal_iteratorINS9_10device_ptrIsEEEESE_s11max_functorIsEsEEDaPvRmT3_T4_T5_mT6_P12ihipStream_tbENKUlT_T0_E_clISt17integral_constantIbLb1EESU_EEDaSP_SQ_EUlSP_E0_NS1_11comp_targetILNS1_3genE4ELNS1_11target_archE910ELNS1_3gpuE8ELNS1_3repE0EEENS1_30default_config_static_selectorELNS0_4arch9wavefront6targetE1EEEvT1_: ; @_ZN7rocprim17ROCPRIM_400000_NS6detail17trampoline_kernelINS0_14default_configENS1_20scan_config_selectorIsEEZZNS1_9scan_implILNS1_25lookback_scan_determinismE0ELb1ELb1ES3_N6thrust23THRUST_200600_302600_NS6detail15normal_iteratorINS9_10device_ptrIsEEEESE_s11max_functorIsEsEEDaPvRmT3_T4_T5_mT6_P12ihipStream_tbENKUlT_T0_E_clISt17integral_constantIbLb1EESU_EEDaSP_SQ_EUlSP_E0_NS1_11comp_targetILNS1_3genE4ELNS1_11target_archE910ELNS1_3gpuE8ELNS1_3repE0EEENS1_30default_config_static_selectorELNS0_4arch9wavefront6targetE1EEEvT1_
; %bb.0:
	s_load_dwordx4 s[52:55], s[4:5], 0x0
	v_mov_b32_e32 v1, 0
	v_lshlrev_b32_e32 v14, 1, v0
	s_waitcnt lgkmcnt(0)
	global_load_ushort v2, v1, s[52:53]
	v_cmp_gt_u32_e32 vcc, s54, v0
	s_waitcnt vmcnt(0)
	v_mov_b32_e32 v3, v2
	s_and_saveexec_b64 s[0:1], vcc
	s_cbranch_execz .LBB2947_2
; %bb.1:
	global_load_ushort v3, v14, s[52:53]
.LBB2947_2:
	s_or_b64 exec, exec, s[0:1]
	v_or_b32_e32 v1, 64, v0
	v_cmp_gt_u32_e64 s[0:1], s54, v1
	v_mov_b32_e32 v4, v2
	s_and_saveexec_b64 s[2:3], s[0:1]
	s_cbranch_execz .LBB2947_4
; %bb.3:
	global_load_ushort v4, v14, s[52:53] offset:128
.LBB2947_4:
	s_or_b64 exec, exec, s[2:3]
	v_or_b32_e32 v1, 0x80, v0
	v_cmp_gt_u32_e64 s[2:3], s54, v1
	v_mov_b32_e32 v5, v2
	s_and_saveexec_b64 s[6:7], s[2:3]
	s_cbranch_execz .LBB2947_6
; %bb.5:
	global_load_ushort v5, v14, s[52:53] offset:256
.LBB2947_6:
	;; [unrolled: 9-line block ×22, first 2 shown]
	s_or_b64 exec, exec, s[46:47]
	v_or_b32_e32 v1, 0x5c0, v0
	v_cmp_gt_u32_e64 s[46:47], s54, v1
	v_cmp_le_u32_e64 s[50:51], s54, v1
	s_and_saveexec_b64 s[54:55], s[50:51]
	s_xor_b64 s[50:51], exec, s[54:55]
; %bb.47:
	v_mov_b32_e32 v1, 0
; %bb.48:
	s_or_saveexec_b64 s[50:51], s[50:51]
	s_load_dword s33, s[4:5], 0x10
	s_load_dwordx2 s[54:55], s[4:5], 0x18
	s_xor_b64 exec, exec, s[50:51]
	s_cbranch_execz .LBB2947_50
; %bb.49:
	global_load_ushort v2, v14, s[52:53] offset:2944
	v_mov_b32_e32 v1, 0
.LBB2947_50:
	s_or_b64 exec, exec, s[50:51]
	s_waitcnt vmcnt(0)
	ds_write_b16 v14, v3
	ds_write_b16 v14, v4 offset:128
	ds_write_b16 v14, v5 offset:256
	ds_write_b16 v14, v6 offset:384
	ds_write_b16 v14, v7 offset:512
	ds_write_b16 v14, v8 offset:640
	ds_write_b16 v14, v9 offset:768
	ds_write_b16 v14, v10 offset:896
	ds_write_b16 v14, v11 offset:1024
	ds_write_b16 v14, v12 offset:1152
	ds_write_b16 v14, v13 offset:1280
	ds_write_b16 v14, v15 offset:1408
	ds_write_b16 v14, v16 offset:1536
	ds_write_b16 v14, v17 offset:1664
	ds_write_b16 v14, v18 offset:1792
	ds_write_b16 v14, v19 offset:1920
	ds_write_b16 v14, v20 offset:2048
	ds_write_b16 v14, v21 offset:2176
	ds_write_b16 v14, v22 offset:2304
	ds_write_b16 v14, v23 offset:2432
	ds_write_b16 v14, v24 offset:2560
	ds_write_b16 v14, v25 offset:2688
	ds_write_b16 v14, v26 offset:2816
	ds_write_b16 v14, v2 offset:2944
	v_mad_u32_u24 v15, v0, 46, v14
	s_waitcnt lgkmcnt(0)
	; wave barrier
	s_waitcnt lgkmcnt(0)
	ds_read_b128 v[10:13], v15
	ds_read_b128 v[6:9], v15 offset:16
	ds_read_b128 v[2:5], v15 offset:32
	s_waitcnt lgkmcnt(0)
	; wave barrier
	s_waitcnt lgkmcnt(0)
	v_lshrrev_b32_e32 v25, 16, v11
	v_max_i16_sdwa v27, v10, v10 dst_sel:DWORD dst_unused:UNUSED_PAD src0_sel:DWORD src1_sel:WORD_1
	v_lshrrev_b32_e32 v24, 16, v12
	v_max3_i16 v27, v27, v11, v25
	v_lshrrev_b32_e32 v23, 16, v13
	v_max3_i16 v27, v27, v12, v24
	;; [unrolled: 2-line block ×10, first 2 shown]
	v_max3_i16 v27, v27, v5, v26
	v_mbcnt_lo_u32_b32 v26, -1, 0
	v_mbcnt_hi_u32_b32 v26, -1, v26
	v_and_b32_e32 v29, 0xffff, v27
	v_and_b32_e32 v28, 15, v26
	v_cmp_eq_u32_e64 s[4:5], 0, v28
	v_mov_b32_dpp v29, v29 row_shr:1 row_mask:0xf bank_mask:0xf
	v_max_i16_e32 v29, v29, v27
	v_cndmask_b32_e64 v27, v29, v27, s[4:5]
	v_and_b32_e32 v29, 0xffff, v27
	v_cmp_lt_u32_e64 s[4:5], 1, v28
	s_nop 0
	v_mov_b32_dpp v29, v29 row_shr:2 row_mask:0xf bank_mask:0xf
	v_max_i16_e32 v29, v29, v27
	v_cndmask_b32_e64 v27, v27, v29, s[4:5]
	v_and_b32_e32 v29, 0xffff, v27
	v_cmp_lt_u32_e64 s[4:5], 3, v28
	s_nop 0
	;; [unrolled: 6-line block ×3, first 2 shown]
	v_mov_b32_dpp v29, v29 row_shr:8 row_mask:0xf bank_mask:0xf
	v_max_i16_e32 v29, v29, v27
	v_cndmask_b32_e64 v27, v27, v29, s[4:5]
	v_and_b32_e32 v28, 0xffff, v27
	v_and_b32_e32 v29, 16, v26
	v_cmp_eq_u32_e64 s[4:5], 0, v29
	v_mov_b32_dpp v28, v28 row_bcast:15 row_mask:0xf bank_mask:0xf
	v_max_i16_e32 v28, v28, v27
	v_cndmask_b32_e64 v27, v28, v27, s[4:5]
	v_and_b32_e32 v28, 0xffff, v27
	v_cmp_lt_u32_e64 s[4:5], 31, v26
	s_nop 0
	v_mov_b32_dpp v28, v28 row_bcast:31 row_mask:0xf bank_mask:0xf
	v_max_i16_e32 v28, v28, v27
	v_cndmask_b32_e64 v27, v27, v28, s[4:5]
	v_cmp_eq_u32_e64 s[4:5], 63, v0
	s_and_saveexec_b64 s[50:51], s[4:5]
	s_cbranch_execz .LBB2947_52
; %bb.51:
	v_mov_b32_e32 v28, 0
	ds_write_b16 v28, v27
.LBB2947_52:
	s_or_b64 exec, exec, s[50:51]
	v_add_u32_e32 v28, -1, v26
	v_and_b32_e32 v29, 64, v26
	v_cmp_lt_i32_e64 s[4:5], v28, v29
	v_cndmask_b32_e64 v28, v28, v26, s[4:5]
	v_max_i16_e32 v27, s33, v27
	v_lshlrev_b32_e32 v28, 2, v28
	ds_bpermute_b32 v27, v28, v27
	v_cmp_eq_u32_e64 s[4:5], 0, v26
	v_cmp_eq_u32_e64 s[50:51], 0, v0
	v_mov_b32_e32 v26, s33
	s_or_b64 s[4:5], s[50:51], s[4:5]
	s_waitcnt lgkmcnt(0)
	v_cndmask_b32_e64 v26, v27, v26, s[4:5]
	v_max_i16_e32 v27, v26, v10
	v_max_i16_sdwa v10, v27, v10 dst_sel:DWORD dst_unused:UNUSED_PAD src0_sel:DWORD src1_sel:WORD_1
	v_max_i16_e32 v11, v10, v11
	v_max_i16_e32 v25, v11, v25
	;; [unrolled: 1-line block ×20, first 2 shown]
	s_mov_b32 s4, 0x5040100
	v_max_i16_e32 v31, v16, v5
	v_perm_b32 v2, v27, v26, s4
	v_perm_b32 v3, v11, v10, s4
	;; [unrolled: 1-line block ×4, first 2 shown]
	s_waitcnt lgkmcnt(0)
	; wave barrier
	s_waitcnt lgkmcnt(0)
	s_waitcnt lgkmcnt(0)
	; wave barrier
	ds_write_b128 v15, v[2:5]
	v_perm_b32 v2, v6, v23, s4
	v_perm_b32 v3, v7, v22, s4
	;; [unrolled: 1-line block ×4, first 2 shown]
	ds_write_b128 v15, v[2:5] offset:16
	v_perm_b32 v2, v28, v19, s4
	v_perm_b32 v3, v29, v18, s4
	;; [unrolled: 1-line block ×4, first 2 shown]
	s_movk_i32 s4, 0xffd2
	ds_write_b128 v15, v[2:5] offset:32
	v_mad_i32_i24 v2, v0, s4, v15
	s_waitcnt lgkmcnt(0)
	; wave barrier
	s_waitcnt lgkmcnt(0)
	ds_read_u16 v25, v2 offset:128
	ds_read_u16 v24, v2 offset:256
	;; [unrolled: 1-line block ×23, first 2 shown]
	v_lshlrev_b64 v[0:1], 1, v[0:1]
	v_mov_b32_e32 v26, s55
	v_add_co_u32_e64 v0, s[4:5], s54, v0
	v_addc_co_u32_e64 v1, s[4:5], v26, v1, s[4:5]
	s_and_saveexec_b64 s[4:5], vcc
	s_cbranch_execnz .LBB2947_77
; %bb.53:
	s_or_b64 exec, exec, s[4:5]
	s_and_saveexec_b64 s[4:5], s[0:1]
	s_cbranch_execnz .LBB2947_78
.LBB2947_54:
	s_or_b64 exec, exec, s[4:5]
	s_and_saveexec_b64 s[0:1], s[2:3]
	s_cbranch_execnz .LBB2947_79
.LBB2947_55:
	s_or_b64 exec, exec, s[0:1]
	s_and_saveexec_b64 s[0:1], s[48:49]
	s_cbranch_execnz .LBB2947_80
.LBB2947_56:
	s_or_b64 exec, exec, s[0:1]
	s_and_saveexec_b64 s[0:1], s[6:7]
	s_cbranch_execnz .LBB2947_81
.LBB2947_57:
	s_or_b64 exec, exec, s[0:1]
	s_and_saveexec_b64 s[0:1], s[8:9]
	s_cbranch_execnz .LBB2947_82
.LBB2947_58:
	s_or_b64 exec, exec, s[0:1]
	s_and_saveexec_b64 s[0:1], s[10:11]
	s_cbranch_execnz .LBB2947_83
.LBB2947_59:
	s_or_b64 exec, exec, s[0:1]
	s_and_saveexec_b64 s[0:1], s[12:13]
	s_cbranch_execnz .LBB2947_84
.LBB2947_60:
	s_or_b64 exec, exec, s[0:1]
	s_and_saveexec_b64 s[0:1], s[14:15]
	s_cbranch_execnz .LBB2947_85
.LBB2947_61:
	s_or_b64 exec, exec, s[0:1]
	s_and_saveexec_b64 s[0:1], s[16:17]
	s_cbranch_execnz .LBB2947_86
.LBB2947_62:
	s_or_b64 exec, exec, s[0:1]
	s_and_saveexec_b64 s[0:1], s[18:19]
	s_cbranch_execnz .LBB2947_87
.LBB2947_63:
	s_or_b64 exec, exec, s[0:1]
	s_and_saveexec_b64 s[0:1], s[20:21]
	s_cbranch_execnz .LBB2947_88
.LBB2947_64:
	s_or_b64 exec, exec, s[0:1]
	s_and_saveexec_b64 s[0:1], s[22:23]
	s_cbranch_execnz .LBB2947_89
.LBB2947_65:
	s_or_b64 exec, exec, s[0:1]
	s_and_saveexec_b64 s[0:1], s[24:25]
	s_cbranch_execnz .LBB2947_90
.LBB2947_66:
	s_or_b64 exec, exec, s[0:1]
	s_and_saveexec_b64 s[0:1], s[26:27]
	s_cbranch_execnz .LBB2947_91
.LBB2947_67:
	s_or_b64 exec, exec, s[0:1]
	s_and_saveexec_b64 s[0:1], s[28:29]
	s_cbranch_execnz .LBB2947_92
.LBB2947_68:
	s_or_b64 exec, exec, s[0:1]
	s_and_saveexec_b64 s[0:1], s[30:31]
	s_cbranch_execnz .LBB2947_93
.LBB2947_69:
	s_or_b64 exec, exec, s[0:1]
	s_and_saveexec_b64 s[0:1], s[34:35]
	s_cbranch_execnz .LBB2947_94
.LBB2947_70:
	s_or_b64 exec, exec, s[0:1]
	s_and_saveexec_b64 s[0:1], s[36:37]
	s_cbranch_execnz .LBB2947_95
.LBB2947_71:
	s_or_b64 exec, exec, s[0:1]
	s_and_saveexec_b64 s[0:1], s[38:39]
	s_cbranch_execnz .LBB2947_96
.LBB2947_72:
	s_or_b64 exec, exec, s[0:1]
	s_and_saveexec_b64 s[0:1], s[40:41]
	s_cbranch_execnz .LBB2947_97
.LBB2947_73:
	s_or_b64 exec, exec, s[0:1]
	s_and_saveexec_b64 s[0:1], s[42:43]
	s_cbranch_execnz .LBB2947_98
.LBB2947_74:
	s_or_b64 exec, exec, s[0:1]
	s_and_saveexec_b64 s[0:1], s[44:45]
	s_cbranch_execnz .LBB2947_99
.LBB2947_75:
	s_or_b64 exec, exec, s[0:1]
	s_and_saveexec_b64 s[0:1], s[46:47]
	s_cbranch_execnz .LBB2947_100
.LBB2947_76:
	s_endpgm
.LBB2947_77:
	ds_read_u16 v14, v14
	s_waitcnt lgkmcnt(0)
	global_store_short v[0:1], v14, off
	s_or_b64 exec, exec, s[4:5]
	s_and_saveexec_b64 s[4:5], s[0:1]
	s_cbranch_execz .LBB2947_54
.LBB2947_78:
	s_waitcnt lgkmcnt(14)
	global_store_short v[0:1], v25, off offset:128
	s_or_b64 exec, exec, s[4:5]
	s_and_saveexec_b64 s[0:1], s[2:3]
	s_cbranch_execz .LBB2947_55
.LBB2947_79:
	s_waitcnt lgkmcnt(14)
	global_store_short v[0:1], v24, off offset:256
	s_or_b64 exec, exec, s[0:1]
	s_and_saveexec_b64 s[0:1], s[48:49]
	s_cbranch_execz .LBB2947_56
.LBB2947_80:
	s_waitcnt lgkmcnt(14)
	global_store_short v[0:1], v23, off offset:384
	s_or_b64 exec, exec, s[0:1]
	s_and_saveexec_b64 s[0:1], s[6:7]
	s_cbranch_execz .LBB2947_57
.LBB2947_81:
	s_waitcnt lgkmcnt(14)
	global_store_short v[0:1], v22, off offset:512
	s_or_b64 exec, exec, s[0:1]
	s_and_saveexec_b64 s[0:1], s[8:9]
	s_cbranch_execz .LBB2947_58
.LBB2947_82:
	s_waitcnt lgkmcnt(14)
	global_store_short v[0:1], v21, off offset:640
	s_or_b64 exec, exec, s[0:1]
	s_and_saveexec_b64 s[0:1], s[10:11]
	s_cbranch_execz .LBB2947_59
.LBB2947_83:
	s_waitcnt lgkmcnt(14)
	global_store_short v[0:1], v20, off offset:768
	s_or_b64 exec, exec, s[0:1]
	s_and_saveexec_b64 s[0:1], s[12:13]
	s_cbranch_execz .LBB2947_60
.LBB2947_84:
	s_waitcnt lgkmcnt(14)
	global_store_short v[0:1], v19, off offset:896
	s_or_b64 exec, exec, s[0:1]
	s_and_saveexec_b64 s[0:1], s[14:15]
	s_cbranch_execz .LBB2947_61
.LBB2947_85:
	s_waitcnt lgkmcnt(14)
	global_store_short v[0:1], v18, off offset:1024
	s_or_b64 exec, exec, s[0:1]
	s_and_saveexec_b64 s[0:1], s[16:17]
	s_cbranch_execz .LBB2947_62
.LBB2947_86:
	s_waitcnt lgkmcnt(14)
	global_store_short v[0:1], v17, off offset:1152
	s_or_b64 exec, exec, s[0:1]
	s_and_saveexec_b64 s[0:1], s[18:19]
	s_cbranch_execz .LBB2947_63
.LBB2947_87:
	s_waitcnt lgkmcnt(13)
	global_store_short v[0:1], v16, off offset:1280
	s_or_b64 exec, exec, s[0:1]
	s_and_saveexec_b64 s[0:1], s[20:21]
	s_cbranch_execz .LBB2947_64
.LBB2947_88:
	s_waitcnt lgkmcnt(12)
	global_store_short v[0:1], v15, off offset:1408
	s_or_b64 exec, exec, s[0:1]
	s_and_saveexec_b64 s[0:1], s[22:23]
	s_cbranch_execz .LBB2947_65
.LBB2947_89:
	s_waitcnt lgkmcnt(11)
	global_store_short v[0:1], v13, off offset:1536
	s_or_b64 exec, exec, s[0:1]
	s_and_saveexec_b64 s[0:1], s[24:25]
	s_cbranch_execz .LBB2947_66
.LBB2947_90:
	s_waitcnt lgkmcnt(10)
	global_store_short v[0:1], v12, off offset:1664
	s_or_b64 exec, exec, s[0:1]
	s_and_saveexec_b64 s[0:1], s[26:27]
	s_cbranch_execz .LBB2947_67
.LBB2947_91:
	s_waitcnt lgkmcnt(9)
	global_store_short v[0:1], v11, off offset:1792
	s_or_b64 exec, exec, s[0:1]
	s_and_saveexec_b64 s[0:1], s[28:29]
	s_cbranch_execz .LBB2947_68
.LBB2947_92:
	s_waitcnt lgkmcnt(8)
	global_store_short v[0:1], v10, off offset:1920
	s_or_b64 exec, exec, s[0:1]
	s_and_saveexec_b64 s[0:1], s[30:31]
	s_cbranch_execz .LBB2947_69
.LBB2947_93:
	s_waitcnt lgkmcnt(1)
	global_store_short v[0:1], v9, off offset:2048
	s_or_b64 exec, exec, s[0:1]
	s_and_saveexec_b64 s[0:1], s[34:35]
	s_cbranch_execz .LBB2947_70
.LBB2947_94:
	s_waitcnt lgkmcnt(7)
	global_store_short v[0:1], v8, off offset:2176
	s_or_b64 exec, exec, s[0:1]
	s_and_saveexec_b64 s[0:1], s[36:37]
	s_cbranch_execz .LBB2947_71
.LBB2947_95:
	s_waitcnt lgkmcnt(6)
	global_store_short v[0:1], v7, off offset:2304
	s_or_b64 exec, exec, s[0:1]
	s_and_saveexec_b64 s[0:1], s[38:39]
	s_cbranch_execz .LBB2947_72
.LBB2947_96:
	s_waitcnt lgkmcnt(5)
	global_store_short v[0:1], v6, off offset:2432
	s_or_b64 exec, exec, s[0:1]
	s_and_saveexec_b64 s[0:1], s[40:41]
	s_cbranch_execz .LBB2947_73
.LBB2947_97:
	s_waitcnt lgkmcnt(4)
	global_store_short v[0:1], v5, off offset:2560
	s_or_b64 exec, exec, s[0:1]
	s_and_saveexec_b64 s[0:1], s[42:43]
	s_cbranch_execz .LBB2947_74
.LBB2947_98:
	s_waitcnt lgkmcnt(3)
	global_store_short v[0:1], v4, off offset:2688
	s_or_b64 exec, exec, s[0:1]
	s_and_saveexec_b64 s[0:1], s[44:45]
	s_cbranch_execz .LBB2947_75
.LBB2947_99:
	s_waitcnt lgkmcnt(2)
	global_store_short v[0:1], v3, off offset:2816
	s_or_b64 exec, exec, s[0:1]
	s_and_saveexec_b64 s[0:1], s[46:47]
	s_cbranch_execz .LBB2947_76
.LBB2947_100:
	s_waitcnt lgkmcnt(0)
	global_store_short v[0:1], v2, off offset:2944
	s_endpgm
	.section	.rodata,"a",@progbits
	.p2align	6, 0x0
	.amdhsa_kernel _ZN7rocprim17ROCPRIM_400000_NS6detail17trampoline_kernelINS0_14default_configENS1_20scan_config_selectorIsEEZZNS1_9scan_implILNS1_25lookback_scan_determinismE0ELb1ELb1ES3_N6thrust23THRUST_200600_302600_NS6detail15normal_iteratorINS9_10device_ptrIsEEEESE_s11max_functorIsEsEEDaPvRmT3_T4_T5_mT6_P12ihipStream_tbENKUlT_T0_E_clISt17integral_constantIbLb1EESU_EEDaSP_SQ_EUlSP_E0_NS1_11comp_targetILNS1_3genE4ELNS1_11target_archE910ELNS1_3gpuE8ELNS1_3repE0EEENS1_30default_config_static_selectorELNS0_4arch9wavefront6targetE1EEEvT1_
		.amdhsa_group_segment_fixed_size 3072
		.amdhsa_private_segment_fixed_size 0
		.amdhsa_kernarg_size 32
		.amdhsa_user_sgpr_count 6
		.amdhsa_user_sgpr_private_segment_buffer 1
		.amdhsa_user_sgpr_dispatch_ptr 0
		.amdhsa_user_sgpr_queue_ptr 0
		.amdhsa_user_sgpr_kernarg_segment_ptr 1
		.amdhsa_user_sgpr_dispatch_id 0
		.amdhsa_user_sgpr_flat_scratch_init 0
		.amdhsa_user_sgpr_kernarg_preload_length 0
		.amdhsa_user_sgpr_kernarg_preload_offset 0
		.amdhsa_user_sgpr_private_segment_size 0
		.amdhsa_uses_dynamic_stack 0
		.amdhsa_system_sgpr_private_segment_wavefront_offset 0
		.amdhsa_system_sgpr_workgroup_id_x 1
		.amdhsa_system_sgpr_workgroup_id_y 0
		.amdhsa_system_sgpr_workgroup_id_z 0
		.amdhsa_system_sgpr_workgroup_info 0
		.amdhsa_system_vgpr_workitem_id 0
		.amdhsa_next_free_vgpr 32
		.amdhsa_next_free_sgpr 56
		.amdhsa_accum_offset 32
		.amdhsa_reserve_vcc 1
		.amdhsa_reserve_flat_scratch 0
		.amdhsa_float_round_mode_32 0
		.amdhsa_float_round_mode_16_64 0
		.amdhsa_float_denorm_mode_32 3
		.amdhsa_float_denorm_mode_16_64 3
		.amdhsa_dx10_clamp 1
		.amdhsa_ieee_mode 1
		.amdhsa_fp16_overflow 0
		.amdhsa_tg_split 0
		.amdhsa_exception_fp_ieee_invalid_op 0
		.amdhsa_exception_fp_denorm_src 0
		.amdhsa_exception_fp_ieee_div_zero 0
		.amdhsa_exception_fp_ieee_overflow 0
		.amdhsa_exception_fp_ieee_underflow 0
		.amdhsa_exception_fp_ieee_inexact 0
		.amdhsa_exception_int_div_zero 0
	.end_amdhsa_kernel
	.section	.text._ZN7rocprim17ROCPRIM_400000_NS6detail17trampoline_kernelINS0_14default_configENS1_20scan_config_selectorIsEEZZNS1_9scan_implILNS1_25lookback_scan_determinismE0ELb1ELb1ES3_N6thrust23THRUST_200600_302600_NS6detail15normal_iteratorINS9_10device_ptrIsEEEESE_s11max_functorIsEsEEDaPvRmT3_T4_T5_mT6_P12ihipStream_tbENKUlT_T0_E_clISt17integral_constantIbLb1EESU_EEDaSP_SQ_EUlSP_E0_NS1_11comp_targetILNS1_3genE4ELNS1_11target_archE910ELNS1_3gpuE8ELNS1_3repE0EEENS1_30default_config_static_selectorELNS0_4arch9wavefront6targetE1EEEvT1_,"axG",@progbits,_ZN7rocprim17ROCPRIM_400000_NS6detail17trampoline_kernelINS0_14default_configENS1_20scan_config_selectorIsEEZZNS1_9scan_implILNS1_25lookback_scan_determinismE0ELb1ELb1ES3_N6thrust23THRUST_200600_302600_NS6detail15normal_iteratorINS9_10device_ptrIsEEEESE_s11max_functorIsEsEEDaPvRmT3_T4_T5_mT6_P12ihipStream_tbENKUlT_T0_E_clISt17integral_constantIbLb1EESU_EEDaSP_SQ_EUlSP_E0_NS1_11comp_targetILNS1_3genE4ELNS1_11target_archE910ELNS1_3gpuE8ELNS1_3repE0EEENS1_30default_config_static_selectorELNS0_4arch9wavefront6targetE1EEEvT1_,comdat
.Lfunc_end2947:
	.size	_ZN7rocprim17ROCPRIM_400000_NS6detail17trampoline_kernelINS0_14default_configENS1_20scan_config_selectorIsEEZZNS1_9scan_implILNS1_25lookback_scan_determinismE0ELb1ELb1ES3_N6thrust23THRUST_200600_302600_NS6detail15normal_iteratorINS9_10device_ptrIsEEEESE_s11max_functorIsEsEEDaPvRmT3_T4_T5_mT6_P12ihipStream_tbENKUlT_T0_E_clISt17integral_constantIbLb1EESU_EEDaSP_SQ_EUlSP_E0_NS1_11comp_targetILNS1_3genE4ELNS1_11target_archE910ELNS1_3gpuE8ELNS1_3repE0EEENS1_30default_config_static_selectorELNS0_4arch9wavefront6targetE1EEEvT1_, .Lfunc_end2947-_ZN7rocprim17ROCPRIM_400000_NS6detail17trampoline_kernelINS0_14default_configENS1_20scan_config_selectorIsEEZZNS1_9scan_implILNS1_25lookback_scan_determinismE0ELb1ELb1ES3_N6thrust23THRUST_200600_302600_NS6detail15normal_iteratorINS9_10device_ptrIsEEEESE_s11max_functorIsEsEEDaPvRmT3_T4_T5_mT6_P12ihipStream_tbENKUlT_T0_E_clISt17integral_constantIbLb1EESU_EEDaSP_SQ_EUlSP_E0_NS1_11comp_targetILNS1_3genE4ELNS1_11target_archE910ELNS1_3gpuE8ELNS1_3repE0EEENS1_30default_config_static_selectorELNS0_4arch9wavefront6targetE1EEEvT1_
                                        ; -- End function
	.section	.AMDGPU.csdata,"",@progbits
; Kernel info:
; codeLenInByte = 3096
; NumSgprs: 60
; NumVgprs: 32
; NumAgprs: 0
; TotalNumVgprs: 32
; ScratchSize: 0
; MemoryBound: 0
; FloatMode: 240
; IeeeMode: 1
; LDSByteSize: 3072 bytes/workgroup (compile time only)
; SGPRBlocks: 7
; VGPRBlocks: 3
; NumSGPRsForWavesPerEU: 60
; NumVGPRsForWavesPerEU: 32
; AccumOffset: 32
; Occupancy: 6
; WaveLimiterHint : 0
; COMPUTE_PGM_RSRC2:SCRATCH_EN: 0
; COMPUTE_PGM_RSRC2:USER_SGPR: 6
; COMPUTE_PGM_RSRC2:TRAP_HANDLER: 0
; COMPUTE_PGM_RSRC2:TGID_X_EN: 1
; COMPUTE_PGM_RSRC2:TGID_Y_EN: 0
; COMPUTE_PGM_RSRC2:TGID_Z_EN: 0
; COMPUTE_PGM_RSRC2:TIDIG_COMP_CNT: 0
; COMPUTE_PGM_RSRC3_GFX90A:ACCUM_OFFSET: 7
; COMPUTE_PGM_RSRC3_GFX90A:TG_SPLIT: 0
	.section	.text._ZN7rocprim17ROCPRIM_400000_NS6detail17trampoline_kernelINS0_14default_configENS1_20scan_config_selectorIsEEZZNS1_9scan_implILNS1_25lookback_scan_determinismE0ELb1ELb1ES3_N6thrust23THRUST_200600_302600_NS6detail15normal_iteratorINS9_10device_ptrIsEEEESE_s11max_functorIsEsEEDaPvRmT3_T4_T5_mT6_P12ihipStream_tbENKUlT_T0_E_clISt17integral_constantIbLb1EESU_EEDaSP_SQ_EUlSP_E0_NS1_11comp_targetILNS1_3genE3ELNS1_11target_archE908ELNS1_3gpuE7ELNS1_3repE0EEENS1_30default_config_static_selectorELNS0_4arch9wavefront6targetE1EEEvT1_,"axG",@progbits,_ZN7rocprim17ROCPRIM_400000_NS6detail17trampoline_kernelINS0_14default_configENS1_20scan_config_selectorIsEEZZNS1_9scan_implILNS1_25lookback_scan_determinismE0ELb1ELb1ES3_N6thrust23THRUST_200600_302600_NS6detail15normal_iteratorINS9_10device_ptrIsEEEESE_s11max_functorIsEsEEDaPvRmT3_T4_T5_mT6_P12ihipStream_tbENKUlT_T0_E_clISt17integral_constantIbLb1EESU_EEDaSP_SQ_EUlSP_E0_NS1_11comp_targetILNS1_3genE3ELNS1_11target_archE908ELNS1_3gpuE7ELNS1_3repE0EEENS1_30default_config_static_selectorELNS0_4arch9wavefront6targetE1EEEvT1_,comdat
	.protected	_ZN7rocprim17ROCPRIM_400000_NS6detail17trampoline_kernelINS0_14default_configENS1_20scan_config_selectorIsEEZZNS1_9scan_implILNS1_25lookback_scan_determinismE0ELb1ELb1ES3_N6thrust23THRUST_200600_302600_NS6detail15normal_iteratorINS9_10device_ptrIsEEEESE_s11max_functorIsEsEEDaPvRmT3_T4_T5_mT6_P12ihipStream_tbENKUlT_T0_E_clISt17integral_constantIbLb1EESU_EEDaSP_SQ_EUlSP_E0_NS1_11comp_targetILNS1_3genE3ELNS1_11target_archE908ELNS1_3gpuE7ELNS1_3repE0EEENS1_30default_config_static_selectorELNS0_4arch9wavefront6targetE1EEEvT1_ ; -- Begin function _ZN7rocprim17ROCPRIM_400000_NS6detail17trampoline_kernelINS0_14default_configENS1_20scan_config_selectorIsEEZZNS1_9scan_implILNS1_25lookback_scan_determinismE0ELb1ELb1ES3_N6thrust23THRUST_200600_302600_NS6detail15normal_iteratorINS9_10device_ptrIsEEEESE_s11max_functorIsEsEEDaPvRmT3_T4_T5_mT6_P12ihipStream_tbENKUlT_T0_E_clISt17integral_constantIbLb1EESU_EEDaSP_SQ_EUlSP_E0_NS1_11comp_targetILNS1_3genE3ELNS1_11target_archE908ELNS1_3gpuE7ELNS1_3repE0EEENS1_30default_config_static_selectorELNS0_4arch9wavefront6targetE1EEEvT1_
	.globl	_ZN7rocprim17ROCPRIM_400000_NS6detail17trampoline_kernelINS0_14default_configENS1_20scan_config_selectorIsEEZZNS1_9scan_implILNS1_25lookback_scan_determinismE0ELb1ELb1ES3_N6thrust23THRUST_200600_302600_NS6detail15normal_iteratorINS9_10device_ptrIsEEEESE_s11max_functorIsEsEEDaPvRmT3_T4_T5_mT6_P12ihipStream_tbENKUlT_T0_E_clISt17integral_constantIbLb1EESU_EEDaSP_SQ_EUlSP_E0_NS1_11comp_targetILNS1_3genE3ELNS1_11target_archE908ELNS1_3gpuE7ELNS1_3repE0EEENS1_30default_config_static_selectorELNS0_4arch9wavefront6targetE1EEEvT1_
	.p2align	8
	.type	_ZN7rocprim17ROCPRIM_400000_NS6detail17trampoline_kernelINS0_14default_configENS1_20scan_config_selectorIsEEZZNS1_9scan_implILNS1_25lookback_scan_determinismE0ELb1ELb1ES3_N6thrust23THRUST_200600_302600_NS6detail15normal_iteratorINS9_10device_ptrIsEEEESE_s11max_functorIsEsEEDaPvRmT3_T4_T5_mT6_P12ihipStream_tbENKUlT_T0_E_clISt17integral_constantIbLb1EESU_EEDaSP_SQ_EUlSP_E0_NS1_11comp_targetILNS1_3genE3ELNS1_11target_archE908ELNS1_3gpuE7ELNS1_3repE0EEENS1_30default_config_static_selectorELNS0_4arch9wavefront6targetE1EEEvT1_,@function
_ZN7rocprim17ROCPRIM_400000_NS6detail17trampoline_kernelINS0_14default_configENS1_20scan_config_selectorIsEEZZNS1_9scan_implILNS1_25lookback_scan_determinismE0ELb1ELb1ES3_N6thrust23THRUST_200600_302600_NS6detail15normal_iteratorINS9_10device_ptrIsEEEESE_s11max_functorIsEsEEDaPvRmT3_T4_T5_mT6_P12ihipStream_tbENKUlT_T0_E_clISt17integral_constantIbLb1EESU_EEDaSP_SQ_EUlSP_E0_NS1_11comp_targetILNS1_3genE3ELNS1_11target_archE908ELNS1_3gpuE7ELNS1_3repE0EEENS1_30default_config_static_selectorELNS0_4arch9wavefront6targetE1EEEvT1_: ; @_ZN7rocprim17ROCPRIM_400000_NS6detail17trampoline_kernelINS0_14default_configENS1_20scan_config_selectorIsEEZZNS1_9scan_implILNS1_25lookback_scan_determinismE0ELb1ELb1ES3_N6thrust23THRUST_200600_302600_NS6detail15normal_iteratorINS9_10device_ptrIsEEEESE_s11max_functorIsEsEEDaPvRmT3_T4_T5_mT6_P12ihipStream_tbENKUlT_T0_E_clISt17integral_constantIbLb1EESU_EEDaSP_SQ_EUlSP_E0_NS1_11comp_targetILNS1_3genE3ELNS1_11target_archE908ELNS1_3gpuE7ELNS1_3repE0EEENS1_30default_config_static_selectorELNS0_4arch9wavefront6targetE1EEEvT1_
; %bb.0:
	.section	.rodata,"a",@progbits
	.p2align	6, 0x0
	.amdhsa_kernel _ZN7rocprim17ROCPRIM_400000_NS6detail17trampoline_kernelINS0_14default_configENS1_20scan_config_selectorIsEEZZNS1_9scan_implILNS1_25lookback_scan_determinismE0ELb1ELb1ES3_N6thrust23THRUST_200600_302600_NS6detail15normal_iteratorINS9_10device_ptrIsEEEESE_s11max_functorIsEsEEDaPvRmT3_T4_T5_mT6_P12ihipStream_tbENKUlT_T0_E_clISt17integral_constantIbLb1EESU_EEDaSP_SQ_EUlSP_E0_NS1_11comp_targetILNS1_3genE3ELNS1_11target_archE908ELNS1_3gpuE7ELNS1_3repE0EEENS1_30default_config_static_selectorELNS0_4arch9wavefront6targetE1EEEvT1_
		.amdhsa_group_segment_fixed_size 0
		.amdhsa_private_segment_fixed_size 0
		.amdhsa_kernarg_size 32
		.amdhsa_user_sgpr_count 6
		.amdhsa_user_sgpr_private_segment_buffer 1
		.amdhsa_user_sgpr_dispatch_ptr 0
		.amdhsa_user_sgpr_queue_ptr 0
		.amdhsa_user_sgpr_kernarg_segment_ptr 1
		.amdhsa_user_sgpr_dispatch_id 0
		.amdhsa_user_sgpr_flat_scratch_init 0
		.amdhsa_user_sgpr_kernarg_preload_length 0
		.amdhsa_user_sgpr_kernarg_preload_offset 0
		.amdhsa_user_sgpr_private_segment_size 0
		.amdhsa_uses_dynamic_stack 0
		.amdhsa_system_sgpr_private_segment_wavefront_offset 0
		.amdhsa_system_sgpr_workgroup_id_x 1
		.amdhsa_system_sgpr_workgroup_id_y 0
		.amdhsa_system_sgpr_workgroup_id_z 0
		.amdhsa_system_sgpr_workgroup_info 0
		.amdhsa_system_vgpr_workitem_id 0
		.amdhsa_next_free_vgpr 1
		.amdhsa_next_free_sgpr 0
		.amdhsa_accum_offset 4
		.amdhsa_reserve_vcc 0
		.amdhsa_reserve_flat_scratch 0
		.amdhsa_float_round_mode_32 0
		.amdhsa_float_round_mode_16_64 0
		.amdhsa_float_denorm_mode_32 3
		.amdhsa_float_denorm_mode_16_64 3
		.amdhsa_dx10_clamp 1
		.amdhsa_ieee_mode 1
		.amdhsa_fp16_overflow 0
		.amdhsa_tg_split 0
		.amdhsa_exception_fp_ieee_invalid_op 0
		.amdhsa_exception_fp_denorm_src 0
		.amdhsa_exception_fp_ieee_div_zero 0
		.amdhsa_exception_fp_ieee_overflow 0
		.amdhsa_exception_fp_ieee_underflow 0
		.amdhsa_exception_fp_ieee_inexact 0
		.amdhsa_exception_int_div_zero 0
	.end_amdhsa_kernel
	.section	.text._ZN7rocprim17ROCPRIM_400000_NS6detail17trampoline_kernelINS0_14default_configENS1_20scan_config_selectorIsEEZZNS1_9scan_implILNS1_25lookback_scan_determinismE0ELb1ELb1ES3_N6thrust23THRUST_200600_302600_NS6detail15normal_iteratorINS9_10device_ptrIsEEEESE_s11max_functorIsEsEEDaPvRmT3_T4_T5_mT6_P12ihipStream_tbENKUlT_T0_E_clISt17integral_constantIbLb1EESU_EEDaSP_SQ_EUlSP_E0_NS1_11comp_targetILNS1_3genE3ELNS1_11target_archE908ELNS1_3gpuE7ELNS1_3repE0EEENS1_30default_config_static_selectorELNS0_4arch9wavefront6targetE1EEEvT1_,"axG",@progbits,_ZN7rocprim17ROCPRIM_400000_NS6detail17trampoline_kernelINS0_14default_configENS1_20scan_config_selectorIsEEZZNS1_9scan_implILNS1_25lookback_scan_determinismE0ELb1ELb1ES3_N6thrust23THRUST_200600_302600_NS6detail15normal_iteratorINS9_10device_ptrIsEEEESE_s11max_functorIsEsEEDaPvRmT3_T4_T5_mT6_P12ihipStream_tbENKUlT_T0_E_clISt17integral_constantIbLb1EESU_EEDaSP_SQ_EUlSP_E0_NS1_11comp_targetILNS1_3genE3ELNS1_11target_archE908ELNS1_3gpuE7ELNS1_3repE0EEENS1_30default_config_static_selectorELNS0_4arch9wavefront6targetE1EEEvT1_,comdat
.Lfunc_end2948:
	.size	_ZN7rocprim17ROCPRIM_400000_NS6detail17trampoline_kernelINS0_14default_configENS1_20scan_config_selectorIsEEZZNS1_9scan_implILNS1_25lookback_scan_determinismE0ELb1ELb1ES3_N6thrust23THRUST_200600_302600_NS6detail15normal_iteratorINS9_10device_ptrIsEEEESE_s11max_functorIsEsEEDaPvRmT3_T4_T5_mT6_P12ihipStream_tbENKUlT_T0_E_clISt17integral_constantIbLb1EESU_EEDaSP_SQ_EUlSP_E0_NS1_11comp_targetILNS1_3genE3ELNS1_11target_archE908ELNS1_3gpuE7ELNS1_3repE0EEENS1_30default_config_static_selectorELNS0_4arch9wavefront6targetE1EEEvT1_, .Lfunc_end2948-_ZN7rocprim17ROCPRIM_400000_NS6detail17trampoline_kernelINS0_14default_configENS1_20scan_config_selectorIsEEZZNS1_9scan_implILNS1_25lookback_scan_determinismE0ELb1ELb1ES3_N6thrust23THRUST_200600_302600_NS6detail15normal_iteratorINS9_10device_ptrIsEEEESE_s11max_functorIsEsEEDaPvRmT3_T4_T5_mT6_P12ihipStream_tbENKUlT_T0_E_clISt17integral_constantIbLb1EESU_EEDaSP_SQ_EUlSP_E0_NS1_11comp_targetILNS1_3genE3ELNS1_11target_archE908ELNS1_3gpuE7ELNS1_3repE0EEENS1_30default_config_static_selectorELNS0_4arch9wavefront6targetE1EEEvT1_
                                        ; -- End function
	.section	.AMDGPU.csdata,"",@progbits
; Kernel info:
; codeLenInByte = 0
; NumSgprs: 4
; NumVgprs: 0
; NumAgprs: 0
; TotalNumVgprs: 0
; ScratchSize: 0
; MemoryBound: 0
; FloatMode: 240
; IeeeMode: 1
; LDSByteSize: 0 bytes/workgroup (compile time only)
; SGPRBlocks: 0
; VGPRBlocks: 0
; NumSGPRsForWavesPerEU: 4
; NumVGPRsForWavesPerEU: 1
; AccumOffset: 4
; Occupancy: 8
; WaveLimiterHint : 0
; COMPUTE_PGM_RSRC2:SCRATCH_EN: 0
; COMPUTE_PGM_RSRC2:USER_SGPR: 6
; COMPUTE_PGM_RSRC2:TRAP_HANDLER: 0
; COMPUTE_PGM_RSRC2:TGID_X_EN: 1
; COMPUTE_PGM_RSRC2:TGID_Y_EN: 0
; COMPUTE_PGM_RSRC2:TGID_Z_EN: 0
; COMPUTE_PGM_RSRC2:TIDIG_COMP_CNT: 0
; COMPUTE_PGM_RSRC3_GFX90A:ACCUM_OFFSET: 0
; COMPUTE_PGM_RSRC3_GFX90A:TG_SPLIT: 0
	.section	.text._ZN7rocprim17ROCPRIM_400000_NS6detail17trampoline_kernelINS0_14default_configENS1_20scan_config_selectorIsEEZZNS1_9scan_implILNS1_25lookback_scan_determinismE0ELb1ELb1ES3_N6thrust23THRUST_200600_302600_NS6detail15normal_iteratorINS9_10device_ptrIsEEEESE_s11max_functorIsEsEEDaPvRmT3_T4_T5_mT6_P12ihipStream_tbENKUlT_T0_E_clISt17integral_constantIbLb1EESU_EEDaSP_SQ_EUlSP_E0_NS1_11comp_targetILNS1_3genE2ELNS1_11target_archE906ELNS1_3gpuE6ELNS1_3repE0EEENS1_30default_config_static_selectorELNS0_4arch9wavefront6targetE1EEEvT1_,"axG",@progbits,_ZN7rocprim17ROCPRIM_400000_NS6detail17trampoline_kernelINS0_14default_configENS1_20scan_config_selectorIsEEZZNS1_9scan_implILNS1_25lookback_scan_determinismE0ELb1ELb1ES3_N6thrust23THRUST_200600_302600_NS6detail15normal_iteratorINS9_10device_ptrIsEEEESE_s11max_functorIsEsEEDaPvRmT3_T4_T5_mT6_P12ihipStream_tbENKUlT_T0_E_clISt17integral_constantIbLb1EESU_EEDaSP_SQ_EUlSP_E0_NS1_11comp_targetILNS1_3genE2ELNS1_11target_archE906ELNS1_3gpuE6ELNS1_3repE0EEENS1_30default_config_static_selectorELNS0_4arch9wavefront6targetE1EEEvT1_,comdat
	.protected	_ZN7rocprim17ROCPRIM_400000_NS6detail17trampoline_kernelINS0_14default_configENS1_20scan_config_selectorIsEEZZNS1_9scan_implILNS1_25lookback_scan_determinismE0ELb1ELb1ES3_N6thrust23THRUST_200600_302600_NS6detail15normal_iteratorINS9_10device_ptrIsEEEESE_s11max_functorIsEsEEDaPvRmT3_T4_T5_mT6_P12ihipStream_tbENKUlT_T0_E_clISt17integral_constantIbLb1EESU_EEDaSP_SQ_EUlSP_E0_NS1_11comp_targetILNS1_3genE2ELNS1_11target_archE906ELNS1_3gpuE6ELNS1_3repE0EEENS1_30default_config_static_selectorELNS0_4arch9wavefront6targetE1EEEvT1_ ; -- Begin function _ZN7rocprim17ROCPRIM_400000_NS6detail17trampoline_kernelINS0_14default_configENS1_20scan_config_selectorIsEEZZNS1_9scan_implILNS1_25lookback_scan_determinismE0ELb1ELb1ES3_N6thrust23THRUST_200600_302600_NS6detail15normal_iteratorINS9_10device_ptrIsEEEESE_s11max_functorIsEsEEDaPvRmT3_T4_T5_mT6_P12ihipStream_tbENKUlT_T0_E_clISt17integral_constantIbLb1EESU_EEDaSP_SQ_EUlSP_E0_NS1_11comp_targetILNS1_3genE2ELNS1_11target_archE906ELNS1_3gpuE6ELNS1_3repE0EEENS1_30default_config_static_selectorELNS0_4arch9wavefront6targetE1EEEvT1_
	.globl	_ZN7rocprim17ROCPRIM_400000_NS6detail17trampoline_kernelINS0_14default_configENS1_20scan_config_selectorIsEEZZNS1_9scan_implILNS1_25lookback_scan_determinismE0ELb1ELb1ES3_N6thrust23THRUST_200600_302600_NS6detail15normal_iteratorINS9_10device_ptrIsEEEESE_s11max_functorIsEsEEDaPvRmT3_T4_T5_mT6_P12ihipStream_tbENKUlT_T0_E_clISt17integral_constantIbLb1EESU_EEDaSP_SQ_EUlSP_E0_NS1_11comp_targetILNS1_3genE2ELNS1_11target_archE906ELNS1_3gpuE6ELNS1_3repE0EEENS1_30default_config_static_selectorELNS0_4arch9wavefront6targetE1EEEvT1_
	.p2align	8
	.type	_ZN7rocprim17ROCPRIM_400000_NS6detail17trampoline_kernelINS0_14default_configENS1_20scan_config_selectorIsEEZZNS1_9scan_implILNS1_25lookback_scan_determinismE0ELb1ELb1ES3_N6thrust23THRUST_200600_302600_NS6detail15normal_iteratorINS9_10device_ptrIsEEEESE_s11max_functorIsEsEEDaPvRmT3_T4_T5_mT6_P12ihipStream_tbENKUlT_T0_E_clISt17integral_constantIbLb1EESU_EEDaSP_SQ_EUlSP_E0_NS1_11comp_targetILNS1_3genE2ELNS1_11target_archE906ELNS1_3gpuE6ELNS1_3repE0EEENS1_30default_config_static_selectorELNS0_4arch9wavefront6targetE1EEEvT1_,@function
_ZN7rocprim17ROCPRIM_400000_NS6detail17trampoline_kernelINS0_14default_configENS1_20scan_config_selectorIsEEZZNS1_9scan_implILNS1_25lookback_scan_determinismE0ELb1ELb1ES3_N6thrust23THRUST_200600_302600_NS6detail15normal_iteratorINS9_10device_ptrIsEEEESE_s11max_functorIsEsEEDaPvRmT3_T4_T5_mT6_P12ihipStream_tbENKUlT_T0_E_clISt17integral_constantIbLb1EESU_EEDaSP_SQ_EUlSP_E0_NS1_11comp_targetILNS1_3genE2ELNS1_11target_archE906ELNS1_3gpuE6ELNS1_3repE0EEENS1_30default_config_static_selectorELNS0_4arch9wavefront6targetE1EEEvT1_: ; @_ZN7rocprim17ROCPRIM_400000_NS6detail17trampoline_kernelINS0_14default_configENS1_20scan_config_selectorIsEEZZNS1_9scan_implILNS1_25lookback_scan_determinismE0ELb1ELb1ES3_N6thrust23THRUST_200600_302600_NS6detail15normal_iteratorINS9_10device_ptrIsEEEESE_s11max_functorIsEsEEDaPvRmT3_T4_T5_mT6_P12ihipStream_tbENKUlT_T0_E_clISt17integral_constantIbLb1EESU_EEDaSP_SQ_EUlSP_E0_NS1_11comp_targetILNS1_3genE2ELNS1_11target_archE906ELNS1_3gpuE6ELNS1_3repE0EEENS1_30default_config_static_selectorELNS0_4arch9wavefront6targetE1EEEvT1_
; %bb.0:
	.section	.rodata,"a",@progbits
	.p2align	6, 0x0
	.amdhsa_kernel _ZN7rocprim17ROCPRIM_400000_NS6detail17trampoline_kernelINS0_14default_configENS1_20scan_config_selectorIsEEZZNS1_9scan_implILNS1_25lookback_scan_determinismE0ELb1ELb1ES3_N6thrust23THRUST_200600_302600_NS6detail15normal_iteratorINS9_10device_ptrIsEEEESE_s11max_functorIsEsEEDaPvRmT3_T4_T5_mT6_P12ihipStream_tbENKUlT_T0_E_clISt17integral_constantIbLb1EESU_EEDaSP_SQ_EUlSP_E0_NS1_11comp_targetILNS1_3genE2ELNS1_11target_archE906ELNS1_3gpuE6ELNS1_3repE0EEENS1_30default_config_static_selectorELNS0_4arch9wavefront6targetE1EEEvT1_
		.amdhsa_group_segment_fixed_size 0
		.amdhsa_private_segment_fixed_size 0
		.amdhsa_kernarg_size 32
		.amdhsa_user_sgpr_count 6
		.amdhsa_user_sgpr_private_segment_buffer 1
		.amdhsa_user_sgpr_dispatch_ptr 0
		.amdhsa_user_sgpr_queue_ptr 0
		.amdhsa_user_sgpr_kernarg_segment_ptr 1
		.amdhsa_user_sgpr_dispatch_id 0
		.amdhsa_user_sgpr_flat_scratch_init 0
		.amdhsa_user_sgpr_kernarg_preload_length 0
		.amdhsa_user_sgpr_kernarg_preload_offset 0
		.amdhsa_user_sgpr_private_segment_size 0
		.amdhsa_uses_dynamic_stack 0
		.amdhsa_system_sgpr_private_segment_wavefront_offset 0
		.amdhsa_system_sgpr_workgroup_id_x 1
		.amdhsa_system_sgpr_workgroup_id_y 0
		.amdhsa_system_sgpr_workgroup_id_z 0
		.amdhsa_system_sgpr_workgroup_info 0
		.amdhsa_system_vgpr_workitem_id 0
		.amdhsa_next_free_vgpr 1
		.amdhsa_next_free_sgpr 0
		.amdhsa_accum_offset 4
		.amdhsa_reserve_vcc 0
		.amdhsa_reserve_flat_scratch 0
		.amdhsa_float_round_mode_32 0
		.amdhsa_float_round_mode_16_64 0
		.amdhsa_float_denorm_mode_32 3
		.amdhsa_float_denorm_mode_16_64 3
		.amdhsa_dx10_clamp 1
		.amdhsa_ieee_mode 1
		.amdhsa_fp16_overflow 0
		.amdhsa_tg_split 0
		.amdhsa_exception_fp_ieee_invalid_op 0
		.amdhsa_exception_fp_denorm_src 0
		.amdhsa_exception_fp_ieee_div_zero 0
		.amdhsa_exception_fp_ieee_overflow 0
		.amdhsa_exception_fp_ieee_underflow 0
		.amdhsa_exception_fp_ieee_inexact 0
		.amdhsa_exception_int_div_zero 0
	.end_amdhsa_kernel
	.section	.text._ZN7rocprim17ROCPRIM_400000_NS6detail17trampoline_kernelINS0_14default_configENS1_20scan_config_selectorIsEEZZNS1_9scan_implILNS1_25lookback_scan_determinismE0ELb1ELb1ES3_N6thrust23THRUST_200600_302600_NS6detail15normal_iteratorINS9_10device_ptrIsEEEESE_s11max_functorIsEsEEDaPvRmT3_T4_T5_mT6_P12ihipStream_tbENKUlT_T0_E_clISt17integral_constantIbLb1EESU_EEDaSP_SQ_EUlSP_E0_NS1_11comp_targetILNS1_3genE2ELNS1_11target_archE906ELNS1_3gpuE6ELNS1_3repE0EEENS1_30default_config_static_selectorELNS0_4arch9wavefront6targetE1EEEvT1_,"axG",@progbits,_ZN7rocprim17ROCPRIM_400000_NS6detail17trampoline_kernelINS0_14default_configENS1_20scan_config_selectorIsEEZZNS1_9scan_implILNS1_25lookback_scan_determinismE0ELb1ELb1ES3_N6thrust23THRUST_200600_302600_NS6detail15normal_iteratorINS9_10device_ptrIsEEEESE_s11max_functorIsEsEEDaPvRmT3_T4_T5_mT6_P12ihipStream_tbENKUlT_T0_E_clISt17integral_constantIbLb1EESU_EEDaSP_SQ_EUlSP_E0_NS1_11comp_targetILNS1_3genE2ELNS1_11target_archE906ELNS1_3gpuE6ELNS1_3repE0EEENS1_30default_config_static_selectorELNS0_4arch9wavefront6targetE1EEEvT1_,comdat
.Lfunc_end2949:
	.size	_ZN7rocprim17ROCPRIM_400000_NS6detail17trampoline_kernelINS0_14default_configENS1_20scan_config_selectorIsEEZZNS1_9scan_implILNS1_25lookback_scan_determinismE0ELb1ELb1ES3_N6thrust23THRUST_200600_302600_NS6detail15normal_iteratorINS9_10device_ptrIsEEEESE_s11max_functorIsEsEEDaPvRmT3_T4_T5_mT6_P12ihipStream_tbENKUlT_T0_E_clISt17integral_constantIbLb1EESU_EEDaSP_SQ_EUlSP_E0_NS1_11comp_targetILNS1_3genE2ELNS1_11target_archE906ELNS1_3gpuE6ELNS1_3repE0EEENS1_30default_config_static_selectorELNS0_4arch9wavefront6targetE1EEEvT1_, .Lfunc_end2949-_ZN7rocprim17ROCPRIM_400000_NS6detail17trampoline_kernelINS0_14default_configENS1_20scan_config_selectorIsEEZZNS1_9scan_implILNS1_25lookback_scan_determinismE0ELb1ELb1ES3_N6thrust23THRUST_200600_302600_NS6detail15normal_iteratorINS9_10device_ptrIsEEEESE_s11max_functorIsEsEEDaPvRmT3_T4_T5_mT6_P12ihipStream_tbENKUlT_T0_E_clISt17integral_constantIbLb1EESU_EEDaSP_SQ_EUlSP_E0_NS1_11comp_targetILNS1_3genE2ELNS1_11target_archE906ELNS1_3gpuE6ELNS1_3repE0EEENS1_30default_config_static_selectorELNS0_4arch9wavefront6targetE1EEEvT1_
                                        ; -- End function
	.section	.AMDGPU.csdata,"",@progbits
; Kernel info:
; codeLenInByte = 0
; NumSgprs: 4
; NumVgprs: 0
; NumAgprs: 0
; TotalNumVgprs: 0
; ScratchSize: 0
; MemoryBound: 0
; FloatMode: 240
; IeeeMode: 1
; LDSByteSize: 0 bytes/workgroup (compile time only)
; SGPRBlocks: 0
; VGPRBlocks: 0
; NumSGPRsForWavesPerEU: 4
; NumVGPRsForWavesPerEU: 1
; AccumOffset: 4
; Occupancy: 8
; WaveLimiterHint : 0
; COMPUTE_PGM_RSRC2:SCRATCH_EN: 0
; COMPUTE_PGM_RSRC2:USER_SGPR: 6
; COMPUTE_PGM_RSRC2:TRAP_HANDLER: 0
; COMPUTE_PGM_RSRC2:TGID_X_EN: 1
; COMPUTE_PGM_RSRC2:TGID_Y_EN: 0
; COMPUTE_PGM_RSRC2:TGID_Z_EN: 0
; COMPUTE_PGM_RSRC2:TIDIG_COMP_CNT: 0
; COMPUTE_PGM_RSRC3_GFX90A:ACCUM_OFFSET: 0
; COMPUTE_PGM_RSRC3_GFX90A:TG_SPLIT: 0
	.section	.text._ZN7rocprim17ROCPRIM_400000_NS6detail17trampoline_kernelINS0_14default_configENS1_20scan_config_selectorIsEEZZNS1_9scan_implILNS1_25lookback_scan_determinismE0ELb1ELb1ES3_N6thrust23THRUST_200600_302600_NS6detail15normal_iteratorINS9_10device_ptrIsEEEESE_s11max_functorIsEsEEDaPvRmT3_T4_T5_mT6_P12ihipStream_tbENKUlT_T0_E_clISt17integral_constantIbLb1EESU_EEDaSP_SQ_EUlSP_E0_NS1_11comp_targetILNS1_3genE10ELNS1_11target_archE1201ELNS1_3gpuE5ELNS1_3repE0EEENS1_30default_config_static_selectorELNS0_4arch9wavefront6targetE1EEEvT1_,"axG",@progbits,_ZN7rocprim17ROCPRIM_400000_NS6detail17trampoline_kernelINS0_14default_configENS1_20scan_config_selectorIsEEZZNS1_9scan_implILNS1_25lookback_scan_determinismE0ELb1ELb1ES3_N6thrust23THRUST_200600_302600_NS6detail15normal_iteratorINS9_10device_ptrIsEEEESE_s11max_functorIsEsEEDaPvRmT3_T4_T5_mT6_P12ihipStream_tbENKUlT_T0_E_clISt17integral_constantIbLb1EESU_EEDaSP_SQ_EUlSP_E0_NS1_11comp_targetILNS1_3genE10ELNS1_11target_archE1201ELNS1_3gpuE5ELNS1_3repE0EEENS1_30default_config_static_selectorELNS0_4arch9wavefront6targetE1EEEvT1_,comdat
	.protected	_ZN7rocprim17ROCPRIM_400000_NS6detail17trampoline_kernelINS0_14default_configENS1_20scan_config_selectorIsEEZZNS1_9scan_implILNS1_25lookback_scan_determinismE0ELb1ELb1ES3_N6thrust23THRUST_200600_302600_NS6detail15normal_iteratorINS9_10device_ptrIsEEEESE_s11max_functorIsEsEEDaPvRmT3_T4_T5_mT6_P12ihipStream_tbENKUlT_T0_E_clISt17integral_constantIbLb1EESU_EEDaSP_SQ_EUlSP_E0_NS1_11comp_targetILNS1_3genE10ELNS1_11target_archE1201ELNS1_3gpuE5ELNS1_3repE0EEENS1_30default_config_static_selectorELNS0_4arch9wavefront6targetE1EEEvT1_ ; -- Begin function _ZN7rocprim17ROCPRIM_400000_NS6detail17trampoline_kernelINS0_14default_configENS1_20scan_config_selectorIsEEZZNS1_9scan_implILNS1_25lookback_scan_determinismE0ELb1ELb1ES3_N6thrust23THRUST_200600_302600_NS6detail15normal_iteratorINS9_10device_ptrIsEEEESE_s11max_functorIsEsEEDaPvRmT3_T4_T5_mT6_P12ihipStream_tbENKUlT_T0_E_clISt17integral_constantIbLb1EESU_EEDaSP_SQ_EUlSP_E0_NS1_11comp_targetILNS1_3genE10ELNS1_11target_archE1201ELNS1_3gpuE5ELNS1_3repE0EEENS1_30default_config_static_selectorELNS0_4arch9wavefront6targetE1EEEvT1_
	.globl	_ZN7rocprim17ROCPRIM_400000_NS6detail17trampoline_kernelINS0_14default_configENS1_20scan_config_selectorIsEEZZNS1_9scan_implILNS1_25lookback_scan_determinismE0ELb1ELb1ES3_N6thrust23THRUST_200600_302600_NS6detail15normal_iteratorINS9_10device_ptrIsEEEESE_s11max_functorIsEsEEDaPvRmT3_T4_T5_mT6_P12ihipStream_tbENKUlT_T0_E_clISt17integral_constantIbLb1EESU_EEDaSP_SQ_EUlSP_E0_NS1_11comp_targetILNS1_3genE10ELNS1_11target_archE1201ELNS1_3gpuE5ELNS1_3repE0EEENS1_30default_config_static_selectorELNS0_4arch9wavefront6targetE1EEEvT1_
	.p2align	8
	.type	_ZN7rocprim17ROCPRIM_400000_NS6detail17trampoline_kernelINS0_14default_configENS1_20scan_config_selectorIsEEZZNS1_9scan_implILNS1_25lookback_scan_determinismE0ELb1ELb1ES3_N6thrust23THRUST_200600_302600_NS6detail15normal_iteratorINS9_10device_ptrIsEEEESE_s11max_functorIsEsEEDaPvRmT3_T4_T5_mT6_P12ihipStream_tbENKUlT_T0_E_clISt17integral_constantIbLb1EESU_EEDaSP_SQ_EUlSP_E0_NS1_11comp_targetILNS1_3genE10ELNS1_11target_archE1201ELNS1_3gpuE5ELNS1_3repE0EEENS1_30default_config_static_selectorELNS0_4arch9wavefront6targetE1EEEvT1_,@function
_ZN7rocprim17ROCPRIM_400000_NS6detail17trampoline_kernelINS0_14default_configENS1_20scan_config_selectorIsEEZZNS1_9scan_implILNS1_25lookback_scan_determinismE0ELb1ELb1ES3_N6thrust23THRUST_200600_302600_NS6detail15normal_iteratorINS9_10device_ptrIsEEEESE_s11max_functorIsEsEEDaPvRmT3_T4_T5_mT6_P12ihipStream_tbENKUlT_T0_E_clISt17integral_constantIbLb1EESU_EEDaSP_SQ_EUlSP_E0_NS1_11comp_targetILNS1_3genE10ELNS1_11target_archE1201ELNS1_3gpuE5ELNS1_3repE0EEENS1_30default_config_static_selectorELNS0_4arch9wavefront6targetE1EEEvT1_: ; @_ZN7rocprim17ROCPRIM_400000_NS6detail17trampoline_kernelINS0_14default_configENS1_20scan_config_selectorIsEEZZNS1_9scan_implILNS1_25lookback_scan_determinismE0ELb1ELb1ES3_N6thrust23THRUST_200600_302600_NS6detail15normal_iteratorINS9_10device_ptrIsEEEESE_s11max_functorIsEsEEDaPvRmT3_T4_T5_mT6_P12ihipStream_tbENKUlT_T0_E_clISt17integral_constantIbLb1EESU_EEDaSP_SQ_EUlSP_E0_NS1_11comp_targetILNS1_3genE10ELNS1_11target_archE1201ELNS1_3gpuE5ELNS1_3repE0EEENS1_30default_config_static_selectorELNS0_4arch9wavefront6targetE1EEEvT1_
; %bb.0:
	.section	.rodata,"a",@progbits
	.p2align	6, 0x0
	.amdhsa_kernel _ZN7rocprim17ROCPRIM_400000_NS6detail17trampoline_kernelINS0_14default_configENS1_20scan_config_selectorIsEEZZNS1_9scan_implILNS1_25lookback_scan_determinismE0ELb1ELb1ES3_N6thrust23THRUST_200600_302600_NS6detail15normal_iteratorINS9_10device_ptrIsEEEESE_s11max_functorIsEsEEDaPvRmT3_T4_T5_mT6_P12ihipStream_tbENKUlT_T0_E_clISt17integral_constantIbLb1EESU_EEDaSP_SQ_EUlSP_E0_NS1_11comp_targetILNS1_3genE10ELNS1_11target_archE1201ELNS1_3gpuE5ELNS1_3repE0EEENS1_30default_config_static_selectorELNS0_4arch9wavefront6targetE1EEEvT1_
		.amdhsa_group_segment_fixed_size 0
		.amdhsa_private_segment_fixed_size 0
		.amdhsa_kernarg_size 32
		.amdhsa_user_sgpr_count 6
		.amdhsa_user_sgpr_private_segment_buffer 1
		.amdhsa_user_sgpr_dispatch_ptr 0
		.amdhsa_user_sgpr_queue_ptr 0
		.amdhsa_user_sgpr_kernarg_segment_ptr 1
		.amdhsa_user_sgpr_dispatch_id 0
		.amdhsa_user_sgpr_flat_scratch_init 0
		.amdhsa_user_sgpr_kernarg_preload_length 0
		.amdhsa_user_sgpr_kernarg_preload_offset 0
		.amdhsa_user_sgpr_private_segment_size 0
		.amdhsa_uses_dynamic_stack 0
		.amdhsa_system_sgpr_private_segment_wavefront_offset 0
		.amdhsa_system_sgpr_workgroup_id_x 1
		.amdhsa_system_sgpr_workgroup_id_y 0
		.amdhsa_system_sgpr_workgroup_id_z 0
		.amdhsa_system_sgpr_workgroup_info 0
		.amdhsa_system_vgpr_workitem_id 0
		.amdhsa_next_free_vgpr 1
		.amdhsa_next_free_sgpr 0
		.amdhsa_accum_offset 4
		.amdhsa_reserve_vcc 0
		.amdhsa_reserve_flat_scratch 0
		.amdhsa_float_round_mode_32 0
		.amdhsa_float_round_mode_16_64 0
		.amdhsa_float_denorm_mode_32 3
		.amdhsa_float_denorm_mode_16_64 3
		.amdhsa_dx10_clamp 1
		.amdhsa_ieee_mode 1
		.amdhsa_fp16_overflow 0
		.amdhsa_tg_split 0
		.amdhsa_exception_fp_ieee_invalid_op 0
		.amdhsa_exception_fp_denorm_src 0
		.amdhsa_exception_fp_ieee_div_zero 0
		.amdhsa_exception_fp_ieee_overflow 0
		.amdhsa_exception_fp_ieee_underflow 0
		.amdhsa_exception_fp_ieee_inexact 0
		.amdhsa_exception_int_div_zero 0
	.end_amdhsa_kernel
	.section	.text._ZN7rocprim17ROCPRIM_400000_NS6detail17trampoline_kernelINS0_14default_configENS1_20scan_config_selectorIsEEZZNS1_9scan_implILNS1_25lookback_scan_determinismE0ELb1ELb1ES3_N6thrust23THRUST_200600_302600_NS6detail15normal_iteratorINS9_10device_ptrIsEEEESE_s11max_functorIsEsEEDaPvRmT3_T4_T5_mT6_P12ihipStream_tbENKUlT_T0_E_clISt17integral_constantIbLb1EESU_EEDaSP_SQ_EUlSP_E0_NS1_11comp_targetILNS1_3genE10ELNS1_11target_archE1201ELNS1_3gpuE5ELNS1_3repE0EEENS1_30default_config_static_selectorELNS0_4arch9wavefront6targetE1EEEvT1_,"axG",@progbits,_ZN7rocprim17ROCPRIM_400000_NS6detail17trampoline_kernelINS0_14default_configENS1_20scan_config_selectorIsEEZZNS1_9scan_implILNS1_25lookback_scan_determinismE0ELb1ELb1ES3_N6thrust23THRUST_200600_302600_NS6detail15normal_iteratorINS9_10device_ptrIsEEEESE_s11max_functorIsEsEEDaPvRmT3_T4_T5_mT6_P12ihipStream_tbENKUlT_T0_E_clISt17integral_constantIbLb1EESU_EEDaSP_SQ_EUlSP_E0_NS1_11comp_targetILNS1_3genE10ELNS1_11target_archE1201ELNS1_3gpuE5ELNS1_3repE0EEENS1_30default_config_static_selectorELNS0_4arch9wavefront6targetE1EEEvT1_,comdat
.Lfunc_end2950:
	.size	_ZN7rocprim17ROCPRIM_400000_NS6detail17trampoline_kernelINS0_14default_configENS1_20scan_config_selectorIsEEZZNS1_9scan_implILNS1_25lookback_scan_determinismE0ELb1ELb1ES3_N6thrust23THRUST_200600_302600_NS6detail15normal_iteratorINS9_10device_ptrIsEEEESE_s11max_functorIsEsEEDaPvRmT3_T4_T5_mT6_P12ihipStream_tbENKUlT_T0_E_clISt17integral_constantIbLb1EESU_EEDaSP_SQ_EUlSP_E0_NS1_11comp_targetILNS1_3genE10ELNS1_11target_archE1201ELNS1_3gpuE5ELNS1_3repE0EEENS1_30default_config_static_selectorELNS0_4arch9wavefront6targetE1EEEvT1_, .Lfunc_end2950-_ZN7rocprim17ROCPRIM_400000_NS6detail17trampoline_kernelINS0_14default_configENS1_20scan_config_selectorIsEEZZNS1_9scan_implILNS1_25lookback_scan_determinismE0ELb1ELb1ES3_N6thrust23THRUST_200600_302600_NS6detail15normal_iteratorINS9_10device_ptrIsEEEESE_s11max_functorIsEsEEDaPvRmT3_T4_T5_mT6_P12ihipStream_tbENKUlT_T0_E_clISt17integral_constantIbLb1EESU_EEDaSP_SQ_EUlSP_E0_NS1_11comp_targetILNS1_3genE10ELNS1_11target_archE1201ELNS1_3gpuE5ELNS1_3repE0EEENS1_30default_config_static_selectorELNS0_4arch9wavefront6targetE1EEEvT1_
                                        ; -- End function
	.section	.AMDGPU.csdata,"",@progbits
; Kernel info:
; codeLenInByte = 0
; NumSgprs: 4
; NumVgprs: 0
; NumAgprs: 0
; TotalNumVgprs: 0
; ScratchSize: 0
; MemoryBound: 0
; FloatMode: 240
; IeeeMode: 1
; LDSByteSize: 0 bytes/workgroup (compile time only)
; SGPRBlocks: 0
; VGPRBlocks: 0
; NumSGPRsForWavesPerEU: 4
; NumVGPRsForWavesPerEU: 1
; AccumOffset: 4
; Occupancy: 8
; WaveLimiterHint : 0
; COMPUTE_PGM_RSRC2:SCRATCH_EN: 0
; COMPUTE_PGM_RSRC2:USER_SGPR: 6
; COMPUTE_PGM_RSRC2:TRAP_HANDLER: 0
; COMPUTE_PGM_RSRC2:TGID_X_EN: 1
; COMPUTE_PGM_RSRC2:TGID_Y_EN: 0
; COMPUTE_PGM_RSRC2:TGID_Z_EN: 0
; COMPUTE_PGM_RSRC2:TIDIG_COMP_CNT: 0
; COMPUTE_PGM_RSRC3_GFX90A:ACCUM_OFFSET: 0
; COMPUTE_PGM_RSRC3_GFX90A:TG_SPLIT: 0
	.section	.text._ZN7rocprim17ROCPRIM_400000_NS6detail17trampoline_kernelINS0_14default_configENS1_20scan_config_selectorIsEEZZNS1_9scan_implILNS1_25lookback_scan_determinismE0ELb1ELb1ES3_N6thrust23THRUST_200600_302600_NS6detail15normal_iteratorINS9_10device_ptrIsEEEESE_s11max_functorIsEsEEDaPvRmT3_T4_T5_mT6_P12ihipStream_tbENKUlT_T0_E_clISt17integral_constantIbLb1EESU_EEDaSP_SQ_EUlSP_E0_NS1_11comp_targetILNS1_3genE10ELNS1_11target_archE1200ELNS1_3gpuE4ELNS1_3repE0EEENS1_30default_config_static_selectorELNS0_4arch9wavefront6targetE1EEEvT1_,"axG",@progbits,_ZN7rocprim17ROCPRIM_400000_NS6detail17trampoline_kernelINS0_14default_configENS1_20scan_config_selectorIsEEZZNS1_9scan_implILNS1_25lookback_scan_determinismE0ELb1ELb1ES3_N6thrust23THRUST_200600_302600_NS6detail15normal_iteratorINS9_10device_ptrIsEEEESE_s11max_functorIsEsEEDaPvRmT3_T4_T5_mT6_P12ihipStream_tbENKUlT_T0_E_clISt17integral_constantIbLb1EESU_EEDaSP_SQ_EUlSP_E0_NS1_11comp_targetILNS1_3genE10ELNS1_11target_archE1200ELNS1_3gpuE4ELNS1_3repE0EEENS1_30default_config_static_selectorELNS0_4arch9wavefront6targetE1EEEvT1_,comdat
	.protected	_ZN7rocprim17ROCPRIM_400000_NS6detail17trampoline_kernelINS0_14default_configENS1_20scan_config_selectorIsEEZZNS1_9scan_implILNS1_25lookback_scan_determinismE0ELb1ELb1ES3_N6thrust23THRUST_200600_302600_NS6detail15normal_iteratorINS9_10device_ptrIsEEEESE_s11max_functorIsEsEEDaPvRmT3_T4_T5_mT6_P12ihipStream_tbENKUlT_T0_E_clISt17integral_constantIbLb1EESU_EEDaSP_SQ_EUlSP_E0_NS1_11comp_targetILNS1_3genE10ELNS1_11target_archE1200ELNS1_3gpuE4ELNS1_3repE0EEENS1_30default_config_static_selectorELNS0_4arch9wavefront6targetE1EEEvT1_ ; -- Begin function _ZN7rocprim17ROCPRIM_400000_NS6detail17trampoline_kernelINS0_14default_configENS1_20scan_config_selectorIsEEZZNS1_9scan_implILNS1_25lookback_scan_determinismE0ELb1ELb1ES3_N6thrust23THRUST_200600_302600_NS6detail15normal_iteratorINS9_10device_ptrIsEEEESE_s11max_functorIsEsEEDaPvRmT3_T4_T5_mT6_P12ihipStream_tbENKUlT_T0_E_clISt17integral_constantIbLb1EESU_EEDaSP_SQ_EUlSP_E0_NS1_11comp_targetILNS1_3genE10ELNS1_11target_archE1200ELNS1_3gpuE4ELNS1_3repE0EEENS1_30default_config_static_selectorELNS0_4arch9wavefront6targetE1EEEvT1_
	.globl	_ZN7rocprim17ROCPRIM_400000_NS6detail17trampoline_kernelINS0_14default_configENS1_20scan_config_selectorIsEEZZNS1_9scan_implILNS1_25lookback_scan_determinismE0ELb1ELb1ES3_N6thrust23THRUST_200600_302600_NS6detail15normal_iteratorINS9_10device_ptrIsEEEESE_s11max_functorIsEsEEDaPvRmT3_T4_T5_mT6_P12ihipStream_tbENKUlT_T0_E_clISt17integral_constantIbLb1EESU_EEDaSP_SQ_EUlSP_E0_NS1_11comp_targetILNS1_3genE10ELNS1_11target_archE1200ELNS1_3gpuE4ELNS1_3repE0EEENS1_30default_config_static_selectorELNS0_4arch9wavefront6targetE1EEEvT1_
	.p2align	8
	.type	_ZN7rocprim17ROCPRIM_400000_NS6detail17trampoline_kernelINS0_14default_configENS1_20scan_config_selectorIsEEZZNS1_9scan_implILNS1_25lookback_scan_determinismE0ELb1ELb1ES3_N6thrust23THRUST_200600_302600_NS6detail15normal_iteratorINS9_10device_ptrIsEEEESE_s11max_functorIsEsEEDaPvRmT3_T4_T5_mT6_P12ihipStream_tbENKUlT_T0_E_clISt17integral_constantIbLb1EESU_EEDaSP_SQ_EUlSP_E0_NS1_11comp_targetILNS1_3genE10ELNS1_11target_archE1200ELNS1_3gpuE4ELNS1_3repE0EEENS1_30default_config_static_selectorELNS0_4arch9wavefront6targetE1EEEvT1_,@function
_ZN7rocprim17ROCPRIM_400000_NS6detail17trampoline_kernelINS0_14default_configENS1_20scan_config_selectorIsEEZZNS1_9scan_implILNS1_25lookback_scan_determinismE0ELb1ELb1ES3_N6thrust23THRUST_200600_302600_NS6detail15normal_iteratorINS9_10device_ptrIsEEEESE_s11max_functorIsEsEEDaPvRmT3_T4_T5_mT6_P12ihipStream_tbENKUlT_T0_E_clISt17integral_constantIbLb1EESU_EEDaSP_SQ_EUlSP_E0_NS1_11comp_targetILNS1_3genE10ELNS1_11target_archE1200ELNS1_3gpuE4ELNS1_3repE0EEENS1_30default_config_static_selectorELNS0_4arch9wavefront6targetE1EEEvT1_: ; @_ZN7rocprim17ROCPRIM_400000_NS6detail17trampoline_kernelINS0_14default_configENS1_20scan_config_selectorIsEEZZNS1_9scan_implILNS1_25lookback_scan_determinismE0ELb1ELb1ES3_N6thrust23THRUST_200600_302600_NS6detail15normal_iteratorINS9_10device_ptrIsEEEESE_s11max_functorIsEsEEDaPvRmT3_T4_T5_mT6_P12ihipStream_tbENKUlT_T0_E_clISt17integral_constantIbLb1EESU_EEDaSP_SQ_EUlSP_E0_NS1_11comp_targetILNS1_3genE10ELNS1_11target_archE1200ELNS1_3gpuE4ELNS1_3repE0EEENS1_30default_config_static_selectorELNS0_4arch9wavefront6targetE1EEEvT1_
; %bb.0:
	.section	.rodata,"a",@progbits
	.p2align	6, 0x0
	.amdhsa_kernel _ZN7rocprim17ROCPRIM_400000_NS6detail17trampoline_kernelINS0_14default_configENS1_20scan_config_selectorIsEEZZNS1_9scan_implILNS1_25lookback_scan_determinismE0ELb1ELb1ES3_N6thrust23THRUST_200600_302600_NS6detail15normal_iteratorINS9_10device_ptrIsEEEESE_s11max_functorIsEsEEDaPvRmT3_T4_T5_mT6_P12ihipStream_tbENKUlT_T0_E_clISt17integral_constantIbLb1EESU_EEDaSP_SQ_EUlSP_E0_NS1_11comp_targetILNS1_3genE10ELNS1_11target_archE1200ELNS1_3gpuE4ELNS1_3repE0EEENS1_30default_config_static_selectorELNS0_4arch9wavefront6targetE1EEEvT1_
		.amdhsa_group_segment_fixed_size 0
		.amdhsa_private_segment_fixed_size 0
		.amdhsa_kernarg_size 32
		.amdhsa_user_sgpr_count 6
		.amdhsa_user_sgpr_private_segment_buffer 1
		.amdhsa_user_sgpr_dispatch_ptr 0
		.amdhsa_user_sgpr_queue_ptr 0
		.amdhsa_user_sgpr_kernarg_segment_ptr 1
		.amdhsa_user_sgpr_dispatch_id 0
		.amdhsa_user_sgpr_flat_scratch_init 0
		.amdhsa_user_sgpr_kernarg_preload_length 0
		.amdhsa_user_sgpr_kernarg_preload_offset 0
		.amdhsa_user_sgpr_private_segment_size 0
		.amdhsa_uses_dynamic_stack 0
		.amdhsa_system_sgpr_private_segment_wavefront_offset 0
		.amdhsa_system_sgpr_workgroup_id_x 1
		.amdhsa_system_sgpr_workgroup_id_y 0
		.amdhsa_system_sgpr_workgroup_id_z 0
		.amdhsa_system_sgpr_workgroup_info 0
		.amdhsa_system_vgpr_workitem_id 0
		.amdhsa_next_free_vgpr 1
		.amdhsa_next_free_sgpr 0
		.amdhsa_accum_offset 4
		.amdhsa_reserve_vcc 0
		.amdhsa_reserve_flat_scratch 0
		.amdhsa_float_round_mode_32 0
		.amdhsa_float_round_mode_16_64 0
		.amdhsa_float_denorm_mode_32 3
		.amdhsa_float_denorm_mode_16_64 3
		.amdhsa_dx10_clamp 1
		.amdhsa_ieee_mode 1
		.amdhsa_fp16_overflow 0
		.amdhsa_tg_split 0
		.amdhsa_exception_fp_ieee_invalid_op 0
		.amdhsa_exception_fp_denorm_src 0
		.amdhsa_exception_fp_ieee_div_zero 0
		.amdhsa_exception_fp_ieee_overflow 0
		.amdhsa_exception_fp_ieee_underflow 0
		.amdhsa_exception_fp_ieee_inexact 0
		.amdhsa_exception_int_div_zero 0
	.end_amdhsa_kernel
	.section	.text._ZN7rocprim17ROCPRIM_400000_NS6detail17trampoline_kernelINS0_14default_configENS1_20scan_config_selectorIsEEZZNS1_9scan_implILNS1_25lookback_scan_determinismE0ELb1ELb1ES3_N6thrust23THRUST_200600_302600_NS6detail15normal_iteratorINS9_10device_ptrIsEEEESE_s11max_functorIsEsEEDaPvRmT3_T4_T5_mT6_P12ihipStream_tbENKUlT_T0_E_clISt17integral_constantIbLb1EESU_EEDaSP_SQ_EUlSP_E0_NS1_11comp_targetILNS1_3genE10ELNS1_11target_archE1200ELNS1_3gpuE4ELNS1_3repE0EEENS1_30default_config_static_selectorELNS0_4arch9wavefront6targetE1EEEvT1_,"axG",@progbits,_ZN7rocprim17ROCPRIM_400000_NS6detail17trampoline_kernelINS0_14default_configENS1_20scan_config_selectorIsEEZZNS1_9scan_implILNS1_25lookback_scan_determinismE0ELb1ELb1ES3_N6thrust23THRUST_200600_302600_NS6detail15normal_iteratorINS9_10device_ptrIsEEEESE_s11max_functorIsEsEEDaPvRmT3_T4_T5_mT6_P12ihipStream_tbENKUlT_T0_E_clISt17integral_constantIbLb1EESU_EEDaSP_SQ_EUlSP_E0_NS1_11comp_targetILNS1_3genE10ELNS1_11target_archE1200ELNS1_3gpuE4ELNS1_3repE0EEENS1_30default_config_static_selectorELNS0_4arch9wavefront6targetE1EEEvT1_,comdat
.Lfunc_end2951:
	.size	_ZN7rocprim17ROCPRIM_400000_NS6detail17trampoline_kernelINS0_14default_configENS1_20scan_config_selectorIsEEZZNS1_9scan_implILNS1_25lookback_scan_determinismE0ELb1ELb1ES3_N6thrust23THRUST_200600_302600_NS6detail15normal_iteratorINS9_10device_ptrIsEEEESE_s11max_functorIsEsEEDaPvRmT3_T4_T5_mT6_P12ihipStream_tbENKUlT_T0_E_clISt17integral_constantIbLb1EESU_EEDaSP_SQ_EUlSP_E0_NS1_11comp_targetILNS1_3genE10ELNS1_11target_archE1200ELNS1_3gpuE4ELNS1_3repE0EEENS1_30default_config_static_selectorELNS0_4arch9wavefront6targetE1EEEvT1_, .Lfunc_end2951-_ZN7rocprim17ROCPRIM_400000_NS6detail17trampoline_kernelINS0_14default_configENS1_20scan_config_selectorIsEEZZNS1_9scan_implILNS1_25lookback_scan_determinismE0ELb1ELb1ES3_N6thrust23THRUST_200600_302600_NS6detail15normal_iteratorINS9_10device_ptrIsEEEESE_s11max_functorIsEsEEDaPvRmT3_T4_T5_mT6_P12ihipStream_tbENKUlT_T0_E_clISt17integral_constantIbLb1EESU_EEDaSP_SQ_EUlSP_E0_NS1_11comp_targetILNS1_3genE10ELNS1_11target_archE1200ELNS1_3gpuE4ELNS1_3repE0EEENS1_30default_config_static_selectorELNS0_4arch9wavefront6targetE1EEEvT1_
                                        ; -- End function
	.section	.AMDGPU.csdata,"",@progbits
; Kernel info:
; codeLenInByte = 0
; NumSgprs: 4
; NumVgprs: 0
; NumAgprs: 0
; TotalNumVgprs: 0
; ScratchSize: 0
; MemoryBound: 0
; FloatMode: 240
; IeeeMode: 1
; LDSByteSize: 0 bytes/workgroup (compile time only)
; SGPRBlocks: 0
; VGPRBlocks: 0
; NumSGPRsForWavesPerEU: 4
; NumVGPRsForWavesPerEU: 1
; AccumOffset: 4
; Occupancy: 8
; WaveLimiterHint : 0
; COMPUTE_PGM_RSRC2:SCRATCH_EN: 0
; COMPUTE_PGM_RSRC2:USER_SGPR: 6
; COMPUTE_PGM_RSRC2:TRAP_HANDLER: 0
; COMPUTE_PGM_RSRC2:TGID_X_EN: 1
; COMPUTE_PGM_RSRC2:TGID_Y_EN: 0
; COMPUTE_PGM_RSRC2:TGID_Z_EN: 0
; COMPUTE_PGM_RSRC2:TIDIG_COMP_CNT: 0
; COMPUTE_PGM_RSRC3_GFX90A:ACCUM_OFFSET: 0
; COMPUTE_PGM_RSRC3_GFX90A:TG_SPLIT: 0
	.section	.text._ZN7rocprim17ROCPRIM_400000_NS6detail17trampoline_kernelINS0_14default_configENS1_20scan_config_selectorIsEEZZNS1_9scan_implILNS1_25lookback_scan_determinismE0ELb1ELb1ES3_N6thrust23THRUST_200600_302600_NS6detail15normal_iteratorINS9_10device_ptrIsEEEESE_s11max_functorIsEsEEDaPvRmT3_T4_T5_mT6_P12ihipStream_tbENKUlT_T0_E_clISt17integral_constantIbLb1EESU_EEDaSP_SQ_EUlSP_E0_NS1_11comp_targetILNS1_3genE9ELNS1_11target_archE1100ELNS1_3gpuE3ELNS1_3repE0EEENS1_30default_config_static_selectorELNS0_4arch9wavefront6targetE1EEEvT1_,"axG",@progbits,_ZN7rocprim17ROCPRIM_400000_NS6detail17trampoline_kernelINS0_14default_configENS1_20scan_config_selectorIsEEZZNS1_9scan_implILNS1_25lookback_scan_determinismE0ELb1ELb1ES3_N6thrust23THRUST_200600_302600_NS6detail15normal_iteratorINS9_10device_ptrIsEEEESE_s11max_functorIsEsEEDaPvRmT3_T4_T5_mT6_P12ihipStream_tbENKUlT_T0_E_clISt17integral_constantIbLb1EESU_EEDaSP_SQ_EUlSP_E0_NS1_11comp_targetILNS1_3genE9ELNS1_11target_archE1100ELNS1_3gpuE3ELNS1_3repE0EEENS1_30default_config_static_selectorELNS0_4arch9wavefront6targetE1EEEvT1_,comdat
	.protected	_ZN7rocprim17ROCPRIM_400000_NS6detail17trampoline_kernelINS0_14default_configENS1_20scan_config_selectorIsEEZZNS1_9scan_implILNS1_25lookback_scan_determinismE0ELb1ELb1ES3_N6thrust23THRUST_200600_302600_NS6detail15normal_iteratorINS9_10device_ptrIsEEEESE_s11max_functorIsEsEEDaPvRmT3_T4_T5_mT6_P12ihipStream_tbENKUlT_T0_E_clISt17integral_constantIbLb1EESU_EEDaSP_SQ_EUlSP_E0_NS1_11comp_targetILNS1_3genE9ELNS1_11target_archE1100ELNS1_3gpuE3ELNS1_3repE0EEENS1_30default_config_static_selectorELNS0_4arch9wavefront6targetE1EEEvT1_ ; -- Begin function _ZN7rocprim17ROCPRIM_400000_NS6detail17trampoline_kernelINS0_14default_configENS1_20scan_config_selectorIsEEZZNS1_9scan_implILNS1_25lookback_scan_determinismE0ELb1ELb1ES3_N6thrust23THRUST_200600_302600_NS6detail15normal_iteratorINS9_10device_ptrIsEEEESE_s11max_functorIsEsEEDaPvRmT3_T4_T5_mT6_P12ihipStream_tbENKUlT_T0_E_clISt17integral_constantIbLb1EESU_EEDaSP_SQ_EUlSP_E0_NS1_11comp_targetILNS1_3genE9ELNS1_11target_archE1100ELNS1_3gpuE3ELNS1_3repE0EEENS1_30default_config_static_selectorELNS0_4arch9wavefront6targetE1EEEvT1_
	.globl	_ZN7rocprim17ROCPRIM_400000_NS6detail17trampoline_kernelINS0_14default_configENS1_20scan_config_selectorIsEEZZNS1_9scan_implILNS1_25lookback_scan_determinismE0ELb1ELb1ES3_N6thrust23THRUST_200600_302600_NS6detail15normal_iteratorINS9_10device_ptrIsEEEESE_s11max_functorIsEsEEDaPvRmT3_T4_T5_mT6_P12ihipStream_tbENKUlT_T0_E_clISt17integral_constantIbLb1EESU_EEDaSP_SQ_EUlSP_E0_NS1_11comp_targetILNS1_3genE9ELNS1_11target_archE1100ELNS1_3gpuE3ELNS1_3repE0EEENS1_30default_config_static_selectorELNS0_4arch9wavefront6targetE1EEEvT1_
	.p2align	8
	.type	_ZN7rocprim17ROCPRIM_400000_NS6detail17trampoline_kernelINS0_14default_configENS1_20scan_config_selectorIsEEZZNS1_9scan_implILNS1_25lookback_scan_determinismE0ELb1ELb1ES3_N6thrust23THRUST_200600_302600_NS6detail15normal_iteratorINS9_10device_ptrIsEEEESE_s11max_functorIsEsEEDaPvRmT3_T4_T5_mT6_P12ihipStream_tbENKUlT_T0_E_clISt17integral_constantIbLb1EESU_EEDaSP_SQ_EUlSP_E0_NS1_11comp_targetILNS1_3genE9ELNS1_11target_archE1100ELNS1_3gpuE3ELNS1_3repE0EEENS1_30default_config_static_selectorELNS0_4arch9wavefront6targetE1EEEvT1_,@function
_ZN7rocprim17ROCPRIM_400000_NS6detail17trampoline_kernelINS0_14default_configENS1_20scan_config_selectorIsEEZZNS1_9scan_implILNS1_25lookback_scan_determinismE0ELb1ELb1ES3_N6thrust23THRUST_200600_302600_NS6detail15normal_iteratorINS9_10device_ptrIsEEEESE_s11max_functorIsEsEEDaPvRmT3_T4_T5_mT6_P12ihipStream_tbENKUlT_T0_E_clISt17integral_constantIbLb1EESU_EEDaSP_SQ_EUlSP_E0_NS1_11comp_targetILNS1_3genE9ELNS1_11target_archE1100ELNS1_3gpuE3ELNS1_3repE0EEENS1_30default_config_static_selectorELNS0_4arch9wavefront6targetE1EEEvT1_: ; @_ZN7rocprim17ROCPRIM_400000_NS6detail17trampoline_kernelINS0_14default_configENS1_20scan_config_selectorIsEEZZNS1_9scan_implILNS1_25lookback_scan_determinismE0ELb1ELb1ES3_N6thrust23THRUST_200600_302600_NS6detail15normal_iteratorINS9_10device_ptrIsEEEESE_s11max_functorIsEsEEDaPvRmT3_T4_T5_mT6_P12ihipStream_tbENKUlT_T0_E_clISt17integral_constantIbLb1EESU_EEDaSP_SQ_EUlSP_E0_NS1_11comp_targetILNS1_3genE9ELNS1_11target_archE1100ELNS1_3gpuE3ELNS1_3repE0EEENS1_30default_config_static_selectorELNS0_4arch9wavefront6targetE1EEEvT1_
; %bb.0:
	.section	.rodata,"a",@progbits
	.p2align	6, 0x0
	.amdhsa_kernel _ZN7rocprim17ROCPRIM_400000_NS6detail17trampoline_kernelINS0_14default_configENS1_20scan_config_selectorIsEEZZNS1_9scan_implILNS1_25lookback_scan_determinismE0ELb1ELb1ES3_N6thrust23THRUST_200600_302600_NS6detail15normal_iteratorINS9_10device_ptrIsEEEESE_s11max_functorIsEsEEDaPvRmT3_T4_T5_mT6_P12ihipStream_tbENKUlT_T0_E_clISt17integral_constantIbLb1EESU_EEDaSP_SQ_EUlSP_E0_NS1_11comp_targetILNS1_3genE9ELNS1_11target_archE1100ELNS1_3gpuE3ELNS1_3repE0EEENS1_30default_config_static_selectorELNS0_4arch9wavefront6targetE1EEEvT1_
		.amdhsa_group_segment_fixed_size 0
		.amdhsa_private_segment_fixed_size 0
		.amdhsa_kernarg_size 32
		.amdhsa_user_sgpr_count 6
		.amdhsa_user_sgpr_private_segment_buffer 1
		.amdhsa_user_sgpr_dispatch_ptr 0
		.amdhsa_user_sgpr_queue_ptr 0
		.amdhsa_user_sgpr_kernarg_segment_ptr 1
		.amdhsa_user_sgpr_dispatch_id 0
		.amdhsa_user_sgpr_flat_scratch_init 0
		.amdhsa_user_sgpr_kernarg_preload_length 0
		.amdhsa_user_sgpr_kernarg_preload_offset 0
		.amdhsa_user_sgpr_private_segment_size 0
		.amdhsa_uses_dynamic_stack 0
		.amdhsa_system_sgpr_private_segment_wavefront_offset 0
		.amdhsa_system_sgpr_workgroup_id_x 1
		.amdhsa_system_sgpr_workgroup_id_y 0
		.amdhsa_system_sgpr_workgroup_id_z 0
		.amdhsa_system_sgpr_workgroup_info 0
		.amdhsa_system_vgpr_workitem_id 0
		.amdhsa_next_free_vgpr 1
		.amdhsa_next_free_sgpr 0
		.amdhsa_accum_offset 4
		.amdhsa_reserve_vcc 0
		.amdhsa_reserve_flat_scratch 0
		.amdhsa_float_round_mode_32 0
		.amdhsa_float_round_mode_16_64 0
		.amdhsa_float_denorm_mode_32 3
		.amdhsa_float_denorm_mode_16_64 3
		.amdhsa_dx10_clamp 1
		.amdhsa_ieee_mode 1
		.amdhsa_fp16_overflow 0
		.amdhsa_tg_split 0
		.amdhsa_exception_fp_ieee_invalid_op 0
		.amdhsa_exception_fp_denorm_src 0
		.amdhsa_exception_fp_ieee_div_zero 0
		.amdhsa_exception_fp_ieee_overflow 0
		.amdhsa_exception_fp_ieee_underflow 0
		.amdhsa_exception_fp_ieee_inexact 0
		.amdhsa_exception_int_div_zero 0
	.end_amdhsa_kernel
	.section	.text._ZN7rocprim17ROCPRIM_400000_NS6detail17trampoline_kernelINS0_14default_configENS1_20scan_config_selectorIsEEZZNS1_9scan_implILNS1_25lookback_scan_determinismE0ELb1ELb1ES3_N6thrust23THRUST_200600_302600_NS6detail15normal_iteratorINS9_10device_ptrIsEEEESE_s11max_functorIsEsEEDaPvRmT3_T4_T5_mT6_P12ihipStream_tbENKUlT_T0_E_clISt17integral_constantIbLb1EESU_EEDaSP_SQ_EUlSP_E0_NS1_11comp_targetILNS1_3genE9ELNS1_11target_archE1100ELNS1_3gpuE3ELNS1_3repE0EEENS1_30default_config_static_selectorELNS0_4arch9wavefront6targetE1EEEvT1_,"axG",@progbits,_ZN7rocprim17ROCPRIM_400000_NS6detail17trampoline_kernelINS0_14default_configENS1_20scan_config_selectorIsEEZZNS1_9scan_implILNS1_25lookback_scan_determinismE0ELb1ELb1ES3_N6thrust23THRUST_200600_302600_NS6detail15normal_iteratorINS9_10device_ptrIsEEEESE_s11max_functorIsEsEEDaPvRmT3_T4_T5_mT6_P12ihipStream_tbENKUlT_T0_E_clISt17integral_constantIbLb1EESU_EEDaSP_SQ_EUlSP_E0_NS1_11comp_targetILNS1_3genE9ELNS1_11target_archE1100ELNS1_3gpuE3ELNS1_3repE0EEENS1_30default_config_static_selectorELNS0_4arch9wavefront6targetE1EEEvT1_,comdat
.Lfunc_end2952:
	.size	_ZN7rocprim17ROCPRIM_400000_NS6detail17trampoline_kernelINS0_14default_configENS1_20scan_config_selectorIsEEZZNS1_9scan_implILNS1_25lookback_scan_determinismE0ELb1ELb1ES3_N6thrust23THRUST_200600_302600_NS6detail15normal_iteratorINS9_10device_ptrIsEEEESE_s11max_functorIsEsEEDaPvRmT3_T4_T5_mT6_P12ihipStream_tbENKUlT_T0_E_clISt17integral_constantIbLb1EESU_EEDaSP_SQ_EUlSP_E0_NS1_11comp_targetILNS1_3genE9ELNS1_11target_archE1100ELNS1_3gpuE3ELNS1_3repE0EEENS1_30default_config_static_selectorELNS0_4arch9wavefront6targetE1EEEvT1_, .Lfunc_end2952-_ZN7rocprim17ROCPRIM_400000_NS6detail17trampoline_kernelINS0_14default_configENS1_20scan_config_selectorIsEEZZNS1_9scan_implILNS1_25lookback_scan_determinismE0ELb1ELb1ES3_N6thrust23THRUST_200600_302600_NS6detail15normal_iteratorINS9_10device_ptrIsEEEESE_s11max_functorIsEsEEDaPvRmT3_T4_T5_mT6_P12ihipStream_tbENKUlT_T0_E_clISt17integral_constantIbLb1EESU_EEDaSP_SQ_EUlSP_E0_NS1_11comp_targetILNS1_3genE9ELNS1_11target_archE1100ELNS1_3gpuE3ELNS1_3repE0EEENS1_30default_config_static_selectorELNS0_4arch9wavefront6targetE1EEEvT1_
                                        ; -- End function
	.section	.AMDGPU.csdata,"",@progbits
; Kernel info:
; codeLenInByte = 0
; NumSgprs: 4
; NumVgprs: 0
; NumAgprs: 0
; TotalNumVgprs: 0
; ScratchSize: 0
; MemoryBound: 0
; FloatMode: 240
; IeeeMode: 1
; LDSByteSize: 0 bytes/workgroup (compile time only)
; SGPRBlocks: 0
; VGPRBlocks: 0
; NumSGPRsForWavesPerEU: 4
; NumVGPRsForWavesPerEU: 1
; AccumOffset: 4
; Occupancy: 8
; WaveLimiterHint : 0
; COMPUTE_PGM_RSRC2:SCRATCH_EN: 0
; COMPUTE_PGM_RSRC2:USER_SGPR: 6
; COMPUTE_PGM_RSRC2:TRAP_HANDLER: 0
; COMPUTE_PGM_RSRC2:TGID_X_EN: 1
; COMPUTE_PGM_RSRC2:TGID_Y_EN: 0
; COMPUTE_PGM_RSRC2:TGID_Z_EN: 0
; COMPUTE_PGM_RSRC2:TIDIG_COMP_CNT: 0
; COMPUTE_PGM_RSRC3_GFX90A:ACCUM_OFFSET: 0
; COMPUTE_PGM_RSRC3_GFX90A:TG_SPLIT: 0
	.section	.text._ZN7rocprim17ROCPRIM_400000_NS6detail17trampoline_kernelINS0_14default_configENS1_20scan_config_selectorIsEEZZNS1_9scan_implILNS1_25lookback_scan_determinismE0ELb1ELb1ES3_N6thrust23THRUST_200600_302600_NS6detail15normal_iteratorINS9_10device_ptrIsEEEESE_s11max_functorIsEsEEDaPvRmT3_T4_T5_mT6_P12ihipStream_tbENKUlT_T0_E_clISt17integral_constantIbLb1EESU_EEDaSP_SQ_EUlSP_E0_NS1_11comp_targetILNS1_3genE8ELNS1_11target_archE1030ELNS1_3gpuE2ELNS1_3repE0EEENS1_30default_config_static_selectorELNS0_4arch9wavefront6targetE1EEEvT1_,"axG",@progbits,_ZN7rocprim17ROCPRIM_400000_NS6detail17trampoline_kernelINS0_14default_configENS1_20scan_config_selectorIsEEZZNS1_9scan_implILNS1_25lookback_scan_determinismE0ELb1ELb1ES3_N6thrust23THRUST_200600_302600_NS6detail15normal_iteratorINS9_10device_ptrIsEEEESE_s11max_functorIsEsEEDaPvRmT3_T4_T5_mT6_P12ihipStream_tbENKUlT_T0_E_clISt17integral_constantIbLb1EESU_EEDaSP_SQ_EUlSP_E0_NS1_11comp_targetILNS1_3genE8ELNS1_11target_archE1030ELNS1_3gpuE2ELNS1_3repE0EEENS1_30default_config_static_selectorELNS0_4arch9wavefront6targetE1EEEvT1_,comdat
	.protected	_ZN7rocprim17ROCPRIM_400000_NS6detail17trampoline_kernelINS0_14default_configENS1_20scan_config_selectorIsEEZZNS1_9scan_implILNS1_25lookback_scan_determinismE0ELb1ELb1ES3_N6thrust23THRUST_200600_302600_NS6detail15normal_iteratorINS9_10device_ptrIsEEEESE_s11max_functorIsEsEEDaPvRmT3_T4_T5_mT6_P12ihipStream_tbENKUlT_T0_E_clISt17integral_constantIbLb1EESU_EEDaSP_SQ_EUlSP_E0_NS1_11comp_targetILNS1_3genE8ELNS1_11target_archE1030ELNS1_3gpuE2ELNS1_3repE0EEENS1_30default_config_static_selectorELNS0_4arch9wavefront6targetE1EEEvT1_ ; -- Begin function _ZN7rocprim17ROCPRIM_400000_NS6detail17trampoline_kernelINS0_14default_configENS1_20scan_config_selectorIsEEZZNS1_9scan_implILNS1_25lookback_scan_determinismE0ELb1ELb1ES3_N6thrust23THRUST_200600_302600_NS6detail15normal_iteratorINS9_10device_ptrIsEEEESE_s11max_functorIsEsEEDaPvRmT3_T4_T5_mT6_P12ihipStream_tbENKUlT_T0_E_clISt17integral_constantIbLb1EESU_EEDaSP_SQ_EUlSP_E0_NS1_11comp_targetILNS1_3genE8ELNS1_11target_archE1030ELNS1_3gpuE2ELNS1_3repE0EEENS1_30default_config_static_selectorELNS0_4arch9wavefront6targetE1EEEvT1_
	.globl	_ZN7rocprim17ROCPRIM_400000_NS6detail17trampoline_kernelINS0_14default_configENS1_20scan_config_selectorIsEEZZNS1_9scan_implILNS1_25lookback_scan_determinismE0ELb1ELb1ES3_N6thrust23THRUST_200600_302600_NS6detail15normal_iteratorINS9_10device_ptrIsEEEESE_s11max_functorIsEsEEDaPvRmT3_T4_T5_mT6_P12ihipStream_tbENKUlT_T0_E_clISt17integral_constantIbLb1EESU_EEDaSP_SQ_EUlSP_E0_NS1_11comp_targetILNS1_3genE8ELNS1_11target_archE1030ELNS1_3gpuE2ELNS1_3repE0EEENS1_30default_config_static_selectorELNS0_4arch9wavefront6targetE1EEEvT1_
	.p2align	8
	.type	_ZN7rocprim17ROCPRIM_400000_NS6detail17trampoline_kernelINS0_14default_configENS1_20scan_config_selectorIsEEZZNS1_9scan_implILNS1_25lookback_scan_determinismE0ELb1ELb1ES3_N6thrust23THRUST_200600_302600_NS6detail15normal_iteratorINS9_10device_ptrIsEEEESE_s11max_functorIsEsEEDaPvRmT3_T4_T5_mT6_P12ihipStream_tbENKUlT_T0_E_clISt17integral_constantIbLb1EESU_EEDaSP_SQ_EUlSP_E0_NS1_11comp_targetILNS1_3genE8ELNS1_11target_archE1030ELNS1_3gpuE2ELNS1_3repE0EEENS1_30default_config_static_selectorELNS0_4arch9wavefront6targetE1EEEvT1_,@function
_ZN7rocprim17ROCPRIM_400000_NS6detail17trampoline_kernelINS0_14default_configENS1_20scan_config_selectorIsEEZZNS1_9scan_implILNS1_25lookback_scan_determinismE0ELb1ELb1ES3_N6thrust23THRUST_200600_302600_NS6detail15normal_iteratorINS9_10device_ptrIsEEEESE_s11max_functorIsEsEEDaPvRmT3_T4_T5_mT6_P12ihipStream_tbENKUlT_T0_E_clISt17integral_constantIbLb1EESU_EEDaSP_SQ_EUlSP_E0_NS1_11comp_targetILNS1_3genE8ELNS1_11target_archE1030ELNS1_3gpuE2ELNS1_3repE0EEENS1_30default_config_static_selectorELNS0_4arch9wavefront6targetE1EEEvT1_: ; @_ZN7rocprim17ROCPRIM_400000_NS6detail17trampoline_kernelINS0_14default_configENS1_20scan_config_selectorIsEEZZNS1_9scan_implILNS1_25lookback_scan_determinismE0ELb1ELb1ES3_N6thrust23THRUST_200600_302600_NS6detail15normal_iteratorINS9_10device_ptrIsEEEESE_s11max_functorIsEsEEDaPvRmT3_T4_T5_mT6_P12ihipStream_tbENKUlT_T0_E_clISt17integral_constantIbLb1EESU_EEDaSP_SQ_EUlSP_E0_NS1_11comp_targetILNS1_3genE8ELNS1_11target_archE1030ELNS1_3gpuE2ELNS1_3repE0EEENS1_30default_config_static_selectorELNS0_4arch9wavefront6targetE1EEEvT1_
; %bb.0:
	.section	.rodata,"a",@progbits
	.p2align	6, 0x0
	.amdhsa_kernel _ZN7rocprim17ROCPRIM_400000_NS6detail17trampoline_kernelINS0_14default_configENS1_20scan_config_selectorIsEEZZNS1_9scan_implILNS1_25lookback_scan_determinismE0ELb1ELb1ES3_N6thrust23THRUST_200600_302600_NS6detail15normal_iteratorINS9_10device_ptrIsEEEESE_s11max_functorIsEsEEDaPvRmT3_T4_T5_mT6_P12ihipStream_tbENKUlT_T0_E_clISt17integral_constantIbLb1EESU_EEDaSP_SQ_EUlSP_E0_NS1_11comp_targetILNS1_3genE8ELNS1_11target_archE1030ELNS1_3gpuE2ELNS1_3repE0EEENS1_30default_config_static_selectorELNS0_4arch9wavefront6targetE1EEEvT1_
		.amdhsa_group_segment_fixed_size 0
		.amdhsa_private_segment_fixed_size 0
		.amdhsa_kernarg_size 32
		.amdhsa_user_sgpr_count 6
		.amdhsa_user_sgpr_private_segment_buffer 1
		.amdhsa_user_sgpr_dispatch_ptr 0
		.amdhsa_user_sgpr_queue_ptr 0
		.amdhsa_user_sgpr_kernarg_segment_ptr 1
		.amdhsa_user_sgpr_dispatch_id 0
		.amdhsa_user_sgpr_flat_scratch_init 0
		.amdhsa_user_sgpr_kernarg_preload_length 0
		.amdhsa_user_sgpr_kernarg_preload_offset 0
		.amdhsa_user_sgpr_private_segment_size 0
		.amdhsa_uses_dynamic_stack 0
		.amdhsa_system_sgpr_private_segment_wavefront_offset 0
		.amdhsa_system_sgpr_workgroup_id_x 1
		.amdhsa_system_sgpr_workgroup_id_y 0
		.amdhsa_system_sgpr_workgroup_id_z 0
		.amdhsa_system_sgpr_workgroup_info 0
		.amdhsa_system_vgpr_workitem_id 0
		.amdhsa_next_free_vgpr 1
		.amdhsa_next_free_sgpr 0
		.amdhsa_accum_offset 4
		.amdhsa_reserve_vcc 0
		.amdhsa_reserve_flat_scratch 0
		.amdhsa_float_round_mode_32 0
		.amdhsa_float_round_mode_16_64 0
		.amdhsa_float_denorm_mode_32 3
		.amdhsa_float_denorm_mode_16_64 3
		.amdhsa_dx10_clamp 1
		.amdhsa_ieee_mode 1
		.amdhsa_fp16_overflow 0
		.amdhsa_tg_split 0
		.amdhsa_exception_fp_ieee_invalid_op 0
		.amdhsa_exception_fp_denorm_src 0
		.amdhsa_exception_fp_ieee_div_zero 0
		.amdhsa_exception_fp_ieee_overflow 0
		.amdhsa_exception_fp_ieee_underflow 0
		.amdhsa_exception_fp_ieee_inexact 0
		.amdhsa_exception_int_div_zero 0
	.end_amdhsa_kernel
	.section	.text._ZN7rocprim17ROCPRIM_400000_NS6detail17trampoline_kernelINS0_14default_configENS1_20scan_config_selectorIsEEZZNS1_9scan_implILNS1_25lookback_scan_determinismE0ELb1ELb1ES3_N6thrust23THRUST_200600_302600_NS6detail15normal_iteratorINS9_10device_ptrIsEEEESE_s11max_functorIsEsEEDaPvRmT3_T4_T5_mT6_P12ihipStream_tbENKUlT_T0_E_clISt17integral_constantIbLb1EESU_EEDaSP_SQ_EUlSP_E0_NS1_11comp_targetILNS1_3genE8ELNS1_11target_archE1030ELNS1_3gpuE2ELNS1_3repE0EEENS1_30default_config_static_selectorELNS0_4arch9wavefront6targetE1EEEvT1_,"axG",@progbits,_ZN7rocprim17ROCPRIM_400000_NS6detail17trampoline_kernelINS0_14default_configENS1_20scan_config_selectorIsEEZZNS1_9scan_implILNS1_25lookback_scan_determinismE0ELb1ELb1ES3_N6thrust23THRUST_200600_302600_NS6detail15normal_iteratorINS9_10device_ptrIsEEEESE_s11max_functorIsEsEEDaPvRmT3_T4_T5_mT6_P12ihipStream_tbENKUlT_T0_E_clISt17integral_constantIbLb1EESU_EEDaSP_SQ_EUlSP_E0_NS1_11comp_targetILNS1_3genE8ELNS1_11target_archE1030ELNS1_3gpuE2ELNS1_3repE0EEENS1_30default_config_static_selectorELNS0_4arch9wavefront6targetE1EEEvT1_,comdat
.Lfunc_end2953:
	.size	_ZN7rocprim17ROCPRIM_400000_NS6detail17trampoline_kernelINS0_14default_configENS1_20scan_config_selectorIsEEZZNS1_9scan_implILNS1_25lookback_scan_determinismE0ELb1ELb1ES3_N6thrust23THRUST_200600_302600_NS6detail15normal_iteratorINS9_10device_ptrIsEEEESE_s11max_functorIsEsEEDaPvRmT3_T4_T5_mT6_P12ihipStream_tbENKUlT_T0_E_clISt17integral_constantIbLb1EESU_EEDaSP_SQ_EUlSP_E0_NS1_11comp_targetILNS1_3genE8ELNS1_11target_archE1030ELNS1_3gpuE2ELNS1_3repE0EEENS1_30default_config_static_selectorELNS0_4arch9wavefront6targetE1EEEvT1_, .Lfunc_end2953-_ZN7rocprim17ROCPRIM_400000_NS6detail17trampoline_kernelINS0_14default_configENS1_20scan_config_selectorIsEEZZNS1_9scan_implILNS1_25lookback_scan_determinismE0ELb1ELb1ES3_N6thrust23THRUST_200600_302600_NS6detail15normal_iteratorINS9_10device_ptrIsEEEESE_s11max_functorIsEsEEDaPvRmT3_T4_T5_mT6_P12ihipStream_tbENKUlT_T0_E_clISt17integral_constantIbLb1EESU_EEDaSP_SQ_EUlSP_E0_NS1_11comp_targetILNS1_3genE8ELNS1_11target_archE1030ELNS1_3gpuE2ELNS1_3repE0EEENS1_30default_config_static_selectorELNS0_4arch9wavefront6targetE1EEEvT1_
                                        ; -- End function
	.section	.AMDGPU.csdata,"",@progbits
; Kernel info:
; codeLenInByte = 0
; NumSgprs: 4
; NumVgprs: 0
; NumAgprs: 0
; TotalNumVgprs: 0
; ScratchSize: 0
; MemoryBound: 0
; FloatMode: 240
; IeeeMode: 1
; LDSByteSize: 0 bytes/workgroup (compile time only)
; SGPRBlocks: 0
; VGPRBlocks: 0
; NumSGPRsForWavesPerEU: 4
; NumVGPRsForWavesPerEU: 1
; AccumOffset: 4
; Occupancy: 8
; WaveLimiterHint : 0
; COMPUTE_PGM_RSRC2:SCRATCH_EN: 0
; COMPUTE_PGM_RSRC2:USER_SGPR: 6
; COMPUTE_PGM_RSRC2:TRAP_HANDLER: 0
; COMPUTE_PGM_RSRC2:TGID_X_EN: 1
; COMPUTE_PGM_RSRC2:TGID_Y_EN: 0
; COMPUTE_PGM_RSRC2:TGID_Z_EN: 0
; COMPUTE_PGM_RSRC2:TIDIG_COMP_CNT: 0
; COMPUTE_PGM_RSRC3_GFX90A:ACCUM_OFFSET: 0
; COMPUTE_PGM_RSRC3_GFX90A:TG_SPLIT: 0
	.section	.text._ZN7rocprim17ROCPRIM_400000_NS6detail17trampoline_kernelINS0_14default_configENS1_20scan_config_selectorIsEEZZNS1_9scan_implILNS1_25lookback_scan_determinismE0ELb1ELb1ES3_N6thrust23THRUST_200600_302600_NS6detail15normal_iteratorINS9_10device_ptrIsEEEESE_s11max_functorIsEsEEDaPvRmT3_T4_T5_mT6_P12ihipStream_tbENKUlT_T0_E_clISt17integral_constantIbLb1EEST_IbLb0EEEEDaSP_SQ_EUlSP_E_NS1_11comp_targetILNS1_3genE0ELNS1_11target_archE4294967295ELNS1_3gpuE0ELNS1_3repE0EEENS1_30default_config_static_selectorELNS0_4arch9wavefront6targetE1EEEvT1_,"axG",@progbits,_ZN7rocprim17ROCPRIM_400000_NS6detail17trampoline_kernelINS0_14default_configENS1_20scan_config_selectorIsEEZZNS1_9scan_implILNS1_25lookback_scan_determinismE0ELb1ELb1ES3_N6thrust23THRUST_200600_302600_NS6detail15normal_iteratorINS9_10device_ptrIsEEEESE_s11max_functorIsEsEEDaPvRmT3_T4_T5_mT6_P12ihipStream_tbENKUlT_T0_E_clISt17integral_constantIbLb1EEST_IbLb0EEEEDaSP_SQ_EUlSP_E_NS1_11comp_targetILNS1_3genE0ELNS1_11target_archE4294967295ELNS1_3gpuE0ELNS1_3repE0EEENS1_30default_config_static_selectorELNS0_4arch9wavefront6targetE1EEEvT1_,comdat
	.protected	_ZN7rocprim17ROCPRIM_400000_NS6detail17trampoline_kernelINS0_14default_configENS1_20scan_config_selectorIsEEZZNS1_9scan_implILNS1_25lookback_scan_determinismE0ELb1ELb1ES3_N6thrust23THRUST_200600_302600_NS6detail15normal_iteratorINS9_10device_ptrIsEEEESE_s11max_functorIsEsEEDaPvRmT3_T4_T5_mT6_P12ihipStream_tbENKUlT_T0_E_clISt17integral_constantIbLb1EEST_IbLb0EEEEDaSP_SQ_EUlSP_E_NS1_11comp_targetILNS1_3genE0ELNS1_11target_archE4294967295ELNS1_3gpuE0ELNS1_3repE0EEENS1_30default_config_static_selectorELNS0_4arch9wavefront6targetE1EEEvT1_ ; -- Begin function _ZN7rocprim17ROCPRIM_400000_NS6detail17trampoline_kernelINS0_14default_configENS1_20scan_config_selectorIsEEZZNS1_9scan_implILNS1_25lookback_scan_determinismE0ELb1ELb1ES3_N6thrust23THRUST_200600_302600_NS6detail15normal_iteratorINS9_10device_ptrIsEEEESE_s11max_functorIsEsEEDaPvRmT3_T4_T5_mT6_P12ihipStream_tbENKUlT_T0_E_clISt17integral_constantIbLb1EEST_IbLb0EEEEDaSP_SQ_EUlSP_E_NS1_11comp_targetILNS1_3genE0ELNS1_11target_archE4294967295ELNS1_3gpuE0ELNS1_3repE0EEENS1_30default_config_static_selectorELNS0_4arch9wavefront6targetE1EEEvT1_
	.globl	_ZN7rocprim17ROCPRIM_400000_NS6detail17trampoline_kernelINS0_14default_configENS1_20scan_config_selectorIsEEZZNS1_9scan_implILNS1_25lookback_scan_determinismE0ELb1ELb1ES3_N6thrust23THRUST_200600_302600_NS6detail15normal_iteratorINS9_10device_ptrIsEEEESE_s11max_functorIsEsEEDaPvRmT3_T4_T5_mT6_P12ihipStream_tbENKUlT_T0_E_clISt17integral_constantIbLb1EEST_IbLb0EEEEDaSP_SQ_EUlSP_E_NS1_11comp_targetILNS1_3genE0ELNS1_11target_archE4294967295ELNS1_3gpuE0ELNS1_3repE0EEENS1_30default_config_static_selectorELNS0_4arch9wavefront6targetE1EEEvT1_
	.p2align	8
	.type	_ZN7rocprim17ROCPRIM_400000_NS6detail17trampoline_kernelINS0_14default_configENS1_20scan_config_selectorIsEEZZNS1_9scan_implILNS1_25lookback_scan_determinismE0ELb1ELb1ES3_N6thrust23THRUST_200600_302600_NS6detail15normal_iteratorINS9_10device_ptrIsEEEESE_s11max_functorIsEsEEDaPvRmT3_T4_T5_mT6_P12ihipStream_tbENKUlT_T0_E_clISt17integral_constantIbLb1EEST_IbLb0EEEEDaSP_SQ_EUlSP_E_NS1_11comp_targetILNS1_3genE0ELNS1_11target_archE4294967295ELNS1_3gpuE0ELNS1_3repE0EEENS1_30default_config_static_selectorELNS0_4arch9wavefront6targetE1EEEvT1_,@function
_ZN7rocprim17ROCPRIM_400000_NS6detail17trampoline_kernelINS0_14default_configENS1_20scan_config_selectorIsEEZZNS1_9scan_implILNS1_25lookback_scan_determinismE0ELb1ELb1ES3_N6thrust23THRUST_200600_302600_NS6detail15normal_iteratorINS9_10device_ptrIsEEEESE_s11max_functorIsEsEEDaPvRmT3_T4_T5_mT6_P12ihipStream_tbENKUlT_T0_E_clISt17integral_constantIbLb1EEST_IbLb0EEEEDaSP_SQ_EUlSP_E_NS1_11comp_targetILNS1_3genE0ELNS1_11target_archE4294967295ELNS1_3gpuE0ELNS1_3repE0EEENS1_30default_config_static_selectorELNS0_4arch9wavefront6targetE1EEEvT1_: ; @_ZN7rocprim17ROCPRIM_400000_NS6detail17trampoline_kernelINS0_14default_configENS1_20scan_config_selectorIsEEZZNS1_9scan_implILNS1_25lookback_scan_determinismE0ELb1ELb1ES3_N6thrust23THRUST_200600_302600_NS6detail15normal_iteratorINS9_10device_ptrIsEEEESE_s11max_functorIsEsEEDaPvRmT3_T4_T5_mT6_P12ihipStream_tbENKUlT_T0_E_clISt17integral_constantIbLb1EEST_IbLb0EEEEDaSP_SQ_EUlSP_E_NS1_11comp_targetILNS1_3genE0ELNS1_11target_archE4294967295ELNS1_3gpuE0ELNS1_3repE0EEENS1_30default_config_static_selectorELNS0_4arch9wavefront6targetE1EEEvT1_
; %bb.0:
	.section	.rodata,"a",@progbits
	.p2align	6, 0x0
	.amdhsa_kernel _ZN7rocprim17ROCPRIM_400000_NS6detail17trampoline_kernelINS0_14default_configENS1_20scan_config_selectorIsEEZZNS1_9scan_implILNS1_25lookback_scan_determinismE0ELb1ELb1ES3_N6thrust23THRUST_200600_302600_NS6detail15normal_iteratorINS9_10device_ptrIsEEEESE_s11max_functorIsEsEEDaPvRmT3_T4_T5_mT6_P12ihipStream_tbENKUlT_T0_E_clISt17integral_constantIbLb1EEST_IbLb0EEEEDaSP_SQ_EUlSP_E_NS1_11comp_targetILNS1_3genE0ELNS1_11target_archE4294967295ELNS1_3gpuE0ELNS1_3repE0EEENS1_30default_config_static_selectorELNS0_4arch9wavefront6targetE1EEEvT1_
		.amdhsa_group_segment_fixed_size 0
		.amdhsa_private_segment_fixed_size 0
		.amdhsa_kernarg_size 96
		.amdhsa_user_sgpr_count 6
		.amdhsa_user_sgpr_private_segment_buffer 1
		.amdhsa_user_sgpr_dispatch_ptr 0
		.amdhsa_user_sgpr_queue_ptr 0
		.amdhsa_user_sgpr_kernarg_segment_ptr 1
		.amdhsa_user_sgpr_dispatch_id 0
		.amdhsa_user_sgpr_flat_scratch_init 0
		.amdhsa_user_sgpr_kernarg_preload_length 0
		.amdhsa_user_sgpr_kernarg_preload_offset 0
		.amdhsa_user_sgpr_private_segment_size 0
		.amdhsa_uses_dynamic_stack 0
		.amdhsa_system_sgpr_private_segment_wavefront_offset 0
		.amdhsa_system_sgpr_workgroup_id_x 1
		.amdhsa_system_sgpr_workgroup_id_y 0
		.amdhsa_system_sgpr_workgroup_id_z 0
		.amdhsa_system_sgpr_workgroup_info 0
		.amdhsa_system_vgpr_workitem_id 0
		.amdhsa_next_free_vgpr 1
		.amdhsa_next_free_sgpr 0
		.amdhsa_accum_offset 4
		.amdhsa_reserve_vcc 0
		.amdhsa_reserve_flat_scratch 0
		.amdhsa_float_round_mode_32 0
		.amdhsa_float_round_mode_16_64 0
		.amdhsa_float_denorm_mode_32 3
		.amdhsa_float_denorm_mode_16_64 3
		.amdhsa_dx10_clamp 1
		.amdhsa_ieee_mode 1
		.amdhsa_fp16_overflow 0
		.amdhsa_tg_split 0
		.amdhsa_exception_fp_ieee_invalid_op 0
		.amdhsa_exception_fp_denorm_src 0
		.amdhsa_exception_fp_ieee_div_zero 0
		.amdhsa_exception_fp_ieee_overflow 0
		.amdhsa_exception_fp_ieee_underflow 0
		.amdhsa_exception_fp_ieee_inexact 0
		.amdhsa_exception_int_div_zero 0
	.end_amdhsa_kernel
	.section	.text._ZN7rocprim17ROCPRIM_400000_NS6detail17trampoline_kernelINS0_14default_configENS1_20scan_config_selectorIsEEZZNS1_9scan_implILNS1_25lookback_scan_determinismE0ELb1ELb1ES3_N6thrust23THRUST_200600_302600_NS6detail15normal_iteratorINS9_10device_ptrIsEEEESE_s11max_functorIsEsEEDaPvRmT3_T4_T5_mT6_P12ihipStream_tbENKUlT_T0_E_clISt17integral_constantIbLb1EEST_IbLb0EEEEDaSP_SQ_EUlSP_E_NS1_11comp_targetILNS1_3genE0ELNS1_11target_archE4294967295ELNS1_3gpuE0ELNS1_3repE0EEENS1_30default_config_static_selectorELNS0_4arch9wavefront6targetE1EEEvT1_,"axG",@progbits,_ZN7rocprim17ROCPRIM_400000_NS6detail17trampoline_kernelINS0_14default_configENS1_20scan_config_selectorIsEEZZNS1_9scan_implILNS1_25lookback_scan_determinismE0ELb1ELb1ES3_N6thrust23THRUST_200600_302600_NS6detail15normal_iteratorINS9_10device_ptrIsEEEESE_s11max_functorIsEsEEDaPvRmT3_T4_T5_mT6_P12ihipStream_tbENKUlT_T0_E_clISt17integral_constantIbLb1EEST_IbLb0EEEEDaSP_SQ_EUlSP_E_NS1_11comp_targetILNS1_3genE0ELNS1_11target_archE4294967295ELNS1_3gpuE0ELNS1_3repE0EEENS1_30default_config_static_selectorELNS0_4arch9wavefront6targetE1EEEvT1_,comdat
.Lfunc_end2954:
	.size	_ZN7rocprim17ROCPRIM_400000_NS6detail17trampoline_kernelINS0_14default_configENS1_20scan_config_selectorIsEEZZNS1_9scan_implILNS1_25lookback_scan_determinismE0ELb1ELb1ES3_N6thrust23THRUST_200600_302600_NS6detail15normal_iteratorINS9_10device_ptrIsEEEESE_s11max_functorIsEsEEDaPvRmT3_T4_T5_mT6_P12ihipStream_tbENKUlT_T0_E_clISt17integral_constantIbLb1EEST_IbLb0EEEEDaSP_SQ_EUlSP_E_NS1_11comp_targetILNS1_3genE0ELNS1_11target_archE4294967295ELNS1_3gpuE0ELNS1_3repE0EEENS1_30default_config_static_selectorELNS0_4arch9wavefront6targetE1EEEvT1_, .Lfunc_end2954-_ZN7rocprim17ROCPRIM_400000_NS6detail17trampoline_kernelINS0_14default_configENS1_20scan_config_selectorIsEEZZNS1_9scan_implILNS1_25lookback_scan_determinismE0ELb1ELb1ES3_N6thrust23THRUST_200600_302600_NS6detail15normal_iteratorINS9_10device_ptrIsEEEESE_s11max_functorIsEsEEDaPvRmT3_T4_T5_mT6_P12ihipStream_tbENKUlT_T0_E_clISt17integral_constantIbLb1EEST_IbLb0EEEEDaSP_SQ_EUlSP_E_NS1_11comp_targetILNS1_3genE0ELNS1_11target_archE4294967295ELNS1_3gpuE0ELNS1_3repE0EEENS1_30default_config_static_selectorELNS0_4arch9wavefront6targetE1EEEvT1_
                                        ; -- End function
	.section	.AMDGPU.csdata,"",@progbits
; Kernel info:
; codeLenInByte = 0
; NumSgprs: 4
; NumVgprs: 0
; NumAgprs: 0
; TotalNumVgprs: 0
; ScratchSize: 0
; MemoryBound: 0
; FloatMode: 240
; IeeeMode: 1
; LDSByteSize: 0 bytes/workgroup (compile time only)
; SGPRBlocks: 0
; VGPRBlocks: 0
; NumSGPRsForWavesPerEU: 4
; NumVGPRsForWavesPerEU: 1
; AccumOffset: 4
; Occupancy: 8
; WaveLimiterHint : 0
; COMPUTE_PGM_RSRC2:SCRATCH_EN: 0
; COMPUTE_PGM_RSRC2:USER_SGPR: 6
; COMPUTE_PGM_RSRC2:TRAP_HANDLER: 0
; COMPUTE_PGM_RSRC2:TGID_X_EN: 1
; COMPUTE_PGM_RSRC2:TGID_Y_EN: 0
; COMPUTE_PGM_RSRC2:TGID_Z_EN: 0
; COMPUTE_PGM_RSRC2:TIDIG_COMP_CNT: 0
; COMPUTE_PGM_RSRC3_GFX90A:ACCUM_OFFSET: 0
; COMPUTE_PGM_RSRC3_GFX90A:TG_SPLIT: 0
	.section	.text._ZN7rocprim17ROCPRIM_400000_NS6detail17trampoline_kernelINS0_14default_configENS1_20scan_config_selectorIsEEZZNS1_9scan_implILNS1_25lookback_scan_determinismE0ELb1ELb1ES3_N6thrust23THRUST_200600_302600_NS6detail15normal_iteratorINS9_10device_ptrIsEEEESE_s11max_functorIsEsEEDaPvRmT3_T4_T5_mT6_P12ihipStream_tbENKUlT_T0_E_clISt17integral_constantIbLb1EEST_IbLb0EEEEDaSP_SQ_EUlSP_E_NS1_11comp_targetILNS1_3genE5ELNS1_11target_archE942ELNS1_3gpuE9ELNS1_3repE0EEENS1_30default_config_static_selectorELNS0_4arch9wavefront6targetE1EEEvT1_,"axG",@progbits,_ZN7rocprim17ROCPRIM_400000_NS6detail17trampoline_kernelINS0_14default_configENS1_20scan_config_selectorIsEEZZNS1_9scan_implILNS1_25lookback_scan_determinismE0ELb1ELb1ES3_N6thrust23THRUST_200600_302600_NS6detail15normal_iteratorINS9_10device_ptrIsEEEESE_s11max_functorIsEsEEDaPvRmT3_T4_T5_mT6_P12ihipStream_tbENKUlT_T0_E_clISt17integral_constantIbLb1EEST_IbLb0EEEEDaSP_SQ_EUlSP_E_NS1_11comp_targetILNS1_3genE5ELNS1_11target_archE942ELNS1_3gpuE9ELNS1_3repE0EEENS1_30default_config_static_selectorELNS0_4arch9wavefront6targetE1EEEvT1_,comdat
	.protected	_ZN7rocprim17ROCPRIM_400000_NS6detail17trampoline_kernelINS0_14default_configENS1_20scan_config_selectorIsEEZZNS1_9scan_implILNS1_25lookback_scan_determinismE0ELb1ELb1ES3_N6thrust23THRUST_200600_302600_NS6detail15normal_iteratorINS9_10device_ptrIsEEEESE_s11max_functorIsEsEEDaPvRmT3_T4_T5_mT6_P12ihipStream_tbENKUlT_T0_E_clISt17integral_constantIbLb1EEST_IbLb0EEEEDaSP_SQ_EUlSP_E_NS1_11comp_targetILNS1_3genE5ELNS1_11target_archE942ELNS1_3gpuE9ELNS1_3repE0EEENS1_30default_config_static_selectorELNS0_4arch9wavefront6targetE1EEEvT1_ ; -- Begin function _ZN7rocprim17ROCPRIM_400000_NS6detail17trampoline_kernelINS0_14default_configENS1_20scan_config_selectorIsEEZZNS1_9scan_implILNS1_25lookback_scan_determinismE0ELb1ELb1ES3_N6thrust23THRUST_200600_302600_NS6detail15normal_iteratorINS9_10device_ptrIsEEEESE_s11max_functorIsEsEEDaPvRmT3_T4_T5_mT6_P12ihipStream_tbENKUlT_T0_E_clISt17integral_constantIbLb1EEST_IbLb0EEEEDaSP_SQ_EUlSP_E_NS1_11comp_targetILNS1_3genE5ELNS1_11target_archE942ELNS1_3gpuE9ELNS1_3repE0EEENS1_30default_config_static_selectorELNS0_4arch9wavefront6targetE1EEEvT1_
	.globl	_ZN7rocprim17ROCPRIM_400000_NS6detail17trampoline_kernelINS0_14default_configENS1_20scan_config_selectorIsEEZZNS1_9scan_implILNS1_25lookback_scan_determinismE0ELb1ELb1ES3_N6thrust23THRUST_200600_302600_NS6detail15normal_iteratorINS9_10device_ptrIsEEEESE_s11max_functorIsEsEEDaPvRmT3_T4_T5_mT6_P12ihipStream_tbENKUlT_T0_E_clISt17integral_constantIbLb1EEST_IbLb0EEEEDaSP_SQ_EUlSP_E_NS1_11comp_targetILNS1_3genE5ELNS1_11target_archE942ELNS1_3gpuE9ELNS1_3repE0EEENS1_30default_config_static_selectorELNS0_4arch9wavefront6targetE1EEEvT1_
	.p2align	8
	.type	_ZN7rocprim17ROCPRIM_400000_NS6detail17trampoline_kernelINS0_14default_configENS1_20scan_config_selectorIsEEZZNS1_9scan_implILNS1_25lookback_scan_determinismE0ELb1ELb1ES3_N6thrust23THRUST_200600_302600_NS6detail15normal_iteratorINS9_10device_ptrIsEEEESE_s11max_functorIsEsEEDaPvRmT3_T4_T5_mT6_P12ihipStream_tbENKUlT_T0_E_clISt17integral_constantIbLb1EEST_IbLb0EEEEDaSP_SQ_EUlSP_E_NS1_11comp_targetILNS1_3genE5ELNS1_11target_archE942ELNS1_3gpuE9ELNS1_3repE0EEENS1_30default_config_static_selectorELNS0_4arch9wavefront6targetE1EEEvT1_,@function
_ZN7rocprim17ROCPRIM_400000_NS6detail17trampoline_kernelINS0_14default_configENS1_20scan_config_selectorIsEEZZNS1_9scan_implILNS1_25lookback_scan_determinismE0ELb1ELb1ES3_N6thrust23THRUST_200600_302600_NS6detail15normal_iteratorINS9_10device_ptrIsEEEESE_s11max_functorIsEsEEDaPvRmT3_T4_T5_mT6_P12ihipStream_tbENKUlT_T0_E_clISt17integral_constantIbLb1EEST_IbLb0EEEEDaSP_SQ_EUlSP_E_NS1_11comp_targetILNS1_3genE5ELNS1_11target_archE942ELNS1_3gpuE9ELNS1_3repE0EEENS1_30default_config_static_selectorELNS0_4arch9wavefront6targetE1EEEvT1_: ; @_ZN7rocprim17ROCPRIM_400000_NS6detail17trampoline_kernelINS0_14default_configENS1_20scan_config_selectorIsEEZZNS1_9scan_implILNS1_25lookback_scan_determinismE0ELb1ELb1ES3_N6thrust23THRUST_200600_302600_NS6detail15normal_iteratorINS9_10device_ptrIsEEEESE_s11max_functorIsEsEEDaPvRmT3_T4_T5_mT6_P12ihipStream_tbENKUlT_T0_E_clISt17integral_constantIbLb1EEST_IbLb0EEEEDaSP_SQ_EUlSP_E_NS1_11comp_targetILNS1_3genE5ELNS1_11target_archE942ELNS1_3gpuE9ELNS1_3repE0EEENS1_30default_config_static_selectorELNS0_4arch9wavefront6targetE1EEEvT1_
; %bb.0:
	.section	.rodata,"a",@progbits
	.p2align	6, 0x0
	.amdhsa_kernel _ZN7rocprim17ROCPRIM_400000_NS6detail17trampoline_kernelINS0_14default_configENS1_20scan_config_selectorIsEEZZNS1_9scan_implILNS1_25lookback_scan_determinismE0ELb1ELb1ES3_N6thrust23THRUST_200600_302600_NS6detail15normal_iteratorINS9_10device_ptrIsEEEESE_s11max_functorIsEsEEDaPvRmT3_T4_T5_mT6_P12ihipStream_tbENKUlT_T0_E_clISt17integral_constantIbLb1EEST_IbLb0EEEEDaSP_SQ_EUlSP_E_NS1_11comp_targetILNS1_3genE5ELNS1_11target_archE942ELNS1_3gpuE9ELNS1_3repE0EEENS1_30default_config_static_selectorELNS0_4arch9wavefront6targetE1EEEvT1_
		.amdhsa_group_segment_fixed_size 0
		.amdhsa_private_segment_fixed_size 0
		.amdhsa_kernarg_size 96
		.amdhsa_user_sgpr_count 6
		.amdhsa_user_sgpr_private_segment_buffer 1
		.amdhsa_user_sgpr_dispatch_ptr 0
		.amdhsa_user_sgpr_queue_ptr 0
		.amdhsa_user_sgpr_kernarg_segment_ptr 1
		.amdhsa_user_sgpr_dispatch_id 0
		.amdhsa_user_sgpr_flat_scratch_init 0
		.amdhsa_user_sgpr_kernarg_preload_length 0
		.amdhsa_user_sgpr_kernarg_preload_offset 0
		.amdhsa_user_sgpr_private_segment_size 0
		.amdhsa_uses_dynamic_stack 0
		.amdhsa_system_sgpr_private_segment_wavefront_offset 0
		.amdhsa_system_sgpr_workgroup_id_x 1
		.amdhsa_system_sgpr_workgroup_id_y 0
		.amdhsa_system_sgpr_workgroup_id_z 0
		.amdhsa_system_sgpr_workgroup_info 0
		.amdhsa_system_vgpr_workitem_id 0
		.amdhsa_next_free_vgpr 1
		.amdhsa_next_free_sgpr 0
		.amdhsa_accum_offset 4
		.amdhsa_reserve_vcc 0
		.amdhsa_reserve_flat_scratch 0
		.amdhsa_float_round_mode_32 0
		.amdhsa_float_round_mode_16_64 0
		.amdhsa_float_denorm_mode_32 3
		.amdhsa_float_denorm_mode_16_64 3
		.amdhsa_dx10_clamp 1
		.amdhsa_ieee_mode 1
		.amdhsa_fp16_overflow 0
		.amdhsa_tg_split 0
		.amdhsa_exception_fp_ieee_invalid_op 0
		.amdhsa_exception_fp_denorm_src 0
		.amdhsa_exception_fp_ieee_div_zero 0
		.amdhsa_exception_fp_ieee_overflow 0
		.amdhsa_exception_fp_ieee_underflow 0
		.amdhsa_exception_fp_ieee_inexact 0
		.amdhsa_exception_int_div_zero 0
	.end_amdhsa_kernel
	.section	.text._ZN7rocprim17ROCPRIM_400000_NS6detail17trampoline_kernelINS0_14default_configENS1_20scan_config_selectorIsEEZZNS1_9scan_implILNS1_25lookback_scan_determinismE0ELb1ELb1ES3_N6thrust23THRUST_200600_302600_NS6detail15normal_iteratorINS9_10device_ptrIsEEEESE_s11max_functorIsEsEEDaPvRmT3_T4_T5_mT6_P12ihipStream_tbENKUlT_T0_E_clISt17integral_constantIbLb1EEST_IbLb0EEEEDaSP_SQ_EUlSP_E_NS1_11comp_targetILNS1_3genE5ELNS1_11target_archE942ELNS1_3gpuE9ELNS1_3repE0EEENS1_30default_config_static_selectorELNS0_4arch9wavefront6targetE1EEEvT1_,"axG",@progbits,_ZN7rocprim17ROCPRIM_400000_NS6detail17trampoline_kernelINS0_14default_configENS1_20scan_config_selectorIsEEZZNS1_9scan_implILNS1_25lookback_scan_determinismE0ELb1ELb1ES3_N6thrust23THRUST_200600_302600_NS6detail15normal_iteratorINS9_10device_ptrIsEEEESE_s11max_functorIsEsEEDaPvRmT3_T4_T5_mT6_P12ihipStream_tbENKUlT_T0_E_clISt17integral_constantIbLb1EEST_IbLb0EEEEDaSP_SQ_EUlSP_E_NS1_11comp_targetILNS1_3genE5ELNS1_11target_archE942ELNS1_3gpuE9ELNS1_3repE0EEENS1_30default_config_static_selectorELNS0_4arch9wavefront6targetE1EEEvT1_,comdat
.Lfunc_end2955:
	.size	_ZN7rocprim17ROCPRIM_400000_NS6detail17trampoline_kernelINS0_14default_configENS1_20scan_config_selectorIsEEZZNS1_9scan_implILNS1_25lookback_scan_determinismE0ELb1ELb1ES3_N6thrust23THRUST_200600_302600_NS6detail15normal_iteratorINS9_10device_ptrIsEEEESE_s11max_functorIsEsEEDaPvRmT3_T4_T5_mT6_P12ihipStream_tbENKUlT_T0_E_clISt17integral_constantIbLb1EEST_IbLb0EEEEDaSP_SQ_EUlSP_E_NS1_11comp_targetILNS1_3genE5ELNS1_11target_archE942ELNS1_3gpuE9ELNS1_3repE0EEENS1_30default_config_static_selectorELNS0_4arch9wavefront6targetE1EEEvT1_, .Lfunc_end2955-_ZN7rocprim17ROCPRIM_400000_NS6detail17trampoline_kernelINS0_14default_configENS1_20scan_config_selectorIsEEZZNS1_9scan_implILNS1_25lookback_scan_determinismE0ELb1ELb1ES3_N6thrust23THRUST_200600_302600_NS6detail15normal_iteratorINS9_10device_ptrIsEEEESE_s11max_functorIsEsEEDaPvRmT3_T4_T5_mT6_P12ihipStream_tbENKUlT_T0_E_clISt17integral_constantIbLb1EEST_IbLb0EEEEDaSP_SQ_EUlSP_E_NS1_11comp_targetILNS1_3genE5ELNS1_11target_archE942ELNS1_3gpuE9ELNS1_3repE0EEENS1_30default_config_static_selectorELNS0_4arch9wavefront6targetE1EEEvT1_
                                        ; -- End function
	.section	.AMDGPU.csdata,"",@progbits
; Kernel info:
; codeLenInByte = 0
; NumSgprs: 4
; NumVgprs: 0
; NumAgprs: 0
; TotalNumVgprs: 0
; ScratchSize: 0
; MemoryBound: 0
; FloatMode: 240
; IeeeMode: 1
; LDSByteSize: 0 bytes/workgroup (compile time only)
; SGPRBlocks: 0
; VGPRBlocks: 0
; NumSGPRsForWavesPerEU: 4
; NumVGPRsForWavesPerEU: 1
; AccumOffset: 4
; Occupancy: 8
; WaveLimiterHint : 0
; COMPUTE_PGM_RSRC2:SCRATCH_EN: 0
; COMPUTE_PGM_RSRC2:USER_SGPR: 6
; COMPUTE_PGM_RSRC2:TRAP_HANDLER: 0
; COMPUTE_PGM_RSRC2:TGID_X_EN: 1
; COMPUTE_PGM_RSRC2:TGID_Y_EN: 0
; COMPUTE_PGM_RSRC2:TGID_Z_EN: 0
; COMPUTE_PGM_RSRC2:TIDIG_COMP_CNT: 0
; COMPUTE_PGM_RSRC3_GFX90A:ACCUM_OFFSET: 0
; COMPUTE_PGM_RSRC3_GFX90A:TG_SPLIT: 0
	.section	.text._ZN7rocprim17ROCPRIM_400000_NS6detail17trampoline_kernelINS0_14default_configENS1_20scan_config_selectorIsEEZZNS1_9scan_implILNS1_25lookback_scan_determinismE0ELb1ELb1ES3_N6thrust23THRUST_200600_302600_NS6detail15normal_iteratorINS9_10device_ptrIsEEEESE_s11max_functorIsEsEEDaPvRmT3_T4_T5_mT6_P12ihipStream_tbENKUlT_T0_E_clISt17integral_constantIbLb1EEST_IbLb0EEEEDaSP_SQ_EUlSP_E_NS1_11comp_targetILNS1_3genE4ELNS1_11target_archE910ELNS1_3gpuE8ELNS1_3repE0EEENS1_30default_config_static_selectorELNS0_4arch9wavefront6targetE1EEEvT1_,"axG",@progbits,_ZN7rocprim17ROCPRIM_400000_NS6detail17trampoline_kernelINS0_14default_configENS1_20scan_config_selectorIsEEZZNS1_9scan_implILNS1_25lookback_scan_determinismE0ELb1ELb1ES3_N6thrust23THRUST_200600_302600_NS6detail15normal_iteratorINS9_10device_ptrIsEEEESE_s11max_functorIsEsEEDaPvRmT3_T4_T5_mT6_P12ihipStream_tbENKUlT_T0_E_clISt17integral_constantIbLb1EEST_IbLb0EEEEDaSP_SQ_EUlSP_E_NS1_11comp_targetILNS1_3genE4ELNS1_11target_archE910ELNS1_3gpuE8ELNS1_3repE0EEENS1_30default_config_static_selectorELNS0_4arch9wavefront6targetE1EEEvT1_,comdat
	.protected	_ZN7rocprim17ROCPRIM_400000_NS6detail17trampoline_kernelINS0_14default_configENS1_20scan_config_selectorIsEEZZNS1_9scan_implILNS1_25lookback_scan_determinismE0ELb1ELb1ES3_N6thrust23THRUST_200600_302600_NS6detail15normal_iteratorINS9_10device_ptrIsEEEESE_s11max_functorIsEsEEDaPvRmT3_T4_T5_mT6_P12ihipStream_tbENKUlT_T0_E_clISt17integral_constantIbLb1EEST_IbLb0EEEEDaSP_SQ_EUlSP_E_NS1_11comp_targetILNS1_3genE4ELNS1_11target_archE910ELNS1_3gpuE8ELNS1_3repE0EEENS1_30default_config_static_selectorELNS0_4arch9wavefront6targetE1EEEvT1_ ; -- Begin function _ZN7rocprim17ROCPRIM_400000_NS6detail17trampoline_kernelINS0_14default_configENS1_20scan_config_selectorIsEEZZNS1_9scan_implILNS1_25lookback_scan_determinismE0ELb1ELb1ES3_N6thrust23THRUST_200600_302600_NS6detail15normal_iteratorINS9_10device_ptrIsEEEESE_s11max_functorIsEsEEDaPvRmT3_T4_T5_mT6_P12ihipStream_tbENKUlT_T0_E_clISt17integral_constantIbLb1EEST_IbLb0EEEEDaSP_SQ_EUlSP_E_NS1_11comp_targetILNS1_3genE4ELNS1_11target_archE910ELNS1_3gpuE8ELNS1_3repE0EEENS1_30default_config_static_selectorELNS0_4arch9wavefront6targetE1EEEvT1_
	.globl	_ZN7rocprim17ROCPRIM_400000_NS6detail17trampoline_kernelINS0_14default_configENS1_20scan_config_selectorIsEEZZNS1_9scan_implILNS1_25lookback_scan_determinismE0ELb1ELb1ES3_N6thrust23THRUST_200600_302600_NS6detail15normal_iteratorINS9_10device_ptrIsEEEESE_s11max_functorIsEsEEDaPvRmT3_T4_T5_mT6_P12ihipStream_tbENKUlT_T0_E_clISt17integral_constantIbLb1EEST_IbLb0EEEEDaSP_SQ_EUlSP_E_NS1_11comp_targetILNS1_3genE4ELNS1_11target_archE910ELNS1_3gpuE8ELNS1_3repE0EEENS1_30default_config_static_selectorELNS0_4arch9wavefront6targetE1EEEvT1_
	.p2align	8
	.type	_ZN7rocprim17ROCPRIM_400000_NS6detail17trampoline_kernelINS0_14default_configENS1_20scan_config_selectorIsEEZZNS1_9scan_implILNS1_25lookback_scan_determinismE0ELb1ELb1ES3_N6thrust23THRUST_200600_302600_NS6detail15normal_iteratorINS9_10device_ptrIsEEEESE_s11max_functorIsEsEEDaPvRmT3_T4_T5_mT6_P12ihipStream_tbENKUlT_T0_E_clISt17integral_constantIbLb1EEST_IbLb0EEEEDaSP_SQ_EUlSP_E_NS1_11comp_targetILNS1_3genE4ELNS1_11target_archE910ELNS1_3gpuE8ELNS1_3repE0EEENS1_30default_config_static_selectorELNS0_4arch9wavefront6targetE1EEEvT1_,@function
_ZN7rocprim17ROCPRIM_400000_NS6detail17trampoline_kernelINS0_14default_configENS1_20scan_config_selectorIsEEZZNS1_9scan_implILNS1_25lookback_scan_determinismE0ELb1ELb1ES3_N6thrust23THRUST_200600_302600_NS6detail15normal_iteratorINS9_10device_ptrIsEEEESE_s11max_functorIsEsEEDaPvRmT3_T4_T5_mT6_P12ihipStream_tbENKUlT_T0_E_clISt17integral_constantIbLb1EEST_IbLb0EEEEDaSP_SQ_EUlSP_E_NS1_11comp_targetILNS1_3genE4ELNS1_11target_archE910ELNS1_3gpuE8ELNS1_3repE0EEENS1_30default_config_static_selectorELNS0_4arch9wavefront6targetE1EEEvT1_: ; @_ZN7rocprim17ROCPRIM_400000_NS6detail17trampoline_kernelINS0_14default_configENS1_20scan_config_selectorIsEEZZNS1_9scan_implILNS1_25lookback_scan_determinismE0ELb1ELb1ES3_N6thrust23THRUST_200600_302600_NS6detail15normal_iteratorINS9_10device_ptrIsEEEESE_s11max_functorIsEsEEDaPvRmT3_T4_T5_mT6_P12ihipStream_tbENKUlT_T0_E_clISt17integral_constantIbLb1EEST_IbLb0EEEEDaSP_SQ_EUlSP_E_NS1_11comp_targetILNS1_3genE4ELNS1_11target_archE910ELNS1_3gpuE8ELNS1_3repE0EEENS1_30default_config_static_selectorELNS0_4arch9wavefront6targetE1EEEvT1_
; %bb.0:
	s_load_dwordx8 s[12:19], s[4:5], 0x0
	s_load_dword s1, s[4:5], 0x30
	s_mul_i32 s0, s6, 0x600
	v_lshlrev_b32_e32 v20, 1, v0
	s_waitcnt lgkmcnt(0)
	s_lshl_b64 s[20:21], s[14:15], 1
	s_add_u32 s27, s12, s20
	s_addc_u32 s28, s13, s21
	s_add_i32 s2, s1, -1
	s_mul_i32 s3, s2, 0x600
	s_sub_u32 s7, s18, s3
	s_subb_u32 s26, s19, 0
	s_mov_b32 s1, 0
	s_cmp_lg_u32 s6, s2
	s_cselect_b64 s[18:19], -1, 0
	s_lshl_b64 s[22:23], s[0:1], 1
	s_add_u32 s2, s27, s22
	s_addc_u32 s3, s28, s23
	s_mov_b64 s[0:1], -1
	s_and_b64 vcc, exec, s[18:19]
	s_cbranch_vccz .LBB2956_2
; %bb.1:
	v_mov_b32_e32 v1, s3
	v_add_co_u32_e32 v2, vcc, s2, v20
	v_addc_co_u32_e32 v3, vcc, 0, v1, vcc
	flat_load_ushort v1, v[2:3]
	flat_load_ushort v4, v[2:3] offset:128
	flat_load_ushort v5, v[2:3] offset:256
	;; [unrolled: 1-line block ×23, first 2 shown]
	s_mov_b64 s[0:1], 0
	s_waitcnt vmcnt(0) lgkmcnt(0)
	ds_write_b16 v20, v1
	ds_write_b16 v20, v4 offset:128
	ds_write_b16 v20, v5 offset:256
	;; [unrolled: 1-line block ×23, first 2 shown]
	s_waitcnt lgkmcnt(0)
	; wave barrier
.LBB2956_2:
	s_load_dwordx2 s[24:25], s[4:5], 0x28
	s_andn2_b64 vcc, exec, s[0:1]
	v_cmp_gt_u32_e64 s[0:1], s7, v0
	s_cbranch_vccnz .LBB2956_52
; %bb.3:
	v_pk_mov_b32 v[2:3], s[2:3], s[2:3] op_sel:[0,1]
	flat_load_ushort v1, v[2:3]
	s_waitcnt vmcnt(0) lgkmcnt(0)
	v_mov_b32_e32 v2, v1
	s_and_saveexec_b64 s[8:9], s[0:1]
	s_cbranch_execz .LBB2956_5
; %bb.4:
	v_mov_b32_e32 v3, s3
	v_add_co_u32_e32 v2, vcc, s2, v20
	v_addc_co_u32_e32 v3, vcc, 0, v3, vcc
	flat_load_ushort v2, v[2:3]
.LBB2956_5:
	s_or_b64 exec, exec, s[8:9]
	v_or_b32_e32 v3, 64, v0
	v_cmp_gt_u32_e32 vcc, s7, v3
	v_mov_b32_e32 v3, v1
	s_and_saveexec_b64 s[0:1], vcc
	s_cbranch_execz .LBB2956_7
; %bb.6:
	v_mov_b32_e32 v3, s3
	v_add_co_u32_e32 v4, vcc, s2, v20
	v_addc_co_u32_e32 v5, vcc, 0, v3, vcc
	flat_load_ushort v3, v[4:5] offset:128
.LBB2956_7:
	s_or_b64 exec, exec, s[0:1]
	v_or_b32_e32 v4, 0x80, v0
	v_cmp_gt_u32_e32 vcc, s7, v4
	v_mov_b32_e32 v4, v1
	s_and_saveexec_b64 s[0:1], vcc
	s_cbranch_execz .LBB2956_9
; %bb.8:
	v_mov_b32_e32 v5, s3
	v_add_co_u32_e32 v4, vcc, s2, v20
	v_addc_co_u32_e32 v5, vcc, 0, v5, vcc
	flat_load_ushort v4, v[4:5] offset:256
.LBB2956_9:
	;; [unrolled: 12-line block ×22, first 2 shown]
	s_or_b64 exec, exec, s[0:1]
	v_or_b32_e32 v26, 0x5c0, v0
	v_cmp_gt_u32_e32 vcc, s7, v26
	s_and_saveexec_b64 s[0:1], vcc
	s_cbranch_execz .LBB2956_51
; %bb.50:
	v_mov_b32_e32 v1, s3
	v_add_co_u32_e32 v26, vcc, s2, v20
	v_addc_co_u32_e32 v27, vcc, 0, v1, vcc
	flat_load_ushort v1, v[26:27] offset:2944
.LBB2956_51:
	s_or_b64 exec, exec, s[0:1]
	s_waitcnt vmcnt(0) lgkmcnt(0)
	ds_write_b16 v20, v2
	ds_write_b16 v20, v3 offset:128
	ds_write_b16 v20, v4 offset:256
	;; [unrolled: 1-line block ×23, first 2 shown]
	s_waitcnt lgkmcnt(0)
	; wave barrier
.LBB2956_52:
	v_mul_u32_u24_e32 v21, 24, v0
	v_lshlrev_b32_e32 v22, 1, v21
	s_waitcnt lgkmcnt(0)
	ds_read_b128 v[10:13], v22
	ds_read_b128 v[6:9], v22 offset:16
	ds_read_b128 v[2:5], v22 offset:32
	s_cmp_lg_u32 s6, 0
	v_mbcnt_lo_u32_b32 v33, -1, 0
	s_waitcnt lgkmcnt(2)
	v_lshrrev_b32_e32 v31, 16, v11
	v_max_i16_sdwa v14, v10, v10 dst_sel:DWORD dst_unused:UNUSED_PAD src0_sel:DWORD src1_sel:WORD_1
	v_lshrrev_b32_e32 v30, 16, v12
	v_lshrrev_b32_e32 v29, 16, v13
	s_waitcnt lgkmcnt(1)
	v_lshrrev_b32_e32 v28, 16, v6
	v_lshrrev_b32_e32 v27, 16, v7
	;; [unrolled: 1-line block ×4, first 2 shown]
	s_waitcnt lgkmcnt(0)
	v_lshrrev_b32_e32 v24, 16, v2
	v_lshrrev_b32_e32 v23, 16, v3
	;; [unrolled: 1-line block ×4, first 2 shown]
	v_max3_i16 v34, v14, v11, v31
	v_cmp_eq_u32_e32 vcc, 63, v0
	s_waitcnt lgkmcnt(0)
	; wave barrier
	s_cbranch_scc0 .LBB2956_79
; %bb.53:
	v_max3_i16 v14, v34, v12, v30
	v_max3_i16 v14, v14, v13, v29
	;; [unrolled: 1-line block ×10, first 2 shown]
	v_mbcnt_hi_u32_b32 v15, -1, v33
	v_and_b32_e32 v17, 0xffff, v14
	v_and_b32_e32 v16, 15, v15
	v_cmp_eq_u32_e64 s[0:1], 0, v16
	v_mov_b32_dpp v17, v17 row_shr:1 row_mask:0xf bank_mask:0xf
	v_max_i16_e32 v17, v17, v14
	v_cndmask_b32_e64 v14, v17, v14, s[0:1]
	v_and_b32_e32 v17, 0xffff, v14
	v_cmp_lt_u32_e64 s[0:1], 1, v16
	s_nop 0
	v_mov_b32_dpp v17, v17 row_shr:2 row_mask:0xf bank_mask:0xf
	v_max_i16_e32 v17, v17, v14
	v_cndmask_b32_e64 v14, v14, v17, s[0:1]
	v_and_b32_e32 v17, 0xffff, v14
	v_cmp_lt_u32_e64 s[0:1], 3, v16
	s_nop 0
	;; [unrolled: 6-line block ×3, first 2 shown]
	v_mov_b32_dpp v17, v17 row_shr:8 row_mask:0xf bank_mask:0xf
	v_max_i16_e32 v17, v17, v14
	v_cndmask_b32_e64 v14, v14, v17, s[0:1]
	v_and_b32_e32 v16, 0xffff, v14
	v_and_b32_e32 v17, 16, v15
	v_cmp_eq_u32_e64 s[0:1], 0, v17
	v_mov_b32_dpp v16, v16 row_bcast:15 row_mask:0xf bank_mask:0xf
	v_max_i16_e32 v16, v16, v14
	v_cndmask_b32_e64 v14, v16, v14, s[0:1]
	v_and_b32_e32 v16, 0xffff, v14
	v_cmp_lt_u32_e64 s[0:1], 31, v15
	s_nop 0
	v_mov_b32_dpp v16, v16 row_bcast:31 row_mask:0xf bank_mask:0xf
	v_max_i16_e32 v16, v16, v14
	v_cndmask_b32_e64 v14, v14, v16, s[0:1]
	s_and_saveexec_b64 s[0:1], vcc
	s_cbranch_execz .LBB2956_55
; %bb.54:
	v_mov_b32_e32 v16, 0
	ds_write_b16 v16, v14
.LBB2956_55:
	s_or_b64 exec, exec, s[0:1]
	v_add_u32_e32 v16, -1, v15
	v_and_b32_e32 v17, 64, v15
	v_cmp_lt_i32_e32 vcc, v16, v17
	v_cndmask_b32_e32 v16, v16, v15, vcc
	v_and_b32_e32 v14, 0xffff, v14
	v_lshlrev_b32_e32 v16, 2, v16
	ds_bpermute_b32 v35, v16, v14
	v_cmp_gt_u32_e32 vcc, 64, v0
	s_waitcnt lgkmcnt(0)
	; wave barrier
	s_waitcnt lgkmcnt(0)
	s_and_saveexec_b64 s[14:15], vcc
	s_cbranch_execz .LBB2956_78
; %bb.56:
	v_mov_b32_e32 v19, 0
	ds_read_u16 v36, v19
	s_mov_b32 s9, 0
	v_cmp_eq_u32_e64 s[0:1], 0, v15
	s_and_saveexec_b64 s[2:3], s[0:1]
	s_cbranch_execz .LBB2956_58
; %bb.57:
	s_add_i32 s8, s6, 64
	s_lshl_b64 s[8:9], s[8:9], 2
	s_add_u32 s8, s24, s8
	s_waitcnt lgkmcnt(0)
	v_or_b32_e32 v14, 0x10000, v36
	s_addc_u32 s9, s25, s9
	global_store_dword v19, v14, s[8:9]
.LBB2956_58:
	s_or_b64 exec, exec, s[2:3]
	v_xad_u32 v14, v15, -1, s6
	v_add_u32_e32 v18, 64, v14
	v_lshlrev_b64 v[16:17], 2, v[18:19]
	v_mov_b32_e32 v18, s25
	v_add_co_u32_e32 v16, vcc, s24, v16
	v_addc_co_u32_e32 v17, vcc, v18, v17, vcc
	global_load_dword v18, v[16:17], off glc
	s_waitcnt vmcnt(0)
	v_lshrrev_b32_e32 v40, 16, v18
	v_cmp_eq_u16_sdwa s[8:9], v40, v19 src0_sel:BYTE_0 src1_sel:DWORD
	s_and_saveexec_b64 s[2:3], s[8:9]
	s_cbranch_execz .LBB2956_64
; %bb.59:
	s_mov_b32 s10, 1
	s_mov_b64 s[8:9], 0
	v_mov_b32_e32 v19, 0
.LBB2956_60:                            ; =>This Loop Header: Depth=1
                                        ;     Child Loop BB2956_61 Depth 2
	s_max_u32 s11, s10, 1
.LBB2956_61:                            ;   Parent Loop BB2956_60 Depth=1
                                        ; =>  This Inner Loop Header: Depth=2
	s_add_i32 s11, s11, -1
	s_cmp_eq_u32 s11, 0
	s_sleep 1
	s_cbranch_scc0 .LBB2956_61
; %bb.62:                               ;   in Loop: Header=BB2956_60 Depth=1
	global_load_dword v18, v[16:17], off glc
	s_cmp_lt_u32 s10, 32
	s_cselect_b64 s[12:13], -1, 0
	s_cmp_lg_u64 s[12:13], 0
	s_addc_u32 s10, s10, 0
	s_waitcnt vmcnt(0)
	v_lshrrev_b32_e32 v40, 16, v18
	v_cmp_ne_u16_sdwa s[12:13], v40, v19 src0_sel:BYTE_0 src1_sel:DWORD
	s_or_b64 s[8:9], s[12:13], s[8:9]
	s_andn2_b64 exec, exec, s[8:9]
	s_cbranch_execnz .LBB2956_60
; %bb.63:
	s_or_b64 exec, exec, s[8:9]
.LBB2956_64:
	s_or_b64 exec, exec, s[2:3]
	v_and_b32_e32 v38, 63, v15
	v_cmp_ne_u32_e32 vcc, 63, v38
	v_mov_b32_e32 v37, 2
	v_addc_co_u32_e32 v39, vcc, 0, v15, vcc
	v_cmp_eq_u16_sdwa s[2:3], v40, v37 src0_sel:BYTE_0 src1_sel:DWORD
	v_lshlrev_b64 v[16:17], v15, -1
	v_and_b32_e32 v42, 0xffff, v18
	v_lshlrev_b32_e32 v39, 2, v39
	v_and_b32_e32 v19, s3, v17
	ds_bpermute_b32 v43, v39, v42
	v_or_b32_e32 v19, 0x80000000, v19
	v_and_b32_e32 v41, s2, v16
	v_ffbl_b32_e32 v19, v19
	v_add_u32_e32 v19, 32, v19
	v_ffbl_b32_e32 v41, v41
	v_cmp_gt_u32_e64 s[2:3], 62, v38
	v_min_u32_e32 v19, v41, v19
	v_cndmask_b32_e64 v41, 0, 1, s[2:3]
	s_waitcnt lgkmcnt(0)
	v_max_i16_e32 v43, v43, v18
	v_cmp_lt_u32_e32 vcc, v38, v19
	v_lshlrev_b32_e32 v41, 1, v41
	v_cndmask_b32_e32 v44, v42, v43, vcc
	v_add_lshl_u32 v41, v41, v15, 2
	ds_bpermute_b32 v45, v41, v44
	v_cmp_gt_u32_e64 s[8:9], 60, v38
	v_cndmask_b32_e32 v46, v18, v43, vcc
	v_add_u32_e32 v42, 2, v38
	v_cndmask_b32_e64 v43, 0, 1, s[8:9]
	s_waitcnt lgkmcnt(0)
	v_max_i16_e32 v45, v45, v46
	v_cmp_gt_u32_e64 s[2:3], v42, v19
	v_lshlrev_b32_e32 v43, 2, v43
	v_cndmask_b32_e64 v47, v45, v44, s[2:3]
	v_add_lshl_u32 v43, v43, v15, 2
	ds_bpermute_b32 v48, v43, v47
	v_cmp_gt_u32_e64 s[8:9], 56, v38
	v_cndmask_b32_e64 v49, v45, v46, s[2:3]
	v_add_u32_e32 v44, 4, v38
	v_cndmask_b32_e64 v45, 0, 1, s[8:9]
	s_waitcnt lgkmcnt(0)
	v_max_i16_e32 v52, v48, v49
	v_cmp_gt_u32_e64 s[2:3], v44, v19
	v_lshlrev_b32_e32 v45, 3, v45
	v_cndmask_b32_e64 v47, v52, v47, s[2:3]
	v_add_lshl_u32 v45, v45, v15, 2
	ds_bpermute_b32 v48, v45, v47
	v_cndmask_b32_e64 v50, v52, v49, s[2:3]
	v_add_u32_e32 v46, 8, v38
	v_cmp_gt_u32_e64 s[8:9], v46, v19
	v_cmp_gt_u32_e64 s[10:11], 48, v38
	s_waitcnt lgkmcnt(0)
	v_max_i16_e32 v53, v48, v50
	v_cndmask_b32_e64 v51, v53, v47, s[8:9]
	v_cndmask_b32_e64 v47, 0, 1, s[10:11]
	v_lshlrev_b32_e32 v47, 4, v47
	v_add_lshl_u32 v47, v47, v15, 2
	ds_bpermute_b32 v54, v47, v51
	v_cmp_gt_u32_e64 s[12:13], 32, v38
	v_cndmask_b32_e64 v55, v53, v50, s[8:9]
	v_add_u32_e32 v48, 16, v38
	v_cndmask_b32_e64 v50, 0, 1, s[12:13]
	s_waitcnt lgkmcnt(0)
	v_max_i16_e32 v54, v54, v55
	v_cmp_gt_u32_e64 s[10:11], v48, v19
	v_lshlrev_b32_e32 v50, 5, v50
	v_cndmask_b32_e64 v51, v54, v51, s[10:11]
	v_add_lshl_u32 v50, v50, v15, 2
	ds_bpermute_b32 v15, v50, v51
	v_cndmask_b32_e32 v18, v18, v49, vcc
	v_cndmask_b32_e64 v18, v52, v18, s[2:3]
	v_add_u32_e32 v51, 32, v38
	v_cndmask_b32_e64 v55, v54, v55, s[10:11]
	v_cndmask_b32_e64 v18, v53, v18, s[8:9]
	s_waitcnt lgkmcnt(0)
	v_max_i16_e32 v15, v15, v55
	v_cndmask_b32_e64 v18, v54, v18, s[10:11]
	v_cmp_gt_u32_e32 vcc, v51, v19
	v_cndmask_b32_e32 v18, v15, v18, vcc
	v_mov_b32_e32 v15, 0
	s_branch .LBB2956_66
.LBB2956_65:                            ;   in Loop: Header=BB2956_66 Depth=1
	s_or_b64 exec, exec, s[2:3]
	v_cmp_eq_u16_sdwa s[2:3], v40, v37 src0_sel:BYTE_0 src1_sel:DWORD
	v_and_b32_e32 v53, 0xffff, v52
	v_and_b32_e32 v18, s3, v17
	ds_bpermute_b32 v54, v39, v53
	v_or_b32_e32 v18, 0x80000000, v18
	v_and_b32_e32 v19, s2, v16
	v_ffbl_b32_e32 v18, v18
	v_add_u32_e32 v18, 32, v18
	v_ffbl_b32_e32 v19, v19
	v_min_u32_e32 v18, v19, v18
	s_waitcnt lgkmcnt(0)
	v_max_i16_e32 v19, v54, v52
	v_cmp_lt_u32_e32 vcc, v38, v18
	v_cndmask_b32_e32 v53, v53, v19, vcc
	ds_bpermute_b32 v54, v41, v53
	v_cndmask_b32_e32 v19, v52, v19, vcc
	v_cmp_gt_u32_e64 s[2:3], v42, v18
	v_cmp_gt_u32_e64 s[8:9], v46, v18
	v_subrev_u32_e32 v14, 64, v14
	s_waitcnt lgkmcnt(0)
	v_max_i16_e32 v54, v54, v19
	v_cndmask_b32_e64 v53, v54, v53, s[2:3]
	ds_bpermute_b32 v55, v43, v53
	v_cndmask_b32_e64 v19, v54, v19, s[2:3]
	v_cmp_gt_u32_e64 s[2:3], v44, v18
	s_waitcnt lgkmcnt(0)
	v_max_i16_e32 v54, v55, v19
	v_cndmask_b32_e64 v53, v54, v53, s[2:3]
	ds_bpermute_b32 v55, v45, v53
	v_cndmask_b32_e64 v56, v54, v19, s[2:3]
	v_cndmask_b32_e32 v19, v52, v19, vcc
	v_cmp_gt_u32_e32 vcc, v48, v18
	v_cndmask_b32_e64 v19, v54, v19, s[2:3]
	s_waitcnt lgkmcnt(0)
	v_max_i16_e32 v55, v55, v56
	v_cndmask_b32_e64 v53, v55, v53, s[8:9]
	ds_bpermute_b32 v57, v47, v53
	v_cndmask_b32_e64 v52, v55, v56, s[8:9]
	v_cndmask_b32_e64 v19, v55, v19, s[8:9]
	s_waitcnt lgkmcnt(0)
	v_max_i16_e32 v56, v57, v52
	v_cndmask_b32_e32 v53, v56, v53, vcc
	ds_bpermute_b32 v53, v50, v53
	v_cndmask_b32_e32 v52, v56, v52, vcc
	v_cndmask_b32_e32 v19, v56, v19, vcc
	v_cmp_gt_u32_e32 vcc, v51, v18
	s_waitcnt lgkmcnt(0)
	v_max_i16_e32 v52, v53, v52
	v_cndmask_b32_e32 v18, v52, v19, vcc
	v_max_i16_e32 v18, v18, v49
.LBB2956_66:                            ; =>This Loop Header: Depth=1
                                        ;     Child Loop BB2956_69 Depth 2
                                        ;       Child Loop BB2956_70 Depth 3
	v_cmp_ne_u16_sdwa s[2:3], v40, v37 src0_sel:BYTE_0 src1_sel:DWORD
	v_cndmask_b32_e64 v19, 0, 1, s[2:3]
	;;#ASMSTART
	;;#ASMEND
	v_cmp_ne_u32_e32 vcc, 0, v19
	s_cmp_lg_u64 vcc, exec
	v_mov_b32_e32 v49, v18
	s_cbranch_scc1 .LBB2956_73
; %bb.67:                               ;   in Loop: Header=BB2956_66 Depth=1
	v_lshlrev_b64 v[18:19], 2, v[14:15]
	v_mov_b32_e32 v40, s25
	v_add_co_u32_e32 v18, vcc, s24, v18
	v_addc_co_u32_e32 v19, vcc, v40, v19, vcc
	global_load_dword v52, v[18:19], off glc
	s_waitcnt vmcnt(0)
	v_lshrrev_b32_e32 v40, 16, v52
	v_cmp_eq_u16_sdwa s[8:9], v40, v15 src0_sel:BYTE_0 src1_sel:DWORD
	s_and_saveexec_b64 s[2:3], s[8:9]
	s_cbranch_execz .LBB2956_65
; %bb.68:                               ;   in Loop: Header=BB2956_66 Depth=1
	s_mov_b32 s10, 1
	s_mov_b64 s[8:9], 0
.LBB2956_69:                            ;   Parent Loop BB2956_66 Depth=1
                                        ; =>  This Loop Header: Depth=2
                                        ;       Child Loop BB2956_70 Depth 3
	s_max_u32 s11, s10, 1
.LBB2956_70:                            ;   Parent Loop BB2956_66 Depth=1
                                        ;     Parent Loop BB2956_69 Depth=2
                                        ; =>    This Inner Loop Header: Depth=3
	s_add_i32 s11, s11, -1
	s_cmp_eq_u32 s11, 0
	s_sleep 1
	s_cbranch_scc0 .LBB2956_70
; %bb.71:                               ;   in Loop: Header=BB2956_69 Depth=2
	global_load_dword v52, v[18:19], off glc
	s_cmp_lt_u32 s10, 32
	s_cselect_b64 s[12:13], -1, 0
	s_cmp_lg_u64 s[12:13], 0
	s_addc_u32 s10, s10, 0
	s_waitcnt vmcnt(0)
	v_lshrrev_b32_e32 v40, 16, v52
	v_cmp_ne_u16_sdwa s[12:13], v40, v15 src0_sel:BYTE_0 src1_sel:DWORD
	s_or_b64 s[8:9], s[12:13], s[8:9]
	s_andn2_b64 exec, exec, s[8:9]
	s_cbranch_execnz .LBB2956_69
; %bb.72:                               ;   in Loop: Header=BB2956_66 Depth=1
	s_or_b64 exec, exec, s[8:9]
	s_branch .LBB2956_65
.LBB2956_73:                            ;   in Loop: Header=BB2956_66 Depth=1
                                        ; implicit-def: $vgpr18
                                        ; implicit-def: $vgpr40
	s_cbranch_execz .LBB2956_66
; %bb.74:
	s_and_saveexec_b64 s[2:3], s[0:1]
	s_cbranch_execz .LBB2956_76
; %bb.75:
	s_add_i32 s0, s6, 64
	s_mov_b32 s1, 0
	s_lshl_b64 s[0:1], s[0:1], 2
	v_max_i16_e32 v14, v49, v36
	s_add_u32 s0, s24, s0
	v_or_b32_e32 v14, 0x20000, v14
	s_addc_u32 s1, s25, s1
	v_mov_b32_e32 v15, 0
	global_store_dword v15, v14, s[0:1]
.LBB2956_76:
	s_or_b64 exec, exec, s[2:3]
	v_cmp_eq_u32_e32 vcc, 0, v0
	s_and_b64 exec, exec, vcc
	s_cbranch_execz .LBB2956_78
; %bb.77:
	v_mov_b32_e32 v14, 0
	ds_write_b16 v14, v49
.LBB2956_78:
	s_or_b64 exec, exec, s[14:15]
	v_mov_b32_e32 v14, 0
	s_waitcnt lgkmcnt(0)
	; wave barrier
	s_waitcnt lgkmcnt(0)
	ds_read_u16 v14, v14
	v_cmp_eq_u32_e32 vcc, 0, v0
	s_waitcnt lgkmcnt(0)
	v_max_i16_e32 v15, v14, v35
	v_cndmask_b32_e32 v15, v15, v14, vcc
	v_max_i16_e32 v14, v15, v10
	v_max_i16_sdwa v16, v14, v10 dst_sel:DWORD dst_unused:UNUSED_PAD src0_sel:DWORD src1_sel:WORD_1
	v_max_i16_e32 v17, v16, v11
	v_max_i16_e32 v18, v17, v31
	;; [unrolled: 1-line block ×21, first 2 shown]
	s_load_dwordx8 s[8:15], s[4:5], 0x38
	s_branch .LBB2956_87
.LBB2956_79:
                                        ; implicit-def: $vgpr15
                                        ; implicit-def: $vgpr14
                                        ; implicit-def: $vgpr16
                                        ; implicit-def: $vgpr17
                                        ; implicit-def: $vgpr18
                                        ; implicit-def: $vgpr35
                                        ; implicit-def: $vgpr37
                                        ; implicit-def: $vgpr39
                                        ; implicit-def: $vgpr19
                                        ; implicit-def: $vgpr36
                                        ; implicit-def: $vgpr38
                                        ; implicit-def: $vgpr40
                                        ; implicit-def: $vgpr41
                                        ; implicit-def: $vgpr43
                                        ; implicit-def: $vgpr45
                                        ; implicit-def: $vgpr47
                                        ; implicit-def: $vgpr42
                                        ; implicit-def: $vgpr44
                                        ; implicit-def: $vgpr46
                                        ; implicit-def: $vgpr48
                                        ; implicit-def: $vgpr49
                                        ; implicit-def: $vgpr50
                                        ; implicit-def: $vgpr51
                                        ; implicit-def: $vgpr52
	s_load_dwordx8 s[8:15], s[4:5], 0x38
	s_cbranch_execz .LBB2956_87
; %bb.80:
	s_load_dword s0, s[4:5], 0x20
	s_waitcnt lgkmcnt(0)
	s_cmp_eq_u64 s[12:13], 0
	v_mov_b32_e32 v52, s0
	s_cbranch_scc1 .LBB2956_82
; %bb.81:
	v_mov_b32_e32 v14, 0
	global_load_ushort v16, v14, s[8:9]
	v_mov_b32_e32 v15, s28
	v_add_co_u32_e64 v14, vcc, -2, s27
	v_addc_co_u32_e32 v15, vcc, -1, v15, vcc
	flat_load_ushort v14, v[14:15]
	s_waitcnt vmcnt(0) lgkmcnt(0)
	v_max_i16_e32 v52, v16, v14
.LBB2956_82:
	v_max3_i16 v14, v34, v12, v30
	v_max3_i16 v14, v14, v13, v29
	;; [unrolled: 1-line block ×10, first 2 shown]
	v_mbcnt_hi_u32_b32 v14, -1, v33
	v_and_b32_e32 v17, 0xffff, v15
	v_and_b32_e32 v16, 15, v14
	v_cmp_eq_u32_e32 vcc, 0, v16
	v_mov_b32_dpp v17, v17 row_shr:1 row_mask:0xf bank_mask:0xf
	v_max_i16_e32 v17, v17, v15
	v_cndmask_b32_e32 v15, v17, v15, vcc
	v_and_b32_e32 v17, 0xffff, v15
	v_cmp_lt_u32_e32 vcc, 1, v16
	s_nop 0
	v_mov_b32_dpp v17, v17 row_shr:2 row_mask:0xf bank_mask:0xf
	v_max_i16_e32 v17, v17, v15
	v_cndmask_b32_e32 v15, v15, v17, vcc
	v_and_b32_e32 v17, 0xffff, v15
	v_cmp_lt_u32_e32 vcc, 3, v16
	s_nop 0
	;; [unrolled: 6-line block ×3, first 2 shown]
	v_mov_b32_dpp v17, v17 row_shr:8 row_mask:0xf bank_mask:0xf
	v_max_i16_e32 v17, v17, v15
	v_cndmask_b32_e32 v15, v15, v17, vcc
	v_and_b32_e32 v16, 0xffff, v15
	v_and_b32_e32 v17, 16, v14
	v_cmp_eq_u32_e32 vcc, 0, v17
	v_mov_b32_dpp v16, v16 row_bcast:15 row_mask:0xf bank_mask:0xf
	v_max_i16_e32 v16, v16, v15
	v_cndmask_b32_e32 v15, v16, v15, vcc
	v_and_b32_e32 v16, 0xffff, v15
	v_cmp_lt_u32_e32 vcc, 31, v14
	s_nop 0
	v_mov_b32_dpp v16, v16 row_bcast:31 row_mask:0xf bank_mask:0xf
	v_max_i16_e32 v16, v16, v15
	v_cndmask_b32_e32 v15, v15, v16, vcc
	v_cmp_eq_u32_e32 vcc, 63, v0
	s_and_saveexec_b64 s[0:1], vcc
	s_cbranch_execz .LBB2956_84
; %bb.83:
	v_mov_b32_e32 v16, 0
	ds_write_b16 v16, v15
.LBB2956_84:
	s_or_b64 exec, exec, s[0:1]
	v_add_u32_e32 v16, -1, v14
	v_and_b32_e32 v17, 64, v14
	v_cmp_lt_i32_e32 vcc, v16, v17
	v_cndmask_b32_e32 v16, v16, v14, vcc
	v_max_i16_e32 v15, v52, v15
	v_lshlrev_b32_e32 v16, 2, v16
	ds_bpermute_b32 v15, v16, v15
	v_cmp_eq_u32_e32 vcc, 0, v14
	v_cmp_eq_u32_e64 s[0:1], 0, v0
	s_or_b64 vcc, s[0:1], vcc
	s_waitcnt lgkmcnt(0)
	v_cndmask_b32_e32 v15, v15, v52, vcc
	v_max_i16_e32 v14, v15, v10
	v_max_i16_sdwa v16, v14, v10 dst_sel:DWORD dst_unused:UNUSED_PAD src0_sel:DWORD src1_sel:WORD_1
	v_max_i16_e32 v17, v16, v11
	v_max_i16_e32 v18, v17, v31
	;; [unrolled: 1-line block ×20, first 2 shown]
	; wave barrier
	s_and_saveexec_b64 s[2:3], s[0:1]
	s_cbranch_execz .LBB2956_86
; %bb.85:
	v_mov_b32_e32 v1, 0
	ds_read_u16 v2, v1
	v_mov_b32_e32 v15, v52
	s_waitcnt lgkmcnt(0)
	v_max_i16_e32 v2, v52, v2
	v_or_b32_e32 v2, 0x20000, v2
	global_store_dword v1, v2, s[24:25] offset:256
.LBB2956_86:
	s_or_b64 exec, exec, s[2:3]
	v_max_i16_e32 v52, v51, v5
.LBB2956_87:
	s_add_u32 s0, s16, s20
	s_addc_u32 s1, s17, s21
	s_add_u32 s2, s0, s22
	s_addc_u32 s3, s1, s23
	s_mov_b64 s[0:1], -1
	s_and_b64 vcc, exec, s[18:19]
	s_waitcnt lgkmcnt(0)
	; wave barrier
	s_waitcnt lgkmcnt(0)
	s_cbranch_vccz .LBB2956_89
; %bb.88:
	s_mov_b32 s0, 0x5040100
	v_perm_b32 v5, v39, v37, s0
	v_perm_b32 v4, v35, v18, s0
	;; [unrolled: 1-line block ×4, first 2 shown]
	ds_write_b128 v22, v[2:5]
	v_perm_b32 v5, v47, v45, s0
	v_perm_b32 v4, v43, v41, s0
	;; [unrolled: 1-line block ×4, first 2 shown]
	ds_write_b128 v22, v[2:5] offset:16
	v_perm_b32 v5, v52, v51, s0
	v_perm_b32 v4, v50, v49, s0
	;; [unrolled: 1-line block ×4, first 2 shown]
	ds_write_b128 v22, v[2:5] offset:32
	s_waitcnt lgkmcnt(0)
	; wave barrier
	s_waitcnt lgkmcnt(0)
	ds_read_u16 v1, v20
	ds_read_u16 v4, v20 offset:128
	ds_read_u16 v5, v20 offset:256
	ds_read_u16 v6, v20 offset:384
	ds_read_u16 v7, v20 offset:512
	ds_read_u16 v8, v20 offset:640
	ds_read_u16 v9, v20 offset:768
	ds_read_u16 v10, v20 offset:896
	ds_read_u16 v11, v20 offset:1024
	ds_read_u16 v12, v20 offset:1152
	ds_read_u16 v13, v20 offset:1280
	ds_read_u16 v23, v20 offset:1408
	ds_read_u16 v24, v20 offset:1536
	ds_read_u16 v25, v20 offset:1664
	ds_read_u16 v26, v20 offset:1792
	ds_read_u16 v27, v20 offset:1920
	ds_read_u16 v28, v20 offset:2048
	ds_read_u16 v29, v20 offset:2176
	ds_read_u16 v30, v20 offset:2304
	ds_read_u16 v31, v20 offset:2432
	ds_read_u16 v32, v20 offset:2560
	ds_read_u16 v33, v20 offset:2688
	ds_read_u16 v34, v20 offset:2816
	ds_read_u16 v53, v20 offset:2944
	v_mov_b32_e32 v3, s3
	v_add_co_u32_e32 v2, vcc, s2, v20
	v_addc_co_u32_e32 v3, vcc, 0, v3, vcc
	s_waitcnt lgkmcnt(14)
	flat_store_short v[2:3], v1
	flat_store_short v[2:3], v4 offset:128
	flat_store_short v[2:3], v5 offset:256
	;; [unrolled: 1-line block ×9, first 2 shown]
	s_waitcnt lgkmcnt(0)
	flat_store_short v[2:3], v13 offset:1280
	flat_store_short v[2:3], v23 offset:1408
	flat_store_short v[2:3], v24 offset:1536
	flat_store_short v[2:3], v25 offset:1664
	flat_store_short v[2:3], v26 offset:1792
	flat_store_short v[2:3], v27 offset:1920
	flat_store_short v[2:3], v28 offset:2048
	flat_store_short v[2:3], v29 offset:2176
	flat_store_short v[2:3], v30 offset:2304
	flat_store_short v[2:3], v31 offset:2432
	flat_store_short v[2:3], v32 offset:2560
	flat_store_short v[2:3], v33 offset:2688
	flat_store_short v[2:3], v34 offset:2816
	flat_store_short v[2:3], v53 offset:2944
	s_mov_b64 s[0:1], 0
.LBB2956_89:
	s_andn2_b64 vcc, exec, s[0:1]
	s_cbranch_vccnz .LBB2956_146
; %bb.90:
	s_mov_b32 s0, 0x5040100
	v_perm_b32 v5, v39, v37, s0
	v_perm_b32 v4, v35, v18, s0
	;; [unrolled: 1-line block ×4, first 2 shown]
	ds_write_b128 v22, v[2:5]
	v_perm_b32 v5, v47, v45, s0
	v_perm_b32 v4, v43, v41, s0
	;; [unrolled: 1-line block ×4, first 2 shown]
	ds_write_b128 v22, v[2:5] offset:16
	v_perm_b32 v5, v52, v51, s0
	v_perm_b32 v4, v50, v49, s0
	;; [unrolled: 1-line block ×4, first 2 shown]
	s_movk_i32 s0, 0xffd2
	ds_write_b128 v22, v[2:5] offset:32
	v_mad_i32_i24 v2, v0, s0, v22
	s_waitcnt lgkmcnt(0)
	; wave barrier
	s_waitcnt lgkmcnt(0)
	ds_read_u16 v5, v2
	ds_read_u16 v4, v2 offset:128
	ds_read_u16 v7, v2 offset:256
	;; [unrolled: 1-line block ×23, first 2 shown]
	v_mov_b32_e32 v3, s3
	v_add_co_u32_e32 v2, vcc, s2, v20
	v_addc_co_u32_e32 v3, vcc, 0, v3, vcc
	v_mov_b32_e32 v1, 0
	v_cmp_gt_u32_e32 vcc, s7, v0
	s_and_saveexec_b64 s[0:1], vcc
	s_cbranch_execz .LBB2956_92
; %bb.91:
	s_waitcnt lgkmcnt(0)
	flat_store_short v[2:3], v5
.LBB2956_92:
	s_or_b64 exec, exec, s[0:1]
	v_or_b32_e32 v20, 64, v0
	v_cmp_gt_u32_e32 vcc, s7, v20
	s_and_saveexec_b64 s[0:1], vcc
	s_cbranch_execz .LBB2956_94
; %bb.93:
	s_waitcnt lgkmcnt(0)
	flat_store_short v[2:3], v4 offset:128
.LBB2956_94:
	s_or_b64 exec, exec, s[0:1]
	v_or_b32_e32 v20, 0x80, v0
	v_cmp_gt_u32_e32 vcc, s7, v20
	s_and_saveexec_b64 s[0:1], vcc
	s_cbranch_execz .LBB2956_96
; %bb.95:
	s_waitcnt lgkmcnt(0)
	flat_store_short v[2:3], v7 offset:256
.LBB2956_96:
	;; [unrolled: 9-line block ×23, first 2 shown]
	s_or_b64 exec, exec, s[0:1]
	v_cmp_lt_u64_e64 s[0:1], s[14:15], 2
	s_and_b64 vcc, exec, s[0:1]
	s_cbranch_vccnz .LBB2956_146
; %bb.139:
	s_add_u32 s0, s7, -1
	s_addc_u32 s1, s26, -1
	s_add_u32 s2, 0, 0xaaaa0000
	s_addc_u32 s3, 0, 42
	s_add_i32 s3, s3, 0xaaaaa80
	s_mul_hi_u32 s7, s2, 0xffffffe8
	s_sub_i32 s7, s7, s2
	s_mul_i32 s8, s3, 0xffffffe8
	s_mul_i32 s4, s2, 0xffffffe8
	s_add_i32 s7, s7, s8
	s_mul_hi_u32 s5, s3, s4
	s_mul_i32 s6, s3, s4
	s_mul_i32 s9, s2, s7
	s_mul_hi_u32 s4, s2, s4
	s_mul_hi_u32 s8, s2, s7
	s_add_u32 s4, s4, s9
	s_addc_u32 s8, 0, s8
	s_add_u32 s4, s4, s6
	s_mul_hi_u32 s9, s3, s7
	s_addc_u32 s4, s8, s5
	s_addc_u32 s5, s9, 0
	s_mul_i32 s6, s3, s7
	s_add_u32 s4, s4, s6
	v_mov_b32_e32 v2, s4
	s_addc_u32 s5, 0, s5
	v_add_co_u32_e32 v2, vcc, s2, v2
	s_cmp_lg_u64 vcc, 0
	s_addc_u32 s2, s3, s5
	v_readfirstlane_b32 s5, v2
	s_mul_i32 s4, s0, s2
	s_mul_hi_u32 s6, s0, s5
	s_mul_hi_u32 s3, s0, s2
	s_add_u32 s4, s6, s4
	s_addc_u32 s3, 0, s3
	s_mul_hi_u32 s7, s1, s5
	s_mul_i32 s5, s1, s5
	s_add_u32 s4, s4, s5
	s_mul_hi_u32 s6, s1, s2
	s_addc_u32 s3, s3, s7
	s_addc_u32 s4, s6, 0
	s_mul_i32 s2, s1, s2
	s_add_u32 s2, s3, s2
	s_addc_u32 s3, 0, s4
	s_add_u32 s4, s2, 1
	s_addc_u32 s5, s3, 0
	s_add_u32 s6, s2, 2
	s_mul_i32 s8, s3, 24
	s_mul_hi_u32 s9, s2, 24
	s_addc_u32 s7, s3, 0
	s_add_i32 s9, s9, s8
	s_mul_i32 s8, s2, 24
	v_mov_b32_e32 v2, s8
	v_sub_co_u32_e32 v2, vcc, s0, v2
	s_cmp_lg_u64 vcc, 0
	s_subb_u32 s8, s1, s9
	v_subrev_co_u32_e32 v3, vcc, 24, v2
	s_cmp_lg_u64 vcc, 0
	s_subb_u32 s9, s8, 0
	v_readfirstlane_b32 s12, v3
	s_cmp_gt_u32 s12, 23
	s_cselect_b32 s12, -1, 0
	s_cmp_eq_u32 s9, 0
	s_cselect_b32 s9, s12, -1
	s_cmp_lg_u32 s9, 0
	s_cselect_b32 s4, s6, s4
	v_readfirstlane_b32 s6, v2
	s_cselect_b32 s5, s7, s5
	s_cmp_gt_u32 s6, 23
	s_cselect_b32 s6, -1, 0
	s_cmp_eq_u32 s8, 0
	s_cselect_b32 s6, s6, -1
	s_cmp_lg_u32 s6, 0
	s_cselect_b32 s3, s5, s3
	s_cselect_b32 s2, s4, s2
	v_cmp_eq_u64_e32 vcc, s[2:3], v[0:1]
	s_and_saveexec_b64 s[2:3], vcc
	s_cbranch_execz .LBB2956_146
; %bb.140:
	v_mul_hi_u32_u24_e32 v1, 24, v0
	v_mov_b32_e32 v2, s1
	v_sub_co_u32_e32 v0, vcc, s0, v21
	v_subb_co_u32_e32 v1, vcc, v2, v1, vcc
	v_cmp_lt_i64_e32 vcc, 11, v[0:1]
	s_mov_b64 s[0:1], 0
	s_mov_b64 s[8:9], 0
	;; [unrolled: 1-line block ×4, first 2 shown]
	s_and_saveexec_b64 s[2:3], vcc
	s_xor_b64 s[2:3], exec, s[2:3]
	s_cbranch_execnz .LBB2956_147
; %bb.141:
	s_andn2_saveexec_b64 s[2:3], s[2:3]
	s_cbranch_execnz .LBB2956_192
.LBB2956_142:
	s_or_b64 exec, exec, s[2:3]
	s_and_saveexec_b64 s[2:3], s[8:9]
	s_cbranch_execnz .LBB2956_209
.LBB2956_143:
	s_or_b64 exec, exec, s[2:3]
	s_and_saveexec_b64 s[2:3], s[6:7]
	s_cbranch_execnz .LBB2956_210
.LBB2956_144:
	s_or_b64 exec, exec, s[2:3]
	s_and_saveexec_b64 s[2:3], s[4:5]
	s_xor_b64 s[2:3], exec, s[2:3]
	s_cbranch_execnz .LBB2956_211
.LBB2956_145:
	s_or_b64 exec, exec, s[2:3]
	s_and_b64 exec, exec, s[0:1]
	s_cbranch_execnz .LBB2956_212
.LBB2956_146:
	s_endpgm
.LBB2956_147:
	v_cmp_lt_i64_e32 vcc, 17, v[0:1]
	s_and_saveexec_b64 s[12:13], vcc
	s_xor_b64 s[12:13], exec, s[12:13]
	s_cbranch_execz .LBB2956_169
; %bb.148:
	v_cmp_lt_i64_e32 vcc, 20, v[0:1]
                                        ; implicit-def: $vgpr10
	s_and_saveexec_b64 s[14:15], vcc
	s_xor_b64 s[14:15], exec, s[14:15]
	s_cbranch_execz .LBB2956_158
; %bb.149:
	v_cmp_lt_i64_e32 vcc, 21, v[0:1]
	s_mov_b64 s[16:17], 0
                                        ; implicit-def: $vgpr10
	s_and_saveexec_b64 s[4:5], vcc
	s_xor_b64 s[4:5], exec, s[4:5]
	s_cbranch_execz .LBB2956_155
; %bb.150:
	v_cmp_lt_i64_e32 vcc, 22, v[0:1]
	s_and_saveexec_b64 s[16:17], vcc
	s_xor_b64 s[16:17], exec, s[16:17]
	s_cbranch_execz .LBB2956_152
; %bb.151:
	v_mov_b32_e32 v2, 0
	s_waitcnt lgkmcnt(0)
	global_store_short v2, v29, s[10:11]
                                        ; implicit-def: $vgpr28
.LBB2956_152:
	s_or_saveexec_b64 s[16:17], s[16:17]
	s_mov_b64 s[18:19], 0
	s_xor_b64 exec, exec, s[16:17]
; %bb.153:
	s_mov_b64 s[18:19], exec
; %bb.154:
	s_or_b64 exec, exec, s[16:17]
	s_and_b64 s[16:17], s[18:19], exec
	s_waitcnt lgkmcnt(0)
	v_mov_b32_e32 v10, v28
                                        ; implicit-def: $vgpr11
.LBB2956_155:
	s_andn2_saveexec_b64 s[4:5], s[4:5]
; %bb.156:
	s_mov_b64 s[6:7], exec
                                        ; implicit-def: $vgpr10
; %bb.157:
	s_or_b64 exec, exec, s[4:5]
	s_and_b64 s[4:5], s[16:17], exec
	s_and_b64 s[6:7], s[6:7], exec
                                        ; implicit-def: $vgpr26
                                        ; implicit-def: $vgpr12
                                        ; implicit-def: $vgpr23
.LBB2956_158:
	s_andn2_saveexec_b64 s[14:15], s[14:15]
	s_cbranch_execz .LBB2956_168
; %bb.159:
	v_cmp_lt_i64_e32 vcc, 18, v[0:1]
	s_mov_b64 s[16:17], 0
	s_and_saveexec_b64 s[8:9], vcc
	s_xor_b64 s[8:9], exec, s[8:9]
	s_cbranch_execz .LBB2956_165
; %bb.160:
	v_cmp_lt_i64_e32 vcc, 19, v[0:1]
	s_and_saveexec_b64 s[18:19], vcc
	s_xor_b64 s[18:19], exec, s[18:19]
; %bb.161:
	s_mov_b64 s[16:17], exec
                                        ; implicit-def: $vgpr23
; %bb.162:
	s_andn2_saveexec_b64 s[18:19], s[18:19]
	s_cbranch_execz .LBB2956_164
; %bb.163:
	v_mov_b32_e32 v2, 0
	s_waitcnt lgkmcnt(0)
	global_store_short v2, v23, s[10:11]
                                        ; implicit-def: $vgpr12
.LBB2956_164:
	s_or_b64 exec, exec, s[18:19]
	s_and_b64 s[16:17], s[16:17], exec
                                        ; implicit-def: $vgpr26
.LBB2956_165:
	s_andn2_saveexec_b64 s[8:9], s[8:9]
	s_cbranch_execz .LBB2956_167
; %bb.166:
	v_mov_b32_e32 v2, 0
	s_waitcnt lgkmcnt(0)
	global_store_short v2, v26, s[10:11]
                                        ; implicit-def: $vgpr12
.LBB2956_167:
	s_or_b64 exec, exec, s[8:9]
	s_and_b64 s[8:9], s[16:17], exec
                                        ; implicit-def: $vgpr10
                                        ; implicit-def: $vgpr11
.LBB2956_168:
	s_or_b64 exec, exec, s[14:15]
	s_and_b64 s[4:5], s[4:5], exec
	s_and_b64 s[6:7], s[6:7], exec
	;; [unrolled: 1-line block ×3, first 2 shown]
                                        ; implicit-def: $vgpr18
                                        ; implicit-def: $vgpr13
                                        ; implicit-def: $vgpr14
                                        ; implicit-def: $vgpr24
                                        ; implicit-def: $vgpr27
.LBB2956_169:
	s_andn2_saveexec_b64 s[12:13], s[12:13]
	s_cbranch_execz .LBB2956_191
; %bb.170:
	v_cmp_lt_i64_e32 vcc, 14, v[0:1]
	s_mov_b64 s[14:15], s[4:5]
	s_and_saveexec_b64 s[16:17], vcc
	s_xor_b64 s[16:17], exec, s[16:17]
	s_cbranch_execz .LBB2956_180
; %bb.171:
	v_cmp_lt_i64_e32 vcc, 15, v[0:1]
	s_and_saveexec_b64 s[14:15], vcc
	s_xor_b64 s[14:15], exec, s[14:15]
	s_cbranch_execz .LBB2956_177
; %bb.172:
	v_cmp_lt_i64_e32 vcc, 16, v[0:1]
	s_and_saveexec_b64 s[18:19], vcc
	s_xor_b64 s[18:19], exec, s[18:19]
	s_cbranch_execz .LBB2956_174
; %bb.173:
	v_mov_b32_e32 v2, 0
	s_waitcnt lgkmcnt(0)
	global_store_short v2, v27, s[10:11]
                                        ; implicit-def: $vgpr24
.LBB2956_174:
	s_andn2_saveexec_b64 s[18:19], s[18:19]
	s_cbranch_execz .LBB2956_176
; %bb.175:
	v_mov_b32_e32 v2, 0
	s_waitcnt lgkmcnt(0)
	global_store_short v2, v24, s[10:11]
.LBB2956_176:
	s_or_b64 exec, exec, s[18:19]
                                        ; implicit-def: $vgpr10
.LBB2956_177:
	s_or_saveexec_b64 s[14:15], s[14:15]
	s_mov_b64 s[18:19], s[4:5]
	s_xor_b64 exec, exec, s[14:15]
; %bb.178:
	s_or_b64 s[18:19], s[4:5], exec
; %bb.179:
	s_or_b64 exec, exec, s[14:15]
	s_andn2_b64 s[14:15], s[4:5], exec
	s_and_b64 s[18:19], s[18:19], exec
	s_or_b64 s[14:15], s[14:15], s[18:19]
                                        ; implicit-def: $vgpr18
                                        ; implicit-def: $vgpr13
                                        ; implicit-def: $vgpr14
.LBB2956_180:
	s_or_saveexec_b64 s[16:17], s[16:17]
	s_mov_b64 s[18:19], s[6:7]
                                        ; implicit-def: $vgpr11
	s_xor_b64 exec, exec, s[16:17]
	s_cbranch_execz .LBB2956_190
; %bb.181:
	v_cmp_lt_i64_e32 vcc, 12, v[0:1]
	s_mov_b64 s[20:21], s[6:7]
	s_mov_b64 s[22:23], s[14:15]
                                        ; implicit-def: $vgpr10
                                        ; implicit-def: $vgpr11
	s_and_saveexec_b64 s[18:19], vcc
	s_xor_b64 s[18:19], exec, s[18:19]
	s_cbranch_execz .LBB2956_187
; %bb.182:
	v_cmp_lt_i64_e32 vcc, 13, v[0:1]
	s_mov_b64 s[20:21], s[14:15]
	s_and_saveexec_b64 s[22:23], vcc
	s_xor_b64 s[22:23], exec, s[22:23]
; %bb.183:
	s_or_b64 s[20:21], s[14:15], exec
                                        ; implicit-def: $vgpr13
; %bb.184:
	s_or_saveexec_b64 s[22:23], s[22:23]
	s_mov_b64 s[24:25], s[6:7]
	s_xor_b64 exec, exec, s[22:23]
; %bb.185:
	s_or_b64 s[24:25], s[6:7], exec
                                        ; implicit-def: $vgpr14
; %bb.186:
	s_or_b64 exec, exec, s[22:23]
	s_andn2_b64 s[22:23], s[14:15], exec
	s_and_b64 s[20:21], s[20:21], exec
	s_or_b64 s[22:23], s[22:23], s[20:21]
	s_andn2_b64 s[20:21], s[6:7], exec
	s_and_b64 s[24:25], s[24:25], exec
	s_or_b64 s[20:21], s[20:21], s[24:25]
	s_waitcnt lgkmcnt(0)
	v_mov_b32_e32 v10, v14
	v_mov_b32_e32 v11, v13
                                        ; implicit-def: $vgpr18
.LBB2956_187:
	s_andn2_saveexec_b64 s[18:19], s[18:19]
	s_cbranch_execz .LBB2956_189
; %bb.188:
	s_or_b64 s[20:21], s[20:21], exec
                                        ; implicit-def: $vgpr10
	s_waitcnt lgkmcnt(0)
	v_mov_b32_e32 v11, v18
.LBB2956_189:
	s_or_b64 exec, exec, s[18:19]
	s_andn2_b64 s[14:15], s[14:15], exec
	s_and_b64 s[18:19], s[22:23], exec
	s_or_b64 s[14:15], s[14:15], s[18:19]
	s_andn2_b64 s[18:19], s[6:7], exec
	s_and_b64 s[20:21], s[20:21], exec
	s_or_b64 s[18:19], s[18:19], s[20:21]
.LBB2956_190:
	s_or_b64 exec, exec, s[16:17]
	s_andn2_b64 s[4:5], s[4:5], exec
	s_and_b64 s[14:15], s[14:15], exec
	s_or_b64 s[4:5], s[4:5], s[14:15]
	s_andn2_b64 s[6:7], s[6:7], exec
	s_and_b64 s[14:15], s[18:19], exec
	s_or_b64 s[6:7], s[6:7], s[14:15]
                                        ; implicit-def: $vgpr12
.LBB2956_191:
	s_or_b64 exec, exec, s[12:13]
	s_and_b64 s[4:5], s[4:5], exec
	s_and_b64 s[6:7], s[6:7], exec
	;; [unrolled: 1-line block ×3, first 2 shown]
                                        ; implicit-def: $vgpr17
                                        ; implicit-def: $vgpr15
                                        ; implicit-def: $vgpr16
                                        ; implicit-def: $vgpr25
                                        ; implicit-def: $vgpr22
                                        ; implicit-def: $vgpr19
	s_andn2_saveexec_b64 s[2:3], s[2:3]
	s_cbranch_execz .LBB2956_142
.LBB2956_192:
	v_cmp_lt_i64_e32 vcc, 5, v[0:1]
	s_mov_b64 s[14:15], -1
	s_mov_b64 s[12:13], s[8:9]
	s_mov_b64 s[16:17], s[6:7]
	;; [unrolled: 1-line block ×3, first 2 shown]
                                        ; implicit-def: $vgpr10
                                        ; implicit-def: $vgpr11
                                        ; implicit-def: $vgpr12
	s_and_saveexec_b64 s[0:1], vcc
	s_cbranch_execz .LBB2956_208
; %bb.193:
	v_cmp_lt_i64_e32 vcc, 8, v[0:1]
	s_mov_b64 s[12:13], s[8:9]
                                        ; implicit-def: $vgpr12
	s_and_saveexec_b64 s[14:15], vcc
	s_xor_b64 s[14:15], exec, s[14:15]
	s_cbranch_execz .LBB2956_203
; %bb.194:
	v_cmp_lt_i64_e32 vcc, 9, v[0:1]
	s_and_saveexec_b64 s[12:13], vcc
	s_xor_b64 s[12:13], exec, s[12:13]
	s_cbranch_execz .LBB2956_200
; %bb.195:
	v_cmp_lt_i64_e32 vcc, 10, v[0:1]
	s_and_saveexec_b64 s[16:17], vcc
	s_xor_b64 s[16:17], exec, s[16:17]
; %bb.196:
                                        ; implicit-def: $vgpr22
; %bb.197:
	s_andn2_saveexec_b64 s[16:17], s[16:17]
	s_cbranch_execz .LBB2956_199
; %bb.198:
	s_waitcnt lgkmcnt(0)
	v_mov_b32_e32 v19, v22
.LBB2956_199:
	s_or_b64 exec, exec, s[16:17]
                                        ; implicit-def: $vgpr25
.LBB2956_200:
	s_andn2_saveexec_b64 s[12:13], s[12:13]
	s_cbranch_execz .LBB2956_202
; %bb.201:
	s_waitcnt lgkmcnt(0)
	v_mov_b32_e32 v19, v25
.LBB2956_202:
	s_or_b64 exec, exec, s[12:13]
	s_or_b64 s[12:13], s[8:9], exec
	s_waitcnt lgkmcnt(0)
	v_mov_b32_e32 v12, v19
                                        ; implicit-def: $vgpr17
                                        ; implicit-def: $vgpr15
                                        ; implicit-def: $vgpr16
.LBB2956_203:
	s_or_saveexec_b64 s[14:15], s[14:15]
	s_mov_b64 s[16:17], s[6:7]
	s_mov_b64 s[20:21], s[4:5]
                                        ; implicit-def: $vgpr10
                                        ; implicit-def: $vgpr11
	s_xor_b64 exec, exec, s[14:15]
	s_cbranch_execz .LBB2956_207
; %bb.204:
	v_cmp_lt_i64_e32 vcc, 6, v[0:1]
	s_mov_b64 s[20:21], -1
	s_mov_b64 s[18:19], s[12:13]
	s_mov_b64 s[16:17], s[6:7]
	s_and_saveexec_b64 s[22:23], vcc
; %bb.205:
	v_cmp_lt_i64_e32 vcc, 7, v[0:1]
	s_andn2_b64 s[18:19], s[12:13], exec
	s_and_b64 s[24:25], vcc, exec
	s_xor_b64 s[20:21], exec, -1
	s_or_b64 s[16:17], s[6:7], exec
	s_or_b64 s[18:19], s[18:19], s[24:25]
                                        ; implicit-def: $vgpr17
; %bb.206:
	s_or_b64 exec, exec, s[22:23]
	s_andn2_b64 s[22:23], s[4:5], exec
	s_and_b64 s[20:21], s[20:21], exec
	s_or_b64 s[20:21], s[22:23], s[20:21]
	s_andn2_b64 s[22:23], s[6:7], exec
	s_and_b64 s[16:17], s[16:17], exec
	s_andn2_b64 s[12:13], s[12:13], exec
	s_and_b64 s[18:19], s[18:19], exec
	s_or_b64 s[16:17], s[22:23], s[16:17]
	s_or_b64 s[12:13], s[12:13], s[18:19]
	s_waitcnt lgkmcnt(0)
	v_mov_b32_e32 v10, v17
	v_mov_b32_e32 v11, v15
	v_mov_b32_e32 v12, v16
.LBB2956_207:
	s_or_b64 exec, exec, s[14:15]
	s_andn2_b64 s[18:19], s[4:5], exec
	s_and_b64 s[20:21], s[20:21], exec
	s_or_b64 s[18:19], s[18:19], s[20:21]
	s_andn2_b64 s[20:21], s[6:7], exec
	s_and_b64 s[16:17], s[16:17], exec
	s_or_b64 s[16:17], s[20:21], s[16:17]
	s_andn2_b64 s[20:21], s[8:9], exec
	s_and_b64 s[12:13], s[12:13], exec
	s_xor_b64 s[14:15], exec, -1
	s_or_b64 s[12:13], s[20:21], s[12:13]
.LBB2956_208:
	s_or_b64 exec, exec, s[0:1]
	s_and_b64 s[0:1], s[14:15], exec
	s_andn2_b64 s[4:5], s[4:5], exec
	s_and_b64 s[14:15], s[18:19], exec
	s_or_b64 s[4:5], s[4:5], s[14:15]
	s_andn2_b64 s[6:7], s[6:7], exec
	s_and_b64 s[14:15], s[16:17], exec
	s_andn2_b64 s[8:9], s[8:9], exec
	s_and_b64 s[12:13], s[12:13], exec
	s_or_b64 s[6:7], s[6:7], s[14:15]
	s_or_b64 s[8:9], s[8:9], s[12:13]
	s_or_b64 exec, exec, s[2:3]
	s_and_saveexec_b64 s[2:3], s[8:9]
	s_cbranch_execz .LBB2956_143
.LBB2956_209:
	v_mov_b32_e32 v2, 0
	s_andn2_b64 s[6:7], s[6:7], exec
	s_waitcnt lgkmcnt(0)
	global_store_short v2, v12, s[10:11]
                                        ; implicit-def: $vgpr10
                                        ; implicit-def: $vgpr11
	s_or_b64 exec, exec, s[2:3]
	s_and_saveexec_b64 s[2:3], s[6:7]
	s_cbranch_execz .LBB2956_144
.LBB2956_210:
	v_mov_b32_e32 v2, 0
	s_waitcnt lgkmcnt(0)
	global_store_short v2, v11, s[10:11]
                                        ; implicit-def: $vgpr10
	s_or_b64 exec, exec, s[2:3]
	s_and_saveexec_b64 s[2:3], s[4:5]
	s_xor_b64 s[2:3], exec, s[2:3]
	s_cbranch_execz .LBB2956_145
.LBB2956_211:
	v_mov_b32_e32 v2, 0
	s_waitcnt lgkmcnt(0)
	global_store_short v2, v10, s[10:11]
	s_or_b64 exec, exec, s[2:3]
	s_and_b64 exec, exec, s[0:1]
	s_cbranch_execz .LBB2956_146
.LBB2956_212:
	v_cmp_lt_i64_e32 vcc, 2, v[0:1]
	s_and_saveexec_b64 s[0:1], vcc
	s_xor_b64 s[0:1], exec, s[0:1]
	s_cbranch_execz .LBB2956_222
; %bb.213:
	v_cmp_lt_i64_e32 vcc, 3, v[0:1]
	s_and_saveexec_b64 s[2:3], vcc
	s_xor_b64 s[2:3], exec, s[2:3]
	s_cbranch_execz .LBB2956_219
; %bb.214:
	;; [unrolled: 5-line block ×3, first 2 shown]
	v_mov_b32_e32 v0, 0
	s_waitcnt lgkmcnt(0)
	global_store_short v0, v9, s[10:11]
                                        ; implicit-def: $vgpr6
.LBB2956_216:
	s_andn2_saveexec_b64 s[4:5], s[4:5]
	s_cbranch_execz .LBB2956_218
; %bb.217:
	v_mov_b32_e32 v0, 0
	s_waitcnt lgkmcnt(0)
	global_store_short v0, v6, s[10:11]
.LBB2956_218:
	s_or_b64 exec, exec, s[4:5]
                                        ; implicit-def: $vgpr8
.LBB2956_219:
	s_andn2_saveexec_b64 s[2:3], s[2:3]
	s_cbranch_execz .LBB2956_221
; %bb.220:
	v_mov_b32_e32 v0, 0
	s_waitcnt lgkmcnt(0)
	global_store_short v0, v8, s[10:11]
.LBB2956_221:
	s_or_b64 exec, exec, s[2:3]
                                        ; implicit-def: $vgpr0_vgpr1
                                        ; implicit-def: $vgpr7
                                        ; implicit-def: $vgpr4
                                        ; implicit-def: $vgpr5
.LBB2956_222:
	s_andn2_saveexec_b64 s[0:1], s[0:1]
	s_cbranch_execz .LBB2956_146
; %bb.223:
	v_cmp_lt_i64_e32 vcc, 1, v[0:1]
	s_and_saveexec_b64 s[0:1], vcc
	s_xor_b64 s[0:1], exec, s[0:1]
	s_cbranch_execz .LBB2956_225
; %bb.224:
	v_mov_b32_e32 v0, 0
	s_waitcnt lgkmcnt(0)
	global_store_short v0, v7, s[10:11]
                                        ; implicit-def: $vgpr4
                                        ; implicit-def: $vgpr0_vgpr1
                                        ; implicit-def: $vgpr5
.LBB2956_225:
	s_andn2_saveexec_b64 s[0:1], s[0:1]
	s_cbranch_execz .LBB2956_146
; %bb.226:
	v_cmp_ne_u64_e32 vcc, 1, v[0:1]
	s_and_saveexec_b64 s[0:1], vcc
	s_xor_b64 s[0:1], exec, s[0:1]
	s_cbranch_execz .LBB2956_228
; %bb.227:
	v_mov_b32_e32 v0, 0
	s_waitcnt lgkmcnt(0)
	global_store_short v0, v5, s[10:11]
                                        ; implicit-def: $vgpr4
.LBB2956_228:
	s_andn2_saveexec_b64 s[0:1], s[0:1]
	s_cbranch_execz .LBB2956_146
; %bb.229:
	v_mov_b32_e32 v0, 0
	s_waitcnt lgkmcnt(0)
	global_store_short v0, v4, s[10:11]
	s_endpgm
	.section	.rodata,"a",@progbits
	.p2align	6, 0x0
	.amdhsa_kernel _ZN7rocprim17ROCPRIM_400000_NS6detail17trampoline_kernelINS0_14default_configENS1_20scan_config_selectorIsEEZZNS1_9scan_implILNS1_25lookback_scan_determinismE0ELb1ELb1ES3_N6thrust23THRUST_200600_302600_NS6detail15normal_iteratorINS9_10device_ptrIsEEEESE_s11max_functorIsEsEEDaPvRmT3_T4_T5_mT6_P12ihipStream_tbENKUlT_T0_E_clISt17integral_constantIbLb1EEST_IbLb0EEEEDaSP_SQ_EUlSP_E_NS1_11comp_targetILNS1_3genE4ELNS1_11target_archE910ELNS1_3gpuE8ELNS1_3repE0EEENS1_30default_config_static_selectorELNS0_4arch9wavefront6targetE1EEEvT1_
		.amdhsa_group_segment_fixed_size 3072
		.amdhsa_private_segment_fixed_size 0
		.amdhsa_kernarg_size 96
		.amdhsa_user_sgpr_count 6
		.amdhsa_user_sgpr_private_segment_buffer 1
		.amdhsa_user_sgpr_dispatch_ptr 0
		.amdhsa_user_sgpr_queue_ptr 0
		.amdhsa_user_sgpr_kernarg_segment_ptr 1
		.amdhsa_user_sgpr_dispatch_id 0
		.amdhsa_user_sgpr_flat_scratch_init 0
		.amdhsa_user_sgpr_kernarg_preload_length 0
		.amdhsa_user_sgpr_kernarg_preload_offset 0
		.amdhsa_user_sgpr_private_segment_size 0
		.amdhsa_uses_dynamic_stack 0
		.amdhsa_system_sgpr_private_segment_wavefront_offset 0
		.amdhsa_system_sgpr_workgroup_id_x 1
		.amdhsa_system_sgpr_workgroup_id_y 0
		.amdhsa_system_sgpr_workgroup_id_z 0
		.amdhsa_system_sgpr_workgroup_info 0
		.amdhsa_system_vgpr_workitem_id 0
		.amdhsa_next_free_vgpr 58
		.amdhsa_next_free_sgpr 29
		.amdhsa_accum_offset 60
		.amdhsa_reserve_vcc 1
		.amdhsa_reserve_flat_scratch 0
		.amdhsa_float_round_mode_32 0
		.amdhsa_float_round_mode_16_64 0
		.amdhsa_float_denorm_mode_32 3
		.amdhsa_float_denorm_mode_16_64 3
		.amdhsa_dx10_clamp 1
		.amdhsa_ieee_mode 1
		.amdhsa_fp16_overflow 0
		.amdhsa_tg_split 0
		.amdhsa_exception_fp_ieee_invalid_op 0
		.amdhsa_exception_fp_denorm_src 0
		.amdhsa_exception_fp_ieee_div_zero 0
		.amdhsa_exception_fp_ieee_overflow 0
		.amdhsa_exception_fp_ieee_underflow 0
		.amdhsa_exception_fp_ieee_inexact 0
		.amdhsa_exception_int_div_zero 0
	.end_amdhsa_kernel
	.section	.text._ZN7rocprim17ROCPRIM_400000_NS6detail17trampoline_kernelINS0_14default_configENS1_20scan_config_selectorIsEEZZNS1_9scan_implILNS1_25lookback_scan_determinismE0ELb1ELb1ES3_N6thrust23THRUST_200600_302600_NS6detail15normal_iteratorINS9_10device_ptrIsEEEESE_s11max_functorIsEsEEDaPvRmT3_T4_T5_mT6_P12ihipStream_tbENKUlT_T0_E_clISt17integral_constantIbLb1EEST_IbLb0EEEEDaSP_SQ_EUlSP_E_NS1_11comp_targetILNS1_3genE4ELNS1_11target_archE910ELNS1_3gpuE8ELNS1_3repE0EEENS1_30default_config_static_selectorELNS0_4arch9wavefront6targetE1EEEvT1_,"axG",@progbits,_ZN7rocprim17ROCPRIM_400000_NS6detail17trampoline_kernelINS0_14default_configENS1_20scan_config_selectorIsEEZZNS1_9scan_implILNS1_25lookback_scan_determinismE0ELb1ELb1ES3_N6thrust23THRUST_200600_302600_NS6detail15normal_iteratorINS9_10device_ptrIsEEEESE_s11max_functorIsEsEEDaPvRmT3_T4_T5_mT6_P12ihipStream_tbENKUlT_T0_E_clISt17integral_constantIbLb1EEST_IbLb0EEEEDaSP_SQ_EUlSP_E_NS1_11comp_targetILNS1_3genE4ELNS1_11target_archE910ELNS1_3gpuE8ELNS1_3repE0EEENS1_30default_config_static_selectorELNS0_4arch9wavefront6targetE1EEEvT1_,comdat
.Lfunc_end2956:
	.size	_ZN7rocprim17ROCPRIM_400000_NS6detail17trampoline_kernelINS0_14default_configENS1_20scan_config_selectorIsEEZZNS1_9scan_implILNS1_25lookback_scan_determinismE0ELb1ELb1ES3_N6thrust23THRUST_200600_302600_NS6detail15normal_iteratorINS9_10device_ptrIsEEEESE_s11max_functorIsEsEEDaPvRmT3_T4_T5_mT6_P12ihipStream_tbENKUlT_T0_E_clISt17integral_constantIbLb1EEST_IbLb0EEEEDaSP_SQ_EUlSP_E_NS1_11comp_targetILNS1_3genE4ELNS1_11target_archE910ELNS1_3gpuE8ELNS1_3repE0EEENS1_30default_config_static_selectorELNS0_4arch9wavefront6targetE1EEEvT1_, .Lfunc_end2956-_ZN7rocprim17ROCPRIM_400000_NS6detail17trampoline_kernelINS0_14default_configENS1_20scan_config_selectorIsEEZZNS1_9scan_implILNS1_25lookback_scan_determinismE0ELb1ELb1ES3_N6thrust23THRUST_200600_302600_NS6detail15normal_iteratorINS9_10device_ptrIsEEEESE_s11max_functorIsEsEEDaPvRmT3_T4_T5_mT6_P12ihipStream_tbENKUlT_T0_E_clISt17integral_constantIbLb1EEST_IbLb0EEEEDaSP_SQ_EUlSP_E_NS1_11comp_targetILNS1_3genE4ELNS1_11target_archE910ELNS1_3gpuE8ELNS1_3repE0EEENS1_30default_config_static_selectorELNS0_4arch9wavefront6targetE1EEEvT1_
                                        ; -- End function
	.section	.AMDGPU.csdata,"",@progbits
; Kernel info:
; codeLenInByte = 7948
; NumSgprs: 33
; NumVgprs: 58
; NumAgprs: 0
; TotalNumVgprs: 58
; ScratchSize: 0
; MemoryBound: 0
; FloatMode: 240
; IeeeMode: 1
; LDSByteSize: 3072 bytes/workgroup (compile time only)
; SGPRBlocks: 4
; VGPRBlocks: 7
; NumSGPRsForWavesPerEU: 33
; NumVGPRsForWavesPerEU: 58
; AccumOffset: 60
; Occupancy: 6
; WaveLimiterHint : 1
; COMPUTE_PGM_RSRC2:SCRATCH_EN: 0
; COMPUTE_PGM_RSRC2:USER_SGPR: 6
; COMPUTE_PGM_RSRC2:TRAP_HANDLER: 0
; COMPUTE_PGM_RSRC2:TGID_X_EN: 1
; COMPUTE_PGM_RSRC2:TGID_Y_EN: 0
; COMPUTE_PGM_RSRC2:TGID_Z_EN: 0
; COMPUTE_PGM_RSRC2:TIDIG_COMP_CNT: 0
; COMPUTE_PGM_RSRC3_GFX90A:ACCUM_OFFSET: 14
; COMPUTE_PGM_RSRC3_GFX90A:TG_SPLIT: 0
	.section	.text._ZN7rocprim17ROCPRIM_400000_NS6detail17trampoline_kernelINS0_14default_configENS1_20scan_config_selectorIsEEZZNS1_9scan_implILNS1_25lookback_scan_determinismE0ELb1ELb1ES3_N6thrust23THRUST_200600_302600_NS6detail15normal_iteratorINS9_10device_ptrIsEEEESE_s11max_functorIsEsEEDaPvRmT3_T4_T5_mT6_P12ihipStream_tbENKUlT_T0_E_clISt17integral_constantIbLb1EEST_IbLb0EEEEDaSP_SQ_EUlSP_E_NS1_11comp_targetILNS1_3genE3ELNS1_11target_archE908ELNS1_3gpuE7ELNS1_3repE0EEENS1_30default_config_static_selectorELNS0_4arch9wavefront6targetE1EEEvT1_,"axG",@progbits,_ZN7rocprim17ROCPRIM_400000_NS6detail17trampoline_kernelINS0_14default_configENS1_20scan_config_selectorIsEEZZNS1_9scan_implILNS1_25lookback_scan_determinismE0ELb1ELb1ES3_N6thrust23THRUST_200600_302600_NS6detail15normal_iteratorINS9_10device_ptrIsEEEESE_s11max_functorIsEsEEDaPvRmT3_T4_T5_mT6_P12ihipStream_tbENKUlT_T0_E_clISt17integral_constantIbLb1EEST_IbLb0EEEEDaSP_SQ_EUlSP_E_NS1_11comp_targetILNS1_3genE3ELNS1_11target_archE908ELNS1_3gpuE7ELNS1_3repE0EEENS1_30default_config_static_selectorELNS0_4arch9wavefront6targetE1EEEvT1_,comdat
	.protected	_ZN7rocprim17ROCPRIM_400000_NS6detail17trampoline_kernelINS0_14default_configENS1_20scan_config_selectorIsEEZZNS1_9scan_implILNS1_25lookback_scan_determinismE0ELb1ELb1ES3_N6thrust23THRUST_200600_302600_NS6detail15normal_iteratorINS9_10device_ptrIsEEEESE_s11max_functorIsEsEEDaPvRmT3_T4_T5_mT6_P12ihipStream_tbENKUlT_T0_E_clISt17integral_constantIbLb1EEST_IbLb0EEEEDaSP_SQ_EUlSP_E_NS1_11comp_targetILNS1_3genE3ELNS1_11target_archE908ELNS1_3gpuE7ELNS1_3repE0EEENS1_30default_config_static_selectorELNS0_4arch9wavefront6targetE1EEEvT1_ ; -- Begin function _ZN7rocprim17ROCPRIM_400000_NS6detail17trampoline_kernelINS0_14default_configENS1_20scan_config_selectorIsEEZZNS1_9scan_implILNS1_25lookback_scan_determinismE0ELb1ELb1ES3_N6thrust23THRUST_200600_302600_NS6detail15normal_iteratorINS9_10device_ptrIsEEEESE_s11max_functorIsEsEEDaPvRmT3_T4_T5_mT6_P12ihipStream_tbENKUlT_T0_E_clISt17integral_constantIbLb1EEST_IbLb0EEEEDaSP_SQ_EUlSP_E_NS1_11comp_targetILNS1_3genE3ELNS1_11target_archE908ELNS1_3gpuE7ELNS1_3repE0EEENS1_30default_config_static_selectorELNS0_4arch9wavefront6targetE1EEEvT1_
	.globl	_ZN7rocprim17ROCPRIM_400000_NS6detail17trampoline_kernelINS0_14default_configENS1_20scan_config_selectorIsEEZZNS1_9scan_implILNS1_25lookback_scan_determinismE0ELb1ELb1ES3_N6thrust23THRUST_200600_302600_NS6detail15normal_iteratorINS9_10device_ptrIsEEEESE_s11max_functorIsEsEEDaPvRmT3_T4_T5_mT6_P12ihipStream_tbENKUlT_T0_E_clISt17integral_constantIbLb1EEST_IbLb0EEEEDaSP_SQ_EUlSP_E_NS1_11comp_targetILNS1_3genE3ELNS1_11target_archE908ELNS1_3gpuE7ELNS1_3repE0EEENS1_30default_config_static_selectorELNS0_4arch9wavefront6targetE1EEEvT1_
	.p2align	8
	.type	_ZN7rocprim17ROCPRIM_400000_NS6detail17trampoline_kernelINS0_14default_configENS1_20scan_config_selectorIsEEZZNS1_9scan_implILNS1_25lookback_scan_determinismE0ELb1ELb1ES3_N6thrust23THRUST_200600_302600_NS6detail15normal_iteratorINS9_10device_ptrIsEEEESE_s11max_functorIsEsEEDaPvRmT3_T4_T5_mT6_P12ihipStream_tbENKUlT_T0_E_clISt17integral_constantIbLb1EEST_IbLb0EEEEDaSP_SQ_EUlSP_E_NS1_11comp_targetILNS1_3genE3ELNS1_11target_archE908ELNS1_3gpuE7ELNS1_3repE0EEENS1_30default_config_static_selectorELNS0_4arch9wavefront6targetE1EEEvT1_,@function
_ZN7rocprim17ROCPRIM_400000_NS6detail17trampoline_kernelINS0_14default_configENS1_20scan_config_selectorIsEEZZNS1_9scan_implILNS1_25lookback_scan_determinismE0ELb1ELb1ES3_N6thrust23THRUST_200600_302600_NS6detail15normal_iteratorINS9_10device_ptrIsEEEESE_s11max_functorIsEsEEDaPvRmT3_T4_T5_mT6_P12ihipStream_tbENKUlT_T0_E_clISt17integral_constantIbLb1EEST_IbLb0EEEEDaSP_SQ_EUlSP_E_NS1_11comp_targetILNS1_3genE3ELNS1_11target_archE908ELNS1_3gpuE7ELNS1_3repE0EEENS1_30default_config_static_selectorELNS0_4arch9wavefront6targetE1EEEvT1_: ; @_ZN7rocprim17ROCPRIM_400000_NS6detail17trampoline_kernelINS0_14default_configENS1_20scan_config_selectorIsEEZZNS1_9scan_implILNS1_25lookback_scan_determinismE0ELb1ELb1ES3_N6thrust23THRUST_200600_302600_NS6detail15normal_iteratorINS9_10device_ptrIsEEEESE_s11max_functorIsEsEEDaPvRmT3_T4_T5_mT6_P12ihipStream_tbENKUlT_T0_E_clISt17integral_constantIbLb1EEST_IbLb0EEEEDaSP_SQ_EUlSP_E_NS1_11comp_targetILNS1_3genE3ELNS1_11target_archE908ELNS1_3gpuE7ELNS1_3repE0EEENS1_30default_config_static_selectorELNS0_4arch9wavefront6targetE1EEEvT1_
; %bb.0:
	.section	.rodata,"a",@progbits
	.p2align	6, 0x0
	.amdhsa_kernel _ZN7rocprim17ROCPRIM_400000_NS6detail17trampoline_kernelINS0_14default_configENS1_20scan_config_selectorIsEEZZNS1_9scan_implILNS1_25lookback_scan_determinismE0ELb1ELb1ES3_N6thrust23THRUST_200600_302600_NS6detail15normal_iteratorINS9_10device_ptrIsEEEESE_s11max_functorIsEsEEDaPvRmT3_T4_T5_mT6_P12ihipStream_tbENKUlT_T0_E_clISt17integral_constantIbLb1EEST_IbLb0EEEEDaSP_SQ_EUlSP_E_NS1_11comp_targetILNS1_3genE3ELNS1_11target_archE908ELNS1_3gpuE7ELNS1_3repE0EEENS1_30default_config_static_selectorELNS0_4arch9wavefront6targetE1EEEvT1_
		.amdhsa_group_segment_fixed_size 0
		.amdhsa_private_segment_fixed_size 0
		.amdhsa_kernarg_size 96
		.amdhsa_user_sgpr_count 6
		.amdhsa_user_sgpr_private_segment_buffer 1
		.amdhsa_user_sgpr_dispatch_ptr 0
		.amdhsa_user_sgpr_queue_ptr 0
		.amdhsa_user_sgpr_kernarg_segment_ptr 1
		.amdhsa_user_sgpr_dispatch_id 0
		.amdhsa_user_sgpr_flat_scratch_init 0
		.amdhsa_user_sgpr_kernarg_preload_length 0
		.amdhsa_user_sgpr_kernarg_preload_offset 0
		.amdhsa_user_sgpr_private_segment_size 0
		.amdhsa_uses_dynamic_stack 0
		.amdhsa_system_sgpr_private_segment_wavefront_offset 0
		.amdhsa_system_sgpr_workgroup_id_x 1
		.amdhsa_system_sgpr_workgroup_id_y 0
		.amdhsa_system_sgpr_workgroup_id_z 0
		.amdhsa_system_sgpr_workgroup_info 0
		.amdhsa_system_vgpr_workitem_id 0
		.amdhsa_next_free_vgpr 1
		.amdhsa_next_free_sgpr 0
		.amdhsa_accum_offset 4
		.amdhsa_reserve_vcc 0
		.amdhsa_reserve_flat_scratch 0
		.amdhsa_float_round_mode_32 0
		.amdhsa_float_round_mode_16_64 0
		.amdhsa_float_denorm_mode_32 3
		.amdhsa_float_denorm_mode_16_64 3
		.amdhsa_dx10_clamp 1
		.amdhsa_ieee_mode 1
		.amdhsa_fp16_overflow 0
		.amdhsa_tg_split 0
		.amdhsa_exception_fp_ieee_invalid_op 0
		.amdhsa_exception_fp_denorm_src 0
		.amdhsa_exception_fp_ieee_div_zero 0
		.amdhsa_exception_fp_ieee_overflow 0
		.amdhsa_exception_fp_ieee_underflow 0
		.amdhsa_exception_fp_ieee_inexact 0
		.amdhsa_exception_int_div_zero 0
	.end_amdhsa_kernel
	.section	.text._ZN7rocprim17ROCPRIM_400000_NS6detail17trampoline_kernelINS0_14default_configENS1_20scan_config_selectorIsEEZZNS1_9scan_implILNS1_25lookback_scan_determinismE0ELb1ELb1ES3_N6thrust23THRUST_200600_302600_NS6detail15normal_iteratorINS9_10device_ptrIsEEEESE_s11max_functorIsEsEEDaPvRmT3_T4_T5_mT6_P12ihipStream_tbENKUlT_T0_E_clISt17integral_constantIbLb1EEST_IbLb0EEEEDaSP_SQ_EUlSP_E_NS1_11comp_targetILNS1_3genE3ELNS1_11target_archE908ELNS1_3gpuE7ELNS1_3repE0EEENS1_30default_config_static_selectorELNS0_4arch9wavefront6targetE1EEEvT1_,"axG",@progbits,_ZN7rocprim17ROCPRIM_400000_NS6detail17trampoline_kernelINS0_14default_configENS1_20scan_config_selectorIsEEZZNS1_9scan_implILNS1_25lookback_scan_determinismE0ELb1ELb1ES3_N6thrust23THRUST_200600_302600_NS6detail15normal_iteratorINS9_10device_ptrIsEEEESE_s11max_functorIsEsEEDaPvRmT3_T4_T5_mT6_P12ihipStream_tbENKUlT_T0_E_clISt17integral_constantIbLb1EEST_IbLb0EEEEDaSP_SQ_EUlSP_E_NS1_11comp_targetILNS1_3genE3ELNS1_11target_archE908ELNS1_3gpuE7ELNS1_3repE0EEENS1_30default_config_static_selectorELNS0_4arch9wavefront6targetE1EEEvT1_,comdat
.Lfunc_end2957:
	.size	_ZN7rocprim17ROCPRIM_400000_NS6detail17trampoline_kernelINS0_14default_configENS1_20scan_config_selectorIsEEZZNS1_9scan_implILNS1_25lookback_scan_determinismE0ELb1ELb1ES3_N6thrust23THRUST_200600_302600_NS6detail15normal_iteratorINS9_10device_ptrIsEEEESE_s11max_functorIsEsEEDaPvRmT3_T4_T5_mT6_P12ihipStream_tbENKUlT_T0_E_clISt17integral_constantIbLb1EEST_IbLb0EEEEDaSP_SQ_EUlSP_E_NS1_11comp_targetILNS1_3genE3ELNS1_11target_archE908ELNS1_3gpuE7ELNS1_3repE0EEENS1_30default_config_static_selectorELNS0_4arch9wavefront6targetE1EEEvT1_, .Lfunc_end2957-_ZN7rocprim17ROCPRIM_400000_NS6detail17trampoline_kernelINS0_14default_configENS1_20scan_config_selectorIsEEZZNS1_9scan_implILNS1_25lookback_scan_determinismE0ELb1ELb1ES3_N6thrust23THRUST_200600_302600_NS6detail15normal_iteratorINS9_10device_ptrIsEEEESE_s11max_functorIsEsEEDaPvRmT3_T4_T5_mT6_P12ihipStream_tbENKUlT_T0_E_clISt17integral_constantIbLb1EEST_IbLb0EEEEDaSP_SQ_EUlSP_E_NS1_11comp_targetILNS1_3genE3ELNS1_11target_archE908ELNS1_3gpuE7ELNS1_3repE0EEENS1_30default_config_static_selectorELNS0_4arch9wavefront6targetE1EEEvT1_
                                        ; -- End function
	.section	.AMDGPU.csdata,"",@progbits
; Kernel info:
; codeLenInByte = 0
; NumSgprs: 4
; NumVgprs: 0
; NumAgprs: 0
; TotalNumVgprs: 0
; ScratchSize: 0
; MemoryBound: 0
; FloatMode: 240
; IeeeMode: 1
; LDSByteSize: 0 bytes/workgroup (compile time only)
; SGPRBlocks: 0
; VGPRBlocks: 0
; NumSGPRsForWavesPerEU: 4
; NumVGPRsForWavesPerEU: 1
; AccumOffset: 4
; Occupancy: 8
; WaveLimiterHint : 0
; COMPUTE_PGM_RSRC2:SCRATCH_EN: 0
; COMPUTE_PGM_RSRC2:USER_SGPR: 6
; COMPUTE_PGM_RSRC2:TRAP_HANDLER: 0
; COMPUTE_PGM_RSRC2:TGID_X_EN: 1
; COMPUTE_PGM_RSRC2:TGID_Y_EN: 0
; COMPUTE_PGM_RSRC2:TGID_Z_EN: 0
; COMPUTE_PGM_RSRC2:TIDIG_COMP_CNT: 0
; COMPUTE_PGM_RSRC3_GFX90A:ACCUM_OFFSET: 0
; COMPUTE_PGM_RSRC3_GFX90A:TG_SPLIT: 0
	.section	.text._ZN7rocprim17ROCPRIM_400000_NS6detail17trampoline_kernelINS0_14default_configENS1_20scan_config_selectorIsEEZZNS1_9scan_implILNS1_25lookback_scan_determinismE0ELb1ELb1ES3_N6thrust23THRUST_200600_302600_NS6detail15normal_iteratorINS9_10device_ptrIsEEEESE_s11max_functorIsEsEEDaPvRmT3_T4_T5_mT6_P12ihipStream_tbENKUlT_T0_E_clISt17integral_constantIbLb1EEST_IbLb0EEEEDaSP_SQ_EUlSP_E_NS1_11comp_targetILNS1_3genE2ELNS1_11target_archE906ELNS1_3gpuE6ELNS1_3repE0EEENS1_30default_config_static_selectorELNS0_4arch9wavefront6targetE1EEEvT1_,"axG",@progbits,_ZN7rocprim17ROCPRIM_400000_NS6detail17trampoline_kernelINS0_14default_configENS1_20scan_config_selectorIsEEZZNS1_9scan_implILNS1_25lookback_scan_determinismE0ELb1ELb1ES3_N6thrust23THRUST_200600_302600_NS6detail15normal_iteratorINS9_10device_ptrIsEEEESE_s11max_functorIsEsEEDaPvRmT3_T4_T5_mT6_P12ihipStream_tbENKUlT_T0_E_clISt17integral_constantIbLb1EEST_IbLb0EEEEDaSP_SQ_EUlSP_E_NS1_11comp_targetILNS1_3genE2ELNS1_11target_archE906ELNS1_3gpuE6ELNS1_3repE0EEENS1_30default_config_static_selectorELNS0_4arch9wavefront6targetE1EEEvT1_,comdat
	.protected	_ZN7rocprim17ROCPRIM_400000_NS6detail17trampoline_kernelINS0_14default_configENS1_20scan_config_selectorIsEEZZNS1_9scan_implILNS1_25lookback_scan_determinismE0ELb1ELb1ES3_N6thrust23THRUST_200600_302600_NS6detail15normal_iteratorINS9_10device_ptrIsEEEESE_s11max_functorIsEsEEDaPvRmT3_T4_T5_mT6_P12ihipStream_tbENKUlT_T0_E_clISt17integral_constantIbLb1EEST_IbLb0EEEEDaSP_SQ_EUlSP_E_NS1_11comp_targetILNS1_3genE2ELNS1_11target_archE906ELNS1_3gpuE6ELNS1_3repE0EEENS1_30default_config_static_selectorELNS0_4arch9wavefront6targetE1EEEvT1_ ; -- Begin function _ZN7rocprim17ROCPRIM_400000_NS6detail17trampoline_kernelINS0_14default_configENS1_20scan_config_selectorIsEEZZNS1_9scan_implILNS1_25lookback_scan_determinismE0ELb1ELb1ES3_N6thrust23THRUST_200600_302600_NS6detail15normal_iteratorINS9_10device_ptrIsEEEESE_s11max_functorIsEsEEDaPvRmT3_T4_T5_mT6_P12ihipStream_tbENKUlT_T0_E_clISt17integral_constantIbLb1EEST_IbLb0EEEEDaSP_SQ_EUlSP_E_NS1_11comp_targetILNS1_3genE2ELNS1_11target_archE906ELNS1_3gpuE6ELNS1_3repE0EEENS1_30default_config_static_selectorELNS0_4arch9wavefront6targetE1EEEvT1_
	.globl	_ZN7rocprim17ROCPRIM_400000_NS6detail17trampoline_kernelINS0_14default_configENS1_20scan_config_selectorIsEEZZNS1_9scan_implILNS1_25lookback_scan_determinismE0ELb1ELb1ES3_N6thrust23THRUST_200600_302600_NS6detail15normal_iteratorINS9_10device_ptrIsEEEESE_s11max_functorIsEsEEDaPvRmT3_T4_T5_mT6_P12ihipStream_tbENKUlT_T0_E_clISt17integral_constantIbLb1EEST_IbLb0EEEEDaSP_SQ_EUlSP_E_NS1_11comp_targetILNS1_3genE2ELNS1_11target_archE906ELNS1_3gpuE6ELNS1_3repE0EEENS1_30default_config_static_selectorELNS0_4arch9wavefront6targetE1EEEvT1_
	.p2align	8
	.type	_ZN7rocprim17ROCPRIM_400000_NS6detail17trampoline_kernelINS0_14default_configENS1_20scan_config_selectorIsEEZZNS1_9scan_implILNS1_25lookback_scan_determinismE0ELb1ELb1ES3_N6thrust23THRUST_200600_302600_NS6detail15normal_iteratorINS9_10device_ptrIsEEEESE_s11max_functorIsEsEEDaPvRmT3_T4_T5_mT6_P12ihipStream_tbENKUlT_T0_E_clISt17integral_constantIbLb1EEST_IbLb0EEEEDaSP_SQ_EUlSP_E_NS1_11comp_targetILNS1_3genE2ELNS1_11target_archE906ELNS1_3gpuE6ELNS1_3repE0EEENS1_30default_config_static_selectorELNS0_4arch9wavefront6targetE1EEEvT1_,@function
_ZN7rocprim17ROCPRIM_400000_NS6detail17trampoline_kernelINS0_14default_configENS1_20scan_config_selectorIsEEZZNS1_9scan_implILNS1_25lookback_scan_determinismE0ELb1ELb1ES3_N6thrust23THRUST_200600_302600_NS6detail15normal_iteratorINS9_10device_ptrIsEEEESE_s11max_functorIsEsEEDaPvRmT3_T4_T5_mT6_P12ihipStream_tbENKUlT_T0_E_clISt17integral_constantIbLb1EEST_IbLb0EEEEDaSP_SQ_EUlSP_E_NS1_11comp_targetILNS1_3genE2ELNS1_11target_archE906ELNS1_3gpuE6ELNS1_3repE0EEENS1_30default_config_static_selectorELNS0_4arch9wavefront6targetE1EEEvT1_: ; @_ZN7rocprim17ROCPRIM_400000_NS6detail17trampoline_kernelINS0_14default_configENS1_20scan_config_selectorIsEEZZNS1_9scan_implILNS1_25lookback_scan_determinismE0ELb1ELb1ES3_N6thrust23THRUST_200600_302600_NS6detail15normal_iteratorINS9_10device_ptrIsEEEESE_s11max_functorIsEsEEDaPvRmT3_T4_T5_mT6_P12ihipStream_tbENKUlT_T0_E_clISt17integral_constantIbLb1EEST_IbLb0EEEEDaSP_SQ_EUlSP_E_NS1_11comp_targetILNS1_3genE2ELNS1_11target_archE906ELNS1_3gpuE6ELNS1_3repE0EEENS1_30default_config_static_selectorELNS0_4arch9wavefront6targetE1EEEvT1_
; %bb.0:
	.section	.rodata,"a",@progbits
	.p2align	6, 0x0
	.amdhsa_kernel _ZN7rocprim17ROCPRIM_400000_NS6detail17trampoline_kernelINS0_14default_configENS1_20scan_config_selectorIsEEZZNS1_9scan_implILNS1_25lookback_scan_determinismE0ELb1ELb1ES3_N6thrust23THRUST_200600_302600_NS6detail15normal_iteratorINS9_10device_ptrIsEEEESE_s11max_functorIsEsEEDaPvRmT3_T4_T5_mT6_P12ihipStream_tbENKUlT_T0_E_clISt17integral_constantIbLb1EEST_IbLb0EEEEDaSP_SQ_EUlSP_E_NS1_11comp_targetILNS1_3genE2ELNS1_11target_archE906ELNS1_3gpuE6ELNS1_3repE0EEENS1_30default_config_static_selectorELNS0_4arch9wavefront6targetE1EEEvT1_
		.amdhsa_group_segment_fixed_size 0
		.amdhsa_private_segment_fixed_size 0
		.amdhsa_kernarg_size 96
		.amdhsa_user_sgpr_count 6
		.amdhsa_user_sgpr_private_segment_buffer 1
		.amdhsa_user_sgpr_dispatch_ptr 0
		.amdhsa_user_sgpr_queue_ptr 0
		.amdhsa_user_sgpr_kernarg_segment_ptr 1
		.amdhsa_user_sgpr_dispatch_id 0
		.amdhsa_user_sgpr_flat_scratch_init 0
		.amdhsa_user_sgpr_kernarg_preload_length 0
		.amdhsa_user_sgpr_kernarg_preload_offset 0
		.amdhsa_user_sgpr_private_segment_size 0
		.amdhsa_uses_dynamic_stack 0
		.amdhsa_system_sgpr_private_segment_wavefront_offset 0
		.amdhsa_system_sgpr_workgroup_id_x 1
		.amdhsa_system_sgpr_workgroup_id_y 0
		.amdhsa_system_sgpr_workgroup_id_z 0
		.amdhsa_system_sgpr_workgroup_info 0
		.amdhsa_system_vgpr_workitem_id 0
		.amdhsa_next_free_vgpr 1
		.amdhsa_next_free_sgpr 0
		.amdhsa_accum_offset 4
		.amdhsa_reserve_vcc 0
		.amdhsa_reserve_flat_scratch 0
		.amdhsa_float_round_mode_32 0
		.amdhsa_float_round_mode_16_64 0
		.amdhsa_float_denorm_mode_32 3
		.amdhsa_float_denorm_mode_16_64 3
		.amdhsa_dx10_clamp 1
		.amdhsa_ieee_mode 1
		.amdhsa_fp16_overflow 0
		.amdhsa_tg_split 0
		.amdhsa_exception_fp_ieee_invalid_op 0
		.amdhsa_exception_fp_denorm_src 0
		.amdhsa_exception_fp_ieee_div_zero 0
		.amdhsa_exception_fp_ieee_overflow 0
		.amdhsa_exception_fp_ieee_underflow 0
		.amdhsa_exception_fp_ieee_inexact 0
		.amdhsa_exception_int_div_zero 0
	.end_amdhsa_kernel
	.section	.text._ZN7rocprim17ROCPRIM_400000_NS6detail17trampoline_kernelINS0_14default_configENS1_20scan_config_selectorIsEEZZNS1_9scan_implILNS1_25lookback_scan_determinismE0ELb1ELb1ES3_N6thrust23THRUST_200600_302600_NS6detail15normal_iteratorINS9_10device_ptrIsEEEESE_s11max_functorIsEsEEDaPvRmT3_T4_T5_mT6_P12ihipStream_tbENKUlT_T0_E_clISt17integral_constantIbLb1EEST_IbLb0EEEEDaSP_SQ_EUlSP_E_NS1_11comp_targetILNS1_3genE2ELNS1_11target_archE906ELNS1_3gpuE6ELNS1_3repE0EEENS1_30default_config_static_selectorELNS0_4arch9wavefront6targetE1EEEvT1_,"axG",@progbits,_ZN7rocprim17ROCPRIM_400000_NS6detail17trampoline_kernelINS0_14default_configENS1_20scan_config_selectorIsEEZZNS1_9scan_implILNS1_25lookback_scan_determinismE0ELb1ELb1ES3_N6thrust23THRUST_200600_302600_NS6detail15normal_iteratorINS9_10device_ptrIsEEEESE_s11max_functorIsEsEEDaPvRmT3_T4_T5_mT6_P12ihipStream_tbENKUlT_T0_E_clISt17integral_constantIbLb1EEST_IbLb0EEEEDaSP_SQ_EUlSP_E_NS1_11comp_targetILNS1_3genE2ELNS1_11target_archE906ELNS1_3gpuE6ELNS1_3repE0EEENS1_30default_config_static_selectorELNS0_4arch9wavefront6targetE1EEEvT1_,comdat
.Lfunc_end2958:
	.size	_ZN7rocprim17ROCPRIM_400000_NS6detail17trampoline_kernelINS0_14default_configENS1_20scan_config_selectorIsEEZZNS1_9scan_implILNS1_25lookback_scan_determinismE0ELb1ELb1ES3_N6thrust23THRUST_200600_302600_NS6detail15normal_iteratorINS9_10device_ptrIsEEEESE_s11max_functorIsEsEEDaPvRmT3_T4_T5_mT6_P12ihipStream_tbENKUlT_T0_E_clISt17integral_constantIbLb1EEST_IbLb0EEEEDaSP_SQ_EUlSP_E_NS1_11comp_targetILNS1_3genE2ELNS1_11target_archE906ELNS1_3gpuE6ELNS1_3repE0EEENS1_30default_config_static_selectorELNS0_4arch9wavefront6targetE1EEEvT1_, .Lfunc_end2958-_ZN7rocprim17ROCPRIM_400000_NS6detail17trampoline_kernelINS0_14default_configENS1_20scan_config_selectorIsEEZZNS1_9scan_implILNS1_25lookback_scan_determinismE0ELb1ELb1ES3_N6thrust23THRUST_200600_302600_NS6detail15normal_iteratorINS9_10device_ptrIsEEEESE_s11max_functorIsEsEEDaPvRmT3_T4_T5_mT6_P12ihipStream_tbENKUlT_T0_E_clISt17integral_constantIbLb1EEST_IbLb0EEEEDaSP_SQ_EUlSP_E_NS1_11comp_targetILNS1_3genE2ELNS1_11target_archE906ELNS1_3gpuE6ELNS1_3repE0EEENS1_30default_config_static_selectorELNS0_4arch9wavefront6targetE1EEEvT1_
                                        ; -- End function
	.section	.AMDGPU.csdata,"",@progbits
; Kernel info:
; codeLenInByte = 0
; NumSgprs: 4
; NumVgprs: 0
; NumAgprs: 0
; TotalNumVgprs: 0
; ScratchSize: 0
; MemoryBound: 0
; FloatMode: 240
; IeeeMode: 1
; LDSByteSize: 0 bytes/workgroup (compile time only)
; SGPRBlocks: 0
; VGPRBlocks: 0
; NumSGPRsForWavesPerEU: 4
; NumVGPRsForWavesPerEU: 1
; AccumOffset: 4
; Occupancy: 8
; WaveLimiterHint : 0
; COMPUTE_PGM_RSRC2:SCRATCH_EN: 0
; COMPUTE_PGM_RSRC2:USER_SGPR: 6
; COMPUTE_PGM_RSRC2:TRAP_HANDLER: 0
; COMPUTE_PGM_RSRC2:TGID_X_EN: 1
; COMPUTE_PGM_RSRC2:TGID_Y_EN: 0
; COMPUTE_PGM_RSRC2:TGID_Z_EN: 0
; COMPUTE_PGM_RSRC2:TIDIG_COMP_CNT: 0
; COMPUTE_PGM_RSRC3_GFX90A:ACCUM_OFFSET: 0
; COMPUTE_PGM_RSRC3_GFX90A:TG_SPLIT: 0
	.section	.text._ZN7rocprim17ROCPRIM_400000_NS6detail17trampoline_kernelINS0_14default_configENS1_20scan_config_selectorIsEEZZNS1_9scan_implILNS1_25lookback_scan_determinismE0ELb1ELb1ES3_N6thrust23THRUST_200600_302600_NS6detail15normal_iteratorINS9_10device_ptrIsEEEESE_s11max_functorIsEsEEDaPvRmT3_T4_T5_mT6_P12ihipStream_tbENKUlT_T0_E_clISt17integral_constantIbLb1EEST_IbLb0EEEEDaSP_SQ_EUlSP_E_NS1_11comp_targetILNS1_3genE10ELNS1_11target_archE1201ELNS1_3gpuE5ELNS1_3repE0EEENS1_30default_config_static_selectorELNS0_4arch9wavefront6targetE1EEEvT1_,"axG",@progbits,_ZN7rocprim17ROCPRIM_400000_NS6detail17trampoline_kernelINS0_14default_configENS1_20scan_config_selectorIsEEZZNS1_9scan_implILNS1_25lookback_scan_determinismE0ELb1ELb1ES3_N6thrust23THRUST_200600_302600_NS6detail15normal_iteratorINS9_10device_ptrIsEEEESE_s11max_functorIsEsEEDaPvRmT3_T4_T5_mT6_P12ihipStream_tbENKUlT_T0_E_clISt17integral_constantIbLb1EEST_IbLb0EEEEDaSP_SQ_EUlSP_E_NS1_11comp_targetILNS1_3genE10ELNS1_11target_archE1201ELNS1_3gpuE5ELNS1_3repE0EEENS1_30default_config_static_selectorELNS0_4arch9wavefront6targetE1EEEvT1_,comdat
	.protected	_ZN7rocprim17ROCPRIM_400000_NS6detail17trampoline_kernelINS0_14default_configENS1_20scan_config_selectorIsEEZZNS1_9scan_implILNS1_25lookback_scan_determinismE0ELb1ELb1ES3_N6thrust23THRUST_200600_302600_NS6detail15normal_iteratorINS9_10device_ptrIsEEEESE_s11max_functorIsEsEEDaPvRmT3_T4_T5_mT6_P12ihipStream_tbENKUlT_T0_E_clISt17integral_constantIbLb1EEST_IbLb0EEEEDaSP_SQ_EUlSP_E_NS1_11comp_targetILNS1_3genE10ELNS1_11target_archE1201ELNS1_3gpuE5ELNS1_3repE0EEENS1_30default_config_static_selectorELNS0_4arch9wavefront6targetE1EEEvT1_ ; -- Begin function _ZN7rocprim17ROCPRIM_400000_NS6detail17trampoline_kernelINS0_14default_configENS1_20scan_config_selectorIsEEZZNS1_9scan_implILNS1_25lookback_scan_determinismE0ELb1ELb1ES3_N6thrust23THRUST_200600_302600_NS6detail15normal_iteratorINS9_10device_ptrIsEEEESE_s11max_functorIsEsEEDaPvRmT3_T4_T5_mT6_P12ihipStream_tbENKUlT_T0_E_clISt17integral_constantIbLb1EEST_IbLb0EEEEDaSP_SQ_EUlSP_E_NS1_11comp_targetILNS1_3genE10ELNS1_11target_archE1201ELNS1_3gpuE5ELNS1_3repE0EEENS1_30default_config_static_selectorELNS0_4arch9wavefront6targetE1EEEvT1_
	.globl	_ZN7rocprim17ROCPRIM_400000_NS6detail17trampoline_kernelINS0_14default_configENS1_20scan_config_selectorIsEEZZNS1_9scan_implILNS1_25lookback_scan_determinismE0ELb1ELb1ES3_N6thrust23THRUST_200600_302600_NS6detail15normal_iteratorINS9_10device_ptrIsEEEESE_s11max_functorIsEsEEDaPvRmT3_T4_T5_mT6_P12ihipStream_tbENKUlT_T0_E_clISt17integral_constantIbLb1EEST_IbLb0EEEEDaSP_SQ_EUlSP_E_NS1_11comp_targetILNS1_3genE10ELNS1_11target_archE1201ELNS1_3gpuE5ELNS1_3repE0EEENS1_30default_config_static_selectorELNS0_4arch9wavefront6targetE1EEEvT1_
	.p2align	8
	.type	_ZN7rocprim17ROCPRIM_400000_NS6detail17trampoline_kernelINS0_14default_configENS1_20scan_config_selectorIsEEZZNS1_9scan_implILNS1_25lookback_scan_determinismE0ELb1ELb1ES3_N6thrust23THRUST_200600_302600_NS6detail15normal_iteratorINS9_10device_ptrIsEEEESE_s11max_functorIsEsEEDaPvRmT3_T4_T5_mT6_P12ihipStream_tbENKUlT_T0_E_clISt17integral_constantIbLb1EEST_IbLb0EEEEDaSP_SQ_EUlSP_E_NS1_11comp_targetILNS1_3genE10ELNS1_11target_archE1201ELNS1_3gpuE5ELNS1_3repE0EEENS1_30default_config_static_selectorELNS0_4arch9wavefront6targetE1EEEvT1_,@function
_ZN7rocprim17ROCPRIM_400000_NS6detail17trampoline_kernelINS0_14default_configENS1_20scan_config_selectorIsEEZZNS1_9scan_implILNS1_25lookback_scan_determinismE0ELb1ELb1ES3_N6thrust23THRUST_200600_302600_NS6detail15normal_iteratorINS9_10device_ptrIsEEEESE_s11max_functorIsEsEEDaPvRmT3_T4_T5_mT6_P12ihipStream_tbENKUlT_T0_E_clISt17integral_constantIbLb1EEST_IbLb0EEEEDaSP_SQ_EUlSP_E_NS1_11comp_targetILNS1_3genE10ELNS1_11target_archE1201ELNS1_3gpuE5ELNS1_3repE0EEENS1_30default_config_static_selectorELNS0_4arch9wavefront6targetE1EEEvT1_: ; @_ZN7rocprim17ROCPRIM_400000_NS6detail17trampoline_kernelINS0_14default_configENS1_20scan_config_selectorIsEEZZNS1_9scan_implILNS1_25lookback_scan_determinismE0ELb1ELb1ES3_N6thrust23THRUST_200600_302600_NS6detail15normal_iteratorINS9_10device_ptrIsEEEESE_s11max_functorIsEsEEDaPvRmT3_T4_T5_mT6_P12ihipStream_tbENKUlT_T0_E_clISt17integral_constantIbLb1EEST_IbLb0EEEEDaSP_SQ_EUlSP_E_NS1_11comp_targetILNS1_3genE10ELNS1_11target_archE1201ELNS1_3gpuE5ELNS1_3repE0EEENS1_30default_config_static_selectorELNS0_4arch9wavefront6targetE1EEEvT1_
; %bb.0:
	.section	.rodata,"a",@progbits
	.p2align	6, 0x0
	.amdhsa_kernel _ZN7rocprim17ROCPRIM_400000_NS6detail17trampoline_kernelINS0_14default_configENS1_20scan_config_selectorIsEEZZNS1_9scan_implILNS1_25lookback_scan_determinismE0ELb1ELb1ES3_N6thrust23THRUST_200600_302600_NS6detail15normal_iteratorINS9_10device_ptrIsEEEESE_s11max_functorIsEsEEDaPvRmT3_T4_T5_mT6_P12ihipStream_tbENKUlT_T0_E_clISt17integral_constantIbLb1EEST_IbLb0EEEEDaSP_SQ_EUlSP_E_NS1_11comp_targetILNS1_3genE10ELNS1_11target_archE1201ELNS1_3gpuE5ELNS1_3repE0EEENS1_30default_config_static_selectorELNS0_4arch9wavefront6targetE1EEEvT1_
		.amdhsa_group_segment_fixed_size 0
		.amdhsa_private_segment_fixed_size 0
		.amdhsa_kernarg_size 96
		.amdhsa_user_sgpr_count 6
		.amdhsa_user_sgpr_private_segment_buffer 1
		.amdhsa_user_sgpr_dispatch_ptr 0
		.amdhsa_user_sgpr_queue_ptr 0
		.amdhsa_user_sgpr_kernarg_segment_ptr 1
		.amdhsa_user_sgpr_dispatch_id 0
		.amdhsa_user_sgpr_flat_scratch_init 0
		.amdhsa_user_sgpr_kernarg_preload_length 0
		.amdhsa_user_sgpr_kernarg_preload_offset 0
		.amdhsa_user_sgpr_private_segment_size 0
		.amdhsa_uses_dynamic_stack 0
		.amdhsa_system_sgpr_private_segment_wavefront_offset 0
		.amdhsa_system_sgpr_workgroup_id_x 1
		.amdhsa_system_sgpr_workgroup_id_y 0
		.amdhsa_system_sgpr_workgroup_id_z 0
		.amdhsa_system_sgpr_workgroup_info 0
		.amdhsa_system_vgpr_workitem_id 0
		.amdhsa_next_free_vgpr 1
		.amdhsa_next_free_sgpr 0
		.amdhsa_accum_offset 4
		.amdhsa_reserve_vcc 0
		.amdhsa_reserve_flat_scratch 0
		.amdhsa_float_round_mode_32 0
		.amdhsa_float_round_mode_16_64 0
		.amdhsa_float_denorm_mode_32 3
		.amdhsa_float_denorm_mode_16_64 3
		.amdhsa_dx10_clamp 1
		.amdhsa_ieee_mode 1
		.amdhsa_fp16_overflow 0
		.amdhsa_tg_split 0
		.amdhsa_exception_fp_ieee_invalid_op 0
		.amdhsa_exception_fp_denorm_src 0
		.amdhsa_exception_fp_ieee_div_zero 0
		.amdhsa_exception_fp_ieee_overflow 0
		.amdhsa_exception_fp_ieee_underflow 0
		.amdhsa_exception_fp_ieee_inexact 0
		.amdhsa_exception_int_div_zero 0
	.end_amdhsa_kernel
	.section	.text._ZN7rocprim17ROCPRIM_400000_NS6detail17trampoline_kernelINS0_14default_configENS1_20scan_config_selectorIsEEZZNS1_9scan_implILNS1_25lookback_scan_determinismE0ELb1ELb1ES3_N6thrust23THRUST_200600_302600_NS6detail15normal_iteratorINS9_10device_ptrIsEEEESE_s11max_functorIsEsEEDaPvRmT3_T4_T5_mT6_P12ihipStream_tbENKUlT_T0_E_clISt17integral_constantIbLb1EEST_IbLb0EEEEDaSP_SQ_EUlSP_E_NS1_11comp_targetILNS1_3genE10ELNS1_11target_archE1201ELNS1_3gpuE5ELNS1_3repE0EEENS1_30default_config_static_selectorELNS0_4arch9wavefront6targetE1EEEvT1_,"axG",@progbits,_ZN7rocprim17ROCPRIM_400000_NS6detail17trampoline_kernelINS0_14default_configENS1_20scan_config_selectorIsEEZZNS1_9scan_implILNS1_25lookback_scan_determinismE0ELb1ELb1ES3_N6thrust23THRUST_200600_302600_NS6detail15normal_iteratorINS9_10device_ptrIsEEEESE_s11max_functorIsEsEEDaPvRmT3_T4_T5_mT6_P12ihipStream_tbENKUlT_T0_E_clISt17integral_constantIbLb1EEST_IbLb0EEEEDaSP_SQ_EUlSP_E_NS1_11comp_targetILNS1_3genE10ELNS1_11target_archE1201ELNS1_3gpuE5ELNS1_3repE0EEENS1_30default_config_static_selectorELNS0_4arch9wavefront6targetE1EEEvT1_,comdat
.Lfunc_end2959:
	.size	_ZN7rocprim17ROCPRIM_400000_NS6detail17trampoline_kernelINS0_14default_configENS1_20scan_config_selectorIsEEZZNS1_9scan_implILNS1_25lookback_scan_determinismE0ELb1ELb1ES3_N6thrust23THRUST_200600_302600_NS6detail15normal_iteratorINS9_10device_ptrIsEEEESE_s11max_functorIsEsEEDaPvRmT3_T4_T5_mT6_P12ihipStream_tbENKUlT_T0_E_clISt17integral_constantIbLb1EEST_IbLb0EEEEDaSP_SQ_EUlSP_E_NS1_11comp_targetILNS1_3genE10ELNS1_11target_archE1201ELNS1_3gpuE5ELNS1_3repE0EEENS1_30default_config_static_selectorELNS0_4arch9wavefront6targetE1EEEvT1_, .Lfunc_end2959-_ZN7rocprim17ROCPRIM_400000_NS6detail17trampoline_kernelINS0_14default_configENS1_20scan_config_selectorIsEEZZNS1_9scan_implILNS1_25lookback_scan_determinismE0ELb1ELb1ES3_N6thrust23THRUST_200600_302600_NS6detail15normal_iteratorINS9_10device_ptrIsEEEESE_s11max_functorIsEsEEDaPvRmT3_T4_T5_mT6_P12ihipStream_tbENKUlT_T0_E_clISt17integral_constantIbLb1EEST_IbLb0EEEEDaSP_SQ_EUlSP_E_NS1_11comp_targetILNS1_3genE10ELNS1_11target_archE1201ELNS1_3gpuE5ELNS1_3repE0EEENS1_30default_config_static_selectorELNS0_4arch9wavefront6targetE1EEEvT1_
                                        ; -- End function
	.section	.AMDGPU.csdata,"",@progbits
; Kernel info:
; codeLenInByte = 0
; NumSgprs: 4
; NumVgprs: 0
; NumAgprs: 0
; TotalNumVgprs: 0
; ScratchSize: 0
; MemoryBound: 0
; FloatMode: 240
; IeeeMode: 1
; LDSByteSize: 0 bytes/workgroup (compile time only)
; SGPRBlocks: 0
; VGPRBlocks: 0
; NumSGPRsForWavesPerEU: 4
; NumVGPRsForWavesPerEU: 1
; AccumOffset: 4
; Occupancy: 8
; WaveLimiterHint : 0
; COMPUTE_PGM_RSRC2:SCRATCH_EN: 0
; COMPUTE_PGM_RSRC2:USER_SGPR: 6
; COMPUTE_PGM_RSRC2:TRAP_HANDLER: 0
; COMPUTE_PGM_RSRC2:TGID_X_EN: 1
; COMPUTE_PGM_RSRC2:TGID_Y_EN: 0
; COMPUTE_PGM_RSRC2:TGID_Z_EN: 0
; COMPUTE_PGM_RSRC2:TIDIG_COMP_CNT: 0
; COMPUTE_PGM_RSRC3_GFX90A:ACCUM_OFFSET: 0
; COMPUTE_PGM_RSRC3_GFX90A:TG_SPLIT: 0
	.section	.text._ZN7rocprim17ROCPRIM_400000_NS6detail17trampoline_kernelINS0_14default_configENS1_20scan_config_selectorIsEEZZNS1_9scan_implILNS1_25lookback_scan_determinismE0ELb1ELb1ES3_N6thrust23THRUST_200600_302600_NS6detail15normal_iteratorINS9_10device_ptrIsEEEESE_s11max_functorIsEsEEDaPvRmT3_T4_T5_mT6_P12ihipStream_tbENKUlT_T0_E_clISt17integral_constantIbLb1EEST_IbLb0EEEEDaSP_SQ_EUlSP_E_NS1_11comp_targetILNS1_3genE10ELNS1_11target_archE1200ELNS1_3gpuE4ELNS1_3repE0EEENS1_30default_config_static_selectorELNS0_4arch9wavefront6targetE1EEEvT1_,"axG",@progbits,_ZN7rocprim17ROCPRIM_400000_NS6detail17trampoline_kernelINS0_14default_configENS1_20scan_config_selectorIsEEZZNS1_9scan_implILNS1_25lookback_scan_determinismE0ELb1ELb1ES3_N6thrust23THRUST_200600_302600_NS6detail15normal_iteratorINS9_10device_ptrIsEEEESE_s11max_functorIsEsEEDaPvRmT3_T4_T5_mT6_P12ihipStream_tbENKUlT_T0_E_clISt17integral_constantIbLb1EEST_IbLb0EEEEDaSP_SQ_EUlSP_E_NS1_11comp_targetILNS1_3genE10ELNS1_11target_archE1200ELNS1_3gpuE4ELNS1_3repE0EEENS1_30default_config_static_selectorELNS0_4arch9wavefront6targetE1EEEvT1_,comdat
	.protected	_ZN7rocprim17ROCPRIM_400000_NS6detail17trampoline_kernelINS0_14default_configENS1_20scan_config_selectorIsEEZZNS1_9scan_implILNS1_25lookback_scan_determinismE0ELb1ELb1ES3_N6thrust23THRUST_200600_302600_NS6detail15normal_iteratorINS9_10device_ptrIsEEEESE_s11max_functorIsEsEEDaPvRmT3_T4_T5_mT6_P12ihipStream_tbENKUlT_T0_E_clISt17integral_constantIbLb1EEST_IbLb0EEEEDaSP_SQ_EUlSP_E_NS1_11comp_targetILNS1_3genE10ELNS1_11target_archE1200ELNS1_3gpuE4ELNS1_3repE0EEENS1_30default_config_static_selectorELNS0_4arch9wavefront6targetE1EEEvT1_ ; -- Begin function _ZN7rocprim17ROCPRIM_400000_NS6detail17trampoline_kernelINS0_14default_configENS1_20scan_config_selectorIsEEZZNS1_9scan_implILNS1_25lookback_scan_determinismE0ELb1ELb1ES3_N6thrust23THRUST_200600_302600_NS6detail15normal_iteratorINS9_10device_ptrIsEEEESE_s11max_functorIsEsEEDaPvRmT3_T4_T5_mT6_P12ihipStream_tbENKUlT_T0_E_clISt17integral_constantIbLb1EEST_IbLb0EEEEDaSP_SQ_EUlSP_E_NS1_11comp_targetILNS1_3genE10ELNS1_11target_archE1200ELNS1_3gpuE4ELNS1_3repE0EEENS1_30default_config_static_selectorELNS0_4arch9wavefront6targetE1EEEvT1_
	.globl	_ZN7rocprim17ROCPRIM_400000_NS6detail17trampoline_kernelINS0_14default_configENS1_20scan_config_selectorIsEEZZNS1_9scan_implILNS1_25lookback_scan_determinismE0ELb1ELb1ES3_N6thrust23THRUST_200600_302600_NS6detail15normal_iteratorINS9_10device_ptrIsEEEESE_s11max_functorIsEsEEDaPvRmT3_T4_T5_mT6_P12ihipStream_tbENKUlT_T0_E_clISt17integral_constantIbLb1EEST_IbLb0EEEEDaSP_SQ_EUlSP_E_NS1_11comp_targetILNS1_3genE10ELNS1_11target_archE1200ELNS1_3gpuE4ELNS1_3repE0EEENS1_30default_config_static_selectorELNS0_4arch9wavefront6targetE1EEEvT1_
	.p2align	8
	.type	_ZN7rocprim17ROCPRIM_400000_NS6detail17trampoline_kernelINS0_14default_configENS1_20scan_config_selectorIsEEZZNS1_9scan_implILNS1_25lookback_scan_determinismE0ELb1ELb1ES3_N6thrust23THRUST_200600_302600_NS6detail15normal_iteratorINS9_10device_ptrIsEEEESE_s11max_functorIsEsEEDaPvRmT3_T4_T5_mT6_P12ihipStream_tbENKUlT_T0_E_clISt17integral_constantIbLb1EEST_IbLb0EEEEDaSP_SQ_EUlSP_E_NS1_11comp_targetILNS1_3genE10ELNS1_11target_archE1200ELNS1_3gpuE4ELNS1_3repE0EEENS1_30default_config_static_selectorELNS0_4arch9wavefront6targetE1EEEvT1_,@function
_ZN7rocprim17ROCPRIM_400000_NS6detail17trampoline_kernelINS0_14default_configENS1_20scan_config_selectorIsEEZZNS1_9scan_implILNS1_25lookback_scan_determinismE0ELb1ELb1ES3_N6thrust23THRUST_200600_302600_NS6detail15normal_iteratorINS9_10device_ptrIsEEEESE_s11max_functorIsEsEEDaPvRmT3_T4_T5_mT6_P12ihipStream_tbENKUlT_T0_E_clISt17integral_constantIbLb1EEST_IbLb0EEEEDaSP_SQ_EUlSP_E_NS1_11comp_targetILNS1_3genE10ELNS1_11target_archE1200ELNS1_3gpuE4ELNS1_3repE0EEENS1_30default_config_static_selectorELNS0_4arch9wavefront6targetE1EEEvT1_: ; @_ZN7rocprim17ROCPRIM_400000_NS6detail17trampoline_kernelINS0_14default_configENS1_20scan_config_selectorIsEEZZNS1_9scan_implILNS1_25lookback_scan_determinismE0ELb1ELb1ES3_N6thrust23THRUST_200600_302600_NS6detail15normal_iteratorINS9_10device_ptrIsEEEESE_s11max_functorIsEsEEDaPvRmT3_T4_T5_mT6_P12ihipStream_tbENKUlT_T0_E_clISt17integral_constantIbLb1EEST_IbLb0EEEEDaSP_SQ_EUlSP_E_NS1_11comp_targetILNS1_3genE10ELNS1_11target_archE1200ELNS1_3gpuE4ELNS1_3repE0EEENS1_30default_config_static_selectorELNS0_4arch9wavefront6targetE1EEEvT1_
; %bb.0:
	.section	.rodata,"a",@progbits
	.p2align	6, 0x0
	.amdhsa_kernel _ZN7rocprim17ROCPRIM_400000_NS6detail17trampoline_kernelINS0_14default_configENS1_20scan_config_selectorIsEEZZNS1_9scan_implILNS1_25lookback_scan_determinismE0ELb1ELb1ES3_N6thrust23THRUST_200600_302600_NS6detail15normal_iteratorINS9_10device_ptrIsEEEESE_s11max_functorIsEsEEDaPvRmT3_T4_T5_mT6_P12ihipStream_tbENKUlT_T0_E_clISt17integral_constantIbLb1EEST_IbLb0EEEEDaSP_SQ_EUlSP_E_NS1_11comp_targetILNS1_3genE10ELNS1_11target_archE1200ELNS1_3gpuE4ELNS1_3repE0EEENS1_30default_config_static_selectorELNS0_4arch9wavefront6targetE1EEEvT1_
		.amdhsa_group_segment_fixed_size 0
		.amdhsa_private_segment_fixed_size 0
		.amdhsa_kernarg_size 96
		.amdhsa_user_sgpr_count 6
		.amdhsa_user_sgpr_private_segment_buffer 1
		.amdhsa_user_sgpr_dispatch_ptr 0
		.amdhsa_user_sgpr_queue_ptr 0
		.amdhsa_user_sgpr_kernarg_segment_ptr 1
		.amdhsa_user_sgpr_dispatch_id 0
		.amdhsa_user_sgpr_flat_scratch_init 0
		.amdhsa_user_sgpr_kernarg_preload_length 0
		.amdhsa_user_sgpr_kernarg_preload_offset 0
		.amdhsa_user_sgpr_private_segment_size 0
		.amdhsa_uses_dynamic_stack 0
		.amdhsa_system_sgpr_private_segment_wavefront_offset 0
		.amdhsa_system_sgpr_workgroup_id_x 1
		.amdhsa_system_sgpr_workgroup_id_y 0
		.amdhsa_system_sgpr_workgroup_id_z 0
		.amdhsa_system_sgpr_workgroup_info 0
		.amdhsa_system_vgpr_workitem_id 0
		.amdhsa_next_free_vgpr 1
		.amdhsa_next_free_sgpr 0
		.amdhsa_accum_offset 4
		.amdhsa_reserve_vcc 0
		.amdhsa_reserve_flat_scratch 0
		.amdhsa_float_round_mode_32 0
		.amdhsa_float_round_mode_16_64 0
		.amdhsa_float_denorm_mode_32 3
		.amdhsa_float_denorm_mode_16_64 3
		.amdhsa_dx10_clamp 1
		.amdhsa_ieee_mode 1
		.amdhsa_fp16_overflow 0
		.amdhsa_tg_split 0
		.amdhsa_exception_fp_ieee_invalid_op 0
		.amdhsa_exception_fp_denorm_src 0
		.amdhsa_exception_fp_ieee_div_zero 0
		.amdhsa_exception_fp_ieee_overflow 0
		.amdhsa_exception_fp_ieee_underflow 0
		.amdhsa_exception_fp_ieee_inexact 0
		.amdhsa_exception_int_div_zero 0
	.end_amdhsa_kernel
	.section	.text._ZN7rocprim17ROCPRIM_400000_NS6detail17trampoline_kernelINS0_14default_configENS1_20scan_config_selectorIsEEZZNS1_9scan_implILNS1_25lookback_scan_determinismE0ELb1ELb1ES3_N6thrust23THRUST_200600_302600_NS6detail15normal_iteratorINS9_10device_ptrIsEEEESE_s11max_functorIsEsEEDaPvRmT3_T4_T5_mT6_P12ihipStream_tbENKUlT_T0_E_clISt17integral_constantIbLb1EEST_IbLb0EEEEDaSP_SQ_EUlSP_E_NS1_11comp_targetILNS1_3genE10ELNS1_11target_archE1200ELNS1_3gpuE4ELNS1_3repE0EEENS1_30default_config_static_selectorELNS0_4arch9wavefront6targetE1EEEvT1_,"axG",@progbits,_ZN7rocprim17ROCPRIM_400000_NS6detail17trampoline_kernelINS0_14default_configENS1_20scan_config_selectorIsEEZZNS1_9scan_implILNS1_25lookback_scan_determinismE0ELb1ELb1ES3_N6thrust23THRUST_200600_302600_NS6detail15normal_iteratorINS9_10device_ptrIsEEEESE_s11max_functorIsEsEEDaPvRmT3_T4_T5_mT6_P12ihipStream_tbENKUlT_T0_E_clISt17integral_constantIbLb1EEST_IbLb0EEEEDaSP_SQ_EUlSP_E_NS1_11comp_targetILNS1_3genE10ELNS1_11target_archE1200ELNS1_3gpuE4ELNS1_3repE0EEENS1_30default_config_static_selectorELNS0_4arch9wavefront6targetE1EEEvT1_,comdat
.Lfunc_end2960:
	.size	_ZN7rocprim17ROCPRIM_400000_NS6detail17trampoline_kernelINS0_14default_configENS1_20scan_config_selectorIsEEZZNS1_9scan_implILNS1_25lookback_scan_determinismE0ELb1ELb1ES3_N6thrust23THRUST_200600_302600_NS6detail15normal_iteratorINS9_10device_ptrIsEEEESE_s11max_functorIsEsEEDaPvRmT3_T4_T5_mT6_P12ihipStream_tbENKUlT_T0_E_clISt17integral_constantIbLb1EEST_IbLb0EEEEDaSP_SQ_EUlSP_E_NS1_11comp_targetILNS1_3genE10ELNS1_11target_archE1200ELNS1_3gpuE4ELNS1_3repE0EEENS1_30default_config_static_selectorELNS0_4arch9wavefront6targetE1EEEvT1_, .Lfunc_end2960-_ZN7rocprim17ROCPRIM_400000_NS6detail17trampoline_kernelINS0_14default_configENS1_20scan_config_selectorIsEEZZNS1_9scan_implILNS1_25lookback_scan_determinismE0ELb1ELb1ES3_N6thrust23THRUST_200600_302600_NS6detail15normal_iteratorINS9_10device_ptrIsEEEESE_s11max_functorIsEsEEDaPvRmT3_T4_T5_mT6_P12ihipStream_tbENKUlT_T0_E_clISt17integral_constantIbLb1EEST_IbLb0EEEEDaSP_SQ_EUlSP_E_NS1_11comp_targetILNS1_3genE10ELNS1_11target_archE1200ELNS1_3gpuE4ELNS1_3repE0EEENS1_30default_config_static_selectorELNS0_4arch9wavefront6targetE1EEEvT1_
                                        ; -- End function
	.section	.AMDGPU.csdata,"",@progbits
; Kernel info:
; codeLenInByte = 0
; NumSgprs: 4
; NumVgprs: 0
; NumAgprs: 0
; TotalNumVgprs: 0
; ScratchSize: 0
; MemoryBound: 0
; FloatMode: 240
; IeeeMode: 1
; LDSByteSize: 0 bytes/workgroup (compile time only)
; SGPRBlocks: 0
; VGPRBlocks: 0
; NumSGPRsForWavesPerEU: 4
; NumVGPRsForWavesPerEU: 1
; AccumOffset: 4
; Occupancy: 8
; WaveLimiterHint : 0
; COMPUTE_PGM_RSRC2:SCRATCH_EN: 0
; COMPUTE_PGM_RSRC2:USER_SGPR: 6
; COMPUTE_PGM_RSRC2:TRAP_HANDLER: 0
; COMPUTE_PGM_RSRC2:TGID_X_EN: 1
; COMPUTE_PGM_RSRC2:TGID_Y_EN: 0
; COMPUTE_PGM_RSRC2:TGID_Z_EN: 0
; COMPUTE_PGM_RSRC2:TIDIG_COMP_CNT: 0
; COMPUTE_PGM_RSRC3_GFX90A:ACCUM_OFFSET: 0
; COMPUTE_PGM_RSRC3_GFX90A:TG_SPLIT: 0
	.section	.text._ZN7rocprim17ROCPRIM_400000_NS6detail17trampoline_kernelINS0_14default_configENS1_20scan_config_selectorIsEEZZNS1_9scan_implILNS1_25lookback_scan_determinismE0ELb1ELb1ES3_N6thrust23THRUST_200600_302600_NS6detail15normal_iteratorINS9_10device_ptrIsEEEESE_s11max_functorIsEsEEDaPvRmT3_T4_T5_mT6_P12ihipStream_tbENKUlT_T0_E_clISt17integral_constantIbLb1EEST_IbLb0EEEEDaSP_SQ_EUlSP_E_NS1_11comp_targetILNS1_3genE9ELNS1_11target_archE1100ELNS1_3gpuE3ELNS1_3repE0EEENS1_30default_config_static_selectorELNS0_4arch9wavefront6targetE1EEEvT1_,"axG",@progbits,_ZN7rocprim17ROCPRIM_400000_NS6detail17trampoline_kernelINS0_14default_configENS1_20scan_config_selectorIsEEZZNS1_9scan_implILNS1_25lookback_scan_determinismE0ELb1ELb1ES3_N6thrust23THRUST_200600_302600_NS6detail15normal_iteratorINS9_10device_ptrIsEEEESE_s11max_functorIsEsEEDaPvRmT3_T4_T5_mT6_P12ihipStream_tbENKUlT_T0_E_clISt17integral_constantIbLb1EEST_IbLb0EEEEDaSP_SQ_EUlSP_E_NS1_11comp_targetILNS1_3genE9ELNS1_11target_archE1100ELNS1_3gpuE3ELNS1_3repE0EEENS1_30default_config_static_selectorELNS0_4arch9wavefront6targetE1EEEvT1_,comdat
	.protected	_ZN7rocprim17ROCPRIM_400000_NS6detail17trampoline_kernelINS0_14default_configENS1_20scan_config_selectorIsEEZZNS1_9scan_implILNS1_25lookback_scan_determinismE0ELb1ELb1ES3_N6thrust23THRUST_200600_302600_NS6detail15normal_iteratorINS9_10device_ptrIsEEEESE_s11max_functorIsEsEEDaPvRmT3_T4_T5_mT6_P12ihipStream_tbENKUlT_T0_E_clISt17integral_constantIbLb1EEST_IbLb0EEEEDaSP_SQ_EUlSP_E_NS1_11comp_targetILNS1_3genE9ELNS1_11target_archE1100ELNS1_3gpuE3ELNS1_3repE0EEENS1_30default_config_static_selectorELNS0_4arch9wavefront6targetE1EEEvT1_ ; -- Begin function _ZN7rocprim17ROCPRIM_400000_NS6detail17trampoline_kernelINS0_14default_configENS1_20scan_config_selectorIsEEZZNS1_9scan_implILNS1_25lookback_scan_determinismE0ELb1ELb1ES3_N6thrust23THRUST_200600_302600_NS6detail15normal_iteratorINS9_10device_ptrIsEEEESE_s11max_functorIsEsEEDaPvRmT3_T4_T5_mT6_P12ihipStream_tbENKUlT_T0_E_clISt17integral_constantIbLb1EEST_IbLb0EEEEDaSP_SQ_EUlSP_E_NS1_11comp_targetILNS1_3genE9ELNS1_11target_archE1100ELNS1_3gpuE3ELNS1_3repE0EEENS1_30default_config_static_selectorELNS0_4arch9wavefront6targetE1EEEvT1_
	.globl	_ZN7rocprim17ROCPRIM_400000_NS6detail17trampoline_kernelINS0_14default_configENS1_20scan_config_selectorIsEEZZNS1_9scan_implILNS1_25lookback_scan_determinismE0ELb1ELb1ES3_N6thrust23THRUST_200600_302600_NS6detail15normal_iteratorINS9_10device_ptrIsEEEESE_s11max_functorIsEsEEDaPvRmT3_T4_T5_mT6_P12ihipStream_tbENKUlT_T0_E_clISt17integral_constantIbLb1EEST_IbLb0EEEEDaSP_SQ_EUlSP_E_NS1_11comp_targetILNS1_3genE9ELNS1_11target_archE1100ELNS1_3gpuE3ELNS1_3repE0EEENS1_30default_config_static_selectorELNS0_4arch9wavefront6targetE1EEEvT1_
	.p2align	8
	.type	_ZN7rocprim17ROCPRIM_400000_NS6detail17trampoline_kernelINS0_14default_configENS1_20scan_config_selectorIsEEZZNS1_9scan_implILNS1_25lookback_scan_determinismE0ELb1ELb1ES3_N6thrust23THRUST_200600_302600_NS6detail15normal_iteratorINS9_10device_ptrIsEEEESE_s11max_functorIsEsEEDaPvRmT3_T4_T5_mT6_P12ihipStream_tbENKUlT_T0_E_clISt17integral_constantIbLb1EEST_IbLb0EEEEDaSP_SQ_EUlSP_E_NS1_11comp_targetILNS1_3genE9ELNS1_11target_archE1100ELNS1_3gpuE3ELNS1_3repE0EEENS1_30default_config_static_selectorELNS0_4arch9wavefront6targetE1EEEvT1_,@function
_ZN7rocprim17ROCPRIM_400000_NS6detail17trampoline_kernelINS0_14default_configENS1_20scan_config_selectorIsEEZZNS1_9scan_implILNS1_25lookback_scan_determinismE0ELb1ELb1ES3_N6thrust23THRUST_200600_302600_NS6detail15normal_iteratorINS9_10device_ptrIsEEEESE_s11max_functorIsEsEEDaPvRmT3_T4_T5_mT6_P12ihipStream_tbENKUlT_T0_E_clISt17integral_constantIbLb1EEST_IbLb0EEEEDaSP_SQ_EUlSP_E_NS1_11comp_targetILNS1_3genE9ELNS1_11target_archE1100ELNS1_3gpuE3ELNS1_3repE0EEENS1_30default_config_static_selectorELNS0_4arch9wavefront6targetE1EEEvT1_: ; @_ZN7rocprim17ROCPRIM_400000_NS6detail17trampoline_kernelINS0_14default_configENS1_20scan_config_selectorIsEEZZNS1_9scan_implILNS1_25lookback_scan_determinismE0ELb1ELb1ES3_N6thrust23THRUST_200600_302600_NS6detail15normal_iteratorINS9_10device_ptrIsEEEESE_s11max_functorIsEsEEDaPvRmT3_T4_T5_mT6_P12ihipStream_tbENKUlT_T0_E_clISt17integral_constantIbLb1EEST_IbLb0EEEEDaSP_SQ_EUlSP_E_NS1_11comp_targetILNS1_3genE9ELNS1_11target_archE1100ELNS1_3gpuE3ELNS1_3repE0EEENS1_30default_config_static_selectorELNS0_4arch9wavefront6targetE1EEEvT1_
; %bb.0:
	.section	.rodata,"a",@progbits
	.p2align	6, 0x0
	.amdhsa_kernel _ZN7rocprim17ROCPRIM_400000_NS6detail17trampoline_kernelINS0_14default_configENS1_20scan_config_selectorIsEEZZNS1_9scan_implILNS1_25lookback_scan_determinismE0ELb1ELb1ES3_N6thrust23THRUST_200600_302600_NS6detail15normal_iteratorINS9_10device_ptrIsEEEESE_s11max_functorIsEsEEDaPvRmT3_T4_T5_mT6_P12ihipStream_tbENKUlT_T0_E_clISt17integral_constantIbLb1EEST_IbLb0EEEEDaSP_SQ_EUlSP_E_NS1_11comp_targetILNS1_3genE9ELNS1_11target_archE1100ELNS1_3gpuE3ELNS1_3repE0EEENS1_30default_config_static_selectorELNS0_4arch9wavefront6targetE1EEEvT1_
		.amdhsa_group_segment_fixed_size 0
		.amdhsa_private_segment_fixed_size 0
		.amdhsa_kernarg_size 96
		.amdhsa_user_sgpr_count 6
		.amdhsa_user_sgpr_private_segment_buffer 1
		.amdhsa_user_sgpr_dispatch_ptr 0
		.amdhsa_user_sgpr_queue_ptr 0
		.amdhsa_user_sgpr_kernarg_segment_ptr 1
		.amdhsa_user_sgpr_dispatch_id 0
		.amdhsa_user_sgpr_flat_scratch_init 0
		.amdhsa_user_sgpr_kernarg_preload_length 0
		.amdhsa_user_sgpr_kernarg_preload_offset 0
		.amdhsa_user_sgpr_private_segment_size 0
		.amdhsa_uses_dynamic_stack 0
		.amdhsa_system_sgpr_private_segment_wavefront_offset 0
		.amdhsa_system_sgpr_workgroup_id_x 1
		.amdhsa_system_sgpr_workgroup_id_y 0
		.amdhsa_system_sgpr_workgroup_id_z 0
		.amdhsa_system_sgpr_workgroup_info 0
		.amdhsa_system_vgpr_workitem_id 0
		.amdhsa_next_free_vgpr 1
		.amdhsa_next_free_sgpr 0
		.amdhsa_accum_offset 4
		.amdhsa_reserve_vcc 0
		.amdhsa_reserve_flat_scratch 0
		.amdhsa_float_round_mode_32 0
		.amdhsa_float_round_mode_16_64 0
		.amdhsa_float_denorm_mode_32 3
		.amdhsa_float_denorm_mode_16_64 3
		.amdhsa_dx10_clamp 1
		.amdhsa_ieee_mode 1
		.amdhsa_fp16_overflow 0
		.amdhsa_tg_split 0
		.amdhsa_exception_fp_ieee_invalid_op 0
		.amdhsa_exception_fp_denorm_src 0
		.amdhsa_exception_fp_ieee_div_zero 0
		.amdhsa_exception_fp_ieee_overflow 0
		.amdhsa_exception_fp_ieee_underflow 0
		.amdhsa_exception_fp_ieee_inexact 0
		.amdhsa_exception_int_div_zero 0
	.end_amdhsa_kernel
	.section	.text._ZN7rocprim17ROCPRIM_400000_NS6detail17trampoline_kernelINS0_14default_configENS1_20scan_config_selectorIsEEZZNS1_9scan_implILNS1_25lookback_scan_determinismE0ELb1ELb1ES3_N6thrust23THRUST_200600_302600_NS6detail15normal_iteratorINS9_10device_ptrIsEEEESE_s11max_functorIsEsEEDaPvRmT3_T4_T5_mT6_P12ihipStream_tbENKUlT_T0_E_clISt17integral_constantIbLb1EEST_IbLb0EEEEDaSP_SQ_EUlSP_E_NS1_11comp_targetILNS1_3genE9ELNS1_11target_archE1100ELNS1_3gpuE3ELNS1_3repE0EEENS1_30default_config_static_selectorELNS0_4arch9wavefront6targetE1EEEvT1_,"axG",@progbits,_ZN7rocprim17ROCPRIM_400000_NS6detail17trampoline_kernelINS0_14default_configENS1_20scan_config_selectorIsEEZZNS1_9scan_implILNS1_25lookback_scan_determinismE0ELb1ELb1ES3_N6thrust23THRUST_200600_302600_NS6detail15normal_iteratorINS9_10device_ptrIsEEEESE_s11max_functorIsEsEEDaPvRmT3_T4_T5_mT6_P12ihipStream_tbENKUlT_T0_E_clISt17integral_constantIbLb1EEST_IbLb0EEEEDaSP_SQ_EUlSP_E_NS1_11comp_targetILNS1_3genE9ELNS1_11target_archE1100ELNS1_3gpuE3ELNS1_3repE0EEENS1_30default_config_static_selectorELNS0_4arch9wavefront6targetE1EEEvT1_,comdat
.Lfunc_end2961:
	.size	_ZN7rocprim17ROCPRIM_400000_NS6detail17trampoline_kernelINS0_14default_configENS1_20scan_config_selectorIsEEZZNS1_9scan_implILNS1_25lookback_scan_determinismE0ELb1ELb1ES3_N6thrust23THRUST_200600_302600_NS6detail15normal_iteratorINS9_10device_ptrIsEEEESE_s11max_functorIsEsEEDaPvRmT3_T4_T5_mT6_P12ihipStream_tbENKUlT_T0_E_clISt17integral_constantIbLb1EEST_IbLb0EEEEDaSP_SQ_EUlSP_E_NS1_11comp_targetILNS1_3genE9ELNS1_11target_archE1100ELNS1_3gpuE3ELNS1_3repE0EEENS1_30default_config_static_selectorELNS0_4arch9wavefront6targetE1EEEvT1_, .Lfunc_end2961-_ZN7rocprim17ROCPRIM_400000_NS6detail17trampoline_kernelINS0_14default_configENS1_20scan_config_selectorIsEEZZNS1_9scan_implILNS1_25lookback_scan_determinismE0ELb1ELb1ES3_N6thrust23THRUST_200600_302600_NS6detail15normal_iteratorINS9_10device_ptrIsEEEESE_s11max_functorIsEsEEDaPvRmT3_T4_T5_mT6_P12ihipStream_tbENKUlT_T0_E_clISt17integral_constantIbLb1EEST_IbLb0EEEEDaSP_SQ_EUlSP_E_NS1_11comp_targetILNS1_3genE9ELNS1_11target_archE1100ELNS1_3gpuE3ELNS1_3repE0EEENS1_30default_config_static_selectorELNS0_4arch9wavefront6targetE1EEEvT1_
                                        ; -- End function
	.section	.AMDGPU.csdata,"",@progbits
; Kernel info:
; codeLenInByte = 0
; NumSgprs: 4
; NumVgprs: 0
; NumAgprs: 0
; TotalNumVgprs: 0
; ScratchSize: 0
; MemoryBound: 0
; FloatMode: 240
; IeeeMode: 1
; LDSByteSize: 0 bytes/workgroup (compile time only)
; SGPRBlocks: 0
; VGPRBlocks: 0
; NumSGPRsForWavesPerEU: 4
; NumVGPRsForWavesPerEU: 1
; AccumOffset: 4
; Occupancy: 8
; WaveLimiterHint : 0
; COMPUTE_PGM_RSRC2:SCRATCH_EN: 0
; COMPUTE_PGM_RSRC2:USER_SGPR: 6
; COMPUTE_PGM_RSRC2:TRAP_HANDLER: 0
; COMPUTE_PGM_RSRC2:TGID_X_EN: 1
; COMPUTE_PGM_RSRC2:TGID_Y_EN: 0
; COMPUTE_PGM_RSRC2:TGID_Z_EN: 0
; COMPUTE_PGM_RSRC2:TIDIG_COMP_CNT: 0
; COMPUTE_PGM_RSRC3_GFX90A:ACCUM_OFFSET: 0
; COMPUTE_PGM_RSRC3_GFX90A:TG_SPLIT: 0
	.section	.text._ZN7rocprim17ROCPRIM_400000_NS6detail17trampoline_kernelINS0_14default_configENS1_20scan_config_selectorIsEEZZNS1_9scan_implILNS1_25lookback_scan_determinismE0ELb1ELb1ES3_N6thrust23THRUST_200600_302600_NS6detail15normal_iteratorINS9_10device_ptrIsEEEESE_s11max_functorIsEsEEDaPvRmT3_T4_T5_mT6_P12ihipStream_tbENKUlT_T0_E_clISt17integral_constantIbLb1EEST_IbLb0EEEEDaSP_SQ_EUlSP_E_NS1_11comp_targetILNS1_3genE8ELNS1_11target_archE1030ELNS1_3gpuE2ELNS1_3repE0EEENS1_30default_config_static_selectorELNS0_4arch9wavefront6targetE1EEEvT1_,"axG",@progbits,_ZN7rocprim17ROCPRIM_400000_NS6detail17trampoline_kernelINS0_14default_configENS1_20scan_config_selectorIsEEZZNS1_9scan_implILNS1_25lookback_scan_determinismE0ELb1ELb1ES3_N6thrust23THRUST_200600_302600_NS6detail15normal_iteratorINS9_10device_ptrIsEEEESE_s11max_functorIsEsEEDaPvRmT3_T4_T5_mT6_P12ihipStream_tbENKUlT_T0_E_clISt17integral_constantIbLb1EEST_IbLb0EEEEDaSP_SQ_EUlSP_E_NS1_11comp_targetILNS1_3genE8ELNS1_11target_archE1030ELNS1_3gpuE2ELNS1_3repE0EEENS1_30default_config_static_selectorELNS0_4arch9wavefront6targetE1EEEvT1_,comdat
	.protected	_ZN7rocprim17ROCPRIM_400000_NS6detail17trampoline_kernelINS0_14default_configENS1_20scan_config_selectorIsEEZZNS1_9scan_implILNS1_25lookback_scan_determinismE0ELb1ELb1ES3_N6thrust23THRUST_200600_302600_NS6detail15normal_iteratorINS9_10device_ptrIsEEEESE_s11max_functorIsEsEEDaPvRmT3_T4_T5_mT6_P12ihipStream_tbENKUlT_T0_E_clISt17integral_constantIbLb1EEST_IbLb0EEEEDaSP_SQ_EUlSP_E_NS1_11comp_targetILNS1_3genE8ELNS1_11target_archE1030ELNS1_3gpuE2ELNS1_3repE0EEENS1_30default_config_static_selectorELNS0_4arch9wavefront6targetE1EEEvT1_ ; -- Begin function _ZN7rocprim17ROCPRIM_400000_NS6detail17trampoline_kernelINS0_14default_configENS1_20scan_config_selectorIsEEZZNS1_9scan_implILNS1_25lookback_scan_determinismE0ELb1ELb1ES3_N6thrust23THRUST_200600_302600_NS6detail15normal_iteratorINS9_10device_ptrIsEEEESE_s11max_functorIsEsEEDaPvRmT3_T4_T5_mT6_P12ihipStream_tbENKUlT_T0_E_clISt17integral_constantIbLb1EEST_IbLb0EEEEDaSP_SQ_EUlSP_E_NS1_11comp_targetILNS1_3genE8ELNS1_11target_archE1030ELNS1_3gpuE2ELNS1_3repE0EEENS1_30default_config_static_selectorELNS0_4arch9wavefront6targetE1EEEvT1_
	.globl	_ZN7rocprim17ROCPRIM_400000_NS6detail17trampoline_kernelINS0_14default_configENS1_20scan_config_selectorIsEEZZNS1_9scan_implILNS1_25lookback_scan_determinismE0ELb1ELb1ES3_N6thrust23THRUST_200600_302600_NS6detail15normal_iteratorINS9_10device_ptrIsEEEESE_s11max_functorIsEsEEDaPvRmT3_T4_T5_mT6_P12ihipStream_tbENKUlT_T0_E_clISt17integral_constantIbLb1EEST_IbLb0EEEEDaSP_SQ_EUlSP_E_NS1_11comp_targetILNS1_3genE8ELNS1_11target_archE1030ELNS1_3gpuE2ELNS1_3repE0EEENS1_30default_config_static_selectorELNS0_4arch9wavefront6targetE1EEEvT1_
	.p2align	8
	.type	_ZN7rocprim17ROCPRIM_400000_NS6detail17trampoline_kernelINS0_14default_configENS1_20scan_config_selectorIsEEZZNS1_9scan_implILNS1_25lookback_scan_determinismE0ELb1ELb1ES3_N6thrust23THRUST_200600_302600_NS6detail15normal_iteratorINS9_10device_ptrIsEEEESE_s11max_functorIsEsEEDaPvRmT3_T4_T5_mT6_P12ihipStream_tbENKUlT_T0_E_clISt17integral_constantIbLb1EEST_IbLb0EEEEDaSP_SQ_EUlSP_E_NS1_11comp_targetILNS1_3genE8ELNS1_11target_archE1030ELNS1_3gpuE2ELNS1_3repE0EEENS1_30default_config_static_selectorELNS0_4arch9wavefront6targetE1EEEvT1_,@function
_ZN7rocprim17ROCPRIM_400000_NS6detail17trampoline_kernelINS0_14default_configENS1_20scan_config_selectorIsEEZZNS1_9scan_implILNS1_25lookback_scan_determinismE0ELb1ELb1ES3_N6thrust23THRUST_200600_302600_NS6detail15normal_iteratorINS9_10device_ptrIsEEEESE_s11max_functorIsEsEEDaPvRmT3_T4_T5_mT6_P12ihipStream_tbENKUlT_T0_E_clISt17integral_constantIbLb1EEST_IbLb0EEEEDaSP_SQ_EUlSP_E_NS1_11comp_targetILNS1_3genE8ELNS1_11target_archE1030ELNS1_3gpuE2ELNS1_3repE0EEENS1_30default_config_static_selectorELNS0_4arch9wavefront6targetE1EEEvT1_: ; @_ZN7rocprim17ROCPRIM_400000_NS6detail17trampoline_kernelINS0_14default_configENS1_20scan_config_selectorIsEEZZNS1_9scan_implILNS1_25lookback_scan_determinismE0ELb1ELb1ES3_N6thrust23THRUST_200600_302600_NS6detail15normal_iteratorINS9_10device_ptrIsEEEESE_s11max_functorIsEsEEDaPvRmT3_T4_T5_mT6_P12ihipStream_tbENKUlT_T0_E_clISt17integral_constantIbLb1EEST_IbLb0EEEEDaSP_SQ_EUlSP_E_NS1_11comp_targetILNS1_3genE8ELNS1_11target_archE1030ELNS1_3gpuE2ELNS1_3repE0EEENS1_30default_config_static_selectorELNS0_4arch9wavefront6targetE1EEEvT1_
; %bb.0:
	.section	.rodata,"a",@progbits
	.p2align	6, 0x0
	.amdhsa_kernel _ZN7rocprim17ROCPRIM_400000_NS6detail17trampoline_kernelINS0_14default_configENS1_20scan_config_selectorIsEEZZNS1_9scan_implILNS1_25lookback_scan_determinismE0ELb1ELb1ES3_N6thrust23THRUST_200600_302600_NS6detail15normal_iteratorINS9_10device_ptrIsEEEESE_s11max_functorIsEsEEDaPvRmT3_T4_T5_mT6_P12ihipStream_tbENKUlT_T0_E_clISt17integral_constantIbLb1EEST_IbLb0EEEEDaSP_SQ_EUlSP_E_NS1_11comp_targetILNS1_3genE8ELNS1_11target_archE1030ELNS1_3gpuE2ELNS1_3repE0EEENS1_30default_config_static_selectorELNS0_4arch9wavefront6targetE1EEEvT1_
		.amdhsa_group_segment_fixed_size 0
		.amdhsa_private_segment_fixed_size 0
		.amdhsa_kernarg_size 96
		.amdhsa_user_sgpr_count 6
		.amdhsa_user_sgpr_private_segment_buffer 1
		.amdhsa_user_sgpr_dispatch_ptr 0
		.amdhsa_user_sgpr_queue_ptr 0
		.amdhsa_user_sgpr_kernarg_segment_ptr 1
		.amdhsa_user_sgpr_dispatch_id 0
		.amdhsa_user_sgpr_flat_scratch_init 0
		.amdhsa_user_sgpr_kernarg_preload_length 0
		.amdhsa_user_sgpr_kernarg_preload_offset 0
		.amdhsa_user_sgpr_private_segment_size 0
		.amdhsa_uses_dynamic_stack 0
		.amdhsa_system_sgpr_private_segment_wavefront_offset 0
		.amdhsa_system_sgpr_workgroup_id_x 1
		.amdhsa_system_sgpr_workgroup_id_y 0
		.amdhsa_system_sgpr_workgroup_id_z 0
		.amdhsa_system_sgpr_workgroup_info 0
		.amdhsa_system_vgpr_workitem_id 0
		.amdhsa_next_free_vgpr 1
		.amdhsa_next_free_sgpr 0
		.amdhsa_accum_offset 4
		.amdhsa_reserve_vcc 0
		.amdhsa_reserve_flat_scratch 0
		.amdhsa_float_round_mode_32 0
		.amdhsa_float_round_mode_16_64 0
		.amdhsa_float_denorm_mode_32 3
		.amdhsa_float_denorm_mode_16_64 3
		.amdhsa_dx10_clamp 1
		.amdhsa_ieee_mode 1
		.amdhsa_fp16_overflow 0
		.amdhsa_tg_split 0
		.amdhsa_exception_fp_ieee_invalid_op 0
		.amdhsa_exception_fp_denorm_src 0
		.amdhsa_exception_fp_ieee_div_zero 0
		.amdhsa_exception_fp_ieee_overflow 0
		.amdhsa_exception_fp_ieee_underflow 0
		.amdhsa_exception_fp_ieee_inexact 0
		.amdhsa_exception_int_div_zero 0
	.end_amdhsa_kernel
	.section	.text._ZN7rocprim17ROCPRIM_400000_NS6detail17trampoline_kernelINS0_14default_configENS1_20scan_config_selectorIsEEZZNS1_9scan_implILNS1_25lookback_scan_determinismE0ELb1ELb1ES3_N6thrust23THRUST_200600_302600_NS6detail15normal_iteratorINS9_10device_ptrIsEEEESE_s11max_functorIsEsEEDaPvRmT3_T4_T5_mT6_P12ihipStream_tbENKUlT_T0_E_clISt17integral_constantIbLb1EEST_IbLb0EEEEDaSP_SQ_EUlSP_E_NS1_11comp_targetILNS1_3genE8ELNS1_11target_archE1030ELNS1_3gpuE2ELNS1_3repE0EEENS1_30default_config_static_selectorELNS0_4arch9wavefront6targetE1EEEvT1_,"axG",@progbits,_ZN7rocprim17ROCPRIM_400000_NS6detail17trampoline_kernelINS0_14default_configENS1_20scan_config_selectorIsEEZZNS1_9scan_implILNS1_25lookback_scan_determinismE0ELb1ELb1ES3_N6thrust23THRUST_200600_302600_NS6detail15normal_iteratorINS9_10device_ptrIsEEEESE_s11max_functorIsEsEEDaPvRmT3_T4_T5_mT6_P12ihipStream_tbENKUlT_T0_E_clISt17integral_constantIbLb1EEST_IbLb0EEEEDaSP_SQ_EUlSP_E_NS1_11comp_targetILNS1_3genE8ELNS1_11target_archE1030ELNS1_3gpuE2ELNS1_3repE0EEENS1_30default_config_static_selectorELNS0_4arch9wavefront6targetE1EEEvT1_,comdat
.Lfunc_end2962:
	.size	_ZN7rocprim17ROCPRIM_400000_NS6detail17trampoline_kernelINS0_14default_configENS1_20scan_config_selectorIsEEZZNS1_9scan_implILNS1_25lookback_scan_determinismE0ELb1ELb1ES3_N6thrust23THRUST_200600_302600_NS6detail15normal_iteratorINS9_10device_ptrIsEEEESE_s11max_functorIsEsEEDaPvRmT3_T4_T5_mT6_P12ihipStream_tbENKUlT_T0_E_clISt17integral_constantIbLb1EEST_IbLb0EEEEDaSP_SQ_EUlSP_E_NS1_11comp_targetILNS1_3genE8ELNS1_11target_archE1030ELNS1_3gpuE2ELNS1_3repE0EEENS1_30default_config_static_selectorELNS0_4arch9wavefront6targetE1EEEvT1_, .Lfunc_end2962-_ZN7rocprim17ROCPRIM_400000_NS6detail17trampoline_kernelINS0_14default_configENS1_20scan_config_selectorIsEEZZNS1_9scan_implILNS1_25lookback_scan_determinismE0ELb1ELb1ES3_N6thrust23THRUST_200600_302600_NS6detail15normal_iteratorINS9_10device_ptrIsEEEESE_s11max_functorIsEsEEDaPvRmT3_T4_T5_mT6_P12ihipStream_tbENKUlT_T0_E_clISt17integral_constantIbLb1EEST_IbLb0EEEEDaSP_SQ_EUlSP_E_NS1_11comp_targetILNS1_3genE8ELNS1_11target_archE1030ELNS1_3gpuE2ELNS1_3repE0EEENS1_30default_config_static_selectorELNS0_4arch9wavefront6targetE1EEEvT1_
                                        ; -- End function
	.section	.AMDGPU.csdata,"",@progbits
; Kernel info:
; codeLenInByte = 0
; NumSgprs: 4
; NumVgprs: 0
; NumAgprs: 0
; TotalNumVgprs: 0
; ScratchSize: 0
; MemoryBound: 0
; FloatMode: 240
; IeeeMode: 1
; LDSByteSize: 0 bytes/workgroup (compile time only)
; SGPRBlocks: 0
; VGPRBlocks: 0
; NumSGPRsForWavesPerEU: 4
; NumVGPRsForWavesPerEU: 1
; AccumOffset: 4
; Occupancy: 8
; WaveLimiterHint : 0
; COMPUTE_PGM_RSRC2:SCRATCH_EN: 0
; COMPUTE_PGM_RSRC2:USER_SGPR: 6
; COMPUTE_PGM_RSRC2:TRAP_HANDLER: 0
; COMPUTE_PGM_RSRC2:TGID_X_EN: 1
; COMPUTE_PGM_RSRC2:TGID_Y_EN: 0
; COMPUTE_PGM_RSRC2:TGID_Z_EN: 0
; COMPUTE_PGM_RSRC2:TIDIG_COMP_CNT: 0
; COMPUTE_PGM_RSRC3_GFX90A:ACCUM_OFFSET: 0
; COMPUTE_PGM_RSRC3_GFX90A:TG_SPLIT: 0
	.section	.text._ZN7rocprim17ROCPRIM_400000_NS6detail17trampoline_kernelINS0_14default_configENS1_20scan_config_selectorIsEEZZNS1_9scan_implILNS1_25lookback_scan_determinismE0ELb1ELb1ES3_N6thrust23THRUST_200600_302600_NS6detail15normal_iteratorINS9_10device_ptrIsEEEESE_s11max_functorIsEsEEDaPvRmT3_T4_T5_mT6_P12ihipStream_tbENKUlT_T0_E_clISt17integral_constantIbLb1EEST_IbLb0EEEEDaSP_SQ_EUlSP_E0_NS1_11comp_targetILNS1_3genE0ELNS1_11target_archE4294967295ELNS1_3gpuE0ELNS1_3repE0EEENS1_30default_config_static_selectorELNS0_4arch9wavefront6targetE1EEEvT1_,"axG",@progbits,_ZN7rocprim17ROCPRIM_400000_NS6detail17trampoline_kernelINS0_14default_configENS1_20scan_config_selectorIsEEZZNS1_9scan_implILNS1_25lookback_scan_determinismE0ELb1ELb1ES3_N6thrust23THRUST_200600_302600_NS6detail15normal_iteratorINS9_10device_ptrIsEEEESE_s11max_functorIsEsEEDaPvRmT3_T4_T5_mT6_P12ihipStream_tbENKUlT_T0_E_clISt17integral_constantIbLb1EEST_IbLb0EEEEDaSP_SQ_EUlSP_E0_NS1_11comp_targetILNS1_3genE0ELNS1_11target_archE4294967295ELNS1_3gpuE0ELNS1_3repE0EEENS1_30default_config_static_selectorELNS0_4arch9wavefront6targetE1EEEvT1_,comdat
	.protected	_ZN7rocprim17ROCPRIM_400000_NS6detail17trampoline_kernelINS0_14default_configENS1_20scan_config_selectorIsEEZZNS1_9scan_implILNS1_25lookback_scan_determinismE0ELb1ELb1ES3_N6thrust23THRUST_200600_302600_NS6detail15normal_iteratorINS9_10device_ptrIsEEEESE_s11max_functorIsEsEEDaPvRmT3_T4_T5_mT6_P12ihipStream_tbENKUlT_T0_E_clISt17integral_constantIbLb1EEST_IbLb0EEEEDaSP_SQ_EUlSP_E0_NS1_11comp_targetILNS1_3genE0ELNS1_11target_archE4294967295ELNS1_3gpuE0ELNS1_3repE0EEENS1_30default_config_static_selectorELNS0_4arch9wavefront6targetE1EEEvT1_ ; -- Begin function _ZN7rocprim17ROCPRIM_400000_NS6detail17trampoline_kernelINS0_14default_configENS1_20scan_config_selectorIsEEZZNS1_9scan_implILNS1_25lookback_scan_determinismE0ELb1ELb1ES3_N6thrust23THRUST_200600_302600_NS6detail15normal_iteratorINS9_10device_ptrIsEEEESE_s11max_functorIsEsEEDaPvRmT3_T4_T5_mT6_P12ihipStream_tbENKUlT_T0_E_clISt17integral_constantIbLb1EEST_IbLb0EEEEDaSP_SQ_EUlSP_E0_NS1_11comp_targetILNS1_3genE0ELNS1_11target_archE4294967295ELNS1_3gpuE0ELNS1_3repE0EEENS1_30default_config_static_selectorELNS0_4arch9wavefront6targetE1EEEvT1_
	.globl	_ZN7rocprim17ROCPRIM_400000_NS6detail17trampoline_kernelINS0_14default_configENS1_20scan_config_selectorIsEEZZNS1_9scan_implILNS1_25lookback_scan_determinismE0ELb1ELb1ES3_N6thrust23THRUST_200600_302600_NS6detail15normal_iteratorINS9_10device_ptrIsEEEESE_s11max_functorIsEsEEDaPvRmT3_T4_T5_mT6_P12ihipStream_tbENKUlT_T0_E_clISt17integral_constantIbLb1EEST_IbLb0EEEEDaSP_SQ_EUlSP_E0_NS1_11comp_targetILNS1_3genE0ELNS1_11target_archE4294967295ELNS1_3gpuE0ELNS1_3repE0EEENS1_30default_config_static_selectorELNS0_4arch9wavefront6targetE1EEEvT1_
	.p2align	8
	.type	_ZN7rocprim17ROCPRIM_400000_NS6detail17trampoline_kernelINS0_14default_configENS1_20scan_config_selectorIsEEZZNS1_9scan_implILNS1_25lookback_scan_determinismE0ELb1ELb1ES3_N6thrust23THRUST_200600_302600_NS6detail15normal_iteratorINS9_10device_ptrIsEEEESE_s11max_functorIsEsEEDaPvRmT3_T4_T5_mT6_P12ihipStream_tbENKUlT_T0_E_clISt17integral_constantIbLb1EEST_IbLb0EEEEDaSP_SQ_EUlSP_E0_NS1_11comp_targetILNS1_3genE0ELNS1_11target_archE4294967295ELNS1_3gpuE0ELNS1_3repE0EEENS1_30default_config_static_selectorELNS0_4arch9wavefront6targetE1EEEvT1_,@function
_ZN7rocprim17ROCPRIM_400000_NS6detail17trampoline_kernelINS0_14default_configENS1_20scan_config_selectorIsEEZZNS1_9scan_implILNS1_25lookback_scan_determinismE0ELb1ELb1ES3_N6thrust23THRUST_200600_302600_NS6detail15normal_iteratorINS9_10device_ptrIsEEEESE_s11max_functorIsEsEEDaPvRmT3_T4_T5_mT6_P12ihipStream_tbENKUlT_T0_E_clISt17integral_constantIbLb1EEST_IbLb0EEEEDaSP_SQ_EUlSP_E0_NS1_11comp_targetILNS1_3genE0ELNS1_11target_archE4294967295ELNS1_3gpuE0ELNS1_3repE0EEENS1_30default_config_static_selectorELNS0_4arch9wavefront6targetE1EEEvT1_: ; @_ZN7rocprim17ROCPRIM_400000_NS6detail17trampoline_kernelINS0_14default_configENS1_20scan_config_selectorIsEEZZNS1_9scan_implILNS1_25lookback_scan_determinismE0ELb1ELb1ES3_N6thrust23THRUST_200600_302600_NS6detail15normal_iteratorINS9_10device_ptrIsEEEESE_s11max_functorIsEsEEDaPvRmT3_T4_T5_mT6_P12ihipStream_tbENKUlT_T0_E_clISt17integral_constantIbLb1EEST_IbLb0EEEEDaSP_SQ_EUlSP_E0_NS1_11comp_targetILNS1_3genE0ELNS1_11target_archE4294967295ELNS1_3gpuE0ELNS1_3repE0EEENS1_30default_config_static_selectorELNS0_4arch9wavefront6targetE1EEEvT1_
; %bb.0:
	.section	.rodata,"a",@progbits
	.p2align	6, 0x0
	.amdhsa_kernel _ZN7rocprim17ROCPRIM_400000_NS6detail17trampoline_kernelINS0_14default_configENS1_20scan_config_selectorIsEEZZNS1_9scan_implILNS1_25lookback_scan_determinismE0ELb1ELb1ES3_N6thrust23THRUST_200600_302600_NS6detail15normal_iteratorINS9_10device_ptrIsEEEESE_s11max_functorIsEsEEDaPvRmT3_T4_T5_mT6_P12ihipStream_tbENKUlT_T0_E_clISt17integral_constantIbLb1EEST_IbLb0EEEEDaSP_SQ_EUlSP_E0_NS1_11comp_targetILNS1_3genE0ELNS1_11target_archE4294967295ELNS1_3gpuE0ELNS1_3repE0EEENS1_30default_config_static_selectorELNS0_4arch9wavefront6targetE1EEEvT1_
		.amdhsa_group_segment_fixed_size 0
		.amdhsa_private_segment_fixed_size 0
		.amdhsa_kernarg_size 32
		.amdhsa_user_sgpr_count 6
		.amdhsa_user_sgpr_private_segment_buffer 1
		.amdhsa_user_sgpr_dispatch_ptr 0
		.amdhsa_user_sgpr_queue_ptr 0
		.amdhsa_user_sgpr_kernarg_segment_ptr 1
		.amdhsa_user_sgpr_dispatch_id 0
		.amdhsa_user_sgpr_flat_scratch_init 0
		.amdhsa_user_sgpr_kernarg_preload_length 0
		.amdhsa_user_sgpr_kernarg_preload_offset 0
		.amdhsa_user_sgpr_private_segment_size 0
		.amdhsa_uses_dynamic_stack 0
		.amdhsa_system_sgpr_private_segment_wavefront_offset 0
		.amdhsa_system_sgpr_workgroup_id_x 1
		.amdhsa_system_sgpr_workgroup_id_y 0
		.amdhsa_system_sgpr_workgroup_id_z 0
		.amdhsa_system_sgpr_workgroup_info 0
		.amdhsa_system_vgpr_workitem_id 0
		.amdhsa_next_free_vgpr 1
		.amdhsa_next_free_sgpr 0
		.amdhsa_accum_offset 4
		.amdhsa_reserve_vcc 0
		.amdhsa_reserve_flat_scratch 0
		.amdhsa_float_round_mode_32 0
		.amdhsa_float_round_mode_16_64 0
		.amdhsa_float_denorm_mode_32 3
		.amdhsa_float_denorm_mode_16_64 3
		.amdhsa_dx10_clamp 1
		.amdhsa_ieee_mode 1
		.amdhsa_fp16_overflow 0
		.amdhsa_tg_split 0
		.amdhsa_exception_fp_ieee_invalid_op 0
		.amdhsa_exception_fp_denorm_src 0
		.amdhsa_exception_fp_ieee_div_zero 0
		.amdhsa_exception_fp_ieee_overflow 0
		.amdhsa_exception_fp_ieee_underflow 0
		.amdhsa_exception_fp_ieee_inexact 0
		.amdhsa_exception_int_div_zero 0
	.end_amdhsa_kernel
	.section	.text._ZN7rocprim17ROCPRIM_400000_NS6detail17trampoline_kernelINS0_14default_configENS1_20scan_config_selectorIsEEZZNS1_9scan_implILNS1_25lookback_scan_determinismE0ELb1ELb1ES3_N6thrust23THRUST_200600_302600_NS6detail15normal_iteratorINS9_10device_ptrIsEEEESE_s11max_functorIsEsEEDaPvRmT3_T4_T5_mT6_P12ihipStream_tbENKUlT_T0_E_clISt17integral_constantIbLb1EEST_IbLb0EEEEDaSP_SQ_EUlSP_E0_NS1_11comp_targetILNS1_3genE0ELNS1_11target_archE4294967295ELNS1_3gpuE0ELNS1_3repE0EEENS1_30default_config_static_selectorELNS0_4arch9wavefront6targetE1EEEvT1_,"axG",@progbits,_ZN7rocprim17ROCPRIM_400000_NS6detail17trampoline_kernelINS0_14default_configENS1_20scan_config_selectorIsEEZZNS1_9scan_implILNS1_25lookback_scan_determinismE0ELb1ELb1ES3_N6thrust23THRUST_200600_302600_NS6detail15normal_iteratorINS9_10device_ptrIsEEEESE_s11max_functorIsEsEEDaPvRmT3_T4_T5_mT6_P12ihipStream_tbENKUlT_T0_E_clISt17integral_constantIbLb1EEST_IbLb0EEEEDaSP_SQ_EUlSP_E0_NS1_11comp_targetILNS1_3genE0ELNS1_11target_archE4294967295ELNS1_3gpuE0ELNS1_3repE0EEENS1_30default_config_static_selectorELNS0_4arch9wavefront6targetE1EEEvT1_,comdat
.Lfunc_end2963:
	.size	_ZN7rocprim17ROCPRIM_400000_NS6detail17trampoline_kernelINS0_14default_configENS1_20scan_config_selectorIsEEZZNS1_9scan_implILNS1_25lookback_scan_determinismE0ELb1ELb1ES3_N6thrust23THRUST_200600_302600_NS6detail15normal_iteratorINS9_10device_ptrIsEEEESE_s11max_functorIsEsEEDaPvRmT3_T4_T5_mT6_P12ihipStream_tbENKUlT_T0_E_clISt17integral_constantIbLb1EEST_IbLb0EEEEDaSP_SQ_EUlSP_E0_NS1_11comp_targetILNS1_3genE0ELNS1_11target_archE4294967295ELNS1_3gpuE0ELNS1_3repE0EEENS1_30default_config_static_selectorELNS0_4arch9wavefront6targetE1EEEvT1_, .Lfunc_end2963-_ZN7rocprim17ROCPRIM_400000_NS6detail17trampoline_kernelINS0_14default_configENS1_20scan_config_selectorIsEEZZNS1_9scan_implILNS1_25lookback_scan_determinismE0ELb1ELb1ES3_N6thrust23THRUST_200600_302600_NS6detail15normal_iteratorINS9_10device_ptrIsEEEESE_s11max_functorIsEsEEDaPvRmT3_T4_T5_mT6_P12ihipStream_tbENKUlT_T0_E_clISt17integral_constantIbLb1EEST_IbLb0EEEEDaSP_SQ_EUlSP_E0_NS1_11comp_targetILNS1_3genE0ELNS1_11target_archE4294967295ELNS1_3gpuE0ELNS1_3repE0EEENS1_30default_config_static_selectorELNS0_4arch9wavefront6targetE1EEEvT1_
                                        ; -- End function
	.section	.AMDGPU.csdata,"",@progbits
; Kernel info:
; codeLenInByte = 0
; NumSgprs: 4
; NumVgprs: 0
; NumAgprs: 0
; TotalNumVgprs: 0
; ScratchSize: 0
; MemoryBound: 0
; FloatMode: 240
; IeeeMode: 1
; LDSByteSize: 0 bytes/workgroup (compile time only)
; SGPRBlocks: 0
; VGPRBlocks: 0
; NumSGPRsForWavesPerEU: 4
; NumVGPRsForWavesPerEU: 1
; AccumOffset: 4
; Occupancy: 8
; WaveLimiterHint : 0
; COMPUTE_PGM_RSRC2:SCRATCH_EN: 0
; COMPUTE_PGM_RSRC2:USER_SGPR: 6
; COMPUTE_PGM_RSRC2:TRAP_HANDLER: 0
; COMPUTE_PGM_RSRC2:TGID_X_EN: 1
; COMPUTE_PGM_RSRC2:TGID_Y_EN: 0
; COMPUTE_PGM_RSRC2:TGID_Z_EN: 0
; COMPUTE_PGM_RSRC2:TIDIG_COMP_CNT: 0
; COMPUTE_PGM_RSRC3_GFX90A:ACCUM_OFFSET: 0
; COMPUTE_PGM_RSRC3_GFX90A:TG_SPLIT: 0
	.section	.text._ZN7rocprim17ROCPRIM_400000_NS6detail17trampoline_kernelINS0_14default_configENS1_20scan_config_selectorIsEEZZNS1_9scan_implILNS1_25lookback_scan_determinismE0ELb1ELb1ES3_N6thrust23THRUST_200600_302600_NS6detail15normal_iteratorINS9_10device_ptrIsEEEESE_s11max_functorIsEsEEDaPvRmT3_T4_T5_mT6_P12ihipStream_tbENKUlT_T0_E_clISt17integral_constantIbLb1EEST_IbLb0EEEEDaSP_SQ_EUlSP_E0_NS1_11comp_targetILNS1_3genE5ELNS1_11target_archE942ELNS1_3gpuE9ELNS1_3repE0EEENS1_30default_config_static_selectorELNS0_4arch9wavefront6targetE1EEEvT1_,"axG",@progbits,_ZN7rocprim17ROCPRIM_400000_NS6detail17trampoline_kernelINS0_14default_configENS1_20scan_config_selectorIsEEZZNS1_9scan_implILNS1_25lookback_scan_determinismE0ELb1ELb1ES3_N6thrust23THRUST_200600_302600_NS6detail15normal_iteratorINS9_10device_ptrIsEEEESE_s11max_functorIsEsEEDaPvRmT3_T4_T5_mT6_P12ihipStream_tbENKUlT_T0_E_clISt17integral_constantIbLb1EEST_IbLb0EEEEDaSP_SQ_EUlSP_E0_NS1_11comp_targetILNS1_3genE5ELNS1_11target_archE942ELNS1_3gpuE9ELNS1_3repE0EEENS1_30default_config_static_selectorELNS0_4arch9wavefront6targetE1EEEvT1_,comdat
	.protected	_ZN7rocprim17ROCPRIM_400000_NS6detail17trampoline_kernelINS0_14default_configENS1_20scan_config_selectorIsEEZZNS1_9scan_implILNS1_25lookback_scan_determinismE0ELb1ELb1ES3_N6thrust23THRUST_200600_302600_NS6detail15normal_iteratorINS9_10device_ptrIsEEEESE_s11max_functorIsEsEEDaPvRmT3_T4_T5_mT6_P12ihipStream_tbENKUlT_T0_E_clISt17integral_constantIbLb1EEST_IbLb0EEEEDaSP_SQ_EUlSP_E0_NS1_11comp_targetILNS1_3genE5ELNS1_11target_archE942ELNS1_3gpuE9ELNS1_3repE0EEENS1_30default_config_static_selectorELNS0_4arch9wavefront6targetE1EEEvT1_ ; -- Begin function _ZN7rocprim17ROCPRIM_400000_NS6detail17trampoline_kernelINS0_14default_configENS1_20scan_config_selectorIsEEZZNS1_9scan_implILNS1_25lookback_scan_determinismE0ELb1ELb1ES3_N6thrust23THRUST_200600_302600_NS6detail15normal_iteratorINS9_10device_ptrIsEEEESE_s11max_functorIsEsEEDaPvRmT3_T4_T5_mT6_P12ihipStream_tbENKUlT_T0_E_clISt17integral_constantIbLb1EEST_IbLb0EEEEDaSP_SQ_EUlSP_E0_NS1_11comp_targetILNS1_3genE5ELNS1_11target_archE942ELNS1_3gpuE9ELNS1_3repE0EEENS1_30default_config_static_selectorELNS0_4arch9wavefront6targetE1EEEvT1_
	.globl	_ZN7rocprim17ROCPRIM_400000_NS6detail17trampoline_kernelINS0_14default_configENS1_20scan_config_selectorIsEEZZNS1_9scan_implILNS1_25lookback_scan_determinismE0ELb1ELb1ES3_N6thrust23THRUST_200600_302600_NS6detail15normal_iteratorINS9_10device_ptrIsEEEESE_s11max_functorIsEsEEDaPvRmT3_T4_T5_mT6_P12ihipStream_tbENKUlT_T0_E_clISt17integral_constantIbLb1EEST_IbLb0EEEEDaSP_SQ_EUlSP_E0_NS1_11comp_targetILNS1_3genE5ELNS1_11target_archE942ELNS1_3gpuE9ELNS1_3repE0EEENS1_30default_config_static_selectorELNS0_4arch9wavefront6targetE1EEEvT1_
	.p2align	8
	.type	_ZN7rocprim17ROCPRIM_400000_NS6detail17trampoline_kernelINS0_14default_configENS1_20scan_config_selectorIsEEZZNS1_9scan_implILNS1_25lookback_scan_determinismE0ELb1ELb1ES3_N6thrust23THRUST_200600_302600_NS6detail15normal_iteratorINS9_10device_ptrIsEEEESE_s11max_functorIsEsEEDaPvRmT3_T4_T5_mT6_P12ihipStream_tbENKUlT_T0_E_clISt17integral_constantIbLb1EEST_IbLb0EEEEDaSP_SQ_EUlSP_E0_NS1_11comp_targetILNS1_3genE5ELNS1_11target_archE942ELNS1_3gpuE9ELNS1_3repE0EEENS1_30default_config_static_selectorELNS0_4arch9wavefront6targetE1EEEvT1_,@function
_ZN7rocprim17ROCPRIM_400000_NS6detail17trampoline_kernelINS0_14default_configENS1_20scan_config_selectorIsEEZZNS1_9scan_implILNS1_25lookback_scan_determinismE0ELb1ELb1ES3_N6thrust23THRUST_200600_302600_NS6detail15normal_iteratorINS9_10device_ptrIsEEEESE_s11max_functorIsEsEEDaPvRmT3_T4_T5_mT6_P12ihipStream_tbENKUlT_T0_E_clISt17integral_constantIbLb1EEST_IbLb0EEEEDaSP_SQ_EUlSP_E0_NS1_11comp_targetILNS1_3genE5ELNS1_11target_archE942ELNS1_3gpuE9ELNS1_3repE0EEENS1_30default_config_static_selectorELNS0_4arch9wavefront6targetE1EEEvT1_: ; @_ZN7rocprim17ROCPRIM_400000_NS6detail17trampoline_kernelINS0_14default_configENS1_20scan_config_selectorIsEEZZNS1_9scan_implILNS1_25lookback_scan_determinismE0ELb1ELb1ES3_N6thrust23THRUST_200600_302600_NS6detail15normal_iteratorINS9_10device_ptrIsEEEESE_s11max_functorIsEsEEDaPvRmT3_T4_T5_mT6_P12ihipStream_tbENKUlT_T0_E_clISt17integral_constantIbLb1EEST_IbLb0EEEEDaSP_SQ_EUlSP_E0_NS1_11comp_targetILNS1_3genE5ELNS1_11target_archE942ELNS1_3gpuE9ELNS1_3repE0EEENS1_30default_config_static_selectorELNS0_4arch9wavefront6targetE1EEEvT1_
; %bb.0:
	.section	.rodata,"a",@progbits
	.p2align	6, 0x0
	.amdhsa_kernel _ZN7rocprim17ROCPRIM_400000_NS6detail17trampoline_kernelINS0_14default_configENS1_20scan_config_selectorIsEEZZNS1_9scan_implILNS1_25lookback_scan_determinismE0ELb1ELb1ES3_N6thrust23THRUST_200600_302600_NS6detail15normal_iteratorINS9_10device_ptrIsEEEESE_s11max_functorIsEsEEDaPvRmT3_T4_T5_mT6_P12ihipStream_tbENKUlT_T0_E_clISt17integral_constantIbLb1EEST_IbLb0EEEEDaSP_SQ_EUlSP_E0_NS1_11comp_targetILNS1_3genE5ELNS1_11target_archE942ELNS1_3gpuE9ELNS1_3repE0EEENS1_30default_config_static_selectorELNS0_4arch9wavefront6targetE1EEEvT1_
		.amdhsa_group_segment_fixed_size 0
		.amdhsa_private_segment_fixed_size 0
		.amdhsa_kernarg_size 32
		.amdhsa_user_sgpr_count 6
		.amdhsa_user_sgpr_private_segment_buffer 1
		.amdhsa_user_sgpr_dispatch_ptr 0
		.amdhsa_user_sgpr_queue_ptr 0
		.amdhsa_user_sgpr_kernarg_segment_ptr 1
		.amdhsa_user_sgpr_dispatch_id 0
		.amdhsa_user_sgpr_flat_scratch_init 0
		.amdhsa_user_sgpr_kernarg_preload_length 0
		.amdhsa_user_sgpr_kernarg_preload_offset 0
		.amdhsa_user_sgpr_private_segment_size 0
		.amdhsa_uses_dynamic_stack 0
		.amdhsa_system_sgpr_private_segment_wavefront_offset 0
		.amdhsa_system_sgpr_workgroup_id_x 1
		.amdhsa_system_sgpr_workgroup_id_y 0
		.amdhsa_system_sgpr_workgroup_id_z 0
		.amdhsa_system_sgpr_workgroup_info 0
		.amdhsa_system_vgpr_workitem_id 0
		.amdhsa_next_free_vgpr 1
		.amdhsa_next_free_sgpr 0
		.amdhsa_accum_offset 4
		.amdhsa_reserve_vcc 0
		.amdhsa_reserve_flat_scratch 0
		.amdhsa_float_round_mode_32 0
		.amdhsa_float_round_mode_16_64 0
		.amdhsa_float_denorm_mode_32 3
		.amdhsa_float_denorm_mode_16_64 3
		.amdhsa_dx10_clamp 1
		.amdhsa_ieee_mode 1
		.amdhsa_fp16_overflow 0
		.amdhsa_tg_split 0
		.amdhsa_exception_fp_ieee_invalid_op 0
		.amdhsa_exception_fp_denorm_src 0
		.amdhsa_exception_fp_ieee_div_zero 0
		.amdhsa_exception_fp_ieee_overflow 0
		.amdhsa_exception_fp_ieee_underflow 0
		.amdhsa_exception_fp_ieee_inexact 0
		.amdhsa_exception_int_div_zero 0
	.end_amdhsa_kernel
	.section	.text._ZN7rocprim17ROCPRIM_400000_NS6detail17trampoline_kernelINS0_14default_configENS1_20scan_config_selectorIsEEZZNS1_9scan_implILNS1_25lookback_scan_determinismE0ELb1ELb1ES3_N6thrust23THRUST_200600_302600_NS6detail15normal_iteratorINS9_10device_ptrIsEEEESE_s11max_functorIsEsEEDaPvRmT3_T4_T5_mT6_P12ihipStream_tbENKUlT_T0_E_clISt17integral_constantIbLb1EEST_IbLb0EEEEDaSP_SQ_EUlSP_E0_NS1_11comp_targetILNS1_3genE5ELNS1_11target_archE942ELNS1_3gpuE9ELNS1_3repE0EEENS1_30default_config_static_selectorELNS0_4arch9wavefront6targetE1EEEvT1_,"axG",@progbits,_ZN7rocprim17ROCPRIM_400000_NS6detail17trampoline_kernelINS0_14default_configENS1_20scan_config_selectorIsEEZZNS1_9scan_implILNS1_25lookback_scan_determinismE0ELb1ELb1ES3_N6thrust23THRUST_200600_302600_NS6detail15normal_iteratorINS9_10device_ptrIsEEEESE_s11max_functorIsEsEEDaPvRmT3_T4_T5_mT6_P12ihipStream_tbENKUlT_T0_E_clISt17integral_constantIbLb1EEST_IbLb0EEEEDaSP_SQ_EUlSP_E0_NS1_11comp_targetILNS1_3genE5ELNS1_11target_archE942ELNS1_3gpuE9ELNS1_3repE0EEENS1_30default_config_static_selectorELNS0_4arch9wavefront6targetE1EEEvT1_,comdat
.Lfunc_end2964:
	.size	_ZN7rocprim17ROCPRIM_400000_NS6detail17trampoline_kernelINS0_14default_configENS1_20scan_config_selectorIsEEZZNS1_9scan_implILNS1_25lookback_scan_determinismE0ELb1ELb1ES3_N6thrust23THRUST_200600_302600_NS6detail15normal_iteratorINS9_10device_ptrIsEEEESE_s11max_functorIsEsEEDaPvRmT3_T4_T5_mT6_P12ihipStream_tbENKUlT_T0_E_clISt17integral_constantIbLb1EEST_IbLb0EEEEDaSP_SQ_EUlSP_E0_NS1_11comp_targetILNS1_3genE5ELNS1_11target_archE942ELNS1_3gpuE9ELNS1_3repE0EEENS1_30default_config_static_selectorELNS0_4arch9wavefront6targetE1EEEvT1_, .Lfunc_end2964-_ZN7rocprim17ROCPRIM_400000_NS6detail17trampoline_kernelINS0_14default_configENS1_20scan_config_selectorIsEEZZNS1_9scan_implILNS1_25lookback_scan_determinismE0ELb1ELb1ES3_N6thrust23THRUST_200600_302600_NS6detail15normal_iteratorINS9_10device_ptrIsEEEESE_s11max_functorIsEsEEDaPvRmT3_T4_T5_mT6_P12ihipStream_tbENKUlT_T0_E_clISt17integral_constantIbLb1EEST_IbLb0EEEEDaSP_SQ_EUlSP_E0_NS1_11comp_targetILNS1_3genE5ELNS1_11target_archE942ELNS1_3gpuE9ELNS1_3repE0EEENS1_30default_config_static_selectorELNS0_4arch9wavefront6targetE1EEEvT1_
                                        ; -- End function
	.section	.AMDGPU.csdata,"",@progbits
; Kernel info:
; codeLenInByte = 0
; NumSgprs: 4
; NumVgprs: 0
; NumAgprs: 0
; TotalNumVgprs: 0
; ScratchSize: 0
; MemoryBound: 0
; FloatMode: 240
; IeeeMode: 1
; LDSByteSize: 0 bytes/workgroup (compile time only)
; SGPRBlocks: 0
; VGPRBlocks: 0
; NumSGPRsForWavesPerEU: 4
; NumVGPRsForWavesPerEU: 1
; AccumOffset: 4
; Occupancy: 8
; WaveLimiterHint : 0
; COMPUTE_PGM_RSRC2:SCRATCH_EN: 0
; COMPUTE_PGM_RSRC2:USER_SGPR: 6
; COMPUTE_PGM_RSRC2:TRAP_HANDLER: 0
; COMPUTE_PGM_RSRC2:TGID_X_EN: 1
; COMPUTE_PGM_RSRC2:TGID_Y_EN: 0
; COMPUTE_PGM_RSRC2:TGID_Z_EN: 0
; COMPUTE_PGM_RSRC2:TIDIG_COMP_CNT: 0
; COMPUTE_PGM_RSRC3_GFX90A:ACCUM_OFFSET: 0
; COMPUTE_PGM_RSRC3_GFX90A:TG_SPLIT: 0
	.section	.text._ZN7rocprim17ROCPRIM_400000_NS6detail17trampoline_kernelINS0_14default_configENS1_20scan_config_selectorIsEEZZNS1_9scan_implILNS1_25lookback_scan_determinismE0ELb1ELb1ES3_N6thrust23THRUST_200600_302600_NS6detail15normal_iteratorINS9_10device_ptrIsEEEESE_s11max_functorIsEsEEDaPvRmT3_T4_T5_mT6_P12ihipStream_tbENKUlT_T0_E_clISt17integral_constantIbLb1EEST_IbLb0EEEEDaSP_SQ_EUlSP_E0_NS1_11comp_targetILNS1_3genE4ELNS1_11target_archE910ELNS1_3gpuE8ELNS1_3repE0EEENS1_30default_config_static_selectorELNS0_4arch9wavefront6targetE1EEEvT1_,"axG",@progbits,_ZN7rocprim17ROCPRIM_400000_NS6detail17trampoline_kernelINS0_14default_configENS1_20scan_config_selectorIsEEZZNS1_9scan_implILNS1_25lookback_scan_determinismE0ELb1ELb1ES3_N6thrust23THRUST_200600_302600_NS6detail15normal_iteratorINS9_10device_ptrIsEEEESE_s11max_functorIsEsEEDaPvRmT3_T4_T5_mT6_P12ihipStream_tbENKUlT_T0_E_clISt17integral_constantIbLb1EEST_IbLb0EEEEDaSP_SQ_EUlSP_E0_NS1_11comp_targetILNS1_3genE4ELNS1_11target_archE910ELNS1_3gpuE8ELNS1_3repE0EEENS1_30default_config_static_selectorELNS0_4arch9wavefront6targetE1EEEvT1_,comdat
	.protected	_ZN7rocprim17ROCPRIM_400000_NS6detail17trampoline_kernelINS0_14default_configENS1_20scan_config_selectorIsEEZZNS1_9scan_implILNS1_25lookback_scan_determinismE0ELb1ELb1ES3_N6thrust23THRUST_200600_302600_NS6detail15normal_iteratorINS9_10device_ptrIsEEEESE_s11max_functorIsEsEEDaPvRmT3_T4_T5_mT6_P12ihipStream_tbENKUlT_T0_E_clISt17integral_constantIbLb1EEST_IbLb0EEEEDaSP_SQ_EUlSP_E0_NS1_11comp_targetILNS1_3genE4ELNS1_11target_archE910ELNS1_3gpuE8ELNS1_3repE0EEENS1_30default_config_static_selectorELNS0_4arch9wavefront6targetE1EEEvT1_ ; -- Begin function _ZN7rocprim17ROCPRIM_400000_NS6detail17trampoline_kernelINS0_14default_configENS1_20scan_config_selectorIsEEZZNS1_9scan_implILNS1_25lookback_scan_determinismE0ELb1ELb1ES3_N6thrust23THRUST_200600_302600_NS6detail15normal_iteratorINS9_10device_ptrIsEEEESE_s11max_functorIsEsEEDaPvRmT3_T4_T5_mT6_P12ihipStream_tbENKUlT_T0_E_clISt17integral_constantIbLb1EEST_IbLb0EEEEDaSP_SQ_EUlSP_E0_NS1_11comp_targetILNS1_3genE4ELNS1_11target_archE910ELNS1_3gpuE8ELNS1_3repE0EEENS1_30default_config_static_selectorELNS0_4arch9wavefront6targetE1EEEvT1_
	.globl	_ZN7rocprim17ROCPRIM_400000_NS6detail17trampoline_kernelINS0_14default_configENS1_20scan_config_selectorIsEEZZNS1_9scan_implILNS1_25lookback_scan_determinismE0ELb1ELb1ES3_N6thrust23THRUST_200600_302600_NS6detail15normal_iteratorINS9_10device_ptrIsEEEESE_s11max_functorIsEsEEDaPvRmT3_T4_T5_mT6_P12ihipStream_tbENKUlT_T0_E_clISt17integral_constantIbLb1EEST_IbLb0EEEEDaSP_SQ_EUlSP_E0_NS1_11comp_targetILNS1_3genE4ELNS1_11target_archE910ELNS1_3gpuE8ELNS1_3repE0EEENS1_30default_config_static_selectorELNS0_4arch9wavefront6targetE1EEEvT1_
	.p2align	8
	.type	_ZN7rocprim17ROCPRIM_400000_NS6detail17trampoline_kernelINS0_14default_configENS1_20scan_config_selectorIsEEZZNS1_9scan_implILNS1_25lookback_scan_determinismE0ELb1ELb1ES3_N6thrust23THRUST_200600_302600_NS6detail15normal_iteratorINS9_10device_ptrIsEEEESE_s11max_functorIsEsEEDaPvRmT3_T4_T5_mT6_P12ihipStream_tbENKUlT_T0_E_clISt17integral_constantIbLb1EEST_IbLb0EEEEDaSP_SQ_EUlSP_E0_NS1_11comp_targetILNS1_3genE4ELNS1_11target_archE910ELNS1_3gpuE8ELNS1_3repE0EEENS1_30default_config_static_selectorELNS0_4arch9wavefront6targetE1EEEvT1_,@function
_ZN7rocprim17ROCPRIM_400000_NS6detail17trampoline_kernelINS0_14default_configENS1_20scan_config_selectorIsEEZZNS1_9scan_implILNS1_25lookback_scan_determinismE0ELb1ELb1ES3_N6thrust23THRUST_200600_302600_NS6detail15normal_iteratorINS9_10device_ptrIsEEEESE_s11max_functorIsEsEEDaPvRmT3_T4_T5_mT6_P12ihipStream_tbENKUlT_T0_E_clISt17integral_constantIbLb1EEST_IbLb0EEEEDaSP_SQ_EUlSP_E0_NS1_11comp_targetILNS1_3genE4ELNS1_11target_archE910ELNS1_3gpuE8ELNS1_3repE0EEENS1_30default_config_static_selectorELNS0_4arch9wavefront6targetE1EEEvT1_: ; @_ZN7rocprim17ROCPRIM_400000_NS6detail17trampoline_kernelINS0_14default_configENS1_20scan_config_selectorIsEEZZNS1_9scan_implILNS1_25lookback_scan_determinismE0ELb1ELb1ES3_N6thrust23THRUST_200600_302600_NS6detail15normal_iteratorINS9_10device_ptrIsEEEESE_s11max_functorIsEsEEDaPvRmT3_T4_T5_mT6_P12ihipStream_tbENKUlT_T0_E_clISt17integral_constantIbLb1EEST_IbLb0EEEEDaSP_SQ_EUlSP_E0_NS1_11comp_targetILNS1_3genE4ELNS1_11target_archE910ELNS1_3gpuE8ELNS1_3repE0EEENS1_30default_config_static_selectorELNS0_4arch9wavefront6targetE1EEEvT1_
; %bb.0:
	s_load_dwordx4 s[52:55], s[4:5], 0x0
	v_mov_b32_e32 v1, 0
	v_lshlrev_b32_e32 v14, 1, v0
	s_waitcnt lgkmcnt(0)
	global_load_ushort v2, v1, s[52:53]
	v_cmp_gt_u32_e32 vcc, s54, v0
	s_waitcnt vmcnt(0)
	v_mov_b32_e32 v3, v2
	s_and_saveexec_b64 s[0:1], vcc
	s_cbranch_execz .LBB2965_2
; %bb.1:
	global_load_ushort v3, v14, s[52:53]
.LBB2965_2:
	s_or_b64 exec, exec, s[0:1]
	v_or_b32_e32 v1, 64, v0
	v_cmp_gt_u32_e64 s[0:1], s54, v1
	v_mov_b32_e32 v4, v2
	s_and_saveexec_b64 s[2:3], s[0:1]
	s_cbranch_execz .LBB2965_4
; %bb.3:
	global_load_ushort v4, v14, s[52:53] offset:128
.LBB2965_4:
	s_or_b64 exec, exec, s[2:3]
	v_or_b32_e32 v1, 0x80, v0
	v_cmp_gt_u32_e64 s[2:3], s54, v1
	v_mov_b32_e32 v5, v2
	s_and_saveexec_b64 s[6:7], s[2:3]
	s_cbranch_execz .LBB2965_6
; %bb.5:
	global_load_ushort v5, v14, s[52:53] offset:256
.LBB2965_6:
	;; [unrolled: 9-line block ×22, first 2 shown]
	s_or_b64 exec, exec, s[46:47]
	v_or_b32_e32 v1, 0x5c0, v0
	v_cmp_gt_u32_e64 s[46:47], s54, v1
	v_cmp_le_u32_e64 s[50:51], s54, v1
	s_and_saveexec_b64 s[54:55], s[50:51]
	s_xor_b64 s[50:51], exec, s[54:55]
; %bb.47:
	v_mov_b32_e32 v1, 0
; %bb.48:
	s_or_saveexec_b64 s[50:51], s[50:51]
	s_load_dword s33, s[4:5], 0x10
	s_load_dwordx2 s[54:55], s[4:5], 0x18
	s_xor_b64 exec, exec, s[50:51]
	s_cbranch_execz .LBB2965_50
; %bb.49:
	global_load_ushort v2, v14, s[52:53] offset:2944
	v_mov_b32_e32 v1, 0
.LBB2965_50:
	s_or_b64 exec, exec, s[50:51]
	s_waitcnt vmcnt(0)
	ds_write_b16 v14, v3
	ds_write_b16 v14, v4 offset:128
	ds_write_b16 v14, v5 offset:256
	;; [unrolled: 1-line block ×23, first 2 shown]
	v_mad_u32_u24 v15, v0, 46, v14
	s_waitcnt lgkmcnt(0)
	; wave barrier
	s_waitcnt lgkmcnt(0)
	ds_read_b128 v[10:13], v15
	ds_read_b128 v[6:9], v15 offset:16
	ds_read_b128 v[2:5], v15 offset:32
	s_waitcnt lgkmcnt(0)
	; wave barrier
	s_waitcnt lgkmcnt(0)
	v_lshrrev_b32_e32 v25, 16, v11
	v_max_i16_sdwa v27, v10, v10 dst_sel:DWORD dst_unused:UNUSED_PAD src0_sel:DWORD src1_sel:WORD_1
	v_lshrrev_b32_e32 v24, 16, v12
	v_max3_i16 v27, v27, v11, v25
	v_lshrrev_b32_e32 v23, 16, v13
	v_max3_i16 v27, v27, v12, v24
	;; [unrolled: 2-line block ×10, first 2 shown]
	v_max3_i16 v27, v27, v5, v26
	v_mbcnt_lo_u32_b32 v26, -1, 0
	v_mbcnt_hi_u32_b32 v26, -1, v26
	v_and_b32_e32 v29, 0xffff, v27
	v_and_b32_e32 v28, 15, v26
	v_cmp_eq_u32_e64 s[4:5], 0, v28
	v_mov_b32_dpp v29, v29 row_shr:1 row_mask:0xf bank_mask:0xf
	v_max_i16_e32 v29, v29, v27
	v_cndmask_b32_e64 v27, v29, v27, s[4:5]
	v_and_b32_e32 v29, 0xffff, v27
	v_cmp_lt_u32_e64 s[4:5], 1, v28
	s_nop 0
	v_mov_b32_dpp v29, v29 row_shr:2 row_mask:0xf bank_mask:0xf
	v_max_i16_e32 v29, v29, v27
	v_cndmask_b32_e64 v27, v27, v29, s[4:5]
	v_and_b32_e32 v29, 0xffff, v27
	v_cmp_lt_u32_e64 s[4:5], 3, v28
	s_nop 0
	;; [unrolled: 6-line block ×3, first 2 shown]
	v_mov_b32_dpp v29, v29 row_shr:8 row_mask:0xf bank_mask:0xf
	v_max_i16_e32 v29, v29, v27
	v_cndmask_b32_e64 v27, v27, v29, s[4:5]
	v_and_b32_e32 v28, 0xffff, v27
	v_and_b32_e32 v29, 16, v26
	v_cmp_eq_u32_e64 s[4:5], 0, v29
	v_mov_b32_dpp v28, v28 row_bcast:15 row_mask:0xf bank_mask:0xf
	v_max_i16_e32 v28, v28, v27
	v_cndmask_b32_e64 v27, v28, v27, s[4:5]
	v_and_b32_e32 v28, 0xffff, v27
	v_cmp_lt_u32_e64 s[4:5], 31, v26
	s_nop 0
	v_mov_b32_dpp v28, v28 row_bcast:31 row_mask:0xf bank_mask:0xf
	v_max_i16_e32 v28, v28, v27
	v_cndmask_b32_e64 v27, v27, v28, s[4:5]
	v_cmp_eq_u32_e64 s[4:5], 63, v0
	s_and_saveexec_b64 s[50:51], s[4:5]
	s_cbranch_execz .LBB2965_52
; %bb.51:
	v_mov_b32_e32 v28, 0
	ds_write_b16 v28, v27
.LBB2965_52:
	s_or_b64 exec, exec, s[50:51]
	v_add_u32_e32 v28, -1, v26
	v_and_b32_e32 v29, 64, v26
	v_cmp_lt_i32_e64 s[4:5], v28, v29
	v_cndmask_b32_e64 v28, v28, v26, s[4:5]
	v_max_i16_e32 v27, s33, v27
	v_lshlrev_b32_e32 v28, 2, v28
	ds_bpermute_b32 v27, v28, v27
	v_cmp_eq_u32_e64 s[4:5], 0, v26
	v_cmp_eq_u32_e64 s[50:51], 0, v0
	v_mov_b32_e32 v26, s33
	s_or_b64 s[4:5], s[50:51], s[4:5]
	s_waitcnt lgkmcnt(0)
	v_cndmask_b32_e64 v26, v27, v26, s[4:5]
	v_max_i16_e32 v27, v26, v10
	v_max_i16_sdwa v10, v27, v10 dst_sel:DWORD dst_unused:UNUSED_PAD src0_sel:DWORD src1_sel:WORD_1
	v_max_i16_e32 v11, v10, v11
	v_max_i16_e32 v25, v11, v25
	;; [unrolled: 1-line block ×20, first 2 shown]
	s_mov_b32 s4, 0x5040100
	v_max_i16_e32 v31, v16, v5
	v_perm_b32 v2, v27, v26, s4
	v_perm_b32 v3, v11, v10, s4
	;; [unrolled: 1-line block ×4, first 2 shown]
	s_waitcnt lgkmcnt(0)
	; wave barrier
	s_waitcnt lgkmcnt(0)
	s_waitcnt lgkmcnt(0)
	; wave barrier
	ds_write_b128 v15, v[2:5]
	v_perm_b32 v2, v6, v23, s4
	v_perm_b32 v3, v7, v22, s4
	;; [unrolled: 1-line block ×4, first 2 shown]
	ds_write_b128 v15, v[2:5] offset:16
	v_perm_b32 v2, v28, v19, s4
	v_perm_b32 v3, v29, v18, s4
	;; [unrolled: 1-line block ×4, first 2 shown]
	s_movk_i32 s4, 0xffd2
	ds_write_b128 v15, v[2:5] offset:32
	v_mad_i32_i24 v2, v0, s4, v15
	s_waitcnt lgkmcnt(0)
	; wave barrier
	s_waitcnt lgkmcnt(0)
	ds_read_u16 v25, v2 offset:128
	ds_read_u16 v24, v2 offset:256
	ds_read_u16 v23, v2 offset:384
	ds_read_u16 v22, v2 offset:512
	ds_read_u16 v21, v2 offset:640
	ds_read_u16 v20, v2 offset:768
	ds_read_u16 v19, v2 offset:896
	ds_read_u16 v18, v2 offset:1024
	ds_read_u16 v17, v2 offset:1152
	ds_read_u16 v16, v2 offset:1280
	ds_read_u16 v15, v2 offset:1408
	ds_read_u16 v13, v2 offset:1536
	ds_read_u16 v12, v2 offset:1664
	ds_read_u16 v11, v2 offset:1792
	ds_read_u16 v10, v2 offset:1920
	ds_read_u16 v8, v2 offset:2176
	ds_read_u16 v7, v2 offset:2304
	ds_read_u16 v6, v2 offset:2432
	ds_read_u16 v5, v2 offset:2560
	ds_read_u16 v4, v2 offset:2688
	ds_read_u16 v3, v2 offset:2816
	ds_read_u16 v9, v14 offset:2048
	ds_read_u16 v2, v2 offset:2944
	v_lshlrev_b64 v[0:1], 1, v[0:1]
	v_mov_b32_e32 v26, s55
	v_add_co_u32_e64 v0, s[4:5], s54, v0
	v_addc_co_u32_e64 v1, s[4:5], v26, v1, s[4:5]
	s_and_saveexec_b64 s[4:5], vcc
	s_cbranch_execnz .LBB2965_77
; %bb.53:
	s_or_b64 exec, exec, s[4:5]
	s_and_saveexec_b64 s[4:5], s[0:1]
	s_cbranch_execnz .LBB2965_78
.LBB2965_54:
	s_or_b64 exec, exec, s[4:5]
	s_and_saveexec_b64 s[0:1], s[2:3]
	s_cbranch_execnz .LBB2965_79
.LBB2965_55:
	s_or_b64 exec, exec, s[0:1]
	s_and_saveexec_b64 s[0:1], s[48:49]
	s_cbranch_execnz .LBB2965_80
.LBB2965_56:
	s_or_b64 exec, exec, s[0:1]
	s_and_saveexec_b64 s[0:1], s[6:7]
	s_cbranch_execnz .LBB2965_81
.LBB2965_57:
	s_or_b64 exec, exec, s[0:1]
	s_and_saveexec_b64 s[0:1], s[8:9]
	s_cbranch_execnz .LBB2965_82
.LBB2965_58:
	s_or_b64 exec, exec, s[0:1]
	s_and_saveexec_b64 s[0:1], s[10:11]
	s_cbranch_execnz .LBB2965_83
.LBB2965_59:
	s_or_b64 exec, exec, s[0:1]
	s_and_saveexec_b64 s[0:1], s[12:13]
	s_cbranch_execnz .LBB2965_84
.LBB2965_60:
	s_or_b64 exec, exec, s[0:1]
	s_and_saveexec_b64 s[0:1], s[14:15]
	s_cbranch_execnz .LBB2965_85
.LBB2965_61:
	s_or_b64 exec, exec, s[0:1]
	s_and_saveexec_b64 s[0:1], s[16:17]
	s_cbranch_execnz .LBB2965_86
.LBB2965_62:
	s_or_b64 exec, exec, s[0:1]
	s_and_saveexec_b64 s[0:1], s[18:19]
	s_cbranch_execnz .LBB2965_87
.LBB2965_63:
	s_or_b64 exec, exec, s[0:1]
	s_and_saveexec_b64 s[0:1], s[20:21]
	s_cbranch_execnz .LBB2965_88
.LBB2965_64:
	s_or_b64 exec, exec, s[0:1]
	s_and_saveexec_b64 s[0:1], s[22:23]
	s_cbranch_execnz .LBB2965_89
.LBB2965_65:
	s_or_b64 exec, exec, s[0:1]
	s_and_saveexec_b64 s[0:1], s[24:25]
	s_cbranch_execnz .LBB2965_90
.LBB2965_66:
	s_or_b64 exec, exec, s[0:1]
	s_and_saveexec_b64 s[0:1], s[26:27]
	s_cbranch_execnz .LBB2965_91
.LBB2965_67:
	s_or_b64 exec, exec, s[0:1]
	s_and_saveexec_b64 s[0:1], s[28:29]
	s_cbranch_execnz .LBB2965_92
.LBB2965_68:
	s_or_b64 exec, exec, s[0:1]
	s_and_saveexec_b64 s[0:1], s[30:31]
	s_cbranch_execnz .LBB2965_93
.LBB2965_69:
	s_or_b64 exec, exec, s[0:1]
	s_and_saveexec_b64 s[0:1], s[34:35]
	s_cbranch_execnz .LBB2965_94
.LBB2965_70:
	s_or_b64 exec, exec, s[0:1]
	s_and_saveexec_b64 s[0:1], s[36:37]
	s_cbranch_execnz .LBB2965_95
.LBB2965_71:
	s_or_b64 exec, exec, s[0:1]
	s_and_saveexec_b64 s[0:1], s[38:39]
	s_cbranch_execnz .LBB2965_96
.LBB2965_72:
	s_or_b64 exec, exec, s[0:1]
	s_and_saveexec_b64 s[0:1], s[40:41]
	s_cbranch_execnz .LBB2965_97
.LBB2965_73:
	s_or_b64 exec, exec, s[0:1]
	s_and_saveexec_b64 s[0:1], s[42:43]
	s_cbranch_execnz .LBB2965_98
.LBB2965_74:
	s_or_b64 exec, exec, s[0:1]
	s_and_saveexec_b64 s[0:1], s[44:45]
	s_cbranch_execnz .LBB2965_99
.LBB2965_75:
	s_or_b64 exec, exec, s[0:1]
	s_and_saveexec_b64 s[0:1], s[46:47]
	s_cbranch_execnz .LBB2965_100
.LBB2965_76:
	s_endpgm
.LBB2965_77:
	ds_read_u16 v14, v14
	s_waitcnt lgkmcnt(0)
	global_store_short v[0:1], v14, off
	s_or_b64 exec, exec, s[4:5]
	s_and_saveexec_b64 s[4:5], s[0:1]
	s_cbranch_execz .LBB2965_54
.LBB2965_78:
	s_waitcnt lgkmcnt(14)
	global_store_short v[0:1], v25, off offset:128
	s_or_b64 exec, exec, s[4:5]
	s_and_saveexec_b64 s[0:1], s[2:3]
	s_cbranch_execz .LBB2965_55
.LBB2965_79:
	s_waitcnt lgkmcnt(14)
	global_store_short v[0:1], v24, off offset:256
	s_or_b64 exec, exec, s[0:1]
	s_and_saveexec_b64 s[0:1], s[48:49]
	s_cbranch_execz .LBB2965_56
.LBB2965_80:
	s_waitcnt lgkmcnt(14)
	global_store_short v[0:1], v23, off offset:384
	s_or_b64 exec, exec, s[0:1]
	s_and_saveexec_b64 s[0:1], s[6:7]
	s_cbranch_execz .LBB2965_57
.LBB2965_81:
	s_waitcnt lgkmcnt(14)
	global_store_short v[0:1], v22, off offset:512
	s_or_b64 exec, exec, s[0:1]
	s_and_saveexec_b64 s[0:1], s[8:9]
	s_cbranch_execz .LBB2965_58
.LBB2965_82:
	s_waitcnt lgkmcnt(14)
	global_store_short v[0:1], v21, off offset:640
	s_or_b64 exec, exec, s[0:1]
	s_and_saveexec_b64 s[0:1], s[10:11]
	s_cbranch_execz .LBB2965_59
.LBB2965_83:
	s_waitcnt lgkmcnt(14)
	global_store_short v[0:1], v20, off offset:768
	s_or_b64 exec, exec, s[0:1]
	s_and_saveexec_b64 s[0:1], s[12:13]
	s_cbranch_execz .LBB2965_60
.LBB2965_84:
	s_waitcnt lgkmcnt(14)
	global_store_short v[0:1], v19, off offset:896
	s_or_b64 exec, exec, s[0:1]
	s_and_saveexec_b64 s[0:1], s[14:15]
	s_cbranch_execz .LBB2965_61
.LBB2965_85:
	s_waitcnt lgkmcnt(14)
	global_store_short v[0:1], v18, off offset:1024
	s_or_b64 exec, exec, s[0:1]
	s_and_saveexec_b64 s[0:1], s[16:17]
	s_cbranch_execz .LBB2965_62
.LBB2965_86:
	s_waitcnt lgkmcnt(14)
	global_store_short v[0:1], v17, off offset:1152
	s_or_b64 exec, exec, s[0:1]
	s_and_saveexec_b64 s[0:1], s[18:19]
	s_cbranch_execz .LBB2965_63
.LBB2965_87:
	s_waitcnt lgkmcnt(13)
	global_store_short v[0:1], v16, off offset:1280
	s_or_b64 exec, exec, s[0:1]
	s_and_saveexec_b64 s[0:1], s[20:21]
	s_cbranch_execz .LBB2965_64
.LBB2965_88:
	s_waitcnt lgkmcnt(12)
	global_store_short v[0:1], v15, off offset:1408
	s_or_b64 exec, exec, s[0:1]
	s_and_saveexec_b64 s[0:1], s[22:23]
	s_cbranch_execz .LBB2965_65
.LBB2965_89:
	s_waitcnt lgkmcnt(11)
	global_store_short v[0:1], v13, off offset:1536
	s_or_b64 exec, exec, s[0:1]
	s_and_saveexec_b64 s[0:1], s[24:25]
	s_cbranch_execz .LBB2965_66
.LBB2965_90:
	s_waitcnt lgkmcnt(10)
	global_store_short v[0:1], v12, off offset:1664
	s_or_b64 exec, exec, s[0:1]
	s_and_saveexec_b64 s[0:1], s[26:27]
	s_cbranch_execz .LBB2965_67
.LBB2965_91:
	s_waitcnt lgkmcnt(9)
	global_store_short v[0:1], v11, off offset:1792
	s_or_b64 exec, exec, s[0:1]
	s_and_saveexec_b64 s[0:1], s[28:29]
	s_cbranch_execz .LBB2965_68
.LBB2965_92:
	s_waitcnt lgkmcnt(8)
	global_store_short v[0:1], v10, off offset:1920
	s_or_b64 exec, exec, s[0:1]
	s_and_saveexec_b64 s[0:1], s[30:31]
	s_cbranch_execz .LBB2965_69
.LBB2965_93:
	s_waitcnt lgkmcnt(1)
	global_store_short v[0:1], v9, off offset:2048
	s_or_b64 exec, exec, s[0:1]
	s_and_saveexec_b64 s[0:1], s[34:35]
	s_cbranch_execz .LBB2965_70
.LBB2965_94:
	s_waitcnt lgkmcnt(7)
	global_store_short v[0:1], v8, off offset:2176
	s_or_b64 exec, exec, s[0:1]
	s_and_saveexec_b64 s[0:1], s[36:37]
	s_cbranch_execz .LBB2965_71
.LBB2965_95:
	s_waitcnt lgkmcnt(6)
	global_store_short v[0:1], v7, off offset:2304
	s_or_b64 exec, exec, s[0:1]
	s_and_saveexec_b64 s[0:1], s[38:39]
	s_cbranch_execz .LBB2965_72
.LBB2965_96:
	s_waitcnt lgkmcnt(5)
	global_store_short v[0:1], v6, off offset:2432
	s_or_b64 exec, exec, s[0:1]
	s_and_saveexec_b64 s[0:1], s[40:41]
	s_cbranch_execz .LBB2965_73
.LBB2965_97:
	s_waitcnt lgkmcnt(4)
	global_store_short v[0:1], v5, off offset:2560
	s_or_b64 exec, exec, s[0:1]
	s_and_saveexec_b64 s[0:1], s[42:43]
	s_cbranch_execz .LBB2965_74
.LBB2965_98:
	s_waitcnt lgkmcnt(3)
	global_store_short v[0:1], v4, off offset:2688
	s_or_b64 exec, exec, s[0:1]
	s_and_saveexec_b64 s[0:1], s[44:45]
	s_cbranch_execz .LBB2965_75
.LBB2965_99:
	s_waitcnt lgkmcnt(2)
	global_store_short v[0:1], v3, off offset:2816
	s_or_b64 exec, exec, s[0:1]
	s_and_saveexec_b64 s[0:1], s[46:47]
	s_cbranch_execz .LBB2965_76
.LBB2965_100:
	s_waitcnt lgkmcnt(0)
	global_store_short v[0:1], v2, off offset:2944
	s_endpgm
	.section	.rodata,"a",@progbits
	.p2align	6, 0x0
	.amdhsa_kernel _ZN7rocprim17ROCPRIM_400000_NS6detail17trampoline_kernelINS0_14default_configENS1_20scan_config_selectorIsEEZZNS1_9scan_implILNS1_25lookback_scan_determinismE0ELb1ELb1ES3_N6thrust23THRUST_200600_302600_NS6detail15normal_iteratorINS9_10device_ptrIsEEEESE_s11max_functorIsEsEEDaPvRmT3_T4_T5_mT6_P12ihipStream_tbENKUlT_T0_E_clISt17integral_constantIbLb1EEST_IbLb0EEEEDaSP_SQ_EUlSP_E0_NS1_11comp_targetILNS1_3genE4ELNS1_11target_archE910ELNS1_3gpuE8ELNS1_3repE0EEENS1_30default_config_static_selectorELNS0_4arch9wavefront6targetE1EEEvT1_
		.amdhsa_group_segment_fixed_size 3072
		.amdhsa_private_segment_fixed_size 0
		.amdhsa_kernarg_size 32
		.amdhsa_user_sgpr_count 6
		.amdhsa_user_sgpr_private_segment_buffer 1
		.amdhsa_user_sgpr_dispatch_ptr 0
		.amdhsa_user_sgpr_queue_ptr 0
		.amdhsa_user_sgpr_kernarg_segment_ptr 1
		.amdhsa_user_sgpr_dispatch_id 0
		.amdhsa_user_sgpr_flat_scratch_init 0
		.amdhsa_user_sgpr_kernarg_preload_length 0
		.amdhsa_user_sgpr_kernarg_preload_offset 0
		.amdhsa_user_sgpr_private_segment_size 0
		.amdhsa_uses_dynamic_stack 0
		.amdhsa_system_sgpr_private_segment_wavefront_offset 0
		.amdhsa_system_sgpr_workgroup_id_x 1
		.amdhsa_system_sgpr_workgroup_id_y 0
		.amdhsa_system_sgpr_workgroup_id_z 0
		.amdhsa_system_sgpr_workgroup_info 0
		.amdhsa_system_vgpr_workitem_id 0
		.amdhsa_next_free_vgpr 32
		.amdhsa_next_free_sgpr 56
		.amdhsa_accum_offset 32
		.amdhsa_reserve_vcc 1
		.amdhsa_reserve_flat_scratch 0
		.amdhsa_float_round_mode_32 0
		.amdhsa_float_round_mode_16_64 0
		.amdhsa_float_denorm_mode_32 3
		.amdhsa_float_denorm_mode_16_64 3
		.amdhsa_dx10_clamp 1
		.amdhsa_ieee_mode 1
		.amdhsa_fp16_overflow 0
		.amdhsa_tg_split 0
		.amdhsa_exception_fp_ieee_invalid_op 0
		.amdhsa_exception_fp_denorm_src 0
		.amdhsa_exception_fp_ieee_div_zero 0
		.amdhsa_exception_fp_ieee_overflow 0
		.amdhsa_exception_fp_ieee_underflow 0
		.amdhsa_exception_fp_ieee_inexact 0
		.amdhsa_exception_int_div_zero 0
	.end_amdhsa_kernel
	.section	.text._ZN7rocprim17ROCPRIM_400000_NS6detail17trampoline_kernelINS0_14default_configENS1_20scan_config_selectorIsEEZZNS1_9scan_implILNS1_25lookback_scan_determinismE0ELb1ELb1ES3_N6thrust23THRUST_200600_302600_NS6detail15normal_iteratorINS9_10device_ptrIsEEEESE_s11max_functorIsEsEEDaPvRmT3_T4_T5_mT6_P12ihipStream_tbENKUlT_T0_E_clISt17integral_constantIbLb1EEST_IbLb0EEEEDaSP_SQ_EUlSP_E0_NS1_11comp_targetILNS1_3genE4ELNS1_11target_archE910ELNS1_3gpuE8ELNS1_3repE0EEENS1_30default_config_static_selectorELNS0_4arch9wavefront6targetE1EEEvT1_,"axG",@progbits,_ZN7rocprim17ROCPRIM_400000_NS6detail17trampoline_kernelINS0_14default_configENS1_20scan_config_selectorIsEEZZNS1_9scan_implILNS1_25lookback_scan_determinismE0ELb1ELb1ES3_N6thrust23THRUST_200600_302600_NS6detail15normal_iteratorINS9_10device_ptrIsEEEESE_s11max_functorIsEsEEDaPvRmT3_T4_T5_mT6_P12ihipStream_tbENKUlT_T0_E_clISt17integral_constantIbLb1EEST_IbLb0EEEEDaSP_SQ_EUlSP_E0_NS1_11comp_targetILNS1_3genE4ELNS1_11target_archE910ELNS1_3gpuE8ELNS1_3repE0EEENS1_30default_config_static_selectorELNS0_4arch9wavefront6targetE1EEEvT1_,comdat
.Lfunc_end2965:
	.size	_ZN7rocprim17ROCPRIM_400000_NS6detail17trampoline_kernelINS0_14default_configENS1_20scan_config_selectorIsEEZZNS1_9scan_implILNS1_25lookback_scan_determinismE0ELb1ELb1ES3_N6thrust23THRUST_200600_302600_NS6detail15normal_iteratorINS9_10device_ptrIsEEEESE_s11max_functorIsEsEEDaPvRmT3_T4_T5_mT6_P12ihipStream_tbENKUlT_T0_E_clISt17integral_constantIbLb1EEST_IbLb0EEEEDaSP_SQ_EUlSP_E0_NS1_11comp_targetILNS1_3genE4ELNS1_11target_archE910ELNS1_3gpuE8ELNS1_3repE0EEENS1_30default_config_static_selectorELNS0_4arch9wavefront6targetE1EEEvT1_, .Lfunc_end2965-_ZN7rocprim17ROCPRIM_400000_NS6detail17trampoline_kernelINS0_14default_configENS1_20scan_config_selectorIsEEZZNS1_9scan_implILNS1_25lookback_scan_determinismE0ELb1ELb1ES3_N6thrust23THRUST_200600_302600_NS6detail15normal_iteratorINS9_10device_ptrIsEEEESE_s11max_functorIsEsEEDaPvRmT3_T4_T5_mT6_P12ihipStream_tbENKUlT_T0_E_clISt17integral_constantIbLb1EEST_IbLb0EEEEDaSP_SQ_EUlSP_E0_NS1_11comp_targetILNS1_3genE4ELNS1_11target_archE910ELNS1_3gpuE8ELNS1_3repE0EEENS1_30default_config_static_selectorELNS0_4arch9wavefront6targetE1EEEvT1_
                                        ; -- End function
	.section	.AMDGPU.csdata,"",@progbits
; Kernel info:
; codeLenInByte = 3096
; NumSgprs: 60
; NumVgprs: 32
; NumAgprs: 0
; TotalNumVgprs: 32
; ScratchSize: 0
; MemoryBound: 0
; FloatMode: 240
; IeeeMode: 1
; LDSByteSize: 3072 bytes/workgroup (compile time only)
; SGPRBlocks: 7
; VGPRBlocks: 3
; NumSGPRsForWavesPerEU: 60
; NumVGPRsForWavesPerEU: 32
; AccumOffset: 32
; Occupancy: 6
; WaveLimiterHint : 0
; COMPUTE_PGM_RSRC2:SCRATCH_EN: 0
; COMPUTE_PGM_RSRC2:USER_SGPR: 6
; COMPUTE_PGM_RSRC2:TRAP_HANDLER: 0
; COMPUTE_PGM_RSRC2:TGID_X_EN: 1
; COMPUTE_PGM_RSRC2:TGID_Y_EN: 0
; COMPUTE_PGM_RSRC2:TGID_Z_EN: 0
; COMPUTE_PGM_RSRC2:TIDIG_COMP_CNT: 0
; COMPUTE_PGM_RSRC3_GFX90A:ACCUM_OFFSET: 7
; COMPUTE_PGM_RSRC3_GFX90A:TG_SPLIT: 0
	.section	.text._ZN7rocprim17ROCPRIM_400000_NS6detail17trampoline_kernelINS0_14default_configENS1_20scan_config_selectorIsEEZZNS1_9scan_implILNS1_25lookback_scan_determinismE0ELb1ELb1ES3_N6thrust23THRUST_200600_302600_NS6detail15normal_iteratorINS9_10device_ptrIsEEEESE_s11max_functorIsEsEEDaPvRmT3_T4_T5_mT6_P12ihipStream_tbENKUlT_T0_E_clISt17integral_constantIbLb1EEST_IbLb0EEEEDaSP_SQ_EUlSP_E0_NS1_11comp_targetILNS1_3genE3ELNS1_11target_archE908ELNS1_3gpuE7ELNS1_3repE0EEENS1_30default_config_static_selectorELNS0_4arch9wavefront6targetE1EEEvT1_,"axG",@progbits,_ZN7rocprim17ROCPRIM_400000_NS6detail17trampoline_kernelINS0_14default_configENS1_20scan_config_selectorIsEEZZNS1_9scan_implILNS1_25lookback_scan_determinismE0ELb1ELb1ES3_N6thrust23THRUST_200600_302600_NS6detail15normal_iteratorINS9_10device_ptrIsEEEESE_s11max_functorIsEsEEDaPvRmT3_T4_T5_mT6_P12ihipStream_tbENKUlT_T0_E_clISt17integral_constantIbLb1EEST_IbLb0EEEEDaSP_SQ_EUlSP_E0_NS1_11comp_targetILNS1_3genE3ELNS1_11target_archE908ELNS1_3gpuE7ELNS1_3repE0EEENS1_30default_config_static_selectorELNS0_4arch9wavefront6targetE1EEEvT1_,comdat
	.protected	_ZN7rocprim17ROCPRIM_400000_NS6detail17trampoline_kernelINS0_14default_configENS1_20scan_config_selectorIsEEZZNS1_9scan_implILNS1_25lookback_scan_determinismE0ELb1ELb1ES3_N6thrust23THRUST_200600_302600_NS6detail15normal_iteratorINS9_10device_ptrIsEEEESE_s11max_functorIsEsEEDaPvRmT3_T4_T5_mT6_P12ihipStream_tbENKUlT_T0_E_clISt17integral_constantIbLb1EEST_IbLb0EEEEDaSP_SQ_EUlSP_E0_NS1_11comp_targetILNS1_3genE3ELNS1_11target_archE908ELNS1_3gpuE7ELNS1_3repE0EEENS1_30default_config_static_selectorELNS0_4arch9wavefront6targetE1EEEvT1_ ; -- Begin function _ZN7rocprim17ROCPRIM_400000_NS6detail17trampoline_kernelINS0_14default_configENS1_20scan_config_selectorIsEEZZNS1_9scan_implILNS1_25lookback_scan_determinismE0ELb1ELb1ES3_N6thrust23THRUST_200600_302600_NS6detail15normal_iteratorINS9_10device_ptrIsEEEESE_s11max_functorIsEsEEDaPvRmT3_T4_T5_mT6_P12ihipStream_tbENKUlT_T0_E_clISt17integral_constantIbLb1EEST_IbLb0EEEEDaSP_SQ_EUlSP_E0_NS1_11comp_targetILNS1_3genE3ELNS1_11target_archE908ELNS1_3gpuE7ELNS1_3repE0EEENS1_30default_config_static_selectorELNS0_4arch9wavefront6targetE1EEEvT1_
	.globl	_ZN7rocprim17ROCPRIM_400000_NS6detail17trampoline_kernelINS0_14default_configENS1_20scan_config_selectorIsEEZZNS1_9scan_implILNS1_25lookback_scan_determinismE0ELb1ELb1ES3_N6thrust23THRUST_200600_302600_NS6detail15normal_iteratorINS9_10device_ptrIsEEEESE_s11max_functorIsEsEEDaPvRmT3_T4_T5_mT6_P12ihipStream_tbENKUlT_T0_E_clISt17integral_constantIbLb1EEST_IbLb0EEEEDaSP_SQ_EUlSP_E0_NS1_11comp_targetILNS1_3genE3ELNS1_11target_archE908ELNS1_3gpuE7ELNS1_3repE0EEENS1_30default_config_static_selectorELNS0_4arch9wavefront6targetE1EEEvT1_
	.p2align	8
	.type	_ZN7rocprim17ROCPRIM_400000_NS6detail17trampoline_kernelINS0_14default_configENS1_20scan_config_selectorIsEEZZNS1_9scan_implILNS1_25lookback_scan_determinismE0ELb1ELb1ES3_N6thrust23THRUST_200600_302600_NS6detail15normal_iteratorINS9_10device_ptrIsEEEESE_s11max_functorIsEsEEDaPvRmT3_T4_T5_mT6_P12ihipStream_tbENKUlT_T0_E_clISt17integral_constantIbLb1EEST_IbLb0EEEEDaSP_SQ_EUlSP_E0_NS1_11comp_targetILNS1_3genE3ELNS1_11target_archE908ELNS1_3gpuE7ELNS1_3repE0EEENS1_30default_config_static_selectorELNS0_4arch9wavefront6targetE1EEEvT1_,@function
_ZN7rocprim17ROCPRIM_400000_NS6detail17trampoline_kernelINS0_14default_configENS1_20scan_config_selectorIsEEZZNS1_9scan_implILNS1_25lookback_scan_determinismE0ELb1ELb1ES3_N6thrust23THRUST_200600_302600_NS6detail15normal_iteratorINS9_10device_ptrIsEEEESE_s11max_functorIsEsEEDaPvRmT3_T4_T5_mT6_P12ihipStream_tbENKUlT_T0_E_clISt17integral_constantIbLb1EEST_IbLb0EEEEDaSP_SQ_EUlSP_E0_NS1_11comp_targetILNS1_3genE3ELNS1_11target_archE908ELNS1_3gpuE7ELNS1_3repE0EEENS1_30default_config_static_selectorELNS0_4arch9wavefront6targetE1EEEvT1_: ; @_ZN7rocprim17ROCPRIM_400000_NS6detail17trampoline_kernelINS0_14default_configENS1_20scan_config_selectorIsEEZZNS1_9scan_implILNS1_25lookback_scan_determinismE0ELb1ELb1ES3_N6thrust23THRUST_200600_302600_NS6detail15normal_iteratorINS9_10device_ptrIsEEEESE_s11max_functorIsEsEEDaPvRmT3_T4_T5_mT6_P12ihipStream_tbENKUlT_T0_E_clISt17integral_constantIbLb1EEST_IbLb0EEEEDaSP_SQ_EUlSP_E0_NS1_11comp_targetILNS1_3genE3ELNS1_11target_archE908ELNS1_3gpuE7ELNS1_3repE0EEENS1_30default_config_static_selectorELNS0_4arch9wavefront6targetE1EEEvT1_
; %bb.0:
	.section	.rodata,"a",@progbits
	.p2align	6, 0x0
	.amdhsa_kernel _ZN7rocprim17ROCPRIM_400000_NS6detail17trampoline_kernelINS0_14default_configENS1_20scan_config_selectorIsEEZZNS1_9scan_implILNS1_25lookback_scan_determinismE0ELb1ELb1ES3_N6thrust23THRUST_200600_302600_NS6detail15normal_iteratorINS9_10device_ptrIsEEEESE_s11max_functorIsEsEEDaPvRmT3_T4_T5_mT6_P12ihipStream_tbENKUlT_T0_E_clISt17integral_constantIbLb1EEST_IbLb0EEEEDaSP_SQ_EUlSP_E0_NS1_11comp_targetILNS1_3genE3ELNS1_11target_archE908ELNS1_3gpuE7ELNS1_3repE0EEENS1_30default_config_static_selectorELNS0_4arch9wavefront6targetE1EEEvT1_
		.amdhsa_group_segment_fixed_size 0
		.amdhsa_private_segment_fixed_size 0
		.amdhsa_kernarg_size 32
		.amdhsa_user_sgpr_count 6
		.amdhsa_user_sgpr_private_segment_buffer 1
		.amdhsa_user_sgpr_dispatch_ptr 0
		.amdhsa_user_sgpr_queue_ptr 0
		.amdhsa_user_sgpr_kernarg_segment_ptr 1
		.amdhsa_user_sgpr_dispatch_id 0
		.amdhsa_user_sgpr_flat_scratch_init 0
		.amdhsa_user_sgpr_kernarg_preload_length 0
		.amdhsa_user_sgpr_kernarg_preload_offset 0
		.amdhsa_user_sgpr_private_segment_size 0
		.amdhsa_uses_dynamic_stack 0
		.amdhsa_system_sgpr_private_segment_wavefront_offset 0
		.amdhsa_system_sgpr_workgroup_id_x 1
		.amdhsa_system_sgpr_workgroup_id_y 0
		.amdhsa_system_sgpr_workgroup_id_z 0
		.amdhsa_system_sgpr_workgroup_info 0
		.amdhsa_system_vgpr_workitem_id 0
		.amdhsa_next_free_vgpr 1
		.amdhsa_next_free_sgpr 0
		.amdhsa_accum_offset 4
		.amdhsa_reserve_vcc 0
		.amdhsa_reserve_flat_scratch 0
		.amdhsa_float_round_mode_32 0
		.amdhsa_float_round_mode_16_64 0
		.amdhsa_float_denorm_mode_32 3
		.amdhsa_float_denorm_mode_16_64 3
		.amdhsa_dx10_clamp 1
		.amdhsa_ieee_mode 1
		.amdhsa_fp16_overflow 0
		.amdhsa_tg_split 0
		.amdhsa_exception_fp_ieee_invalid_op 0
		.amdhsa_exception_fp_denorm_src 0
		.amdhsa_exception_fp_ieee_div_zero 0
		.amdhsa_exception_fp_ieee_overflow 0
		.amdhsa_exception_fp_ieee_underflow 0
		.amdhsa_exception_fp_ieee_inexact 0
		.amdhsa_exception_int_div_zero 0
	.end_amdhsa_kernel
	.section	.text._ZN7rocprim17ROCPRIM_400000_NS6detail17trampoline_kernelINS0_14default_configENS1_20scan_config_selectorIsEEZZNS1_9scan_implILNS1_25lookback_scan_determinismE0ELb1ELb1ES3_N6thrust23THRUST_200600_302600_NS6detail15normal_iteratorINS9_10device_ptrIsEEEESE_s11max_functorIsEsEEDaPvRmT3_T4_T5_mT6_P12ihipStream_tbENKUlT_T0_E_clISt17integral_constantIbLb1EEST_IbLb0EEEEDaSP_SQ_EUlSP_E0_NS1_11comp_targetILNS1_3genE3ELNS1_11target_archE908ELNS1_3gpuE7ELNS1_3repE0EEENS1_30default_config_static_selectorELNS0_4arch9wavefront6targetE1EEEvT1_,"axG",@progbits,_ZN7rocprim17ROCPRIM_400000_NS6detail17trampoline_kernelINS0_14default_configENS1_20scan_config_selectorIsEEZZNS1_9scan_implILNS1_25lookback_scan_determinismE0ELb1ELb1ES3_N6thrust23THRUST_200600_302600_NS6detail15normal_iteratorINS9_10device_ptrIsEEEESE_s11max_functorIsEsEEDaPvRmT3_T4_T5_mT6_P12ihipStream_tbENKUlT_T0_E_clISt17integral_constantIbLb1EEST_IbLb0EEEEDaSP_SQ_EUlSP_E0_NS1_11comp_targetILNS1_3genE3ELNS1_11target_archE908ELNS1_3gpuE7ELNS1_3repE0EEENS1_30default_config_static_selectorELNS0_4arch9wavefront6targetE1EEEvT1_,comdat
.Lfunc_end2966:
	.size	_ZN7rocprim17ROCPRIM_400000_NS6detail17trampoline_kernelINS0_14default_configENS1_20scan_config_selectorIsEEZZNS1_9scan_implILNS1_25lookback_scan_determinismE0ELb1ELb1ES3_N6thrust23THRUST_200600_302600_NS6detail15normal_iteratorINS9_10device_ptrIsEEEESE_s11max_functorIsEsEEDaPvRmT3_T4_T5_mT6_P12ihipStream_tbENKUlT_T0_E_clISt17integral_constantIbLb1EEST_IbLb0EEEEDaSP_SQ_EUlSP_E0_NS1_11comp_targetILNS1_3genE3ELNS1_11target_archE908ELNS1_3gpuE7ELNS1_3repE0EEENS1_30default_config_static_selectorELNS0_4arch9wavefront6targetE1EEEvT1_, .Lfunc_end2966-_ZN7rocprim17ROCPRIM_400000_NS6detail17trampoline_kernelINS0_14default_configENS1_20scan_config_selectorIsEEZZNS1_9scan_implILNS1_25lookback_scan_determinismE0ELb1ELb1ES3_N6thrust23THRUST_200600_302600_NS6detail15normal_iteratorINS9_10device_ptrIsEEEESE_s11max_functorIsEsEEDaPvRmT3_T4_T5_mT6_P12ihipStream_tbENKUlT_T0_E_clISt17integral_constantIbLb1EEST_IbLb0EEEEDaSP_SQ_EUlSP_E0_NS1_11comp_targetILNS1_3genE3ELNS1_11target_archE908ELNS1_3gpuE7ELNS1_3repE0EEENS1_30default_config_static_selectorELNS0_4arch9wavefront6targetE1EEEvT1_
                                        ; -- End function
	.section	.AMDGPU.csdata,"",@progbits
; Kernel info:
; codeLenInByte = 0
; NumSgprs: 4
; NumVgprs: 0
; NumAgprs: 0
; TotalNumVgprs: 0
; ScratchSize: 0
; MemoryBound: 0
; FloatMode: 240
; IeeeMode: 1
; LDSByteSize: 0 bytes/workgroup (compile time only)
; SGPRBlocks: 0
; VGPRBlocks: 0
; NumSGPRsForWavesPerEU: 4
; NumVGPRsForWavesPerEU: 1
; AccumOffset: 4
; Occupancy: 8
; WaveLimiterHint : 0
; COMPUTE_PGM_RSRC2:SCRATCH_EN: 0
; COMPUTE_PGM_RSRC2:USER_SGPR: 6
; COMPUTE_PGM_RSRC2:TRAP_HANDLER: 0
; COMPUTE_PGM_RSRC2:TGID_X_EN: 1
; COMPUTE_PGM_RSRC2:TGID_Y_EN: 0
; COMPUTE_PGM_RSRC2:TGID_Z_EN: 0
; COMPUTE_PGM_RSRC2:TIDIG_COMP_CNT: 0
; COMPUTE_PGM_RSRC3_GFX90A:ACCUM_OFFSET: 0
; COMPUTE_PGM_RSRC3_GFX90A:TG_SPLIT: 0
	.section	.text._ZN7rocprim17ROCPRIM_400000_NS6detail17trampoline_kernelINS0_14default_configENS1_20scan_config_selectorIsEEZZNS1_9scan_implILNS1_25lookback_scan_determinismE0ELb1ELb1ES3_N6thrust23THRUST_200600_302600_NS6detail15normal_iteratorINS9_10device_ptrIsEEEESE_s11max_functorIsEsEEDaPvRmT3_T4_T5_mT6_P12ihipStream_tbENKUlT_T0_E_clISt17integral_constantIbLb1EEST_IbLb0EEEEDaSP_SQ_EUlSP_E0_NS1_11comp_targetILNS1_3genE2ELNS1_11target_archE906ELNS1_3gpuE6ELNS1_3repE0EEENS1_30default_config_static_selectorELNS0_4arch9wavefront6targetE1EEEvT1_,"axG",@progbits,_ZN7rocprim17ROCPRIM_400000_NS6detail17trampoline_kernelINS0_14default_configENS1_20scan_config_selectorIsEEZZNS1_9scan_implILNS1_25lookback_scan_determinismE0ELb1ELb1ES3_N6thrust23THRUST_200600_302600_NS6detail15normal_iteratorINS9_10device_ptrIsEEEESE_s11max_functorIsEsEEDaPvRmT3_T4_T5_mT6_P12ihipStream_tbENKUlT_T0_E_clISt17integral_constantIbLb1EEST_IbLb0EEEEDaSP_SQ_EUlSP_E0_NS1_11comp_targetILNS1_3genE2ELNS1_11target_archE906ELNS1_3gpuE6ELNS1_3repE0EEENS1_30default_config_static_selectorELNS0_4arch9wavefront6targetE1EEEvT1_,comdat
	.protected	_ZN7rocprim17ROCPRIM_400000_NS6detail17trampoline_kernelINS0_14default_configENS1_20scan_config_selectorIsEEZZNS1_9scan_implILNS1_25lookback_scan_determinismE0ELb1ELb1ES3_N6thrust23THRUST_200600_302600_NS6detail15normal_iteratorINS9_10device_ptrIsEEEESE_s11max_functorIsEsEEDaPvRmT3_T4_T5_mT6_P12ihipStream_tbENKUlT_T0_E_clISt17integral_constantIbLb1EEST_IbLb0EEEEDaSP_SQ_EUlSP_E0_NS1_11comp_targetILNS1_3genE2ELNS1_11target_archE906ELNS1_3gpuE6ELNS1_3repE0EEENS1_30default_config_static_selectorELNS0_4arch9wavefront6targetE1EEEvT1_ ; -- Begin function _ZN7rocprim17ROCPRIM_400000_NS6detail17trampoline_kernelINS0_14default_configENS1_20scan_config_selectorIsEEZZNS1_9scan_implILNS1_25lookback_scan_determinismE0ELb1ELb1ES3_N6thrust23THRUST_200600_302600_NS6detail15normal_iteratorINS9_10device_ptrIsEEEESE_s11max_functorIsEsEEDaPvRmT3_T4_T5_mT6_P12ihipStream_tbENKUlT_T0_E_clISt17integral_constantIbLb1EEST_IbLb0EEEEDaSP_SQ_EUlSP_E0_NS1_11comp_targetILNS1_3genE2ELNS1_11target_archE906ELNS1_3gpuE6ELNS1_3repE0EEENS1_30default_config_static_selectorELNS0_4arch9wavefront6targetE1EEEvT1_
	.globl	_ZN7rocprim17ROCPRIM_400000_NS6detail17trampoline_kernelINS0_14default_configENS1_20scan_config_selectorIsEEZZNS1_9scan_implILNS1_25lookback_scan_determinismE0ELb1ELb1ES3_N6thrust23THRUST_200600_302600_NS6detail15normal_iteratorINS9_10device_ptrIsEEEESE_s11max_functorIsEsEEDaPvRmT3_T4_T5_mT6_P12ihipStream_tbENKUlT_T0_E_clISt17integral_constantIbLb1EEST_IbLb0EEEEDaSP_SQ_EUlSP_E0_NS1_11comp_targetILNS1_3genE2ELNS1_11target_archE906ELNS1_3gpuE6ELNS1_3repE0EEENS1_30default_config_static_selectorELNS0_4arch9wavefront6targetE1EEEvT1_
	.p2align	8
	.type	_ZN7rocprim17ROCPRIM_400000_NS6detail17trampoline_kernelINS0_14default_configENS1_20scan_config_selectorIsEEZZNS1_9scan_implILNS1_25lookback_scan_determinismE0ELb1ELb1ES3_N6thrust23THRUST_200600_302600_NS6detail15normal_iteratorINS9_10device_ptrIsEEEESE_s11max_functorIsEsEEDaPvRmT3_T4_T5_mT6_P12ihipStream_tbENKUlT_T0_E_clISt17integral_constantIbLb1EEST_IbLb0EEEEDaSP_SQ_EUlSP_E0_NS1_11comp_targetILNS1_3genE2ELNS1_11target_archE906ELNS1_3gpuE6ELNS1_3repE0EEENS1_30default_config_static_selectorELNS0_4arch9wavefront6targetE1EEEvT1_,@function
_ZN7rocprim17ROCPRIM_400000_NS6detail17trampoline_kernelINS0_14default_configENS1_20scan_config_selectorIsEEZZNS1_9scan_implILNS1_25lookback_scan_determinismE0ELb1ELb1ES3_N6thrust23THRUST_200600_302600_NS6detail15normal_iteratorINS9_10device_ptrIsEEEESE_s11max_functorIsEsEEDaPvRmT3_T4_T5_mT6_P12ihipStream_tbENKUlT_T0_E_clISt17integral_constantIbLb1EEST_IbLb0EEEEDaSP_SQ_EUlSP_E0_NS1_11comp_targetILNS1_3genE2ELNS1_11target_archE906ELNS1_3gpuE6ELNS1_3repE0EEENS1_30default_config_static_selectorELNS0_4arch9wavefront6targetE1EEEvT1_: ; @_ZN7rocprim17ROCPRIM_400000_NS6detail17trampoline_kernelINS0_14default_configENS1_20scan_config_selectorIsEEZZNS1_9scan_implILNS1_25lookback_scan_determinismE0ELb1ELb1ES3_N6thrust23THRUST_200600_302600_NS6detail15normal_iteratorINS9_10device_ptrIsEEEESE_s11max_functorIsEsEEDaPvRmT3_T4_T5_mT6_P12ihipStream_tbENKUlT_T0_E_clISt17integral_constantIbLb1EEST_IbLb0EEEEDaSP_SQ_EUlSP_E0_NS1_11comp_targetILNS1_3genE2ELNS1_11target_archE906ELNS1_3gpuE6ELNS1_3repE0EEENS1_30default_config_static_selectorELNS0_4arch9wavefront6targetE1EEEvT1_
; %bb.0:
	.section	.rodata,"a",@progbits
	.p2align	6, 0x0
	.amdhsa_kernel _ZN7rocprim17ROCPRIM_400000_NS6detail17trampoline_kernelINS0_14default_configENS1_20scan_config_selectorIsEEZZNS1_9scan_implILNS1_25lookback_scan_determinismE0ELb1ELb1ES3_N6thrust23THRUST_200600_302600_NS6detail15normal_iteratorINS9_10device_ptrIsEEEESE_s11max_functorIsEsEEDaPvRmT3_T4_T5_mT6_P12ihipStream_tbENKUlT_T0_E_clISt17integral_constantIbLb1EEST_IbLb0EEEEDaSP_SQ_EUlSP_E0_NS1_11comp_targetILNS1_3genE2ELNS1_11target_archE906ELNS1_3gpuE6ELNS1_3repE0EEENS1_30default_config_static_selectorELNS0_4arch9wavefront6targetE1EEEvT1_
		.amdhsa_group_segment_fixed_size 0
		.amdhsa_private_segment_fixed_size 0
		.amdhsa_kernarg_size 32
		.amdhsa_user_sgpr_count 6
		.amdhsa_user_sgpr_private_segment_buffer 1
		.amdhsa_user_sgpr_dispatch_ptr 0
		.amdhsa_user_sgpr_queue_ptr 0
		.amdhsa_user_sgpr_kernarg_segment_ptr 1
		.amdhsa_user_sgpr_dispatch_id 0
		.amdhsa_user_sgpr_flat_scratch_init 0
		.amdhsa_user_sgpr_kernarg_preload_length 0
		.amdhsa_user_sgpr_kernarg_preload_offset 0
		.amdhsa_user_sgpr_private_segment_size 0
		.amdhsa_uses_dynamic_stack 0
		.amdhsa_system_sgpr_private_segment_wavefront_offset 0
		.amdhsa_system_sgpr_workgroup_id_x 1
		.amdhsa_system_sgpr_workgroup_id_y 0
		.amdhsa_system_sgpr_workgroup_id_z 0
		.amdhsa_system_sgpr_workgroup_info 0
		.amdhsa_system_vgpr_workitem_id 0
		.amdhsa_next_free_vgpr 1
		.amdhsa_next_free_sgpr 0
		.amdhsa_accum_offset 4
		.amdhsa_reserve_vcc 0
		.amdhsa_reserve_flat_scratch 0
		.amdhsa_float_round_mode_32 0
		.amdhsa_float_round_mode_16_64 0
		.amdhsa_float_denorm_mode_32 3
		.amdhsa_float_denorm_mode_16_64 3
		.amdhsa_dx10_clamp 1
		.amdhsa_ieee_mode 1
		.amdhsa_fp16_overflow 0
		.amdhsa_tg_split 0
		.amdhsa_exception_fp_ieee_invalid_op 0
		.amdhsa_exception_fp_denorm_src 0
		.amdhsa_exception_fp_ieee_div_zero 0
		.amdhsa_exception_fp_ieee_overflow 0
		.amdhsa_exception_fp_ieee_underflow 0
		.amdhsa_exception_fp_ieee_inexact 0
		.amdhsa_exception_int_div_zero 0
	.end_amdhsa_kernel
	.section	.text._ZN7rocprim17ROCPRIM_400000_NS6detail17trampoline_kernelINS0_14default_configENS1_20scan_config_selectorIsEEZZNS1_9scan_implILNS1_25lookback_scan_determinismE0ELb1ELb1ES3_N6thrust23THRUST_200600_302600_NS6detail15normal_iteratorINS9_10device_ptrIsEEEESE_s11max_functorIsEsEEDaPvRmT3_T4_T5_mT6_P12ihipStream_tbENKUlT_T0_E_clISt17integral_constantIbLb1EEST_IbLb0EEEEDaSP_SQ_EUlSP_E0_NS1_11comp_targetILNS1_3genE2ELNS1_11target_archE906ELNS1_3gpuE6ELNS1_3repE0EEENS1_30default_config_static_selectorELNS0_4arch9wavefront6targetE1EEEvT1_,"axG",@progbits,_ZN7rocprim17ROCPRIM_400000_NS6detail17trampoline_kernelINS0_14default_configENS1_20scan_config_selectorIsEEZZNS1_9scan_implILNS1_25lookback_scan_determinismE0ELb1ELb1ES3_N6thrust23THRUST_200600_302600_NS6detail15normal_iteratorINS9_10device_ptrIsEEEESE_s11max_functorIsEsEEDaPvRmT3_T4_T5_mT6_P12ihipStream_tbENKUlT_T0_E_clISt17integral_constantIbLb1EEST_IbLb0EEEEDaSP_SQ_EUlSP_E0_NS1_11comp_targetILNS1_3genE2ELNS1_11target_archE906ELNS1_3gpuE6ELNS1_3repE0EEENS1_30default_config_static_selectorELNS0_4arch9wavefront6targetE1EEEvT1_,comdat
.Lfunc_end2967:
	.size	_ZN7rocprim17ROCPRIM_400000_NS6detail17trampoline_kernelINS0_14default_configENS1_20scan_config_selectorIsEEZZNS1_9scan_implILNS1_25lookback_scan_determinismE0ELb1ELb1ES3_N6thrust23THRUST_200600_302600_NS6detail15normal_iteratorINS9_10device_ptrIsEEEESE_s11max_functorIsEsEEDaPvRmT3_T4_T5_mT6_P12ihipStream_tbENKUlT_T0_E_clISt17integral_constantIbLb1EEST_IbLb0EEEEDaSP_SQ_EUlSP_E0_NS1_11comp_targetILNS1_3genE2ELNS1_11target_archE906ELNS1_3gpuE6ELNS1_3repE0EEENS1_30default_config_static_selectorELNS0_4arch9wavefront6targetE1EEEvT1_, .Lfunc_end2967-_ZN7rocprim17ROCPRIM_400000_NS6detail17trampoline_kernelINS0_14default_configENS1_20scan_config_selectorIsEEZZNS1_9scan_implILNS1_25lookback_scan_determinismE0ELb1ELb1ES3_N6thrust23THRUST_200600_302600_NS6detail15normal_iteratorINS9_10device_ptrIsEEEESE_s11max_functorIsEsEEDaPvRmT3_T4_T5_mT6_P12ihipStream_tbENKUlT_T0_E_clISt17integral_constantIbLb1EEST_IbLb0EEEEDaSP_SQ_EUlSP_E0_NS1_11comp_targetILNS1_3genE2ELNS1_11target_archE906ELNS1_3gpuE6ELNS1_3repE0EEENS1_30default_config_static_selectorELNS0_4arch9wavefront6targetE1EEEvT1_
                                        ; -- End function
	.section	.AMDGPU.csdata,"",@progbits
; Kernel info:
; codeLenInByte = 0
; NumSgprs: 4
; NumVgprs: 0
; NumAgprs: 0
; TotalNumVgprs: 0
; ScratchSize: 0
; MemoryBound: 0
; FloatMode: 240
; IeeeMode: 1
; LDSByteSize: 0 bytes/workgroup (compile time only)
; SGPRBlocks: 0
; VGPRBlocks: 0
; NumSGPRsForWavesPerEU: 4
; NumVGPRsForWavesPerEU: 1
; AccumOffset: 4
; Occupancy: 8
; WaveLimiterHint : 0
; COMPUTE_PGM_RSRC2:SCRATCH_EN: 0
; COMPUTE_PGM_RSRC2:USER_SGPR: 6
; COMPUTE_PGM_RSRC2:TRAP_HANDLER: 0
; COMPUTE_PGM_RSRC2:TGID_X_EN: 1
; COMPUTE_PGM_RSRC2:TGID_Y_EN: 0
; COMPUTE_PGM_RSRC2:TGID_Z_EN: 0
; COMPUTE_PGM_RSRC2:TIDIG_COMP_CNT: 0
; COMPUTE_PGM_RSRC3_GFX90A:ACCUM_OFFSET: 0
; COMPUTE_PGM_RSRC3_GFX90A:TG_SPLIT: 0
	.section	.text._ZN7rocprim17ROCPRIM_400000_NS6detail17trampoline_kernelINS0_14default_configENS1_20scan_config_selectorIsEEZZNS1_9scan_implILNS1_25lookback_scan_determinismE0ELb1ELb1ES3_N6thrust23THRUST_200600_302600_NS6detail15normal_iteratorINS9_10device_ptrIsEEEESE_s11max_functorIsEsEEDaPvRmT3_T4_T5_mT6_P12ihipStream_tbENKUlT_T0_E_clISt17integral_constantIbLb1EEST_IbLb0EEEEDaSP_SQ_EUlSP_E0_NS1_11comp_targetILNS1_3genE10ELNS1_11target_archE1201ELNS1_3gpuE5ELNS1_3repE0EEENS1_30default_config_static_selectorELNS0_4arch9wavefront6targetE1EEEvT1_,"axG",@progbits,_ZN7rocprim17ROCPRIM_400000_NS6detail17trampoline_kernelINS0_14default_configENS1_20scan_config_selectorIsEEZZNS1_9scan_implILNS1_25lookback_scan_determinismE0ELb1ELb1ES3_N6thrust23THRUST_200600_302600_NS6detail15normal_iteratorINS9_10device_ptrIsEEEESE_s11max_functorIsEsEEDaPvRmT3_T4_T5_mT6_P12ihipStream_tbENKUlT_T0_E_clISt17integral_constantIbLb1EEST_IbLb0EEEEDaSP_SQ_EUlSP_E0_NS1_11comp_targetILNS1_3genE10ELNS1_11target_archE1201ELNS1_3gpuE5ELNS1_3repE0EEENS1_30default_config_static_selectorELNS0_4arch9wavefront6targetE1EEEvT1_,comdat
	.protected	_ZN7rocprim17ROCPRIM_400000_NS6detail17trampoline_kernelINS0_14default_configENS1_20scan_config_selectorIsEEZZNS1_9scan_implILNS1_25lookback_scan_determinismE0ELb1ELb1ES3_N6thrust23THRUST_200600_302600_NS6detail15normal_iteratorINS9_10device_ptrIsEEEESE_s11max_functorIsEsEEDaPvRmT3_T4_T5_mT6_P12ihipStream_tbENKUlT_T0_E_clISt17integral_constantIbLb1EEST_IbLb0EEEEDaSP_SQ_EUlSP_E0_NS1_11comp_targetILNS1_3genE10ELNS1_11target_archE1201ELNS1_3gpuE5ELNS1_3repE0EEENS1_30default_config_static_selectorELNS0_4arch9wavefront6targetE1EEEvT1_ ; -- Begin function _ZN7rocprim17ROCPRIM_400000_NS6detail17trampoline_kernelINS0_14default_configENS1_20scan_config_selectorIsEEZZNS1_9scan_implILNS1_25lookback_scan_determinismE0ELb1ELb1ES3_N6thrust23THRUST_200600_302600_NS6detail15normal_iteratorINS9_10device_ptrIsEEEESE_s11max_functorIsEsEEDaPvRmT3_T4_T5_mT6_P12ihipStream_tbENKUlT_T0_E_clISt17integral_constantIbLb1EEST_IbLb0EEEEDaSP_SQ_EUlSP_E0_NS1_11comp_targetILNS1_3genE10ELNS1_11target_archE1201ELNS1_3gpuE5ELNS1_3repE0EEENS1_30default_config_static_selectorELNS0_4arch9wavefront6targetE1EEEvT1_
	.globl	_ZN7rocprim17ROCPRIM_400000_NS6detail17trampoline_kernelINS0_14default_configENS1_20scan_config_selectorIsEEZZNS1_9scan_implILNS1_25lookback_scan_determinismE0ELb1ELb1ES3_N6thrust23THRUST_200600_302600_NS6detail15normal_iteratorINS9_10device_ptrIsEEEESE_s11max_functorIsEsEEDaPvRmT3_T4_T5_mT6_P12ihipStream_tbENKUlT_T0_E_clISt17integral_constantIbLb1EEST_IbLb0EEEEDaSP_SQ_EUlSP_E0_NS1_11comp_targetILNS1_3genE10ELNS1_11target_archE1201ELNS1_3gpuE5ELNS1_3repE0EEENS1_30default_config_static_selectorELNS0_4arch9wavefront6targetE1EEEvT1_
	.p2align	8
	.type	_ZN7rocprim17ROCPRIM_400000_NS6detail17trampoline_kernelINS0_14default_configENS1_20scan_config_selectorIsEEZZNS1_9scan_implILNS1_25lookback_scan_determinismE0ELb1ELb1ES3_N6thrust23THRUST_200600_302600_NS6detail15normal_iteratorINS9_10device_ptrIsEEEESE_s11max_functorIsEsEEDaPvRmT3_T4_T5_mT6_P12ihipStream_tbENKUlT_T0_E_clISt17integral_constantIbLb1EEST_IbLb0EEEEDaSP_SQ_EUlSP_E0_NS1_11comp_targetILNS1_3genE10ELNS1_11target_archE1201ELNS1_3gpuE5ELNS1_3repE0EEENS1_30default_config_static_selectorELNS0_4arch9wavefront6targetE1EEEvT1_,@function
_ZN7rocprim17ROCPRIM_400000_NS6detail17trampoline_kernelINS0_14default_configENS1_20scan_config_selectorIsEEZZNS1_9scan_implILNS1_25lookback_scan_determinismE0ELb1ELb1ES3_N6thrust23THRUST_200600_302600_NS6detail15normal_iteratorINS9_10device_ptrIsEEEESE_s11max_functorIsEsEEDaPvRmT3_T4_T5_mT6_P12ihipStream_tbENKUlT_T0_E_clISt17integral_constantIbLb1EEST_IbLb0EEEEDaSP_SQ_EUlSP_E0_NS1_11comp_targetILNS1_3genE10ELNS1_11target_archE1201ELNS1_3gpuE5ELNS1_3repE0EEENS1_30default_config_static_selectorELNS0_4arch9wavefront6targetE1EEEvT1_: ; @_ZN7rocprim17ROCPRIM_400000_NS6detail17trampoline_kernelINS0_14default_configENS1_20scan_config_selectorIsEEZZNS1_9scan_implILNS1_25lookback_scan_determinismE0ELb1ELb1ES3_N6thrust23THRUST_200600_302600_NS6detail15normal_iteratorINS9_10device_ptrIsEEEESE_s11max_functorIsEsEEDaPvRmT3_T4_T5_mT6_P12ihipStream_tbENKUlT_T0_E_clISt17integral_constantIbLb1EEST_IbLb0EEEEDaSP_SQ_EUlSP_E0_NS1_11comp_targetILNS1_3genE10ELNS1_11target_archE1201ELNS1_3gpuE5ELNS1_3repE0EEENS1_30default_config_static_selectorELNS0_4arch9wavefront6targetE1EEEvT1_
; %bb.0:
	.section	.rodata,"a",@progbits
	.p2align	6, 0x0
	.amdhsa_kernel _ZN7rocprim17ROCPRIM_400000_NS6detail17trampoline_kernelINS0_14default_configENS1_20scan_config_selectorIsEEZZNS1_9scan_implILNS1_25lookback_scan_determinismE0ELb1ELb1ES3_N6thrust23THRUST_200600_302600_NS6detail15normal_iteratorINS9_10device_ptrIsEEEESE_s11max_functorIsEsEEDaPvRmT3_T4_T5_mT6_P12ihipStream_tbENKUlT_T0_E_clISt17integral_constantIbLb1EEST_IbLb0EEEEDaSP_SQ_EUlSP_E0_NS1_11comp_targetILNS1_3genE10ELNS1_11target_archE1201ELNS1_3gpuE5ELNS1_3repE0EEENS1_30default_config_static_selectorELNS0_4arch9wavefront6targetE1EEEvT1_
		.amdhsa_group_segment_fixed_size 0
		.amdhsa_private_segment_fixed_size 0
		.amdhsa_kernarg_size 32
		.amdhsa_user_sgpr_count 6
		.amdhsa_user_sgpr_private_segment_buffer 1
		.amdhsa_user_sgpr_dispatch_ptr 0
		.amdhsa_user_sgpr_queue_ptr 0
		.amdhsa_user_sgpr_kernarg_segment_ptr 1
		.amdhsa_user_sgpr_dispatch_id 0
		.amdhsa_user_sgpr_flat_scratch_init 0
		.amdhsa_user_sgpr_kernarg_preload_length 0
		.amdhsa_user_sgpr_kernarg_preload_offset 0
		.amdhsa_user_sgpr_private_segment_size 0
		.amdhsa_uses_dynamic_stack 0
		.amdhsa_system_sgpr_private_segment_wavefront_offset 0
		.amdhsa_system_sgpr_workgroup_id_x 1
		.amdhsa_system_sgpr_workgroup_id_y 0
		.amdhsa_system_sgpr_workgroup_id_z 0
		.amdhsa_system_sgpr_workgroup_info 0
		.amdhsa_system_vgpr_workitem_id 0
		.amdhsa_next_free_vgpr 1
		.amdhsa_next_free_sgpr 0
		.amdhsa_accum_offset 4
		.amdhsa_reserve_vcc 0
		.amdhsa_reserve_flat_scratch 0
		.amdhsa_float_round_mode_32 0
		.amdhsa_float_round_mode_16_64 0
		.amdhsa_float_denorm_mode_32 3
		.amdhsa_float_denorm_mode_16_64 3
		.amdhsa_dx10_clamp 1
		.amdhsa_ieee_mode 1
		.amdhsa_fp16_overflow 0
		.amdhsa_tg_split 0
		.amdhsa_exception_fp_ieee_invalid_op 0
		.amdhsa_exception_fp_denorm_src 0
		.amdhsa_exception_fp_ieee_div_zero 0
		.amdhsa_exception_fp_ieee_overflow 0
		.amdhsa_exception_fp_ieee_underflow 0
		.amdhsa_exception_fp_ieee_inexact 0
		.amdhsa_exception_int_div_zero 0
	.end_amdhsa_kernel
	.section	.text._ZN7rocprim17ROCPRIM_400000_NS6detail17trampoline_kernelINS0_14default_configENS1_20scan_config_selectorIsEEZZNS1_9scan_implILNS1_25lookback_scan_determinismE0ELb1ELb1ES3_N6thrust23THRUST_200600_302600_NS6detail15normal_iteratorINS9_10device_ptrIsEEEESE_s11max_functorIsEsEEDaPvRmT3_T4_T5_mT6_P12ihipStream_tbENKUlT_T0_E_clISt17integral_constantIbLb1EEST_IbLb0EEEEDaSP_SQ_EUlSP_E0_NS1_11comp_targetILNS1_3genE10ELNS1_11target_archE1201ELNS1_3gpuE5ELNS1_3repE0EEENS1_30default_config_static_selectorELNS0_4arch9wavefront6targetE1EEEvT1_,"axG",@progbits,_ZN7rocprim17ROCPRIM_400000_NS6detail17trampoline_kernelINS0_14default_configENS1_20scan_config_selectorIsEEZZNS1_9scan_implILNS1_25lookback_scan_determinismE0ELb1ELb1ES3_N6thrust23THRUST_200600_302600_NS6detail15normal_iteratorINS9_10device_ptrIsEEEESE_s11max_functorIsEsEEDaPvRmT3_T4_T5_mT6_P12ihipStream_tbENKUlT_T0_E_clISt17integral_constantIbLb1EEST_IbLb0EEEEDaSP_SQ_EUlSP_E0_NS1_11comp_targetILNS1_3genE10ELNS1_11target_archE1201ELNS1_3gpuE5ELNS1_3repE0EEENS1_30default_config_static_selectorELNS0_4arch9wavefront6targetE1EEEvT1_,comdat
.Lfunc_end2968:
	.size	_ZN7rocprim17ROCPRIM_400000_NS6detail17trampoline_kernelINS0_14default_configENS1_20scan_config_selectorIsEEZZNS1_9scan_implILNS1_25lookback_scan_determinismE0ELb1ELb1ES3_N6thrust23THRUST_200600_302600_NS6detail15normal_iteratorINS9_10device_ptrIsEEEESE_s11max_functorIsEsEEDaPvRmT3_T4_T5_mT6_P12ihipStream_tbENKUlT_T0_E_clISt17integral_constantIbLb1EEST_IbLb0EEEEDaSP_SQ_EUlSP_E0_NS1_11comp_targetILNS1_3genE10ELNS1_11target_archE1201ELNS1_3gpuE5ELNS1_3repE0EEENS1_30default_config_static_selectorELNS0_4arch9wavefront6targetE1EEEvT1_, .Lfunc_end2968-_ZN7rocprim17ROCPRIM_400000_NS6detail17trampoline_kernelINS0_14default_configENS1_20scan_config_selectorIsEEZZNS1_9scan_implILNS1_25lookback_scan_determinismE0ELb1ELb1ES3_N6thrust23THRUST_200600_302600_NS6detail15normal_iteratorINS9_10device_ptrIsEEEESE_s11max_functorIsEsEEDaPvRmT3_T4_T5_mT6_P12ihipStream_tbENKUlT_T0_E_clISt17integral_constantIbLb1EEST_IbLb0EEEEDaSP_SQ_EUlSP_E0_NS1_11comp_targetILNS1_3genE10ELNS1_11target_archE1201ELNS1_3gpuE5ELNS1_3repE0EEENS1_30default_config_static_selectorELNS0_4arch9wavefront6targetE1EEEvT1_
                                        ; -- End function
	.section	.AMDGPU.csdata,"",@progbits
; Kernel info:
; codeLenInByte = 0
; NumSgprs: 4
; NumVgprs: 0
; NumAgprs: 0
; TotalNumVgprs: 0
; ScratchSize: 0
; MemoryBound: 0
; FloatMode: 240
; IeeeMode: 1
; LDSByteSize: 0 bytes/workgroup (compile time only)
; SGPRBlocks: 0
; VGPRBlocks: 0
; NumSGPRsForWavesPerEU: 4
; NumVGPRsForWavesPerEU: 1
; AccumOffset: 4
; Occupancy: 8
; WaveLimiterHint : 0
; COMPUTE_PGM_RSRC2:SCRATCH_EN: 0
; COMPUTE_PGM_RSRC2:USER_SGPR: 6
; COMPUTE_PGM_RSRC2:TRAP_HANDLER: 0
; COMPUTE_PGM_RSRC2:TGID_X_EN: 1
; COMPUTE_PGM_RSRC2:TGID_Y_EN: 0
; COMPUTE_PGM_RSRC2:TGID_Z_EN: 0
; COMPUTE_PGM_RSRC2:TIDIG_COMP_CNT: 0
; COMPUTE_PGM_RSRC3_GFX90A:ACCUM_OFFSET: 0
; COMPUTE_PGM_RSRC3_GFX90A:TG_SPLIT: 0
	.section	.text._ZN7rocprim17ROCPRIM_400000_NS6detail17trampoline_kernelINS0_14default_configENS1_20scan_config_selectorIsEEZZNS1_9scan_implILNS1_25lookback_scan_determinismE0ELb1ELb1ES3_N6thrust23THRUST_200600_302600_NS6detail15normal_iteratorINS9_10device_ptrIsEEEESE_s11max_functorIsEsEEDaPvRmT3_T4_T5_mT6_P12ihipStream_tbENKUlT_T0_E_clISt17integral_constantIbLb1EEST_IbLb0EEEEDaSP_SQ_EUlSP_E0_NS1_11comp_targetILNS1_3genE10ELNS1_11target_archE1200ELNS1_3gpuE4ELNS1_3repE0EEENS1_30default_config_static_selectorELNS0_4arch9wavefront6targetE1EEEvT1_,"axG",@progbits,_ZN7rocprim17ROCPRIM_400000_NS6detail17trampoline_kernelINS0_14default_configENS1_20scan_config_selectorIsEEZZNS1_9scan_implILNS1_25lookback_scan_determinismE0ELb1ELb1ES3_N6thrust23THRUST_200600_302600_NS6detail15normal_iteratorINS9_10device_ptrIsEEEESE_s11max_functorIsEsEEDaPvRmT3_T4_T5_mT6_P12ihipStream_tbENKUlT_T0_E_clISt17integral_constantIbLb1EEST_IbLb0EEEEDaSP_SQ_EUlSP_E0_NS1_11comp_targetILNS1_3genE10ELNS1_11target_archE1200ELNS1_3gpuE4ELNS1_3repE0EEENS1_30default_config_static_selectorELNS0_4arch9wavefront6targetE1EEEvT1_,comdat
	.protected	_ZN7rocprim17ROCPRIM_400000_NS6detail17trampoline_kernelINS0_14default_configENS1_20scan_config_selectorIsEEZZNS1_9scan_implILNS1_25lookback_scan_determinismE0ELb1ELb1ES3_N6thrust23THRUST_200600_302600_NS6detail15normal_iteratorINS9_10device_ptrIsEEEESE_s11max_functorIsEsEEDaPvRmT3_T4_T5_mT6_P12ihipStream_tbENKUlT_T0_E_clISt17integral_constantIbLb1EEST_IbLb0EEEEDaSP_SQ_EUlSP_E0_NS1_11comp_targetILNS1_3genE10ELNS1_11target_archE1200ELNS1_3gpuE4ELNS1_3repE0EEENS1_30default_config_static_selectorELNS0_4arch9wavefront6targetE1EEEvT1_ ; -- Begin function _ZN7rocprim17ROCPRIM_400000_NS6detail17trampoline_kernelINS0_14default_configENS1_20scan_config_selectorIsEEZZNS1_9scan_implILNS1_25lookback_scan_determinismE0ELb1ELb1ES3_N6thrust23THRUST_200600_302600_NS6detail15normal_iteratorINS9_10device_ptrIsEEEESE_s11max_functorIsEsEEDaPvRmT3_T4_T5_mT6_P12ihipStream_tbENKUlT_T0_E_clISt17integral_constantIbLb1EEST_IbLb0EEEEDaSP_SQ_EUlSP_E0_NS1_11comp_targetILNS1_3genE10ELNS1_11target_archE1200ELNS1_3gpuE4ELNS1_3repE0EEENS1_30default_config_static_selectorELNS0_4arch9wavefront6targetE1EEEvT1_
	.globl	_ZN7rocprim17ROCPRIM_400000_NS6detail17trampoline_kernelINS0_14default_configENS1_20scan_config_selectorIsEEZZNS1_9scan_implILNS1_25lookback_scan_determinismE0ELb1ELb1ES3_N6thrust23THRUST_200600_302600_NS6detail15normal_iteratorINS9_10device_ptrIsEEEESE_s11max_functorIsEsEEDaPvRmT3_T4_T5_mT6_P12ihipStream_tbENKUlT_T0_E_clISt17integral_constantIbLb1EEST_IbLb0EEEEDaSP_SQ_EUlSP_E0_NS1_11comp_targetILNS1_3genE10ELNS1_11target_archE1200ELNS1_3gpuE4ELNS1_3repE0EEENS1_30default_config_static_selectorELNS0_4arch9wavefront6targetE1EEEvT1_
	.p2align	8
	.type	_ZN7rocprim17ROCPRIM_400000_NS6detail17trampoline_kernelINS0_14default_configENS1_20scan_config_selectorIsEEZZNS1_9scan_implILNS1_25lookback_scan_determinismE0ELb1ELb1ES3_N6thrust23THRUST_200600_302600_NS6detail15normal_iteratorINS9_10device_ptrIsEEEESE_s11max_functorIsEsEEDaPvRmT3_T4_T5_mT6_P12ihipStream_tbENKUlT_T0_E_clISt17integral_constantIbLb1EEST_IbLb0EEEEDaSP_SQ_EUlSP_E0_NS1_11comp_targetILNS1_3genE10ELNS1_11target_archE1200ELNS1_3gpuE4ELNS1_3repE0EEENS1_30default_config_static_selectorELNS0_4arch9wavefront6targetE1EEEvT1_,@function
_ZN7rocprim17ROCPRIM_400000_NS6detail17trampoline_kernelINS0_14default_configENS1_20scan_config_selectorIsEEZZNS1_9scan_implILNS1_25lookback_scan_determinismE0ELb1ELb1ES3_N6thrust23THRUST_200600_302600_NS6detail15normal_iteratorINS9_10device_ptrIsEEEESE_s11max_functorIsEsEEDaPvRmT3_T4_T5_mT6_P12ihipStream_tbENKUlT_T0_E_clISt17integral_constantIbLb1EEST_IbLb0EEEEDaSP_SQ_EUlSP_E0_NS1_11comp_targetILNS1_3genE10ELNS1_11target_archE1200ELNS1_3gpuE4ELNS1_3repE0EEENS1_30default_config_static_selectorELNS0_4arch9wavefront6targetE1EEEvT1_: ; @_ZN7rocprim17ROCPRIM_400000_NS6detail17trampoline_kernelINS0_14default_configENS1_20scan_config_selectorIsEEZZNS1_9scan_implILNS1_25lookback_scan_determinismE0ELb1ELb1ES3_N6thrust23THRUST_200600_302600_NS6detail15normal_iteratorINS9_10device_ptrIsEEEESE_s11max_functorIsEsEEDaPvRmT3_T4_T5_mT6_P12ihipStream_tbENKUlT_T0_E_clISt17integral_constantIbLb1EEST_IbLb0EEEEDaSP_SQ_EUlSP_E0_NS1_11comp_targetILNS1_3genE10ELNS1_11target_archE1200ELNS1_3gpuE4ELNS1_3repE0EEENS1_30default_config_static_selectorELNS0_4arch9wavefront6targetE1EEEvT1_
; %bb.0:
	.section	.rodata,"a",@progbits
	.p2align	6, 0x0
	.amdhsa_kernel _ZN7rocprim17ROCPRIM_400000_NS6detail17trampoline_kernelINS0_14default_configENS1_20scan_config_selectorIsEEZZNS1_9scan_implILNS1_25lookback_scan_determinismE0ELb1ELb1ES3_N6thrust23THRUST_200600_302600_NS6detail15normal_iteratorINS9_10device_ptrIsEEEESE_s11max_functorIsEsEEDaPvRmT3_T4_T5_mT6_P12ihipStream_tbENKUlT_T0_E_clISt17integral_constantIbLb1EEST_IbLb0EEEEDaSP_SQ_EUlSP_E0_NS1_11comp_targetILNS1_3genE10ELNS1_11target_archE1200ELNS1_3gpuE4ELNS1_3repE0EEENS1_30default_config_static_selectorELNS0_4arch9wavefront6targetE1EEEvT1_
		.amdhsa_group_segment_fixed_size 0
		.amdhsa_private_segment_fixed_size 0
		.amdhsa_kernarg_size 32
		.amdhsa_user_sgpr_count 6
		.amdhsa_user_sgpr_private_segment_buffer 1
		.amdhsa_user_sgpr_dispatch_ptr 0
		.amdhsa_user_sgpr_queue_ptr 0
		.amdhsa_user_sgpr_kernarg_segment_ptr 1
		.amdhsa_user_sgpr_dispatch_id 0
		.amdhsa_user_sgpr_flat_scratch_init 0
		.amdhsa_user_sgpr_kernarg_preload_length 0
		.amdhsa_user_sgpr_kernarg_preload_offset 0
		.amdhsa_user_sgpr_private_segment_size 0
		.amdhsa_uses_dynamic_stack 0
		.amdhsa_system_sgpr_private_segment_wavefront_offset 0
		.amdhsa_system_sgpr_workgroup_id_x 1
		.amdhsa_system_sgpr_workgroup_id_y 0
		.amdhsa_system_sgpr_workgroup_id_z 0
		.amdhsa_system_sgpr_workgroup_info 0
		.amdhsa_system_vgpr_workitem_id 0
		.amdhsa_next_free_vgpr 1
		.amdhsa_next_free_sgpr 0
		.amdhsa_accum_offset 4
		.amdhsa_reserve_vcc 0
		.amdhsa_reserve_flat_scratch 0
		.amdhsa_float_round_mode_32 0
		.amdhsa_float_round_mode_16_64 0
		.amdhsa_float_denorm_mode_32 3
		.amdhsa_float_denorm_mode_16_64 3
		.amdhsa_dx10_clamp 1
		.amdhsa_ieee_mode 1
		.amdhsa_fp16_overflow 0
		.amdhsa_tg_split 0
		.amdhsa_exception_fp_ieee_invalid_op 0
		.amdhsa_exception_fp_denorm_src 0
		.amdhsa_exception_fp_ieee_div_zero 0
		.amdhsa_exception_fp_ieee_overflow 0
		.amdhsa_exception_fp_ieee_underflow 0
		.amdhsa_exception_fp_ieee_inexact 0
		.amdhsa_exception_int_div_zero 0
	.end_amdhsa_kernel
	.section	.text._ZN7rocprim17ROCPRIM_400000_NS6detail17trampoline_kernelINS0_14default_configENS1_20scan_config_selectorIsEEZZNS1_9scan_implILNS1_25lookback_scan_determinismE0ELb1ELb1ES3_N6thrust23THRUST_200600_302600_NS6detail15normal_iteratorINS9_10device_ptrIsEEEESE_s11max_functorIsEsEEDaPvRmT3_T4_T5_mT6_P12ihipStream_tbENKUlT_T0_E_clISt17integral_constantIbLb1EEST_IbLb0EEEEDaSP_SQ_EUlSP_E0_NS1_11comp_targetILNS1_3genE10ELNS1_11target_archE1200ELNS1_3gpuE4ELNS1_3repE0EEENS1_30default_config_static_selectorELNS0_4arch9wavefront6targetE1EEEvT1_,"axG",@progbits,_ZN7rocprim17ROCPRIM_400000_NS6detail17trampoline_kernelINS0_14default_configENS1_20scan_config_selectorIsEEZZNS1_9scan_implILNS1_25lookback_scan_determinismE0ELb1ELb1ES3_N6thrust23THRUST_200600_302600_NS6detail15normal_iteratorINS9_10device_ptrIsEEEESE_s11max_functorIsEsEEDaPvRmT3_T4_T5_mT6_P12ihipStream_tbENKUlT_T0_E_clISt17integral_constantIbLb1EEST_IbLb0EEEEDaSP_SQ_EUlSP_E0_NS1_11comp_targetILNS1_3genE10ELNS1_11target_archE1200ELNS1_3gpuE4ELNS1_3repE0EEENS1_30default_config_static_selectorELNS0_4arch9wavefront6targetE1EEEvT1_,comdat
.Lfunc_end2969:
	.size	_ZN7rocprim17ROCPRIM_400000_NS6detail17trampoline_kernelINS0_14default_configENS1_20scan_config_selectorIsEEZZNS1_9scan_implILNS1_25lookback_scan_determinismE0ELb1ELb1ES3_N6thrust23THRUST_200600_302600_NS6detail15normal_iteratorINS9_10device_ptrIsEEEESE_s11max_functorIsEsEEDaPvRmT3_T4_T5_mT6_P12ihipStream_tbENKUlT_T0_E_clISt17integral_constantIbLb1EEST_IbLb0EEEEDaSP_SQ_EUlSP_E0_NS1_11comp_targetILNS1_3genE10ELNS1_11target_archE1200ELNS1_3gpuE4ELNS1_3repE0EEENS1_30default_config_static_selectorELNS0_4arch9wavefront6targetE1EEEvT1_, .Lfunc_end2969-_ZN7rocprim17ROCPRIM_400000_NS6detail17trampoline_kernelINS0_14default_configENS1_20scan_config_selectorIsEEZZNS1_9scan_implILNS1_25lookback_scan_determinismE0ELb1ELb1ES3_N6thrust23THRUST_200600_302600_NS6detail15normal_iteratorINS9_10device_ptrIsEEEESE_s11max_functorIsEsEEDaPvRmT3_T4_T5_mT6_P12ihipStream_tbENKUlT_T0_E_clISt17integral_constantIbLb1EEST_IbLb0EEEEDaSP_SQ_EUlSP_E0_NS1_11comp_targetILNS1_3genE10ELNS1_11target_archE1200ELNS1_3gpuE4ELNS1_3repE0EEENS1_30default_config_static_selectorELNS0_4arch9wavefront6targetE1EEEvT1_
                                        ; -- End function
	.section	.AMDGPU.csdata,"",@progbits
; Kernel info:
; codeLenInByte = 0
; NumSgprs: 4
; NumVgprs: 0
; NumAgprs: 0
; TotalNumVgprs: 0
; ScratchSize: 0
; MemoryBound: 0
; FloatMode: 240
; IeeeMode: 1
; LDSByteSize: 0 bytes/workgroup (compile time only)
; SGPRBlocks: 0
; VGPRBlocks: 0
; NumSGPRsForWavesPerEU: 4
; NumVGPRsForWavesPerEU: 1
; AccumOffset: 4
; Occupancy: 8
; WaveLimiterHint : 0
; COMPUTE_PGM_RSRC2:SCRATCH_EN: 0
; COMPUTE_PGM_RSRC2:USER_SGPR: 6
; COMPUTE_PGM_RSRC2:TRAP_HANDLER: 0
; COMPUTE_PGM_RSRC2:TGID_X_EN: 1
; COMPUTE_PGM_RSRC2:TGID_Y_EN: 0
; COMPUTE_PGM_RSRC2:TGID_Z_EN: 0
; COMPUTE_PGM_RSRC2:TIDIG_COMP_CNT: 0
; COMPUTE_PGM_RSRC3_GFX90A:ACCUM_OFFSET: 0
; COMPUTE_PGM_RSRC3_GFX90A:TG_SPLIT: 0
	.section	.text._ZN7rocprim17ROCPRIM_400000_NS6detail17trampoline_kernelINS0_14default_configENS1_20scan_config_selectorIsEEZZNS1_9scan_implILNS1_25lookback_scan_determinismE0ELb1ELb1ES3_N6thrust23THRUST_200600_302600_NS6detail15normal_iteratorINS9_10device_ptrIsEEEESE_s11max_functorIsEsEEDaPvRmT3_T4_T5_mT6_P12ihipStream_tbENKUlT_T0_E_clISt17integral_constantIbLb1EEST_IbLb0EEEEDaSP_SQ_EUlSP_E0_NS1_11comp_targetILNS1_3genE9ELNS1_11target_archE1100ELNS1_3gpuE3ELNS1_3repE0EEENS1_30default_config_static_selectorELNS0_4arch9wavefront6targetE1EEEvT1_,"axG",@progbits,_ZN7rocprim17ROCPRIM_400000_NS6detail17trampoline_kernelINS0_14default_configENS1_20scan_config_selectorIsEEZZNS1_9scan_implILNS1_25lookback_scan_determinismE0ELb1ELb1ES3_N6thrust23THRUST_200600_302600_NS6detail15normal_iteratorINS9_10device_ptrIsEEEESE_s11max_functorIsEsEEDaPvRmT3_T4_T5_mT6_P12ihipStream_tbENKUlT_T0_E_clISt17integral_constantIbLb1EEST_IbLb0EEEEDaSP_SQ_EUlSP_E0_NS1_11comp_targetILNS1_3genE9ELNS1_11target_archE1100ELNS1_3gpuE3ELNS1_3repE0EEENS1_30default_config_static_selectorELNS0_4arch9wavefront6targetE1EEEvT1_,comdat
	.protected	_ZN7rocprim17ROCPRIM_400000_NS6detail17trampoline_kernelINS0_14default_configENS1_20scan_config_selectorIsEEZZNS1_9scan_implILNS1_25lookback_scan_determinismE0ELb1ELb1ES3_N6thrust23THRUST_200600_302600_NS6detail15normal_iteratorINS9_10device_ptrIsEEEESE_s11max_functorIsEsEEDaPvRmT3_T4_T5_mT6_P12ihipStream_tbENKUlT_T0_E_clISt17integral_constantIbLb1EEST_IbLb0EEEEDaSP_SQ_EUlSP_E0_NS1_11comp_targetILNS1_3genE9ELNS1_11target_archE1100ELNS1_3gpuE3ELNS1_3repE0EEENS1_30default_config_static_selectorELNS0_4arch9wavefront6targetE1EEEvT1_ ; -- Begin function _ZN7rocprim17ROCPRIM_400000_NS6detail17trampoline_kernelINS0_14default_configENS1_20scan_config_selectorIsEEZZNS1_9scan_implILNS1_25lookback_scan_determinismE0ELb1ELb1ES3_N6thrust23THRUST_200600_302600_NS6detail15normal_iteratorINS9_10device_ptrIsEEEESE_s11max_functorIsEsEEDaPvRmT3_T4_T5_mT6_P12ihipStream_tbENKUlT_T0_E_clISt17integral_constantIbLb1EEST_IbLb0EEEEDaSP_SQ_EUlSP_E0_NS1_11comp_targetILNS1_3genE9ELNS1_11target_archE1100ELNS1_3gpuE3ELNS1_3repE0EEENS1_30default_config_static_selectorELNS0_4arch9wavefront6targetE1EEEvT1_
	.globl	_ZN7rocprim17ROCPRIM_400000_NS6detail17trampoline_kernelINS0_14default_configENS1_20scan_config_selectorIsEEZZNS1_9scan_implILNS1_25lookback_scan_determinismE0ELb1ELb1ES3_N6thrust23THRUST_200600_302600_NS6detail15normal_iteratorINS9_10device_ptrIsEEEESE_s11max_functorIsEsEEDaPvRmT3_T4_T5_mT6_P12ihipStream_tbENKUlT_T0_E_clISt17integral_constantIbLb1EEST_IbLb0EEEEDaSP_SQ_EUlSP_E0_NS1_11comp_targetILNS1_3genE9ELNS1_11target_archE1100ELNS1_3gpuE3ELNS1_3repE0EEENS1_30default_config_static_selectorELNS0_4arch9wavefront6targetE1EEEvT1_
	.p2align	8
	.type	_ZN7rocprim17ROCPRIM_400000_NS6detail17trampoline_kernelINS0_14default_configENS1_20scan_config_selectorIsEEZZNS1_9scan_implILNS1_25lookback_scan_determinismE0ELb1ELb1ES3_N6thrust23THRUST_200600_302600_NS6detail15normal_iteratorINS9_10device_ptrIsEEEESE_s11max_functorIsEsEEDaPvRmT3_T4_T5_mT6_P12ihipStream_tbENKUlT_T0_E_clISt17integral_constantIbLb1EEST_IbLb0EEEEDaSP_SQ_EUlSP_E0_NS1_11comp_targetILNS1_3genE9ELNS1_11target_archE1100ELNS1_3gpuE3ELNS1_3repE0EEENS1_30default_config_static_selectorELNS0_4arch9wavefront6targetE1EEEvT1_,@function
_ZN7rocprim17ROCPRIM_400000_NS6detail17trampoline_kernelINS0_14default_configENS1_20scan_config_selectorIsEEZZNS1_9scan_implILNS1_25lookback_scan_determinismE0ELb1ELb1ES3_N6thrust23THRUST_200600_302600_NS6detail15normal_iteratorINS9_10device_ptrIsEEEESE_s11max_functorIsEsEEDaPvRmT3_T4_T5_mT6_P12ihipStream_tbENKUlT_T0_E_clISt17integral_constantIbLb1EEST_IbLb0EEEEDaSP_SQ_EUlSP_E0_NS1_11comp_targetILNS1_3genE9ELNS1_11target_archE1100ELNS1_3gpuE3ELNS1_3repE0EEENS1_30default_config_static_selectorELNS0_4arch9wavefront6targetE1EEEvT1_: ; @_ZN7rocprim17ROCPRIM_400000_NS6detail17trampoline_kernelINS0_14default_configENS1_20scan_config_selectorIsEEZZNS1_9scan_implILNS1_25lookback_scan_determinismE0ELb1ELb1ES3_N6thrust23THRUST_200600_302600_NS6detail15normal_iteratorINS9_10device_ptrIsEEEESE_s11max_functorIsEsEEDaPvRmT3_T4_T5_mT6_P12ihipStream_tbENKUlT_T0_E_clISt17integral_constantIbLb1EEST_IbLb0EEEEDaSP_SQ_EUlSP_E0_NS1_11comp_targetILNS1_3genE9ELNS1_11target_archE1100ELNS1_3gpuE3ELNS1_3repE0EEENS1_30default_config_static_selectorELNS0_4arch9wavefront6targetE1EEEvT1_
; %bb.0:
	.section	.rodata,"a",@progbits
	.p2align	6, 0x0
	.amdhsa_kernel _ZN7rocprim17ROCPRIM_400000_NS6detail17trampoline_kernelINS0_14default_configENS1_20scan_config_selectorIsEEZZNS1_9scan_implILNS1_25lookback_scan_determinismE0ELb1ELb1ES3_N6thrust23THRUST_200600_302600_NS6detail15normal_iteratorINS9_10device_ptrIsEEEESE_s11max_functorIsEsEEDaPvRmT3_T4_T5_mT6_P12ihipStream_tbENKUlT_T0_E_clISt17integral_constantIbLb1EEST_IbLb0EEEEDaSP_SQ_EUlSP_E0_NS1_11comp_targetILNS1_3genE9ELNS1_11target_archE1100ELNS1_3gpuE3ELNS1_3repE0EEENS1_30default_config_static_selectorELNS0_4arch9wavefront6targetE1EEEvT1_
		.amdhsa_group_segment_fixed_size 0
		.amdhsa_private_segment_fixed_size 0
		.amdhsa_kernarg_size 32
		.amdhsa_user_sgpr_count 6
		.amdhsa_user_sgpr_private_segment_buffer 1
		.amdhsa_user_sgpr_dispatch_ptr 0
		.amdhsa_user_sgpr_queue_ptr 0
		.amdhsa_user_sgpr_kernarg_segment_ptr 1
		.amdhsa_user_sgpr_dispatch_id 0
		.amdhsa_user_sgpr_flat_scratch_init 0
		.amdhsa_user_sgpr_kernarg_preload_length 0
		.amdhsa_user_sgpr_kernarg_preload_offset 0
		.amdhsa_user_sgpr_private_segment_size 0
		.amdhsa_uses_dynamic_stack 0
		.amdhsa_system_sgpr_private_segment_wavefront_offset 0
		.amdhsa_system_sgpr_workgroup_id_x 1
		.amdhsa_system_sgpr_workgroup_id_y 0
		.amdhsa_system_sgpr_workgroup_id_z 0
		.amdhsa_system_sgpr_workgroup_info 0
		.amdhsa_system_vgpr_workitem_id 0
		.amdhsa_next_free_vgpr 1
		.amdhsa_next_free_sgpr 0
		.amdhsa_accum_offset 4
		.amdhsa_reserve_vcc 0
		.amdhsa_reserve_flat_scratch 0
		.amdhsa_float_round_mode_32 0
		.amdhsa_float_round_mode_16_64 0
		.amdhsa_float_denorm_mode_32 3
		.amdhsa_float_denorm_mode_16_64 3
		.amdhsa_dx10_clamp 1
		.amdhsa_ieee_mode 1
		.amdhsa_fp16_overflow 0
		.amdhsa_tg_split 0
		.amdhsa_exception_fp_ieee_invalid_op 0
		.amdhsa_exception_fp_denorm_src 0
		.amdhsa_exception_fp_ieee_div_zero 0
		.amdhsa_exception_fp_ieee_overflow 0
		.amdhsa_exception_fp_ieee_underflow 0
		.amdhsa_exception_fp_ieee_inexact 0
		.amdhsa_exception_int_div_zero 0
	.end_amdhsa_kernel
	.section	.text._ZN7rocprim17ROCPRIM_400000_NS6detail17trampoline_kernelINS0_14default_configENS1_20scan_config_selectorIsEEZZNS1_9scan_implILNS1_25lookback_scan_determinismE0ELb1ELb1ES3_N6thrust23THRUST_200600_302600_NS6detail15normal_iteratorINS9_10device_ptrIsEEEESE_s11max_functorIsEsEEDaPvRmT3_T4_T5_mT6_P12ihipStream_tbENKUlT_T0_E_clISt17integral_constantIbLb1EEST_IbLb0EEEEDaSP_SQ_EUlSP_E0_NS1_11comp_targetILNS1_3genE9ELNS1_11target_archE1100ELNS1_3gpuE3ELNS1_3repE0EEENS1_30default_config_static_selectorELNS0_4arch9wavefront6targetE1EEEvT1_,"axG",@progbits,_ZN7rocprim17ROCPRIM_400000_NS6detail17trampoline_kernelINS0_14default_configENS1_20scan_config_selectorIsEEZZNS1_9scan_implILNS1_25lookback_scan_determinismE0ELb1ELb1ES3_N6thrust23THRUST_200600_302600_NS6detail15normal_iteratorINS9_10device_ptrIsEEEESE_s11max_functorIsEsEEDaPvRmT3_T4_T5_mT6_P12ihipStream_tbENKUlT_T0_E_clISt17integral_constantIbLb1EEST_IbLb0EEEEDaSP_SQ_EUlSP_E0_NS1_11comp_targetILNS1_3genE9ELNS1_11target_archE1100ELNS1_3gpuE3ELNS1_3repE0EEENS1_30default_config_static_selectorELNS0_4arch9wavefront6targetE1EEEvT1_,comdat
.Lfunc_end2970:
	.size	_ZN7rocprim17ROCPRIM_400000_NS6detail17trampoline_kernelINS0_14default_configENS1_20scan_config_selectorIsEEZZNS1_9scan_implILNS1_25lookback_scan_determinismE0ELb1ELb1ES3_N6thrust23THRUST_200600_302600_NS6detail15normal_iteratorINS9_10device_ptrIsEEEESE_s11max_functorIsEsEEDaPvRmT3_T4_T5_mT6_P12ihipStream_tbENKUlT_T0_E_clISt17integral_constantIbLb1EEST_IbLb0EEEEDaSP_SQ_EUlSP_E0_NS1_11comp_targetILNS1_3genE9ELNS1_11target_archE1100ELNS1_3gpuE3ELNS1_3repE0EEENS1_30default_config_static_selectorELNS0_4arch9wavefront6targetE1EEEvT1_, .Lfunc_end2970-_ZN7rocprim17ROCPRIM_400000_NS6detail17trampoline_kernelINS0_14default_configENS1_20scan_config_selectorIsEEZZNS1_9scan_implILNS1_25lookback_scan_determinismE0ELb1ELb1ES3_N6thrust23THRUST_200600_302600_NS6detail15normal_iteratorINS9_10device_ptrIsEEEESE_s11max_functorIsEsEEDaPvRmT3_T4_T5_mT6_P12ihipStream_tbENKUlT_T0_E_clISt17integral_constantIbLb1EEST_IbLb0EEEEDaSP_SQ_EUlSP_E0_NS1_11comp_targetILNS1_3genE9ELNS1_11target_archE1100ELNS1_3gpuE3ELNS1_3repE0EEENS1_30default_config_static_selectorELNS0_4arch9wavefront6targetE1EEEvT1_
                                        ; -- End function
	.section	.AMDGPU.csdata,"",@progbits
; Kernel info:
; codeLenInByte = 0
; NumSgprs: 4
; NumVgprs: 0
; NumAgprs: 0
; TotalNumVgprs: 0
; ScratchSize: 0
; MemoryBound: 0
; FloatMode: 240
; IeeeMode: 1
; LDSByteSize: 0 bytes/workgroup (compile time only)
; SGPRBlocks: 0
; VGPRBlocks: 0
; NumSGPRsForWavesPerEU: 4
; NumVGPRsForWavesPerEU: 1
; AccumOffset: 4
; Occupancy: 8
; WaveLimiterHint : 0
; COMPUTE_PGM_RSRC2:SCRATCH_EN: 0
; COMPUTE_PGM_RSRC2:USER_SGPR: 6
; COMPUTE_PGM_RSRC2:TRAP_HANDLER: 0
; COMPUTE_PGM_RSRC2:TGID_X_EN: 1
; COMPUTE_PGM_RSRC2:TGID_Y_EN: 0
; COMPUTE_PGM_RSRC2:TGID_Z_EN: 0
; COMPUTE_PGM_RSRC2:TIDIG_COMP_CNT: 0
; COMPUTE_PGM_RSRC3_GFX90A:ACCUM_OFFSET: 0
; COMPUTE_PGM_RSRC3_GFX90A:TG_SPLIT: 0
	.section	.text._ZN7rocprim17ROCPRIM_400000_NS6detail17trampoline_kernelINS0_14default_configENS1_20scan_config_selectorIsEEZZNS1_9scan_implILNS1_25lookback_scan_determinismE0ELb1ELb1ES3_N6thrust23THRUST_200600_302600_NS6detail15normal_iteratorINS9_10device_ptrIsEEEESE_s11max_functorIsEsEEDaPvRmT3_T4_T5_mT6_P12ihipStream_tbENKUlT_T0_E_clISt17integral_constantIbLb1EEST_IbLb0EEEEDaSP_SQ_EUlSP_E0_NS1_11comp_targetILNS1_3genE8ELNS1_11target_archE1030ELNS1_3gpuE2ELNS1_3repE0EEENS1_30default_config_static_selectorELNS0_4arch9wavefront6targetE1EEEvT1_,"axG",@progbits,_ZN7rocprim17ROCPRIM_400000_NS6detail17trampoline_kernelINS0_14default_configENS1_20scan_config_selectorIsEEZZNS1_9scan_implILNS1_25lookback_scan_determinismE0ELb1ELb1ES3_N6thrust23THRUST_200600_302600_NS6detail15normal_iteratorINS9_10device_ptrIsEEEESE_s11max_functorIsEsEEDaPvRmT3_T4_T5_mT6_P12ihipStream_tbENKUlT_T0_E_clISt17integral_constantIbLb1EEST_IbLb0EEEEDaSP_SQ_EUlSP_E0_NS1_11comp_targetILNS1_3genE8ELNS1_11target_archE1030ELNS1_3gpuE2ELNS1_3repE0EEENS1_30default_config_static_selectorELNS0_4arch9wavefront6targetE1EEEvT1_,comdat
	.protected	_ZN7rocprim17ROCPRIM_400000_NS6detail17trampoline_kernelINS0_14default_configENS1_20scan_config_selectorIsEEZZNS1_9scan_implILNS1_25lookback_scan_determinismE0ELb1ELb1ES3_N6thrust23THRUST_200600_302600_NS6detail15normal_iteratorINS9_10device_ptrIsEEEESE_s11max_functorIsEsEEDaPvRmT3_T4_T5_mT6_P12ihipStream_tbENKUlT_T0_E_clISt17integral_constantIbLb1EEST_IbLb0EEEEDaSP_SQ_EUlSP_E0_NS1_11comp_targetILNS1_3genE8ELNS1_11target_archE1030ELNS1_3gpuE2ELNS1_3repE0EEENS1_30default_config_static_selectorELNS0_4arch9wavefront6targetE1EEEvT1_ ; -- Begin function _ZN7rocprim17ROCPRIM_400000_NS6detail17trampoline_kernelINS0_14default_configENS1_20scan_config_selectorIsEEZZNS1_9scan_implILNS1_25lookback_scan_determinismE0ELb1ELb1ES3_N6thrust23THRUST_200600_302600_NS6detail15normal_iteratorINS9_10device_ptrIsEEEESE_s11max_functorIsEsEEDaPvRmT3_T4_T5_mT6_P12ihipStream_tbENKUlT_T0_E_clISt17integral_constantIbLb1EEST_IbLb0EEEEDaSP_SQ_EUlSP_E0_NS1_11comp_targetILNS1_3genE8ELNS1_11target_archE1030ELNS1_3gpuE2ELNS1_3repE0EEENS1_30default_config_static_selectorELNS0_4arch9wavefront6targetE1EEEvT1_
	.globl	_ZN7rocprim17ROCPRIM_400000_NS6detail17trampoline_kernelINS0_14default_configENS1_20scan_config_selectorIsEEZZNS1_9scan_implILNS1_25lookback_scan_determinismE0ELb1ELb1ES3_N6thrust23THRUST_200600_302600_NS6detail15normal_iteratorINS9_10device_ptrIsEEEESE_s11max_functorIsEsEEDaPvRmT3_T4_T5_mT6_P12ihipStream_tbENKUlT_T0_E_clISt17integral_constantIbLb1EEST_IbLb0EEEEDaSP_SQ_EUlSP_E0_NS1_11comp_targetILNS1_3genE8ELNS1_11target_archE1030ELNS1_3gpuE2ELNS1_3repE0EEENS1_30default_config_static_selectorELNS0_4arch9wavefront6targetE1EEEvT1_
	.p2align	8
	.type	_ZN7rocprim17ROCPRIM_400000_NS6detail17trampoline_kernelINS0_14default_configENS1_20scan_config_selectorIsEEZZNS1_9scan_implILNS1_25lookback_scan_determinismE0ELb1ELb1ES3_N6thrust23THRUST_200600_302600_NS6detail15normal_iteratorINS9_10device_ptrIsEEEESE_s11max_functorIsEsEEDaPvRmT3_T4_T5_mT6_P12ihipStream_tbENKUlT_T0_E_clISt17integral_constantIbLb1EEST_IbLb0EEEEDaSP_SQ_EUlSP_E0_NS1_11comp_targetILNS1_3genE8ELNS1_11target_archE1030ELNS1_3gpuE2ELNS1_3repE0EEENS1_30default_config_static_selectorELNS0_4arch9wavefront6targetE1EEEvT1_,@function
_ZN7rocprim17ROCPRIM_400000_NS6detail17trampoline_kernelINS0_14default_configENS1_20scan_config_selectorIsEEZZNS1_9scan_implILNS1_25lookback_scan_determinismE0ELb1ELb1ES3_N6thrust23THRUST_200600_302600_NS6detail15normal_iteratorINS9_10device_ptrIsEEEESE_s11max_functorIsEsEEDaPvRmT3_T4_T5_mT6_P12ihipStream_tbENKUlT_T0_E_clISt17integral_constantIbLb1EEST_IbLb0EEEEDaSP_SQ_EUlSP_E0_NS1_11comp_targetILNS1_3genE8ELNS1_11target_archE1030ELNS1_3gpuE2ELNS1_3repE0EEENS1_30default_config_static_selectorELNS0_4arch9wavefront6targetE1EEEvT1_: ; @_ZN7rocprim17ROCPRIM_400000_NS6detail17trampoline_kernelINS0_14default_configENS1_20scan_config_selectorIsEEZZNS1_9scan_implILNS1_25lookback_scan_determinismE0ELb1ELb1ES3_N6thrust23THRUST_200600_302600_NS6detail15normal_iteratorINS9_10device_ptrIsEEEESE_s11max_functorIsEsEEDaPvRmT3_T4_T5_mT6_P12ihipStream_tbENKUlT_T0_E_clISt17integral_constantIbLb1EEST_IbLb0EEEEDaSP_SQ_EUlSP_E0_NS1_11comp_targetILNS1_3genE8ELNS1_11target_archE1030ELNS1_3gpuE2ELNS1_3repE0EEENS1_30default_config_static_selectorELNS0_4arch9wavefront6targetE1EEEvT1_
; %bb.0:
	.section	.rodata,"a",@progbits
	.p2align	6, 0x0
	.amdhsa_kernel _ZN7rocprim17ROCPRIM_400000_NS6detail17trampoline_kernelINS0_14default_configENS1_20scan_config_selectorIsEEZZNS1_9scan_implILNS1_25lookback_scan_determinismE0ELb1ELb1ES3_N6thrust23THRUST_200600_302600_NS6detail15normal_iteratorINS9_10device_ptrIsEEEESE_s11max_functorIsEsEEDaPvRmT3_T4_T5_mT6_P12ihipStream_tbENKUlT_T0_E_clISt17integral_constantIbLb1EEST_IbLb0EEEEDaSP_SQ_EUlSP_E0_NS1_11comp_targetILNS1_3genE8ELNS1_11target_archE1030ELNS1_3gpuE2ELNS1_3repE0EEENS1_30default_config_static_selectorELNS0_4arch9wavefront6targetE1EEEvT1_
		.amdhsa_group_segment_fixed_size 0
		.amdhsa_private_segment_fixed_size 0
		.amdhsa_kernarg_size 32
		.amdhsa_user_sgpr_count 6
		.amdhsa_user_sgpr_private_segment_buffer 1
		.amdhsa_user_sgpr_dispatch_ptr 0
		.amdhsa_user_sgpr_queue_ptr 0
		.amdhsa_user_sgpr_kernarg_segment_ptr 1
		.amdhsa_user_sgpr_dispatch_id 0
		.amdhsa_user_sgpr_flat_scratch_init 0
		.amdhsa_user_sgpr_kernarg_preload_length 0
		.amdhsa_user_sgpr_kernarg_preload_offset 0
		.amdhsa_user_sgpr_private_segment_size 0
		.amdhsa_uses_dynamic_stack 0
		.amdhsa_system_sgpr_private_segment_wavefront_offset 0
		.amdhsa_system_sgpr_workgroup_id_x 1
		.amdhsa_system_sgpr_workgroup_id_y 0
		.amdhsa_system_sgpr_workgroup_id_z 0
		.amdhsa_system_sgpr_workgroup_info 0
		.amdhsa_system_vgpr_workitem_id 0
		.amdhsa_next_free_vgpr 1
		.amdhsa_next_free_sgpr 0
		.amdhsa_accum_offset 4
		.amdhsa_reserve_vcc 0
		.amdhsa_reserve_flat_scratch 0
		.amdhsa_float_round_mode_32 0
		.amdhsa_float_round_mode_16_64 0
		.amdhsa_float_denorm_mode_32 3
		.amdhsa_float_denorm_mode_16_64 3
		.amdhsa_dx10_clamp 1
		.amdhsa_ieee_mode 1
		.amdhsa_fp16_overflow 0
		.amdhsa_tg_split 0
		.amdhsa_exception_fp_ieee_invalid_op 0
		.amdhsa_exception_fp_denorm_src 0
		.amdhsa_exception_fp_ieee_div_zero 0
		.amdhsa_exception_fp_ieee_overflow 0
		.amdhsa_exception_fp_ieee_underflow 0
		.amdhsa_exception_fp_ieee_inexact 0
		.amdhsa_exception_int_div_zero 0
	.end_amdhsa_kernel
	.section	.text._ZN7rocprim17ROCPRIM_400000_NS6detail17trampoline_kernelINS0_14default_configENS1_20scan_config_selectorIsEEZZNS1_9scan_implILNS1_25lookback_scan_determinismE0ELb1ELb1ES3_N6thrust23THRUST_200600_302600_NS6detail15normal_iteratorINS9_10device_ptrIsEEEESE_s11max_functorIsEsEEDaPvRmT3_T4_T5_mT6_P12ihipStream_tbENKUlT_T0_E_clISt17integral_constantIbLb1EEST_IbLb0EEEEDaSP_SQ_EUlSP_E0_NS1_11comp_targetILNS1_3genE8ELNS1_11target_archE1030ELNS1_3gpuE2ELNS1_3repE0EEENS1_30default_config_static_selectorELNS0_4arch9wavefront6targetE1EEEvT1_,"axG",@progbits,_ZN7rocprim17ROCPRIM_400000_NS6detail17trampoline_kernelINS0_14default_configENS1_20scan_config_selectorIsEEZZNS1_9scan_implILNS1_25lookback_scan_determinismE0ELb1ELb1ES3_N6thrust23THRUST_200600_302600_NS6detail15normal_iteratorINS9_10device_ptrIsEEEESE_s11max_functorIsEsEEDaPvRmT3_T4_T5_mT6_P12ihipStream_tbENKUlT_T0_E_clISt17integral_constantIbLb1EEST_IbLb0EEEEDaSP_SQ_EUlSP_E0_NS1_11comp_targetILNS1_3genE8ELNS1_11target_archE1030ELNS1_3gpuE2ELNS1_3repE0EEENS1_30default_config_static_selectorELNS0_4arch9wavefront6targetE1EEEvT1_,comdat
.Lfunc_end2971:
	.size	_ZN7rocprim17ROCPRIM_400000_NS6detail17trampoline_kernelINS0_14default_configENS1_20scan_config_selectorIsEEZZNS1_9scan_implILNS1_25lookback_scan_determinismE0ELb1ELb1ES3_N6thrust23THRUST_200600_302600_NS6detail15normal_iteratorINS9_10device_ptrIsEEEESE_s11max_functorIsEsEEDaPvRmT3_T4_T5_mT6_P12ihipStream_tbENKUlT_T0_E_clISt17integral_constantIbLb1EEST_IbLb0EEEEDaSP_SQ_EUlSP_E0_NS1_11comp_targetILNS1_3genE8ELNS1_11target_archE1030ELNS1_3gpuE2ELNS1_3repE0EEENS1_30default_config_static_selectorELNS0_4arch9wavefront6targetE1EEEvT1_, .Lfunc_end2971-_ZN7rocprim17ROCPRIM_400000_NS6detail17trampoline_kernelINS0_14default_configENS1_20scan_config_selectorIsEEZZNS1_9scan_implILNS1_25lookback_scan_determinismE0ELb1ELb1ES3_N6thrust23THRUST_200600_302600_NS6detail15normal_iteratorINS9_10device_ptrIsEEEESE_s11max_functorIsEsEEDaPvRmT3_T4_T5_mT6_P12ihipStream_tbENKUlT_T0_E_clISt17integral_constantIbLb1EEST_IbLb0EEEEDaSP_SQ_EUlSP_E0_NS1_11comp_targetILNS1_3genE8ELNS1_11target_archE1030ELNS1_3gpuE2ELNS1_3repE0EEENS1_30default_config_static_selectorELNS0_4arch9wavefront6targetE1EEEvT1_
                                        ; -- End function
	.section	.AMDGPU.csdata,"",@progbits
; Kernel info:
; codeLenInByte = 0
; NumSgprs: 4
; NumVgprs: 0
; NumAgprs: 0
; TotalNumVgprs: 0
; ScratchSize: 0
; MemoryBound: 0
; FloatMode: 240
; IeeeMode: 1
; LDSByteSize: 0 bytes/workgroup (compile time only)
; SGPRBlocks: 0
; VGPRBlocks: 0
; NumSGPRsForWavesPerEU: 4
; NumVGPRsForWavesPerEU: 1
; AccumOffset: 4
; Occupancy: 8
; WaveLimiterHint : 0
; COMPUTE_PGM_RSRC2:SCRATCH_EN: 0
; COMPUTE_PGM_RSRC2:USER_SGPR: 6
; COMPUTE_PGM_RSRC2:TRAP_HANDLER: 0
; COMPUTE_PGM_RSRC2:TGID_X_EN: 1
; COMPUTE_PGM_RSRC2:TGID_Y_EN: 0
; COMPUTE_PGM_RSRC2:TGID_Z_EN: 0
; COMPUTE_PGM_RSRC2:TIDIG_COMP_CNT: 0
; COMPUTE_PGM_RSRC3_GFX90A:ACCUM_OFFSET: 0
; COMPUTE_PGM_RSRC3_GFX90A:TG_SPLIT: 0
	.section	.text._ZN7rocprim17ROCPRIM_400000_NS6detail17trampoline_kernelINS0_14default_configENS1_20scan_config_selectorIsEEZZNS1_9scan_implILNS1_25lookback_scan_determinismE0ELb1ELb1ES3_N6thrust23THRUST_200600_302600_NS6detail15normal_iteratorINS9_10device_ptrIsEEEESE_s11max_functorIsEsEEDaPvRmT3_T4_T5_mT6_P12ihipStream_tbENKUlT_T0_E_clISt17integral_constantIbLb0EEST_IbLb1EEEEDaSP_SQ_EUlSP_E_NS1_11comp_targetILNS1_3genE0ELNS1_11target_archE4294967295ELNS1_3gpuE0ELNS1_3repE0EEENS1_30default_config_static_selectorELNS0_4arch9wavefront6targetE1EEEvT1_,"axG",@progbits,_ZN7rocprim17ROCPRIM_400000_NS6detail17trampoline_kernelINS0_14default_configENS1_20scan_config_selectorIsEEZZNS1_9scan_implILNS1_25lookback_scan_determinismE0ELb1ELb1ES3_N6thrust23THRUST_200600_302600_NS6detail15normal_iteratorINS9_10device_ptrIsEEEESE_s11max_functorIsEsEEDaPvRmT3_T4_T5_mT6_P12ihipStream_tbENKUlT_T0_E_clISt17integral_constantIbLb0EEST_IbLb1EEEEDaSP_SQ_EUlSP_E_NS1_11comp_targetILNS1_3genE0ELNS1_11target_archE4294967295ELNS1_3gpuE0ELNS1_3repE0EEENS1_30default_config_static_selectorELNS0_4arch9wavefront6targetE1EEEvT1_,comdat
	.protected	_ZN7rocprim17ROCPRIM_400000_NS6detail17trampoline_kernelINS0_14default_configENS1_20scan_config_selectorIsEEZZNS1_9scan_implILNS1_25lookback_scan_determinismE0ELb1ELb1ES3_N6thrust23THRUST_200600_302600_NS6detail15normal_iteratorINS9_10device_ptrIsEEEESE_s11max_functorIsEsEEDaPvRmT3_T4_T5_mT6_P12ihipStream_tbENKUlT_T0_E_clISt17integral_constantIbLb0EEST_IbLb1EEEEDaSP_SQ_EUlSP_E_NS1_11comp_targetILNS1_3genE0ELNS1_11target_archE4294967295ELNS1_3gpuE0ELNS1_3repE0EEENS1_30default_config_static_selectorELNS0_4arch9wavefront6targetE1EEEvT1_ ; -- Begin function _ZN7rocprim17ROCPRIM_400000_NS6detail17trampoline_kernelINS0_14default_configENS1_20scan_config_selectorIsEEZZNS1_9scan_implILNS1_25lookback_scan_determinismE0ELb1ELb1ES3_N6thrust23THRUST_200600_302600_NS6detail15normal_iteratorINS9_10device_ptrIsEEEESE_s11max_functorIsEsEEDaPvRmT3_T4_T5_mT6_P12ihipStream_tbENKUlT_T0_E_clISt17integral_constantIbLb0EEST_IbLb1EEEEDaSP_SQ_EUlSP_E_NS1_11comp_targetILNS1_3genE0ELNS1_11target_archE4294967295ELNS1_3gpuE0ELNS1_3repE0EEENS1_30default_config_static_selectorELNS0_4arch9wavefront6targetE1EEEvT1_
	.globl	_ZN7rocprim17ROCPRIM_400000_NS6detail17trampoline_kernelINS0_14default_configENS1_20scan_config_selectorIsEEZZNS1_9scan_implILNS1_25lookback_scan_determinismE0ELb1ELb1ES3_N6thrust23THRUST_200600_302600_NS6detail15normal_iteratorINS9_10device_ptrIsEEEESE_s11max_functorIsEsEEDaPvRmT3_T4_T5_mT6_P12ihipStream_tbENKUlT_T0_E_clISt17integral_constantIbLb0EEST_IbLb1EEEEDaSP_SQ_EUlSP_E_NS1_11comp_targetILNS1_3genE0ELNS1_11target_archE4294967295ELNS1_3gpuE0ELNS1_3repE0EEENS1_30default_config_static_selectorELNS0_4arch9wavefront6targetE1EEEvT1_
	.p2align	8
	.type	_ZN7rocprim17ROCPRIM_400000_NS6detail17trampoline_kernelINS0_14default_configENS1_20scan_config_selectorIsEEZZNS1_9scan_implILNS1_25lookback_scan_determinismE0ELb1ELb1ES3_N6thrust23THRUST_200600_302600_NS6detail15normal_iteratorINS9_10device_ptrIsEEEESE_s11max_functorIsEsEEDaPvRmT3_T4_T5_mT6_P12ihipStream_tbENKUlT_T0_E_clISt17integral_constantIbLb0EEST_IbLb1EEEEDaSP_SQ_EUlSP_E_NS1_11comp_targetILNS1_3genE0ELNS1_11target_archE4294967295ELNS1_3gpuE0ELNS1_3repE0EEENS1_30default_config_static_selectorELNS0_4arch9wavefront6targetE1EEEvT1_,@function
_ZN7rocprim17ROCPRIM_400000_NS6detail17trampoline_kernelINS0_14default_configENS1_20scan_config_selectorIsEEZZNS1_9scan_implILNS1_25lookback_scan_determinismE0ELb1ELb1ES3_N6thrust23THRUST_200600_302600_NS6detail15normal_iteratorINS9_10device_ptrIsEEEESE_s11max_functorIsEsEEDaPvRmT3_T4_T5_mT6_P12ihipStream_tbENKUlT_T0_E_clISt17integral_constantIbLb0EEST_IbLb1EEEEDaSP_SQ_EUlSP_E_NS1_11comp_targetILNS1_3genE0ELNS1_11target_archE4294967295ELNS1_3gpuE0ELNS1_3repE0EEENS1_30default_config_static_selectorELNS0_4arch9wavefront6targetE1EEEvT1_: ; @_ZN7rocprim17ROCPRIM_400000_NS6detail17trampoline_kernelINS0_14default_configENS1_20scan_config_selectorIsEEZZNS1_9scan_implILNS1_25lookback_scan_determinismE0ELb1ELb1ES3_N6thrust23THRUST_200600_302600_NS6detail15normal_iteratorINS9_10device_ptrIsEEEESE_s11max_functorIsEsEEDaPvRmT3_T4_T5_mT6_P12ihipStream_tbENKUlT_T0_E_clISt17integral_constantIbLb0EEST_IbLb1EEEEDaSP_SQ_EUlSP_E_NS1_11comp_targetILNS1_3genE0ELNS1_11target_archE4294967295ELNS1_3gpuE0ELNS1_3repE0EEENS1_30default_config_static_selectorELNS0_4arch9wavefront6targetE1EEEvT1_
; %bb.0:
	.section	.rodata,"a",@progbits
	.p2align	6, 0x0
	.amdhsa_kernel _ZN7rocprim17ROCPRIM_400000_NS6detail17trampoline_kernelINS0_14default_configENS1_20scan_config_selectorIsEEZZNS1_9scan_implILNS1_25lookback_scan_determinismE0ELb1ELb1ES3_N6thrust23THRUST_200600_302600_NS6detail15normal_iteratorINS9_10device_ptrIsEEEESE_s11max_functorIsEsEEDaPvRmT3_T4_T5_mT6_P12ihipStream_tbENKUlT_T0_E_clISt17integral_constantIbLb0EEST_IbLb1EEEEDaSP_SQ_EUlSP_E_NS1_11comp_targetILNS1_3genE0ELNS1_11target_archE4294967295ELNS1_3gpuE0ELNS1_3repE0EEENS1_30default_config_static_selectorELNS0_4arch9wavefront6targetE1EEEvT1_
		.amdhsa_group_segment_fixed_size 0
		.amdhsa_private_segment_fixed_size 0
		.amdhsa_kernarg_size 96
		.amdhsa_user_sgpr_count 6
		.amdhsa_user_sgpr_private_segment_buffer 1
		.amdhsa_user_sgpr_dispatch_ptr 0
		.amdhsa_user_sgpr_queue_ptr 0
		.amdhsa_user_sgpr_kernarg_segment_ptr 1
		.amdhsa_user_sgpr_dispatch_id 0
		.amdhsa_user_sgpr_flat_scratch_init 0
		.amdhsa_user_sgpr_kernarg_preload_length 0
		.amdhsa_user_sgpr_kernarg_preload_offset 0
		.amdhsa_user_sgpr_private_segment_size 0
		.amdhsa_uses_dynamic_stack 0
		.amdhsa_system_sgpr_private_segment_wavefront_offset 0
		.amdhsa_system_sgpr_workgroup_id_x 1
		.amdhsa_system_sgpr_workgroup_id_y 0
		.amdhsa_system_sgpr_workgroup_id_z 0
		.amdhsa_system_sgpr_workgroup_info 0
		.amdhsa_system_vgpr_workitem_id 0
		.amdhsa_next_free_vgpr 1
		.amdhsa_next_free_sgpr 0
		.amdhsa_accum_offset 4
		.amdhsa_reserve_vcc 0
		.amdhsa_reserve_flat_scratch 0
		.amdhsa_float_round_mode_32 0
		.amdhsa_float_round_mode_16_64 0
		.amdhsa_float_denorm_mode_32 3
		.amdhsa_float_denorm_mode_16_64 3
		.amdhsa_dx10_clamp 1
		.amdhsa_ieee_mode 1
		.amdhsa_fp16_overflow 0
		.amdhsa_tg_split 0
		.amdhsa_exception_fp_ieee_invalid_op 0
		.amdhsa_exception_fp_denorm_src 0
		.amdhsa_exception_fp_ieee_div_zero 0
		.amdhsa_exception_fp_ieee_overflow 0
		.amdhsa_exception_fp_ieee_underflow 0
		.amdhsa_exception_fp_ieee_inexact 0
		.amdhsa_exception_int_div_zero 0
	.end_amdhsa_kernel
	.section	.text._ZN7rocprim17ROCPRIM_400000_NS6detail17trampoline_kernelINS0_14default_configENS1_20scan_config_selectorIsEEZZNS1_9scan_implILNS1_25lookback_scan_determinismE0ELb1ELb1ES3_N6thrust23THRUST_200600_302600_NS6detail15normal_iteratorINS9_10device_ptrIsEEEESE_s11max_functorIsEsEEDaPvRmT3_T4_T5_mT6_P12ihipStream_tbENKUlT_T0_E_clISt17integral_constantIbLb0EEST_IbLb1EEEEDaSP_SQ_EUlSP_E_NS1_11comp_targetILNS1_3genE0ELNS1_11target_archE4294967295ELNS1_3gpuE0ELNS1_3repE0EEENS1_30default_config_static_selectorELNS0_4arch9wavefront6targetE1EEEvT1_,"axG",@progbits,_ZN7rocprim17ROCPRIM_400000_NS6detail17trampoline_kernelINS0_14default_configENS1_20scan_config_selectorIsEEZZNS1_9scan_implILNS1_25lookback_scan_determinismE0ELb1ELb1ES3_N6thrust23THRUST_200600_302600_NS6detail15normal_iteratorINS9_10device_ptrIsEEEESE_s11max_functorIsEsEEDaPvRmT3_T4_T5_mT6_P12ihipStream_tbENKUlT_T0_E_clISt17integral_constantIbLb0EEST_IbLb1EEEEDaSP_SQ_EUlSP_E_NS1_11comp_targetILNS1_3genE0ELNS1_11target_archE4294967295ELNS1_3gpuE0ELNS1_3repE0EEENS1_30default_config_static_selectorELNS0_4arch9wavefront6targetE1EEEvT1_,comdat
.Lfunc_end2972:
	.size	_ZN7rocprim17ROCPRIM_400000_NS6detail17trampoline_kernelINS0_14default_configENS1_20scan_config_selectorIsEEZZNS1_9scan_implILNS1_25lookback_scan_determinismE0ELb1ELb1ES3_N6thrust23THRUST_200600_302600_NS6detail15normal_iteratorINS9_10device_ptrIsEEEESE_s11max_functorIsEsEEDaPvRmT3_T4_T5_mT6_P12ihipStream_tbENKUlT_T0_E_clISt17integral_constantIbLb0EEST_IbLb1EEEEDaSP_SQ_EUlSP_E_NS1_11comp_targetILNS1_3genE0ELNS1_11target_archE4294967295ELNS1_3gpuE0ELNS1_3repE0EEENS1_30default_config_static_selectorELNS0_4arch9wavefront6targetE1EEEvT1_, .Lfunc_end2972-_ZN7rocprim17ROCPRIM_400000_NS6detail17trampoline_kernelINS0_14default_configENS1_20scan_config_selectorIsEEZZNS1_9scan_implILNS1_25lookback_scan_determinismE0ELb1ELb1ES3_N6thrust23THRUST_200600_302600_NS6detail15normal_iteratorINS9_10device_ptrIsEEEESE_s11max_functorIsEsEEDaPvRmT3_T4_T5_mT6_P12ihipStream_tbENKUlT_T0_E_clISt17integral_constantIbLb0EEST_IbLb1EEEEDaSP_SQ_EUlSP_E_NS1_11comp_targetILNS1_3genE0ELNS1_11target_archE4294967295ELNS1_3gpuE0ELNS1_3repE0EEENS1_30default_config_static_selectorELNS0_4arch9wavefront6targetE1EEEvT1_
                                        ; -- End function
	.section	.AMDGPU.csdata,"",@progbits
; Kernel info:
; codeLenInByte = 0
; NumSgprs: 4
; NumVgprs: 0
; NumAgprs: 0
; TotalNumVgprs: 0
; ScratchSize: 0
; MemoryBound: 0
; FloatMode: 240
; IeeeMode: 1
; LDSByteSize: 0 bytes/workgroup (compile time only)
; SGPRBlocks: 0
; VGPRBlocks: 0
; NumSGPRsForWavesPerEU: 4
; NumVGPRsForWavesPerEU: 1
; AccumOffset: 4
; Occupancy: 8
; WaveLimiterHint : 0
; COMPUTE_PGM_RSRC2:SCRATCH_EN: 0
; COMPUTE_PGM_RSRC2:USER_SGPR: 6
; COMPUTE_PGM_RSRC2:TRAP_HANDLER: 0
; COMPUTE_PGM_RSRC2:TGID_X_EN: 1
; COMPUTE_PGM_RSRC2:TGID_Y_EN: 0
; COMPUTE_PGM_RSRC2:TGID_Z_EN: 0
; COMPUTE_PGM_RSRC2:TIDIG_COMP_CNT: 0
; COMPUTE_PGM_RSRC3_GFX90A:ACCUM_OFFSET: 0
; COMPUTE_PGM_RSRC3_GFX90A:TG_SPLIT: 0
	.section	.text._ZN7rocprim17ROCPRIM_400000_NS6detail17trampoline_kernelINS0_14default_configENS1_20scan_config_selectorIsEEZZNS1_9scan_implILNS1_25lookback_scan_determinismE0ELb1ELb1ES3_N6thrust23THRUST_200600_302600_NS6detail15normal_iteratorINS9_10device_ptrIsEEEESE_s11max_functorIsEsEEDaPvRmT3_T4_T5_mT6_P12ihipStream_tbENKUlT_T0_E_clISt17integral_constantIbLb0EEST_IbLb1EEEEDaSP_SQ_EUlSP_E_NS1_11comp_targetILNS1_3genE5ELNS1_11target_archE942ELNS1_3gpuE9ELNS1_3repE0EEENS1_30default_config_static_selectorELNS0_4arch9wavefront6targetE1EEEvT1_,"axG",@progbits,_ZN7rocprim17ROCPRIM_400000_NS6detail17trampoline_kernelINS0_14default_configENS1_20scan_config_selectorIsEEZZNS1_9scan_implILNS1_25lookback_scan_determinismE0ELb1ELb1ES3_N6thrust23THRUST_200600_302600_NS6detail15normal_iteratorINS9_10device_ptrIsEEEESE_s11max_functorIsEsEEDaPvRmT3_T4_T5_mT6_P12ihipStream_tbENKUlT_T0_E_clISt17integral_constantIbLb0EEST_IbLb1EEEEDaSP_SQ_EUlSP_E_NS1_11comp_targetILNS1_3genE5ELNS1_11target_archE942ELNS1_3gpuE9ELNS1_3repE0EEENS1_30default_config_static_selectorELNS0_4arch9wavefront6targetE1EEEvT1_,comdat
	.protected	_ZN7rocprim17ROCPRIM_400000_NS6detail17trampoline_kernelINS0_14default_configENS1_20scan_config_selectorIsEEZZNS1_9scan_implILNS1_25lookback_scan_determinismE0ELb1ELb1ES3_N6thrust23THRUST_200600_302600_NS6detail15normal_iteratorINS9_10device_ptrIsEEEESE_s11max_functorIsEsEEDaPvRmT3_T4_T5_mT6_P12ihipStream_tbENKUlT_T0_E_clISt17integral_constantIbLb0EEST_IbLb1EEEEDaSP_SQ_EUlSP_E_NS1_11comp_targetILNS1_3genE5ELNS1_11target_archE942ELNS1_3gpuE9ELNS1_3repE0EEENS1_30default_config_static_selectorELNS0_4arch9wavefront6targetE1EEEvT1_ ; -- Begin function _ZN7rocprim17ROCPRIM_400000_NS6detail17trampoline_kernelINS0_14default_configENS1_20scan_config_selectorIsEEZZNS1_9scan_implILNS1_25lookback_scan_determinismE0ELb1ELb1ES3_N6thrust23THRUST_200600_302600_NS6detail15normal_iteratorINS9_10device_ptrIsEEEESE_s11max_functorIsEsEEDaPvRmT3_T4_T5_mT6_P12ihipStream_tbENKUlT_T0_E_clISt17integral_constantIbLb0EEST_IbLb1EEEEDaSP_SQ_EUlSP_E_NS1_11comp_targetILNS1_3genE5ELNS1_11target_archE942ELNS1_3gpuE9ELNS1_3repE0EEENS1_30default_config_static_selectorELNS0_4arch9wavefront6targetE1EEEvT1_
	.globl	_ZN7rocprim17ROCPRIM_400000_NS6detail17trampoline_kernelINS0_14default_configENS1_20scan_config_selectorIsEEZZNS1_9scan_implILNS1_25lookback_scan_determinismE0ELb1ELb1ES3_N6thrust23THRUST_200600_302600_NS6detail15normal_iteratorINS9_10device_ptrIsEEEESE_s11max_functorIsEsEEDaPvRmT3_T4_T5_mT6_P12ihipStream_tbENKUlT_T0_E_clISt17integral_constantIbLb0EEST_IbLb1EEEEDaSP_SQ_EUlSP_E_NS1_11comp_targetILNS1_3genE5ELNS1_11target_archE942ELNS1_3gpuE9ELNS1_3repE0EEENS1_30default_config_static_selectorELNS0_4arch9wavefront6targetE1EEEvT1_
	.p2align	8
	.type	_ZN7rocprim17ROCPRIM_400000_NS6detail17trampoline_kernelINS0_14default_configENS1_20scan_config_selectorIsEEZZNS1_9scan_implILNS1_25lookback_scan_determinismE0ELb1ELb1ES3_N6thrust23THRUST_200600_302600_NS6detail15normal_iteratorINS9_10device_ptrIsEEEESE_s11max_functorIsEsEEDaPvRmT3_T4_T5_mT6_P12ihipStream_tbENKUlT_T0_E_clISt17integral_constantIbLb0EEST_IbLb1EEEEDaSP_SQ_EUlSP_E_NS1_11comp_targetILNS1_3genE5ELNS1_11target_archE942ELNS1_3gpuE9ELNS1_3repE0EEENS1_30default_config_static_selectorELNS0_4arch9wavefront6targetE1EEEvT1_,@function
_ZN7rocprim17ROCPRIM_400000_NS6detail17trampoline_kernelINS0_14default_configENS1_20scan_config_selectorIsEEZZNS1_9scan_implILNS1_25lookback_scan_determinismE0ELb1ELb1ES3_N6thrust23THRUST_200600_302600_NS6detail15normal_iteratorINS9_10device_ptrIsEEEESE_s11max_functorIsEsEEDaPvRmT3_T4_T5_mT6_P12ihipStream_tbENKUlT_T0_E_clISt17integral_constantIbLb0EEST_IbLb1EEEEDaSP_SQ_EUlSP_E_NS1_11comp_targetILNS1_3genE5ELNS1_11target_archE942ELNS1_3gpuE9ELNS1_3repE0EEENS1_30default_config_static_selectorELNS0_4arch9wavefront6targetE1EEEvT1_: ; @_ZN7rocprim17ROCPRIM_400000_NS6detail17trampoline_kernelINS0_14default_configENS1_20scan_config_selectorIsEEZZNS1_9scan_implILNS1_25lookback_scan_determinismE0ELb1ELb1ES3_N6thrust23THRUST_200600_302600_NS6detail15normal_iteratorINS9_10device_ptrIsEEEESE_s11max_functorIsEsEEDaPvRmT3_T4_T5_mT6_P12ihipStream_tbENKUlT_T0_E_clISt17integral_constantIbLb0EEST_IbLb1EEEEDaSP_SQ_EUlSP_E_NS1_11comp_targetILNS1_3genE5ELNS1_11target_archE942ELNS1_3gpuE9ELNS1_3repE0EEENS1_30default_config_static_selectorELNS0_4arch9wavefront6targetE1EEEvT1_
; %bb.0:
	.section	.rodata,"a",@progbits
	.p2align	6, 0x0
	.amdhsa_kernel _ZN7rocprim17ROCPRIM_400000_NS6detail17trampoline_kernelINS0_14default_configENS1_20scan_config_selectorIsEEZZNS1_9scan_implILNS1_25lookback_scan_determinismE0ELb1ELb1ES3_N6thrust23THRUST_200600_302600_NS6detail15normal_iteratorINS9_10device_ptrIsEEEESE_s11max_functorIsEsEEDaPvRmT3_T4_T5_mT6_P12ihipStream_tbENKUlT_T0_E_clISt17integral_constantIbLb0EEST_IbLb1EEEEDaSP_SQ_EUlSP_E_NS1_11comp_targetILNS1_3genE5ELNS1_11target_archE942ELNS1_3gpuE9ELNS1_3repE0EEENS1_30default_config_static_selectorELNS0_4arch9wavefront6targetE1EEEvT1_
		.amdhsa_group_segment_fixed_size 0
		.amdhsa_private_segment_fixed_size 0
		.amdhsa_kernarg_size 96
		.amdhsa_user_sgpr_count 6
		.amdhsa_user_sgpr_private_segment_buffer 1
		.amdhsa_user_sgpr_dispatch_ptr 0
		.amdhsa_user_sgpr_queue_ptr 0
		.amdhsa_user_sgpr_kernarg_segment_ptr 1
		.amdhsa_user_sgpr_dispatch_id 0
		.amdhsa_user_sgpr_flat_scratch_init 0
		.amdhsa_user_sgpr_kernarg_preload_length 0
		.amdhsa_user_sgpr_kernarg_preload_offset 0
		.amdhsa_user_sgpr_private_segment_size 0
		.amdhsa_uses_dynamic_stack 0
		.amdhsa_system_sgpr_private_segment_wavefront_offset 0
		.amdhsa_system_sgpr_workgroup_id_x 1
		.amdhsa_system_sgpr_workgroup_id_y 0
		.amdhsa_system_sgpr_workgroup_id_z 0
		.amdhsa_system_sgpr_workgroup_info 0
		.amdhsa_system_vgpr_workitem_id 0
		.amdhsa_next_free_vgpr 1
		.amdhsa_next_free_sgpr 0
		.amdhsa_accum_offset 4
		.amdhsa_reserve_vcc 0
		.amdhsa_reserve_flat_scratch 0
		.amdhsa_float_round_mode_32 0
		.amdhsa_float_round_mode_16_64 0
		.amdhsa_float_denorm_mode_32 3
		.amdhsa_float_denorm_mode_16_64 3
		.amdhsa_dx10_clamp 1
		.amdhsa_ieee_mode 1
		.amdhsa_fp16_overflow 0
		.amdhsa_tg_split 0
		.amdhsa_exception_fp_ieee_invalid_op 0
		.amdhsa_exception_fp_denorm_src 0
		.amdhsa_exception_fp_ieee_div_zero 0
		.amdhsa_exception_fp_ieee_overflow 0
		.amdhsa_exception_fp_ieee_underflow 0
		.amdhsa_exception_fp_ieee_inexact 0
		.amdhsa_exception_int_div_zero 0
	.end_amdhsa_kernel
	.section	.text._ZN7rocprim17ROCPRIM_400000_NS6detail17trampoline_kernelINS0_14default_configENS1_20scan_config_selectorIsEEZZNS1_9scan_implILNS1_25lookback_scan_determinismE0ELb1ELb1ES3_N6thrust23THRUST_200600_302600_NS6detail15normal_iteratorINS9_10device_ptrIsEEEESE_s11max_functorIsEsEEDaPvRmT3_T4_T5_mT6_P12ihipStream_tbENKUlT_T0_E_clISt17integral_constantIbLb0EEST_IbLb1EEEEDaSP_SQ_EUlSP_E_NS1_11comp_targetILNS1_3genE5ELNS1_11target_archE942ELNS1_3gpuE9ELNS1_3repE0EEENS1_30default_config_static_selectorELNS0_4arch9wavefront6targetE1EEEvT1_,"axG",@progbits,_ZN7rocprim17ROCPRIM_400000_NS6detail17trampoline_kernelINS0_14default_configENS1_20scan_config_selectorIsEEZZNS1_9scan_implILNS1_25lookback_scan_determinismE0ELb1ELb1ES3_N6thrust23THRUST_200600_302600_NS6detail15normal_iteratorINS9_10device_ptrIsEEEESE_s11max_functorIsEsEEDaPvRmT3_T4_T5_mT6_P12ihipStream_tbENKUlT_T0_E_clISt17integral_constantIbLb0EEST_IbLb1EEEEDaSP_SQ_EUlSP_E_NS1_11comp_targetILNS1_3genE5ELNS1_11target_archE942ELNS1_3gpuE9ELNS1_3repE0EEENS1_30default_config_static_selectorELNS0_4arch9wavefront6targetE1EEEvT1_,comdat
.Lfunc_end2973:
	.size	_ZN7rocprim17ROCPRIM_400000_NS6detail17trampoline_kernelINS0_14default_configENS1_20scan_config_selectorIsEEZZNS1_9scan_implILNS1_25lookback_scan_determinismE0ELb1ELb1ES3_N6thrust23THRUST_200600_302600_NS6detail15normal_iteratorINS9_10device_ptrIsEEEESE_s11max_functorIsEsEEDaPvRmT3_T4_T5_mT6_P12ihipStream_tbENKUlT_T0_E_clISt17integral_constantIbLb0EEST_IbLb1EEEEDaSP_SQ_EUlSP_E_NS1_11comp_targetILNS1_3genE5ELNS1_11target_archE942ELNS1_3gpuE9ELNS1_3repE0EEENS1_30default_config_static_selectorELNS0_4arch9wavefront6targetE1EEEvT1_, .Lfunc_end2973-_ZN7rocprim17ROCPRIM_400000_NS6detail17trampoline_kernelINS0_14default_configENS1_20scan_config_selectorIsEEZZNS1_9scan_implILNS1_25lookback_scan_determinismE0ELb1ELb1ES3_N6thrust23THRUST_200600_302600_NS6detail15normal_iteratorINS9_10device_ptrIsEEEESE_s11max_functorIsEsEEDaPvRmT3_T4_T5_mT6_P12ihipStream_tbENKUlT_T0_E_clISt17integral_constantIbLb0EEST_IbLb1EEEEDaSP_SQ_EUlSP_E_NS1_11comp_targetILNS1_3genE5ELNS1_11target_archE942ELNS1_3gpuE9ELNS1_3repE0EEENS1_30default_config_static_selectorELNS0_4arch9wavefront6targetE1EEEvT1_
                                        ; -- End function
	.section	.AMDGPU.csdata,"",@progbits
; Kernel info:
; codeLenInByte = 0
; NumSgprs: 4
; NumVgprs: 0
; NumAgprs: 0
; TotalNumVgprs: 0
; ScratchSize: 0
; MemoryBound: 0
; FloatMode: 240
; IeeeMode: 1
; LDSByteSize: 0 bytes/workgroup (compile time only)
; SGPRBlocks: 0
; VGPRBlocks: 0
; NumSGPRsForWavesPerEU: 4
; NumVGPRsForWavesPerEU: 1
; AccumOffset: 4
; Occupancy: 8
; WaveLimiterHint : 0
; COMPUTE_PGM_RSRC2:SCRATCH_EN: 0
; COMPUTE_PGM_RSRC2:USER_SGPR: 6
; COMPUTE_PGM_RSRC2:TRAP_HANDLER: 0
; COMPUTE_PGM_RSRC2:TGID_X_EN: 1
; COMPUTE_PGM_RSRC2:TGID_Y_EN: 0
; COMPUTE_PGM_RSRC2:TGID_Z_EN: 0
; COMPUTE_PGM_RSRC2:TIDIG_COMP_CNT: 0
; COMPUTE_PGM_RSRC3_GFX90A:ACCUM_OFFSET: 0
; COMPUTE_PGM_RSRC3_GFX90A:TG_SPLIT: 0
	.section	.text._ZN7rocprim17ROCPRIM_400000_NS6detail17trampoline_kernelINS0_14default_configENS1_20scan_config_selectorIsEEZZNS1_9scan_implILNS1_25lookback_scan_determinismE0ELb1ELb1ES3_N6thrust23THRUST_200600_302600_NS6detail15normal_iteratorINS9_10device_ptrIsEEEESE_s11max_functorIsEsEEDaPvRmT3_T4_T5_mT6_P12ihipStream_tbENKUlT_T0_E_clISt17integral_constantIbLb0EEST_IbLb1EEEEDaSP_SQ_EUlSP_E_NS1_11comp_targetILNS1_3genE4ELNS1_11target_archE910ELNS1_3gpuE8ELNS1_3repE0EEENS1_30default_config_static_selectorELNS0_4arch9wavefront6targetE1EEEvT1_,"axG",@progbits,_ZN7rocprim17ROCPRIM_400000_NS6detail17trampoline_kernelINS0_14default_configENS1_20scan_config_selectorIsEEZZNS1_9scan_implILNS1_25lookback_scan_determinismE0ELb1ELb1ES3_N6thrust23THRUST_200600_302600_NS6detail15normal_iteratorINS9_10device_ptrIsEEEESE_s11max_functorIsEsEEDaPvRmT3_T4_T5_mT6_P12ihipStream_tbENKUlT_T0_E_clISt17integral_constantIbLb0EEST_IbLb1EEEEDaSP_SQ_EUlSP_E_NS1_11comp_targetILNS1_3genE4ELNS1_11target_archE910ELNS1_3gpuE8ELNS1_3repE0EEENS1_30default_config_static_selectorELNS0_4arch9wavefront6targetE1EEEvT1_,comdat
	.protected	_ZN7rocprim17ROCPRIM_400000_NS6detail17trampoline_kernelINS0_14default_configENS1_20scan_config_selectorIsEEZZNS1_9scan_implILNS1_25lookback_scan_determinismE0ELb1ELb1ES3_N6thrust23THRUST_200600_302600_NS6detail15normal_iteratorINS9_10device_ptrIsEEEESE_s11max_functorIsEsEEDaPvRmT3_T4_T5_mT6_P12ihipStream_tbENKUlT_T0_E_clISt17integral_constantIbLb0EEST_IbLb1EEEEDaSP_SQ_EUlSP_E_NS1_11comp_targetILNS1_3genE4ELNS1_11target_archE910ELNS1_3gpuE8ELNS1_3repE0EEENS1_30default_config_static_selectorELNS0_4arch9wavefront6targetE1EEEvT1_ ; -- Begin function _ZN7rocprim17ROCPRIM_400000_NS6detail17trampoline_kernelINS0_14default_configENS1_20scan_config_selectorIsEEZZNS1_9scan_implILNS1_25lookback_scan_determinismE0ELb1ELb1ES3_N6thrust23THRUST_200600_302600_NS6detail15normal_iteratorINS9_10device_ptrIsEEEESE_s11max_functorIsEsEEDaPvRmT3_T4_T5_mT6_P12ihipStream_tbENKUlT_T0_E_clISt17integral_constantIbLb0EEST_IbLb1EEEEDaSP_SQ_EUlSP_E_NS1_11comp_targetILNS1_3genE4ELNS1_11target_archE910ELNS1_3gpuE8ELNS1_3repE0EEENS1_30default_config_static_selectorELNS0_4arch9wavefront6targetE1EEEvT1_
	.globl	_ZN7rocprim17ROCPRIM_400000_NS6detail17trampoline_kernelINS0_14default_configENS1_20scan_config_selectorIsEEZZNS1_9scan_implILNS1_25lookback_scan_determinismE0ELb1ELb1ES3_N6thrust23THRUST_200600_302600_NS6detail15normal_iteratorINS9_10device_ptrIsEEEESE_s11max_functorIsEsEEDaPvRmT3_T4_T5_mT6_P12ihipStream_tbENKUlT_T0_E_clISt17integral_constantIbLb0EEST_IbLb1EEEEDaSP_SQ_EUlSP_E_NS1_11comp_targetILNS1_3genE4ELNS1_11target_archE910ELNS1_3gpuE8ELNS1_3repE0EEENS1_30default_config_static_selectorELNS0_4arch9wavefront6targetE1EEEvT1_
	.p2align	8
	.type	_ZN7rocprim17ROCPRIM_400000_NS6detail17trampoline_kernelINS0_14default_configENS1_20scan_config_selectorIsEEZZNS1_9scan_implILNS1_25lookback_scan_determinismE0ELb1ELb1ES3_N6thrust23THRUST_200600_302600_NS6detail15normal_iteratorINS9_10device_ptrIsEEEESE_s11max_functorIsEsEEDaPvRmT3_T4_T5_mT6_P12ihipStream_tbENKUlT_T0_E_clISt17integral_constantIbLb0EEST_IbLb1EEEEDaSP_SQ_EUlSP_E_NS1_11comp_targetILNS1_3genE4ELNS1_11target_archE910ELNS1_3gpuE8ELNS1_3repE0EEENS1_30default_config_static_selectorELNS0_4arch9wavefront6targetE1EEEvT1_,@function
_ZN7rocprim17ROCPRIM_400000_NS6detail17trampoline_kernelINS0_14default_configENS1_20scan_config_selectorIsEEZZNS1_9scan_implILNS1_25lookback_scan_determinismE0ELb1ELb1ES3_N6thrust23THRUST_200600_302600_NS6detail15normal_iteratorINS9_10device_ptrIsEEEESE_s11max_functorIsEsEEDaPvRmT3_T4_T5_mT6_P12ihipStream_tbENKUlT_T0_E_clISt17integral_constantIbLb0EEST_IbLb1EEEEDaSP_SQ_EUlSP_E_NS1_11comp_targetILNS1_3genE4ELNS1_11target_archE910ELNS1_3gpuE8ELNS1_3repE0EEENS1_30default_config_static_selectorELNS0_4arch9wavefront6targetE1EEEvT1_: ; @_ZN7rocprim17ROCPRIM_400000_NS6detail17trampoline_kernelINS0_14default_configENS1_20scan_config_selectorIsEEZZNS1_9scan_implILNS1_25lookback_scan_determinismE0ELb1ELb1ES3_N6thrust23THRUST_200600_302600_NS6detail15normal_iteratorINS9_10device_ptrIsEEEESE_s11max_functorIsEsEEDaPvRmT3_T4_T5_mT6_P12ihipStream_tbENKUlT_T0_E_clISt17integral_constantIbLb0EEST_IbLb1EEEEDaSP_SQ_EUlSP_E_NS1_11comp_targetILNS1_3genE4ELNS1_11target_archE910ELNS1_3gpuE8ELNS1_3repE0EEENS1_30default_config_static_selectorELNS0_4arch9wavefront6targetE1EEEvT1_
; %bb.0:
	s_load_dword s35, s[4:5], 0x20
	s_load_dwordx2 s[28:29], s[4:5], 0x28
	v_cmp_eq_u32_e64 s[0:1], 0, v0
	s_and_saveexec_b64 s[2:3], s[0:1]
	s_cbranch_execz .LBB2974_4
; %bb.1:
	s_mov_b64 s[8:9], exec
	v_mbcnt_lo_u32_b32 v1, s8, 0
	v_mbcnt_hi_u32_b32 v1, s9, v1
	v_cmp_eq_u32_e32 vcc, 0, v1
                                        ; implicit-def: $vgpr2
	s_and_saveexec_b64 s[6:7], vcc
	s_cbranch_execz .LBB2974_3
; %bb.2:
	s_load_dwordx2 s[10:11], s[4:5], 0x58
	s_bcnt1_i32_b64 s8, s[8:9]
	v_mov_b32_e32 v2, 0
	v_mov_b32_e32 v3, s8
	s_waitcnt lgkmcnt(0)
	global_atomic_add v2, v2, v3, s[10:11] glc
.LBB2974_3:
	s_or_b64 exec, exec, s[6:7]
	s_waitcnt vmcnt(0)
	v_readfirstlane_b32 s6, v2
	v_add_u32_e32 v1, s6, v1
	v_mov_b32_e32 v2, 0
	ds_write_b32 v2, v1
.LBB2974_4:
	s_or_b64 exec, exec, s[2:3]
	s_load_dwordx8 s[20:27], s[4:5], 0x0
	s_load_dword s2, s[4:5], 0x30
	s_load_dwordx8 s[12:19], s[4:5], 0x38
	v_mov_b32_e32 v1, 0
	s_waitcnt lgkmcnt(0)
	; wave barrier
	s_waitcnt lgkmcnt(0)
	ds_read_b32 v1, v1
	s_lshl_b64 s[22:23], s[22:23], 1
	s_add_u32 s36, s20, s22
	s_addc_u32 s37, s21, s23
	s_add_i32 s2, s2, -1
	s_mul_i32 s3, s2, 0x600
	s_sub_u32 s33, s26, s3
	s_waitcnt lgkmcnt(0)
	v_readfirstlane_b32 s38, v1
	s_subb_u32 s34, s27, 0
	s_mul_i32 s4, s38, 0x600
	s_mov_b32 s5, 0
	s_cmp_lg_u32 s38, s2
	s_cselect_b64 s[20:21], -1, 0
	s_lshl_b64 s[26:27], s[4:5], 1
	s_add_u32 s4, s36, s26
	s_addc_u32 s5, s37, s27
	s_mov_b64 s[2:3], -1
	s_and_b64 vcc, exec, s[20:21]
	v_lshlrev_b32_e32 v20, 1, v0
	s_waitcnt lgkmcnt(0)
	; wave barrier
	s_cbranch_vccz .LBB2974_6
; %bb.5:
	v_mov_b32_e32 v1, s5
	v_add_co_u32_e32 v2, vcc, s4, v20
	v_addc_co_u32_e32 v3, vcc, 0, v1, vcc
	flat_load_ushort v1, v[2:3]
	flat_load_ushort v4, v[2:3] offset:128
	flat_load_ushort v5, v[2:3] offset:256
	flat_load_ushort v6, v[2:3] offset:384
	flat_load_ushort v7, v[2:3] offset:512
	flat_load_ushort v8, v[2:3] offset:640
	flat_load_ushort v9, v[2:3] offset:768
	flat_load_ushort v10, v[2:3] offset:896
	flat_load_ushort v11, v[2:3] offset:1024
	flat_load_ushort v12, v[2:3] offset:1152
	flat_load_ushort v13, v[2:3] offset:1280
	flat_load_ushort v14, v[2:3] offset:1408
	flat_load_ushort v15, v[2:3] offset:1536
	flat_load_ushort v16, v[2:3] offset:1664
	flat_load_ushort v17, v[2:3] offset:1792
	flat_load_ushort v18, v[2:3] offset:1920
	flat_load_ushort v19, v[2:3] offset:2048
	flat_load_ushort v21, v[2:3] offset:2176
	flat_load_ushort v22, v[2:3] offset:2304
	flat_load_ushort v23, v[2:3] offset:2432
	flat_load_ushort v24, v[2:3] offset:2560
	flat_load_ushort v25, v[2:3] offset:2688
	flat_load_ushort v26, v[2:3] offset:2816
	flat_load_ushort v27, v[2:3] offset:2944
	s_mov_b64 s[2:3], 0
	s_waitcnt vmcnt(0) lgkmcnt(0)
	ds_write_b16 v20, v1
	ds_write_b16 v20, v4 offset:128
	ds_write_b16 v20, v5 offset:256
	;; [unrolled: 1-line block ×23, first 2 shown]
	s_waitcnt lgkmcnt(0)
	; wave barrier
.LBB2974_6:
	s_andn2_b64 vcc, exec, s[2:3]
	v_cmp_gt_u32_e64 s[2:3], s33, v0
	s_cbranch_vccnz .LBB2974_56
; %bb.7:
	v_pk_mov_b32 v[2:3], s[4:5], s[4:5] op_sel:[0,1]
	flat_load_ushort v1, v[2:3]
	s_waitcnt vmcnt(0) lgkmcnt(0)
	v_mov_b32_e32 v2, v1
	s_and_saveexec_b64 s[6:7], s[2:3]
	s_cbranch_execz .LBB2974_9
; %bb.8:
	v_mov_b32_e32 v3, s5
	v_add_co_u32_e32 v2, vcc, s4, v20
	v_addc_co_u32_e32 v3, vcc, 0, v3, vcc
	flat_load_ushort v2, v[2:3]
.LBB2974_9:
	s_or_b64 exec, exec, s[6:7]
	v_or_b32_e32 v3, 64, v0
	v_cmp_gt_u32_e32 vcc, s33, v3
	v_mov_b32_e32 v3, v1
	s_and_saveexec_b64 s[2:3], vcc
	s_cbranch_execz .LBB2974_11
; %bb.10:
	v_mov_b32_e32 v3, s5
	v_add_co_u32_e32 v4, vcc, s4, v20
	v_addc_co_u32_e32 v5, vcc, 0, v3, vcc
	flat_load_ushort v3, v[4:5] offset:128
.LBB2974_11:
	s_or_b64 exec, exec, s[2:3]
	v_or_b32_e32 v4, 0x80, v0
	v_cmp_gt_u32_e32 vcc, s33, v4
	v_mov_b32_e32 v4, v1
	s_and_saveexec_b64 s[2:3], vcc
	s_cbranch_execz .LBB2974_13
; %bb.12:
	v_mov_b32_e32 v5, s5
	v_add_co_u32_e32 v4, vcc, s4, v20
	v_addc_co_u32_e32 v5, vcc, 0, v5, vcc
	flat_load_ushort v4, v[4:5] offset:256
.LBB2974_13:
	;; [unrolled: 12-line block ×22, first 2 shown]
	s_or_b64 exec, exec, s[2:3]
	v_or_b32_e32 v26, 0x5c0, v0
	v_cmp_gt_u32_e32 vcc, s33, v26
	s_and_saveexec_b64 s[2:3], vcc
	s_cbranch_execz .LBB2974_55
; %bb.54:
	v_mov_b32_e32 v1, s5
	v_add_co_u32_e32 v26, vcc, s4, v20
	v_addc_co_u32_e32 v27, vcc, 0, v1, vcc
	flat_load_ushort v1, v[26:27] offset:2944
.LBB2974_55:
	s_or_b64 exec, exec, s[2:3]
	s_waitcnt vmcnt(0) lgkmcnt(0)
	ds_write_b16 v20, v2
	ds_write_b16 v20, v3 offset:128
	ds_write_b16 v20, v4 offset:256
	;; [unrolled: 1-line block ×23, first 2 shown]
	s_waitcnt lgkmcnt(0)
	; wave barrier
.LBB2974_56:
	v_mul_u32_u24_e32 v21, 24, v0
	v_lshlrev_b32_e32 v22, 1, v21
	s_waitcnt lgkmcnt(0)
	ds_read_b128 v[10:13], v22
	ds_read_b128 v[6:9], v22 offset:16
	ds_read_b128 v[2:5], v22 offset:32
	s_cmp_lg_u32 s38, 0
	v_mbcnt_lo_u32_b32 v33, -1, 0
	s_waitcnt lgkmcnt(2)
	v_lshrrev_b32_e32 v31, 16, v11
	v_max_i16_sdwa v14, v10, v10 dst_sel:DWORD dst_unused:UNUSED_PAD src0_sel:DWORD src1_sel:WORD_1
	v_lshrrev_b32_e32 v30, 16, v12
	v_lshrrev_b32_e32 v29, 16, v13
	s_waitcnt lgkmcnt(1)
	v_lshrrev_b32_e32 v28, 16, v6
	v_lshrrev_b32_e32 v27, 16, v7
	;; [unrolled: 1-line block ×4, first 2 shown]
	s_waitcnt lgkmcnt(0)
	v_lshrrev_b32_e32 v24, 16, v2
	v_lshrrev_b32_e32 v23, 16, v3
	;; [unrolled: 1-line block ×4, first 2 shown]
	v_max3_i16 v34, v14, v11, v31
	v_cmp_eq_u32_e32 vcc, 63, v0
	s_waitcnt lgkmcnt(0)
	; wave barrier
	s_cbranch_scc0 .LBB2974_79
; %bb.57:
	v_max3_i16 v14, v34, v12, v30
	v_max3_i16 v14, v14, v13, v29
	v_max3_i16 v14, v14, v6, v28
	v_max3_i16 v14, v14, v7, v27
	v_max3_i16 v14, v14, v8, v26
	v_max3_i16 v14, v14, v9, v25
	v_max3_i16 v14, v14, v2, v24
	v_max3_i16 v14, v14, v3, v23
	v_max3_i16 v14, v14, v4, v1
	v_max3_i16 v14, v14, v5, v32
	v_mbcnt_hi_u32_b32 v15, -1, v33
	v_and_b32_e32 v17, 0xffff, v14
	v_and_b32_e32 v16, 15, v15
	v_cmp_eq_u32_e64 s[2:3], 0, v16
	v_mov_b32_dpp v17, v17 row_shr:1 row_mask:0xf bank_mask:0xf
	v_max_i16_e32 v17, v17, v14
	v_cndmask_b32_e64 v14, v17, v14, s[2:3]
	v_and_b32_e32 v17, 0xffff, v14
	v_cmp_lt_u32_e64 s[2:3], 1, v16
	s_nop 0
	v_mov_b32_dpp v17, v17 row_shr:2 row_mask:0xf bank_mask:0xf
	v_max_i16_e32 v17, v17, v14
	v_cndmask_b32_e64 v14, v14, v17, s[2:3]
	v_and_b32_e32 v17, 0xffff, v14
	v_cmp_lt_u32_e64 s[2:3], 3, v16
	s_nop 0
	v_mov_b32_dpp v17, v17 row_shr:4 row_mask:0xf bank_mask:0xf
	v_max_i16_e32 v17, v17, v14
	v_cndmask_b32_e64 v14, v14, v17, s[2:3]
	v_and_b32_e32 v17, 0xffff, v14
	v_cmp_lt_u32_e64 s[2:3], 7, v16
	s_nop 0
	v_mov_b32_dpp v17, v17 row_shr:8 row_mask:0xf bank_mask:0xf
	v_max_i16_e32 v17, v17, v14
	v_cndmask_b32_e64 v14, v14, v17, s[2:3]
	v_and_b32_e32 v16, 0xffff, v14
	v_and_b32_e32 v17, 16, v15
	v_cmp_eq_u32_e64 s[2:3], 0, v17
	v_mov_b32_dpp v16, v16 row_bcast:15 row_mask:0xf bank_mask:0xf
	v_max_i16_e32 v16, v16, v14
	v_cndmask_b32_e64 v14, v16, v14, s[2:3]
	v_and_b32_e32 v16, 0xffff, v14
	v_cmp_lt_u32_e64 s[2:3], 31, v15
	s_nop 0
	v_mov_b32_dpp v16, v16 row_bcast:31 row_mask:0xf bank_mask:0xf
	v_max_i16_e32 v16, v16, v14
	v_cndmask_b32_e64 v14, v14, v16, s[2:3]
	s_and_saveexec_b64 s[2:3], vcc
	s_cbranch_execz .LBB2974_59
; %bb.58:
	v_mov_b32_e32 v16, 0
	ds_write_b16 v16, v14
.LBB2974_59:
	s_or_b64 exec, exec, s[2:3]
	v_add_u32_e32 v16, -1, v15
	v_and_b32_e32 v17, 64, v15
	v_cmp_lt_i32_e32 vcc, v16, v17
	v_cndmask_b32_e32 v16, v16, v15, vcc
	v_and_b32_e32 v14, 0xffff, v14
	v_lshlrev_b32_e32 v16, 2, v16
	ds_bpermute_b32 v35, v16, v14
	v_cmp_gt_u32_e32 vcc, 64, v0
	s_waitcnt lgkmcnt(0)
	; wave barrier
	s_waitcnt lgkmcnt(0)
	s_and_saveexec_b64 s[30:31], vcc
	s_cbranch_execz .LBB2974_78
; %bb.60:
	v_mov_b32_e32 v17, 0
	ds_read_u16 v36, v17
	s_mov_b32 s7, 0
	v_cmp_eq_u32_e64 s[2:3], 0, v15
	s_and_saveexec_b64 s[4:5], s[2:3]
	s_cbranch_execz .LBB2974_62
; %bb.61:
	s_add_i32 s6, s38, 64
	s_lshl_b64 s[6:7], s[6:7], 2
	s_add_u32 s6, s28, s6
	s_waitcnt lgkmcnt(0)
	v_or_b32_e32 v14, 0x10000, v36
	s_addc_u32 s7, s29, s7
	global_store_dword v17, v14, s[6:7]
.LBB2974_62:
	s_or_b64 exec, exec, s[4:5]
	v_xad_u32 v14, v15, -1, s38
	v_add_u32_e32 v16, 64, v14
	v_lshlrev_b64 v[18:19], 2, v[16:17]
	v_mov_b32_e32 v16, s29
	v_add_co_u32_e32 v18, vcc, s28, v18
	v_addc_co_u32_e32 v19, vcc, v16, v19, vcc
	global_load_dword v49, v[18:19], off glc
	s_waitcnt vmcnt(0)
	v_lshrrev_b32_e32 v38, 16, v49
	v_cmp_eq_u16_sdwa s[6:7], v38, v17 src0_sel:BYTE_0 src1_sel:DWORD
	s_and_saveexec_b64 s[4:5], s[6:7]
	s_cbranch_execz .LBB2974_66
; %bb.63:
	s_mov_b64 s[6:7], 0
	v_mov_b32_e32 v16, 0
.LBB2974_64:                            ; =>This Inner Loop Header: Depth=1
	global_load_dword v49, v[18:19], off glc
	s_waitcnt vmcnt(0)
	v_lshrrev_b32_e32 v38, 16, v49
	v_cmp_ne_u16_sdwa s[8:9], v38, v16 src0_sel:BYTE_0 src1_sel:DWORD
	s_or_b64 s[6:7], s[8:9], s[6:7]
	s_andn2_b64 exec, exec, s[6:7]
	s_cbranch_execnz .LBB2974_64
; %bb.65:
	s_or_b64 exec, exec, s[6:7]
.LBB2974_66:
	s_or_b64 exec, exec, s[4:5]
	v_and_b32_e32 v39, 63, v15
	v_cmp_ne_u32_e32 vcc, 63, v39
	v_mov_b32_e32 v37, 2
	v_addc_co_u32_e32 v40, vcc, 0, v15, vcc
	v_cmp_eq_u16_sdwa s[4:5], v38, v37 src0_sel:BYTE_0 src1_sel:DWORD
	v_lshlrev_b64 v[16:17], v15, -1
	v_and_b32_e32 v41, 0xffff, v49
	v_lshlrev_b32_e32 v40, 2, v40
	v_and_b32_e32 v18, s5, v17
	ds_bpermute_b32 v42, v40, v41
	v_or_b32_e32 v18, 0x80000000, v18
	v_and_b32_e32 v19, s4, v16
	v_ffbl_b32_e32 v18, v18
	v_add_u32_e32 v18, 32, v18
	v_ffbl_b32_e32 v19, v19
	v_min_u32_e32 v18, v19, v18
	s_waitcnt lgkmcnt(0)
	v_max_i16_e32 v19, v42, v49
	v_cmp_lt_u32_e32 vcc, v39, v18
	v_cmp_gt_u32_e64 s[4:5], 62, v39
	v_cndmask_b32_e32 v43, v41, v19, vcc
	v_cndmask_b32_e64 v41, 0, 1, s[4:5]
	v_lshlrev_b32_e32 v41, 1, v41
	v_add_lshl_u32 v41, v41, v15, 2
	ds_bpermute_b32 v44, v41, v43
	v_cndmask_b32_e32 v19, v49, v19, vcc
	v_add_u32_e32 v42, 2, v39
	v_cmp_gt_u32_e64 s[4:5], v42, v18
	v_cmp_gt_u32_e64 s[6:7], 60, v39
	s_waitcnt lgkmcnt(0)
	v_max_i16_e32 v44, v44, v19
	v_cndmask_b32_e64 v45, v44, v43, s[4:5]
	v_cndmask_b32_e64 v43, 0, 1, s[6:7]
	v_lshlrev_b32_e32 v43, 2, v43
	v_add_lshl_u32 v43, v43, v15, 2
	ds_bpermute_b32 v46, v43, v45
	v_cndmask_b32_e64 v19, v44, v19, s[4:5]
	v_add_u32_e32 v44, 4, v39
	v_cmp_gt_u32_e64 s[4:5], v44, v18
	v_cmp_gt_u32_e64 s[6:7], 56, v39
	s_waitcnt lgkmcnt(0)
	v_max_i16_e32 v52, v46, v19
	v_cndmask_b32_e64 v47, v52, v45, s[4:5]
	v_cndmask_b32_e64 v45, 0, 1, s[6:7]
	v_lshlrev_b32_e32 v45, 3, v45
	v_add_lshl_u32 v45, v45, v15, 2
	ds_bpermute_b32 v48, v45, v47
	v_cndmask_b32_e64 v50, v52, v19, s[4:5]
	v_add_u32_e32 v46, 8, v39
	v_cmp_gt_u32_e64 s[6:7], v46, v18
	v_cmp_gt_u32_e64 s[8:9], 48, v39
	s_waitcnt lgkmcnt(0)
	v_max_i16_e32 v53, v48, v50
	v_cndmask_b32_e64 v51, v53, v47, s[6:7]
	v_cndmask_b32_e64 v47, 0, 1, s[8:9]
	v_lshlrev_b32_e32 v47, 4, v47
	v_add_lshl_u32 v47, v47, v15, 2
	ds_bpermute_b32 v54, v47, v51
	v_cmp_gt_u32_e64 s[10:11], 32, v39
	v_cndmask_b32_e64 v55, v53, v50, s[6:7]
	v_add_u32_e32 v48, 16, v39
	v_cndmask_b32_e64 v50, 0, 1, s[10:11]
	s_waitcnt lgkmcnt(0)
	v_max_i16_e32 v54, v54, v55
	v_cmp_gt_u32_e64 s[8:9], v48, v18
	v_lshlrev_b32_e32 v50, 5, v50
	v_cndmask_b32_e64 v51, v54, v51, s[8:9]
	v_add_lshl_u32 v50, v50, v15, 2
	ds_bpermute_b32 v15, v50, v51
	v_cndmask_b32_e32 v19, v49, v19, vcc
	v_cndmask_b32_e64 v19, v52, v19, s[4:5]
	v_add_u32_e32 v51, 32, v39
	v_cndmask_b32_e64 v55, v54, v55, s[8:9]
	v_cndmask_b32_e64 v19, v53, v19, s[6:7]
	s_waitcnt lgkmcnt(0)
	v_max_i16_e32 v15, v15, v55
	v_cndmask_b32_e64 v19, v54, v19, s[8:9]
	v_cmp_gt_u32_e32 vcc, v51, v18
	v_cndmask_b32_e32 v18, v15, v19, vcc
	v_mov_b32_e32 v15, 0
	s_branch .LBB2974_68
.LBB2974_67:                            ;   in Loop: Header=BB2974_68 Depth=1
	s_or_b64 exec, exec, s[4:5]
	v_cmp_eq_u16_sdwa s[4:5], v38, v37 src0_sel:BYTE_0 src1_sel:DWORD
	v_and_b32_e32 v53, 0xffff, v52
	v_and_b32_e32 v18, s5, v17
	ds_bpermute_b32 v54, v40, v53
	v_or_b32_e32 v18, 0x80000000, v18
	v_and_b32_e32 v19, s4, v16
	v_ffbl_b32_e32 v18, v18
	v_add_u32_e32 v18, 32, v18
	v_ffbl_b32_e32 v19, v19
	v_min_u32_e32 v18, v19, v18
	s_waitcnt lgkmcnt(0)
	v_max_i16_e32 v19, v54, v52
	v_cmp_lt_u32_e32 vcc, v39, v18
	v_cndmask_b32_e32 v53, v53, v19, vcc
	ds_bpermute_b32 v54, v41, v53
	v_cndmask_b32_e32 v19, v52, v19, vcc
	v_cmp_gt_u32_e64 s[4:5], v42, v18
	v_cmp_gt_u32_e64 s[6:7], v46, v18
	v_subrev_u32_e32 v14, 64, v14
	s_waitcnt lgkmcnt(0)
	v_max_i16_e32 v54, v54, v19
	v_cndmask_b32_e64 v53, v54, v53, s[4:5]
	ds_bpermute_b32 v55, v43, v53
	v_cndmask_b32_e64 v19, v54, v19, s[4:5]
	v_cmp_gt_u32_e64 s[4:5], v44, v18
	s_waitcnt lgkmcnt(0)
	v_max_i16_e32 v54, v55, v19
	v_cndmask_b32_e64 v53, v54, v53, s[4:5]
	ds_bpermute_b32 v55, v45, v53
	v_cndmask_b32_e64 v56, v54, v19, s[4:5]
	v_cndmask_b32_e32 v19, v52, v19, vcc
	v_cmp_gt_u32_e32 vcc, v48, v18
	v_cndmask_b32_e64 v19, v54, v19, s[4:5]
	s_waitcnt lgkmcnt(0)
	v_max_i16_e32 v55, v55, v56
	v_cndmask_b32_e64 v53, v55, v53, s[6:7]
	ds_bpermute_b32 v57, v47, v53
	v_cndmask_b32_e64 v52, v55, v56, s[6:7]
	v_cndmask_b32_e64 v19, v55, v19, s[6:7]
	s_waitcnt lgkmcnt(0)
	v_max_i16_e32 v56, v57, v52
	v_cndmask_b32_e32 v53, v56, v53, vcc
	ds_bpermute_b32 v53, v50, v53
	v_cndmask_b32_e32 v52, v56, v52, vcc
	v_cndmask_b32_e32 v19, v56, v19, vcc
	v_cmp_gt_u32_e32 vcc, v51, v18
	s_waitcnt lgkmcnt(0)
	v_max_i16_e32 v52, v53, v52
	v_cndmask_b32_e32 v18, v52, v19, vcc
	v_max_i16_e32 v18, v18, v49
.LBB2974_68:                            ; =>This Loop Header: Depth=1
                                        ;     Child Loop BB2974_71 Depth 2
	v_cmp_ne_u16_sdwa s[4:5], v38, v37 src0_sel:BYTE_0 src1_sel:DWORD
	v_cndmask_b32_e64 v19, 0, 1, s[4:5]
	;;#ASMSTART
	;;#ASMEND
	v_cmp_ne_u32_e32 vcc, 0, v19
	s_cmp_lg_u64 vcc, exec
	v_mov_b32_e32 v49, v18
	s_cbranch_scc1 .LBB2974_73
; %bb.69:                               ;   in Loop: Header=BB2974_68 Depth=1
	v_lshlrev_b64 v[18:19], 2, v[14:15]
	v_mov_b32_e32 v38, s29
	v_add_co_u32_e32 v18, vcc, s28, v18
	v_addc_co_u32_e32 v19, vcc, v38, v19, vcc
	global_load_dword v52, v[18:19], off glc
	s_waitcnt vmcnt(0)
	v_lshrrev_b32_e32 v38, 16, v52
	v_cmp_eq_u16_sdwa s[6:7], v38, v15 src0_sel:BYTE_0 src1_sel:DWORD
	s_and_saveexec_b64 s[4:5], s[6:7]
	s_cbranch_execz .LBB2974_67
; %bb.70:                               ;   in Loop: Header=BB2974_68 Depth=1
	s_mov_b64 s[6:7], 0
.LBB2974_71:                            ;   Parent Loop BB2974_68 Depth=1
                                        ; =>  This Inner Loop Header: Depth=2
	global_load_dword v52, v[18:19], off glc
	s_waitcnt vmcnt(0)
	v_lshrrev_b32_e32 v38, 16, v52
	v_cmp_ne_u16_sdwa s[8:9], v38, v15 src0_sel:BYTE_0 src1_sel:DWORD
	s_or_b64 s[6:7], s[8:9], s[6:7]
	s_andn2_b64 exec, exec, s[6:7]
	s_cbranch_execnz .LBB2974_71
; %bb.72:                               ;   in Loop: Header=BB2974_68 Depth=1
	s_or_b64 exec, exec, s[6:7]
	s_branch .LBB2974_67
.LBB2974_73:                            ;   in Loop: Header=BB2974_68 Depth=1
                                        ; implicit-def: $vgpr18
                                        ; implicit-def: $vgpr38
	s_cbranch_execz .LBB2974_68
; %bb.74:
	s_and_saveexec_b64 s[4:5], s[2:3]
	s_cbranch_execz .LBB2974_76
; %bb.75:
	s_add_i32 s2, s38, 64
	s_mov_b32 s3, 0
	s_lshl_b64 s[2:3], s[2:3], 2
	v_max_i16_e32 v14, v49, v36
	s_add_u32 s2, s28, s2
	v_or_b32_e32 v14, 0x20000, v14
	s_addc_u32 s3, s29, s3
	v_mov_b32_e32 v15, 0
	global_store_dword v15, v14, s[2:3]
.LBB2974_76:
	s_or_b64 exec, exec, s[4:5]
	s_and_b64 exec, exec, s[0:1]
	s_cbranch_execz .LBB2974_78
; %bb.77:
	v_mov_b32_e32 v14, 0
	ds_write_b16 v14, v49
.LBB2974_78:
	s_or_b64 exec, exec, s[30:31]
	v_mov_b32_e32 v14, 0
	s_waitcnt lgkmcnt(0)
	; wave barrier
	s_waitcnt lgkmcnt(0)
	ds_read_u16 v14, v14
	s_waitcnt lgkmcnt(0)
	v_max_i16_e32 v15, v14, v35
	v_cndmask_b32_e64 v15, v15, v14, s[0:1]
	v_max_i16_e32 v14, v15, v10
	v_max_i16_sdwa v16, v14, v10 dst_sel:DWORD dst_unused:UNUSED_PAD src0_sel:DWORD src1_sel:WORD_1
	v_max_i16_e32 v17, v16, v11
	v_max_i16_e32 v18, v17, v31
	v_max_i16_e32 v35, v18, v12
	v_max_i16_e32 v37, v35, v30
	v_max_i16_e32 v39, v37, v13
	v_max_i16_e32 v19, v39, v29
	v_max_i16_e32 v36, v19, v6
	v_max_i16_e32 v38, v36, v28
	v_max_i16_e32 v40, v38, v7
	v_max_i16_e32 v41, v40, v27
	v_max_i16_e32 v43, v41, v8
	v_max_i16_e32 v45, v43, v26
	v_max_i16_e32 v47, v45, v9
	v_max_i16_e32 v42, v47, v25
	v_max_i16_e32 v44, v42, v2
	v_max_i16_e32 v46, v44, v24
	v_max_i16_e32 v48, v46, v3
	v_max_i16_e32 v49, v48, v23
	v_max_i16_e32 v50, v49, v4
	v_max_i16_e32 v51, v50, v1
	v_max_i16_e32 v52, v51, v5
	s_branch .LBB2974_87
.LBB2974_79:
                                        ; implicit-def: $vgpr15
                                        ; implicit-def: $vgpr14
                                        ; implicit-def: $vgpr16
                                        ; implicit-def: $vgpr17
                                        ; implicit-def: $vgpr18
                                        ; implicit-def: $vgpr35
                                        ; implicit-def: $vgpr37
                                        ; implicit-def: $vgpr39
                                        ; implicit-def: $vgpr19
                                        ; implicit-def: $vgpr36
                                        ; implicit-def: $vgpr38
                                        ; implicit-def: $vgpr40
                                        ; implicit-def: $vgpr41
                                        ; implicit-def: $vgpr43
                                        ; implicit-def: $vgpr45
                                        ; implicit-def: $vgpr47
                                        ; implicit-def: $vgpr42
                                        ; implicit-def: $vgpr44
                                        ; implicit-def: $vgpr46
                                        ; implicit-def: $vgpr48
                                        ; implicit-def: $vgpr49
                                        ; implicit-def: $vgpr50
                                        ; implicit-def: $vgpr51
                                        ; implicit-def: $vgpr52
	s_cbranch_execz .LBB2974_87
; %bb.80:
	s_cmp_eq_u64 s[16:17], 0
	v_mov_b32_e32 v52, s35
	s_cbranch_scc1 .LBB2974_82
; %bb.81:
	v_mov_b32_e32 v14, 0
	global_load_ushort v16, v14, s[12:13]
	v_mov_b32_e32 v15, s37
	v_add_co_u32_e64 v14, vcc, -2, s36
	v_addc_co_u32_e32 v15, vcc, -1, v15, vcc
	flat_load_ushort v14, v[14:15]
	s_waitcnt vmcnt(0) lgkmcnt(0)
	v_max_i16_e32 v52, v16, v14
.LBB2974_82:
	v_max3_i16 v14, v34, v12, v30
	v_max3_i16 v14, v14, v13, v29
	;; [unrolled: 1-line block ×10, first 2 shown]
	v_mbcnt_hi_u32_b32 v14, -1, v33
	v_and_b32_e32 v17, 0xffff, v15
	v_and_b32_e32 v16, 15, v14
	v_cmp_eq_u32_e32 vcc, 0, v16
	v_mov_b32_dpp v17, v17 row_shr:1 row_mask:0xf bank_mask:0xf
	v_max_i16_e32 v17, v17, v15
	v_cndmask_b32_e32 v15, v17, v15, vcc
	v_and_b32_e32 v17, 0xffff, v15
	v_cmp_lt_u32_e32 vcc, 1, v16
	s_nop 0
	v_mov_b32_dpp v17, v17 row_shr:2 row_mask:0xf bank_mask:0xf
	v_max_i16_e32 v17, v17, v15
	v_cndmask_b32_e32 v15, v15, v17, vcc
	v_and_b32_e32 v17, 0xffff, v15
	v_cmp_lt_u32_e32 vcc, 3, v16
	s_nop 0
	;; [unrolled: 6-line block ×3, first 2 shown]
	v_mov_b32_dpp v17, v17 row_shr:8 row_mask:0xf bank_mask:0xf
	v_max_i16_e32 v17, v17, v15
	v_cndmask_b32_e32 v15, v15, v17, vcc
	v_and_b32_e32 v16, 0xffff, v15
	v_and_b32_e32 v17, 16, v14
	v_cmp_eq_u32_e32 vcc, 0, v17
	v_mov_b32_dpp v16, v16 row_bcast:15 row_mask:0xf bank_mask:0xf
	v_max_i16_e32 v16, v16, v15
	v_cndmask_b32_e32 v15, v16, v15, vcc
	v_and_b32_e32 v16, 0xffff, v15
	v_cmp_lt_u32_e32 vcc, 31, v14
	s_nop 0
	v_mov_b32_dpp v16, v16 row_bcast:31 row_mask:0xf bank_mask:0xf
	v_max_i16_e32 v16, v16, v15
	v_cndmask_b32_e32 v15, v15, v16, vcc
	v_cmp_eq_u32_e32 vcc, 63, v0
	s_and_saveexec_b64 s[2:3], vcc
	s_cbranch_execz .LBB2974_84
; %bb.83:
	v_mov_b32_e32 v16, 0
	ds_write_b16 v16, v15
.LBB2974_84:
	s_or_b64 exec, exec, s[2:3]
	v_add_u32_e32 v16, -1, v14
	v_and_b32_e32 v17, 64, v14
	v_cmp_lt_i32_e32 vcc, v16, v17
	v_cndmask_b32_e32 v16, v16, v14, vcc
	v_max_i16_e32 v15, v52, v15
	v_lshlrev_b32_e32 v16, 2, v16
	ds_bpermute_b32 v15, v16, v15
	v_cmp_eq_u32_e32 vcc, 0, v14
	s_or_b64 vcc, s[0:1], vcc
	s_waitcnt lgkmcnt(0)
	; wave barrier
	s_waitcnt lgkmcnt(0)
	v_cndmask_b32_e32 v15, v15, v52, vcc
	v_max_i16_e32 v14, v15, v10
	v_max_i16_sdwa v16, v14, v10 dst_sel:DWORD dst_unused:UNUSED_PAD src0_sel:DWORD src1_sel:WORD_1
	v_max_i16_e32 v17, v16, v11
	v_max_i16_e32 v18, v17, v31
	;; [unrolled: 1-line block ×20, first 2 shown]
	s_and_saveexec_b64 s[2:3], s[0:1]
	s_cbranch_execz .LBB2974_86
; %bb.85:
	v_mov_b32_e32 v1, 0
	ds_read_u16 v2, v1
	v_mov_b32_e32 v15, v52
	s_waitcnt lgkmcnt(0)
	v_max_i16_e32 v2, v52, v2
	v_or_b32_e32 v2, 0x20000, v2
	global_store_dword v1, v2, s[28:29] offset:256
.LBB2974_86:
	s_or_b64 exec, exec, s[2:3]
	v_max_i16_e32 v52, v51, v5
.LBB2974_87:
	s_add_u32 s0, s24, s22
	s_addc_u32 s1, s25, s23
	s_add_u32 s2, s0, s26
	s_addc_u32 s3, s1, s27
	s_mov_b64 s[0:1], -1
	s_and_b64 vcc, exec, s[20:21]
	s_waitcnt lgkmcnt(0)
	; wave barrier
	s_cbranch_vccz .LBB2974_89
; %bb.88:
	s_mov_b32 s0, 0x5040100
	v_perm_b32 v5, v39, v37, s0
	v_perm_b32 v4, v35, v18, s0
	;; [unrolled: 1-line block ×4, first 2 shown]
	ds_write_b128 v22, v[2:5]
	v_perm_b32 v5, v47, v45, s0
	v_perm_b32 v4, v43, v41, s0
	;; [unrolled: 1-line block ×4, first 2 shown]
	ds_write_b128 v22, v[2:5] offset:16
	v_perm_b32 v5, v52, v51, s0
	v_perm_b32 v4, v50, v49, s0
	;; [unrolled: 1-line block ×4, first 2 shown]
	ds_write_b128 v22, v[2:5] offset:32
	s_waitcnt lgkmcnt(0)
	; wave barrier
	s_waitcnt lgkmcnt(0)
	ds_read_u16 v1, v20
	ds_read_u16 v4, v20 offset:128
	ds_read_u16 v5, v20 offset:256
	;; [unrolled: 1-line block ×23, first 2 shown]
	v_mov_b32_e32 v3, s3
	v_add_co_u32_e32 v2, vcc, s2, v20
	v_addc_co_u32_e32 v3, vcc, 0, v3, vcc
	s_waitcnt lgkmcnt(14)
	flat_store_short v[2:3], v1
	flat_store_short v[2:3], v4 offset:128
	flat_store_short v[2:3], v5 offset:256
	;; [unrolled: 1-line block ×9, first 2 shown]
	s_waitcnt lgkmcnt(0)
	flat_store_short v[2:3], v13 offset:1280
	flat_store_short v[2:3], v23 offset:1408
	;; [unrolled: 1-line block ×14, first 2 shown]
	s_mov_b64 s[0:1], 0
.LBB2974_89:
	s_andn2_b64 vcc, exec, s[0:1]
	s_cbranch_vccnz .LBB2974_146
; %bb.90:
	s_mov_b32 s0, 0x5040100
	v_perm_b32 v5, v39, v37, s0
	v_perm_b32 v4, v35, v18, s0
	;; [unrolled: 1-line block ×4, first 2 shown]
	ds_write_b128 v22, v[2:5]
	v_perm_b32 v5, v47, v45, s0
	v_perm_b32 v4, v43, v41, s0
	v_perm_b32 v3, v40, v38, s0
	v_perm_b32 v2, v36, v19, s0
	ds_write_b128 v22, v[2:5] offset:16
	v_perm_b32 v5, v52, v51, s0
	v_perm_b32 v4, v50, v49, s0
	;; [unrolled: 1-line block ×4, first 2 shown]
	s_movk_i32 s0, 0xffd2
	ds_write_b128 v22, v[2:5] offset:32
	v_mad_i32_i24 v2, v0, s0, v22
	s_waitcnt lgkmcnt(0)
	; wave barrier
	s_waitcnt lgkmcnt(0)
	ds_read_u16 v5, v2
	ds_read_u16 v4, v2 offset:128
	ds_read_u16 v7, v2 offset:256
	;; [unrolled: 1-line block ×23, first 2 shown]
	v_mov_b32_e32 v3, s3
	v_add_co_u32_e32 v2, vcc, s2, v20
	v_addc_co_u32_e32 v3, vcc, 0, v3, vcc
	v_mov_b32_e32 v1, 0
	v_cmp_gt_u32_e32 vcc, s33, v0
	s_and_saveexec_b64 s[0:1], vcc
	s_cbranch_execz .LBB2974_92
; %bb.91:
	s_waitcnt lgkmcnt(0)
	flat_store_short v[2:3], v5
.LBB2974_92:
	s_or_b64 exec, exec, s[0:1]
	v_or_b32_e32 v20, 64, v0
	v_cmp_gt_u32_e32 vcc, s33, v20
	s_and_saveexec_b64 s[0:1], vcc
	s_cbranch_execz .LBB2974_94
; %bb.93:
	s_waitcnt lgkmcnt(0)
	flat_store_short v[2:3], v4 offset:128
.LBB2974_94:
	s_or_b64 exec, exec, s[0:1]
	v_or_b32_e32 v20, 0x80, v0
	v_cmp_gt_u32_e32 vcc, s33, v20
	s_and_saveexec_b64 s[0:1], vcc
	s_cbranch_execz .LBB2974_96
; %bb.95:
	s_waitcnt lgkmcnt(0)
	flat_store_short v[2:3], v7 offset:256
.LBB2974_96:
	;; [unrolled: 9-line block ×23, first 2 shown]
	s_or_b64 exec, exec, s[0:1]
	v_cmp_lt_u64_e64 s[0:1], s[18:19], 2
	s_and_b64 vcc, exec, s[0:1]
	s_cbranch_vccnz .LBB2974_146
; %bb.139:
	s_add_u32 s0, s33, -1
	s_addc_u32 s1, s34, -1
	s_add_u32 s2, 0, 0xaaaa0000
	s_addc_u32 s3, 0, 42
	s_add_i32 s3, s3, 0xaaaaa80
	s_mul_hi_u32 s7, s2, 0xffffffe8
	s_sub_i32 s7, s7, s2
	s_mul_i32 s8, s3, 0xffffffe8
	s_mul_i32 s4, s2, 0xffffffe8
	s_add_i32 s7, s7, s8
	s_mul_hi_u32 s5, s3, s4
	s_mul_i32 s6, s3, s4
	s_mul_i32 s9, s2, s7
	s_mul_hi_u32 s4, s2, s4
	s_mul_hi_u32 s8, s2, s7
	s_add_u32 s4, s4, s9
	s_addc_u32 s8, 0, s8
	s_add_u32 s4, s4, s6
	s_mul_hi_u32 s9, s3, s7
	s_addc_u32 s4, s8, s5
	s_addc_u32 s5, s9, 0
	s_mul_i32 s6, s3, s7
	s_add_u32 s4, s4, s6
	v_mov_b32_e32 v2, s4
	s_addc_u32 s5, 0, s5
	v_add_co_u32_e32 v2, vcc, s2, v2
	s_cmp_lg_u64 vcc, 0
	s_addc_u32 s2, s3, s5
	v_readfirstlane_b32 s5, v2
	s_mul_i32 s4, s0, s2
	s_mul_hi_u32 s6, s0, s5
	s_mul_hi_u32 s3, s0, s2
	s_add_u32 s4, s6, s4
	s_addc_u32 s3, 0, s3
	s_mul_hi_u32 s7, s1, s5
	s_mul_i32 s5, s1, s5
	s_add_u32 s4, s4, s5
	s_mul_hi_u32 s6, s1, s2
	s_addc_u32 s3, s3, s7
	s_addc_u32 s4, s6, 0
	s_mul_i32 s2, s1, s2
	s_add_u32 s2, s3, s2
	s_addc_u32 s3, 0, s4
	s_add_u32 s4, s2, 1
	s_addc_u32 s5, s3, 0
	s_add_u32 s6, s2, 2
	s_mul_i32 s8, s3, 24
	s_mul_hi_u32 s9, s2, 24
	s_addc_u32 s7, s3, 0
	s_add_i32 s9, s9, s8
	s_mul_i32 s8, s2, 24
	v_mov_b32_e32 v2, s8
	v_sub_co_u32_e32 v2, vcc, s0, v2
	s_cmp_lg_u64 vcc, 0
	s_subb_u32 s8, s1, s9
	v_subrev_co_u32_e32 v3, vcc, 24, v2
	s_cmp_lg_u64 vcc, 0
	s_subb_u32 s9, s8, 0
	v_readfirstlane_b32 s10, v3
	s_cmp_gt_u32 s10, 23
	s_cselect_b32 s10, -1, 0
	s_cmp_eq_u32 s9, 0
	s_cselect_b32 s9, s10, -1
	s_cmp_lg_u32 s9, 0
	s_cselect_b32 s4, s6, s4
	v_readfirstlane_b32 s6, v2
	s_cselect_b32 s5, s7, s5
	s_cmp_gt_u32 s6, 23
	s_cselect_b32 s6, -1, 0
	s_cmp_eq_u32 s8, 0
	s_cselect_b32 s6, s6, -1
	s_cmp_lg_u32 s6, 0
	s_cselect_b32 s3, s5, s3
	s_cselect_b32 s2, s4, s2
	v_cmp_eq_u64_e32 vcc, s[2:3], v[0:1]
	s_and_saveexec_b64 s[2:3], vcc
	s_cbranch_execz .LBB2974_146
; %bb.140:
	v_mul_hi_u32_u24_e32 v1, 24, v0
	v_mov_b32_e32 v2, s1
	v_sub_co_u32_e32 v0, vcc, s0, v21
	v_subb_co_u32_e32 v1, vcc, v2, v1, vcc
	v_cmp_lt_i64_e32 vcc, 11, v[0:1]
	s_mov_b64 s[0:1], 0
	s_mov_b64 s[8:9], 0
	;; [unrolled: 1-line block ×4, first 2 shown]
	s_and_saveexec_b64 s[2:3], vcc
	s_xor_b64 s[2:3], exec, s[2:3]
	s_cbranch_execnz .LBB2974_147
; %bb.141:
	s_andn2_saveexec_b64 s[2:3], s[2:3]
	s_cbranch_execnz .LBB2974_192
.LBB2974_142:
	s_or_b64 exec, exec, s[2:3]
	s_and_saveexec_b64 s[2:3], s[8:9]
	s_cbranch_execnz .LBB2974_209
.LBB2974_143:
	s_or_b64 exec, exec, s[2:3]
	s_and_saveexec_b64 s[2:3], s[6:7]
	s_cbranch_execnz .LBB2974_210
.LBB2974_144:
	s_or_b64 exec, exec, s[2:3]
	s_and_saveexec_b64 s[2:3], s[4:5]
	s_xor_b64 s[2:3], exec, s[2:3]
	s_cbranch_execnz .LBB2974_211
.LBB2974_145:
	s_or_b64 exec, exec, s[2:3]
	s_and_b64 exec, exec, s[0:1]
	s_cbranch_execnz .LBB2974_212
.LBB2974_146:
	s_endpgm
.LBB2974_147:
	v_cmp_lt_i64_e32 vcc, 17, v[0:1]
	s_and_saveexec_b64 s[10:11], vcc
	s_xor_b64 s[10:11], exec, s[10:11]
	s_cbranch_execz .LBB2974_169
; %bb.148:
	v_cmp_lt_i64_e32 vcc, 20, v[0:1]
                                        ; implicit-def: $vgpr10
	s_and_saveexec_b64 s[12:13], vcc
	s_xor_b64 s[12:13], exec, s[12:13]
	s_cbranch_execz .LBB2974_158
; %bb.149:
	v_cmp_lt_i64_e32 vcc, 21, v[0:1]
	s_mov_b64 s[16:17], 0
                                        ; implicit-def: $vgpr10
	s_and_saveexec_b64 s[4:5], vcc
	s_xor_b64 s[4:5], exec, s[4:5]
	s_cbranch_execz .LBB2974_155
; %bb.150:
	v_cmp_lt_i64_e32 vcc, 22, v[0:1]
	s_and_saveexec_b64 s[16:17], vcc
	s_xor_b64 s[16:17], exec, s[16:17]
	s_cbranch_execz .LBB2974_152
; %bb.151:
	v_mov_b32_e32 v2, 0
	s_waitcnt lgkmcnt(0)
	global_store_short v2, v29, s[14:15]
                                        ; implicit-def: $vgpr28
.LBB2974_152:
	s_or_saveexec_b64 s[16:17], s[16:17]
	s_mov_b64 s[18:19], 0
	s_xor_b64 exec, exec, s[16:17]
; %bb.153:
	s_mov_b64 s[18:19], exec
; %bb.154:
	s_or_b64 exec, exec, s[16:17]
	s_and_b64 s[16:17], s[18:19], exec
	s_waitcnt lgkmcnt(0)
	v_mov_b32_e32 v10, v28
                                        ; implicit-def: $vgpr11
.LBB2974_155:
	s_andn2_saveexec_b64 s[4:5], s[4:5]
; %bb.156:
	s_mov_b64 s[6:7], exec
                                        ; implicit-def: $vgpr10
; %bb.157:
	s_or_b64 exec, exec, s[4:5]
	s_and_b64 s[4:5], s[16:17], exec
	s_and_b64 s[6:7], s[6:7], exec
                                        ; implicit-def: $vgpr26
                                        ; implicit-def: $vgpr12
                                        ; implicit-def: $vgpr23
.LBB2974_158:
	s_andn2_saveexec_b64 s[12:13], s[12:13]
	s_cbranch_execz .LBB2974_168
; %bb.159:
	v_cmp_lt_i64_e32 vcc, 18, v[0:1]
	s_mov_b64 s[16:17], 0
	s_and_saveexec_b64 s[8:9], vcc
	s_xor_b64 s[8:9], exec, s[8:9]
	s_cbranch_execz .LBB2974_165
; %bb.160:
	v_cmp_lt_i64_e32 vcc, 19, v[0:1]
	s_and_saveexec_b64 s[18:19], vcc
	s_xor_b64 s[18:19], exec, s[18:19]
; %bb.161:
	s_mov_b64 s[16:17], exec
                                        ; implicit-def: $vgpr23
; %bb.162:
	s_andn2_saveexec_b64 s[18:19], s[18:19]
	s_cbranch_execz .LBB2974_164
; %bb.163:
	v_mov_b32_e32 v2, 0
	s_waitcnt lgkmcnt(0)
	global_store_short v2, v23, s[14:15]
                                        ; implicit-def: $vgpr12
.LBB2974_164:
	s_or_b64 exec, exec, s[18:19]
	s_and_b64 s[16:17], s[16:17], exec
                                        ; implicit-def: $vgpr26
.LBB2974_165:
	s_andn2_saveexec_b64 s[8:9], s[8:9]
	s_cbranch_execz .LBB2974_167
; %bb.166:
	v_mov_b32_e32 v2, 0
	s_waitcnt lgkmcnt(0)
	global_store_short v2, v26, s[14:15]
                                        ; implicit-def: $vgpr12
.LBB2974_167:
	s_or_b64 exec, exec, s[8:9]
	s_and_b64 s[8:9], s[16:17], exec
                                        ; implicit-def: $vgpr10
                                        ; implicit-def: $vgpr11
.LBB2974_168:
	s_or_b64 exec, exec, s[12:13]
	s_and_b64 s[4:5], s[4:5], exec
	s_and_b64 s[6:7], s[6:7], exec
	;; [unrolled: 1-line block ×3, first 2 shown]
                                        ; implicit-def: $vgpr18
                                        ; implicit-def: $vgpr13
                                        ; implicit-def: $vgpr14
                                        ; implicit-def: $vgpr24
                                        ; implicit-def: $vgpr27
.LBB2974_169:
	s_andn2_saveexec_b64 s[10:11], s[10:11]
	s_cbranch_execz .LBB2974_191
; %bb.170:
	v_cmp_lt_i64_e32 vcc, 14, v[0:1]
	s_mov_b64 s[12:13], s[4:5]
	s_and_saveexec_b64 s[16:17], vcc
	s_xor_b64 s[16:17], exec, s[16:17]
	s_cbranch_execz .LBB2974_180
; %bb.171:
	v_cmp_lt_i64_e32 vcc, 15, v[0:1]
	s_and_saveexec_b64 s[12:13], vcc
	s_xor_b64 s[12:13], exec, s[12:13]
	s_cbranch_execz .LBB2974_177
; %bb.172:
	v_cmp_lt_i64_e32 vcc, 16, v[0:1]
	s_and_saveexec_b64 s[18:19], vcc
	s_xor_b64 s[18:19], exec, s[18:19]
	s_cbranch_execz .LBB2974_174
; %bb.173:
	v_mov_b32_e32 v2, 0
	s_waitcnt lgkmcnt(0)
	global_store_short v2, v27, s[14:15]
                                        ; implicit-def: $vgpr24
.LBB2974_174:
	s_andn2_saveexec_b64 s[18:19], s[18:19]
	s_cbranch_execz .LBB2974_176
; %bb.175:
	v_mov_b32_e32 v2, 0
	s_waitcnt lgkmcnt(0)
	global_store_short v2, v24, s[14:15]
.LBB2974_176:
	s_or_b64 exec, exec, s[18:19]
                                        ; implicit-def: $vgpr10
.LBB2974_177:
	s_or_saveexec_b64 s[12:13], s[12:13]
	s_mov_b64 s[18:19], s[4:5]
	s_xor_b64 exec, exec, s[12:13]
; %bb.178:
	s_or_b64 s[18:19], s[4:5], exec
; %bb.179:
	s_or_b64 exec, exec, s[12:13]
	s_andn2_b64 s[12:13], s[4:5], exec
	s_and_b64 s[18:19], s[18:19], exec
	s_or_b64 s[12:13], s[12:13], s[18:19]
                                        ; implicit-def: $vgpr18
                                        ; implicit-def: $vgpr13
                                        ; implicit-def: $vgpr14
.LBB2974_180:
	s_or_saveexec_b64 s[16:17], s[16:17]
	s_mov_b64 s[18:19], s[6:7]
                                        ; implicit-def: $vgpr11
	s_xor_b64 exec, exec, s[16:17]
	s_cbranch_execz .LBB2974_190
; %bb.181:
	v_cmp_lt_i64_e32 vcc, 12, v[0:1]
	s_mov_b64 s[20:21], s[6:7]
	s_mov_b64 s[22:23], s[12:13]
                                        ; implicit-def: $vgpr10
                                        ; implicit-def: $vgpr11
	s_and_saveexec_b64 s[18:19], vcc
	s_xor_b64 s[18:19], exec, s[18:19]
	s_cbranch_execz .LBB2974_187
; %bb.182:
	v_cmp_lt_i64_e32 vcc, 13, v[0:1]
	s_mov_b64 s[20:21], s[12:13]
	s_and_saveexec_b64 s[22:23], vcc
	s_xor_b64 s[22:23], exec, s[22:23]
; %bb.183:
	s_or_b64 s[20:21], s[12:13], exec
                                        ; implicit-def: $vgpr13
; %bb.184:
	s_or_saveexec_b64 s[22:23], s[22:23]
	s_mov_b64 s[24:25], s[6:7]
	s_xor_b64 exec, exec, s[22:23]
; %bb.185:
	s_or_b64 s[24:25], s[6:7], exec
                                        ; implicit-def: $vgpr14
; %bb.186:
	s_or_b64 exec, exec, s[22:23]
	s_andn2_b64 s[22:23], s[12:13], exec
	s_and_b64 s[20:21], s[20:21], exec
	s_or_b64 s[22:23], s[22:23], s[20:21]
	s_andn2_b64 s[20:21], s[6:7], exec
	s_and_b64 s[24:25], s[24:25], exec
	s_or_b64 s[20:21], s[20:21], s[24:25]
	s_waitcnt lgkmcnt(0)
	v_mov_b32_e32 v10, v14
	v_mov_b32_e32 v11, v13
                                        ; implicit-def: $vgpr18
.LBB2974_187:
	s_andn2_saveexec_b64 s[18:19], s[18:19]
	s_cbranch_execz .LBB2974_189
; %bb.188:
	s_or_b64 s[20:21], s[20:21], exec
                                        ; implicit-def: $vgpr10
	s_waitcnt lgkmcnt(0)
	v_mov_b32_e32 v11, v18
.LBB2974_189:
	s_or_b64 exec, exec, s[18:19]
	s_andn2_b64 s[12:13], s[12:13], exec
	s_and_b64 s[18:19], s[22:23], exec
	s_or_b64 s[12:13], s[12:13], s[18:19]
	s_andn2_b64 s[18:19], s[6:7], exec
	s_and_b64 s[20:21], s[20:21], exec
	s_or_b64 s[18:19], s[18:19], s[20:21]
.LBB2974_190:
	s_or_b64 exec, exec, s[16:17]
	s_andn2_b64 s[4:5], s[4:5], exec
	s_and_b64 s[12:13], s[12:13], exec
	s_or_b64 s[4:5], s[4:5], s[12:13]
	s_andn2_b64 s[6:7], s[6:7], exec
	s_and_b64 s[12:13], s[18:19], exec
	s_or_b64 s[6:7], s[6:7], s[12:13]
                                        ; implicit-def: $vgpr12
.LBB2974_191:
	s_or_b64 exec, exec, s[10:11]
	s_and_b64 s[4:5], s[4:5], exec
	s_and_b64 s[6:7], s[6:7], exec
	;; [unrolled: 1-line block ×3, first 2 shown]
                                        ; implicit-def: $vgpr17
                                        ; implicit-def: $vgpr15
                                        ; implicit-def: $vgpr16
                                        ; implicit-def: $vgpr25
                                        ; implicit-def: $vgpr22
                                        ; implicit-def: $vgpr19
	s_andn2_saveexec_b64 s[2:3], s[2:3]
	s_cbranch_execz .LBB2974_142
.LBB2974_192:
	v_cmp_lt_i64_e32 vcc, 5, v[0:1]
	s_mov_b64 s[12:13], -1
	s_mov_b64 s[10:11], s[8:9]
	s_mov_b64 s[16:17], s[6:7]
	;; [unrolled: 1-line block ×3, first 2 shown]
                                        ; implicit-def: $vgpr10
                                        ; implicit-def: $vgpr11
                                        ; implicit-def: $vgpr12
	s_and_saveexec_b64 s[0:1], vcc
	s_cbranch_execz .LBB2974_208
; %bb.193:
	v_cmp_lt_i64_e32 vcc, 8, v[0:1]
	s_mov_b64 s[10:11], s[8:9]
                                        ; implicit-def: $vgpr12
	s_and_saveexec_b64 s[12:13], vcc
	s_xor_b64 s[12:13], exec, s[12:13]
	s_cbranch_execz .LBB2974_203
; %bb.194:
	v_cmp_lt_i64_e32 vcc, 9, v[0:1]
	s_and_saveexec_b64 s[10:11], vcc
	s_xor_b64 s[10:11], exec, s[10:11]
	s_cbranch_execz .LBB2974_200
; %bb.195:
	v_cmp_lt_i64_e32 vcc, 10, v[0:1]
	s_and_saveexec_b64 s[16:17], vcc
	s_xor_b64 s[16:17], exec, s[16:17]
; %bb.196:
                                        ; implicit-def: $vgpr22
; %bb.197:
	s_andn2_saveexec_b64 s[16:17], s[16:17]
	s_cbranch_execz .LBB2974_199
; %bb.198:
	s_waitcnt lgkmcnt(0)
	v_mov_b32_e32 v19, v22
.LBB2974_199:
	s_or_b64 exec, exec, s[16:17]
                                        ; implicit-def: $vgpr25
.LBB2974_200:
	s_andn2_saveexec_b64 s[10:11], s[10:11]
	s_cbranch_execz .LBB2974_202
; %bb.201:
	s_waitcnt lgkmcnt(0)
	v_mov_b32_e32 v19, v25
.LBB2974_202:
	s_or_b64 exec, exec, s[10:11]
	s_or_b64 s[10:11], s[8:9], exec
	s_waitcnt lgkmcnt(0)
	v_mov_b32_e32 v12, v19
                                        ; implicit-def: $vgpr17
                                        ; implicit-def: $vgpr15
                                        ; implicit-def: $vgpr16
.LBB2974_203:
	s_or_saveexec_b64 s[12:13], s[12:13]
	s_mov_b64 s[16:17], s[6:7]
	s_mov_b64 s[20:21], s[4:5]
                                        ; implicit-def: $vgpr10
                                        ; implicit-def: $vgpr11
	s_xor_b64 exec, exec, s[12:13]
	s_cbranch_execz .LBB2974_207
; %bb.204:
	v_cmp_lt_i64_e32 vcc, 6, v[0:1]
	s_mov_b64 s[20:21], -1
	s_mov_b64 s[18:19], s[10:11]
	s_mov_b64 s[16:17], s[6:7]
	s_and_saveexec_b64 s[22:23], vcc
; %bb.205:
	v_cmp_lt_i64_e32 vcc, 7, v[0:1]
	s_andn2_b64 s[18:19], s[10:11], exec
	s_and_b64 s[24:25], vcc, exec
	s_xor_b64 s[20:21], exec, -1
	s_or_b64 s[16:17], s[6:7], exec
	s_or_b64 s[18:19], s[18:19], s[24:25]
                                        ; implicit-def: $vgpr17
; %bb.206:
	s_or_b64 exec, exec, s[22:23]
	s_andn2_b64 s[22:23], s[4:5], exec
	s_and_b64 s[20:21], s[20:21], exec
	s_or_b64 s[20:21], s[22:23], s[20:21]
	s_andn2_b64 s[22:23], s[6:7], exec
	s_and_b64 s[16:17], s[16:17], exec
	s_andn2_b64 s[10:11], s[10:11], exec
	s_and_b64 s[18:19], s[18:19], exec
	s_or_b64 s[16:17], s[22:23], s[16:17]
	s_or_b64 s[10:11], s[10:11], s[18:19]
	s_waitcnt lgkmcnt(0)
	v_mov_b32_e32 v10, v17
	v_mov_b32_e32 v11, v15
	;; [unrolled: 1-line block ×3, first 2 shown]
.LBB2974_207:
	s_or_b64 exec, exec, s[12:13]
	s_andn2_b64 s[18:19], s[4:5], exec
	s_and_b64 s[20:21], s[20:21], exec
	s_or_b64 s[18:19], s[18:19], s[20:21]
	s_andn2_b64 s[20:21], s[6:7], exec
	s_and_b64 s[16:17], s[16:17], exec
	s_or_b64 s[16:17], s[20:21], s[16:17]
	s_andn2_b64 s[20:21], s[8:9], exec
	s_and_b64 s[10:11], s[10:11], exec
	s_xor_b64 s[12:13], exec, -1
	s_or_b64 s[10:11], s[20:21], s[10:11]
.LBB2974_208:
	s_or_b64 exec, exec, s[0:1]
	s_and_b64 s[0:1], s[12:13], exec
	s_andn2_b64 s[4:5], s[4:5], exec
	s_and_b64 s[12:13], s[18:19], exec
	s_or_b64 s[4:5], s[4:5], s[12:13]
	s_andn2_b64 s[6:7], s[6:7], exec
	s_and_b64 s[12:13], s[16:17], exec
	s_andn2_b64 s[8:9], s[8:9], exec
	s_and_b64 s[10:11], s[10:11], exec
	s_or_b64 s[6:7], s[6:7], s[12:13]
	s_or_b64 s[8:9], s[8:9], s[10:11]
	s_or_b64 exec, exec, s[2:3]
	s_and_saveexec_b64 s[2:3], s[8:9]
	s_cbranch_execz .LBB2974_143
.LBB2974_209:
	v_mov_b32_e32 v2, 0
	s_andn2_b64 s[6:7], s[6:7], exec
	s_waitcnt lgkmcnt(0)
	global_store_short v2, v12, s[14:15]
                                        ; implicit-def: $vgpr10
                                        ; implicit-def: $vgpr11
	s_or_b64 exec, exec, s[2:3]
	s_and_saveexec_b64 s[2:3], s[6:7]
	s_cbranch_execz .LBB2974_144
.LBB2974_210:
	v_mov_b32_e32 v2, 0
	s_waitcnt lgkmcnt(0)
	global_store_short v2, v11, s[14:15]
                                        ; implicit-def: $vgpr10
	s_or_b64 exec, exec, s[2:3]
	s_and_saveexec_b64 s[2:3], s[4:5]
	s_xor_b64 s[2:3], exec, s[2:3]
	s_cbranch_execz .LBB2974_145
.LBB2974_211:
	v_mov_b32_e32 v2, 0
	s_waitcnt lgkmcnt(0)
	global_store_short v2, v10, s[14:15]
	s_or_b64 exec, exec, s[2:3]
	s_and_b64 exec, exec, s[0:1]
	s_cbranch_execz .LBB2974_146
.LBB2974_212:
	v_cmp_lt_i64_e32 vcc, 2, v[0:1]
	s_and_saveexec_b64 s[0:1], vcc
	s_xor_b64 s[0:1], exec, s[0:1]
	s_cbranch_execz .LBB2974_222
; %bb.213:
	v_cmp_lt_i64_e32 vcc, 3, v[0:1]
	s_and_saveexec_b64 s[2:3], vcc
	s_xor_b64 s[2:3], exec, s[2:3]
	s_cbranch_execz .LBB2974_219
; %bb.214:
	v_cmp_lt_i64_e32 vcc, 4, v[0:1]
	s_and_saveexec_b64 s[4:5], vcc
	s_xor_b64 s[4:5], exec, s[4:5]
	s_cbranch_execz .LBB2974_216
; %bb.215:
	v_mov_b32_e32 v0, 0
	s_waitcnt lgkmcnt(0)
	global_store_short v0, v9, s[14:15]
                                        ; implicit-def: $vgpr6
.LBB2974_216:
	s_andn2_saveexec_b64 s[4:5], s[4:5]
	s_cbranch_execz .LBB2974_218
; %bb.217:
	v_mov_b32_e32 v0, 0
	s_waitcnt lgkmcnt(0)
	global_store_short v0, v6, s[14:15]
.LBB2974_218:
	s_or_b64 exec, exec, s[4:5]
                                        ; implicit-def: $vgpr8
.LBB2974_219:
	s_andn2_saveexec_b64 s[2:3], s[2:3]
	s_cbranch_execz .LBB2974_221
; %bb.220:
	v_mov_b32_e32 v0, 0
	s_waitcnt lgkmcnt(0)
	global_store_short v0, v8, s[14:15]
.LBB2974_221:
	s_or_b64 exec, exec, s[2:3]
                                        ; implicit-def: $vgpr0_vgpr1
                                        ; implicit-def: $vgpr7
                                        ; implicit-def: $vgpr4
                                        ; implicit-def: $vgpr5
.LBB2974_222:
	s_andn2_saveexec_b64 s[0:1], s[0:1]
	s_cbranch_execz .LBB2974_146
; %bb.223:
	v_cmp_lt_i64_e32 vcc, 1, v[0:1]
	s_and_saveexec_b64 s[0:1], vcc
	s_xor_b64 s[0:1], exec, s[0:1]
	s_cbranch_execz .LBB2974_225
; %bb.224:
	v_mov_b32_e32 v0, 0
	s_waitcnt lgkmcnt(0)
	global_store_short v0, v7, s[14:15]
                                        ; implicit-def: $vgpr4
                                        ; implicit-def: $vgpr0_vgpr1
                                        ; implicit-def: $vgpr5
.LBB2974_225:
	s_andn2_saveexec_b64 s[0:1], s[0:1]
	s_cbranch_execz .LBB2974_146
; %bb.226:
	v_cmp_ne_u64_e32 vcc, 1, v[0:1]
	s_and_saveexec_b64 s[0:1], vcc
	s_xor_b64 s[0:1], exec, s[0:1]
	s_cbranch_execz .LBB2974_228
; %bb.227:
	v_mov_b32_e32 v0, 0
	s_waitcnt lgkmcnt(0)
	global_store_short v0, v5, s[14:15]
                                        ; implicit-def: $vgpr4
.LBB2974_228:
	s_andn2_saveexec_b64 s[0:1], s[0:1]
	s_cbranch_execz .LBB2974_146
; %bb.229:
	v_mov_b32_e32 v0, 0
	s_waitcnt lgkmcnt(0)
	global_store_short v0, v4, s[14:15]
	s_endpgm
	.section	.rodata,"a",@progbits
	.p2align	6, 0x0
	.amdhsa_kernel _ZN7rocprim17ROCPRIM_400000_NS6detail17trampoline_kernelINS0_14default_configENS1_20scan_config_selectorIsEEZZNS1_9scan_implILNS1_25lookback_scan_determinismE0ELb1ELb1ES3_N6thrust23THRUST_200600_302600_NS6detail15normal_iteratorINS9_10device_ptrIsEEEESE_s11max_functorIsEsEEDaPvRmT3_T4_T5_mT6_P12ihipStream_tbENKUlT_T0_E_clISt17integral_constantIbLb0EEST_IbLb1EEEEDaSP_SQ_EUlSP_E_NS1_11comp_targetILNS1_3genE4ELNS1_11target_archE910ELNS1_3gpuE8ELNS1_3repE0EEENS1_30default_config_static_selectorELNS0_4arch9wavefront6targetE1EEEvT1_
		.amdhsa_group_segment_fixed_size 3072
		.amdhsa_private_segment_fixed_size 0
		.amdhsa_kernarg_size 96
		.amdhsa_user_sgpr_count 6
		.amdhsa_user_sgpr_private_segment_buffer 1
		.amdhsa_user_sgpr_dispatch_ptr 0
		.amdhsa_user_sgpr_queue_ptr 0
		.amdhsa_user_sgpr_kernarg_segment_ptr 1
		.amdhsa_user_sgpr_dispatch_id 0
		.amdhsa_user_sgpr_flat_scratch_init 0
		.amdhsa_user_sgpr_kernarg_preload_length 0
		.amdhsa_user_sgpr_kernarg_preload_offset 0
		.amdhsa_user_sgpr_private_segment_size 0
		.amdhsa_uses_dynamic_stack 0
		.amdhsa_system_sgpr_private_segment_wavefront_offset 0
		.amdhsa_system_sgpr_workgroup_id_x 1
		.amdhsa_system_sgpr_workgroup_id_y 0
		.amdhsa_system_sgpr_workgroup_id_z 0
		.amdhsa_system_sgpr_workgroup_info 0
		.amdhsa_system_vgpr_workitem_id 0
		.amdhsa_next_free_vgpr 58
		.amdhsa_next_free_sgpr 39
		.amdhsa_accum_offset 60
		.amdhsa_reserve_vcc 1
		.amdhsa_reserve_flat_scratch 0
		.amdhsa_float_round_mode_32 0
		.amdhsa_float_round_mode_16_64 0
		.amdhsa_float_denorm_mode_32 3
		.amdhsa_float_denorm_mode_16_64 3
		.amdhsa_dx10_clamp 1
		.amdhsa_ieee_mode 1
		.amdhsa_fp16_overflow 0
		.amdhsa_tg_split 0
		.amdhsa_exception_fp_ieee_invalid_op 0
		.amdhsa_exception_fp_denorm_src 0
		.amdhsa_exception_fp_ieee_div_zero 0
		.amdhsa_exception_fp_ieee_overflow 0
		.amdhsa_exception_fp_ieee_underflow 0
		.amdhsa_exception_fp_ieee_inexact 0
		.amdhsa_exception_int_div_zero 0
	.end_amdhsa_kernel
	.section	.text._ZN7rocprim17ROCPRIM_400000_NS6detail17trampoline_kernelINS0_14default_configENS1_20scan_config_selectorIsEEZZNS1_9scan_implILNS1_25lookback_scan_determinismE0ELb1ELb1ES3_N6thrust23THRUST_200600_302600_NS6detail15normal_iteratorINS9_10device_ptrIsEEEESE_s11max_functorIsEsEEDaPvRmT3_T4_T5_mT6_P12ihipStream_tbENKUlT_T0_E_clISt17integral_constantIbLb0EEST_IbLb1EEEEDaSP_SQ_EUlSP_E_NS1_11comp_targetILNS1_3genE4ELNS1_11target_archE910ELNS1_3gpuE8ELNS1_3repE0EEENS1_30default_config_static_selectorELNS0_4arch9wavefront6targetE1EEEvT1_,"axG",@progbits,_ZN7rocprim17ROCPRIM_400000_NS6detail17trampoline_kernelINS0_14default_configENS1_20scan_config_selectorIsEEZZNS1_9scan_implILNS1_25lookback_scan_determinismE0ELb1ELb1ES3_N6thrust23THRUST_200600_302600_NS6detail15normal_iteratorINS9_10device_ptrIsEEEESE_s11max_functorIsEsEEDaPvRmT3_T4_T5_mT6_P12ihipStream_tbENKUlT_T0_E_clISt17integral_constantIbLb0EEST_IbLb1EEEEDaSP_SQ_EUlSP_E_NS1_11comp_targetILNS1_3genE4ELNS1_11target_archE910ELNS1_3gpuE8ELNS1_3repE0EEENS1_30default_config_static_selectorELNS0_4arch9wavefront6targetE1EEEvT1_,comdat
.Lfunc_end2974:
	.size	_ZN7rocprim17ROCPRIM_400000_NS6detail17trampoline_kernelINS0_14default_configENS1_20scan_config_selectorIsEEZZNS1_9scan_implILNS1_25lookback_scan_determinismE0ELb1ELb1ES3_N6thrust23THRUST_200600_302600_NS6detail15normal_iteratorINS9_10device_ptrIsEEEESE_s11max_functorIsEsEEDaPvRmT3_T4_T5_mT6_P12ihipStream_tbENKUlT_T0_E_clISt17integral_constantIbLb0EEST_IbLb1EEEEDaSP_SQ_EUlSP_E_NS1_11comp_targetILNS1_3genE4ELNS1_11target_archE910ELNS1_3gpuE8ELNS1_3repE0EEENS1_30default_config_static_selectorELNS0_4arch9wavefront6targetE1EEEvT1_, .Lfunc_end2974-_ZN7rocprim17ROCPRIM_400000_NS6detail17trampoline_kernelINS0_14default_configENS1_20scan_config_selectorIsEEZZNS1_9scan_implILNS1_25lookback_scan_determinismE0ELb1ELb1ES3_N6thrust23THRUST_200600_302600_NS6detail15normal_iteratorINS9_10device_ptrIsEEEESE_s11max_functorIsEsEEDaPvRmT3_T4_T5_mT6_P12ihipStream_tbENKUlT_T0_E_clISt17integral_constantIbLb0EEST_IbLb1EEEEDaSP_SQ_EUlSP_E_NS1_11comp_targetILNS1_3genE4ELNS1_11target_archE910ELNS1_3gpuE8ELNS1_3repE0EEENS1_30default_config_static_selectorELNS0_4arch9wavefront6targetE1EEEvT1_
                                        ; -- End function
	.section	.AMDGPU.csdata,"",@progbits
; Kernel info:
; codeLenInByte = 7984
; NumSgprs: 43
; NumVgprs: 58
; NumAgprs: 0
; TotalNumVgprs: 58
; ScratchSize: 0
; MemoryBound: 0
; FloatMode: 240
; IeeeMode: 1
; LDSByteSize: 3072 bytes/workgroup (compile time only)
; SGPRBlocks: 5
; VGPRBlocks: 7
; NumSGPRsForWavesPerEU: 43
; NumVGPRsForWavesPerEU: 58
; AccumOffset: 60
; Occupancy: 6
; WaveLimiterHint : 1
; COMPUTE_PGM_RSRC2:SCRATCH_EN: 0
; COMPUTE_PGM_RSRC2:USER_SGPR: 6
; COMPUTE_PGM_RSRC2:TRAP_HANDLER: 0
; COMPUTE_PGM_RSRC2:TGID_X_EN: 1
; COMPUTE_PGM_RSRC2:TGID_Y_EN: 0
; COMPUTE_PGM_RSRC2:TGID_Z_EN: 0
; COMPUTE_PGM_RSRC2:TIDIG_COMP_CNT: 0
; COMPUTE_PGM_RSRC3_GFX90A:ACCUM_OFFSET: 14
; COMPUTE_PGM_RSRC3_GFX90A:TG_SPLIT: 0
	.section	.text._ZN7rocprim17ROCPRIM_400000_NS6detail17trampoline_kernelINS0_14default_configENS1_20scan_config_selectorIsEEZZNS1_9scan_implILNS1_25lookback_scan_determinismE0ELb1ELb1ES3_N6thrust23THRUST_200600_302600_NS6detail15normal_iteratorINS9_10device_ptrIsEEEESE_s11max_functorIsEsEEDaPvRmT3_T4_T5_mT6_P12ihipStream_tbENKUlT_T0_E_clISt17integral_constantIbLb0EEST_IbLb1EEEEDaSP_SQ_EUlSP_E_NS1_11comp_targetILNS1_3genE3ELNS1_11target_archE908ELNS1_3gpuE7ELNS1_3repE0EEENS1_30default_config_static_selectorELNS0_4arch9wavefront6targetE1EEEvT1_,"axG",@progbits,_ZN7rocprim17ROCPRIM_400000_NS6detail17trampoline_kernelINS0_14default_configENS1_20scan_config_selectorIsEEZZNS1_9scan_implILNS1_25lookback_scan_determinismE0ELb1ELb1ES3_N6thrust23THRUST_200600_302600_NS6detail15normal_iteratorINS9_10device_ptrIsEEEESE_s11max_functorIsEsEEDaPvRmT3_T4_T5_mT6_P12ihipStream_tbENKUlT_T0_E_clISt17integral_constantIbLb0EEST_IbLb1EEEEDaSP_SQ_EUlSP_E_NS1_11comp_targetILNS1_3genE3ELNS1_11target_archE908ELNS1_3gpuE7ELNS1_3repE0EEENS1_30default_config_static_selectorELNS0_4arch9wavefront6targetE1EEEvT1_,comdat
	.protected	_ZN7rocprim17ROCPRIM_400000_NS6detail17trampoline_kernelINS0_14default_configENS1_20scan_config_selectorIsEEZZNS1_9scan_implILNS1_25lookback_scan_determinismE0ELb1ELb1ES3_N6thrust23THRUST_200600_302600_NS6detail15normal_iteratorINS9_10device_ptrIsEEEESE_s11max_functorIsEsEEDaPvRmT3_T4_T5_mT6_P12ihipStream_tbENKUlT_T0_E_clISt17integral_constantIbLb0EEST_IbLb1EEEEDaSP_SQ_EUlSP_E_NS1_11comp_targetILNS1_3genE3ELNS1_11target_archE908ELNS1_3gpuE7ELNS1_3repE0EEENS1_30default_config_static_selectorELNS0_4arch9wavefront6targetE1EEEvT1_ ; -- Begin function _ZN7rocprim17ROCPRIM_400000_NS6detail17trampoline_kernelINS0_14default_configENS1_20scan_config_selectorIsEEZZNS1_9scan_implILNS1_25lookback_scan_determinismE0ELb1ELb1ES3_N6thrust23THRUST_200600_302600_NS6detail15normal_iteratorINS9_10device_ptrIsEEEESE_s11max_functorIsEsEEDaPvRmT3_T4_T5_mT6_P12ihipStream_tbENKUlT_T0_E_clISt17integral_constantIbLb0EEST_IbLb1EEEEDaSP_SQ_EUlSP_E_NS1_11comp_targetILNS1_3genE3ELNS1_11target_archE908ELNS1_3gpuE7ELNS1_3repE0EEENS1_30default_config_static_selectorELNS0_4arch9wavefront6targetE1EEEvT1_
	.globl	_ZN7rocprim17ROCPRIM_400000_NS6detail17trampoline_kernelINS0_14default_configENS1_20scan_config_selectorIsEEZZNS1_9scan_implILNS1_25lookback_scan_determinismE0ELb1ELb1ES3_N6thrust23THRUST_200600_302600_NS6detail15normal_iteratorINS9_10device_ptrIsEEEESE_s11max_functorIsEsEEDaPvRmT3_T4_T5_mT6_P12ihipStream_tbENKUlT_T0_E_clISt17integral_constantIbLb0EEST_IbLb1EEEEDaSP_SQ_EUlSP_E_NS1_11comp_targetILNS1_3genE3ELNS1_11target_archE908ELNS1_3gpuE7ELNS1_3repE0EEENS1_30default_config_static_selectorELNS0_4arch9wavefront6targetE1EEEvT1_
	.p2align	8
	.type	_ZN7rocprim17ROCPRIM_400000_NS6detail17trampoline_kernelINS0_14default_configENS1_20scan_config_selectorIsEEZZNS1_9scan_implILNS1_25lookback_scan_determinismE0ELb1ELb1ES3_N6thrust23THRUST_200600_302600_NS6detail15normal_iteratorINS9_10device_ptrIsEEEESE_s11max_functorIsEsEEDaPvRmT3_T4_T5_mT6_P12ihipStream_tbENKUlT_T0_E_clISt17integral_constantIbLb0EEST_IbLb1EEEEDaSP_SQ_EUlSP_E_NS1_11comp_targetILNS1_3genE3ELNS1_11target_archE908ELNS1_3gpuE7ELNS1_3repE0EEENS1_30default_config_static_selectorELNS0_4arch9wavefront6targetE1EEEvT1_,@function
_ZN7rocprim17ROCPRIM_400000_NS6detail17trampoline_kernelINS0_14default_configENS1_20scan_config_selectorIsEEZZNS1_9scan_implILNS1_25lookback_scan_determinismE0ELb1ELb1ES3_N6thrust23THRUST_200600_302600_NS6detail15normal_iteratorINS9_10device_ptrIsEEEESE_s11max_functorIsEsEEDaPvRmT3_T4_T5_mT6_P12ihipStream_tbENKUlT_T0_E_clISt17integral_constantIbLb0EEST_IbLb1EEEEDaSP_SQ_EUlSP_E_NS1_11comp_targetILNS1_3genE3ELNS1_11target_archE908ELNS1_3gpuE7ELNS1_3repE0EEENS1_30default_config_static_selectorELNS0_4arch9wavefront6targetE1EEEvT1_: ; @_ZN7rocprim17ROCPRIM_400000_NS6detail17trampoline_kernelINS0_14default_configENS1_20scan_config_selectorIsEEZZNS1_9scan_implILNS1_25lookback_scan_determinismE0ELb1ELb1ES3_N6thrust23THRUST_200600_302600_NS6detail15normal_iteratorINS9_10device_ptrIsEEEESE_s11max_functorIsEsEEDaPvRmT3_T4_T5_mT6_P12ihipStream_tbENKUlT_T0_E_clISt17integral_constantIbLb0EEST_IbLb1EEEEDaSP_SQ_EUlSP_E_NS1_11comp_targetILNS1_3genE3ELNS1_11target_archE908ELNS1_3gpuE7ELNS1_3repE0EEENS1_30default_config_static_selectorELNS0_4arch9wavefront6targetE1EEEvT1_
; %bb.0:
	.section	.rodata,"a",@progbits
	.p2align	6, 0x0
	.amdhsa_kernel _ZN7rocprim17ROCPRIM_400000_NS6detail17trampoline_kernelINS0_14default_configENS1_20scan_config_selectorIsEEZZNS1_9scan_implILNS1_25lookback_scan_determinismE0ELb1ELb1ES3_N6thrust23THRUST_200600_302600_NS6detail15normal_iteratorINS9_10device_ptrIsEEEESE_s11max_functorIsEsEEDaPvRmT3_T4_T5_mT6_P12ihipStream_tbENKUlT_T0_E_clISt17integral_constantIbLb0EEST_IbLb1EEEEDaSP_SQ_EUlSP_E_NS1_11comp_targetILNS1_3genE3ELNS1_11target_archE908ELNS1_3gpuE7ELNS1_3repE0EEENS1_30default_config_static_selectorELNS0_4arch9wavefront6targetE1EEEvT1_
		.amdhsa_group_segment_fixed_size 0
		.amdhsa_private_segment_fixed_size 0
		.amdhsa_kernarg_size 96
		.amdhsa_user_sgpr_count 6
		.amdhsa_user_sgpr_private_segment_buffer 1
		.amdhsa_user_sgpr_dispatch_ptr 0
		.amdhsa_user_sgpr_queue_ptr 0
		.amdhsa_user_sgpr_kernarg_segment_ptr 1
		.amdhsa_user_sgpr_dispatch_id 0
		.amdhsa_user_sgpr_flat_scratch_init 0
		.amdhsa_user_sgpr_kernarg_preload_length 0
		.amdhsa_user_sgpr_kernarg_preload_offset 0
		.amdhsa_user_sgpr_private_segment_size 0
		.amdhsa_uses_dynamic_stack 0
		.amdhsa_system_sgpr_private_segment_wavefront_offset 0
		.amdhsa_system_sgpr_workgroup_id_x 1
		.amdhsa_system_sgpr_workgroup_id_y 0
		.amdhsa_system_sgpr_workgroup_id_z 0
		.amdhsa_system_sgpr_workgroup_info 0
		.amdhsa_system_vgpr_workitem_id 0
		.amdhsa_next_free_vgpr 1
		.amdhsa_next_free_sgpr 0
		.amdhsa_accum_offset 4
		.amdhsa_reserve_vcc 0
		.amdhsa_reserve_flat_scratch 0
		.amdhsa_float_round_mode_32 0
		.amdhsa_float_round_mode_16_64 0
		.amdhsa_float_denorm_mode_32 3
		.amdhsa_float_denorm_mode_16_64 3
		.amdhsa_dx10_clamp 1
		.amdhsa_ieee_mode 1
		.amdhsa_fp16_overflow 0
		.amdhsa_tg_split 0
		.amdhsa_exception_fp_ieee_invalid_op 0
		.amdhsa_exception_fp_denorm_src 0
		.amdhsa_exception_fp_ieee_div_zero 0
		.amdhsa_exception_fp_ieee_overflow 0
		.amdhsa_exception_fp_ieee_underflow 0
		.amdhsa_exception_fp_ieee_inexact 0
		.amdhsa_exception_int_div_zero 0
	.end_amdhsa_kernel
	.section	.text._ZN7rocprim17ROCPRIM_400000_NS6detail17trampoline_kernelINS0_14default_configENS1_20scan_config_selectorIsEEZZNS1_9scan_implILNS1_25lookback_scan_determinismE0ELb1ELb1ES3_N6thrust23THRUST_200600_302600_NS6detail15normal_iteratorINS9_10device_ptrIsEEEESE_s11max_functorIsEsEEDaPvRmT3_T4_T5_mT6_P12ihipStream_tbENKUlT_T0_E_clISt17integral_constantIbLb0EEST_IbLb1EEEEDaSP_SQ_EUlSP_E_NS1_11comp_targetILNS1_3genE3ELNS1_11target_archE908ELNS1_3gpuE7ELNS1_3repE0EEENS1_30default_config_static_selectorELNS0_4arch9wavefront6targetE1EEEvT1_,"axG",@progbits,_ZN7rocprim17ROCPRIM_400000_NS6detail17trampoline_kernelINS0_14default_configENS1_20scan_config_selectorIsEEZZNS1_9scan_implILNS1_25lookback_scan_determinismE0ELb1ELb1ES3_N6thrust23THRUST_200600_302600_NS6detail15normal_iteratorINS9_10device_ptrIsEEEESE_s11max_functorIsEsEEDaPvRmT3_T4_T5_mT6_P12ihipStream_tbENKUlT_T0_E_clISt17integral_constantIbLb0EEST_IbLb1EEEEDaSP_SQ_EUlSP_E_NS1_11comp_targetILNS1_3genE3ELNS1_11target_archE908ELNS1_3gpuE7ELNS1_3repE0EEENS1_30default_config_static_selectorELNS0_4arch9wavefront6targetE1EEEvT1_,comdat
.Lfunc_end2975:
	.size	_ZN7rocprim17ROCPRIM_400000_NS6detail17trampoline_kernelINS0_14default_configENS1_20scan_config_selectorIsEEZZNS1_9scan_implILNS1_25lookback_scan_determinismE0ELb1ELb1ES3_N6thrust23THRUST_200600_302600_NS6detail15normal_iteratorINS9_10device_ptrIsEEEESE_s11max_functorIsEsEEDaPvRmT3_T4_T5_mT6_P12ihipStream_tbENKUlT_T0_E_clISt17integral_constantIbLb0EEST_IbLb1EEEEDaSP_SQ_EUlSP_E_NS1_11comp_targetILNS1_3genE3ELNS1_11target_archE908ELNS1_3gpuE7ELNS1_3repE0EEENS1_30default_config_static_selectorELNS0_4arch9wavefront6targetE1EEEvT1_, .Lfunc_end2975-_ZN7rocprim17ROCPRIM_400000_NS6detail17trampoline_kernelINS0_14default_configENS1_20scan_config_selectorIsEEZZNS1_9scan_implILNS1_25lookback_scan_determinismE0ELb1ELb1ES3_N6thrust23THRUST_200600_302600_NS6detail15normal_iteratorINS9_10device_ptrIsEEEESE_s11max_functorIsEsEEDaPvRmT3_T4_T5_mT6_P12ihipStream_tbENKUlT_T0_E_clISt17integral_constantIbLb0EEST_IbLb1EEEEDaSP_SQ_EUlSP_E_NS1_11comp_targetILNS1_3genE3ELNS1_11target_archE908ELNS1_3gpuE7ELNS1_3repE0EEENS1_30default_config_static_selectorELNS0_4arch9wavefront6targetE1EEEvT1_
                                        ; -- End function
	.section	.AMDGPU.csdata,"",@progbits
; Kernel info:
; codeLenInByte = 0
; NumSgprs: 4
; NumVgprs: 0
; NumAgprs: 0
; TotalNumVgprs: 0
; ScratchSize: 0
; MemoryBound: 0
; FloatMode: 240
; IeeeMode: 1
; LDSByteSize: 0 bytes/workgroup (compile time only)
; SGPRBlocks: 0
; VGPRBlocks: 0
; NumSGPRsForWavesPerEU: 4
; NumVGPRsForWavesPerEU: 1
; AccumOffset: 4
; Occupancy: 8
; WaveLimiterHint : 0
; COMPUTE_PGM_RSRC2:SCRATCH_EN: 0
; COMPUTE_PGM_RSRC2:USER_SGPR: 6
; COMPUTE_PGM_RSRC2:TRAP_HANDLER: 0
; COMPUTE_PGM_RSRC2:TGID_X_EN: 1
; COMPUTE_PGM_RSRC2:TGID_Y_EN: 0
; COMPUTE_PGM_RSRC2:TGID_Z_EN: 0
; COMPUTE_PGM_RSRC2:TIDIG_COMP_CNT: 0
; COMPUTE_PGM_RSRC3_GFX90A:ACCUM_OFFSET: 0
; COMPUTE_PGM_RSRC3_GFX90A:TG_SPLIT: 0
	.section	.text._ZN7rocprim17ROCPRIM_400000_NS6detail17trampoline_kernelINS0_14default_configENS1_20scan_config_selectorIsEEZZNS1_9scan_implILNS1_25lookback_scan_determinismE0ELb1ELb1ES3_N6thrust23THRUST_200600_302600_NS6detail15normal_iteratorINS9_10device_ptrIsEEEESE_s11max_functorIsEsEEDaPvRmT3_T4_T5_mT6_P12ihipStream_tbENKUlT_T0_E_clISt17integral_constantIbLb0EEST_IbLb1EEEEDaSP_SQ_EUlSP_E_NS1_11comp_targetILNS1_3genE2ELNS1_11target_archE906ELNS1_3gpuE6ELNS1_3repE0EEENS1_30default_config_static_selectorELNS0_4arch9wavefront6targetE1EEEvT1_,"axG",@progbits,_ZN7rocprim17ROCPRIM_400000_NS6detail17trampoline_kernelINS0_14default_configENS1_20scan_config_selectorIsEEZZNS1_9scan_implILNS1_25lookback_scan_determinismE0ELb1ELb1ES3_N6thrust23THRUST_200600_302600_NS6detail15normal_iteratorINS9_10device_ptrIsEEEESE_s11max_functorIsEsEEDaPvRmT3_T4_T5_mT6_P12ihipStream_tbENKUlT_T0_E_clISt17integral_constantIbLb0EEST_IbLb1EEEEDaSP_SQ_EUlSP_E_NS1_11comp_targetILNS1_3genE2ELNS1_11target_archE906ELNS1_3gpuE6ELNS1_3repE0EEENS1_30default_config_static_selectorELNS0_4arch9wavefront6targetE1EEEvT1_,comdat
	.protected	_ZN7rocprim17ROCPRIM_400000_NS6detail17trampoline_kernelINS0_14default_configENS1_20scan_config_selectorIsEEZZNS1_9scan_implILNS1_25lookback_scan_determinismE0ELb1ELb1ES3_N6thrust23THRUST_200600_302600_NS6detail15normal_iteratorINS9_10device_ptrIsEEEESE_s11max_functorIsEsEEDaPvRmT3_T4_T5_mT6_P12ihipStream_tbENKUlT_T0_E_clISt17integral_constantIbLb0EEST_IbLb1EEEEDaSP_SQ_EUlSP_E_NS1_11comp_targetILNS1_3genE2ELNS1_11target_archE906ELNS1_3gpuE6ELNS1_3repE0EEENS1_30default_config_static_selectorELNS0_4arch9wavefront6targetE1EEEvT1_ ; -- Begin function _ZN7rocprim17ROCPRIM_400000_NS6detail17trampoline_kernelINS0_14default_configENS1_20scan_config_selectorIsEEZZNS1_9scan_implILNS1_25lookback_scan_determinismE0ELb1ELb1ES3_N6thrust23THRUST_200600_302600_NS6detail15normal_iteratorINS9_10device_ptrIsEEEESE_s11max_functorIsEsEEDaPvRmT3_T4_T5_mT6_P12ihipStream_tbENKUlT_T0_E_clISt17integral_constantIbLb0EEST_IbLb1EEEEDaSP_SQ_EUlSP_E_NS1_11comp_targetILNS1_3genE2ELNS1_11target_archE906ELNS1_3gpuE6ELNS1_3repE0EEENS1_30default_config_static_selectorELNS0_4arch9wavefront6targetE1EEEvT1_
	.globl	_ZN7rocprim17ROCPRIM_400000_NS6detail17trampoline_kernelINS0_14default_configENS1_20scan_config_selectorIsEEZZNS1_9scan_implILNS1_25lookback_scan_determinismE0ELb1ELb1ES3_N6thrust23THRUST_200600_302600_NS6detail15normal_iteratorINS9_10device_ptrIsEEEESE_s11max_functorIsEsEEDaPvRmT3_T4_T5_mT6_P12ihipStream_tbENKUlT_T0_E_clISt17integral_constantIbLb0EEST_IbLb1EEEEDaSP_SQ_EUlSP_E_NS1_11comp_targetILNS1_3genE2ELNS1_11target_archE906ELNS1_3gpuE6ELNS1_3repE0EEENS1_30default_config_static_selectorELNS0_4arch9wavefront6targetE1EEEvT1_
	.p2align	8
	.type	_ZN7rocprim17ROCPRIM_400000_NS6detail17trampoline_kernelINS0_14default_configENS1_20scan_config_selectorIsEEZZNS1_9scan_implILNS1_25lookback_scan_determinismE0ELb1ELb1ES3_N6thrust23THRUST_200600_302600_NS6detail15normal_iteratorINS9_10device_ptrIsEEEESE_s11max_functorIsEsEEDaPvRmT3_T4_T5_mT6_P12ihipStream_tbENKUlT_T0_E_clISt17integral_constantIbLb0EEST_IbLb1EEEEDaSP_SQ_EUlSP_E_NS1_11comp_targetILNS1_3genE2ELNS1_11target_archE906ELNS1_3gpuE6ELNS1_3repE0EEENS1_30default_config_static_selectorELNS0_4arch9wavefront6targetE1EEEvT1_,@function
_ZN7rocprim17ROCPRIM_400000_NS6detail17trampoline_kernelINS0_14default_configENS1_20scan_config_selectorIsEEZZNS1_9scan_implILNS1_25lookback_scan_determinismE0ELb1ELb1ES3_N6thrust23THRUST_200600_302600_NS6detail15normal_iteratorINS9_10device_ptrIsEEEESE_s11max_functorIsEsEEDaPvRmT3_T4_T5_mT6_P12ihipStream_tbENKUlT_T0_E_clISt17integral_constantIbLb0EEST_IbLb1EEEEDaSP_SQ_EUlSP_E_NS1_11comp_targetILNS1_3genE2ELNS1_11target_archE906ELNS1_3gpuE6ELNS1_3repE0EEENS1_30default_config_static_selectorELNS0_4arch9wavefront6targetE1EEEvT1_: ; @_ZN7rocprim17ROCPRIM_400000_NS6detail17trampoline_kernelINS0_14default_configENS1_20scan_config_selectorIsEEZZNS1_9scan_implILNS1_25lookback_scan_determinismE0ELb1ELb1ES3_N6thrust23THRUST_200600_302600_NS6detail15normal_iteratorINS9_10device_ptrIsEEEESE_s11max_functorIsEsEEDaPvRmT3_T4_T5_mT6_P12ihipStream_tbENKUlT_T0_E_clISt17integral_constantIbLb0EEST_IbLb1EEEEDaSP_SQ_EUlSP_E_NS1_11comp_targetILNS1_3genE2ELNS1_11target_archE906ELNS1_3gpuE6ELNS1_3repE0EEENS1_30default_config_static_selectorELNS0_4arch9wavefront6targetE1EEEvT1_
; %bb.0:
	.section	.rodata,"a",@progbits
	.p2align	6, 0x0
	.amdhsa_kernel _ZN7rocprim17ROCPRIM_400000_NS6detail17trampoline_kernelINS0_14default_configENS1_20scan_config_selectorIsEEZZNS1_9scan_implILNS1_25lookback_scan_determinismE0ELb1ELb1ES3_N6thrust23THRUST_200600_302600_NS6detail15normal_iteratorINS9_10device_ptrIsEEEESE_s11max_functorIsEsEEDaPvRmT3_T4_T5_mT6_P12ihipStream_tbENKUlT_T0_E_clISt17integral_constantIbLb0EEST_IbLb1EEEEDaSP_SQ_EUlSP_E_NS1_11comp_targetILNS1_3genE2ELNS1_11target_archE906ELNS1_3gpuE6ELNS1_3repE0EEENS1_30default_config_static_selectorELNS0_4arch9wavefront6targetE1EEEvT1_
		.amdhsa_group_segment_fixed_size 0
		.amdhsa_private_segment_fixed_size 0
		.amdhsa_kernarg_size 96
		.amdhsa_user_sgpr_count 6
		.amdhsa_user_sgpr_private_segment_buffer 1
		.amdhsa_user_sgpr_dispatch_ptr 0
		.amdhsa_user_sgpr_queue_ptr 0
		.amdhsa_user_sgpr_kernarg_segment_ptr 1
		.amdhsa_user_sgpr_dispatch_id 0
		.amdhsa_user_sgpr_flat_scratch_init 0
		.amdhsa_user_sgpr_kernarg_preload_length 0
		.amdhsa_user_sgpr_kernarg_preload_offset 0
		.amdhsa_user_sgpr_private_segment_size 0
		.amdhsa_uses_dynamic_stack 0
		.amdhsa_system_sgpr_private_segment_wavefront_offset 0
		.amdhsa_system_sgpr_workgroup_id_x 1
		.amdhsa_system_sgpr_workgroup_id_y 0
		.amdhsa_system_sgpr_workgroup_id_z 0
		.amdhsa_system_sgpr_workgroup_info 0
		.amdhsa_system_vgpr_workitem_id 0
		.amdhsa_next_free_vgpr 1
		.amdhsa_next_free_sgpr 0
		.amdhsa_accum_offset 4
		.amdhsa_reserve_vcc 0
		.amdhsa_reserve_flat_scratch 0
		.amdhsa_float_round_mode_32 0
		.amdhsa_float_round_mode_16_64 0
		.amdhsa_float_denorm_mode_32 3
		.amdhsa_float_denorm_mode_16_64 3
		.amdhsa_dx10_clamp 1
		.amdhsa_ieee_mode 1
		.amdhsa_fp16_overflow 0
		.amdhsa_tg_split 0
		.amdhsa_exception_fp_ieee_invalid_op 0
		.amdhsa_exception_fp_denorm_src 0
		.amdhsa_exception_fp_ieee_div_zero 0
		.amdhsa_exception_fp_ieee_overflow 0
		.amdhsa_exception_fp_ieee_underflow 0
		.amdhsa_exception_fp_ieee_inexact 0
		.amdhsa_exception_int_div_zero 0
	.end_amdhsa_kernel
	.section	.text._ZN7rocprim17ROCPRIM_400000_NS6detail17trampoline_kernelINS0_14default_configENS1_20scan_config_selectorIsEEZZNS1_9scan_implILNS1_25lookback_scan_determinismE0ELb1ELb1ES3_N6thrust23THRUST_200600_302600_NS6detail15normal_iteratorINS9_10device_ptrIsEEEESE_s11max_functorIsEsEEDaPvRmT3_T4_T5_mT6_P12ihipStream_tbENKUlT_T0_E_clISt17integral_constantIbLb0EEST_IbLb1EEEEDaSP_SQ_EUlSP_E_NS1_11comp_targetILNS1_3genE2ELNS1_11target_archE906ELNS1_3gpuE6ELNS1_3repE0EEENS1_30default_config_static_selectorELNS0_4arch9wavefront6targetE1EEEvT1_,"axG",@progbits,_ZN7rocprim17ROCPRIM_400000_NS6detail17trampoline_kernelINS0_14default_configENS1_20scan_config_selectorIsEEZZNS1_9scan_implILNS1_25lookback_scan_determinismE0ELb1ELb1ES3_N6thrust23THRUST_200600_302600_NS6detail15normal_iteratorINS9_10device_ptrIsEEEESE_s11max_functorIsEsEEDaPvRmT3_T4_T5_mT6_P12ihipStream_tbENKUlT_T0_E_clISt17integral_constantIbLb0EEST_IbLb1EEEEDaSP_SQ_EUlSP_E_NS1_11comp_targetILNS1_3genE2ELNS1_11target_archE906ELNS1_3gpuE6ELNS1_3repE0EEENS1_30default_config_static_selectorELNS0_4arch9wavefront6targetE1EEEvT1_,comdat
.Lfunc_end2976:
	.size	_ZN7rocprim17ROCPRIM_400000_NS6detail17trampoline_kernelINS0_14default_configENS1_20scan_config_selectorIsEEZZNS1_9scan_implILNS1_25lookback_scan_determinismE0ELb1ELb1ES3_N6thrust23THRUST_200600_302600_NS6detail15normal_iteratorINS9_10device_ptrIsEEEESE_s11max_functorIsEsEEDaPvRmT3_T4_T5_mT6_P12ihipStream_tbENKUlT_T0_E_clISt17integral_constantIbLb0EEST_IbLb1EEEEDaSP_SQ_EUlSP_E_NS1_11comp_targetILNS1_3genE2ELNS1_11target_archE906ELNS1_3gpuE6ELNS1_3repE0EEENS1_30default_config_static_selectorELNS0_4arch9wavefront6targetE1EEEvT1_, .Lfunc_end2976-_ZN7rocprim17ROCPRIM_400000_NS6detail17trampoline_kernelINS0_14default_configENS1_20scan_config_selectorIsEEZZNS1_9scan_implILNS1_25lookback_scan_determinismE0ELb1ELb1ES3_N6thrust23THRUST_200600_302600_NS6detail15normal_iteratorINS9_10device_ptrIsEEEESE_s11max_functorIsEsEEDaPvRmT3_T4_T5_mT6_P12ihipStream_tbENKUlT_T0_E_clISt17integral_constantIbLb0EEST_IbLb1EEEEDaSP_SQ_EUlSP_E_NS1_11comp_targetILNS1_3genE2ELNS1_11target_archE906ELNS1_3gpuE6ELNS1_3repE0EEENS1_30default_config_static_selectorELNS0_4arch9wavefront6targetE1EEEvT1_
                                        ; -- End function
	.section	.AMDGPU.csdata,"",@progbits
; Kernel info:
; codeLenInByte = 0
; NumSgprs: 4
; NumVgprs: 0
; NumAgprs: 0
; TotalNumVgprs: 0
; ScratchSize: 0
; MemoryBound: 0
; FloatMode: 240
; IeeeMode: 1
; LDSByteSize: 0 bytes/workgroup (compile time only)
; SGPRBlocks: 0
; VGPRBlocks: 0
; NumSGPRsForWavesPerEU: 4
; NumVGPRsForWavesPerEU: 1
; AccumOffset: 4
; Occupancy: 8
; WaveLimiterHint : 0
; COMPUTE_PGM_RSRC2:SCRATCH_EN: 0
; COMPUTE_PGM_RSRC2:USER_SGPR: 6
; COMPUTE_PGM_RSRC2:TRAP_HANDLER: 0
; COMPUTE_PGM_RSRC2:TGID_X_EN: 1
; COMPUTE_PGM_RSRC2:TGID_Y_EN: 0
; COMPUTE_PGM_RSRC2:TGID_Z_EN: 0
; COMPUTE_PGM_RSRC2:TIDIG_COMP_CNT: 0
; COMPUTE_PGM_RSRC3_GFX90A:ACCUM_OFFSET: 0
; COMPUTE_PGM_RSRC3_GFX90A:TG_SPLIT: 0
	.section	.text._ZN7rocprim17ROCPRIM_400000_NS6detail17trampoline_kernelINS0_14default_configENS1_20scan_config_selectorIsEEZZNS1_9scan_implILNS1_25lookback_scan_determinismE0ELb1ELb1ES3_N6thrust23THRUST_200600_302600_NS6detail15normal_iteratorINS9_10device_ptrIsEEEESE_s11max_functorIsEsEEDaPvRmT3_T4_T5_mT6_P12ihipStream_tbENKUlT_T0_E_clISt17integral_constantIbLb0EEST_IbLb1EEEEDaSP_SQ_EUlSP_E_NS1_11comp_targetILNS1_3genE10ELNS1_11target_archE1201ELNS1_3gpuE5ELNS1_3repE0EEENS1_30default_config_static_selectorELNS0_4arch9wavefront6targetE1EEEvT1_,"axG",@progbits,_ZN7rocprim17ROCPRIM_400000_NS6detail17trampoline_kernelINS0_14default_configENS1_20scan_config_selectorIsEEZZNS1_9scan_implILNS1_25lookback_scan_determinismE0ELb1ELb1ES3_N6thrust23THRUST_200600_302600_NS6detail15normal_iteratorINS9_10device_ptrIsEEEESE_s11max_functorIsEsEEDaPvRmT3_T4_T5_mT6_P12ihipStream_tbENKUlT_T0_E_clISt17integral_constantIbLb0EEST_IbLb1EEEEDaSP_SQ_EUlSP_E_NS1_11comp_targetILNS1_3genE10ELNS1_11target_archE1201ELNS1_3gpuE5ELNS1_3repE0EEENS1_30default_config_static_selectorELNS0_4arch9wavefront6targetE1EEEvT1_,comdat
	.protected	_ZN7rocprim17ROCPRIM_400000_NS6detail17trampoline_kernelINS0_14default_configENS1_20scan_config_selectorIsEEZZNS1_9scan_implILNS1_25lookback_scan_determinismE0ELb1ELb1ES3_N6thrust23THRUST_200600_302600_NS6detail15normal_iteratorINS9_10device_ptrIsEEEESE_s11max_functorIsEsEEDaPvRmT3_T4_T5_mT6_P12ihipStream_tbENKUlT_T0_E_clISt17integral_constantIbLb0EEST_IbLb1EEEEDaSP_SQ_EUlSP_E_NS1_11comp_targetILNS1_3genE10ELNS1_11target_archE1201ELNS1_3gpuE5ELNS1_3repE0EEENS1_30default_config_static_selectorELNS0_4arch9wavefront6targetE1EEEvT1_ ; -- Begin function _ZN7rocprim17ROCPRIM_400000_NS6detail17trampoline_kernelINS0_14default_configENS1_20scan_config_selectorIsEEZZNS1_9scan_implILNS1_25lookback_scan_determinismE0ELb1ELb1ES3_N6thrust23THRUST_200600_302600_NS6detail15normal_iteratorINS9_10device_ptrIsEEEESE_s11max_functorIsEsEEDaPvRmT3_T4_T5_mT6_P12ihipStream_tbENKUlT_T0_E_clISt17integral_constantIbLb0EEST_IbLb1EEEEDaSP_SQ_EUlSP_E_NS1_11comp_targetILNS1_3genE10ELNS1_11target_archE1201ELNS1_3gpuE5ELNS1_3repE0EEENS1_30default_config_static_selectorELNS0_4arch9wavefront6targetE1EEEvT1_
	.globl	_ZN7rocprim17ROCPRIM_400000_NS6detail17trampoline_kernelINS0_14default_configENS1_20scan_config_selectorIsEEZZNS1_9scan_implILNS1_25lookback_scan_determinismE0ELb1ELb1ES3_N6thrust23THRUST_200600_302600_NS6detail15normal_iteratorINS9_10device_ptrIsEEEESE_s11max_functorIsEsEEDaPvRmT3_T4_T5_mT6_P12ihipStream_tbENKUlT_T0_E_clISt17integral_constantIbLb0EEST_IbLb1EEEEDaSP_SQ_EUlSP_E_NS1_11comp_targetILNS1_3genE10ELNS1_11target_archE1201ELNS1_3gpuE5ELNS1_3repE0EEENS1_30default_config_static_selectorELNS0_4arch9wavefront6targetE1EEEvT1_
	.p2align	8
	.type	_ZN7rocprim17ROCPRIM_400000_NS6detail17trampoline_kernelINS0_14default_configENS1_20scan_config_selectorIsEEZZNS1_9scan_implILNS1_25lookback_scan_determinismE0ELb1ELb1ES3_N6thrust23THRUST_200600_302600_NS6detail15normal_iteratorINS9_10device_ptrIsEEEESE_s11max_functorIsEsEEDaPvRmT3_T4_T5_mT6_P12ihipStream_tbENKUlT_T0_E_clISt17integral_constantIbLb0EEST_IbLb1EEEEDaSP_SQ_EUlSP_E_NS1_11comp_targetILNS1_3genE10ELNS1_11target_archE1201ELNS1_3gpuE5ELNS1_3repE0EEENS1_30default_config_static_selectorELNS0_4arch9wavefront6targetE1EEEvT1_,@function
_ZN7rocprim17ROCPRIM_400000_NS6detail17trampoline_kernelINS0_14default_configENS1_20scan_config_selectorIsEEZZNS1_9scan_implILNS1_25lookback_scan_determinismE0ELb1ELb1ES3_N6thrust23THRUST_200600_302600_NS6detail15normal_iteratorINS9_10device_ptrIsEEEESE_s11max_functorIsEsEEDaPvRmT3_T4_T5_mT6_P12ihipStream_tbENKUlT_T0_E_clISt17integral_constantIbLb0EEST_IbLb1EEEEDaSP_SQ_EUlSP_E_NS1_11comp_targetILNS1_3genE10ELNS1_11target_archE1201ELNS1_3gpuE5ELNS1_3repE0EEENS1_30default_config_static_selectorELNS0_4arch9wavefront6targetE1EEEvT1_: ; @_ZN7rocprim17ROCPRIM_400000_NS6detail17trampoline_kernelINS0_14default_configENS1_20scan_config_selectorIsEEZZNS1_9scan_implILNS1_25lookback_scan_determinismE0ELb1ELb1ES3_N6thrust23THRUST_200600_302600_NS6detail15normal_iteratorINS9_10device_ptrIsEEEESE_s11max_functorIsEsEEDaPvRmT3_T4_T5_mT6_P12ihipStream_tbENKUlT_T0_E_clISt17integral_constantIbLb0EEST_IbLb1EEEEDaSP_SQ_EUlSP_E_NS1_11comp_targetILNS1_3genE10ELNS1_11target_archE1201ELNS1_3gpuE5ELNS1_3repE0EEENS1_30default_config_static_selectorELNS0_4arch9wavefront6targetE1EEEvT1_
; %bb.0:
	.section	.rodata,"a",@progbits
	.p2align	6, 0x0
	.amdhsa_kernel _ZN7rocprim17ROCPRIM_400000_NS6detail17trampoline_kernelINS0_14default_configENS1_20scan_config_selectorIsEEZZNS1_9scan_implILNS1_25lookback_scan_determinismE0ELb1ELb1ES3_N6thrust23THRUST_200600_302600_NS6detail15normal_iteratorINS9_10device_ptrIsEEEESE_s11max_functorIsEsEEDaPvRmT3_T4_T5_mT6_P12ihipStream_tbENKUlT_T0_E_clISt17integral_constantIbLb0EEST_IbLb1EEEEDaSP_SQ_EUlSP_E_NS1_11comp_targetILNS1_3genE10ELNS1_11target_archE1201ELNS1_3gpuE5ELNS1_3repE0EEENS1_30default_config_static_selectorELNS0_4arch9wavefront6targetE1EEEvT1_
		.amdhsa_group_segment_fixed_size 0
		.amdhsa_private_segment_fixed_size 0
		.amdhsa_kernarg_size 96
		.amdhsa_user_sgpr_count 6
		.amdhsa_user_sgpr_private_segment_buffer 1
		.amdhsa_user_sgpr_dispatch_ptr 0
		.amdhsa_user_sgpr_queue_ptr 0
		.amdhsa_user_sgpr_kernarg_segment_ptr 1
		.amdhsa_user_sgpr_dispatch_id 0
		.amdhsa_user_sgpr_flat_scratch_init 0
		.amdhsa_user_sgpr_kernarg_preload_length 0
		.amdhsa_user_sgpr_kernarg_preload_offset 0
		.amdhsa_user_sgpr_private_segment_size 0
		.amdhsa_uses_dynamic_stack 0
		.amdhsa_system_sgpr_private_segment_wavefront_offset 0
		.amdhsa_system_sgpr_workgroup_id_x 1
		.amdhsa_system_sgpr_workgroup_id_y 0
		.amdhsa_system_sgpr_workgroup_id_z 0
		.amdhsa_system_sgpr_workgroup_info 0
		.amdhsa_system_vgpr_workitem_id 0
		.amdhsa_next_free_vgpr 1
		.amdhsa_next_free_sgpr 0
		.amdhsa_accum_offset 4
		.amdhsa_reserve_vcc 0
		.amdhsa_reserve_flat_scratch 0
		.amdhsa_float_round_mode_32 0
		.amdhsa_float_round_mode_16_64 0
		.amdhsa_float_denorm_mode_32 3
		.amdhsa_float_denorm_mode_16_64 3
		.amdhsa_dx10_clamp 1
		.amdhsa_ieee_mode 1
		.amdhsa_fp16_overflow 0
		.amdhsa_tg_split 0
		.amdhsa_exception_fp_ieee_invalid_op 0
		.amdhsa_exception_fp_denorm_src 0
		.amdhsa_exception_fp_ieee_div_zero 0
		.amdhsa_exception_fp_ieee_overflow 0
		.amdhsa_exception_fp_ieee_underflow 0
		.amdhsa_exception_fp_ieee_inexact 0
		.amdhsa_exception_int_div_zero 0
	.end_amdhsa_kernel
	.section	.text._ZN7rocprim17ROCPRIM_400000_NS6detail17trampoline_kernelINS0_14default_configENS1_20scan_config_selectorIsEEZZNS1_9scan_implILNS1_25lookback_scan_determinismE0ELb1ELb1ES3_N6thrust23THRUST_200600_302600_NS6detail15normal_iteratorINS9_10device_ptrIsEEEESE_s11max_functorIsEsEEDaPvRmT3_T4_T5_mT6_P12ihipStream_tbENKUlT_T0_E_clISt17integral_constantIbLb0EEST_IbLb1EEEEDaSP_SQ_EUlSP_E_NS1_11comp_targetILNS1_3genE10ELNS1_11target_archE1201ELNS1_3gpuE5ELNS1_3repE0EEENS1_30default_config_static_selectorELNS0_4arch9wavefront6targetE1EEEvT1_,"axG",@progbits,_ZN7rocprim17ROCPRIM_400000_NS6detail17trampoline_kernelINS0_14default_configENS1_20scan_config_selectorIsEEZZNS1_9scan_implILNS1_25lookback_scan_determinismE0ELb1ELb1ES3_N6thrust23THRUST_200600_302600_NS6detail15normal_iteratorINS9_10device_ptrIsEEEESE_s11max_functorIsEsEEDaPvRmT3_T4_T5_mT6_P12ihipStream_tbENKUlT_T0_E_clISt17integral_constantIbLb0EEST_IbLb1EEEEDaSP_SQ_EUlSP_E_NS1_11comp_targetILNS1_3genE10ELNS1_11target_archE1201ELNS1_3gpuE5ELNS1_3repE0EEENS1_30default_config_static_selectorELNS0_4arch9wavefront6targetE1EEEvT1_,comdat
.Lfunc_end2977:
	.size	_ZN7rocprim17ROCPRIM_400000_NS6detail17trampoline_kernelINS0_14default_configENS1_20scan_config_selectorIsEEZZNS1_9scan_implILNS1_25lookback_scan_determinismE0ELb1ELb1ES3_N6thrust23THRUST_200600_302600_NS6detail15normal_iteratorINS9_10device_ptrIsEEEESE_s11max_functorIsEsEEDaPvRmT3_T4_T5_mT6_P12ihipStream_tbENKUlT_T0_E_clISt17integral_constantIbLb0EEST_IbLb1EEEEDaSP_SQ_EUlSP_E_NS1_11comp_targetILNS1_3genE10ELNS1_11target_archE1201ELNS1_3gpuE5ELNS1_3repE0EEENS1_30default_config_static_selectorELNS0_4arch9wavefront6targetE1EEEvT1_, .Lfunc_end2977-_ZN7rocprim17ROCPRIM_400000_NS6detail17trampoline_kernelINS0_14default_configENS1_20scan_config_selectorIsEEZZNS1_9scan_implILNS1_25lookback_scan_determinismE0ELb1ELb1ES3_N6thrust23THRUST_200600_302600_NS6detail15normal_iteratorINS9_10device_ptrIsEEEESE_s11max_functorIsEsEEDaPvRmT3_T4_T5_mT6_P12ihipStream_tbENKUlT_T0_E_clISt17integral_constantIbLb0EEST_IbLb1EEEEDaSP_SQ_EUlSP_E_NS1_11comp_targetILNS1_3genE10ELNS1_11target_archE1201ELNS1_3gpuE5ELNS1_3repE0EEENS1_30default_config_static_selectorELNS0_4arch9wavefront6targetE1EEEvT1_
                                        ; -- End function
	.section	.AMDGPU.csdata,"",@progbits
; Kernel info:
; codeLenInByte = 0
; NumSgprs: 4
; NumVgprs: 0
; NumAgprs: 0
; TotalNumVgprs: 0
; ScratchSize: 0
; MemoryBound: 0
; FloatMode: 240
; IeeeMode: 1
; LDSByteSize: 0 bytes/workgroup (compile time only)
; SGPRBlocks: 0
; VGPRBlocks: 0
; NumSGPRsForWavesPerEU: 4
; NumVGPRsForWavesPerEU: 1
; AccumOffset: 4
; Occupancy: 8
; WaveLimiterHint : 0
; COMPUTE_PGM_RSRC2:SCRATCH_EN: 0
; COMPUTE_PGM_RSRC2:USER_SGPR: 6
; COMPUTE_PGM_RSRC2:TRAP_HANDLER: 0
; COMPUTE_PGM_RSRC2:TGID_X_EN: 1
; COMPUTE_PGM_RSRC2:TGID_Y_EN: 0
; COMPUTE_PGM_RSRC2:TGID_Z_EN: 0
; COMPUTE_PGM_RSRC2:TIDIG_COMP_CNT: 0
; COMPUTE_PGM_RSRC3_GFX90A:ACCUM_OFFSET: 0
; COMPUTE_PGM_RSRC3_GFX90A:TG_SPLIT: 0
	.section	.text._ZN7rocprim17ROCPRIM_400000_NS6detail17trampoline_kernelINS0_14default_configENS1_20scan_config_selectorIsEEZZNS1_9scan_implILNS1_25lookback_scan_determinismE0ELb1ELb1ES3_N6thrust23THRUST_200600_302600_NS6detail15normal_iteratorINS9_10device_ptrIsEEEESE_s11max_functorIsEsEEDaPvRmT3_T4_T5_mT6_P12ihipStream_tbENKUlT_T0_E_clISt17integral_constantIbLb0EEST_IbLb1EEEEDaSP_SQ_EUlSP_E_NS1_11comp_targetILNS1_3genE10ELNS1_11target_archE1200ELNS1_3gpuE4ELNS1_3repE0EEENS1_30default_config_static_selectorELNS0_4arch9wavefront6targetE1EEEvT1_,"axG",@progbits,_ZN7rocprim17ROCPRIM_400000_NS6detail17trampoline_kernelINS0_14default_configENS1_20scan_config_selectorIsEEZZNS1_9scan_implILNS1_25lookback_scan_determinismE0ELb1ELb1ES3_N6thrust23THRUST_200600_302600_NS6detail15normal_iteratorINS9_10device_ptrIsEEEESE_s11max_functorIsEsEEDaPvRmT3_T4_T5_mT6_P12ihipStream_tbENKUlT_T0_E_clISt17integral_constantIbLb0EEST_IbLb1EEEEDaSP_SQ_EUlSP_E_NS1_11comp_targetILNS1_3genE10ELNS1_11target_archE1200ELNS1_3gpuE4ELNS1_3repE0EEENS1_30default_config_static_selectorELNS0_4arch9wavefront6targetE1EEEvT1_,comdat
	.protected	_ZN7rocprim17ROCPRIM_400000_NS6detail17trampoline_kernelINS0_14default_configENS1_20scan_config_selectorIsEEZZNS1_9scan_implILNS1_25lookback_scan_determinismE0ELb1ELb1ES3_N6thrust23THRUST_200600_302600_NS6detail15normal_iteratorINS9_10device_ptrIsEEEESE_s11max_functorIsEsEEDaPvRmT3_T4_T5_mT6_P12ihipStream_tbENKUlT_T0_E_clISt17integral_constantIbLb0EEST_IbLb1EEEEDaSP_SQ_EUlSP_E_NS1_11comp_targetILNS1_3genE10ELNS1_11target_archE1200ELNS1_3gpuE4ELNS1_3repE0EEENS1_30default_config_static_selectorELNS0_4arch9wavefront6targetE1EEEvT1_ ; -- Begin function _ZN7rocprim17ROCPRIM_400000_NS6detail17trampoline_kernelINS0_14default_configENS1_20scan_config_selectorIsEEZZNS1_9scan_implILNS1_25lookback_scan_determinismE0ELb1ELb1ES3_N6thrust23THRUST_200600_302600_NS6detail15normal_iteratorINS9_10device_ptrIsEEEESE_s11max_functorIsEsEEDaPvRmT3_T4_T5_mT6_P12ihipStream_tbENKUlT_T0_E_clISt17integral_constantIbLb0EEST_IbLb1EEEEDaSP_SQ_EUlSP_E_NS1_11comp_targetILNS1_3genE10ELNS1_11target_archE1200ELNS1_3gpuE4ELNS1_3repE0EEENS1_30default_config_static_selectorELNS0_4arch9wavefront6targetE1EEEvT1_
	.globl	_ZN7rocprim17ROCPRIM_400000_NS6detail17trampoline_kernelINS0_14default_configENS1_20scan_config_selectorIsEEZZNS1_9scan_implILNS1_25lookback_scan_determinismE0ELb1ELb1ES3_N6thrust23THRUST_200600_302600_NS6detail15normal_iteratorINS9_10device_ptrIsEEEESE_s11max_functorIsEsEEDaPvRmT3_T4_T5_mT6_P12ihipStream_tbENKUlT_T0_E_clISt17integral_constantIbLb0EEST_IbLb1EEEEDaSP_SQ_EUlSP_E_NS1_11comp_targetILNS1_3genE10ELNS1_11target_archE1200ELNS1_3gpuE4ELNS1_3repE0EEENS1_30default_config_static_selectorELNS0_4arch9wavefront6targetE1EEEvT1_
	.p2align	8
	.type	_ZN7rocprim17ROCPRIM_400000_NS6detail17trampoline_kernelINS0_14default_configENS1_20scan_config_selectorIsEEZZNS1_9scan_implILNS1_25lookback_scan_determinismE0ELb1ELb1ES3_N6thrust23THRUST_200600_302600_NS6detail15normal_iteratorINS9_10device_ptrIsEEEESE_s11max_functorIsEsEEDaPvRmT3_T4_T5_mT6_P12ihipStream_tbENKUlT_T0_E_clISt17integral_constantIbLb0EEST_IbLb1EEEEDaSP_SQ_EUlSP_E_NS1_11comp_targetILNS1_3genE10ELNS1_11target_archE1200ELNS1_3gpuE4ELNS1_3repE0EEENS1_30default_config_static_selectorELNS0_4arch9wavefront6targetE1EEEvT1_,@function
_ZN7rocprim17ROCPRIM_400000_NS6detail17trampoline_kernelINS0_14default_configENS1_20scan_config_selectorIsEEZZNS1_9scan_implILNS1_25lookback_scan_determinismE0ELb1ELb1ES3_N6thrust23THRUST_200600_302600_NS6detail15normal_iteratorINS9_10device_ptrIsEEEESE_s11max_functorIsEsEEDaPvRmT3_T4_T5_mT6_P12ihipStream_tbENKUlT_T0_E_clISt17integral_constantIbLb0EEST_IbLb1EEEEDaSP_SQ_EUlSP_E_NS1_11comp_targetILNS1_3genE10ELNS1_11target_archE1200ELNS1_3gpuE4ELNS1_3repE0EEENS1_30default_config_static_selectorELNS0_4arch9wavefront6targetE1EEEvT1_: ; @_ZN7rocprim17ROCPRIM_400000_NS6detail17trampoline_kernelINS0_14default_configENS1_20scan_config_selectorIsEEZZNS1_9scan_implILNS1_25lookback_scan_determinismE0ELb1ELb1ES3_N6thrust23THRUST_200600_302600_NS6detail15normal_iteratorINS9_10device_ptrIsEEEESE_s11max_functorIsEsEEDaPvRmT3_T4_T5_mT6_P12ihipStream_tbENKUlT_T0_E_clISt17integral_constantIbLb0EEST_IbLb1EEEEDaSP_SQ_EUlSP_E_NS1_11comp_targetILNS1_3genE10ELNS1_11target_archE1200ELNS1_3gpuE4ELNS1_3repE0EEENS1_30default_config_static_selectorELNS0_4arch9wavefront6targetE1EEEvT1_
; %bb.0:
	.section	.rodata,"a",@progbits
	.p2align	6, 0x0
	.amdhsa_kernel _ZN7rocprim17ROCPRIM_400000_NS6detail17trampoline_kernelINS0_14default_configENS1_20scan_config_selectorIsEEZZNS1_9scan_implILNS1_25lookback_scan_determinismE0ELb1ELb1ES3_N6thrust23THRUST_200600_302600_NS6detail15normal_iteratorINS9_10device_ptrIsEEEESE_s11max_functorIsEsEEDaPvRmT3_T4_T5_mT6_P12ihipStream_tbENKUlT_T0_E_clISt17integral_constantIbLb0EEST_IbLb1EEEEDaSP_SQ_EUlSP_E_NS1_11comp_targetILNS1_3genE10ELNS1_11target_archE1200ELNS1_3gpuE4ELNS1_3repE0EEENS1_30default_config_static_selectorELNS0_4arch9wavefront6targetE1EEEvT1_
		.amdhsa_group_segment_fixed_size 0
		.amdhsa_private_segment_fixed_size 0
		.amdhsa_kernarg_size 96
		.amdhsa_user_sgpr_count 6
		.amdhsa_user_sgpr_private_segment_buffer 1
		.amdhsa_user_sgpr_dispatch_ptr 0
		.amdhsa_user_sgpr_queue_ptr 0
		.amdhsa_user_sgpr_kernarg_segment_ptr 1
		.amdhsa_user_sgpr_dispatch_id 0
		.amdhsa_user_sgpr_flat_scratch_init 0
		.amdhsa_user_sgpr_kernarg_preload_length 0
		.amdhsa_user_sgpr_kernarg_preload_offset 0
		.amdhsa_user_sgpr_private_segment_size 0
		.amdhsa_uses_dynamic_stack 0
		.amdhsa_system_sgpr_private_segment_wavefront_offset 0
		.amdhsa_system_sgpr_workgroup_id_x 1
		.amdhsa_system_sgpr_workgroup_id_y 0
		.amdhsa_system_sgpr_workgroup_id_z 0
		.amdhsa_system_sgpr_workgroup_info 0
		.amdhsa_system_vgpr_workitem_id 0
		.amdhsa_next_free_vgpr 1
		.amdhsa_next_free_sgpr 0
		.amdhsa_accum_offset 4
		.amdhsa_reserve_vcc 0
		.amdhsa_reserve_flat_scratch 0
		.amdhsa_float_round_mode_32 0
		.amdhsa_float_round_mode_16_64 0
		.amdhsa_float_denorm_mode_32 3
		.amdhsa_float_denorm_mode_16_64 3
		.amdhsa_dx10_clamp 1
		.amdhsa_ieee_mode 1
		.amdhsa_fp16_overflow 0
		.amdhsa_tg_split 0
		.amdhsa_exception_fp_ieee_invalid_op 0
		.amdhsa_exception_fp_denorm_src 0
		.amdhsa_exception_fp_ieee_div_zero 0
		.amdhsa_exception_fp_ieee_overflow 0
		.amdhsa_exception_fp_ieee_underflow 0
		.amdhsa_exception_fp_ieee_inexact 0
		.amdhsa_exception_int_div_zero 0
	.end_amdhsa_kernel
	.section	.text._ZN7rocprim17ROCPRIM_400000_NS6detail17trampoline_kernelINS0_14default_configENS1_20scan_config_selectorIsEEZZNS1_9scan_implILNS1_25lookback_scan_determinismE0ELb1ELb1ES3_N6thrust23THRUST_200600_302600_NS6detail15normal_iteratorINS9_10device_ptrIsEEEESE_s11max_functorIsEsEEDaPvRmT3_T4_T5_mT6_P12ihipStream_tbENKUlT_T0_E_clISt17integral_constantIbLb0EEST_IbLb1EEEEDaSP_SQ_EUlSP_E_NS1_11comp_targetILNS1_3genE10ELNS1_11target_archE1200ELNS1_3gpuE4ELNS1_3repE0EEENS1_30default_config_static_selectorELNS0_4arch9wavefront6targetE1EEEvT1_,"axG",@progbits,_ZN7rocprim17ROCPRIM_400000_NS6detail17trampoline_kernelINS0_14default_configENS1_20scan_config_selectorIsEEZZNS1_9scan_implILNS1_25lookback_scan_determinismE0ELb1ELb1ES3_N6thrust23THRUST_200600_302600_NS6detail15normal_iteratorINS9_10device_ptrIsEEEESE_s11max_functorIsEsEEDaPvRmT3_T4_T5_mT6_P12ihipStream_tbENKUlT_T0_E_clISt17integral_constantIbLb0EEST_IbLb1EEEEDaSP_SQ_EUlSP_E_NS1_11comp_targetILNS1_3genE10ELNS1_11target_archE1200ELNS1_3gpuE4ELNS1_3repE0EEENS1_30default_config_static_selectorELNS0_4arch9wavefront6targetE1EEEvT1_,comdat
.Lfunc_end2978:
	.size	_ZN7rocprim17ROCPRIM_400000_NS6detail17trampoline_kernelINS0_14default_configENS1_20scan_config_selectorIsEEZZNS1_9scan_implILNS1_25lookback_scan_determinismE0ELb1ELb1ES3_N6thrust23THRUST_200600_302600_NS6detail15normal_iteratorINS9_10device_ptrIsEEEESE_s11max_functorIsEsEEDaPvRmT3_T4_T5_mT6_P12ihipStream_tbENKUlT_T0_E_clISt17integral_constantIbLb0EEST_IbLb1EEEEDaSP_SQ_EUlSP_E_NS1_11comp_targetILNS1_3genE10ELNS1_11target_archE1200ELNS1_3gpuE4ELNS1_3repE0EEENS1_30default_config_static_selectorELNS0_4arch9wavefront6targetE1EEEvT1_, .Lfunc_end2978-_ZN7rocprim17ROCPRIM_400000_NS6detail17trampoline_kernelINS0_14default_configENS1_20scan_config_selectorIsEEZZNS1_9scan_implILNS1_25lookback_scan_determinismE0ELb1ELb1ES3_N6thrust23THRUST_200600_302600_NS6detail15normal_iteratorINS9_10device_ptrIsEEEESE_s11max_functorIsEsEEDaPvRmT3_T4_T5_mT6_P12ihipStream_tbENKUlT_T0_E_clISt17integral_constantIbLb0EEST_IbLb1EEEEDaSP_SQ_EUlSP_E_NS1_11comp_targetILNS1_3genE10ELNS1_11target_archE1200ELNS1_3gpuE4ELNS1_3repE0EEENS1_30default_config_static_selectorELNS0_4arch9wavefront6targetE1EEEvT1_
                                        ; -- End function
	.section	.AMDGPU.csdata,"",@progbits
; Kernel info:
; codeLenInByte = 0
; NumSgprs: 4
; NumVgprs: 0
; NumAgprs: 0
; TotalNumVgprs: 0
; ScratchSize: 0
; MemoryBound: 0
; FloatMode: 240
; IeeeMode: 1
; LDSByteSize: 0 bytes/workgroup (compile time only)
; SGPRBlocks: 0
; VGPRBlocks: 0
; NumSGPRsForWavesPerEU: 4
; NumVGPRsForWavesPerEU: 1
; AccumOffset: 4
; Occupancy: 8
; WaveLimiterHint : 0
; COMPUTE_PGM_RSRC2:SCRATCH_EN: 0
; COMPUTE_PGM_RSRC2:USER_SGPR: 6
; COMPUTE_PGM_RSRC2:TRAP_HANDLER: 0
; COMPUTE_PGM_RSRC2:TGID_X_EN: 1
; COMPUTE_PGM_RSRC2:TGID_Y_EN: 0
; COMPUTE_PGM_RSRC2:TGID_Z_EN: 0
; COMPUTE_PGM_RSRC2:TIDIG_COMP_CNT: 0
; COMPUTE_PGM_RSRC3_GFX90A:ACCUM_OFFSET: 0
; COMPUTE_PGM_RSRC3_GFX90A:TG_SPLIT: 0
	.section	.text._ZN7rocprim17ROCPRIM_400000_NS6detail17trampoline_kernelINS0_14default_configENS1_20scan_config_selectorIsEEZZNS1_9scan_implILNS1_25lookback_scan_determinismE0ELb1ELb1ES3_N6thrust23THRUST_200600_302600_NS6detail15normal_iteratorINS9_10device_ptrIsEEEESE_s11max_functorIsEsEEDaPvRmT3_T4_T5_mT6_P12ihipStream_tbENKUlT_T0_E_clISt17integral_constantIbLb0EEST_IbLb1EEEEDaSP_SQ_EUlSP_E_NS1_11comp_targetILNS1_3genE9ELNS1_11target_archE1100ELNS1_3gpuE3ELNS1_3repE0EEENS1_30default_config_static_selectorELNS0_4arch9wavefront6targetE1EEEvT1_,"axG",@progbits,_ZN7rocprim17ROCPRIM_400000_NS6detail17trampoline_kernelINS0_14default_configENS1_20scan_config_selectorIsEEZZNS1_9scan_implILNS1_25lookback_scan_determinismE0ELb1ELb1ES3_N6thrust23THRUST_200600_302600_NS6detail15normal_iteratorINS9_10device_ptrIsEEEESE_s11max_functorIsEsEEDaPvRmT3_T4_T5_mT6_P12ihipStream_tbENKUlT_T0_E_clISt17integral_constantIbLb0EEST_IbLb1EEEEDaSP_SQ_EUlSP_E_NS1_11comp_targetILNS1_3genE9ELNS1_11target_archE1100ELNS1_3gpuE3ELNS1_3repE0EEENS1_30default_config_static_selectorELNS0_4arch9wavefront6targetE1EEEvT1_,comdat
	.protected	_ZN7rocprim17ROCPRIM_400000_NS6detail17trampoline_kernelINS0_14default_configENS1_20scan_config_selectorIsEEZZNS1_9scan_implILNS1_25lookback_scan_determinismE0ELb1ELb1ES3_N6thrust23THRUST_200600_302600_NS6detail15normal_iteratorINS9_10device_ptrIsEEEESE_s11max_functorIsEsEEDaPvRmT3_T4_T5_mT6_P12ihipStream_tbENKUlT_T0_E_clISt17integral_constantIbLb0EEST_IbLb1EEEEDaSP_SQ_EUlSP_E_NS1_11comp_targetILNS1_3genE9ELNS1_11target_archE1100ELNS1_3gpuE3ELNS1_3repE0EEENS1_30default_config_static_selectorELNS0_4arch9wavefront6targetE1EEEvT1_ ; -- Begin function _ZN7rocprim17ROCPRIM_400000_NS6detail17trampoline_kernelINS0_14default_configENS1_20scan_config_selectorIsEEZZNS1_9scan_implILNS1_25lookback_scan_determinismE0ELb1ELb1ES3_N6thrust23THRUST_200600_302600_NS6detail15normal_iteratorINS9_10device_ptrIsEEEESE_s11max_functorIsEsEEDaPvRmT3_T4_T5_mT6_P12ihipStream_tbENKUlT_T0_E_clISt17integral_constantIbLb0EEST_IbLb1EEEEDaSP_SQ_EUlSP_E_NS1_11comp_targetILNS1_3genE9ELNS1_11target_archE1100ELNS1_3gpuE3ELNS1_3repE0EEENS1_30default_config_static_selectorELNS0_4arch9wavefront6targetE1EEEvT1_
	.globl	_ZN7rocprim17ROCPRIM_400000_NS6detail17trampoline_kernelINS0_14default_configENS1_20scan_config_selectorIsEEZZNS1_9scan_implILNS1_25lookback_scan_determinismE0ELb1ELb1ES3_N6thrust23THRUST_200600_302600_NS6detail15normal_iteratorINS9_10device_ptrIsEEEESE_s11max_functorIsEsEEDaPvRmT3_T4_T5_mT6_P12ihipStream_tbENKUlT_T0_E_clISt17integral_constantIbLb0EEST_IbLb1EEEEDaSP_SQ_EUlSP_E_NS1_11comp_targetILNS1_3genE9ELNS1_11target_archE1100ELNS1_3gpuE3ELNS1_3repE0EEENS1_30default_config_static_selectorELNS0_4arch9wavefront6targetE1EEEvT1_
	.p2align	8
	.type	_ZN7rocprim17ROCPRIM_400000_NS6detail17trampoline_kernelINS0_14default_configENS1_20scan_config_selectorIsEEZZNS1_9scan_implILNS1_25lookback_scan_determinismE0ELb1ELb1ES3_N6thrust23THRUST_200600_302600_NS6detail15normal_iteratorINS9_10device_ptrIsEEEESE_s11max_functorIsEsEEDaPvRmT3_T4_T5_mT6_P12ihipStream_tbENKUlT_T0_E_clISt17integral_constantIbLb0EEST_IbLb1EEEEDaSP_SQ_EUlSP_E_NS1_11comp_targetILNS1_3genE9ELNS1_11target_archE1100ELNS1_3gpuE3ELNS1_3repE0EEENS1_30default_config_static_selectorELNS0_4arch9wavefront6targetE1EEEvT1_,@function
_ZN7rocprim17ROCPRIM_400000_NS6detail17trampoline_kernelINS0_14default_configENS1_20scan_config_selectorIsEEZZNS1_9scan_implILNS1_25lookback_scan_determinismE0ELb1ELb1ES3_N6thrust23THRUST_200600_302600_NS6detail15normal_iteratorINS9_10device_ptrIsEEEESE_s11max_functorIsEsEEDaPvRmT3_T4_T5_mT6_P12ihipStream_tbENKUlT_T0_E_clISt17integral_constantIbLb0EEST_IbLb1EEEEDaSP_SQ_EUlSP_E_NS1_11comp_targetILNS1_3genE9ELNS1_11target_archE1100ELNS1_3gpuE3ELNS1_3repE0EEENS1_30default_config_static_selectorELNS0_4arch9wavefront6targetE1EEEvT1_: ; @_ZN7rocprim17ROCPRIM_400000_NS6detail17trampoline_kernelINS0_14default_configENS1_20scan_config_selectorIsEEZZNS1_9scan_implILNS1_25lookback_scan_determinismE0ELb1ELb1ES3_N6thrust23THRUST_200600_302600_NS6detail15normal_iteratorINS9_10device_ptrIsEEEESE_s11max_functorIsEsEEDaPvRmT3_T4_T5_mT6_P12ihipStream_tbENKUlT_T0_E_clISt17integral_constantIbLb0EEST_IbLb1EEEEDaSP_SQ_EUlSP_E_NS1_11comp_targetILNS1_3genE9ELNS1_11target_archE1100ELNS1_3gpuE3ELNS1_3repE0EEENS1_30default_config_static_selectorELNS0_4arch9wavefront6targetE1EEEvT1_
; %bb.0:
	.section	.rodata,"a",@progbits
	.p2align	6, 0x0
	.amdhsa_kernel _ZN7rocprim17ROCPRIM_400000_NS6detail17trampoline_kernelINS0_14default_configENS1_20scan_config_selectorIsEEZZNS1_9scan_implILNS1_25lookback_scan_determinismE0ELb1ELb1ES3_N6thrust23THRUST_200600_302600_NS6detail15normal_iteratorINS9_10device_ptrIsEEEESE_s11max_functorIsEsEEDaPvRmT3_T4_T5_mT6_P12ihipStream_tbENKUlT_T0_E_clISt17integral_constantIbLb0EEST_IbLb1EEEEDaSP_SQ_EUlSP_E_NS1_11comp_targetILNS1_3genE9ELNS1_11target_archE1100ELNS1_3gpuE3ELNS1_3repE0EEENS1_30default_config_static_selectorELNS0_4arch9wavefront6targetE1EEEvT1_
		.amdhsa_group_segment_fixed_size 0
		.amdhsa_private_segment_fixed_size 0
		.amdhsa_kernarg_size 96
		.amdhsa_user_sgpr_count 6
		.amdhsa_user_sgpr_private_segment_buffer 1
		.amdhsa_user_sgpr_dispatch_ptr 0
		.amdhsa_user_sgpr_queue_ptr 0
		.amdhsa_user_sgpr_kernarg_segment_ptr 1
		.amdhsa_user_sgpr_dispatch_id 0
		.amdhsa_user_sgpr_flat_scratch_init 0
		.amdhsa_user_sgpr_kernarg_preload_length 0
		.amdhsa_user_sgpr_kernarg_preload_offset 0
		.amdhsa_user_sgpr_private_segment_size 0
		.amdhsa_uses_dynamic_stack 0
		.amdhsa_system_sgpr_private_segment_wavefront_offset 0
		.amdhsa_system_sgpr_workgroup_id_x 1
		.amdhsa_system_sgpr_workgroup_id_y 0
		.amdhsa_system_sgpr_workgroup_id_z 0
		.amdhsa_system_sgpr_workgroup_info 0
		.amdhsa_system_vgpr_workitem_id 0
		.amdhsa_next_free_vgpr 1
		.amdhsa_next_free_sgpr 0
		.amdhsa_accum_offset 4
		.amdhsa_reserve_vcc 0
		.amdhsa_reserve_flat_scratch 0
		.amdhsa_float_round_mode_32 0
		.amdhsa_float_round_mode_16_64 0
		.amdhsa_float_denorm_mode_32 3
		.amdhsa_float_denorm_mode_16_64 3
		.amdhsa_dx10_clamp 1
		.amdhsa_ieee_mode 1
		.amdhsa_fp16_overflow 0
		.amdhsa_tg_split 0
		.amdhsa_exception_fp_ieee_invalid_op 0
		.amdhsa_exception_fp_denorm_src 0
		.amdhsa_exception_fp_ieee_div_zero 0
		.amdhsa_exception_fp_ieee_overflow 0
		.amdhsa_exception_fp_ieee_underflow 0
		.amdhsa_exception_fp_ieee_inexact 0
		.amdhsa_exception_int_div_zero 0
	.end_amdhsa_kernel
	.section	.text._ZN7rocprim17ROCPRIM_400000_NS6detail17trampoline_kernelINS0_14default_configENS1_20scan_config_selectorIsEEZZNS1_9scan_implILNS1_25lookback_scan_determinismE0ELb1ELb1ES3_N6thrust23THRUST_200600_302600_NS6detail15normal_iteratorINS9_10device_ptrIsEEEESE_s11max_functorIsEsEEDaPvRmT3_T4_T5_mT6_P12ihipStream_tbENKUlT_T0_E_clISt17integral_constantIbLb0EEST_IbLb1EEEEDaSP_SQ_EUlSP_E_NS1_11comp_targetILNS1_3genE9ELNS1_11target_archE1100ELNS1_3gpuE3ELNS1_3repE0EEENS1_30default_config_static_selectorELNS0_4arch9wavefront6targetE1EEEvT1_,"axG",@progbits,_ZN7rocprim17ROCPRIM_400000_NS6detail17trampoline_kernelINS0_14default_configENS1_20scan_config_selectorIsEEZZNS1_9scan_implILNS1_25lookback_scan_determinismE0ELb1ELb1ES3_N6thrust23THRUST_200600_302600_NS6detail15normal_iteratorINS9_10device_ptrIsEEEESE_s11max_functorIsEsEEDaPvRmT3_T4_T5_mT6_P12ihipStream_tbENKUlT_T0_E_clISt17integral_constantIbLb0EEST_IbLb1EEEEDaSP_SQ_EUlSP_E_NS1_11comp_targetILNS1_3genE9ELNS1_11target_archE1100ELNS1_3gpuE3ELNS1_3repE0EEENS1_30default_config_static_selectorELNS0_4arch9wavefront6targetE1EEEvT1_,comdat
.Lfunc_end2979:
	.size	_ZN7rocprim17ROCPRIM_400000_NS6detail17trampoline_kernelINS0_14default_configENS1_20scan_config_selectorIsEEZZNS1_9scan_implILNS1_25lookback_scan_determinismE0ELb1ELb1ES3_N6thrust23THRUST_200600_302600_NS6detail15normal_iteratorINS9_10device_ptrIsEEEESE_s11max_functorIsEsEEDaPvRmT3_T4_T5_mT6_P12ihipStream_tbENKUlT_T0_E_clISt17integral_constantIbLb0EEST_IbLb1EEEEDaSP_SQ_EUlSP_E_NS1_11comp_targetILNS1_3genE9ELNS1_11target_archE1100ELNS1_3gpuE3ELNS1_3repE0EEENS1_30default_config_static_selectorELNS0_4arch9wavefront6targetE1EEEvT1_, .Lfunc_end2979-_ZN7rocprim17ROCPRIM_400000_NS6detail17trampoline_kernelINS0_14default_configENS1_20scan_config_selectorIsEEZZNS1_9scan_implILNS1_25lookback_scan_determinismE0ELb1ELb1ES3_N6thrust23THRUST_200600_302600_NS6detail15normal_iteratorINS9_10device_ptrIsEEEESE_s11max_functorIsEsEEDaPvRmT3_T4_T5_mT6_P12ihipStream_tbENKUlT_T0_E_clISt17integral_constantIbLb0EEST_IbLb1EEEEDaSP_SQ_EUlSP_E_NS1_11comp_targetILNS1_3genE9ELNS1_11target_archE1100ELNS1_3gpuE3ELNS1_3repE0EEENS1_30default_config_static_selectorELNS0_4arch9wavefront6targetE1EEEvT1_
                                        ; -- End function
	.section	.AMDGPU.csdata,"",@progbits
; Kernel info:
; codeLenInByte = 0
; NumSgprs: 4
; NumVgprs: 0
; NumAgprs: 0
; TotalNumVgprs: 0
; ScratchSize: 0
; MemoryBound: 0
; FloatMode: 240
; IeeeMode: 1
; LDSByteSize: 0 bytes/workgroup (compile time only)
; SGPRBlocks: 0
; VGPRBlocks: 0
; NumSGPRsForWavesPerEU: 4
; NumVGPRsForWavesPerEU: 1
; AccumOffset: 4
; Occupancy: 8
; WaveLimiterHint : 0
; COMPUTE_PGM_RSRC2:SCRATCH_EN: 0
; COMPUTE_PGM_RSRC2:USER_SGPR: 6
; COMPUTE_PGM_RSRC2:TRAP_HANDLER: 0
; COMPUTE_PGM_RSRC2:TGID_X_EN: 1
; COMPUTE_PGM_RSRC2:TGID_Y_EN: 0
; COMPUTE_PGM_RSRC2:TGID_Z_EN: 0
; COMPUTE_PGM_RSRC2:TIDIG_COMP_CNT: 0
; COMPUTE_PGM_RSRC3_GFX90A:ACCUM_OFFSET: 0
; COMPUTE_PGM_RSRC3_GFX90A:TG_SPLIT: 0
	.section	.text._ZN7rocprim17ROCPRIM_400000_NS6detail17trampoline_kernelINS0_14default_configENS1_20scan_config_selectorIsEEZZNS1_9scan_implILNS1_25lookback_scan_determinismE0ELb1ELb1ES3_N6thrust23THRUST_200600_302600_NS6detail15normal_iteratorINS9_10device_ptrIsEEEESE_s11max_functorIsEsEEDaPvRmT3_T4_T5_mT6_P12ihipStream_tbENKUlT_T0_E_clISt17integral_constantIbLb0EEST_IbLb1EEEEDaSP_SQ_EUlSP_E_NS1_11comp_targetILNS1_3genE8ELNS1_11target_archE1030ELNS1_3gpuE2ELNS1_3repE0EEENS1_30default_config_static_selectorELNS0_4arch9wavefront6targetE1EEEvT1_,"axG",@progbits,_ZN7rocprim17ROCPRIM_400000_NS6detail17trampoline_kernelINS0_14default_configENS1_20scan_config_selectorIsEEZZNS1_9scan_implILNS1_25lookback_scan_determinismE0ELb1ELb1ES3_N6thrust23THRUST_200600_302600_NS6detail15normal_iteratorINS9_10device_ptrIsEEEESE_s11max_functorIsEsEEDaPvRmT3_T4_T5_mT6_P12ihipStream_tbENKUlT_T0_E_clISt17integral_constantIbLb0EEST_IbLb1EEEEDaSP_SQ_EUlSP_E_NS1_11comp_targetILNS1_3genE8ELNS1_11target_archE1030ELNS1_3gpuE2ELNS1_3repE0EEENS1_30default_config_static_selectorELNS0_4arch9wavefront6targetE1EEEvT1_,comdat
	.protected	_ZN7rocprim17ROCPRIM_400000_NS6detail17trampoline_kernelINS0_14default_configENS1_20scan_config_selectorIsEEZZNS1_9scan_implILNS1_25lookback_scan_determinismE0ELb1ELb1ES3_N6thrust23THRUST_200600_302600_NS6detail15normal_iteratorINS9_10device_ptrIsEEEESE_s11max_functorIsEsEEDaPvRmT3_T4_T5_mT6_P12ihipStream_tbENKUlT_T0_E_clISt17integral_constantIbLb0EEST_IbLb1EEEEDaSP_SQ_EUlSP_E_NS1_11comp_targetILNS1_3genE8ELNS1_11target_archE1030ELNS1_3gpuE2ELNS1_3repE0EEENS1_30default_config_static_selectorELNS0_4arch9wavefront6targetE1EEEvT1_ ; -- Begin function _ZN7rocprim17ROCPRIM_400000_NS6detail17trampoline_kernelINS0_14default_configENS1_20scan_config_selectorIsEEZZNS1_9scan_implILNS1_25lookback_scan_determinismE0ELb1ELb1ES3_N6thrust23THRUST_200600_302600_NS6detail15normal_iteratorINS9_10device_ptrIsEEEESE_s11max_functorIsEsEEDaPvRmT3_T4_T5_mT6_P12ihipStream_tbENKUlT_T0_E_clISt17integral_constantIbLb0EEST_IbLb1EEEEDaSP_SQ_EUlSP_E_NS1_11comp_targetILNS1_3genE8ELNS1_11target_archE1030ELNS1_3gpuE2ELNS1_3repE0EEENS1_30default_config_static_selectorELNS0_4arch9wavefront6targetE1EEEvT1_
	.globl	_ZN7rocprim17ROCPRIM_400000_NS6detail17trampoline_kernelINS0_14default_configENS1_20scan_config_selectorIsEEZZNS1_9scan_implILNS1_25lookback_scan_determinismE0ELb1ELb1ES3_N6thrust23THRUST_200600_302600_NS6detail15normal_iteratorINS9_10device_ptrIsEEEESE_s11max_functorIsEsEEDaPvRmT3_T4_T5_mT6_P12ihipStream_tbENKUlT_T0_E_clISt17integral_constantIbLb0EEST_IbLb1EEEEDaSP_SQ_EUlSP_E_NS1_11comp_targetILNS1_3genE8ELNS1_11target_archE1030ELNS1_3gpuE2ELNS1_3repE0EEENS1_30default_config_static_selectorELNS0_4arch9wavefront6targetE1EEEvT1_
	.p2align	8
	.type	_ZN7rocprim17ROCPRIM_400000_NS6detail17trampoline_kernelINS0_14default_configENS1_20scan_config_selectorIsEEZZNS1_9scan_implILNS1_25lookback_scan_determinismE0ELb1ELb1ES3_N6thrust23THRUST_200600_302600_NS6detail15normal_iteratorINS9_10device_ptrIsEEEESE_s11max_functorIsEsEEDaPvRmT3_T4_T5_mT6_P12ihipStream_tbENKUlT_T0_E_clISt17integral_constantIbLb0EEST_IbLb1EEEEDaSP_SQ_EUlSP_E_NS1_11comp_targetILNS1_3genE8ELNS1_11target_archE1030ELNS1_3gpuE2ELNS1_3repE0EEENS1_30default_config_static_selectorELNS0_4arch9wavefront6targetE1EEEvT1_,@function
_ZN7rocprim17ROCPRIM_400000_NS6detail17trampoline_kernelINS0_14default_configENS1_20scan_config_selectorIsEEZZNS1_9scan_implILNS1_25lookback_scan_determinismE0ELb1ELb1ES3_N6thrust23THRUST_200600_302600_NS6detail15normal_iteratorINS9_10device_ptrIsEEEESE_s11max_functorIsEsEEDaPvRmT3_T4_T5_mT6_P12ihipStream_tbENKUlT_T0_E_clISt17integral_constantIbLb0EEST_IbLb1EEEEDaSP_SQ_EUlSP_E_NS1_11comp_targetILNS1_3genE8ELNS1_11target_archE1030ELNS1_3gpuE2ELNS1_3repE0EEENS1_30default_config_static_selectorELNS0_4arch9wavefront6targetE1EEEvT1_: ; @_ZN7rocprim17ROCPRIM_400000_NS6detail17trampoline_kernelINS0_14default_configENS1_20scan_config_selectorIsEEZZNS1_9scan_implILNS1_25lookback_scan_determinismE0ELb1ELb1ES3_N6thrust23THRUST_200600_302600_NS6detail15normal_iteratorINS9_10device_ptrIsEEEESE_s11max_functorIsEsEEDaPvRmT3_T4_T5_mT6_P12ihipStream_tbENKUlT_T0_E_clISt17integral_constantIbLb0EEST_IbLb1EEEEDaSP_SQ_EUlSP_E_NS1_11comp_targetILNS1_3genE8ELNS1_11target_archE1030ELNS1_3gpuE2ELNS1_3repE0EEENS1_30default_config_static_selectorELNS0_4arch9wavefront6targetE1EEEvT1_
; %bb.0:
	.section	.rodata,"a",@progbits
	.p2align	6, 0x0
	.amdhsa_kernel _ZN7rocprim17ROCPRIM_400000_NS6detail17trampoline_kernelINS0_14default_configENS1_20scan_config_selectorIsEEZZNS1_9scan_implILNS1_25lookback_scan_determinismE0ELb1ELb1ES3_N6thrust23THRUST_200600_302600_NS6detail15normal_iteratorINS9_10device_ptrIsEEEESE_s11max_functorIsEsEEDaPvRmT3_T4_T5_mT6_P12ihipStream_tbENKUlT_T0_E_clISt17integral_constantIbLb0EEST_IbLb1EEEEDaSP_SQ_EUlSP_E_NS1_11comp_targetILNS1_3genE8ELNS1_11target_archE1030ELNS1_3gpuE2ELNS1_3repE0EEENS1_30default_config_static_selectorELNS0_4arch9wavefront6targetE1EEEvT1_
		.amdhsa_group_segment_fixed_size 0
		.amdhsa_private_segment_fixed_size 0
		.amdhsa_kernarg_size 96
		.amdhsa_user_sgpr_count 6
		.amdhsa_user_sgpr_private_segment_buffer 1
		.amdhsa_user_sgpr_dispatch_ptr 0
		.amdhsa_user_sgpr_queue_ptr 0
		.amdhsa_user_sgpr_kernarg_segment_ptr 1
		.amdhsa_user_sgpr_dispatch_id 0
		.amdhsa_user_sgpr_flat_scratch_init 0
		.amdhsa_user_sgpr_kernarg_preload_length 0
		.amdhsa_user_sgpr_kernarg_preload_offset 0
		.amdhsa_user_sgpr_private_segment_size 0
		.amdhsa_uses_dynamic_stack 0
		.amdhsa_system_sgpr_private_segment_wavefront_offset 0
		.amdhsa_system_sgpr_workgroup_id_x 1
		.amdhsa_system_sgpr_workgroup_id_y 0
		.amdhsa_system_sgpr_workgroup_id_z 0
		.amdhsa_system_sgpr_workgroup_info 0
		.amdhsa_system_vgpr_workitem_id 0
		.amdhsa_next_free_vgpr 1
		.amdhsa_next_free_sgpr 0
		.amdhsa_accum_offset 4
		.amdhsa_reserve_vcc 0
		.amdhsa_reserve_flat_scratch 0
		.amdhsa_float_round_mode_32 0
		.amdhsa_float_round_mode_16_64 0
		.amdhsa_float_denorm_mode_32 3
		.amdhsa_float_denorm_mode_16_64 3
		.amdhsa_dx10_clamp 1
		.amdhsa_ieee_mode 1
		.amdhsa_fp16_overflow 0
		.amdhsa_tg_split 0
		.amdhsa_exception_fp_ieee_invalid_op 0
		.amdhsa_exception_fp_denorm_src 0
		.amdhsa_exception_fp_ieee_div_zero 0
		.amdhsa_exception_fp_ieee_overflow 0
		.amdhsa_exception_fp_ieee_underflow 0
		.amdhsa_exception_fp_ieee_inexact 0
		.amdhsa_exception_int_div_zero 0
	.end_amdhsa_kernel
	.section	.text._ZN7rocprim17ROCPRIM_400000_NS6detail17trampoline_kernelINS0_14default_configENS1_20scan_config_selectorIsEEZZNS1_9scan_implILNS1_25lookback_scan_determinismE0ELb1ELb1ES3_N6thrust23THRUST_200600_302600_NS6detail15normal_iteratorINS9_10device_ptrIsEEEESE_s11max_functorIsEsEEDaPvRmT3_T4_T5_mT6_P12ihipStream_tbENKUlT_T0_E_clISt17integral_constantIbLb0EEST_IbLb1EEEEDaSP_SQ_EUlSP_E_NS1_11comp_targetILNS1_3genE8ELNS1_11target_archE1030ELNS1_3gpuE2ELNS1_3repE0EEENS1_30default_config_static_selectorELNS0_4arch9wavefront6targetE1EEEvT1_,"axG",@progbits,_ZN7rocprim17ROCPRIM_400000_NS6detail17trampoline_kernelINS0_14default_configENS1_20scan_config_selectorIsEEZZNS1_9scan_implILNS1_25lookback_scan_determinismE0ELb1ELb1ES3_N6thrust23THRUST_200600_302600_NS6detail15normal_iteratorINS9_10device_ptrIsEEEESE_s11max_functorIsEsEEDaPvRmT3_T4_T5_mT6_P12ihipStream_tbENKUlT_T0_E_clISt17integral_constantIbLb0EEST_IbLb1EEEEDaSP_SQ_EUlSP_E_NS1_11comp_targetILNS1_3genE8ELNS1_11target_archE1030ELNS1_3gpuE2ELNS1_3repE0EEENS1_30default_config_static_selectorELNS0_4arch9wavefront6targetE1EEEvT1_,comdat
.Lfunc_end2980:
	.size	_ZN7rocprim17ROCPRIM_400000_NS6detail17trampoline_kernelINS0_14default_configENS1_20scan_config_selectorIsEEZZNS1_9scan_implILNS1_25lookback_scan_determinismE0ELb1ELb1ES3_N6thrust23THRUST_200600_302600_NS6detail15normal_iteratorINS9_10device_ptrIsEEEESE_s11max_functorIsEsEEDaPvRmT3_T4_T5_mT6_P12ihipStream_tbENKUlT_T0_E_clISt17integral_constantIbLb0EEST_IbLb1EEEEDaSP_SQ_EUlSP_E_NS1_11comp_targetILNS1_3genE8ELNS1_11target_archE1030ELNS1_3gpuE2ELNS1_3repE0EEENS1_30default_config_static_selectorELNS0_4arch9wavefront6targetE1EEEvT1_, .Lfunc_end2980-_ZN7rocprim17ROCPRIM_400000_NS6detail17trampoline_kernelINS0_14default_configENS1_20scan_config_selectorIsEEZZNS1_9scan_implILNS1_25lookback_scan_determinismE0ELb1ELb1ES3_N6thrust23THRUST_200600_302600_NS6detail15normal_iteratorINS9_10device_ptrIsEEEESE_s11max_functorIsEsEEDaPvRmT3_T4_T5_mT6_P12ihipStream_tbENKUlT_T0_E_clISt17integral_constantIbLb0EEST_IbLb1EEEEDaSP_SQ_EUlSP_E_NS1_11comp_targetILNS1_3genE8ELNS1_11target_archE1030ELNS1_3gpuE2ELNS1_3repE0EEENS1_30default_config_static_selectorELNS0_4arch9wavefront6targetE1EEEvT1_
                                        ; -- End function
	.section	.AMDGPU.csdata,"",@progbits
; Kernel info:
; codeLenInByte = 0
; NumSgprs: 4
; NumVgprs: 0
; NumAgprs: 0
; TotalNumVgprs: 0
; ScratchSize: 0
; MemoryBound: 0
; FloatMode: 240
; IeeeMode: 1
; LDSByteSize: 0 bytes/workgroup (compile time only)
; SGPRBlocks: 0
; VGPRBlocks: 0
; NumSGPRsForWavesPerEU: 4
; NumVGPRsForWavesPerEU: 1
; AccumOffset: 4
; Occupancy: 8
; WaveLimiterHint : 0
; COMPUTE_PGM_RSRC2:SCRATCH_EN: 0
; COMPUTE_PGM_RSRC2:USER_SGPR: 6
; COMPUTE_PGM_RSRC2:TRAP_HANDLER: 0
; COMPUTE_PGM_RSRC2:TGID_X_EN: 1
; COMPUTE_PGM_RSRC2:TGID_Y_EN: 0
; COMPUTE_PGM_RSRC2:TGID_Z_EN: 0
; COMPUTE_PGM_RSRC2:TIDIG_COMP_CNT: 0
; COMPUTE_PGM_RSRC3_GFX90A:ACCUM_OFFSET: 0
; COMPUTE_PGM_RSRC3_GFX90A:TG_SPLIT: 0
	.section	.text._ZN7rocprim17ROCPRIM_400000_NS6detail17trampoline_kernelINS0_14default_configENS1_20scan_config_selectorIsEEZZNS1_9scan_implILNS1_25lookback_scan_determinismE0ELb1ELb1ES3_N6thrust23THRUST_200600_302600_NS6detail15normal_iteratorINS9_10device_ptrIsEEEESE_s11max_functorIsEsEEDaPvRmT3_T4_T5_mT6_P12ihipStream_tbENKUlT_T0_E_clISt17integral_constantIbLb0EEST_IbLb1EEEEDaSP_SQ_EUlSP_E0_NS1_11comp_targetILNS1_3genE0ELNS1_11target_archE4294967295ELNS1_3gpuE0ELNS1_3repE0EEENS1_30default_config_static_selectorELNS0_4arch9wavefront6targetE1EEEvT1_,"axG",@progbits,_ZN7rocprim17ROCPRIM_400000_NS6detail17trampoline_kernelINS0_14default_configENS1_20scan_config_selectorIsEEZZNS1_9scan_implILNS1_25lookback_scan_determinismE0ELb1ELb1ES3_N6thrust23THRUST_200600_302600_NS6detail15normal_iteratorINS9_10device_ptrIsEEEESE_s11max_functorIsEsEEDaPvRmT3_T4_T5_mT6_P12ihipStream_tbENKUlT_T0_E_clISt17integral_constantIbLb0EEST_IbLb1EEEEDaSP_SQ_EUlSP_E0_NS1_11comp_targetILNS1_3genE0ELNS1_11target_archE4294967295ELNS1_3gpuE0ELNS1_3repE0EEENS1_30default_config_static_selectorELNS0_4arch9wavefront6targetE1EEEvT1_,comdat
	.protected	_ZN7rocprim17ROCPRIM_400000_NS6detail17trampoline_kernelINS0_14default_configENS1_20scan_config_selectorIsEEZZNS1_9scan_implILNS1_25lookback_scan_determinismE0ELb1ELb1ES3_N6thrust23THRUST_200600_302600_NS6detail15normal_iteratorINS9_10device_ptrIsEEEESE_s11max_functorIsEsEEDaPvRmT3_T4_T5_mT6_P12ihipStream_tbENKUlT_T0_E_clISt17integral_constantIbLb0EEST_IbLb1EEEEDaSP_SQ_EUlSP_E0_NS1_11comp_targetILNS1_3genE0ELNS1_11target_archE4294967295ELNS1_3gpuE0ELNS1_3repE0EEENS1_30default_config_static_selectorELNS0_4arch9wavefront6targetE1EEEvT1_ ; -- Begin function _ZN7rocprim17ROCPRIM_400000_NS6detail17trampoline_kernelINS0_14default_configENS1_20scan_config_selectorIsEEZZNS1_9scan_implILNS1_25lookback_scan_determinismE0ELb1ELb1ES3_N6thrust23THRUST_200600_302600_NS6detail15normal_iteratorINS9_10device_ptrIsEEEESE_s11max_functorIsEsEEDaPvRmT3_T4_T5_mT6_P12ihipStream_tbENKUlT_T0_E_clISt17integral_constantIbLb0EEST_IbLb1EEEEDaSP_SQ_EUlSP_E0_NS1_11comp_targetILNS1_3genE0ELNS1_11target_archE4294967295ELNS1_3gpuE0ELNS1_3repE0EEENS1_30default_config_static_selectorELNS0_4arch9wavefront6targetE1EEEvT1_
	.globl	_ZN7rocprim17ROCPRIM_400000_NS6detail17trampoline_kernelINS0_14default_configENS1_20scan_config_selectorIsEEZZNS1_9scan_implILNS1_25lookback_scan_determinismE0ELb1ELb1ES3_N6thrust23THRUST_200600_302600_NS6detail15normal_iteratorINS9_10device_ptrIsEEEESE_s11max_functorIsEsEEDaPvRmT3_T4_T5_mT6_P12ihipStream_tbENKUlT_T0_E_clISt17integral_constantIbLb0EEST_IbLb1EEEEDaSP_SQ_EUlSP_E0_NS1_11comp_targetILNS1_3genE0ELNS1_11target_archE4294967295ELNS1_3gpuE0ELNS1_3repE0EEENS1_30default_config_static_selectorELNS0_4arch9wavefront6targetE1EEEvT1_
	.p2align	8
	.type	_ZN7rocprim17ROCPRIM_400000_NS6detail17trampoline_kernelINS0_14default_configENS1_20scan_config_selectorIsEEZZNS1_9scan_implILNS1_25lookback_scan_determinismE0ELb1ELb1ES3_N6thrust23THRUST_200600_302600_NS6detail15normal_iteratorINS9_10device_ptrIsEEEESE_s11max_functorIsEsEEDaPvRmT3_T4_T5_mT6_P12ihipStream_tbENKUlT_T0_E_clISt17integral_constantIbLb0EEST_IbLb1EEEEDaSP_SQ_EUlSP_E0_NS1_11comp_targetILNS1_3genE0ELNS1_11target_archE4294967295ELNS1_3gpuE0ELNS1_3repE0EEENS1_30default_config_static_selectorELNS0_4arch9wavefront6targetE1EEEvT1_,@function
_ZN7rocprim17ROCPRIM_400000_NS6detail17trampoline_kernelINS0_14default_configENS1_20scan_config_selectorIsEEZZNS1_9scan_implILNS1_25lookback_scan_determinismE0ELb1ELb1ES3_N6thrust23THRUST_200600_302600_NS6detail15normal_iteratorINS9_10device_ptrIsEEEESE_s11max_functorIsEsEEDaPvRmT3_T4_T5_mT6_P12ihipStream_tbENKUlT_T0_E_clISt17integral_constantIbLb0EEST_IbLb1EEEEDaSP_SQ_EUlSP_E0_NS1_11comp_targetILNS1_3genE0ELNS1_11target_archE4294967295ELNS1_3gpuE0ELNS1_3repE0EEENS1_30default_config_static_selectorELNS0_4arch9wavefront6targetE1EEEvT1_: ; @_ZN7rocprim17ROCPRIM_400000_NS6detail17trampoline_kernelINS0_14default_configENS1_20scan_config_selectorIsEEZZNS1_9scan_implILNS1_25lookback_scan_determinismE0ELb1ELb1ES3_N6thrust23THRUST_200600_302600_NS6detail15normal_iteratorINS9_10device_ptrIsEEEESE_s11max_functorIsEsEEDaPvRmT3_T4_T5_mT6_P12ihipStream_tbENKUlT_T0_E_clISt17integral_constantIbLb0EEST_IbLb1EEEEDaSP_SQ_EUlSP_E0_NS1_11comp_targetILNS1_3genE0ELNS1_11target_archE4294967295ELNS1_3gpuE0ELNS1_3repE0EEENS1_30default_config_static_selectorELNS0_4arch9wavefront6targetE1EEEvT1_
; %bb.0:
	.section	.rodata,"a",@progbits
	.p2align	6, 0x0
	.amdhsa_kernel _ZN7rocprim17ROCPRIM_400000_NS6detail17trampoline_kernelINS0_14default_configENS1_20scan_config_selectorIsEEZZNS1_9scan_implILNS1_25lookback_scan_determinismE0ELb1ELb1ES3_N6thrust23THRUST_200600_302600_NS6detail15normal_iteratorINS9_10device_ptrIsEEEESE_s11max_functorIsEsEEDaPvRmT3_T4_T5_mT6_P12ihipStream_tbENKUlT_T0_E_clISt17integral_constantIbLb0EEST_IbLb1EEEEDaSP_SQ_EUlSP_E0_NS1_11comp_targetILNS1_3genE0ELNS1_11target_archE4294967295ELNS1_3gpuE0ELNS1_3repE0EEENS1_30default_config_static_selectorELNS0_4arch9wavefront6targetE1EEEvT1_
		.amdhsa_group_segment_fixed_size 0
		.amdhsa_private_segment_fixed_size 0
		.amdhsa_kernarg_size 32
		.amdhsa_user_sgpr_count 6
		.amdhsa_user_sgpr_private_segment_buffer 1
		.amdhsa_user_sgpr_dispatch_ptr 0
		.amdhsa_user_sgpr_queue_ptr 0
		.amdhsa_user_sgpr_kernarg_segment_ptr 1
		.amdhsa_user_sgpr_dispatch_id 0
		.amdhsa_user_sgpr_flat_scratch_init 0
		.amdhsa_user_sgpr_kernarg_preload_length 0
		.amdhsa_user_sgpr_kernarg_preload_offset 0
		.amdhsa_user_sgpr_private_segment_size 0
		.amdhsa_uses_dynamic_stack 0
		.amdhsa_system_sgpr_private_segment_wavefront_offset 0
		.amdhsa_system_sgpr_workgroup_id_x 1
		.amdhsa_system_sgpr_workgroup_id_y 0
		.amdhsa_system_sgpr_workgroup_id_z 0
		.amdhsa_system_sgpr_workgroup_info 0
		.amdhsa_system_vgpr_workitem_id 0
		.amdhsa_next_free_vgpr 1
		.amdhsa_next_free_sgpr 0
		.amdhsa_accum_offset 4
		.amdhsa_reserve_vcc 0
		.amdhsa_reserve_flat_scratch 0
		.amdhsa_float_round_mode_32 0
		.amdhsa_float_round_mode_16_64 0
		.amdhsa_float_denorm_mode_32 3
		.amdhsa_float_denorm_mode_16_64 3
		.amdhsa_dx10_clamp 1
		.amdhsa_ieee_mode 1
		.amdhsa_fp16_overflow 0
		.amdhsa_tg_split 0
		.amdhsa_exception_fp_ieee_invalid_op 0
		.amdhsa_exception_fp_denorm_src 0
		.amdhsa_exception_fp_ieee_div_zero 0
		.amdhsa_exception_fp_ieee_overflow 0
		.amdhsa_exception_fp_ieee_underflow 0
		.amdhsa_exception_fp_ieee_inexact 0
		.amdhsa_exception_int_div_zero 0
	.end_amdhsa_kernel
	.section	.text._ZN7rocprim17ROCPRIM_400000_NS6detail17trampoline_kernelINS0_14default_configENS1_20scan_config_selectorIsEEZZNS1_9scan_implILNS1_25lookback_scan_determinismE0ELb1ELb1ES3_N6thrust23THRUST_200600_302600_NS6detail15normal_iteratorINS9_10device_ptrIsEEEESE_s11max_functorIsEsEEDaPvRmT3_T4_T5_mT6_P12ihipStream_tbENKUlT_T0_E_clISt17integral_constantIbLb0EEST_IbLb1EEEEDaSP_SQ_EUlSP_E0_NS1_11comp_targetILNS1_3genE0ELNS1_11target_archE4294967295ELNS1_3gpuE0ELNS1_3repE0EEENS1_30default_config_static_selectorELNS0_4arch9wavefront6targetE1EEEvT1_,"axG",@progbits,_ZN7rocprim17ROCPRIM_400000_NS6detail17trampoline_kernelINS0_14default_configENS1_20scan_config_selectorIsEEZZNS1_9scan_implILNS1_25lookback_scan_determinismE0ELb1ELb1ES3_N6thrust23THRUST_200600_302600_NS6detail15normal_iteratorINS9_10device_ptrIsEEEESE_s11max_functorIsEsEEDaPvRmT3_T4_T5_mT6_P12ihipStream_tbENKUlT_T0_E_clISt17integral_constantIbLb0EEST_IbLb1EEEEDaSP_SQ_EUlSP_E0_NS1_11comp_targetILNS1_3genE0ELNS1_11target_archE4294967295ELNS1_3gpuE0ELNS1_3repE0EEENS1_30default_config_static_selectorELNS0_4arch9wavefront6targetE1EEEvT1_,comdat
.Lfunc_end2981:
	.size	_ZN7rocprim17ROCPRIM_400000_NS6detail17trampoline_kernelINS0_14default_configENS1_20scan_config_selectorIsEEZZNS1_9scan_implILNS1_25lookback_scan_determinismE0ELb1ELb1ES3_N6thrust23THRUST_200600_302600_NS6detail15normal_iteratorINS9_10device_ptrIsEEEESE_s11max_functorIsEsEEDaPvRmT3_T4_T5_mT6_P12ihipStream_tbENKUlT_T0_E_clISt17integral_constantIbLb0EEST_IbLb1EEEEDaSP_SQ_EUlSP_E0_NS1_11comp_targetILNS1_3genE0ELNS1_11target_archE4294967295ELNS1_3gpuE0ELNS1_3repE0EEENS1_30default_config_static_selectorELNS0_4arch9wavefront6targetE1EEEvT1_, .Lfunc_end2981-_ZN7rocprim17ROCPRIM_400000_NS6detail17trampoline_kernelINS0_14default_configENS1_20scan_config_selectorIsEEZZNS1_9scan_implILNS1_25lookback_scan_determinismE0ELb1ELb1ES3_N6thrust23THRUST_200600_302600_NS6detail15normal_iteratorINS9_10device_ptrIsEEEESE_s11max_functorIsEsEEDaPvRmT3_T4_T5_mT6_P12ihipStream_tbENKUlT_T0_E_clISt17integral_constantIbLb0EEST_IbLb1EEEEDaSP_SQ_EUlSP_E0_NS1_11comp_targetILNS1_3genE0ELNS1_11target_archE4294967295ELNS1_3gpuE0ELNS1_3repE0EEENS1_30default_config_static_selectorELNS0_4arch9wavefront6targetE1EEEvT1_
                                        ; -- End function
	.section	.AMDGPU.csdata,"",@progbits
; Kernel info:
; codeLenInByte = 0
; NumSgprs: 4
; NumVgprs: 0
; NumAgprs: 0
; TotalNumVgprs: 0
; ScratchSize: 0
; MemoryBound: 0
; FloatMode: 240
; IeeeMode: 1
; LDSByteSize: 0 bytes/workgroup (compile time only)
; SGPRBlocks: 0
; VGPRBlocks: 0
; NumSGPRsForWavesPerEU: 4
; NumVGPRsForWavesPerEU: 1
; AccumOffset: 4
; Occupancy: 8
; WaveLimiterHint : 0
; COMPUTE_PGM_RSRC2:SCRATCH_EN: 0
; COMPUTE_PGM_RSRC2:USER_SGPR: 6
; COMPUTE_PGM_RSRC2:TRAP_HANDLER: 0
; COMPUTE_PGM_RSRC2:TGID_X_EN: 1
; COMPUTE_PGM_RSRC2:TGID_Y_EN: 0
; COMPUTE_PGM_RSRC2:TGID_Z_EN: 0
; COMPUTE_PGM_RSRC2:TIDIG_COMP_CNT: 0
; COMPUTE_PGM_RSRC3_GFX90A:ACCUM_OFFSET: 0
; COMPUTE_PGM_RSRC3_GFX90A:TG_SPLIT: 0
	.section	.text._ZN7rocprim17ROCPRIM_400000_NS6detail17trampoline_kernelINS0_14default_configENS1_20scan_config_selectorIsEEZZNS1_9scan_implILNS1_25lookback_scan_determinismE0ELb1ELb1ES3_N6thrust23THRUST_200600_302600_NS6detail15normal_iteratorINS9_10device_ptrIsEEEESE_s11max_functorIsEsEEDaPvRmT3_T4_T5_mT6_P12ihipStream_tbENKUlT_T0_E_clISt17integral_constantIbLb0EEST_IbLb1EEEEDaSP_SQ_EUlSP_E0_NS1_11comp_targetILNS1_3genE5ELNS1_11target_archE942ELNS1_3gpuE9ELNS1_3repE0EEENS1_30default_config_static_selectorELNS0_4arch9wavefront6targetE1EEEvT1_,"axG",@progbits,_ZN7rocprim17ROCPRIM_400000_NS6detail17trampoline_kernelINS0_14default_configENS1_20scan_config_selectorIsEEZZNS1_9scan_implILNS1_25lookback_scan_determinismE0ELb1ELb1ES3_N6thrust23THRUST_200600_302600_NS6detail15normal_iteratorINS9_10device_ptrIsEEEESE_s11max_functorIsEsEEDaPvRmT3_T4_T5_mT6_P12ihipStream_tbENKUlT_T0_E_clISt17integral_constantIbLb0EEST_IbLb1EEEEDaSP_SQ_EUlSP_E0_NS1_11comp_targetILNS1_3genE5ELNS1_11target_archE942ELNS1_3gpuE9ELNS1_3repE0EEENS1_30default_config_static_selectorELNS0_4arch9wavefront6targetE1EEEvT1_,comdat
	.protected	_ZN7rocprim17ROCPRIM_400000_NS6detail17trampoline_kernelINS0_14default_configENS1_20scan_config_selectorIsEEZZNS1_9scan_implILNS1_25lookback_scan_determinismE0ELb1ELb1ES3_N6thrust23THRUST_200600_302600_NS6detail15normal_iteratorINS9_10device_ptrIsEEEESE_s11max_functorIsEsEEDaPvRmT3_T4_T5_mT6_P12ihipStream_tbENKUlT_T0_E_clISt17integral_constantIbLb0EEST_IbLb1EEEEDaSP_SQ_EUlSP_E0_NS1_11comp_targetILNS1_3genE5ELNS1_11target_archE942ELNS1_3gpuE9ELNS1_3repE0EEENS1_30default_config_static_selectorELNS0_4arch9wavefront6targetE1EEEvT1_ ; -- Begin function _ZN7rocprim17ROCPRIM_400000_NS6detail17trampoline_kernelINS0_14default_configENS1_20scan_config_selectorIsEEZZNS1_9scan_implILNS1_25lookback_scan_determinismE0ELb1ELb1ES3_N6thrust23THRUST_200600_302600_NS6detail15normal_iteratorINS9_10device_ptrIsEEEESE_s11max_functorIsEsEEDaPvRmT3_T4_T5_mT6_P12ihipStream_tbENKUlT_T0_E_clISt17integral_constantIbLb0EEST_IbLb1EEEEDaSP_SQ_EUlSP_E0_NS1_11comp_targetILNS1_3genE5ELNS1_11target_archE942ELNS1_3gpuE9ELNS1_3repE0EEENS1_30default_config_static_selectorELNS0_4arch9wavefront6targetE1EEEvT1_
	.globl	_ZN7rocprim17ROCPRIM_400000_NS6detail17trampoline_kernelINS0_14default_configENS1_20scan_config_selectorIsEEZZNS1_9scan_implILNS1_25lookback_scan_determinismE0ELb1ELb1ES3_N6thrust23THRUST_200600_302600_NS6detail15normal_iteratorINS9_10device_ptrIsEEEESE_s11max_functorIsEsEEDaPvRmT3_T4_T5_mT6_P12ihipStream_tbENKUlT_T0_E_clISt17integral_constantIbLb0EEST_IbLb1EEEEDaSP_SQ_EUlSP_E0_NS1_11comp_targetILNS1_3genE5ELNS1_11target_archE942ELNS1_3gpuE9ELNS1_3repE0EEENS1_30default_config_static_selectorELNS0_4arch9wavefront6targetE1EEEvT1_
	.p2align	8
	.type	_ZN7rocprim17ROCPRIM_400000_NS6detail17trampoline_kernelINS0_14default_configENS1_20scan_config_selectorIsEEZZNS1_9scan_implILNS1_25lookback_scan_determinismE0ELb1ELb1ES3_N6thrust23THRUST_200600_302600_NS6detail15normal_iteratorINS9_10device_ptrIsEEEESE_s11max_functorIsEsEEDaPvRmT3_T4_T5_mT6_P12ihipStream_tbENKUlT_T0_E_clISt17integral_constantIbLb0EEST_IbLb1EEEEDaSP_SQ_EUlSP_E0_NS1_11comp_targetILNS1_3genE5ELNS1_11target_archE942ELNS1_3gpuE9ELNS1_3repE0EEENS1_30default_config_static_selectorELNS0_4arch9wavefront6targetE1EEEvT1_,@function
_ZN7rocprim17ROCPRIM_400000_NS6detail17trampoline_kernelINS0_14default_configENS1_20scan_config_selectorIsEEZZNS1_9scan_implILNS1_25lookback_scan_determinismE0ELb1ELb1ES3_N6thrust23THRUST_200600_302600_NS6detail15normal_iteratorINS9_10device_ptrIsEEEESE_s11max_functorIsEsEEDaPvRmT3_T4_T5_mT6_P12ihipStream_tbENKUlT_T0_E_clISt17integral_constantIbLb0EEST_IbLb1EEEEDaSP_SQ_EUlSP_E0_NS1_11comp_targetILNS1_3genE5ELNS1_11target_archE942ELNS1_3gpuE9ELNS1_3repE0EEENS1_30default_config_static_selectorELNS0_4arch9wavefront6targetE1EEEvT1_: ; @_ZN7rocprim17ROCPRIM_400000_NS6detail17trampoline_kernelINS0_14default_configENS1_20scan_config_selectorIsEEZZNS1_9scan_implILNS1_25lookback_scan_determinismE0ELb1ELb1ES3_N6thrust23THRUST_200600_302600_NS6detail15normal_iteratorINS9_10device_ptrIsEEEESE_s11max_functorIsEsEEDaPvRmT3_T4_T5_mT6_P12ihipStream_tbENKUlT_T0_E_clISt17integral_constantIbLb0EEST_IbLb1EEEEDaSP_SQ_EUlSP_E0_NS1_11comp_targetILNS1_3genE5ELNS1_11target_archE942ELNS1_3gpuE9ELNS1_3repE0EEENS1_30default_config_static_selectorELNS0_4arch9wavefront6targetE1EEEvT1_
; %bb.0:
	.section	.rodata,"a",@progbits
	.p2align	6, 0x0
	.amdhsa_kernel _ZN7rocprim17ROCPRIM_400000_NS6detail17trampoline_kernelINS0_14default_configENS1_20scan_config_selectorIsEEZZNS1_9scan_implILNS1_25lookback_scan_determinismE0ELb1ELb1ES3_N6thrust23THRUST_200600_302600_NS6detail15normal_iteratorINS9_10device_ptrIsEEEESE_s11max_functorIsEsEEDaPvRmT3_T4_T5_mT6_P12ihipStream_tbENKUlT_T0_E_clISt17integral_constantIbLb0EEST_IbLb1EEEEDaSP_SQ_EUlSP_E0_NS1_11comp_targetILNS1_3genE5ELNS1_11target_archE942ELNS1_3gpuE9ELNS1_3repE0EEENS1_30default_config_static_selectorELNS0_4arch9wavefront6targetE1EEEvT1_
		.amdhsa_group_segment_fixed_size 0
		.amdhsa_private_segment_fixed_size 0
		.amdhsa_kernarg_size 32
		.amdhsa_user_sgpr_count 6
		.amdhsa_user_sgpr_private_segment_buffer 1
		.amdhsa_user_sgpr_dispatch_ptr 0
		.amdhsa_user_sgpr_queue_ptr 0
		.amdhsa_user_sgpr_kernarg_segment_ptr 1
		.amdhsa_user_sgpr_dispatch_id 0
		.amdhsa_user_sgpr_flat_scratch_init 0
		.amdhsa_user_sgpr_kernarg_preload_length 0
		.amdhsa_user_sgpr_kernarg_preload_offset 0
		.amdhsa_user_sgpr_private_segment_size 0
		.amdhsa_uses_dynamic_stack 0
		.amdhsa_system_sgpr_private_segment_wavefront_offset 0
		.amdhsa_system_sgpr_workgroup_id_x 1
		.amdhsa_system_sgpr_workgroup_id_y 0
		.amdhsa_system_sgpr_workgroup_id_z 0
		.amdhsa_system_sgpr_workgroup_info 0
		.amdhsa_system_vgpr_workitem_id 0
		.amdhsa_next_free_vgpr 1
		.amdhsa_next_free_sgpr 0
		.amdhsa_accum_offset 4
		.amdhsa_reserve_vcc 0
		.amdhsa_reserve_flat_scratch 0
		.amdhsa_float_round_mode_32 0
		.amdhsa_float_round_mode_16_64 0
		.amdhsa_float_denorm_mode_32 3
		.amdhsa_float_denorm_mode_16_64 3
		.amdhsa_dx10_clamp 1
		.amdhsa_ieee_mode 1
		.amdhsa_fp16_overflow 0
		.amdhsa_tg_split 0
		.amdhsa_exception_fp_ieee_invalid_op 0
		.amdhsa_exception_fp_denorm_src 0
		.amdhsa_exception_fp_ieee_div_zero 0
		.amdhsa_exception_fp_ieee_overflow 0
		.amdhsa_exception_fp_ieee_underflow 0
		.amdhsa_exception_fp_ieee_inexact 0
		.amdhsa_exception_int_div_zero 0
	.end_amdhsa_kernel
	.section	.text._ZN7rocprim17ROCPRIM_400000_NS6detail17trampoline_kernelINS0_14default_configENS1_20scan_config_selectorIsEEZZNS1_9scan_implILNS1_25lookback_scan_determinismE0ELb1ELb1ES3_N6thrust23THRUST_200600_302600_NS6detail15normal_iteratorINS9_10device_ptrIsEEEESE_s11max_functorIsEsEEDaPvRmT3_T4_T5_mT6_P12ihipStream_tbENKUlT_T0_E_clISt17integral_constantIbLb0EEST_IbLb1EEEEDaSP_SQ_EUlSP_E0_NS1_11comp_targetILNS1_3genE5ELNS1_11target_archE942ELNS1_3gpuE9ELNS1_3repE0EEENS1_30default_config_static_selectorELNS0_4arch9wavefront6targetE1EEEvT1_,"axG",@progbits,_ZN7rocprim17ROCPRIM_400000_NS6detail17trampoline_kernelINS0_14default_configENS1_20scan_config_selectorIsEEZZNS1_9scan_implILNS1_25lookback_scan_determinismE0ELb1ELb1ES3_N6thrust23THRUST_200600_302600_NS6detail15normal_iteratorINS9_10device_ptrIsEEEESE_s11max_functorIsEsEEDaPvRmT3_T4_T5_mT6_P12ihipStream_tbENKUlT_T0_E_clISt17integral_constantIbLb0EEST_IbLb1EEEEDaSP_SQ_EUlSP_E0_NS1_11comp_targetILNS1_3genE5ELNS1_11target_archE942ELNS1_3gpuE9ELNS1_3repE0EEENS1_30default_config_static_selectorELNS0_4arch9wavefront6targetE1EEEvT1_,comdat
.Lfunc_end2982:
	.size	_ZN7rocprim17ROCPRIM_400000_NS6detail17trampoline_kernelINS0_14default_configENS1_20scan_config_selectorIsEEZZNS1_9scan_implILNS1_25lookback_scan_determinismE0ELb1ELb1ES3_N6thrust23THRUST_200600_302600_NS6detail15normal_iteratorINS9_10device_ptrIsEEEESE_s11max_functorIsEsEEDaPvRmT3_T4_T5_mT6_P12ihipStream_tbENKUlT_T0_E_clISt17integral_constantIbLb0EEST_IbLb1EEEEDaSP_SQ_EUlSP_E0_NS1_11comp_targetILNS1_3genE5ELNS1_11target_archE942ELNS1_3gpuE9ELNS1_3repE0EEENS1_30default_config_static_selectorELNS0_4arch9wavefront6targetE1EEEvT1_, .Lfunc_end2982-_ZN7rocprim17ROCPRIM_400000_NS6detail17trampoline_kernelINS0_14default_configENS1_20scan_config_selectorIsEEZZNS1_9scan_implILNS1_25lookback_scan_determinismE0ELb1ELb1ES3_N6thrust23THRUST_200600_302600_NS6detail15normal_iteratorINS9_10device_ptrIsEEEESE_s11max_functorIsEsEEDaPvRmT3_T4_T5_mT6_P12ihipStream_tbENKUlT_T0_E_clISt17integral_constantIbLb0EEST_IbLb1EEEEDaSP_SQ_EUlSP_E0_NS1_11comp_targetILNS1_3genE5ELNS1_11target_archE942ELNS1_3gpuE9ELNS1_3repE0EEENS1_30default_config_static_selectorELNS0_4arch9wavefront6targetE1EEEvT1_
                                        ; -- End function
	.section	.AMDGPU.csdata,"",@progbits
; Kernel info:
; codeLenInByte = 0
; NumSgprs: 4
; NumVgprs: 0
; NumAgprs: 0
; TotalNumVgprs: 0
; ScratchSize: 0
; MemoryBound: 0
; FloatMode: 240
; IeeeMode: 1
; LDSByteSize: 0 bytes/workgroup (compile time only)
; SGPRBlocks: 0
; VGPRBlocks: 0
; NumSGPRsForWavesPerEU: 4
; NumVGPRsForWavesPerEU: 1
; AccumOffset: 4
; Occupancy: 8
; WaveLimiterHint : 0
; COMPUTE_PGM_RSRC2:SCRATCH_EN: 0
; COMPUTE_PGM_RSRC2:USER_SGPR: 6
; COMPUTE_PGM_RSRC2:TRAP_HANDLER: 0
; COMPUTE_PGM_RSRC2:TGID_X_EN: 1
; COMPUTE_PGM_RSRC2:TGID_Y_EN: 0
; COMPUTE_PGM_RSRC2:TGID_Z_EN: 0
; COMPUTE_PGM_RSRC2:TIDIG_COMP_CNT: 0
; COMPUTE_PGM_RSRC3_GFX90A:ACCUM_OFFSET: 0
; COMPUTE_PGM_RSRC3_GFX90A:TG_SPLIT: 0
	.section	.text._ZN7rocprim17ROCPRIM_400000_NS6detail17trampoline_kernelINS0_14default_configENS1_20scan_config_selectorIsEEZZNS1_9scan_implILNS1_25lookback_scan_determinismE0ELb1ELb1ES3_N6thrust23THRUST_200600_302600_NS6detail15normal_iteratorINS9_10device_ptrIsEEEESE_s11max_functorIsEsEEDaPvRmT3_T4_T5_mT6_P12ihipStream_tbENKUlT_T0_E_clISt17integral_constantIbLb0EEST_IbLb1EEEEDaSP_SQ_EUlSP_E0_NS1_11comp_targetILNS1_3genE4ELNS1_11target_archE910ELNS1_3gpuE8ELNS1_3repE0EEENS1_30default_config_static_selectorELNS0_4arch9wavefront6targetE1EEEvT1_,"axG",@progbits,_ZN7rocprim17ROCPRIM_400000_NS6detail17trampoline_kernelINS0_14default_configENS1_20scan_config_selectorIsEEZZNS1_9scan_implILNS1_25lookback_scan_determinismE0ELb1ELb1ES3_N6thrust23THRUST_200600_302600_NS6detail15normal_iteratorINS9_10device_ptrIsEEEESE_s11max_functorIsEsEEDaPvRmT3_T4_T5_mT6_P12ihipStream_tbENKUlT_T0_E_clISt17integral_constantIbLb0EEST_IbLb1EEEEDaSP_SQ_EUlSP_E0_NS1_11comp_targetILNS1_3genE4ELNS1_11target_archE910ELNS1_3gpuE8ELNS1_3repE0EEENS1_30default_config_static_selectorELNS0_4arch9wavefront6targetE1EEEvT1_,comdat
	.protected	_ZN7rocprim17ROCPRIM_400000_NS6detail17trampoline_kernelINS0_14default_configENS1_20scan_config_selectorIsEEZZNS1_9scan_implILNS1_25lookback_scan_determinismE0ELb1ELb1ES3_N6thrust23THRUST_200600_302600_NS6detail15normal_iteratorINS9_10device_ptrIsEEEESE_s11max_functorIsEsEEDaPvRmT3_T4_T5_mT6_P12ihipStream_tbENKUlT_T0_E_clISt17integral_constantIbLb0EEST_IbLb1EEEEDaSP_SQ_EUlSP_E0_NS1_11comp_targetILNS1_3genE4ELNS1_11target_archE910ELNS1_3gpuE8ELNS1_3repE0EEENS1_30default_config_static_selectorELNS0_4arch9wavefront6targetE1EEEvT1_ ; -- Begin function _ZN7rocprim17ROCPRIM_400000_NS6detail17trampoline_kernelINS0_14default_configENS1_20scan_config_selectorIsEEZZNS1_9scan_implILNS1_25lookback_scan_determinismE0ELb1ELb1ES3_N6thrust23THRUST_200600_302600_NS6detail15normal_iteratorINS9_10device_ptrIsEEEESE_s11max_functorIsEsEEDaPvRmT3_T4_T5_mT6_P12ihipStream_tbENKUlT_T0_E_clISt17integral_constantIbLb0EEST_IbLb1EEEEDaSP_SQ_EUlSP_E0_NS1_11comp_targetILNS1_3genE4ELNS1_11target_archE910ELNS1_3gpuE8ELNS1_3repE0EEENS1_30default_config_static_selectorELNS0_4arch9wavefront6targetE1EEEvT1_
	.globl	_ZN7rocprim17ROCPRIM_400000_NS6detail17trampoline_kernelINS0_14default_configENS1_20scan_config_selectorIsEEZZNS1_9scan_implILNS1_25lookback_scan_determinismE0ELb1ELb1ES3_N6thrust23THRUST_200600_302600_NS6detail15normal_iteratorINS9_10device_ptrIsEEEESE_s11max_functorIsEsEEDaPvRmT3_T4_T5_mT6_P12ihipStream_tbENKUlT_T0_E_clISt17integral_constantIbLb0EEST_IbLb1EEEEDaSP_SQ_EUlSP_E0_NS1_11comp_targetILNS1_3genE4ELNS1_11target_archE910ELNS1_3gpuE8ELNS1_3repE0EEENS1_30default_config_static_selectorELNS0_4arch9wavefront6targetE1EEEvT1_
	.p2align	8
	.type	_ZN7rocprim17ROCPRIM_400000_NS6detail17trampoline_kernelINS0_14default_configENS1_20scan_config_selectorIsEEZZNS1_9scan_implILNS1_25lookback_scan_determinismE0ELb1ELb1ES3_N6thrust23THRUST_200600_302600_NS6detail15normal_iteratorINS9_10device_ptrIsEEEESE_s11max_functorIsEsEEDaPvRmT3_T4_T5_mT6_P12ihipStream_tbENKUlT_T0_E_clISt17integral_constantIbLb0EEST_IbLb1EEEEDaSP_SQ_EUlSP_E0_NS1_11comp_targetILNS1_3genE4ELNS1_11target_archE910ELNS1_3gpuE8ELNS1_3repE0EEENS1_30default_config_static_selectorELNS0_4arch9wavefront6targetE1EEEvT1_,@function
_ZN7rocprim17ROCPRIM_400000_NS6detail17trampoline_kernelINS0_14default_configENS1_20scan_config_selectorIsEEZZNS1_9scan_implILNS1_25lookback_scan_determinismE0ELb1ELb1ES3_N6thrust23THRUST_200600_302600_NS6detail15normal_iteratorINS9_10device_ptrIsEEEESE_s11max_functorIsEsEEDaPvRmT3_T4_T5_mT6_P12ihipStream_tbENKUlT_T0_E_clISt17integral_constantIbLb0EEST_IbLb1EEEEDaSP_SQ_EUlSP_E0_NS1_11comp_targetILNS1_3genE4ELNS1_11target_archE910ELNS1_3gpuE8ELNS1_3repE0EEENS1_30default_config_static_selectorELNS0_4arch9wavefront6targetE1EEEvT1_: ; @_ZN7rocprim17ROCPRIM_400000_NS6detail17trampoline_kernelINS0_14default_configENS1_20scan_config_selectorIsEEZZNS1_9scan_implILNS1_25lookback_scan_determinismE0ELb1ELb1ES3_N6thrust23THRUST_200600_302600_NS6detail15normal_iteratorINS9_10device_ptrIsEEEESE_s11max_functorIsEsEEDaPvRmT3_T4_T5_mT6_P12ihipStream_tbENKUlT_T0_E_clISt17integral_constantIbLb0EEST_IbLb1EEEEDaSP_SQ_EUlSP_E0_NS1_11comp_targetILNS1_3genE4ELNS1_11target_archE910ELNS1_3gpuE8ELNS1_3repE0EEENS1_30default_config_static_selectorELNS0_4arch9wavefront6targetE1EEEvT1_
; %bb.0:
	s_load_dwordx4 s[52:55], s[4:5], 0x0
	v_mov_b32_e32 v1, 0
	v_lshlrev_b32_e32 v14, 1, v0
	s_waitcnt lgkmcnt(0)
	global_load_ushort v2, v1, s[52:53]
	v_cmp_gt_u32_e32 vcc, s54, v0
	s_waitcnt vmcnt(0)
	v_mov_b32_e32 v3, v2
	s_and_saveexec_b64 s[0:1], vcc
	s_cbranch_execz .LBB2983_2
; %bb.1:
	global_load_ushort v3, v14, s[52:53]
.LBB2983_2:
	s_or_b64 exec, exec, s[0:1]
	v_or_b32_e32 v1, 64, v0
	v_cmp_gt_u32_e64 s[0:1], s54, v1
	v_mov_b32_e32 v4, v2
	s_and_saveexec_b64 s[2:3], s[0:1]
	s_cbranch_execz .LBB2983_4
; %bb.3:
	global_load_ushort v4, v14, s[52:53] offset:128
.LBB2983_4:
	s_or_b64 exec, exec, s[2:3]
	v_or_b32_e32 v1, 0x80, v0
	v_cmp_gt_u32_e64 s[2:3], s54, v1
	v_mov_b32_e32 v5, v2
	s_and_saveexec_b64 s[6:7], s[2:3]
	s_cbranch_execz .LBB2983_6
; %bb.5:
	global_load_ushort v5, v14, s[52:53] offset:256
.LBB2983_6:
	;; [unrolled: 9-line block ×22, first 2 shown]
	s_or_b64 exec, exec, s[46:47]
	v_or_b32_e32 v1, 0x5c0, v0
	v_cmp_gt_u32_e64 s[46:47], s54, v1
	v_cmp_le_u32_e64 s[50:51], s54, v1
	s_and_saveexec_b64 s[54:55], s[50:51]
	s_xor_b64 s[50:51], exec, s[54:55]
; %bb.47:
	v_mov_b32_e32 v1, 0
; %bb.48:
	s_or_saveexec_b64 s[50:51], s[50:51]
	s_load_dword s33, s[4:5], 0x10
	s_load_dwordx2 s[54:55], s[4:5], 0x18
	s_xor_b64 exec, exec, s[50:51]
	s_cbranch_execz .LBB2983_50
; %bb.49:
	global_load_ushort v2, v14, s[52:53] offset:2944
	v_mov_b32_e32 v1, 0
.LBB2983_50:
	s_or_b64 exec, exec, s[50:51]
	s_waitcnt vmcnt(0)
	ds_write_b16 v14, v3
	ds_write_b16 v14, v4 offset:128
	ds_write_b16 v14, v5 offset:256
	;; [unrolled: 1-line block ×23, first 2 shown]
	v_mad_u32_u24 v15, v0, 46, v14
	s_waitcnt lgkmcnt(0)
	; wave barrier
	s_waitcnt lgkmcnt(0)
	ds_read_b128 v[10:13], v15
	ds_read_b128 v[6:9], v15 offset:16
	ds_read_b128 v[2:5], v15 offset:32
	s_waitcnt lgkmcnt(0)
	; wave barrier
	s_waitcnt lgkmcnt(0)
	v_lshrrev_b32_e32 v25, 16, v11
	v_max_i16_sdwa v27, v10, v10 dst_sel:DWORD dst_unused:UNUSED_PAD src0_sel:DWORD src1_sel:WORD_1
	v_lshrrev_b32_e32 v24, 16, v12
	v_max3_i16 v27, v27, v11, v25
	v_lshrrev_b32_e32 v23, 16, v13
	v_max3_i16 v27, v27, v12, v24
	;; [unrolled: 2-line block ×10, first 2 shown]
	v_max3_i16 v27, v27, v5, v26
	v_mbcnt_lo_u32_b32 v26, -1, 0
	v_mbcnt_hi_u32_b32 v26, -1, v26
	v_and_b32_e32 v29, 0xffff, v27
	v_and_b32_e32 v28, 15, v26
	v_cmp_eq_u32_e64 s[4:5], 0, v28
	v_mov_b32_dpp v29, v29 row_shr:1 row_mask:0xf bank_mask:0xf
	v_max_i16_e32 v29, v29, v27
	v_cndmask_b32_e64 v27, v29, v27, s[4:5]
	v_and_b32_e32 v29, 0xffff, v27
	v_cmp_lt_u32_e64 s[4:5], 1, v28
	s_nop 0
	v_mov_b32_dpp v29, v29 row_shr:2 row_mask:0xf bank_mask:0xf
	v_max_i16_e32 v29, v29, v27
	v_cndmask_b32_e64 v27, v27, v29, s[4:5]
	v_and_b32_e32 v29, 0xffff, v27
	v_cmp_lt_u32_e64 s[4:5], 3, v28
	s_nop 0
	v_mov_b32_dpp v29, v29 row_shr:4 row_mask:0xf bank_mask:0xf
	v_max_i16_e32 v29, v29, v27
	v_cndmask_b32_e64 v27, v27, v29, s[4:5]
	v_and_b32_e32 v29, 0xffff, v27
	v_cmp_lt_u32_e64 s[4:5], 7, v28
	s_nop 0
	v_mov_b32_dpp v29, v29 row_shr:8 row_mask:0xf bank_mask:0xf
	v_max_i16_e32 v29, v29, v27
	v_cndmask_b32_e64 v27, v27, v29, s[4:5]
	v_and_b32_e32 v28, 0xffff, v27
	v_and_b32_e32 v29, 16, v26
	v_cmp_eq_u32_e64 s[4:5], 0, v29
	v_mov_b32_dpp v28, v28 row_bcast:15 row_mask:0xf bank_mask:0xf
	v_max_i16_e32 v28, v28, v27
	v_cndmask_b32_e64 v27, v28, v27, s[4:5]
	v_and_b32_e32 v28, 0xffff, v27
	v_cmp_lt_u32_e64 s[4:5], 31, v26
	s_nop 0
	v_mov_b32_dpp v28, v28 row_bcast:31 row_mask:0xf bank_mask:0xf
	v_max_i16_e32 v28, v28, v27
	v_cndmask_b32_e64 v27, v27, v28, s[4:5]
	v_cmp_eq_u32_e64 s[4:5], 63, v0
	s_and_saveexec_b64 s[50:51], s[4:5]
	s_cbranch_execz .LBB2983_52
; %bb.51:
	v_mov_b32_e32 v28, 0
	ds_write_b16 v28, v27
.LBB2983_52:
	s_or_b64 exec, exec, s[50:51]
	v_add_u32_e32 v28, -1, v26
	v_and_b32_e32 v29, 64, v26
	v_cmp_lt_i32_e64 s[4:5], v28, v29
	v_cndmask_b32_e64 v28, v28, v26, s[4:5]
	v_max_i16_e32 v27, s33, v27
	v_lshlrev_b32_e32 v28, 2, v28
	ds_bpermute_b32 v27, v28, v27
	v_cmp_eq_u32_e64 s[4:5], 0, v26
	v_cmp_eq_u32_e64 s[50:51], 0, v0
	v_mov_b32_e32 v26, s33
	s_or_b64 s[4:5], s[50:51], s[4:5]
	s_waitcnt lgkmcnt(0)
	v_cndmask_b32_e64 v26, v27, v26, s[4:5]
	v_max_i16_e32 v27, v26, v10
	v_max_i16_sdwa v10, v27, v10 dst_sel:DWORD dst_unused:UNUSED_PAD src0_sel:DWORD src1_sel:WORD_1
	v_max_i16_e32 v11, v10, v11
	v_max_i16_e32 v25, v11, v25
	;; [unrolled: 1-line block ×20, first 2 shown]
	s_mov_b32 s4, 0x5040100
	v_max_i16_e32 v31, v16, v5
	v_perm_b32 v2, v27, v26, s4
	v_perm_b32 v3, v11, v10, s4
	v_perm_b32 v4, v12, v25, s4
	v_perm_b32 v5, v13, v24, s4
	s_waitcnt lgkmcnt(0)
	; wave barrier
	s_waitcnt lgkmcnt(0)
	s_waitcnt lgkmcnt(0)
	; wave barrier
	ds_write_b128 v15, v[2:5]
	v_perm_b32 v2, v6, v23, s4
	v_perm_b32 v3, v7, v22, s4
	;; [unrolled: 1-line block ×4, first 2 shown]
	ds_write_b128 v15, v[2:5] offset:16
	v_perm_b32 v2, v28, v19, s4
	v_perm_b32 v3, v29, v18, s4
	;; [unrolled: 1-line block ×4, first 2 shown]
	s_movk_i32 s4, 0xffd2
	ds_write_b128 v15, v[2:5] offset:32
	v_mad_i32_i24 v2, v0, s4, v15
	s_waitcnt lgkmcnt(0)
	; wave barrier
	s_waitcnt lgkmcnt(0)
	ds_read_u16 v25, v2 offset:128
	ds_read_u16 v24, v2 offset:256
	;; [unrolled: 1-line block ×23, first 2 shown]
	v_lshlrev_b64 v[0:1], 1, v[0:1]
	v_mov_b32_e32 v26, s55
	v_add_co_u32_e64 v0, s[4:5], s54, v0
	v_addc_co_u32_e64 v1, s[4:5], v26, v1, s[4:5]
	s_and_saveexec_b64 s[4:5], vcc
	s_cbranch_execnz .LBB2983_77
; %bb.53:
	s_or_b64 exec, exec, s[4:5]
	s_and_saveexec_b64 s[4:5], s[0:1]
	s_cbranch_execnz .LBB2983_78
.LBB2983_54:
	s_or_b64 exec, exec, s[4:5]
	s_and_saveexec_b64 s[0:1], s[2:3]
	s_cbranch_execnz .LBB2983_79
.LBB2983_55:
	s_or_b64 exec, exec, s[0:1]
	s_and_saveexec_b64 s[0:1], s[48:49]
	s_cbranch_execnz .LBB2983_80
.LBB2983_56:
	s_or_b64 exec, exec, s[0:1]
	s_and_saveexec_b64 s[0:1], s[6:7]
	s_cbranch_execnz .LBB2983_81
.LBB2983_57:
	s_or_b64 exec, exec, s[0:1]
	s_and_saveexec_b64 s[0:1], s[8:9]
	s_cbranch_execnz .LBB2983_82
.LBB2983_58:
	s_or_b64 exec, exec, s[0:1]
	s_and_saveexec_b64 s[0:1], s[10:11]
	s_cbranch_execnz .LBB2983_83
.LBB2983_59:
	s_or_b64 exec, exec, s[0:1]
	s_and_saveexec_b64 s[0:1], s[12:13]
	s_cbranch_execnz .LBB2983_84
.LBB2983_60:
	s_or_b64 exec, exec, s[0:1]
	s_and_saveexec_b64 s[0:1], s[14:15]
	s_cbranch_execnz .LBB2983_85
.LBB2983_61:
	s_or_b64 exec, exec, s[0:1]
	s_and_saveexec_b64 s[0:1], s[16:17]
	s_cbranch_execnz .LBB2983_86
.LBB2983_62:
	s_or_b64 exec, exec, s[0:1]
	s_and_saveexec_b64 s[0:1], s[18:19]
	s_cbranch_execnz .LBB2983_87
.LBB2983_63:
	s_or_b64 exec, exec, s[0:1]
	s_and_saveexec_b64 s[0:1], s[20:21]
	s_cbranch_execnz .LBB2983_88
.LBB2983_64:
	s_or_b64 exec, exec, s[0:1]
	s_and_saveexec_b64 s[0:1], s[22:23]
	s_cbranch_execnz .LBB2983_89
.LBB2983_65:
	s_or_b64 exec, exec, s[0:1]
	s_and_saveexec_b64 s[0:1], s[24:25]
	s_cbranch_execnz .LBB2983_90
.LBB2983_66:
	s_or_b64 exec, exec, s[0:1]
	s_and_saveexec_b64 s[0:1], s[26:27]
	s_cbranch_execnz .LBB2983_91
.LBB2983_67:
	s_or_b64 exec, exec, s[0:1]
	s_and_saveexec_b64 s[0:1], s[28:29]
	s_cbranch_execnz .LBB2983_92
.LBB2983_68:
	s_or_b64 exec, exec, s[0:1]
	s_and_saveexec_b64 s[0:1], s[30:31]
	s_cbranch_execnz .LBB2983_93
.LBB2983_69:
	s_or_b64 exec, exec, s[0:1]
	s_and_saveexec_b64 s[0:1], s[34:35]
	s_cbranch_execnz .LBB2983_94
.LBB2983_70:
	s_or_b64 exec, exec, s[0:1]
	s_and_saveexec_b64 s[0:1], s[36:37]
	s_cbranch_execnz .LBB2983_95
.LBB2983_71:
	s_or_b64 exec, exec, s[0:1]
	s_and_saveexec_b64 s[0:1], s[38:39]
	s_cbranch_execnz .LBB2983_96
.LBB2983_72:
	s_or_b64 exec, exec, s[0:1]
	s_and_saveexec_b64 s[0:1], s[40:41]
	s_cbranch_execnz .LBB2983_97
.LBB2983_73:
	s_or_b64 exec, exec, s[0:1]
	s_and_saveexec_b64 s[0:1], s[42:43]
	s_cbranch_execnz .LBB2983_98
.LBB2983_74:
	s_or_b64 exec, exec, s[0:1]
	s_and_saveexec_b64 s[0:1], s[44:45]
	s_cbranch_execnz .LBB2983_99
.LBB2983_75:
	s_or_b64 exec, exec, s[0:1]
	s_and_saveexec_b64 s[0:1], s[46:47]
	s_cbranch_execnz .LBB2983_100
.LBB2983_76:
	s_endpgm
.LBB2983_77:
	ds_read_u16 v14, v14
	s_waitcnt lgkmcnt(0)
	global_store_short v[0:1], v14, off
	s_or_b64 exec, exec, s[4:5]
	s_and_saveexec_b64 s[4:5], s[0:1]
	s_cbranch_execz .LBB2983_54
.LBB2983_78:
	s_waitcnt lgkmcnt(14)
	global_store_short v[0:1], v25, off offset:128
	s_or_b64 exec, exec, s[4:5]
	s_and_saveexec_b64 s[0:1], s[2:3]
	s_cbranch_execz .LBB2983_55
.LBB2983_79:
	s_waitcnt lgkmcnt(14)
	global_store_short v[0:1], v24, off offset:256
	s_or_b64 exec, exec, s[0:1]
	s_and_saveexec_b64 s[0:1], s[48:49]
	s_cbranch_execz .LBB2983_56
.LBB2983_80:
	s_waitcnt lgkmcnt(14)
	global_store_short v[0:1], v23, off offset:384
	s_or_b64 exec, exec, s[0:1]
	s_and_saveexec_b64 s[0:1], s[6:7]
	s_cbranch_execz .LBB2983_57
.LBB2983_81:
	s_waitcnt lgkmcnt(14)
	global_store_short v[0:1], v22, off offset:512
	s_or_b64 exec, exec, s[0:1]
	s_and_saveexec_b64 s[0:1], s[8:9]
	s_cbranch_execz .LBB2983_58
.LBB2983_82:
	s_waitcnt lgkmcnt(14)
	global_store_short v[0:1], v21, off offset:640
	s_or_b64 exec, exec, s[0:1]
	s_and_saveexec_b64 s[0:1], s[10:11]
	s_cbranch_execz .LBB2983_59
.LBB2983_83:
	s_waitcnt lgkmcnt(14)
	global_store_short v[0:1], v20, off offset:768
	s_or_b64 exec, exec, s[0:1]
	s_and_saveexec_b64 s[0:1], s[12:13]
	s_cbranch_execz .LBB2983_60
.LBB2983_84:
	s_waitcnt lgkmcnt(14)
	global_store_short v[0:1], v19, off offset:896
	s_or_b64 exec, exec, s[0:1]
	s_and_saveexec_b64 s[0:1], s[14:15]
	s_cbranch_execz .LBB2983_61
.LBB2983_85:
	s_waitcnt lgkmcnt(14)
	global_store_short v[0:1], v18, off offset:1024
	s_or_b64 exec, exec, s[0:1]
	s_and_saveexec_b64 s[0:1], s[16:17]
	s_cbranch_execz .LBB2983_62
.LBB2983_86:
	s_waitcnt lgkmcnt(14)
	global_store_short v[0:1], v17, off offset:1152
	s_or_b64 exec, exec, s[0:1]
	s_and_saveexec_b64 s[0:1], s[18:19]
	s_cbranch_execz .LBB2983_63
.LBB2983_87:
	s_waitcnt lgkmcnt(13)
	global_store_short v[0:1], v16, off offset:1280
	s_or_b64 exec, exec, s[0:1]
	s_and_saveexec_b64 s[0:1], s[20:21]
	s_cbranch_execz .LBB2983_64
.LBB2983_88:
	s_waitcnt lgkmcnt(12)
	global_store_short v[0:1], v15, off offset:1408
	s_or_b64 exec, exec, s[0:1]
	s_and_saveexec_b64 s[0:1], s[22:23]
	s_cbranch_execz .LBB2983_65
.LBB2983_89:
	s_waitcnt lgkmcnt(11)
	global_store_short v[0:1], v13, off offset:1536
	s_or_b64 exec, exec, s[0:1]
	s_and_saveexec_b64 s[0:1], s[24:25]
	s_cbranch_execz .LBB2983_66
.LBB2983_90:
	s_waitcnt lgkmcnt(10)
	global_store_short v[0:1], v12, off offset:1664
	s_or_b64 exec, exec, s[0:1]
	s_and_saveexec_b64 s[0:1], s[26:27]
	s_cbranch_execz .LBB2983_67
.LBB2983_91:
	s_waitcnt lgkmcnt(9)
	global_store_short v[0:1], v11, off offset:1792
	s_or_b64 exec, exec, s[0:1]
	s_and_saveexec_b64 s[0:1], s[28:29]
	s_cbranch_execz .LBB2983_68
.LBB2983_92:
	s_waitcnt lgkmcnt(8)
	global_store_short v[0:1], v10, off offset:1920
	s_or_b64 exec, exec, s[0:1]
	s_and_saveexec_b64 s[0:1], s[30:31]
	s_cbranch_execz .LBB2983_69
.LBB2983_93:
	s_waitcnt lgkmcnt(1)
	global_store_short v[0:1], v9, off offset:2048
	s_or_b64 exec, exec, s[0:1]
	s_and_saveexec_b64 s[0:1], s[34:35]
	s_cbranch_execz .LBB2983_70
.LBB2983_94:
	s_waitcnt lgkmcnt(7)
	global_store_short v[0:1], v8, off offset:2176
	s_or_b64 exec, exec, s[0:1]
	s_and_saveexec_b64 s[0:1], s[36:37]
	s_cbranch_execz .LBB2983_71
.LBB2983_95:
	s_waitcnt lgkmcnt(6)
	global_store_short v[0:1], v7, off offset:2304
	s_or_b64 exec, exec, s[0:1]
	s_and_saveexec_b64 s[0:1], s[38:39]
	s_cbranch_execz .LBB2983_72
.LBB2983_96:
	s_waitcnt lgkmcnt(5)
	global_store_short v[0:1], v6, off offset:2432
	s_or_b64 exec, exec, s[0:1]
	s_and_saveexec_b64 s[0:1], s[40:41]
	s_cbranch_execz .LBB2983_73
.LBB2983_97:
	s_waitcnt lgkmcnt(4)
	global_store_short v[0:1], v5, off offset:2560
	s_or_b64 exec, exec, s[0:1]
	s_and_saveexec_b64 s[0:1], s[42:43]
	s_cbranch_execz .LBB2983_74
.LBB2983_98:
	s_waitcnt lgkmcnt(3)
	global_store_short v[0:1], v4, off offset:2688
	s_or_b64 exec, exec, s[0:1]
	s_and_saveexec_b64 s[0:1], s[44:45]
	s_cbranch_execz .LBB2983_75
.LBB2983_99:
	s_waitcnt lgkmcnt(2)
	global_store_short v[0:1], v3, off offset:2816
	s_or_b64 exec, exec, s[0:1]
	s_and_saveexec_b64 s[0:1], s[46:47]
	s_cbranch_execz .LBB2983_76
.LBB2983_100:
	s_waitcnt lgkmcnt(0)
	global_store_short v[0:1], v2, off offset:2944
	s_endpgm
	.section	.rodata,"a",@progbits
	.p2align	6, 0x0
	.amdhsa_kernel _ZN7rocprim17ROCPRIM_400000_NS6detail17trampoline_kernelINS0_14default_configENS1_20scan_config_selectorIsEEZZNS1_9scan_implILNS1_25lookback_scan_determinismE0ELb1ELb1ES3_N6thrust23THRUST_200600_302600_NS6detail15normal_iteratorINS9_10device_ptrIsEEEESE_s11max_functorIsEsEEDaPvRmT3_T4_T5_mT6_P12ihipStream_tbENKUlT_T0_E_clISt17integral_constantIbLb0EEST_IbLb1EEEEDaSP_SQ_EUlSP_E0_NS1_11comp_targetILNS1_3genE4ELNS1_11target_archE910ELNS1_3gpuE8ELNS1_3repE0EEENS1_30default_config_static_selectorELNS0_4arch9wavefront6targetE1EEEvT1_
		.amdhsa_group_segment_fixed_size 3072
		.amdhsa_private_segment_fixed_size 0
		.amdhsa_kernarg_size 32
		.amdhsa_user_sgpr_count 6
		.amdhsa_user_sgpr_private_segment_buffer 1
		.amdhsa_user_sgpr_dispatch_ptr 0
		.amdhsa_user_sgpr_queue_ptr 0
		.amdhsa_user_sgpr_kernarg_segment_ptr 1
		.amdhsa_user_sgpr_dispatch_id 0
		.amdhsa_user_sgpr_flat_scratch_init 0
		.amdhsa_user_sgpr_kernarg_preload_length 0
		.amdhsa_user_sgpr_kernarg_preload_offset 0
		.amdhsa_user_sgpr_private_segment_size 0
		.amdhsa_uses_dynamic_stack 0
		.amdhsa_system_sgpr_private_segment_wavefront_offset 0
		.amdhsa_system_sgpr_workgroup_id_x 1
		.amdhsa_system_sgpr_workgroup_id_y 0
		.amdhsa_system_sgpr_workgroup_id_z 0
		.amdhsa_system_sgpr_workgroup_info 0
		.amdhsa_system_vgpr_workitem_id 0
		.amdhsa_next_free_vgpr 32
		.amdhsa_next_free_sgpr 56
		.amdhsa_accum_offset 32
		.amdhsa_reserve_vcc 1
		.amdhsa_reserve_flat_scratch 0
		.amdhsa_float_round_mode_32 0
		.amdhsa_float_round_mode_16_64 0
		.amdhsa_float_denorm_mode_32 3
		.amdhsa_float_denorm_mode_16_64 3
		.amdhsa_dx10_clamp 1
		.amdhsa_ieee_mode 1
		.amdhsa_fp16_overflow 0
		.amdhsa_tg_split 0
		.amdhsa_exception_fp_ieee_invalid_op 0
		.amdhsa_exception_fp_denorm_src 0
		.amdhsa_exception_fp_ieee_div_zero 0
		.amdhsa_exception_fp_ieee_overflow 0
		.amdhsa_exception_fp_ieee_underflow 0
		.amdhsa_exception_fp_ieee_inexact 0
		.amdhsa_exception_int_div_zero 0
	.end_amdhsa_kernel
	.section	.text._ZN7rocprim17ROCPRIM_400000_NS6detail17trampoline_kernelINS0_14default_configENS1_20scan_config_selectorIsEEZZNS1_9scan_implILNS1_25lookback_scan_determinismE0ELb1ELb1ES3_N6thrust23THRUST_200600_302600_NS6detail15normal_iteratorINS9_10device_ptrIsEEEESE_s11max_functorIsEsEEDaPvRmT3_T4_T5_mT6_P12ihipStream_tbENKUlT_T0_E_clISt17integral_constantIbLb0EEST_IbLb1EEEEDaSP_SQ_EUlSP_E0_NS1_11comp_targetILNS1_3genE4ELNS1_11target_archE910ELNS1_3gpuE8ELNS1_3repE0EEENS1_30default_config_static_selectorELNS0_4arch9wavefront6targetE1EEEvT1_,"axG",@progbits,_ZN7rocprim17ROCPRIM_400000_NS6detail17trampoline_kernelINS0_14default_configENS1_20scan_config_selectorIsEEZZNS1_9scan_implILNS1_25lookback_scan_determinismE0ELb1ELb1ES3_N6thrust23THRUST_200600_302600_NS6detail15normal_iteratorINS9_10device_ptrIsEEEESE_s11max_functorIsEsEEDaPvRmT3_T4_T5_mT6_P12ihipStream_tbENKUlT_T0_E_clISt17integral_constantIbLb0EEST_IbLb1EEEEDaSP_SQ_EUlSP_E0_NS1_11comp_targetILNS1_3genE4ELNS1_11target_archE910ELNS1_3gpuE8ELNS1_3repE0EEENS1_30default_config_static_selectorELNS0_4arch9wavefront6targetE1EEEvT1_,comdat
.Lfunc_end2983:
	.size	_ZN7rocprim17ROCPRIM_400000_NS6detail17trampoline_kernelINS0_14default_configENS1_20scan_config_selectorIsEEZZNS1_9scan_implILNS1_25lookback_scan_determinismE0ELb1ELb1ES3_N6thrust23THRUST_200600_302600_NS6detail15normal_iteratorINS9_10device_ptrIsEEEESE_s11max_functorIsEsEEDaPvRmT3_T4_T5_mT6_P12ihipStream_tbENKUlT_T0_E_clISt17integral_constantIbLb0EEST_IbLb1EEEEDaSP_SQ_EUlSP_E0_NS1_11comp_targetILNS1_3genE4ELNS1_11target_archE910ELNS1_3gpuE8ELNS1_3repE0EEENS1_30default_config_static_selectorELNS0_4arch9wavefront6targetE1EEEvT1_, .Lfunc_end2983-_ZN7rocprim17ROCPRIM_400000_NS6detail17trampoline_kernelINS0_14default_configENS1_20scan_config_selectorIsEEZZNS1_9scan_implILNS1_25lookback_scan_determinismE0ELb1ELb1ES3_N6thrust23THRUST_200600_302600_NS6detail15normal_iteratorINS9_10device_ptrIsEEEESE_s11max_functorIsEsEEDaPvRmT3_T4_T5_mT6_P12ihipStream_tbENKUlT_T0_E_clISt17integral_constantIbLb0EEST_IbLb1EEEEDaSP_SQ_EUlSP_E0_NS1_11comp_targetILNS1_3genE4ELNS1_11target_archE910ELNS1_3gpuE8ELNS1_3repE0EEENS1_30default_config_static_selectorELNS0_4arch9wavefront6targetE1EEEvT1_
                                        ; -- End function
	.section	.AMDGPU.csdata,"",@progbits
; Kernel info:
; codeLenInByte = 3096
; NumSgprs: 60
; NumVgprs: 32
; NumAgprs: 0
; TotalNumVgprs: 32
; ScratchSize: 0
; MemoryBound: 0
; FloatMode: 240
; IeeeMode: 1
; LDSByteSize: 3072 bytes/workgroup (compile time only)
; SGPRBlocks: 7
; VGPRBlocks: 3
; NumSGPRsForWavesPerEU: 60
; NumVGPRsForWavesPerEU: 32
; AccumOffset: 32
; Occupancy: 6
; WaveLimiterHint : 0
; COMPUTE_PGM_RSRC2:SCRATCH_EN: 0
; COMPUTE_PGM_RSRC2:USER_SGPR: 6
; COMPUTE_PGM_RSRC2:TRAP_HANDLER: 0
; COMPUTE_PGM_RSRC2:TGID_X_EN: 1
; COMPUTE_PGM_RSRC2:TGID_Y_EN: 0
; COMPUTE_PGM_RSRC2:TGID_Z_EN: 0
; COMPUTE_PGM_RSRC2:TIDIG_COMP_CNT: 0
; COMPUTE_PGM_RSRC3_GFX90A:ACCUM_OFFSET: 7
; COMPUTE_PGM_RSRC3_GFX90A:TG_SPLIT: 0
	.section	.text._ZN7rocprim17ROCPRIM_400000_NS6detail17trampoline_kernelINS0_14default_configENS1_20scan_config_selectorIsEEZZNS1_9scan_implILNS1_25lookback_scan_determinismE0ELb1ELb1ES3_N6thrust23THRUST_200600_302600_NS6detail15normal_iteratorINS9_10device_ptrIsEEEESE_s11max_functorIsEsEEDaPvRmT3_T4_T5_mT6_P12ihipStream_tbENKUlT_T0_E_clISt17integral_constantIbLb0EEST_IbLb1EEEEDaSP_SQ_EUlSP_E0_NS1_11comp_targetILNS1_3genE3ELNS1_11target_archE908ELNS1_3gpuE7ELNS1_3repE0EEENS1_30default_config_static_selectorELNS0_4arch9wavefront6targetE1EEEvT1_,"axG",@progbits,_ZN7rocprim17ROCPRIM_400000_NS6detail17trampoline_kernelINS0_14default_configENS1_20scan_config_selectorIsEEZZNS1_9scan_implILNS1_25lookback_scan_determinismE0ELb1ELb1ES3_N6thrust23THRUST_200600_302600_NS6detail15normal_iteratorINS9_10device_ptrIsEEEESE_s11max_functorIsEsEEDaPvRmT3_T4_T5_mT6_P12ihipStream_tbENKUlT_T0_E_clISt17integral_constantIbLb0EEST_IbLb1EEEEDaSP_SQ_EUlSP_E0_NS1_11comp_targetILNS1_3genE3ELNS1_11target_archE908ELNS1_3gpuE7ELNS1_3repE0EEENS1_30default_config_static_selectorELNS0_4arch9wavefront6targetE1EEEvT1_,comdat
	.protected	_ZN7rocprim17ROCPRIM_400000_NS6detail17trampoline_kernelINS0_14default_configENS1_20scan_config_selectorIsEEZZNS1_9scan_implILNS1_25lookback_scan_determinismE0ELb1ELb1ES3_N6thrust23THRUST_200600_302600_NS6detail15normal_iteratorINS9_10device_ptrIsEEEESE_s11max_functorIsEsEEDaPvRmT3_T4_T5_mT6_P12ihipStream_tbENKUlT_T0_E_clISt17integral_constantIbLb0EEST_IbLb1EEEEDaSP_SQ_EUlSP_E0_NS1_11comp_targetILNS1_3genE3ELNS1_11target_archE908ELNS1_3gpuE7ELNS1_3repE0EEENS1_30default_config_static_selectorELNS0_4arch9wavefront6targetE1EEEvT1_ ; -- Begin function _ZN7rocprim17ROCPRIM_400000_NS6detail17trampoline_kernelINS0_14default_configENS1_20scan_config_selectorIsEEZZNS1_9scan_implILNS1_25lookback_scan_determinismE0ELb1ELb1ES3_N6thrust23THRUST_200600_302600_NS6detail15normal_iteratorINS9_10device_ptrIsEEEESE_s11max_functorIsEsEEDaPvRmT3_T4_T5_mT6_P12ihipStream_tbENKUlT_T0_E_clISt17integral_constantIbLb0EEST_IbLb1EEEEDaSP_SQ_EUlSP_E0_NS1_11comp_targetILNS1_3genE3ELNS1_11target_archE908ELNS1_3gpuE7ELNS1_3repE0EEENS1_30default_config_static_selectorELNS0_4arch9wavefront6targetE1EEEvT1_
	.globl	_ZN7rocprim17ROCPRIM_400000_NS6detail17trampoline_kernelINS0_14default_configENS1_20scan_config_selectorIsEEZZNS1_9scan_implILNS1_25lookback_scan_determinismE0ELb1ELb1ES3_N6thrust23THRUST_200600_302600_NS6detail15normal_iteratorINS9_10device_ptrIsEEEESE_s11max_functorIsEsEEDaPvRmT3_T4_T5_mT6_P12ihipStream_tbENKUlT_T0_E_clISt17integral_constantIbLb0EEST_IbLb1EEEEDaSP_SQ_EUlSP_E0_NS1_11comp_targetILNS1_3genE3ELNS1_11target_archE908ELNS1_3gpuE7ELNS1_3repE0EEENS1_30default_config_static_selectorELNS0_4arch9wavefront6targetE1EEEvT1_
	.p2align	8
	.type	_ZN7rocprim17ROCPRIM_400000_NS6detail17trampoline_kernelINS0_14default_configENS1_20scan_config_selectorIsEEZZNS1_9scan_implILNS1_25lookback_scan_determinismE0ELb1ELb1ES3_N6thrust23THRUST_200600_302600_NS6detail15normal_iteratorINS9_10device_ptrIsEEEESE_s11max_functorIsEsEEDaPvRmT3_T4_T5_mT6_P12ihipStream_tbENKUlT_T0_E_clISt17integral_constantIbLb0EEST_IbLb1EEEEDaSP_SQ_EUlSP_E0_NS1_11comp_targetILNS1_3genE3ELNS1_11target_archE908ELNS1_3gpuE7ELNS1_3repE0EEENS1_30default_config_static_selectorELNS0_4arch9wavefront6targetE1EEEvT1_,@function
_ZN7rocprim17ROCPRIM_400000_NS6detail17trampoline_kernelINS0_14default_configENS1_20scan_config_selectorIsEEZZNS1_9scan_implILNS1_25lookback_scan_determinismE0ELb1ELb1ES3_N6thrust23THRUST_200600_302600_NS6detail15normal_iteratorINS9_10device_ptrIsEEEESE_s11max_functorIsEsEEDaPvRmT3_T4_T5_mT6_P12ihipStream_tbENKUlT_T0_E_clISt17integral_constantIbLb0EEST_IbLb1EEEEDaSP_SQ_EUlSP_E0_NS1_11comp_targetILNS1_3genE3ELNS1_11target_archE908ELNS1_3gpuE7ELNS1_3repE0EEENS1_30default_config_static_selectorELNS0_4arch9wavefront6targetE1EEEvT1_: ; @_ZN7rocprim17ROCPRIM_400000_NS6detail17trampoline_kernelINS0_14default_configENS1_20scan_config_selectorIsEEZZNS1_9scan_implILNS1_25lookback_scan_determinismE0ELb1ELb1ES3_N6thrust23THRUST_200600_302600_NS6detail15normal_iteratorINS9_10device_ptrIsEEEESE_s11max_functorIsEsEEDaPvRmT3_T4_T5_mT6_P12ihipStream_tbENKUlT_T0_E_clISt17integral_constantIbLb0EEST_IbLb1EEEEDaSP_SQ_EUlSP_E0_NS1_11comp_targetILNS1_3genE3ELNS1_11target_archE908ELNS1_3gpuE7ELNS1_3repE0EEENS1_30default_config_static_selectorELNS0_4arch9wavefront6targetE1EEEvT1_
; %bb.0:
	.section	.rodata,"a",@progbits
	.p2align	6, 0x0
	.amdhsa_kernel _ZN7rocprim17ROCPRIM_400000_NS6detail17trampoline_kernelINS0_14default_configENS1_20scan_config_selectorIsEEZZNS1_9scan_implILNS1_25lookback_scan_determinismE0ELb1ELb1ES3_N6thrust23THRUST_200600_302600_NS6detail15normal_iteratorINS9_10device_ptrIsEEEESE_s11max_functorIsEsEEDaPvRmT3_T4_T5_mT6_P12ihipStream_tbENKUlT_T0_E_clISt17integral_constantIbLb0EEST_IbLb1EEEEDaSP_SQ_EUlSP_E0_NS1_11comp_targetILNS1_3genE3ELNS1_11target_archE908ELNS1_3gpuE7ELNS1_3repE0EEENS1_30default_config_static_selectorELNS0_4arch9wavefront6targetE1EEEvT1_
		.amdhsa_group_segment_fixed_size 0
		.amdhsa_private_segment_fixed_size 0
		.amdhsa_kernarg_size 32
		.amdhsa_user_sgpr_count 6
		.amdhsa_user_sgpr_private_segment_buffer 1
		.amdhsa_user_sgpr_dispatch_ptr 0
		.amdhsa_user_sgpr_queue_ptr 0
		.amdhsa_user_sgpr_kernarg_segment_ptr 1
		.amdhsa_user_sgpr_dispatch_id 0
		.amdhsa_user_sgpr_flat_scratch_init 0
		.amdhsa_user_sgpr_kernarg_preload_length 0
		.amdhsa_user_sgpr_kernarg_preload_offset 0
		.amdhsa_user_sgpr_private_segment_size 0
		.amdhsa_uses_dynamic_stack 0
		.amdhsa_system_sgpr_private_segment_wavefront_offset 0
		.amdhsa_system_sgpr_workgroup_id_x 1
		.amdhsa_system_sgpr_workgroup_id_y 0
		.amdhsa_system_sgpr_workgroup_id_z 0
		.amdhsa_system_sgpr_workgroup_info 0
		.amdhsa_system_vgpr_workitem_id 0
		.amdhsa_next_free_vgpr 1
		.amdhsa_next_free_sgpr 0
		.amdhsa_accum_offset 4
		.amdhsa_reserve_vcc 0
		.amdhsa_reserve_flat_scratch 0
		.amdhsa_float_round_mode_32 0
		.amdhsa_float_round_mode_16_64 0
		.amdhsa_float_denorm_mode_32 3
		.amdhsa_float_denorm_mode_16_64 3
		.amdhsa_dx10_clamp 1
		.amdhsa_ieee_mode 1
		.amdhsa_fp16_overflow 0
		.amdhsa_tg_split 0
		.amdhsa_exception_fp_ieee_invalid_op 0
		.amdhsa_exception_fp_denorm_src 0
		.amdhsa_exception_fp_ieee_div_zero 0
		.amdhsa_exception_fp_ieee_overflow 0
		.amdhsa_exception_fp_ieee_underflow 0
		.amdhsa_exception_fp_ieee_inexact 0
		.amdhsa_exception_int_div_zero 0
	.end_amdhsa_kernel
	.section	.text._ZN7rocprim17ROCPRIM_400000_NS6detail17trampoline_kernelINS0_14default_configENS1_20scan_config_selectorIsEEZZNS1_9scan_implILNS1_25lookback_scan_determinismE0ELb1ELb1ES3_N6thrust23THRUST_200600_302600_NS6detail15normal_iteratorINS9_10device_ptrIsEEEESE_s11max_functorIsEsEEDaPvRmT3_T4_T5_mT6_P12ihipStream_tbENKUlT_T0_E_clISt17integral_constantIbLb0EEST_IbLb1EEEEDaSP_SQ_EUlSP_E0_NS1_11comp_targetILNS1_3genE3ELNS1_11target_archE908ELNS1_3gpuE7ELNS1_3repE0EEENS1_30default_config_static_selectorELNS0_4arch9wavefront6targetE1EEEvT1_,"axG",@progbits,_ZN7rocprim17ROCPRIM_400000_NS6detail17trampoline_kernelINS0_14default_configENS1_20scan_config_selectorIsEEZZNS1_9scan_implILNS1_25lookback_scan_determinismE0ELb1ELb1ES3_N6thrust23THRUST_200600_302600_NS6detail15normal_iteratorINS9_10device_ptrIsEEEESE_s11max_functorIsEsEEDaPvRmT3_T4_T5_mT6_P12ihipStream_tbENKUlT_T0_E_clISt17integral_constantIbLb0EEST_IbLb1EEEEDaSP_SQ_EUlSP_E0_NS1_11comp_targetILNS1_3genE3ELNS1_11target_archE908ELNS1_3gpuE7ELNS1_3repE0EEENS1_30default_config_static_selectorELNS0_4arch9wavefront6targetE1EEEvT1_,comdat
.Lfunc_end2984:
	.size	_ZN7rocprim17ROCPRIM_400000_NS6detail17trampoline_kernelINS0_14default_configENS1_20scan_config_selectorIsEEZZNS1_9scan_implILNS1_25lookback_scan_determinismE0ELb1ELb1ES3_N6thrust23THRUST_200600_302600_NS6detail15normal_iteratorINS9_10device_ptrIsEEEESE_s11max_functorIsEsEEDaPvRmT3_T4_T5_mT6_P12ihipStream_tbENKUlT_T0_E_clISt17integral_constantIbLb0EEST_IbLb1EEEEDaSP_SQ_EUlSP_E0_NS1_11comp_targetILNS1_3genE3ELNS1_11target_archE908ELNS1_3gpuE7ELNS1_3repE0EEENS1_30default_config_static_selectorELNS0_4arch9wavefront6targetE1EEEvT1_, .Lfunc_end2984-_ZN7rocprim17ROCPRIM_400000_NS6detail17trampoline_kernelINS0_14default_configENS1_20scan_config_selectorIsEEZZNS1_9scan_implILNS1_25lookback_scan_determinismE0ELb1ELb1ES3_N6thrust23THRUST_200600_302600_NS6detail15normal_iteratorINS9_10device_ptrIsEEEESE_s11max_functorIsEsEEDaPvRmT3_T4_T5_mT6_P12ihipStream_tbENKUlT_T0_E_clISt17integral_constantIbLb0EEST_IbLb1EEEEDaSP_SQ_EUlSP_E0_NS1_11comp_targetILNS1_3genE3ELNS1_11target_archE908ELNS1_3gpuE7ELNS1_3repE0EEENS1_30default_config_static_selectorELNS0_4arch9wavefront6targetE1EEEvT1_
                                        ; -- End function
	.section	.AMDGPU.csdata,"",@progbits
; Kernel info:
; codeLenInByte = 0
; NumSgprs: 4
; NumVgprs: 0
; NumAgprs: 0
; TotalNumVgprs: 0
; ScratchSize: 0
; MemoryBound: 0
; FloatMode: 240
; IeeeMode: 1
; LDSByteSize: 0 bytes/workgroup (compile time only)
; SGPRBlocks: 0
; VGPRBlocks: 0
; NumSGPRsForWavesPerEU: 4
; NumVGPRsForWavesPerEU: 1
; AccumOffset: 4
; Occupancy: 8
; WaveLimiterHint : 0
; COMPUTE_PGM_RSRC2:SCRATCH_EN: 0
; COMPUTE_PGM_RSRC2:USER_SGPR: 6
; COMPUTE_PGM_RSRC2:TRAP_HANDLER: 0
; COMPUTE_PGM_RSRC2:TGID_X_EN: 1
; COMPUTE_PGM_RSRC2:TGID_Y_EN: 0
; COMPUTE_PGM_RSRC2:TGID_Z_EN: 0
; COMPUTE_PGM_RSRC2:TIDIG_COMP_CNT: 0
; COMPUTE_PGM_RSRC3_GFX90A:ACCUM_OFFSET: 0
; COMPUTE_PGM_RSRC3_GFX90A:TG_SPLIT: 0
	.section	.text._ZN7rocprim17ROCPRIM_400000_NS6detail17trampoline_kernelINS0_14default_configENS1_20scan_config_selectorIsEEZZNS1_9scan_implILNS1_25lookback_scan_determinismE0ELb1ELb1ES3_N6thrust23THRUST_200600_302600_NS6detail15normal_iteratorINS9_10device_ptrIsEEEESE_s11max_functorIsEsEEDaPvRmT3_T4_T5_mT6_P12ihipStream_tbENKUlT_T0_E_clISt17integral_constantIbLb0EEST_IbLb1EEEEDaSP_SQ_EUlSP_E0_NS1_11comp_targetILNS1_3genE2ELNS1_11target_archE906ELNS1_3gpuE6ELNS1_3repE0EEENS1_30default_config_static_selectorELNS0_4arch9wavefront6targetE1EEEvT1_,"axG",@progbits,_ZN7rocprim17ROCPRIM_400000_NS6detail17trampoline_kernelINS0_14default_configENS1_20scan_config_selectorIsEEZZNS1_9scan_implILNS1_25lookback_scan_determinismE0ELb1ELb1ES3_N6thrust23THRUST_200600_302600_NS6detail15normal_iteratorINS9_10device_ptrIsEEEESE_s11max_functorIsEsEEDaPvRmT3_T4_T5_mT6_P12ihipStream_tbENKUlT_T0_E_clISt17integral_constantIbLb0EEST_IbLb1EEEEDaSP_SQ_EUlSP_E0_NS1_11comp_targetILNS1_3genE2ELNS1_11target_archE906ELNS1_3gpuE6ELNS1_3repE0EEENS1_30default_config_static_selectorELNS0_4arch9wavefront6targetE1EEEvT1_,comdat
	.protected	_ZN7rocprim17ROCPRIM_400000_NS6detail17trampoline_kernelINS0_14default_configENS1_20scan_config_selectorIsEEZZNS1_9scan_implILNS1_25lookback_scan_determinismE0ELb1ELb1ES3_N6thrust23THRUST_200600_302600_NS6detail15normal_iteratorINS9_10device_ptrIsEEEESE_s11max_functorIsEsEEDaPvRmT3_T4_T5_mT6_P12ihipStream_tbENKUlT_T0_E_clISt17integral_constantIbLb0EEST_IbLb1EEEEDaSP_SQ_EUlSP_E0_NS1_11comp_targetILNS1_3genE2ELNS1_11target_archE906ELNS1_3gpuE6ELNS1_3repE0EEENS1_30default_config_static_selectorELNS0_4arch9wavefront6targetE1EEEvT1_ ; -- Begin function _ZN7rocprim17ROCPRIM_400000_NS6detail17trampoline_kernelINS0_14default_configENS1_20scan_config_selectorIsEEZZNS1_9scan_implILNS1_25lookback_scan_determinismE0ELb1ELb1ES3_N6thrust23THRUST_200600_302600_NS6detail15normal_iteratorINS9_10device_ptrIsEEEESE_s11max_functorIsEsEEDaPvRmT3_T4_T5_mT6_P12ihipStream_tbENKUlT_T0_E_clISt17integral_constantIbLb0EEST_IbLb1EEEEDaSP_SQ_EUlSP_E0_NS1_11comp_targetILNS1_3genE2ELNS1_11target_archE906ELNS1_3gpuE6ELNS1_3repE0EEENS1_30default_config_static_selectorELNS0_4arch9wavefront6targetE1EEEvT1_
	.globl	_ZN7rocprim17ROCPRIM_400000_NS6detail17trampoline_kernelINS0_14default_configENS1_20scan_config_selectorIsEEZZNS1_9scan_implILNS1_25lookback_scan_determinismE0ELb1ELb1ES3_N6thrust23THRUST_200600_302600_NS6detail15normal_iteratorINS9_10device_ptrIsEEEESE_s11max_functorIsEsEEDaPvRmT3_T4_T5_mT6_P12ihipStream_tbENKUlT_T0_E_clISt17integral_constantIbLb0EEST_IbLb1EEEEDaSP_SQ_EUlSP_E0_NS1_11comp_targetILNS1_3genE2ELNS1_11target_archE906ELNS1_3gpuE6ELNS1_3repE0EEENS1_30default_config_static_selectorELNS0_4arch9wavefront6targetE1EEEvT1_
	.p2align	8
	.type	_ZN7rocprim17ROCPRIM_400000_NS6detail17trampoline_kernelINS0_14default_configENS1_20scan_config_selectorIsEEZZNS1_9scan_implILNS1_25lookback_scan_determinismE0ELb1ELb1ES3_N6thrust23THRUST_200600_302600_NS6detail15normal_iteratorINS9_10device_ptrIsEEEESE_s11max_functorIsEsEEDaPvRmT3_T4_T5_mT6_P12ihipStream_tbENKUlT_T0_E_clISt17integral_constantIbLb0EEST_IbLb1EEEEDaSP_SQ_EUlSP_E0_NS1_11comp_targetILNS1_3genE2ELNS1_11target_archE906ELNS1_3gpuE6ELNS1_3repE0EEENS1_30default_config_static_selectorELNS0_4arch9wavefront6targetE1EEEvT1_,@function
_ZN7rocprim17ROCPRIM_400000_NS6detail17trampoline_kernelINS0_14default_configENS1_20scan_config_selectorIsEEZZNS1_9scan_implILNS1_25lookback_scan_determinismE0ELb1ELb1ES3_N6thrust23THRUST_200600_302600_NS6detail15normal_iteratorINS9_10device_ptrIsEEEESE_s11max_functorIsEsEEDaPvRmT3_T4_T5_mT6_P12ihipStream_tbENKUlT_T0_E_clISt17integral_constantIbLb0EEST_IbLb1EEEEDaSP_SQ_EUlSP_E0_NS1_11comp_targetILNS1_3genE2ELNS1_11target_archE906ELNS1_3gpuE6ELNS1_3repE0EEENS1_30default_config_static_selectorELNS0_4arch9wavefront6targetE1EEEvT1_: ; @_ZN7rocprim17ROCPRIM_400000_NS6detail17trampoline_kernelINS0_14default_configENS1_20scan_config_selectorIsEEZZNS1_9scan_implILNS1_25lookback_scan_determinismE0ELb1ELb1ES3_N6thrust23THRUST_200600_302600_NS6detail15normal_iteratorINS9_10device_ptrIsEEEESE_s11max_functorIsEsEEDaPvRmT3_T4_T5_mT6_P12ihipStream_tbENKUlT_T0_E_clISt17integral_constantIbLb0EEST_IbLb1EEEEDaSP_SQ_EUlSP_E0_NS1_11comp_targetILNS1_3genE2ELNS1_11target_archE906ELNS1_3gpuE6ELNS1_3repE0EEENS1_30default_config_static_selectorELNS0_4arch9wavefront6targetE1EEEvT1_
; %bb.0:
	.section	.rodata,"a",@progbits
	.p2align	6, 0x0
	.amdhsa_kernel _ZN7rocprim17ROCPRIM_400000_NS6detail17trampoline_kernelINS0_14default_configENS1_20scan_config_selectorIsEEZZNS1_9scan_implILNS1_25lookback_scan_determinismE0ELb1ELb1ES3_N6thrust23THRUST_200600_302600_NS6detail15normal_iteratorINS9_10device_ptrIsEEEESE_s11max_functorIsEsEEDaPvRmT3_T4_T5_mT6_P12ihipStream_tbENKUlT_T0_E_clISt17integral_constantIbLb0EEST_IbLb1EEEEDaSP_SQ_EUlSP_E0_NS1_11comp_targetILNS1_3genE2ELNS1_11target_archE906ELNS1_3gpuE6ELNS1_3repE0EEENS1_30default_config_static_selectorELNS0_4arch9wavefront6targetE1EEEvT1_
		.amdhsa_group_segment_fixed_size 0
		.amdhsa_private_segment_fixed_size 0
		.amdhsa_kernarg_size 32
		.amdhsa_user_sgpr_count 6
		.amdhsa_user_sgpr_private_segment_buffer 1
		.amdhsa_user_sgpr_dispatch_ptr 0
		.amdhsa_user_sgpr_queue_ptr 0
		.amdhsa_user_sgpr_kernarg_segment_ptr 1
		.amdhsa_user_sgpr_dispatch_id 0
		.amdhsa_user_sgpr_flat_scratch_init 0
		.amdhsa_user_sgpr_kernarg_preload_length 0
		.amdhsa_user_sgpr_kernarg_preload_offset 0
		.amdhsa_user_sgpr_private_segment_size 0
		.amdhsa_uses_dynamic_stack 0
		.amdhsa_system_sgpr_private_segment_wavefront_offset 0
		.amdhsa_system_sgpr_workgroup_id_x 1
		.amdhsa_system_sgpr_workgroup_id_y 0
		.amdhsa_system_sgpr_workgroup_id_z 0
		.amdhsa_system_sgpr_workgroup_info 0
		.amdhsa_system_vgpr_workitem_id 0
		.amdhsa_next_free_vgpr 1
		.amdhsa_next_free_sgpr 0
		.amdhsa_accum_offset 4
		.amdhsa_reserve_vcc 0
		.amdhsa_reserve_flat_scratch 0
		.amdhsa_float_round_mode_32 0
		.amdhsa_float_round_mode_16_64 0
		.amdhsa_float_denorm_mode_32 3
		.amdhsa_float_denorm_mode_16_64 3
		.amdhsa_dx10_clamp 1
		.amdhsa_ieee_mode 1
		.amdhsa_fp16_overflow 0
		.amdhsa_tg_split 0
		.amdhsa_exception_fp_ieee_invalid_op 0
		.amdhsa_exception_fp_denorm_src 0
		.amdhsa_exception_fp_ieee_div_zero 0
		.amdhsa_exception_fp_ieee_overflow 0
		.amdhsa_exception_fp_ieee_underflow 0
		.amdhsa_exception_fp_ieee_inexact 0
		.amdhsa_exception_int_div_zero 0
	.end_amdhsa_kernel
	.section	.text._ZN7rocprim17ROCPRIM_400000_NS6detail17trampoline_kernelINS0_14default_configENS1_20scan_config_selectorIsEEZZNS1_9scan_implILNS1_25lookback_scan_determinismE0ELb1ELb1ES3_N6thrust23THRUST_200600_302600_NS6detail15normal_iteratorINS9_10device_ptrIsEEEESE_s11max_functorIsEsEEDaPvRmT3_T4_T5_mT6_P12ihipStream_tbENKUlT_T0_E_clISt17integral_constantIbLb0EEST_IbLb1EEEEDaSP_SQ_EUlSP_E0_NS1_11comp_targetILNS1_3genE2ELNS1_11target_archE906ELNS1_3gpuE6ELNS1_3repE0EEENS1_30default_config_static_selectorELNS0_4arch9wavefront6targetE1EEEvT1_,"axG",@progbits,_ZN7rocprim17ROCPRIM_400000_NS6detail17trampoline_kernelINS0_14default_configENS1_20scan_config_selectorIsEEZZNS1_9scan_implILNS1_25lookback_scan_determinismE0ELb1ELb1ES3_N6thrust23THRUST_200600_302600_NS6detail15normal_iteratorINS9_10device_ptrIsEEEESE_s11max_functorIsEsEEDaPvRmT3_T4_T5_mT6_P12ihipStream_tbENKUlT_T0_E_clISt17integral_constantIbLb0EEST_IbLb1EEEEDaSP_SQ_EUlSP_E0_NS1_11comp_targetILNS1_3genE2ELNS1_11target_archE906ELNS1_3gpuE6ELNS1_3repE0EEENS1_30default_config_static_selectorELNS0_4arch9wavefront6targetE1EEEvT1_,comdat
.Lfunc_end2985:
	.size	_ZN7rocprim17ROCPRIM_400000_NS6detail17trampoline_kernelINS0_14default_configENS1_20scan_config_selectorIsEEZZNS1_9scan_implILNS1_25lookback_scan_determinismE0ELb1ELb1ES3_N6thrust23THRUST_200600_302600_NS6detail15normal_iteratorINS9_10device_ptrIsEEEESE_s11max_functorIsEsEEDaPvRmT3_T4_T5_mT6_P12ihipStream_tbENKUlT_T0_E_clISt17integral_constantIbLb0EEST_IbLb1EEEEDaSP_SQ_EUlSP_E0_NS1_11comp_targetILNS1_3genE2ELNS1_11target_archE906ELNS1_3gpuE6ELNS1_3repE0EEENS1_30default_config_static_selectorELNS0_4arch9wavefront6targetE1EEEvT1_, .Lfunc_end2985-_ZN7rocprim17ROCPRIM_400000_NS6detail17trampoline_kernelINS0_14default_configENS1_20scan_config_selectorIsEEZZNS1_9scan_implILNS1_25lookback_scan_determinismE0ELb1ELb1ES3_N6thrust23THRUST_200600_302600_NS6detail15normal_iteratorINS9_10device_ptrIsEEEESE_s11max_functorIsEsEEDaPvRmT3_T4_T5_mT6_P12ihipStream_tbENKUlT_T0_E_clISt17integral_constantIbLb0EEST_IbLb1EEEEDaSP_SQ_EUlSP_E0_NS1_11comp_targetILNS1_3genE2ELNS1_11target_archE906ELNS1_3gpuE6ELNS1_3repE0EEENS1_30default_config_static_selectorELNS0_4arch9wavefront6targetE1EEEvT1_
                                        ; -- End function
	.section	.AMDGPU.csdata,"",@progbits
; Kernel info:
; codeLenInByte = 0
; NumSgprs: 4
; NumVgprs: 0
; NumAgprs: 0
; TotalNumVgprs: 0
; ScratchSize: 0
; MemoryBound: 0
; FloatMode: 240
; IeeeMode: 1
; LDSByteSize: 0 bytes/workgroup (compile time only)
; SGPRBlocks: 0
; VGPRBlocks: 0
; NumSGPRsForWavesPerEU: 4
; NumVGPRsForWavesPerEU: 1
; AccumOffset: 4
; Occupancy: 8
; WaveLimiterHint : 0
; COMPUTE_PGM_RSRC2:SCRATCH_EN: 0
; COMPUTE_PGM_RSRC2:USER_SGPR: 6
; COMPUTE_PGM_RSRC2:TRAP_HANDLER: 0
; COMPUTE_PGM_RSRC2:TGID_X_EN: 1
; COMPUTE_PGM_RSRC2:TGID_Y_EN: 0
; COMPUTE_PGM_RSRC2:TGID_Z_EN: 0
; COMPUTE_PGM_RSRC2:TIDIG_COMP_CNT: 0
; COMPUTE_PGM_RSRC3_GFX90A:ACCUM_OFFSET: 0
; COMPUTE_PGM_RSRC3_GFX90A:TG_SPLIT: 0
	.section	.text._ZN7rocprim17ROCPRIM_400000_NS6detail17trampoline_kernelINS0_14default_configENS1_20scan_config_selectorIsEEZZNS1_9scan_implILNS1_25lookback_scan_determinismE0ELb1ELb1ES3_N6thrust23THRUST_200600_302600_NS6detail15normal_iteratorINS9_10device_ptrIsEEEESE_s11max_functorIsEsEEDaPvRmT3_T4_T5_mT6_P12ihipStream_tbENKUlT_T0_E_clISt17integral_constantIbLb0EEST_IbLb1EEEEDaSP_SQ_EUlSP_E0_NS1_11comp_targetILNS1_3genE10ELNS1_11target_archE1201ELNS1_3gpuE5ELNS1_3repE0EEENS1_30default_config_static_selectorELNS0_4arch9wavefront6targetE1EEEvT1_,"axG",@progbits,_ZN7rocprim17ROCPRIM_400000_NS6detail17trampoline_kernelINS0_14default_configENS1_20scan_config_selectorIsEEZZNS1_9scan_implILNS1_25lookback_scan_determinismE0ELb1ELb1ES3_N6thrust23THRUST_200600_302600_NS6detail15normal_iteratorINS9_10device_ptrIsEEEESE_s11max_functorIsEsEEDaPvRmT3_T4_T5_mT6_P12ihipStream_tbENKUlT_T0_E_clISt17integral_constantIbLb0EEST_IbLb1EEEEDaSP_SQ_EUlSP_E0_NS1_11comp_targetILNS1_3genE10ELNS1_11target_archE1201ELNS1_3gpuE5ELNS1_3repE0EEENS1_30default_config_static_selectorELNS0_4arch9wavefront6targetE1EEEvT1_,comdat
	.protected	_ZN7rocprim17ROCPRIM_400000_NS6detail17trampoline_kernelINS0_14default_configENS1_20scan_config_selectorIsEEZZNS1_9scan_implILNS1_25lookback_scan_determinismE0ELb1ELb1ES3_N6thrust23THRUST_200600_302600_NS6detail15normal_iteratorINS9_10device_ptrIsEEEESE_s11max_functorIsEsEEDaPvRmT3_T4_T5_mT6_P12ihipStream_tbENKUlT_T0_E_clISt17integral_constantIbLb0EEST_IbLb1EEEEDaSP_SQ_EUlSP_E0_NS1_11comp_targetILNS1_3genE10ELNS1_11target_archE1201ELNS1_3gpuE5ELNS1_3repE0EEENS1_30default_config_static_selectorELNS0_4arch9wavefront6targetE1EEEvT1_ ; -- Begin function _ZN7rocprim17ROCPRIM_400000_NS6detail17trampoline_kernelINS0_14default_configENS1_20scan_config_selectorIsEEZZNS1_9scan_implILNS1_25lookback_scan_determinismE0ELb1ELb1ES3_N6thrust23THRUST_200600_302600_NS6detail15normal_iteratorINS9_10device_ptrIsEEEESE_s11max_functorIsEsEEDaPvRmT3_T4_T5_mT6_P12ihipStream_tbENKUlT_T0_E_clISt17integral_constantIbLb0EEST_IbLb1EEEEDaSP_SQ_EUlSP_E0_NS1_11comp_targetILNS1_3genE10ELNS1_11target_archE1201ELNS1_3gpuE5ELNS1_3repE0EEENS1_30default_config_static_selectorELNS0_4arch9wavefront6targetE1EEEvT1_
	.globl	_ZN7rocprim17ROCPRIM_400000_NS6detail17trampoline_kernelINS0_14default_configENS1_20scan_config_selectorIsEEZZNS1_9scan_implILNS1_25lookback_scan_determinismE0ELb1ELb1ES3_N6thrust23THRUST_200600_302600_NS6detail15normal_iteratorINS9_10device_ptrIsEEEESE_s11max_functorIsEsEEDaPvRmT3_T4_T5_mT6_P12ihipStream_tbENKUlT_T0_E_clISt17integral_constantIbLb0EEST_IbLb1EEEEDaSP_SQ_EUlSP_E0_NS1_11comp_targetILNS1_3genE10ELNS1_11target_archE1201ELNS1_3gpuE5ELNS1_3repE0EEENS1_30default_config_static_selectorELNS0_4arch9wavefront6targetE1EEEvT1_
	.p2align	8
	.type	_ZN7rocprim17ROCPRIM_400000_NS6detail17trampoline_kernelINS0_14default_configENS1_20scan_config_selectorIsEEZZNS1_9scan_implILNS1_25lookback_scan_determinismE0ELb1ELb1ES3_N6thrust23THRUST_200600_302600_NS6detail15normal_iteratorINS9_10device_ptrIsEEEESE_s11max_functorIsEsEEDaPvRmT3_T4_T5_mT6_P12ihipStream_tbENKUlT_T0_E_clISt17integral_constantIbLb0EEST_IbLb1EEEEDaSP_SQ_EUlSP_E0_NS1_11comp_targetILNS1_3genE10ELNS1_11target_archE1201ELNS1_3gpuE5ELNS1_3repE0EEENS1_30default_config_static_selectorELNS0_4arch9wavefront6targetE1EEEvT1_,@function
_ZN7rocprim17ROCPRIM_400000_NS6detail17trampoline_kernelINS0_14default_configENS1_20scan_config_selectorIsEEZZNS1_9scan_implILNS1_25lookback_scan_determinismE0ELb1ELb1ES3_N6thrust23THRUST_200600_302600_NS6detail15normal_iteratorINS9_10device_ptrIsEEEESE_s11max_functorIsEsEEDaPvRmT3_T4_T5_mT6_P12ihipStream_tbENKUlT_T0_E_clISt17integral_constantIbLb0EEST_IbLb1EEEEDaSP_SQ_EUlSP_E0_NS1_11comp_targetILNS1_3genE10ELNS1_11target_archE1201ELNS1_3gpuE5ELNS1_3repE0EEENS1_30default_config_static_selectorELNS0_4arch9wavefront6targetE1EEEvT1_: ; @_ZN7rocprim17ROCPRIM_400000_NS6detail17trampoline_kernelINS0_14default_configENS1_20scan_config_selectorIsEEZZNS1_9scan_implILNS1_25lookback_scan_determinismE0ELb1ELb1ES3_N6thrust23THRUST_200600_302600_NS6detail15normal_iteratorINS9_10device_ptrIsEEEESE_s11max_functorIsEsEEDaPvRmT3_T4_T5_mT6_P12ihipStream_tbENKUlT_T0_E_clISt17integral_constantIbLb0EEST_IbLb1EEEEDaSP_SQ_EUlSP_E0_NS1_11comp_targetILNS1_3genE10ELNS1_11target_archE1201ELNS1_3gpuE5ELNS1_3repE0EEENS1_30default_config_static_selectorELNS0_4arch9wavefront6targetE1EEEvT1_
; %bb.0:
	.section	.rodata,"a",@progbits
	.p2align	6, 0x0
	.amdhsa_kernel _ZN7rocprim17ROCPRIM_400000_NS6detail17trampoline_kernelINS0_14default_configENS1_20scan_config_selectorIsEEZZNS1_9scan_implILNS1_25lookback_scan_determinismE0ELb1ELb1ES3_N6thrust23THRUST_200600_302600_NS6detail15normal_iteratorINS9_10device_ptrIsEEEESE_s11max_functorIsEsEEDaPvRmT3_T4_T5_mT6_P12ihipStream_tbENKUlT_T0_E_clISt17integral_constantIbLb0EEST_IbLb1EEEEDaSP_SQ_EUlSP_E0_NS1_11comp_targetILNS1_3genE10ELNS1_11target_archE1201ELNS1_3gpuE5ELNS1_3repE0EEENS1_30default_config_static_selectorELNS0_4arch9wavefront6targetE1EEEvT1_
		.amdhsa_group_segment_fixed_size 0
		.amdhsa_private_segment_fixed_size 0
		.amdhsa_kernarg_size 32
		.amdhsa_user_sgpr_count 6
		.amdhsa_user_sgpr_private_segment_buffer 1
		.amdhsa_user_sgpr_dispatch_ptr 0
		.amdhsa_user_sgpr_queue_ptr 0
		.amdhsa_user_sgpr_kernarg_segment_ptr 1
		.amdhsa_user_sgpr_dispatch_id 0
		.amdhsa_user_sgpr_flat_scratch_init 0
		.amdhsa_user_sgpr_kernarg_preload_length 0
		.amdhsa_user_sgpr_kernarg_preload_offset 0
		.amdhsa_user_sgpr_private_segment_size 0
		.amdhsa_uses_dynamic_stack 0
		.amdhsa_system_sgpr_private_segment_wavefront_offset 0
		.amdhsa_system_sgpr_workgroup_id_x 1
		.amdhsa_system_sgpr_workgroup_id_y 0
		.amdhsa_system_sgpr_workgroup_id_z 0
		.amdhsa_system_sgpr_workgroup_info 0
		.amdhsa_system_vgpr_workitem_id 0
		.amdhsa_next_free_vgpr 1
		.amdhsa_next_free_sgpr 0
		.amdhsa_accum_offset 4
		.amdhsa_reserve_vcc 0
		.amdhsa_reserve_flat_scratch 0
		.amdhsa_float_round_mode_32 0
		.amdhsa_float_round_mode_16_64 0
		.amdhsa_float_denorm_mode_32 3
		.amdhsa_float_denorm_mode_16_64 3
		.amdhsa_dx10_clamp 1
		.amdhsa_ieee_mode 1
		.amdhsa_fp16_overflow 0
		.amdhsa_tg_split 0
		.amdhsa_exception_fp_ieee_invalid_op 0
		.amdhsa_exception_fp_denorm_src 0
		.amdhsa_exception_fp_ieee_div_zero 0
		.amdhsa_exception_fp_ieee_overflow 0
		.amdhsa_exception_fp_ieee_underflow 0
		.amdhsa_exception_fp_ieee_inexact 0
		.amdhsa_exception_int_div_zero 0
	.end_amdhsa_kernel
	.section	.text._ZN7rocprim17ROCPRIM_400000_NS6detail17trampoline_kernelINS0_14default_configENS1_20scan_config_selectorIsEEZZNS1_9scan_implILNS1_25lookback_scan_determinismE0ELb1ELb1ES3_N6thrust23THRUST_200600_302600_NS6detail15normal_iteratorINS9_10device_ptrIsEEEESE_s11max_functorIsEsEEDaPvRmT3_T4_T5_mT6_P12ihipStream_tbENKUlT_T0_E_clISt17integral_constantIbLb0EEST_IbLb1EEEEDaSP_SQ_EUlSP_E0_NS1_11comp_targetILNS1_3genE10ELNS1_11target_archE1201ELNS1_3gpuE5ELNS1_3repE0EEENS1_30default_config_static_selectorELNS0_4arch9wavefront6targetE1EEEvT1_,"axG",@progbits,_ZN7rocprim17ROCPRIM_400000_NS6detail17trampoline_kernelINS0_14default_configENS1_20scan_config_selectorIsEEZZNS1_9scan_implILNS1_25lookback_scan_determinismE0ELb1ELb1ES3_N6thrust23THRUST_200600_302600_NS6detail15normal_iteratorINS9_10device_ptrIsEEEESE_s11max_functorIsEsEEDaPvRmT3_T4_T5_mT6_P12ihipStream_tbENKUlT_T0_E_clISt17integral_constantIbLb0EEST_IbLb1EEEEDaSP_SQ_EUlSP_E0_NS1_11comp_targetILNS1_3genE10ELNS1_11target_archE1201ELNS1_3gpuE5ELNS1_3repE0EEENS1_30default_config_static_selectorELNS0_4arch9wavefront6targetE1EEEvT1_,comdat
.Lfunc_end2986:
	.size	_ZN7rocprim17ROCPRIM_400000_NS6detail17trampoline_kernelINS0_14default_configENS1_20scan_config_selectorIsEEZZNS1_9scan_implILNS1_25lookback_scan_determinismE0ELb1ELb1ES3_N6thrust23THRUST_200600_302600_NS6detail15normal_iteratorINS9_10device_ptrIsEEEESE_s11max_functorIsEsEEDaPvRmT3_T4_T5_mT6_P12ihipStream_tbENKUlT_T0_E_clISt17integral_constantIbLb0EEST_IbLb1EEEEDaSP_SQ_EUlSP_E0_NS1_11comp_targetILNS1_3genE10ELNS1_11target_archE1201ELNS1_3gpuE5ELNS1_3repE0EEENS1_30default_config_static_selectorELNS0_4arch9wavefront6targetE1EEEvT1_, .Lfunc_end2986-_ZN7rocprim17ROCPRIM_400000_NS6detail17trampoline_kernelINS0_14default_configENS1_20scan_config_selectorIsEEZZNS1_9scan_implILNS1_25lookback_scan_determinismE0ELb1ELb1ES3_N6thrust23THRUST_200600_302600_NS6detail15normal_iteratorINS9_10device_ptrIsEEEESE_s11max_functorIsEsEEDaPvRmT3_T4_T5_mT6_P12ihipStream_tbENKUlT_T0_E_clISt17integral_constantIbLb0EEST_IbLb1EEEEDaSP_SQ_EUlSP_E0_NS1_11comp_targetILNS1_3genE10ELNS1_11target_archE1201ELNS1_3gpuE5ELNS1_3repE0EEENS1_30default_config_static_selectorELNS0_4arch9wavefront6targetE1EEEvT1_
                                        ; -- End function
	.section	.AMDGPU.csdata,"",@progbits
; Kernel info:
; codeLenInByte = 0
; NumSgprs: 4
; NumVgprs: 0
; NumAgprs: 0
; TotalNumVgprs: 0
; ScratchSize: 0
; MemoryBound: 0
; FloatMode: 240
; IeeeMode: 1
; LDSByteSize: 0 bytes/workgroup (compile time only)
; SGPRBlocks: 0
; VGPRBlocks: 0
; NumSGPRsForWavesPerEU: 4
; NumVGPRsForWavesPerEU: 1
; AccumOffset: 4
; Occupancy: 8
; WaveLimiterHint : 0
; COMPUTE_PGM_RSRC2:SCRATCH_EN: 0
; COMPUTE_PGM_RSRC2:USER_SGPR: 6
; COMPUTE_PGM_RSRC2:TRAP_HANDLER: 0
; COMPUTE_PGM_RSRC2:TGID_X_EN: 1
; COMPUTE_PGM_RSRC2:TGID_Y_EN: 0
; COMPUTE_PGM_RSRC2:TGID_Z_EN: 0
; COMPUTE_PGM_RSRC2:TIDIG_COMP_CNT: 0
; COMPUTE_PGM_RSRC3_GFX90A:ACCUM_OFFSET: 0
; COMPUTE_PGM_RSRC3_GFX90A:TG_SPLIT: 0
	.section	.text._ZN7rocprim17ROCPRIM_400000_NS6detail17trampoline_kernelINS0_14default_configENS1_20scan_config_selectorIsEEZZNS1_9scan_implILNS1_25lookback_scan_determinismE0ELb1ELb1ES3_N6thrust23THRUST_200600_302600_NS6detail15normal_iteratorINS9_10device_ptrIsEEEESE_s11max_functorIsEsEEDaPvRmT3_T4_T5_mT6_P12ihipStream_tbENKUlT_T0_E_clISt17integral_constantIbLb0EEST_IbLb1EEEEDaSP_SQ_EUlSP_E0_NS1_11comp_targetILNS1_3genE10ELNS1_11target_archE1200ELNS1_3gpuE4ELNS1_3repE0EEENS1_30default_config_static_selectorELNS0_4arch9wavefront6targetE1EEEvT1_,"axG",@progbits,_ZN7rocprim17ROCPRIM_400000_NS6detail17trampoline_kernelINS0_14default_configENS1_20scan_config_selectorIsEEZZNS1_9scan_implILNS1_25lookback_scan_determinismE0ELb1ELb1ES3_N6thrust23THRUST_200600_302600_NS6detail15normal_iteratorINS9_10device_ptrIsEEEESE_s11max_functorIsEsEEDaPvRmT3_T4_T5_mT6_P12ihipStream_tbENKUlT_T0_E_clISt17integral_constantIbLb0EEST_IbLb1EEEEDaSP_SQ_EUlSP_E0_NS1_11comp_targetILNS1_3genE10ELNS1_11target_archE1200ELNS1_3gpuE4ELNS1_3repE0EEENS1_30default_config_static_selectorELNS0_4arch9wavefront6targetE1EEEvT1_,comdat
	.protected	_ZN7rocprim17ROCPRIM_400000_NS6detail17trampoline_kernelINS0_14default_configENS1_20scan_config_selectorIsEEZZNS1_9scan_implILNS1_25lookback_scan_determinismE0ELb1ELb1ES3_N6thrust23THRUST_200600_302600_NS6detail15normal_iteratorINS9_10device_ptrIsEEEESE_s11max_functorIsEsEEDaPvRmT3_T4_T5_mT6_P12ihipStream_tbENKUlT_T0_E_clISt17integral_constantIbLb0EEST_IbLb1EEEEDaSP_SQ_EUlSP_E0_NS1_11comp_targetILNS1_3genE10ELNS1_11target_archE1200ELNS1_3gpuE4ELNS1_3repE0EEENS1_30default_config_static_selectorELNS0_4arch9wavefront6targetE1EEEvT1_ ; -- Begin function _ZN7rocprim17ROCPRIM_400000_NS6detail17trampoline_kernelINS0_14default_configENS1_20scan_config_selectorIsEEZZNS1_9scan_implILNS1_25lookback_scan_determinismE0ELb1ELb1ES3_N6thrust23THRUST_200600_302600_NS6detail15normal_iteratorINS9_10device_ptrIsEEEESE_s11max_functorIsEsEEDaPvRmT3_T4_T5_mT6_P12ihipStream_tbENKUlT_T0_E_clISt17integral_constantIbLb0EEST_IbLb1EEEEDaSP_SQ_EUlSP_E0_NS1_11comp_targetILNS1_3genE10ELNS1_11target_archE1200ELNS1_3gpuE4ELNS1_3repE0EEENS1_30default_config_static_selectorELNS0_4arch9wavefront6targetE1EEEvT1_
	.globl	_ZN7rocprim17ROCPRIM_400000_NS6detail17trampoline_kernelINS0_14default_configENS1_20scan_config_selectorIsEEZZNS1_9scan_implILNS1_25lookback_scan_determinismE0ELb1ELb1ES3_N6thrust23THRUST_200600_302600_NS6detail15normal_iteratorINS9_10device_ptrIsEEEESE_s11max_functorIsEsEEDaPvRmT3_T4_T5_mT6_P12ihipStream_tbENKUlT_T0_E_clISt17integral_constantIbLb0EEST_IbLb1EEEEDaSP_SQ_EUlSP_E0_NS1_11comp_targetILNS1_3genE10ELNS1_11target_archE1200ELNS1_3gpuE4ELNS1_3repE0EEENS1_30default_config_static_selectorELNS0_4arch9wavefront6targetE1EEEvT1_
	.p2align	8
	.type	_ZN7rocprim17ROCPRIM_400000_NS6detail17trampoline_kernelINS0_14default_configENS1_20scan_config_selectorIsEEZZNS1_9scan_implILNS1_25lookback_scan_determinismE0ELb1ELb1ES3_N6thrust23THRUST_200600_302600_NS6detail15normal_iteratorINS9_10device_ptrIsEEEESE_s11max_functorIsEsEEDaPvRmT3_T4_T5_mT6_P12ihipStream_tbENKUlT_T0_E_clISt17integral_constantIbLb0EEST_IbLb1EEEEDaSP_SQ_EUlSP_E0_NS1_11comp_targetILNS1_3genE10ELNS1_11target_archE1200ELNS1_3gpuE4ELNS1_3repE0EEENS1_30default_config_static_selectorELNS0_4arch9wavefront6targetE1EEEvT1_,@function
_ZN7rocprim17ROCPRIM_400000_NS6detail17trampoline_kernelINS0_14default_configENS1_20scan_config_selectorIsEEZZNS1_9scan_implILNS1_25lookback_scan_determinismE0ELb1ELb1ES3_N6thrust23THRUST_200600_302600_NS6detail15normal_iteratorINS9_10device_ptrIsEEEESE_s11max_functorIsEsEEDaPvRmT3_T4_T5_mT6_P12ihipStream_tbENKUlT_T0_E_clISt17integral_constantIbLb0EEST_IbLb1EEEEDaSP_SQ_EUlSP_E0_NS1_11comp_targetILNS1_3genE10ELNS1_11target_archE1200ELNS1_3gpuE4ELNS1_3repE0EEENS1_30default_config_static_selectorELNS0_4arch9wavefront6targetE1EEEvT1_: ; @_ZN7rocprim17ROCPRIM_400000_NS6detail17trampoline_kernelINS0_14default_configENS1_20scan_config_selectorIsEEZZNS1_9scan_implILNS1_25lookback_scan_determinismE0ELb1ELb1ES3_N6thrust23THRUST_200600_302600_NS6detail15normal_iteratorINS9_10device_ptrIsEEEESE_s11max_functorIsEsEEDaPvRmT3_T4_T5_mT6_P12ihipStream_tbENKUlT_T0_E_clISt17integral_constantIbLb0EEST_IbLb1EEEEDaSP_SQ_EUlSP_E0_NS1_11comp_targetILNS1_3genE10ELNS1_11target_archE1200ELNS1_3gpuE4ELNS1_3repE0EEENS1_30default_config_static_selectorELNS0_4arch9wavefront6targetE1EEEvT1_
; %bb.0:
	.section	.rodata,"a",@progbits
	.p2align	6, 0x0
	.amdhsa_kernel _ZN7rocprim17ROCPRIM_400000_NS6detail17trampoline_kernelINS0_14default_configENS1_20scan_config_selectorIsEEZZNS1_9scan_implILNS1_25lookback_scan_determinismE0ELb1ELb1ES3_N6thrust23THRUST_200600_302600_NS6detail15normal_iteratorINS9_10device_ptrIsEEEESE_s11max_functorIsEsEEDaPvRmT3_T4_T5_mT6_P12ihipStream_tbENKUlT_T0_E_clISt17integral_constantIbLb0EEST_IbLb1EEEEDaSP_SQ_EUlSP_E0_NS1_11comp_targetILNS1_3genE10ELNS1_11target_archE1200ELNS1_3gpuE4ELNS1_3repE0EEENS1_30default_config_static_selectorELNS0_4arch9wavefront6targetE1EEEvT1_
		.amdhsa_group_segment_fixed_size 0
		.amdhsa_private_segment_fixed_size 0
		.amdhsa_kernarg_size 32
		.amdhsa_user_sgpr_count 6
		.amdhsa_user_sgpr_private_segment_buffer 1
		.amdhsa_user_sgpr_dispatch_ptr 0
		.amdhsa_user_sgpr_queue_ptr 0
		.amdhsa_user_sgpr_kernarg_segment_ptr 1
		.amdhsa_user_sgpr_dispatch_id 0
		.amdhsa_user_sgpr_flat_scratch_init 0
		.amdhsa_user_sgpr_kernarg_preload_length 0
		.amdhsa_user_sgpr_kernarg_preload_offset 0
		.amdhsa_user_sgpr_private_segment_size 0
		.amdhsa_uses_dynamic_stack 0
		.amdhsa_system_sgpr_private_segment_wavefront_offset 0
		.amdhsa_system_sgpr_workgroup_id_x 1
		.amdhsa_system_sgpr_workgroup_id_y 0
		.amdhsa_system_sgpr_workgroup_id_z 0
		.amdhsa_system_sgpr_workgroup_info 0
		.amdhsa_system_vgpr_workitem_id 0
		.amdhsa_next_free_vgpr 1
		.amdhsa_next_free_sgpr 0
		.amdhsa_accum_offset 4
		.amdhsa_reserve_vcc 0
		.amdhsa_reserve_flat_scratch 0
		.amdhsa_float_round_mode_32 0
		.amdhsa_float_round_mode_16_64 0
		.amdhsa_float_denorm_mode_32 3
		.amdhsa_float_denorm_mode_16_64 3
		.amdhsa_dx10_clamp 1
		.amdhsa_ieee_mode 1
		.amdhsa_fp16_overflow 0
		.amdhsa_tg_split 0
		.amdhsa_exception_fp_ieee_invalid_op 0
		.amdhsa_exception_fp_denorm_src 0
		.amdhsa_exception_fp_ieee_div_zero 0
		.amdhsa_exception_fp_ieee_overflow 0
		.amdhsa_exception_fp_ieee_underflow 0
		.amdhsa_exception_fp_ieee_inexact 0
		.amdhsa_exception_int_div_zero 0
	.end_amdhsa_kernel
	.section	.text._ZN7rocprim17ROCPRIM_400000_NS6detail17trampoline_kernelINS0_14default_configENS1_20scan_config_selectorIsEEZZNS1_9scan_implILNS1_25lookback_scan_determinismE0ELb1ELb1ES3_N6thrust23THRUST_200600_302600_NS6detail15normal_iteratorINS9_10device_ptrIsEEEESE_s11max_functorIsEsEEDaPvRmT3_T4_T5_mT6_P12ihipStream_tbENKUlT_T0_E_clISt17integral_constantIbLb0EEST_IbLb1EEEEDaSP_SQ_EUlSP_E0_NS1_11comp_targetILNS1_3genE10ELNS1_11target_archE1200ELNS1_3gpuE4ELNS1_3repE0EEENS1_30default_config_static_selectorELNS0_4arch9wavefront6targetE1EEEvT1_,"axG",@progbits,_ZN7rocprim17ROCPRIM_400000_NS6detail17trampoline_kernelINS0_14default_configENS1_20scan_config_selectorIsEEZZNS1_9scan_implILNS1_25lookback_scan_determinismE0ELb1ELb1ES3_N6thrust23THRUST_200600_302600_NS6detail15normal_iteratorINS9_10device_ptrIsEEEESE_s11max_functorIsEsEEDaPvRmT3_T4_T5_mT6_P12ihipStream_tbENKUlT_T0_E_clISt17integral_constantIbLb0EEST_IbLb1EEEEDaSP_SQ_EUlSP_E0_NS1_11comp_targetILNS1_3genE10ELNS1_11target_archE1200ELNS1_3gpuE4ELNS1_3repE0EEENS1_30default_config_static_selectorELNS0_4arch9wavefront6targetE1EEEvT1_,comdat
.Lfunc_end2987:
	.size	_ZN7rocprim17ROCPRIM_400000_NS6detail17trampoline_kernelINS0_14default_configENS1_20scan_config_selectorIsEEZZNS1_9scan_implILNS1_25lookback_scan_determinismE0ELb1ELb1ES3_N6thrust23THRUST_200600_302600_NS6detail15normal_iteratorINS9_10device_ptrIsEEEESE_s11max_functorIsEsEEDaPvRmT3_T4_T5_mT6_P12ihipStream_tbENKUlT_T0_E_clISt17integral_constantIbLb0EEST_IbLb1EEEEDaSP_SQ_EUlSP_E0_NS1_11comp_targetILNS1_3genE10ELNS1_11target_archE1200ELNS1_3gpuE4ELNS1_3repE0EEENS1_30default_config_static_selectorELNS0_4arch9wavefront6targetE1EEEvT1_, .Lfunc_end2987-_ZN7rocprim17ROCPRIM_400000_NS6detail17trampoline_kernelINS0_14default_configENS1_20scan_config_selectorIsEEZZNS1_9scan_implILNS1_25lookback_scan_determinismE0ELb1ELb1ES3_N6thrust23THRUST_200600_302600_NS6detail15normal_iteratorINS9_10device_ptrIsEEEESE_s11max_functorIsEsEEDaPvRmT3_T4_T5_mT6_P12ihipStream_tbENKUlT_T0_E_clISt17integral_constantIbLb0EEST_IbLb1EEEEDaSP_SQ_EUlSP_E0_NS1_11comp_targetILNS1_3genE10ELNS1_11target_archE1200ELNS1_3gpuE4ELNS1_3repE0EEENS1_30default_config_static_selectorELNS0_4arch9wavefront6targetE1EEEvT1_
                                        ; -- End function
	.section	.AMDGPU.csdata,"",@progbits
; Kernel info:
; codeLenInByte = 0
; NumSgprs: 4
; NumVgprs: 0
; NumAgprs: 0
; TotalNumVgprs: 0
; ScratchSize: 0
; MemoryBound: 0
; FloatMode: 240
; IeeeMode: 1
; LDSByteSize: 0 bytes/workgroup (compile time only)
; SGPRBlocks: 0
; VGPRBlocks: 0
; NumSGPRsForWavesPerEU: 4
; NumVGPRsForWavesPerEU: 1
; AccumOffset: 4
; Occupancy: 8
; WaveLimiterHint : 0
; COMPUTE_PGM_RSRC2:SCRATCH_EN: 0
; COMPUTE_PGM_RSRC2:USER_SGPR: 6
; COMPUTE_PGM_RSRC2:TRAP_HANDLER: 0
; COMPUTE_PGM_RSRC2:TGID_X_EN: 1
; COMPUTE_PGM_RSRC2:TGID_Y_EN: 0
; COMPUTE_PGM_RSRC2:TGID_Z_EN: 0
; COMPUTE_PGM_RSRC2:TIDIG_COMP_CNT: 0
; COMPUTE_PGM_RSRC3_GFX90A:ACCUM_OFFSET: 0
; COMPUTE_PGM_RSRC3_GFX90A:TG_SPLIT: 0
	.section	.text._ZN7rocprim17ROCPRIM_400000_NS6detail17trampoline_kernelINS0_14default_configENS1_20scan_config_selectorIsEEZZNS1_9scan_implILNS1_25lookback_scan_determinismE0ELb1ELb1ES3_N6thrust23THRUST_200600_302600_NS6detail15normal_iteratorINS9_10device_ptrIsEEEESE_s11max_functorIsEsEEDaPvRmT3_T4_T5_mT6_P12ihipStream_tbENKUlT_T0_E_clISt17integral_constantIbLb0EEST_IbLb1EEEEDaSP_SQ_EUlSP_E0_NS1_11comp_targetILNS1_3genE9ELNS1_11target_archE1100ELNS1_3gpuE3ELNS1_3repE0EEENS1_30default_config_static_selectorELNS0_4arch9wavefront6targetE1EEEvT1_,"axG",@progbits,_ZN7rocprim17ROCPRIM_400000_NS6detail17trampoline_kernelINS0_14default_configENS1_20scan_config_selectorIsEEZZNS1_9scan_implILNS1_25lookback_scan_determinismE0ELb1ELb1ES3_N6thrust23THRUST_200600_302600_NS6detail15normal_iteratorINS9_10device_ptrIsEEEESE_s11max_functorIsEsEEDaPvRmT3_T4_T5_mT6_P12ihipStream_tbENKUlT_T0_E_clISt17integral_constantIbLb0EEST_IbLb1EEEEDaSP_SQ_EUlSP_E0_NS1_11comp_targetILNS1_3genE9ELNS1_11target_archE1100ELNS1_3gpuE3ELNS1_3repE0EEENS1_30default_config_static_selectorELNS0_4arch9wavefront6targetE1EEEvT1_,comdat
	.protected	_ZN7rocprim17ROCPRIM_400000_NS6detail17trampoline_kernelINS0_14default_configENS1_20scan_config_selectorIsEEZZNS1_9scan_implILNS1_25lookback_scan_determinismE0ELb1ELb1ES3_N6thrust23THRUST_200600_302600_NS6detail15normal_iteratorINS9_10device_ptrIsEEEESE_s11max_functorIsEsEEDaPvRmT3_T4_T5_mT6_P12ihipStream_tbENKUlT_T0_E_clISt17integral_constantIbLb0EEST_IbLb1EEEEDaSP_SQ_EUlSP_E0_NS1_11comp_targetILNS1_3genE9ELNS1_11target_archE1100ELNS1_3gpuE3ELNS1_3repE0EEENS1_30default_config_static_selectorELNS0_4arch9wavefront6targetE1EEEvT1_ ; -- Begin function _ZN7rocprim17ROCPRIM_400000_NS6detail17trampoline_kernelINS0_14default_configENS1_20scan_config_selectorIsEEZZNS1_9scan_implILNS1_25lookback_scan_determinismE0ELb1ELb1ES3_N6thrust23THRUST_200600_302600_NS6detail15normal_iteratorINS9_10device_ptrIsEEEESE_s11max_functorIsEsEEDaPvRmT3_T4_T5_mT6_P12ihipStream_tbENKUlT_T0_E_clISt17integral_constantIbLb0EEST_IbLb1EEEEDaSP_SQ_EUlSP_E0_NS1_11comp_targetILNS1_3genE9ELNS1_11target_archE1100ELNS1_3gpuE3ELNS1_3repE0EEENS1_30default_config_static_selectorELNS0_4arch9wavefront6targetE1EEEvT1_
	.globl	_ZN7rocprim17ROCPRIM_400000_NS6detail17trampoline_kernelINS0_14default_configENS1_20scan_config_selectorIsEEZZNS1_9scan_implILNS1_25lookback_scan_determinismE0ELb1ELb1ES3_N6thrust23THRUST_200600_302600_NS6detail15normal_iteratorINS9_10device_ptrIsEEEESE_s11max_functorIsEsEEDaPvRmT3_T4_T5_mT6_P12ihipStream_tbENKUlT_T0_E_clISt17integral_constantIbLb0EEST_IbLb1EEEEDaSP_SQ_EUlSP_E0_NS1_11comp_targetILNS1_3genE9ELNS1_11target_archE1100ELNS1_3gpuE3ELNS1_3repE0EEENS1_30default_config_static_selectorELNS0_4arch9wavefront6targetE1EEEvT1_
	.p2align	8
	.type	_ZN7rocprim17ROCPRIM_400000_NS6detail17trampoline_kernelINS0_14default_configENS1_20scan_config_selectorIsEEZZNS1_9scan_implILNS1_25lookback_scan_determinismE0ELb1ELb1ES3_N6thrust23THRUST_200600_302600_NS6detail15normal_iteratorINS9_10device_ptrIsEEEESE_s11max_functorIsEsEEDaPvRmT3_T4_T5_mT6_P12ihipStream_tbENKUlT_T0_E_clISt17integral_constantIbLb0EEST_IbLb1EEEEDaSP_SQ_EUlSP_E0_NS1_11comp_targetILNS1_3genE9ELNS1_11target_archE1100ELNS1_3gpuE3ELNS1_3repE0EEENS1_30default_config_static_selectorELNS0_4arch9wavefront6targetE1EEEvT1_,@function
_ZN7rocprim17ROCPRIM_400000_NS6detail17trampoline_kernelINS0_14default_configENS1_20scan_config_selectorIsEEZZNS1_9scan_implILNS1_25lookback_scan_determinismE0ELb1ELb1ES3_N6thrust23THRUST_200600_302600_NS6detail15normal_iteratorINS9_10device_ptrIsEEEESE_s11max_functorIsEsEEDaPvRmT3_T4_T5_mT6_P12ihipStream_tbENKUlT_T0_E_clISt17integral_constantIbLb0EEST_IbLb1EEEEDaSP_SQ_EUlSP_E0_NS1_11comp_targetILNS1_3genE9ELNS1_11target_archE1100ELNS1_3gpuE3ELNS1_3repE0EEENS1_30default_config_static_selectorELNS0_4arch9wavefront6targetE1EEEvT1_: ; @_ZN7rocprim17ROCPRIM_400000_NS6detail17trampoline_kernelINS0_14default_configENS1_20scan_config_selectorIsEEZZNS1_9scan_implILNS1_25lookback_scan_determinismE0ELb1ELb1ES3_N6thrust23THRUST_200600_302600_NS6detail15normal_iteratorINS9_10device_ptrIsEEEESE_s11max_functorIsEsEEDaPvRmT3_T4_T5_mT6_P12ihipStream_tbENKUlT_T0_E_clISt17integral_constantIbLb0EEST_IbLb1EEEEDaSP_SQ_EUlSP_E0_NS1_11comp_targetILNS1_3genE9ELNS1_11target_archE1100ELNS1_3gpuE3ELNS1_3repE0EEENS1_30default_config_static_selectorELNS0_4arch9wavefront6targetE1EEEvT1_
; %bb.0:
	.section	.rodata,"a",@progbits
	.p2align	6, 0x0
	.amdhsa_kernel _ZN7rocprim17ROCPRIM_400000_NS6detail17trampoline_kernelINS0_14default_configENS1_20scan_config_selectorIsEEZZNS1_9scan_implILNS1_25lookback_scan_determinismE0ELb1ELb1ES3_N6thrust23THRUST_200600_302600_NS6detail15normal_iteratorINS9_10device_ptrIsEEEESE_s11max_functorIsEsEEDaPvRmT3_T4_T5_mT6_P12ihipStream_tbENKUlT_T0_E_clISt17integral_constantIbLb0EEST_IbLb1EEEEDaSP_SQ_EUlSP_E0_NS1_11comp_targetILNS1_3genE9ELNS1_11target_archE1100ELNS1_3gpuE3ELNS1_3repE0EEENS1_30default_config_static_selectorELNS0_4arch9wavefront6targetE1EEEvT1_
		.amdhsa_group_segment_fixed_size 0
		.amdhsa_private_segment_fixed_size 0
		.amdhsa_kernarg_size 32
		.amdhsa_user_sgpr_count 6
		.amdhsa_user_sgpr_private_segment_buffer 1
		.amdhsa_user_sgpr_dispatch_ptr 0
		.amdhsa_user_sgpr_queue_ptr 0
		.amdhsa_user_sgpr_kernarg_segment_ptr 1
		.amdhsa_user_sgpr_dispatch_id 0
		.amdhsa_user_sgpr_flat_scratch_init 0
		.amdhsa_user_sgpr_kernarg_preload_length 0
		.amdhsa_user_sgpr_kernarg_preload_offset 0
		.amdhsa_user_sgpr_private_segment_size 0
		.amdhsa_uses_dynamic_stack 0
		.amdhsa_system_sgpr_private_segment_wavefront_offset 0
		.amdhsa_system_sgpr_workgroup_id_x 1
		.amdhsa_system_sgpr_workgroup_id_y 0
		.amdhsa_system_sgpr_workgroup_id_z 0
		.amdhsa_system_sgpr_workgroup_info 0
		.amdhsa_system_vgpr_workitem_id 0
		.amdhsa_next_free_vgpr 1
		.amdhsa_next_free_sgpr 0
		.amdhsa_accum_offset 4
		.amdhsa_reserve_vcc 0
		.amdhsa_reserve_flat_scratch 0
		.amdhsa_float_round_mode_32 0
		.amdhsa_float_round_mode_16_64 0
		.amdhsa_float_denorm_mode_32 3
		.amdhsa_float_denorm_mode_16_64 3
		.amdhsa_dx10_clamp 1
		.amdhsa_ieee_mode 1
		.amdhsa_fp16_overflow 0
		.amdhsa_tg_split 0
		.amdhsa_exception_fp_ieee_invalid_op 0
		.amdhsa_exception_fp_denorm_src 0
		.amdhsa_exception_fp_ieee_div_zero 0
		.amdhsa_exception_fp_ieee_overflow 0
		.amdhsa_exception_fp_ieee_underflow 0
		.amdhsa_exception_fp_ieee_inexact 0
		.amdhsa_exception_int_div_zero 0
	.end_amdhsa_kernel
	.section	.text._ZN7rocprim17ROCPRIM_400000_NS6detail17trampoline_kernelINS0_14default_configENS1_20scan_config_selectorIsEEZZNS1_9scan_implILNS1_25lookback_scan_determinismE0ELb1ELb1ES3_N6thrust23THRUST_200600_302600_NS6detail15normal_iteratorINS9_10device_ptrIsEEEESE_s11max_functorIsEsEEDaPvRmT3_T4_T5_mT6_P12ihipStream_tbENKUlT_T0_E_clISt17integral_constantIbLb0EEST_IbLb1EEEEDaSP_SQ_EUlSP_E0_NS1_11comp_targetILNS1_3genE9ELNS1_11target_archE1100ELNS1_3gpuE3ELNS1_3repE0EEENS1_30default_config_static_selectorELNS0_4arch9wavefront6targetE1EEEvT1_,"axG",@progbits,_ZN7rocprim17ROCPRIM_400000_NS6detail17trampoline_kernelINS0_14default_configENS1_20scan_config_selectorIsEEZZNS1_9scan_implILNS1_25lookback_scan_determinismE0ELb1ELb1ES3_N6thrust23THRUST_200600_302600_NS6detail15normal_iteratorINS9_10device_ptrIsEEEESE_s11max_functorIsEsEEDaPvRmT3_T4_T5_mT6_P12ihipStream_tbENKUlT_T0_E_clISt17integral_constantIbLb0EEST_IbLb1EEEEDaSP_SQ_EUlSP_E0_NS1_11comp_targetILNS1_3genE9ELNS1_11target_archE1100ELNS1_3gpuE3ELNS1_3repE0EEENS1_30default_config_static_selectorELNS0_4arch9wavefront6targetE1EEEvT1_,comdat
.Lfunc_end2988:
	.size	_ZN7rocprim17ROCPRIM_400000_NS6detail17trampoline_kernelINS0_14default_configENS1_20scan_config_selectorIsEEZZNS1_9scan_implILNS1_25lookback_scan_determinismE0ELb1ELb1ES3_N6thrust23THRUST_200600_302600_NS6detail15normal_iteratorINS9_10device_ptrIsEEEESE_s11max_functorIsEsEEDaPvRmT3_T4_T5_mT6_P12ihipStream_tbENKUlT_T0_E_clISt17integral_constantIbLb0EEST_IbLb1EEEEDaSP_SQ_EUlSP_E0_NS1_11comp_targetILNS1_3genE9ELNS1_11target_archE1100ELNS1_3gpuE3ELNS1_3repE0EEENS1_30default_config_static_selectorELNS0_4arch9wavefront6targetE1EEEvT1_, .Lfunc_end2988-_ZN7rocprim17ROCPRIM_400000_NS6detail17trampoline_kernelINS0_14default_configENS1_20scan_config_selectorIsEEZZNS1_9scan_implILNS1_25lookback_scan_determinismE0ELb1ELb1ES3_N6thrust23THRUST_200600_302600_NS6detail15normal_iteratorINS9_10device_ptrIsEEEESE_s11max_functorIsEsEEDaPvRmT3_T4_T5_mT6_P12ihipStream_tbENKUlT_T0_E_clISt17integral_constantIbLb0EEST_IbLb1EEEEDaSP_SQ_EUlSP_E0_NS1_11comp_targetILNS1_3genE9ELNS1_11target_archE1100ELNS1_3gpuE3ELNS1_3repE0EEENS1_30default_config_static_selectorELNS0_4arch9wavefront6targetE1EEEvT1_
                                        ; -- End function
	.section	.AMDGPU.csdata,"",@progbits
; Kernel info:
; codeLenInByte = 0
; NumSgprs: 4
; NumVgprs: 0
; NumAgprs: 0
; TotalNumVgprs: 0
; ScratchSize: 0
; MemoryBound: 0
; FloatMode: 240
; IeeeMode: 1
; LDSByteSize: 0 bytes/workgroup (compile time only)
; SGPRBlocks: 0
; VGPRBlocks: 0
; NumSGPRsForWavesPerEU: 4
; NumVGPRsForWavesPerEU: 1
; AccumOffset: 4
; Occupancy: 8
; WaveLimiterHint : 0
; COMPUTE_PGM_RSRC2:SCRATCH_EN: 0
; COMPUTE_PGM_RSRC2:USER_SGPR: 6
; COMPUTE_PGM_RSRC2:TRAP_HANDLER: 0
; COMPUTE_PGM_RSRC2:TGID_X_EN: 1
; COMPUTE_PGM_RSRC2:TGID_Y_EN: 0
; COMPUTE_PGM_RSRC2:TGID_Z_EN: 0
; COMPUTE_PGM_RSRC2:TIDIG_COMP_CNT: 0
; COMPUTE_PGM_RSRC3_GFX90A:ACCUM_OFFSET: 0
; COMPUTE_PGM_RSRC3_GFX90A:TG_SPLIT: 0
	.section	.text._ZN7rocprim17ROCPRIM_400000_NS6detail17trampoline_kernelINS0_14default_configENS1_20scan_config_selectorIsEEZZNS1_9scan_implILNS1_25lookback_scan_determinismE0ELb1ELb1ES3_N6thrust23THRUST_200600_302600_NS6detail15normal_iteratorINS9_10device_ptrIsEEEESE_s11max_functorIsEsEEDaPvRmT3_T4_T5_mT6_P12ihipStream_tbENKUlT_T0_E_clISt17integral_constantIbLb0EEST_IbLb1EEEEDaSP_SQ_EUlSP_E0_NS1_11comp_targetILNS1_3genE8ELNS1_11target_archE1030ELNS1_3gpuE2ELNS1_3repE0EEENS1_30default_config_static_selectorELNS0_4arch9wavefront6targetE1EEEvT1_,"axG",@progbits,_ZN7rocprim17ROCPRIM_400000_NS6detail17trampoline_kernelINS0_14default_configENS1_20scan_config_selectorIsEEZZNS1_9scan_implILNS1_25lookback_scan_determinismE0ELb1ELb1ES3_N6thrust23THRUST_200600_302600_NS6detail15normal_iteratorINS9_10device_ptrIsEEEESE_s11max_functorIsEsEEDaPvRmT3_T4_T5_mT6_P12ihipStream_tbENKUlT_T0_E_clISt17integral_constantIbLb0EEST_IbLb1EEEEDaSP_SQ_EUlSP_E0_NS1_11comp_targetILNS1_3genE8ELNS1_11target_archE1030ELNS1_3gpuE2ELNS1_3repE0EEENS1_30default_config_static_selectorELNS0_4arch9wavefront6targetE1EEEvT1_,comdat
	.protected	_ZN7rocprim17ROCPRIM_400000_NS6detail17trampoline_kernelINS0_14default_configENS1_20scan_config_selectorIsEEZZNS1_9scan_implILNS1_25lookback_scan_determinismE0ELb1ELb1ES3_N6thrust23THRUST_200600_302600_NS6detail15normal_iteratorINS9_10device_ptrIsEEEESE_s11max_functorIsEsEEDaPvRmT3_T4_T5_mT6_P12ihipStream_tbENKUlT_T0_E_clISt17integral_constantIbLb0EEST_IbLb1EEEEDaSP_SQ_EUlSP_E0_NS1_11comp_targetILNS1_3genE8ELNS1_11target_archE1030ELNS1_3gpuE2ELNS1_3repE0EEENS1_30default_config_static_selectorELNS0_4arch9wavefront6targetE1EEEvT1_ ; -- Begin function _ZN7rocprim17ROCPRIM_400000_NS6detail17trampoline_kernelINS0_14default_configENS1_20scan_config_selectorIsEEZZNS1_9scan_implILNS1_25lookback_scan_determinismE0ELb1ELb1ES3_N6thrust23THRUST_200600_302600_NS6detail15normal_iteratorINS9_10device_ptrIsEEEESE_s11max_functorIsEsEEDaPvRmT3_T4_T5_mT6_P12ihipStream_tbENKUlT_T0_E_clISt17integral_constantIbLb0EEST_IbLb1EEEEDaSP_SQ_EUlSP_E0_NS1_11comp_targetILNS1_3genE8ELNS1_11target_archE1030ELNS1_3gpuE2ELNS1_3repE0EEENS1_30default_config_static_selectorELNS0_4arch9wavefront6targetE1EEEvT1_
	.globl	_ZN7rocprim17ROCPRIM_400000_NS6detail17trampoline_kernelINS0_14default_configENS1_20scan_config_selectorIsEEZZNS1_9scan_implILNS1_25lookback_scan_determinismE0ELb1ELb1ES3_N6thrust23THRUST_200600_302600_NS6detail15normal_iteratorINS9_10device_ptrIsEEEESE_s11max_functorIsEsEEDaPvRmT3_T4_T5_mT6_P12ihipStream_tbENKUlT_T0_E_clISt17integral_constantIbLb0EEST_IbLb1EEEEDaSP_SQ_EUlSP_E0_NS1_11comp_targetILNS1_3genE8ELNS1_11target_archE1030ELNS1_3gpuE2ELNS1_3repE0EEENS1_30default_config_static_selectorELNS0_4arch9wavefront6targetE1EEEvT1_
	.p2align	8
	.type	_ZN7rocprim17ROCPRIM_400000_NS6detail17trampoline_kernelINS0_14default_configENS1_20scan_config_selectorIsEEZZNS1_9scan_implILNS1_25lookback_scan_determinismE0ELb1ELb1ES3_N6thrust23THRUST_200600_302600_NS6detail15normal_iteratorINS9_10device_ptrIsEEEESE_s11max_functorIsEsEEDaPvRmT3_T4_T5_mT6_P12ihipStream_tbENKUlT_T0_E_clISt17integral_constantIbLb0EEST_IbLb1EEEEDaSP_SQ_EUlSP_E0_NS1_11comp_targetILNS1_3genE8ELNS1_11target_archE1030ELNS1_3gpuE2ELNS1_3repE0EEENS1_30default_config_static_selectorELNS0_4arch9wavefront6targetE1EEEvT1_,@function
_ZN7rocprim17ROCPRIM_400000_NS6detail17trampoline_kernelINS0_14default_configENS1_20scan_config_selectorIsEEZZNS1_9scan_implILNS1_25lookback_scan_determinismE0ELb1ELb1ES3_N6thrust23THRUST_200600_302600_NS6detail15normal_iteratorINS9_10device_ptrIsEEEESE_s11max_functorIsEsEEDaPvRmT3_T4_T5_mT6_P12ihipStream_tbENKUlT_T0_E_clISt17integral_constantIbLb0EEST_IbLb1EEEEDaSP_SQ_EUlSP_E0_NS1_11comp_targetILNS1_3genE8ELNS1_11target_archE1030ELNS1_3gpuE2ELNS1_3repE0EEENS1_30default_config_static_selectorELNS0_4arch9wavefront6targetE1EEEvT1_: ; @_ZN7rocprim17ROCPRIM_400000_NS6detail17trampoline_kernelINS0_14default_configENS1_20scan_config_selectorIsEEZZNS1_9scan_implILNS1_25lookback_scan_determinismE0ELb1ELb1ES3_N6thrust23THRUST_200600_302600_NS6detail15normal_iteratorINS9_10device_ptrIsEEEESE_s11max_functorIsEsEEDaPvRmT3_T4_T5_mT6_P12ihipStream_tbENKUlT_T0_E_clISt17integral_constantIbLb0EEST_IbLb1EEEEDaSP_SQ_EUlSP_E0_NS1_11comp_targetILNS1_3genE8ELNS1_11target_archE1030ELNS1_3gpuE2ELNS1_3repE0EEENS1_30default_config_static_selectorELNS0_4arch9wavefront6targetE1EEEvT1_
; %bb.0:
	.section	.rodata,"a",@progbits
	.p2align	6, 0x0
	.amdhsa_kernel _ZN7rocprim17ROCPRIM_400000_NS6detail17trampoline_kernelINS0_14default_configENS1_20scan_config_selectorIsEEZZNS1_9scan_implILNS1_25lookback_scan_determinismE0ELb1ELb1ES3_N6thrust23THRUST_200600_302600_NS6detail15normal_iteratorINS9_10device_ptrIsEEEESE_s11max_functorIsEsEEDaPvRmT3_T4_T5_mT6_P12ihipStream_tbENKUlT_T0_E_clISt17integral_constantIbLb0EEST_IbLb1EEEEDaSP_SQ_EUlSP_E0_NS1_11comp_targetILNS1_3genE8ELNS1_11target_archE1030ELNS1_3gpuE2ELNS1_3repE0EEENS1_30default_config_static_selectorELNS0_4arch9wavefront6targetE1EEEvT1_
		.amdhsa_group_segment_fixed_size 0
		.amdhsa_private_segment_fixed_size 0
		.amdhsa_kernarg_size 32
		.amdhsa_user_sgpr_count 6
		.amdhsa_user_sgpr_private_segment_buffer 1
		.amdhsa_user_sgpr_dispatch_ptr 0
		.amdhsa_user_sgpr_queue_ptr 0
		.amdhsa_user_sgpr_kernarg_segment_ptr 1
		.amdhsa_user_sgpr_dispatch_id 0
		.amdhsa_user_sgpr_flat_scratch_init 0
		.amdhsa_user_sgpr_kernarg_preload_length 0
		.amdhsa_user_sgpr_kernarg_preload_offset 0
		.amdhsa_user_sgpr_private_segment_size 0
		.amdhsa_uses_dynamic_stack 0
		.amdhsa_system_sgpr_private_segment_wavefront_offset 0
		.amdhsa_system_sgpr_workgroup_id_x 1
		.amdhsa_system_sgpr_workgroup_id_y 0
		.amdhsa_system_sgpr_workgroup_id_z 0
		.amdhsa_system_sgpr_workgroup_info 0
		.amdhsa_system_vgpr_workitem_id 0
		.amdhsa_next_free_vgpr 1
		.amdhsa_next_free_sgpr 0
		.amdhsa_accum_offset 4
		.amdhsa_reserve_vcc 0
		.amdhsa_reserve_flat_scratch 0
		.amdhsa_float_round_mode_32 0
		.amdhsa_float_round_mode_16_64 0
		.amdhsa_float_denorm_mode_32 3
		.amdhsa_float_denorm_mode_16_64 3
		.amdhsa_dx10_clamp 1
		.amdhsa_ieee_mode 1
		.amdhsa_fp16_overflow 0
		.amdhsa_tg_split 0
		.amdhsa_exception_fp_ieee_invalid_op 0
		.amdhsa_exception_fp_denorm_src 0
		.amdhsa_exception_fp_ieee_div_zero 0
		.amdhsa_exception_fp_ieee_overflow 0
		.amdhsa_exception_fp_ieee_underflow 0
		.amdhsa_exception_fp_ieee_inexact 0
		.amdhsa_exception_int_div_zero 0
	.end_amdhsa_kernel
	.section	.text._ZN7rocprim17ROCPRIM_400000_NS6detail17trampoline_kernelINS0_14default_configENS1_20scan_config_selectorIsEEZZNS1_9scan_implILNS1_25lookback_scan_determinismE0ELb1ELb1ES3_N6thrust23THRUST_200600_302600_NS6detail15normal_iteratorINS9_10device_ptrIsEEEESE_s11max_functorIsEsEEDaPvRmT3_T4_T5_mT6_P12ihipStream_tbENKUlT_T0_E_clISt17integral_constantIbLb0EEST_IbLb1EEEEDaSP_SQ_EUlSP_E0_NS1_11comp_targetILNS1_3genE8ELNS1_11target_archE1030ELNS1_3gpuE2ELNS1_3repE0EEENS1_30default_config_static_selectorELNS0_4arch9wavefront6targetE1EEEvT1_,"axG",@progbits,_ZN7rocprim17ROCPRIM_400000_NS6detail17trampoline_kernelINS0_14default_configENS1_20scan_config_selectorIsEEZZNS1_9scan_implILNS1_25lookback_scan_determinismE0ELb1ELb1ES3_N6thrust23THRUST_200600_302600_NS6detail15normal_iteratorINS9_10device_ptrIsEEEESE_s11max_functorIsEsEEDaPvRmT3_T4_T5_mT6_P12ihipStream_tbENKUlT_T0_E_clISt17integral_constantIbLb0EEST_IbLb1EEEEDaSP_SQ_EUlSP_E0_NS1_11comp_targetILNS1_3genE8ELNS1_11target_archE1030ELNS1_3gpuE2ELNS1_3repE0EEENS1_30default_config_static_selectorELNS0_4arch9wavefront6targetE1EEEvT1_,comdat
.Lfunc_end2989:
	.size	_ZN7rocprim17ROCPRIM_400000_NS6detail17trampoline_kernelINS0_14default_configENS1_20scan_config_selectorIsEEZZNS1_9scan_implILNS1_25lookback_scan_determinismE0ELb1ELb1ES3_N6thrust23THRUST_200600_302600_NS6detail15normal_iteratorINS9_10device_ptrIsEEEESE_s11max_functorIsEsEEDaPvRmT3_T4_T5_mT6_P12ihipStream_tbENKUlT_T0_E_clISt17integral_constantIbLb0EEST_IbLb1EEEEDaSP_SQ_EUlSP_E0_NS1_11comp_targetILNS1_3genE8ELNS1_11target_archE1030ELNS1_3gpuE2ELNS1_3repE0EEENS1_30default_config_static_selectorELNS0_4arch9wavefront6targetE1EEEvT1_, .Lfunc_end2989-_ZN7rocprim17ROCPRIM_400000_NS6detail17trampoline_kernelINS0_14default_configENS1_20scan_config_selectorIsEEZZNS1_9scan_implILNS1_25lookback_scan_determinismE0ELb1ELb1ES3_N6thrust23THRUST_200600_302600_NS6detail15normal_iteratorINS9_10device_ptrIsEEEESE_s11max_functorIsEsEEDaPvRmT3_T4_T5_mT6_P12ihipStream_tbENKUlT_T0_E_clISt17integral_constantIbLb0EEST_IbLb1EEEEDaSP_SQ_EUlSP_E0_NS1_11comp_targetILNS1_3genE8ELNS1_11target_archE1030ELNS1_3gpuE2ELNS1_3repE0EEENS1_30default_config_static_selectorELNS0_4arch9wavefront6targetE1EEEvT1_
                                        ; -- End function
	.section	.AMDGPU.csdata,"",@progbits
; Kernel info:
; codeLenInByte = 0
; NumSgprs: 4
; NumVgprs: 0
; NumAgprs: 0
; TotalNumVgprs: 0
; ScratchSize: 0
; MemoryBound: 0
; FloatMode: 240
; IeeeMode: 1
; LDSByteSize: 0 bytes/workgroup (compile time only)
; SGPRBlocks: 0
; VGPRBlocks: 0
; NumSGPRsForWavesPerEU: 4
; NumVGPRsForWavesPerEU: 1
; AccumOffset: 4
; Occupancy: 8
; WaveLimiterHint : 0
; COMPUTE_PGM_RSRC2:SCRATCH_EN: 0
; COMPUTE_PGM_RSRC2:USER_SGPR: 6
; COMPUTE_PGM_RSRC2:TRAP_HANDLER: 0
; COMPUTE_PGM_RSRC2:TGID_X_EN: 1
; COMPUTE_PGM_RSRC2:TGID_Y_EN: 0
; COMPUTE_PGM_RSRC2:TGID_Z_EN: 0
; COMPUTE_PGM_RSRC2:TIDIG_COMP_CNT: 0
; COMPUTE_PGM_RSRC3_GFX90A:ACCUM_OFFSET: 0
; COMPUTE_PGM_RSRC3_GFX90A:TG_SPLIT: 0
	.section	.text._ZN7rocprim17ROCPRIM_400000_NS6detail17trampoline_kernelINS0_14default_configENS1_20scan_config_selectorIdEEZZNS1_9scan_implILNS1_25lookback_scan_determinismE0ELb0ELb0ES3_N6thrust23THRUST_200600_302600_NS6detail15normal_iteratorINS9_10device_ptrIdEEEENS9_16discard_iteratorINS9_11use_defaultEEEd11max_functorIdEdEEDaPvRmT3_T4_T5_mT6_P12ihipStream_tbENKUlT_T0_E_clISt17integral_constantIbLb0EESX_EEDaSS_ST_EUlSS_E_NS1_11comp_targetILNS1_3genE0ELNS1_11target_archE4294967295ELNS1_3gpuE0ELNS1_3repE0EEENS1_30default_config_static_selectorELNS0_4arch9wavefront6targetE1EEEvT1_,"axG",@progbits,_ZN7rocprim17ROCPRIM_400000_NS6detail17trampoline_kernelINS0_14default_configENS1_20scan_config_selectorIdEEZZNS1_9scan_implILNS1_25lookback_scan_determinismE0ELb0ELb0ES3_N6thrust23THRUST_200600_302600_NS6detail15normal_iteratorINS9_10device_ptrIdEEEENS9_16discard_iteratorINS9_11use_defaultEEEd11max_functorIdEdEEDaPvRmT3_T4_T5_mT6_P12ihipStream_tbENKUlT_T0_E_clISt17integral_constantIbLb0EESX_EEDaSS_ST_EUlSS_E_NS1_11comp_targetILNS1_3genE0ELNS1_11target_archE4294967295ELNS1_3gpuE0ELNS1_3repE0EEENS1_30default_config_static_selectorELNS0_4arch9wavefront6targetE1EEEvT1_,comdat
	.protected	_ZN7rocprim17ROCPRIM_400000_NS6detail17trampoline_kernelINS0_14default_configENS1_20scan_config_selectorIdEEZZNS1_9scan_implILNS1_25lookback_scan_determinismE0ELb0ELb0ES3_N6thrust23THRUST_200600_302600_NS6detail15normal_iteratorINS9_10device_ptrIdEEEENS9_16discard_iteratorINS9_11use_defaultEEEd11max_functorIdEdEEDaPvRmT3_T4_T5_mT6_P12ihipStream_tbENKUlT_T0_E_clISt17integral_constantIbLb0EESX_EEDaSS_ST_EUlSS_E_NS1_11comp_targetILNS1_3genE0ELNS1_11target_archE4294967295ELNS1_3gpuE0ELNS1_3repE0EEENS1_30default_config_static_selectorELNS0_4arch9wavefront6targetE1EEEvT1_ ; -- Begin function _ZN7rocprim17ROCPRIM_400000_NS6detail17trampoline_kernelINS0_14default_configENS1_20scan_config_selectorIdEEZZNS1_9scan_implILNS1_25lookback_scan_determinismE0ELb0ELb0ES3_N6thrust23THRUST_200600_302600_NS6detail15normal_iteratorINS9_10device_ptrIdEEEENS9_16discard_iteratorINS9_11use_defaultEEEd11max_functorIdEdEEDaPvRmT3_T4_T5_mT6_P12ihipStream_tbENKUlT_T0_E_clISt17integral_constantIbLb0EESX_EEDaSS_ST_EUlSS_E_NS1_11comp_targetILNS1_3genE0ELNS1_11target_archE4294967295ELNS1_3gpuE0ELNS1_3repE0EEENS1_30default_config_static_selectorELNS0_4arch9wavefront6targetE1EEEvT1_
	.globl	_ZN7rocprim17ROCPRIM_400000_NS6detail17trampoline_kernelINS0_14default_configENS1_20scan_config_selectorIdEEZZNS1_9scan_implILNS1_25lookback_scan_determinismE0ELb0ELb0ES3_N6thrust23THRUST_200600_302600_NS6detail15normal_iteratorINS9_10device_ptrIdEEEENS9_16discard_iteratorINS9_11use_defaultEEEd11max_functorIdEdEEDaPvRmT3_T4_T5_mT6_P12ihipStream_tbENKUlT_T0_E_clISt17integral_constantIbLb0EESX_EEDaSS_ST_EUlSS_E_NS1_11comp_targetILNS1_3genE0ELNS1_11target_archE4294967295ELNS1_3gpuE0ELNS1_3repE0EEENS1_30default_config_static_selectorELNS0_4arch9wavefront6targetE1EEEvT1_
	.p2align	8
	.type	_ZN7rocprim17ROCPRIM_400000_NS6detail17trampoline_kernelINS0_14default_configENS1_20scan_config_selectorIdEEZZNS1_9scan_implILNS1_25lookback_scan_determinismE0ELb0ELb0ES3_N6thrust23THRUST_200600_302600_NS6detail15normal_iteratorINS9_10device_ptrIdEEEENS9_16discard_iteratorINS9_11use_defaultEEEd11max_functorIdEdEEDaPvRmT3_T4_T5_mT6_P12ihipStream_tbENKUlT_T0_E_clISt17integral_constantIbLb0EESX_EEDaSS_ST_EUlSS_E_NS1_11comp_targetILNS1_3genE0ELNS1_11target_archE4294967295ELNS1_3gpuE0ELNS1_3repE0EEENS1_30default_config_static_selectorELNS0_4arch9wavefront6targetE1EEEvT1_,@function
_ZN7rocprim17ROCPRIM_400000_NS6detail17trampoline_kernelINS0_14default_configENS1_20scan_config_selectorIdEEZZNS1_9scan_implILNS1_25lookback_scan_determinismE0ELb0ELb0ES3_N6thrust23THRUST_200600_302600_NS6detail15normal_iteratorINS9_10device_ptrIdEEEENS9_16discard_iteratorINS9_11use_defaultEEEd11max_functorIdEdEEDaPvRmT3_T4_T5_mT6_P12ihipStream_tbENKUlT_T0_E_clISt17integral_constantIbLb0EESX_EEDaSS_ST_EUlSS_E_NS1_11comp_targetILNS1_3genE0ELNS1_11target_archE4294967295ELNS1_3gpuE0ELNS1_3repE0EEENS1_30default_config_static_selectorELNS0_4arch9wavefront6targetE1EEEvT1_: ; @_ZN7rocprim17ROCPRIM_400000_NS6detail17trampoline_kernelINS0_14default_configENS1_20scan_config_selectorIdEEZZNS1_9scan_implILNS1_25lookback_scan_determinismE0ELb0ELb0ES3_N6thrust23THRUST_200600_302600_NS6detail15normal_iteratorINS9_10device_ptrIdEEEENS9_16discard_iteratorINS9_11use_defaultEEEd11max_functorIdEdEEDaPvRmT3_T4_T5_mT6_P12ihipStream_tbENKUlT_T0_E_clISt17integral_constantIbLb0EESX_EEDaSS_ST_EUlSS_E_NS1_11comp_targetILNS1_3genE0ELNS1_11target_archE4294967295ELNS1_3gpuE0ELNS1_3repE0EEENS1_30default_config_static_selectorELNS0_4arch9wavefront6targetE1EEEvT1_
; %bb.0:
	.section	.rodata,"a",@progbits
	.p2align	6, 0x0
	.amdhsa_kernel _ZN7rocprim17ROCPRIM_400000_NS6detail17trampoline_kernelINS0_14default_configENS1_20scan_config_selectorIdEEZZNS1_9scan_implILNS1_25lookback_scan_determinismE0ELb0ELb0ES3_N6thrust23THRUST_200600_302600_NS6detail15normal_iteratorINS9_10device_ptrIdEEEENS9_16discard_iteratorINS9_11use_defaultEEEd11max_functorIdEdEEDaPvRmT3_T4_T5_mT6_P12ihipStream_tbENKUlT_T0_E_clISt17integral_constantIbLb0EESX_EEDaSS_ST_EUlSS_E_NS1_11comp_targetILNS1_3genE0ELNS1_11target_archE4294967295ELNS1_3gpuE0ELNS1_3repE0EEENS1_30default_config_static_selectorELNS0_4arch9wavefront6targetE1EEEvT1_
		.amdhsa_group_segment_fixed_size 0
		.amdhsa_private_segment_fixed_size 0
		.amdhsa_kernarg_size 112
		.amdhsa_user_sgpr_count 6
		.amdhsa_user_sgpr_private_segment_buffer 1
		.amdhsa_user_sgpr_dispatch_ptr 0
		.amdhsa_user_sgpr_queue_ptr 0
		.amdhsa_user_sgpr_kernarg_segment_ptr 1
		.amdhsa_user_sgpr_dispatch_id 0
		.amdhsa_user_sgpr_flat_scratch_init 0
		.amdhsa_user_sgpr_kernarg_preload_length 0
		.amdhsa_user_sgpr_kernarg_preload_offset 0
		.amdhsa_user_sgpr_private_segment_size 0
		.amdhsa_uses_dynamic_stack 0
		.amdhsa_system_sgpr_private_segment_wavefront_offset 0
		.amdhsa_system_sgpr_workgroup_id_x 1
		.amdhsa_system_sgpr_workgroup_id_y 0
		.amdhsa_system_sgpr_workgroup_id_z 0
		.amdhsa_system_sgpr_workgroup_info 0
		.amdhsa_system_vgpr_workitem_id 0
		.amdhsa_next_free_vgpr 1
		.amdhsa_next_free_sgpr 0
		.amdhsa_accum_offset 4
		.amdhsa_reserve_vcc 0
		.amdhsa_reserve_flat_scratch 0
		.amdhsa_float_round_mode_32 0
		.amdhsa_float_round_mode_16_64 0
		.amdhsa_float_denorm_mode_32 3
		.amdhsa_float_denorm_mode_16_64 3
		.amdhsa_dx10_clamp 1
		.amdhsa_ieee_mode 1
		.amdhsa_fp16_overflow 0
		.amdhsa_tg_split 0
		.amdhsa_exception_fp_ieee_invalid_op 0
		.amdhsa_exception_fp_denorm_src 0
		.amdhsa_exception_fp_ieee_div_zero 0
		.amdhsa_exception_fp_ieee_overflow 0
		.amdhsa_exception_fp_ieee_underflow 0
		.amdhsa_exception_fp_ieee_inexact 0
		.amdhsa_exception_int_div_zero 0
	.end_amdhsa_kernel
	.section	.text._ZN7rocprim17ROCPRIM_400000_NS6detail17trampoline_kernelINS0_14default_configENS1_20scan_config_selectorIdEEZZNS1_9scan_implILNS1_25lookback_scan_determinismE0ELb0ELb0ES3_N6thrust23THRUST_200600_302600_NS6detail15normal_iteratorINS9_10device_ptrIdEEEENS9_16discard_iteratorINS9_11use_defaultEEEd11max_functorIdEdEEDaPvRmT3_T4_T5_mT6_P12ihipStream_tbENKUlT_T0_E_clISt17integral_constantIbLb0EESX_EEDaSS_ST_EUlSS_E_NS1_11comp_targetILNS1_3genE0ELNS1_11target_archE4294967295ELNS1_3gpuE0ELNS1_3repE0EEENS1_30default_config_static_selectorELNS0_4arch9wavefront6targetE1EEEvT1_,"axG",@progbits,_ZN7rocprim17ROCPRIM_400000_NS6detail17trampoline_kernelINS0_14default_configENS1_20scan_config_selectorIdEEZZNS1_9scan_implILNS1_25lookback_scan_determinismE0ELb0ELb0ES3_N6thrust23THRUST_200600_302600_NS6detail15normal_iteratorINS9_10device_ptrIdEEEENS9_16discard_iteratorINS9_11use_defaultEEEd11max_functorIdEdEEDaPvRmT3_T4_T5_mT6_P12ihipStream_tbENKUlT_T0_E_clISt17integral_constantIbLb0EESX_EEDaSS_ST_EUlSS_E_NS1_11comp_targetILNS1_3genE0ELNS1_11target_archE4294967295ELNS1_3gpuE0ELNS1_3repE0EEENS1_30default_config_static_selectorELNS0_4arch9wavefront6targetE1EEEvT1_,comdat
.Lfunc_end2990:
	.size	_ZN7rocprim17ROCPRIM_400000_NS6detail17trampoline_kernelINS0_14default_configENS1_20scan_config_selectorIdEEZZNS1_9scan_implILNS1_25lookback_scan_determinismE0ELb0ELb0ES3_N6thrust23THRUST_200600_302600_NS6detail15normal_iteratorINS9_10device_ptrIdEEEENS9_16discard_iteratorINS9_11use_defaultEEEd11max_functorIdEdEEDaPvRmT3_T4_T5_mT6_P12ihipStream_tbENKUlT_T0_E_clISt17integral_constantIbLb0EESX_EEDaSS_ST_EUlSS_E_NS1_11comp_targetILNS1_3genE0ELNS1_11target_archE4294967295ELNS1_3gpuE0ELNS1_3repE0EEENS1_30default_config_static_selectorELNS0_4arch9wavefront6targetE1EEEvT1_, .Lfunc_end2990-_ZN7rocprim17ROCPRIM_400000_NS6detail17trampoline_kernelINS0_14default_configENS1_20scan_config_selectorIdEEZZNS1_9scan_implILNS1_25lookback_scan_determinismE0ELb0ELb0ES3_N6thrust23THRUST_200600_302600_NS6detail15normal_iteratorINS9_10device_ptrIdEEEENS9_16discard_iteratorINS9_11use_defaultEEEd11max_functorIdEdEEDaPvRmT3_T4_T5_mT6_P12ihipStream_tbENKUlT_T0_E_clISt17integral_constantIbLb0EESX_EEDaSS_ST_EUlSS_E_NS1_11comp_targetILNS1_3genE0ELNS1_11target_archE4294967295ELNS1_3gpuE0ELNS1_3repE0EEENS1_30default_config_static_selectorELNS0_4arch9wavefront6targetE1EEEvT1_
                                        ; -- End function
	.section	.AMDGPU.csdata,"",@progbits
; Kernel info:
; codeLenInByte = 0
; NumSgprs: 4
; NumVgprs: 0
; NumAgprs: 0
; TotalNumVgprs: 0
; ScratchSize: 0
; MemoryBound: 0
; FloatMode: 240
; IeeeMode: 1
; LDSByteSize: 0 bytes/workgroup (compile time only)
; SGPRBlocks: 0
; VGPRBlocks: 0
; NumSGPRsForWavesPerEU: 4
; NumVGPRsForWavesPerEU: 1
; AccumOffset: 4
; Occupancy: 8
; WaveLimiterHint : 0
; COMPUTE_PGM_RSRC2:SCRATCH_EN: 0
; COMPUTE_PGM_RSRC2:USER_SGPR: 6
; COMPUTE_PGM_RSRC2:TRAP_HANDLER: 0
; COMPUTE_PGM_RSRC2:TGID_X_EN: 1
; COMPUTE_PGM_RSRC2:TGID_Y_EN: 0
; COMPUTE_PGM_RSRC2:TGID_Z_EN: 0
; COMPUTE_PGM_RSRC2:TIDIG_COMP_CNT: 0
; COMPUTE_PGM_RSRC3_GFX90A:ACCUM_OFFSET: 0
; COMPUTE_PGM_RSRC3_GFX90A:TG_SPLIT: 0
	.section	.text._ZN7rocprim17ROCPRIM_400000_NS6detail17trampoline_kernelINS0_14default_configENS1_20scan_config_selectorIdEEZZNS1_9scan_implILNS1_25lookback_scan_determinismE0ELb0ELb0ES3_N6thrust23THRUST_200600_302600_NS6detail15normal_iteratorINS9_10device_ptrIdEEEENS9_16discard_iteratorINS9_11use_defaultEEEd11max_functorIdEdEEDaPvRmT3_T4_T5_mT6_P12ihipStream_tbENKUlT_T0_E_clISt17integral_constantIbLb0EESX_EEDaSS_ST_EUlSS_E_NS1_11comp_targetILNS1_3genE5ELNS1_11target_archE942ELNS1_3gpuE9ELNS1_3repE0EEENS1_30default_config_static_selectorELNS0_4arch9wavefront6targetE1EEEvT1_,"axG",@progbits,_ZN7rocprim17ROCPRIM_400000_NS6detail17trampoline_kernelINS0_14default_configENS1_20scan_config_selectorIdEEZZNS1_9scan_implILNS1_25lookback_scan_determinismE0ELb0ELb0ES3_N6thrust23THRUST_200600_302600_NS6detail15normal_iteratorINS9_10device_ptrIdEEEENS9_16discard_iteratorINS9_11use_defaultEEEd11max_functorIdEdEEDaPvRmT3_T4_T5_mT6_P12ihipStream_tbENKUlT_T0_E_clISt17integral_constantIbLb0EESX_EEDaSS_ST_EUlSS_E_NS1_11comp_targetILNS1_3genE5ELNS1_11target_archE942ELNS1_3gpuE9ELNS1_3repE0EEENS1_30default_config_static_selectorELNS0_4arch9wavefront6targetE1EEEvT1_,comdat
	.protected	_ZN7rocprim17ROCPRIM_400000_NS6detail17trampoline_kernelINS0_14default_configENS1_20scan_config_selectorIdEEZZNS1_9scan_implILNS1_25lookback_scan_determinismE0ELb0ELb0ES3_N6thrust23THRUST_200600_302600_NS6detail15normal_iteratorINS9_10device_ptrIdEEEENS9_16discard_iteratorINS9_11use_defaultEEEd11max_functorIdEdEEDaPvRmT3_T4_T5_mT6_P12ihipStream_tbENKUlT_T0_E_clISt17integral_constantIbLb0EESX_EEDaSS_ST_EUlSS_E_NS1_11comp_targetILNS1_3genE5ELNS1_11target_archE942ELNS1_3gpuE9ELNS1_3repE0EEENS1_30default_config_static_selectorELNS0_4arch9wavefront6targetE1EEEvT1_ ; -- Begin function _ZN7rocprim17ROCPRIM_400000_NS6detail17trampoline_kernelINS0_14default_configENS1_20scan_config_selectorIdEEZZNS1_9scan_implILNS1_25lookback_scan_determinismE0ELb0ELb0ES3_N6thrust23THRUST_200600_302600_NS6detail15normal_iteratorINS9_10device_ptrIdEEEENS9_16discard_iteratorINS9_11use_defaultEEEd11max_functorIdEdEEDaPvRmT3_T4_T5_mT6_P12ihipStream_tbENKUlT_T0_E_clISt17integral_constantIbLb0EESX_EEDaSS_ST_EUlSS_E_NS1_11comp_targetILNS1_3genE5ELNS1_11target_archE942ELNS1_3gpuE9ELNS1_3repE0EEENS1_30default_config_static_selectorELNS0_4arch9wavefront6targetE1EEEvT1_
	.globl	_ZN7rocprim17ROCPRIM_400000_NS6detail17trampoline_kernelINS0_14default_configENS1_20scan_config_selectorIdEEZZNS1_9scan_implILNS1_25lookback_scan_determinismE0ELb0ELb0ES3_N6thrust23THRUST_200600_302600_NS6detail15normal_iteratorINS9_10device_ptrIdEEEENS9_16discard_iteratorINS9_11use_defaultEEEd11max_functorIdEdEEDaPvRmT3_T4_T5_mT6_P12ihipStream_tbENKUlT_T0_E_clISt17integral_constantIbLb0EESX_EEDaSS_ST_EUlSS_E_NS1_11comp_targetILNS1_3genE5ELNS1_11target_archE942ELNS1_3gpuE9ELNS1_3repE0EEENS1_30default_config_static_selectorELNS0_4arch9wavefront6targetE1EEEvT1_
	.p2align	8
	.type	_ZN7rocprim17ROCPRIM_400000_NS6detail17trampoline_kernelINS0_14default_configENS1_20scan_config_selectorIdEEZZNS1_9scan_implILNS1_25lookback_scan_determinismE0ELb0ELb0ES3_N6thrust23THRUST_200600_302600_NS6detail15normal_iteratorINS9_10device_ptrIdEEEENS9_16discard_iteratorINS9_11use_defaultEEEd11max_functorIdEdEEDaPvRmT3_T4_T5_mT6_P12ihipStream_tbENKUlT_T0_E_clISt17integral_constantIbLb0EESX_EEDaSS_ST_EUlSS_E_NS1_11comp_targetILNS1_3genE5ELNS1_11target_archE942ELNS1_3gpuE9ELNS1_3repE0EEENS1_30default_config_static_selectorELNS0_4arch9wavefront6targetE1EEEvT1_,@function
_ZN7rocprim17ROCPRIM_400000_NS6detail17trampoline_kernelINS0_14default_configENS1_20scan_config_selectorIdEEZZNS1_9scan_implILNS1_25lookback_scan_determinismE0ELb0ELb0ES3_N6thrust23THRUST_200600_302600_NS6detail15normal_iteratorINS9_10device_ptrIdEEEENS9_16discard_iteratorINS9_11use_defaultEEEd11max_functorIdEdEEDaPvRmT3_T4_T5_mT6_P12ihipStream_tbENKUlT_T0_E_clISt17integral_constantIbLb0EESX_EEDaSS_ST_EUlSS_E_NS1_11comp_targetILNS1_3genE5ELNS1_11target_archE942ELNS1_3gpuE9ELNS1_3repE0EEENS1_30default_config_static_selectorELNS0_4arch9wavefront6targetE1EEEvT1_: ; @_ZN7rocprim17ROCPRIM_400000_NS6detail17trampoline_kernelINS0_14default_configENS1_20scan_config_selectorIdEEZZNS1_9scan_implILNS1_25lookback_scan_determinismE0ELb0ELb0ES3_N6thrust23THRUST_200600_302600_NS6detail15normal_iteratorINS9_10device_ptrIdEEEENS9_16discard_iteratorINS9_11use_defaultEEEd11max_functorIdEdEEDaPvRmT3_T4_T5_mT6_P12ihipStream_tbENKUlT_T0_E_clISt17integral_constantIbLb0EESX_EEDaSS_ST_EUlSS_E_NS1_11comp_targetILNS1_3genE5ELNS1_11target_archE942ELNS1_3gpuE9ELNS1_3repE0EEENS1_30default_config_static_selectorELNS0_4arch9wavefront6targetE1EEEvT1_
; %bb.0:
	.section	.rodata,"a",@progbits
	.p2align	6, 0x0
	.amdhsa_kernel _ZN7rocprim17ROCPRIM_400000_NS6detail17trampoline_kernelINS0_14default_configENS1_20scan_config_selectorIdEEZZNS1_9scan_implILNS1_25lookback_scan_determinismE0ELb0ELb0ES3_N6thrust23THRUST_200600_302600_NS6detail15normal_iteratorINS9_10device_ptrIdEEEENS9_16discard_iteratorINS9_11use_defaultEEEd11max_functorIdEdEEDaPvRmT3_T4_T5_mT6_P12ihipStream_tbENKUlT_T0_E_clISt17integral_constantIbLb0EESX_EEDaSS_ST_EUlSS_E_NS1_11comp_targetILNS1_3genE5ELNS1_11target_archE942ELNS1_3gpuE9ELNS1_3repE0EEENS1_30default_config_static_selectorELNS0_4arch9wavefront6targetE1EEEvT1_
		.amdhsa_group_segment_fixed_size 0
		.amdhsa_private_segment_fixed_size 0
		.amdhsa_kernarg_size 112
		.amdhsa_user_sgpr_count 6
		.amdhsa_user_sgpr_private_segment_buffer 1
		.amdhsa_user_sgpr_dispatch_ptr 0
		.amdhsa_user_sgpr_queue_ptr 0
		.amdhsa_user_sgpr_kernarg_segment_ptr 1
		.amdhsa_user_sgpr_dispatch_id 0
		.amdhsa_user_sgpr_flat_scratch_init 0
		.amdhsa_user_sgpr_kernarg_preload_length 0
		.amdhsa_user_sgpr_kernarg_preload_offset 0
		.amdhsa_user_sgpr_private_segment_size 0
		.amdhsa_uses_dynamic_stack 0
		.amdhsa_system_sgpr_private_segment_wavefront_offset 0
		.amdhsa_system_sgpr_workgroup_id_x 1
		.amdhsa_system_sgpr_workgroup_id_y 0
		.amdhsa_system_sgpr_workgroup_id_z 0
		.amdhsa_system_sgpr_workgroup_info 0
		.amdhsa_system_vgpr_workitem_id 0
		.amdhsa_next_free_vgpr 1
		.amdhsa_next_free_sgpr 0
		.amdhsa_accum_offset 4
		.amdhsa_reserve_vcc 0
		.amdhsa_reserve_flat_scratch 0
		.amdhsa_float_round_mode_32 0
		.amdhsa_float_round_mode_16_64 0
		.amdhsa_float_denorm_mode_32 3
		.amdhsa_float_denorm_mode_16_64 3
		.amdhsa_dx10_clamp 1
		.amdhsa_ieee_mode 1
		.amdhsa_fp16_overflow 0
		.amdhsa_tg_split 0
		.amdhsa_exception_fp_ieee_invalid_op 0
		.amdhsa_exception_fp_denorm_src 0
		.amdhsa_exception_fp_ieee_div_zero 0
		.amdhsa_exception_fp_ieee_overflow 0
		.amdhsa_exception_fp_ieee_underflow 0
		.amdhsa_exception_fp_ieee_inexact 0
		.amdhsa_exception_int_div_zero 0
	.end_amdhsa_kernel
	.section	.text._ZN7rocprim17ROCPRIM_400000_NS6detail17trampoline_kernelINS0_14default_configENS1_20scan_config_selectorIdEEZZNS1_9scan_implILNS1_25lookback_scan_determinismE0ELb0ELb0ES3_N6thrust23THRUST_200600_302600_NS6detail15normal_iteratorINS9_10device_ptrIdEEEENS9_16discard_iteratorINS9_11use_defaultEEEd11max_functorIdEdEEDaPvRmT3_T4_T5_mT6_P12ihipStream_tbENKUlT_T0_E_clISt17integral_constantIbLb0EESX_EEDaSS_ST_EUlSS_E_NS1_11comp_targetILNS1_3genE5ELNS1_11target_archE942ELNS1_3gpuE9ELNS1_3repE0EEENS1_30default_config_static_selectorELNS0_4arch9wavefront6targetE1EEEvT1_,"axG",@progbits,_ZN7rocprim17ROCPRIM_400000_NS6detail17trampoline_kernelINS0_14default_configENS1_20scan_config_selectorIdEEZZNS1_9scan_implILNS1_25lookback_scan_determinismE0ELb0ELb0ES3_N6thrust23THRUST_200600_302600_NS6detail15normal_iteratorINS9_10device_ptrIdEEEENS9_16discard_iteratorINS9_11use_defaultEEEd11max_functorIdEdEEDaPvRmT3_T4_T5_mT6_P12ihipStream_tbENKUlT_T0_E_clISt17integral_constantIbLb0EESX_EEDaSS_ST_EUlSS_E_NS1_11comp_targetILNS1_3genE5ELNS1_11target_archE942ELNS1_3gpuE9ELNS1_3repE0EEENS1_30default_config_static_selectorELNS0_4arch9wavefront6targetE1EEEvT1_,comdat
.Lfunc_end2991:
	.size	_ZN7rocprim17ROCPRIM_400000_NS6detail17trampoline_kernelINS0_14default_configENS1_20scan_config_selectorIdEEZZNS1_9scan_implILNS1_25lookback_scan_determinismE0ELb0ELb0ES3_N6thrust23THRUST_200600_302600_NS6detail15normal_iteratorINS9_10device_ptrIdEEEENS9_16discard_iteratorINS9_11use_defaultEEEd11max_functorIdEdEEDaPvRmT3_T4_T5_mT6_P12ihipStream_tbENKUlT_T0_E_clISt17integral_constantIbLb0EESX_EEDaSS_ST_EUlSS_E_NS1_11comp_targetILNS1_3genE5ELNS1_11target_archE942ELNS1_3gpuE9ELNS1_3repE0EEENS1_30default_config_static_selectorELNS0_4arch9wavefront6targetE1EEEvT1_, .Lfunc_end2991-_ZN7rocprim17ROCPRIM_400000_NS6detail17trampoline_kernelINS0_14default_configENS1_20scan_config_selectorIdEEZZNS1_9scan_implILNS1_25lookback_scan_determinismE0ELb0ELb0ES3_N6thrust23THRUST_200600_302600_NS6detail15normal_iteratorINS9_10device_ptrIdEEEENS9_16discard_iteratorINS9_11use_defaultEEEd11max_functorIdEdEEDaPvRmT3_T4_T5_mT6_P12ihipStream_tbENKUlT_T0_E_clISt17integral_constantIbLb0EESX_EEDaSS_ST_EUlSS_E_NS1_11comp_targetILNS1_3genE5ELNS1_11target_archE942ELNS1_3gpuE9ELNS1_3repE0EEENS1_30default_config_static_selectorELNS0_4arch9wavefront6targetE1EEEvT1_
                                        ; -- End function
	.section	.AMDGPU.csdata,"",@progbits
; Kernel info:
; codeLenInByte = 0
; NumSgprs: 4
; NumVgprs: 0
; NumAgprs: 0
; TotalNumVgprs: 0
; ScratchSize: 0
; MemoryBound: 0
; FloatMode: 240
; IeeeMode: 1
; LDSByteSize: 0 bytes/workgroup (compile time only)
; SGPRBlocks: 0
; VGPRBlocks: 0
; NumSGPRsForWavesPerEU: 4
; NumVGPRsForWavesPerEU: 1
; AccumOffset: 4
; Occupancy: 8
; WaveLimiterHint : 0
; COMPUTE_PGM_RSRC2:SCRATCH_EN: 0
; COMPUTE_PGM_RSRC2:USER_SGPR: 6
; COMPUTE_PGM_RSRC2:TRAP_HANDLER: 0
; COMPUTE_PGM_RSRC2:TGID_X_EN: 1
; COMPUTE_PGM_RSRC2:TGID_Y_EN: 0
; COMPUTE_PGM_RSRC2:TGID_Z_EN: 0
; COMPUTE_PGM_RSRC2:TIDIG_COMP_CNT: 0
; COMPUTE_PGM_RSRC3_GFX90A:ACCUM_OFFSET: 0
; COMPUTE_PGM_RSRC3_GFX90A:TG_SPLIT: 0
	.section	.text._ZN7rocprim17ROCPRIM_400000_NS6detail17trampoline_kernelINS0_14default_configENS1_20scan_config_selectorIdEEZZNS1_9scan_implILNS1_25lookback_scan_determinismE0ELb0ELb0ES3_N6thrust23THRUST_200600_302600_NS6detail15normal_iteratorINS9_10device_ptrIdEEEENS9_16discard_iteratorINS9_11use_defaultEEEd11max_functorIdEdEEDaPvRmT3_T4_T5_mT6_P12ihipStream_tbENKUlT_T0_E_clISt17integral_constantIbLb0EESX_EEDaSS_ST_EUlSS_E_NS1_11comp_targetILNS1_3genE4ELNS1_11target_archE910ELNS1_3gpuE8ELNS1_3repE0EEENS1_30default_config_static_selectorELNS0_4arch9wavefront6targetE1EEEvT1_,"axG",@progbits,_ZN7rocprim17ROCPRIM_400000_NS6detail17trampoline_kernelINS0_14default_configENS1_20scan_config_selectorIdEEZZNS1_9scan_implILNS1_25lookback_scan_determinismE0ELb0ELb0ES3_N6thrust23THRUST_200600_302600_NS6detail15normal_iteratorINS9_10device_ptrIdEEEENS9_16discard_iteratorINS9_11use_defaultEEEd11max_functorIdEdEEDaPvRmT3_T4_T5_mT6_P12ihipStream_tbENKUlT_T0_E_clISt17integral_constantIbLb0EESX_EEDaSS_ST_EUlSS_E_NS1_11comp_targetILNS1_3genE4ELNS1_11target_archE910ELNS1_3gpuE8ELNS1_3repE0EEENS1_30default_config_static_selectorELNS0_4arch9wavefront6targetE1EEEvT1_,comdat
	.protected	_ZN7rocprim17ROCPRIM_400000_NS6detail17trampoline_kernelINS0_14default_configENS1_20scan_config_selectorIdEEZZNS1_9scan_implILNS1_25lookback_scan_determinismE0ELb0ELb0ES3_N6thrust23THRUST_200600_302600_NS6detail15normal_iteratorINS9_10device_ptrIdEEEENS9_16discard_iteratorINS9_11use_defaultEEEd11max_functorIdEdEEDaPvRmT3_T4_T5_mT6_P12ihipStream_tbENKUlT_T0_E_clISt17integral_constantIbLb0EESX_EEDaSS_ST_EUlSS_E_NS1_11comp_targetILNS1_3genE4ELNS1_11target_archE910ELNS1_3gpuE8ELNS1_3repE0EEENS1_30default_config_static_selectorELNS0_4arch9wavefront6targetE1EEEvT1_ ; -- Begin function _ZN7rocprim17ROCPRIM_400000_NS6detail17trampoline_kernelINS0_14default_configENS1_20scan_config_selectorIdEEZZNS1_9scan_implILNS1_25lookback_scan_determinismE0ELb0ELb0ES3_N6thrust23THRUST_200600_302600_NS6detail15normal_iteratorINS9_10device_ptrIdEEEENS9_16discard_iteratorINS9_11use_defaultEEEd11max_functorIdEdEEDaPvRmT3_T4_T5_mT6_P12ihipStream_tbENKUlT_T0_E_clISt17integral_constantIbLb0EESX_EEDaSS_ST_EUlSS_E_NS1_11comp_targetILNS1_3genE4ELNS1_11target_archE910ELNS1_3gpuE8ELNS1_3repE0EEENS1_30default_config_static_selectorELNS0_4arch9wavefront6targetE1EEEvT1_
	.globl	_ZN7rocprim17ROCPRIM_400000_NS6detail17trampoline_kernelINS0_14default_configENS1_20scan_config_selectorIdEEZZNS1_9scan_implILNS1_25lookback_scan_determinismE0ELb0ELb0ES3_N6thrust23THRUST_200600_302600_NS6detail15normal_iteratorINS9_10device_ptrIdEEEENS9_16discard_iteratorINS9_11use_defaultEEEd11max_functorIdEdEEDaPvRmT3_T4_T5_mT6_P12ihipStream_tbENKUlT_T0_E_clISt17integral_constantIbLb0EESX_EEDaSS_ST_EUlSS_E_NS1_11comp_targetILNS1_3genE4ELNS1_11target_archE910ELNS1_3gpuE8ELNS1_3repE0EEENS1_30default_config_static_selectorELNS0_4arch9wavefront6targetE1EEEvT1_
	.p2align	8
	.type	_ZN7rocprim17ROCPRIM_400000_NS6detail17trampoline_kernelINS0_14default_configENS1_20scan_config_selectorIdEEZZNS1_9scan_implILNS1_25lookback_scan_determinismE0ELb0ELb0ES3_N6thrust23THRUST_200600_302600_NS6detail15normal_iteratorINS9_10device_ptrIdEEEENS9_16discard_iteratorINS9_11use_defaultEEEd11max_functorIdEdEEDaPvRmT3_T4_T5_mT6_P12ihipStream_tbENKUlT_T0_E_clISt17integral_constantIbLb0EESX_EEDaSS_ST_EUlSS_E_NS1_11comp_targetILNS1_3genE4ELNS1_11target_archE910ELNS1_3gpuE8ELNS1_3repE0EEENS1_30default_config_static_selectorELNS0_4arch9wavefront6targetE1EEEvT1_,@function
_ZN7rocprim17ROCPRIM_400000_NS6detail17trampoline_kernelINS0_14default_configENS1_20scan_config_selectorIdEEZZNS1_9scan_implILNS1_25lookback_scan_determinismE0ELb0ELb0ES3_N6thrust23THRUST_200600_302600_NS6detail15normal_iteratorINS9_10device_ptrIdEEEENS9_16discard_iteratorINS9_11use_defaultEEEd11max_functorIdEdEEDaPvRmT3_T4_T5_mT6_P12ihipStream_tbENKUlT_T0_E_clISt17integral_constantIbLb0EESX_EEDaSS_ST_EUlSS_E_NS1_11comp_targetILNS1_3genE4ELNS1_11target_archE910ELNS1_3gpuE8ELNS1_3repE0EEENS1_30default_config_static_selectorELNS0_4arch9wavefront6targetE1EEEvT1_: ; @_ZN7rocprim17ROCPRIM_400000_NS6detail17trampoline_kernelINS0_14default_configENS1_20scan_config_selectorIdEEZZNS1_9scan_implILNS1_25lookback_scan_determinismE0ELb0ELb0ES3_N6thrust23THRUST_200600_302600_NS6detail15normal_iteratorINS9_10device_ptrIdEEEENS9_16discard_iteratorINS9_11use_defaultEEEd11max_functorIdEdEEDaPvRmT3_T4_T5_mT6_P12ihipStream_tbENKUlT_T0_E_clISt17integral_constantIbLb0EESX_EEDaSS_ST_EUlSS_E_NS1_11comp_targetILNS1_3genE4ELNS1_11target_archE910ELNS1_3gpuE8ELNS1_3repE0EEENS1_30default_config_static_selectorELNS0_4arch9wavefront6targetE1EEEvT1_
; %bb.0:
	s_load_dwordx4 s[0:3], s[4:5], 0x0
	s_load_dwordx2 s[8:9], s[4:5], 0x20
	s_load_dword s7, s[4:5], 0x40
	s_waitcnt lgkmcnt(0)
	s_lshl_b64 s[2:3], s[2:3], 3
	s_add_u32 s2, s0, s2
	s_addc_u32 s3, s1, s3
	s_add_i32 s7, s7, -1
	s_mul_i32 s10, s7, 0x500
	s_sub_u32 s16, s8, s10
	s_subb_u32 s17, s9, 0
	s_mul_i32 s0, s6, 0x500
	s_mov_b32 s1, 0
	s_cmp_lg_u32 s6, s7
	s_cselect_b64 s[12:13], -1, 0
	s_lshl_b64 s[0:1], s[0:1], 3
	s_add_u32 s0, s2, s0
	s_addc_u32 s1, s3, s1
	s_mov_b64 s[2:3], -1
	s_and_b64 vcc, exec, s[12:13]
	s_cbranch_vccz .LBB2992_2
; %bb.1:
	v_lshlrev_b32_e32 v1, 3, v0
	v_mov_b32_e32 v3, s1
	v_add_co_u32_e32 v2, vcc, s0, v1
	v_addc_co_u32_e32 v3, vcc, 0, v3, vcc
	v_add_co_u32_e32 v12, vcc, 0x1000, v2
	v_addc_co_u32_e32 v13, vcc, 0, v3, vcc
	flat_load_dwordx2 v[4:5], v[2:3]
	flat_load_dwordx2 v[6:7], v[2:3] offset:1024
	flat_load_dwordx2 v[8:9], v[2:3] offset:2048
	;; [unrolled: 1-line block ×3, first 2 shown]
	v_add_co_u32_e32 v2, vcc, 0x2000, v2
	v_addc_co_u32_e32 v3, vcc, 0, v3, vcc
	flat_load_dwordx2 v[14:15], v[12:13]
	flat_load_dwordx2 v[16:17], v[12:13] offset:1024
	flat_load_dwordx2 v[18:19], v[12:13] offset:2048
	;; [unrolled: 1-line block ×3, first 2 shown]
	s_nop 0
	flat_load_dwordx2 v[12:13], v[2:3]
	flat_load_dwordx2 v[22:23], v[2:3] offset:1024
	s_mov_b64 s[2:3], 0
	s_waitcnt vmcnt(0) lgkmcnt(0)
	ds_write2st64_b64 v1, v[4:5], v[6:7] offset1:2
	ds_write2st64_b64 v1, v[8:9], v[10:11] offset0:4 offset1:6
	ds_write2st64_b64 v1, v[14:15], v[16:17] offset0:8 offset1:10
	;; [unrolled: 1-line block ×4, first 2 shown]
	s_waitcnt lgkmcnt(0)
	s_barrier
.LBB2992_2:
	s_load_dwordx2 s[14:15], s[4:5], 0x38
	s_andn2_b64 vcc, exec, s[2:3]
	s_cbranch_vccnz .LBB2992_24
; %bb.3:
	v_pk_mov_b32 v[2:3], s[0:1], s[0:1] op_sel:[0,1]
	flat_load_dwordx2 v[2:3], v[2:3]
	v_cmp_gt_u32_e32 vcc, s16, v0
	s_waitcnt vmcnt(0) lgkmcnt(0)
	v_mov_b32_e32 v4, v2
	v_mov_b32_e32 v5, v3
	;; [unrolled: 1-line block ×16, first 2 shown]
	v_pk_mov_b32 v[34:35], v[30:31], v[30:31] op_sel:[0,1]
	v_pk_mov_b32 v[32:33], v[28:29], v[28:29] op_sel:[0,1]
	;; [unrolled: 1-line block ×16, first 2 shown]
	s_and_saveexec_b64 s[2:3], vcc
	s_cbranch_execz .LBB2992_5
; %bb.4:
	v_lshlrev_b32_e32 v1, 3, v0
	v_mov_b32_e32 v5, s1
	v_add_co_u32_e32 v4, vcc, s0, v1
	v_addc_co_u32_e32 v5, vcc, 0, v5, vcc
	flat_load_dwordx2 v[36:37], v[4:5]
	v_mov_b32_e32 v4, v2
	v_mov_b32_e32 v5, v3
	;; [unrolled: 1-line block ×16, first 2 shown]
	v_pk_mov_b32 v[34:35], v[30:31], v[30:31] op_sel:[0,1]
	v_pk_mov_b32 v[32:33], v[28:29], v[28:29] op_sel:[0,1]
	;; [unrolled: 1-line block ×16, first 2 shown]
	s_waitcnt vmcnt(0) lgkmcnt(0)
	v_pk_mov_b32 v[2:3], v[36:37], v[36:37] op_sel:[0,1]
.LBB2992_5:
	s_or_b64 exec, exec, s[2:3]
	v_or_b32_e32 v1, 0x80, v0
	v_cmp_gt_u32_e32 vcc, s16, v1
	s_and_saveexec_b64 s[2:3], vcc
	s_cbranch_execz .LBB2992_7
; %bb.6:
	v_lshlrev_b32_e32 v1, 3, v0
	v_mov_b32_e32 v5, s1
	v_add_co_u32_e32 v4, vcc, s0, v1
	v_addc_co_u32_e32 v5, vcc, 0, v5, vcc
	flat_load_dwordx2 v[6:7], v[4:5] offset:1024
.LBB2992_7:
	s_or_b64 exec, exec, s[2:3]
	v_or_b32_e32 v1, 0x100, v0
	v_cmp_gt_u32_e32 vcc, s16, v1
	s_and_saveexec_b64 s[2:3], vcc
	s_cbranch_execz .LBB2992_9
; %bb.8:
	v_lshlrev_b32_e32 v1, 3, v0
	v_mov_b32_e32 v5, s1
	v_add_co_u32_e32 v4, vcc, s0, v1
	v_addc_co_u32_e32 v5, vcc, 0, v5, vcc
	flat_load_dwordx2 v[8:9], v[4:5] offset:2048
.LBB2992_9:
	;; [unrolled: 12-line block ×3, first 2 shown]
	s_or_b64 exec, exec, s[2:3]
	v_or_b32_e32 v1, 0x200, v0
	v_cmp_gt_u32_e32 vcc, s16, v1
	s_and_saveexec_b64 s[2:3], vcc
	s_cbranch_execz .LBB2992_13
; %bb.12:
	v_lshlrev_b32_e32 v1, 3, v1
	v_mov_b32_e32 v5, s1
	v_add_co_u32_e32 v4, vcc, s0, v1
	v_addc_co_u32_e32 v5, vcc, 0, v5, vcc
	flat_load_dwordx2 v[12:13], v[4:5]
.LBB2992_13:
	s_or_b64 exec, exec, s[2:3]
	v_or_b32_e32 v1, 0x280, v0
	v_cmp_gt_u32_e32 vcc, s16, v1
	s_and_saveexec_b64 s[2:3], vcc
	s_cbranch_execz .LBB2992_15
; %bb.14:
	v_lshlrev_b32_e32 v1, 3, v1
	v_mov_b32_e32 v5, s1
	v_add_co_u32_e32 v4, vcc, s0, v1
	v_addc_co_u32_e32 v5, vcc, 0, v5, vcc
	flat_load_dwordx2 v[14:15], v[4:5]
.LBB2992_15:
	s_or_b64 exec, exec, s[2:3]
	v_or_b32_e32 v1, 0x300, v0
	v_cmp_gt_u32_e32 vcc, s16, v1
	s_and_saveexec_b64 s[2:3], vcc
	s_cbranch_execz .LBB2992_17
; %bb.16:
	v_lshlrev_b32_e32 v1, 3, v1
	v_mov_b32_e32 v5, s1
	v_add_co_u32_e32 v4, vcc, s0, v1
	v_addc_co_u32_e32 v5, vcc, 0, v5, vcc
	flat_load_dwordx2 v[16:17], v[4:5]
.LBB2992_17:
	s_or_b64 exec, exec, s[2:3]
	v_or_b32_e32 v1, 0x380, v0
	v_cmp_gt_u32_e32 vcc, s16, v1
	s_and_saveexec_b64 s[2:3], vcc
	s_cbranch_execz .LBB2992_19
; %bb.18:
	v_lshlrev_b32_e32 v1, 3, v1
	v_mov_b32_e32 v5, s1
	v_add_co_u32_e32 v4, vcc, s0, v1
	v_addc_co_u32_e32 v5, vcc, 0, v5, vcc
	flat_load_dwordx2 v[18:19], v[4:5]
.LBB2992_19:
	s_or_b64 exec, exec, s[2:3]
	v_or_b32_e32 v1, 0x400, v0
	v_cmp_gt_u32_e32 vcc, s16, v1
	s_and_saveexec_b64 s[2:3], vcc
	s_cbranch_execz .LBB2992_21
; %bb.20:
	v_lshlrev_b32_e32 v1, 3, v1
	v_mov_b32_e32 v5, s1
	v_add_co_u32_e32 v4, vcc, s0, v1
	v_addc_co_u32_e32 v5, vcc, 0, v5, vcc
	flat_load_dwordx2 v[20:21], v[4:5]
.LBB2992_21:
	s_or_b64 exec, exec, s[2:3]
	v_or_b32_e32 v1, 0x480, v0
	v_cmp_gt_u32_e32 vcc, s16, v1
	s_and_saveexec_b64 s[2:3], vcc
	s_cbranch_execz .LBB2992_23
; %bb.22:
	v_lshlrev_b32_e32 v1, 3, v1
	v_mov_b32_e32 v5, s1
	v_add_co_u32_e32 v4, vcc, s0, v1
	v_addc_co_u32_e32 v5, vcc, 0, v5, vcc
	flat_load_dwordx2 v[22:23], v[4:5]
.LBB2992_23:
	s_or_b64 exec, exec, s[2:3]
	v_lshlrev_b32_e32 v1, 3, v0
	s_waitcnt vmcnt(0) lgkmcnt(0)
	ds_write2st64_b64 v1, v[2:3], v[6:7] offset1:2
	ds_write2st64_b64 v1, v[8:9], v[10:11] offset0:4 offset1:6
	ds_write2st64_b64 v1, v[12:13], v[14:15] offset0:8 offset1:10
	;; [unrolled: 1-line block ×4, first 2 shown]
	s_waitcnt lgkmcnt(0)
	s_barrier
.LBB2992_24:
	v_mul_u32_u24_e32 v42, 10, v0
	v_lshlrev_b32_e32 v43, 3, v42
	s_waitcnt lgkmcnt(0)
	ds_read_b128 v[2:5], v43
	ds_read_b128 v[14:17], v43 offset:16
	ds_read_b128 v[10:13], v43 offset:32
	;; [unrolled: 1-line block ×4, first 2 shown]
	s_cmp_lg_u32 s6, 0
	v_mbcnt_lo_u32_b32 v1, -1, 0
	s_waitcnt lgkmcnt(0)
	s_barrier
	s_cbranch_scc0 .LBB2992_81
; %bb.25:
	v_cmp_lt_f64_e32 vcc, v[2:3], v[4:5]
	v_cndmask_b32_e32 v23, v3, v5, vcc
	v_cndmask_b32_e32 v22, v2, v4, vcc
	v_cmp_lt_f64_e32 vcc, v[22:23], v[14:15]
	v_cndmask_b32_e32 v23, v23, v15, vcc
	v_cndmask_b32_e32 v22, v22, v14, vcc
	v_cmp_lt_f64_e32 vcc, v[22:23], v[16:17]
	v_cndmask_b32_e32 v23, v23, v17, vcc
	v_cndmask_b32_e32 v22, v22, v16, vcc
	v_cmp_lt_f64_e32 vcc, v[22:23], v[10:11]
	v_cndmask_b32_e32 v23, v23, v11, vcc
	v_cndmask_b32_e32 v22, v22, v10, vcc
	v_cmp_lt_f64_e32 vcc, v[22:23], v[12:13]
	v_cndmask_b32_e32 v23, v23, v13, vcc
	v_cndmask_b32_e32 v22, v22, v12, vcc
	v_cmp_lt_f64_e32 vcc, v[22:23], v[6:7]
	v_cndmask_b32_e32 v23, v23, v7, vcc
	v_cndmask_b32_e32 v22, v22, v6, vcc
	v_cmp_lt_f64_e32 vcc, v[22:23], v[8:9]
	v_cndmask_b32_e32 v23, v23, v9, vcc
	v_cndmask_b32_e32 v22, v22, v8, vcc
	v_cmp_lt_f64_e32 vcc, v[22:23], v[18:19]
	v_cndmask_b32_e32 v23, v23, v19, vcc
	v_cndmask_b32_e32 v22, v22, v18, vcc
	v_cmp_lt_f64_e32 vcc, v[22:23], v[20:21]
	v_mbcnt_hi_u32_b32 v33, -1, v1
	v_cndmask_b32_e32 v23, v23, v21, vcc
	v_cndmask_b32_e32 v22, v22, v20, vcc
	v_and_b32_e32 v26, 15, v33
	v_mov_b32_dpp v25, v23 row_shr:1 row_mask:0xf bank_mask:0xf
	v_mov_b32_dpp v24, v22 row_shr:1 row_mask:0xf bank_mask:0xf
	v_cmp_ne_u32_e32 vcc, 0, v26
	s_and_saveexec_b64 s[0:1], vcc
; %bb.26:
	v_cmp_gt_f64_e32 vcc, v[22:23], v[24:25]
	v_cndmask_b32_e32 v23, v25, v23, vcc
	v_cndmask_b32_e32 v22, v24, v22, vcc
; %bb.27:
	s_or_b64 exec, exec, s[0:1]
	s_nop 0
	v_mov_b32_dpp v24, v22 row_shr:2 row_mask:0xf bank_mask:0xf
	v_mov_b32_dpp v25, v23 row_shr:2 row_mask:0xf bank_mask:0xf
	v_cmp_lt_u32_e32 vcc, 1, v26
	s_and_saveexec_b64 s[0:1], vcc
; %bb.28:
	v_cmp_gt_f64_e32 vcc, v[22:23], v[24:25]
	v_cndmask_b32_e32 v23, v25, v23, vcc
	v_cndmask_b32_e32 v22, v24, v22, vcc
; %bb.29:
	s_or_b64 exec, exec, s[0:1]
	s_nop 0
	v_mov_b32_dpp v24, v22 row_shr:4 row_mask:0xf bank_mask:0xf
	v_mov_b32_dpp v25, v23 row_shr:4 row_mask:0xf bank_mask:0xf
	v_cmp_lt_u32_e32 vcc, 3, v26
	;; [unrolled: 11-line block ×3, first 2 shown]
	s_and_saveexec_b64 s[0:1], vcc
; %bb.32:
	v_cmp_gt_f64_e32 vcc, v[22:23], v[24:25]
	v_cndmask_b32_e32 v23, v25, v23, vcc
	v_cndmask_b32_e32 v22, v24, v22, vcc
; %bb.33:
	s_or_b64 exec, exec, s[0:1]
	v_and_b32_e32 v26, 16, v33
	v_mov_b32_dpp v24, v22 row_bcast:15 row_mask:0xf bank_mask:0xf
	v_mov_b32_dpp v25, v23 row_bcast:15 row_mask:0xf bank_mask:0xf
	v_cmp_ne_u32_e32 vcc, 0, v26
	s_and_saveexec_b64 s[0:1], vcc
; %bb.34:
	v_cmp_gt_f64_e32 vcc, v[22:23], v[24:25]
	v_cndmask_b32_e32 v23, v25, v23, vcc
	v_cndmask_b32_e32 v22, v24, v22, vcc
; %bb.35:
	s_or_b64 exec, exec, s[0:1]
	s_nop 0
	v_mov_b32_dpp v24, v22 row_bcast:31 row_mask:0xf bank_mask:0xf
	v_mov_b32_dpp v25, v23 row_bcast:31 row_mask:0xf bank_mask:0xf
	v_cmp_gt_f64_e32 vcc, v[22:23], v[24:25]
	v_cndmask_b32_e32 v24, v24, v22, vcc
	v_cndmask_b32_e32 v25, v25, v23, vcc
	v_cmp_lt_u32_e32 vcc, 31, v33
	v_cndmask_b32_e32 v23, v23, v25, vcc
	v_or_b32_e32 v25, 63, v0
	v_cndmask_b32_e32 v22, v22, v24, vcc
	v_lshrrev_b32_e32 v24, 6, v0
	v_cmp_eq_u32_e32 vcc, v25, v0
	s_and_saveexec_b64 s[0:1], vcc
	s_cbranch_execz .LBB2992_37
; %bb.36:
	v_lshlrev_b32_e32 v25, 3, v24
	ds_write_b64 v25, v[22:23]
.LBB2992_37:
	s_or_b64 exec, exec, s[0:1]
	v_cmp_gt_u32_e32 vcc, 2, v0
	s_waitcnt lgkmcnt(0)
	s_barrier
	s_and_saveexec_b64 s[2:3], vcc
	s_cbranch_execz .LBB2992_39
; %bb.38:
	v_lshlrev_b32_e32 v25, 3, v0
	ds_read_b64 v[26:27], v25
	v_and_b32_e32 v28, 1, v33
	v_cmp_eq_u32_e32 vcc, 0, v28
	s_waitcnt lgkmcnt(0)
	v_mov_b32_dpp v30, v27 row_shr:1 row_mask:0xf bank_mask:0xf
	v_mov_b32_dpp v28, v26 row_shr:1 row_mask:0xf bank_mask:0xf
	v_mov_b32_e32 v29, v30
	v_cmp_gt_f64_e64 s[0:1], v[26:27], v[28:29]
	s_or_b64 vcc, vcc, s[0:1]
	v_cndmask_b32_e32 v27, v30, v27, vcc
	v_cndmask_b32_e32 v26, v28, v26, vcc
	ds_write_b64 v25, v[26:27]
.LBB2992_39:
	s_or_b64 exec, exec, s[2:3]
	v_cmp_gt_u32_e32 vcc, 64, v0
	v_cmp_lt_u32_e64 s[0:1], 63, v0
	s_waitcnt lgkmcnt(0)
	s_barrier
	s_waitcnt lgkmcnt(0)
                                        ; implicit-def: $vgpr30_vgpr31
	s_and_saveexec_b64 s[2:3], s[0:1]
	s_cbranch_execz .LBB2992_41
; %bb.40:
	v_lshl_add_u32 v24, v24, 3, -8
	ds_read_b64 v[30:31], v24
	s_waitcnt lgkmcnt(0)
	v_cmp_lt_f64_e64 s[0:1], v[30:31], v[22:23]
	v_cndmask_b32_e64 v23, v31, v23, s[0:1]
	v_cndmask_b32_e64 v22, v30, v22, s[0:1]
.LBB2992_41:
	s_or_b64 exec, exec, s[2:3]
	v_add_u32_e32 v24, -1, v33
	v_and_b32_e32 v25, 64, v33
	v_cmp_lt_i32_e64 s[0:1], v24, v25
	v_cndmask_b32_e64 v24, v24, v33, s[0:1]
	v_lshlrev_b32_e32 v24, 2, v24
	ds_bpermute_b32 v38, v24, v22
	ds_bpermute_b32 v39, v24, v23
	v_cmp_eq_u32_e64 s[0:1], 0, v33
	s_and_saveexec_b64 s[8:9], vcc
	s_cbranch_execz .LBB2992_80
; %bb.42:
	v_mov_b32_e32 v25, 0
	ds_read_b64 v[22:23], v25 offset:8
	s_and_saveexec_b64 s[2:3], s[0:1]
	s_cbranch_execz .LBB2992_44
; %bb.43:
	s_add_i32 s10, s6, 64
	s_mov_b32 s11, 0
	s_lshl_b64 s[10:11], s[10:11], 4
	s_add_u32 s10, s14, s10
	s_addc_u32 s11, s15, s11
	v_mov_b32_e32 v24, 1
	v_pk_mov_b32 v[26:27], s[10:11], s[10:11] op_sel:[0,1]
	s_waitcnt lgkmcnt(0)
	;;#ASMSTART
	global_store_dwordx4 v[26:27], v[22:25] off	
s_waitcnt vmcnt(0)
	;;#ASMEND
.LBB2992_44:
	s_or_b64 exec, exec, s[2:3]
	v_xad_u32 v32, v33, -1, s6
	v_add_u32_e32 v24, 64, v32
	v_lshlrev_b64 v[26:27], 4, v[24:25]
	v_mov_b32_e32 v24, s15
	v_add_co_u32_e32 v34, vcc, s14, v26
	v_addc_co_u32_e32 v35, vcc, v24, v27, vcc
	;;#ASMSTART
	global_load_dwordx4 v[26:29], v[34:35] off glc	
s_waitcnt vmcnt(0)
	;;#ASMEND
	v_and_b32_e32 v24, 0xff, v27
	v_and_b32_e32 v29, 0xff00, v27
	v_or3_b32 v24, 0, v24, v29
	v_or3_b32 v26, v26, 0, 0
	v_and_b32_e32 v29, 0xff000000, v27
	v_and_b32_e32 v27, 0xff0000, v27
	v_or3_b32 v27, v24, v27, v29
	v_or3_b32 v26, v26, 0, 0
	v_cmp_eq_u16_sdwa s[10:11], v28, v25 src0_sel:BYTE_0 src1_sel:DWORD
	s_and_saveexec_b64 s[2:3], s[10:11]
	s_cbranch_execz .LBB2992_48
; %bb.45:
	s_mov_b64 s[10:11], 0
	v_mov_b32_e32 v24, 0
.LBB2992_46:                            ; =>This Inner Loop Header: Depth=1
	;;#ASMSTART
	global_load_dwordx4 v[26:29], v[34:35] off glc	
s_waitcnt vmcnt(0)
	;;#ASMEND
	v_cmp_ne_u16_sdwa s[18:19], v28, v24 src0_sel:BYTE_0 src1_sel:DWORD
	s_or_b64 s[10:11], s[18:19], s[10:11]
	s_andn2_b64 exec, exec, s[10:11]
	s_cbranch_execnz .LBB2992_46
; %bb.47:
	s_or_b64 exec, exec, s[10:11]
.LBB2992_48:
	s_or_b64 exec, exec, s[2:3]
	v_and_b32_e32 v40, 63, v33
	v_mov_b32_e32 v24, 2
	v_cmp_ne_u32_e32 vcc, 63, v40
	v_cmp_eq_u16_sdwa s[2:3], v28, v24 src0_sel:BYTE_0 src1_sel:DWORD
	v_lshlrev_b64 v[24:25], v33, -1
	v_addc_co_u32_e32 v34, vcc, 0, v33, vcc
	v_and_b32_e32 v29, s3, v25
	v_lshlrev_b32_e32 v41, 2, v34
	v_or_b32_e32 v29, 0x80000000, v29
	ds_bpermute_b32 v34, v41, v26
	ds_bpermute_b32 v35, v41, v27
	v_and_b32_e32 v36, s2, v24
	v_ffbl_b32_e32 v29, v29
	v_add_u32_e32 v29, 32, v29
	v_ffbl_b32_e32 v36, v36
	v_min_u32_e32 v29, v36, v29
	v_cmp_lt_u32_e32 vcc, v40, v29
	s_and_saveexec_b64 s[2:3], vcc
	s_cbranch_execz .LBB2992_50
; %bb.49:
	s_waitcnt lgkmcnt(0)
	v_cmp_lt_f64_e32 vcc, v[34:35], v[26:27]
	v_cndmask_b32_e32 v27, v35, v27, vcc
	v_cndmask_b32_e32 v26, v34, v26, vcc
.LBB2992_50:
	s_or_b64 exec, exec, s[2:3]
	v_cmp_gt_u32_e32 vcc, 62, v40
	s_waitcnt lgkmcnt(1)
	v_cndmask_b32_e64 v34, 0, 1, vcc
	v_lshlrev_b32_e32 v34, 1, v34
	v_add_lshl_u32 v44, v34, v33, 2
	ds_bpermute_b32 v34, v44, v26
	s_waitcnt lgkmcnt(1)
	ds_bpermute_b32 v35, v44, v27
	v_add_u32_e32 v45, 2, v40
	v_cmp_le_u32_e32 vcc, v45, v29
	s_and_saveexec_b64 s[2:3], vcc
	s_cbranch_execz .LBB2992_52
; %bb.51:
	s_waitcnt lgkmcnt(0)
	v_cmp_gt_f64_e32 vcc, v[26:27], v[34:35]
	v_cndmask_b32_e32 v27, v35, v27, vcc
	v_cndmask_b32_e32 v26, v34, v26, vcc
.LBB2992_52:
	s_or_b64 exec, exec, s[2:3]
	v_cmp_gt_u32_e32 vcc, 60, v40
	s_waitcnt lgkmcnt(1)
	v_cndmask_b32_e64 v34, 0, 1, vcc
	v_lshlrev_b32_e32 v34, 2, v34
	v_add_lshl_u32 v46, v34, v33, 2
	ds_bpermute_b32 v34, v46, v26
	s_waitcnt lgkmcnt(1)
	ds_bpermute_b32 v35, v46, v27
	v_add_u32_e32 v47, 4, v40
	v_cmp_le_u32_e32 vcc, v47, v29
	s_and_saveexec_b64 s[2:3], vcc
	s_cbranch_execz .LBB2992_54
; %bb.53:
	s_waitcnt lgkmcnt(0)
	v_cmp_gt_f64_e32 vcc, v[26:27], v[34:35]
	v_cndmask_b32_e32 v27, v35, v27, vcc
	v_cndmask_b32_e32 v26, v34, v26, vcc
.LBB2992_54:
	;; [unrolled: 19-line block ×4, first 2 shown]
	s_or_b64 exec, exec, s[2:3]
	v_cmp_gt_u32_e32 vcc, 32, v40
	s_waitcnt lgkmcnt(1)
	v_cndmask_b32_e64 v34, 0, 1, vcc
	v_lshlrev_b32_e32 v34, 5, v34
	v_add_lshl_u32 v52, v34, v33, 2
	ds_bpermute_b32 v34, v52, v27
	ds_bpermute_b32 v36, v52, v26
	v_add_u32_e32 v53, 32, v40
	v_cmp_gt_u32_e32 vcc, v53, v29
	v_mov_b32_e32 v33, 0
	s_waitcnt lgkmcnt(1)
	v_mov_b32_e32 v37, v34
	s_waitcnt lgkmcnt(0)
	v_cmp_gt_f64_e64 s[2:3], v[26:27], v[36:37]
	s_or_b64 vcc, vcc, s[2:3]
	v_cndmask_b32_e32 v27, v34, v27, vcc
	v_cndmask_b32_e32 v26, v36, v26, vcc
	v_mov_b32_e32 v54, 2
	s_branch .LBB2992_60
.LBB2992_59:                            ;   in Loop: Header=BB2992_60 Depth=1
	s_or_b64 exec, exec, s[2:3]
	s_waitcnt lgkmcnt(1)
	ds_bpermute_b32 v36, v52, v27
	ds_bpermute_b32 v56, v52, v26
	v_cmp_gt_u32_e32 vcc, v53, v29
	v_subrev_u32_e32 v32, 64, v32
	s_waitcnt lgkmcnt(1)
	v_mov_b32_e32 v57, v36
	s_waitcnt lgkmcnt(0)
	v_cmp_gt_f64_e64 s[2:3], v[26:27], v[56:57]
	s_or_b64 vcc, vcc, s[2:3]
	v_cndmask_b32_e32 v27, v36, v27, vcc
	v_cndmask_b32_e32 v26, v56, v26, vcc
	v_cmp_lt_f64_e32 vcc, v[26:27], v[34:35]
	v_cndmask_b32_e32 v27, v27, v35, vcc
	v_cndmask_b32_e32 v26, v26, v34, vcc
.LBB2992_60:                            ; =>This Loop Header: Depth=1
                                        ;     Child Loop BB2992_63 Depth 2
	v_cmp_ne_u16_sdwa s[2:3], v28, v54 src0_sel:BYTE_0 src1_sel:DWORD
	v_cndmask_b32_e64 v28, 0, 1, s[2:3]
	;;#ASMSTART
	;;#ASMEND
	v_cmp_ne_u32_e32 vcc, 0, v28
	s_cmp_lg_u64 vcc, exec
	v_pk_mov_b32 v[34:35], v[26:27], v[26:27] op_sel:[0,1]
	s_cbranch_scc1 .LBB2992_75
; %bb.61:                               ;   in Loop: Header=BB2992_60 Depth=1
	v_lshlrev_b64 v[26:27], 4, v[32:33]
	v_mov_b32_e32 v28, s15
	v_add_co_u32_e32 v36, vcc, s14, v26
	v_addc_co_u32_e32 v37, vcc, v28, v27, vcc
	;;#ASMSTART
	global_load_dwordx4 v[26:29], v[36:37] off glc	
s_waitcnt vmcnt(0)
	;;#ASMEND
	v_and_b32_e32 v29, 0xff, v27
	v_and_b32_e32 v55, 0xff00, v27
	v_or3_b32 v29, 0, v29, v55
	v_or3_b32 v26, v26, 0, 0
	v_and_b32_e32 v55, 0xff000000, v27
	v_and_b32_e32 v27, 0xff0000, v27
	v_or3_b32 v27, v29, v27, v55
	v_or3_b32 v26, v26, 0, 0
	v_cmp_eq_u16_sdwa s[10:11], v28, v33 src0_sel:BYTE_0 src1_sel:DWORD
	s_and_saveexec_b64 s[2:3], s[10:11]
	s_cbranch_execz .LBB2992_65
; %bb.62:                               ;   in Loop: Header=BB2992_60 Depth=1
	s_mov_b64 s[10:11], 0
.LBB2992_63:                            ;   Parent Loop BB2992_60 Depth=1
                                        ; =>  This Inner Loop Header: Depth=2
	;;#ASMSTART
	global_load_dwordx4 v[26:29], v[36:37] off glc	
s_waitcnt vmcnt(0)
	;;#ASMEND
	v_cmp_ne_u16_sdwa s[18:19], v28, v33 src0_sel:BYTE_0 src1_sel:DWORD
	s_or_b64 s[10:11], s[18:19], s[10:11]
	s_andn2_b64 exec, exec, s[10:11]
	s_cbranch_execnz .LBB2992_63
; %bb.64:                               ;   in Loop: Header=BB2992_60 Depth=1
	s_or_b64 exec, exec, s[10:11]
.LBB2992_65:                            ;   in Loop: Header=BB2992_60 Depth=1
	s_or_b64 exec, exec, s[2:3]
	v_cmp_eq_u16_sdwa s[2:3], v28, v54 src0_sel:BYTE_0 src1_sel:DWORD
	v_and_b32_e32 v29, s3, v25
	v_or_b32_e32 v29, 0x80000000, v29
	ds_bpermute_b32 v36, v41, v26
	ds_bpermute_b32 v37, v41, v27
	v_and_b32_e32 v55, s2, v24
	v_ffbl_b32_e32 v29, v29
	v_add_u32_e32 v29, 32, v29
	v_ffbl_b32_e32 v55, v55
	v_min_u32_e32 v29, v55, v29
	v_cmp_lt_u32_e32 vcc, v40, v29
	s_and_saveexec_b64 s[2:3], vcc
	s_cbranch_execz .LBB2992_67
; %bb.66:                               ;   in Loop: Header=BB2992_60 Depth=1
	s_waitcnt lgkmcnt(0)
	v_cmp_lt_f64_e32 vcc, v[36:37], v[26:27]
	v_cndmask_b32_e32 v27, v37, v27, vcc
	v_cndmask_b32_e32 v26, v36, v26, vcc
.LBB2992_67:                            ;   in Loop: Header=BB2992_60 Depth=1
	s_or_b64 exec, exec, s[2:3]
	s_waitcnt lgkmcnt(1)
	ds_bpermute_b32 v36, v44, v26
	s_waitcnt lgkmcnt(1)
	ds_bpermute_b32 v37, v44, v27
	v_cmp_le_u32_e32 vcc, v45, v29
	s_and_saveexec_b64 s[2:3], vcc
	s_cbranch_execz .LBB2992_69
; %bb.68:                               ;   in Loop: Header=BB2992_60 Depth=1
	s_waitcnt lgkmcnt(0)
	v_cmp_gt_f64_e32 vcc, v[26:27], v[36:37]
	v_cndmask_b32_e32 v27, v37, v27, vcc
	v_cndmask_b32_e32 v26, v36, v26, vcc
.LBB2992_69:                            ;   in Loop: Header=BB2992_60 Depth=1
	s_or_b64 exec, exec, s[2:3]
	s_waitcnt lgkmcnt(1)
	ds_bpermute_b32 v36, v46, v26
	s_waitcnt lgkmcnt(1)
	ds_bpermute_b32 v37, v46, v27
	v_cmp_le_u32_e32 vcc, v47, v29
	s_and_saveexec_b64 s[2:3], vcc
	s_cbranch_execz .LBB2992_71
; %bb.70:                               ;   in Loop: Header=BB2992_60 Depth=1
	s_waitcnt lgkmcnt(0)
	v_cmp_gt_f64_e32 vcc, v[26:27], v[36:37]
	v_cndmask_b32_e32 v27, v37, v27, vcc
	v_cndmask_b32_e32 v26, v36, v26, vcc
.LBB2992_71:                            ;   in Loop: Header=BB2992_60 Depth=1
	;; [unrolled: 14-line block ×3, first 2 shown]
	s_or_b64 exec, exec, s[2:3]
	s_waitcnt lgkmcnt(1)
	ds_bpermute_b32 v36, v50, v26
	s_waitcnt lgkmcnt(1)
	ds_bpermute_b32 v37, v50, v27
	v_cmp_le_u32_e32 vcc, v51, v29
	s_and_saveexec_b64 s[2:3], vcc
	s_cbranch_execz .LBB2992_59
; %bb.74:                               ;   in Loop: Header=BB2992_60 Depth=1
	s_waitcnt lgkmcnt(0)
	v_cmp_gt_f64_e32 vcc, v[26:27], v[36:37]
	v_cndmask_b32_e32 v27, v37, v27, vcc
	v_cndmask_b32_e32 v26, v36, v26, vcc
	s_branch .LBB2992_59
.LBB2992_75:                            ;   in Loop: Header=BB2992_60 Depth=1
                                        ; implicit-def: $vgpr26_vgpr27
                                        ; implicit-def: $vgpr28
	s_cbranch_execz .LBB2992_60
; %bb.76:
	s_and_saveexec_b64 s[2:3], s[0:1]
	s_cbranch_execz .LBB2992_78
; %bb.77:
	s_add_i32 s6, s6, 64
	s_mov_b32 s7, 0
	s_lshl_b64 s[6:7], s[6:7], 4
	s_add_u32 s6, s14, s6
	v_cmp_lt_f64_e32 vcc, v[34:35], v[22:23]
	s_addc_u32 s7, s15, s7
	v_cndmask_b32_e32 v23, v35, v23, vcc
	v_cndmask_b32_e32 v22, v34, v22, vcc
	v_mov_b32_e32 v24, 2
	v_mov_b32_e32 v25, 0
	v_pk_mov_b32 v[26:27], s[6:7], s[6:7] op_sel:[0,1]
	;;#ASMSTART
	global_store_dwordx4 v[26:27], v[22:25] off	
s_waitcnt vmcnt(0)
	;;#ASMEND
.LBB2992_78:
	s_or_b64 exec, exec, s[2:3]
	v_cmp_eq_u32_e32 vcc, 0, v0
	s_and_b64 exec, exec, vcc
	s_cbranch_execz .LBB2992_80
; %bb.79:
	v_mov_b32_e32 v22, 0
	ds_write_b64 v22, v[34:35] offset:8
.LBB2992_80:
	s_or_b64 exec, exec, s[8:9]
	v_mov_b32_e32 v24, 0
	s_waitcnt lgkmcnt(0)
	s_barrier
	ds_read_b64 v[24:25], v24 offset:8
	v_cndmask_b32_e64 v23, v39, v31, s[0:1]
	v_cndmask_b32_e64 v22, v38, v30, s[0:1]
	v_cmp_eq_u32_e32 vcc, 0, v0
	v_cmp_lt_f64_e64 s[0:1], v[22:23], v[2:3]
	s_or_b64 vcc, vcc, s[0:1]
	v_cndmask_b32_e32 v23, v23, v3, vcc
	v_cndmask_b32_e32 v22, v22, v2, vcc
	s_waitcnt lgkmcnt(0)
	v_cmp_lt_f64_e32 vcc, v[24:25], v[22:23]
	v_cndmask_b32_e32 v23, v25, v23, vcc
	v_cndmask_b32_e32 v22, v24, v22, vcc
	v_cmp_lt_f64_e32 vcc, v[22:23], v[4:5]
	v_cndmask_b32_e32 v25, v23, v5, vcc
	v_cndmask_b32_e32 v24, v22, v4, vcc
	;; [unrolled: 3-line block ×10, first 2 shown]
	s_load_dwordx8 s[4:11], s[4:5], 0x48
	s_branch .LBB2992_105
.LBB2992_81:
                                        ; implicit-def: $vgpr40_vgpr41
                                        ; implicit-def: $vgpr36_vgpr37
                                        ; implicit-def: $vgpr32_vgpr33
                                        ; implicit-def: $vgpr28_vgpr29
                                        ; implicit-def: $vgpr24_vgpr25
	s_load_dwordx8 s[4:11], s[4:5], 0x48
	s_cbranch_execz .LBB2992_105
; %bb.82:
	s_waitcnt lgkmcnt(0)
	s_cmp_lg_u64 s[8:9], 0
	s_cselect_b64 s[2:3], -1, 0
	v_cmp_eq_u32_e64 s[0:1], 0, v0
	v_cmp_ne_u32_e32 vcc, 0, v0
	s_and_b64 s[0:1], s[0:1], s[2:3]
	s_and_saveexec_b64 s[2:3], s[0:1]
	s_cbranch_execz .LBB2992_84
; %bb.83:
	v_mov_b32_e32 v22, 0
	global_load_dwordx2 v[22:23], v22, s[4:5]
	s_waitcnt vmcnt(0)
	v_cmp_lt_f64_e64 s[0:1], v[22:23], v[2:3]
	v_cndmask_b32_e64 v3, v23, v3, s[0:1]
	v_cndmask_b32_e64 v2, v22, v2, s[0:1]
.LBB2992_84:
	s_or_b64 exec, exec, s[2:3]
	v_cmp_lt_f64_e64 s[0:1], v[2:3], v[4:5]
	v_cndmask_b32_e64 v23, v3, v5, s[0:1]
	v_cndmask_b32_e64 v22, v2, v4, s[0:1]
	v_cmp_lt_f64_e64 s[0:1], v[22:23], v[14:15]
	v_cndmask_b32_e64 v23, v23, v15, s[0:1]
	v_cndmask_b32_e64 v22, v22, v14, s[0:1]
	;; [unrolled: 3-line block ×8, first 2 shown]
	v_cmp_lt_f64_e64 s[0:1], v[22:23], v[20:21]
	v_mbcnt_hi_u32_b32 v1, -1, v1
	v_cndmask_b32_e64 v23, v23, v21, s[0:1]
	v_cndmask_b32_e64 v22, v22, v20, s[0:1]
	v_and_b32_e32 v26, 15, v1
	v_mov_b32_dpp v25, v23 row_shr:1 row_mask:0xf bank_mask:0xf
	v_mov_b32_dpp v24, v22 row_shr:1 row_mask:0xf bank_mask:0xf
	v_cmp_ne_u32_e64 s[0:1], 0, v26
	s_and_saveexec_b64 s[2:3], s[0:1]
; %bb.85:
	v_cmp_gt_f64_e64 s[0:1], v[22:23], v[24:25]
	v_cndmask_b32_e64 v23, v25, v23, s[0:1]
	v_cndmask_b32_e64 v22, v24, v22, s[0:1]
; %bb.86:
	s_or_b64 exec, exec, s[2:3]
	s_nop 0
	v_mov_b32_dpp v24, v22 row_shr:2 row_mask:0xf bank_mask:0xf
	v_mov_b32_dpp v25, v23 row_shr:2 row_mask:0xf bank_mask:0xf
	v_cmp_lt_u32_e64 s[0:1], 1, v26
	s_and_saveexec_b64 s[2:3], s[0:1]
; %bb.87:
	v_cmp_gt_f64_e64 s[0:1], v[22:23], v[24:25]
	v_cndmask_b32_e64 v23, v25, v23, s[0:1]
	v_cndmask_b32_e64 v22, v24, v22, s[0:1]
; %bb.88:
	s_or_b64 exec, exec, s[2:3]
	s_nop 0
	v_mov_b32_dpp v24, v22 row_shr:4 row_mask:0xf bank_mask:0xf
	v_mov_b32_dpp v25, v23 row_shr:4 row_mask:0xf bank_mask:0xf
	v_cmp_lt_u32_e64 s[0:1], 3, v26
	;; [unrolled: 11-line block ×3, first 2 shown]
	s_and_saveexec_b64 s[2:3], s[0:1]
; %bb.91:
	v_cmp_gt_f64_e64 s[0:1], v[22:23], v[24:25]
	v_cndmask_b32_e64 v23, v25, v23, s[0:1]
	v_cndmask_b32_e64 v22, v24, v22, s[0:1]
; %bb.92:
	s_or_b64 exec, exec, s[2:3]
	v_and_b32_e32 v26, 16, v1
	v_mov_b32_dpp v24, v22 row_bcast:15 row_mask:0xf bank_mask:0xf
	v_mov_b32_dpp v25, v23 row_bcast:15 row_mask:0xf bank_mask:0xf
	v_cmp_ne_u32_e64 s[0:1], 0, v26
	s_and_saveexec_b64 s[2:3], s[0:1]
; %bb.93:
	v_cmp_gt_f64_e64 s[0:1], v[22:23], v[24:25]
	v_cndmask_b32_e64 v23, v25, v23, s[0:1]
	v_cndmask_b32_e64 v22, v24, v22, s[0:1]
; %bb.94:
	s_or_b64 exec, exec, s[2:3]
	s_nop 0
	v_mov_b32_dpp v24, v22 row_bcast:31 row_mask:0xf bank_mask:0xf
	v_mov_b32_dpp v25, v23 row_bcast:31 row_mask:0xf bank_mask:0xf
	v_cmp_gt_f64_e64 s[0:1], v[22:23], v[24:25]
	v_cndmask_b32_e64 v24, v24, v22, s[0:1]
	v_cndmask_b32_e64 v25, v25, v23, s[0:1]
	v_cmp_lt_u32_e64 s[0:1], 31, v1
	v_cndmask_b32_e64 v22, v22, v24, s[0:1]
	v_or_b32_e32 v24, 63, v0
	v_cndmask_b32_e64 v23, v23, v25, s[0:1]
	v_lshrrev_b32_e32 v26, 6, v0
	v_cmp_eq_u32_e64 s[0:1], v24, v0
	s_and_saveexec_b64 s[2:3], s[0:1]
	s_cbranch_execz .LBB2992_96
; %bb.95:
	v_lshlrev_b32_e32 v24, 3, v26
	ds_write_b64 v24, v[22:23]
.LBB2992_96:
	s_or_b64 exec, exec, s[2:3]
	v_cmp_gt_u32_e64 s[0:1], 2, v0
	s_waitcnt lgkmcnt(0)
	s_barrier
	s_and_saveexec_b64 s[4:5], s[0:1]
	s_cbranch_execz .LBB2992_98
; %bb.97:
	s_movk_i32 s0, 0xffb8
	v_mad_i32_i24 v27, v0, s0, v43
	ds_read_b64 v[24:25], v27
	v_and_b32_e32 v28, 1, v1
	v_cmp_eq_u32_e64 s[0:1], 0, v28
	s_waitcnt lgkmcnt(0)
	v_mov_b32_dpp v30, v25 row_shr:1 row_mask:0xf bank_mask:0xf
	v_mov_b32_dpp v28, v24 row_shr:1 row_mask:0xf bank_mask:0xf
	v_mov_b32_e32 v29, v30
	v_cmp_gt_f64_e64 s[2:3], v[24:25], v[28:29]
	s_or_b64 s[0:1], s[0:1], s[2:3]
	v_cndmask_b32_e64 v25, v30, v25, s[0:1]
	v_cndmask_b32_e64 v24, v28, v24, s[0:1]
	ds_write_b64 v27, v[24:25]
.LBB2992_98:
	s_or_b64 exec, exec, s[4:5]
	v_cmp_lt_u32_e64 s[0:1], 63, v0
	s_waitcnt lgkmcnt(0)
	s_barrier
	s_waitcnt lgkmcnt(0)
                                        ; implicit-def: $vgpr24_vgpr25
	s_and_saveexec_b64 s[2:3], s[0:1]
	s_cbranch_execz .LBB2992_100
; %bb.99:
	v_lshl_add_u32 v24, v26, 3, -8
	ds_read_b64 v[24:25], v24
	s_waitcnt lgkmcnt(0)
	v_cmp_lt_f64_e64 s[0:1], v[24:25], v[22:23]
	v_cndmask_b32_e64 v23, v25, v23, s[0:1]
	v_cndmask_b32_e64 v22, v24, v22, s[0:1]
.LBB2992_100:
	s_or_b64 exec, exec, s[2:3]
	v_add_u32_e32 v26, -1, v1
	v_and_b32_e32 v27, 64, v1
	v_cmp_lt_i32_e64 s[0:1], v26, v27
	v_cndmask_b32_e64 v26, v26, v1, s[0:1]
	v_lshlrev_b32_e32 v26, 2, v26
	ds_bpermute_b32 v22, v26, v22
	ds_bpermute_b32 v23, v26, v23
	s_and_saveexec_b64 s[0:1], vcc
	s_cbranch_execz .LBB2992_102
; %bb.101:
	v_cmp_eq_u32_e32 vcc, 0, v1
	s_waitcnt lgkmcnt(0)
	v_cndmask_b32_e32 v23, v23, v25, vcc
	v_cndmask_b32_e32 v22, v22, v24, vcc
	v_cmp_gt_f64_e32 vcc, v[2:3], v[22:23]
	v_cndmask_b32_e32 v3, v23, v3, vcc
	v_cndmask_b32_e32 v2, v22, v2, vcc
	;;#ASMSTART
	;;#ASMEND
.LBB2992_102:
	s_or_b64 exec, exec, s[0:1]
	v_cmp_gt_f64_e32 vcc, v[4:5], v[2:3]
	v_cndmask_b32_e32 v25, v3, v5, vcc
	v_cndmask_b32_e32 v24, v2, v4, vcc
	v_cmp_lt_f64_e32 vcc, v[24:25], v[14:15]
	v_cndmask_b32_e32 v27, v25, v15, vcc
	v_cndmask_b32_e32 v26, v24, v14, vcc
	v_cmp_lt_f64_e32 vcc, v[26:27], v[16:17]
	;; [unrolled: 3-line block ×8, first 2 shown]
	s_movk_i32 s0, 0x7f
	v_cndmask_b32_e32 v41, v39, v21, vcc
	v_cndmask_b32_e32 v40, v38, v20, vcc
	v_cmp_eq_u32_e32 vcc, s0, v0
	s_and_saveexec_b64 s[0:1], vcc
	s_cbranch_execz .LBB2992_104
; %bb.103:
	s_add_u32 s2, s14, 0x400
	s_addc_u32 s3, s15, 0
	v_mov_b32_e32 v6, 2
	v_mov_b32_e32 v7, 0
	;; [unrolled: 1-line block ×4, first 2 shown]
	v_pk_mov_b32 v[8:9], s[2:3], s[2:3] op_sel:[0,1]
	;;#ASMSTART
	global_store_dwordx4 v[8:9], v[4:7] off	
s_waitcnt vmcnt(0)
	;;#ASMEND
.LBB2992_104:
	s_or_b64 exec, exec, s[0:1]
	s_waitcnt lgkmcnt(0)
	v_pk_mov_b32 v[22:23], v[2:3], v[2:3] op_sel:[0,1]
.LBB2992_105:
	s_mov_b64 s[0:1], -1
	s_and_b64 vcc, exec, s[12:13]
	s_waitcnt lgkmcnt(0)
	s_barrier
	ds_write_b128 v43, v[22:25]
	ds_write_b128 v43, v[26:29] offset:16
	ds_write_b128 v43, v[30:33] offset:32
	;; [unrolled: 1-line block ×4, first 2 shown]
	s_waitcnt lgkmcnt(0)
	s_cbranch_vccz .LBB2992_107
; %bb.106:
	s_barrier
	s_mov_b64 s[0:1], 0
.LBB2992_107:
	s_andn2_b64 vcc, exec, s[0:1]
	s_cbranch_vccnz .LBB2992_143
; %bb.108:
	v_cmp_lt_u64_e64 s[0:1], s[10:11], 2
	s_and_b64 vcc, exec, s[0:1]
	s_barrier
	s_cbranch_vccnz .LBB2992_143
; %bb.109:
	s_add_u32 s0, s16, -1
	s_addc_u32 s1, s17, -1
	s_add_u32 s2, 0, 0x99986000
	s_addc_u32 s3, 0, 0x59
	s_add_i32 s3, s3, 0x19999940
	s_mul_hi_u32 s9, s2, -10
	s_sub_i32 s9, s9, s2
	s_mul_i32 s10, s3, -10
	s_mul_i32 s4, s2, -10
	s_add_i32 s9, s9, s10
	s_mul_hi_u32 s5, s3, s4
	s_mul_i32 s8, s3, s4
	s_mul_i32 s11, s2, s9
	s_mul_hi_u32 s4, s2, s4
	s_mul_hi_u32 s10, s2, s9
	s_add_u32 s4, s4, s11
	s_addc_u32 s10, 0, s10
	s_add_u32 s4, s4, s8
	s_mul_hi_u32 s11, s3, s9
	s_addc_u32 s4, s10, s5
	s_addc_u32 s5, s11, 0
	s_mul_i32 s8, s3, s9
	s_add_u32 s4, s4, s8
	v_mov_b32_e32 v2, s4
	s_addc_u32 s5, 0, s5
	v_add_co_u32_e32 v2, vcc, s2, v2
	s_cmp_lg_u64 vcc, 0
	s_addc_u32 s2, s3, s5
	v_readfirstlane_b32 s5, v2
	s_mul_i32 s4, s0, s2
	s_mul_hi_u32 s8, s0, s5
	s_mul_hi_u32 s3, s0, s2
	s_add_u32 s4, s8, s4
	s_addc_u32 s3, 0, s3
	s_mul_hi_u32 s9, s1, s5
	s_mul_i32 s5, s1, s5
	s_add_u32 s4, s4, s5
	s_mul_hi_u32 s8, s1, s2
	s_addc_u32 s3, s3, s9
	s_addc_u32 s4, s8, 0
	s_mul_i32 s2, s1, s2
	s_add_u32 s2, s3, s2
	s_addc_u32 s3, 0, s4
	s_add_u32 s4, s2, 1
	s_addc_u32 s5, s3, 0
	s_add_u32 s8, s2, 2
	s_mul_i32 s10, s3, 10
	s_mul_hi_u32 s11, s2, 10
	s_addc_u32 s9, s3, 0
	s_add_i32 s11, s11, s10
	s_mul_i32 s10, s2, 10
	v_mov_b32_e32 v2, s10
	v_sub_co_u32_e32 v2, vcc, s0, v2
	s_cmp_lg_u64 vcc, 0
	s_subb_u32 s10, s1, s11
	v_subrev_co_u32_e32 v3, vcc, 10, v2
	s_cmp_lg_u64 vcc, 0
	s_subb_u32 s11, s10, 0
	v_readfirstlane_b32 s12, v3
	s_cmp_gt_u32 s12, 9
	s_cselect_b32 s12, -1, 0
	s_cmp_eq_u32 s11, 0
	s_cselect_b32 s11, s12, -1
	s_cmp_lg_u32 s11, 0
	s_cselect_b32 s4, s8, s4
	v_readfirstlane_b32 s8, v2
	s_cselect_b32 s5, s9, s5
	s_cmp_gt_u32 s8, 9
	s_cselect_b32 s8, -1, 0
	s_cmp_eq_u32 s10, 0
	s_cselect_b32 s8, s8, -1
	s_cmp_lg_u32 s8, 0
	v_mov_b32_e32 v1, 0
	s_cselect_b32 s3, s5, s3
	s_cselect_b32 s2, s4, s2
	v_cmp_eq_u64_e32 vcc, s[2:3], v[0:1]
	s_and_saveexec_b64 s[2:3], vcc
	s_cbranch_execz .LBB2992_143
; %bb.110:
	s_movk_i32 s2, 0xffb8
	v_mad_i32_i24 v2, v0, s2, v43
	v_mul_hi_u32_u24_e32 v1, 10, v0
	v_mov_b32_e32 v3, s1
	v_sub_co_u32_e32 v0, vcc, s0, v42
	v_subb_co_u32_e32 v1, vcc, v3, v1, vcc
	v_cmp_lt_i64_e32 vcc, 4, v[0:1]
	s_and_saveexec_b64 s[0:1], vcc
	s_xor_b64 s[0:1], exec, s[0:1]
	s_cbranch_execz .LBB2992_128
; %bb.111:
	v_cmp_lt_i64_e32 vcc, 6, v[0:1]
	s_and_saveexec_b64 s[2:3], vcc
	s_xor_b64 s[2:3], exec, s[2:3]
	s_cbranch_execz .LBB2992_121
; %bb.112:
	;; [unrolled: 5-line block ×4, first 2 shown]
	ds_read_b64 v[0:1], v2 offset:9216
	v_mov_b32_e32 v2, 0
	s_waitcnt lgkmcnt(0)
	global_store_dwordx2 v2, v[0:1], s[6:7]
                                        ; implicit-def: $vgpr2
.LBB2992_115:
	s_andn2_saveexec_b64 s[8:9], s[8:9]
	s_cbranch_execz .LBB2992_117
; %bb.116:
	ds_read_b64 v[0:1], v2 offset:8192
	v_mov_b32_e32 v2, 0
	s_waitcnt lgkmcnt(0)
	global_store_dwordx2 v2, v[0:1], s[6:7]
.LBB2992_117:
	s_or_b64 exec, exec, s[8:9]
                                        ; implicit-def: $vgpr2
.LBB2992_118:
	s_andn2_saveexec_b64 s[4:5], s[4:5]
	s_cbranch_execz .LBB2992_120
; %bb.119:
	ds_read_b64 v[0:1], v2 offset:7168
	v_mov_b32_e32 v2, 0
	s_waitcnt lgkmcnt(0)
	global_store_dwordx2 v2, v[0:1], s[6:7]
.LBB2992_120:
	s_or_b64 exec, exec, s[4:5]
                                        ; implicit-def: $vgpr2
                                        ; implicit-def: $vgpr0_vgpr1
.LBB2992_121:
	s_andn2_saveexec_b64 s[2:3], s[2:3]
	s_cbranch_execz .LBB2992_127
; %bb.122:
	v_cmp_lt_i64_e32 vcc, 5, v[0:1]
	s_and_saveexec_b64 s[4:5], vcc
	s_xor_b64 s[4:5], exec, s[4:5]
	s_cbranch_execz .LBB2992_124
; %bb.123:
	ds_read_b64 v[0:1], v2 offset:6144
	v_mov_b32_e32 v2, 0
	s_waitcnt lgkmcnt(0)
	global_store_dwordx2 v2, v[0:1], s[6:7]
                                        ; implicit-def: $vgpr2
.LBB2992_124:
	s_andn2_saveexec_b64 s[4:5], s[4:5]
	s_cbranch_execz .LBB2992_126
; %bb.125:
	ds_read_b64 v[0:1], v2 offset:5120
	v_mov_b32_e32 v2, 0
	s_waitcnt lgkmcnt(0)
	global_store_dwordx2 v2, v[0:1], s[6:7]
.LBB2992_126:
	s_or_b64 exec, exec, s[4:5]
.LBB2992_127:
	s_or_b64 exec, exec, s[2:3]
                                        ; implicit-def: $vgpr0_vgpr1
                                        ; implicit-def: $vgpr2
.LBB2992_128:
	s_andn2_saveexec_b64 s[0:1], s[0:1]
	s_cbranch_execz .LBB2992_143
; %bb.129:
	v_cmp_lt_i64_e32 vcc, 2, v[0:1]
	s_and_saveexec_b64 s[0:1], vcc
	s_xor_b64 s[0:1], exec, s[0:1]
	s_cbranch_execz .LBB2992_135
; %bb.130:
	v_cmp_lt_i64_e32 vcc, 3, v[0:1]
	s_and_saveexec_b64 s[2:3], vcc
	s_xor_b64 s[2:3], exec, s[2:3]
	s_cbranch_execz .LBB2992_132
; %bb.131:
	ds_read_b64 v[0:1], v2 offset:4096
	v_mov_b32_e32 v2, 0
	s_waitcnt lgkmcnt(0)
	global_store_dwordx2 v2, v[0:1], s[6:7]
                                        ; implicit-def: $vgpr2
.LBB2992_132:
	s_andn2_saveexec_b64 s[2:3], s[2:3]
	s_cbranch_execz .LBB2992_134
; %bb.133:
	ds_read_b64 v[0:1], v2 offset:3072
	v_mov_b32_e32 v2, 0
	s_waitcnt lgkmcnt(0)
	global_store_dwordx2 v2, v[0:1], s[6:7]
.LBB2992_134:
	s_or_b64 exec, exec, s[2:3]
                                        ; implicit-def: $vgpr0_vgpr1
                                        ; implicit-def: $vgpr2
.LBB2992_135:
	s_andn2_saveexec_b64 s[0:1], s[0:1]
	s_cbranch_execz .LBB2992_143
; %bb.136:
	v_cmp_lt_i64_e32 vcc, 1, v[0:1]
	s_and_saveexec_b64 s[0:1], vcc
	s_xor_b64 s[0:1], exec, s[0:1]
	s_cbranch_execz .LBB2992_138
; %bb.137:
	ds_read_b64 v[0:1], v2 offset:2048
	v_mov_b32_e32 v2, 0
	s_waitcnt lgkmcnt(0)
	global_store_dwordx2 v2, v[0:1], s[6:7]
                                        ; implicit-def: $vgpr2
                                        ; implicit-def: $vgpr0_vgpr1
.LBB2992_138:
	s_andn2_saveexec_b64 s[0:1], s[0:1]
	s_cbranch_execz .LBB2992_143
; %bb.139:
	v_cmp_ne_u64_e32 vcc, 1, v[0:1]
	s_and_saveexec_b64 s[0:1], vcc
	s_xor_b64 s[0:1], exec, s[0:1]
	s_cbranch_execz .LBB2992_141
; %bb.140:
	ds_read_b64 v[0:1], v2
	v_mov_b32_e32 v2, 0
	s_waitcnt lgkmcnt(0)
	global_store_dwordx2 v2, v[0:1], s[6:7]
                                        ; implicit-def: $vgpr2
.LBB2992_141:
	s_andn2_saveexec_b64 s[0:1], s[0:1]
	s_cbranch_execz .LBB2992_143
; %bb.142:
	ds_read_b64 v[0:1], v2 offset:1024
	v_mov_b32_e32 v2, 0
	s_waitcnt lgkmcnt(0)
	global_store_dwordx2 v2, v[0:1], s[6:7]
.LBB2992_143:
	s_endpgm
	.section	.rodata,"a",@progbits
	.p2align	6, 0x0
	.amdhsa_kernel _ZN7rocprim17ROCPRIM_400000_NS6detail17trampoline_kernelINS0_14default_configENS1_20scan_config_selectorIdEEZZNS1_9scan_implILNS1_25lookback_scan_determinismE0ELb0ELb0ES3_N6thrust23THRUST_200600_302600_NS6detail15normal_iteratorINS9_10device_ptrIdEEEENS9_16discard_iteratorINS9_11use_defaultEEEd11max_functorIdEdEEDaPvRmT3_T4_T5_mT6_P12ihipStream_tbENKUlT_T0_E_clISt17integral_constantIbLb0EESX_EEDaSS_ST_EUlSS_E_NS1_11comp_targetILNS1_3genE4ELNS1_11target_archE910ELNS1_3gpuE8ELNS1_3repE0EEENS1_30default_config_static_selectorELNS0_4arch9wavefront6targetE1EEEvT1_
		.amdhsa_group_segment_fixed_size 10240
		.amdhsa_private_segment_fixed_size 0
		.amdhsa_kernarg_size 112
		.amdhsa_user_sgpr_count 6
		.amdhsa_user_sgpr_private_segment_buffer 1
		.amdhsa_user_sgpr_dispatch_ptr 0
		.amdhsa_user_sgpr_queue_ptr 0
		.amdhsa_user_sgpr_kernarg_segment_ptr 1
		.amdhsa_user_sgpr_dispatch_id 0
		.amdhsa_user_sgpr_flat_scratch_init 0
		.amdhsa_user_sgpr_kernarg_preload_length 0
		.amdhsa_user_sgpr_kernarg_preload_offset 0
		.amdhsa_user_sgpr_private_segment_size 0
		.amdhsa_uses_dynamic_stack 0
		.amdhsa_system_sgpr_private_segment_wavefront_offset 0
		.amdhsa_system_sgpr_workgroup_id_x 1
		.amdhsa_system_sgpr_workgroup_id_y 0
		.amdhsa_system_sgpr_workgroup_id_z 0
		.amdhsa_system_sgpr_workgroup_info 0
		.amdhsa_system_vgpr_workitem_id 0
		.amdhsa_next_free_vgpr 58
		.amdhsa_next_free_sgpr 20
		.amdhsa_accum_offset 60
		.amdhsa_reserve_vcc 1
		.amdhsa_reserve_flat_scratch 0
		.amdhsa_float_round_mode_32 0
		.amdhsa_float_round_mode_16_64 0
		.amdhsa_float_denorm_mode_32 3
		.amdhsa_float_denorm_mode_16_64 3
		.amdhsa_dx10_clamp 1
		.amdhsa_ieee_mode 1
		.amdhsa_fp16_overflow 0
		.amdhsa_tg_split 0
		.amdhsa_exception_fp_ieee_invalid_op 0
		.amdhsa_exception_fp_denorm_src 0
		.amdhsa_exception_fp_ieee_div_zero 0
		.amdhsa_exception_fp_ieee_overflow 0
		.amdhsa_exception_fp_ieee_underflow 0
		.amdhsa_exception_fp_ieee_inexact 0
		.amdhsa_exception_int_div_zero 0
	.end_amdhsa_kernel
	.section	.text._ZN7rocprim17ROCPRIM_400000_NS6detail17trampoline_kernelINS0_14default_configENS1_20scan_config_selectorIdEEZZNS1_9scan_implILNS1_25lookback_scan_determinismE0ELb0ELb0ES3_N6thrust23THRUST_200600_302600_NS6detail15normal_iteratorINS9_10device_ptrIdEEEENS9_16discard_iteratorINS9_11use_defaultEEEd11max_functorIdEdEEDaPvRmT3_T4_T5_mT6_P12ihipStream_tbENKUlT_T0_E_clISt17integral_constantIbLb0EESX_EEDaSS_ST_EUlSS_E_NS1_11comp_targetILNS1_3genE4ELNS1_11target_archE910ELNS1_3gpuE8ELNS1_3repE0EEENS1_30default_config_static_selectorELNS0_4arch9wavefront6targetE1EEEvT1_,"axG",@progbits,_ZN7rocprim17ROCPRIM_400000_NS6detail17trampoline_kernelINS0_14default_configENS1_20scan_config_selectorIdEEZZNS1_9scan_implILNS1_25lookback_scan_determinismE0ELb0ELb0ES3_N6thrust23THRUST_200600_302600_NS6detail15normal_iteratorINS9_10device_ptrIdEEEENS9_16discard_iteratorINS9_11use_defaultEEEd11max_functorIdEdEEDaPvRmT3_T4_T5_mT6_P12ihipStream_tbENKUlT_T0_E_clISt17integral_constantIbLb0EESX_EEDaSS_ST_EUlSS_E_NS1_11comp_targetILNS1_3genE4ELNS1_11target_archE910ELNS1_3gpuE8ELNS1_3repE0EEENS1_30default_config_static_selectorELNS0_4arch9wavefront6targetE1EEEvT1_,comdat
.Lfunc_end2992:
	.size	_ZN7rocprim17ROCPRIM_400000_NS6detail17trampoline_kernelINS0_14default_configENS1_20scan_config_selectorIdEEZZNS1_9scan_implILNS1_25lookback_scan_determinismE0ELb0ELb0ES3_N6thrust23THRUST_200600_302600_NS6detail15normal_iteratorINS9_10device_ptrIdEEEENS9_16discard_iteratorINS9_11use_defaultEEEd11max_functorIdEdEEDaPvRmT3_T4_T5_mT6_P12ihipStream_tbENKUlT_T0_E_clISt17integral_constantIbLb0EESX_EEDaSS_ST_EUlSS_E_NS1_11comp_targetILNS1_3genE4ELNS1_11target_archE910ELNS1_3gpuE8ELNS1_3repE0EEENS1_30default_config_static_selectorELNS0_4arch9wavefront6targetE1EEEvT1_, .Lfunc_end2992-_ZN7rocprim17ROCPRIM_400000_NS6detail17trampoline_kernelINS0_14default_configENS1_20scan_config_selectorIdEEZZNS1_9scan_implILNS1_25lookback_scan_determinismE0ELb0ELb0ES3_N6thrust23THRUST_200600_302600_NS6detail15normal_iteratorINS9_10device_ptrIdEEEENS9_16discard_iteratorINS9_11use_defaultEEEd11max_functorIdEdEEDaPvRmT3_T4_T5_mT6_P12ihipStream_tbENKUlT_T0_E_clISt17integral_constantIbLb0EESX_EEDaSS_ST_EUlSS_E_NS1_11comp_targetILNS1_3genE4ELNS1_11target_archE910ELNS1_3gpuE8ELNS1_3repE0EEENS1_30default_config_static_selectorELNS0_4arch9wavefront6targetE1EEEvT1_
                                        ; -- End function
	.section	.AMDGPU.csdata,"",@progbits
; Kernel info:
; codeLenInByte = 5796
; NumSgprs: 24
; NumVgprs: 58
; NumAgprs: 0
; TotalNumVgprs: 58
; ScratchSize: 0
; MemoryBound: 0
; FloatMode: 240
; IeeeMode: 1
; LDSByteSize: 10240 bytes/workgroup (compile time only)
; SGPRBlocks: 2
; VGPRBlocks: 7
; NumSGPRsForWavesPerEU: 24
; NumVGPRsForWavesPerEU: 58
; AccumOffset: 60
; Occupancy: 3
; WaveLimiterHint : 1
; COMPUTE_PGM_RSRC2:SCRATCH_EN: 0
; COMPUTE_PGM_RSRC2:USER_SGPR: 6
; COMPUTE_PGM_RSRC2:TRAP_HANDLER: 0
; COMPUTE_PGM_RSRC2:TGID_X_EN: 1
; COMPUTE_PGM_RSRC2:TGID_Y_EN: 0
; COMPUTE_PGM_RSRC2:TGID_Z_EN: 0
; COMPUTE_PGM_RSRC2:TIDIG_COMP_CNT: 0
; COMPUTE_PGM_RSRC3_GFX90A:ACCUM_OFFSET: 14
; COMPUTE_PGM_RSRC3_GFX90A:TG_SPLIT: 0
	.section	.text._ZN7rocprim17ROCPRIM_400000_NS6detail17trampoline_kernelINS0_14default_configENS1_20scan_config_selectorIdEEZZNS1_9scan_implILNS1_25lookback_scan_determinismE0ELb0ELb0ES3_N6thrust23THRUST_200600_302600_NS6detail15normal_iteratorINS9_10device_ptrIdEEEENS9_16discard_iteratorINS9_11use_defaultEEEd11max_functorIdEdEEDaPvRmT3_T4_T5_mT6_P12ihipStream_tbENKUlT_T0_E_clISt17integral_constantIbLb0EESX_EEDaSS_ST_EUlSS_E_NS1_11comp_targetILNS1_3genE3ELNS1_11target_archE908ELNS1_3gpuE7ELNS1_3repE0EEENS1_30default_config_static_selectorELNS0_4arch9wavefront6targetE1EEEvT1_,"axG",@progbits,_ZN7rocprim17ROCPRIM_400000_NS6detail17trampoline_kernelINS0_14default_configENS1_20scan_config_selectorIdEEZZNS1_9scan_implILNS1_25lookback_scan_determinismE0ELb0ELb0ES3_N6thrust23THRUST_200600_302600_NS6detail15normal_iteratorINS9_10device_ptrIdEEEENS9_16discard_iteratorINS9_11use_defaultEEEd11max_functorIdEdEEDaPvRmT3_T4_T5_mT6_P12ihipStream_tbENKUlT_T0_E_clISt17integral_constantIbLb0EESX_EEDaSS_ST_EUlSS_E_NS1_11comp_targetILNS1_3genE3ELNS1_11target_archE908ELNS1_3gpuE7ELNS1_3repE0EEENS1_30default_config_static_selectorELNS0_4arch9wavefront6targetE1EEEvT1_,comdat
	.protected	_ZN7rocprim17ROCPRIM_400000_NS6detail17trampoline_kernelINS0_14default_configENS1_20scan_config_selectorIdEEZZNS1_9scan_implILNS1_25lookback_scan_determinismE0ELb0ELb0ES3_N6thrust23THRUST_200600_302600_NS6detail15normal_iteratorINS9_10device_ptrIdEEEENS9_16discard_iteratorINS9_11use_defaultEEEd11max_functorIdEdEEDaPvRmT3_T4_T5_mT6_P12ihipStream_tbENKUlT_T0_E_clISt17integral_constantIbLb0EESX_EEDaSS_ST_EUlSS_E_NS1_11comp_targetILNS1_3genE3ELNS1_11target_archE908ELNS1_3gpuE7ELNS1_3repE0EEENS1_30default_config_static_selectorELNS0_4arch9wavefront6targetE1EEEvT1_ ; -- Begin function _ZN7rocprim17ROCPRIM_400000_NS6detail17trampoline_kernelINS0_14default_configENS1_20scan_config_selectorIdEEZZNS1_9scan_implILNS1_25lookback_scan_determinismE0ELb0ELb0ES3_N6thrust23THRUST_200600_302600_NS6detail15normal_iteratorINS9_10device_ptrIdEEEENS9_16discard_iteratorINS9_11use_defaultEEEd11max_functorIdEdEEDaPvRmT3_T4_T5_mT6_P12ihipStream_tbENKUlT_T0_E_clISt17integral_constantIbLb0EESX_EEDaSS_ST_EUlSS_E_NS1_11comp_targetILNS1_3genE3ELNS1_11target_archE908ELNS1_3gpuE7ELNS1_3repE0EEENS1_30default_config_static_selectorELNS0_4arch9wavefront6targetE1EEEvT1_
	.globl	_ZN7rocprim17ROCPRIM_400000_NS6detail17trampoline_kernelINS0_14default_configENS1_20scan_config_selectorIdEEZZNS1_9scan_implILNS1_25lookback_scan_determinismE0ELb0ELb0ES3_N6thrust23THRUST_200600_302600_NS6detail15normal_iteratorINS9_10device_ptrIdEEEENS9_16discard_iteratorINS9_11use_defaultEEEd11max_functorIdEdEEDaPvRmT3_T4_T5_mT6_P12ihipStream_tbENKUlT_T0_E_clISt17integral_constantIbLb0EESX_EEDaSS_ST_EUlSS_E_NS1_11comp_targetILNS1_3genE3ELNS1_11target_archE908ELNS1_3gpuE7ELNS1_3repE0EEENS1_30default_config_static_selectorELNS0_4arch9wavefront6targetE1EEEvT1_
	.p2align	8
	.type	_ZN7rocprim17ROCPRIM_400000_NS6detail17trampoline_kernelINS0_14default_configENS1_20scan_config_selectorIdEEZZNS1_9scan_implILNS1_25lookback_scan_determinismE0ELb0ELb0ES3_N6thrust23THRUST_200600_302600_NS6detail15normal_iteratorINS9_10device_ptrIdEEEENS9_16discard_iteratorINS9_11use_defaultEEEd11max_functorIdEdEEDaPvRmT3_T4_T5_mT6_P12ihipStream_tbENKUlT_T0_E_clISt17integral_constantIbLb0EESX_EEDaSS_ST_EUlSS_E_NS1_11comp_targetILNS1_3genE3ELNS1_11target_archE908ELNS1_3gpuE7ELNS1_3repE0EEENS1_30default_config_static_selectorELNS0_4arch9wavefront6targetE1EEEvT1_,@function
_ZN7rocprim17ROCPRIM_400000_NS6detail17trampoline_kernelINS0_14default_configENS1_20scan_config_selectorIdEEZZNS1_9scan_implILNS1_25lookback_scan_determinismE0ELb0ELb0ES3_N6thrust23THRUST_200600_302600_NS6detail15normal_iteratorINS9_10device_ptrIdEEEENS9_16discard_iteratorINS9_11use_defaultEEEd11max_functorIdEdEEDaPvRmT3_T4_T5_mT6_P12ihipStream_tbENKUlT_T0_E_clISt17integral_constantIbLb0EESX_EEDaSS_ST_EUlSS_E_NS1_11comp_targetILNS1_3genE3ELNS1_11target_archE908ELNS1_3gpuE7ELNS1_3repE0EEENS1_30default_config_static_selectorELNS0_4arch9wavefront6targetE1EEEvT1_: ; @_ZN7rocprim17ROCPRIM_400000_NS6detail17trampoline_kernelINS0_14default_configENS1_20scan_config_selectorIdEEZZNS1_9scan_implILNS1_25lookback_scan_determinismE0ELb0ELb0ES3_N6thrust23THRUST_200600_302600_NS6detail15normal_iteratorINS9_10device_ptrIdEEEENS9_16discard_iteratorINS9_11use_defaultEEEd11max_functorIdEdEEDaPvRmT3_T4_T5_mT6_P12ihipStream_tbENKUlT_T0_E_clISt17integral_constantIbLb0EESX_EEDaSS_ST_EUlSS_E_NS1_11comp_targetILNS1_3genE3ELNS1_11target_archE908ELNS1_3gpuE7ELNS1_3repE0EEENS1_30default_config_static_selectorELNS0_4arch9wavefront6targetE1EEEvT1_
; %bb.0:
	.section	.rodata,"a",@progbits
	.p2align	6, 0x0
	.amdhsa_kernel _ZN7rocprim17ROCPRIM_400000_NS6detail17trampoline_kernelINS0_14default_configENS1_20scan_config_selectorIdEEZZNS1_9scan_implILNS1_25lookback_scan_determinismE0ELb0ELb0ES3_N6thrust23THRUST_200600_302600_NS6detail15normal_iteratorINS9_10device_ptrIdEEEENS9_16discard_iteratorINS9_11use_defaultEEEd11max_functorIdEdEEDaPvRmT3_T4_T5_mT6_P12ihipStream_tbENKUlT_T0_E_clISt17integral_constantIbLb0EESX_EEDaSS_ST_EUlSS_E_NS1_11comp_targetILNS1_3genE3ELNS1_11target_archE908ELNS1_3gpuE7ELNS1_3repE0EEENS1_30default_config_static_selectorELNS0_4arch9wavefront6targetE1EEEvT1_
		.amdhsa_group_segment_fixed_size 0
		.amdhsa_private_segment_fixed_size 0
		.amdhsa_kernarg_size 112
		.amdhsa_user_sgpr_count 6
		.amdhsa_user_sgpr_private_segment_buffer 1
		.amdhsa_user_sgpr_dispatch_ptr 0
		.amdhsa_user_sgpr_queue_ptr 0
		.amdhsa_user_sgpr_kernarg_segment_ptr 1
		.amdhsa_user_sgpr_dispatch_id 0
		.amdhsa_user_sgpr_flat_scratch_init 0
		.amdhsa_user_sgpr_kernarg_preload_length 0
		.amdhsa_user_sgpr_kernarg_preload_offset 0
		.amdhsa_user_sgpr_private_segment_size 0
		.amdhsa_uses_dynamic_stack 0
		.amdhsa_system_sgpr_private_segment_wavefront_offset 0
		.amdhsa_system_sgpr_workgroup_id_x 1
		.amdhsa_system_sgpr_workgroup_id_y 0
		.amdhsa_system_sgpr_workgroup_id_z 0
		.amdhsa_system_sgpr_workgroup_info 0
		.amdhsa_system_vgpr_workitem_id 0
		.amdhsa_next_free_vgpr 1
		.amdhsa_next_free_sgpr 0
		.amdhsa_accum_offset 4
		.amdhsa_reserve_vcc 0
		.amdhsa_reserve_flat_scratch 0
		.amdhsa_float_round_mode_32 0
		.amdhsa_float_round_mode_16_64 0
		.amdhsa_float_denorm_mode_32 3
		.amdhsa_float_denorm_mode_16_64 3
		.amdhsa_dx10_clamp 1
		.amdhsa_ieee_mode 1
		.amdhsa_fp16_overflow 0
		.amdhsa_tg_split 0
		.amdhsa_exception_fp_ieee_invalid_op 0
		.amdhsa_exception_fp_denorm_src 0
		.amdhsa_exception_fp_ieee_div_zero 0
		.amdhsa_exception_fp_ieee_overflow 0
		.amdhsa_exception_fp_ieee_underflow 0
		.amdhsa_exception_fp_ieee_inexact 0
		.amdhsa_exception_int_div_zero 0
	.end_amdhsa_kernel
	.section	.text._ZN7rocprim17ROCPRIM_400000_NS6detail17trampoline_kernelINS0_14default_configENS1_20scan_config_selectorIdEEZZNS1_9scan_implILNS1_25lookback_scan_determinismE0ELb0ELb0ES3_N6thrust23THRUST_200600_302600_NS6detail15normal_iteratorINS9_10device_ptrIdEEEENS9_16discard_iteratorINS9_11use_defaultEEEd11max_functorIdEdEEDaPvRmT3_T4_T5_mT6_P12ihipStream_tbENKUlT_T0_E_clISt17integral_constantIbLb0EESX_EEDaSS_ST_EUlSS_E_NS1_11comp_targetILNS1_3genE3ELNS1_11target_archE908ELNS1_3gpuE7ELNS1_3repE0EEENS1_30default_config_static_selectorELNS0_4arch9wavefront6targetE1EEEvT1_,"axG",@progbits,_ZN7rocprim17ROCPRIM_400000_NS6detail17trampoline_kernelINS0_14default_configENS1_20scan_config_selectorIdEEZZNS1_9scan_implILNS1_25lookback_scan_determinismE0ELb0ELb0ES3_N6thrust23THRUST_200600_302600_NS6detail15normal_iteratorINS9_10device_ptrIdEEEENS9_16discard_iteratorINS9_11use_defaultEEEd11max_functorIdEdEEDaPvRmT3_T4_T5_mT6_P12ihipStream_tbENKUlT_T0_E_clISt17integral_constantIbLb0EESX_EEDaSS_ST_EUlSS_E_NS1_11comp_targetILNS1_3genE3ELNS1_11target_archE908ELNS1_3gpuE7ELNS1_3repE0EEENS1_30default_config_static_selectorELNS0_4arch9wavefront6targetE1EEEvT1_,comdat
.Lfunc_end2993:
	.size	_ZN7rocprim17ROCPRIM_400000_NS6detail17trampoline_kernelINS0_14default_configENS1_20scan_config_selectorIdEEZZNS1_9scan_implILNS1_25lookback_scan_determinismE0ELb0ELb0ES3_N6thrust23THRUST_200600_302600_NS6detail15normal_iteratorINS9_10device_ptrIdEEEENS9_16discard_iteratorINS9_11use_defaultEEEd11max_functorIdEdEEDaPvRmT3_T4_T5_mT6_P12ihipStream_tbENKUlT_T0_E_clISt17integral_constantIbLb0EESX_EEDaSS_ST_EUlSS_E_NS1_11comp_targetILNS1_3genE3ELNS1_11target_archE908ELNS1_3gpuE7ELNS1_3repE0EEENS1_30default_config_static_selectorELNS0_4arch9wavefront6targetE1EEEvT1_, .Lfunc_end2993-_ZN7rocprim17ROCPRIM_400000_NS6detail17trampoline_kernelINS0_14default_configENS1_20scan_config_selectorIdEEZZNS1_9scan_implILNS1_25lookback_scan_determinismE0ELb0ELb0ES3_N6thrust23THRUST_200600_302600_NS6detail15normal_iteratorINS9_10device_ptrIdEEEENS9_16discard_iteratorINS9_11use_defaultEEEd11max_functorIdEdEEDaPvRmT3_T4_T5_mT6_P12ihipStream_tbENKUlT_T0_E_clISt17integral_constantIbLb0EESX_EEDaSS_ST_EUlSS_E_NS1_11comp_targetILNS1_3genE3ELNS1_11target_archE908ELNS1_3gpuE7ELNS1_3repE0EEENS1_30default_config_static_selectorELNS0_4arch9wavefront6targetE1EEEvT1_
                                        ; -- End function
	.section	.AMDGPU.csdata,"",@progbits
; Kernel info:
; codeLenInByte = 0
; NumSgprs: 4
; NumVgprs: 0
; NumAgprs: 0
; TotalNumVgprs: 0
; ScratchSize: 0
; MemoryBound: 0
; FloatMode: 240
; IeeeMode: 1
; LDSByteSize: 0 bytes/workgroup (compile time only)
; SGPRBlocks: 0
; VGPRBlocks: 0
; NumSGPRsForWavesPerEU: 4
; NumVGPRsForWavesPerEU: 1
; AccumOffset: 4
; Occupancy: 8
; WaveLimiterHint : 0
; COMPUTE_PGM_RSRC2:SCRATCH_EN: 0
; COMPUTE_PGM_RSRC2:USER_SGPR: 6
; COMPUTE_PGM_RSRC2:TRAP_HANDLER: 0
; COMPUTE_PGM_RSRC2:TGID_X_EN: 1
; COMPUTE_PGM_RSRC2:TGID_Y_EN: 0
; COMPUTE_PGM_RSRC2:TGID_Z_EN: 0
; COMPUTE_PGM_RSRC2:TIDIG_COMP_CNT: 0
; COMPUTE_PGM_RSRC3_GFX90A:ACCUM_OFFSET: 0
; COMPUTE_PGM_RSRC3_GFX90A:TG_SPLIT: 0
	.section	.text._ZN7rocprim17ROCPRIM_400000_NS6detail17trampoline_kernelINS0_14default_configENS1_20scan_config_selectorIdEEZZNS1_9scan_implILNS1_25lookback_scan_determinismE0ELb0ELb0ES3_N6thrust23THRUST_200600_302600_NS6detail15normal_iteratorINS9_10device_ptrIdEEEENS9_16discard_iteratorINS9_11use_defaultEEEd11max_functorIdEdEEDaPvRmT3_T4_T5_mT6_P12ihipStream_tbENKUlT_T0_E_clISt17integral_constantIbLb0EESX_EEDaSS_ST_EUlSS_E_NS1_11comp_targetILNS1_3genE2ELNS1_11target_archE906ELNS1_3gpuE6ELNS1_3repE0EEENS1_30default_config_static_selectorELNS0_4arch9wavefront6targetE1EEEvT1_,"axG",@progbits,_ZN7rocprim17ROCPRIM_400000_NS6detail17trampoline_kernelINS0_14default_configENS1_20scan_config_selectorIdEEZZNS1_9scan_implILNS1_25lookback_scan_determinismE0ELb0ELb0ES3_N6thrust23THRUST_200600_302600_NS6detail15normal_iteratorINS9_10device_ptrIdEEEENS9_16discard_iteratorINS9_11use_defaultEEEd11max_functorIdEdEEDaPvRmT3_T4_T5_mT6_P12ihipStream_tbENKUlT_T0_E_clISt17integral_constantIbLb0EESX_EEDaSS_ST_EUlSS_E_NS1_11comp_targetILNS1_3genE2ELNS1_11target_archE906ELNS1_3gpuE6ELNS1_3repE0EEENS1_30default_config_static_selectorELNS0_4arch9wavefront6targetE1EEEvT1_,comdat
	.protected	_ZN7rocprim17ROCPRIM_400000_NS6detail17trampoline_kernelINS0_14default_configENS1_20scan_config_selectorIdEEZZNS1_9scan_implILNS1_25lookback_scan_determinismE0ELb0ELb0ES3_N6thrust23THRUST_200600_302600_NS6detail15normal_iteratorINS9_10device_ptrIdEEEENS9_16discard_iteratorINS9_11use_defaultEEEd11max_functorIdEdEEDaPvRmT3_T4_T5_mT6_P12ihipStream_tbENKUlT_T0_E_clISt17integral_constantIbLb0EESX_EEDaSS_ST_EUlSS_E_NS1_11comp_targetILNS1_3genE2ELNS1_11target_archE906ELNS1_3gpuE6ELNS1_3repE0EEENS1_30default_config_static_selectorELNS0_4arch9wavefront6targetE1EEEvT1_ ; -- Begin function _ZN7rocprim17ROCPRIM_400000_NS6detail17trampoline_kernelINS0_14default_configENS1_20scan_config_selectorIdEEZZNS1_9scan_implILNS1_25lookback_scan_determinismE0ELb0ELb0ES3_N6thrust23THRUST_200600_302600_NS6detail15normal_iteratorINS9_10device_ptrIdEEEENS9_16discard_iteratorINS9_11use_defaultEEEd11max_functorIdEdEEDaPvRmT3_T4_T5_mT6_P12ihipStream_tbENKUlT_T0_E_clISt17integral_constantIbLb0EESX_EEDaSS_ST_EUlSS_E_NS1_11comp_targetILNS1_3genE2ELNS1_11target_archE906ELNS1_3gpuE6ELNS1_3repE0EEENS1_30default_config_static_selectorELNS0_4arch9wavefront6targetE1EEEvT1_
	.globl	_ZN7rocprim17ROCPRIM_400000_NS6detail17trampoline_kernelINS0_14default_configENS1_20scan_config_selectorIdEEZZNS1_9scan_implILNS1_25lookback_scan_determinismE0ELb0ELb0ES3_N6thrust23THRUST_200600_302600_NS6detail15normal_iteratorINS9_10device_ptrIdEEEENS9_16discard_iteratorINS9_11use_defaultEEEd11max_functorIdEdEEDaPvRmT3_T4_T5_mT6_P12ihipStream_tbENKUlT_T0_E_clISt17integral_constantIbLb0EESX_EEDaSS_ST_EUlSS_E_NS1_11comp_targetILNS1_3genE2ELNS1_11target_archE906ELNS1_3gpuE6ELNS1_3repE0EEENS1_30default_config_static_selectorELNS0_4arch9wavefront6targetE1EEEvT1_
	.p2align	8
	.type	_ZN7rocprim17ROCPRIM_400000_NS6detail17trampoline_kernelINS0_14default_configENS1_20scan_config_selectorIdEEZZNS1_9scan_implILNS1_25lookback_scan_determinismE0ELb0ELb0ES3_N6thrust23THRUST_200600_302600_NS6detail15normal_iteratorINS9_10device_ptrIdEEEENS9_16discard_iteratorINS9_11use_defaultEEEd11max_functorIdEdEEDaPvRmT3_T4_T5_mT6_P12ihipStream_tbENKUlT_T0_E_clISt17integral_constantIbLb0EESX_EEDaSS_ST_EUlSS_E_NS1_11comp_targetILNS1_3genE2ELNS1_11target_archE906ELNS1_3gpuE6ELNS1_3repE0EEENS1_30default_config_static_selectorELNS0_4arch9wavefront6targetE1EEEvT1_,@function
_ZN7rocprim17ROCPRIM_400000_NS6detail17trampoline_kernelINS0_14default_configENS1_20scan_config_selectorIdEEZZNS1_9scan_implILNS1_25lookback_scan_determinismE0ELb0ELb0ES3_N6thrust23THRUST_200600_302600_NS6detail15normal_iteratorINS9_10device_ptrIdEEEENS9_16discard_iteratorINS9_11use_defaultEEEd11max_functorIdEdEEDaPvRmT3_T4_T5_mT6_P12ihipStream_tbENKUlT_T0_E_clISt17integral_constantIbLb0EESX_EEDaSS_ST_EUlSS_E_NS1_11comp_targetILNS1_3genE2ELNS1_11target_archE906ELNS1_3gpuE6ELNS1_3repE0EEENS1_30default_config_static_selectorELNS0_4arch9wavefront6targetE1EEEvT1_: ; @_ZN7rocprim17ROCPRIM_400000_NS6detail17trampoline_kernelINS0_14default_configENS1_20scan_config_selectorIdEEZZNS1_9scan_implILNS1_25lookback_scan_determinismE0ELb0ELb0ES3_N6thrust23THRUST_200600_302600_NS6detail15normal_iteratorINS9_10device_ptrIdEEEENS9_16discard_iteratorINS9_11use_defaultEEEd11max_functorIdEdEEDaPvRmT3_T4_T5_mT6_P12ihipStream_tbENKUlT_T0_E_clISt17integral_constantIbLb0EESX_EEDaSS_ST_EUlSS_E_NS1_11comp_targetILNS1_3genE2ELNS1_11target_archE906ELNS1_3gpuE6ELNS1_3repE0EEENS1_30default_config_static_selectorELNS0_4arch9wavefront6targetE1EEEvT1_
; %bb.0:
	.section	.rodata,"a",@progbits
	.p2align	6, 0x0
	.amdhsa_kernel _ZN7rocprim17ROCPRIM_400000_NS6detail17trampoline_kernelINS0_14default_configENS1_20scan_config_selectorIdEEZZNS1_9scan_implILNS1_25lookback_scan_determinismE0ELb0ELb0ES3_N6thrust23THRUST_200600_302600_NS6detail15normal_iteratorINS9_10device_ptrIdEEEENS9_16discard_iteratorINS9_11use_defaultEEEd11max_functorIdEdEEDaPvRmT3_T4_T5_mT6_P12ihipStream_tbENKUlT_T0_E_clISt17integral_constantIbLb0EESX_EEDaSS_ST_EUlSS_E_NS1_11comp_targetILNS1_3genE2ELNS1_11target_archE906ELNS1_3gpuE6ELNS1_3repE0EEENS1_30default_config_static_selectorELNS0_4arch9wavefront6targetE1EEEvT1_
		.amdhsa_group_segment_fixed_size 0
		.amdhsa_private_segment_fixed_size 0
		.amdhsa_kernarg_size 112
		.amdhsa_user_sgpr_count 6
		.amdhsa_user_sgpr_private_segment_buffer 1
		.amdhsa_user_sgpr_dispatch_ptr 0
		.amdhsa_user_sgpr_queue_ptr 0
		.amdhsa_user_sgpr_kernarg_segment_ptr 1
		.amdhsa_user_sgpr_dispatch_id 0
		.amdhsa_user_sgpr_flat_scratch_init 0
		.amdhsa_user_sgpr_kernarg_preload_length 0
		.amdhsa_user_sgpr_kernarg_preload_offset 0
		.amdhsa_user_sgpr_private_segment_size 0
		.amdhsa_uses_dynamic_stack 0
		.amdhsa_system_sgpr_private_segment_wavefront_offset 0
		.amdhsa_system_sgpr_workgroup_id_x 1
		.amdhsa_system_sgpr_workgroup_id_y 0
		.amdhsa_system_sgpr_workgroup_id_z 0
		.amdhsa_system_sgpr_workgroup_info 0
		.amdhsa_system_vgpr_workitem_id 0
		.amdhsa_next_free_vgpr 1
		.amdhsa_next_free_sgpr 0
		.amdhsa_accum_offset 4
		.amdhsa_reserve_vcc 0
		.amdhsa_reserve_flat_scratch 0
		.amdhsa_float_round_mode_32 0
		.amdhsa_float_round_mode_16_64 0
		.amdhsa_float_denorm_mode_32 3
		.amdhsa_float_denorm_mode_16_64 3
		.amdhsa_dx10_clamp 1
		.amdhsa_ieee_mode 1
		.amdhsa_fp16_overflow 0
		.amdhsa_tg_split 0
		.amdhsa_exception_fp_ieee_invalid_op 0
		.amdhsa_exception_fp_denorm_src 0
		.amdhsa_exception_fp_ieee_div_zero 0
		.amdhsa_exception_fp_ieee_overflow 0
		.amdhsa_exception_fp_ieee_underflow 0
		.amdhsa_exception_fp_ieee_inexact 0
		.amdhsa_exception_int_div_zero 0
	.end_amdhsa_kernel
	.section	.text._ZN7rocprim17ROCPRIM_400000_NS6detail17trampoline_kernelINS0_14default_configENS1_20scan_config_selectorIdEEZZNS1_9scan_implILNS1_25lookback_scan_determinismE0ELb0ELb0ES3_N6thrust23THRUST_200600_302600_NS6detail15normal_iteratorINS9_10device_ptrIdEEEENS9_16discard_iteratorINS9_11use_defaultEEEd11max_functorIdEdEEDaPvRmT3_T4_T5_mT6_P12ihipStream_tbENKUlT_T0_E_clISt17integral_constantIbLb0EESX_EEDaSS_ST_EUlSS_E_NS1_11comp_targetILNS1_3genE2ELNS1_11target_archE906ELNS1_3gpuE6ELNS1_3repE0EEENS1_30default_config_static_selectorELNS0_4arch9wavefront6targetE1EEEvT1_,"axG",@progbits,_ZN7rocprim17ROCPRIM_400000_NS6detail17trampoline_kernelINS0_14default_configENS1_20scan_config_selectorIdEEZZNS1_9scan_implILNS1_25lookback_scan_determinismE0ELb0ELb0ES3_N6thrust23THRUST_200600_302600_NS6detail15normal_iteratorINS9_10device_ptrIdEEEENS9_16discard_iteratorINS9_11use_defaultEEEd11max_functorIdEdEEDaPvRmT3_T4_T5_mT6_P12ihipStream_tbENKUlT_T0_E_clISt17integral_constantIbLb0EESX_EEDaSS_ST_EUlSS_E_NS1_11comp_targetILNS1_3genE2ELNS1_11target_archE906ELNS1_3gpuE6ELNS1_3repE0EEENS1_30default_config_static_selectorELNS0_4arch9wavefront6targetE1EEEvT1_,comdat
.Lfunc_end2994:
	.size	_ZN7rocprim17ROCPRIM_400000_NS6detail17trampoline_kernelINS0_14default_configENS1_20scan_config_selectorIdEEZZNS1_9scan_implILNS1_25lookback_scan_determinismE0ELb0ELb0ES3_N6thrust23THRUST_200600_302600_NS6detail15normal_iteratorINS9_10device_ptrIdEEEENS9_16discard_iteratorINS9_11use_defaultEEEd11max_functorIdEdEEDaPvRmT3_T4_T5_mT6_P12ihipStream_tbENKUlT_T0_E_clISt17integral_constantIbLb0EESX_EEDaSS_ST_EUlSS_E_NS1_11comp_targetILNS1_3genE2ELNS1_11target_archE906ELNS1_3gpuE6ELNS1_3repE0EEENS1_30default_config_static_selectorELNS0_4arch9wavefront6targetE1EEEvT1_, .Lfunc_end2994-_ZN7rocprim17ROCPRIM_400000_NS6detail17trampoline_kernelINS0_14default_configENS1_20scan_config_selectorIdEEZZNS1_9scan_implILNS1_25lookback_scan_determinismE0ELb0ELb0ES3_N6thrust23THRUST_200600_302600_NS6detail15normal_iteratorINS9_10device_ptrIdEEEENS9_16discard_iteratorINS9_11use_defaultEEEd11max_functorIdEdEEDaPvRmT3_T4_T5_mT6_P12ihipStream_tbENKUlT_T0_E_clISt17integral_constantIbLb0EESX_EEDaSS_ST_EUlSS_E_NS1_11comp_targetILNS1_3genE2ELNS1_11target_archE906ELNS1_3gpuE6ELNS1_3repE0EEENS1_30default_config_static_selectorELNS0_4arch9wavefront6targetE1EEEvT1_
                                        ; -- End function
	.section	.AMDGPU.csdata,"",@progbits
; Kernel info:
; codeLenInByte = 0
; NumSgprs: 4
; NumVgprs: 0
; NumAgprs: 0
; TotalNumVgprs: 0
; ScratchSize: 0
; MemoryBound: 0
; FloatMode: 240
; IeeeMode: 1
; LDSByteSize: 0 bytes/workgroup (compile time only)
; SGPRBlocks: 0
; VGPRBlocks: 0
; NumSGPRsForWavesPerEU: 4
; NumVGPRsForWavesPerEU: 1
; AccumOffset: 4
; Occupancy: 8
; WaveLimiterHint : 0
; COMPUTE_PGM_RSRC2:SCRATCH_EN: 0
; COMPUTE_PGM_RSRC2:USER_SGPR: 6
; COMPUTE_PGM_RSRC2:TRAP_HANDLER: 0
; COMPUTE_PGM_RSRC2:TGID_X_EN: 1
; COMPUTE_PGM_RSRC2:TGID_Y_EN: 0
; COMPUTE_PGM_RSRC2:TGID_Z_EN: 0
; COMPUTE_PGM_RSRC2:TIDIG_COMP_CNT: 0
; COMPUTE_PGM_RSRC3_GFX90A:ACCUM_OFFSET: 0
; COMPUTE_PGM_RSRC3_GFX90A:TG_SPLIT: 0
	.section	.text._ZN7rocprim17ROCPRIM_400000_NS6detail17trampoline_kernelINS0_14default_configENS1_20scan_config_selectorIdEEZZNS1_9scan_implILNS1_25lookback_scan_determinismE0ELb0ELb0ES3_N6thrust23THRUST_200600_302600_NS6detail15normal_iteratorINS9_10device_ptrIdEEEENS9_16discard_iteratorINS9_11use_defaultEEEd11max_functorIdEdEEDaPvRmT3_T4_T5_mT6_P12ihipStream_tbENKUlT_T0_E_clISt17integral_constantIbLb0EESX_EEDaSS_ST_EUlSS_E_NS1_11comp_targetILNS1_3genE10ELNS1_11target_archE1201ELNS1_3gpuE5ELNS1_3repE0EEENS1_30default_config_static_selectorELNS0_4arch9wavefront6targetE1EEEvT1_,"axG",@progbits,_ZN7rocprim17ROCPRIM_400000_NS6detail17trampoline_kernelINS0_14default_configENS1_20scan_config_selectorIdEEZZNS1_9scan_implILNS1_25lookback_scan_determinismE0ELb0ELb0ES3_N6thrust23THRUST_200600_302600_NS6detail15normal_iteratorINS9_10device_ptrIdEEEENS9_16discard_iteratorINS9_11use_defaultEEEd11max_functorIdEdEEDaPvRmT3_T4_T5_mT6_P12ihipStream_tbENKUlT_T0_E_clISt17integral_constantIbLb0EESX_EEDaSS_ST_EUlSS_E_NS1_11comp_targetILNS1_3genE10ELNS1_11target_archE1201ELNS1_3gpuE5ELNS1_3repE0EEENS1_30default_config_static_selectorELNS0_4arch9wavefront6targetE1EEEvT1_,comdat
	.protected	_ZN7rocprim17ROCPRIM_400000_NS6detail17trampoline_kernelINS0_14default_configENS1_20scan_config_selectorIdEEZZNS1_9scan_implILNS1_25lookback_scan_determinismE0ELb0ELb0ES3_N6thrust23THRUST_200600_302600_NS6detail15normal_iteratorINS9_10device_ptrIdEEEENS9_16discard_iteratorINS9_11use_defaultEEEd11max_functorIdEdEEDaPvRmT3_T4_T5_mT6_P12ihipStream_tbENKUlT_T0_E_clISt17integral_constantIbLb0EESX_EEDaSS_ST_EUlSS_E_NS1_11comp_targetILNS1_3genE10ELNS1_11target_archE1201ELNS1_3gpuE5ELNS1_3repE0EEENS1_30default_config_static_selectorELNS0_4arch9wavefront6targetE1EEEvT1_ ; -- Begin function _ZN7rocprim17ROCPRIM_400000_NS6detail17trampoline_kernelINS0_14default_configENS1_20scan_config_selectorIdEEZZNS1_9scan_implILNS1_25lookback_scan_determinismE0ELb0ELb0ES3_N6thrust23THRUST_200600_302600_NS6detail15normal_iteratorINS9_10device_ptrIdEEEENS9_16discard_iteratorINS9_11use_defaultEEEd11max_functorIdEdEEDaPvRmT3_T4_T5_mT6_P12ihipStream_tbENKUlT_T0_E_clISt17integral_constantIbLb0EESX_EEDaSS_ST_EUlSS_E_NS1_11comp_targetILNS1_3genE10ELNS1_11target_archE1201ELNS1_3gpuE5ELNS1_3repE0EEENS1_30default_config_static_selectorELNS0_4arch9wavefront6targetE1EEEvT1_
	.globl	_ZN7rocprim17ROCPRIM_400000_NS6detail17trampoline_kernelINS0_14default_configENS1_20scan_config_selectorIdEEZZNS1_9scan_implILNS1_25lookback_scan_determinismE0ELb0ELb0ES3_N6thrust23THRUST_200600_302600_NS6detail15normal_iteratorINS9_10device_ptrIdEEEENS9_16discard_iteratorINS9_11use_defaultEEEd11max_functorIdEdEEDaPvRmT3_T4_T5_mT6_P12ihipStream_tbENKUlT_T0_E_clISt17integral_constantIbLb0EESX_EEDaSS_ST_EUlSS_E_NS1_11comp_targetILNS1_3genE10ELNS1_11target_archE1201ELNS1_3gpuE5ELNS1_3repE0EEENS1_30default_config_static_selectorELNS0_4arch9wavefront6targetE1EEEvT1_
	.p2align	8
	.type	_ZN7rocprim17ROCPRIM_400000_NS6detail17trampoline_kernelINS0_14default_configENS1_20scan_config_selectorIdEEZZNS1_9scan_implILNS1_25lookback_scan_determinismE0ELb0ELb0ES3_N6thrust23THRUST_200600_302600_NS6detail15normal_iteratorINS9_10device_ptrIdEEEENS9_16discard_iteratorINS9_11use_defaultEEEd11max_functorIdEdEEDaPvRmT3_T4_T5_mT6_P12ihipStream_tbENKUlT_T0_E_clISt17integral_constantIbLb0EESX_EEDaSS_ST_EUlSS_E_NS1_11comp_targetILNS1_3genE10ELNS1_11target_archE1201ELNS1_3gpuE5ELNS1_3repE0EEENS1_30default_config_static_selectorELNS0_4arch9wavefront6targetE1EEEvT1_,@function
_ZN7rocprim17ROCPRIM_400000_NS6detail17trampoline_kernelINS0_14default_configENS1_20scan_config_selectorIdEEZZNS1_9scan_implILNS1_25lookback_scan_determinismE0ELb0ELb0ES3_N6thrust23THRUST_200600_302600_NS6detail15normal_iteratorINS9_10device_ptrIdEEEENS9_16discard_iteratorINS9_11use_defaultEEEd11max_functorIdEdEEDaPvRmT3_T4_T5_mT6_P12ihipStream_tbENKUlT_T0_E_clISt17integral_constantIbLb0EESX_EEDaSS_ST_EUlSS_E_NS1_11comp_targetILNS1_3genE10ELNS1_11target_archE1201ELNS1_3gpuE5ELNS1_3repE0EEENS1_30default_config_static_selectorELNS0_4arch9wavefront6targetE1EEEvT1_: ; @_ZN7rocprim17ROCPRIM_400000_NS6detail17trampoline_kernelINS0_14default_configENS1_20scan_config_selectorIdEEZZNS1_9scan_implILNS1_25lookback_scan_determinismE0ELb0ELb0ES3_N6thrust23THRUST_200600_302600_NS6detail15normal_iteratorINS9_10device_ptrIdEEEENS9_16discard_iteratorINS9_11use_defaultEEEd11max_functorIdEdEEDaPvRmT3_T4_T5_mT6_P12ihipStream_tbENKUlT_T0_E_clISt17integral_constantIbLb0EESX_EEDaSS_ST_EUlSS_E_NS1_11comp_targetILNS1_3genE10ELNS1_11target_archE1201ELNS1_3gpuE5ELNS1_3repE0EEENS1_30default_config_static_selectorELNS0_4arch9wavefront6targetE1EEEvT1_
; %bb.0:
	.section	.rodata,"a",@progbits
	.p2align	6, 0x0
	.amdhsa_kernel _ZN7rocprim17ROCPRIM_400000_NS6detail17trampoline_kernelINS0_14default_configENS1_20scan_config_selectorIdEEZZNS1_9scan_implILNS1_25lookback_scan_determinismE0ELb0ELb0ES3_N6thrust23THRUST_200600_302600_NS6detail15normal_iteratorINS9_10device_ptrIdEEEENS9_16discard_iteratorINS9_11use_defaultEEEd11max_functorIdEdEEDaPvRmT3_T4_T5_mT6_P12ihipStream_tbENKUlT_T0_E_clISt17integral_constantIbLb0EESX_EEDaSS_ST_EUlSS_E_NS1_11comp_targetILNS1_3genE10ELNS1_11target_archE1201ELNS1_3gpuE5ELNS1_3repE0EEENS1_30default_config_static_selectorELNS0_4arch9wavefront6targetE1EEEvT1_
		.amdhsa_group_segment_fixed_size 0
		.amdhsa_private_segment_fixed_size 0
		.amdhsa_kernarg_size 112
		.amdhsa_user_sgpr_count 6
		.amdhsa_user_sgpr_private_segment_buffer 1
		.amdhsa_user_sgpr_dispatch_ptr 0
		.amdhsa_user_sgpr_queue_ptr 0
		.amdhsa_user_sgpr_kernarg_segment_ptr 1
		.amdhsa_user_sgpr_dispatch_id 0
		.amdhsa_user_sgpr_flat_scratch_init 0
		.amdhsa_user_sgpr_kernarg_preload_length 0
		.amdhsa_user_sgpr_kernarg_preload_offset 0
		.amdhsa_user_sgpr_private_segment_size 0
		.amdhsa_uses_dynamic_stack 0
		.amdhsa_system_sgpr_private_segment_wavefront_offset 0
		.amdhsa_system_sgpr_workgroup_id_x 1
		.amdhsa_system_sgpr_workgroup_id_y 0
		.amdhsa_system_sgpr_workgroup_id_z 0
		.amdhsa_system_sgpr_workgroup_info 0
		.amdhsa_system_vgpr_workitem_id 0
		.amdhsa_next_free_vgpr 1
		.amdhsa_next_free_sgpr 0
		.amdhsa_accum_offset 4
		.amdhsa_reserve_vcc 0
		.amdhsa_reserve_flat_scratch 0
		.amdhsa_float_round_mode_32 0
		.amdhsa_float_round_mode_16_64 0
		.amdhsa_float_denorm_mode_32 3
		.amdhsa_float_denorm_mode_16_64 3
		.amdhsa_dx10_clamp 1
		.amdhsa_ieee_mode 1
		.amdhsa_fp16_overflow 0
		.amdhsa_tg_split 0
		.amdhsa_exception_fp_ieee_invalid_op 0
		.amdhsa_exception_fp_denorm_src 0
		.amdhsa_exception_fp_ieee_div_zero 0
		.amdhsa_exception_fp_ieee_overflow 0
		.amdhsa_exception_fp_ieee_underflow 0
		.amdhsa_exception_fp_ieee_inexact 0
		.amdhsa_exception_int_div_zero 0
	.end_amdhsa_kernel
	.section	.text._ZN7rocprim17ROCPRIM_400000_NS6detail17trampoline_kernelINS0_14default_configENS1_20scan_config_selectorIdEEZZNS1_9scan_implILNS1_25lookback_scan_determinismE0ELb0ELb0ES3_N6thrust23THRUST_200600_302600_NS6detail15normal_iteratorINS9_10device_ptrIdEEEENS9_16discard_iteratorINS9_11use_defaultEEEd11max_functorIdEdEEDaPvRmT3_T4_T5_mT6_P12ihipStream_tbENKUlT_T0_E_clISt17integral_constantIbLb0EESX_EEDaSS_ST_EUlSS_E_NS1_11comp_targetILNS1_3genE10ELNS1_11target_archE1201ELNS1_3gpuE5ELNS1_3repE0EEENS1_30default_config_static_selectorELNS0_4arch9wavefront6targetE1EEEvT1_,"axG",@progbits,_ZN7rocprim17ROCPRIM_400000_NS6detail17trampoline_kernelINS0_14default_configENS1_20scan_config_selectorIdEEZZNS1_9scan_implILNS1_25lookback_scan_determinismE0ELb0ELb0ES3_N6thrust23THRUST_200600_302600_NS6detail15normal_iteratorINS9_10device_ptrIdEEEENS9_16discard_iteratorINS9_11use_defaultEEEd11max_functorIdEdEEDaPvRmT3_T4_T5_mT6_P12ihipStream_tbENKUlT_T0_E_clISt17integral_constantIbLb0EESX_EEDaSS_ST_EUlSS_E_NS1_11comp_targetILNS1_3genE10ELNS1_11target_archE1201ELNS1_3gpuE5ELNS1_3repE0EEENS1_30default_config_static_selectorELNS0_4arch9wavefront6targetE1EEEvT1_,comdat
.Lfunc_end2995:
	.size	_ZN7rocprim17ROCPRIM_400000_NS6detail17trampoline_kernelINS0_14default_configENS1_20scan_config_selectorIdEEZZNS1_9scan_implILNS1_25lookback_scan_determinismE0ELb0ELb0ES3_N6thrust23THRUST_200600_302600_NS6detail15normal_iteratorINS9_10device_ptrIdEEEENS9_16discard_iteratorINS9_11use_defaultEEEd11max_functorIdEdEEDaPvRmT3_T4_T5_mT6_P12ihipStream_tbENKUlT_T0_E_clISt17integral_constantIbLb0EESX_EEDaSS_ST_EUlSS_E_NS1_11comp_targetILNS1_3genE10ELNS1_11target_archE1201ELNS1_3gpuE5ELNS1_3repE0EEENS1_30default_config_static_selectorELNS0_4arch9wavefront6targetE1EEEvT1_, .Lfunc_end2995-_ZN7rocprim17ROCPRIM_400000_NS6detail17trampoline_kernelINS0_14default_configENS1_20scan_config_selectorIdEEZZNS1_9scan_implILNS1_25lookback_scan_determinismE0ELb0ELb0ES3_N6thrust23THRUST_200600_302600_NS6detail15normal_iteratorINS9_10device_ptrIdEEEENS9_16discard_iteratorINS9_11use_defaultEEEd11max_functorIdEdEEDaPvRmT3_T4_T5_mT6_P12ihipStream_tbENKUlT_T0_E_clISt17integral_constantIbLb0EESX_EEDaSS_ST_EUlSS_E_NS1_11comp_targetILNS1_3genE10ELNS1_11target_archE1201ELNS1_3gpuE5ELNS1_3repE0EEENS1_30default_config_static_selectorELNS0_4arch9wavefront6targetE1EEEvT1_
                                        ; -- End function
	.section	.AMDGPU.csdata,"",@progbits
; Kernel info:
; codeLenInByte = 0
; NumSgprs: 4
; NumVgprs: 0
; NumAgprs: 0
; TotalNumVgprs: 0
; ScratchSize: 0
; MemoryBound: 0
; FloatMode: 240
; IeeeMode: 1
; LDSByteSize: 0 bytes/workgroup (compile time only)
; SGPRBlocks: 0
; VGPRBlocks: 0
; NumSGPRsForWavesPerEU: 4
; NumVGPRsForWavesPerEU: 1
; AccumOffset: 4
; Occupancy: 8
; WaveLimiterHint : 0
; COMPUTE_PGM_RSRC2:SCRATCH_EN: 0
; COMPUTE_PGM_RSRC2:USER_SGPR: 6
; COMPUTE_PGM_RSRC2:TRAP_HANDLER: 0
; COMPUTE_PGM_RSRC2:TGID_X_EN: 1
; COMPUTE_PGM_RSRC2:TGID_Y_EN: 0
; COMPUTE_PGM_RSRC2:TGID_Z_EN: 0
; COMPUTE_PGM_RSRC2:TIDIG_COMP_CNT: 0
; COMPUTE_PGM_RSRC3_GFX90A:ACCUM_OFFSET: 0
; COMPUTE_PGM_RSRC3_GFX90A:TG_SPLIT: 0
	.section	.text._ZN7rocprim17ROCPRIM_400000_NS6detail17trampoline_kernelINS0_14default_configENS1_20scan_config_selectorIdEEZZNS1_9scan_implILNS1_25lookback_scan_determinismE0ELb0ELb0ES3_N6thrust23THRUST_200600_302600_NS6detail15normal_iteratorINS9_10device_ptrIdEEEENS9_16discard_iteratorINS9_11use_defaultEEEd11max_functorIdEdEEDaPvRmT3_T4_T5_mT6_P12ihipStream_tbENKUlT_T0_E_clISt17integral_constantIbLb0EESX_EEDaSS_ST_EUlSS_E_NS1_11comp_targetILNS1_3genE10ELNS1_11target_archE1200ELNS1_3gpuE4ELNS1_3repE0EEENS1_30default_config_static_selectorELNS0_4arch9wavefront6targetE1EEEvT1_,"axG",@progbits,_ZN7rocprim17ROCPRIM_400000_NS6detail17trampoline_kernelINS0_14default_configENS1_20scan_config_selectorIdEEZZNS1_9scan_implILNS1_25lookback_scan_determinismE0ELb0ELb0ES3_N6thrust23THRUST_200600_302600_NS6detail15normal_iteratorINS9_10device_ptrIdEEEENS9_16discard_iteratorINS9_11use_defaultEEEd11max_functorIdEdEEDaPvRmT3_T4_T5_mT6_P12ihipStream_tbENKUlT_T0_E_clISt17integral_constantIbLb0EESX_EEDaSS_ST_EUlSS_E_NS1_11comp_targetILNS1_3genE10ELNS1_11target_archE1200ELNS1_3gpuE4ELNS1_3repE0EEENS1_30default_config_static_selectorELNS0_4arch9wavefront6targetE1EEEvT1_,comdat
	.protected	_ZN7rocprim17ROCPRIM_400000_NS6detail17trampoline_kernelINS0_14default_configENS1_20scan_config_selectorIdEEZZNS1_9scan_implILNS1_25lookback_scan_determinismE0ELb0ELb0ES3_N6thrust23THRUST_200600_302600_NS6detail15normal_iteratorINS9_10device_ptrIdEEEENS9_16discard_iteratorINS9_11use_defaultEEEd11max_functorIdEdEEDaPvRmT3_T4_T5_mT6_P12ihipStream_tbENKUlT_T0_E_clISt17integral_constantIbLb0EESX_EEDaSS_ST_EUlSS_E_NS1_11comp_targetILNS1_3genE10ELNS1_11target_archE1200ELNS1_3gpuE4ELNS1_3repE0EEENS1_30default_config_static_selectorELNS0_4arch9wavefront6targetE1EEEvT1_ ; -- Begin function _ZN7rocprim17ROCPRIM_400000_NS6detail17trampoline_kernelINS0_14default_configENS1_20scan_config_selectorIdEEZZNS1_9scan_implILNS1_25lookback_scan_determinismE0ELb0ELb0ES3_N6thrust23THRUST_200600_302600_NS6detail15normal_iteratorINS9_10device_ptrIdEEEENS9_16discard_iteratorINS9_11use_defaultEEEd11max_functorIdEdEEDaPvRmT3_T4_T5_mT6_P12ihipStream_tbENKUlT_T0_E_clISt17integral_constantIbLb0EESX_EEDaSS_ST_EUlSS_E_NS1_11comp_targetILNS1_3genE10ELNS1_11target_archE1200ELNS1_3gpuE4ELNS1_3repE0EEENS1_30default_config_static_selectorELNS0_4arch9wavefront6targetE1EEEvT1_
	.globl	_ZN7rocprim17ROCPRIM_400000_NS6detail17trampoline_kernelINS0_14default_configENS1_20scan_config_selectorIdEEZZNS1_9scan_implILNS1_25lookback_scan_determinismE0ELb0ELb0ES3_N6thrust23THRUST_200600_302600_NS6detail15normal_iteratorINS9_10device_ptrIdEEEENS9_16discard_iteratorINS9_11use_defaultEEEd11max_functorIdEdEEDaPvRmT3_T4_T5_mT6_P12ihipStream_tbENKUlT_T0_E_clISt17integral_constantIbLb0EESX_EEDaSS_ST_EUlSS_E_NS1_11comp_targetILNS1_3genE10ELNS1_11target_archE1200ELNS1_3gpuE4ELNS1_3repE0EEENS1_30default_config_static_selectorELNS0_4arch9wavefront6targetE1EEEvT1_
	.p2align	8
	.type	_ZN7rocprim17ROCPRIM_400000_NS6detail17trampoline_kernelINS0_14default_configENS1_20scan_config_selectorIdEEZZNS1_9scan_implILNS1_25lookback_scan_determinismE0ELb0ELb0ES3_N6thrust23THRUST_200600_302600_NS6detail15normal_iteratorINS9_10device_ptrIdEEEENS9_16discard_iteratorINS9_11use_defaultEEEd11max_functorIdEdEEDaPvRmT3_T4_T5_mT6_P12ihipStream_tbENKUlT_T0_E_clISt17integral_constantIbLb0EESX_EEDaSS_ST_EUlSS_E_NS1_11comp_targetILNS1_3genE10ELNS1_11target_archE1200ELNS1_3gpuE4ELNS1_3repE0EEENS1_30default_config_static_selectorELNS0_4arch9wavefront6targetE1EEEvT1_,@function
_ZN7rocprim17ROCPRIM_400000_NS6detail17trampoline_kernelINS0_14default_configENS1_20scan_config_selectorIdEEZZNS1_9scan_implILNS1_25lookback_scan_determinismE0ELb0ELb0ES3_N6thrust23THRUST_200600_302600_NS6detail15normal_iteratorINS9_10device_ptrIdEEEENS9_16discard_iteratorINS9_11use_defaultEEEd11max_functorIdEdEEDaPvRmT3_T4_T5_mT6_P12ihipStream_tbENKUlT_T0_E_clISt17integral_constantIbLb0EESX_EEDaSS_ST_EUlSS_E_NS1_11comp_targetILNS1_3genE10ELNS1_11target_archE1200ELNS1_3gpuE4ELNS1_3repE0EEENS1_30default_config_static_selectorELNS0_4arch9wavefront6targetE1EEEvT1_: ; @_ZN7rocprim17ROCPRIM_400000_NS6detail17trampoline_kernelINS0_14default_configENS1_20scan_config_selectorIdEEZZNS1_9scan_implILNS1_25lookback_scan_determinismE0ELb0ELb0ES3_N6thrust23THRUST_200600_302600_NS6detail15normal_iteratorINS9_10device_ptrIdEEEENS9_16discard_iteratorINS9_11use_defaultEEEd11max_functorIdEdEEDaPvRmT3_T4_T5_mT6_P12ihipStream_tbENKUlT_T0_E_clISt17integral_constantIbLb0EESX_EEDaSS_ST_EUlSS_E_NS1_11comp_targetILNS1_3genE10ELNS1_11target_archE1200ELNS1_3gpuE4ELNS1_3repE0EEENS1_30default_config_static_selectorELNS0_4arch9wavefront6targetE1EEEvT1_
; %bb.0:
	.section	.rodata,"a",@progbits
	.p2align	6, 0x0
	.amdhsa_kernel _ZN7rocprim17ROCPRIM_400000_NS6detail17trampoline_kernelINS0_14default_configENS1_20scan_config_selectorIdEEZZNS1_9scan_implILNS1_25lookback_scan_determinismE0ELb0ELb0ES3_N6thrust23THRUST_200600_302600_NS6detail15normal_iteratorINS9_10device_ptrIdEEEENS9_16discard_iteratorINS9_11use_defaultEEEd11max_functorIdEdEEDaPvRmT3_T4_T5_mT6_P12ihipStream_tbENKUlT_T0_E_clISt17integral_constantIbLb0EESX_EEDaSS_ST_EUlSS_E_NS1_11comp_targetILNS1_3genE10ELNS1_11target_archE1200ELNS1_3gpuE4ELNS1_3repE0EEENS1_30default_config_static_selectorELNS0_4arch9wavefront6targetE1EEEvT1_
		.amdhsa_group_segment_fixed_size 0
		.amdhsa_private_segment_fixed_size 0
		.amdhsa_kernarg_size 112
		.amdhsa_user_sgpr_count 6
		.amdhsa_user_sgpr_private_segment_buffer 1
		.amdhsa_user_sgpr_dispatch_ptr 0
		.amdhsa_user_sgpr_queue_ptr 0
		.amdhsa_user_sgpr_kernarg_segment_ptr 1
		.amdhsa_user_sgpr_dispatch_id 0
		.amdhsa_user_sgpr_flat_scratch_init 0
		.amdhsa_user_sgpr_kernarg_preload_length 0
		.amdhsa_user_sgpr_kernarg_preload_offset 0
		.amdhsa_user_sgpr_private_segment_size 0
		.amdhsa_uses_dynamic_stack 0
		.amdhsa_system_sgpr_private_segment_wavefront_offset 0
		.amdhsa_system_sgpr_workgroup_id_x 1
		.amdhsa_system_sgpr_workgroup_id_y 0
		.amdhsa_system_sgpr_workgroup_id_z 0
		.amdhsa_system_sgpr_workgroup_info 0
		.amdhsa_system_vgpr_workitem_id 0
		.amdhsa_next_free_vgpr 1
		.amdhsa_next_free_sgpr 0
		.amdhsa_accum_offset 4
		.amdhsa_reserve_vcc 0
		.amdhsa_reserve_flat_scratch 0
		.amdhsa_float_round_mode_32 0
		.amdhsa_float_round_mode_16_64 0
		.amdhsa_float_denorm_mode_32 3
		.amdhsa_float_denorm_mode_16_64 3
		.amdhsa_dx10_clamp 1
		.amdhsa_ieee_mode 1
		.amdhsa_fp16_overflow 0
		.amdhsa_tg_split 0
		.amdhsa_exception_fp_ieee_invalid_op 0
		.amdhsa_exception_fp_denorm_src 0
		.amdhsa_exception_fp_ieee_div_zero 0
		.amdhsa_exception_fp_ieee_overflow 0
		.amdhsa_exception_fp_ieee_underflow 0
		.amdhsa_exception_fp_ieee_inexact 0
		.amdhsa_exception_int_div_zero 0
	.end_amdhsa_kernel
	.section	.text._ZN7rocprim17ROCPRIM_400000_NS6detail17trampoline_kernelINS0_14default_configENS1_20scan_config_selectorIdEEZZNS1_9scan_implILNS1_25lookback_scan_determinismE0ELb0ELb0ES3_N6thrust23THRUST_200600_302600_NS6detail15normal_iteratorINS9_10device_ptrIdEEEENS9_16discard_iteratorINS9_11use_defaultEEEd11max_functorIdEdEEDaPvRmT3_T4_T5_mT6_P12ihipStream_tbENKUlT_T0_E_clISt17integral_constantIbLb0EESX_EEDaSS_ST_EUlSS_E_NS1_11comp_targetILNS1_3genE10ELNS1_11target_archE1200ELNS1_3gpuE4ELNS1_3repE0EEENS1_30default_config_static_selectorELNS0_4arch9wavefront6targetE1EEEvT1_,"axG",@progbits,_ZN7rocprim17ROCPRIM_400000_NS6detail17trampoline_kernelINS0_14default_configENS1_20scan_config_selectorIdEEZZNS1_9scan_implILNS1_25lookback_scan_determinismE0ELb0ELb0ES3_N6thrust23THRUST_200600_302600_NS6detail15normal_iteratorINS9_10device_ptrIdEEEENS9_16discard_iteratorINS9_11use_defaultEEEd11max_functorIdEdEEDaPvRmT3_T4_T5_mT6_P12ihipStream_tbENKUlT_T0_E_clISt17integral_constantIbLb0EESX_EEDaSS_ST_EUlSS_E_NS1_11comp_targetILNS1_3genE10ELNS1_11target_archE1200ELNS1_3gpuE4ELNS1_3repE0EEENS1_30default_config_static_selectorELNS0_4arch9wavefront6targetE1EEEvT1_,comdat
.Lfunc_end2996:
	.size	_ZN7rocprim17ROCPRIM_400000_NS6detail17trampoline_kernelINS0_14default_configENS1_20scan_config_selectorIdEEZZNS1_9scan_implILNS1_25lookback_scan_determinismE0ELb0ELb0ES3_N6thrust23THRUST_200600_302600_NS6detail15normal_iteratorINS9_10device_ptrIdEEEENS9_16discard_iteratorINS9_11use_defaultEEEd11max_functorIdEdEEDaPvRmT3_T4_T5_mT6_P12ihipStream_tbENKUlT_T0_E_clISt17integral_constantIbLb0EESX_EEDaSS_ST_EUlSS_E_NS1_11comp_targetILNS1_3genE10ELNS1_11target_archE1200ELNS1_3gpuE4ELNS1_3repE0EEENS1_30default_config_static_selectorELNS0_4arch9wavefront6targetE1EEEvT1_, .Lfunc_end2996-_ZN7rocprim17ROCPRIM_400000_NS6detail17trampoline_kernelINS0_14default_configENS1_20scan_config_selectorIdEEZZNS1_9scan_implILNS1_25lookback_scan_determinismE0ELb0ELb0ES3_N6thrust23THRUST_200600_302600_NS6detail15normal_iteratorINS9_10device_ptrIdEEEENS9_16discard_iteratorINS9_11use_defaultEEEd11max_functorIdEdEEDaPvRmT3_T4_T5_mT6_P12ihipStream_tbENKUlT_T0_E_clISt17integral_constantIbLb0EESX_EEDaSS_ST_EUlSS_E_NS1_11comp_targetILNS1_3genE10ELNS1_11target_archE1200ELNS1_3gpuE4ELNS1_3repE0EEENS1_30default_config_static_selectorELNS0_4arch9wavefront6targetE1EEEvT1_
                                        ; -- End function
	.section	.AMDGPU.csdata,"",@progbits
; Kernel info:
; codeLenInByte = 0
; NumSgprs: 4
; NumVgprs: 0
; NumAgprs: 0
; TotalNumVgprs: 0
; ScratchSize: 0
; MemoryBound: 0
; FloatMode: 240
; IeeeMode: 1
; LDSByteSize: 0 bytes/workgroup (compile time only)
; SGPRBlocks: 0
; VGPRBlocks: 0
; NumSGPRsForWavesPerEU: 4
; NumVGPRsForWavesPerEU: 1
; AccumOffset: 4
; Occupancy: 8
; WaveLimiterHint : 0
; COMPUTE_PGM_RSRC2:SCRATCH_EN: 0
; COMPUTE_PGM_RSRC2:USER_SGPR: 6
; COMPUTE_PGM_RSRC2:TRAP_HANDLER: 0
; COMPUTE_PGM_RSRC2:TGID_X_EN: 1
; COMPUTE_PGM_RSRC2:TGID_Y_EN: 0
; COMPUTE_PGM_RSRC2:TGID_Z_EN: 0
; COMPUTE_PGM_RSRC2:TIDIG_COMP_CNT: 0
; COMPUTE_PGM_RSRC3_GFX90A:ACCUM_OFFSET: 0
; COMPUTE_PGM_RSRC3_GFX90A:TG_SPLIT: 0
	.section	.text._ZN7rocprim17ROCPRIM_400000_NS6detail17trampoline_kernelINS0_14default_configENS1_20scan_config_selectorIdEEZZNS1_9scan_implILNS1_25lookback_scan_determinismE0ELb0ELb0ES3_N6thrust23THRUST_200600_302600_NS6detail15normal_iteratorINS9_10device_ptrIdEEEENS9_16discard_iteratorINS9_11use_defaultEEEd11max_functorIdEdEEDaPvRmT3_T4_T5_mT6_P12ihipStream_tbENKUlT_T0_E_clISt17integral_constantIbLb0EESX_EEDaSS_ST_EUlSS_E_NS1_11comp_targetILNS1_3genE9ELNS1_11target_archE1100ELNS1_3gpuE3ELNS1_3repE0EEENS1_30default_config_static_selectorELNS0_4arch9wavefront6targetE1EEEvT1_,"axG",@progbits,_ZN7rocprim17ROCPRIM_400000_NS6detail17trampoline_kernelINS0_14default_configENS1_20scan_config_selectorIdEEZZNS1_9scan_implILNS1_25lookback_scan_determinismE0ELb0ELb0ES3_N6thrust23THRUST_200600_302600_NS6detail15normal_iteratorINS9_10device_ptrIdEEEENS9_16discard_iteratorINS9_11use_defaultEEEd11max_functorIdEdEEDaPvRmT3_T4_T5_mT6_P12ihipStream_tbENKUlT_T0_E_clISt17integral_constantIbLb0EESX_EEDaSS_ST_EUlSS_E_NS1_11comp_targetILNS1_3genE9ELNS1_11target_archE1100ELNS1_3gpuE3ELNS1_3repE0EEENS1_30default_config_static_selectorELNS0_4arch9wavefront6targetE1EEEvT1_,comdat
	.protected	_ZN7rocprim17ROCPRIM_400000_NS6detail17trampoline_kernelINS0_14default_configENS1_20scan_config_selectorIdEEZZNS1_9scan_implILNS1_25lookback_scan_determinismE0ELb0ELb0ES3_N6thrust23THRUST_200600_302600_NS6detail15normal_iteratorINS9_10device_ptrIdEEEENS9_16discard_iteratorINS9_11use_defaultEEEd11max_functorIdEdEEDaPvRmT3_T4_T5_mT6_P12ihipStream_tbENKUlT_T0_E_clISt17integral_constantIbLb0EESX_EEDaSS_ST_EUlSS_E_NS1_11comp_targetILNS1_3genE9ELNS1_11target_archE1100ELNS1_3gpuE3ELNS1_3repE0EEENS1_30default_config_static_selectorELNS0_4arch9wavefront6targetE1EEEvT1_ ; -- Begin function _ZN7rocprim17ROCPRIM_400000_NS6detail17trampoline_kernelINS0_14default_configENS1_20scan_config_selectorIdEEZZNS1_9scan_implILNS1_25lookback_scan_determinismE0ELb0ELb0ES3_N6thrust23THRUST_200600_302600_NS6detail15normal_iteratorINS9_10device_ptrIdEEEENS9_16discard_iteratorINS9_11use_defaultEEEd11max_functorIdEdEEDaPvRmT3_T4_T5_mT6_P12ihipStream_tbENKUlT_T0_E_clISt17integral_constantIbLb0EESX_EEDaSS_ST_EUlSS_E_NS1_11comp_targetILNS1_3genE9ELNS1_11target_archE1100ELNS1_3gpuE3ELNS1_3repE0EEENS1_30default_config_static_selectorELNS0_4arch9wavefront6targetE1EEEvT1_
	.globl	_ZN7rocprim17ROCPRIM_400000_NS6detail17trampoline_kernelINS0_14default_configENS1_20scan_config_selectorIdEEZZNS1_9scan_implILNS1_25lookback_scan_determinismE0ELb0ELb0ES3_N6thrust23THRUST_200600_302600_NS6detail15normal_iteratorINS9_10device_ptrIdEEEENS9_16discard_iteratorINS9_11use_defaultEEEd11max_functorIdEdEEDaPvRmT3_T4_T5_mT6_P12ihipStream_tbENKUlT_T0_E_clISt17integral_constantIbLb0EESX_EEDaSS_ST_EUlSS_E_NS1_11comp_targetILNS1_3genE9ELNS1_11target_archE1100ELNS1_3gpuE3ELNS1_3repE0EEENS1_30default_config_static_selectorELNS0_4arch9wavefront6targetE1EEEvT1_
	.p2align	8
	.type	_ZN7rocprim17ROCPRIM_400000_NS6detail17trampoline_kernelINS0_14default_configENS1_20scan_config_selectorIdEEZZNS1_9scan_implILNS1_25lookback_scan_determinismE0ELb0ELb0ES3_N6thrust23THRUST_200600_302600_NS6detail15normal_iteratorINS9_10device_ptrIdEEEENS9_16discard_iteratorINS9_11use_defaultEEEd11max_functorIdEdEEDaPvRmT3_T4_T5_mT6_P12ihipStream_tbENKUlT_T0_E_clISt17integral_constantIbLb0EESX_EEDaSS_ST_EUlSS_E_NS1_11comp_targetILNS1_3genE9ELNS1_11target_archE1100ELNS1_3gpuE3ELNS1_3repE0EEENS1_30default_config_static_selectorELNS0_4arch9wavefront6targetE1EEEvT1_,@function
_ZN7rocprim17ROCPRIM_400000_NS6detail17trampoline_kernelINS0_14default_configENS1_20scan_config_selectorIdEEZZNS1_9scan_implILNS1_25lookback_scan_determinismE0ELb0ELb0ES3_N6thrust23THRUST_200600_302600_NS6detail15normal_iteratorINS9_10device_ptrIdEEEENS9_16discard_iteratorINS9_11use_defaultEEEd11max_functorIdEdEEDaPvRmT3_T4_T5_mT6_P12ihipStream_tbENKUlT_T0_E_clISt17integral_constantIbLb0EESX_EEDaSS_ST_EUlSS_E_NS1_11comp_targetILNS1_3genE9ELNS1_11target_archE1100ELNS1_3gpuE3ELNS1_3repE0EEENS1_30default_config_static_selectorELNS0_4arch9wavefront6targetE1EEEvT1_: ; @_ZN7rocprim17ROCPRIM_400000_NS6detail17trampoline_kernelINS0_14default_configENS1_20scan_config_selectorIdEEZZNS1_9scan_implILNS1_25lookback_scan_determinismE0ELb0ELb0ES3_N6thrust23THRUST_200600_302600_NS6detail15normal_iteratorINS9_10device_ptrIdEEEENS9_16discard_iteratorINS9_11use_defaultEEEd11max_functorIdEdEEDaPvRmT3_T4_T5_mT6_P12ihipStream_tbENKUlT_T0_E_clISt17integral_constantIbLb0EESX_EEDaSS_ST_EUlSS_E_NS1_11comp_targetILNS1_3genE9ELNS1_11target_archE1100ELNS1_3gpuE3ELNS1_3repE0EEENS1_30default_config_static_selectorELNS0_4arch9wavefront6targetE1EEEvT1_
; %bb.0:
	.section	.rodata,"a",@progbits
	.p2align	6, 0x0
	.amdhsa_kernel _ZN7rocprim17ROCPRIM_400000_NS6detail17trampoline_kernelINS0_14default_configENS1_20scan_config_selectorIdEEZZNS1_9scan_implILNS1_25lookback_scan_determinismE0ELb0ELb0ES3_N6thrust23THRUST_200600_302600_NS6detail15normal_iteratorINS9_10device_ptrIdEEEENS9_16discard_iteratorINS9_11use_defaultEEEd11max_functorIdEdEEDaPvRmT3_T4_T5_mT6_P12ihipStream_tbENKUlT_T0_E_clISt17integral_constantIbLb0EESX_EEDaSS_ST_EUlSS_E_NS1_11comp_targetILNS1_3genE9ELNS1_11target_archE1100ELNS1_3gpuE3ELNS1_3repE0EEENS1_30default_config_static_selectorELNS0_4arch9wavefront6targetE1EEEvT1_
		.amdhsa_group_segment_fixed_size 0
		.amdhsa_private_segment_fixed_size 0
		.amdhsa_kernarg_size 112
		.amdhsa_user_sgpr_count 6
		.amdhsa_user_sgpr_private_segment_buffer 1
		.amdhsa_user_sgpr_dispatch_ptr 0
		.amdhsa_user_sgpr_queue_ptr 0
		.amdhsa_user_sgpr_kernarg_segment_ptr 1
		.amdhsa_user_sgpr_dispatch_id 0
		.amdhsa_user_sgpr_flat_scratch_init 0
		.amdhsa_user_sgpr_kernarg_preload_length 0
		.amdhsa_user_sgpr_kernarg_preload_offset 0
		.amdhsa_user_sgpr_private_segment_size 0
		.amdhsa_uses_dynamic_stack 0
		.amdhsa_system_sgpr_private_segment_wavefront_offset 0
		.amdhsa_system_sgpr_workgroup_id_x 1
		.amdhsa_system_sgpr_workgroup_id_y 0
		.amdhsa_system_sgpr_workgroup_id_z 0
		.amdhsa_system_sgpr_workgroup_info 0
		.amdhsa_system_vgpr_workitem_id 0
		.amdhsa_next_free_vgpr 1
		.amdhsa_next_free_sgpr 0
		.amdhsa_accum_offset 4
		.amdhsa_reserve_vcc 0
		.amdhsa_reserve_flat_scratch 0
		.amdhsa_float_round_mode_32 0
		.amdhsa_float_round_mode_16_64 0
		.amdhsa_float_denorm_mode_32 3
		.amdhsa_float_denorm_mode_16_64 3
		.amdhsa_dx10_clamp 1
		.amdhsa_ieee_mode 1
		.amdhsa_fp16_overflow 0
		.amdhsa_tg_split 0
		.amdhsa_exception_fp_ieee_invalid_op 0
		.amdhsa_exception_fp_denorm_src 0
		.amdhsa_exception_fp_ieee_div_zero 0
		.amdhsa_exception_fp_ieee_overflow 0
		.amdhsa_exception_fp_ieee_underflow 0
		.amdhsa_exception_fp_ieee_inexact 0
		.amdhsa_exception_int_div_zero 0
	.end_amdhsa_kernel
	.section	.text._ZN7rocprim17ROCPRIM_400000_NS6detail17trampoline_kernelINS0_14default_configENS1_20scan_config_selectorIdEEZZNS1_9scan_implILNS1_25lookback_scan_determinismE0ELb0ELb0ES3_N6thrust23THRUST_200600_302600_NS6detail15normal_iteratorINS9_10device_ptrIdEEEENS9_16discard_iteratorINS9_11use_defaultEEEd11max_functorIdEdEEDaPvRmT3_T4_T5_mT6_P12ihipStream_tbENKUlT_T0_E_clISt17integral_constantIbLb0EESX_EEDaSS_ST_EUlSS_E_NS1_11comp_targetILNS1_3genE9ELNS1_11target_archE1100ELNS1_3gpuE3ELNS1_3repE0EEENS1_30default_config_static_selectorELNS0_4arch9wavefront6targetE1EEEvT1_,"axG",@progbits,_ZN7rocprim17ROCPRIM_400000_NS6detail17trampoline_kernelINS0_14default_configENS1_20scan_config_selectorIdEEZZNS1_9scan_implILNS1_25lookback_scan_determinismE0ELb0ELb0ES3_N6thrust23THRUST_200600_302600_NS6detail15normal_iteratorINS9_10device_ptrIdEEEENS9_16discard_iteratorINS9_11use_defaultEEEd11max_functorIdEdEEDaPvRmT3_T4_T5_mT6_P12ihipStream_tbENKUlT_T0_E_clISt17integral_constantIbLb0EESX_EEDaSS_ST_EUlSS_E_NS1_11comp_targetILNS1_3genE9ELNS1_11target_archE1100ELNS1_3gpuE3ELNS1_3repE0EEENS1_30default_config_static_selectorELNS0_4arch9wavefront6targetE1EEEvT1_,comdat
.Lfunc_end2997:
	.size	_ZN7rocprim17ROCPRIM_400000_NS6detail17trampoline_kernelINS0_14default_configENS1_20scan_config_selectorIdEEZZNS1_9scan_implILNS1_25lookback_scan_determinismE0ELb0ELb0ES3_N6thrust23THRUST_200600_302600_NS6detail15normal_iteratorINS9_10device_ptrIdEEEENS9_16discard_iteratorINS9_11use_defaultEEEd11max_functorIdEdEEDaPvRmT3_T4_T5_mT6_P12ihipStream_tbENKUlT_T0_E_clISt17integral_constantIbLb0EESX_EEDaSS_ST_EUlSS_E_NS1_11comp_targetILNS1_3genE9ELNS1_11target_archE1100ELNS1_3gpuE3ELNS1_3repE0EEENS1_30default_config_static_selectorELNS0_4arch9wavefront6targetE1EEEvT1_, .Lfunc_end2997-_ZN7rocprim17ROCPRIM_400000_NS6detail17trampoline_kernelINS0_14default_configENS1_20scan_config_selectorIdEEZZNS1_9scan_implILNS1_25lookback_scan_determinismE0ELb0ELb0ES3_N6thrust23THRUST_200600_302600_NS6detail15normal_iteratorINS9_10device_ptrIdEEEENS9_16discard_iteratorINS9_11use_defaultEEEd11max_functorIdEdEEDaPvRmT3_T4_T5_mT6_P12ihipStream_tbENKUlT_T0_E_clISt17integral_constantIbLb0EESX_EEDaSS_ST_EUlSS_E_NS1_11comp_targetILNS1_3genE9ELNS1_11target_archE1100ELNS1_3gpuE3ELNS1_3repE0EEENS1_30default_config_static_selectorELNS0_4arch9wavefront6targetE1EEEvT1_
                                        ; -- End function
	.section	.AMDGPU.csdata,"",@progbits
; Kernel info:
; codeLenInByte = 0
; NumSgprs: 4
; NumVgprs: 0
; NumAgprs: 0
; TotalNumVgprs: 0
; ScratchSize: 0
; MemoryBound: 0
; FloatMode: 240
; IeeeMode: 1
; LDSByteSize: 0 bytes/workgroup (compile time only)
; SGPRBlocks: 0
; VGPRBlocks: 0
; NumSGPRsForWavesPerEU: 4
; NumVGPRsForWavesPerEU: 1
; AccumOffset: 4
; Occupancy: 8
; WaveLimiterHint : 0
; COMPUTE_PGM_RSRC2:SCRATCH_EN: 0
; COMPUTE_PGM_RSRC2:USER_SGPR: 6
; COMPUTE_PGM_RSRC2:TRAP_HANDLER: 0
; COMPUTE_PGM_RSRC2:TGID_X_EN: 1
; COMPUTE_PGM_RSRC2:TGID_Y_EN: 0
; COMPUTE_PGM_RSRC2:TGID_Z_EN: 0
; COMPUTE_PGM_RSRC2:TIDIG_COMP_CNT: 0
; COMPUTE_PGM_RSRC3_GFX90A:ACCUM_OFFSET: 0
; COMPUTE_PGM_RSRC3_GFX90A:TG_SPLIT: 0
	.section	.text._ZN7rocprim17ROCPRIM_400000_NS6detail17trampoline_kernelINS0_14default_configENS1_20scan_config_selectorIdEEZZNS1_9scan_implILNS1_25lookback_scan_determinismE0ELb0ELb0ES3_N6thrust23THRUST_200600_302600_NS6detail15normal_iteratorINS9_10device_ptrIdEEEENS9_16discard_iteratorINS9_11use_defaultEEEd11max_functorIdEdEEDaPvRmT3_T4_T5_mT6_P12ihipStream_tbENKUlT_T0_E_clISt17integral_constantIbLb0EESX_EEDaSS_ST_EUlSS_E_NS1_11comp_targetILNS1_3genE8ELNS1_11target_archE1030ELNS1_3gpuE2ELNS1_3repE0EEENS1_30default_config_static_selectorELNS0_4arch9wavefront6targetE1EEEvT1_,"axG",@progbits,_ZN7rocprim17ROCPRIM_400000_NS6detail17trampoline_kernelINS0_14default_configENS1_20scan_config_selectorIdEEZZNS1_9scan_implILNS1_25lookback_scan_determinismE0ELb0ELb0ES3_N6thrust23THRUST_200600_302600_NS6detail15normal_iteratorINS9_10device_ptrIdEEEENS9_16discard_iteratorINS9_11use_defaultEEEd11max_functorIdEdEEDaPvRmT3_T4_T5_mT6_P12ihipStream_tbENKUlT_T0_E_clISt17integral_constantIbLb0EESX_EEDaSS_ST_EUlSS_E_NS1_11comp_targetILNS1_3genE8ELNS1_11target_archE1030ELNS1_3gpuE2ELNS1_3repE0EEENS1_30default_config_static_selectorELNS0_4arch9wavefront6targetE1EEEvT1_,comdat
	.protected	_ZN7rocprim17ROCPRIM_400000_NS6detail17trampoline_kernelINS0_14default_configENS1_20scan_config_selectorIdEEZZNS1_9scan_implILNS1_25lookback_scan_determinismE0ELb0ELb0ES3_N6thrust23THRUST_200600_302600_NS6detail15normal_iteratorINS9_10device_ptrIdEEEENS9_16discard_iteratorINS9_11use_defaultEEEd11max_functorIdEdEEDaPvRmT3_T4_T5_mT6_P12ihipStream_tbENKUlT_T0_E_clISt17integral_constantIbLb0EESX_EEDaSS_ST_EUlSS_E_NS1_11comp_targetILNS1_3genE8ELNS1_11target_archE1030ELNS1_3gpuE2ELNS1_3repE0EEENS1_30default_config_static_selectorELNS0_4arch9wavefront6targetE1EEEvT1_ ; -- Begin function _ZN7rocprim17ROCPRIM_400000_NS6detail17trampoline_kernelINS0_14default_configENS1_20scan_config_selectorIdEEZZNS1_9scan_implILNS1_25lookback_scan_determinismE0ELb0ELb0ES3_N6thrust23THRUST_200600_302600_NS6detail15normal_iteratorINS9_10device_ptrIdEEEENS9_16discard_iteratorINS9_11use_defaultEEEd11max_functorIdEdEEDaPvRmT3_T4_T5_mT6_P12ihipStream_tbENKUlT_T0_E_clISt17integral_constantIbLb0EESX_EEDaSS_ST_EUlSS_E_NS1_11comp_targetILNS1_3genE8ELNS1_11target_archE1030ELNS1_3gpuE2ELNS1_3repE0EEENS1_30default_config_static_selectorELNS0_4arch9wavefront6targetE1EEEvT1_
	.globl	_ZN7rocprim17ROCPRIM_400000_NS6detail17trampoline_kernelINS0_14default_configENS1_20scan_config_selectorIdEEZZNS1_9scan_implILNS1_25lookback_scan_determinismE0ELb0ELb0ES3_N6thrust23THRUST_200600_302600_NS6detail15normal_iteratorINS9_10device_ptrIdEEEENS9_16discard_iteratorINS9_11use_defaultEEEd11max_functorIdEdEEDaPvRmT3_T4_T5_mT6_P12ihipStream_tbENKUlT_T0_E_clISt17integral_constantIbLb0EESX_EEDaSS_ST_EUlSS_E_NS1_11comp_targetILNS1_3genE8ELNS1_11target_archE1030ELNS1_3gpuE2ELNS1_3repE0EEENS1_30default_config_static_selectorELNS0_4arch9wavefront6targetE1EEEvT1_
	.p2align	8
	.type	_ZN7rocprim17ROCPRIM_400000_NS6detail17trampoline_kernelINS0_14default_configENS1_20scan_config_selectorIdEEZZNS1_9scan_implILNS1_25lookback_scan_determinismE0ELb0ELb0ES3_N6thrust23THRUST_200600_302600_NS6detail15normal_iteratorINS9_10device_ptrIdEEEENS9_16discard_iteratorINS9_11use_defaultEEEd11max_functorIdEdEEDaPvRmT3_T4_T5_mT6_P12ihipStream_tbENKUlT_T0_E_clISt17integral_constantIbLb0EESX_EEDaSS_ST_EUlSS_E_NS1_11comp_targetILNS1_3genE8ELNS1_11target_archE1030ELNS1_3gpuE2ELNS1_3repE0EEENS1_30default_config_static_selectorELNS0_4arch9wavefront6targetE1EEEvT1_,@function
_ZN7rocprim17ROCPRIM_400000_NS6detail17trampoline_kernelINS0_14default_configENS1_20scan_config_selectorIdEEZZNS1_9scan_implILNS1_25lookback_scan_determinismE0ELb0ELb0ES3_N6thrust23THRUST_200600_302600_NS6detail15normal_iteratorINS9_10device_ptrIdEEEENS9_16discard_iteratorINS9_11use_defaultEEEd11max_functorIdEdEEDaPvRmT3_T4_T5_mT6_P12ihipStream_tbENKUlT_T0_E_clISt17integral_constantIbLb0EESX_EEDaSS_ST_EUlSS_E_NS1_11comp_targetILNS1_3genE8ELNS1_11target_archE1030ELNS1_3gpuE2ELNS1_3repE0EEENS1_30default_config_static_selectorELNS0_4arch9wavefront6targetE1EEEvT1_: ; @_ZN7rocprim17ROCPRIM_400000_NS6detail17trampoline_kernelINS0_14default_configENS1_20scan_config_selectorIdEEZZNS1_9scan_implILNS1_25lookback_scan_determinismE0ELb0ELb0ES3_N6thrust23THRUST_200600_302600_NS6detail15normal_iteratorINS9_10device_ptrIdEEEENS9_16discard_iteratorINS9_11use_defaultEEEd11max_functorIdEdEEDaPvRmT3_T4_T5_mT6_P12ihipStream_tbENKUlT_T0_E_clISt17integral_constantIbLb0EESX_EEDaSS_ST_EUlSS_E_NS1_11comp_targetILNS1_3genE8ELNS1_11target_archE1030ELNS1_3gpuE2ELNS1_3repE0EEENS1_30default_config_static_selectorELNS0_4arch9wavefront6targetE1EEEvT1_
; %bb.0:
	.section	.rodata,"a",@progbits
	.p2align	6, 0x0
	.amdhsa_kernel _ZN7rocprim17ROCPRIM_400000_NS6detail17trampoline_kernelINS0_14default_configENS1_20scan_config_selectorIdEEZZNS1_9scan_implILNS1_25lookback_scan_determinismE0ELb0ELb0ES3_N6thrust23THRUST_200600_302600_NS6detail15normal_iteratorINS9_10device_ptrIdEEEENS9_16discard_iteratorINS9_11use_defaultEEEd11max_functorIdEdEEDaPvRmT3_T4_T5_mT6_P12ihipStream_tbENKUlT_T0_E_clISt17integral_constantIbLb0EESX_EEDaSS_ST_EUlSS_E_NS1_11comp_targetILNS1_3genE8ELNS1_11target_archE1030ELNS1_3gpuE2ELNS1_3repE0EEENS1_30default_config_static_selectorELNS0_4arch9wavefront6targetE1EEEvT1_
		.amdhsa_group_segment_fixed_size 0
		.amdhsa_private_segment_fixed_size 0
		.amdhsa_kernarg_size 112
		.amdhsa_user_sgpr_count 6
		.amdhsa_user_sgpr_private_segment_buffer 1
		.amdhsa_user_sgpr_dispatch_ptr 0
		.amdhsa_user_sgpr_queue_ptr 0
		.amdhsa_user_sgpr_kernarg_segment_ptr 1
		.amdhsa_user_sgpr_dispatch_id 0
		.amdhsa_user_sgpr_flat_scratch_init 0
		.amdhsa_user_sgpr_kernarg_preload_length 0
		.amdhsa_user_sgpr_kernarg_preload_offset 0
		.amdhsa_user_sgpr_private_segment_size 0
		.amdhsa_uses_dynamic_stack 0
		.amdhsa_system_sgpr_private_segment_wavefront_offset 0
		.amdhsa_system_sgpr_workgroup_id_x 1
		.amdhsa_system_sgpr_workgroup_id_y 0
		.amdhsa_system_sgpr_workgroup_id_z 0
		.amdhsa_system_sgpr_workgroup_info 0
		.amdhsa_system_vgpr_workitem_id 0
		.amdhsa_next_free_vgpr 1
		.amdhsa_next_free_sgpr 0
		.amdhsa_accum_offset 4
		.amdhsa_reserve_vcc 0
		.amdhsa_reserve_flat_scratch 0
		.amdhsa_float_round_mode_32 0
		.amdhsa_float_round_mode_16_64 0
		.amdhsa_float_denorm_mode_32 3
		.amdhsa_float_denorm_mode_16_64 3
		.amdhsa_dx10_clamp 1
		.amdhsa_ieee_mode 1
		.amdhsa_fp16_overflow 0
		.amdhsa_tg_split 0
		.amdhsa_exception_fp_ieee_invalid_op 0
		.amdhsa_exception_fp_denorm_src 0
		.amdhsa_exception_fp_ieee_div_zero 0
		.amdhsa_exception_fp_ieee_overflow 0
		.amdhsa_exception_fp_ieee_underflow 0
		.amdhsa_exception_fp_ieee_inexact 0
		.amdhsa_exception_int_div_zero 0
	.end_amdhsa_kernel
	.section	.text._ZN7rocprim17ROCPRIM_400000_NS6detail17trampoline_kernelINS0_14default_configENS1_20scan_config_selectorIdEEZZNS1_9scan_implILNS1_25lookback_scan_determinismE0ELb0ELb0ES3_N6thrust23THRUST_200600_302600_NS6detail15normal_iteratorINS9_10device_ptrIdEEEENS9_16discard_iteratorINS9_11use_defaultEEEd11max_functorIdEdEEDaPvRmT3_T4_T5_mT6_P12ihipStream_tbENKUlT_T0_E_clISt17integral_constantIbLb0EESX_EEDaSS_ST_EUlSS_E_NS1_11comp_targetILNS1_3genE8ELNS1_11target_archE1030ELNS1_3gpuE2ELNS1_3repE0EEENS1_30default_config_static_selectorELNS0_4arch9wavefront6targetE1EEEvT1_,"axG",@progbits,_ZN7rocprim17ROCPRIM_400000_NS6detail17trampoline_kernelINS0_14default_configENS1_20scan_config_selectorIdEEZZNS1_9scan_implILNS1_25lookback_scan_determinismE0ELb0ELb0ES3_N6thrust23THRUST_200600_302600_NS6detail15normal_iteratorINS9_10device_ptrIdEEEENS9_16discard_iteratorINS9_11use_defaultEEEd11max_functorIdEdEEDaPvRmT3_T4_T5_mT6_P12ihipStream_tbENKUlT_T0_E_clISt17integral_constantIbLb0EESX_EEDaSS_ST_EUlSS_E_NS1_11comp_targetILNS1_3genE8ELNS1_11target_archE1030ELNS1_3gpuE2ELNS1_3repE0EEENS1_30default_config_static_selectorELNS0_4arch9wavefront6targetE1EEEvT1_,comdat
.Lfunc_end2998:
	.size	_ZN7rocprim17ROCPRIM_400000_NS6detail17trampoline_kernelINS0_14default_configENS1_20scan_config_selectorIdEEZZNS1_9scan_implILNS1_25lookback_scan_determinismE0ELb0ELb0ES3_N6thrust23THRUST_200600_302600_NS6detail15normal_iteratorINS9_10device_ptrIdEEEENS9_16discard_iteratorINS9_11use_defaultEEEd11max_functorIdEdEEDaPvRmT3_T4_T5_mT6_P12ihipStream_tbENKUlT_T0_E_clISt17integral_constantIbLb0EESX_EEDaSS_ST_EUlSS_E_NS1_11comp_targetILNS1_3genE8ELNS1_11target_archE1030ELNS1_3gpuE2ELNS1_3repE0EEENS1_30default_config_static_selectorELNS0_4arch9wavefront6targetE1EEEvT1_, .Lfunc_end2998-_ZN7rocprim17ROCPRIM_400000_NS6detail17trampoline_kernelINS0_14default_configENS1_20scan_config_selectorIdEEZZNS1_9scan_implILNS1_25lookback_scan_determinismE0ELb0ELb0ES3_N6thrust23THRUST_200600_302600_NS6detail15normal_iteratorINS9_10device_ptrIdEEEENS9_16discard_iteratorINS9_11use_defaultEEEd11max_functorIdEdEEDaPvRmT3_T4_T5_mT6_P12ihipStream_tbENKUlT_T0_E_clISt17integral_constantIbLb0EESX_EEDaSS_ST_EUlSS_E_NS1_11comp_targetILNS1_3genE8ELNS1_11target_archE1030ELNS1_3gpuE2ELNS1_3repE0EEENS1_30default_config_static_selectorELNS0_4arch9wavefront6targetE1EEEvT1_
                                        ; -- End function
	.section	.AMDGPU.csdata,"",@progbits
; Kernel info:
; codeLenInByte = 0
; NumSgprs: 4
; NumVgprs: 0
; NumAgprs: 0
; TotalNumVgprs: 0
; ScratchSize: 0
; MemoryBound: 0
; FloatMode: 240
; IeeeMode: 1
; LDSByteSize: 0 bytes/workgroup (compile time only)
; SGPRBlocks: 0
; VGPRBlocks: 0
; NumSGPRsForWavesPerEU: 4
; NumVGPRsForWavesPerEU: 1
; AccumOffset: 4
; Occupancy: 8
; WaveLimiterHint : 0
; COMPUTE_PGM_RSRC2:SCRATCH_EN: 0
; COMPUTE_PGM_RSRC2:USER_SGPR: 6
; COMPUTE_PGM_RSRC2:TRAP_HANDLER: 0
; COMPUTE_PGM_RSRC2:TGID_X_EN: 1
; COMPUTE_PGM_RSRC2:TGID_Y_EN: 0
; COMPUTE_PGM_RSRC2:TGID_Z_EN: 0
; COMPUTE_PGM_RSRC2:TIDIG_COMP_CNT: 0
; COMPUTE_PGM_RSRC3_GFX90A:ACCUM_OFFSET: 0
; COMPUTE_PGM_RSRC3_GFX90A:TG_SPLIT: 0
	.section	.text._ZN7rocprim17ROCPRIM_400000_NS6detail17trampoline_kernelINS0_14default_configENS1_20scan_config_selectorIdEEZZNS1_9scan_implILNS1_25lookback_scan_determinismE0ELb0ELb0ES3_N6thrust23THRUST_200600_302600_NS6detail15normal_iteratorINS9_10device_ptrIdEEEENS9_16discard_iteratorINS9_11use_defaultEEEd11max_functorIdEdEEDaPvRmT3_T4_T5_mT6_P12ihipStream_tbENKUlT_T0_E_clISt17integral_constantIbLb0EESX_EEDaSS_ST_EUlSS_E0_NS1_11comp_targetILNS1_3genE0ELNS1_11target_archE4294967295ELNS1_3gpuE0ELNS1_3repE0EEENS1_30default_config_static_selectorELNS0_4arch9wavefront6targetE1EEEvT1_,"axG",@progbits,_ZN7rocprim17ROCPRIM_400000_NS6detail17trampoline_kernelINS0_14default_configENS1_20scan_config_selectorIdEEZZNS1_9scan_implILNS1_25lookback_scan_determinismE0ELb0ELb0ES3_N6thrust23THRUST_200600_302600_NS6detail15normal_iteratorINS9_10device_ptrIdEEEENS9_16discard_iteratorINS9_11use_defaultEEEd11max_functorIdEdEEDaPvRmT3_T4_T5_mT6_P12ihipStream_tbENKUlT_T0_E_clISt17integral_constantIbLb0EESX_EEDaSS_ST_EUlSS_E0_NS1_11comp_targetILNS1_3genE0ELNS1_11target_archE4294967295ELNS1_3gpuE0ELNS1_3repE0EEENS1_30default_config_static_selectorELNS0_4arch9wavefront6targetE1EEEvT1_,comdat
	.protected	_ZN7rocprim17ROCPRIM_400000_NS6detail17trampoline_kernelINS0_14default_configENS1_20scan_config_selectorIdEEZZNS1_9scan_implILNS1_25lookback_scan_determinismE0ELb0ELb0ES3_N6thrust23THRUST_200600_302600_NS6detail15normal_iteratorINS9_10device_ptrIdEEEENS9_16discard_iteratorINS9_11use_defaultEEEd11max_functorIdEdEEDaPvRmT3_T4_T5_mT6_P12ihipStream_tbENKUlT_T0_E_clISt17integral_constantIbLb0EESX_EEDaSS_ST_EUlSS_E0_NS1_11comp_targetILNS1_3genE0ELNS1_11target_archE4294967295ELNS1_3gpuE0ELNS1_3repE0EEENS1_30default_config_static_selectorELNS0_4arch9wavefront6targetE1EEEvT1_ ; -- Begin function _ZN7rocprim17ROCPRIM_400000_NS6detail17trampoline_kernelINS0_14default_configENS1_20scan_config_selectorIdEEZZNS1_9scan_implILNS1_25lookback_scan_determinismE0ELb0ELb0ES3_N6thrust23THRUST_200600_302600_NS6detail15normal_iteratorINS9_10device_ptrIdEEEENS9_16discard_iteratorINS9_11use_defaultEEEd11max_functorIdEdEEDaPvRmT3_T4_T5_mT6_P12ihipStream_tbENKUlT_T0_E_clISt17integral_constantIbLb0EESX_EEDaSS_ST_EUlSS_E0_NS1_11comp_targetILNS1_3genE0ELNS1_11target_archE4294967295ELNS1_3gpuE0ELNS1_3repE0EEENS1_30default_config_static_selectorELNS0_4arch9wavefront6targetE1EEEvT1_
	.globl	_ZN7rocprim17ROCPRIM_400000_NS6detail17trampoline_kernelINS0_14default_configENS1_20scan_config_selectorIdEEZZNS1_9scan_implILNS1_25lookback_scan_determinismE0ELb0ELb0ES3_N6thrust23THRUST_200600_302600_NS6detail15normal_iteratorINS9_10device_ptrIdEEEENS9_16discard_iteratorINS9_11use_defaultEEEd11max_functorIdEdEEDaPvRmT3_T4_T5_mT6_P12ihipStream_tbENKUlT_T0_E_clISt17integral_constantIbLb0EESX_EEDaSS_ST_EUlSS_E0_NS1_11comp_targetILNS1_3genE0ELNS1_11target_archE4294967295ELNS1_3gpuE0ELNS1_3repE0EEENS1_30default_config_static_selectorELNS0_4arch9wavefront6targetE1EEEvT1_
	.p2align	8
	.type	_ZN7rocprim17ROCPRIM_400000_NS6detail17trampoline_kernelINS0_14default_configENS1_20scan_config_selectorIdEEZZNS1_9scan_implILNS1_25lookback_scan_determinismE0ELb0ELb0ES3_N6thrust23THRUST_200600_302600_NS6detail15normal_iteratorINS9_10device_ptrIdEEEENS9_16discard_iteratorINS9_11use_defaultEEEd11max_functorIdEdEEDaPvRmT3_T4_T5_mT6_P12ihipStream_tbENKUlT_T0_E_clISt17integral_constantIbLb0EESX_EEDaSS_ST_EUlSS_E0_NS1_11comp_targetILNS1_3genE0ELNS1_11target_archE4294967295ELNS1_3gpuE0ELNS1_3repE0EEENS1_30default_config_static_selectorELNS0_4arch9wavefront6targetE1EEEvT1_,@function
_ZN7rocprim17ROCPRIM_400000_NS6detail17trampoline_kernelINS0_14default_configENS1_20scan_config_selectorIdEEZZNS1_9scan_implILNS1_25lookback_scan_determinismE0ELb0ELb0ES3_N6thrust23THRUST_200600_302600_NS6detail15normal_iteratorINS9_10device_ptrIdEEEENS9_16discard_iteratorINS9_11use_defaultEEEd11max_functorIdEdEEDaPvRmT3_T4_T5_mT6_P12ihipStream_tbENKUlT_T0_E_clISt17integral_constantIbLb0EESX_EEDaSS_ST_EUlSS_E0_NS1_11comp_targetILNS1_3genE0ELNS1_11target_archE4294967295ELNS1_3gpuE0ELNS1_3repE0EEENS1_30default_config_static_selectorELNS0_4arch9wavefront6targetE1EEEvT1_: ; @_ZN7rocprim17ROCPRIM_400000_NS6detail17trampoline_kernelINS0_14default_configENS1_20scan_config_selectorIdEEZZNS1_9scan_implILNS1_25lookback_scan_determinismE0ELb0ELb0ES3_N6thrust23THRUST_200600_302600_NS6detail15normal_iteratorINS9_10device_ptrIdEEEENS9_16discard_iteratorINS9_11use_defaultEEEd11max_functorIdEdEEDaPvRmT3_T4_T5_mT6_P12ihipStream_tbENKUlT_T0_E_clISt17integral_constantIbLb0EESX_EEDaSS_ST_EUlSS_E0_NS1_11comp_targetILNS1_3genE0ELNS1_11target_archE4294967295ELNS1_3gpuE0ELNS1_3repE0EEENS1_30default_config_static_selectorELNS0_4arch9wavefront6targetE1EEEvT1_
; %bb.0:
	.section	.rodata,"a",@progbits
	.p2align	6, 0x0
	.amdhsa_kernel _ZN7rocprim17ROCPRIM_400000_NS6detail17trampoline_kernelINS0_14default_configENS1_20scan_config_selectorIdEEZZNS1_9scan_implILNS1_25lookback_scan_determinismE0ELb0ELb0ES3_N6thrust23THRUST_200600_302600_NS6detail15normal_iteratorINS9_10device_ptrIdEEEENS9_16discard_iteratorINS9_11use_defaultEEEd11max_functorIdEdEEDaPvRmT3_T4_T5_mT6_P12ihipStream_tbENKUlT_T0_E_clISt17integral_constantIbLb0EESX_EEDaSS_ST_EUlSS_E0_NS1_11comp_targetILNS1_3genE0ELNS1_11target_archE4294967295ELNS1_3gpuE0ELNS1_3repE0EEENS1_30default_config_static_selectorELNS0_4arch9wavefront6targetE1EEEvT1_
		.amdhsa_group_segment_fixed_size 0
		.amdhsa_private_segment_fixed_size 0
		.amdhsa_kernarg_size 48
		.amdhsa_user_sgpr_count 6
		.amdhsa_user_sgpr_private_segment_buffer 1
		.amdhsa_user_sgpr_dispatch_ptr 0
		.amdhsa_user_sgpr_queue_ptr 0
		.amdhsa_user_sgpr_kernarg_segment_ptr 1
		.amdhsa_user_sgpr_dispatch_id 0
		.amdhsa_user_sgpr_flat_scratch_init 0
		.amdhsa_user_sgpr_kernarg_preload_length 0
		.amdhsa_user_sgpr_kernarg_preload_offset 0
		.amdhsa_user_sgpr_private_segment_size 0
		.amdhsa_uses_dynamic_stack 0
		.amdhsa_system_sgpr_private_segment_wavefront_offset 0
		.amdhsa_system_sgpr_workgroup_id_x 1
		.amdhsa_system_sgpr_workgroup_id_y 0
		.amdhsa_system_sgpr_workgroup_id_z 0
		.amdhsa_system_sgpr_workgroup_info 0
		.amdhsa_system_vgpr_workitem_id 0
		.amdhsa_next_free_vgpr 1
		.amdhsa_next_free_sgpr 0
		.amdhsa_accum_offset 4
		.amdhsa_reserve_vcc 0
		.amdhsa_reserve_flat_scratch 0
		.amdhsa_float_round_mode_32 0
		.amdhsa_float_round_mode_16_64 0
		.amdhsa_float_denorm_mode_32 3
		.amdhsa_float_denorm_mode_16_64 3
		.amdhsa_dx10_clamp 1
		.amdhsa_ieee_mode 1
		.amdhsa_fp16_overflow 0
		.amdhsa_tg_split 0
		.amdhsa_exception_fp_ieee_invalid_op 0
		.amdhsa_exception_fp_denorm_src 0
		.amdhsa_exception_fp_ieee_div_zero 0
		.amdhsa_exception_fp_ieee_overflow 0
		.amdhsa_exception_fp_ieee_underflow 0
		.amdhsa_exception_fp_ieee_inexact 0
		.amdhsa_exception_int_div_zero 0
	.end_amdhsa_kernel
	.section	.text._ZN7rocprim17ROCPRIM_400000_NS6detail17trampoline_kernelINS0_14default_configENS1_20scan_config_selectorIdEEZZNS1_9scan_implILNS1_25lookback_scan_determinismE0ELb0ELb0ES3_N6thrust23THRUST_200600_302600_NS6detail15normal_iteratorINS9_10device_ptrIdEEEENS9_16discard_iteratorINS9_11use_defaultEEEd11max_functorIdEdEEDaPvRmT3_T4_T5_mT6_P12ihipStream_tbENKUlT_T0_E_clISt17integral_constantIbLb0EESX_EEDaSS_ST_EUlSS_E0_NS1_11comp_targetILNS1_3genE0ELNS1_11target_archE4294967295ELNS1_3gpuE0ELNS1_3repE0EEENS1_30default_config_static_selectorELNS0_4arch9wavefront6targetE1EEEvT1_,"axG",@progbits,_ZN7rocprim17ROCPRIM_400000_NS6detail17trampoline_kernelINS0_14default_configENS1_20scan_config_selectorIdEEZZNS1_9scan_implILNS1_25lookback_scan_determinismE0ELb0ELb0ES3_N6thrust23THRUST_200600_302600_NS6detail15normal_iteratorINS9_10device_ptrIdEEEENS9_16discard_iteratorINS9_11use_defaultEEEd11max_functorIdEdEEDaPvRmT3_T4_T5_mT6_P12ihipStream_tbENKUlT_T0_E_clISt17integral_constantIbLb0EESX_EEDaSS_ST_EUlSS_E0_NS1_11comp_targetILNS1_3genE0ELNS1_11target_archE4294967295ELNS1_3gpuE0ELNS1_3repE0EEENS1_30default_config_static_selectorELNS0_4arch9wavefront6targetE1EEEvT1_,comdat
.Lfunc_end2999:
	.size	_ZN7rocprim17ROCPRIM_400000_NS6detail17trampoline_kernelINS0_14default_configENS1_20scan_config_selectorIdEEZZNS1_9scan_implILNS1_25lookback_scan_determinismE0ELb0ELb0ES3_N6thrust23THRUST_200600_302600_NS6detail15normal_iteratorINS9_10device_ptrIdEEEENS9_16discard_iteratorINS9_11use_defaultEEEd11max_functorIdEdEEDaPvRmT3_T4_T5_mT6_P12ihipStream_tbENKUlT_T0_E_clISt17integral_constantIbLb0EESX_EEDaSS_ST_EUlSS_E0_NS1_11comp_targetILNS1_3genE0ELNS1_11target_archE4294967295ELNS1_3gpuE0ELNS1_3repE0EEENS1_30default_config_static_selectorELNS0_4arch9wavefront6targetE1EEEvT1_, .Lfunc_end2999-_ZN7rocprim17ROCPRIM_400000_NS6detail17trampoline_kernelINS0_14default_configENS1_20scan_config_selectorIdEEZZNS1_9scan_implILNS1_25lookback_scan_determinismE0ELb0ELb0ES3_N6thrust23THRUST_200600_302600_NS6detail15normal_iteratorINS9_10device_ptrIdEEEENS9_16discard_iteratorINS9_11use_defaultEEEd11max_functorIdEdEEDaPvRmT3_T4_T5_mT6_P12ihipStream_tbENKUlT_T0_E_clISt17integral_constantIbLb0EESX_EEDaSS_ST_EUlSS_E0_NS1_11comp_targetILNS1_3genE0ELNS1_11target_archE4294967295ELNS1_3gpuE0ELNS1_3repE0EEENS1_30default_config_static_selectorELNS0_4arch9wavefront6targetE1EEEvT1_
                                        ; -- End function
	.section	.AMDGPU.csdata,"",@progbits
; Kernel info:
; codeLenInByte = 0
; NumSgprs: 4
; NumVgprs: 0
; NumAgprs: 0
; TotalNumVgprs: 0
; ScratchSize: 0
; MemoryBound: 0
; FloatMode: 240
; IeeeMode: 1
; LDSByteSize: 0 bytes/workgroup (compile time only)
; SGPRBlocks: 0
; VGPRBlocks: 0
; NumSGPRsForWavesPerEU: 4
; NumVGPRsForWavesPerEU: 1
; AccumOffset: 4
; Occupancy: 8
; WaveLimiterHint : 0
; COMPUTE_PGM_RSRC2:SCRATCH_EN: 0
; COMPUTE_PGM_RSRC2:USER_SGPR: 6
; COMPUTE_PGM_RSRC2:TRAP_HANDLER: 0
; COMPUTE_PGM_RSRC2:TGID_X_EN: 1
; COMPUTE_PGM_RSRC2:TGID_Y_EN: 0
; COMPUTE_PGM_RSRC2:TGID_Z_EN: 0
; COMPUTE_PGM_RSRC2:TIDIG_COMP_CNT: 0
; COMPUTE_PGM_RSRC3_GFX90A:ACCUM_OFFSET: 0
; COMPUTE_PGM_RSRC3_GFX90A:TG_SPLIT: 0
	.section	.text._ZN7rocprim17ROCPRIM_400000_NS6detail17trampoline_kernelINS0_14default_configENS1_20scan_config_selectorIdEEZZNS1_9scan_implILNS1_25lookback_scan_determinismE0ELb0ELb0ES3_N6thrust23THRUST_200600_302600_NS6detail15normal_iteratorINS9_10device_ptrIdEEEENS9_16discard_iteratorINS9_11use_defaultEEEd11max_functorIdEdEEDaPvRmT3_T4_T5_mT6_P12ihipStream_tbENKUlT_T0_E_clISt17integral_constantIbLb0EESX_EEDaSS_ST_EUlSS_E0_NS1_11comp_targetILNS1_3genE5ELNS1_11target_archE942ELNS1_3gpuE9ELNS1_3repE0EEENS1_30default_config_static_selectorELNS0_4arch9wavefront6targetE1EEEvT1_,"axG",@progbits,_ZN7rocprim17ROCPRIM_400000_NS6detail17trampoline_kernelINS0_14default_configENS1_20scan_config_selectorIdEEZZNS1_9scan_implILNS1_25lookback_scan_determinismE0ELb0ELb0ES3_N6thrust23THRUST_200600_302600_NS6detail15normal_iteratorINS9_10device_ptrIdEEEENS9_16discard_iteratorINS9_11use_defaultEEEd11max_functorIdEdEEDaPvRmT3_T4_T5_mT6_P12ihipStream_tbENKUlT_T0_E_clISt17integral_constantIbLb0EESX_EEDaSS_ST_EUlSS_E0_NS1_11comp_targetILNS1_3genE5ELNS1_11target_archE942ELNS1_3gpuE9ELNS1_3repE0EEENS1_30default_config_static_selectorELNS0_4arch9wavefront6targetE1EEEvT1_,comdat
	.protected	_ZN7rocprim17ROCPRIM_400000_NS6detail17trampoline_kernelINS0_14default_configENS1_20scan_config_selectorIdEEZZNS1_9scan_implILNS1_25lookback_scan_determinismE0ELb0ELb0ES3_N6thrust23THRUST_200600_302600_NS6detail15normal_iteratorINS9_10device_ptrIdEEEENS9_16discard_iteratorINS9_11use_defaultEEEd11max_functorIdEdEEDaPvRmT3_T4_T5_mT6_P12ihipStream_tbENKUlT_T0_E_clISt17integral_constantIbLb0EESX_EEDaSS_ST_EUlSS_E0_NS1_11comp_targetILNS1_3genE5ELNS1_11target_archE942ELNS1_3gpuE9ELNS1_3repE0EEENS1_30default_config_static_selectorELNS0_4arch9wavefront6targetE1EEEvT1_ ; -- Begin function _ZN7rocprim17ROCPRIM_400000_NS6detail17trampoline_kernelINS0_14default_configENS1_20scan_config_selectorIdEEZZNS1_9scan_implILNS1_25lookback_scan_determinismE0ELb0ELb0ES3_N6thrust23THRUST_200600_302600_NS6detail15normal_iteratorINS9_10device_ptrIdEEEENS9_16discard_iteratorINS9_11use_defaultEEEd11max_functorIdEdEEDaPvRmT3_T4_T5_mT6_P12ihipStream_tbENKUlT_T0_E_clISt17integral_constantIbLb0EESX_EEDaSS_ST_EUlSS_E0_NS1_11comp_targetILNS1_3genE5ELNS1_11target_archE942ELNS1_3gpuE9ELNS1_3repE0EEENS1_30default_config_static_selectorELNS0_4arch9wavefront6targetE1EEEvT1_
	.globl	_ZN7rocprim17ROCPRIM_400000_NS6detail17trampoline_kernelINS0_14default_configENS1_20scan_config_selectorIdEEZZNS1_9scan_implILNS1_25lookback_scan_determinismE0ELb0ELb0ES3_N6thrust23THRUST_200600_302600_NS6detail15normal_iteratorINS9_10device_ptrIdEEEENS9_16discard_iteratorINS9_11use_defaultEEEd11max_functorIdEdEEDaPvRmT3_T4_T5_mT6_P12ihipStream_tbENKUlT_T0_E_clISt17integral_constantIbLb0EESX_EEDaSS_ST_EUlSS_E0_NS1_11comp_targetILNS1_3genE5ELNS1_11target_archE942ELNS1_3gpuE9ELNS1_3repE0EEENS1_30default_config_static_selectorELNS0_4arch9wavefront6targetE1EEEvT1_
	.p2align	8
	.type	_ZN7rocprim17ROCPRIM_400000_NS6detail17trampoline_kernelINS0_14default_configENS1_20scan_config_selectorIdEEZZNS1_9scan_implILNS1_25lookback_scan_determinismE0ELb0ELb0ES3_N6thrust23THRUST_200600_302600_NS6detail15normal_iteratorINS9_10device_ptrIdEEEENS9_16discard_iteratorINS9_11use_defaultEEEd11max_functorIdEdEEDaPvRmT3_T4_T5_mT6_P12ihipStream_tbENKUlT_T0_E_clISt17integral_constantIbLb0EESX_EEDaSS_ST_EUlSS_E0_NS1_11comp_targetILNS1_3genE5ELNS1_11target_archE942ELNS1_3gpuE9ELNS1_3repE0EEENS1_30default_config_static_selectorELNS0_4arch9wavefront6targetE1EEEvT1_,@function
_ZN7rocprim17ROCPRIM_400000_NS6detail17trampoline_kernelINS0_14default_configENS1_20scan_config_selectorIdEEZZNS1_9scan_implILNS1_25lookback_scan_determinismE0ELb0ELb0ES3_N6thrust23THRUST_200600_302600_NS6detail15normal_iteratorINS9_10device_ptrIdEEEENS9_16discard_iteratorINS9_11use_defaultEEEd11max_functorIdEdEEDaPvRmT3_T4_T5_mT6_P12ihipStream_tbENKUlT_T0_E_clISt17integral_constantIbLb0EESX_EEDaSS_ST_EUlSS_E0_NS1_11comp_targetILNS1_3genE5ELNS1_11target_archE942ELNS1_3gpuE9ELNS1_3repE0EEENS1_30default_config_static_selectorELNS0_4arch9wavefront6targetE1EEEvT1_: ; @_ZN7rocprim17ROCPRIM_400000_NS6detail17trampoline_kernelINS0_14default_configENS1_20scan_config_selectorIdEEZZNS1_9scan_implILNS1_25lookback_scan_determinismE0ELb0ELb0ES3_N6thrust23THRUST_200600_302600_NS6detail15normal_iteratorINS9_10device_ptrIdEEEENS9_16discard_iteratorINS9_11use_defaultEEEd11max_functorIdEdEEDaPvRmT3_T4_T5_mT6_P12ihipStream_tbENKUlT_T0_E_clISt17integral_constantIbLb0EESX_EEDaSS_ST_EUlSS_E0_NS1_11comp_targetILNS1_3genE5ELNS1_11target_archE942ELNS1_3gpuE9ELNS1_3repE0EEENS1_30default_config_static_selectorELNS0_4arch9wavefront6targetE1EEEvT1_
; %bb.0:
	.section	.rodata,"a",@progbits
	.p2align	6, 0x0
	.amdhsa_kernel _ZN7rocprim17ROCPRIM_400000_NS6detail17trampoline_kernelINS0_14default_configENS1_20scan_config_selectorIdEEZZNS1_9scan_implILNS1_25lookback_scan_determinismE0ELb0ELb0ES3_N6thrust23THRUST_200600_302600_NS6detail15normal_iteratorINS9_10device_ptrIdEEEENS9_16discard_iteratorINS9_11use_defaultEEEd11max_functorIdEdEEDaPvRmT3_T4_T5_mT6_P12ihipStream_tbENKUlT_T0_E_clISt17integral_constantIbLb0EESX_EEDaSS_ST_EUlSS_E0_NS1_11comp_targetILNS1_3genE5ELNS1_11target_archE942ELNS1_3gpuE9ELNS1_3repE0EEENS1_30default_config_static_selectorELNS0_4arch9wavefront6targetE1EEEvT1_
		.amdhsa_group_segment_fixed_size 0
		.amdhsa_private_segment_fixed_size 0
		.amdhsa_kernarg_size 48
		.amdhsa_user_sgpr_count 6
		.amdhsa_user_sgpr_private_segment_buffer 1
		.amdhsa_user_sgpr_dispatch_ptr 0
		.amdhsa_user_sgpr_queue_ptr 0
		.amdhsa_user_sgpr_kernarg_segment_ptr 1
		.amdhsa_user_sgpr_dispatch_id 0
		.amdhsa_user_sgpr_flat_scratch_init 0
		.amdhsa_user_sgpr_kernarg_preload_length 0
		.amdhsa_user_sgpr_kernarg_preload_offset 0
		.amdhsa_user_sgpr_private_segment_size 0
		.amdhsa_uses_dynamic_stack 0
		.amdhsa_system_sgpr_private_segment_wavefront_offset 0
		.amdhsa_system_sgpr_workgroup_id_x 1
		.amdhsa_system_sgpr_workgroup_id_y 0
		.amdhsa_system_sgpr_workgroup_id_z 0
		.amdhsa_system_sgpr_workgroup_info 0
		.amdhsa_system_vgpr_workitem_id 0
		.amdhsa_next_free_vgpr 1
		.amdhsa_next_free_sgpr 0
		.amdhsa_accum_offset 4
		.amdhsa_reserve_vcc 0
		.amdhsa_reserve_flat_scratch 0
		.amdhsa_float_round_mode_32 0
		.amdhsa_float_round_mode_16_64 0
		.amdhsa_float_denorm_mode_32 3
		.amdhsa_float_denorm_mode_16_64 3
		.amdhsa_dx10_clamp 1
		.amdhsa_ieee_mode 1
		.amdhsa_fp16_overflow 0
		.amdhsa_tg_split 0
		.amdhsa_exception_fp_ieee_invalid_op 0
		.amdhsa_exception_fp_denorm_src 0
		.amdhsa_exception_fp_ieee_div_zero 0
		.amdhsa_exception_fp_ieee_overflow 0
		.amdhsa_exception_fp_ieee_underflow 0
		.amdhsa_exception_fp_ieee_inexact 0
		.amdhsa_exception_int_div_zero 0
	.end_amdhsa_kernel
	.section	.text._ZN7rocprim17ROCPRIM_400000_NS6detail17trampoline_kernelINS0_14default_configENS1_20scan_config_selectorIdEEZZNS1_9scan_implILNS1_25lookback_scan_determinismE0ELb0ELb0ES3_N6thrust23THRUST_200600_302600_NS6detail15normal_iteratorINS9_10device_ptrIdEEEENS9_16discard_iteratorINS9_11use_defaultEEEd11max_functorIdEdEEDaPvRmT3_T4_T5_mT6_P12ihipStream_tbENKUlT_T0_E_clISt17integral_constantIbLb0EESX_EEDaSS_ST_EUlSS_E0_NS1_11comp_targetILNS1_3genE5ELNS1_11target_archE942ELNS1_3gpuE9ELNS1_3repE0EEENS1_30default_config_static_selectorELNS0_4arch9wavefront6targetE1EEEvT1_,"axG",@progbits,_ZN7rocprim17ROCPRIM_400000_NS6detail17trampoline_kernelINS0_14default_configENS1_20scan_config_selectorIdEEZZNS1_9scan_implILNS1_25lookback_scan_determinismE0ELb0ELb0ES3_N6thrust23THRUST_200600_302600_NS6detail15normal_iteratorINS9_10device_ptrIdEEEENS9_16discard_iteratorINS9_11use_defaultEEEd11max_functorIdEdEEDaPvRmT3_T4_T5_mT6_P12ihipStream_tbENKUlT_T0_E_clISt17integral_constantIbLb0EESX_EEDaSS_ST_EUlSS_E0_NS1_11comp_targetILNS1_3genE5ELNS1_11target_archE942ELNS1_3gpuE9ELNS1_3repE0EEENS1_30default_config_static_selectorELNS0_4arch9wavefront6targetE1EEEvT1_,comdat
.Lfunc_end3000:
	.size	_ZN7rocprim17ROCPRIM_400000_NS6detail17trampoline_kernelINS0_14default_configENS1_20scan_config_selectorIdEEZZNS1_9scan_implILNS1_25lookback_scan_determinismE0ELb0ELb0ES3_N6thrust23THRUST_200600_302600_NS6detail15normal_iteratorINS9_10device_ptrIdEEEENS9_16discard_iteratorINS9_11use_defaultEEEd11max_functorIdEdEEDaPvRmT3_T4_T5_mT6_P12ihipStream_tbENKUlT_T0_E_clISt17integral_constantIbLb0EESX_EEDaSS_ST_EUlSS_E0_NS1_11comp_targetILNS1_3genE5ELNS1_11target_archE942ELNS1_3gpuE9ELNS1_3repE0EEENS1_30default_config_static_selectorELNS0_4arch9wavefront6targetE1EEEvT1_, .Lfunc_end3000-_ZN7rocprim17ROCPRIM_400000_NS6detail17trampoline_kernelINS0_14default_configENS1_20scan_config_selectorIdEEZZNS1_9scan_implILNS1_25lookback_scan_determinismE0ELb0ELb0ES3_N6thrust23THRUST_200600_302600_NS6detail15normal_iteratorINS9_10device_ptrIdEEEENS9_16discard_iteratorINS9_11use_defaultEEEd11max_functorIdEdEEDaPvRmT3_T4_T5_mT6_P12ihipStream_tbENKUlT_T0_E_clISt17integral_constantIbLb0EESX_EEDaSS_ST_EUlSS_E0_NS1_11comp_targetILNS1_3genE5ELNS1_11target_archE942ELNS1_3gpuE9ELNS1_3repE0EEENS1_30default_config_static_selectorELNS0_4arch9wavefront6targetE1EEEvT1_
                                        ; -- End function
	.section	.AMDGPU.csdata,"",@progbits
; Kernel info:
; codeLenInByte = 0
; NumSgprs: 4
; NumVgprs: 0
; NumAgprs: 0
; TotalNumVgprs: 0
; ScratchSize: 0
; MemoryBound: 0
; FloatMode: 240
; IeeeMode: 1
; LDSByteSize: 0 bytes/workgroup (compile time only)
; SGPRBlocks: 0
; VGPRBlocks: 0
; NumSGPRsForWavesPerEU: 4
; NumVGPRsForWavesPerEU: 1
; AccumOffset: 4
; Occupancy: 8
; WaveLimiterHint : 0
; COMPUTE_PGM_RSRC2:SCRATCH_EN: 0
; COMPUTE_PGM_RSRC2:USER_SGPR: 6
; COMPUTE_PGM_RSRC2:TRAP_HANDLER: 0
; COMPUTE_PGM_RSRC2:TGID_X_EN: 1
; COMPUTE_PGM_RSRC2:TGID_Y_EN: 0
; COMPUTE_PGM_RSRC2:TGID_Z_EN: 0
; COMPUTE_PGM_RSRC2:TIDIG_COMP_CNT: 0
; COMPUTE_PGM_RSRC3_GFX90A:ACCUM_OFFSET: 0
; COMPUTE_PGM_RSRC3_GFX90A:TG_SPLIT: 0
	.section	.text._ZN7rocprim17ROCPRIM_400000_NS6detail17trampoline_kernelINS0_14default_configENS1_20scan_config_selectorIdEEZZNS1_9scan_implILNS1_25lookback_scan_determinismE0ELb0ELb0ES3_N6thrust23THRUST_200600_302600_NS6detail15normal_iteratorINS9_10device_ptrIdEEEENS9_16discard_iteratorINS9_11use_defaultEEEd11max_functorIdEdEEDaPvRmT3_T4_T5_mT6_P12ihipStream_tbENKUlT_T0_E_clISt17integral_constantIbLb0EESX_EEDaSS_ST_EUlSS_E0_NS1_11comp_targetILNS1_3genE4ELNS1_11target_archE910ELNS1_3gpuE8ELNS1_3repE0EEENS1_30default_config_static_selectorELNS0_4arch9wavefront6targetE1EEEvT1_,"axG",@progbits,_ZN7rocprim17ROCPRIM_400000_NS6detail17trampoline_kernelINS0_14default_configENS1_20scan_config_selectorIdEEZZNS1_9scan_implILNS1_25lookback_scan_determinismE0ELb0ELb0ES3_N6thrust23THRUST_200600_302600_NS6detail15normal_iteratorINS9_10device_ptrIdEEEENS9_16discard_iteratorINS9_11use_defaultEEEd11max_functorIdEdEEDaPvRmT3_T4_T5_mT6_P12ihipStream_tbENKUlT_T0_E_clISt17integral_constantIbLb0EESX_EEDaSS_ST_EUlSS_E0_NS1_11comp_targetILNS1_3genE4ELNS1_11target_archE910ELNS1_3gpuE8ELNS1_3repE0EEENS1_30default_config_static_selectorELNS0_4arch9wavefront6targetE1EEEvT1_,comdat
	.protected	_ZN7rocprim17ROCPRIM_400000_NS6detail17trampoline_kernelINS0_14default_configENS1_20scan_config_selectorIdEEZZNS1_9scan_implILNS1_25lookback_scan_determinismE0ELb0ELb0ES3_N6thrust23THRUST_200600_302600_NS6detail15normal_iteratorINS9_10device_ptrIdEEEENS9_16discard_iteratorINS9_11use_defaultEEEd11max_functorIdEdEEDaPvRmT3_T4_T5_mT6_P12ihipStream_tbENKUlT_T0_E_clISt17integral_constantIbLb0EESX_EEDaSS_ST_EUlSS_E0_NS1_11comp_targetILNS1_3genE4ELNS1_11target_archE910ELNS1_3gpuE8ELNS1_3repE0EEENS1_30default_config_static_selectorELNS0_4arch9wavefront6targetE1EEEvT1_ ; -- Begin function _ZN7rocprim17ROCPRIM_400000_NS6detail17trampoline_kernelINS0_14default_configENS1_20scan_config_selectorIdEEZZNS1_9scan_implILNS1_25lookback_scan_determinismE0ELb0ELb0ES3_N6thrust23THRUST_200600_302600_NS6detail15normal_iteratorINS9_10device_ptrIdEEEENS9_16discard_iteratorINS9_11use_defaultEEEd11max_functorIdEdEEDaPvRmT3_T4_T5_mT6_P12ihipStream_tbENKUlT_T0_E_clISt17integral_constantIbLb0EESX_EEDaSS_ST_EUlSS_E0_NS1_11comp_targetILNS1_3genE4ELNS1_11target_archE910ELNS1_3gpuE8ELNS1_3repE0EEENS1_30default_config_static_selectorELNS0_4arch9wavefront6targetE1EEEvT1_
	.globl	_ZN7rocprim17ROCPRIM_400000_NS6detail17trampoline_kernelINS0_14default_configENS1_20scan_config_selectorIdEEZZNS1_9scan_implILNS1_25lookback_scan_determinismE0ELb0ELb0ES3_N6thrust23THRUST_200600_302600_NS6detail15normal_iteratorINS9_10device_ptrIdEEEENS9_16discard_iteratorINS9_11use_defaultEEEd11max_functorIdEdEEDaPvRmT3_T4_T5_mT6_P12ihipStream_tbENKUlT_T0_E_clISt17integral_constantIbLb0EESX_EEDaSS_ST_EUlSS_E0_NS1_11comp_targetILNS1_3genE4ELNS1_11target_archE910ELNS1_3gpuE8ELNS1_3repE0EEENS1_30default_config_static_selectorELNS0_4arch9wavefront6targetE1EEEvT1_
	.p2align	8
	.type	_ZN7rocprim17ROCPRIM_400000_NS6detail17trampoline_kernelINS0_14default_configENS1_20scan_config_selectorIdEEZZNS1_9scan_implILNS1_25lookback_scan_determinismE0ELb0ELb0ES3_N6thrust23THRUST_200600_302600_NS6detail15normal_iteratorINS9_10device_ptrIdEEEENS9_16discard_iteratorINS9_11use_defaultEEEd11max_functorIdEdEEDaPvRmT3_T4_T5_mT6_P12ihipStream_tbENKUlT_T0_E_clISt17integral_constantIbLb0EESX_EEDaSS_ST_EUlSS_E0_NS1_11comp_targetILNS1_3genE4ELNS1_11target_archE910ELNS1_3gpuE8ELNS1_3repE0EEENS1_30default_config_static_selectorELNS0_4arch9wavefront6targetE1EEEvT1_,@function
_ZN7rocprim17ROCPRIM_400000_NS6detail17trampoline_kernelINS0_14default_configENS1_20scan_config_selectorIdEEZZNS1_9scan_implILNS1_25lookback_scan_determinismE0ELb0ELb0ES3_N6thrust23THRUST_200600_302600_NS6detail15normal_iteratorINS9_10device_ptrIdEEEENS9_16discard_iteratorINS9_11use_defaultEEEd11max_functorIdEdEEDaPvRmT3_T4_T5_mT6_P12ihipStream_tbENKUlT_T0_E_clISt17integral_constantIbLb0EESX_EEDaSS_ST_EUlSS_E0_NS1_11comp_targetILNS1_3genE4ELNS1_11target_archE910ELNS1_3gpuE8ELNS1_3repE0EEENS1_30default_config_static_selectorELNS0_4arch9wavefront6targetE1EEEvT1_: ; @_ZN7rocprim17ROCPRIM_400000_NS6detail17trampoline_kernelINS0_14default_configENS1_20scan_config_selectorIdEEZZNS1_9scan_implILNS1_25lookback_scan_determinismE0ELb0ELb0ES3_N6thrust23THRUST_200600_302600_NS6detail15normal_iteratorINS9_10device_ptrIdEEEENS9_16discard_iteratorINS9_11use_defaultEEEd11max_functorIdEdEEDaPvRmT3_T4_T5_mT6_P12ihipStream_tbENKUlT_T0_E_clISt17integral_constantIbLb0EESX_EEDaSS_ST_EUlSS_E0_NS1_11comp_targetILNS1_3genE4ELNS1_11target_archE910ELNS1_3gpuE8ELNS1_3repE0EEENS1_30default_config_static_selectorELNS0_4arch9wavefront6targetE1EEEvT1_
; %bb.0:
	s_load_dwordx4 s[0:3], s[4:5], 0x0
	v_lshlrev_b32_e32 v1, 3, v0
	s_waitcnt lgkmcnt(0)
	s_load_dwordx2 s[4:5], s[0:1], 0x0
	v_cmp_gt_u32_e32 vcc, s2, v0
	s_waitcnt lgkmcnt(0)
	v_pk_mov_b32 v[2:3], s[4:5], s[4:5] op_sel:[0,1]
	s_and_saveexec_b64 s[6:7], vcc
	s_cbranch_execz .LBB3001_2
; %bb.1:
	global_load_dwordx2 v[2:3], v1, s[0:1]
.LBB3001_2:
	s_or_b64 exec, exec, s[6:7]
	v_or_b32_e32 v4, 0x80, v0
	v_cmp_gt_u32_e32 vcc, s2, v4
	v_pk_mov_b32 v[4:5], s[4:5], s[4:5] op_sel:[0,1]
	s_and_saveexec_b64 s[6:7], vcc
	s_cbranch_execz .LBB3001_4
; %bb.3:
	global_load_dwordx2 v[4:5], v1, s[0:1] offset:1024
.LBB3001_4:
	s_or_b64 exec, exec, s[6:7]
	v_or_b32_e32 v6, 0x100, v0
	v_cmp_gt_u32_e32 vcc, s2, v6
	v_pk_mov_b32 v[6:7], s[4:5], s[4:5] op_sel:[0,1]
	s_and_saveexec_b64 s[6:7], vcc
	s_cbranch_execz .LBB3001_6
; %bb.5:
	global_load_dwordx2 v[6:7], v1, s[0:1] offset:2048
.LBB3001_6:
	;; [unrolled: 9-line block ×3, first 2 shown]
	s_or_b64 exec, exec, s[6:7]
	v_or_b32_e32 v12, 0x200, v0
	v_cmp_gt_u32_e32 vcc, s2, v12
	v_pk_mov_b32 v[10:11], s[4:5], s[4:5] op_sel:[0,1]
	s_and_saveexec_b64 s[6:7], vcc
	s_cbranch_execz .LBB3001_10
; %bb.9:
	v_lshlrev_b32_e32 v10, 3, v12
	global_load_dwordx2 v[10:11], v10, s[0:1]
.LBB3001_10:
	s_or_b64 exec, exec, s[6:7]
	v_or_b32_e32 v14, 0x280, v0
	v_cmp_gt_u32_e32 vcc, s2, v14
	v_pk_mov_b32 v[12:13], s[4:5], s[4:5] op_sel:[0,1]
	s_and_saveexec_b64 s[6:7], vcc
	s_cbranch_execz .LBB3001_12
; %bb.11:
	v_lshlrev_b32_e32 v12, 3, v14
	global_load_dwordx2 v[12:13], v12, s[0:1]
.LBB3001_12:
	;; [unrolled: 10-line block ×6, first 2 shown]
	s_or_b64 exec, exec, s[2:3]
	s_movk_i32 s0, 0x48
	s_waitcnt vmcnt(0)
	ds_write2st64_b64 v1, v[2:3], v[4:5] offset1:2
	ds_write2st64_b64 v1, v[6:7], v[8:9] offset0:4 offset1:6
	ds_write2st64_b64 v1, v[10:11], v[12:13] offset0:8 offset1:10
	;; [unrolled: 1-line block ×4, first 2 shown]
	v_mad_u32_u24 v14, v0, s0, v1
	s_waitcnt lgkmcnt(0)
	s_barrier
	ds_read_b128 v[2:5], v14
	ds_read_b128 v[18:21], v14 offset:16
	ds_read_b128 v[10:13], v14 offset:32
	;; [unrolled: 1-line block ×4, first 2 shown]
	s_waitcnt lgkmcnt(4)
	v_cmp_lt_f64_e32 vcc, v[2:3], v[4:5]
	v_cndmask_b32_e32 v23, v3, v5, vcc
	v_cndmask_b32_e32 v22, v2, v4, vcc
	s_waitcnt lgkmcnt(3)
	v_cmp_lt_f64_e32 vcc, v[22:23], v[18:19]
	v_cndmask_b32_e32 v23, v23, v19, vcc
	v_cndmask_b32_e32 v22, v22, v18, vcc
	v_cmp_lt_f64_e32 vcc, v[22:23], v[20:21]
	v_cndmask_b32_e32 v23, v23, v21, vcc
	v_cndmask_b32_e32 v22, v22, v20, vcc
	s_waitcnt lgkmcnt(2)
	v_cmp_lt_f64_e32 vcc, v[22:23], v[10:11]
	v_cndmask_b32_e32 v23, v23, v11, vcc
	v_cndmask_b32_e32 v22, v22, v10, vcc
	;; [unrolled: 7-line block ×4, first 2 shown]
	v_mbcnt_lo_u32_b32 v24, -1, 0
	v_cmp_lt_f64_e32 vcc, v[22:23], v[16:17]
	v_mbcnt_hi_u32_b32 v26, -1, v24
	v_cndmask_b32_e32 v23, v23, v17, vcc
	v_cndmask_b32_e32 v22, v22, v16, vcc
	v_and_b32_e32 v27, 15, v26
	v_mov_b32_dpp v25, v23 row_shr:1 row_mask:0xf bank_mask:0xf
	v_mov_b32_dpp v24, v22 row_shr:1 row_mask:0xf bank_mask:0xf
	v_cmp_ne_u32_e32 vcc, 0, v27
	s_barrier
	s_and_saveexec_b64 s[0:1], vcc
; %bb.21:
	v_cmp_gt_f64_e32 vcc, v[22:23], v[24:25]
	v_cndmask_b32_e32 v23, v25, v23, vcc
	v_cndmask_b32_e32 v22, v24, v22, vcc
; %bb.22:
	s_or_b64 exec, exec, s[0:1]
	s_nop 0
	v_mov_b32_dpp v24, v22 row_shr:2 row_mask:0xf bank_mask:0xf
	v_mov_b32_dpp v25, v23 row_shr:2 row_mask:0xf bank_mask:0xf
	v_cmp_lt_u32_e32 vcc, 1, v27
	s_and_saveexec_b64 s[0:1], vcc
; %bb.23:
	v_cmp_gt_f64_e32 vcc, v[22:23], v[24:25]
	v_cndmask_b32_e32 v23, v25, v23, vcc
	v_cndmask_b32_e32 v22, v24, v22, vcc
; %bb.24:
	s_or_b64 exec, exec, s[0:1]
	s_nop 0
	v_mov_b32_dpp v24, v22 row_shr:4 row_mask:0xf bank_mask:0xf
	v_mov_b32_dpp v25, v23 row_shr:4 row_mask:0xf bank_mask:0xf
	v_cmp_lt_u32_e32 vcc, 3, v27
	s_and_saveexec_b64 s[0:1], vcc
; %bb.25:
	v_cmp_gt_f64_e32 vcc, v[22:23], v[24:25]
	v_cndmask_b32_e32 v23, v25, v23, vcc
	v_cndmask_b32_e32 v22, v24, v22, vcc
; %bb.26:
	s_or_b64 exec, exec, s[0:1]
	s_nop 0
	v_mov_b32_dpp v24, v22 row_shr:8 row_mask:0xf bank_mask:0xf
	v_mov_b32_dpp v25, v23 row_shr:8 row_mask:0xf bank_mask:0xf
	v_cmp_lt_u32_e32 vcc, 7, v27
	s_and_saveexec_b64 s[0:1], vcc
; %bb.27:
	v_cmp_gt_f64_e32 vcc, v[22:23], v[24:25]
	v_cndmask_b32_e32 v23, v25, v23, vcc
	v_cndmask_b32_e32 v22, v24, v22, vcc
; %bb.28:
	s_or_b64 exec, exec, s[0:1]
	v_and_b32_e32 v27, 16, v26
	v_mov_b32_dpp v24, v22 row_bcast:15 row_mask:0xf bank_mask:0xf
	v_mov_b32_dpp v25, v23 row_bcast:15 row_mask:0xf bank_mask:0xf
	v_cmp_ne_u32_e32 vcc, 0, v27
	s_and_saveexec_b64 s[0:1], vcc
; %bb.29:
	v_cmp_gt_f64_e32 vcc, v[22:23], v[24:25]
	v_cndmask_b32_e32 v23, v25, v23, vcc
	v_cndmask_b32_e32 v22, v24, v22, vcc
; %bb.30:
	s_or_b64 exec, exec, s[0:1]
	s_nop 0
	v_mov_b32_dpp v24, v22 row_bcast:31 row_mask:0xf bank_mask:0xf
	v_mov_b32_dpp v25, v23 row_bcast:31 row_mask:0xf bank_mask:0xf
	v_cmp_gt_f64_e32 vcc, v[22:23], v[24:25]
	v_cndmask_b32_e32 v24, v24, v22, vcc
	v_cndmask_b32_e32 v25, v25, v23, vcc
	v_cmp_lt_u32_e32 vcc, 31, v26
	v_cndmask_b32_e32 v22, v22, v24, vcc
	v_or_b32_e32 v24, 63, v0
	v_cndmask_b32_e32 v23, v23, v25, vcc
	v_lshrrev_b32_e32 v27, 6, v0
	v_cmp_eq_u32_e32 vcc, v24, v0
	s_and_saveexec_b64 s[0:1], vcc
	s_cbranch_execz .LBB3001_32
; %bb.31:
	v_lshlrev_b32_e32 v24, 3, v27
	ds_write_b64 v24, v[22:23]
.LBB3001_32:
	s_or_b64 exec, exec, s[0:1]
	v_cmp_gt_u32_e32 vcc, 2, v0
	s_waitcnt lgkmcnt(0)
	s_barrier
	s_and_saveexec_b64 s[2:3], vcc
	s_cbranch_execz .LBB3001_34
; %bb.33:
	ds_read_b64 v[24:25], v1
	v_and_b32_e32 v28, 1, v26
	v_cmp_eq_u32_e32 vcc, 0, v28
	s_waitcnt lgkmcnt(0)
	v_mov_b32_dpp v30, v25 row_shr:1 row_mask:0xf bank_mask:0xf
	v_mov_b32_dpp v28, v24 row_shr:1 row_mask:0xf bank_mask:0xf
	v_mov_b32_e32 v29, v30
	v_cmp_gt_f64_e64 s[0:1], v[24:25], v[28:29]
	s_or_b64 vcc, vcc, s[0:1]
	v_cndmask_b32_e32 v25, v30, v25, vcc
	v_cndmask_b32_e32 v24, v28, v24, vcc
	ds_write_b64 v1, v[24:25]
.LBB3001_34:
	s_or_b64 exec, exec, s[2:3]
	v_cmp_lt_u32_e32 vcc, 63, v0
	s_waitcnt lgkmcnt(0)
	s_barrier
	s_waitcnt lgkmcnt(0)
                                        ; implicit-def: $vgpr24_vgpr25
	s_and_saveexec_b64 s[0:1], vcc
	s_cbranch_execz .LBB3001_36
; %bb.35:
	v_lshl_add_u32 v24, v27, 3, -8
	ds_read_b64 v[24:25], v24
	s_waitcnt lgkmcnt(0)
	v_cmp_lt_f64_e32 vcc, v[24:25], v[22:23]
	v_cndmask_b32_e32 v23, v25, v23, vcc
	v_cndmask_b32_e32 v22, v24, v22, vcc
.LBB3001_36:
	s_or_b64 exec, exec, s[0:1]
	v_add_u32_e32 v27, -1, v26
	v_and_b32_e32 v28, 64, v26
	v_cmp_lt_i32_e32 vcc, v27, v28
	v_cndmask_b32_e32 v27, v27, v26, vcc
	v_lshlrev_b32_e32 v28, 2, v27
	ds_bpermute_b32 v27, v28, v22
	ds_bpermute_b32 v23, v28, v23
	v_mul_u32_u24_e32 v22, 0x48, v0
	v_cmp_ne_u32_e32 vcc, 0, v0
	s_and_saveexec_b64 s[0:1], vcc
	s_cbranch_execz .LBB3001_38
; %bb.37:
	v_cmp_eq_u32_e32 vcc, 0, v26
	s_waitcnt lgkmcnt(0)
	v_cndmask_b32_e32 v25, v23, v25, vcc
	v_cndmask_b32_e32 v24, v27, v24, vcc
	v_cmp_gt_f64_e32 vcc, v[2:3], v[24:25]
	v_cndmask_b32_e32 v3, v25, v3, vcc
	v_cndmask_b32_e32 v2, v24, v2, vcc
	;;#ASMSTART
	;;#ASMEND
.LBB3001_38:
	s_or_b64 exec, exec, s[0:1]
	v_cmp_gt_f64_e32 vcc, v[4:5], v[2:3]
	v_cndmask_b32_e32 v5, v3, v5, vcc
	v_cndmask_b32_e32 v4, v2, v4, vcc
	v_cmp_lt_f64_e32 vcc, v[4:5], v[18:19]
	v_cndmask_b32_e32 v19, v5, v19, vcc
	v_cndmask_b32_e32 v18, v4, v18, vcc
	v_cmp_lt_f64_e32 vcc, v[18:19], v[20:21]
	;; [unrolled: 3-line block ×8, first 2 shown]
	v_add_u32_e32 v0, v1, v22
	v_cndmask_b32_e32 v17, v15, v17, vcc
	v_cndmask_b32_e32 v16, v14, v16, vcc
	s_waitcnt lgkmcnt(0)
	s_barrier
	ds_write_b128 v0, v[2:5]
	ds_write_b128 v0, v[18:21] offset:16
	ds_write_b128 v0, v[10:13] offset:32
	ds_write_b128 v0, v[6:9] offset:48
	ds_write_b128 v0, v[14:17] offset:64
	s_waitcnt lgkmcnt(0)
	s_barrier
	s_endpgm
	.section	.rodata,"a",@progbits
	.p2align	6, 0x0
	.amdhsa_kernel _ZN7rocprim17ROCPRIM_400000_NS6detail17trampoline_kernelINS0_14default_configENS1_20scan_config_selectorIdEEZZNS1_9scan_implILNS1_25lookback_scan_determinismE0ELb0ELb0ES3_N6thrust23THRUST_200600_302600_NS6detail15normal_iteratorINS9_10device_ptrIdEEEENS9_16discard_iteratorINS9_11use_defaultEEEd11max_functorIdEdEEDaPvRmT3_T4_T5_mT6_P12ihipStream_tbENKUlT_T0_E_clISt17integral_constantIbLb0EESX_EEDaSS_ST_EUlSS_E0_NS1_11comp_targetILNS1_3genE4ELNS1_11target_archE910ELNS1_3gpuE8ELNS1_3repE0EEENS1_30default_config_static_selectorELNS0_4arch9wavefront6targetE1EEEvT1_
		.amdhsa_group_segment_fixed_size 10240
		.amdhsa_private_segment_fixed_size 0
		.amdhsa_kernarg_size 48
		.amdhsa_user_sgpr_count 6
		.amdhsa_user_sgpr_private_segment_buffer 1
		.amdhsa_user_sgpr_dispatch_ptr 0
		.amdhsa_user_sgpr_queue_ptr 0
		.amdhsa_user_sgpr_kernarg_segment_ptr 1
		.amdhsa_user_sgpr_dispatch_id 0
		.amdhsa_user_sgpr_flat_scratch_init 0
		.amdhsa_user_sgpr_kernarg_preload_length 0
		.amdhsa_user_sgpr_kernarg_preload_offset 0
		.amdhsa_user_sgpr_private_segment_size 0
		.amdhsa_uses_dynamic_stack 0
		.amdhsa_system_sgpr_private_segment_wavefront_offset 0
		.amdhsa_system_sgpr_workgroup_id_x 1
		.amdhsa_system_sgpr_workgroup_id_y 0
		.amdhsa_system_sgpr_workgroup_id_z 0
		.amdhsa_system_sgpr_workgroup_info 0
		.amdhsa_system_vgpr_workitem_id 0
		.amdhsa_next_free_vgpr 31
		.amdhsa_next_free_sgpr 8
		.amdhsa_accum_offset 32
		.amdhsa_reserve_vcc 1
		.amdhsa_reserve_flat_scratch 0
		.amdhsa_float_round_mode_32 0
		.amdhsa_float_round_mode_16_64 0
		.amdhsa_float_denorm_mode_32 3
		.amdhsa_float_denorm_mode_16_64 3
		.amdhsa_dx10_clamp 1
		.amdhsa_ieee_mode 1
		.amdhsa_fp16_overflow 0
		.amdhsa_tg_split 0
		.amdhsa_exception_fp_ieee_invalid_op 0
		.amdhsa_exception_fp_denorm_src 0
		.amdhsa_exception_fp_ieee_div_zero 0
		.amdhsa_exception_fp_ieee_overflow 0
		.amdhsa_exception_fp_ieee_underflow 0
		.amdhsa_exception_fp_ieee_inexact 0
		.amdhsa_exception_int_div_zero 0
	.end_amdhsa_kernel
	.section	.text._ZN7rocprim17ROCPRIM_400000_NS6detail17trampoline_kernelINS0_14default_configENS1_20scan_config_selectorIdEEZZNS1_9scan_implILNS1_25lookback_scan_determinismE0ELb0ELb0ES3_N6thrust23THRUST_200600_302600_NS6detail15normal_iteratorINS9_10device_ptrIdEEEENS9_16discard_iteratorINS9_11use_defaultEEEd11max_functorIdEdEEDaPvRmT3_T4_T5_mT6_P12ihipStream_tbENKUlT_T0_E_clISt17integral_constantIbLb0EESX_EEDaSS_ST_EUlSS_E0_NS1_11comp_targetILNS1_3genE4ELNS1_11target_archE910ELNS1_3gpuE8ELNS1_3repE0EEENS1_30default_config_static_selectorELNS0_4arch9wavefront6targetE1EEEvT1_,"axG",@progbits,_ZN7rocprim17ROCPRIM_400000_NS6detail17trampoline_kernelINS0_14default_configENS1_20scan_config_selectorIdEEZZNS1_9scan_implILNS1_25lookback_scan_determinismE0ELb0ELb0ES3_N6thrust23THRUST_200600_302600_NS6detail15normal_iteratorINS9_10device_ptrIdEEEENS9_16discard_iteratorINS9_11use_defaultEEEd11max_functorIdEdEEDaPvRmT3_T4_T5_mT6_P12ihipStream_tbENKUlT_T0_E_clISt17integral_constantIbLb0EESX_EEDaSS_ST_EUlSS_E0_NS1_11comp_targetILNS1_3genE4ELNS1_11target_archE910ELNS1_3gpuE8ELNS1_3repE0EEENS1_30default_config_static_selectorELNS0_4arch9wavefront6targetE1EEEvT1_,comdat
.Lfunc_end3001:
	.size	_ZN7rocprim17ROCPRIM_400000_NS6detail17trampoline_kernelINS0_14default_configENS1_20scan_config_selectorIdEEZZNS1_9scan_implILNS1_25lookback_scan_determinismE0ELb0ELb0ES3_N6thrust23THRUST_200600_302600_NS6detail15normal_iteratorINS9_10device_ptrIdEEEENS9_16discard_iteratorINS9_11use_defaultEEEd11max_functorIdEdEEDaPvRmT3_T4_T5_mT6_P12ihipStream_tbENKUlT_T0_E_clISt17integral_constantIbLb0EESX_EEDaSS_ST_EUlSS_E0_NS1_11comp_targetILNS1_3genE4ELNS1_11target_archE910ELNS1_3gpuE8ELNS1_3repE0EEENS1_30default_config_static_selectorELNS0_4arch9wavefront6targetE1EEEvT1_, .Lfunc_end3001-_ZN7rocprim17ROCPRIM_400000_NS6detail17trampoline_kernelINS0_14default_configENS1_20scan_config_selectorIdEEZZNS1_9scan_implILNS1_25lookback_scan_determinismE0ELb0ELb0ES3_N6thrust23THRUST_200600_302600_NS6detail15normal_iteratorINS9_10device_ptrIdEEEENS9_16discard_iteratorINS9_11use_defaultEEEd11max_functorIdEdEEDaPvRmT3_T4_T5_mT6_P12ihipStream_tbENKUlT_T0_E_clISt17integral_constantIbLb0EESX_EEDaSS_ST_EUlSS_E0_NS1_11comp_targetILNS1_3genE4ELNS1_11target_archE910ELNS1_3gpuE8ELNS1_3repE0EEENS1_30default_config_static_selectorELNS0_4arch9wavefront6targetE1EEEvT1_
                                        ; -- End function
	.section	.AMDGPU.csdata,"",@progbits
; Kernel info:
; codeLenInByte = 1408
; NumSgprs: 12
; NumVgprs: 31
; NumAgprs: 0
; TotalNumVgprs: 31
; ScratchSize: 0
; MemoryBound: 0
; FloatMode: 240
; IeeeMode: 1
; LDSByteSize: 10240 bytes/workgroup (compile time only)
; SGPRBlocks: 1
; VGPRBlocks: 3
; NumSGPRsForWavesPerEU: 12
; NumVGPRsForWavesPerEU: 31
; AccumOffset: 32
; Occupancy: 3
; WaveLimiterHint : 0
; COMPUTE_PGM_RSRC2:SCRATCH_EN: 0
; COMPUTE_PGM_RSRC2:USER_SGPR: 6
; COMPUTE_PGM_RSRC2:TRAP_HANDLER: 0
; COMPUTE_PGM_RSRC2:TGID_X_EN: 1
; COMPUTE_PGM_RSRC2:TGID_Y_EN: 0
; COMPUTE_PGM_RSRC2:TGID_Z_EN: 0
; COMPUTE_PGM_RSRC2:TIDIG_COMP_CNT: 0
; COMPUTE_PGM_RSRC3_GFX90A:ACCUM_OFFSET: 7
; COMPUTE_PGM_RSRC3_GFX90A:TG_SPLIT: 0
	.section	.text._ZN7rocprim17ROCPRIM_400000_NS6detail17trampoline_kernelINS0_14default_configENS1_20scan_config_selectorIdEEZZNS1_9scan_implILNS1_25lookback_scan_determinismE0ELb0ELb0ES3_N6thrust23THRUST_200600_302600_NS6detail15normal_iteratorINS9_10device_ptrIdEEEENS9_16discard_iteratorINS9_11use_defaultEEEd11max_functorIdEdEEDaPvRmT3_T4_T5_mT6_P12ihipStream_tbENKUlT_T0_E_clISt17integral_constantIbLb0EESX_EEDaSS_ST_EUlSS_E0_NS1_11comp_targetILNS1_3genE3ELNS1_11target_archE908ELNS1_3gpuE7ELNS1_3repE0EEENS1_30default_config_static_selectorELNS0_4arch9wavefront6targetE1EEEvT1_,"axG",@progbits,_ZN7rocprim17ROCPRIM_400000_NS6detail17trampoline_kernelINS0_14default_configENS1_20scan_config_selectorIdEEZZNS1_9scan_implILNS1_25lookback_scan_determinismE0ELb0ELb0ES3_N6thrust23THRUST_200600_302600_NS6detail15normal_iteratorINS9_10device_ptrIdEEEENS9_16discard_iteratorINS9_11use_defaultEEEd11max_functorIdEdEEDaPvRmT3_T4_T5_mT6_P12ihipStream_tbENKUlT_T0_E_clISt17integral_constantIbLb0EESX_EEDaSS_ST_EUlSS_E0_NS1_11comp_targetILNS1_3genE3ELNS1_11target_archE908ELNS1_3gpuE7ELNS1_3repE0EEENS1_30default_config_static_selectorELNS0_4arch9wavefront6targetE1EEEvT1_,comdat
	.protected	_ZN7rocprim17ROCPRIM_400000_NS6detail17trampoline_kernelINS0_14default_configENS1_20scan_config_selectorIdEEZZNS1_9scan_implILNS1_25lookback_scan_determinismE0ELb0ELb0ES3_N6thrust23THRUST_200600_302600_NS6detail15normal_iteratorINS9_10device_ptrIdEEEENS9_16discard_iteratorINS9_11use_defaultEEEd11max_functorIdEdEEDaPvRmT3_T4_T5_mT6_P12ihipStream_tbENKUlT_T0_E_clISt17integral_constantIbLb0EESX_EEDaSS_ST_EUlSS_E0_NS1_11comp_targetILNS1_3genE3ELNS1_11target_archE908ELNS1_3gpuE7ELNS1_3repE0EEENS1_30default_config_static_selectorELNS0_4arch9wavefront6targetE1EEEvT1_ ; -- Begin function _ZN7rocprim17ROCPRIM_400000_NS6detail17trampoline_kernelINS0_14default_configENS1_20scan_config_selectorIdEEZZNS1_9scan_implILNS1_25lookback_scan_determinismE0ELb0ELb0ES3_N6thrust23THRUST_200600_302600_NS6detail15normal_iteratorINS9_10device_ptrIdEEEENS9_16discard_iteratorINS9_11use_defaultEEEd11max_functorIdEdEEDaPvRmT3_T4_T5_mT6_P12ihipStream_tbENKUlT_T0_E_clISt17integral_constantIbLb0EESX_EEDaSS_ST_EUlSS_E0_NS1_11comp_targetILNS1_3genE3ELNS1_11target_archE908ELNS1_3gpuE7ELNS1_3repE0EEENS1_30default_config_static_selectorELNS0_4arch9wavefront6targetE1EEEvT1_
	.globl	_ZN7rocprim17ROCPRIM_400000_NS6detail17trampoline_kernelINS0_14default_configENS1_20scan_config_selectorIdEEZZNS1_9scan_implILNS1_25lookback_scan_determinismE0ELb0ELb0ES3_N6thrust23THRUST_200600_302600_NS6detail15normal_iteratorINS9_10device_ptrIdEEEENS9_16discard_iteratorINS9_11use_defaultEEEd11max_functorIdEdEEDaPvRmT3_T4_T5_mT6_P12ihipStream_tbENKUlT_T0_E_clISt17integral_constantIbLb0EESX_EEDaSS_ST_EUlSS_E0_NS1_11comp_targetILNS1_3genE3ELNS1_11target_archE908ELNS1_3gpuE7ELNS1_3repE0EEENS1_30default_config_static_selectorELNS0_4arch9wavefront6targetE1EEEvT1_
	.p2align	8
	.type	_ZN7rocprim17ROCPRIM_400000_NS6detail17trampoline_kernelINS0_14default_configENS1_20scan_config_selectorIdEEZZNS1_9scan_implILNS1_25lookback_scan_determinismE0ELb0ELb0ES3_N6thrust23THRUST_200600_302600_NS6detail15normal_iteratorINS9_10device_ptrIdEEEENS9_16discard_iteratorINS9_11use_defaultEEEd11max_functorIdEdEEDaPvRmT3_T4_T5_mT6_P12ihipStream_tbENKUlT_T0_E_clISt17integral_constantIbLb0EESX_EEDaSS_ST_EUlSS_E0_NS1_11comp_targetILNS1_3genE3ELNS1_11target_archE908ELNS1_3gpuE7ELNS1_3repE0EEENS1_30default_config_static_selectorELNS0_4arch9wavefront6targetE1EEEvT1_,@function
_ZN7rocprim17ROCPRIM_400000_NS6detail17trampoline_kernelINS0_14default_configENS1_20scan_config_selectorIdEEZZNS1_9scan_implILNS1_25lookback_scan_determinismE0ELb0ELb0ES3_N6thrust23THRUST_200600_302600_NS6detail15normal_iteratorINS9_10device_ptrIdEEEENS9_16discard_iteratorINS9_11use_defaultEEEd11max_functorIdEdEEDaPvRmT3_T4_T5_mT6_P12ihipStream_tbENKUlT_T0_E_clISt17integral_constantIbLb0EESX_EEDaSS_ST_EUlSS_E0_NS1_11comp_targetILNS1_3genE3ELNS1_11target_archE908ELNS1_3gpuE7ELNS1_3repE0EEENS1_30default_config_static_selectorELNS0_4arch9wavefront6targetE1EEEvT1_: ; @_ZN7rocprim17ROCPRIM_400000_NS6detail17trampoline_kernelINS0_14default_configENS1_20scan_config_selectorIdEEZZNS1_9scan_implILNS1_25lookback_scan_determinismE0ELb0ELb0ES3_N6thrust23THRUST_200600_302600_NS6detail15normal_iteratorINS9_10device_ptrIdEEEENS9_16discard_iteratorINS9_11use_defaultEEEd11max_functorIdEdEEDaPvRmT3_T4_T5_mT6_P12ihipStream_tbENKUlT_T0_E_clISt17integral_constantIbLb0EESX_EEDaSS_ST_EUlSS_E0_NS1_11comp_targetILNS1_3genE3ELNS1_11target_archE908ELNS1_3gpuE7ELNS1_3repE0EEENS1_30default_config_static_selectorELNS0_4arch9wavefront6targetE1EEEvT1_
; %bb.0:
	.section	.rodata,"a",@progbits
	.p2align	6, 0x0
	.amdhsa_kernel _ZN7rocprim17ROCPRIM_400000_NS6detail17trampoline_kernelINS0_14default_configENS1_20scan_config_selectorIdEEZZNS1_9scan_implILNS1_25lookback_scan_determinismE0ELb0ELb0ES3_N6thrust23THRUST_200600_302600_NS6detail15normal_iteratorINS9_10device_ptrIdEEEENS9_16discard_iteratorINS9_11use_defaultEEEd11max_functorIdEdEEDaPvRmT3_T4_T5_mT6_P12ihipStream_tbENKUlT_T0_E_clISt17integral_constantIbLb0EESX_EEDaSS_ST_EUlSS_E0_NS1_11comp_targetILNS1_3genE3ELNS1_11target_archE908ELNS1_3gpuE7ELNS1_3repE0EEENS1_30default_config_static_selectorELNS0_4arch9wavefront6targetE1EEEvT1_
		.amdhsa_group_segment_fixed_size 0
		.amdhsa_private_segment_fixed_size 0
		.amdhsa_kernarg_size 48
		.amdhsa_user_sgpr_count 6
		.amdhsa_user_sgpr_private_segment_buffer 1
		.amdhsa_user_sgpr_dispatch_ptr 0
		.amdhsa_user_sgpr_queue_ptr 0
		.amdhsa_user_sgpr_kernarg_segment_ptr 1
		.amdhsa_user_sgpr_dispatch_id 0
		.amdhsa_user_sgpr_flat_scratch_init 0
		.amdhsa_user_sgpr_kernarg_preload_length 0
		.amdhsa_user_sgpr_kernarg_preload_offset 0
		.amdhsa_user_sgpr_private_segment_size 0
		.amdhsa_uses_dynamic_stack 0
		.amdhsa_system_sgpr_private_segment_wavefront_offset 0
		.amdhsa_system_sgpr_workgroup_id_x 1
		.amdhsa_system_sgpr_workgroup_id_y 0
		.amdhsa_system_sgpr_workgroup_id_z 0
		.amdhsa_system_sgpr_workgroup_info 0
		.amdhsa_system_vgpr_workitem_id 0
		.amdhsa_next_free_vgpr 1
		.amdhsa_next_free_sgpr 0
		.amdhsa_accum_offset 4
		.amdhsa_reserve_vcc 0
		.amdhsa_reserve_flat_scratch 0
		.amdhsa_float_round_mode_32 0
		.amdhsa_float_round_mode_16_64 0
		.amdhsa_float_denorm_mode_32 3
		.amdhsa_float_denorm_mode_16_64 3
		.amdhsa_dx10_clamp 1
		.amdhsa_ieee_mode 1
		.amdhsa_fp16_overflow 0
		.amdhsa_tg_split 0
		.amdhsa_exception_fp_ieee_invalid_op 0
		.amdhsa_exception_fp_denorm_src 0
		.amdhsa_exception_fp_ieee_div_zero 0
		.amdhsa_exception_fp_ieee_overflow 0
		.amdhsa_exception_fp_ieee_underflow 0
		.amdhsa_exception_fp_ieee_inexact 0
		.amdhsa_exception_int_div_zero 0
	.end_amdhsa_kernel
	.section	.text._ZN7rocprim17ROCPRIM_400000_NS6detail17trampoline_kernelINS0_14default_configENS1_20scan_config_selectorIdEEZZNS1_9scan_implILNS1_25lookback_scan_determinismE0ELb0ELb0ES3_N6thrust23THRUST_200600_302600_NS6detail15normal_iteratorINS9_10device_ptrIdEEEENS9_16discard_iteratorINS9_11use_defaultEEEd11max_functorIdEdEEDaPvRmT3_T4_T5_mT6_P12ihipStream_tbENKUlT_T0_E_clISt17integral_constantIbLb0EESX_EEDaSS_ST_EUlSS_E0_NS1_11comp_targetILNS1_3genE3ELNS1_11target_archE908ELNS1_3gpuE7ELNS1_3repE0EEENS1_30default_config_static_selectorELNS0_4arch9wavefront6targetE1EEEvT1_,"axG",@progbits,_ZN7rocprim17ROCPRIM_400000_NS6detail17trampoline_kernelINS0_14default_configENS1_20scan_config_selectorIdEEZZNS1_9scan_implILNS1_25lookback_scan_determinismE0ELb0ELb0ES3_N6thrust23THRUST_200600_302600_NS6detail15normal_iteratorINS9_10device_ptrIdEEEENS9_16discard_iteratorINS9_11use_defaultEEEd11max_functorIdEdEEDaPvRmT3_T4_T5_mT6_P12ihipStream_tbENKUlT_T0_E_clISt17integral_constantIbLb0EESX_EEDaSS_ST_EUlSS_E0_NS1_11comp_targetILNS1_3genE3ELNS1_11target_archE908ELNS1_3gpuE7ELNS1_3repE0EEENS1_30default_config_static_selectorELNS0_4arch9wavefront6targetE1EEEvT1_,comdat
.Lfunc_end3002:
	.size	_ZN7rocprim17ROCPRIM_400000_NS6detail17trampoline_kernelINS0_14default_configENS1_20scan_config_selectorIdEEZZNS1_9scan_implILNS1_25lookback_scan_determinismE0ELb0ELb0ES3_N6thrust23THRUST_200600_302600_NS6detail15normal_iteratorINS9_10device_ptrIdEEEENS9_16discard_iteratorINS9_11use_defaultEEEd11max_functorIdEdEEDaPvRmT3_T4_T5_mT6_P12ihipStream_tbENKUlT_T0_E_clISt17integral_constantIbLb0EESX_EEDaSS_ST_EUlSS_E0_NS1_11comp_targetILNS1_3genE3ELNS1_11target_archE908ELNS1_3gpuE7ELNS1_3repE0EEENS1_30default_config_static_selectorELNS0_4arch9wavefront6targetE1EEEvT1_, .Lfunc_end3002-_ZN7rocprim17ROCPRIM_400000_NS6detail17trampoline_kernelINS0_14default_configENS1_20scan_config_selectorIdEEZZNS1_9scan_implILNS1_25lookback_scan_determinismE0ELb0ELb0ES3_N6thrust23THRUST_200600_302600_NS6detail15normal_iteratorINS9_10device_ptrIdEEEENS9_16discard_iteratorINS9_11use_defaultEEEd11max_functorIdEdEEDaPvRmT3_T4_T5_mT6_P12ihipStream_tbENKUlT_T0_E_clISt17integral_constantIbLb0EESX_EEDaSS_ST_EUlSS_E0_NS1_11comp_targetILNS1_3genE3ELNS1_11target_archE908ELNS1_3gpuE7ELNS1_3repE0EEENS1_30default_config_static_selectorELNS0_4arch9wavefront6targetE1EEEvT1_
                                        ; -- End function
	.section	.AMDGPU.csdata,"",@progbits
; Kernel info:
; codeLenInByte = 0
; NumSgprs: 4
; NumVgprs: 0
; NumAgprs: 0
; TotalNumVgprs: 0
; ScratchSize: 0
; MemoryBound: 0
; FloatMode: 240
; IeeeMode: 1
; LDSByteSize: 0 bytes/workgroup (compile time only)
; SGPRBlocks: 0
; VGPRBlocks: 0
; NumSGPRsForWavesPerEU: 4
; NumVGPRsForWavesPerEU: 1
; AccumOffset: 4
; Occupancy: 8
; WaveLimiterHint : 0
; COMPUTE_PGM_RSRC2:SCRATCH_EN: 0
; COMPUTE_PGM_RSRC2:USER_SGPR: 6
; COMPUTE_PGM_RSRC2:TRAP_HANDLER: 0
; COMPUTE_PGM_RSRC2:TGID_X_EN: 1
; COMPUTE_PGM_RSRC2:TGID_Y_EN: 0
; COMPUTE_PGM_RSRC2:TGID_Z_EN: 0
; COMPUTE_PGM_RSRC2:TIDIG_COMP_CNT: 0
; COMPUTE_PGM_RSRC3_GFX90A:ACCUM_OFFSET: 0
; COMPUTE_PGM_RSRC3_GFX90A:TG_SPLIT: 0
	.section	.text._ZN7rocprim17ROCPRIM_400000_NS6detail17trampoline_kernelINS0_14default_configENS1_20scan_config_selectorIdEEZZNS1_9scan_implILNS1_25lookback_scan_determinismE0ELb0ELb0ES3_N6thrust23THRUST_200600_302600_NS6detail15normal_iteratorINS9_10device_ptrIdEEEENS9_16discard_iteratorINS9_11use_defaultEEEd11max_functorIdEdEEDaPvRmT3_T4_T5_mT6_P12ihipStream_tbENKUlT_T0_E_clISt17integral_constantIbLb0EESX_EEDaSS_ST_EUlSS_E0_NS1_11comp_targetILNS1_3genE2ELNS1_11target_archE906ELNS1_3gpuE6ELNS1_3repE0EEENS1_30default_config_static_selectorELNS0_4arch9wavefront6targetE1EEEvT1_,"axG",@progbits,_ZN7rocprim17ROCPRIM_400000_NS6detail17trampoline_kernelINS0_14default_configENS1_20scan_config_selectorIdEEZZNS1_9scan_implILNS1_25lookback_scan_determinismE0ELb0ELb0ES3_N6thrust23THRUST_200600_302600_NS6detail15normal_iteratorINS9_10device_ptrIdEEEENS9_16discard_iteratorINS9_11use_defaultEEEd11max_functorIdEdEEDaPvRmT3_T4_T5_mT6_P12ihipStream_tbENKUlT_T0_E_clISt17integral_constantIbLb0EESX_EEDaSS_ST_EUlSS_E0_NS1_11comp_targetILNS1_3genE2ELNS1_11target_archE906ELNS1_3gpuE6ELNS1_3repE0EEENS1_30default_config_static_selectorELNS0_4arch9wavefront6targetE1EEEvT1_,comdat
	.protected	_ZN7rocprim17ROCPRIM_400000_NS6detail17trampoline_kernelINS0_14default_configENS1_20scan_config_selectorIdEEZZNS1_9scan_implILNS1_25lookback_scan_determinismE0ELb0ELb0ES3_N6thrust23THRUST_200600_302600_NS6detail15normal_iteratorINS9_10device_ptrIdEEEENS9_16discard_iteratorINS9_11use_defaultEEEd11max_functorIdEdEEDaPvRmT3_T4_T5_mT6_P12ihipStream_tbENKUlT_T0_E_clISt17integral_constantIbLb0EESX_EEDaSS_ST_EUlSS_E0_NS1_11comp_targetILNS1_3genE2ELNS1_11target_archE906ELNS1_3gpuE6ELNS1_3repE0EEENS1_30default_config_static_selectorELNS0_4arch9wavefront6targetE1EEEvT1_ ; -- Begin function _ZN7rocprim17ROCPRIM_400000_NS6detail17trampoline_kernelINS0_14default_configENS1_20scan_config_selectorIdEEZZNS1_9scan_implILNS1_25lookback_scan_determinismE0ELb0ELb0ES3_N6thrust23THRUST_200600_302600_NS6detail15normal_iteratorINS9_10device_ptrIdEEEENS9_16discard_iteratorINS9_11use_defaultEEEd11max_functorIdEdEEDaPvRmT3_T4_T5_mT6_P12ihipStream_tbENKUlT_T0_E_clISt17integral_constantIbLb0EESX_EEDaSS_ST_EUlSS_E0_NS1_11comp_targetILNS1_3genE2ELNS1_11target_archE906ELNS1_3gpuE6ELNS1_3repE0EEENS1_30default_config_static_selectorELNS0_4arch9wavefront6targetE1EEEvT1_
	.globl	_ZN7rocprim17ROCPRIM_400000_NS6detail17trampoline_kernelINS0_14default_configENS1_20scan_config_selectorIdEEZZNS1_9scan_implILNS1_25lookback_scan_determinismE0ELb0ELb0ES3_N6thrust23THRUST_200600_302600_NS6detail15normal_iteratorINS9_10device_ptrIdEEEENS9_16discard_iteratorINS9_11use_defaultEEEd11max_functorIdEdEEDaPvRmT3_T4_T5_mT6_P12ihipStream_tbENKUlT_T0_E_clISt17integral_constantIbLb0EESX_EEDaSS_ST_EUlSS_E0_NS1_11comp_targetILNS1_3genE2ELNS1_11target_archE906ELNS1_3gpuE6ELNS1_3repE0EEENS1_30default_config_static_selectorELNS0_4arch9wavefront6targetE1EEEvT1_
	.p2align	8
	.type	_ZN7rocprim17ROCPRIM_400000_NS6detail17trampoline_kernelINS0_14default_configENS1_20scan_config_selectorIdEEZZNS1_9scan_implILNS1_25lookback_scan_determinismE0ELb0ELb0ES3_N6thrust23THRUST_200600_302600_NS6detail15normal_iteratorINS9_10device_ptrIdEEEENS9_16discard_iteratorINS9_11use_defaultEEEd11max_functorIdEdEEDaPvRmT3_T4_T5_mT6_P12ihipStream_tbENKUlT_T0_E_clISt17integral_constantIbLb0EESX_EEDaSS_ST_EUlSS_E0_NS1_11comp_targetILNS1_3genE2ELNS1_11target_archE906ELNS1_3gpuE6ELNS1_3repE0EEENS1_30default_config_static_selectorELNS0_4arch9wavefront6targetE1EEEvT1_,@function
_ZN7rocprim17ROCPRIM_400000_NS6detail17trampoline_kernelINS0_14default_configENS1_20scan_config_selectorIdEEZZNS1_9scan_implILNS1_25lookback_scan_determinismE0ELb0ELb0ES3_N6thrust23THRUST_200600_302600_NS6detail15normal_iteratorINS9_10device_ptrIdEEEENS9_16discard_iteratorINS9_11use_defaultEEEd11max_functorIdEdEEDaPvRmT3_T4_T5_mT6_P12ihipStream_tbENKUlT_T0_E_clISt17integral_constantIbLb0EESX_EEDaSS_ST_EUlSS_E0_NS1_11comp_targetILNS1_3genE2ELNS1_11target_archE906ELNS1_3gpuE6ELNS1_3repE0EEENS1_30default_config_static_selectorELNS0_4arch9wavefront6targetE1EEEvT1_: ; @_ZN7rocprim17ROCPRIM_400000_NS6detail17trampoline_kernelINS0_14default_configENS1_20scan_config_selectorIdEEZZNS1_9scan_implILNS1_25lookback_scan_determinismE0ELb0ELb0ES3_N6thrust23THRUST_200600_302600_NS6detail15normal_iteratorINS9_10device_ptrIdEEEENS9_16discard_iteratorINS9_11use_defaultEEEd11max_functorIdEdEEDaPvRmT3_T4_T5_mT6_P12ihipStream_tbENKUlT_T0_E_clISt17integral_constantIbLb0EESX_EEDaSS_ST_EUlSS_E0_NS1_11comp_targetILNS1_3genE2ELNS1_11target_archE906ELNS1_3gpuE6ELNS1_3repE0EEENS1_30default_config_static_selectorELNS0_4arch9wavefront6targetE1EEEvT1_
; %bb.0:
	.section	.rodata,"a",@progbits
	.p2align	6, 0x0
	.amdhsa_kernel _ZN7rocprim17ROCPRIM_400000_NS6detail17trampoline_kernelINS0_14default_configENS1_20scan_config_selectorIdEEZZNS1_9scan_implILNS1_25lookback_scan_determinismE0ELb0ELb0ES3_N6thrust23THRUST_200600_302600_NS6detail15normal_iteratorINS9_10device_ptrIdEEEENS9_16discard_iteratorINS9_11use_defaultEEEd11max_functorIdEdEEDaPvRmT3_T4_T5_mT6_P12ihipStream_tbENKUlT_T0_E_clISt17integral_constantIbLb0EESX_EEDaSS_ST_EUlSS_E0_NS1_11comp_targetILNS1_3genE2ELNS1_11target_archE906ELNS1_3gpuE6ELNS1_3repE0EEENS1_30default_config_static_selectorELNS0_4arch9wavefront6targetE1EEEvT1_
		.amdhsa_group_segment_fixed_size 0
		.amdhsa_private_segment_fixed_size 0
		.amdhsa_kernarg_size 48
		.amdhsa_user_sgpr_count 6
		.amdhsa_user_sgpr_private_segment_buffer 1
		.amdhsa_user_sgpr_dispatch_ptr 0
		.amdhsa_user_sgpr_queue_ptr 0
		.amdhsa_user_sgpr_kernarg_segment_ptr 1
		.amdhsa_user_sgpr_dispatch_id 0
		.amdhsa_user_sgpr_flat_scratch_init 0
		.amdhsa_user_sgpr_kernarg_preload_length 0
		.amdhsa_user_sgpr_kernarg_preload_offset 0
		.amdhsa_user_sgpr_private_segment_size 0
		.amdhsa_uses_dynamic_stack 0
		.amdhsa_system_sgpr_private_segment_wavefront_offset 0
		.amdhsa_system_sgpr_workgroup_id_x 1
		.amdhsa_system_sgpr_workgroup_id_y 0
		.amdhsa_system_sgpr_workgroup_id_z 0
		.amdhsa_system_sgpr_workgroup_info 0
		.amdhsa_system_vgpr_workitem_id 0
		.amdhsa_next_free_vgpr 1
		.amdhsa_next_free_sgpr 0
		.amdhsa_accum_offset 4
		.amdhsa_reserve_vcc 0
		.amdhsa_reserve_flat_scratch 0
		.amdhsa_float_round_mode_32 0
		.amdhsa_float_round_mode_16_64 0
		.amdhsa_float_denorm_mode_32 3
		.amdhsa_float_denorm_mode_16_64 3
		.amdhsa_dx10_clamp 1
		.amdhsa_ieee_mode 1
		.amdhsa_fp16_overflow 0
		.amdhsa_tg_split 0
		.amdhsa_exception_fp_ieee_invalid_op 0
		.amdhsa_exception_fp_denorm_src 0
		.amdhsa_exception_fp_ieee_div_zero 0
		.amdhsa_exception_fp_ieee_overflow 0
		.amdhsa_exception_fp_ieee_underflow 0
		.amdhsa_exception_fp_ieee_inexact 0
		.amdhsa_exception_int_div_zero 0
	.end_amdhsa_kernel
	.section	.text._ZN7rocprim17ROCPRIM_400000_NS6detail17trampoline_kernelINS0_14default_configENS1_20scan_config_selectorIdEEZZNS1_9scan_implILNS1_25lookback_scan_determinismE0ELb0ELb0ES3_N6thrust23THRUST_200600_302600_NS6detail15normal_iteratorINS9_10device_ptrIdEEEENS9_16discard_iteratorINS9_11use_defaultEEEd11max_functorIdEdEEDaPvRmT3_T4_T5_mT6_P12ihipStream_tbENKUlT_T0_E_clISt17integral_constantIbLb0EESX_EEDaSS_ST_EUlSS_E0_NS1_11comp_targetILNS1_3genE2ELNS1_11target_archE906ELNS1_3gpuE6ELNS1_3repE0EEENS1_30default_config_static_selectorELNS0_4arch9wavefront6targetE1EEEvT1_,"axG",@progbits,_ZN7rocprim17ROCPRIM_400000_NS6detail17trampoline_kernelINS0_14default_configENS1_20scan_config_selectorIdEEZZNS1_9scan_implILNS1_25lookback_scan_determinismE0ELb0ELb0ES3_N6thrust23THRUST_200600_302600_NS6detail15normal_iteratorINS9_10device_ptrIdEEEENS9_16discard_iteratorINS9_11use_defaultEEEd11max_functorIdEdEEDaPvRmT3_T4_T5_mT6_P12ihipStream_tbENKUlT_T0_E_clISt17integral_constantIbLb0EESX_EEDaSS_ST_EUlSS_E0_NS1_11comp_targetILNS1_3genE2ELNS1_11target_archE906ELNS1_3gpuE6ELNS1_3repE0EEENS1_30default_config_static_selectorELNS0_4arch9wavefront6targetE1EEEvT1_,comdat
.Lfunc_end3003:
	.size	_ZN7rocprim17ROCPRIM_400000_NS6detail17trampoline_kernelINS0_14default_configENS1_20scan_config_selectorIdEEZZNS1_9scan_implILNS1_25lookback_scan_determinismE0ELb0ELb0ES3_N6thrust23THRUST_200600_302600_NS6detail15normal_iteratorINS9_10device_ptrIdEEEENS9_16discard_iteratorINS9_11use_defaultEEEd11max_functorIdEdEEDaPvRmT3_T4_T5_mT6_P12ihipStream_tbENKUlT_T0_E_clISt17integral_constantIbLb0EESX_EEDaSS_ST_EUlSS_E0_NS1_11comp_targetILNS1_3genE2ELNS1_11target_archE906ELNS1_3gpuE6ELNS1_3repE0EEENS1_30default_config_static_selectorELNS0_4arch9wavefront6targetE1EEEvT1_, .Lfunc_end3003-_ZN7rocprim17ROCPRIM_400000_NS6detail17trampoline_kernelINS0_14default_configENS1_20scan_config_selectorIdEEZZNS1_9scan_implILNS1_25lookback_scan_determinismE0ELb0ELb0ES3_N6thrust23THRUST_200600_302600_NS6detail15normal_iteratorINS9_10device_ptrIdEEEENS9_16discard_iteratorINS9_11use_defaultEEEd11max_functorIdEdEEDaPvRmT3_T4_T5_mT6_P12ihipStream_tbENKUlT_T0_E_clISt17integral_constantIbLb0EESX_EEDaSS_ST_EUlSS_E0_NS1_11comp_targetILNS1_3genE2ELNS1_11target_archE906ELNS1_3gpuE6ELNS1_3repE0EEENS1_30default_config_static_selectorELNS0_4arch9wavefront6targetE1EEEvT1_
                                        ; -- End function
	.section	.AMDGPU.csdata,"",@progbits
; Kernel info:
; codeLenInByte = 0
; NumSgprs: 4
; NumVgprs: 0
; NumAgprs: 0
; TotalNumVgprs: 0
; ScratchSize: 0
; MemoryBound: 0
; FloatMode: 240
; IeeeMode: 1
; LDSByteSize: 0 bytes/workgroup (compile time only)
; SGPRBlocks: 0
; VGPRBlocks: 0
; NumSGPRsForWavesPerEU: 4
; NumVGPRsForWavesPerEU: 1
; AccumOffset: 4
; Occupancy: 8
; WaveLimiterHint : 0
; COMPUTE_PGM_RSRC2:SCRATCH_EN: 0
; COMPUTE_PGM_RSRC2:USER_SGPR: 6
; COMPUTE_PGM_RSRC2:TRAP_HANDLER: 0
; COMPUTE_PGM_RSRC2:TGID_X_EN: 1
; COMPUTE_PGM_RSRC2:TGID_Y_EN: 0
; COMPUTE_PGM_RSRC2:TGID_Z_EN: 0
; COMPUTE_PGM_RSRC2:TIDIG_COMP_CNT: 0
; COMPUTE_PGM_RSRC3_GFX90A:ACCUM_OFFSET: 0
; COMPUTE_PGM_RSRC3_GFX90A:TG_SPLIT: 0
	.section	.text._ZN7rocprim17ROCPRIM_400000_NS6detail17trampoline_kernelINS0_14default_configENS1_20scan_config_selectorIdEEZZNS1_9scan_implILNS1_25lookback_scan_determinismE0ELb0ELb0ES3_N6thrust23THRUST_200600_302600_NS6detail15normal_iteratorINS9_10device_ptrIdEEEENS9_16discard_iteratorINS9_11use_defaultEEEd11max_functorIdEdEEDaPvRmT3_T4_T5_mT6_P12ihipStream_tbENKUlT_T0_E_clISt17integral_constantIbLb0EESX_EEDaSS_ST_EUlSS_E0_NS1_11comp_targetILNS1_3genE10ELNS1_11target_archE1201ELNS1_3gpuE5ELNS1_3repE0EEENS1_30default_config_static_selectorELNS0_4arch9wavefront6targetE1EEEvT1_,"axG",@progbits,_ZN7rocprim17ROCPRIM_400000_NS6detail17trampoline_kernelINS0_14default_configENS1_20scan_config_selectorIdEEZZNS1_9scan_implILNS1_25lookback_scan_determinismE0ELb0ELb0ES3_N6thrust23THRUST_200600_302600_NS6detail15normal_iteratorINS9_10device_ptrIdEEEENS9_16discard_iteratorINS9_11use_defaultEEEd11max_functorIdEdEEDaPvRmT3_T4_T5_mT6_P12ihipStream_tbENKUlT_T0_E_clISt17integral_constantIbLb0EESX_EEDaSS_ST_EUlSS_E0_NS1_11comp_targetILNS1_3genE10ELNS1_11target_archE1201ELNS1_3gpuE5ELNS1_3repE0EEENS1_30default_config_static_selectorELNS0_4arch9wavefront6targetE1EEEvT1_,comdat
	.protected	_ZN7rocprim17ROCPRIM_400000_NS6detail17trampoline_kernelINS0_14default_configENS1_20scan_config_selectorIdEEZZNS1_9scan_implILNS1_25lookback_scan_determinismE0ELb0ELb0ES3_N6thrust23THRUST_200600_302600_NS6detail15normal_iteratorINS9_10device_ptrIdEEEENS9_16discard_iteratorINS9_11use_defaultEEEd11max_functorIdEdEEDaPvRmT3_T4_T5_mT6_P12ihipStream_tbENKUlT_T0_E_clISt17integral_constantIbLb0EESX_EEDaSS_ST_EUlSS_E0_NS1_11comp_targetILNS1_3genE10ELNS1_11target_archE1201ELNS1_3gpuE5ELNS1_3repE0EEENS1_30default_config_static_selectorELNS0_4arch9wavefront6targetE1EEEvT1_ ; -- Begin function _ZN7rocprim17ROCPRIM_400000_NS6detail17trampoline_kernelINS0_14default_configENS1_20scan_config_selectorIdEEZZNS1_9scan_implILNS1_25lookback_scan_determinismE0ELb0ELb0ES3_N6thrust23THRUST_200600_302600_NS6detail15normal_iteratorINS9_10device_ptrIdEEEENS9_16discard_iteratorINS9_11use_defaultEEEd11max_functorIdEdEEDaPvRmT3_T4_T5_mT6_P12ihipStream_tbENKUlT_T0_E_clISt17integral_constantIbLb0EESX_EEDaSS_ST_EUlSS_E0_NS1_11comp_targetILNS1_3genE10ELNS1_11target_archE1201ELNS1_3gpuE5ELNS1_3repE0EEENS1_30default_config_static_selectorELNS0_4arch9wavefront6targetE1EEEvT1_
	.globl	_ZN7rocprim17ROCPRIM_400000_NS6detail17trampoline_kernelINS0_14default_configENS1_20scan_config_selectorIdEEZZNS1_9scan_implILNS1_25lookback_scan_determinismE0ELb0ELb0ES3_N6thrust23THRUST_200600_302600_NS6detail15normal_iteratorINS9_10device_ptrIdEEEENS9_16discard_iteratorINS9_11use_defaultEEEd11max_functorIdEdEEDaPvRmT3_T4_T5_mT6_P12ihipStream_tbENKUlT_T0_E_clISt17integral_constantIbLb0EESX_EEDaSS_ST_EUlSS_E0_NS1_11comp_targetILNS1_3genE10ELNS1_11target_archE1201ELNS1_3gpuE5ELNS1_3repE0EEENS1_30default_config_static_selectorELNS0_4arch9wavefront6targetE1EEEvT1_
	.p2align	8
	.type	_ZN7rocprim17ROCPRIM_400000_NS6detail17trampoline_kernelINS0_14default_configENS1_20scan_config_selectorIdEEZZNS1_9scan_implILNS1_25lookback_scan_determinismE0ELb0ELb0ES3_N6thrust23THRUST_200600_302600_NS6detail15normal_iteratorINS9_10device_ptrIdEEEENS9_16discard_iteratorINS9_11use_defaultEEEd11max_functorIdEdEEDaPvRmT3_T4_T5_mT6_P12ihipStream_tbENKUlT_T0_E_clISt17integral_constantIbLb0EESX_EEDaSS_ST_EUlSS_E0_NS1_11comp_targetILNS1_3genE10ELNS1_11target_archE1201ELNS1_3gpuE5ELNS1_3repE0EEENS1_30default_config_static_selectorELNS0_4arch9wavefront6targetE1EEEvT1_,@function
_ZN7rocprim17ROCPRIM_400000_NS6detail17trampoline_kernelINS0_14default_configENS1_20scan_config_selectorIdEEZZNS1_9scan_implILNS1_25lookback_scan_determinismE0ELb0ELb0ES3_N6thrust23THRUST_200600_302600_NS6detail15normal_iteratorINS9_10device_ptrIdEEEENS9_16discard_iteratorINS9_11use_defaultEEEd11max_functorIdEdEEDaPvRmT3_T4_T5_mT6_P12ihipStream_tbENKUlT_T0_E_clISt17integral_constantIbLb0EESX_EEDaSS_ST_EUlSS_E0_NS1_11comp_targetILNS1_3genE10ELNS1_11target_archE1201ELNS1_3gpuE5ELNS1_3repE0EEENS1_30default_config_static_selectorELNS0_4arch9wavefront6targetE1EEEvT1_: ; @_ZN7rocprim17ROCPRIM_400000_NS6detail17trampoline_kernelINS0_14default_configENS1_20scan_config_selectorIdEEZZNS1_9scan_implILNS1_25lookback_scan_determinismE0ELb0ELb0ES3_N6thrust23THRUST_200600_302600_NS6detail15normal_iteratorINS9_10device_ptrIdEEEENS9_16discard_iteratorINS9_11use_defaultEEEd11max_functorIdEdEEDaPvRmT3_T4_T5_mT6_P12ihipStream_tbENKUlT_T0_E_clISt17integral_constantIbLb0EESX_EEDaSS_ST_EUlSS_E0_NS1_11comp_targetILNS1_3genE10ELNS1_11target_archE1201ELNS1_3gpuE5ELNS1_3repE0EEENS1_30default_config_static_selectorELNS0_4arch9wavefront6targetE1EEEvT1_
; %bb.0:
	.section	.rodata,"a",@progbits
	.p2align	6, 0x0
	.amdhsa_kernel _ZN7rocprim17ROCPRIM_400000_NS6detail17trampoline_kernelINS0_14default_configENS1_20scan_config_selectorIdEEZZNS1_9scan_implILNS1_25lookback_scan_determinismE0ELb0ELb0ES3_N6thrust23THRUST_200600_302600_NS6detail15normal_iteratorINS9_10device_ptrIdEEEENS9_16discard_iteratorINS9_11use_defaultEEEd11max_functorIdEdEEDaPvRmT3_T4_T5_mT6_P12ihipStream_tbENKUlT_T0_E_clISt17integral_constantIbLb0EESX_EEDaSS_ST_EUlSS_E0_NS1_11comp_targetILNS1_3genE10ELNS1_11target_archE1201ELNS1_3gpuE5ELNS1_3repE0EEENS1_30default_config_static_selectorELNS0_4arch9wavefront6targetE1EEEvT1_
		.amdhsa_group_segment_fixed_size 0
		.amdhsa_private_segment_fixed_size 0
		.amdhsa_kernarg_size 48
		.amdhsa_user_sgpr_count 6
		.amdhsa_user_sgpr_private_segment_buffer 1
		.amdhsa_user_sgpr_dispatch_ptr 0
		.amdhsa_user_sgpr_queue_ptr 0
		.amdhsa_user_sgpr_kernarg_segment_ptr 1
		.amdhsa_user_sgpr_dispatch_id 0
		.amdhsa_user_sgpr_flat_scratch_init 0
		.amdhsa_user_sgpr_kernarg_preload_length 0
		.amdhsa_user_sgpr_kernarg_preload_offset 0
		.amdhsa_user_sgpr_private_segment_size 0
		.amdhsa_uses_dynamic_stack 0
		.amdhsa_system_sgpr_private_segment_wavefront_offset 0
		.amdhsa_system_sgpr_workgroup_id_x 1
		.amdhsa_system_sgpr_workgroup_id_y 0
		.amdhsa_system_sgpr_workgroup_id_z 0
		.amdhsa_system_sgpr_workgroup_info 0
		.amdhsa_system_vgpr_workitem_id 0
		.amdhsa_next_free_vgpr 1
		.amdhsa_next_free_sgpr 0
		.amdhsa_accum_offset 4
		.amdhsa_reserve_vcc 0
		.amdhsa_reserve_flat_scratch 0
		.amdhsa_float_round_mode_32 0
		.amdhsa_float_round_mode_16_64 0
		.amdhsa_float_denorm_mode_32 3
		.amdhsa_float_denorm_mode_16_64 3
		.amdhsa_dx10_clamp 1
		.amdhsa_ieee_mode 1
		.amdhsa_fp16_overflow 0
		.amdhsa_tg_split 0
		.amdhsa_exception_fp_ieee_invalid_op 0
		.amdhsa_exception_fp_denorm_src 0
		.amdhsa_exception_fp_ieee_div_zero 0
		.amdhsa_exception_fp_ieee_overflow 0
		.amdhsa_exception_fp_ieee_underflow 0
		.amdhsa_exception_fp_ieee_inexact 0
		.amdhsa_exception_int_div_zero 0
	.end_amdhsa_kernel
	.section	.text._ZN7rocprim17ROCPRIM_400000_NS6detail17trampoline_kernelINS0_14default_configENS1_20scan_config_selectorIdEEZZNS1_9scan_implILNS1_25lookback_scan_determinismE0ELb0ELb0ES3_N6thrust23THRUST_200600_302600_NS6detail15normal_iteratorINS9_10device_ptrIdEEEENS9_16discard_iteratorINS9_11use_defaultEEEd11max_functorIdEdEEDaPvRmT3_T4_T5_mT6_P12ihipStream_tbENKUlT_T0_E_clISt17integral_constantIbLb0EESX_EEDaSS_ST_EUlSS_E0_NS1_11comp_targetILNS1_3genE10ELNS1_11target_archE1201ELNS1_3gpuE5ELNS1_3repE0EEENS1_30default_config_static_selectorELNS0_4arch9wavefront6targetE1EEEvT1_,"axG",@progbits,_ZN7rocprim17ROCPRIM_400000_NS6detail17trampoline_kernelINS0_14default_configENS1_20scan_config_selectorIdEEZZNS1_9scan_implILNS1_25lookback_scan_determinismE0ELb0ELb0ES3_N6thrust23THRUST_200600_302600_NS6detail15normal_iteratorINS9_10device_ptrIdEEEENS9_16discard_iteratorINS9_11use_defaultEEEd11max_functorIdEdEEDaPvRmT3_T4_T5_mT6_P12ihipStream_tbENKUlT_T0_E_clISt17integral_constantIbLb0EESX_EEDaSS_ST_EUlSS_E0_NS1_11comp_targetILNS1_3genE10ELNS1_11target_archE1201ELNS1_3gpuE5ELNS1_3repE0EEENS1_30default_config_static_selectorELNS0_4arch9wavefront6targetE1EEEvT1_,comdat
.Lfunc_end3004:
	.size	_ZN7rocprim17ROCPRIM_400000_NS6detail17trampoline_kernelINS0_14default_configENS1_20scan_config_selectorIdEEZZNS1_9scan_implILNS1_25lookback_scan_determinismE0ELb0ELb0ES3_N6thrust23THRUST_200600_302600_NS6detail15normal_iteratorINS9_10device_ptrIdEEEENS9_16discard_iteratorINS9_11use_defaultEEEd11max_functorIdEdEEDaPvRmT3_T4_T5_mT6_P12ihipStream_tbENKUlT_T0_E_clISt17integral_constantIbLb0EESX_EEDaSS_ST_EUlSS_E0_NS1_11comp_targetILNS1_3genE10ELNS1_11target_archE1201ELNS1_3gpuE5ELNS1_3repE0EEENS1_30default_config_static_selectorELNS0_4arch9wavefront6targetE1EEEvT1_, .Lfunc_end3004-_ZN7rocprim17ROCPRIM_400000_NS6detail17trampoline_kernelINS0_14default_configENS1_20scan_config_selectorIdEEZZNS1_9scan_implILNS1_25lookback_scan_determinismE0ELb0ELb0ES3_N6thrust23THRUST_200600_302600_NS6detail15normal_iteratorINS9_10device_ptrIdEEEENS9_16discard_iteratorINS9_11use_defaultEEEd11max_functorIdEdEEDaPvRmT3_T4_T5_mT6_P12ihipStream_tbENKUlT_T0_E_clISt17integral_constantIbLb0EESX_EEDaSS_ST_EUlSS_E0_NS1_11comp_targetILNS1_3genE10ELNS1_11target_archE1201ELNS1_3gpuE5ELNS1_3repE0EEENS1_30default_config_static_selectorELNS0_4arch9wavefront6targetE1EEEvT1_
                                        ; -- End function
	.section	.AMDGPU.csdata,"",@progbits
; Kernel info:
; codeLenInByte = 0
; NumSgprs: 4
; NumVgprs: 0
; NumAgprs: 0
; TotalNumVgprs: 0
; ScratchSize: 0
; MemoryBound: 0
; FloatMode: 240
; IeeeMode: 1
; LDSByteSize: 0 bytes/workgroup (compile time only)
; SGPRBlocks: 0
; VGPRBlocks: 0
; NumSGPRsForWavesPerEU: 4
; NumVGPRsForWavesPerEU: 1
; AccumOffset: 4
; Occupancy: 8
; WaveLimiterHint : 0
; COMPUTE_PGM_RSRC2:SCRATCH_EN: 0
; COMPUTE_PGM_RSRC2:USER_SGPR: 6
; COMPUTE_PGM_RSRC2:TRAP_HANDLER: 0
; COMPUTE_PGM_RSRC2:TGID_X_EN: 1
; COMPUTE_PGM_RSRC2:TGID_Y_EN: 0
; COMPUTE_PGM_RSRC2:TGID_Z_EN: 0
; COMPUTE_PGM_RSRC2:TIDIG_COMP_CNT: 0
; COMPUTE_PGM_RSRC3_GFX90A:ACCUM_OFFSET: 0
; COMPUTE_PGM_RSRC3_GFX90A:TG_SPLIT: 0
	.section	.text._ZN7rocprim17ROCPRIM_400000_NS6detail17trampoline_kernelINS0_14default_configENS1_20scan_config_selectorIdEEZZNS1_9scan_implILNS1_25lookback_scan_determinismE0ELb0ELb0ES3_N6thrust23THRUST_200600_302600_NS6detail15normal_iteratorINS9_10device_ptrIdEEEENS9_16discard_iteratorINS9_11use_defaultEEEd11max_functorIdEdEEDaPvRmT3_T4_T5_mT6_P12ihipStream_tbENKUlT_T0_E_clISt17integral_constantIbLb0EESX_EEDaSS_ST_EUlSS_E0_NS1_11comp_targetILNS1_3genE10ELNS1_11target_archE1200ELNS1_3gpuE4ELNS1_3repE0EEENS1_30default_config_static_selectorELNS0_4arch9wavefront6targetE1EEEvT1_,"axG",@progbits,_ZN7rocprim17ROCPRIM_400000_NS6detail17trampoline_kernelINS0_14default_configENS1_20scan_config_selectorIdEEZZNS1_9scan_implILNS1_25lookback_scan_determinismE0ELb0ELb0ES3_N6thrust23THRUST_200600_302600_NS6detail15normal_iteratorINS9_10device_ptrIdEEEENS9_16discard_iteratorINS9_11use_defaultEEEd11max_functorIdEdEEDaPvRmT3_T4_T5_mT6_P12ihipStream_tbENKUlT_T0_E_clISt17integral_constantIbLb0EESX_EEDaSS_ST_EUlSS_E0_NS1_11comp_targetILNS1_3genE10ELNS1_11target_archE1200ELNS1_3gpuE4ELNS1_3repE0EEENS1_30default_config_static_selectorELNS0_4arch9wavefront6targetE1EEEvT1_,comdat
	.protected	_ZN7rocprim17ROCPRIM_400000_NS6detail17trampoline_kernelINS0_14default_configENS1_20scan_config_selectorIdEEZZNS1_9scan_implILNS1_25lookback_scan_determinismE0ELb0ELb0ES3_N6thrust23THRUST_200600_302600_NS6detail15normal_iteratorINS9_10device_ptrIdEEEENS9_16discard_iteratorINS9_11use_defaultEEEd11max_functorIdEdEEDaPvRmT3_T4_T5_mT6_P12ihipStream_tbENKUlT_T0_E_clISt17integral_constantIbLb0EESX_EEDaSS_ST_EUlSS_E0_NS1_11comp_targetILNS1_3genE10ELNS1_11target_archE1200ELNS1_3gpuE4ELNS1_3repE0EEENS1_30default_config_static_selectorELNS0_4arch9wavefront6targetE1EEEvT1_ ; -- Begin function _ZN7rocprim17ROCPRIM_400000_NS6detail17trampoline_kernelINS0_14default_configENS1_20scan_config_selectorIdEEZZNS1_9scan_implILNS1_25lookback_scan_determinismE0ELb0ELb0ES3_N6thrust23THRUST_200600_302600_NS6detail15normal_iteratorINS9_10device_ptrIdEEEENS9_16discard_iteratorINS9_11use_defaultEEEd11max_functorIdEdEEDaPvRmT3_T4_T5_mT6_P12ihipStream_tbENKUlT_T0_E_clISt17integral_constantIbLb0EESX_EEDaSS_ST_EUlSS_E0_NS1_11comp_targetILNS1_3genE10ELNS1_11target_archE1200ELNS1_3gpuE4ELNS1_3repE0EEENS1_30default_config_static_selectorELNS0_4arch9wavefront6targetE1EEEvT1_
	.globl	_ZN7rocprim17ROCPRIM_400000_NS6detail17trampoline_kernelINS0_14default_configENS1_20scan_config_selectorIdEEZZNS1_9scan_implILNS1_25lookback_scan_determinismE0ELb0ELb0ES3_N6thrust23THRUST_200600_302600_NS6detail15normal_iteratorINS9_10device_ptrIdEEEENS9_16discard_iteratorINS9_11use_defaultEEEd11max_functorIdEdEEDaPvRmT3_T4_T5_mT6_P12ihipStream_tbENKUlT_T0_E_clISt17integral_constantIbLb0EESX_EEDaSS_ST_EUlSS_E0_NS1_11comp_targetILNS1_3genE10ELNS1_11target_archE1200ELNS1_3gpuE4ELNS1_3repE0EEENS1_30default_config_static_selectorELNS0_4arch9wavefront6targetE1EEEvT1_
	.p2align	8
	.type	_ZN7rocprim17ROCPRIM_400000_NS6detail17trampoline_kernelINS0_14default_configENS1_20scan_config_selectorIdEEZZNS1_9scan_implILNS1_25lookback_scan_determinismE0ELb0ELb0ES3_N6thrust23THRUST_200600_302600_NS6detail15normal_iteratorINS9_10device_ptrIdEEEENS9_16discard_iteratorINS9_11use_defaultEEEd11max_functorIdEdEEDaPvRmT3_T4_T5_mT6_P12ihipStream_tbENKUlT_T0_E_clISt17integral_constantIbLb0EESX_EEDaSS_ST_EUlSS_E0_NS1_11comp_targetILNS1_3genE10ELNS1_11target_archE1200ELNS1_3gpuE4ELNS1_3repE0EEENS1_30default_config_static_selectorELNS0_4arch9wavefront6targetE1EEEvT1_,@function
_ZN7rocprim17ROCPRIM_400000_NS6detail17trampoline_kernelINS0_14default_configENS1_20scan_config_selectorIdEEZZNS1_9scan_implILNS1_25lookback_scan_determinismE0ELb0ELb0ES3_N6thrust23THRUST_200600_302600_NS6detail15normal_iteratorINS9_10device_ptrIdEEEENS9_16discard_iteratorINS9_11use_defaultEEEd11max_functorIdEdEEDaPvRmT3_T4_T5_mT6_P12ihipStream_tbENKUlT_T0_E_clISt17integral_constantIbLb0EESX_EEDaSS_ST_EUlSS_E0_NS1_11comp_targetILNS1_3genE10ELNS1_11target_archE1200ELNS1_3gpuE4ELNS1_3repE0EEENS1_30default_config_static_selectorELNS0_4arch9wavefront6targetE1EEEvT1_: ; @_ZN7rocprim17ROCPRIM_400000_NS6detail17trampoline_kernelINS0_14default_configENS1_20scan_config_selectorIdEEZZNS1_9scan_implILNS1_25lookback_scan_determinismE0ELb0ELb0ES3_N6thrust23THRUST_200600_302600_NS6detail15normal_iteratorINS9_10device_ptrIdEEEENS9_16discard_iteratorINS9_11use_defaultEEEd11max_functorIdEdEEDaPvRmT3_T4_T5_mT6_P12ihipStream_tbENKUlT_T0_E_clISt17integral_constantIbLb0EESX_EEDaSS_ST_EUlSS_E0_NS1_11comp_targetILNS1_3genE10ELNS1_11target_archE1200ELNS1_3gpuE4ELNS1_3repE0EEENS1_30default_config_static_selectorELNS0_4arch9wavefront6targetE1EEEvT1_
; %bb.0:
	.section	.rodata,"a",@progbits
	.p2align	6, 0x0
	.amdhsa_kernel _ZN7rocprim17ROCPRIM_400000_NS6detail17trampoline_kernelINS0_14default_configENS1_20scan_config_selectorIdEEZZNS1_9scan_implILNS1_25lookback_scan_determinismE0ELb0ELb0ES3_N6thrust23THRUST_200600_302600_NS6detail15normal_iteratorINS9_10device_ptrIdEEEENS9_16discard_iteratorINS9_11use_defaultEEEd11max_functorIdEdEEDaPvRmT3_T4_T5_mT6_P12ihipStream_tbENKUlT_T0_E_clISt17integral_constantIbLb0EESX_EEDaSS_ST_EUlSS_E0_NS1_11comp_targetILNS1_3genE10ELNS1_11target_archE1200ELNS1_3gpuE4ELNS1_3repE0EEENS1_30default_config_static_selectorELNS0_4arch9wavefront6targetE1EEEvT1_
		.amdhsa_group_segment_fixed_size 0
		.amdhsa_private_segment_fixed_size 0
		.amdhsa_kernarg_size 48
		.amdhsa_user_sgpr_count 6
		.amdhsa_user_sgpr_private_segment_buffer 1
		.amdhsa_user_sgpr_dispatch_ptr 0
		.amdhsa_user_sgpr_queue_ptr 0
		.amdhsa_user_sgpr_kernarg_segment_ptr 1
		.amdhsa_user_sgpr_dispatch_id 0
		.amdhsa_user_sgpr_flat_scratch_init 0
		.amdhsa_user_sgpr_kernarg_preload_length 0
		.amdhsa_user_sgpr_kernarg_preload_offset 0
		.amdhsa_user_sgpr_private_segment_size 0
		.amdhsa_uses_dynamic_stack 0
		.amdhsa_system_sgpr_private_segment_wavefront_offset 0
		.amdhsa_system_sgpr_workgroup_id_x 1
		.amdhsa_system_sgpr_workgroup_id_y 0
		.amdhsa_system_sgpr_workgroup_id_z 0
		.amdhsa_system_sgpr_workgroup_info 0
		.amdhsa_system_vgpr_workitem_id 0
		.amdhsa_next_free_vgpr 1
		.amdhsa_next_free_sgpr 0
		.amdhsa_accum_offset 4
		.amdhsa_reserve_vcc 0
		.amdhsa_reserve_flat_scratch 0
		.amdhsa_float_round_mode_32 0
		.amdhsa_float_round_mode_16_64 0
		.amdhsa_float_denorm_mode_32 3
		.amdhsa_float_denorm_mode_16_64 3
		.amdhsa_dx10_clamp 1
		.amdhsa_ieee_mode 1
		.amdhsa_fp16_overflow 0
		.amdhsa_tg_split 0
		.amdhsa_exception_fp_ieee_invalid_op 0
		.amdhsa_exception_fp_denorm_src 0
		.amdhsa_exception_fp_ieee_div_zero 0
		.amdhsa_exception_fp_ieee_overflow 0
		.amdhsa_exception_fp_ieee_underflow 0
		.amdhsa_exception_fp_ieee_inexact 0
		.amdhsa_exception_int_div_zero 0
	.end_amdhsa_kernel
	.section	.text._ZN7rocprim17ROCPRIM_400000_NS6detail17trampoline_kernelINS0_14default_configENS1_20scan_config_selectorIdEEZZNS1_9scan_implILNS1_25lookback_scan_determinismE0ELb0ELb0ES3_N6thrust23THRUST_200600_302600_NS6detail15normal_iteratorINS9_10device_ptrIdEEEENS9_16discard_iteratorINS9_11use_defaultEEEd11max_functorIdEdEEDaPvRmT3_T4_T5_mT6_P12ihipStream_tbENKUlT_T0_E_clISt17integral_constantIbLb0EESX_EEDaSS_ST_EUlSS_E0_NS1_11comp_targetILNS1_3genE10ELNS1_11target_archE1200ELNS1_3gpuE4ELNS1_3repE0EEENS1_30default_config_static_selectorELNS0_4arch9wavefront6targetE1EEEvT1_,"axG",@progbits,_ZN7rocprim17ROCPRIM_400000_NS6detail17trampoline_kernelINS0_14default_configENS1_20scan_config_selectorIdEEZZNS1_9scan_implILNS1_25lookback_scan_determinismE0ELb0ELb0ES3_N6thrust23THRUST_200600_302600_NS6detail15normal_iteratorINS9_10device_ptrIdEEEENS9_16discard_iteratorINS9_11use_defaultEEEd11max_functorIdEdEEDaPvRmT3_T4_T5_mT6_P12ihipStream_tbENKUlT_T0_E_clISt17integral_constantIbLb0EESX_EEDaSS_ST_EUlSS_E0_NS1_11comp_targetILNS1_3genE10ELNS1_11target_archE1200ELNS1_3gpuE4ELNS1_3repE0EEENS1_30default_config_static_selectorELNS0_4arch9wavefront6targetE1EEEvT1_,comdat
.Lfunc_end3005:
	.size	_ZN7rocprim17ROCPRIM_400000_NS6detail17trampoline_kernelINS0_14default_configENS1_20scan_config_selectorIdEEZZNS1_9scan_implILNS1_25lookback_scan_determinismE0ELb0ELb0ES3_N6thrust23THRUST_200600_302600_NS6detail15normal_iteratorINS9_10device_ptrIdEEEENS9_16discard_iteratorINS9_11use_defaultEEEd11max_functorIdEdEEDaPvRmT3_T4_T5_mT6_P12ihipStream_tbENKUlT_T0_E_clISt17integral_constantIbLb0EESX_EEDaSS_ST_EUlSS_E0_NS1_11comp_targetILNS1_3genE10ELNS1_11target_archE1200ELNS1_3gpuE4ELNS1_3repE0EEENS1_30default_config_static_selectorELNS0_4arch9wavefront6targetE1EEEvT1_, .Lfunc_end3005-_ZN7rocprim17ROCPRIM_400000_NS6detail17trampoline_kernelINS0_14default_configENS1_20scan_config_selectorIdEEZZNS1_9scan_implILNS1_25lookback_scan_determinismE0ELb0ELb0ES3_N6thrust23THRUST_200600_302600_NS6detail15normal_iteratorINS9_10device_ptrIdEEEENS9_16discard_iteratorINS9_11use_defaultEEEd11max_functorIdEdEEDaPvRmT3_T4_T5_mT6_P12ihipStream_tbENKUlT_T0_E_clISt17integral_constantIbLb0EESX_EEDaSS_ST_EUlSS_E0_NS1_11comp_targetILNS1_3genE10ELNS1_11target_archE1200ELNS1_3gpuE4ELNS1_3repE0EEENS1_30default_config_static_selectorELNS0_4arch9wavefront6targetE1EEEvT1_
                                        ; -- End function
	.section	.AMDGPU.csdata,"",@progbits
; Kernel info:
; codeLenInByte = 0
; NumSgprs: 4
; NumVgprs: 0
; NumAgprs: 0
; TotalNumVgprs: 0
; ScratchSize: 0
; MemoryBound: 0
; FloatMode: 240
; IeeeMode: 1
; LDSByteSize: 0 bytes/workgroup (compile time only)
; SGPRBlocks: 0
; VGPRBlocks: 0
; NumSGPRsForWavesPerEU: 4
; NumVGPRsForWavesPerEU: 1
; AccumOffset: 4
; Occupancy: 8
; WaveLimiterHint : 0
; COMPUTE_PGM_RSRC2:SCRATCH_EN: 0
; COMPUTE_PGM_RSRC2:USER_SGPR: 6
; COMPUTE_PGM_RSRC2:TRAP_HANDLER: 0
; COMPUTE_PGM_RSRC2:TGID_X_EN: 1
; COMPUTE_PGM_RSRC2:TGID_Y_EN: 0
; COMPUTE_PGM_RSRC2:TGID_Z_EN: 0
; COMPUTE_PGM_RSRC2:TIDIG_COMP_CNT: 0
; COMPUTE_PGM_RSRC3_GFX90A:ACCUM_OFFSET: 0
; COMPUTE_PGM_RSRC3_GFX90A:TG_SPLIT: 0
	.section	.text._ZN7rocprim17ROCPRIM_400000_NS6detail17trampoline_kernelINS0_14default_configENS1_20scan_config_selectorIdEEZZNS1_9scan_implILNS1_25lookback_scan_determinismE0ELb0ELb0ES3_N6thrust23THRUST_200600_302600_NS6detail15normal_iteratorINS9_10device_ptrIdEEEENS9_16discard_iteratorINS9_11use_defaultEEEd11max_functorIdEdEEDaPvRmT3_T4_T5_mT6_P12ihipStream_tbENKUlT_T0_E_clISt17integral_constantIbLb0EESX_EEDaSS_ST_EUlSS_E0_NS1_11comp_targetILNS1_3genE9ELNS1_11target_archE1100ELNS1_3gpuE3ELNS1_3repE0EEENS1_30default_config_static_selectorELNS0_4arch9wavefront6targetE1EEEvT1_,"axG",@progbits,_ZN7rocprim17ROCPRIM_400000_NS6detail17trampoline_kernelINS0_14default_configENS1_20scan_config_selectorIdEEZZNS1_9scan_implILNS1_25lookback_scan_determinismE0ELb0ELb0ES3_N6thrust23THRUST_200600_302600_NS6detail15normal_iteratorINS9_10device_ptrIdEEEENS9_16discard_iteratorINS9_11use_defaultEEEd11max_functorIdEdEEDaPvRmT3_T4_T5_mT6_P12ihipStream_tbENKUlT_T0_E_clISt17integral_constantIbLb0EESX_EEDaSS_ST_EUlSS_E0_NS1_11comp_targetILNS1_3genE9ELNS1_11target_archE1100ELNS1_3gpuE3ELNS1_3repE0EEENS1_30default_config_static_selectorELNS0_4arch9wavefront6targetE1EEEvT1_,comdat
	.protected	_ZN7rocprim17ROCPRIM_400000_NS6detail17trampoline_kernelINS0_14default_configENS1_20scan_config_selectorIdEEZZNS1_9scan_implILNS1_25lookback_scan_determinismE0ELb0ELb0ES3_N6thrust23THRUST_200600_302600_NS6detail15normal_iteratorINS9_10device_ptrIdEEEENS9_16discard_iteratorINS9_11use_defaultEEEd11max_functorIdEdEEDaPvRmT3_T4_T5_mT6_P12ihipStream_tbENKUlT_T0_E_clISt17integral_constantIbLb0EESX_EEDaSS_ST_EUlSS_E0_NS1_11comp_targetILNS1_3genE9ELNS1_11target_archE1100ELNS1_3gpuE3ELNS1_3repE0EEENS1_30default_config_static_selectorELNS0_4arch9wavefront6targetE1EEEvT1_ ; -- Begin function _ZN7rocprim17ROCPRIM_400000_NS6detail17trampoline_kernelINS0_14default_configENS1_20scan_config_selectorIdEEZZNS1_9scan_implILNS1_25lookback_scan_determinismE0ELb0ELb0ES3_N6thrust23THRUST_200600_302600_NS6detail15normal_iteratorINS9_10device_ptrIdEEEENS9_16discard_iteratorINS9_11use_defaultEEEd11max_functorIdEdEEDaPvRmT3_T4_T5_mT6_P12ihipStream_tbENKUlT_T0_E_clISt17integral_constantIbLb0EESX_EEDaSS_ST_EUlSS_E0_NS1_11comp_targetILNS1_3genE9ELNS1_11target_archE1100ELNS1_3gpuE3ELNS1_3repE0EEENS1_30default_config_static_selectorELNS0_4arch9wavefront6targetE1EEEvT1_
	.globl	_ZN7rocprim17ROCPRIM_400000_NS6detail17trampoline_kernelINS0_14default_configENS1_20scan_config_selectorIdEEZZNS1_9scan_implILNS1_25lookback_scan_determinismE0ELb0ELb0ES3_N6thrust23THRUST_200600_302600_NS6detail15normal_iteratorINS9_10device_ptrIdEEEENS9_16discard_iteratorINS9_11use_defaultEEEd11max_functorIdEdEEDaPvRmT3_T4_T5_mT6_P12ihipStream_tbENKUlT_T0_E_clISt17integral_constantIbLb0EESX_EEDaSS_ST_EUlSS_E0_NS1_11comp_targetILNS1_3genE9ELNS1_11target_archE1100ELNS1_3gpuE3ELNS1_3repE0EEENS1_30default_config_static_selectorELNS0_4arch9wavefront6targetE1EEEvT1_
	.p2align	8
	.type	_ZN7rocprim17ROCPRIM_400000_NS6detail17trampoline_kernelINS0_14default_configENS1_20scan_config_selectorIdEEZZNS1_9scan_implILNS1_25lookback_scan_determinismE0ELb0ELb0ES3_N6thrust23THRUST_200600_302600_NS6detail15normal_iteratorINS9_10device_ptrIdEEEENS9_16discard_iteratorINS9_11use_defaultEEEd11max_functorIdEdEEDaPvRmT3_T4_T5_mT6_P12ihipStream_tbENKUlT_T0_E_clISt17integral_constantIbLb0EESX_EEDaSS_ST_EUlSS_E0_NS1_11comp_targetILNS1_3genE9ELNS1_11target_archE1100ELNS1_3gpuE3ELNS1_3repE0EEENS1_30default_config_static_selectorELNS0_4arch9wavefront6targetE1EEEvT1_,@function
_ZN7rocprim17ROCPRIM_400000_NS6detail17trampoline_kernelINS0_14default_configENS1_20scan_config_selectorIdEEZZNS1_9scan_implILNS1_25lookback_scan_determinismE0ELb0ELb0ES3_N6thrust23THRUST_200600_302600_NS6detail15normal_iteratorINS9_10device_ptrIdEEEENS9_16discard_iteratorINS9_11use_defaultEEEd11max_functorIdEdEEDaPvRmT3_T4_T5_mT6_P12ihipStream_tbENKUlT_T0_E_clISt17integral_constantIbLb0EESX_EEDaSS_ST_EUlSS_E0_NS1_11comp_targetILNS1_3genE9ELNS1_11target_archE1100ELNS1_3gpuE3ELNS1_3repE0EEENS1_30default_config_static_selectorELNS0_4arch9wavefront6targetE1EEEvT1_: ; @_ZN7rocprim17ROCPRIM_400000_NS6detail17trampoline_kernelINS0_14default_configENS1_20scan_config_selectorIdEEZZNS1_9scan_implILNS1_25lookback_scan_determinismE0ELb0ELb0ES3_N6thrust23THRUST_200600_302600_NS6detail15normal_iteratorINS9_10device_ptrIdEEEENS9_16discard_iteratorINS9_11use_defaultEEEd11max_functorIdEdEEDaPvRmT3_T4_T5_mT6_P12ihipStream_tbENKUlT_T0_E_clISt17integral_constantIbLb0EESX_EEDaSS_ST_EUlSS_E0_NS1_11comp_targetILNS1_3genE9ELNS1_11target_archE1100ELNS1_3gpuE3ELNS1_3repE0EEENS1_30default_config_static_selectorELNS0_4arch9wavefront6targetE1EEEvT1_
; %bb.0:
	.section	.rodata,"a",@progbits
	.p2align	6, 0x0
	.amdhsa_kernel _ZN7rocprim17ROCPRIM_400000_NS6detail17trampoline_kernelINS0_14default_configENS1_20scan_config_selectorIdEEZZNS1_9scan_implILNS1_25lookback_scan_determinismE0ELb0ELb0ES3_N6thrust23THRUST_200600_302600_NS6detail15normal_iteratorINS9_10device_ptrIdEEEENS9_16discard_iteratorINS9_11use_defaultEEEd11max_functorIdEdEEDaPvRmT3_T4_T5_mT6_P12ihipStream_tbENKUlT_T0_E_clISt17integral_constantIbLb0EESX_EEDaSS_ST_EUlSS_E0_NS1_11comp_targetILNS1_3genE9ELNS1_11target_archE1100ELNS1_3gpuE3ELNS1_3repE0EEENS1_30default_config_static_selectorELNS0_4arch9wavefront6targetE1EEEvT1_
		.amdhsa_group_segment_fixed_size 0
		.amdhsa_private_segment_fixed_size 0
		.amdhsa_kernarg_size 48
		.amdhsa_user_sgpr_count 6
		.amdhsa_user_sgpr_private_segment_buffer 1
		.amdhsa_user_sgpr_dispatch_ptr 0
		.amdhsa_user_sgpr_queue_ptr 0
		.amdhsa_user_sgpr_kernarg_segment_ptr 1
		.amdhsa_user_sgpr_dispatch_id 0
		.amdhsa_user_sgpr_flat_scratch_init 0
		.amdhsa_user_sgpr_kernarg_preload_length 0
		.amdhsa_user_sgpr_kernarg_preload_offset 0
		.amdhsa_user_sgpr_private_segment_size 0
		.amdhsa_uses_dynamic_stack 0
		.amdhsa_system_sgpr_private_segment_wavefront_offset 0
		.amdhsa_system_sgpr_workgroup_id_x 1
		.amdhsa_system_sgpr_workgroup_id_y 0
		.amdhsa_system_sgpr_workgroup_id_z 0
		.amdhsa_system_sgpr_workgroup_info 0
		.amdhsa_system_vgpr_workitem_id 0
		.amdhsa_next_free_vgpr 1
		.amdhsa_next_free_sgpr 0
		.amdhsa_accum_offset 4
		.amdhsa_reserve_vcc 0
		.amdhsa_reserve_flat_scratch 0
		.amdhsa_float_round_mode_32 0
		.amdhsa_float_round_mode_16_64 0
		.amdhsa_float_denorm_mode_32 3
		.amdhsa_float_denorm_mode_16_64 3
		.amdhsa_dx10_clamp 1
		.amdhsa_ieee_mode 1
		.amdhsa_fp16_overflow 0
		.amdhsa_tg_split 0
		.amdhsa_exception_fp_ieee_invalid_op 0
		.amdhsa_exception_fp_denorm_src 0
		.amdhsa_exception_fp_ieee_div_zero 0
		.amdhsa_exception_fp_ieee_overflow 0
		.amdhsa_exception_fp_ieee_underflow 0
		.amdhsa_exception_fp_ieee_inexact 0
		.amdhsa_exception_int_div_zero 0
	.end_amdhsa_kernel
	.section	.text._ZN7rocprim17ROCPRIM_400000_NS6detail17trampoline_kernelINS0_14default_configENS1_20scan_config_selectorIdEEZZNS1_9scan_implILNS1_25lookback_scan_determinismE0ELb0ELb0ES3_N6thrust23THRUST_200600_302600_NS6detail15normal_iteratorINS9_10device_ptrIdEEEENS9_16discard_iteratorINS9_11use_defaultEEEd11max_functorIdEdEEDaPvRmT3_T4_T5_mT6_P12ihipStream_tbENKUlT_T0_E_clISt17integral_constantIbLb0EESX_EEDaSS_ST_EUlSS_E0_NS1_11comp_targetILNS1_3genE9ELNS1_11target_archE1100ELNS1_3gpuE3ELNS1_3repE0EEENS1_30default_config_static_selectorELNS0_4arch9wavefront6targetE1EEEvT1_,"axG",@progbits,_ZN7rocprim17ROCPRIM_400000_NS6detail17trampoline_kernelINS0_14default_configENS1_20scan_config_selectorIdEEZZNS1_9scan_implILNS1_25lookback_scan_determinismE0ELb0ELb0ES3_N6thrust23THRUST_200600_302600_NS6detail15normal_iteratorINS9_10device_ptrIdEEEENS9_16discard_iteratorINS9_11use_defaultEEEd11max_functorIdEdEEDaPvRmT3_T4_T5_mT6_P12ihipStream_tbENKUlT_T0_E_clISt17integral_constantIbLb0EESX_EEDaSS_ST_EUlSS_E0_NS1_11comp_targetILNS1_3genE9ELNS1_11target_archE1100ELNS1_3gpuE3ELNS1_3repE0EEENS1_30default_config_static_selectorELNS0_4arch9wavefront6targetE1EEEvT1_,comdat
.Lfunc_end3006:
	.size	_ZN7rocprim17ROCPRIM_400000_NS6detail17trampoline_kernelINS0_14default_configENS1_20scan_config_selectorIdEEZZNS1_9scan_implILNS1_25lookback_scan_determinismE0ELb0ELb0ES3_N6thrust23THRUST_200600_302600_NS6detail15normal_iteratorINS9_10device_ptrIdEEEENS9_16discard_iteratorINS9_11use_defaultEEEd11max_functorIdEdEEDaPvRmT3_T4_T5_mT6_P12ihipStream_tbENKUlT_T0_E_clISt17integral_constantIbLb0EESX_EEDaSS_ST_EUlSS_E0_NS1_11comp_targetILNS1_3genE9ELNS1_11target_archE1100ELNS1_3gpuE3ELNS1_3repE0EEENS1_30default_config_static_selectorELNS0_4arch9wavefront6targetE1EEEvT1_, .Lfunc_end3006-_ZN7rocprim17ROCPRIM_400000_NS6detail17trampoline_kernelINS0_14default_configENS1_20scan_config_selectorIdEEZZNS1_9scan_implILNS1_25lookback_scan_determinismE0ELb0ELb0ES3_N6thrust23THRUST_200600_302600_NS6detail15normal_iteratorINS9_10device_ptrIdEEEENS9_16discard_iteratorINS9_11use_defaultEEEd11max_functorIdEdEEDaPvRmT3_T4_T5_mT6_P12ihipStream_tbENKUlT_T0_E_clISt17integral_constantIbLb0EESX_EEDaSS_ST_EUlSS_E0_NS1_11comp_targetILNS1_3genE9ELNS1_11target_archE1100ELNS1_3gpuE3ELNS1_3repE0EEENS1_30default_config_static_selectorELNS0_4arch9wavefront6targetE1EEEvT1_
                                        ; -- End function
	.section	.AMDGPU.csdata,"",@progbits
; Kernel info:
; codeLenInByte = 0
; NumSgprs: 4
; NumVgprs: 0
; NumAgprs: 0
; TotalNumVgprs: 0
; ScratchSize: 0
; MemoryBound: 0
; FloatMode: 240
; IeeeMode: 1
; LDSByteSize: 0 bytes/workgroup (compile time only)
; SGPRBlocks: 0
; VGPRBlocks: 0
; NumSGPRsForWavesPerEU: 4
; NumVGPRsForWavesPerEU: 1
; AccumOffset: 4
; Occupancy: 8
; WaveLimiterHint : 0
; COMPUTE_PGM_RSRC2:SCRATCH_EN: 0
; COMPUTE_PGM_RSRC2:USER_SGPR: 6
; COMPUTE_PGM_RSRC2:TRAP_HANDLER: 0
; COMPUTE_PGM_RSRC2:TGID_X_EN: 1
; COMPUTE_PGM_RSRC2:TGID_Y_EN: 0
; COMPUTE_PGM_RSRC2:TGID_Z_EN: 0
; COMPUTE_PGM_RSRC2:TIDIG_COMP_CNT: 0
; COMPUTE_PGM_RSRC3_GFX90A:ACCUM_OFFSET: 0
; COMPUTE_PGM_RSRC3_GFX90A:TG_SPLIT: 0
	.section	.text._ZN7rocprim17ROCPRIM_400000_NS6detail17trampoline_kernelINS0_14default_configENS1_20scan_config_selectorIdEEZZNS1_9scan_implILNS1_25lookback_scan_determinismE0ELb0ELb0ES3_N6thrust23THRUST_200600_302600_NS6detail15normal_iteratorINS9_10device_ptrIdEEEENS9_16discard_iteratorINS9_11use_defaultEEEd11max_functorIdEdEEDaPvRmT3_T4_T5_mT6_P12ihipStream_tbENKUlT_T0_E_clISt17integral_constantIbLb0EESX_EEDaSS_ST_EUlSS_E0_NS1_11comp_targetILNS1_3genE8ELNS1_11target_archE1030ELNS1_3gpuE2ELNS1_3repE0EEENS1_30default_config_static_selectorELNS0_4arch9wavefront6targetE1EEEvT1_,"axG",@progbits,_ZN7rocprim17ROCPRIM_400000_NS6detail17trampoline_kernelINS0_14default_configENS1_20scan_config_selectorIdEEZZNS1_9scan_implILNS1_25lookback_scan_determinismE0ELb0ELb0ES3_N6thrust23THRUST_200600_302600_NS6detail15normal_iteratorINS9_10device_ptrIdEEEENS9_16discard_iteratorINS9_11use_defaultEEEd11max_functorIdEdEEDaPvRmT3_T4_T5_mT6_P12ihipStream_tbENKUlT_T0_E_clISt17integral_constantIbLb0EESX_EEDaSS_ST_EUlSS_E0_NS1_11comp_targetILNS1_3genE8ELNS1_11target_archE1030ELNS1_3gpuE2ELNS1_3repE0EEENS1_30default_config_static_selectorELNS0_4arch9wavefront6targetE1EEEvT1_,comdat
	.protected	_ZN7rocprim17ROCPRIM_400000_NS6detail17trampoline_kernelINS0_14default_configENS1_20scan_config_selectorIdEEZZNS1_9scan_implILNS1_25lookback_scan_determinismE0ELb0ELb0ES3_N6thrust23THRUST_200600_302600_NS6detail15normal_iteratorINS9_10device_ptrIdEEEENS9_16discard_iteratorINS9_11use_defaultEEEd11max_functorIdEdEEDaPvRmT3_T4_T5_mT6_P12ihipStream_tbENKUlT_T0_E_clISt17integral_constantIbLb0EESX_EEDaSS_ST_EUlSS_E0_NS1_11comp_targetILNS1_3genE8ELNS1_11target_archE1030ELNS1_3gpuE2ELNS1_3repE0EEENS1_30default_config_static_selectorELNS0_4arch9wavefront6targetE1EEEvT1_ ; -- Begin function _ZN7rocprim17ROCPRIM_400000_NS6detail17trampoline_kernelINS0_14default_configENS1_20scan_config_selectorIdEEZZNS1_9scan_implILNS1_25lookback_scan_determinismE0ELb0ELb0ES3_N6thrust23THRUST_200600_302600_NS6detail15normal_iteratorINS9_10device_ptrIdEEEENS9_16discard_iteratorINS9_11use_defaultEEEd11max_functorIdEdEEDaPvRmT3_T4_T5_mT6_P12ihipStream_tbENKUlT_T0_E_clISt17integral_constantIbLb0EESX_EEDaSS_ST_EUlSS_E0_NS1_11comp_targetILNS1_3genE8ELNS1_11target_archE1030ELNS1_3gpuE2ELNS1_3repE0EEENS1_30default_config_static_selectorELNS0_4arch9wavefront6targetE1EEEvT1_
	.globl	_ZN7rocprim17ROCPRIM_400000_NS6detail17trampoline_kernelINS0_14default_configENS1_20scan_config_selectorIdEEZZNS1_9scan_implILNS1_25lookback_scan_determinismE0ELb0ELb0ES3_N6thrust23THRUST_200600_302600_NS6detail15normal_iteratorINS9_10device_ptrIdEEEENS9_16discard_iteratorINS9_11use_defaultEEEd11max_functorIdEdEEDaPvRmT3_T4_T5_mT6_P12ihipStream_tbENKUlT_T0_E_clISt17integral_constantIbLb0EESX_EEDaSS_ST_EUlSS_E0_NS1_11comp_targetILNS1_3genE8ELNS1_11target_archE1030ELNS1_3gpuE2ELNS1_3repE0EEENS1_30default_config_static_selectorELNS0_4arch9wavefront6targetE1EEEvT1_
	.p2align	8
	.type	_ZN7rocprim17ROCPRIM_400000_NS6detail17trampoline_kernelINS0_14default_configENS1_20scan_config_selectorIdEEZZNS1_9scan_implILNS1_25lookback_scan_determinismE0ELb0ELb0ES3_N6thrust23THRUST_200600_302600_NS6detail15normal_iteratorINS9_10device_ptrIdEEEENS9_16discard_iteratorINS9_11use_defaultEEEd11max_functorIdEdEEDaPvRmT3_T4_T5_mT6_P12ihipStream_tbENKUlT_T0_E_clISt17integral_constantIbLb0EESX_EEDaSS_ST_EUlSS_E0_NS1_11comp_targetILNS1_3genE8ELNS1_11target_archE1030ELNS1_3gpuE2ELNS1_3repE0EEENS1_30default_config_static_selectorELNS0_4arch9wavefront6targetE1EEEvT1_,@function
_ZN7rocprim17ROCPRIM_400000_NS6detail17trampoline_kernelINS0_14default_configENS1_20scan_config_selectorIdEEZZNS1_9scan_implILNS1_25lookback_scan_determinismE0ELb0ELb0ES3_N6thrust23THRUST_200600_302600_NS6detail15normal_iteratorINS9_10device_ptrIdEEEENS9_16discard_iteratorINS9_11use_defaultEEEd11max_functorIdEdEEDaPvRmT3_T4_T5_mT6_P12ihipStream_tbENKUlT_T0_E_clISt17integral_constantIbLb0EESX_EEDaSS_ST_EUlSS_E0_NS1_11comp_targetILNS1_3genE8ELNS1_11target_archE1030ELNS1_3gpuE2ELNS1_3repE0EEENS1_30default_config_static_selectorELNS0_4arch9wavefront6targetE1EEEvT1_: ; @_ZN7rocprim17ROCPRIM_400000_NS6detail17trampoline_kernelINS0_14default_configENS1_20scan_config_selectorIdEEZZNS1_9scan_implILNS1_25lookback_scan_determinismE0ELb0ELb0ES3_N6thrust23THRUST_200600_302600_NS6detail15normal_iteratorINS9_10device_ptrIdEEEENS9_16discard_iteratorINS9_11use_defaultEEEd11max_functorIdEdEEDaPvRmT3_T4_T5_mT6_P12ihipStream_tbENKUlT_T0_E_clISt17integral_constantIbLb0EESX_EEDaSS_ST_EUlSS_E0_NS1_11comp_targetILNS1_3genE8ELNS1_11target_archE1030ELNS1_3gpuE2ELNS1_3repE0EEENS1_30default_config_static_selectorELNS0_4arch9wavefront6targetE1EEEvT1_
; %bb.0:
	.section	.rodata,"a",@progbits
	.p2align	6, 0x0
	.amdhsa_kernel _ZN7rocprim17ROCPRIM_400000_NS6detail17trampoline_kernelINS0_14default_configENS1_20scan_config_selectorIdEEZZNS1_9scan_implILNS1_25lookback_scan_determinismE0ELb0ELb0ES3_N6thrust23THRUST_200600_302600_NS6detail15normal_iteratorINS9_10device_ptrIdEEEENS9_16discard_iteratorINS9_11use_defaultEEEd11max_functorIdEdEEDaPvRmT3_T4_T5_mT6_P12ihipStream_tbENKUlT_T0_E_clISt17integral_constantIbLb0EESX_EEDaSS_ST_EUlSS_E0_NS1_11comp_targetILNS1_3genE8ELNS1_11target_archE1030ELNS1_3gpuE2ELNS1_3repE0EEENS1_30default_config_static_selectorELNS0_4arch9wavefront6targetE1EEEvT1_
		.amdhsa_group_segment_fixed_size 0
		.amdhsa_private_segment_fixed_size 0
		.amdhsa_kernarg_size 48
		.amdhsa_user_sgpr_count 6
		.amdhsa_user_sgpr_private_segment_buffer 1
		.amdhsa_user_sgpr_dispatch_ptr 0
		.amdhsa_user_sgpr_queue_ptr 0
		.amdhsa_user_sgpr_kernarg_segment_ptr 1
		.amdhsa_user_sgpr_dispatch_id 0
		.amdhsa_user_sgpr_flat_scratch_init 0
		.amdhsa_user_sgpr_kernarg_preload_length 0
		.amdhsa_user_sgpr_kernarg_preload_offset 0
		.amdhsa_user_sgpr_private_segment_size 0
		.amdhsa_uses_dynamic_stack 0
		.amdhsa_system_sgpr_private_segment_wavefront_offset 0
		.amdhsa_system_sgpr_workgroup_id_x 1
		.amdhsa_system_sgpr_workgroup_id_y 0
		.amdhsa_system_sgpr_workgroup_id_z 0
		.amdhsa_system_sgpr_workgroup_info 0
		.amdhsa_system_vgpr_workitem_id 0
		.amdhsa_next_free_vgpr 1
		.amdhsa_next_free_sgpr 0
		.amdhsa_accum_offset 4
		.amdhsa_reserve_vcc 0
		.amdhsa_reserve_flat_scratch 0
		.amdhsa_float_round_mode_32 0
		.amdhsa_float_round_mode_16_64 0
		.amdhsa_float_denorm_mode_32 3
		.amdhsa_float_denorm_mode_16_64 3
		.amdhsa_dx10_clamp 1
		.amdhsa_ieee_mode 1
		.amdhsa_fp16_overflow 0
		.amdhsa_tg_split 0
		.amdhsa_exception_fp_ieee_invalid_op 0
		.amdhsa_exception_fp_denorm_src 0
		.amdhsa_exception_fp_ieee_div_zero 0
		.amdhsa_exception_fp_ieee_overflow 0
		.amdhsa_exception_fp_ieee_underflow 0
		.amdhsa_exception_fp_ieee_inexact 0
		.amdhsa_exception_int_div_zero 0
	.end_amdhsa_kernel
	.section	.text._ZN7rocprim17ROCPRIM_400000_NS6detail17trampoline_kernelINS0_14default_configENS1_20scan_config_selectorIdEEZZNS1_9scan_implILNS1_25lookback_scan_determinismE0ELb0ELb0ES3_N6thrust23THRUST_200600_302600_NS6detail15normal_iteratorINS9_10device_ptrIdEEEENS9_16discard_iteratorINS9_11use_defaultEEEd11max_functorIdEdEEDaPvRmT3_T4_T5_mT6_P12ihipStream_tbENKUlT_T0_E_clISt17integral_constantIbLb0EESX_EEDaSS_ST_EUlSS_E0_NS1_11comp_targetILNS1_3genE8ELNS1_11target_archE1030ELNS1_3gpuE2ELNS1_3repE0EEENS1_30default_config_static_selectorELNS0_4arch9wavefront6targetE1EEEvT1_,"axG",@progbits,_ZN7rocprim17ROCPRIM_400000_NS6detail17trampoline_kernelINS0_14default_configENS1_20scan_config_selectorIdEEZZNS1_9scan_implILNS1_25lookback_scan_determinismE0ELb0ELb0ES3_N6thrust23THRUST_200600_302600_NS6detail15normal_iteratorINS9_10device_ptrIdEEEENS9_16discard_iteratorINS9_11use_defaultEEEd11max_functorIdEdEEDaPvRmT3_T4_T5_mT6_P12ihipStream_tbENKUlT_T0_E_clISt17integral_constantIbLb0EESX_EEDaSS_ST_EUlSS_E0_NS1_11comp_targetILNS1_3genE8ELNS1_11target_archE1030ELNS1_3gpuE2ELNS1_3repE0EEENS1_30default_config_static_selectorELNS0_4arch9wavefront6targetE1EEEvT1_,comdat
.Lfunc_end3007:
	.size	_ZN7rocprim17ROCPRIM_400000_NS6detail17trampoline_kernelINS0_14default_configENS1_20scan_config_selectorIdEEZZNS1_9scan_implILNS1_25lookback_scan_determinismE0ELb0ELb0ES3_N6thrust23THRUST_200600_302600_NS6detail15normal_iteratorINS9_10device_ptrIdEEEENS9_16discard_iteratorINS9_11use_defaultEEEd11max_functorIdEdEEDaPvRmT3_T4_T5_mT6_P12ihipStream_tbENKUlT_T0_E_clISt17integral_constantIbLb0EESX_EEDaSS_ST_EUlSS_E0_NS1_11comp_targetILNS1_3genE8ELNS1_11target_archE1030ELNS1_3gpuE2ELNS1_3repE0EEENS1_30default_config_static_selectorELNS0_4arch9wavefront6targetE1EEEvT1_, .Lfunc_end3007-_ZN7rocprim17ROCPRIM_400000_NS6detail17trampoline_kernelINS0_14default_configENS1_20scan_config_selectorIdEEZZNS1_9scan_implILNS1_25lookback_scan_determinismE0ELb0ELb0ES3_N6thrust23THRUST_200600_302600_NS6detail15normal_iteratorINS9_10device_ptrIdEEEENS9_16discard_iteratorINS9_11use_defaultEEEd11max_functorIdEdEEDaPvRmT3_T4_T5_mT6_P12ihipStream_tbENKUlT_T0_E_clISt17integral_constantIbLb0EESX_EEDaSS_ST_EUlSS_E0_NS1_11comp_targetILNS1_3genE8ELNS1_11target_archE1030ELNS1_3gpuE2ELNS1_3repE0EEENS1_30default_config_static_selectorELNS0_4arch9wavefront6targetE1EEEvT1_
                                        ; -- End function
	.section	.AMDGPU.csdata,"",@progbits
; Kernel info:
; codeLenInByte = 0
; NumSgprs: 4
; NumVgprs: 0
; NumAgprs: 0
; TotalNumVgprs: 0
; ScratchSize: 0
; MemoryBound: 0
; FloatMode: 240
; IeeeMode: 1
; LDSByteSize: 0 bytes/workgroup (compile time only)
; SGPRBlocks: 0
; VGPRBlocks: 0
; NumSGPRsForWavesPerEU: 4
; NumVGPRsForWavesPerEU: 1
; AccumOffset: 4
; Occupancy: 8
; WaveLimiterHint : 0
; COMPUTE_PGM_RSRC2:SCRATCH_EN: 0
; COMPUTE_PGM_RSRC2:USER_SGPR: 6
; COMPUTE_PGM_RSRC2:TRAP_HANDLER: 0
; COMPUTE_PGM_RSRC2:TGID_X_EN: 1
; COMPUTE_PGM_RSRC2:TGID_Y_EN: 0
; COMPUTE_PGM_RSRC2:TGID_Z_EN: 0
; COMPUTE_PGM_RSRC2:TIDIG_COMP_CNT: 0
; COMPUTE_PGM_RSRC3_GFX90A:ACCUM_OFFSET: 0
; COMPUTE_PGM_RSRC3_GFX90A:TG_SPLIT: 0
	.section	.text._ZN7rocprim17ROCPRIM_400000_NS6detail17trampoline_kernelINS0_14default_configENS1_20scan_config_selectorIdEEZZNS1_9scan_implILNS1_25lookback_scan_determinismE0ELb0ELb0ES3_N6thrust23THRUST_200600_302600_NS6detail15normal_iteratorINS9_10device_ptrIdEEEENS9_16discard_iteratorINS9_11use_defaultEEEd11max_functorIdEdEEDaPvRmT3_T4_T5_mT6_P12ihipStream_tbENKUlT_T0_E_clISt17integral_constantIbLb1EESX_EEDaSS_ST_EUlSS_E_NS1_11comp_targetILNS1_3genE0ELNS1_11target_archE4294967295ELNS1_3gpuE0ELNS1_3repE0EEENS1_30default_config_static_selectorELNS0_4arch9wavefront6targetE1EEEvT1_,"axG",@progbits,_ZN7rocprim17ROCPRIM_400000_NS6detail17trampoline_kernelINS0_14default_configENS1_20scan_config_selectorIdEEZZNS1_9scan_implILNS1_25lookback_scan_determinismE0ELb0ELb0ES3_N6thrust23THRUST_200600_302600_NS6detail15normal_iteratorINS9_10device_ptrIdEEEENS9_16discard_iteratorINS9_11use_defaultEEEd11max_functorIdEdEEDaPvRmT3_T4_T5_mT6_P12ihipStream_tbENKUlT_T0_E_clISt17integral_constantIbLb1EESX_EEDaSS_ST_EUlSS_E_NS1_11comp_targetILNS1_3genE0ELNS1_11target_archE4294967295ELNS1_3gpuE0ELNS1_3repE0EEENS1_30default_config_static_selectorELNS0_4arch9wavefront6targetE1EEEvT1_,comdat
	.protected	_ZN7rocprim17ROCPRIM_400000_NS6detail17trampoline_kernelINS0_14default_configENS1_20scan_config_selectorIdEEZZNS1_9scan_implILNS1_25lookback_scan_determinismE0ELb0ELb0ES3_N6thrust23THRUST_200600_302600_NS6detail15normal_iteratorINS9_10device_ptrIdEEEENS9_16discard_iteratorINS9_11use_defaultEEEd11max_functorIdEdEEDaPvRmT3_T4_T5_mT6_P12ihipStream_tbENKUlT_T0_E_clISt17integral_constantIbLb1EESX_EEDaSS_ST_EUlSS_E_NS1_11comp_targetILNS1_3genE0ELNS1_11target_archE4294967295ELNS1_3gpuE0ELNS1_3repE0EEENS1_30default_config_static_selectorELNS0_4arch9wavefront6targetE1EEEvT1_ ; -- Begin function _ZN7rocprim17ROCPRIM_400000_NS6detail17trampoline_kernelINS0_14default_configENS1_20scan_config_selectorIdEEZZNS1_9scan_implILNS1_25lookback_scan_determinismE0ELb0ELb0ES3_N6thrust23THRUST_200600_302600_NS6detail15normal_iteratorINS9_10device_ptrIdEEEENS9_16discard_iteratorINS9_11use_defaultEEEd11max_functorIdEdEEDaPvRmT3_T4_T5_mT6_P12ihipStream_tbENKUlT_T0_E_clISt17integral_constantIbLb1EESX_EEDaSS_ST_EUlSS_E_NS1_11comp_targetILNS1_3genE0ELNS1_11target_archE4294967295ELNS1_3gpuE0ELNS1_3repE0EEENS1_30default_config_static_selectorELNS0_4arch9wavefront6targetE1EEEvT1_
	.globl	_ZN7rocprim17ROCPRIM_400000_NS6detail17trampoline_kernelINS0_14default_configENS1_20scan_config_selectorIdEEZZNS1_9scan_implILNS1_25lookback_scan_determinismE0ELb0ELb0ES3_N6thrust23THRUST_200600_302600_NS6detail15normal_iteratorINS9_10device_ptrIdEEEENS9_16discard_iteratorINS9_11use_defaultEEEd11max_functorIdEdEEDaPvRmT3_T4_T5_mT6_P12ihipStream_tbENKUlT_T0_E_clISt17integral_constantIbLb1EESX_EEDaSS_ST_EUlSS_E_NS1_11comp_targetILNS1_3genE0ELNS1_11target_archE4294967295ELNS1_3gpuE0ELNS1_3repE0EEENS1_30default_config_static_selectorELNS0_4arch9wavefront6targetE1EEEvT1_
	.p2align	8
	.type	_ZN7rocprim17ROCPRIM_400000_NS6detail17trampoline_kernelINS0_14default_configENS1_20scan_config_selectorIdEEZZNS1_9scan_implILNS1_25lookback_scan_determinismE0ELb0ELb0ES3_N6thrust23THRUST_200600_302600_NS6detail15normal_iteratorINS9_10device_ptrIdEEEENS9_16discard_iteratorINS9_11use_defaultEEEd11max_functorIdEdEEDaPvRmT3_T4_T5_mT6_P12ihipStream_tbENKUlT_T0_E_clISt17integral_constantIbLb1EESX_EEDaSS_ST_EUlSS_E_NS1_11comp_targetILNS1_3genE0ELNS1_11target_archE4294967295ELNS1_3gpuE0ELNS1_3repE0EEENS1_30default_config_static_selectorELNS0_4arch9wavefront6targetE1EEEvT1_,@function
_ZN7rocprim17ROCPRIM_400000_NS6detail17trampoline_kernelINS0_14default_configENS1_20scan_config_selectorIdEEZZNS1_9scan_implILNS1_25lookback_scan_determinismE0ELb0ELb0ES3_N6thrust23THRUST_200600_302600_NS6detail15normal_iteratorINS9_10device_ptrIdEEEENS9_16discard_iteratorINS9_11use_defaultEEEd11max_functorIdEdEEDaPvRmT3_T4_T5_mT6_P12ihipStream_tbENKUlT_T0_E_clISt17integral_constantIbLb1EESX_EEDaSS_ST_EUlSS_E_NS1_11comp_targetILNS1_3genE0ELNS1_11target_archE4294967295ELNS1_3gpuE0ELNS1_3repE0EEENS1_30default_config_static_selectorELNS0_4arch9wavefront6targetE1EEEvT1_: ; @_ZN7rocprim17ROCPRIM_400000_NS6detail17trampoline_kernelINS0_14default_configENS1_20scan_config_selectorIdEEZZNS1_9scan_implILNS1_25lookback_scan_determinismE0ELb0ELb0ES3_N6thrust23THRUST_200600_302600_NS6detail15normal_iteratorINS9_10device_ptrIdEEEENS9_16discard_iteratorINS9_11use_defaultEEEd11max_functorIdEdEEDaPvRmT3_T4_T5_mT6_P12ihipStream_tbENKUlT_T0_E_clISt17integral_constantIbLb1EESX_EEDaSS_ST_EUlSS_E_NS1_11comp_targetILNS1_3genE0ELNS1_11target_archE4294967295ELNS1_3gpuE0ELNS1_3repE0EEENS1_30default_config_static_selectorELNS0_4arch9wavefront6targetE1EEEvT1_
; %bb.0:
	.section	.rodata,"a",@progbits
	.p2align	6, 0x0
	.amdhsa_kernel _ZN7rocprim17ROCPRIM_400000_NS6detail17trampoline_kernelINS0_14default_configENS1_20scan_config_selectorIdEEZZNS1_9scan_implILNS1_25lookback_scan_determinismE0ELb0ELb0ES3_N6thrust23THRUST_200600_302600_NS6detail15normal_iteratorINS9_10device_ptrIdEEEENS9_16discard_iteratorINS9_11use_defaultEEEd11max_functorIdEdEEDaPvRmT3_T4_T5_mT6_P12ihipStream_tbENKUlT_T0_E_clISt17integral_constantIbLb1EESX_EEDaSS_ST_EUlSS_E_NS1_11comp_targetILNS1_3genE0ELNS1_11target_archE4294967295ELNS1_3gpuE0ELNS1_3repE0EEENS1_30default_config_static_selectorELNS0_4arch9wavefront6targetE1EEEvT1_
		.amdhsa_group_segment_fixed_size 0
		.amdhsa_private_segment_fixed_size 0
		.amdhsa_kernarg_size 112
		.amdhsa_user_sgpr_count 6
		.amdhsa_user_sgpr_private_segment_buffer 1
		.amdhsa_user_sgpr_dispatch_ptr 0
		.amdhsa_user_sgpr_queue_ptr 0
		.amdhsa_user_sgpr_kernarg_segment_ptr 1
		.amdhsa_user_sgpr_dispatch_id 0
		.amdhsa_user_sgpr_flat_scratch_init 0
		.amdhsa_user_sgpr_kernarg_preload_length 0
		.amdhsa_user_sgpr_kernarg_preload_offset 0
		.amdhsa_user_sgpr_private_segment_size 0
		.amdhsa_uses_dynamic_stack 0
		.amdhsa_system_sgpr_private_segment_wavefront_offset 0
		.amdhsa_system_sgpr_workgroup_id_x 1
		.amdhsa_system_sgpr_workgroup_id_y 0
		.amdhsa_system_sgpr_workgroup_id_z 0
		.amdhsa_system_sgpr_workgroup_info 0
		.amdhsa_system_vgpr_workitem_id 0
		.amdhsa_next_free_vgpr 1
		.amdhsa_next_free_sgpr 0
		.amdhsa_accum_offset 4
		.amdhsa_reserve_vcc 0
		.amdhsa_reserve_flat_scratch 0
		.amdhsa_float_round_mode_32 0
		.amdhsa_float_round_mode_16_64 0
		.amdhsa_float_denorm_mode_32 3
		.amdhsa_float_denorm_mode_16_64 3
		.amdhsa_dx10_clamp 1
		.amdhsa_ieee_mode 1
		.amdhsa_fp16_overflow 0
		.amdhsa_tg_split 0
		.amdhsa_exception_fp_ieee_invalid_op 0
		.amdhsa_exception_fp_denorm_src 0
		.amdhsa_exception_fp_ieee_div_zero 0
		.amdhsa_exception_fp_ieee_overflow 0
		.amdhsa_exception_fp_ieee_underflow 0
		.amdhsa_exception_fp_ieee_inexact 0
		.amdhsa_exception_int_div_zero 0
	.end_amdhsa_kernel
	.section	.text._ZN7rocprim17ROCPRIM_400000_NS6detail17trampoline_kernelINS0_14default_configENS1_20scan_config_selectorIdEEZZNS1_9scan_implILNS1_25lookback_scan_determinismE0ELb0ELb0ES3_N6thrust23THRUST_200600_302600_NS6detail15normal_iteratorINS9_10device_ptrIdEEEENS9_16discard_iteratorINS9_11use_defaultEEEd11max_functorIdEdEEDaPvRmT3_T4_T5_mT6_P12ihipStream_tbENKUlT_T0_E_clISt17integral_constantIbLb1EESX_EEDaSS_ST_EUlSS_E_NS1_11comp_targetILNS1_3genE0ELNS1_11target_archE4294967295ELNS1_3gpuE0ELNS1_3repE0EEENS1_30default_config_static_selectorELNS0_4arch9wavefront6targetE1EEEvT1_,"axG",@progbits,_ZN7rocprim17ROCPRIM_400000_NS6detail17trampoline_kernelINS0_14default_configENS1_20scan_config_selectorIdEEZZNS1_9scan_implILNS1_25lookback_scan_determinismE0ELb0ELb0ES3_N6thrust23THRUST_200600_302600_NS6detail15normal_iteratorINS9_10device_ptrIdEEEENS9_16discard_iteratorINS9_11use_defaultEEEd11max_functorIdEdEEDaPvRmT3_T4_T5_mT6_P12ihipStream_tbENKUlT_T0_E_clISt17integral_constantIbLb1EESX_EEDaSS_ST_EUlSS_E_NS1_11comp_targetILNS1_3genE0ELNS1_11target_archE4294967295ELNS1_3gpuE0ELNS1_3repE0EEENS1_30default_config_static_selectorELNS0_4arch9wavefront6targetE1EEEvT1_,comdat
.Lfunc_end3008:
	.size	_ZN7rocprim17ROCPRIM_400000_NS6detail17trampoline_kernelINS0_14default_configENS1_20scan_config_selectorIdEEZZNS1_9scan_implILNS1_25lookback_scan_determinismE0ELb0ELb0ES3_N6thrust23THRUST_200600_302600_NS6detail15normal_iteratorINS9_10device_ptrIdEEEENS9_16discard_iteratorINS9_11use_defaultEEEd11max_functorIdEdEEDaPvRmT3_T4_T5_mT6_P12ihipStream_tbENKUlT_T0_E_clISt17integral_constantIbLb1EESX_EEDaSS_ST_EUlSS_E_NS1_11comp_targetILNS1_3genE0ELNS1_11target_archE4294967295ELNS1_3gpuE0ELNS1_3repE0EEENS1_30default_config_static_selectorELNS0_4arch9wavefront6targetE1EEEvT1_, .Lfunc_end3008-_ZN7rocprim17ROCPRIM_400000_NS6detail17trampoline_kernelINS0_14default_configENS1_20scan_config_selectorIdEEZZNS1_9scan_implILNS1_25lookback_scan_determinismE0ELb0ELb0ES3_N6thrust23THRUST_200600_302600_NS6detail15normal_iteratorINS9_10device_ptrIdEEEENS9_16discard_iteratorINS9_11use_defaultEEEd11max_functorIdEdEEDaPvRmT3_T4_T5_mT6_P12ihipStream_tbENKUlT_T0_E_clISt17integral_constantIbLb1EESX_EEDaSS_ST_EUlSS_E_NS1_11comp_targetILNS1_3genE0ELNS1_11target_archE4294967295ELNS1_3gpuE0ELNS1_3repE0EEENS1_30default_config_static_selectorELNS0_4arch9wavefront6targetE1EEEvT1_
                                        ; -- End function
	.section	.AMDGPU.csdata,"",@progbits
; Kernel info:
; codeLenInByte = 0
; NumSgprs: 4
; NumVgprs: 0
; NumAgprs: 0
; TotalNumVgprs: 0
; ScratchSize: 0
; MemoryBound: 0
; FloatMode: 240
; IeeeMode: 1
; LDSByteSize: 0 bytes/workgroup (compile time only)
; SGPRBlocks: 0
; VGPRBlocks: 0
; NumSGPRsForWavesPerEU: 4
; NumVGPRsForWavesPerEU: 1
; AccumOffset: 4
; Occupancy: 8
; WaveLimiterHint : 0
; COMPUTE_PGM_RSRC2:SCRATCH_EN: 0
; COMPUTE_PGM_RSRC2:USER_SGPR: 6
; COMPUTE_PGM_RSRC2:TRAP_HANDLER: 0
; COMPUTE_PGM_RSRC2:TGID_X_EN: 1
; COMPUTE_PGM_RSRC2:TGID_Y_EN: 0
; COMPUTE_PGM_RSRC2:TGID_Z_EN: 0
; COMPUTE_PGM_RSRC2:TIDIG_COMP_CNT: 0
; COMPUTE_PGM_RSRC3_GFX90A:ACCUM_OFFSET: 0
; COMPUTE_PGM_RSRC3_GFX90A:TG_SPLIT: 0
	.section	.text._ZN7rocprim17ROCPRIM_400000_NS6detail17trampoline_kernelINS0_14default_configENS1_20scan_config_selectorIdEEZZNS1_9scan_implILNS1_25lookback_scan_determinismE0ELb0ELb0ES3_N6thrust23THRUST_200600_302600_NS6detail15normal_iteratorINS9_10device_ptrIdEEEENS9_16discard_iteratorINS9_11use_defaultEEEd11max_functorIdEdEEDaPvRmT3_T4_T5_mT6_P12ihipStream_tbENKUlT_T0_E_clISt17integral_constantIbLb1EESX_EEDaSS_ST_EUlSS_E_NS1_11comp_targetILNS1_3genE5ELNS1_11target_archE942ELNS1_3gpuE9ELNS1_3repE0EEENS1_30default_config_static_selectorELNS0_4arch9wavefront6targetE1EEEvT1_,"axG",@progbits,_ZN7rocprim17ROCPRIM_400000_NS6detail17trampoline_kernelINS0_14default_configENS1_20scan_config_selectorIdEEZZNS1_9scan_implILNS1_25lookback_scan_determinismE0ELb0ELb0ES3_N6thrust23THRUST_200600_302600_NS6detail15normal_iteratorINS9_10device_ptrIdEEEENS9_16discard_iteratorINS9_11use_defaultEEEd11max_functorIdEdEEDaPvRmT3_T4_T5_mT6_P12ihipStream_tbENKUlT_T0_E_clISt17integral_constantIbLb1EESX_EEDaSS_ST_EUlSS_E_NS1_11comp_targetILNS1_3genE5ELNS1_11target_archE942ELNS1_3gpuE9ELNS1_3repE0EEENS1_30default_config_static_selectorELNS0_4arch9wavefront6targetE1EEEvT1_,comdat
	.protected	_ZN7rocprim17ROCPRIM_400000_NS6detail17trampoline_kernelINS0_14default_configENS1_20scan_config_selectorIdEEZZNS1_9scan_implILNS1_25lookback_scan_determinismE0ELb0ELb0ES3_N6thrust23THRUST_200600_302600_NS6detail15normal_iteratorINS9_10device_ptrIdEEEENS9_16discard_iteratorINS9_11use_defaultEEEd11max_functorIdEdEEDaPvRmT3_T4_T5_mT6_P12ihipStream_tbENKUlT_T0_E_clISt17integral_constantIbLb1EESX_EEDaSS_ST_EUlSS_E_NS1_11comp_targetILNS1_3genE5ELNS1_11target_archE942ELNS1_3gpuE9ELNS1_3repE0EEENS1_30default_config_static_selectorELNS0_4arch9wavefront6targetE1EEEvT1_ ; -- Begin function _ZN7rocprim17ROCPRIM_400000_NS6detail17trampoline_kernelINS0_14default_configENS1_20scan_config_selectorIdEEZZNS1_9scan_implILNS1_25lookback_scan_determinismE0ELb0ELb0ES3_N6thrust23THRUST_200600_302600_NS6detail15normal_iteratorINS9_10device_ptrIdEEEENS9_16discard_iteratorINS9_11use_defaultEEEd11max_functorIdEdEEDaPvRmT3_T4_T5_mT6_P12ihipStream_tbENKUlT_T0_E_clISt17integral_constantIbLb1EESX_EEDaSS_ST_EUlSS_E_NS1_11comp_targetILNS1_3genE5ELNS1_11target_archE942ELNS1_3gpuE9ELNS1_3repE0EEENS1_30default_config_static_selectorELNS0_4arch9wavefront6targetE1EEEvT1_
	.globl	_ZN7rocprim17ROCPRIM_400000_NS6detail17trampoline_kernelINS0_14default_configENS1_20scan_config_selectorIdEEZZNS1_9scan_implILNS1_25lookback_scan_determinismE0ELb0ELb0ES3_N6thrust23THRUST_200600_302600_NS6detail15normal_iteratorINS9_10device_ptrIdEEEENS9_16discard_iteratorINS9_11use_defaultEEEd11max_functorIdEdEEDaPvRmT3_T4_T5_mT6_P12ihipStream_tbENKUlT_T0_E_clISt17integral_constantIbLb1EESX_EEDaSS_ST_EUlSS_E_NS1_11comp_targetILNS1_3genE5ELNS1_11target_archE942ELNS1_3gpuE9ELNS1_3repE0EEENS1_30default_config_static_selectorELNS0_4arch9wavefront6targetE1EEEvT1_
	.p2align	8
	.type	_ZN7rocprim17ROCPRIM_400000_NS6detail17trampoline_kernelINS0_14default_configENS1_20scan_config_selectorIdEEZZNS1_9scan_implILNS1_25lookback_scan_determinismE0ELb0ELb0ES3_N6thrust23THRUST_200600_302600_NS6detail15normal_iteratorINS9_10device_ptrIdEEEENS9_16discard_iteratorINS9_11use_defaultEEEd11max_functorIdEdEEDaPvRmT3_T4_T5_mT6_P12ihipStream_tbENKUlT_T0_E_clISt17integral_constantIbLb1EESX_EEDaSS_ST_EUlSS_E_NS1_11comp_targetILNS1_3genE5ELNS1_11target_archE942ELNS1_3gpuE9ELNS1_3repE0EEENS1_30default_config_static_selectorELNS0_4arch9wavefront6targetE1EEEvT1_,@function
_ZN7rocprim17ROCPRIM_400000_NS6detail17trampoline_kernelINS0_14default_configENS1_20scan_config_selectorIdEEZZNS1_9scan_implILNS1_25lookback_scan_determinismE0ELb0ELb0ES3_N6thrust23THRUST_200600_302600_NS6detail15normal_iteratorINS9_10device_ptrIdEEEENS9_16discard_iteratorINS9_11use_defaultEEEd11max_functorIdEdEEDaPvRmT3_T4_T5_mT6_P12ihipStream_tbENKUlT_T0_E_clISt17integral_constantIbLb1EESX_EEDaSS_ST_EUlSS_E_NS1_11comp_targetILNS1_3genE5ELNS1_11target_archE942ELNS1_3gpuE9ELNS1_3repE0EEENS1_30default_config_static_selectorELNS0_4arch9wavefront6targetE1EEEvT1_: ; @_ZN7rocprim17ROCPRIM_400000_NS6detail17trampoline_kernelINS0_14default_configENS1_20scan_config_selectorIdEEZZNS1_9scan_implILNS1_25lookback_scan_determinismE0ELb0ELb0ES3_N6thrust23THRUST_200600_302600_NS6detail15normal_iteratorINS9_10device_ptrIdEEEENS9_16discard_iteratorINS9_11use_defaultEEEd11max_functorIdEdEEDaPvRmT3_T4_T5_mT6_P12ihipStream_tbENKUlT_T0_E_clISt17integral_constantIbLb1EESX_EEDaSS_ST_EUlSS_E_NS1_11comp_targetILNS1_3genE5ELNS1_11target_archE942ELNS1_3gpuE9ELNS1_3repE0EEENS1_30default_config_static_selectorELNS0_4arch9wavefront6targetE1EEEvT1_
; %bb.0:
	.section	.rodata,"a",@progbits
	.p2align	6, 0x0
	.amdhsa_kernel _ZN7rocprim17ROCPRIM_400000_NS6detail17trampoline_kernelINS0_14default_configENS1_20scan_config_selectorIdEEZZNS1_9scan_implILNS1_25lookback_scan_determinismE0ELb0ELb0ES3_N6thrust23THRUST_200600_302600_NS6detail15normal_iteratorINS9_10device_ptrIdEEEENS9_16discard_iteratorINS9_11use_defaultEEEd11max_functorIdEdEEDaPvRmT3_T4_T5_mT6_P12ihipStream_tbENKUlT_T0_E_clISt17integral_constantIbLb1EESX_EEDaSS_ST_EUlSS_E_NS1_11comp_targetILNS1_3genE5ELNS1_11target_archE942ELNS1_3gpuE9ELNS1_3repE0EEENS1_30default_config_static_selectorELNS0_4arch9wavefront6targetE1EEEvT1_
		.amdhsa_group_segment_fixed_size 0
		.amdhsa_private_segment_fixed_size 0
		.amdhsa_kernarg_size 112
		.amdhsa_user_sgpr_count 6
		.amdhsa_user_sgpr_private_segment_buffer 1
		.amdhsa_user_sgpr_dispatch_ptr 0
		.amdhsa_user_sgpr_queue_ptr 0
		.amdhsa_user_sgpr_kernarg_segment_ptr 1
		.amdhsa_user_sgpr_dispatch_id 0
		.amdhsa_user_sgpr_flat_scratch_init 0
		.amdhsa_user_sgpr_kernarg_preload_length 0
		.amdhsa_user_sgpr_kernarg_preload_offset 0
		.amdhsa_user_sgpr_private_segment_size 0
		.amdhsa_uses_dynamic_stack 0
		.amdhsa_system_sgpr_private_segment_wavefront_offset 0
		.amdhsa_system_sgpr_workgroup_id_x 1
		.amdhsa_system_sgpr_workgroup_id_y 0
		.amdhsa_system_sgpr_workgroup_id_z 0
		.amdhsa_system_sgpr_workgroup_info 0
		.amdhsa_system_vgpr_workitem_id 0
		.amdhsa_next_free_vgpr 1
		.amdhsa_next_free_sgpr 0
		.amdhsa_accum_offset 4
		.amdhsa_reserve_vcc 0
		.amdhsa_reserve_flat_scratch 0
		.amdhsa_float_round_mode_32 0
		.amdhsa_float_round_mode_16_64 0
		.amdhsa_float_denorm_mode_32 3
		.amdhsa_float_denorm_mode_16_64 3
		.amdhsa_dx10_clamp 1
		.amdhsa_ieee_mode 1
		.amdhsa_fp16_overflow 0
		.amdhsa_tg_split 0
		.amdhsa_exception_fp_ieee_invalid_op 0
		.amdhsa_exception_fp_denorm_src 0
		.amdhsa_exception_fp_ieee_div_zero 0
		.amdhsa_exception_fp_ieee_overflow 0
		.amdhsa_exception_fp_ieee_underflow 0
		.amdhsa_exception_fp_ieee_inexact 0
		.amdhsa_exception_int_div_zero 0
	.end_amdhsa_kernel
	.section	.text._ZN7rocprim17ROCPRIM_400000_NS6detail17trampoline_kernelINS0_14default_configENS1_20scan_config_selectorIdEEZZNS1_9scan_implILNS1_25lookback_scan_determinismE0ELb0ELb0ES3_N6thrust23THRUST_200600_302600_NS6detail15normal_iteratorINS9_10device_ptrIdEEEENS9_16discard_iteratorINS9_11use_defaultEEEd11max_functorIdEdEEDaPvRmT3_T4_T5_mT6_P12ihipStream_tbENKUlT_T0_E_clISt17integral_constantIbLb1EESX_EEDaSS_ST_EUlSS_E_NS1_11comp_targetILNS1_3genE5ELNS1_11target_archE942ELNS1_3gpuE9ELNS1_3repE0EEENS1_30default_config_static_selectorELNS0_4arch9wavefront6targetE1EEEvT1_,"axG",@progbits,_ZN7rocprim17ROCPRIM_400000_NS6detail17trampoline_kernelINS0_14default_configENS1_20scan_config_selectorIdEEZZNS1_9scan_implILNS1_25lookback_scan_determinismE0ELb0ELb0ES3_N6thrust23THRUST_200600_302600_NS6detail15normal_iteratorINS9_10device_ptrIdEEEENS9_16discard_iteratorINS9_11use_defaultEEEd11max_functorIdEdEEDaPvRmT3_T4_T5_mT6_P12ihipStream_tbENKUlT_T0_E_clISt17integral_constantIbLb1EESX_EEDaSS_ST_EUlSS_E_NS1_11comp_targetILNS1_3genE5ELNS1_11target_archE942ELNS1_3gpuE9ELNS1_3repE0EEENS1_30default_config_static_selectorELNS0_4arch9wavefront6targetE1EEEvT1_,comdat
.Lfunc_end3009:
	.size	_ZN7rocprim17ROCPRIM_400000_NS6detail17trampoline_kernelINS0_14default_configENS1_20scan_config_selectorIdEEZZNS1_9scan_implILNS1_25lookback_scan_determinismE0ELb0ELb0ES3_N6thrust23THRUST_200600_302600_NS6detail15normal_iteratorINS9_10device_ptrIdEEEENS9_16discard_iteratorINS9_11use_defaultEEEd11max_functorIdEdEEDaPvRmT3_T4_T5_mT6_P12ihipStream_tbENKUlT_T0_E_clISt17integral_constantIbLb1EESX_EEDaSS_ST_EUlSS_E_NS1_11comp_targetILNS1_3genE5ELNS1_11target_archE942ELNS1_3gpuE9ELNS1_3repE0EEENS1_30default_config_static_selectorELNS0_4arch9wavefront6targetE1EEEvT1_, .Lfunc_end3009-_ZN7rocprim17ROCPRIM_400000_NS6detail17trampoline_kernelINS0_14default_configENS1_20scan_config_selectorIdEEZZNS1_9scan_implILNS1_25lookback_scan_determinismE0ELb0ELb0ES3_N6thrust23THRUST_200600_302600_NS6detail15normal_iteratorINS9_10device_ptrIdEEEENS9_16discard_iteratorINS9_11use_defaultEEEd11max_functorIdEdEEDaPvRmT3_T4_T5_mT6_P12ihipStream_tbENKUlT_T0_E_clISt17integral_constantIbLb1EESX_EEDaSS_ST_EUlSS_E_NS1_11comp_targetILNS1_3genE5ELNS1_11target_archE942ELNS1_3gpuE9ELNS1_3repE0EEENS1_30default_config_static_selectorELNS0_4arch9wavefront6targetE1EEEvT1_
                                        ; -- End function
	.section	.AMDGPU.csdata,"",@progbits
; Kernel info:
; codeLenInByte = 0
; NumSgprs: 4
; NumVgprs: 0
; NumAgprs: 0
; TotalNumVgprs: 0
; ScratchSize: 0
; MemoryBound: 0
; FloatMode: 240
; IeeeMode: 1
; LDSByteSize: 0 bytes/workgroup (compile time only)
; SGPRBlocks: 0
; VGPRBlocks: 0
; NumSGPRsForWavesPerEU: 4
; NumVGPRsForWavesPerEU: 1
; AccumOffset: 4
; Occupancy: 8
; WaveLimiterHint : 0
; COMPUTE_PGM_RSRC2:SCRATCH_EN: 0
; COMPUTE_PGM_RSRC2:USER_SGPR: 6
; COMPUTE_PGM_RSRC2:TRAP_HANDLER: 0
; COMPUTE_PGM_RSRC2:TGID_X_EN: 1
; COMPUTE_PGM_RSRC2:TGID_Y_EN: 0
; COMPUTE_PGM_RSRC2:TGID_Z_EN: 0
; COMPUTE_PGM_RSRC2:TIDIG_COMP_CNT: 0
; COMPUTE_PGM_RSRC3_GFX90A:ACCUM_OFFSET: 0
; COMPUTE_PGM_RSRC3_GFX90A:TG_SPLIT: 0
	.section	.text._ZN7rocprim17ROCPRIM_400000_NS6detail17trampoline_kernelINS0_14default_configENS1_20scan_config_selectorIdEEZZNS1_9scan_implILNS1_25lookback_scan_determinismE0ELb0ELb0ES3_N6thrust23THRUST_200600_302600_NS6detail15normal_iteratorINS9_10device_ptrIdEEEENS9_16discard_iteratorINS9_11use_defaultEEEd11max_functorIdEdEEDaPvRmT3_T4_T5_mT6_P12ihipStream_tbENKUlT_T0_E_clISt17integral_constantIbLb1EESX_EEDaSS_ST_EUlSS_E_NS1_11comp_targetILNS1_3genE4ELNS1_11target_archE910ELNS1_3gpuE8ELNS1_3repE0EEENS1_30default_config_static_selectorELNS0_4arch9wavefront6targetE1EEEvT1_,"axG",@progbits,_ZN7rocprim17ROCPRIM_400000_NS6detail17trampoline_kernelINS0_14default_configENS1_20scan_config_selectorIdEEZZNS1_9scan_implILNS1_25lookback_scan_determinismE0ELb0ELb0ES3_N6thrust23THRUST_200600_302600_NS6detail15normal_iteratorINS9_10device_ptrIdEEEENS9_16discard_iteratorINS9_11use_defaultEEEd11max_functorIdEdEEDaPvRmT3_T4_T5_mT6_P12ihipStream_tbENKUlT_T0_E_clISt17integral_constantIbLb1EESX_EEDaSS_ST_EUlSS_E_NS1_11comp_targetILNS1_3genE4ELNS1_11target_archE910ELNS1_3gpuE8ELNS1_3repE0EEENS1_30default_config_static_selectorELNS0_4arch9wavefront6targetE1EEEvT1_,comdat
	.protected	_ZN7rocprim17ROCPRIM_400000_NS6detail17trampoline_kernelINS0_14default_configENS1_20scan_config_selectorIdEEZZNS1_9scan_implILNS1_25lookback_scan_determinismE0ELb0ELb0ES3_N6thrust23THRUST_200600_302600_NS6detail15normal_iteratorINS9_10device_ptrIdEEEENS9_16discard_iteratorINS9_11use_defaultEEEd11max_functorIdEdEEDaPvRmT3_T4_T5_mT6_P12ihipStream_tbENKUlT_T0_E_clISt17integral_constantIbLb1EESX_EEDaSS_ST_EUlSS_E_NS1_11comp_targetILNS1_3genE4ELNS1_11target_archE910ELNS1_3gpuE8ELNS1_3repE0EEENS1_30default_config_static_selectorELNS0_4arch9wavefront6targetE1EEEvT1_ ; -- Begin function _ZN7rocprim17ROCPRIM_400000_NS6detail17trampoline_kernelINS0_14default_configENS1_20scan_config_selectorIdEEZZNS1_9scan_implILNS1_25lookback_scan_determinismE0ELb0ELb0ES3_N6thrust23THRUST_200600_302600_NS6detail15normal_iteratorINS9_10device_ptrIdEEEENS9_16discard_iteratorINS9_11use_defaultEEEd11max_functorIdEdEEDaPvRmT3_T4_T5_mT6_P12ihipStream_tbENKUlT_T0_E_clISt17integral_constantIbLb1EESX_EEDaSS_ST_EUlSS_E_NS1_11comp_targetILNS1_3genE4ELNS1_11target_archE910ELNS1_3gpuE8ELNS1_3repE0EEENS1_30default_config_static_selectorELNS0_4arch9wavefront6targetE1EEEvT1_
	.globl	_ZN7rocprim17ROCPRIM_400000_NS6detail17trampoline_kernelINS0_14default_configENS1_20scan_config_selectorIdEEZZNS1_9scan_implILNS1_25lookback_scan_determinismE0ELb0ELb0ES3_N6thrust23THRUST_200600_302600_NS6detail15normal_iteratorINS9_10device_ptrIdEEEENS9_16discard_iteratorINS9_11use_defaultEEEd11max_functorIdEdEEDaPvRmT3_T4_T5_mT6_P12ihipStream_tbENKUlT_T0_E_clISt17integral_constantIbLb1EESX_EEDaSS_ST_EUlSS_E_NS1_11comp_targetILNS1_3genE4ELNS1_11target_archE910ELNS1_3gpuE8ELNS1_3repE0EEENS1_30default_config_static_selectorELNS0_4arch9wavefront6targetE1EEEvT1_
	.p2align	8
	.type	_ZN7rocprim17ROCPRIM_400000_NS6detail17trampoline_kernelINS0_14default_configENS1_20scan_config_selectorIdEEZZNS1_9scan_implILNS1_25lookback_scan_determinismE0ELb0ELb0ES3_N6thrust23THRUST_200600_302600_NS6detail15normal_iteratorINS9_10device_ptrIdEEEENS9_16discard_iteratorINS9_11use_defaultEEEd11max_functorIdEdEEDaPvRmT3_T4_T5_mT6_P12ihipStream_tbENKUlT_T0_E_clISt17integral_constantIbLb1EESX_EEDaSS_ST_EUlSS_E_NS1_11comp_targetILNS1_3genE4ELNS1_11target_archE910ELNS1_3gpuE8ELNS1_3repE0EEENS1_30default_config_static_selectorELNS0_4arch9wavefront6targetE1EEEvT1_,@function
_ZN7rocprim17ROCPRIM_400000_NS6detail17trampoline_kernelINS0_14default_configENS1_20scan_config_selectorIdEEZZNS1_9scan_implILNS1_25lookback_scan_determinismE0ELb0ELb0ES3_N6thrust23THRUST_200600_302600_NS6detail15normal_iteratorINS9_10device_ptrIdEEEENS9_16discard_iteratorINS9_11use_defaultEEEd11max_functorIdEdEEDaPvRmT3_T4_T5_mT6_P12ihipStream_tbENKUlT_T0_E_clISt17integral_constantIbLb1EESX_EEDaSS_ST_EUlSS_E_NS1_11comp_targetILNS1_3genE4ELNS1_11target_archE910ELNS1_3gpuE8ELNS1_3repE0EEENS1_30default_config_static_selectorELNS0_4arch9wavefront6targetE1EEEvT1_: ; @_ZN7rocprim17ROCPRIM_400000_NS6detail17trampoline_kernelINS0_14default_configENS1_20scan_config_selectorIdEEZZNS1_9scan_implILNS1_25lookback_scan_determinismE0ELb0ELb0ES3_N6thrust23THRUST_200600_302600_NS6detail15normal_iteratorINS9_10device_ptrIdEEEENS9_16discard_iteratorINS9_11use_defaultEEEd11max_functorIdEdEEDaPvRmT3_T4_T5_mT6_P12ihipStream_tbENKUlT_T0_E_clISt17integral_constantIbLb1EESX_EEDaSS_ST_EUlSS_E_NS1_11comp_targetILNS1_3genE4ELNS1_11target_archE910ELNS1_3gpuE8ELNS1_3repE0EEENS1_30default_config_static_selectorELNS0_4arch9wavefront6targetE1EEEvT1_
; %bb.0:
	s_load_dwordx2 s[6:7], s[4:5], 0x20
	s_load_dwordx2 s[20:21], s[4:5], 0x38
	v_cmp_ne_u32_e64 s[0:1], 0, v0
	v_cmp_eq_u32_e64 s[2:3], 0, v0
	s_and_saveexec_b64 s[8:9], s[2:3]
	s_cbranch_execz .LBB3010_4
; %bb.1:
	s_mov_b64 s[12:13], exec
	v_mbcnt_lo_u32_b32 v1, s12, 0
	v_mbcnt_hi_u32_b32 v1, s13, v1
	v_cmp_eq_u32_e32 vcc, 0, v1
                                        ; implicit-def: $vgpr2
	s_and_saveexec_b64 s[10:11], vcc
	s_cbranch_execz .LBB3010_3
; %bb.2:
	s_load_dwordx2 s[14:15], s[4:5], 0x68
	s_bcnt1_i32_b64 s12, s[12:13]
	v_mov_b32_e32 v2, 0
	v_mov_b32_e32 v3, s12
	s_waitcnt lgkmcnt(0)
	global_atomic_add v2, v2, v3, s[14:15] glc
.LBB3010_3:
	s_or_b64 exec, exec, s[10:11]
	s_waitcnt vmcnt(0)
	v_readfirstlane_b32 s10, v2
	v_add_u32_e32 v1, s10, v1
	v_mov_b32_e32 v2, 0
	ds_write_b32 v2, v1
.LBB3010_4:
	s_or_b64 exec, exec, s[8:9]
	v_mov_b32_e32 v3, 0
	s_load_dwordx4 s[16:19], s[4:5], 0x0
	s_load_dword s22, s[4:5], 0x40
	s_load_dwordx8 s[8:15], s[4:5], 0x48
	s_waitcnt lgkmcnt(0)
	s_barrier
	ds_read_b32 v1, v3
	s_lshl_b64 s[4:5], s[18:19], 3
	s_add_u32 s4, s16, s4
	s_movk_i32 s16, 0x500
	s_addc_u32 s5, s17, s5
	s_waitcnt lgkmcnt(0)
	v_mul_lo_u32 v2, v1, s16
	s_add_i32 s16, s22, -1
	s_mul_i32 s17, s16, 0x500
	s_sub_u32 s24, s6, s17
	v_readfirstlane_b32 s26, v1
	s_subb_u32 s25, s7, 0
	v_lshlrev_b64 v[2:3], 3, v[2:3]
	s_cmp_lg_u32 s26, s16
	v_mov_b32_e32 v1, s5
	v_add_co_u32_e32 v36, vcc, s4, v2
	s_cselect_b64 s[16:17], -1, 0
	v_addc_co_u32_e32 v37, vcc, v1, v3, vcc
	s_mov_b64 s[4:5], -1
	s_and_b64 vcc, exec, s[16:17]
	s_barrier
	s_cbranch_vccz .LBB3010_6
; %bb.5:
	v_lshlrev_b32_e32 v1, 3, v0
	v_add_co_u32_e32 v2, vcc, v36, v1
	v_addc_co_u32_e32 v3, vcc, 0, v37, vcc
	v_add_co_u32_e32 v12, vcc, 0x1000, v2
	v_addc_co_u32_e32 v13, vcc, 0, v3, vcc
	flat_load_dwordx2 v[4:5], v[2:3]
	flat_load_dwordx2 v[6:7], v[2:3] offset:1024
	flat_load_dwordx2 v[8:9], v[2:3] offset:2048
	;; [unrolled: 1-line block ×3, first 2 shown]
	v_add_co_u32_e32 v2, vcc, 0x2000, v2
	v_addc_co_u32_e32 v3, vcc, 0, v3, vcc
	flat_load_dwordx2 v[14:15], v[12:13]
	flat_load_dwordx2 v[16:17], v[12:13] offset:1024
	flat_load_dwordx2 v[18:19], v[12:13] offset:2048
	;; [unrolled: 1-line block ×3, first 2 shown]
	s_nop 0
	flat_load_dwordx2 v[12:13], v[2:3]
	flat_load_dwordx2 v[22:23], v[2:3] offset:1024
	s_mov_b64 s[4:5], 0
	s_waitcnt vmcnt(0) lgkmcnt(0)
	ds_write2st64_b64 v1, v[4:5], v[6:7] offset1:2
	ds_write2st64_b64 v1, v[8:9], v[10:11] offset0:4 offset1:6
	ds_write2st64_b64 v1, v[14:15], v[16:17] offset0:8 offset1:10
	;; [unrolled: 1-line block ×4, first 2 shown]
	s_waitcnt lgkmcnt(0)
	s_barrier
.LBB3010_6:
	s_andn2_b64 vcc, exec, s[4:5]
	s_cbranch_vccnz .LBB3010_28
; %bb.7:
	flat_load_dwordx2 v[2:3], v[36:37]
	v_cmp_gt_u32_e32 vcc, s24, v0
	s_waitcnt vmcnt(0) lgkmcnt(0)
	v_mov_b32_e32 v4, v2
	v_mov_b32_e32 v5, v3
	;; [unrolled: 1-line block ×16, first 2 shown]
	v_pk_mov_b32 v[34:35], v[30:31], v[30:31] op_sel:[0,1]
	v_pk_mov_b32 v[32:33], v[28:29], v[28:29] op_sel:[0,1]
	v_pk_mov_b32 v[30:31], v[26:27], v[26:27] op_sel:[0,1]
	v_pk_mov_b32 v[28:29], v[24:25], v[24:25] op_sel:[0,1]
	v_pk_mov_b32 v[26:27], v[22:23], v[22:23] op_sel:[0,1]
	v_pk_mov_b32 v[24:25], v[20:21], v[20:21] op_sel:[0,1]
	v_pk_mov_b32 v[22:23], v[18:19], v[18:19] op_sel:[0,1]
	v_pk_mov_b32 v[20:21], v[16:17], v[16:17] op_sel:[0,1]
	v_pk_mov_b32 v[18:19], v[14:15], v[14:15] op_sel:[0,1]
	v_pk_mov_b32 v[16:17], v[12:13], v[12:13] op_sel:[0,1]
	v_pk_mov_b32 v[14:15], v[10:11], v[10:11] op_sel:[0,1]
	v_pk_mov_b32 v[12:13], v[8:9], v[8:9] op_sel:[0,1]
	v_pk_mov_b32 v[10:11], v[6:7], v[6:7] op_sel:[0,1]
	v_pk_mov_b32 v[8:9], v[4:5], v[4:5] op_sel:[0,1]
	v_pk_mov_b32 v[6:7], v[2:3], v[2:3] op_sel:[0,1]
	v_pk_mov_b32 v[4:5], v[0:1], v[0:1] op_sel:[0,1]
	s_and_saveexec_b64 s[4:5], vcc
	s_cbranch_execz .LBB3010_9
; %bb.8:
	v_lshlrev_b32_e32 v1, 3, v0
	v_add_co_u32_e32 v4, vcc, v36, v1
	v_addc_co_u32_e32 v5, vcc, 0, v37, vcc
	flat_load_dwordx2 v[38:39], v[4:5]
	v_mov_b32_e32 v4, v2
	v_mov_b32_e32 v5, v3
	;; [unrolled: 1-line block ×16, first 2 shown]
	v_pk_mov_b32 v[34:35], v[30:31], v[30:31] op_sel:[0,1]
	v_pk_mov_b32 v[32:33], v[28:29], v[28:29] op_sel:[0,1]
	;; [unrolled: 1-line block ×16, first 2 shown]
	s_waitcnt vmcnt(0) lgkmcnt(0)
	v_pk_mov_b32 v[2:3], v[38:39], v[38:39] op_sel:[0,1]
.LBB3010_9:
	s_or_b64 exec, exec, s[4:5]
	v_or_b32_e32 v1, 0x80, v0
	v_cmp_gt_u32_e32 vcc, s24, v1
	s_and_saveexec_b64 s[4:5], vcc
	s_cbranch_execz .LBB3010_11
; %bb.10:
	v_lshlrev_b32_e32 v1, 3, v0
	v_add_co_u32_e32 v4, vcc, v36, v1
	v_addc_co_u32_e32 v5, vcc, 0, v37, vcc
	flat_load_dwordx2 v[6:7], v[4:5] offset:1024
.LBB3010_11:
	s_or_b64 exec, exec, s[4:5]
	v_or_b32_e32 v1, 0x100, v0
	v_cmp_gt_u32_e32 vcc, s24, v1
	s_and_saveexec_b64 s[4:5], vcc
	s_cbranch_execz .LBB3010_13
; %bb.12:
	v_lshlrev_b32_e32 v1, 3, v0
	v_add_co_u32_e32 v4, vcc, v36, v1
	v_addc_co_u32_e32 v5, vcc, 0, v37, vcc
	flat_load_dwordx2 v[8:9], v[4:5] offset:2048
.LBB3010_13:
	s_or_b64 exec, exec, s[4:5]
	v_or_b32_e32 v1, 0x180, v0
	v_cmp_gt_u32_e32 vcc, s24, v1
	s_and_saveexec_b64 s[4:5], vcc
	s_cbranch_execz .LBB3010_15
; %bb.14:
	v_lshlrev_b32_e32 v1, 3, v0
	v_add_co_u32_e32 v4, vcc, v36, v1
	v_addc_co_u32_e32 v5, vcc, 0, v37, vcc
	flat_load_dwordx2 v[10:11], v[4:5] offset:3072
.LBB3010_15:
	s_or_b64 exec, exec, s[4:5]
	v_or_b32_e32 v1, 0x200, v0
	v_cmp_gt_u32_e32 vcc, s24, v1
	s_and_saveexec_b64 s[4:5], vcc
	s_cbranch_execz .LBB3010_17
; %bb.16:
	v_lshlrev_b32_e32 v1, 3, v1
	v_add_co_u32_e32 v4, vcc, v36, v1
	v_addc_co_u32_e32 v5, vcc, 0, v37, vcc
	flat_load_dwordx2 v[12:13], v[4:5]
.LBB3010_17:
	s_or_b64 exec, exec, s[4:5]
	v_or_b32_e32 v1, 0x280, v0
	v_cmp_gt_u32_e32 vcc, s24, v1
	s_and_saveexec_b64 s[4:5], vcc
	s_cbranch_execz .LBB3010_19
; %bb.18:
	v_lshlrev_b32_e32 v1, 3, v1
	v_add_co_u32_e32 v4, vcc, v36, v1
	v_addc_co_u32_e32 v5, vcc, 0, v37, vcc
	flat_load_dwordx2 v[14:15], v[4:5]
.LBB3010_19:
	;; [unrolled: 11-line block ×6, first 2 shown]
	s_or_b64 exec, exec, s[4:5]
	v_lshlrev_b32_e32 v1, 3, v0
	s_waitcnt vmcnt(0) lgkmcnt(0)
	ds_write2st64_b64 v1, v[2:3], v[6:7] offset1:2
	ds_write2st64_b64 v1, v[8:9], v[10:11] offset0:4 offset1:6
	ds_write2st64_b64 v1, v[12:13], v[14:15] offset0:8 offset1:10
	;; [unrolled: 1-line block ×4, first 2 shown]
	s_waitcnt lgkmcnt(0)
	s_barrier
.LBB3010_28:
	v_mul_u32_u24_e32 v42, 10, v0
	v_lshlrev_b32_e32 v43, 3, v42
	ds_read_b128 v[2:5], v43
	ds_read_b128 v[14:17], v43 offset:16
	ds_read_b128 v[10:13], v43 offset:32
	ds_read_b128 v[6:9], v43 offset:48
	ds_read_b128 v[18:21], v43 offset:64
	s_cmp_lg_u32 s26, 0
	v_mbcnt_lo_u32_b32 v1, -1, 0
	s_waitcnt lgkmcnt(0)
	s_barrier
	s_cbranch_scc0 .LBB3010_89
; %bb.29:
	v_cmp_lt_f64_e32 vcc, v[2:3], v[4:5]
	v_cndmask_b32_e32 v23, v3, v5, vcc
	v_cndmask_b32_e32 v22, v2, v4, vcc
	v_cmp_lt_f64_e32 vcc, v[22:23], v[14:15]
	v_cndmask_b32_e32 v23, v23, v15, vcc
	v_cndmask_b32_e32 v22, v22, v14, vcc
	;; [unrolled: 3-line block ×8, first 2 shown]
	v_cmp_lt_f64_e32 vcc, v[22:23], v[20:21]
	v_mbcnt_hi_u32_b32 v33, -1, v1
	v_cndmask_b32_e32 v23, v23, v21, vcc
	v_cndmask_b32_e32 v22, v22, v20, vcc
	v_and_b32_e32 v26, 15, v33
	v_mov_b32_dpp v25, v23 row_shr:1 row_mask:0xf bank_mask:0xf
	v_mov_b32_dpp v24, v22 row_shr:1 row_mask:0xf bank_mask:0xf
	v_cmp_ne_u32_e32 vcc, 0, v26
	s_and_saveexec_b64 s[4:5], vcc
; %bb.30:
	v_cmp_gt_f64_e32 vcc, v[22:23], v[24:25]
	v_cndmask_b32_e32 v23, v25, v23, vcc
	v_cndmask_b32_e32 v22, v24, v22, vcc
; %bb.31:
	s_or_b64 exec, exec, s[4:5]
	s_nop 0
	v_mov_b32_dpp v24, v22 row_shr:2 row_mask:0xf bank_mask:0xf
	v_mov_b32_dpp v25, v23 row_shr:2 row_mask:0xf bank_mask:0xf
	v_cmp_lt_u32_e32 vcc, 1, v26
	s_and_saveexec_b64 s[4:5], vcc
; %bb.32:
	v_cmp_gt_f64_e32 vcc, v[22:23], v[24:25]
	v_cndmask_b32_e32 v23, v25, v23, vcc
	v_cndmask_b32_e32 v22, v24, v22, vcc
; %bb.33:
	s_or_b64 exec, exec, s[4:5]
	s_nop 0
	v_mov_b32_dpp v24, v22 row_shr:4 row_mask:0xf bank_mask:0xf
	v_mov_b32_dpp v25, v23 row_shr:4 row_mask:0xf bank_mask:0xf
	v_cmp_lt_u32_e32 vcc, 3, v26
	;; [unrolled: 11-line block ×3, first 2 shown]
	s_and_saveexec_b64 s[4:5], vcc
; %bb.36:
	v_cmp_gt_f64_e32 vcc, v[22:23], v[24:25]
	v_cndmask_b32_e32 v23, v25, v23, vcc
	v_cndmask_b32_e32 v22, v24, v22, vcc
; %bb.37:
	s_or_b64 exec, exec, s[4:5]
	v_and_b32_e32 v26, 16, v33
	v_mov_b32_dpp v24, v22 row_bcast:15 row_mask:0xf bank_mask:0xf
	v_mov_b32_dpp v25, v23 row_bcast:15 row_mask:0xf bank_mask:0xf
	v_cmp_ne_u32_e32 vcc, 0, v26
	s_and_saveexec_b64 s[4:5], vcc
; %bb.38:
	v_cmp_gt_f64_e32 vcc, v[22:23], v[24:25]
	v_cndmask_b32_e32 v23, v25, v23, vcc
	v_cndmask_b32_e32 v22, v24, v22, vcc
; %bb.39:
	s_or_b64 exec, exec, s[4:5]
	s_nop 0
	v_mov_b32_dpp v24, v22 row_bcast:31 row_mask:0xf bank_mask:0xf
	v_mov_b32_dpp v25, v23 row_bcast:31 row_mask:0xf bank_mask:0xf
	v_cmp_gt_f64_e32 vcc, v[22:23], v[24:25]
	v_cndmask_b32_e32 v24, v24, v22, vcc
	v_cndmask_b32_e32 v25, v25, v23, vcc
	v_cmp_lt_u32_e32 vcc, 31, v33
	v_cndmask_b32_e32 v23, v23, v25, vcc
	v_or_b32_e32 v25, 63, v0
	v_cndmask_b32_e32 v22, v22, v24, vcc
	v_lshrrev_b32_e32 v24, 6, v0
	v_cmp_eq_u32_e32 vcc, v25, v0
	s_and_saveexec_b64 s[4:5], vcc
	s_cbranch_execz .LBB3010_41
; %bb.40:
	v_lshlrev_b32_e32 v25, 3, v24
	ds_write_b64 v25, v[22:23]
.LBB3010_41:
	s_or_b64 exec, exec, s[4:5]
	v_cmp_gt_u32_e32 vcc, 2, v0
	s_waitcnt lgkmcnt(0)
	s_barrier
	s_and_saveexec_b64 s[6:7], vcc
	s_cbranch_execz .LBB3010_43
; %bb.42:
	v_lshlrev_b32_e32 v25, 3, v0
	ds_read_b64 v[26:27], v25
	v_and_b32_e32 v28, 1, v33
	v_cmp_eq_u32_e32 vcc, 0, v28
	s_waitcnt lgkmcnt(0)
	v_mov_b32_dpp v30, v27 row_shr:1 row_mask:0xf bank_mask:0xf
	v_mov_b32_dpp v28, v26 row_shr:1 row_mask:0xf bank_mask:0xf
	v_mov_b32_e32 v29, v30
	v_cmp_gt_f64_e64 s[4:5], v[26:27], v[28:29]
	s_or_b64 vcc, vcc, s[4:5]
	v_cndmask_b32_e32 v27, v30, v27, vcc
	v_cndmask_b32_e32 v26, v28, v26, vcc
	ds_write_b64 v25, v[26:27]
.LBB3010_43:
	s_or_b64 exec, exec, s[6:7]
	v_cmp_gt_u32_e32 vcc, 64, v0
	v_cmp_lt_u32_e64 s[4:5], 63, v0
	s_waitcnt lgkmcnt(0)
	s_barrier
	s_waitcnt lgkmcnt(0)
                                        ; implicit-def: $vgpr30_vgpr31
	s_and_saveexec_b64 s[6:7], s[4:5]
	s_cbranch_execz .LBB3010_45
; %bb.44:
	v_lshl_add_u32 v24, v24, 3, -8
	ds_read_b64 v[30:31], v24
	s_waitcnt lgkmcnt(0)
	v_cmp_lt_f64_e64 s[4:5], v[30:31], v[22:23]
	v_cndmask_b32_e64 v23, v31, v23, s[4:5]
	v_cndmask_b32_e64 v22, v30, v22, s[4:5]
.LBB3010_45:
	s_or_b64 exec, exec, s[6:7]
	v_add_u32_e32 v24, -1, v33
	v_and_b32_e32 v25, 64, v33
	v_cmp_lt_i32_e64 s[4:5], v24, v25
	v_cndmask_b32_e64 v24, v24, v33, s[4:5]
	v_lshlrev_b32_e32 v24, 2, v24
	ds_bpermute_b32 v38, v24, v22
	ds_bpermute_b32 v39, v24, v23
	v_cmp_eq_u32_e64 s[4:5], 0, v33
	s_and_saveexec_b64 s[18:19], vcc
	s_cbranch_execz .LBB3010_88
; %bb.46:
	v_mov_b32_e32 v25, 0
	ds_read_b64 v[22:23], v25 offset:8
	s_and_saveexec_b64 s[6:7], s[4:5]
	s_cbranch_execz .LBB3010_48
; %bb.47:
	s_add_i32 s22, s26, 64
	s_mov_b32 s23, 0
	s_lshl_b64 s[22:23], s[22:23], 4
	s_add_u32 s22, s20, s22
	s_addc_u32 s23, s21, s23
	v_mov_b32_e32 v24, 1
	v_pk_mov_b32 v[26:27], s[22:23], s[22:23] op_sel:[0,1]
	s_waitcnt lgkmcnt(0)
	;;#ASMSTART
	global_store_dwordx4 v[26:27], v[22:25] off	
s_waitcnt vmcnt(0)
	;;#ASMEND
.LBB3010_48:
	s_or_b64 exec, exec, s[6:7]
	v_xad_u32 v32, v33, -1, s26
	v_add_u32_e32 v24, 64, v32
	v_lshlrev_b64 v[26:27], 4, v[24:25]
	v_mov_b32_e32 v24, s21
	v_add_co_u32_e32 v34, vcc, s20, v26
	v_addc_co_u32_e32 v35, vcc, v24, v27, vcc
	;;#ASMSTART
	global_load_dwordx4 v[26:29], v[34:35] off glc	
s_waitcnt vmcnt(0)
	;;#ASMEND
	v_and_b32_e32 v24, 0xff, v27
	v_and_b32_e32 v29, 0xff00, v27
	v_or3_b32 v24, 0, v24, v29
	v_or3_b32 v26, v26, 0, 0
	v_and_b32_e32 v29, 0xff000000, v27
	v_and_b32_e32 v27, 0xff0000, v27
	v_or3_b32 v27, v24, v27, v29
	v_or3_b32 v26, v26, 0, 0
	v_cmp_eq_u16_sdwa s[22:23], v28, v25 src0_sel:BYTE_0 src1_sel:DWORD
	s_and_saveexec_b64 s[6:7], s[22:23]
	s_cbranch_execz .LBB3010_54
; %bb.49:
	s_mov_b32 s27, 1
	s_mov_b64 s[22:23], 0
	v_mov_b32_e32 v24, 0
.LBB3010_50:                            ; =>This Loop Header: Depth=1
                                        ;     Child Loop BB3010_51 Depth 2
	s_max_u32 s28, s27, 1
.LBB3010_51:                            ;   Parent Loop BB3010_50 Depth=1
                                        ; =>  This Inner Loop Header: Depth=2
	s_add_i32 s28, s28, -1
	s_cmp_eq_u32 s28, 0
	s_sleep 1
	s_cbranch_scc0 .LBB3010_51
; %bb.52:                               ;   in Loop: Header=BB3010_50 Depth=1
	s_cmp_lt_u32 s27, 32
	s_cselect_b64 s[28:29], -1, 0
	s_cmp_lg_u64 s[28:29], 0
	s_addc_u32 s27, s27, 0
	;;#ASMSTART
	global_load_dwordx4 v[26:29], v[34:35] off glc	
s_waitcnt vmcnt(0)
	;;#ASMEND
	v_cmp_ne_u16_sdwa s[28:29], v28, v24 src0_sel:BYTE_0 src1_sel:DWORD
	s_or_b64 s[22:23], s[28:29], s[22:23]
	s_andn2_b64 exec, exec, s[22:23]
	s_cbranch_execnz .LBB3010_50
; %bb.53:
	s_or_b64 exec, exec, s[22:23]
.LBB3010_54:
	s_or_b64 exec, exec, s[6:7]
	v_and_b32_e32 v40, 63, v33
	v_mov_b32_e32 v24, 2
	v_cmp_ne_u32_e32 vcc, 63, v40
	v_cmp_eq_u16_sdwa s[6:7], v28, v24 src0_sel:BYTE_0 src1_sel:DWORD
	v_lshlrev_b64 v[24:25], v33, -1
	v_addc_co_u32_e32 v34, vcc, 0, v33, vcc
	v_and_b32_e32 v29, s7, v25
	v_lshlrev_b32_e32 v41, 2, v34
	v_or_b32_e32 v29, 0x80000000, v29
	ds_bpermute_b32 v34, v41, v26
	ds_bpermute_b32 v35, v41, v27
	v_and_b32_e32 v36, s6, v24
	v_ffbl_b32_e32 v29, v29
	v_add_u32_e32 v29, 32, v29
	v_ffbl_b32_e32 v36, v36
	v_min_u32_e32 v29, v36, v29
	v_cmp_lt_u32_e32 vcc, v40, v29
	s_and_saveexec_b64 s[6:7], vcc
	s_cbranch_execz .LBB3010_56
; %bb.55:
	s_waitcnt lgkmcnt(0)
	v_cmp_lt_f64_e32 vcc, v[34:35], v[26:27]
	v_cndmask_b32_e32 v27, v35, v27, vcc
	v_cndmask_b32_e32 v26, v34, v26, vcc
.LBB3010_56:
	s_or_b64 exec, exec, s[6:7]
	v_cmp_gt_u32_e32 vcc, 62, v40
	s_waitcnt lgkmcnt(1)
	v_cndmask_b32_e64 v34, 0, 1, vcc
	v_lshlrev_b32_e32 v34, 1, v34
	v_add_lshl_u32 v44, v34, v33, 2
	ds_bpermute_b32 v34, v44, v26
	s_waitcnt lgkmcnt(1)
	ds_bpermute_b32 v35, v44, v27
	v_add_u32_e32 v45, 2, v40
	v_cmp_le_u32_e32 vcc, v45, v29
	s_and_saveexec_b64 s[6:7], vcc
	s_cbranch_execz .LBB3010_58
; %bb.57:
	s_waitcnt lgkmcnt(0)
	v_cmp_gt_f64_e32 vcc, v[26:27], v[34:35]
	v_cndmask_b32_e32 v27, v35, v27, vcc
	v_cndmask_b32_e32 v26, v34, v26, vcc
.LBB3010_58:
	s_or_b64 exec, exec, s[6:7]
	v_cmp_gt_u32_e32 vcc, 60, v40
	s_waitcnt lgkmcnt(1)
	v_cndmask_b32_e64 v34, 0, 1, vcc
	v_lshlrev_b32_e32 v34, 2, v34
	v_add_lshl_u32 v46, v34, v33, 2
	ds_bpermute_b32 v34, v46, v26
	s_waitcnt lgkmcnt(1)
	ds_bpermute_b32 v35, v46, v27
	v_add_u32_e32 v47, 4, v40
	v_cmp_le_u32_e32 vcc, v47, v29
	s_and_saveexec_b64 s[6:7], vcc
	s_cbranch_execz .LBB3010_60
; %bb.59:
	s_waitcnt lgkmcnt(0)
	v_cmp_gt_f64_e32 vcc, v[26:27], v[34:35]
	v_cndmask_b32_e32 v27, v35, v27, vcc
	v_cndmask_b32_e32 v26, v34, v26, vcc
.LBB3010_60:
	;; [unrolled: 19-line block ×4, first 2 shown]
	s_or_b64 exec, exec, s[6:7]
	v_cmp_gt_u32_e32 vcc, 32, v40
	s_waitcnt lgkmcnt(1)
	v_cndmask_b32_e64 v34, 0, 1, vcc
	v_lshlrev_b32_e32 v34, 5, v34
	v_add_lshl_u32 v52, v34, v33, 2
	ds_bpermute_b32 v34, v52, v27
	ds_bpermute_b32 v36, v52, v26
	v_add_u32_e32 v53, 32, v40
	v_cmp_gt_u32_e32 vcc, v53, v29
	v_mov_b32_e32 v33, 0
	s_waitcnt lgkmcnt(1)
	v_mov_b32_e32 v37, v34
	s_waitcnt lgkmcnt(0)
	v_cmp_gt_f64_e64 s[6:7], v[26:27], v[36:37]
	s_or_b64 vcc, vcc, s[6:7]
	v_cndmask_b32_e32 v27, v34, v27, vcc
	v_cndmask_b32_e32 v26, v36, v26, vcc
	v_mov_b32_e32 v54, 2
	s_branch .LBB3010_66
.LBB3010_65:                            ;   in Loop: Header=BB3010_66 Depth=1
	s_or_b64 exec, exec, s[6:7]
	s_waitcnt lgkmcnt(1)
	ds_bpermute_b32 v36, v52, v27
	ds_bpermute_b32 v56, v52, v26
	v_cmp_gt_u32_e32 vcc, v53, v29
	v_subrev_u32_e32 v32, 64, v32
	s_waitcnt lgkmcnt(1)
	v_mov_b32_e32 v57, v36
	s_waitcnt lgkmcnt(0)
	v_cmp_gt_f64_e64 s[6:7], v[26:27], v[56:57]
	s_or_b64 vcc, vcc, s[6:7]
	v_cndmask_b32_e32 v27, v36, v27, vcc
	v_cndmask_b32_e32 v26, v56, v26, vcc
	v_cmp_lt_f64_e32 vcc, v[26:27], v[34:35]
	v_cndmask_b32_e32 v27, v27, v35, vcc
	v_cndmask_b32_e32 v26, v26, v34, vcc
.LBB3010_66:                            ; =>This Loop Header: Depth=1
                                        ;     Child Loop BB3010_69 Depth 2
                                        ;       Child Loop BB3010_70 Depth 3
	v_cmp_ne_u16_sdwa s[6:7], v28, v54 src0_sel:BYTE_0 src1_sel:DWORD
	v_cndmask_b32_e64 v28, 0, 1, s[6:7]
	;;#ASMSTART
	;;#ASMEND
	v_cmp_ne_u32_e32 vcc, 0, v28
	s_cmp_lg_u64 vcc, exec
	v_pk_mov_b32 v[34:35], v[26:27], v[26:27] op_sel:[0,1]
	s_cbranch_scc1 .LBB3010_83
; %bb.67:                               ;   in Loop: Header=BB3010_66 Depth=1
	v_lshlrev_b64 v[26:27], 4, v[32:33]
	v_mov_b32_e32 v28, s21
	v_add_co_u32_e32 v36, vcc, s20, v26
	v_addc_co_u32_e32 v37, vcc, v28, v27, vcc
	;;#ASMSTART
	global_load_dwordx4 v[26:29], v[36:37] off glc	
s_waitcnt vmcnt(0)
	;;#ASMEND
	v_and_b32_e32 v29, 0xff, v27
	v_and_b32_e32 v55, 0xff00, v27
	v_or3_b32 v29, 0, v29, v55
	v_or3_b32 v26, v26, 0, 0
	v_and_b32_e32 v55, 0xff000000, v27
	v_and_b32_e32 v27, 0xff0000, v27
	v_or3_b32 v27, v29, v27, v55
	v_or3_b32 v26, v26, 0, 0
	v_cmp_eq_u16_sdwa s[22:23], v28, v33 src0_sel:BYTE_0 src1_sel:DWORD
	s_and_saveexec_b64 s[6:7], s[22:23]
	s_cbranch_execz .LBB3010_73
; %bb.68:                               ;   in Loop: Header=BB3010_66 Depth=1
	s_mov_b32 s27, 1
	s_mov_b64 s[22:23], 0
.LBB3010_69:                            ;   Parent Loop BB3010_66 Depth=1
                                        ; =>  This Loop Header: Depth=2
                                        ;       Child Loop BB3010_70 Depth 3
	s_max_u32 s28, s27, 1
.LBB3010_70:                            ;   Parent Loop BB3010_66 Depth=1
                                        ;     Parent Loop BB3010_69 Depth=2
                                        ; =>    This Inner Loop Header: Depth=3
	s_add_i32 s28, s28, -1
	s_cmp_eq_u32 s28, 0
	s_sleep 1
	s_cbranch_scc0 .LBB3010_70
; %bb.71:                               ;   in Loop: Header=BB3010_69 Depth=2
	s_cmp_lt_u32 s27, 32
	s_cselect_b64 s[28:29], -1, 0
	s_cmp_lg_u64 s[28:29], 0
	s_addc_u32 s27, s27, 0
	;;#ASMSTART
	global_load_dwordx4 v[26:29], v[36:37] off glc	
s_waitcnt vmcnt(0)
	;;#ASMEND
	v_cmp_ne_u16_sdwa s[28:29], v28, v33 src0_sel:BYTE_0 src1_sel:DWORD
	s_or_b64 s[22:23], s[28:29], s[22:23]
	s_andn2_b64 exec, exec, s[22:23]
	s_cbranch_execnz .LBB3010_69
; %bb.72:                               ;   in Loop: Header=BB3010_66 Depth=1
	s_or_b64 exec, exec, s[22:23]
.LBB3010_73:                            ;   in Loop: Header=BB3010_66 Depth=1
	s_or_b64 exec, exec, s[6:7]
	v_cmp_eq_u16_sdwa s[6:7], v28, v54 src0_sel:BYTE_0 src1_sel:DWORD
	v_and_b32_e32 v29, s7, v25
	v_or_b32_e32 v29, 0x80000000, v29
	ds_bpermute_b32 v36, v41, v26
	ds_bpermute_b32 v37, v41, v27
	v_and_b32_e32 v55, s6, v24
	v_ffbl_b32_e32 v29, v29
	v_add_u32_e32 v29, 32, v29
	v_ffbl_b32_e32 v55, v55
	v_min_u32_e32 v29, v55, v29
	v_cmp_lt_u32_e32 vcc, v40, v29
	s_and_saveexec_b64 s[6:7], vcc
	s_cbranch_execz .LBB3010_75
; %bb.74:                               ;   in Loop: Header=BB3010_66 Depth=1
	s_waitcnt lgkmcnt(0)
	v_cmp_lt_f64_e32 vcc, v[36:37], v[26:27]
	v_cndmask_b32_e32 v27, v37, v27, vcc
	v_cndmask_b32_e32 v26, v36, v26, vcc
.LBB3010_75:                            ;   in Loop: Header=BB3010_66 Depth=1
	s_or_b64 exec, exec, s[6:7]
	s_waitcnt lgkmcnt(1)
	ds_bpermute_b32 v36, v44, v26
	s_waitcnt lgkmcnt(1)
	ds_bpermute_b32 v37, v44, v27
	v_cmp_le_u32_e32 vcc, v45, v29
	s_and_saveexec_b64 s[6:7], vcc
	s_cbranch_execz .LBB3010_77
; %bb.76:                               ;   in Loop: Header=BB3010_66 Depth=1
	s_waitcnt lgkmcnt(0)
	v_cmp_gt_f64_e32 vcc, v[26:27], v[36:37]
	v_cndmask_b32_e32 v27, v37, v27, vcc
	v_cndmask_b32_e32 v26, v36, v26, vcc
.LBB3010_77:                            ;   in Loop: Header=BB3010_66 Depth=1
	s_or_b64 exec, exec, s[6:7]
	s_waitcnt lgkmcnt(1)
	ds_bpermute_b32 v36, v46, v26
	s_waitcnt lgkmcnt(1)
	ds_bpermute_b32 v37, v46, v27
	v_cmp_le_u32_e32 vcc, v47, v29
	s_and_saveexec_b64 s[6:7], vcc
	s_cbranch_execz .LBB3010_79
; %bb.78:                               ;   in Loop: Header=BB3010_66 Depth=1
	s_waitcnt lgkmcnt(0)
	v_cmp_gt_f64_e32 vcc, v[26:27], v[36:37]
	v_cndmask_b32_e32 v27, v37, v27, vcc
	v_cndmask_b32_e32 v26, v36, v26, vcc
.LBB3010_79:                            ;   in Loop: Header=BB3010_66 Depth=1
	;; [unrolled: 14-line block ×3, first 2 shown]
	s_or_b64 exec, exec, s[6:7]
	s_waitcnt lgkmcnt(1)
	ds_bpermute_b32 v36, v50, v26
	s_waitcnt lgkmcnt(1)
	ds_bpermute_b32 v37, v50, v27
	v_cmp_le_u32_e32 vcc, v51, v29
	s_and_saveexec_b64 s[6:7], vcc
	s_cbranch_execz .LBB3010_65
; %bb.82:                               ;   in Loop: Header=BB3010_66 Depth=1
	s_waitcnt lgkmcnt(0)
	v_cmp_gt_f64_e32 vcc, v[26:27], v[36:37]
	v_cndmask_b32_e32 v27, v37, v27, vcc
	v_cndmask_b32_e32 v26, v36, v26, vcc
	s_branch .LBB3010_65
.LBB3010_83:                            ;   in Loop: Header=BB3010_66 Depth=1
                                        ; implicit-def: $vgpr26_vgpr27
                                        ; implicit-def: $vgpr28
	s_cbranch_execz .LBB3010_66
; %bb.84:
	s_and_saveexec_b64 s[6:7], s[4:5]
	s_cbranch_execz .LBB3010_86
; %bb.85:
	s_add_i32 s22, s26, 64
	s_mov_b32 s23, 0
	s_lshl_b64 s[22:23], s[22:23], 4
	s_add_u32 s22, s20, s22
	v_cmp_lt_f64_e32 vcc, v[34:35], v[22:23]
	s_addc_u32 s23, s21, s23
	v_cndmask_b32_e32 v23, v35, v23, vcc
	v_cndmask_b32_e32 v22, v34, v22, vcc
	v_mov_b32_e32 v24, 2
	v_mov_b32_e32 v25, 0
	v_pk_mov_b32 v[26:27], s[22:23], s[22:23] op_sel:[0,1]
	;;#ASMSTART
	global_store_dwordx4 v[26:27], v[22:25] off	
s_waitcnt vmcnt(0)
	;;#ASMEND
.LBB3010_86:
	s_or_b64 exec, exec, s[6:7]
	s_and_b64 exec, exec, s[2:3]
	s_cbranch_execz .LBB3010_88
; %bb.87:
	v_mov_b32_e32 v22, 0
	ds_write_b64 v22, v[34:35] offset:8
.LBB3010_88:
	s_or_b64 exec, exec, s[18:19]
	v_mov_b32_e32 v24, 0
	s_waitcnt lgkmcnt(0)
	s_barrier
	ds_read_b64 v[24:25], v24 offset:8
	v_cndmask_b32_e64 v23, v39, v31, s[4:5]
	v_cndmask_b32_e64 v22, v38, v30, s[4:5]
	v_cmp_lt_f64_e32 vcc, v[22:23], v[2:3]
	s_or_b64 vcc, s[2:3], vcc
	v_cndmask_b32_e32 v23, v23, v3, vcc
	v_cndmask_b32_e32 v22, v22, v2, vcc
	s_waitcnt lgkmcnt(0)
	v_cmp_lt_f64_e32 vcc, v[24:25], v[22:23]
	v_cndmask_b32_e32 v23, v25, v23, vcc
	v_cndmask_b32_e32 v22, v24, v22, vcc
	v_cmp_lt_f64_e32 vcc, v[22:23], v[4:5]
	v_cndmask_b32_e32 v25, v23, v5, vcc
	v_cndmask_b32_e32 v24, v22, v4, vcc
	;; [unrolled: 3-line block ×10, first 2 shown]
	s_branch .LBB3010_113
.LBB3010_89:
                                        ; implicit-def: $vgpr40_vgpr41
                                        ; implicit-def: $vgpr36_vgpr37
                                        ; implicit-def: $vgpr32_vgpr33
                                        ; implicit-def: $vgpr28_vgpr29
                                        ; implicit-def: $vgpr24_vgpr25
	s_cbranch_execz .LBB3010_113
; %bb.90:
	s_cmp_lg_u64 s[12:13], 0
	s_cselect_b64 s[4:5], -1, 0
	s_and_b64 s[4:5], s[2:3], s[4:5]
	s_and_saveexec_b64 s[2:3], s[4:5]
	s_cbranch_execz .LBB3010_92
; %bb.91:
	v_mov_b32_e32 v22, 0
	global_load_dwordx2 v[22:23], v22, s[8:9]
	s_waitcnt vmcnt(0)
	v_cmp_lt_f64_e32 vcc, v[22:23], v[2:3]
	v_cndmask_b32_e32 v3, v23, v3, vcc
	v_cndmask_b32_e32 v2, v22, v2, vcc
.LBB3010_92:
	s_or_b64 exec, exec, s[2:3]
	v_cmp_lt_f64_e32 vcc, v[2:3], v[4:5]
	v_cndmask_b32_e32 v23, v3, v5, vcc
	v_cndmask_b32_e32 v22, v2, v4, vcc
	v_cmp_lt_f64_e32 vcc, v[22:23], v[14:15]
	v_cndmask_b32_e32 v23, v23, v15, vcc
	v_cndmask_b32_e32 v22, v22, v14, vcc
	;; [unrolled: 3-line block ×8, first 2 shown]
	v_cmp_lt_f64_e32 vcc, v[22:23], v[20:21]
	v_mbcnt_hi_u32_b32 v1, -1, v1
	v_cndmask_b32_e32 v23, v23, v21, vcc
	v_cndmask_b32_e32 v22, v22, v20, vcc
	v_and_b32_e32 v26, 15, v1
	v_mov_b32_dpp v25, v23 row_shr:1 row_mask:0xf bank_mask:0xf
	v_mov_b32_dpp v24, v22 row_shr:1 row_mask:0xf bank_mask:0xf
	v_cmp_ne_u32_e32 vcc, 0, v26
	s_and_saveexec_b64 s[2:3], vcc
; %bb.93:
	v_cmp_gt_f64_e32 vcc, v[22:23], v[24:25]
	v_cndmask_b32_e32 v23, v25, v23, vcc
	v_cndmask_b32_e32 v22, v24, v22, vcc
; %bb.94:
	s_or_b64 exec, exec, s[2:3]
	s_nop 0
	v_mov_b32_dpp v24, v22 row_shr:2 row_mask:0xf bank_mask:0xf
	v_mov_b32_dpp v25, v23 row_shr:2 row_mask:0xf bank_mask:0xf
	v_cmp_lt_u32_e32 vcc, 1, v26
	s_and_saveexec_b64 s[2:3], vcc
; %bb.95:
	v_cmp_gt_f64_e32 vcc, v[22:23], v[24:25]
	v_cndmask_b32_e32 v23, v25, v23, vcc
	v_cndmask_b32_e32 v22, v24, v22, vcc
; %bb.96:
	s_or_b64 exec, exec, s[2:3]
	s_nop 0
	v_mov_b32_dpp v24, v22 row_shr:4 row_mask:0xf bank_mask:0xf
	v_mov_b32_dpp v25, v23 row_shr:4 row_mask:0xf bank_mask:0xf
	v_cmp_lt_u32_e32 vcc, 3, v26
	;; [unrolled: 11-line block ×3, first 2 shown]
	s_and_saveexec_b64 s[2:3], vcc
; %bb.99:
	v_cmp_gt_f64_e32 vcc, v[22:23], v[24:25]
	v_cndmask_b32_e32 v23, v25, v23, vcc
	v_cndmask_b32_e32 v22, v24, v22, vcc
; %bb.100:
	s_or_b64 exec, exec, s[2:3]
	v_and_b32_e32 v26, 16, v1
	v_mov_b32_dpp v24, v22 row_bcast:15 row_mask:0xf bank_mask:0xf
	v_mov_b32_dpp v25, v23 row_bcast:15 row_mask:0xf bank_mask:0xf
	v_cmp_ne_u32_e32 vcc, 0, v26
	s_and_saveexec_b64 s[2:3], vcc
; %bb.101:
	v_cmp_gt_f64_e32 vcc, v[22:23], v[24:25]
	v_cndmask_b32_e32 v23, v25, v23, vcc
	v_cndmask_b32_e32 v22, v24, v22, vcc
; %bb.102:
	s_or_b64 exec, exec, s[2:3]
	s_nop 0
	v_mov_b32_dpp v24, v22 row_bcast:31 row_mask:0xf bank_mask:0xf
	v_mov_b32_dpp v25, v23 row_bcast:31 row_mask:0xf bank_mask:0xf
	v_cmp_gt_f64_e32 vcc, v[22:23], v[24:25]
	v_cndmask_b32_e32 v24, v24, v22, vcc
	v_cndmask_b32_e32 v25, v25, v23, vcc
	v_cmp_lt_u32_e32 vcc, 31, v1
	v_cndmask_b32_e32 v22, v22, v24, vcc
	v_or_b32_e32 v24, 63, v0
	v_cndmask_b32_e32 v23, v23, v25, vcc
	v_lshrrev_b32_e32 v26, 6, v0
	v_cmp_eq_u32_e32 vcc, v24, v0
	s_and_saveexec_b64 s[2:3], vcc
	s_cbranch_execz .LBB3010_104
; %bb.103:
	v_lshlrev_b32_e32 v24, 3, v26
	ds_write_b64 v24, v[22:23]
.LBB3010_104:
	s_or_b64 exec, exec, s[2:3]
	v_cmp_gt_u32_e32 vcc, 2, v0
	s_waitcnt lgkmcnt(0)
	s_barrier
	s_and_saveexec_b64 s[4:5], vcc
	s_cbranch_execz .LBB3010_106
; %bb.105:
	s_movk_i32 s2, 0xffb8
	v_mad_i32_i24 v27, v0, s2, v43
	ds_read_b64 v[24:25], v27
	v_and_b32_e32 v28, 1, v1
	v_cmp_eq_u32_e32 vcc, 0, v28
	s_waitcnt lgkmcnt(0)
	v_mov_b32_dpp v30, v25 row_shr:1 row_mask:0xf bank_mask:0xf
	v_mov_b32_dpp v28, v24 row_shr:1 row_mask:0xf bank_mask:0xf
	v_mov_b32_e32 v29, v30
	v_cmp_gt_f64_e64 s[2:3], v[24:25], v[28:29]
	s_or_b64 vcc, vcc, s[2:3]
	v_cndmask_b32_e32 v25, v30, v25, vcc
	v_cndmask_b32_e32 v24, v28, v24, vcc
	ds_write_b64 v27, v[24:25]
.LBB3010_106:
	s_or_b64 exec, exec, s[4:5]
	v_cmp_lt_u32_e32 vcc, 63, v0
	s_waitcnt lgkmcnt(0)
	s_barrier
	s_waitcnt lgkmcnt(0)
                                        ; implicit-def: $vgpr24_vgpr25
	s_and_saveexec_b64 s[2:3], vcc
	s_cbranch_execz .LBB3010_108
; %bb.107:
	v_lshl_add_u32 v24, v26, 3, -8
	ds_read_b64 v[24:25], v24
	s_waitcnt lgkmcnt(0)
	v_cmp_lt_f64_e32 vcc, v[24:25], v[22:23]
	v_cndmask_b32_e32 v23, v25, v23, vcc
	v_cndmask_b32_e32 v22, v24, v22, vcc
.LBB3010_108:
	s_or_b64 exec, exec, s[2:3]
	v_add_u32_e32 v26, -1, v1
	v_and_b32_e32 v27, 64, v1
	v_cmp_lt_i32_e32 vcc, v26, v27
	v_cndmask_b32_e32 v26, v26, v1, vcc
	v_lshlrev_b32_e32 v26, 2, v26
	ds_bpermute_b32 v22, v26, v22
	ds_bpermute_b32 v23, v26, v23
	s_and_saveexec_b64 s[2:3], s[0:1]
	s_cbranch_execz .LBB3010_110
; %bb.109:
	v_cmp_eq_u32_e32 vcc, 0, v1
	s_waitcnt lgkmcnt(0)
	v_cndmask_b32_e32 v23, v23, v25, vcc
	v_cndmask_b32_e32 v22, v22, v24, vcc
	v_cmp_gt_f64_e32 vcc, v[2:3], v[22:23]
	v_cndmask_b32_e32 v3, v23, v3, vcc
	v_cndmask_b32_e32 v2, v22, v2, vcc
	;;#ASMSTART
	;;#ASMEND
.LBB3010_110:
	s_or_b64 exec, exec, s[2:3]
	v_cmp_gt_f64_e32 vcc, v[4:5], v[2:3]
	v_cndmask_b32_e32 v25, v3, v5, vcc
	v_cndmask_b32_e32 v24, v2, v4, vcc
	v_cmp_lt_f64_e32 vcc, v[24:25], v[14:15]
	v_cndmask_b32_e32 v27, v25, v15, vcc
	v_cndmask_b32_e32 v26, v24, v14, vcc
	v_cmp_lt_f64_e32 vcc, v[26:27], v[16:17]
	v_cndmask_b32_e32 v29, v27, v17, vcc
	v_cndmask_b32_e32 v28, v26, v16, vcc
	v_cmp_lt_f64_e32 vcc, v[28:29], v[10:11]
	v_cndmask_b32_e32 v31, v29, v11, vcc
	v_cndmask_b32_e32 v30, v28, v10, vcc
	v_cmp_lt_f64_e32 vcc, v[30:31], v[12:13]
	v_cndmask_b32_e32 v33, v31, v13, vcc
	v_cndmask_b32_e32 v32, v30, v12, vcc
	v_cmp_lt_f64_e32 vcc, v[32:33], v[6:7]
	v_cndmask_b32_e32 v35, v33, v7, vcc
	v_cndmask_b32_e32 v34, v32, v6, vcc
	v_cmp_lt_f64_e32 vcc, v[34:35], v[8:9]
	v_cndmask_b32_e32 v37, v35, v9, vcc
	v_cndmask_b32_e32 v36, v34, v8, vcc
	v_cmp_lt_f64_e32 vcc, v[36:37], v[18:19]
	v_cndmask_b32_e32 v39, v37, v19, vcc
	v_cndmask_b32_e32 v38, v36, v18, vcc
	v_cmp_lt_f64_e32 vcc, v[38:39], v[20:21]
	s_movk_i32 s0, 0x7f
	v_cndmask_b32_e32 v41, v39, v21, vcc
	v_cndmask_b32_e32 v40, v38, v20, vcc
	v_cmp_eq_u32_e32 vcc, s0, v0
	s_and_saveexec_b64 s[0:1], vcc
	s_cbranch_execz .LBB3010_112
; %bb.111:
	s_add_u32 s2, s20, 0x400
	s_addc_u32 s3, s21, 0
	v_mov_b32_e32 v6, 2
	v_mov_b32_e32 v7, 0
	;; [unrolled: 1-line block ×4, first 2 shown]
	v_pk_mov_b32 v[8:9], s[2:3], s[2:3] op_sel:[0,1]
	;;#ASMSTART
	global_store_dwordx4 v[8:9], v[4:7] off	
s_waitcnt vmcnt(0)
	;;#ASMEND
.LBB3010_112:
	s_or_b64 exec, exec, s[0:1]
	s_waitcnt lgkmcnt(0)
	v_pk_mov_b32 v[22:23], v[2:3], v[2:3] op_sel:[0,1]
.LBB3010_113:
	s_mov_b64 s[0:1], -1
	s_and_b64 vcc, exec, s[16:17]
	s_barrier
	ds_write_b128 v43, v[22:25]
	ds_write_b128 v43, v[26:29] offset:16
	ds_write_b128 v43, v[30:33] offset:32
	;; [unrolled: 1-line block ×4, first 2 shown]
	s_waitcnt lgkmcnt(0)
	s_cbranch_vccz .LBB3010_115
; %bb.114:
	s_barrier
	s_mov_b64 s[0:1], 0
.LBB3010_115:
	s_andn2_b64 vcc, exec, s[0:1]
	s_cbranch_vccnz .LBB3010_151
; %bb.116:
	v_cmp_lt_u64_e64 s[0:1], s[14:15], 2
	s_and_b64 vcc, exec, s[0:1]
	s_barrier
	s_cbranch_vccnz .LBB3010_151
; %bb.117:
	s_add_u32 s0, s24, -1
	s_addc_u32 s1, s25, -1
	s_add_u32 s2, 0, 0x99986000
	s_addc_u32 s3, 0, 0x59
	s_add_i32 s3, s3, 0x19999940
	s_mul_hi_u32 s7, s2, -10
	s_sub_i32 s7, s7, s2
	s_mul_i32 s8, s3, -10
	s_mul_i32 s4, s2, -10
	s_add_i32 s7, s7, s8
	s_mul_hi_u32 s5, s3, s4
	s_mul_i32 s6, s3, s4
	s_mul_i32 s9, s2, s7
	s_mul_hi_u32 s4, s2, s4
	s_mul_hi_u32 s8, s2, s7
	s_add_u32 s4, s4, s9
	s_addc_u32 s8, 0, s8
	s_add_u32 s4, s4, s6
	s_mul_hi_u32 s9, s3, s7
	s_addc_u32 s4, s8, s5
	s_addc_u32 s5, s9, 0
	s_mul_i32 s6, s3, s7
	s_add_u32 s4, s4, s6
	v_mov_b32_e32 v2, s4
	s_addc_u32 s5, 0, s5
	v_add_co_u32_e32 v2, vcc, s2, v2
	s_cmp_lg_u64 vcc, 0
	s_addc_u32 s2, s3, s5
	v_readfirstlane_b32 s5, v2
	s_mul_i32 s4, s0, s2
	s_mul_hi_u32 s6, s0, s5
	s_mul_hi_u32 s3, s0, s2
	s_add_u32 s4, s6, s4
	s_addc_u32 s3, 0, s3
	s_mul_hi_u32 s7, s1, s5
	s_mul_i32 s5, s1, s5
	s_add_u32 s4, s4, s5
	s_mul_hi_u32 s6, s1, s2
	s_addc_u32 s3, s3, s7
	s_addc_u32 s4, s6, 0
	s_mul_i32 s2, s1, s2
	s_add_u32 s2, s3, s2
	s_addc_u32 s3, 0, s4
	s_add_u32 s4, s2, 1
	s_addc_u32 s5, s3, 0
	s_add_u32 s6, s2, 2
	s_mul_i32 s8, s3, 10
	s_mul_hi_u32 s9, s2, 10
	s_addc_u32 s7, s3, 0
	s_add_i32 s9, s9, s8
	s_mul_i32 s8, s2, 10
	v_mov_b32_e32 v2, s8
	v_sub_co_u32_e32 v2, vcc, s0, v2
	s_cmp_lg_u64 vcc, 0
	s_subb_u32 s8, s1, s9
	v_subrev_co_u32_e32 v3, vcc, 10, v2
	s_cmp_lg_u64 vcc, 0
	s_subb_u32 s9, s8, 0
	v_readfirstlane_b32 s12, v3
	s_cmp_gt_u32 s12, 9
	s_cselect_b32 s12, -1, 0
	s_cmp_eq_u32 s9, 0
	s_cselect_b32 s9, s12, -1
	s_cmp_lg_u32 s9, 0
	s_cselect_b32 s4, s6, s4
	v_readfirstlane_b32 s6, v2
	s_cselect_b32 s5, s7, s5
	s_cmp_gt_u32 s6, 9
	s_cselect_b32 s6, -1, 0
	s_cmp_eq_u32 s8, 0
	s_cselect_b32 s6, s6, -1
	s_cmp_lg_u32 s6, 0
	v_mov_b32_e32 v1, 0
	s_cselect_b32 s3, s5, s3
	s_cselect_b32 s2, s4, s2
	v_cmp_eq_u64_e32 vcc, s[2:3], v[0:1]
	s_and_saveexec_b64 s[2:3], vcc
	s_cbranch_execz .LBB3010_151
; %bb.118:
	s_movk_i32 s2, 0xffb8
	v_mad_i32_i24 v2, v0, s2, v43
	v_mul_hi_u32_u24_e32 v1, 10, v0
	v_mov_b32_e32 v3, s1
	v_sub_co_u32_e32 v0, vcc, s0, v42
	v_subb_co_u32_e32 v1, vcc, v3, v1, vcc
	v_cmp_lt_i64_e32 vcc, 4, v[0:1]
	s_and_saveexec_b64 s[0:1], vcc
	s_xor_b64 s[0:1], exec, s[0:1]
	s_cbranch_execz .LBB3010_136
; %bb.119:
	v_cmp_lt_i64_e32 vcc, 6, v[0:1]
	s_and_saveexec_b64 s[2:3], vcc
	s_xor_b64 s[2:3], exec, s[2:3]
	s_cbranch_execz .LBB3010_129
; %bb.120:
	;; [unrolled: 5-line block ×4, first 2 shown]
	ds_read_b64 v[0:1], v2 offset:9216
	v_mov_b32_e32 v2, 0
	s_waitcnt lgkmcnt(0)
	global_store_dwordx2 v2, v[0:1], s[10:11]
                                        ; implicit-def: $vgpr2
.LBB3010_123:
	s_andn2_saveexec_b64 s[6:7], s[6:7]
	s_cbranch_execz .LBB3010_125
; %bb.124:
	ds_read_b64 v[0:1], v2 offset:8192
	v_mov_b32_e32 v2, 0
	s_waitcnt lgkmcnt(0)
	global_store_dwordx2 v2, v[0:1], s[10:11]
.LBB3010_125:
	s_or_b64 exec, exec, s[6:7]
                                        ; implicit-def: $vgpr2
.LBB3010_126:
	s_andn2_saveexec_b64 s[4:5], s[4:5]
	s_cbranch_execz .LBB3010_128
; %bb.127:
	ds_read_b64 v[0:1], v2 offset:7168
	v_mov_b32_e32 v2, 0
	s_waitcnt lgkmcnt(0)
	global_store_dwordx2 v2, v[0:1], s[10:11]
.LBB3010_128:
	s_or_b64 exec, exec, s[4:5]
                                        ; implicit-def: $vgpr2
                                        ; implicit-def: $vgpr0_vgpr1
.LBB3010_129:
	s_andn2_saveexec_b64 s[2:3], s[2:3]
	s_cbranch_execz .LBB3010_135
; %bb.130:
	v_cmp_lt_i64_e32 vcc, 5, v[0:1]
	s_and_saveexec_b64 s[4:5], vcc
	s_xor_b64 s[4:5], exec, s[4:5]
	s_cbranch_execz .LBB3010_132
; %bb.131:
	ds_read_b64 v[0:1], v2 offset:6144
	v_mov_b32_e32 v2, 0
	s_waitcnt lgkmcnt(0)
	global_store_dwordx2 v2, v[0:1], s[10:11]
                                        ; implicit-def: $vgpr2
.LBB3010_132:
	s_andn2_saveexec_b64 s[4:5], s[4:5]
	s_cbranch_execz .LBB3010_134
; %bb.133:
	ds_read_b64 v[0:1], v2 offset:5120
	v_mov_b32_e32 v2, 0
	s_waitcnt lgkmcnt(0)
	global_store_dwordx2 v2, v[0:1], s[10:11]
.LBB3010_134:
	s_or_b64 exec, exec, s[4:5]
.LBB3010_135:
	s_or_b64 exec, exec, s[2:3]
                                        ; implicit-def: $vgpr0_vgpr1
                                        ; implicit-def: $vgpr2
.LBB3010_136:
	s_andn2_saveexec_b64 s[0:1], s[0:1]
	s_cbranch_execz .LBB3010_151
; %bb.137:
	v_cmp_lt_i64_e32 vcc, 2, v[0:1]
	s_and_saveexec_b64 s[0:1], vcc
	s_xor_b64 s[0:1], exec, s[0:1]
	s_cbranch_execz .LBB3010_143
; %bb.138:
	v_cmp_lt_i64_e32 vcc, 3, v[0:1]
	s_and_saveexec_b64 s[2:3], vcc
	s_xor_b64 s[2:3], exec, s[2:3]
	s_cbranch_execz .LBB3010_140
; %bb.139:
	ds_read_b64 v[0:1], v2 offset:4096
	v_mov_b32_e32 v2, 0
	s_waitcnt lgkmcnt(0)
	global_store_dwordx2 v2, v[0:1], s[10:11]
                                        ; implicit-def: $vgpr2
.LBB3010_140:
	s_andn2_saveexec_b64 s[2:3], s[2:3]
	s_cbranch_execz .LBB3010_142
; %bb.141:
	ds_read_b64 v[0:1], v2 offset:3072
	v_mov_b32_e32 v2, 0
	s_waitcnt lgkmcnt(0)
	global_store_dwordx2 v2, v[0:1], s[10:11]
.LBB3010_142:
	s_or_b64 exec, exec, s[2:3]
                                        ; implicit-def: $vgpr0_vgpr1
                                        ; implicit-def: $vgpr2
.LBB3010_143:
	s_andn2_saveexec_b64 s[0:1], s[0:1]
	s_cbranch_execz .LBB3010_151
; %bb.144:
	v_cmp_lt_i64_e32 vcc, 1, v[0:1]
	s_and_saveexec_b64 s[0:1], vcc
	s_xor_b64 s[0:1], exec, s[0:1]
	s_cbranch_execz .LBB3010_146
; %bb.145:
	ds_read_b64 v[0:1], v2 offset:2048
	v_mov_b32_e32 v2, 0
	s_waitcnt lgkmcnt(0)
	global_store_dwordx2 v2, v[0:1], s[10:11]
                                        ; implicit-def: $vgpr2
                                        ; implicit-def: $vgpr0_vgpr1
.LBB3010_146:
	s_andn2_saveexec_b64 s[0:1], s[0:1]
	s_cbranch_execz .LBB3010_151
; %bb.147:
	v_cmp_ne_u64_e32 vcc, 1, v[0:1]
	s_and_saveexec_b64 s[0:1], vcc
	s_xor_b64 s[0:1], exec, s[0:1]
	s_cbranch_execz .LBB3010_149
; %bb.148:
	ds_read_b64 v[0:1], v2
	v_mov_b32_e32 v2, 0
	s_waitcnt lgkmcnt(0)
	global_store_dwordx2 v2, v[0:1], s[10:11]
                                        ; implicit-def: $vgpr2
.LBB3010_149:
	s_andn2_saveexec_b64 s[0:1], s[0:1]
	s_cbranch_execz .LBB3010_151
; %bb.150:
	ds_read_b64 v[0:1], v2 offset:1024
	v_mov_b32_e32 v2, 0
	s_waitcnt lgkmcnt(0)
	global_store_dwordx2 v2, v[0:1], s[10:11]
.LBB3010_151:
	s_endpgm
	.section	.rodata,"a",@progbits
	.p2align	6, 0x0
	.amdhsa_kernel _ZN7rocprim17ROCPRIM_400000_NS6detail17trampoline_kernelINS0_14default_configENS1_20scan_config_selectorIdEEZZNS1_9scan_implILNS1_25lookback_scan_determinismE0ELb0ELb0ES3_N6thrust23THRUST_200600_302600_NS6detail15normal_iteratorINS9_10device_ptrIdEEEENS9_16discard_iteratorINS9_11use_defaultEEEd11max_functorIdEdEEDaPvRmT3_T4_T5_mT6_P12ihipStream_tbENKUlT_T0_E_clISt17integral_constantIbLb1EESX_EEDaSS_ST_EUlSS_E_NS1_11comp_targetILNS1_3genE4ELNS1_11target_archE910ELNS1_3gpuE8ELNS1_3repE0EEENS1_30default_config_static_selectorELNS0_4arch9wavefront6targetE1EEEvT1_
		.amdhsa_group_segment_fixed_size 10240
		.amdhsa_private_segment_fixed_size 0
		.amdhsa_kernarg_size 112
		.amdhsa_user_sgpr_count 6
		.amdhsa_user_sgpr_private_segment_buffer 1
		.amdhsa_user_sgpr_dispatch_ptr 0
		.amdhsa_user_sgpr_queue_ptr 0
		.amdhsa_user_sgpr_kernarg_segment_ptr 1
		.amdhsa_user_sgpr_dispatch_id 0
		.amdhsa_user_sgpr_flat_scratch_init 0
		.amdhsa_user_sgpr_kernarg_preload_length 0
		.amdhsa_user_sgpr_kernarg_preload_offset 0
		.amdhsa_user_sgpr_private_segment_size 0
		.amdhsa_uses_dynamic_stack 0
		.amdhsa_system_sgpr_private_segment_wavefront_offset 0
		.amdhsa_system_sgpr_workgroup_id_x 1
		.amdhsa_system_sgpr_workgroup_id_y 0
		.amdhsa_system_sgpr_workgroup_id_z 0
		.amdhsa_system_sgpr_workgroup_info 0
		.amdhsa_system_vgpr_workitem_id 0
		.amdhsa_next_free_vgpr 58
		.amdhsa_next_free_sgpr 30
		.amdhsa_accum_offset 60
		.amdhsa_reserve_vcc 1
		.amdhsa_reserve_flat_scratch 0
		.amdhsa_float_round_mode_32 0
		.amdhsa_float_round_mode_16_64 0
		.amdhsa_float_denorm_mode_32 3
		.amdhsa_float_denorm_mode_16_64 3
		.amdhsa_dx10_clamp 1
		.amdhsa_ieee_mode 1
		.amdhsa_fp16_overflow 0
		.amdhsa_tg_split 0
		.amdhsa_exception_fp_ieee_invalid_op 0
		.amdhsa_exception_fp_denorm_src 0
		.amdhsa_exception_fp_ieee_div_zero 0
		.amdhsa_exception_fp_ieee_overflow 0
		.amdhsa_exception_fp_ieee_underflow 0
		.amdhsa_exception_fp_ieee_inexact 0
		.amdhsa_exception_int_div_zero 0
	.end_amdhsa_kernel
	.section	.text._ZN7rocprim17ROCPRIM_400000_NS6detail17trampoline_kernelINS0_14default_configENS1_20scan_config_selectorIdEEZZNS1_9scan_implILNS1_25lookback_scan_determinismE0ELb0ELb0ES3_N6thrust23THRUST_200600_302600_NS6detail15normal_iteratorINS9_10device_ptrIdEEEENS9_16discard_iteratorINS9_11use_defaultEEEd11max_functorIdEdEEDaPvRmT3_T4_T5_mT6_P12ihipStream_tbENKUlT_T0_E_clISt17integral_constantIbLb1EESX_EEDaSS_ST_EUlSS_E_NS1_11comp_targetILNS1_3genE4ELNS1_11target_archE910ELNS1_3gpuE8ELNS1_3repE0EEENS1_30default_config_static_selectorELNS0_4arch9wavefront6targetE1EEEvT1_,"axG",@progbits,_ZN7rocprim17ROCPRIM_400000_NS6detail17trampoline_kernelINS0_14default_configENS1_20scan_config_selectorIdEEZZNS1_9scan_implILNS1_25lookback_scan_determinismE0ELb0ELb0ES3_N6thrust23THRUST_200600_302600_NS6detail15normal_iteratorINS9_10device_ptrIdEEEENS9_16discard_iteratorINS9_11use_defaultEEEd11max_functorIdEdEEDaPvRmT3_T4_T5_mT6_P12ihipStream_tbENKUlT_T0_E_clISt17integral_constantIbLb1EESX_EEDaSS_ST_EUlSS_E_NS1_11comp_targetILNS1_3genE4ELNS1_11target_archE910ELNS1_3gpuE8ELNS1_3repE0EEENS1_30default_config_static_selectorELNS0_4arch9wavefront6targetE1EEEvT1_,comdat
.Lfunc_end3010:
	.size	_ZN7rocprim17ROCPRIM_400000_NS6detail17trampoline_kernelINS0_14default_configENS1_20scan_config_selectorIdEEZZNS1_9scan_implILNS1_25lookback_scan_determinismE0ELb0ELb0ES3_N6thrust23THRUST_200600_302600_NS6detail15normal_iteratorINS9_10device_ptrIdEEEENS9_16discard_iteratorINS9_11use_defaultEEEd11max_functorIdEdEEDaPvRmT3_T4_T5_mT6_P12ihipStream_tbENKUlT_T0_E_clISt17integral_constantIbLb1EESX_EEDaSS_ST_EUlSS_E_NS1_11comp_targetILNS1_3genE4ELNS1_11target_archE910ELNS1_3gpuE8ELNS1_3repE0EEENS1_30default_config_static_selectorELNS0_4arch9wavefront6targetE1EEEvT1_, .Lfunc_end3010-_ZN7rocprim17ROCPRIM_400000_NS6detail17trampoline_kernelINS0_14default_configENS1_20scan_config_selectorIdEEZZNS1_9scan_implILNS1_25lookback_scan_determinismE0ELb0ELb0ES3_N6thrust23THRUST_200600_302600_NS6detail15normal_iteratorINS9_10device_ptrIdEEEENS9_16discard_iteratorINS9_11use_defaultEEEd11max_functorIdEdEEDaPvRmT3_T4_T5_mT6_P12ihipStream_tbENKUlT_T0_E_clISt17integral_constantIbLb1EESX_EEDaSS_ST_EUlSS_E_NS1_11comp_targetILNS1_3genE4ELNS1_11target_archE910ELNS1_3gpuE8ELNS1_3repE0EEENS1_30default_config_static_selectorELNS0_4arch9wavefront6targetE1EEEvT1_
                                        ; -- End function
	.section	.AMDGPU.csdata,"",@progbits
; Kernel info:
; codeLenInByte = 5668
; NumSgprs: 34
; NumVgprs: 58
; NumAgprs: 0
; TotalNumVgprs: 58
; ScratchSize: 0
; MemoryBound: 0
; FloatMode: 240
; IeeeMode: 1
; LDSByteSize: 10240 bytes/workgroup (compile time only)
; SGPRBlocks: 4
; VGPRBlocks: 7
; NumSGPRsForWavesPerEU: 34
; NumVGPRsForWavesPerEU: 58
; AccumOffset: 60
; Occupancy: 3
; WaveLimiterHint : 1
; COMPUTE_PGM_RSRC2:SCRATCH_EN: 0
; COMPUTE_PGM_RSRC2:USER_SGPR: 6
; COMPUTE_PGM_RSRC2:TRAP_HANDLER: 0
; COMPUTE_PGM_RSRC2:TGID_X_EN: 1
; COMPUTE_PGM_RSRC2:TGID_Y_EN: 0
; COMPUTE_PGM_RSRC2:TGID_Z_EN: 0
; COMPUTE_PGM_RSRC2:TIDIG_COMP_CNT: 0
; COMPUTE_PGM_RSRC3_GFX90A:ACCUM_OFFSET: 14
; COMPUTE_PGM_RSRC3_GFX90A:TG_SPLIT: 0
	.section	.text._ZN7rocprim17ROCPRIM_400000_NS6detail17trampoline_kernelINS0_14default_configENS1_20scan_config_selectorIdEEZZNS1_9scan_implILNS1_25lookback_scan_determinismE0ELb0ELb0ES3_N6thrust23THRUST_200600_302600_NS6detail15normal_iteratorINS9_10device_ptrIdEEEENS9_16discard_iteratorINS9_11use_defaultEEEd11max_functorIdEdEEDaPvRmT3_T4_T5_mT6_P12ihipStream_tbENKUlT_T0_E_clISt17integral_constantIbLb1EESX_EEDaSS_ST_EUlSS_E_NS1_11comp_targetILNS1_3genE3ELNS1_11target_archE908ELNS1_3gpuE7ELNS1_3repE0EEENS1_30default_config_static_selectorELNS0_4arch9wavefront6targetE1EEEvT1_,"axG",@progbits,_ZN7rocprim17ROCPRIM_400000_NS6detail17trampoline_kernelINS0_14default_configENS1_20scan_config_selectorIdEEZZNS1_9scan_implILNS1_25lookback_scan_determinismE0ELb0ELb0ES3_N6thrust23THRUST_200600_302600_NS6detail15normal_iteratorINS9_10device_ptrIdEEEENS9_16discard_iteratorINS9_11use_defaultEEEd11max_functorIdEdEEDaPvRmT3_T4_T5_mT6_P12ihipStream_tbENKUlT_T0_E_clISt17integral_constantIbLb1EESX_EEDaSS_ST_EUlSS_E_NS1_11comp_targetILNS1_3genE3ELNS1_11target_archE908ELNS1_3gpuE7ELNS1_3repE0EEENS1_30default_config_static_selectorELNS0_4arch9wavefront6targetE1EEEvT1_,comdat
	.protected	_ZN7rocprim17ROCPRIM_400000_NS6detail17trampoline_kernelINS0_14default_configENS1_20scan_config_selectorIdEEZZNS1_9scan_implILNS1_25lookback_scan_determinismE0ELb0ELb0ES3_N6thrust23THRUST_200600_302600_NS6detail15normal_iteratorINS9_10device_ptrIdEEEENS9_16discard_iteratorINS9_11use_defaultEEEd11max_functorIdEdEEDaPvRmT3_T4_T5_mT6_P12ihipStream_tbENKUlT_T0_E_clISt17integral_constantIbLb1EESX_EEDaSS_ST_EUlSS_E_NS1_11comp_targetILNS1_3genE3ELNS1_11target_archE908ELNS1_3gpuE7ELNS1_3repE0EEENS1_30default_config_static_selectorELNS0_4arch9wavefront6targetE1EEEvT1_ ; -- Begin function _ZN7rocprim17ROCPRIM_400000_NS6detail17trampoline_kernelINS0_14default_configENS1_20scan_config_selectorIdEEZZNS1_9scan_implILNS1_25lookback_scan_determinismE0ELb0ELb0ES3_N6thrust23THRUST_200600_302600_NS6detail15normal_iteratorINS9_10device_ptrIdEEEENS9_16discard_iteratorINS9_11use_defaultEEEd11max_functorIdEdEEDaPvRmT3_T4_T5_mT6_P12ihipStream_tbENKUlT_T0_E_clISt17integral_constantIbLb1EESX_EEDaSS_ST_EUlSS_E_NS1_11comp_targetILNS1_3genE3ELNS1_11target_archE908ELNS1_3gpuE7ELNS1_3repE0EEENS1_30default_config_static_selectorELNS0_4arch9wavefront6targetE1EEEvT1_
	.globl	_ZN7rocprim17ROCPRIM_400000_NS6detail17trampoline_kernelINS0_14default_configENS1_20scan_config_selectorIdEEZZNS1_9scan_implILNS1_25lookback_scan_determinismE0ELb0ELb0ES3_N6thrust23THRUST_200600_302600_NS6detail15normal_iteratorINS9_10device_ptrIdEEEENS9_16discard_iteratorINS9_11use_defaultEEEd11max_functorIdEdEEDaPvRmT3_T4_T5_mT6_P12ihipStream_tbENKUlT_T0_E_clISt17integral_constantIbLb1EESX_EEDaSS_ST_EUlSS_E_NS1_11comp_targetILNS1_3genE3ELNS1_11target_archE908ELNS1_3gpuE7ELNS1_3repE0EEENS1_30default_config_static_selectorELNS0_4arch9wavefront6targetE1EEEvT1_
	.p2align	8
	.type	_ZN7rocprim17ROCPRIM_400000_NS6detail17trampoline_kernelINS0_14default_configENS1_20scan_config_selectorIdEEZZNS1_9scan_implILNS1_25lookback_scan_determinismE0ELb0ELb0ES3_N6thrust23THRUST_200600_302600_NS6detail15normal_iteratorINS9_10device_ptrIdEEEENS9_16discard_iteratorINS9_11use_defaultEEEd11max_functorIdEdEEDaPvRmT3_T4_T5_mT6_P12ihipStream_tbENKUlT_T0_E_clISt17integral_constantIbLb1EESX_EEDaSS_ST_EUlSS_E_NS1_11comp_targetILNS1_3genE3ELNS1_11target_archE908ELNS1_3gpuE7ELNS1_3repE0EEENS1_30default_config_static_selectorELNS0_4arch9wavefront6targetE1EEEvT1_,@function
_ZN7rocprim17ROCPRIM_400000_NS6detail17trampoline_kernelINS0_14default_configENS1_20scan_config_selectorIdEEZZNS1_9scan_implILNS1_25lookback_scan_determinismE0ELb0ELb0ES3_N6thrust23THRUST_200600_302600_NS6detail15normal_iteratorINS9_10device_ptrIdEEEENS9_16discard_iteratorINS9_11use_defaultEEEd11max_functorIdEdEEDaPvRmT3_T4_T5_mT6_P12ihipStream_tbENKUlT_T0_E_clISt17integral_constantIbLb1EESX_EEDaSS_ST_EUlSS_E_NS1_11comp_targetILNS1_3genE3ELNS1_11target_archE908ELNS1_3gpuE7ELNS1_3repE0EEENS1_30default_config_static_selectorELNS0_4arch9wavefront6targetE1EEEvT1_: ; @_ZN7rocprim17ROCPRIM_400000_NS6detail17trampoline_kernelINS0_14default_configENS1_20scan_config_selectorIdEEZZNS1_9scan_implILNS1_25lookback_scan_determinismE0ELb0ELb0ES3_N6thrust23THRUST_200600_302600_NS6detail15normal_iteratorINS9_10device_ptrIdEEEENS9_16discard_iteratorINS9_11use_defaultEEEd11max_functorIdEdEEDaPvRmT3_T4_T5_mT6_P12ihipStream_tbENKUlT_T0_E_clISt17integral_constantIbLb1EESX_EEDaSS_ST_EUlSS_E_NS1_11comp_targetILNS1_3genE3ELNS1_11target_archE908ELNS1_3gpuE7ELNS1_3repE0EEENS1_30default_config_static_selectorELNS0_4arch9wavefront6targetE1EEEvT1_
; %bb.0:
	.section	.rodata,"a",@progbits
	.p2align	6, 0x0
	.amdhsa_kernel _ZN7rocprim17ROCPRIM_400000_NS6detail17trampoline_kernelINS0_14default_configENS1_20scan_config_selectorIdEEZZNS1_9scan_implILNS1_25lookback_scan_determinismE0ELb0ELb0ES3_N6thrust23THRUST_200600_302600_NS6detail15normal_iteratorINS9_10device_ptrIdEEEENS9_16discard_iteratorINS9_11use_defaultEEEd11max_functorIdEdEEDaPvRmT3_T4_T5_mT6_P12ihipStream_tbENKUlT_T0_E_clISt17integral_constantIbLb1EESX_EEDaSS_ST_EUlSS_E_NS1_11comp_targetILNS1_3genE3ELNS1_11target_archE908ELNS1_3gpuE7ELNS1_3repE0EEENS1_30default_config_static_selectorELNS0_4arch9wavefront6targetE1EEEvT1_
		.amdhsa_group_segment_fixed_size 0
		.amdhsa_private_segment_fixed_size 0
		.amdhsa_kernarg_size 112
		.amdhsa_user_sgpr_count 6
		.amdhsa_user_sgpr_private_segment_buffer 1
		.amdhsa_user_sgpr_dispatch_ptr 0
		.amdhsa_user_sgpr_queue_ptr 0
		.amdhsa_user_sgpr_kernarg_segment_ptr 1
		.amdhsa_user_sgpr_dispatch_id 0
		.amdhsa_user_sgpr_flat_scratch_init 0
		.amdhsa_user_sgpr_kernarg_preload_length 0
		.amdhsa_user_sgpr_kernarg_preload_offset 0
		.amdhsa_user_sgpr_private_segment_size 0
		.amdhsa_uses_dynamic_stack 0
		.amdhsa_system_sgpr_private_segment_wavefront_offset 0
		.amdhsa_system_sgpr_workgroup_id_x 1
		.amdhsa_system_sgpr_workgroup_id_y 0
		.amdhsa_system_sgpr_workgroup_id_z 0
		.amdhsa_system_sgpr_workgroup_info 0
		.amdhsa_system_vgpr_workitem_id 0
		.amdhsa_next_free_vgpr 1
		.amdhsa_next_free_sgpr 0
		.amdhsa_accum_offset 4
		.amdhsa_reserve_vcc 0
		.amdhsa_reserve_flat_scratch 0
		.amdhsa_float_round_mode_32 0
		.amdhsa_float_round_mode_16_64 0
		.amdhsa_float_denorm_mode_32 3
		.amdhsa_float_denorm_mode_16_64 3
		.amdhsa_dx10_clamp 1
		.amdhsa_ieee_mode 1
		.amdhsa_fp16_overflow 0
		.amdhsa_tg_split 0
		.amdhsa_exception_fp_ieee_invalid_op 0
		.amdhsa_exception_fp_denorm_src 0
		.amdhsa_exception_fp_ieee_div_zero 0
		.amdhsa_exception_fp_ieee_overflow 0
		.amdhsa_exception_fp_ieee_underflow 0
		.amdhsa_exception_fp_ieee_inexact 0
		.amdhsa_exception_int_div_zero 0
	.end_amdhsa_kernel
	.section	.text._ZN7rocprim17ROCPRIM_400000_NS6detail17trampoline_kernelINS0_14default_configENS1_20scan_config_selectorIdEEZZNS1_9scan_implILNS1_25lookback_scan_determinismE0ELb0ELb0ES3_N6thrust23THRUST_200600_302600_NS6detail15normal_iteratorINS9_10device_ptrIdEEEENS9_16discard_iteratorINS9_11use_defaultEEEd11max_functorIdEdEEDaPvRmT3_T4_T5_mT6_P12ihipStream_tbENKUlT_T0_E_clISt17integral_constantIbLb1EESX_EEDaSS_ST_EUlSS_E_NS1_11comp_targetILNS1_3genE3ELNS1_11target_archE908ELNS1_3gpuE7ELNS1_3repE0EEENS1_30default_config_static_selectorELNS0_4arch9wavefront6targetE1EEEvT1_,"axG",@progbits,_ZN7rocprim17ROCPRIM_400000_NS6detail17trampoline_kernelINS0_14default_configENS1_20scan_config_selectorIdEEZZNS1_9scan_implILNS1_25lookback_scan_determinismE0ELb0ELb0ES3_N6thrust23THRUST_200600_302600_NS6detail15normal_iteratorINS9_10device_ptrIdEEEENS9_16discard_iteratorINS9_11use_defaultEEEd11max_functorIdEdEEDaPvRmT3_T4_T5_mT6_P12ihipStream_tbENKUlT_T0_E_clISt17integral_constantIbLb1EESX_EEDaSS_ST_EUlSS_E_NS1_11comp_targetILNS1_3genE3ELNS1_11target_archE908ELNS1_3gpuE7ELNS1_3repE0EEENS1_30default_config_static_selectorELNS0_4arch9wavefront6targetE1EEEvT1_,comdat
.Lfunc_end3011:
	.size	_ZN7rocprim17ROCPRIM_400000_NS6detail17trampoline_kernelINS0_14default_configENS1_20scan_config_selectorIdEEZZNS1_9scan_implILNS1_25lookback_scan_determinismE0ELb0ELb0ES3_N6thrust23THRUST_200600_302600_NS6detail15normal_iteratorINS9_10device_ptrIdEEEENS9_16discard_iteratorINS9_11use_defaultEEEd11max_functorIdEdEEDaPvRmT3_T4_T5_mT6_P12ihipStream_tbENKUlT_T0_E_clISt17integral_constantIbLb1EESX_EEDaSS_ST_EUlSS_E_NS1_11comp_targetILNS1_3genE3ELNS1_11target_archE908ELNS1_3gpuE7ELNS1_3repE0EEENS1_30default_config_static_selectorELNS0_4arch9wavefront6targetE1EEEvT1_, .Lfunc_end3011-_ZN7rocprim17ROCPRIM_400000_NS6detail17trampoline_kernelINS0_14default_configENS1_20scan_config_selectorIdEEZZNS1_9scan_implILNS1_25lookback_scan_determinismE0ELb0ELb0ES3_N6thrust23THRUST_200600_302600_NS6detail15normal_iteratorINS9_10device_ptrIdEEEENS9_16discard_iteratorINS9_11use_defaultEEEd11max_functorIdEdEEDaPvRmT3_T4_T5_mT6_P12ihipStream_tbENKUlT_T0_E_clISt17integral_constantIbLb1EESX_EEDaSS_ST_EUlSS_E_NS1_11comp_targetILNS1_3genE3ELNS1_11target_archE908ELNS1_3gpuE7ELNS1_3repE0EEENS1_30default_config_static_selectorELNS0_4arch9wavefront6targetE1EEEvT1_
                                        ; -- End function
	.section	.AMDGPU.csdata,"",@progbits
; Kernel info:
; codeLenInByte = 0
; NumSgprs: 4
; NumVgprs: 0
; NumAgprs: 0
; TotalNumVgprs: 0
; ScratchSize: 0
; MemoryBound: 0
; FloatMode: 240
; IeeeMode: 1
; LDSByteSize: 0 bytes/workgroup (compile time only)
; SGPRBlocks: 0
; VGPRBlocks: 0
; NumSGPRsForWavesPerEU: 4
; NumVGPRsForWavesPerEU: 1
; AccumOffset: 4
; Occupancy: 8
; WaveLimiterHint : 0
; COMPUTE_PGM_RSRC2:SCRATCH_EN: 0
; COMPUTE_PGM_RSRC2:USER_SGPR: 6
; COMPUTE_PGM_RSRC2:TRAP_HANDLER: 0
; COMPUTE_PGM_RSRC2:TGID_X_EN: 1
; COMPUTE_PGM_RSRC2:TGID_Y_EN: 0
; COMPUTE_PGM_RSRC2:TGID_Z_EN: 0
; COMPUTE_PGM_RSRC2:TIDIG_COMP_CNT: 0
; COMPUTE_PGM_RSRC3_GFX90A:ACCUM_OFFSET: 0
; COMPUTE_PGM_RSRC3_GFX90A:TG_SPLIT: 0
	.section	.text._ZN7rocprim17ROCPRIM_400000_NS6detail17trampoline_kernelINS0_14default_configENS1_20scan_config_selectorIdEEZZNS1_9scan_implILNS1_25lookback_scan_determinismE0ELb0ELb0ES3_N6thrust23THRUST_200600_302600_NS6detail15normal_iteratorINS9_10device_ptrIdEEEENS9_16discard_iteratorINS9_11use_defaultEEEd11max_functorIdEdEEDaPvRmT3_T4_T5_mT6_P12ihipStream_tbENKUlT_T0_E_clISt17integral_constantIbLb1EESX_EEDaSS_ST_EUlSS_E_NS1_11comp_targetILNS1_3genE2ELNS1_11target_archE906ELNS1_3gpuE6ELNS1_3repE0EEENS1_30default_config_static_selectorELNS0_4arch9wavefront6targetE1EEEvT1_,"axG",@progbits,_ZN7rocprim17ROCPRIM_400000_NS6detail17trampoline_kernelINS0_14default_configENS1_20scan_config_selectorIdEEZZNS1_9scan_implILNS1_25lookback_scan_determinismE0ELb0ELb0ES3_N6thrust23THRUST_200600_302600_NS6detail15normal_iteratorINS9_10device_ptrIdEEEENS9_16discard_iteratorINS9_11use_defaultEEEd11max_functorIdEdEEDaPvRmT3_T4_T5_mT6_P12ihipStream_tbENKUlT_T0_E_clISt17integral_constantIbLb1EESX_EEDaSS_ST_EUlSS_E_NS1_11comp_targetILNS1_3genE2ELNS1_11target_archE906ELNS1_3gpuE6ELNS1_3repE0EEENS1_30default_config_static_selectorELNS0_4arch9wavefront6targetE1EEEvT1_,comdat
	.protected	_ZN7rocprim17ROCPRIM_400000_NS6detail17trampoline_kernelINS0_14default_configENS1_20scan_config_selectorIdEEZZNS1_9scan_implILNS1_25lookback_scan_determinismE0ELb0ELb0ES3_N6thrust23THRUST_200600_302600_NS6detail15normal_iteratorINS9_10device_ptrIdEEEENS9_16discard_iteratorINS9_11use_defaultEEEd11max_functorIdEdEEDaPvRmT3_T4_T5_mT6_P12ihipStream_tbENKUlT_T0_E_clISt17integral_constantIbLb1EESX_EEDaSS_ST_EUlSS_E_NS1_11comp_targetILNS1_3genE2ELNS1_11target_archE906ELNS1_3gpuE6ELNS1_3repE0EEENS1_30default_config_static_selectorELNS0_4arch9wavefront6targetE1EEEvT1_ ; -- Begin function _ZN7rocprim17ROCPRIM_400000_NS6detail17trampoline_kernelINS0_14default_configENS1_20scan_config_selectorIdEEZZNS1_9scan_implILNS1_25lookback_scan_determinismE0ELb0ELb0ES3_N6thrust23THRUST_200600_302600_NS6detail15normal_iteratorINS9_10device_ptrIdEEEENS9_16discard_iteratorINS9_11use_defaultEEEd11max_functorIdEdEEDaPvRmT3_T4_T5_mT6_P12ihipStream_tbENKUlT_T0_E_clISt17integral_constantIbLb1EESX_EEDaSS_ST_EUlSS_E_NS1_11comp_targetILNS1_3genE2ELNS1_11target_archE906ELNS1_3gpuE6ELNS1_3repE0EEENS1_30default_config_static_selectorELNS0_4arch9wavefront6targetE1EEEvT1_
	.globl	_ZN7rocprim17ROCPRIM_400000_NS6detail17trampoline_kernelINS0_14default_configENS1_20scan_config_selectorIdEEZZNS1_9scan_implILNS1_25lookback_scan_determinismE0ELb0ELb0ES3_N6thrust23THRUST_200600_302600_NS6detail15normal_iteratorINS9_10device_ptrIdEEEENS9_16discard_iteratorINS9_11use_defaultEEEd11max_functorIdEdEEDaPvRmT3_T4_T5_mT6_P12ihipStream_tbENKUlT_T0_E_clISt17integral_constantIbLb1EESX_EEDaSS_ST_EUlSS_E_NS1_11comp_targetILNS1_3genE2ELNS1_11target_archE906ELNS1_3gpuE6ELNS1_3repE0EEENS1_30default_config_static_selectorELNS0_4arch9wavefront6targetE1EEEvT1_
	.p2align	8
	.type	_ZN7rocprim17ROCPRIM_400000_NS6detail17trampoline_kernelINS0_14default_configENS1_20scan_config_selectorIdEEZZNS1_9scan_implILNS1_25lookback_scan_determinismE0ELb0ELb0ES3_N6thrust23THRUST_200600_302600_NS6detail15normal_iteratorINS9_10device_ptrIdEEEENS9_16discard_iteratorINS9_11use_defaultEEEd11max_functorIdEdEEDaPvRmT3_T4_T5_mT6_P12ihipStream_tbENKUlT_T0_E_clISt17integral_constantIbLb1EESX_EEDaSS_ST_EUlSS_E_NS1_11comp_targetILNS1_3genE2ELNS1_11target_archE906ELNS1_3gpuE6ELNS1_3repE0EEENS1_30default_config_static_selectorELNS0_4arch9wavefront6targetE1EEEvT1_,@function
_ZN7rocprim17ROCPRIM_400000_NS6detail17trampoline_kernelINS0_14default_configENS1_20scan_config_selectorIdEEZZNS1_9scan_implILNS1_25lookback_scan_determinismE0ELb0ELb0ES3_N6thrust23THRUST_200600_302600_NS6detail15normal_iteratorINS9_10device_ptrIdEEEENS9_16discard_iteratorINS9_11use_defaultEEEd11max_functorIdEdEEDaPvRmT3_T4_T5_mT6_P12ihipStream_tbENKUlT_T0_E_clISt17integral_constantIbLb1EESX_EEDaSS_ST_EUlSS_E_NS1_11comp_targetILNS1_3genE2ELNS1_11target_archE906ELNS1_3gpuE6ELNS1_3repE0EEENS1_30default_config_static_selectorELNS0_4arch9wavefront6targetE1EEEvT1_: ; @_ZN7rocprim17ROCPRIM_400000_NS6detail17trampoline_kernelINS0_14default_configENS1_20scan_config_selectorIdEEZZNS1_9scan_implILNS1_25lookback_scan_determinismE0ELb0ELb0ES3_N6thrust23THRUST_200600_302600_NS6detail15normal_iteratorINS9_10device_ptrIdEEEENS9_16discard_iteratorINS9_11use_defaultEEEd11max_functorIdEdEEDaPvRmT3_T4_T5_mT6_P12ihipStream_tbENKUlT_T0_E_clISt17integral_constantIbLb1EESX_EEDaSS_ST_EUlSS_E_NS1_11comp_targetILNS1_3genE2ELNS1_11target_archE906ELNS1_3gpuE6ELNS1_3repE0EEENS1_30default_config_static_selectorELNS0_4arch9wavefront6targetE1EEEvT1_
; %bb.0:
	.section	.rodata,"a",@progbits
	.p2align	6, 0x0
	.amdhsa_kernel _ZN7rocprim17ROCPRIM_400000_NS6detail17trampoline_kernelINS0_14default_configENS1_20scan_config_selectorIdEEZZNS1_9scan_implILNS1_25lookback_scan_determinismE0ELb0ELb0ES3_N6thrust23THRUST_200600_302600_NS6detail15normal_iteratorINS9_10device_ptrIdEEEENS9_16discard_iteratorINS9_11use_defaultEEEd11max_functorIdEdEEDaPvRmT3_T4_T5_mT6_P12ihipStream_tbENKUlT_T0_E_clISt17integral_constantIbLb1EESX_EEDaSS_ST_EUlSS_E_NS1_11comp_targetILNS1_3genE2ELNS1_11target_archE906ELNS1_3gpuE6ELNS1_3repE0EEENS1_30default_config_static_selectorELNS0_4arch9wavefront6targetE1EEEvT1_
		.amdhsa_group_segment_fixed_size 0
		.amdhsa_private_segment_fixed_size 0
		.amdhsa_kernarg_size 112
		.amdhsa_user_sgpr_count 6
		.amdhsa_user_sgpr_private_segment_buffer 1
		.amdhsa_user_sgpr_dispatch_ptr 0
		.amdhsa_user_sgpr_queue_ptr 0
		.amdhsa_user_sgpr_kernarg_segment_ptr 1
		.amdhsa_user_sgpr_dispatch_id 0
		.amdhsa_user_sgpr_flat_scratch_init 0
		.amdhsa_user_sgpr_kernarg_preload_length 0
		.amdhsa_user_sgpr_kernarg_preload_offset 0
		.amdhsa_user_sgpr_private_segment_size 0
		.amdhsa_uses_dynamic_stack 0
		.amdhsa_system_sgpr_private_segment_wavefront_offset 0
		.amdhsa_system_sgpr_workgroup_id_x 1
		.amdhsa_system_sgpr_workgroup_id_y 0
		.amdhsa_system_sgpr_workgroup_id_z 0
		.amdhsa_system_sgpr_workgroup_info 0
		.amdhsa_system_vgpr_workitem_id 0
		.amdhsa_next_free_vgpr 1
		.amdhsa_next_free_sgpr 0
		.amdhsa_accum_offset 4
		.amdhsa_reserve_vcc 0
		.amdhsa_reserve_flat_scratch 0
		.amdhsa_float_round_mode_32 0
		.amdhsa_float_round_mode_16_64 0
		.amdhsa_float_denorm_mode_32 3
		.amdhsa_float_denorm_mode_16_64 3
		.amdhsa_dx10_clamp 1
		.amdhsa_ieee_mode 1
		.amdhsa_fp16_overflow 0
		.amdhsa_tg_split 0
		.amdhsa_exception_fp_ieee_invalid_op 0
		.amdhsa_exception_fp_denorm_src 0
		.amdhsa_exception_fp_ieee_div_zero 0
		.amdhsa_exception_fp_ieee_overflow 0
		.amdhsa_exception_fp_ieee_underflow 0
		.amdhsa_exception_fp_ieee_inexact 0
		.amdhsa_exception_int_div_zero 0
	.end_amdhsa_kernel
	.section	.text._ZN7rocprim17ROCPRIM_400000_NS6detail17trampoline_kernelINS0_14default_configENS1_20scan_config_selectorIdEEZZNS1_9scan_implILNS1_25lookback_scan_determinismE0ELb0ELb0ES3_N6thrust23THRUST_200600_302600_NS6detail15normal_iteratorINS9_10device_ptrIdEEEENS9_16discard_iteratorINS9_11use_defaultEEEd11max_functorIdEdEEDaPvRmT3_T4_T5_mT6_P12ihipStream_tbENKUlT_T0_E_clISt17integral_constantIbLb1EESX_EEDaSS_ST_EUlSS_E_NS1_11comp_targetILNS1_3genE2ELNS1_11target_archE906ELNS1_3gpuE6ELNS1_3repE0EEENS1_30default_config_static_selectorELNS0_4arch9wavefront6targetE1EEEvT1_,"axG",@progbits,_ZN7rocprim17ROCPRIM_400000_NS6detail17trampoline_kernelINS0_14default_configENS1_20scan_config_selectorIdEEZZNS1_9scan_implILNS1_25lookback_scan_determinismE0ELb0ELb0ES3_N6thrust23THRUST_200600_302600_NS6detail15normal_iteratorINS9_10device_ptrIdEEEENS9_16discard_iteratorINS9_11use_defaultEEEd11max_functorIdEdEEDaPvRmT3_T4_T5_mT6_P12ihipStream_tbENKUlT_T0_E_clISt17integral_constantIbLb1EESX_EEDaSS_ST_EUlSS_E_NS1_11comp_targetILNS1_3genE2ELNS1_11target_archE906ELNS1_3gpuE6ELNS1_3repE0EEENS1_30default_config_static_selectorELNS0_4arch9wavefront6targetE1EEEvT1_,comdat
.Lfunc_end3012:
	.size	_ZN7rocprim17ROCPRIM_400000_NS6detail17trampoline_kernelINS0_14default_configENS1_20scan_config_selectorIdEEZZNS1_9scan_implILNS1_25lookback_scan_determinismE0ELb0ELb0ES3_N6thrust23THRUST_200600_302600_NS6detail15normal_iteratorINS9_10device_ptrIdEEEENS9_16discard_iteratorINS9_11use_defaultEEEd11max_functorIdEdEEDaPvRmT3_T4_T5_mT6_P12ihipStream_tbENKUlT_T0_E_clISt17integral_constantIbLb1EESX_EEDaSS_ST_EUlSS_E_NS1_11comp_targetILNS1_3genE2ELNS1_11target_archE906ELNS1_3gpuE6ELNS1_3repE0EEENS1_30default_config_static_selectorELNS0_4arch9wavefront6targetE1EEEvT1_, .Lfunc_end3012-_ZN7rocprim17ROCPRIM_400000_NS6detail17trampoline_kernelINS0_14default_configENS1_20scan_config_selectorIdEEZZNS1_9scan_implILNS1_25lookback_scan_determinismE0ELb0ELb0ES3_N6thrust23THRUST_200600_302600_NS6detail15normal_iteratorINS9_10device_ptrIdEEEENS9_16discard_iteratorINS9_11use_defaultEEEd11max_functorIdEdEEDaPvRmT3_T4_T5_mT6_P12ihipStream_tbENKUlT_T0_E_clISt17integral_constantIbLb1EESX_EEDaSS_ST_EUlSS_E_NS1_11comp_targetILNS1_3genE2ELNS1_11target_archE906ELNS1_3gpuE6ELNS1_3repE0EEENS1_30default_config_static_selectorELNS0_4arch9wavefront6targetE1EEEvT1_
                                        ; -- End function
	.section	.AMDGPU.csdata,"",@progbits
; Kernel info:
; codeLenInByte = 0
; NumSgprs: 4
; NumVgprs: 0
; NumAgprs: 0
; TotalNumVgprs: 0
; ScratchSize: 0
; MemoryBound: 0
; FloatMode: 240
; IeeeMode: 1
; LDSByteSize: 0 bytes/workgroup (compile time only)
; SGPRBlocks: 0
; VGPRBlocks: 0
; NumSGPRsForWavesPerEU: 4
; NumVGPRsForWavesPerEU: 1
; AccumOffset: 4
; Occupancy: 8
; WaveLimiterHint : 0
; COMPUTE_PGM_RSRC2:SCRATCH_EN: 0
; COMPUTE_PGM_RSRC2:USER_SGPR: 6
; COMPUTE_PGM_RSRC2:TRAP_HANDLER: 0
; COMPUTE_PGM_RSRC2:TGID_X_EN: 1
; COMPUTE_PGM_RSRC2:TGID_Y_EN: 0
; COMPUTE_PGM_RSRC2:TGID_Z_EN: 0
; COMPUTE_PGM_RSRC2:TIDIG_COMP_CNT: 0
; COMPUTE_PGM_RSRC3_GFX90A:ACCUM_OFFSET: 0
; COMPUTE_PGM_RSRC3_GFX90A:TG_SPLIT: 0
	.section	.text._ZN7rocprim17ROCPRIM_400000_NS6detail17trampoline_kernelINS0_14default_configENS1_20scan_config_selectorIdEEZZNS1_9scan_implILNS1_25lookback_scan_determinismE0ELb0ELb0ES3_N6thrust23THRUST_200600_302600_NS6detail15normal_iteratorINS9_10device_ptrIdEEEENS9_16discard_iteratorINS9_11use_defaultEEEd11max_functorIdEdEEDaPvRmT3_T4_T5_mT6_P12ihipStream_tbENKUlT_T0_E_clISt17integral_constantIbLb1EESX_EEDaSS_ST_EUlSS_E_NS1_11comp_targetILNS1_3genE10ELNS1_11target_archE1201ELNS1_3gpuE5ELNS1_3repE0EEENS1_30default_config_static_selectorELNS0_4arch9wavefront6targetE1EEEvT1_,"axG",@progbits,_ZN7rocprim17ROCPRIM_400000_NS6detail17trampoline_kernelINS0_14default_configENS1_20scan_config_selectorIdEEZZNS1_9scan_implILNS1_25lookback_scan_determinismE0ELb0ELb0ES3_N6thrust23THRUST_200600_302600_NS6detail15normal_iteratorINS9_10device_ptrIdEEEENS9_16discard_iteratorINS9_11use_defaultEEEd11max_functorIdEdEEDaPvRmT3_T4_T5_mT6_P12ihipStream_tbENKUlT_T0_E_clISt17integral_constantIbLb1EESX_EEDaSS_ST_EUlSS_E_NS1_11comp_targetILNS1_3genE10ELNS1_11target_archE1201ELNS1_3gpuE5ELNS1_3repE0EEENS1_30default_config_static_selectorELNS0_4arch9wavefront6targetE1EEEvT1_,comdat
	.protected	_ZN7rocprim17ROCPRIM_400000_NS6detail17trampoline_kernelINS0_14default_configENS1_20scan_config_selectorIdEEZZNS1_9scan_implILNS1_25lookback_scan_determinismE0ELb0ELb0ES3_N6thrust23THRUST_200600_302600_NS6detail15normal_iteratorINS9_10device_ptrIdEEEENS9_16discard_iteratorINS9_11use_defaultEEEd11max_functorIdEdEEDaPvRmT3_T4_T5_mT6_P12ihipStream_tbENKUlT_T0_E_clISt17integral_constantIbLb1EESX_EEDaSS_ST_EUlSS_E_NS1_11comp_targetILNS1_3genE10ELNS1_11target_archE1201ELNS1_3gpuE5ELNS1_3repE0EEENS1_30default_config_static_selectorELNS0_4arch9wavefront6targetE1EEEvT1_ ; -- Begin function _ZN7rocprim17ROCPRIM_400000_NS6detail17trampoline_kernelINS0_14default_configENS1_20scan_config_selectorIdEEZZNS1_9scan_implILNS1_25lookback_scan_determinismE0ELb0ELb0ES3_N6thrust23THRUST_200600_302600_NS6detail15normal_iteratorINS9_10device_ptrIdEEEENS9_16discard_iteratorINS9_11use_defaultEEEd11max_functorIdEdEEDaPvRmT3_T4_T5_mT6_P12ihipStream_tbENKUlT_T0_E_clISt17integral_constantIbLb1EESX_EEDaSS_ST_EUlSS_E_NS1_11comp_targetILNS1_3genE10ELNS1_11target_archE1201ELNS1_3gpuE5ELNS1_3repE0EEENS1_30default_config_static_selectorELNS0_4arch9wavefront6targetE1EEEvT1_
	.globl	_ZN7rocprim17ROCPRIM_400000_NS6detail17trampoline_kernelINS0_14default_configENS1_20scan_config_selectorIdEEZZNS1_9scan_implILNS1_25lookback_scan_determinismE0ELb0ELb0ES3_N6thrust23THRUST_200600_302600_NS6detail15normal_iteratorINS9_10device_ptrIdEEEENS9_16discard_iteratorINS9_11use_defaultEEEd11max_functorIdEdEEDaPvRmT3_T4_T5_mT6_P12ihipStream_tbENKUlT_T0_E_clISt17integral_constantIbLb1EESX_EEDaSS_ST_EUlSS_E_NS1_11comp_targetILNS1_3genE10ELNS1_11target_archE1201ELNS1_3gpuE5ELNS1_3repE0EEENS1_30default_config_static_selectorELNS0_4arch9wavefront6targetE1EEEvT1_
	.p2align	8
	.type	_ZN7rocprim17ROCPRIM_400000_NS6detail17trampoline_kernelINS0_14default_configENS1_20scan_config_selectorIdEEZZNS1_9scan_implILNS1_25lookback_scan_determinismE0ELb0ELb0ES3_N6thrust23THRUST_200600_302600_NS6detail15normal_iteratorINS9_10device_ptrIdEEEENS9_16discard_iteratorINS9_11use_defaultEEEd11max_functorIdEdEEDaPvRmT3_T4_T5_mT6_P12ihipStream_tbENKUlT_T0_E_clISt17integral_constantIbLb1EESX_EEDaSS_ST_EUlSS_E_NS1_11comp_targetILNS1_3genE10ELNS1_11target_archE1201ELNS1_3gpuE5ELNS1_3repE0EEENS1_30default_config_static_selectorELNS0_4arch9wavefront6targetE1EEEvT1_,@function
_ZN7rocprim17ROCPRIM_400000_NS6detail17trampoline_kernelINS0_14default_configENS1_20scan_config_selectorIdEEZZNS1_9scan_implILNS1_25lookback_scan_determinismE0ELb0ELb0ES3_N6thrust23THRUST_200600_302600_NS6detail15normal_iteratorINS9_10device_ptrIdEEEENS9_16discard_iteratorINS9_11use_defaultEEEd11max_functorIdEdEEDaPvRmT3_T4_T5_mT6_P12ihipStream_tbENKUlT_T0_E_clISt17integral_constantIbLb1EESX_EEDaSS_ST_EUlSS_E_NS1_11comp_targetILNS1_3genE10ELNS1_11target_archE1201ELNS1_3gpuE5ELNS1_3repE0EEENS1_30default_config_static_selectorELNS0_4arch9wavefront6targetE1EEEvT1_: ; @_ZN7rocprim17ROCPRIM_400000_NS6detail17trampoline_kernelINS0_14default_configENS1_20scan_config_selectorIdEEZZNS1_9scan_implILNS1_25lookback_scan_determinismE0ELb0ELb0ES3_N6thrust23THRUST_200600_302600_NS6detail15normal_iteratorINS9_10device_ptrIdEEEENS9_16discard_iteratorINS9_11use_defaultEEEd11max_functorIdEdEEDaPvRmT3_T4_T5_mT6_P12ihipStream_tbENKUlT_T0_E_clISt17integral_constantIbLb1EESX_EEDaSS_ST_EUlSS_E_NS1_11comp_targetILNS1_3genE10ELNS1_11target_archE1201ELNS1_3gpuE5ELNS1_3repE0EEENS1_30default_config_static_selectorELNS0_4arch9wavefront6targetE1EEEvT1_
; %bb.0:
	.section	.rodata,"a",@progbits
	.p2align	6, 0x0
	.amdhsa_kernel _ZN7rocprim17ROCPRIM_400000_NS6detail17trampoline_kernelINS0_14default_configENS1_20scan_config_selectorIdEEZZNS1_9scan_implILNS1_25lookback_scan_determinismE0ELb0ELb0ES3_N6thrust23THRUST_200600_302600_NS6detail15normal_iteratorINS9_10device_ptrIdEEEENS9_16discard_iteratorINS9_11use_defaultEEEd11max_functorIdEdEEDaPvRmT3_T4_T5_mT6_P12ihipStream_tbENKUlT_T0_E_clISt17integral_constantIbLb1EESX_EEDaSS_ST_EUlSS_E_NS1_11comp_targetILNS1_3genE10ELNS1_11target_archE1201ELNS1_3gpuE5ELNS1_3repE0EEENS1_30default_config_static_selectorELNS0_4arch9wavefront6targetE1EEEvT1_
		.amdhsa_group_segment_fixed_size 0
		.amdhsa_private_segment_fixed_size 0
		.amdhsa_kernarg_size 112
		.amdhsa_user_sgpr_count 6
		.amdhsa_user_sgpr_private_segment_buffer 1
		.amdhsa_user_sgpr_dispatch_ptr 0
		.amdhsa_user_sgpr_queue_ptr 0
		.amdhsa_user_sgpr_kernarg_segment_ptr 1
		.amdhsa_user_sgpr_dispatch_id 0
		.amdhsa_user_sgpr_flat_scratch_init 0
		.amdhsa_user_sgpr_kernarg_preload_length 0
		.amdhsa_user_sgpr_kernarg_preload_offset 0
		.amdhsa_user_sgpr_private_segment_size 0
		.amdhsa_uses_dynamic_stack 0
		.amdhsa_system_sgpr_private_segment_wavefront_offset 0
		.amdhsa_system_sgpr_workgroup_id_x 1
		.amdhsa_system_sgpr_workgroup_id_y 0
		.amdhsa_system_sgpr_workgroup_id_z 0
		.amdhsa_system_sgpr_workgroup_info 0
		.amdhsa_system_vgpr_workitem_id 0
		.amdhsa_next_free_vgpr 1
		.amdhsa_next_free_sgpr 0
		.amdhsa_accum_offset 4
		.amdhsa_reserve_vcc 0
		.amdhsa_reserve_flat_scratch 0
		.amdhsa_float_round_mode_32 0
		.amdhsa_float_round_mode_16_64 0
		.amdhsa_float_denorm_mode_32 3
		.amdhsa_float_denorm_mode_16_64 3
		.amdhsa_dx10_clamp 1
		.amdhsa_ieee_mode 1
		.amdhsa_fp16_overflow 0
		.amdhsa_tg_split 0
		.amdhsa_exception_fp_ieee_invalid_op 0
		.amdhsa_exception_fp_denorm_src 0
		.amdhsa_exception_fp_ieee_div_zero 0
		.amdhsa_exception_fp_ieee_overflow 0
		.amdhsa_exception_fp_ieee_underflow 0
		.amdhsa_exception_fp_ieee_inexact 0
		.amdhsa_exception_int_div_zero 0
	.end_amdhsa_kernel
	.section	.text._ZN7rocprim17ROCPRIM_400000_NS6detail17trampoline_kernelINS0_14default_configENS1_20scan_config_selectorIdEEZZNS1_9scan_implILNS1_25lookback_scan_determinismE0ELb0ELb0ES3_N6thrust23THRUST_200600_302600_NS6detail15normal_iteratorINS9_10device_ptrIdEEEENS9_16discard_iteratorINS9_11use_defaultEEEd11max_functorIdEdEEDaPvRmT3_T4_T5_mT6_P12ihipStream_tbENKUlT_T0_E_clISt17integral_constantIbLb1EESX_EEDaSS_ST_EUlSS_E_NS1_11comp_targetILNS1_3genE10ELNS1_11target_archE1201ELNS1_3gpuE5ELNS1_3repE0EEENS1_30default_config_static_selectorELNS0_4arch9wavefront6targetE1EEEvT1_,"axG",@progbits,_ZN7rocprim17ROCPRIM_400000_NS6detail17trampoline_kernelINS0_14default_configENS1_20scan_config_selectorIdEEZZNS1_9scan_implILNS1_25lookback_scan_determinismE0ELb0ELb0ES3_N6thrust23THRUST_200600_302600_NS6detail15normal_iteratorINS9_10device_ptrIdEEEENS9_16discard_iteratorINS9_11use_defaultEEEd11max_functorIdEdEEDaPvRmT3_T4_T5_mT6_P12ihipStream_tbENKUlT_T0_E_clISt17integral_constantIbLb1EESX_EEDaSS_ST_EUlSS_E_NS1_11comp_targetILNS1_3genE10ELNS1_11target_archE1201ELNS1_3gpuE5ELNS1_3repE0EEENS1_30default_config_static_selectorELNS0_4arch9wavefront6targetE1EEEvT1_,comdat
.Lfunc_end3013:
	.size	_ZN7rocprim17ROCPRIM_400000_NS6detail17trampoline_kernelINS0_14default_configENS1_20scan_config_selectorIdEEZZNS1_9scan_implILNS1_25lookback_scan_determinismE0ELb0ELb0ES3_N6thrust23THRUST_200600_302600_NS6detail15normal_iteratorINS9_10device_ptrIdEEEENS9_16discard_iteratorINS9_11use_defaultEEEd11max_functorIdEdEEDaPvRmT3_T4_T5_mT6_P12ihipStream_tbENKUlT_T0_E_clISt17integral_constantIbLb1EESX_EEDaSS_ST_EUlSS_E_NS1_11comp_targetILNS1_3genE10ELNS1_11target_archE1201ELNS1_3gpuE5ELNS1_3repE0EEENS1_30default_config_static_selectorELNS0_4arch9wavefront6targetE1EEEvT1_, .Lfunc_end3013-_ZN7rocprim17ROCPRIM_400000_NS6detail17trampoline_kernelINS0_14default_configENS1_20scan_config_selectorIdEEZZNS1_9scan_implILNS1_25lookback_scan_determinismE0ELb0ELb0ES3_N6thrust23THRUST_200600_302600_NS6detail15normal_iteratorINS9_10device_ptrIdEEEENS9_16discard_iteratorINS9_11use_defaultEEEd11max_functorIdEdEEDaPvRmT3_T4_T5_mT6_P12ihipStream_tbENKUlT_T0_E_clISt17integral_constantIbLb1EESX_EEDaSS_ST_EUlSS_E_NS1_11comp_targetILNS1_3genE10ELNS1_11target_archE1201ELNS1_3gpuE5ELNS1_3repE0EEENS1_30default_config_static_selectorELNS0_4arch9wavefront6targetE1EEEvT1_
                                        ; -- End function
	.section	.AMDGPU.csdata,"",@progbits
; Kernel info:
; codeLenInByte = 0
; NumSgprs: 4
; NumVgprs: 0
; NumAgprs: 0
; TotalNumVgprs: 0
; ScratchSize: 0
; MemoryBound: 0
; FloatMode: 240
; IeeeMode: 1
; LDSByteSize: 0 bytes/workgroup (compile time only)
; SGPRBlocks: 0
; VGPRBlocks: 0
; NumSGPRsForWavesPerEU: 4
; NumVGPRsForWavesPerEU: 1
; AccumOffset: 4
; Occupancy: 8
; WaveLimiterHint : 0
; COMPUTE_PGM_RSRC2:SCRATCH_EN: 0
; COMPUTE_PGM_RSRC2:USER_SGPR: 6
; COMPUTE_PGM_RSRC2:TRAP_HANDLER: 0
; COMPUTE_PGM_RSRC2:TGID_X_EN: 1
; COMPUTE_PGM_RSRC2:TGID_Y_EN: 0
; COMPUTE_PGM_RSRC2:TGID_Z_EN: 0
; COMPUTE_PGM_RSRC2:TIDIG_COMP_CNT: 0
; COMPUTE_PGM_RSRC3_GFX90A:ACCUM_OFFSET: 0
; COMPUTE_PGM_RSRC3_GFX90A:TG_SPLIT: 0
	.section	.text._ZN7rocprim17ROCPRIM_400000_NS6detail17trampoline_kernelINS0_14default_configENS1_20scan_config_selectorIdEEZZNS1_9scan_implILNS1_25lookback_scan_determinismE0ELb0ELb0ES3_N6thrust23THRUST_200600_302600_NS6detail15normal_iteratorINS9_10device_ptrIdEEEENS9_16discard_iteratorINS9_11use_defaultEEEd11max_functorIdEdEEDaPvRmT3_T4_T5_mT6_P12ihipStream_tbENKUlT_T0_E_clISt17integral_constantIbLb1EESX_EEDaSS_ST_EUlSS_E_NS1_11comp_targetILNS1_3genE10ELNS1_11target_archE1200ELNS1_3gpuE4ELNS1_3repE0EEENS1_30default_config_static_selectorELNS0_4arch9wavefront6targetE1EEEvT1_,"axG",@progbits,_ZN7rocprim17ROCPRIM_400000_NS6detail17trampoline_kernelINS0_14default_configENS1_20scan_config_selectorIdEEZZNS1_9scan_implILNS1_25lookback_scan_determinismE0ELb0ELb0ES3_N6thrust23THRUST_200600_302600_NS6detail15normal_iteratorINS9_10device_ptrIdEEEENS9_16discard_iteratorINS9_11use_defaultEEEd11max_functorIdEdEEDaPvRmT3_T4_T5_mT6_P12ihipStream_tbENKUlT_T0_E_clISt17integral_constantIbLb1EESX_EEDaSS_ST_EUlSS_E_NS1_11comp_targetILNS1_3genE10ELNS1_11target_archE1200ELNS1_3gpuE4ELNS1_3repE0EEENS1_30default_config_static_selectorELNS0_4arch9wavefront6targetE1EEEvT1_,comdat
	.protected	_ZN7rocprim17ROCPRIM_400000_NS6detail17trampoline_kernelINS0_14default_configENS1_20scan_config_selectorIdEEZZNS1_9scan_implILNS1_25lookback_scan_determinismE0ELb0ELb0ES3_N6thrust23THRUST_200600_302600_NS6detail15normal_iteratorINS9_10device_ptrIdEEEENS9_16discard_iteratorINS9_11use_defaultEEEd11max_functorIdEdEEDaPvRmT3_T4_T5_mT6_P12ihipStream_tbENKUlT_T0_E_clISt17integral_constantIbLb1EESX_EEDaSS_ST_EUlSS_E_NS1_11comp_targetILNS1_3genE10ELNS1_11target_archE1200ELNS1_3gpuE4ELNS1_3repE0EEENS1_30default_config_static_selectorELNS0_4arch9wavefront6targetE1EEEvT1_ ; -- Begin function _ZN7rocprim17ROCPRIM_400000_NS6detail17trampoline_kernelINS0_14default_configENS1_20scan_config_selectorIdEEZZNS1_9scan_implILNS1_25lookback_scan_determinismE0ELb0ELb0ES3_N6thrust23THRUST_200600_302600_NS6detail15normal_iteratorINS9_10device_ptrIdEEEENS9_16discard_iteratorINS9_11use_defaultEEEd11max_functorIdEdEEDaPvRmT3_T4_T5_mT6_P12ihipStream_tbENKUlT_T0_E_clISt17integral_constantIbLb1EESX_EEDaSS_ST_EUlSS_E_NS1_11comp_targetILNS1_3genE10ELNS1_11target_archE1200ELNS1_3gpuE4ELNS1_3repE0EEENS1_30default_config_static_selectorELNS0_4arch9wavefront6targetE1EEEvT1_
	.globl	_ZN7rocprim17ROCPRIM_400000_NS6detail17trampoline_kernelINS0_14default_configENS1_20scan_config_selectorIdEEZZNS1_9scan_implILNS1_25lookback_scan_determinismE0ELb0ELb0ES3_N6thrust23THRUST_200600_302600_NS6detail15normal_iteratorINS9_10device_ptrIdEEEENS9_16discard_iteratorINS9_11use_defaultEEEd11max_functorIdEdEEDaPvRmT3_T4_T5_mT6_P12ihipStream_tbENKUlT_T0_E_clISt17integral_constantIbLb1EESX_EEDaSS_ST_EUlSS_E_NS1_11comp_targetILNS1_3genE10ELNS1_11target_archE1200ELNS1_3gpuE4ELNS1_3repE0EEENS1_30default_config_static_selectorELNS0_4arch9wavefront6targetE1EEEvT1_
	.p2align	8
	.type	_ZN7rocprim17ROCPRIM_400000_NS6detail17trampoline_kernelINS0_14default_configENS1_20scan_config_selectorIdEEZZNS1_9scan_implILNS1_25lookback_scan_determinismE0ELb0ELb0ES3_N6thrust23THRUST_200600_302600_NS6detail15normal_iteratorINS9_10device_ptrIdEEEENS9_16discard_iteratorINS9_11use_defaultEEEd11max_functorIdEdEEDaPvRmT3_T4_T5_mT6_P12ihipStream_tbENKUlT_T0_E_clISt17integral_constantIbLb1EESX_EEDaSS_ST_EUlSS_E_NS1_11comp_targetILNS1_3genE10ELNS1_11target_archE1200ELNS1_3gpuE4ELNS1_3repE0EEENS1_30default_config_static_selectorELNS0_4arch9wavefront6targetE1EEEvT1_,@function
_ZN7rocprim17ROCPRIM_400000_NS6detail17trampoline_kernelINS0_14default_configENS1_20scan_config_selectorIdEEZZNS1_9scan_implILNS1_25lookback_scan_determinismE0ELb0ELb0ES3_N6thrust23THRUST_200600_302600_NS6detail15normal_iteratorINS9_10device_ptrIdEEEENS9_16discard_iteratorINS9_11use_defaultEEEd11max_functorIdEdEEDaPvRmT3_T4_T5_mT6_P12ihipStream_tbENKUlT_T0_E_clISt17integral_constantIbLb1EESX_EEDaSS_ST_EUlSS_E_NS1_11comp_targetILNS1_3genE10ELNS1_11target_archE1200ELNS1_3gpuE4ELNS1_3repE0EEENS1_30default_config_static_selectorELNS0_4arch9wavefront6targetE1EEEvT1_: ; @_ZN7rocprim17ROCPRIM_400000_NS6detail17trampoline_kernelINS0_14default_configENS1_20scan_config_selectorIdEEZZNS1_9scan_implILNS1_25lookback_scan_determinismE0ELb0ELb0ES3_N6thrust23THRUST_200600_302600_NS6detail15normal_iteratorINS9_10device_ptrIdEEEENS9_16discard_iteratorINS9_11use_defaultEEEd11max_functorIdEdEEDaPvRmT3_T4_T5_mT6_P12ihipStream_tbENKUlT_T0_E_clISt17integral_constantIbLb1EESX_EEDaSS_ST_EUlSS_E_NS1_11comp_targetILNS1_3genE10ELNS1_11target_archE1200ELNS1_3gpuE4ELNS1_3repE0EEENS1_30default_config_static_selectorELNS0_4arch9wavefront6targetE1EEEvT1_
; %bb.0:
	.section	.rodata,"a",@progbits
	.p2align	6, 0x0
	.amdhsa_kernel _ZN7rocprim17ROCPRIM_400000_NS6detail17trampoline_kernelINS0_14default_configENS1_20scan_config_selectorIdEEZZNS1_9scan_implILNS1_25lookback_scan_determinismE0ELb0ELb0ES3_N6thrust23THRUST_200600_302600_NS6detail15normal_iteratorINS9_10device_ptrIdEEEENS9_16discard_iteratorINS9_11use_defaultEEEd11max_functorIdEdEEDaPvRmT3_T4_T5_mT6_P12ihipStream_tbENKUlT_T0_E_clISt17integral_constantIbLb1EESX_EEDaSS_ST_EUlSS_E_NS1_11comp_targetILNS1_3genE10ELNS1_11target_archE1200ELNS1_3gpuE4ELNS1_3repE0EEENS1_30default_config_static_selectorELNS0_4arch9wavefront6targetE1EEEvT1_
		.amdhsa_group_segment_fixed_size 0
		.amdhsa_private_segment_fixed_size 0
		.amdhsa_kernarg_size 112
		.amdhsa_user_sgpr_count 6
		.amdhsa_user_sgpr_private_segment_buffer 1
		.amdhsa_user_sgpr_dispatch_ptr 0
		.amdhsa_user_sgpr_queue_ptr 0
		.amdhsa_user_sgpr_kernarg_segment_ptr 1
		.amdhsa_user_sgpr_dispatch_id 0
		.amdhsa_user_sgpr_flat_scratch_init 0
		.amdhsa_user_sgpr_kernarg_preload_length 0
		.amdhsa_user_sgpr_kernarg_preload_offset 0
		.amdhsa_user_sgpr_private_segment_size 0
		.amdhsa_uses_dynamic_stack 0
		.amdhsa_system_sgpr_private_segment_wavefront_offset 0
		.amdhsa_system_sgpr_workgroup_id_x 1
		.amdhsa_system_sgpr_workgroup_id_y 0
		.amdhsa_system_sgpr_workgroup_id_z 0
		.amdhsa_system_sgpr_workgroup_info 0
		.amdhsa_system_vgpr_workitem_id 0
		.amdhsa_next_free_vgpr 1
		.amdhsa_next_free_sgpr 0
		.amdhsa_accum_offset 4
		.amdhsa_reserve_vcc 0
		.amdhsa_reserve_flat_scratch 0
		.amdhsa_float_round_mode_32 0
		.amdhsa_float_round_mode_16_64 0
		.amdhsa_float_denorm_mode_32 3
		.amdhsa_float_denorm_mode_16_64 3
		.amdhsa_dx10_clamp 1
		.amdhsa_ieee_mode 1
		.amdhsa_fp16_overflow 0
		.amdhsa_tg_split 0
		.amdhsa_exception_fp_ieee_invalid_op 0
		.amdhsa_exception_fp_denorm_src 0
		.amdhsa_exception_fp_ieee_div_zero 0
		.amdhsa_exception_fp_ieee_overflow 0
		.amdhsa_exception_fp_ieee_underflow 0
		.amdhsa_exception_fp_ieee_inexact 0
		.amdhsa_exception_int_div_zero 0
	.end_amdhsa_kernel
	.section	.text._ZN7rocprim17ROCPRIM_400000_NS6detail17trampoline_kernelINS0_14default_configENS1_20scan_config_selectorIdEEZZNS1_9scan_implILNS1_25lookback_scan_determinismE0ELb0ELb0ES3_N6thrust23THRUST_200600_302600_NS6detail15normal_iteratorINS9_10device_ptrIdEEEENS9_16discard_iteratorINS9_11use_defaultEEEd11max_functorIdEdEEDaPvRmT3_T4_T5_mT6_P12ihipStream_tbENKUlT_T0_E_clISt17integral_constantIbLb1EESX_EEDaSS_ST_EUlSS_E_NS1_11comp_targetILNS1_3genE10ELNS1_11target_archE1200ELNS1_3gpuE4ELNS1_3repE0EEENS1_30default_config_static_selectorELNS0_4arch9wavefront6targetE1EEEvT1_,"axG",@progbits,_ZN7rocprim17ROCPRIM_400000_NS6detail17trampoline_kernelINS0_14default_configENS1_20scan_config_selectorIdEEZZNS1_9scan_implILNS1_25lookback_scan_determinismE0ELb0ELb0ES3_N6thrust23THRUST_200600_302600_NS6detail15normal_iteratorINS9_10device_ptrIdEEEENS9_16discard_iteratorINS9_11use_defaultEEEd11max_functorIdEdEEDaPvRmT3_T4_T5_mT6_P12ihipStream_tbENKUlT_T0_E_clISt17integral_constantIbLb1EESX_EEDaSS_ST_EUlSS_E_NS1_11comp_targetILNS1_3genE10ELNS1_11target_archE1200ELNS1_3gpuE4ELNS1_3repE0EEENS1_30default_config_static_selectorELNS0_4arch9wavefront6targetE1EEEvT1_,comdat
.Lfunc_end3014:
	.size	_ZN7rocprim17ROCPRIM_400000_NS6detail17trampoline_kernelINS0_14default_configENS1_20scan_config_selectorIdEEZZNS1_9scan_implILNS1_25lookback_scan_determinismE0ELb0ELb0ES3_N6thrust23THRUST_200600_302600_NS6detail15normal_iteratorINS9_10device_ptrIdEEEENS9_16discard_iteratorINS9_11use_defaultEEEd11max_functorIdEdEEDaPvRmT3_T4_T5_mT6_P12ihipStream_tbENKUlT_T0_E_clISt17integral_constantIbLb1EESX_EEDaSS_ST_EUlSS_E_NS1_11comp_targetILNS1_3genE10ELNS1_11target_archE1200ELNS1_3gpuE4ELNS1_3repE0EEENS1_30default_config_static_selectorELNS0_4arch9wavefront6targetE1EEEvT1_, .Lfunc_end3014-_ZN7rocprim17ROCPRIM_400000_NS6detail17trampoline_kernelINS0_14default_configENS1_20scan_config_selectorIdEEZZNS1_9scan_implILNS1_25lookback_scan_determinismE0ELb0ELb0ES3_N6thrust23THRUST_200600_302600_NS6detail15normal_iteratorINS9_10device_ptrIdEEEENS9_16discard_iteratorINS9_11use_defaultEEEd11max_functorIdEdEEDaPvRmT3_T4_T5_mT6_P12ihipStream_tbENKUlT_T0_E_clISt17integral_constantIbLb1EESX_EEDaSS_ST_EUlSS_E_NS1_11comp_targetILNS1_3genE10ELNS1_11target_archE1200ELNS1_3gpuE4ELNS1_3repE0EEENS1_30default_config_static_selectorELNS0_4arch9wavefront6targetE1EEEvT1_
                                        ; -- End function
	.section	.AMDGPU.csdata,"",@progbits
; Kernel info:
; codeLenInByte = 0
; NumSgprs: 4
; NumVgprs: 0
; NumAgprs: 0
; TotalNumVgprs: 0
; ScratchSize: 0
; MemoryBound: 0
; FloatMode: 240
; IeeeMode: 1
; LDSByteSize: 0 bytes/workgroup (compile time only)
; SGPRBlocks: 0
; VGPRBlocks: 0
; NumSGPRsForWavesPerEU: 4
; NumVGPRsForWavesPerEU: 1
; AccumOffset: 4
; Occupancy: 8
; WaveLimiterHint : 0
; COMPUTE_PGM_RSRC2:SCRATCH_EN: 0
; COMPUTE_PGM_RSRC2:USER_SGPR: 6
; COMPUTE_PGM_RSRC2:TRAP_HANDLER: 0
; COMPUTE_PGM_RSRC2:TGID_X_EN: 1
; COMPUTE_PGM_RSRC2:TGID_Y_EN: 0
; COMPUTE_PGM_RSRC2:TGID_Z_EN: 0
; COMPUTE_PGM_RSRC2:TIDIG_COMP_CNT: 0
; COMPUTE_PGM_RSRC3_GFX90A:ACCUM_OFFSET: 0
; COMPUTE_PGM_RSRC3_GFX90A:TG_SPLIT: 0
	.section	.text._ZN7rocprim17ROCPRIM_400000_NS6detail17trampoline_kernelINS0_14default_configENS1_20scan_config_selectorIdEEZZNS1_9scan_implILNS1_25lookback_scan_determinismE0ELb0ELb0ES3_N6thrust23THRUST_200600_302600_NS6detail15normal_iteratorINS9_10device_ptrIdEEEENS9_16discard_iteratorINS9_11use_defaultEEEd11max_functorIdEdEEDaPvRmT3_T4_T5_mT6_P12ihipStream_tbENKUlT_T0_E_clISt17integral_constantIbLb1EESX_EEDaSS_ST_EUlSS_E_NS1_11comp_targetILNS1_3genE9ELNS1_11target_archE1100ELNS1_3gpuE3ELNS1_3repE0EEENS1_30default_config_static_selectorELNS0_4arch9wavefront6targetE1EEEvT1_,"axG",@progbits,_ZN7rocprim17ROCPRIM_400000_NS6detail17trampoline_kernelINS0_14default_configENS1_20scan_config_selectorIdEEZZNS1_9scan_implILNS1_25lookback_scan_determinismE0ELb0ELb0ES3_N6thrust23THRUST_200600_302600_NS6detail15normal_iteratorINS9_10device_ptrIdEEEENS9_16discard_iteratorINS9_11use_defaultEEEd11max_functorIdEdEEDaPvRmT3_T4_T5_mT6_P12ihipStream_tbENKUlT_T0_E_clISt17integral_constantIbLb1EESX_EEDaSS_ST_EUlSS_E_NS1_11comp_targetILNS1_3genE9ELNS1_11target_archE1100ELNS1_3gpuE3ELNS1_3repE0EEENS1_30default_config_static_selectorELNS0_4arch9wavefront6targetE1EEEvT1_,comdat
	.protected	_ZN7rocprim17ROCPRIM_400000_NS6detail17trampoline_kernelINS0_14default_configENS1_20scan_config_selectorIdEEZZNS1_9scan_implILNS1_25lookback_scan_determinismE0ELb0ELb0ES3_N6thrust23THRUST_200600_302600_NS6detail15normal_iteratorINS9_10device_ptrIdEEEENS9_16discard_iteratorINS9_11use_defaultEEEd11max_functorIdEdEEDaPvRmT3_T4_T5_mT6_P12ihipStream_tbENKUlT_T0_E_clISt17integral_constantIbLb1EESX_EEDaSS_ST_EUlSS_E_NS1_11comp_targetILNS1_3genE9ELNS1_11target_archE1100ELNS1_3gpuE3ELNS1_3repE0EEENS1_30default_config_static_selectorELNS0_4arch9wavefront6targetE1EEEvT1_ ; -- Begin function _ZN7rocprim17ROCPRIM_400000_NS6detail17trampoline_kernelINS0_14default_configENS1_20scan_config_selectorIdEEZZNS1_9scan_implILNS1_25lookback_scan_determinismE0ELb0ELb0ES3_N6thrust23THRUST_200600_302600_NS6detail15normal_iteratorINS9_10device_ptrIdEEEENS9_16discard_iteratorINS9_11use_defaultEEEd11max_functorIdEdEEDaPvRmT3_T4_T5_mT6_P12ihipStream_tbENKUlT_T0_E_clISt17integral_constantIbLb1EESX_EEDaSS_ST_EUlSS_E_NS1_11comp_targetILNS1_3genE9ELNS1_11target_archE1100ELNS1_3gpuE3ELNS1_3repE0EEENS1_30default_config_static_selectorELNS0_4arch9wavefront6targetE1EEEvT1_
	.globl	_ZN7rocprim17ROCPRIM_400000_NS6detail17trampoline_kernelINS0_14default_configENS1_20scan_config_selectorIdEEZZNS1_9scan_implILNS1_25lookback_scan_determinismE0ELb0ELb0ES3_N6thrust23THRUST_200600_302600_NS6detail15normal_iteratorINS9_10device_ptrIdEEEENS9_16discard_iteratorINS9_11use_defaultEEEd11max_functorIdEdEEDaPvRmT3_T4_T5_mT6_P12ihipStream_tbENKUlT_T0_E_clISt17integral_constantIbLb1EESX_EEDaSS_ST_EUlSS_E_NS1_11comp_targetILNS1_3genE9ELNS1_11target_archE1100ELNS1_3gpuE3ELNS1_3repE0EEENS1_30default_config_static_selectorELNS0_4arch9wavefront6targetE1EEEvT1_
	.p2align	8
	.type	_ZN7rocprim17ROCPRIM_400000_NS6detail17trampoline_kernelINS0_14default_configENS1_20scan_config_selectorIdEEZZNS1_9scan_implILNS1_25lookback_scan_determinismE0ELb0ELb0ES3_N6thrust23THRUST_200600_302600_NS6detail15normal_iteratorINS9_10device_ptrIdEEEENS9_16discard_iteratorINS9_11use_defaultEEEd11max_functorIdEdEEDaPvRmT3_T4_T5_mT6_P12ihipStream_tbENKUlT_T0_E_clISt17integral_constantIbLb1EESX_EEDaSS_ST_EUlSS_E_NS1_11comp_targetILNS1_3genE9ELNS1_11target_archE1100ELNS1_3gpuE3ELNS1_3repE0EEENS1_30default_config_static_selectorELNS0_4arch9wavefront6targetE1EEEvT1_,@function
_ZN7rocprim17ROCPRIM_400000_NS6detail17trampoline_kernelINS0_14default_configENS1_20scan_config_selectorIdEEZZNS1_9scan_implILNS1_25lookback_scan_determinismE0ELb0ELb0ES3_N6thrust23THRUST_200600_302600_NS6detail15normal_iteratorINS9_10device_ptrIdEEEENS9_16discard_iteratorINS9_11use_defaultEEEd11max_functorIdEdEEDaPvRmT3_T4_T5_mT6_P12ihipStream_tbENKUlT_T0_E_clISt17integral_constantIbLb1EESX_EEDaSS_ST_EUlSS_E_NS1_11comp_targetILNS1_3genE9ELNS1_11target_archE1100ELNS1_3gpuE3ELNS1_3repE0EEENS1_30default_config_static_selectorELNS0_4arch9wavefront6targetE1EEEvT1_: ; @_ZN7rocprim17ROCPRIM_400000_NS6detail17trampoline_kernelINS0_14default_configENS1_20scan_config_selectorIdEEZZNS1_9scan_implILNS1_25lookback_scan_determinismE0ELb0ELb0ES3_N6thrust23THRUST_200600_302600_NS6detail15normal_iteratorINS9_10device_ptrIdEEEENS9_16discard_iteratorINS9_11use_defaultEEEd11max_functorIdEdEEDaPvRmT3_T4_T5_mT6_P12ihipStream_tbENKUlT_T0_E_clISt17integral_constantIbLb1EESX_EEDaSS_ST_EUlSS_E_NS1_11comp_targetILNS1_3genE9ELNS1_11target_archE1100ELNS1_3gpuE3ELNS1_3repE0EEENS1_30default_config_static_selectorELNS0_4arch9wavefront6targetE1EEEvT1_
; %bb.0:
	.section	.rodata,"a",@progbits
	.p2align	6, 0x0
	.amdhsa_kernel _ZN7rocprim17ROCPRIM_400000_NS6detail17trampoline_kernelINS0_14default_configENS1_20scan_config_selectorIdEEZZNS1_9scan_implILNS1_25lookback_scan_determinismE0ELb0ELb0ES3_N6thrust23THRUST_200600_302600_NS6detail15normal_iteratorINS9_10device_ptrIdEEEENS9_16discard_iteratorINS9_11use_defaultEEEd11max_functorIdEdEEDaPvRmT3_T4_T5_mT6_P12ihipStream_tbENKUlT_T0_E_clISt17integral_constantIbLb1EESX_EEDaSS_ST_EUlSS_E_NS1_11comp_targetILNS1_3genE9ELNS1_11target_archE1100ELNS1_3gpuE3ELNS1_3repE0EEENS1_30default_config_static_selectorELNS0_4arch9wavefront6targetE1EEEvT1_
		.amdhsa_group_segment_fixed_size 0
		.amdhsa_private_segment_fixed_size 0
		.amdhsa_kernarg_size 112
		.amdhsa_user_sgpr_count 6
		.amdhsa_user_sgpr_private_segment_buffer 1
		.amdhsa_user_sgpr_dispatch_ptr 0
		.amdhsa_user_sgpr_queue_ptr 0
		.amdhsa_user_sgpr_kernarg_segment_ptr 1
		.amdhsa_user_sgpr_dispatch_id 0
		.amdhsa_user_sgpr_flat_scratch_init 0
		.amdhsa_user_sgpr_kernarg_preload_length 0
		.amdhsa_user_sgpr_kernarg_preload_offset 0
		.amdhsa_user_sgpr_private_segment_size 0
		.amdhsa_uses_dynamic_stack 0
		.amdhsa_system_sgpr_private_segment_wavefront_offset 0
		.amdhsa_system_sgpr_workgroup_id_x 1
		.amdhsa_system_sgpr_workgroup_id_y 0
		.amdhsa_system_sgpr_workgroup_id_z 0
		.amdhsa_system_sgpr_workgroup_info 0
		.amdhsa_system_vgpr_workitem_id 0
		.amdhsa_next_free_vgpr 1
		.amdhsa_next_free_sgpr 0
		.amdhsa_accum_offset 4
		.amdhsa_reserve_vcc 0
		.amdhsa_reserve_flat_scratch 0
		.amdhsa_float_round_mode_32 0
		.amdhsa_float_round_mode_16_64 0
		.amdhsa_float_denorm_mode_32 3
		.amdhsa_float_denorm_mode_16_64 3
		.amdhsa_dx10_clamp 1
		.amdhsa_ieee_mode 1
		.amdhsa_fp16_overflow 0
		.amdhsa_tg_split 0
		.amdhsa_exception_fp_ieee_invalid_op 0
		.amdhsa_exception_fp_denorm_src 0
		.amdhsa_exception_fp_ieee_div_zero 0
		.amdhsa_exception_fp_ieee_overflow 0
		.amdhsa_exception_fp_ieee_underflow 0
		.amdhsa_exception_fp_ieee_inexact 0
		.amdhsa_exception_int_div_zero 0
	.end_amdhsa_kernel
	.section	.text._ZN7rocprim17ROCPRIM_400000_NS6detail17trampoline_kernelINS0_14default_configENS1_20scan_config_selectorIdEEZZNS1_9scan_implILNS1_25lookback_scan_determinismE0ELb0ELb0ES3_N6thrust23THRUST_200600_302600_NS6detail15normal_iteratorINS9_10device_ptrIdEEEENS9_16discard_iteratorINS9_11use_defaultEEEd11max_functorIdEdEEDaPvRmT3_T4_T5_mT6_P12ihipStream_tbENKUlT_T0_E_clISt17integral_constantIbLb1EESX_EEDaSS_ST_EUlSS_E_NS1_11comp_targetILNS1_3genE9ELNS1_11target_archE1100ELNS1_3gpuE3ELNS1_3repE0EEENS1_30default_config_static_selectorELNS0_4arch9wavefront6targetE1EEEvT1_,"axG",@progbits,_ZN7rocprim17ROCPRIM_400000_NS6detail17trampoline_kernelINS0_14default_configENS1_20scan_config_selectorIdEEZZNS1_9scan_implILNS1_25lookback_scan_determinismE0ELb0ELb0ES3_N6thrust23THRUST_200600_302600_NS6detail15normal_iteratorINS9_10device_ptrIdEEEENS9_16discard_iteratorINS9_11use_defaultEEEd11max_functorIdEdEEDaPvRmT3_T4_T5_mT6_P12ihipStream_tbENKUlT_T0_E_clISt17integral_constantIbLb1EESX_EEDaSS_ST_EUlSS_E_NS1_11comp_targetILNS1_3genE9ELNS1_11target_archE1100ELNS1_3gpuE3ELNS1_3repE0EEENS1_30default_config_static_selectorELNS0_4arch9wavefront6targetE1EEEvT1_,comdat
.Lfunc_end3015:
	.size	_ZN7rocprim17ROCPRIM_400000_NS6detail17trampoline_kernelINS0_14default_configENS1_20scan_config_selectorIdEEZZNS1_9scan_implILNS1_25lookback_scan_determinismE0ELb0ELb0ES3_N6thrust23THRUST_200600_302600_NS6detail15normal_iteratorINS9_10device_ptrIdEEEENS9_16discard_iteratorINS9_11use_defaultEEEd11max_functorIdEdEEDaPvRmT3_T4_T5_mT6_P12ihipStream_tbENKUlT_T0_E_clISt17integral_constantIbLb1EESX_EEDaSS_ST_EUlSS_E_NS1_11comp_targetILNS1_3genE9ELNS1_11target_archE1100ELNS1_3gpuE3ELNS1_3repE0EEENS1_30default_config_static_selectorELNS0_4arch9wavefront6targetE1EEEvT1_, .Lfunc_end3015-_ZN7rocprim17ROCPRIM_400000_NS6detail17trampoline_kernelINS0_14default_configENS1_20scan_config_selectorIdEEZZNS1_9scan_implILNS1_25lookback_scan_determinismE0ELb0ELb0ES3_N6thrust23THRUST_200600_302600_NS6detail15normal_iteratorINS9_10device_ptrIdEEEENS9_16discard_iteratorINS9_11use_defaultEEEd11max_functorIdEdEEDaPvRmT3_T4_T5_mT6_P12ihipStream_tbENKUlT_T0_E_clISt17integral_constantIbLb1EESX_EEDaSS_ST_EUlSS_E_NS1_11comp_targetILNS1_3genE9ELNS1_11target_archE1100ELNS1_3gpuE3ELNS1_3repE0EEENS1_30default_config_static_selectorELNS0_4arch9wavefront6targetE1EEEvT1_
                                        ; -- End function
	.section	.AMDGPU.csdata,"",@progbits
; Kernel info:
; codeLenInByte = 0
; NumSgprs: 4
; NumVgprs: 0
; NumAgprs: 0
; TotalNumVgprs: 0
; ScratchSize: 0
; MemoryBound: 0
; FloatMode: 240
; IeeeMode: 1
; LDSByteSize: 0 bytes/workgroup (compile time only)
; SGPRBlocks: 0
; VGPRBlocks: 0
; NumSGPRsForWavesPerEU: 4
; NumVGPRsForWavesPerEU: 1
; AccumOffset: 4
; Occupancy: 8
; WaveLimiterHint : 0
; COMPUTE_PGM_RSRC2:SCRATCH_EN: 0
; COMPUTE_PGM_RSRC2:USER_SGPR: 6
; COMPUTE_PGM_RSRC2:TRAP_HANDLER: 0
; COMPUTE_PGM_RSRC2:TGID_X_EN: 1
; COMPUTE_PGM_RSRC2:TGID_Y_EN: 0
; COMPUTE_PGM_RSRC2:TGID_Z_EN: 0
; COMPUTE_PGM_RSRC2:TIDIG_COMP_CNT: 0
; COMPUTE_PGM_RSRC3_GFX90A:ACCUM_OFFSET: 0
; COMPUTE_PGM_RSRC3_GFX90A:TG_SPLIT: 0
	.section	.text._ZN7rocprim17ROCPRIM_400000_NS6detail17trampoline_kernelINS0_14default_configENS1_20scan_config_selectorIdEEZZNS1_9scan_implILNS1_25lookback_scan_determinismE0ELb0ELb0ES3_N6thrust23THRUST_200600_302600_NS6detail15normal_iteratorINS9_10device_ptrIdEEEENS9_16discard_iteratorINS9_11use_defaultEEEd11max_functorIdEdEEDaPvRmT3_T4_T5_mT6_P12ihipStream_tbENKUlT_T0_E_clISt17integral_constantIbLb1EESX_EEDaSS_ST_EUlSS_E_NS1_11comp_targetILNS1_3genE8ELNS1_11target_archE1030ELNS1_3gpuE2ELNS1_3repE0EEENS1_30default_config_static_selectorELNS0_4arch9wavefront6targetE1EEEvT1_,"axG",@progbits,_ZN7rocprim17ROCPRIM_400000_NS6detail17trampoline_kernelINS0_14default_configENS1_20scan_config_selectorIdEEZZNS1_9scan_implILNS1_25lookback_scan_determinismE0ELb0ELb0ES3_N6thrust23THRUST_200600_302600_NS6detail15normal_iteratorINS9_10device_ptrIdEEEENS9_16discard_iteratorINS9_11use_defaultEEEd11max_functorIdEdEEDaPvRmT3_T4_T5_mT6_P12ihipStream_tbENKUlT_T0_E_clISt17integral_constantIbLb1EESX_EEDaSS_ST_EUlSS_E_NS1_11comp_targetILNS1_3genE8ELNS1_11target_archE1030ELNS1_3gpuE2ELNS1_3repE0EEENS1_30default_config_static_selectorELNS0_4arch9wavefront6targetE1EEEvT1_,comdat
	.protected	_ZN7rocprim17ROCPRIM_400000_NS6detail17trampoline_kernelINS0_14default_configENS1_20scan_config_selectorIdEEZZNS1_9scan_implILNS1_25lookback_scan_determinismE0ELb0ELb0ES3_N6thrust23THRUST_200600_302600_NS6detail15normal_iteratorINS9_10device_ptrIdEEEENS9_16discard_iteratorINS9_11use_defaultEEEd11max_functorIdEdEEDaPvRmT3_T4_T5_mT6_P12ihipStream_tbENKUlT_T0_E_clISt17integral_constantIbLb1EESX_EEDaSS_ST_EUlSS_E_NS1_11comp_targetILNS1_3genE8ELNS1_11target_archE1030ELNS1_3gpuE2ELNS1_3repE0EEENS1_30default_config_static_selectorELNS0_4arch9wavefront6targetE1EEEvT1_ ; -- Begin function _ZN7rocprim17ROCPRIM_400000_NS6detail17trampoline_kernelINS0_14default_configENS1_20scan_config_selectorIdEEZZNS1_9scan_implILNS1_25lookback_scan_determinismE0ELb0ELb0ES3_N6thrust23THRUST_200600_302600_NS6detail15normal_iteratorINS9_10device_ptrIdEEEENS9_16discard_iteratorINS9_11use_defaultEEEd11max_functorIdEdEEDaPvRmT3_T4_T5_mT6_P12ihipStream_tbENKUlT_T0_E_clISt17integral_constantIbLb1EESX_EEDaSS_ST_EUlSS_E_NS1_11comp_targetILNS1_3genE8ELNS1_11target_archE1030ELNS1_3gpuE2ELNS1_3repE0EEENS1_30default_config_static_selectorELNS0_4arch9wavefront6targetE1EEEvT1_
	.globl	_ZN7rocprim17ROCPRIM_400000_NS6detail17trampoline_kernelINS0_14default_configENS1_20scan_config_selectorIdEEZZNS1_9scan_implILNS1_25lookback_scan_determinismE0ELb0ELb0ES3_N6thrust23THRUST_200600_302600_NS6detail15normal_iteratorINS9_10device_ptrIdEEEENS9_16discard_iteratorINS9_11use_defaultEEEd11max_functorIdEdEEDaPvRmT3_T4_T5_mT6_P12ihipStream_tbENKUlT_T0_E_clISt17integral_constantIbLb1EESX_EEDaSS_ST_EUlSS_E_NS1_11comp_targetILNS1_3genE8ELNS1_11target_archE1030ELNS1_3gpuE2ELNS1_3repE0EEENS1_30default_config_static_selectorELNS0_4arch9wavefront6targetE1EEEvT1_
	.p2align	8
	.type	_ZN7rocprim17ROCPRIM_400000_NS6detail17trampoline_kernelINS0_14default_configENS1_20scan_config_selectorIdEEZZNS1_9scan_implILNS1_25lookback_scan_determinismE0ELb0ELb0ES3_N6thrust23THRUST_200600_302600_NS6detail15normal_iteratorINS9_10device_ptrIdEEEENS9_16discard_iteratorINS9_11use_defaultEEEd11max_functorIdEdEEDaPvRmT3_T4_T5_mT6_P12ihipStream_tbENKUlT_T0_E_clISt17integral_constantIbLb1EESX_EEDaSS_ST_EUlSS_E_NS1_11comp_targetILNS1_3genE8ELNS1_11target_archE1030ELNS1_3gpuE2ELNS1_3repE0EEENS1_30default_config_static_selectorELNS0_4arch9wavefront6targetE1EEEvT1_,@function
_ZN7rocprim17ROCPRIM_400000_NS6detail17trampoline_kernelINS0_14default_configENS1_20scan_config_selectorIdEEZZNS1_9scan_implILNS1_25lookback_scan_determinismE0ELb0ELb0ES3_N6thrust23THRUST_200600_302600_NS6detail15normal_iteratorINS9_10device_ptrIdEEEENS9_16discard_iteratorINS9_11use_defaultEEEd11max_functorIdEdEEDaPvRmT3_T4_T5_mT6_P12ihipStream_tbENKUlT_T0_E_clISt17integral_constantIbLb1EESX_EEDaSS_ST_EUlSS_E_NS1_11comp_targetILNS1_3genE8ELNS1_11target_archE1030ELNS1_3gpuE2ELNS1_3repE0EEENS1_30default_config_static_selectorELNS0_4arch9wavefront6targetE1EEEvT1_: ; @_ZN7rocprim17ROCPRIM_400000_NS6detail17trampoline_kernelINS0_14default_configENS1_20scan_config_selectorIdEEZZNS1_9scan_implILNS1_25lookback_scan_determinismE0ELb0ELb0ES3_N6thrust23THRUST_200600_302600_NS6detail15normal_iteratorINS9_10device_ptrIdEEEENS9_16discard_iteratorINS9_11use_defaultEEEd11max_functorIdEdEEDaPvRmT3_T4_T5_mT6_P12ihipStream_tbENKUlT_T0_E_clISt17integral_constantIbLb1EESX_EEDaSS_ST_EUlSS_E_NS1_11comp_targetILNS1_3genE8ELNS1_11target_archE1030ELNS1_3gpuE2ELNS1_3repE0EEENS1_30default_config_static_selectorELNS0_4arch9wavefront6targetE1EEEvT1_
; %bb.0:
	.section	.rodata,"a",@progbits
	.p2align	6, 0x0
	.amdhsa_kernel _ZN7rocprim17ROCPRIM_400000_NS6detail17trampoline_kernelINS0_14default_configENS1_20scan_config_selectorIdEEZZNS1_9scan_implILNS1_25lookback_scan_determinismE0ELb0ELb0ES3_N6thrust23THRUST_200600_302600_NS6detail15normal_iteratorINS9_10device_ptrIdEEEENS9_16discard_iteratorINS9_11use_defaultEEEd11max_functorIdEdEEDaPvRmT3_T4_T5_mT6_P12ihipStream_tbENKUlT_T0_E_clISt17integral_constantIbLb1EESX_EEDaSS_ST_EUlSS_E_NS1_11comp_targetILNS1_3genE8ELNS1_11target_archE1030ELNS1_3gpuE2ELNS1_3repE0EEENS1_30default_config_static_selectorELNS0_4arch9wavefront6targetE1EEEvT1_
		.amdhsa_group_segment_fixed_size 0
		.amdhsa_private_segment_fixed_size 0
		.amdhsa_kernarg_size 112
		.amdhsa_user_sgpr_count 6
		.amdhsa_user_sgpr_private_segment_buffer 1
		.amdhsa_user_sgpr_dispatch_ptr 0
		.amdhsa_user_sgpr_queue_ptr 0
		.amdhsa_user_sgpr_kernarg_segment_ptr 1
		.amdhsa_user_sgpr_dispatch_id 0
		.amdhsa_user_sgpr_flat_scratch_init 0
		.amdhsa_user_sgpr_kernarg_preload_length 0
		.amdhsa_user_sgpr_kernarg_preload_offset 0
		.amdhsa_user_sgpr_private_segment_size 0
		.amdhsa_uses_dynamic_stack 0
		.amdhsa_system_sgpr_private_segment_wavefront_offset 0
		.amdhsa_system_sgpr_workgroup_id_x 1
		.amdhsa_system_sgpr_workgroup_id_y 0
		.amdhsa_system_sgpr_workgroup_id_z 0
		.amdhsa_system_sgpr_workgroup_info 0
		.amdhsa_system_vgpr_workitem_id 0
		.amdhsa_next_free_vgpr 1
		.amdhsa_next_free_sgpr 0
		.amdhsa_accum_offset 4
		.amdhsa_reserve_vcc 0
		.amdhsa_reserve_flat_scratch 0
		.amdhsa_float_round_mode_32 0
		.amdhsa_float_round_mode_16_64 0
		.amdhsa_float_denorm_mode_32 3
		.amdhsa_float_denorm_mode_16_64 3
		.amdhsa_dx10_clamp 1
		.amdhsa_ieee_mode 1
		.amdhsa_fp16_overflow 0
		.amdhsa_tg_split 0
		.amdhsa_exception_fp_ieee_invalid_op 0
		.amdhsa_exception_fp_denorm_src 0
		.amdhsa_exception_fp_ieee_div_zero 0
		.amdhsa_exception_fp_ieee_overflow 0
		.amdhsa_exception_fp_ieee_underflow 0
		.amdhsa_exception_fp_ieee_inexact 0
		.amdhsa_exception_int_div_zero 0
	.end_amdhsa_kernel
	.section	.text._ZN7rocprim17ROCPRIM_400000_NS6detail17trampoline_kernelINS0_14default_configENS1_20scan_config_selectorIdEEZZNS1_9scan_implILNS1_25lookback_scan_determinismE0ELb0ELb0ES3_N6thrust23THRUST_200600_302600_NS6detail15normal_iteratorINS9_10device_ptrIdEEEENS9_16discard_iteratorINS9_11use_defaultEEEd11max_functorIdEdEEDaPvRmT3_T4_T5_mT6_P12ihipStream_tbENKUlT_T0_E_clISt17integral_constantIbLb1EESX_EEDaSS_ST_EUlSS_E_NS1_11comp_targetILNS1_3genE8ELNS1_11target_archE1030ELNS1_3gpuE2ELNS1_3repE0EEENS1_30default_config_static_selectorELNS0_4arch9wavefront6targetE1EEEvT1_,"axG",@progbits,_ZN7rocprim17ROCPRIM_400000_NS6detail17trampoline_kernelINS0_14default_configENS1_20scan_config_selectorIdEEZZNS1_9scan_implILNS1_25lookback_scan_determinismE0ELb0ELb0ES3_N6thrust23THRUST_200600_302600_NS6detail15normal_iteratorINS9_10device_ptrIdEEEENS9_16discard_iteratorINS9_11use_defaultEEEd11max_functorIdEdEEDaPvRmT3_T4_T5_mT6_P12ihipStream_tbENKUlT_T0_E_clISt17integral_constantIbLb1EESX_EEDaSS_ST_EUlSS_E_NS1_11comp_targetILNS1_3genE8ELNS1_11target_archE1030ELNS1_3gpuE2ELNS1_3repE0EEENS1_30default_config_static_selectorELNS0_4arch9wavefront6targetE1EEEvT1_,comdat
.Lfunc_end3016:
	.size	_ZN7rocprim17ROCPRIM_400000_NS6detail17trampoline_kernelINS0_14default_configENS1_20scan_config_selectorIdEEZZNS1_9scan_implILNS1_25lookback_scan_determinismE0ELb0ELb0ES3_N6thrust23THRUST_200600_302600_NS6detail15normal_iteratorINS9_10device_ptrIdEEEENS9_16discard_iteratorINS9_11use_defaultEEEd11max_functorIdEdEEDaPvRmT3_T4_T5_mT6_P12ihipStream_tbENKUlT_T0_E_clISt17integral_constantIbLb1EESX_EEDaSS_ST_EUlSS_E_NS1_11comp_targetILNS1_3genE8ELNS1_11target_archE1030ELNS1_3gpuE2ELNS1_3repE0EEENS1_30default_config_static_selectorELNS0_4arch9wavefront6targetE1EEEvT1_, .Lfunc_end3016-_ZN7rocprim17ROCPRIM_400000_NS6detail17trampoline_kernelINS0_14default_configENS1_20scan_config_selectorIdEEZZNS1_9scan_implILNS1_25lookback_scan_determinismE0ELb0ELb0ES3_N6thrust23THRUST_200600_302600_NS6detail15normal_iteratorINS9_10device_ptrIdEEEENS9_16discard_iteratorINS9_11use_defaultEEEd11max_functorIdEdEEDaPvRmT3_T4_T5_mT6_P12ihipStream_tbENKUlT_T0_E_clISt17integral_constantIbLb1EESX_EEDaSS_ST_EUlSS_E_NS1_11comp_targetILNS1_3genE8ELNS1_11target_archE1030ELNS1_3gpuE2ELNS1_3repE0EEENS1_30default_config_static_selectorELNS0_4arch9wavefront6targetE1EEEvT1_
                                        ; -- End function
	.section	.AMDGPU.csdata,"",@progbits
; Kernel info:
; codeLenInByte = 0
; NumSgprs: 4
; NumVgprs: 0
; NumAgprs: 0
; TotalNumVgprs: 0
; ScratchSize: 0
; MemoryBound: 0
; FloatMode: 240
; IeeeMode: 1
; LDSByteSize: 0 bytes/workgroup (compile time only)
; SGPRBlocks: 0
; VGPRBlocks: 0
; NumSGPRsForWavesPerEU: 4
; NumVGPRsForWavesPerEU: 1
; AccumOffset: 4
; Occupancy: 8
; WaveLimiterHint : 0
; COMPUTE_PGM_RSRC2:SCRATCH_EN: 0
; COMPUTE_PGM_RSRC2:USER_SGPR: 6
; COMPUTE_PGM_RSRC2:TRAP_HANDLER: 0
; COMPUTE_PGM_RSRC2:TGID_X_EN: 1
; COMPUTE_PGM_RSRC2:TGID_Y_EN: 0
; COMPUTE_PGM_RSRC2:TGID_Z_EN: 0
; COMPUTE_PGM_RSRC2:TIDIG_COMP_CNT: 0
; COMPUTE_PGM_RSRC3_GFX90A:ACCUM_OFFSET: 0
; COMPUTE_PGM_RSRC3_GFX90A:TG_SPLIT: 0
	.section	.text._ZN7rocprim17ROCPRIM_400000_NS6detail17trampoline_kernelINS0_14default_configENS1_20scan_config_selectorIdEEZZNS1_9scan_implILNS1_25lookback_scan_determinismE0ELb0ELb0ES3_N6thrust23THRUST_200600_302600_NS6detail15normal_iteratorINS9_10device_ptrIdEEEENS9_16discard_iteratorINS9_11use_defaultEEEd11max_functorIdEdEEDaPvRmT3_T4_T5_mT6_P12ihipStream_tbENKUlT_T0_E_clISt17integral_constantIbLb1EESX_EEDaSS_ST_EUlSS_E0_NS1_11comp_targetILNS1_3genE0ELNS1_11target_archE4294967295ELNS1_3gpuE0ELNS1_3repE0EEENS1_30default_config_static_selectorELNS0_4arch9wavefront6targetE1EEEvT1_,"axG",@progbits,_ZN7rocprim17ROCPRIM_400000_NS6detail17trampoline_kernelINS0_14default_configENS1_20scan_config_selectorIdEEZZNS1_9scan_implILNS1_25lookback_scan_determinismE0ELb0ELb0ES3_N6thrust23THRUST_200600_302600_NS6detail15normal_iteratorINS9_10device_ptrIdEEEENS9_16discard_iteratorINS9_11use_defaultEEEd11max_functorIdEdEEDaPvRmT3_T4_T5_mT6_P12ihipStream_tbENKUlT_T0_E_clISt17integral_constantIbLb1EESX_EEDaSS_ST_EUlSS_E0_NS1_11comp_targetILNS1_3genE0ELNS1_11target_archE4294967295ELNS1_3gpuE0ELNS1_3repE0EEENS1_30default_config_static_selectorELNS0_4arch9wavefront6targetE1EEEvT1_,comdat
	.protected	_ZN7rocprim17ROCPRIM_400000_NS6detail17trampoline_kernelINS0_14default_configENS1_20scan_config_selectorIdEEZZNS1_9scan_implILNS1_25lookback_scan_determinismE0ELb0ELb0ES3_N6thrust23THRUST_200600_302600_NS6detail15normal_iteratorINS9_10device_ptrIdEEEENS9_16discard_iteratorINS9_11use_defaultEEEd11max_functorIdEdEEDaPvRmT3_T4_T5_mT6_P12ihipStream_tbENKUlT_T0_E_clISt17integral_constantIbLb1EESX_EEDaSS_ST_EUlSS_E0_NS1_11comp_targetILNS1_3genE0ELNS1_11target_archE4294967295ELNS1_3gpuE0ELNS1_3repE0EEENS1_30default_config_static_selectorELNS0_4arch9wavefront6targetE1EEEvT1_ ; -- Begin function _ZN7rocprim17ROCPRIM_400000_NS6detail17trampoline_kernelINS0_14default_configENS1_20scan_config_selectorIdEEZZNS1_9scan_implILNS1_25lookback_scan_determinismE0ELb0ELb0ES3_N6thrust23THRUST_200600_302600_NS6detail15normal_iteratorINS9_10device_ptrIdEEEENS9_16discard_iteratorINS9_11use_defaultEEEd11max_functorIdEdEEDaPvRmT3_T4_T5_mT6_P12ihipStream_tbENKUlT_T0_E_clISt17integral_constantIbLb1EESX_EEDaSS_ST_EUlSS_E0_NS1_11comp_targetILNS1_3genE0ELNS1_11target_archE4294967295ELNS1_3gpuE0ELNS1_3repE0EEENS1_30default_config_static_selectorELNS0_4arch9wavefront6targetE1EEEvT1_
	.globl	_ZN7rocprim17ROCPRIM_400000_NS6detail17trampoline_kernelINS0_14default_configENS1_20scan_config_selectorIdEEZZNS1_9scan_implILNS1_25lookback_scan_determinismE0ELb0ELb0ES3_N6thrust23THRUST_200600_302600_NS6detail15normal_iteratorINS9_10device_ptrIdEEEENS9_16discard_iteratorINS9_11use_defaultEEEd11max_functorIdEdEEDaPvRmT3_T4_T5_mT6_P12ihipStream_tbENKUlT_T0_E_clISt17integral_constantIbLb1EESX_EEDaSS_ST_EUlSS_E0_NS1_11comp_targetILNS1_3genE0ELNS1_11target_archE4294967295ELNS1_3gpuE0ELNS1_3repE0EEENS1_30default_config_static_selectorELNS0_4arch9wavefront6targetE1EEEvT1_
	.p2align	8
	.type	_ZN7rocprim17ROCPRIM_400000_NS6detail17trampoline_kernelINS0_14default_configENS1_20scan_config_selectorIdEEZZNS1_9scan_implILNS1_25lookback_scan_determinismE0ELb0ELb0ES3_N6thrust23THRUST_200600_302600_NS6detail15normal_iteratorINS9_10device_ptrIdEEEENS9_16discard_iteratorINS9_11use_defaultEEEd11max_functorIdEdEEDaPvRmT3_T4_T5_mT6_P12ihipStream_tbENKUlT_T0_E_clISt17integral_constantIbLb1EESX_EEDaSS_ST_EUlSS_E0_NS1_11comp_targetILNS1_3genE0ELNS1_11target_archE4294967295ELNS1_3gpuE0ELNS1_3repE0EEENS1_30default_config_static_selectorELNS0_4arch9wavefront6targetE1EEEvT1_,@function
_ZN7rocprim17ROCPRIM_400000_NS6detail17trampoline_kernelINS0_14default_configENS1_20scan_config_selectorIdEEZZNS1_9scan_implILNS1_25lookback_scan_determinismE0ELb0ELb0ES3_N6thrust23THRUST_200600_302600_NS6detail15normal_iteratorINS9_10device_ptrIdEEEENS9_16discard_iteratorINS9_11use_defaultEEEd11max_functorIdEdEEDaPvRmT3_T4_T5_mT6_P12ihipStream_tbENKUlT_T0_E_clISt17integral_constantIbLb1EESX_EEDaSS_ST_EUlSS_E0_NS1_11comp_targetILNS1_3genE0ELNS1_11target_archE4294967295ELNS1_3gpuE0ELNS1_3repE0EEENS1_30default_config_static_selectorELNS0_4arch9wavefront6targetE1EEEvT1_: ; @_ZN7rocprim17ROCPRIM_400000_NS6detail17trampoline_kernelINS0_14default_configENS1_20scan_config_selectorIdEEZZNS1_9scan_implILNS1_25lookback_scan_determinismE0ELb0ELb0ES3_N6thrust23THRUST_200600_302600_NS6detail15normal_iteratorINS9_10device_ptrIdEEEENS9_16discard_iteratorINS9_11use_defaultEEEd11max_functorIdEdEEDaPvRmT3_T4_T5_mT6_P12ihipStream_tbENKUlT_T0_E_clISt17integral_constantIbLb1EESX_EEDaSS_ST_EUlSS_E0_NS1_11comp_targetILNS1_3genE0ELNS1_11target_archE4294967295ELNS1_3gpuE0ELNS1_3repE0EEENS1_30default_config_static_selectorELNS0_4arch9wavefront6targetE1EEEvT1_
; %bb.0:
	.section	.rodata,"a",@progbits
	.p2align	6, 0x0
	.amdhsa_kernel _ZN7rocprim17ROCPRIM_400000_NS6detail17trampoline_kernelINS0_14default_configENS1_20scan_config_selectorIdEEZZNS1_9scan_implILNS1_25lookback_scan_determinismE0ELb0ELb0ES3_N6thrust23THRUST_200600_302600_NS6detail15normal_iteratorINS9_10device_ptrIdEEEENS9_16discard_iteratorINS9_11use_defaultEEEd11max_functorIdEdEEDaPvRmT3_T4_T5_mT6_P12ihipStream_tbENKUlT_T0_E_clISt17integral_constantIbLb1EESX_EEDaSS_ST_EUlSS_E0_NS1_11comp_targetILNS1_3genE0ELNS1_11target_archE4294967295ELNS1_3gpuE0ELNS1_3repE0EEENS1_30default_config_static_selectorELNS0_4arch9wavefront6targetE1EEEvT1_
		.amdhsa_group_segment_fixed_size 0
		.amdhsa_private_segment_fixed_size 0
		.amdhsa_kernarg_size 48
		.amdhsa_user_sgpr_count 6
		.amdhsa_user_sgpr_private_segment_buffer 1
		.amdhsa_user_sgpr_dispatch_ptr 0
		.amdhsa_user_sgpr_queue_ptr 0
		.amdhsa_user_sgpr_kernarg_segment_ptr 1
		.amdhsa_user_sgpr_dispatch_id 0
		.amdhsa_user_sgpr_flat_scratch_init 0
		.amdhsa_user_sgpr_kernarg_preload_length 0
		.amdhsa_user_sgpr_kernarg_preload_offset 0
		.amdhsa_user_sgpr_private_segment_size 0
		.amdhsa_uses_dynamic_stack 0
		.amdhsa_system_sgpr_private_segment_wavefront_offset 0
		.amdhsa_system_sgpr_workgroup_id_x 1
		.amdhsa_system_sgpr_workgroup_id_y 0
		.amdhsa_system_sgpr_workgroup_id_z 0
		.amdhsa_system_sgpr_workgroup_info 0
		.amdhsa_system_vgpr_workitem_id 0
		.amdhsa_next_free_vgpr 1
		.amdhsa_next_free_sgpr 0
		.amdhsa_accum_offset 4
		.amdhsa_reserve_vcc 0
		.amdhsa_reserve_flat_scratch 0
		.amdhsa_float_round_mode_32 0
		.amdhsa_float_round_mode_16_64 0
		.amdhsa_float_denorm_mode_32 3
		.amdhsa_float_denorm_mode_16_64 3
		.amdhsa_dx10_clamp 1
		.amdhsa_ieee_mode 1
		.amdhsa_fp16_overflow 0
		.amdhsa_tg_split 0
		.amdhsa_exception_fp_ieee_invalid_op 0
		.amdhsa_exception_fp_denorm_src 0
		.amdhsa_exception_fp_ieee_div_zero 0
		.amdhsa_exception_fp_ieee_overflow 0
		.amdhsa_exception_fp_ieee_underflow 0
		.amdhsa_exception_fp_ieee_inexact 0
		.amdhsa_exception_int_div_zero 0
	.end_amdhsa_kernel
	.section	.text._ZN7rocprim17ROCPRIM_400000_NS6detail17trampoline_kernelINS0_14default_configENS1_20scan_config_selectorIdEEZZNS1_9scan_implILNS1_25lookback_scan_determinismE0ELb0ELb0ES3_N6thrust23THRUST_200600_302600_NS6detail15normal_iteratorINS9_10device_ptrIdEEEENS9_16discard_iteratorINS9_11use_defaultEEEd11max_functorIdEdEEDaPvRmT3_T4_T5_mT6_P12ihipStream_tbENKUlT_T0_E_clISt17integral_constantIbLb1EESX_EEDaSS_ST_EUlSS_E0_NS1_11comp_targetILNS1_3genE0ELNS1_11target_archE4294967295ELNS1_3gpuE0ELNS1_3repE0EEENS1_30default_config_static_selectorELNS0_4arch9wavefront6targetE1EEEvT1_,"axG",@progbits,_ZN7rocprim17ROCPRIM_400000_NS6detail17trampoline_kernelINS0_14default_configENS1_20scan_config_selectorIdEEZZNS1_9scan_implILNS1_25lookback_scan_determinismE0ELb0ELb0ES3_N6thrust23THRUST_200600_302600_NS6detail15normal_iteratorINS9_10device_ptrIdEEEENS9_16discard_iteratorINS9_11use_defaultEEEd11max_functorIdEdEEDaPvRmT3_T4_T5_mT6_P12ihipStream_tbENKUlT_T0_E_clISt17integral_constantIbLb1EESX_EEDaSS_ST_EUlSS_E0_NS1_11comp_targetILNS1_3genE0ELNS1_11target_archE4294967295ELNS1_3gpuE0ELNS1_3repE0EEENS1_30default_config_static_selectorELNS0_4arch9wavefront6targetE1EEEvT1_,comdat
.Lfunc_end3017:
	.size	_ZN7rocprim17ROCPRIM_400000_NS6detail17trampoline_kernelINS0_14default_configENS1_20scan_config_selectorIdEEZZNS1_9scan_implILNS1_25lookback_scan_determinismE0ELb0ELb0ES3_N6thrust23THRUST_200600_302600_NS6detail15normal_iteratorINS9_10device_ptrIdEEEENS9_16discard_iteratorINS9_11use_defaultEEEd11max_functorIdEdEEDaPvRmT3_T4_T5_mT6_P12ihipStream_tbENKUlT_T0_E_clISt17integral_constantIbLb1EESX_EEDaSS_ST_EUlSS_E0_NS1_11comp_targetILNS1_3genE0ELNS1_11target_archE4294967295ELNS1_3gpuE0ELNS1_3repE0EEENS1_30default_config_static_selectorELNS0_4arch9wavefront6targetE1EEEvT1_, .Lfunc_end3017-_ZN7rocprim17ROCPRIM_400000_NS6detail17trampoline_kernelINS0_14default_configENS1_20scan_config_selectorIdEEZZNS1_9scan_implILNS1_25lookback_scan_determinismE0ELb0ELb0ES3_N6thrust23THRUST_200600_302600_NS6detail15normal_iteratorINS9_10device_ptrIdEEEENS9_16discard_iteratorINS9_11use_defaultEEEd11max_functorIdEdEEDaPvRmT3_T4_T5_mT6_P12ihipStream_tbENKUlT_T0_E_clISt17integral_constantIbLb1EESX_EEDaSS_ST_EUlSS_E0_NS1_11comp_targetILNS1_3genE0ELNS1_11target_archE4294967295ELNS1_3gpuE0ELNS1_3repE0EEENS1_30default_config_static_selectorELNS0_4arch9wavefront6targetE1EEEvT1_
                                        ; -- End function
	.section	.AMDGPU.csdata,"",@progbits
; Kernel info:
; codeLenInByte = 0
; NumSgprs: 4
; NumVgprs: 0
; NumAgprs: 0
; TotalNumVgprs: 0
; ScratchSize: 0
; MemoryBound: 0
; FloatMode: 240
; IeeeMode: 1
; LDSByteSize: 0 bytes/workgroup (compile time only)
; SGPRBlocks: 0
; VGPRBlocks: 0
; NumSGPRsForWavesPerEU: 4
; NumVGPRsForWavesPerEU: 1
; AccumOffset: 4
; Occupancy: 8
; WaveLimiterHint : 0
; COMPUTE_PGM_RSRC2:SCRATCH_EN: 0
; COMPUTE_PGM_RSRC2:USER_SGPR: 6
; COMPUTE_PGM_RSRC2:TRAP_HANDLER: 0
; COMPUTE_PGM_RSRC2:TGID_X_EN: 1
; COMPUTE_PGM_RSRC2:TGID_Y_EN: 0
; COMPUTE_PGM_RSRC2:TGID_Z_EN: 0
; COMPUTE_PGM_RSRC2:TIDIG_COMP_CNT: 0
; COMPUTE_PGM_RSRC3_GFX90A:ACCUM_OFFSET: 0
; COMPUTE_PGM_RSRC3_GFX90A:TG_SPLIT: 0
	.section	.text._ZN7rocprim17ROCPRIM_400000_NS6detail17trampoline_kernelINS0_14default_configENS1_20scan_config_selectorIdEEZZNS1_9scan_implILNS1_25lookback_scan_determinismE0ELb0ELb0ES3_N6thrust23THRUST_200600_302600_NS6detail15normal_iteratorINS9_10device_ptrIdEEEENS9_16discard_iteratorINS9_11use_defaultEEEd11max_functorIdEdEEDaPvRmT3_T4_T5_mT6_P12ihipStream_tbENKUlT_T0_E_clISt17integral_constantIbLb1EESX_EEDaSS_ST_EUlSS_E0_NS1_11comp_targetILNS1_3genE5ELNS1_11target_archE942ELNS1_3gpuE9ELNS1_3repE0EEENS1_30default_config_static_selectorELNS0_4arch9wavefront6targetE1EEEvT1_,"axG",@progbits,_ZN7rocprim17ROCPRIM_400000_NS6detail17trampoline_kernelINS0_14default_configENS1_20scan_config_selectorIdEEZZNS1_9scan_implILNS1_25lookback_scan_determinismE0ELb0ELb0ES3_N6thrust23THRUST_200600_302600_NS6detail15normal_iteratorINS9_10device_ptrIdEEEENS9_16discard_iteratorINS9_11use_defaultEEEd11max_functorIdEdEEDaPvRmT3_T4_T5_mT6_P12ihipStream_tbENKUlT_T0_E_clISt17integral_constantIbLb1EESX_EEDaSS_ST_EUlSS_E0_NS1_11comp_targetILNS1_3genE5ELNS1_11target_archE942ELNS1_3gpuE9ELNS1_3repE0EEENS1_30default_config_static_selectorELNS0_4arch9wavefront6targetE1EEEvT1_,comdat
	.protected	_ZN7rocprim17ROCPRIM_400000_NS6detail17trampoline_kernelINS0_14default_configENS1_20scan_config_selectorIdEEZZNS1_9scan_implILNS1_25lookback_scan_determinismE0ELb0ELb0ES3_N6thrust23THRUST_200600_302600_NS6detail15normal_iteratorINS9_10device_ptrIdEEEENS9_16discard_iteratorINS9_11use_defaultEEEd11max_functorIdEdEEDaPvRmT3_T4_T5_mT6_P12ihipStream_tbENKUlT_T0_E_clISt17integral_constantIbLb1EESX_EEDaSS_ST_EUlSS_E0_NS1_11comp_targetILNS1_3genE5ELNS1_11target_archE942ELNS1_3gpuE9ELNS1_3repE0EEENS1_30default_config_static_selectorELNS0_4arch9wavefront6targetE1EEEvT1_ ; -- Begin function _ZN7rocprim17ROCPRIM_400000_NS6detail17trampoline_kernelINS0_14default_configENS1_20scan_config_selectorIdEEZZNS1_9scan_implILNS1_25lookback_scan_determinismE0ELb0ELb0ES3_N6thrust23THRUST_200600_302600_NS6detail15normal_iteratorINS9_10device_ptrIdEEEENS9_16discard_iteratorINS9_11use_defaultEEEd11max_functorIdEdEEDaPvRmT3_T4_T5_mT6_P12ihipStream_tbENKUlT_T0_E_clISt17integral_constantIbLb1EESX_EEDaSS_ST_EUlSS_E0_NS1_11comp_targetILNS1_3genE5ELNS1_11target_archE942ELNS1_3gpuE9ELNS1_3repE0EEENS1_30default_config_static_selectorELNS0_4arch9wavefront6targetE1EEEvT1_
	.globl	_ZN7rocprim17ROCPRIM_400000_NS6detail17trampoline_kernelINS0_14default_configENS1_20scan_config_selectorIdEEZZNS1_9scan_implILNS1_25lookback_scan_determinismE0ELb0ELb0ES3_N6thrust23THRUST_200600_302600_NS6detail15normal_iteratorINS9_10device_ptrIdEEEENS9_16discard_iteratorINS9_11use_defaultEEEd11max_functorIdEdEEDaPvRmT3_T4_T5_mT6_P12ihipStream_tbENKUlT_T0_E_clISt17integral_constantIbLb1EESX_EEDaSS_ST_EUlSS_E0_NS1_11comp_targetILNS1_3genE5ELNS1_11target_archE942ELNS1_3gpuE9ELNS1_3repE0EEENS1_30default_config_static_selectorELNS0_4arch9wavefront6targetE1EEEvT1_
	.p2align	8
	.type	_ZN7rocprim17ROCPRIM_400000_NS6detail17trampoline_kernelINS0_14default_configENS1_20scan_config_selectorIdEEZZNS1_9scan_implILNS1_25lookback_scan_determinismE0ELb0ELb0ES3_N6thrust23THRUST_200600_302600_NS6detail15normal_iteratorINS9_10device_ptrIdEEEENS9_16discard_iteratorINS9_11use_defaultEEEd11max_functorIdEdEEDaPvRmT3_T4_T5_mT6_P12ihipStream_tbENKUlT_T0_E_clISt17integral_constantIbLb1EESX_EEDaSS_ST_EUlSS_E0_NS1_11comp_targetILNS1_3genE5ELNS1_11target_archE942ELNS1_3gpuE9ELNS1_3repE0EEENS1_30default_config_static_selectorELNS0_4arch9wavefront6targetE1EEEvT1_,@function
_ZN7rocprim17ROCPRIM_400000_NS6detail17trampoline_kernelINS0_14default_configENS1_20scan_config_selectorIdEEZZNS1_9scan_implILNS1_25lookback_scan_determinismE0ELb0ELb0ES3_N6thrust23THRUST_200600_302600_NS6detail15normal_iteratorINS9_10device_ptrIdEEEENS9_16discard_iteratorINS9_11use_defaultEEEd11max_functorIdEdEEDaPvRmT3_T4_T5_mT6_P12ihipStream_tbENKUlT_T0_E_clISt17integral_constantIbLb1EESX_EEDaSS_ST_EUlSS_E0_NS1_11comp_targetILNS1_3genE5ELNS1_11target_archE942ELNS1_3gpuE9ELNS1_3repE0EEENS1_30default_config_static_selectorELNS0_4arch9wavefront6targetE1EEEvT1_: ; @_ZN7rocprim17ROCPRIM_400000_NS6detail17trampoline_kernelINS0_14default_configENS1_20scan_config_selectorIdEEZZNS1_9scan_implILNS1_25lookback_scan_determinismE0ELb0ELb0ES3_N6thrust23THRUST_200600_302600_NS6detail15normal_iteratorINS9_10device_ptrIdEEEENS9_16discard_iteratorINS9_11use_defaultEEEd11max_functorIdEdEEDaPvRmT3_T4_T5_mT6_P12ihipStream_tbENKUlT_T0_E_clISt17integral_constantIbLb1EESX_EEDaSS_ST_EUlSS_E0_NS1_11comp_targetILNS1_3genE5ELNS1_11target_archE942ELNS1_3gpuE9ELNS1_3repE0EEENS1_30default_config_static_selectorELNS0_4arch9wavefront6targetE1EEEvT1_
; %bb.0:
	.section	.rodata,"a",@progbits
	.p2align	6, 0x0
	.amdhsa_kernel _ZN7rocprim17ROCPRIM_400000_NS6detail17trampoline_kernelINS0_14default_configENS1_20scan_config_selectorIdEEZZNS1_9scan_implILNS1_25lookback_scan_determinismE0ELb0ELb0ES3_N6thrust23THRUST_200600_302600_NS6detail15normal_iteratorINS9_10device_ptrIdEEEENS9_16discard_iteratorINS9_11use_defaultEEEd11max_functorIdEdEEDaPvRmT3_T4_T5_mT6_P12ihipStream_tbENKUlT_T0_E_clISt17integral_constantIbLb1EESX_EEDaSS_ST_EUlSS_E0_NS1_11comp_targetILNS1_3genE5ELNS1_11target_archE942ELNS1_3gpuE9ELNS1_3repE0EEENS1_30default_config_static_selectorELNS0_4arch9wavefront6targetE1EEEvT1_
		.amdhsa_group_segment_fixed_size 0
		.amdhsa_private_segment_fixed_size 0
		.amdhsa_kernarg_size 48
		.amdhsa_user_sgpr_count 6
		.amdhsa_user_sgpr_private_segment_buffer 1
		.amdhsa_user_sgpr_dispatch_ptr 0
		.amdhsa_user_sgpr_queue_ptr 0
		.amdhsa_user_sgpr_kernarg_segment_ptr 1
		.amdhsa_user_sgpr_dispatch_id 0
		.amdhsa_user_sgpr_flat_scratch_init 0
		.amdhsa_user_sgpr_kernarg_preload_length 0
		.amdhsa_user_sgpr_kernarg_preload_offset 0
		.amdhsa_user_sgpr_private_segment_size 0
		.amdhsa_uses_dynamic_stack 0
		.amdhsa_system_sgpr_private_segment_wavefront_offset 0
		.amdhsa_system_sgpr_workgroup_id_x 1
		.amdhsa_system_sgpr_workgroup_id_y 0
		.amdhsa_system_sgpr_workgroup_id_z 0
		.amdhsa_system_sgpr_workgroup_info 0
		.amdhsa_system_vgpr_workitem_id 0
		.amdhsa_next_free_vgpr 1
		.amdhsa_next_free_sgpr 0
		.amdhsa_accum_offset 4
		.amdhsa_reserve_vcc 0
		.amdhsa_reserve_flat_scratch 0
		.amdhsa_float_round_mode_32 0
		.amdhsa_float_round_mode_16_64 0
		.amdhsa_float_denorm_mode_32 3
		.amdhsa_float_denorm_mode_16_64 3
		.amdhsa_dx10_clamp 1
		.amdhsa_ieee_mode 1
		.amdhsa_fp16_overflow 0
		.amdhsa_tg_split 0
		.amdhsa_exception_fp_ieee_invalid_op 0
		.amdhsa_exception_fp_denorm_src 0
		.amdhsa_exception_fp_ieee_div_zero 0
		.amdhsa_exception_fp_ieee_overflow 0
		.amdhsa_exception_fp_ieee_underflow 0
		.amdhsa_exception_fp_ieee_inexact 0
		.amdhsa_exception_int_div_zero 0
	.end_amdhsa_kernel
	.section	.text._ZN7rocprim17ROCPRIM_400000_NS6detail17trampoline_kernelINS0_14default_configENS1_20scan_config_selectorIdEEZZNS1_9scan_implILNS1_25lookback_scan_determinismE0ELb0ELb0ES3_N6thrust23THRUST_200600_302600_NS6detail15normal_iteratorINS9_10device_ptrIdEEEENS9_16discard_iteratorINS9_11use_defaultEEEd11max_functorIdEdEEDaPvRmT3_T4_T5_mT6_P12ihipStream_tbENKUlT_T0_E_clISt17integral_constantIbLb1EESX_EEDaSS_ST_EUlSS_E0_NS1_11comp_targetILNS1_3genE5ELNS1_11target_archE942ELNS1_3gpuE9ELNS1_3repE0EEENS1_30default_config_static_selectorELNS0_4arch9wavefront6targetE1EEEvT1_,"axG",@progbits,_ZN7rocprim17ROCPRIM_400000_NS6detail17trampoline_kernelINS0_14default_configENS1_20scan_config_selectorIdEEZZNS1_9scan_implILNS1_25lookback_scan_determinismE0ELb0ELb0ES3_N6thrust23THRUST_200600_302600_NS6detail15normal_iteratorINS9_10device_ptrIdEEEENS9_16discard_iteratorINS9_11use_defaultEEEd11max_functorIdEdEEDaPvRmT3_T4_T5_mT6_P12ihipStream_tbENKUlT_T0_E_clISt17integral_constantIbLb1EESX_EEDaSS_ST_EUlSS_E0_NS1_11comp_targetILNS1_3genE5ELNS1_11target_archE942ELNS1_3gpuE9ELNS1_3repE0EEENS1_30default_config_static_selectorELNS0_4arch9wavefront6targetE1EEEvT1_,comdat
.Lfunc_end3018:
	.size	_ZN7rocprim17ROCPRIM_400000_NS6detail17trampoline_kernelINS0_14default_configENS1_20scan_config_selectorIdEEZZNS1_9scan_implILNS1_25lookback_scan_determinismE0ELb0ELb0ES3_N6thrust23THRUST_200600_302600_NS6detail15normal_iteratorINS9_10device_ptrIdEEEENS9_16discard_iteratorINS9_11use_defaultEEEd11max_functorIdEdEEDaPvRmT3_T4_T5_mT6_P12ihipStream_tbENKUlT_T0_E_clISt17integral_constantIbLb1EESX_EEDaSS_ST_EUlSS_E0_NS1_11comp_targetILNS1_3genE5ELNS1_11target_archE942ELNS1_3gpuE9ELNS1_3repE0EEENS1_30default_config_static_selectorELNS0_4arch9wavefront6targetE1EEEvT1_, .Lfunc_end3018-_ZN7rocprim17ROCPRIM_400000_NS6detail17trampoline_kernelINS0_14default_configENS1_20scan_config_selectorIdEEZZNS1_9scan_implILNS1_25lookback_scan_determinismE0ELb0ELb0ES3_N6thrust23THRUST_200600_302600_NS6detail15normal_iteratorINS9_10device_ptrIdEEEENS9_16discard_iteratorINS9_11use_defaultEEEd11max_functorIdEdEEDaPvRmT3_T4_T5_mT6_P12ihipStream_tbENKUlT_T0_E_clISt17integral_constantIbLb1EESX_EEDaSS_ST_EUlSS_E0_NS1_11comp_targetILNS1_3genE5ELNS1_11target_archE942ELNS1_3gpuE9ELNS1_3repE0EEENS1_30default_config_static_selectorELNS0_4arch9wavefront6targetE1EEEvT1_
                                        ; -- End function
	.section	.AMDGPU.csdata,"",@progbits
; Kernel info:
; codeLenInByte = 0
; NumSgprs: 4
; NumVgprs: 0
; NumAgprs: 0
; TotalNumVgprs: 0
; ScratchSize: 0
; MemoryBound: 0
; FloatMode: 240
; IeeeMode: 1
; LDSByteSize: 0 bytes/workgroup (compile time only)
; SGPRBlocks: 0
; VGPRBlocks: 0
; NumSGPRsForWavesPerEU: 4
; NumVGPRsForWavesPerEU: 1
; AccumOffset: 4
; Occupancy: 8
; WaveLimiterHint : 0
; COMPUTE_PGM_RSRC2:SCRATCH_EN: 0
; COMPUTE_PGM_RSRC2:USER_SGPR: 6
; COMPUTE_PGM_RSRC2:TRAP_HANDLER: 0
; COMPUTE_PGM_RSRC2:TGID_X_EN: 1
; COMPUTE_PGM_RSRC2:TGID_Y_EN: 0
; COMPUTE_PGM_RSRC2:TGID_Z_EN: 0
; COMPUTE_PGM_RSRC2:TIDIG_COMP_CNT: 0
; COMPUTE_PGM_RSRC3_GFX90A:ACCUM_OFFSET: 0
; COMPUTE_PGM_RSRC3_GFX90A:TG_SPLIT: 0
	.section	.text._ZN7rocprim17ROCPRIM_400000_NS6detail17trampoline_kernelINS0_14default_configENS1_20scan_config_selectorIdEEZZNS1_9scan_implILNS1_25lookback_scan_determinismE0ELb0ELb0ES3_N6thrust23THRUST_200600_302600_NS6detail15normal_iteratorINS9_10device_ptrIdEEEENS9_16discard_iteratorINS9_11use_defaultEEEd11max_functorIdEdEEDaPvRmT3_T4_T5_mT6_P12ihipStream_tbENKUlT_T0_E_clISt17integral_constantIbLb1EESX_EEDaSS_ST_EUlSS_E0_NS1_11comp_targetILNS1_3genE4ELNS1_11target_archE910ELNS1_3gpuE8ELNS1_3repE0EEENS1_30default_config_static_selectorELNS0_4arch9wavefront6targetE1EEEvT1_,"axG",@progbits,_ZN7rocprim17ROCPRIM_400000_NS6detail17trampoline_kernelINS0_14default_configENS1_20scan_config_selectorIdEEZZNS1_9scan_implILNS1_25lookback_scan_determinismE0ELb0ELb0ES3_N6thrust23THRUST_200600_302600_NS6detail15normal_iteratorINS9_10device_ptrIdEEEENS9_16discard_iteratorINS9_11use_defaultEEEd11max_functorIdEdEEDaPvRmT3_T4_T5_mT6_P12ihipStream_tbENKUlT_T0_E_clISt17integral_constantIbLb1EESX_EEDaSS_ST_EUlSS_E0_NS1_11comp_targetILNS1_3genE4ELNS1_11target_archE910ELNS1_3gpuE8ELNS1_3repE0EEENS1_30default_config_static_selectorELNS0_4arch9wavefront6targetE1EEEvT1_,comdat
	.protected	_ZN7rocprim17ROCPRIM_400000_NS6detail17trampoline_kernelINS0_14default_configENS1_20scan_config_selectorIdEEZZNS1_9scan_implILNS1_25lookback_scan_determinismE0ELb0ELb0ES3_N6thrust23THRUST_200600_302600_NS6detail15normal_iteratorINS9_10device_ptrIdEEEENS9_16discard_iteratorINS9_11use_defaultEEEd11max_functorIdEdEEDaPvRmT3_T4_T5_mT6_P12ihipStream_tbENKUlT_T0_E_clISt17integral_constantIbLb1EESX_EEDaSS_ST_EUlSS_E0_NS1_11comp_targetILNS1_3genE4ELNS1_11target_archE910ELNS1_3gpuE8ELNS1_3repE0EEENS1_30default_config_static_selectorELNS0_4arch9wavefront6targetE1EEEvT1_ ; -- Begin function _ZN7rocprim17ROCPRIM_400000_NS6detail17trampoline_kernelINS0_14default_configENS1_20scan_config_selectorIdEEZZNS1_9scan_implILNS1_25lookback_scan_determinismE0ELb0ELb0ES3_N6thrust23THRUST_200600_302600_NS6detail15normal_iteratorINS9_10device_ptrIdEEEENS9_16discard_iteratorINS9_11use_defaultEEEd11max_functorIdEdEEDaPvRmT3_T4_T5_mT6_P12ihipStream_tbENKUlT_T0_E_clISt17integral_constantIbLb1EESX_EEDaSS_ST_EUlSS_E0_NS1_11comp_targetILNS1_3genE4ELNS1_11target_archE910ELNS1_3gpuE8ELNS1_3repE0EEENS1_30default_config_static_selectorELNS0_4arch9wavefront6targetE1EEEvT1_
	.globl	_ZN7rocprim17ROCPRIM_400000_NS6detail17trampoline_kernelINS0_14default_configENS1_20scan_config_selectorIdEEZZNS1_9scan_implILNS1_25lookback_scan_determinismE0ELb0ELb0ES3_N6thrust23THRUST_200600_302600_NS6detail15normal_iteratorINS9_10device_ptrIdEEEENS9_16discard_iteratorINS9_11use_defaultEEEd11max_functorIdEdEEDaPvRmT3_T4_T5_mT6_P12ihipStream_tbENKUlT_T0_E_clISt17integral_constantIbLb1EESX_EEDaSS_ST_EUlSS_E0_NS1_11comp_targetILNS1_3genE4ELNS1_11target_archE910ELNS1_3gpuE8ELNS1_3repE0EEENS1_30default_config_static_selectorELNS0_4arch9wavefront6targetE1EEEvT1_
	.p2align	8
	.type	_ZN7rocprim17ROCPRIM_400000_NS6detail17trampoline_kernelINS0_14default_configENS1_20scan_config_selectorIdEEZZNS1_9scan_implILNS1_25lookback_scan_determinismE0ELb0ELb0ES3_N6thrust23THRUST_200600_302600_NS6detail15normal_iteratorINS9_10device_ptrIdEEEENS9_16discard_iteratorINS9_11use_defaultEEEd11max_functorIdEdEEDaPvRmT3_T4_T5_mT6_P12ihipStream_tbENKUlT_T0_E_clISt17integral_constantIbLb1EESX_EEDaSS_ST_EUlSS_E0_NS1_11comp_targetILNS1_3genE4ELNS1_11target_archE910ELNS1_3gpuE8ELNS1_3repE0EEENS1_30default_config_static_selectorELNS0_4arch9wavefront6targetE1EEEvT1_,@function
_ZN7rocprim17ROCPRIM_400000_NS6detail17trampoline_kernelINS0_14default_configENS1_20scan_config_selectorIdEEZZNS1_9scan_implILNS1_25lookback_scan_determinismE0ELb0ELb0ES3_N6thrust23THRUST_200600_302600_NS6detail15normal_iteratorINS9_10device_ptrIdEEEENS9_16discard_iteratorINS9_11use_defaultEEEd11max_functorIdEdEEDaPvRmT3_T4_T5_mT6_P12ihipStream_tbENKUlT_T0_E_clISt17integral_constantIbLb1EESX_EEDaSS_ST_EUlSS_E0_NS1_11comp_targetILNS1_3genE4ELNS1_11target_archE910ELNS1_3gpuE8ELNS1_3repE0EEENS1_30default_config_static_selectorELNS0_4arch9wavefront6targetE1EEEvT1_: ; @_ZN7rocprim17ROCPRIM_400000_NS6detail17trampoline_kernelINS0_14default_configENS1_20scan_config_selectorIdEEZZNS1_9scan_implILNS1_25lookback_scan_determinismE0ELb0ELb0ES3_N6thrust23THRUST_200600_302600_NS6detail15normal_iteratorINS9_10device_ptrIdEEEENS9_16discard_iteratorINS9_11use_defaultEEEd11max_functorIdEdEEDaPvRmT3_T4_T5_mT6_P12ihipStream_tbENKUlT_T0_E_clISt17integral_constantIbLb1EESX_EEDaSS_ST_EUlSS_E0_NS1_11comp_targetILNS1_3genE4ELNS1_11target_archE910ELNS1_3gpuE8ELNS1_3repE0EEENS1_30default_config_static_selectorELNS0_4arch9wavefront6targetE1EEEvT1_
; %bb.0:
	s_load_dwordx4 s[0:3], s[4:5], 0x0
	v_lshlrev_b32_e32 v1, 3, v0
	s_waitcnt lgkmcnt(0)
	s_load_dwordx2 s[4:5], s[0:1], 0x0
	v_cmp_gt_u32_e32 vcc, s2, v0
	s_waitcnt lgkmcnt(0)
	v_pk_mov_b32 v[2:3], s[4:5], s[4:5] op_sel:[0,1]
	s_and_saveexec_b64 s[6:7], vcc
	s_cbranch_execz .LBB3019_2
; %bb.1:
	global_load_dwordx2 v[2:3], v1, s[0:1]
.LBB3019_2:
	s_or_b64 exec, exec, s[6:7]
	v_or_b32_e32 v4, 0x80, v0
	v_cmp_gt_u32_e32 vcc, s2, v4
	v_pk_mov_b32 v[4:5], s[4:5], s[4:5] op_sel:[0,1]
	s_and_saveexec_b64 s[6:7], vcc
	s_cbranch_execz .LBB3019_4
; %bb.3:
	global_load_dwordx2 v[4:5], v1, s[0:1] offset:1024
.LBB3019_4:
	s_or_b64 exec, exec, s[6:7]
	v_or_b32_e32 v6, 0x100, v0
	v_cmp_gt_u32_e32 vcc, s2, v6
	v_pk_mov_b32 v[6:7], s[4:5], s[4:5] op_sel:[0,1]
	s_and_saveexec_b64 s[6:7], vcc
	s_cbranch_execz .LBB3019_6
; %bb.5:
	global_load_dwordx2 v[6:7], v1, s[0:1] offset:2048
.LBB3019_6:
	;; [unrolled: 9-line block ×3, first 2 shown]
	s_or_b64 exec, exec, s[6:7]
	v_or_b32_e32 v12, 0x200, v0
	v_cmp_gt_u32_e32 vcc, s2, v12
	v_pk_mov_b32 v[10:11], s[4:5], s[4:5] op_sel:[0,1]
	s_and_saveexec_b64 s[6:7], vcc
	s_cbranch_execz .LBB3019_10
; %bb.9:
	v_lshlrev_b32_e32 v10, 3, v12
	global_load_dwordx2 v[10:11], v10, s[0:1]
.LBB3019_10:
	s_or_b64 exec, exec, s[6:7]
	v_or_b32_e32 v14, 0x280, v0
	v_cmp_gt_u32_e32 vcc, s2, v14
	v_pk_mov_b32 v[12:13], s[4:5], s[4:5] op_sel:[0,1]
	s_and_saveexec_b64 s[6:7], vcc
	s_cbranch_execz .LBB3019_12
; %bb.11:
	v_lshlrev_b32_e32 v12, 3, v14
	global_load_dwordx2 v[12:13], v12, s[0:1]
.LBB3019_12:
	;; [unrolled: 10-line block ×6, first 2 shown]
	s_or_b64 exec, exec, s[2:3]
	s_movk_i32 s0, 0x48
	s_waitcnt vmcnt(0)
	ds_write2st64_b64 v1, v[2:3], v[4:5] offset1:2
	ds_write2st64_b64 v1, v[6:7], v[8:9] offset0:4 offset1:6
	ds_write2st64_b64 v1, v[10:11], v[12:13] offset0:8 offset1:10
	;; [unrolled: 1-line block ×4, first 2 shown]
	v_mad_u32_u24 v14, v0, s0, v1
	s_waitcnt lgkmcnt(0)
	s_barrier
	ds_read_b128 v[2:5], v14
	ds_read_b128 v[18:21], v14 offset:16
	ds_read_b128 v[10:13], v14 offset:32
	;; [unrolled: 1-line block ×4, first 2 shown]
	s_waitcnt lgkmcnt(4)
	v_cmp_lt_f64_e32 vcc, v[2:3], v[4:5]
	v_cndmask_b32_e32 v23, v3, v5, vcc
	v_cndmask_b32_e32 v22, v2, v4, vcc
	s_waitcnt lgkmcnt(3)
	v_cmp_lt_f64_e32 vcc, v[22:23], v[18:19]
	v_cndmask_b32_e32 v23, v23, v19, vcc
	v_cndmask_b32_e32 v22, v22, v18, vcc
	v_cmp_lt_f64_e32 vcc, v[22:23], v[20:21]
	v_cndmask_b32_e32 v23, v23, v21, vcc
	v_cndmask_b32_e32 v22, v22, v20, vcc
	s_waitcnt lgkmcnt(2)
	v_cmp_lt_f64_e32 vcc, v[22:23], v[10:11]
	v_cndmask_b32_e32 v23, v23, v11, vcc
	v_cndmask_b32_e32 v22, v22, v10, vcc
	;; [unrolled: 7-line block ×4, first 2 shown]
	v_mbcnt_lo_u32_b32 v24, -1, 0
	v_cmp_lt_f64_e32 vcc, v[22:23], v[16:17]
	v_mbcnt_hi_u32_b32 v26, -1, v24
	v_cndmask_b32_e32 v23, v23, v17, vcc
	v_cndmask_b32_e32 v22, v22, v16, vcc
	v_and_b32_e32 v27, 15, v26
	v_mov_b32_dpp v25, v23 row_shr:1 row_mask:0xf bank_mask:0xf
	v_mov_b32_dpp v24, v22 row_shr:1 row_mask:0xf bank_mask:0xf
	v_cmp_ne_u32_e32 vcc, 0, v27
	s_barrier
	s_and_saveexec_b64 s[0:1], vcc
; %bb.21:
	v_cmp_gt_f64_e32 vcc, v[22:23], v[24:25]
	v_cndmask_b32_e32 v23, v25, v23, vcc
	v_cndmask_b32_e32 v22, v24, v22, vcc
; %bb.22:
	s_or_b64 exec, exec, s[0:1]
	s_nop 0
	v_mov_b32_dpp v24, v22 row_shr:2 row_mask:0xf bank_mask:0xf
	v_mov_b32_dpp v25, v23 row_shr:2 row_mask:0xf bank_mask:0xf
	v_cmp_lt_u32_e32 vcc, 1, v27
	s_and_saveexec_b64 s[0:1], vcc
; %bb.23:
	v_cmp_gt_f64_e32 vcc, v[22:23], v[24:25]
	v_cndmask_b32_e32 v23, v25, v23, vcc
	v_cndmask_b32_e32 v22, v24, v22, vcc
; %bb.24:
	s_or_b64 exec, exec, s[0:1]
	s_nop 0
	v_mov_b32_dpp v24, v22 row_shr:4 row_mask:0xf bank_mask:0xf
	v_mov_b32_dpp v25, v23 row_shr:4 row_mask:0xf bank_mask:0xf
	v_cmp_lt_u32_e32 vcc, 3, v27
	;; [unrolled: 11-line block ×3, first 2 shown]
	s_and_saveexec_b64 s[0:1], vcc
; %bb.27:
	v_cmp_gt_f64_e32 vcc, v[22:23], v[24:25]
	v_cndmask_b32_e32 v23, v25, v23, vcc
	v_cndmask_b32_e32 v22, v24, v22, vcc
; %bb.28:
	s_or_b64 exec, exec, s[0:1]
	v_and_b32_e32 v27, 16, v26
	v_mov_b32_dpp v24, v22 row_bcast:15 row_mask:0xf bank_mask:0xf
	v_mov_b32_dpp v25, v23 row_bcast:15 row_mask:0xf bank_mask:0xf
	v_cmp_ne_u32_e32 vcc, 0, v27
	s_and_saveexec_b64 s[0:1], vcc
; %bb.29:
	v_cmp_gt_f64_e32 vcc, v[22:23], v[24:25]
	v_cndmask_b32_e32 v23, v25, v23, vcc
	v_cndmask_b32_e32 v22, v24, v22, vcc
; %bb.30:
	s_or_b64 exec, exec, s[0:1]
	s_nop 0
	v_mov_b32_dpp v24, v22 row_bcast:31 row_mask:0xf bank_mask:0xf
	v_mov_b32_dpp v25, v23 row_bcast:31 row_mask:0xf bank_mask:0xf
	v_cmp_gt_f64_e32 vcc, v[22:23], v[24:25]
	v_cndmask_b32_e32 v24, v24, v22, vcc
	v_cndmask_b32_e32 v25, v25, v23, vcc
	v_cmp_lt_u32_e32 vcc, 31, v26
	v_cndmask_b32_e32 v22, v22, v24, vcc
	v_or_b32_e32 v24, 63, v0
	v_cndmask_b32_e32 v23, v23, v25, vcc
	v_lshrrev_b32_e32 v27, 6, v0
	v_cmp_eq_u32_e32 vcc, v24, v0
	s_and_saveexec_b64 s[0:1], vcc
	s_cbranch_execz .LBB3019_32
; %bb.31:
	v_lshlrev_b32_e32 v24, 3, v27
	ds_write_b64 v24, v[22:23]
.LBB3019_32:
	s_or_b64 exec, exec, s[0:1]
	v_cmp_gt_u32_e32 vcc, 2, v0
	s_waitcnt lgkmcnt(0)
	s_barrier
	s_and_saveexec_b64 s[2:3], vcc
	s_cbranch_execz .LBB3019_34
; %bb.33:
	ds_read_b64 v[24:25], v1
	v_and_b32_e32 v28, 1, v26
	v_cmp_eq_u32_e32 vcc, 0, v28
	s_waitcnt lgkmcnt(0)
	v_mov_b32_dpp v30, v25 row_shr:1 row_mask:0xf bank_mask:0xf
	v_mov_b32_dpp v28, v24 row_shr:1 row_mask:0xf bank_mask:0xf
	v_mov_b32_e32 v29, v30
	v_cmp_gt_f64_e64 s[0:1], v[24:25], v[28:29]
	s_or_b64 vcc, vcc, s[0:1]
	v_cndmask_b32_e32 v25, v30, v25, vcc
	v_cndmask_b32_e32 v24, v28, v24, vcc
	ds_write_b64 v1, v[24:25]
.LBB3019_34:
	s_or_b64 exec, exec, s[2:3]
	v_cmp_lt_u32_e32 vcc, 63, v0
	s_waitcnt lgkmcnt(0)
	s_barrier
	s_waitcnt lgkmcnt(0)
                                        ; implicit-def: $vgpr24_vgpr25
	s_and_saveexec_b64 s[0:1], vcc
	s_cbranch_execz .LBB3019_36
; %bb.35:
	v_lshl_add_u32 v24, v27, 3, -8
	ds_read_b64 v[24:25], v24
	s_waitcnt lgkmcnt(0)
	v_cmp_lt_f64_e32 vcc, v[24:25], v[22:23]
	v_cndmask_b32_e32 v23, v25, v23, vcc
	v_cndmask_b32_e32 v22, v24, v22, vcc
.LBB3019_36:
	s_or_b64 exec, exec, s[0:1]
	v_add_u32_e32 v27, -1, v26
	v_and_b32_e32 v28, 64, v26
	v_cmp_lt_i32_e32 vcc, v27, v28
	v_cndmask_b32_e32 v27, v27, v26, vcc
	v_lshlrev_b32_e32 v28, 2, v27
	ds_bpermute_b32 v27, v28, v22
	ds_bpermute_b32 v23, v28, v23
	v_mul_u32_u24_e32 v22, 0x48, v0
	v_cmp_ne_u32_e32 vcc, 0, v0
	s_and_saveexec_b64 s[0:1], vcc
	s_cbranch_execz .LBB3019_38
; %bb.37:
	v_cmp_eq_u32_e32 vcc, 0, v26
	s_waitcnt lgkmcnt(0)
	v_cndmask_b32_e32 v25, v23, v25, vcc
	v_cndmask_b32_e32 v24, v27, v24, vcc
	v_cmp_gt_f64_e32 vcc, v[2:3], v[24:25]
	v_cndmask_b32_e32 v3, v25, v3, vcc
	v_cndmask_b32_e32 v2, v24, v2, vcc
	;;#ASMSTART
	;;#ASMEND
.LBB3019_38:
	s_or_b64 exec, exec, s[0:1]
	v_cmp_gt_f64_e32 vcc, v[4:5], v[2:3]
	v_cndmask_b32_e32 v5, v3, v5, vcc
	v_cndmask_b32_e32 v4, v2, v4, vcc
	v_cmp_lt_f64_e32 vcc, v[4:5], v[18:19]
	v_cndmask_b32_e32 v19, v5, v19, vcc
	v_cndmask_b32_e32 v18, v4, v18, vcc
	v_cmp_lt_f64_e32 vcc, v[18:19], v[20:21]
	;; [unrolled: 3-line block ×8, first 2 shown]
	v_add_u32_e32 v0, v1, v22
	v_cndmask_b32_e32 v17, v15, v17, vcc
	v_cndmask_b32_e32 v16, v14, v16, vcc
	s_waitcnt lgkmcnt(0)
	s_barrier
	ds_write_b128 v0, v[2:5]
	ds_write_b128 v0, v[18:21] offset:16
	ds_write_b128 v0, v[10:13] offset:32
	;; [unrolled: 1-line block ×4, first 2 shown]
	s_waitcnt lgkmcnt(0)
	s_barrier
	s_endpgm
	.section	.rodata,"a",@progbits
	.p2align	6, 0x0
	.amdhsa_kernel _ZN7rocprim17ROCPRIM_400000_NS6detail17trampoline_kernelINS0_14default_configENS1_20scan_config_selectorIdEEZZNS1_9scan_implILNS1_25lookback_scan_determinismE0ELb0ELb0ES3_N6thrust23THRUST_200600_302600_NS6detail15normal_iteratorINS9_10device_ptrIdEEEENS9_16discard_iteratorINS9_11use_defaultEEEd11max_functorIdEdEEDaPvRmT3_T4_T5_mT6_P12ihipStream_tbENKUlT_T0_E_clISt17integral_constantIbLb1EESX_EEDaSS_ST_EUlSS_E0_NS1_11comp_targetILNS1_3genE4ELNS1_11target_archE910ELNS1_3gpuE8ELNS1_3repE0EEENS1_30default_config_static_selectorELNS0_4arch9wavefront6targetE1EEEvT1_
		.amdhsa_group_segment_fixed_size 10240
		.amdhsa_private_segment_fixed_size 0
		.amdhsa_kernarg_size 48
		.amdhsa_user_sgpr_count 6
		.amdhsa_user_sgpr_private_segment_buffer 1
		.amdhsa_user_sgpr_dispatch_ptr 0
		.amdhsa_user_sgpr_queue_ptr 0
		.amdhsa_user_sgpr_kernarg_segment_ptr 1
		.amdhsa_user_sgpr_dispatch_id 0
		.amdhsa_user_sgpr_flat_scratch_init 0
		.amdhsa_user_sgpr_kernarg_preload_length 0
		.amdhsa_user_sgpr_kernarg_preload_offset 0
		.amdhsa_user_sgpr_private_segment_size 0
		.amdhsa_uses_dynamic_stack 0
		.amdhsa_system_sgpr_private_segment_wavefront_offset 0
		.amdhsa_system_sgpr_workgroup_id_x 1
		.amdhsa_system_sgpr_workgroup_id_y 0
		.amdhsa_system_sgpr_workgroup_id_z 0
		.amdhsa_system_sgpr_workgroup_info 0
		.amdhsa_system_vgpr_workitem_id 0
		.amdhsa_next_free_vgpr 31
		.amdhsa_next_free_sgpr 8
		.amdhsa_accum_offset 32
		.amdhsa_reserve_vcc 1
		.amdhsa_reserve_flat_scratch 0
		.amdhsa_float_round_mode_32 0
		.amdhsa_float_round_mode_16_64 0
		.amdhsa_float_denorm_mode_32 3
		.amdhsa_float_denorm_mode_16_64 3
		.amdhsa_dx10_clamp 1
		.amdhsa_ieee_mode 1
		.amdhsa_fp16_overflow 0
		.amdhsa_tg_split 0
		.amdhsa_exception_fp_ieee_invalid_op 0
		.amdhsa_exception_fp_denorm_src 0
		.amdhsa_exception_fp_ieee_div_zero 0
		.amdhsa_exception_fp_ieee_overflow 0
		.amdhsa_exception_fp_ieee_underflow 0
		.amdhsa_exception_fp_ieee_inexact 0
		.amdhsa_exception_int_div_zero 0
	.end_amdhsa_kernel
	.section	.text._ZN7rocprim17ROCPRIM_400000_NS6detail17trampoline_kernelINS0_14default_configENS1_20scan_config_selectorIdEEZZNS1_9scan_implILNS1_25lookback_scan_determinismE0ELb0ELb0ES3_N6thrust23THRUST_200600_302600_NS6detail15normal_iteratorINS9_10device_ptrIdEEEENS9_16discard_iteratorINS9_11use_defaultEEEd11max_functorIdEdEEDaPvRmT3_T4_T5_mT6_P12ihipStream_tbENKUlT_T0_E_clISt17integral_constantIbLb1EESX_EEDaSS_ST_EUlSS_E0_NS1_11comp_targetILNS1_3genE4ELNS1_11target_archE910ELNS1_3gpuE8ELNS1_3repE0EEENS1_30default_config_static_selectorELNS0_4arch9wavefront6targetE1EEEvT1_,"axG",@progbits,_ZN7rocprim17ROCPRIM_400000_NS6detail17trampoline_kernelINS0_14default_configENS1_20scan_config_selectorIdEEZZNS1_9scan_implILNS1_25lookback_scan_determinismE0ELb0ELb0ES3_N6thrust23THRUST_200600_302600_NS6detail15normal_iteratorINS9_10device_ptrIdEEEENS9_16discard_iteratorINS9_11use_defaultEEEd11max_functorIdEdEEDaPvRmT3_T4_T5_mT6_P12ihipStream_tbENKUlT_T0_E_clISt17integral_constantIbLb1EESX_EEDaSS_ST_EUlSS_E0_NS1_11comp_targetILNS1_3genE4ELNS1_11target_archE910ELNS1_3gpuE8ELNS1_3repE0EEENS1_30default_config_static_selectorELNS0_4arch9wavefront6targetE1EEEvT1_,comdat
.Lfunc_end3019:
	.size	_ZN7rocprim17ROCPRIM_400000_NS6detail17trampoline_kernelINS0_14default_configENS1_20scan_config_selectorIdEEZZNS1_9scan_implILNS1_25lookback_scan_determinismE0ELb0ELb0ES3_N6thrust23THRUST_200600_302600_NS6detail15normal_iteratorINS9_10device_ptrIdEEEENS9_16discard_iteratorINS9_11use_defaultEEEd11max_functorIdEdEEDaPvRmT3_T4_T5_mT6_P12ihipStream_tbENKUlT_T0_E_clISt17integral_constantIbLb1EESX_EEDaSS_ST_EUlSS_E0_NS1_11comp_targetILNS1_3genE4ELNS1_11target_archE910ELNS1_3gpuE8ELNS1_3repE0EEENS1_30default_config_static_selectorELNS0_4arch9wavefront6targetE1EEEvT1_, .Lfunc_end3019-_ZN7rocprim17ROCPRIM_400000_NS6detail17trampoline_kernelINS0_14default_configENS1_20scan_config_selectorIdEEZZNS1_9scan_implILNS1_25lookback_scan_determinismE0ELb0ELb0ES3_N6thrust23THRUST_200600_302600_NS6detail15normal_iteratorINS9_10device_ptrIdEEEENS9_16discard_iteratorINS9_11use_defaultEEEd11max_functorIdEdEEDaPvRmT3_T4_T5_mT6_P12ihipStream_tbENKUlT_T0_E_clISt17integral_constantIbLb1EESX_EEDaSS_ST_EUlSS_E0_NS1_11comp_targetILNS1_3genE4ELNS1_11target_archE910ELNS1_3gpuE8ELNS1_3repE0EEENS1_30default_config_static_selectorELNS0_4arch9wavefront6targetE1EEEvT1_
                                        ; -- End function
	.section	.AMDGPU.csdata,"",@progbits
; Kernel info:
; codeLenInByte = 1408
; NumSgprs: 12
; NumVgprs: 31
; NumAgprs: 0
; TotalNumVgprs: 31
; ScratchSize: 0
; MemoryBound: 0
; FloatMode: 240
; IeeeMode: 1
; LDSByteSize: 10240 bytes/workgroup (compile time only)
; SGPRBlocks: 1
; VGPRBlocks: 3
; NumSGPRsForWavesPerEU: 12
; NumVGPRsForWavesPerEU: 31
; AccumOffset: 32
; Occupancy: 3
; WaveLimiterHint : 0
; COMPUTE_PGM_RSRC2:SCRATCH_EN: 0
; COMPUTE_PGM_RSRC2:USER_SGPR: 6
; COMPUTE_PGM_RSRC2:TRAP_HANDLER: 0
; COMPUTE_PGM_RSRC2:TGID_X_EN: 1
; COMPUTE_PGM_RSRC2:TGID_Y_EN: 0
; COMPUTE_PGM_RSRC2:TGID_Z_EN: 0
; COMPUTE_PGM_RSRC2:TIDIG_COMP_CNT: 0
; COMPUTE_PGM_RSRC3_GFX90A:ACCUM_OFFSET: 7
; COMPUTE_PGM_RSRC3_GFX90A:TG_SPLIT: 0
	.section	.text._ZN7rocprim17ROCPRIM_400000_NS6detail17trampoline_kernelINS0_14default_configENS1_20scan_config_selectorIdEEZZNS1_9scan_implILNS1_25lookback_scan_determinismE0ELb0ELb0ES3_N6thrust23THRUST_200600_302600_NS6detail15normal_iteratorINS9_10device_ptrIdEEEENS9_16discard_iteratorINS9_11use_defaultEEEd11max_functorIdEdEEDaPvRmT3_T4_T5_mT6_P12ihipStream_tbENKUlT_T0_E_clISt17integral_constantIbLb1EESX_EEDaSS_ST_EUlSS_E0_NS1_11comp_targetILNS1_3genE3ELNS1_11target_archE908ELNS1_3gpuE7ELNS1_3repE0EEENS1_30default_config_static_selectorELNS0_4arch9wavefront6targetE1EEEvT1_,"axG",@progbits,_ZN7rocprim17ROCPRIM_400000_NS6detail17trampoline_kernelINS0_14default_configENS1_20scan_config_selectorIdEEZZNS1_9scan_implILNS1_25lookback_scan_determinismE0ELb0ELb0ES3_N6thrust23THRUST_200600_302600_NS6detail15normal_iteratorINS9_10device_ptrIdEEEENS9_16discard_iteratorINS9_11use_defaultEEEd11max_functorIdEdEEDaPvRmT3_T4_T5_mT6_P12ihipStream_tbENKUlT_T0_E_clISt17integral_constantIbLb1EESX_EEDaSS_ST_EUlSS_E0_NS1_11comp_targetILNS1_3genE3ELNS1_11target_archE908ELNS1_3gpuE7ELNS1_3repE0EEENS1_30default_config_static_selectorELNS0_4arch9wavefront6targetE1EEEvT1_,comdat
	.protected	_ZN7rocprim17ROCPRIM_400000_NS6detail17trampoline_kernelINS0_14default_configENS1_20scan_config_selectorIdEEZZNS1_9scan_implILNS1_25lookback_scan_determinismE0ELb0ELb0ES3_N6thrust23THRUST_200600_302600_NS6detail15normal_iteratorINS9_10device_ptrIdEEEENS9_16discard_iteratorINS9_11use_defaultEEEd11max_functorIdEdEEDaPvRmT3_T4_T5_mT6_P12ihipStream_tbENKUlT_T0_E_clISt17integral_constantIbLb1EESX_EEDaSS_ST_EUlSS_E0_NS1_11comp_targetILNS1_3genE3ELNS1_11target_archE908ELNS1_3gpuE7ELNS1_3repE0EEENS1_30default_config_static_selectorELNS0_4arch9wavefront6targetE1EEEvT1_ ; -- Begin function _ZN7rocprim17ROCPRIM_400000_NS6detail17trampoline_kernelINS0_14default_configENS1_20scan_config_selectorIdEEZZNS1_9scan_implILNS1_25lookback_scan_determinismE0ELb0ELb0ES3_N6thrust23THRUST_200600_302600_NS6detail15normal_iteratorINS9_10device_ptrIdEEEENS9_16discard_iteratorINS9_11use_defaultEEEd11max_functorIdEdEEDaPvRmT3_T4_T5_mT6_P12ihipStream_tbENKUlT_T0_E_clISt17integral_constantIbLb1EESX_EEDaSS_ST_EUlSS_E0_NS1_11comp_targetILNS1_3genE3ELNS1_11target_archE908ELNS1_3gpuE7ELNS1_3repE0EEENS1_30default_config_static_selectorELNS0_4arch9wavefront6targetE1EEEvT1_
	.globl	_ZN7rocprim17ROCPRIM_400000_NS6detail17trampoline_kernelINS0_14default_configENS1_20scan_config_selectorIdEEZZNS1_9scan_implILNS1_25lookback_scan_determinismE0ELb0ELb0ES3_N6thrust23THRUST_200600_302600_NS6detail15normal_iteratorINS9_10device_ptrIdEEEENS9_16discard_iteratorINS9_11use_defaultEEEd11max_functorIdEdEEDaPvRmT3_T4_T5_mT6_P12ihipStream_tbENKUlT_T0_E_clISt17integral_constantIbLb1EESX_EEDaSS_ST_EUlSS_E0_NS1_11comp_targetILNS1_3genE3ELNS1_11target_archE908ELNS1_3gpuE7ELNS1_3repE0EEENS1_30default_config_static_selectorELNS0_4arch9wavefront6targetE1EEEvT1_
	.p2align	8
	.type	_ZN7rocprim17ROCPRIM_400000_NS6detail17trampoline_kernelINS0_14default_configENS1_20scan_config_selectorIdEEZZNS1_9scan_implILNS1_25lookback_scan_determinismE0ELb0ELb0ES3_N6thrust23THRUST_200600_302600_NS6detail15normal_iteratorINS9_10device_ptrIdEEEENS9_16discard_iteratorINS9_11use_defaultEEEd11max_functorIdEdEEDaPvRmT3_T4_T5_mT6_P12ihipStream_tbENKUlT_T0_E_clISt17integral_constantIbLb1EESX_EEDaSS_ST_EUlSS_E0_NS1_11comp_targetILNS1_3genE3ELNS1_11target_archE908ELNS1_3gpuE7ELNS1_3repE0EEENS1_30default_config_static_selectorELNS0_4arch9wavefront6targetE1EEEvT1_,@function
_ZN7rocprim17ROCPRIM_400000_NS6detail17trampoline_kernelINS0_14default_configENS1_20scan_config_selectorIdEEZZNS1_9scan_implILNS1_25lookback_scan_determinismE0ELb0ELb0ES3_N6thrust23THRUST_200600_302600_NS6detail15normal_iteratorINS9_10device_ptrIdEEEENS9_16discard_iteratorINS9_11use_defaultEEEd11max_functorIdEdEEDaPvRmT3_T4_T5_mT6_P12ihipStream_tbENKUlT_T0_E_clISt17integral_constantIbLb1EESX_EEDaSS_ST_EUlSS_E0_NS1_11comp_targetILNS1_3genE3ELNS1_11target_archE908ELNS1_3gpuE7ELNS1_3repE0EEENS1_30default_config_static_selectorELNS0_4arch9wavefront6targetE1EEEvT1_: ; @_ZN7rocprim17ROCPRIM_400000_NS6detail17trampoline_kernelINS0_14default_configENS1_20scan_config_selectorIdEEZZNS1_9scan_implILNS1_25lookback_scan_determinismE0ELb0ELb0ES3_N6thrust23THRUST_200600_302600_NS6detail15normal_iteratorINS9_10device_ptrIdEEEENS9_16discard_iteratorINS9_11use_defaultEEEd11max_functorIdEdEEDaPvRmT3_T4_T5_mT6_P12ihipStream_tbENKUlT_T0_E_clISt17integral_constantIbLb1EESX_EEDaSS_ST_EUlSS_E0_NS1_11comp_targetILNS1_3genE3ELNS1_11target_archE908ELNS1_3gpuE7ELNS1_3repE0EEENS1_30default_config_static_selectorELNS0_4arch9wavefront6targetE1EEEvT1_
; %bb.0:
	.section	.rodata,"a",@progbits
	.p2align	6, 0x0
	.amdhsa_kernel _ZN7rocprim17ROCPRIM_400000_NS6detail17trampoline_kernelINS0_14default_configENS1_20scan_config_selectorIdEEZZNS1_9scan_implILNS1_25lookback_scan_determinismE0ELb0ELb0ES3_N6thrust23THRUST_200600_302600_NS6detail15normal_iteratorINS9_10device_ptrIdEEEENS9_16discard_iteratorINS9_11use_defaultEEEd11max_functorIdEdEEDaPvRmT3_T4_T5_mT6_P12ihipStream_tbENKUlT_T0_E_clISt17integral_constantIbLb1EESX_EEDaSS_ST_EUlSS_E0_NS1_11comp_targetILNS1_3genE3ELNS1_11target_archE908ELNS1_3gpuE7ELNS1_3repE0EEENS1_30default_config_static_selectorELNS0_4arch9wavefront6targetE1EEEvT1_
		.amdhsa_group_segment_fixed_size 0
		.amdhsa_private_segment_fixed_size 0
		.amdhsa_kernarg_size 48
		.amdhsa_user_sgpr_count 6
		.amdhsa_user_sgpr_private_segment_buffer 1
		.amdhsa_user_sgpr_dispatch_ptr 0
		.amdhsa_user_sgpr_queue_ptr 0
		.amdhsa_user_sgpr_kernarg_segment_ptr 1
		.amdhsa_user_sgpr_dispatch_id 0
		.amdhsa_user_sgpr_flat_scratch_init 0
		.amdhsa_user_sgpr_kernarg_preload_length 0
		.amdhsa_user_sgpr_kernarg_preload_offset 0
		.amdhsa_user_sgpr_private_segment_size 0
		.amdhsa_uses_dynamic_stack 0
		.amdhsa_system_sgpr_private_segment_wavefront_offset 0
		.amdhsa_system_sgpr_workgroup_id_x 1
		.amdhsa_system_sgpr_workgroup_id_y 0
		.amdhsa_system_sgpr_workgroup_id_z 0
		.amdhsa_system_sgpr_workgroup_info 0
		.amdhsa_system_vgpr_workitem_id 0
		.amdhsa_next_free_vgpr 1
		.amdhsa_next_free_sgpr 0
		.amdhsa_accum_offset 4
		.amdhsa_reserve_vcc 0
		.amdhsa_reserve_flat_scratch 0
		.amdhsa_float_round_mode_32 0
		.amdhsa_float_round_mode_16_64 0
		.amdhsa_float_denorm_mode_32 3
		.amdhsa_float_denorm_mode_16_64 3
		.amdhsa_dx10_clamp 1
		.amdhsa_ieee_mode 1
		.amdhsa_fp16_overflow 0
		.amdhsa_tg_split 0
		.amdhsa_exception_fp_ieee_invalid_op 0
		.amdhsa_exception_fp_denorm_src 0
		.amdhsa_exception_fp_ieee_div_zero 0
		.amdhsa_exception_fp_ieee_overflow 0
		.amdhsa_exception_fp_ieee_underflow 0
		.amdhsa_exception_fp_ieee_inexact 0
		.amdhsa_exception_int_div_zero 0
	.end_amdhsa_kernel
	.section	.text._ZN7rocprim17ROCPRIM_400000_NS6detail17trampoline_kernelINS0_14default_configENS1_20scan_config_selectorIdEEZZNS1_9scan_implILNS1_25lookback_scan_determinismE0ELb0ELb0ES3_N6thrust23THRUST_200600_302600_NS6detail15normal_iteratorINS9_10device_ptrIdEEEENS9_16discard_iteratorINS9_11use_defaultEEEd11max_functorIdEdEEDaPvRmT3_T4_T5_mT6_P12ihipStream_tbENKUlT_T0_E_clISt17integral_constantIbLb1EESX_EEDaSS_ST_EUlSS_E0_NS1_11comp_targetILNS1_3genE3ELNS1_11target_archE908ELNS1_3gpuE7ELNS1_3repE0EEENS1_30default_config_static_selectorELNS0_4arch9wavefront6targetE1EEEvT1_,"axG",@progbits,_ZN7rocprim17ROCPRIM_400000_NS6detail17trampoline_kernelINS0_14default_configENS1_20scan_config_selectorIdEEZZNS1_9scan_implILNS1_25lookback_scan_determinismE0ELb0ELb0ES3_N6thrust23THRUST_200600_302600_NS6detail15normal_iteratorINS9_10device_ptrIdEEEENS9_16discard_iteratorINS9_11use_defaultEEEd11max_functorIdEdEEDaPvRmT3_T4_T5_mT6_P12ihipStream_tbENKUlT_T0_E_clISt17integral_constantIbLb1EESX_EEDaSS_ST_EUlSS_E0_NS1_11comp_targetILNS1_3genE3ELNS1_11target_archE908ELNS1_3gpuE7ELNS1_3repE0EEENS1_30default_config_static_selectorELNS0_4arch9wavefront6targetE1EEEvT1_,comdat
.Lfunc_end3020:
	.size	_ZN7rocprim17ROCPRIM_400000_NS6detail17trampoline_kernelINS0_14default_configENS1_20scan_config_selectorIdEEZZNS1_9scan_implILNS1_25lookback_scan_determinismE0ELb0ELb0ES3_N6thrust23THRUST_200600_302600_NS6detail15normal_iteratorINS9_10device_ptrIdEEEENS9_16discard_iteratorINS9_11use_defaultEEEd11max_functorIdEdEEDaPvRmT3_T4_T5_mT6_P12ihipStream_tbENKUlT_T0_E_clISt17integral_constantIbLb1EESX_EEDaSS_ST_EUlSS_E0_NS1_11comp_targetILNS1_3genE3ELNS1_11target_archE908ELNS1_3gpuE7ELNS1_3repE0EEENS1_30default_config_static_selectorELNS0_4arch9wavefront6targetE1EEEvT1_, .Lfunc_end3020-_ZN7rocprim17ROCPRIM_400000_NS6detail17trampoline_kernelINS0_14default_configENS1_20scan_config_selectorIdEEZZNS1_9scan_implILNS1_25lookback_scan_determinismE0ELb0ELb0ES3_N6thrust23THRUST_200600_302600_NS6detail15normal_iteratorINS9_10device_ptrIdEEEENS9_16discard_iteratorINS9_11use_defaultEEEd11max_functorIdEdEEDaPvRmT3_T4_T5_mT6_P12ihipStream_tbENKUlT_T0_E_clISt17integral_constantIbLb1EESX_EEDaSS_ST_EUlSS_E0_NS1_11comp_targetILNS1_3genE3ELNS1_11target_archE908ELNS1_3gpuE7ELNS1_3repE0EEENS1_30default_config_static_selectorELNS0_4arch9wavefront6targetE1EEEvT1_
                                        ; -- End function
	.section	.AMDGPU.csdata,"",@progbits
; Kernel info:
; codeLenInByte = 0
; NumSgprs: 4
; NumVgprs: 0
; NumAgprs: 0
; TotalNumVgprs: 0
; ScratchSize: 0
; MemoryBound: 0
; FloatMode: 240
; IeeeMode: 1
; LDSByteSize: 0 bytes/workgroup (compile time only)
; SGPRBlocks: 0
; VGPRBlocks: 0
; NumSGPRsForWavesPerEU: 4
; NumVGPRsForWavesPerEU: 1
; AccumOffset: 4
; Occupancy: 8
; WaveLimiterHint : 0
; COMPUTE_PGM_RSRC2:SCRATCH_EN: 0
; COMPUTE_PGM_RSRC2:USER_SGPR: 6
; COMPUTE_PGM_RSRC2:TRAP_HANDLER: 0
; COMPUTE_PGM_RSRC2:TGID_X_EN: 1
; COMPUTE_PGM_RSRC2:TGID_Y_EN: 0
; COMPUTE_PGM_RSRC2:TGID_Z_EN: 0
; COMPUTE_PGM_RSRC2:TIDIG_COMP_CNT: 0
; COMPUTE_PGM_RSRC3_GFX90A:ACCUM_OFFSET: 0
; COMPUTE_PGM_RSRC3_GFX90A:TG_SPLIT: 0
	.section	.text._ZN7rocprim17ROCPRIM_400000_NS6detail17trampoline_kernelINS0_14default_configENS1_20scan_config_selectorIdEEZZNS1_9scan_implILNS1_25lookback_scan_determinismE0ELb0ELb0ES3_N6thrust23THRUST_200600_302600_NS6detail15normal_iteratorINS9_10device_ptrIdEEEENS9_16discard_iteratorINS9_11use_defaultEEEd11max_functorIdEdEEDaPvRmT3_T4_T5_mT6_P12ihipStream_tbENKUlT_T0_E_clISt17integral_constantIbLb1EESX_EEDaSS_ST_EUlSS_E0_NS1_11comp_targetILNS1_3genE2ELNS1_11target_archE906ELNS1_3gpuE6ELNS1_3repE0EEENS1_30default_config_static_selectorELNS0_4arch9wavefront6targetE1EEEvT1_,"axG",@progbits,_ZN7rocprim17ROCPRIM_400000_NS6detail17trampoline_kernelINS0_14default_configENS1_20scan_config_selectorIdEEZZNS1_9scan_implILNS1_25lookback_scan_determinismE0ELb0ELb0ES3_N6thrust23THRUST_200600_302600_NS6detail15normal_iteratorINS9_10device_ptrIdEEEENS9_16discard_iteratorINS9_11use_defaultEEEd11max_functorIdEdEEDaPvRmT3_T4_T5_mT6_P12ihipStream_tbENKUlT_T0_E_clISt17integral_constantIbLb1EESX_EEDaSS_ST_EUlSS_E0_NS1_11comp_targetILNS1_3genE2ELNS1_11target_archE906ELNS1_3gpuE6ELNS1_3repE0EEENS1_30default_config_static_selectorELNS0_4arch9wavefront6targetE1EEEvT1_,comdat
	.protected	_ZN7rocprim17ROCPRIM_400000_NS6detail17trampoline_kernelINS0_14default_configENS1_20scan_config_selectorIdEEZZNS1_9scan_implILNS1_25lookback_scan_determinismE0ELb0ELb0ES3_N6thrust23THRUST_200600_302600_NS6detail15normal_iteratorINS9_10device_ptrIdEEEENS9_16discard_iteratorINS9_11use_defaultEEEd11max_functorIdEdEEDaPvRmT3_T4_T5_mT6_P12ihipStream_tbENKUlT_T0_E_clISt17integral_constantIbLb1EESX_EEDaSS_ST_EUlSS_E0_NS1_11comp_targetILNS1_3genE2ELNS1_11target_archE906ELNS1_3gpuE6ELNS1_3repE0EEENS1_30default_config_static_selectorELNS0_4arch9wavefront6targetE1EEEvT1_ ; -- Begin function _ZN7rocprim17ROCPRIM_400000_NS6detail17trampoline_kernelINS0_14default_configENS1_20scan_config_selectorIdEEZZNS1_9scan_implILNS1_25lookback_scan_determinismE0ELb0ELb0ES3_N6thrust23THRUST_200600_302600_NS6detail15normal_iteratorINS9_10device_ptrIdEEEENS9_16discard_iteratorINS9_11use_defaultEEEd11max_functorIdEdEEDaPvRmT3_T4_T5_mT6_P12ihipStream_tbENKUlT_T0_E_clISt17integral_constantIbLb1EESX_EEDaSS_ST_EUlSS_E0_NS1_11comp_targetILNS1_3genE2ELNS1_11target_archE906ELNS1_3gpuE6ELNS1_3repE0EEENS1_30default_config_static_selectorELNS0_4arch9wavefront6targetE1EEEvT1_
	.globl	_ZN7rocprim17ROCPRIM_400000_NS6detail17trampoline_kernelINS0_14default_configENS1_20scan_config_selectorIdEEZZNS1_9scan_implILNS1_25lookback_scan_determinismE0ELb0ELb0ES3_N6thrust23THRUST_200600_302600_NS6detail15normal_iteratorINS9_10device_ptrIdEEEENS9_16discard_iteratorINS9_11use_defaultEEEd11max_functorIdEdEEDaPvRmT3_T4_T5_mT6_P12ihipStream_tbENKUlT_T0_E_clISt17integral_constantIbLb1EESX_EEDaSS_ST_EUlSS_E0_NS1_11comp_targetILNS1_3genE2ELNS1_11target_archE906ELNS1_3gpuE6ELNS1_3repE0EEENS1_30default_config_static_selectorELNS0_4arch9wavefront6targetE1EEEvT1_
	.p2align	8
	.type	_ZN7rocprim17ROCPRIM_400000_NS6detail17trampoline_kernelINS0_14default_configENS1_20scan_config_selectorIdEEZZNS1_9scan_implILNS1_25lookback_scan_determinismE0ELb0ELb0ES3_N6thrust23THRUST_200600_302600_NS6detail15normal_iteratorINS9_10device_ptrIdEEEENS9_16discard_iteratorINS9_11use_defaultEEEd11max_functorIdEdEEDaPvRmT3_T4_T5_mT6_P12ihipStream_tbENKUlT_T0_E_clISt17integral_constantIbLb1EESX_EEDaSS_ST_EUlSS_E0_NS1_11comp_targetILNS1_3genE2ELNS1_11target_archE906ELNS1_3gpuE6ELNS1_3repE0EEENS1_30default_config_static_selectorELNS0_4arch9wavefront6targetE1EEEvT1_,@function
_ZN7rocprim17ROCPRIM_400000_NS6detail17trampoline_kernelINS0_14default_configENS1_20scan_config_selectorIdEEZZNS1_9scan_implILNS1_25lookback_scan_determinismE0ELb0ELb0ES3_N6thrust23THRUST_200600_302600_NS6detail15normal_iteratorINS9_10device_ptrIdEEEENS9_16discard_iteratorINS9_11use_defaultEEEd11max_functorIdEdEEDaPvRmT3_T4_T5_mT6_P12ihipStream_tbENKUlT_T0_E_clISt17integral_constantIbLb1EESX_EEDaSS_ST_EUlSS_E0_NS1_11comp_targetILNS1_3genE2ELNS1_11target_archE906ELNS1_3gpuE6ELNS1_3repE0EEENS1_30default_config_static_selectorELNS0_4arch9wavefront6targetE1EEEvT1_: ; @_ZN7rocprim17ROCPRIM_400000_NS6detail17trampoline_kernelINS0_14default_configENS1_20scan_config_selectorIdEEZZNS1_9scan_implILNS1_25lookback_scan_determinismE0ELb0ELb0ES3_N6thrust23THRUST_200600_302600_NS6detail15normal_iteratorINS9_10device_ptrIdEEEENS9_16discard_iteratorINS9_11use_defaultEEEd11max_functorIdEdEEDaPvRmT3_T4_T5_mT6_P12ihipStream_tbENKUlT_T0_E_clISt17integral_constantIbLb1EESX_EEDaSS_ST_EUlSS_E0_NS1_11comp_targetILNS1_3genE2ELNS1_11target_archE906ELNS1_3gpuE6ELNS1_3repE0EEENS1_30default_config_static_selectorELNS0_4arch9wavefront6targetE1EEEvT1_
; %bb.0:
	.section	.rodata,"a",@progbits
	.p2align	6, 0x0
	.amdhsa_kernel _ZN7rocprim17ROCPRIM_400000_NS6detail17trampoline_kernelINS0_14default_configENS1_20scan_config_selectorIdEEZZNS1_9scan_implILNS1_25lookback_scan_determinismE0ELb0ELb0ES3_N6thrust23THRUST_200600_302600_NS6detail15normal_iteratorINS9_10device_ptrIdEEEENS9_16discard_iteratorINS9_11use_defaultEEEd11max_functorIdEdEEDaPvRmT3_T4_T5_mT6_P12ihipStream_tbENKUlT_T0_E_clISt17integral_constantIbLb1EESX_EEDaSS_ST_EUlSS_E0_NS1_11comp_targetILNS1_3genE2ELNS1_11target_archE906ELNS1_3gpuE6ELNS1_3repE0EEENS1_30default_config_static_selectorELNS0_4arch9wavefront6targetE1EEEvT1_
		.amdhsa_group_segment_fixed_size 0
		.amdhsa_private_segment_fixed_size 0
		.amdhsa_kernarg_size 48
		.amdhsa_user_sgpr_count 6
		.amdhsa_user_sgpr_private_segment_buffer 1
		.amdhsa_user_sgpr_dispatch_ptr 0
		.amdhsa_user_sgpr_queue_ptr 0
		.amdhsa_user_sgpr_kernarg_segment_ptr 1
		.amdhsa_user_sgpr_dispatch_id 0
		.amdhsa_user_sgpr_flat_scratch_init 0
		.amdhsa_user_sgpr_kernarg_preload_length 0
		.amdhsa_user_sgpr_kernarg_preload_offset 0
		.amdhsa_user_sgpr_private_segment_size 0
		.amdhsa_uses_dynamic_stack 0
		.amdhsa_system_sgpr_private_segment_wavefront_offset 0
		.amdhsa_system_sgpr_workgroup_id_x 1
		.amdhsa_system_sgpr_workgroup_id_y 0
		.amdhsa_system_sgpr_workgroup_id_z 0
		.amdhsa_system_sgpr_workgroup_info 0
		.amdhsa_system_vgpr_workitem_id 0
		.amdhsa_next_free_vgpr 1
		.amdhsa_next_free_sgpr 0
		.amdhsa_accum_offset 4
		.amdhsa_reserve_vcc 0
		.amdhsa_reserve_flat_scratch 0
		.amdhsa_float_round_mode_32 0
		.amdhsa_float_round_mode_16_64 0
		.amdhsa_float_denorm_mode_32 3
		.amdhsa_float_denorm_mode_16_64 3
		.amdhsa_dx10_clamp 1
		.amdhsa_ieee_mode 1
		.amdhsa_fp16_overflow 0
		.amdhsa_tg_split 0
		.amdhsa_exception_fp_ieee_invalid_op 0
		.amdhsa_exception_fp_denorm_src 0
		.amdhsa_exception_fp_ieee_div_zero 0
		.amdhsa_exception_fp_ieee_overflow 0
		.amdhsa_exception_fp_ieee_underflow 0
		.amdhsa_exception_fp_ieee_inexact 0
		.amdhsa_exception_int_div_zero 0
	.end_amdhsa_kernel
	.section	.text._ZN7rocprim17ROCPRIM_400000_NS6detail17trampoline_kernelINS0_14default_configENS1_20scan_config_selectorIdEEZZNS1_9scan_implILNS1_25lookback_scan_determinismE0ELb0ELb0ES3_N6thrust23THRUST_200600_302600_NS6detail15normal_iteratorINS9_10device_ptrIdEEEENS9_16discard_iteratorINS9_11use_defaultEEEd11max_functorIdEdEEDaPvRmT3_T4_T5_mT6_P12ihipStream_tbENKUlT_T0_E_clISt17integral_constantIbLb1EESX_EEDaSS_ST_EUlSS_E0_NS1_11comp_targetILNS1_3genE2ELNS1_11target_archE906ELNS1_3gpuE6ELNS1_3repE0EEENS1_30default_config_static_selectorELNS0_4arch9wavefront6targetE1EEEvT1_,"axG",@progbits,_ZN7rocprim17ROCPRIM_400000_NS6detail17trampoline_kernelINS0_14default_configENS1_20scan_config_selectorIdEEZZNS1_9scan_implILNS1_25lookback_scan_determinismE0ELb0ELb0ES3_N6thrust23THRUST_200600_302600_NS6detail15normal_iteratorINS9_10device_ptrIdEEEENS9_16discard_iteratorINS9_11use_defaultEEEd11max_functorIdEdEEDaPvRmT3_T4_T5_mT6_P12ihipStream_tbENKUlT_T0_E_clISt17integral_constantIbLb1EESX_EEDaSS_ST_EUlSS_E0_NS1_11comp_targetILNS1_3genE2ELNS1_11target_archE906ELNS1_3gpuE6ELNS1_3repE0EEENS1_30default_config_static_selectorELNS0_4arch9wavefront6targetE1EEEvT1_,comdat
.Lfunc_end3021:
	.size	_ZN7rocprim17ROCPRIM_400000_NS6detail17trampoline_kernelINS0_14default_configENS1_20scan_config_selectorIdEEZZNS1_9scan_implILNS1_25lookback_scan_determinismE0ELb0ELb0ES3_N6thrust23THRUST_200600_302600_NS6detail15normal_iteratorINS9_10device_ptrIdEEEENS9_16discard_iteratorINS9_11use_defaultEEEd11max_functorIdEdEEDaPvRmT3_T4_T5_mT6_P12ihipStream_tbENKUlT_T0_E_clISt17integral_constantIbLb1EESX_EEDaSS_ST_EUlSS_E0_NS1_11comp_targetILNS1_3genE2ELNS1_11target_archE906ELNS1_3gpuE6ELNS1_3repE0EEENS1_30default_config_static_selectorELNS0_4arch9wavefront6targetE1EEEvT1_, .Lfunc_end3021-_ZN7rocprim17ROCPRIM_400000_NS6detail17trampoline_kernelINS0_14default_configENS1_20scan_config_selectorIdEEZZNS1_9scan_implILNS1_25lookback_scan_determinismE0ELb0ELb0ES3_N6thrust23THRUST_200600_302600_NS6detail15normal_iteratorINS9_10device_ptrIdEEEENS9_16discard_iteratorINS9_11use_defaultEEEd11max_functorIdEdEEDaPvRmT3_T4_T5_mT6_P12ihipStream_tbENKUlT_T0_E_clISt17integral_constantIbLb1EESX_EEDaSS_ST_EUlSS_E0_NS1_11comp_targetILNS1_3genE2ELNS1_11target_archE906ELNS1_3gpuE6ELNS1_3repE0EEENS1_30default_config_static_selectorELNS0_4arch9wavefront6targetE1EEEvT1_
                                        ; -- End function
	.section	.AMDGPU.csdata,"",@progbits
; Kernel info:
; codeLenInByte = 0
; NumSgprs: 4
; NumVgprs: 0
; NumAgprs: 0
; TotalNumVgprs: 0
; ScratchSize: 0
; MemoryBound: 0
; FloatMode: 240
; IeeeMode: 1
; LDSByteSize: 0 bytes/workgroup (compile time only)
; SGPRBlocks: 0
; VGPRBlocks: 0
; NumSGPRsForWavesPerEU: 4
; NumVGPRsForWavesPerEU: 1
; AccumOffset: 4
; Occupancy: 8
; WaveLimiterHint : 0
; COMPUTE_PGM_RSRC2:SCRATCH_EN: 0
; COMPUTE_PGM_RSRC2:USER_SGPR: 6
; COMPUTE_PGM_RSRC2:TRAP_HANDLER: 0
; COMPUTE_PGM_RSRC2:TGID_X_EN: 1
; COMPUTE_PGM_RSRC2:TGID_Y_EN: 0
; COMPUTE_PGM_RSRC2:TGID_Z_EN: 0
; COMPUTE_PGM_RSRC2:TIDIG_COMP_CNT: 0
; COMPUTE_PGM_RSRC3_GFX90A:ACCUM_OFFSET: 0
; COMPUTE_PGM_RSRC3_GFX90A:TG_SPLIT: 0
	.section	.text._ZN7rocprim17ROCPRIM_400000_NS6detail17trampoline_kernelINS0_14default_configENS1_20scan_config_selectorIdEEZZNS1_9scan_implILNS1_25lookback_scan_determinismE0ELb0ELb0ES3_N6thrust23THRUST_200600_302600_NS6detail15normal_iteratorINS9_10device_ptrIdEEEENS9_16discard_iteratorINS9_11use_defaultEEEd11max_functorIdEdEEDaPvRmT3_T4_T5_mT6_P12ihipStream_tbENKUlT_T0_E_clISt17integral_constantIbLb1EESX_EEDaSS_ST_EUlSS_E0_NS1_11comp_targetILNS1_3genE10ELNS1_11target_archE1201ELNS1_3gpuE5ELNS1_3repE0EEENS1_30default_config_static_selectorELNS0_4arch9wavefront6targetE1EEEvT1_,"axG",@progbits,_ZN7rocprim17ROCPRIM_400000_NS6detail17trampoline_kernelINS0_14default_configENS1_20scan_config_selectorIdEEZZNS1_9scan_implILNS1_25lookback_scan_determinismE0ELb0ELb0ES3_N6thrust23THRUST_200600_302600_NS6detail15normal_iteratorINS9_10device_ptrIdEEEENS9_16discard_iteratorINS9_11use_defaultEEEd11max_functorIdEdEEDaPvRmT3_T4_T5_mT6_P12ihipStream_tbENKUlT_T0_E_clISt17integral_constantIbLb1EESX_EEDaSS_ST_EUlSS_E0_NS1_11comp_targetILNS1_3genE10ELNS1_11target_archE1201ELNS1_3gpuE5ELNS1_3repE0EEENS1_30default_config_static_selectorELNS0_4arch9wavefront6targetE1EEEvT1_,comdat
	.protected	_ZN7rocprim17ROCPRIM_400000_NS6detail17trampoline_kernelINS0_14default_configENS1_20scan_config_selectorIdEEZZNS1_9scan_implILNS1_25lookback_scan_determinismE0ELb0ELb0ES3_N6thrust23THRUST_200600_302600_NS6detail15normal_iteratorINS9_10device_ptrIdEEEENS9_16discard_iteratorINS9_11use_defaultEEEd11max_functorIdEdEEDaPvRmT3_T4_T5_mT6_P12ihipStream_tbENKUlT_T0_E_clISt17integral_constantIbLb1EESX_EEDaSS_ST_EUlSS_E0_NS1_11comp_targetILNS1_3genE10ELNS1_11target_archE1201ELNS1_3gpuE5ELNS1_3repE0EEENS1_30default_config_static_selectorELNS0_4arch9wavefront6targetE1EEEvT1_ ; -- Begin function _ZN7rocprim17ROCPRIM_400000_NS6detail17trampoline_kernelINS0_14default_configENS1_20scan_config_selectorIdEEZZNS1_9scan_implILNS1_25lookback_scan_determinismE0ELb0ELb0ES3_N6thrust23THRUST_200600_302600_NS6detail15normal_iteratorINS9_10device_ptrIdEEEENS9_16discard_iteratorINS9_11use_defaultEEEd11max_functorIdEdEEDaPvRmT3_T4_T5_mT6_P12ihipStream_tbENKUlT_T0_E_clISt17integral_constantIbLb1EESX_EEDaSS_ST_EUlSS_E0_NS1_11comp_targetILNS1_3genE10ELNS1_11target_archE1201ELNS1_3gpuE5ELNS1_3repE0EEENS1_30default_config_static_selectorELNS0_4arch9wavefront6targetE1EEEvT1_
	.globl	_ZN7rocprim17ROCPRIM_400000_NS6detail17trampoline_kernelINS0_14default_configENS1_20scan_config_selectorIdEEZZNS1_9scan_implILNS1_25lookback_scan_determinismE0ELb0ELb0ES3_N6thrust23THRUST_200600_302600_NS6detail15normal_iteratorINS9_10device_ptrIdEEEENS9_16discard_iteratorINS9_11use_defaultEEEd11max_functorIdEdEEDaPvRmT3_T4_T5_mT6_P12ihipStream_tbENKUlT_T0_E_clISt17integral_constantIbLb1EESX_EEDaSS_ST_EUlSS_E0_NS1_11comp_targetILNS1_3genE10ELNS1_11target_archE1201ELNS1_3gpuE5ELNS1_3repE0EEENS1_30default_config_static_selectorELNS0_4arch9wavefront6targetE1EEEvT1_
	.p2align	8
	.type	_ZN7rocprim17ROCPRIM_400000_NS6detail17trampoline_kernelINS0_14default_configENS1_20scan_config_selectorIdEEZZNS1_9scan_implILNS1_25lookback_scan_determinismE0ELb0ELb0ES3_N6thrust23THRUST_200600_302600_NS6detail15normal_iteratorINS9_10device_ptrIdEEEENS9_16discard_iteratorINS9_11use_defaultEEEd11max_functorIdEdEEDaPvRmT3_T4_T5_mT6_P12ihipStream_tbENKUlT_T0_E_clISt17integral_constantIbLb1EESX_EEDaSS_ST_EUlSS_E0_NS1_11comp_targetILNS1_3genE10ELNS1_11target_archE1201ELNS1_3gpuE5ELNS1_3repE0EEENS1_30default_config_static_selectorELNS0_4arch9wavefront6targetE1EEEvT1_,@function
_ZN7rocprim17ROCPRIM_400000_NS6detail17trampoline_kernelINS0_14default_configENS1_20scan_config_selectorIdEEZZNS1_9scan_implILNS1_25lookback_scan_determinismE0ELb0ELb0ES3_N6thrust23THRUST_200600_302600_NS6detail15normal_iteratorINS9_10device_ptrIdEEEENS9_16discard_iteratorINS9_11use_defaultEEEd11max_functorIdEdEEDaPvRmT3_T4_T5_mT6_P12ihipStream_tbENKUlT_T0_E_clISt17integral_constantIbLb1EESX_EEDaSS_ST_EUlSS_E0_NS1_11comp_targetILNS1_3genE10ELNS1_11target_archE1201ELNS1_3gpuE5ELNS1_3repE0EEENS1_30default_config_static_selectorELNS0_4arch9wavefront6targetE1EEEvT1_: ; @_ZN7rocprim17ROCPRIM_400000_NS6detail17trampoline_kernelINS0_14default_configENS1_20scan_config_selectorIdEEZZNS1_9scan_implILNS1_25lookback_scan_determinismE0ELb0ELb0ES3_N6thrust23THRUST_200600_302600_NS6detail15normal_iteratorINS9_10device_ptrIdEEEENS9_16discard_iteratorINS9_11use_defaultEEEd11max_functorIdEdEEDaPvRmT3_T4_T5_mT6_P12ihipStream_tbENKUlT_T0_E_clISt17integral_constantIbLb1EESX_EEDaSS_ST_EUlSS_E0_NS1_11comp_targetILNS1_3genE10ELNS1_11target_archE1201ELNS1_3gpuE5ELNS1_3repE0EEENS1_30default_config_static_selectorELNS0_4arch9wavefront6targetE1EEEvT1_
; %bb.0:
	.section	.rodata,"a",@progbits
	.p2align	6, 0x0
	.amdhsa_kernel _ZN7rocprim17ROCPRIM_400000_NS6detail17trampoline_kernelINS0_14default_configENS1_20scan_config_selectorIdEEZZNS1_9scan_implILNS1_25lookback_scan_determinismE0ELb0ELb0ES3_N6thrust23THRUST_200600_302600_NS6detail15normal_iteratorINS9_10device_ptrIdEEEENS9_16discard_iteratorINS9_11use_defaultEEEd11max_functorIdEdEEDaPvRmT3_T4_T5_mT6_P12ihipStream_tbENKUlT_T0_E_clISt17integral_constantIbLb1EESX_EEDaSS_ST_EUlSS_E0_NS1_11comp_targetILNS1_3genE10ELNS1_11target_archE1201ELNS1_3gpuE5ELNS1_3repE0EEENS1_30default_config_static_selectorELNS0_4arch9wavefront6targetE1EEEvT1_
		.amdhsa_group_segment_fixed_size 0
		.amdhsa_private_segment_fixed_size 0
		.amdhsa_kernarg_size 48
		.amdhsa_user_sgpr_count 6
		.amdhsa_user_sgpr_private_segment_buffer 1
		.amdhsa_user_sgpr_dispatch_ptr 0
		.amdhsa_user_sgpr_queue_ptr 0
		.amdhsa_user_sgpr_kernarg_segment_ptr 1
		.amdhsa_user_sgpr_dispatch_id 0
		.amdhsa_user_sgpr_flat_scratch_init 0
		.amdhsa_user_sgpr_kernarg_preload_length 0
		.amdhsa_user_sgpr_kernarg_preload_offset 0
		.amdhsa_user_sgpr_private_segment_size 0
		.amdhsa_uses_dynamic_stack 0
		.amdhsa_system_sgpr_private_segment_wavefront_offset 0
		.amdhsa_system_sgpr_workgroup_id_x 1
		.amdhsa_system_sgpr_workgroup_id_y 0
		.amdhsa_system_sgpr_workgroup_id_z 0
		.amdhsa_system_sgpr_workgroup_info 0
		.amdhsa_system_vgpr_workitem_id 0
		.amdhsa_next_free_vgpr 1
		.amdhsa_next_free_sgpr 0
		.amdhsa_accum_offset 4
		.amdhsa_reserve_vcc 0
		.amdhsa_reserve_flat_scratch 0
		.amdhsa_float_round_mode_32 0
		.amdhsa_float_round_mode_16_64 0
		.amdhsa_float_denorm_mode_32 3
		.amdhsa_float_denorm_mode_16_64 3
		.amdhsa_dx10_clamp 1
		.amdhsa_ieee_mode 1
		.amdhsa_fp16_overflow 0
		.amdhsa_tg_split 0
		.amdhsa_exception_fp_ieee_invalid_op 0
		.amdhsa_exception_fp_denorm_src 0
		.amdhsa_exception_fp_ieee_div_zero 0
		.amdhsa_exception_fp_ieee_overflow 0
		.amdhsa_exception_fp_ieee_underflow 0
		.amdhsa_exception_fp_ieee_inexact 0
		.amdhsa_exception_int_div_zero 0
	.end_amdhsa_kernel
	.section	.text._ZN7rocprim17ROCPRIM_400000_NS6detail17trampoline_kernelINS0_14default_configENS1_20scan_config_selectorIdEEZZNS1_9scan_implILNS1_25lookback_scan_determinismE0ELb0ELb0ES3_N6thrust23THRUST_200600_302600_NS6detail15normal_iteratorINS9_10device_ptrIdEEEENS9_16discard_iteratorINS9_11use_defaultEEEd11max_functorIdEdEEDaPvRmT3_T4_T5_mT6_P12ihipStream_tbENKUlT_T0_E_clISt17integral_constantIbLb1EESX_EEDaSS_ST_EUlSS_E0_NS1_11comp_targetILNS1_3genE10ELNS1_11target_archE1201ELNS1_3gpuE5ELNS1_3repE0EEENS1_30default_config_static_selectorELNS0_4arch9wavefront6targetE1EEEvT1_,"axG",@progbits,_ZN7rocprim17ROCPRIM_400000_NS6detail17trampoline_kernelINS0_14default_configENS1_20scan_config_selectorIdEEZZNS1_9scan_implILNS1_25lookback_scan_determinismE0ELb0ELb0ES3_N6thrust23THRUST_200600_302600_NS6detail15normal_iteratorINS9_10device_ptrIdEEEENS9_16discard_iteratorINS9_11use_defaultEEEd11max_functorIdEdEEDaPvRmT3_T4_T5_mT6_P12ihipStream_tbENKUlT_T0_E_clISt17integral_constantIbLb1EESX_EEDaSS_ST_EUlSS_E0_NS1_11comp_targetILNS1_3genE10ELNS1_11target_archE1201ELNS1_3gpuE5ELNS1_3repE0EEENS1_30default_config_static_selectorELNS0_4arch9wavefront6targetE1EEEvT1_,comdat
.Lfunc_end3022:
	.size	_ZN7rocprim17ROCPRIM_400000_NS6detail17trampoline_kernelINS0_14default_configENS1_20scan_config_selectorIdEEZZNS1_9scan_implILNS1_25lookback_scan_determinismE0ELb0ELb0ES3_N6thrust23THRUST_200600_302600_NS6detail15normal_iteratorINS9_10device_ptrIdEEEENS9_16discard_iteratorINS9_11use_defaultEEEd11max_functorIdEdEEDaPvRmT3_T4_T5_mT6_P12ihipStream_tbENKUlT_T0_E_clISt17integral_constantIbLb1EESX_EEDaSS_ST_EUlSS_E0_NS1_11comp_targetILNS1_3genE10ELNS1_11target_archE1201ELNS1_3gpuE5ELNS1_3repE0EEENS1_30default_config_static_selectorELNS0_4arch9wavefront6targetE1EEEvT1_, .Lfunc_end3022-_ZN7rocprim17ROCPRIM_400000_NS6detail17trampoline_kernelINS0_14default_configENS1_20scan_config_selectorIdEEZZNS1_9scan_implILNS1_25lookback_scan_determinismE0ELb0ELb0ES3_N6thrust23THRUST_200600_302600_NS6detail15normal_iteratorINS9_10device_ptrIdEEEENS9_16discard_iteratorINS9_11use_defaultEEEd11max_functorIdEdEEDaPvRmT3_T4_T5_mT6_P12ihipStream_tbENKUlT_T0_E_clISt17integral_constantIbLb1EESX_EEDaSS_ST_EUlSS_E0_NS1_11comp_targetILNS1_3genE10ELNS1_11target_archE1201ELNS1_3gpuE5ELNS1_3repE0EEENS1_30default_config_static_selectorELNS0_4arch9wavefront6targetE1EEEvT1_
                                        ; -- End function
	.section	.AMDGPU.csdata,"",@progbits
; Kernel info:
; codeLenInByte = 0
; NumSgprs: 4
; NumVgprs: 0
; NumAgprs: 0
; TotalNumVgprs: 0
; ScratchSize: 0
; MemoryBound: 0
; FloatMode: 240
; IeeeMode: 1
; LDSByteSize: 0 bytes/workgroup (compile time only)
; SGPRBlocks: 0
; VGPRBlocks: 0
; NumSGPRsForWavesPerEU: 4
; NumVGPRsForWavesPerEU: 1
; AccumOffset: 4
; Occupancy: 8
; WaveLimiterHint : 0
; COMPUTE_PGM_RSRC2:SCRATCH_EN: 0
; COMPUTE_PGM_RSRC2:USER_SGPR: 6
; COMPUTE_PGM_RSRC2:TRAP_HANDLER: 0
; COMPUTE_PGM_RSRC2:TGID_X_EN: 1
; COMPUTE_PGM_RSRC2:TGID_Y_EN: 0
; COMPUTE_PGM_RSRC2:TGID_Z_EN: 0
; COMPUTE_PGM_RSRC2:TIDIG_COMP_CNT: 0
; COMPUTE_PGM_RSRC3_GFX90A:ACCUM_OFFSET: 0
; COMPUTE_PGM_RSRC3_GFX90A:TG_SPLIT: 0
	.section	.text._ZN7rocprim17ROCPRIM_400000_NS6detail17trampoline_kernelINS0_14default_configENS1_20scan_config_selectorIdEEZZNS1_9scan_implILNS1_25lookback_scan_determinismE0ELb0ELb0ES3_N6thrust23THRUST_200600_302600_NS6detail15normal_iteratorINS9_10device_ptrIdEEEENS9_16discard_iteratorINS9_11use_defaultEEEd11max_functorIdEdEEDaPvRmT3_T4_T5_mT6_P12ihipStream_tbENKUlT_T0_E_clISt17integral_constantIbLb1EESX_EEDaSS_ST_EUlSS_E0_NS1_11comp_targetILNS1_3genE10ELNS1_11target_archE1200ELNS1_3gpuE4ELNS1_3repE0EEENS1_30default_config_static_selectorELNS0_4arch9wavefront6targetE1EEEvT1_,"axG",@progbits,_ZN7rocprim17ROCPRIM_400000_NS6detail17trampoline_kernelINS0_14default_configENS1_20scan_config_selectorIdEEZZNS1_9scan_implILNS1_25lookback_scan_determinismE0ELb0ELb0ES3_N6thrust23THRUST_200600_302600_NS6detail15normal_iteratorINS9_10device_ptrIdEEEENS9_16discard_iteratorINS9_11use_defaultEEEd11max_functorIdEdEEDaPvRmT3_T4_T5_mT6_P12ihipStream_tbENKUlT_T0_E_clISt17integral_constantIbLb1EESX_EEDaSS_ST_EUlSS_E0_NS1_11comp_targetILNS1_3genE10ELNS1_11target_archE1200ELNS1_3gpuE4ELNS1_3repE0EEENS1_30default_config_static_selectorELNS0_4arch9wavefront6targetE1EEEvT1_,comdat
	.protected	_ZN7rocprim17ROCPRIM_400000_NS6detail17trampoline_kernelINS0_14default_configENS1_20scan_config_selectorIdEEZZNS1_9scan_implILNS1_25lookback_scan_determinismE0ELb0ELb0ES3_N6thrust23THRUST_200600_302600_NS6detail15normal_iteratorINS9_10device_ptrIdEEEENS9_16discard_iteratorINS9_11use_defaultEEEd11max_functorIdEdEEDaPvRmT3_T4_T5_mT6_P12ihipStream_tbENKUlT_T0_E_clISt17integral_constantIbLb1EESX_EEDaSS_ST_EUlSS_E0_NS1_11comp_targetILNS1_3genE10ELNS1_11target_archE1200ELNS1_3gpuE4ELNS1_3repE0EEENS1_30default_config_static_selectorELNS0_4arch9wavefront6targetE1EEEvT1_ ; -- Begin function _ZN7rocprim17ROCPRIM_400000_NS6detail17trampoline_kernelINS0_14default_configENS1_20scan_config_selectorIdEEZZNS1_9scan_implILNS1_25lookback_scan_determinismE0ELb0ELb0ES3_N6thrust23THRUST_200600_302600_NS6detail15normal_iteratorINS9_10device_ptrIdEEEENS9_16discard_iteratorINS9_11use_defaultEEEd11max_functorIdEdEEDaPvRmT3_T4_T5_mT6_P12ihipStream_tbENKUlT_T0_E_clISt17integral_constantIbLb1EESX_EEDaSS_ST_EUlSS_E0_NS1_11comp_targetILNS1_3genE10ELNS1_11target_archE1200ELNS1_3gpuE4ELNS1_3repE0EEENS1_30default_config_static_selectorELNS0_4arch9wavefront6targetE1EEEvT1_
	.globl	_ZN7rocprim17ROCPRIM_400000_NS6detail17trampoline_kernelINS0_14default_configENS1_20scan_config_selectorIdEEZZNS1_9scan_implILNS1_25lookback_scan_determinismE0ELb0ELb0ES3_N6thrust23THRUST_200600_302600_NS6detail15normal_iteratorINS9_10device_ptrIdEEEENS9_16discard_iteratorINS9_11use_defaultEEEd11max_functorIdEdEEDaPvRmT3_T4_T5_mT6_P12ihipStream_tbENKUlT_T0_E_clISt17integral_constantIbLb1EESX_EEDaSS_ST_EUlSS_E0_NS1_11comp_targetILNS1_3genE10ELNS1_11target_archE1200ELNS1_3gpuE4ELNS1_3repE0EEENS1_30default_config_static_selectorELNS0_4arch9wavefront6targetE1EEEvT1_
	.p2align	8
	.type	_ZN7rocprim17ROCPRIM_400000_NS6detail17trampoline_kernelINS0_14default_configENS1_20scan_config_selectorIdEEZZNS1_9scan_implILNS1_25lookback_scan_determinismE0ELb0ELb0ES3_N6thrust23THRUST_200600_302600_NS6detail15normal_iteratorINS9_10device_ptrIdEEEENS9_16discard_iteratorINS9_11use_defaultEEEd11max_functorIdEdEEDaPvRmT3_T4_T5_mT6_P12ihipStream_tbENKUlT_T0_E_clISt17integral_constantIbLb1EESX_EEDaSS_ST_EUlSS_E0_NS1_11comp_targetILNS1_3genE10ELNS1_11target_archE1200ELNS1_3gpuE4ELNS1_3repE0EEENS1_30default_config_static_selectorELNS0_4arch9wavefront6targetE1EEEvT1_,@function
_ZN7rocprim17ROCPRIM_400000_NS6detail17trampoline_kernelINS0_14default_configENS1_20scan_config_selectorIdEEZZNS1_9scan_implILNS1_25lookback_scan_determinismE0ELb0ELb0ES3_N6thrust23THRUST_200600_302600_NS6detail15normal_iteratorINS9_10device_ptrIdEEEENS9_16discard_iteratorINS9_11use_defaultEEEd11max_functorIdEdEEDaPvRmT3_T4_T5_mT6_P12ihipStream_tbENKUlT_T0_E_clISt17integral_constantIbLb1EESX_EEDaSS_ST_EUlSS_E0_NS1_11comp_targetILNS1_3genE10ELNS1_11target_archE1200ELNS1_3gpuE4ELNS1_3repE0EEENS1_30default_config_static_selectorELNS0_4arch9wavefront6targetE1EEEvT1_: ; @_ZN7rocprim17ROCPRIM_400000_NS6detail17trampoline_kernelINS0_14default_configENS1_20scan_config_selectorIdEEZZNS1_9scan_implILNS1_25lookback_scan_determinismE0ELb0ELb0ES3_N6thrust23THRUST_200600_302600_NS6detail15normal_iteratorINS9_10device_ptrIdEEEENS9_16discard_iteratorINS9_11use_defaultEEEd11max_functorIdEdEEDaPvRmT3_T4_T5_mT6_P12ihipStream_tbENKUlT_T0_E_clISt17integral_constantIbLb1EESX_EEDaSS_ST_EUlSS_E0_NS1_11comp_targetILNS1_3genE10ELNS1_11target_archE1200ELNS1_3gpuE4ELNS1_3repE0EEENS1_30default_config_static_selectorELNS0_4arch9wavefront6targetE1EEEvT1_
; %bb.0:
	.section	.rodata,"a",@progbits
	.p2align	6, 0x0
	.amdhsa_kernel _ZN7rocprim17ROCPRIM_400000_NS6detail17trampoline_kernelINS0_14default_configENS1_20scan_config_selectorIdEEZZNS1_9scan_implILNS1_25lookback_scan_determinismE0ELb0ELb0ES3_N6thrust23THRUST_200600_302600_NS6detail15normal_iteratorINS9_10device_ptrIdEEEENS9_16discard_iteratorINS9_11use_defaultEEEd11max_functorIdEdEEDaPvRmT3_T4_T5_mT6_P12ihipStream_tbENKUlT_T0_E_clISt17integral_constantIbLb1EESX_EEDaSS_ST_EUlSS_E0_NS1_11comp_targetILNS1_3genE10ELNS1_11target_archE1200ELNS1_3gpuE4ELNS1_3repE0EEENS1_30default_config_static_selectorELNS0_4arch9wavefront6targetE1EEEvT1_
		.amdhsa_group_segment_fixed_size 0
		.amdhsa_private_segment_fixed_size 0
		.amdhsa_kernarg_size 48
		.amdhsa_user_sgpr_count 6
		.amdhsa_user_sgpr_private_segment_buffer 1
		.amdhsa_user_sgpr_dispatch_ptr 0
		.amdhsa_user_sgpr_queue_ptr 0
		.amdhsa_user_sgpr_kernarg_segment_ptr 1
		.amdhsa_user_sgpr_dispatch_id 0
		.amdhsa_user_sgpr_flat_scratch_init 0
		.amdhsa_user_sgpr_kernarg_preload_length 0
		.amdhsa_user_sgpr_kernarg_preload_offset 0
		.amdhsa_user_sgpr_private_segment_size 0
		.amdhsa_uses_dynamic_stack 0
		.amdhsa_system_sgpr_private_segment_wavefront_offset 0
		.amdhsa_system_sgpr_workgroup_id_x 1
		.amdhsa_system_sgpr_workgroup_id_y 0
		.amdhsa_system_sgpr_workgroup_id_z 0
		.amdhsa_system_sgpr_workgroup_info 0
		.amdhsa_system_vgpr_workitem_id 0
		.amdhsa_next_free_vgpr 1
		.amdhsa_next_free_sgpr 0
		.amdhsa_accum_offset 4
		.amdhsa_reserve_vcc 0
		.amdhsa_reserve_flat_scratch 0
		.amdhsa_float_round_mode_32 0
		.amdhsa_float_round_mode_16_64 0
		.amdhsa_float_denorm_mode_32 3
		.amdhsa_float_denorm_mode_16_64 3
		.amdhsa_dx10_clamp 1
		.amdhsa_ieee_mode 1
		.amdhsa_fp16_overflow 0
		.amdhsa_tg_split 0
		.amdhsa_exception_fp_ieee_invalid_op 0
		.amdhsa_exception_fp_denorm_src 0
		.amdhsa_exception_fp_ieee_div_zero 0
		.amdhsa_exception_fp_ieee_overflow 0
		.amdhsa_exception_fp_ieee_underflow 0
		.amdhsa_exception_fp_ieee_inexact 0
		.amdhsa_exception_int_div_zero 0
	.end_amdhsa_kernel
	.section	.text._ZN7rocprim17ROCPRIM_400000_NS6detail17trampoline_kernelINS0_14default_configENS1_20scan_config_selectorIdEEZZNS1_9scan_implILNS1_25lookback_scan_determinismE0ELb0ELb0ES3_N6thrust23THRUST_200600_302600_NS6detail15normal_iteratorINS9_10device_ptrIdEEEENS9_16discard_iteratorINS9_11use_defaultEEEd11max_functorIdEdEEDaPvRmT3_T4_T5_mT6_P12ihipStream_tbENKUlT_T0_E_clISt17integral_constantIbLb1EESX_EEDaSS_ST_EUlSS_E0_NS1_11comp_targetILNS1_3genE10ELNS1_11target_archE1200ELNS1_3gpuE4ELNS1_3repE0EEENS1_30default_config_static_selectorELNS0_4arch9wavefront6targetE1EEEvT1_,"axG",@progbits,_ZN7rocprim17ROCPRIM_400000_NS6detail17trampoline_kernelINS0_14default_configENS1_20scan_config_selectorIdEEZZNS1_9scan_implILNS1_25lookback_scan_determinismE0ELb0ELb0ES3_N6thrust23THRUST_200600_302600_NS6detail15normal_iteratorINS9_10device_ptrIdEEEENS9_16discard_iteratorINS9_11use_defaultEEEd11max_functorIdEdEEDaPvRmT3_T4_T5_mT6_P12ihipStream_tbENKUlT_T0_E_clISt17integral_constantIbLb1EESX_EEDaSS_ST_EUlSS_E0_NS1_11comp_targetILNS1_3genE10ELNS1_11target_archE1200ELNS1_3gpuE4ELNS1_3repE0EEENS1_30default_config_static_selectorELNS0_4arch9wavefront6targetE1EEEvT1_,comdat
.Lfunc_end3023:
	.size	_ZN7rocprim17ROCPRIM_400000_NS6detail17trampoline_kernelINS0_14default_configENS1_20scan_config_selectorIdEEZZNS1_9scan_implILNS1_25lookback_scan_determinismE0ELb0ELb0ES3_N6thrust23THRUST_200600_302600_NS6detail15normal_iteratorINS9_10device_ptrIdEEEENS9_16discard_iteratorINS9_11use_defaultEEEd11max_functorIdEdEEDaPvRmT3_T4_T5_mT6_P12ihipStream_tbENKUlT_T0_E_clISt17integral_constantIbLb1EESX_EEDaSS_ST_EUlSS_E0_NS1_11comp_targetILNS1_3genE10ELNS1_11target_archE1200ELNS1_3gpuE4ELNS1_3repE0EEENS1_30default_config_static_selectorELNS0_4arch9wavefront6targetE1EEEvT1_, .Lfunc_end3023-_ZN7rocprim17ROCPRIM_400000_NS6detail17trampoline_kernelINS0_14default_configENS1_20scan_config_selectorIdEEZZNS1_9scan_implILNS1_25lookback_scan_determinismE0ELb0ELb0ES3_N6thrust23THRUST_200600_302600_NS6detail15normal_iteratorINS9_10device_ptrIdEEEENS9_16discard_iteratorINS9_11use_defaultEEEd11max_functorIdEdEEDaPvRmT3_T4_T5_mT6_P12ihipStream_tbENKUlT_T0_E_clISt17integral_constantIbLb1EESX_EEDaSS_ST_EUlSS_E0_NS1_11comp_targetILNS1_3genE10ELNS1_11target_archE1200ELNS1_3gpuE4ELNS1_3repE0EEENS1_30default_config_static_selectorELNS0_4arch9wavefront6targetE1EEEvT1_
                                        ; -- End function
	.section	.AMDGPU.csdata,"",@progbits
; Kernel info:
; codeLenInByte = 0
; NumSgprs: 4
; NumVgprs: 0
; NumAgprs: 0
; TotalNumVgprs: 0
; ScratchSize: 0
; MemoryBound: 0
; FloatMode: 240
; IeeeMode: 1
; LDSByteSize: 0 bytes/workgroup (compile time only)
; SGPRBlocks: 0
; VGPRBlocks: 0
; NumSGPRsForWavesPerEU: 4
; NumVGPRsForWavesPerEU: 1
; AccumOffset: 4
; Occupancy: 8
; WaveLimiterHint : 0
; COMPUTE_PGM_RSRC2:SCRATCH_EN: 0
; COMPUTE_PGM_RSRC2:USER_SGPR: 6
; COMPUTE_PGM_RSRC2:TRAP_HANDLER: 0
; COMPUTE_PGM_RSRC2:TGID_X_EN: 1
; COMPUTE_PGM_RSRC2:TGID_Y_EN: 0
; COMPUTE_PGM_RSRC2:TGID_Z_EN: 0
; COMPUTE_PGM_RSRC2:TIDIG_COMP_CNT: 0
; COMPUTE_PGM_RSRC3_GFX90A:ACCUM_OFFSET: 0
; COMPUTE_PGM_RSRC3_GFX90A:TG_SPLIT: 0
	.section	.text._ZN7rocprim17ROCPRIM_400000_NS6detail17trampoline_kernelINS0_14default_configENS1_20scan_config_selectorIdEEZZNS1_9scan_implILNS1_25lookback_scan_determinismE0ELb0ELb0ES3_N6thrust23THRUST_200600_302600_NS6detail15normal_iteratorINS9_10device_ptrIdEEEENS9_16discard_iteratorINS9_11use_defaultEEEd11max_functorIdEdEEDaPvRmT3_T4_T5_mT6_P12ihipStream_tbENKUlT_T0_E_clISt17integral_constantIbLb1EESX_EEDaSS_ST_EUlSS_E0_NS1_11comp_targetILNS1_3genE9ELNS1_11target_archE1100ELNS1_3gpuE3ELNS1_3repE0EEENS1_30default_config_static_selectorELNS0_4arch9wavefront6targetE1EEEvT1_,"axG",@progbits,_ZN7rocprim17ROCPRIM_400000_NS6detail17trampoline_kernelINS0_14default_configENS1_20scan_config_selectorIdEEZZNS1_9scan_implILNS1_25lookback_scan_determinismE0ELb0ELb0ES3_N6thrust23THRUST_200600_302600_NS6detail15normal_iteratorINS9_10device_ptrIdEEEENS9_16discard_iteratorINS9_11use_defaultEEEd11max_functorIdEdEEDaPvRmT3_T4_T5_mT6_P12ihipStream_tbENKUlT_T0_E_clISt17integral_constantIbLb1EESX_EEDaSS_ST_EUlSS_E0_NS1_11comp_targetILNS1_3genE9ELNS1_11target_archE1100ELNS1_3gpuE3ELNS1_3repE0EEENS1_30default_config_static_selectorELNS0_4arch9wavefront6targetE1EEEvT1_,comdat
	.protected	_ZN7rocprim17ROCPRIM_400000_NS6detail17trampoline_kernelINS0_14default_configENS1_20scan_config_selectorIdEEZZNS1_9scan_implILNS1_25lookback_scan_determinismE0ELb0ELb0ES3_N6thrust23THRUST_200600_302600_NS6detail15normal_iteratorINS9_10device_ptrIdEEEENS9_16discard_iteratorINS9_11use_defaultEEEd11max_functorIdEdEEDaPvRmT3_T4_T5_mT6_P12ihipStream_tbENKUlT_T0_E_clISt17integral_constantIbLb1EESX_EEDaSS_ST_EUlSS_E0_NS1_11comp_targetILNS1_3genE9ELNS1_11target_archE1100ELNS1_3gpuE3ELNS1_3repE0EEENS1_30default_config_static_selectorELNS0_4arch9wavefront6targetE1EEEvT1_ ; -- Begin function _ZN7rocprim17ROCPRIM_400000_NS6detail17trampoline_kernelINS0_14default_configENS1_20scan_config_selectorIdEEZZNS1_9scan_implILNS1_25lookback_scan_determinismE0ELb0ELb0ES3_N6thrust23THRUST_200600_302600_NS6detail15normal_iteratorINS9_10device_ptrIdEEEENS9_16discard_iteratorINS9_11use_defaultEEEd11max_functorIdEdEEDaPvRmT3_T4_T5_mT6_P12ihipStream_tbENKUlT_T0_E_clISt17integral_constantIbLb1EESX_EEDaSS_ST_EUlSS_E0_NS1_11comp_targetILNS1_3genE9ELNS1_11target_archE1100ELNS1_3gpuE3ELNS1_3repE0EEENS1_30default_config_static_selectorELNS0_4arch9wavefront6targetE1EEEvT1_
	.globl	_ZN7rocprim17ROCPRIM_400000_NS6detail17trampoline_kernelINS0_14default_configENS1_20scan_config_selectorIdEEZZNS1_9scan_implILNS1_25lookback_scan_determinismE0ELb0ELb0ES3_N6thrust23THRUST_200600_302600_NS6detail15normal_iteratorINS9_10device_ptrIdEEEENS9_16discard_iteratorINS9_11use_defaultEEEd11max_functorIdEdEEDaPvRmT3_T4_T5_mT6_P12ihipStream_tbENKUlT_T0_E_clISt17integral_constantIbLb1EESX_EEDaSS_ST_EUlSS_E0_NS1_11comp_targetILNS1_3genE9ELNS1_11target_archE1100ELNS1_3gpuE3ELNS1_3repE0EEENS1_30default_config_static_selectorELNS0_4arch9wavefront6targetE1EEEvT1_
	.p2align	8
	.type	_ZN7rocprim17ROCPRIM_400000_NS6detail17trampoline_kernelINS0_14default_configENS1_20scan_config_selectorIdEEZZNS1_9scan_implILNS1_25lookback_scan_determinismE0ELb0ELb0ES3_N6thrust23THRUST_200600_302600_NS6detail15normal_iteratorINS9_10device_ptrIdEEEENS9_16discard_iteratorINS9_11use_defaultEEEd11max_functorIdEdEEDaPvRmT3_T4_T5_mT6_P12ihipStream_tbENKUlT_T0_E_clISt17integral_constantIbLb1EESX_EEDaSS_ST_EUlSS_E0_NS1_11comp_targetILNS1_3genE9ELNS1_11target_archE1100ELNS1_3gpuE3ELNS1_3repE0EEENS1_30default_config_static_selectorELNS0_4arch9wavefront6targetE1EEEvT1_,@function
_ZN7rocprim17ROCPRIM_400000_NS6detail17trampoline_kernelINS0_14default_configENS1_20scan_config_selectorIdEEZZNS1_9scan_implILNS1_25lookback_scan_determinismE0ELb0ELb0ES3_N6thrust23THRUST_200600_302600_NS6detail15normal_iteratorINS9_10device_ptrIdEEEENS9_16discard_iteratorINS9_11use_defaultEEEd11max_functorIdEdEEDaPvRmT3_T4_T5_mT6_P12ihipStream_tbENKUlT_T0_E_clISt17integral_constantIbLb1EESX_EEDaSS_ST_EUlSS_E0_NS1_11comp_targetILNS1_3genE9ELNS1_11target_archE1100ELNS1_3gpuE3ELNS1_3repE0EEENS1_30default_config_static_selectorELNS0_4arch9wavefront6targetE1EEEvT1_: ; @_ZN7rocprim17ROCPRIM_400000_NS6detail17trampoline_kernelINS0_14default_configENS1_20scan_config_selectorIdEEZZNS1_9scan_implILNS1_25lookback_scan_determinismE0ELb0ELb0ES3_N6thrust23THRUST_200600_302600_NS6detail15normal_iteratorINS9_10device_ptrIdEEEENS9_16discard_iteratorINS9_11use_defaultEEEd11max_functorIdEdEEDaPvRmT3_T4_T5_mT6_P12ihipStream_tbENKUlT_T0_E_clISt17integral_constantIbLb1EESX_EEDaSS_ST_EUlSS_E0_NS1_11comp_targetILNS1_3genE9ELNS1_11target_archE1100ELNS1_3gpuE3ELNS1_3repE0EEENS1_30default_config_static_selectorELNS0_4arch9wavefront6targetE1EEEvT1_
; %bb.0:
	.section	.rodata,"a",@progbits
	.p2align	6, 0x0
	.amdhsa_kernel _ZN7rocprim17ROCPRIM_400000_NS6detail17trampoline_kernelINS0_14default_configENS1_20scan_config_selectorIdEEZZNS1_9scan_implILNS1_25lookback_scan_determinismE0ELb0ELb0ES3_N6thrust23THRUST_200600_302600_NS6detail15normal_iteratorINS9_10device_ptrIdEEEENS9_16discard_iteratorINS9_11use_defaultEEEd11max_functorIdEdEEDaPvRmT3_T4_T5_mT6_P12ihipStream_tbENKUlT_T0_E_clISt17integral_constantIbLb1EESX_EEDaSS_ST_EUlSS_E0_NS1_11comp_targetILNS1_3genE9ELNS1_11target_archE1100ELNS1_3gpuE3ELNS1_3repE0EEENS1_30default_config_static_selectorELNS0_4arch9wavefront6targetE1EEEvT1_
		.amdhsa_group_segment_fixed_size 0
		.amdhsa_private_segment_fixed_size 0
		.amdhsa_kernarg_size 48
		.amdhsa_user_sgpr_count 6
		.amdhsa_user_sgpr_private_segment_buffer 1
		.amdhsa_user_sgpr_dispatch_ptr 0
		.amdhsa_user_sgpr_queue_ptr 0
		.amdhsa_user_sgpr_kernarg_segment_ptr 1
		.amdhsa_user_sgpr_dispatch_id 0
		.amdhsa_user_sgpr_flat_scratch_init 0
		.amdhsa_user_sgpr_kernarg_preload_length 0
		.amdhsa_user_sgpr_kernarg_preload_offset 0
		.amdhsa_user_sgpr_private_segment_size 0
		.amdhsa_uses_dynamic_stack 0
		.amdhsa_system_sgpr_private_segment_wavefront_offset 0
		.amdhsa_system_sgpr_workgroup_id_x 1
		.amdhsa_system_sgpr_workgroup_id_y 0
		.amdhsa_system_sgpr_workgroup_id_z 0
		.amdhsa_system_sgpr_workgroup_info 0
		.amdhsa_system_vgpr_workitem_id 0
		.amdhsa_next_free_vgpr 1
		.amdhsa_next_free_sgpr 0
		.amdhsa_accum_offset 4
		.amdhsa_reserve_vcc 0
		.amdhsa_reserve_flat_scratch 0
		.amdhsa_float_round_mode_32 0
		.amdhsa_float_round_mode_16_64 0
		.amdhsa_float_denorm_mode_32 3
		.amdhsa_float_denorm_mode_16_64 3
		.amdhsa_dx10_clamp 1
		.amdhsa_ieee_mode 1
		.amdhsa_fp16_overflow 0
		.amdhsa_tg_split 0
		.amdhsa_exception_fp_ieee_invalid_op 0
		.amdhsa_exception_fp_denorm_src 0
		.amdhsa_exception_fp_ieee_div_zero 0
		.amdhsa_exception_fp_ieee_overflow 0
		.amdhsa_exception_fp_ieee_underflow 0
		.amdhsa_exception_fp_ieee_inexact 0
		.amdhsa_exception_int_div_zero 0
	.end_amdhsa_kernel
	.section	.text._ZN7rocprim17ROCPRIM_400000_NS6detail17trampoline_kernelINS0_14default_configENS1_20scan_config_selectorIdEEZZNS1_9scan_implILNS1_25lookback_scan_determinismE0ELb0ELb0ES3_N6thrust23THRUST_200600_302600_NS6detail15normal_iteratorINS9_10device_ptrIdEEEENS9_16discard_iteratorINS9_11use_defaultEEEd11max_functorIdEdEEDaPvRmT3_T4_T5_mT6_P12ihipStream_tbENKUlT_T0_E_clISt17integral_constantIbLb1EESX_EEDaSS_ST_EUlSS_E0_NS1_11comp_targetILNS1_3genE9ELNS1_11target_archE1100ELNS1_3gpuE3ELNS1_3repE0EEENS1_30default_config_static_selectorELNS0_4arch9wavefront6targetE1EEEvT1_,"axG",@progbits,_ZN7rocprim17ROCPRIM_400000_NS6detail17trampoline_kernelINS0_14default_configENS1_20scan_config_selectorIdEEZZNS1_9scan_implILNS1_25lookback_scan_determinismE0ELb0ELb0ES3_N6thrust23THRUST_200600_302600_NS6detail15normal_iteratorINS9_10device_ptrIdEEEENS9_16discard_iteratorINS9_11use_defaultEEEd11max_functorIdEdEEDaPvRmT3_T4_T5_mT6_P12ihipStream_tbENKUlT_T0_E_clISt17integral_constantIbLb1EESX_EEDaSS_ST_EUlSS_E0_NS1_11comp_targetILNS1_3genE9ELNS1_11target_archE1100ELNS1_3gpuE3ELNS1_3repE0EEENS1_30default_config_static_selectorELNS0_4arch9wavefront6targetE1EEEvT1_,comdat
.Lfunc_end3024:
	.size	_ZN7rocprim17ROCPRIM_400000_NS6detail17trampoline_kernelINS0_14default_configENS1_20scan_config_selectorIdEEZZNS1_9scan_implILNS1_25lookback_scan_determinismE0ELb0ELb0ES3_N6thrust23THRUST_200600_302600_NS6detail15normal_iteratorINS9_10device_ptrIdEEEENS9_16discard_iteratorINS9_11use_defaultEEEd11max_functorIdEdEEDaPvRmT3_T4_T5_mT6_P12ihipStream_tbENKUlT_T0_E_clISt17integral_constantIbLb1EESX_EEDaSS_ST_EUlSS_E0_NS1_11comp_targetILNS1_3genE9ELNS1_11target_archE1100ELNS1_3gpuE3ELNS1_3repE0EEENS1_30default_config_static_selectorELNS0_4arch9wavefront6targetE1EEEvT1_, .Lfunc_end3024-_ZN7rocprim17ROCPRIM_400000_NS6detail17trampoline_kernelINS0_14default_configENS1_20scan_config_selectorIdEEZZNS1_9scan_implILNS1_25lookback_scan_determinismE0ELb0ELb0ES3_N6thrust23THRUST_200600_302600_NS6detail15normal_iteratorINS9_10device_ptrIdEEEENS9_16discard_iteratorINS9_11use_defaultEEEd11max_functorIdEdEEDaPvRmT3_T4_T5_mT6_P12ihipStream_tbENKUlT_T0_E_clISt17integral_constantIbLb1EESX_EEDaSS_ST_EUlSS_E0_NS1_11comp_targetILNS1_3genE9ELNS1_11target_archE1100ELNS1_3gpuE3ELNS1_3repE0EEENS1_30default_config_static_selectorELNS0_4arch9wavefront6targetE1EEEvT1_
                                        ; -- End function
	.section	.AMDGPU.csdata,"",@progbits
; Kernel info:
; codeLenInByte = 0
; NumSgprs: 4
; NumVgprs: 0
; NumAgprs: 0
; TotalNumVgprs: 0
; ScratchSize: 0
; MemoryBound: 0
; FloatMode: 240
; IeeeMode: 1
; LDSByteSize: 0 bytes/workgroup (compile time only)
; SGPRBlocks: 0
; VGPRBlocks: 0
; NumSGPRsForWavesPerEU: 4
; NumVGPRsForWavesPerEU: 1
; AccumOffset: 4
; Occupancy: 8
; WaveLimiterHint : 0
; COMPUTE_PGM_RSRC2:SCRATCH_EN: 0
; COMPUTE_PGM_RSRC2:USER_SGPR: 6
; COMPUTE_PGM_RSRC2:TRAP_HANDLER: 0
; COMPUTE_PGM_RSRC2:TGID_X_EN: 1
; COMPUTE_PGM_RSRC2:TGID_Y_EN: 0
; COMPUTE_PGM_RSRC2:TGID_Z_EN: 0
; COMPUTE_PGM_RSRC2:TIDIG_COMP_CNT: 0
; COMPUTE_PGM_RSRC3_GFX90A:ACCUM_OFFSET: 0
; COMPUTE_PGM_RSRC3_GFX90A:TG_SPLIT: 0
	.section	.text._ZN7rocprim17ROCPRIM_400000_NS6detail17trampoline_kernelINS0_14default_configENS1_20scan_config_selectorIdEEZZNS1_9scan_implILNS1_25lookback_scan_determinismE0ELb0ELb0ES3_N6thrust23THRUST_200600_302600_NS6detail15normal_iteratorINS9_10device_ptrIdEEEENS9_16discard_iteratorINS9_11use_defaultEEEd11max_functorIdEdEEDaPvRmT3_T4_T5_mT6_P12ihipStream_tbENKUlT_T0_E_clISt17integral_constantIbLb1EESX_EEDaSS_ST_EUlSS_E0_NS1_11comp_targetILNS1_3genE8ELNS1_11target_archE1030ELNS1_3gpuE2ELNS1_3repE0EEENS1_30default_config_static_selectorELNS0_4arch9wavefront6targetE1EEEvT1_,"axG",@progbits,_ZN7rocprim17ROCPRIM_400000_NS6detail17trampoline_kernelINS0_14default_configENS1_20scan_config_selectorIdEEZZNS1_9scan_implILNS1_25lookback_scan_determinismE0ELb0ELb0ES3_N6thrust23THRUST_200600_302600_NS6detail15normal_iteratorINS9_10device_ptrIdEEEENS9_16discard_iteratorINS9_11use_defaultEEEd11max_functorIdEdEEDaPvRmT3_T4_T5_mT6_P12ihipStream_tbENKUlT_T0_E_clISt17integral_constantIbLb1EESX_EEDaSS_ST_EUlSS_E0_NS1_11comp_targetILNS1_3genE8ELNS1_11target_archE1030ELNS1_3gpuE2ELNS1_3repE0EEENS1_30default_config_static_selectorELNS0_4arch9wavefront6targetE1EEEvT1_,comdat
	.protected	_ZN7rocprim17ROCPRIM_400000_NS6detail17trampoline_kernelINS0_14default_configENS1_20scan_config_selectorIdEEZZNS1_9scan_implILNS1_25lookback_scan_determinismE0ELb0ELb0ES3_N6thrust23THRUST_200600_302600_NS6detail15normal_iteratorINS9_10device_ptrIdEEEENS9_16discard_iteratorINS9_11use_defaultEEEd11max_functorIdEdEEDaPvRmT3_T4_T5_mT6_P12ihipStream_tbENKUlT_T0_E_clISt17integral_constantIbLb1EESX_EEDaSS_ST_EUlSS_E0_NS1_11comp_targetILNS1_3genE8ELNS1_11target_archE1030ELNS1_3gpuE2ELNS1_3repE0EEENS1_30default_config_static_selectorELNS0_4arch9wavefront6targetE1EEEvT1_ ; -- Begin function _ZN7rocprim17ROCPRIM_400000_NS6detail17trampoline_kernelINS0_14default_configENS1_20scan_config_selectorIdEEZZNS1_9scan_implILNS1_25lookback_scan_determinismE0ELb0ELb0ES3_N6thrust23THRUST_200600_302600_NS6detail15normal_iteratorINS9_10device_ptrIdEEEENS9_16discard_iteratorINS9_11use_defaultEEEd11max_functorIdEdEEDaPvRmT3_T4_T5_mT6_P12ihipStream_tbENKUlT_T0_E_clISt17integral_constantIbLb1EESX_EEDaSS_ST_EUlSS_E0_NS1_11comp_targetILNS1_3genE8ELNS1_11target_archE1030ELNS1_3gpuE2ELNS1_3repE0EEENS1_30default_config_static_selectorELNS0_4arch9wavefront6targetE1EEEvT1_
	.globl	_ZN7rocprim17ROCPRIM_400000_NS6detail17trampoline_kernelINS0_14default_configENS1_20scan_config_selectorIdEEZZNS1_9scan_implILNS1_25lookback_scan_determinismE0ELb0ELb0ES3_N6thrust23THRUST_200600_302600_NS6detail15normal_iteratorINS9_10device_ptrIdEEEENS9_16discard_iteratorINS9_11use_defaultEEEd11max_functorIdEdEEDaPvRmT3_T4_T5_mT6_P12ihipStream_tbENKUlT_T0_E_clISt17integral_constantIbLb1EESX_EEDaSS_ST_EUlSS_E0_NS1_11comp_targetILNS1_3genE8ELNS1_11target_archE1030ELNS1_3gpuE2ELNS1_3repE0EEENS1_30default_config_static_selectorELNS0_4arch9wavefront6targetE1EEEvT1_
	.p2align	8
	.type	_ZN7rocprim17ROCPRIM_400000_NS6detail17trampoline_kernelINS0_14default_configENS1_20scan_config_selectorIdEEZZNS1_9scan_implILNS1_25lookback_scan_determinismE0ELb0ELb0ES3_N6thrust23THRUST_200600_302600_NS6detail15normal_iteratorINS9_10device_ptrIdEEEENS9_16discard_iteratorINS9_11use_defaultEEEd11max_functorIdEdEEDaPvRmT3_T4_T5_mT6_P12ihipStream_tbENKUlT_T0_E_clISt17integral_constantIbLb1EESX_EEDaSS_ST_EUlSS_E0_NS1_11comp_targetILNS1_3genE8ELNS1_11target_archE1030ELNS1_3gpuE2ELNS1_3repE0EEENS1_30default_config_static_selectorELNS0_4arch9wavefront6targetE1EEEvT1_,@function
_ZN7rocprim17ROCPRIM_400000_NS6detail17trampoline_kernelINS0_14default_configENS1_20scan_config_selectorIdEEZZNS1_9scan_implILNS1_25lookback_scan_determinismE0ELb0ELb0ES3_N6thrust23THRUST_200600_302600_NS6detail15normal_iteratorINS9_10device_ptrIdEEEENS9_16discard_iteratorINS9_11use_defaultEEEd11max_functorIdEdEEDaPvRmT3_T4_T5_mT6_P12ihipStream_tbENKUlT_T0_E_clISt17integral_constantIbLb1EESX_EEDaSS_ST_EUlSS_E0_NS1_11comp_targetILNS1_3genE8ELNS1_11target_archE1030ELNS1_3gpuE2ELNS1_3repE0EEENS1_30default_config_static_selectorELNS0_4arch9wavefront6targetE1EEEvT1_: ; @_ZN7rocprim17ROCPRIM_400000_NS6detail17trampoline_kernelINS0_14default_configENS1_20scan_config_selectorIdEEZZNS1_9scan_implILNS1_25lookback_scan_determinismE0ELb0ELb0ES3_N6thrust23THRUST_200600_302600_NS6detail15normal_iteratorINS9_10device_ptrIdEEEENS9_16discard_iteratorINS9_11use_defaultEEEd11max_functorIdEdEEDaPvRmT3_T4_T5_mT6_P12ihipStream_tbENKUlT_T0_E_clISt17integral_constantIbLb1EESX_EEDaSS_ST_EUlSS_E0_NS1_11comp_targetILNS1_3genE8ELNS1_11target_archE1030ELNS1_3gpuE2ELNS1_3repE0EEENS1_30default_config_static_selectorELNS0_4arch9wavefront6targetE1EEEvT1_
; %bb.0:
	.section	.rodata,"a",@progbits
	.p2align	6, 0x0
	.amdhsa_kernel _ZN7rocprim17ROCPRIM_400000_NS6detail17trampoline_kernelINS0_14default_configENS1_20scan_config_selectorIdEEZZNS1_9scan_implILNS1_25lookback_scan_determinismE0ELb0ELb0ES3_N6thrust23THRUST_200600_302600_NS6detail15normal_iteratorINS9_10device_ptrIdEEEENS9_16discard_iteratorINS9_11use_defaultEEEd11max_functorIdEdEEDaPvRmT3_T4_T5_mT6_P12ihipStream_tbENKUlT_T0_E_clISt17integral_constantIbLb1EESX_EEDaSS_ST_EUlSS_E0_NS1_11comp_targetILNS1_3genE8ELNS1_11target_archE1030ELNS1_3gpuE2ELNS1_3repE0EEENS1_30default_config_static_selectorELNS0_4arch9wavefront6targetE1EEEvT1_
		.amdhsa_group_segment_fixed_size 0
		.amdhsa_private_segment_fixed_size 0
		.amdhsa_kernarg_size 48
		.amdhsa_user_sgpr_count 6
		.amdhsa_user_sgpr_private_segment_buffer 1
		.amdhsa_user_sgpr_dispatch_ptr 0
		.amdhsa_user_sgpr_queue_ptr 0
		.amdhsa_user_sgpr_kernarg_segment_ptr 1
		.amdhsa_user_sgpr_dispatch_id 0
		.amdhsa_user_sgpr_flat_scratch_init 0
		.amdhsa_user_sgpr_kernarg_preload_length 0
		.amdhsa_user_sgpr_kernarg_preload_offset 0
		.amdhsa_user_sgpr_private_segment_size 0
		.amdhsa_uses_dynamic_stack 0
		.amdhsa_system_sgpr_private_segment_wavefront_offset 0
		.amdhsa_system_sgpr_workgroup_id_x 1
		.amdhsa_system_sgpr_workgroup_id_y 0
		.amdhsa_system_sgpr_workgroup_id_z 0
		.amdhsa_system_sgpr_workgroup_info 0
		.amdhsa_system_vgpr_workitem_id 0
		.amdhsa_next_free_vgpr 1
		.amdhsa_next_free_sgpr 0
		.amdhsa_accum_offset 4
		.amdhsa_reserve_vcc 0
		.amdhsa_reserve_flat_scratch 0
		.amdhsa_float_round_mode_32 0
		.amdhsa_float_round_mode_16_64 0
		.amdhsa_float_denorm_mode_32 3
		.amdhsa_float_denorm_mode_16_64 3
		.amdhsa_dx10_clamp 1
		.amdhsa_ieee_mode 1
		.amdhsa_fp16_overflow 0
		.amdhsa_tg_split 0
		.amdhsa_exception_fp_ieee_invalid_op 0
		.amdhsa_exception_fp_denorm_src 0
		.amdhsa_exception_fp_ieee_div_zero 0
		.amdhsa_exception_fp_ieee_overflow 0
		.amdhsa_exception_fp_ieee_underflow 0
		.amdhsa_exception_fp_ieee_inexact 0
		.amdhsa_exception_int_div_zero 0
	.end_amdhsa_kernel
	.section	.text._ZN7rocprim17ROCPRIM_400000_NS6detail17trampoline_kernelINS0_14default_configENS1_20scan_config_selectorIdEEZZNS1_9scan_implILNS1_25lookback_scan_determinismE0ELb0ELb0ES3_N6thrust23THRUST_200600_302600_NS6detail15normal_iteratorINS9_10device_ptrIdEEEENS9_16discard_iteratorINS9_11use_defaultEEEd11max_functorIdEdEEDaPvRmT3_T4_T5_mT6_P12ihipStream_tbENKUlT_T0_E_clISt17integral_constantIbLb1EESX_EEDaSS_ST_EUlSS_E0_NS1_11comp_targetILNS1_3genE8ELNS1_11target_archE1030ELNS1_3gpuE2ELNS1_3repE0EEENS1_30default_config_static_selectorELNS0_4arch9wavefront6targetE1EEEvT1_,"axG",@progbits,_ZN7rocprim17ROCPRIM_400000_NS6detail17trampoline_kernelINS0_14default_configENS1_20scan_config_selectorIdEEZZNS1_9scan_implILNS1_25lookback_scan_determinismE0ELb0ELb0ES3_N6thrust23THRUST_200600_302600_NS6detail15normal_iteratorINS9_10device_ptrIdEEEENS9_16discard_iteratorINS9_11use_defaultEEEd11max_functorIdEdEEDaPvRmT3_T4_T5_mT6_P12ihipStream_tbENKUlT_T0_E_clISt17integral_constantIbLb1EESX_EEDaSS_ST_EUlSS_E0_NS1_11comp_targetILNS1_3genE8ELNS1_11target_archE1030ELNS1_3gpuE2ELNS1_3repE0EEENS1_30default_config_static_selectorELNS0_4arch9wavefront6targetE1EEEvT1_,comdat
.Lfunc_end3025:
	.size	_ZN7rocprim17ROCPRIM_400000_NS6detail17trampoline_kernelINS0_14default_configENS1_20scan_config_selectorIdEEZZNS1_9scan_implILNS1_25lookback_scan_determinismE0ELb0ELb0ES3_N6thrust23THRUST_200600_302600_NS6detail15normal_iteratorINS9_10device_ptrIdEEEENS9_16discard_iteratorINS9_11use_defaultEEEd11max_functorIdEdEEDaPvRmT3_T4_T5_mT6_P12ihipStream_tbENKUlT_T0_E_clISt17integral_constantIbLb1EESX_EEDaSS_ST_EUlSS_E0_NS1_11comp_targetILNS1_3genE8ELNS1_11target_archE1030ELNS1_3gpuE2ELNS1_3repE0EEENS1_30default_config_static_selectorELNS0_4arch9wavefront6targetE1EEEvT1_, .Lfunc_end3025-_ZN7rocprim17ROCPRIM_400000_NS6detail17trampoline_kernelINS0_14default_configENS1_20scan_config_selectorIdEEZZNS1_9scan_implILNS1_25lookback_scan_determinismE0ELb0ELb0ES3_N6thrust23THRUST_200600_302600_NS6detail15normal_iteratorINS9_10device_ptrIdEEEENS9_16discard_iteratorINS9_11use_defaultEEEd11max_functorIdEdEEDaPvRmT3_T4_T5_mT6_P12ihipStream_tbENKUlT_T0_E_clISt17integral_constantIbLb1EESX_EEDaSS_ST_EUlSS_E0_NS1_11comp_targetILNS1_3genE8ELNS1_11target_archE1030ELNS1_3gpuE2ELNS1_3repE0EEENS1_30default_config_static_selectorELNS0_4arch9wavefront6targetE1EEEvT1_
                                        ; -- End function
	.section	.AMDGPU.csdata,"",@progbits
; Kernel info:
; codeLenInByte = 0
; NumSgprs: 4
; NumVgprs: 0
; NumAgprs: 0
; TotalNumVgprs: 0
; ScratchSize: 0
; MemoryBound: 0
; FloatMode: 240
; IeeeMode: 1
; LDSByteSize: 0 bytes/workgroup (compile time only)
; SGPRBlocks: 0
; VGPRBlocks: 0
; NumSGPRsForWavesPerEU: 4
; NumVGPRsForWavesPerEU: 1
; AccumOffset: 4
; Occupancy: 8
; WaveLimiterHint : 0
; COMPUTE_PGM_RSRC2:SCRATCH_EN: 0
; COMPUTE_PGM_RSRC2:USER_SGPR: 6
; COMPUTE_PGM_RSRC2:TRAP_HANDLER: 0
; COMPUTE_PGM_RSRC2:TGID_X_EN: 1
; COMPUTE_PGM_RSRC2:TGID_Y_EN: 0
; COMPUTE_PGM_RSRC2:TGID_Z_EN: 0
; COMPUTE_PGM_RSRC2:TIDIG_COMP_CNT: 0
; COMPUTE_PGM_RSRC3_GFX90A:ACCUM_OFFSET: 0
; COMPUTE_PGM_RSRC3_GFX90A:TG_SPLIT: 0
	.section	.text._ZN7rocprim17ROCPRIM_400000_NS6detail17trampoline_kernelINS0_14default_configENS1_20scan_config_selectorIdEEZZNS1_9scan_implILNS1_25lookback_scan_determinismE0ELb0ELb0ES3_N6thrust23THRUST_200600_302600_NS6detail15normal_iteratorINS9_10device_ptrIdEEEENS9_16discard_iteratorINS9_11use_defaultEEEd11max_functorIdEdEEDaPvRmT3_T4_T5_mT6_P12ihipStream_tbENKUlT_T0_E_clISt17integral_constantIbLb1EESW_IbLb0EEEEDaSS_ST_EUlSS_E_NS1_11comp_targetILNS1_3genE0ELNS1_11target_archE4294967295ELNS1_3gpuE0ELNS1_3repE0EEENS1_30default_config_static_selectorELNS0_4arch9wavefront6targetE1EEEvT1_,"axG",@progbits,_ZN7rocprim17ROCPRIM_400000_NS6detail17trampoline_kernelINS0_14default_configENS1_20scan_config_selectorIdEEZZNS1_9scan_implILNS1_25lookback_scan_determinismE0ELb0ELb0ES3_N6thrust23THRUST_200600_302600_NS6detail15normal_iteratorINS9_10device_ptrIdEEEENS9_16discard_iteratorINS9_11use_defaultEEEd11max_functorIdEdEEDaPvRmT3_T4_T5_mT6_P12ihipStream_tbENKUlT_T0_E_clISt17integral_constantIbLb1EESW_IbLb0EEEEDaSS_ST_EUlSS_E_NS1_11comp_targetILNS1_3genE0ELNS1_11target_archE4294967295ELNS1_3gpuE0ELNS1_3repE0EEENS1_30default_config_static_selectorELNS0_4arch9wavefront6targetE1EEEvT1_,comdat
	.protected	_ZN7rocprim17ROCPRIM_400000_NS6detail17trampoline_kernelINS0_14default_configENS1_20scan_config_selectorIdEEZZNS1_9scan_implILNS1_25lookback_scan_determinismE0ELb0ELb0ES3_N6thrust23THRUST_200600_302600_NS6detail15normal_iteratorINS9_10device_ptrIdEEEENS9_16discard_iteratorINS9_11use_defaultEEEd11max_functorIdEdEEDaPvRmT3_T4_T5_mT6_P12ihipStream_tbENKUlT_T0_E_clISt17integral_constantIbLb1EESW_IbLb0EEEEDaSS_ST_EUlSS_E_NS1_11comp_targetILNS1_3genE0ELNS1_11target_archE4294967295ELNS1_3gpuE0ELNS1_3repE0EEENS1_30default_config_static_selectorELNS0_4arch9wavefront6targetE1EEEvT1_ ; -- Begin function _ZN7rocprim17ROCPRIM_400000_NS6detail17trampoline_kernelINS0_14default_configENS1_20scan_config_selectorIdEEZZNS1_9scan_implILNS1_25lookback_scan_determinismE0ELb0ELb0ES3_N6thrust23THRUST_200600_302600_NS6detail15normal_iteratorINS9_10device_ptrIdEEEENS9_16discard_iteratorINS9_11use_defaultEEEd11max_functorIdEdEEDaPvRmT3_T4_T5_mT6_P12ihipStream_tbENKUlT_T0_E_clISt17integral_constantIbLb1EESW_IbLb0EEEEDaSS_ST_EUlSS_E_NS1_11comp_targetILNS1_3genE0ELNS1_11target_archE4294967295ELNS1_3gpuE0ELNS1_3repE0EEENS1_30default_config_static_selectorELNS0_4arch9wavefront6targetE1EEEvT1_
	.globl	_ZN7rocprim17ROCPRIM_400000_NS6detail17trampoline_kernelINS0_14default_configENS1_20scan_config_selectorIdEEZZNS1_9scan_implILNS1_25lookback_scan_determinismE0ELb0ELb0ES3_N6thrust23THRUST_200600_302600_NS6detail15normal_iteratorINS9_10device_ptrIdEEEENS9_16discard_iteratorINS9_11use_defaultEEEd11max_functorIdEdEEDaPvRmT3_T4_T5_mT6_P12ihipStream_tbENKUlT_T0_E_clISt17integral_constantIbLb1EESW_IbLb0EEEEDaSS_ST_EUlSS_E_NS1_11comp_targetILNS1_3genE0ELNS1_11target_archE4294967295ELNS1_3gpuE0ELNS1_3repE0EEENS1_30default_config_static_selectorELNS0_4arch9wavefront6targetE1EEEvT1_
	.p2align	8
	.type	_ZN7rocprim17ROCPRIM_400000_NS6detail17trampoline_kernelINS0_14default_configENS1_20scan_config_selectorIdEEZZNS1_9scan_implILNS1_25lookback_scan_determinismE0ELb0ELb0ES3_N6thrust23THRUST_200600_302600_NS6detail15normal_iteratorINS9_10device_ptrIdEEEENS9_16discard_iteratorINS9_11use_defaultEEEd11max_functorIdEdEEDaPvRmT3_T4_T5_mT6_P12ihipStream_tbENKUlT_T0_E_clISt17integral_constantIbLb1EESW_IbLb0EEEEDaSS_ST_EUlSS_E_NS1_11comp_targetILNS1_3genE0ELNS1_11target_archE4294967295ELNS1_3gpuE0ELNS1_3repE0EEENS1_30default_config_static_selectorELNS0_4arch9wavefront6targetE1EEEvT1_,@function
_ZN7rocprim17ROCPRIM_400000_NS6detail17trampoline_kernelINS0_14default_configENS1_20scan_config_selectorIdEEZZNS1_9scan_implILNS1_25lookback_scan_determinismE0ELb0ELb0ES3_N6thrust23THRUST_200600_302600_NS6detail15normal_iteratorINS9_10device_ptrIdEEEENS9_16discard_iteratorINS9_11use_defaultEEEd11max_functorIdEdEEDaPvRmT3_T4_T5_mT6_P12ihipStream_tbENKUlT_T0_E_clISt17integral_constantIbLb1EESW_IbLb0EEEEDaSS_ST_EUlSS_E_NS1_11comp_targetILNS1_3genE0ELNS1_11target_archE4294967295ELNS1_3gpuE0ELNS1_3repE0EEENS1_30default_config_static_selectorELNS0_4arch9wavefront6targetE1EEEvT1_: ; @_ZN7rocprim17ROCPRIM_400000_NS6detail17trampoline_kernelINS0_14default_configENS1_20scan_config_selectorIdEEZZNS1_9scan_implILNS1_25lookback_scan_determinismE0ELb0ELb0ES3_N6thrust23THRUST_200600_302600_NS6detail15normal_iteratorINS9_10device_ptrIdEEEENS9_16discard_iteratorINS9_11use_defaultEEEd11max_functorIdEdEEDaPvRmT3_T4_T5_mT6_P12ihipStream_tbENKUlT_T0_E_clISt17integral_constantIbLb1EESW_IbLb0EEEEDaSS_ST_EUlSS_E_NS1_11comp_targetILNS1_3genE0ELNS1_11target_archE4294967295ELNS1_3gpuE0ELNS1_3repE0EEENS1_30default_config_static_selectorELNS0_4arch9wavefront6targetE1EEEvT1_
; %bb.0:
	.section	.rodata,"a",@progbits
	.p2align	6, 0x0
	.amdhsa_kernel _ZN7rocprim17ROCPRIM_400000_NS6detail17trampoline_kernelINS0_14default_configENS1_20scan_config_selectorIdEEZZNS1_9scan_implILNS1_25lookback_scan_determinismE0ELb0ELb0ES3_N6thrust23THRUST_200600_302600_NS6detail15normal_iteratorINS9_10device_ptrIdEEEENS9_16discard_iteratorINS9_11use_defaultEEEd11max_functorIdEdEEDaPvRmT3_T4_T5_mT6_P12ihipStream_tbENKUlT_T0_E_clISt17integral_constantIbLb1EESW_IbLb0EEEEDaSS_ST_EUlSS_E_NS1_11comp_targetILNS1_3genE0ELNS1_11target_archE4294967295ELNS1_3gpuE0ELNS1_3repE0EEENS1_30default_config_static_selectorELNS0_4arch9wavefront6targetE1EEEvT1_
		.amdhsa_group_segment_fixed_size 0
		.amdhsa_private_segment_fixed_size 0
		.amdhsa_kernarg_size 112
		.amdhsa_user_sgpr_count 6
		.amdhsa_user_sgpr_private_segment_buffer 1
		.amdhsa_user_sgpr_dispatch_ptr 0
		.amdhsa_user_sgpr_queue_ptr 0
		.amdhsa_user_sgpr_kernarg_segment_ptr 1
		.amdhsa_user_sgpr_dispatch_id 0
		.amdhsa_user_sgpr_flat_scratch_init 0
		.amdhsa_user_sgpr_kernarg_preload_length 0
		.amdhsa_user_sgpr_kernarg_preload_offset 0
		.amdhsa_user_sgpr_private_segment_size 0
		.amdhsa_uses_dynamic_stack 0
		.amdhsa_system_sgpr_private_segment_wavefront_offset 0
		.amdhsa_system_sgpr_workgroup_id_x 1
		.amdhsa_system_sgpr_workgroup_id_y 0
		.amdhsa_system_sgpr_workgroup_id_z 0
		.amdhsa_system_sgpr_workgroup_info 0
		.amdhsa_system_vgpr_workitem_id 0
		.amdhsa_next_free_vgpr 1
		.amdhsa_next_free_sgpr 0
		.amdhsa_accum_offset 4
		.amdhsa_reserve_vcc 0
		.amdhsa_reserve_flat_scratch 0
		.amdhsa_float_round_mode_32 0
		.amdhsa_float_round_mode_16_64 0
		.amdhsa_float_denorm_mode_32 3
		.amdhsa_float_denorm_mode_16_64 3
		.amdhsa_dx10_clamp 1
		.amdhsa_ieee_mode 1
		.amdhsa_fp16_overflow 0
		.amdhsa_tg_split 0
		.amdhsa_exception_fp_ieee_invalid_op 0
		.amdhsa_exception_fp_denorm_src 0
		.amdhsa_exception_fp_ieee_div_zero 0
		.amdhsa_exception_fp_ieee_overflow 0
		.amdhsa_exception_fp_ieee_underflow 0
		.amdhsa_exception_fp_ieee_inexact 0
		.amdhsa_exception_int_div_zero 0
	.end_amdhsa_kernel
	.section	.text._ZN7rocprim17ROCPRIM_400000_NS6detail17trampoline_kernelINS0_14default_configENS1_20scan_config_selectorIdEEZZNS1_9scan_implILNS1_25lookback_scan_determinismE0ELb0ELb0ES3_N6thrust23THRUST_200600_302600_NS6detail15normal_iteratorINS9_10device_ptrIdEEEENS9_16discard_iteratorINS9_11use_defaultEEEd11max_functorIdEdEEDaPvRmT3_T4_T5_mT6_P12ihipStream_tbENKUlT_T0_E_clISt17integral_constantIbLb1EESW_IbLb0EEEEDaSS_ST_EUlSS_E_NS1_11comp_targetILNS1_3genE0ELNS1_11target_archE4294967295ELNS1_3gpuE0ELNS1_3repE0EEENS1_30default_config_static_selectorELNS0_4arch9wavefront6targetE1EEEvT1_,"axG",@progbits,_ZN7rocprim17ROCPRIM_400000_NS6detail17trampoline_kernelINS0_14default_configENS1_20scan_config_selectorIdEEZZNS1_9scan_implILNS1_25lookback_scan_determinismE0ELb0ELb0ES3_N6thrust23THRUST_200600_302600_NS6detail15normal_iteratorINS9_10device_ptrIdEEEENS9_16discard_iteratorINS9_11use_defaultEEEd11max_functorIdEdEEDaPvRmT3_T4_T5_mT6_P12ihipStream_tbENKUlT_T0_E_clISt17integral_constantIbLb1EESW_IbLb0EEEEDaSS_ST_EUlSS_E_NS1_11comp_targetILNS1_3genE0ELNS1_11target_archE4294967295ELNS1_3gpuE0ELNS1_3repE0EEENS1_30default_config_static_selectorELNS0_4arch9wavefront6targetE1EEEvT1_,comdat
.Lfunc_end3026:
	.size	_ZN7rocprim17ROCPRIM_400000_NS6detail17trampoline_kernelINS0_14default_configENS1_20scan_config_selectorIdEEZZNS1_9scan_implILNS1_25lookback_scan_determinismE0ELb0ELb0ES3_N6thrust23THRUST_200600_302600_NS6detail15normal_iteratorINS9_10device_ptrIdEEEENS9_16discard_iteratorINS9_11use_defaultEEEd11max_functorIdEdEEDaPvRmT3_T4_T5_mT6_P12ihipStream_tbENKUlT_T0_E_clISt17integral_constantIbLb1EESW_IbLb0EEEEDaSS_ST_EUlSS_E_NS1_11comp_targetILNS1_3genE0ELNS1_11target_archE4294967295ELNS1_3gpuE0ELNS1_3repE0EEENS1_30default_config_static_selectorELNS0_4arch9wavefront6targetE1EEEvT1_, .Lfunc_end3026-_ZN7rocprim17ROCPRIM_400000_NS6detail17trampoline_kernelINS0_14default_configENS1_20scan_config_selectorIdEEZZNS1_9scan_implILNS1_25lookback_scan_determinismE0ELb0ELb0ES3_N6thrust23THRUST_200600_302600_NS6detail15normal_iteratorINS9_10device_ptrIdEEEENS9_16discard_iteratorINS9_11use_defaultEEEd11max_functorIdEdEEDaPvRmT3_T4_T5_mT6_P12ihipStream_tbENKUlT_T0_E_clISt17integral_constantIbLb1EESW_IbLb0EEEEDaSS_ST_EUlSS_E_NS1_11comp_targetILNS1_3genE0ELNS1_11target_archE4294967295ELNS1_3gpuE0ELNS1_3repE0EEENS1_30default_config_static_selectorELNS0_4arch9wavefront6targetE1EEEvT1_
                                        ; -- End function
	.section	.AMDGPU.csdata,"",@progbits
; Kernel info:
; codeLenInByte = 0
; NumSgprs: 4
; NumVgprs: 0
; NumAgprs: 0
; TotalNumVgprs: 0
; ScratchSize: 0
; MemoryBound: 0
; FloatMode: 240
; IeeeMode: 1
; LDSByteSize: 0 bytes/workgroup (compile time only)
; SGPRBlocks: 0
; VGPRBlocks: 0
; NumSGPRsForWavesPerEU: 4
; NumVGPRsForWavesPerEU: 1
; AccumOffset: 4
; Occupancy: 8
; WaveLimiterHint : 0
; COMPUTE_PGM_RSRC2:SCRATCH_EN: 0
; COMPUTE_PGM_RSRC2:USER_SGPR: 6
; COMPUTE_PGM_RSRC2:TRAP_HANDLER: 0
; COMPUTE_PGM_RSRC2:TGID_X_EN: 1
; COMPUTE_PGM_RSRC2:TGID_Y_EN: 0
; COMPUTE_PGM_RSRC2:TGID_Z_EN: 0
; COMPUTE_PGM_RSRC2:TIDIG_COMP_CNT: 0
; COMPUTE_PGM_RSRC3_GFX90A:ACCUM_OFFSET: 0
; COMPUTE_PGM_RSRC3_GFX90A:TG_SPLIT: 0
	.section	.text._ZN7rocprim17ROCPRIM_400000_NS6detail17trampoline_kernelINS0_14default_configENS1_20scan_config_selectorIdEEZZNS1_9scan_implILNS1_25lookback_scan_determinismE0ELb0ELb0ES3_N6thrust23THRUST_200600_302600_NS6detail15normal_iteratorINS9_10device_ptrIdEEEENS9_16discard_iteratorINS9_11use_defaultEEEd11max_functorIdEdEEDaPvRmT3_T4_T5_mT6_P12ihipStream_tbENKUlT_T0_E_clISt17integral_constantIbLb1EESW_IbLb0EEEEDaSS_ST_EUlSS_E_NS1_11comp_targetILNS1_3genE5ELNS1_11target_archE942ELNS1_3gpuE9ELNS1_3repE0EEENS1_30default_config_static_selectorELNS0_4arch9wavefront6targetE1EEEvT1_,"axG",@progbits,_ZN7rocprim17ROCPRIM_400000_NS6detail17trampoline_kernelINS0_14default_configENS1_20scan_config_selectorIdEEZZNS1_9scan_implILNS1_25lookback_scan_determinismE0ELb0ELb0ES3_N6thrust23THRUST_200600_302600_NS6detail15normal_iteratorINS9_10device_ptrIdEEEENS9_16discard_iteratorINS9_11use_defaultEEEd11max_functorIdEdEEDaPvRmT3_T4_T5_mT6_P12ihipStream_tbENKUlT_T0_E_clISt17integral_constantIbLb1EESW_IbLb0EEEEDaSS_ST_EUlSS_E_NS1_11comp_targetILNS1_3genE5ELNS1_11target_archE942ELNS1_3gpuE9ELNS1_3repE0EEENS1_30default_config_static_selectorELNS0_4arch9wavefront6targetE1EEEvT1_,comdat
	.protected	_ZN7rocprim17ROCPRIM_400000_NS6detail17trampoline_kernelINS0_14default_configENS1_20scan_config_selectorIdEEZZNS1_9scan_implILNS1_25lookback_scan_determinismE0ELb0ELb0ES3_N6thrust23THRUST_200600_302600_NS6detail15normal_iteratorINS9_10device_ptrIdEEEENS9_16discard_iteratorINS9_11use_defaultEEEd11max_functorIdEdEEDaPvRmT3_T4_T5_mT6_P12ihipStream_tbENKUlT_T0_E_clISt17integral_constantIbLb1EESW_IbLb0EEEEDaSS_ST_EUlSS_E_NS1_11comp_targetILNS1_3genE5ELNS1_11target_archE942ELNS1_3gpuE9ELNS1_3repE0EEENS1_30default_config_static_selectorELNS0_4arch9wavefront6targetE1EEEvT1_ ; -- Begin function _ZN7rocprim17ROCPRIM_400000_NS6detail17trampoline_kernelINS0_14default_configENS1_20scan_config_selectorIdEEZZNS1_9scan_implILNS1_25lookback_scan_determinismE0ELb0ELb0ES3_N6thrust23THRUST_200600_302600_NS6detail15normal_iteratorINS9_10device_ptrIdEEEENS9_16discard_iteratorINS9_11use_defaultEEEd11max_functorIdEdEEDaPvRmT3_T4_T5_mT6_P12ihipStream_tbENKUlT_T0_E_clISt17integral_constantIbLb1EESW_IbLb0EEEEDaSS_ST_EUlSS_E_NS1_11comp_targetILNS1_3genE5ELNS1_11target_archE942ELNS1_3gpuE9ELNS1_3repE0EEENS1_30default_config_static_selectorELNS0_4arch9wavefront6targetE1EEEvT1_
	.globl	_ZN7rocprim17ROCPRIM_400000_NS6detail17trampoline_kernelINS0_14default_configENS1_20scan_config_selectorIdEEZZNS1_9scan_implILNS1_25lookback_scan_determinismE0ELb0ELb0ES3_N6thrust23THRUST_200600_302600_NS6detail15normal_iteratorINS9_10device_ptrIdEEEENS9_16discard_iteratorINS9_11use_defaultEEEd11max_functorIdEdEEDaPvRmT3_T4_T5_mT6_P12ihipStream_tbENKUlT_T0_E_clISt17integral_constantIbLb1EESW_IbLb0EEEEDaSS_ST_EUlSS_E_NS1_11comp_targetILNS1_3genE5ELNS1_11target_archE942ELNS1_3gpuE9ELNS1_3repE0EEENS1_30default_config_static_selectorELNS0_4arch9wavefront6targetE1EEEvT1_
	.p2align	8
	.type	_ZN7rocprim17ROCPRIM_400000_NS6detail17trampoline_kernelINS0_14default_configENS1_20scan_config_selectorIdEEZZNS1_9scan_implILNS1_25lookback_scan_determinismE0ELb0ELb0ES3_N6thrust23THRUST_200600_302600_NS6detail15normal_iteratorINS9_10device_ptrIdEEEENS9_16discard_iteratorINS9_11use_defaultEEEd11max_functorIdEdEEDaPvRmT3_T4_T5_mT6_P12ihipStream_tbENKUlT_T0_E_clISt17integral_constantIbLb1EESW_IbLb0EEEEDaSS_ST_EUlSS_E_NS1_11comp_targetILNS1_3genE5ELNS1_11target_archE942ELNS1_3gpuE9ELNS1_3repE0EEENS1_30default_config_static_selectorELNS0_4arch9wavefront6targetE1EEEvT1_,@function
_ZN7rocprim17ROCPRIM_400000_NS6detail17trampoline_kernelINS0_14default_configENS1_20scan_config_selectorIdEEZZNS1_9scan_implILNS1_25lookback_scan_determinismE0ELb0ELb0ES3_N6thrust23THRUST_200600_302600_NS6detail15normal_iteratorINS9_10device_ptrIdEEEENS9_16discard_iteratorINS9_11use_defaultEEEd11max_functorIdEdEEDaPvRmT3_T4_T5_mT6_P12ihipStream_tbENKUlT_T0_E_clISt17integral_constantIbLb1EESW_IbLb0EEEEDaSS_ST_EUlSS_E_NS1_11comp_targetILNS1_3genE5ELNS1_11target_archE942ELNS1_3gpuE9ELNS1_3repE0EEENS1_30default_config_static_selectorELNS0_4arch9wavefront6targetE1EEEvT1_: ; @_ZN7rocprim17ROCPRIM_400000_NS6detail17trampoline_kernelINS0_14default_configENS1_20scan_config_selectorIdEEZZNS1_9scan_implILNS1_25lookback_scan_determinismE0ELb0ELb0ES3_N6thrust23THRUST_200600_302600_NS6detail15normal_iteratorINS9_10device_ptrIdEEEENS9_16discard_iteratorINS9_11use_defaultEEEd11max_functorIdEdEEDaPvRmT3_T4_T5_mT6_P12ihipStream_tbENKUlT_T0_E_clISt17integral_constantIbLb1EESW_IbLb0EEEEDaSS_ST_EUlSS_E_NS1_11comp_targetILNS1_3genE5ELNS1_11target_archE942ELNS1_3gpuE9ELNS1_3repE0EEENS1_30default_config_static_selectorELNS0_4arch9wavefront6targetE1EEEvT1_
; %bb.0:
	.section	.rodata,"a",@progbits
	.p2align	6, 0x0
	.amdhsa_kernel _ZN7rocprim17ROCPRIM_400000_NS6detail17trampoline_kernelINS0_14default_configENS1_20scan_config_selectorIdEEZZNS1_9scan_implILNS1_25lookback_scan_determinismE0ELb0ELb0ES3_N6thrust23THRUST_200600_302600_NS6detail15normal_iteratorINS9_10device_ptrIdEEEENS9_16discard_iteratorINS9_11use_defaultEEEd11max_functorIdEdEEDaPvRmT3_T4_T5_mT6_P12ihipStream_tbENKUlT_T0_E_clISt17integral_constantIbLb1EESW_IbLb0EEEEDaSS_ST_EUlSS_E_NS1_11comp_targetILNS1_3genE5ELNS1_11target_archE942ELNS1_3gpuE9ELNS1_3repE0EEENS1_30default_config_static_selectorELNS0_4arch9wavefront6targetE1EEEvT1_
		.amdhsa_group_segment_fixed_size 0
		.amdhsa_private_segment_fixed_size 0
		.amdhsa_kernarg_size 112
		.amdhsa_user_sgpr_count 6
		.amdhsa_user_sgpr_private_segment_buffer 1
		.amdhsa_user_sgpr_dispatch_ptr 0
		.amdhsa_user_sgpr_queue_ptr 0
		.amdhsa_user_sgpr_kernarg_segment_ptr 1
		.amdhsa_user_sgpr_dispatch_id 0
		.amdhsa_user_sgpr_flat_scratch_init 0
		.amdhsa_user_sgpr_kernarg_preload_length 0
		.amdhsa_user_sgpr_kernarg_preload_offset 0
		.amdhsa_user_sgpr_private_segment_size 0
		.amdhsa_uses_dynamic_stack 0
		.amdhsa_system_sgpr_private_segment_wavefront_offset 0
		.amdhsa_system_sgpr_workgroup_id_x 1
		.amdhsa_system_sgpr_workgroup_id_y 0
		.amdhsa_system_sgpr_workgroup_id_z 0
		.amdhsa_system_sgpr_workgroup_info 0
		.amdhsa_system_vgpr_workitem_id 0
		.amdhsa_next_free_vgpr 1
		.amdhsa_next_free_sgpr 0
		.amdhsa_accum_offset 4
		.amdhsa_reserve_vcc 0
		.amdhsa_reserve_flat_scratch 0
		.amdhsa_float_round_mode_32 0
		.amdhsa_float_round_mode_16_64 0
		.amdhsa_float_denorm_mode_32 3
		.amdhsa_float_denorm_mode_16_64 3
		.amdhsa_dx10_clamp 1
		.amdhsa_ieee_mode 1
		.amdhsa_fp16_overflow 0
		.amdhsa_tg_split 0
		.amdhsa_exception_fp_ieee_invalid_op 0
		.amdhsa_exception_fp_denorm_src 0
		.amdhsa_exception_fp_ieee_div_zero 0
		.amdhsa_exception_fp_ieee_overflow 0
		.amdhsa_exception_fp_ieee_underflow 0
		.amdhsa_exception_fp_ieee_inexact 0
		.amdhsa_exception_int_div_zero 0
	.end_amdhsa_kernel
	.section	.text._ZN7rocprim17ROCPRIM_400000_NS6detail17trampoline_kernelINS0_14default_configENS1_20scan_config_selectorIdEEZZNS1_9scan_implILNS1_25lookback_scan_determinismE0ELb0ELb0ES3_N6thrust23THRUST_200600_302600_NS6detail15normal_iteratorINS9_10device_ptrIdEEEENS9_16discard_iteratorINS9_11use_defaultEEEd11max_functorIdEdEEDaPvRmT3_T4_T5_mT6_P12ihipStream_tbENKUlT_T0_E_clISt17integral_constantIbLb1EESW_IbLb0EEEEDaSS_ST_EUlSS_E_NS1_11comp_targetILNS1_3genE5ELNS1_11target_archE942ELNS1_3gpuE9ELNS1_3repE0EEENS1_30default_config_static_selectorELNS0_4arch9wavefront6targetE1EEEvT1_,"axG",@progbits,_ZN7rocprim17ROCPRIM_400000_NS6detail17trampoline_kernelINS0_14default_configENS1_20scan_config_selectorIdEEZZNS1_9scan_implILNS1_25lookback_scan_determinismE0ELb0ELb0ES3_N6thrust23THRUST_200600_302600_NS6detail15normal_iteratorINS9_10device_ptrIdEEEENS9_16discard_iteratorINS9_11use_defaultEEEd11max_functorIdEdEEDaPvRmT3_T4_T5_mT6_P12ihipStream_tbENKUlT_T0_E_clISt17integral_constantIbLb1EESW_IbLb0EEEEDaSS_ST_EUlSS_E_NS1_11comp_targetILNS1_3genE5ELNS1_11target_archE942ELNS1_3gpuE9ELNS1_3repE0EEENS1_30default_config_static_selectorELNS0_4arch9wavefront6targetE1EEEvT1_,comdat
.Lfunc_end3027:
	.size	_ZN7rocprim17ROCPRIM_400000_NS6detail17trampoline_kernelINS0_14default_configENS1_20scan_config_selectorIdEEZZNS1_9scan_implILNS1_25lookback_scan_determinismE0ELb0ELb0ES3_N6thrust23THRUST_200600_302600_NS6detail15normal_iteratorINS9_10device_ptrIdEEEENS9_16discard_iteratorINS9_11use_defaultEEEd11max_functorIdEdEEDaPvRmT3_T4_T5_mT6_P12ihipStream_tbENKUlT_T0_E_clISt17integral_constantIbLb1EESW_IbLb0EEEEDaSS_ST_EUlSS_E_NS1_11comp_targetILNS1_3genE5ELNS1_11target_archE942ELNS1_3gpuE9ELNS1_3repE0EEENS1_30default_config_static_selectorELNS0_4arch9wavefront6targetE1EEEvT1_, .Lfunc_end3027-_ZN7rocprim17ROCPRIM_400000_NS6detail17trampoline_kernelINS0_14default_configENS1_20scan_config_selectorIdEEZZNS1_9scan_implILNS1_25lookback_scan_determinismE0ELb0ELb0ES3_N6thrust23THRUST_200600_302600_NS6detail15normal_iteratorINS9_10device_ptrIdEEEENS9_16discard_iteratorINS9_11use_defaultEEEd11max_functorIdEdEEDaPvRmT3_T4_T5_mT6_P12ihipStream_tbENKUlT_T0_E_clISt17integral_constantIbLb1EESW_IbLb0EEEEDaSS_ST_EUlSS_E_NS1_11comp_targetILNS1_3genE5ELNS1_11target_archE942ELNS1_3gpuE9ELNS1_3repE0EEENS1_30default_config_static_selectorELNS0_4arch9wavefront6targetE1EEEvT1_
                                        ; -- End function
	.section	.AMDGPU.csdata,"",@progbits
; Kernel info:
; codeLenInByte = 0
; NumSgprs: 4
; NumVgprs: 0
; NumAgprs: 0
; TotalNumVgprs: 0
; ScratchSize: 0
; MemoryBound: 0
; FloatMode: 240
; IeeeMode: 1
; LDSByteSize: 0 bytes/workgroup (compile time only)
; SGPRBlocks: 0
; VGPRBlocks: 0
; NumSGPRsForWavesPerEU: 4
; NumVGPRsForWavesPerEU: 1
; AccumOffset: 4
; Occupancy: 8
; WaveLimiterHint : 0
; COMPUTE_PGM_RSRC2:SCRATCH_EN: 0
; COMPUTE_PGM_RSRC2:USER_SGPR: 6
; COMPUTE_PGM_RSRC2:TRAP_HANDLER: 0
; COMPUTE_PGM_RSRC2:TGID_X_EN: 1
; COMPUTE_PGM_RSRC2:TGID_Y_EN: 0
; COMPUTE_PGM_RSRC2:TGID_Z_EN: 0
; COMPUTE_PGM_RSRC2:TIDIG_COMP_CNT: 0
; COMPUTE_PGM_RSRC3_GFX90A:ACCUM_OFFSET: 0
; COMPUTE_PGM_RSRC3_GFX90A:TG_SPLIT: 0
	.section	.text._ZN7rocprim17ROCPRIM_400000_NS6detail17trampoline_kernelINS0_14default_configENS1_20scan_config_selectorIdEEZZNS1_9scan_implILNS1_25lookback_scan_determinismE0ELb0ELb0ES3_N6thrust23THRUST_200600_302600_NS6detail15normal_iteratorINS9_10device_ptrIdEEEENS9_16discard_iteratorINS9_11use_defaultEEEd11max_functorIdEdEEDaPvRmT3_T4_T5_mT6_P12ihipStream_tbENKUlT_T0_E_clISt17integral_constantIbLb1EESW_IbLb0EEEEDaSS_ST_EUlSS_E_NS1_11comp_targetILNS1_3genE4ELNS1_11target_archE910ELNS1_3gpuE8ELNS1_3repE0EEENS1_30default_config_static_selectorELNS0_4arch9wavefront6targetE1EEEvT1_,"axG",@progbits,_ZN7rocprim17ROCPRIM_400000_NS6detail17trampoline_kernelINS0_14default_configENS1_20scan_config_selectorIdEEZZNS1_9scan_implILNS1_25lookback_scan_determinismE0ELb0ELb0ES3_N6thrust23THRUST_200600_302600_NS6detail15normal_iteratorINS9_10device_ptrIdEEEENS9_16discard_iteratorINS9_11use_defaultEEEd11max_functorIdEdEEDaPvRmT3_T4_T5_mT6_P12ihipStream_tbENKUlT_T0_E_clISt17integral_constantIbLb1EESW_IbLb0EEEEDaSS_ST_EUlSS_E_NS1_11comp_targetILNS1_3genE4ELNS1_11target_archE910ELNS1_3gpuE8ELNS1_3repE0EEENS1_30default_config_static_selectorELNS0_4arch9wavefront6targetE1EEEvT1_,comdat
	.protected	_ZN7rocprim17ROCPRIM_400000_NS6detail17trampoline_kernelINS0_14default_configENS1_20scan_config_selectorIdEEZZNS1_9scan_implILNS1_25lookback_scan_determinismE0ELb0ELb0ES3_N6thrust23THRUST_200600_302600_NS6detail15normal_iteratorINS9_10device_ptrIdEEEENS9_16discard_iteratorINS9_11use_defaultEEEd11max_functorIdEdEEDaPvRmT3_T4_T5_mT6_P12ihipStream_tbENKUlT_T0_E_clISt17integral_constantIbLb1EESW_IbLb0EEEEDaSS_ST_EUlSS_E_NS1_11comp_targetILNS1_3genE4ELNS1_11target_archE910ELNS1_3gpuE8ELNS1_3repE0EEENS1_30default_config_static_selectorELNS0_4arch9wavefront6targetE1EEEvT1_ ; -- Begin function _ZN7rocprim17ROCPRIM_400000_NS6detail17trampoline_kernelINS0_14default_configENS1_20scan_config_selectorIdEEZZNS1_9scan_implILNS1_25lookback_scan_determinismE0ELb0ELb0ES3_N6thrust23THRUST_200600_302600_NS6detail15normal_iteratorINS9_10device_ptrIdEEEENS9_16discard_iteratorINS9_11use_defaultEEEd11max_functorIdEdEEDaPvRmT3_T4_T5_mT6_P12ihipStream_tbENKUlT_T0_E_clISt17integral_constantIbLb1EESW_IbLb0EEEEDaSS_ST_EUlSS_E_NS1_11comp_targetILNS1_3genE4ELNS1_11target_archE910ELNS1_3gpuE8ELNS1_3repE0EEENS1_30default_config_static_selectorELNS0_4arch9wavefront6targetE1EEEvT1_
	.globl	_ZN7rocprim17ROCPRIM_400000_NS6detail17trampoline_kernelINS0_14default_configENS1_20scan_config_selectorIdEEZZNS1_9scan_implILNS1_25lookback_scan_determinismE0ELb0ELb0ES3_N6thrust23THRUST_200600_302600_NS6detail15normal_iteratorINS9_10device_ptrIdEEEENS9_16discard_iteratorINS9_11use_defaultEEEd11max_functorIdEdEEDaPvRmT3_T4_T5_mT6_P12ihipStream_tbENKUlT_T0_E_clISt17integral_constantIbLb1EESW_IbLb0EEEEDaSS_ST_EUlSS_E_NS1_11comp_targetILNS1_3genE4ELNS1_11target_archE910ELNS1_3gpuE8ELNS1_3repE0EEENS1_30default_config_static_selectorELNS0_4arch9wavefront6targetE1EEEvT1_
	.p2align	8
	.type	_ZN7rocprim17ROCPRIM_400000_NS6detail17trampoline_kernelINS0_14default_configENS1_20scan_config_selectorIdEEZZNS1_9scan_implILNS1_25lookback_scan_determinismE0ELb0ELb0ES3_N6thrust23THRUST_200600_302600_NS6detail15normal_iteratorINS9_10device_ptrIdEEEENS9_16discard_iteratorINS9_11use_defaultEEEd11max_functorIdEdEEDaPvRmT3_T4_T5_mT6_P12ihipStream_tbENKUlT_T0_E_clISt17integral_constantIbLb1EESW_IbLb0EEEEDaSS_ST_EUlSS_E_NS1_11comp_targetILNS1_3genE4ELNS1_11target_archE910ELNS1_3gpuE8ELNS1_3repE0EEENS1_30default_config_static_selectorELNS0_4arch9wavefront6targetE1EEEvT1_,@function
_ZN7rocprim17ROCPRIM_400000_NS6detail17trampoline_kernelINS0_14default_configENS1_20scan_config_selectorIdEEZZNS1_9scan_implILNS1_25lookback_scan_determinismE0ELb0ELb0ES3_N6thrust23THRUST_200600_302600_NS6detail15normal_iteratorINS9_10device_ptrIdEEEENS9_16discard_iteratorINS9_11use_defaultEEEd11max_functorIdEdEEDaPvRmT3_T4_T5_mT6_P12ihipStream_tbENKUlT_T0_E_clISt17integral_constantIbLb1EESW_IbLb0EEEEDaSS_ST_EUlSS_E_NS1_11comp_targetILNS1_3genE4ELNS1_11target_archE910ELNS1_3gpuE8ELNS1_3repE0EEENS1_30default_config_static_selectorELNS0_4arch9wavefront6targetE1EEEvT1_: ; @_ZN7rocprim17ROCPRIM_400000_NS6detail17trampoline_kernelINS0_14default_configENS1_20scan_config_selectorIdEEZZNS1_9scan_implILNS1_25lookback_scan_determinismE0ELb0ELb0ES3_N6thrust23THRUST_200600_302600_NS6detail15normal_iteratorINS9_10device_ptrIdEEEENS9_16discard_iteratorINS9_11use_defaultEEEd11max_functorIdEdEEDaPvRmT3_T4_T5_mT6_P12ihipStream_tbENKUlT_T0_E_clISt17integral_constantIbLb1EESW_IbLb0EEEEDaSS_ST_EUlSS_E_NS1_11comp_targetILNS1_3genE4ELNS1_11target_archE910ELNS1_3gpuE8ELNS1_3repE0EEENS1_30default_config_static_selectorELNS0_4arch9wavefront6targetE1EEEvT1_
; %bb.0:
	s_load_dwordx4 s[0:3], s[4:5], 0x0
	s_load_dwordx2 s[8:9], s[4:5], 0x20
	s_load_dword s7, s[4:5], 0x40
	s_waitcnt lgkmcnt(0)
	s_lshl_b64 s[2:3], s[2:3], 3
	s_add_u32 s2, s0, s2
	s_addc_u32 s3, s1, s3
	s_add_i32 s7, s7, -1
	s_mul_i32 s10, s7, 0x500
	s_sub_u32 s16, s8, s10
	s_subb_u32 s17, s9, 0
	s_mul_i32 s0, s6, 0x500
	s_mov_b32 s1, 0
	s_cmp_lg_u32 s6, s7
	s_cselect_b64 s[12:13], -1, 0
	s_lshl_b64 s[0:1], s[0:1], 3
	s_add_u32 s0, s2, s0
	s_addc_u32 s1, s3, s1
	s_mov_b64 s[2:3], -1
	s_and_b64 vcc, exec, s[12:13]
	s_cbranch_vccz .LBB3028_2
; %bb.1:
	v_lshlrev_b32_e32 v1, 3, v0
	v_mov_b32_e32 v3, s1
	v_add_co_u32_e32 v2, vcc, s0, v1
	v_addc_co_u32_e32 v3, vcc, 0, v3, vcc
	v_add_co_u32_e32 v12, vcc, 0x1000, v2
	v_addc_co_u32_e32 v13, vcc, 0, v3, vcc
	flat_load_dwordx2 v[4:5], v[2:3]
	flat_load_dwordx2 v[6:7], v[2:3] offset:1024
	flat_load_dwordx2 v[8:9], v[2:3] offset:2048
	;; [unrolled: 1-line block ×3, first 2 shown]
	v_add_co_u32_e32 v2, vcc, 0x2000, v2
	v_addc_co_u32_e32 v3, vcc, 0, v3, vcc
	flat_load_dwordx2 v[14:15], v[12:13]
	flat_load_dwordx2 v[16:17], v[12:13] offset:1024
	flat_load_dwordx2 v[18:19], v[12:13] offset:2048
	;; [unrolled: 1-line block ×3, first 2 shown]
	s_nop 0
	flat_load_dwordx2 v[12:13], v[2:3]
	flat_load_dwordx2 v[22:23], v[2:3] offset:1024
	s_mov_b64 s[2:3], 0
	s_waitcnt vmcnt(0) lgkmcnt(0)
	ds_write2st64_b64 v1, v[4:5], v[6:7] offset1:2
	ds_write2st64_b64 v1, v[8:9], v[10:11] offset0:4 offset1:6
	ds_write2st64_b64 v1, v[14:15], v[16:17] offset0:8 offset1:10
	ds_write2st64_b64 v1, v[18:19], v[20:21] offset0:12 offset1:14
	ds_write2st64_b64 v1, v[12:13], v[22:23] offset0:16 offset1:18
	s_waitcnt lgkmcnt(0)
	s_barrier
.LBB3028_2:
	s_load_dwordx2 s[14:15], s[4:5], 0x38
	s_andn2_b64 vcc, exec, s[2:3]
	s_cbranch_vccnz .LBB3028_24
; %bb.3:
	v_pk_mov_b32 v[2:3], s[0:1], s[0:1] op_sel:[0,1]
	flat_load_dwordx2 v[2:3], v[2:3]
	v_cmp_gt_u32_e32 vcc, s16, v0
	s_waitcnt vmcnt(0) lgkmcnt(0)
	v_mov_b32_e32 v4, v2
	v_mov_b32_e32 v5, v3
	;; [unrolled: 1-line block ×16, first 2 shown]
	v_pk_mov_b32 v[34:35], v[30:31], v[30:31] op_sel:[0,1]
	v_pk_mov_b32 v[32:33], v[28:29], v[28:29] op_sel:[0,1]
	;; [unrolled: 1-line block ×16, first 2 shown]
	s_and_saveexec_b64 s[2:3], vcc
	s_cbranch_execz .LBB3028_5
; %bb.4:
	v_lshlrev_b32_e32 v1, 3, v0
	v_mov_b32_e32 v5, s1
	v_add_co_u32_e32 v4, vcc, s0, v1
	v_addc_co_u32_e32 v5, vcc, 0, v5, vcc
	flat_load_dwordx2 v[36:37], v[4:5]
	v_mov_b32_e32 v4, v2
	v_mov_b32_e32 v5, v3
	;; [unrolled: 1-line block ×16, first 2 shown]
	v_pk_mov_b32 v[34:35], v[30:31], v[30:31] op_sel:[0,1]
	v_pk_mov_b32 v[32:33], v[28:29], v[28:29] op_sel:[0,1]
	;; [unrolled: 1-line block ×16, first 2 shown]
	s_waitcnt vmcnt(0) lgkmcnt(0)
	v_pk_mov_b32 v[2:3], v[36:37], v[36:37] op_sel:[0,1]
.LBB3028_5:
	s_or_b64 exec, exec, s[2:3]
	v_or_b32_e32 v1, 0x80, v0
	v_cmp_gt_u32_e32 vcc, s16, v1
	s_and_saveexec_b64 s[2:3], vcc
	s_cbranch_execz .LBB3028_7
; %bb.6:
	v_lshlrev_b32_e32 v1, 3, v0
	v_mov_b32_e32 v5, s1
	v_add_co_u32_e32 v4, vcc, s0, v1
	v_addc_co_u32_e32 v5, vcc, 0, v5, vcc
	flat_load_dwordx2 v[6:7], v[4:5] offset:1024
.LBB3028_7:
	s_or_b64 exec, exec, s[2:3]
	v_or_b32_e32 v1, 0x100, v0
	v_cmp_gt_u32_e32 vcc, s16, v1
	s_and_saveexec_b64 s[2:3], vcc
	s_cbranch_execz .LBB3028_9
; %bb.8:
	v_lshlrev_b32_e32 v1, 3, v0
	v_mov_b32_e32 v5, s1
	v_add_co_u32_e32 v4, vcc, s0, v1
	v_addc_co_u32_e32 v5, vcc, 0, v5, vcc
	flat_load_dwordx2 v[8:9], v[4:5] offset:2048
.LBB3028_9:
	s_or_b64 exec, exec, s[2:3]
	v_or_b32_e32 v1, 0x180, v0
	v_cmp_gt_u32_e32 vcc, s16, v1
	s_and_saveexec_b64 s[2:3], vcc
	s_cbranch_execz .LBB3028_11
; %bb.10:
	v_lshlrev_b32_e32 v1, 3, v0
	v_mov_b32_e32 v5, s1
	v_add_co_u32_e32 v4, vcc, s0, v1
	v_addc_co_u32_e32 v5, vcc, 0, v5, vcc
	flat_load_dwordx2 v[10:11], v[4:5] offset:3072
.LBB3028_11:
	s_or_b64 exec, exec, s[2:3]
	v_or_b32_e32 v1, 0x200, v0
	v_cmp_gt_u32_e32 vcc, s16, v1
	s_and_saveexec_b64 s[2:3], vcc
	s_cbranch_execz .LBB3028_13
; %bb.12:
	v_lshlrev_b32_e32 v1, 3, v1
	v_mov_b32_e32 v5, s1
	v_add_co_u32_e32 v4, vcc, s0, v1
	v_addc_co_u32_e32 v5, vcc, 0, v5, vcc
	flat_load_dwordx2 v[12:13], v[4:5]
.LBB3028_13:
	s_or_b64 exec, exec, s[2:3]
	v_or_b32_e32 v1, 0x280, v0
	v_cmp_gt_u32_e32 vcc, s16, v1
	s_and_saveexec_b64 s[2:3], vcc
	s_cbranch_execz .LBB3028_15
; %bb.14:
	v_lshlrev_b32_e32 v1, 3, v1
	v_mov_b32_e32 v5, s1
	v_add_co_u32_e32 v4, vcc, s0, v1
	v_addc_co_u32_e32 v5, vcc, 0, v5, vcc
	flat_load_dwordx2 v[14:15], v[4:5]
.LBB3028_15:
	;; [unrolled: 12-line block ×6, first 2 shown]
	s_or_b64 exec, exec, s[2:3]
	v_lshlrev_b32_e32 v1, 3, v0
	s_waitcnt vmcnt(0) lgkmcnt(0)
	ds_write2st64_b64 v1, v[2:3], v[6:7] offset1:2
	ds_write2st64_b64 v1, v[8:9], v[10:11] offset0:4 offset1:6
	ds_write2st64_b64 v1, v[12:13], v[14:15] offset0:8 offset1:10
	;; [unrolled: 1-line block ×4, first 2 shown]
	s_waitcnt lgkmcnt(0)
	s_barrier
.LBB3028_24:
	v_mul_u32_u24_e32 v42, 10, v0
	v_lshlrev_b32_e32 v43, 3, v42
	s_waitcnt lgkmcnt(0)
	ds_read_b128 v[2:5], v43
	ds_read_b128 v[14:17], v43 offset:16
	ds_read_b128 v[10:13], v43 offset:32
	;; [unrolled: 1-line block ×4, first 2 shown]
	s_cmp_lg_u32 s6, 0
	v_mbcnt_lo_u32_b32 v1, -1, 0
	s_waitcnt lgkmcnt(0)
	s_barrier
	s_cbranch_scc0 .LBB3028_85
; %bb.25:
	v_cmp_lt_f64_e32 vcc, v[2:3], v[4:5]
	v_cndmask_b32_e32 v23, v3, v5, vcc
	v_cndmask_b32_e32 v22, v2, v4, vcc
	v_cmp_lt_f64_e32 vcc, v[22:23], v[14:15]
	v_cndmask_b32_e32 v23, v23, v15, vcc
	v_cndmask_b32_e32 v22, v22, v14, vcc
	;; [unrolled: 3-line block ×8, first 2 shown]
	v_cmp_lt_f64_e32 vcc, v[22:23], v[20:21]
	v_mbcnt_hi_u32_b32 v33, -1, v1
	v_cndmask_b32_e32 v23, v23, v21, vcc
	v_cndmask_b32_e32 v22, v22, v20, vcc
	v_and_b32_e32 v26, 15, v33
	v_mov_b32_dpp v25, v23 row_shr:1 row_mask:0xf bank_mask:0xf
	v_mov_b32_dpp v24, v22 row_shr:1 row_mask:0xf bank_mask:0xf
	v_cmp_ne_u32_e32 vcc, 0, v26
	s_and_saveexec_b64 s[0:1], vcc
; %bb.26:
	v_cmp_gt_f64_e32 vcc, v[22:23], v[24:25]
	v_cndmask_b32_e32 v23, v25, v23, vcc
	v_cndmask_b32_e32 v22, v24, v22, vcc
; %bb.27:
	s_or_b64 exec, exec, s[0:1]
	s_nop 0
	v_mov_b32_dpp v24, v22 row_shr:2 row_mask:0xf bank_mask:0xf
	v_mov_b32_dpp v25, v23 row_shr:2 row_mask:0xf bank_mask:0xf
	v_cmp_lt_u32_e32 vcc, 1, v26
	s_and_saveexec_b64 s[0:1], vcc
; %bb.28:
	v_cmp_gt_f64_e32 vcc, v[22:23], v[24:25]
	v_cndmask_b32_e32 v23, v25, v23, vcc
	v_cndmask_b32_e32 v22, v24, v22, vcc
; %bb.29:
	s_or_b64 exec, exec, s[0:1]
	s_nop 0
	v_mov_b32_dpp v24, v22 row_shr:4 row_mask:0xf bank_mask:0xf
	v_mov_b32_dpp v25, v23 row_shr:4 row_mask:0xf bank_mask:0xf
	v_cmp_lt_u32_e32 vcc, 3, v26
	;; [unrolled: 11-line block ×3, first 2 shown]
	s_and_saveexec_b64 s[0:1], vcc
; %bb.32:
	v_cmp_gt_f64_e32 vcc, v[22:23], v[24:25]
	v_cndmask_b32_e32 v23, v25, v23, vcc
	v_cndmask_b32_e32 v22, v24, v22, vcc
; %bb.33:
	s_or_b64 exec, exec, s[0:1]
	v_and_b32_e32 v26, 16, v33
	v_mov_b32_dpp v24, v22 row_bcast:15 row_mask:0xf bank_mask:0xf
	v_mov_b32_dpp v25, v23 row_bcast:15 row_mask:0xf bank_mask:0xf
	v_cmp_ne_u32_e32 vcc, 0, v26
	s_and_saveexec_b64 s[0:1], vcc
; %bb.34:
	v_cmp_gt_f64_e32 vcc, v[22:23], v[24:25]
	v_cndmask_b32_e32 v23, v25, v23, vcc
	v_cndmask_b32_e32 v22, v24, v22, vcc
; %bb.35:
	s_or_b64 exec, exec, s[0:1]
	s_nop 0
	v_mov_b32_dpp v24, v22 row_bcast:31 row_mask:0xf bank_mask:0xf
	v_mov_b32_dpp v25, v23 row_bcast:31 row_mask:0xf bank_mask:0xf
	v_cmp_gt_f64_e32 vcc, v[22:23], v[24:25]
	v_cndmask_b32_e32 v24, v24, v22, vcc
	v_cndmask_b32_e32 v25, v25, v23, vcc
	v_cmp_lt_u32_e32 vcc, 31, v33
	v_cndmask_b32_e32 v23, v23, v25, vcc
	v_or_b32_e32 v25, 63, v0
	v_cndmask_b32_e32 v22, v22, v24, vcc
	v_lshrrev_b32_e32 v24, 6, v0
	v_cmp_eq_u32_e32 vcc, v25, v0
	s_and_saveexec_b64 s[0:1], vcc
	s_cbranch_execz .LBB3028_37
; %bb.36:
	v_lshlrev_b32_e32 v25, 3, v24
	ds_write_b64 v25, v[22:23]
.LBB3028_37:
	s_or_b64 exec, exec, s[0:1]
	v_cmp_gt_u32_e32 vcc, 2, v0
	s_waitcnt lgkmcnt(0)
	s_barrier
	s_and_saveexec_b64 s[2:3], vcc
	s_cbranch_execz .LBB3028_39
; %bb.38:
	v_lshlrev_b32_e32 v25, 3, v0
	ds_read_b64 v[26:27], v25
	v_and_b32_e32 v28, 1, v33
	v_cmp_eq_u32_e32 vcc, 0, v28
	s_waitcnt lgkmcnt(0)
	v_mov_b32_dpp v30, v27 row_shr:1 row_mask:0xf bank_mask:0xf
	v_mov_b32_dpp v28, v26 row_shr:1 row_mask:0xf bank_mask:0xf
	v_mov_b32_e32 v29, v30
	v_cmp_gt_f64_e64 s[0:1], v[26:27], v[28:29]
	s_or_b64 vcc, vcc, s[0:1]
	v_cndmask_b32_e32 v27, v30, v27, vcc
	v_cndmask_b32_e32 v26, v28, v26, vcc
	ds_write_b64 v25, v[26:27]
.LBB3028_39:
	s_or_b64 exec, exec, s[2:3]
	v_cmp_gt_u32_e32 vcc, 64, v0
	v_cmp_lt_u32_e64 s[0:1], 63, v0
	s_waitcnt lgkmcnt(0)
	s_barrier
	s_waitcnt lgkmcnt(0)
                                        ; implicit-def: $vgpr30_vgpr31
	s_and_saveexec_b64 s[2:3], s[0:1]
	s_cbranch_execz .LBB3028_41
; %bb.40:
	v_lshl_add_u32 v24, v24, 3, -8
	ds_read_b64 v[30:31], v24
	s_waitcnt lgkmcnt(0)
	v_cmp_lt_f64_e64 s[0:1], v[30:31], v[22:23]
	v_cndmask_b32_e64 v23, v31, v23, s[0:1]
	v_cndmask_b32_e64 v22, v30, v22, s[0:1]
.LBB3028_41:
	s_or_b64 exec, exec, s[2:3]
	v_add_u32_e32 v24, -1, v33
	v_and_b32_e32 v25, 64, v33
	v_cmp_lt_i32_e64 s[0:1], v24, v25
	v_cndmask_b32_e64 v24, v24, v33, s[0:1]
	v_lshlrev_b32_e32 v24, 2, v24
	ds_bpermute_b32 v38, v24, v22
	ds_bpermute_b32 v39, v24, v23
	v_cmp_eq_u32_e64 s[0:1], 0, v33
	s_and_saveexec_b64 s[8:9], vcc
	s_cbranch_execz .LBB3028_84
; %bb.42:
	v_mov_b32_e32 v25, 0
	ds_read_b64 v[22:23], v25 offset:8
	s_and_saveexec_b64 s[2:3], s[0:1]
	s_cbranch_execz .LBB3028_44
; %bb.43:
	s_add_i32 s10, s6, 64
	s_mov_b32 s11, 0
	s_lshl_b64 s[10:11], s[10:11], 4
	s_add_u32 s10, s14, s10
	s_addc_u32 s11, s15, s11
	v_mov_b32_e32 v24, 1
	v_pk_mov_b32 v[26:27], s[10:11], s[10:11] op_sel:[0,1]
	s_waitcnt lgkmcnt(0)
	;;#ASMSTART
	global_store_dwordx4 v[26:27], v[22:25] off	
s_waitcnt vmcnt(0)
	;;#ASMEND
.LBB3028_44:
	s_or_b64 exec, exec, s[2:3]
	v_xad_u32 v32, v33, -1, s6
	v_add_u32_e32 v24, 64, v32
	v_lshlrev_b64 v[26:27], 4, v[24:25]
	v_mov_b32_e32 v24, s15
	v_add_co_u32_e32 v34, vcc, s14, v26
	v_addc_co_u32_e32 v35, vcc, v24, v27, vcc
	;;#ASMSTART
	global_load_dwordx4 v[26:29], v[34:35] off glc	
s_waitcnt vmcnt(0)
	;;#ASMEND
	v_and_b32_e32 v24, 0xff, v27
	v_and_b32_e32 v29, 0xff00, v27
	v_or3_b32 v24, 0, v24, v29
	v_or3_b32 v26, v26, 0, 0
	v_and_b32_e32 v29, 0xff000000, v27
	v_and_b32_e32 v27, 0xff0000, v27
	v_or3_b32 v27, v24, v27, v29
	v_or3_b32 v26, v26, 0, 0
	v_cmp_eq_u16_sdwa s[10:11], v28, v25 src0_sel:BYTE_0 src1_sel:DWORD
	s_and_saveexec_b64 s[2:3], s[10:11]
	s_cbranch_execz .LBB3028_50
; %bb.45:
	s_mov_b32 s7, 1
	s_mov_b64 s[10:11], 0
	v_mov_b32_e32 v24, 0
.LBB3028_46:                            ; =>This Loop Header: Depth=1
                                        ;     Child Loop BB3028_47 Depth 2
	s_max_u32 s18, s7, 1
.LBB3028_47:                            ;   Parent Loop BB3028_46 Depth=1
                                        ; =>  This Inner Loop Header: Depth=2
	s_add_i32 s18, s18, -1
	s_cmp_eq_u32 s18, 0
	s_sleep 1
	s_cbranch_scc0 .LBB3028_47
; %bb.48:                               ;   in Loop: Header=BB3028_46 Depth=1
	s_cmp_lt_u32 s7, 32
	s_cselect_b64 s[18:19], -1, 0
	s_cmp_lg_u64 s[18:19], 0
	s_addc_u32 s7, s7, 0
	;;#ASMSTART
	global_load_dwordx4 v[26:29], v[34:35] off glc	
s_waitcnt vmcnt(0)
	;;#ASMEND
	v_cmp_ne_u16_sdwa s[18:19], v28, v24 src0_sel:BYTE_0 src1_sel:DWORD
	s_or_b64 s[10:11], s[18:19], s[10:11]
	s_andn2_b64 exec, exec, s[10:11]
	s_cbranch_execnz .LBB3028_46
; %bb.49:
	s_or_b64 exec, exec, s[10:11]
.LBB3028_50:
	s_or_b64 exec, exec, s[2:3]
	v_and_b32_e32 v40, 63, v33
	v_mov_b32_e32 v24, 2
	v_cmp_ne_u32_e32 vcc, 63, v40
	v_cmp_eq_u16_sdwa s[2:3], v28, v24 src0_sel:BYTE_0 src1_sel:DWORD
	v_lshlrev_b64 v[24:25], v33, -1
	v_addc_co_u32_e32 v34, vcc, 0, v33, vcc
	v_and_b32_e32 v29, s3, v25
	v_lshlrev_b32_e32 v41, 2, v34
	v_or_b32_e32 v29, 0x80000000, v29
	ds_bpermute_b32 v34, v41, v26
	ds_bpermute_b32 v35, v41, v27
	v_and_b32_e32 v36, s2, v24
	v_ffbl_b32_e32 v29, v29
	v_add_u32_e32 v29, 32, v29
	v_ffbl_b32_e32 v36, v36
	v_min_u32_e32 v29, v36, v29
	v_cmp_lt_u32_e32 vcc, v40, v29
	s_and_saveexec_b64 s[2:3], vcc
	s_cbranch_execz .LBB3028_52
; %bb.51:
	s_waitcnt lgkmcnt(0)
	v_cmp_lt_f64_e32 vcc, v[34:35], v[26:27]
	v_cndmask_b32_e32 v27, v35, v27, vcc
	v_cndmask_b32_e32 v26, v34, v26, vcc
.LBB3028_52:
	s_or_b64 exec, exec, s[2:3]
	v_cmp_gt_u32_e32 vcc, 62, v40
	s_waitcnt lgkmcnt(1)
	v_cndmask_b32_e64 v34, 0, 1, vcc
	v_lshlrev_b32_e32 v34, 1, v34
	v_add_lshl_u32 v44, v34, v33, 2
	ds_bpermute_b32 v34, v44, v26
	s_waitcnt lgkmcnt(1)
	ds_bpermute_b32 v35, v44, v27
	v_add_u32_e32 v45, 2, v40
	v_cmp_le_u32_e32 vcc, v45, v29
	s_and_saveexec_b64 s[2:3], vcc
	s_cbranch_execz .LBB3028_54
; %bb.53:
	s_waitcnt lgkmcnt(0)
	v_cmp_gt_f64_e32 vcc, v[26:27], v[34:35]
	v_cndmask_b32_e32 v27, v35, v27, vcc
	v_cndmask_b32_e32 v26, v34, v26, vcc
.LBB3028_54:
	s_or_b64 exec, exec, s[2:3]
	v_cmp_gt_u32_e32 vcc, 60, v40
	s_waitcnt lgkmcnt(1)
	v_cndmask_b32_e64 v34, 0, 1, vcc
	v_lshlrev_b32_e32 v34, 2, v34
	v_add_lshl_u32 v46, v34, v33, 2
	ds_bpermute_b32 v34, v46, v26
	s_waitcnt lgkmcnt(1)
	ds_bpermute_b32 v35, v46, v27
	v_add_u32_e32 v47, 4, v40
	v_cmp_le_u32_e32 vcc, v47, v29
	s_and_saveexec_b64 s[2:3], vcc
	s_cbranch_execz .LBB3028_56
; %bb.55:
	s_waitcnt lgkmcnt(0)
	v_cmp_gt_f64_e32 vcc, v[26:27], v[34:35]
	v_cndmask_b32_e32 v27, v35, v27, vcc
	v_cndmask_b32_e32 v26, v34, v26, vcc
.LBB3028_56:
	;; [unrolled: 19-line block ×4, first 2 shown]
	s_or_b64 exec, exec, s[2:3]
	v_cmp_gt_u32_e32 vcc, 32, v40
	s_waitcnt lgkmcnt(1)
	v_cndmask_b32_e64 v34, 0, 1, vcc
	v_lshlrev_b32_e32 v34, 5, v34
	v_add_lshl_u32 v52, v34, v33, 2
	ds_bpermute_b32 v34, v52, v27
	ds_bpermute_b32 v36, v52, v26
	v_add_u32_e32 v53, 32, v40
	v_cmp_gt_u32_e32 vcc, v53, v29
	v_mov_b32_e32 v33, 0
	s_waitcnt lgkmcnt(1)
	v_mov_b32_e32 v37, v34
	s_waitcnt lgkmcnt(0)
	v_cmp_gt_f64_e64 s[2:3], v[26:27], v[36:37]
	s_or_b64 vcc, vcc, s[2:3]
	v_cndmask_b32_e32 v27, v34, v27, vcc
	v_cndmask_b32_e32 v26, v36, v26, vcc
	v_mov_b32_e32 v54, 2
	s_branch .LBB3028_62
.LBB3028_61:                            ;   in Loop: Header=BB3028_62 Depth=1
	s_or_b64 exec, exec, s[2:3]
	s_waitcnt lgkmcnt(1)
	ds_bpermute_b32 v36, v52, v27
	ds_bpermute_b32 v56, v52, v26
	v_cmp_gt_u32_e32 vcc, v53, v29
	v_subrev_u32_e32 v32, 64, v32
	s_waitcnt lgkmcnt(1)
	v_mov_b32_e32 v57, v36
	s_waitcnt lgkmcnt(0)
	v_cmp_gt_f64_e64 s[2:3], v[26:27], v[56:57]
	s_or_b64 vcc, vcc, s[2:3]
	v_cndmask_b32_e32 v27, v36, v27, vcc
	v_cndmask_b32_e32 v26, v56, v26, vcc
	v_cmp_lt_f64_e32 vcc, v[26:27], v[34:35]
	v_cndmask_b32_e32 v27, v27, v35, vcc
	v_cndmask_b32_e32 v26, v26, v34, vcc
.LBB3028_62:                            ; =>This Loop Header: Depth=1
                                        ;     Child Loop BB3028_65 Depth 2
                                        ;       Child Loop BB3028_66 Depth 3
	v_cmp_ne_u16_sdwa s[2:3], v28, v54 src0_sel:BYTE_0 src1_sel:DWORD
	v_cndmask_b32_e64 v28, 0, 1, s[2:3]
	;;#ASMSTART
	;;#ASMEND
	v_cmp_ne_u32_e32 vcc, 0, v28
	s_cmp_lg_u64 vcc, exec
	v_pk_mov_b32 v[34:35], v[26:27], v[26:27] op_sel:[0,1]
	s_cbranch_scc1 .LBB3028_79
; %bb.63:                               ;   in Loop: Header=BB3028_62 Depth=1
	v_lshlrev_b64 v[26:27], 4, v[32:33]
	v_mov_b32_e32 v28, s15
	v_add_co_u32_e32 v36, vcc, s14, v26
	v_addc_co_u32_e32 v37, vcc, v28, v27, vcc
	;;#ASMSTART
	global_load_dwordx4 v[26:29], v[36:37] off glc	
s_waitcnt vmcnt(0)
	;;#ASMEND
	v_and_b32_e32 v29, 0xff, v27
	v_and_b32_e32 v55, 0xff00, v27
	v_or3_b32 v29, 0, v29, v55
	v_or3_b32 v26, v26, 0, 0
	v_and_b32_e32 v55, 0xff000000, v27
	v_and_b32_e32 v27, 0xff0000, v27
	v_or3_b32 v27, v29, v27, v55
	v_or3_b32 v26, v26, 0, 0
	v_cmp_eq_u16_sdwa s[10:11], v28, v33 src0_sel:BYTE_0 src1_sel:DWORD
	s_and_saveexec_b64 s[2:3], s[10:11]
	s_cbranch_execz .LBB3028_69
; %bb.64:                               ;   in Loop: Header=BB3028_62 Depth=1
	s_mov_b32 s7, 1
	s_mov_b64 s[10:11], 0
.LBB3028_65:                            ;   Parent Loop BB3028_62 Depth=1
                                        ; =>  This Loop Header: Depth=2
                                        ;       Child Loop BB3028_66 Depth 3
	s_max_u32 s18, s7, 1
.LBB3028_66:                            ;   Parent Loop BB3028_62 Depth=1
                                        ;     Parent Loop BB3028_65 Depth=2
                                        ; =>    This Inner Loop Header: Depth=3
	s_add_i32 s18, s18, -1
	s_cmp_eq_u32 s18, 0
	s_sleep 1
	s_cbranch_scc0 .LBB3028_66
; %bb.67:                               ;   in Loop: Header=BB3028_65 Depth=2
	s_cmp_lt_u32 s7, 32
	s_cselect_b64 s[18:19], -1, 0
	s_cmp_lg_u64 s[18:19], 0
	s_addc_u32 s7, s7, 0
	;;#ASMSTART
	global_load_dwordx4 v[26:29], v[36:37] off glc	
s_waitcnt vmcnt(0)
	;;#ASMEND
	v_cmp_ne_u16_sdwa s[18:19], v28, v33 src0_sel:BYTE_0 src1_sel:DWORD
	s_or_b64 s[10:11], s[18:19], s[10:11]
	s_andn2_b64 exec, exec, s[10:11]
	s_cbranch_execnz .LBB3028_65
; %bb.68:                               ;   in Loop: Header=BB3028_62 Depth=1
	s_or_b64 exec, exec, s[10:11]
.LBB3028_69:                            ;   in Loop: Header=BB3028_62 Depth=1
	s_or_b64 exec, exec, s[2:3]
	v_cmp_eq_u16_sdwa s[2:3], v28, v54 src0_sel:BYTE_0 src1_sel:DWORD
	v_and_b32_e32 v29, s3, v25
	v_or_b32_e32 v29, 0x80000000, v29
	ds_bpermute_b32 v36, v41, v26
	ds_bpermute_b32 v37, v41, v27
	v_and_b32_e32 v55, s2, v24
	v_ffbl_b32_e32 v29, v29
	v_add_u32_e32 v29, 32, v29
	v_ffbl_b32_e32 v55, v55
	v_min_u32_e32 v29, v55, v29
	v_cmp_lt_u32_e32 vcc, v40, v29
	s_and_saveexec_b64 s[2:3], vcc
	s_cbranch_execz .LBB3028_71
; %bb.70:                               ;   in Loop: Header=BB3028_62 Depth=1
	s_waitcnt lgkmcnt(0)
	v_cmp_lt_f64_e32 vcc, v[36:37], v[26:27]
	v_cndmask_b32_e32 v27, v37, v27, vcc
	v_cndmask_b32_e32 v26, v36, v26, vcc
.LBB3028_71:                            ;   in Loop: Header=BB3028_62 Depth=1
	s_or_b64 exec, exec, s[2:3]
	s_waitcnt lgkmcnt(1)
	ds_bpermute_b32 v36, v44, v26
	s_waitcnt lgkmcnt(1)
	ds_bpermute_b32 v37, v44, v27
	v_cmp_le_u32_e32 vcc, v45, v29
	s_and_saveexec_b64 s[2:3], vcc
	s_cbranch_execz .LBB3028_73
; %bb.72:                               ;   in Loop: Header=BB3028_62 Depth=1
	s_waitcnt lgkmcnt(0)
	v_cmp_gt_f64_e32 vcc, v[26:27], v[36:37]
	v_cndmask_b32_e32 v27, v37, v27, vcc
	v_cndmask_b32_e32 v26, v36, v26, vcc
.LBB3028_73:                            ;   in Loop: Header=BB3028_62 Depth=1
	s_or_b64 exec, exec, s[2:3]
	s_waitcnt lgkmcnt(1)
	ds_bpermute_b32 v36, v46, v26
	s_waitcnt lgkmcnt(1)
	ds_bpermute_b32 v37, v46, v27
	v_cmp_le_u32_e32 vcc, v47, v29
	s_and_saveexec_b64 s[2:3], vcc
	s_cbranch_execz .LBB3028_75
; %bb.74:                               ;   in Loop: Header=BB3028_62 Depth=1
	s_waitcnt lgkmcnt(0)
	v_cmp_gt_f64_e32 vcc, v[26:27], v[36:37]
	v_cndmask_b32_e32 v27, v37, v27, vcc
	v_cndmask_b32_e32 v26, v36, v26, vcc
.LBB3028_75:                            ;   in Loop: Header=BB3028_62 Depth=1
	;; [unrolled: 14-line block ×3, first 2 shown]
	s_or_b64 exec, exec, s[2:3]
	s_waitcnt lgkmcnt(1)
	ds_bpermute_b32 v36, v50, v26
	s_waitcnt lgkmcnt(1)
	ds_bpermute_b32 v37, v50, v27
	v_cmp_le_u32_e32 vcc, v51, v29
	s_and_saveexec_b64 s[2:3], vcc
	s_cbranch_execz .LBB3028_61
; %bb.78:                               ;   in Loop: Header=BB3028_62 Depth=1
	s_waitcnt lgkmcnt(0)
	v_cmp_gt_f64_e32 vcc, v[26:27], v[36:37]
	v_cndmask_b32_e32 v27, v37, v27, vcc
	v_cndmask_b32_e32 v26, v36, v26, vcc
	s_branch .LBB3028_61
.LBB3028_79:                            ;   in Loop: Header=BB3028_62 Depth=1
                                        ; implicit-def: $vgpr26_vgpr27
                                        ; implicit-def: $vgpr28
	s_cbranch_execz .LBB3028_62
; %bb.80:
	s_and_saveexec_b64 s[2:3], s[0:1]
	s_cbranch_execz .LBB3028_82
; %bb.81:
	s_add_i32 s6, s6, 64
	s_mov_b32 s7, 0
	s_lshl_b64 s[6:7], s[6:7], 4
	s_add_u32 s6, s14, s6
	v_cmp_lt_f64_e32 vcc, v[34:35], v[22:23]
	s_addc_u32 s7, s15, s7
	v_cndmask_b32_e32 v23, v35, v23, vcc
	v_cndmask_b32_e32 v22, v34, v22, vcc
	v_mov_b32_e32 v24, 2
	v_mov_b32_e32 v25, 0
	v_pk_mov_b32 v[26:27], s[6:7], s[6:7] op_sel:[0,1]
	;;#ASMSTART
	global_store_dwordx4 v[26:27], v[22:25] off	
s_waitcnt vmcnt(0)
	;;#ASMEND
.LBB3028_82:
	s_or_b64 exec, exec, s[2:3]
	v_cmp_eq_u32_e32 vcc, 0, v0
	s_and_b64 exec, exec, vcc
	s_cbranch_execz .LBB3028_84
; %bb.83:
	v_mov_b32_e32 v22, 0
	ds_write_b64 v22, v[34:35] offset:8
.LBB3028_84:
	s_or_b64 exec, exec, s[8:9]
	v_mov_b32_e32 v24, 0
	s_waitcnt lgkmcnt(0)
	s_barrier
	ds_read_b64 v[24:25], v24 offset:8
	v_cndmask_b32_e64 v23, v39, v31, s[0:1]
	v_cndmask_b32_e64 v22, v38, v30, s[0:1]
	v_cmp_eq_u32_e32 vcc, 0, v0
	v_cmp_lt_f64_e64 s[0:1], v[22:23], v[2:3]
	s_or_b64 vcc, vcc, s[0:1]
	v_cndmask_b32_e32 v23, v23, v3, vcc
	v_cndmask_b32_e32 v22, v22, v2, vcc
	s_waitcnt lgkmcnt(0)
	v_cmp_lt_f64_e32 vcc, v[24:25], v[22:23]
	v_cndmask_b32_e32 v23, v25, v23, vcc
	v_cndmask_b32_e32 v22, v24, v22, vcc
	v_cmp_lt_f64_e32 vcc, v[22:23], v[4:5]
	v_cndmask_b32_e32 v25, v23, v5, vcc
	v_cndmask_b32_e32 v24, v22, v4, vcc
	;; [unrolled: 3-line block ×10, first 2 shown]
	s_load_dwordx8 s[4:11], s[4:5], 0x48
	s_branch .LBB3028_109
.LBB3028_85:
                                        ; implicit-def: $vgpr40_vgpr41
                                        ; implicit-def: $vgpr36_vgpr37
                                        ; implicit-def: $vgpr32_vgpr33
                                        ; implicit-def: $vgpr28_vgpr29
                                        ; implicit-def: $vgpr24_vgpr25
	s_load_dwordx8 s[4:11], s[4:5], 0x48
	s_cbranch_execz .LBB3028_109
; %bb.86:
	s_waitcnt lgkmcnt(0)
	s_cmp_lg_u64 s[8:9], 0
	s_cselect_b64 s[2:3], -1, 0
	v_cmp_eq_u32_e64 s[0:1], 0, v0
	v_cmp_ne_u32_e32 vcc, 0, v0
	s_and_b64 s[0:1], s[0:1], s[2:3]
	s_and_saveexec_b64 s[2:3], s[0:1]
	s_cbranch_execz .LBB3028_88
; %bb.87:
	v_mov_b32_e32 v22, 0
	global_load_dwordx2 v[22:23], v22, s[4:5]
	s_waitcnt vmcnt(0)
	v_cmp_lt_f64_e64 s[0:1], v[22:23], v[2:3]
	v_cndmask_b32_e64 v3, v23, v3, s[0:1]
	v_cndmask_b32_e64 v2, v22, v2, s[0:1]
.LBB3028_88:
	s_or_b64 exec, exec, s[2:3]
	v_cmp_lt_f64_e64 s[0:1], v[2:3], v[4:5]
	v_cndmask_b32_e64 v23, v3, v5, s[0:1]
	v_cndmask_b32_e64 v22, v2, v4, s[0:1]
	v_cmp_lt_f64_e64 s[0:1], v[22:23], v[14:15]
	v_cndmask_b32_e64 v23, v23, v15, s[0:1]
	v_cndmask_b32_e64 v22, v22, v14, s[0:1]
	;; [unrolled: 3-line block ×8, first 2 shown]
	v_cmp_lt_f64_e64 s[0:1], v[22:23], v[20:21]
	v_mbcnt_hi_u32_b32 v1, -1, v1
	v_cndmask_b32_e64 v23, v23, v21, s[0:1]
	v_cndmask_b32_e64 v22, v22, v20, s[0:1]
	v_and_b32_e32 v26, 15, v1
	v_mov_b32_dpp v25, v23 row_shr:1 row_mask:0xf bank_mask:0xf
	v_mov_b32_dpp v24, v22 row_shr:1 row_mask:0xf bank_mask:0xf
	v_cmp_ne_u32_e64 s[0:1], 0, v26
	s_and_saveexec_b64 s[2:3], s[0:1]
; %bb.89:
	v_cmp_gt_f64_e64 s[0:1], v[22:23], v[24:25]
	v_cndmask_b32_e64 v23, v25, v23, s[0:1]
	v_cndmask_b32_e64 v22, v24, v22, s[0:1]
; %bb.90:
	s_or_b64 exec, exec, s[2:3]
	s_nop 0
	v_mov_b32_dpp v24, v22 row_shr:2 row_mask:0xf bank_mask:0xf
	v_mov_b32_dpp v25, v23 row_shr:2 row_mask:0xf bank_mask:0xf
	v_cmp_lt_u32_e64 s[0:1], 1, v26
	s_and_saveexec_b64 s[2:3], s[0:1]
; %bb.91:
	v_cmp_gt_f64_e64 s[0:1], v[22:23], v[24:25]
	v_cndmask_b32_e64 v23, v25, v23, s[0:1]
	v_cndmask_b32_e64 v22, v24, v22, s[0:1]
; %bb.92:
	s_or_b64 exec, exec, s[2:3]
	s_nop 0
	v_mov_b32_dpp v24, v22 row_shr:4 row_mask:0xf bank_mask:0xf
	v_mov_b32_dpp v25, v23 row_shr:4 row_mask:0xf bank_mask:0xf
	v_cmp_lt_u32_e64 s[0:1], 3, v26
	;; [unrolled: 11-line block ×3, first 2 shown]
	s_and_saveexec_b64 s[2:3], s[0:1]
; %bb.95:
	v_cmp_gt_f64_e64 s[0:1], v[22:23], v[24:25]
	v_cndmask_b32_e64 v23, v25, v23, s[0:1]
	v_cndmask_b32_e64 v22, v24, v22, s[0:1]
; %bb.96:
	s_or_b64 exec, exec, s[2:3]
	v_and_b32_e32 v26, 16, v1
	v_mov_b32_dpp v24, v22 row_bcast:15 row_mask:0xf bank_mask:0xf
	v_mov_b32_dpp v25, v23 row_bcast:15 row_mask:0xf bank_mask:0xf
	v_cmp_ne_u32_e64 s[0:1], 0, v26
	s_and_saveexec_b64 s[2:3], s[0:1]
; %bb.97:
	v_cmp_gt_f64_e64 s[0:1], v[22:23], v[24:25]
	v_cndmask_b32_e64 v23, v25, v23, s[0:1]
	v_cndmask_b32_e64 v22, v24, v22, s[0:1]
; %bb.98:
	s_or_b64 exec, exec, s[2:3]
	s_nop 0
	v_mov_b32_dpp v24, v22 row_bcast:31 row_mask:0xf bank_mask:0xf
	v_mov_b32_dpp v25, v23 row_bcast:31 row_mask:0xf bank_mask:0xf
	v_cmp_gt_f64_e64 s[0:1], v[22:23], v[24:25]
	v_cndmask_b32_e64 v24, v24, v22, s[0:1]
	v_cndmask_b32_e64 v25, v25, v23, s[0:1]
	v_cmp_lt_u32_e64 s[0:1], 31, v1
	v_cndmask_b32_e64 v22, v22, v24, s[0:1]
	v_or_b32_e32 v24, 63, v0
	v_cndmask_b32_e64 v23, v23, v25, s[0:1]
	v_lshrrev_b32_e32 v26, 6, v0
	v_cmp_eq_u32_e64 s[0:1], v24, v0
	s_and_saveexec_b64 s[2:3], s[0:1]
	s_cbranch_execz .LBB3028_100
; %bb.99:
	v_lshlrev_b32_e32 v24, 3, v26
	ds_write_b64 v24, v[22:23]
.LBB3028_100:
	s_or_b64 exec, exec, s[2:3]
	v_cmp_gt_u32_e64 s[0:1], 2, v0
	s_waitcnt lgkmcnt(0)
	s_barrier
	s_and_saveexec_b64 s[4:5], s[0:1]
	s_cbranch_execz .LBB3028_102
; %bb.101:
	s_movk_i32 s0, 0xffb8
	v_mad_i32_i24 v27, v0, s0, v43
	ds_read_b64 v[24:25], v27
	v_and_b32_e32 v28, 1, v1
	v_cmp_eq_u32_e64 s[0:1], 0, v28
	s_waitcnt lgkmcnt(0)
	v_mov_b32_dpp v30, v25 row_shr:1 row_mask:0xf bank_mask:0xf
	v_mov_b32_dpp v28, v24 row_shr:1 row_mask:0xf bank_mask:0xf
	v_mov_b32_e32 v29, v30
	v_cmp_gt_f64_e64 s[2:3], v[24:25], v[28:29]
	s_or_b64 s[0:1], s[0:1], s[2:3]
	v_cndmask_b32_e64 v25, v30, v25, s[0:1]
	v_cndmask_b32_e64 v24, v28, v24, s[0:1]
	ds_write_b64 v27, v[24:25]
.LBB3028_102:
	s_or_b64 exec, exec, s[4:5]
	v_cmp_lt_u32_e64 s[0:1], 63, v0
	s_waitcnt lgkmcnt(0)
	s_barrier
	s_waitcnt lgkmcnt(0)
                                        ; implicit-def: $vgpr24_vgpr25
	s_and_saveexec_b64 s[2:3], s[0:1]
	s_cbranch_execz .LBB3028_104
; %bb.103:
	v_lshl_add_u32 v24, v26, 3, -8
	ds_read_b64 v[24:25], v24
	s_waitcnt lgkmcnt(0)
	v_cmp_lt_f64_e64 s[0:1], v[24:25], v[22:23]
	v_cndmask_b32_e64 v23, v25, v23, s[0:1]
	v_cndmask_b32_e64 v22, v24, v22, s[0:1]
.LBB3028_104:
	s_or_b64 exec, exec, s[2:3]
	v_add_u32_e32 v26, -1, v1
	v_and_b32_e32 v27, 64, v1
	v_cmp_lt_i32_e64 s[0:1], v26, v27
	v_cndmask_b32_e64 v26, v26, v1, s[0:1]
	v_lshlrev_b32_e32 v26, 2, v26
	ds_bpermute_b32 v22, v26, v22
	ds_bpermute_b32 v23, v26, v23
	s_and_saveexec_b64 s[0:1], vcc
	s_cbranch_execz .LBB3028_106
; %bb.105:
	v_cmp_eq_u32_e32 vcc, 0, v1
	s_waitcnt lgkmcnt(0)
	v_cndmask_b32_e32 v23, v23, v25, vcc
	v_cndmask_b32_e32 v22, v22, v24, vcc
	v_cmp_gt_f64_e32 vcc, v[2:3], v[22:23]
	v_cndmask_b32_e32 v3, v23, v3, vcc
	v_cndmask_b32_e32 v2, v22, v2, vcc
	;;#ASMSTART
	;;#ASMEND
.LBB3028_106:
	s_or_b64 exec, exec, s[0:1]
	v_cmp_gt_f64_e32 vcc, v[4:5], v[2:3]
	v_cndmask_b32_e32 v25, v3, v5, vcc
	v_cndmask_b32_e32 v24, v2, v4, vcc
	v_cmp_lt_f64_e32 vcc, v[24:25], v[14:15]
	v_cndmask_b32_e32 v27, v25, v15, vcc
	v_cndmask_b32_e32 v26, v24, v14, vcc
	v_cmp_lt_f64_e32 vcc, v[26:27], v[16:17]
	;; [unrolled: 3-line block ×8, first 2 shown]
	s_movk_i32 s0, 0x7f
	v_cndmask_b32_e32 v41, v39, v21, vcc
	v_cndmask_b32_e32 v40, v38, v20, vcc
	v_cmp_eq_u32_e32 vcc, s0, v0
	s_and_saveexec_b64 s[0:1], vcc
	s_cbranch_execz .LBB3028_108
; %bb.107:
	s_add_u32 s2, s14, 0x400
	s_addc_u32 s3, s15, 0
	v_mov_b32_e32 v6, 2
	v_mov_b32_e32 v7, 0
	;; [unrolled: 1-line block ×4, first 2 shown]
	v_pk_mov_b32 v[8:9], s[2:3], s[2:3] op_sel:[0,1]
	;;#ASMSTART
	global_store_dwordx4 v[8:9], v[4:7] off	
s_waitcnt vmcnt(0)
	;;#ASMEND
.LBB3028_108:
	s_or_b64 exec, exec, s[0:1]
	s_waitcnt lgkmcnt(0)
	v_pk_mov_b32 v[22:23], v[2:3], v[2:3] op_sel:[0,1]
.LBB3028_109:
	s_mov_b64 s[0:1], -1
	s_and_b64 vcc, exec, s[12:13]
	s_waitcnt lgkmcnt(0)
	s_barrier
	ds_write_b128 v43, v[22:25]
	ds_write_b128 v43, v[26:29] offset:16
	ds_write_b128 v43, v[30:33] offset:32
	;; [unrolled: 1-line block ×4, first 2 shown]
	s_waitcnt lgkmcnt(0)
	s_cbranch_vccz .LBB3028_111
; %bb.110:
	s_barrier
	s_mov_b64 s[0:1], 0
.LBB3028_111:
	s_andn2_b64 vcc, exec, s[0:1]
	s_cbranch_vccnz .LBB3028_147
; %bb.112:
	v_cmp_lt_u64_e64 s[0:1], s[10:11], 2
	s_and_b64 vcc, exec, s[0:1]
	s_barrier
	s_cbranch_vccnz .LBB3028_147
; %bb.113:
	s_add_u32 s0, s16, -1
	s_addc_u32 s1, s17, -1
	s_add_u32 s2, 0, 0x99986000
	s_addc_u32 s3, 0, 0x59
	s_add_i32 s3, s3, 0x19999940
	s_mul_hi_u32 s9, s2, -10
	s_sub_i32 s9, s9, s2
	s_mul_i32 s10, s3, -10
	s_mul_i32 s4, s2, -10
	s_add_i32 s9, s9, s10
	s_mul_hi_u32 s5, s3, s4
	s_mul_i32 s8, s3, s4
	s_mul_i32 s11, s2, s9
	s_mul_hi_u32 s4, s2, s4
	s_mul_hi_u32 s10, s2, s9
	s_add_u32 s4, s4, s11
	s_addc_u32 s10, 0, s10
	s_add_u32 s4, s4, s8
	s_mul_hi_u32 s11, s3, s9
	s_addc_u32 s4, s10, s5
	s_addc_u32 s5, s11, 0
	s_mul_i32 s8, s3, s9
	s_add_u32 s4, s4, s8
	v_mov_b32_e32 v2, s4
	s_addc_u32 s5, 0, s5
	v_add_co_u32_e32 v2, vcc, s2, v2
	s_cmp_lg_u64 vcc, 0
	s_addc_u32 s2, s3, s5
	v_readfirstlane_b32 s5, v2
	s_mul_i32 s4, s0, s2
	s_mul_hi_u32 s8, s0, s5
	s_mul_hi_u32 s3, s0, s2
	s_add_u32 s4, s8, s4
	s_addc_u32 s3, 0, s3
	s_mul_hi_u32 s9, s1, s5
	s_mul_i32 s5, s1, s5
	s_add_u32 s4, s4, s5
	s_mul_hi_u32 s8, s1, s2
	s_addc_u32 s3, s3, s9
	s_addc_u32 s4, s8, 0
	s_mul_i32 s2, s1, s2
	s_add_u32 s2, s3, s2
	s_addc_u32 s3, 0, s4
	s_add_u32 s4, s2, 1
	s_addc_u32 s5, s3, 0
	s_add_u32 s8, s2, 2
	s_mul_i32 s10, s3, 10
	s_mul_hi_u32 s11, s2, 10
	s_addc_u32 s9, s3, 0
	s_add_i32 s11, s11, s10
	s_mul_i32 s10, s2, 10
	v_mov_b32_e32 v2, s10
	v_sub_co_u32_e32 v2, vcc, s0, v2
	s_cmp_lg_u64 vcc, 0
	s_subb_u32 s10, s1, s11
	v_subrev_co_u32_e32 v3, vcc, 10, v2
	s_cmp_lg_u64 vcc, 0
	s_subb_u32 s11, s10, 0
	v_readfirstlane_b32 s12, v3
	s_cmp_gt_u32 s12, 9
	s_cselect_b32 s12, -1, 0
	s_cmp_eq_u32 s11, 0
	s_cselect_b32 s11, s12, -1
	s_cmp_lg_u32 s11, 0
	s_cselect_b32 s4, s8, s4
	v_readfirstlane_b32 s8, v2
	s_cselect_b32 s5, s9, s5
	s_cmp_gt_u32 s8, 9
	s_cselect_b32 s8, -1, 0
	s_cmp_eq_u32 s10, 0
	s_cselect_b32 s8, s8, -1
	s_cmp_lg_u32 s8, 0
	v_mov_b32_e32 v1, 0
	s_cselect_b32 s3, s5, s3
	s_cselect_b32 s2, s4, s2
	v_cmp_eq_u64_e32 vcc, s[2:3], v[0:1]
	s_and_saveexec_b64 s[2:3], vcc
	s_cbranch_execz .LBB3028_147
; %bb.114:
	s_movk_i32 s2, 0xffb8
	v_mad_i32_i24 v2, v0, s2, v43
	v_mul_hi_u32_u24_e32 v1, 10, v0
	v_mov_b32_e32 v3, s1
	v_sub_co_u32_e32 v0, vcc, s0, v42
	v_subb_co_u32_e32 v1, vcc, v3, v1, vcc
	v_cmp_lt_i64_e32 vcc, 4, v[0:1]
	s_and_saveexec_b64 s[0:1], vcc
	s_xor_b64 s[0:1], exec, s[0:1]
	s_cbranch_execz .LBB3028_132
; %bb.115:
	v_cmp_lt_i64_e32 vcc, 6, v[0:1]
	s_and_saveexec_b64 s[2:3], vcc
	s_xor_b64 s[2:3], exec, s[2:3]
	s_cbranch_execz .LBB3028_125
; %bb.116:
	;; [unrolled: 5-line block ×4, first 2 shown]
	ds_read_b64 v[0:1], v2 offset:9216
	v_mov_b32_e32 v2, 0
	s_waitcnt lgkmcnt(0)
	global_store_dwordx2 v2, v[0:1], s[6:7]
                                        ; implicit-def: $vgpr2
.LBB3028_119:
	s_andn2_saveexec_b64 s[8:9], s[8:9]
	s_cbranch_execz .LBB3028_121
; %bb.120:
	ds_read_b64 v[0:1], v2 offset:8192
	v_mov_b32_e32 v2, 0
	s_waitcnt lgkmcnt(0)
	global_store_dwordx2 v2, v[0:1], s[6:7]
.LBB3028_121:
	s_or_b64 exec, exec, s[8:9]
                                        ; implicit-def: $vgpr2
.LBB3028_122:
	s_andn2_saveexec_b64 s[4:5], s[4:5]
	s_cbranch_execz .LBB3028_124
; %bb.123:
	ds_read_b64 v[0:1], v2 offset:7168
	v_mov_b32_e32 v2, 0
	s_waitcnt lgkmcnt(0)
	global_store_dwordx2 v2, v[0:1], s[6:7]
.LBB3028_124:
	s_or_b64 exec, exec, s[4:5]
                                        ; implicit-def: $vgpr2
                                        ; implicit-def: $vgpr0_vgpr1
.LBB3028_125:
	s_andn2_saveexec_b64 s[2:3], s[2:3]
	s_cbranch_execz .LBB3028_131
; %bb.126:
	v_cmp_lt_i64_e32 vcc, 5, v[0:1]
	s_and_saveexec_b64 s[4:5], vcc
	s_xor_b64 s[4:5], exec, s[4:5]
	s_cbranch_execz .LBB3028_128
; %bb.127:
	ds_read_b64 v[0:1], v2 offset:6144
	v_mov_b32_e32 v2, 0
	s_waitcnt lgkmcnt(0)
	global_store_dwordx2 v2, v[0:1], s[6:7]
                                        ; implicit-def: $vgpr2
.LBB3028_128:
	s_andn2_saveexec_b64 s[4:5], s[4:5]
	s_cbranch_execz .LBB3028_130
; %bb.129:
	ds_read_b64 v[0:1], v2 offset:5120
	v_mov_b32_e32 v2, 0
	s_waitcnt lgkmcnt(0)
	global_store_dwordx2 v2, v[0:1], s[6:7]
.LBB3028_130:
	s_or_b64 exec, exec, s[4:5]
.LBB3028_131:
	s_or_b64 exec, exec, s[2:3]
                                        ; implicit-def: $vgpr0_vgpr1
                                        ; implicit-def: $vgpr2
.LBB3028_132:
	s_andn2_saveexec_b64 s[0:1], s[0:1]
	s_cbranch_execz .LBB3028_147
; %bb.133:
	v_cmp_lt_i64_e32 vcc, 2, v[0:1]
	s_and_saveexec_b64 s[0:1], vcc
	s_xor_b64 s[0:1], exec, s[0:1]
	s_cbranch_execz .LBB3028_139
; %bb.134:
	v_cmp_lt_i64_e32 vcc, 3, v[0:1]
	s_and_saveexec_b64 s[2:3], vcc
	s_xor_b64 s[2:3], exec, s[2:3]
	s_cbranch_execz .LBB3028_136
; %bb.135:
	ds_read_b64 v[0:1], v2 offset:4096
	v_mov_b32_e32 v2, 0
	s_waitcnt lgkmcnt(0)
	global_store_dwordx2 v2, v[0:1], s[6:7]
                                        ; implicit-def: $vgpr2
.LBB3028_136:
	s_andn2_saveexec_b64 s[2:3], s[2:3]
	s_cbranch_execz .LBB3028_138
; %bb.137:
	ds_read_b64 v[0:1], v2 offset:3072
	v_mov_b32_e32 v2, 0
	s_waitcnt lgkmcnt(0)
	global_store_dwordx2 v2, v[0:1], s[6:7]
.LBB3028_138:
	s_or_b64 exec, exec, s[2:3]
                                        ; implicit-def: $vgpr0_vgpr1
                                        ; implicit-def: $vgpr2
.LBB3028_139:
	s_andn2_saveexec_b64 s[0:1], s[0:1]
	s_cbranch_execz .LBB3028_147
; %bb.140:
	v_cmp_lt_i64_e32 vcc, 1, v[0:1]
	s_and_saveexec_b64 s[0:1], vcc
	s_xor_b64 s[0:1], exec, s[0:1]
	s_cbranch_execz .LBB3028_142
; %bb.141:
	ds_read_b64 v[0:1], v2 offset:2048
	v_mov_b32_e32 v2, 0
	s_waitcnt lgkmcnt(0)
	global_store_dwordx2 v2, v[0:1], s[6:7]
                                        ; implicit-def: $vgpr2
                                        ; implicit-def: $vgpr0_vgpr1
.LBB3028_142:
	s_andn2_saveexec_b64 s[0:1], s[0:1]
	s_cbranch_execz .LBB3028_147
; %bb.143:
	v_cmp_ne_u64_e32 vcc, 1, v[0:1]
	s_and_saveexec_b64 s[0:1], vcc
	s_xor_b64 s[0:1], exec, s[0:1]
	s_cbranch_execz .LBB3028_145
; %bb.144:
	ds_read_b64 v[0:1], v2
	v_mov_b32_e32 v2, 0
	s_waitcnt lgkmcnt(0)
	global_store_dwordx2 v2, v[0:1], s[6:7]
                                        ; implicit-def: $vgpr2
.LBB3028_145:
	s_andn2_saveexec_b64 s[0:1], s[0:1]
	s_cbranch_execz .LBB3028_147
; %bb.146:
	ds_read_b64 v[0:1], v2 offset:1024
	v_mov_b32_e32 v2, 0
	s_waitcnt lgkmcnt(0)
	global_store_dwordx2 v2, v[0:1], s[6:7]
.LBB3028_147:
	s_endpgm
	.section	.rodata,"a",@progbits
	.p2align	6, 0x0
	.amdhsa_kernel _ZN7rocprim17ROCPRIM_400000_NS6detail17trampoline_kernelINS0_14default_configENS1_20scan_config_selectorIdEEZZNS1_9scan_implILNS1_25lookback_scan_determinismE0ELb0ELb0ES3_N6thrust23THRUST_200600_302600_NS6detail15normal_iteratorINS9_10device_ptrIdEEEENS9_16discard_iteratorINS9_11use_defaultEEEd11max_functorIdEdEEDaPvRmT3_T4_T5_mT6_P12ihipStream_tbENKUlT_T0_E_clISt17integral_constantIbLb1EESW_IbLb0EEEEDaSS_ST_EUlSS_E_NS1_11comp_targetILNS1_3genE4ELNS1_11target_archE910ELNS1_3gpuE8ELNS1_3repE0EEENS1_30default_config_static_selectorELNS0_4arch9wavefront6targetE1EEEvT1_
		.amdhsa_group_segment_fixed_size 10240
		.amdhsa_private_segment_fixed_size 0
		.amdhsa_kernarg_size 112
		.amdhsa_user_sgpr_count 6
		.amdhsa_user_sgpr_private_segment_buffer 1
		.amdhsa_user_sgpr_dispatch_ptr 0
		.amdhsa_user_sgpr_queue_ptr 0
		.amdhsa_user_sgpr_kernarg_segment_ptr 1
		.amdhsa_user_sgpr_dispatch_id 0
		.amdhsa_user_sgpr_flat_scratch_init 0
		.amdhsa_user_sgpr_kernarg_preload_length 0
		.amdhsa_user_sgpr_kernarg_preload_offset 0
		.amdhsa_user_sgpr_private_segment_size 0
		.amdhsa_uses_dynamic_stack 0
		.amdhsa_system_sgpr_private_segment_wavefront_offset 0
		.amdhsa_system_sgpr_workgroup_id_x 1
		.amdhsa_system_sgpr_workgroup_id_y 0
		.amdhsa_system_sgpr_workgroup_id_z 0
		.amdhsa_system_sgpr_workgroup_info 0
		.amdhsa_system_vgpr_workitem_id 0
		.amdhsa_next_free_vgpr 58
		.amdhsa_next_free_sgpr 20
		.amdhsa_accum_offset 60
		.amdhsa_reserve_vcc 1
		.amdhsa_reserve_flat_scratch 0
		.amdhsa_float_round_mode_32 0
		.amdhsa_float_round_mode_16_64 0
		.amdhsa_float_denorm_mode_32 3
		.amdhsa_float_denorm_mode_16_64 3
		.amdhsa_dx10_clamp 1
		.amdhsa_ieee_mode 1
		.amdhsa_fp16_overflow 0
		.amdhsa_tg_split 0
		.amdhsa_exception_fp_ieee_invalid_op 0
		.amdhsa_exception_fp_denorm_src 0
		.amdhsa_exception_fp_ieee_div_zero 0
		.amdhsa_exception_fp_ieee_overflow 0
		.amdhsa_exception_fp_ieee_underflow 0
		.amdhsa_exception_fp_ieee_inexact 0
		.amdhsa_exception_int_div_zero 0
	.end_amdhsa_kernel
	.section	.text._ZN7rocprim17ROCPRIM_400000_NS6detail17trampoline_kernelINS0_14default_configENS1_20scan_config_selectorIdEEZZNS1_9scan_implILNS1_25lookback_scan_determinismE0ELb0ELb0ES3_N6thrust23THRUST_200600_302600_NS6detail15normal_iteratorINS9_10device_ptrIdEEEENS9_16discard_iteratorINS9_11use_defaultEEEd11max_functorIdEdEEDaPvRmT3_T4_T5_mT6_P12ihipStream_tbENKUlT_T0_E_clISt17integral_constantIbLb1EESW_IbLb0EEEEDaSS_ST_EUlSS_E_NS1_11comp_targetILNS1_3genE4ELNS1_11target_archE910ELNS1_3gpuE8ELNS1_3repE0EEENS1_30default_config_static_selectorELNS0_4arch9wavefront6targetE1EEEvT1_,"axG",@progbits,_ZN7rocprim17ROCPRIM_400000_NS6detail17trampoline_kernelINS0_14default_configENS1_20scan_config_selectorIdEEZZNS1_9scan_implILNS1_25lookback_scan_determinismE0ELb0ELb0ES3_N6thrust23THRUST_200600_302600_NS6detail15normal_iteratorINS9_10device_ptrIdEEEENS9_16discard_iteratorINS9_11use_defaultEEEd11max_functorIdEdEEDaPvRmT3_T4_T5_mT6_P12ihipStream_tbENKUlT_T0_E_clISt17integral_constantIbLb1EESW_IbLb0EEEEDaSS_ST_EUlSS_E_NS1_11comp_targetILNS1_3genE4ELNS1_11target_archE910ELNS1_3gpuE8ELNS1_3repE0EEENS1_30default_config_static_selectorELNS0_4arch9wavefront6targetE1EEEvT1_,comdat
.Lfunc_end3028:
	.size	_ZN7rocprim17ROCPRIM_400000_NS6detail17trampoline_kernelINS0_14default_configENS1_20scan_config_selectorIdEEZZNS1_9scan_implILNS1_25lookback_scan_determinismE0ELb0ELb0ES3_N6thrust23THRUST_200600_302600_NS6detail15normal_iteratorINS9_10device_ptrIdEEEENS9_16discard_iteratorINS9_11use_defaultEEEd11max_functorIdEdEEDaPvRmT3_T4_T5_mT6_P12ihipStream_tbENKUlT_T0_E_clISt17integral_constantIbLb1EESW_IbLb0EEEEDaSS_ST_EUlSS_E_NS1_11comp_targetILNS1_3genE4ELNS1_11target_archE910ELNS1_3gpuE8ELNS1_3repE0EEENS1_30default_config_static_selectorELNS0_4arch9wavefront6targetE1EEEvT1_, .Lfunc_end3028-_ZN7rocprim17ROCPRIM_400000_NS6detail17trampoline_kernelINS0_14default_configENS1_20scan_config_selectorIdEEZZNS1_9scan_implILNS1_25lookback_scan_determinismE0ELb0ELb0ES3_N6thrust23THRUST_200600_302600_NS6detail15normal_iteratorINS9_10device_ptrIdEEEENS9_16discard_iteratorINS9_11use_defaultEEEd11max_functorIdEdEEDaPvRmT3_T4_T5_mT6_P12ihipStream_tbENKUlT_T0_E_clISt17integral_constantIbLb1EESW_IbLb0EEEEDaSS_ST_EUlSS_E_NS1_11comp_targetILNS1_3genE4ELNS1_11target_archE910ELNS1_3gpuE8ELNS1_3repE0EEENS1_30default_config_static_selectorELNS0_4arch9wavefront6targetE1EEEvT1_
                                        ; -- End function
	.section	.AMDGPU.csdata,"",@progbits
; Kernel info:
; codeLenInByte = 5876
; NumSgprs: 24
; NumVgprs: 58
; NumAgprs: 0
; TotalNumVgprs: 58
; ScratchSize: 0
; MemoryBound: 0
; FloatMode: 240
; IeeeMode: 1
; LDSByteSize: 10240 bytes/workgroup (compile time only)
; SGPRBlocks: 2
; VGPRBlocks: 7
; NumSGPRsForWavesPerEU: 24
; NumVGPRsForWavesPerEU: 58
; AccumOffset: 60
; Occupancy: 3
; WaveLimiterHint : 1
; COMPUTE_PGM_RSRC2:SCRATCH_EN: 0
; COMPUTE_PGM_RSRC2:USER_SGPR: 6
; COMPUTE_PGM_RSRC2:TRAP_HANDLER: 0
; COMPUTE_PGM_RSRC2:TGID_X_EN: 1
; COMPUTE_PGM_RSRC2:TGID_Y_EN: 0
; COMPUTE_PGM_RSRC2:TGID_Z_EN: 0
; COMPUTE_PGM_RSRC2:TIDIG_COMP_CNT: 0
; COMPUTE_PGM_RSRC3_GFX90A:ACCUM_OFFSET: 14
; COMPUTE_PGM_RSRC3_GFX90A:TG_SPLIT: 0
	.section	.text._ZN7rocprim17ROCPRIM_400000_NS6detail17trampoline_kernelINS0_14default_configENS1_20scan_config_selectorIdEEZZNS1_9scan_implILNS1_25lookback_scan_determinismE0ELb0ELb0ES3_N6thrust23THRUST_200600_302600_NS6detail15normal_iteratorINS9_10device_ptrIdEEEENS9_16discard_iteratorINS9_11use_defaultEEEd11max_functorIdEdEEDaPvRmT3_T4_T5_mT6_P12ihipStream_tbENKUlT_T0_E_clISt17integral_constantIbLb1EESW_IbLb0EEEEDaSS_ST_EUlSS_E_NS1_11comp_targetILNS1_3genE3ELNS1_11target_archE908ELNS1_3gpuE7ELNS1_3repE0EEENS1_30default_config_static_selectorELNS0_4arch9wavefront6targetE1EEEvT1_,"axG",@progbits,_ZN7rocprim17ROCPRIM_400000_NS6detail17trampoline_kernelINS0_14default_configENS1_20scan_config_selectorIdEEZZNS1_9scan_implILNS1_25lookback_scan_determinismE0ELb0ELb0ES3_N6thrust23THRUST_200600_302600_NS6detail15normal_iteratorINS9_10device_ptrIdEEEENS9_16discard_iteratorINS9_11use_defaultEEEd11max_functorIdEdEEDaPvRmT3_T4_T5_mT6_P12ihipStream_tbENKUlT_T0_E_clISt17integral_constantIbLb1EESW_IbLb0EEEEDaSS_ST_EUlSS_E_NS1_11comp_targetILNS1_3genE3ELNS1_11target_archE908ELNS1_3gpuE7ELNS1_3repE0EEENS1_30default_config_static_selectorELNS0_4arch9wavefront6targetE1EEEvT1_,comdat
	.protected	_ZN7rocprim17ROCPRIM_400000_NS6detail17trampoline_kernelINS0_14default_configENS1_20scan_config_selectorIdEEZZNS1_9scan_implILNS1_25lookback_scan_determinismE0ELb0ELb0ES3_N6thrust23THRUST_200600_302600_NS6detail15normal_iteratorINS9_10device_ptrIdEEEENS9_16discard_iteratorINS9_11use_defaultEEEd11max_functorIdEdEEDaPvRmT3_T4_T5_mT6_P12ihipStream_tbENKUlT_T0_E_clISt17integral_constantIbLb1EESW_IbLb0EEEEDaSS_ST_EUlSS_E_NS1_11comp_targetILNS1_3genE3ELNS1_11target_archE908ELNS1_3gpuE7ELNS1_3repE0EEENS1_30default_config_static_selectorELNS0_4arch9wavefront6targetE1EEEvT1_ ; -- Begin function _ZN7rocprim17ROCPRIM_400000_NS6detail17trampoline_kernelINS0_14default_configENS1_20scan_config_selectorIdEEZZNS1_9scan_implILNS1_25lookback_scan_determinismE0ELb0ELb0ES3_N6thrust23THRUST_200600_302600_NS6detail15normal_iteratorINS9_10device_ptrIdEEEENS9_16discard_iteratorINS9_11use_defaultEEEd11max_functorIdEdEEDaPvRmT3_T4_T5_mT6_P12ihipStream_tbENKUlT_T0_E_clISt17integral_constantIbLb1EESW_IbLb0EEEEDaSS_ST_EUlSS_E_NS1_11comp_targetILNS1_3genE3ELNS1_11target_archE908ELNS1_3gpuE7ELNS1_3repE0EEENS1_30default_config_static_selectorELNS0_4arch9wavefront6targetE1EEEvT1_
	.globl	_ZN7rocprim17ROCPRIM_400000_NS6detail17trampoline_kernelINS0_14default_configENS1_20scan_config_selectorIdEEZZNS1_9scan_implILNS1_25lookback_scan_determinismE0ELb0ELb0ES3_N6thrust23THRUST_200600_302600_NS6detail15normal_iteratorINS9_10device_ptrIdEEEENS9_16discard_iteratorINS9_11use_defaultEEEd11max_functorIdEdEEDaPvRmT3_T4_T5_mT6_P12ihipStream_tbENKUlT_T0_E_clISt17integral_constantIbLb1EESW_IbLb0EEEEDaSS_ST_EUlSS_E_NS1_11comp_targetILNS1_3genE3ELNS1_11target_archE908ELNS1_3gpuE7ELNS1_3repE0EEENS1_30default_config_static_selectorELNS0_4arch9wavefront6targetE1EEEvT1_
	.p2align	8
	.type	_ZN7rocprim17ROCPRIM_400000_NS6detail17trampoline_kernelINS0_14default_configENS1_20scan_config_selectorIdEEZZNS1_9scan_implILNS1_25lookback_scan_determinismE0ELb0ELb0ES3_N6thrust23THRUST_200600_302600_NS6detail15normal_iteratorINS9_10device_ptrIdEEEENS9_16discard_iteratorINS9_11use_defaultEEEd11max_functorIdEdEEDaPvRmT3_T4_T5_mT6_P12ihipStream_tbENKUlT_T0_E_clISt17integral_constantIbLb1EESW_IbLb0EEEEDaSS_ST_EUlSS_E_NS1_11comp_targetILNS1_3genE3ELNS1_11target_archE908ELNS1_3gpuE7ELNS1_3repE0EEENS1_30default_config_static_selectorELNS0_4arch9wavefront6targetE1EEEvT1_,@function
_ZN7rocprim17ROCPRIM_400000_NS6detail17trampoline_kernelINS0_14default_configENS1_20scan_config_selectorIdEEZZNS1_9scan_implILNS1_25lookback_scan_determinismE0ELb0ELb0ES3_N6thrust23THRUST_200600_302600_NS6detail15normal_iteratorINS9_10device_ptrIdEEEENS9_16discard_iteratorINS9_11use_defaultEEEd11max_functorIdEdEEDaPvRmT3_T4_T5_mT6_P12ihipStream_tbENKUlT_T0_E_clISt17integral_constantIbLb1EESW_IbLb0EEEEDaSS_ST_EUlSS_E_NS1_11comp_targetILNS1_3genE3ELNS1_11target_archE908ELNS1_3gpuE7ELNS1_3repE0EEENS1_30default_config_static_selectorELNS0_4arch9wavefront6targetE1EEEvT1_: ; @_ZN7rocprim17ROCPRIM_400000_NS6detail17trampoline_kernelINS0_14default_configENS1_20scan_config_selectorIdEEZZNS1_9scan_implILNS1_25lookback_scan_determinismE0ELb0ELb0ES3_N6thrust23THRUST_200600_302600_NS6detail15normal_iteratorINS9_10device_ptrIdEEEENS9_16discard_iteratorINS9_11use_defaultEEEd11max_functorIdEdEEDaPvRmT3_T4_T5_mT6_P12ihipStream_tbENKUlT_T0_E_clISt17integral_constantIbLb1EESW_IbLb0EEEEDaSS_ST_EUlSS_E_NS1_11comp_targetILNS1_3genE3ELNS1_11target_archE908ELNS1_3gpuE7ELNS1_3repE0EEENS1_30default_config_static_selectorELNS0_4arch9wavefront6targetE1EEEvT1_
; %bb.0:
	.section	.rodata,"a",@progbits
	.p2align	6, 0x0
	.amdhsa_kernel _ZN7rocprim17ROCPRIM_400000_NS6detail17trampoline_kernelINS0_14default_configENS1_20scan_config_selectorIdEEZZNS1_9scan_implILNS1_25lookback_scan_determinismE0ELb0ELb0ES3_N6thrust23THRUST_200600_302600_NS6detail15normal_iteratorINS9_10device_ptrIdEEEENS9_16discard_iteratorINS9_11use_defaultEEEd11max_functorIdEdEEDaPvRmT3_T4_T5_mT6_P12ihipStream_tbENKUlT_T0_E_clISt17integral_constantIbLb1EESW_IbLb0EEEEDaSS_ST_EUlSS_E_NS1_11comp_targetILNS1_3genE3ELNS1_11target_archE908ELNS1_3gpuE7ELNS1_3repE0EEENS1_30default_config_static_selectorELNS0_4arch9wavefront6targetE1EEEvT1_
		.amdhsa_group_segment_fixed_size 0
		.amdhsa_private_segment_fixed_size 0
		.amdhsa_kernarg_size 112
		.amdhsa_user_sgpr_count 6
		.amdhsa_user_sgpr_private_segment_buffer 1
		.amdhsa_user_sgpr_dispatch_ptr 0
		.amdhsa_user_sgpr_queue_ptr 0
		.amdhsa_user_sgpr_kernarg_segment_ptr 1
		.amdhsa_user_sgpr_dispatch_id 0
		.amdhsa_user_sgpr_flat_scratch_init 0
		.amdhsa_user_sgpr_kernarg_preload_length 0
		.amdhsa_user_sgpr_kernarg_preload_offset 0
		.amdhsa_user_sgpr_private_segment_size 0
		.amdhsa_uses_dynamic_stack 0
		.amdhsa_system_sgpr_private_segment_wavefront_offset 0
		.amdhsa_system_sgpr_workgroup_id_x 1
		.amdhsa_system_sgpr_workgroup_id_y 0
		.amdhsa_system_sgpr_workgroup_id_z 0
		.amdhsa_system_sgpr_workgroup_info 0
		.amdhsa_system_vgpr_workitem_id 0
		.amdhsa_next_free_vgpr 1
		.amdhsa_next_free_sgpr 0
		.amdhsa_accum_offset 4
		.amdhsa_reserve_vcc 0
		.amdhsa_reserve_flat_scratch 0
		.amdhsa_float_round_mode_32 0
		.amdhsa_float_round_mode_16_64 0
		.amdhsa_float_denorm_mode_32 3
		.amdhsa_float_denorm_mode_16_64 3
		.amdhsa_dx10_clamp 1
		.amdhsa_ieee_mode 1
		.amdhsa_fp16_overflow 0
		.amdhsa_tg_split 0
		.amdhsa_exception_fp_ieee_invalid_op 0
		.amdhsa_exception_fp_denorm_src 0
		.amdhsa_exception_fp_ieee_div_zero 0
		.amdhsa_exception_fp_ieee_overflow 0
		.amdhsa_exception_fp_ieee_underflow 0
		.amdhsa_exception_fp_ieee_inexact 0
		.amdhsa_exception_int_div_zero 0
	.end_amdhsa_kernel
	.section	.text._ZN7rocprim17ROCPRIM_400000_NS6detail17trampoline_kernelINS0_14default_configENS1_20scan_config_selectorIdEEZZNS1_9scan_implILNS1_25lookback_scan_determinismE0ELb0ELb0ES3_N6thrust23THRUST_200600_302600_NS6detail15normal_iteratorINS9_10device_ptrIdEEEENS9_16discard_iteratorINS9_11use_defaultEEEd11max_functorIdEdEEDaPvRmT3_T4_T5_mT6_P12ihipStream_tbENKUlT_T0_E_clISt17integral_constantIbLb1EESW_IbLb0EEEEDaSS_ST_EUlSS_E_NS1_11comp_targetILNS1_3genE3ELNS1_11target_archE908ELNS1_3gpuE7ELNS1_3repE0EEENS1_30default_config_static_selectorELNS0_4arch9wavefront6targetE1EEEvT1_,"axG",@progbits,_ZN7rocprim17ROCPRIM_400000_NS6detail17trampoline_kernelINS0_14default_configENS1_20scan_config_selectorIdEEZZNS1_9scan_implILNS1_25lookback_scan_determinismE0ELb0ELb0ES3_N6thrust23THRUST_200600_302600_NS6detail15normal_iteratorINS9_10device_ptrIdEEEENS9_16discard_iteratorINS9_11use_defaultEEEd11max_functorIdEdEEDaPvRmT3_T4_T5_mT6_P12ihipStream_tbENKUlT_T0_E_clISt17integral_constantIbLb1EESW_IbLb0EEEEDaSS_ST_EUlSS_E_NS1_11comp_targetILNS1_3genE3ELNS1_11target_archE908ELNS1_3gpuE7ELNS1_3repE0EEENS1_30default_config_static_selectorELNS0_4arch9wavefront6targetE1EEEvT1_,comdat
.Lfunc_end3029:
	.size	_ZN7rocprim17ROCPRIM_400000_NS6detail17trampoline_kernelINS0_14default_configENS1_20scan_config_selectorIdEEZZNS1_9scan_implILNS1_25lookback_scan_determinismE0ELb0ELb0ES3_N6thrust23THRUST_200600_302600_NS6detail15normal_iteratorINS9_10device_ptrIdEEEENS9_16discard_iteratorINS9_11use_defaultEEEd11max_functorIdEdEEDaPvRmT3_T4_T5_mT6_P12ihipStream_tbENKUlT_T0_E_clISt17integral_constantIbLb1EESW_IbLb0EEEEDaSS_ST_EUlSS_E_NS1_11comp_targetILNS1_3genE3ELNS1_11target_archE908ELNS1_3gpuE7ELNS1_3repE0EEENS1_30default_config_static_selectorELNS0_4arch9wavefront6targetE1EEEvT1_, .Lfunc_end3029-_ZN7rocprim17ROCPRIM_400000_NS6detail17trampoline_kernelINS0_14default_configENS1_20scan_config_selectorIdEEZZNS1_9scan_implILNS1_25lookback_scan_determinismE0ELb0ELb0ES3_N6thrust23THRUST_200600_302600_NS6detail15normal_iteratorINS9_10device_ptrIdEEEENS9_16discard_iteratorINS9_11use_defaultEEEd11max_functorIdEdEEDaPvRmT3_T4_T5_mT6_P12ihipStream_tbENKUlT_T0_E_clISt17integral_constantIbLb1EESW_IbLb0EEEEDaSS_ST_EUlSS_E_NS1_11comp_targetILNS1_3genE3ELNS1_11target_archE908ELNS1_3gpuE7ELNS1_3repE0EEENS1_30default_config_static_selectorELNS0_4arch9wavefront6targetE1EEEvT1_
                                        ; -- End function
	.section	.AMDGPU.csdata,"",@progbits
; Kernel info:
; codeLenInByte = 0
; NumSgprs: 4
; NumVgprs: 0
; NumAgprs: 0
; TotalNumVgprs: 0
; ScratchSize: 0
; MemoryBound: 0
; FloatMode: 240
; IeeeMode: 1
; LDSByteSize: 0 bytes/workgroup (compile time only)
; SGPRBlocks: 0
; VGPRBlocks: 0
; NumSGPRsForWavesPerEU: 4
; NumVGPRsForWavesPerEU: 1
; AccumOffset: 4
; Occupancy: 8
; WaveLimiterHint : 0
; COMPUTE_PGM_RSRC2:SCRATCH_EN: 0
; COMPUTE_PGM_RSRC2:USER_SGPR: 6
; COMPUTE_PGM_RSRC2:TRAP_HANDLER: 0
; COMPUTE_PGM_RSRC2:TGID_X_EN: 1
; COMPUTE_PGM_RSRC2:TGID_Y_EN: 0
; COMPUTE_PGM_RSRC2:TGID_Z_EN: 0
; COMPUTE_PGM_RSRC2:TIDIG_COMP_CNT: 0
; COMPUTE_PGM_RSRC3_GFX90A:ACCUM_OFFSET: 0
; COMPUTE_PGM_RSRC3_GFX90A:TG_SPLIT: 0
	.section	.text._ZN7rocprim17ROCPRIM_400000_NS6detail17trampoline_kernelINS0_14default_configENS1_20scan_config_selectorIdEEZZNS1_9scan_implILNS1_25lookback_scan_determinismE0ELb0ELb0ES3_N6thrust23THRUST_200600_302600_NS6detail15normal_iteratorINS9_10device_ptrIdEEEENS9_16discard_iteratorINS9_11use_defaultEEEd11max_functorIdEdEEDaPvRmT3_T4_T5_mT6_P12ihipStream_tbENKUlT_T0_E_clISt17integral_constantIbLb1EESW_IbLb0EEEEDaSS_ST_EUlSS_E_NS1_11comp_targetILNS1_3genE2ELNS1_11target_archE906ELNS1_3gpuE6ELNS1_3repE0EEENS1_30default_config_static_selectorELNS0_4arch9wavefront6targetE1EEEvT1_,"axG",@progbits,_ZN7rocprim17ROCPRIM_400000_NS6detail17trampoline_kernelINS0_14default_configENS1_20scan_config_selectorIdEEZZNS1_9scan_implILNS1_25lookback_scan_determinismE0ELb0ELb0ES3_N6thrust23THRUST_200600_302600_NS6detail15normal_iteratorINS9_10device_ptrIdEEEENS9_16discard_iteratorINS9_11use_defaultEEEd11max_functorIdEdEEDaPvRmT3_T4_T5_mT6_P12ihipStream_tbENKUlT_T0_E_clISt17integral_constantIbLb1EESW_IbLb0EEEEDaSS_ST_EUlSS_E_NS1_11comp_targetILNS1_3genE2ELNS1_11target_archE906ELNS1_3gpuE6ELNS1_3repE0EEENS1_30default_config_static_selectorELNS0_4arch9wavefront6targetE1EEEvT1_,comdat
	.protected	_ZN7rocprim17ROCPRIM_400000_NS6detail17trampoline_kernelINS0_14default_configENS1_20scan_config_selectorIdEEZZNS1_9scan_implILNS1_25lookback_scan_determinismE0ELb0ELb0ES3_N6thrust23THRUST_200600_302600_NS6detail15normal_iteratorINS9_10device_ptrIdEEEENS9_16discard_iteratorINS9_11use_defaultEEEd11max_functorIdEdEEDaPvRmT3_T4_T5_mT6_P12ihipStream_tbENKUlT_T0_E_clISt17integral_constantIbLb1EESW_IbLb0EEEEDaSS_ST_EUlSS_E_NS1_11comp_targetILNS1_3genE2ELNS1_11target_archE906ELNS1_3gpuE6ELNS1_3repE0EEENS1_30default_config_static_selectorELNS0_4arch9wavefront6targetE1EEEvT1_ ; -- Begin function _ZN7rocprim17ROCPRIM_400000_NS6detail17trampoline_kernelINS0_14default_configENS1_20scan_config_selectorIdEEZZNS1_9scan_implILNS1_25lookback_scan_determinismE0ELb0ELb0ES3_N6thrust23THRUST_200600_302600_NS6detail15normal_iteratorINS9_10device_ptrIdEEEENS9_16discard_iteratorINS9_11use_defaultEEEd11max_functorIdEdEEDaPvRmT3_T4_T5_mT6_P12ihipStream_tbENKUlT_T0_E_clISt17integral_constantIbLb1EESW_IbLb0EEEEDaSS_ST_EUlSS_E_NS1_11comp_targetILNS1_3genE2ELNS1_11target_archE906ELNS1_3gpuE6ELNS1_3repE0EEENS1_30default_config_static_selectorELNS0_4arch9wavefront6targetE1EEEvT1_
	.globl	_ZN7rocprim17ROCPRIM_400000_NS6detail17trampoline_kernelINS0_14default_configENS1_20scan_config_selectorIdEEZZNS1_9scan_implILNS1_25lookback_scan_determinismE0ELb0ELb0ES3_N6thrust23THRUST_200600_302600_NS6detail15normal_iteratorINS9_10device_ptrIdEEEENS9_16discard_iteratorINS9_11use_defaultEEEd11max_functorIdEdEEDaPvRmT3_T4_T5_mT6_P12ihipStream_tbENKUlT_T0_E_clISt17integral_constantIbLb1EESW_IbLb0EEEEDaSS_ST_EUlSS_E_NS1_11comp_targetILNS1_3genE2ELNS1_11target_archE906ELNS1_3gpuE6ELNS1_3repE0EEENS1_30default_config_static_selectorELNS0_4arch9wavefront6targetE1EEEvT1_
	.p2align	8
	.type	_ZN7rocprim17ROCPRIM_400000_NS6detail17trampoline_kernelINS0_14default_configENS1_20scan_config_selectorIdEEZZNS1_9scan_implILNS1_25lookback_scan_determinismE0ELb0ELb0ES3_N6thrust23THRUST_200600_302600_NS6detail15normal_iteratorINS9_10device_ptrIdEEEENS9_16discard_iteratorINS9_11use_defaultEEEd11max_functorIdEdEEDaPvRmT3_T4_T5_mT6_P12ihipStream_tbENKUlT_T0_E_clISt17integral_constantIbLb1EESW_IbLb0EEEEDaSS_ST_EUlSS_E_NS1_11comp_targetILNS1_3genE2ELNS1_11target_archE906ELNS1_3gpuE6ELNS1_3repE0EEENS1_30default_config_static_selectorELNS0_4arch9wavefront6targetE1EEEvT1_,@function
_ZN7rocprim17ROCPRIM_400000_NS6detail17trampoline_kernelINS0_14default_configENS1_20scan_config_selectorIdEEZZNS1_9scan_implILNS1_25lookback_scan_determinismE0ELb0ELb0ES3_N6thrust23THRUST_200600_302600_NS6detail15normal_iteratorINS9_10device_ptrIdEEEENS9_16discard_iteratorINS9_11use_defaultEEEd11max_functorIdEdEEDaPvRmT3_T4_T5_mT6_P12ihipStream_tbENKUlT_T0_E_clISt17integral_constantIbLb1EESW_IbLb0EEEEDaSS_ST_EUlSS_E_NS1_11comp_targetILNS1_3genE2ELNS1_11target_archE906ELNS1_3gpuE6ELNS1_3repE0EEENS1_30default_config_static_selectorELNS0_4arch9wavefront6targetE1EEEvT1_: ; @_ZN7rocprim17ROCPRIM_400000_NS6detail17trampoline_kernelINS0_14default_configENS1_20scan_config_selectorIdEEZZNS1_9scan_implILNS1_25lookback_scan_determinismE0ELb0ELb0ES3_N6thrust23THRUST_200600_302600_NS6detail15normal_iteratorINS9_10device_ptrIdEEEENS9_16discard_iteratorINS9_11use_defaultEEEd11max_functorIdEdEEDaPvRmT3_T4_T5_mT6_P12ihipStream_tbENKUlT_T0_E_clISt17integral_constantIbLb1EESW_IbLb0EEEEDaSS_ST_EUlSS_E_NS1_11comp_targetILNS1_3genE2ELNS1_11target_archE906ELNS1_3gpuE6ELNS1_3repE0EEENS1_30default_config_static_selectorELNS0_4arch9wavefront6targetE1EEEvT1_
; %bb.0:
	.section	.rodata,"a",@progbits
	.p2align	6, 0x0
	.amdhsa_kernel _ZN7rocprim17ROCPRIM_400000_NS6detail17trampoline_kernelINS0_14default_configENS1_20scan_config_selectorIdEEZZNS1_9scan_implILNS1_25lookback_scan_determinismE0ELb0ELb0ES3_N6thrust23THRUST_200600_302600_NS6detail15normal_iteratorINS9_10device_ptrIdEEEENS9_16discard_iteratorINS9_11use_defaultEEEd11max_functorIdEdEEDaPvRmT3_T4_T5_mT6_P12ihipStream_tbENKUlT_T0_E_clISt17integral_constantIbLb1EESW_IbLb0EEEEDaSS_ST_EUlSS_E_NS1_11comp_targetILNS1_3genE2ELNS1_11target_archE906ELNS1_3gpuE6ELNS1_3repE0EEENS1_30default_config_static_selectorELNS0_4arch9wavefront6targetE1EEEvT1_
		.amdhsa_group_segment_fixed_size 0
		.amdhsa_private_segment_fixed_size 0
		.amdhsa_kernarg_size 112
		.amdhsa_user_sgpr_count 6
		.amdhsa_user_sgpr_private_segment_buffer 1
		.amdhsa_user_sgpr_dispatch_ptr 0
		.amdhsa_user_sgpr_queue_ptr 0
		.amdhsa_user_sgpr_kernarg_segment_ptr 1
		.amdhsa_user_sgpr_dispatch_id 0
		.amdhsa_user_sgpr_flat_scratch_init 0
		.amdhsa_user_sgpr_kernarg_preload_length 0
		.amdhsa_user_sgpr_kernarg_preload_offset 0
		.amdhsa_user_sgpr_private_segment_size 0
		.amdhsa_uses_dynamic_stack 0
		.amdhsa_system_sgpr_private_segment_wavefront_offset 0
		.amdhsa_system_sgpr_workgroup_id_x 1
		.amdhsa_system_sgpr_workgroup_id_y 0
		.amdhsa_system_sgpr_workgroup_id_z 0
		.amdhsa_system_sgpr_workgroup_info 0
		.amdhsa_system_vgpr_workitem_id 0
		.amdhsa_next_free_vgpr 1
		.amdhsa_next_free_sgpr 0
		.amdhsa_accum_offset 4
		.amdhsa_reserve_vcc 0
		.amdhsa_reserve_flat_scratch 0
		.amdhsa_float_round_mode_32 0
		.amdhsa_float_round_mode_16_64 0
		.amdhsa_float_denorm_mode_32 3
		.amdhsa_float_denorm_mode_16_64 3
		.amdhsa_dx10_clamp 1
		.amdhsa_ieee_mode 1
		.amdhsa_fp16_overflow 0
		.amdhsa_tg_split 0
		.amdhsa_exception_fp_ieee_invalid_op 0
		.amdhsa_exception_fp_denorm_src 0
		.amdhsa_exception_fp_ieee_div_zero 0
		.amdhsa_exception_fp_ieee_overflow 0
		.amdhsa_exception_fp_ieee_underflow 0
		.amdhsa_exception_fp_ieee_inexact 0
		.amdhsa_exception_int_div_zero 0
	.end_amdhsa_kernel
	.section	.text._ZN7rocprim17ROCPRIM_400000_NS6detail17trampoline_kernelINS0_14default_configENS1_20scan_config_selectorIdEEZZNS1_9scan_implILNS1_25lookback_scan_determinismE0ELb0ELb0ES3_N6thrust23THRUST_200600_302600_NS6detail15normal_iteratorINS9_10device_ptrIdEEEENS9_16discard_iteratorINS9_11use_defaultEEEd11max_functorIdEdEEDaPvRmT3_T4_T5_mT6_P12ihipStream_tbENKUlT_T0_E_clISt17integral_constantIbLb1EESW_IbLb0EEEEDaSS_ST_EUlSS_E_NS1_11comp_targetILNS1_3genE2ELNS1_11target_archE906ELNS1_3gpuE6ELNS1_3repE0EEENS1_30default_config_static_selectorELNS0_4arch9wavefront6targetE1EEEvT1_,"axG",@progbits,_ZN7rocprim17ROCPRIM_400000_NS6detail17trampoline_kernelINS0_14default_configENS1_20scan_config_selectorIdEEZZNS1_9scan_implILNS1_25lookback_scan_determinismE0ELb0ELb0ES3_N6thrust23THRUST_200600_302600_NS6detail15normal_iteratorINS9_10device_ptrIdEEEENS9_16discard_iteratorINS9_11use_defaultEEEd11max_functorIdEdEEDaPvRmT3_T4_T5_mT6_P12ihipStream_tbENKUlT_T0_E_clISt17integral_constantIbLb1EESW_IbLb0EEEEDaSS_ST_EUlSS_E_NS1_11comp_targetILNS1_3genE2ELNS1_11target_archE906ELNS1_3gpuE6ELNS1_3repE0EEENS1_30default_config_static_selectorELNS0_4arch9wavefront6targetE1EEEvT1_,comdat
.Lfunc_end3030:
	.size	_ZN7rocprim17ROCPRIM_400000_NS6detail17trampoline_kernelINS0_14default_configENS1_20scan_config_selectorIdEEZZNS1_9scan_implILNS1_25lookback_scan_determinismE0ELb0ELb0ES3_N6thrust23THRUST_200600_302600_NS6detail15normal_iteratorINS9_10device_ptrIdEEEENS9_16discard_iteratorINS9_11use_defaultEEEd11max_functorIdEdEEDaPvRmT3_T4_T5_mT6_P12ihipStream_tbENKUlT_T0_E_clISt17integral_constantIbLb1EESW_IbLb0EEEEDaSS_ST_EUlSS_E_NS1_11comp_targetILNS1_3genE2ELNS1_11target_archE906ELNS1_3gpuE6ELNS1_3repE0EEENS1_30default_config_static_selectorELNS0_4arch9wavefront6targetE1EEEvT1_, .Lfunc_end3030-_ZN7rocprim17ROCPRIM_400000_NS6detail17trampoline_kernelINS0_14default_configENS1_20scan_config_selectorIdEEZZNS1_9scan_implILNS1_25lookback_scan_determinismE0ELb0ELb0ES3_N6thrust23THRUST_200600_302600_NS6detail15normal_iteratorINS9_10device_ptrIdEEEENS9_16discard_iteratorINS9_11use_defaultEEEd11max_functorIdEdEEDaPvRmT3_T4_T5_mT6_P12ihipStream_tbENKUlT_T0_E_clISt17integral_constantIbLb1EESW_IbLb0EEEEDaSS_ST_EUlSS_E_NS1_11comp_targetILNS1_3genE2ELNS1_11target_archE906ELNS1_3gpuE6ELNS1_3repE0EEENS1_30default_config_static_selectorELNS0_4arch9wavefront6targetE1EEEvT1_
                                        ; -- End function
	.section	.AMDGPU.csdata,"",@progbits
; Kernel info:
; codeLenInByte = 0
; NumSgprs: 4
; NumVgprs: 0
; NumAgprs: 0
; TotalNumVgprs: 0
; ScratchSize: 0
; MemoryBound: 0
; FloatMode: 240
; IeeeMode: 1
; LDSByteSize: 0 bytes/workgroup (compile time only)
; SGPRBlocks: 0
; VGPRBlocks: 0
; NumSGPRsForWavesPerEU: 4
; NumVGPRsForWavesPerEU: 1
; AccumOffset: 4
; Occupancy: 8
; WaveLimiterHint : 0
; COMPUTE_PGM_RSRC2:SCRATCH_EN: 0
; COMPUTE_PGM_RSRC2:USER_SGPR: 6
; COMPUTE_PGM_RSRC2:TRAP_HANDLER: 0
; COMPUTE_PGM_RSRC2:TGID_X_EN: 1
; COMPUTE_PGM_RSRC2:TGID_Y_EN: 0
; COMPUTE_PGM_RSRC2:TGID_Z_EN: 0
; COMPUTE_PGM_RSRC2:TIDIG_COMP_CNT: 0
; COMPUTE_PGM_RSRC3_GFX90A:ACCUM_OFFSET: 0
; COMPUTE_PGM_RSRC3_GFX90A:TG_SPLIT: 0
	.section	.text._ZN7rocprim17ROCPRIM_400000_NS6detail17trampoline_kernelINS0_14default_configENS1_20scan_config_selectorIdEEZZNS1_9scan_implILNS1_25lookback_scan_determinismE0ELb0ELb0ES3_N6thrust23THRUST_200600_302600_NS6detail15normal_iteratorINS9_10device_ptrIdEEEENS9_16discard_iteratorINS9_11use_defaultEEEd11max_functorIdEdEEDaPvRmT3_T4_T5_mT6_P12ihipStream_tbENKUlT_T0_E_clISt17integral_constantIbLb1EESW_IbLb0EEEEDaSS_ST_EUlSS_E_NS1_11comp_targetILNS1_3genE10ELNS1_11target_archE1201ELNS1_3gpuE5ELNS1_3repE0EEENS1_30default_config_static_selectorELNS0_4arch9wavefront6targetE1EEEvT1_,"axG",@progbits,_ZN7rocprim17ROCPRIM_400000_NS6detail17trampoline_kernelINS0_14default_configENS1_20scan_config_selectorIdEEZZNS1_9scan_implILNS1_25lookback_scan_determinismE0ELb0ELb0ES3_N6thrust23THRUST_200600_302600_NS6detail15normal_iteratorINS9_10device_ptrIdEEEENS9_16discard_iteratorINS9_11use_defaultEEEd11max_functorIdEdEEDaPvRmT3_T4_T5_mT6_P12ihipStream_tbENKUlT_T0_E_clISt17integral_constantIbLb1EESW_IbLb0EEEEDaSS_ST_EUlSS_E_NS1_11comp_targetILNS1_3genE10ELNS1_11target_archE1201ELNS1_3gpuE5ELNS1_3repE0EEENS1_30default_config_static_selectorELNS0_4arch9wavefront6targetE1EEEvT1_,comdat
	.protected	_ZN7rocprim17ROCPRIM_400000_NS6detail17trampoline_kernelINS0_14default_configENS1_20scan_config_selectorIdEEZZNS1_9scan_implILNS1_25lookback_scan_determinismE0ELb0ELb0ES3_N6thrust23THRUST_200600_302600_NS6detail15normal_iteratorINS9_10device_ptrIdEEEENS9_16discard_iteratorINS9_11use_defaultEEEd11max_functorIdEdEEDaPvRmT3_T4_T5_mT6_P12ihipStream_tbENKUlT_T0_E_clISt17integral_constantIbLb1EESW_IbLb0EEEEDaSS_ST_EUlSS_E_NS1_11comp_targetILNS1_3genE10ELNS1_11target_archE1201ELNS1_3gpuE5ELNS1_3repE0EEENS1_30default_config_static_selectorELNS0_4arch9wavefront6targetE1EEEvT1_ ; -- Begin function _ZN7rocprim17ROCPRIM_400000_NS6detail17trampoline_kernelINS0_14default_configENS1_20scan_config_selectorIdEEZZNS1_9scan_implILNS1_25lookback_scan_determinismE0ELb0ELb0ES3_N6thrust23THRUST_200600_302600_NS6detail15normal_iteratorINS9_10device_ptrIdEEEENS9_16discard_iteratorINS9_11use_defaultEEEd11max_functorIdEdEEDaPvRmT3_T4_T5_mT6_P12ihipStream_tbENKUlT_T0_E_clISt17integral_constantIbLb1EESW_IbLb0EEEEDaSS_ST_EUlSS_E_NS1_11comp_targetILNS1_3genE10ELNS1_11target_archE1201ELNS1_3gpuE5ELNS1_3repE0EEENS1_30default_config_static_selectorELNS0_4arch9wavefront6targetE1EEEvT1_
	.globl	_ZN7rocprim17ROCPRIM_400000_NS6detail17trampoline_kernelINS0_14default_configENS1_20scan_config_selectorIdEEZZNS1_9scan_implILNS1_25lookback_scan_determinismE0ELb0ELb0ES3_N6thrust23THRUST_200600_302600_NS6detail15normal_iteratorINS9_10device_ptrIdEEEENS9_16discard_iteratorINS9_11use_defaultEEEd11max_functorIdEdEEDaPvRmT3_T4_T5_mT6_P12ihipStream_tbENKUlT_T0_E_clISt17integral_constantIbLb1EESW_IbLb0EEEEDaSS_ST_EUlSS_E_NS1_11comp_targetILNS1_3genE10ELNS1_11target_archE1201ELNS1_3gpuE5ELNS1_3repE0EEENS1_30default_config_static_selectorELNS0_4arch9wavefront6targetE1EEEvT1_
	.p2align	8
	.type	_ZN7rocprim17ROCPRIM_400000_NS6detail17trampoline_kernelINS0_14default_configENS1_20scan_config_selectorIdEEZZNS1_9scan_implILNS1_25lookback_scan_determinismE0ELb0ELb0ES3_N6thrust23THRUST_200600_302600_NS6detail15normal_iteratorINS9_10device_ptrIdEEEENS9_16discard_iteratorINS9_11use_defaultEEEd11max_functorIdEdEEDaPvRmT3_T4_T5_mT6_P12ihipStream_tbENKUlT_T0_E_clISt17integral_constantIbLb1EESW_IbLb0EEEEDaSS_ST_EUlSS_E_NS1_11comp_targetILNS1_3genE10ELNS1_11target_archE1201ELNS1_3gpuE5ELNS1_3repE0EEENS1_30default_config_static_selectorELNS0_4arch9wavefront6targetE1EEEvT1_,@function
_ZN7rocprim17ROCPRIM_400000_NS6detail17trampoline_kernelINS0_14default_configENS1_20scan_config_selectorIdEEZZNS1_9scan_implILNS1_25lookback_scan_determinismE0ELb0ELb0ES3_N6thrust23THRUST_200600_302600_NS6detail15normal_iteratorINS9_10device_ptrIdEEEENS9_16discard_iteratorINS9_11use_defaultEEEd11max_functorIdEdEEDaPvRmT3_T4_T5_mT6_P12ihipStream_tbENKUlT_T0_E_clISt17integral_constantIbLb1EESW_IbLb0EEEEDaSS_ST_EUlSS_E_NS1_11comp_targetILNS1_3genE10ELNS1_11target_archE1201ELNS1_3gpuE5ELNS1_3repE0EEENS1_30default_config_static_selectorELNS0_4arch9wavefront6targetE1EEEvT1_: ; @_ZN7rocprim17ROCPRIM_400000_NS6detail17trampoline_kernelINS0_14default_configENS1_20scan_config_selectorIdEEZZNS1_9scan_implILNS1_25lookback_scan_determinismE0ELb0ELb0ES3_N6thrust23THRUST_200600_302600_NS6detail15normal_iteratorINS9_10device_ptrIdEEEENS9_16discard_iteratorINS9_11use_defaultEEEd11max_functorIdEdEEDaPvRmT3_T4_T5_mT6_P12ihipStream_tbENKUlT_T0_E_clISt17integral_constantIbLb1EESW_IbLb0EEEEDaSS_ST_EUlSS_E_NS1_11comp_targetILNS1_3genE10ELNS1_11target_archE1201ELNS1_3gpuE5ELNS1_3repE0EEENS1_30default_config_static_selectorELNS0_4arch9wavefront6targetE1EEEvT1_
; %bb.0:
	.section	.rodata,"a",@progbits
	.p2align	6, 0x0
	.amdhsa_kernel _ZN7rocprim17ROCPRIM_400000_NS6detail17trampoline_kernelINS0_14default_configENS1_20scan_config_selectorIdEEZZNS1_9scan_implILNS1_25lookback_scan_determinismE0ELb0ELb0ES3_N6thrust23THRUST_200600_302600_NS6detail15normal_iteratorINS9_10device_ptrIdEEEENS9_16discard_iteratorINS9_11use_defaultEEEd11max_functorIdEdEEDaPvRmT3_T4_T5_mT6_P12ihipStream_tbENKUlT_T0_E_clISt17integral_constantIbLb1EESW_IbLb0EEEEDaSS_ST_EUlSS_E_NS1_11comp_targetILNS1_3genE10ELNS1_11target_archE1201ELNS1_3gpuE5ELNS1_3repE0EEENS1_30default_config_static_selectorELNS0_4arch9wavefront6targetE1EEEvT1_
		.amdhsa_group_segment_fixed_size 0
		.amdhsa_private_segment_fixed_size 0
		.amdhsa_kernarg_size 112
		.amdhsa_user_sgpr_count 6
		.amdhsa_user_sgpr_private_segment_buffer 1
		.amdhsa_user_sgpr_dispatch_ptr 0
		.amdhsa_user_sgpr_queue_ptr 0
		.amdhsa_user_sgpr_kernarg_segment_ptr 1
		.amdhsa_user_sgpr_dispatch_id 0
		.amdhsa_user_sgpr_flat_scratch_init 0
		.amdhsa_user_sgpr_kernarg_preload_length 0
		.amdhsa_user_sgpr_kernarg_preload_offset 0
		.amdhsa_user_sgpr_private_segment_size 0
		.amdhsa_uses_dynamic_stack 0
		.amdhsa_system_sgpr_private_segment_wavefront_offset 0
		.amdhsa_system_sgpr_workgroup_id_x 1
		.amdhsa_system_sgpr_workgroup_id_y 0
		.amdhsa_system_sgpr_workgroup_id_z 0
		.amdhsa_system_sgpr_workgroup_info 0
		.amdhsa_system_vgpr_workitem_id 0
		.amdhsa_next_free_vgpr 1
		.amdhsa_next_free_sgpr 0
		.amdhsa_accum_offset 4
		.amdhsa_reserve_vcc 0
		.amdhsa_reserve_flat_scratch 0
		.amdhsa_float_round_mode_32 0
		.amdhsa_float_round_mode_16_64 0
		.amdhsa_float_denorm_mode_32 3
		.amdhsa_float_denorm_mode_16_64 3
		.amdhsa_dx10_clamp 1
		.amdhsa_ieee_mode 1
		.amdhsa_fp16_overflow 0
		.amdhsa_tg_split 0
		.amdhsa_exception_fp_ieee_invalid_op 0
		.amdhsa_exception_fp_denorm_src 0
		.amdhsa_exception_fp_ieee_div_zero 0
		.amdhsa_exception_fp_ieee_overflow 0
		.amdhsa_exception_fp_ieee_underflow 0
		.amdhsa_exception_fp_ieee_inexact 0
		.amdhsa_exception_int_div_zero 0
	.end_amdhsa_kernel
	.section	.text._ZN7rocprim17ROCPRIM_400000_NS6detail17trampoline_kernelINS0_14default_configENS1_20scan_config_selectorIdEEZZNS1_9scan_implILNS1_25lookback_scan_determinismE0ELb0ELb0ES3_N6thrust23THRUST_200600_302600_NS6detail15normal_iteratorINS9_10device_ptrIdEEEENS9_16discard_iteratorINS9_11use_defaultEEEd11max_functorIdEdEEDaPvRmT3_T4_T5_mT6_P12ihipStream_tbENKUlT_T0_E_clISt17integral_constantIbLb1EESW_IbLb0EEEEDaSS_ST_EUlSS_E_NS1_11comp_targetILNS1_3genE10ELNS1_11target_archE1201ELNS1_3gpuE5ELNS1_3repE0EEENS1_30default_config_static_selectorELNS0_4arch9wavefront6targetE1EEEvT1_,"axG",@progbits,_ZN7rocprim17ROCPRIM_400000_NS6detail17trampoline_kernelINS0_14default_configENS1_20scan_config_selectorIdEEZZNS1_9scan_implILNS1_25lookback_scan_determinismE0ELb0ELb0ES3_N6thrust23THRUST_200600_302600_NS6detail15normal_iteratorINS9_10device_ptrIdEEEENS9_16discard_iteratorINS9_11use_defaultEEEd11max_functorIdEdEEDaPvRmT3_T4_T5_mT6_P12ihipStream_tbENKUlT_T0_E_clISt17integral_constantIbLb1EESW_IbLb0EEEEDaSS_ST_EUlSS_E_NS1_11comp_targetILNS1_3genE10ELNS1_11target_archE1201ELNS1_3gpuE5ELNS1_3repE0EEENS1_30default_config_static_selectorELNS0_4arch9wavefront6targetE1EEEvT1_,comdat
.Lfunc_end3031:
	.size	_ZN7rocprim17ROCPRIM_400000_NS6detail17trampoline_kernelINS0_14default_configENS1_20scan_config_selectorIdEEZZNS1_9scan_implILNS1_25lookback_scan_determinismE0ELb0ELb0ES3_N6thrust23THRUST_200600_302600_NS6detail15normal_iteratorINS9_10device_ptrIdEEEENS9_16discard_iteratorINS9_11use_defaultEEEd11max_functorIdEdEEDaPvRmT3_T4_T5_mT6_P12ihipStream_tbENKUlT_T0_E_clISt17integral_constantIbLb1EESW_IbLb0EEEEDaSS_ST_EUlSS_E_NS1_11comp_targetILNS1_3genE10ELNS1_11target_archE1201ELNS1_3gpuE5ELNS1_3repE0EEENS1_30default_config_static_selectorELNS0_4arch9wavefront6targetE1EEEvT1_, .Lfunc_end3031-_ZN7rocprim17ROCPRIM_400000_NS6detail17trampoline_kernelINS0_14default_configENS1_20scan_config_selectorIdEEZZNS1_9scan_implILNS1_25lookback_scan_determinismE0ELb0ELb0ES3_N6thrust23THRUST_200600_302600_NS6detail15normal_iteratorINS9_10device_ptrIdEEEENS9_16discard_iteratorINS9_11use_defaultEEEd11max_functorIdEdEEDaPvRmT3_T4_T5_mT6_P12ihipStream_tbENKUlT_T0_E_clISt17integral_constantIbLb1EESW_IbLb0EEEEDaSS_ST_EUlSS_E_NS1_11comp_targetILNS1_3genE10ELNS1_11target_archE1201ELNS1_3gpuE5ELNS1_3repE0EEENS1_30default_config_static_selectorELNS0_4arch9wavefront6targetE1EEEvT1_
                                        ; -- End function
	.section	.AMDGPU.csdata,"",@progbits
; Kernel info:
; codeLenInByte = 0
; NumSgprs: 4
; NumVgprs: 0
; NumAgprs: 0
; TotalNumVgprs: 0
; ScratchSize: 0
; MemoryBound: 0
; FloatMode: 240
; IeeeMode: 1
; LDSByteSize: 0 bytes/workgroup (compile time only)
; SGPRBlocks: 0
; VGPRBlocks: 0
; NumSGPRsForWavesPerEU: 4
; NumVGPRsForWavesPerEU: 1
; AccumOffset: 4
; Occupancy: 8
; WaveLimiterHint : 0
; COMPUTE_PGM_RSRC2:SCRATCH_EN: 0
; COMPUTE_PGM_RSRC2:USER_SGPR: 6
; COMPUTE_PGM_RSRC2:TRAP_HANDLER: 0
; COMPUTE_PGM_RSRC2:TGID_X_EN: 1
; COMPUTE_PGM_RSRC2:TGID_Y_EN: 0
; COMPUTE_PGM_RSRC2:TGID_Z_EN: 0
; COMPUTE_PGM_RSRC2:TIDIG_COMP_CNT: 0
; COMPUTE_PGM_RSRC3_GFX90A:ACCUM_OFFSET: 0
; COMPUTE_PGM_RSRC3_GFX90A:TG_SPLIT: 0
	.section	.text._ZN7rocprim17ROCPRIM_400000_NS6detail17trampoline_kernelINS0_14default_configENS1_20scan_config_selectorIdEEZZNS1_9scan_implILNS1_25lookback_scan_determinismE0ELb0ELb0ES3_N6thrust23THRUST_200600_302600_NS6detail15normal_iteratorINS9_10device_ptrIdEEEENS9_16discard_iteratorINS9_11use_defaultEEEd11max_functorIdEdEEDaPvRmT3_T4_T5_mT6_P12ihipStream_tbENKUlT_T0_E_clISt17integral_constantIbLb1EESW_IbLb0EEEEDaSS_ST_EUlSS_E_NS1_11comp_targetILNS1_3genE10ELNS1_11target_archE1200ELNS1_3gpuE4ELNS1_3repE0EEENS1_30default_config_static_selectorELNS0_4arch9wavefront6targetE1EEEvT1_,"axG",@progbits,_ZN7rocprim17ROCPRIM_400000_NS6detail17trampoline_kernelINS0_14default_configENS1_20scan_config_selectorIdEEZZNS1_9scan_implILNS1_25lookback_scan_determinismE0ELb0ELb0ES3_N6thrust23THRUST_200600_302600_NS6detail15normal_iteratorINS9_10device_ptrIdEEEENS9_16discard_iteratorINS9_11use_defaultEEEd11max_functorIdEdEEDaPvRmT3_T4_T5_mT6_P12ihipStream_tbENKUlT_T0_E_clISt17integral_constantIbLb1EESW_IbLb0EEEEDaSS_ST_EUlSS_E_NS1_11comp_targetILNS1_3genE10ELNS1_11target_archE1200ELNS1_3gpuE4ELNS1_3repE0EEENS1_30default_config_static_selectorELNS0_4arch9wavefront6targetE1EEEvT1_,comdat
	.protected	_ZN7rocprim17ROCPRIM_400000_NS6detail17trampoline_kernelINS0_14default_configENS1_20scan_config_selectorIdEEZZNS1_9scan_implILNS1_25lookback_scan_determinismE0ELb0ELb0ES3_N6thrust23THRUST_200600_302600_NS6detail15normal_iteratorINS9_10device_ptrIdEEEENS9_16discard_iteratorINS9_11use_defaultEEEd11max_functorIdEdEEDaPvRmT3_T4_T5_mT6_P12ihipStream_tbENKUlT_T0_E_clISt17integral_constantIbLb1EESW_IbLb0EEEEDaSS_ST_EUlSS_E_NS1_11comp_targetILNS1_3genE10ELNS1_11target_archE1200ELNS1_3gpuE4ELNS1_3repE0EEENS1_30default_config_static_selectorELNS0_4arch9wavefront6targetE1EEEvT1_ ; -- Begin function _ZN7rocprim17ROCPRIM_400000_NS6detail17trampoline_kernelINS0_14default_configENS1_20scan_config_selectorIdEEZZNS1_9scan_implILNS1_25lookback_scan_determinismE0ELb0ELb0ES3_N6thrust23THRUST_200600_302600_NS6detail15normal_iteratorINS9_10device_ptrIdEEEENS9_16discard_iteratorINS9_11use_defaultEEEd11max_functorIdEdEEDaPvRmT3_T4_T5_mT6_P12ihipStream_tbENKUlT_T0_E_clISt17integral_constantIbLb1EESW_IbLb0EEEEDaSS_ST_EUlSS_E_NS1_11comp_targetILNS1_3genE10ELNS1_11target_archE1200ELNS1_3gpuE4ELNS1_3repE0EEENS1_30default_config_static_selectorELNS0_4arch9wavefront6targetE1EEEvT1_
	.globl	_ZN7rocprim17ROCPRIM_400000_NS6detail17trampoline_kernelINS0_14default_configENS1_20scan_config_selectorIdEEZZNS1_9scan_implILNS1_25lookback_scan_determinismE0ELb0ELb0ES3_N6thrust23THRUST_200600_302600_NS6detail15normal_iteratorINS9_10device_ptrIdEEEENS9_16discard_iteratorINS9_11use_defaultEEEd11max_functorIdEdEEDaPvRmT3_T4_T5_mT6_P12ihipStream_tbENKUlT_T0_E_clISt17integral_constantIbLb1EESW_IbLb0EEEEDaSS_ST_EUlSS_E_NS1_11comp_targetILNS1_3genE10ELNS1_11target_archE1200ELNS1_3gpuE4ELNS1_3repE0EEENS1_30default_config_static_selectorELNS0_4arch9wavefront6targetE1EEEvT1_
	.p2align	8
	.type	_ZN7rocprim17ROCPRIM_400000_NS6detail17trampoline_kernelINS0_14default_configENS1_20scan_config_selectorIdEEZZNS1_9scan_implILNS1_25lookback_scan_determinismE0ELb0ELb0ES3_N6thrust23THRUST_200600_302600_NS6detail15normal_iteratorINS9_10device_ptrIdEEEENS9_16discard_iteratorINS9_11use_defaultEEEd11max_functorIdEdEEDaPvRmT3_T4_T5_mT6_P12ihipStream_tbENKUlT_T0_E_clISt17integral_constantIbLb1EESW_IbLb0EEEEDaSS_ST_EUlSS_E_NS1_11comp_targetILNS1_3genE10ELNS1_11target_archE1200ELNS1_3gpuE4ELNS1_3repE0EEENS1_30default_config_static_selectorELNS0_4arch9wavefront6targetE1EEEvT1_,@function
_ZN7rocprim17ROCPRIM_400000_NS6detail17trampoline_kernelINS0_14default_configENS1_20scan_config_selectorIdEEZZNS1_9scan_implILNS1_25lookback_scan_determinismE0ELb0ELb0ES3_N6thrust23THRUST_200600_302600_NS6detail15normal_iteratorINS9_10device_ptrIdEEEENS9_16discard_iteratorINS9_11use_defaultEEEd11max_functorIdEdEEDaPvRmT3_T4_T5_mT6_P12ihipStream_tbENKUlT_T0_E_clISt17integral_constantIbLb1EESW_IbLb0EEEEDaSS_ST_EUlSS_E_NS1_11comp_targetILNS1_3genE10ELNS1_11target_archE1200ELNS1_3gpuE4ELNS1_3repE0EEENS1_30default_config_static_selectorELNS0_4arch9wavefront6targetE1EEEvT1_: ; @_ZN7rocprim17ROCPRIM_400000_NS6detail17trampoline_kernelINS0_14default_configENS1_20scan_config_selectorIdEEZZNS1_9scan_implILNS1_25lookback_scan_determinismE0ELb0ELb0ES3_N6thrust23THRUST_200600_302600_NS6detail15normal_iteratorINS9_10device_ptrIdEEEENS9_16discard_iteratorINS9_11use_defaultEEEd11max_functorIdEdEEDaPvRmT3_T4_T5_mT6_P12ihipStream_tbENKUlT_T0_E_clISt17integral_constantIbLb1EESW_IbLb0EEEEDaSS_ST_EUlSS_E_NS1_11comp_targetILNS1_3genE10ELNS1_11target_archE1200ELNS1_3gpuE4ELNS1_3repE0EEENS1_30default_config_static_selectorELNS0_4arch9wavefront6targetE1EEEvT1_
; %bb.0:
	.section	.rodata,"a",@progbits
	.p2align	6, 0x0
	.amdhsa_kernel _ZN7rocprim17ROCPRIM_400000_NS6detail17trampoline_kernelINS0_14default_configENS1_20scan_config_selectorIdEEZZNS1_9scan_implILNS1_25lookback_scan_determinismE0ELb0ELb0ES3_N6thrust23THRUST_200600_302600_NS6detail15normal_iteratorINS9_10device_ptrIdEEEENS9_16discard_iteratorINS9_11use_defaultEEEd11max_functorIdEdEEDaPvRmT3_T4_T5_mT6_P12ihipStream_tbENKUlT_T0_E_clISt17integral_constantIbLb1EESW_IbLb0EEEEDaSS_ST_EUlSS_E_NS1_11comp_targetILNS1_3genE10ELNS1_11target_archE1200ELNS1_3gpuE4ELNS1_3repE0EEENS1_30default_config_static_selectorELNS0_4arch9wavefront6targetE1EEEvT1_
		.amdhsa_group_segment_fixed_size 0
		.amdhsa_private_segment_fixed_size 0
		.amdhsa_kernarg_size 112
		.amdhsa_user_sgpr_count 6
		.amdhsa_user_sgpr_private_segment_buffer 1
		.amdhsa_user_sgpr_dispatch_ptr 0
		.amdhsa_user_sgpr_queue_ptr 0
		.amdhsa_user_sgpr_kernarg_segment_ptr 1
		.amdhsa_user_sgpr_dispatch_id 0
		.amdhsa_user_sgpr_flat_scratch_init 0
		.amdhsa_user_sgpr_kernarg_preload_length 0
		.amdhsa_user_sgpr_kernarg_preload_offset 0
		.amdhsa_user_sgpr_private_segment_size 0
		.amdhsa_uses_dynamic_stack 0
		.amdhsa_system_sgpr_private_segment_wavefront_offset 0
		.amdhsa_system_sgpr_workgroup_id_x 1
		.amdhsa_system_sgpr_workgroup_id_y 0
		.amdhsa_system_sgpr_workgroup_id_z 0
		.amdhsa_system_sgpr_workgroup_info 0
		.amdhsa_system_vgpr_workitem_id 0
		.amdhsa_next_free_vgpr 1
		.amdhsa_next_free_sgpr 0
		.amdhsa_accum_offset 4
		.amdhsa_reserve_vcc 0
		.amdhsa_reserve_flat_scratch 0
		.amdhsa_float_round_mode_32 0
		.amdhsa_float_round_mode_16_64 0
		.amdhsa_float_denorm_mode_32 3
		.amdhsa_float_denorm_mode_16_64 3
		.amdhsa_dx10_clamp 1
		.amdhsa_ieee_mode 1
		.amdhsa_fp16_overflow 0
		.amdhsa_tg_split 0
		.amdhsa_exception_fp_ieee_invalid_op 0
		.amdhsa_exception_fp_denorm_src 0
		.amdhsa_exception_fp_ieee_div_zero 0
		.amdhsa_exception_fp_ieee_overflow 0
		.amdhsa_exception_fp_ieee_underflow 0
		.amdhsa_exception_fp_ieee_inexact 0
		.amdhsa_exception_int_div_zero 0
	.end_amdhsa_kernel
	.section	.text._ZN7rocprim17ROCPRIM_400000_NS6detail17trampoline_kernelINS0_14default_configENS1_20scan_config_selectorIdEEZZNS1_9scan_implILNS1_25lookback_scan_determinismE0ELb0ELb0ES3_N6thrust23THRUST_200600_302600_NS6detail15normal_iteratorINS9_10device_ptrIdEEEENS9_16discard_iteratorINS9_11use_defaultEEEd11max_functorIdEdEEDaPvRmT3_T4_T5_mT6_P12ihipStream_tbENKUlT_T0_E_clISt17integral_constantIbLb1EESW_IbLb0EEEEDaSS_ST_EUlSS_E_NS1_11comp_targetILNS1_3genE10ELNS1_11target_archE1200ELNS1_3gpuE4ELNS1_3repE0EEENS1_30default_config_static_selectorELNS0_4arch9wavefront6targetE1EEEvT1_,"axG",@progbits,_ZN7rocprim17ROCPRIM_400000_NS6detail17trampoline_kernelINS0_14default_configENS1_20scan_config_selectorIdEEZZNS1_9scan_implILNS1_25lookback_scan_determinismE0ELb0ELb0ES3_N6thrust23THRUST_200600_302600_NS6detail15normal_iteratorINS9_10device_ptrIdEEEENS9_16discard_iteratorINS9_11use_defaultEEEd11max_functorIdEdEEDaPvRmT3_T4_T5_mT6_P12ihipStream_tbENKUlT_T0_E_clISt17integral_constantIbLb1EESW_IbLb0EEEEDaSS_ST_EUlSS_E_NS1_11comp_targetILNS1_3genE10ELNS1_11target_archE1200ELNS1_3gpuE4ELNS1_3repE0EEENS1_30default_config_static_selectorELNS0_4arch9wavefront6targetE1EEEvT1_,comdat
.Lfunc_end3032:
	.size	_ZN7rocprim17ROCPRIM_400000_NS6detail17trampoline_kernelINS0_14default_configENS1_20scan_config_selectorIdEEZZNS1_9scan_implILNS1_25lookback_scan_determinismE0ELb0ELb0ES3_N6thrust23THRUST_200600_302600_NS6detail15normal_iteratorINS9_10device_ptrIdEEEENS9_16discard_iteratorINS9_11use_defaultEEEd11max_functorIdEdEEDaPvRmT3_T4_T5_mT6_P12ihipStream_tbENKUlT_T0_E_clISt17integral_constantIbLb1EESW_IbLb0EEEEDaSS_ST_EUlSS_E_NS1_11comp_targetILNS1_3genE10ELNS1_11target_archE1200ELNS1_3gpuE4ELNS1_3repE0EEENS1_30default_config_static_selectorELNS0_4arch9wavefront6targetE1EEEvT1_, .Lfunc_end3032-_ZN7rocprim17ROCPRIM_400000_NS6detail17trampoline_kernelINS0_14default_configENS1_20scan_config_selectorIdEEZZNS1_9scan_implILNS1_25lookback_scan_determinismE0ELb0ELb0ES3_N6thrust23THRUST_200600_302600_NS6detail15normal_iteratorINS9_10device_ptrIdEEEENS9_16discard_iteratorINS9_11use_defaultEEEd11max_functorIdEdEEDaPvRmT3_T4_T5_mT6_P12ihipStream_tbENKUlT_T0_E_clISt17integral_constantIbLb1EESW_IbLb0EEEEDaSS_ST_EUlSS_E_NS1_11comp_targetILNS1_3genE10ELNS1_11target_archE1200ELNS1_3gpuE4ELNS1_3repE0EEENS1_30default_config_static_selectorELNS0_4arch9wavefront6targetE1EEEvT1_
                                        ; -- End function
	.section	.AMDGPU.csdata,"",@progbits
; Kernel info:
; codeLenInByte = 0
; NumSgprs: 4
; NumVgprs: 0
; NumAgprs: 0
; TotalNumVgprs: 0
; ScratchSize: 0
; MemoryBound: 0
; FloatMode: 240
; IeeeMode: 1
; LDSByteSize: 0 bytes/workgroup (compile time only)
; SGPRBlocks: 0
; VGPRBlocks: 0
; NumSGPRsForWavesPerEU: 4
; NumVGPRsForWavesPerEU: 1
; AccumOffset: 4
; Occupancy: 8
; WaveLimiterHint : 0
; COMPUTE_PGM_RSRC2:SCRATCH_EN: 0
; COMPUTE_PGM_RSRC2:USER_SGPR: 6
; COMPUTE_PGM_RSRC2:TRAP_HANDLER: 0
; COMPUTE_PGM_RSRC2:TGID_X_EN: 1
; COMPUTE_PGM_RSRC2:TGID_Y_EN: 0
; COMPUTE_PGM_RSRC2:TGID_Z_EN: 0
; COMPUTE_PGM_RSRC2:TIDIG_COMP_CNT: 0
; COMPUTE_PGM_RSRC3_GFX90A:ACCUM_OFFSET: 0
; COMPUTE_PGM_RSRC3_GFX90A:TG_SPLIT: 0
	.section	.text._ZN7rocprim17ROCPRIM_400000_NS6detail17trampoline_kernelINS0_14default_configENS1_20scan_config_selectorIdEEZZNS1_9scan_implILNS1_25lookback_scan_determinismE0ELb0ELb0ES3_N6thrust23THRUST_200600_302600_NS6detail15normal_iteratorINS9_10device_ptrIdEEEENS9_16discard_iteratorINS9_11use_defaultEEEd11max_functorIdEdEEDaPvRmT3_T4_T5_mT6_P12ihipStream_tbENKUlT_T0_E_clISt17integral_constantIbLb1EESW_IbLb0EEEEDaSS_ST_EUlSS_E_NS1_11comp_targetILNS1_3genE9ELNS1_11target_archE1100ELNS1_3gpuE3ELNS1_3repE0EEENS1_30default_config_static_selectorELNS0_4arch9wavefront6targetE1EEEvT1_,"axG",@progbits,_ZN7rocprim17ROCPRIM_400000_NS6detail17trampoline_kernelINS0_14default_configENS1_20scan_config_selectorIdEEZZNS1_9scan_implILNS1_25lookback_scan_determinismE0ELb0ELb0ES3_N6thrust23THRUST_200600_302600_NS6detail15normal_iteratorINS9_10device_ptrIdEEEENS9_16discard_iteratorINS9_11use_defaultEEEd11max_functorIdEdEEDaPvRmT3_T4_T5_mT6_P12ihipStream_tbENKUlT_T0_E_clISt17integral_constantIbLb1EESW_IbLb0EEEEDaSS_ST_EUlSS_E_NS1_11comp_targetILNS1_3genE9ELNS1_11target_archE1100ELNS1_3gpuE3ELNS1_3repE0EEENS1_30default_config_static_selectorELNS0_4arch9wavefront6targetE1EEEvT1_,comdat
	.protected	_ZN7rocprim17ROCPRIM_400000_NS6detail17trampoline_kernelINS0_14default_configENS1_20scan_config_selectorIdEEZZNS1_9scan_implILNS1_25lookback_scan_determinismE0ELb0ELb0ES3_N6thrust23THRUST_200600_302600_NS6detail15normal_iteratorINS9_10device_ptrIdEEEENS9_16discard_iteratorINS9_11use_defaultEEEd11max_functorIdEdEEDaPvRmT3_T4_T5_mT6_P12ihipStream_tbENKUlT_T0_E_clISt17integral_constantIbLb1EESW_IbLb0EEEEDaSS_ST_EUlSS_E_NS1_11comp_targetILNS1_3genE9ELNS1_11target_archE1100ELNS1_3gpuE3ELNS1_3repE0EEENS1_30default_config_static_selectorELNS0_4arch9wavefront6targetE1EEEvT1_ ; -- Begin function _ZN7rocprim17ROCPRIM_400000_NS6detail17trampoline_kernelINS0_14default_configENS1_20scan_config_selectorIdEEZZNS1_9scan_implILNS1_25lookback_scan_determinismE0ELb0ELb0ES3_N6thrust23THRUST_200600_302600_NS6detail15normal_iteratorINS9_10device_ptrIdEEEENS9_16discard_iteratorINS9_11use_defaultEEEd11max_functorIdEdEEDaPvRmT3_T4_T5_mT6_P12ihipStream_tbENKUlT_T0_E_clISt17integral_constantIbLb1EESW_IbLb0EEEEDaSS_ST_EUlSS_E_NS1_11comp_targetILNS1_3genE9ELNS1_11target_archE1100ELNS1_3gpuE3ELNS1_3repE0EEENS1_30default_config_static_selectorELNS0_4arch9wavefront6targetE1EEEvT1_
	.globl	_ZN7rocprim17ROCPRIM_400000_NS6detail17trampoline_kernelINS0_14default_configENS1_20scan_config_selectorIdEEZZNS1_9scan_implILNS1_25lookback_scan_determinismE0ELb0ELb0ES3_N6thrust23THRUST_200600_302600_NS6detail15normal_iteratorINS9_10device_ptrIdEEEENS9_16discard_iteratorINS9_11use_defaultEEEd11max_functorIdEdEEDaPvRmT3_T4_T5_mT6_P12ihipStream_tbENKUlT_T0_E_clISt17integral_constantIbLb1EESW_IbLb0EEEEDaSS_ST_EUlSS_E_NS1_11comp_targetILNS1_3genE9ELNS1_11target_archE1100ELNS1_3gpuE3ELNS1_3repE0EEENS1_30default_config_static_selectorELNS0_4arch9wavefront6targetE1EEEvT1_
	.p2align	8
	.type	_ZN7rocprim17ROCPRIM_400000_NS6detail17trampoline_kernelINS0_14default_configENS1_20scan_config_selectorIdEEZZNS1_9scan_implILNS1_25lookback_scan_determinismE0ELb0ELb0ES3_N6thrust23THRUST_200600_302600_NS6detail15normal_iteratorINS9_10device_ptrIdEEEENS9_16discard_iteratorINS9_11use_defaultEEEd11max_functorIdEdEEDaPvRmT3_T4_T5_mT6_P12ihipStream_tbENKUlT_T0_E_clISt17integral_constantIbLb1EESW_IbLb0EEEEDaSS_ST_EUlSS_E_NS1_11comp_targetILNS1_3genE9ELNS1_11target_archE1100ELNS1_3gpuE3ELNS1_3repE0EEENS1_30default_config_static_selectorELNS0_4arch9wavefront6targetE1EEEvT1_,@function
_ZN7rocprim17ROCPRIM_400000_NS6detail17trampoline_kernelINS0_14default_configENS1_20scan_config_selectorIdEEZZNS1_9scan_implILNS1_25lookback_scan_determinismE0ELb0ELb0ES3_N6thrust23THRUST_200600_302600_NS6detail15normal_iteratorINS9_10device_ptrIdEEEENS9_16discard_iteratorINS9_11use_defaultEEEd11max_functorIdEdEEDaPvRmT3_T4_T5_mT6_P12ihipStream_tbENKUlT_T0_E_clISt17integral_constantIbLb1EESW_IbLb0EEEEDaSS_ST_EUlSS_E_NS1_11comp_targetILNS1_3genE9ELNS1_11target_archE1100ELNS1_3gpuE3ELNS1_3repE0EEENS1_30default_config_static_selectorELNS0_4arch9wavefront6targetE1EEEvT1_: ; @_ZN7rocprim17ROCPRIM_400000_NS6detail17trampoline_kernelINS0_14default_configENS1_20scan_config_selectorIdEEZZNS1_9scan_implILNS1_25lookback_scan_determinismE0ELb0ELb0ES3_N6thrust23THRUST_200600_302600_NS6detail15normal_iteratorINS9_10device_ptrIdEEEENS9_16discard_iteratorINS9_11use_defaultEEEd11max_functorIdEdEEDaPvRmT3_T4_T5_mT6_P12ihipStream_tbENKUlT_T0_E_clISt17integral_constantIbLb1EESW_IbLb0EEEEDaSS_ST_EUlSS_E_NS1_11comp_targetILNS1_3genE9ELNS1_11target_archE1100ELNS1_3gpuE3ELNS1_3repE0EEENS1_30default_config_static_selectorELNS0_4arch9wavefront6targetE1EEEvT1_
; %bb.0:
	.section	.rodata,"a",@progbits
	.p2align	6, 0x0
	.amdhsa_kernel _ZN7rocprim17ROCPRIM_400000_NS6detail17trampoline_kernelINS0_14default_configENS1_20scan_config_selectorIdEEZZNS1_9scan_implILNS1_25lookback_scan_determinismE0ELb0ELb0ES3_N6thrust23THRUST_200600_302600_NS6detail15normal_iteratorINS9_10device_ptrIdEEEENS9_16discard_iteratorINS9_11use_defaultEEEd11max_functorIdEdEEDaPvRmT3_T4_T5_mT6_P12ihipStream_tbENKUlT_T0_E_clISt17integral_constantIbLb1EESW_IbLb0EEEEDaSS_ST_EUlSS_E_NS1_11comp_targetILNS1_3genE9ELNS1_11target_archE1100ELNS1_3gpuE3ELNS1_3repE0EEENS1_30default_config_static_selectorELNS0_4arch9wavefront6targetE1EEEvT1_
		.amdhsa_group_segment_fixed_size 0
		.amdhsa_private_segment_fixed_size 0
		.amdhsa_kernarg_size 112
		.amdhsa_user_sgpr_count 6
		.amdhsa_user_sgpr_private_segment_buffer 1
		.amdhsa_user_sgpr_dispatch_ptr 0
		.amdhsa_user_sgpr_queue_ptr 0
		.amdhsa_user_sgpr_kernarg_segment_ptr 1
		.amdhsa_user_sgpr_dispatch_id 0
		.amdhsa_user_sgpr_flat_scratch_init 0
		.amdhsa_user_sgpr_kernarg_preload_length 0
		.amdhsa_user_sgpr_kernarg_preload_offset 0
		.amdhsa_user_sgpr_private_segment_size 0
		.amdhsa_uses_dynamic_stack 0
		.amdhsa_system_sgpr_private_segment_wavefront_offset 0
		.amdhsa_system_sgpr_workgroup_id_x 1
		.amdhsa_system_sgpr_workgroup_id_y 0
		.amdhsa_system_sgpr_workgroup_id_z 0
		.amdhsa_system_sgpr_workgroup_info 0
		.amdhsa_system_vgpr_workitem_id 0
		.amdhsa_next_free_vgpr 1
		.amdhsa_next_free_sgpr 0
		.amdhsa_accum_offset 4
		.amdhsa_reserve_vcc 0
		.amdhsa_reserve_flat_scratch 0
		.amdhsa_float_round_mode_32 0
		.amdhsa_float_round_mode_16_64 0
		.amdhsa_float_denorm_mode_32 3
		.amdhsa_float_denorm_mode_16_64 3
		.amdhsa_dx10_clamp 1
		.amdhsa_ieee_mode 1
		.amdhsa_fp16_overflow 0
		.amdhsa_tg_split 0
		.amdhsa_exception_fp_ieee_invalid_op 0
		.amdhsa_exception_fp_denorm_src 0
		.amdhsa_exception_fp_ieee_div_zero 0
		.amdhsa_exception_fp_ieee_overflow 0
		.amdhsa_exception_fp_ieee_underflow 0
		.amdhsa_exception_fp_ieee_inexact 0
		.amdhsa_exception_int_div_zero 0
	.end_amdhsa_kernel
	.section	.text._ZN7rocprim17ROCPRIM_400000_NS6detail17trampoline_kernelINS0_14default_configENS1_20scan_config_selectorIdEEZZNS1_9scan_implILNS1_25lookback_scan_determinismE0ELb0ELb0ES3_N6thrust23THRUST_200600_302600_NS6detail15normal_iteratorINS9_10device_ptrIdEEEENS9_16discard_iteratorINS9_11use_defaultEEEd11max_functorIdEdEEDaPvRmT3_T4_T5_mT6_P12ihipStream_tbENKUlT_T0_E_clISt17integral_constantIbLb1EESW_IbLb0EEEEDaSS_ST_EUlSS_E_NS1_11comp_targetILNS1_3genE9ELNS1_11target_archE1100ELNS1_3gpuE3ELNS1_3repE0EEENS1_30default_config_static_selectorELNS0_4arch9wavefront6targetE1EEEvT1_,"axG",@progbits,_ZN7rocprim17ROCPRIM_400000_NS6detail17trampoline_kernelINS0_14default_configENS1_20scan_config_selectorIdEEZZNS1_9scan_implILNS1_25lookback_scan_determinismE0ELb0ELb0ES3_N6thrust23THRUST_200600_302600_NS6detail15normal_iteratorINS9_10device_ptrIdEEEENS9_16discard_iteratorINS9_11use_defaultEEEd11max_functorIdEdEEDaPvRmT3_T4_T5_mT6_P12ihipStream_tbENKUlT_T0_E_clISt17integral_constantIbLb1EESW_IbLb0EEEEDaSS_ST_EUlSS_E_NS1_11comp_targetILNS1_3genE9ELNS1_11target_archE1100ELNS1_3gpuE3ELNS1_3repE0EEENS1_30default_config_static_selectorELNS0_4arch9wavefront6targetE1EEEvT1_,comdat
.Lfunc_end3033:
	.size	_ZN7rocprim17ROCPRIM_400000_NS6detail17trampoline_kernelINS0_14default_configENS1_20scan_config_selectorIdEEZZNS1_9scan_implILNS1_25lookback_scan_determinismE0ELb0ELb0ES3_N6thrust23THRUST_200600_302600_NS6detail15normal_iteratorINS9_10device_ptrIdEEEENS9_16discard_iteratorINS9_11use_defaultEEEd11max_functorIdEdEEDaPvRmT3_T4_T5_mT6_P12ihipStream_tbENKUlT_T0_E_clISt17integral_constantIbLb1EESW_IbLb0EEEEDaSS_ST_EUlSS_E_NS1_11comp_targetILNS1_3genE9ELNS1_11target_archE1100ELNS1_3gpuE3ELNS1_3repE0EEENS1_30default_config_static_selectorELNS0_4arch9wavefront6targetE1EEEvT1_, .Lfunc_end3033-_ZN7rocprim17ROCPRIM_400000_NS6detail17trampoline_kernelINS0_14default_configENS1_20scan_config_selectorIdEEZZNS1_9scan_implILNS1_25lookback_scan_determinismE0ELb0ELb0ES3_N6thrust23THRUST_200600_302600_NS6detail15normal_iteratorINS9_10device_ptrIdEEEENS9_16discard_iteratorINS9_11use_defaultEEEd11max_functorIdEdEEDaPvRmT3_T4_T5_mT6_P12ihipStream_tbENKUlT_T0_E_clISt17integral_constantIbLb1EESW_IbLb0EEEEDaSS_ST_EUlSS_E_NS1_11comp_targetILNS1_3genE9ELNS1_11target_archE1100ELNS1_3gpuE3ELNS1_3repE0EEENS1_30default_config_static_selectorELNS0_4arch9wavefront6targetE1EEEvT1_
                                        ; -- End function
	.section	.AMDGPU.csdata,"",@progbits
; Kernel info:
; codeLenInByte = 0
; NumSgprs: 4
; NumVgprs: 0
; NumAgprs: 0
; TotalNumVgprs: 0
; ScratchSize: 0
; MemoryBound: 0
; FloatMode: 240
; IeeeMode: 1
; LDSByteSize: 0 bytes/workgroup (compile time only)
; SGPRBlocks: 0
; VGPRBlocks: 0
; NumSGPRsForWavesPerEU: 4
; NumVGPRsForWavesPerEU: 1
; AccumOffset: 4
; Occupancy: 8
; WaveLimiterHint : 0
; COMPUTE_PGM_RSRC2:SCRATCH_EN: 0
; COMPUTE_PGM_RSRC2:USER_SGPR: 6
; COMPUTE_PGM_RSRC2:TRAP_HANDLER: 0
; COMPUTE_PGM_RSRC2:TGID_X_EN: 1
; COMPUTE_PGM_RSRC2:TGID_Y_EN: 0
; COMPUTE_PGM_RSRC2:TGID_Z_EN: 0
; COMPUTE_PGM_RSRC2:TIDIG_COMP_CNT: 0
; COMPUTE_PGM_RSRC3_GFX90A:ACCUM_OFFSET: 0
; COMPUTE_PGM_RSRC3_GFX90A:TG_SPLIT: 0
	.section	.text._ZN7rocprim17ROCPRIM_400000_NS6detail17trampoline_kernelINS0_14default_configENS1_20scan_config_selectorIdEEZZNS1_9scan_implILNS1_25lookback_scan_determinismE0ELb0ELb0ES3_N6thrust23THRUST_200600_302600_NS6detail15normal_iteratorINS9_10device_ptrIdEEEENS9_16discard_iteratorINS9_11use_defaultEEEd11max_functorIdEdEEDaPvRmT3_T4_T5_mT6_P12ihipStream_tbENKUlT_T0_E_clISt17integral_constantIbLb1EESW_IbLb0EEEEDaSS_ST_EUlSS_E_NS1_11comp_targetILNS1_3genE8ELNS1_11target_archE1030ELNS1_3gpuE2ELNS1_3repE0EEENS1_30default_config_static_selectorELNS0_4arch9wavefront6targetE1EEEvT1_,"axG",@progbits,_ZN7rocprim17ROCPRIM_400000_NS6detail17trampoline_kernelINS0_14default_configENS1_20scan_config_selectorIdEEZZNS1_9scan_implILNS1_25lookback_scan_determinismE0ELb0ELb0ES3_N6thrust23THRUST_200600_302600_NS6detail15normal_iteratorINS9_10device_ptrIdEEEENS9_16discard_iteratorINS9_11use_defaultEEEd11max_functorIdEdEEDaPvRmT3_T4_T5_mT6_P12ihipStream_tbENKUlT_T0_E_clISt17integral_constantIbLb1EESW_IbLb0EEEEDaSS_ST_EUlSS_E_NS1_11comp_targetILNS1_3genE8ELNS1_11target_archE1030ELNS1_3gpuE2ELNS1_3repE0EEENS1_30default_config_static_selectorELNS0_4arch9wavefront6targetE1EEEvT1_,comdat
	.protected	_ZN7rocprim17ROCPRIM_400000_NS6detail17trampoline_kernelINS0_14default_configENS1_20scan_config_selectorIdEEZZNS1_9scan_implILNS1_25lookback_scan_determinismE0ELb0ELb0ES3_N6thrust23THRUST_200600_302600_NS6detail15normal_iteratorINS9_10device_ptrIdEEEENS9_16discard_iteratorINS9_11use_defaultEEEd11max_functorIdEdEEDaPvRmT3_T4_T5_mT6_P12ihipStream_tbENKUlT_T0_E_clISt17integral_constantIbLb1EESW_IbLb0EEEEDaSS_ST_EUlSS_E_NS1_11comp_targetILNS1_3genE8ELNS1_11target_archE1030ELNS1_3gpuE2ELNS1_3repE0EEENS1_30default_config_static_selectorELNS0_4arch9wavefront6targetE1EEEvT1_ ; -- Begin function _ZN7rocprim17ROCPRIM_400000_NS6detail17trampoline_kernelINS0_14default_configENS1_20scan_config_selectorIdEEZZNS1_9scan_implILNS1_25lookback_scan_determinismE0ELb0ELb0ES3_N6thrust23THRUST_200600_302600_NS6detail15normal_iteratorINS9_10device_ptrIdEEEENS9_16discard_iteratorINS9_11use_defaultEEEd11max_functorIdEdEEDaPvRmT3_T4_T5_mT6_P12ihipStream_tbENKUlT_T0_E_clISt17integral_constantIbLb1EESW_IbLb0EEEEDaSS_ST_EUlSS_E_NS1_11comp_targetILNS1_3genE8ELNS1_11target_archE1030ELNS1_3gpuE2ELNS1_3repE0EEENS1_30default_config_static_selectorELNS0_4arch9wavefront6targetE1EEEvT1_
	.globl	_ZN7rocprim17ROCPRIM_400000_NS6detail17trampoline_kernelINS0_14default_configENS1_20scan_config_selectorIdEEZZNS1_9scan_implILNS1_25lookback_scan_determinismE0ELb0ELb0ES3_N6thrust23THRUST_200600_302600_NS6detail15normal_iteratorINS9_10device_ptrIdEEEENS9_16discard_iteratorINS9_11use_defaultEEEd11max_functorIdEdEEDaPvRmT3_T4_T5_mT6_P12ihipStream_tbENKUlT_T0_E_clISt17integral_constantIbLb1EESW_IbLb0EEEEDaSS_ST_EUlSS_E_NS1_11comp_targetILNS1_3genE8ELNS1_11target_archE1030ELNS1_3gpuE2ELNS1_3repE0EEENS1_30default_config_static_selectorELNS0_4arch9wavefront6targetE1EEEvT1_
	.p2align	8
	.type	_ZN7rocprim17ROCPRIM_400000_NS6detail17trampoline_kernelINS0_14default_configENS1_20scan_config_selectorIdEEZZNS1_9scan_implILNS1_25lookback_scan_determinismE0ELb0ELb0ES3_N6thrust23THRUST_200600_302600_NS6detail15normal_iteratorINS9_10device_ptrIdEEEENS9_16discard_iteratorINS9_11use_defaultEEEd11max_functorIdEdEEDaPvRmT3_T4_T5_mT6_P12ihipStream_tbENKUlT_T0_E_clISt17integral_constantIbLb1EESW_IbLb0EEEEDaSS_ST_EUlSS_E_NS1_11comp_targetILNS1_3genE8ELNS1_11target_archE1030ELNS1_3gpuE2ELNS1_3repE0EEENS1_30default_config_static_selectorELNS0_4arch9wavefront6targetE1EEEvT1_,@function
_ZN7rocprim17ROCPRIM_400000_NS6detail17trampoline_kernelINS0_14default_configENS1_20scan_config_selectorIdEEZZNS1_9scan_implILNS1_25lookback_scan_determinismE0ELb0ELb0ES3_N6thrust23THRUST_200600_302600_NS6detail15normal_iteratorINS9_10device_ptrIdEEEENS9_16discard_iteratorINS9_11use_defaultEEEd11max_functorIdEdEEDaPvRmT3_T4_T5_mT6_P12ihipStream_tbENKUlT_T0_E_clISt17integral_constantIbLb1EESW_IbLb0EEEEDaSS_ST_EUlSS_E_NS1_11comp_targetILNS1_3genE8ELNS1_11target_archE1030ELNS1_3gpuE2ELNS1_3repE0EEENS1_30default_config_static_selectorELNS0_4arch9wavefront6targetE1EEEvT1_: ; @_ZN7rocprim17ROCPRIM_400000_NS6detail17trampoline_kernelINS0_14default_configENS1_20scan_config_selectorIdEEZZNS1_9scan_implILNS1_25lookback_scan_determinismE0ELb0ELb0ES3_N6thrust23THRUST_200600_302600_NS6detail15normal_iteratorINS9_10device_ptrIdEEEENS9_16discard_iteratorINS9_11use_defaultEEEd11max_functorIdEdEEDaPvRmT3_T4_T5_mT6_P12ihipStream_tbENKUlT_T0_E_clISt17integral_constantIbLb1EESW_IbLb0EEEEDaSS_ST_EUlSS_E_NS1_11comp_targetILNS1_3genE8ELNS1_11target_archE1030ELNS1_3gpuE2ELNS1_3repE0EEENS1_30default_config_static_selectorELNS0_4arch9wavefront6targetE1EEEvT1_
; %bb.0:
	.section	.rodata,"a",@progbits
	.p2align	6, 0x0
	.amdhsa_kernel _ZN7rocprim17ROCPRIM_400000_NS6detail17trampoline_kernelINS0_14default_configENS1_20scan_config_selectorIdEEZZNS1_9scan_implILNS1_25lookback_scan_determinismE0ELb0ELb0ES3_N6thrust23THRUST_200600_302600_NS6detail15normal_iteratorINS9_10device_ptrIdEEEENS9_16discard_iteratorINS9_11use_defaultEEEd11max_functorIdEdEEDaPvRmT3_T4_T5_mT6_P12ihipStream_tbENKUlT_T0_E_clISt17integral_constantIbLb1EESW_IbLb0EEEEDaSS_ST_EUlSS_E_NS1_11comp_targetILNS1_3genE8ELNS1_11target_archE1030ELNS1_3gpuE2ELNS1_3repE0EEENS1_30default_config_static_selectorELNS0_4arch9wavefront6targetE1EEEvT1_
		.amdhsa_group_segment_fixed_size 0
		.amdhsa_private_segment_fixed_size 0
		.amdhsa_kernarg_size 112
		.amdhsa_user_sgpr_count 6
		.amdhsa_user_sgpr_private_segment_buffer 1
		.amdhsa_user_sgpr_dispatch_ptr 0
		.amdhsa_user_sgpr_queue_ptr 0
		.amdhsa_user_sgpr_kernarg_segment_ptr 1
		.amdhsa_user_sgpr_dispatch_id 0
		.amdhsa_user_sgpr_flat_scratch_init 0
		.amdhsa_user_sgpr_kernarg_preload_length 0
		.amdhsa_user_sgpr_kernarg_preload_offset 0
		.amdhsa_user_sgpr_private_segment_size 0
		.amdhsa_uses_dynamic_stack 0
		.amdhsa_system_sgpr_private_segment_wavefront_offset 0
		.amdhsa_system_sgpr_workgroup_id_x 1
		.amdhsa_system_sgpr_workgroup_id_y 0
		.amdhsa_system_sgpr_workgroup_id_z 0
		.amdhsa_system_sgpr_workgroup_info 0
		.amdhsa_system_vgpr_workitem_id 0
		.amdhsa_next_free_vgpr 1
		.amdhsa_next_free_sgpr 0
		.amdhsa_accum_offset 4
		.amdhsa_reserve_vcc 0
		.amdhsa_reserve_flat_scratch 0
		.amdhsa_float_round_mode_32 0
		.amdhsa_float_round_mode_16_64 0
		.amdhsa_float_denorm_mode_32 3
		.amdhsa_float_denorm_mode_16_64 3
		.amdhsa_dx10_clamp 1
		.amdhsa_ieee_mode 1
		.amdhsa_fp16_overflow 0
		.amdhsa_tg_split 0
		.amdhsa_exception_fp_ieee_invalid_op 0
		.amdhsa_exception_fp_denorm_src 0
		.amdhsa_exception_fp_ieee_div_zero 0
		.amdhsa_exception_fp_ieee_overflow 0
		.amdhsa_exception_fp_ieee_underflow 0
		.amdhsa_exception_fp_ieee_inexact 0
		.amdhsa_exception_int_div_zero 0
	.end_amdhsa_kernel
	.section	.text._ZN7rocprim17ROCPRIM_400000_NS6detail17trampoline_kernelINS0_14default_configENS1_20scan_config_selectorIdEEZZNS1_9scan_implILNS1_25lookback_scan_determinismE0ELb0ELb0ES3_N6thrust23THRUST_200600_302600_NS6detail15normal_iteratorINS9_10device_ptrIdEEEENS9_16discard_iteratorINS9_11use_defaultEEEd11max_functorIdEdEEDaPvRmT3_T4_T5_mT6_P12ihipStream_tbENKUlT_T0_E_clISt17integral_constantIbLb1EESW_IbLb0EEEEDaSS_ST_EUlSS_E_NS1_11comp_targetILNS1_3genE8ELNS1_11target_archE1030ELNS1_3gpuE2ELNS1_3repE0EEENS1_30default_config_static_selectorELNS0_4arch9wavefront6targetE1EEEvT1_,"axG",@progbits,_ZN7rocprim17ROCPRIM_400000_NS6detail17trampoline_kernelINS0_14default_configENS1_20scan_config_selectorIdEEZZNS1_9scan_implILNS1_25lookback_scan_determinismE0ELb0ELb0ES3_N6thrust23THRUST_200600_302600_NS6detail15normal_iteratorINS9_10device_ptrIdEEEENS9_16discard_iteratorINS9_11use_defaultEEEd11max_functorIdEdEEDaPvRmT3_T4_T5_mT6_P12ihipStream_tbENKUlT_T0_E_clISt17integral_constantIbLb1EESW_IbLb0EEEEDaSS_ST_EUlSS_E_NS1_11comp_targetILNS1_3genE8ELNS1_11target_archE1030ELNS1_3gpuE2ELNS1_3repE0EEENS1_30default_config_static_selectorELNS0_4arch9wavefront6targetE1EEEvT1_,comdat
.Lfunc_end3034:
	.size	_ZN7rocprim17ROCPRIM_400000_NS6detail17trampoline_kernelINS0_14default_configENS1_20scan_config_selectorIdEEZZNS1_9scan_implILNS1_25lookback_scan_determinismE0ELb0ELb0ES3_N6thrust23THRUST_200600_302600_NS6detail15normal_iteratorINS9_10device_ptrIdEEEENS9_16discard_iteratorINS9_11use_defaultEEEd11max_functorIdEdEEDaPvRmT3_T4_T5_mT6_P12ihipStream_tbENKUlT_T0_E_clISt17integral_constantIbLb1EESW_IbLb0EEEEDaSS_ST_EUlSS_E_NS1_11comp_targetILNS1_3genE8ELNS1_11target_archE1030ELNS1_3gpuE2ELNS1_3repE0EEENS1_30default_config_static_selectorELNS0_4arch9wavefront6targetE1EEEvT1_, .Lfunc_end3034-_ZN7rocprim17ROCPRIM_400000_NS6detail17trampoline_kernelINS0_14default_configENS1_20scan_config_selectorIdEEZZNS1_9scan_implILNS1_25lookback_scan_determinismE0ELb0ELb0ES3_N6thrust23THRUST_200600_302600_NS6detail15normal_iteratorINS9_10device_ptrIdEEEENS9_16discard_iteratorINS9_11use_defaultEEEd11max_functorIdEdEEDaPvRmT3_T4_T5_mT6_P12ihipStream_tbENKUlT_T0_E_clISt17integral_constantIbLb1EESW_IbLb0EEEEDaSS_ST_EUlSS_E_NS1_11comp_targetILNS1_3genE8ELNS1_11target_archE1030ELNS1_3gpuE2ELNS1_3repE0EEENS1_30default_config_static_selectorELNS0_4arch9wavefront6targetE1EEEvT1_
                                        ; -- End function
	.section	.AMDGPU.csdata,"",@progbits
; Kernel info:
; codeLenInByte = 0
; NumSgprs: 4
; NumVgprs: 0
; NumAgprs: 0
; TotalNumVgprs: 0
; ScratchSize: 0
; MemoryBound: 0
; FloatMode: 240
; IeeeMode: 1
; LDSByteSize: 0 bytes/workgroup (compile time only)
; SGPRBlocks: 0
; VGPRBlocks: 0
; NumSGPRsForWavesPerEU: 4
; NumVGPRsForWavesPerEU: 1
; AccumOffset: 4
; Occupancy: 8
; WaveLimiterHint : 0
; COMPUTE_PGM_RSRC2:SCRATCH_EN: 0
; COMPUTE_PGM_RSRC2:USER_SGPR: 6
; COMPUTE_PGM_RSRC2:TRAP_HANDLER: 0
; COMPUTE_PGM_RSRC2:TGID_X_EN: 1
; COMPUTE_PGM_RSRC2:TGID_Y_EN: 0
; COMPUTE_PGM_RSRC2:TGID_Z_EN: 0
; COMPUTE_PGM_RSRC2:TIDIG_COMP_CNT: 0
; COMPUTE_PGM_RSRC3_GFX90A:ACCUM_OFFSET: 0
; COMPUTE_PGM_RSRC3_GFX90A:TG_SPLIT: 0
	.section	.text._ZN7rocprim17ROCPRIM_400000_NS6detail17trampoline_kernelINS0_14default_configENS1_20scan_config_selectorIdEEZZNS1_9scan_implILNS1_25lookback_scan_determinismE0ELb0ELb0ES3_N6thrust23THRUST_200600_302600_NS6detail15normal_iteratorINS9_10device_ptrIdEEEENS9_16discard_iteratorINS9_11use_defaultEEEd11max_functorIdEdEEDaPvRmT3_T4_T5_mT6_P12ihipStream_tbENKUlT_T0_E_clISt17integral_constantIbLb1EESW_IbLb0EEEEDaSS_ST_EUlSS_E0_NS1_11comp_targetILNS1_3genE0ELNS1_11target_archE4294967295ELNS1_3gpuE0ELNS1_3repE0EEENS1_30default_config_static_selectorELNS0_4arch9wavefront6targetE1EEEvT1_,"axG",@progbits,_ZN7rocprim17ROCPRIM_400000_NS6detail17trampoline_kernelINS0_14default_configENS1_20scan_config_selectorIdEEZZNS1_9scan_implILNS1_25lookback_scan_determinismE0ELb0ELb0ES3_N6thrust23THRUST_200600_302600_NS6detail15normal_iteratorINS9_10device_ptrIdEEEENS9_16discard_iteratorINS9_11use_defaultEEEd11max_functorIdEdEEDaPvRmT3_T4_T5_mT6_P12ihipStream_tbENKUlT_T0_E_clISt17integral_constantIbLb1EESW_IbLb0EEEEDaSS_ST_EUlSS_E0_NS1_11comp_targetILNS1_3genE0ELNS1_11target_archE4294967295ELNS1_3gpuE0ELNS1_3repE0EEENS1_30default_config_static_selectorELNS0_4arch9wavefront6targetE1EEEvT1_,comdat
	.protected	_ZN7rocprim17ROCPRIM_400000_NS6detail17trampoline_kernelINS0_14default_configENS1_20scan_config_selectorIdEEZZNS1_9scan_implILNS1_25lookback_scan_determinismE0ELb0ELb0ES3_N6thrust23THRUST_200600_302600_NS6detail15normal_iteratorINS9_10device_ptrIdEEEENS9_16discard_iteratorINS9_11use_defaultEEEd11max_functorIdEdEEDaPvRmT3_T4_T5_mT6_P12ihipStream_tbENKUlT_T0_E_clISt17integral_constantIbLb1EESW_IbLb0EEEEDaSS_ST_EUlSS_E0_NS1_11comp_targetILNS1_3genE0ELNS1_11target_archE4294967295ELNS1_3gpuE0ELNS1_3repE0EEENS1_30default_config_static_selectorELNS0_4arch9wavefront6targetE1EEEvT1_ ; -- Begin function _ZN7rocprim17ROCPRIM_400000_NS6detail17trampoline_kernelINS0_14default_configENS1_20scan_config_selectorIdEEZZNS1_9scan_implILNS1_25lookback_scan_determinismE0ELb0ELb0ES3_N6thrust23THRUST_200600_302600_NS6detail15normal_iteratorINS9_10device_ptrIdEEEENS9_16discard_iteratorINS9_11use_defaultEEEd11max_functorIdEdEEDaPvRmT3_T4_T5_mT6_P12ihipStream_tbENKUlT_T0_E_clISt17integral_constantIbLb1EESW_IbLb0EEEEDaSS_ST_EUlSS_E0_NS1_11comp_targetILNS1_3genE0ELNS1_11target_archE4294967295ELNS1_3gpuE0ELNS1_3repE0EEENS1_30default_config_static_selectorELNS0_4arch9wavefront6targetE1EEEvT1_
	.globl	_ZN7rocprim17ROCPRIM_400000_NS6detail17trampoline_kernelINS0_14default_configENS1_20scan_config_selectorIdEEZZNS1_9scan_implILNS1_25lookback_scan_determinismE0ELb0ELb0ES3_N6thrust23THRUST_200600_302600_NS6detail15normal_iteratorINS9_10device_ptrIdEEEENS9_16discard_iteratorINS9_11use_defaultEEEd11max_functorIdEdEEDaPvRmT3_T4_T5_mT6_P12ihipStream_tbENKUlT_T0_E_clISt17integral_constantIbLb1EESW_IbLb0EEEEDaSS_ST_EUlSS_E0_NS1_11comp_targetILNS1_3genE0ELNS1_11target_archE4294967295ELNS1_3gpuE0ELNS1_3repE0EEENS1_30default_config_static_selectorELNS0_4arch9wavefront6targetE1EEEvT1_
	.p2align	8
	.type	_ZN7rocprim17ROCPRIM_400000_NS6detail17trampoline_kernelINS0_14default_configENS1_20scan_config_selectorIdEEZZNS1_9scan_implILNS1_25lookback_scan_determinismE0ELb0ELb0ES3_N6thrust23THRUST_200600_302600_NS6detail15normal_iteratorINS9_10device_ptrIdEEEENS9_16discard_iteratorINS9_11use_defaultEEEd11max_functorIdEdEEDaPvRmT3_T4_T5_mT6_P12ihipStream_tbENKUlT_T0_E_clISt17integral_constantIbLb1EESW_IbLb0EEEEDaSS_ST_EUlSS_E0_NS1_11comp_targetILNS1_3genE0ELNS1_11target_archE4294967295ELNS1_3gpuE0ELNS1_3repE0EEENS1_30default_config_static_selectorELNS0_4arch9wavefront6targetE1EEEvT1_,@function
_ZN7rocprim17ROCPRIM_400000_NS6detail17trampoline_kernelINS0_14default_configENS1_20scan_config_selectorIdEEZZNS1_9scan_implILNS1_25lookback_scan_determinismE0ELb0ELb0ES3_N6thrust23THRUST_200600_302600_NS6detail15normal_iteratorINS9_10device_ptrIdEEEENS9_16discard_iteratorINS9_11use_defaultEEEd11max_functorIdEdEEDaPvRmT3_T4_T5_mT6_P12ihipStream_tbENKUlT_T0_E_clISt17integral_constantIbLb1EESW_IbLb0EEEEDaSS_ST_EUlSS_E0_NS1_11comp_targetILNS1_3genE0ELNS1_11target_archE4294967295ELNS1_3gpuE0ELNS1_3repE0EEENS1_30default_config_static_selectorELNS0_4arch9wavefront6targetE1EEEvT1_: ; @_ZN7rocprim17ROCPRIM_400000_NS6detail17trampoline_kernelINS0_14default_configENS1_20scan_config_selectorIdEEZZNS1_9scan_implILNS1_25lookback_scan_determinismE0ELb0ELb0ES3_N6thrust23THRUST_200600_302600_NS6detail15normal_iteratorINS9_10device_ptrIdEEEENS9_16discard_iteratorINS9_11use_defaultEEEd11max_functorIdEdEEDaPvRmT3_T4_T5_mT6_P12ihipStream_tbENKUlT_T0_E_clISt17integral_constantIbLb1EESW_IbLb0EEEEDaSS_ST_EUlSS_E0_NS1_11comp_targetILNS1_3genE0ELNS1_11target_archE4294967295ELNS1_3gpuE0ELNS1_3repE0EEENS1_30default_config_static_selectorELNS0_4arch9wavefront6targetE1EEEvT1_
; %bb.0:
	.section	.rodata,"a",@progbits
	.p2align	6, 0x0
	.amdhsa_kernel _ZN7rocprim17ROCPRIM_400000_NS6detail17trampoline_kernelINS0_14default_configENS1_20scan_config_selectorIdEEZZNS1_9scan_implILNS1_25lookback_scan_determinismE0ELb0ELb0ES3_N6thrust23THRUST_200600_302600_NS6detail15normal_iteratorINS9_10device_ptrIdEEEENS9_16discard_iteratorINS9_11use_defaultEEEd11max_functorIdEdEEDaPvRmT3_T4_T5_mT6_P12ihipStream_tbENKUlT_T0_E_clISt17integral_constantIbLb1EESW_IbLb0EEEEDaSS_ST_EUlSS_E0_NS1_11comp_targetILNS1_3genE0ELNS1_11target_archE4294967295ELNS1_3gpuE0ELNS1_3repE0EEENS1_30default_config_static_selectorELNS0_4arch9wavefront6targetE1EEEvT1_
		.amdhsa_group_segment_fixed_size 0
		.amdhsa_private_segment_fixed_size 0
		.amdhsa_kernarg_size 48
		.amdhsa_user_sgpr_count 6
		.amdhsa_user_sgpr_private_segment_buffer 1
		.amdhsa_user_sgpr_dispatch_ptr 0
		.amdhsa_user_sgpr_queue_ptr 0
		.amdhsa_user_sgpr_kernarg_segment_ptr 1
		.amdhsa_user_sgpr_dispatch_id 0
		.amdhsa_user_sgpr_flat_scratch_init 0
		.amdhsa_user_sgpr_kernarg_preload_length 0
		.amdhsa_user_sgpr_kernarg_preload_offset 0
		.amdhsa_user_sgpr_private_segment_size 0
		.amdhsa_uses_dynamic_stack 0
		.amdhsa_system_sgpr_private_segment_wavefront_offset 0
		.amdhsa_system_sgpr_workgroup_id_x 1
		.amdhsa_system_sgpr_workgroup_id_y 0
		.amdhsa_system_sgpr_workgroup_id_z 0
		.amdhsa_system_sgpr_workgroup_info 0
		.amdhsa_system_vgpr_workitem_id 0
		.amdhsa_next_free_vgpr 1
		.amdhsa_next_free_sgpr 0
		.amdhsa_accum_offset 4
		.amdhsa_reserve_vcc 0
		.amdhsa_reserve_flat_scratch 0
		.amdhsa_float_round_mode_32 0
		.amdhsa_float_round_mode_16_64 0
		.amdhsa_float_denorm_mode_32 3
		.amdhsa_float_denorm_mode_16_64 3
		.amdhsa_dx10_clamp 1
		.amdhsa_ieee_mode 1
		.amdhsa_fp16_overflow 0
		.amdhsa_tg_split 0
		.amdhsa_exception_fp_ieee_invalid_op 0
		.amdhsa_exception_fp_denorm_src 0
		.amdhsa_exception_fp_ieee_div_zero 0
		.amdhsa_exception_fp_ieee_overflow 0
		.amdhsa_exception_fp_ieee_underflow 0
		.amdhsa_exception_fp_ieee_inexact 0
		.amdhsa_exception_int_div_zero 0
	.end_amdhsa_kernel
	.section	.text._ZN7rocprim17ROCPRIM_400000_NS6detail17trampoline_kernelINS0_14default_configENS1_20scan_config_selectorIdEEZZNS1_9scan_implILNS1_25lookback_scan_determinismE0ELb0ELb0ES3_N6thrust23THRUST_200600_302600_NS6detail15normal_iteratorINS9_10device_ptrIdEEEENS9_16discard_iteratorINS9_11use_defaultEEEd11max_functorIdEdEEDaPvRmT3_T4_T5_mT6_P12ihipStream_tbENKUlT_T0_E_clISt17integral_constantIbLb1EESW_IbLb0EEEEDaSS_ST_EUlSS_E0_NS1_11comp_targetILNS1_3genE0ELNS1_11target_archE4294967295ELNS1_3gpuE0ELNS1_3repE0EEENS1_30default_config_static_selectorELNS0_4arch9wavefront6targetE1EEEvT1_,"axG",@progbits,_ZN7rocprim17ROCPRIM_400000_NS6detail17trampoline_kernelINS0_14default_configENS1_20scan_config_selectorIdEEZZNS1_9scan_implILNS1_25lookback_scan_determinismE0ELb0ELb0ES3_N6thrust23THRUST_200600_302600_NS6detail15normal_iteratorINS9_10device_ptrIdEEEENS9_16discard_iteratorINS9_11use_defaultEEEd11max_functorIdEdEEDaPvRmT3_T4_T5_mT6_P12ihipStream_tbENKUlT_T0_E_clISt17integral_constantIbLb1EESW_IbLb0EEEEDaSS_ST_EUlSS_E0_NS1_11comp_targetILNS1_3genE0ELNS1_11target_archE4294967295ELNS1_3gpuE0ELNS1_3repE0EEENS1_30default_config_static_selectorELNS0_4arch9wavefront6targetE1EEEvT1_,comdat
.Lfunc_end3035:
	.size	_ZN7rocprim17ROCPRIM_400000_NS6detail17trampoline_kernelINS0_14default_configENS1_20scan_config_selectorIdEEZZNS1_9scan_implILNS1_25lookback_scan_determinismE0ELb0ELb0ES3_N6thrust23THRUST_200600_302600_NS6detail15normal_iteratorINS9_10device_ptrIdEEEENS9_16discard_iteratorINS9_11use_defaultEEEd11max_functorIdEdEEDaPvRmT3_T4_T5_mT6_P12ihipStream_tbENKUlT_T0_E_clISt17integral_constantIbLb1EESW_IbLb0EEEEDaSS_ST_EUlSS_E0_NS1_11comp_targetILNS1_3genE0ELNS1_11target_archE4294967295ELNS1_3gpuE0ELNS1_3repE0EEENS1_30default_config_static_selectorELNS0_4arch9wavefront6targetE1EEEvT1_, .Lfunc_end3035-_ZN7rocprim17ROCPRIM_400000_NS6detail17trampoline_kernelINS0_14default_configENS1_20scan_config_selectorIdEEZZNS1_9scan_implILNS1_25lookback_scan_determinismE0ELb0ELb0ES3_N6thrust23THRUST_200600_302600_NS6detail15normal_iteratorINS9_10device_ptrIdEEEENS9_16discard_iteratorINS9_11use_defaultEEEd11max_functorIdEdEEDaPvRmT3_T4_T5_mT6_P12ihipStream_tbENKUlT_T0_E_clISt17integral_constantIbLb1EESW_IbLb0EEEEDaSS_ST_EUlSS_E0_NS1_11comp_targetILNS1_3genE0ELNS1_11target_archE4294967295ELNS1_3gpuE0ELNS1_3repE0EEENS1_30default_config_static_selectorELNS0_4arch9wavefront6targetE1EEEvT1_
                                        ; -- End function
	.section	.AMDGPU.csdata,"",@progbits
; Kernel info:
; codeLenInByte = 0
; NumSgprs: 4
; NumVgprs: 0
; NumAgprs: 0
; TotalNumVgprs: 0
; ScratchSize: 0
; MemoryBound: 0
; FloatMode: 240
; IeeeMode: 1
; LDSByteSize: 0 bytes/workgroup (compile time only)
; SGPRBlocks: 0
; VGPRBlocks: 0
; NumSGPRsForWavesPerEU: 4
; NumVGPRsForWavesPerEU: 1
; AccumOffset: 4
; Occupancy: 8
; WaveLimiterHint : 0
; COMPUTE_PGM_RSRC2:SCRATCH_EN: 0
; COMPUTE_PGM_RSRC2:USER_SGPR: 6
; COMPUTE_PGM_RSRC2:TRAP_HANDLER: 0
; COMPUTE_PGM_RSRC2:TGID_X_EN: 1
; COMPUTE_PGM_RSRC2:TGID_Y_EN: 0
; COMPUTE_PGM_RSRC2:TGID_Z_EN: 0
; COMPUTE_PGM_RSRC2:TIDIG_COMP_CNT: 0
; COMPUTE_PGM_RSRC3_GFX90A:ACCUM_OFFSET: 0
; COMPUTE_PGM_RSRC3_GFX90A:TG_SPLIT: 0
	.section	.text._ZN7rocprim17ROCPRIM_400000_NS6detail17trampoline_kernelINS0_14default_configENS1_20scan_config_selectorIdEEZZNS1_9scan_implILNS1_25lookback_scan_determinismE0ELb0ELb0ES3_N6thrust23THRUST_200600_302600_NS6detail15normal_iteratorINS9_10device_ptrIdEEEENS9_16discard_iteratorINS9_11use_defaultEEEd11max_functorIdEdEEDaPvRmT3_T4_T5_mT6_P12ihipStream_tbENKUlT_T0_E_clISt17integral_constantIbLb1EESW_IbLb0EEEEDaSS_ST_EUlSS_E0_NS1_11comp_targetILNS1_3genE5ELNS1_11target_archE942ELNS1_3gpuE9ELNS1_3repE0EEENS1_30default_config_static_selectorELNS0_4arch9wavefront6targetE1EEEvT1_,"axG",@progbits,_ZN7rocprim17ROCPRIM_400000_NS6detail17trampoline_kernelINS0_14default_configENS1_20scan_config_selectorIdEEZZNS1_9scan_implILNS1_25lookback_scan_determinismE0ELb0ELb0ES3_N6thrust23THRUST_200600_302600_NS6detail15normal_iteratorINS9_10device_ptrIdEEEENS9_16discard_iteratorINS9_11use_defaultEEEd11max_functorIdEdEEDaPvRmT3_T4_T5_mT6_P12ihipStream_tbENKUlT_T0_E_clISt17integral_constantIbLb1EESW_IbLb0EEEEDaSS_ST_EUlSS_E0_NS1_11comp_targetILNS1_3genE5ELNS1_11target_archE942ELNS1_3gpuE9ELNS1_3repE0EEENS1_30default_config_static_selectorELNS0_4arch9wavefront6targetE1EEEvT1_,comdat
	.protected	_ZN7rocprim17ROCPRIM_400000_NS6detail17trampoline_kernelINS0_14default_configENS1_20scan_config_selectorIdEEZZNS1_9scan_implILNS1_25lookback_scan_determinismE0ELb0ELb0ES3_N6thrust23THRUST_200600_302600_NS6detail15normal_iteratorINS9_10device_ptrIdEEEENS9_16discard_iteratorINS9_11use_defaultEEEd11max_functorIdEdEEDaPvRmT3_T4_T5_mT6_P12ihipStream_tbENKUlT_T0_E_clISt17integral_constantIbLb1EESW_IbLb0EEEEDaSS_ST_EUlSS_E0_NS1_11comp_targetILNS1_3genE5ELNS1_11target_archE942ELNS1_3gpuE9ELNS1_3repE0EEENS1_30default_config_static_selectorELNS0_4arch9wavefront6targetE1EEEvT1_ ; -- Begin function _ZN7rocprim17ROCPRIM_400000_NS6detail17trampoline_kernelINS0_14default_configENS1_20scan_config_selectorIdEEZZNS1_9scan_implILNS1_25lookback_scan_determinismE0ELb0ELb0ES3_N6thrust23THRUST_200600_302600_NS6detail15normal_iteratorINS9_10device_ptrIdEEEENS9_16discard_iteratorINS9_11use_defaultEEEd11max_functorIdEdEEDaPvRmT3_T4_T5_mT6_P12ihipStream_tbENKUlT_T0_E_clISt17integral_constantIbLb1EESW_IbLb0EEEEDaSS_ST_EUlSS_E0_NS1_11comp_targetILNS1_3genE5ELNS1_11target_archE942ELNS1_3gpuE9ELNS1_3repE0EEENS1_30default_config_static_selectorELNS0_4arch9wavefront6targetE1EEEvT1_
	.globl	_ZN7rocprim17ROCPRIM_400000_NS6detail17trampoline_kernelINS0_14default_configENS1_20scan_config_selectorIdEEZZNS1_9scan_implILNS1_25lookback_scan_determinismE0ELb0ELb0ES3_N6thrust23THRUST_200600_302600_NS6detail15normal_iteratorINS9_10device_ptrIdEEEENS9_16discard_iteratorINS9_11use_defaultEEEd11max_functorIdEdEEDaPvRmT3_T4_T5_mT6_P12ihipStream_tbENKUlT_T0_E_clISt17integral_constantIbLb1EESW_IbLb0EEEEDaSS_ST_EUlSS_E0_NS1_11comp_targetILNS1_3genE5ELNS1_11target_archE942ELNS1_3gpuE9ELNS1_3repE0EEENS1_30default_config_static_selectorELNS0_4arch9wavefront6targetE1EEEvT1_
	.p2align	8
	.type	_ZN7rocprim17ROCPRIM_400000_NS6detail17trampoline_kernelINS0_14default_configENS1_20scan_config_selectorIdEEZZNS1_9scan_implILNS1_25lookback_scan_determinismE0ELb0ELb0ES3_N6thrust23THRUST_200600_302600_NS6detail15normal_iteratorINS9_10device_ptrIdEEEENS9_16discard_iteratorINS9_11use_defaultEEEd11max_functorIdEdEEDaPvRmT3_T4_T5_mT6_P12ihipStream_tbENKUlT_T0_E_clISt17integral_constantIbLb1EESW_IbLb0EEEEDaSS_ST_EUlSS_E0_NS1_11comp_targetILNS1_3genE5ELNS1_11target_archE942ELNS1_3gpuE9ELNS1_3repE0EEENS1_30default_config_static_selectorELNS0_4arch9wavefront6targetE1EEEvT1_,@function
_ZN7rocprim17ROCPRIM_400000_NS6detail17trampoline_kernelINS0_14default_configENS1_20scan_config_selectorIdEEZZNS1_9scan_implILNS1_25lookback_scan_determinismE0ELb0ELb0ES3_N6thrust23THRUST_200600_302600_NS6detail15normal_iteratorINS9_10device_ptrIdEEEENS9_16discard_iteratorINS9_11use_defaultEEEd11max_functorIdEdEEDaPvRmT3_T4_T5_mT6_P12ihipStream_tbENKUlT_T0_E_clISt17integral_constantIbLb1EESW_IbLb0EEEEDaSS_ST_EUlSS_E0_NS1_11comp_targetILNS1_3genE5ELNS1_11target_archE942ELNS1_3gpuE9ELNS1_3repE0EEENS1_30default_config_static_selectorELNS0_4arch9wavefront6targetE1EEEvT1_: ; @_ZN7rocprim17ROCPRIM_400000_NS6detail17trampoline_kernelINS0_14default_configENS1_20scan_config_selectorIdEEZZNS1_9scan_implILNS1_25lookback_scan_determinismE0ELb0ELb0ES3_N6thrust23THRUST_200600_302600_NS6detail15normal_iteratorINS9_10device_ptrIdEEEENS9_16discard_iteratorINS9_11use_defaultEEEd11max_functorIdEdEEDaPvRmT3_T4_T5_mT6_P12ihipStream_tbENKUlT_T0_E_clISt17integral_constantIbLb1EESW_IbLb0EEEEDaSS_ST_EUlSS_E0_NS1_11comp_targetILNS1_3genE5ELNS1_11target_archE942ELNS1_3gpuE9ELNS1_3repE0EEENS1_30default_config_static_selectorELNS0_4arch9wavefront6targetE1EEEvT1_
; %bb.0:
	.section	.rodata,"a",@progbits
	.p2align	6, 0x0
	.amdhsa_kernel _ZN7rocprim17ROCPRIM_400000_NS6detail17trampoline_kernelINS0_14default_configENS1_20scan_config_selectorIdEEZZNS1_9scan_implILNS1_25lookback_scan_determinismE0ELb0ELb0ES3_N6thrust23THRUST_200600_302600_NS6detail15normal_iteratorINS9_10device_ptrIdEEEENS9_16discard_iteratorINS9_11use_defaultEEEd11max_functorIdEdEEDaPvRmT3_T4_T5_mT6_P12ihipStream_tbENKUlT_T0_E_clISt17integral_constantIbLb1EESW_IbLb0EEEEDaSS_ST_EUlSS_E0_NS1_11comp_targetILNS1_3genE5ELNS1_11target_archE942ELNS1_3gpuE9ELNS1_3repE0EEENS1_30default_config_static_selectorELNS0_4arch9wavefront6targetE1EEEvT1_
		.amdhsa_group_segment_fixed_size 0
		.amdhsa_private_segment_fixed_size 0
		.amdhsa_kernarg_size 48
		.amdhsa_user_sgpr_count 6
		.amdhsa_user_sgpr_private_segment_buffer 1
		.amdhsa_user_sgpr_dispatch_ptr 0
		.amdhsa_user_sgpr_queue_ptr 0
		.amdhsa_user_sgpr_kernarg_segment_ptr 1
		.amdhsa_user_sgpr_dispatch_id 0
		.amdhsa_user_sgpr_flat_scratch_init 0
		.amdhsa_user_sgpr_kernarg_preload_length 0
		.amdhsa_user_sgpr_kernarg_preload_offset 0
		.amdhsa_user_sgpr_private_segment_size 0
		.amdhsa_uses_dynamic_stack 0
		.amdhsa_system_sgpr_private_segment_wavefront_offset 0
		.amdhsa_system_sgpr_workgroup_id_x 1
		.amdhsa_system_sgpr_workgroup_id_y 0
		.amdhsa_system_sgpr_workgroup_id_z 0
		.amdhsa_system_sgpr_workgroup_info 0
		.amdhsa_system_vgpr_workitem_id 0
		.amdhsa_next_free_vgpr 1
		.amdhsa_next_free_sgpr 0
		.amdhsa_accum_offset 4
		.amdhsa_reserve_vcc 0
		.amdhsa_reserve_flat_scratch 0
		.amdhsa_float_round_mode_32 0
		.amdhsa_float_round_mode_16_64 0
		.amdhsa_float_denorm_mode_32 3
		.amdhsa_float_denorm_mode_16_64 3
		.amdhsa_dx10_clamp 1
		.amdhsa_ieee_mode 1
		.amdhsa_fp16_overflow 0
		.amdhsa_tg_split 0
		.amdhsa_exception_fp_ieee_invalid_op 0
		.amdhsa_exception_fp_denorm_src 0
		.amdhsa_exception_fp_ieee_div_zero 0
		.amdhsa_exception_fp_ieee_overflow 0
		.amdhsa_exception_fp_ieee_underflow 0
		.amdhsa_exception_fp_ieee_inexact 0
		.amdhsa_exception_int_div_zero 0
	.end_amdhsa_kernel
	.section	.text._ZN7rocprim17ROCPRIM_400000_NS6detail17trampoline_kernelINS0_14default_configENS1_20scan_config_selectorIdEEZZNS1_9scan_implILNS1_25lookback_scan_determinismE0ELb0ELb0ES3_N6thrust23THRUST_200600_302600_NS6detail15normal_iteratorINS9_10device_ptrIdEEEENS9_16discard_iteratorINS9_11use_defaultEEEd11max_functorIdEdEEDaPvRmT3_T4_T5_mT6_P12ihipStream_tbENKUlT_T0_E_clISt17integral_constantIbLb1EESW_IbLb0EEEEDaSS_ST_EUlSS_E0_NS1_11comp_targetILNS1_3genE5ELNS1_11target_archE942ELNS1_3gpuE9ELNS1_3repE0EEENS1_30default_config_static_selectorELNS0_4arch9wavefront6targetE1EEEvT1_,"axG",@progbits,_ZN7rocprim17ROCPRIM_400000_NS6detail17trampoline_kernelINS0_14default_configENS1_20scan_config_selectorIdEEZZNS1_9scan_implILNS1_25lookback_scan_determinismE0ELb0ELb0ES3_N6thrust23THRUST_200600_302600_NS6detail15normal_iteratorINS9_10device_ptrIdEEEENS9_16discard_iteratorINS9_11use_defaultEEEd11max_functorIdEdEEDaPvRmT3_T4_T5_mT6_P12ihipStream_tbENKUlT_T0_E_clISt17integral_constantIbLb1EESW_IbLb0EEEEDaSS_ST_EUlSS_E0_NS1_11comp_targetILNS1_3genE5ELNS1_11target_archE942ELNS1_3gpuE9ELNS1_3repE0EEENS1_30default_config_static_selectorELNS0_4arch9wavefront6targetE1EEEvT1_,comdat
.Lfunc_end3036:
	.size	_ZN7rocprim17ROCPRIM_400000_NS6detail17trampoline_kernelINS0_14default_configENS1_20scan_config_selectorIdEEZZNS1_9scan_implILNS1_25lookback_scan_determinismE0ELb0ELb0ES3_N6thrust23THRUST_200600_302600_NS6detail15normal_iteratorINS9_10device_ptrIdEEEENS9_16discard_iteratorINS9_11use_defaultEEEd11max_functorIdEdEEDaPvRmT3_T4_T5_mT6_P12ihipStream_tbENKUlT_T0_E_clISt17integral_constantIbLb1EESW_IbLb0EEEEDaSS_ST_EUlSS_E0_NS1_11comp_targetILNS1_3genE5ELNS1_11target_archE942ELNS1_3gpuE9ELNS1_3repE0EEENS1_30default_config_static_selectorELNS0_4arch9wavefront6targetE1EEEvT1_, .Lfunc_end3036-_ZN7rocprim17ROCPRIM_400000_NS6detail17trampoline_kernelINS0_14default_configENS1_20scan_config_selectorIdEEZZNS1_9scan_implILNS1_25lookback_scan_determinismE0ELb0ELb0ES3_N6thrust23THRUST_200600_302600_NS6detail15normal_iteratorINS9_10device_ptrIdEEEENS9_16discard_iteratorINS9_11use_defaultEEEd11max_functorIdEdEEDaPvRmT3_T4_T5_mT6_P12ihipStream_tbENKUlT_T0_E_clISt17integral_constantIbLb1EESW_IbLb0EEEEDaSS_ST_EUlSS_E0_NS1_11comp_targetILNS1_3genE5ELNS1_11target_archE942ELNS1_3gpuE9ELNS1_3repE0EEENS1_30default_config_static_selectorELNS0_4arch9wavefront6targetE1EEEvT1_
                                        ; -- End function
	.section	.AMDGPU.csdata,"",@progbits
; Kernel info:
; codeLenInByte = 0
; NumSgprs: 4
; NumVgprs: 0
; NumAgprs: 0
; TotalNumVgprs: 0
; ScratchSize: 0
; MemoryBound: 0
; FloatMode: 240
; IeeeMode: 1
; LDSByteSize: 0 bytes/workgroup (compile time only)
; SGPRBlocks: 0
; VGPRBlocks: 0
; NumSGPRsForWavesPerEU: 4
; NumVGPRsForWavesPerEU: 1
; AccumOffset: 4
; Occupancy: 8
; WaveLimiterHint : 0
; COMPUTE_PGM_RSRC2:SCRATCH_EN: 0
; COMPUTE_PGM_RSRC2:USER_SGPR: 6
; COMPUTE_PGM_RSRC2:TRAP_HANDLER: 0
; COMPUTE_PGM_RSRC2:TGID_X_EN: 1
; COMPUTE_PGM_RSRC2:TGID_Y_EN: 0
; COMPUTE_PGM_RSRC2:TGID_Z_EN: 0
; COMPUTE_PGM_RSRC2:TIDIG_COMP_CNT: 0
; COMPUTE_PGM_RSRC3_GFX90A:ACCUM_OFFSET: 0
; COMPUTE_PGM_RSRC3_GFX90A:TG_SPLIT: 0
	.section	.text._ZN7rocprim17ROCPRIM_400000_NS6detail17trampoline_kernelINS0_14default_configENS1_20scan_config_selectorIdEEZZNS1_9scan_implILNS1_25lookback_scan_determinismE0ELb0ELb0ES3_N6thrust23THRUST_200600_302600_NS6detail15normal_iteratorINS9_10device_ptrIdEEEENS9_16discard_iteratorINS9_11use_defaultEEEd11max_functorIdEdEEDaPvRmT3_T4_T5_mT6_P12ihipStream_tbENKUlT_T0_E_clISt17integral_constantIbLb1EESW_IbLb0EEEEDaSS_ST_EUlSS_E0_NS1_11comp_targetILNS1_3genE4ELNS1_11target_archE910ELNS1_3gpuE8ELNS1_3repE0EEENS1_30default_config_static_selectorELNS0_4arch9wavefront6targetE1EEEvT1_,"axG",@progbits,_ZN7rocprim17ROCPRIM_400000_NS6detail17trampoline_kernelINS0_14default_configENS1_20scan_config_selectorIdEEZZNS1_9scan_implILNS1_25lookback_scan_determinismE0ELb0ELb0ES3_N6thrust23THRUST_200600_302600_NS6detail15normal_iteratorINS9_10device_ptrIdEEEENS9_16discard_iteratorINS9_11use_defaultEEEd11max_functorIdEdEEDaPvRmT3_T4_T5_mT6_P12ihipStream_tbENKUlT_T0_E_clISt17integral_constantIbLb1EESW_IbLb0EEEEDaSS_ST_EUlSS_E0_NS1_11comp_targetILNS1_3genE4ELNS1_11target_archE910ELNS1_3gpuE8ELNS1_3repE0EEENS1_30default_config_static_selectorELNS0_4arch9wavefront6targetE1EEEvT1_,comdat
	.protected	_ZN7rocprim17ROCPRIM_400000_NS6detail17trampoline_kernelINS0_14default_configENS1_20scan_config_selectorIdEEZZNS1_9scan_implILNS1_25lookback_scan_determinismE0ELb0ELb0ES3_N6thrust23THRUST_200600_302600_NS6detail15normal_iteratorINS9_10device_ptrIdEEEENS9_16discard_iteratorINS9_11use_defaultEEEd11max_functorIdEdEEDaPvRmT3_T4_T5_mT6_P12ihipStream_tbENKUlT_T0_E_clISt17integral_constantIbLb1EESW_IbLb0EEEEDaSS_ST_EUlSS_E0_NS1_11comp_targetILNS1_3genE4ELNS1_11target_archE910ELNS1_3gpuE8ELNS1_3repE0EEENS1_30default_config_static_selectorELNS0_4arch9wavefront6targetE1EEEvT1_ ; -- Begin function _ZN7rocprim17ROCPRIM_400000_NS6detail17trampoline_kernelINS0_14default_configENS1_20scan_config_selectorIdEEZZNS1_9scan_implILNS1_25lookback_scan_determinismE0ELb0ELb0ES3_N6thrust23THRUST_200600_302600_NS6detail15normal_iteratorINS9_10device_ptrIdEEEENS9_16discard_iteratorINS9_11use_defaultEEEd11max_functorIdEdEEDaPvRmT3_T4_T5_mT6_P12ihipStream_tbENKUlT_T0_E_clISt17integral_constantIbLb1EESW_IbLb0EEEEDaSS_ST_EUlSS_E0_NS1_11comp_targetILNS1_3genE4ELNS1_11target_archE910ELNS1_3gpuE8ELNS1_3repE0EEENS1_30default_config_static_selectorELNS0_4arch9wavefront6targetE1EEEvT1_
	.globl	_ZN7rocprim17ROCPRIM_400000_NS6detail17trampoline_kernelINS0_14default_configENS1_20scan_config_selectorIdEEZZNS1_9scan_implILNS1_25lookback_scan_determinismE0ELb0ELb0ES3_N6thrust23THRUST_200600_302600_NS6detail15normal_iteratorINS9_10device_ptrIdEEEENS9_16discard_iteratorINS9_11use_defaultEEEd11max_functorIdEdEEDaPvRmT3_T4_T5_mT6_P12ihipStream_tbENKUlT_T0_E_clISt17integral_constantIbLb1EESW_IbLb0EEEEDaSS_ST_EUlSS_E0_NS1_11comp_targetILNS1_3genE4ELNS1_11target_archE910ELNS1_3gpuE8ELNS1_3repE0EEENS1_30default_config_static_selectorELNS0_4arch9wavefront6targetE1EEEvT1_
	.p2align	8
	.type	_ZN7rocprim17ROCPRIM_400000_NS6detail17trampoline_kernelINS0_14default_configENS1_20scan_config_selectorIdEEZZNS1_9scan_implILNS1_25lookback_scan_determinismE0ELb0ELb0ES3_N6thrust23THRUST_200600_302600_NS6detail15normal_iteratorINS9_10device_ptrIdEEEENS9_16discard_iteratorINS9_11use_defaultEEEd11max_functorIdEdEEDaPvRmT3_T4_T5_mT6_P12ihipStream_tbENKUlT_T0_E_clISt17integral_constantIbLb1EESW_IbLb0EEEEDaSS_ST_EUlSS_E0_NS1_11comp_targetILNS1_3genE4ELNS1_11target_archE910ELNS1_3gpuE8ELNS1_3repE0EEENS1_30default_config_static_selectorELNS0_4arch9wavefront6targetE1EEEvT1_,@function
_ZN7rocprim17ROCPRIM_400000_NS6detail17trampoline_kernelINS0_14default_configENS1_20scan_config_selectorIdEEZZNS1_9scan_implILNS1_25lookback_scan_determinismE0ELb0ELb0ES3_N6thrust23THRUST_200600_302600_NS6detail15normal_iteratorINS9_10device_ptrIdEEEENS9_16discard_iteratorINS9_11use_defaultEEEd11max_functorIdEdEEDaPvRmT3_T4_T5_mT6_P12ihipStream_tbENKUlT_T0_E_clISt17integral_constantIbLb1EESW_IbLb0EEEEDaSS_ST_EUlSS_E0_NS1_11comp_targetILNS1_3genE4ELNS1_11target_archE910ELNS1_3gpuE8ELNS1_3repE0EEENS1_30default_config_static_selectorELNS0_4arch9wavefront6targetE1EEEvT1_: ; @_ZN7rocprim17ROCPRIM_400000_NS6detail17trampoline_kernelINS0_14default_configENS1_20scan_config_selectorIdEEZZNS1_9scan_implILNS1_25lookback_scan_determinismE0ELb0ELb0ES3_N6thrust23THRUST_200600_302600_NS6detail15normal_iteratorINS9_10device_ptrIdEEEENS9_16discard_iteratorINS9_11use_defaultEEEd11max_functorIdEdEEDaPvRmT3_T4_T5_mT6_P12ihipStream_tbENKUlT_T0_E_clISt17integral_constantIbLb1EESW_IbLb0EEEEDaSS_ST_EUlSS_E0_NS1_11comp_targetILNS1_3genE4ELNS1_11target_archE910ELNS1_3gpuE8ELNS1_3repE0EEENS1_30default_config_static_selectorELNS0_4arch9wavefront6targetE1EEEvT1_
; %bb.0:
	s_load_dwordx4 s[0:3], s[4:5], 0x0
	v_lshlrev_b32_e32 v1, 3, v0
	s_waitcnt lgkmcnt(0)
	s_load_dwordx2 s[4:5], s[0:1], 0x0
	v_cmp_gt_u32_e32 vcc, s2, v0
	s_waitcnt lgkmcnt(0)
	v_pk_mov_b32 v[2:3], s[4:5], s[4:5] op_sel:[0,1]
	s_and_saveexec_b64 s[6:7], vcc
	s_cbranch_execz .LBB3037_2
; %bb.1:
	global_load_dwordx2 v[2:3], v1, s[0:1]
.LBB3037_2:
	s_or_b64 exec, exec, s[6:7]
	v_or_b32_e32 v4, 0x80, v0
	v_cmp_gt_u32_e32 vcc, s2, v4
	v_pk_mov_b32 v[4:5], s[4:5], s[4:5] op_sel:[0,1]
	s_and_saveexec_b64 s[6:7], vcc
	s_cbranch_execz .LBB3037_4
; %bb.3:
	global_load_dwordx2 v[4:5], v1, s[0:1] offset:1024
.LBB3037_4:
	s_or_b64 exec, exec, s[6:7]
	v_or_b32_e32 v6, 0x100, v0
	v_cmp_gt_u32_e32 vcc, s2, v6
	v_pk_mov_b32 v[6:7], s[4:5], s[4:5] op_sel:[0,1]
	s_and_saveexec_b64 s[6:7], vcc
	s_cbranch_execz .LBB3037_6
; %bb.5:
	global_load_dwordx2 v[6:7], v1, s[0:1] offset:2048
.LBB3037_6:
	;; [unrolled: 9-line block ×3, first 2 shown]
	s_or_b64 exec, exec, s[6:7]
	v_or_b32_e32 v12, 0x200, v0
	v_cmp_gt_u32_e32 vcc, s2, v12
	v_pk_mov_b32 v[10:11], s[4:5], s[4:5] op_sel:[0,1]
	s_and_saveexec_b64 s[6:7], vcc
	s_cbranch_execz .LBB3037_10
; %bb.9:
	v_lshlrev_b32_e32 v10, 3, v12
	global_load_dwordx2 v[10:11], v10, s[0:1]
.LBB3037_10:
	s_or_b64 exec, exec, s[6:7]
	v_or_b32_e32 v14, 0x280, v0
	v_cmp_gt_u32_e32 vcc, s2, v14
	v_pk_mov_b32 v[12:13], s[4:5], s[4:5] op_sel:[0,1]
	s_and_saveexec_b64 s[6:7], vcc
	s_cbranch_execz .LBB3037_12
; %bb.11:
	v_lshlrev_b32_e32 v12, 3, v14
	global_load_dwordx2 v[12:13], v12, s[0:1]
.LBB3037_12:
	;; [unrolled: 10-line block ×6, first 2 shown]
	s_or_b64 exec, exec, s[2:3]
	s_movk_i32 s0, 0x48
	s_waitcnt vmcnt(0)
	ds_write2st64_b64 v1, v[2:3], v[4:5] offset1:2
	ds_write2st64_b64 v1, v[6:7], v[8:9] offset0:4 offset1:6
	ds_write2st64_b64 v1, v[10:11], v[12:13] offset0:8 offset1:10
	;; [unrolled: 1-line block ×4, first 2 shown]
	v_mad_u32_u24 v14, v0, s0, v1
	s_waitcnt lgkmcnt(0)
	s_barrier
	ds_read_b128 v[2:5], v14
	ds_read_b128 v[18:21], v14 offset:16
	ds_read_b128 v[10:13], v14 offset:32
	;; [unrolled: 1-line block ×4, first 2 shown]
	s_waitcnt lgkmcnt(4)
	v_cmp_lt_f64_e32 vcc, v[2:3], v[4:5]
	v_cndmask_b32_e32 v23, v3, v5, vcc
	v_cndmask_b32_e32 v22, v2, v4, vcc
	s_waitcnt lgkmcnt(3)
	v_cmp_lt_f64_e32 vcc, v[22:23], v[18:19]
	v_cndmask_b32_e32 v23, v23, v19, vcc
	v_cndmask_b32_e32 v22, v22, v18, vcc
	v_cmp_lt_f64_e32 vcc, v[22:23], v[20:21]
	v_cndmask_b32_e32 v23, v23, v21, vcc
	v_cndmask_b32_e32 v22, v22, v20, vcc
	s_waitcnt lgkmcnt(2)
	v_cmp_lt_f64_e32 vcc, v[22:23], v[10:11]
	v_cndmask_b32_e32 v23, v23, v11, vcc
	v_cndmask_b32_e32 v22, v22, v10, vcc
	;; [unrolled: 7-line block ×4, first 2 shown]
	v_mbcnt_lo_u32_b32 v24, -1, 0
	v_cmp_lt_f64_e32 vcc, v[22:23], v[16:17]
	v_mbcnt_hi_u32_b32 v26, -1, v24
	v_cndmask_b32_e32 v23, v23, v17, vcc
	v_cndmask_b32_e32 v22, v22, v16, vcc
	v_and_b32_e32 v27, 15, v26
	v_mov_b32_dpp v25, v23 row_shr:1 row_mask:0xf bank_mask:0xf
	v_mov_b32_dpp v24, v22 row_shr:1 row_mask:0xf bank_mask:0xf
	v_cmp_ne_u32_e32 vcc, 0, v27
	s_barrier
	s_and_saveexec_b64 s[0:1], vcc
; %bb.21:
	v_cmp_gt_f64_e32 vcc, v[22:23], v[24:25]
	v_cndmask_b32_e32 v23, v25, v23, vcc
	v_cndmask_b32_e32 v22, v24, v22, vcc
; %bb.22:
	s_or_b64 exec, exec, s[0:1]
	s_nop 0
	v_mov_b32_dpp v24, v22 row_shr:2 row_mask:0xf bank_mask:0xf
	v_mov_b32_dpp v25, v23 row_shr:2 row_mask:0xf bank_mask:0xf
	v_cmp_lt_u32_e32 vcc, 1, v27
	s_and_saveexec_b64 s[0:1], vcc
; %bb.23:
	v_cmp_gt_f64_e32 vcc, v[22:23], v[24:25]
	v_cndmask_b32_e32 v23, v25, v23, vcc
	v_cndmask_b32_e32 v22, v24, v22, vcc
; %bb.24:
	s_or_b64 exec, exec, s[0:1]
	s_nop 0
	v_mov_b32_dpp v24, v22 row_shr:4 row_mask:0xf bank_mask:0xf
	v_mov_b32_dpp v25, v23 row_shr:4 row_mask:0xf bank_mask:0xf
	v_cmp_lt_u32_e32 vcc, 3, v27
	;; [unrolled: 11-line block ×3, first 2 shown]
	s_and_saveexec_b64 s[0:1], vcc
; %bb.27:
	v_cmp_gt_f64_e32 vcc, v[22:23], v[24:25]
	v_cndmask_b32_e32 v23, v25, v23, vcc
	v_cndmask_b32_e32 v22, v24, v22, vcc
; %bb.28:
	s_or_b64 exec, exec, s[0:1]
	v_and_b32_e32 v27, 16, v26
	v_mov_b32_dpp v24, v22 row_bcast:15 row_mask:0xf bank_mask:0xf
	v_mov_b32_dpp v25, v23 row_bcast:15 row_mask:0xf bank_mask:0xf
	v_cmp_ne_u32_e32 vcc, 0, v27
	s_and_saveexec_b64 s[0:1], vcc
; %bb.29:
	v_cmp_gt_f64_e32 vcc, v[22:23], v[24:25]
	v_cndmask_b32_e32 v23, v25, v23, vcc
	v_cndmask_b32_e32 v22, v24, v22, vcc
; %bb.30:
	s_or_b64 exec, exec, s[0:1]
	s_nop 0
	v_mov_b32_dpp v24, v22 row_bcast:31 row_mask:0xf bank_mask:0xf
	v_mov_b32_dpp v25, v23 row_bcast:31 row_mask:0xf bank_mask:0xf
	v_cmp_gt_f64_e32 vcc, v[22:23], v[24:25]
	v_cndmask_b32_e32 v24, v24, v22, vcc
	v_cndmask_b32_e32 v25, v25, v23, vcc
	v_cmp_lt_u32_e32 vcc, 31, v26
	v_cndmask_b32_e32 v22, v22, v24, vcc
	v_or_b32_e32 v24, 63, v0
	v_cndmask_b32_e32 v23, v23, v25, vcc
	v_lshrrev_b32_e32 v27, 6, v0
	v_cmp_eq_u32_e32 vcc, v24, v0
	s_and_saveexec_b64 s[0:1], vcc
	s_cbranch_execz .LBB3037_32
; %bb.31:
	v_lshlrev_b32_e32 v24, 3, v27
	ds_write_b64 v24, v[22:23]
.LBB3037_32:
	s_or_b64 exec, exec, s[0:1]
	v_cmp_gt_u32_e32 vcc, 2, v0
	s_waitcnt lgkmcnt(0)
	s_barrier
	s_and_saveexec_b64 s[2:3], vcc
	s_cbranch_execz .LBB3037_34
; %bb.33:
	ds_read_b64 v[24:25], v1
	v_and_b32_e32 v28, 1, v26
	v_cmp_eq_u32_e32 vcc, 0, v28
	s_waitcnt lgkmcnt(0)
	v_mov_b32_dpp v30, v25 row_shr:1 row_mask:0xf bank_mask:0xf
	v_mov_b32_dpp v28, v24 row_shr:1 row_mask:0xf bank_mask:0xf
	v_mov_b32_e32 v29, v30
	v_cmp_gt_f64_e64 s[0:1], v[24:25], v[28:29]
	s_or_b64 vcc, vcc, s[0:1]
	v_cndmask_b32_e32 v25, v30, v25, vcc
	v_cndmask_b32_e32 v24, v28, v24, vcc
	ds_write_b64 v1, v[24:25]
.LBB3037_34:
	s_or_b64 exec, exec, s[2:3]
	v_cmp_lt_u32_e32 vcc, 63, v0
	s_waitcnt lgkmcnt(0)
	s_barrier
	s_waitcnt lgkmcnt(0)
                                        ; implicit-def: $vgpr24_vgpr25
	s_and_saveexec_b64 s[0:1], vcc
	s_cbranch_execz .LBB3037_36
; %bb.35:
	v_lshl_add_u32 v24, v27, 3, -8
	ds_read_b64 v[24:25], v24
	s_waitcnt lgkmcnt(0)
	v_cmp_lt_f64_e32 vcc, v[24:25], v[22:23]
	v_cndmask_b32_e32 v23, v25, v23, vcc
	v_cndmask_b32_e32 v22, v24, v22, vcc
.LBB3037_36:
	s_or_b64 exec, exec, s[0:1]
	v_add_u32_e32 v27, -1, v26
	v_and_b32_e32 v28, 64, v26
	v_cmp_lt_i32_e32 vcc, v27, v28
	v_cndmask_b32_e32 v27, v27, v26, vcc
	v_lshlrev_b32_e32 v28, 2, v27
	ds_bpermute_b32 v27, v28, v22
	ds_bpermute_b32 v23, v28, v23
	v_mul_u32_u24_e32 v22, 0x48, v0
	v_cmp_ne_u32_e32 vcc, 0, v0
	s_and_saveexec_b64 s[0:1], vcc
	s_cbranch_execz .LBB3037_38
; %bb.37:
	v_cmp_eq_u32_e32 vcc, 0, v26
	s_waitcnt lgkmcnt(0)
	v_cndmask_b32_e32 v25, v23, v25, vcc
	v_cndmask_b32_e32 v24, v27, v24, vcc
	v_cmp_gt_f64_e32 vcc, v[2:3], v[24:25]
	v_cndmask_b32_e32 v3, v25, v3, vcc
	v_cndmask_b32_e32 v2, v24, v2, vcc
	;;#ASMSTART
	;;#ASMEND
.LBB3037_38:
	s_or_b64 exec, exec, s[0:1]
	v_cmp_gt_f64_e32 vcc, v[4:5], v[2:3]
	v_cndmask_b32_e32 v5, v3, v5, vcc
	v_cndmask_b32_e32 v4, v2, v4, vcc
	v_cmp_lt_f64_e32 vcc, v[4:5], v[18:19]
	v_cndmask_b32_e32 v19, v5, v19, vcc
	v_cndmask_b32_e32 v18, v4, v18, vcc
	v_cmp_lt_f64_e32 vcc, v[18:19], v[20:21]
	;; [unrolled: 3-line block ×8, first 2 shown]
	v_add_u32_e32 v0, v1, v22
	v_cndmask_b32_e32 v17, v15, v17, vcc
	v_cndmask_b32_e32 v16, v14, v16, vcc
	s_waitcnt lgkmcnt(0)
	s_barrier
	ds_write_b128 v0, v[2:5]
	ds_write_b128 v0, v[18:21] offset:16
	ds_write_b128 v0, v[10:13] offset:32
	;; [unrolled: 1-line block ×4, first 2 shown]
	s_waitcnt lgkmcnt(0)
	s_barrier
	s_endpgm
	.section	.rodata,"a",@progbits
	.p2align	6, 0x0
	.amdhsa_kernel _ZN7rocprim17ROCPRIM_400000_NS6detail17trampoline_kernelINS0_14default_configENS1_20scan_config_selectorIdEEZZNS1_9scan_implILNS1_25lookback_scan_determinismE0ELb0ELb0ES3_N6thrust23THRUST_200600_302600_NS6detail15normal_iteratorINS9_10device_ptrIdEEEENS9_16discard_iteratorINS9_11use_defaultEEEd11max_functorIdEdEEDaPvRmT3_T4_T5_mT6_P12ihipStream_tbENKUlT_T0_E_clISt17integral_constantIbLb1EESW_IbLb0EEEEDaSS_ST_EUlSS_E0_NS1_11comp_targetILNS1_3genE4ELNS1_11target_archE910ELNS1_3gpuE8ELNS1_3repE0EEENS1_30default_config_static_selectorELNS0_4arch9wavefront6targetE1EEEvT1_
		.amdhsa_group_segment_fixed_size 10240
		.amdhsa_private_segment_fixed_size 0
		.amdhsa_kernarg_size 48
		.amdhsa_user_sgpr_count 6
		.amdhsa_user_sgpr_private_segment_buffer 1
		.amdhsa_user_sgpr_dispatch_ptr 0
		.amdhsa_user_sgpr_queue_ptr 0
		.amdhsa_user_sgpr_kernarg_segment_ptr 1
		.amdhsa_user_sgpr_dispatch_id 0
		.amdhsa_user_sgpr_flat_scratch_init 0
		.amdhsa_user_sgpr_kernarg_preload_length 0
		.amdhsa_user_sgpr_kernarg_preload_offset 0
		.amdhsa_user_sgpr_private_segment_size 0
		.amdhsa_uses_dynamic_stack 0
		.amdhsa_system_sgpr_private_segment_wavefront_offset 0
		.amdhsa_system_sgpr_workgroup_id_x 1
		.amdhsa_system_sgpr_workgroup_id_y 0
		.amdhsa_system_sgpr_workgroup_id_z 0
		.amdhsa_system_sgpr_workgroup_info 0
		.amdhsa_system_vgpr_workitem_id 0
		.amdhsa_next_free_vgpr 31
		.amdhsa_next_free_sgpr 8
		.amdhsa_accum_offset 32
		.amdhsa_reserve_vcc 1
		.amdhsa_reserve_flat_scratch 0
		.amdhsa_float_round_mode_32 0
		.amdhsa_float_round_mode_16_64 0
		.amdhsa_float_denorm_mode_32 3
		.amdhsa_float_denorm_mode_16_64 3
		.amdhsa_dx10_clamp 1
		.amdhsa_ieee_mode 1
		.amdhsa_fp16_overflow 0
		.amdhsa_tg_split 0
		.amdhsa_exception_fp_ieee_invalid_op 0
		.amdhsa_exception_fp_denorm_src 0
		.amdhsa_exception_fp_ieee_div_zero 0
		.amdhsa_exception_fp_ieee_overflow 0
		.amdhsa_exception_fp_ieee_underflow 0
		.amdhsa_exception_fp_ieee_inexact 0
		.amdhsa_exception_int_div_zero 0
	.end_amdhsa_kernel
	.section	.text._ZN7rocprim17ROCPRIM_400000_NS6detail17trampoline_kernelINS0_14default_configENS1_20scan_config_selectorIdEEZZNS1_9scan_implILNS1_25lookback_scan_determinismE0ELb0ELb0ES3_N6thrust23THRUST_200600_302600_NS6detail15normal_iteratorINS9_10device_ptrIdEEEENS9_16discard_iteratorINS9_11use_defaultEEEd11max_functorIdEdEEDaPvRmT3_T4_T5_mT6_P12ihipStream_tbENKUlT_T0_E_clISt17integral_constantIbLb1EESW_IbLb0EEEEDaSS_ST_EUlSS_E0_NS1_11comp_targetILNS1_3genE4ELNS1_11target_archE910ELNS1_3gpuE8ELNS1_3repE0EEENS1_30default_config_static_selectorELNS0_4arch9wavefront6targetE1EEEvT1_,"axG",@progbits,_ZN7rocprim17ROCPRIM_400000_NS6detail17trampoline_kernelINS0_14default_configENS1_20scan_config_selectorIdEEZZNS1_9scan_implILNS1_25lookback_scan_determinismE0ELb0ELb0ES3_N6thrust23THRUST_200600_302600_NS6detail15normal_iteratorINS9_10device_ptrIdEEEENS9_16discard_iteratorINS9_11use_defaultEEEd11max_functorIdEdEEDaPvRmT3_T4_T5_mT6_P12ihipStream_tbENKUlT_T0_E_clISt17integral_constantIbLb1EESW_IbLb0EEEEDaSS_ST_EUlSS_E0_NS1_11comp_targetILNS1_3genE4ELNS1_11target_archE910ELNS1_3gpuE8ELNS1_3repE0EEENS1_30default_config_static_selectorELNS0_4arch9wavefront6targetE1EEEvT1_,comdat
.Lfunc_end3037:
	.size	_ZN7rocprim17ROCPRIM_400000_NS6detail17trampoline_kernelINS0_14default_configENS1_20scan_config_selectorIdEEZZNS1_9scan_implILNS1_25lookback_scan_determinismE0ELb0ELb0ES3_N6thrust23THRUST_200600_302600_NS6detail15normal_iteratorINS9_10device_ptrIdEEEENS9_16discard_iteratorINS9_11use_defaultEEEd11max_functorIdEdEEDaPvRmT3_T4_T5_mT6_P12ihipStream_tbENKUlT_T0_E_clISt17integral_constantIbLb1EESW_IbLb0EEEEDaSS_ST_EUlSS_E0_NS1_11comp_targetILNS1_3genE4ELNS1_11target_archE910ELNS1_3gpuE8ELNS1_3repE0EEENS1_30default_config_static_selectorELNS0_4arch9wavefront6targetE1EEEvT1_, .Lfunc_end3037-_ZN7rocprim17ROCPRIM_400000_NS6detail17trampoline_kernelINS0_14default_configENS1_20scan_config_selectorIdEEZZNS1_9scan_implILNS1_25lookback_scan_determinismE0ELb0ELb0ES3_N6thrust23THRUST_200600_302600_NS6detail15normal_iteratorINS9_10device_ptrIdEEEENS9_16discard_iteratorINS9_11use_defaultEEEd11max_functorIdEdEEDaPvRmT3_T4_T5_mT6_P12ihipStream_tbENKUlT_T0_E_clISt17integral_constantIbLb1EESW_IbLb0EEEEDaSS_ST_EUlSS_E0_NS1_11comp_targetILNS1_3genE4ELNS1_11target_archE910ELNS1_3gpuE8ELNS1_3repE0EEENS1_30default_config_static_selectorELNS0_4arch9wavefront6targetE1EEEvT1_
                                        ; -- End function
	.section	.AMDGPU.csdata,"",@progbits
; Kernel info:
; codeLenInByte = 1408
; NumSgprs: 12
; NumVgprs: 31
; NumAgprs: 0
; TotalNumVgprs: 31
; ScratchSize: 0
; MemoryBound: 0
; FloatMode: 240
; IeeeMode: 1
; LDSByteSize: 10240 bytes/workgroup (compile time only)
; SGPRBlocks: 1
; VGPRBlocks: 3
; NumSGPRsForWavesPerEU: 12
; NumVGPRsForWavesPerEU: 31
; AccumOffset: 32
; Occupancy: 3
; WaveLimiterHint : 0
; COMPUTE_PGM_RSRC2:SCRATCH_EN: 0
; COMPUTE_PGM_RSRC2:USER_SGPR: 6
; COMPUTE_PGM_RSRC2:TRAP_HANDLER: 0
; COMPUTE_PGM_RSRC2:TGID_X_EN: 1
; COMPUTE_PGM_RSRC2:TGID_Y_EN: 0
; COMPUTE_PGM_RSRC2:TGID_Z_EN: 0
; COMPUTE_PGM_RSRC2:TIDIG_COMP_CNT: 0
; COMPUTE_PGM_RSRC3_GFX90A:ACCUM_OFFSET: 7
; COMPUTE_PGM_RSRC3_GFX90A:TG_SPLIT: 0
	.section	.text._ZN7rocprim17ROCPRIM_400000_NS6detail17trampoline_kernelINS0_14default_configENS1_20scan_config_selectorIdEEZZNS1_9scan_implILNS1_25lookback_scan_determinismE0ELb0ELb0ES3_N6thrust23THRUST_200600_302600_NS6detail15normal_iteratorINS9_10device_ptrIdEEEENS9_16discard_iteratorINS9_11use_defaultEEEd11max_functorIdEdEEDaPvRmT3_T4_T5_mT6_P12ihipStream_tbENKUlT_T0_E_clISt17integral_constantIbLb1EESW_IbLb0EEEEDaSS_ST_EUlSS_E0_NS1_11comp_targetILNS1_3genE3ELNS1_11target_archE908ELNS1_3gpuE7ELNS1_3repE0EEENS1_30default_config_static_selectorELNS0_4arch9wavefront6targetE1EEEvT1_,"axG",@progbits,_ZN7rocprim17ROCPRIM_400000_NS6detail17trampoline_kernelINS0_14default_configENS1_20scan_config_selectorIdEEZZNS1_9scan_implILNS1_25lookback_scan_determinismE0ELb0ELb0ES3_N6thrust23THRUST_200600_302600_NS6detail15normal_iteratorINS9_10device_ptrIdEEEENS9_16discard_iteratorINS9_11use_defaultEEEd11max_functorIdEdEEDaPvRmT3_T4_T5_mT6_P12ihipStream_tbENKUlT_T0_E_clISt17integral_constantIbLb1EESW_IbLb0EEEEDaSS_ST_EUlSS_E0_NS1_11comp_targetILNS1_3genE3ELNS1_11target_archE908ELNS1_3gpuE7ELNS1_3repE0EEENS1_30default_config_static_selectorELNS0_4arch9wavefront6targetE1EEEvT1_,comdat
	.protected	_ZN7rocprim17ROCPRIM_400000_NS6detail17trampoline_kernelINS0_14default_configENS1_20scan_config_selectorIdEEZZNS1_9scan_implILNS1_25lookback_scan_determinismE0ELb0ELb0ES3_N6thrust23THRUST_200600_302600_NS6detail15normal_iteratorINS9_10device_ptrIdEEEENS9_16discard_iteratorINS9_11use_defaultEEEd11max_functorIdEdEEDaPvRmT3_T4_T5_mT6_P12ihipStream_tbENKUlT_T0_E_clISt17integral_constantIbLb1EESW_IbLb0EEEEDaSS_ST_EUlSS_E0_NS1_11comp_targetILNS1_3genE3ELNS1_11target_archE908ELNS1_3gpuE7ELNS1_3repE0EEENS1_30default_config_static_selectorELNS0_4arch9wavefront6targetE1EEEvT1_ ; -- Begin function _ZN7rocprim17ROCPRIM_400000_NS6detail17trampoline_kernelINS0_14default_configENS1_20scan_config_selectorIdEEZZNS1_9scan_implILNS1_25lookback_scan_determinismE0ELb0ELb0ES3_N6thrust23THRUST_200600_302600_NS6detail15normal_iteratorINS9_10device_ptrIdEEEENS9_16discard_iteratorINS9_11use_defaultEEEd11max_functorIdEdEEDaPvRmT3_T4_T5_mT6_P12ihipStream_tbENKUlT_T0_E_clISt17integral_constantIbLb1EESW_IbLb0EEEEDaSS_ST_EUlSS_E0_NS1_11comp_targetILNS1_3genE3ELNS1_11target_archE908ELNS1_3gpuE7ELNS1_3repE0EEENS1_30default_config_static_selectorELNS0_4arch9wavefront6targetE1EEEvT1_
	.globl	_ZN7rocprim17ROCPRIM_400000_NS6detail17trampoline_kernelINS0_14default_configENS1_20scan_config_selectorIdEEZZNS1_9scan_implILNS1_25lookback_scan_determinismE0ELb0ELb0ES3_N6thrust23THRUST_200600_302600_NS6detail15normal_iteratorINS9_10device_ptrIdEEEENS9_16discard_iteratorINS9_11use_defaultEEEd11max_functorIdEdEEDaPvRmT3_T4_T5_mT6_P12ihipStream_tbENKUlT_T0_E_clISt17integral_constantIbLb1EESW_IbLb0EEEEDaSS_ST_EUlSS_E0_NS1_11comp_targetILNS1_3genE3ELNS1_11target_archE908ELNS1_3gpuE7ELNS1_3repE0EEENS1_30default_config_static_selectorELNS0_4arch9wavefront6targetE1EEEvT1_
	.p2align	8
	.type	_ZN7rocprim17ROCPRIM_400000_NS6detail17trampoline_kernelINS0_14default_configENS1_20scan_config_selectorIdEEZZNS1_9scan_implILNS1_25lookback_scan_determinismE0ELb0ELb0ES3_N6thrust23THRUST_200600_302600_NS6detail15normal_iteratorINS9_10device_ptrIdEEEENS9_16discard_iteratorINS9_11use_defaultEEEd11max_functorIdEdEEDaPvRmT3_T4_T5_mT6_P12ihipStream_tbENKUlT_T0_E_clISt17integral_constantIbLb1EESW_IbLb0EEEEDaSS_ST_EUlSS_E0_NS1_11comp_targetILNS1_3genE3ELNS1_11target_archE908ELNS1_3gpuE7ELNS1_3repE0EEENS1_30default_config_static_selectorELNS0_4arch9wavefront6targetE1EEEvT1_,@function
_ZN7rocprim17ROCPRIM_400000_NS6detail17trampoline_kernelINS0_14default_configENS1_20scan_config_selectorIdEEZZNS1_9scan_implILNS1_25lookback_scan_determinismE0ELb0ELb0ES3_N6thrust23THRUST_200600_302600_NS6detail15normal_iteratorINS9_10device_ptrIdEEEENS9_16discard_iteratorINS9_11use_defaultEEEd11max_functorIdEdEEDaPvRmT3_T4_T5_mT6_P12ihipStream_tbENKUlT_T0_E_clISt17integral_constantIbLb1EESW_IbLb0EEEEDaSS_ST_EUlSS_E0_NS1_11comp_targetILNS1_3genE3ELNS1_11target_archE908ELNS1_3gpuE7ELNS1_3repE0EEENS1_30default_config_static_selectorELNS0_4arch9wavefront6targetE1EEEvT1_: ; @_ZN7rocprim17ROCPRIM_400000_NS6detail17trampoline_kernelINS0_14default_configENS1_20scan_config_selectorIdEEZZNS1_9scan_implILNS1_25lookback_scan_determinismE0ELb0ELb0ES3_N6thrust23THRUST_200600_302600_NS6detail15normal_iteratorINS9_10device_ptrIdEEEENS9_16discard_iteratorINS9_11use_defaultEEEd11max_functorIdEdEEDaPvRmT3_T4_T5_mT6_P12ihipStream_tbENKUlT_T0_E_clISt17integral_constantIbLb1EESW_IbLb0EEEEDaSS_ST_EUlSS_E0_NS1_11comp_targetILNS1_3genE3ELNS1_11target_archE908ELNS1_3gpuE7ELNS1_3repE0EEENS1_30default_config_static_selectorELNS0_4arch9wavefront6targetE1EEEvT1_
; %bb.0:
	.section	.rodata,"a",@progbits
	.p2align	6, 0x0
	.amdhsa_kernel _ZN7rocprim17ROCPRIM_400000_NS6detail17trampoline_kernelINS0_14default_configENS1_20scan_config_selectorIdEEZZNS1_9scan_implILNS1_25lookback_scan_determinismE0ELb0ELb0ES3_N6thrust23THRUST_200600_302600_NS6detail15normal_iteratorINS9_10device_ptrIdEEEENS9_16discard_iteratorINS9_11use_defaultEEEd11max_functorIdEdEEDaPvRmT3_T4_T5_mT6_P12ihipStream_tbENKUlT_T0_E_clISt17integral_constantIbLb1EESW_IbLb0EEEEDaSS_ST_EUlSS_E0_NS1_11comp_targetILNS1_3genE3ELNS1_11target_archE908ELNS1_3gpuE7ELNS1_3repE0EEENS1_30default_config_static_selectorELNS0_4arch9wavefront6targetE1EEEvT1_
		.amdhsa_group_segment_fixed_size 0
		.amdhsa_private_segment_fixed_size 0
		.amdhsa_kernarg_size 48
		.amdhsa_user_sgpr_count 6
		.amdhsa_user_sgpr_private_segment_buffer 1
		.amdhsa_user_sgpr_dispatch_ptr 0
		.amdhsa_user_sgpr_queue_ptr 0
		.amdhsa_user_sgpr_kernarg_segment_ptr 1
		.amdhsa_user_sgpr_dispatch_id 0
		.amdhsa_user_sgpr_flat_scratch_init 0
		.amdhsa_user_sgpr_kernarg_preload_length 0
		.amdhsa_user_sgpr_kernarg_preload_offset 0
		.amdhsa_user_sgpr_private_segment_size 0
		.amdhsa_uses_dynamic_stack 0
		.amdhsa_system_sgpr_private_segment_wavefront_offset 0
		.amdhsa_system_sgpr_workgroup_id_x 1
		.amdhsa_system_sgpr_workgroup_id_y 0
		.amdhsa_system_sgpr_workgroup_id_z 0
		.amdhsa_system_sgpr_workgroup_info 0
		.amdhsa_system_vgpr_workitem_id 0
		.amdhsa_next_free_vgpr 1
		.amdhsa_next_free_sgpr 0
		.amdhsa_accum_offset 4
		.amdhsa_reserve_vcc 0
		.amdhsa_reserve_flat_scratch 0
		.amdhsa_float_round_mode_32 0
		.amdhsa_float_round_mode_16_64 0
		.amdhsa_float_denorm_mode_32 3
		.amdhsa_float_denorm_mode_16_64 3
		.amdhsa_dx10_clamp 1
		.amdhsa_ieee_mode 1
		.amdhsa_fp16_overflow 0
		.amdhsa_tg_split 0
		.amdhsa_exception_fp_ieee_invalid_op 0
		.amdhsa_exception_fp_denorm_src 0
		.amdhsa_exception_fp_ieee_div_zero 0
		.amdhsa_exception_fp_ieee_overflow 0
		.amdhsa_exception_fp_ieee_underflow 0
		.amdhsa_exception_fp_ieee_inexact 0
		.amdhsa_exception_int_div_zero 0
	.end_amdhsa_kernel
	.section	.text._ZN7rocprim17ROCPRIM_400000_NS6detail17trampoline_kernelINS0_14default_configENS1_20scan_config_selectorIdEEZZNS1_9scan_implILNS1_25lookback_scan_determinismE0ELb0ELb0ES3_N6thrust23THRUST_200600_302600_NS6detail15normal_iteratorINS9_10device_ptrIdEEEENS9_16discard_iteratorINS9_11use_defaultEEEd11max_functorIdEdEEDaPvRmT3_T4_T5_mT6_P12ihipStream_tbENKUlT_T0_E_clISt17integral_constantIbLb1EESW_IbLb0EEEEDaSS_ST_EUlSS_E0_NS1_11comp_targetILNS1_3genE3ELNS1_11target_archE908ELNS1_3gpuE7ELNS1_3repE0EEENS1_30default_config_static_selectorELNS0_4arch9wavefront6targetE1EEEvT1_,"axG",@progbits,_ZN7rocprim17ROCPRIM_400000_NS6detail17trampoline_kernelINS0_14default_configENS1_20scan_config_selectorIdEEZZNS1_9scan_implILNS1_25lookback_scan_determinismE0ELb0ELb0ES3_N6thrust23THRUST_200600_302600_NS6detail15normal_iteratorINS9_10device_ptrIdEEEENS9_16discard_iteratorINS9_11use_defaultEEEd11max_functorIdEdEEDaPvRmT3_T4_T5_mT6_P12ihipStream_tbENKUlT_T0_E_clISt17integral_constantIbLb1EESW_IbLb0EEEEDaSS_ST_EUlSS_E0_NS1_11comp_targetILNS1_3genE3ELNS1_11target_archE908ELNS1_3gpuE7ELNS1_3repE0EEENS1_30default_config_static_selectorELNS0_4arch9wavefront6targetE1EEEvT1_,comdat
.Lfunc_end3038:
	.size	_ZN7rocprim17ROCPRIM_400000_NS6detail17trampoline_kernelINS0_14default_configENS1_20scan_config_selectorIdEEZZNS1_9scan_implILNS1_25lookback_scan_determinismE0ELb0ELb0ES3_N6thrust23THRUST_200600_302600_NS6detail15normal_iteratorINS9_10device_ptrIdEEEENS9_16discard_iteratorINS9_11use_defaultEEEd11max_functorIdEdEEDaPvRmT3_T4_T5_mT6_P12ihipStream_tbENKUlT_T0_E_clISt17integral_constantIbLb1EESW_IbLb0EEEEDaSS_ST_EUlSS_E0_NS1_11comp_targetILNS1_3genE3ELNS1_11target_archE908ELNS1_3gpuE7ELNS1_3repE0EEENS1_30default_config_static_selectorELNS0_4arch9wavefront6targetE1EEEvT1_, .Lfunc_end3038-_ZN7rocprim17ROCPRIM_400000_NS6detail17trampoline_kernelINS0_14default_configENS1_20scan_config_selectorIdEEZZNS1_9scan_implILNS1_25lookback_scan_determinismE0ELb0ELb0ES3_N6thrust23THRUST_200600_302600_NS6detail15normal_iteratorINS9_10device_ptrIdEEEENS9_16discard_iteratorINS9_11use_defaultEEEd11max_functorIdEdEEDaPvRmT3_T4_T5_mT6_P12ihipStream_tbENKUlT_T0_E_clISt17integral_constantIbLb1EESW_IbLb0EEEEDaSS_ST_EUlSS_E0_NS1_11comp_targetILNS1_3genE3ELNS1_11target_archE908ELNS1_3gpuE7ELNS1_3repE0EEENS1_30default_config_static_selectorELNS0_4arch9wavefront6targetE1EEEvT1_
                                        ; -- End function
	.section	.AMDGPU.csdata,"",@progbits
; Kernel info:
; codeLenInByte = 0
; NumSgprs: 4
; NumVgprs: 0
; NumAgprs: 0
; TotalNumVgprs: 0
; ScratchSize: 0
; MemoryBound: 0
; FloatMode: 240
; IeeeMode: 1
; LDSByteSize: 0 bytes/workgroup (compile time only)
; SGPRBlocks: 0
; VGPRBlocks: 0
; NumSGPRsForWavesPerEU: 4
; NumVGPRsForWavesPerEU: 1
; AccumOffset: 4
; Occupancy: 8
; WaveLimiterHint : 0
; COMPUTE_PGM_RSRC2:SCRATCH_EN: 0
; COMPUTE_PGM_RSRC2:USER_SGPR: 6
; COMPUTE_PGM_RSRC2:TRAP_HANDLER: 0
; COMPUTE_PGM_RSRC2:TGID_X_EN: 1
; COMPUTE_PGM_RSRC2:TGID_Y_EN: 0
; COMPUTE_PGM_RSRC2:TGID_Z_EN: 0
; COMPUTE_PGM_RSRC2:TIDIG_COMP_CNT: 0
; COMPUTE_PGM_RSRC3_GFX90A:ACCUM_OFFSET: 0
; COMPUTE_PGM_RSRC3_GFX90A:TG_SPLIT: 0
	.section	.text._ZN7rocprim17ROCPRIM_400000_NS6detail17trampoline_kernelINS0_14default_configENS1_20scan_config_selectorIdEEZZNS1_9scan_implILNS1_25lookback_scan_determinismE0ELb0ELb0ES3_N6thrust23THRUST_200600_302600_NS6detail15normal_iteratorINS9_10device_ptrIdEEEENS9_16discard_iteratorINS9_11use_defaultEEEd11max_functorIdEdEEDaPvRmT3_T4_T5_mT6_P12ihipStream_tbENKUlT_T0_E_clISt17integral_constantIbLb1EESW_IbLb0EEEEDaSS_ST_EUlSS_E0_NS1_11comp_targetILNS1_3genE2ELNS1_11target_archE906ELNS1_3gpuE6ELNS1_3repE0EEENS1_30default_config_static_selectorELNS0_4arch9wavefront6targetE1EEEvT1_,"axG",@progbits,_ZN7rocprim17ROCPRIM_400000_NS6detail17trampoline_kernelINS0_14default_configENS1_20scan_config_selectorIdEEZZNS1_9scan_implILNS1_25lookback_scan_determinismE0ELb0ELb0ES3_N6thrust23THRUST_200600_302600_NS6detail15normal_iteratorINS9_10device_ptrIdEEEENS9_16discard_iteratorINS9_11use_defaultEEEd11max_functorIdEdEEDaPvRmT3_T4_T5_mT6_P12ihipStream_tbENKUlT_T0_E_clISt17integral_constantIbLb1EESW_IbLb0EEEEDaSS_ST_EUlSS_E0_NS1_11comp_targetILNS1_3genE2ELNS1_11target_archE906ELNS1_3gpuE6ELNS1_3repE0EEENS1_30default_config_static_selectorELNS0_4arch9wavefront6targetE1EEEvT1_,comdat
	.protected	_ZN7rocprim17ROCPRIM_400000_NS6detail17trampoline_kernelINS0_14default_configENS1_20scan_config_selectorIdEEZZNS1_9scan_implILNS1_25lookback_scan_determinismE0ELb0ELb0ES3_N6thrust23THRUST_200600_302600_NS6detail15normal_iteratorINS9_10device_ptrIdEEEENS9_16discard_iteratorINS9_11use_defaultEEEd11max_functorIdEdEEDaPvRmT3_T4_T5_mT6_P12ihipStream_tbENKUlT_T0_E_clISt17integral_constantIbLb1EESW_IbLb0EEEEDaSS_ST_EUlSS_E0_NS1_11comp_targetILNS1_3genE2ELNS1_11target_archE906ELNS1_3gpuE6ELNS1_3repE0EEENS1_30default_config_static_selectorELNS0_4arch9wavefront6targetE1EEEvT1_ ; -- Begin function _ZN7rocprim17ROCPRIM_400000_NS6detail17trampoline_kernelINS0_14default_configENS1_20scan_config_selectorIdEEZZNS1_9scan_implILNS1_25lookback_scan_determinismE0ELb0ELb0ES3_N6thrust23THRUST_200600_302600_NS6detail15normal_iteratorINS9_10device_ptrIdEEEENS9_16discard_iteratorINS9_11use_defaultEEEd11max_functorIdEdEEDaPvRmT3_T4_T5_mT6_P12ihipStream_tbENKUlT_T0_E_clISt17integral_constantIbLb1EESW_IbLb0EEEEDaSS_ST_EUlSS_E0_NS1_11comp_targetILNS1_3genE2ELNS1_11target_archE906ELNS1_3gpuE6ELNS1_3repE0EEENS1_30default_config_static_selectorELNS0_4arch9wavefront6targetE1EEEvT1_
	.globl	_ZN7rocprim17ROCPRIM_400000_NS6detail17trampoline_kernelINS0_14default_configENS1_20scan_config_selectorIdEEZZNS1_9scan_implILNS1_25lookback_scan_determinismE0ELb0ELb0ES3_N6thrust23THRUST_200600_302600_NS6detail15normal_iteratorINS9_10device_ptrIdEEEENS9_16discard_iteratorINS9_11use_defaultEEEd11max_functorIdEdEEDaPvRmT3_T4_T5_mT6_P12ihipStream_tbENKUlT_T0_E_clISt17integral_constantIbLb1EESW_IbLb0EEEEDaSS_ST_EUlSS_E0_NS1_11comp_targetILNS1_3genE2ELNS1_11target_archE906ELNS1_3gpuE6ELNS1_3repE0EEENS1_30default_config_static_selectorELNS0_4arch9wavefront6targetE1EEEvT1_
	.p2align	8
	.type	_ZN7rocprim17ROCPRIM_400000_NS6detail17trampoline_kernelINS0_14default_configENS1_20scan_config_selectorIdEEZZNS1_9scan_implILNS1_25lookback_scan_determinismE0ELb0ELb0ES3_N6thrust23THRUST_200600_302600_NS6detail15normal_iteratorINS9_10device_ptrIdEEEENS9_16discard_iteratorINS9_11use_defaultEEEd11max_functorIdEdEEDaPvRmT3_T4_T5_mT6_P12ihipStream_tbENKUlT_T0_E_clISt17integral_constantIbLb1EESW_IbLb0EEEEDaSS_ST_EUlSS_E0_NS1_11comp_targetILNS1_3genE2ELNS1_11target_archE906ELNS1_3gpuE6ELNS1_3repE0EEENS1_30default_config_static_selectorELNS0_4arch9wavefront6targetE1EEEvT1_,@function
_ZN7rocprim17ROCPRIM_400000_NS6detail17trampoline_kernelINS0_14default_configENS1_20scan_config_selectorIdEEZZNS1_9scan_implILNS1_25lookback_scan_determinismE0ELb0ELb0ES3_N6thrust23THRUST_200600_302600_NS6detail15normal_iteratorINS9_10device_ptrIdEEEENS9_16discard_iteratorINS9_11use_defaultEEEd11max_functorIdEdEEDaPvRmT3_T4_T5_mT6_P12ihipStream_tbENKUlT_T0_E_clISt17integral_constantIbLb1EESW_IbLb0EEEEDaSS_ST_EUlSS_E0_NS1_11comp_targetILNS1_3genE2ELNS1_11target_archE906ELNS1_3gpuE6ELNS1_3repE0EEENS1_30default_config_static_selectorELNS0_4arch9wavefront6targetE1EEEvT1_: ; @_ZN7rocprim17ROCPRIM_400000_NS6detail17trampoline_kernelINS0_14default_configENS1_20scan_config_selectorIdEEZZNS1_9scan_implILNS1_25lookback_scan_determinismE0ELb0ELb0ES3_N6thrust23THRUST_200600_302600_NS6detail15normal_iteratorINS9_10device_ptrIdEEEENS9_16discard_iteratorINS9_11use_defaultEEEd11max_functorIdEdEEDaPvRmT3_T4_T5_mT6_P12ihipStream_tbENKUlT_T0_E_clISt17integral_constantIbLb1EESW_IbLb0EEEEDaSS_ST_EUlSS_E0_NS1_11comp_targetILNS1_3genE2ELNS1_11target_archE906ELNS1_3gpuE6ELNS1_3repE0EEENS1_30default_config_static_selectorELNS0_4arch9wavefront6targetE1EEEvT1_
; %bb.0:
	.section	.rodata,"a",@progbits
	.p2align	6, 0x0
	.amdhsa_kernel _ZN7rocprim17ROCPRIM_400000_NS6detail17trampoline_kernelINS0_14default_configENS1_20scan_config_selectorIdEEZZNS1_9scan_implILNS1_25lookback_scan_determinismE0ELb0ELb0ES3_N6thrust23THRUST_200600_302600_NS6detail15normal_iteratorINS9_10device_ptrIdEEEENS9_16discard_iteratorINS9_11use_defaultEEEd11max_functorIdEdEEDaPvRmT3_T4_T5_mT6_P12ihipStream_tbENKUlT_T0_E_clISt17integral_constantIbLb1EESW_IbLb0EEEEDaSS_ST_EUlSS_E0_NS1_11comp_targetILNS1_3genE2ELNS1_11target_archE906ELNS1_3gpuE6ELNS1_3repE0EEENS1_30default_config_static_selectorELNS0_4arch9wavefront6targetE1EEEvT1_
		.amdhsa_group_segment_fixed_size 0
		.amdhsa_private_segment_fixed_size 0
		.amdhsa_kernarg_size 48
		.amdhsa_user_sgpr_count 6
		.amdhsa_user_sgpr_private_segment_buffer 1
		.amdhsa_user_sgpr_dispatch_ptr 0
		.amdhsa_user_sgpr_queue_ptr 0
		.amdhsa_user_sgpr_kernarg_segment_ptr 1
		.amdhsa_user_sgpr_dispatch_id 0
		.amdhsa_user_sgpr_flat_scratch_init 0
		.amdhsa_user_sgpr_kernarg_preload_length 0
		.amdhsa_user_sgpr_kernarg_preload_offset 0
		.amdhsa_user_sgpr_private_segment_size 0
		.amdhsa_uses_dynamic_stack 0
		.amdhsa_system_sgpr_private_segment_wavefront_offset 0
		.amdhsa_system_sgpr_workgroup_id_x 1
		.amdhsa_system_sgpr_workgroup_id_y 0
		.amdhsa_system_sgpr_workgroup_id_z 0
		.amdhsa_system_sgpr_workgroup_info 0
		.amdhsa_system_vgpr_workitem_id 0
		.amdhsa_next_free_vgpr 1
		.amdhsa_next_free_sgpr 0
		.amdhsa_accum_offset 4
		.amdhsa_reserve_vcc 0
		.amdhsa_reserve_flat_scratch 0
		.amdhsa_float_round_mode_32 0
		.amdhsa_float_round_mode_16_64 0
		.amdhsa_float_denorm_mode_32 3
		.amdhsa_float_denorm_mode_16_64 3
		.amdhsa_dx10_clamp 1
		.amdhsa_ieee_mode 1
		.amdhsa_fp16_overflow 0
		.amdhsa_tg_split 0
		.amdhsa_exception_fp_ieee_invalid_op 0
		.amdhsa_exception_fp_denorm_src 0
		.amdhsa_exception_fp_ieee_div_zero 0
		.amdhsa_exception_fp_ieee_overflow 0
		.amdhsa_exception_fp_ieee_underflow 0
		.amdhsa_exception_fp_ieee_inexact 0
		.amdhsa_exception_int_div_zero 0
	.end_amdhsa_kernel
	.section	.text._ZN7rocprim17ROCPRIM_400000_NS6detail17trampoline_kernelINS0_14default_configENS1_20scan_config_selectorIdEEZZNS1_9scan_implILNS1_25lookback_scan_determinismE0ELb0ELb0ES3_N6thrust23THRUST_200600_302600_NS6detail15normal_iteratorINS9_10device_ptrIdEEEENS9_16discard_iteratorINS9_11use_defaultEEEd11max_functorIdEdEEDaPvRmT3_T4_T5_mT6_P12ihipStream_tbENKUlT_T0_E_clISt17integral_constantIbLb1EESW_IbLb0EEEEDaSS_ST_EUlSS_E0_NS1_11comp_targetILNS1_3genE2ELNS1_11target_archE906ELNS1_3gpuE6ELNS1_3repE0EEENS1_30default_config_static_selectorELNS0_4arch9wavefront6targetE1EEEvT1_,"axG",@progbits,_ZN7rocprim17ROCPRIM_400000_NS6detail17trampoline_kernelINS0_14default_configENS1_20scan_config_selectorIdEEZZNS1_9scan_implILNS1_25lookback_scan_determinismE0ELb0ELb0ES3_N6thrust23THRUST_200600_302600_NS6detail15normal_iteratorINS9_10device_ptrIdEEEENS9_16discard_iteratorINS9_11use_defaultEEEd11max_functorIdEdEEDaPvRmT3_T4_T5_mT6_P12ihipStream_tbENKUlT_T0_E_clISt17integral_constantIbLb1EESW_IbLb0EEEEDaSS_ST_EUlSS_E0_NS1_11comp_targetILNS1_3genE2ELNS1_11target_archE906ELNS1_3gpuE6ELNS1_3repE0EEENS1_30default_config_static_selectorELNS0_4arch9wavefront6targetE1EEEvT1_,comdat
.Lfunc_end3039:
	.size	_ZN7rocprim17ROCPRIM_400000_NS6detail17trampoline_kernelINS0_14default_configENS1_20scan_config_selectorIdEEZZNS1_9scan_implILNS1_25lookback_scan_determinismE0ELb0ELb0ES3_N6thrust23THRUST_200600_302600_NS6detail15normal_iteratorINS9_10device_ptrIdEEEENS9_16discard_iteratorINS9_11use_defaultEEEd11max_functorIdEdEEDaPvRmT3_T4_T5_mT6_P12ihipStream_tbENKUlT_T0_E_clISt17integral_constantIbLb1EESW_IbLb0EEEEDaSS_ST_EUlSS_E0_NS1_11comp_targetILNS1_3genE2ELNS1_11target_archE906ELNS1_3gpuE6ELNS1_3repE0EEENS1_30default_config_static_selectorELNS0_4arch9wavefront6targetE1EEEvT1_, .Lfunc_end3039-_ZN7rocprim17ROCPRIM_400000_NS6detail17trampoline_kernelINS0_14default_configENS1_20scan_config_selectorIdEEZZNS1_9scan_implILNS1_25lookback_scan_determinismE0ELb0ELb0ES3_N6thrust23THRUST_200600_302600_NS6detail15normal_iteratorINS9_10device_ptrIdEEEENS9_16discard_iteratorINS9_11use_defaultEEEd11max_functorIdEdEEDaPvRmT3_T4_T5_mT6_P12ihipStream_tbENKUlT_T0_E_clISt17integral_constantIbLb1EESW_IbLb0EEEEDaSS_ST_EUlSS_E0_NS1_11comp_targetILNS1_3genE2ELNS1_11target_archE906ELNS1_3gpuE6ELNS1_3repE0EEENS1_30default_config_static_selectorELNS0_4arch9wavefront6targetE1EEEvT1_
                                        ; -- End function
	.section	.AMDGPU.csdata,"",@progbits
; Kernel info:
; codeLenInByte = 0
; NumSgprs: 4
; NumVgprs: 0
; NumAgprs: 0
; TotalNumVgprs: 0
; ScratchSize: 0
; MemoryBound: 0
; FloatMode: 240
; IeeeMode: 1
; LDSByteSize: 0 bytes/workgroup (compile time only)
; SGPRBlocks: 0
; VGPRBlocks: 0
; NumSGPRsForWavesPerEU: 4
; NumVGPRsForWavesPerEU: 1
; AccumOffset: 4
; Occupancy: 8
; WaveLimiterHint : 0
; COMPUTE_PGM_RSRC2:SCRATCH_EN: 0
; COMPUTE_PGM_RSRC2:USER_SGPR: 6
; COMPUTE_PGM_RSRC2:TRAP_HANDLER: 0
; COMPUTE_PGM_RSRC2:TGID_X_EN: 1
; COMPUTE_PGM_RSRC2:TGID_Y_EN: 0
; COMPUTE_PGM_RSRC2:TGID_Z_EN: 0
; COMPUTE_PGM_RSRC2:TIDIG_COMP_CNT: 0
; COMPUTE_PGM_RSRC3_GFX90A:ACCUM_OFFSET: 0
; COMPUTE_PGM_RSRC3_GFX90A:TG_SPLIT: 0
	.section	.text._ZN7rocprim17ROCPRIM_400000_NS6detail17trampoline_kernelINS0_14default_configENS1_20scan_config_selectorIdEEZZNS1_9scan_implILNS1_25lookback_scan_determinismE0ELb0ELb0ES3_N6thrust23THRUST_200600_302600_NS6detail15normal_iteratorINS9_10device_ptrIdEEEENS9_16discard_iteratorINS9_11use_defaultEEEd11max_functorIdEdEEDaPvRmT3_T4_T5_mT6_P12ihipStream_tbENKUlT_T0_E_clISt17integral_constantIbLb1EESW_IbLb0EEEEDaSS_ST_EUlSS_E0_NS1_11comp_targetILNS1_3genE10ELNS1_11target_archE1201ELNS1_3gpuE5ELNS1_3repE0EEENS1_30default_config_static_selectorELNS0_4arch9wavefront6targetE1EEEvT1_,"axG",@progbits,_ZN7rocprim17ROCPRIM_400000_NS6detail17trampoline_kernelINS0_14default_configENS1_20scan_config_selectorIdEEZZNS1_9scan_implILNS1_25lookback_scan_determinismE0ELb0ELb0ES3_N6thrust23THRUST_200600_302600_NS6detail15normal_iteratorINS9_10device_ptrIdEEEENS9_16discard_iteratorINS9_11use_defaultEEEd11max_functorIdEdEEDaPvRmT3_T4_T5_mT6_P12ihipStream_tbENKUlT_T0_E_clISt17integral_constantIbLb1EESW_IbLb0EEEEDaSS_ST_EUlSS_E0_NS1_11comp_targetILNS1_3genE10ELNS1_11target_archE1201ELNS1_3gpuE5ELNS1_3repE0EEENS1_30default_config_static_selectorELNS0_4arch9wavefront6targetE1EEEvT1_,comdat
	.protected	_ZN7rocprim17ROCPRIM_400000_NS6detail17trampoline_kernelINS0_14default_configENS1_20scan_config_selectorIdEEZZNS1_9scan_implILNS1_25lookback_scan_determinismE0ELb0ELb0ES3_N6thrust23THRUST_200600_302600_NS6detail15normal_iteratorINS9_10device_ptrIdEEEENS9_16discard_iteratorINS9_11use_defaultEEEd11max_functorIdEdEEDaPvRmT3_T4_T5_mT6_P12ihipStream_tbENKUlT_T0_E_clISt17integral_constantIbLb1EESW_IbLb0EEEEDaSS_ST_EUlSS_E0_NS1_11comp_targetILNS1_3genE10ELNS1_11target_archE1201ELNS1_3gpuE5ELNS1_3repE0EEENS1_30default_config_static_selectorELNS0_4arch9wavefront6targetE1EEEvT1_ ; -- Begin function _ZN7rocprim17ROCPRIM_400000_NS6detail17trampoline_kernelINS0_14default_configENS1_20scan_config_selectorIdEEZZNS1_9scan_implILNS1_25lookback_scan_determinismE0ELb0ELb0ES3_N6thrust23THRUST_200600_302600_NS6detail15normal_iteratorINS9_10device_ptrIdEEEENS9_16discard_iteratorINS9_11use_defaultEEEd11max_functorIdEdEEDaPvRmT3_T4_T5_mT6_P12ihipStream_tbENKUlT_T0_E_clISt17integral_constantIbLb1EESW_IbLb0EEEEDaSS_ST_EUlSS_E0_NS1_11comp_targetILNS1_3genE10ELNS1_11target_archE1201ELNS1_3gpuE5ELNS1_3repE0EEENS1_30default_config_static_selectorELNS0_4arch9wavefront6targetE1EEEvT1_
	.globl	_ZN7rocprim17ROCPRIM_400000_NS6detail17trampoline_kernelINS0_14default_configENS1_20scan_config_selectorIdEEZZNS1_9scan_implILNS1_25lookback_scan_determinismE0ELb0ELb0ES3_N6thrust23THRUST_200600_302600_NS6detail15normal_iteratorINS9_10device_ptrIdEEEENS9_16discard_iteratorINS9_11use_defaultEEEd11max_functorIdEdEEDaPvRmT3_T4_T5_mT6_P12ihipStream_tbENKUlT_T0_E_clISt17integral_constantIbLb1EESW_IbLb0EEEEDaSS_ST_EUlSS_E0_NS1_11comp_targetILNS1_3genE10ELNS1_11target_archE1201ELNS1_3gpuE5ELNS1_3repE0EEENS1_30default_config_static_selectorELNS0_4arch9wavefront6targetE1EEEvT1_
	.p2align	8
	.type	_ZN7rocprim17ROCPRIM_400000_NS6detail17trampoline_kernelINS0_14default_configENS1_20scan_config_selectorIdEEZZNS1_9scan_implILNS1_25lookback_scan_determinismE0ELb0ELb0ES3_N6thrust23THRUST_200600_302600_NS6detail15normal_iteratorINS9_10device_ptrIdEEEENS9_16discard_iteratorINS9_11use_defaultEEEd11max_functorIdEdEEDaPvRmT3_T4_T5_mT6_P12ihipStream_tbENKUlT_T0_E_clISt17integral_constantIbLb1EESW_IbLb0EEEEDaSS_ST_EUlSS_E0_NS1_11comp_targetILNS1_3genE10ELNS1_11target_archE1201ELNS1_3gpuE5ELNS1_3repE0EEENS1_30default_config_static_selectorELNS0_4arch9wavefront6targetE1EEEvT1_,@function
_ZN7rocprim17ROCPRIM_400000_NS6detail17trampoline_kernelINS0_14default_configENS1_20scan_config_selectorIdEEZZNS1_9scan_implILNS1_25lookback_scan_determinismE0ELb0ELb0ES3_N6thrust23THRUST_200600_302600_NS6detail15normal_iteratorINS9_10device_ptrIdEEEENS9_16discard_iteratorINS9_11use_defaultEEEd11max_functorIdEdEEDaPvRmT3_T4_T5_mT6_P12ihipStream_tbENKUlT_T0_E_clISt17integral_constantIbLb1EESW_IbLb0EEEEDaSS_ST_EUlSS_E0_NS1_11comp_targetILNS1_3genE10ELNS1_11target_archE1201ELNS1_3gpuE5ELNS1_3repE0EEENS1_30default_config_static_selectorELNS0_4arch9wavefront6targetE1EEEvT1_: ; @_ZN7rocprim17ROCPRIM_400000_NS6detail17trampoline_kernelINS0_14default_configENS1_20scan_config_selectorIdEEZZNS1_9scan_implILNS1_25lookback_scan_determinismE0ELb0ELb0ES3_N6thrust23THRUST_200600_302600_NS6detail15normal_iteratorINS9_10device_ptrIdEEEENS9_16discard_iteratorINS9_11use_defaultEEEd11max_functorIdEdEEDaPvRmT3_T4_T5_mT6_P12ihipStream_tbENKUlT_T0_E_clISt17integral_constantIbLb1EESW_IbLb0EEEEDaSS_ST_EUlSS_E0_NS1_11comp_targetILNS1_3genE10ELNS1_11target_archE1201ELNS1_3gpuE5ELNS1_3repE0EEENS1_30default_config_static_selectorELNS0_4arch9wavefront6targetE1EEEvT1_
; %bb.0:
	.section	.rodata,"a",@progbits
	.p2align	6, 0x0
	.amdhsa_kernel _ZN7rocprim17ROCPRIM_400000_NS6detail17trampoline_kernelINS0_14default_configENS1_20scan_config_selectorIdEEZZNS1_9scan_implILNS1_25lookback_scan_determinismE0ELb0ELb0ES3_N6thrust23THRUST_200600_302600_NS6detail15normal_iteratorINS9_10device_ptrIdEEEENS9_16discard_iteratorINS9_11use_defaultEEEd11max_functorIdEdEEDaPvRmT3_T4_T5_mT6_P12ihipStream_tbENKUlT_T0_E_clISt17integral_constantIbLb1EESW_IbLb0EEEEDaSS_ST_EUlSS_E0_NS1_11comp_targetILNS1_3genE10ELNS1_11target_archE1201ELNS1_3gpuE5ELNS1_3repE0EEENS1_30default_config_static_selectorELNS0_4arch9wavefront6targetE1EEEvT1_
		.amdhsa_group_segment_fixed_size 0
		.amdhsa_private_segment_fixed_size 0
		.amdhsa_kernarg_size 48
		.amdhsa_user_sgpr_count 6
		.amdhsa_user_sgpr_private_segment_buffer 1
		.amdhsa_user_sgpr_dispatch_ptr 0
		.amdhsa_user_sgpr_queue_ptr 0
		.amdhsa_user_sgpr_kernarg_segment_ptr 1
		.amdhsa_user_sgpr_dispatch_id 0
		.amdhsa_user_sgpr_flat_scratch_init 0
		.amdhsa_user_sgpr_kernarg_preload_length 0
		.amdhsa_user_sgpr_kernarg_preload_offset 0
		.amdhsa_user_sgpr_private_segment_size 0
		.amdhsa_uses_dynamic_stack 0
		.amdhsa_system_sgpr_private_segment_wavefront_offset 0
		.amdhsa_system_sgpr_workgroup_id_x 1
		.amdhsa_system_sgpr_workgroup_id_y 0
		.amdhsa_system_sgpr_workgroup_id_z 0
		.amdhsa_system_sgpr_workgroup_info 0
		.amdhsa_system_vgpr_workitem_id 0
		.amdhsa_next_free_vgpr 1
		.amdhsa_next_free_sgpr 0
		.amdhsa_accum_offset 4
		.amdhsa_reserve_vcc 0
		.amdhsa_reserve_flat_scratch 0
		.amdhsa_float_round_mode_32 0
		.amdhsa_float_round_mode_16_64 0
		.amdhsa_float_denorm_mode_32 3
		.amdhsa_float_denorm_mode_16_64 3
		.amdhsa_dx10_clamp 1
		.amdhsa_ieee_mode 1
		.amdhsa_fp16_overflow 0
		.amdhsa_tg_split 0
		.amdhsa_exception_fp_ieee_invalid_op 0
		.amdhsa_exception_fp_denorm_src 0
		.amdhsa_exception_fp_ieee_div_zero 0
		.amdhsa_exception_fp_ieee_overflow 0
		.amdhsa_exception_fp_ieee_underflow 0
		.amdhsa_exception_fp_ieee_inexact 0
		.amdhsa_exception_int_div_zero 0
	.end_amdhsa_kernel
	.section	.text._ZN7rocprim17ROCPRIM_400000_NS6detail17trampoline_kernelINS0_14default_configENS1_20scan_config_selectorIdEEZZNS1_9scan_implILNS1_25lookback_scan_determinismE0ELb0ELb0ES3_N6thrust23THRUST_200600_302600_NS6detail15normal_iteratorINS9_10device_ptrIdEEEENS9_16discard_iteratorINS9_11use_defaultEEEd11max_functorIdEdEEDaPvRmT3_T4_T5_mT6_P12ihipStream_tbENKUlT_T0_E_clISt17integral_constantIbLb1EESW_IbLb0EEEEDaSS_ST_EUlSS_E0_NS1_11comp_targetILNS1_3genE10ELNS1_11target_archE1201ELNS1_3gpuE5ELNS1_3repE0EEENS1_30default_config_static_selectorELNS0_4arch9wavefront6targetE1EEEvT1_,"axG",@progbits,_ZN7rocprim17ROCPRIM_400000_NS6detail17trampoline_kernelINS0_14default_configENS1_20scan_config_selectorIdEEZZNS1_9scan_implILNS1_25lookback_scan_determinismE0ELb0ELb0ES3_N6thrust23THRUST_200600_302600_NS6detail15normal_iteratorINS9_10device_ptrIdEEEENS9_16discard_iteratorINS9_11use_defaultEEEd11max_functorIdEdEEDaPvRmT3_T4_T5_mT6_P12ihipStream_tbENKUlT_T0_E_clISt17integral_constantIbLb1EESW_IbLb0EEEEDaSS_ST_EUlSS_E0_NS1_11comp_targetILNS1_3genE10ELNS1_11target_archE1201ELNS1_3gpuE5ELNS1_3repE0EEENS1_30default_config_static_selectorELNS0_4arch9wavefront6targetE1EEEvT1_,comdat
.Lfunc_end3040:
	.size	_ZN7rocprim17ROCPRIM_400000_NS6detail17trampoline_kernelINS0_14default_configENS1_20scan_config_selectorIdEEZZNS1_9scan_implILNS1_25lookback_scan_determinismE0ELb0ELb0ES3_N6thrust23THRUST_200600_302600_NS6detail15normal_iteratorINS9_10device_ptrIdEEEENS9_16discard_iteratorINS9_11use_defaultEEEd11max_functorIdEdEEDaPvRmT3_T4_T5_mT6_P12ihipStream_tbENKUlT_T0_E_clISt17integral_constantIbLb1EESW_IbLb0EEEEDaSS_ST_EUlSS_E0_NS1_11comp_targetILNS1_3genE10ELNS1_11target_archE1201ELNS1_3gpuE5ELNS1_3repE0EEENS1_30default_config_static_selectorELNS0_4arch9wavefront6targetE1EEEvT1_, .Lfunc_end3040-_ZN7rocprim17ROCPRIM_400000_NS6detail17trampoline_kernelINS0_14default_configENS1_20scan_config_selectorIdEEZZNS1_9scan_implILNS1_25lookback_scan_determinismE0ELb0ELb0ES3_N6thrust23THRUST_200600_302600_NS6detail15normal_iteratorINS9_10device_ptrIdEEEENS9_16discard_iteratorINS9_11use_defaultEEEd11max_functorIdEdEEDaPvRmT3_T4_T5_mT6_P12ihipStream_tbENKUlT_T0_E_clISt17integral_constantIbLb1EESW_IbLb0EEEEDaSS_ST_EUlSS_E0_NS1_11comp_targetILNS1_3genE10ELNS1_11target_archE1201ELNS1_3gpuE5ELNS1_3repE0EEENS1_30default_config_static_selectorELNS0_4arch9wavefront6targetE1EEEvT1_
                                        ; -- End function
	.section	.AMDGPU.csdata,"",@progbits
; Kernel info:
; codeLenInByte = 0
; NumSgprs: 4
; NumVgprs: 0
; NumAgprs: 0
; TotalNumVgprs: 0
; ScratchSize: 0
; MemoryBound: 0
; FloatMode: 240
; IeeeMode: 1
; LDSByteSize: 0 bytes/workgroup (compile time only)
; SGPRBlocks: 0
; VGPRBlocks: 0
; NumSGPRsForWavesPerEU: 4
; NumVGPRsForWavesPerEU: 1
; AccumOffset: 4
; Occupancy: 8
; WaveLimiterHint : 0
; COMPUTE_PGM_RSRC2:SCRATCH_EN: 0
; COMPUTE_PGM_RSRC2:USER_SGPR: 6
; COMPUTE_PGM_RSRC2:TRAP_HANDLER: 0
; COMPUTE_PGM_RSRC2:TGID_X_EN: 1
; COMPUTE_PGM_RSRC2:TGID_Y_EN: 0
; COMPUTE_PGM_RSRC2:TGID_Z_EN: 0
; COMPUTE_PGM_RSRC2:TIDIG_COMP_CNT: 0
; COMPUTE_PGM_RSRC3_GFX90A:ACCUM_OFFSET: 0
; COMPUTE_PGM_RSRC3_GFX90A:TG_SPLIT: 0
	.section	.text._ZN7rocprim17ROCPRIM_400000_NS6detail17trampoline_kernelINS0_14default_configENS1_20scan_config_selectorIdEEZZNS1_9scan_implILNS1_25lookback_scan_determinismE0ELb0ELb0ES3_N6thrust23THRUST_200600_302600_NS6detail15normal_iteratorINS9_10device_ptrIdEEEENS9_16discard_iteratorINS9_11use_defaultEEEd11max_functorIdEdEEDaPvRmT3_T4_T5_mT6_P12ihipStream_tbENKUlT_T0_E_clISt17integral_constantIbLb1EESW_IbLb0EEEEDaSS_ST_EUlSS_E0_NS1_11comp_targetILNS1_3genE10ELNS1_11target_archE1200ELNS1_3gpuE4ELNS1_3repE0EEENS1_30default_config_static_selectorELNS0_4arch9wavefront6targetE1EEEvT1_,"axG",@progbits,_ZN7rocprim17ROCPRIM_400000_NS6detail17trampoline_kernelINS0_14default_configENS1_20scan_config_selectorIdEEZZNS1_9scan_implILNS1_25lookback_scan_determinismE0ELb0ELb0ES3_N6thrust23THRUST_200600_302600_NS6detail15normal_iteratorINS9_10device_ptrIdEEEENS9_16discard_iteratorINS9_11use_defaultEEEd11max_functorIdEdEEDaPvRmT3_T4_T5_mT6_P12ihipStream_tbENKUlT_T0_E_clISt17integral_constantIbLb1EESW_IbLb0EEEEDaSS_ST_EUlSS_E0_NS1_11comp_targetILNS1_3genE10ELNS1_11target_archE1200ELNS1_3gpuE4ELNS1_3repE0EEENS1_30default_config_static_selectorELNS0_4arch9wavefront6targetE1EEEvT1_,comdat
	.protected	_ZN7rocprim17ROCPRIM_400000_NS6detail17trampoline_kernelINS0_14default_configENS1_20scan_config_selectorIdEEZZNS1_9scan_implILNS1_25lookback_scan_determinismE0ELb0ELb0ES3_N6thrust23THRUST_200600_302600_NS6detail15normal_iteratorINS9_10device_ptrIdEEEENS9_16discard_iteratorINS9_11use_defaultEEEd11max_functorIdEdEEDaPvRmT3_T4_T5_mT6_P12ihipStream_tbENKUlT_T0_E_clISt17integral_constantIbLb1EESW_IbLb0EEEEDaSS_ST_EUlSS_E0_NS1_11comp_targetILNS1_3genE10ELNS1_11target_archE1200ELNS1_3gpuE4ELNS1_3repE0EEENS1_30default_config_static_selectorELNS0_4arch9wavefront6targetE1EEEvT1_ ; -- Begin function _ZN7rocprim17ROCPRIM_400000_NS6detail17trampoline_kernelINS0_14default_configENS1_20scan_config_selectorIdEEZZNS1_9scan_implILNS1_25lookback_scan_determinismE0ELb0ELb0ES3_N6thrust23THRUST_200600_302600_NS6detail15normal_iteratorINS9_10device_ptrIdEEEENS9_16discard_iteratorINS9_11use_defaultEEEd11max_functorIdEdEEDaPvRmT3_T4_T5_mT6_P12ihipStream_tbENKUlT_T0_E_clISt17integral_constantIbLb1EESW_IbLb0EEEEDaSS_ST_EUlSS_E0_NS1_11comp_targetILNS1_3genE10ELNS1_11target_archE1200ELNS1_3gpuE4ELNS1_3repE0EEENS1_30default_config_static_selectorELNS0_4arch9wavefront6targetE1EEEvT1_
	.globl	_ZN7rocprim17ROCPRIM_400000_NS6detail17trampoline_kernelINS0_14default_configENS1_20scan_config_selectorIdEEZZNS1_9scan_implILNS1_25lookback_scan_determinismE0ELb0ELb0ES3_N6thrust23THRUST_200600_302600_NS6detail15normal_iteratorINS9_10device_ptrIdEEEENS9_16discard_iteratorINS9_11use_defaultEEEd11max_functorIdEdEEDaPvRmT3_T4_T5_mT6_P12ihipStream_tbENKUlT_T0_E_clISt17integral_constantIbLb1EESW_IbLb0EEEEDaSS_ST_EUlSS_E0_NS1_11comp_targetILNS1_3genE10ELNS1_11target_archE1200ELNS1_3gpuE4ELNS1_3repE0EEENS1_30default_config_static_selectorELNS0_4arch9wavefront6targetE1EEEvT1_
	.p2align	8
	.type	_ZN7rocprim17ROCPRIM_400000_NS6detail17trampoline_kernelINS0_14default_configENS1_20scan_config_selectorIdEEZZNS1_9scan_implILNS1_25lookback_scan_determinismE0ELb0ELb0ES3_N6thrust23THRUST_200600_302600_NS6detail15normal_iteratorINS9_10device_ptrIdEEEENS9_16discard_iteratorINS9_11use_defaultEEEd11max_functorIdEdEEDaPvRmT3_T4_T5_mT6_P12ihipStream_tbENKUlT_T0_E_clISt17integral_constantIbLb1EESW_IbLb0EEEEDaSS_ST_EUlSS_E0_NS1_11comp_targetILNS1_3genE10ELNS1_11target_archE1200ELNS1_3gpuE4ELNS1_3repE0EEENS1_30default_config_static_selectorELNS0_4arch9wavefront6targetE1EEEvT1_,@function
_ZN7rocprim17ROCPRIM_400000_NS6detail17trampoline_kernelINS0_14default_configENS1_20scan_config_selectorIdEEZZNS1_9scan_implILNS1_25lookback_scan_determinismE0ELb0ELb0ES3_N6thrust23THRUST_200600_302600_NS6detail15normal_iteratorINS9_10device_ptrIdEEEENS9_16discard_iteratorINS9_11use_defaultEEEd11max_functorIdEdEEDaPvRmT3_T4_T5_mT6_P12ihipStream_tbENKUlT_T0_E_clISt17integral_constantIbLb1EESW_IbLb0EEEEDaSS_ST_EUlSS_E0_NS1_11comp_targetILNS1_3genE10ELNS1_11target_archE1200ELNS1_3gpuE4ELNS1_3repE0EEENS1_30default_config_static_selectorELNS0_4arch9wavefront6targetE1EEEvT1_: ; @_ZN7rocprim17ROCPRIM_400000_NS6detail17trampoline_kernelINS0_14default_configENS1_20scan_config_selectorIdEEZZNS1_9scan_implILNS1_25lookback_scan_determinismE0ELb0ELb0ES3_N6thrust23THRUST_200600_302600_NS6detail15normal_iteratorINS9_10device_ptrIdEEEENS9_16discard_iteratorINS9_11use_defaultEEEd11max_functorIdEdEEDaPvRmT3_T4_T5_mT6_P12ihipStream_tbENKUlT_T0_E_clISt17integral_constantIbLb1EESW_IbLb0EEEEDaSS_ST_EUlSS_E0_NS1_11comp_targetILNS1_3genE10ELNS1_11target_archE1200ELNS1_3gpuE4ELNS1_3repE0EEENS1_30default_config_static_selectorELNS0_4arch9wavefront6targetE1EEEvT1_
; %bb.0:
	.section	.rodata,"a",@progbits
	.p2align	6, 0x0
	.amdhsa_kernel _ZN7rocprim17ROCPRIM_400000_NS6detail17trampoline_kernelINS0_14default_configENS1_20scan_config_selectorIdEEZZNS1_9scan_implILNS1_25lookback_scan_determinismE0ELb0ELb0ES3_N6thrust23THRUST_200600_302600_NS6detail15normal_iteratorINS9_10device_ptrIdEEEENS9_16discard_iteratorINS9_11use_defaultEEEd11max_functorIdEdEEDaPvRmT3_T4_T5_mT6_P12ihipStream_tbENKUlT_T0_E_clISt17integral_constantIbLb1EESW_IbLb0EEEEDaSS_ST_EUlSS_E0_NS1_11comp_targetILNS1_3genE10ELNS1_11target_archE1200ELNS1_3gpuE4ELNS1_3repE0EEENS1_30default_config_static_selectorELNS0_4arch9wavefront6targetE1EEEvT1_
		.amdhsa_group_segment_fixed_size 0
		.amdhsa_private_segment_fixed_size 0
		.amdhsa_kernarg_size 48
		.amdhsa_user_sgpr_count 6
		.amdhsa_user_sgpr_private_segment_buffer 1
		.amdhsa_user_sgpr_dispatch_ptr 0
		.amdhsa_user_sgpr_queue_ptr 0
		.amdhsa_user_sgpr_kernarg_segment_ptr 1
		.amdhsa_user_sgpr_dispatch_id 0
		.amdhsa_user_sgpr_flat_scratch_init 0
		.amdhsa_user_sgpr_kernarg_preload_length 0
		.amdhsa_user_sgpr_kernarg_preload_offset 0
		.amdhsa_user_sgpr_private_segment_size 0
		.amdhsa_uses_dynamic_stack 0
		.amdhsa_system_sgpr_private_segment_wavefront_offset 0
		.amdhsa_system_sgpr_workgroup_id_x 1
		.amdhsa_system_sgpr_workgroup_id_y 0
		.amdhsa_system_sgpr_workgroup_id_z 0
		.amdhsa_system_sgpr_workgroup_info 0
		.amdhsa_system_vgpr_workitem_id 0
		.amdhsa_next_free_vgpr 1
		.amdhsa_next_free_sgpr 0
		.amdhsa_accum_offset 4
		.amdhsa_reserve_vcc 0
		.amdhsa_reserve_flat_scratch 0
		.amdhsa_float_round_mode_32 0
		.amdhsa_float_round_mode_16_64 0
		.amdhsa_float_denorm_mode_32 3
		.amdhsa_float_denorm_mode_16_64 3
		.amdhsa_dx10_clamp 1
		.amdhsa_ieee_mode 1
		.amdhsa_fp16_overflow 0
		.amdhsa_tg_split 0
		.amdhsa_exception_fp_ieee_invalid_op 0
		.amdhsa_exception_fp_denorm_src 0
		.amdhsa_exception_fp_ieee_div_zero 0
		.amdhsa_exception_fp_ieee_overflow 0
		.amdhsa_exception_fp_ieee_underflow 0
		.amdhsa_exception_fp_ieee_inexact 0
		.amdhsa_exception_int_div_zero 0
	.end_amdhsa_kernel
	.section	.text._ZN7rocprim17ROCPRIM_400000_NS6detail17trampoline_kernelINS0_14default_configENS1_20scan_config_selectorIdEEZZNS1_9scan_implILNS1_25lookback_scan_determinismE0ELb0ELb0ES3_N6thrust23THRUST_200600_302600_NS6detail15normal_iteratorINS9_10device_ptrIdEEEENS9_16discard_iteratorINS9_11use_defaultEEEd11max_functorIdEdEEDaPvRmT3_T4_T5_mT6_P12ihipStream_tbENKUlT_T0_E_clISt17integral_constantIbLb1EESW_IbLb0EEEEDaSS_ST_EUlSS_E0_NS1_11comp_targetILNS1_3genE10ELNS1_11target_archE1200ELNS1_3gpuE4ELNS1_3repE0EEENS1_30default_config_static_selectorELNS0_4arch9wavefront6targetE1EEEvT1_,"axG",@progbits,_ZN7rocprim17ROCPRIM_400000_NS6detail17trampoline_kernelINS0_14default_configENS1_20scan_config_selectorIdEEZZNS1_9scan_implILNS1_25lookback_scan_determinismE0ELb0ELb0ES3_N6thrust23THRUST_200600_302600_NS6detail15normal_iteratorINS9_10device_ptrIdEEEENS9_16discard_iteratorINS9_11use_defaultEEEd11max_functorIdEdEEDaPvRmT3_T4_T5_mT6_P12ihipStream_tbENKUlT_T0_E_clISt17integral_constantIbLb1EESW_IbLb0EEEEDaSS_ST_EUlSS_E0_NS1_11comp_targetILNS1_3genE10ELNS1_11target_archE1200ELNS1_3gpuE4ELNS1_3repE0EEENS1_30default_config_static_selectorELNS0_4arch9wavefront6targetE1EEEvT1_,comdat
.Lfunc_end3041:
	.size	_ZN7rocprim17ROCPRIM_400000_NS6detail17trampoline_kernelINS0_14default_configENS1_20scan_config_selectorIdEEZZNS1_9scan_implILNS1_25lookback_scan_determinismE0ELb0ELb0ES3_N6thrust23THRUST_200600_302600_NS6detail15normal_iteratorINS9_10device_ptrIdEEEENS9_16discard_iteratorINS9_11use_defaultEEEd11max_functorIdEdEEDaPvRmT3_T4_T5_mT6_P12ihipStream_tbENKUlT_T0_E_clISt17integral_constantIbLb1EESW_IbLb0EEEEDaSS_ST_EUlSS_E0_NS1_11comp_targetILNS1_3genE10ELNS1_11target_archE1200ELNS1_3gpuE4ELNS1_3repE0EEENS1_30default_config_static_selectorELNS0_4arch9wavefront6targetE1EEEvT1_, .Lfunc_end3041-_ZN7rocprim17ROCPRIM_400000_NS6detail17trampoline_kernelINS0_14default_configENS1_20scan_config_selectorIdEEZZNS1_9scan_implILNS1_25lookback_scan_determinismE0ELb0ELb0ES3_N6thrust23THRUST_200600_302600_NS6detail15normal_iteratorINS9_10device_ptrIdEEEENS9_16discard_iteratorINS9_11use_defaultEEEd11max_functorIdEdEEDaPvRmT3_T4_T5_mT6_P12ihipStream_tbENKUlT_T0_E_clISt17integral_constantIbLb1EESW_IbLb0EEEEDaSS_ST_EUlSS_E0_NS1_11comp_targetILNS1_3genE10ELNS1_11target_archE1200ELNS1_3gpuE4ELNS1_3repE0EEENS1_30default_config_static_selectorELNS0_4arch9wavefront6targetE1EEEvT1_
                                        ; -- End function
	.section	.AMDGPU.csdata,"",@progbits
; Kernel info:
; codeLenInByte = 0
; NumSgprs: 4
; NumVgprs: 0
; NumAgprs: 0
; TotalNumVgprs: 0
; ScratchSize: 0
; MemoryBound: 0
; FloatMode: 240
; IeeeMode: 1
; LDSByteSize: 0 bytes/workgroup (compile time only)
; SGPRBlocks: 0
; VGPRBlocks: 0
; NumSGPRsForWavesPerEU: 4
; NumVGPRsForWavesPerEU: 1
; AccumOffset: 4
; Occupancy: 8
; WaveLimiterHint : 0
; COMPUTE_PGM_RSRC2:SCRATCH_EN: 0
; COMPUTE_PGM_RSRC2:USER_SGPR: 6
; COMPUTE_PGM_RSRC2:TRAP_HANDLER: 0
; COMPUTE_PGM_RSRC2:TGID_X_EN: 1
; COMPUTE_PGM_RSRC2:TGID_Y_EN: 0
; COMPUTE_PGM_RSRC2:TGID_Z_EN: 0
; COMPUTE_PGM_RSRC2:TIDIG_COMP_CNT: 0
; COMPUTE_PGM_RSRC3_GFX90A:ACCUM_OFFSET: 0
; COMPUTE_PGM_RSRC3_GFX90A:TG_SPLIT: 0
	.section	.text._ZN7rocprim17ROCPRIM_400000_NS6detail17trampoline_kernelINS0_14default_configENS1_20scan_config_selectorIdEEZZNS1_9scan_implILNS1_25lookback_scan_determinismE0ELb0ELb0ES3_N6thrust23THRUST_200600_302600_NS6detail15normal_iteratorINS9_10device_ptrIdEEEENS9_16discard_iteratorINS9_11use_defaultEEEd11max_functorIdEdEEDaPvRmT3_T4_T5_mT6_P12ihipStream_tbENKUlT_T0_E_clISt17integral_constantIbLb1EESW_IbLb0EEEEDaSS_ST_EUlSS_E0_NS1_11comp_targetILNS1_3genE9ELNS1_11target_archE1100ELNS1_3gpuE3ELNS1_3repE0EEENS1_30default_config_static_selectorELNS0_4arch9wavefront6targetE1EEEvT1_,"axG",@progbits,_ZN7rocprim17ROCPRIM_400000_NS6detail17trampoline_kernelINS0_14default_configENS1_20scan_config_selectorIdEEZZNS1_9scan_implILNS1_25lookback_scan_determinismE0ELb0ELb0ES3_N6thrust23THRUST_200600_302600_NS6detail15normal_iteratorINS9_10device_ptrIdEEEENS9_16discard_iteratorINS9_11use_defaultEEEd11max_functorIdEdEEDaPvRmT3_T4_T5_mT6_P12ihipStream_tbENKUlT_T0_E_clISt17integral_constantIbLb1EESW_IbLb0EEEEDaSS_ST_EUlSS_E0_NS1_11comp_targetILNS1_3genE9ELNS1_11target_archE1100ELNS1_3gpuE3ELNS1_3repE0EEENS1_30default_config_static_selectorELNS0_4arch9wavefront6targetE1EEEvT1_,comdat
	.protected	_ZN7rocprim17ROCPRIM_400000_NS6detail17trampoline_kernelINS0_14default_configENS1_20scan_config_selectorIdEEZZNS1_9scan_implILNS1_25lookback_scan_determinismE0ELb0ELb0ES3_N6thrust23THRUST_200600_302600_NS6detail15normal_iteratorINS9_10device_ptrIdEEEENS9_16discard_iteratorINS9_11use_defaultEEEd11max_functorIdEdEEDaPvRmT3_T4_T5_mT6_P12ihipStream_tbENKUlT_T0_E_clISt17integral_constantIbLb1EESW_IbLb0EEEEDaSS_ST_EUlSS_E0_NS1_11comp_targetILNS1_3genE9ELNS1_11target_archE1100ELNS1_3gpuE3ELNS1_3repE0EEENS1_30default_config_static_selectorELNS0_4arch9wavefront6targetE1EEEvT1_ ; -- Begin function _ZN7rocprim17ROCPRIM_400000_NS6detail17trampoline_kernelINS0_14default_configENS1_20scan_config_selectorIdEEZZNS1_9scan_implILNS1_25lookback_scan_determinismE0ELb0ELb0ES3_N6thrust23THRUST_200600_302600_NS6detail15normal_iteratorINS9_10device_ptrIdEEEENS9_16discard_iteratorINS9_11use_defaultEEEd11max_functorIdEdEEDaPvRmT3_T4_T5_mT6_P12ihipStream_tbENKUlT_T0_E_clISt17integral_constantIbLb1EESW_IbLb0EEEEDaSS_ST_EUlSS_E0_NS1_11comp_targetILNS1_3genE9ELNS1_11target_archE1100ELNS1_3gpuE3ELNS1_3repE0EEENS1_30default_config_static_selectorELNS0_4arch9wavefront6targetE1EEEvT1_
	.globl	_ZN7rocprim17ROCPRIM_400000_NS6detail17trampoline_kernelINS0_14default_configENS1_20scan_config_selectorIdEEZZNS1_9scan_implILNS1_25lookback_scan_determinismE0ELb0ELb0ES3_N6thrust23THRUST_200600_302600_NS6detail15normal_iteratorINS9_10device_ptrIdEEEENS9_16discard_iteratorINS9_11use_defaultEEEd11max_functorIdEdEEDaPvRmT3_T4_T5_mT6_P12ihipStream_tbENKUlT_T0_E_clISt17integral_constantIbLb1EESW_IbLb0EEEEDaSS_ST_EUlSS_E0_NS1_11comp_targetILNS1_3genE9ELNS1_11target_archE1100ELNS1_3gpuE3ELNS1_3repE0EEENS1_30default_config_static_selectorELNS0_4arch9wavefront6targetE1EEEvT1_
	.p2align	8
	.type	_ZN7rocprim17ROCPRIM_400000_NS6detail17trampoline_kernelINS0_14default_configENS1_20scan_config_selectorIdEEZZNS1_9scan_implILNS1_25lookback_scan_determinismE0ELb0ELb0ES3_N6thrust23THRUST_200600_302600_NS6detail15normal_iteratorINS9_10device_ptrIdEEEENS9_16discard_iteratorINS9_11use_defaultEEEd11max_functorIdEdEEDaPvRmT3_T4_T5_mT6_P12ihipStream_tbENKUlT_T0_E_clISt17integral_constantIbLb1EESW_IbLb0EEEEDaSS_ST_EUlSS_E0_NS1_11comp_targetILNS1_3genE9ELNS1_11target_archE1100ELNS1_3gpuE3ELNS1_3repE0EEENS1_30default_config_static_selectorELNS0_4arch9wavefront6targetE1EEEvT1_,@function
_ZN7rocprim17ROCPRIM_400000_NS6detail17trampoline_kernelINS0_14default_configENS1_20scan_config_selectorIdEEZZNS1_9scan_implILNS1_25lookback_scan_determinismE0ELb0ELb0ES3_N6thrust23THRUST_200600_302600_NS6detail15normal_iteratorINS9_10device_ptrIdEEEENS9_16discard_iteratorINS9_11use_defaultEEEd11max_functorIdEdEEDaPvRmT3_T4_T5_mT6_P12ihipStream_tbENKUlT_T0_E_clISt17integral_constantIbLb1EESW_IbLb0EEEEDaSS_ST_EUlSS_E0_NS1_11comp_targetILNS1_3genE9ELNS1_11target_archE1100ELNS1_3gpuE3ELNS1_3repE0EEENS1_30default_config_static_selectorELNS0_4arch9wavefront6targetE1EEEvT1_: ; @_ZN7rocprim17ROCPRIM_400000_NS6detail17trampoline_kernelINS0_14default_configENS1_20scan_config_selectorIdEEZZNS1_9scan_implILNS1_25lookback_scan_determinismE0ELb0ELb0ES3_N6thrust23THRUST_200600_302600_NS6detail15normal_iteratorINS9_10device_ptrIdEEEENS9_16discard_iteratorINS9_11use_defaultEEEd11max_functorIdEdEEDaPvRmT3_T4_T5_mT6_P12ihipStream_tbENKUlT_T0_E_clISt17integral_constantIbLb1EESW_IbLb0EEEEDaSS_ST_EUlSS_E0_NS1_11comp_targetILNS1_3genE9ELNS1_11target_archE1100ELNS1_3gpuE3ELNS1_3repE0EEENS1_30default_config_static_selectorELNS0_4arch9wavefront6targetE1EEEvT1_
; %bb.0:
	.section	.rodata,"a",@progbits
	.p2align	6, 0x0
	.amdhsa_kernel _ZN7rocprim17ROCPRIM_400000_NS6detail17trampoline_kernelINS0_14default_configENS1_20scan_config_selectorIdEEZZNS1_9scan_implILNS1_25lookback_scan_determinismE0ELb0ELb0ES3_N6thrust23THRUST_200600_302600_NS6detail15normal_iteratorINS9_10device_ptrIdEEEENS9_16discard_iteratorINS9_11use_defaultEEEd11max_functorIdEdEEDaPvRmT3_T4_T5_mT6_P12ihipStream_tbENKUlT_T0_E_clISt17integral_constantIbLb1EESW_IbLb0EEEEDaSS_ST_EUlSS_E0_NS1_11comp_targetILNS1_3genE9ELNS1_11target_archE1100ELNS1_3gpuE3ELNS1_3repE0EEENS1_30default_config_static_selectorELNS0_4arch9wavefront6targetE1EEEvT1_
		.amdhsa_group_segment_fixed_size 0
		.amdhsa_private_segment_fixed_size 0
		.amdhsa_kernarg_size 48
		.amdhsa_user_sgpr_count 6
		.amdhsa_user_sgpr_private_segment_buffer 1
		.amdhsa_user_sgpr_dispatch_ptr 0
		.amdhsa_user_sgpr_queue_ptr 0
		.amdhsa_user_sgpr_kernarg_segment_ptr 1
		.amdhsa_user_sgpr_dispatch_id 0
		.amdhsa_user_sgpr_flat_scratch_init 0
		.amdhsa_user_sgpr_kernarg_preload_length 0
		.amdhsa_user_sgpr_kernarg_preload_offset 0
		.amdhsa_user_sgpr_private_segment_size 0
		.amdhsa_uses_dynamic_stack 0
		.amdhsa_system_sgpr_private_segment_wavefront_offset 0
		.amdhsa_system_sgpr_workgroup_id_x 1
		.amdhsa_system_sgpr_workgroup_id_y 0
		.amdhsa_system_sgpr_workgroup_id_z 0
		.amdhsa_system_sgpr_workgroup_info 0
		.amdhsa_system_vgpr_workitem_id 0
		.amdhsa_next_free_vgpr 1
		.amdhsa_next_free_sgpr 0
		.amdhsa_accum_offset 4
		.amdhsa_reserve_vcc 0
		.amdhsa_reserve_flat_scratch 0
		.amdhsa_float_round_mode_32 0
		.amdhsa_float_round_mode_16_64 0
		.amdhsa_float_denorm_mode_32 3
		.amdhsa_float_denorm_mode_16_64 3
		.amdhsa_dx10_clamp 1
		.amdhsa_ieee_mode 1
		.amdhsa_fp16_overflow 0
		.amdhsa_tg_split 0
		.amdhsa_exception_fp_ieee_invalid_op 0
		.amdhsa_exception_fp_denorm_src 0
		.amdhsa_exception_fp_ieee_div_zero 0
		.amdhsa_exception_fp_ieee_overflow 0
		.amdhsa_exception_fp_ieee_underflow 0
		.amdhsa_exception_fp_ieee_inexact 0
		.amdhsa_exception_int_div_zero 0
	.end_amdhsa_kernel
	.section	.text._ZN7rocprim17ROCPRIM_400000_NS6detail17trampoline_kernelINS0_14default_configENS1_20scan_config_selectorIdEEZZNS1_9scan_implILNS1_25lookback_scan_determinismE0ELb0ELb0ES3_N6thrust23THRUST_200600_302600_NS6detail15normal_iteratorINS9_10device_ptrIdEEEENS9_16discard_iteratorINS9_11use_defaultEEEd11max_functorIdEdEEDaPvRmT3_T4_T5_mT6_P12ihipStream_tbENKUlT_T0_E_clISt17integral_constantIbLb1EESW_IbLb0EEEEDaSS_ST_EUlSS_E0_NS1_11comp_targetILNS1_3genE9ELNS1_11target_archE1100ELNS1_3gpuE3ELNS1_3repE0EEENS1_30default_config_static_selectorELNS0_4arch9wavefront6targetE1EEEvT1_,"axG",@progbits,_ZN7rocprim17ROCPRIM_400000_NS6detail17trampoline_kernelINS0_14default_configENS1_20scan_config_selectorIdEEZZNS1_9scan_implILNS1_25lookback_scan_determinismE0ELb0ELb0ES3_N6thrust23THRUST_200600_302600_NS6detail15normal_iteratorINS9_10device_ptrIdEEEENS9_16discard_iteratorINS9_11use_defaultEEEd11max_functorIdEdEEDaPvRmT3_T4_T5_mT6_P12ihipStream_tbENKUlT_T0_E_clISt17integral_constantIbLb1EESW_IbLb0EEEEDaSS_ST_EUlSS_E0_NS1_11comp_targetILNS1_3genE9ELNS1_11target_archE1100ELNS1_3gpuE3ELNS1_3repE0EEENS1_30default_config_static_selectorELNS0_4arch9wavefront6targetE1EEEvT1_,comdat
.Lfunc_end3042:
	.size	_ZN7rocprim17ROCPRIM_400000_NS6detail17trampoline_kernelINS0_14default_configENS1_20scan_config_selectorIdEEZZNS1_9scan_implILNS1_25lookback_scan_determinismE0ELb0ELb0ES3_N6thrust23THRUST_200600_302600_NS6detail15normal_iteratorINS9_10device_ptrIdEEEENS9_16discard_iteratorINS9_11use_defaultEEEd11max_functorIdEdEEDaPvRmT3_T4_T5_mT6_P12ihipStream_tbENKUlT_T0_E_clISt17integral_constantIbLb1EESW_IbLb0EEEEDaSS_ST_EUlSS_E0_NS1_11comp_targetILNS1_3genE9ELNS1_11target_archE1100ELNS1_3gpuE3ELNS1_3repE0EEENS1_30default_config_static_selectorELNS0_4arch9wavefront6targetE1EEEvT1_, .Lfunc_end3042-_ZN7rocprim17ROCPRIM_400000_NS6detail17trampoline_kernelINS0_14default_configENS1_20scan_config_selectorIdEEZZNS1_9scan_implILNS1_25lookback_scan_determinismE0ELb0ELb0ES3_N6thrust23THRUST_200600_302600_NS6detail15normal_iteratorINS9_10device_ptrIdEEEENS9_16discard_iteratorINS9_11use_defaultEEEd11max_functorIdEdEEDaPvRmT3_T4_T5_mT6_P12ihipStream_tbENKUlT_T0_E_clISt17integral_constantIbLb1EESW_IbLb0EEEEDaSS_ST_EUlSS_E0_NS1_11comp_targetILNS1_3genE9ELNS1_11target_archE1100ELNS1_3gpuE3ELNS1_3repE0EEENS1_30default_config_static_selectorELNS0_4arch9wavefront6targetE1EEEvT1_
                                        ; -- End function
	.section	.AMDGPU.csdata,"",@progbits
; Kernel info:
; codeLenInByte = 0
; NumSgprs: 4
; NumVgprs: 0
; NumAgprs: 0
; TotalNumVgprs: 0
; ScratchSize: 0
; MemoryBound: 0
; FloatMode: 240
; IeeeMode: 1
; LDSByteSize: 0 bytes/workgroup (compile time only)
; SGPRBlocks: 0
; VGPRBlocks: 0
; NumSGPRsForWavesPerEU: 4
; NumVGPRsForWavesPerEU: 1
; AccumOffset: 4
; Occupancy: 8
; WaveLimiterHint : 0
; COMPUTE_PGM_RSRC2:SCRATCH_EN: 0
; COMPUTE_PGM_RSRC2:USER_SGPR: 6
; COMPUTE_PGM_RSRC2:TRAP_HANDLER: 0
; COMPUTE_PGM_RSRC2:TGID_X_EN: 1
; COMPUTE_PGM_RSRC2:TGID_Y_EN: 0
; COMPUTE_PGM_RSRC2:TGID_Z_EN: 0
; COMPUTE_PGM_RSRC2:TIDIG_COMP_CNT: 0
; COMPUTE_PGM_RSRC3_GFX90A:ACCUM_OFFSET: 0
; COMPUTE_PGM_RSRC3_GFX90A:TG_SPLIT: 0
	.section	.text._ZN7rocprim17ROCPRIM_400000_NS6detail17trampoline_kernelINS0_14default_configENS1_20scan_config_selectorIdEEZZNS1_9scan_implILNS1_25lookback_scan_determinismE0ELb0ELb0ES3_N6thrust23THRUST_200600_302600_NS6detail15normal_iteratorINS9_10device_ptrIdEEEENS9_16discard_iteratorINS9_11use_defaultEEEd11max_functorIdEdEEDaPvRmT3_T4_T5_mT6_P12ihipStream_tbENKUlT_T0_E_clISt17integral_constantIbLb1EESW_IbLb0EEEEDaSS_ST_EUlSS_E0_NS1_11comp_targetILNS1_3genE8ELNS1_11target_archE1030ELNS1_3gpuE2ELNS1_3repE0EEENS1_30default_config_static_selectorELNS0_4arch9wavefront6targetE1EEEvT1_,"axG",@progbits,_ZN7rocprim17ROCPRIM_400000_NS6detail17trampoline_kernelINS0_14default_configENS1_20scan_config_selectorIdEEZZNS1_9scan_implILNS1_25lookback_scan_determinismE0ELb0ELb0ES3_N6thrust23THRUST_200600_302600_NS6detail15normal_iteratorINS9_10device_ptrIdEEEENS9_16discard_iteratorINS9_11use_defaultEEEd11max_functorIdEdEEDaPvRmT3_T4_T5_mT6_P12ihipStream_tbENKUlT_T0_E_clISt17integral_constantIbLb1EESW_IbLb0EEEEDaSS_ST_EUlSS_E0_NS1_11comp_targetILNS1_3genE8ELNS1_11target_archE1030ELNS1_3gpuE2ELNS1_3repE0EEENS1_30default_config_static_selectorELNS0_4arch9wavefront6targetE1EEEvT1_,comdat
	.protected	_ZN7rocprim17ROCPRIM_400000_NS6detail17trampoline_kernelINS0_14default_configENS1_20scan_config_selectorIdEEZZNS1_9scan_implILNS1_25lookback_scan_determinismE0ELb0ELb0ES3_N6thrust23THRUST_200600_302600_NS6detail15normal_iteratorINS9_10device_ptrIdEEEENS9_16discard_iteratorINS9_11use_defaultEEEd11max_functorIdEdEEDaPvRmT3_T4_T5_mT6_P12ihipStream_tbENKUlT_T0_E_clISt17integral_constantIbLb1EESW_IbLb0EEEEDaSS_ST_EUlSS_E0_NS1_11comp_targetILNS1_3genE8ELNS1_11target_archE1030ELNS1_3gpuE2ELNS1_3repE0EEENS1_30default_config_static_selectorELNS0_4arch9wavefront6targetE1EEEvT1_ ; -- Begin function _ZN7rocprim17ROCPRIM_400000_NS6detail17trampoline_kernelINS0_14default_configENS1_20scan_config_selectorIdEEZZNS1_9scan_implILNS1_25lookback_scan_determinismE0ELb0ELb0ES3_N6thrust23THRUST_200600_302600_NS6detail15normal_iteratorINS9_10device_ptrIdEEEENS9_16discard_iteratorINS9_11use_defaultEEEd11max_functorIdEdEEDaPvRmT3_T4_T5_mT6_P12ihipStream_tbENKUlT_T0_E_clISt17integral_constantIbLb1EESW_IbLb0EEEEDaSS_ST_EUlSS_E0_NS1_11comp_targetILNS1_3genE8ELNS1_11target_archE1030ELNS1_3gpuE2ELNS1_3repE0EEENS1_30default_config_static_selectorELNS0_4arch9wavefront6targetE1EEEvT1_
	.globl	_ZN7rocprim17ROCPRIM_400000_NS6detail17trampoline_kernelINS0_14default_configENS1_20scan_config_selectorIdEEZZNS1_9scan_implILNS1_25lookback_scan_determinismE0ELb0ELb0ES3_N6thrust23THRUST_200600_302600_NS6detail15normal_iteratorINS9_10device_ptrIdEEEENS9_16discard_iteratorINS9_11use_defaultEEEd11max_functorIdEdEEDaPvRmT3_T4_T5_mT6_P12ihipStream_tbENKUlT_T0_E_clISt17integral_constantIbLb1EESW_IbLb0EEEEDaSS_ST_EUlSS_E0_NS1_11comp_targetILNS1_3genE8ELNS1_11target_archE1030ELNS1_3gpuE2ELNS1_3repE0EEENS1_30default_config_static_selectorELNS0_4arch9wavefront6targetE1EEEvT1_
	.p2align	8
	.type	_ZN7rocprim17ROCPRIM_400000_NS6detail17trampoline_kernelINS0_14default_configENS1_20scan_config_selectorIdEEZZNS1_9scan_implILNS1_25lookback_scan_determinismE0ELb0ELb0ES3_N6thrust23THRUST_200600_302600_NS6detail15normal_iteratorINS9_10device_ptrIdEEEENS9_16discard_iteratorINS9_11use_defaultEEEd11max_functorIdEdEEDaPvRmT3_T4_T5_mT6_P12ihipStream_tbENKUlT_T0_E_clISt17integral_constantIbLb1EESW_IbLb0EEEEDaSS_ST_EUlSS_E0_NS1_11comp_targetILNS1_3genE8ELNS1_11target_archE1030ELNS1_3gpuE2ELNS1_3repE0EEENS1_30default_config_static_selectorELNS0_4arch9wavefront6targetE1EEEvT1_,@function
_ZN7rocprim17ROCPRIM_400000_NS6detail17trampoline_kernelINS0_14default_configENS1_20scan_config_selectorIdEEZZNS1_9scan_implILNS1_25lookback_scan_determinismE0ELb0ELb0ES3_N6thrust23THRUST_200600_302600_NS6detail15normal_iteratorINS9_10device_ptrIdEEEENS9_16discard_iteratorINS9_11use_defaultEEEd11max_functorIdEdEEDaPvRmT3_T4_T5_mT6_P12ihipStream_tbENKUlT_T0_E_clISt17integral_constantIbLb1EESW_IbLb0EEEEDaSS_ST_EUlSS_E0_NS1_11comp_targetILNS1_3genE8ELNS1_11target_archE1030ELNS1_3gpuE2ELNS1_3repE0EEENS1_30default_config_static_selectorELNS0_4arch9wavefront6targetE1EEEvT1_: ; @_ZN7rocprim17ROCPRIM_400000_NS6detail17trampoline_kernelINS0_14default_configENS1_20scan_config_selectorIdEEZZNS1_9scan_implILNS1_25lookback_scan_determinismE0ELb0ELb0ES3_N6thrust23THRUST_200600_302600_NS6detail15normal_iteratorINS9_10device_ptrIdEEEENS9_16discard_iteratorINS9_11use_defaultEEEd11max_functorIdEdEEDaPvRmT3_T4_T5_mT6_P12ihipStream_tbENKUlT_T0_E_clISt17integral_constantIbLb1EESW_IbLb0EEEEDaSS_ST_EUlSS_E0_NS1_11comp_targetILNS1_3genE8ELNS1_11target_archE1030ELNS1_3gpuE2ELNS1_3repE0EEENS1_30default_config_static_selectorELNS0_4arch9wavefront6targetE1EEEvT1_
; %bb.0:
	.section	.rodata,"a",@progbits
	.p2align	6, 0x0
	.amdhsa_kernel _ZN7rocprim17ROCPRIM_400000_NS6detail17trampoline_kernelINS0_14default_configENS1_20scan_config_selectorIdEEZZNS1_9scan_implILNS1_25lookback_scan_determinismE0ELb0ELb0ES3_N6thrust23THRUST_200600_302600_NS6detail15normal_iteratorINS9_10device_ptrIdEEEENS9_16discard_iteratorINS9_11use_defaultEEEd11max_functorIdEdEEDaPvRmT3_T4_T5_mT6_P12ihipStream_tbENKUlT_T0_E_clISt17integral_constantIbLb1EESW_IbLb0EEEEDaSS_ST_EUlSS_E0_NS1_11comp_targetILNS1_3genE8ELNS1_11target_archE1030ELNS1_3gpuE2ELNS1_3repE0EEENS1_30default_config_static_selectorELNS0_4arch9wavefront6targetE1EEEvT1_
		.amdhsa_group_segment_fixed_size 0
		.amdhsa_private_segment_fixed_size 0
		.amdhsa_kernarg_size 48
		.amdhsa_user_sgpr_count 6
		.amdhsa_user_sgpr_private_segment_buffer 1
		.amdhsa_user_sgpr_dispatch_ptr 0
		.amdhsa_user_sgpr_queue_ptr 0
		.amdhsa_user_sgpr_kernarg_segment_ptr 1
		.amdhsa_user_sgpr_dispatch_id 0
		.amdhsa_user_sgpr_flat_scratch_init 0
		.amdhsa_user_sgpr_kernarg_preload_length 0
		.amdhsa_user_sgpr_kernarg_preload_offset 0
		.amdhsa_user_sgpr_private_segment_size 0
		.amdhsa_uses_dynamic_stack 0
		.amdhsa_system_sgpr_private_segment_wavefront_offset 0
		.amdhsa_system_sgpr_workgroup_id_x 1
		.amdhsa_system_sgpr_workgroup_id_y 0
		.amdhsa_system_sgpr_workgroup_id_z 0
		.amdhsa_system_sgpr_workgroup_info 0
		.amdhsa_system_vgpr_workitem_id 0
		.amdhsa_next_free_vgpr 1
		.amdhsa_next_free_sgpr 0
		.amdhsa_accum_offset 4
		.amdhsa_reserve_vcc 0
		.amdhsa_reserve_flat_scratch 0
		.amdhsa_float_round_mode_32 0
		.amdhsa_float_round_mode_16_64 0
		.amdhsa_float_denorm_mode_32 3
		.amdhsa_float_denorm_mode_16_64 3
		.amdhsa_dx10_clamp 1
		.amdhsa_ieee_mode 1
		.amdhsa_fp16_overflow 0
		.amdhsa_tg_split 0
		.amdhsa_exception_fp_ieee_invalid_op 0
		.amdhsa_exception_fp_denorm_src 0
		.amdhsa_exception_fp_ieee_div_zero 0
		.amdhsa_exception_fp_ieee_overflow 0
		.amdhsa_exception_fp_ieee_underflow 0
		.amdhsa_exception_fp_ieee_inexact 0
		.amdhsa_exception_int_div_zero 0
	.end_amdhsa_kernel
	.section	.text._ZN7rocprim17ROCPRIM_400000_NS6detail17trampoline_kernelINS0_14default_configENS1_20scan_config_selectorIdEEZZNS1_9scan_implILNS1_25lookback_scan_determinismE0ELb0ELb0ES3_N6thrust23THRUST_200600_302600_NS6detail15normal_iteratorINS9_10device_ptrIdEEEENS9_16discard_iteratorINS9_11use_defaultEEEd11max_functorIdEdEEDaPvRmT3_T4_T5_mT6_P12ihipStream_tbENKUlT_T0_E_clISt17integral_constantIbLb1EESW_IbLb0EEEEDaSS_ST_EUlSS_E0_NS1_11comp_targetILNS1_3genE8ELNS1_11target_archE1030ELNS1_3gpuE2ELNS1_3repE0EEENS1_30default_config_static_selectorELNS0_4arch9wavefront6targetE1EEEvT1_,"axG",@progbits,_ZN7rocprim17ROCPRIM_400000_NS6detail17trampoline_kernelINS0_14default_configENS1_20scan_config_selectorIdEEZZNS1_9scan_implILNS1_25lookback_scan_determinismE0ELb0ELb0ES3_N6thrust23THRUST_200600_302600_NS6detail15normal_iteratorINS9_10device_ptrIdEEEENS9_16discard_iteratorINS9_11use_defaultEEEd11max_functorIdEdEEDaPvRmT3_T4_T5_mT6_P12ihipStream_tbENKUlT_T0_E_clISt17integral_constantIbLb1EESW_IbLb0EEEEDaSS_ST_EUlSS_E0_NS1_11comp_targetILNS1_3genE8ELNS1_11target_archE1030ELNS1_3gpuE2ELNS1_3repE0EEENS1_30default_config_static_selectorELNS0_4arch9wavefront6targetE1EEEvT1_,comdat
.Lfunc_end3043:
	.size	_ZN7rocprim17ROCPRIM_400000_NS6detail17trampoline_kernelINS0_14default_configENS1_20scan_config_selectorIdEEZZNS1_9scan_implILNS1_25lookback_scan_determinismE0ELb0ELb0ES3_N6thrust23THRUST_200600_302600_NS6detail15normal_iteratorINS9_10device_ptrIdEEEENS9_16discard_iteratorINS9_11use_defaultEEEd11max_functorIdEdEEDaPvRmT3_T4_T5_mT6_P12ihipStream_tbENKUlT_T0_E_clISt17integral_constantIbLb1EESW_IbLb0EEEEDaSS_ST_EUlSS_E0_NS1_11comp_targetILNS1_3genE8ELNS1_11target_archE1030ELNS1_3gpuE2ELNS1_3repE0EEENS1_30default_config_static_selectorELNS0_4arch9wavefront6targetE1EEEvT1_, .Lfunc_end3043-_ZN7rocprim17ROCPRIM_400000_NS6detail17trampoline_kernelINS0_14default_configENS1_20scan_config_selectorIdEEZZNS1_9scan_implILNS1_25lookback_scan_determinismE0ELb0ELb0ES3_N6thrust23THRUST_200600_302600_NS6detail15normal_iteratorINS9_10device_ptrIdEEEENS9_16discard_iteratorINS9_11use_defaultEEEd11max_functorIdEdEEDaPvRmT3_T4_T5_mT6_P12ihipStream_tbENKUlT_T0_E_clISt17integral_constantIbLb1EESW_IbLb0EEEEDaSS_ST_EUlSS_E0_NS1_11comp_targetILNS1_3genE8ELNS1_11target_archE1030ELNS1_3gpuE2ELNS1_3repE0EEENS1_30default_config_static_selectorELNS0_4arch9wavefront6targetE1EEEvT1_
                                        ; -- End function
	.section	.AMDGPU.csdata,"",@progbits
; Kernel info:
; codeLenInByte = 0
; NumSgprs: 4
; NumVgprs: 0
; NumAgprs: 0
; TotalNumVgprs: 0
; ScratchSize: 0
; MemoryBound: 0
; FloatMode: 240
; IeeeMode: 1
; LDSByteSize: 0 bytes/workgroup (compile time only)
; SGPRBlocks: 0
; VGPRBlocks: 0
; NumSGPRsForWavesPerEU: 4
; NumVGPRsForWavesPerEU: 1
; AccumOffset: 4
; Occupancy: 8
; WaveLimiterHint : 0
; COMPUTE_PGM_RSRC2:SCRATCH_EN: 0
; COMPUTE_PGM_RSRC2:USER_SGPR: 6
; COMPUTE_PGM_RSRC2:TRAP_HANDLER: 0
; COMPUTE_PGM_RSRC2:TGID_X_EN: 1
; COMPUTE_PGM_RSRC2:TGID_Y_EN: 0
; COMPUTE_PGM_RSRC2:TGID_Z_EN: 0
; COMPUTE_PGM_RSRC2:TIDIG_COMP_CNT: 0
; COMPUTE_PGM_RSRC3_GFX90A:ACCUM_OFFSET: 0
; COMPUTE_PGM_RSRC3_GFX90A:TG_SPLIT: 0
	.section	.text._ZN7rocprim17ROCPRIM_400000_NS6detail17trampoline_kernelINS0_14default_configENS1_20scan_config_selectorIdEEZZNS1_9scan_implILNS1_25lookback_scan_determinismE0ELb0ELb0ES3_N6thrust23THRUST_200600_302600_NS6detail15normal_iteratorINS9_10device_ptrIdEEEENS9_16discard_iteratorINS9_11use_defaultEEEd11max_functorIdEdEEDaPvRmT3_T4_T5_mT6_P12ihipStream_tbENKUlT_T0_E_clISt17integral_constantIbLb0EESW_IbLb1EEEEDaSS_ST_EUlSS_E_NS1_11comp_targetILNS1_3genE0ELNS1_11target_archE4294967295ELNS1_3gpuE0ELNS1_3repE0EEENS1_30default_config_static_selectorELNS0_4arch9wavefront6targetE1EEEvT1_,"axG",@progbits,_ZN7rocprim17ROCPRIM_400000_NS6detail17trampoline_kernelINS0_14default_configENS1_20scan_config_selectorIdEEZZNS1_9scan_implILNS1_25lookback_scan_determinismE0ELb0ELb0ES3_N6thrust23THRUST_200600_302600_NS6detail15normal_iteratorINS9_10device_ptrIdEEEENS9_16discard_iteratorINS9_11use_defaultEEEd11max_functorIdEdEEDaPvRmT3_T4_T5_mT6_P12ihipStream_tbENKUlT_T0_E_clISt17integral_constantIbLb0EESW_IbLb1EEEEDaSS_ST_EUlSS_E_NS1_11comp_targetILNS1_3genE0ELNS1_11target_archE4294967295ELNS1_3gpuE0ELNS1_3repE0EEENS1_30default_config_static_selectorELNS0_4arch9wavefront6targetE1EEEvT1_,comdat
	.protected	_ZN7rocprim17ROCPRIM_400000_NS6detail17trampoline_kernelINS0_14default_configENS1_20scan_config_selectorIdEEZZNS1_9scan_implILNS1_25lookback_scan_determinismE0ELb0ELb0ES3_N6thrust23THRUST_200600_302600_NS6detail15normal_iteratorINS9_10device_ptrIdEEEENS9_16discard_iteratorINS9_11use_defaultEEEd11max_functorIdEdEEDaPvRmT3_T4_T5_mT6_P12ihipStream_tbENKUlT_T0_E_clISt17integral_constantIbLb0EESW_IbLb1EEEEDaSS_ST_EUlSS_E_NS1_11comp_targetILNS1_3genE0ELNS1_11target_archE4294967295ELNS1_3gpuE0ELNS1_3repE0EEENS1_30default_config_static_selectorELNS0_4arch9wavefront6targetE1EEEvT1_ ; -- Begin function _ZN7rocprim17ROCPRIM_400000_NS6detail17trampoline_kernelINS0_14default_configENS1_20scan_config_selectorIdEEZZNS1_9scan_implILNS1_25lookback_scan_determinismE0ELb0ELb0ES3_N6thrust23THRUST_200600_302600_NS6detail15normal_iteratorINS9_10device_ptrIdEEEENS9_16discard_iteratorINS9_11use_defaultEEEd11max_functorIdEdEEDaPvRmT3_T4_T5_mT6_P12ihipStream_tbENKUlT_T0_E_clISt17integral_constantIbLb0EESW_IbLb1EEEEDaSS_ST_EUlSS_E_NS1_11comp_targetILNS1_3genE0ELNS1_11target_archE4294967295ELNS1_3gpuE0ELNS1_3repE0EEENS1_30default_config_static_selectorELNS0_4arch9wavefront6targetE1EEEvT1_
	.globl	_ZN7rocprim17ROCPRIM_400000_NS6detail17trampoline_kernelINS0_14default_configENS1_20scan_config_selectorIdEEZZNS1_9scan_implILNS1_25lookback_scan_determinismE0ELb0ELb0ES3_N6thrust23THRUST_200600_302600_NS6detail15normal_iteratorINS9_10device_ptrIdEEEENS9_16discard_iteratorINS9_11use_defaultEEEd11max_functorIdEdEEDaPvRmT3_T4_T5_mT6_P12ihipStream_tbENKUlT_T0_E_clISt17integral_constantIbLb0EESW_IbLb1EEEEDaSS_ST_EUlSS_E_NS1_11comp_targetILNS1_3genE0ELNS1_11target_archE4294967295ELNS1_3gpuE0ELNS1_3repE0EEENS1_30default_config_static_selectorELNS0_4arch9wavefront6targetE1EEEvT1_
	.p2align	8
	.type	_ZN7rocprim17ROCPRIM_400000_NS6detail17trampoline_kernelINS0_14default_configENS1_20scan_config_selectorIdEEZZNS1_9scan_implILNS1_25lookback_scan_determinismE0ELb0ELb0ES3_N6thrust23THRUST_200600_302600_NS6detail15normal_iteratorINS9_10device_ptrIdEEEENS9_16discard_iteratorINS9_11use_defaultEEEd11max_functorIdEdEEDaPvRmT3_T4_T5_mT6_P12ihipStream_tbENKUlT_T0_E_clISt17integral_constantIbLb0EESW_IbLb1EEEEDaSS_ST_EUlSS_E_NS1_11comp_targetILNS1_3genE0ELNS1_11target_archE4294967295ELNS1_3gpuE0ELNS1_3repE0EEENS1_30default_config_static_selectorELNS0_4arch9wavefront6targetE1EEEvT1_,@function
_ZN7rocprim17ROCPRIM_400000_NS6detail17trampoline_kernelINS0_14default_configENS1_20scan_config_selectorIdEEZZNS1_9scan_implILNS1_25lookback_scan_determinismE0ELb0ELb0ES3_N6thrust23THRUST_200600_302600_NS6detail15normal_iteratorINS9_10device_ptrIdEEEENS9_16discard_iteratorINS9_11use_defaultEEEd11max_functorIdEdEEDaPvRmT3_T4_T5_mT6_P12ihipStream_tbENKUlT_T0_E_clISt17integral_constantIbLb0EESW_IbLb1EEEEDaSS_ST_EUlSS_E_NS1_11comp_targetILNS1_3genE0ELNS1_11target_archE4294967295ELNS1_3gpuE0ELNS1_3repE0EEENS1_30default_config_static_selectorELNS0_4arch9wavefront6targetE1EEEvT1_: ; @_ZN7rocprim17ROCPRIM_400000_NS6detail17trampoline_kernelINS0_14default_configENS1_20scan_config_selectorIdEEZZNS1_9scan_implILNS1_25lookback_scan_determinismE0ELb0ELb0ES3_N6thrust23THRUST_200600_302600_NS6detail15normal_iteratorINS9_10device_ptrIdEEEENS9_16discard_iteratorINS9_11use_defaultEEEd11max_functorIdEdEEDaPvRmT3_T4_T5_mT6_P12ihipStream_tbENKUlT_T0_E_clISt17integral_constantIbLb0EESW_IbLb1EEEEDaSS_ST_EUlSS_E_NS1_11comp_targetILNS1_3genE0ELNS1_11target_archE4294967295ELNS1_3gpuE0ELNS1_3repE0EEENS1_30default_config_static_selectorELNS0_4arch9wavefront6targetE1EEEvT1_
; %bb.0:
	.section	.rodata,"a",@progbits
	.p2align	6, 0x0
	.amdhsa_kernel _ZN7rocprim17ROCPRIM_400000_NS6detail17trampoline_kernelINS0_14default_configENS1_20scan_config_selectorIdEEZZNS1_9scan_implILNS1_25lookback_scan_determinismE0ELb0ELb0ES3_N6thrust23THRUST_200600_302600_NS6detail15normal_iteratorINS9_10device_ptrIdEEEENS9_16discard_iteratorINS9_11use_defaultEEEd11max_functorIdEdEEDaPvRmT3_T4_T5_mT6_P12ihipStream_tbENKUlT_T0_E_clISt17integral_constantIbLb0EESW_IbLb1EEEEDaSS_ST_EUlSS_E_NS1_11comp_targetILNS1_3genE0ELNS1_11target_archE4294967295ELNS1_3gpuE0ELNS1_3repE0EEENS1_30default_config_static_selectorELNS0_4arch9wavefront6targetE1EEEvT1_
		.amdhsa_group_segment_fixed_size 0
		.amdhsa_private_segment_fixed_size 0
		.amdhsa_kernarg_size 112
		.amdhsa_user_sgpr_count 6
		.amdhsa_user_sgpr_private_segment_buffer 1
		.amdhsa_user_sgpr_dispatch_ptr 0
		.amdhsa_user_sgpr_queue_ptr 0
		.amdhsa_user_sgpr_kernarg_segment_ptr 1
		.amdhsa_user_sgpr_dispatch_id 0
		.amdhsa_user_sgpr_flat_scratch_init 0
		.amdhsa_user_sgpr_kernarg_preload_length 0
		.amdhsa_user_sgpr_kernarg_preload_offset 0
		.amdhsa_user_sgpr_private_segment_size 0
		.amdhsa_uses_dynamic_stack 0
		.amdhsa_system_sgpr_private_segment_wavefront_offset 0
		.amdhsa_system_sgpr_workgroup_id_x 1
		.amdhsa_system_sgpr_workgroup_id_y 0
		.amdhsa_system_sgpr_workgroup_id_z 0
		.amdhsa_system_sgpr_workgroup_info 0
		.amdhsa_system_vgpr_workitem_id 0
		.amdhsa_next_free_vgpr 1
		.amdhsa_next_free_sgpr 0
		.amdhsa_accum_offset 4
		.amdhsa_reserve_vcc 0
		.amdhsa_reserve_flat_scratch 0
		.amdhsa_float_round_mode_32 0
		.amdhsa_float_round_mode_16_64 0
		.amdhsa_float_denorm_mode_32 3
		.amdhsa_float_denorm_mode_16_64 3
		.amdhsa_dx10_clamp 1
		.amdhsa_ieee_mode 1
		.amdhsa_fp16_overflow 0
		.amdhsa_tg_split 0
		.amdhsa_exception_fp_ieee_invalid_op 0
		.amdhsa_exception_fp_denorm_src 0
		.amdhsa_exception_fp_ieee_div_zero 0
		.amdhsa_exception_fp_ieee_overflow 0
		.amdhsa_exception_fp_ieee_underflow 0
		.amdhsa_exception_fp_ieee_inexact 0
		.amdhsa_exception_int_div_zero 0
	.end_amdhsa_kernel
	.section	.text._ZN7rocprim17ROCPRIM_400000_NS6detail17trampoline_kernelINS0_14default_configENS1_20scan_config_selectorIdEEZZNS1_9scan_implILNS1_25lookback_scan_determinismE0ELb0ELb0ES3_N6thrust23THRUST_200600_302600_NS6detail15normal_iteratorINS9_10device_ptrIdEEEENS9_16discard_iteratorINS9_11use_defaultEEEd11max_functorIdEdEEDaPvRmT3_T4_T5_mT6_P12ihipStream_tbENKUlT_T0_E_clISt17integral_constantIbLb0EESW_IbLb1EEEEDaSS_ST_EUlSS_E_NS1_11comp_targetILNS1_3genE0ELNS1_11target_archE4294967295ELNS1_3gpuE0ELNS1_3repE0EEENS1_30default_config_static_selectorELNS0_4arch9wavefront6targetE1EEEvT1_,"axG",@progbits,_ZN7rocprim17ROCPRIM_400000_NS6detail17trampoline_kernelINS0_14default_configENS1_20scan_config_selectorIdEEZZNS1_9scan_implILNS1_25lookback_scan_determinismE0ELb0ELb0ES3_N6thrust23THRUST_200600_302600_NS6detail15normal_iteratorINS9_10device_ptrIdEEEENS9_16discard_iteratorINS9_11use_defaultEEEd11max_functorIdEdEEDaPvRmT3_T4_T5_mT6_P12ihipStream_tbENKUlT_T0_E_clISt17integral_constantIbLb0EESW_IbLb1EEEEDaSS_ST_EUlSS_E_NS1_11comp_targetILNS1_3genE0ELNS1_11target_archE4294967295ELNS1_3gpuE0ELNS1_3repE0EEENS1_30default_config_static_selectorELNS0_4arch9wavefront6targetE1EEEvT1_,comdat
.Lfunc_end3044:
	.size	_ZN7rocprim17ROCPRIM_400000_NS6detail17trampoline_kernelINS0_14default_configENS1_20scan_config_selectorIdEEZZNS1_9scan_implILNS1_25lookback_scan_determinismE0ELb0ELb0ES3_N6thrust23THRUST_200600_302600_NS6detail15normal_iteratorINS9_10device_ptrIdEEEENS9_16discard_iteratorINS9_11use_defaultEEEd11max_functorIdEdEEDaPvRmT3_T4_T5_mT6_P12ihipStream_tbENKUlT_T0_E_clISt17integral_constantIbLb0EESW_IbLb1EEEEDaSS_ST_EUlSS_E_NS1_11comp_targetILNS1_3genE0ELNS1_11target_archE4294967295ELNS1_3gpuE0ELNS1_3repE0EEENS1_30default_config_static_selectorELNS0_4arch9wavefront6targetE1EEEvT1_, .Lfunc_end3044-_ZN7rocprim17ROCPRIM_400000_NS6detail17trampoline_kernelINS0_14default_configENS1_20scan_config_selectorIdEEZZNS1_9scan_implILNS1_25lookback_scan_determinismE0ELb0ELb0ES3_N6thrust23THRUST_200600_302600_NS6detail15normal_iteratorINS9_10device_ptrIdEEEENS9_16discard_iteratorINS9_11use_defaultEEEd11max_functorIdEdEEDaPvRmT3_T4_T5_mT6_P12ihipStream_tbENKUlT_T0_E_clISt17integral_constantIbLb0EESW_IbLb1EEEEDaSS_ST_EUlSS_E_NS1_11comp_targetILNS1_3genE0ELNS1_11target_archE4294967295ELNS1_3gpuE0ELNS1_3repE0EEENS1_30default_config_static_selectorELNS0_4arch9wavefront6targetE1EEEvT1_
                                        ; -- End function
	.section	.AMDGPU.csdata,"",@progbits
; Kernel info:
; codeLenInByte = 0
; NumSgprs: 4
; NumVgprs: 0
; NumAgprs: 0
; TotalNumVgprs: 0
; ScratchSize: 0
; MemoryBound: 0
; FloatMode: 240
; IeeeMode: 1
; LDSByteSize: 0 bytes/workgroup (compile time only)
; SGPRBlocks: 0
; VGPRBlocks: 0
; NumSGPRsForWavesPerEU: 4
; NumVGPRsForWavesPerEU: 1
; AccumOffset: 4
; Occupancy: 8
; WaveLimiterHint : 0
; COMPUTE_PGM_RSRC2:SCRATCH_EN: 0
; COMPUTE_PGM_RSRC2:USER_SGPR: 6
; COMPUTE_PGM_RSRC2:TRAP_HANDLER: 0
; COMPUTE_PGM_RSRC2:TGID_X_EN: 1
; COMPUTE_PGM_RSRC2:TGID_Y_EN: 0
; COMPUTE_PGM_RSRC2:TGID_Z_EN: 0
; COMPUTE_PGM_RSRC2:TIDIG_COMP_CNT: 0
; COMPUTE_PGM_RSRC3_GFX90A:ACCUM_OFFSET: 0
; COMPUTE_PGM_RSRC3_GFX90A:TG_SPLIT: 0
	.section	.text._ZN7rocprim17ROCPRIM_400000_NS6detail17trampoline_kernelINS0_14default_configENS1_20scan_config_selectorIdEEZZNS1_9scan_implILNS1_25lookback_scan_determinismE0ELb0ELb0ES3_N6thrust23THRUST_200600_302600_NS6detail15normal_iteratorINS9_10device_ptrIdEEEENS9_16discard_iteratorINS9_11use_defaultEEEd11max_functorIdEdEEDaPvRmT3_T4_T5_mT6_P12ihipStream_tbENKUlT_T0_E_clISt17integral_constantIbLb0EESW_IbLb1EEEEDaSS_ST_EUlSS_E_NS1_11comp_targetILNS1_3genE5ELNS1_11target_archE942ELNS1_3gpuE9ELNS1_3repE0EEENS1_30default_config_static_selectorELNS0_4arch9wavefront6targetE1EEEvT1_,"axG",@progbits,_ZN7rocprim17ROCPRIM_400000_NS6detail17trampoline_kernelINS0_14default_configENS1_20scan_config_selectorIdEEZZNS1_9scan_implILNS1_25lookback_scan_determinismE0ELb0ELb0ES3_N6thrust23THRUST_200600_302600_NS6detail15normal_iteratorINS9_10device_ptrIdEEEENS9_16discard_iteratorINS9_11use_defaultEEEd11max_functorIdEdEEDaPvRmT3_T4_T5_mT6_P12ihipStream_tbENKUlT_T0_E_clISt17integral_constantIbLb0EESW_IbLb1EEEEDaSS_ST_EUlSS_E_NS1_11comp_targetILNS1_3genE5ELNS1_11target_archE942ELNS1_3gpuE9ELNS1_3repE0EEENS1_30default_config_static_selectorELNS0_4arch9wavefront6targetE1EEEvT1_,comdat
	.protected	_ZN7rocprim17ROCPRIM_400000_NS6detail17trampoline_kernelINS0_14default_configENS1_20scan_config_selectorIdEEZZNS1_9scan_implILNS1_25lookback_scan_determinismE0ELb0ELb0ES3_N6thrust23THRUST_200600_302600_NS6detail15normal_iteratorINS9_10device_ptrIdEEEENS9_16discard_iteratorINS9_11use_defaultEEEd11max_functorIdEdEEDaPvRmT3_T4_T5_mT6_P12ihipStream_tbENKUlT_T0_E_clISt17integral_constantIbLb0EESW_IbLb1EEEEDaSS_ST_EUlSS_E_NS1_11comp_targetILNS1_3genE5ELNS1_11target_archE942ELNS1_3gpuE9ELNS1_3repE0EEENS1_30default_config_static_selectorELNS0_4arch9wavefront6targetE1EEEvT1_ ; -- Begin function _ZN7rocprim17ROCPRIM_400000_NS6detail17trampoline_kernelINS0_14default_configENS1_20scan_config_selectorIdEEZZNS1_9scan_implILNS1_25lookback_scan_determinismE0ELb0ELb0ES3_N6thrust23THRUST_200600_302600_NS6detail15normal_iteratorINS9_10device_ptrIdEEEENS9_16discard_iteratorINS9_11use_defaultEEEd11max_functorIdEdEEDaPvRmT3_T4_T5_mT6_P12ihipStream_tbENKUlT_T0_E_clISt17integral_constantIbLb0EESW_IbLb1EEEEDaSS_ST_EUlSS_E_NS1_11comp_targetILNS1_3genE5ELNS1_11target_archE942ELNS1_3gpuE9ELNS1_3repE0EEENS1_30default_config_static_selectorELNS0_4arch9wavefront6targetE1EEEvT1_
	.globl	_ZN7rocprim17ROCPRIM_400000_NS6detail17trampoline_kernelINS0_14default_configENS1_20scan_config_selectorIdEEZZNS1_9scan_implILNS1_25lookback_scan_determinismE0ELb0ELb0ES3_N6thrust23THRUST_200600_302600_NS6detail15normal_iteratorINS9_10device_ptrIdEEEENS9_16discard_iteratorINS9_11use_defaultEEEd11max_functorIdEdEEDaPvRmT3_T4_T5_mT6_P12ihipStream_tbENKUlT_T0_E_clISt17integral_constantIbLb0EESW_IbLb1EEEEDaSS_ST_EUlSS_E_NS1_11comp_targetILNS1_3genE5ELNS1_11target_archE942ELNS1_3gpuE9ELNS1_3repE0EEENS1_30default_config_static_selectorELNS0_4arch9wavefront6targetE1EEEvT1_
	.p2align	8
	.type	_ZN7rocprim17ROCPRIM_400000_NS6detail17trampoline_kernelINS0_14default_configENS1_20scan_config_selectorIdEEZZNS1_9scan_implILNS1_25lookback_scan_determinismE0ELb0ELb0ES3_N6thrust23THRUST_200600_302600_NS6detail15normal_iteratorINS9_10device_ptrIdEEEENS9_16discard_iteratorINS9_11use_defaultEEEd11max_functorIdEdEEDaPvRmT3_T4_T5_mT6_P12ihipStream_tbENKUlT_T0_E_clISt17integral_constantIbLb0EESW_IbLb1EEEEDaSS_ST_EUlSS_E_NS1_11comp_targetILNS1_3genE5ELNS1_11target_archE942ELNS1_3gpuE9ELNS1_3repE0EEENS1_30default_config_static_selectorELNS0_4arch9wavefront6targetE1EEEvT1_,@function
_ZN7rocprim17ROCPRIM_400000_NS6detail17trampoline_kernelINS0_14default_configENS1_20scan_config_selectorIdEEZZNS1_9scan_implILNS1_25lookback_scan_determinismE0ELb0ELb0ES3_N6thrust23THRUST_200600_302600_NS6detail15normal_iteratorINS9_10device_ptrIdEEEENS9_16discard_iteratorINS9_11use_defaultEEEd11max_functorIdEdEEDaPvRmT3_T4_T5_mT6_P12ihipStream_tbENKUlT_T0_E_clISt17integral_constantIbLb0EESW_IbLb1EEEEDaSS_ST_EUlSS_E_NS1_11comp_targetILNS1_3genE5ELNS1_11target_archE942ELNS1_3gpuE9ELNS1_3repE0EEENS1_30default_config_static_selectorELNS0_4arch9wavefront6targetE1EEEvT1_: ; @_ZN7rocprim17ROCPRIM_400000_NS6detail17trampoline_kernelINS0_14default_configENS1_20scan_config_selectorIdEEZZNS1_9scan_implILNS1_25lookback_scan_determinismE0ELb0ELb0ES3_N6thrust23THRUST_200600_302600_NS6detail15normal_iteratorINS9_10device_ptrIdEEEENS9_16discard_iteratorINS9_11use_defaultEEEd11max_functorIdEdEEDaPvRmT3_T4_T5_mT6_P12ihipStream_tbENKUlT_T0_E_clISt17integral_constantIbLb0EESW_IbLb1EEEEDaSS_ST_EUlSS_E_NS1_11comp_targetILNS1_3genE5ELNS1_11target_archE942ELNS1_3gpuE9ELNS1_3repE0EEENS1_30default_config_static_selectorELNS0_4arch9wavefront6targetE1EEEvT1_
; %bb.0:
	.section	.rodata,"a",@progbits
	.p2align	6, 0x0
	.amdhsa_kernel _ZN7rocprim17ROCPRIM_400000_NS6detail17trampoline_kernelINS0_14default_configENS1_20scan_config_selectorIdEEZZNS1_9scan_implILNS1_25lookback_scan_determinismE0ELb0ELb0ES3_N6thrust23THRUST_200600_302600_NS6detail15normal_iteratorINS9_10device_ptrIdEEEENS9_16discard_iteratorINS9_11use_defaultEEEd11max_functorIdEdEEDaPvRmT3_T4_T5_mT6_P12ihipStream_tbENKUlT_T0_E_clISt17integral_constantIbLb0EESW_IbLb1EEEEDaSS_ST_EUlSS_E_NS1_11comp_targetILNS1_3genE5ELNS1_11target_archE942ELNS1_3gpuE9ELNS1_3repE0EEENS1_30default_config_static_selectorELNS0_4arch9wavefront6targetE1EEEvT1_
		.amdhsa_group_segment_fixed_size 0
		.amdhsa_private_segment_fixed_size 0
		.amdhsa_kernarg_size 112
		.amdhsa_user_sgpr_count 6
		.amdhsa_user_sgpr_private_segment_buffer 1
		.amdhsa_user_sgpr_dispatch_ptr 0
		.amdhsa_user_sgpr_queue_ptr 0
		.amdhsa_user_sgpr_kernarg_segment_ptr 1
		.amdhsa_user_sgpr_dispatch_id 0
		.amdhsa_user_sgpr_flat_scratch_init 0
		.amdhsa_user_sgpr_kernarg_preload_length 0
		.amdhsa_user_sgpr_kernarg_preload_offset 0
		.amdhsa_user_sgpr_private_segment_size 0
		.amdhsa_uses_dynamic_stack 0
		.amdhsa_system_sgpr_private_segment_wavefront_offset 0
		.amdhsa_system_sgpr_workgroup_id_x 1
		.amdhsa_system_sgpr_workgroup_id_y 0
		.amdhsa_system_sgpr_workgroup_id_z 0
		.amdhsa_system_sgpr_workgroup_info 0
		.amdhsa_system_vgpr_workitem_id 0
		.amdhsa_next_free_vgpr 1
		.amdhsa_next_free_sgpr 0
		.amdhsa_accum_offset 4
		.amdhsa_reserve_vcc 0
		.amdhsa_reserve_flat_scratch 0
		.amdhsa_float_round_mode_32 0
		.amdhsa_float_round_mode_16_64 0
		.amdhsa_float_denorm_mode_32 3
		.amdhsa_float_denorm_mode_16_64 3
		.amdhsa_dx10_clamp 1
		.amdhsa_ieee_mode 1
		.amdhsa_fp16_overflow 0
		.amdhsa_tg_split 0
		.amdhsa_exception_fp_ieee_invalid_op 0
		.amdhsa_exception_fp_denorm_src 0
		.amdhsa_exception_fp_ieee_div_zero 0
		.amdhsa_exception_fp_ieee_overflow 0
		.amdhsa_exception_fp_ieee_underflow 0
		.amdhsa_exception_fp_ieee_inexact 0
		.amdhsa_exception_int_div_zero 0
	.end_amdhsa_kernel
	.section	.text._ZN7rocprim17ROCPRIM_400000_NS6detail17trampoline_kernelINS0_14default_configENS1_20scan_config_selectorIdEEZZNS1_9scan_implILNS1_25lookback_scan_determinismE0ELb0ELb0ES3_N6thrust23THRUST_200600_302600_NS6detail15normal_iteratorINS9_10device_ptrIdEEEENS9_16discard_iteratorINS9_11use_defaultEEEd11max_functorIdEdEEDaPvRmT3_T4_T5_mT6_P12ihipStream_tbENKUlT_T0_E_clISt17integral_constantIbLb0EESW_IbLb1EEEEDaSS_ST_EUlSS_E_NS1_11comp_targetILNS1_3genE5ELNS1_11target_archE942ELNS1_3gpuE9ELNS1_3repE0EEENS1_30default_config_static_selectorELNS0_4arch9wavefront6targetE1EEEvT1_,"axG",@progbits,_ZN7rocprim17ROCPRIM_400000_NS6detail17trampoline_kernelINS0_14default_configENS1_20scan_config_selectorIdEEZZNS1_9scan_implILNS1_25lookback_scan_determinismE0ELb0ELb0ES3_N6thrust23THRUST_200600_302600_NS6detail15normal_iteratorINS9_10device_ptrIdEEEENS9_16discard_iteratorINS9_11use_defaultEEEd11max_functorIdEdEEDaPvRmT3_T4_T5_mT6_P12ihipStream_tbENKUlT_T0_E_clISt17integral_constantIbLb0EESW_IbLb1EEEEDaSS_ST_EUlSS_E_NS1_11comp_targetILNS1_3genE5ELNS1_11target_archE942ELNS1_3gpuE9ELNS1_3repE0EEENS1_30default_config_static_selectorELNS0_4arch9wavefront6targetE1EEEvT1_,comdat
.Lfunc_end3045:
	.size	_ZN7rocprim17ROCPRIM_400000_NS6detail17trampoline_kernelINS0_14default_configENS1_20scan_config_selectorIdEEZZNS1_9scan_implILNS1_25lookback_scan_determinismE0ELb0ELb0ES3_N6thrust23THRUST_200600_302600_NS6detail15normal_iteratorINS9_10device_ptrIdEEEENS9_16discard_iteratorINS9_11use_defaultEEEd11max_functorIdEdEEDaPvRmT3_T4_T5_mT6_P12ihipStream_tbENKUlT_T0_E_clISt17integral_constantIbLb0EESW_IbLb1EEEEDaSS_ST_EUlSS_E_NS1_11comp_targetILNS1_3genE5ELNS1_11target_archE942ELNS1_3gpuE9ELNS1_3repE0EEENS1_30default_config_static_selectorELNS0_4arch9wavefront6targetE1EEEvT1_, .Lfunc_end3045-_ZN7rocprim17ROCPRIM_400000_NS6detail17trampoline_kernelINS0_14default_configENS1_20scan_config_selectorIdEEZZNS1_9scan_implILNS1_25lookback_scan_determinismE0ELb0ELb0ES3_N6thrust23THRUST_200600_302600_NS6detail15normal_iteratorINS9_10device_ptrIdEEEENS9_16discard_iteratorINS9_11use_defaultEEEd11max_functorIdEdEEDaPvRmT3_T4_T5_mT6_P12ihipStream_tbENKUlT_T0_E_clISt17integral_constantIbLb0EESW_IbLb1EEEEDaSS_ST_EUlSS_E_NS1_11comp_targetILNS1_3genE5ELNS1_11target_archE942ELNS1_3gpuE9ELNS1_3repE0EEENS1_30default_config_static_selectorELNS0_4arch9wavefront6targetE1EEEvT1_
                                        ; -- End function
	.section	.AMDGPU.csdata,"",@progbits
; Kernel info:
; codeLenInByte = 0
; NumSgprs: 4
; NumVgprs: 0
; NumAgprs: 0
; TotalNumVgprs: 0
; ScratchSize: 0
; MemoryBound: 0
; FloatMode: 240
; IeeeMode: 1
; LDSByteSize: 0 bytes/workgroup (compile time only)
; SGPRBlocks: 0
; VGPRBlocks: 0
; NumSGPRsForWavesPerEU: 4
; NumVGPRsForWavesPerEU: 1
; AccumOffset: 4
; Occupancy: 8
; WaveLimiterHint : 0
; COMPUTE_PGM_RSRC2:SCRATCH_EN: 0
; COMPUTE_PGM_RSRC2:USER_SGPR: 6
; COMPUTE_PGM_RSRC2:TRAP_HANDLER: 0
; COMPUTE_PGM_RSRC2:TGID_X_EN: 1
; COMPUTE_PGM_RSRC2:TGID_Y_EN: 0
; COMPUTE_PGM_RSRC2:TGID_Z_EN: 0
; COMPUTE_PGM_RSRC2:TIDIG_COMP_CNT: 0
; COMPUTE_PGM_RSRC3_GFX90A:ACCUM_OFFSET: 0
; COMPUTE_PGM_RSRC3_GFX90A:TG_SPLIT: 0
	.section	.text._ZN7rocprim17ROCPRIM_400000_NS6detail17trampoline_kernelINS0_14default_configENS1_20scan_config_selectorIdEEZZNS1_9scan_implILNS1_25lookback_scan_determinismE0ELb0ELb0ES3_N6thrust23THRUST_200600_302600_NS6detail15normal_iteratorINS9_10device_ptrIdEEEENS9_16discard_iteratorINS9_11use_defaultEEEd11max_functorIdEdEEDaPvRmT3_T4_T5_mT6_P12ihipStream_tbENKUlT_T0_E_clISt17integral_constantIbLb0EESW_IbLb1EEEEDaSS_ST_EUlSS_E_NS1_11comp_targetILNS1_3genE4ELNS1_11target_archE910ELNS1_3gpuE8ELNS1_3repE0EEENS1_30default_config_static_selectorELNS0_4arch9wavefront6targetE1EEEvT1_,"axG",@progbits,_ZN7rocprim17ROCPRIM_400000_NS6detail17trampoline_kernelINS0_14default_configENS1_20scan_config_selectorIdEEZZNS1_9scan_implILNS1_25lookback_scan_determinismE0ELb0ELb0ES3_N6thrust23THRUST_200600_302600_NS6detail15normal_iteratorINS9_10device_ptrIdEEEENS9_16discard_iteratorINS9_11use_defaultEEEd11max_functorIdEdEEDaPvRmT3_T4_T5_mT6_P12ihipStream_tbENKUlT_T0_E_clISt17integral_constantIbLb0EESW_IbLb1EEEEDaSS_ST_EUlSS_E_NS1_11comp_targetILNS1_3genE4ELNS1_11target_archE910ELNS1_3gpuE8ELNS1_3repE0EEENS1_30default_config_static_selectorELNS0_4arch9wavefront6targetE1EEEvT1_,comdat
	.protected	_ZN7rocprim17ROCPRIM_400000_NS6detail17trampoline_kernelINS0_14default_configENS1_20scan_config_selectorIdEEZZNS1_9scan_implILNS1_25lookback_scan_determinismE0ELb0ELb0ES3_N6thrust23THRUST_200600_302600_NS6detail15normal_iteratorINS9_10device_ptrIdEEEENS9_16discard_iteratorINS9_11use_defaultEEEd11max_functorIdEdEEDaPvRmT3_T4_T5_mT6_P12ihipStream_tbENKUlT_T0_E_clISt17integral_constantIbLb0EESW_IbLb1EEEEDaSS_ST_EUlSS_E_NS1_11comp_targetILNS1_3genE4ELNS1_11target_archE910ELNS1_3gpuE8ELNS1_3repE0EEENS1_30default_config_static_selectorELNS0_4arch9wavefront6targetE1EEEvT1_ ; -- Begin function _ZN7rocprim17ROCPRIM_400000_NS6detail17trampoline_kernelINS0_14default_configENS1_20scan_config_selectorIdEEZZNS1_9scan_implILNS1_25lookback_scan_determinismE0ELb0ELb0ES3_N6thrust23THRUST_200600_302600_NS6detail15normal_iteratorINS9_10device_ptrIdEEEENS9_16discard_iteratorINS9_11use_defaultEEEd11max_functorIdEdEEDaPvRmT3_T4_T5_mT6_P12ihipStream_tbENKUlT_T0_E_clISt17integral_constantIbLb0EESW_IbLb1EEEEDaSS_ST_EUlSS_E_NS1_11comp_targetILNS1_3genE4ELNS1_11target_archE910ELNS1_3gpuE8ELNS1_3repE0EEENS1_30default_config_static_selectorELNS0_4arch9wavefront6targetE1EEEvT1_
	.globl	_ZN7rocprim17ROCPRIM_400000_NS6detail17trampoline_kernelINS0_14default_configENS1_20scan_config_selectorIdEEZZNS1_9scan_implILNS1_25lookback_scan_determinismE0ELb0ELb0ES3_N6thrust23THRUST_200600_302600_NS6detail15normal_iteratorINS9_10device_ptrIdEEEENS9_16discard_iteratorINS9_11use_defaultEEEd11max_functorIdEdEEDaPvRmT3_T4_T5_mT6_P12ihipStream_tbENKUlT_T0_E_clISt17integral_constantIbLb0EESW_IbLb1EEEEDaSS_ST_EUlSS_E_NS1_11comp_targetILNS1_3genE4ELNS1_11target_archE910ELNS1_3gpuE8ELNS1_3repE0EEENS1_30default_config_static_selectorELNS0_4arch9wavefront6targetE1EEEvT1_
	.p2align	8
	.type	_ZN7rocprim17ROCPRIM_400000_NS6detail17trampoline_kernelINS0_14default_configENS1_20scan_config_selectorIdEEZZNS1_9scan_implILNS1_25lookback_scan_determinismE0ELb0ELb0ES3_N6thrust23THRUST_200600_302600_NS6detail15normal_iteratorINS9_10device_ptrIdEEEENS9_16discard_iteratorINS9_11use_defaultEEEd11max_functorIdEdEEDaPvRmT3_T4_T5_mT6_P12ihipStream_tbENKUlT_T0_E_clISt17integral_constantIbLb0EESW_IbLb1EEEEDaSS_ST_EUlSS_E_NS1_11comp_targetILNS1_3genE4ELNS1_11target_archE910ELNS1_3gpuE8ELNS1_3repE0EEENS1_30default_config_static_selectorELNS0_4arch9wavefront6targetE1EEEvT1_,@function
_ZN7rocprim17ROCPRIM_400000_NS6detail17trampoline_kernelINS0_14default_configENS1_20scan_config_selectorIdEEZZNS1_9scan_implILNS1_25lookback_scan_determinismE0ELb0ELb0ES3_N6thrust23THRUST_200600_302600_NS6detail15normal_iteratorINS9_10device_ptrIdEEEENS9_16discard_iteratorINS9_11use_defaultEEEd11max_functorIdEdEEDaPvRmT3_T4_T5_mT6_P12ihipStream_tbENKUlT_T0_E_clISt17integral_constantIbLb0EESW_IbLb1EEEEDaSS_ST_EUlSS_E_NS1_11comp_targetILNS1_3genE4ELNS1_11target_archE910ELNS1_3gpuE8ELNS1_3repE0EEENS1_30default_config_static_selectorELNS0_4arch9wavefront6targetE1EEEvT1_: ; @_ZN7rocprim17ROCPRIM_400000_NS6detail17trampoline_kernelINS0_14default_configENS1_20scan_config_selectorIdEEZZNS1_9scan_implILNS1_25lookback_scan_determinismE0ELb0ELb0ES3_N6thrust23THRUST_200600_302600_NS6detail15normal_iteratorINS9_10device_ptrIdEEEENS9_16discard_iteratorINS9_11use_defaultEEEd11max_functorIdEdEEDaPvRmT3_T4_T5_mT6_P12ihipStream_tbENKUlT_T0_E_clISt17integral_constantIbLb0EESW_IbLb1EEEEDaSS_ST_EUlSS_E_NS1_11comp_targetILNS1_3genE4ELNS1_11target_archE910ELNS1_3gpuE8ELNS1_3repE0EEENS1_30default_config_static_selectorELNS0_4arch9wavefront6targetE1EEEvT1_
; %bb.0:
	s_load_dwordx2 s[6:7], s[4:5], 0x20
	s_load_dwordx2 s[20:21], s[4:5], 0x38
	v_cmp_ne_u32_e64 s[0:1], 0, v0
	v_cmp_eq_u32_e64 s[2:3], 0, v0
	s_and_saveexec_b64 s[8:9], s[2:3]
	s_cbranch_execz .LBB3046_4
; %bb.1:
	s_mov_b64 s[12:13], exec
	v_mbcnt_lo_u32_b32 v1, s12, 0
	v_mbcnt_hi_u32_b32 v1, s13, v1
	v_cmp_eq_u32_e32 vcc, 0, v1
                                        ; implicit-def: $vgpr2
	s_and_saveexec_b64 s[10:11], vcc
	s_cbranch_execz .LBB3046_3
; %bb.2:
	s_load_dwordx2 s[14:15], s[4:5], 0x68
	s_bcnt1_i32_b64 s12, s[12:13]
	v_mov_b32_e32 v2, 0
	v_mov_b32_e32 v3, s12
	s_waitcnt lgkmcnt(0)
	global_atomic_add v2, v2, v3, s[14:15] glc
.LBB3046_3:
	s_or_b64 exec, exec, s[10:11]
	s_waitcnt vmcnt(0)
	v_readfirstlane_b32 s10, v2
	v_add_u32_e32 v1, s10, v1
	v_mov_b32_e32 v2, 0
	ds_write_b32 v2, v1
.LBB3046_4:
	s_or_b64 exec, exec, s[8:9]
	v_mov_b32_e32 v3, 0
	s_load_dwordx4 s[16:19], s[4:5], 0x0
	s_load_dword s22, s[4:5], 0x40
	s_load_dwordx8 s[8:15], s[4:5], 0x48
	s_waitcnt lgkmcnt(0)
	s_barrier
	ds_read_b32 v1, v3
	s_lshl_b64 s[4:5], s[18:19], 3
	s_add_u32 s4, s16, s4
	s_movk_i32 s16, 0x500
	s_addc_u32 s5, s17, s5
	s_waitcnt lgkmcnt(0)
	v_mul_lo_u32 v2, v1, s16
	s_add_i32 s16, s22, -1
	s_mul_i32 s17, s16, 0x500
	s_sub_u32 s24, s6, s17
	v_readfirstlane_b32 s26, v1
	s_subb_u32 s25, s7, 0
	v_lshlrev_b64 v[2:3], 3, v[2:3]
	s_cmp_lg_u32 s26, s16
	v_mov_b32_e32 v1, s5
	v_add_co_u32_e32 v36, vcc, s4, v2
	s_cselect_b64 s[16:17], -1, 0
	v_addc_co_u32_e32 v37, vcc, v1, v3, vcc
	s_mov_b64 s[4:5], -1
	s_and_b64 vcc, exec, s[16:17]
	s_barrier
	s_cbranch_vccz .LBB3046_6
; %bb.5:
	v_lshlrev_b32_e32 v1, 3, v0
	v_add_co_u32_e32 v2, vcc, v36, v1
	v_addc_co_u32_e32 v3, vcc, 0, v37, vcc
	v_add_co_u32_e32 v12, vcc, 0x1000, v2
	v_addc_co_u32_e32 v13, vcc, 0, v3, vcc
	flat_load_dwordx2 v[4:5], v[2:3]
	flat_load_dwordx2 v[6:7], v[2:3] offset:1024
	flat_load_dwordx2 v[8:9], v[2:3] offset:2048
	;; [unrolled: 1-line block ×3, first 2 shown]
	v_add_co_u32_e32 v2, vcc, 0x2000, v2
	v_addc_co_u32_e32 v3, vcc, 0, v3, vcc
	flat_load_dwordx2 v[14:15], v[12:13]
	flat_load_dwordx2 v[16:17], v[12:13] offset:1024
	flat_load_dwordx2 v[18:19], v[12:13] offset:2048
	;; [unrolled: 1-line block ×3, first 2 shown]
	s_nop 0
	flat_load_dwordx2 v[12:13], v[2:3]
	flat_load_dwordx2 v[22:23], v[2:3] offset:1024
	s_mov_b64 s[4:5], 0
	s_waitcnt vmcnt(0) lgkmcnt(0)
	ds_write2st64_b64 v1, v[4:5], v[6:7] offset1:2
	ds_write2st64_b64 v1, v[8:9], v[10:11] offset0:4 offset1:6
	ds_write2st64_b64 v1, v[14:15], v[16:17] offset0:8 offset1:10
	;; [unrolled: 1-line block ×4, first 2 shown]
	s_waitcnt lgkmcnt(0)
	s_barrier
.LBB3046_6:
	s_andn2_b64 vcc, exec, s[4:5]
	s_cbranch_vccnz .LBB3046_28
; %bb.7:
	flat_load_dwordx2 v[2:3], v[36:37]
	v_cmp_gt_u32_e32 vcc, s24, v0
	s_waitcnt vmcnt(0) lgkmcnt(0)
	v_mov_b32_e32 v4, v2
	v_mov_b32_e32 v5, v3
	;; [unrolled: 1-line block ×16, first 2 shown]
	v_pk_mov_b32 v[34:35], v[30:31], v[30:31] op_sel:[0,1]
	v_pk_mov_b32 v[32:33], v[28:29], v[28:29] op_sel:[0,1]
	;; [unrolled: 1-line block ×16, first 2 shown]
	s_and_saveexec_b64 s[4:5], vcc
	s_cbranch_execz .LBB3046_9
; %bb.8:
	v_lshlrev_b32_e32 v1, 3, v0
	v_add_co_u32_e32 v4, vcc, v36, v1
	v_addc_co_u32_e32 v5, vcc, 0, v37, vcc
	flat_load_dwordx2 v[38:39], v[4:5]
	v_mov_b32_e32 v4, v2
	v_mov_b32_e32 v5, v3
	;; [unrolled: 1-line block ×16, first 2 shown]
	v_pk_mov_b32 v[34:35], v[30:31], v[30:31] op_sel:[0,1]
	v_pk_mov_b32 v[32:33], v[28:29], v[28:29] op_sel:[0,1]
	;; [unrolled: 1-line block ×16, first 2 shown]
	s_waitcnt vmcnt(0) lgkmcnt(0)
	v_pk_mov_b32 v[2:3], v[38:39], v[38:39] op_sel:[0,1]
.LBB3046_9:
	s_or_b64 exec, exec, s[4:5]
	v_or_b32_e32 v1, 0x80, v0
	v_cmp_gt_u32_e32 vcc, s24, v1
	s_and_saveexec_b64 s[4:5], vcc
	s_cbranch_execz .LBB3046_11
; %bb.10:
	v_lshlrev_b32_e32 v1, 3, v0
	v_add_co_u32_e32 v4, vcc, v36, v1
	v_addc_co_u32_e32 v5, vcc, 0, v37, vcc
	flat_load_dwordx2 v[6:7], v[4:5] offset:1024
.LBB3046_11:
	s_or_b64 exec, exec, s[4:5]
	v_or_b32_e32 v1, 0x100, v0
	v_cmp_gt_u32_e32 vcc, s24, v1
	s_and_saveexec_b64 s[4:5], vcc
	s_cbranch_execz .LBB3046_13
; %bb.12:
	v_lshlrev_b32_e32 v1, 3, v0
	v_add_co_u32_e32 v4, vcc, v36, v1
	v_addc_co_u32_e32 v5, vcc, 0, v37, vcc
	flat_load_dwordx2 v[8:9], v[4:5] offset:2048
.LBB3046_13:
	;; [unrolled: 11-line block ×3, first 2 shown]
	s_or_b64 exec, exec, s[4:5]
	v_or_b32_e32 v1, 0x200, v0
	v_cmp_gt_u32_e32 vcc, s24, v1
	s_and_saveexec_b64 s[4:5], vcc
	s_cbranch_execz .LBB3046_17
; %bb.16:
	v_lshlrev_b32_e32 v1, 3, v1
	v_add_co_u32_e32 v4, vcc, v36, v1
	v_addc_co_u32_e32 v5, vcc, 0, v37, vcc
	flat_load_dwordx2 v[12:13], v[4:5]
.LBB3046_17:
	s_or_b64 exec, exec, s[4:5]
	v_or_b32_e32 v1, 0x280, v0
	v_cmp_gt_u32_e32 vcc, s24, v1
	s_and_saveexec_b64 s[4:5], vcc
	s_cbranch_execz .LBB3046_19
; %bb.18:
	v_lshlrev_b32_e32 v1, 3, v1
	v_add_co_u32_e32 v4, vcc, v36, v1
	v_addc_co_u32_e32 v5, vcc, 0, v37, vcc
	flat_load_dwordx2 v[14:15], v[4:5]
.LBB3046_19:
	;; [unrolled: 11-line block ×6, first 2 shown]
	s_or_b64 exec, exec, s[4:5]
	v_lshlrev_b32_e32 v1, 3, v0
	s_waitcnt vmcnt(0) lgkmcnt(0)
	ds_write2st64_b64 v1, v[2:3], v[6:7] offset1:2
	ds_write2st64_b64 v1, v[8:9], v[10:11] offset0:4 offset1:6
	ds_write2st64_b64 v1, v[12:13], v[14:15] offset0:8 offset1:10
	;; [unrolled: 1-line block ×4, first 2 shown]
	s_waitcnt lgkmcnt(0)
	s_barrier
.LBB3046_28:
	v_mul_u32_u24_e32 v42, 10, v0
	v_lshlrev_b32_e32 v43, 3, v42
	ds_read_b128 v[2:5], v43
	ds_read_b128 v[14:17], v43 offset:16
	ds_read_b128 v[10:13], v43 offset:32
	;; [unrolled: 1-line block ×4, first 2 shown]
	s_cmp_lg_u32 s26, 0
	v_mbcnt_lo_u32_b32 v1, -1, 0
	s_waitcnt lgkmcnt(0)
	s_barrier
	s_cbranch_scc0 .LBB3046_85
; %bb.29:
	v_cmp_lt_f64_e32 vcc, v[2:3], v[4:5]
	v_cndmask_b32_e32 v23, v3, v5, vcc
	v_cndmask_b32_e32 v22, v2, v4, vcc
	v_cmp_lt_f64_e32 vcc, v[22:23], v[14:15]
	v_cndmask_b32_e32 v23, v23, v15, vcc
	v_cndmask_b32_e32 v22, v22, v14, vcc
	;; [unrolled: 3-line block ×8, first 2 shown]
	v_cmp_lt_f64_e32 vcc, v[22:23], v[20:21]
	v_mbcnt_hi_u32_b32 v33, -1, v1
	v_cndmask_b32_e32 v23, v23, v21, vcc
	v_cndmask_b32_e32 v22, v22, v20, vcc
	v_and_b32_e32 v26, 15, v33
	v_mov_b32_dpp v25, v23 row_shr:1 row_mask:0xf bank_mask:0xf
	v_mov_b32_dpp v24, v22 row_shr:1 row_mask:0xf bank_mask:0xf
	v_cmp_ne_u32_e32 vcc, 0, v26
	s_and_saveexec_b64 s[4:5], vcc
; %bb.30:
	v_cmp_gt_f64_e32 vcc, v[22:23], v[24:25]
	v_cndmask_b32_e32 v23, v25, v23, vcc
	v_cndmask_b32_e32 v22, v24, v22, vcc
; %bb.31:
	s_or_b64 exec, exec, s[4:5]
	s_nop 0
	v_mov_b32_dpp v24, v22 row_shr:2 row_mask:0xf bank_mask:0xf
	v_mov_b32_dpp v25, v23 row_shr:2 row_mask:0xf bank_mask:0xf
	v_cmp_lt_u32_e32 vcc, 1, v26
	s_and_saveexec_b64 s[4:5], vcc
; %bb.32:
	v_cmp_gt_f64_e32 vcc, v[22:23], v[24:25]
	v_cndmask_b32_e32 v23, v25, v23, vcc
	v_cndmask_b32_e32 v22, v24, v22, vcc
; %bb.33:
	s_or_b64 exec, exec, s[4:5]
	s_nop 0
	v_mov_b32_dpp v24, v22 row_shr:4 row_mask:0xf bank_mask:0xf
	v_mov_b32_dpp v25, v23 row_shr:4 row_mask:0xf bank_mask:0xf
	v_cmp_lt_u32_e32 vcc, 3, v26
	;; [unrolled: 11-line block ×3, first 2 shown]
	s_and_saveexec_b64 s[4:5], vcc
; %bb.36:
	v_cmp_gt_f64_e32 vcc, v[22:23], v[24:25]
	v_cndmask_b32_e32 v23, v25, v23, vcc
	v_cndmask_b32_e32 v22, v24, v22, vcc
; %bb.37:
	s_or_b64 exec, exec, s[4:5]
	v_and_b32_e32 v26, 16, v33
	v_mov_b32_dpp v24, v22 row_bcast:15 row_mask:0xf bank_mask:0xf
	v_mov_b32_dpp v25, v23 row_bcast:15 row_mask:0xf bank_mask:0xf
	v_cmp_ne_u32_e32 vcc, 0, v26
	s_and_saveexec_b64 s[4:5], vcc
; %bb.38:
	v_cmp_gt_f64_e32 vcc, v[22:23], v[24:25]
	v_cndmask_b32_e32 v23, v25, v23, vcc
	v_cndmask_b32_e32 v22, v24, v22, vcc
; %bb.39:
	s_or_b64 exec, exec, s[4:5]
	s_nop 0
	v_mov_b32_dpp v24, v22 row_bcast:31 row_mask:0xf bank_mask:0xf
	v_mov_b32_dpp v25, v23 row_bcast:31 row_mask:0xf bank_mask:0xf
	v_cmp_gt_f64_e32 vcc, v[22:23], v[24:25]
	v_cndmask_b32_e32 v24, v24, v22, vcc
	v_cndmask_b32_e32 v25, v25, v23, vcc
	v_cmp_lt_u32_e32 vcc, 31, v33
	v_cndmask_b32_e32 v23, v23, v25, vcc
	v_or_b32_e32 v25, 63, v0
	v_cndmask_b32_e32 v22, v22, v24, vcc
	v_lshrrev_b32_e32 v24, 6, v0
	v_cmp_eq_u32_e32 vcc, v25, v0
	s_and_saveexec_b64 s[4:5], vcc
	s_cbranch_execz .LBB3046_41
; %bb.40:
	v_lshlrev_b32_e32 v25, 3, v24
	ds_write_b64 v25, v[22:23]
.LBB3046_41:
	s_or_b64 exec, exec, s[4:5]
	v_cmp_gt_u32_e32 vcc, 2, v0
	s_waitcnt lgkmcnt(0)
	s_barrier
	s_and_saveexec_b64 s[6:7], vcc
	s_cbranch_execz .LBB3046_43
; %bb.42:
	v_lshlrev_b32_e32 v25, 3, v0
	ds_read_b64 v[26:27], v25
	v_and_b32_e32 v28, 1, v33
	v_cmp_eq_u32_e32 vcc, 0, v28
	s_waitcnt lgkmcnt(0)
	v_mov_b32_dpp v30, v27 row_shr:1 row_mask:0xf bank_mask:0xf
	v_mov_b32_dpp v28, v26 row_shr:1 row_mask:0xf bank_mask:0xf
	v_mov_b32_e32 v29, v30
	v_cmp_gt_f64_e64 s[4:5], v[26:27], v[28:29]
	s_or_b64 vcc, vcc, s[4:5]
	v_cndmask_b32_e32 v27, v30, v27, vcc
	v_cndmask_b32_e32 v26, v28, v26, vcc
	ds_write_b64 v25, v[26:27]
.LBB3046_43:
	s_or_b64 exec, exec, s[6:7]
	v_cmp_gt_u32_e32 vcc, 64, v0
	v_cmp_lt_u32_e64 s[4:5], 63, v0
	s_waitcnt lgkmcnt(0)
	s_barrier
	s_waitcnt lgkmcnt(0)
                                        ; implicit-def: $vgpr30_vgpr31
	s_and_saveexec_b64 s[6:7], s[4:5]
	s_cbranch_execz .LBB3046_45
; %bb.44:
	v_lshl_add_u32 v24, v24, 3, -8
	ds_read_b64 v[30:31], v24
	s_waitcnt lgkmcnt(0)
	v_cmp_lt_f64_e64 s[4:5], v[30:31], v[22:23]
	v_cndmask_b32_e64 v23, v31, v23, s[4:5]
	v_cndmask_b32_e64 v22, v30, v22, s[4:5]
.LBB3046_45:
	s_or_b64 exec, exec, s[6:7]
	v_add_u32_e32 v24, -1, v33
	v_and_b32_e32 v25, 64, v33
	v_cmp_lt_i32_e64 s[4:5], v24, v25
	v_cndmask_b32_e64 v24, v24, v33, s[4:5]
	v_lshlrev_b32_e32 v24, 2, v24
	ds_bpermute_b32 v38, v24, v22
	ds_bpermute_b32 v39, v24, v23
	v_cmp_eq_u32_e64 s[4:5], 0, v33
	s_and_saveexec_b64 s[18:19], vcc
	s_cbranch_execz .LBB3046_84
; %bb.46:
	v_mov_b32_e32 v25, 0
	ds_read_b64 v[22:23], v25 offset:8
	s_and_saveexec_b64 s[6:7], s[4:5]
	s_cbranch_execz .LBB3046_48
; %bb.47:
	s_add_i32 s22, s26, 64
	s_mov_b32 s23, 0
	s_lshl_b64 s[22:23], s[22:23], 4
	s_add_u32 s22, s20, s22
	s_addc_u32 s23, s21, s23
	v_mov_b32_e32 v24, 1
	v_pk_mov_b32 v[26:27], s[22:23], s[22:23] op_sel:[0,1]
	s_waitcnt lgkmcnt(0)
	;;#ASMSTART
	global_store_dwordx4 v[26:27], v[22:25] off	
s_waitcnt vmcnt(0)
	;;#ASMEND
.LBB3046_48:
	s_or_b64 exec, exec, s[6:7]
	v_xad_u32 v32, v33, -1, s26
	v_add_u32_e32 v24, 64, v32
	v_lshlrev_b64 v[26:27], 4, v[24:25]
	v_mov_b32_e32 v24, s21
	v_add_co_u32_e32 v34, vcc, s20, v26
	v_addc_co_u32_e32 v35, vcc, v24, v27, vcc
	;;#ASMSTART
	global_load_dwordx4 v[26:29], v[34:35] off glc	
s_waitcnt vmcnt(0)
	;;#ASMEND
	v_and_b32_e32 v24, 0xff, v27
	v_and_b32_e32 v29, 0xff00, v27
	v_or3_b32 v24, 0, v24, v29
	v_or3_b32 v26, v26, 0, 0
	v_and_b32_e32 v29, 0xff000000, v27
	v_and_b32_e32 v27, 0xff0000, v27
	v_or3_b32 v27, v24, v27, v29
	v_or3_b32 v26, v26, 0, 0
	v_cmp_eq_u16_sdwa s[22:23], v28, v25 src0_sel:BYTE_0 src1_sel:DWORD
	s_and_saveexec_b64 s[6:7], s[22:23]
	s_cbranch_execz .LBB3046_52
; %bb.49:
	s_mov_b64 s[22:23], 0
	v_mov_b32_e32 v24, 0
.LBB3046_50:                            ; =>This Inner Loop Header: Depth=1
	;;#ASMSTART
	global_load_dwordx4 v[26:29], v[34:35] off glc	
s_waitcnt vmcnt(0)
	;;#ASMEND
	v_cmp_ne_u16_sdwa s[28:29], v28, v24 src0_sel:BYTE_0 src1_sel:DWORD
	s_or_b64 s[22:23], s[28:29], s[22:23]
	s_andn2_b64 exec, exec, s[22:23]
	s_cbranch_execnz .LBB3046_50
; %bb.51:
	s_or_b64 exec, exec, s[22:23]
.LBB3046_52:
	s_or_b64 exec, exec, s[6:7]
	v_and_b32_e32 v40, 63, v33
	v_mov_b32_e32 v24, 2
	v_cmp_ne_u32_e32 vcc, 63, v40
	v_cmp_eq_u16_sdwa s[6:7], v28, v24 src0_sel:BYTE_0 src1_sel:DWORD
	v_lshlrev_b64 v[24:25], v33, -1
	v_addc_co_u32_e32 v34, vcc, 0, v33, vcc
	v_and_b32_e32 v29, s7, v25
	v_lshlrev_b32_e32 v41, 2, v34
	v_or_b32_e32 v29, 0x80000000, v29
	ds_bpermute_b32 v34, v41, v26
	ds_bpermute_b32 v35, v41, v27
	v_and_b32_e32 v36, s6, v24
	v_ffbl_b32_e32 v29, v29
	v_add_u32_e32 v29, 32, v29
	v_ffbl_b32_e32 v36, v36
	v_min_u32_e32 v29, v36, v29
	v_cmp_lt_u32_e32 vcc, v40, v29
	s_and_saveexec_b64 s[6:7], vcc
	s_cbranch_execz .LBB3046_54
; %bb.53:
	s_waitcnt lgkmcnt(0)
	v_cmp_lt_f64_e32 vcc, v[34:35], v[26:27]
	v_cndmask_b32_e32 v27, v35, v27, vcc
	v_cndmask_b32_e32 v26, v34, v26, vcc
.LBB3046_54:
	s_or_b64 exec, exec, s[6:7]
	v_cmp_gt_u32_e32 vcc, 62, v40
	s_waitcnt lgkmcnt(1)
	v_cndmask_b32_e64 v34, 0, 1, vcc
	v_lshlrev_b32_e32 v34, 1, v34
	v_add_lshl_u32 v44, v34, v33, 2
	ds_bpermute_b32 v34, v44, v26
	s_waitcnt lgkmcnt(1)
	ds_bpermute_b32 v35, v44, v27
	v_add_u32_e32 v45, 2, v40
	v_cmp_le_u32_e32 vcc, v45, v29
	s_and_saveexec_b64 s[6:7], vcc
	s_cbranch_execz .LBB3046_56
; %bb.55:
	s_waitcnt lgkmcnt(0)
	v_cmp_gt_f64_e32 vcc, v[26:27], v[34:35]
	v_cndmask_b32_e32 v27, v35, v27, vcc
	v_cndmask_b32_e32 v26, v34, v26, vcc
.LBB3046_56:
	s_or_b64 exec, exec, s[6:7]
	v_cmp_gt_u32_e32 vcc, 60, v40
	s_waitcnt lgkmcnt(1)
	v_cndmask_b32_e64 v34, 0, 1, vcc
	v_lshlrev_b32_e32 v34, 2, v34
	v_add_lshl_u32 v46, v34, v33, 2
	ds_bpermute_b32 v34, v46, v26
	s_waitcnt lgkmcnt(1)
	ds_bpermute_b32 v35, v46, v27
	v_add_u32_e32 v47, 4, v40
	v_cmp_le_u32_e32 vcc, v47, v29
	s_and_saveexec_b64 s[6:7], vcc
	s_cbranch_execz .LBB3046_58
; %bb.57:
	s_waitcnt lgkmcnt(0)
	v_cmp_gt_f64_e32 vcc, v[26:27], v[34:35]
	v_cndmask_b32_e32 v27, v35, v27, vcc
	v_cndmask_b32_e32 v26, v34, v26, vcc
.LBB3046_58:
	;; [unrolled: 19-line block ×4, first 2 shown]
	s_or_b64 exec, exec, s[6:7]
	v_cmp_gt_u32_e32 vcc, 32, v40
	s_waitcnt lgkmcnt(1)
	v_cndmask_b32_e64 v34, 0, 1, vcc
	v_lshlrev_b32_e32 v34, 5, v34
	v_add_lshl_u32 v52, v34, v33, 2
	ds_bpermute_b32 v34, v52, v27
	ds_bpermute_b32 v36, v52, v26
	v_add_u32_e32 v53, 32, v40
	v_cmp_gt_u32_e32 vcc, v53, v29
	v_mov_b32_e32 v33, 0
	s_waitcnt lgkmcnt(1)
	v_mov_b32_e32 v37, v34
	s_waitcnt lgkmcnt(0)
	v_cmp_gt_f64_e64 s[6:7], v[26:27], v[36:37]
	s_or_b64 vcc, vcc, s[6:7]
	v_cndmask_b32_e32 v27, v34, v27, vcc
	v_cndmask_b32_e32 v26, v36, v26, vcc
	v_mov_b32_e32 v54, 2
	s_branch .LBB3046_64
.LBB3046_63:                            ;   in Loop: Header=BB3046_64 Depth=1
	s_or_b64 exec, exec, s[6:7]
	s_waitcnt lgkmcnt(1)
	ds_bpermute_b32 v36, v52, v27
	ds_bpermute_b32 v56, v52, v26
	v_cmp_gt_u32_e32 vcc, v53, v29
	v_subrev_u32_e32 v32, 64, v32
	s_waitcnt lgkmcnt(1)
	v_mov_b32_e32 v57, v36
	s_waitcnt lgkmcnt(0)
	v_cmp_gt_f64_e64 s[6:7], v[26:27], v[56:57]
	s_or_b64 vcc, vcc, s[6:7]
	v_cndmask_b32_e32 v27, v36, v27, vcc
	v_cndmask_b32_e32 v26, v56, v26, vcc
	v_cmp_lt_f64_e32 vcc, v[26:27], v[34:35]
	v_cndmask_b32_e32 v27, v27, v35, vcc
	v_cndmask_b32_e32 v26, v26, v34, vcc
.LBB3046_64:                            ; =>This Loop Header: Depth=1
                                        ;     Child Loop BB3046_67 Depth 2
	v_cmp_ne_u16_sdwa s[6:7], v28, v54 src0_sel:BYTE_0 src1_sel:DWORD
	v_cndmask_b32_e64 v28, 0, 1, s[6:7]
	;;#ASMSTART
	;;#ASMEND
	v_cmp_ne_u32_e32 vcc, 0, v28
	s_cmp_lg_u64 vcc, exec
	v_pk_mov_b32 v[34:35], v[26:27], v[26:27] op_sel:[0,1]
	s_cbranch_scc1 .LBB3046_79
; %bb.65:                               ;   in Loop: Header=BB3046_64 Depth=1
	v_lshlrev_b64 v[26:27], 4, v[32:33]
	v_mov_b32_e32 v28, s21
	v_add_co_u32_e32 v36, vcc, s20, v26
	v_addc_co_u32_e32 v37, vcc, v28, v27, vcc
	;;#ASMSTART
	global_load_dwordx4 v[26:29], v[36:37] off glc	
s_waitcnt vmcnt(0)
	;;#ASMEND
	v_and_b32_e32 v29, 0xff, v27
	v_and_b32_e32 v55, 0xff00, v27
	v_or3_b32 v29, 0, v29, v55
	v_or3_b32 v26, v26, 0, 0
	v_and_b32_e32 v55, 0xff000000, v27
	v_and_b32_e32 v27, 0xff0000, v27
	v_or3_b32 v27, v29, v27, v55
	v_or3_b32 v26, v26, 0, 0
	v_cmp_eq_u16_sdwa s[22:23], v28, v33 src0_sel:BYTE_0 src1_sel:DWORD
	s_and_saveexec_b64 s[6:7], s[22:23]
	s_cbranch_execz .LBB3046_69
; %bb.66:                               ;   in Loop: Header=BB3046_64 Depth=1
	s_mov_b64 s[22:23], 0
.LBB3046_67:                            ;   Parent Loop BB3046_64 Depth=1
                                        ; =>  This Inner Loop Header: Depth=2
	;;#ASMSTART
	global_load_dwordx4 v[26:29], v[36:37] off glc	
s_waitcnt vmcnt(0)
	;;#ASMEND
	v_cmp_ne_u16_sdwa s[28:29], v28, v33 src0_sel:BYTE_0 src1_sel:DWORD
	s_or_b64 s[22:23], s[28:29], s[22:23]
	s_andn2_b64 exec, exec, s[22:23]
	s_cbranch_execnz .LBB3046_67
; %bb.68:                               ;   in Loop: Header=BB3046_64 Depth=1
	s_or_b64 exec, exec, s[22:23]
.LBB3046_69:                            ;   in Loop: Header=BB3046_64 Depth=1
	s_or_b64 exec, exec, s[6:7]
	v_cmp_eq_u16_sdwa s[6:7], v28, v54 src0_sel:BYTE_0 src1_sel:DWORD
	v_and_b32_e32 v29, s7, v25
	v_or_b32_e32 v29, 0x80000000, v29
	ds_bpermute_b32 v36, v41, v26
	ds_bpermute_b32 v37, v41, v27
	v_and_b32_e32 v55, s6, v24
	v_ffbl_b32_e32 v29, v29
	v_add_u32_e32 v29, 32, v29
	v_ffbl_b32_e32 v55, v55
	v_min_u32_e32 v29, v55, v29
	v_cmp_lt_u32_e32 vcc, v40, v29
	s_and_saveexec_b64 s[6:7], vcc
	s_cbranch_execz .LBB3046_71
; %bb.70:                               ;   in Loop: Header=BB3046_64 Depth=1
	s_waitcnt lgkmcnt(0)
	v_cmp_lt_f64_e32 vcc, v[36:37], v[26:27]
	v_cndmask_b32_e32 v27, v37, v27, vcc
	v_cndmask_b32_e32 v26, v36, v26, vcc
.LBB3046_71:                            ;   in Loop: Header=BB3046_64 Depth=1
	s_or_b64 exec, exec, s[6:7]
	s_waitcnt lgkmcnt(1)
	ds_bpermute_b32 v36, v44, v26
	s_waitcnt lgkmcnt(1)
	ds_bpermute_b32 v37, v44, v27
	v_cmp_le_u32_e32 vcc, v45, v29
	s_and_saveexec_b64 s[6:7], vcc
	s_cbranch_execz .LBB3046_73
; %bb.72:                               ;   in Loop: Header=BB3046_64 Depth=1
	s_waitcnt lgkmcnt(0)
	v_cmp_gt_f64_e32 vcc, v[26:27], v[36:37]
	v_cndmask_b32_e32 v27, v37, v27, vcc
	v_cndmask_b32_e32 v26, v36, v26, vcc
.LBB3046_73:                            ;   in Loop: Header=BB3046_64 Depth=1
	s_or_b64 exec, exec, s[6:7]
	s_waitcnt lgkmcnt(1)
	ds_bpermute_b32 v36, v46, v26
	s_waitcnt lgkmcnt(1)
	ds_bpermute_b32 v37, v46, v27
	v_cmp_le_u32_e32 vcc, v47, v29
	s_and_saveexec_b64 s[6:7], vcc
	s_cbranch_execz .LBB3046_75
; %bb.74:                               ;   in Loop: Header=BB3046_64 Depth=1
	s_waitcnt lgkmcnt(0)
	v_cmp_gt_f64_e32 vcc, v[26:27], v[36:37]
	v_cndmask_b32_e32 v27, v37, v27, vcc
	v_cndmask_b32_e32 v26, v36, v26, vcc
.LBB3046_75:                            ;   in Loop: Header=BB3046_64 Depth=1
	s_or_b64 exec, exec, s[6:7]
	s_waitcnt lgkmcnt(1)
	ds_bpermute_b32 v36, v48, v26
	s_waitcnt lgkmcnt(1)
	ds_bpermute_b32 v37, v48, v27
	v_cmp_le_u32_e32 vcc, v49, v29
	s_and_saveexec_b64 s[6:7], vcc
	s_cbranch_execz .LBB3046_77
; %bb.76:                               ;   in Loop: Header=BB3046_64 Depth=1
	s_waitcnt lgkmcnt(0)
	v_cmp_gt_f64_e32 vcc, v[26:27], v[36:37]
	v_cndmask_b32_e32 v27, v37, v27, vcc
	v_cndmask_b32_e32 v26, v36, v26, vcc
.LBB3046_77:                            ;   in Loop: Header=BB3046_64 Depth=1
	s_or_b64 exec, exec, s[6:7]
	s_waitcnt lgkmcnt(1)
	ds_bpermute_b32 v36, v50, v26
	s_waitcnt lgkmcnt(1)
	ds_bpermute_b32 v37, v50, v27
	v_cmp_le_u32_e32 vcc, v51, v29
	s_and_saveexec_b64 s[6:7], vcc
	s_cbranch_execz .LBB3046_63
; %bb.78:                               ;   in Loop: Header=BB3046_64 Depth=1
	s_waitcnt lgkmcnt(0)
	v_cmp_gt_f64_e32 vcc, v[26:27], v[36:37]
	v_cndmask_b32_e32 v27, v37, v27, vcc
	v_cndmask_b32_e32 v26, v36, v26, vcc
	s_branch .LBB3046_63
.LBB3046_79:                            ;   in Loop: Header=BB3046_64 Depth=1
                                        ; implicit-def: $vgpr26_vgpr27
                                        ; implicit-def: $vgpr28
	s_cbranch_execz .LBB3046_64
; %bb.80:
	s_and_saveexec_b64 s[6:7], s[4:5]
	s_cbranch_execz .LBB3046_82
; %bb.81:
	s_add_i32 s22, s26, 64
	s_mov_b32 s23, 0
	s_lshl_b64 s[22:23], s[22:23], 4
	s_add_u32 s22, s20, s22
	v_cmp_lt_f64_e32 vcc, v[34:35], v[22:23]
	s_addc_u32 s23, s21, s23
	v_cndmask_b32_e32 v23, v35, v23, vcc
	v_cndmask_b32_e32 v22, v34, v22, vcc
	v_mov_b32_e32 v24, 2
	v_mov_b32_e32 v25, 0
	v_pk_mov_b32 v[26:27], s[22:23], s[22:23] op_sel:[0,1]
	;;#ASMSTART
	global_store_dwordx4 v[26:27], v[22:25] off	
s_waitcnt vmcnt(0)
	;;#ASMEND
.LBB3046_82:
	s_or_b64 exec, exec, s[6:7]
	s_and_b64 exec, exec, s[2:3]
	s_cbranch_execz .LBB3046_84
; %bb.83:
	v_mov_b32_e32 v22, 0
	ds_write_b64 v22, v[34:35] offset:8
.LBB3046_84:
	s_or_b64 exec, exec, s[18:19]
	v_mov_b32_e32 v24, 0
	s_waitcnt lgkmcnt(0)
	s_barrier
	ds_read_b64 v[24:25], v24 offset:8
	v_cndmask_b32_e64 v23, v39, v31, s[4:5]
	v_cndmask_b32_e64 v22, v38, v30, s[4:5]
	v_cmp_lt_f64_e32 vcc, v[22:23], v[2:3]
	s_or_b64 vcc, s[2:3], vcc
	v_cndmask_b32_e32 v23, v23, v3, vcc
	v_cndmask_b32_e32 v22, v22, v2, vcc
	s_waitcnt lgkmcnt(0)
	v_cmp_lt_f64_e32 vcc, v[24:25], v[22:23]
	v_cndmask_b32_e32 v23, v25, v23, vcc
	v_cndmask_b32_e32 v22, v24, v22, vcc
	v_cmp_lt_f64_e32 vcc, v[22:23], v[4:5]
	v_cndmask_b32_e32 v25, v23, v5, vcc
	v_cndmask_b32_e32 v24, v22, v4, vcc
	;; [unrolled: 3-line block ×10, first 2 shown]
	s_branch .LBB3046_109
.LBB3046_85:
                                        ; implicit-def: $vgpr40_vgpr41
                                        ; implicit-def: $vgpr36_vgpr37
                                        ; implicit-def: $vgpr32_vgpr33
                                        ; implicit-def: $vgpr28_vgpr29
                                        ; implicit-def: $vgpr24_vgpr25
	s_cbranch_execz .LBB3046_109
; %bb.86:
	s_cmp_lg_u64 s[12:13], 0
	s_cselect_b64 s[4:5], -1, 0
	s_and_b64 s[4:5], s[2:3], s[4:5]
	s_and_saveexec_b64 s[2:3], s[4:5]
	s_cbranch_execz .LBB3046_88
; %bb.87:
	v_mov_b32_e32 v22, 0
	global_load_dwordx2 v[22:23], v22, s[8:9]
	s_waitcnt vmcnt(0)
	v_cmp_lt_f64_e32 vcc, v[22:23], v[2:3]
	v_cndmask_b32_e32 v3, v23, v3, vcc
	v_cndmask_b32_e32 v2, v22, v2, vcc
.LBB3046_88:
	s_or_b64 exec, exec, s[2:3]
	v_cmp_lt_f64_e32 vcc, v[2:3], v[4:5]
	v_cndmask_b32_e32 v23, v3, v5, vcc
	v_cndmask_b32_e32 v22, v2, v4, vcc
	v_cmp_lt_f64_e32 vcc, v[22:23], v[14:15]
	v_cndmask_b32_e32 v23, v23, v15, vcc
	v_cndmask_b32_e32 v22, v22, v14, vcc
	;; [unrolled: 3-line block ×8, first 2 shown]
	v_cmp_lt_f64_e32 vcc, v[22:23], v[20:21]
	v_mbcnt_hi_u32_b32 v1, -1, v1
	v_cndmask_b32_e32 v23, v23, v21, vcc
	v_cndmask_b32_e32 v22, v22, v20, vcc
	v_and_b32_e32 v26, 15, v1
	v_mov_b32_dpp v25, v23 row_shr:1 row_mask:0xf bank_mask:0xf
	v_mov_b32_dpp v24, v22 row_shr:1 row_mask:0xf bank_mask:0xf
	v_cmp_ne_u32_e32 vcc, 0, v26
	s_and_saveexec_b64 s[2:3], vcc
; %bb.89:
	v_cmp_gt_f64_e32 vcc, v[22:23], v[24:25]
	v_cndmask_b32_e32 v23, v25, v23, vcc
	v_cndmask_b32_e32 v22, v24, v22, vcc
; %bb.90:
	s_or_b64 exec, exec, s[2:3]
	s_nop 0
	v_mov_b32_dpp v24, v22 row_shr:2 row_mask:0xf bank_mask:0xf
	v_mov_b32_dpp v25, v23 row_shr:2 row_mask:0xf bank_mask:0xf
	v_cmp_lt_u32_e32 vcc, 1, v26
	s_and_saveexec_b64 s[2:3], vcc
; %bb.91:
	v_cmp_gt_f64_e32 vcc, v[22:23], v[24:25]
	v_cndmask_b32_e32 v23, v25, v23, vcc
	v_cndmask_b32_e32 v22, v24, v22, vcc
; %bb.92:
	s_or_b64 exec, exec, s[2:3]
	s_nop 0
	v_mov_b32_dpp v24, v22 row_shr:4 row_mask:0xf bank_mask:0xf
	v_mov_b32_dpp v25, v23 row_shr:4 row_mask:0xf bank_mask:0xf
	v_cmp_lt_u32_e32 vcc, 3, v26
	;; [unrolled: 11-line block ×3, first 2 shown]
	s_and_saveexec_b64 s[2:3], vcc
; %bb.95:
	v_cmp_gt_f64_e32 vcc, v[22:23], v[24:25]
	v_cndmask_b32_e32 v23, v25, v23, vcc
	v_cndmask_b32_e32 v22, v24, v22, vcc
; %bb.96:
	s_or_b64 exec, exec, s[2:3]
	v_and_b32_e32 v26, 16, v1
	v_mov_b32_dpp v24, v22 row_bcast:15 row_mask:0xf bank_mask:0xf
	v_mov_b32_dpp v25, v23 row_bcast:15 row_mask:0xf bank_mask:0xf
	v_cmp_ne_u32_e32 vcc, 0, v26
	s_and_saveexec_b64 s[2:3], vcc
; %bb.97:
	v_cmp_gt_f64_e32 vcc, v[22:23], v[24:25]
	v_cndmask_b32_e32 v23, v25, v23, vcc
	v_cndmask_b32_e32 v22, v24, v22, vcc
; %bb.98:
	s_or_b64 exec, exec, s[2:3]
	s_nop 0
	v_mov_b32_dpp v24, v22 row_bcast:31 row_mask:0xf bank_mask:0xf
	v_mov_b32_dpp v25, v23 row_bcast:31 row_mask:0xf bank_mask:0xf
	v_cmp_gt_f64_e32 vcc, v[22:23], v[24:25]
	v_cndmask_b32_e32 v24, v24, v22, vcc
	v_cndmask_b32_e32 v25, v25, v23, vcc
	v_cmp_lt_u32_e32 vcc, 31, v1
	v_cndmask_b32_e32 v22, v22, v24, vcc
	v_or_b32_e32 v24, 63, v0
	v_cndmask_b32_e32 v23, v23, v25, vcc
	v_lshrrev_b32_e32 v26, 6, v0
	v_cmp_eq_u32_e32 vcc, v24, v0
	s_and_saveexec_b64 s[2:3], vcc
	s_cbranch_execz .LBB3046_100
; %bb.99:
	v_lshlrev_b32_e32 v24, 3, v26
	ds_write_b64 v24, v[22:23]
.LBB3046_100:
	s_or_b64 exec, exec, s[2:3]
	v_cmp_gt_u32_e32 vcc, 2, v0
	s_waitcnt lgkmcnt(0)
	s_barrier
	s_and_saveexec_b64 s[4:5], vcc
	s_cbranch_execz .LBB3046_102
; %bb.101:
	s_movk_i32 s2, 0xffb8
	v_mad_i32_i24 v27, v0, s2, v43
	ds_read_b64 v[24:25], v27
	v_and_b32_e32 v28, 1, v1
	v_cmp_eq_u32_e32 vcc, 0, v28
	s_waitcnt lgkmcnt(0)
	v_mov_b32_dpp v30, v25 row_shr:1 row_mask:0xf bank_mask:0xf
	v_mov_b32_dpp v28, v24 row_shr:1 row_mask:0xf bank_mask:0xf
	v_mov_b32_e32 v29, v30
	v_cmp_gt_f64_e64 s[2:3], v[24:25], v[28:29]
	s_or_b64 vcc, vcc, s[2:3]
	v_cndmask_b32_e32 v25, v30, v25, vcc
	v_cndmask_b32_e32 v24, v28, v24, vcc
	ds_write_b64 v27, v[24:25]
.LBB3046_102:
	s_or_b64 exec, exec, s[4:5]
	v_cmp_lt_u32_e32 vcc, 63, v0
	s_waitcnt lgkmcnt(0)
	s_barrier
	s_waitcnt lgkmcnt(0)
                                        ; implicit-def: $vgpr24_vgpr25
	s_and_saveexec_b64 s[2:3], vcc
	s_cbranch_execz .LBB3046_104
; %bb.103:
	v_lshl_add_u32 v24, v26, 3, -8
	ds_read_b64 v[24:25], v24
	s_waitcnt lgkmcnt(0)
	v_cmp_lt_f64_e32 vcc, v[24:25], v[22:23]
	v_cndmask_b32_e32 v23, v25, v23, vcc
	v_cndmask_b32_e32 v22, v24, v22, vcc
.LBB3046_104:
	s_or_b64 exec, exec, s[2:3]
	v_add_u32_e32 v26, -1, v1
	v_and_b32_e32 v27, 64, v1
	v_cmp_lt_i32_e32 vcc, v26, v27
	v_cndmask_b32_e32 v26, v26, v1, vcc
	v_lshlrev_b32_e32 v26, 2, v26
	ds_bpermute_b32 v22, v26, v22
	ds_bpermute_b32 v23, v26, v23
	s_and_saveexec_b64 s[2:3], s[0:1]
	s_cbranch_execz .LBB3046_106
; %bb.105:
	v_cmp_eq_u32_e32 vcc, 0, v1
	s_waitcnt lgkmcnt(0)
	v_cndmask_b32_e32 v23, v23, v25, vcc
	v_cndmask_b32_e32 v22, v22, v24, vcc
	v_cmp_gt_f64_e32 vcc, v[2:3], v[22:23]
	v_cndmask_b32_e32 v3, v23, v3, vcc
	v_cndmask_b32_e32 v2, v22, v2, vcc
	;;#ASMSTART
	;;#ASMEND
.LBB3046_106:
	s_or_b64 exec, exec, s[2:3]
	v_cmp_gt_f64_e32 vcc, v[4:5], v[2:3]
	v_cndmask_b32_e32 v25, v3, v5, vcc
	v_cndmask_b32_e32 v24, v2, v4, vcc
	v_cmp_lt_f64_e32 vcc, v[24:25], v[14:15]
	v_cndmask_b32_e32 v27, v25, v15, vcc
	v_cndmask_b32_e32 v26, v24, v14, vcc
	v_cmp_lt_f64_e32 vcc, v[26:27], v[16:17]
	;; [unrolled: 3-line block ×8, first 2 shown]
	s_movk_i32 s0, 0x7f
	v_cndmask_b32_e32 v41, v39, v21, vcc
	v_cndmask_b32_e32 v40, v38, v20, vcc
	v_cmp_eq_u32_e32 vcc, s0, v0
	s_and_saveexec_b64 s[0:1], vcc
	s_cbranch_execz .LBB3046_108
; %bb.107:
	s_add_u32 s2, s20, 0x400
	s_addc_u32 s3, s21, 0
	v_mov_b32_e32 v6, 2
	v_mov_b32_e32 v7, 0
	;; [unrolled: 1-line block ×4, first 2 shown]
	v_pk_mov_b32 v[8:9], s[2:3], s[2:3] op_sel:[0,1]
	;;#ASMSTART
	global_store_dwordx4 v[8:9], v[4:7] off	
s_waitcnt vmcnt(0)
	;;#ASMEND
.LBB3046_108:
	s_or_b64 exec, exec, s[0:1]
	s_waitcnt lgkmcnt(0)
	v_pk_mov_b32 v[22:23], v[2:3], v[2:3] op_sel:[0,1]
.LBB3046_109:
	s_mov_b64 s[0:1], -1
	s_and_b64 vcc, exec, s[16:17]
	s_barrier
	ds_write_b128 v43, v[22:25]
	ds_write_b128 v43, v[26:29] offset:16
	ds_write_b128 v43, v[30:33] offset:32
	;; [unrolled: 1-line block ×4, first 2 shown]
	s_waitcnt lgkmcnt(0)
	s_cbranch_vccz .LBB3046_111
; %bb.110:
	s_barrier
	s_mov_b64 s[0:1], 0
.LBB3046_111:
	s_andn2_b64 vcc, exec, s[0:1]
	s_cbranch_vccnz .LBB3046_147
; %bb.112:
	v_cmp_lt_u64_e64 s[0:1], s[14:15], 2
	s_and_b64 vcc, exec, s[0:1]
	s_barrier
	s_cbranch_vccnz .LBB3046_147
; %bb.113:
	s_add_u32 s0, s24, -1
	s_addc_u32 s1, s25, -1
	s_add_u32 s2, 0, 0x99986000
	s_addc_u32 s3, 0, 0x59
	s_add_i32 s3, s3, 0x19999940
	s_mul_hi_u32 s7, s2, -10
	s_sub_i32 s7, s7, s2
	s_mul_i32 s8, s3, -10
	s_mul_i32 s4, s2, -10
	s_add_i32 s7, s7, s8
	s_mul_hi_u32 s5, s3, s4
	s_mul_i32 s6, s3, s4
	s_mul_i32 s9, s2, s7
	s_mul_hi_u32 s4, s2, s4
	s_mul_hi_u32 s8, s2, s7
	s_add_u32 s4, s4, s9
	s_addc_u32 s8, 0, s8
	s_add_u32 s4, s4, s6
	s_mul_hi_u32 s9, s3, s7
	s_addc_u32 s4, s8, s5
	s_addc_u32 s5, s9, 0
	s_mul_i32 s6, s3, s7
	s_add_u32 s4, s4, s6
	v_mov_b32_e32 v2, s4
	s_addc_u32 s5, 0, s5
	v_add_co_u32_e32 v2, vcc, s2, v2
	s_cmp_lg_u64 vcc, 0
	s_addc_u32 s2, s3, s5
	v_readfirstlane_b32 s5, v2
	s_mul_i32 s4, s0, s2
	s_mul_hi_u32 s6, s0, s5
	s_mul_hi_u32 s3, s0, s2
	s_add_u32 s4, s6, s4
	s_addc_u32 s3, 0, s3
	s_mul_hi_u32 s7, s1, s5
	s_mul_i32 s5, s1, s5
	s_add_u32 s4, s4, s5
	s_mul_hi_u32 s6, s1, s2
	s_addc_u32 s3, s3, s7
	s_addc_u32 s4, s6, 0
	s_mul_i32 s2, s1, s2
	s_add_u32 s2, s3, s2
	s_addc_u32 s3, 0, s4
	s_add_u32 s4, s2, 1
	s_addc_u32 s5, s3, 0
	s_add_u32 s6, s2, 2
	s_mul_i32 s8, s3, 10
	s_mul_hi_u32 s9, s2, 10
	s_addc_u32 s7, s3, 0
	s_add_i32 s9, s9, s8
	s_mul_i32 s8, s2, 10
	v_mov_b32_e32 v2, s8
	v_sub_co_u32_e32 v2, vcc, s0, v2
	s_cmp_lg_u64 vcc, 0
	s_subb_u32 s8, s1, s9
	v_subrev_co_u32_e32 v3, vcc, 10, v2
	s_cmp_lg_u64 vcc, 0
	s_subb_u32 s9, s8, 0
	v_readfirstlane_b32 s12, v3
	s_cmp_gt_u32 s12, 9
	s_cselect_b32 s12, -1, 0
	s_cmp_eq_u32 s9, 0
	s_cselect_b32 s9, s12, -1
	s_cmp_lg_u32 s9, 0
	s_cselect_b32 s4, s6, s4
	v_readfirstlane_b32 s6, v2
	s_cselect_b32 s5, s7, s5
	s_cmp_gt_u32 s6, 9
	s_cselect_b32 s6, -1, 0
	s_cmp_eq_u32 s8, 0
	s_cselect_b32 s6, s6, -1
	s_cmp_lg_u32 s6, 0
	v_mov_b32_e32 v1, 0
	s_cselect_b32 s3, s5, s3
	s_cselect_b32 s2, s4, s2
	v_cmp_eq_u64_e32 vcc, s[2:3], v[0:1]
	s_and_saveexec_b64 s[2:3], vcc
	s_cbranch_execz .LBB3046_147
; %bb.114:
	s_movk_i32 s2, 0xffb8
	v_mad_i32_i24 v2, v0, s2, v43
	v_mul_hi_u32_u24_e32 v1, 10, v0
	v_mov_b32_e32 v3, s1
	v_sub_co_u32_e32 v0, vcc, s0, v42
	v_subb_co_u32_e32 v1, vcc, v3, v1, vcc
	v_cmp_lt_i64_e32 vcc, 4, v[0:1]
	s_and_saveexec_b64 s[0:1], vcc
	s_xor_b64 s[0:1], exec, s[0:1]
	s_cbranch_execz .LBB3046_132
; %bb.115:
	v_cmp_lt_i64_e32 vcc, 6, v[0:1]
	s_and_saveexec_b64 s[2:3], vcc
	s_xor_b64 s[2:3], exec, s[2:3]
	s_cbranch_execz .LBB3046_125
; %bb.116:
	;; [unrolled: 5-line block ×4, first 2 shown]
	ds_read_b64 v[0:1], v2 offset:9216
	v_mov_b32_e32 v2, 0
	s_waitcnt lgkmcnt(0)
	global_store_dwordx2 v2, v[0:1], s[10:11]
                                        ; implicit-def: $vgpr2
.LBB3046_119:
	s_andn2_saveexec_b64 s[6:7], s[6:7]
	s_cbranch_execz .LBB3046_121
; %bb.120:
	ds_read_b64 v[0:1], v2 offset:8192
	v_mov_b32_e32 v2, 0
	s_waitcnt lgkmcnt(0)
	global_store_dwordx2 v2, v[0:1], s[10:11]
.LBB3046_121:
	s_or_b64 exec, exec, s[6:7]
                                        ; implicit-def: $vgpr2
.LBB3046_122:
	s_andn2_saveexec_b64 s[4:5], s[4:5]
	s_cbranch_execz .LBB3046_124
; %bb.123:
	ds_read_b64 v[0:1], v2 offset:7168
	v_mov_b32_e32 v2, 0
	s_waitcnt lgkmcnt(0)
	global_store_dwordx2 v2, v[0:1], s[10:11]
.LBB3046_124:
	s_or_b64 exec, exec, s[4:5]
                                        ; implicit-def: $vgpr2
                                        ; implicit-def: $vgpr0_vgpr1
.LBB3046_125:
	s_andn2_saveexec_b64 s[2:3], s[2:3]
	s_cbranch_execz .LBB3046_131
; %bb.126:
	v_cmp_lt_i64_e32 vcc, 5, v[0:1]
	s_and_saveexec_b64 s[4:5], vcc
	s_xor_b64 s[4:5], exec, s[4:5]
	s_cbranch_execz .LBB3046_128
; %bb.127:
	ds_read_b64 v[0:1], v2 offset:6144
	v_mov_b32_e32 v2, 0
	s_waitcnt lgkmcnt(0)
	global_store_dwordx2 v2, v[0:1], s[10:11]
                                        ; implicit-def: $vgpr2
.LBB3046_128:
	s_andn2_saveexec_b64 s[4:5], s[4:5]
	s_cbranch_execz .LBB3046_130
; %bb.129:
	ds_read_b64 v[0:1], v2 offset:5120
	v_mov_b32_e32 v2, 0
	s_waitcnt lgkmcnt(0)
	global_store_dwordx2 v2, v[0:1], s[10:11]
.LBB3046_130:
	s_or_b64 exec, exec, s[4:5]
.LBB3046_131:
	s_or_b64 exec, exec, s[2:3]
                                        ; implicit-def: $vgpr0_vgpr1
                                        ; implicit-def: $vgpr2
.LBB3046_132:
	s_andn2_saveexec_b64 s[0:1], s[0:1]
	s_cbranch_execz .LBB3046_147
; %bb.133:
	v_cmp_lt_i64_e32 vcc, 2, v[0:1]
	s_and_saveexec_b64 s[0:1], vcc
	s_xor_b64 s[0:1], exec, s[0:1]
	s_cbranch_execz .LBB3046_139
; %bb.134:
	v_cmp_lt_i64_e32 vcc, 3, v[0:1]
	s_and_saveexec_b64 s[2:3], vcc
	s_xor_b64 s[2:3], exec, s[2:3]
	s_cbranch_execz .LBB3046_136
; %bb.135:
	ds_read_b64 v[0:1], v2 offset:4096
	v_mov_b32_e32 v2, 0
	s_waitcnt lgkmcnt(0)
	global_store_dwordx2 v2, v[0:1], s[10:11]
                                        ; implicit-def: $vgpr2
.LBB3046_136:
	s_andn2_saveexec_b64 s[2:3], s[2:3]
	s_cbranch_execz .LBB3046_138
; %bb.137:
	ds_read_b64 v[0:1], v2 offset:3072
	v_mov_b32_e32 v2, 0
	s_waitcnt lgkmcnt(0)
	global_store_dwordx2 v2, v[0:1], s[10:11]
.LBB3046_138:
	s_or_b64 exec, exec, s[2:3]
                                        ; implicit-def: $vgpr0_vgpr1
                                        ; implicit-def: $vgpr2
.LBB3046_139:
	s_andn2_saveexec_b64 s[0:1], s[0:1]
	s_cbranch_execz .LBB3046_147
; %bb.140:
	v_cmp_lt_i64_e32 vcc, 1, v[0:1]
	s_and_saveexec_b64 s[0:1], vcc
	s_xor_b64 s[0:1], exec, s[0:1]
	s_cbranch_execz .LBB3046_142
; %bb.141:
	ds_read_b64 v[0:1], v2 offset:2048
	v_mov_b32_e32 v2, 0
	s_waitcnt lgkmcnt(0)
	global_store_dwordx2 v2, v[0:1], s[10:11]
                                        ; implicit-def: $vgpr2
                                        ; implicit-def: $vgpr0_vgpr1
.LBB3046_142:
	s_andn2_saveexec_b64 s[0:1], s[0:1]
	s_cbranch_execz .LBB3046_147
; %bb.143:
	v_cmp_ne_u64_e32 vcc, 1, v[0:1]
	s_and_saveexec_b64 s[0:1], vcc
	s_xor_b64 s[0:1], exec, s[0:1]
	s_cbranch_execz .LBB3046_145
; %bb.144:
	ds_read_b64 v[0:1], v2
	v_mov_b32_e32 v2, 0
	s_waitcnt lgkmcnt(0)
	global_store_dwordx2 v2, v[0:1], s[10:11]
                                        ; implicit-def: $vgpr2
.LBB3046_145:
	s_andn2_saveexec_b64 s[0:1], s[0:1]
	s_cbranch_execz .LBB3046_147
; %bb.146:
	ds_read_b64 v[0:1], v2 offset:1024
	v_mov_b32_e32 v2, 0
	s_waitcnt lgkmcnt(0)
	global_store_dwordx2 v2, v[0:1], s[10:11]
.LBB3046_147:
	s_endpgm
	.section	.rodata,"a",@progbits
	.p2align	6, 0x0
	.amdhsa_kernel _ZN7rocprim17ROCPRIM_400000_NS6detail17trampoline_kernelINS0_14default_configENS1_20scan_config_selectorIdEEZZNS1_9scan_implILNS1_25lookback_scan_determinismE0ELb0ELb0ES3_N6thrust23THRUST_200600_302600_NS6detail15normal_iteratorINS9_10device_ptrIdEEEENS9_16discard_iteratorINS9_11use_defaultEEEd11max_functorIdEdEEDaPvRmT3_T4_T5_mT6_P12ihipStream_tbENKUlT_T0_E_clISt17integral_constantIbLb0EESW_IbLb1EEEEDaSS_ST_EUlSS_E_NS1_11comp_targetILNS1_3genE4ELNS1_11target_archE910ELNS1_3gpuE8ELNS1_3repE0EEENS1_30default_config_static_selectorELNS0_4arch9wavefront6targetE1EEEvT1_
		.amdhsa_group_segment_fixed_size 10240
		.amdhsa_private_segment_fixed_size 0
		.amdhsa_kernarg_size 112
		.amdhsa_user_sgpr_count 6
		.amdhsa_user_sgpr_private_segment_buffer 1
		.amdhsa_user_sgpr_dispatch_ptr 0
		.amdhsa_user_sgpr_queue_ptr 0
		.amdhsa_user_sgpr_kernarg_segment_ptr 1
		.amdhsa_user_sgpr_dispatch_id 0
		.amdhsa_user_sgpr_flat_scratch_init 0
		.amdhsa_user_sgpr_kernarg_preload_length 0
		.amdhsa_user_sgpr_kernarg_preload_offset 0
		.amdhsa_user_sgpr_private_segment_size 0
		.amdhsa_uses_dynamic_stack 0
		.amdhsa_system_sgpr_private_segment_wavefront_offset 0
		.amdhsa_system_sgpr_workgroup_id_x 1
		.amdhsa_system_sgpr_workgroup_id_y 0
		.amdhsa_system_sgpr_workgroup_id_z 0
		.amdhsa_system_sgpr_workgroup_info 0
		.amdhsa_system_vgpr_workitem_id 0
		.amdhsa_next_free_vgpr 58
		.amdhsa_next_free_sgpr 30
		.amdhsa_accum_offset 60
		.amdhsa_reserve_vcc 1
		.amdhsa_reserve_flat_scratch 0
		.amdhsa_float_round_mode_32 0
		.amdhsa_float_round_mode_16_64 0
		.amdhsa_float_denorm_mode_32 3
		.amdhsa_float_denorm_mode_16_64 3
		.amdhsa_dx10_clamp 1
		.amdhsa_ieee_mode 1
		.amdhsa_fp16_overflow 0
		.amdhsa_tg_split 0
		.amdhsa_exception_fp_ieee_invalid_op 0
		.amdhsa_exception_fp_denorm_src 0
		.amdhsa_exception_fp_ieee_div_zero 0
		.amdhsa_exception_fp_ieee_overflow 0
		.amdhsa_exception_fp_ieee_underflow 0
		.amdhsa_exception_fp_ieee_inexact 0
		.amdhsa_exception_int_div_zero 0
	.end_amdhsa_kernel
	.section	.text._ZN7rocprim17ROCPRIM_400000_NS6detail17trampoline_kernelINS0_14default_configENS1_20scan_config_selectorIdEEZZNS1_9scan_implILNS1_25lookback_scan_determinismE0ELb0ELb0ES3_N6thrust23THRUST_200600_302600_NS6detail15normal_iteratorINS9_10device_ptrIdEEEENS9_16discard_iteratorINS9_11use_defaultEEEd11max_functorIdEdEEDaPvRmT3_T4_T5_mT6_P12ihipStream_tbENKUlT_T0_E_clISt17integral_constantIbLb0EESW_IbLb1EEEEDaSS_ST_EUlSS_E_NS1_11comp_targetILNS1_3genE4ELNS1_11target_archE910ELNS1_3gpuE8ELNS1_3repE0EEENS1_30default_config_static_selectorELNS0_4arch9wavefront6targetE1EEEvT1_,"axG",@progbits,_ZN7rocprim17ROCPRIM_400000_NS6detail17trampoline_kernelINS0_14default_configENS1_20scan_config_selectorIdEEZZNS1_9scan_implILNS1_25lookback_scan_determinismE0ELb0ELb0ES3_N6thrust23THRUST_200600_302600_NS6detail15normal_iteratorINS9_10device_ptrIdEEEENS9_16discard_iteratorINS9_11use_defaultEEEd11max_functorIdEdEEDaPvRmT3_T4_T5_mT6_P12ihipStream_tbENKUlT_T0_E_clISt17integral_constantIbLb0EESW_IbLb1EEEEDaSS_ST_EUlSS_E_NS1_11comp_targetILNS1_3genE4ELNS1_11target_archE910ELNS1_3gpuE8ELNS1_3repE0EEENS1_30default_config_static_selectorELNS0_4arch9wavefront6targetE1EEEvT1_,comdat
.Lfunc_end3046:
	.size	_ZN7rocprim17ROCPRIM_400000_NS6detail17trampoline_kernelINS0_14default_configENS1_20scan_config_selectorIdEEZZNS1_9scan_implILNS1_25lookback_scan_determinismE0ELb0ELb0ES3_N6thrust23THRUST_200600_302600_NS6detail15normal_iteratorINS9_10device_ptrIdEEEENS9_16discard_iteratorINS9_11use_defaultEEEd11max_functorIdEdEEDaPvRmT3_T4_T5_mT6_P12ihipStream_tbENKUlT_T0_E_clISt17integral_constantIbLb0EESW_IbLb1EEEEDaSS_ST_EUlSS_E_NS1_11comp_targetILNS1_3genE4ELNS1_11target_archE910ELNS1_3gpuE8ELNS1_3repE0EEENS1_30default_config_static_selectorELNS0_4arch9wavefront6targetE1EEEvT1_, .Lfunc_end3046-_ZN7rocprim17ROCPRIM_400000_NS6detail17trampoline_kernelINS0_14default_configENS1_20scan_config_selectorIdEEZZNS1_9scan_implILNS1_25lookback_scan_determinismE0ELb0ELb0ES3_N6thrust23THRUST_200600_302600_NS6detail15normal_iteratorINS9_10device_ptrIdEEEENS9_16discard_iteratorINS9_11use_defaultEEEd11max_functorIdEdEEDaPvRmT3_T4_T5_mT6_P12ihipStream_tbENKUlT_T0_E_clISt17integral_constantIbLb0EESW_IbLb1EEEEDaSS_ST_EUlSS_E_NS1_11comp_targetILNS1_3genE4ELNS1_11target_archE910ELNS1_3gpuE8ELNS1_3repE0EEENS1_30default_config_static_selectorELNS0_4arch9wavefront6targetE1EEEvT1_
                                        ; -- End function
	.section	.AMDGPU.csdata,"",@progbits
; Kernel info:
; codeLenInByte = 5588
; NumSgprs: 34
; NumVgprs: 58
; NumAgprs: 0
; TotalNumVgprs: 58
; ScratchSize: 0
; MemoryBound: 0
; FloatMode: 240
; IeeeMode: 1
; LDSByteSize: 10240 bytes/workgroup (compile time only)
; SGPRBlocks: 4
; VGPRBlocks: 7
; NumSGPRsForWavesPerEU: 34
; NumVGPRsForWavesPerEU: 58
; AccumOffset: 60
; Occupancy: 3
; WaveLimiterHint : 1
; COMPUTE_PGM_RSRC2:SCRATCH_EN: 0
; COMPUTE_PGM_RSRC2:USER_SGPR: 6
; COMPUTE_PGM_RSRC2:TRAP_HANDLER: 0
; COMPUTE_PGM_RSRC2:TGID_X_EN: 1
; COMPUTE_PGM_RSRC2:TGID_Y_EN: 0
; COMPUTE_PGM_RSRC2:TGID_Z_EN: 0
; COMPUTE_PGM_RSRC2:TIDIG_COMP_CNT: 0
; COMPUTE_PGM_RSRC3_GFX90A:ACCUM_OFFSET: 14
; COMPUTE_PGM_RSRC3_GFX90A:TG_SPLIT: 0
	.section	.text._ZN7rocprim17ROCPRIM_400000_NS6detail17trampoline_kernelINS0_14default_configENS1_20scan_config_selectorIdEEZZNS1_9scan_implILNS1_25lookback_scan_determinismE0ELb0ELb0ES3_N6thrust23THRUST_200600_302600_NS6detail15normal_iteratorINS9_10device_ptrIdEEEENS9_16discard_iteratorINS9_11use_defaultEEEd11max_functorIdEdEEDaPvRmT3_T4_T5_mT6_P12ihipStream_tbENKUlT_T0_E_clISt17integral_constantIbLb0EESW_IbLb1EEEEDaSS_ST_EUlSS_E_NS1_11comp_targetILNS1_3genE3ELNS1_11target_archE908ELNS1_3gpuE7ELNS1_3repE0EEENS1_30default_config_static_selectorELNS0_4arch9wavefront6targetE1EEEvT1_,"axG",@progbits,_ZN7rocprim17ROCPRIM_400000_NS6detail17trampoline_kernelINS0_14default_configENS1_20scan_config_selectorIdEEZZNS1_9scan_implILNS1_25lookback_scan_determinismE0ELb0ELb0ES3_N6thrust23THRUST_200600_302600_NS6detail15normal_iteratorINS9_10device_ptrIdEEEENS9_16discard_iteratorINS9_11use_defaultEEEd11max_functorIdEdEEDaPvRmT3_T4_T5_mT6_P12ihipStream_tbENKUlT_T0_E_clISt17integral_constantIbLb0EESW_IbLb1EEEEDaSS_ST_EUlSS_E_NS1_11comp_targetILNS1_3genE3ELNS1_11target_archE908ELNS1_3gpuE7ELNS1_3repE0EEENS1_30default_config_static_selectorELNS0_4arch9wavefront6targetE1EEEvT1_,comdat
	.protected	_ZN7rocprim17ROCPRIM_400000_NS6detail17trampoline_kernelINS0_14default_configENS1_20scan_config_selectorIdEEZZNS1_9scan_implILNS1_25lookback_scan_determinismE0ELb0ELb0ES3_N6thrust23THRUST_200600_302600_NS6detail15normal_iteratorINS9_10device_ptrIdEEEENS9_16discard_iteratorINS9_11use_defaultEEEd11max_functorIdEdEEDaPvRmT3_T4_T5_mT6_P12ihipStream_tbENKUlT_T0_E_clISt17integral_constantIbLb0EESW_IbLb1EEEEDaSS_ST_EUlSS_E_NS1_11comp_targetILNS1_3genE3ELNS1_11target_archE908ELNS1_3gpuE7ELNS1_3repE0EEENS1_30default_config_static_selectorELNS0_4arch9wavefront6targetE1EEEvT1_ ; -- Begin function _ZN7rocprim17ROCPRIM_400000_NS6detail17trampoline_kernelINS0_14default_configENS1_20scan_config_selectorIdEEZZNS1_9scan_implILNS1_25lookback_scan_determinismE0ELb0ELb0ES3_N6thrust23THRUST_200600_302600_NS6detail15normal_iteratorINS9_10device_ptrIdEEEENS9_16discard_iteratorINS9_11use_defaultEEEd11max_functorIdEdEEDaPvRmT3_T4_T5_mT6_P12ihipStream_tbENKUlT_T0_E_clISt17integral_constantIbLb0EESW_IbLb1EEEEDaSS_ST_EUlSS_E_NS1_11comp_targetILNS1_3genE3ELNS1_11target_archE908ELNS1_3gpuE7ELNS1_3repE0EEENS1_30default_config_static_selectorELNS0_4arch9wavefront6targetE1EEEvT1_
	.globl	_ZN7rocprim17ROCPRIM_400000_NS6detail17trampoline_kernelINS0_14default_configENS1_20scan_config_selectorIdEEZZNS1_9scan_implILNS1_25lookback_scan_determinismE0ELb0ELb0ES3_N6thrust23THRUST_200600_302600_NS6detail15normal_iteratorINS9_10device_ptrIdEEEENS9_16discard_iteratorINS9_11use_defaultEEEd11max_functorIdEdEEDaPvRmT3_T4_T5_mT6_P12ihipStream_tbENKUlT_T0_E_clISt17integral_constantIbLb0EESW_IbLb1EEEEDaSS_ST_EUlSS_E_NS1_11comp_targetILNS1_3genE3ELNS1_11target_archE908ELNS1_3gpuE7ELNS1_3repE0EEENS1_30default_config_static_selectorELNS0_4arch9wavefront6targetE1EEEvT1_
	.p2align	8
	.type	_ZN7rocprim17ROCPRIM_400000_NS6detail17trampoline_kernelINS0_14default_configENS1_20scan_config_selectorIdEEZZNS1_9scan_implILNS1_25lookback_scan_determinismE0ELb0ELb0ES3_N6thrust23THRUST_200600_302600_NS6detail15normal_iteratorINS9_10device_ptrIdEEEENS9_16discard_iteratorINS9_11use_defaultEEEd11max_functorIdEdEEDaPvRmT3_T4_T5_mT6_P12ihipStream_tbENKUlT_T0_E_clISt17integral_constantIbLb0EESW_IbLb1EEEEDaSS_ST_EUlSS_E_NS1_11comp_targetILNS1_3genE3ELNS1_11target_archE908ELNS1_3gpuE7ELNS1_3repE0EEENS1_30default_config_static_selectorELNS0_4arch9wavefront6targetE1EEEvT1_,@function
_ZN7rocprim17ROCPRIM_400000_NS6detail17trampoline_kernelINS0_14default_configENS1_20scan_config_selectorIdEEZZNS1_9scan_implILNS1_25lookback_scan_determinismE0ELb0ELb0ES3_N6thrust23THRUST_200600_302600_NS6detail15normal_iteratorINS9_10device_ptrIdEEEENS9_16discard_iteratorINS9_11use_defaultEEEd11max_functorIdEdEEDaPvRmT3_T4_T5_mT6_P12ihipStream_tbENKUlT_T0_E_clISt17integral_constantIbLb0EESW_IbLb1EEEEDaSS_ST_EUlSS_E_NS1_11comp_targetILNS1_3genE3ELNS1_11target_archE908ELNS1_3gpuE7ELNS1_3repE0EEENS1_30default_config_static_selectorELNS0_4arch9wavefront6targetE1EEEvT1_: ; @_ZN7rocprim17ROCPRIM_400000_NS6detail17trampoline_kernelINS0_14default_configENS1_20scan_config_selectorIdEEZZNS1_9scan_implILNS1_25lookback_scan_determinismE0ELb0ELb0ES3_N6thrust23THRUST_200600_302600_NS6detail15normal_iteratorINS9_10device_ptrIdEEEENS9_16discard_iteratorINS9_11use_defaultEEEd11max_functorIdEdEEDaPvRmT3_T4_T5_mT6_P12ihipStream_tbENKUlT_T0_E_clISt17integral_constantIbLb0EESW_IbLb1EEEEDaSS_ST_EUlSS_E_NS1_11comp_targetILNS1_3genE3ELNS1_11target_archE908ELNS1_3gpuE7ELNS1_3repE0EEENS1_30default_config_static_selectorELNS0_4arch9wavefront6targetE1EEEvT1_
; %bb.0:
	.section	.rodata,"a",@progbits
	.p2align	6, 0x0
	.amdhsa_kernel _ZN7rocprim17ROCPRIM_400000_NS6detail17trampoline_kernelINS0_14default_configENS1_20scan_config_selectorIdEEZZNS1_9scan_implILNS1_25lookback_scan_determinismE0ELb0ELb0ES3_N6thrust23THRUST_200600_302600_NS6detail15normal_iteratorINS9_10device_ptrIdEEEENS9_16discard_iteratorINS9_11use_defaultEEEd11max_functorIdEdEEDaPvRmT3_T4_T5_mT6_P12ihipStream_tbENKUlT_T0_E_clISt17integral_constantIbLb0EESW_IbLb1EEEEDaSS_ST_EUlSS_E_NS1_11comp_targetILNS1_3genE3ELNS1_11target_archE908ELNS1_3gpuE7ELNS1_3repE0EEENS1_30default_config_static_selectorELNS0_4arch9wavefront6targetE1EEEvT1_
		.amdhsa_group_segment_fixed_size 0
		.amdhsa_private_segment_fixed_size 0
		.amdhsa_kernarg_size 112
		.amdhsa_user_sgpr_count 6
		.amdhsa_user_sgpr_private_segment_buffer 1
		.amdhsa_user_sgpr_dispatch_ptr 0
		.amdhsa_user_sgpr_queue_ptr 0
		.amdhsa_user_sgpr_kernarg_segment_ptr 1
		.amdhsa_user_sgpr_dispatch_id 0
		.amdhsa_user_sgpr_flat_scratch_init 0
		.amdhsa_user_sgpr_kernarg_preload_length 0
		.amdhsa_user_sgpr_kernarg_preload_offset 0
		.amdhsa_user_sgpr_private_segment_size 0
		.amdhsa_uses_dynamic_stack 0
		.amdhsa_system_sgpr_private_segment_wavefront_offset 0
		.amdhsa_system_sgpr_workgroup_id_x 1
		.amdhsa_system_sgpr_workgroup_id_y 0
		.amdhsa_system_sgpr_workgroup_id_z 0
		.amdhsa_system_sgpr_workgroup_info 0
		.amdhsa_system_vgpr_workitem_id 0
		.amdhsa_next_free_vgpr 1
		.amdhsa_next_free_sgpr 0
		.amdhsa_accum_offset 4
		.amdhsa_reserve_vcc 0
		.amdhsa_reserve_flat_scratch 0
		.amdhsa_float_round_mode_32 0
		.amdhsa_float_round_mode_16_64 0
		.amdhsa_float_denorm_mode_32 3
		.amdhsa_float_denorm_mode_16_64 3
		.amdhsa_dx10_clamp 1
		.amdhsa_ieee_mode 1
		.amdhsa_fp16_overflow 0
		.amdhsa_tg_split 0
		.amdhsa_exception_fp_ieee_invalid_op 0
		.amdhsa_exception_fp_denorm_src 0
		.amdhsa_exception_fp_ieee_div_zero 0
		.amdhsa_exception_fp_ieee_overflow 0
		.amdhsa_exception_fp_ieee_underflow 0
		.amdhsa_exception_fp_ieee_inexact 0
		.amdhsa_exception_int_div_zero 0
	.end_amdhsa_kernel
	.section	.text._ZN7rocprim17ROCPRIM_400000_NS6detail17trampoline_kernelINS0_14default_configENS1_20scan_config_selectorIdEEZZNS1_9scan_implILNS1_25lookback_scan_determinismE0ELb0ELb0ES3_N6thrust23THRUST_200600_302600_NS6detail15normal_iteratorINS9_10device_ptrIdEEEENS9_16discard_iteratorINS9_11use_defaultEEEd11max_functorIdEdEEDaPvRmT3_T4_T5_mT6_P12ihipStream_tbENKUlT_T0_E_clISt17integral_constantIbLb0EESW_IbLb1EEEEDaSS_ST_EUlSS_E_NS1_11comp_targetILNS1_3genE3ELNS1_11target_archE908ELNS1_3gpuE7ELNS1_3repE0EEENS1_30default_config_static_selectorELNS0_4arch9wavefront6targetE1EEEvT1_,"axG",@progbits,_ZN7rocprim17ROCPRIM_400000_NS6detail17trampoline_kernelINS0_14default_configENS1_20scan_config_selectorIdEEZZNS1_9scan_implILNS1_25lookback_scan_determinismE0ELb0ELb0ES3_N6thrust23THRUST_200600_302600_NS6detail15normal_iteratorINS9_10device_ptrIdEEEENS9_16discard_iteratorINS9_11use_defaultEEEd11max_functorIdEdEEDaPvRmT3_T4_T5_mT6_P12ihipStream_tbENKUlT_T0_E_clISt17integral_constantIbLb0EESW_IbLb1EEEEDaSS_ST_EUlSS_E_NS1_11comp_targetILNS1_3genE3ELNS1_11target_archE908ELNS1_3gpuE7ELNS1_3repE0EEENS1_30default_config_static_selectorELNS0_4arch9wavefront6targetE1EEEvT1_,comdat
.Lfunc_end3047:
	.size	_ZN7rocprim17ROCPRIM_400000_NS6detail17trampoline_kernelINS0_14default_configENS1_20scan_config_selectorIdEEZZNS1_9scan_implILNS1_25lookback_scan_determinismE0ELb0ELb0ES3_N6thrust23THRUST_200600_302600_NS6detail15normal_iteratorINS9_10device_ptrIdEEEENS9_16discard_iteratorINS9_11use_defaultEEEd11max_functorIdEdEEDaPvRmT3_T4_T5_mT6_P12ihipStream_tbENKUlT_T0_E_clISt17integral_constantIbLb0EESW_IbLb1EEEEDaSS_ST_EUlSS_E_NS1_11comp_targetILNS1_3genE3ELNS1_11target_archE908ELNS1_3gpuE7ELNS1_3repE0EEENS1_30default_config_static_selectorELNS0_4arch9wavefront6targetE1EEEvT1_, .Lfunc_end3047-_ZN7rocprim17ROCPRIM_400000_NS6detail17trampoline_kernelINS0_14default_configENS1_20scan_config_selectorIdEEZZNS1_9scan_implILNS1_25lookback_scan_determinismE0ELb0ELb0ES3_N6thrust23THRUST_200600_302600_NS6detail15normal_iteratorINS9_10device_ptrIdEEEENS9_16discard_iteratorINS9_11use_defaultEEEd11max_functorIdEdEEDaPvRmT3_T4_T5_mT6_P12ihipStream_tbENKUlT_T0_E_clISt17integral_constantIbLb0EESW_IbLb1EEEEDaSS_ST_EUlSS_E_NS1_11comp_targetILNS1_3genE3ELNS1_11target_archE908ELNS1_3gpuE7ELNS1_3repE0EEENS1_30default_config_static_selectorELNS0_4arch9wavefront6targetE1EEEvT1_
                                        ; -- End function
	.section	.AMDGPU.csdata,"",@progbits
; Kernel info:
; codeLenInByte = 0
; NumSgprs: 4
; NumVgprs: 0
; NumAgprs: 0
; TotalNumVgprs: 0
; ScratchSize: 0
; MemoryBound: 0
; FloatMode: 240
; IeeeMode: 1
; LDSByteSize: 0 bytes/workgroup (compile time only)
; SGPRBlocks: 0
; VGPRBlocks: 0
; NumSGPRsForWavesPerEU: 4
; NumVGPRsForWavesPerEU: 1
; AccumOffset: 4
; Occupancy: 8
; WaveLimiterHint : 0
; COMPUTE_PGM_RSRC2:SCRATCH_EN: 0
; COMPUTE_PGM_RSRC2:USER_SGPR: 6
; COMPUTE_PGM_RSRC2:TRAP_HANDLER: 0
; COMPUTE_PGM_RSRC2:TGID_X_EN: 1
; COMPUTE_PGM_RSRC2:TGID_Y_EN: 0
; COMPUTE_PGM_RSRC2:TGID_Z_EN: 0
; COMPUTE_PGM_RSRC2:TIDIG_COMP_CNT: 0
; COMPUTE_PGM_RSRC3_GFX90A:ACCUM_OFFSET: 0
; COMPUTE_PGM_RSRC3_GFX90A:TG_SPLIT: 0
	.section	.text._ZN7rocprim17ROCPRIM_400000_NS6detail17trampoline_kernelINS0_14default_configENS1_20scan_config_selectorIdEEZZNS1_9scan_implILNS1_25lookback_scan_determinismE0ELb0ELb0ES3_N6thrust23THRUST_200600_302600_NS6detail15normal_iteratorINS9_10device_ptrIdEEEENS9_16discard_iteratorINS9_11use_defaultEEEd11max_functorIdEdEEDaPvRmT3_T4_T5_mT6_P12ihipStream_tbENKUlT_T0_E_clISt17integral_constantIbLb0EESW_IbLb1EEEEDaSS_ST_EUlSS_E_NS1_11comp_targetILNS1_3genE2ELNS1_11target_archE906ELNS1_3gpuE6ELNS1_3repE0EEENS1_30default_config_static_selectorELNS0_4arch9wavefront6targetE1EEEvT1_,"axG",@progbits,_ZN7rocprim17ROCPRIM_400000_NS6detail17trampoline_kernelINS0_14default_configENS1_20scan_config_selectorIdEEZZNS1_9scan_implILNS1_25lookback_scan_determinismE0ELb0ELb0ES3_N6thrust23THRUST_200600_302600_NS6detail15normal_iteratorINS9_10device_ptrIdEEEENS9_16discard_iteratorINS9_11use_defaultEEEd11max_functorIdEdEEDaPvRmT3_T4_T5_mT6_P12ihipStream_tbENKUlT_T0_E_clISt17integral_constantIbLb0EESW_IbLb1EEEEDaSS_ST_EUlSS_E_NS1_11comp_targetILNS1_3genE2ELNS1_11target_archE906ELNS1_3gpuE6ELNS1_3repE0EEENS1_30default_config_static_selectorELNS0_4arch9wavefront6targetE1EEEvT1_,comdat
	.protected	_ZN7rocprim17ROCPRIM_400000_NS6detail17trampoline_kernelINS0_14default_configENS1_20scan_config_selectorIdEEZZNS1_9scan_implILNS1_25lookback_scan_determinismE0ELb0ELb0ES3_N6thrust23THRUST_200600_302600_NS6detail15normal_iteratorINS9_10device_ptrIdEEEENS9_16discard_iteratorINS9_11use_defaultEEEd11max_functorIdEdEEDaPvRmT3_T4_T5_mT6_P12ihipStream_tbENKUlT_T0_E_clISt17integral_constantIbLb0EESW_IbLb1EEEEDaSS_ST_EUlSS_E_NS1_11comp_targetILNS1_3genE2ELNS1_11target_archE906ELNS1_3gpuE6ELNS1_3repE0EEENS1_30default_config_static_selectorELNS0_4arch9wavefront6targetE1EEEvT1_ ; -- Begin function _ZN7rocprim17ROCPRIM_400000_NS6detail17trampoline_kernelINS0_14default_configENS1_20scan_config_selectorIdEEZZNS1_9scan_implILNS1_25lookback_scan_determinismE0ELb0ELb0ES3_N6thrust23THRUST_200600_302600_NS6detail15normal_iteratorINS9_10device_ptrIdEEEENS9_16discard_iteratorINS9_11use_defaultEEEd11max_functorIdEdEEDaPvRmT3_T4_T5_mT6_P12ihipStream_tbENKUlT_T0_E_clISt17integral_constantIbLb0EESW_IbLb1EEEEDaSS_ST_EUlSS_E_NS1_11comp_targetILNS1_3genE2ELNS1_11target_archE906ELNS1_3gpuE6ELNS1_3repE0EEENS1_30default_config_static_selectorELNS0_4arch9wavefront6targetE1EEEvT1_
	.globl	_ZN7rocprim17ROCPRIM_400000_NS6detail17trampoline_kernelINS0_14default_configENS1_20scan_config_selectorIdEEZZNS1_9scan_implILNS1_25lookback_scan_determinismE0ELb0ELb0ES3_N6thrust23THRUST_200600_302600_NS6detail15normal_iteratorINS9_10device_ptrIdEEEENS9_16discard_iteratorINS9_11use_defaultEEEd11max_functorIdEdEEDaPvRmT3_T4_T5_mT6_P12ihipStream_tbENKUlT_T0_E_clISt17integral_constantIbLb0EESW_IbLb1EEEEDaSS_ST_EUlSS_E_NS1_11comp_targetILNS1_3genE2ELNS1_11target_archE906ELNS1_3gpuE6ELNS1_3repE0EEENS1_30default_config_static_selectorELNS0_4arch9wavefront6targetE1EEEvT1_
	.p2align	8
	.type	_ZN7rocprim17ROCPRIM_400000_NS6detail17trampoline_kernelINS0_14default_configENS1_20scan_config_selectorIdEEZZNS1_9scan_implILNS1_25lookback_scan_determinismE0ELb0ELb0ES3_N6thrust23THRUST_200600_302600_NS6detail15normal_iteratorINS9_10device_ptrIdEEEENS9_16discard_iteratorINS9_11use_defaultEEEd11max_functorIdEdEEDaPvRmT3_T4_T5_mT6_P12ihipStream_tbENKUlT_T0_E_clISt17integral_constantIbLb0EESW_IbLb1EEEEDaSS_ST_EUlSS_E_NS1_11comp_targetILNS1_3genE2ELNS1_11target_archE906ELNS1_3gpuE6ELNS1_3repE0EEENS1_30default_config_static_selectorELNS0_4arch9wavefront6targetE1EEEvT1_,@function
_ZN7rocprim17ROCPRIM_400000_NS6detail17trampoline_kernelINS0_14default_configENS1_20scan_config_selectorIdEEZZNS1_9scan_implILNS1_25lookback_scan_determinismE0ELb0ELb0ES3_N6thrust23THRUST_200600_302600_NS6detail15normal_iteratorINS9_10device_ptrIdEEEENS9_16discard_iteratorINS9_11use_defaultEEEd11max_functorIdEdEEDaPvRmT3_T4_T5_mT6_P12ihipStream_tbENKUlT_T0_E_clISt17integral_constantIbLb0EESW_IbLb1EEEEDaSS_ST_EUlSS_E_NS1_11comp_targetILNS1_3genE2ELNS1_11target_archE906ELNS1_3gpuE6ELNS1_3repE0EEENS1_30default_config_static_selectorELNS0_4arch9wavefront6targetE1EEEvT1_: ; @_ZN7rocprim17ROCPRIM_400000_NS6detail17trampoline_kernelINS0_14default_configENS1_20scan_config_selectorIdEEZZNS1_9scan_implILNS1_25lookback_scan_determinismE0ELb0ELb0ES3_N6thrust23THRUST_200600_302600_NS6detail15normal_iteratorINS9_10device_ptrIdEEEENS9_16discard_iteratorINS9_11use_defaultEEEd11max_functorIdEdEEDaPvRmT3_T4_T5_mT6_P12ihipStream_tbENKUlT_T0_E_clISt17integral_constantIbLb0EESW_IbLb1EEEEDaSS_ST_EUlSS_E_NS1_11comp_targetILNS1_3genE2ELNS1_11target_archE906ELNS1_3gpuE6ELNS1_3repE0EEENS1_30default_config_static_selectorELNS0_4arch9wavefront6targetE1EEEvT1_
; %bb.0:
	.section	.rodata,"a",@progbits
	.p2align	6, 0x0
	.amdhsa_kernel _ZN7rocprim17ROCPRIM_400000_NS6detail17trampoline_kernelINS0_14default_configENS1_20scan_config_selectorIdEEZZNS1_9scan_implILNS1_25lookback_scan_determinismE0ELb0ELb0ES3_N6thrust23THRUST_200600_302600_NS6detail15normal_iteratorINS9_10device_ptrIdEEEENS9_16discard_iteratorINS9_11use_defaultEEEd11max_functorIdEdEEDaPvRmT3_T4_T5_mT6_P12ihipStream_tbENKUlT_T0_E_clISt17integral_constantIbLb0EESW_IbLb1EEEEDaSS_ST_EUlSS_E_NS1_11comp_targetILNS1_3genE2ELNS1_11target_archE906ELNS1_3gpuE6ELNS1_3repE0EEENS1_30default_config_static_selectorELNS0_4arch9wavefront6targetE1EEEvT1_
		.amdhsa_group_segment_fixed_size 0
		.amdhsa_private_segment_fixed_size 0
		.amdhsa_kernarg_size 112
		.amdhsa_user_sgpr_count 6
		.amdhsa_user_sgpr_private_segment_buffer 1
		.amdhsa_user_sgpr_dispatch_ptr 0
		.amdhsa_user_sgpr_queue_ptr 0
		.amdhsa_user_sgpr_kernarg_segment_ptr 1
		.amdhsa_user_sgpr_dispatch_id 0
		.amdhsa_user_sgpr_flat_scratch_init 0
		.amdhsa_user_sgpr_kernarg_preload_length 0
		.amdhsa_user_sgpr_kernarg_preload_offset 0
		.amdhsa_user_sgpr_private_segment_size 0
		.amdhsa_uses_dynamic_stack 0
		.amdhsa_system_sgpr_private_segment_wavefront_offset 0
		.amdhsa_system_sgpr_workgroup_id_x 1
		.amdhsa_system_sgpr_workgroup_id_y 0
		.amdhsa_system_sgpr_workgroup_id_z 0
		.amdhsa_system_sgpr_workgroup_info 0
		.amdhsa_system_vgpr_workitem_id 0
		.amdhsa_next_free_vgpr 1
		.amdhsa_next_free_sgpr 0
		.amdhsa_accum_offset 4
		.amdhsa_reserve_vcc 0
		.amdhsa_reserve_flat_scratch 0
		.amdhsa_float_round_mode_32 0
		.amdhsa_float_round_mode_16_64 0
		.amdhsa_float_denorm_mode_32 3
		.amdhsa_float_denorm_mode_16_64 3
		.amdhsa_dx10_clamp 1
		.amdhsa_ieee_mode 1
		.amdhsa_fp16_overflow 0
		.amdhsa_tg_split 0
		.amdhsa_exception_fp_ieee_invalid_op 0
		.amdhsa_exception_fp_denorm_src 0
		.amdhsa_exception_fp_ieee_div_zero 0
		.amdhsa_exception_fp_ieee_overflow 0
		.amdhsa_exception_fp_ieee_underflow 0
		.amdhsa_exception_fp_ieee_inexact 0
		.amdhsa_exception_int_div_zero 0
	.end_amdhsa_kernel
	.section	.text._ZN7rocprim17ROCPRIM_400000_NS6detail17trampoline_kernelINS0_14default_configENS1_20scan_config_selectorIdEEZZNS1_9scan_implILNS1_25lookback_scan_determinismE0ELb0ELb0ES3_N6thrust23THRUST_200600_302600_NS6detail15normal_iteratorINS9_10device_ptrIdEEEENS9_16discard_iteratorINS9_11use_defaultEEEd11max_functorIdEdEEDaPvRmT3_T4_T5_mT6_P12ihipStream_tbENKUlT_T0_E_clISt17integral_constantIbLb0EESW_IbLb1EEEEDaSS_ST_EUlSS_E_NS1_11comp_targetILNS1_3genE2ELNS1_11target_archE906ELNS1_3gpuE6ELNS1_3repE0EEENS1_30default_config_static_selectorELNS0_4arch9wavefront6targetE1EEEvT1_,"axG",@progbits,_ZN7rocprim17ROCPRIM_400000_NS6detail17trampoline_kernelINS0_14default_configENS1_20scan_config_selectorIdEEZZNS1_9scan_implILNS1_25lookback_scan_determinismE0ELb0ELb0ES3_N6thrust23THRUST_200600_302600_NS6detail15normal_iteratorINS9_10device_ptrIdEEEENS9_16discard_iteratorINS9_11use_defaultEEEd11max_functorIdEdEEDaPvRmT3_T4_T5_mT6_P12ihipStream_tbENKUlT_T0_E_clISt17integral_constantIbLb0EESW_IbLb1EEEEDaSS_ST_EUlSS_E_NS1_11comp_targetILNS1_3genE2ELNS1_11target_archE906ELNS1_3gpuE6ELNS1_3repE0EEENS1_30default_config_static_selectorELNS0_4arch9wavefront6targetE1EEEvT1_,comdat
.Lfunc_end3048:
	.size	_ZN7rocprim17ROCPRIM_400000_NS6detail17trampoline_kernelINS0_14default_configENS1_20scan_config_selectorIdEEZZNS1_9scan_implILNS1_25lookback_scan_determinismE0ELb0ELb0ES3_N6thrust23THRUST_200600_302600_NS6detail15normal_iteratorINS9_10device_ptrIdEEEENS9_16discard_iteratorINS9_11use_defaultEEEd11max_functorIdEdEEDaPvRmT3_T4_T5_mT6_P12ihipStream_tbENKUlT_T0_E_clISt17integral_constantIbLb0EESW_IbLb1EEEEDaSS_ST_EUlSS_E_NS1_11comp_targetILNS1_3genE2ELNS1_11target_archE906ELNS1_3gpuE6ELNS1_3repE0EEENS1_30default_config_static_selectorELNS0_4arch9wavefront6targetE1EEEvT1_, .Lfunc_end3048-_ZN7rocprim17ROCPRIM_400000_NS6detail17trampoline_kernelINS0_14default_configENS1_20scan_config_selectorIdEEZZNS1_9scan_implILNS1_25lookback_scan_determinismE0ELb0ELb0ES3_N6thrust23THRUST_200600_302600_NS6detail15normal_iteratorINS9_10device_ptrIdEEEENS9_16discard_iteratorINS9_11use_defaultEEEd11max_functorIdEdEEDaPvRmT3_T4_T5_mT6_P12ihipStream_tbENKUlT_T0_E_clISt17integral_constantIbLb0EESW_IbLb1EEEEDaSS_ST_EUlSS_E_NS1_11comp_targetILNS1_3genE2ELNS1_11target_archE906ELNS1_3gpuE6ELNS1_3repE0EEENS1_30default_config_static_selectorELNS0_4arch9wavefront6targetE1EEEvT1_
                                        ; -- End function
	.section	.AMDGPU.csdata,"",@progbits
; Kernel info:
; codeLenInByte = 0
; NumSgprs: 4
; NumVgprs: 0
; NumAgprs: 0
; TotalNumVgprs: 0
; ScratchSize: 0
; MemoryBound: 0
; FloatMode: 240
; IeeeMode: 1
; LDSByteSize: 0 bytes/workgroup (compile time only)
; SGPRBlocks: 0
; VGPRBlocks: 0
; NumSGPRsForWavesPerEU: 4
; NumVGPRsForWavesPerEU: 1
; AccumOffset: 4
; Occupancy: 8
; WaveLimiterHint : 0
; COMPUTE_PGM_RSRC2:SCRATCH_EN: 0
; COMPUTE_PGM_RSRC2:USER_SGPR: 6
; COMPUTE_PGM_RSRC2:TRAP_HANDLER: 0
; COMPUTE_PGM_RSRC2:TGID_X_EN: 1
; COMPUTE_PGM_RSRC2:TGID_Y_EN: 0
; COMPUTE_PGM_RSRC2:TGID_Z_EN: 0
; COMPUTE_PGM_RSRC2:TIDIG_COMP_CNT: 0
; COMPUTE_PGM_RSRC3_GFX90A:ACCUM_OFFSET: 0
; COMPUTE_PGM_RSRC3_GFX90A:TG_SPLIT: 0
	.section	.text._ZN7rocprim17ROCPRIM_400000_NS6detail17trampoline_kernelINS0_14default_configENS1_20scan_config_selectorIdEEZZNS1_9scan_implILNS1_25lookback_scan_determinismE0ELb0ELb0ES3_N6thrust23THRUST_200600_302600_NS6detail15normal_iteratorINS9_10device_ptrIdEEEENS9_16discard_iteratorINS9_11use_defaultEEEd11max_functorIdEdEEDaPvRmT3_T4_T5_mT6_P12ihipStream_tbENKUlT_T0_E_clISt17integral_constantIbLb0EESW_IbLb1EEEEDaSS_ST_EUlSS_E_NS1_11comp_targetILNS1_3genE10ELNS1_11target_archE1201ELNS1_3gpuE5ELNS1_3repE0EEENS1_30default_config_static_selectorELNS0_4arch9wavefront6targetE1EEEvT1_,"axG",@progbits,_ZN7rocprim17ROCPRIM_400000_NS6detail17trampoline_kernelINS0_14default_configENS1_20scan_config_selectorIdEEZZNS1_9scan_implILNS1_25lookback_scan_determinismE0ELb0ELb0ES3_N6thrust23THRUST_200600_302600_NS6detail15normal_iteratorINS9_10device_ptrIdEEEENS9_16discard_iteratorINS9_11use_defaultEEEd11max_functorIdEdEEDaPvRmT3_T4_T5_mT6_P12ihipStream_tbENKUlT_T0_E_clISt17integral_constantIbLb0EESW_IbLb1EEEEDaSS_ST_EUlSS_E_NS1_11comp_targetILNS1_3genE10ELNS1_11target_archE1201ELNS1_3gpuE5ELNS1_3repE0EEENS1_30default_config_static_selectorELNS0_4arch9wavefront6targetE1EEEvT1_,comdat
	.protected	_ZN7rocprim17ROCPRIM_400000_NS6detail17trampoline_kernelINS0_14default_configENS1_20scan_config_selectorIdEEZZNS1_9scan_implILNS1_25lookback_scan_determinismE0ELb0ELb0ES3_N6thrust23THRUST_200600_302600_NS6detail15normal_iteratorINS9_10device_ptrIdEEEENS9_16discard_iteratorINS9_11use_defaultEEEd11max_functorIdEdEEDaPvRmT3_T4_T5_mT6_P12ihipStream_tbENKUlT_T0_E_clISt17integral_constantIbLb0EESW_IbLb1EEEEDaSS_ST_EUlSS_E_NS1_11comp_targetILNS1_3genE10ELNS1_11target_archE1201ELNS1_3gpuE5ELNS1_3repE0EEENS1_30default_config_static_selectorELNS0_4arch9wavefront6targetE1EEEvT1_ ; -- Begin function _ZN7rocprim17ROCPRIM_400000_NS6detail17trampoline_kernelINS0_14default_configENS1_20scan_config_selectorIdEEZZNS1_9scan_implILNS1_25lookback_scan_determinismE0ELb0ELb0ES3_N6thrust23THRUST_200600_302600_NS6detail15normal_iteratorINS9_10device_ptrIdEEEENS9_16discard_iteratorINS9_11use_defaultEEEd11max_functorIdEdEEDaPvRmT3_T4_T5_mT6_P12ihipStream_tbENKUlT_T0_E_clISt17integral_constantIbLb0EESW_IbLb1EEEEDaSS_ST_EUlSS_E_NS1_11comp_targetILNS1_3genE10ELNS1_11target_archE1201ELNS1_3gpuE5ELNS1_3repE0EEENS1_30default_config_static_selectorELNS0_4arch9wavefront6targetE1EEEvT1_
	.globl	_ZN7rocprim17ROCPRIM_400000_NS6detail17trampoline_kernelINS0_14default_configENS1_20scan_config_selectorIdEEZZNS1_9scan_implILNS1_25lookback_scan_determinismE0ELb0ELb0ES3_N6thrust23THRUST_200600_302600_NS6detail15normal_iteratorINS9_10device_ptrIdEEEENS9_16discard_iteratorINS9_11use_defaultEEEd11max_functorIdEdEEDaPvRmT3_T4_T5_mT6_P12ihipStream_tbENKUlT_T0_E_clISt17integral_constantIbLb0EESW_IbLb1EEEEDaSS_ST_EUlSS_E_NS1_11comp_targetILNS1_3genE10ELNS1_11target_archE1201ELNS1_3gpuE5ELNS1_3repE0EEENS1_30default_config_static_selectorELNS0_4arch9wavefront6targetE1EEEvT1_
	.p2align	8
	.type	_ZN7rocprim17ROCPRIM_400000_NS6detail17trampoline_kernelINS0_14default_configENS1_20scan_config_selectorIdEEZZNS1_9scan_implILNS1_25lookback_scan_determinismE0ELb0ELb0ES3_N6thrust23THRUST_200600_302600_NS6detail15normal_iteratorINS9_10device_ptrIdEEEENS9_16discard_iteratorINS9_11use_defaultEEEd11max_functorIdEdEEDaPvRmT3_T4_T5_mT6_P12ihipStream_tbENKUlT_T0_E_clISt17integral_constantIbLb0EESW_IbLb1EEEEDaSS_ST_EUlSS_E_NS1_11comp_targetILNS1_3genE10ELNS1_11target_archE1201ELNS1_3gpuE5ELNS1_3repE0EEENS1_30default_config_static_selectorELNS0_4arch9wavefront6targetE1EEEvT1_,@function
_ZN7rocprim17ROCPRIM_400000_NS6detail17trampoline_kernelINS0_14default_configENS1_20scan_config_selectorIdEEZZNS1_9scan_implILNS1_25lookback_scan_determinismE0ELb0ELb0ES3_N6thrust23THRUST_200600_302600_NS6detail15normal_iteratorINS9_10device_ptrIdEEEENS9_16discard_iteratorINS9_11use_defaultEEEd11max_functorIdEdEEDaPvRmT3_T4_T5_mT6_P12ihipStream_tbENKUlT_T0_E_clISt17integral_constantIbLb0EESW_IbLb1EEEEDaSS_ST_EUlSS_E_NS1_11comp_targetILNS1_3genE10ELNS1_11target_archE1201ELNS1_3gpuE5ELNS1_3repE0EEENS1_30default_config_static_selectorELNS0_4arch9wavefront6targetE1EEEvT1_: ; @_ZN7rocprim17ROCPRIM_400000_NS6detail17trampoline_kernelINS0_14default_configENS1_20scan_config_selectorIdEEZZNS1_9scan_implILNS1_25lookback_scan_determinismE0ELb0ELb0ES3_N6thrust23THRUST_200600_302600_NS6detail15normal_iteratorINS9_10device_ptrIdEEEENS9_16discard_iteratorINS9_11use_defaultEEEd11max_functorIdEdEEDaPvRmT3_T4_T5_mT6_P12ihipStream_tbENKUlT_T0_E_clISt17integral_constantIbLb0EESW_IbLb1EEEEDaSS_ST_EUlSS_E_NS1_11comp_targetILNS1_3genE10ELNS1_11target_archE1201ELNS1_3gpuE5ELNS1_3repE0EEENS1_30default_config_static_selectorELNS0_4arch9wavefront6targetE1EEEvT1_
; %bb.0:
	.section	.rodata,"a",@progbits
	.p2align	6, 0x0
	.amdhsa_kernel _ZN7rocprim17ROCPRIM_400000_NS6detail17trampoline_kernelINS0_14default_configENS1_20scan_config_selectorIdEEZZNS1_9scan_implILNS1_25lookback_scan_determinismE0ELb0ELb0ES3_N6thrust23THRUST_200600_302600_NS6detail15normal_iteratorINS9_10device_ptrIdEEEENS9_16discard_iteratorINS9_11use_defaultEEEd11max_functorIdEdEEDaPvRmT3_T4_T5_mT6_P12ihipStream_tbENKUlT_T0_E_clISt17integral_constantIbLb0EESW_IbLb1EEEEDaSS_ST_EUlSS_E_NS1_11comp_targetILNS1_3genE10ELNS1_11target_archE1201ELNS1_3gpuE5ELNS1_3repE0EEENS1_30default_config_static_selectorELNS0_4arch9wavefront6targetE1EEEvT1_
		.amdhsa_group_segment_fixed_size 0
		.amdhsa_private_segment_fixed_size 0
		.amdhsa_kernarg_size 112
		.amdhsa_user_sgpr_count 6
		.amdhsa_user_sgpr_private_segment_buffer 1
		.amdhsa_user_sgpr_dispatch_ptr 0
		.amdhsa_user_sgpr_queue_ptr 0
		.amdhsa_user_sgpr_kernarg_segment_ptr 1
		.amdhsa_user_sgpr_dispatch_id 0
		.amdhsa_user_sgpr_flat_scratch_init 0
		.amdhsa_user_sgpr_kernarg_preload_length 0
		.amdhsa_user_sgpr_kernarg_preload_offset 0
		.amdhsa_user_sgpr_private_segment_size 0
		.amdhsa_uses_dynamic_stack 0
		.amdhsa_system_sgpr_private_segment_wavefront_offset 0
		.amdhsa_system_sgpr_workgroup_id_x 1
		.amdhsa_system_sgpr_workgroup_id_y 0
		.amdhsa_system_sgpr_workgroup_id_z 0
		.amdhsa_system_sgpr_workgroup_info 0
		.amdhsa_system_vgpr_workitem_id 0
		.amdhsa_next_free_vgpr 1
		.amdhsa_next_free_sgpr 0
		.amdhsa_accum_offset 4
		.amdhsa_reserve_vcc 0
		.amdhsa_reserve_flat_scratch 0
		.amdhsa_float_round_mode_32 0
		.amdhsa_float_round_mode_16_64 0
		.amdhsa_float_denorm_mode_32 3
		.amdhsa_float_denorm_mode_16_64 3
		.amdhsa_dx10_clamp 1
		.amdhsa_ieee_mode 1
		.amdhsa_fp16_overflow 0
		.amdhsa_tg_split 0
		.amdhsa_exception_fp_ieee_invalid_op 0
		.amdhsa_exception_fp_denorm_src 0
		.amdhsa_exception_fp_ieee_div_zero 0
		.amdhsa_exception_fp_ieee_overflow 0
		.amdhsa_exception_fp_ieee_underflow 0
		.amdhsa_exception_fp_ieee_inexact 0
		.amdhsa_exception_int_div_zero 0
	.end_amdhsa_kernel
	.section	.text._ZN7rocprim17ROCPRIM_400000_NS6detail17trampoline_kernelINS0_14default_configENS1_20scan_config_selectorIdEEZZNS1_9scan_implILNS1_25lookback_scan_determinismE0ELb0ELb0ES3_N6thrust23THRUST_200600_302600_NS6detail15normal_iteratorINS9_10device_ptrIdEEEENS9_16discard_iteratorINS9_11use_defaultEEEd11max_functorIdEdEEDaPvRmT3_T4_T5_mT6_P12ihipStream_tbENKUlT_T0_E_clISt17integral_constantIbLb0EESW_IbLb1EEEEDaSS_ST_EUlSS_E_NS1_11comp_targetILNS1_3genE10ELNS1_11target_archE1201ELNS1_3gpuE5ELNS1_3repE0EEENS1_30default_config_static_selectorELNS0_4arch9wavefront6targetE1EEEvT1_,"axG",@progbits,_ZN7rocprim17ROCPRIM_400000_NS6detail17trampoline_kernelINS0_14default_configENS1_20scan_config_selectorIdEEZZNS1_9scan_implILNS1_25lookback_scan_determinismE0ELb0ELb0ES3_N6thrust23THRUST_200600_302600_NS6detail15normal_iteratorINS9_10device_ptrIdEEEENS9_16discard_iteratorINS9_11use_defaultEEEd11max_functorIdEdEEDaPvRmT3_T4_T5_mT6_P12ihipStream_tbENKUlT_T0_E_clISt17integral_constantIbLb0EESW_IbLb1EEEEDaSS_ST_EUlSS_E_NS1_11comp_targetILNS1_3genE10ELNS1_11target_archE1201ELNS1_3gpuE5ELNS1_3repE0EEENS1_30default_config_static_selectorELNS0_4arch9wavefront6targetE1EEEvT1_,comdat
.Lfunc_end3049:
	.size	_ZN7rocprim17ROCPRIM_400000_NS6detail17trampoline_kernelINS0_14default_configENS1_20scan_config_selectorIdEEZZNS1_9scan_implILNS1_25lookback_scan_determinismE0ELb0ELb0ES3_N6thrust23THRUST_200600_302600_NS6detail15normal_iteratorINS9_10device_ptrIdEEEENS9_16discard_iteratorINS9_11use_defaultEEEd11max_functorIdEdEEDaPvRmT3_T4_T5_mT6_P12ihipStream_tbENKUlT_T0_E_clISt17integral_constantIbLb0EESW_IbLb1EEEEDaSS_ST_EUlSS_E_NS1_11comp_targetILNS1_3genE10ELNS1_11target_archE1201ELNS1_3gpuE5ELNS1_3repE0EEENS1_30default_config_static_selectorELNS0_4arch9wavefront6targetE1EEEvT1_, .Lfunc_end3049-_ZN7rocprim17ROCPRIM_400000_NS6detail17trampoline_kernelINS0_14default_configENS1_20scan_config_selectorIdEEZZNS1_9scan_implILNS1_25lookback_scan_determinismE0ELb0ELb0ES3_N6thrust23THRUST_200600_302600_NS6detail15normal_iteratorINS9_10device_ptrIdEEEENS9_16discard_iteratorINS9_11use_defaultEEEd11max_functorIdEdEEDaPvRmT3_T4_T5_mT6_P12ihipStream_tbENKUlT_T0_E_clISt17integral_constantIbLb0EESW_IbLb1EEEEDaSS_ST_EUlSS_E_NS1_11comp_targetILNS1_3genE10ELNS1_11target_archE1201ELNS1_3gpuE5ELNS1_3repE0EEENS1_30default_config_static_selectorELNS0_4arch9wavefront6targetE1EEEvT1_
                                        ; -- End function
	.section	.AMDGPU.csdata,"",@progbits
; Kernel info:
; codeLenInByte = 0
; NumSgprs: 4
; NumVgprs: 0
; NumAgprs: 0
; TotalNumVgprs: 0
; ScratchSize: 0
; MemoryBound: 0
; FloatMode: 240
; IeeeMode: 1
; LDSByteSize: 0 bytes/workgroup (compile time only)
; SGPRBlocks: 0
; VGPRBlocks: 0
; NumSGPRsForWavesPerEU: 4
; NumVGPRsForWavesPerEU: 1
; AccumOffset: 4
; Occupancy: 8
; WaveLimiterHint : 0
; COMPUTE_PGM_RSRC2:SCRATCH_EN: 0
; COMPUTE_PGM_RSRC2:USER_SGPR: 6
; COMPUTE_PGM_RSRC2:TRAP_HANDLER: 0
; COMPUTE_PGM_RSRC2:TGID_X_EN: 1
; COMPUTE_PGM_RSRC2:TGID_Y_EN: 0
; COMPUTE_PGM_RSRC2:TGID_Z_EN: 0
; COMPUTE_PGM_RSRC2:TIDIG_COMP_CNT: 0
; COMPUTE_PGM_RSRC3_GFX90A:ACCUM_OFFSET: 0
; COMPUTE_PGM_RSRC3_GFX90A:TG_SPLIT: 0
	.section	.text._ZN7rocprim17ROCPRIM_400000_NS6detail17trampoline_kernelINS0_14default_configENS1_20scan_config_selectorIdEEZZNS1_9scan_implILNS1_25lookback_scan_determinismE0ELb0ELb0ES3_N6thrust23THRUST_200600_302600_NS6detail15normal_iteratorINS9_10device_ptrIdEEEENS9_16discard_iteratorINS9_11use_defaultEEEd11max_functorIdEdEEDaPvRmT3_T4_T5_mT6_P12ihipStream_tbENKUlT_T0_E_clISt17integral_constantIbLb0EESW_IbLb1EEEEDaSS_ST_EUlSS_E_NS1_11comp_targetILNS1_3genE10ELNS1_11target_archE1200ELNS1_3gpuE4ELNS1_3repE0EEENS1_30default_config_static_selectorELNS0_4arch9wavefront6targetE1EEEvT1_,"axG",@progbits,_ZN7rocprim17ROCPRIM_400000_NS6detail17trampoline_kernelINS0_14default_configENS1_20scan_config_selectorIdEEZZNS1_9scan_implILNS1_25lookback_scan_determinismE0ELb0ELb0ES3_N6thrust23THRUST_200600_302600_NS6detail15normal_iteratorINS9_10device_ptrIdEEEENS9_16discard_iteratorINS9_11use_defaultEEEd11max_functorIdEdEEDaPvRmT3_T4_T5_mT6_P12ihipStream_tbENKUlT_T0_E_clISt17integral_constantIbLb0EESW_IbLb1EEEEDaSS_ST_EUlSS_E_NS1_11comp_targetILNS1_3genE10ELNS1_11target_archE1200ELNS1_3gpuE4ELNS1_3repE0EEENS1_30default_config_static_selectorELNS0_4arch9wavefront6targetE1EEEvT1_,comdat
	.protected	_ZN7rocprim17ROCPRIM_400000_NS6detail17trampoline_kernelINS0_14default_configENS1_20scan_config_selectorIdEEZZNS1_9scan_implILNS1_25lookback_scan_determinismE0ELb0ELb0ES3_N6thrust23THRUST_200600_302600_NS6detail15normal_iteratorINS9_10device_ptrIdEEEENS9_16discard_iteratorINS9_11use_defaultEEEd11max_functorIdEdEEDaPvRmT3_T4_T5_mT6_P12ihipStream_tbENKUlT_T0_E_clISt17integral_constantIbLb0EESW_IbLb1EEEEDaSS_ST_EUlSS_E_NS1_11comp_targetILNS1_3genE10ELNS1_11target_archE1200ELNS1_3gpuE4ELNS1_3repE0EEENS1_30default_config_static_selectorELNS0_4arch9wavefront6targetE1EEEvT1_ ; -- Begin function _ZN7rocprim17ROCPRIM_400000_NS6detail17trampoline_kernelINS0_14default_configENS1_20scan_config_selectorIdEEZZNS1_9scan_implILNS1_25lookback_scan_determinismE0ELb0ELb0ES3_N6thrust23THRUST_200600_302600_NS6detail15normal_iteratorINS9_10device_ptrIdEEEENS9_16discard_iteratorINS9_11use_defaultEEEd11max_functorIdEdEEDaPvRmT3_T4_T5_mT6_P12ihipStream_tbENKUlT_T0_E_clISt17integral_constantIbLb0EESW_IbLb1EEEEDaSS_ST_EUlSS_E_NS1_11comp_targetILNS1_3genE10ELNS1_11target_archE1200ELNS1_3gpuE4ELNS1_3repE0EEENS1_30default_config_static_selectorELNS0_4arch9wavefront6targetE1EEEvT1_
	.globl	_ZN7rocprim17ROCPRIM_400000_NS6detail17trampoline_kernelINS0_14default_configENS1_20scan_config_selectorIdEEZZNS1_9scan_implILNS1_25lookback_scan_determinismE0ELb0ELb0ES3_N6thrust23THRUST_200600_302600_NS6detail15normal_iteratorINS9_10device_ptrIdEEEENS9_16discard_iteratorINS9_11use_defaultEEEd11max_functorIdEdEEDaPvRmT3_T4_T5_mT6_P12ihipStream_tbENKUlT_T0_E_clISt17integral_constantIbLb0EESW_IbLb1EEEEDaSS_ST_EUlSS_E_NS1_11comp_targetILNS1_3genE10ELNS1_11target_archE1200ELNS1_3gpuE4ELNS1_3repE0EEENS1_30default_config_static_selectorELNS0_4arch9wavefront6targetE1EEEvT1_
	.p2align	8
	.type	_ZN7rocprim17ROCPRIM_400000_NS6detail17trampoline_kernelINS0_14default_configENS1_20scan_config_selectorIdEEZZNS1_9scan_implILNS1_25lookback_scan_determinismE0ELb0ELb0ES3_N6thrust23THRUST_200600_302600_NS6detail15normal_iteratorINS9_10device_ptrIdEEEENS9_16discard_iteratorINS9_11use_defaultEEEd11max_functorIdEdEEDaPvRmT3_T4_T5_mT6_P12ihipStream_tbENKUlT_T0_E_clISt17integral_constantIbLb0EESW_IbLb1EEEEDaSS_ST_EUlSS_E_NS1_11comp_targetILNS1_3genE10ELNS1_11target_archE1200ELNS1_3gpuE4ELNS1_3repE0EEENS1_30default_config_static_selectorELNS0_4arch9wavefront6targetE1EEEvT1_,@function
_ZN7rocprim17ROCPRIM_400000_NS6detail17trampoline_kernelINS0_14default_configENS1_20scan_config_selectorIdEEZZNS1_9scan_implILNS1_25lookback_scan_determinismE0ELb0ELb0ES3_N6thrust23THRUST_200600_302600_NS6detail15normal_iteratorINS9_10device_ptrIdEEEENS9_16discard_iteratorINS9_11use_defaultEEEd11max_functorIdEdEEDaPvRmT3_T4_T5_mT6_P12ihipStream_tbENKUlT_T0_E_clISt17integral_constantIbLb0EESW_IbLb1EEEEDaSS_ST_EUlSS_E_NS1_11comp_targetILNS1_3genE10ELNS1_11target_archE1200ELNS1_3gpuE4ELNS1_3repE0EEENS1_30default_config_static_selectorELNS0_4arch9wavefront6targetE1EEEvT1_: ; @_ZN7rocprim17ROCPRIM_400000_NS6detail17trampoline_kernelINS0_14default_configENS1_20scan_config_selectorIdEEZZNS1_9scan_implILNS1_25lookback_scan_determinismE0ELb0ELb0ES3_N6thrust23THRUST_200600_302600_NS6detail15normal_iteratorINS9_10device_ptrIdEEEENS9_16discard_iteratorINS9_11use_defaultEEEd11max_functorIdEdEEDaPvRmT3_T4_T5_mT6_P12ihipStream_tbENKUlT_T0_E_clISt17integral_constantIbLb0EESW_IbLb1EEEEDaSS_ST_EUlSS_E_NS1_11comp_targetILNS1_3genE10ELNS1_11target_archE1200ELNS1_3gpuE4ELNS1_3repE0EEENS1_30default_config_static_selectorELNS0_4arch9wavefront6targetE1EEEvT1_
; %bb.0:
	.section	.rodata,"a",@progbits
	.p2align	6, 0x0
	.amdhsa_kernel _ZN7rocprim17ROCPRIM_400000_NS6detail17trampoline_kernelINS0_14default_configENS1_20scan_config_selectorIdEEZZNS1_9scan_implILNS1_25lookback_scan_determinismE0ELb0ELb0ES3_N6thrust23THRUST_200600_302600_NS6detail15normal_iteratorINS9_10device_ptrIdEEEENS9_16discard_iteratorINS9_11use_defaultEEEd11max_functorIdEdEEDaPvRmT3_T4_T5_mT6_P12ihipStream_tbENKUlT_T0_E_clISt17integral_constantIbLb0EESW_IbLb1EEEEDaSS_ST_EUlSS_E_NS1_11comp_targetILNS1_3genE10ELNS1_11target_archE1200ELNS1_3gpuE4ELNS1_3repE0EEENS1_30default_config_static_selectorELNS0_4arch9wavefront6targetE1EEEvT1_
		.amdhsa_group_segment_fixed_size 0
		.amdhsa_private_segment_fixed_size 0
		.amdhsa_kernarg_size 112
		.amdhsa_user_sgpr_count 6
		.amdhsa_user_sgpr_private_segment_buffer 1
		.amdhsa_user_sgpr_dispatch_ptr 0
		.amdhsa_user_sgpr_queue_ptr 0
		.amdhsa_user_sgpr_kernarg_segment_ptr 1
		.amdhsa_user_sgpr_dispatch_id 0
		.amdhsa_user_sgpr_flat_scratch_init 0
		.amdhsa_user_sgpr_kernarg_preload_length 0
		.amdhsa_user_sgpr_kernarg_preload_offset 0
		.amdhsa_user_sgpr_private_segment_size 0
		.amdhsa_uses_dynamic_stack 0
		.amdhsa_system_sgpr_private_segment_wavefront_offset 0
		.amdhsa_system_sgpr_workgroup_id_x 1
		.amdhsa_system_sgpr_workgroup_id_y 0
		.amdhsa_system_sgpr_workgroup_id_z 0
		.amdhsa_system_sgpr_workgroup_info 0
		.amdhsa_system_vgpr_workitem_id 0
		.amdhsa_next_free_vgpr 1
		.amdhsa_next_free_sgpr 0
		.amdhsa_accum_offset 4
		.amdhsa_reserve_vcc 0
		.amdhsa_reserve_flat_scratch 0
		.amdhsa_float_round_mode_32 0
		.amdhsa_float_round_mode_16_64 0
		.amdhsa_float_denorm_mode_32 3
		.amdhsa_float_denorm_mode_16_64 3
		.amdhsa_dx10_clamp 1
		.amdhsa_ieee_mode 1
		.amdhsa_fp16_overflow 0
		.amdhsa_tg_split 0
		.amdhsa_exception_fp_ieee_invalid_op 0
		.amdhsa_exception_fp_denorm_src 0
		.amdhsa_exception_fp_ieee_div_zero 0
		.amdhsa_exception_fp_ieee_overflow 0
		.amdhsa_exception_fp_ieee_underflow 0
		.amdhsa_exception_fp_ieee_inexact 0
		.amdhsa_exception_int_div_zero 0
	.end_amdhsa_kernel
	.section	.text._ZN7rocprim17ROCPRIM_400000_NS6detail17trampoline_kernelINS0_14default_configENS1_20scan_config_selectorIdEEZZNS1_9scan_implILNS1_25lookback_scan_determinismE0ELb0ELb0ES3_N6thrust23THRUST_200600_302600_NS6detail15normal_iteratorINS9_10device_ptrIdEEEENS9_16discard_iteratorINS9_11use_defaultEEEd11max_functorIdEdEEDaPvRmT3_T4_T5_mT6_P12ihipStream_tbENKUlT_T0_E_clISt17integral_constantIbLb0EESW_IbLb1EEEEDaSS_ST_EUlSS_E_NS1_11comp_targetILNS1_3genE10ELNS1_11target_archE1200ELNS1_3gpuE4ELNS1_3repE0EEENS1_30default_config_static_selectorELNS0_4arch9wavefront6targetE1EEEvT1_,"axG",@progbits,_ZN7rocprim17ROCPRIM_400000_NS6detail17trampoline_kernelINS0_14default_configENS1_20scan_config_selectorIdEEZZNS1_9scan_implILNS1_25lookback_scan_determinismE0ELb0ELb0ES3_N6thrust23THRUST_200600_302600_NS6detail15normal_iteratorINS9_10device_ptrIdEEEENS9_16discard_iteratorINS9_11use_defaultEEEd11max_functorIdEdEEDaPvRmT3_T4_T5_mT6_P12ihipStream_tbENKUlT_T0_E_clISt17integral_constantIbLb0EESW_IbLb1EEEEDaSS_ST_EUlSS_E_NS1_11comp_targetILNS1_3genE10ELNS1_11target_archE1200ELNS1_3gpuE4ELNS1_3repE0EEENS1_30default_config_static_selectorELNS0_4arch9wavefront6targetE1EEEvT1_,comdat
.Lfunc_end3050:
	.size	_ZN7rocprim17ROCPRIM_400000_NS6detail17trampoline_kernelINS0_14default_configENS1_20scan_config_selectorIdEEZZNS1_9scan_implILNS1_25lookback_scan_determinismE0ELb0ELb0ES3_N6thrust23THRUST_200600_302600_NS6detail15normal_iteratorINS9_10device_ptrIdEEEENS9_16discard_iteratorINS9_11use_defaultEEEd11max_functorIdEdEEDaPvRmT3_T4_T5_mT6_P12ihipStream_tbENKUlT_T0_E_clISt17integral_constantIbLb0EESW_IbLb1EEEEDaSS_ST_EUlSS_E_NS1_11comp_targetILNS1_3genE10ELNS1_11target_archE1200ELNS1_3gpuE4ELNS1_3repE0EEENS1_30default_config_static_selectorELNS0_4arch9wavefront6targetE1EEEvT1_, .Lfunc_end3050-_ZN7rocprim17ROCPRIM_400000_NS6detail17trampoline_kernelINS0_14default_configENS1_20scan_config_selectorIdEEZZNS1_9scan_implILNS1_25lookback_scan_determinismE0ELb0ELb0ES3_N6thrust23THRUST_200600_302600_NS6detail15normal_iteratorINS9_10device_ptrIdEEEENS9_16discard_iteratorINS9_11use_defaultEEEd11max_functorIdEdEEDaPvRmT3_T4_T5_mT6_P12ihipStream_tbENKUlT_T0_E_clISt17integral_constantIbLb0EESW_IbLb1EEEEDaSS_ST_EUlSS_E_NS1_11comp_targetILNS1_3genE10ELNS1_11target_archE1200ELNS1_3gpuE4ELNS1_3repE0EEENS1_30default_config_static_selectorELNS0_4arch9wavefront6targetE1EEEvT1_
                                        ; -- End function
	.section	.AMDGPU.csdata,"",@progbits
; Kernel info:
; codeLenInByte = 0
; NumSgprs: 4
; NumVgprs: 0
; NumAgprs: 0
; TotalNumVgprs: 0
; ScratchSize: 0
; MemoryBound: 0
; FloatMode: 240
; IeeeMode: 1
; LDSByteSize: 0 bytes/workgroup (compile time only)
; SGPRBlocks: 0
; VGPRBlocks: 0
; NumSGPRsForWavesPerEU: 4
; NumVGPRsForWavesPerEU: 1
; AccumOffset: 4
; Occupancy: 8
; WaveLimiterHint : 0
; COMPUTE_PGM_RSRC2:SCRATCH_EN: 0
; COMPUTE_PGM_RSRC2:USER_SGPR: 6
; COMPUTE_PGM_RSRC2:TRAP_HANDLER: 0
; COMPUTE_PGM_RSRC2:TGID_X_EN: 1
; COMPUTE_PGM_RSRC2:TGID_Y_EN: 0
; COMPUTE_PGM_RSRC2:TGID_Z_EN: 0
; COMPUTE_PGM_RSRC2:TIDIG_COMP_CNT: 0
; COMPUTE_PGM_RSRC3_GFX90A:ACCUM_OFFSET: 0
; COMPUTE_PGM_RSRC3_GFX90A:TG_SPLIT: 0
	.section	.text._ZN7rocprim17ROCPRIM_400000_NS6detail17trampoline_kernelINS0_14default_configENS1_20scan_config_selectorIdEEZZNS1_9scan_implILNS1_25lookback_scan_determinismE0ELb0ELb0ES3_N6thrust23THRUST_200600_302600_NS6detail15normal_iteratorINS9_10device_ptrIdEEEENS9_16discard_iteratorINS9_11use_defaultEEEd11max_functorIdEdEEDaPvRmT3_T4_T5_mT6_P12ihipStream_tbENKUlT_T0_E_clISt17integral_constantIbLb0EESW_IbLb1EEEEDaSS_ST_EUlSS_E_NS1_11comp_targetILNS1_3genE9ELNS1_11target_archE1100ELNS1_3gpuE3ELNS1_3repE0EEENS1_30default_config_static_selectorELNS0_4arch9wavefront6targetE1EEEvT1_,"axG",@progbits,_ZN7rocprim17ROCPRIM_400000_NS6detail17trampoline_kernelINS0_14default_configENS1_20scan_config_selectorIdEEZZNS1_9scan_implILNS1_25lookback_scan_determinismE0ELb0ELb0ES3_N6thrust23THRUST_200600_302600_NS6detail15normal_iteratorINS9_10device_ptrIdEEEENS9_16discard_iteratorINS9_11use_defaultEEEd11max_functorIdEdEEDaPvRmT3_T4_T5_mT6_P12ihipStream_tbENKUlT_T0_E_clISt17integral_constantIbLb0EESW_IbLb1EEEEDaSS_ST_EUlSS_E_NS1_11comp_targetILNS1_3genE9ELNS1_11target_archE1100ELNS1_3gpuE3ELNS1_3repE0EEENS1_30default_config_static_selectorELNS0_4arch9wavefront6targetE1EEEvT1_,comdat
	.protected	_ZN7rocprim17ROCPRIM_400000_NS6detail17trampoline_kernelINS0_14default_configENS1_20scan_config_selectorIdEEZZNS1_9scan_implILNS1_25lookback_scan_determinismE0ELb0ELb0ES3_N6thrust23THRUST_200600_302600_NS6detail15normal_iteratorINS9_10device_ptrIdEEEENS9_16discard_iteratorINS9_11use_defaultEEEd11max_functorIdEdEEDaPvRmT3_T4_T5_mT6_P12ihipStream_tbENKUlT_T0_E_clISt17integral_constantIbLb0EESW_IbLb1EEEEDaSS_ST_EUlSS_E_NS1_11comp_targetILNS1_3genE9ELNS1_11target_archE1100ELNS1_3gpuE3ELNS1_3repE0EEENS1_30default_config_static_selectorELNS0_4arch9wavefront6targetE1EEEvT1_ ; -- Begin function _ZN7rocprim17ROCPRIM_400000_NS6detail17trampoline_kernelINS0_14default_configENS1_20scan_config_selectorIdEEZZNS1_9scan_implILNS1_25lookback_scan_determinismE0ELb0ELb0ES3_N6thrust23THRUST_200600_302600_NS6detail15normal_iteratorINS9_10device_ptrIdEEEENS9_16discard_iteratorINS9_11use_defaultEEEd11max_functorIdEdEEDaPvRmT3_T4_T5_mT6_P12ihipStream_tbENKUlT_T0_E_clISt17integral_constantIbLb0EESW_IbLb1EEEEDaSS_ST_EUlSS_E_NS1_11comp_targetILNS1_3genE9ELNS1_11target_archE1100ELNS1_3gpuE3ELNS1_3repE0EEENS1_30default_config_static_selectorELNS0_4arch9wavefront6targetE1EEEvT1_
	.globl	_ZN7rocprim17ROCPRIM_400000_NS6detail17trampoline_kernelINS0_14default_configENS1_20scan_config_selectorIdEEZZNS1_9scan_implILNS1_25lookback_scan_determinismE0ELb0ELb0ES3_N6thrust23THRUST_200600_302600_NS6detail15normal_iteratorINS9_10device_ptrIdEEEENS9_16discard_iteratorINS9_11use_defaultEEEd11max_functorIdEdEEDaPvRmT3_T4_T5_mT6_P12ihipStream_tbENKUlT_T0_E_clISt17integral_constantIbLb0EESW_IbLb1EEEEDaSS_ST_EUlSS_E_NS1_11comp_targetILNS1_3genE9ELNS1_11target_archE1100ELNS1_3gpuE3ELNS1_3repE0EEENS1_30default_config_static_selectorELNS0_4arch9wavefront6targetE1EEEvT1_
	.p2align	8
	.type	_ZN7rocprim17ROCPRIM_400000_NS6detail17trampoline_kernelINS0_14default_configENS1_20scan_config_selectorIdEEZZNS1_9scan_implILNS1_25lookback_scan_determinismE0ELb0ELb0ES3_N6thrust23THRUST_200600_302600_NS6detail15normal_iteratorINS9_10device_ptrIdEEEENS9_16discard_iteratorINS9_11use_defaultEEEd11max_functorIdEdEEDaPvRmT3_T4_T5_mT6_P12ihipStream_tbENKUlT_T0_E_clISt17integral_constantIbLb0EESW_IbLb1EEEEDaSS_ST_EUlSS_E_NS1_11comp_targetILNS1_3genE9ELNS1_11target_archE1100ELNS1_3gpuE3ELNS1_3repE0EEENS1_30default_config_static_selectorELNS0_4arch9wavefront6targetE1EEEvT1_,@function
_ZN7rocprim17ROCPRIM_400000_NS6detail17trampoline_kernelINS0_14default_configENS1_20scan_config_selectorIdEEZZNS1_9scan_implILNS1_25lookback_scan_determinismE0ELb0ELb0ES3_N6thrust23THRUST_200600_302600_NS6detail15normal_iteratorINS9_10device_ptrIdEEEENS9_16discard_iteratorINS9_11use_defaultEEEd11max_functorIdEdEEDaPvRmT3_T4_T5_mT6_P12ihipStream_tbENKUlT_T0_E_clISt17integral_constantIbLb0EESW_IbLb1EEEEDaSS_ST_EUlSS_E_NS1_11comp_targetILNS1_3genE9ELNS1_11target_archE1100ELNS1_3gpuE3ELNS1_3repE0EEENS1_30default_config_static_selectorELNS0_4arch9wavefront6targetE1EEEvT1_: ; @_ZN7rocprim17ROCPRIM_400000_NS6detail17trampoline_kernelINS0_14default_configENS1_20scan_config_selectorIdEEZZNS1_9scan_implILNS1_25lookback_scan_determinismE0ELb0ELb0ES3_N6thrust23THRUST_200600_302600_NS6detail15normal_iteratorINS9_10device_ptrIdEEEENS9_16discard_iteratorINS9_11use_defaultEEEd11max_functorIdEdEEDaPvRmT3_T4_T5_mT6_P12ihipStream_tbENKUlT_T0_E_clISt17integral_constantIbLb0EESW_IbLb1EEEEDaSS_ST_EUlSS_E_NS1_11comp_targetILNS1_3genE9ELNS1_11target_archE1100ELNS1_3gpuE3ELNS1_3repE0EEENS1_30default_config_static_selectorELNS0_4arch9wavefront6targetE1EEEvT1_
; %bb.0:
	.section	.rodata,"a",@progbits
	.p2align	6, 0x0
	.amdhsa_kernel _ZN7rocprim17ROCPRIM_400000_NS6detail17trampoline_kernelINS0_14default_configENS1_20scan_config_selectorIdEEZZNS1_9scan_implILNS1_25lookback_scan_determinismE0ELb0ELb0ES3_N6thrust23THRUST_200600_302600_NS6detail15normal_iteratorINS9_10device_ptrIdEEEENS9_16discard_iteratorINS9_11use_defaultEEEd11max_functorIdEdEEDaPvRmT3_T4_T5_mT6_P12ihipStream_tbENKUlT_T0_E_clISt17integral_constantIbLb0EESW_IbLb1EEEEDaSS_ST_EUlSS_E_NS1_11comp_targetILNS1_3genE9ELNS1_11target_archE1100ELNS1_3gpuE3ELNS1_3repE0EEENS1_30default_config_static_selectorELNS0_4arch9wavefront6targetE1EEEvT1_
		.amdhsa_group_segment_fixed_size 0
		.amdhsa_private_segment_fixed_size 0
		.amdhsa_kernarg_size 112
		.amdhsa_user_sgpr_count 6
		.amdhsa_user_sgpr_private_segment_buffer 1
		.amdhsa_user_sgpr_dispatch_ptr 0
		.amdhsa_user_sgpr_queue_ptr 0
		.amdhsa_user_sgpr_kernarg_segment_ptr 1
		.amdhsa_user_sgpr_dispatch_id 0
		.amdhsa_user_sgpr_flat_scratch_init 0
		.amdhsa_user_sgpr_kernarg_preload_length 0
		.amdhsa_user_sgpr_kernarg_preload_offset 0
		.amdhsa_user_sgpr_private_segment_size 0
		.amdhsa_uses_dynamic_stack 0
		.amdhsa_system_sgpr_private_segment_wavefront_offset 0
		.amdhsa_system_sgpr_workgroup_id_x 1
		.amdhsa_system_sgpr_workgroup_id_y 0
		.amdhsa_system_sgpr_workgroup_id_z 0
		.amdhsa_system_sgpr_workgroup_info 0
		.amdhsa_system_vgpr_workitem_id 0
		.amdhsa_next_free_vgpr 1
		.amdhsa_next_free_sgpr 0
		.amdhsa_accum_offset 4
		.amdhsa_reserve_vcc 0
		.amdhsa_reserve_flat_scratch 0
		.amdhsa_float_round_mode_32 0
		.amdhsa_float_round_mode_16_64 0
		.amdhsa_float_denorm_mode_32 3
		.amdhsa_float_denorm_mode_16_64 3
		.amdhsa_dx10_clamp 1
		.amdhsa_ieee_mode 1
		.amdhsa_fp16_overflow 0
		.amdhsa_tg_split 0
		.amdhsa_exception_fp_ieee_invalid_op 0
		.amdhsa_exception_fp_denorm_src 0
		.amdhsa_exception_fp_ieee_div_zero 0
		.amdhsa_exception_fp_ieee_overflow 0
		.amdhsa_exception_fp_ieee_underflow 0
		.amdhsa_exception_fp_ieee_inexact 0
		.amdhsa_exception_int_div_zero 0
	.end_amdhsa_kernel
	.section	.text._ZN7rocprim17ROCPRIM_400000_NS6detail17trampoline_kernelINS0_14default_configENS1_20scan_config_selectorIdEEZZNS1_9scan_implILNS1_25lookback_scan_determinismE0ELb0ELb0ES3_N6thrust23THRUST_200600_302600_NS6detail15normal_iteratorINS9_10device_ptrIdEEEENS9_16discard_iteratorINS9_11use_defaultEEEd11max_functorIdEdEEDaPvRmT3_T4_T5_mT6_P12ihipStream_tbENKUlT_T0_E_clISt17integral_constantIbLb0EESW_IbLb1EEEEDaSS_ST_EUlSS_E_NS1_11comp_targetILNS1_3genE9ELNS1_11target_archE1100ELNS1_3gpuE3ELNS1_3repE0EEENS1_30default_config_static_selectorELNS0_4arch9wavefront6targetE1EEEvT1_,"axG",@progbits,_ZN7rocprim17ROCPRIM_400000_NS6detail17trampoline_kernelINS0_14default_configENS1_20scan_config_selectorIdEEZZNS1_9scan_implILNS1_25lookback_scan_determinismE0ELb0ELb0ES3_N6thrust23THRUST_200600_302600_NS6detail15normal_iteratorINS9_10device_ptrIdEEEENS9_16discard_iteratorINS9_11use_defaultEEEd11max_functorIdEdEEDaPvRmT3_T4_T5_mT6_P12ihipStream_tbENKUlT_T0_E_clISt17integral_constantIbLb0EESW_IbLb1EEEEDaSS_ST_EUlSS_E_NS1_11comp_targetILNS1_3genE9ELNS1_11target_archE1100ELNS1_3gpuE3ELNS1_3repE0EEENS1_30default_config_static_selectorELNS0_4arch9wavefront6targetE1EEEvT1_,comdat
.Lfunc_end3051:
	.size	_ZN7rocprim17ROCPRIM_400000_NS6detail17trampoline_kernelINS0_14default_configENS1_20scan_config_selectorIdEEZZNS1_9scan_implILNS1_25lookback_scan_determinismE0ELb0ELb0ES3_N6thrust23THRUST_200600_302600_NS6detail15normal_iteratorINS9_10device_ptrIdEEEENS9_16discard_iteratorINS9_11use_defaultEEEd11max_functorIdEdEEDaPvRmT3_T4_T5_mT6_P12ihipStream_tbENKUlT_T0_E_clISt17integral_constantIbLb0EESW_IbLb1EEEEDaSS_ST_EUlSS_E_NS1_11comp_targetILNS1_3genE9ELNS1_11target_archE1100ELNS1_3gpuE3ELNS1_3repE0EEENS1_30default_config_static_selectorELNS0_4arch9wavefront6targetE1EEEvT1_, .Lfunc_end3051-_ZN7rocprim17ROCPRIM_400000_NS6detail17trampoline_kernelINS0_14default_configENS1_20scan_config_selectorIdEEZZNS1_9scan_implILNS1_25lookback_scan_determinismE0ELb0ELb0ES3_N6thrust23THRUST_200600_302600_NS6detail15normal_iteratorINS9_10device_ptrIdEEEENS9_16discard_iteratorINS9_11use_defaultEEEd11max_functorIdEdEEDaPvRmT3_T4_T5_mT6_P12ihipStream_tbENKUlT_T0_E_clISt17integral_constantIbLb0EESW_IbLb1EEEEDaSS_ST_EUlSS_E_NS1_11comp_targetILNS1_3genE9ELNS1_11target_archE1100ELNS1_3gpuE3ELNS1_3repE0EEENS1_30default_config_static_selectorELNS0_4arch9wavefront6targetE1EEEvT1_
                                        ; -- End function
	.section	.AMDGPU.csdata,"",@progbits
; Kernel info:
; codeLenInByte = 0
; NumSgprs: 4
; NumVgprs: 0
; NumAgprs: 0
; TotalNumVgprs: 0
; ScratchSize: 0
; MemoryBound: 0
; FloatMode: 240
; IeeeMode: 1
; LDSByteSize: 0 bytes/workgroup (compile time only)
; SGPRBlocks: 0
; VGPRBlocks: 0
; NumSGPRsForWavesPerEU: 4
; NumVGPRsForWavesPerEU: 1
; AccumOffset: 4
; Occupancy: 8
; WaveLimiterHint : 0
; COMPUTE_PGM_RSRC2:SCRATCH_EN: 0
; COMPUTE_PGM_RSRC2:USER_SGPR: 6
; COMPUTE_PGM_RSRC2:TRAP_HANDLER: 0
; COMPUTE_PGM_RSRC2:TGID_X_EN: 1
; COMPUTE_PGM_RSRC2:TGID_Y_EN: 0
; COMPUTE_PGM_RSRC2:TGID_Z_EN: 0
; COMPUTE_PGM_RSRC2:TIDIG_COMP_CNT: 0
; COMPUTE_PGM_RSRC3_GFX90A:ACCUM_OFFSET: 0
; COMPUTE_PGM_RSRC3_GFX90A:TG_SPLIT: 0
	.section	.text._ZN7rocprim17ROCPRIM_400000_NS6detail17trampoline_kernelINS0_14default_configENS1_20scan_config_selectorIdEEZZNS1_9scan_implILNS1_25lookback_scan_determinismE0ELb0ELb0ES3_N6thrust23THRUST_200600_302600_NS6detail15normal_iteratorINS9_10device_ptrIdEEEENS9_16discard_iteratorINS9_11use_defaultEEEd11max_functorIdEdEEDaPvRmT3_T4_T5_mT6_P12ihipStream_tbENKUlT_T0_E_clISt17integral_constantIbLb0EESW_IbLb1EEEEDaSS_ST_EUlSS_E_NS1_11comp_targetILNS1_3genE8ELNS1_11target_archE1030ELNS1_3gpuE2ELNS1_3repE0EEENS1_30default_config_static_selectorELNS0_4arch9wavefront6targetE1EEEvT1_,"axG",@progbits,_ZN7rocprim17ROCPRIM_400000_NS6detail17trampoline_kernelINS0_14default_configENS1_20scan_config_selectorIdEEZZNS1_9scan_implILNS1_25lookback_scan_determinismE0ELb0ELb0ES3_N6thrust23THRUST_200600_302600_NS6detail15normal_iteratorINS9_10device_ptrIdEEEENS9_16discard_iteratorINS9_11use_defaultEEEd11max_functorIdEdEEDaPvRmT3_T4_T5_mT6_P12ihipStream_tbENKUlT_T0_E_clISt17integral_constantIbLb0EESW_IbLb1EEEEDaSS_ST_EUlSS_E_NS1_11comp_targetILNS1_3genE8ELNS1_11target_archE1030ELNS1_3gpuE2ELNS1_3repE0EEENS1_30default_config_static_selectorELNS0_4arch9wavefront6targetE1EEEvT1_,comdat
	.protected	_ZN7rocprim17ROCPRIM_400000_NS6detail17trampoline_kernelINS0_14default_configENS1_20scan_config_selectorIdEEZZNS1_9scan_implILNS1_25lookback_scan_determinismE0ELb0ELb0ES3_N6thrust23THRUST_200600_302600_NS6detail15normal_iteratorINS9_10device_ptrIdEEEENS9_16discard_iteratorINS9_11use_defaultEEEd11max_functorIdEdEEDaPvRmT3_T4_T5_mT6_P12ihipStream_tbENKUlT_T0_E_clISt17integral_constantIbLb0EESW_IbLb1EEEEDaSS_ST_EUlSS_E_NS1_11comp_targetILNS1_3genE8ELNS1_11target_archE1030ELNS1_3gpuE2ELNS1_3repE0EEENS1_30default_config_static_selectorELNS0_4arch9wavefront6targetE1EEEvT1_ ; -- Begin function _ZN7rocprim17ROCPRIM_400000_NS6detail17trampoline_kernelINS0_14default_configENS1_20scan_config_selectorIdEEZZNS1_9scan_implILNS1_25lookback_scan_determinismE0ELb0ELb0ES3_N6thrust23THRUST_200600_302600_NS6detail15normal_iteratorINS9_10device_ptrIdEEEENS9_16discard_iteratorINS9_11use_defaultEEEd11max_functorIdEdEEDaPvRmT3_T4_T5_mT6_P12ihipStream_tbENKUlT_T0_E_clISt17integral_constantIbLb0EESW_IbLb1EEEEDaSS_ST_EUlSS_E_NS1_11comp_targetILNS1_3genE8ELNS1_11target_archE1030ELNS1_3gpuE2ELNS1_3repE0EEENS1_30default_config_static_selectorELNS0_4arch9wavefront6targetE1EEEvT1_
	.globl	_ZN7rocprim17ROCPRIM_400000_NS6detail17trampoline_kernelINS0_14default_configENS1_20scan_config_selectorIdEEZZNS1_9scan_implILNS1_25lookback_scan_determinismE0ELb0ELb0ES3_N6thrust23THRUST_200600_302600_NS6detail15normal_iteratorINS9_10device_ptrIdEEEENS9_16discard_iteratorINS9_11use_defaultEEEd11max_functorIdEdEEDaPvRmT3_T4_T5_mT6_P12ihipStream_tbENKUlT_T0_E_clISt17integral_constantIbLb0EESW_IbLb1EEEEDaSS_ST_EUlSS_E_NS1_11comp_targetILNS1_3genE8ELNS1_11target_archE1030ELNS1_3gpuE2ELNS1_3repE0EEENS1_30default_config_static_selectorELNS0_4arch9wavefront6targetE1EEEvT1_
	.p2align	8
	.type	_ZN7rocprim17ROCPRIM_400000_NS6detail17trampoline_kernelINS0_14default_configENS1_20scan_config_selectorIdEEZZNS1_9scan_implILNS1_25lookback_scan_determinismE0ELb0ELb0ES3_N6thrust23THRUST_200600_302600_NS6detail15normal_iteratorINS9_10device_ptrIdEEEENS9_16discard_iteratorINS9_11use_defaultEEEd11max_functorIdEdEEDaPvRmT3_T4_T5_mT6_P12ihipStream_tbENKUlT_T0_E_clISt17integral_constantIbLb0EESW_IbLb1EEEEDaSS_ST_EUlSS_E_NS1_11comp_targetILNS1_3genE8ELNS1_11target_archE1030ELNS1_3gpuE2ELNS1_3repE0EEENS1_30default_config_static_selectorELNS0_4arch9wavefront6targetE1EEEvT1_,@function
_ZN7rocprim17ROCPRIM_400000_NS6detail17trampoline_kernelINS0_14default_configENS1_20scan_config_selectorIdEEZZNS1_9scan_implILNS1_25lookback_scan_determinismE0ELb0ELb0ES3_N6thrust23THRUST_200600_302600_NS6detail15normal_iteratorINS9_10device_ptrIdEEEENS9_16discard_iteratorINS9_11use_defaultEEEd11max_functorIdEdEEDaPvRmT3_T4_T5_mT6_P12ihipStream_tbENKUlT_T0_E_clISt17integral_constantIbLb0EESW_IbLb1EEEEDaSS_ST_EUlSS_E_NS1_11comp_targetILNS1_3genE8ELNS1_11target_archE1030ELNS1_3gpuE2ELNS1_3repE0EEENS1_30default_config_static_selectorELNS0_4arch9wavefront6targetE1EEEvT1_: ; @_ZN7rocprim17ROCPRIM_400000_NS6detail17trampoline_kernelINS0_14default_configENS1_20scan_config_selectorIdEEZZNS1_9scan_implILNS1_25lookback_scan_determinismE0ELb0ELb0ES3_N6thrust23THRUST_200600_302600_NS6detail15normal_iteratorINS9_10device_ptrIdEEEENS9_16discard_iteratorINS9_11use_defaultEEEd11max_functorIdEdEEDaPvRmT3_T4_T5_mT6_P12ihipStream_tbENKUlT_T0_E_clISt17integral_constantIbLb0EESW_IbLb1EEEEDaSS_ST_EUlSS_E_NS1_11comp_targetILNS1_3genE8ELNS1_11target_archE1030ELNS1_3gpuE2ELNS1_3repE0EEENS1_30default_config_static_selectorELNS0_4arch9wavefront6targetE1EEEvT1_
; %bb.0:
	.section	.rodata,"a",@progbits
	.p2align	6, 0x0
	.amdhsa_kernel _ZN7rocprim17ROCPRIM_400000_NS6detail17trampoline_kernelINS0_14default_configENS1_20scan_config_selectorIdEEZZNS1_9scan_implILNS1_25lookback_scan_determinismE0ELb0ELb0ES3_N6thrust23THRUST_200600_302600_NS6detail15normal_iteratorINS9_10device_ptrIdEEEENS9_16discard_iteratorINS9_11use_defaultEEEd11max_functorIdEdEEDaPvRmT3_T4_T5_mT6_P12ihipStream_tbENKUlT_T0_E_clISt17integral_constantIbLb0EESW_IbLb1EEEEDaSS_ST_EUlSS_E_NS1_11comp_targetILNS1_3genE8ELNS1_11target_archE1030ELNS1_3gpuE2ELNS1_3repE0EEENS1_30default_config_static_selectorELNS0_4arch9wavefront6targetE1EEEvT1_
		.amdhsa_group_segment_fixed_size 0
		.amdhsa_private_segment_fixed_size 0
		.amdhsa_kernarg_size 112
		.amdhsa_user_sgpr_count 6
		.amdhsa_user_sgpr_private_segment_buffer 1
		.amdhsa_user_sgpr_dispatch_ptr 0
		.amdhsa_user_sgpr_queue_ptr 0
		.amdhsa_user_sgpr_kernarg_segment_ptr 1
		.amdhsa_user_sgpr_dispatch_id 0
		.amdhsa_user_sgpr_flat_scratch_init 0
		.amdhsa_user_sgpr_kernarg_preload_length 0
		.amdhsa_user_sgpr_kernarg_preload_offset 0
		.amdhsa_user_sgpr_private_segment_size 0
		.amdhsa_uses_dynamic_stack 0
		.amdhsa_system_sgpr_private_segment_wavefront_offset 0
		.amdhsa_system_sgpr_workgroup_id_x 1
		.amdhsa_system_sgpr_workgroup_id_y 0
		.amdhsa_system_sgpr_workgroup_id_z 0
		.amdhsa_system_sgpr_workgroup_info 0
		.amdhsa_system_vgpr_workitem_id 0
		.amdhsa_next_free_vgpr 1
		.amdhsa_next_free_sgpr 0
		.amdhsa_accum_offset 4
		.amdhsa_reserve_vcc 0
		.amdhsa_reserve_flat_scratch 0
		.amdhsa_float_round_mode_32 0
		.amdhsa_float_round_mode_16_64 0
		.amdhsa_float_denorm_mode_32 3
		.amdhsa_float_denorm_mode_16_64 3
		.amdhsa_dx10_clamp 1
		.amdhsa_ieee_mode 1
		.amdhsa_fp16_overflow 0
		.amdhsa_tg_split 0
		.amdhsa_exception_fp_ieee_invalid_op 0
		.amdhsa_exception_fp_denorm_src 0
		.amdhsa_exception_fp_ieee_div_zero 0
		.amdhsa_exception_fp_ieee_overflow 0
		.amdhsa_exception_fp_ieee_underflow 0
		.amdhsa_exception_fp_ieee_inexact 0
		.amdhsa_exception_int_div_zero 0
	.end_amdhsa_kernel
	.section	.text._ZN7rocprim17ROCPRIM_400000_NS6detail17trampoline_kernelINS0_14default_configENS1_20scan_config_selectorIdEEZZNS1_9scan_implILNS1_25lookback_scan_determinismE0ELb0ELb0ES3_N6thrust23THRUST_200600_302600_NS6detail15normal_iteratorINS9_10device_ptrIdEEEENS9_16discard_iteratorINS9_11use_defaultEEEd11max_functorIdEdEEDaPvRmT3_T4_T5_mT6_P12ihipStream_tbENKUlT_T0_E_clISt17integral_constantIbLb0EESW_IbLb1EEEEDaSS_ST_EUlSS_E_NS1_11comp_targetILNS1_3genE8ELNS1_11target_archE1030ELNS1_3gpuE2ELNS1_3repE0EEENS1_30default_config_static_selectorELNS0_4arch9wavefront6targetE1EEEvT1_,"axG",@progbits,_ZN7rocprim17ROCPRIM_400000_NS6detail17trampoline_kernelINS0_14default_configENS1_20scan_config_selectorIdEEZZNS1_9scan_implILNS1_25lookback_scan_determinismE0ELb0ELb0ES3_N6thrust23THRUST_200600_302600_NS6detail15normal_iteratorINS9_10device_ptrIdEEEENS9_16discard_iteratorINS9_11use_defaultEEEd11max_functorIdEdEEDaPvRmT3_T4_T5_mT6_P12ihipStream_tbENKUlT_T0_E_clISt17integral_constantIbLb0EESW_IbLb1EEEEDaSS_ST_EUlSS_E_NS1_11comp_targetILNS1_3genE8ELNS1_11target_archE1030ELNS1_3gpuE2ELNS1_3repE0EEENS1_30default_config_static_selectorELNS0_4arch9wavefront6targetE1EEEvT1_,comdat
.Lfunc_end3052:
	.size	_ZN7rocprim17ROCPRIM_400000_NS6detail17trampoline_kernelINS0_14default_configENS1_20scan_config_selectorIdEEZZNS1_9scan_implILNS1_25lookback_scan_determinismE0ELb0ELb0ES3_N6thrust23THRUST_200600_302600_NS6detail15normal_iteratorINS9_10device_ptrIdEEEENS9_16discard_iteratorINS9_11use_defaultEEEd11max_functorIdEdEEDaPvRmT3_T4_T5_mT6_P12ihipStream_tbENKUlT_T0_E_clISt17integral_constantIbLb0EESW_IbLb1EEEEDaSS_ST_EUlSS_E_NS1_11comp_targetILNS1_3genE8ELNS1_11target_archE1030ELNS1_3gpuE2ELNS1_3repE0EEENS1_30default_config_static_selectorELNS0_4arch9wavefront6targetE1EEEvT1_, .Lfunc_end3052-_ZN7rocprim17ROCPRIM_400000_NS6detail17trampoline_kernelINS0_14default_configENS1_20scan_config_selectorIdEEZZNS1_9scan_implILNS1_25lookback_scan_determinismE0ELb0ELb0ES3_N6thrust23THRUST_200600_302600_NS6detail15normal_iteratorINS9_10device_ptrIdEEEENS9_16discard_iteratorINS9_11use_defaultEEEd11max_functorIdEdEEDaPvRmT3_T4_T5_mT6_P12ihipStream_tbENKUlT_T0_E_clISt17integral_constantIbLb0EESW_IbLb1EEEEDaSS_ST_EUlSS_E_NS1_11comp_targetILNS1_3genE8ELNS1_11target_archE1030ELNS1_3gpuE2ELNS1_3repE0EEENS1_30default_config_static_selectorELNS0_4arch9wavefront6targetE1EEEvT1_
                                        ; -- End function
	.section	.AMDGPU.csdata,"",@progbits
; Kernel info:
; codeLenInByte = 0
; NumSgprs: 4
; NumVgprs: 0
; NumAgprs: 0
; TotalNumVgprs: 0
; ScratchSize: 0
; MemoryBound: 0
; FloatMode: 240
; IeeeMode: 1
; LDSByteSize: 0 bytes/workgroup (compile time only)
; SGPRBlocks: 0
; VGPRBlocks: 0
; NumSGPRsForWavesPerEU: 4
; NumVGPRsForWavesPerEU: 1
; AccumOffset: 4
; Occupancy: 8
; WaveLimiterHint : 0
; COMPUTE_PGM_RSRC2:SCRATCH_EN: 0
; COMPUTE_PGM_RSRC2:USER_SGPR: 6
; COMPUTE_PGM_RSRC2:TRAP_HANDLER: 0
; COMPUTE_PGM_RSRC2:TGID_X_EN: 1
; COMPUTE_PGM_RSRC2:TGID_Y_EN: 0
; COMPUTE_PGM_RSRC2:TGID_Z_EN: 0
; COMPUTE_PGM_RSRC2:TIDIG_COMP_CNT: 0
; COMPUTE_PGM_RSRC3_GFX90A:ACCUM_OFFSET: 0
; COMPUTE_PGM_RSRC3_GFX90A:TG_SPLIT: 0
	.section	.text._ZN7rocprim17ROCPRIM_400000_NS6detail17trampoline_kernelINS0_14default_configENS1_20scan_config_selectorIdEEZZNS1_9scan_implILNS1_25lookback_scan_determinismE0ELb0ELb0ES3_N6thrust23THRUST_200600_302600_NS6detail15normal_iteratorINS9_10device_ptrIdEEEENS9_16discard_iteratorINS9_11use_defaultEEEd11max_functorIdEdEEDaPvRmT3_T4_T5_mT6_P12ihipStream_tbENKUlT_T0_E_clISt17integral_constantIbLb0EESW_IbLb1EEEEDaSS_ST_EUlSS_E0_NS1_11comp_targetILNS1_3genE0ELNS1_11target_archE4294967295ELNS1_3gpuE0ELNS1_3repE0EEENS1_30default_config_static_selectorELNS0_4arch9wavefront6targetE1EEEvT1_,"axG",@progbits,_ZN7rocprim17ROCPRIM_400000_NS6detail17trampoline_kernelINS0_14default_configENS1_20scan_config_selectorIdEEZZNS1_9scan_implILNS1_25lookback_scan_determinismE0ELb0ELb0ES3_N6thrust23THRUST_200600_302600_NS6detail15normal_iteratorINS9_10device_ptrIdEEEENS9_16discard_iteratorINS9_11use_defaultEEEd11max_functorIdEdEEDaPvRmT3_T4_T5_mT6_P12ihipStream_tbENKUlT_T0_E_clISt17integral_constantIbLb0EESW_IbLb1EEEEDaSS_ST_EUlSS_E0_NS1_11comp_targetILNS1_3genE0ELNS1_11target_archE4294967295ELNS1_3gpuE0ELNS1_3repE0EEENS1_30default_config_static_selectorELNS0_4arch9wavefront6targetE1EEEvT1_,comdat
	.protected	_ZN7rocprim17ROCPRIM_400000_NS6detail17trampoline_kernelINS0_14default_configENS1_20scan_config_selectorIdEEZZNS1_9scan_implILNS1_25lookback_scan_determinismE0ELb0ELb0ES3_N6thrust23THRUST_200600_302600_NS6detail15normal_iteratorINS9_10device_ptrIdEEEENS9_16discard_iteratorINS9_11use_defaultEEEd11max_functorIdEdEEDaPvRmT3_T4_T5_mT6_P12ihipStream_tbENKUlT_T0_E_clISt17integral_constantIbLb0EESW_IbLb1EEEEDaSS_ST_EUlSS_E0_NS1_11comp_targetILNS1_3genE0ELNS1_11target_archE4294967295ELNS1_3gpuE0ELNS1_3repE0EEENS1_30default_config_static_selectorELNS0_4arch9wavefront6targetE1EEEvT1_ ; -- Begin function _ZN7rocprim17ROCPRIM_400000_NS6detail17trampoline_kernelINS0_14default_configENS1_20scan_config_selectorIdEEZZNS1_9scan_implILNS1_25lookback_scan_determinismE0ELb0ELb0ES3_N6thrust23THRUST_200600_302600_NS6detail15normal_iteratorINS9_10device_ptrIdEEEENS9_16discard_iteratorINS9_11use_defaultEEEd11max_functorIdEdEEDaPvRmT3_T4_T5_mT6_P12ihipStream_tbENKUlT_T0_E_clISt17integral_constantIbLb0EESW_IbLb1EEEEDaSS_ST_EUlSS_E0_NS1_11comp_targetILNS1_3genE0ELNS1_11target_archE4294967295ELNS1_3gpuE0ELNS1_3repE0EEENS1_30default_config_static_selectorELNS0_4arch9wavefront6targetE1EEEvT1_
	.globl	_ZN7rocprim17ROCPRIM_400000_NS6detail17trampoline_kernelINS0_14default_configENS1_20scan_config_selectorIdEEZZNS1_9scan_implILNS1_25lookback_scan_determinismE0ELb0ELb0ES3_N6thrust23THRUST_200600_302600_NS6detail15normal_iteratorINS9_10device_ptrIdEEEENS9_16discard_iteratorINS9_11use_defaultEEEd11max_functorIdEdEEDaPvRmT3_T4_T5_mT6_P12ihipStream_tbENKUlT_T0_E_clISt17integral_constantIbLb0EESW_IbLb1EEEEDaSS_ST_EUlSS_E0_NS1_11comp_targetILNS1_3genE0ELNS1_11target_archE4294967295ELNS1_3gpuE0ELNS1_3repE0EEENS1_30default_config_static_selectorELNS0_4arch9wavefront6targetE1EEEvT1_
	.p2align	8
	.type	_ZN7rocprim17ROCPRIM_400000_NS6detail17trampoline_kernelINS0_14default_configENS1_20scan_config_selectorIdEEZZNS1_9scan_implILNS1_25lookback_scan_determinismE0ELb0ELb0ES3_N6thrust23THRUST_200600_302600_NS6detail15normal_iteratorINS9_10device_ptrIdEEEENS9_16discard_iteratorINS9_11use_defaultEEEd11max_functorIdEdEEDaPvRmT3_T4_T5_mT6_P12ihipStream_tbENKUlT_T0_E_clISt17integral_constantIbLb0EESW_IbLb1EEEEDaSS_ST_EUlSS_E0_NS1_11comp_targetILNS1_3genE0ELNS1_11target_archE4294967295ELNS1_3gpuE0ELNS1_3repE0EEENS1_30default_config_static_selectorELNS0_4arch9wavefront6targetE1EEEvT1_,@function
_ZN7rocprim17ROCPRIM_400000_NS6detail17trampoline_kernelINS0_14default_configENS1_20scan_config_selectorIdEEZZNS1_9scan_implILNS1_25lookback_scan_determinismE0ELb0ELb0ES3_N6thrust23THRUST_200600_302600_NS6detail15normal_iteratorINS9_10device_ptrIdEEEENS9_16discard_iteratorINS9_11use_defaultEEEd11max_functorIdEdEEDaPvRmT3_T4_T5_mT6_P12ihipStream_tbENKUlT_T0_E_clISt17integral_constantIbLb0EESW_IbLb1EEEEDaSS_ST_EUlSS_E0_NS1_11comp_targetILNS1_3genE0ELNS1_11target_archE4294967295ELNS1_3gpuE0ELNS1_3repE0EEENS1_30default_config_static_selectorELNS0_4arch9wavefront6targetE1EEEvT1_: ; @_ZN7rocprim17ROCPRIM_400000_NS6detail17trampoline_kernelINS0_14default_configENS1_20scan_config_selectorIdEEZZNS1_9scan_implILNS1_25lookback_scan_determinismE0ELb0ELb0ES3_N6thrust23THRUST_200600_302600_NS6detail15normal_iteratorINS9_10device_ptrIdEEEENS9_16discard_iteratorINS9_11use_defaultEEEd11max_functorIdEdEEDaPvRmT3_T4_T5_mT6_P12ihipStream_tbENKUlT_T0_E_clISt17integral_constantIbLb0EESW_IbLb1EEEEDaSS_ST_EUlSS_E0_NS1_11comp_targetILNS1_3genE0ELNS1_11target_archE4294967295ELNS1_3gpuE0ELNS1_3repE0EEENS1_30default_config_static_selectorELNS0_4arch9wavefront6targetE1EEEvT1_
; %bb.0:
	.section	.rodata,"a",@progbits
	.p2align	6, 0x0
	.amdhsa_kernel _ZN7rocprim17ROCPRIM_400000_NS6detail17trampoline_kernelINS0_14default_configENS1_20scan_config_selectorIdEEZZNS1_9scan_implILNS1_25lookback_scan_determinismE0ELb0ELb0ES3_N6thrust23THRUST_200600_302600_NS6detail15normal_iteratorINS9_10device_ptrIdEEEENS9_16discard_iteratorINS9_11use_defaultEEEd11max_functorIdEdEEDaPvRmT3_T4_T5_mT6_P12ihipStream_tbENKUlT_T0_E_clISt17integral_constantIbLb0EESW_IbLb1EEEEDaSS_ST_EUlSS_E0_NS1_11comp_targetILNS1_3genE0ELNS1_11target_archE4294967295ELNS1_3gpuE0ELNS1_3repE0EEENS1_30default_config_static_selectorELNS0_4arch9wavefront6targetE1EEEvT1_
		.amdhsa_group_segment_fixed_size 0
		.amdhsa_private_segment_fixed_size 0
		.amdhsa_kernarg_size 48
		.amdhsa_user_sgpr_count 6
		.amdhsa_user_sgpr_private_segment_buffer 1
		.amdhsa_user_sgpr_dispatch_ptr 0
		.amdhsa_user_sgpr_queue_ptr 0
		.amdhsa_user_sgpr_kernarg_segment_ptr 1
		.amdhsa_user_sgpr_dispatch_id 0
		.amdhsa_user_sgpr_flat_scratch_init 0
		.amdhsa_user_sgpr_kernarg_preload_length 0
		.amdhsa_user_sgpr_kernarg_preload_offset 0
		.amdhsa_user_sgpr_private_segment_size 0
		.amdhsa_uses_dynamic_stack 0
		.amdhsa_system_sgpr_private_segment_wavefront_offset 0
		.amdhsa_system_sgpr_workgroup_id_x 1
		.amdhsa_system_sgpr_workgroup_id_y 0
		.amdhsa_system_sgpr_workgroup_id_z 0
		.amdhsa_system_sgpr_workgroup_info 0
		.amdhsa_system_vgpr_workitem_id 0
		.amdhsa_next_free_vgpr 1
		.amdhsa_next_free_sgpr 0
		.amdhsa_accum_offset 4
		.amdhsa_reserve_vcc 0
		.amdhsa_reserve_flat_scratch 0
		.amdhsa_float_round_mode_32 0
		.amdhsa_float_round_mode_16_64 0
		.amdhsa_float_denorm_mode_32 3
		.amdhsa_float_denorm_mode_16_64 3
		.amdhsa_dx10_clamp 1
		.amdhsa_ieee_mode 1
		.amdhsa_fp16_overflow 0
		.amdhsa_tg_split 0
		.amdhsa_exception_fp_ieee_invalid_op 0
		.amdhsa_exception_fp_denorm_src 0
		.amdhsa_exception_fp_ieee_div_zero 0
		.amdhsa_exception_fp_ieee_overflow 0
		.amdhsa_exception_fp_ieee_underflow 0
		.amdhsa_exception_fp_ieee_inexact 0
		.amdhsa_exception_int_div_zero 0
	.end_amdhsa_kernel
	.section	.text._ZN7rocprim17ROCPRIM_400000_NS6detail17trampoline_kernelINS0_14default_configENS1_20scan_config_selectorIdEEZZNS1_9scan_implILNS1_25lookback_scan_determinismE0ELb0ELb0ES3_N6thrust23THRUST_200600_302600_NS6detail15normal_iteratorINS9_10device_ptrIdEEEENS9_16discard_iteratorINS9_11use_defaultEEEd11max_functorIdEdEEDaPvRmT3_T4_T5_mT6_P12ihipStream_tbENKUlT_T0_E_clISt17integral_constantIbLb0EESW_IbLb1EEEEDaSS_ST_EUlSS_E0_NS1_11comp_targetILNS1_3genE0ELNS1_11target_archE4294967295ELNS1_3gpuE0ELNS1_3repE0EEENS1_30default_config_static_selectorELNS0_4arch9wavefront6targetE1EEEvT1_,"axG",@progbits,_ZN7rocprim17ROCPRIM_400000_NS6detail17trampoline_kernelINS0_14default_configENS1_20scan_config_selectorIdEEZZNS1_9scan_implILNS1_25lookback_scan_determinismE0ELb0ELb0ES3_N6thrust23THRUST_200600_302600_NS6detail15normal_iteratorINS9_10device_ptrIdEEEENS9_16discard_iteratorINS9_11use_defaultEEEd11max_functorIdEdEEDaPvRmT3_T4_T5_mT6_P12ihipStream_tbENKUlT_T0_E_clISt17integral_constantIbLb0EESW_IbLb1EEEEDaSS_ST_EUlSS_E0_NS1_11comp_targetILNS1_3genE0ELNS1_11target_archE4294967295ELNS1_3gpuE0ELNS1_3repE0EEENS1_30default_config_static_selectorELNS0_4arch9wavefront6targetE1EEEvT1_,comdat
.Lfunc_end3053:
	.size	_ZN7rocprim17ROCPRIM_400000_NS6detail17trampoline_kernelINS0_14default_configENS1_20scan_config_selectorIdEEZZNS1_9scan_implILNS1_25lookback_scan_determinismE0ELb0ELb0ES3_N6thrust23THRUST_200600_302600_NS6detail15normal_iteratorINS9_10device_ptrIdEEEENS9_16discard_iteratorINS9_11use_defaultEEEd11max_functorIdEdEEDaPvRmT3_T4_T5_mT6_P12ihipStream_tbENKUlT_T0_E_clISt17integral_constantIbLb0EESW_IbLb1EEEEDaSS_ST_EUlSS_E0_NS1_11comp_targetILNS1_3genE0ELNS1_11target_archE4294967295ELNS1_3gpuE0ELNS1_3repE0EEENS1_30default_config_static_selectorELNS0_4arch9wavefront6targetE1EEEvT1_, .Lfunc_end3053-_ZN7rocprim17ROCPRIM_400000_NS6detail17trampoline_kernelINS0_14default_configENS1_20scan_config_selectorIdEEZZNS1_9scan_implILNS1_25lookback_scan_determinismE0ELb0ELb0ES3_N6thrust23THRUST_200600_302600_NS6detail15normal_iteratorINS9_10device_ptrIdEEEENS9_16discard_iteratorINS9_11use_defaultEEEd11max_functorIdEdEEDaPvRmT3_T4_T5_mT6_P12ihipStream_tbENKUlT_T0_E_clISt17integral_constantIbLb0EESW_IbLb1EEEEDaSS_ST_EUlSS_E0_NS1_11comp_targetILNS1_3genE0ELNS1_11target_archE4294967295ELNS1_3gpuE0ELNS1_3repE0EEENS1_30default_config_static_selectorELNS0_4arch9wavefront6targetE1EEEvT1_
                                        ; -- End function
	.section	.AMDGPU.csdata,"",@progbits
; Kernel info:
; codeLenInByte = 0
; NumSgprs: 4
; NumVgprs: 0
; NumAgprs: 0
; TotalNumVgprs: 0
; ScratchSize: 0
; MemoryBound: 0
; FloatMode: 240
; IeeeMode: 1
; LDSByteSize: 0 bytes/workgroup (compile time only)
; SGPRBlocks: 0
; VGPRBlocks: 0
; NumSGPRsForWavesPerEU: 4
; NumVGPRsForWavesPerEU: 1
; AccumOffset: 4
; Occupancy: 8
; WaveLimiterHint : 0
; COMPUTE_PGM_RSRC2:SCRATCH_EN: 0
; COMPUTE_PGM_RSRC2:USER_SGPR: 6
; COMPUTE_PGM_RSRC2:TRAP_HANDLER: 0
; COMPUTE_PGM_RSRC2:TGID_X_EN: 1
; COMPUTE_PGM_RSRC2:TGID_Y_EN: 0
; COMPUTE_PGM_RSRC2:TGID_Z_EN: 0
; COMPUTE_PGM_RSRC2:TIDIG_COMP_CNT: 0
; COMPUTE_PGM_RSRC3_GFX90A:ACCUM_OFFSET: 0
; COMPUTE_PGM_RSRC3_GFX90A:TG_SPLIT: 0
	.section	.text._ZN7rocprim17ROCPRIM_400000_NS6detail17trampoline_kernelINS0_14default_configENS1_20scan_config_selectorIdEEZZNS1_9scan_implILNS1_25lookback_scan_determinismE0ELb0ELb0ES3_N6thrust23THRUST_200600_302600_NS6detail15normal_iteratorINS9_10device_ptrIdEEEENS9_16discard_iteratorINS9_11use_defaultEEEd11max_functorIdEdEEDaPvRmT3_T4_T5_mT6_P12ihipStream_tbENKUlT_T0_E_clISt17integral_constantIbLb0EESW_IbLb1EEEEDaSS_ST_EUlSS_E0_NS1_11comp_targetILNS1_3genE5ELNS1_11target_archE942ELNS1_3gpuE9ELNS1_3repE0EEENS1_30default_config_static_selectorELNS0_4arch9wavefront6targetE1EEEvT1_,"axG",@progbits,_ZN7rocprim17ROCPRIM_400000_NS6detail17trampoline_kernelINS0_14default_configENS1_20scan_config_selectorIdEEZZNS1_9scan_implILNS1_25lookback_scan_determinismE0ELb0ELb0ES3_N6thrust23THRUST_200600_302600_NS6detail15normal_iteratorINS9_10device_ptrIdEEEENS9_16discard_iteratorINS9_11use_defaultEEEd11max_functorIdEdEEDaPvRmT3_T4_T5_mT6_P12ihipStream_tbENKUlT_T0_E_clISt17integral_constantIbLb0EESW_IbLb1EEEEDaSS_ST_EUlSS_E0_NS1_11comp_targetILNS1_3genE5ELNS1_11target_archE942ELNS1_3gpuE9ELNS1_3repE0EEENS1_30default_config_static_selectorELNS0_4arch9wavefront6targetE1EEEvT1_,comdat
	.protected	_ZN7rocprim17ROCPRIM_400000_NS6detail17trampoline_kernelINS0_14default_configENS1_20scan_config_selectorIdEEZZNS1_9scan_implILNS1_25lookback_scan_determinismE0ELb0ELb0ES3_N6thrust23THRUST_200600_302600_NS6detail15normal_iteratorINS9_10device_ptrIdEEEENS9_16discard_iteratorINS9_11use_defaultEEEd11max_functorIdEdEEDaPvRmT3_T4_T5_mT6_P12ihipStream_tbENKUlT_T0_E_clISt17integral_constantIbLb0EESW_IbLb1EEEEDaSS_ST_EUlSS_E0_NS1_11comp_targetILNS1_3genE5ELNS1_11target_archE942ELNS1_3gpuE9ELNS1_3repE0EEENS1_30default_config_static_selectorELNS0_4arch9wavefront6targetE1EEEvT1_ ; -- Begin function _ZN7rocprim17ROCPRIM_400000_NS6detail17trampoline_kernelINS0_14default_configENS1_20scan_config_selectorIdEEZZNS1_9scan_implILNS1_25lookback_scan_determinismE0ELb0ELb0ES3_N6thrust23THRUST_200600_302600_NS6detail15normal_iteratorINS9_10device_ptrIdEEEENS9_16discard_iteratorINS9_11use_defaultEEEd11max_functorIdEdEEDaPvRmT3_T4_T5_mT6_P12ihipStream_tbENKUlT_T0_E_clISt17integral_constantIbLb0EESW_IbLb1EEEEDaSS_ST_EUlSS_E0_NS1_11comp_targetILNS1_3genE5ELNS1_11target_archE942ELNS1_3gpuE9ELNS1_3repE0EEENS1_30default_config_static_selectorELNS0_4arch9wavefront6targetE1EEEvT1_
	.globl	_ZN7rocprim17ROCPRIM_400000_NS6detail17trampoline_kernelINS0_14default_configENS1_20scan_config_selectorIdEEZZNS1_9scan_implILNS1_25lookback_scan_determinismE0ELb0ELb0ES3_N6thrust23THRUST_200600_302600_NS6detail15normal_iteratorINS9_10device_ptrIdEEEENS9_16discard_iteratorINS9_11use_defaultEEEd11max_functorIdEdEEDaPvRmT3_T4_T5_mT6_P12ihipStream_tbENKUlT_T0_E_clISt17integral_constantIbLb0EESW_IbLb1EEEEDaSS_ST_EUlSS_E0_NS1_11comp_targetILNS1_3genE5ELNS1_11target_archE942ELNS1_3gpuE9ELNS1_3repE0EEENS1_30default_config_static_selectorELNS0_4arch9wavefront6targetE1EEEvT1_
	.p2align	8
	.type	_ZN7rocprim17ROCPRIM_400000_NS6detail17trampoline_kernelINS0_14default_configENS1_20scan_config_selectorIdEEZZNS1_9scan_implILNS1_25lookback_scan_determinismE0ELb0ELb0ES3_N6thrust23THRUST_200600_302600_NS6detail15normal_iteratorINS9_10device_ptrIdEEEENS9_16discard_iteratorINS9_11use_defaultEEEd11max_functorIdEdEEDaPvRmT3_T4_T5_mT6_P12ihipStream_tbENKUlT_T0_E_clISt17integral_constantIbLb0EESW_IbLb1EEEEDaSS_ST_EUlSS_E0_NS1_11comp_targetILNS1_3genE5ELNS1_11target_archE942ELNS1_3gpuE9ELNS1_3repE0EEENS1_30default_config_static_selectorELNS0_4arch9wavefront6targetE1EEEvT1_,@function
_ZN7rocprim17ROCPRIM_400000_NS6detail17trampoline_kernelINS0_14default_configENS1_20scan_config_selectorIdEEZZNS1_9scan_implILNS1_25lookback_scan_determinismE0ELb0ELb0ES3_N6thrust23THRUST_200600_302600_NS6detail15normal_iteratorINS9_10device_ptrIdEEEENS9_16discard_iteratorINS9_11use_defaultEEEd11max_functorIdEdEEDaPvRmT3_T4_T5_mT6_P12ihipStream_tbENKUlT_T0_E_clISt17integral_constantIbLb0EESW_IbLb1EEEEDaSS_ST_EUlSS_E0_NS1_11comp_targetILNS1_3genE5ELNS1_11target_archE942ELNS1_3gpuE9ELNS1_3repE0EEENS1_30default_config_static_selectorELNS0_4arch9wavefront6targetE1EEEvT1_: ; @_ZN7rocprim17ROCPRIM_400000_NS6detail17trampoline_kernelINS0_14default_configENS1_20scan_config_selectorIdEEZZNS1_9scan_implILNS1_25lookback_scan_determinismE0ELb0ELb0ES3_N6thrust23THRUST_200600_302600_NS6detail15normal_iteratorINS9_10device_ptrIdEEEENS9_16discard_iteratorINS9_11use_defaultEEEd11max_functorIdEdEEDaPvRmT3_T4_T5_mT6_P12ihipStream_tbENKUlT_T0_E_clISt17integral_constantIbLb0EESW_IbLb1EEEEDaSS_ST_EUlSS_E0_NS1_11comp_targetILNS1_3genE5ELNS1_11target_archE942ELNS1_3gpuE9ELNS1_3repE0EEENS1_30default_config_static_selectorELNS0_4arch9wavefront6targetE1EEEvT1_
; %bb.0:
	.section	.rodata,"a",@progbits
	.p2align	6, 0x0
	.amdhsa_kernel _ZN7rocprim17ROCPRIM_400000_NS6detail17trampoline_kernelINS0_14default_configENS1_20scan_config_selectorIdEEZZNS1_9scan_implILNS1_25lookback_scan_determinismE0ELb0ELb0ES3_N6thrust23THRUST_200600_302600_NS6detail15normal_iteratorINS9_10device_ptrIdEEEENS9_16discard_iteratorINS9_11use_defaultEEEd11max_functorIdEdEEDaPvRmT3_T4_T5_mT6_P12ihipStream_tbENKUlT_T0_E_clISt17integral_constantIbLb0EESW_IbLb1EEEEDaSS_ST_EUlSS_E0_NS1_11comp_targetILNS1_3genE5ELNS1_11target_archE942ELNS1_3gpuE9ELNS1_3repE0EEENS1_30default_config_static_selectorELNS0_4arch9wavefront6targetE1EEEvT1_
		.amdhsa_group_segment_fixed_size 0
		.amdhsa_private_segment_fixed_size 0
		.amdhsa_kernarg_size 48
		.amdhsa_user_sgpr_count 6
		.amdhsa_user_sgpr_private_segment_buffer 1
		.amdhsa_user_sgpr_dispatch_ptr 0
		.amdhsa_user_sgpr_queue_ptr 0
		.amdhsa_user_sgpr_kernarg_segment_ptr 1
		.amdhsa_user_sgpr_dispatch_id 0
		.amdhsa_user_sgpr_flat_scratch_init 0
		.amdhsa_user_sgpr_kernarg_preload_length 0
		.amdhsa_user_sgpr_kernarg_preload_offset 0
		.amdhsa_user_sgpr_private_segment_size 0
		.amdhsa_uses_dynamic_stack 0
		.amdhsa_system_sgpr_private_segment_wavefront_offset 0
		.amdhsa_system_sgpr_workgroup_id_x 1
		.amdhsa_system_sgpr_workgroup_id_y 0
		.amdhsa_system_sgpr_workgroup_id_z 0
		.amdhsa_system_sgpr_workgroup_info 0
		.amdhsa_system_vgpr_workitem_id 0
		.amdhsa_next_free_vgpr 1
		.amdhsa_next_free_sgpr 0
		.amdhsa_accum_offset 4
		.amdhsa_reserve_vcc 0
		.amdhsa_reserve_flat_scratch 0
		.amdhsa_float_round_mode_32 0
		.amdhsa_float_round_mode_16_64 0
		.amdhsa_float_denorm_mode_32 3
		.amdhsa_float_denorm_mode_16_64 3
		.amdhsa_dx10_clamp 1
		.amdhsa_ieee_mode 1
		.amdhsa_fp16_overflow 0
		.amdhsa_tg_split 0
		.amdhsa_exception_fp_ieee_invalid_op 0
		.amdhsa_exception_fp_denorm_src 0
		.amdhsa_exception_fp_ieee_div_zero 0
		.amdhsa_exception_fp_ieee_overflow 0
		.amdhsa_exception_fp_ieee_underflow 0
		.amdhsa_exception_fp_ieee_inexact 0
		.amdhsa_exception_int_div_zero 0
	.end_amdhsa_kernel
	.section	.text._ZN7rocprim17ROCPRIM_400000_NS6detail17trampoline_kernelINS0_14default_configENS1_20scan_config_selectorIdEEZZNS1_9scan_implILNS1_25lookback_scan_determinismE0ELb0ELb0ES3_N6thrust23THRUST_200600_302600_NS6detail15normal_iteratorINS9_10device_ptrIdEEEENS9_16discard_iteratorINS9_11use_defaultEEEd11max_functorIdEdEEDaPvRmT3_T4_T5_mT6_P12ihipStream_tbENKUlT_T0_E_clISt17integral_constantIbLb0EESW_IbLb1EEEEDaSS_ST_EUlSS_E0_NS1_11comp_targetILNS1_3genE5ELNS1_11target_archE942ELNS1_3gpuE9ELNS1_3repE0EEENS1_30default_config_static_selectorELNS0_4arch9wavefront6targetE1EEEvT1_,"axG",@progbits,_ZN7rocprim17ROCPRIM_400000_NS6detail17trampoline_kernelINS0_14default_configENS1_20scan_config_selectorIdEEZZNS1_9scan_implILNS1_25lookback_scan_determinismE0ELb0ELb0ES3_N6thrust23THRUST_200600_302600_NS6detail15normal_iteratorINS9_10device_ptrIdEEEENS9_16discard_iteratorINS9_11use_defaultEEEd11max_functorIdEdEEDaPvRmT3_T4_T5_mT6_P12ihipStream_tbENKUlT_T0_E_clISt17integral_constantIbLb0EESW_IbLb1EEEEDaSS_ST_EUlSS_E0_NS1_11comp_targetILNS1_3genE5ELNS1_11target_archE942ELNS1_3gpuE9ELNS1_3repE0EEENS1_30default_config_static_selectorELNS0_4arch9wavefront6targetE1EEEvT1_,comdat
.Lfunc_end3054:
	.size	_ZN7rocprim17ROCPRIM_400000_NS6detail17trampoline_kernelINS0_14default_configENS1_20scan_config_selectorIdEEZZNS1_9scan_implILNS1_25lookback_scan_determinismE0ELb0ELb0ES3_N6thrust23THRUST_200600_302600_NS6detail15normal_iteratorINS9_10device_ptrIdEEEENS9_16discard_iteratorINS9_11use_defaultEEEd11max_functorIdEdEEDaPvRmT3_T4_T5_mT6_P12ihipStream_tbENKUlT_T0_E_clISt17integral_constantIbLb0EESW_IbLb1EEEEDaSS_ST_EUlSS_E0_NS1_11comp_targetILNS1_3genE5ELNS1_11target_archE942ELNS1_3gpuE9ELNS1_3repE0EEENS1_30default_config_static_selectorELNS0_4arch9wavefront6targetE1EEEvT1_, .Lfunc_end3054-_ZN7rocprim17ROCPRIM_400000_NS6detail17trampoline_kernelINS0_14default_configENS1_20scan_config_selectorIdEEZZNS1_9scan_implILNS1_25lookback_scan_determinismE0ELb0ELb0ES3_N6thrust23THRUST_200600_302600_NS6detail15normal_iteratorINS9_10device_ptrIdEEEENS9_16discard_iteratorINS9_11use_defaultEEEd11max_functorIdEdEEDaPvRmT3_T4_T5_mT6_P12ihipStream_tbENKUlT_T0_E_clISt17integral_constantIbLb0EESW_IbLb1EEEEDaSS_ST_EUlSS_E0_NS1_11comp_targetILNS1_3genE5ELNS1_11target_archE942ELNS1_3gpuE9ELNS1_3repE0EEENS1_30default_config_static_selectorELNS0_4arch9wavefront6targetE1EEEvT1_
                                        ; -- End function
	.section	.AMDGPU.csdata,"",@progbits
; Kernel info:
; codeLenInByte = 0
; NumSgprs: 4
; NumVgprs: 0
; NumAgprs: 0
; TotalNumVgprs: 0
; ScratchSize: 0
; MemoryBound: 0
; FloatMode: 240
; IeeeMode: 1
; LDSByteSize: 0 bytes/workgroup (compile time only)
; SGPRBlocks: 0
; VGPRBlocks: 0
; NumSGPRsForWavesPerEU: 4
; NumVGPRsForWavesPerEU: 1
; AccumOffset: 4
; Occupancy: 8
; WaveLimiterHint : 0
; COMPUTE_PGM_RSRC2:SCRATCH_EN: 0
; COMPUTE_PGM_RSRC2:USER_SGPR: 6
; COMPUTE_PGM_RSRC2:TRAP_HANDLER: 0
; COMPUTE_PGM_RSRC2:TGID_X_EN: 1
; COMPUTE_PGM_RSRC2:TGID_Y_EN: 0
; COMPUTE_PGM_RSRC2:TGID_Z_EN: 0
; COMPUTE_PGM_RSRC2:TIDIG_COMP_CNT: 0
; COMPUTE_PGM_RSRC3_GFX90A:ACCUM_OFFSET: 0
; COMPUTE_PGM_RSRC3_GFX90A:TG_SPLIT: 0
	.section	.text._ZN7rocprim17ROCPRIM_400000_NS6detail17trampoline_kernelINS0_14default_configENS1_20scan_config_selectorIdEEZZNS1_9scan_implILNS1_25lookback_scan_determinismE0ELb0ELb0ES3_N6thrust23THRUST_200600_302600_NS6detail15normal_iteratorINS9_10device_ptrIdEEEENS9_16discard_iteratorINS9_11use_defaultEEEd11max_functorIdEdEEDaPvRmT3_T4_T5_mT6_P12ihipStream_tbENKUlT_T0_E_clISt17integral_constantIbLb0EESW_IbLb1EEEEDaSS_ST_EUlSS_E0_NS1_11comp_targetILNS1_3genE4ELNS1_11target_archE910ELNS1_3gpuE8ELNS1_3repE0EEENS1_30default_config_static_selectorELNS0_4arch9wavefront6targetE1EEEvT1_,"axG",@progbits,_ZN7rocprim17ROCPRIM_400000_NS6detail17trampoline_kernelINS0_14default_configENS1_20scan_config_selectorIdEEZZNS1_9scan_implILNS1_25lookback_scan_determinismE0ELb0ELb0ES3_N6thrust23THRUST_200600_302600_NS6detail15normal_iteratorINS9_10device_ptrIdEEEENS9_16discard_iteratorINS9_11use_defaultEEEd11max_functorIdEdEEDaPvRmT3_T4_T5_mT6_P12ihipStream_tbENKUlT_T0_E_clISt17integral_constantIbLb0EESW_IbLb1EEEEDaSS_ST_EUlSS_E0_NS1_11comp_targetILNS1_3genE4ELNS1_11target_archE910ELNS1_3gpuE8ELNS1_3repE0EEENS1_30default_config_static_selectorELNS0_4arch9wavefront6targetE1EEEvT1_,comdat
	.protected	_ZN7rocprim17ROCPRIM_400000_NS6detail17trampoline_kernelINS0_14default_configENS1_20scan_config_selectorIdEEZZNS1_9scan_implILNS1_25lookback_scan_determinismE0ELb0ELb0ES3_N6thrust23THRUST_200600_302600_NS6detail15normal_iteratorINS9_10device_ptrIdEEEENS9_16discard_iteratorINS9_11use_defaultEEEd11max_functorIdEdEEDaPvRmT3_T4_T5_mT6_P12ihipStream_tbENKUlT_T0_E_clISt17integral_constantIbLb0EESW_IbLb1EEEEDaSS_ST_EUlSS_E0_NS1_11comp_targetILNS1_3genE4ELNS1_11target_archE910ELNS1_3gpuE8ELNS1_3repE0EEENS1_30default_config_static_selectorELNS0_4arch9wavefront6targetE1EEEvT1_ ; -- Begin function _ZN7rocprim17ROCPRIM_400000_NS6detail17trampoline_kernelINS0_14default_configENS1_20scan_config_selectorIdEEZZNS1_9scan_implILNS1_25lookback_scan_determinismE0ELb0ELb0ES3_N6thrust23THRUST_200600_302600_NS6detail15normal_iteratorINS9_10device_ptrIdEEEENS9_16discard_iteratorINS9_11use_defaultEEEd11max_functorIdEdEEDaPvRmT3_T4_T5_mT6_P12ihipStream_tbENKUlT_T0_E_clISt17integral_constantIbLb0EESW_IbLb1EEEEDaSS_ST_EUlSS_E0_NS1_11comp_targetILNS1_3genE4ELNS1_11target_archE910ELNS1_3gpuE8ELNS1_3repE0EEENS1_30default_config_static_selectorELNS0_4arch9wavefront6targetE1EEEvT1_
	.globl	_ZN7rocprim17ROCPRIM_400000_NS6detail17trampoline_kernelINS0_14default_configENS1_20scan_config_selectorIdEEZZNS1_9scan_implILNS1_25lookback_scan_determinismE0ELb0ELb0ES3_N6thrust23THRUST_200600_302600_NS6detail15normal_iteratorINS9_10device_ptrIdEEEENS9_16discard_iteratorINS9_11use_defaultEEEd11max_functorIdEdEEDaPvRmT3_T4_T5_mT6_P12ihipStream_tbENKUlT_T0_E_clISt17integral_constantIbLb0EESW_IbLb1EEEEDaSS_ST_EUlSS_E0_NS1_11comp_targetILNS1_3genE4ELNS1_11target_archE910ELNS1_3gpuE8ELNS1_3repE0EEENS1_30default_config_static_selectorELNS0_4arch9wavefront6targetE1EEEvT1_
	.p2align	8
	.type	_ZN7rocprim17ROCPRIM_400000_NS6detail17trampoline_kernelINS0_14default_configENS1_20scan_config_selectorIdEEZZNS1_9scan_implILNS1_25lookback_scan_determinismE0ELb0ELb0ES3_N6thrust23THRUST_200600_302600_NS6detail15normal_iteratorINS9_10device_ptrIdEEEENS9_16discard_iteratorINS9_11use_defaultEEEd11max_functorIdEdEEDaPvRmT3_T4_T5_mT6_P12ihipStream_tbENKUlT_T0_E_clISt17integral_constantIbLb0EESW_IbLb1EEEEDaSS_ST_EUlSS_E0_NS1_11comp_targetILNS1_3genE4ELNS1_11target_archE910ELNS1_3gpuE8ELNS1_3repE0EEENS1_30default_config_static_selectorELNS0_4arch9wavefront6targetE1EEEvT1_,@function
_ZN7rocprim17ROCPRIM_400000_NS6detail17trampoline_kernelINS0_14default_configENS1_20scan_config_selectorIdEEZZNS1_9scan_implILNS1_25lookback_scan_determinismE0ELb0ELb0ES3_N6thrust23THRUST_200600_302600_NS6detail15normal_iteratorINS9_10device_ptrIdEEEENS9_16discard_iteratorINS9_11use_defaultEEEd11max_functorIdEdEEDaPvRmT3_T4_T5_mT6_P12ihipStream_tbENKUlT_T0_E_clISt17integral_constantIbLb0EESW_IbLb1EEEEDaSS_ST_EUlSS_E0_NS1_11comp_targetILNS1_3genE4ELNS1_11target_archE910ELNS1_3gpuE8ELNS1_3repE0EEENS1_30default_config_static_selectorELNS0_4arch9wavefront6targetE1EEEvT1_: ; @_ZN7rocprim17ROCPRIM_400000_NS6detail17trampoline_kernelINS0_14default_configENS1_20scan_config_selectorIdEEZZNS1_9scan_implILNS1_25lookback_scan_determinismE0ELb0ELb0ES3_N6thrust23THRUST_200600_302600_NS6detail15normal_iteratorINS9_10device_ptrIdEEEENS9_16discard_iteratorINS9_11use_defaultEEEd11max_functorIdEdEEDaPvRmT3_T4_T5_mT6_P12ihipStream_tbENKUlT_T0_E_clISt17integral_constantIbLb0EESW_IbLb1EEEEDaSS_ST_EUlSS_E0_NS1_11comp_targetILNS1_3genE4ELNS1_11target_archE910ELNS1_3gpuE8ELNS1_3repE0EEENS1_30default_config_static_selectorELNS0_4arch9wavefront6targetE1EEEvT1_
; %bb.0:
	s_load_dwordx4 s[0:3], s[4:5], 0x0
	v_lshlrev_b32_e32 v1, 3, v0
	s_waitcnt lgkmcnt(0)
	s_load_dwordx2 s[4:5], s[0:1], 0x0
	v_cmp_gt_u32_e32 vcc, s2, v0
	s_waitcnt lgkmcnt(0)
	v_pk_mov_b32 v[2:3], s[4:5], s[4:5] op_sel:[0,1]
	s_and_saveexec_b64 s[6:7], vcc
	s_cbranch_execz .LBB3055_2
; %bb.1:
	global_load_dwordx2 v[2:3], v1, s[0:1]
.LBB3055_2:
	s_or_b64 exec, exec, s[6:7]
	v_or_b32_e32 v4, 0x80, v0
	v_cmp_gt_u32_e32 vcc, s2, v4
	v_pk_mov_b32 v[4:5], s[4:5], s[4:5] op_sel:[0,1]
	s_and_saveexec_b64 s[6:7], vcc
	s_cbranch_execz .LBB3055_4
; %bb.3:
	global_load_dwordx2 v[4:5], v1, s[0:1] offset:1024
.LBB3055_4:
	s_or_b64 exec, exec, s[6:7]
	v_or_b32_e32 v6, 0x100, v0
	v_cmp_gt_u32_e32 vcc, s2, v6
	v_pk_mov_b32 v[6:7], s[4:5], s[4:5] op_sel:[0,1]
	s_and_saveexec_b64 s[6:7], vcc
	s_cbranch_execz .LBB3055_6
; %bb.5:
	global_load_dwordx2 v[6:7], v1, s[0:1] offset:2048
.LBB3055_6:
	;; [unrolled: 9-line block ×3, first 2 shown]
	s_or_b64 exec, exec, s[6:7]
	v_or_b32_e32 v12, 0x200, v0
	v_cmp_gt_u32_e32 vcc, s2, v12
	v_pk_mov_b32 v[10:11], s[4:5], s[4:5] op_sel:[0,1]
	s_and_saveexec_b64 s[6:7], vcc
	s_cbranch_execz .LBB3055_10
; %bb.9:
	v_lshlrev_b32_e32 v10, 3, v12
	global_load_dwordx2 v[10:11], v10, s[0:1]
.LBB3055_10:
	s_or_b64 exec, exec, s[6:7]
	v_or_b32_e32 v14, 0x280, v0
	v_cmp_gt_u32_e32 vcc, s2, v14
	v_pk_mov_b32 v[12:13], s[4:5], s[4:5] op_sel:[0,1]
	s_and_saveexec_b64 s[6:7], vcc
	s_cbranch_execz .LBB3055_12
; %bb.11:
	v_lshlrev_b32_e32 v12, 3, v14
	global_load_dwordx2 v[12:13], v12, s[0:1]
.LBB3055_12:
	;; [unrolled: 10-line block ×6, first 2 shown]
	s_or_b64 exec, exec, s[2:3]
	s_movk_i32 s0, 0x48
	s_waitcnt vmcnt(0)
	ds_write2st64_b64 v1, v[2:3], v[4:5] offset1:2
	ds_write2st64_b64 v1, v[6:7], v[8:9] offset0:4 offset1:6
	ds_write2st64_b64 v1, v[10:11], v[12:13] offset0:8 offset1:10
	;; [unrolled: 1-line block ×4, first 2 shown]
	v_mad_u32_u24 v14, v0, s0, v1
	s_waitcnt lgkmcnt(0)
	s_barrier
	ds_read_b128 v[2:5], v14
	ds_read_b128 v[18:21], v14 offset:16
	ds_read_b128 v[10:13], v14 offset:32
	;; [unrolled: 1-line block ×4, first 2 shown]
	s_waitcnt lgkmcnt(4)
	v_cmp_lt_f64_e32 vcc, v[2:3], v[4:5]
	v_cndmask_b32_e32 v23, v3, v5, vcc
	v_cndmask_b32_e32 v22, v2, v4, vcc
	s_waitcnt lgkmcnt(3)
	v_cmp_lt_f64_e32 vcc, v[22:23], v[18:19]
	v_cndmask_b32_e32 v23, v23, v19, vcc
	v_cndmask_b32_e32 v22, v22, v18, vcc
	v_cmp_lt_f64_e32 vcc, v[22:23], v[20:21]
	v_cndmask_b32_e32 v23, v23, v21, vcc
	v_cndmask_b32_e32 v22, v22, v20, vcc
	s_waitcnt lgkmcnt(2)
	v_cmp_lt_f64_e32 vcc, v[22:23], v[10:11]
	v_cndmask_b32_e32 v23, v23, v11, vcc
	v_cndmask_b32_e32 v22, v22, v10, vcc
	;; [unrolled: 7-line block ×4, first 2 shown]
	v_mbcnt_lo_u32_b32 v24, -1, 0
	v_cmp_lt_f64_e32 vcc, v[22:23], v[16:17]
	v_mbcnt_hi_u32_b32 v26, -1, v24
	v_cndmask_b32_e32 v23, v23, v17, vcc
	v_cndmask_b32_e32 v22, v22, v16, vcc
	v_and_b32_e32 v27, 15, v26
	v_mov_b32_dpp v25, v23 row_shr:1 row_mask:0xf bank_mask:0xf
	v_mov_b32_dpp v24, v22 row_shr:1 row_mask:0xf bank_mask:0xf
	v_cmp_ne_u32_e32 vcc, 0, v27
	s_barrier
	s_and_saveexec_b64 s[0:1], vcc
; %bb.21:
	v_cmp_gt_f64_e32 vcc, v[22:23], v[24:25]
	v_cndmask_b32_e32 v23, v25, v23, vcc
	v_cndmask_b32_e32 v22, v24, v22, vcc
; %bb.22:
	s_or_b64 exec, exec, s[0:1]
	s_nop 0
	v_mov_b32_dpp v24, v22 row_shr:2 row_mask:0xf bank_mask:0xf
	v_mov_b32_dpp v25, v23 row_shr:2 row_mask:0xf bank_mask:0xf
	v_cmp_lt_u32_e32 vcc, 1, v27
	s_and_saveexec_b64 s[0:1], vcc
; %bb.23:
	v_cmp_gt_f64_e32 vcc, v[22:23], v[24:25]
	v_cndmask_b32_e32 v23, v25, v23, vcc
	v_cndmask_b32_e32 v22, v24, v22, vcc
; %bb.24:
	s_or_b64 exec, exec, s[0:1]
	s_nop 0
	v_mov_b32_dpp v24, v22 row_shr:4 row_mask:0xf bank_mask:0xf
	v_mov_b32_dpp v25, v23 row_shr:4 row_mask:0xf bank_mask:0xf
	v_cmp_lt_u32_e32 vcc, 3, v27
	;; [unrolled: 11-line block ×3, first 2 shown]
	s_and_saveexec_b64 s[0:1], vcc
; %bb.27:
	v_cmp_gt_f64_e32 vcc, v[22:23], v[24:25]
	v_cndmask_b32_e32 v23, v25, v23, vcc
	v_cndmask_b32_e32 v22, v24, v22, vcc
; %bb.28:
	s_or_b64 exec, exec, s[0:1]
	v_and_b32_e32 v27, 16, v26
	v_mov_b32_dpp v24, v22 row_bcast:15 row_mask:0xf bank_mask:0xf
	v_mov_b32_dpp v25, v23 row_bcast:15 row_mask:0xf bank_mask:0xf
	v_cmp_ne_u32_e32 vcc, 0, v27
	s_and_saveexec_b64 s[0:1], vcc
; %bb.29:
	v_cmp_gt_f64_e32 vcc, v[22:23], v[24:25]
	v_cndmask_b32_e32 v23, v25, v23, vcc
	v_cndmask_b32_e32 v22, v24, v22, vcc
; %bb.30:
	s_or_b64 exec, exec, s[0:1]
	s_nop 0
	v_mov_b32_dpp v24, v22 row_bcast:31 row_mask:0xf bank_mask:0xf
	v_mov_b32_dpp v25, v23 row_bcast:31 row_mask:0xf bank_mask:0xf
	v_cmp_gt_f64_e32 vcc, v[22:23], v[24:25]
	v_cndmask_b32_e32 v24, v24, v22, vcc
	v_cndmask_b32_e32 v25, v25, v23, vcc
	v_cmp_lt_u32_e32 vcc, 31, v26
	v_cndmask_b32_e32 v22, v22, v24, vcc
	v_or_b32_e32 v24, 63, v0
	v_cndmask_b32_e32 v23, v23, v25, vcc
	v_lshrrev_b32_e32 v27, 6, v0
	v_cmp_eq_u32_e32 vcc, v24, v0
	s_and_saveexec_b64 s[0:1], vcc
	s_cbranch_execz .LBB3055_32
; %bb.31:
	v_lshlrev_b32_e32 v24, 3, v27
	ds_write_b64 v24, v[22:23]
.LBB3055_32:
	s_or_b64 exec, exec, s[0:1]
	v_cmp_gt_u32_e32 vcc, 2, v0
	s_waitcnt lgkmcnt(0)
	s_barrier
	s_and_saveexec_b64 s[2:3], vcc
	s_cbranch_execz .LBB3055_34
; %bb.33:
	ds_read_b64 v[24:25], v1
	v_and_b32_e32 v28, 1, v26
	v_cmp_eq_u32_e32 vcc, 0, v28
	s_waitcnt lgkmcnt(0)
	v_mov_b32_dpp v30, v25 row_shr:1 row_mask:0xf bank_mask:0xf
	v_mov_b32_dpp v28, v24 row_shr:1 row_mask:0xf bank_mask:0xf
	v_mov_b32_e32 v29, v30
	v_cmp_gt_f64_e64 s[0:1], v[24:25], v[28:29]
	s_or_b64 vcc, vcc, s[0:1]
	v_cndmask_b32_e32 v25, v30, v25, vcc
	v_cndmask_b32_e32 v24, v28, v24, vcc
	ds_write_b64 v1, v[24:25]
.LBB3055_34:
	s_or_b64 exec, exec, s[2:3]
	v_cmp_lt_u32_e32 vcc, 63, v0
	s_waitcnt lgkmcnt(0)
	s_barrier
	s_waitcnt lgkmcnt(0)
                                        ; implicit-def: $vgpr24_vgpr25
	s_and_saveexec_b64 s[0:1], vcc
	s_cbranch_execz .LBB3055_36
; %bb.35:
	v_lshl_add_u32 v24, v27, 3, -8
	ds_read_b64 v[24:25], v24
	s_waitcnt lgkmcnt(0)
	v_cmp_lt_f64_e32 vcc, v[24:25], v[22:23]
	v_cndmask_b32_e32 v23, v25, v23, vcc
	v_cndmask_b32_e32 v22, v24, v22, vcc
.LBB3055_36:
	s_or_b64 exec, exec, s[0:1]
	v_add_u32_e32 v27, -1, v26
	v_and_b32_e32 v28, 64, v26
	v_cmp_lt_i32_e32 vcc, v27, v28
	v_cndmask_b32_e32 v27, v27, v26, vcc
	v_lshlrev_b32_e32 v28, 2, v27
	ds_bpermute_b32 v27, v28, v22
	ds_bpermute_b32 v23, v28, v23
	v_mul_u32_u24_e32 v22, 0x48, v0
	v_cmp_ne_u32_e32 vcc, 0, v0
	s_and_saveexec_b64 s[0:1], vcc
	s_cbranch_execz .LBB3055_38
; %bb.37:
	v_cmp_eq_u32_e32 vcc, 0, v26
	s_waitcnt lgkmcnt(0)
	v_cndmask_b32_e32 v25, v23, v25, vcc
	v_cndmask_b32_e32 v24, v27, v24, vcc
	v_cmp_gt_f64_e32 vcc, v[2:3], v[24:25]
	v_cndmask_b32_e32 v3, v25, v3, vcc
	v_cndmask_b32_e32 v2, v24, v2, vcc
	;;#ASMSTART
	;;#ASMEND
.LBB3055_38:
	s_or_b64 exec, exec, s[0:1]
	v_cmp_gt_f64_e32 vcc, v[4:5], v[2:3]
	v_cndmask_b32_e32 v5, v3, v5, vcc
	v_cndmask_b32_e32 v4, v2, v4, vcc
	v_cmp_lt_f64_e32 vcc, v[4:5], v[18:19]
	v_cndmask_b32_e32 v19, v5, v19, vcc
	v_cndmask_b32_e32 v18, v4, v18, vcc
	v_cmp_lt_f64_e32 vcc, v[18:19], v[20:21]
	;; [unrolled: 3-line block ×8, first 2 shown]
	v_add_u32_e32 v0, v1, v22
	v_cndmask_b32_e32 v17, v15, v17, vcc
	v_cndmask_b32_e32 v16, v14, v16, vcc
	s_waitcnt lgkmcnt(0)
	s_barrier
	ds_write_b128 v0, v[2:5]
	ds_write_b128 v0, v[18:21] offset:16
	ds_write_b128 v0, v[10:13] offset:32
	ds_write_b128 v0, v[6:9] offset:48
	ds_write_b128 v0, v[14:17] offset:64
	s_waitcnt lgkmcnt(0)
	s_barrier
	s_endpgm
	.section	.rodata,"a",@progbits
	.p2align	6, 0x0
	.amdhsa_kernel _ZN7rocprim17ROCPRIM_400000_NS6detail17trampoline_kernelINS0_14default_configENS1_20scan_config_selectorIdEEZZNS1_9scan_implILNS1_25lookback_scan_determinismE0ELb0ELb0ES3_N6thrust23THRUST_200600_302600_NS6detail15normal_iteratorINS9_10device_ptrIdEEEENS9_16discard_iteratorINS9_11use_defaultEEEd11max_functorIdEdEEDaPvRmT3_T4_T5_mT6_P12ihipStream_tbENKUlT_T0_E_clISt17integral_constantIbLb0EESW_IbLb1EEEEDaSS_ST_EUlSS_E0_NS1_11comp_targetILNS1_3genE4ELNS1_11target_archE910ELNS1_3gpuE8ELNS1_3repE0EEENS1_30default_config_static_selectorELNS0_4arch9wavefront6targetE1EEEvT1_
		.amdhsa_group_segment_fixed_size 10240
		.amdhsa_private_segment_fixed_size 0
		.amdhsa_kernarg_size 48
		.amdhsa_user_sgpr_count 6
		.amdhsa_user_sgpr_private_segment_buffer 1
		.amdhsa_user_sgpr_dispatch_ptr 0
		.amdhsa_user_sgpr_queue_ptr 0
		.amdhsa_user_sgpr_kernarg_segment_ptr 1
		.amdhsa_user_sgpr_dispatch_id 0
		.amdhsa_user_sgpr_flat_scratch_init 0
		.amdhsa_user_sgpr_kernarg_preload_length 0
		.amdhsa_user_sgpr_kernarg_preload_offset 0
		.amdhsa_user_sgpr_private_segment_size 0
		.amdhsa_uses_dynamic_stack 0
		.amdhsa_system_sgpr_private_segment_wavefront_offset 0
		.amdhsa_system_sgpr_workgroup_id_x 1
		.amdhsa_system_sgpr_workgroup_id_y 0
		.amdhsa_system_sgpr_workgroup_id_z 0
		.amdhsa_system_sgpr_workgroup_info 0
		.amdhsa_system_vgpr_workitem_id 0
		.amdhsa_next_free_vgpr 31
		.amdhsa_next_free_sgpr 8
		.amdhsa_accum_offset 32
		.amdhsa_reserve_vcc 1
		.amdhsa_reserve_flat_scratch 0
		.amdhsa_float_round_mode_32 0
		.amdhsa_float_round_mode_16_64 0
		.amdhsa_float_denorm_mode_32 3
		.amdhsa_float_denorm_mode_16_64 3
		.amdhsa_dx10_clamp 1
		.amdhsa_ieee_mode 1
		.amdhsa_fp16_overflow 0
		.amdhsa_tg_split 0
		.amdhsa_exception_fp_ieee_invalid_op 0
		.amdhsa_exception_fp_denorm_src 0
		.amdhsa_exception_fp_ieee_div_zero 0
		.amdhsa_exception_fp_ieee_overflow 0
		.amdhsa_exception_fp_ieee_underflow 0
		.amdhsa_exception_fp_ieee_inexact 0
		.amdhsa_exception_int_div_zero 0
	.end_amdhsa_kernel
	.section	.text._ZN7rocprim17ROCPRIM_400000_NS6detail17trampoline_kernelINS0_14default_configENS1_20scan_config_selectorIdEEZZNS1_9scan_implILNS1_25lookback_scan_determinismE0ELb0ELb0ES3_N6thrust23THRUST_200600_302600_NS6detail15normal_iteratorINS9_10device_ptrIdEEEENS9_16discard_iteratorINS9_11use_defaultEEEd11max_functorIdEdEEDaPvRmT3_T4_T5_mT6_P12ihipStream_tbENKUlT_T0_E_clISt17integral_constantIbLb0EESW_IbLb1EEEEDaSS_ST_EUlSS_E0_NS1_11comp_targetILNS1_3genE4ELNS1_11target_archE910ELNS1_3gpuE8ELNS1_3repE0EEENS1_30default_config_static_selectorELNS0_4arch9wavefront6targetE1EEEvT1_,"axG",@progbits,_ZN7rocprim17ROCPRIM_400000_NS6detail17trampoline_kernelINS0_14default_configENS1_20scan_config_selectorIdEEZZNS1_9scan_implILNS1_25lookback_scan_determinismE0ELb0ELb0ES3_N6thrust23THRUST_200600_302600_NS6detail15normal_iteratorINS9_10device_ptrIdEEEENS9_16discard_iteratorINS9_11use_defaultEEEd11max_functorIdEdEEDaPvRmT3_T4_T5_mT6_P12ihipStream_tbENKUlT_T0_E_clISt17integral_constantIbLb0EESW_IbLb1EEEEDaSS_ST_EUlSS_E0_NS1_11comp_targetILNS1_3genE4ELNS1_11target_archE910ELNS1_3gpuE8ELNS1_3repE0EEENS1_30default_config_static_selectorELNS0_4arch9wavefront6targetE1EEEvT1_,comdat
.Lfunc_end3055:
	.size	_ZN7rocprim17ROCPRIM_400000_NS6detail17trampoline_kernelINS0_14default_configENS1_20scan_config_selectorIdEEZZNS1_9scan_implILNS1_25lookback_scan_determinismE0ELb0ELb0ES3_N6thrust23THRUST_200600_302600_NS6detail15normal_iteratorINS9_10device_ptrIdEEEENS9_16discard_iteratorINS9_11use_defaultEEEd11max_functorIdEdEEDaPvRmT3_T4_T5_mT6_P12ihipStream_tbENKUlT_T0_E_clISt17integral_constantIbLb0EESW_IbLb1EEEEDaSS_ST_EUlSS_E0_NS1_11comp_targetILNS1_3genE4ELNS1_11target_archE910ELNS1_3gpuE8ELNS1_3repE0EEENS1_30default_config_static_selectorELNS0_4arch9wavefront6targetE1EEEvT1_, .Lfunc_end3055-_ZN7rocprim17ROCPRIM_400000_NS6detail17trampoline_kernelINS0_14default_configENS1_20scan_config_selectorIdEEZZNS1_9scan_implILNS1_25lookback_scan_determinismE0ELb0ELb0ES3_N6thrust23THRUST_200600_302600_NS6detail15normal_iteratorINS9_10device_ptrIdEEEENS9_16discard_iteratorINS9_11use_defaultEEEd11max_functorIdEdEEDaPvRmT3_T4_T5_mT6_P12ihipStream_tbENKUlT_T0_E_clISt17integral_constantIbLb0EESW_IbLb1EEEEDaSS_ST_EUlSS_E0_NS1_11comp_targetILNS1_3genE4ELNS1_11target_archE910ELNS1_3gpuE8ELNS1_3repE0EEENS1_30default_config_static_selectorELNS0_4arch9wavefront6targetE1EEEvT1_
                                        ; -- End function
	.section	.AMDGPU.csdata,"",@progbits
; Kernel info:
; codeLenInByte = 1408
; NumSgprs: 12
; NumVgprs: 31
; NumAgprs: 0
; TotalNumVgprs: 31
; ScratchSize: 0
; MemoryBound: 0
; FloatMode: 240
; IeeeMode: 1
; LDSByteSize: 10240 bytes/workgroup (compile time only)
; SGPRBlocks: 1
; VGPRBlocks: 3
; NumSGPRsForWavesPerEU: 12
; NumVGPRsForWavesPerEU: 31
; AccumOffset: 32
; Occupancy: 3
; WaveLimiterHint : 0
; COMPUTE_PGM_RSRC2:SCRATCH_EN: 0
; COMPUTE_PGM_RSRC2:USER_SGPR: 6
; COMPUTE_PGM_RSRC2:TRAP_HANDLER: 0
; COMPUTE_PGM_RSRC2:TGID_X_EN: 1
; COMPUTE_PGM_RSRC2:TGID_Y_EN: 0
; COMPUTE_PGM_RSRC2:TGID_Z_EN: 0
; COMPUTE_PGM_RSRC2:TIDIG_COMP_CNT: 0
; COMPUTE_PGM_RSRC3_GFX90A:ACCUM_OFFSET: 7
; COMPUTE_PGM_RSRC3_GFX90A:TG_SPLIT: 0
	.section	.text._ZN7rocprim17ROCPRIM_400000_NS6detail17trampoline_kernelINS0_14default_configENS1_20scan_config_selectorIdEEZZNS1_9scan_implILNS1_25lookback_scan_determinismE0ELb0ELb0ES3_N6thrust23THRUST_200600_302600_NS6detail15normal_iteratorINS9_10device_ptrIdEEEENS9_16discard_iteratorINS9_11use_defaultEEEd11max_functorIdEdEEDaPvRmT3_T4_T5_mT6_P12ihipStream_tbENKUlT_T0_E_clISt17integral_constantIbLb0EESW_IbLb1EEEEDaSS_ST_EUlSS_E0_NS1_11comp_targetILNS1_3genE3ELNS1_11target_archE908ELNS1_3gpuE7ELNS1_3repE0EEENS1_30default_config_static_selectorELNS0_4arch9wavefront6targetE1EEEvT1_,"axG",@progbits,_ZN7rocprim17ROCPRIM_400000_NS6detail17trampoline_kernelINS0_14default_configENS1_20scan_config_selectorIdEEZZNS1_9scan_implILNS1_25lookback_scan_determinismE0ELb0ELb0ES3_N6thrust23THRUST_200600_302600_NS6detail15normal_iteratorINS9_10device_ptrIdEEEENS9_16discard_iteratorINS9_11use_defaultEEEd11max_functorIdEdEEDaPvRmT3_T4_T5_mT6_P12ihipStream_tbENKUlT_T0_E_clISt17integral_constantIbLb0EESW_IbLb1EEEEDaSS_ST_EUlSS_E0_NS1_11comp_targetILNS1_3genE3ELNS1_11target_archE908ELNS1_3gpuE7ELNS1_3repE0EEENS1_30default_config_static_selectorELNS0_4arch9wavefront6targetE1EEEvT1_,comdat
	.protected	_ZN7rocprim17ROCPRIM_400000_NS6detail17trampoline_kernelINS0_14default_configENS1_20scan_config_selectorIdEEZZNS1_9scan_implILNS1_25lookback_scan_determinismE0ELb0ELb0ES3_N6thrust23THRUST_200600_302600_NS6detail15normal_iteratorINS9_10device_ptrIdEEEENS9_16discard_iteratorINS9_11use_defaultEEEd11max_functorIdEdEEDaPvRmT3_T4_T5_mT6_P12ihipStream_tbENKUlT_T0_E_clISt17integral_constantIbLb0EESW_IbLb1EEEEDaSS_ST_EUlSS_E0_NS1_11comp_targetILNS1_3genE3ELNS1_11target_archE908ELNS1_3gpuE7ELNS1_3repE0EEENS1_30default_config_static_selectorELNS0_4arch9wavefront6targetE1EEEvT1_ ; -- Begin function _ZN7rocprim17ROCPRIM_400000_NS6detail17trampoline_kernelINS0_14default_configENS1_20scan_config_selectorIdEEZZNS1_9scan_implILNS1_25lookback_scan_determinismE0ELb0ELb0ES3_N6thrust23THRUST_200600_302600_NS6detail15normal_iteratorINS9_10device_ptrIdEEEENS9_16discard_iteratorINS9_11use_defaultEEEd11max_functorIdEdEEDaPvRmT3_T4_T5_mT6_P12ihipStream_tbENKUlT_T0_E_clISt17integral_constantIbLb0EESW_IbLb1EEEEDaSS_ST_EUlSS_E0_NS1_11comp_targetILNS1_3genE3ELNS1_11target_archE908ELNS1_3gpuE7ELNS1_3repE0EEENS1_30default_config_static_selectorELNS0_4arch9wavefront6targetE1EEEvT1_
	.globl	_ZN7rocprim17ROCPRIM_400000_NS6detail17trampoline_kernelINS0_14default_configENS1_20scan_config_selectorIdEEZZNS1_9scan_implILNS1_25lookback_scan_determinismE0ELb0ELb0ES3_N6thrust23THRUST_200600_302600_NS6detail15normal_iteratorINS9_10device_ptrIdEEEENS9_16discard_iteratorINS9_11use_defaultEEEd11max_functorIdEdEEDaPvRmT3_T4_T5_mT6_P12ihipStream_tbENKUlT_T0_E_clISt17integral_constantIbLb0EESW_IbLb1EEEEDaSS_ST_EUlSS_E0_NS1_11comp_targetILNS1_3genE3ELNS1_11target_archE908ELNS1_3gpuE7ELNS1_3repE0EEENS1_30default_config_static_selectorELNS0_4arch9wavefront6targetE1EEEvT1_
	.p2align	8
	.type	_ZN7rocprim17ROCPRIM_400000_NS6detail17trampoline_kernelINS0_14default_configENS1_20scan_config_selectorIdEEZZNS1_9scan_implILNS1_25lookback_scan_determinismE0ELb0ELb0ES3_N6thrust23THRUST_200600_302600_NS6detail15normal_iteratorINS9_10device_ptrIdEEEENS9_16discard_iteratorINS9_11use_defaultEEEd11max_functorIdEdEEDaPvRmT3_T4_T5_mT6_P12ihipStream_tbENKUlT_T0_E_clISt17integral_constantIbLb0EESW_IbLb1EEEEDaSS_ST_EUlSS_E0_NS1_11comp_targetILNS1_3genE3ELNS1_11target_archE908ELNS1_3gpuE7ELNS1_3repE0EEENS1_30default_config_static_selectorELNS0_4arch9wavefront6targetE1EEEvT1_,@function
_ZN7rocprim17ROCPRIM_400000_NS6detail17trampoline_kernelINS0_14default_configENS1_20scan_config_selectorIdEEZZNS1_9scan_implILNS1_25lookback_scan_determinismE0ELb0ELb0ES3_N6thrust23THRUST_200600_302600_NS6detail15normal_iteratorINS9_10device_ptrIdEEEENS9_16discard_iteratorINS9_11use_defaultEEEd11max_functorIdEdEEDaPvRmT3_T4_T5_mT6_P12ihipStream_tbENKUlT_T0_E_clISt17integral_constantIbLb0EESW_IbLb1EEEEDaSS_ST_EUlSS_E0_NS1_11comp_targetILNS1_3genE3ELNS1_11target_archE908ELNS1_3gpuE7ELNS1_3repE0EEENS1_30default_config_static_selectorELNS0_4arch9wavefront6targetE1EEEvT1_: ; @_ZN7rocprim17ROCPRIM_400000_NS6detail17trampoline_kernelINS0_14default_configENS1_20scan_config_selectorIdEEZZNS1_9scan_implILNS1_25lookback_scan_determinismE0ELb0ELb0ES3_N6thrust23THRUST_200600_302600_NS6detail15normal_iteratorINS9_10device_ptrIdEEEENS9_16discard_iteratorINS9_11use_defaultEEEd11max_functorIdEdEEDaPvRmT3_T4_T5_mT6_P12ihipStream_tbENKUlT_T0_E_clISt17integral_constantIbLb0EESW_IbLb1EEEEDaSS_ST_EUlSS_E0_NS1_11comp_targetILNS1_3genE3ELNS1_11target_archE908ELNS1_3gpuE7ELNS1_3repE0EEENS1_30default_config_static_selectorELNS0_4arch9wavefront6targetE1EEEvT1_
; %bb.0:
	.section	.rodata,"a",@progbits
	.p2align	6, 0x0
	.amdhsa_kernel _ZN7rocprim17ROCPRIM_400000_NS6detail17trampoline_kernelINS0_14default_configENS1_20scan_config_selectorIdEEZZNS1_9scan_implILNS1_25lookback_scan_determinismE0ELb0ELb0ES3_N6thrust23THRUST_200600_302600_NS6detail15normal_iteratorINS9_10device_ptrIdEEEENS9_16discard_iteratorINS9_11use_defaultEEEd11max_functorIdEdEEDaPvRmT3_T4_T5_mT6_P12ihipStream_tbENKUlT_T0_E_clISt17integral_constantIbLb0EESW_IbLb1EEEEDaSS_ST_EUlSS_E0_NS1_11comp_targetILNS1_3genE3ELNS1_11target_archE908ELNS1_3gpuE7ELNS1_3repE0EEENS1_30default_config_static_selectorELNS0_4arch9wavefront6targetE1EEEvT1_
		.amdhsa_group_segment_fixed_size 0
		.amdhsa_private_segment_fixed_size 0
		.amdhsa_kernarg_size 48
		.amdhsa_user_sgpr_count 6
		.amdhsa_user_sgpr_private_segment_buffer 1
		.amdhsa_user_sgpr_dispatch_ptr 0
		.amdhsa_user_sgpr_queue_ptr 0
		.amdhsa_user_sgpr_kernarg_segment_ptr 1
		.amdhsa_user_sgpr_dispatch_id 0
		.amdhsa_user_sgpr_flat_scratch_init 0
		.amdhsa_user_sgpr_kernarg_preload_length 0
		.amdhsa_user_sgpr_kernarg_preload_offset 0
		.amdhsa_user_sgpr_private_segment_size 0
		.amdhsa_uses_dynamic_stack 0
		.amdhsa_system_sgpr_private_segment_wavefront_offset 0
		.amdhsa_system_sgpr_workgroup_id_x 1
		.amdhsa_system_sgpr_workgroup_id_y 0
		.amdhsa_system_sgpr_workgroup_id_z 0
		.amdhsa_system_sgpr_workgroup_info 0
		.amdhsa_system_vgpr_workitem_id 0
		.amdhsa_next_free_vgpr 1
		.amdhsa_next_free_sgpr 0
		.amdhsa_accum_offset 4
		.amdhsa_reserve_vcc 0
		.amdhsa_reserve_flat_scratch 0
		.amdhsa_float_round_mode_32 0
		.amdhsa_float_round_mode_16_64 0
		.amdhsa_float_denorm_mode_32 3
		.amdhsa_float_denorm_mode_16_64 3
		.amdhsa_dx10_clamp 1
		.amdhsa_ieee_mode 1
		.amdhsa_fp16_overflow 0
		.amdhsa_tg_split 0
		.amdhsa_exception_fp_ieee_invalid_op 0
		.amdhsa_exception_fp_denorm_src 0
		.amdhsa_exception_fp_ieee_div_zero 0
		.amdhsa_exception_fp_ieee_overflow 0
		.amdhsa_exception_fp_ieee_underflow 0
		.amdhsa_exception_fp_ieee_inexact 0
		.amdhsa_exception_int_div_zero 0
	.end_amdhsa_kernel
	.section	.text._ZN7rocprim17ROCPRIM_400000_NS6detail17trampoline_kernelINS0_14default_configENS1_20scan_config_selectorIdEEZZNS1_9scan_implILNS1_25lookback_scan_determinismE0ELb0ELb0ES3_N6thrust23THRUST_200600_302600_NS6detail15normal_iteratorINS9_10device_ptrIdEEEENS9_16discard_iteratorINS9_11use_defaultEEEd11max_functorIdEdEEDaPvRmT3_T4_T5_mT6_P12ihipStream_tbENKUlT_T0_E_clISt17integral_constantIbLb0EESW_IbLb1EEEEDaSS_ST_EUlSS_E0_NS1_11comp_targetILNS1_3genE3ELNS1_11target_archE908ELNS1_3gpuE7ELNS1_3repE0EEENS1_30default_config_static_selectorELNS0_4arch9wavefront6targetE1EEEvT1_,"axG",@progbits,_ZN7rocprim17ROCPRIM_400000_NS6detail17trampoline_kernelINS0_14default_configENS1_20scan_config_selectorIdEEZZNS1_9scan_implILNS1_25lookback_scan_determinismE0ELb0ELb0ES3_N6thrust23THRUST_200600_302600_NS6detail15normal_iteratorINS9_10device_ptrIdEEEENS9_16discard_iteratorINS9_11use_defaultEEEd11max_functorIdEdEEDaPvRmT3_T4_T5_mT6_P12ihipStream_tbENKUlT_T0_E_clISt17integral_constantIbLb0EESW_IbLb1EEEEDaSS_ST_EUlSS_E0_NS1_11comp_targetILNS1_3genE3ELNS1_11target_archE908ELNS1_3gpuE7ELNS1_3repE0EEENS1_30default_config_static_selectorELNS0_4arch9wavefront6targetE1EEEvT1_,comdat
.Lfunc_end3056:
	.size	_ZN7rocprim17ROCPRIM_400000_NS6detail17trampoline_kernelINS0_14default_configENS1_20scan_config_selectorIdEEZZNS1_9scan_implILNS1_25lookback_scan_determinismE0ELb0ELb0ES3_N6thrust23THRUST_200600_302600_NS6detail15normal_iteratorINS9_10device_ptrIdEEEENS9_16discard_iteratorINS9_11use_defaultEEEd11max_functorIdEdEEDaPvRmT3_T4_T5_mT6_P12ihipStream_tbENKUlT_T0_E_clISt17integral_constantIbLb0EESW_IbLb1EEEEDaSS_ST_EUlSS_E0_NS1_11comp_targetILNS1_3genE3ELNS1_11target_archE908ELNS1_3gpuE7ELNS1_3repE0EEENS1_30default_config_static_selectorELNS0_4arch9wavefront6targetE1EEEvT1_, .Lfunc_end3056-_ZN7rocprim17ROCPRIM_400000_NS6detail17trampoline_kernelINS0_14default_configENS1_20scan_config_selectorIdEEZZNS1_9scan_implILNS1_25lookback_scan_determinismE0ELb0ELb0ES3_N6thrust23THRUST_200600_302600_NS6detail15normal_iteratorINS9_10device_ptrIdEEEENS9_16discard_iteratorINS9_11use_defaultEEEd11max_functorIdEdEEDaPvRmT3_T4_T5_mT6_P12ihipStream_tbENKUlT_T0_E_clISt17integral_constantIbLb0EESW_IbLb1EEEEDaSS_ST_EUlSS_E0_NS1_11comp_targetILNS1_3genE3ELNS1_11target_archE908ELNS1_3gpuE7ELNS1_3repE0EEENS1_30default_config_static_selectorELNS0_4arch9wavefront6targetE1EEEvT1_
                                        ; -- End function
	.section	.AMDGPU.csdata,"",@progbits
; Kernel info:
; codeLenInByte = 0
; NumSgprs: 4
; NumVgprs: 0
; NumAgprs: 0
; TotalNumVgprs: 0
; ScratchSize: 0
; MemoryBound: 0
; FloatMode: 240
; IeeeMode: 1
; LDSByteSize: 0 bytes/workgroup (compile time only)
; SGPRBlocks: 0
; VGPRBlocks: 0
; NumSGPRsForWavesPerEU: 4
; NumVGPRsForWavesPerEU: 1
; AccumOffset: 4
; Occupancy: 8
; WaveLimiterHint : 0
; COMPUTE_PGM_RSRC2:SCRATCH_EN: 0
; COMPUTE_PGM_RSRC2:USER_SGPR: 6
; COMPUTE_PGM_RSRC2:TRAP_HANDLER: 0
; COMPUTE_PGM_RSRC2:TGID_X_EN: 1
; COMPUTE_PGM_RSRC2:TGID_Y_EN: 0
; COMPUTE_PGM_RSRC2:TGID_Z_EN: 0
; COMPUTE_PGM_RSRC2:TIDIG_COMP_CNT: 0
; COMPUTE_PGM_RSRC3_GFX90A:ACCUM_OFFSET: 0
; COMPUTE_PGM_RSRC3_GFX90A:TG_SPLIT: 0
	.section	.text._ZN7rocprim17ROCPRIM_400000_NS6detail17trampoline_kernelINS0_14default_configENS1_20scan_config_selectorIdEEZZNS1_9scan_implILNS1_25lookback_scan_determinismE0ELb0ELb0ES3_N6thrust23THRUST_200600_302600_NS6detail15normal_iteratorINS9_10device_ptrIdEEEENS9_16discard_iteratorINS9_11use_defaultEEEd11max_functorIdEdEEDaPvRmT3_T4_T5_mT6_P12ihipStream_tbENKUlT_T0_E_clISt17integral_constantIbLb0EESW_IbLb1EEEEDaSS_ST_EUlSS_E0_NS1_11comp_targetILNS1_3genE2ELNS1_11target_archE906ELNS1_3gpuE6ELNS1_3repE0EEENS1_30default_config_static_selectorELNS0_4arch9wavefront6targetE1EEEvT1_,"axG",@progbits,_ZN7rocprim17ROCPRIM_400000_NS6detail17trampoline_kernelINS0_14default_configENS1_20scan_config_selectorIdEEZZNS1_9scan_implILNS1_25lookback_scan_determinismE0ELb0ELb0ES3_N6thrust23THRUST_200600_302600_NS6detail15normal_iteratorINS9_10device_ptrIdEEEENS9_16discard_iteratorINS9_11use_defaultEEEd11max_functorIdEdEEDaPvRmT3_T4_T5_mT6_P12ihipStream_tbENKUlT_T0_E_clISt17integral_constantIbLb0EESW_IbLb1EEEEDaSS_ST_EUlSS_E0_NS1_11comp_targetILNS1_3genE2ELNS1_11target_archE906ELNS1_3gpuE6ELNS1_3repE0EEENS1_30default_config_static_selectorELNS0_4arch9wavefront6targetE1EEEvT1_,comdat
	.protected	_ZN7rocprim17ROCPRIM_400000_NS6detail17trampoline_kernelINS0_14default_configENS1_20scan_config_selectorIdEEZZNS1_9scan_implILNS1_25lookback_scan_determinismE0ELb0ELb0ES3_N6thrust23THRUST_200600_302600_NS6detail15normal_iteratorINS9_10device_ptrIdEEEENS9_16discard_iteratorINS9_11use_defaultEEEd11max_functorIdEdEEDaPvRmT3_T4_T5_mT6_P12ihipStream_tbENKUlT_T0_E_clISt17integral_constantIbLb0EESW_IbLb1EEEEDaSS_ST_EUlSS_E0_NS1_11comp_targetILNS1_3genE2ELNS1_11target_archE906ELNS1_3gpuE6ELNS1_3repE0EEENS1_30default_config_static_selectorELNS0_4arch9wavefront6targetE1EEEvT1_ ; -- Begin function _ZN7rocprim17ROCPRIM_400000_NS6detail17trampoline_kernelINS0_14default_configENS1_20scan_config_selectorIdEEZZNS1_9scan_implILNS1_25lookback_scan_determinismE0ELb0ELb0ES3_N6thrust23THRUST_200600_302600_NS6detail15normal_iteratorINS9_10device_ptrIdEEEENS9_16discard_iteratorINS9_11use_defaultEEEd11max_functorIdEdEEDaPvRmT3_T4_T5_mT6_P12ihipStream_tbENKUlT_T0_E_clISt17integral_constantIbLb0EESW_IbLb1EEEEDaSS_ST_EUlSS_E0_NS1_11comp_targetILNS1_3genE2ELNS1_11target_archE906ELNS1_3gpuE6ELNS1_3repE0EEENS1_30default_config_static_selectorELNS0_4arch9wavefront6targetE1EEEvT1_
	.globl	_ZN7rocprim17ROCPRIM_400000_NS6detail17trampoline_kernelINS0_14default_configENS1_20scan_config_selectorIdEEZZNS1_9scan_implILNS1_25lookback_scan_determinismE0ELb0ELb0ES3_N6thrust23THRUST_200600_302600_NS6detail15normal_iteratorINS9_10device_ptrIdEEEENS9_16discard_iteratorINS9_11use_defaultEEEd11max_functorIdEdEEDaPvRmT3_T4_T5_mT6_P12ihipStream_tbENKUlT_T0_E_clISt17integral_constantIbLb0EESW_IbLb1EEEEDaSS_ST_EUlSS_E0_NS1_11comp_targetILNS1_3genE2ELNS1_11target_archE906ELNS1_3gpuE6ELNS1_3repE0EEENS1_30default_config_static_selectorELNS0_4arch9wavefront6targetE1EEEvT1_
	.p2align	8
	.type	_ZN7rocprim17ROCPRIM_400000_NS6detail17trampoline_kernelINS0_14default_configENS1_20scan_config_selectorIdEEZZNS1_9scan_implILNS1_25lookback_scan_determinismE0ELb0ELb0ES3_N6thrust23THRUST_200600_302600_NS6detail15normal_iteratorINS9_10device_ptrIdEEEENS9_16discard_iteratorINS9_11use_defaultEEEd11max_functorIdEdEEDaPvRmT3_T4_T5_mT6_P12ihipStream_tbENKUlT_T0_E_clISt17integral_constantIbLb0EESW_IbLb1EEEEDaSS_ST_EUlSS_E0_NS1_11comp_targetILNS1_3genE2ELNS1_11target_archE906ELNS1_3gpuE6ELNS1_3repE0EEENS1_30default_config_static_selectorELNS0_4arch9wavefront6targetE1EEEvT1_,@function
_ZN7rocprim17ROCPRIM_400000_NS6detail17trampoline_kernelINS0_14default_configENS1_20scan_config_selectorIdEEZZNS1_9scan_implILNS1_25lookback_scan_determinismE0ELb0ELb0ES3_N6thrust23THRUST_200600_302600_NS6detail15normal_iteratorINS9_10device_ptrIdEEEENS9_16discard_iteratorINS9_11use_defaultEEEd11max_functorIdEdEEDaPvRmT3_T4_T5_mT6_P12ihipStream_tbENKUlT_T0_E_clISt17integral_constantIbLb0EESW_IbLb1EEEEDaSS_ST_EUlSS_E0_NS1_11comp_targetILNS1_3genE2ELNS1_11target_archE906ELNS1_3gpuE6ELNS1_3repE0EEENS1_30default_config_static_selectorELNS0_4arch9wavefront6targetE1EEEvT1_: ; @_ZN7rocprim17ROCPRIM_400000_NS6detail17trampoline_kernelINS0_14default_configENS1_20scan_config_selectorIdEEZZNS1_9scan_implILNS1_25lookback_scan_determinismE0ELb0ELb0ES3_N6thrust23THRUST_200600_302600_NS6detail15normal_iteratorINS9_10device_ptrIdEEEENS9_16discard_iteratorINS9_11use_defaultEEEd11max_functorIdEdEEDaPvRmT3_T4_T5_mT6_P12ihipStream_tbENKUlT_T0_E_clISt17integral_constantIbLb0EESW_IbLb1EEEEDaSS_ST_EUlSS_E0_NS1_11comp_targetILNS1_3genE2ELNS1_11target_archE906ELNS1_3gpuE6ELNS1_3repE0EEENS1_30default_config_static_selectorELNS0_4arch9wavefront6targetE1EEEvT1_
; %bb.0:
	.section	.rodata,"a",@progbits
	.p2align	6, 0x0
	.amdhsa_kernel _ZN7rocprim17ROCPRIM_400000_NS6detail17trampoline_kernelINS0_14default_configENS1_20scan_config_selectorIdEEZZNS1_9scan_implILNS1_25lookback_scan_determinismE0ELb0ELb0ES3_N6thrust23THRUST_200600_302600_NS6detail15normal_iteratorINS9_10device_ptrIdEEEENS9_16discard_iteratorINS9_11use_defaultEEEd11max_functorIdEdEEDaPvRmT3_T4_T5_mT6_P12ihipStream_tbENKUlT_T0_E_clISt17integral_constantIbLb0EESW_IbLb1EEEEDaSS_ST_EUlSS_E0_NS1_11comp_targetILNS1_3genE2ELNS1_11target_archE906ELNS1_3gpuE6ELNS1_3repE0EEENS1_30default_config_static_selectorELNS0_4arch9wavefront6targetE1EEEvT1_
		.amdhsa_group_segment_fixed_size 0
		.amdhsa_private_segment_fixed_size 0
		.amdhsa_kernarg_size 48
		.amdhsa_user_sgpr_count 6
		.amdhsa_user_sgpr_private_segment_buffer 1
		.amdhsa_user_sgpr_dispatch_ptr 0
		.amdhsa_user_sgpr_queue_ptr 0
		.amdhsa_user_sgpr_kernarg_segment_ptr 1
		.amdhsa_user_sgpr_dispatch_id 0
		.amdhsa_user_sgpr_flat_scratch_init 0
		.amdhsa_user_sgpr_kernarg_preload_length 0
		.amdhsa_user_sgpr_kernarg_preload_offset 0
		.amdhsa_user_sgpr_private_segment_size 0
		.amdhsa_uses_dynamic_stack 0
		.amdhsa_system_sgpr_private_segment_wavefront_offset 0
		.amdhsa_system_sgpr_workgroup_id_x 1
		.amdhsa_system_sgpr_workgroup_id_y 0
		.amdhsa_system_sgpr_workgroup_id_z 0
		.amdhsa_system_sgpr_workgroup_info 0
		.amdhsa_system_vgpr_workitem_id 0
		.amdhsa_next_free_vgpr 1
		.amdhsa_next_free_sgpr 0
		.amdhsa_accum_offset 4
		.amdhsa_reserve_vcc 0
		.amdhsa_reserve_flat_scratch 0
		.amdhsa_float_round_mode_32 0
		.amdhsa_float_round_mode_16_64 0
		.amdhsa_float_denorm_mode_32 3
		.amdhsa_float_denorm_mode_16_64 3
		.amdhsa_dx10_clamp 1
		.amdhsa_ieee_mode 1
		.amdhsa_fp16_overflow 0
		.amdhsa_tg_split 0
		.amdhsa_exception_fp_ieee_invalid_op 0
		.amdhsa_exception_fp_denorm_src 0
		.amdhsa_exception_fp_ieee_div_zero 0
		.amdhsa_exception_fp_ieee_overflow 0
		.amdhsa_exception_fp_ieee_underflow 0
		.amdhsa_exception_fp_ieee_inexact 0
		.amdhsa_exception_int_div_zero 0
	.end_amdhsa_kernel
	.section	.text._ZN7rocprim17ROCPRIM_400000_NS6detail17trampoline_kernelINS0_14default_configENS1_20scan_config_selectorIdEEZZNS1_9scan_implILNS1_25lookback_scan_determinismE0ELb0ELb0ES3_N6thrust23THRUST_200600_302600_NS6detail15normal_iteratorINS9_10device_ptrIdEEEENS9_16discard_iteratorINS9_11use_defaultEEEd11max_functorIdEdEEDaPvRmT3_T4_T5_mT6_P12ihipStream_tbENKUlT_T0_E_clISt17integral_constantIbLb0EESW_IbLb1EEEEDaSS_ST_EUlSS_E0_NS1_11comp_targetILNS1_3genE2ELNS1_11target_archE906ELNS1_3gpuE6ELNS1_3repE0EEENS1_30default_config_static_selectorELNS0_4arch9wavefront6targetE1EEEvT1_,"axG",@progbits,_ZN7rocprim17ROCPRIM_400000_NS6detail17trampoline_kernelINS0_14default_configENS1_20scan_config_selectorIdEEZZNS1_9scan_implILNS1_25lookback_scan_determinismE0ELb0ELb0ES3_N6thrust23THRUST_200600_302600_NS6detail15normal_iteratorINS9_10device_ptrIdEEEENS9_16discard_iteratorINS9_11use_defaultEEEd11max_functorIdEdEEDaPvRmT3_T4_T5_mT6_P12ihipStream_tbENKUlT_T0_E_clISt17integral_constantIbLb0EESW_IbLb1EEEEDaSS_ST_EUlSS_E0_NS1_11comp_targetILNS1_3genE2ELNS1_11target_archE906ELNS1_3gpuE6ELNS1_3repE0EEENS1_30default_config_static_selectorELNS0_4arch9wavefront6targetE1EEEvT1_,comdat
.Lfunc_end3057:
	.size	_ZN7rocprim17ROCPRIM_400000_NS6detail17trampoline_kernelINS0_14default_configENS1_20scan_config_selectorIdEEZZNS1_9scan_implILNS1_25lookback_scan_determinismE0ELb0ELb0ES3_N6thrust23THRUST_200600_302600_NS6detail15normal_iteratorINS9_10device_ptrIdEEEENS9_16discard_iteratorINS9_11use_defaultEEEd11max_functorIdEdEEDaPvRmT3_T4_T5_mT6_P12ihipStream_tbENKUlT_T0_E_clISt17integral_constantIbLb0EESW_IbLb1EEEEDaSS_ST_EUlSS_E0_NS1_11comp_targetILNS1_3genE2ELNS1_11target_archE906ELNS1_3gpuE6ELNS1_3repE0EEENS1_30default_config_static_selectorELNS0_4arch9wavefront6targetE1EEEvT1_, .Lfunc_end3057-_ZN7rocprim17ROCPRIM_400000_NS6detail17trampoline_kernelINS0_14default_configENS1_20scan_config_selectorIdEEZZNS1_9scan_implILNS1_25lookback_scan_determinismE0ELb0ELb0ES3_N6thrust23THRUST_200600_302600_NS6detail15normal_iteratorINS9_10device_ptrIdEEEENS9_16discard_iteratorINS9_11use_defaultEEEd11max_functorIdEdEEDaPvRmT3_T4_T5_mT6_P12ihipStream_tbENKUlT_T0_E_clISt17integral_constantIbLb0EESW_IbLb1EEEEDaSS_ST_EUlSS_E0_NS1_11comp_targetILNS1_3genE2ELNS1_11target_archE906ELNS1_3gpuE6ELNS1_3repE0EEENS1_30default_config_static_selectorELNS0_4arch9wavefront6targetE1EEEvT1_
                                        ; -- End function
	.section	.AMDGPU.csdata,"",@progbits
; Kernel info:
; codeLenInByte = 0
; NumSgprs: 4
; NumVgprs: 0
; NumAgprs: 0
; TotalNumVgprs: 0
; ScratchSize: 0
; MemoryBound: 0
; FloatMode: 240
; IeeeMode: 1
; LDSByteSize: 0 bytes/workgroup (compile time only)
; SGPRBlocks: 0
; VGPRBlocks: 0
; NumSGPRsForWavesPerEU: 4
; NumVGPRsForWavesPerEU: 1
; AccumOffset: 4
; Occupancy: 8
; WaveLimiterHint : 0
; COMPUTE_PGM_RSRC2:SCRATCH_EN: 0
; COMPUTE_PGM_RSRC2:USER_SGPR: 6
; COMPUTE_PGM_RSRC2:TRAP_HANDLER: 0
; COMPUTE_PGM_RSRC2:TGID_X_EN: 1
; COMPUTE_PGM_RSRC2:TGID_Y_EN: 0
; COMPUTE_PGM_RSRC2:TGID_Z_EN: 0
; COMPUTE_PGM_RSRC2:TIDIG_COMP_CNT: 0
; COMPUTE_PGM_RSRC3_GFX90A:ACCUM_OFFSET: 0
; COMPUTE_PGM_RSRC3_GFX90A:TG_SPLIT: 0
	.section	.text._ZN7rocprim17ROCPRIM_400000_NS6detail17trampoline_kernelINS0_14default_configENS1_20scan_config_selectorIdEEZZNS1_9scan_implILNS1_25lookback_scan_determinismE0ELb0ELb0ES3_N6thrust23THRUST_200600_302600_NS6detail15normal_iteratorINS9_10device_ptrIdEEEENS9_16discard_iteratorINS9_11use_defaultEEEd11max_functorIdEdEEDaPvRmT3_T4_T5_mT6_P12ihipStream_tbENKUlT_T0_E_clISt17integral_constantIbLb0EESW_IbLb1EEEEDaSS_ST_EUlSS_E0_NS1_11comp_targetILNS1_3genE10ELNS1_11target_archE1201ELNS1_3gpuE5ELNS1_3repE0EEENS1_30default_config_static_selectorELNS0_4arch9wavefront6targetE1EEEvT1_,"axG",@progbits,_ZN7rocprim17ROCPRIM_400000_NS6detail17trampoline_kernelINS0_14default_configENS1_20scan_config_selectorIdEEZZNS1_9scan_implILNS1_25lookback_scan_determinismE0ELb0ELb0ES3_N6thrust23THRUST_200600_302600_NS6detail15normal_iteratorINS9_10device_ptrIdEEEENS9_16discard_iteratorINS9_11use_defaultEEEd11max_functorIdEdEEDaPvRmT3_T4_T5_mT6_P12ihipStream_tbENKUlT_T0_E_clISt17integral_constantIbLb0EESW_IbLb1EEEEDaSS_ST_EUlSS_E0_NS1_11comp_targetILNS1_3genE10ELNS1_11target_archE1201ELNS1_3gpuE5ELNS1_3repE0EEENS1_30default_config_static_selectorELNS0_4arch9wavefront6targetE1EEEvT1_,comdat
	.protected	_ZN7rocprim17ROCPRIM_400000_NS6detail17trampoline_kernelINS0_14default_configENS1_20scan_config_selectorIdEEZZNS1_9scan_implILNS1_25lookback_scan_determinismE0ELb0ELb0ES3_N6thrust23THRUST_200600_302600_NS6detail15normal_iteratorINS9_10device_ptrIdEEEENS9_16discard_iteratorINS9_11use_defaultEEEd11max_functorIdEdEEDaPvRmT3_T4_T5_mT6_P12ihipStream_tbENKUlT_T0_E_clISt17integral_constantIbLb0EESW_IbLb1EEEEDaSS_ST_EUlSS_E0_NS1_11comp_targetILNS1_3genE10ELNS1_11target_archE1201ELNS1_3gpuE5ELNS1_3repE0EEENS1_30default_config_static_selectorELNS0_4arch9wavefront6targetE1EEEvT1_ ; -- Begin function _ZN7rocprim17ROCPRIM_400000_NS6detail17trampoline_kernelINS0_14default_configENS1_20scan_config_selectorIdEEZZNS1_9scan_implILNS1_25lookback_scan_determinismE0ELb0ELb0ES3_N6thrust23THRUST_200600_302600_NS6detail15normal_iteratorINS9_10device_ptrIdEEEENS9_16discard_iteratorINS9_11use_defaultEEEd11max_functorIdEdEEDaPvRmT3_T4_T5_mT6_P12ihipStream_tbENKUlT_T0_E_clISt17integral_constantIbLb0EESW_IbLb1EEEEDaSS_ST_EUlSS_E0_NS1_11comp_targetILNS1_3genE10ELNS1_11target_archE1201ELNS1_3gpuE5ELNS1_3repE0EEENS1_30default_config_static_selectorELNS0_4arch9wavefront6targetE1EEEvT1_
	.globl	_ZN7rocprim17ROCPRIM_400000_NS6detail17trampoline_kernelINS0_14default_configENS1_20scan_config_selectorIdEEZZNS1_9scan_implILNS1_25lookback_scan_determinismE0ELb0ELb0ES3_N6thrust23THRUST_200600_302600_NS6detail15normal_iteratorINS9_10device_ptrIdEEEENS9_16discard_iteratorINS9_11use_defaultEEEd11max_functorIdEdEEDaPvRmT3_T4_T5_mT6_P12ihipStream_tbENKUlT_T0_E_clISt17integral_constantIbLb0EESW_IbLb1EEEEDaSS_ST_EUlSS_E0_NS1_11comp_targetILNS1_3genE10ELNS1_11target_archE1201ELNS1_3gpuE5ELNS1_3repE0EEENS1_30default_config_static_selectorELNS0_4arch9wavefront6targetE1EEEvT1_
	.p2align	8
	.type	_ZN7rocprim17ROCPRIM_400000_NS6detail17trampoline_kernelINS0_14default_configENS1_20scan_config_selectorIdEEZZNS1_9scan_implILNS1_25lookback_scan_determinismE0ELb0ELb0ES3_N6thrust23THRUST_200600_302600_NS6detail15normal_iteratorINS9_10device_ptrIdEEEENS9_16discard_iteratorINS9_11use_defaultEEEd11max_functorIdEdEEDaPvRmT3_T4_T5_mT6_P12ihipStream_tbENKUlT_T0_E_clISt17integral_constantIbLb0EESW_IbLb1EEEEDaSS_ST_EUlSS_E0_NS1_11comp_targetILNS1_3genE10ELNS1_11target_archE1201ELNS1_3gpuE5ELNS1_3repE0EEENS1_30default_config_static_selectorELNS0_4arch9wavefront6targetE1EEEvT1_,@function
_ZN7rocprim17ROCPRIM_400000_NS6detail17trampoline_kernelINS0_14default_configENS1_20scan_config_selectorIdEEZZNS1_9scan_implILNS1_25lookback_scan_determinismE0ELb0ELb0ES3_N6thrust23THRUST_200600_302600_NS6detail15normal_iteratorINS9_10device_ptrIdEEEENS9_16discard_iteratorINS9_11use_defaultEEEd11max_functorIdEdEEDaPvRmT3_T4_T5_mT6_P12ihipStream_tbENKUlT_T0_E_clISt17integral_constantIbLb0EESW_IbLb1EEEEDaSS_ST_EUlSS_E0_NS1_11comp_targetILNS1_3genE10ELNS1_11target_archE1201ELNS1_3gpuE5ELNS1_3repE0EEENS1_30default_config_static_selectorELNS0_4arch9wavefront6targetE1EEEvT1_: ; @_ZN7rocprim17ROCPRIM_400000_NS6detail17trampoline_kernelINS0_14default_configENS1_20scan_config_selectorIdEEZZNS1_9scan_implILNS1_25lookback_scan_determinismE0ELb0ELb0ES3_N6thrust23THRUST_200600_302600_NS6detail15normal_iteratorINS9_10device_ptrIdEEEENS9_16discard_iteratorINS9_11use_defaultEEEd11max_functorIdEdEEDaPvRmT3_T4_T5_mT6_P12ihipStream_tbENKUlT_T0_E_clISt17integral_constantIbLb0EESW_IbLb1EEEEDaSS_ST_EUlSS_E0_NS1_11comp_targetILNS1_3genE10ELNS1_11target_archE1201ELNS1_3gpuE5ELNS1_3repE0EEENS1_30default_config_static_selectorELNS0_4arch9wavefront6targetE1EEEvT1_
; %bb.0:
	.section	.rodata,"a",@progbits
	.p2align	6, 0x0
	.amdhsa_kernel _ZN7rocprim17ROCPRIM_400000_NS6detail17trampoline_kernelINS0_14default_configENS1_20scan_config_selectorIdEEZZNS1_9scan_implILNS1_25lookback_scan_determinismE0ELb0ELb0ES3_N6thrust23THRUST_200600_302600_NS6detail15normal_iteratorINS9_10device_ptrIdEEEENS9_16discard_iteratorINS9_11use_defaultEEEd11max_functorIdEdEEDaPvRmT3_T4_T5_mT6_P12ihipStream_tbENKUlT_T0_E_clISt17integral_constantIbLb0EESW_IbLb1EEEEDaSS_ST_EUlSS_E0_NS1_11comp_targetILNS1_3genE10ELNS1_11target_archE1201ELNS1_3gpuE5ELNS1_3repE0EEENS1_30default_config_static_selectorELNS0_4arch9wavefront6targetE1EEEvT1_
		.amdhsa_group_segment_fixed_size 0
		.amdhsa_private_segment_fixed_size 0
		.amdhsa_kernarg_size 48
		.amdhsa_user_sgpr_count 6
		.amdhsa_user_sgpr_private_segment_buffer 1
		.amdhsa_user_sgpr_dispatch_ptr 0
		.amdhsa_user_sgpr_queue_ptr 0
		.amdhsa_user_sgpr_kernarg_segment_ptr 1
		.amdhsa_user_sgpr_dispatch_id 0
		.amdhsa_user_sgpr_flat_scratch_init 0
		.amdhsa_user_sgpr_kernarg_preload_length 0
		.amdhsa_user_sgpr_kernarg_preload_offset 0
		.amdhsa_user_sgpr_private_segment_size 0
		.amdhsa_uses_dynamic_stack 0
		.amdhsa_system_sgpr_private_segment_wavefront_offset 0
		.amdhsa_system_sgpr_workgroup_id_x 1
		.amdhsa_system_sgpr_workgroup_id_y 0
		.amdhsa_system_sgpr_workgroup_id_z 0
		.amdhsa_system_sgpr_workgroup_info 0
		.amdhsa_system_vgpr_workitem_id 0
		.amdhsa_next_free_vgpr 1
		.amdhsa_next_free_sgpr 0
		.amdhsa_accum_offset 4
		.amdhsa_reserve_vcc 0
		.amdhsa_reserve_flat_scratch 0
		.amdhsa_float_round_mode_32 0
		.amdhsa_float_round_mode_16_64 0
		.amdhsa_float_denorm_mode_32 3
		.amdhsa_float_denorm_mode_16_64 3
		.amdhsa_dx10_clamp 1
		.amdhsa_ieee_mode 1
		.amdhsa_fp16_overflow 0
		.amdhsa_tg_split 0
		.amdhsa_exception_fp_ieee_invalid_op 0
		.amdhsa_exception_fp_denorm_src 0
		.amdhsa_exception_fp_ieee_div_zero 0
		.amdhsa_exception_fp_ieee_overflow 0
		.amdhsa_exception_fp_ieee_underflow 0
		.amdhsa_exception_fp_ieee_inexact 0
		.amdhsa_exception_int_div_zero 0
	.end_amdhsa_kernel
	.section	.text._ZN7rocprim17ROCPRIM_400000_NS6detail17trampoline_kernelINS0_14default_configENS1_20scan_config_selectorIdEEZZNS1_9scan_implILNS1_25lookback_scan_determinismE0ELb0ELb0ES3_N6thrust23THRUST_200600_302600_NS6detail15normal_iteratorINS9_10device_ptrIdEEEENS9_16discard_iteratorINS9_11use_defaultEEEd11max_functorIdEdEEDaPvRmT3_T4_T5_mT6_P12ihipStream_tbENKUlT_T0_E_clISt17integral_constantIbLb0EESW_IbLb1EEEEDaSS_ST_EUlSS_E0_NS1_11comp_targetILNS1_3genE10ELNS1_11target_archE1201ELNS1_3gpuE5ELNS1_3repE0EEENS1_30default_config_static_selectorELNS0_4arch9wavefront6targetE1EEEvT1_,"axG",@progbits,_ZN7rocprim17ROCPRIM_400000_NS6detail17trampoline_kernelINS0_14default_configENS1_20scan_config_selectorIdEEZZNS1_9scan_implILNS1_25lookback_scan_determinismE0ELb0ELb0ES3_N6thrust23THRUST_200600_302600_NS6detail15normal_iteratorINS9_10device_ptrIdEEEENS9_16discard_iteratorINS9_11use_defaultEEEd11max_functorIdEdEEDaPvRmT3_T4_T5_mT6_P12ihipStream_tbENKUlT_T0_E_clISt17integral_constantIbLb0EESW_IbLb1EEEEDaSS_ST_EUlSS_E0_NS1_11comp_targetILNS1_3genE10ELNS1_11target_archE1201ELNS1_3gpuE5ELNS1_3repE0EEENS1_30default_config_static_selectorELNS0_4arch9wavefront6targetE1EEEvT1_,comdat
.Lfunc_end3058:
	.size	_ZN7rocprim17ROCPRIM_400000_NS6detail17trampoline_kernelINS0_14default_configENS1_20scan_config_selectorIdEEZZNS1_9scan_implILNS1_25lookback_scan_determinismE0ELb0ELb0ES3_N6thrust23THRUST_200600_302600_NS6detail15normal_iteratorINS9_10device_ptrIdEEEENS9_16discard_iteratorINS9_11use_defaultEEEd11max_functorIdEdEEDaPvRmT3_T4_T5_mT6_P12ihipStream_tbENKUlT_T0_E_clISt17integral_constantIbLb0EESW_IbLb1EEEEDaSS_ST_EUlSS_E0_NS1_11comp_targetILNS1_3genE10ELNS1_11target_archE1201ELNS1_3gpuE5ELNS1_3repE0EEENS1_30default_config_static_selectorELNS0_4arch9wavefront6targetE1EEEvT1_, .Lfunc_end3058-_ZN7rocprim17ROCPRIM_400000_NS6detail17trampoline_kernelINS0_14default_configENS1_20scan_config_selectorIdEEZZNS1_9scan_implILNS1_25lookback_scan_determinismE0ELb0ELb0ES3_N6thrust23THRUST_200600_302600_NS6detail15normal_iteratorINS9_10device_ptrIdEEEENS9_16discard_iteratorINS9_11use_defaultEEEd11max_functorIdEdEEDaPvRmT3_T4_T5_mT6_P12ihipStream_tbENKUlT_T0_E_clISt17integral_constantIbLb0EESW_IbLb1EEEEDaSS_ST_EUlSS_E0_NS1_11comp_targetILNS1_3genE10ELNS1_11target_archE1201ELNS1_3gpuE5ELNS1_3repE0EEENS1_30default_config_static_selectorELNS0_4arch9wavefront6targetE1EEEvT1_
                                        ; -- End function
	.section	.AMDGPU.csdata,"",@progbits
; Kernel info:
; codeLenInByte = 0
; NumSgprs: 4
; NumVgprs: 0
; NumAgprs: 0
; TotalNumVgprs: 0
; ScratchSize: 0
; MemoryBound: 0
; FloatMode: 240
; IeeeMode: 1
; LDSByteSize: 0 bytes/workgroup (compile time only)
; SGPRBlocks: 0
; VGPRBlocks: 0
; NumSGPRsForWavesPerEU: 4
; NumVGPRsForWavesPerEU: 1
; AccumOffset: 4
; Occupancy: 8
; WaveLimiterHint : 0
; COMPUTE_PGM_RSRC2:SCRATCH_EN: 0
; COMPUTE_PGM_RSRC2:USER_SGPR: 6
; COMPUTE_PGM_RSRC2:TRAP_HANDLER: 0
; COMPUTE_PGM_RSRC2:TGID_X_EN: 1
; COMPUTE_PGM_RSRC2:TGID_Y_EN: 0
; COMPUTE_PGM_RSRC2:TGID_Z_EN: 0
; COMPUTE_PGM_RSRC2:TIDIG_COMP_CNT: 0
; COMPUTE_PGM_RSRC3_GFX90A:ACCUM_OFFSET: 0
; COMPUTE_PGM_RSRC3_GFX90A:TG_SPLIT: 0
	.section	.text._ZN7rocprim17ROCPRIM_400000_NS6detail17trampoline_kernelINS0_14default_configENS1_20scan_config_selectorIdEEZZNS1_9scan_implILNS1_25lookback_scan_determinismE0ELb0ELb0ES3_N6thrust23THRUST_200600_302600_NS6detail15normal_iteratorINS9_10device_ptrIdEEEENS9_16discard_iteratorINS9_11use_defaultEEEd11max_functorIdEdEEDaPvRmT3_T4_T5_mT6_P12ihipStream_tbENKUlT_T0_E_clISt17integral_constantIbLb0EESW_IbLb1EEEEDaSS_ST_EUlSS_E0_NS1_11comp_targetILNS1_3genE10ELNS1_11target_archE1200ELNS1_3gpuE4ELNS1_3repE0EEENS1_30default_config_static_selectorELNS0_4arch9wavefront6targetE1EEEvT1_,"axG",@progbits,_ZN7rocprim17ROCPRIM_400000_NS6detail17trampoline_kernelINS0_14default_configENS1_20scan_config_selectorIdEEZZNS1_9scan_implILNS1_25lookback_scan_determinismE0ELb0ELb0ES3_N6thrust23THRUST_200600_302600_NS6detail15normal_iteratorINS9_10device_ptrIdEEEENS9_16discard_iteratorINS9_11use_defaultEEEd11max_functorIdEdEEDaPvRmT3_T4_T5_mT6_P12ihipStream_tbENKUlT_T0_E_clISt17integral_constantIbLb0EESW_IbLb1EEEEDaSS_ST_EUlSS_E0_NS1_11comp_targetILNS1_3genE10ELNS1_11target_archE1200ELNS1_3gpuE4ELNS1_3repE0EEENS1_30default_config_static_selectorELNS0_4arch9wavefront6targetE1EEEvT1_,comdat
	.protected	_ZN7rocprim17ROCPRIM_400000_NS6detail17trampoline_kernelINS0_14default_configENS1_20scan_config_selectorIdEEZZNS1_9scan_implILNS1_25lookback_scan_determinismE0ELb0ELb0ES3_N6thrust23THRUST_200600_302600_NS6detail15normal_iteratorINS9_10device_ptrIdEEEENS9_16discard_iteratorINS9_11use_defaultEEEd11max_functorIdEdEEDaPvRmT3_T4_T5_mT6_P12ihipStream_tbENKUlT_T0_E_clISt17integral_constantIbLb0EESW_IbLb1EEEEDaSS_ST_EUlSS_E0_NS1_11comp_targetILNS1_3genE10ELNS1_11target_archE1200ELNS1_3gpuE4ELNS1_3repE0EEENS1_30default_config_static_selectorELNS0_4arch9wavefront6targetE1EEEvT1_ ; -- Begin function _ZN7rocprim17ROCPRIM_400000_NS6detail17trampoline_kernelINS0_14default_configENS1_20scan_config_selectorIdEEZZNS1_9scan_implILNS1_25lookback_scan_determinismE0ELb0ELb0ES3_N6thrust23THRUST_200600_302600_NS6detail15normal_iteratorINS9_10device_ptrIdEEEENS9_16discard_iteratorINS9_11use_defaultEEEd11max_functorIdEdEEDaPvRmT3_T4_T5_mT6_P12ihipStream_tbENKUlT_T0_E_clISt17integral_constantIbLb0EESW_IbLb1EEEEDaSS_ST_EUlSS_E0_NS1_11comp_targetILNS1_3genE10ELNS1_11target_archE1200ELNS1_3gpuE4ELNS1_3repE0EEENS1_30default_config_static_selectorELNS0_4arch9wavefront6targetE1EEEvT1_
	.globl	_ZN7rocprim17ROCPRIM_400000_NS6detail17trampoline_kernelINS0_14default_configENS1_20scan_config_selectorIdEEZZNS1_9scan_implILNS1_25lookback_scan_determinismE0ELb0ELb0ES3_N6thrust23THRUST_200600_302600_NS6detail15normal_iteratorINS9_10device_ptrIdEEEENS9_16discard_iteratorINS9_11use_defaultEEEd11max_functorIdEdEEDaPvRmT3_T4_T5_mT6_P12ihipStream_tbENKUlT_T0_E_clISt17integral_constantIbLb0EESW_IbLb1EEEEDaSS_ST_EUlSS_E0_NS1_11comp_targetILNS1_3genE10ELNS1_11target_archE1200ELNS1_3gpuE4ELNS1_3repE0EEENS1_30default_config_static_selectorELNS0_4arch9wavefront6targetE1EEEvT1_
	.p2align	8
	.type	_ZN7rocprim17ROCPRIM_400000_NS6detail17trampoline_kernelINS0_14default_configENS1_20scan_config_selectorIdEEZZNS1_9scan_implILNS1_25lookback_scan_determinismE0ELb0ELb0ES3_N6thrust23THRUST_200600_302600_NS6detail15normal_iteratorINS9_10device_ptrIdEEEENS9_16discard_iteratorINS9_11use_defaultEEEd11max_functorIdEdEEDaPvRmT3_T4_T5_mT6_P12ihipStream_tbENKUlT_T0_E_clISt17integral_constantIbLb0EESW_IbLb1EEEEDaSS_ST_EUlSS_E0_NS1_11comp_targetILNS1_3genE10ELNS1_11target_archE1200ELNS1_3gpuE4ELNS1_3repE0EEENS1_30default_config_static_selectorELNS0_4arch9wavefront6targetE1EEEvT1_,@function
_ZN7rocprim17ROCPRIM_400000_NS6detail17trampoline_kernelINS0_14default_configENS1_20scan_config_selectorIdEEZZNS1_9scan_implILNS1_25lookback_scan_determinismE0ELb0ELb0ES3_N6thrust23THRUST_200600_302600_NS6detail15normal_iteratorINS9_10device_ptrIdEEEENS9_16discard_iteratorINS9_11use_defaultEEEd11max_functorIdEdEEDaPvRmT3_T4_T5_mT6_P12ihipStream_tbENKUlT_T0_E_clISt17integral_constantIbLb0EESW_IbLb1EEEEDaSS_ST_EUlSS_E0_NS1_11comp_targetILNS1_3genE10ELNS1_11target_archE1200ELNS1_3gpuE4ELNS1_3repE0EEENS1_30default_config_static_selectorELNS0_4arch9wavefront6targetE1EEEvT1_: ; @_ZN7rocprim17ROCPRIM_400000_NS6detail17trampoline_kernelINS0_14default_configENS1_20scan_config_selectorIdEEZZNS1_9scan_implILNS1_25lookback_scan_determinismE0ELb0ELb0ES3_N6thrust23THRUST_200600_302600_NS6detail15normal_iteratorINS9_10device_ptrIdEEEENS9_16discard_iteratorINS9_11use_defaultEEEd11max_functorIdEdEEDaPvRmT3_T4_T5_mT6_P12ihipStream_tbENKUlT_T0_E_clISt17integral_constantIbLb0EESW_IbLb1EEEEDaSS_ST_EUlSS_E0_NS1_11comp_targetILNS1_3genE10ELNS1_11target_archE1200ELNS1_3gpuE4ELNS1_3repE0EEENS1_30default_config_static_selectorELNS0_4arch9wavefront6targetE1EEEvT1_
; %bb.0:
	.section	.rodata,"a",@progbits
	.p2align	6, 0x0
	.amdhsa_kernel _ZN7rocprim17ROCPRIM_400000_NS6detail17trampoline_kernelINS0_14default_configENS1_20scan_config_selectorIdEEZZNS1_9scan_implILNS1_25lookback_scan_determinismE0ELb0ELb0ES3_N6thrust23THRUST_200600_302600_NS6detail15normal_iteratorINS9_10device_ptrIdEEEENS9_16discard_iteratorINS9_11use_defaultEEEd11max_functorIdEdEEDaPvRmT3_T4_T5_mT6_P12ihipStream_tbENKUlT_T0_E_clISt17integral_constantIbLb0EESW_IbLb1EEEEDaSS_ST_EUlSS_E0_NS1_11comp_targetILNS1_3genE10ELNS1_11target_archE1200ELNS1_3gpuE4ELNS1_3repE0EEENS1_30default_config_static_selectorELNS0_4arch9wavefront6targetE1EEEvT1_
		.amdhsa_group_segment_fixed_size 0
		.amdhsa_private_segment_fixed_size 0
		.amdhsa_kernarg_size 48
		.amdhsa_user_sgpr_count 6
		.amdhsa_user_sgpr_private_segment_buffer 1
		.amdhsa_user_sgpr_dispatch_ptr 0
		.amdhsa_user_sgpr_queue_ptr 0
		.amdhsa_user_sgpr_kernarg_segment_ptr 1
		.amdhsa_user_sgpr_dispatch_id 0
		.amdhsa_user_sgpr_flat_scratch_init 0
		.amdhsa_user_sgpr_kernarg_preload_length 0
		.amdhsa_user_sgpr_kernarg_preload_offset 0
		.amdhsa_user_sgpr_private_segment_size 0
		.amdhsa_uses_dynamic_stack 0
		.amdhsa_system_sgpr_private_segment_wavefront_offset 0
		.amdhsa_system_sgpr_workgroup_id_x 1
		.amdhsa_system_sgpr_workgroup_id_y 0
		.amdhsa_system_sgpr_workgroup_id_z 0
		.amdhsa_system_sgpr_workgroup_info 0
		.amdhsa_system_vgpr_workitem_id 0
		.amdhsa_next_free_vgpr 1
		.amdhsa_next_free_sgpr 0
		.amdhsa_accum_offset 4
		.amdhsa_reserve_vcc 0
		.amdhsa_reserve_flat_scratch 0
		.amdhsa_float_round_mode_32 0
		.amdhsa_float_round_mode_16_64 0
		.amdhsa_float_denorm_mode_32 3
		.amdhsa_float_denorm_mode_16_64 3
		.amdhsa_dx10_clamp 1
		.amdhsa_ieee_mode 1
		.amdhsa_fp16_overflow 0
		.amdhsa_tg_split 0
		.amdhsa_exception_fp_ieee_invalid_op 0
		.amdhsa_exception_fp_denorm_src 0
		.amdhsa_exception_fp_ieee_div_zero 0
		.amdhsa_exception_fp_ieee_overflow 0
		.amdhsa_exception_fp_ieee_underflow 0
		.amdhsa_exception_fp_ieee_inexact 0
		.amdhsa_exception_int_div_zero 0
	.end_amdhsa_kernel
	.section	.text._ZN7rocprim17ROCPRIM_400000_NS6detail17trampoline_kernelINS0_14default_configENS1_20scan_config_selectorIdEEZZNS1_9scan_implILNS1_25lookback_scan_determinismE0ELb0ELb0ES3_N6thrust23THRUST_200600_302600_NS6detail15normal_iteratorINS9_10device_ptrIdEEEENS9_16discard_iteratorINS9_11use_defaultEEEd11max_functorIdEdEEDaPvRmT3_T4_T5_mT6_P12ihipStream_tbENKUlT_T0_E_clISt17integral_constantIbLb0EESW_IbLb1EEEEDaSS_ST_EUlSS_E0_NS1_11comp_targetILNS1_3genE10ELNS1_11target_archE1200ELNS1_3gpuE4ELNS1_3repE0EEENS1_30default_config_static_selectorELNS0_4arch9wavefront6targetE1EEEvT1_,"axG",@progbits,_ZN7rocprim17ROCPRIM_400000_NS6detail17trampoline_kernelINS0_14default_configENS1_20scan_config_selectorIdEEZZNS1_9scan_implILNS1_25lookback_scan_determinismE0ELb0ELb0ES3_N6thrust23THRUST_200600_302600_NS6detail15normal_iteratorINS9_10device_ptrIdEEEENS9_16discard_iteratorINS9_11use_defaultEEEd11max_functorIdEdEEDaPvRmT3_T4_T5_mT6_P12ihipStream_tbENKUlT_T0_E_clISt17integral_constantIbLb0EESW_IbLb1EEEEDaSS_ST_EUlSS_E0_NS1_11comp_targetILNS1_3genE10ELNS1_11target_archE1200ELNS1_3gpuE4ELNS1_3repE0EEENS1_30default_config_static_selectorELNS0_4arch9wavefront6targetE1EEEvT1_,comdat
.Lfunc_end3059:
	.size	_ZN7rocprim17ROCPRIM_400000_NS6detail17trampoline_kernelINS0_14default_configENS1_20scan_config_selectorIdEEZZNS1_9scan_implILNS1_25lookback_scan_determinismE0ELb0ELb0ES3_N6thrust23THRUST_200600_302600_NS6detail15normal_iteratorINS9_10device_ptrIdEEEENS9_16discard_iteratorINS9_11use_defaultEEEd11max_functorIdEdEEDaPvRmT3_T4_T5_mT6_P12ihipStream_tbENKUlT_T0_E_clISt17integral_constantIbLb0EESW_IbLb1EEEEDaSS_ST_EUlSS_E0_NS1_11comp_targetILNS1_3genE10ELNS1_11target_archE1200ELNS1_3gpuE4ELNS1_3repE0EEENS1_30default_config_static_selectorELNS0_4arch9wavefront6targetE1EEEvT1_, .Lfunc_end3059-_ZN7rocprim17ROCPRIM_400000_NS6detail17trampoline_kernelINS0_14default_configENS1_20scan_config_selectorIdEEZZNS1_9scan_implILNS1_25lookback_scan_determinismE0ELb0ELb0ES3_N6thrust23THRUST_200600_302600_NS6detail15normal_iteratorINS9_10device_ptrIdEEEENS9_16discard_iteratorINS9_11use_defaultEEEd11max_functorIdEdEEDaPvRmT3_T4_T5_mT6_P12ihipStream_tbENKUlT_T0_E_clISt17integral_constantIbLb0EESW_IbLb1EEEEDaSS_ST_EUlSS_E0_NS1_11comp_targetILNS1_3genE10ELNS1_11target_archE1200ELNS1_3gpuE4ELNS1_3repE0EEENS1_30default_config_static_selectorELNS0_4arch9wavefront6targetE1EEEvT1_
                                        ; -- End function
	.section	.AMDGPU.csdata,"",@progbits
; Kernel info:
; codeLenInByte = 0
; NumSgprs: 4
; NumVgprs: 0
; NumAgprs: 0
; TotalNumVgprs: 0
; ScratchSize: 0
; MemoryBound: 0
; FloatMode: 240
; IeeeMode: 1
; LDSByteSize: 0 bytes/workgroup (compile time only)
; SGPRBlocks: 0
; VGPRBlocks: 0
; NumSGPRsForWavesPerEU: 4
; NumVGPRsForWavesPerEU: 1
; AccumOffset: 4
; Occupancy: 8
; WaveLimiterHint : 0
; COMPUTE_PGM_RSRC2:SCRATCH_EN: 0
; COMPUTE_PGM_RSRC2:USER_SGPR: 6
; COMPUTE_PGM_RSRC2:TRAP_HANDLER: 0
; COMPUTE_PGM_RSRC2:TGID_X_EN: 1
; COMPUTE_PGM_RSRC2:TGID_Y_EN: 0
; COMPUTE_PGM_RSRC2:TGID_Z_EN: 0
; COMPUTE_PGM_RSRC2:TIDIG_COMP_CNT: 0
; COMPUTE_PGM_RSRC3_GFX90A:ACCUM_OFFSET: 0
; COMPUTE_PGM_RSRC3_GFX90A:TG_SPLIT: 0
	.section	.text._ZN7rocprim17ROCPRIM_400000_NS6detail17trampoline_kernelINS0_14default_configENS1_20scan_config_selectorIdEEZZNS1_9scan_implILNS1_25lookback_scan_determinismE0ELb0ELb0ES3_N6thrust23THRUST_200600_302600_NS6detail15normal_iteratorINS9_10device_ptrIdEEEENS9_16discard_iteratorINS9_11use_defaultEEEd11max_functorIdEdEEDaPvRmT3_T4_T5_mT6_P12ihipStream_tbENKUlT_T0_E_clISt17integral_constantIbLb0EESW_IbLb1EEEEDaSS_ST_EUlSS_E0_NS1_11comp_targetILNS1_3genE9ELNS1_11target_archE1100ELNS1_3gpuE3ELNS1_3repE0EEENS1_30default_config_static_selectorELNS0_4arch9wavefront6targetE1EEEvT1_,"axG",@progbits,_ZN7rocprim17ROCPRIM_400000_NS6detail17trampoline_kernelINS0_14default_configENS1_20scan_config_selectorIdEEZZNS1_9scan_implILNS1_25lookback_scan_determinismE0ELb0ELb0ES3_N6thrust23THRUST_200600_302600_NS6detail15normal_iteratorINS9_10device_ptrIdEEEENS9_16discard_iteratorINS9_11use_defaultEEEd11max_functorIdEdEEDaPvRmT3_T4_T5_mT6_P12ihipStream_tbENKUlT_T0_E_clISt17integral_constantIbLb0EESW_IbLb1EEEEDaSS_ST_EUlSS_E0_NS1_11comp_targetILNS1_3genE9ELNS1_11target_archE1100ELNS1_3gpuE3ELNS1_3repE0EEENS1_30default_config_static_selectorELNS0_4arch9wavefront6targetE1EEEvT1_,comdat
	.protected	_ZN7rocprim17ROCPRIM_400000_NS6detail17trampoline_kernelINS0_14default_configENS1_20scan_config_selectorIdEEZZNS1_9scan_implILNS1_25lookback_scan_determinismE0ELb0ELb0ES3_N6thrust23THRUST_200600_302600_NS6detail15normal_iteratorINS9_10device_ptrIdEEEENS9_16discard_iteratorINS9_11use_defaultEEEd11max_functorIdEdEEDaPvRmT3_T4_T5_mT6_P12ihipStream_tbENKUlT_T0_E_clISt17integral_constantIbLb0EESW_IbLb1EEEEDaSS_ST_EUlSS_E0_NS1_11comp_targetILNS1_3genE9ELNS1_11target_archE1100ELNS1_3gpuE3ELNS1_3repE0EEENS1_30default_config_static_selectorELNS0_4arch9wavefront6targetE1EEEvT1_ ; -- Begin function _ZN7rocprim17ROCPRIM_400000_NS6detail17trampoline_kernelINS0_14default_configENS1_20scan_config_selectorIdEEZZNS1_9scan_implILNS1_25lookback_scan_determinismE0ELb0ELb0ES3_N6thrust23THRUST_200600_302600_NS6detail15normal_iteratorINS9_10device_ptrIdEEEENS9_16discard_iteratorINS9_11use_defaultEEEd11max_functorIdEdEEDaPvRmT3_T4_T5_mT6_P12ihipStream_tbENKUlT_T0_E_clISt17integral_constantIbLb0EESW_IbLb1EEEEDaSS_ST_EUlSS_E0_NS1_11comp_targetILNS1_3genE9ELNS1_11target_archE1100ELNS1_3gpuE3ELNS1_3repE0EEENS1_30default_config_static_selectorELNS0_4arch9wavefront6targetE1EEEvT1_
	.globl	_ZN7rocprim17ROCPRIM_400000_NS6detail17trampoline_kernelINS0_14default_configENS1_20scan_config_selectorIdEEZZNS1_9scan_implILNS1_25lookback_scan_determinismE0ELb0ELb0ES3_N6thrust23THRUST_200600_302600_NS6detail15normal_iteratorINS9_10device_ptrIdEEEENS9_16discard_iteratorINS9_11use_defaultEEEd11max_functorIdEdEEDaPvRmT3_T4_T5_mT6_P12ihipStream_tbENKUlT_T0_E_clISt17integral_constantIbLb0EESW_IbLb1EEEEDaSS_ST_EUlSS_E0_NS1_11comp_targetILNS1_3genE9ELNS1_11target_archE1100ELNS1_3gpuE3ELNS1_3repE0EEENS1_30default_config_static_selectorELNS0_4arch9wavefront6targetE1EEEvT1_
	.p2align	8
	.type	_ZN7rocprim17ROCPRIM_400000_NS6detail17trampoline_kernelINS0_14default_configENS1_20scan_config_selectorIdEEZZNS1_9scan_implILNS1_25lookback_scan_determinismE0ELb0ELb0ES3_N6thrust23THRUST_200600_302600_NS6detail15normal_iteratorINS9_10device_ptrIdEEEENS9_16discard_iteratorINS9_11use_defaultEEEd11max_functorIdEdEEDaPvRmT3_T4_T5_mT6_P12ihipStream_tbENKUlT_T0_E_clISt17integral_constantIbLb0EESW_IbLb1EEEEDaSS_ST_EUlSS_E0_NS1_11comp_targetILNS1_3genE9ELNS1_11target_archE1100ELNS1_3gpuE3ELNS1_3repE0EEENS1_30default_config_static_selectorELNS0_4arch9wavefront6targetE1EEEvT1_,@function
_ZN7rocprim17ROCPRIM_400000_NS6detail17trampoline_kernelINS0_14default_configENS1_20scan_config_selectorIdEEZZNS1_9scan_implILNS1_25lookback_scan_determinismE0ELb0ELb0ES3_N6thrust23THRUST_200600_302600_NS6detail15normal_iteratorINS9_10device_ptrIdEEEENS9_16discard_iteratorINS9_11use_defaultEEEd11max_functorIdEdEEDaPvRmT3_T4_T5_mT6_P12ihipStream_tbENKUlT_T0_E_clISt17integral_constantIbLb0EESW_IbLb1EEEEDaSS_ST_EUlSS_E0_NS1_11comp_targetILNS1_3genE9ELNS1_11target_archE1100ELNS1_3gpuE3ELNS1_3repE0EEENS1_30default_config_static_selectorELNS0_4arch9wavefront6targetE1EEEvT1_: ; @_ZN7rocprim17ROCPRIM_400000_NS6detail17trampoline_kernelINS0_14default_configENS1_20scan_config_selectorIdEEZZNS1_9scan_implILNS1_25lookback_scan_determinismE0ELb0ELb0ES3_N6thrust23THRUST_200600_302600_NS6detail15normal_iteratorINS9_10device_ptrIdEEEENS9_16discard_iteratorINS9_11use_defaultEEEd11max_functorIdEdEEDaPvRmT3_T4_T5_mT6_P12ihipStream_tbENKUlT_T0_E_clISt17integral_constantIbLb0EESW_IbLb1EEEEDaSS_ST_EUlSS_E0_NS1_11comp_targetILNS1_3genE9ELNS1_11target_archE1100ELNS1_3gpuE3ELNS1_3repE0EEENS1_30default_config_static_selectorELNS0_4arch9wavefront6targetE1EEEvT1_
; %bb.0:
	.section	.rodata,"a",@progbits
	.p2align	6, 0x0
	.amdhsa_kernel _ZN7rocprim17ROCPRIM_400000_NS6detail17trampoline_kernelINS0_14default_configENS1_20scan_config_selectorIdEEZZNS1_9scan_implILNS1_25lookback_scan_determinismE0ELb0ELb0ES3_N6thrust23THRUST_200600_302600_NS6detail15normal_iteratorINS9_10device_ptrIdEEEENS9_16discard_iteratorINS9_11use_defaultEEEd11max_functorIdEdEEDaPvRmT3_T4_T5_mT6_P12ihipStream_tbENKUlT_T0_E_clISt17integral_constantIbLb0EESW_IbLb1EEEEDaSS_ST_EUlSS_E0_NS1_11comp_targetILNS1_3genE9ELNS1_11target_archE1100ELNS1_3gpuE3ELNS1_3repE0EEENS1_30default_config_static_selectorELNS0_4arch9wavefront6targetE1EEEvT1_
		.amdhsa_group_segment_fixed_size 0
		.amdhsa_private_segment_fixed_size 0
		.amdhsa_kernarg_size 48
		.amdhsa_user_sgpr_count 6
		.amdhsa_user_sgpr_private_segment_buffer 1
		.amdhsa_user_sgpr_dispatch_ptr 0
		.amdhsa_user_sgpr_queue_ptr 0
		.amdhsa_user_sgpr_kernarg_segment_ptr 1
		.amdhsa_user_sgpr_dispatch_id 0
		.amdhsa_user_sgpr_flat_scratch_init 0
		.amdhsa_user_sgpr_kernarg_preload_length 0
		.amdhsa_user_sgpr_kernarg_preload_offset 0
		.amdhsa_user_sgpr_private_segment_size 0
		.amdhsa_uses_dynamic_stack 0
		.amdhsa_system_sgpr_private_segment_wavefront_offset 0
		.amdhsa_system_sgpr_workgroup_id_x 1
		.amdhsa_system_sgpr_workgroup_id_y 0
		.amdhsa_system_sgpr_workgroup_id_z 0
		.amdhsa_system_sgpr_workgroup_info 0
		.amdhsa_system_vgpr_workitem_id 0
		.amdhsa_next_free_vgpr 1
		.amdhsa_next_free_sgpr 0
		.amdhsa_accum_offset 4
		.amdhsa_reserve_vcc 0
		.amdhsa_reserve_flat_scratch 0
		.amdhsa_float_round_mode_32 0
		.amdhsa_float_round_mode_16_64 0
		.amdhsa_float_denorm_mode_32 3
		.amdhsa_float_denorm_mode_16_64 3
		.amdhsa_dx10_clamp 1
		.amdhsa_ieee_mode 1
		.amdhsa_fp16_overflow 0
		.amdhsa_tg_split 0
		.amdhsa_exception_fp_ieee_invalid_op 0
		.amdhsa_exception_fp_denorm_src 0
		.amdhsa_exception_fp_ieee_div_zero 0
		.amdhsa_exception_fp_ieee_overflow 0
		.amdhsa_exception_fp_ieee_underflow 0
		.amdhsa_exception_fp_ieee_inexact 0
		.amdhsa_exception_int_div_zero 0
	.end_amdhsa_kernel
	.section	.text._ZN7rocprim17ROCPRIM_400000_NS6detail17trampoline_kernelINS0_14default_configENS1_20scan_config_selectorIdEEZZNS1_9scan_implILNS1_25lookback_scan_determinismE0ELb0ELb0ES3_N6thrust23THRUST_200600_302600_NS6detail15normal_iteratorINS9_10device_ptrIdEEEENS9_16discard_iteratorINS9_11use_defaultEEEd11max_functorIdEdEEDaPvRmT3_T4_T5_mT6_P12ihipStream_tbENKUlT_T0_E_clISt17integral_constantIbLb0EESW_IbLb1EEEEDaSS_ST_EUlSS_E0_NS1_11comp_targetILNS1_3genE9ELNS1_11target_archE1100ELNS1_3gpuE3ELNS1_3repE0EEENS1_30default_config_static_selectorELNS0_4arch9wavefront6targetE1EEEvT1_,"axG",@progbits,_ZN7rocprim17ROCPRIM_400000_NS6detail17trampoline_kernelINS0_14default_configENS1_20scan_config_selectorIdEEZZNS1_9scan_implILNS1_25lookback_scan_determinismE0ELb0ELb0ES3_N6thrust23THRUST_200600_302600_NS6detail15normal_iteratorINS9_10device_ptrIdEEEENS9_16discard_iteratorINS9_11use_defaultEEEd11max_functorIdEdEEDaPvRmT3_T4_T5_mT6_P12ihipStream_tbENKUlT_T0_E_clISt17integral_constantIbLb0EESW_IbLb1EEEEDaSS_ST_EUlSS_E0_NS1_11comp_targetILNS1_3genE9ELNS1_11target_archE1100ELNS1_3gpuE3ELNS1_3repE0EEENS1_30default_config_static_selectorELNS0_4arch9wavefront6targetE1EEEvT1_,comdat
.Lfunc_end3060:
	.size	_ZN7rocprim17ROCPRIM_400000_NS6detail17trampoline_kernelINS0_14default_configENS1_20scan_config_selectorIdEEZZNS1_9scan_implILNS1_25lookback_scan_determinismE0ELb0ELb0ES3_N6thrust23THRUST_200600_302600_NS6detail15normal_iteratorINS9_10device_ptrIdEEEENS9_16discard_iteratorINS9_11use_defaultEEEd11max_functorIdEdEEDaPvRmT3_T4_T5_mT6_P12ihipStream_tbENKUlT_T0_E_clISt17integral_constantIbLb0EESW_IbLb1EEEEDaSS_ST_EUlSS_E0_NS1_11comp_targetILNS1_3genE9ELNS1_11target_archE1100ELNS1_3gpuE3ELNS1_3repE0EEENS1_30default_config_static_selectorELNS0_4arch9wavefront6targetE1EEEvT1_, .Lfunc_end3060-_ZN7rocprim17ROCPRIM_400000_NS6detail17trampoline_kernelINS0_14default_configENS1_20scan_config_selectorIdEEZZNS1_9scan_implILNS1_25lookback_scan_determinismE0ELb0ELb0ES3_N6thrust23THRUST_200600_302600_NS6detail15normal_iteratorINS9_10device_ptrIdEEEENS9_16discard_iteratorINS9_11use_defaultEEEd11max_functorIdEdEEDaPvRmT3_T4_T5_mT6_P12ihipStream_tbENKUlT_T0_E_clISt17integral_constantIbLb0EESW_IbLb1EEEEDaSS_ST_EUlSS_E0_NS1_11comp_targetILNS1_3genE9ELNS1_11target_archE1100ELNS1_3gpuE3ELNS1_3repE0EEENS1_30default_config_static_selectorELNS0_4arch9wavefront6targetE1EEEvT1_
                                        ; -- End function
	.section	.AMDGPU.csdata,"",@progbits
; Kernel info:
; codeLenInByte = 0
; NumSgprs: 4
; NumVgprs: 0
; NumAgprs: 0
; TotalNumVgprs: 0
; ScratchSize: 0
; MemoryBound: 0
; FloatMode: 240
; IeeeMode: 1
; LDSByteSize: 0 bytes/workgroup (compile time only)
; SGPRBlocks: 0
; VGPRBlocks: 0
; NumSGPRsForWavesPerEU: 4
; NumVGPRsForWavesPerEU: 1
; AccumOffset: 4
; Occupancy: 8
; WaveLimiterHint : 0
; COMPUTE_PGM_RSRC2:SCRATCH_EN: 0
; COMPUTE_PGM_RSRC2:USER_SGPR: 6
; COMPUTE_PGM_RSRC2:TRAP_HANDLER: 0
; COMPUTE_PGM_RSRC2:TGID_X_EN: 1
; COMPUTE_PGM_RSRC2:TGID_Y_EN: 0
; COMPUTE_PGM_RSRC2:TGID_Z_EN: 0
; COMPUTE_PGM_RSRC2:TIDIG_COMP_CNT: 0
; COMPUTE_PGM_RSRC3_GFX90A:ACCUM_OFFSET: 0
; COMPUTE_PGM_RSRC3_GFX90A:TG_SPLIT: 0
	.section	.text._ZN7rocprim17ROCPRIM_400000_NS6detail17trampoline_kernelINS0_14default_configENS1_20scan_config_selectorIdEEZZNS1_9scan_implILNS1_25lookback_scan_determinismE0ELb0ELb0ES3_N6thrust23THRUST_200600_302600_NS6detail15normal_iteratorINS9_10device_ptrIdEEEENS9_16discard_iteratorINS9_11use_defaultEEEd11max_functorIdEdEEDaPvRmT3_T4_T5_mT6_P12ihipStream_tbENKUlT_T0_E_clISt17integral_constantIbLb0EESW_IbLb1EEEEDaSS_ST_EUlSS_E0_NS1_11comp_targetILNS1_3genE8ELNS1_11target_archE1030ELNS1_3gpuE2ELNS1_3repE0EEENS1_30default_config_static_selectorELNS0_4arch9wavefront6targetE1EEEvT1_,"axG",@progbits,_ZN7rocprim17ROCPRIM_400000_NS6detail17trampoline_kernelINS0_14default_configENS1_20scan_config_selectorIdEEZZNS1_9scan_implILNS1_25lookback_scan_determinismE0ELb0ELb0ES3_N6thrust23THRUST_200600_302600_NS6detail15normal_iteratorINS9_10device_ptrIdEEEENS9_16discard_iteratorINS9_11use_defaultEEEd11max_functorIdEdEEDaPvRmT3_T4_T5_mT6_P12ihipStream_tbENKUlT_T0_E_clISt17integral_constantIbLb0EESW_IbLb1EEEEDaSS_ST_EUlSS_E0_NS1_11comp_targetILNS1_3genE8ELNS1_11target_archE1030ELNS1_3gpuE2ELNS1_3repE0EEENS1_30default_config_static_selectorELNS0_4arch9wavefront6targetE1EEEvT1_,comdat
	.protected	_ZN7rocprim17ROCPRIM_400000_NS6detail17trampoline_kernelINS0_14default_configENS1_20scan_config_selectorIdEEZZNS1_9scan_implILNS1_25lookback_scan_determinismE0ELb0ELb0ES3_N6thrust23THRUST_200600_302600_NS6detail15normal_iteratorINS9_10device_ptrIdEEEENS9_16discard_iteratorINS9_11use_defaultEEEd11max_functorIdEdEEDaPvRmT3_T4_T5_mT6_P12ihipStream_tbENKUlT_T0_E_clISt17integral_constantIbLb0EESW_IbLb1EEEEDaSS_ST_EUlSS_E0_NS1_11comp_targetILNS1_3genE8ELNS1_11target_archE1030ELNS1_3gpuE2ELNS1_3repE0EEENS1_30default_config_static_selectorELNS0_4arch9wavefront6targetE1EEEvT1_ ; -- Begin function _ZN7rocprim17ROCPRIM_400000_NS6detail17trampoline_kernelINS0_14default_configENS1_20scan_config_selectorIdEEZZNS1_9scan_implILNS1_25lookback_scan_determinismE0ELb0ELb0ES3_N6thrust23THRUST_200600_302600_NS6detail15normal_iteratorINS9_10device_ptrIdEEEENS9_16discard_iteratorINS9_11use_defaultEEEd11max_functorIdEdEEDaPvRmT3_T4_T5_mT6_P12ihipStream_tbENKUlT_T0_E_clISt17integral_constantIbLb0EESW_IbLb1EEEEDaSS_ST_EUlSS_E0_NS1_11comp_targetILNS1_3genE8ELNS1_11target_archE1030ELNS1_3gpuE2ELNS1_3repE0EEENS1_30default_config_static_selectorELNS0_4arch9wavefront6targetE1EEEvT1_
	.globl	_ZN7rocprim17ROCPRIM_400000_NS6detail17trampoline_kernelINS0_14default_configENS1_20scan_config_selectorIdEEZZNS1_9scan_implILNS1_25lookback_scan_determinismE0ELb0ELb0ES3_N6thrust23THRUST_200600_302600_NS6detail15normal_iteratorINS9_10device_ptrIdEEEENS9_16discard_iteratorINS9_11use_defaultEEEd11max_functorIdEdEEDaPvRmT3_T4_T5_mT6_P12ihipStream_tbENKUlT_T0_E_clISt17integral_constantIbLb0EESW_IbLb1EEEEDaSS_ST_EUlSS_E0_NS1_11comp_targetILNS1_3genE8ELNS1_11target_archE1030ELNS1_3gpuE2ELNS1_3repE0EEENS1_30default_config_static_selectorELNS0_4arch9wavefront6targetE1EEEvT1_
	.p2align	8
	.type	_ZN7rocprim17ROCPRIM_400000_NS6detail17trampoline_kernelINS0_14default_configENS1_20scan_config_selectorIdEEZZNS1_9scan_implILNS1_25lookback_scan_determinismE0ELb0ELb0ES3_N6thrust23THRUST_200600_302600_NS6detail15normal_iteratorINS9_10device_ptrIdEEEENS9_16discard_iteratorINS9_11use_defaultEEEd11max_functorIdEdEEDaPvRmT3_T4_T5_mT6_P12ihipStream_tbENKUlT_T0_E_clISt17integral_constantIbLb0EESW_IbLb1EEEEDaSS_ST_EUlSS_E0_NS1_11comp_targetILNS1_3genE8ELNS1_11target_archE1030ELNS1_3gpuE2ELNS1_3repE0EEENS1_30default_config_static_selectorELNS0_4arch9wavefront6targetE1EEEvT1_,@function
_ZN7rocprim17ROCPRIM_400000_NS6detail17trampoline_kernelINS0_14default_configENS1_20scan_config_selectorIdEEZZNS1_9scan_implILNS1_25lookback_scan_determinismE0ELb0ELb0ES3_N6thrust23THRUST_200600_302600_NS6detail15normal_iteratorINS9_10device_ptrIdEEEENS9_16discard_iteratorINS9_11use_defaultEEEd11max_functorIdEdEEDaPvRmT3_T4_T5_mT6_P12ihipStream_tbENKUlT_T0_E_clISt17integral_constantIbLb0EESW_IbLb1EEEEDaSS_ST_EUlSS_E0_NS1_11comp_targetILNS1_3genE8ELNS1_11target_archE1030ELNS1_3gpuE2ELNS1_3repE0EEENS1_30default_config_static_selectorELNS0_4arch9wavefront6targetE1EEEvT1_: ; @_ZN7rocprim17ROCPRIM_400000_NS6detail17trampoline_kernelINS0_14default_configENS1_20scan_config_selectorIdEEZZNS1_9scan_implILNS1_25lookback_scan_determinismE0ELb0ELb0ES3_N6thrust23THRUST_200600_302600_NS6detail15normal_iteratorINS9_10device_ptrIdEEEENS9_16discard_iteratorINS9_11use_defaultEEEd11max_functorIdEdEEDaPvRmT3_T4_T5_mT6_P12ihipStream_tbENKUlT_T0_E_clISt17integral_constantIbLb0EESW_IbLb1EEEEDaSS_ST_EUlSS_E0_NS1_11comp_targetILNS1_3genE8ELNS1_11target_archE1030ELNS1_3gpuE2ELNS1_3repE0EEENS1_30default_config_static_selectorELNS0_4arch9wavefront6targetE1EEEvT1_
; %bb.0:
	.section	.rodata,"a",@progbits
	.p2align	6, 0x0
	.amdhsa_kernel _ZN7rocprim17ROCPRIM_400000_NS6detail17trampoline_kernelINS0_14default_configENS1_20scan_config_selectorIdEEZZNS1_9scan_implILNS1_25lookback_scan_determinismE0ELb0ELb0ES3_N6thrust23THRUST_200600_302600_NS6detail15normal_iteratorINS9_10device_ptrIdEEEENS9_16discard_iteratorINS9_11use_defaultEEEd11max_functorIdEdEEDaPvRmT3_T4_T5_mT6_P12ihipStream_tbENKUlT_T0_E_clISt17integral_constantIbLb0EESW_IbLb1EEEEDaSS_ST_EUlSS_E0_NS1_11comp_targetILNS1_3genE8ELNS1_11target_archE1030ELNS1_3gpuE2ELNS1_3repE0EEENS1_30default_config_static_selectorELNS0_4arch9wavefront6targetE1EEEvT1_
		.amdhsa_group_segment_fixed_size 0
		.amdhsa_private_segment_fixed_size 0
		.amdhsa_kernarg_size 48
		.amdhsa_user_sgpr_count 6
		.amdhsa_user_sgpr_private_segment_buffer 1
		.amdhsa_user_sgpr_dispatch_ptr 0
		.amdhsa_user_sgpr_queue_ptr 0
		.amdhsa_user_sgpr_kernarg_segment_ptr 1
		.amdhsa_user_sgpr_dispatch_id 0
		.amdhsa_user_sgpr_flat_scratch_init 0
		.amdhsa_user_sgpr_kernarg_preload_length 0
		.amdhsa_user_sgpr_kernarg_preload_offset 0
		.amdhsa_user_sgpr_private_segment_size 0
		.amdhsa_uses_dynamic_stack 0
		.amdhsa_system_sgpr_private_segment_wavefront_offset 0
		.amdhsa_system_sgpr_workgroup_id_x 1
		.amdhsa_system_sgpr_workgroup_id_y 0
		.amdhsa_system_sgpr_workgroup_id_z 0
		.amdhsa_system_sgpr_workgroup_info 0
		.amdhsa_system_vgpr_workitem_id 0
		.amdhsa_next_free_vgpr 1
		.amdhsa_next_free_sgpr 0
		.amdhsa_accum_offset 4
		.amdhsa_reserve_vcc 0
		.amdhsa_reserve_flat_scratch 0
		.amdhsa_float_round_mode_32 0
		.amdhsa_float_round_mode_16_64 0
		.amdhsa_float_denorm_mode_32 3
		.amdhsa_float_denorm_mode_16_64 3
		.amdhsa_dx10_clamp 1
		.amdhsa_ieee_mode 1
		.amdhsa_fp16_overflow 0
		.amdhsa_tg_split 0
		.amdhsa_exception_fp_ieee_invalid_op 0
		.amdhsa_exception_fp_denorm_src 0
		.amdhsa_exception_fp_ieee_div_zero 0
		.amdhsa_exception_fp_ieee_overflow 0
		.amdhsa_exception_fp_ieee_underflow 0
		.amdhsa_exception_fp_ieee_inexact 0
		.amdhsa_exception_int_div_zero 0
	.end_amdhsa_kernel
	.section	.text._ZN7rocprim17ROCPRIM_400000_NS6detail17trampoline_kernelINS0_14default_configENS1_20scan_config_selectorIdEEZZNS1_9scan_implILNS1_25lookback_scan_determinismE0ELb0ELb0ES3_N6thrust23THRUST_200600_302600_NS6detail15normal_iteratorINS9_10device_ptrIdEEEENS9_16discard_iteratorINS9_11use_defaultEEEd11max_functorIdEdEEDaPvRmT3_T4_T5_mT6_P12ihipStream_tbENKUlT_T0_E_clISt17integral_constantIbLb0EESW_IbLb1EEEEDaSS_ST_EUlSS_E0_NS1_11comp_targetILNS1_3genE8ELNS1_11target_archE1030ELNS1_3gpuE2ELNS1_3repE0EEENS1_30default_config_static_selectorELNS0_4arch9wavefront6targetE1EEEvT1_,"axG",@progbits,_ZN7rocprim17ROCPRIM_400000_NS6detail17trampoline_kernelINS0_14default_configENS1_20scan_config_selectorIdEEZZNS1_9scan_implILNS1_25lookback_scan_determinismE0ELb0ELb0ES3_N6thrust23THRUST_200600_302600_NS6detail15normal_iteratorINS9_10device_ptrIdEEEENS9_16discard_iteratorINS9_11use_defaultEEEd11max_functorIdEdEEDaPvRmT3_T4_T5_mT6_P12ihipStream_tbENKUlT_T0_E_clISt17integral_constantIbLb0EESW_IbLb1EEEEDaSS_ST_EUlSS_E0_NS1_11comp_targetILNS1_3genE8ELNS1_11target_archE1030ELNS1_3gpuE2ELNS1_3repE0EEENS1_30default_config_static_selectorELNS0_4arch9wavefront6targetE1EEEvT1_,comdat
.Lfunc_end3061:
	.size	_ZN7rocprim17ROCPRIM_400000_NS6detail17trampoline_kernelINS0_14default_configENS1_20scan_config_selectorIdEEZZNS1_9scan_implILNS1_25lookback_scan_determinismE0ELb0ELb0ES3_N6thrust23THRUST_200600_302600_NS6detail15normal_iteratorINS9_10device_ptrIdEEEENS9_16discard_iteratorINS9_11use_defaultEEEd11max_functorIdEdEEDaPvRmT3_T4_T5_mT6_P12ihipStream_tbENKUlT_T0_E_clISt17integral_constantIbLb0EESW_IbLb1EEEEDaSS_ST_EUlSS_E0_NS1_11comp_targetILNS1_3genE8ELNS1_11target_archE1030ELNS1_3gpuE2ELNS1_3repE0EEENS1_30default_config_static_selectorELNS0_4arch9wavefront6targetE1EEEvT1_, .Lfunc_end3061-_ZN7rocprim17ROCPRIM_400000_NS6detail17trampoline_kernelINS0_14default_configENS1_20scan_config_selectorIdEEZZNS1_9scan_implILNS1_25lookback_scan_determinismE0ELb0ELb0ES3_N6thrust23THRUST_200600_302600_NS6detail15normal_iteratorINS9_10device_ptrIdEEEENS9_16discard_iteratorINS9_11use_defaultEEEd11max_functorIdEdEEDaPvRmT3_T4_T5_mT6_P12ihipStream_tbENKUlT_T0_E_clISt17integral_constantIbLb0EESW_IbLb1EEEEDaSS_ST_EUlSS_E0_NS1_11comp_targetILNS1_3genE8ELNS1_11target_archE1030ELNS1_3gpuE2ELNS1_3repE0EEENS1_30default_config_static_selectorELNS0_4arch9wavefront6targetE1EEEvT1_
                                        ; -- End function
	.section	.AMDGPU.csdata,"",@progbits
; Kernel info:
; codeLenInByte = 0
; NumSgprs: 4
; NumVgprs: 0
; NumAgprs: 0
; TotalNumVgprs: 0
; ScratchSize: 0
; MemoryBound: 0
; FloatMode: 240
; IeeeMode: 1
; LDSByteSize: 0 bytes/workgroup (compile time only)
; SGPRBlocks: 0
; VGPRBlocks: 0
; NumSGPRsForWavesPerEU: 4
; NumVGPRsForWavesPerEU: 1
; AccumOffset: 4
; Occupancy: 8
; WaveLimiterHint : 0
; COMPUTE_PGM_RSRC2:SCRATCH_EN: 0
; COMPUTE_PGM_RSRC2:USER_SGPR: 6
; COMPUTE_PGM_RSRC2:TRAP_HANDLER: 0
; COMPUTE_PGM_RSRC2:TGID_X_EN: 1
; COMPUTE_PGM_RSRC2:TGID_Y_EN: 0
; COMPUTE_PGM_RSRC2:TGID_Z_EN: 0
; COMPUTE_PGM_RSRC2:TIDIG_COMP_CNT: 0
; COMPUTE_PGM_RSRC3_GFX90A:ACCUM_OFFSET: 0
; COMPUTE_PGM_RSRC3_GFX90A:TG_SPLIT: 0
	.section	.text._ZN7rocprim17ROCPRIM_400000_NS6detail17trampoline_kernelINS0_14default_configENS1_20scan_config_selectorIdEEZZNS1_9scan_implILNS1_25lookback_scan_determinismE0ELb1ELb1ES3_N6thrust23THRUST_200600_302600_NS6detail15normal_iteratorINS9_10device_ptrIdEEEENS9_16discard_iteratorINS9_11use_defaultEEEd11max_functorIdEdEEDaPvRmT3_T4_T5_mT6_P12ihipStream_tbENKUlT_T0_E_clISt17integral_constantIbLb0EESX_EEDaSS_ST_EUlSS_E_NS1_11comp_targetILNS1_3genE0ELNS1_11target_archE4294967295ELNS1_3gpuE0ELNS1_3repE0EEENS1_30default_config_static_selectorELNS0_4arch9wavefront6targetE1EEEvT1_,"axG",@progbits,_ZN7rocprim17ROCPRIM_400000_NS6detail17trampoline_kernelINS0_14default_configENS1_20scan_config_selectorIdEEZZNS1_9scan_implILNS1_25lookback_scan_determinismE0ELb1ELb1ES3_N6thrust23THRUST_200600_302600_NS6detail15normal_iteratorINS9_10device_ptrIdEEEENS9_16discard_iteratorINS9_11use_defaultEEEd11max_functorIdEdEEDaPvRmT3_T4_T5_mT6_P12ihipStream_tbENKUlT_T0_E_clISt17integral_constantIbLb0EESX_EEDaSS_ST_EUlSS_E_NS1_11comp_targetILNS1_3genE0ELNS1_11target_archE4294967295ELNS1_3gpuE0ELNS1_3repE0EEENS1_30default_config_static_selectorELNS0_4arch9wavefront6targetE1EEEvT1_,comdat
	.protected	_ZN7rocprim17ROCPRIM_400000_NS6detail17trampoline_kernelINS0_14default_configENS1_20scan_config_selectorIdEEZZNS1_9scan_implILNS1_25lookback_scan_determinismE0ELb1ELb1ES3_N6thrust23THRUST_200600_302600_NS6detail15normal_iteratorINS9_10device_ptrIdEEEENS9_16discard_iteratorINS9_11use_defaultEEEd11max_functorIdEdEEDaPvRmT3_T4_T5_mT6_P12ihipStream_tbENKUlT_T0_E_clISt17integral_constantIbLb0EESX_EEDaSS_ST_EUlSS_E_NS1_11comp_targetILNS1_3genE0ELNS1_11target_archE4294967295ELNS1_3gpuE0ELNS1_3repE0EEENS1_30default_config_static_selectorELNS0_4arch9wavefront6targetE1EEEvT1_ ; -- Begin function _ZN7rocprim17ROCPRIM_400000_NS6detail17trampoline_kernelINS0_14default_configENS1_20scan_config_selectorIdEEZZNS1_9scan_implILNS1_25lookback_scan_determinismE0ELb1ELb1ES3_N6thrust23THRUST_200600_302600_NS6detail15normal_iteratorINS9_10device_ptrIdEEEENS9_16discard_iteratorINS9_11use_defaultEEEd11max_functorIdEdEEDaPvRmT3_T4_T5_mT6_P12ihipStream_tbENKUlT_T0_E_clISt17integral_constantIbLb0EESX_EEDaSS_ST_EUlSS_E_NS1_11comp_targetILNS1_3genE0ELNS1_11target_archE4294967295ELNS1_3gpuE0ELNS1_3repE0EEENS1_30default_config_static_selectorELNS0_4arch9wavefront6targetE1EEEvT1_
	.globl	_ZN7rocprim17ROCPRIM_400000_NS6detail17trampoline_kernelINS0_14default_configENS1_20scan_config_selectorIdEEZZNS1_9scan_implILNS1_25lookback_scan_determinismE0ELb1ELb1ES3_N6thrust23THRUST_200600_302600_NS6detail15normal_iteratorINS9_10device_ptrIdEEEENS9_16discard_iteratorINS9_11use_defaultEEEd11max_functorIdEdEEDaPvRmT3_T4_T5_mT6_P12ihipStream_tbENKUlT_T0_E_clISt17integral_constantIbLb0EESX_EEDaSS_ST_EUlSS_E_NS1_11comp_targetILNS1_3genE0ELNS1_11target_archE4294967295ELNS1_3gpuE0ELNS1_3repE0EEENS1_30default_config_static_selectorELNS0_4arch9wavefront6targetE1EEEvT1_
	.p2align	8
	.type	_ZN7rocprim17ROCPRIM_400000_NS6detail17trampoline_kernelINS0_14default_configENS1_20scan_config_selectorIdEEZZNS1_9scan_implILNS1_25lookback_scan_determinismE0ELb1ELb1ES3_N6thrust23THRUST_200600_302600_NS6detail15normal_iteratorINS9_10device_ptrIdEEEENS9_16discard_iteratorINS9_11use_defaultEEEd11max_functorIdEdEEDaPvRmT3_T4_T5_mT6_P12ihipStream_tbENKUlT_T0_E_clISt17integral_constantIbLb0EESX_EEDaSS_ST_EUlSS_E_NS1_11comp_targetILNS1_3genE0ELNS1_11target_archE4294967295ELNS1_3gpuE0ELNS1_3repE0EEENS1_30default_config_static_selectorELNS0_4arch9wavefront6targetE1EEEvT1_,@function
_ZN7rocprim17ROCPRIM_400000_NS6detail17trampoline_kernelINS0_14default_configENS1_20scan_config_selectorIdEEZZNS1_9scan_implILNS1_25lookback_scan_determinismE0ELb1ELb1ES3_N6thrust23THRUST_200600_302600_NS6detail15normal_iteratorINS9_10device_ptrIdEEEENS9_16discard_iteratorINS9_11use_defaultEEEd11max_functorIdEdEEDaPvRmT3_T4_T5_mT6_P12ihipStream_tbENKUlT_T0_E_clISt17integral_constantIbLb0EESX_EEDaSS_ST_EUlSS_E_NS1_11comp_targetILNS1_3genE0ELNS1_11target_archE4294967295ELNS1_3gpuE0ELNS1_3repE0EEENS1_30default_config_static_selectorELNS0_4arch9wavefront6targetE1EEEvT1_: ; @_ZN7rocprim17ROCPRIM_400000_NS6detail17trampoline_kernelINS0_14default_configENS1_20scan_config_selectorIdEEZZNS1_9scan_implILNS1_25lookback_scan_determinismE0ELb1ELb1ES3_N6thrust23THRUST_200600_302600_NS6detail15normal_iteratorINS9_10device_ptrIdEEEENS9_16discard_iteratorINS9_11use_defaultEEEd11max_functorIdEdEEDaPvRmT3_T4_T5_mT6_P12ihipStream_tbENKUlT_T0_E_clISt17integral_constantIbLb0EESX_EEDaSS_ST_EUlSS_E_NS1_11comp_targetILNS1_3genE0ELNS1_11target_archE4294967295ELNS1_3gpuE0ELNS1_3repE0EEENS1_30default_config_static_selectorELNS0_4arch9wavefront6targetE1EEEvT1_
; %bb.0:
	.section	.rodata,"a",@progbits
	.p2align	6, 0x0
	.amdhsa_kernel _ZN7rocprim17ROCPRIM_400000_NS6detail17trampoline_kernelINS0_14default_configENS1_20scan_config_selectorIdEEZZNS1_9scan_implILNS1_25lookback_scan_determinismE0ELb1ELb1ES3_N6thrust23THRUST_200600_302600_NS6detail15normal_iteratorINS9_10device_ptrIdEEEENS9_16discard_iteratorINS9_11use_defaultEEEd11max_functorIdEdEEDaPvRmT3_T4_T5_mT6_P12ihipStream_tbENKUlT_T0_E_clISt17integral_constantIbLb0EESX_EEDaSS_ST_EUlSS_E_NS1_11comp_targetILNS1_3genE0ELNS1_11target_archE4294967295ELNS1_3gpuE0ELNS1_3repE0EEENS1_30default_config_static_selectorELNS0_4arch9wavefront6targetE1EEEvT1_
		.amdhsa_group_segment_fixed_size 0
		.amdhsa_private_segment_fixed_size 0
		.amdhsa_kernarg_size 112
		.amdhsa_user_sgpr_count 6
		.amdhsa_user_sgpr_private_segment_buffer 1
		.amdhsa_user_sgpr_dispatch_ptr 0
		.amdhsa_user_sgpr_queue_ptr 0
		.amdhsa_user_sgpr_kernarg_segment_ptr 1
		.amdhsa_user_sgpr_dispatch_id 0
		.amdhsa_user_sgpr_flat_scratch_init 0
		.amdhsa_user_sgpr_kernarg_preload_length 0
		.amdhsa_user_sgpr_kernarg_preload_offset 0
		.amdhsa_user_sgpr_private_segment_size 0
		.amdhsa_uses_dynamic_stack 0
		.amdhsa_system_sgpr_private_segment_wavefront_offset 0
		.amdhsa_system_sgpr_workgroup_id_x 1
		.amdhsa_system_sgpr_workgroup_id_y 0
		.amdhsa_system_sgpr_workgroup_id_z 0
		.amdhsa_system_sgpr_workgroup_info 0
		.amdhsa_system_vgpr_workitem_id 0
		.amdhsa_next_free_vgpr 1
		.amdhsa_next_free_sgpr 0
		.amdhsa_accum_offset 4
		.amdhsa_reserve_vcc 0
		.amdhsa_reserve_flat_scratch 0
		.amdhsa_float_round_mode_32 0
		.amdhsa_float_round_mode_16_64 0
		.amdhsa_float_denorm_mode_32 3
		.amdhsa_float_denorm_mode_16_64 3
		.amdhsa_dx10_clamp 1
		.amdhsa_ieee_mode 1
		.amdhsa_fp16_overflow 0
		.amdhsa_tg_split 0
		.amdhsa_exception_fp_ieee_invalid_op 0
		.amdhsa_exception_fp_denorm_src 0
		.amdhsa_exception_fp_ieee_div_zero 0
		.amdhsa_exception_fp_ieee_overflow 0
		.amdhsa_exception_fp_ieee_underflow 0
		.amdhsa_exception_fp_ieee_inexact 0
		.amdhsa_exception_int_div_zero 0
	.end_amdhsa_kernel
	.section	.text._ZN7rocprim17ROCPRIM_400000_NS6detail17trampoline_kernelINS0_14default_configENS1_20scan_config_selectorIdEEZZNS1_9scan_implILNS1_25lookback_scan_determinismE0ELb1ELb1ES3_N6thrust23THRUST_200600_302600_NS6detail15normal_iteratorINS9_10device_ptrIdEEEENS9_16discard_iteratorINS9_11use_defaultEEEd11max_functorIdEdEEDaPvRmT3_T4_T5_mT6_P12ihipStream_tbENKUlT_T0_E_clISt17integral_constantIbLb0EESX_EEDaSS_ST_EUlSS_E_NS1_11comp_targetILNS1_3genE0ELNS1_11target_archE4294967295ELNS1_3gpuE0ELNS1_3repE0EEENS1_30default_config_static_selectorELNS0_4arch9wavefront6targetE1EEEvT1_,"axG",@progbits,_ZN7rocprim17ROCPRIM_400000_NS6detail17trampoline_kernelINS0_14default_configENS1_20scan_config_selectorIdEEZZNS1_9scan_implILNS1_25lookback_scan_determinismE0ELb1ELb1ES3_N6thrust23THRUST_200600_302600_NS6detail15normal_iteratorINS9_10device_ptrIdEEEENS9_16discard_iteratorINS9_11use_defaultEEEd11max_functorIdEdEEDaPvRmT3_T4_T5_mT6_P12ihipStream_tbENKUlT_T0_E_clISt17integral_constantIbLb0EESX_EEDaSS_ST_EUlSS_E_NS1_11comp_targetILNS1_3genE0ELNS1_11target_archE4294967295ELNS1_3gpuE0ELNS1_3repE0EEENS1_30default_config_static_selectorELNS0_4arch9wavefront6targetE1EEEvT1_,comdat
.Lfunc_end3062:
	.size	_ZN7rocprim17ROCPRIM_400000_NS6detail17trampoline_kernelINS0_14default_configENS1_20scan_config_selectorIdEEZZNS1_9scan_implILNS1_25lookback_scan_determinismE0ELb1ELb1ES3_N6thrust23THRUST_200600_302600_NS6detail15normal_iteratorINS9_10device_ptrIdEEEENS9_16discard_iteratorINS9_11use_defaultEEEd11max_functorIdEdEEDaPvRmT3_T4_T5_mT6_P12ihipStream_tbENKUlT_T0_E_clISt17integral_constantIbLb0EESX_EEDaSS_ST_EUlSS_E_NS1_11comp_targetILNS1_3genE0ELNS1_11target_archE4294967295ELNS1_3gpuE0ELNS1_3repE0EEENS1_30default_config_static_selectorELNS0_4arch9wavefront6targetE1EEEvT1_, .Lfunc_end3062-_ZN7rocprim17ROCPRIM_400000_NS6detail17trampoline_kernelINS0_14default_configENS1_20scan_config_selectorIdEEZZNS1_9scan_implILNS1_25lookback_scan_determinismE0ELb1ELb1ES3_N6thrust23THRUST_200600_302600_NS6detail15normal_iteratorINS9_10device_ptrIdEEEENS9_16discard_iteratorINS9_11use_defaultEEEd11max_functorIdEdEEDaPvRmT3_T4_T5_mT6_P12ihipStream_tbENKUlT_T0_E_clISt17integral_constantIbLb0EESX_EEDaSS_ST_EUlSS_E_NS1_11comp_targetILNS1_3genE0ELNS1_11target_archE4294967295ELNS1_3gpuE0ELNS1_3repE0EEENS1_30default_config_static_selectorELNS0_4arch9wavefront6targetE1EEEvT1_
                                        ; -- End function
	.section	.AMDGPU.csdata,"",@progbits
; Kernel info:
; codeLenInByte = 0
; NumSgprs: 4
; NumVgprs: 0
; NumAgprs: 0
; TotalNumVgprs: 0
; ScratchSize: 0
; MemoryBound: 0
; FloatMode: 240
; IeeeMode: 1
; LDSByteSize: 0 bytes/workgroup (compile time only)
; SGPRBlocks: 0
; VGPRBlocks: 0
; NumSGPRsForWavesPerEU: 4
; NumVGPRsForWavesPerEU: 1
; AccumOffset: 4
; Occupancy: 8
; WaveLimiterHint : 0
; COMPUTE_PGM_RSRC2:SCRATCH_EN: 0
; COMPUTE_PGM_RSRC2:USER_SGPR: 6
; COMPUTE_PGM_RSRC2:TRAP_HANDLER: 0
; COMPUTE_PGM_RSRC2:TGID_X_EN: 1
; COMPUTE_PGM_RSRC2:TGID_Y_EN: 0
; COMPUTE_PGM_RSRC2:TGID_Z_EN: 0
; COMPUTE_PGM_RSRC2:TIDIG_COMP_CNT: 0
; COMPUTE_PGM_RSRC3_GFX90A:ACCUM_OFFSET: 0
; COMPUTE_PGM_RSRC3_GFX90A:TG_SPLIT: 0
	.section	.text._ZN7rocprim17ROCPRIM_400000_NS6detail17trampoline_kernelINS0_14default_configENS1_20scan_config_selectorIdEEZZNS1_9scan_implILNS1_25lookback_scan_determinismE0ELb1ELb1ES3_N6thrust23THRUST_200600_302600_NS6detail15normal_iteratorINS9_10device_ptrIdEEEENS9_16discard_iteratorINS9_11use_defaultEEEd11max_functorIdEdEEDaPvRmT3_T4_T5_mT6_P12ihipStream_tbENKUlT_T0_E_clISt17integral_constantIbLb0EESX_EEDaSS_ST_EUlSS_E_NS1_11comp_targetILNS1_3genE5ELNS1_11target_archE942ELNS1_3gpuE9ELNS1_3repE0EEENS1_30default_config_static_selectorELNS0_4arch9wavefront6targetE1EEEvT1_,"axG",@progbits,_ZN7rocprim17ROCPRIM_400000_NS6detail17trampoline_kernelINS0_14default_configENS1_20scan_config_selectorIdEEZZNS1_9scan_implILNS1_25lookback_scan_determinismE0ELb1ELb1ES3_N6thrust23THRUST_200600_302600_NS6detail15normal_iteratorINS9_10device_ptrIdEEEENS9_16discard_iteratorINS9_11use_defaultEEEd11max_functorIdEdEEDaPvRmT3_T4_T5_mT6_P12ihipStream_tbENKUlT_T0_E_clISt17integral_constantIbLb0EESX_EEDaSS_ST_EUlSS_E_NS1_11comp_targetILNS1_3genE5ELNS1_11target_archE942ELNS1_3gpuE9ELNS1_3repE0EEENS1_30default_config_static_selectorELNS0_4arch9wavefront6targetE1EEEvT1_,comdat
	.protected	_ZN7rocprim17ROCPRIM_400000_NS6detail17trampoline_kernelINS0_14default_configENS1_20scan_config_selectorIdEEZZNS1_9scan_implILNS1_25lookback_scan_determinismE0ELb1ELb1ES3_N6thrust23THRUST_200600_302600_NS6detail15normal_iteratorINS9_10device_ptrIdEEEENS9_16discard_iteratorINS9_11use_defaultEEEd11max_functorIdEdEEDaPvRmT3_T4_T5_mT6_P12ihipStream_tbENKUlT_T0_E_clISt17integral_constantIbLb0EESX_EEDaSS_ST_EUlSS_E_NS1_11comp_targetILNS1_3genE5ELNS1_11target_archE942ELNS1_3gpuE9ELNS1_3repE0EEENS1_30default_config_static_selectorELNS0_4arch9wavefront6targetE1EEEvT1_ ; -- Begin function _ZN7rocprim17ROCPRIM_400000_NS6detail17trampoline_kernelINS0_14default_configENS1_20scan_config_selectorIdEEZZNS1_9scan_implILNS1_25lookback_scan_determinismE0ELb1ELb1ES3_N6thrust23THRUST_200600_302600_NS6detail15normal_iteratorINS9_10device_ptrIdEEEENS9_16discard_iteratorINS9_11use_defaultEEEd11max_functorIdEdEEDaPvRmT3_T4_T5_mT6_P12ihipStream_tbENKUlT_T0_E_clISt17integral_constantIbLb0EESX_EEDaSS_ST_EUlSS_E_NS1_11comp_targetILNS1_3genE5ELNS1_11target_archE942ELNS1_3gpuE9ELNS1_3repE0EEENS1_30default_config_static_selectorELNS0_4arch9wavefront6targetE1EEEvT1_
	.globl	_ZN7rocprim17ROCPRIM_400000_NS6detail17trampoline_kernelINS0_14default_configENS1_20scan_config_selectorIdEEZZNS1_9scan_implILNS1_25lookback_scan_determinismE0ELb1ELb1ES3_N6thrust23THRUST_200600_302600_NS6detail15normal_iteratorINS9_10device_ptrIdEEEENS9_16discard_iteratorINS9_11use_defaultEEEd11max_functorIdEdEEDaPvRmT3_T4_T5_mT6_P12ihipStream_tbENKUlT_T0_E_clISt17integral_constantIbLb0EESX_EEDaSS_ST_EUlSS_E_NS1_11comp_targetILNS1_3genE5ELNS1_11target_archE942ELNS1_3gpuE9ELNS1_3repE0EEENS1_30default_config_static_selectorELNS0_4arch9wavefront6targetE1EEEvT1_
	.p2align	8
	.type	_ZN7rocprim17ROCPRIM_400000_NS6detail17trampoline_kernelINS0_14default_configENS1_20scan_config_selectorIdEEZZNS1_9scan_implILNS1_25lookback_scan_determinismE0ELb1ELb1ES3_N6thrust23THRUST_200600_302600_NS6detail15normal_iteratorINS9_10device_ptrIdEEEENS9_16discard_iteratorINS9_11use_defaultEEEd11max_functorIdEdEEDaPvRmT3_T4_T5_mT6_P12ihipStream_tbENKUlT_T0_E_clISt17integral_constantIbLb0EESX_EEDaSS_ST_EUlSS_E_NS1_11comp_targetILNS1_3genE5ELNS1_11target_archE942ELNS1_3gpuE9ELNS1_3repE0EEENS1_30default_config_static_selectorELNS0_4arch9wavefront6targetE1EEEvT1_,@function
_ZN7rocprim17ROCPRIM_400000_NS6detail17trampoline_kernelINS0_14default_configENS1_20scan_config_selectorIdEEZZNS1_9scan_implILNS1_25lookback_scan_determinismE0ELb1ELb1ES3_N6thrust23THRUST_200600_302600_NS6detail15normal_iteratorINS9_10device_ptrIdEEEENS9_16discard_iteratorINS9_11use_defaultEEEd11max_functorIdEdEEDaPvRmT3_T4_T5_mT6_P12ihipStream_tbENKUlT_T0_E_clISt17integral_constantIbLb0EESX_EEDaSS_ST_EUlSS_E_NS1_11comp_targetILNS1_3genE5ELNS1_11target_archE942ELNS1_3gpuE9ELNS1_3repE0EEENS1_30default_config_static_selectorELNS0_4arch9wavefront6targetE1EEEvT1_: ; @_ZN7rocprim17ROCPRIM_400000_NS6detail17trampoline_kernelINS0_14default_configENS1_20scan_config_selectorIdEEZZNS1_9scan_implILNS1_25lookback_scan_determinismE0ELb1ELb1ES3_N6thrust23THRUST_200600_302600_NS6detail15normal_iteratorINS9_10device_ptrIdEEEENS9_16discard_iteratorINS9_11use_defaultEEEd11max_functorIdEdEEDaPvRmT3_T4_T5_mT6_P12ihipStream_tbENKUlT_T0_E_clISt17integral_constantIbLb0EESX_EEDaSS_ST_EUlSS_E_NS1_11comp_targetILNS1_3genE5ELNS1_11target_archE942ELNS1_3gpuE9ELNS1_3repE0EEENS1_30default_config_static_selectorELNS0_4arch9wavefront6targetE1EEEvT1_
; %bb.0:
	.section	.rodata,"a",@progbits
	.p2align	6, 0x0
	.amdhsa_kernel _ZN7rocprim17ROCPRIM_400000_NS6detail17trampoline_kernelINS0_14default_configENS1_20scan_config_selectorIdEEZZNS1_9scan_implILNS1_25lookback_scan_determinismE0ELb1ELb1ES3_N6thrust23THRUST_200600_302600_NS6detail15normal_iteratorINS9_10device_ptrIdEEEENS9_16discard_iteratorINS9_11use_defaultEEEd11max_functorIdEdEEDaPvRmT3_T4_T5_mT6_P12ihipStream_tbENKUlT_T0_E_clISt17integral_constantIbLb0EESX_EEDaSS_ST_EUlSS_E_NS1_11comp_targetILNS1_3genE5ELNS1_11target_archE942ELNS1_3gpuE9ELNS1_3repE0EEENS1_30default_config_static_selectorELNS0_4arch9wavefront6targetE1EEEvT1_
		.amdhsa_group_segment_fixed_size 0
		.amdhsa_private_segment_fixed_size 0
		.amdhsa_kernarg_size 112
		.amdhsa_user_sgpr_count 6
		.amdhsa_user_sgpr_private_segment_buffer 1
		.amdhsa_user_sgpr_dispatch_ptr 0
		.amdhsa_user_sgpr_queue_ptr 0
		.amdhsa_user_sgpr_kernarg_segment_ptr 1
		.amdhsa_user_sgpr_dispatch_id 0
		.amdhsa_user_sgpr_flat_scratch_init 0
		.amdhsa_user_sgpr_kernarg_preload_length 0
		.amdhsa_user_sgpr_kernarg_preload_offset 0
		.amdhsa_user_sgpr_private_segment_size 0
		.amdhsa_uses_dynamic_stack 0
		.amdhsa_system_sgpr_private_segment_wavefront_offset 0
		.amdhsa_system_sgpr_workgroup_id_x 1
		.amdhsa_system_sgpr_workgroup_id_y 0
		.amdhsa_system_sgpr_workgroup_id_z 0
		.amdhsa_system_sgpr_workgroup_info 0
		.amdhsa_system_vgpr_workitem_id 0
		.amdhsa_next_free_vgpr 1
		.amdhsa_next_free_sgpr 0
		.amdhsa_accum_offset 4
		.amdhsa_reserve_vcc 0
		.amdhsa_reserve_flat_scratch 0
		.amdhsa_float_round_mode_32 0
		.amdhsa_float_round_mode_16_64 0
		.amdhsa_float_denorm_mode_32 3
		.amdhsa_float_denorm_mode_16_64 3
		.amdhsa_dx10_clamp 1
		.amdhsa_ieee_mode 1
		.amdhsa_fp16_overflow 0
		.amdhsa_tg_split 0
		.amdhsa_exception_fp_ieee_invalid_op 0
		.amdhsa_exception_fp_denorm_src 0
		.amdhsa_exception_fp_ieee_div_zero 0
		.amdhsa_exception_fp_ieee_overflow 0
		.amdhsa_exception_fp_ieee_underflow 0
		.amdhsa_exception_fp_ieee_inexact 0
		.amdhsa_exception_int_div_zero 0
	.end_amdhsa_kernel
	.section	.text._ZN7rocprim17ROCPRIM_400000_NS6detail17trampoline_kernelINS0_14default_configENS1_20scan_config_selectorIdEEZZNS1_9scan_implILNS1_25lookback_scan_determinismE0ELb1ELb1ES3_N6thrust23THRUST_200600_302600_NS6detail15normal_iteratorINS9_10device_ptrIdEEEENS9_16discard_iteratorINS9_11use_defaultEEEd11max_functorIdEdEEDaPvRmT3_T4_T5_mT6_P12ihipStream_tbENKUlT_T0_E_clISt17integral_constantIbLb0EESX_EEDaSS_ST_EUlSS_E_NS1_11comp_targetILNS1_3genE5ELNS1_11target_archE942ELNS1_3gpuE9ELNS1_3repE0EEENS1_30default_config_static_selectorELNS0_4arch9wavefront6targetE1EEEvT1_,"axG",@progbits,_ZN7rocprim17ROCPRIM_400000_NS6detail17trampoline_kernelINS0_14default_configENS1_20scan_config_selectorIdEEZZNS1_9scan_implILNS1_25lookback_scan_determinismE0ELb1ELb1ES3_N6thrust23THRUST_200600_302600_NS6detail15normal_iteratorINS9_10device_ptrIdEEEENS9_16discard_iteratorINS9_11use_defaultEEEd11max_functorIdEdEEDaPvRmT3_T4_T5_mT6_P12ihipStream_tbENKUlT_T0_E_clISt17integral_constantIbLb0EESX_EEDaSS_ST_EUlSS_E_NS1_11comp_targetILNS1_3genE5ELNS1_11target_archE942ELNS1_3gpuE9ELNS1_3repE0EEENS1_30default_config_static_selectorELNS0_4arch9wavefront6targetE1EEEvT1_,comdat
.Lfunc_end3063:
	.size	_ZN7rocprim17ROCPRIM_400000_NS6detail17trampoline_kernelINS0_14default_configENS1_20scan_config_selectorIdEEZZNS1_9scan_implILNS1_25lookback_scan_determinismE0ELb1ELb1ES3_N6thrust23THRUST_200600_302600_NS6detail15normal_iteratorINS9_10device_ptrIdEEEENS9_16discard_iteratorINS9_11use_defaultEEEd11max_functorIdEdEEDaPvRmT3_T4_T5_mT6_P12ihipStream_tbENKUlT_T0_E_clISt17integral_constantIbLb0EESX_EEDaSS_ST_EUlSS_E_NS1_11comp_targetILNS1_3genE5ELNS1_11target_archE942ELNS1_3gpuE9ELNS1_3repE0EEENS1_30default_config_static_selectorELNS0_4arch9wavefront6targetE1EEEvT1_, .Lfunc_end3063-_ZN7rocprim17ROCPRIM_400000_NS6detail17trampoline_kernelINS0_14default_configENS1_20scan_config_selectorIdEEZZNS1_9scan_implILNS1_25lookback_scan_determinismE0ELb1ELb1ES3_N6thrust23THRUST_200600_302600_NS6detail15normal_iteratorINS9_10device_ptrIdEEEENS9_16discard_iteratorINS9_11use_defaultEEEd11max_functorIdEdEEDaPvRmT3_T4_T5_mT6_P12ihipStream_tbENKUlT_T0_E_clISt17integral_constantIbLb0EESX_EEDaSS_ST_EUlSS_E_NS1_11comp_targetILNS1_3genE5ELNS1_11target_archE942ELNS1_3gpuE9ELNS1_3repE0EEENS1_30default_config_static_selectorELNS0_4arch9wavefront6targetE1EEEvT1_
                                        ; -- End function
	.section	.AMDGPU.csdata,"",@progbits
; Kernel info:
; codeLenInByte = 0
; NumSgprs: 4
; NumVgprs: 0
; NumAgprs: 0
; TotalNumVgprs: 0
; ScratchSize: 0
; MemoryBound: 0
; FloatMode: 240
; IeeeMode: 1
; LDSByteSize: 0 bytes/workgroup (compile time only)
; SGPRBlocks: 0
; VGPRBlocks: 0
; NumSGPRsForWavesPerEU: 4
; NumVGPRsForWavesPerEU: 1
; AccumOffset: 4
; Occupancy: 8
; WaveLimiterHint : 0
; COMPUTE_PGM_RSRC2:SCRATCH_EN: 0
; COMPUTE_PGM_RSRC2:USER_SGPR: 6
; COMPUTE_PGM_RSRC2:TRAP_HANDLER: 0
; COMPUTE_PGM_RSRC2:TGID_X_EN: 1
; COMPUTE_PGM_RSRC2:TGID_Y_EN: 0
; COMPUTE_PGM_RSRC2:TGID_Z_EN: 0
; COMPUTE_PGM_RSRC2:TIDIG_COMP_CNT: 0
; COMPUTE_PGM_RSRC3_GFX90A:ACCUM_OFFSET: 0
; COMPUTE_PGM_RSRC3_GFX90A:TG_SPLIT: 0
	.section	.text._ZN7rocprim17ROCPRIM_400000_NS6detail17trampoline_kernelINS0_14default_configENS1_20scan_config_selectorIdEEZZNS1_9scan_implILNS1_25lookback_scan_determinismE0ELb1ELb1ES3_N6thrust23THRUST_200600_302600_NS6detail15normal_iteratorINS9_10device_ptrIdEEEENS9_16discard_iteratorINS9_11use_defaultEEEd11max_functorIdEdEEDaPvRmT3_T4_T5_mT6_P12ihipStream_tbENKUlT_T0_E_clISt17integral_constantIbLb0EESX_EEDaSS_ST_EUlSS_E_NS1_11comp_targetILNS1_3genE4ELNS1_11target_archE910ELNS1_3gpuE8ELNS1_3repE0EEENS1_30default_config_static_selectorELNS0_4arch9wavefront6targetE1EEEvT1_,"axG",@progbits,_ZN7rocprim17ROCPRIM_400000_NS6detail17trampoline_kernelINS0_14default_configENS1_20scan_config_selectorIdEEZZNS1_9scan_implILNS1_25lookback_scan_determinismE0ELb1ELb1ES3_N6thrust23THRUST_200600_302600_NS6detail15normal_iteratorINS9_10device_ptrIdEEEENS9_16discard_iteratorINS9_11use_defaultEEEd11max_functorIdEdEEDaPvRmT3_T4_T5_mT6_P12ihipStream_tbENKUlT_T0_E_clISt17integral_constantIbLb0EESX_EEDaSS_ST_EUlSS_E_NS1_11comp_targetILNS1_3genE4ELNS1_11target_archE910ELNS1_3gpuE8ELNS1_3repE0EEENS1_30default_config_static_selectorELNS0_4arch9wavefront6targetE1EEEvT1_,comdat
	.protected	_ZN7rocprim17ROCPRIM_400000_NS6detail17trampoline_kernelINS0_14default_configENS1_20scan_config_selectorIdEEZZNS1_9scan_implILNS1_25lookback_scan_determinismE0ELb1ELb1ES3_N6thrust23THRUST_200600_302600_NS6detail15normal_iteratorINS9_10device_ptrIdEEEENS9_16discard_iteratorINS9_11use_defaultEEEd11max_functorIdEdEEDaPvRmT3_T4_T5_mT6_P12ihipStream_tbENKUlT_T0_E_clISt17integral_constantIbLb0EESX_EEDaSS_ST_EUlSS_E_NS1_11comp_targetILNS1_3genE4ELNS1_11target_archE910ELNS1_3gpuE8ELNS1_3repE0EEENS1_30default_config_static_selectorELNS0_4arch9wavefront6targetE1EEEvT1_ ; -- Begin function _ZN7rocprim17ROCPRIM_400000_NS6detail17trampoline_kernelINS0_14default_configENS1_20scan_config_selectorIdEEZZNS1_9scan_implILNS1_25lookback_scan_determinismE0ELb1ELb1ES3_N6thrust23THRUST_200600_302600_NS6detail15normal_iteratorINS9_10device_ptrIdEEEENS9_16discard_iteratorINS9_11use_defaultEEEd11max_functorIdEdEEDaPvRmT3_T4_T5_mT6_P12ihipStream_tbENKUlT_T0_E_clISt17integral_constantIbLb0EESX_EEDaSS_ST_EUlSS_E_NS1_11comp_targetILNS1_3genE4ELNS1_11target_archE910ELNS1_3gpuE8ELNS1_3repE0EEENS1_30default_config_static_selectorELNS0_4arch9wavefront6targetE1EEEvT1_
	.globl	_ZN7rocprim17ROCPRIM_400000_NS6detail17trampoline_kernelINS0_14default_configENS1_20scan_config_selectorIdEEZZNS1_9scan_implILNS1_25lookback_scan_determinismE0ELb1ELb1ES3_N6thrust23THRUST_200600_302600_NS6detail15normal_iteratorINS9_10device_ptrIdEEEENS9_16discard_iteratorINS9_11use_defaultEEEd11max_functorIdEdEEDaPvRmT3_T4_T5_mT6_P12ihipStream_tbENKUlT_T0_E_clISt17integral_constantIbLb0EESX_EEDaSS_ST_EUlSS_E_NS1_11comp_targetILNS1_3genE4ELNS1_11target_archE910ELNS1_3gpuE8ELNS1_3repE0EEENS1_30default_config_static_selectorELNS0_4arch9wavefront6targetE1EEEvT1_
	.p2align	8
	.type	_ZN7rocprim17ROCPRIM_400000_NS6detail17trampoline_kernelINS0_14default_configENS1_20scan_config_selectorIdEEZZNS1_9scan_implILNS1_25lookback_scan_determinismE0ELb1ELb1ES3_N6thrust23THRUST_200600_302600_NS6detail15normal_iteratorINS9_10device_ptrIdEEEENS9_16discard_iteratorINS9_11use_defaultEEEd11max_functorIdEdEEDaPvRmT3_T4_T5_mT6_P12ihipStream_tbENKUlT_T0_E_clISt17integral_constantIbLb0EESX_EEDaSS_ST_EUlSS_E_NS1_11comp_targetILNS1_3genE4ELNS1_11target_archE910ELNS1_3gpuE8ELNS1_3repE0EEENS1_30default_config_static_selectorELNS0_4arch9wavefront6targetE1EEEvT1_,@function
_ZN7rocprim17ROCPRIM_400000_NS6detail17trampoline_kernelINS0_14default_configENS1_20scan_config_selectorIdEEZZNS1_9scan_implILNS1_25lookback_scan_determinismE0ELb1ELb1ES3_N6thrust23THRUST_200600_302600_NS6detail15normal_iteratorINS9_10device_ptrIdEEEENS9_16discard_iteratorINS9_11use_defaultEEEd11max_functorIdEdEEDaPvRmT3_T4_T5_mT6_P12ihipStream_tbENKUlT_T0_E_clISt17integral_constantIbLb0EESX_EEDaSS_ST_EUlSS_E_NS1_11comp_targetILNS1_3genE4ELNS1_11target_archE910ELNS1_3gpuE8ELNS1_3repE0EEENS1_30default_config_static_selectorELNS0_4arch9wavefront6targetE1EEEvT1_: ; @_ZN7rocprim17ROCPRIM_400000_NS6detail17trampoline_kernelINS0_14default_configENS1_20scan_config_selectorIdEEZZNS1_9scan_implILNS1_25lookback_scan_determinismE0ELb1ELb1ES3_N6thrust23THRUST_200600_302600_NS6detail15normal_iteratorINS9_10device_ptrIdEEEENS9_16discard_iteratorINS9_11use_defaultEEEd11max_functorIdEdEEDaPvRmT3_T4_T5_mT6_P12ihipStream_tbENKUlT_T0_E_clISt17integral_constantIbLb0EESX_EEDaSS_ST_EUlSS_E_NS1_11comp_targetILNS1_3genE4ELNS1_11target_archE910ELNS1_3gpuE8ELNS1_3repE0EEENS1_30default_config_static_selectorELNS0_4arch9wavefront6targetE1EEEvT1_
; %bb.0:
	s_load_dwordx4 s[0:3], s[4:5], 0x0
	s_load_dwordx4 s[8:11], s[4:5], 0x20
	s_load_dword s7, s[4:5], 0x40
	s_waitcnt lgkmcnt(0)
	s_lshl_b64 s[2:3], s[2:3], 3
	s_add_u32 s20, s0, s2
	s_addc_u32 s21, s1, s3
	s_add_i32 s2, s7, -1
	s_mul_i32 s3, s2, 0x500
	s_sub_u32 s18, s8, s3
	s_subb_u32 s19, s9, 0
	s_mul_i32 s0, s6, 0x500
	s_mov_b32 s1, 0
	s_cmp_lg_u32 s6, s2
	s_cselect_b64 s[8:9], -1, 0
	s_lshl_b64 s[0:1], s[0:1], 3
	s_add_u32 s0, s20, s0
	s_addc_u32 s1, s21, s1
	s_mov_b64 s[2:3], -1
	s_and_b64 vcc, exec, s[8:9]
	s_cbranch_vccz .LBB3064_2
; %bb.1:
	v_lshlrev_b32_e32 v1, 3, v0
	v_mov_b32_e32 v3, s1
	v_add_co_u32_e32 v2, vcc, s0, v1
	v_addc_co_u32_e32 v3, vcc, 0, v3, vcc
	v_add_co_u32_e32 v12, vcc, 0x1000, v2
	v_addc_co_u32_e32 v13, vcc, 0, v3, vcc
	flat_load_dwordx2 v[4:5], v[2:3]
	flat_load_dwordx2 v[6:7], v[2:3] offset:1024
	flat_load_dwordx2 v[8:9], v[2:3] offset:2048
	flat_load_dwordx2 v[10:11], v[2:3] offset:3072
	v_add_co_u32_e32 v2, vcc, 0x2000, v2
	v_addc_co_u32_e32 v3, vcc, 0, v3, vcc
	flat_load_dwordx2 v[14:15], v[12:13]
	flat_load_dwordx2 v[16:17], v[12:13] offset:1024
	flat_load_dwordx2 v[18:19], v[12:13] offset:2048
	;; [unrolled: 1-line block ×3, first 2 shown]
	s_nop 0
	flat_load_dwordx2 v[12:13], v[2:3]
	flat_load_dwordx2 v[22:23], v[2:3] offset:1024
	s_mov_b64 s[2:3], 0
	s_waitcnt vmcnt(0) lgkmcnt(0)
	ds_write2st64_b64 v1, v[4:5], v[6:7] offset1:2
	ds_write2st64_b64 v1, v[8:9], v[10:11] offset0:4 offset1:6
	ds_write2st64_b64 v1, v[14:15], v[16:17] offset0:8 offset1:10
	;; [unrolled: 1-line block ×4, first 2 shown]
	s_waitcnt lgkmcnt(0)
	s_barrier
.LBB3064_2:
	s_load_dwordx2 s[12:13], s[4:5], 0x38
	s_andn2_b64 vcc, exec, s[2:3]
	s_cbranch_vccnz .LBB3064_24
; %bb.3:
	v_pk_mov_b32 v[2:3], s[0:1], s[0:1] op_sel:[0,1]
	flat_load_dwordx2 v[2:3], v[2:3]
	v_cmp_gt_u32_e32 vcc, s18, v0
	s_waitcnt vmcnt(0) lgkmcnt(0)
	v_mov_b32_e32 v4, v2
	v_mov_b32_e32 v5, v3
	v_mov_b32_e32 v6, v2
	v_mov_b32_e32 v7, v3
	v_mov_b32_e32 v8, v2
	v_mov_b32_e32 v9, v3
	v_mov_b32_e32 v10, v2
	v_mov_b32_e32 v11, v3
	v_mov_b32_e32 v12, v2
	v_mov_b32_e32 v13, v3
	v_mov_b32_e32 v14, v2
	v_mov_b32_e32 v15, v3
	v_mov_b32_e32 v16, v2
	v_mov_b32_e32 v17, v3
	v_mov_b32_e32 v18, v2
	v_mov_b32_e32 v19, v3
	v_pk_mov_b32 v[34:35], v[30:31], v[30:31] op_sel:[0,1]
	v_pk_mov_b32 v[32:33], v[28:29], v[28:29] op_sel:[0,1]
	;; [unrolled: 1-line block ×16, first 2 shown]
	s_and_saveexec_b64 s[2:3], vcc
	s_cbranch_execz .LBB3064_5
; %bb.4:
	v_lshlrev_b32_e32 v1, 3, v0
	v_mov_b32_e32 v5, s1
	v_add_co_u32_e32 v4, vcc, s0, v1
	v_addc_co_u32_e32 v5, vcc, 0, v5, vcc
	flat_load_dwordx2 v[36:37], v[4:5]
	v_mov_b32_e32 v4, v2
	v_mov_b32_e32 v5, v3
	;; [unrolled: 1-line block ×16, first 2 shown]
	v_pk_mov_b32 v[34:35], v[30:31], v[30:31] op_sel:[0,1]
	v_pk_mov_b32 v[32:33], v[28:29], v[28:29] op_sel:[0,1]
	;; [unrolled: 1-line block ×16, first 2 shown]
	s_waitcnt vmcnt(0) lgkmcnt(0)
	v_pk_mov_b32 v[2:3], v[36:37], v[36:37] op_sel:[0,1]
.LBB3064_5:
	s_or_b64 exec, exec, s[2:3]
	v_or_b32_e32 v1, 0x80, v0
	v_cmp_gt_u32_e32 vcc, s18, v1
	s_and_saveexec_b64 s[2:3], vcc
	s_cbranch_execz .LBB3064_7
; %bb.6:
	v_lshlrev_b32_e32 v1, 3, v0
	v_mov_b32_e32 v5, s1
	v_add_co_u32_e32 v4, vcc, s0, v1
	v_addc_co_u32_e32 v5, vcc, 0, v5, vcc
	flat_load_dwordx2 v[6:7], v[4:5] offset:1024
.LBB3064_7:
	s_or_b64 exec, exec, s[2:3]
	v_or_b32_e32 v1, 0x100, v0
	v_cmp_gt_u32_e32 vcc, s18, v1
	s_and_saveexec_b64 s[2:3], vcc
	s_cbranch_execz .LBB3064_9
; %bb.8:
	v_lshlrev_b32_e32 v1, 3, v0
	v_mov_b32_e32 v5, s1
	v_add_co_u32_e32 v4, vcc, s0, v1
	v_addc_co_u32_e32 v5, vcc, 0, v5, vcc
	flat_load_dwordx2 v[8:9], v[4:5] offset:2048
.LBB3064_9:
	;; [unrolled: 12-line block ×3, first 2 shown]
	s_or_b64 exec, exec, s[2:3]
	v_or_b32_e32 v1, 0x200, v0
	v_cmp_gt_u32_e32 vcc, s18, v1
	s_and_saveexec_b64 s[2:3], vcc
	s_cbranch_execz .LBB3064_13
; %bb.12:
	v_lshlrev_b32_e32 v1, 3, v1
	v_mov_b32_e32 v5, s1
	v_add_co_u32_e32 v4, vcc, s0, v1
	v_addc_co_u32_e32 v5, vcc, 0, v5, vcc
	flat_load_dwordx2 v[12:13], v[4:5]
.LBB3064_13:
	s_or_b64 exec, exec, s[2:3]
	v_or_b32_e32 v1, 0x280, v0
	v_cmp_gt_u32_e32 vcc, s18, v1
	s_and_saveexec_b64 s[2:3], vcc
	s_cbranch_execz .LBB3064_15
; %bb.14:
	v_lshlrev_b32_e32 v1, 3, v1
	v_mov_b32_e32 v5, s1
	v_add_co_u32_e32 v4, vcc, s0, v1
	v_addc_co_u32_e32 v5, vcc, 0, v5, vcc
	flat_load_dwordx2 v[14:15], v[4:5]
.LBB3064_15:
	;; [unrolled: 12-line block ×6, first 2 shown]
	s_or_b64 exec, exec, s[2:3]
	v_lshlrev_b32_e32 v1, 3, v0
	s_waitcnt vmcnt(0) lgkmcnt(0)
	ds_write2st64_b64 v1, v[2:3], v[6:7] offset1:2
	ds_write2st64_b64 v1, v[8:9], v[10:11] offset0:4 offset1:6
	ds_write2st64_b64 v1, v[12:13], v[14:15] offset0:8 offset1:10
	;; [unrolled: 1-line block ×4, first 2 shown]
	s_waitcnt lgkmcnt(0)
	s_barrier
.LBB3064_24:
	v_mul_u32_u24_e32 v44, 10, v0
	v_lshlrev_b32_e32 v45, 3, v44
	s_waitcnt lgkmcnt(0)
	ds_read_b128 v[14:17], v45
	ds_read_b128 v[10:13], v45 offset:16
	ds_read_b128 v[6:9], v45 offset:32
	;; [unrolled: 1-line block ×4, first 2 shown]
	s_cmp_lg_u32 s6, 0
	s_waitcnt lgkmcnt(4)
	v_cmp_lt_f64_e32 vcc, v[14:15], v[16:17]
	v_mbcnt_lo_u32_b32 v1, -1, 0
	s_waitcnt lgkmcnt(0)
	s_barrier
	s_cbranch_scc0 .LBB3064_81
; %bb.25:
	v_cndmask_b32_e32 v23, v15, v17, vcc
	v_cndmask_b32_e32 v22, v14, v16, vcc
	v_cmp_lt_f64_e32 vcc, v[22:23], v[10:11]
	v_cndmask_b32_e32 v23, v23, v11, vcc
	v_cndmask_b32_e32 v22, v22, v10, vcc
	v_cmp_lt_f64_e32 vcc, v[22:23], v[12:13]
	;; [unrolled: 3-line block ×8, first 2 shown]
	v_mbcnt_hi_u32_b32 v33, -1, v1
	v_cndmask_b32_e32 v23, v23, v21, vcc
	v_cndmask_b32_e32 v22, v22, v20, vcc
	v_and_b32_e32 v26, 15, v33
	v_mov_b32_dpp v25, v23 row_shr:1 row_mask:0xf bank_mask:0xf
	v_mov_b32_dpp v24, v22 row_shr:1 row_mask:0xf bank_mask:0xf
	v_cmp_ne_u32_e32 vcc, 0, v26
	s_and_saveexec_b64 s[0:1], vcc
; %bb.26:
	v_cmp_gt_f64_e32 vcc, v[22:23], v[24:25]
	v_cndmask_b32_e32 v23, v25, v23, vcc
	v_cndmask_b32_e32 v22, v24, v22, vcc
; %bb.27:
	s_or_b64 exec, exec, s[0:1]
	s_nop 0
	v_mov_b32_dpp v24, v22 row_shr:2 row_mask:0xf bank_mask:0xf
	v_mov_b32_dpp v25, v23 row_shr:2 row_mask:0xf bank_mask:0xf
	v_cmp_lt_u32_e32 vcc, 1, v26
	s_and_saveexec_b64 s[0:1], vcc
; %bb.28:
	v_cmp_gt_f64_e32 vcc, v[22:23], v[24:25]
	v_cndmask_b32_e32 v23, v25, v23, vcc
	v_cndmask_b32_e32 v22, v24, v22, vcc
; %bb.29:
	s_or_b64 exec, exec, s[0:1]
	s_nop 0
	v_mov_b32_dpp v24, v22 row_shr:4 row_mask:0xf bank_mask:0xf
	v_mov_b32_dpp v25, v23 row_shr:4 row_mask:0xf bank_mask:0xf
	v_cmp_lt_u32_e32 vcc, 3, v26
	;; [unrolled: 11-line block ×3, first 2 shown]
	s_and_saveexec_b64 s[0:1], vcc
; %bb.32:
	v_cmp_gt_f64_e32 vcc, v[22:23], v[24:25]
	v_cndmask_b32_e32 v23, v25, v23, vcc
	v_cndmask_b32_e32 v22, v24, v22, vcc
; %bb.33:
	s_or_b64 exec, exec, s[0:1]
	v_and_b32_e32 v26, 16, v33
	v_mov_b32_dpp v24, v22 row_bcast:15 row_mask:0xf bank_mask:0xf
	v_mov_b32_dpp v25, v23 row_bcast:15 row_mask:0xf bank_mask:0xf
	v_cmp_ne_u32_e32 vcc, 0, v26
	s_and_saveexec_b64 s[0:1], vcc
; %bb.34:
	v_cmp_gt_f64_e32 vcc, v[22:23], v[24:25]
	v_cndmask_b32_e32 v23, v25, v23, vcc
	v_cndmask_b32_e32 v22, v24, v22, vcc
; %bb.35:
	s_or_b64 exec, exec, s[0:1]
	s_nop 0
	v_mov_b32_dpp v24, v22 row_bcast:31 row_mask:0xf bank_mask:0xf
	v_mov_b32_dpp v25, v23 row_bcast:31 row_mask:0xf bank_mask:0xf
	v_cmp_gt_f64_e32 vcc, v[22:23], v[24:25]
	v_cndmask_b32_e32 v24, v24, v22, vcc
	v_cndmask_b32_e32 v25, v25, v23, vcc
	v_cmp_lt_u32_e32 vcc, 31, v33
	v_cndmask_b32_e32 v23, v23, v25, vcc
	v_or_b32_e32 v25, 63, v0
	v_cndmask_b32_e32 v22, v22, v24, vcc
	v_lshrrev_b32_e32 v24, 6, v0
	v_cmp_eq_u32_e32 vcc, v25, v0
	s_and_saveexec_b64 s[0:1], vcc
	s_cbranch_execz .LBB3064_37
; %bb.36:
	v_lshlrev_b32_e32 v25, 3, v24
	ds_write_b64 v25, v[22:23]
.LBB3064_37:
	s_or_b64 exec, exec, s[0:1]
	v_cmp_gt_u32_e32 vcc, 2, v0
	s_waitcnt lgkmcnt(0)
	s_barrier
	s_and_saveexec_b64 s[2:3], vcc
	s_cbranch_execz .LBB3064_39
; %bb.38:
	v_lshlrev_b32_e32 v25, 3, v0
	ds_read_b64 v[26:27], v25
	v_and_b32_e32 v28, 1, v33
	v_cmp_eq_u32_e32 vcc, 0, v28
	s_waitcnt lgkmcnt(0)
	v_mov_b32_dpp v30, v27 row_shr:1 row_mask:0xf bank_mask:0xf
	v_mov_b32_dpp v28, v26 row_shr:1 row_mask:0xf bank_mask:0xf
	v_mov_b32_e32 v29, v30
	v_cmp_gt_f64_e64 s[0:1], v[26:27], v[28:29]
	s_or_b64 vcc, vcc, s[0:1]
	v_cndmask_b32_e32 v27, v30, v27, vcc
	v_cndmask_b32_e32 v26, v28, v26, vcc
	ds_write_b64 v25, v[26:27]
.LBB3064_39:
	s_or_b64 exec, exec, s[2:3]
	v_cmp_gt_u32_e32 vcc, 64, v0
	v_cmp_lt_u32_e64 s[0:1], 63, v0
	s_waitcnt lgkmcnt(0)
	s_barrier
	s_waitcnt lgkmcnt(0)
                                        ; implicit-def: $vgpr30_vgpr31
	s_and_saveexec_b64 s[2:3], s[0:1]
	s_cbranch_execz .LBB3064_41
; %bb.40:
	v_lshl_add_u32 v24, v24, 3, -8
	ds_read_b64 v[30:31], v24
	s_waitcnt lgkmcnt(0)
	v_cmp_lt_f64_e64 s[0:1], v[30:31], v[22:23]
	v_cndmask_b32_e64 v23, v31, v23, s[0:1]
	v_cndmask_b32_e64 v22, v30, v22, s[0:1]
.LBB3064_41:
	s_or_b64 exec, exec, s[2:3]
	v_add_u32_e32 v24, -1, v33
	v_and_b32_e32 v25, 64, v33
	v_cmp_lt_i32_e64 s[0:1], v24, v25
	v_cndmask_b32_e64 v24, v24, v33, s[0:1]
	v_lshlrev_b32_e32 v24, 2, v24
	ds_bpermute_b32 v38, v24, v22
	ds_bpermute_b32 v39, v24, v23
	v_cmp_eq_u32_e64 s[0:1], 0, v33
	s_and_saveexec_b64 s[14:15], vcc
	s_cbranch_execz .LBB3064_80
; %bb.42:
	v_mov_b32_e32 v25, 0
	ds_read_b64 v[22:23], v25 offset:8
	s_and_saveexec_b64 s[2:3], s[0:1]
	s_cbranch_execz .LBB3064_44
; %bb.43:
	s_add_i32 s16, s6, 64
	s_mov_b32 s17, 0
	s_lshl_b64 s[16:17], s[16:17], 4
	s_add_u32 s16, s12, s16
	s_addc_u32 s17, s13, s17
	v_mov_b32_e32 v24, 1
	v_pk_mov_b32 v[26:27], s[16:17], s[16:17] op_sel:[0,1]
	s_waitcnt lgkmcnt(0)
	;;#ASMSTART
	global_store_dwordx4 v[26:27], v[22:25] off	
s_waitcnt vmcnt(0)
	;;#ASMEND
.LBB3064_44:
	s_or_b64 exec, exec, s[2:3]
	v_xad_u32 v32, v33, -1, s6
	v_add_u32_e32 v24, 64, v32
	v_lshlrev_b64 v[26:27], 4, v[24:25]
	v_mov_b32_e32 v24, s13
	v_add_co_u32_e32 v34, vcc, s12, v26
	v_addc_co_u32_e32 v35, vcc, v24, v27, vcc
	;;#ASMSTART
	global_load_dwordx4 v[26:29], v[34:35] off glc	
s_waitcnt vmcnt(0)
	;;#ASMEND
	v_and_b32_e32 v24, 0xff, v27
	v_and_b32_e32 v29, 0xff00, v27
	v_or3_b32 v24, 0, v24, v29
	v_or3_b32 v26, v26, 0, 0
	v_and_b32_e32 v29, 0xff000000, v27
	v_and_b32_e32 v27, 0xff0000, v27
	v_or3_b32 v27, v24, v27, v29
	v_or3_b32 v26, v26, 0, 0
	v_cmp_eq_u16_sdwa s[16:17], v28, v25 src0_sel:BYTE_0 src1_sel:DWORD
	s_and_saveexec_b64 s[2:3], s[16:17]
	s_cbranch_execz .LBB3064_48
; %bb.45:
	s_mov_b64 s[16:17], 0
	v_mov_b32_e32 v24, 0
.LBB3064_46:                            ; =>This Inner Loop Header: Depth=1
	;;#ASMSTART
	global_load_dwordx4 v[26:29], v[34:35] off glc	
s_waitcnt vmcnt(0)
	;;#ASMEND
	v_cmp_ne_u16_sdwa s[22:23], v28, v24 src0_sel:BYTE_0 src1_sel:DWORD
	s_or_b64 s[16:17], s[22:23], s[16:17]
	s_andn2_b64 exec, exec, s[16:17]
	s_cbranch_execnz .LBB3064_46
; %bb.47:
	s_or_b64 exec, exec, s[16:17]
.LBB3064_48:
	s_or_b64 exec, exec, s[2:3]
	v_and_b32_e32 v40, 63, v33
	v_mov_b32_e32 v24, 2
	v_cmp_ne_u32_e32 vcc, 63, v40
	v_cmp_eq_u16_sdwa s[2:3], v28, v24 src0_sel:BYTE_0 src1_sel:DWORD
	v_lshlrev_b64 v[24:25], v33, -1
	v_addc_co_u32_e32 v34, vcc, 0, v33, vcc
	v_and_b32_e32 v29, s3, v25
	v_lshlrev_b32_e32 v41, 2, v34
	v_or_b32_e32 v29, 0x80000000, v29
	ds_bpermute_b32 v34, v41, v26
	ds_bpermute_b32 v35, v41, v27
	v_and_b32_e32 v36, s2, v24
	v_ffbl_b32_e32 v29, v29
	v_add_u32_e32 v29, 32, v29
	v_ffbl_b32_e32 v36, v36
	v_min_u32_e32 v29, v36, v29
	v_cmp_lt_u32_e32 vcc, v40, v29
	s_and_saveexec_b64 s[2:3], vcc
	s_cbranch_execz .LBB3064_50
; %bb.49:
	s_waitcnt lgkmcnt(0)
	v_cmp_lt_f64_e32 vcc, v[34:35], v[26:27]
	v_cndmask_b32_e32 v27, v35, v27, vcc
	v_cndmask_b32_e32 v26, v34, v26, vcc
.LBB3064_50:
	s_or_b64 exec, exec, s[2:3]
	v_cmp_gt_u32_e32 vcc, 62, v40
	s_waitcnt lgkmcnt(1)
	v_cndmask_b32_e64 v34, 0, 1, vcc
	v_lshlrev_b32_e32 v34, 1, v34
	v_add_lshl_u32 v42, v34, v33, 2
	ds_bpermute_b32 v34, v42, v26
	s_waitcnt lgkmcnt(1)
	ds_bpermute_b32 v35, v42, v27
	v_add_u32_e32 v43, 2, v40
	v_cmp_le_u32_e32 vcc, v43, v29
	s_and_saveexec_b64 s[2:3], vcc
	s_cbranch_execz .LBB3064_52
; %bb.51:
	s_waitcnt lgkmcnt(0)
	v_cmp_gt_f64_e32 vcc, v[26:27], v[34:35]
	v_cndmask_b32_e32 v27, v35, v27, vcc
	v_cndmask_b32_e32 v26, v34, v26, vcc
.LBB3064_52:
	s_or_b64 exec, exec, s[2:3]
	v_cmp_gt_u32_e32 vcc, 60, v40
	s_waitcnt lgkmcnt(1)
	v_cndmask_b32_e64 v34, 0, 1, vcc
	v_lshlrev_b32_e32 v34, 2, v34
	v_add_lshl_u32 v46, v34, v33, 2
	ds_bpermute_b32 v34, v46, v26
	s_waitcnt lgkmcnt(1)
	ds_bpermute_b32 v35, v46, v27
	v_add_u32_e32 v47, 4, v40
	v_cmp_le_u32_e32 vcc, v47, v29
	s_and_saveexec_b64 s[2:3], vcc
	s_cbranch_execz .LBB3064_54
; %bb.53:
	s_waitcnt lgkmcnt(0)
	v_cmp_gt_f64_e32 vcc, v[26:27], v[34:35]
	v_cndmask_b32_e32 v27, v35, v27, vcc
	v_cndmask_b32_e32 v26, v34, v26, vcc
.LBB3064_54:
	;; [unrolled: 19-line block ×4, first 2 shown]
	s_or_b64 exec, exec, s[2:3]
	v_cmp_gt_u32_e32 vcc, 32, v40
	s_waitcnt lgkmcnt(1)
	v_cndmask_b32_e64 v34, 0, 1, vcc
	v_lshlrev_b32_e32 v34, 5, v34
	v_add_lshl_u32 v52, v34, v33, 2
	ds_bpermute_b32 v34, v52, v27
	ds_bpermute_b32 v36, v52, v26
	v_add_u32_e32 v53, 32, v40
	v_cmp_gt_u32_e32 vcc, v53, v29
	v_mov_b32_e32 v33, 0
	s_waitcnt lgkmcnt(1)
	v_mov_b32_e32 v37, v34
	s_waitcnt lgkmcnt(0)
	v_cmp_gt_f64_e64 s[2:3], v[26:27], v[36:37]
	s_or_b64 vcc, vcc, s[2:3]
	v_cndmask_b32_e32 v27, v34, v27, vcc
	v_cndmask_b32_e32 v26, v36, v26, vcc
	v_mov_b32_e32 v54, 2
	s_branch .LBB3064_60
.LBB3064_59:                            ;   in Loop: Header=BB3064_60 Depth=1
	s_or_b64 exec, exec, s[2:3]
	s_waitcnt lgkmcnt(1)
	ds_bpermute_b32 v36, v52, v27
	ds_bpermute_b32 v56, v52, v26
	v_cmp_gt_u32_e32 vcc, v53, v29
	v_subrev_u32_e32 v32, 64, v32
	s_waitcnt lgkmcnt(1)
	v_mov_b32_e32 v57, v36
	s_waitcnt lgkmcnt(0)
	v_cmp_gt_f64_e64 s[2:3], v[26:27], v[56:57]
	s_or_b64 vcc, vcc, s[2:3]
	v_cndmask_b32_e32 v27, v36, v27, vcc
	v_cndmask_b32_e32 v26, v56, v26, vcc
	v_cmp_lt_f64_e32 vcc, v[26:27], v[34:35]
	v_cndmask_b32_e32 v27, v27, v35, vcc
	v_cndmask_b32_e32 v26, v26, v34, vcc
.LBB3064_60:                            ; =>This Loop Header: Depth=1
                                        ;     Child Loop BB3064_63 Depth 2
	v_cmp_ne_u16_sdwa s[2:3], v28, v54 src0_sel:BYTE_0 src1_sel:DWORD
	v_cndmask_b32_e64 v28, 0, 1, s[2:3]
	;;#ASMSTART
	;;#ASMEND
	v_cmp_ne_u32_e32 vcc, 0, v28
	s_cmp_lg_u64 vcc, exec
	v_pk_mov_b32 v[34:35], v[26:27], v[26:27] op_sel:[0,1]
	s_cbranch_scc1 .LBB3064_75
; %bb.61:                               ;   in Loop: Header=BB3064_60 Depth=1
	v_lshlrev_b64 v[26:27], 4, v[32:33]
	v_mov_b32_e32 v28, s13
	v_add_co_u32_e32 v36, vcc, s12, v26
	v_addc_co_u32_e32 v37, vcc, v28, v27, vcc
	;;#ASMSTART
	global_load_dwordx4 v[26:29], v[36:37] off glc	
s_waitcnt vmcnt(0)
	;;#ASMEND
	v_and_b32_e32 v29, 0xff, v27
	v_and_b32_e32 v55, 0xff00, v27
	v_or3_b32 v29, 0, v29, v55
	v_or3_b32 v26, v26, 0, 0
	v_and_b32_e32 v55, 0xff000000, v27
	v_and_b32_e32 v27, 0xff0000, v27
	v_or3_b32 v27, v29, v27, v55
	v_or3_b32 v26, v26, 0, 0
	v_cmp_eq_u16_sdwa s[16:17], v28, v33 src0_sel:BYTE_0 src1_sel:DWORD
	s_and_saveexec_b64 s[2:3], s[16:17]
	s_cbranch_execz .LBB3064_65
; %bb.62:                               ;   in Loop: Header=BB3064_60 Depth=1
	s_mov_b64 s[16:17], 0
.LBB3064_63:                            ;   Parent Loop BB3064_60 Depth=1
                                        ; =>  This Inner Loop Header: Depth=2
	;;#ASMSTART
	global_load_dwordx4 v[26:29], v[36:37] off glc	
s_waitcnt vmcnt(0)
	;;#ASMEND
	v_cmp_ne_u16_sdwa s[22:23], v28, v33 src0_sel:BYTE_0 src1_sel:DWORD
	s_or_b64 s[16:17], s[22:23], s[16:17]
	s_andn2_b64 exec, exec, s[16:17]
	s_cbranch_execnz .LBB3064_63
; %bb.64:                               ;   in Loop: Header=BB3064_60 Depth=1
	s_or_b64 exec, exec, s[16:17]
.LBB3064_65:                            ;   in Loop: Header=BB3064_60 Depth=1
	s_or_b64 exec, exec, s[2:3]
	v_cmp_eq_u16_sdwa s[2:3], v28, v54 src0_sel:BYTE_0 src1_sel:DWORD
	v_and_b32_e32 v29, s3, v25
	v_or_b32_e32 v29, 0x80000000, v29
	ds_bpermute_b32 v36, v41, v26
	ds_bpermute_b32 v37, v41, v27
	v_and_b32_e32 v55, s2, v24
	v_ffbl_b32_e32 v29, v29
	v_add_u32_e32 v29, 32, v29
	v_ffbl_b32_e32 v55, v55
	v_min_u32_e32 v29, v55, v29
	v_cmp_lt_u32_e32 vcc, v40, v29
	s_and_saveexec_b64 s[2:3], vcc
	s_cbranch_execz .LBB3064_67
; %bb.66:                               ;   in Loop: Header=BB3064_60 Depth=1
	s_waitcnt lgkmcnt(0)
	v_cmp_lt_f64_e32 vcc, v[36:37], v[26:27]
	v_cndmask_b32_e32 v27, v37, v27, vcc
	v_cndmask_b32_e32 v26, v36, v26, vcc
.LBB3064_67:                            ;   in Loop: Header=BB3064_60 Depth=1
	s_or_b64 exec, exec, s[2:3]
	s_waitcnt lgkmcnt(1)
	ds_bpermute_b32 v36, v42, v26
	s_waitcnt lgkmcnt(1)
	ds_bpermute_b32 v37, v42, v27
	v_cmp_le_u32_e32 vcc, v43, v29
	s_and_saveexec_b64 s[2:3], vcc
	s_cbranch_execz .LBB3064_69
; %bb.68:                               ;   in Loop: Header=BB3064_60 Depth=1
	s_waitcnt lgkmcnt(0)
	v_cmp_gt_f64_e32 vcc, v[26:27], v[36:37]
	v_cndmask_b32_e32 v27, v37, v27, vcc
	v_cndmask_b32_e32 v26, v36, v26, vcc
.LBB3064_69:                            ;   in Loop: Header=BB3064_60 Depth=1
	s_or_b64 exec, exec, s[2:3]
	s_waitcnt lgkmcnt(1)
	ds_bpermute_b32 v36, v46, v26
	s_waitcnt lgkmcnt(1)
	ds_bpermute_b32 v37, v46, v27
	v_cmp_le_u32_e32 vcc, v47, v29
	s_and_saveexec_b64 s[2:3], vcc
	s_cbranch_execz .LBB3064_71
; %bb.70:                               ;   in Loop: Header=BB3064_60 Depth=1
	s_waitcnt lgkmcnt(0)
	v_cmp_gt_f64_e32 vcc, v[26:27], v[36:37]
	v_cndmask_b32_e32 v27, v37, v27, vcc
	v_cndmask_b32_e32 v26, v36, v26, vcc
.LBB3064_71:                            ;   in Loop: Header=BB3064_60 Depth=1
	;; [unrolled: 14-line block ×3, first 2 shown]
	s_or_b64 exec, exec, s[2:3]
	s_waitcnt lgkmcnt(1)
	ds_bpermute_b32 v36, v50, v26
	s_waitcnt lgkmcnt(1)
	ds_bpermute_b32 v37, v50, v27
	v_cmp_le_u32_e32 vcc, v51, v29
	s_and_saveexec_b64 s[2:3], vcc
	s_cbranch_execz .LBB3064_59
; %bb.74:                               ;   in Loop: Header=BB3064_60 Depth=1
	s_waitcnt lgkmcnt(0)
	v_cmp_gt_f64_e32 vcc, v[26:27], v[36:37]
	v_cndmask_b32_e32 v27, v37, v27, vcc
	v_cndmask_b32_e32 v26, v36, v26, vcc
	s_branch .LBB3064_59
.LBB3064_75:                            ;   in Loop: Header=BB3064_60 Depth=1
                                        ; implicit-def: $vgpr26_vgpr27
                                        ; implicit-def: $vgpr28
	s_cbranch_execz .LBB3064_60
; %bb.76:
	s_and_saveexec_b64 s[2:3], s[0:1]
	s_cbranch_execz .LBB3064_78
; %bb.77:
	s_add_i32 s6, s6, 64
	s_mov_b32 s7, 0
	s_lshl_b64 s[6:7], s[6:7], 4
	s_add_u32 s6, s12, s6
	v_cmp_lt_f64_e32 vcc, v[34:35], v[22:23]
	s_addc_u32 s7, s13, s7
	v_cndmask_b32_e32 v23, v35, v23, vcc
	v_cndmask_b32_e32 v22, v34, v22, vcc
	v_mov_b32_e32 v24, 2
	v_mov_b32_e32 v25, 0
	v_pk_mov_b32 v[26:27], s[6:7], s[6:7] op_sel:[0,1]
	;;#ASMSTART
	global_store_dwordx4 v[26:27], v[22:25] off	
s_waitcnt vmcnt(0)
	;;#ASMEND
.LBB3064_78:
	s_or_b64 exec, exec, s[2:3]
	v_cmp_eq_u32_e32 vcc, 0, v0
	s_and_b64 exec, exec, vcc
	s_cbranch_execz .LBB3064_80
; %bb.79:
	v_mov_b32_e32 v22, 0
	ds_write_b64 v22, v[34:35] offset:8
.LBB3064_80:
	s_or_b64 exec, exec, s[14:15]
	v_mov_b32_e32 v22, 0
	s_waitcnt lgkmcnt(0)
	s_barrier
	ds_read_b64 v[22:23], v22 offset:8
	v_cndmask_b32_e64 v25, v39, v31, s[0:1]
	v_cndmask_b32_e64 v24, v38, v30, s[0:1]
	s_waitcnt lgkmcnt(0)
	v_cmp_lt_f64_e32 vcc, v[22:23], v[24:25]
	v_cndmask_b32_e32 v24, v22, v24, vcc
	v_cndmask_b32_e32 v25, v23, v25, vcc
	v_cmp_eq_u32_e32 vcc, 0, v0
	v_cndmask_b32_e32 v23, v25, v23, vcc
	v_cndmask_b32_e32 v22, v24, v22, vcc
	v_cmp_lt_f64_e32 vcc, v[22:23], v[14:15]
	v_cndmask_b32_e32 v25, v23, v15, vcc
	v_cndmask_b32_e32 v24, v22, v14, vcc
	v_cmp_lt_f64_e32 vcc, v[24:25], v[16:17]
	;; [unrolled: 3-line block ×9, first 2 shown]
	v_cndmask_b32_e32 v41, v39, v19, vcc
	v_cndmask_b32_e32 v40, v38, v18, vcc
	s_load_dwordx8 s[0:7], s[4:5], 0x48
	s_branch .LBB3064_103
.LBB3064_81:
                                        ; implicit-def: $vgpr40_vgpr41
                                        ; implicit-def: $vgpr36_vgpr37
                                        ; implicit-def: $vgpr32_vgpr33
                                        ; implicit-def: $vgpr28_vgpr29
                                        ; implicit-def: $vgpr24_vgpr25
	s_load_dwordx8 s[0:7], s[4:5], 0x48
	s_cbranch_execz .LBB3064_103
; %bb.82:
	s_waitcnt lgkmcnt(0)
	s_cmp_eq_u64 s[4:5], 0
	v_pk_mov_b32 v[42:43], s[10:11], s[10:11] op_sel:[0,1]
	s_cbranch_scc1 .LBB3064_84
; %bb.83:
	v_mov_b32_e32 v25, s21
	v_add_co_u32_e64 v24, vcc, -8, s20
	v_mov_b32_e32 v22, 0
	v_addc_co_u32_e32 v25, vcc, -1, v25, vcc
	global_load_dwordx2 v[22:23], v22, s[0:1]
	s_nop 0
	flat_load_dwordx2 v[24:25], v[24:25]
	s_waitcnt vmcnt(0) lgkmcnt(0)
	v_cmp_lt_f64_e32 vcc, v[22:23], v[24:25]
	v_cndmask_b32_e32 v43, v23, v25, vcc
	v_cndmask_b32_e32 v42, v22, v24, vcc
.LBB3064_84:
	v_cmp_lt_f64_e32 vcc, v[14:15], v[16:17]
	v_cndmask_b32_e32 v23, v15, v17, vcc
	v_cndmask_b32_e32 v22, v14, v16, vcc
	v_cmp_lt_f64_e32 vcc, v[22:23], v[10:11]
	v_cndmask_b32_e32 v23, v23, v11, vcc
	v_cndmask_b32_e32 v22, v22, v10, vcc
	;; [unrolled: 3-line block ×8, first 2 shown]
	v_cmp_lt_f64_e32 vcc, v[22:23], v[20:21]
	v_mbcnt_hi_u32_b32 v1, -1, v1
	v_cndmask_b32_e32 v21, v23, v21, vcc
	v_cndmask_b32_e32 v20, v22, v20, vcc
	v_and_b32_e32 v24, 15, v1
	v_mov_b32_dpp v23, v21 row_shr:1 row_mask:0xf bank_mask:0xf
	v_mov_b32_dpp v22, v20 row_shr:1 row_mask:0xf bank_mask:0xf
	v_cmp_ne_u32_e32 vcc, 0, v24
	s_and_saveexec_b64 s[0:1], vcc
; %bb.85:
	v_cmp_gt_f64_e32 vcc, v[20:21], v[22:23]
	v_cndmask_b32_e32 v21, v23, v21, vcc
	v_cndmask_b32_e32 v20, v22, v20, vcc
; %bb.86:
	s_or_b64 exec, exec, s[0:1]
	s_nop 0
	v_mov_b32_dpp v22, v20 row_shr:2 row_mask:0xf bank_mask:0xf
	v_mov_b32_dpp v23, v21 row_shr:2 row_mask:0xf bank_mask:0xf
	v_cmp_lt_u32_e32 vcc, 1, v24
	s_and_saveexec_b64 s[0:1], vcc
; %bb.87:
	v_cmp_gt_f64_e32 vcc, v[20:21], v[22:23]
	v_cndmask_b32_e32 v21, v23, v21, vcc
	v_cndmask_b32_e32 v20, v22, v20, vcc
; %bb.88:
	s_or_b64 exec, exec, s[0:1]
	s_nop 0
	v_mov_b32_dpp v22, v20 row_shr:4 row_mask:0xf bank_mask:0xf
	v_mov_b32_dpp v23, v21 row_shr:4 row_mask:0xf bank_mask:0xf
	v_cmp_lt_u32_e32 vcc, 3, v24
	;; [unrolled: 11-line block ×3, first 2 shown]
	s_and_saveexec_b64 s[0:1], vcc
; %bb.91:
	v_cmp_gt_f64_e32 vcc, v[20:21], v[22:23]
	v_cndmask_b32_e32 v21, v23, v21, vcc
	v_cndmask_b32_e32 v20, v22, v20, vcc
; %bb.92:
	s_or_b64 exec, exec, s[0:1]
	v_and_b32_e32 v24, 16, v1
	v_mov_b32_dpp v22, v20 row_bcast:15 row_mask:0xf bank_mask:0xf
	v_mov_b32_dpp v23, v21 row_bcast:15 row_mask:0xf bank_mask:0xf
	v_cmp_ne_u32_e32 vcc, 0, v24
	s_and_saveexec_b64 s[0:1], vcc
; %bb.93:
	v_cmp_gt_f64_e32 vcc, v[20:21], v[22:23]
	v_cndmask_b32_e32 v21, v23, v21, vcc
	v_cndmask_b32_e32 v20, v22, v20, vcc
; %bb.94:
	s_or_b64 exec, exec, s[0:1]
	s_nop 0
	v_mov_b32_dpp v22, v20 row_bcast:31 row_mask:0xf bank_mask:0xf
	v_mov_b32_dpp v23, v21 row_bcast:31 row_mask:0xf bank_mask:0xf
	v_cmp_gt_f64_e32 vcc, v[20:21], v[22:23]
	v_cndmask_b32_e32 v22, v22, v20, vcc
	v_cndmask_b32_e32 v23, v23, v21, vcc
	v_cmp_lt_u32_e32 vcc, 31, v1
	v_cndmask_b32_e32 v20, v20, v22, vcc
	v_or_b32_e32 v22, 63, v0
	v_cndmask_b32_e32 v21, v21, v23, vcc
	v_lshrrev_b32_e32 v24, 6, v0
	v_cmp_eq_u32_e32 vcc, v22, v0
	s_and_saveexec_b64 s[0:1], vcc
	s_cbranch_execz .LBB3064_96
; %bb.95:
	v_lshlrev_b32_e32 v22, 3, v24
	ds_write_b64 v22, v[20:21]
.LBB3064_96:
	s_or_b64 exec, exec, s[0:1]
	v_cmp_gt_u32_e32 vcc, 2, v0
	s_waitcnt lgkmcnt(0)
	s_barrier
	s_and_saveexec_b64 s[4:5], vcc
	s_cbranch_execz .LBB3064_98
; %bb.97:
	s_movk_i32 s0, 0xffb8
	v_mad_i32_i24 v25, v0, s0, v45
	ds_read_b64 v[22:23], v25
	v_and_b32_e32 v26, 1, v1
	v_cmp_eq_u32_e32 vcc, 0, v26
	s_waitcnt lgkmcnt(0)
	v_mov_b32_dpp v28, v23 row_shr:1 row_mask:0xf bank_mask:0xf
	v_mov_b32_dpp v26, v22 row_shr:1 row_mask:0xf bank_mask:0xf
	v_mov_b32_e32 v27, v28
	v_cmp_gt_f64_e64 s[0:1], v[22:23], v[26:27]
	s_or_b64 vcc, vcc, s[0:1]
	v_cndmask_b32_e32 v23, v28, v23, vcc
	v_cndmask_b32_e32 v22, v26, v22, vcc
	ds_write_b64 v25, v[22:23]
.LBB3064_98:
	s_or_b64 exec, exec, s[4:5]
	v_cmp_lt_u32_e32 vcc, 63, v0
	v_pk_mov_b32 v[22:23], v[42:43], v[42:43] op_sel:[0,1]
	s_waitcnt lgkmcnt(0)
	s_barrier
	s_and_saveexec_b64 s[0:1], vcc
	s_cbranch_execz .LBB3064_100
; %bb.99:
	v_lshl_add_u32 v22, v24, 3, -8
	ds_read_b64 v[22:23], v22
	s_waitcnt lgkmcnt(0)
	v_cmp_gt_f64_e32 vcc, v[22:23], v[42:43]
	v_cndmask_b32_e32 v23, v43, v23, vcc
	v_cndmask_b32_e32 v22, v42, v22, vcc
.LBB3064_100:
	s_or_b64 exec, exec, s[0:1]
	v_cmp_lt_f64_e32 vcc, v[22:23], v[20:21]
	v_add_u32_e32 v24, -1, v1
	v_and_b32_e32 v25, 64, v1
	v_cndmask_b32_e32 v21, v23, v21, vcc
	v_cndmask_b32_e32 v20, v22, v20, vcc
	v_cmp_lt_i32_e32 vcc, v24, v25
	v_cndmask_b32_e32 v24, v24, v1, vcc
	v_lshlrev_b32_e32 v24, 2, v24
	ds_bpermute_b32 v20, v24, v20
	ds_bpermute_b32 v21, v24, v21
	v_cmp_eq_u32_e32 vcc, 0, v1
	s_waitcnt lgkmcnt(1)
	v_cndmask_b32_e32 v1, v20, v22, vcc
	s_waitcnt lgkmcnt(0)
	v_cndmask_b32_e32 v20, v21, v23, vcc
	v_cmp_eq_u32_e32 vcc, 0, v0
	v_cndmask_b32_e32 v23, v20, v43, vcc
	v_cndmask_b32_e32 v22, v1, v42, vcc
	v_cmp_lt_f64_e64 s[0:1], v[22:23], v[14:15]
	v_cndmask_b32_e64 v25, v23, v15, s[0:1]
	v_cndmask_b32_e64 v24, v22, v14, s[0:1]
	v_cmp_lt_f64_e64 s[0:1], v[24:25], v[16:17]
	v_cndmask_b32_e64 v27, v25, v17, s[0:1]
	v_cndmask_b32_e64 v26, v24, v16, s[0:1]
	;; [unrolled: 3-line block ×9, first 2 shown]
	s_and_saveexec_b64 s[0:1], vcc
	s_cbranch_execz .LBB3064_102
; %bb.101:
	v_mov_b32_e32 v5, 0
	ds_read_b64 v[2:3], v5 offset:8
	s_add_u32 s4, s12, 0x400
	s_addc_u32 s5, s13, 0
	v_mov_b32_e32 v4, 2
	v_pk_mov_b32 v[6:7], s[4:5], s[4:5] op_sel:[0,1]
	s_waitcnt lgkmcnt(0)
	v_cmp_gt_f64_e32 vcc, v[2:3], v[42:43]
	v_cndmask_b32_e32 v3, v43, v3, vcc
	v_cndmask_b32_e32 v2, v42, v2, vcc
	;;#ASMSTART
	global_store_dwordx4 v[6:7], v[2:5] off	
s_waitcnt vmcnt(0)
	;;#ASMEND
.LBB3064_102:
	s_or_b64 exec, exec, s[0:1]
.LBB3064_103:
	s_waitcnt lgkmcnt(0)
	s_mov_b64 s[0:1], -1
	s_and_b64 vcc, exec, s[8:9]
	s_barrier
	ds_write_b128 v45, v[22:25]
	ds_write_b128 v45, v[26:29] offset:16
	ds_write_b128 v45, v[30:33] offset:32
	;; [unrolled: 1-line block ×4, first 2 shown]
	s_waitcnt lgkmcnt(0)
	s_cbranch_vccz .LBB3064_105
; %bb.104:
	s_barrier
	s_mov_b64 s[0:1], 0
.LBB3064_105:
	s_andn2_b64 vcc, exec, s[0:1]
	s_cbranch_vccnz .LBB3064_141
; %bb.106:
	v_cmp_lt_u64_e64 s[0:1], s[6:7], 2
	s_and_b64 vcc, exec, s[0:1]
	s_barrier
	s_cbranch_vccnz .LBB3064_141
; %bb.107:
	s_add_u32 s0, s18, -1
	s_addc_u32 s1, s19, -1
	s_add_u32 s4, 0, 0x99986000
	s_addc_u32 s5, 0, 0x59
	s_add_i32 s5, s5, 0x19999940
	s_mul_hi_u32 s9, s4, -10
	s_sub_i32 s9, s9, s4
	s_mul_i32 s10, s5, -10
	s_mul_i32 s6, s4, -10
	s_add_i32 s9, s9, s10
	s_mul_hi_u32 s7, s5, s6
	s_mul_i32 s8, s5, s6
	s_mul_i32 s11, s4, s9
	s_mul_hi_u32 s6, s4, s6
	s_mul_hi_u32 s10, s4, s9
	s_add_u32 s6, s6, s11
	s_addc_u32 s10, 0, s10
	s_add_u32 s6, s6, s8
	s_mul_hi_u32 s11, s5, s9
	s_addc_u32 s6, s10, s7
	s_addc_u32 s7, s11, 0
	s_mul_i32 s8, s5, s9
	s_add_u32 s6, s6, s8
	v_mov_b32_e32 v2, s6
	s_addc_u32 s7, 0, s7
	v_add_co_u32_e32 v2, vcc, s4, v2
	s_cmp_lg_u64 vcc, 0
	s_addc_u32 s4, s5, s7
	v_readfirstlane_b32 s7, v2
	s_mul_i32 s6, s0, s4
	s_mul_hi_u32 s8, s0, s7
	s_mul_hi_u32 s5, s0, s4
	s_add_u32 s6, s8, s6
	s_addc_u32 s5, 0, s5
	s_mul_hi_u32 s9, s1, s7
	s_mul_i32 s7, s1, s7
	s_add_u32 s6, s6, s7
	s_mul_hi_u32 s8, s1, s4
	s_addc_u32 s5, s5, s9
	s_addc_u32 s6, s8, 0
	s_mul_i32 s4, s1, s4
	s_add_u32 s4, s5, s4
	s_addc_u32 s5, 0, s6
	s_add_u32 s6, s4, 1
	s_addc_u32 s7, s5, 0
	s_add_u32 s8, s4, 2
	s_mul_i32 s10, s5, 10
	s_mul_hi_u32 s11, s4, 10
	s_addc_u32 s9, s5, 0
	s_add_i32 s11, s11, s10
	s_mul_i32 s10, s4, 10
	v_mov_b32_e32 v2, s10
	v_sub_co_u32_e32 v2, vcc, s0, v2
	s_cmp_lg_u64 vcc, 0
	s_subb_u32 s10, s1, s11
	v_subrev_co_u32_e32 v3, vcc, 10, v2
	s_cmp_lg_u64 vcc, 0
	s_subb_u32 s11, s10, 0
	v_readfirstlane_b32 s12, v3
	s_cmp_gt_u32 s12, 9
	s_cselect_b32 s12, -1, 0
	s_cmp_eq_u32 s11, 0
	s_cselect_b32 s11, s12, -1
	s_cmp_lg_u32 s11, 0
	s_cselect_b32 s6, s8, s6
	v_readfirstlane_b32 s8, v2
	s_cselect_b32 s7, s9, s7
	s_cmp_gt_u32 s8, 9
	s_cselect_b32 s8, -1, 0
	s_cmp_eq_u32 s10, 0
	s_cselect_b32 s8, s8, -1
	s_cmp_lg_u32 s8, 0
	v_mov_b32_e32 v1, 0
	s_cselect_b32 s5, s7, s5
	s_cselect_b32 s4, s6, s4
	v_cmp_eq_u64_e32 vcc, s[4:5], v[0:1]
	s_and_saveexec_b64 s[4:5], vcc
	s_cbranch_execz .LBB3064_141
; %bb.108:
	s_movk_i32 s4, 0xffb8
	v_mad_i32_i24 v2, v0, s4, v45
	v_mul_hi_u32_u24_e32 v1, 10, v0
	v_mov_b32_e32 v3, s1
	v_sub_co_u32_e32 v0, vcc, s0, v44
	v_subb_co_u32_e32 v1, vcc, v3, v1, vcc
	v_cmp_lt_i64_e32 vcc, 4, v[0:1]
	s_and_saveexec_b64 s[0:1], vcc
	s_xor_b64 s[0:1], exec, s[0:1]
	s_cbranch_execz .LBB3064_126
; %bb.109:
	v_cmp_lt_i64_e32 vcc, 6, v[0:1]
	s_and_saveexec_b64 s[4:5], vcc
	s_xor_b64 s[4:5], exec, s[4:5]
	s_cbranch_execz .LBB3064_119
; %bb.110:
	;; [unrolled: 5-line block ×4, first 2 shown]
	ds_read_b64 v[0:1], v2 offset:9216
	v_mov_b32_e32 v2, 0
	s_waitcnt lgkmcnt(0)
	global_store_dwordx2 v2, v[0:1], s[2:3]
                                        ; implicit-def: $vgpr2
.LBB3064_113:
	s_andn2_saveexec_b64 s[8:9], s[8:9]
	s_cbranch_execz .LBB3064_115
; %bb.114:
	ds_read_b64 v[0:1], v2 offset:8192
	v_mov_b32_e32 v2, 0
	s_waitcnt lgkmcnt(0)
	global_store_dwordx2 v2, v[0:1], s[2:3]
.LBB3064_115:
	s_or_b64 exec, exec, s[8:9]
                                        ; implicit-def: $vgpr2
.LBB3064_116:
	s_andn2_saveexec_b64 s[6:7], s[6:7]
	s_cbranch_execz .LBB3064_118
; %bb.117:
	ds_read_b64 v[0:1], v2 offset:7168
	v_mov_b32_e32 v2, 0
	s_waitcnt lgkmcnt(0)
	global_store_dwordx2 v2, v[0:1], s[2:3]
.LBB3064_118:
	s_or_b64 exec, exec, s[6:7]
                                        ; implicit-def: $vgpr2
                                        ; implicit-def: $vgpr0_vgpr1
.LBB3064_119:
	s_andn2_saveexec_b64 s[4:5], s[4:5]
	s_cbranch_execz .LBB3064_125
; %bb.120:
	v_cmp_lt_i64_e32 vcc, 5, v[0:1]
	s_and_saveexec_b64 s[6:7], vcc
	s_xor_b64 s[6:7], exec, s[6:7]
	s_cbranch_execz .LBB3064_122
; %bb.121:
	ds_read_b64 v[0:1], v2 offset:6144
	v_mov_b32_e32 v2, 0
	s_waitcnt lgkmcnt(0)
	global_store_dwordx2 v2, v[0:1], s[2:3]
                                        ; implicit-def: $vgpr2
.LBB3064_122:
	s_andn2_saveexec_b64 s[6:7], s[6:7]
	s_cbranch_execz .LBB3064_124
; %bb.123:
	ds_read_b64 v[0:1], v2 offset:5120
	v_mov_b32_e32 v2, 0
	s_waitcnt lgkmcnt(0)
	global_store_dwordx2 v2, v[0:1], s[2:3]
.LBB3064_124:
	s_or_b64 exec, exec, s[6:7]
.LBB3064_125:
	s_or_b64 exec, exec, s[4:5]
                                        ; implicit-def: $vgpr0_vgpr1
                                        ; implicit-def: $vgpr2
.LBB3064_126:
	s_andn2_saveexec_b64 s[0:1], s[0:1]
	s_cbranch_execz .LBB3064_141
; %bb.127:
	v_cmp_lt_i64_e32 vcc, 2, v[0:1]
	s_and_saveexec_b64 s[0:1], vcc
	s_xor_b64 s[0:1], exec, s[0:1]
	s_cbranch_execz .LBB3064_133
; %bb.128:
	v_cmp_lt_i64_e32 vcc, 3, v[0:1]
	s_and_saveexec_b64 s[4:5], vcc
	s_xor_b64 s[4:5], exec, s[4:5]
	s_cbranch_execz .LBB3064_130
; %bb.129:
	ds_read_b64 v[0:1], v2 offset:4096
	v_mov_b32_e32 v2, 0
	s_waitcnt lgkmcnt(0)
	global_store_dwordx2 v2, v[0:1], s[2:3]
                                        ; implicit-def: $vgpr2
.LBB3064_130:
	s_andn2_saveexec_b64 s[4:5], s[4:5]
	s_cbranch_execz .LBB3064_132
; %bb.131:
	ds_read_b64 v[0:1], v2 offset:3072
	v_mov_b32_e32 v2, 0
	s_waitcnt lgkmcnt(0)
	global_store_dwordx2 v2, v[0:1], s[2:3]
.LBB3064_132:
	s_or_b64 exec, exec, s[4:5]
                                        ; implicit-def: $vgpr0_vgpr1
                                        ; implicit-def: $vgpr2
.LBB3064_133:
	s_andn2_saveexec_b64 s[0:1], s[0:1]
	s_cbranch_execz .LBB3064_141
; %bb.134:
	v_cmp_lt_i64_e32 vcc, 1, v[0:1]
	s_and_saveexec_b64 s[0:1], vcc
	s_xor_b64 s[0:1], exec, s[0:1]
	s_cbranch_execz .LBB3064_136
; %bb.135:
	ds_read_b64 v[0:1], v2 offset:2048
	v_mov_b32_e32 v2, 0
	s_waitcnt lgkmcnt(0)
	global_store_dwordx2 v2, v[0:1], s[2:3]
                                        ; implicit-def: $vgpr2
                                        ; implicit-def: $vgpr0_vgpr1
.LBB3064_136:
	s_andn2_saveexec_b64 s[0:1], s[0:1]
	s_cbranch_execz .LBB3064_141
; %bb.137:
	v_cmp_ne_u64_e32 vcc, 1, v[0:1]
	s_and_saveexec_b64 s[0:1], vcc
	s_xor_b64 s[0:1], exec, s[0:1]
	s_cbranch_execz .LBB3064_139
; %bb.138:
	ds_read_b64 v[0:1], v2
	v_mov_b32_e32 v2, 0
	s_waitcnt lgkmcnt(0)
	global_store_dwordx2 v2, v[0:1], s[2:3]
                                        ; implicit-def: $vgpr2
.LBB3064_139:
	s_andn2_saveexec_b64 s[0:1], s[0:1]
	s_cbranch_execz .LBB3064_141
; %bb.140:
	ds_read_b64 v[0:1], v2 offset:1024
	v_mov_b32_e32 v2, 0
	s_waitcnt lgkmcnt(0)
	global_store_dwordx2 v2, v[0:1], s[2:3]
.LBB3064_141:
	s_endpgm
	.section	.rodata,"a",@progbits
	.p2align	6, 0x0
	.amdhsa_kernel _ZN7rocprim17ROCPRIM_400000_NS6detail17trampoline_kernelINS0_14default_configENS1_20scan_config_selectorIdEEZZNS1_9scan_implILNS1_25lookback_scan_determinismE0ELb1ELb1ES3_N6thrust23THRUST_200600_302600_NS6detail15normal_iteratorINS9_10device_ptrIdEEEENS9_16discard_iteratorINS9_11use_defaultEEEd11max_functorIdEdEEDaPvRmT3_T4_T5_mT6_P12ihipStream_tbENKUlT_T0_E_clISt17integral_constantIbLb0EESX_EEDaSS_ST_EUlSS_E_NS1_11comp_targetILNS1_3genE4ELNS1_11target_archE910ELNS1_3gpuE8ELNS1_3repE0EEENS1_30default_config_static_selectorELNS0_4arch9wavefront6targetE1EEEvT1_
		.amdhsa_group_segment_fixed_size 10240
		.amdhsa_private_segment_fixed_size 0
		.amdhsa_kernarg_size 112
		.amdhsa_user_sgpr_count 6
		.amdhsa_user_sgpr_private_segment_buffer 1
		.amdhsa_user_sgpr_dispatch_ptr 0
		.amdhsa_user_sgpr_queue_ptr 0
		.amdhsa_user_sgpr_kernarg_segment_ptr 1
		.amdhsa_user_sgpr_dispatch_id 0
		.amdhsa_user_sgpr_flat_scratch_init 0
		.amdhsa_user_sgpr_kernarg_preload_length 0
		.amdhsa_user_sgpr_kernarg_preload_offset 0
		.amdhsa_user_sgpr_private_segment_size 0
		.amdhsa_uses_dynamic_stack 0
		.amdhsa_system_sgpr_private_segment_wavefront_offset 0
		.amdhsa_system_sgpr_workgroup_id_x 1
		.amdhsa_system_sgpr_workgroup_id_y 0
		.amdhsa_system_sgpr_workgroup_id_z 0
		.amdhsa_system_sgpr_workgroup_info 0
		.amdhsa_system_vgpr_workitem_id 0
		.amdhsa_next_free_vgpr 58
		.amdhsa_next_free_sgpr 24
		.amdhsa_accum_offset 60
		.amdhsa_reserve_vcc 1
		.amdhsa_reserve_flat_scratch 0
		.amdhsa_float_round_mode_32 0
		.amdhsa_float_round_mode_16_64 0
		.amdhsa_float_denorm_mode_32 3
		.amdhsa_float_denorm_mode_16_64 3
		.amdhsa_dx10_clamp 1
		.amdhsa_ieee_mode 1
		.amdhsa_fp16_overflow 0
		.amdhsa_tg_split 0
		.amdhsa_exception_fp_ieee_invalid_op 0
		.amdhsa_exception_fp_denorm_src 0
		.amdhsa_exception_fp_ieee_div_zero 0
		.amdhsa_exception_fp_ieee_overflow 0
		.amdhsa_exception_fp_ieee_underflow 0
		.amdhsa_exception_fp_ieee_inexact 0
		.amdhsa_exception_int_div_zero 0
	.end_amdhsa_kernel
	.section	.text._ZN7rocprim17ROCPRIM_400000_NS6detail17trampoline_kernelINS0_14default_configENS1_20scan_config_selectorIdEEZZNS1_9scan_implILNS1_25lookback_scan_determinismE0ELb1ELb1ES3_N6thrust23THRUST_200600_302600_NS6detail15normal_iteratorINS9_10device_ptrIdEEEENS9_16discard_iteratorINS9_11use_defaultEEEd11max_functorIdEdEEDaPvRmT3_T4_T5_mT6_P12ihipStream_tbENKUlT_T0_E_clISt17integral_constantIbLb0EESX_EEDaSS_ST_EUlSS_E_NS1_11comp_targetILNS1_3genE4ELNS1_11target_archE910ELNS1_3gpuE8ELNS1_3repE0EEENS1_30default_config_static_selectorELNS0_4arch9wavefront6targetE1EEEvT1_,"axG",@progbits,_ZN7rocprim17ROCPRIM_400000_NS6detail17trampoline_kernelINS0_14default_configENS1_20scan_config_selectorIdEEZZNS1_9scan_implILNS1_25lookback_scan_determinismE0ELb1ELb1ES3_N6thrust23THRUST_200600_302600_NS6detail15normal_iteratorINS9_10device_ptrIdEEEENS9_16discard_iteratorINS9_11use_defaultEEEd11max_functorIdEdEEDaPvRmT3_T4_T5_mT6_P12ihipStream_tbENKUlT_T0_E_clISt17integral_constantIbLb0EESX_EEDaSS_ST_EUlSS_E_NS1_11comp_targetILNS1_3genE4ELNS1_11target_archE910ELNS1_3gpuE8ELNS1_3repE0EEENS1_30default_config_static_selectorELNS0_4arch9wavefront6targetE1EEEvT1_,comdat
.Lfunc_end3064:
	.size	_ZN7rocprim17ROCPRIM_400000_NS6detail17trampoline_kernelINS0_14default_configENS1_20scan_config_selectorIdEEZZNS1_9scan_implILNS1_25lookback_scan_determinismE0ELb1ELb1ES3_N6thrust23THRUST_200600_302600_NS6detail15normal_iteratorINS9_10device_ptrIdEEEENS9_16discard_iteratorINS9_11use_defaultEEEd11max_functorIdEdEEDaPvRmT3_T4_T5_mT6_P12ihipStream_tbENKUlT_T0_E_clISt17integral_constantIbLb0EESX_EEDaSS_ST_EUlSS_E_NS1_11comp_targetILNS1_3genE4ELNS1_11target_archE910ELNS1_3gpuE8ELNS1_3repE0EEENS1_30default_config_static_selectorELNS0_4arch9wavefront6targetE1EEEvT1_, .Lfunc_end3064-_ZN7rocprim17ROCPRIM_400000_NS6detail17trampoline_kernelINS0_14default_configENS1_20scan_config_selectorIdEEZZNS1_9scan_implILNS1_25lookback_scan_determinismE0ELb1ELb1ES3_N6thrust23THRUST_200600_302600_NS6detail15normal_iteratorINS9_10device_ptrIdEEEENS9_16discard_iteratorINS9_11use_defaultEEEd11max_functorIdEdEEDaPvRmT3_T4_T5_mT6_P12ihipStream_tbENKUlT_T0_E_clISt17integral_constantIbLb0EESX_EEDaSS_ST_EUlSS_E_NS1_11comp_targetILNS1_3genE4ELNS1_11target_archE910ELNS1_3gpuE8ELNS1_3repE0EEENS1_30default_config_static_selectorELNS0_4arch9wavefront6targetE1EEEvT1_
                                        ; -- End function
	.section	.AMDGPU.csdata,"",@progbits
; Kernel info:
; codeLenInByte = 5640
; NumSgprs: 28
; NumVgprs: 58
; NumAgprs: 0
; TotalNumVgprs: 58
; ScratchSize: 0
; MemoryBound: 0
; FloatMode: 240
; IeeeMode: 1
; LDSByteSize: 10240 bytes/workgroup (compile time only)
; SGPRBlocks: 3
; VGPRBlocks: 7
; NumSGPRsForWavesPerEU: 28
; NumVGPRsForWavesPerEU: 58
; AccumOffset: 60
; Occupancy: 3
; WaveLimiterHint : 1
; COMPUTE_PGM_RSRC2:SCRATCH_EN: 0
; COMPUTE_PGM_RSRC2:USER_SGPR: 6
; COMPUTE_PGM_RSRC2:TRAP_HANDLER: 0
; COMPUTE_PGM_RSRC2:TGID_X_EN: 1
; COMPUTE_PGM_RSRC2:TGID_Y_EN: 0
; COMPUTE_PGM_RSRC2:TGID_Z_EN: 0
; COMPUTE_PGM_RSRC2:TIDIG_COMP_CNT: 0
; COMPUTE_PGM_RSRC3_GFX90A:ACCUM_OFFSET: 14
; COMPUTE_PGM_RSRC3_GFX90A:TG_SPLIT: 0
	.section	.text._ZN7rocprim17ROCPRIM_400000_NS6detail17trampoline_kernelINS0_14default_configENS1_20scan_config_selectorIdEEZZNS1_9scan_implILNS1_25lookback_scan_determinismE0ELb1ELb1ES3_N6thrust23THRUST_200600_302600_NS6detail15normal_iteratorINS9_10device_ptrIdEEEENS9_16discard_iteratorINS9_11use_defaultEEEd11max_functorIdEdEEDaPvRmT3_T4_T5_mT6_P12ihipStream_tbENKUlT_T0_E_clISt17integral_constantIbLb0EESX_EEDaSS_ST_EUlSS_E_NS1_11comp_targetILNS1_3genE3ELNS1_11target_archE908ELNS1_3gpuE7ELNS1_3repE0EEENS1_30default_config_static_selectorELNS0_4arch9wavefront6targetE1EEEvT1_,"axG",@progbits,_ZN7rocprim17ROCPRIM_400000_NS6detail17trampoline_kernelINS0_14default_configENS1_20scan_config_selectorIdEEZZNS1_9scan_implILNS1_25lookback_scan_determinismE0ELb1ELb1ES3_N6thrust23THRUST_200600_302600_NS6detail15normal_iteratorINS9_10device_ptrIdEEEENS9_16discard_iteratorINS9_11use_defaultEEEd11max_functorIdEdEEDaPvRmT3_T4_T5_mT6_P12ihipStream_tbENKUlT_T0_E_clISt17integral_constantIbLb0EESX_EEDaSS_ST_EUlSS_E_NS1_11comp_targetILNS1_3genE3ELNS1_11target_archE908ELNS1_3gpuE7ELNS1_3repE0EEENS1_30default_config_static_selectorELNS0_4arch9wavefront6targetE1EEEvT1_,comdat
	.protected	_ZN7rocprim17ROCPRIM_400000_NS6detail17trampoline_kernelINS0_14default_configENS1_20scan_config_selectorIdEEZZNS1_9scan_implILNS1_25lookback_scan_determinismE0ELb1ELb1ES3_N6thrust23THRUST_200600_302600_NS6detail15normal_iteratorINS9_10device_ptrIdEEEENS9_16discard_iteratorINS9_11use_defaultEEEd11max_functorIdEdEEDaPvRmT3_T4_T5_mT6_P12ihipStream_tbENKUlT_T0_E_clISt17integral_constantIbLb0EESX_EEDaSS_ST_EUlSS_E_NS1_11comp_targetILNS1_3genE3ELNS1_11target_archE908ELNS1_3gpuE7ELNS1_3repE0EEENS1_30default_config_static_selectorELNS0_4arch9wavefront6targetE1EEEvT1_ ; -- Begin function _ZN7rocprim17ROCPRIM_400000_NS6detail17trampoline_kernelINS0_14default_configENS1_20scan_config_selectorIdEEZZNS1_9scan_implILNS1_25lookback_scan_determinismE0ELb1ELb1ES3_N6thrust23THRUST_200600_302600_NS6detail15normal_iteratorINS9_10device_ptrIdEEEENS9_16discard_iteratorINS9_11use_defaultEEEd11max_functorIdEdEEDaPvRmT3_T4_T5_mT6_P12ihipStream_tbENKUlT_T0_E_clISt17integral_constantIbLb0EESX_EEDaSS_ST_EUlSS_E_NS1_11comp_targetILNS1_3genE3ELNS1_11target_archE908ELNS1_3gpuE7ELNS1_3repE0EEENS1_30default_config_static_selectorELNS0_4arch9wavefront6targetE1EEEvT1_
	.globl	_ZN7rocprim17ROCPRIM_400000_NS6detail17trampoline_kernelINS0_14default_configENS1_20scan_config_selectorIdEEZZNS1_9scan_implILNS1_25lookback_scan_determinismE0ELb1ELb1ES3_N6thrust23THRUST_200600_302600_NS6detail15normal_iteratorINS9_10device_ptrIdEEEENS9_16discard_iteratorINS9_11use_defaultEEEd11max_functorIdEdEEDaPvRmT3_T4_T5_mT6_P12ihipStream_tbENKUlT_T0_E_clISt17integral_constantIbLb0EESX_EEDaSS_ST_EUlSS_E_NS1_11comp_targetILNS1_3genE3ELNS1_11target_archE908ELNS1_3gpuE7ELNS1_3repE0EEENS1_30default_config_static_selectorELNS0_4arch9wavefront6targetE1EEEvT1_
	.p2align	8
	.type	_ZN7rocprim17ROCPRIM_400000_NS6detail17trampoline_kernelINS0_14default_configENS1_20scan_config_selectorIdEEZZNS1_9scan_implILNS1_25lookback_scan_determinismE0ELb1ELb1ES3_N6thrust23THRUST_200600_302600_NS6detail15normal_iteratorINS9_10device_ptrIdEEEENS9_16discard_iteratorINS9_11use_defaultEEEd11max_functorIdEdEEDaPvRmT3_T4_T5_mT6_P12ihipStream_tbENKUlT_T0_E_clISt17integral_constantIbLb0EESX_EEDaSS_ST_EUlSS_E_NS1_11comp_targetILNS1_3genE3ELNS1_11target_archE908ELNS1_3gpuE7ELNS1_3repE0EEENS1_30default_config_static_selectorELNS0_4arch9wavefront6targetE1EEEvT1_,@function
_ZN7rocprim17ROCPRIM_400000_NS6detail17trampoline_kernelINS0_14default_configENS1_20scan_config_selectorIdEEZZNS1_9scan_implILNS1_25lookback_scan_determinismE0ELb1ELb1ES3_N6thrust23THRUST_200600_302600_NS6detail15normal_iteratorINS9_10device_ptrIdEEEENS9_16discard_iteratorINS9_11use_defaultEEEd11max_functorIdEdEEDaPvRmT3_T4_T5_mT6_P12ihipStream_tbENKUlT_T0_E_clISt17integral_constantIbLb0EESX_EEDaSS_ST_EUlSS_E_NS1_11comp_targetILNS1_3genE3ELNS1_11target_archE908ELNS1_3gpuE7ELNS1_3repE0EEENS1_30default_config_static_selectorELNS0_4arch9wavefront6targetE1EEEvT1_: ; @_ZN7rocprim17ROCPRIM_400000_NS6detail17trampoline_kernelINS0_14default_configENS1_20scan_config_selectorIdEEZZNS1_9scan_implILNS1_25lookback_scan_determinismE0ELb1ELb1ES3_N6thrust23THRUST_200600_302600_NS6detail15normal_iteratorINS9_10device_ptrIdEEEENS9_16discard_iteratorINS9_11use_defaultEEEd11max_functorIdEdEEDaPvRmT3_T4_T5_mT6_P12ihipStream_tbENKUlT_T0_E_clISt17integral_constantIbLb0EESX_EEDaSS_ST_EUlSS_E_NS1_11comp_targetILNS1_3genE3ELNS1_11target_archE908ELNS1_3gpuE7ELNS1_3repE0EEENS1_30default_config_static_selectorELNS0_4arch9wavefront6targetE1EEEvT1_
; %bb.0:
	.section	.rodata,"a",@progbits
	.p2align	6, 0x0
	.amdhsa_kernel _ZN7rocprim17ROCPRIM_400000_NS6detail17trampoline_kernelINS0_14default_configENS1_20scan_config_selectorIdEEZZNS1_9scan_implILNS1_25lookback_scan_determinismE0ELb1ELb1ES3_N6thrust23THRUST_200600_302600_NS6detail15normal_iteratorINS9_10device_ptrIdEEEENS9_16discard_iteratorINS9_11use_defaultEEEd11max_functorIdEdEEDaPvRmT3_T4_T5_mT6_P12ihipStream_tbENKUlT_T0_E_clISt17integral_constantIbLb0EESX_EEDaSS_ST_EUlSS_E_NS1_11comp_targetILNS1_3genE3ELNS1_11target_archE908ELNS1_3gpuE7ELNS1_3repE0EEENS1_30default_config_static_selectorELNS0_4arch9wavefront6targetE1EEEvT1_
		.amdhsa_group_segment_fixed_size 0
		.amdhsa_private_segment_fixed_size 0
		.amdhsa_kernarg_size 112
		.amdhsa_user_sgpr_count 6
		.amdhsa_user_sgpr_private_segment_buffer 1
		.amdhsa_user_sgpr_dispatch_ptr 0
		.amdhsa_user_sgpr_queue_ptr 0
		.amdhsa_user_sgpr_kernarg_segment_ptr 1
		.amdhsa_user_sgpr_dispatch_id 0
		.amdhsa_user_sgpr_flat_scratch_init 0
		.amdhsa_user_sgpr_kernarg_preload_length 0
		.amdhsa_user_sgpr_kernarg_preload_offset 0
		.amdhsa_user_sgpr_private_segment_size 0
		.amdhsa_uses_dynamic_stack 0
		.amdhsa_system_sgpr_private_segment_wavefront_offset 0
		.amdhsa_system_sgpr_workgroup_id_x 1
		.amdhsa_system_sgpr_workgroup_id_y 0
		.amdhsa_system_sgpr_workgroup_id_z 0
		.amdhsa_system_sgpr_workgroup_info 0
		.amdhsa_system_vgpr_workitem_id 0
		.amdhsa_next_free_vgpr 1
		.amdhsa_next_free_sgpr 0
		.amdhsa_accum_offset 4
		.amdhsa_reserve_vcc 0
		.amdhsa_reserve_flat_scratch 0
		.amdhsa_float_round_mode_32 0
		.amdhsa_float_round_mode_16_64 0
		.amdhsa_float_denorm_mode_32 3
		.amdhsa_float_denorm_mode_16_64 3
		.amdhsa_dx10_clamp 1
		.amdhsa_ieee_mode 1
		.amdhsa_fp16_overflow 0
		.amdhsa_tg_split 0
		.amdhsa_exception_fp_ieee_invalid_op 0
		.amdhsa_exception_fp_denorm_src 0
		.amdhsa_exception_fp_ieee_div_zero 0
		.amdhsa_exception_fp_ieee_overflow 0
		.amdhsa_exception_fp_ieee_underflow 0
		.amdhsa_exception_fp_ieee_inexact 0
		.amdhsa_exception_int_div_zero 0
	.end_amdhsa_kernel
	.section	.text._ZN7rocprim17ROCPRIM_400000_NS6detail17trampoline_kernelINS0_14default_configENS1_20scan_config_selectorIdEEZZNS1_9scan_implILNS1_25lookback_scan_determinismE0ELb1ELb1ES3_N6thrust23THRUST_200600_302600_NS6detail15normal_iteratorINS9_10device_ptrIdEEEENS9_16discard_iteratorINS9_11use_defaultEEEd11max_functorIdEdEEDaPvRmT3_T4_T5_mT6_P12ihipStream_tbENKUlT_T0_E_clISt17integral_constantIbLb0EESX_EEDaSS_ST_EUlSS_E_NS1_11comp_targetILNS1_3genE3ELNS1_11target_archE908ELNS1_3gpuE7ELNS1_3repE0EEENS1_30default_config_static_selectorELNS0_4arch9wavefront6targetE1EEEvT1_,"axG",@progbits,_ZN7rocprim17ROCPRIM_400000_NS6detail17trampoline_kernelINS0_14default_configENS1_20scan_config_selectorIdEEZZNS1_9scan_implILNS1_25lookback_scan_determinismE0ELb1ELb1ES3_N6thrust23THRUST_200600_302600_NS6detail15normal_iteratorINS9_10device_ptrIdEEEENS9_16discard_iteratorINS9_11use_defaultEEEd11max_functorIdEdEEDaPvRmT3_T4_T5_mT6_P12ihipStream_tbENKUlT_T0_E_clISt17integral_constantIbLb0EESX_EEDaSS_ST_EUlSS_E_NS1_11comp_targetILNS1_3genE3ELNS1_11target_archE908ELNS1_3gpuE7ELNS1_3repE0EEENS1_30default_config_static_selectorELNS0_4arch9wavefront6targetE1EEEvT1_,comdat
.Lfunc_end3065:
	.size	_ZN7rocprim17ROCPRIM_400000_NS6detail17trampoline_kernelINS0_14default_configENS1_20scan_config_selectorIdEEZZNS1_9scan_implILNS1_25lookback_scan_determinismE0ELb1ELb1ES3_N6thrust23THRUST_200600_302600_NS6detail15normal_iteratorINS9_10device_ptrIdEEEENS9_16discard_iteratorINS9_11use_defaultEEEd11max_functorIdEdEEDaPvRmT3_T4_T5_mT6_P12ihipStream_tbENKUlT_T0_E_clISt17integral_constantIbLb0EESX_EEDaSS_ST_EUlSS_E_NS1_11comp_targetILNS1_3genE3ELNS1_11target_archE908ELNS1_3gpuE7ELNS1_3repE0EEENS1_30default_config_static_selectorELNS0_4arch9wavefront6targetE1EEEvT1_, .Lfunc_end3065-_ZN7rocprim17ROCPRIM_400000_NS6detail17trampoline_kernelINS0_14default_configENS1_20scan_config_selectorIdEEZZNS1_9scan_implILNS1_25lookback_scan_determinismE0ELb1ELb1ES3_N6thrust23THRUST_200600_302600_NS6detail15normal_iteratorINS9_10device_ptrIdEEEENS9_16discard_iteratorINS9_11use_defaultEEEd11max_functorIdEdEEDaPvRmT3_T4_T5_mT6_P12ihipStream_tbENKUlT_T0_E_clISt17integral_constantIbLb0EESX_EEDaSS_ST_EUlSS_E_NS1_11comp_targetILNS1_3genE3ELNS1_11target_archE908ELNS1_3gpuE7ELNS1_3repE0EEENS1_30default_config_static_selectorELNS0_4arch9wavefront6targetE1EEEvT1_
                                        ; -- End function
	.section	.AMDGPU.csdata,"",@progbits
; Kernel info:
; codeLenInByte = 0
; NumSgprs: 4
; NumVgprs: 0
; NumAgprs: 0
; TotalNumVgprs: 0
; ScratchSize: 0
; MemoryBound: 0
; FloatMode: 240
; IeeeMode: 1
; LDSByteSize: 0 bytes/workgroup (compile time only)
; SGPRBlocks: 0
; VGPRBlocks: 0
; NumSGPRsForWavesPerEU: 4
; NumVGPRsForWavesPerEU: 1
; AccumOffset: 4
; Occupancy: 8
; WaveLimiterHint : 0
; COMPUTE_PGM_RSRC2:SCRATCH_EN: 0
; COMPUTE_PGM_RSRC2:USER_SGPR: 6
; COMPUTE_PGM_RSRC2:TRAP_HANDLER: 0
; COMPUTE_PGM_RSRC2:TGID_X_EN: 1
; COMPUTE_PGM_RSRC2:TGID_Y_EN: 0
; COMPUTE_PGM_RSRC2:TGID_Z_EN: 0
; COMPUTE_PGM_RSRC2:TIDIG_COMP_CNT: 0
; COMPUTE_PGM_RSRC3_GFX90A:ACCUM_OFFSET: 0
; COMPUTE_PGM_RSRC3_GFX90A:TG_SPLIT: 0
	.section	.text._ZN7rocprim17ROCPRIM_400000_NS6detail17trampoline_kernelINS0_14default_configENS1_20scan_config_selectorIdEEZZNS1_9scan_implILNS1_25lookback_scan_determinismE0ELb1ELb1ES3_N6thrust23THRUST_200600_302600_NS6detail15normal_iteratorINS9_10device_ptrIdEEEENS9_16discard_iteratorINS9_11use_defaultEEEd11max_functorIdEdEEDaPvRmT3_T4_T5_mT6_P12ihipStream_tbENKUlT_T0_E_clISt17integral_constantIbLb0EESX_EEDaSS_ST_EUlSS_E_NS1_11comp_targetILNS1_3genE2ELNS1_11target_archE906ELNS1_3gpuE6ELNS1_3repE0EEENS1_30default_config_static_selectorELNS0_4arch9wavefront6targetE1EEEvT1_,"axG",@progbits,_ZN7rocprim17ROCPRIM_400000_NS6detail17trampoline_kernelINS0_14default_configENS1_20scan_config_selectorIdEEZZNS1_9scan_implILNS1_25lookback_scan_determinismE0ELb1ELb1ES3_N6thrust23THRUST_200600_302600_NS6detail15normal_iteratorINS9_10device_ptrIdEEEENS9_16discard_iteratorINS9_11use_defaultEEEd11max_functorIdEdEEDaPvRmT3_T4_T5_mT6_P12ihipStream_tbENKUlT_T0_E_clISt17integral_constantIbLb0EESX_EEDaSS_ST_EUlSS_E_NS1_11comp_targetILNS1_3genE2ELNS1_11target_archE906ELNS1_3gpuE6ELNS1_3repE0EEENS1_30default_config_static_selectorELNS0_4arch9wavefront6targetE1EEEvT1_,comdat
	.protected	_ZN7rocprim17ROCPRIM_400000_NS6detail17trampoline_kernelINS0_14default_configENS1_20scan_config_selectorIdEEZZNS1_9scan_implILNS1_25lookback_scan_determinismE0ELb1ELb1ES3_N6thrust23THRUST_200600_302600_NS6detail15normal_iteratorINS9_10device_ptrIdEEEENS9_16discard_iteratorINS9_11use_defaultEEEd11max_functorIdEdEEDaPvRmT3_T4_T5_mT6_P12ihipStream_tbENKUlT_T0_E_clISt17integral_constantIbLb0EESX_EEDaSS_ST_EUlSS_E_NS1_11comp_targetILNS1_3genE2ELNS1_11target_archE906ELNS1_3gpuE6ELNS1_3repE0EEENS1_30default_config_static_selectorELNS0_4arch9wavefront6targetE1EEEvT1_ ; -- Begin function _ZN7rocprim17ROCPRIM_400000_NS6detail17trampoline_kernelINS0_14default_configENS1_20scan_config_selectorIdEEZZNS1_9scan_implILNS1_25lookback_scan_determinismE0ELb1ELb1ES3_N6thrust23THRUST_200600_302600_NS6detail15normal_iteratorINS9_10device_ptrIdEEEENS9_16discard_iteratorINS9_11use_defaultEEEd11max_functorIdEdEEDaPvRmT3_T4_T5_mT6_P12ihipStream_tbENKUlT_T0_E_clISt17integral_constantIbLb0EESX_EEDaSS_ST_EUlSS_E_NS1_11comp_targetILNS1_3genE2ELNS1_11target_archE906ELNS1_3gpuE6ELNS1_3repE0EEENS1_30default_config_static_selectorELNS0_4arch9wavefront6targetE1EEEvT1_
	.globl	_ZN7rocprim17ROCPRIM_400000_NS6detail17trampoline_kernelINS0_14default_configENS1_20scan_config_selectorIdEEZZNS1_9scan_implILNS1_25lookback_scan_determinismE0ELb1ELb1ES3_N6thrust23THRUST_200600_302600_NS6detail15normal_iteratorINS9_10device_ptrIdEEEENS9_16discard_iteratorINS9_11use_defaultEEEd11max_functorIdEdEEDaPvRmT3_T4_T5_mT6_P12ihipStream_tbENKUlT_T0_E_clISt17integral_constantIbLb0EESX_EEDaSS_ST_EUlSS_E_NS1_11comp_targetILNS1_3genE2ELNS1_11target_archE906ELNS1_3gpuE6ELNS1_3repE0EEENS1_30default_config_static_selectorELNS0_4arch9wavefront6targetE1EEEvT1_
	.p2align	8
	.type	_ZN7rocprim17ROCPRIM_400000_NS6detail17trampoline_kernelINS0_14default_configENS1_20scan_config_selectorIdEEZZNS1_9scan_implILNS1_25lookback_scan_determinismE0ELb1ELb1ES3_N6thrust23THRUST_200600_302600_NS6detail15normal_iteratorINS9_10device_ptrIdEEEENS9_16discard_iteratorINS9_11use_defaultEEEd11max_functorIdEdEEDaPvRmT3_T4_T5_mT6_P12ihipStream_tbENKUlT_T0_E_clISt17integral_constantIbLb0EESX_EEDaSS_ST_EUlSS_E_NS1_11comp_targetILNS1_3genE2ELNS1_11target_archE906ELNS1_3gpuE6ELNS1_3repE0EEENS1_30default_config_static_selectorELNS0_4arch9wavefront6targetE1EEEvT1_,@function
_ZN7rocprim17ROCPRIM_400000_NS6detail17trampoline_kernelINS0_14default_configENS1_20scan_config_selectorIdEEZZNS1_9scan_implILNS1_25lookback_scan_determinismE0ELb1ELb1ES3_N6thrust23THRUST_200600_302600_NS6detail15normal_iteratorINS9_10device_ptrIdEEEENS9_16discard_iteratorINS9_11use_defaultEEEd11max_functorIdEdEEDaPvRmT3_T4_T5_mT6_P12ihipStream_tbENKUlT_T0_E_clISt17integral_constantIbLb0EESX_EEDaSS_ST_EUlSS_E_NS1_11comp_targetILNS1_3genE2ELNS1_11target_archE906ELNS1_3gpuE6ELNS1_3repE0EEENS1_30default_config_static_selectorELNS0_4arch9wavefront6targetE1EEEvT1_: ; @_ZN7rocprim17ROCPRIM_400000_NS6detail17trampoline_kernelINS0_14default_configENS1_20scan_config_selectorIdEEZZNS1_9scan_implILNS1_25lookback_scan_determinismE0ELb1ELb1ES3_N6thrust23THRUST_200600_302600_NS6detail15normal_iteratorINS9_10device_ptrIdEEEENS9_16discard_iteratorINS9_11use_defaultEEEd11max_functorIdEdEEDaPvRmT3_T4_T5_mT6_P12ihipStream_tbENKUlT_T0_E_clISt17integral_constantIbLb0EESX_EEDaSS_ST_EUlSS_E_NS1_11comp_targetILNS1_3genE2ELNS1_11target_archE906ELNS1_3gpuE6ELNS1_3repE0EEENS1_30default_config_static_selectorELNS0_4arch9wavefront6targetE1EEEvT1_
; %bb.0:
	.section	.rodata,"a",@progbits
	.p2align	6, 0x0
	.amdhsa_kernel _ZN7rocprim17ROCPRIM_400000_NS6detail17trampoline_kernelINS0_14default_configENS1_20scan_config_selectorIdEEZZNS1_9scan_implILNS1_25lookback_scan_determinismE0ELb1ELb1ES3_N6thrust23THRUST_200600_302600_NS6detail15normal_iteratorINS9_10device_ptrIdEEEENS9_16discard_iteratorINS9_11use_defaultEEEd11max_functorIdEdEEDaPvRmT3_T4_T5_mT6_P12ihipStream_tbENKUlT_T0_E_clISt17integral_constantIbLb0EESX_EEDaSS_ST_EUlSS_E_NS1_11comp_targetILNS1_3genE2ELNS1_11target_archE906ELNS1_3gpuE6ELNS1_3repE0EEENS1_30default_config_static_selectorELNS0_4arch9wavefront6targetE1EEEvT1_
		.amdhsa_group_segment_fixed_size 0
		.amdhsa_private_segment_fixed_size 0
		.amdhsa_kernarg_size 112
		.amdhsa_user_sgpr_count 6
		.amdhsa_user_sgpr_private_segment_buffer 1
		.amdhsa_user_sgpr_dispatch_ptr 0
		.amdhsa_user_sgpr_queue_ptr 0
		.amdhsa_user_sgpr_kernarg_segment_ptr 1
		.amdhsa_user_sgpr_dispatch_id 0
		.amdhsa_user_sgpr_flat_scratch_init 0
		.amdhsa_user_sgpr_kernarg_preload_length 0
		.amdhsa_user_sgpr_kernarg_preload_offset 0
		.amdhsa_user_sgpr_private_segment_size 0
		.amdhsa_uses_dynamic_stack 0
		.amdhsa_system_sgpr_private_segment_wavefront_offset 0
		.amdhsa_system_sgpr_workgroup_id_x 1
		.amdhsa_system_sgpr_workgroup_id_y 0
		.amdhsa_system_sgpr_workgroup_id_z 0
		.amdhsa_system_sgpr_workgroup_info 0
		.amdhsa_system_vgpr_workitem_id 0
		.amdhsa_next_free_vgpr 1
		.amdhsa_next_free_sgpr 0
		.amdhsa_accum_offset 4
		.amdhsa_reserve_vcc 0
		.amdhsa_reserve_flat_scratch 0
		.amdhsa_float_round_mode_32 0
		.amdhsa_float_round_mode_16_64 0
		.amdhsa_float_denorm_mode_32 3
		.amdhsa_float_denorm_mode_16_64 3
		.amdhsa_dx10_clamp 1
		.amdhsa_ieee_mode 1
		.amdhsa_fp16_overflow 0
		.amdhsa_tg_split 0
		.amdhsa_exception_fp_ieee_invalid_op 0
		.amdhsa_exception_fp_denorm_src 0
		.amdhsa_exception_fp_ieee_div_zero 0
		.amdhsa_exception_fp_ieee_overflow 0
		.amdhsa_exception_fp_ieee_underflow 0
		.amdhsa_exception_fp_ieee_inexact 0
		.amdhsa_exception_int_div_zero 0
	.end_amdhsa_kernel
	.section	.text._ZN7rocprim17ROCPRIM_400000_NS6detail17trampoline_kernelINS0_14default_configENS1_20scan_config_selectorIdEEZZNS1_9scan_implILNS1_25lookback_scan_determinismE0ELb1ELb1ES3_N6thrust23THRUST_200600_302600_NS6detail15normal_iteratorINS9_10device_ptrIdEEEENS9_16discard_iteratorINS9_11use_defaultEEEd11max_functorIdEdEEDaPvRmT3_T4_T5_mT6_P12ihipStream_tbENKUlT_T0_E_clISt17integral_constantIbLb0EESX_EEDaSS_ST_EUlSS_E_NS1_11comp_targetILNS1_3genE2ELNS1_11target_archE906ELNS1_3gpuE6ELNS1_3repE0EEENS1_30default_config_static_selectorELNS0_4arch9wavefront6targetE1EEEvT1_,"axG",@progbits,_ZN7rocprim17ROCPRIM_400000_NS6detail17trampoline_kernelINS0_14default_configENS1_20scan_config_selectorIdEEZZNS1_9scan_implILNS1_25lookback_scan_determinismE0ELb1ELb1ES3_N6thrust23THRUST_200600_302600_NS6detail15normal_iteratorINS9_10device_ptrIdEEEENS9_16discard_iteratorINS9_11use_defaultEEEd11max_functorIdEdEEDaPvRmT3_T4_T5_mT6_P12ihipStream_tbENKUlT_T0_E_clISt17integral_constantIbLb0EESX_EEDaSS_ST_EUlSS_E_NS1_11comp_targetILNS1_3genE2ELNS1_11target_archE906ELNS1_3gpuE6ELNS1_3repE0EEENS1_30default_config_static_selectorELNS0_4arch9wavefront6targetE1EEEvT1_,comdat
.Lfunc_end3066:
	.size	_ZN7rocprim17ROCPRIM_400000_NS6detail17trampoline_kernelINS0_14default_configENS1_20scan_config_selectorIdEEZZNS1_9scan_implILNS1_25lookback_scan_determinismE0ELb1ELb1ES3_N6thrust23THRUST_200600_302600_NS6detail15normal_iteratorINS9_10device_ptrIdEEEENS9_16discard_iteratorINS9_11use_defaultEEEd11max_functorIdEdEEDaPvRmT3_T4_T5_mT6_P12ihipStream_tbENKUlT_T0_E_clISt17integral_constantIbLb0EESX_EEDaSS_ST_EUlSS_E_NS1_11comp_targetILNS1_3genE2ELNS1_11target_archE906ELNS1_3gpuE6ELNS1_3repE0EEENS1_30default_config_static_selectorELNS0_4arch9wavefront6targetE1EEEvT1_, .Lfunc_end3066-_ZN7rocprim17ROCPRIM_400000_NS6detail17trampoline_kernelINS0_14default_configENS1_20scan_config_selectorIdEEZZNS1_9scan_implILNS1_25lookback_scan_determinismE0ELb1ELb1ES3_N6thrust23THRUST_200600_302600_NS6detail15normal_iteratorINS9_10device_ptrIdEEEENS9_16discard_iteratorINS9_11use_defaultEEEd11max_functorIdEdEEDaPvRmT3_T4_T5_mT6_P12ihipStream_tbENKUlT_T0_E_clISt17integral_constantIbLb0EESX_EEDaSS_ST_EUlSS_E_NS1_11comp_targetILNS1_3genE2ELNS1_11target_archE906ELNS1_3gpuE6ELNS1_3repE0EEENS1_30default_config_static_selectorELNS0_4arch9wavefront6targetE1EEEvT1_
                                        ; -- End function
	.section	.AMDGPU.csdata,"",@progbits
; Kernel info:
; codeLenInByte = 0
; NumSgprs: 4
; NumVgprs: 0
; NumAgprs: 0
; TotalNumVgprs: 0
; ScratchSize: 0
; MemoryBound: 0
; FloatMode: 240
; IeeeMode: 1
; LDSByteSize: 0 bytes/workgroup (compile time only)
; SGPRBlocks: 0
; VGPRBlocks: 0
; NumSGPRsForWavesPerEU: 4
; NumVGPRsForWavesPerEU: 1
; AccumOffset: 4
; Occupancy: 8
; WaveLimiterHint : 0
; COMPUTE_PGM_RSRC2:SCRATCH_EN: 0
; COMPUTE_PGM_RSRC2:USER_SGPR: 6
; COMPUTE_PGM_RSRC2:TRAP_HANDLER: 0
; COMPUTE_PGM_RSRC2:TGID_X_EN: 1
; COMPUTE_PGM_RSRC2:TGID_Y_EN: 0
; COMPUTE_PGM_RSRC2:TGID_Z_EN: 0
; COMPUTE_PGM_RSRC2:TIDIG_COMP_CNT: 0
; COMPUTE_PGM_RSRC3_GFX90A:ACCUM_OFFSET: 0
; COMPUTE_PGM_RSRC3_GFX90A:TG_SPLIT: 0
	.section	.text._ZN7rocprim17ROCPRIM_400000_NS6detail17trampoline_kernelINS0_14default_configENS1_20scan_config_selectorIdEEZZNS1_9scan_implILNS1_25lookback_scan_determinismE0ELb1ELb1ES3_N6thrust23THRUST_200600_302600_NS6detail15normal_iteratorINS9_10device_ptrIdEEEENS9_16discard_iteratorINS9_11use_defaultEEEd11max_functorIdEdEEDaPvRmT3_T4_T5_mT6_P12ihipStream_tbENKUlT_T0_E_clISt17integral_constantIbLb0EESX_EEDaSS_ST_EUlSS_E_NS1_11comp_targetILNS1_3genE10ELNS1_11target_archE1201ELNS1_3gpuE5ELNS1_3repE0EEENS1_30default_config_static_selectorELNS0_4arch9wavefront6targetE1EEEvT1_,"axG",@progbits,_ZN7rocprim17ROCPRIM_400000_NS6detail17trampoline_kernelINS0_14default_configENS1_20scan_config_selectorIdEEZZNS1_9scan_implILNS1_25lookback_scan_determinismE0ELb1ELb1ES3_N6thrust23THRUST_200600_302600_NS6detail15normal_iteratorINS9_10device_ptrIdEEEENS9_16discard_iteratorINS9_11use_defaultEEEd11max_functorIdEdEEDaPvRmT3_T4_T5_mT6_P12ihipStream_tbENKUlT_T0_E_clISt17integral_constantIbLb0EESX_EEDaSS_ST_EUlSS_E_NS1_11comp_targetILNS1_3genE10ELNS1_11target_archE1201ELNS1_3gpuE5ELNS1_3repE0EEENS1_30default_config_static_selectorELNS0_4arch9wavefront6targetE1EEEvT1_,comdat
	.protected	_ZN7rocprim17ROCPRIM_400000_NS6detail17trampoline_kernelINS0_14default_configENS1_20scan_config_selectorIdEEZZNS1_9scan_implILNS1_25lookback_scan_determinismE0ELb1ELb1ES3_N6thrust23THRUST_200600_302600_NS6detail15normal_iteratorINS9_10device_ptrIdEEEENS9_16discard_iteratorINS9_11use_defaultEEEd11max_functorIdEdEEDaPvRmT3_T4_T5_mT6_P12ihipStream_tbENKUlT_T0_E_clISt17integral_constantIbLb0EESX_EEDaSS_ST_EUlSS_E_NS1_11comp_targetILNS1_3genE10ELNS1_11target_archE1201ELNS1_3gpuE5ELNS1_3repE0EEENS1_30default_config_static_selectorELNS0_4arch9wavefront6targetE1EEEvT1_ ; -- Begin function _ZN7rocprim17ROCPRIM_400000_NS6detail17trampoline_kernelINS0_14default_configENS1_20scan_config_selectorIdEEZZNS1_9scan_implILNS1_25lookback_scan_determinismE0ELb1ELb1ES3_N6thrust23THRUST_200600_302600_NS6detail15normal_iteratorINS9_10device_ptrIdEEEENS9_16discard_iteratorINS9_11use_defaultEEEd11max_functorIdEdEEDaPvRmT3_T4_T5_mT6_P12ihipStream_tbENKUlT_T0_E_clISt17integral_constantIbLb0EESX_EEDaSS_ST_EUlSS_E_NS1_11comp_targetILNS1_3genE10ELNS1_11target_archE1201ELNS1_3gpuE5ELNS1_3repE0EEENS1_30default_config_static_selectorELNS0_4arch9wavefront6targetE1EEEvT1_
	.globl	_ZN7rocprim17ROCPRIM_400000_NS6detail17trampoline_kernelINS0_14default_configENS1_20scan_config_selectorIdEEZZNS1_9scan_implILNS1_25lookback_scan_determinismE0ELb1ELb1ES3_N6thrust23THRUST_200600_302600_NS6detail15normal_iteratorINS9_10device_ptrIdEEEENS9_16discard_iteratorINS9_11use_defaultEEEd11max_functorIdEdEEDaPvRmT3_T4_T5_mT6_P12ihipStream_tbENKUlT_T0_E_clISt17integral_constantIbLb0EESX_EEDaSS_ST_EUlSS_E_NS1_11comp_targetILNS1_3genE10ELNS1_11target_archE1201ELNS1_3gpuE5ELNS1_3repE0EEENS1_30default_config_static_selectorELNS0_4arch9wavefront6targetE1EEEvT1_
	.p2align	8
	.type	_ZN7rocprim17ROCPRIM_400000_NS6detail17trampoline_kernelINS0_14default_configENS1_20scan_config_selectorIdEEZZNS1_9scan_implILNS1_25lookback_scan_determinismE0ELb1ELb1ES3_N6thrust23THRUST_200600_302600_NS6detail15normal_iteratorINS9_10device_ptrIdEEEENS9_16discard_iteratorINS9_11use_defaultEEEd11max_functorIdEdEEDaPvRmT3_T4_T5_mT6_P12ihipStream_tbENKUlT_T0_E_clISt17integral_constantIbLb0EESX_EEDaSS_ST_EUlSS_E_NS1_11comp_targetILNS1_3genE10ELNS1_11target_archE1201ELNS1_3gpuE5ELNS1_3repE0EEENS1_30default_config_static_selectorELNS0_4arch9wavefront6targetE1EEEvT1_,@function
_ZN7rocprim17ROCPRIM_400000_NS6detail17trampoline_kernelINS0_14default_configENS1_20scan_config_selectorIdEEZZNS1_9scan_implILNS1_25lookback_scan_determinismE0ELb1ELb1ES3_N6thrust23THRUST_200600_302600_NS6detail15normal_iteratorINS9_10device_ptrIdEEEENS9_16discard_iteratorINS9_11use_defaultEEEd11max_functorIdEdEEDaPvRmT3_T4_T5_mT6_P12ihipStream_tbENKUlT_T0_E_clISt17integral_constantIbLb0EESX_EEDaSS_ST_EUlSS_E_NS1_11comp_targetILNS1_3genE10ELNS1_11target_archE1201ELNS1_3gpuE5ELNS1_3repE0EEENS1_30default_config_static_selectorELNS0_4arch9wavefront6targetE1EEEvT1_: ; @_ZN7rocprim17ROCPRIM_400000_NS6detail17trampoline_kernelINS0_14default_configENS1_20scan_config_selectorIdEEZZNS1_9scan_implILNS1_25lookback_scan_determinismE0ELb1ELb1ES3_N6thrust23THRUST_200600_302600_NS6detail15normal_iteratorINS9_10device_ptrIdEEEENS9_16discard_iteratorINS9_11use_defaultEEEd11max_functorIdEdEEDaPvRmT3_T4_T5_mT6_P12ihipStream_tbENKUlT_T0_E_clISt17integral_constantIbLb0EESX_EEDaSS_ST_EUlSS_E_NS1_11comp_targetILNS1_3genE10ELNS1_11target_archE1201ELNS1_3gpuE5ELNS1_3repE0EEENS1_30default_config_static_selectorELNS0_4arch9wavefront6targetE1EEEvT1_
; %bb.0:
	.section	.rodata,"a",@progbits
	.p2align	6, 0x0
	.amdhsa_kernel _ZN7rocprim17ROCPRIM_400000_NS6detail17trampoline_kernelINS0_14default_configENS1_20scan_config_selectorIdEEZZNS1_9scan_implILNS1_25lookback_scan_determinismE0ELb1ELb1ES3_N6thrust23THRUST_200600_302600_NS6detail15normal_iteratorINS9_10device_ptrIdEEEENS9_16discard_iteratorINS9_11use_defaultEEEd11max_functorIdEdEEDaPvRmT3_T4_T5_mT6_P12ihipStream_tbENKUlT_T0_E_clISt17integral_constantIbLb0EESX_EEDaSS_ST_EUlSS_E_NS1_11comp_targetILNS1_3genE10ELNS1_11target_archE1201ELNS1_3gpuE5ELNS1_3repE0EEENS1_30default_config_static_selectorELNS0_4arch9wavefront6targetE1EEEvT1_
		.amdhsa_group_segment_fixed_size 0
		.amdhsa_private_segment_fixed_size 0
		.amdhsa_kernarg_size 112
		.amdhsa_user_sgpr_count 6
		.amdhsa_user_sgpr_private_segment_buffer 1
		.amdhsa_user_sgpr_dispatch_ptr 0
		.amdhsa_user_sgpr_queue_ptr 0
		.amdhsa_user_sgpr_kernarg_segment_ptr 1
		.amdhsa_user_sgpr_dispatch_id 0
		.amdhsa_user_sgpr_flat_scratch_init 0
		.amdhsa_user_sgpr_kernarg_preload_length 0
		.amdhsa_user_sgpr_kernarg_preload_offset 0
		.amdhsa_user_sgpr_private_segment_size 0
		.amdhsa_uses_dynamic_stack 0
		.amdhsa_system_sgpr_private_segment_wavefront_offset 0
		.amdhsa_system_sgpr_workgroup_id_x 1
		.amdhsa_system_sgpr_workgroup_id_y 0
		.amdhsa_system_sgpr_workgroup_id_z 0
		.amdhsa_system_sgpr_workgroup_info 0
		.amdhsa_system_vgpr_workitem_id 0
		.amdhsa_next_free_vgpr 1
		.amdhsa_next_free_sgpr 0
		.amdhsa_accum_offset 4
		.amdhsa_reserve_vcc 0
		.amdhsa_reserve_flat_scratch 0
		.amdhsa_float_round_mode_32 0
		.amdhsa_float_round_mode_16_64 0
		.amdhsa_float_denorm_mode_32 3
		.amdhsa_float_denorm_mode_16_64 3
		.amdhsa_dx10_clamp 1
		.amdhsa_ieee_mode 1
		.amdhsa_fp16_overflow 0
		.amdhsa_tg_split 0
		.amdhsa_exception_fp_ieee_invalid_op 0
		.amdhsa_exception_fp_denorm_src 0
		.amdhsa_exception_fp_ieee_div_zero 0
		.amdhsa_exception_fp_ieee_overflow 0
		.amdhsa_exception_fp_ieee_underflow 0
		.amdhsa_exception_fp_ieee_inexact 0
		.amdhsa_exception_int_div_zero 0
	.end_amdhsa_kernel
	.section	.text._ZN7rocprim17ROCPRIM_400000_NS6detail17trampoline_kernelINS0_14default_configENS1_20scan_config_selectorIdEEZZNS1_9scan_implILNS1_25lookback_scan_determinismE0ELb1ELb1ES3_N6thrust23THRUST_200600_302600_NS6detail15normal_iteratorINS9_10device_ptrIdEEEENS9_16discard_iteratorINS9_11use_defaultEEEd11max_functorIdEdEEDaPvRmT3_T4_T5_mT6_P12ihipStream_tbENKUlT_T0_E_clISt17integral_constantIbLb0EESX_EEDaSS_ST_EUlSS_E_NS1_11comp_targetILNS1_3genE10ELNS1_11target_archE1201ELNS1_3gpuE5ELNS1_3repE0EEENS1_30default_config_static_selectorELNS0_4arch9wavefront6targetE1EEEvT1_,"axG",@progbits,_ZN7rocprim17ROCPRIM_400000_NS6detail17trampoline_kernelINS0_14default_configENS1_20scan_config_selectorIdEEZZNS1_9scan_implILNS1_25lookback_scan_determinismE0ELb1ELb1ES3_N6thrust23THRUST_200600_302600_NS6detail15normal_iteratorINS9_10device_ptrIdEEEENS9_16discard_iteratorINS9_11use_defaultEEEd11max_functorIdEdEEDaPvRmT3_T4_T5_mT6_P12ihipStream_tbENKUlT_T0_E_clISt17integral_constantIbLb0EESX_EEDaSS_ST_EUlSS_E_NS1_11comp_targetILNS1_3genE10ELNS1_11target_archE1201ELNS1_3gpuE5ELNS1_3repE0EEENS1_30default_config_static_selectorELNS0_4arch9wavefront6targetE1EEEvT1_,comdat
.Lfunc_end3067:
	.size	_ZN7rocprim17ROCPRIM_400000_NS6detail17trampoline_kernelINS0_14default_configENS1_20scan_config_selectorIdEEZZNS1_9scan_implILNS1_25lookback_scan_determinismE0ELb1ELb1ES3_N6thrust23THRUST_200600_302600_NS6detail15normal_iteratorINS9_10device_ptrIdEEEENS9_16discard_iteratorINS9_11use_defaultEEEd11max_functorIdEdEEDaPvRmT3_T4_T5_mT6_P12ihipStream_tbENKUlT_T0_E_clISt17integral_constantIbLb0EESX_EEDaSS_ST_EUlSS_E_NS1_11comp_targetILNS1_3genE10ELNS1_11target_archE1201ELNS1_3gpuE5ELNS1_3repE0EEENS1_30default_config_static_selectorELNS0_4arch9wavefront6targetE1EEEvT1_, .Lfunc_end3067-_ZN7rocprim17ROCPRIM_400000_NS6detail17trampoline_kernelINS0_14default_configENS1_20scan_config_selectorIdEEZZNS1_9scan_implILNS1_25lookback_scan_determinismE0ELb1ELb1ES3_N6thrust23THRUST_200600_302600_NS6detail15normal_iteratorINS9_10device_ptrIdEEEENS9_16discard_iteratorINS9_11use_defaultEEEd11max_functorIdEdEEDaPvRmT3_T4_T5_mT6_P12ihipStream_tbENKUlT_T0_E_clISt17integral_constantIbLb0EESX_EEDaSS_ST_EUlSS_E_NS1_11comp_targetILNS1_3genE10ELNS1_11target_archE1201ELNS1_3gpuE5ELNS1_3repE0EEENS1_30default_config_static_selectorELNS0_4arch9wavefront6targetE1EEEvT1_
                                        ; -- End function
	.section	.AMDGPU.csdata,"",@progbits
; Kernel info:
; codeLenInByte = 0
; NumSgprs: 4
; NumVgprs: 0
; NumAgprs: 0
; TotalNumVgprs: 0
; ScratchSize: 0
; MemoryBound: 0
; FloatMode: 240
; IeeeMode: 1
; LDSByteSize: 0 bytes/workgroup (compile time only)
; SGPRBlocks: 0
; VGPRBlocks: 0
; NumSGPRsForWavesPerEU: 4
; NumVGPRsForWavesPerEU: 1
; AccumOffset: 4
; Occupancy: 8
; WaveLimiterHint : 0
; COMPUTE_PGM_RSRC2:SCRATCH_EN: 0
; COMPUTE_PGM_RSRC2:USER_SGPR: 6
; COMPUTE_PGM_RSRC2:TRAP_HANDLER: 0
; COMPUTE_PGM_RSRC2:TGID_X_EN: 1
; COMPUTE_PGM_RSRC2:TGID_Y_EN: 0
; COMPUTE_PGM_RSRC2:TGID_Z_EN: 0
; COMPUTE_PGM_RSRC2:TIDIG_COMP_CNT: 0
; COMPUTE_PGM_RSRC3_GFX90A:ACCUM_OFFSET: 0
; COMPUTE_PGM_RSRC3_GFX90A:TG_SPLIT: 0
	.section	.text._ZN7rocprim17ROCPRIM_400000_NS6detail17trampoline_kernelINS0_14default_configENS1_20scan_config_selectorIdEEZZNS1_9scan_implILNS1_25lookback_scan_determinismE0ELb1ELb1ES3_N6thrust23THRUST_200600_302600_NS6detail15normal_iteratorINS9_10device_ptrIdEEEENS9_16discard_iteratorINS9_11use_defaultEEEd11max_functorIdEdEEDaPvRmT3_T4_T5_mT6_P12ihipStream_tbENKUlT_T0_E_clISt17integral_constantIbLb0EESX_EEDaSS_ST_EUlSS_E_NS1_11comp_targetILNS1_3genE10ELNS1_11target_archE1200ELNS1_3gpuE4ELNS1_3repE0EEENS1_30default_config_static_selectorELNS0_4arch9wavefront6targetE1EEEvT1_,"axG",@progbits,_ZN7rocprim17ROCPRIM_400000_NS6detail17trampoline_kernelINS0_14default_configENS1_20scan_config_selectorIdEEZZNS1_9scan_implILNS1_25lookback_scan_determinismE0ELb1ELb1ES3_N6thrust23THRUST_200600_302600_NS6detail15normal_iteratorINS9_10device_ptrIdEEEENS9_16discard_iteratorINS9_11use_defaultEEEd11max_functorIdEdEEDaPvRmT3_T4_T5_mT6_P12ihipStream_tbENKUlT_T0_E_clISt17integral_constantIbLb0EESX_EEDaSS_ST_EUlSS_E_NS1_11comp_targetILNS1_3genE10ELNS1_11target_archE1200ELNS1_3gpuE4ELNS1_3repE0EEENS1_30default_config_static_selectorELNS0_4arch9wavefront6targetE1EEEvT1_,comdat
	.protected	_ZN7rocprim17ROCPRIM_400000_NS6detail17trampoline_kernelINS0_14default_configENS1_20scan_config_selectorIdEEZZNS1_9scan_implILNS1_25lookback_scan_determinismE0ELb1ELb1ES3_N6thrust23THRUST_200600_302600_NS6detail15normal_iteratorINS9_10device_ptrIdEEEENS9_16discard_iteratorINS9_11use_defaultEEEd11max_functorIdEdEEDaPvRmT3_T4_T5_mT6_P12ihipStream_tbENKUlT_T0_E_clISt17integral_constantIbLb0EESX_EEDaSS_ST_EUlSS_E_NS1_11comp_targetILNS1_3genE10ELNS1_11target_archE1200ELNS1_3gpuE4ELNS1_3repE0EEENS1_30default_config_static_selectorELNS0_4arch9wavefront6targetE1EEEvT1_ ; -- Begin function _ZN7rocprim17ROCPRIM_400000_NS6detail17trampoline_kernelINS0_14default_configENS1_20scan_config_selectorIdEEZZNS1_9scan_implILNS1_25lookback_scan_determinismE0ELb1ELb1ES3_N6thrust23THRUST_200600_302600_NS6detail15normal_iteratorINS9_10device_ptrIdEEEENS9_16discard_iteratorINS9_11use_defaultEEEd11max_functorIdEdEEDaPvRmT3_T4_T5_mT6_P12ihipStream_tbENKUlT_T0_E_clISt17integral_constantIbLb0EESX_EEDaSS_ST_EUlSS_E_NS1_11comp_targetILNS1_3genE10ELNS1_11target_archE1200ELNS1_3gpuE4ELNS1_3repE0EEENS1_30default_config_static_selectorELNS0_4arch9wavefront6targetE1EEEvT1_
	.globl	_ZN7rocprim17ROCPRIM_400000_NS6detail17trampoline_kernelINS0_14default_configENS1_20scan_config_selectorIdEEZZNS1_9scan_implILNS1_25lookback_scan_determinismE0ELb1ELb1ES3_N6thrust23THRUST_200600_302600_NS6detail15normal_iteratorINS9_10device_ptrIdEEEENS9_16discard_iteratorINS9_11use_defaultEEEd11max_functorIdEdEEDaPvRmT3_T4_T5_mT6_P12ihipStream_tbENKUlT_T0_E_clISt17integral_constantIbLb0EESX_EEDaSS_ST_EUlSS_E_NS1_11comp_targetILNS1_3genE10ELNS1_11target_archE1200ELNS1_3gpuE4ELNS1_3repE0EEENS1_30default_config_static_selectorELNS0_4arch9wavefront6targetE1EEEvT1_
	.p2align	8
	.type	_ZN7rocprim17ROCPRIM_400000_NS6detail17trampoline_kernelINS0_14default_configENS1_20scan_config_selectorIdEEZZNS1_9scan_implILNS1_25lookback_scan_determinismE0ELb1ELb1ES3_N6thrust23THRUST_200600_302600_NS6detail15normal_iteratorINS9_10device_ptrIdEEEENS9_16discard_iteratorINS9_11use_defaultEEEd11max_functorIdEdEEDaPvRmT3_T4_T5_mT6_P12ihipStream_tbENKUlT_T0_E_clISt17integral_constantIbLb0EESX_EEDaSS_ST_EUlSS_E_NS1_11comp_targetILNS1_3genE10ELNS1_11target_archE1200ELNS1_3gpuE4ELNS1_3repE0EEENS1_30default_config_static_selectorELNS0_4arch9wavefront6targetE1EEEvT1_,@function
_ZN7rocprim17ROCPRIM_400000_NS6detail17trampoline_kernelINS0_14default_configENS1_20scan_config_selectorIdEEZZNS1_9scan_implILNS1_25lookback_scan_determinismE0ELb1ELb1ES3_N6thrust23THRUST_200600_302600_NS6detail15normal_iteratorINS9_10device_ptrIdEEEENS9_16discard_iteratorINS9_11use_defaultEEEd11max_functorIdEdEEDaPvRmT3_T4_T5_mT6_P12ihipStream_tbENKUlT_T0_E_clISt17integral_constantIbLb0EESX_EEDaSS_ST_EUlSS_E_NS1_11comp_targetILNS1_3genE10ELNS1_11target_archE1200ELNS1_3gpuE4ELNS1_3repE0EEENS1_30default_config_static_selectorELNS0_4arch9wavefront6targetE1EEEvT1_: ; @_ZN7rocprim17ROCPRIM_400000_NS6detail17trampoline_kernelINS0_14default_configENS1_20scan_config_selectorIdEEZZNS1_9scan_implILNS1_25lookback_scan_determinismE0ELb1ELb1ES3_N6thrust23THRUST_200600_302600_NS6detail15normal_iteratorINS9_10device_ptrIdEEEENS9_16discard_iteratorINS9_11use_defaultEEEd11max_functorIdEdEEDaPvRmT3_T4_T5_mT6_P12ihipStream_tbENKUlT_T0_E_clISt17integral_constantIbLb0EESX_EEDaSS_ST_EUlSS_E_NS1_11comp_targetILNS1_3genE10ELNS1_11target_archE1200ELNS1_3gpuE4ELNS1_3repE0EEENS1_30default_config_static_selectorELNS0_4arch9wavefront6targetE1EEEvT1_
; %bb.0:
	.section	.rodata,"a",@progbits
	.p2align	6, 0x0
	.amdhsa_kernel _ZN7rocprim17ROCPRIM_400000_NS6detail17trampoline_kernelINS0_14default_configENS1_20scan_config_selectorIdEEZZNS1_9scan_implILNS1_25lookback_scan_determinismE0ELb1ELb1ES3_N6thrust23THRUST_200600_302600_NS6detail15normal_iteratorINS9_10device_ptrIdEEEENS9_16discard_iteratorINS9_11use_defaultEEEd11max_functorIdEdEEDaPvRmT3_T4_T5_mT6_P12ihipStream_tbENKUlT_T0_E_clISt17integral_constantIbLb0EESX_EEDaSS_ST_EUlSS_E_NS1_11comp_targetILNS1_3genE10ELNS1_11target_archE1200ELNS1_3gpuE4ELNS1_3repE0EEENS1_30default_config_static_selectorELNS0_4arch9wavefront6targetE1EEEvT1_
		.amdhsa_group_segment_fixed_size 0
		.amdhsa_private_segment_fixed_size 0
		.amdhsa_kernarg_size 112
		.amdhsa_user_sgpr_count 6
		.amdhsa_user_sgpr_private_segment_buffer 1
		.amdhsa_user_sgpr_dispatch_ptr 0
		.amdhsa_user_sgpr_queue_ptr 0
		.amdhsa_user_sgpr_kernarg_segment_ptr 1
		.amdhsa_user_sgpr_dispatch_id 0
		.amdhsa_user_sgpr_flat_scratch_init 0
		.amdhsa_user_sgpr_kernarg_preload_length 0
		.amdhsa_user_sgpr_kernarg_preload_offset 0
		.amdhsa_user_sgpr_private_segment_size 0
		.amdhsa_uses_dynamic_stack 0
		.amdhsa_system_sgpr_private_segment_wavefront_offset 0
		.amdhsa_system_sgpr_workgroup_id_x 1
		.amdhsa_system_sgpr_workgroup_id_y 0
		.amdhsa_system_sgpr_workgroup_id_z 0
		.amdhsa_system_sgpr_workgroup_info 0
		.amdhsa_system_vgpr_workitem_id 0
		.amdhsa_next_free_vgpr 1
		.amdhsa_next_free_sgpr 0
		.amdhsa_accum_offset 4
		.amdhsa_reserve_vcc 0
		.amdhsa_reserve_flat_scratch 0
		.amdhsa_float_round_mode_32 0
		.amdhsa_float_round_mode_16_64 0
		.amdhsa_float_denorm_mode_32 3
		.amdhsa_float_denorm_mode_16_64 3
		.amdhsa_dx10_clamp 1
		.amdhsa_ieee_mode 1
		.amdhsa_fp16_overflow 0
		.amdhsa_tg_split 0
		.amdhsa_exception_fp_ieee_invalid_op 0
		.amdhsa_exception_fp_denorm_src 0
		.amdhsa_exception_fp_ieee_div_zero 0
		.amdhsa_exception_fp_ieee_overflow 0
		.amdhsa_exception_fp_ieee_underflow 0
		.amdhsa_exception_fp_ieee_inexact 0
		.amdhsa_exception_int_div_zero 0
	.end_amdhsa_kernel
	.section	.text._ZN7rocprim17ROCPRIM_400000_NS6detail17trampoline_kernelINS0_14default_configENS1_20scan_config_selectorIdEEZZNS1_9scan_implILNS1_25lookback_scan_determinismE0ELb1ELb1ES3_N6thrust23THRUST_200600_302600_NS6detail15normal_iteratorINS9_10device_ptrIdEEEENS9_16discard_iteratorINS9_11use_defaultEEEd11max_functorIdEdEEDaPvRmT3_T4_T5_mT6_P12ihipStream_tbENKUlT_T0_E_clISt17integral_constantIbLb0EESX_EEDaSS_ST_EUlSS_E_NS1_11comp_targetILNS1_3genE10ELNS1_11target_archE1200ELNS1_3gpuE4ELNS1_3repE0EEENS1_30default_config_static_selectorELNS0_4arch9wavefront6targetE1EEEvT1_,"axG",@progbits,_ZN7rocprim17ROCPRIM_400000_NS6detail17trampoline_kernelINS0_14default_configENS1_20scan_config_selectorIdEEZZNS1_9scan_implILNS1_25lookback_scan_determinismE0ELb1ELb1ES3_N6thrust23THRUST_200600_302600_NS6detail15normal_iteratorINS9_10device_ptrIdEEEENS9_16discard_iteratorINS9_11use_defaultEEEd11max_functorIdEdEEDaPvRmT3_T4_T5_mT6_P12ihipStream_tbENKUlT_T0_E_clISt17integral_constantIbLb0EESX_EEDaSS_ST_EUlSS_E_NS1_11comp_targetILNS1_3genE10ELNS1_11target_archE1200ELNS1_3gpuE4ELNS1_3repE0EEENS1_30default_config_static_selectorELNS0_4arch9wavefront6targetE1EEEvT1_,comdat
.Lfunc_end3068:
	.size	_ZN7rocprim17ROCPRIM_400000_NS6detail17trampoline_kernelINS0_14default_configENS1_20scan_config_selectorIdEEZZNS1_9scan_implILNS1_25lookback_scan_determinismE0ELb1ELb1ES3_N6thrust23THRUST_200600_302600_NS6detail15normal_iteratorINS9_10device_ptrIdEEEENS9_16discard_iteratorINS9_11use_defaultEEEd11max_functorIdEdEEDaPvRmT3_T4_T5_mT6_P12ihipStream_tbENKUlT_T0_E_clISt17integral_constantIbLb0EESX_EEDaSS_ST_EUlSS_E_NS1_11comp_targetILNS1_3genE10ELNS1_11target_archE1200ELNS1_3gpuE4ELNS1_3repE0EEENS1_30default_config_static_selectorELNS0_4arch9wavefront6targetE1EEEvT1_, .Lfunc_end3068-_ZN7rocprim17ROCPRIM_400000_NS6detail17trampoline_kernelINS0_14default_configENS1_20scan_config_selectorIdEEZZNS1_9scan_implILNS1_25lookback_scan_determinismE0ELb1ELb1ES3_N6thrust23THRUST_200600_302600_NS6detail15normal_iteratorINS9_10device_ptrIdEEEENS9_16discard_iteratorINS9_11use_defaultEEEd11max_functorIdEdEEDaPvRmT3_T4_T5_mT6_P12ihipStream_tbENKUlT_T0_E_clISt17integral_constantIbLb0EESX_EEDaSS_ST_EUlSS_E_NS1_11comp_targetILNS1_3genE10ELNS1_11target_archE1200ELNS1_3gpuE4ELNS1_3repE0EEENS1_30default_config_static_selectorELNS0_4arch9wavefront6targetE1EEEvT1_
                                        ; -- End function
	.section	.AMDGPU.csdata,"",@progbits
; Kernel info:
; codeLenInByte = 0
; NumSgprs: 4
; NumVgprs: 0
; NumAgprs: 0
; TotalNumVgprs: 0
; ScratchSize: 0
; MemoryBound: 0
; FloatMode: 240
; IeeeMode: 1
; LDSByteSize: 0 bytes/workgroup (compile time only)
; SGPRBlocks: 0
; VGPRBlocks: 0
; NumSGPRsForWavesPerEU: 4
; NumVGPRsForWavesPerEU: 1
; AccumOffset: 4
; Occupancy: 8
; WaveLimiterHint : 0
; COMPUTE_PGM_RSRC2:SCRATCH_EN: 0
; COMPUTE_PGM_RSRC2:USER_SGPR: 6
; COMPUTE_PGM_RSRC2:TRAP_HANDLER: 0
; COMPUTE_PGM_RSRC2:TGID_X_EN: 1
; COMPUTE_PGM_RSRC2:TGID_Y_EN: 0
; COMPUTE_PGM_RSRC2:TGID_Z_EN: 0
; COMPUTE_PGM_RSRC2:TIDIG_COMP_CNT: 0
; COMPUTE_PGM_RSRC3_GFX90A:ACCUM_OFFSET: 0
; COMPUTE_PGM_RSRC3_GFX90A:TG_SPLIT: 0
	.section	.text._ZN7rocprim17ROCPRIM_400000_NS6detail17trampoline_kernelINS0_14default_configENS1_20scan_config_selectorIdEEZZNS1_9scan_implILNS1_25lookback_scan_determinismE0ELb1ELb1ES3_N6thrust23THRUST_200600_302600_NS6detail15normal_iteratorINS9_10device_ptrIdEEEENS9_16discard_iteratorINS9_11use_defaultEEEd11max_functorIdEdEEDaPvRmT3_T4_T5_mT6_P12ihipStream_tbENKUlT_T0_E_clISt17integral_constantIbLb0EESX_EEDaSS_ST_EUlSS_E_NS1_11comp_targetILNS1_3genE9ELNS1_11target_archE1100ELNS1_3gpuE3ELNS1_3repE0EEENS1_30default_config_static_selectorELNS0_4arch9wavefront6targetE1EEEvT1_,"axG",@progbits,_ZN7rocprim17ROCPRIM_400000_NS6detail17trampoline_kernelINS0_14default_configENS1_20scan_config_selectorIdEEZZNS1_9scan_implILNS1_25lookback_scan_determinismE0ELb1ELb1ES3_N6thrust23THRUST_200600_302600_NS6detail15normal_iteratorINS9_10device_ptrIdEEEENS9_16discard_iteratorINS9_11use_defaultEEEd11max_functorIdEdEEDaPvRmT3_T4_T5_mT6_P12ihipStream_tbENKUlT_T0_E_clISt17integral_constantIbLb0EESX_EEDaSS_ST_EUlSS_E_NS1_11comp_targetILNS1_3genE9ELNS1_11target_archE1100ELNS1_3gpuE3ELNS1_3repE0EEENS1_30default_config_static_selectorELNS0_4arch9wavefront6targetE1EEEvT1_,comdat
	.protected	_ZN7rocprim17ROCPRIM_400000_NS6detail17trampoline_kernelINS0_14default_configENS1_20scan_config_selectorIdEEZZNS1_9scan_implILNS1_25lookback_scan_determinismE0ELb1ELb1ES3_N6thrust23THRUST_200600_302600_NS6detail15normal_iteratorINS9_10device_ptrIdEEEENS9_16discard_iteratorINS9_11use_defaultEEEd11max_functorIdEdEEDaPvRmT3_T4_T5_mT6_P12ihipStream_tbENKUlT_T0_E_clISt17integral_constantIbLb0EESX_EEDaSS_ST_EUlSS_E_NS1_11comp_targetILNS1_3genE9ELNS1_11target_archE1100ELNS1_3gpuE3ELNS1_3repE0EEENS1_30default_config_static_selectorELNS0_4arch9wavefront6targetE1EEEvT1_ ; -- Begin function _ZN7rocprim17ROCPRIM_400000_NS6detail17trampoline_kernelINS0_14default_configENS1_20scan_config_selectorIdEEZZNS1_9scan_implILNS1_25lookback_scan_determinismE0ELb1ELb1ES3_N6thrust23THRUST_200600_302600_NS6detail15normal_iteratorINS9_10device_ptrIdEEEENS9_16discard_iteratorINS9_11use_defaultEEEd11max_functorIdEdEEDaPvRmT3_T4_T5_mT6_P12ihipStream_tbENKUlT_T0_E_clISt17integral_constantIbLb0EESX_EEDaSS_ST_EUlSS_E_NS1_11comp_targetILNS1_3genE9ELNS1_11target_archE1100ELNS1_3gpuE3ELNS1_3repE0EEENS1_30default_config_static_selectorELNS0_4arch9wavefront6targetE1EEEvT1_
	.globl	_ZN7rocprim17ROCPRIM_400000_NS6detail17trampoline_kernelINS0_14default_configENS1_20scan_config_selectorIdEEZZNS1_9scan_implILNS1_25lookback_scan_determinismE0ELb1ELb1ES3_N6thrust23THRUST_200600_302600_NS6detail15normal_iteratorINS9_10device_ptrIdEEEENS9_16discard_iteratorINS9_11use_defaultEEEd11max_functorIdEdEEDaPvRmT3_T4_T5_mT6_P12ihipStream_tbENKUlT_T0_E_clISt17integral_constantIbLb0EESX_EEDaSS_ST_EUlSS_E_NS1_11comp_targetILNS1_3genE9ELNS1_11target_archE1100ELNS1_3gpuE3ELNS1_3repE0EEENS1_30default_config_static_selectorELNS0_4arch9wavefront6targetE1EEEvT1_
	.p2align	8
	.type	_ZN7rocprim17ROCPRIM_400000_NS6detail17trampoline_kernelINS0_14default_configENS1_20scan_config_selectorIdEEZZNS1_9scan_implILNS1_25lookback_scan_determinismE0ELb1ELb1ES3_N6thrust23THRUST_200600_302600_NS6detail15normal_iteratorINS9_10device_ptrIdEEEENS9_16discard_iteratorINS9_11use_defaultEEEd11max_functorIdEdEEDaPvRmT3_T4_T5_mT6_P12ihipStream_tbENKUlT_T0_E_clISt17integral_constantIbLb0EESX_EEDaSS_ST_EUlSS_E_NS1_11comp_targetILNS1_3genE9ELNS1_11target_archE1100ELNS1_3gpuE3ELNS1_3repE0EEENS1_30default_config_static_selectorELNS0_4arch9wavefront6targetE1EEEvT1_,@function
_ZN7rocprim17ROCPRIM_400000_NS6detail17trampoline_kernelINS0_14default_configENS1_20scan_config_selectorIdEEZZNS1_9scan_implILNS1_25lookback_scan_determinismE0ELb1ELb1ES3_N6thrust23THRUST_200600_302600_NS6detail15normal_iteratorINS9_10device_ptrIdEEEENS9_16discard_iteratorINS9_11use_defaultEEEd11max_functorIdEdEEDaPvRmT3_T4_T5_mT6_P12ihipStream_tbENKUlT_T0_E_clISt17integral_constantIbLb0EESX_EEDaSS_ST_EUlSS_E_NS1_11comp_targetILNS1_3genE9ELNS1_11target_archE1100ELNS1_3gpuE3ELNS1_3repE0EEENS1_30default_config_static_selectorELNS0_4arch9wavefront6targetE1EEEvT1_: ; @_ZN7rocprim17ROCPRIM_400000_NS6detail17trampoline_kernelINS0_14default_configENS1_20scan_config_selectorIdEEZZNS1_9scan_implILNS1_25lookback_scan_determinismE0ELb1ELb1ES3_N6thrust23THRUST_200600_302600_NS6detail15normal_iteratorINS9_10device_ptrIdEEEENS9_16discard_iteratorINS9_11use_defaultEEEd11max_functorIdEdEEDaPvRmT3_T4_T5_mT6_P12ihipStream_tbENKUlT_T0_E_clISt17integral_constantIbLb0EESX_EEDaSS_ST_EUlSS_E_NS1_11comp_targetILNS1_3genE9ELNS1_11target_archE1100ELNS1_3gpuE3ELNS1_3repE0EEENS1_30default_config_static_selectorELNS0_4arch9wavefront6targetE1EEEvT1_
; %bb.0:
	.section	.rodata,"a",@progbits
	.p2align	6, 0x0
	.amdhsa_kernel _ZN7rocprim17ROCPRIM_400000_NS6detail17trampoline_kernelINS0_14default_configENS1_20scan_config_selectorIdEEZZNS1_9scan_implILNS1_25lookback_scan_determinismE0ELb1ELb1ES3_N6thrust23THRUST_200600_302600_NS6detail15normal_iteratorINS9_10device_ptrIdEEEENS9_16discard_iteratorINS9_11use_defaultEEEd11max_functorIdEdEEDaPvRmT3_T4_T5_mT6_P12ihipStream_tbENKUlT_T0_E_clISt17integral_constantIbLb0EESX_EEDaSS_ST_EUlSS_E_NS1_11comp_targetILNS1_3genE9ELNS1_11target_archE1100ELNS1_3gpuE3ELNS1_3repE0EEENS1_30default_config_static_selectorELNS0_4arch9wavefront6targetE1EEEvT1_
		.amdhsa_group_segment_fixed_size 0
		.amdhsa_private_segment_fixed_size 0
		.amdhsa_kernarg_size 112
		.amdhsa_user_sgpr_count 6
		.amdhsa_user_sgpr_private_segment_buffer 1
		.amdhsa_user_sgpr_dispatch_ptr 0
		.amdhsa_user_sgpr_queue_ptr 0
		.amdhsa_user_sgpr_kernarg_segment_ptr 1
		.amdhsa_user_sgpr_dispatch_id 0
		.amdhsa_user_sgpr_flat_scratch_init 0
		.amdhsa_user_sgpr_kernarg_preload_length 0
		.amdhsa_user_sgpr_kernarg_preload_offset 0
		.amdhsa_user_sgpr_private_segment_size 0
		.amdhsa_uses_dynamic_stack 0
		.amdhsa_system_sgpr_private_segment_wavefront_offset 0
		.amdhsa_system_sgpr_workgroup_id_x 1
		.amdhsa_system_sgpr_workgroup_id_y 0
		.amdhsa_system_sgpr_workgroup_id_z 0
		.amdhsa_system_sgpr_workgroup_info 0
		.amdhsa_system_vgpr_workitem_id 0
		.amdhsa_next_free_vgpr 1
		.amdhsa_next_free_sgpr 0
		.amdhsa_accum_offset 4
		.amdhsa_reserve_vcc 0
		.amdhsa_reserve_flat_scratch 0
		.amdhsa_float_round_mode_32 0
		.amdhsa_float_round_mode_16_64 0
		.amdhsa_float_denorm_mode_32 3
		.amdhsa_float_denorm_mode_16_64 3
		.amdhsa_dx10_clamp 1
		.amdhsa_ieee_mode 1
		.amdhsa_fp16_overflow 0
		.amdhsa_tg_split 0
		.amdhsa_exception_fp_ieee_invalid_op 0
		.amdhsa_exception_fp_denorm_src 0
		.amdhsa_exception_fp_ieee_div_zero 0
		.amdhsa_exception_fp_ieee_overflow 0
		.amdhsa_exception_fp_ieee_underflow 0
		.amdhsa_exception_fp_ieee_inexact 0
		.amdhsa_exception_int_div_zero 0
	.end_amdhsa_kernel
	.section	.text._ZN7rocprim17ROCPRIM_400000_NS6detail17trampoline_kernelINS0_14default_configENS1_20scan_config_selectorIdEEZZNS1_9scan_implILNS1_25lookback_scan_determinismE0ELb1ELb1ES3_N6thrust23THRUST_200600_302600_NS6detail15normal_iteratorINS9_10device_ptrIdEEEENS9_16discard_iteratorINS9_11use_defaultEEEd11max_functorIdEdEEDaPvRmT3_T4_T5_mT6_P12ihipStream_tbENKUlT_T0_E_clISt17integral_constantIbLb0EESX_EEDaSS_ST_EUlSS_E_NS1_11comp_targetILNS1_3genE9ELNS1_11target_archE1100ELNS1_3gpuE3ELNS1_3repE0EEENS1_30default_config_static_selectorELNS0_4arch9wavefront6targetE1EEEvT1_,"axG",@progbits,_ZN7rocprim17ROCPRIM_400000_NS6detail17trampoline_kernelINS0_14default_configENS1_20scan_config_selectorIdEEZZNS1_9scan_implILNS1_25lookback_scan_determinismE0ELb1ELb1ES3_N6thrust23THRUST_200600_302600_NS6detail15normal_iteratorINS9_10device_ptrIdEEEENS9_16discard_iteratorINS9_11use_defaultEEEd11max_functorIdEdEEDaPvRmT3_T4_T5_mT6_P12ihipStream_tbENKUlT_T0_E_clISt17integral_constantIbLb0EESX_EEDaSS_ST_EUlSS_E_NS1_11comp_targetILNS1_3genE9ELNS1_11target_archE1100ELNS1_3gpuE3ELNS1_3repE0EEENS1_30default_config_static_selectorELNS0_4arch9wavefront6targetE1EEEvT1_,comdat
.Lfunc_end3069:
	.size	_ZN7rocprim17ROCPRIM_400000_NS6detail17trampoline_kernelINS0_14default_configENS1_20scan_config_selectorIdEEZZNS1_9scan_implILNS1_25lookback_scan_determinismE0ELb1ELb1ES3_N6thrust23THRUST_200600_302600_NS6detail15normal_iteratorINS9_10device_ptrIdEEEENS9_16discard_iteratorINS9_11use_defaultEEEd11max_functorIdEdEEDaPvRmT3_T4_T5_mT6_P12ihipStream_tbENKUlT_T0_E_clISt17integral_constantIbLb0EESX_EEDaSS_ST_EUlSS_E_NS1_11comp_targetILNS1_3genE9ELNS1_11target_archE1100ELNS1_3gpuE3ELNS1_3repE0EEENS1_30default_config_static_selectorELNS0_4arch9wavefront6targetE1EEEvT1_, .Lfunc_end3069-_ZN7rocprim17ROCPRIM_400000_NS6detail17trampoline_kernelINS0_14default_configENS1_20scan_config_selectorIdEEZZNS1_9scan_implILNS1_25lookback_scan_determinismE0ELb1ELb1ES3_N6thrust23THRUST_200600_302600_NS6detail15normal_iteratorINS9_10device_ptrIdEEEENS9_16discard_iteratorINS9_11use_defaultEEEd11max_functorIdEdEEDaPvRmT3_T4_T5_mT6_P12ihipStream_tbENKUlT_T0_E_clISt17integral_constantIbLb0EESX_EEDaSS_ST_EUlSS_E_NS1_11comp_targetILNS1_3genE9ELNS1_11target_archE1100ELNS1_3gpuE3ELNS1_3repE0EEENS1_30default_config_static_selectorELNS0_4arch9wavefront6targetE1EEEvT1_
                                        ; -- End function
	.section	.AMDGPU.csdata,"",@progbits
; Kernel info:
; codeLenInByte = 0
; NumSgprs: 4
; NumVgprs: 0
; NumAgprs: 0
; TotalNumVgprs: 0
; ScratchSize: 0
; MemoryBound: 0
; FloatMode: 240
; IeeeMode: 1
; LDSByteSize: 0 bytes/workgroup (compile time only)
; SGPRBlocks: 0
; VGPRBlocks: 0
; NumSGPRsForWavesPerEU: 4
; NumVGPRsForWavesPerEU: 1
; AccumOffset: 4
; Occupancy: 8
; WaveLimiterHint : 0
; COMPUTE_PGM_RSRC2:SCRATCH_EN: 0
; COMPUTE_PGM_RSRC2:USER_SGPR: 6
; COMPUTE_PGM_RSRC2:TRAP_HANDLER: 0
; COMPUTE_PGM_RSRC2:TGID_X_EN: 1
; COMPUTE_PGM_RSRC2:TGID_Y_EN: 0
; COMPUTE_PGM_RSRC2:TGID_Z_EN: 0
; COMPUTE_PGM_RSRC2:TIDIG_COMP_CNT: 0
; COMPUTE_PGM_RSRC3_GFX90A:ACCUM_OFFSET: 0
; COMPUTE_PGM_RSRC3_GFX90A:TG_SPLIT: 0
	.section	.text._ZN7rocprim17ROCPRIM_400000_NS6detail17trampoline_kernelINS0_14default_configENS1_20scan_config_selectorIdEEZZNS1_9scan_implILNS1_25lookback_scan_determinismE0ELb1ELb1ES3_N6thrust23THRUST_200600_302600_NS6detail15normal_iteratorINS9_10device_ptrIdEEEENS9_16discard_iteratorINS9_11use_defaultEEEd11max_functorIdEdEEDaPvRmT3_T4_T5_mT6_P12ihipStream_tbENKUlT_T0_E_clISt17integral_constantIbLb0EESX_EEDaSS_ST_EUlSS_E_NS1_11comp_targetILNS1_3genE8ELNS1_11target_archE1030ELNS1_3gpuE2ELNS1_3repE0EEENS1_30default_config_static_selectorELNS0_4arch9wavefront6targetE1EEEvT1_,"axG",@progbits,_ZN7rocprim17ROCPRIM_400000_NS6detail17trampoline_kernelINS0_14default_configENS1_20scan_config_selectorIdEEZZNS1_9scan_implILNS1_25lookback_scan_determinismE0ELb1ELb1ES3_N6thrust23THRUST_200600_302600_NS6detail15normal_iteratorINS9_10device_ptrIdEEEENS9_16discard_iteratorINS9_11use_defaultEEEd11max_functorIdEdEEDaPvRmT3_T4_T5_mT6_P12ihipStream_tbENKUlT_T0_E_clISt17integral_constantIbLb0EESX_EEDaSS_ST_EUlSS_E_NS1_11comp_targetILNS1_3genE8ELNS1_11target_archE1030ELNS1_3gpuE2ELNS1_3repE0EEENS1_30default_config_static_selectorELNS0_4arch9wavefront6targetE1EEEvT1_,comdat
	.protected	_ZN7rocprim17ROCPRIM_400000_NS6detail17trampoline_kernelINS0_14default_configENS1_20scan_config_selectorIdEEZZNS1_9scan_implILNS1_25lookback_scan_determinismE0ELb1ELb1ES3_N6thrust23THRUST_200600_302600_NS6detail15normal_iteratorINS9_10device_ptrIdEEEENS9_16discard_iteratorINS9_11use_defaultEEEd11max_functorIdEdEEDaPvRmT3_T4_T5_mT6_P12ihipStream_tbENKUlT_T0_E_clISt17integral_constantIbLb0EESX_EEDaSS_ST_EUlSS_E_NS1_11comp_targetILNS1_3genE8ELNS1_11target_archE1030ELNS1_3gpuE2ELNS1_3repE0EEENS1_30default_config_static_selectorELNS0_4arch9wavefront6targetE1EEEvT1_ ; -- Begin function _ZN7rocprim17ROCPRIM_400000_NS6detail17trampoline_kernelINS0_14default_configENS1_20scan_config_selectorIdEEZZNS1_9scan_implILNS1_25lookback_scan_determinismE0ELb1ELb1ES3_N6thrust23THRUST_200600_302600_NS6detail15normal_iteratorINS9_10device_ptrIdEEEENS9_16discard_iteratorINS9_11use_defaultEEEd11max_functorIdEdEEDaPvRmT3_T4_T5_mT6_P12ihipStream_tbENKUlT_T0_E_clISt17integral_constantIbLb0EESX_EEDaSS_ST_EUlSS_E_NS1_11comp_targetILNS1_3genE8ELNS1_11target_archE1030ELNS1_3gpuE2ELNS1_3repE0EEENS1_30default_config_static_selectorELNS0_4arch9wavefront6targetE1EEEvT1_
	.globl	_ZN7rocprim17ROCPRIM_400000_NS6detail17trampoline_kernelINS0_14default_configENS1_20scan_config_selectorIdEEZZNS1_9scan_implILNS1_25lookback_scan_determinismE0ELb1ELb1ES3_N6thrust23THRUST_200600_302600_NS6detail15normal_iteratorINS9_10device_ptrIdEEEENS9_16discard_iteratorINS9_11use_defaultEEEd11max_functorIdEdEEDaPvRmT3_T4_T5_mT6_P12ihipStream_tbENKUlT_T0_E_clISt17integral_constantIbLb0EESX_EEDaSS_ST_EUlSS_E_NS1_11comp_targetILNS1_3genE8ELNS1_11target_archE1030ELNS1_3gpuE2ELNS1_3repE0EEENS1_30default_config_static_selectorELNS0_4arch9wavefront6targetE1EEEvT1_
	.p2align	8
	.type	_ZN7rocprim17ROCPRIM_400000_NS6detail17trampoline_kernelINS0_14default_configENS1_20scan_config_selectorIdEEZZNS1_9scan_implILNS1_25lookback_scan_determinismE0ELb1ELb1ES3_N6thrust23THRUST_200600_302600_NS6detail15normal_iteratorINS9_10device_ptrIdEEEENS9_16discard_iteratorINS9_11use_defaultEEEd11max_functorIdEdEEDaPvRmT3_T4_T5_mT6_P12ihipStream_tbENKUlT_T0_E_clISt17integral_constantIbLb0EESX_EEDaSS_ST_EUlSS_E_NS1_11comp_targetILNS1_3genE8ELNS1_11target_archE1030ELNS1_3gpuE2ELNS1_3repE0EEENS1_30default_config_static_selectorELNS0_4arch9wavefront6targetE1EEEvT1_,@function
_ZN7rocprim17ROCPRIM_400000_NS6detail17trampoline_kernelINS0_14default_configENS1_20scan_config_selectorIdEEZZNS1_9scan_implILNS1_25lookback_scan_determinismE0ELb1ELb1ES3_N6thrust23THRUST_200600_302600_NS6detail15normal_iteratorINS9_10device_ptrIdEEEENS9_16discard_iteratorINS9_11use_defaultEEEd11max_functorIdEdEEDaPvRmT3_T4_T5_mT6_P12ihipStream_tbENKUlT_T0_E_clISt17integral_constantIbLb0EESX_EEDaSS_ST_EUlSS_E_NS1_11comp_targetILNS1_3genE8ELNS1_11target_archE1030ELNS1_3gpuE2ELNS1_3repE0EEENS1_30default_config_static_selectorELNS0_4arch9wavefront6targetE1EEEvT1_: ; @_ZN7rocprim17ROCPRIM_400000_NS6detail17trampoline_kernelINS0_14default_configENS1_20scan_config_selectorIdEEZZNS1_9scan_implILNS1_25lookback_scan_determinismE0ELb1ELb1ES3_N6thrust23THRUST_200600_302600_NS6detail15normal_iteratorINS9_10device_ptrIdEEEENS9_16discard_iteratorINS9_11use_defaultEEEd11max_functorIdEdEEDaPvRmT3_T4_T5_mT6_P12ihipStream_tbENKUlT_T0_E_clISt17integral_constantIbLb0EESX_EEDaSS_ST_EUlSS_E_NS1_11comp_targetILNS1_3genE8ELNS1_11target_archE1030ELNS1_3gpuE2ELNS1_3repE0EEENS1_30default_config_static_selectorELNS0_4arch9wavefront6targetE1EEEvT1_
; %bb.0:
	.section	.rodata,"a",@progbits
	.p2align	6, 0x0
	.amdhsa_kernel _ZN7rocprim17ROCPRIM_400000_NS6detail17trampoline_kernelINS0_14default_configENS1_20scan_config_selectorIdEEZZNS1_9scan_implILNS1_25lookback_scan_determinismE0ELb1ELb1ES3_N6thrust23THRUST_200600_302600_NS6detail15normal_iteratorINS9_10device_ptrIdEEEENS9_16discard_iteratorINS9_11use_defaultEEEd11max_functorIdEdEEDaPvRmT3_T4_T5_mT6_P12ihipStream_tbENKUlT_T0_E_clISt17integral_constantIbLb0EESX_EEDaSS_ST_EUlSS_E_NS1_11comp_targetILNS1_3genE8ELNS1_11target_archE1030ELNS1_3gpuE2ELNS1_3repE0EEENS1_30default_config_static_selectorELNS0_4arch9wavefront6targetE1EEEvT1_
		.amdhsa_group_segment_fixed_size 0
		.amdhsa_private_segment_fixed_size 0
		.amdhsa_kernarg_size 112
		.amdhsa_user_sgpr_count 6
		.amdhsa_user_sgpr_private_segment_buffer 1
		.amdhsa_user_sgpr_dispatch_ptr 0
		.amdhsa_user_sgpr_queue_ptr 0
		.amdhsa_user_sgpr_kernarg_segment_ptr 1
		.amdhsa_user_sgpr_dispatch_id 0
		.amdhsa_user_sgpr_flat_scratch_init 0
		.amdhsa_user_sgpr_kernarg_preload_length 0
		.amdhsa_user_sgpr_kernarg_preload_offset 0
		.amdhsa_user_sgpr_private_segment_size 0
		.amdhsa_uses_dynamic_stack 0
		.amdhsa_system_sgpr_private_segment_wavefront_offset 0
		.amdhsa_system_sgpr_workgroup_id_x 1
		.amdhsa_system_sgpr_workgroup_id_y 0
		.amdhsa_system_sgpr_workgroup_id_z 0
		.amdhsa_system_sgpr_workgroup_info 0
		.amdhsa_system_vgpr_workitem_id 0
		.amdhsa_next_free_vgpr 1
		.amdhsa_next_free_sgpr 0
		.amdhsa_accum_offset 4
		.amdhsa_reserve_vcc 0
		.amdhsa_reserve_flat_scratch 0
		.amdhsa_float_round_mode_32 0
		.amdhsa_float_round_mode_16_64 0
		.amdhsa_float_denorm_mode_32 3
		.amdhsa_float_denorm_mode_16_64 3
		.amdhsa_dx10_clamp 1
		.amdhsa_ieee_mode 1
		.amdhsa_fp16_overflow 0
		.amdhsa_tg_split 0
		.amdhsa_exception_fp_ieee_invalid_op 0
		.amdhsa_exception_fp_denorm_src 0
		.amdhsa_exception_fp_ieee_div_zero 0
		.amdhsa_exception_fp_ieee_overflow 0
		.amdhsa_exception_fp_ieee_underflow 0
		.amdhsa_exception_fp_ieee_inexact 0
		.amdhsa_exception_int_div_zero 0
	.end_amdhsa_kernel
	.section	.text._ZN7rocprim17ROCPRIM_400000_NS6detail17trampoline_kernelINS0_14default_configENS1_20scan_config_selectorIdEEZZNS1_9scan_implILNS1_25lookback_scan_determinismE0ELb1ELb1ES3_N6thrust23THRUST_200600_302600_NS6detail15normal_iteratorINS9_10device_ptrIdEEEENS9_16discard_iteratorINS9_11use_defaultEEEd11max_functorIdEdEEDaPvRmT3_T4_T5_mT6_P12ihipStream_tbENKUlT_T0_E_clISt17integral_constantIbLb0EESX_EEDaSS_ST_EUlSS_E_NS1_11comp_targetILNS1_3genE8ELNS1_11target_archE1030ELNS1_3gpuE2ELNS1_3repE0EEENS1_30default_config_static_selectorELNS0_4arch9wavefront6targetE1EEEvT1_,"axG",@progbits,_ZN7rocprim17ROCPRIM_400000_NS6detail17trampoline_kernelINS0_14default_configENS1_20scan_config_selectorIdEEZZNS1_9scan_implILNS1_25lookback_scan_determinismE0ELb1ELb1ES3_N6thrust23THRUST_200600_302600_NS6detail15normal_iteratorINS9_10device_ptrIdEEEENS9_16discard_iteratorINS9_11use_defaultEEEd11max_functorIdEdEEDaPvRmT3_T4_T5_mT6_P12ihipStream_tbENKUlT_T0_E_clISt17integral_constantIbLb0EESX_EEDaSS_ST_EUlSS_E_NS1_11comp_targetILNS1_3genE8ELNS1_11target_archE1030ELNS1_3gpuE2ELNS1_3repE0EEENS1_30default_config_static_selectorELNS0_4arch9wavefront6targetE1EEEvT1_,comdat
.Lfunc_end3070:
	.size	_ZN7rocprim17ROCPRIM_400000_NS6detail17trampoline_kernelINS0_14default_configENS1_20scan_config_selectorIdEEZZNS1_9scan_implILNS1_25lookback_scan_determinismE0ELb1ELb1ES3_N6thrust23THRUST_200600_302600_NS6detail15normal_iteratorINS9_10device_ptrIdEEEENS9_16discard_iteratorINS9_11use_defaultEEEd11max_functorIdEdEEDaPvRmT3_T4_T5_mT6_P12ihipStream_tbENKUlT_T0_E_clISt17integral_constantIbLb0EESX_EEDaSS_ST_EUlSS_E_NS1_11comp_targetILNS1_3genE8ELNS1_11target_archE1030ELNS1_3gpuE2ELNS1_3repE0EEENS1_30default_config_static_selectorELNS0_4arch9wavefront6targetE1EEEvT1_, .Lfunc_end3070-_ZN7rocprim17ROCPRIM_400000_NS6detail17trampoline_kernelINS0_14default_configENS1_20scan_config_selectorIdEEZZNS1_9scan_implILNS1_25lookback_scan_determinismE0ELb1ELb1ES3_N6thrust23THRUST_200600_302600_NS6detail15normal_iteratorINS9_10device_ptrIdEEEENS9_16discard_iteratorINS9_11use_defaultEEEd11max_functorIdEdEEDaPvRmT3_T4_T5_mT6_P12ihipStream_tbENKUlT_T0_E_clISt17integral_constantIbLb0EESX_EEDaSS_ST_EUlSS_E_NS1_11comp_targetILNS1_3genE8ELNS1_11target_archE1030ELNS1_3gpuE2ELNS1_3repE0EEENS1_30default_config_static_selectorELNS0_4arch9wavefront6targetE1EEEvT1_
                                        ; -- End function
	.section	.AMDGPU.csdata,"",@progbits
; Kernel info:
; codeLenInByte = 0
; NumSgprs: 4
; NumVgprs: 0
; NumAgprs: 0
; TotalNumVgprs: 0
; ScratchSize: 0
; MemoryBound: 0
; FloatMode: 240
; IeeeMode: 1
; LDSByteSize: 0 bytes/workgroup (compile time only)
; SGPRBlocks: 0
; VGPRBlocks: 0
; NumSGPRsForWavesPerEU: 4
; NumVGPRsForWavesPerEU: 1
; AccumOffset: 4
; Occupancy: 8
; WaveLimiterHint : 0
; COMPUTE_PGM_RSRC2:SCRATCH_EN: 0
; COMPUTE_PGM_RSRC2:USER_SGPR: 6
; COMPUTE_PGM_RSRC2:TRAP_HANDLER: 0
; COMPUTE_PGM_RSRC2:TGID_X_EN: 1
; COMPUTE_PGM_RSRC2:TGID_Y_EN: 0
; COMPUTE_PGM_RSRC2:TGID_Z_EN: 0
; COMPUTE_PGM_RSRC2:TIDIG_COMP_CNT: 0
; COMPUTE_PGM_RSRC3_GFX90A:ACCUM_OFFSET: 0
; COMPUTE_PGM_RSRC3_GFX90A:TG_SPLIT: 0
	.section	.text._ZN7rocprim17ROCPRIM_400000_NS6detail17trampoline_kernelINS0_14default_configENS1_20scan_config_selectorIdEEZZNS1_9scan_implILNS1_25lookback_scan_determinismE0ELb1ELb1ES3_N6thrust23THRUST_200600_302600_NS6detail15normal_iteratorINS9_10device_ptrIdEEEENS9_16discard_iteratorINS9_11use_defaultEEEd11max_functorIdEdEEDaPvRmT3_T4_T5_mT6_P12ihipStream_tbENKUlT_T0_E_clISt17integral_constantIbLb0EESX_EEDaSS_ST_EUlSS_E0_NS1_11comp_targetILNS1_3genE0ELNS1_11target_archE4294967295ELNS1_3gpuE0ELNS1_3repE0EEENS1_30default_config_static_selectorELNS0_4arch9wavefront6targetE1EEEvT1_,"axG",@progbits,_ZN7rocprim17ROCPRIM_400000_NS6detail17trampoline_kernelINS0_14default_configENS1_20scan_config_selectorIdEEZZNS1_9scan_implILNS1_25lookback_scan_determinismE0ELb1ELb1ES3_N6thrust23THRUST_200600_302600_NS6detail15normal_iteratorINS9_10device_ptrIdEEEENS9_16discard_iteratorINS9_11use_defaultEEEd11max_functorIdEdEEDaPvRmT3_T4_T5_mT6_P12ihipStream_tbENKUlT_T0_E_clISt17integral_constantIbLb0EESX_EEDaSS_ST_EUlSS_E0_NS1_11comp_targetILNS1_3genE0ELNS1_11target_archE4294967295ELNS1_3gpuE0ELNS1_3repE0EEENS1_30default_config_static_selectorELNS0_4arch9wavefront6targetE1EEEvT1_,comdat
	.protected	_ZN7rocprim17ROCPRIM_400000_NS6detail17trampoline_kernelINS0_14default_configENS1_20scan_config_selectorIdEEZZNS1_9scan_implILNS1_25lookback_scan_determinismE0ELb1ELb1ES3_N6thrust23THRUST_200600_302600_NS6detail15normal_iteratorINS9_10device_ptrIdEEEENS9_16discard_iteratorINS9_11use_defaultEEEd11max_functorIdEdEEDaPvRmT3_T4_T5_mT6_P12ihipStream_tbENKUlT_T0_E_clISt17integral_constantIbLb0EESX_EEDaSS_ST_EUlSS_E0_NS1_11comp_targetILNS1_3genE0ELNS1_11target_archE4294967295ELNS1_3gpuE0ELNS1_3repE0EEENS1_30default_config_static_selectorELNS0_4arch9wavefront6targetE1EEEvT1_ ; -- Begin function _ZN7rocprim17ROCPRIM_400000_NS6detail17trampoline_kernelINS0_14default_configENS1_20scan_config_selectorIdEEZZNS1_9scan_implILNS1_25lookback_scan_determinismE0ELb1ELb1ES3_N6thrust23THRUST_200600_302600_NS6detail15normal_iteratorINS9_10device_ptrIdEEEENS9_16discard_iteratorINS9_11use_defaultEEEd11max_functorIdEdEEDaPvRmT3_T4_T5_mT6_P12ihipStream_tbENKUlT_T0_E_clISt17integral_constantIbLb0EESX_EEDaSS_ST_EUlSS_E0_NS1_11comp_targetILNS1_3genE0ELNS1_11target_archE4294967295ELNS1_3gpuE0ELNS1_3repE0EEENS1_30default_config_static_selectorELNS0_4arch9wavefront6targetE1EEEvT1_
	.globl	_ZN7rocprim17ROCPRIM_400000_NS6detail17trampoline_kernelINS0_14default_configENS1_20scan_config_selectorIdEEZZNS1_9scan_implILNS1_25lookback_scan_determinismE0ELb1ELb1ES3_N6thrust23THRUST_200600_302600_NS6detail15normal_iteratorINS9_10device_ptrIdEEEENS9_16discard_iteratorINS9_11use_defaultEEEd11max_functorIdEdEEDaPvRmT3_T4_T5_mT6_P12ihipStream_tbENKUlT_T0_E_clISt17integral_constantIbLb0EESX_EEDaSS_ST_EUlSS_E0_NS1_11comp_targetILNS1_3genE0ELNS1_11target_archE4294967295ELNS1_3gpuE0ELNS1_3repE0EEENS1_30default_config_static_selectorELNS0_4arch9wavefront6targetE1EEEvT1_
	.p2align	8
	.type	_ZN7rocprim17ROCPRIM_400000_NS6detail17trampoline_kernelINS0_14default_configENS1_20scan_config_selectorIdEEZZNS1_9scan_implILNS1_25lookback_scan_determinismE0ELb1ELb1ES3_N6thrust23THRUST_200600_302600_NS6detail15normal_iteratorINS9_10device_ptrIdEEEENS9_16discard_iteratorINS9_11use_defaultEEEd11max_functorIdEdEEDaPvRmT3_T4_T5_mT6_P12ihipStream_tbENKUlT_T0_E_clISt17integral_constantIbLb0EESX_EEDaSS_ST_EUlSS_E0_NS1_11comp_targetILNS1_3genE0ELNS1_11target_archE4294967295ELNS1_3gpuE0ELNS1_3repE0EEENS1_30default_config_static_selectorELNS0_4arch9wavefront6targetE1EEEvT1_,@function
_ZN7rocprim17ROCPRIM_400000_NS6detail17trampoline_kernelINS0_14default_configENS1_20scan_config_selectorIdEEZZNS1_9scan_implILNS1_25lookback_scan_determinismE0ELb1ELb1ES3_N6thrust23THRUST_200600_302600_NS6detail15normal_iteratorINS9_10device_ptrIdEEEENS9_16discard_iteratorINS9_11use_defaultEEEd11max_functorIdEdEEDaPvRmT3_T4_T5_mT6_P12ihipStream_tbENKUlT_T0_E_clISt17integral_constantIbLb0EESX_EEDaSS_ST_EUlSS_E0_NS1_11comp_targetILNS1_3genE0ELNS1_11target_archE4294967295ELNS1_3gpuE0ELNS1_3repE0EEENS1_30default_config_static_selectorELNS0_4arch9wavefront6targetE1EEEvT1_: ; @_ZN7rocprim17ROCPRIM_400000_NS6detail17trampoline_kernelINS0_14default_configENS1_20scan_config_selectorIdEEZZNS1_9scan_implILNS1_25lookback_scan_determinismE0ELb1ELb1ES3_N6thrust23THRUST_200600_302600_NS6detail15normal_iteratorINS9_10device_ptrIdEEEENS9_16discard_iteratorINS9_11use_defaultEEEd11max_functorIdEdEEDaPvRmT3_T4_T5_mT6_P12ihipStream_tbENKUlT_T0_E_clISt17integral_constantIbLb0EESX_EEDaSS_ST_EUlSS_E0_NS1_11comp_targetILNS1_3genE0ELNS1_11target_archE4294967295ELNS1_3gpuE0ELNS1_3repE0EEENS1_30default_config_static_selectorELNS0_4arch9wavefront6targetE1EEEvT1_
; %bb.0:
	.section	.rodata,"a",@progbits
	.p2align	6, 0x0
	.amdhsa_kernel _ZN7rocprim17ROCPRIM_400000_NS6detail17trampoline_kernelINS0_14default_configENS1_20scan_config_selectorIdEEZZNS1_9scan_implILNS1_25lookback_scan_determinismE0ELb1ELb1ES3_N6thrust23THRUST_200600_302600_NS6detail15normal_iteratorINS9_10device_ptrIdEEEENS9_16discard_iteratorINS9_11use_defaultEEEd11max_functorIdEdEEDaPvRmT3_T4_T5_mT6_P12ihipStream_tbENKUlT_T0_E_clISt17integral_constantIbLb0EESX_EEDaSS_ST_EUlSS_E0_NS1_11comp_targetILNS1_3genE0ELNS1_11target_archE4294967295ELNS1_3gpuE0ELNS1_3repE0EEENS1_30default_config_static_selectorELNS0_4arch9wavefront6targetE1EEEvT1_
		.amdhsa_group_segment_fixed_size 0
		.amdhsa_private_segment_fixed_size 0
		.amdhsa_kernarg_size 48
		.amdhsa_user_sgpr_count 6
		.amdhsa_user_sgpr_private_segment_buffer 1
		.amdhsa_user_sgpr_dispatch_ptr 0
		.amdhsa_user_sgpr_queue_ptr 0
		.amdhsa_user_sgpr_kernarg_segment_ptr 1
		.amdhsa_user_sgpr_dispatch_id 0
		.amdhsa_user_sgpr_flat_scratch_init 0
		.amdhsa_user_sgpr_kernarg_preload_length 0
		.amdhsa_user_sgpr_kernarg_preload_offset 0
		.amdhsa_user_sgpr_private_segment_size 0
		.amdhsa_uses_dynamic_stack 0
		.amdhsa_system_sgpr_private_segment_wavefront_offset 0
		.amdhsa_system_sgpr_workgroup_id_x 1
		.amdhsa_system_sgpr_workgroup_id_y 0
		.amdhsa_system_sgpr_workgroup_id_z 0
		.amdhsa_system_sgpr_workgroup_info 0
		.amdhsa_system_vgpr_workitem_id 0
		.amdhsa_next_free_vgpr 1
		.amdhsa_next_free_sgpr 0
		.amdhsa_accum_offset 4
		.amdhsa_reserve_vcc 0
		.amdhsa_reserve_flat_scratch 0
		.amdhsa_float_round_mode_32 0
		.amdhsa_float_round_mode_16_64 0
		.amdhsa_float_denorm_mode_32 3
		.amdhsa_float_denorm_mode_16_64 3
		.amdhsa_dx10_clamp 1
		.amdhsa_ieee_mode 1
		.amdhsa_fp16_overflow 0
		.amdhsa_tg_split 0
		.amdhsa_exception_fp_ieee_invalid_op 0
		.amdhsa_exception_fp_denorm_src 0
		.amdhsa_exception_fp_ieee_div_zero 0
		.amdhsa_exception_fp_ieee_overflow 0
		.amdhsa_exception_fp_ieee_underflow 0
		.amdhsa_exception_fp_ieee_inexact 0
		.amdhsa_exception_int_div_zero 0
	.end_amdhsa_kernel
	.section	.text._ZN7rocprim17ROCPRIM_400000_NS6detail17trampoline_kernelINS0_14default_configENS1_20scan_config_selectorIdEEZZNS1_9scan_implILNS1_25lookback_scan_determinismE0ELb1ELb1ES3_N6thrust23THRUST_200600_302600_NS6detail15normal_iteratorINS9_10device_ptrIdEEEENS9_16discard_iteratorINS9_11use_defaultEEEd11max_functorIdEdEEDaPvRmT3_T4_T5_mT6_P12ihipStream_tbENKUlT_T0_E_clISt17integral_constantIbLb0EESX_EEDaSS_ST_EUlSS_E0_NS1_11comp_targetILNS1_3genE0ELNS1_11target_archE4294967295ELNS1_3gpuE0ELNS1_3repE0EEENS1_30default_config_static_selectorELNS0_4arch9wavefront6targetE1EEEvT1_,"axG",@progbits,_ZN7rocprim17ROCPRIM_400000_NS6detail17trampoline_kernelINS0_14default_configENS1_20scan_config_selectorIdEEZZNS1_9scan_implILNS1_25lookback_scan_determinismE0ELb1ELb1ES3_N6thrust23THRUST_200600_302600_NS6detail15normal_iteratorINS9_10device_ptrIdEEEENS9_16discard_iteratorINS9_11use_defaultEEEd11max_functorIdEdEEDaPvRmT3_T4_T5_mT6_P12ihipStream_tbENKUlT_T0_E_clISt17integral_constantIbLb0EESX_EEDaSS_ST_EUlSS_E0_NS1_11comp_targetILNS1_3genE0ELNS1_11target_archE4294967295ELNS1_3gpuE0ELNS1_3repE0EEENS1_30default_config_static_selectorELNS0_4arch9wavefront6targetE1EEEvT1_,comdat
.Lfunc_end3071:
	.size	_ZN7rocprim17ROCPRIM_400000_NS6detail17trampoline_kernelINS0_14default_configENS1_20scan_config_selectorIdEEZZNS1_9scan_implILNS1_25lookback_scan_determinismE0ELb1ELb1ES3_N6thrust23THRUST_200600_302600_NS6detail15normal_iteratorINS9_10device_ptrIdEEEENS9_16discard_iteratorINS9_11use_defaultEEEd11max_functorIdEdEEDaPvRmT3_T4_T5_mT6_P12ihipStream_tbENKUlT_T0_E_clISt17integral_constantIbLb0EESX_EEDaSS_ST_EUlSS_E0_NS1_11comp_targetILNS1_3genE0ELNS1_11target_archE4294967295ELNS1_3gpuE0ELNS1_3repE0EEENS1_30default_config_static_selectorELNS0_4arch9wavefront6targetE1EEEvT1_, .Lfunc_end3071-_ZN7rocprim17ROCPRIM_400000_NS6detail17trampoline_kernelINS0_14default_configENS1_20scan_config_selectorIdEEZZNS1_9scan_implILNS1_25lookback_scan_determinismE0ELb1ELb1ES3_N6thrust23THRUST_200600_302600_NS6detail15normal_iteratorINS9_10device_ptrIdEEEENS9_16discard_iteratorINS9_11use_defaultEEEd11max_functorIdEdEEDaPvRmT3_T4_T5_mT6_P12ihipStream_tbENKUlT_T0_E_clISt17integral_constantIbLb0EESX_EEDaSS_ST_EUlSS_E0_NS1_11comp_targetILNS1_3genE0ELNS1_11target_archE4294967295ELNS1_3gpuE0ELNS1_3repE0EEENS1_30default_config_static_selectorELNS0_4arch9wavefront6targetE1EEEvT1_
                                        ; -- End function
	.section	.AMDGPU.csdata,"",@progbits
; Kernel info:
; codeLenInByte = 0
; NumSgprs: 4
; NumVgprs: 0
; NumAgprs: 0
; TotalNumVgprs: 0
; ScratchSize: 0
; MemoryBound: 0
; FloatMode: 240
; IeeeMode: 1
; LDSByteSize: 0 bytes/workgroup (compile time only)
; SGPRBlocks: 0
; VGPRBlocks: 0
; NumSGPRsForWavesPerEU: 4
; NumVGPRsForWavesPerEU: 1
; AccumOffset: 4
; Occupancy: 8
; WaveLimiterHint : 0
; COMPUTE_PGM_RSRC2:SCRATCH_EN: 0
; COMPUTE_PGM_RSRC2:USER_SGPR: 6
; COMPUTE_PGM_RSRC2:TRAP_HANDLER: 0
; COMPUTE_PGM_RSRC2:TGID_X_EN: 1
; COMPUTE_PGM_RSRC2:TGID_Y_EN: 0
; COMPUTE_PGM_RSRC2:TGID_Z_EN: 0
; COMPUTE_PGM_RSRC2:TIDIG_COMP_CNT: 0
; COMPUTE_PGM_RSRC3_GFX90A:ACCUM_OFFSET: 0
; COMPUTE_PGM_RSRC3_GFX90A:TG_SPLIT: 0
	.section	.text._ZN7rocprim17ROCPRIM_400000_NS6detail17trampoline_kernelINS0_14default_configENS1_20scan_config_selectorIdEEZZNS1_9scan_implILNS1_25lookback_scan_determinismE0ELb1ELb1ES3_N6thrust23THRUST_200600_302600_NS6detail15normal_iteratorINS9_10device_ptrIdEEEENS9_16discard_iteratorINS9_11use_defaultEEEd11max_functorIdEdEEDaPvRmT3_T4_T5_mT6_P12ihipStream_tbENKUlT_T0_E_clISt17integral_constantIbLb0EESX_EEDaSS_ST_EUlSS_E0_NS1_11comp_targetILNS1_3genE5ELNS1_11target_archE942ELNS1_3gpuE9ELNS1_3repE0EEENS1_30default_config_static_selectorELNS0_4arch9wavefront6targetE1EEEvT1_,"axG",@progbits,_ZN7rocprim17ROCPRIM_400000_NS6detail17trampoline_kernelINS0_14default_configENS1_20scan_config_selectorIdEEZZNS1_9scan_implILNS1_25lookback_scan_determinismE0ELb1ELb1ES3_N6thrust23THRUST_200600_302600_NS6detail15normal_iteratorINS9_10device_ptrIdEEEENS9_16discard_iteratorINS9_11use_defaultEEEd11max_functorIdEdEEDaPvRmT3_T4_T5_mT6_P12ihipStream_tbENKUlT_T0_E_clISt17integral_constantIbLb0EESX_EEDaSS_ST_EUlSS_E0_NS1_11comp_targetILNS1_3genE5ELNS1_11target_archE942ELNS1_3gpuE9ELNS1_3repE0EEENS1_30default_config_static_selectorELNS0_4arch9wavefront6targetE1EEEvT1_,comdat
	.protected	_ZN7rocprim17ROCPRIM_400000_NS6detail17trampoline_kernelINS0_14default_configENS1_20scan_config_selectorIdEEZZNS1_9scan_implILNS1_25lookback_scan_determinismE0ELb1ELb1ES3_N6thrust23THRUST_200600_302600_NS6detail15normal_iteratorINS9_10device_ptrIdEEEENS9_16discard_iteratorINS9_11use_defaultEEEd11max_functorIdEdEEDaPvRmT3_T4_T5_mT6_P12ihipStream_tbENKUlT_T0_E_clISt17integral_constantIbLb0EESX_EEDaSS_ST_EUlSS_E0_NS1_11comp_targetILNS1_3genE5ELNS1_11target_archE942ELNS1_3gpuE9ELNS1_3repE0EEENS1_30default_config_static_selectorELNS0_4arch9wavefront6targetE1EEEvT1_ ; -- Begin function _ZN7rocprim17ROCPRIM_400000_NS6detail17trampoline_kernelINS0_14default_configENS1_20scan_config_selectorIdEEZZNS1_9scan_implILNS1_25lookback_scan_determinismE0ELb1ELb1ES3_N6thrust23THRUST_200600_302600_NS6detail15normal_iteratorINS9_10device_ptrIdEEEENS9_16discard_iteratorINS9_11use_defaultEEEd11max_functorIdEdEEDaPvRmT3_T4_T5_mT6_P12ihipStream_tbENKUlT_T0_E_clISt17integral_constantIbLb0EESX_EEDaSS_ST_EUlSS_E0_NS1_11comp_targetILNS1_3genE5ELNS1_11target_archE942ELNS1_3gpuE9ELNS1_3repE0EEENS1_30default_config_static_selectorELNS0_4arch9wavefront6targetE1EEEvT1_
	.globl	_ZN7rocprim17ROCPRIM_400000_NS6detail17trampoline_kernelINS0_14default_configENS1_20scan_config_selectorIdEEZZNS1_9scan_implILNS1_25lookback_scan_determinismE0ELb1ELb1ES3_N6thrust23THRUST_200600_302600_NS6detail15normal_iteratorINS9_10device_ptrIdEEEENS9_16discard_iteratorINS9_11use_defaultEEEd11max_functorIdEdEEDaPvRmT3_T4_T5_mT6_P12ihipStream_tbENKUlT_T0_E_clISt17integral_constantIbLb0EESX_EEDaSS_ST_EUlSS_E0_NS1_11comp_targetILNS1_3genE5ELNS1_11target_archE942ELNS1_3gpuE9ELNS1_3repE0EEENS1_30default_config_static_selectorELNS0_4arch9wavefront6targetE1EEEvT1_
	.p2align	8
	.type	_ZN7rocprim17ROCPRIM_400000_NS6detail17trampoline_kernelINS0_14default_configENS1_20scan_config_selectorIdEEZZNS1_9scan_implILNS1_25lookback_scan_determinismE0ELb1ELb1ES3_N6thrust23THRUST_200600_302600_NS6detail15normal_iteratorINS9_10device_ptrIdEEEENS9_16discard_iteratorINS9_11use_defaultEEEd11max_functorIdEdEEDaPvRmT3_T4_T5_mT6_P12ihipStream_tbENKUlT_T0_E_clISt17integral_constantIbLb0EESX_EEDaSS_ST_EUlSS_E0_NS1_11comp_targetILNS1_3genE5ELNS1_11target_archE942ELNS1_3gpuE9ELNS1_3repE0EEENS1_30default_config_static_selectorELNS0_4arch9wavefront6targetE1EEEvT1_,@function
_ZN7rocprim17ROCPRIM_400000_NS6detail17trampoline_kernelINS0_14default_configENS1_20scan_config_selectorIdEEZZNS1_9scan_implILNS1_25lookback_scan_determinismE0ELb1ELb1ES3_N6thrust23THRUST_200600_302600_NS6detail15normal_iteratorINS9_10device_ptrIdEEEENS9_16discard_iteratorINS9_11use_defaultEEEd11max_functorIdEdEEDaPvRmT3_T4_T5_mT6_P12ihipStream_tbENKUlT_T0_E_clISt17integral_constantIbLb0EESX_EEDaSS_ST_EUlSS_E0_NS1_11comp_targetILNS1_3genE5ELNS1_11target_archE942ELNS1_3gpuE9ELNS1_3repE0EEENS1_30default_config_static_selectorELNS0_4arch9wavefront6targetE1EEEvT1_: ; @_ZN7rocprim17ROCPRIM_400000_NS6detail17trampoline_kernelINS0_14default_configENS1_20scan_config_selectorIdEEZZNS1_9scan_implILNS1_25lookback_scan_determinismE0ELb1ELb1ES3_N6thrust23THRUST_200600_302600_NS6detail15normal_iteratorINS9_10device_ptrIdEEEENS9_16discard_iteratorINS9_11use_defaultEEEd11max_functorIdEdEEDaPvRmT3_T4_T5_mT6_P12ihipStream_tbENKUlT_T0_E_clISt17integral_constantIbLb0EESX_EEDaSS_ST_EUlSS_E0_NS1_11comp_targetILNS1_3genE5ELNS1_11target_archE942ELNS1_3gpuE9ELNS1_3repE0EEENS1_30default_config_static_selectorELNS0_4arch9wavefront6targetE1EEEvT1_
; %bb.0:
	.section	.rodata,"a",@progbits
	.p2align	6, 0x0
	.amdhsa_kernel _ZN7rocprim17ROCPRIM_400000_NS6detail17trampoline_kernelINS0_14default_configENS1_20scan_config_selectorIdEEZZNS1_9scan_implILNS1_25lookback_scan_determinismE0ELb1ELb1ES3_N6thrust23THRUST_200600_302600_NS6detail15normal_iteratorINS9_10device_ptrIdEEEENS9_16discard_iteratorINS9_11use_defaultEEEd11max_functorIdEdEEDaPvRmT3_T4_T5_mT6_P12ihipStream_tbENKUlT_T0_E_clISt17integral_constantIbLb0EESX_EEDaSS_ST_EUlSS_E0_NS1_11comp_targetILNS1_3genE5ELNS1_11target_archE942ELNS1_3gpuE9ELNS1_3repE0EEENS1_30default_config_static_selectorELNS0_4arch9wavefront6targetE1EEEvT1_
		.amdhsa_group_segment_fixed_size 0
		.amdhsa_private_segment_fixed_size 0
		.amdhsa_kernarg_size 48
		.amdhsa_user_sgpr_count 6
		.amdhsa_user_sgpr_private_segment_buffer 1
		.amdhsa_user_sgpr_dispatch_ptr 0
		.amdhsa_user_sgpr_queue_ptr 0
		.amdhsa_user_sgpr_kernarg_segment_ptr 1
		.amdhsa_user_sgpr_dispatch_id 0
		.amdhsa_user_sgpr_flat_scratch_init 0
		.amdhsa_user_sgpr_kernarg_preload_length 0
		.amdhsa_user_sgpr_kernarg_preload_offset 0
		.amdhsa_user_sgpr_private_segment_size 0
		.amdhsa_uses_dynamic_stack 0
		.amdhsa_system_sgpr_private_segment_wavefront_offset 0
		.amdhsa_system_sgpr_workgroup_id_x 1
		.amdhsa_system_sgpr_workgroup_id_y 0
		.amdhsa_system_sgpr_workgroup_id_z 0
		.amdhsa_system_sgpr_workgroup_info 0
		.amdhsa_system_vgpr_workitem_id 0
		.amdhsa_next_free_vgpr 1
		.amdhsa_next_free_sgpr 0
		.amdhsa_accum_offset 4
		.amdhsa_reserve_vcc 0
		.amdhsa_reserve_flat_scratch 0
		.amdhsa_float_round_mode_32 0
		.amdhsa_float_round_mode_16_64 0
		.amdhsa_float_denorm_mode_32 3
		.amdhsa_float_denorm_mode_16_64 3
		.amdhsa_dx10_clamp 1
		.amdhsa_ieee_mode 1
		.amdhsa_fp16_overflow 0
		.amdhsa_tg_split 0
		.amdhsa_exception_fp_ieee_invalid_op 0
		.amdhsa_exception_fp_denorm_src 0
		.amdhsa_exception_fp_ieee_div_zero 0
		.amdhsa_exception_fp_ieee_overflow 0
		.amdhsa_exception_fp_ieee_underflow 0
		.amdhsa_exception_fp_ieee_inexact 0
		.amdhsa_exception_int_div_zero 0
	.end_amdhsa_kernel
	.section	.text._ZN7rocprim17ROCPRIM_400000_NS6detail17trampoline_kernelINS0_14default_configENS1_20scan_config_selectorIdEEZZNS1_9scan_implILNS1_25lookback_scan_determinismE0ELb1ELb1ES3_N6thrust23THRUST_200600_302600_NS6detail15normal_iteratorINS9_10device_ptrIdEEEENS9_16discard_iteratorINS9_11use_defaultEEEd11max_functorIdEdEEDaPvRmT3_T4_T5_mT6_P12ihipStream_tbENKUlT_T0_E_clISt17integral_constantIbLb0EESX_EEDaSS_ST_EUlSS_E0_NS1_11comp_targetILNS1_3genE5ELNS1_11target_archE942ELNS1_3gpuE9ELNS1_3repE0EEENS1_30default_config_static_selectorELNS0_4arch9wavefront6targetE1EEEvT1_,"axG",@progbits,_ZN7rocprim17ROCPRIM_400000_NS6detail17trampoline_kernelINS0_14default_configENS1_20scan_config_selectorIdEEZZNS1_9scan_implILNS1_25lookback_scan_determinismE0ELb1ELb1ES3_N6thrust23THRUST_200600_302600_NS6detail15normal_iteratorINS9_10device_ptrIdEEEENS9_16discard_iteratorINS9_11use_defaultEEEd11max_functorIdEdEEDaPvRmT3_T4_T5_mT6_P12ihipStream_tbENKUlT_T0_E_clISt17integral_constantIbLb0EESX_EEDaSS_ST_EUlSS_E0_NS1_11comp_targetILNS1_3genE5ELNS1_11target_archE942ELNS1_3gpuE9ELNS1_3repE0EEENS1_30default_config_static_selectorELNS0_4arch9wavefront6targetE1EEEvT1_,comdat
.Lfunc_end3072:
	.size	_ZN7rocprim17ROCPRIM_400000_NS6detail17trampoline_kernelINS0_14default_configENS1_20scan_config_selectorIdEEZZNS1_9scan_implILNS1_25lookback_scan_determinismE0ELb1ELb1ES3_N6thrust23THRUST_200600_302600_NS6detail15normal_iteratorINS9_10device_ptrIdEEEENS9_16discard_iteratorINS9_11use_defaultEEEd11max_functorIdEdEEDaPvRmT3_T4_T5_mT6_P12ihipStream_tbENKUlT_T0_E_clISt17integral_constantIbLb0EESX_EEDaSS_ST_EUlSS_E0_NS1_11comp_targetILNS1_3genE5ELNS1_11target_archE942ELNS1_3gpuE9ELNS1_3repE0EEENS1_30default_config_static_selectorELNS0_4arch9wavefront6targetE1EEEvT1_, .Lfunc_end3072-_ZN7rocprim17ROCPRIM_400000_NS6detail17trampoline_kernelINS0_14default_configENS1_20scan_config_selectorIdEEZZNS1_9scan_implILNS1_25lookback_scan_determinismE0ELb1ELb1ES3_N6thrust23THRUST_200600_302600_NS6detail15normal_iteratorINS9_10device_ptrIdEEEENS9_16discard_iteratorINS9_11use_defaultEEEd11max_functorIdEdEEDaPvRmT3_T4_T5_mT6_P12ihipStream_tbENKUlT_T0_E_clISt17integral_constantIbLb0EESX_EEDaSS_ST_EUlSS_E0_NS1_11comp_targetILNS1_3genE5ELNS1_11target_archE942ELNS1_3gpuE9ELNS1_3repE0EEENS1_30default_config_static_selectorELNS0_4arch9wavefront6targetE1EEEvT1_
                                        ; -- End function
	.section	.AMDGPU.csdata,"",@progbits
; Kernel info:
; codeLenInByte = 0
; NumSgprs: 4
; NumVgprs: 0
; NumAgprs: 0
; TotalNumVgprs: 0
; ScratchSize: 0
; MemoryBound: 0
; FloatMode: 240
; IeeeMode: 1
; LDSByteSize: 0 bytes/workgroup (compile time only)
; SGPRBlocks: 0
; VGPRBlocks: 0
; NumSGPRsForWavesPerEU: 4
; NumVGPRsForWavesPerEU: 1
; AccumOffset: 4
; Occupancy: 8
; WaveLimiterHint : 0
; COMPUTE_PGM_RSRC2:SCRATCH_EN: 0
; COMPUTE_PGM_RSRC2:USER_SGPR: 6
; COMPUTE_PGM_RSRC2:TRAP_HANDLER: 0
; COMPUTE_PGM_RSRC2:TGID_X_EN: 1
; COMPUTE_PGM_RSRC2:TGID_Y_EN: 0
; COMPUTE_PGM_RSRC2:TGID_Z_EN: 0
; COMPUTE_PGM_RSRC2:TIDIG_COMP_CNT: 0
; COMPUTE_PGM_RSRC3_GFX90A:ACCUM_OFFSET: 0
; COMPUTE_PGM_RSRC3_GFX90A:TG_SPLIT: 0
	.section	.text._ZN7rocprim17ROCPRIM_400000_NS6detail17trampoline_kernelINS0_14default_configENS1_20scan_config_selectorIdEEZZNS1_9scan_implILNS1_25lookback_scan_determinismE0ELb1ELb1ES3_N6thrust23THRUST_200600_302600_NS6detail15normal_iteratorINS9_10device_ptrIdEEEENS9_16discard_iteratorINS9_11use_defaultEEEd11max_functorIdEdEEDaPvRmT3_T4_T5_mT6_P12ihipStream_tbENKUlT_T0_E_clISt17integral_constantIbLb0EESX_EEDaSS_ST_EUlSS_E0_NS1_11comp_targetILNS1_3genE4ELNS1_11target_archE910ELNS1_3gpuE8ELNS1_3repE0EEENS1_30default_config_static_selectorELNS0_4arch9wavefront6targetE1EEEvT1_,"axG",@progbits,_ZN7rocprim17ROCPRIM_400000_NS6detail17trampoline_kernelINS0_14default_configENS1_20scan_config_selectorIdEEZZNS1_9scan_implILNS1_25lookback_scan_determinismE0ELb1ELb1ES3_N6thrust23THRUST_200600_302600_NS6detail15normal_iteratorINS9_10device_ptrIdEEEENS9_16discard_iteratorINS9_11use_defaultEEEd11max_functorIdEdEEDaPvRmT3_T4_T5_mT6_P12ihipStream_tbENKUlT_T0_E_clISt17integral_constantIbLb0EESX_EEDaSS_ST_EUlSS_E0_NS1_11comp_targetILNS1_3genE4ELNS1_11target_archE910ELNS1_3gpuE8ELNS1_3repE0EEENS1_30default_config_static_selectorELNS0_4arch9wavefront6targetE1EEEvT1_,comdat
	.protected	_ZN7rocprim17ROCPRIM_400000_NS6detail17trampoline_kernelINS0_14default_configENS1_20scan_config_selectorIdEEZZNS1_9scan_implILNS1_25lookback_scan_determinismE0ELb1ELb1ES3_N6thrust23THRUST_200600_302600_NS6detail15normal_iteratorINS9_10device_ptrIdEEEENS9_16discard_iteratorINS9_11use_defaultEEEd11max_functorIdEdEEDaPvRmT3_T4_T5_mT6_P12ihipStream_tbENKUlT_T0_E_clISt17integral_constantIbLb0EESX_EEDaSS_ST_EUlSS_E0_NS1_11comp_targetILNS1_3genE4ELNS1_11target_archE910ELNS1_3gpuE8ELNS1_3repE0EEENS1_30default_config_static_selectorELNS0_4arch9wavefront6targetE1EEEvT1_ ; -- Begin function _ZN7rocprim17ROCPRIM_400000_NS6detail17trampoline_kernelINS0_14default_configENS1_20scan_config_selectorIdEEZZNS1_9scan_implILNS1_25lookback_scan_determinismE0ELb1ELb1ES3_N6thrust23THRUST_200600_302600_NS6detail15normal_iteratorINS9_10device_ptrIdEEEENS9_16discard_iteratorINS9_11use_defaultEEEd11max_functorIdEdEEDaPvRmT3_T4_T5_mT6_P12ihipStream_tbENKUlT_T0_E_clISt17integral_constantIbLb0EESX_EEDaSS_ST_EUlSS_E0_NS1_11comp_targetILNS1_3genE4ELNS1_11target_archE910ELNS1_3gpuE8ELNS1_3repE0EEENS1_30default_config_static_selectorELNS0_4arch9wavefront6targetE1EEEvT1_
	.globl	_ZN7rocprim17ROCPRIM_400000_NS6detail17trampoline_kernelINS0_14default_configENS1_20scan_config_selectorIdEEZZNS1_9scan_implILNS1_25lookback_scan_determinismE0ELb1ELb1ES3_N6thrust23THRUST_200600_302600_NS6detail15normal_iteratorINS9_10device_ptrIdEEEENS9_16discard_iteratorINS9_11use_defaultEEEd11max_functorIdEdEEDaPvRmT3_T4_T5_mT6_P12ihipStream_tbENKUlT_T0_E_clISt17integral_constantIbLb0EESX_EEDaSS_ST_EUlSS_E0_NS1_11comp_targetILNS1_3genE4ELNS1_11target_archE910ELNS1_3gpuE8ELNS1_3repE0EEENS1_30default_config_static_selectorELNS0_4arch9wavefront6targetE1EEEvT1_
	.p2align	8
	.type	_ZN7rocprim17ROCPRIM_400000_NS6detail17trampoline_kernelINS0_14default_configENS1_20scan_config_selectorIdEEZZNS1_9scan_implILNS1_25lookback_scan_determinismE0ELb1ELb1ES3_N6thrust23THRUST_200600_302600_NS6detail15normal_iteratorINS9_10device_ptrIdEEEENS9_16discard_iteratorINS9_11use_defaultEEEd11max_functorIdEdEEDaPvRmT3_T4_T5_mT6_P12ihipStream_tbENKUlT_T0_E_clISt17integral_constantIbLb0EESX_EEDaSS_ST_EUlSS_E0_NS1_11comp_targetILNS1_3genE4ELNS1_11target_archE910ELNS1_3gpuE8ELNS1_3repE0EEENS1_30default_config_static_selectorELNS0_4arch9wavefront6targetE1EEEvT1_,@function
_ZN7rocprim17ROCPRIM_400000_NS6detail17trampoline_kernelINS0_14default_configENS1_20scan_config_selectorIdEEZZNS1_9scan_implILNS1_25lookback_scan_determinismE0ELb1ELb1ES3_N6thrust23THRUST_200600_302600_NS6detail15normal_iteratorINS9_10device_ptrIdEEEENS9_16discard_iteratorINS9_11use_defaultEEEd11max_functorIdEdEEDaPvRmT3_T4_T5_mT6_P12ihipStream_tbENKUlT_T0_E_clISt17integral_constantIbLb0EESX_EEDaSS_ST_EUlSS_E0_NS1_11comp_targetILNS1_3genE4ELNS1_11target_archE910ELNS1_3gpuE8ELNS1_3repE0EEENS1_30default_config_static_selectorELNS0_4arch9wavefront6targetE1EEEvT1_: ; @_ZN7rocprim17ROCPRIM_400000_NS6detail17trampoline_kernelINS0_14default_configENS1_20scan_config_selectorIdEEZZNS1_9scan_implILNS1_25lookback_scan_determinismE0ELb1ELb1ES3_N6thrust23THRUST_200600_302600_NS6detail15normal_iteratorINS9_10device_ptrIdEEEENS9_16discard_iteratorINS9_11use_defaultEEEd11max_functorIdEdEEDaPvRmT3_T4_T5_mT6_P12ihipStream_tbENKUlT_T0_E_clISt17integral_constantIbLb0EESX_EEDaSS_ST_EUlSS_E0_NS1_11comp_targetILNS1_3genE4ELNS1_11target_archE910ELNS1_3gpuE8ELNS1_3repE0EEENS1_30default_config_static_selectorELNS0_4arch9wavefront6targetE1EEEvT1_
; %bb.0:
	s_load_dwordx4 s[0:3], s[4:5], 0x0
	v_lshlrev_b32_e32 v1, 3, v0
	s_waitcnt lgkmcnt(0)
	s_load_dwordx2 s[6:7], s[0:1], 0x0
	v_cmp_gt_u32_e32 vcc, s2, v0
	s_waitcnt lgkmcnt(0)
	v_pk_mov_b32 v[2:3], s[6:7], s[6:7] op_sel:[0,1]
	s_and_saveexec_b64 s[8:9], vcc
	s_cbranch_execz .LBB3073_2
; %bb.1:
	global_load_dwordx2 v[2:3], v1, s[0:1]
.LBB3073_2:
	s_or_b64 exec, exec, s[8:9]
	v_or_b32_e32 v4, 0x80, v0
	v_cmp_gt_u32_e32 vcc, s2, v4
	v_pk_mov_b32 v[4:5], s[6:7], s[6:7] op_sel:[0,1]
	s_and_saveexec_b64 s[8:9], vcc
	s_cbranch_execz .LBB3073_4
; %bb.3:
	global_load_dwordx2 v[4:5], v1, s[0:1] offset:1024
.LBB3073_4:
	s_or_b64 exec, exec, s[8:9]
	v_or_b32_e32 v6, 0x100, v0
	v_cmp_gt_u32_e32 vcc, s2, v6
	v_pk_mov_b32 v[6:7], s[6:7], s[6:7] op_sel:[0,1]
	s_and_saveexec_b64 s[8:9], vcc
	s_cbranch_execz .LBB3073_6
; %bb.5:
	global_load_dwordx2 v[6:7], v1, s[0:1] offset:2048
.LBB3073_6:
	;; [unrolled: 9-line block ×3, first 2 shown]
	s_or_b64 exec, exec, s[8:9]
	v_or_b32_e32 v12, 0x200, v0
	v_cmp_gt_u32_e32 vcc, s2, v12
	v_pk_mov_b32 v[10:11], s[6:7], s[6:7] op_sel:[0,1]
	s_and_saveexec_b64 s[8:9], vcc
	s_cbranch_execz .LBB3073_10
; %bb.9:
	v_lshlrev_b32_e32 v10, 3, v12
	global_load_dwordx2 v[10:11], v10, s[0:1]
.LBB3073_10:
	s_or_b64 exec, exec, s[8:9]
	v_or_b32_e32 v14, 0x280, v0
	v_cmp_gt_u32_e32 vcc, s2, v14
	v_pk_mov_b32 v[12:13], s[6:7], s[6:7] op_sel:[0,1]
	s_and_saveexec_b64 s[8:9], vcc
	s_cbranch_execz .LBB3073_12
; %bb.11:
	v_lshlrev_b32_e32 v12, 3, v14
	global_load_dwordx2 v[12:13], v12, s[0:1]
.LBB3073_12:
	;; [unrolled: 10-line block ×6, first 2 shown]
	s_or_b64 exec, exec, s[2:3]
	s_movk_i32 s0, 0x48
	s_waitcnt vmcnt(0)
	ds_write2st64_b64 v1, v[2:3], v[4:5] offset1:2
	ds_write2st64_b64 v1, v[6:7], v[8:9] offset0:4 offset1:6
	ds_write2st64_b64 v1, v[10:11], v[12:13] offset0:8 offset1:10
	;; [unrolled: 1-line block ×4, first 2 shown]
	v_mad_u32_u24 v14, v0, s0, v1
	s_waitcnt lgkmcnt(0)
	s_barrier
	ds_read_b128 v[18:21], v14
	ds_read_b128 v[10:13], v14 offset:16
	ds_read_b128 v[6:9], v14 offset:32
	ds_read_b128 v[2:5], v14 offset:48
	ds_read_b128 v[14:17], v14 offset:64
	s_waitcnt lgkmcnt(4)
	v_cmp_lt_f64_e32 vcc, v[18:19], v[20:21]
	v_cndmask_b32_e32 v23, v19, v21, vcc
	v_cndmask_b32_e32 v22, v18, v20, vcc
	s_waitcnt lgkmcnt(3)
	v_cmp_lt_f64_e32 vcc, v[22:23], v[10:11]
	v_cndmask_b32_e32 v23, v23, v11, vcc
	v_cndmask_b32_e32 v22, v22, v10, vcc
	v_cmp_lt_f64_e32 vcc, v[22:23], v[12:13]
	v_cndmask_b32_e32 v23, v23, v13, vcc
	v_cndmask_b32_e32 v22, v22, v12, vcc
	s_waitcnt lgkmcnt(2)
	v_cmp_lt_f64_e32 vcc, v[22:23], v[6:7]
	v_cndmask_b32_e32 v23, v23, v7, vcc
	v_cndmask_b32_e32 v22, v22, v6, vcc
	v_cmp_lt_f64_e32 vcc, v[22:23], v[8:9]
	v_cndmask_b32_e32 v23, v23, v9, vcc
	v_cndmask_b32_e32 v22, v22, v8, vcc
	s_waitcnt lgkmcnt(1)
	v_cmp_lt_f64_e32 vcc, v[22:23], v[2:3]
	v_cndmask_b32_e32 v23, v23, v3, vcc
	v_cndmask_b32_e32 v22, v22, v2, vcc
	v_cmp_lt_f64_e32 vcc, v[22:23], v[4:5]
	v_cndmask_b32_e32 v23, v23, v5, vcc
	v_cndmask_b32_e32 v22, v22, v4, vcc
	s_waitcnt lgkmcnt(0)
	v_cmp_lt_f64_e32 vcc, v[22:23], v[14:15]
	v_cndmask_b32_e32 v23, v23, v15, vcc
	v_cndmask_b32_e32 v22, v22, v14, vcc
	v_cmp_lt_f64_e32 vcc, v[22:23], v[16:17]
	v_cndmask_b32_e32 v16, v22, v16, vcc
	v_mbcnt_lo_u32_b32 v22, -1, 0
	v_mbcnt_hi_u32_b32 v24, -1, v22
	v_cndmask_b32_e32 v17, v23, v17, vcc
	v_and_b32_e32 v25, 15, v24
	v_mov_b32_dpp v22, v16 row_shr:1 row_mask:0xf bank_mask:0xf
	v_mov_b32_dpp v23, v17 row_shr:1 row_mask:0xf bank_mask:0xf
	v_cmp_ne_u32_e32 vcc, 0, v25
	s_barrier
	s_and_saveexec_b64 s[0:1], vcc
; %bb.21:
	v_cmp_gt_f64_e32 vcc, v[16:17], v[22:23]
	v_cndmask_b32_e32 v17, v23, v17, vcc
	v_cndmask_b32_e32 v16, v22, v16, vcc
; %bb.22:
	s_or_b64 exec, exec, s[0:1]
	s_nop 0
	v_mov_b32_dpp v22, v16 row_shr:2 row_mask:0xf bank_mask:0xf
	v_mov_b32_dpp v23, v17 row_shr:2 row_mask:0xf bank_mask:0xf
	v_cmp_lt_u32_e32 vcc, 1, v25
	s_and_saveexec_b64 s[0:1], vcc
; %bb.23:
	v_cmp_gt_f64_e32 vcc, v[16:17], v[22:23]
	v_cndmask_b32_e32 v17, v23, v17, vcc
	v_cndmask_b32_e32 v16, v22, v16, vcc
; %bb.24:
	s_or_b64 exec, exec, s[0:1]
	s_nop 0
	v_mov_b32_dpp v22, v16 row_shr:4 row_mask:0xf bank_mask:0xf
	v_mov_b32_dpp v23, v17 row_shr:4 row_mask:0xf bank_mask:0xf
	v_cmp_lt_u32_e32 vcc, 3, v25
	;; [unrolled: 11-line block ×3, first 2 shown]
	s_and_saveexec_b64 s[0:1], vcc
; %bb.27:
	v_cmp_gt_f64_e32 vcc, v[16:17], v[22:23]
	v_cndmask_b32_e32 v17, v23, v17, vcc
	v_cndmask_b32_e32 v16, v22, v16, vcc
; %bb.28:
	s_or_b64 exec, exec, s[0:1]
	s_load_dwordx2 s[2:3], s[4:5], 0x10
	v_and_b32_e32 v25, 16, v24
	v_mov_b32_dpp v22, v16 row_bcast:15 row_mask:0xf bank_mask:0xf
	v_mov_b32_dpp v23, v17 row_bcast:15 row_mask:0xf bank_mask:0xf
	v_cmp_ne_u32_e32 vcc, 0, v25
	s_and_saveexec_b64 s[0:1], vcc
; %bb.29:
	v_cmp_gt_f64_e32 vcc, v[16:17], v[22:23]
	v_cndmask_b32_e32 v17, v23, v17, vcc
	v_cndmask_b32_e32 v16, v22, v16, vcc
; %bb.30:
	s_or_b64 exec, exec, s[0:1]
	s_nop 0
	v_mov_b32_dpp v22, v16 row_bcast:31 row_mask:0xf bank_mask:0xf
	v_mov_b32_dpp v23, v17 row_bcast:31 row_mask:0xf bank_mask:0xf
	v_cmp_gt_f64_e32 vcc, v[16:17], v[22:23]
	v_cndmask_b32_e32 v22, v22, v16, vcc
	v_cndmask_b32_e32 v23, v23, v17, vcc
	v_cmp_lt_u32_e32 vcc, 31, v24
	v_cndmask_b32_e32 v16, v16, v22, vcc
	v_or_b32_e32 v22, 63, v0
	v_cndmask_b32_e32 v17, v17, v23, vcc
	v_lshrrev_b32_e32 v26, 6, v0
	v_cmp_eq_u32_e32 vcc, v22, v0
	s_and_saveexec_b64 s[0:1], vcc
	s_cbranch_execz .LBB3073_32
; %bb.31:
	v_lshlrev_b32_e32 v22, 3, v26
	ds_write_b64 v22, v[16:17]
.LBB3073_32:
	s_or_b64 exec, exec, s[0:1]
	v_cmp_gt_u32_e32 vcc, 2, v0
	s_waitcnt lgkmcnt(0)
	s_barrier
	s_and_saveexec_b64 s[4:5], vcc
	s_cbranch_execz .LBB3073_34
; %bb.33:
	ds_read_b64 v[22:23], v1
	v_and_b32_e32 v25, 1, v24
	v_cmp_eq_u32_e32 vcc, 0, v25
	s_waitcnt lgkmcnt(0)
	v_mov_b32_dpp v30, v23 row_shr:1 row_mask:0xf bank_mask:0xf
	v_mov_b32_dpp v28, v22 row_shr:1 row_mask:0xf bank_mask:0xf
	v_mov_b32_e32 v29, v30
	v_cmp_gt_f64_e64 s[0:1], v[22:23], v[28:29]
	s_or_b64 vcc, vcc, s[0:1]
	v_cndmask_b32_e32 v23, v30, v23, vcc
	v_cndmask_b32_e32 v22, v28, v22, vcc
	ds_write_b64 v1, v[22:23]
.LBB3073_34:
	s_or_b64 exec, exec, s[4:5]
	v_mul_u32_u24_e32 v25, 0x48, v0
	v_cmp_lt_u32_e32 vcc, 63, v0
	v_pk_mov_b32 v[22:23], s[2:3], s[2:3] op_sel:[0,1]
	s_waitcnt lgkmcnt(0)
	s_barrier
	s_and_saveexec_b64 s[0:1], vcc
	s_cbranch_execz .LBB3073_36
; %bb.35:
	v_lshl_add_u32 v22, v26, 3, -8
	ds_read_b64 v[22:23], v22
	v_mov_b32_e32 v26, s3
	s_waitcnt lgkmcnt(0)
	v_cmp_lt_f64_e32 vcc, s[2:3], v[22:23]
	v_cndmask_b32_e32 v23, v26, v23, vcc
	v_mov_b32_e32 v26, s2
	v_cndmask_b32_e32 v22, v26, v22, vcc
.LBB3073_36:
	s_or_b64 exec, exec, s[0:1]
	v_cmp_lt_f64_e32 vcc, v[22:23], v[16:17]
	v_add_u32_e32 v26, -1, v24
	v_and_b32_e32 v27, 64, v24
	v_cndmask_b32_e32 v17, v23, v17, vcc
	v_cndmask_b32_e32 v16, v22, v16, vcc
	v_cmp_lt_i32_e32 vcc, v26, v27
	v_cndmask_b32_e32 v26, v26, v24, vcc
	v_lshlrev_b32_e32 v26, 2, v26
	ds_bpermute_b32 v16, v26, v16
	ds_bpermute_b32 v17, v26, v17
	v_cmp_eq_u32_e32 vcc, 0, v24
	s_waitcnt lgkmcnt(0)
	s_barrier
	v_cndmask_b32_e32 v16, v16, v22, vcc
	v_cndmask_b32_e32 v17, v17, v23, vcc
	v_mov_b32_e32 v22, s3
	v_cmp_eq_u32_e32 vcc, 0, v0
	v_mov_b32_e32 v0, s2
	v_cndmask_b32_e32 v17, v17, v22, vcc
	v_cndmask_b32_e32 v16, v16, v0, vcc
	v_cmp_lt_f64_e32 vcc, v[16:17], v[18:19]
	v_cndmask_b32_e32 v19, v17, v19, vcc
	v_cndmask_b32_e32 v18, v16, v18, vcc
	v_cmp_lt_f64_e32 vcc, v[18:19], v[20:21]
	;; [unrolled: 3-line block ×9, first 2 shown]
	v_add_u32_e32 v0, v1, v25
	v_cndmask_b32_e32 v5, v3, v15, vcc
	v_cndmask_b32_e32 v4, v2, v14, vcc
	ds_write_b128 v0, v[16:19]
	ds_write_b128 v0, v[20:23] offset:16
	ds_write_b128 v0, v[10:13] offset:32
	;; [unrolled: 1-line block ×4, first 2 shown]
	s_waitcnt lgkmcnt(0)
	s_barrier
	s_endpgm
	.section	.rodata,"a",@progbits
	.p2align	6, 0x0
	.amdhsa_kernel _ZN7rocprim17ROCPRIM_400000_NS6detail17trampoline_kernelINS0_14default_configENS1_20scan_config_selectorIdEEZZNS1_9scan_implILNS1_25lookback_scan_determinismE0ELb1ELb1ES3_N6thrust23THRUST_200600_302600_NS6detail15normal_iteratorINS9_10device_ptrIdEEEENS9_16discard_iteratorINS9_11use_defaultEEEd11max_functorIdEdEEDaPvRmT3_T4_T5_mT6_P12ihipStream_tbENKUlT_T0_E_clISt17integral_constantIbLb0EESX_EEDaSS_ST_EUlSS_E0_NS1_11comp_targetILNS1_3genE4ELNS1_11target_archE910ELNS1_3gpuE8ELNS1_3repE0EEENS1_30default_config_static_selectorELNS0_4arch9wavefront6targetE1EEEvT1_
		.amdhsa_group_segment_fixed_size 10240
		.amdhsa_private_segment_fixed_size 0
		.amdhsa_kernarg_size 48
		.amdhsa_user_sgpr_count 6
		.amdhsa_user_sgpr_private_segment_buffer 1
		.amdhsa_user_sgpr_dispatch_ptr 0
		.amdhsa_user_sgpr_queue_ptr 0
		.amdhsa_user_sgpr_kernarg_segment_ptr 1
		.amdhsa_user_sgpr_dispatch_id 0
		.amdhsa_user_sgpr_flat_scratch_init 0
		.amdhsa_user_sgpr_kernarg_preload_length 0
		.amdhsa_user_sgpr_kernarg_preload_offset 0
		.amdhsa_user_sgpr_private_segment_size 0
		.amdhsa_uses_dynamic_stack 0
		.amdhsa_system_sgpr_private_segment_wavefront_offset 0
		.amdhsa_system_sgpr_workgroup_id_x 1
		.amdhsa_system_sgpr_workgroup_id_y 0
		.amdhsa_system_sgpr_workgroup_id_z 0
		.amdhsa_system_sgpr_workgroup_info 0
		.amdhsa_system_vgpr_workitem_id 0
		.amdhsa_next_free_vgpr 31
		.amdhsa_next_free_sgpr 10
		.amdhsa_accum_offset 32
		.amdhsa_reserve_vcc 1
		.amdhsa_reserve_flat_scratch 0
		.amdhsa_float_round_mode_32 0
		.amdhsa_float_round_mode_16_64 0
		.amdhsa_float_denorm_mode_32 3
		.amdhsa_float_denorm_mode_16_64 3
		.amdhsa_dx10_clamp 1
		.amdhsa_ieee_mode 1
		.amdhsa_fp16_overflow 0
		.amdhsa_tg_split 0
		.amdhsa_exception_fp_ieee_invalid_op 0
		.amdhsa_exception_fp_denorm_src 0
		.amdhsa_exception_fp_ieee_div_zero 0
		.amdhsa_exception_fp_ieee_overflow 0
		.amdhsa_exception_fp_ieee_underflow 0
		.amdhsa_exception_fp_ieee_inexact 0
		.amdhsa_exception_int_div_zero 0
	.end_amdhsa_kernel
	.section	.text._ZN7rocprim17ROCPRIM_400000_NS6detail17trampoline_kernelINS0_14default_configENS1_20scan_config_selectorIdEEZZNS1_9scan_implILNS1_25lookback_scan_determinismE0ELb1ELb1ES3_N6thrust23THRUST_200600_302600_NS6detail15normal_iteratorINS9_10device_ptrIdEEEENS9_16discard_iteratorINS9_11use_defaultEEEd11max_functorIdEdEEDaPvRmT3_T4_T5_mT6_P12ihipStream_tbENKUlT_T0_E_clISt17integral_constantIbLb0EESX_EEDaSS_ST_EUlSS_E0_NS1_11comp_targetILNS1_3genE4ELNS1_11target_archE910ELNS1_3gpuE8ELNS1_3repE0EEENS1_30default_config_static_selectorELNS0_4arch9wavefront6targetE1EEEvT1_,"axG",@progbits,_ZN7rocprim17ROCPRIM_400000_NS6detail17trampoline_kernelINS0_14default_configENS1_20scan_config_selectorIdEEZZNS1_9scan_implILNS1_25lookback_scan_determinismE0ELb1ELb1ES3_N6thrust23THRUST_200600_302600_NS6detail15normal_iteratorINS9_10device_ptrIdEEEENS9_16discard_iteratorINS9_11use_defaultEEEd11max_functorIdEdEEDaPvRmT3_T4_T5_mT6_P12ihipStream_tbENKUlT_T0_E_clISt17integral_constantIbLb0EESX_EEDaSS_ST_EUlSS_E0_NS1_11comp_targetILNS1_3genE4ELNS1_11target_archE910ELNS1_3gpuE8ELNS1_3repE0EEENS1_30default_config_static_selectorELNS0_4arch9wavefront6targetE1EEEvT1_,comdat
.Lfunc_end3073:
	.size	_ZN7rocprim17ROCPRIM_400000_NS6detail17trampoline_kernelINS0_14default_configENS1_20scan_config_selectorIdEEZZNS1_9scan_implILNS1_25lookback_scan_determinismE0ELb1ELb1ES3_N6thrust23THRUST_200600_302600_NS6detail15normal_iteratorINS9_10device_ptrIdEEEENS9_16discard_iteratorINS9_11use_defaultEEEd11max_functorIdEdEEDaPvRmT3_T4_T5_mT6_P12ihipStream_tbENKUlT_T0_E_clISt17integral_constantIbLb0EESX_EEDaSS_ST_EUlSS_E0_NS1_11comp_targetILNS1_3genE4ELNS1_11target_archE910ELNS1_3gpuE8ELNS1_3repE0EEENS1_30default_config_static_selectorELNS0_4arch9wavefront6targetE1EEEvT1_, .Lfunc_end3073-_ZN7rocprim17ROCPRIM_400000_NS6detail17trampoline_kernelINS0_14default_configENS1_20scan_config_selectorIdEEZZNS1_9scan_implILNS1_25lookback_scan_determinismE0ELb1ELb1ES3_N6thrust23THRUST_200600_302600_NS6detail15normal_iteratorINS9_10device_ptrIdEEEENS9_16discard_iteratorINS9_11use_defaultEEEd11max_functorIdEdEEDaPvRmT3_T4_T5_mT6_P12ihipStream_tbENKUlT_T0_E_clISt17integral_constantIbLb0EESX_EEDaSS_ST_EUlSS_E0_NS1_11comp_targetILNS1_3genE4ELNS1_11target_archE910ELNS1_3gpuE8ELNS1_3repE0EEENS1_30default_config_static_selectorELNS0_4arch9wavefront6targetE1EEEvT1_
                                        ; -- End function
	.section	.AMDGPU.csdata,"",@progbits
; Kernel info:
; codeLenInByte = 1428
; NumSgprs: 14
; NumVgprs: 31
; NumAgprs: 0
; TotalNumVgprs: 31
; ScratchSize: 0
; MemoryBound: 0
; FloatMode: 240
; IeeeMode: 1
; LDSByteSize: 10240 bytes/workgroup (compile time only)
; SGPRBlocks: 1
; VGPRBlocks: 3
; NumSGPRsForWavesPerEU: 14
; NumVGPRsForWavesPerEU: 31
; AccumOffset: 32
; Occupancy: 3
; WaveLimiterHint : 0
; COMPUTE_PGM_RSRC2:SCRATCH_EN: 0
; COMPUTE_PGM_RSRC2:USER_SGPR: 6
; COMPUTE_PGM_RSRC2:TRAP_HANDLER: 0
; COMPUTE_PGM_RSRC2:TGID_X_EN: 1
; COMPUTE_PGM_RSRC2:TGID_Y_EN: 0
; COMPUTE_PGM_RSRC2:TGID_Z_EN: 0
; COMPUTE_PGM_RSRC2:TIDIG_COMP_CNT: 0
; COMPUTE_PGM_RSRC3_GFX90A:ACCUM_OFFSET: 7
; COMPUTE_PGM_RSRC3_GFX90A:TG_SPLIT: 0
	.section	.text._ZN7rocprim17ROCPRIM_400000_NS6detail17trampoline_kernelINS0_14default_configENS1_20scan_config_selectorIdEEZZNS1_9scan_implILNS1_25lookback_scan_determinismE0ELb1ELb1ES3_N6thrust23THRUST_200600_302600_NS6detail15normal_iteratorINS9_10device_ptrIdEEEENS9_16discard_iteratorINS9_11use_defaultEEEd11max_functorIdEdEEDaPvRmT3_T4_T5_mT6_P12ihipStream_tbENKUlT_T0_E_clISt17integral_constantIbLb0EESX_EEDaSS_ST_EUlSS_E0_NS1_11comp_targetILNS1_3genE3ELNS1_11target_archE908ELNS1_3gpuE7ELNS1_3repE0EEENS1_30default_config_static_selectorELNS0_4arch9wavefront6targetE1EEEvT1_,"axG",@progbits,_ZN7rocprim17ROCPRIM_400000_NS6detail17trampoline_kernelINS0_14default_configENS1_20scan_config_selectorIdEEZZNS1_9scan_implILNS1_25lookback_scan_determinismE0ELb1ELb1ES3_N6thrust23THRUST_200600_302600_NS6detail15normal_iteratorINS9_10device_ptrIdEEEENS9_16discard_iteratorINS9_11use_defaultEEEd11max_functorIdEdEEDaPvRmT3_T4_T5_mT6_P12ihipStream_tbENKUlT_T0_E_clISt17integral_constantIbLb0EESX_EEDaSS_ST_EUlSS_E0_NS1_11comp_targetILNS1_3genE3ELNS1_11target_archE908ELNS1_3gpuE7ELNS1_3repE0EEENS1_30default_config_static_selectorELNS0_4arch9wavefront6targetE1EEEvT1_,comdat
	.protected	_ZN7rocprim17ROCPRIM_400000_NS6detail17trampoline_kernelINS0_14default_configENS1_20scan_config_selectorIdEEZZNS1_9scan_implILNS1_25lookback_scan_determinismE0ELb1ELb1ES3_N6thrust23THRUST_200600_302600_NS6detail15normal_iteratorINS9_10device_ptrIdEEEENS9_16discard_iteratorINS9_11use_defaultEEEd11max_functorIdEdEEDaPvRmT3_T4_T5_mT6_P12ihipStream_tbENKUlT_T0_E_clISt17integral_constantIbLb0EESX_EEDaSS_ST_EUlSS_E0_NS1_11comp_targetILNS1_3genE3ELNS1_11target_archE908ELNS1_3gpuE7ELNS1_3repE0EEENS1_30default_config_static_selectorELNS0_4arch9wavefront6targetE1EEEvT1_ ; -- Begin function _ZN7rocprim17ROCPRIM_400000_NS6detail17trampoline_kernelINS0_14default_configENS1_20scan_config_selectorIdEEZZNS1_9scan_implILNS1_25lookback_scan_determinismE0ELb1ELb1ES3_N6thrust23THRUST_200600_302600_NS6detail15normal_iteratorINS9_10device_ptrIdEEEENS9_16discard_iteratorINS9_11use_defaultEEEd11max_functorIdEdEEDaPvRmT3_T4_T5_mT6_P12ihipStream_tbENKUlT_T0_E_clISt17integral_constantIbLb0EESX_EEDaSS_ST_EUlSS_E0_NS1_11comp_targetILNS1_3genE3ELNS1_11target_archE908ELNS1_3gpuE7ELNS1_3repE0EEENS1_30default_config_static_selectorELNS0_4arch9wavefront6targetE1EEEvT1_
	.globl	_ZN7rocprim17ROCPRIM_400000_NS6detail17trampoline_kernelINS0_14default_configENS1_20scan_config_selectorIdEEZZNS1_9scan_implILNS1_25lookback_scan_determinismE0ELb1ELb1ES3_N6thrust23THRUST_200600_302600_NS6detail15normal_iteratorINS9_10device_ptrIdEEEENS9_16discard_iteratorINS9_11use_defaultEEEd11max_functorIdEdEEDaPvRmT3_T4_T5_mT6_P12ihipStream_tbENKUlT_T0_E_clISt17integral_constantIbLb0EESX_EEDaSS_ST_EUlSS_E0_NS1_11comp_targetILNS1_3genE3ELNS1_11target_archE908ELNS1_3gpuE7ELNS1_3repE0EEENS1_30default_config_static_selectorELNS0_4arch9wavefront6targetE1EEEvT1_
	.p2align	8
	.type	_ZN7rocprim17ROCPRIM_400000_NS6detail17trampoline_kernelINS0_14default_configENS1_20scan_config_selectorIdEEZZNS1_9scan_implILNS1_25lookback_scan_determinismE0ELb1ELb1ES3_N6thrust23THRUST_200600_302600_NS6detail15normal_iteratorINS9_10device_ptrIdEEEENS9_16discard_iteratorINS9_11use_defaultEEEd11max_functorIdEdEEDaPvRmT3_T4_T5_mT6_P12ihipStream_tbENKUlT_T0_E_clISt17integral_constantIbLb0EESX_EEDaSS_ST_EUlSS_E0_NS1_11comp_targetILNS1_3genE3ELNS1_11target_archE908ELNS1_3gpuE7ELNS1_3repE0EEENS1_30default_config_static_selectorELNS0_4arch9wavefront6targetE1EEEvT1_,@function
_ZN7rocprim17ROCPRIM_400000_NS6detail17trampoline_kernelINS0_14default_configENS1_20scan_config_selectorIdEEZZNS1_9scan_implILNS1_25lookback_scan_determinismE0ELb1ELb1ES3_N6thrust23THRUST_200600_302600_NS6detail15normal_iteratorINS9_10device_ptrIdEEEENS9_16discard_iteratorINS9_11use_defaultEEEd11max_functorIdEdEEDaPvRmT3_T4_T5_mT6_P12ihipStream_tbENKUlT_T0_E_clISt17integral_constantIbLb0EESX_EEDaSS_ST_EUlSS_E0_NS1_11comp_targetILNS1_3genE3ELNS1_11target_archE908ELNS1_3gpuE7ELNS1_3repE0EEENS1_30default_config_static_selectorELNS0_4arch9wavefront6targetE1EEEvT1_: ; @_ZN7rocprim17ROCPRIM_400000_NS6detail17trampoline_kernelINS0_14default_configENS1_20scan_config_selectorIdEEZZNS1_9scan_implILNS1_25lookback_scan_determinismE0ELb1ELb1ES3_N6thrust23THRUST_200600_302600_NS6detail15normal_iteratorINS9_10device_ptrIdEEEENS9_16discard_iteratorINS9_11use_defaultEEEd11max_functorIdEdEEDaPvRmT3_T4_T5_mT6_P12ihipStream_tbENKUlT_T0_E_clISt17integral_constantIbLb0EESX_EEDaSS_ST_EUlSS_E0_NS1_11comp_targetILNS1_3genE3ELNS1_11target_archE908ELNS1_3gpuE7ELNS1_3repE0EEENS1_30default_config_static_selectorELNS0_4arch9wavefront6targetE1EEEvT1_
; %bb.0:
	.section	.rodata,"a",@progbits
	.p2align	6, 0x0
	.amdhsa_kernel _ZN7rocprim17ROCPRIM_400000_NS6detail17trampoline_kernelINS0_14default_configENS1_20scan_config_selectorIdEEZZNS1_9scan_implILNS1_25lookback_scan_determinismE0ELb1ELb1ES3_N6thrust23THRUST_200600_302600_NS6detail15normal_iteratorINS9_10device_ptrIdEEEENS9_16discard_iteratorINS9_11use_defaultEEEd11max_functorIdEdEEDaPvRmT3_T4_T5_mT6_P12ihipStream_tbENKUlT_T0_E_clISt17integral_constantIbLb0EESX_EEDaSS_ST_EUlSS_E0_NS1_11comp_targetILNS1_3genE3ELNS1_11target_archE908ELNS1_3gpuE7ELNS1_3repE0EEENS1_30default_config_static_selectorELNS0_4arch9wavefront6targetE1EEEvT1_
		.amdhsa_group_segment_fixed_size 0
		.amdhsa_private_segment_fixed_size 0
		.amdhsa_kernarg_size 48
		.amdhsa_user_sgpr_count 6
		.amdhsa_user_sgpr_private_segment_buffer 1
		.amdhsa_user_sgpr_dispatch_ptr 0
		.amdhsa_user_sgpr_queue_ptr 0
		.amdhsa_user_sgpr_kernarg_segment_ptr 1
		.amdhsa_user_sgpr_dispatch_id 0
		.amdhsa_user_sgpr_flat_scratch_init 0
		.amdhsa_user_sgpr_kernarg_preload_length 0
		.amdhsa_user_sgpr_kernarg_preload_offset 0
		.amdhsa_user_sgpr_private_segment_size 0
		.amdhsa_uses_dynamic_stack 0
		.amdhsa_system_sgpr_private_segment_wavefront_offset 0
		.amdhsa_system_sgpr_workgroup_id_x 1
		.amdhsa_system_sgpr_workgroup_id_y 0
		.amdhsa_system_sgpr_workgroup_id_z 0
		.amdhsa_system_sgpr_workgroup_info 0
		.amdhsa_system_vgpr_workitem_id 0
		.amdhsa_next_free_vgpr 1
		.amdhsa_next_free_sgpr 0
		.amdhsa_accum_offset 4
		.amdhsa_reserve_vcc 0
		.amdhsa_reserve_flat_scratch 0
		.amdhsa_float_round_mode_32 0
		.amdhsa_float_round_mode_16_64 0
		.amdhsa_float_denorm_mode_32 3
		.amdhsa_float_denorm_mode_16_64 3
		.amdhsa_dx10_clamp 1
		.amdhsa_ieee_mode 1
		.amdhsa_fp16_overflow 0
		.amdhsa_tg_split 0
		.amdhsa_exception_fp_ieee_invalid_op 0
		.amdhsa_exception_fp_denorm_src 0
		.amdhsa_exception_fp_ieee_div_zero 0
		.amdhsa_exception_fp_ieee_overflow 0
		.amdhsa_exception_fp_ieee_underflow 0
		.amdhsa_exception_fp_ieee_inexact 0
		.amdhsa_exception_int_div_zero 0
	.end_amdhsa_kernel
	.section	.text._ZN7rocprim17ROCPRIM_400000_NS6detail17trampoline_kernelINS0_14default_configENS1_20scan_config_selectorIdEEZZNS1_9scan_implILNS1_25lookback_scan_determinismE0ELb1ELb1ES3_N6thrust23THRUST_200600_302600_NS6detail15normal_iteratorINS9_10device_ptrIdEEEENS9_16discard_iteratorINS9_11use_defaultEEEd11max_functorIdEdEEDaPvRmT3_T4_T5_mT6_P12ihipStream_tbENKUlT_T0_E_clISt17integral_constantIbLb0EESX_EEDaSS_ST_EUlSS_E0_NS1_11comp_targetILNS1_3genE3ELNS1_11target_archE908ELNS1_3gpuE7ELNS1_3repE0EEENS1_30default_config_static_selectorELNS0_4arch9wavefront6targetE1EEEvT1_,"axG",@progbits,_ZN7rocprim17ROCPRIM_400000_NS6detail17trampoline_kernelINS0_14default_configENS1_20scan_config_selectorIdEEZZNS1_9scan_implILNS1_25lookback_scan_determinismE0ELb1ELb1ES3_N6thrust23THRUST_200600_302600_NS6detail15normal_iteratorINS9_10device_ptrIdEEEENS9_16discard_iteratorINS9_11use_defaultEEEd11max_functorIdEdEEDaPvRmT3_T4_T5_mT6_P12ihipStream_tbENKUlT_T0_E_clISt17integral_constantIbLb0EESX_EEDaSS_ST_EUlSS_E0_NS1_11comp_targetILNS1_3genE3ELNS1_11target_archE908ELNS1_3gpuE7ELNS1_3repE0EEENS1_30default_config_static_selectorELNS0_4arch9wavefront6targetE1EEEvT1_,comdat
.Lfunc_end3074:
	.size	_ZN7rocprim17ROCPRIM_400000_NS6detail17trampoline_kernelINS0_14default_configENS1_20scan_config_selectorIdEEZZNS1_9scan_implILNS1_25lookback_scan_determinismE0ELb1ELb1ES3_N6thrust23THRUST_200600_302600_NS6detail15normal_iteratorINS9_10device_ptrIdEEEENS9_16discard_iteratorINS9_11use_defaultEEEd11max_functorIdEdEEDaPvRmT3_T4_T5_mT6_P12ihipStream_tbENKUlT_T0_E_clISt17integral_constantIbLb0EESX_EEDaSS_ST_EUlSS_E0_NS1_11comp_targetILNS1_3genE3ELNS1_11target_archE908ELNS1_3gpuE7ELNS1_3repE0EEENS1_30default_config_static_selectorELNS0_4arch9wavefront6targetE1EEEvT1_, .Lfunc_end3074-_ZN7rocprim17ROCPRIM_400000_NS6detail17trampoline_kernelINS0_14default_configENS1_20scan_config_selectorIdEEZZNS1_9scan_implILNS1_25lookback_scan_determinismE0ELb1ELb1ES3_N6thrust23THRUST_200600_302600_NS6detail15normal_iteratorINS9_10device_ptrIdEEEENS9_16discard_iteratorINS9_11use_defaultEEEd11max_functorIdEdEEDaPvRmT3_T4_T5_mT6_P12ihipStream_tbENKUlT_T0_E_clISt17integral_constantIbLb0EESX_EEDaSS_ST_EUlSS_E0_NS1_11comp_targetILNS1_3genE3ELNS1_11target_archE908ELNS1_3gpuE7ELNS1_3repE0EEENS1_30default_config_static_selectorELNS0_4arch9wavefront6targetE1EEEvT1_
                                        ; -- End function
	.section	.AMDGPU.csdata,"",@progbits
; Kernel info:
; codeLenInByte = 0
; NumSgprs: 4
; NumVgprs: 0
; NumAgprs: 0
; TotalNumVgprs: 0
; ScratchSize: 0
; MemoryBound: 0
; FloatMode: 240
; IeeeMode: 1
; LDSByteSize: 0 bytes/workgroup (compile time only)
; SGPRBlocks: 0
; VGPRBlocks: 0
; NumSGPRsForWavesPerEU: 4
; NumVGPRsForWavesPerEU: 1
; AccumOffset: 4
; Occupancy: 8
; WaveLimiterHint : 0
; COMPUTE_PGM_RSRC2:SCRATCH_EN: 0
; COMPUTE_PGM_RSRC2:USER_SGPR: 6
; COMPUTE_PGM_RSRC2:TRAP_HANDLER: 0
; COMPUTE_PGM_RSRC2:TGID_X_EN: 1
; COMPUTE_PGM_RSRC2:TGID_Y_EN: 0
; COMPUTE_PGM_RSRC2:TGID_Z_EN: 0
; COMPUTE_PGM_RSRC2:TIDIG_COMP_CNT: 0
; COMPUTE_PGM_RSRC3_GFX90A:ACCUM_OFFSET: 0
; COMPUTE_PGM_RSRC3_GFX90A:TG_SPLIT: 0
	.section	.text._ZN7rocprim17ROCPRIM_400000_NS6detail17trampoline_kernelINS0_14default_configENS1_20scan_config_selectorIdEEZZNS1_9scan_implILNS1_25lookback_scan_determinismE0ELb1ELb1ES3_N6thrust23THRUST_200600_302600_NS6detail15normal_iteratorINS9_10device_ptrIdEEEENS9_16discard_iteratorINS9_11use_defaultEEEd11max_functorIdEdEEDaPvRmT3_T4_T5_mT6_P12ihipStream_tbENKUlT_T0_E_clISt17integral_constantIbLb0EESX_EEDaSS_ST_EUlSS_E0_NS1_11comp_targetILNS1_3genE2ELNS1_11target_archE906ELNS1_3gpuE6ELNS1_3repE0EEENS1_30default_config_static_selectorELNS0_4arch9wavefront6targetE1EEEvT1_,"axG",@progbits,_ZN7rocprim17ROCPRIM_400000_NS6detail17trampoline_kernelINS0_14default_configENS1_20scan_config_selectorIdEEZZNS1_9scan_implILNS1_25lookback_scan_determinismE0ELb1ELb1ES3_N6thrust23THRUST_200600_302600_NS6detail15normal_iteratorINS9_10device_ptrIdEEEENS9_16discard_iteratorINS9_11use_defaultEEEd11max_functorIdEdEEDaPvRmT3_T4_T5_mT6_P12ihipStream_tbENKUlT_T0_E_clISt17integral_constantIbLb0EESX_EEDaSS_ST_EUlSS_E0_NS1_11comp_targetILNS1_3genE2ELNS1_11target_archE906ELNS1_3gpuE6ELNS1_3repE0EEENS1_30default_config_static_selectorELNS0_4arch9wavefront6targetE1EEEvT1_,comdat
	.protected	_ZN7rocprim17ROCPRIM_400000_NS6detail17trampoline_kernelINS0_14default_configENS1_20scan_config_selectorIdEEZZNS1_9scan_implILNS1_25lookback_scan_determinismE0ELb1ELb1ES3_N6thrust23THRUST_200600_302600_NS6detail15normal_iteratorINS9_10device_ptrIdEEEENS9_16discard_iteratorINS9_11use_defaultEEEd11max_functorIdEdEEDaPvRmT3_T4_T5_mT6_P12ihipStream_tbENKUlT_T0_E_clISt17integral_constantIbLb0EESX_EEDaSS_ST_EUlSS_E0_NS1_11comp_targetILNS1_3genE2ELNS1_11target_archE906ELNS1_3gpuE6ELNS1_3repE0EEENS1_30default_config_static_selectorELNS0_4arch9wavefront6targetE1EEEvT1_ ; -- Begin function _ZN7rocprim17ROCPRIM_400000_NS6detail17trampoline_kernelINS0_14default_configENS1_20scan_config_selectorIdEEZZNS1_9scan_implILNS1_25lookback_scan_determinismE0ELb1ELb1ES3_N6thrust23THRUST_200600_302600_NS6detail15normal_iteratorINS9_10device_ptrIdEEEENS9_16discard_iteratorINS9_11use_defaultEEEd11max_functorIdEdEEDaPvRmT3_T4_T5_mT6_P12ihipStream_tbENKUlT_T0_E_clISt17integral_constantIbLb0EESX_EEDaSS_ST_EUlSS_E0_NS1_11comp_targetILNS1_3genE2ELNS1_11target_archE906ELNS1_3gpuE6ELNS1_3repE0EEENS1_30default_config_static_selectorELNS0_4arch9wavefront6targetE1EEEvT1_
	.globl	_ZN7rocprim17ROCPRIM_400000_NS6detail17trampoline_kernelINS0_14default_configENS1_20scan_config_selectorIdEEZZNS1_9scan_implILNS1_25lookback_scan_determinismE0ELb1ELb1ES3_N6thrust23THRUST_200600_302600_NS6detail15normal_iteratorINS9_10device_ptrIdEEEENS9_16discard_iteratorINS9_11use_defaultEEEd11max_functorIdEdEEDaPvRmT3_T4_T5_mT6_P12ihipStream_tbENKUlT_T0_E_clISt17integral_constantIbLb0EESX_EEDaSS_ST_EUlSS_E0_NS1_11comp_targetILNS1_3genE2ELNS1_11target_archE906ELNS1_3gpuE6ELNS1_3repE0EEENS1_30default_config_static_selectorELNS0_4arch9wavefront6targetE1EEEvT1_
	.p2align	8
	.type	_ZN7rocprim17ROCPRIM_400000_NS6detail17trampoline_kernelINS0_14default_configENS1_20scan_config_selectorIdEEZZNS1_9scan_implILNS1_25lookback_scan_determinismE0ELb1ELb1ES3_N6thrust23THRUST_200600_302600_NS6detail15normal_iteratorINS9_10device_ptrIdEEEENS9_16discard_iteratorINS9_11use_defaultEEEd11max_functorIdEdEEDaPvRmT3_T4_T5_mT6_P12ihipStream_tbENKUlT_T0_E_clISt17integral_constantIbLb0EESX_EEDaSS_ST_EUlSS_E0_NS1_11comp_targetILNS1_3genE2ELNS1_11target_archE906ELNS1_3gpuE6ELNS1_3repE0EEENS1_30default_config_static_selectorELNS0_4arch9wavefront6targetE1EEEvT1_,@function
_ZN7rocprim17ROCPRIM_400000_NS6detail17trampoline_kernelINS0_14default_configENS1_20scan_config_selectorIdEEZZNS1_9scan_implILNS1_25lookback_scan_determinismE0ELb1ELb1ES3_N6thrust23THRUST_200600_302600_NS6detail15normal_iteratorINS9_10device_ptrIdEEEENS9_16discard_iteratorINS9_11use_defaultEEEd11max_functorIdEdEEDaPvRmT3_T4_T5_mT6_P12ihipStream_tbENKUlT_T0_E_clISt17integral_constantIbLb0EESX_EEDaSS_ST_EUlSS_E0_NS1_11comp_targetILNS1_3genE2ELNS1_11target_archE906ELNS1_3gpuE6ELNS1_3repE0EEENS1_30default_config_static_selectorELNS0_4arch9wavefront6targetE1EEEvT1_: ; @_ZN7rocprim17ROCPRIM_400000_NS6detail17trampoline_kernelINS0_14default_configENS1_20scan_config_selectorIdEEZZNS1_9scan_implILNS1_25lookback_scan_determinismE0ELb1ELb1ES3_N6thrust23THRUST_200600_302600_NS6detail15normal_iteratorINS9_10device_ptrIdEEEENS9_16discard_iteratorINS9_11use_defaultEEEd11max_functorIdEdEEDaPvRmT3_T4_T5_mT6_P12ihipStream_tbENKUlT_T0_E_clISt17integral_constantIbLb0EESX_EEDaSS_ST_EUlSS_E0_NS1_11comp_targetILNS1_3genE2ELNS1_11target_archE906ELNS1_3gpuE6ELNS1_3repE0EEENS1_30default_config_static_selectorELNS0_4arch9wavefront6targetE1EEEvT1_
; %bb.0:
	.section	.rodata,"a",@progbits
	.p2align	6, 0x0
	.amdhsa_kernel _ZN7rocprim17ROCPRIM_400000_NS6detail17trampoline_kernelINS0_14default_configENS1_20scan_config_selectorIdEEZZNS1_9scan_implILNS1_25lookback_scan_determinismE0ELb1ELb1ES3_N6thrust23THRUST_200600_302600_NS6detail15normal_iteratorINS9_10device_ptrIdEEEENS9_16discard_iteratorINS9_11use_defaultEEEd11max_functorIdEdEEDaPvRmT3_T4_T5_mT6_P12ihipStream_tbENKUlT_T0_E_clISt17integral_constantIbLb0EESX_EEDaSS_ST_EUlSS_E0_NS1_11comp_targetILNS1_3genE2ELNS1_11target_archE906ELNS1_3gpuE6ELNS1_3repE0EEENS1_30default_config_static_selectorELNS0_4arch9wavefront6targetE1EEEvT1_
		.amdhsa_group_segment_fixed_size 0
		.amdhsa_private_segment_fixed_size 0
		.amdhsa_kernarg_size 48
		.amdhsa_user_sgpr_count 6
		.amdhsa_user_sgpr_private_segment_buffer 1
		.amdhsa_user_sgpr_dispatch_ptr 0
		.amdhsa_user_sgpr_queue_ptr 0
		.amdhsa_user_sgpr_kernarg_segment_ptr 1
		.amdhsa_user_sgpr_dispatch_id 0
		.amdhsa_user_sgpr_flat_scratch_init 0
		.amdhsa_user_sgpr_kernarg_preload_length 0
		.amdhsa_user_sgpr_kernarg_preload_offset 0
		.amdhsa_user_sgpr_private_segment_size 0
		.amdhsa_uses_dynamic_stack 0
		.amdhsa_system_sgpr_private_segment_wavefront_offset 0
		.amdhsa_system_sgpr_workgroup_id_x 1
		.amdhsa_system_sgpr_workgroup_id_y 0
		.amdhsa_system_sgpr_workgroup_id_z 0
		.amdhsa_system_sgpr_workgroup_info 0
		.amdhsa_system_vgpr_workitem_id 0
		.amdhsa_next_free_vgpr 1
		.amdhsa_next_free_sgpr 0
		.amdhsa_accum_offset 4
		.amdhsa_reserve_vcc 0
		.amdhsa_reserve_flat_scratch 0
		.amdhsa_float_round_mode_32 0
		.amdhsa_float_round_mode_16_64 0
		.amdhsa_float_denorm_mode_32 3
		.amdhsa_float_denorm_mode_16_64 3
		.amdhsa_dx10_clamp 1
		.amdhsa_ieee_mode 1
		.amdhsa_fp16_overflow 0
		.amdhsa_tg_split 0
		.amdhsa_exception_fp_ieee_invalid_op 0
		.amdhsa_exception_fp_denorm_src 0
		.amdhsa_exception_fp_ieee_div_zero 0
		.amdhsa_exception_fp_ieee_overflow 0
		.amdhsa_exception_fp_ieee_underflow 0
		.amdhsa_exception_fp_ieee_inexact 0
		.amdhsa_exception_int_div_zero 0
	.end_amdhsa_kernel
	.section	.text._ZN7rocprim17ROCPRIM_400000_NS6detail17trampoline_kernelINS0_14default_configENS1_20scan_config_selectorIdEEZZNS1_9scan_implILNS1_25lookback_scan_determinismE0ELb1ELb1ES3_N6thrust23THRUST_200600_302600_NS6detail15normal_iteratorINS9_10device_ptrIdEEEENS9_16discard_iteratorINS9_11use_defaultEEEd11max_functorIdEdEEDaPvRmT3_T4_T5_mT6_P12ihipStream_tbENKUlT_T0_E_clISt17integral_constantIbLb0EESX_EEDaSS_ST_EUlSS_E0_NS1_11comp_targetILNS1_3genE2ELNS1_11target_archE906ELNS1_3gpuE6ELNS1_3repE0EEENS1_30default_config_static_selectorELNS0_4arch9wavefront6targetE1EEEvT1_,"axG",@progbits,_ZN7rocprim17ROCPRIM_400000_NS6detail17trampoline_kernelINS0_14default_configENS1_20scan_config_selectorIdEEZZNS1_9scan_implILNS1_25lookback_scan_determinismE0ELb1ELb1ES3_N6thrust23THRUST_200600_302600_NS6detail15normal_iteratorINS9_10device_ptrIdEEEENS9_16discard_iteratorINS9_11use_defaultEEEd11max_functorIdEdEEDaPvRmT3_T4_T5_mT6_P12ihipStream_tbENKUlT_T0_E_clISt17integral_constantIbLb0EESX_EEDaSS_ST_EUlSS_E0_NS1_11comp_targetILNS1_3genE2ELNS1_11target_archE906ELNS1_3gpuE6ELNS1_3repE0EEENS1_30default_config_static_selectorELNS0_4arch9wavefront6targetE1EEEvT1_,comdat
.Lfunc_end3075:
	.size	_ZN7rocprim17ROCPRIM_400000_NS6detail17trampoline_kernelINS0_14default_configENS1_20scan_config_selectorIdEEZZNS1_9scan_implILNS1_25lookback_scan_determinismE0ELb1ELb1ES3_N6thrust23THRUST_200600_302600_NS6detail15normal_iteratorINS9_10device_ptrIdEEEENS9_16discard_iteratorINS9_11use_defaultEEEd11max_functorIdEdEEDaPvRmT3_T4_T5_mT6_P12ihipStream_tbENKUlT_T0_E_clISt17integral_constantIbLb0EESX_EEDaSS_ST_EUlSS_E0_NS1_11comp_targetILNS1_3genE2ELNS1_11target_archE906ELNS1_3gpuE6ELNS1_3repE0EEENS1_30default_config_static_selectorELNS0_4arch9wavefront6targetE1EEEvT1_, .Lfunc_end3075-_ZN7rocprim17ROCPRIM_400000_NS6detail17trampoline_kernelINS0_14default_configENS1_20scan_config_selectorIdEEZZNS1_9scan_implILNS1_25lookback_scan_determinismE0ELb1ELb1ES3_N6thrust23THRUST_200600_302600_NS6detail15normal_iteratorINS9_10device_ptrIdEEEENS9_16discard_iteratorINS9_11use_defaultEEEd11max_functorIdEdEEDaPvRmT3_T4_T5_mT6_P12ihipStream_tbENKUlT_T0_E_clISt17integral_constantIbLb0EESX_EEDaSS_ST_EUlSS_E0_NS1_11comp_targetILNS1_3genE2ELNS1_11target_archE906ELNS1_3gpuE6ELNS1_3repE0EEENS1_30default_config_static_selectorELNS0_4arch9wavefront6targetE1EEEvT1_
                                        ; -- End function
	.section	.AMDGPU.csdata,"",@progbits
; Kernel info:
; codeLenInByte = 0
; NumSgprs: 4
; NumVgprs: 0
; NumAgprs: 0
; TotalNumVgprs: 0
; ScratchSize: 0
; MemoryBound: 0
; FloatMode: 240
; IeeeMode: 1
; LDSByteSize: 0 bytes/workgroup (compile time only)
; SGPRBlocks: 0
; VGPRBlocks: 0
; NumSGPRsForWavesPerEU: 4
; NumVGPRsForWavesPerEU: 1
; AccumOffset: 4
; Occupancy: 8
; WaveLimiterHint : 0
; COMPUTE_PGM_RSRC2:SCRATCH_EN: 0
; COMPUTE_PGM_RSRC2:USER_SGPR: 6
; COMPUTE_PGM_RSRC2:TRAP_HANDLER: 0
; COMPUTE_PGM_RSRC2:TGID_X_EN: 1
; COMPUTE_PGM_RSRC2:TGID_Y_EN: 0
; COMPUTE_PGM_RSRC2:TGID_Z_EN: 0
; COMPUTE_PGM_RSRC2:TIDIG_COMP_CNT: 0
; COMPUTE_PGM_RSRC3_GFX90A:ACCUM_OFFSET: 0
; COMPUTE_PGM_RSRC3_GFX90A:TG_SPLIT: 0
	.section	.text._ZN7rocprim17ROCPRIM_400000_NS6detail17trampoline_kernelINS0_14default_configENS1_20scan_config_selectorIdEEZZNS1_9scan_implILNS1_25lookback_scan_determinismE0ELb1ELb1ES3_N6thrust23THRUST_200600_302600_NS6detail15normal_iteratorINS9_10device_ptrIdEEEENS9_16discard_iteratorINS9_11use_defaultEEEd11max_functorIdEdEEDaPvRmT3_T4_T5_mT6_P12ihipStream_tbENKUlT_T0_E_clISt17integral_constantIbLb0EESX_EEDaSS_ST_EUlSS_E0_NS1_11comp_targetILNS1_3genE10ELNS1_11target_archE1201ELNS1_3gpuE5ELNS1_3repE0EEENS1_30default_config_static_selectorELNS0_4arch9wavefront6targetE1EEEvT1_,"axG",@progbits,_ZN7rocprim17ROCPRIM_400000_NS6detail17trampoline_kernelINS0_14default_configENS1_20scan_config_selectorIdEEZZNS1_9scan_implILNS1_25lookback_scan_determinismE0ELb1ELb1ES3_N6thrust23THRUST_200600_302600_NS6detail15normal_iteratorINS9_10device_ptrIdEEEENS9_16discard_iteratorINS9_11use_defaultEEEd11max_functorIdEdEEDaPvRmT3_T4_T5_mT6_P12ihipStream_tbENKUlT_T0_E_clISt17integral_constantIbLb0EESX_EEDaSS_ST_EUlSS_E0_NS1_11comp_targetILNS1_3genE10ELNS1_11target_archE1201ELNS1_3gpuE5ELNS1_3repE0EEENS1_30default_config_static_selectorELNS0_4arch9wavefront6targetE1EEEvT1_,comdat
	.protected	_ZN7rocprim17ROCPRIM_400000_NS6detail17trampoline_kernelINS0_14default_configENS1_20scan_config_selectorIdEEZZNS1_9scan_implILNS1_25lookback_scan_determinismE0ELb1ELb1ES3_N6thrust23THRUST_200600_302600_NS6detail15normal_iteratorINS9_10device_ptrIdEEEENS9_16discard_iteratorINS9_11use_defaultEEEd11max_functorIdEdEEDaPvRmT3_T4_T5_mT6_P12ihipStream_tbENKUlT_T0_E_clISt17integral_constantIbLb0EESX_EEDaSS_ST_EUlSS_E0_NS1_11comp_targetILNS1_3genE10ELNS1_11target_archE1201ELNS1_3gpuE5ELNS1_3repE0EEENS1_30default_config_static_selectorELNS0_4arch9wavefront6targetE1EEEvT1_ ; -- Begin function _ZN7rocprim17ROCPRIM_400000_NS6detail17trampoline_kernelINS0_14default_configENS1_20scan_config_selectorIdEEZZNS1_9scan_implILNS1_25lookback_scan_determinismE0ELb1ELb1ES3_N6thrust23THRUST_200600_302600_NS6detail15normal_iteratorINS9_10device_ptrIdEEEENS9_16discard_iteratorINS9_11use_defaultEEEd11max_functorIdEdEEDaPvRmT3_T4_T5_mT6_P12ihipStream_tbENKUlT_T0_E_clISt17integral_constantIbLb0EESX_EEDaSS_ST_EUlSS_E0_NS1_11comp_targetILNS1_3genE10ELNS1_11target_archE1201ELNS1_3gpuE5ELNS1_3repE0EEENS1_30default_config_static_selectorELNS0_4arch9wavefront6targetE1EEEvT1_
	.globl	_ZN7rocprim17ROCPRIM_400000_NS6detail17trampoline_kernelINS0_14default_configENS1_20scan_config_selectorIdEEZZNS1_9scan_implILNS1_25lookback_scan_determinismE0ELb1ELb1ES3_N6thrust23THRUST_200600_302600_NS6detail15normal_iteratorINS9_10device_ptrIdEEEENS9_16discard_iteratorINS9_11use_defaultEEEd11max_functorIdEdEEDaPvRmT3_T4_T5_mT6_P12ihipStream_tbENKUlT_T0_E_clISt17integral_constantIbLb0EESX_EEDaSS_ST_EUlSS_E0_NS1_11comp_targetILNS1_3genE10ELNS1_11target_archE1201ELNS1_3gpuE5ELNS1_3repE0EEENS1_30default_config_static_selectorELNS0_4arch9wavefront6targetE1EEEvT1_
	.p2align	8
	.type	_ZN7rocprim17ROCPRIM_400000_NS6detail17trampoline_kernelINS0_14default_configENS1_20scan_config_selectorIdEEZZNS1_9scan_implILNS1_25lookback_scan_determinismE0ELb1ELb1ES3_N6thrust23THRUST_200600_302600_NS6detail15normal_iteratorINS9_10device_ptrIdEEEENS9_16discard_iteratorINS9_11use_defaultEEEd11max_functorIdEdEEDaPvRmT3_T4_T5_mT6_P12ihipStream_tbENKUlT_T0_E_clISt17integral_constantIbLb0EESX_EEDaSS_ST_EUlSS_E0_NS1_11comp_targetILNS1_3genE10ELNS1_11target_archE1201ELNS1_3gpuE5ELNS1_3repE0EEENS1_30default_config_static_selectorELNS0_4arch9wavefront6targetE1EEEvT1_,@function
_ZN7rocprim17ROCPRIM_400000_NS6detail17trampoline_kernelINS0_14default_configENS1_20scan_config_selectorIdEEZZNS1_9scan_implILNS1_25lookback_scan_determinismE0ELb1ELb1ES3_N6thrust23THRUST_200600_302600_NS6detail15normal_iteratorINS9_10device_ptrIdEEEENS9_16discard_iteratorINS9_11use_defaultEEEd11max_functorIdEdEEDaPvRmT3_T4_T5_mT6_P12ihipStream_tbENKUlT_T0_E_clISt17integral_constantIbLb0EESX_EEDaSS_ST_EUlSS_E0_NS1_11comp_targetILNS1_3genE10ELNS1_11target_archE1201ELNS1_3gpuE5ELNS1_3repE0EEENS1_30default_config_static_selectorELNS0_4arch9wavefront6targetE1EEEvT1_: ; @_ZN7rocprim17ROCPRIM_400000_NS6detail17trampoline_kernelINS0_14default_configENS1_20scan_config_selectorIdEEZZNS1_9scan_implILNS1_25lookback_scan_determinismE0ELb1ELb1ES3_N6thrust23THRUST_200600_302600_NS6detail15normal_iteratorINS9_10device_ptrIdEEEENS9_16discard_iteratorINS9_11use_defaultEEEd11max_functorIdEdEEDaPvRmT3_T4_T5_mT6_P12ihipStream_tbENKUlT_T0_E_clISt17integral_constantIbLb0EESX_EEDaSS_ST_EUlSS_E0_NS1_11comp_targetILNS1_3genE10ELNS1_11target_archE1201ELNS1_3gpuE5ELNS1_3repE0EEENS1_30default_config_static_selectorELNS0_4arch9wavefront6targetE1EEEvT1_
; %bb.0:
	.section	.rodata,"a",@progbits
	.p2align	6, 0x0
	.amdhsa_kernel _ZN7rocprim17ROCPRIM_400000_NS6detail17trampoline_kernelINS0_14default_configENS1_20scan_config_selectorIdEEZZNS1_9scan_implILNS1_25lookback_scan_determinismE0ELb1ELb1ES3_N6thrust23THRUST_200600_302600_NS6detail15normal_iteratorINS9_10device_ptrIdEEEENS9_16discard_iteratorINS9_11use_defaultEEEd11max_functorIdEdEEDaPvRmT3_T4_T5_mT6_P12ihipStream_tbENKUlT_T0_E_clISt17integral_constantIbLb0EESX_EEDaSS_ST_EUlSS_E0_NS1_11comp_targetILNS1_3genE10ELNS1_11target_archE1201ELNS1_3gpuE5ELNS1_3repE0EEENS1_30default_config_static_selectorELNS0_4arch9wavefront6targetE1EEEvT1_
		.amdhsa_group_segment_fixed_size 0
		.amdhsa_private_segment_fixed_size 0
		.amdhsa_kernarg_size 48
		.amdhsa_user_sgpr_count 6
		.amdhsa_user_sgpr_private_segment_buffer 1
		.amdhsa_user_sgpr_dispatch_ptr 0
		.amdhsa_user_sgpr_queue_ptr 0
		.amdhsa_user_sgpr_kernarg_segment_ptr 1
		.amdhsa_user_sgpr_dispatch_id 0
		.amdhsa_user_sgpr_flat_scratch_init 0
		.amdhsa_user_sgpr_kernarg_preload_length 0
		.amdhsa_user_sgpr_kernarg_preload_offset 0
		.amdhsa_user_sgpr_private_segment_size 0
		.amdhsa_uses_dynamic_stack 0
		.amdhsa_system_sgpr_private_segment_wavefront_offset 0
		.amdhsa_system_sgpr_workgroup_id_x 1
		.amdhsa_system_sgpr_workgroup_id_y 0
		.amdhsa_system_sgpr_workgroup_id_z 0
		.amdhsa_system_sgpr_workgroup_info 0
		.amdhsa_system_vgpr_workitem_id 0
		.amdhsa_next_free_vgpr 1
		.amdhsa_next_free_sgpr 0
		.amdhsa_accum_offset 4
		.amdhsa_reserve_vcc 0
		.amdhsa_reserve_flat_scratch 0
		.amdhsa_float_round_mode_32 0
		.amdhsa_float_round_mode_16_64 0
		.amdhsa_float_denorm_mode_32 3
		.amdhsa_float_denorm_mode_16_64 3
		.amdhsa_dx10_clamp 1
		.amdhsa_ieee_mode 1
		.amdhsa_fp16_overflow 0
		.amdhsa_tg_split 0
		.amdhsa_exception_fp_ieee_invalid_op 0
		.amdhsa_exception_fp_denorm_src 0
		.amdhsa_exception_fp_ieee_div_zero 0
		.amdhsa_exception_fp_ieee_overflow 0
		.amdhsa_exception_fp_ieee_underflow 0
		.amdhsa_exception_fp_ieee_inexact 0
		.amdhsa_exception_int_div_zero 0
	.end_amdhsa_kernel
	.section	.text._ZN7rocprim17ROCPRIM_400000_NS6detail17trampoline_kernelINS0_14default_configENS1_20scan_config_selectorIdEEZZNS1_9scan_implILNS1_25lookback_scan_determinismE0ELb1ELb1ES3_N6thrust23THRUST_200600_302600_NS6detail15normal_iteratorINS9_10device_ptrIdEEEENS9_16discard_iteratorINS9_11use_defaultEEEd11max_functorIdEdEEDaPvRmT3_T4_T5_mT6_P12ihipStream_tbENKUlT_T0_E_clISt17integral_constantIbLb0EESX_EEDaSS_ST_EUlSS_E0_NS1_11comp_targetILNS1_3genE10ELNS1_11target_archE1201ELNS1_3gpuE5ELNS1_3repE0EEENS1_30default_config_static_selectorELNS0_4arch9wavefront6targetE1EEEvT1_,"axG",@progbits,_ZN7rocprim17ROCPRIM_400000_NS6detail17trampoline_kernelINS0_14default_configENS1_20scan_config_selectorIdEEZZNS1_9scan_implILNS1_25lookback_scan_determinismE0ELb1ELb1ES3_N6thrust23THRUST_200600_302600_NS6detail15normal_iteratorINS9_10device_ptrIdEEEENS9_16discard_iteratorINS9_11use_defaultEEEd11max_functorIdEdEEDaPvRmT3_T4_T5_mT6_P12ihipStream_tbENKUlT_T0_E_clISt17integral_constantIbLb0EESX_EEDaSS_ST_EUlSS_E0_NS1_11comp_targetILNS1_3genE10ELNS1_11target_archE1201ELNS1_3gpuE5ELNS1_3repE0EEENS1_30default_config_static_selectorELNS0_4arch9wavefront6targetE1EEEvT1_,comdat
.Lfunc_end3076:
	.size	_ZN7rocprim17ROCPRIM_400000_NS6detail17trampoline_kernelINS0_14default_configENS1_20scan_config_selectorIdEEZZNS1_9scan_implILNS1_25lookback_scan_determinismE0ELb1ELb1ES3_N6thrust23THRUST_200600_302600_NS6detail15normal_iteratorINS9_10device_ptrIdEEEENS9_16discard_iteratorINS9_11use_defaultEEEd11max_functorIdEdEEDaPvRmT3_T4_T5_mT6_P12ihipStream_tbENKUlT_T0_E_clISt17integral_constantIbLb0EESX_EEDaSS_ST_EUlSS_E0_NS1_11comp_targetILNS1_3genE10ELNS1_11target_archE1201ELNS1_3gpuE5ELNS1_3repE0EEENS1_30default_config_static_selectorELNS0_4arch9wavefront6targetE1EEEvT1_, .Lfunc_end3076-_ZN7rocprim17ROCPRIM_400000_NS6detail17trampoline_kernelINS0_14default_configENS1_20scan_config_selectorIdEEZZNS1_9scan_implILNS1_25lookback_scan_determinismE0ELb1ELb1ES3_N6thrust23THRUST_200600_302600_NS6detail15normal_iteratorINS9_10device_ptrIdEEEENS9_16discard_iteratorINS9_11use_defaultEEEd11max_functorIdEdEEDaPvRmT3_T4_T5_mT6_P12ihipStream_tbENKUlT_T0_E_clISt17integral_constantIbLb0EESX_EEDaSS_ST_EUlSS_E0_NS1_11comp_targetILNS1_3genE10ELNS1_11target_archE1201ELNS1_3gpuE5ELNS1_3repE0EEENS1_30default_config_static_selectorELNS0_4arch9wavefront6targetE1EEEvT1_
                                        ; -- End function
	.section	.AMDGPU.csdata,"",@progbits
; Kernel info:
; codeLenInByte = 0
; NumSgprs: 4
; NumVgprs: 0
; NumAgprs: 0
; TotalNumVgprs: 0
; ScratchSize: 0
; MemoryBound: 0
; FloatMode: 240
; IeeeMode: 1
; LDSByteSize: 0 bytes/workgroup (compile time only)
; SGPRBlocks: 0
; VGPRBlocks: 0
; NumSGPRsForWavesPerEU: 4
; NumVGPRsForWavesPerEU: 1
; AccumOffset: 4
; Occupancy: 8
; WaveLimiterHint : 0
; COMPUTE_PGM_RSRC2:SCRATCH_EN: 0
; COMPUTE_PGM_RSRC2:USER_SGPR: 6
; COMPUTE_PGM_RSRC2:TRAP_HANDLER: 0
; COMPUTE_PGM_RSRC2:TGID_X_EN: 1
; COMPUTE_PGM_RSRC2:TGID_Y_EN: 0
; COMPUTE_PGM_RSRC2:TGID_Z_EN: 0
; COMPUTE_PGM_RSRC2:TIDIG_COMP_CNT: 0
; COMPUTE_PGM_RSRC3_GFX90A:ACCUM_OFFSET: 0
; COMPUTE_PGM_RSRC3_GFX90A:TG_SPLIT: 0
	.section	.text._ZN7rocprim17ROCPRIM_400000_NS6detail17trampoline_kernelINS0_14default_configENS1_20scan_config_selectorIdEEZZNS1_9scan_implILNS1_25lookback_scan_determinismE0ELb1ELb1ES3_N6thrust23THRUST_200600_302600_NS6detail15normal_iteratorINS9_10device_ptrIdEEEENS9_16discard_iteratorINS9_11use_defaultEEEd11max_functorIdEdEEDaPvRmT3_T4_T5_mT6_P12ihipStream_tbENKUlT_T0_E_clISt17integral_constantIbLb0EESX_EEDaSS_ST_EUlSS_E0_NS1_11comp_targetILNS1_3genE10ELNS1_11target_archE1200ELNS1_3gpuE4ELNS1_3repE0EEENS1_30default_config_static_selectorELNS0_4arch9wavefront6targetE1EEEvT1_,"axG",@progbits,_ZN7rocprim17ROCPRIM_400000_NS6detail17trampoline_kernelINS0_14default_configENS1_20scan_config_selectorIdEEZZNS1_9scan_implILNS1_25lookback_scan_determinismE0ELb1ELb1ES3_N6thrust23THRUST_200600_302600_NS6detail15normal_iteratorINS9_10device_ptrIdEEEENS9_16discard_iteratorINS9_11use_defaultEEEd11max_functorIdEdEEDaPvRmT3_T4_T5_mT6_P12ihipStream_tbENKUlT_T0_E_clISt17integral_constantIbLb0EESX_EEDaSS_ST_EUlSS_E0_NS1_11comp_targetILNS1_3genE10ELNS1_11target_archE1200ELNS1_3gpuE4ELNS1_3repE0EEENS1_30default_config_static_selectorELNS0_4arch9wavefront6targetE1EEEvT1_,comdat
	.protected	_ZN7rocprim17ROCPRIM_400000_NS6detail17trampoline_kernelINS0_14default_configENS1_20scan_config_selectorIdEEZZNS1_9scan_implILNS1_25lookback_scan_determinismE0ELb1ELb1ES3_N6thrust23THRUST_200600_302600_NS6detail15normal_iteratorINS9_10device_ptrIdEEEENS9_16discard_iteratorINS9_11use_defaultEEEd11max_functorIdEdEEDaPvRmT3_T4_T5_mT6_P12ihipStream_tbENKUlT_T0_E_clISt17integral_constantIbLb0EESX_EEDaSS_ST_EUlSS_E0_NS1_11comp_targetILNS1_3genE10ELNS1_11target_archE1200ELNS1_3gpuE4ELNS1_3repE0EEENS1_30default_config_static_selectorELNS0_4arch9wavefront6targetE1EEEvT1_ ; -- Begin function _ZN7rocprim17ROCPRIM_400000_NS6detail17trampoline_kernelINS0_14default_configENS1_20scan_config_selectorIdEEZZNS1_9scan_implILNS1_25lookback_scan_determinismE0ELb1ELb1ES3_N6thrust23THRUST_200600_302600_NS6detail15normal_iteratorINS9_10device_ptrIdEEEENS9_16discard_iteratorINS9_11use_defaultEEEd11max_functorIdEdEEDaPvRmT3_T4_T5_mT6_P12ihipStream_tbENKUlT_T0_E_clISt17integral_constantIbLb0EESX_EEDaSS_ST_EUlSS_E0_NS1_11comp_targetILNS1_3genE10ELNS1_11target_archE1200ELNS1_3gpuE4ELNS1_3repE0EEENS1_30default_config_static_selectorELNS0_4arch9wavefront6targetE1EEEvT1_
	.globl	_ZN7rocprim17ROCPRIM_400000_NS6detail17trampoline_kernelINS0_14default_configENS1_20scan_config_selectorIdEEZZNS1_9scan_implILNS1_25lookback_scan_determinismE0ELb1ELb1ES3_N6thrust23THRUST_200600_302600_NS6detail15normal_iteratorINS9_10device_ptrIdEEEENS9_16discard_iteratorINS9_11use_defaultEEEd11max_functorIdEdEEDaPvRmT3_T4_T5_mT6_P12ihipStream_tbENKUlT_T0_E_clISt17integral_constantIbLb0EESX_EEDaSS_ST_EUlSS_E0_NS1_11comp_targetILNS1_3genE10ELNS1_11target_archE1200ELNS1_3gpuE4ELNS1_3repE0EEENS1_30default_config_static_selectorELNS0_4arch9wavefront6targetE1EEEvT1_
	.p2align	8
	.type	_ZN7rocprim17ROCPRIM_400000_NS6detail17trampoline_kernelINS0_14default_configENS1_20scan_config_selectorIdEEZZNS1_9scan_implILNS1_25lookback_scan_determinismE0ELb1ELb1ES3_N6thrust23THRUST_200600_302600_NS6detail15normal_iteratorINS9_10device_ptrIdEEEENS9_16discard_iteratorINS9_11use_defaultEEEd11max_functorIdEdEEDaPvRmT3_T4_T5_mT6_P12ihipStream_tbENKUlT_T0_E_clISt17integral_constantIbLb0EESX_EEDaSS_ST_EUlSS_E0_NS1_11comp_targetILNS1_3genE10ELNS1_11target_archE1200ELNS1_3gpuE4ELNS1_3repE0EEENS1_30default_config_static_selectorELNS0_4arch9wavefront6targetE1EEEvT1_,@function
_ZN7rocprim17ROCPRIM_400000_NS6detail17trampoline_kernelINS0_14default_configENS1_20scan_config_selectorIdEEZZNS1_9scan_implILNS1_25lookback_scan_determinismE0ELb1ELb1ES3_N6thrust23THRUST_200600_302600_NS6detail15normal_iteratorINS9_10device_ptrIdEEEENS9_16discard_iteratorINS9_11use_defaultEEEd11max_functorIdEdEEDaPvRmT3_T4_T5_mT6_P12ihipStream_tbENKUlT_T0_E_clISt17integral_constantIbLb0EESX_EEDaSS_ST_EUlSS_E0_NS1_11comp_targetILNS1_3genE10ELNS1_11target_archE1200ELNS1_3gpuE4ELNS1_3repE0EEENS1_30default_config_static_selectorELNS0_4arch9wavefront6targetE1EEEvT1_: ; @_ZN7rocprim17ROCPRIM_400000_NS6detail17trampoline_kernelINS0_14default_configENS1_20scan_config_selectorIdEEZZNS1_9scan_implILNS1_25lookback_scan_determinismE0ELb1ELb1ES3_N6thrust23THRUST_200600_302600_NS6detail15normal_iteratorINS9_10device_ptrIdEEEENS9_16discard_iteratorINS9_11use_defaultEEEd11max_functorIdEdEEDaPvRmT3_T4_T5_mT6_P12ihipStream_tbENKUlT_T0_E_clISt17integral_constantIbLb0EESX_EEDaSS_ST_EUlSS_E0_NS1_11comp_targetILNS1_3genE10ELNS1_11target_archE1200ELNS1_3gpuE4ELNS1_3repE0EEENS1_30default_config_static_selectorELNS0_4arch9wavefront6targetE1EEEvT1_
; %bb.0:
	.section	.rodata,"a",@progbits
	.p2align	6, 0x0
	.amdhsa_kernel _ZN7rocprim17ROCPRIM_400000_NS6detail17trampoline_kernelINS0_14default_configENS1_20scan_config_selectorIdEEZZNS1_9scan_implILNS1_25lookback_scan_determinismE0ELb1ELb1ES3_N6thrust23THRUST_200600_302600_NS6detail15normal_iteratorINS9_10device_ptrIdEEEENS9_16discard_iteratorINS9_11use_defaultEEEd11max_functorIdEdEEDaPvRmT3_T4_T5_mT6_P12ihipStream_tbENKUlT_T0_E_clISt17integral_constantIbLb0EESX_EEDaSS_ST_EUlSS_E0_NS1_11comp_targetILNS1_3genE10ELNS1_11target_archE1200ELNS1_3gpuE4ELNS1_3repE0EEENS1_30default_config_static_selectorELNS0_4arch9wavefront6targetE1EEEvT1_
		.amdhsa_group_segment_fixed_size 0
		.amdhsa_private_segment_fixed_size 0
		.amdhsa_kernarg_size 48
		.amdhsa_user_sgpr_count 6
		.amdhsa_user_sgpr_private_segment_buffer 1
		.amdhsa_user_sgpr_dispatch_ptr 0
		.amdhsa_user_sgpr_queue_ptr 0
		.amdhsa_user_sgpr_kernarg_segment_ptr 1
		.amdhsa_user_sgpr_dispatch_id 0
		.amdhsa_user_sgpr_flat_scratch_init 0
		.amdhsa_user_sgpr_kernarg_preload_length 0
		.amdhsa_user_sgpr_kernarg_preload_offset 0
		.amdhsa_user_sgpr_private_segment_size 0
		.amdhsa_uses_dynamic_stack 0
		.amdhsa_system_sgpr_private_segment_wavefront_offset 0
		.amdhsa_system_sgpr_workgroup_id_x 1
		.amdhsa_system_sgpr_workgroup_id_y 0
		.amdhsa_system_sgpr_workgroup_id_z 0
		.amdhsa_system_sgpr_workgroup_info 0
		.amdhsa_system_vgpr_workitem_id 0
		.amdhsa_next_free_vgpr 1
		.amdhsa_next_free_sgpr 0
		.amdhsa_accum_offset 4
		.amdhsa_reserve_vcc 0
		.amdhsa_reserve_flat_scratch 0
		.amdhsa_float_round_mode_32 0
		.amdhsa_float_round_mode_16_64 0
		.amdhsa_float_denorm_mode_32 3
		.amdhsa_float_denorm_mode_16_64 3
		.amdhsa_dx10_clamp 1
		.amdhsa_ieee_mode 1
		.amdhsa_fp16_overflow 0
		.amdhsa_tg_split 0
		.amdhsa_exception_fp_ieee_invalid_op 0
		.amdhsa_exception_fp_denorm_src 0
		.amdhsa_exception_fp_ieee_div_zero 0
		.amdhsa_exception_fp_ieee_overflow 0
		.amdhsa_exception_fp_ieee_underflow 0
		.amdhsa_exception_fp_ieee_inexact 0
		.amdhsa_exception_int_div_zero 0
	.end_amdhsa_kernel
	.section	.text._ZN7rocprim17ROCPRIM_400000_NS6detail17trampoline_kernelINS0_14default_configENS1_20scan_config_selectorIdEEZZNS1_9scan_implILNS1_25lookback_scan_determinismE0ELb1ELb1ES3_N6thrust23THRUST_200600_302600_NS6detail15normal_iteratorINS9_10device_ptrIdEEEENS9_16discard_iteratorINS9_11use_defaultEEEd11max_functorIdEdEEDaPvRmT3_T4_T5_mT6_P12ihipStream_tbENKUlT_T0_E_clISt17integral_constantIbLb0EESX_EEDaSS_ST_EUlSS_E0_NS1_11comp_targetILNS1_3genE10ELNS1_11target_archE1200ELNS1_3gpuE4ELNS1_3repE0EEENS1_30default_config_static_selectorELNS0_4arch9wavefront6targetE1EEEvT1_,"axG",@progbits,_ZN7rocprim17ROCPRIM_400000_NS6detail17trampoline_kernelINS0_14default_configENS1_20scan_config_selectorIdEEZZNS1_9scan_implILNS1_25lookback_scan_determinismE0ELb1ELb1ES3_N6thrust23THRUST_200600_302600_NS6detail15normal_iteratorINS9_10device_ptrIdEEEENS9_16discard_iteratorINS9_11use_defaultEEEd11max_functorIdEdEEDaPvRmT3_T4_T5_mT6_P12ihipStream_tbENKUlT_T0_E_clISt17integral_constantIbLb0EESX_EEDaSS_ST_EUlSS_E0_NS1_11comp_targetILNS1_3genE10ELNS1_11target_archE1200ELNS1_3gpuE4ELNS1_3repE0EEENS1_30default_config_static_selectorELNS0_4arch9wavefront6targetE1EEEvT1_,comdat
.Lfunc_end3077:
	.size	_ZN7rocprim17ROCPRIM_400000_NS6detail17trampoline_kernelINS0_14default_configENS1_20scan_config_selectorIdEEZZNS1_9scan_implILNS1_25lookback_scan_determinismE0ELb1ELb1ES3_N6thrust23THRUST_200600_302600_NS6detail15normal_iteratorINS9_10device_ptrIdEEEENS9_16discard_iteratorINS9_11use_defaultEEEd11max_functorIdEdEEDaPvRmT3_T4_T5_mT6_P12ihipStream_tbENKUlT_T0_E_clISt17integral_constantIbLb0EESX_EEDaSS_ST_EUlSS_E0_NS1_11comp_targetILNS1_3genE10ELNS1_11target_archE1200ELNS1_3gpuE4ELNS1_3repE0EEENS1_30default_config_static_selectorELNS0_4arch9wavefront6targetE1EEEvT1_, .Lfunc_end3077-_ZN7rocprim17ROCPRIM_400000_NS6detail17trampoline_kernelINS0_14default_configENS1_20scan_config_selectorIdEEZZNS1_9scan_implILNS1_25lookback_scan_determinismE0ELb1ELb1ES3_N6thrust23THRUST_200600_302600_NS6detail15normal_iteratorINS9_10device_ptrIdEEEENS9_16discard_iteratorINS9_11use_defaultEEEd11max_functorIdEdEEDaPvRmT3_T4_T5_mT6_P12ihipStream_tbENKUlT_T0_E_clISt17integral_constantIbLb0EESX_EEDaSS_ST_EUlSS_E0_NS1_11comp_targetILNS1_3genE10ELNS1_11target_archE1200ELNS1_3gpuE4ELNS1_3repE0EEENS1_30default_config_static_selectorELNS0_4arch9wavefront6targetE1EEEvT1_
                                        ; -- End function
	.section	.AMDGPU.csdata,"",@progbits
; Kernel info:
; codeLenInByte = 0
; NumSgprs: 4
; NumVgprs: 0
; NumAgprs: 0
; TotalNumVgprs: 0
; ScratchSize: 0
; MemoryBound: 0
; FloatMode: 240
; IeeeMode: 1
; LDSByteSize: 0 bytes/workgroup (compile time only)
; SGPRBlocks: 0
; VGPRBlocks: 0
; NumSGPRsForWavesPerEU: 4
; NumVGPRsForWavesPerEU: 1
; AccumOffset: 4
; Occupancy: 8
; WaveLimiterHint : 0
; COMPUTE_PGM_RSRC2:SCRATCH_EN: 0
; COMPUTE_PGM_RSRC2:USER_SGPR: 6
; COMPUTE_PGM_RSRC2:TRAP_HANDLER: 0
; COMPUTE_PGM_RSRC2:TGID_X_EN: 1
; COMPUTE_PGM_RSRC2:TGID_Y_EN: 0
; COMPUTE_PGM_RSRC2:TGID_Z_EN: 0
; COMPUTE_PGM_RSRC2:TIDIG_COMP_CNT: 0
; COMPUTE_PGM_RSRC3_GFX90A:ACCUM_OFFSET: 0
; COMPUTE_PGM_RSRC3_GFX90A:TG_SPLIT: 0
	.section	.text._ZN7rocprim17ROCPRIM_400000_NS6detail17trampoline_kernelINS0_14default_configENS1_20scan_config_selectorIdEEZZNS1_9scan_implILNS1_25lookback_scan_determinismE0ELb1ELb1ES3_N6thrust23THRUST_200600_302600_NS6detail15normal_iteratorINS9_10device_ptrIdEEEENS9_16discard_iteratorINS9_11use_defaultEEEd11max_functorIdEdEEDaPvRmT3_T4_T5_mT6_P12ihipStream_tbENKUlT_T0_E_clISt17integral_constantIbLb0EESX_EEDaSS_ST_EUlSS_E0_NS1_11comp_targetILNS1_3genE9ELNS1_11target_archE1100ELNS1_3gpuE3ELNS1_3repE0EEENS1_30default_config_static_selectorELNS0_4arch9wavefront6targetE1EEEvT1_,"axG",@progbits,_ZN7rocprim17ROCPRIM_400000_NS6detail17trampoline_kernelINS0_14default_configENS1_20scan_config_selectorIdEEZZNS1_9scan_implILNS1_25lookback_scan_determinismE0ELb1ELb1ES3_N6thrust23THRUST_200600_302600_NS6detail15normal_iteratorINS9_10device_ptrIdEEEENS9_16discard_iteratorINS9_11use_defaultEEEd11max_functorIdEdEEDaPvRmT3_T4_T5_mT6_P12ihipStream_tbENKUlT_T0_E_clISt17integral_constantIbLb0EESX_EEDaSS_ST_EUlSS_E0_NS1_11comp_targetILNS1_3genE9ELNS1_11target_archE1100ELNS1_3gpuE3ELNS1_3repE0EEENS1_30default_config_static_selectorELNS0_4arch9wavefront6targetE1EEEvT1_,comdat
	.protected	_ZN7rocprim17ROCPRIM_400000_NS6detail17trampoline_kernelINS0_14default_configENS1_20scan_config_selectorIdEEZZNS1_9scan_implILNS1_25lookback_scan_determinismE0ELb1ELb1ES3_N6thrust23THRUST_200600_302600_NS6detail15normal_iteratorINS9_10device_ptrIdEEEENS9_16discard_iteratorINS9_11use_defaultEEEd11max_functorIdEdEEDaPvRmT3_T4_T5_mT6_P12ihipStream_tbENKUlT_T0_E_clISt17integral_constantIbLb0EESX_EEDaSS_ST_EUlSS_E0_NS1_11comp_targetILNS1_3genE9ELNS1_11target_archE1100ELNS1_3gpuE3ELNS1_3repE0EEENS1_30default_config_static_selectorELNS0_4arch9wavefront6targetE1EEEvT1_ ; -- Begin function _ZN7rocprim17ROCPRIM_400000_NS6detail17trampoline_kernelINS0_14default_configENS1_20scan_config_selectorIdEEZZNS1_9scan_implILNS1_25lookback_scan_determinismE0ELb1ELb1ES3_N6thrust23THRUST_200600_302600_NS6detail15normal_iteratorINS9_10device_ptrIdEEEENS9_16discard_iteratorINS9_11use_defaultEEEd11max_functorIdEdEEDaPvRmT3_T4_T5_mT6_P12ihipStream_tbENKUlT_T0_E_clISt17integral_constantIbLb0EESX_EEDaSS_ST_EUlSS_E0_NS1_11comp_targetILNS1_3genE9ELNS1_11target_archE1100ELNS1_3gpuE3ELNS1_3repE0EEENS1_30default_config_static_selectorELNS0_4arch9wavefront6targetE1EEEvT1_
	.globl	_ZN7rocprim17ROCPRIM_400000_NS6detail17trampoline_kernelINS0_14default_configENS1_20scan_config_selectorIdEEZZNS1_9scan_implILNS1_25lookback_scan_determinismE0ELb1ELb1ES3_N6thrust23THRUST_200600_302600_NS6detail15normal_iteratorINS9_10device_ptrIdEEEENS9_16discard_iteratorINS9_11use_defaultEEEd11max_functorIdEdEEDaPvRmT3_T4_T5_mT6_P12ihipStream_tbENKUlT_T0_E_clISt17integral_constantIbLb0EESX_EEDaSS_ST_EUlSS_E0_NS1_11comp_targetILNS1_3genE9ELNS1_11target_archE1100ELNS1_3gpuE3ELNS1_3repE0EEENS1_30default_config_static_selectorELNS0_4arch9wavefront6targetE1EEEvT1_
	.p2align	8
	.type	_ZN7rocprim17ROCPRIM_400000_NS6detail17trampoline_kernelINS0_14default_configENS1_20scan_config_selectorIdEEZZNS1_9scan_implILNS1_25lookback_scan_determinismE0ELb1ELb1ES3_N6thrust23THRUST_200600_302600_NS6detail15normal_iteratorINS9_10device_ptrIdEEEENS9_16discard_iteratorINS9_11use_defaultEEEd11max_functorIdEdEEDaPvRmT3_T4_T5_mT6_P12ihipStream_tbENKUlT_T0_E_clISt17integral_constantIbLb0EESX_EEDaSS_ST_EUlSS_E0_NS1_11comp_targetILNS1_3genE9ELNS1_11target_archE1100ELNS1_3gpuE3ELNS1_3repE0EEENS1_30default_config_static_selectorELNS0_4arch9wavefront6targetE1EEEvT1_,@function
_ZN7rocprim17ROCPRIM_400000_NS6detail17trampoline_kernelINS0_14default_configENS1_20scan_config_selectorIdEEZZNS1_9scan_implILNS1_25lookback_scan_determinismE0ELb1ELb1ES3_N6thrust23THRUST_200600_302600_NS6detail15normal_iteratorINS9_10device_ptrIdEEEENS9_16discard_iteratorINS9_11use_defaultEEEd11max_functorIdEdEEDaPvRmT3_T4_T5_mT6_P12ihipStream_tbENKUlT_T0_E_clISt17integral_constantIbLb0EESX_EEDaSS_ST_EUlSS_E0_NS1_11comp_targetILNS1_3genE9ELNS1_11target_archE1100ELNS1_3gpuE3ELNS1_3repE0EEENS1_30default_config_static_selectorELNS0_4arch9wavefront6targetE1EEEvT1_: ; @_ZN7rocprim17ROCPRIM_400000_NS6detail17trampoline_kernelINS0_14default_configENS1_20scan_config_selectorIdEEZZNS1_9scan_implILNS1_25lookback_scan_determinismE0ELb1ELb1ES3_N6thrust23THRUST_200600_302600_NS6detail15normal_iteratorINS9_10device_ptrIdEEEENS9_16discard_iteratorINS9_11use_defaultEEEd11max_functorIdEdEEDaPvRmT3_T4_T5_mT6_P12ihipStream_tbENKUlT_T0_E_clISt17integral_constantIbLb0EESX_EEDaSS_ST_EUlSS_E0_NS1_11comp_targetILNS1_3genE9ELNS1_11target_archE1100ELNS1_3gpuE3ELNS1_3repE0EEENS1_30default_config_static_selectorELNS0_4arch9wavefront6targetE1EEEvT1_
; %bb.0:
	.section	.rodata,"a",@progbits
	.p2align	6, 0x0
	.amdhsa_kernel _ZN7rocprim17ROCPRIM_400000_NS6detail17trampoline_kernelINS0_14default_configENS1_20scan_config_selectorIdEEZZNS1_9scan_implILNS1_25lookback_scan_determinismE0ELb1ELb1ES3_N6thrust23THRUST_200600_302600_NS6detail15normal_iteratorINS9_10device_ptrIdEEEENS9_16discard_iteratorINS9_11use_defaultEEEd11max_functorIdEdEEDaPvRmT3_T4_T5_mT6_P12ihipStream_tbENKUlT_T0_E_clISt17integral_constantIbLb0EESX_EEDaSS_ST_EUlSS_E0_NS1_11comp_targetILNS1_3genE9ELNS1_11target_archE1100ELNS1_3gpuE3ELNS1_3repE0EEENS1_30default_config_static_selectorELNS0_4arch9wavefront6targetE1EEEvT1_
		.amdhsa_group_segment_fixed_size 0
		.amdhsa_private_segment_fixed_size 0
		.amdhsa_kernarg_size 48
		.amdhsa_user_sgpr_count 6
		.amdhsa_user_sgpr_private_segment_buffer 1
		.amdhsa_user_sgpr_dispatch_ptr 0
		.amdhsa_user_sgpr_queue_ptr 0
		.amdhsa_user_sgpr_kernarg_segment_ptr 1
		.amdhsa_user_sgpr_dispatch_id 0
		.amdhsa_user_sgpr_flat_scratch_init 0
		.amdhsa_user_sgpr_kernarg_preload_length 0
		.amdhsa_user_sgpr_kernarg_preload_offset 0
		.amdhsa_user_sgpr_private_segment_size 0
		.amdhsa_uses_dynamic_stack 0
		.amdhsa_system_sgpr_private_segment_wavefront_offset 0
		.amdhsa_system_sgpr_workgroup_id_x 1
		.amdhsa_system_sgpr_workgroup_id_y 0
		.amdhsa_system_sgpr_workgroup_id_z 0
		.amdhsa_system_sgpr_workgroup_info 0
		.amdhsa_system_vgpr_workitem_id 0
		.amdhsa_next_free_vgpr 1
		.amdhsa_next_free_sgpr 0
		.amdhsa_accum_offset 4
		.amdhsa_reserve_vcc 0
		.amdhsa_reserve_flat_scratch 0
		.amdhsa_float_round_mode_32 0
		.amdhsa_float_round_mode_16_64 0
		.amdhsa_float_denorm_mode_32 3
		.amdhsa_float_denorm_mode_16_64 3
		.amdhsa_dx10_clamp 1
		.amdhsa_ieee_mode 1
		.amdhsa_fp16_overflow 0
		.amdhsa_tg_split 0
		.amdhsa_exception_fp_ieee_invalid_op 0
		.amdhsa_exception_fp_denorm_src 0
		.amdhsa_exception_fp_ieee_div_zero 0
		.amdhsa_exception_fp_ieee_overflow 0
		.amdhsa_exception_fp_ieee_underflow 0
		.amdhsa_exception_fp_ieee_inexact 0
		.amdhsa_exception_int_div_zero 0
	.end_amdhsa_kernel
	.section	.text._ZN7rocprim17ROCPRIM_400000_NS6detail17trampoline_kernelINS0_14default_configENS1_20scan_config_selectorIdEEZZNS1_9scan_implILNS1_25lookback_scan_determinismE0ELb1ELb1ES3_N6thrust23THRUST_200600_302600_NS6detail15normal_iteratorINS9_10device_ptrIdEEEENS9_16discard_iteratorINS9_11use_defaultEEEd11max_functorIdEdEEDaPvRmT3_T4_T5_mT6_P12ihipStream_tbENKUlT_T0_E_clISt17integral_constantIbLb0EESX_EEDaSS_ST_EUlSS_E0_NS1_11comp_targetILNS1_3genE9ELNS1_11target_archE1100ELNS1_3gpuE3ELNS1_3repE0EEENS1_30default_config_static_selectorELNS0_4arch9wavefront6targetE1EEEvT1_,"axG",@progbits,_ZN7rocprim17ROCPRIM_400000_NS6detail17trampoline_kernelINS0_14default_configENS1_20scan_config_selectorIdEEZZNS1_9scan_implILNS1_25lookback_scan_determinismE0ELb1ELb1ES3_N6thrust23THRUST_200600_302600_NS6detail15normal_iteratorINS9_10device_ptrIdEEEENS9_16discard_iteratorINS9_11use_defaultEEEd11max_functorIdEdEEDaPvRmT3_T4_T5_mT6_P12ihipStream_tbENKUlT_T0_E_clISt17integral_constantIbLb0EESX_EEDaSS_ST_EUlSS_E0_NS1_11comp_targetILNS1_3genE9ELNS1_11target_archE1100ELNS1_3gpuE3ELNS1_3repE0EEENS1_30default_config_static_selectorELNS0_4arch9wavefront6targetE1EEEvT1_,comdat
.Lfunc_end3078:
	.size	_ZN7rocprim17ROCPRIM_400000_NS6detail17trampoline_kernelINS0_14default_configENS1_20scan_config_selectorIdEEZZNS1_9scan_implILNS1_25lookback_scan_determinismE0ELb1ELb1ES3_N6thrust23THRUST_200600_302600_NS6detail15normal_iteratorINS9_10device_ptrIdEEEENS9_16discard_iteratorINS9_11use_defaultEEEd11max_functorIdEdEEDaPvRmT3_T4_T5_mT6_P12ihipStream_tbENKUlT_T0_E_clISt17integral_constantIbLb0EESX_EEDaSS_ST_EUlSS_E0_NS1_11comp_targetILNS1_3genE9ELNS1_11target_archE1100ELNS1_3gpuE3ELNS1_3repE0EEENS1_30default_config_static_selectorELNS0_4arch9wavefront6targetE1EEEvT1_, .Lfunc_end3078-_ZN7rocprim17ROCPRIM_400000_NS6detail17trampoline_kernelINS0_14default_configENS1_20scan_config_selectorIdEEZZNS1_9scan_implILNS1_25lookback_scan_determinismE0ELb1ELb1ES3_N6thrust23THRUST_200600_302600_NS6detail15normal_iteratorINS9_10device_ptrIdEEEENS9_16discard_iteratorINS9_11use_defaultEEEd11max_functorIdEdEEDaPvRmT3_T4_T5_mT6_P12ihipStream_tbENKUlT_T0_E_clISt17integral_constantIbLb0EESX_EEDaSS_ST_EUlSS_E0_NS1_11comp_targetILNS1_3genE9ELNS1_11target_archE1100ELNS1_3gpuE3ELNS1_3repE0EEENS1_30default_config_static_selectorELNS0_4arch9wavefront6targetE1EEEvT1_
                                        ; -- End function
	.section	.AMDGPU.csdata,"",@progbits
; Kernel info:
; codeLenInByte = 0
; NumSgprs: 4
; NumVgprs: 0
; NumAgprs: 0
; TotalNumVgprs: 0
; ScratchSize: 0
; MemoryBound: 0
; FloatMode: 240
; IeeeMode: 1
; LDSByteSize: 0 bytes/workgroup (compile time only)
; SGPRBlocks: 0
; VGPRBlocks: 0
; NumSGPRsForWavesPerEU: 4
; NumVGPRsForWavesPerEU: 1
; AccumOffset: 4
; Occupancy: 8
; WaveLimiterHint : 0
; COMPUTE_PGM_RSRC2:SCRATCH_EN: 0
; COMPUTE_PGM_RSRC2:USER_SGPR: 6
; COMPUTE_PGM_RSRC2:TRAP_HANDLER: 0
; COMPUTE_PGM_RSRC2:TGID_X_EN: 1
; COMPUTE_PGM_RSRC2:TGID_Y_EN: 0
; COMPUTE_PGM_RSRC2:TGID_Z_EN: 0
; COMPUTE_PGM_RSRC2:TIDIG_COMP_CNT: 0
; COMPUTE_PGM_RSRC3_GFX90A:ACCUM_OFFSET: 0
; COMPUTE_PGM_RSRC3_GFX90A:TG_SPLIT: 0
	.section	.text._ZN7rocprim17ROCPRIM_400000_NS6detail17trampoline_kernelINS0_14default_configENS1_20scan_config_selectorIdEEZZNS1_9scan_implILNS1_25lookback_scan_determinismE0ELb1ELb1ES3_N6thrust23THRUST_200600_302600_NS6detail15normal_iteratorINS9_10device_ptrIdEEEENS9_16discard_iteratorINS9_11use_defaultEEEd11max_functorIdEdEEDaPvRmT3_T4_T5_mT6_P12ihipStream_tbENKUlT_T0_E_clISt17integral_constantIbLb0EESX_EEDaSS_ST_EUlSS_E0_NS1_11comp_targetILNS1_3genE8ELNS1_11target_archE1030ELNS1_3gpuE2ELNS1_3repE0EEENS1_30default_config_static_selectorELNS0_4arch9wavefront6targetE1EEEvT1_,"axG",@progbits,_ZN7rocprim17ROCPRIM_400000_NS6detail17trampoline_kernelINS0_14default_configENS1_20scan_config_selectorIdEEZZNS1_9scan_implILNS1_25lookback_scan_determinismE0ELb1ELb1ES3_N6thrust23THRUST_200600_302600_NS6detail15normal_iteratorINS9_10device_ptrIdEEEENS9_16discard_iteratorINS9_11use_defaultEEEd11max_functorIdEdEEDaPvRmT3_T4_T5_mT6_P12ihipStream_tbENKUlT_T0_E_clISt17integral_constantIbLb0EESX_EEDaSS_ST_EUlSS_E0_NS1_11comp_targetILNS1_3genE8ELNS1_11target_archE1030ELNS1_3gpuE2ELNS1_3repE0EEENS1_30default_config_static_selectorELNS0_4arch9wavefront6targetE1EEEvT1_,comdat
	.protected	_ZN7rocprim17ROCPRIM_400000_NS6detail17trampoline_kernelINS0_14default_configENS1_20scan_config_selectorIdEEZZNS1_9scan_implILNS1_25lookback_scan_determinismE0ELb1ELb1ES3_N6thrust23THRUST_200600_302600_NS6detail15normal_iteratorINS9_10device_ptrIdEEEENS9_16discard_iteratorINS9_11use_defaultEEEd11max_functorIdEdEEDaPvRmT3_T4_T5_mT6_P12ihipStream_tbENKUlT_T0_E_clISt17integral_constantIbLb0EESX_EEDaSS_ST_EUlSS_E0_NS1_11comp_targetILNS1_3genE8ELNS1_11target_archE1030ELNS1_3gpuE2ELNS1_3repE0EEENS1_30default_config_static_selectorELNS0_4arch9wavefront6targetE1EEEvT1_ ; -- Begin function _ZN7rocprim17ROCPRIM_400000_NS6detail17trampoline_kernelINS0_14default_configENS1_20scan_config_selectorIdEEZZNS1_9scan_implILNS1_25lookback_scan_determinismE0ELb1ELb1ES3_N6thrust23THRUST_200600_302600_NS6detail15normal_iteratorINS9_10device_ptrIdEEEENS9_16discard_iteratorINS9_11use_defaultEEEd11max_functorIdEdEEDaPvRmT3_T4_T5_mT6_P12ihipStream_tbENKUlT_T0_E_clISt17integral_constantIbLb0EESX_EEDaSS_ST_EUlSS_E0_NS1_11comp_targetILNS1_3genE8ELNS1_11target_archE1030ELNS1_3gpuE2ELNS1_3repE0EEENS1_30default_config_static_selectorELNS0_4arch9wavefront6targetE1EEEvT1_
	.globl	_ZN7rocprim17ROCPRIM_400000_NS6detail17trampoline_kernelINS0_14default_configENS1_20scan_config_selectorIdEEZZNS1_9scan_implILNS1_25lookback_scan_determinismE0ELb1ELb1ES3_N6thrust23THRUST_200600_302600_NS6detail15normal_iteratorINS9_10device_ptrIdEEEENS9_16discard_iteratorINS9_11use_defaultEEEd11max_functorIdEdEEDaPvRmT3_T4_T5_mT6_P12ihipStream_tbENKUlT_T0_E_clISt17integral_constantIbLb0EESX_EEDaSS_ST_EUlSS_E0_NS1_11comp_targetILNS1_3genE8ELNS1_11target_archE1030ELNS1_3gpuE2ELNS1_3repE0EEENS1_30default_config_static_selectorELNS0_4arch9wavefront6targetE1EEEvT1_
	.p2align	8
	.type	_ZN7rocprim17ROCPRIM_400000_NS6detail17trampoline_kernelINS0_14default_configENS1_20scan_config_selectorIdEEZZNS1_9scan_implILNS1_25lookback_scan_determinismE0ELb1ELb1ES3_N6thrust23THRUST_200600_302600_NS6detail15normal_iteratorINS9_10device_ptrIdEEEENS9_16discard_iteratorINS9_11use_defaultEEEd11max_functorIdEdEEDaPvRmT3_T4_T5_mT6_P12ihipStream_tbENKUlT_T0_E_clISt17integral_constantIbLb0EESX_EEDaSS_ST_EUlSS_E0_NS1_11comp_targetILNS1_3genE8ELNS1_11target_archE1030ELNS1_3gpuE2ELNS1_3repE0EEENS1_30default_config_static_selectorELNS0_4arch9wavefront6targetE1EEEvT1_,@function
_ZN7rocprim17ROCPRIM_400000_NS6detail17trampoline_kernelINS0_14default_configENS1_20scan_config_selectorIdEEZZNS1_9scan_implILNS1_25lookback_scan_determinismE0ELb1ELb1ES3_N6thrust23THRUST_200600_302600_NS6detail15normal_iteratorINS9_10device_ptrIdEEEENS9_16discard_iteratorINS9_11use_defaultEEEd11max_functorIdEdEEDaPvRmT3_T4_T5_mT6_P12ihipStream_tbENKUlT_T0_E_clISt17integral_constantIbLb0EESX_EEDaSS_ST_EUlSS_E0_NS1_11comp_targetILNS1_3genE8ELNS1_11target_archE1030ELNS1_3gpuE2ELNS1_3repE0EEENS1_30default_config_static_selectorELNS0_4arch9wavefront6targetE1EEEvT1_: ; @_ZN7rocprim17ROCPRIM_400000_NS6detail17trampoline_kernelINS0_14default_configENS1_20scan_config_selectorIdEEZZNS1_9scan_implILNS1_25lookback_scan_determinismE0ELb1ELb1ES3_N6thrust23THRUST_200600_302600_NS6detail15normal_iteratorINS9_10device_ptrIdEEEENS9_16discard_iteratorINS9_11use_defaultEEEd11max_functorIdEdEEDaPvRmT3_T4_T5_mT6_P12ihipStream_tbENKUlT_T0_E_clISt17integral_constantIbLb0EESX_EEDaSS_ST_EUlSS_E0_NS1_11comp_targetILNS1_3genE8ELNS1_11target_archE1030ELNS1_3gpuE2ELNS1_3repE0EEENS1_30default_config_static_selectorELNS0_4arch9wavefront6targetE1EEEvT1_
; %bb.0:
	.section	.rodata,"a",@progbits
	.p2align	6, 0x0
	.amdhsa_kernel _ZN7rocprim17ROCPRIM_400000_NS6detail17trampoline_kernelINS0_14default_configENS1_20scan_config_selectorIdEEZZNS1_9scan_implILNS1_25lookback_scan_determinismE0ELb1ELb1ES3_N6thrust23THRUST_200600_302600_NS6detail15normal_iteratorINS9_10device_ptrIdEEEENS9_16discard_iteratorINS9_11use_defaultEEEd11max_functorIdEdEEDaPvRmT3_T4_T5_mT6_P12ihipStream_tbENKUlT_T0_E_clISt17integral_constantIbLb0EESX_EEDaSS_ST_EUlSS_E0_NS1_11comp_targetILNS1_3genE8ELNS1_11target_archE1030ELNS1_3gpuE2ELNS1_3repE0EEENS1_30default_config_static_selectorELNS0_4arch9wavefront6targetE1EEEvT1_
		.amdhsa_group_segment_fixed_size 0
		.amdhsa_private_segment_fixed_size 0
		.amdhsa_kernarg_size 48
		.amdhsa_user_sgpr_count 6
		.amdhsa_user_sgpr_private_segment_buffer 1
		.amdhsa_user_sgpr_dispatch_ptr 0
		.amdhsa_user_sgpr_queue_ptr 0
		.amdhsa_user_sgpr_kernarg_segment_ptr 1
		.amdhsa_user_sgpr_dispatch_id 0
		.amdhsa_user_sgpr_flat_scratch_init 0
		.amdhsa_user_sgpr_kernarg_preload_length 0
		.amdhsa_user_sgpr_kernarg_preload_offset 0
		.amdhsa_user_sgpr_private_segment_size 0
		.amdhsa_uses_dynamic_stack 0
		.amdhsa_system_sgpr_private_segment_wavefront_offset 0
		.amdhsa_system_sgpr_workgroup_id_x 1
		.amdhsa_system_sgpr_workgroup_id_y 0
		.amdhsa_system_sgpr_workgroup_id_z 0
		.amdhsa_system_sgpr_workgroup_info 0
		.amdhsa_system_vgpr_workitem_id 0
		.amdhsa_next_free_vgpr 1
		.amdhsa_next_free_sgpr 0
		.amdhsa_accum_offset 4
		.amdhsa_reserve_vcc 0
		.amdhsa_reserve_flat_scratch 0
		.amdhsa_float_round_mode_32 0
		.amdhsa_float_round_mode_16_64 0
		.amdhsa_float_denorm_mode_32 3
		.amdhsa_float_denorm_mode_16_64 3
		.amdhsa_dx10_clamp 1
		.amdhsa_ieee_mode 1
		.amdhsa_fp16_overflow 0
		.amdhsa_tg_split 0
		.amdhsa_exception_fp_ieee_invalid_op 0
		.amdhsa_exception_fp_denorm_src 0
		.amdhsa_exception_fp_ieee_div_zero 0
		.amdhsa_exception_fp_ieee_overflow 0
		.amdhsa_exception_fp_ieee_underflow 0
		.amdhsa_exception_fp_ieee_inexact 0
		.amdhsa_exception_int_div_zero 0
	.end_amdhsa_kernel
	.section	.text._ZN7rocprim17ROCPRIM_400000_NS6detail17trampoline_kernelINS0_14default_configENS1_20scan_config_selectorIdEEZZNS1_9scan_implILNS1_25lookback_scan_determinismE0ELb1ELb1ES3_N6thrust23THRUST_200600_302600_NS6detail15normal_iteratorINS9_10device_ptrIdEEEENS9_16discard_iteratorINS9_11use_defaultEEEd11max_functorIdEdEEDaPvRmT3_T4_T5_mT6_P12ihipStream_tbENKUlT_T0_E_clISt17integral_constantIbLb0EESX_EEDaSS_ST_EUlSS_E0_NS1_11comp_targetILNS1_3genE8ELNS1_11target_archE1030ELNS1_3gpuE2ELNS1_3repE0EEENS1_30default_config_static_selectorELNS0_4arch9wavefront6targetE1EEEvT1_,"axG",@progbits,_ZN7rocprim17ROCPRIM_400000_NS6detail17trampoline_kernelINS0_14default_configENS1_20scan_config_selectorIdEEZZNS1_9scan_implILNS1_25lookback_scan_determinismE0ELb1ELb1ES3_N6thrust23THRUST_200600_302600_NS6detail15normal_iteratorINS9_10device_ptrIdEEEENS9_16discard_iteratorINS9_11use_defaultEEEd11max_functorIdEdEEDaPvRmT3_T4_T5_mT6_P12ihipStream_tbENKUlT_T0_E_clISt17integral_constantIbLb0EESX_EEDaSS_ST_EUlSS_E0_NS1_11comp_targetILNS1_3genE8ELNS1_11target_archE1030ELNS1_3gpuE2ELNS1_3repE0EEENS1_30default_config_static_selectorELNS0_4arch9wavefront6targetE1EEEvT1_,comdat
.Lfunc_end3079:
	.size	_ZN7rocprim17ROCPRIM_400000_NS6detail17trampoline_kernelINS0_14default_configENS1_20scan_config_selectorIdEEZZNS1_9scan_implILNS1_25lookback_scan_determinismE0ELb1ELb1ES3_N6thrust23THRUST_200600_302600_NS6detail15normal_iteratorINS9_10device_ptrIdEEEENS9_16discard_iteratorINS9_11use_defaultEEEd11max_functorIdEdEEDaPvRmT3_T4_T5_mT6_P12ihipStream_tbENKUlT_T0_E_clISt17integral_constantIbLb0EESX_EEDaSS_ST_EUlSS_E0_NS1_11comp_targetILNS1_3genE8ELNS1_11target_archE1030ELNS1_3gpuE2ELNS1_3repE0EEENS1_30default_config_static_selectorELNS0_4arch9wavefront6targetE1EEEvT1_, .Lfunc_end3079-_ZN7rocprim17ROCPRIM_400000_NS6detail17trampoline_kernelINS0_14default_configENS1_20scan_config_selectorIdEEZZNS1_9scan_implILNS1_25lookback_scan_determinismE0ELb1ELb1ES3_N6thrust23THRUST_200600_302600_NS6detail15normal_iteratorINS9_10device_ptrIdEEEENS9_16discard_iteratorINS9_11use_defaultEEEd11max_functorIdEdEEDaPvRmT3_T4_T5_mT6_P12ihipStream_tbENKUlT_T0_E_clISt17integral_constantIbLb0EESX_EEDaSS_ST_EUlSS_E0_NS1_11comp_targetILNS1_3genE8ELNS1_11target_archE1030ELNS1_3gpuE2ELNS1_3repE0EEENS1_30default_config_static_selectorELNS0_4arch9wavefront6targetE1EEEvT1_
                                        ; -- End function
	.section	.AMDGPU.csdata,"",@progbits
; Kernel info:
; codeLenInByte = 0
; NumSgprs: 4
; NumVgprs: 0
; NumAgprs: 0
; TotalNumVgprs: 0
; ScratchSize: 0
; MemoryBound: 0
; FloatMode: 240
; IeeeMode: 1
; LDSByteSize: 0 bytes/workgroup (compile time only)
; SGPRBlocks: 0
; VGPRBlocks: 0
; NumSGPRsForWavesPerEU: 4
; NumVGPRsForWavesPerEU: 1
; AccumOffset: 4
; Occupancy: 8
; WaveLimiterHint : 0
; COMPUTE_PGM_RSRC2:SCRATCH_EN: 0
; COMPUTE_PGM_RSRC2:USER_SGPR: 6
; COMPUTE_PGM_RSRC2:TRAP_HANDLER: 0
; COMPUTE_PGM_RSRC2:TGID_X_EN: 1
; COMPUTE_PGM_RSRC2:TGID_Y_EN: 0
; COMPUTE_PGM_RSRC2:TGID_Z_EN: 0
; COMPUTE_PGM_RSRC2:TIDIG_COMP_CNT: 0
; COMPUTE_PGM_RSRC3_GFX90A:ACCUM_OFFSET: 0
; COMPUTE_PGM_RSRC3_GFX90A:TG_SPLIT: 0
	.section	.text._ZN7rocprim17ROCPRIM_400000_NS6detail17trampoline_kernelINS0_14default_configENS1_20scan_config_selectorIdEEZZNS1_9scan_implILNS1_25lookback_scan_determinismE0ELb1ELb1ES3_N6thrust23THRUST_200600_302600_NS6detail15normal_iteratorINS9_10device_ptrIdEEEENS9_16discard_iteratorINS9_11use_defaultEEEd11max_functorIdEdEEDaPvRmT3_T4_T5_mT6_P12ihipStream_tbENKUlT_T0_E_clISt17integral_constantIbLb1EESX_EEDaSS_ST_EUlSS_E_NS1_11comp_targetILNS1_3genE0ELNS1_11target_archE4294967295ELNS1_3gpuE0ELNS1_3repE0EEENS1_30default_config_static_selectorELNS0_4arch9wavefront6targetE1EEEvT1_,"axG",@progbits,_ZN7rocprim17ROCPRIM_400000_NS6detail17trampoline_kernelINS0_14default_configENS1_20scan_config_selectorIdEEZZNS1_9scan_implILNS1_25lookback_scan_determinismE0ELb1ELb1ES3_N6thrust23THRUST_200600_302600_NS6detail15normal_iteratorINS9_10device_ptrIdEEEENS9_16discard_iteratorINS9_11use_defaultEEEd11max_functorIdEdEEDaPvRmT3_T4_T5_mT6_P12ihipStream_tbENKUlT_T0_E_clISt17integral_constantIbLb1EESX_EEDaSS_ST_EUlSS_E_NS1_11comp_targetILNS1_3genE0ELNS1_11target_archE4294967295ELNS1_3gpuE0ELNS1_3repE0EEENS1_30default_config_static_selectorELNS0_4arch9wavefront6targetE1EEEvT1_,comdat
	.protected	_ZN7rocprim17ROCPRIM_400000_NS6detail17trampoline_kernelINS0_14default_configENS1_20scan_config_selectorIdEEZZNS1_9scan_implILNS1_25lookback_scan_determinismE0ELb1ELb1ES3_N6thrust23THRUST_200600_302600_NS6detail15normal_iteratorINS9_10device_ptrIdEEEENS9_16discard_iteratorINS9_11use_defaultEEEd11max_functorIdEdEEDaPvRmT3_T4_T5_mT6_P12ihipStream_tbENKUlT_T0_E_clISt17integral_constantIbLb1EESX_EEDaSS_ST_EUlSS_E_NS1_11comp_targetILNS1_3genE0ELNS1_11target_archE4294967295ELNS1_3gpuE0ELNS1_3repE0EEENS1_30default_config_static_selectorELNS0_4arch9wavefront6targetE1EEEvT1_ ; -- Begin function _ZN7rocprim17ROCPRIM_400000_NS6detail17trampoline_kernelINS0_14default_configENS1_20scan_config_selectorIdEEZZNS1_9scan_implILNS1_25lookback_scan_determinismE0ELb1ELb1ES3_N6thrust23THRUST_200600_302600_NS6detail15normal_iteratorINS9_10device_ptrIdEEEENS9_16discard_iteratorINS9_11use_defaultEEEd11max_functorIdEdEEDaPvRmT3_T4_T5_mT6_P12ihipStream_tbENKUlT_T0_E_clISt17integral_constantIbLb1EESX_EEDaSS_ST_EUlSS_E_NS1_11comp_targetILNS1_3genE0ELNS1_11target_archE4294967295ELNS1_3gpuE0ELNS1_3repE0EEENS1_30default_config_static_selectorELNS0_4arch9wavefront6targetE1EEEvT1_
	.globl	_ZN7rocprim17ROCPRIM_400000_NS6detail17trampoline_kernelINS0_14default_configENS1_20scan_config_selectorIdEEZZNS1_9scan_implILNS1_25lookback_scan_determinismE0ELb1ELb1ES3_N6thrust23THRUST_200600_302600_NS6detail15normal_iteratorINS9_10device_ptrIdEEEENS9_16discard_iteratorINS9_11use_defaultEEEd11max_functorIdEdEEDaPvRmT3_T4_T5_mT6_P12ihipStream_tbENKUlT_T0_E_clISt17integral_constantIbLb1EESX_EEDaSS_ST_EUlSS_E_NS1_11comp_targetILNS1_3genE0ELNS1_11target_archE4294967295ELNS1_3gpuE0ELNS1_3repE0EEENS1_30default_config_static_selectorELNS0_4arch9wavefront6targetE1EEEvT1_
	.p2align	8
	.type	_ZN7rocprim17ROCPRIM_400000_NS6detail17trampoline_kernelINS0_14default_configENS1_20scan_config_selectorIdEEZZNS1_9scan_implILNS1_25lookback_scan_determinismE0ELb1ELb1ES3_N6thrust23THRUST_200600_302600_NS6detail15normal_iteratorINS9_10device_ptrIdEEEENS9_16discard_iteratorINS9_11use_defaultEEEd11max_functorIdEdEEDaPvRmT3_T4_T5_mT6_P12ihipStream_tbENKUlT_T0_E_clISt17integral_constantIbLb1EESX_EEDaSS_ST_EUlSS_E_NS1_11comp_targetILNS1_3genE0ELNS1_11target_archE4294967295ELNS1_3gpuE0ELNS1_3repE0EEENS1_30default_config_static_selectorELNS0_4arch9wavefront6targetE1EEEvT1_,@function
_ZN7rocprim17ROCPRIM_400000_NS6detail17trampoline_kernelINS0_14default_configENS1_20scan_config_selectorIdEEZZNS1_9scan_implILNS1_25lookback_scan_determinismE0ELb1ELb1ES3_N6thrust23THRUST_200600_302600_NS6detail15normal_iteratorINS9_10device_ptrIdEEEENS9_16discard_iteratorINS9_11use_defaultEEEd11max_functorIdEdEEDaPvRmT3_T4_T5_mT6_P12ihipStream_tbENKUlT_T0_E_clISt17integral_constantIbLb1EESX_EEDaSS_ST_EUlSS_E_NS1_11comp_targetILNS1_3genE0ELNS1_11target_archE4294967295ELNS1_3gpuE0ELNS1_3repE0EEENS1_30default_config_static_selectorELNS0_4arch9wavefront6targetE1EEEvT1_: ; @_ZN7rocprim17ROCPRIM_400000_NS6detail17trampoline_kernelINS0_14default_configENS1_20scan_config_selectorIdEEZZNS1_9scan_implILNS1_25lookback_scan_determinismE0ELb1ELb1ES3_N6thrust23THRUST_200600_302600_NS6detail15normal_iteratorINS9_10device_ptrIdEEEENS9_16discard_iteratorINS9_11use_defaultEEEd11max_functorIdEdEEDaPvRmT3_T4_T5_mT6_P12ihipStream_tbENKUlT_T0_E_clISt17integral_constantIbLb1EESX_EEDaSS_ST_EUlSS_E_NS1_11comp_targetILNS1_3genE0ELNS1_11target_archE4294967295ELNS1_3gpuE0ELNS1_3repE0EEENS1_30default_config_static_selectorELNS0_4arch9wavefront6targetE1EEEvT1_
; %bb.0:
	.section	.rodata,"a",@progbits
	.p2align	6, 0x0
	.amdhsa_kernel _ZN7rocprim17ROCPRIM_400000_NS6detail17trampoline_kernelINS0_14default_configENS1_20scan_config_selectorIdEEZZNS1_9scan_implILNS1_25lookback_scan_determinismE0ELb1ELb1ES3_N6thrust23THRUST_200600_302600_NS6detail15normal_iteratorINS9_10device_ptrIdEEEENS9_16discard_iteratorINS9_11use_defaultEEEd11max_functorIdEdEEDaPvRmT3_T4_T5_mT6_P12ihipStream_tbENKUlT_T0_E_clISt17integral_constantIbLb1EESX_EEDaSS_ST_EUlSS_E_NS1_11comp_targetILNS1_3genE0ELNS1_11target_archE4294967295ELNS1_3gpuE0ELNS1_3repE0EEENS1_30default_config_static_selectorELNS0_4arch9wavefront6targetE1EEEvT1_
		.amdhsa_group_segment_fixed_size 0
		.amdhsa_private_segment_fixed_size 0
		.amdhsa_kernarg_size 112
		.amdhsa_user_sgpr_count 6
		.amdhsa_user_sgpr_private_segment_buffer 1
		.amdhsa_user_sgpr_dispatch_ptr 0
		.amdhsa_user_sgpr_queue_ptr 0
		.amdhsa_user_sgpr_kernarg_segment_ptr 1
		.amdhsa_user_sgpr_dispatch_id 0
		.amdhsa_user_sgpr_flat_scratch_init 0
		.amdhsa_user_sgpr_kernarg_preload_length 0
		.amdhsa_user_sgpr_kernarg_preload_offset 0
		.amdhsa_user_sgpr_private_segment_size 0
		.amdhsa_uses_dynamic_stack 0
		.amdhsa_system_sgpr_private_segment_wavefront_offset 0
		.amdhsa_system_sgpr_workgroup_id_x 1
		.amdhsa_system_sgpr_workgroup_id_y 0
		.amdhsa_system_sgpr_workgroup_id_z 0
		.amdhsa_system_sgpr_workgroup_info 0
		.amdhsa_system_vgpr_workitem_id 0
		.amdhsa_next_free_vgpr 1
		.amdhsa_next_free_sgpr 0
		.amdhsa_accum_offset 4
		.amdhsa_reserve_vcc 0
		.amdhsa_reserve_flat_scratch 0
		.amdhsa_float_round_mode_32 0
		.amdhsa_float_round_mode_16_64 0
		.amdhsa_float_denorm_mode_32 3
		.amdhsa_float_denorm_mode_16_64 3
		.amdhsa_dx10_clamp 1
		.amdhsa_ieee_mode 1
		.amdhsa_fp16_overflow 0
		.amdhsa_tg_split 0
		.amdhsa_exception_fp_ieee_invalid_op 0
		.amdhsa_exception_fp_denorm_src 0
		.amdhsa_exception_fp_ieee_div_zero 0
		.amdhsa_exception_fp_ieee_overflow 0
		.amdhsa_exception_fp_ieee_underflow 0
		.amdhsa_exception_fp_ieee_inexact 0
		.amdhsa_exception_int_div_zero 0
	.end_amdhsa_kernel
	.section	.text._ZN7rocprim17ROCPRIM_400000_NS6detail17trampoline_kernelINS0_14default_configENS1_20scan_config_selectorIdEEZZNS1_9scan_implILNS1_25lookback_scan_determinismE0ELb1ELb1ES3_N6thrust23THRUST_200600_302600_NS6detail15normal_iteratorINS9_10device_ptrIdEEEENS9_16discard_iteratorINS9_11use_defaultEEEd11max_functorIdEdEEDaPvRmT3_T4_T5_mT6_P12ihipStream_tbENKUlT_T0_E_clISt17integral_constantIbLb1EESX_EEDaSS_ST_EUlSS_E_NS1_11comp_targetILNS1_3genE0ELNS1_11target_archE4294967295ELNS1_3gpuE0ELNS1_3repE0EEENS1_30default_config_static_selectorELNS0_4arch9wavefront6targetE1EEEvT1_,"axG",@progbits,_ZN7rocprim17ROCPRIM_400000_NS6detail17trampoline_kernelINS0_14default_configENS1_20scan_config_selectorIdEEZZNS1_9scan_implILNS1_25lookback_scan_determinismE0ELb1ELb1ES3_N6thrust23THRUST_200600_302600_NS6detail15normal_iteratorINS9_10device_ptrIdEEEENS9_16discard_iteratorINS9_11use_defaultEEEd11max_functorIdEdEEDaPvRmT3_T4_T5_mT6_P12ihipStream_tbENKUlT_T0_E_clISt17integral_constantIbLb1EESX_EEDaSS_ST_EUlSS_E_NS1_11comp_targetILNS1_3genE0ELNS1_11target_archE4294967295ELNS1_3gpuE0ELNS1_3repE0EEENS1_30default_config_static_selectorELNS0_4arch9wavefront6targetE1EEEvT1_,comdat
.Lfunc_end3080:
	.size	_ZN7rocprim17ROCPRIM_400000_NS6detail17trampoline_kernelINS0_14default_configENS1_20scan_config_selectorIdEEZZNS1_9scan_implILNS1_25lookback_scan_determinismE0ELb1ELb1ES3_N6thrust23THRUST_200600_302600_NS6detail15normal_iteratorINS9_10device_ptrIdEEEENS9_16discard_iteratorINS9_11use_defaultEEEd11max_functorIdEdEEDaPvRmT3_T4_T5_mT6_P12ihipStream_tbENKUlT_T0_E_clISt17integral_constantIbLb1EESX_EEDaSS_ST_EUlSS_E_NS1_11comp_targetILNS1_3genE0ELNS1_11target_archE4294967295ELNS1_3gpuE0ELNS1_3repE0EEENS1_30default_config_static_selectorELNS0_4arch9wavefront6targetE1EEEvT1_, .Lfunc_end3080-_ZN7rocprim17ROCPRIM_400000_NS6detail17trampoline_kernelINS0_14default_configENS1_20scan_config_selectorIdEEZZNS1_9scan_implILNS1_25lookback_scan_determinismE0ELb1ELb1ES3_N6thrust23THRUST_200600_302600_NS6detail15normal_iteratorINS9_10device_ptrIdEEEENS9_16discard_iteratorINS9_11use_defaultEEEd11max_functorIdEdEEDaPvRmT3_T4_T5_mT6_P12ihipStream_tbENKUlT_T0_E_clISt17integral_constantIbLb1EESX_EEDaSS_ST_EUlSS_E_NS1_11comp_targetILNS1_3genE0ELNS1_11target_archE4294967295ELNS1_3gpuE0ELNS1_3repE0EEENS1_30default_config_static_selectorELNS0_4arch9wavefront6targetE1EEEvT1_
                                        ; -- End function
	.section	.AMDGPU.csdata,"",@progbits
; Kernel info:
; codeLenInByte = 0
; NumSgprs: 4
; NumVgprs: 0
; NumAgprs: 0
; TotalNumVgprs: 0
; ScratchSize: 0
; MemoryBound: 0
; FloatMode: 240
; IeeeMode: 1
; LDSByteSize: 0 bytes/workgroup (compile time only)
; SGPRBlocks: 0
; VGPRBlocks: 0
; NumSGPRsForWavesPerEU: 4
; NumVGPRsForWavesPerEU: 1
; AccumOffset: 4
; Occupancy: 8
; WaveLimiterHint : 0
; COMPUTE_PGM_RSRC2:SCRATCH_EN: 0
; COMPUTE_PGM_RSRC2:USER_SGPR: 6
; COMPUTE_PGM_RSRC2:TRAP_HANDLER: 0
; COMPUTE_PGM_RSRC2:TGID_X_EN: 1
; COMPUTE_PGM_RSRC2:TGID_Y_EN: 0
; COMPUTE_PGM_RSRC2:TGID_Z_EN: 0
; COMPUTE_PGM_RSRC2:TIDIG_COMP_CNT: 0
; COMPUTE_PGM_RSRC3_GFX90A:ACCUM_OFFSET: 0
; COMPUTE_PGM_RSRC3_GFX90A:TG_SPLIT: 0
	.section	.text._ZN7rocprim17ROCPRIM_400000_NS6detail17trampoline_kernelINS0_14default_configENS1_20scan_config_selectorIdEEZZNS1_9scan_implILNS1_25lookback_scan_determinismE0ELb1ELb1ES3_N6thrust23THRUST_200600_302600_NS6detail15normal_iteratorINS9_10device_ptrIdEEEENS9_16discard_iteratorINS9_11use_defaultEEEd11max_functorIdEdEEDaPvRmT3_T4_T5_mT6_P12ihipStream_tbENKUlT_T0_E_clISt17integral_constantIbLb1EESX_EEDaSS_ST_EUlSS_E_NS1_11comp_targetILNS1_3genE5ELNS1_11target_archE942ELNS1_3gpuE9ELNS1_3repE0EEENS1_30default_config_static_selectorELNS0_4arch9wavefront6targetE1EEEvT1_,"axG",@progbits,_ZN7rocprim17ROCPRIM_400000_NS6detail17trampoline_kernelINS0_14default_configENS1_20scan_config_selectorIdEEZZNS1_9scan_implILNS1_25lookback_scan_determinismE0ELb1ELb1ES3_N6thrust23THRUST_200600_302600_NS6detail15normal_iteratorINS9_10device_ptrIdEEEENS9_16discard_iteratorINS9_11use_defaultEEEd11max_functorIdEdEEDaPvRmT3_T4_T5_mT6_P12ihipStream_tbENKUlT_T0_E_clISt17integral_constantIbLb1EESX_EEDaSS_ST_EUlSS_E_NS1_11comp_targetILNS1_3genE5ELNS1_11target_archE942ELNS1_3gpuE9ELNS1_3repE0EEENS1_30default_config_static_selectorELNS0_4arch9wavefront6targetE1EEEvT1_,comdat
	.protected	_ZN7rocprim17ROCPRIM_400000_NS6detail17trampoline_kernelINS0_14default_configENS1_20scan_config_selectorIdEEZZNS1_9scan_implILNS1_25lookback_scan_determinismE0ELb1ELb1ES3_N6thrust23THRUST_200600_302600_NS6detail15normal_iteratorINS9_10device_ptrIdEEEENS9_16discard_iteratorINS9_11use_defaultEEEd11max_functorIdEdEEDaPvRmT3_T4_T5_mT6_P12ihipStream_tbENKUlT_T0_E_clISt17integral_constantIbLb1EESX_EEDaSS_ST_EUlSS_E_NS1_11comp_targetILNS1_3genE5ELNS1_11target_archE942ELNS1_3gpuE9ELNS1_3repE0EEENS1_30default_config_static_selectorELNS0_4arch9wavefront6targetE1EEEvT1_ ; -- Begin function _ZN7rocprim17ROCPRIM_400000_NS6detail17trampoline_kernelINS0_14default_configENS1_20scan_config_selectorIdEEZZNS1_9scan_implILNS1_25lookback_scan_determinismE0ELb1ELb1ES3_N6thrust23THRUST_200600_302600_NS6detail15normal_iteratorINS9_10device_ptrIdEEEENS9_16discard_iteratorINS9_11use_defaultEEEd11max_functorIdEdEEDaPvRmT3_T4_T5_mT6_P12ihipStream_tbENKUlT_T0_E_clISt17integral_constantIbLb1EESX_EEDaSS_ST_EUlSS_E_NS1_11comp_targetILNS1_3genE5ELNS1_11target_archE942ELNS1_3gpuE9ELNS1_3repE0EEENS1_30default_config_static_selectorELNS0_4arch9wavefront6targetE1EEEvT1_
	.globl	_ZN7rocprim17ROCPRIM_400000_NS6detail17trampoline_kernelINS0_14default_configENS1_20scan_config_selectorIdEEZZNS1_9scan_implILNS1_25lookback_scan_determinismE0ELb1ELb1ES3_N6thrust23THRUST_200600_302600_NS6detail15normal_iteratorINS9_10device_ptrIdEEEENS9_16discard_iteratorINS9_11use_defaultEEEd11max_functorIdEdEEDaPvRmT3_T4_T5_mT6_P12ihipStream_tbENKUlT_T0_E_clISt17integral_constantIbLb1EESX_EEDaSS_ST_EUlSS_E_NS1_11comp_targetILNS1_3genE5ELNS1_11target_archE942ELNS1_3gpuE9ELNS1_3repE0EEENS1_30default_config_static_selectorELNS0_4arch9wavefront6targetE1EEEvT1_
	.p2align	8
	.type	_ZN7rocprim17ROCPRIM_400000_NS6detail17trampoline_kernelINS0_14default_configENS1_20scan_config_selectorIdEEZZNS1_9scan_implILNS1_25lookback_scan_determinismE0ELb1ELb1ES3_N6thrust23THRUST_200600_302600_NS6detail15normal_iteratorINS9_10device_ptrIdEEEENS9_16discard_iteratorINS9_11use_defaultEEEd11max_functorIdEdEEDaPvRmT3_T4_T5_mT6_P12ihipStream_tbENKUlT_T0_E_clISt17integral_constantIbLb1EESX_EEDaSS_ST_EUlSS_E_NS1_11comp_targetILNS1_3genE5ELNS1_11target_archE942ELNS1_3gpuE9ELNS1_3repE0EEENS1_30default_config_static_selectorELNS0_4arch9wavefront6targetE1EEEvT1_,@function
_ZN7rocprim17ROCPRIM_400000_NS6detail17trampoline_kernelINS0_14default_configENS1_20scan_config_selectorIdEEZZNS1_9scan_implILNS1_25lookback_scan_determinismE0ELb1ELb1ES3_N6thrust23THRUST_200600_302600_NS6detail15normal_iteratorINS9_10device_ptrIdEEEENS9_16discard_iteratorINS9_11use_defaultEEEd11max_functorIdEdEEDaPvRmT3_T4_T5_mT6_P12ihipStream_tbENKUlT_T0_E_clISt17integral_constantIbLb1EESX_EEDaSS_ST_EUlSS_E_NS1_11comp_targetILNS1_3genE5ELNS1_11target_archE942ELNS1_3gpuE9ELNS1_3repE0EEENS1_30default_config_static_selectorELNS0_4arch9wavefront6targetE1EEEvT1_: ; @_ZN7rocprim17ROCPRIM_400000_NS6detail17trampoline_kernelINS0_14default_configENS1_20scan_config_selectorIdEEZZNS1_9scan_implILNS1_25lookback_scan_determinismE0ELb1ELb1ES3_N6thrust23THRUST_200600_302600_NS6detail15normal_iteratorINS9_10device_ptrIdEEEENS9_16discard_iteratorINS9_11use_defaultEEEd11max_functorIdEdEEDaPvRmT3_T4_T5_mT6_P12ihipStream_tbENKUlT_T0_E_clISt17integral_constantIbLb1EESX_EEDaSS_ST_EUlSS_E_NS1_11comp_targetILNS1_3genE5ELNS1_11target_archE942ELNS1_3gpuE9ELNS1_3repE0EEENS1_30default_config_static_selectorELNS0_4arch9wavefront6targetE1EEEvT1_
; %bb.0:
	.section	.rodata,"a",@progbits
	.p2align	6, 0x0
	.amdhsa_kernel _ZN7rocprim17ROCPRIM_400000_NS6detail17trampoline_kernelINS0_14default_configENS1_20scan_config_selectorIdEEZZNS1_9scan_implILNS1_25lookback_scan_determinismE0ELb1ELb1ES3_N6thrust23THRUST_200600_302600_NS6detail15normal_iteratorINS9_10device_ptrIdEEEENS9_16discard_iteratorINS9_11use_defaultEEEd11max_functorIdEdEEDaPvRmT3_T4_T5_mT6_P12ihipStream_tbENKUlT_T0_E_clISt17integral_constantIbLb1EESX_EEDaSS_ST_EUlSS_E_NS1_11comp_targetILNS1_3genE5ELNS1_11target_archE942ELNS1_3gpuE9ELNS1_3repE0EEENS1_30default_config_static_selectorELNS0_4arch9wavefront6targetE1EEEvT1_
		.amdhsa_group_segment_fixed_size 0
		.amdhsa_private_segment_fixed_size 0
		.amdhsa_kernarg_size 112
		.amdhsa_user_sgpr_count 6
		.amdhsa_user_sgpr_private_segment_buffer 1
		.amdhsa_user_sgpr_dispatch_ptr 0
		.amdhsa_user_sgpr_queue_ptr 0
		.amdhsa_user_sgpr_kernarg_segment_ptr 1
		.amdhsa_user_sgpr_dispatch_id 0
		.amdhsa_user_sgpr_flat_scratch_init 0
		.amdhsa_user_sgpr_kernarg_preload_length 0
		.amdhsa_user_sgpr_kernarg_preload_offset 0
		.amdhsa_user_sgpr_private_segment_size 0
		.amdhsa_uses_dynamic_stack 0
		.amdhsa_system_sgpr_private_segment_wavefront_offset 0
		.amdhsa_system_sgpr_workgroup_id_x 1
		.amdhsa_system_sgpr_workgroup_id_y 0
		.amdhsa_system_sgpr_workgroup_id_z 0
		.amdhsa_system_sgpr_workgroup_info 0
		.amdhsa_system_vgpr_workitem_id 0
		.amdhsa_next_free_vgpr 1
		.amdhsa_next_free_sgpr 0
		.amdhsa_accum_offset 4
		.amdhsa_reserve_vcc 0
		.amdhsa_reserve_flat_scratch 0
		.amdhsa_float_round_mode_32 0
		.amdhsa_float_round_mode_16_64 0
		.amdhsa_float_denorm_mode_32 3
		.amdhsa_float_denorm_mode_16_64 3
		.amdhsa_dx10_clamp 1
		.amdhsa_ieee_mode 1
		.amdhsa_fp16_overflow 0
		.amdhsa_tg_split 0
		.amdhsa_exception_fp_ieee_invalid_op 0
		.amdhsa_exception_fp_denorm_src 0
		.amdhsa_exception_fp_ieee_div_zero 0
		.amdhsa_exception_fp_ieee_overflow 0
		.amdhsa_exception_fp_ieee_underflow 0
		.amdhsa_exception_fp_ieee_inexact 0
		.amdhsa_exception_int_div_zero 0
	.end_amdhsa_kernel
	.section	.text._ZN7rocprim17ROCPRIM_400000_NS6detail17trampoline_kernelINS0_14default_configENS1_20scan_config_selectorIdEEZZNS1_9scan_implILNS1_25lookback_scan_determinismE0ELb1ELb1ES3_N6thrust23THRUST_200600_302600_NS6detail15normal_iteratorINS9_10device_ptrIdEEEENS9_16discard_iteratorINS9_11use_defaultEEEd11max_functorIdEdEEDaPvRmT3_T4_T5_mT6_P12ihipStream_tbENKUlT_T0_E_clISt17integral_constantIbLb1EESX_EEDaSS_ST_EUlSS_E_NS1_11comp_targetILNS1_3genE5ELNS1_11target_archE942ELNS1_3gpuE9ELNS1_3repE0EEENS1_30default_config_static_selectorELNS0_4arch9wavefront6targetE1EEEvT1_,"axG",@progbits,_ZN7rocprim17ROCPRIM_400000_NS6detail17trampoline_kernelINS0_14default_configENS1_20scan_config_selectorIdEEZZNS1_9scan_implILNS1_25lookback_scan_determinismE0ELb1ELb1ES3_N6thrust23THRUST_200600_302600_NS6detail15normal_iteratorINS9_10device_ptrIdEEEENS9_16discard_iteratorINS9_11use_defaultEEEd11max_functorIdEdEEDaPvRmT3_T4_T5_mT6_P12ihipStream_tbENKUlT_T0_E_clISt17integral_constantIbLb1EESX_EEDaSS_ST_EUlSS_E_NS1_11comp_targetILNS1_3genE5ELNS1_11target_archE942ELNS1_3gpuE9ELNS1_3repE0EEENS1_30default_config_static_selectorELNS0_4arch9wavefront6targetE1EEEvT1_,comdat
.Lfunc_end3081:
	.size	_ZN7rocprim17ROCPRIM_400000_NS6detail17trampoline_kernelINS0_14default_configENS1_20scan_config_selectorIdEEZZNS1_9scan_implILNS1_25lookback_scan_determinismE0ELb1ELb1ES3_N6thrust23THRUST_200600_302600_NS6detail15normal_iteratorINS9_10device_ptrIdEEEENS9_16discard_iteratorINS9_11use_defaultEEEd11max_functorIdEdEEDaPvRmT3_T4_T5_mT6_P12ihipStream_tbENKUlT_T0_E_clISt17integral_constantIbLb1EESX_EEDaSS_ST_EUlSS_E_NS1_11comp_targetILNS1_3genE5ELNS1_11target_archE942ELNS1_3gpuE9ELNS1_3repE0EEENS1_30default_config_static_selectorELNS0_4arch9wavefront6targetE1EEEvT1_, .Lfunc_end3081-_ZN7rocprim17ROCPRIM_400000_NS6detail17trampoline_kernelINS0_14default_configENS1_20scan_config_selectorIdEEZZNS1_9scan_implILNS1_25lookback_scan_determinismE0ELb1ELb1ES3_N6thrust23THRUST_200600_302600_NS6detail15normal_iteratorINS9_10device_ptrIdEEEENS9_16discard_iteratorINS9_11use_defaultEEEd11max_functorIdEdEEDaPvRmT3_T4_T5_mT6_P12ihipStream_tbENKUlT_T0_E_clISt17integral_constantIbLb1EESX_EEDaSS_ST_EUlSS_E_NS1_11comp_targetILNS1_3genE5ELNS1_11target_archE942ELNS1_3gpuE9ELNS1_3repE0EEENS1_30default_config_static_selectorELNS0_4arch9wavefront6targetE1EEEvT1_
                                        ; -- End function
	.section	.AMDGPU.csdata,"",@progbits
; Kernel info:
; codeLenInByte = 0
; NumSgprs: 4
; NumVgprs: 0
; NumAgprs: 0
; TotalNumVgprs: 0
; ScratchSize: 0
; MemoryBound: 0
; FloatMode: 240
; IeeeMode: 1
; LDSByteSize: 0 bytes/workgroup (compile time only)
; SGPRBlocks: 0
; VGPRBlocks: 0
; NumSGPRsForWavesPerEU: 4
; NumVGPRsForWavesPerEU: 1
; AccumOffset: 4
; Occupancy: 8
; WaveLimiterHint : 0
; COMPUTE_PGM_RSRC2:SCRATCH_EN: 0
; COMPUTE_PGM_RSRC2:USER_SGPR: 6
; COMPUTE_PGM_RSRC2:TRAP_HANDLER: 0
; COMPUTE_PGM_RSRC2:TGID_X_EN: 1
; COMPUTE_PGM_RSRC2:TGID_Y_EN: 0
; COMPUTE_PGM_RSRC2:TGID_Z_EN: 0
; COMPUTE_PGM_RSRC2:TIDIG_COMP_CNT: 0
; COMPUTE_PGM_RSRC3_GFX90A:ACCUM_OFFSET: 0
; COMPUTE_PGM_RSRC3_GFX90A:TG_SPLIT: 0
	.section	.text._ZN7rocprim17ROCPRIM_400000_NS6detail17trampoline_kernelINS0_14default_configENS1_20scan_config_selectorIdEEZZNS1_9scan_implILNS1_25lookback_scan_determinismE0ELb1ELb1ES3_N6thrust23THRUST_200600_302600_NS6detail15normal_iteratorINS9_10device_ptrIdEEEENS9_16discard_iteratorINS9_11use_defaultEEEd11max_functorIdEdEEDaPvRmT3_T4_T5_mT6_P12ihipStream_tbENKUlT_T0_E_clISt17integral_constantIbLb1EESX_EEDaSS_ST_EUlSS_E_NS1_11comp_targetILNS1_3genE4ELNS1_11target_archE910ELNS1_3gpuE8ELNS1_3repE0EEENS1_30default_config_static_selectorELNS0_4arch9wavefront6targetE1EEEvT1_,"axG",@progbits,_ZN7rocprim17ROCPRIM_400000_NS6detail17trampoline_kernelINS0_14default_configENS1_20scan_config_selectorIdEEZZNS1_9scan_implILNS1_25lookback_scan_determinismE0ELb1ELb1ES3_N6thrust23THRUST_200600_302600_NS6detail15normal_iteratorINS9_10device_ptrIdEEEENS9_16discard_iteratorINS9_11use_defaultEEEd11max_functorIdEdEEDaPvRmT3_T4_T5_mT6_P12ihipStream_tbENKUlT_T0_E_clISt17integral_constantIbLb1EESX_EEDaSS_ST_EUlSS_E_NS1_11comp_targetILNS1_3genE4ELNS1_11target_archE910ELNS1_3gpuE8ELNS1_3repE0EEENS1_30default_config_static_selectorELNS0_4arch9wavefront6targetE1EEEvT1_,comdat
	.protected	_ZN7rocprim17ROCPRIM_400000_NS6detail17trampoline_kernelINS0_14default_configENS1_20scan_config_selectorIdEEZZNS1_9scan_implILNS1_25lookback_scan_determinismE0ELb1ELb1ES3_N6thrust23THRUST_200600_302600_NS6detail15normal_iteratorINS9_10device_ptrIdEEEENS9_16discard_iteratorINS9_11use_defaultEEEd11max_functorIdEdEEDaPvRmT3_T4_T5_mT6_P12ihipStream_tbENKUlT_T0_E_clISt17integral_constantIbLb1EESX_EEDaSS_ST_EUlSS_E_NS1_11comp_targetILNS1_3genE4ELNS1_11target_archE910ELNS1_3gpuE8ELNS1_3repE0EEENS1_30default_config_static_selectorELNS0_4arch9wavefront6targetE1EEEvT1_ ; -- Begin function _ZN7rocprim17ROCPRIM_400000_NS6detail17trampoline_kernelINS0_14default_configENS1_20scan_config_selectorIdEEZZNS1_9scan_implILNS1_25lookback_scan_determinismE0ELb1ELb1ES3_N6thrust23THRUST_200600_302600_NS6detail15normal_iteratorINS9_10device_ptrIdEEEENS9_16discard_iteratorINS9_11use_defaultEEEd11max_functorIdEdEEDaPvRmT3_T4_T5_mT6_P12ihipStream_tbENKUlT_T0_E_clISt17integral_constantIbLb1EESX_EEDaSS_ST_EUlSS_E_NS1_11comp_targetILNS1_3genE4ELNS1_11target_archE910ELNS1_3gpuE8ELNS1_3repE0EEENS1_30default_config_static_selectorELNS0_4arch9wavefront6targetE1EEEvT1_
	.globl	_ZN7rocprim17ROCPRIM_400000_NS6detail17trampoline_kernelINS0_14default_configENS1_20scan_config_selectorIdEEZZNS1_9scan_implILNS1_25lookback_scan_determinismE0ELb1ELb1ES3_N6thrust23THRUST_200600_302600_NS6detail15normal_iteratorINS9_10device_ptrIdEEEENS9_16discard_iteratorINS9_11use_defaultEEEd11max_functorIdEdEEDaPvRmT3_T4_T5_mT6_P12ihipStream_tbENKUlT_T0_E_clISt17integral_constantIbLb1EESX_EEDaSS_ST_EUlSS_E_NS1_11comp_targetILNS1_3genE4ELNS1_11target_archE910ELNS1_3gpuE8ELNS1_3repE0EEENS1_30default_config_static_selectorELNS0_4arch9wavefront6targetE1EEEvT1_
	.p2align	8
	.type	_ZN7rocprim17ROCPRIM_400000_NS6detail17trampoline_kernelINS0_14default_configENS1_20scan_config_selectorIdEEZZNS1_9scan_implILNS1_25lookback_scan_determinismE0ELb1ELb1ES3_N6thrust23THRUST_200600_302600_NS6detail15normal_iteratorINS9_10device_ptrIdEEEENS9_16discard_iteratorINS9_11use_defaultEEEd11max_functorIdEdEEDaPvRmT3_T4_T5_mT6_P12ihipStream_tbENKUlT_T0_E_clISt17integral_constantIbLb1EESX_EEDaSS_ST_EUlSS_E_NS1_11comp_targetILNS1_3genE4ELNS1_11target_archE910ELNS1_3gpuE8ELNS1_3repE0EEENS1_30default_config_static_selectorELNS0_4arch9wavefront6targetE1EEEvT1_,@function
_ZN7rocprim17ROCPRIM_400000_NS6detail17trampoline_kernelINS0_14default_configENS1_20scan_config_selectorIdEEZZNS1_9scan_implILNS1_25lookback_scan_determinismE0ELb1ELb1ES3_N6thrust23THRUST_200600_302600_NS6detail15normal_iteratorINS9_10device_ptrIdEEEENS9_16discard_iteratorINS9_11use_defaultEEEd11max_functorIdEdEEDaPvRmT3_T4_T5_mT6_P12ihipStream_tbENKUlT_T0_E_clISt17integral_constantIbLb1EESX_EEDaSS_ST_EUlSS_E_NS1_11comp_targetILNS1_3genE4ELNS1_11target_archE910ELNS1_3gpuE8ELNS1_3repE0EEENS1_30default_config_static_selectorELNS0_4arch9wavefront6targetE1EEEvT1_: ; @_ZN7rocprim17ROCPRIM_400000_NS6detail17trampoline_kernelINS0_14default_configENS1_20scan_config_selectorIdEEZZNS1_9scan_implILNS1_25lookback_scan_determinismE0ELb1ELb1ES3_N6thrust23THRUST_200600_302600_NS6detail15normal_iteratorINS9_10device_ptrIdEEEENS9_16discard_iteratorINS9_11use_defaultEEEd11max_functorIdEdEEDaPvRmT3_T4_T5_mT6_P12ihipStream_tbENKUlT_T0_E_clISt17integral_constantIbLb1EESX_EEDaSS_ST_EUlSS_E_NS1_11comp_targetILNS1_3genE4ELNS1_11target_archE910ELNS1_3gpuE8ELNS1_3repE0EEENS1_30default_config_static_selectorELNS0_4arch9wavefront6targetE1EEEvT1_
; %bb.0:
	s_load_dwordx2 s[24:25], s[4:5], 0x38
	v_cmp_eq_u32_e64 s[0:1], 0, v0
	s_and_saveexec_b64 s[2:3], s[0:1]
	s_cbranch_execz .LBB3082_4
; %bb.1:
	s_mov_b64 s[8:9], exec
	v_mbcnt_lo_u32_b32 v1, s8, 0
	v_mbcnt_hi_u32_b32 v1, s9, v1
	v_cmp_eq_u32_e32 vcc, 0, v1
                                        ; implicit-def: $vgpr2
	s_and_saveexec_b64 s[6:7], vcc
	s_cbranch_execz .LBB3082_3
; %bb.2:
	s_load_dwordx2 s[10:11], s[4:5], 0x68
	s_bcnt1_i32_b64 s8, s[8:9]
	v_mov_b32_e32 v2, 0
	v_mov_b32_e32 v3, s8
	s_waitcnt lgkmcnt(0)
	global_atomic_add v2, v2, v3, s[10:11] glc
.LBB3082_3:
	s_or_b64 exec, exec, s[6:7]
	s_waitcnt vmcnt(0)
	v_readfirstlane_b32 s6, v2
	v_add_u32_e32 v1, s6, v1
	v_mov_b32_e32 v2, 0
	ds_write_b32 v2, v1
.LBB3082_4:
	s_or_b64 exec, exec, s[2:3]
	v_mov_b32_e32 v3, 0
	s_load_dwordx4 s[20:23], s[4:5], 0x0
	s_load_dwordx4 s[16:19], s[4:5], 0x20
	s_load_dword s2, s[4:5], 0x40
	s_load_dwordx8 s[8:15], s[4:5], 0x48
	s_waitcnt lgkmcnt(0)
	s_barrier
	ds_read_b32 v1, v3
	s_lshl_b64 s[4:5], s[22:23], 3
	s_add_u32 s26, s20, s4
	s_addc_u32 s27, s21, s5
	s_movk_i32 s3, 0x500
	s_add_i32 s2, s2, -1
	s_waitcnt lgkmcnt(0)
	v_mul_lo_u32 v2, v1, s3
	s_mul_i32 s3, s2, 0x500
	s_sub_u32 s22, s16, s3
	v_readfirstlane_b32 s28, v1
	s_subb_u32 s23, s17, 0
	v_lshlrev_b64 v[2:3], 3, v[2:3]
	s_cmp_lg_u32 s28, s2
	v_mov_b32_e32 v1, s27
	v_add_co_u32_e32 v36, vcc, s26, v2
	s_cselect_b64 s[6:7], -1, 0
	v_addc_co_u32_e32 v37, vcc, v1, v3, vcc
	s_mov_b64 s[2:3], -1
	s_and_b64 vcc, exec, s[6:7]
	s_barrier
	s_cbranch_vccz .LBB3082_6
; %bb.5:
	v_lshlrev_b32_e32 v1, 3, v0
	v_add_co_u32_e32 v2, vcc, v36, v1
	v_addc_co_u32_e32 v3, vcc, 0, v37, vcc
	v_add_co_u32_e32 v12, vcc, 0x1000, v2
	v_addc_co_u32_e32 v13, vcc, 0, v3, vcc
	flat_load_dwordx2 v[4:5], v[2:3]
	flat_load_dwordx2 v[6:7], v[2:3] offset:1024
	flat_load_dwordx2 v[8:9], v[2:3] offset:2048
	;; [unrolled: 1-line block ×3, first 2 shown]
	v_add_co_u32_e32 v2, vcc, 0x2000, v2
	v_addc_co_u32_e32 v3, vcc, 0, v3, vcc
	flat_load_dwordx2 v[14:15], v[12:13]
	flat_load_dwordx2 v[16:17], v[12:13] offset:1024
	flat_load_dwordx2 v[18:19], v[12:13] offset:2048
	;; [unrolled: 1-line block ×3, first 2 shown]
	s_nop 0
	flat_load_dwordx2 v[12:13], v[2:3]
	flat_load_dwordx2 v[22:23], v[2:3] offset:1024
	s_mov_b64 s[2:3], 0
	s_waitcnt vmcnt(0) lgkmcnt(0)
	ds_write2st64_b64 v1, v[4:5], v[6:7] offset1:2
	ds_write2st64_b64 v1, v[8:9], v[10:11] offset0:4 offset1:6
	ds_write2st64_b64 v1, v[14:15], v[16:17] offset0:8 offset1:10
	;; [unrolled: 1-line block ×4, first 2 shown]
	s_waitcnt lgkmcnt(0)
	s_barrier
.LBB3082_6:
	s_andn2_b64 vcc, exec, s[2:3]
	s_cbranch_vccnz .LBB3082_28
; %bb.7:
	flat_load_dwordx2 v[2:3], v[36:37]
	v_cmp_gt_u32_e32 vcc, s22, v0
	s_waitcnt vmcnt(0) lgkmcnt(0)
	v_mov_b32_e32 v4, v2
	v_mov_b32_e32 v5, v3
	;; [unrolled: 1-line block ×16, first 2 shown]
	v_pk_mov_b32 v[34:35], v[30:31], v[30:31] op_sel:[0,1]
	v_pk_mov_b32 v[32:33], v[28:29], v[28:29] op_sel:[0,1]
	v_pk_mov_b32 v[30:31], v[26:27], v[26:27] op_sel:[0,1]
	v_pk_mov_b32 v[28:29], v[24:25], v[24:25] op_sel:[0,1]
	v_pk_mov_b32 v[26:27], v[22:23], v[22:23] op_sel:[0,1]
	v_pk_mov_b32 v[24:25], v[20:21], v[20:21] op_sel:[0,1]
	v_pk_mov_b32 v[22:23], v[18:19], v[18:19] op_sel:[0,1]
	v_pk_mov_b32 v[20:21], v[16:17], v[16:17] op_sel:[0,1]
	v_pk_mov_b32 v[18:19], v[14:15], v[14:15] op_sel:[0,1]
	v_pk_mov_b32 v[16:17], v[12:13], v[12:13] op_sel:[0,1]
	v_pk_mov_b32 v[14:15], v[10:11], v[10:11] op_sel:[0,1]
	v_pk_mov_b32 v[12:13], v[8:9], v[8:9] op_sel:[0,1]
	v_pk_mov_b32 v[10:11], v[6:7], v[6:7] op_sel:[0,1]
	v_pk_mov_b32 v[8:9], v[4:5], v[4:5] op_sel:[0,1]
	v_pk_mov_b32 v[6:7], v[2:3], v[2:3] op_sel:[0,1]
	v_pk_mov_b32 v[4:5], v[0:1], v[0:1] op_sel:[0,1]
	s_and_saveexec_b64 s[2:3], vcc
	s_cbranch_execz .LBB3082_9
; %bb.8:
	v_lshlrev_b32_e32 v1, 3, v0
	v_add_co_u32_e32 v4, vcc, v36, v1
	v_addc_co_u32_e32 v5, vcc, 0, v37, vcc
	flat_load_dwordx2 v[38:39], v[4:5]
	v_mov_b32_e32 v4, v2
	v_mov_b32_e32 v5, v3
	;; [unrolled: 1-line block ×16, first 2 shown]
	v_pk_mov_b32 v[34:35], v[30:31], v[30:31] op_sel:[0,1]
	v_pk_mov_b32 v[32:33], v[28:29], v[28:29] op_sel:[0,1]
	;; [unrolled: 1-line block ×16, first 2 shown]
	s_waitcnt vmcnt(0) lgkmcnt(0)
	v_pk_mov_b32 v[2:3], v[38:39], v[38:39] op_sel:[0,1]
.LBB3082_9:
	s_or_b64 exec, exec, s[2:3]
	v_or_b32_e32 v1, 0x80, v0
	v_cmp_gt_u32_e32 vcc, s22, v1
	s_and_saveexec_b64 s[2:3], vcc
	s_cbranch_execz .LBB3082_11
; %bb.10:
	v_lshlrev_b32_e32 v1, 3, v0
	v_add_co_u32_e32 v4, vcc, v36, v1
	v_addc_co_u32_e32 v5, vcc, 0, v37, vcc
	flat_load_dwordx2 v[6:7], v[4:5] offset:1024
.LBB3082_11:
	s_or_b64 exec, exec, s[2:3]
	v_or_b32_e32 v1, 0x100, v0
	v_cmp_gt_u32_e32 vcc, s22, v1
	s_and_saveexec_b64 s[2:3], vcc
	s_cbranch_execz .LBB3082_13
; %bb.12:
	v_lshlrev_b32_e32 v1, 3, v0
	v_add_co_u32_e32 v4, vcc, v36, v1
	v_addc_co_u32_e32 v5, vcc, 0, v37, vcc
	flat_load_dwordx2 v[8:9], v[4:5] offset:2048
.LBB3082_13:
	s_or_b64 exec, exec, s[2:3]
	v_or_b32_e32 v1, 0x180, v0
	v_cmp_gt_u32_e32 vcc, s22, v1
	s_and_saveexec_b64 s[2:3], vcc
	s_cbranch_execz .LBB3082_15
; %bb.14:
	v_lshlrev_b32_e32 v1, 3, v0
	v_add_co_u32_e32 v4, vcc, v36, v1
	v_addc_co_u32_e32 v5, vcc, 0, v37, vcc
	flat_load_dwordx2 v[10:11], v[4:5] offset:3072
.LBB3082_15:
	s_or_b64 exec, exec, s[2:3]
	v_or_b32_e32 v1, 0x200, v0
	v_cmp_gt_u32_e32 vcc, s22, v1
	s_and_saveexec_b64 s[2:3], vcc
	s_cbranch_execz .LBB3082_17
; %bb.16:
	v_lshlrev_b32_e32 v1, 3, v1
	v_add_co_u32_e32 v4, vcc, v36, v1
	v_addc_co_u32_e32 v5, vcc, 0, v37, vcc
	flat_load_dwordx2 v[12:13], v[4:5]
.LBB3082_17:
	s_or_b64 exec, exec, s[2:3]
	v_or_b32_e32 v1, 0x280, v0
	v_cmp_gt_u32_e32 vcc, s22, v1
	s_and_saveexec_b64 s[2:3], vcc
	s_cbranch_execz .LBB3082_19
; %bb.18:
	v_lshlrev_b32_e32 v1, 3, v1
	v_add_co_u32_e32 v4, vcc, v36, v1
	v_addc_co_u32_e32 v5, vcc, 0, v37, vcc
	flat_load_dwordx2 v[14:15], v[4:5]
.LBB3082_19:
	;; [unrolled: 11-line block ×6, first 2 shown]
	s_or_b64 exec, exec, s[2:3]
	v_lshlrev_b32_e32 v1, 3, v0
	s_waitcnt vmcnt(0) lgkmcnt(0)
	ds_write2st64_b64 v1, v[2:3], v[6:7] offset1:2
	ds_write2st64_b64 v1, v[8:9], v[10:11] offset0:4 offset1:6
	ds_write2st64_b64 v1, v[12:13], v[14:15] offset0:8 offset1:10
	;; [unrolled: 1-line block ×4, first 2 shown]
	s_waitcnt lgkmcnt(0)
	s_barrier
.LBB3082_28:
	v_mul_u32_u24_e32 v44, 10, v0
	v_lshlrev_b32_e32 v45, 3, v44
	ds_read_b128 v[14:17], v45
	ds_read_b128 v[10:13], v45 offset:16
	ds_read_b128 v[6:9], v45 offset:32
	;; [unrolled: 1-line block ×4, first 2 shown]
	s_cmp_lg_u32 s28, 0
	s_waitcnt lgkmcnt(4)
	v_cmp_lt_f64_e32 vcc, v[14:15], v[16:17]
	v_mbcnt_lo_u32_b32 v1, -1, 0
	s_waitcnt lgkmcnt(0)
	s_barrier
	s_cbranch_scc0 .LBB3082_89
; %bb.29:
	v_cndmask_b32_e32 v23, v15, v17, vcc
	v_cndmask_b32_e32 v22, v14, v16, vcc
	v_cmp_lt_f64_e32 vcc, v[22:23], v[10:11]
	v_cndmask_b32_e32 v23, v23, v11, vcc
	v_cndmask_b32_e32 v22, v22, v10, vcc
	v_cmp_lt_f64_e32 vcc, v[22:23], v[12:13]
	;; [unrolled: 3-line block ×8, first 2 shown]
	v_mbcnt_hi_u32_b32 v33, -1, v1
	v_cndmask_b32_e32 v23, v23, v21, vcc
	v_cndmask_b32_e32 v22, v22, v20, vcc
	v_and_b32_e32 v26, 15, v33
	v_mov_b32_dpp v25, v23 row_shr:1 row_mask:0xf bank_mask:0xf
	v_mov_b32_dpp v24, v22 row_shr:1 row_mask:0xf bank_mask:0xf
	v_cmp_ne_u32_e32 vcc, 0, v26
	s_and_saveexec_b64 s[2:3], vcc
; %bb.30:
	v_cmp_gt_f64_e32 vcc, v[22:23], v[24:25]
	v_cndmask_b32_e32 v23, v25, v23, vcc
	v_cndmask_b32_e32 v22, v24, v22, vcc
; %bb.31:
	s_or_b64 exec, exec, s[2:3]
	s_nop 0
	v_mov_b32_dpp v24, v22 row_shr:2 row_mask:0xf bank_mask:0xf
	v_mov_b32_dpp v25, v23 row_shr:2 row_mask:0xf bank_mask:0xf
	v_cmp_lt_u32_e32 vcc, 1, v26
	s_and_saveexec_b64 s[2:3], vcc
; %bb.32:
	v_cmp_gt_f64_e32 vcc, v[22:23], v[24:25]
	v_cndmask_b32_e32 v23, v25, v23, vcc
	v_cndmask_b32_e32 v22, v24, v22, vcc
; %bb.33:
	s_or_b64 exec, exec, s[2:3]
	s_nop 0
	v_mov_b32_dpp v24, v22 row_shr:4 row_mask:0xf bank_mask:0xf
	v_mov_b32_dpp v25, v23 row_shr:4 row_mask:0xf bank_mask:0xf
	v_cmp_lt_u32_e32 vcc, 3, v26
	;; [unrolled: 11-line block ×3, first 2 shown]
	s_and_saveexec_b64 s[2:3], vcc
; %bb.36:
	v_cmp_gt_f64_e32 vcc, v[22:23], v[24:25]
	v_cndmask_b32_e32 v23, v25, v23, vcc
	v_cndmask_b32_e32 v22, v24, v22, vcc
; %bb.37:
	s_or_b64 exec, exec, s[2:3]
	v_and_b32_e32 v26, 16, v33
	v_mov_b32_dpp v24, v22 row_bcast:15 row_mask:0xf bank_mask:0xf
	v_mov_b32_dpp v25, v23 row_bcast:15 row_mask:0xf bank_mask:0xf
	v_cmp_ne_u32_e32 vcc, 0, v26
	s_and_saveexec_b64 s[2:3], vcc
; %bb.38:
	v_cmp_gt_f64_e32 vcc, v[22:23], v[24:25]
	v_cndmask_b32_e32 v23, v25, v23, vcc
	v_cndmask_b32_e32 v22, v24, v22, vcc
; %bb.39:
	s_or_b64 exec, exec, s[2:3]
	s_nop 0
	v_mov_b32_dpp v24, v22 row_bcast:31 row_mask:0xf bank_mask:0xf
	v_mov_b32_dpp v25, v23 row_bcast:31 row_mask:0xf bank_mask:0xf
	v_cmp_gt_f64_e32 vcc, v[22:23], v[24:25]
	v_cndmask_b32_e32 v24, v24, v22, vcc
	v_cndmask_b32_e32 v25, v25, v23, vcc
	v_cmp_lt_u32_e32 vcc, 31, v33
	v_cndmask_b32_e32 v23, v23, v25, vcc
	v_or_b32_e32 v25, 63, v0
	v_cndmask_b32_e32 v22, v22, v24, vcc
	v_lshrrev_b32_e32 v24, 6, v0
	v_cmp_eq_u32_e32 vcc, v25, v0
	s_and_saveexec_b64 s[2:3], vcc
	s_cbranch_execz .LBB3082_41
; %bb.40:
	v_lshlrev_b32_e32 v25, 3, v24
	ds_write_b64 v25, v[22:23]
.LBB3082_41:
	s_or_b64 exec, exec, s[2:3]
	v_cmp_gt_u32_e32 vcc, 2, v0
	s_waitcnt lgkmcnt(0)
	s_barrier
	s_and_saveexec_b64 s[4:5], vcc
	s_cbranch_execz .LBB3082_43
; %bb.42:
	v_lshlrev_b32_e32 v25, 3, v0
	ds_read_b64 v[26:27], v25
	v_and_b32_e32 v28, 1, v33
	v_cmp_eq_u32_e32 vcc, 0, v28
	s_waitcnt lgkmcnt(0)
	v_mov_b32_dpp v30, v27 row_shr:1 row_mask:0xf bank_mask:0xf
	v_mov_b32_dpp v28, v26 row_shr:1 row_mask:0xf bank_mask:0xf
	v_mov_b32_e32 v29, v30
	v_cmp_gt_f64_e64 s[2:3], v[26:27], v[28:29]
	s_or_b64 vcc, vcc, s[2:3]
	v_cndmask_b32_e32 v27, v30, v27, vcc
	v_cndmask_b32_e32 v26, v28, v26, vcc
	ds_write_b64 v25, v[26:27]
.LBB3082_43:
	s_or_b64 exec, exec, s[4:5]
	v_cmp_gt_u32_e32 vcc, 64, v0
	v_cmp_lt_u32_e64 s[2:3], 63, v0
	s_waitcnt lgkmcnt(0)
	s_barrier
	s_waitcnt lgkmcnt(0)
                                        ; implicit-def: $vgpr30_vgpr31
	s_and_saveexec_b64 s[4:5], s[2:3]
	s_cbranch_execz .LBB3082_45
; %bb.44:
	v_lshl_add_u32 v24, v24, 3, -8
	ds_read_b64 v[30:31], v24
	s_waitcnt lgkmcnt(0)
	v_cmp_lt_f64_e64 s[2:3], v[30:31], v[22:23]
	v_cndmask_b32_e64 v23, v31, v23, s[2:3]
	v_cndmask_b32_e64 v22, v30, v22, s[2:3]
.LBB3082_45:
	s_or_b64 exec, exec, s[4:5]
	v_add_u32_e32 v24, -1, v33
	v_and_b32_e32 v25, 64, v33
	v_cmp_lt_i32_e64 s[2:3], v24, v25
	v_cndmask_b32_e64 v24, v24, v33, s[2:3]
	v_lshlrev_b32_e32 v24, 2, v24
	ds_bpermute_b32 v38, v24, v22
	ds_bpermute_b32 v39, v24, v23
	v_cmp_eq_u32_e64 s[2:3], 0, v33
	s_and_saveexec_b64 s[16:17], vcc
	s_cbranch_execz .LBB3082_88
; %bb.46:
	v_mov_b32_e32 v25, 0
	ds_read_b64 v[22:23], v25 offset:8
	s_and_saveexec_b64 s[4:5], s[2:3]
	s_cbranch_execz .LBB3082_48
; %bb.47:
	s_add_i32 s20, s28, 64
	s_mov_b32 s21, 0
	s_lshl_b64 s[20:21], s[20:21], 4
	s_add_u32 s20, s24, s20
	s_addc_u32 s21, s25, s21
	v_mov_b32_e32 v24, 1
	v_pk_mov_b32 v[26:27], s[20:21], s[20:21] op_sel:[0,1]
	s_waitcnt lgkmcnt(0)
	;;#ASMSTART
	global_store_dwordx4 v[26:27], v[22:25] off	
s_waitcnt vmcnt(0)
	;;#ASMEND
.LBB3082_48:
	s_or_b64 exec, exec, s[4:5]
	v_xad_u32 v32, v33, -1, s28
	v_add_u32_e32 v24, 64, v32
	v_lshlrev_b64 v[26:27], 4, v[24:25]
	v_mov_b32_e32 v24, s25
	v_add_co_u32_e32 v34, vcc, s24, v26
	v_addc_co_u32_e32 v35, vcc, v24, v27, vcc
	;;#ASMSTART
	global_load_dwordx4 v[26:29], v[34:35] off glc	
s_waitcnt vmcnt(0)
	;;#ASMEND
	v_and_b32_e32 v24, 0xff, v27
	v_and_b32_e32 v29, 0xff00, v27
	v_or3_b32 v24, 0, v24, v29
	v_or3_b32 v26, v26, 0, 0
	v_and_b32_e32 v29, 0xff000000, v27
	v_and_b32_e32 v27, 0xff0000, v27
	v_or3_b32 v27, v24, v27, v29
	v_or3_b32 v26, v26, 0, 0
	v_cmp_eq_u16_sdwa s[20:21], v28, v25 src0_sel:BYTE_0 src1_sel:DWORD
	s_and_saveexec_b64 s[4:5], s[20:21]
	s_cbranch_execz .LBB3082_54
; %bb.49:
	s_mov_b32 s29, 1
	s_mov_b64 s[20:21], 0
	v_mov_b32_e32 v24, 0
.LBB3082_50:                            ; =>This Loop Header: Depth=1
                                        ;     Child Loop BB3082_51 Depth 2
	s_max_u32 s30, s29, 1
.LBB3082_51:                            ;   Parent Loop BB3082_50 Depth=1
                                        ; =>  This Inner Loop Header: Depth=2
	s_add_i32 s30, s30, -1
	s_cmp_eq_u32 s30, 0
	s_sleep 1
	s_cbranch_scc0 .LBB3082_51
; %bb.52:                               ;   in Loop: Header=BB3082_50 Depth=1
	s_cmp_lt_u32 s29, 32
	s_cselect_b64 s[30:31], -1, 0
	s_cmp_lg_u64 s[30:31], 0
	s_addc_u32 s29, s29, 0
	;;#ASMSTART
	global_load_dwordx4 v[26:29], v[34:35] off glc	
s_waitcnt vmcnt(0)
	;;#ASMEND
	v_cmp_ne_u16_sdwa s[30:31], v28, v24 src0_sel:BYTE_0 src1_sel:DWORD
	s_or_b64 s[20:21], s[30:31], s[20:21]
	s_andn2_b64 exec, exec, s[20:21]
	s_cbranch_execnz .LBB3082_50
; %bb.53:
	s_or_b64 exec, exec, s[20:21]
.LBB3082_54:
	s_or_b64 exec, exec, s[4:5]
	v_and_b32_e32 v40, 63, v33
	v_mov_b32_e32 v24, 2
	v_cmp_ne_u32_e32 vcc, 63, v40
	v_cmp_eq_u16_sdwa s[4:5], v28, v24 src0_sel:BYTE_0 src1_sel:DWORD
	v_lshlrev_b64 v[24:25], v33, -1
	v_addc_co_u32_e32 v34, vcc, 0, v33, vcc
	v_and_b32_e32 v29, s5, v25
	v_lshlrev_b32_e32 v41, 2, v34
	v_or_b32_e32 v29, 0x80000000, v29
	ds_bpermute_b32 v34, v41, v26
	ds_bpermute_b32 v35, v41, v27
	v_and_b32_e32 v36, s4, v24
	v_ffbl_b32_e32 v29, v29
	v_add_u32_e32 v29, 32, v29
	v_ffbl_b32_e32 v36, v36
	v_min_u32_e32 v29, v36, v29
	v_cmp_lt_u32_e32 vcc, v40, v29
	s_and_saveexec_b64 s[4:5], vcc
	s_cbranch_execz .LBB3082_56
; %bb.55:
	s_waitcnt lgkmcnt(0)
	v_cmp_lt_f64_e32 vcc, v[34:35], v[26:27]
	v_cndmask_b32_e32 v27, v35, v27, vcc
	v_cndmask_b32_e32 v26, v34, v26, vcc
.LBB3082_56:
	s_or_b64 exec, exec, s[4:5]
	v_cmp_gt_u32_e32 vcc, 62, v40
	s_waitcnt lgkmcnt(1)
	v_cndmask_b32_e64 v34, 0, 1, vcc
	v_lshlrev_b32_e32 v34, 1, v34
	v_add_lshl_u32 v42, v34, v33, 2
	ds_bpermute_b32 v34, v42, v26
	s_waitcnt lgkmcnt(1)
	ds_bpermute_b32 v35, v42, v27
	v_add_u32_e32 v43, 2, v40
	v_cmp_le_u32_e32 vcc, v43, v29
	s_and_saveexec_b64 s[4:5], vcc
	s_cbranch_execz .LBB3082_58
; %bb.57:
	s_waitcnt lgkmcnt(0)
	v_cmp_gt_f64_e32 vcc, v[26:27], v[34:35]
	v_cndmask_b32_e32 v27, v35, v27, vcc
	v_cndmask_b32_e32 v26, v34, v26, vcc
.LBB3082_58:
	s_or_b64 exec, exec, s[4:5]
	v_cmp_gt_u32_e32 vcc, 60, v40
	s_waitcnt lgkmcnt(1)
	v_cndmask_b32_e64 v34, 0, 1, vcc
	v_lshlrev_b32_e32 v34, 2, v34
	v_add_lshl_u32 v46, v34, v33, 2
	ds_bpermute_b32 v34, v46, v26
	s_waitcnt lgkmcnt(1)
	ds_bpermute_b32 v35, v46, v27
	v_add_u32_e32 v47, 4, v40
	v_cmp_le_u32_e32 vcc, v47, v29
	s_and_saveexec_b64 s[4:5], vcc
	s_cbranch_execz .LBB3082_60
; %bb.59:
	s_waitcnt lgkmcnt(0)
	v_cmp_gt_f64_e32 vcc, v[26:27], v[34:35]
	v_cndmask_b32_e32 v27, v35, v27, vcc
	v_cndmask_b32_e32 v26, v34, v26, vcc
.LBB3082_60:
	;; [unrolled: 19-line block ×4, first 2 shown]
	s_or_b64 exec, exec, s[4:5]
	v_cmp_gt_u32_e32 vcc, 32, v40
	s_waitcnt lgkmcnt(1)
	v_cndmask_b32_e64 v34, 0, 1, vcc
	v_lshlrev_b32_e32 v34, 5, v34
	v_add_lshl_u32 v52, v34, v33, 2
	ds_bpermute_b32 v34, v52, v27
	ds_bpermute_b32 v36, v52, v26
	v_add_u32_e32 v53, 32, v40
	v_cmp_gt_u32_e32 vcc, v53, v29
	v_mov_b32_e32 v33, 0
	s_waitcnt lgkmcnt(1)
	v_mov_b32_e32 v37, v34
	s_waitcnt lgkmcnt(0)
	v_cmp_gt_f64_e64 s[4:5], v[26:27], v[36:37]
	s_or_b64 vcc, vcc, s[4:5]
	v_cndmask_b32_e32 v27, v34, v27, vcc
	v_cndmask_b32_e32 v26, v36, v26, vcc
	v_mov_b32_e32 v54, 2
	s_branch .LBB3082_66
.LBB3082_65:                            ;   in Loop: Header=BB3082_66 Depth=1
	s_or_b64 exec, exec, s[4:5]
	s_waitcnt lgkmcnt(1)
	ds_bpermute_b32 v36, v52, v27
	ds_bpermute_b32 v56, v52, v26
	v_cmp_gt_u32_e32 vcc, v53, v29
	v_subrev_u32_e32 v32, 64, v32
	s_waitcnt lgkmcnt(1)
	v_mov_b32_e32 v57, v36
	s_waitcnt lgkmcnt(0)
	v_cmp_gt_f64_e64 s[4:5], v[26:27], v[56:57]
	s_or_b64 vcc, vcc, s[4:5]
	v_cndmask_b32_e32 v27, v36, v27, vcc
	v_cndmask_b32_e32 v26, v56, v26, vcc
	v_cmp_lt_f64_e32 vcc, v[26:27], v[34:35]
	v_cndmask_b32_e32 v27, v27, v35, vcc
	v_cndmask_b32_e32 v26, v26, v34, vcc
.LBB3082_66:                            ; =>This Loop Header: Depth=1
                                        ;     Child Loop BB3082_69 Depth 2
                                        ;       Child Loop BB3082_70 Depth 3
	v_cmp_ne_u16_sdwa s[4:5], v28, v54 src0_sel:BYTE_0 src1_sel:DWORD
	v_cndmask_b32_e64 v28, 0, 1, s[4:5]
	;;#ASMSTART
	;;#ASMEND
	v_cmp_ne_u32_e32 vcc, 0, v28
	s_cmp_lg_u64 vcc, exec
	v_pk_mov_b32 v[34:35], v[26:27], v[26:27] op_sel:[0,1]
	s_cbranch_scc1 .LBB3082_83
; %bb.67:                               ;   in Loop: Header=BB3082_66 Depth=1
	v_lshlrev_b64 v[26:27], 4, v[32:33]
	v_mov_b32_e32 v28, s25
	v_add_co_u32_e32 v36, vcc, s24, v26
	v_addc_co_u32_e32 v37, vcc, v28, v27, vcc
	;;#ASMSTART
	global_load_dwordx4 v[26:29], v[36:37] off glc	
s_waitcnt vmcnt(0)
	;;#ASMEND
	v_and_b32_e32 v29, 0xff, v27
	v_and_b32_e32 v55, 0xff00, v27
	v_or3_b32 v29, 0, v29, v55
	v_or3_b32 v26, v26, 0, 0
	v_and_b32_e32 v55, 0xff000000, v27
	v_and_b32_e32 v27, 0xff0000, v27
	v_or3_b32 v27, v29, v27, v55
	v_or3_b32 v26, v26, 0, 0
	v_cmp_eq_u16_sdwa s[20:21], v28, v33 src0_sel:BYTE_0 src1_sel:DWORD
	s_and_saveexec_b64 s[4:5], s[20:21]
	s_cbranch_execz .LBB3082_73
; %bb.68:                               ;   in Loop: Header=BB3082_66 Depth=1
	s_mov_b32 s29, 1
	s_mov_b64 s[20:21], 0
.LBB3082_69:                            ;   Parent Loop BB3082_66 Depth=1
                                        ; =>  This Loop Header: Depth=2
                                        ;       Child Loop BB3082_70 Depth 3
	s_max_u32 s30, s29, 1
.LBB3082_70:                            ;   Parent Loop BB3082_66 Depth=1
                                        ;     Parent Loop BB3082_69 Depth=2
                                        ; =>    This Inner Loop Header: Depth=3
	s_add_i32 s30, s30, -1
	s_cmp_eq_u32 s30, 0
	s_sleep 1
	s_cbranch_scc0 .LBB3082_70
; %bb.71:                               ;   in Loop: Header=BB3082_69 Depth=2
	s_cmp_lt_u32 s29, 32
	s_cselect_b64 s[30:31], -1, 0
	s_cmp_lg_u64 s[30:31], 0
	s_addc_u32 s29, s29, 0
	;;#ASMSTART
	global_load_dwordx4 v[26:29], v[36:37] off glc	
s_waitcnt vmcnt(0)
	;;#ASMEND
	v_cmp_ne_u16_sdwa s[30:31], v28, v33 src0_sel:BYTE_0 src1_sel:DWORD
	s_or_b64 s[20:21], s[30:31], s[20:21]
	s_andn2_b64 exec, exec, s[20:21]
	s_cbranch_execnz .LBB3082_69
; %bb.72:                               ;   in Loop: Header=BB3082_66 Depth=1
	s_or_b64 exec, exec, s[20:21]
.LBB3082_73:                            ;   in Loop: Header=BB3082_66 Depth=1
	s_or_b64 exec, exec, s[4:5]
	v_cmp_eq_u16_sdwa s[4:5], v28, v54 src0_sel:BYTE_0 src1_sel:DWORD
	v_and_b32_e32 v29, s5, v25
	v_or_b32_e32 v29, 0x80000000, v29
	ds_bpermute_b32 v36, v41, v26
	ds_bpermute_b32 v37, v41, v27
	v_and_b32_e32 v55, s4, v24
	v_ffbl_b32_e32 v29, v29
	v_add_u32_e32 v29, 32, v29
	v_ffbl_b32_e32 v55, v55
	v_min_u32_e32 v29, v55, v29
	v_cmp_lt_u32_e32 vcc, v40, v29
	s_and_saveexec_b64 s[4:5], vcc
	s_cbranch_execz .LBB3082_75
; %bb.74:                               ;   in Loop: Header=BB3082_66 Depth=1
	s_waitcnt lgkmcnt(0)
	v_cmp_lt_f64_e32 vcc, v[36:37], v[26:27]
	v_cndmask_b32_e32 v27, v37, v27, vcc
	v_cndmask_b32_e32 v26, v36, v26, vcc
.LBB3082_75:                            ;   in Loop: Header=BB3082_66 Depth=1
	s_or_b64 exec, exec, s[4:5]
	s_waitcnt lgkmcnt(1)
	ds_bpermute_b32 v36, v42, v26
	s_waitcnt lgkmcnt(1)
	ds_bpermute_b32 v37, v42, v27
	v_cmp_le_u32_e32 vcc, v43, v29
	s_and_saveexec_b64 s[4:5], vcc
	s_cbranch_execz .LBB3082_77
; %bb.76:                               ;   in Loop: Header=BB3082_66 Depth=1
	s_waitcnt lgkmcnt(0)
	v_cmp_gt_f64_e32 vcc, v[26:27], v[36:37]
	v_cndmask_b32_e32 v27, v37, v27, vcc
	v_cndmask_b32_e32 v26, v36, v26, vcc
.LBB3082_77:                            ;   in Loop: Header=BB3082_66 Depth=1
	s_or_b64 exec, exec, s[4:5]
	s_waitcnt lgkmcnt(1)
	ds_bpermute_b32 v36, v46, v26
	s_waitcnt lgkmcnt(1)
	ds_bpermute_b32 v37, v46, v27
	v_cmp_le_u32_e32 vcc, v47, v29
	s_and_saveexec_b64 s[4:5], vcc
	s_cbranch_execz .LBB3082_79
; %bb.78:                               ;   in Loop: Header=BB3082_66 Depth=1
	s_waitcnt lgkmcnt(0)
	v_cmp_gt_f64_e32 vcc, v[26:27], v[36:37]
	v_cndmask_b32_e32 v27, v37, v27, vcc
	v_cndmask_b32_e32 v26, v36, v26, vcc
.LBB3082_79:                            ;   in Loop: Header=BB3082_66 Depth=1
	;; [unrolled: 14-line block ×3, first 2 shown]
	s_or_b64 exec, exec, s[4:5]
	s_waitcnt lgkmcnt(1)
	ds_bpermute_b32 v36, v50, v26
	s_waitcnt lgkmcnt(1)
	ds_bpermute_b32 v37, v50, v27
	v_cmp_le_u32_e32 vcc, v51, v29
	s_and_saveexec_b64 s[4:5], vcc
	s_cbranch_execz .LBB3082_65
; %bb.82:                               ;   in Loop: Header=BB3082_66 Depth=1
	s_waitcnt lgkmcnt(0)
	v_cmp_gt_f64_e32 vcc, v[26:27], v[36:37]
	v_cndmask_b32_e32 v27, v37, v27, vcc
	v_cndmask_b32_e32 v26, v36, v26, vcc
	s_branch .LBB3082_65
.LBB3082_83:                            ;   in Loop: Header=BB3082_66 Depth=1
                                        ; implicit-def: $vgpr26_vgpr27
                                        ; implicit-def: $vgpr28
	s_cbranch_execz .LBB3082_66
; %bb.84:
	s_and_saveexec_b64 s[4:5], s[2:3]
	s_cbranch_execz .LBB3082_86
; %bb.85:
	s_add_i32 s20, s28, 64
	s_mov_b32 s21, 0
	s_lshl_b64 s[20:21], s[20:21], 4
	s_add_u32 s20, s24, s20
	v_cmp_lt_f64_e32 vcc, v[34:35], v[22:23]
	s_addc_u32 s21, s25, s21
	v_cndmask_b32_e32 v23, v35, v23, vcc
	v_cndmask_b32_e32 v22, v34, v22, vcc
	v_mov_b32_e32 v24, 2
	v_mov_b32_e32 v25, 0
	v_pk_mov_b32 v[26:27], s[20:21], s[20:21] op_sel:[0,1]
	;;#ASMSTART
	global_store_dwordx4 v[26:27], v[22:25] off	
s_waitcnt vmcnt(0)
	;;#ASMEND
.LBB3082_86:
	s_or_b64 exec, exec, s[4:5]
	s_and_b64 exec, exec, s[0:1]
	s_cbranch_execz .LBB3082_88
; %bb.87:
	v_mov_b32_e32 v22, 0
	ds_write_b64 v22, v[34:35] offset:8
.LBB3082_88:
	s_or_b64 exec, exec, s[16:17]
	v_mov_b32_e32 v22, 0
	s_waitcnt lgkmcnt(0)
	s_barrier
	ds_read_b64 v[22:23], v22 offset:8
	v_cndmask_b32_e64 v25, v39, v31, s[2:3]
	v_cndmask_b32_e64 v24, v38, v30, s[2:3]
	s_waitcnt lgkmcnt(0)
	v_cmp_lt_f64_e32 vcc, v[22:23], v[24:25]
	v_cndmask_b32_e32 v24, v22, v24, vcc
	v_cndmask_b32_e32 v25, v23, v25, vcc
	v_cndmask_b32_e64 v23, v25, v23, s[0:1]
	v_cndmask_b32_e64 v22, v24, v22, s[0:1]
	v_cmp_lt_f64_e32 vcc, v[22:23], v[14:15]
	v_cndmask_b32_e32 v25, v23, v15, vcc
	v_cndmask_b32_e32 v24, v22, v14, vcc
	v_cmp_lt_f64_e32 vcc, v[24:25], v[16:17]
	v_cndmask_b32_e32 v27, v25, v17, vcc
	v_cndmask_b32_e32 v26, v24, v16, vcc
	;; [unrolled: 3-line block ×9, first 2 shown]
	s_branch .LBB3082_111
.LBB3082_89:
                                        ; implicit-def: $vgpr40_vgpr41
                                        ; implicit-def: $vgpr36_vgpr37
                                        ; implicit-def: $vgpr32_vgpr33
                                        ; implicit-def: $vgpr28_vgpr29
                                        ; implicit-def: $vgpr24_vgpr25
	s_cbranch_execz .LBB3082_111
; %bb.90:
	s_cmp_eq_u64 s[12:13], 0
	v_pk_mov_b32 v[42:43], s[18:19], s[18:19] op_sel:[0,1]
	s_cbranch_scc1 .LBB3082_92
; %bb.91:
	v_mov_b32_e32 v25, s27
	v_add_co_u32_e64 v24, vcc, -8, s26
	v_mov_b32_e32 v22, 0
	v_addc_co_u32_e32 v25, vcc, -1, v25, vcc
	global_load_dwordx2 v[22:23], v22, s[8:9]
	s_nop 0
	flat_load_dwordx2 v[24:25], v[24:25]
	s_waitcnt vmcnt(0) lgkmcnt(0)
	v_cmp_lt_f64_e32 vcc, v[22:23], v[24:25]
	v_cndmask_b32_e32 v43, v23, v25, vcc
	v_cndmask_b32_e32 v42, v22, v24, vcc
.LBB3082_92:
	v_cmp_lt_f64_e32 vcc, v[14:15], v[16:17]
	v_cndmask_b32_e32 v23, v15, v17, vcc
	v_cndmask_b32_e32 v22, v14, v16, vcc
	v_cmp_lt_f64_e32 vcc, v[22:23], v[10:11]
	v_cndmask_b32_e32 v23, v23, v11, vcc
	v_cndmask_b32_e32 v22, v22, v10, vcc
	;; [unrolled: 3-line block ×8, first 2 shown]
	v_cmp_lt_f64_e32 vcc, v[22:23], v[20:21]
	v_mbcnt_hi_u32_b32 v1, -1, v1
	v_cndmask_b32_e32 v21, v23, v21, vcc
	v_cndmask_b32_e32 v20, v22, v20, vcc
	v_and_b32_e32 v24, 15, v1
	v_mov_b32_dpp v23, v21 row_shr:1 row_mask:0xf bank_mask:0xf
	v_mov_b32_dpp v22, v20 row_shr:1 row_mask:0xf bank_mask:0xf
	v_cmp_ne_u32_e32 vcc, 0, v24
	s_and_saveexec_b64 s[2:3], vcc
; %bb.93:
	v_cmp_gt_f64_e32 vcc, v[20:21], v[22:23]
	v_cndmask_b32_e32 v21, v23, v21, vcc
	v_cndmask_b32_e32 v20, v22, v20, vcc
; %bb.94:
	s_or_b64 exec, exec, s[2:3]
	s_nop 0
	v_mov_b32_dpp v22, v20 row_shr:2 row_mask:0xf bank_mask:0xf
	v_mov_b32_dpp v23, v21 row_shr:2 row_mask:0xf bank_mask:0xf
	v_cmp_lt_u32_e32 vcc, 1, v24
	s_and_saveexec_b64 s[2:3], vcc
; %bb.95:
	v_cmp_gt_f64_e32 vcc, v[20:21], v[22:23]
	v_cndmask_b32_e32 v21, v23, v21, vcc
	v_cndmask_b32_e32 v20, v22, v20, vcc
; %bb.96:
	s_or_b64 exec, exec, s[2:3]
	s_nop 0
	v_mov_b32_dpp v22, v20 row_shr:4 row_mask:0xf bank_mask:0xf
	v_mov_b32_dpp v23, v21 row_shr:4 row_mask:0xf bank_mask:0xf
	v_cmp_lt_u32_e32 vcc, 3, v24
	;; [unrolled: 11-line block ×3, first 2 shown]
	s_and_saveexec_b64 s[2:3], vcc
; %bb.99:
	v_cmp_gt_f64_e32 vcc, v[20:21], v[22:23]
	v_cndmask_b32_e32 v21, v23, v21, vcc
	v_cndmask_b32_e32 v20, v22, v20, vcc
; %bb.100:
	s_or_b64 exec, exec, s[2:3]
	v_and_b32_e32 v24, 16, v1
	v_mov_b32_dpp v22, v20 row_bcast:15 row_mask:0xf bank_mask:0xf
	v_mov_b32_dpp v23, v21 row_bcast:15 row_mask:0xf bank_mask:0xf
	v_cmp_ne_u32_e32 vcc, 0, v24
	s_and_saveexec_b64 s[2:3], vcc
; %bb.101:
	v_cmp_gt_f64_e32 vcc, v[20:21], v[22:23]
	v_cndmask_b32_e32 v21, v23, v21, vcc
	v_cndmask_b32_e32 v20, v22, v20, vcc
; %bb.102:
	s_or_b64 exec, exec, s[2:3]
	s_nop 0
	v_mov_b32_dpp v22, v20 row_bcast:31 row_mask:0xf bank_mask:0xf
	v_mov_b32_dpp v23, v21 row_bcast:31 row_mask:0xf bank_mask:0xf
	v_cmp_gt_f64_e32 vcc, v[20:21], v[22:23]
	v_cndmask_b32_e32 v22, v22, v20, vcc
	v_cndmask_b32_e32 v23, v23, v21, vcc
	v_cmp_lt_u32_e32 vcc, 31, v1
	v_cndmask_b32_e32 v20, v20, v22, vcc
	v_or_b32_e32 v22, 63, v0
	v_cndmask_b32_e32 v21, v21, v23, vcc
	v_lshrrev_b32_e32 v24, 6, v0
	v_cmp_eq_u32_e32 vcc, v22, v0
	s_and_saveexec_b64 s[2:3], vcc
	s_cbranch_execz .LBB3082_104
; %bb.103:
	v_lshlrev_b32_e32 v22, 3, v24
	ds_write_b64 v22, v[20:21]
.LBB3082_104:
	s_or_b64 exec, exec, s[2:3]
	v_cmp_gt_u32_e32 vcc, 2, v0
	s_waitcnt lgkmcnt(0)
	s_barrier
	s_and_saveexec_b64 s[4:5], vcc
	s_cbranch_execz .LBB3082_106
; %bb.105:
	s_movk_i32 s2, 0xffb8
	v_mad_i32_i24 v25, v0, s2, v45
	ds_read_b64 v[22:23], v25
	v_and_b32_e32 v26, 1, v1
	v_cmp_eq_u32_e32 vcc, 0, v26
	s_waitcnt lgkmcnt(0)
	v_mov_b32_dpp v28, v23 row_shr:1 row_mask:0xf bank_mask:0xf
	v_mov_b32_dpp v26, v22 row_shr:1 row_mask:0xf bank_mask:0xf
	v_mov_b32_e32 v27, v28
	v_cmp_gt_f64_e64 s[2:3], v[22:23], v[26:27]
	s_or_b64 vcc, vcc, s[2:3]
	v_cndmask_b32_e32 v23, v28, v23, vcc
	v_cndmask_b32_e32 v22, v26, v22, vcc
	ds_write_b64 v25, v[22:23]
.LBB3082_106:
	s_or_b64 exec, exec, s[4:5]
	v_cmp_lt_u32_e32 vcc, 63, v0
	v_pk_mov_b32 v[22:23], v[42:43], v[42:43] op_sel:[0,1]
	s_waitcnt lgkmcnt(0)
	s_barrier
	s_and_saveexec_b64 s[2:3], vcc
	s_cbranch_execz .LBB3082_108
; %bb.107:
	v_lshl_add_u32 v22, v24, 3, -8
	ds_read_b64 v[22:23], v22
	s_waitcnt lgkmcnt(0)
	v_cmp_gt_f64_e32 vcc, v[22:23], v[42:43]
	v_cndmask_b32_e32 v23, v43, v23, vcc
	v_cndmask_b32_e32 v22, v42, v22, vcc
.LBB3082_108:
	s_or_b64 exec, exec, s[2:3]
	v_cmp_lt_f64_e32 vcc, v[22:23], v[20:21]
	v_add_u32_e32 v24, -1, v1
	v_and_b32_e32 v25, 64, v1
	v_cndmask_b32_e32 v21, v23, v21, vcc
	v_cndmask_b32_e32 v20, v22, v20, vcc
	v_cmp_lt_i32_e32 vcc, v24, v25
	v_cndmask_b32_e32 v24, v24, v1, vcc
	v_lshlrev_b32_e32 v24, 2, v24
	ds_bpermute_b32 v20, v24, v20
	ds_bpermute_b32 v21, v24, v21
	v_cmp_eq_u32_e32 vcc, 0, v1
	s_waitcnt lgkmcnt(1)
	v_cndmask_b32_e32 v1, v20, v22, vcc
	s_waitcnt lgkmcnt(0)
	v_cndmask_b32_e32 v20, v21, v23, vcc
	v_cndmask_b32_e64 v23, v20, v43, s[0:1]
	v_cndmask_b32_e64 v22, v1, v42, s[0:1]
	v_cmp_lt_f64_e32 vcc, v[22:23], v[14:15]
	v_cndmask_b32_e32 v25, v23, v15, vcc
	v_cndmask_b32_e32 v24, v22, v14, vcc
	v_cmp_lt_f64_e32 vcc, v[24:25], v[16:17]
	v_cndmask_b32_e32 v27, v25, v17, vcc
	v_cndmask_b32_e32 v26, v24, v16, vcc
	;; [unrolled: 3-line block ×9, first 2 shown]
	s_and_saveexec_b64 s[2:3], s[0:1]
	s_cbranch_execz .LBB3082_110
; %bb.109:
	v_mov_b32_e32 v5, 0
	ds_read_b64 v[2:3], v5 offset:8
	s_add_u32 s0, s24, 0x400
	s_addc_u32 s1, s25, 0
	v_mov_b32_e32 v4, 2
	v_pk_mov_b32 v[6:7], s[0:1], s[0:1] op_sel:[0,1]
	s_waitcnt lgkmcnt(0)
	v_cmp_gt_f64_e32 vcc, v[2:3], v[42:43]
	v_cndmask_b32_e32 v3, v43, v3, vcc
	v_cndmask_b32_e32 v2, v42, v2, vcc
	;;#ASMSTART
	global_store_dwordx4 v[6:7], v[2:5] off	
s_waitcnt vmcnt(0)
	;;#ASMEND
.LBB3082_110:
	s_or_b64 exec, exec, s[2:3]
.LBB3082_111:
	s_mov_b64 s[0:1], -1
	s_and_b64 vcc, exec, s[6:7]
	s_barrier
	ds_write_b128 v45, v[22:25]
	ds_write_b128 v45, v[26:29] offset:16
	ds_write_b128 v45, v[30:33] offset:32
	;; [unrolled: 1-line block ×4, first 2 shown]
	s_waitcnt lgkmcnt(0)
	s_cbranch_vccz .LBB3082_113
; %bb.112:
	s_barrier
	s_mov_b64 s[0:1], 0
.LBB3082_113:
	s_andn2_b64 vcc, exec, s[0:1]
	s_cbranch_vccnz .LBB3082_149
; %bb.114:
	v_cmp_lt_u64_e64 s[0:1], s[14:15], 2
	s_and_b64 vcc, exec, s[0:1]
	s_barrier
	s_cbranch_vccnz .LBB3082_149
; %bb.115:
	s_add_u32 s0, s22, -1
	s_addc_u32 s1, s23, -1
	s_add_u32 s2, 0, 0x99986000
	s_addc_u32 s3, 0, 0x59
	s_add_i32 s3, s3, 0x19999940
	s_mul_hi_u32 s7, s2, -10
	s_sub_i32 s7, s7, s2
	s_mul_i32 s8, s3, -10
	s_mul_i32 s4, s2, -10
	s_add_i32 s7, s7, s8
	s_mul_hi_u32 s5, s3, s4
	s_mul_i32 s6, s3, s4
	s_mul_i32 s9, s2, s7
	s_mul_hi_u32 s4, s2, s4
	s_mul_hi_u32 s8, s2, s7
	s_add_u32 s4, s4, s9
	s_addc_u32 s8, 0, s8
	s_add_u32 s4, s4, s6
	s_mul_hi_u32 s9, s3, s7
	s_addc_u32 s4, s8, s5
	s_addc_u32 s5, s9, 0
	s_mul_i32 s6, s3, s7
	s_add_u32 s4, s4, s6
	v_mov_b32_e32 v2, s4
	s_addc_u32 s5, 0, s5
	v_add_co_u32_e32 v2, vcc, s2, v2
	s_cmp_lg_u64 vcc, 0
	s_addc_u32 s2, s3, s5
	v_readfirstlane_b32 s5, v2
	s_mul_i32 s4, s0, s2
	s_mul_hi_u32 s6, s0, s5
	s_mul_hi_u32 s3, s0, s2
	s_add_u32 s4, s6, s4
	s_addc_u32 s3, 0, s3
	s_mul_hi_u32 s7, s1, s5
	s_mul_i32 s5, s1, s5
	s_add_u32 s4, s4, s5
	s_mul_hi_u32 s6, s1, s2
	s_addc_u32 s3, s3, s7
	s_addc_u32 s4, s6, 0
	s_mul_i32 s2, s1, s2
	s_add_u32 s2, s3, s2
	s_addc_u32 s3, 0, s4
	s_add_u32 s4, s2, 1
	s_addc_u32 s5, s3, 0
	s_add_u32 s6, s2, 2
	s_mul_i32 s8, s3, 10
	s_mul_hi_u32 s9, s2, 10
	s_addc_u32 s7, s3, 0
	s_add_i32 s9, s9, s8
	s_mul_i32 s8, s2, 10
	v_mov_b32_e32 v2, s8
	v_sub_co_u32_e32 v2, vcc, s0, v2
	s_cmp_lg_u64 vcc, 0
	s_subb_u32 s8, s1, s9
	v_subrev_co_u32_e32 v3, vcc, 10, v2
	s_cmp_lg_u64 vcc, 0
	s_subb_u32 s9, s8, 0
	v_readfirstlane_b32 s12, v3
	s_cmp_gt_u32 s12, 9
	s_cselect_b32 s12, -1, 0
	s_cmp_eq_u32 s9, 0
	s_cselect_b32 s9, s12, -1
	s_cmp_lg_u32 s9, 0
	s_cselect_b32 s4, s6, s4
	v_readfirstlane_b32 s6, v2
	s_cselect_b32 s5, s7, s5
	s_cmp_gt_u32 s6, 9
	s_cselect_b32 s6, -1, 0
	s_cmp_eq_u32 s8, 0
	s_cselect_b32 s6, s6, -1
	s_cmp_lg_u32 s6, 0
	v_mov_b32_e32 v1, 0
	s_cselect_b32 s3, s5, s3
	s_cselect_b32 s2, s4, s2
	v_cmp_eq_u64_e32 vcc, s[2:3], v[0:1]
	s_and_saveexec_b64 s[2:3], vcc
	s_cbranch_execz .LBB3082_149
; %bb.116:
	s_movk_i32 s2, 0xffb8
	v_mad_i32_i24 v2, v0, s2, v45
	v_mul_hi_u32_u24_e32 v1, 10, v0
	v_mov_b32_e32 v3, s1
	v_sub_co_u32_e32 v0, vcc, s0, v44
	v_subb_co_u32_e32 v1, vcc, v3, v1, vcc
	v_cmp_lt_i64_e32 vcc, 4, v[0:1]
	s_and_saveexec_b64 s[0:1], vcc
	s_xor_b64 s[0:1], exec, s[0:1]
	s_cbranch_execz .LBB3082_134
; %bb.117:
	v_cmp_lt_i64_e32 vcc, 6, v[0:1]
	s_and_saveexec_b64 s[2:3], vcc
	s_xor_b64 s[2:3], exec, s[2:3]
	s_cbranch_execz .LBB3082_127
; %bb.118:
	;; [unrolled: 5-line block ×4, first 2 shown]
	ds_read_b64 v[0:1], v2 offset:9216
	v_mov_b32_e32 v2, 0
	s_waitcnt lgkmcnt(0)
	global_store_dwordx2 v2, v[0:1], s[10:11]
                                        ; implicit-def: $vgpr2
.LBB3082_121:
	s_andn2_saveexec_b64 s[6:7], s[6:7]
	s_cbranch_execz .LBB3082_123
; %bb.122:
	ds_read_b64 v[0:1], v2 offset:8192
	v_mov_b32_e32 v2, 0
	s_waitcnt lgkmcnt(0)
	global_store_dwordx2 v2, v[0:1], s[10:11]
.LBB3082_123:
	s_or_b64 exec, exec, s[6:7]
                                        ; implicit-def: $vgpr2
.LBB3082_124:
	s_andn2_saveexec_b64 s[4:5], s[4:5]
	s_cbranch_execz .LBB3082_126
; %bb.125:
	ds_read_b64 v[0:1], v2 offset:7168
	v_mov_b32_e32 v2, 0
	s_waitcnt lgkmcnt(0)
	global_store_dwordx2 v2, v[0:1], s[10:11]
.LBB3082_126:
	s_or_b64 exec, exec, s[4:5]
                                        ; implicit-def: $vgpr2
                                        ; implicit-def: $vgpr0_vgpr1
.LBB3082_127:
	s_andn2_saveexec_b64 s[2:3], s[2:3]
	s_cbranch_execz .LBB3082_133
; %bb.128:
	v_cmp_lt_i64_e32 vcc, 5, v[0:1]
	s_and_saveexec_b64 s[4:5], vcc
	s_xor_b64 s[4:5], exec, s[4:5]
	s_cbranch_execz .LBB3082_130
; %bb.129:
	ds_read_b64 v[0:1], v2 offset:6144
	v_mov_b32_e32 v2, 0
	s_waitcnt lgkmcnt(0)
	global_store_dwordx2 v2, v[0:1], s[10:11]
                                        ; implicit-def: $vgpr2
.LBB3082_130:
	s_andn2_saveexec_b64 s[4:5], s[4:5]
	s_cbranch_execz .LBB3082_132
; %bb.131:
	ds_read_b64 v[0:1], v2 offset:5120
	v_mov_b32_e32 v2, 0
	s_waitcnt lgkmcnt(0)
	global_store_dwordx2 v2, v[0:1], s[10:11]
.LBB3082_132:
	s_or_b64 exec, exec, s[4:5]
.LBB3082_133:
	s_or_b64 exec, exec, s[2:3]
                                        ; implicit-def: $vgpr0_vgpr1
                                        ; implicit-def: $vgpr2
.LBB3082_134:
	s_andn2_saveexec_b64 s[0:1], s[0:1]
	s_cbranch_execz .LBB3082_149
; %bb.135:
	v_cmp_lt_i64_e32 vcc, 2, v[0:1]
	s_and_saveexec_b64 s[0:1], vcc
	s_xor_b64 s[0:1], exec, s[0:1]
	s_cbranch_execz .LBB3082_141
; %bb.136:
	v_cmp_lt_i64_e32 vcc, 3, v[0:1]
	s_and_saveexec_b64 s[2:3], vcc
	s_xor_b64 s[2:3], exec, s[2:3]
	s_cbranch_execz .LBB3082_138
; %bb.137:
	ds_read_b64 v[0:1], v2 offset:4096
	v_mov_b32_e32 v2, 0
	s_waitcnt lgkmcnt(0)
	global_store_dwordx2 v2, v[0:1], s[10:11]
                                        ; implicit-def: $vgpr2
.LBB3082_138:
	s_andn2_saveexec_b64 s[2:3], s[2:3]
	s_cbranch_execz .LBB3082_140
; %bb.139:
	ds_read_b64 v[0:1], v2 offset:3072
	v_mov_b32_e32 v2, 0
	s_waitcnt lgkmcnt(0)
	global_store_dwordx2 v2, v[0:1], s[10:11]
.LBB3082_140:
	s_or_b64 exec, exec, s[2:3]
                                        ; implicit-def: $vgpr0_vgpr1
                                        ; implicit-def: $vgpr2
.LBB3082_141:
	s_andn2_saveexec_b64 s[0:1], s[0:1]
	s_cbranch_execz .LBB3082_149
; %bb.142:
	v_cmp_lt_i64_e32 vcc, 1, v[0:1]
	s_and_saveexec_b64 s[0:1], vcc
	s_xor_b64 s[0:1], exec, s[0:1]
	s_cbranch_execz .LBB3082_144
; %bb.143:
	ds_read_b64 v[0:1], v2 offset:2048
	v_mov_b32_e32 v2, 0
	s_waitcnt lgkmcnt(0)
	global_store_dwordx2 v2, v[0:1], s[10:11]
                                        ; implicit-def: $vgpr2
                                        ; implicit-def: $vgpr0_vgpr1
.LBB3082_144:
	s_andn2_saveexec_b64 s[0:1], s[0:1]
	s_cbranch_execz .LBB3082_149
; %bb.145:
	v_cmp_ne_u64_e32 vcc, 1, v[0:1]
	s_and_saveexec_b64 s[0:1], vcc
	s_xor_b64 s[0:1], exec, s[0:1]
	s_cbranch_execz .LBB3082_147
; %bb.146:
	ds_read_b64 v[0:1], v2
	v_mov_b32_e32 v2, 0
	s_waitcnt lgkmcnt(0)
	global_store_dwordx2 v2, v[0:1], s[10:11]
                                        ; implicit-def: $vgpr2
.LBB3082_147:
	s_andn2_saveexec_b64 s[0:1], s[0:1]
	s_cbranch_execz .LBB3082_149
; %bb.148:
	ds_read_b64 v[0:1], v2 offset:1024
	v_mov_b32_e32 v2, 0
	s_waitcnt lgkmcnt(0)
	global_store_dwordx2 v2, v[0:1], s[10:11]
.LBB3082_149:
	s_endpgm
	.section	.rodata,"a",@progbits
	.p2align	6, 0x0
	.amdhsa_kernel _ZN7rocprim17ROCPRIM_400000_NS6detail17trampoline_kernelINS0_14default_configENS1_20scan_config_selectorIdEEZZNS1_9scan_implILNS1_25lookback_scan_determinismE0ELb1ELb1ES3_N6thrust23THRUST_200600_302600_NS6detail15normal_iteratorINS9_10device_ptrIdEEEENS9_16discard_iteratorINS9_11use_defaultEEEd11max_functorIdEdEEDaPvRmT3_T4_T5_mT6_P12ihipStream_tbENKUlT_T0_E_clISt17integral_constantIbLb1EESX_EEDaSS_ST_EUlSS_E_NS1_11comp_targetILNS1_3genE4ELNS1_11target_archE910ELNS1_3gpuE8ELNS1_3repE0EEENS1_30default_config_static_selectorELNS0_4arch9wavefront6targetE1EEEvT1_
		.amdhsa_group_segment_fixed_size 10240
		.amdhsa_private_segment_fixed_size 0
		.amdhsa_kernarg_size 112
		.amdhsa_user_sgpr_count 6
		.amdhsa_user_sgpr_private_segment_buffer 1
		.amdhsa_user_sgpr_dispatch_ptr 0
		.amdhsa_user_sgpr_queue_ptr 0
		.amdhsa_user_sgpr_kernarg_segment_ptr 1
		.amdhsa_user_sgpr_dispatch_id 0
		.amdhsa_user_sgpr_flat_scratch_init 0
		.amdhsa_user_sgpr_kernarg_preload_length 0
		.amdhsa_user_sgpr_kernarg_preload_offset 0
		.amdhsa_user_sgpr_private_segment_size 0
		.amdhsa_uses_dynamic_stack 0
		.amdhsa_system_sgpr_private_segment_wavefront_offset 0
		.amdhsa_system_sgpr_workgroup_id_x 1
		.amdhsa_system_sgpr_workgroup_id_y 0
		.amdhsa_system_sgpr_workgroup_id_z 0
		.amdhsa_system_sgpr_workgroup_info 0
		.amdhsa_system_vgpr_workitem_id 0
		.amdhsa_next_free_vgpr 58
		.amdhsa_next_free_sgpr 32
		.amdhsa_accum_offset 60
		.amdhsa_reserve_vcc 1
		.amdhsa_reserve_flat_scratch 0
		.amdhsa_float_round_mode_32 0
		.amdhsa_float_round_mode_16_64 0
		.amdhsa_float_denorm_mode_32 3
		.amdhsa_float_denorm_mode_16_64 3
		.amdhsa_dx10_clamp 1
		.amdhsa_ieee_mode 1
		.amdhsa_fp16_overflow 0
		.amdhsa_tg_split 0
		.amdhsa_exception_fp_ieee_invalid_op 0
		.amdhsa_exception_fp_denorm_src 0
		.amdhsa_exception_fp_ieee_div_zero 0
		.amdhsa_exception_fp_ieee_overflow 0
		.amdhsa_exception_fp_ieee_underflow 0
		.amdhsa_exception_fp_ieee_inexact 0
		.amdhsa_exception_int_div_zero 0
	.end_amdhsa_kernel
	.section	.text._ZN7rocprim17ROCPRIM_400000_NS6detail17trampoline_kernelINS0_14default_configENS1_20scan_config_selectorIdEEZZNS1_9scan_implILNS1_25lookback_scan_determinismE0ELb1ELb1ES3_N6thrust23THRUST_200600_302600_NS6detail15normal_iteratorINS9_10device_ptrIdEEEENS9_16discard_iteratorINS9_11use_defaultEEEd11max_functorIdEdEEDaPvRmT3_T4_T5_mT6_P12ihipStream_tbENKUlT_T0_E_clISt17integral_constantIbLb1EESX_EEDaSS_ST_EUlSS_E_NS1_11comp_targetILNS1_3genE4ELNS1_11target_archE910ELNS1_3gpuE8ELNS1_3repE0EEENS1_30default_config_static_selectorELNS0_4arch9wavefront6targetE1EEEvT1_,"axG",@progbits,_ZN7rocprim17ROCPRIM_400000_NS6detail17trampoline_kernelINS0_14default_configENS1_20scan_config_selectorIdEEZZNS1_9scan_implILNS1_25lookback_scan_determinismE0ELb1ELb1ES3_N6thrust23THRUST_200600_302600_NS6detail15normal_iteratorINS9_10device_ptrIdEEEENS9_16discard_iteratorINS9_11use_defaultEEEd11max_functorIdEdEEDaPvRmT3_T4_T5_mT6_P12ihipStream_tbENKUlT_T0_E_clISt17integral_constantIbLb1EESX_EEDaSS_ST_EUlSS_E_NS1_11comp_targetILNS1_3genE4ELNS1_11target_archE910ELNS1_3gpuE8ELNS1_3repE0EEENS1_30default_config_static_selectorELNS0_4arch9wavefront6targetE1EEEvT1_,comdat
.Lfunc_end3082:
	.size	_ZN7rocprim17ROCPRIM_400000_NS6detail17trampoline_kernelINS0_14default_configENS1_20scan_config_selectorIdEEZZNS1_9scan_implILNS1_25lookback_scan_determinismE0ELb1ELb1ES3_N6thrust23THRUST_200600_302600_NS6detail15normal_iteratorINS9_10device_ptrIdEEEENS9_16discard_iteratorINS9_11use_defaultEEEd11max_functorIdEdEEDaPvRmT3_T4_T5_mT6_P12ihipStream_tbENKUlT_T0_E_clISt17integral_constantIbLb1EESX_EEDaSS_ST_EUlSS_E_NS1_11comp_targetILNS1_3genE4ELNS1_11target_archE910ELNS1_3gpuE8ELNS1_3repE0EEENS1_30default_config_static_selectorELNS0_4arch9wavefront6targetE1EEEvT1_, .Lfunc_end3082-_ZN7rocprim17ROCPRIM_400000_NS6detail17trampoline_kernelINS0_14default_configENS1_20scan_config_selectorIdEEZZNS1_9scan_implILNS1_25lookback_scan_determinismE0ELb1ELb1ES3_N6thrust23THRUST_200600_302600_NS6detail15normal_iteratorINS9_10device_ptrIdEEEENS9_16discard_iteratorINS9_11use_defaultEEEd11max_functorIdEdEEDaPvRmT3_T4_T5_mT6_P12ihipStream_tbENKUlT_T0_E_clISt17integral_constantIbLb1EESX_EEDaSS_ST_EUlSS_E_NS1_11comp_targetILNS1_3genE4ELNS1_11target_archE910ELNS1_3gpuE8ELNS1_3repE0EEENS1_30default_config_static_selectorELNS0_4arch9wavefront6targetE1EEEvT1_
                                        ; -- End function
	.section	.AMDGPU.csdata,"",@progbits
; Kernel info:
; codeLenInByte = 5692
; NumSgprs: 36
; NumVgprs: 58
; NumAgprs: 0
; TotalNumVgprs: 58
; ScratchSize: 0
; MemoryBound: 0
; FloatMode: 240
; IeeeMode: 1
; LDSByteSize: 10240 bytes/workgroup (compile time only)
; SGPRBlocks: 4
; VGPRBlocks: 7
; NumSGPRsForWavesPerEU: 36
; NumVGPRsForWavesPerEU: 58
; AccumOffset: 60
; Occupancy: 3
; WaveLimiterHint : 1
; COMPUTE_PGM_RSRC2:SCRATCH_EN: 0
; COMPUTE_PGM_RSRC2:USER_SGPR: 6
; COMPUTE_PGM_RSRC2:TRAP_HANDLER: 0
; COMPUTE_PGM_RSRC2:TGID_X_EN: 1
; COMPUTE_PGM_RSRC2:TGID_Y_EN: 0
; COMPUTE_PGM_RSRC2:TGID_Z_EN: 0
; COMPUTE_PGM_RSRC2:TIDIG_COMP_CNT: 0
; COMPUTE_PGM_RSRC3_GFX90A:ACCUM_OFFSET: 14
; COMPUTE_PGM_RSRC3_GFX90A:TG_SPLIT: 0
	.section	.text._ZN7rocprim17ROCPRIM_400000_NS6detail17trampoline_kernelINS0_14default_configENS1_20scan_config_selectorIdEEZZNS1_9scan_implILNS1_25lookback_scan_determinismE0ELb1ELb1ES3_N6thrust23THRUST_200600_302600_NS6detail15normal_iteratorINS9_10device_ptrIdEEEENS9_16discard_iteratorINS9_11use_defaultEEEd11max_functorIdEdEEDaPvRmT3_T4_T5_mT6_P12ihipStream_tbENKUlT_T0_E_clISt17integral_constantIbLb1EESX_EEDaSS_ST_EUlSS_E_NS1_11comp_targetILNS1_3genE3ELNS1_11target_archE908ELNS1_3gpuE7ELNS1_3repE0EEENS1_30default_config_static_selectorELNS0_4arch9wavefront6targetE1EEEvT1_,"axG",@progbits,_ZN7rocprim17ROCPRIM_400000_NS6detail17trampoline_kernelINS0_14default_configENS1_20scan_config_selectorIdEEZZNS1_9scan_implILNS1_25lookback_scan_determinismE0ELb1ELb1ES3_N6thrust23THRUST_200600_302600_NS6detail15normal_iteratorINS9_10device_ptrIdEEEENS9_16discard_iteratorINS9_11use_defaultEEEd11max_functorIdEdEEDaPvRmT3_T4_T5_mT6_P12ihipStream_tbENKUlT_T0_E_clISt17integral_constantIbLb1EESX_EEDaSS_ST_EUlSS_E_NS1_11comp_targetILNS1_3genE3ELNS1_11target_archE908ELNS1_3gpuE7ELNS1_3repE0EEENS1_30default_config_static_selectorELNS0_4arch9wavefront6targetE1EEEvT1_,comdat
	.protected	_ZN7rocprim17ROCPRIM_400000_NS6detail17trampoline_kernelINS0_14default_configENS1_20scan_config_selectorIdEEZZNS1_9scan_implILNS1_25lookback_scan_determinismE0ELb1ELb1ES3_N6thrust23THRUST_200600_302600_NS6detail15normal_iteratorINS9_10device_ptrIdEEEENS9_16discard_iteratorINS9_11use_defaultEEEd11max_functorIdEdEEDaPvRmT3_T4_T5_mT6_P12ihipStream_tbENKUlT_T0_E_clISt17integral_constantIbLb1EESX_EEDaSS_ST_EUlSS_E_NS1_11comp_targetILNS1_3genE3ELNS1_11target_archE908ELNS1_3gpuE7ELNS1_3repE0EEENS1_30default_config_static_selectorELNS0_4arch9wavefront6targetE1EEEvT1_ ; -- Begin function _ZN7rocprim17ROCPRIM_400000_NS6detail17trampoline_kernelINS0_14default_configENS1_20scan_config_selectorIdEEZZNS1_9scan_implILNS1_25lookback_scan_determinismE0ELb1ELb1ES3_N6thrust23THRUST_200600_302600_NS6detail15normal_iteratorINS9_10device_ptrIdEEEENS9_16discard_iteratorINS9_11use_defaultEEEd11max_functorIdEdEEDaPvRmT3_T4_T5_mT6_P12ihipStream_tbENKUlT_T0_E_clISt17integral_constantIbLb1EESX_EEDaSS_ST_EUlSS_E_NS1_11comp_targetILNS1_3genE3ELNS1_11target_archE908ELNS1_3gpuE7ELNS1_3repE0EEENS1_30default_config_static_selectorELNS0_4arch9wavefront6targetE1EEEvT1_
	.globl	_ZN7rocprim17ROCPRIM_400000_NS6detail17trampoline_kernelINS0_14default_configENS1_20scan_config_selectorIdEEZZNS1_9scan_implILNS1_25lookback_scan_determinismE0ELb1ELb1ES3_N6thrust23THRUST_200600_302600_NS6detail15normal_iteratorINS9_10device_ptrIdEEEENS9_16discard_iteratorINS9_11use_defaultEEEd11max_functorIdEdEEDaPvRmT3_T4_T5_mT6_P12ihipStream_tbENKUlT_T0_E_clISt17integral_constantIbLb1EESX_EEDaSS_ST_EUlSS_E_NS1_11comp_targetILNS1_3genE3ELNS1_11target_archE908ELNS1_3gpuE7ELNS1_3repE0EEENS1_30default_config_static_selectorELNS0_4arch9wavefront6targetE1EEEvT1_
	.p2align	8
	.type	_ZN7rocprim17ROCPRIM_400000_NS6detail17trampoline_kernelINS0_14default_configENS1_20scan_config_selectorIdEEZZNS1_9scan_implILNS1_25lookback_scan_determinismE0ELb1ELb1ES3_N6thrust23THRUST_200600_302600_NS6detail15normal_iteratorINS9_10device_ptrIdEEEENS9_16discard_iteratorINS9_11use_defaultEEEd11max_functorIdEdEEDaPvRmT3_T4_T5_mT6_P12ihipStream_tbENKUlT_T0_E_clISt17integral_constantIbLb1EESX_EEDaSS_ST_EUlSS_E_NS1_11comp_targetILNS1_3genE3ELNS1_11target_archE908ELNS1_3gpuE7ELNS1_3repE0EEENS1_30default_config_static_selectorELNS0_4arch9wavefront6targetE1EEEvT1_,@function
_ZN7rocprim17ROCPRIM_400000_NS6detail17trampoline_kernelINS0_14default_configENS1_20scan_config_selectorIdEEZZNS1_9scan_implILNS1_25lookback_scan_determinismE0ELb1ELb1ES3_N6thrust23THRUST_200600_302600_NS6detail15normal_iteratorINS9_10device_ptrIdEEEENS9_16discard_iteratorINS9_11use_defaultEEEd11max_functorIdEdEEDaPvRmT3_T4_T5_mT6_P12ihipStream_tbENKUlT_T0_E_clISt17integral_constantIbLb1EESX_EEDaSS_ST_EUlSS_E_NS1_11comp_targetILNS1_3genE3ELNS1_11target_archE908ELNS1_3gpuE7ELNS1_3repE0EEENS1_30default_config_static_selectorELNS0_4arch9wavefront6targetE1EEEvT1_: ; @_ZN7rocprim17ROCPRIM_400000_NS6detail17trampoline_kernelINS0_14default_configENS1_20scan_config_selectorIdEEZZNS1_9scan_implILNS1_25lookback_scan_determinismE0ELb1ELb1ES3_N6thrust23THRUST_200600_302600_NS6detail15normal_iteratorINS9_10device_ptrIdEEEENS9_16discard_iteratorINS9_11use_defaultEEEd11max_functorIdEdEEDaPvRmT3_T4_T5_mT6_P12ihipStream_tbENKUlT_T0_E_clISt17integral_constantIbLb1EESX_EEDaSS_ST_EUlSS_E_NS1_11comp_targetILNS1_3genE3ELNS1_11target_archE908ELNS1_3gpuE7ELNS1_3repE0EEENS1_30default_config_static_selectorELNS0_4arch9wavefront6targetE1EEEvT1_
; %bb.0:
	.section	.rodata,"a",@progbits
	.p2align	6, 0x0
	.amdhsa_kernel _ZN7rocprim17ROCPRIM_400000_NS6detail17trampoline_kernelINS0_14default_configENS1_20scan_config_selectorIdEEZZNS1_9scan_implILNS1_25lookback_scan_determinismE0ELb1ELb1ES3_N6thrust23THRUST_200600_302600_NS6detail15normal_iteratorINS9_10device_ptrIdEEEENS9_16discard_iteratorINS9_11use_defaultEEEd11max_functorIdEdEEDaPvRmT3_T4_T5_mT6_P12ihipStream_tbENKUlT_T0_E_clISt17integral_constantIbLb1EESX_EEDaSS_ST_EUlSS_E_NS1_11comp_targetILNS1_3genE3ELNS1_11target_archE908ELNS1_3gpuE7ELNS1_3repE0EEENS1_30default_config_static_selectorELNS0_4arch9wavefront6targetE1EEEvT1_
		.amdhsa_group_segment_fixed_size 0
		.amdhsa_private_segment_fixed_size 0
		.amdhsa_kernarg_size 112
		.amdhsa_user_sgpr_count 6
		.amdhsa_user_sgpr_private_segment_buffer 1
		.amdhsa_user_sgpr_dispatch_ptr 0
		.amdhsa_user_sgpr_queue_ptr 0
		.amdhsa_user_sgpr_kernarg_segment_ptr 1
		.amdhsa_user_sgpr_dispatch_id 0
		.amdhsa_user_sgpr_flat_scratch_init 0
		.amdhsa_user_sgpr_kernarg_preload_length 0
		.amdhsa_user_sgpr_kernarg_preload_offset 0
		.amdhsa_user_sgpr_private_segment_size 0
		.amdhsa_uses_dynamic_stack 0
		.amdhsa_system_sgpr_private_segment_wavefront_offset 0
		.amdhsa_system_sgpr_workgroup_id_x 1
		.amdhsa_system_sgpr_workgroup_id_y 0
		.amdhsa_system_sgpr_workgroup_id_z 0
		.amdhsa_system_sgpr_workgroup_info 0
		.amdhsa_system_vgpr_workitem_id 0
		.amdhsa_next_free_vgpr 1
		.amdhsa_next_free_sgpr 0
		.amdhsa_accum_offset 4
		.amdhsa_reserve_vcc 0
		.amdhsa_reserve_flat_scratch 0
		.amdhsa_float_round_mode_32 0
		.amdhsa_float_round_mode_16_64 0
		.amdhsa_float_denorm_mode_32 3
		.amdhsa_float_denorm_mode_16_64 3
		.amdhsa_dx10_clamp 1
		.amdhsa_ieee_mode 1
		.amdhsa_fp16_overflow 0
		.amdhsa_tg_split 0
		.amdhsa_exception_fp_ieee_invalid_op 0
		.amdhsa_exception_fp_denorm_src 0
		.amdhsa_exception_fp_ieee_div_zero 0
		.amdhsa_exception_fp_ieee_overflow 0
		.amdhsa_exception_fp_ieee_underflow 0
		.amdhsa_exception_fp_ieee_inexact 0
		.amdhsa_exception_int_div_zero 0
	.end_amdhsa_kernel
	.section	.text._ZN7rocprim17ROCPRIM_400000_NS6detail17trampoline_kernelINS0_14default_configENS1_20scan_config_selectorIdEEZZNS1_9scan_implILNS1_25lookback_scan_determinismE0ELb1ELb1ES3_N6thrust23THRUST_200600_302600_NS6detail15normal_iteratorINS9_10device_ptrIdEEEENS9_16discard_iteratorINS9_11use_defaultEEEd11max_functorIdEdEEDaPvRmT3_T4_T5_mT6_P12ihipStream_tbENKUlT_T0_E_clISt17integral_constantIbLb1EESX_EEDaSS_ST_EUlSS_E_NS1_11comp_targetILNS1_3genE3ELNS1_11target_archE908ELNS1_3gpuE7ELNS1_3repE0EEENS1_30default_config_static_selectorELNS0_4arch9wavefront6targetE1EEEvT1_,"axG",@progbits,_ZN7rocprim17ROCPRIM_400000_NS6detail17trampoline_kernelINS0_14default_configENS1_20scan_config_selectorIdEEZZNS1_9scan_implILNS1_25lookback_scan_determinismE0ELb1ELb1ES3_N6thrust23THRUST_200600_302600_NS6detail15normal_iteratorINS9_10device_ptrIdEEEENS9_16discard_iteratorINS9_11use_defaultEEEd11max_functorIdEdEEDaPvRmT3_T4_T5_mT6_P12ihipStream_tbENKUlT_T0_E_clISt17integral_constantIbLb1EESX_EEDaSS_ST_EUlSS_E_NS1_11comp_targetILNS1_3genE3ELNS1_11target_archE908ELNS1_3gpuE7ELNS1_3repE0EEENS1_30default_config_static_selectorELNS0_4arch9wavefront6targetE1EEEvT1_,comdat
.Lfunc_end3083:
	.size	_ZN7rocprim17ROCPRIM_400000_NS6detail17trampoline_kernelINS0_14default_configENS1_20scan_config_selectorIdEEZZNS1_9scan_implILNS1_25lookback_scan_determinismE0ELb1ELb1ES3_N6thrust23THRUST_200600_302600_NS6detail15normal_iteratorINS9_10device_ptrIdEEEENS9_16discard_iteratorINS9_11use_defaultEEEd11max_functorIdEdEEDaPvRmT3_T4_T5_mT6_P12ihipStream_tbENKUlT_T0_E_clISt17integral_constantIbLb1EESX_EEDaSS_ST_EUlSS_E_NS1_11comp_targetILNS1_3genE3ELNS1_11target_archE908ELNS1_3gpuE7ELNS1_3repE0EEENS1_30default_config_static_selectorELNS0_4arch9wavefront6targetE1EEEvT1_, .Lfunc_end3083-_ZN7rocprim17ROCPRIM_400000_NS6detail17trampoline_kernelINS0_14default_configENS1_20scan_config_selectorIdEEZZNS1_9scan_implILNS1_25lookback_scan_determinismE0ELb1ELb1ES3_N6thrust23THRUST_200600_302600_NS6detail15normal_iteratorINS9_10device_ptrIdEEEENS9_16discard_iteratorINS9_11use_defaultEEEd11max_functorIdEdEEDaPvRmT3_T4_T5_mT6_P12ihipStream_tbENKUlT_T0_E_clISt17integral_constantIbLb1EESX_EEDaSS_ST_EUlSS_E_NS1_11comp_targetILNS1_3genE3ELNS1_11target_archE908ELNS1_3gpuE7ELNS1_3repE0EEENS1_30default_config_static_selectorELNS0_4arch9wavefront6targetE1EEEvT1_
                                        ; -- End function
	.section	.AMDGPU.csdata,"",@progbits
; Kernel info:
; codeLenInByte = 0
; NumSgprs: 4
; NumVgprs: 0
; NumAgprs: 0
; TotalNumVgprs: 0
; ScratchSize: 0
; MemoryBound: 0
; FloatMode: 240
; IeeeMode: 1
; LDSByteSize: 0 bytes/workgroup (compile time only)
; SGPRBlocks: 0
; VGPRBlocks: 0
; NumSGPRsForWavesPerEU: 4
; NumVGPRsForWavesPerEU: 1
; AccumOffset: 4
; Occupancy: 8
; WaveLimiterHint : 0
; COMPUTE_PGM_RSRC2:SCRATCH_EN: 0
; COMPUTE_PGM_RSRC2:USER_SGPR: 6
; COMPUTE_PGM_RSRC2:TRAP_HANDLER: 0
; COMPUTE_PGM_RSRC2:TGID_X_EN: 1
; COMPUTE_PGM_RSRC2:TGID_Y_EN: 0
; COMPUTE_PGM_RSRC2:TGID_Z_EN: 0
; COMPUTE_PGM_RSRC2:TIDIG_COMP_CNT: 0
; COMPUTE_PGM_RSRC3_GFX90A:ACCUM_OFFSET: 0
; COMPUTE_PGM_RSRC3_GFX90A:TG_SPLIT: 0
	.section	.text._ZN7rocprim17ROCPRIM_400000_NS6detail17trampoline_kernelINS0_14default_configENS1_20scan_config_selectorIdEEZZNS1_9scan_implILNS1_25lookback_scan_determinismE0ELb1ELb1ES3_N6thrust23THRUST_200600_302600_NS6detail15normal_iteratorINS9_10device_ptrIdEEEENS9_16discard_iteratorINS9_11use_defaultEEEd11max_functorIdEdEEDaPvRmT3_T4_T5_mT6_P12ihipStream_tbENKUlT_T0_E_clISt17integral_constantIbLb1EESX_EEDaSS_ST_EUlSS_E_NS1_11comp_targetILNS1_3genE2ELNS1_11target_archE906ELNS1_3gpuE6ELNS1_3repE0EEENS1_30default_config_static_selectorELNS0_4arch9wavefront6targetE1EEEvT1_,"axG",@progbits,_ZN7rocprim17ROCPRIM_400000_NS6detail17trampoline_kernelINS0_14default_configENS1_20scan_config_selectorIdEEZZNS1_9scan_implILNS1_25lookback_scan_determinismE0ELb1ELb1ES3_N6thrust23THRUST_200600_302600_NS6detail15normal_iteratorINS9_10device_ptrIdEEEENS9_16discard_iteratorINS9_11use_defaultEEEd11max_functorIdEdEEDaPvRmT3_T4_T5_mT6_P12ihipStream_tbENKUlT_T0_E_clISt17integral_constantIbLb1EESX_EEDaSS_ST_EUlSS_E_NS1_11comp_targetILNS1_3genE2ELNS1_11target_archE906ELNS1_3gpuE6ELNS1_3repE0EEENS1_30default_config_static_selectorELNS0_4arch9wavefront6targetE1EEEvT1_,comdat
	.protected	_ZN7rocprim17ROCPRIM_400000_NS6detail17trampoline_kernelINS0_14default_configENS1_20scan_config_selectorIdEEZZNS1_9scan_implILNS1_25lookback_scan_determinismE0ELb1ELb1ES3_N6thrust23THRUST_200600_302600_NS6detail15normal_iteratorINS9_10device_ptrIdEEEENS9_16discard_iteratorINS9_11use_defaultEEEd11max_functorIdEdEEDaPvRmT3_T4_T5_mT6_P12ihipStream_tbENKUlT_T0_E_clISt17integral_constantIbLb1EESX_EEDaSS_ST_EUlSS_E_NS1_11comp_targetILNS1_3genE2ELNS1_11target_archE906ELNS1_3gpuE6ELNS1_3repE0EEENS1_30default_config_static_selectorELNS0_4arch9wavefront6targetE1EEEvT1_ ; -- Begin function _ZN7rocprim17ROCPRIM_400000_NS6detail17trampoline_kernelINS0_14default_configENS1_20scan_config_selectorIdEEZZNS1_9scan_implILNS1_25lookback_scan_determinismE0ELb1ELb1ES3_N6thrust23THRUST_200600_302600_NS6detail15normal_iteratorINS9_10device_ptrIdEEEENS9_16discard_iteratorINS9_11use_defaultEEEd11max_functorIdEdEEDaPvRmT3_T4_T5_mT6_P12ihipStream_tbENKUlT_T0_E_clISt17integral_constantIbLb1EESX_EEDaSS_ST_EUlSS_E_NS1_11comp_targetILNS1_3genE2ELNS1_11target_archE906ELNS1_3gpuE6ELNS1_3repE0EEENS1_30default_config_static_selectorELNS0_4arch9wavefront6targetE1EEEvT1_
	.globl	_ZN7rocprim17ROCPRIM_400000_NS6detail17trampoline_kernelINS0_14default_configENS1_20scan_config_selectorIdEEZZNS1_9scan_implILNS1_25lookback_scan_determinismE0ELb1ELb1ES3_N6thrust23THRUST_200600_302600_NS6detail15normal_iteratorINS9_10device_ptrIdEEEENS9_16discard_iteratorINS9_11use_defaultEEEd11max_functorIdEdEEDaPvRmT3_T4_T5_mT6_P12ihipStream_tbENKUlT_T0_E_clISt17integral_constantIbLb1EESX_EEDaSS_ST_EUlSS_E_NS1_11comp_targetILNS1_3genE2ELNS1_11target_archE906ELNS1_3gpuE6ELNS1_3repE0EEENS1_30default_config_static_selectorELNS0_4arch9wavefront6targetE1EEEvT1_
	.p2align	8
	.type	_ZN7rocprim17ROCPRIM_400000_NS6detail17trampoline_kernelINS0_14default_configENS1_20scan_config_selectorIdEEZZNS1_9scan_implILNS1_25lookback_scan_determinismE0ELb1ELb1ES3_N6thrust23THRUST_200600_302600_NS6detail15normal_iteratorINS9_10device_ptrIdEEEENS9_16discard_iteratorINS9_11use_defaultEEEd11max_functorIdEdEEDaPvRmT3_T4_T5_mT6_P12ihipStream_tbENKUlT_T0_E_clISt17integral_constantIbLb1EESX_EEDaSS_ST_EUlSS_E_NS1_11comp_targetILNS1_3genE2ELNS1_11target_archE906ELNS1_3gpuE6ELNS1_3repE0EEENS1_30default_config_static_selectorELNS0_4arch9wavefront6targetE1EEEvT1_,@function
_ZN7rocprim17ROCPRIM_400000_NS6detail17trampoline_kernelINS0_14default_configENS1_20scan_config_selectorIdEEZZNS1_9scan_implILNS1_25lookback_scan_determinismE0ELb1ELb1ES3_N6thrust23THRUST_200600_302600_NS6detail15normal_iteratorINS9_10device_ptrIdEEEENS9_16discard_iteratorINS9_11use_defaultEEEd11max_functorIdEdEEDaPvRmT3_T4_T5_mT6_P12ihipStream_tbENKUlT_T0_E_clISt17integral_constantIbLb1EESX_EEDaSS_ST_EUlSS_E_NS1_11comp_targetILNS1_3genE2ELNS1_11target_archE906ELNS1_3gpuE6ELNS1_3repE0EEENS1_30default_config_static_selectorELNS0_4arch9wavefront6targetE1EEEvT1_: ; @_ZN7rocprim17ROCPRIM_400000_NS6detail17trampoline_kernelINS0_14default_configENS1_20scan_config_selectorIdEEZZNS1_9scan_implILNS1_25lookback_scan_determinismE0ELb1ELb1ES3_N6thrust23THRUST_200600_302600_NS6detail15normal_iteratorINS9_10device_ptrIdEEEENS9_16discard_iteratorINS9_11use_defaultEEEd11max_functorIdEdEEDaPvRmT3_T4_T5_mT6_P12ihipStream_tbENKUlT_T0_E_clISt17integral_constantIbLb1EESX_EEDaSS_ST_EUlSS_E_NS1_11comp_targetILNS1_3genE2ELNS1_11target_archE906ELNS1_3gpuE6ELNS1_3repE0EEENS1_30default_config_static_selectorELNS0_4arch9wavefront6targetE1EEEvT1_
; %bb.0:
	.section	.rodata,"a",@progbits
	.p2align	6, 0x0
	.amdhsa_kernel _ZN7rocprim17ROCPRIM_400000_NS6detail17trampoline_kernelINS0_14default_configENS1_20scan_config_selectorIdEEZZNS1_9scan_implILNS1_25lookback_scan_determinismE0ELb1ELb1ES3_N6thrust23THRUST_200600_302600_NS6detail15normal_iteratorINS9_10device_ptrIdEEEENS9_16discard_iteratorINS9_11use_defaultEEEd11max_functorIdEdEEDaPvRmT3_T4_T5_mT6_P12ihipStream_tbENKUlT_T0_E_clISt17integral_constantIbLb1EESX_EEDaSS_ST_EUlSS_E_NS1_11comp_targetILNS1_3genE2ELNS1_11target_archE906ELNS1_3gpuE6ELNS1_3repE0EEENS1_30default_config_static_selectorELNS0_4arch9wavefront6targetE1EEEvT1_
		.amdhsa_group_segment_fixed_size 0
		.amdhsa_private_segment_fixed_size 0
		.amdhsa_kernarg_size 112
		.amdhsa_user_sgpr_count 6
		.amdhsa_user_sgpr_private_segment_buffer 1
		.amdhsa_user_sgpr_dispatch_ptr 0
		.amdhsa_user_sgpr_queue_ptr 0
		.amdhsa_user_sgpr_kernarg_segment_ptr 1
		.amdhsa_user_sgpr_dispatch_id 0
		.amdhsa_user_sgpr_flat_scratch_init 0
		.amdhsa_user_sgpr_kernarg_preload_length 0
		.amdhsa_user_sgpr_kernarg_preload_offset 0
		.amdhsa_user_sgpr_private_segment_size 0
		.amdhsa_uses_dynamic_stack 0
		.amdhsa_system_sgpr_private_segment_wavefront_offset 0
		.amdhsa_system_sgpr_workgroup_id_x 1
		.amdhsa_system_sgpr_workgroup_id_y 0
		.amdhsa_system_sgpr_workgroup_id_z 0
		.amdhsa_system_sgpr_workgroup_info 0
		.amdhsa_system_vgpr_workitem_id 0
		.amdhsa_next_free_vgpr 1
		.amdhsa_next_free_sgpr 0
		.amdhsa_accum_offset 4
		.amdhsa_reserve_vcc 0
		.amdhsa_reserve_flat_scratch 0
		.amdhsa_float_round_mode_32 0
		.amdhsa_float_round_mode_16_64 0
		.amdhsa_float_denorm_mode_32 3
		.amdhsa_float_denorm_mode_16_64 3
		.amdhsa_dx10_clamp 1
		.amdhsa_ieee_mode 1
		.amdhsa_fp16_overflow 0
		.amdhsa_tg_split 0
		.amdhsa_exception_fp_ieee_invalid_op 0
		.amdhsa_exception_fp_denorm_src 0
		.amdhsa_exception_fp_ieee_div_zero 0
		.amdhsa_exception_fp_ieee_overflow 0
		.amdhsa_exception_fp_ieee_underflow 0
		.amdhsa_exception_fp_ieee_inexact 0
		.amdhsa_exception_int_div_zero 0
	.end_amdhsa_kernel
	.section	.text._ZN7rocprim17ROCPRIM_400000_NS6detail17trampoline_kernelINS0_14default_configENS1_20scan_config_selectorIdEEZZNS1_9scan_implILNS1_25lookback_scan_determinismE0ELb1ELb1ES3_N6thrust23THRUST_200600_302600_NS6detail15normal_iteratorINS9_10device_ptrIdEEEENS9_16discard_iteratorINS9_11use_defaultEEEd11max_functorIdEdEEDaPvRmT3_T4_T5_mT6_P12ihipStream_tbENKUlT_T0_E_clISt17integral_constantIbLb1EESX_EEDaSS_ST_EUlSS_E_NS1_11comp_targetILNS1_3genE2ELNS1_11target_archE906ELNS1_3gpuE6ELNS1_3repE0EEENS1_30default_config_static_selectorELNS0_4arch9wavefront6targetE1EEEvT1_,"axG",@progbits,_ZN7rocprim17ROCPRIM_400000_NS6detail17trampoline_kernelINS0_14default_configENS1_20scan_config_selectorIdEEZZNS1_9scan_implILNS1_25lookback_scan_determinismE0ELb1ELb1ES3_N6thrust23THRUST_200600_302600_NS6detail15normal_iteratorINS9_10device_ptrIdEEEENS9_16discard_iteratorINS9_11use_defaultEEEd11max_functorIdEdEEDaPvRmT3_T4_T5_mT6_P12ihipStream_tbENKUlT_T0_E_clISt17integral_constantIbLb1EESX_EEDaSS_ST_EUlSS_E_NS1_11comp_targetILNS1_3genE2ELNS1_11target_archE906ELNS1_3gpuE6ELNS1_3repE0EEENS1_30default_config_static_selectorELNS0_4arch9wavefront6targetE1EEEvT1_,comdat
.Lfunc_end3084:
	.size	_ZN7rocprim17ROCPRIM_400000_NS6detail17trampoline_kernelINS0_14default_configENS1_20scan_config_selectorIdEEZZNS1_9scan_implILNS1_25lookback_scan_determinismE0ELb1ELb1ES3_N6thrust23THRUST_200600_302600_NS6detail15normal_iteratorINS9_10device_ptrIdEEEENS9_16discard_iteratorINS9_11use_defaultEEEd11max_functorIdEdEEDaPvRmT3_T4_T5_mT6_P12ihipStream_tbENKUlT_T0_E_clISt17integral_constantIbLb1EESX_EEDaSS_ST_EUlSS_E_NS1_11comp_targetILNS1_3genE2ELNS1_11target_archE906ELNS1_3gpuE6ELNS1_3repE0EEENS1_30default_config_static_selectorELNS0_4arch9wavefront6targetE1EEEvT1_, .Lfunc_end3084-_ZN7rocprim17ROCPRIM_400000_NS6detail17trampoline_kernelINS0_14default_configENS1_20scan_config_selectorIdEEZZNS1_9scan_implILNS1_25lookback_scan_determinismE0ELb1ELb1ES3_N6thrust23THRUST_200600_302600_NS6detail15normal_iteratorINS9_10device_ptrIdEEEENS9_16discard_iteratorINS9_11use_defaultEEEd11max_functorIdEdEEDaPvRmT3_T4_T5_mT6_P12ihipStream_tbENKUlT_T0_E_clISt17integral_constantIbLb1EESX_EEDaSS_ST_EUlSS_E_NS1_11comp_targetILNS1_3genE2ELNS1_11target_archE906ELNS1_3gpuE6ELNS1_3repE0EEENS1_30default_config_static_selectorELNS0_4arch9wavefront6targetE1EEEvT1_
                                        ; -- End function
	.section	.AMDGPU.csdata,"",@progbits
; Kernel info:
; codeLenInByte = 0
; NumSgprs: 4
; NumVgprs: 0
; NumAgprs: 0
; TotalNumVgprs: 0
; ScratchSize: 0
; MemoryBound: 0
; FloatMode: 240
; IeeeMode: 1
; LDSByteSize: 0 bytes/workgroup (compile time only)
; SGPRBlocks: 0
; VGPRBlocks: 0
; NumSGPRsForWavesPerEU: 4
; NumVGPRsForWavesPerEU: 1
; AccumOffset: 4
; Occupancy: 8
; WaveLimiterHint : 0
; COMPUTE_PGM_RSRC2:SCRATCH_EN: 0
; COMPUTE_PGM_RSRC2:USER_SGPR: 6
; COMPUTE_PGM_RSRC2:TRAP_HANDLER: 0
; COMPUTE_PGM_RSRC2:TGID_X_EN: 1
; COMPUTE_PGM_RSRC2:TGID_Y_EN: 0
; COMPUTE_PGM_RSRC2:TGID_Z_EN: 0
; COMPUTE_PGM_RSRC2:TIDIG_COMP_CNT: 0
; COMPUTE_PGM_RSRC3_GFX90A:ACCUM_OFFSET: 0
; COMPUTE_PGM_RSRC3_GFX90A:TG_SPLIT: 0
	.section	.text._ZN7rocprim17ROCPRIM_400000_NS6detail17trampoline_kernelINS0_14default_configENS1_20scan_config_selectorIdEEZZNS1_9scan_implILNS1_25lookback_scan_determinismE0ELb1ELb1ES3_N6thrust23THRUST_200600_302600_NS6detail15normal_iteratorINS9_10device_ptrIdEEEENS9_16discard_iteratorINS9_11use_defaultEEEd11max_functorIdEdEEDaPvRmT3_T4_T5_mT6_P12ihipStream_tbENKUlT_T0_E_clISt17integral_constantIbLb1EESX_EEDaSS_ST_EUlSS_E_NS1_11comp_targetILNS1_3genE10ELNS1_11target_archE1201ELNS1_3gpuE5ELNS1_3repE0EEENS1_30default_config_static_selectorELNS0_4arch9wavefront6targetE1EEEvT1_,"axG",@progbits,_ZN7rocprim17ROCPRIM_400000_NS6detail17trampoline_kernelINS0_14default_configENS1_20scan_config_selectorIdEEZZNS1_9scan_implILNS1_25lookback_scan_determinismE0ELb1ELb1ES3_N6thrust23THRUST_200600_302600_NS6detail15normal_iteratorINS9_10device_ptrIdEEEENS9_16discard_iteratorINS9_11use_defaultEEEd11max_functorIdEdEEDaPvRmT3_T4_T5_mT6_P12ihipStream_tbENKUlT_T0_E_clISt17integral_constantIbLb1EESX_EEDaSS_ST_EUlSS_E_NS1_11comp_targetILNS1_3genE10ELNS1_11target_archE1201ELNS1_3gpuE5ELNS1_3repE0EEENS1_30default_config_static_selectorELNS0_4arch9wavefront6targetE1EEEvT1_,comdat
	.protected	_ZN7rocprim17ROCPRIM_400000_NS6detail17trampoline_kernelINS0_14default_configENS1_20scan_config_selectorIdEEZZNS1_9scan_implILNS1_25lookback_scan_determinismE0ELb1ELb1ES3_N6thrust23THRUST_200600_302600_NS6detail15normal_iteratorINS9_10device_ptrIdEEEENS9_16discard_iteratorINS9_11use_defaultEEEd11max_functorIdEdEEDaPvRmT3_T4_T5_mT6_P12ihipStream_tbENKUlT_T0_E_clISt17integral_constantIbLb1EESX_EEDaSS_ST_EUlSS_E_NS1_11comp_targetILNS1_3genE10ELNS1_11target_archE1201ELNS1_3gpuE5ELNS1_3repE0EEENS1_30default_config_static_selectorELNS0_4arch9wavefront6targetE1EEEvT1_ ; -- Begin function _ZN7rocprim17ROCPRIM_400000_NS6detail17trampoline_kernelINS0_14default_configENS1_20scan_config_selectorIdEEZZNS1_9scan_implILNS1_25lookback_scan_determinismE0ELb1ELb1ES3_N6thrust23THRUST_200600_302600_NS6detail15normal_iteratorINS9_10device_ptrIdEEEENS9_16discard_iteratorINS9_11use_defaultEEEd11max_functorIdEdEEDaPvRmT3_T4_T5_mT6_P12ihipStream_tbENKUlT_T0_E_clISt17integral_constantIbLb1EESX_EEDaSS_ST_EUlSS_E_NS1_11comp_targetILNS1_3genE10ELNS1_11target_archE1201ELNS1_3gpuE5ELNS1_3repE0EEENS1_30default_config_static_selectorELNS0_4arch9wavefront6targetE1EEEvT1_
	.globl	_ZN7rocprim17ROCPRIM_400000_NS6detail17trampoline_kernelINS0_14default_configENS1_20scan_config_selectorIdEEZZNS1_9scan_implILNS1_25lookback_scan_determinismE0ELb1ELb1ES3_N6thrust23THRUST_200600_302600_NS6detail15normal_iteratorINS9_10device_ptrIdEEEENS9_16discard_iteratorINS9_11use_defaultEEEd11max_functorIdEdEEDaPvRmT3_T4_T5_mT6_P12ihipStream_tbENKUlT_T0_E_clISt17integral_constantIbLb1EESX_EEDaSS_ST_EUlSS_E_NS1_11comp_targetILNS1_3genE10ELNS1_11target_archE1201ELNS1_3gpuE5ELNS1_3repE0EEENS1_30default_config_static_selectorELNS0_4arch9wavefront6targetE1EEEvT1_
	.p2align	8
	.type	_ZN7rocprim17ROCPRIM_400000_NS6detail17trampoline_kernelINS0_14default_configENS1_20scan_config_selectorIdEEZZNS1_9scan_implILNS1_25lookback_scan_determinismE0ELb1ELb1ES3_N6thrust23THRUST_200600_302600_NS6detail15normal_iteratorINS9_10device_ptrIdEEEENS9_16discard_iteratorINS9_11use_defaultEEEd11max_functorIdEdEEDaPvRmT3_T4_T5_mT6_P12ihipStream_tbENKUlT_T0_E_clISt17integral_constantIbLb1EESX_EEDaSS_ST_EUlSS_E_NS1_11comp_targetILNS1_3genE10ELNS1_11target_archE1201ELNS1_3gpuE5ELNS1_3repE0EEENS1_30default_config_static_selectorELNS0_4arch9wavefront6targetE1EEEvT1_,@function
_ZN7rocprim17ROCPRIM_400000_NS6detail17trampoline_kernelINS0_14default_configENS1_20scan_config_selectorIdEEZZNS1_9scan_implILNS1_25lookback_scan_determinismE0ELb1ELb1ES3_N6thrust23THRUST_200600_302600_NS6detail15normal_iteratorINS9_10device_ptrIdEEEENS9_16discard_iteratorINS9_11use_defaultEEEd11max_functorIdEdEEDaPvRmT3_T4_T5_mT6_P12ihipStream_tbENKUlT_T0_E_clISt17integral_constantIbLb1EESX_EEDaSS_ST_EUlSS_E_NS1_11comp_targetILNS1_3genE10ELNS1_11target_archE1201ELNS1_3gpuE5ELNS1_3repE0EEENS1_30default_config_static_selectorELNS0_4arch9wavefront6targetE1EEEvT1_: ; @_ZN7rocprim17ROCPRIM_400000_NS6detail17trampoline_kernelINS0_14default_configENS1_20scan_config_selectorIdEEZZNS1_9scan_implILNS1_25lookback_scan_determinismE0ELb1ELb1ES3_N6thrust23THRUST_200600_302600_NS6detail15normal_iteratorINS9_10device_ptrIdEEEENS9_16discard_iteratorINS9_11use_defaultEEEd11max_functorIdEdEEDaPvRmT3_T4_T5_mT6_P12ihipStream_tbENKUlT_T0_E_clISt17integral_constantIbLb1EESX_EEDaSS_ST_EUlSS_E_NS1_11comp_targetILNS1_3genE10ELNS1_11target_archE1201ELNS1_3gpuE5ELNS1_3repE0EEENS1_30default_config_static_selectorELNS0_4arch9wavefront6targetE1EEEvT1_
; %bb.0:
	.section	.rodata,"a",@progbits
	.p2align	6, 0x0
	.amdhsa_kernel _ZN7rocprim17ROCPRIM_400000_NS6detail17trampoline_kernelINS0_14default_configENS1_20scan_config_selectorIdEEZZNS1_9scan_implILNS1_25lookback_scan_determinismE0ELb1ELb1ES3_N6thrust23THRUST_200600_302600_NS6detail15normal_iteratorINS9_10device_ptrIdEEEENS9_16discard_iteratorINS9_11use_defaultEEEd11max_functorIdEdEEDaPvRmT3_T4_T5_mT6_P12ihipStream_tbENKUlT_T0_E_clISt17integral_constantIbLb1EESX_EEDaSS_ST_EUlSS_E_NS1_11comp_targetILNS1_3genE10ELNS1_11target_archE1201ELNS1_3gpuE5ELNS1_3repE0EEENS1_30default_config_static_selectorELNS0_4arch9wavefront6targetE1EEEvT1_
		.amdhsa_group_segment_fixed_size 0
		.amdhsa_private_segment_fixed_size 0
		.amdhsa_kernarg_size 112
		.amdhsa_user_sgpr_count 6
		.amdhsa_user_sgpr_private_segment_buffer 1
		.amdhsa_user_sgpr_dispatch_ptr 0
		.amdhsa_user_sgpr_queue_ptr 0
		.amdhsa_user_sgpr_kernarg_segment_ptr 1
		.amdhsa_user_sgpr_dispatch_id 0
		.amdhsa_user_sgpr_flat_scratch_init 0
		.amdhsa_user_sgpr_kernarg_preload_length 0
		.amdhsa_user_sgpr_kernarg_preload_offset 0
		.amdhsa_user_sgpr_private_segment_size 0
		.amdhsa_uses_dynamic_stack 0
		.amdhsa_system_sgpr_private_segment_wavefront_offset 0
		.amdhsa_system_sgpr_workgroup_id_x 1
		.amdhsa_system_sgpr_workgroup_id_y 0
		.amdhsa_system_sgpr_workgroup_id_z 0
		.amdhsa_system_sgpr_workgroup_info 0
		.amdhsa_system_vgpr_workitem_id 0
		.amdhsa_next_free_vgpr 1
		.amdhsa_next_free_sgpr 0
		.amdhsa_accum_offset 4
		.amdhsa_reserve_vcc 0
		.amdhsa_reserve_flat_scratch 0
		.amdhsa_float_round_mode_32 0
		.amdhsa_float_round_mode_16_64 0
		.amdhsa_float_denorm_mode_32 3
		.amdhsa_float_denorm_mode_16_64 3
		.amdhsa_dx10_clamp 1
		.amdhsa_ieee_mode 1
		.amdhsa_fp16_overflow 0
		.amdhsa_tg_split 0
		.amdhsa_exception_fp_ieee_invalid_op 0
		.amdhsa_exception_fp_denorm_src 0
		.amdhsa_exception_fp_ieee_div_zero 0
		.amdhsa_exception_fp_ieee_overflow 0
		.amdhsa_exception_fp_ieee_underflow 0
		.amdhsa_exception_fp_ieee_inexact 0
		.amdhsa_exception_int_div_zero 0
	.end_amdhsa_kernel
	.section	.text._ZN7rocprim17ROCPRIM_400000_NS6detail17trampoline_kernelINS0_14default_configENS1_20scan_config_selectorIdEEZZNS1_9scan_implILNS1_25lookback_scan_determinismE0ELb1ELb1ES3_N6thrust23THRUST_200600_302600_NS6detail15normal_iteratorINS9_10device_ptrIdEEEENS9_16discard_iteratorINS9_11use_defaultEEEd11max_functorIdEdEEDaPvRmT3_T4_T5_mT6_P12ihipStream_tbENKUlT_T0_E_clISt17integral_constantIbLb1EESX_EEDaSS_ST_EUlSS_E_NS1_11comp_targetILNS1_3genE10ELNS1_11target_archE1201ELNS1_3gpuE5ELNS1_3repE0EEENS1_30default_config_static_selectorELNS0_4arch9wavefront6targetE1EEEvT1_,"axG",@progbits,_ZN7rocprim17ROCPRIM_400000_NS6detail17trampoline_kernelINS0_14default_configENS1_20scan_config_selectorIdEEZZNS1_9scan_implILNS1_25lookback_scan_determinismE0ELb1ELb1ES3_N6thrust23THRUST_200600_302600_NS6detail15normal_iteratorINS9_10device_ptrIdEEEENS9_16discard_iteratorINS9_11use_defaultEEEd11max_functorIdEdEEDaPvRmT3_T4_T5_mT6_P12ihipStream_tbENKUlT_T0_E_clISt17integral_constantIbLb1EESX_EEDaSS_ST_EUlSS_E_NS1_11comp_targetILNS1_3genE10ELNS1_11target_archE1201ELNS1_3gpuE5ELNS1_3repE0EEENS1_30default_config_static_selectorELNS0_4arch9wavefront6targetE1EEEvT1_,comdat
.Lfunc_end3085:
	.size	_ZN7rocprim17ROCPRIM_400000_NS6detail17trampoline_kernelINS0_14default_configENS1_20scan_config_selectorIdEEZZNS1_9scan_implILNS1_25lookback_scan_determinismE0ELb1ELb1ES3_N6thrust23THRUST_200600_302600_NS6detail15normal_iteratorINS9_10device_ptrIdEEEENS9_16discard_iteratorINS9_11use_defaultEEEd11max_functorIdEdEEDaPvRmT3_T4_T5_mT6_P12ihipStream_tbENKUlT_T0_E_clISt17integral_constantIbLb1EESX_EEDaSS_ST_EUlSS_E_NS1_11comp_targetILNS1_3genE10ELNS1_11target_archE1201ELNS1_3gpuE5ELNS1_3repE0EEENS1_30default_config_static_selectorELNS0_4arch9wavefront6targetE1EEEvT1_, .Lfunc_end3085-_ZN7rocprim17ROCPRIM_400000_NS6detail17trampoline_kernelINS0_14default_configENS1_20scan_config_selectorIdEEZZNS1_9scan_implILNS1_25lookback_scan_determinismE0ELb1ELb1ES3_N6thrust23THRUST_200600_302600_NS6detail15normal_iteratorINS9_10device_ptrIdEEEENS9_16discard_iteratorINS9_11use_defaultEEEd11max_functorIdEdEEDaPvRmT3_T4_T5_mT6_P12ihipStream_tbENKUlT_T0_E_clISt17integral_constantIbLb1EESX_EEDaSS_ST_EUlSS_E_NS1_11comp_targetILNS1_3genE10ELNS1_11target_archE1201ELNS1_3gpuE5ELNS1_3repE0EEENS1_30default_config_static_selectorELNS0_4arch9wavefront6targetE1EEEvT1_
                                        ; -- End function
	.section	.AMDGPU.csdata,"",@progbits
; Kernel info:
; codeLenInByte = 0
; NumSgprs: 4
; NumVgprs: 0
; NumAgprs: 0
; TotalNumVgprs: 0
; ScratchSize: 0
; MemoryBound: 0
; FloatMode: 240
; IeeeMode: 1
; LDSByteSize: 0 bytes/workgroup (compile time only)
; SGPRBlocks: 0
; VGPRBlocks: 0
; NumSGPRsForWavesPerEU: 4
; NumVGPRsForWavesPerEU: 1
; AccumOffset: 4
; Occupancy: 8
; WaveLimiterHint : 0
; COMPUTE_PGM_RSRC2:SCRATCH_EN: 0
; COMPUTE_PGM_RSRC2:USER_SGPR: 6
; COMPUTE_PGM_RSRC2:TRAP_HANDLER: 0
; COMPUTE_PGM_RSRC2:TGID_X_EN: 1
; COMPUTE_PGM_RSRC2:TGID_Y_EN: 0
; COMPUTE_PGM_RSRC2:TGID_Z_EN: 0
; COMPUTE_PGM_RSRC2:TIDIG_COMP_CNT: 0
; COMPUTE_PGM_RSRC3_GFX90A:ACCUM_OFFSET: 0
; COMPUTE_PGM_RSRC3_GFX90A:TG_SPLIT: 0
	.section	.text._ZN7rocprim17ROCPRIM_400000_NS6detail17trampoline_kernelINS0_14default_configENS1_20scan_config_selectorIdEEZZNS1_9scan_implILNS1_25lookback_scan_determinismE0ELb1ELb1ES3_N6thrust23THRUST_200600_302600_NS6detail15normal_iteratorINS9_10device_ptrIdEEEENS9_16discard_iteratorINS9_11use_defaultEEEd11max_functorIdEdEEDaPvRmT3_T4_T5_mT6_P12ihipStream_tbENKUlT_T0_E_clISt17integral_constantIbLb1EESX_EEDaSS_ST_EUlSS_E_NS1_11comp_targetILNS1_3genE10ELNS1_11target_archE1200ELNS1_3gpuE4ELNS1_3repE0EEENS1_30default_config_static_selectorELNS0_4arch9wavefront6targetE1EEEvT1_,"axG",@progbits,_ZN7rocprim17ROCPRIM_400000_NS6detail17trampoline_kernelINS0_14default_configENS1_20scan_config_selectorIdEEZZNS1_9scan_implILNS1_25lookback_scan_determinismE0ELb1ELb1ES3_N6thrust23THRUST_200600_302600_NS6detail15normal_iteratorINS9_10device_ptrIdEEEENS9_16discard_iteratorINS9_11use_defaultEEEd11max_functorIdEdEEDaPvRmT3_T4_T5_mT6_P12ihipStream_tbENKUlT_T0_E_clISt17integral_constantIbLb1EESX_EEDaSS_ST_EUlSS_E_NS1_11comp_targetILNS1_3genE10ELNS1_11target_archE1200ELNS1_3gpuE4ELNS1_3repE0EEENS1_30default_config_static_selectorELNS0_4arch9wavefront6targetE1EEEvT1_,comdat
	.protected	_ZN7rocprim17ROCPRIM_400000_NS6detail17trampoline_kernelINS0_14default_configENS1_20scan_config_selectorIdEEZZNS1_9scan_implILNS1_25lookback_scan_determinismE0ELb1ELb1ES3_N6thrust23THRUST_200600_302600_NS6detail15normal_iteratorINS9_10device_ptrIdEEEENS9_16discard_iteratorINS9_11use_defaultEEEd11max_functorIdEdEEDaPvRmT3_T4_T5_mT6_P12ihipStream_tbENKUlT_T0_E_clISt17integral_constantIbLb1EESX_EEDaSS_ST_EUlSS_E_NS1_11comp_targetILNS1_3genE10ELNS1_11target_archE1200ELNS1_3gpuE4ELNS1_3repE0EEENS1_30default_config_static_selectorELNS0_4arch9wavefront6targetE1EEEvT1_ ; -- Begin function _ZN7rocprim17ROCPRIM_400000_NS6detail17trampoline_kernelINS0_14default_configENS1_20scan_config_selectorIdEEZZNS1_9scan_implILNS1_25lookback_scan_determinismE0ELb1ELb1ES3_N6thrust23THRUST_200600_302600_NS6detail15normal_iteratorINS9_10device_ptrIdEEEENS9_16discard_iteratorINS9_11use_defaultEEEd11max_functorIdEdEEDaPvRmT3_T4_T5_mT6_P12ihipStream_tbENKUlT_T0_E_clISt17integral_constantIbLb1EESX_EEDaSS_ST_EUlSS_E_NS1_11comp_targetILNS1_3genE10ELNS1_11target_archE1200ELNS1_3gpuE4ELNS1_3repE0EEENS1_30default_config_static_selectorELNS0_4arch9wavefront6targetE1EEEvT1_
	.globl	_ZN7rocprim17ROCPRIM_400000_NS6detail17trampoline_kernelINS0_14default_configENS1_20scan_config_selectorIdEEZZNS1_9scan_implILNS1_25lookback_scan_determinismE0ELb1ELb1ES3_N6thrust23THRUST_200600_302600_NS6detail15normal_iteratorINS9_10device_ptrIdEEEENS9_16discard_iteratorINS9_11use_defaultEEEd11max_functorIdEdEEDaPvRmT3_T4_T5_mT6_P12ihipStream_tbENKUlT_T0_E_clISt17integral_constantIbLb1EESX_EEDaSS_ST_EUlSS_E_NS1_11comp_targetILNS1_3genE10ELNS1_11target_archE1200ELNS1_3gpuE4ELNS1_3repE0EEENS1_30default_config_static_selectorELNS0_4arch9wavefront6targetE1EEEvT1_
	.p2align	8
	.type	_ZN7rocprim17ROCPRIM_400000_NS6detail17trampoline_kernelINS0_14default_configENS1_20scan_config_selectorIdEEZZNS1_9scan_implILNS1_25lookback_scan_determinismE0ELb1ELb1ES3_N6thrust23THRUST_200600_302600_NS6detail15normal_iteratorINS9_10device_ptrIdEEEENS9_16discard_iteratorINS9_11use_defaultEEEd11max_functorIdEdEEDaPvRmT3_T4_T5_mT6_P12ihipStream_tbENKUlT_T0_E_clISt17integral_constantIbLb1EESX_EEDaSS_ST_EUlSS_E_NS1_11comp_targetILNS1_3genE10ELNS1_11target_archE1200ELNS1_3gpuE4ELNS1_3repE0EEENS1_30default_config_static_selectorELNS0_4arch9wavefront6targetE1EEEvT1_,@function
_ZN7rocprim17ROCPRIM_400000_NS6detail17trampoline_kernelINS0_14default_configENS1_20scan_config_selectorIdEEZZNS1_9scan_implILNS1_25lookback_scan_determinismE0ELb1ELb1ES3_N6thrust23THRUST_200600_302600_NS6detail15normal_iteratorINS9_10device_ptrIdEEEENS9_16discard_iteratorINS9_11use_defaultEEEd11max_functorIdEdEEDaPvRmT3_T4_T5_mT6_P12ihipStream_tbENKUlT_T0_E_clISt17integral_constantIbLb1EESX_EEDaSS_ST_EUlSS_E_NS1_11comp_targetILNS1_3genE10ELNS1_11target_archE1200ELNS1_3gpuE4ELNS1_3repE0EEENS1_30default_config_static_selectorELNS0_4arch9wavefront6targetE1EEEvT1_: ; @_ZN7rocprim17ROCPRIM_400000_NS6detail17trampoline_kernelINS0_14default_configENS1_20scan_config_selectorIdEEZZNS1_9scan_implILNS1_25lookback_scan_determinismE0ELb1ELb1ES3_N6thrust23THRUST_200600_302600_NS6detail15normal_iteratorINS9_10device_ptrIdEEEENS9_16discard_iteratorINS9_11use_defaultEEEd11max_functorIdEdEEDaPvRmT3_T4_T5_mT6_P12ihipStream_tbENKUlT_T0_E_clISt17integral_constantIbLb1EESX_EEDaSS_ST_EUlSS_E_NS1_11comp_targetILNS1_3genE10ELNS1_11target_archE1200ELNS1_3gpuE4ELNS1_3repE0EEENS1_30default_config_static_selectorELNS0_4arch9wavefront6targetE1EEEvT1_
; %bb.0:
	.section	.rodata,"a",@progbits
	.p2align	6, 0x0
	.amdhsa_kernel _ZN7rocprim17ROCPRIM_400000_NS6detail17trampoline_kernelINS0_14default_configENS1_20scan_config_selectorIdEEZZNS1_9scan_implILNS1_25lookback_scan_determinismE0ELb1ELb1ES3_N6thrust23THRUST_200600_302600_NS6detail15normal_iteratorINS9_10device_ptrIdEEEENS9_16discard_iteratorINS9_11use_defaultEEEd11max_functorIdEdEEDaPvRmT3_T4_T5_mT6_P12ihipStream_tbENKUlT_T0_E_clISt17integral_constantIbLb1EESX_EEDaSS_ST_EUlSS_E_NS1_11comp_targetILNS1_3genE10ELNS1_11target_archE1200ELNS1_3gpuE4ELNS1_3repE0EEENS1_30default_config_static_selectorELNS0_4arch9wavefront6targetE1EEEvT1_
		.amdhsa_group_segment_fixed_size 0
		.amdhsa_private_segment_fixed_size 0
		.amdhsa_kernarg_size 112
		.amdhsa_user_sgpr_count 6
		.amdhsa_user_sgpr_private_segment_buffer 1
		.amdhsa_user_sgpr_dispatch_ptr 0
		.amdhsa_user_sgpr_queue_ptr 0
		.amdhsa_user_sgpr_kernarg_segment_ptr 1
		.amdhsa_user_sgpr_dispatch_id 0
		.amdhsa_user_sgpr_flat_scratch_init 0
		.amdhsa_user_sgpr_kernarg_preload_length 0
		.amdhsa_user_sgpr_kernarg_preload_offset 0
		.amdhsa_user_sgpr_private_segment_size 0
		.amdhsa_uses_dynamic_stack 0
		.amdhsa_system_sgpr_private_segment_wavefront_offset 0
		.amdhsa_system_sgpr_workgroup_id_x 1
		.amdhsa_system_sgpr_workgroup_id_y 0
		.amdhsa_system_sgpr_workgroup_id_z 0
		.amdhsa_system_sgpr_workgroup_info 0
		.amdhsa_system_vgpr_workitem_id 0
		.amdhsa_next_free_vgpr 1
		.amdhsa_next_free_sgpr 0
		.amdhsa_accum_offset 4
		.amdhsa_reserve_vcc 0
		.amdhsa_reserve_flat_scratch 0
		.amdhsa_float_round_mode_32 0
		.amdhsa_float_round_mode_16_64 0
		.amdhsa_float_denorm_mode_32 3
		.amdhsa_float_denorm_mode_16_64 3
		.amdhsa_dx10_clamp 1
		.amdhsa_ieee_mode 1
		.amdhsa_fp16_overflow 0
		.amdhsa_tg_split 0
		.amdhsa_exception_fp_ieee_invalid_op 0
		.amdhsa_exception_fp_denorm_src 0
		.amdhsa_exception_fp_ieee_div_zero 0
		.amdhsa_exception_fp_ieee_overflow 0
		.amdhsa_exception_fp_ieee_underflow 0
		.amdhsa_exception_fp_ieee_inexact 0
		.amdhsa_exception_int_div_zero 0
	.end_amdhsa_kernel
	.section	.text._ZN7rocprim17ROCPRIM_400000_NS6detail17trampoline_kernelINS0_14default_configENS1_20scan_config_selectorIdEEZZNS1_9scan_implILNS1_25lookback_scan_determinismE0ELb1ELb1ES3_N6thrust23THRUST_200600_302600_NS6detail15normal_iteratorINS9_10device_ptrIdEEEENS9_16discard_iteratorINS9_11use_defaultEEEd11max_functorIdEdEEDaPvRmT3_T4_T5_mT6_P12ihipStream_tbENKUlT_T0_E_clISt17integral_constantIbLb1EESX_EEDaSS_ST_EUlSS_E_NS1_11comp_targetILNS1_3genE10ELNS1_11target_archE1200ELNS1_3gpuE4ELNS1_3repE0EEENS1_30default_config_static_selectorELNS0_4arch9wavefront6targetE1EEEvT1_,"axG",@progbits,_ZN7rocprim17ROCPRIM_400000_NS6detail17trampoline_kernelINS0_14default_configENS1_20scan_config_selectorIdEEZZNS1_9scan_implILNS1_25lookback_scan_determinismE0ELb1ELb1ES3_N6thrust23THRUST_200600_302600_NS6detail15normal_iteratorINS9_10device_ptrIdEEEENS9_16discard_iteratorINS9_11use_defaultEEEd11max_functorIdEdEEDaPvRmT3_T4_T5_mT6_P12ihipStream_tbENKUlT_T0_E_clISt17integral_constantIbLb1EESX_EEDaSS_ST_EUlSS_E_NS1_11comp_targetILNS1_3genE10ELNS1_11target_archE1200ELNS1_3gpuE4ELNS1_3repE0EEENS1_30default_config_static_selectorELNS0_4arch9wavefront6targetE1EEEvT1_,comdat
.Lfunc_end3086:
	.size	_ZN7rocprim17ROCPRIM_400000_NS6detail17trampoline_kernelINS0_14default_configENS1_20scan_config_selectorIdEEZZNS1_9scan_implILNS1_25lookback_scan_determinismE0ELb1ELb1ES3_N6thrust23THRUST_200600_302600_NS6detail15normal_iteratorINS9_10device_ptrIdEEEENS9_16discard_iteratorINS9_11use_defaultEEEd11max_functorIdEdEEDaPvRmT3_T4_T5_mT6_P12ihipStream_tbENKUlT_T0_E_clISt17integral_constantIbLb1EESX_EEDaSS_ST_EUlSS_E_NS1_11comp_targetILNS1_3genE10ELNS1_11target_archE1200ELNS1_3gpuE4ELNS1_3repE0EEENS1_30default_config_static_selectorELNS0_4arch9wavefront6targetE1EEEvT1_, .Lfunc_end3086-_ZN7rocprim17ROCPRIM_400000_NS6detail17trampoline_kernelINS0_14default_configENS1_20scan_config_selectorIdEEZZNS1_9scan_implILNS1_25lookback_scan_determinismE0ELb1ELb1ES3_N6thrust23THRUST_200600_302600_NS6detail15normal_iteratorINS9_10device_ptrIdEEEENS9_16discard_iteratorINS9_11use_defaultEEEd11max_functorIdEdEEDaPvRmT3_T4_T5_mT6_P12ihipStream_tbENKUlT_T0_E_clISt17integral_constantIbLb1EESX_EEDaSS_ST_EUlSS_E_NS1_11comp_targetILNS1_3genE10ELNS1_11target_archE1200ELNS1_3gpuE4ELNS1_3repE0EEENS1_30default_config_static_selectorELNS0_4arch9wavefront6targetE1EEEvT1_
                                        ; -- End function
	.section	.AMDGPU.csdata,"",@progbits
; Kernel info:
; codeLenInByte = 0
; NumSgprs: 4
; NumVgprs: 0
; NumAgprs: 0
; TotalNumVgprs: 0
; ScratchSize: 0
; MemoryBound: 0
; FloatMode: 240
; IeeeMode: 1
; LDSByteSize: 0 bytes/workgroup (compile time only)
; SGPRBlocks: 0
; VGPRBlocks: 0
; NumSGPRsForWavesPerEU: 4
; NumVGPRsForWavesPerEU: 1
; AccumOffset: 4
; Occupancy: 8
; WaveLimiterHint : 0
; COMPUTE_PGM_RSRC2:SCRATCH_EN: 0
; COMPUTE_PGM_RSRC2:USER_SGPR: 6
; COMPUTE_PGM_RSRC2:TRAP_HANDLER: 0
; COMPUTE_PGM_RSRC2:TGID_X_EN: 1
; COMPUTE_PGM_RSRC2:TGID_Y_EN: 0
; COMPUTE_PGM_RSRC2:TGID_Z_EN: 0
; COMPUTE_PGM_RSRC2:TIDIG_COMP_CNT: 0
; COMPUTE_PGM_RSRC3_GFX90A:ACCUM_OFFSET: 0
; COMPUTE_PGM_RSRC3_GFX90A:TG_SPLIT: 0
	.section	.text._ZN7rocprim17ROCPRIM_400000_NS6detail17trampoline_kernelINS0_14default_configENS1_20scan_config_selectorIdEEZZNS1_9scan_implILNS1_25lookback_scan_determinismE0ELb1ELb1ES3_N6thrust23THRUST_200600_302600_NS6detail15normal_iteratorINS9_10device_ptrIdEEEENS9_16discard_iteratorINS9_11use_defaultEEEd11max_functorIdEdEEDaPvRmT3_T4_T5_mT6_P12ihipStream_tbENKUlT_T0_E_clISt17integral_constantIbLb1EESX_EEDaSS_ST_EUlSS_E_NS1_11comp_targetILNS1_3genE9ELNS1_11target_archE1100ELNS1_3gpuE3ELNS1_3repE0EEENS1_30default_config_static_selectorELNS0_4arch9wavefront6targetE1EEEvT1_,"axG",@progbits,_ZN7rocprim17ROCPRIM_400000_NS6detail17trampoline_kernelINS0_14default_configENS1_20scan_config_selectorIdEEZZNS1_9scan_implILNS1_25lookback_scan_determinismE0ELb1ELb1ES3_N6thrust23THRUST_200600_302600_NS6detail15normal_iteratorINS9_10device_ptrIdEEEENS9_16discard_iteratorINS9_11use_defaultEEEd11max_functorIdEdEEDaPvRmT3_T4_T5_mT6_P12ihipStream_tbENKUlT_T0_E_clISt17integral_constantIbLb1EESX_EEDaSS_ST_EUlSS_E_NS1_11comp_targetILNS1_3genE9ELNS1_11target_archE1100ELNS1_3gpuE3ELNS1_3repE0EEENS1_30default_config_static_selectorELNS0_4arch9wavefront6targetE1EEEvT1_,comdat
	.protected	_ZN7rocprim17ROCPRIM_400000_NS6detail17trampoline_kernelINS0_14default_configENS1_20scan_config_selectorIdEEZZNS1_9scan_implILNS1_25lookback_scan_determinismE0ELb1ELb1ES3_N6thrust23THRUST_200600_302600_NS6detail15normal_iteratorINS9_10device_ptrIdEEEENS9_16discard_iteratorINS9_11use_defaultEEEd11max_functorIdEdEEDaPvRmT3_T4_T5_mT6_P12ihipStream_tbENKUlT_T0_E_clISt17integral_constantIbLb1EESX_EEDaSS_ST_EUlSS_E_NS1_11comp_targetILNS1_3genE9ELNS1_11target_archE1100ELNS1_3gpuE3ELNS1_3repE0EEENS1_30default_config_static_selectorELNS0_4arch9wavefront6targetE1EEEvT1_ ; -- Begin function _ZN7rocprim17ROCPRIM_400000_NS6detail17trampoline_kernelINS0_14default_configENS1_20scan_config_selectorIdEEZZNS1_9scan_implILNS1_25lookback_scan_determinismE0ELb1ELb1ES3_N6thrust23THRUST_200600_302600_NS6detail15normal_iteratorINS9_10device_ptrIdEEEENS9_16discard_iteratorINS9_11use_defaultEEEd11max_functorIdEdEEDaPvRmT3_T4_T5_mT6_P12ihipStream_tbENKUlT_T0_E_clISt17integral_constantIbLb1EESX_EEDaSS_ST_EUlSS_E_NS1_11comp_targetILNS1_3genE9ELNS1_11target_archE1100ELNS1_3gpuE3ELNS1_3repE0EEENS1_30default_config_static_selectorELNS0_4arch9wavefront6targetE1EEEvT1_
	.globl	_ZN7rocprim17ROCPRIM_400000_NS6detail17trampoline_kernelINS0_14default_configENS1_20scan_config_selectorIdEEZZNS1_9scan_implILNS1_25lookback_scan_determinismE0ELb1ELb1ES3_N6thrust23THRUST_200600_302600_NS6detail15normal_iteratorINS9_10device_ptrIdEEEENS9_16discard_iteratorINS9_11use_defaultEEEd11max_functorIdEdEEDaPvRmT3_T4_T5_mT6_P12ihipStream_tbENKUlT_T0_E_clISt17integral_constantIbLb1EESX_EEDaSS_ST_EUlSS_E_NS1_11comp_targetILNS1_3genE9ELNS1_11target_archE1100ELNS1_3gpuE3ELNS1_3repE0EEENS1_30default_config_static_selectorELNS0_4arch9wavefront6targetE1EEEvT1_
	.p2align	8
	.type	_ZN7rocprim17ROCPRIM_400000_NS6detail17trampoline_kernelINS0_14default_configENS1_20scan_config_selectorIdEEZZNS1_9scan_implILNS1_25lookback_scan_determinismE0ELb1ELb1ES3_N6thrust23THRUST_200600_302600_NS6detail15normal_iteratorINS9_10device_ptrIdEEEENS9_16discard_iteratorINS9_11use_defaultEEEd11max_functorIdEdEEDaPvRmT3_T4_T5_mT6_P12ihipStream_tbENKUlT_T0_E_clISt17integral_constantIbLb1EESX_EEDaSS_ST_EUlSS_E_NS1_11comp_targetILNS1_3genE9ELNS1_11target_archE1100ELNS1_3gpuE3ELNS1_3repE0EEENS1_30default_config_static_selectorELNS0_4arch9wavefront6targetE1EEEvT1_,@function
_ZN7rocprim17ROCPRIM_400000_NS6detail17trampoline_kernelINS0_14default_configENS1_20scan_config_selectorIdEEZZNS1_9scan_implILNS1_25lookback_scan_determinismE0ELb1ELb1ES3_N6thrust23THRUST_200600_302600_NS6detail15normal_iteratorINS9_10device_ptrIdEEEENS9_16discard_iteratorINS9_11use_defaultEEEd11max_functorIdEdEEDaPvRmT3_T4_T5_mT6_P12ihipStream_tbENKUlT_T0_E_clISt17integral_constantIbLb1EESX_EEDaSS_ST_EUlSS_E_NS1_11comp_targetILNS1_3genE9ELNS1_11target_archE1100ELNS1_3gpuE3ELNS1_3repE0EEENS1_30default_config_static_selectorELNS0_4arch9wavefront6targetE1EEEvT1_: ; @_ZN7rocprim17ROCPRIM_400000_NS6detail17trampoline_kernelINS0_14default_configENS1_20scan_config_selectorIdEEZZNS1_9scan_implILNS1_25lookback_scan_determinismE0ELb1ELb1ES3_N6thrust23THRUST_200600_302600_NS6detail15normal_iteratorINS9_10device_ptrIdEEEENS9_16discard_iteratorINS9_11use_defaultEEEd11max_functorIdEdEEDaPvRmT3_T4_T5_mT6_P12ihipStream_tbENKUlT_T0_E_clISt17integral_constantIbLb1EESX_EEDaSS_ST_EUlSS_E_NS1_11comp_targetILNS1_3genE9ELNS1_11target_archE1100ELNS1_3gpuE3ELNS1_3repE0EEENS1_30default_config_static_selectorELNS0_4arch9wavefront6targetE1EEEvT1_
; %bb.0:
	.section	.rodata,"a",@progbits
	.p2align	6, 0x0
	.amdhsa_kernel _ZN7rocprim17ROCPRIM_400000_NS6detail17trampoline_kernelINS0_14default_configENS1_20scan_config_selectorIdEEZZNS1_9scan_implILNS1_25lookback_scan_determinismE0ELb1ELb1ES3_N6thrust23THRUST_200600_302600_NS6detail15normal_iteratorINS9_10device_ptrIdEEEENS9_16discard_iteratorINS9_11use_defaultEEEd11max_functorIdEdEEDaPvRmT3_T4_T5_mT6_P12ihipStream_tbENKUlT_T0_E_clISt17integral_constantIbLb1EESX_EEDaSS_ST_EUlSS_E_NS1_11comp_targetILNS1_3genE9ELNS1_11target_archE1100ELNS1_3gpuE3ELNS1_3repE0EEENS1_30default_config_static_selectorELNS0_4arch9wavefront6targetE1EEEvT1_
		.amdhsa_group_segment_fixed_size 0
		.amdhsa_private_segment_fixed_size 0
		.amdhsa_kernarg_size 112
		.amdhsa_user_sgpr_count 6
		.amdhsa_user_sgpr_private_segment_buffer 1
		.amdhsa_user_sgpr_dispatch_ptr 0
		.amdhsa_user_sgpr_queue_ptr 0
		.amdhsa_user_sgpr_kernarg_segment_ptr 1
		.amdhsa_user_sgpr_dispatch_id 0
		.amdhsa_user_sgpr_flat_scratch_init 0
		.amdhsa_user_sgpr_kernarg_preload_length 0
		.amdhsa_user_sgpr_kernarg_preload_offset 0
		.amdhsa_user_sgpr_private_segment_size 0
		.amdhsa_uses_dynamic_stack 0
		.amdhsa_system_sgpr_private_segment_wavefront_offset 0
		.amdhsa_system_sgpr_workgroup_id_x 1
		.amdhsa_system_sgpr_workgroup_id_y 0
		.amdhsa_system_sgpr_workgroup_id_z 0
		.amdhsa_system_sgpr_workgroup_info 0
		.amdhsa_system_vgpr_workitem_id 0
		.amdhsa_next_free_vgpr 1
		.amdhsa_next_free_sgpr 0
		.amdhsa_accum_offset 4
		.amdhsa_reserve_vcc 0
		.amdhsa_reserve_flat_scratch 0
		.amdhsa_float_round_mode_32 0
		.amdhsa_float_round_mode_16_64 0
		.amdhsa_float_denorm_mode_32 3
		.amdhsa_float_denorm_mode_16_64 3
		.amdhsa_dx10_clamp 1
		.amdhsa_ieee_mode 1
		.amdhsa_fp16_overflow 0
		.amdhsa_tg_split 0
		.amdhsa_exception_fp_ieee_invalid_op 0
		.amdhsa_exception_fp_denorm_src 0
		.amdhsa_exception_fp_ieee_div_zero 0
		.amdhsa_exception_fp_ieee_overflow 0
		.amdhsa_exception_fp_ieee_underflow 0
		.amdhsa_exception_fp_ieee_inexact 0
		.amdhsa_exception_int_div_zero 0
	.end_amdhsa_kernel
	.section	.text._ZN7rocprim17ROCPRIM_400000_NS6detail17trampoline_kernelINS0_14default_configENS1_20scan_config_selectorIdEEZZNS1_9scan_implILNS1_25lookback_scan_determinismE0ELb1ELb1ES3_N6thrust23THRUST_200600_302600_NS6detail15normal_iteratorINS9_10device_ptrIdEEEENS9_16discard_iteratorINS9_11use_defaultEEEd11max_functorIdEdEEDaPvRmT3_T4_T5_mT6_P12ihipStream_tbENKUlT_T0_E_clISt17integral_constantIbLb1EESX_EEDaSS_ST_EUlSS_E_NS1_11comp_targetILNS1_3genE9ELNS1_11target_archE1100ELNS1_3gpuE3ELNS1_3repE0EEENS1_30default_config_static_selectorELNS0_4arch9wavefront6targetE1EEEvT1_,"axG",@progbits,_ZN7rocprim17ROCPRIM_400000_NS6detail17trampoline_kernelINS0_14default_configENS1_20scan_config_selectorIdEEZZNS1_9scan_implILNS1_25lookback_scan_determinismE0ELb1ELb1ES3_N6thrust23THRUST_200600_302600_NS6detail15normal_iteratorINS9_10device_ptrIdEEEENS9_16discard_iteratorINS9_11use_defaultEEEd11max_functorIdEdEEDaPvRmT3_T4_T5_mT6_P12ihipStream_tbENKUlT_T0_E_clISt17integral_constantIbLb1EESX_EEDaSS_ST_EUlSS_E_NS1_11comp_targetILNS1_3genE9ELNS1_11target_archE1100ELNS1_3gpuE3ELNS1_3repE0EEENS1_30default_config_static_selectorELNS0_4arch9wavefront6targetE1EEEvT1_,comdat
.Lfunc_end3087:
	.size	_ZN7rocprim17ROCPRIM_400000_NS6detail17trampoline_kernelINS0_14default_configENS1_20scan_config_selectorIdEEZZNS1_9scan_implILNS1_25lookback_scan_determinismE0ELb1ELb1ES3_N6thrust23THRUST_200600_302600_NS6detail15normal_iteratorINS9_10device_ptrIdEEEENS9_16discard_iteratorINS9_11use_defaultEEEd11max_functorIdEdEEDaPvRmT3_T4_T5_mT6_P12ihipStream_tbENKUlT_T0_E_clISt17integral_constantIbLb1EESX_EEDaSS_ST_EUlSS_E_NS1_11comp_targetILNS1_3genE9ELNS1_11target_archE1100ELNS1_3gpuE3ELNS1_3repE0EEENS1_30default_config_static_selectorELNS0_4arch9wavefront6targetE1EEEvT1_, .Lfunc_end3087-_ZN7rocprim17ROCPRIM_400000_NS6detail17trampoline_kernelINS0_14default_configENS1_20scan_config_selectorIdEEZZNS1_9scan_implILNS1_25lookback_scan_determinismE0ELb1ELb1ES3_N6thrust23THRUST_200600_302600_NS6detail15normal_iteratorINS9_10device_ptrIdEEEENS9_16discard_iteratorINS9_11use_defaultEEEd11max_functorIdEdEEDaPvRmT3_T4_T5_mT6_P12ihipStream_tbENKUlT_T0_E_clISt17integral_constantIbLb1EESX_EEDaSS_ST_EUlSS_E_NS1_11comp_targetILNS1_3genE9ELNS1_11target_archE1100ELNS1_3gpuE3ELNS1_3repE0EEENS1_30default_config_static_selectorELNS0_4arch9wavefront6targetE1EEEvT1_
                                        ; -- End function
	.section	.AMDGPU.csdata,"",@progbits
; Kernel info:
; codeLenInByte = 0
; NumSgprs: 4
; NumVgprs: 0
; NumAgprs: 0
; TotalNumVgprs: 0
; ScratchSize: 0
; MemoryBound: 0
; FloatMode: 240
; IeeeMode: 1
; LDSByteSize: 0 bytes/workgroup (compile time only)
; SGPRBlocks: 0
; VGPRBlocks: 0
; NumSGPRsForWavesPerEU: 4
; NumVGPRsForWavesPerEU: 1
; AccumOffset: 4
; Occupancy: 8
; WaveLimiterHint : 0
; COMPUTE_PGM_RSRC2:SCRATCH_EN: 0
; COMPUTE_PGM_RSRC2:USER_SGPR: 6
; COMPUTE_PGM_RSRC2:TRAP_HANDLER: 0
; COMPUTE_PGM_RSRC2:TGID_X_EN: 1
; COMPUTE_PGM_RSRC2:TGID_Y_EN: 0
; COMPUTE_PGM_RSRC2:TGID_Z_EN: 0
; COMPUTE_PGM_RSRC2:TIDIG_COMP_CNT: 0
; COMPUTE_PGM_RSRC3_GFX90A:ACCUM_OFFSET: 0
; COMPUTE_PGM_RSRC3_GFX90A:TG_SPLIT: 0
	.section	.text._ZN7rocprim17ROCPRIM_400000_NS6detail17trampoline_kernelINS0_14default_configENS1_20scan_config_selectorIdEEZZNS1_9scan_implILNS1_25lookback_scan_determinismE0ELb1ELb1ES3_N6thrust23THRUST_200600_302600_NS6detail15normal_iteratorINS9_10device_ptrIdEEEENS9_16discard_iteratorINS9_11use_defaultEEEd11max_functorIdEdEEDaPvRmT3_T4_T5_mT6_P12ihipStream_tbENKUlT_T0_E_clISt17integral_constantIbLb1EESX_EEDaSS_ST_EUlSS_E_NS1_11comp_targetILNS1_3genE8ELNS1_11target_archE1030ELNS1_3gpuE2ELNS1_3repE0EEENS1_30default_config_static_selectorELNS0_4arch9wavefront6targetE1EEEvT1_,"axG",@progbits,_ZN7rocprim17ROCPRIM_400000_NS6detail17trampoline_kernelINS0_14default_configENS1_20scan_config_selectorIdEEZZNS1_9scan_implILNS1_25lookback_scan_determinismE0ELb1ELb1ES3_N6thrust23THRUST_200600_302600_NS6detail15normal_iteratorINS9_10device_ptrIdEEEENS9_16discard_iteratorINS9_11use_defaultEEEd11max_functorIdEdEEDaPvRmT3_T4_T5_mT6_P12ihipStream_tbENKUlT_T0_E_clISt17integral_constantIbLb1EESX_EEDaSS_ST_EUlSS_E_NS1_11comp_targetILNS1_3genE8ELNS1_11target_archE1030ELNS1_3gpuE2ELNS1_3repE0EEENS1_30default_config_static_selectorELNS0_4arch9wavefront6targetE1EEEvT1_,comdat
	.protected	_ZN7rocprim17ROCPRIM_400000_NS6detail17trampoline_kernelINS0_14default_configENS1_20scan_config_selectorIdEEZZNS1_9scan_implILNS1_25lookback_scan_determinismE0ELb1ELb1ES3_N6thrust23THRUST_200600_302600_NS6detail15normal_iteratorINS9_10device_ptrIdEEEENS9_16discard_iteratorINS9_11use_defaultEEEd11max_functorIdEdEEDaPvRmT3_T4_T5_mT6_P12ihipStream_tbENKUlT_T0_E_clISt17integral_constantIbLb1EESX_EEDaSS_ST_EUlSS_E_NS1_11comp_targetILNS1_3genE8ELNS1_11target_archE1030ELNS1_3gpuE2ELNS1_3repE0EEENS1_30default_config_static_selectorELNS0_4arch9wavefront6targetE1EEEvT1_ ; -- Begin function _ZN7rocprim17ROCPRIM_400000_NS6detail17trampoline_kernelINS0_14default_configENS1_20scan_config_selectorIdEEZZNS1_9scan_implILNS1_25lookback_scan_determinismE0ELb1ELb1ES3_N6thrust23THRUST_200600_302600_NS6detail15normal_iteratorINS9_10device_ptrIdEEEENS9_16discard_iteratorINS9_11use_defaultEEEd11max_functorIdEdEEDaPvRmT3_T4_T5_mT6_P12ihipStream_tbENKUlT_T0_E_clISt17integral_constantIbLb1EESX_EEDaSS_ST_EUlSS_E_NS1_11comp_targetILNS1_3genE8ELNS1_11target_archE1030ELNS1_3gpuE2ELNS1_3repE0EEENS1_30default_config_static_selectorELNS0_4arch9wavefront6targetE1EEEvT1_
	.globl	_ZN7rocprim17ROCPRIM_400000_NS6detail17trampoline_kernelINS0_14default_configENS1_20scan_config_selectorIdEEZZNS1_9scan_implILNS1_25lookback_scan_determinismE0ELb1ELb1ES3_N6thrust23THRUST_200600_302600_NS6detail15normal_iteratorINS9_10device_ptrIdEEEENS9_16discard_iteratorINS9_11use_defaultEEEd11max_functorIdEdEEDaPvRmT3_T4_T5_mT6_P12ihipStream_tbENKUlT_T0_E_clISt17integral_constantIbLb1EESX_EEDaSS_ST_EUlSS_E_NS1_11comp_targetILNS1_3genE8ELNS1_11target_archE1030ELNS1_3gpuE2ELNS1_3repE0EEENS1_30default_config_static_selectorELNS0_4arch9wavefront6targetE1EEEvT1_
	.p2align	8
	.type	_ZN7rocprim17ROCPRIM_400000_NS6detail17trampoline_kernelINS0_14default_configENS1_20scan_config_selectorIdEEZZNS1_9scan_implILNS1_25lookback_scan_determinismE0ELb1ELb1ES3_N6thrust23THRUST_200600_302600_NS6detail15normal_iteratorINS9_10device_ptrIdEEEENS9_16discard_iteratorINS9_11use_defaultEEEd11max_functorIdEdEEDaPvRmT3_T4_T5_mT6_P12ihipStream_tbENKUlT_T0_E_clISt17integral_constantIbLb1EESX_EEDaSS_ST_EUlSS_E_NS1_11comp_targetILNS1_3genE8ELNS1_11target_archE1030ELNS1_3gpuE2ELNS1_3repE0EEENS1_30default_config_static_selectorELNS0_4arch9wavefront6targetE1EEEvT1_,@function
_ZN7rocprim17ROCPRIM_400000_NS6detail17trampoline_kernelINS0_14default_configENS1_20scan_config_selectorIdEEZZNS1_9scan_implILNS1_25lookback_scan_determinismE0ELb1ELb1ES3_N6thrust23THRUST_200600_302600_NS6detail15normal_iteratorINS9_10device_ptrIdEEEENS9_16discard_iteratorINS9_11use_defaultEEEd11max_functorIdEdEEDaPvRmT3_T4_T5_mT6_P12ihipStream_tbENKUlT_T0_E_clISt17integral_constantIbLb1EESX_EEDaSS_ST_EUlSS_E_NS1_11comp_targetILNS1_3genE8ELNS1_11target_archE1030ELNS1_3gpuE2ELNS1_3repE0EEENS1_30default_config_static_selectorELNS0_4arch9wavefront6targetE1EEEvT1_: ; @_ZN7rocprim17ROCPRIM_400000_NS6detail17trampoline_kernelINS0_14default_configENS1_20scan_config_selectorIdEEZZNS1_9scan_implILNS1_25lookback_scan_determinismE0ELb1ELb1ES3_N6thrust23THRUST_200600_302600_NS6detail15normal_iteratorINS9_10device_ptrIdEEEENS9_16discard_iteratorINS9_11use_defaultEEEd11max_functorIdEdEEDaPvRmT3_T4_T5_mT6_P12ihipStream_tbENKUlT_T0_E_clISt17integral_constantIbLb1EESX_EEDaSS_ST_EUlSS_E_NS1_11comp_targetILNS1_3genE8ELNS1_11target_archE1030ELNS1_3gpuE2ELNS1_3repE0EEENS1_30default_config_static_selectorELNS0_4arch9wavefront6targetE1EEEvT1_
; %bb.0:
	.section	.rodata,"a",@progbits
	.p2align	6, 0x0
	.amdhsa_kernel _ZN7rocprim17ROCPRIM_400000_NS6detail17trampoline_kernelINS0_14default_configENS1_20scan_config_selectorIdEEZZNS1_9scan_implILNS1_25lookback_scan_determinismE0ELb1ELb1ES3_N6thrust23THRUST_200600_302600_NS6detail15normal_iteratorINS9_10device_ptrIdEEEENS9_16discard_iteratorINS9_11use_defaultEEEd11max_functorIdEdEEDaPvRmT3_T4_T5_mT6_P12ihipStream_tbENKUlT_T0_E_clISt17integral_constantIbLb1EESX_EEDaSS_ST_EUlSS_E_NS1_11comp_targetILNS1_3genE8ELNS1_11target_archE1030ELNS1_3gpuE2ELNS1_3repE0EEENS1_30default_config_static_selectorELNS0_4arch9wavefront6targetE1EEEvT1_
		.amdhsa_group_segment_fixed_size 0
		.amdhsa_private_segment_fixed_size 0
		.amdhsa_kernarg_size 112
		.amdhsa_user_sgpr_count 6
		.amdhsa_user_sgpr_private_segment_buffer 1
		.amdhsa_user_sgpr_dispatch_ptr 0
		.amdhsa_user_sgpr_queue_ptr 0
		.amdhsa_user_sgpr_kernarg_segment_ptr 1
		.amdhsa_user_sgpr_dispatch_id 0
		.amdhsa_user_sgpr_flat_scratch_init 0
		.amdhsa_user_sgpr_kernarg_preload_length 0
		.amdhsa_user_sgpr_kernarg_preload_offset 0
		.amdhsa_user_sgpr_private_segment_size 0
		.amdhsa_uses_dynamic_stack 0
		.amdhsa_system_sgpr_private_segment_wavefront_offset 0
		.amdhsa_system_sgpr_workgroup_id_x 1
		.amdhsa_system_sgpr_workgroup_id_y 0
		.amdhsa_system_sgpr_workgroup_id_z 0
		.amdhsa_system_sgpr_workgroup_info 0
		.amdhsa_system_vgpr_workitem_id 0
		.amdhsa_next_free_vgpr 1
		.amdhsa_next_free_sgpr 0
		.amdhsa_accum_offset 4
		.amdhsa_reserve_vcc 0
		.amdhsa_reserve_flat_scratch 0
		.amdhsa_float_round_mode_32 0
		.amdhsa_float_round_mode_16_64 0
		.amdhsa_float_denorm_mode_32 3
		.amdhsa_float_denorm_mode_16_64 3
		.amdhsa_dx10_clamp 1
		.amdhsa_ieee_mode 1
		.amdhsa_fp16_overflow 0
		.amdhsa_tg_split 0
		.amdhsa_exception_fp_ieee_invalid_op 0
		.amdhsa_exception_fp_denorm_src 0
		.amdhsa_exception_fp_ieee_div_zero 0
		.amdhsa_exception_fp_ieee_overflow 0
		.amdhsa_exception_fp_ieee_underflow 0
		.amdhsa_exception_fp_ieee_inexact 0
		.amdhsa_exception_int_div_zero 0
	.end_amdhsa_kernel
	.section	.text._ZN7rocprim17ROCPRIM_400000_NS6detail17trampoline_kernelINS0_14default_configENS1_20scan_config_selectorIdEEZZNS1_9scan_implILNS1_25lookback_scan_determinismE0ELb1ELb1ES3_N6thrust23THRUST_200600_302600_NS6detail15normal_iteratorINS9_10device_ptrIdEEEENS9_16discard_iteratorINS9_11use_defaultEEEd11max_functorIdEdEEDaPvRmT3_T4_T5_mT6_P12ihipStream_tbENKUlT_T0_E_clISt17integral_constantIbLb1EESX_EEDaSS_ST_EUlSS_E_NS1_11comp_targetILNS1_3genE8ELNS1_11target_archE1030ELNS1_3gpuE2ELNS1_3repE0EEENS1_30default_config_static_selectorELNS0_4arch9wavefront6targetE1EEEvT1_,"axG",@progbits,_ZN7rocprim17ROCPRIM_400000_NS6detail17trampoline_kernelINS0_14default_configENS1_20scan_config_selectorIdEEZZNS1_9scan_implILNS1_25lookback_scan_determinismE0ELb1ELb1ES3_N6thrust23THRUST_200600_302600_NS6detail15normal_iteratorINS9_10device_ptrIdEEEENS9_16discard_iteratorINS9_11use_defaultEEEd11max_functorIdEdEEDaPvRmT3_T4_T5_mT6_P12ihipStream_tbENKUlT_T0_E_clISt17integral_constantIbLb1EESX_EEDaSS_ST_EUlSS_E_NS1_11comp_targetILNS1_3genE8ELNS1_11target_archE1030ELNS1_3gpuE2ELNS1_3repE0EEENS1_30default_config_static_selectorELNS0_4arch9wavefront6targetE1EEEvT1_,comdat
.Lfunc_end3088:
	.size	_ZN7rocprim17ROCPRIM_400000_NS6detail17trampoline_kernelINS0_14default_configENS1_20scan_config_selectorIdEEZZNS1_9scan_implILNS1_25lookback_scan_determinismE0ELb1ELb1ES3_N6thrust23THRUST_200600_302600_NS6detail15normal_iteratorINS9_10device_ptrIdEEEENS9_16discard_iteratorINS9_11use_defaultEEEd11max_functorIdEdEEDaPvRmT3_T4_T5_mT6_P12ihipStream_tbENKUlT_T0_E_clISt17integral_constantIbLb1EESX_EEDaSS_ST_EUlSS_E_NS1_11comp_targetILNS1_3genE8ELNS1_11target_archE1030ELNS1_3gpuE2ELNS1_3repE0EEENS1_30default_config_static_selectorELNS0_4arch9wavefront6targetE1EEEvT1_, .Lfunc_end3088-_ZN7rocprim17ROCPRIM_400000_NS6detail17trampoline_kernelINS0_14default_configENS1_20scan_config_selectorIdEEZZNS1_9scan_implILNS1_25lookback_scan_determinismE0ELb1ELb1ES3_N6thrust23THRUST_200600_302600_NS6detail15normal_iteratorINS9_10device_ptrIdEEEENS9_16discard_iteratorINS9_11use_defaultEEEd11max_functorIdEdEEDaPvRmT3_T4_T5_mT6_P12ihipStream_tbENKUlT_T0_E_clISt17integral_constantIbLb1EESX_EEDaSS_ST_EUlSS_E_NS1_11comp_targetILNS1_3genE8ELNS1_11target_archE1030ELNS1_3gpuE2ELNS1_3repE0EEENS1_30default_config_static_selectorELNS0_4arch9wavefront6targetE1EEEvT1_
                                        ; -- End function
	.section	.AMDGPU.csdata,"",@progbits
; Kernel info:
; codeLenInByte = 0
; NumSgprs: 4
; NumVgprs: 0
; NumAgprs: 0
; TotalNumVgprs: 0
; ScratchSize: 0
; MemoryBound: 0
; FloatMode: 240
; IeeeMode: 1
; LDSByteSize: 0 bytes/workgroup (compile time only)
; SGPRBlocks: 0
; VGPRBlocks: 0
; NumSGPRsForWavesPerEU: 4
; NumVGPRsForWavesPerEU: 1
; AccumOffset: 4
; Occupancy: 8
; WaveLimiterHint : 0
; COMPUTE_PGM_RSRC2:SCRATCH_EN: 0
; COMPUTE_PGM_RSRC2:USER_SGPR: 6
; COMPUTE_PGM_RSRC2:TRAP_HANDLER: 0
; COMPUTE_PGM_RSRC2:TGID_X_EN: 1
; COMPUTE_PGM_RSRC2:TGID_Y_EN: 0
; COMPUTE_PGM_RSRC2:TGID_Z_EN: 0
; COMPUTE_PGM_RSRC2:TIDIG_COMP_CNT: 0
; COMPUTE_PGM_RSRC3_GFX90A:ACCUM_OFFSET: 0
; COMPUTE_PGM_RSRC3_GFX90A:TG_SPLIT: 0
	.section	.text._ZN7rocprim17ROCPRIM_400000_NS6detail17trampoline_kernelINS0_14default_configENS1_20scan_config_selectorIdEEZZNS1_9scan_implILNS1_25lookback_scan_determinismE0ELb1ELb1ES3_N6thrust23THRUST_200600_302600_NS6detail15normal_iteratorINS9_10device_ptrIdEEEENS9_16discard_iteratorINS9_11use_defaultEEEd11max_functorIdEdEEDaPvRmT3_T4_T5_mT6_P12ihipStream_tbENKUlT_T0_E_clISt17integral_constantIbLb1EESX_EEDaSS_ST_EUlSS_E0_NS1_11comp_targetILNS1_3genE0ELNS1_11target_archE4294967295ELNS1_3gpuE0ELNS1_3repE0EEENS1_30default_config_static_selectorELNS0_4arch9wavefront6targetE1EEEvT1_,"axG",@progbits,_ZN7rocprim17ROCPRIM_400000_NS6detail17trampoline_kernelINS0_14default_configENS1_20scan_config_selectorIdEEZZNS1_9scan_implILNS1_25lookback_scan_determinismE0ELb1ELb1ES3_N6thrust23THRUST_200600_302600_NS6detail15normal_iteratorINS9_10device_ptrIdEEEENS9_16discard_iteratorINS9_11use_defaultEEEd11max_functorIdEdEEDaPvRmT3_T4_T5_mT6_P12ihipStream_tbENKUlT_T0_E_clISt17integral_constantIbLb1EESX_EEDaSS_ST_EUlSS_E0_NS1_11comp_targetILNS1_3genE0ELNS1_11target_archE4294967295ELNS1_3gpuE0ELNS1_3repE0EEENS1_30default_config_static_selectorELNS0_4arch9wavefront6targetE1EEEvT1_,comdat
	.protected	_ZN7rocprim17ROCPRIM_400000_NS6detail17trampoline_kernelINS0_14default_configENS1_20scan_config_selectorIdEEZZNS1_9scan_implILNS1_25lookback_scan_determinismE0ELb1ELb1ES3_N6thrust23THRUST_200600_302600_NS6detail15normal_iteratorINS9_10device_ptrIdEEEENS9_16discard_iteratorINS9_11use_defaultEEEd11max_functorIdEdEEDaPvRmT3_T4_T5_mT6_P12ihipStream_tbENKUlT_T0_E_clISt17integral_constantIbLb1EESX_EEDaSS_ST_EUlSS_E0_NS1_11comp_targetILNS1_3genE0ELNS1_11target_archE4294967295ELNS1_3gpuE0ELNS1_3repE0EEENS1_30default_config_static_selectorELNS0_4arch9wavefront6targetE1EEEvT1_ ; -- Begin function _ZN7rocprim17ROCPRIM_400000_NS6detail17trampoline_kernelINS0_14default_configENS1_20scan_config_selectorIdEEZZNS1_9scan_implILNS1_25lookback_scan_determinismE0ELb1ELb1ES3_N6thrust23THRUST_200600_302600_NS6detail15normal_iteratorINS9_10device_ptrIdEEEENS9_16discard_iteratorINS9_11use_defaultEEEd11max_functorIdEdEEDaPvRmT3_T4_T5_mT6_P12ihipStream_tbENKUlT_T0_E_clISt17integral_constantIbLb1EESX_EEDaSS_ST_EUlSS_E0_NS1_11comp_targetILNS1_3genE0ELNS1_11target_archE4294967295ELNS1_3gpuE0ELNS1_3repE0EEENS1_30default_config_static_selectorELNS0_4arch9wavefront6targetE1EEEvT1_
	.globl	_ZN7rocprim17ROCPRIM_400000_NS6detail17trampoline_kernelINS0_14default_configENS1_20scan_config_selectorIdEEZZNS1_9scan_implILNS1_25lookback_scan_determinismE0ELb1ELb1ES3_N6thrust23THRUST_200600_302600_NS6detail15normal_iteratorINS9_10device_ptrIdEEEENS9_16discard_iteratorINS9_11use_defaultEEEd11max_functorIdEdEEDaPvRmT3_T4_T5_mT6_P12ihipStream_tbENKUlT_T0_E_clISt17integral_constantIbLb1EESX_EEDaSS_ST_EUlSS_E0_NS1_11comp_targetILNS1_3genE0ELNS1_11target_archE4294967295ELNS1_3gpuE0ELNS1_3repE0EEENS1_30default_config_static_selectorELNS0_4arch9wavefront6targetE1EEEvT1_
	.p2align	8
	.type	_ZN7rocprim17ROCPRIM_400000_NS6detail17trampoline_kernelINS0_14default_configENS1_20scan_config_selectorIdEEZZNS1_9scan_implILNS1_25lookback_scan_determinismE0ELb1ELb1ES3_N6thrust23THRUST_200600_302600_NS6detail15normal_iteratorINS9_10device_ptrIdEEEENS9_16discard_iteratorINS9_11use_defaultEEEd11max_functorIdEdEEDaPvRmT3_T4_T5_mT6_P12ihipStream_tbENKUlT_T0_E_clISt17integral_constantIbLb1EESX_EEDaSS_ST_EUlSS_E0_NS1_11comp_targetILNS1_3genE0ELNS1_11target_archE4294967295ELNS1_3gpuE0ELNS1_3repE0EEENS1_30default_config_static_selectorELNS0_4arch9wavefront6targetE1EEEvT1_,@function
_ZN7rocprim17ROCPRIM_400000_NS6detail17trampoline_kernelINS0_14default_configENS1_20scan_config_selectorIdEEZZNS1_9scan_implILNS1_25lookback_scan_determinismE0ELb1ELb1ES3_N6thrust23THRUST_200600_302600_NS6detail15normal_iteratorINS9_10device_ptrIdEEEENS9_16discard_iteratorINS9_11use_defaultEEEd11max_functorIdEdEEDaPvRmT3_T4_T5_mT6_P12ihipStream_tbENKUlT_T0_E_clISt17integral_constantIbLb1EESX_EEDaSS_ST_EUlSS_E0_NS1_11comp_targetILNS1_3genE0ELNS1_11target_archE4294967295ELNS1_3gpuE0ELNS1_3repE0EEENS1_30default_config_static_selectorELNS0_4arch9wavefront6targetE1EEEvT1_: ; @_ZN7rocprim17ROCPRIM_400000_NS6detail17trampoline_kernelINS0_14default_configENS1_20scan_config_selectorIdEEZZNS1_9scan_implILNS1_25lookback_scan_determinismE0ELb1ELb1ES3_N6thrust23THRUST_200600_302600_NS6detail15normal_iteratorINS9_10device_ptrIdEEEENS9_16discard_iteratorINS9_11use_defaultEEEd11max_functorIdEdEEDaPvRmT3_T4_T5_mT6_P12ihipStream_tbENKUlT_T0_E_clISt17integral_constantIbLb1EESX_EEDaSS_ST_EUlSS_E0_NS1_11comp_targetILNS1_3genE0ELNS1_11target_archE4294967295ELNS1_3gpuE0ELNS1_3repE0EEENS1_30default_config_static_selectorELNS0_4arch9wavefront6targetE1EEEvT1_
; %bb.0:
	.section	.rodata,"a",@progbits
	.p2align	6, 0x0
	.amdhsa_kernel _ZN7rocprim17ROCPRIM_400000_NS6detail17trampoline_kernelINS0_14default_configENS1_20scan_config_selectorIdEEZZNS1_9scan_implILNS1_25lookback_scan_determinismE0ELb1ELb1ES3_N6thrust23THRUST_200600_302600_NS6detail15normal_iteratorINS9_10device_ptrIdEEEENS9_16discard_iteratorINS9_11use_defaultEEEd11max_functorIdEdEEDaPvRmT3_T4_T5_mT6_P12ihipStream_tbENKUlT_T0_E_clISt17integral_constantIbLb1EESX_EEDaSS_ST_EUlSS_E0_NS1_11comp_targetILNS1_3genE0ELNS1_11target_archE4294967295ELNS1_3gpuE0ELNS1_3repE0EEENS1_30default_config_static_selectorELNS0_4arch9wavefront6targetE1EEEvT1_
		.amdhsa_group_segment_fixed_size 0
		.amdhsa_private_segment_fixed_size 0
		.amdhsa_kernarg_size 48
		.amdhsa_user_sgpr_count 6
		.amdhsa_user_sgpr_private_segment_buffer 1
		.amdhsa_user_sgpr_dispatch_ptr 0
		.amdhsa_user_sgpr_queue_ptr 0
		.amdhsa_user_sgpr_kernarg_segment_ptr 1
		.amdhsa_user_sgpr_dispatch_id 0
		.amdhsa_user_sgpr_flat_scratch_init 0
		.amdhsa_user_sgpr_kernarg_preload_length 0
		.amdhsa_user_sgpr_kernarg_preload_offset 0
		.amdhsa_user_sgpr_private_segment_size 0
		.amdhsa_uses_dynamic_stack 0
		.amdhsa_system_sgpr_private_segment_wavefront_offset 0
		.amdhsa_system_sgpr_workgroup_id_x 1
		.amdhsa_system_sgpr_workgroup_id_y 0
		.amdhsa_system_sgpr_workgroup_id_z 0
		.amdhsa_system_sgpr_workgroup_info 0
		.amdhsa_system_vgpr_workitem_id 0
		.amdhsa_next_free_vgpr 1
		.amdhsa_next_free_sgpr 0
		.amdhsa_accum_offset 4
		.amdhsa_reserve_vcc 0
		.amdhsa_reserve_flat_scratch 0
		.amdhsa_float_round_mode_32 0
		.amdhsa_float_round_mode_16_64 0
		.amdhsa_float_denorm_mode_32 3
		.amdhsa_float_denorm_mode_16_64 3
		.amdhsa_dx10_clamp 1
		.amdhsa_ieee_mode 1
		.amdhsa_fp16_overflow 0
		.amdhsa_tg_split 0
		.amdhsa_exception_fp_ieee_invalid_op 0
		.amdhsa_exception_fp_denorm_src 0
		.amdhsa_exception_fp_ieee_div_zero 0
		.amdhsa_exception_fp_ieee_overflow 0
		.amdhsa_exception_fp_ieee_underflow 0
		.amdhsa_exception_fp_ieee_inexact 0
		.amdhsa_exception_int_div_zero 0
	.end_amdhsa_kernel
	.section	.text._ZN7rocprim17ROCPRIM_400000_NS6detail17trampoline_kernelINS0_14default_configENS1_20scan_config_selectorIdEEZZNS1_9scan_implILNS1_25lookback_scan_determinismE0ELb1ELb1ES3_N6thrust23THRUST_200600_302600_NS6detail15normal_iteratorINS9_10device_ptrIdEEEENS9_16discard_iteratorINS9_11use_defaultEEEd11max_functorIdEdEEDaPvRmT3_T4_T5_mT6_P12ihipStream_tbENKUlT_T0_E_clISt17integral_constantIbLb1EESX_EEDaSS_ST_EUlSS_E0_NS1_11comp_targetILNS1_3genE0ELNS1_11target_archE4294967295ELNS1_3gpuE0ELNS1_3repE0EEENS1_30default_config_static_selectorELNS0_4arch9wavefront6targetE1EEEvT1_,"axG",@progbits,_ZN7rocprim17ROCPRIM_400000_NS6detail17trampoline_kernelINS0_14default_configENS1_20scan_config_selectorIdEEZZNS1_9scan_implILNS1_25lookback_scan_determinismE0ELb1ELb1ES3_N6thrust23THRUST_200600_302600_NS6detail15normal_iteratorINS9_10device_ptrIdEEEENS9_16discard_iteratorINS9_11use_defaultEEEd11max_functorIdEdEEDaPvRmT3_T4_T5_mT6_P12ihipStream_tbENKUlT_T0_E_clISt17integral_constantIbLb1EESX_EEDaSS_ST_EUlSS_E0_NS1_11comp_targetILNS1_3genE0ELNS1_11target_archE4294967295ELNS1_3gpuE0ELNS1_3repE0EEENS1_30default_config_static_selectorELNS0_4arch9wavefront6targetE1EEEvT1_,comdat
.Lfunc_end3089:
	.size	_ZN7rocprim17ROCPRIM_400000_NS6detail17trampoline_kernelINS0_14default_configENS1_20scan_config_selectorIdEEZZNS1_9scan_implILNS1_25lookback_scan_determinismE0ELb1ELb1ES3_N6thrust23THRUST_200600_302600_NS6detail15normal_iteratorINS9_10device_ptrIdEEEENS9_16discard_iteratorINS9_11use_defaultEEEd11max_functorIdEdEEDaPvRmT3_T4_T5_mT6_P12ihipStream_tbENKUlT_T0_E_clISt17integral_constantIbLb1EESX_EEDaSS_ST_EUlSS_E0_NS1_11comp_targetILNS1_3genE0ELNS1_11target_archE4294967295ELNS1_3gpuE0ELNS1_3repE0EEENS1_30default_config_static_selectorELNS0_4arch9wavefront6targetE1EEEvT1_, .Lfunc_end3089-_ZN7rocprim17ROCPRIM_400000_NS6detail17trampoline_kernelINS0_14default_configENS1_20scan_config_selectorIdEEZZNS1_9scan_implILNS1_25lookback_scan_determinismE0ELb1ELb1ES3_N6thrust23THRUST_200600_302600_NS6detail15normal_iteratorINS9_10device_ptrIdEEEENS9_16discard_iteratorINS9_11use_defaultEEEd11max_functorIdEdEEDaPvRmT3_T4_T5_mT6_P12ihipStream_tbENKUlT_T0_E_clISt17integral_constantIbLb1EESX_EEDaSS_ST_EUlSS_E0_NS1_11comp_targetILNS1_3genE0ELNS1_11target_archE4294967295ELNS1_3gpuE0ELNS1_3repE0EEENS1_30default_config_static_selectorELNS0_4arch9wavefront6targetE1EEEvT1_
                                        ; -- End function
	.section	.AMDGPU.csdata,"",@progbits
; Kernel info:
; codeLenInByte = 0
; NumSgprs: 4
; NumVgprs: 0
; NumAgprs: 0
; TotalNumVgprs: 0
; ScratchSize: 0
; MemoryBound: 0
; FloatMode: 240
; IeeeMode: 1
; LDSByteSize: 0 bytes/workgroup (compile time only)
; SGPRBlocks: 0
; VGPRBlocks: 0
; NumSGPRsForWavesPerEU: 4
; NumVGPRsForWavesPerEU: 1
; AccumOffset: 4
; Occupancy: 8
; WaveLimiterHint : 0
; COMPUTE_PGM_RSRC2:SCRATCH_EN: 0
; COMPUTE_PGM_RSRC2:USER_SGPR: 6
; COMPUTE_PGM_RSRC2:TRAP_HANDLER: 0
; COMPUTE_PGM_RSRC2:TGID_X_EN: 1
; COMPUTE_PGM_RSRC2:TGID_Y_EN: 0
; COMPUTE_PGM_RSRC2:TGID_Z_EN: 0
; COMPUTE_PGM_RSRC2:TIDIG_COMP_CNT: 0
; COMPUTE_PGM_RSRC3_GFX90A:ACCUM_OFFSET: 0
; COMPUTE_PGM_RSRC3_GFX90A:TG_SPLIT: 0
	.section	.text._ZN7rocprim17ROCPRIM_400000_NS6detail17trampoline_kernelINS0_14default_configENS1_20scan_config_selectorIdEEZZNS1_9scan_implILNS1_25lookback_scan_determinismE0ELb1ELb1ES3_N6thrust23THRUST_200600_302600_NS6detail15normal_iteratorINS9_10device_ptrIdEEEENS9_16discard_iteratorINS9_11use_defaultEEEd11max_functorIdEdEEDaPvRmT3_T4_T5_mT6_P12ihipStream_tbENKUlT_T0_E_clISt17integral_constantIbLb1EESX_EEDaSS_ST_EUlSS_E0_NS1_11comp_targetILNS1_3genE5ELNS1_11target_archE942ELNS1_3gpuE9ELNS1_3repE0EEENS1_30default_config_static_selectorELNS0_4arch9wavefront6targetE1EEEvT1_,"axG",@progbits,_ZN7rocprim17ROCPRIM_400000_NS6detail17trampoline_kernelINS0_14default_configENS1_20scan_config_selectorIdEEZZNS1_9scan_implILNS1_25lookback_scan_determinismE0ELb1ELb1ES3_N6thrust23THRUST_200600_302600_NS6detail15normal_iteratorINS9_10device_ptrIdEEEENS9_16discard_iteratorINS9_11use_defaultEEEd11max_functorIdEdEEDaPvRmT3_T4_T5_mT6_P12ihipStream_tbENKUlT_T0_E_clISt17integral_constantIbLb1EESX_EEDaSS_ST_EUlSS_E0_NS1_11comp_targetILNS1_3genE5ELNS1_11target_archE942ELNS1_3gpuE9ELNS1_3repE0EEENS1_30default_config_static_selectorELNS0_4arch9wavefront6targetE1EEEvT1_,comdat
	.protected	_ZN7rocprim17ROCPRIM_400000_NS6detail17trampoline_kernelINS0_14default_configENS1_20scan_config_selectorIdEEZZNS1_9scan_implILNS1_25lookback_scan_determinismE0ELb1ELb1ES3_N6thrust23THRUST_200600_302600_NS6detail15normal_iteratorINS9_10device_ptrIdEEEENS9_16discard_iteratorINS9_11use_defaultEEEd11max_functorIdEdEEDaPvRmT3_T4_T5_mT6_P12ihipStream_tbENKUlT_T0_E_clISt17integral_constantIbLb1EESX_EEDaSS_ST_EUlSS_E0_NS1_11comp_targetILNS1_3genE5ELNS1_11target_archE942ELNS1_3gpuE9ELNS1_3repE0EEENS1_30default_config_static_selectorELNS0_4arch9wavefront6targetE1EEEvT1_ ; -- Begin function _ZN7rocprim17ROCPRIM_400000_NS6detail17trampoline_kernelINS0_14default_configENS1_20scan_config_selectorIdEEZZNS1_9scan_implILNS1_25lookback_scan_determinismE0ELb1ELb1ES3_N6thrust23THRUST_200600_302600_NS6detail15normal_iteratorINS9_10device_ptrIdEEEENS9_16discard_iteratorINS9_11use_defaultEEEd11max_functorIdEdEEDaPvRmT3_T4_T5_mT6_P12ihipStream_tbENKUlT_T0_E_clISt17integral_constantIbLb1EESX_EEDaSS_ST_EUlSS_E0_NS1_11comp_targetILNS1_3genE5ELNS1_11target_archE942ELNS1_3gpuE9ELNS1_3repE0EEENS1_30default_config_static_selectorELNS0_4arch9wavefront6targetE1EEEvT1_
	.globl	_ZN7rocprim17ROCPRIM_400000_NS6detail17trampoline_kernelINS0_14default_configENS1_20scan_config_selectorIdEEZZNS1_9scan_implILNS1_25lookback_scan_determinismE0ELb1ELb1ES3_N6thrust23THRUST_200600_302600_NS6detail15normal_iteratorINS9_10device_ptrIdEEEENS9_16discard_iteratorINS9_11use_defaultEEEd11max_functorIdEdEEDaPvRmT3_T4_T5_mT6_P12ihipStream_tbENKUlT_T0_E_clISt17integral_constantIbLb1EESX_EEDaSS_ST_EUlSS_E0_NS1_11comp_targetILNS1_3genE5ELNS1_11target_archE942ELNS1_3gpuE9ELNS1_3repE0EEENS1_30default_config_static_selectorELNS0_4arch9wavefront6targetE1EEEvT1_
	.p2align	8
	.type	_ZN7rocprim17ROCPRIM_400000_NS6detail17trampoline_kernelINS0_14default_configENS1_20scan_config_selectorIdEEZZNS1_9scan_implILNS1_25lookback_scan_determinismE0ELb1ELb1ES3_N6thrust23THRUST_200600_302600_NS6detail15normal_iteratorINS9_10device_ptrIdEEEENS9_16discard_iteratorINS9_11use_defaultEEEd11max_functorIdEdEEDaPvRmT3_T4_T5_mT6_P12ihipStream_tbENKUlT_T0_E_clISt17integral_constantIbLb1EESX_EEDaSS_ST_EUlSS_E0_NS1_11comp_targetILNS1_3genE5ELNS1_11target_archE942ELNS1_3gpuE9ELNS1_3repE0EEENS1_30default_config_static_selectorELNS0_4arch9wavefront6targetE1EEEvT1_,@function
_ZN7rocprim17ROCPRIM_400000_NS6detail17trampoline_kernelINS0_14default_configENS1_20scan_config_selectorIdEEZZNS1_9scan_implILNS1_25lookback_scan_determinismE0ELb1ELb1ES3_N6thrust23THRUST_200600_302600_NS6detail15normal_iteratorINS9_10device_ptrIdEEEENS9_16discard_iteratorINS9_11use_defaultEEEd11max_functorIdEdEEDaPvRmT3_T4_T5_mT6_P12ihipStream_tbENKUlT_T0_E_clISt17integral_constantIbLb1EESX_EEDaSS_ST_EUlSS_E0_NS1_11comp_targetILNS1_3genE5ELNS1_11target_archE942ELNS1_3gpuE9ELNS1_3repE0EEENS1_30default_config_static_selectorELNS0_4arch9wavefront6targetE1EEEvT1_: ; @_ZN7rocprim17ROCPRIM_400000_NS6detail17trampoline_kernelINS0_14default_configENS1_20scan_config_selectorIdEEZZNS1_9scan_implILNS1_25lookback_scan_determinismE0ELb1ELb1ES3_N6thrust23THRUST_200600_302600_NS6detail15normal_iteratorINS9_10device_ptrIdEEEENS9_16discard_iteratorINS9_11use_defaultEEEd11max_functorIdEdEEDaPvRmT3_T4_T5_mT6_P12ihipStream_tbENKUlT_T0_E_clISt17integral_constantIbLb1EESX_EEDaSS_ST_EUlSS_E0_NS1_11comp_targetILNS1_3genE5ELNS1_11target_archE942ELNS1_3gpuE9ELNS1_3repE0EEENS1_30default_config_static_selectorELNS0_4arch9wavefront6targetE1EEEvT1_
; %bb.0:
	.section	.rodata,"a",@progbits
	.p2align	6, 0x0
	.amdhsa_kernel _ZN7rocprim17ROCPRIM_400000_NS6detail17trampoline_kernelINS0_14default_configENS1_20scan_config_selectorIdEEZZNS1_9scan_implILNS1_25lookback_scan_determinismE0ELb1ELb1ES3_N6thrust23THRUST_200600_302600_NS6detail15normal_iteratorINS9_10device_ptrIdEEEENS9_16discard_iteratorINS9_11use_defaultEEEd11max_functorIdEdEEDaPvRmT3_T4_T5_mT6_P12ihipStream_tbENKUlT_T0_E_clISt17integral_constantIbLb1EESX_EEDaSS_ST_EUlSS_E0_NS1_11comp_targetILNS1_3genE5ELNS1_11target_archE942ELNS1_3gpuE9ELNS1_3repE0EEENS1_30default_config_static_selectorELNS0_4arch9wavefront6targetE1EEEvT1_
		.amdhsa_group_segment_fixed_size 0
		.amdhsa_private_segment_fixed_size 0
		.amdhsa_kernarg_size 48
		.amdhsa_user_sgpr_count 6
		.amdhsa_user_sgpr_private_segment_buffer 1
		.amdhsa_user_sgpr_dispatch_ptr 0
		.amdhsa_user_sgpr_queue_ptr 0
		.amdhsa_user_sgpr_kernarg_segment_ptr 1
		.amdhsa_user_sgpr_dispatch_id 0
		.amdhsa_user_sgpr_flat_scratch_init 0
		.amdhsa_user_sgpr_kernarg_preload_length 0
		.amdhsa_user_sgpr_kernarg_preload_offset 0
		.amdhsa_user_sgpr_private_segment_size 0
		.amdhsa_uses_dynamic_stack 0
		.amdhsa_system_sgpr_private_segment_wavefront_offset 0
		.amdhsa_system_sgpr_workgroup_id_x 1
		.amdhsa_system_sgpr_workgroup_id_y 0
		.amdhsa_system_sgpr_workgroup_id_z 0
		.amdhsa_system_sgpr_workgroup_info 0
		.amdhsa_system_vgpr_workitem_id 0
		.amdhsa_next_free_vgpr 1
		.amdhsa_next_free_sgpr 0
		.amdhsa_accum_offset 4
		.amdhsa_reserve_vcc 0
		.amdhsa_reserve_flat_scratch 0
		.amdhsa_float_round_mode_32 0
		.amdhsa_float_round_mode_16_64 0
		.amdhsa_float_denorm_mode_32 3
		.amdhsa_float_denorm_mode_16_64 3
		.amdhsa_dx10_clamp 1
		.amdhsa_ieee_mode 1
		.amdhsa_fp16_overflow 0
		.amdhsa_tg_split 0
		.amdhsa_exception_fp_ieee_invalid_op 0
		.amdhsa_exception_fp_denorm_src 0
		.amdhsa_exception_fp_ieee_div_zero 0
		.amdhsa_exception_fp_ieee_overflow 0
		.amdhsa_exception_fp_ieee_underflow 0
		.amdhsa_exception_fp_ieee_inexact 0
		.amdhsa_exception_int_div_zero 0
	.end_amdhsa_kernel
	.section	.text._ZN7rocprim17ROCPRIM_400000_NS6detail17trampoline_kernelINS0_14default_configENS1_20scan_config_selectorIdEEZZNS1_9scan_implILNS1_25lookback_scan_determinismE0ELb1ELb1ES3_N6thrust23THRUST_200600_302600_NS6detail15normal_iteratorINS9_10device_ptrIdEEEENS9_16discard_iteratorINS9_11use_defaultEEEd11max_functorIdEdEEDaPvRmT3_T4_T5_mT6_P12ihipStream_tbENKUlT_T0_E_clISt17integral_constantIbLb1EESX_EEDaSS_ST_EUlSS_E0_NS1_11comp_targetILNS1_3genE5ELNS1_11target_archE942ELNS1_3gpuE9ELNS1_3repE0EEENS1_30default_config_static_selectorELNS0_4arch9wavefront6targetE1EEEvT1_,"axG",@progbits,_ZN7rocprim17ROCPRIM_400000_NS6detail17trampoline_kernelINS0_14default_configENS1_20scan_config_selectorIdEEZZNS1_9scan_implILNS1_25lookback_scan_determinismE0ELb1ELb1ES3_N6thrust23THRUST_200600_302600_NS6detail15normal_iteratorINS9_10device_ptrIdEEEENS9_16discard_iteratorINS9_11use_defaultEEEd11max_functorIdEdEEDaPvRmT3_T4_T5_mT6_P12ihipStream_tbENKUlT_T0_E_clISt17integral_constantIbLb1EESX_EEDaSS_ST_EUlSS_E0_NS1_11comp_targetILNS1_3genE5ELNS1_11target_archE942ELNS1_3gpuE9ELNS1_3repE0EEENS1_30default_config_static_selectorELNS0_4arch9wavefront6targetE1EEEvT1_,comdat
.Lfunc_end3090:
	.size	_ZN7rocprim17ROCPRIM_400000_NS6detail17trampoline_kernelINS0_14default_configENS1_20scan_config_selectorIdEEZZNS1_9scan_implILNS1_25lookback_scan_determinismE0ELb1ELb1ES3_N6thrust23THRUST_200600_302600_NS6detail15normal_iteratorINS9_10device_ptrIdEEEENS9_16discard_iteratorINS9_11use_defaultEEEd11max_functorIdEdEEDaPvRmT3_T4_T5_mT6_P12ihipStream_tbENKUlT_T0_E_clISt17integral_constantIbLb1EESX_EEDaSS_ST_EUlSS_E0_NS1_11comp_targetILNS1_3genE5ELNS1_11target_archE942ELNS1_3gpuE9ELNS1_3repE0EEENS1_30default_config_static_selectorELNS0_4arch9wavefront6targetE1EEEvT1_, .Lfunc_end3090-_ZN7rocprim17ROCPRIM_400000_NS6detail17trampoline_kernelINS0_14default_configENS1_20scan_config_selectorIdEEZZNS1_9scan_implILNS1_25lookback_scan_determinismE0ELb1ELb1ES3_N6thrust23THRUST_200600_302600_NS6detail15normal_iteratorINS9_10device_ptrIdEEEENS9_16discard_iteratorINS9_11use_defaultEEEd11max_functorIdEdEEDaPvRmT3_T4_T5_mT6_P12ihipStream_tbENKUlT_T0_E_clISt17integral_constantIbLb1EESX_EEDaSS_ST_EUlSS_E0_NS1_11comp_targetILNS1_3genE5ELNS1_11target_archE942ELNS1_3gpuE9ELNS1_3repE0EEENS1_30default_config_static_selectorELNS0_4arch9wavefront6targetE1EEEvT1_
                                        ; -- End function
	.section	.AMDGPU.csdata,"",@progbits
; Kernel info:
; codeLenInByte = 0
; NumSgprs: 4
; NumVgprs: 0
; NumAgprs: 0
; TotalNumVgprs: 0
; ScratchSize: 0
; MemoryBound: 0
; FloatMode: 240
; IeeeMode: 1
; LDSByteSize: 0 bytes/workgroup (compile time only)
; SGPRBlocks: 0
; VGPRBlocks: 0
; NumSGPRsForWavesPerEU: 4
; NumVGPRsForWavesPerEU: 1
; AccumOffset: 4
; Occupancy: 8
; WaveLimiterHint : 0
; COMPUTE_PGM_RSRC2:SCRATCH_EN: 0
; COMPUTE_PGM_RSRC2:USER_SGPR: 6
; COMPUTE_PGM_RSRC2:TRAP_HANDLER: 0
; COMPUTE_PGM_RSRC2:TGID_X_EN: 1
; COMPUTE_PGM_RSRC2:TGID_Y_EN: 0
; COMPUTE_PGM_RSRC2:TGID_Z_EN: 0
; COMPUTE_PGM_RSRC2:TIDIG_COMP_CNT: 0
; COMPUTE_PGM_RSRC3_GFX90A:ACCUM_OFFSET: 0
; COMPUTE_PGM_RSRC3_GFX90A:TG_SPLIT: 0
	.section	.text._ZN7rocprim17ROCPRIM_400000_NS6detail17trampoline_kernelINS0_14default_configENS1_20scan_config_selectorIdEEZZNS1_9scan_implILNS1_25lookback_scan_determinismE0ELb1ELb1ES3_N6thrust23THRUST_200600_302600_NS6detail15normal_iteratorINS9_10device_ptrIdEEEENS9_16discard_iteratorINS9_11use_defaultEEEd11max_functorIdEdEEDaPvRmT3_T4_T5_mT6_P12ihipStream_tbENKUlT_T0_E_clISt17integral_constantIbLb1EESX_EEDaSS_ST_EUlSS_E0_NS1_11comp_targetILNS1_3genE4ELNS1_11target_archE910ELNS1_3gpuE8ELNS1_3repE0EEENS1_30default_config_static_selectorELNS0_4arch9wavefront6targetE1EEEvT1_,"axG",@progbits,_ZN7rocprim17ROCPRIM_400000_NS6detail17trampoline_kernelINS0_14default_configENS1_20scan_config_selectorIdEEZZNS1_9scan_implILNS1_25lookback_scan_determinismE0ELb1ELb1ES3_N6thrust23THRUST_200600_302600_NS6detail15normal_iteratorINS9_10device_ptrIdEEEENS9_16discard_iteratorINS9_11use_defaultEEEd11max_functorIdEdEEDaPvRmT3_T4_T5_mT6_P12ihipStream_tbENKUlT_T0_E_clISt17integral_constantIbLb1EESX_EEDaSS_ST_EUlSS_E0_NS1_11comp_targetILNS1_3genE4ELNS1_11target_archE910ELNS1_3gpuE8ELNS1_3repE0EEENS1_30default_config_static_selectorELNS0_4arch9wavefront6targetE1EEEvT1_,comdat
	.protected	_ZN7rocprim17ROCPRIM_400000_NS6detail17trampoline_kernelINS0_14default_configENS1_20scan_config_selectorIdEEZZNS1_9scan_implILNS1_25lookback_scan_determinismE0ELb1ELb1ES3_N6thrust23THRUST_200600_302600_NS6detail15normal_iteratorINS9_10device_ptrIdEEEENS9_16discard_iteratorINS9_11use_defaultEEEd11max_functorIdEdEEDaPvRmT3_T4_T5_mT6_P12ihipStream_tbENKUlT_T0_E_clISt17integral_constantIbLb1EESX_EEDaSS_ST_EUlSS_E0_NS1_11comp_targetILNS1_3genE4ELNS1_11target_archE910ELNS1_3gpuE8ELNS1_3repE0EEENS1_30default_config_static_selectorELNS0_4arch9wavefront6targetE1EEEvT1_ ; -- Begin function _ZN7rocprim17ROCPRIM_400000_NS6detail17trampoline_kernelINS0_14default_configENS1_20scan_config_selectorIdEEZZNS1_9scan_implILNS1_25lookback_scan_determinismE0ELb1ELb1ES3_N6thrust23THRUST_200600_302600_NS6detail15normal_iteratorINS9_10device_ptrIdEEEENS9_16discard_iteratorINS9_11use_defaultEEEd11max_functorIdEdEEDaPvRmT3_T4_T5_mT6_P12ihipStream_tbENKUlT_T0_E_clISt17integral_constantIbLb1EESX_EEDaSS_ST_EUlSS_E0_NS1_11comp_targetILNS1_3genE4ELNS1_11target_archE910ELNS1_3gpuE8ELNS1_3repE0EEENS1_30default_config_static_selectorELNS0_4arch9wavefront6targetE1EEEvT1_
	.globl	_ZN7rocprim17ROCPRIM_400000_NS6detail17trampoline_kernelINS0_14default_configENS1_20scan_config_selectorIdEEZZNS1_9scan_implILNS1_25lookback_scan_determinismE0ELb1ELb1ES3_N6thrust23THRUST_200600_302600_NS6detail15normal_iteratorINS9_10device_ptrIdEEEENS9_16discard_iteratorINS9_11use_defaultEEEd11max_functorIdEdEEDaPvRmT3_T4_T5_mT6_P12ihipStream_tbENKUlT_T0_E_clISt17integral_constantIbLb1EESX_EEDaSS_ST_EUlSS_E0_NS1_11comp_targetILNS1_3genE4ELNS1_11target_archE910ELNS1_3gpuE8ELNS1_3repE0EEENS1_30default_config_static_selectorELNS0_4arch9wavefront6targetE1EEEvT1_
	.p2align	8
	.type	_ZN7rocprim17ROCPRIM_400000_NS6detail17trampoline_kernelINS0_14default_configENS1_20scan_config_selectorIdEEZZNS1_9scan_implILNS1_25lookback_scan_determinismE0ELb1ELb1ES3_N6thrust23THRUST_200600_302600_NS6detail15normal_iteratorINS9_10device_ptrIdEEEENS9_16discard_iteratorINS9_11use_defaultEEEd11max_functorIdEdEEDaPvRmT3_T4_T5_mT6_P12ihipStream_tbENKUlT_T0_E_clISt17integral_constantIbLb1EESX_EEDaSS_ST_EUlSS_E0_NS1_11comp_targetILNS1_3genE4ELNS1_11target_archE910ELNS1_3gpuE8ELNS1_3repE0EEENS1_30default_config_static_selectorELNS0_4arch9wavefront6targetE1EEEvT1_,@function
_ZN7rocprim17ROCPRIM_400000_NS6detail17trampoline_kernelINS0_14default_configENS1_20scan_config_selectorIdEEZZNS1_9scan_implILNS1_25lookback_scan_determinismE0ELb1ELb1ES3_N6thrust23THRUST_200600_302600_NS6detail15normal_iteratorINS9_10device_ptrIdEEEENS9_16discard_iteratorINS9_11use_defaultEEEd11max_functorIdEdEEDaPvRmT3_T4_T5_mT6_P12ihipStream_tbENKUlT_T0_E_clISt17integral_constantIbLb1EESX_EEDaSS_ST_EUlSS_E0_NS1_11comp_targetILNS1_3genE4ELNS1_11target_archE910ELNS1_3gpuE8ELNS1_3repE0EEENS1_30default_config_static_selectorELNS0_4arch9wavefront6targetE1EEEvT1_: ; @_ZN7rocprim17ROCPRIM_400000_NS6detail17trampoline_kernelINS0_14default_configENS1_20scan_config_selectorIdEEZZNS1_9scan_implILNS1_25lookback_scan_determinismE0ELb1ELb1ES3_N6thrust23THRUST_200600_302600_NS6detail15normal_iteratorINS9_10device_ptrIdEEEENS9_16discard_iteratorINS9_11use_defaultEEEd11max_functorIdEdEEDaPvRmT3_T4_T5_mT6_P12ihipStream_tbENKUlT_T0_E_clISt17integral_constantIbLb1EESX_EEDaSS_ST_EUlSS_E0_NS1_11comp_targetILNS1_3genE4ELNS1_11target_archE910ELNS1_3gpuE8ELNS1_3repE0EEENS1_30default_config_static_selectorELNS0_4arch9wavefront6targetE1EEEvT1_
; %bb.0:
	s_load_dwordx4 s[0:3], s[4:5], 0x0
	v_lshlrev_b32_e32 v1, 3, v0
	s_waitcnt lgkmcnt(0)
	s_load_dwordx2 s[6:7], s[0:1], 0x0
	v_cmp_gt_u32_e32 vcc, s2, v0
	s_waitcnt lgkmcnt(0)
	v_pk_mov_b32 v[2:3], s[6:7], s[6:7] op_sel:[0,1]
	s_and_saveexec_b64 s[8:9], vcc
	s_cbranch_execz .LBB3091_2
; %bb.1:
	global_load_dwordx2 v[2:3], v1, s[0:1]
.LBB3091_2:
	s_or_b64 exec, exec, s[8:9]
	v_or_b32_e32 v4, 0x80, v0
	v_cmp_gt_u32_e32 vcc, s2, v4
	v_pk_mov_b32 v[4:5], s[6:7], s[6:7] op_sel:[0,1]
	s_and_saveexec_b64 s[8:9], vcc
	s_cbranch_execz .LBB3091_4
; %bb.3:
	global_load_dwordx2 v[4:5], v1, s[0:1] offset:1024
.LBB3091_4:
	s_or_b64 exec, exec, s[8:9]
	v_or_b32_e32 v6, 0x100, v0
	v_cmp_gt_u32_e32 vcc, s2, v6
	v_pk_mov_b32 v[6:7], s[6:7], s[6:7] op_sel:[0,1]
	s_and_saveexec_b64 s[8:9], vcc
	s_cbranch_execz .LBB3091_6
; %bb.5:
	global_load_dwordx2 v[6:7], v1, s[0:1] offset:2048
.LBB3091_6:
	;; [unrolled: 9-line block ×3, first 2 shown]
	s_or_b64 exec, exec, s[8:9]
	v_or_b32_e32 v12, 0x200, v0
	v_cmp_gt_u32_e32 vcc, s2, v12
	v_pk_mov_b32 v[10:11], s[6:7], s[6:7] op_sel:[0,1]
	s_and_saveexec_b64 s[8:9], vcc
	s_cbranch_execz .LBB3091_10
; %bb.9:
	v_lshlrev_b32_e32 v10, 3, v12
	global_load_dwordx2 v[10:11], v10, s[0:1]
.LBB3091_10:
	s_or_b64 exec, exec, s[8:9]
	v_or_b32_e32 v14, 0x280, v0
	v_cmp_gt_u32_e32 vcc, s2, v14
	v_pk_mov_b32 v[12:13], s[6:7], s[6:7] op_sel:[0,1]
	s_and_saveexec_b64 s[8:9], vcc
	s_cbranch_execz .LBB3091_12
; %bb.11:
	v_lshlrev_b32_e32 v12, 3, v14
	global_load_dwordx2 v[12:13], v12, s[0:1]
.LBB3091_12:
	;; [unrolled: 10-line block ×6, first 2 shown]
	s_or_b64 exec, exec, s[2:3]
	s_movk_i32 s0, 0x48
	s_waitcnt vmcnt(0)
	ds_write2st64_b64 v1, v[2:3], v[4:5] offset1:2
	ds_write2st64_b64 v1, v[6:7], v[8:9] offset0:4 offset1:6
	ds_write2st64_b64 v1, v[10:11], v[12:13] offset0:8 offset1:10
	;; [unrolled: 1-line block ×4, first 2 shown]
	v_mad_u32_u24 v14, v0, s0, v1
	s_waitcnt lgkmcnt(0)
	s_barrier
	ds_read_b128 v[18:21], v14
	ds_read_b128 v[10:13], v14 offset:16
	ds_read_b128 v[6:9], v14 offset:32
	;; [unrolled: 1-line block ×4, first 2 shown]
	s_waitcnt lgkmcnt(4)
	v_cmp_lt_f64_e32 vcc, v[18:19], v[20:21]
	v_cndmask_b32_e32 v23, v19, v21, vcc
	v_cndmask_b32_e32 v22, v18, v20, vcc
	s_waitcnt lgkmcnt(3)
	v_cmp_lt_f64_e32 vcc, v[22:23], v[10:11]
	v_cndmask_b32_e32 v23, v23, v11, vcc
	v_cndmask_b32_e32 v22, v22, v10, vcc
	v_cmp_lt_f64_e32 vcc, v[22:23], v[12:13]
	v_cndmask_b32_e32 v23, v23, v13, vcc
	v_cndmask_b32_e32 v22, v22, v12, vcc
	s_waitcnt lgkmcnt(2)
	v_cmp_lt_f64_e32 vcc, v[22:23], v[6:7]
	v_cndmask_b32_e32 v23, v23, v7, vcc
	v_cndmask_b32_e32 v22, v22, v6, vcc
	;; [unrolled: 7-line block ×4, first 2 shown]
	v_cmp_lt_f64_e32 vcc, v[22:23], v[16:17]
	v_cndmask_b32_e32 v16, v22, v16, vcc
	v_mbcnt_lo_u32_b32 v22, -1, 0
	v_mbcnt_hi_u32_b32 v24, -1, v22
	v_cndmask_b32_e32 v17, v23, v17, vcc
	v_and_b32_e32 v25, 15, v24
	v_mov_b32_dpp v22, v16 row_shr:1 row_mask:0xf bank_mask:0xf
	v_mov_b32_dpp v23, v17 row_shr:1 row_mask:0xf bank_mask:0xf
	v_cmp_ne_u32_e32 vcc, 0, v25
	s_barrier
	s_and_saveexec_b64 s[0:1], vcc
; %bb.21:
	v_cmp_gt_f64_e32 vcc, v[16:17], v[22:23]
	v_cndmask_b32_e32 v17, v23, v17, vcc
	v_cndmask_b32_e32 v16, v22, v16, vcc
; %bb.22:
	s_or_b64 exec, exec, s[0:1]
	s_nop 0
	v_mov_b32_dpp v22, v16 row_shr:2 row_mask:0xf bank_mask:0xf
	v_mov_b32_dpp v23, v17 row_shr:2 row_mask:0xf bank_mask:0xf
	v_cmp_lt_u32_e32 vcc, 1, v25
	s_and_saveexec_b64 s[0:1], vcc
; %bb.23:
	v_cmp_gt_f64_e32 vcc, v[16:17], v[22:23]
	v_cndmask_b32_e32 v17, v23, v17, vcc
	v_cndmask_b32_e32 v16, v22, v16, vcc
; %bb.24:
	s_or_b64 exec, exec, s[0:1]
	s_nop 0
	v_mov_b32_dpp v22, v16 row_shr:4 row_mask:0xf bank_mask:0xf
	v_mov_b32_dpp v23, v17 row_shr:4 row_mask:0xf bank_mask:0xf
	v_cmp_lt_u32_e32 vcc, 3, v25
	s_and_saveexec_b64 s[0:1], vcc
; %bb.25:
	v_cmp_gt_f64_e32 vcc, v[16:17], v[22:23]
	v_cndmask_b32_e32 v17, v23, v17, vcc
	v_cndmask_b32_e32 v16, v22, v16, vcc
; %bb.26:
	s_or_b64 exec, exec, s[0:1]
	s_nop 0
	v_mov_b32_dpp v22, v16 row_shr:8 row_mask:0xf bank_mask:0xf
	v_mov_b32_dpp v23, v17 row_shr:8 row_mask:0xf bank_mask:0xf
	v_cmp_lt_u32_e32 vcc, 7, v25
	s_and_saveexec_b64 s[0:1], vcc
; %bb.27:
	v_cmp_gt_f64_e32 vcc, v[16:17], v[22:23]
	v_cndmask_b32_e32 v17, v23, v17, vcc
	v_cndmask_b32_e32 v16, v22, v16, vcc
; %bb.28:
	s_or_b64 exec, exec, s[0:1]
	s_load_dwordx2 s[2:3], s[4:5], 0x10
	v_and_b32_e32 v25, 16, v24
	v_mov_b32_dpp v22, v16 row_bcast:15 row_mask:0xf bank_mask:0xf
	v_mov_b32_dpp v23, v17 row_bcast:15 row_mask:0xf bank_mask:0xf
	v_cmp_ne_u32_e32 vcc, 0, v25
	s_and_saveexec_b64 s[0:1], vcc
; %bb.29:
	v_cmp_gt_f64_e32 vcc, v[16:17], v[22:23]
	v_cndmask_b32_e32 v17, v23, v17, vcc
	v_cndmask_b32_e32 v16, v22, v16, vcc
; %bb.30:
	s_or_b64 exec, exec, s[0:1]
	s_nop 0
	v_mov_b32_dpp v22, v16 row_bcast:31 row_mask:0xf bank_mask:0xf
	v_mov_b32_dpp v23, v17 row_bcast:31 row_mask:0xf bank_mask:0xf
	v_cmp_gt_f64_e32 vcc, v[16:17], v[22:23]
	v_cndmask_b32_e32 v22, v22, v16, vcc
	v_cndmask_b32_e32 v23, v23, v17, vcc
	v_cmp_lt_u32_e32 vcc, 31, v24
	v_cndmask_b32_e32 v16, v16, v22, vcc
	v_or_b32_e32 v22, 63, v0
	v_cndmask_b32_e32 v17, v17, v23, vcc
	v_lshrrev_b32_e32 v26, 6, v0
	v_cmp_eq_u32_e32 vcc, v22, v0
	s_and_saveexec_b64 s[0:1], vcc
	s_cbranch_execz .LBB3091_32
; %bb.31:
	v_lshlrev_b32_e32 v22, 3, v26
	ds_write_b64 v22, v[16:17]
.LBB3091_32:
	s_or_b64 exec, exec, s[0:1]
	v_cmp_gt_u32_e32 vcc, 2, v0
	s_waitcnt lgkmcnt(0)
	s_barrier
	s_and_saveexec_b64 s[4:5], vcc
	s_cbranch_execz .LBB3091_34
; %bb.33:
	ds_read_b64 v[22:23], v1
	v_and_b32_e32 v25, 1, v24
	v_cmp_eq_u32_e32 vcc, 0, v25
	s_waitcnt lgkmcnt(0)
	v_mov_b32_dpp v30, v23 row_shr:1 row_mask:0xf bank_mask:0xf
	v_mov_b32_dpp v28, v22 row_shr:1 row_mask:0xf bank_mask:0xf
	v_mov_b32_e32 v29, v30
	v_cmp_gt_f64_e64 s[0:1], v[22:23], v[28:29]
	s_or_b64 vcc, vcc, s[0:1]
	v_cndmask_b32_e32 v23, v30, v23, vcc
	v_cndmask_b32_e32 v22, v28, v22, vcc
	ds_write_b64 v1, v[22:23]
.LBB3091_34:
	s_or_b64 exec, exec, s[4:5]
	v_mul_u32_u24_e32 v25, 0x48, v0
	v_cmp_lt_u32_e32 vcc, 63, v0
	v_pk_mov_b32 v[22:23], s[2:3], s[2:3] op_sel:[0,1]
	s_waitcnt lgkmcnt(0)
	s_barrier
	s_and_saveexec_b64 s[0:1], vcc
	s_cbranch_execz .LBB3091_36
; %bb.35:
	v_lshl_add_u32 v22, v26, 3, -8
	ds_read_b64 v[22:23], v22
	v_mov_b32_e32 v26, s3
	s_waitcnt lgkmcnt(0)
	v_cmp_lt_f64_e32 vcc, s[2:3], v[22:23]
	v_cndmask_b32_e32 v23, v26, v23, vcc
	v_mov_b32_e32 v26, s2
	v_cndmask_b32_e32 v22, v26, v22, vcc
.LBB3091_36:
	s_or_b64 exec, exec, s[0:1]
	v_cmp_lt_f64_e32 vcc, v[22:23], v[16:17]
	v_add_u32_e32 v26, -1, v24
	v_and_b32_e32 v27, 64, v24
	v_cndmask_b32_e32 v17, v23, v17, vcc
	v_cndmask_b32_e32 v16, v22, v16, vcc
	v_cmp_lt_i32_e32 vcc, v26, v27
	v_cndmask_b32_e32 v26, v26, v24, vcc
	v_lshlrev_b32_e32 v26, 2, v26
	ds_bpermute_b32 v16, v26, v16
	ds_bpermute_b32 v17, v26, v17
	v_cmp_eq_u32_e32 vcc, 0, v24
	s_waitcnt lgkmcnt(0)
	s_barrier
	v_cndmask_b32_e32 v16, v16, v22, vcc
	v_cndmask_b32_e32 v17, v17, v23, vcc
	v_mov_b32_e32 v22, s3
	v_cmp_eq_u32_e32 vcc, 0, v0
	v_mov_b32_e32 v0, s2
	v_cndmask_b32_e32 v17, v17, v22, vcc
	v_cndmask_b32_e32 v16, v16, v0, vcc
	v_cmp_lt_f64_e32 vcc, v[16:17], v[18:19]
	v_cndmask_b32_e32 v19, v17, v19, vcc
	v_cndmask_b32_e32 v18, v16, v18, vcc
	v_cmp_lt_f64_e32 vcc, v[18:19], v[20:21]
	;; [unrolled: 3-line block ×9, first 2 shown]
	v_add_u32_e32 v0, v1, v25
	v_cndmask_b32_e32 v5, v3, v15, vcc
	v_cndmask_b32_e32 v4, v2, v14, vcc
	ds_write_b128 v0, v[16:19]
	ds_write_b128 v0, v[20:23] offset:16
	ds_write_b128 v0, v[10:13] offset:32
	;; [unrolled: 1-line block ×4, first 2 shown]
	s_waitcnt lgkmcnt(0)
	s_barrier
	s_endpgm
	.section	.rodata,"a",@progbits
	.p2align	6, 0x0
	.amdhsa_kernel _ZN7rocprim17ROCPRIM_400000_NS6detail17trampoline_kernelINS0_14default_configENS1_20scan_config_selectorIdEEZZNS1_9scan_implILNS1_25lookback_scan_determinismE0ELb1ELb1ES3_N6thrust23THRUST_200600_302600_NS6detail15normal_iteratorINS9_10device_ptrIdEEEENS9_16discard_iteratorINS9_11use_defaultEEEd11max_functorIdEdEEDaPvRmT3_T4_T5_mT6_P12ihipStream_tbENKUlT_T0_E_clISt17integral_constantIbLb1EESX_EEDaSS_ST_EUlSS_E0_NS1_11comp_targetILNS1_3genE4ELNS1_11target_archE910ELNS1_3gpuE8ELNS1_3repE0EEENS1_30default_config_static_selectorELNS0_4arch9wavefront6targetE1EEEvT1_
		.amdhsa_group_segment_fixed_size 10240
		.amdhsa_private_segment_fixed_size 0
		.amdhsa_kernarg_size 48
		.amdhsa_user_sgpr_count 6
		.amdhsa_user_sgpr_private_segment_buffer 1
		.amdhsa_user_sgpr_dispatch_ptr 0
		.amdhsa_user_sgpr_queue_ptr 0
		.amdhsa_user_sgpr_kernarg_segment_ptr 1
		.amdhsa_user_sgpr_dispatch_id 0
		.amdhsa_user_sgpr_flat_scratch_init 0
		.amdhsa_user_sgpr_kernarg_preload_length 0
		.amdhsa_user_sgpr_kernarg_preload_offset 0
		.amdhsa_user_sgpr_private_segment_size 0
		.amdhsa_uses_dynamic_stack 0
		.amdhsa_system_sgpr_private_segment_wavefront_offset 0
		.amdhsa_system_sgpr_workgroup_id_x 1
		.amdhsa_system_sgpr_workgroup_id_y 0
		.amdhsa_system_sgpr_workgroup_id_z 0
		.amdhsa_system_sgpr_workgroup_info 0
		.amdhsa_system_vgpr_workitem_id 0
		.amdhsa_next_free_vgpr 31
		.amdhsa_next_free_sgpr 10
		.amdhsa_accum_offset 32
		.amdhsa_reserve_vcc 1
		.amdhsa_reserve_flat_scratch 0
		.amdhsa_float_round_mode_32 0
		.amdhsa_float_round_mode_16_64 0
		.amdhsa_float_denorm_mode_32 3
		.amdhsa_float_denorm_mode_16_64 3
		.amdhsa_dx10_clamp 1
		.amdhsa_ieee_mode 1
		.amdhsa_fp16_overflow 0
		.amdhsa_tg_split 0
		.amdhsa_exception_fp_ieee_invalid_op 0
		.amdhsa_exception_fp_denorm_src 0
		.amdhsa_exception_fp_ieee_div_zero 0
		.amdhsa_exception_fp_ieee_overflow 0
		.amdhsa_exception_fp_ieee_underflow 0
		.amdhsa_exception_fp_ieee_inexact 0
		.amdhsa_exception_int_div_zero 0
	.end_amdhsa_kernel
	.section	.text._ZN7rocprim17ROCPRIM_400000_NS6detail17trampoline_kernelINS0_14default_configENS1_20scan_config_selectorIdEEZZNS1_9scan_implILNS1_25lookback_scan_determinismE0ELb1ELb1ES3_N6thrust23THRUST_200600_302600_NS6detail15normal_iteratorINS9_10device_ptrIdEEEENS9_16discard_iteratorINS9_11use_defaultEEEd11max_functorIdEdEEDaPvRmT3_T4_T5_mT6_P12ihipStream_tbENKUlT_T0_E_clISt17integral_constantIbLb1EESX_EEDaSS_ST_EUlSS_E0_NS1_11comp_targetILNS1_3genE4ELNS1_11target_archE910ELNS1_3gpuE8ELNS1_3repE0EEENS1_30default_config_static_selectorELNS0_4arch9wavefront6targetE1EEEvT1_,"axG",@progbits,_ZN7rocprim17ROCPRIM_400000_NS6detail17trampoline_kernelINS0_14default_configENS1_20scan_config_selectorIdEEZZNS1_9scan_implILNS1_25lookback_scan_determinismE0ELb1ELb1ES3_N6thrust23THRUST_200600_302600_NS6detail15normal_iteratorINS9_10device_ptrIdEEEENS9_16discard_iteratorINS9_11use_defaultEEEd11max_functorIdEdEEDaPvRmT3_T4_T5_mT6_P12ihipStream_tbENKUlT_T0_E_clISt17integral_constantIbLb1EESX_EEDaSS_ST_EUlSS_E0_NS1_11comp_targetILNS1_3genE4ELNS1_11target_archE910ELNS1_3gpuE8ELNS1_3repE0EEENS1_30default_config_static_selectorELNS0_4arch9wavefront6targetE1EEEvT1_,comdat
.Lfunc_end3091:
	.size	_ZN7rocprim17ROCPRIM_400000_NS6detail17trampoline_kernelINS0_14default_configENS1_20scan_config_selectorIdEEZZNS1_9scan_implILNS1_25lookback_scan_determinismE0ELb1ELb1ES3_N6thrust23THRUST_200600_302600_NS6detail15normal_iteratorINS9_10device_ptrIdEEEENS9_16discard_iteratorINS9_11use_defaultEEEd11max_functorIdEdEEDaPvRmT3_T4_T5_mT6_P12ihipStream_tbENKUlT_T0_E_clISt17integral_constantIbLb1EESX_EEDaSS_ST_EUlSS_E0_NS1_11comp_targetILNS1_3genE4ELNS1_11target_archE910ELNS1_3gpuE8ELNS1_3repE0EEENS1_30default_config_static_selectorELNS0_4arch9wavefront6targetE1EEEvT1_, .Lfunc_end3091-_ZN7rocprim17ROCPRIM_400000_NS6detail17trampoline_kernelINS0_14default_configENS1_20scan_config_selectorIdEEZZNS1_9scan_implILNS1_25lookback_scan_determinismE0ELb1ELb1ES3_N6thrust23THRUST_200600_302600_NS6detail15normal_iteratorINS9_10device_ptrIdEEEENS9_16discard_iteratorINS9_11use_defaultEEEd11max_functorIdEdEEDaPvRmT3_T4_T5_mT6_P12ihipStream_tbENKUlT_T0_E_clISt17integral_constantIbLb1EESX_EEDaSS_ST_EUlSS_E0_NS1_11comp_targetILNS1_3genE4ELNS1_11target_archE910ELNS1_3gpuE8ELNS1_3repE0EEENS1_30default_config_static_selectorELNS0_4arch9wavefront6targetE1EEEvT1_
                                        ; -- End function
	.section	.AMDGPU.csdata,"",@progbits
; Kernel info:
; codeLenInByte = 1428
; NumSgprs: 14
; NumVgprs: 31
; NumAgprs: 0
; TotalNumVgprs: 31
; ScratchSize: 0
; MemoryBound: 0
; FloatMode: 240
; IeeeMode: 1
; LDSByteSize: 10240 bytes/workgroup (compile time only)
; SGPRBlocks: 1
; VGPRBlocks: 3
; NumSGPRsForWavesPerEU: 14
; NumVGPRsForWavesPerEU: 31
; AccumOffset: 32
; Occupancy: 3
; WaveLimiterHint : 0
; COMPUTE_PGM_RSRC2:SCRATCH_EN: 0
; COMPUTE_PGM_RSRC2:USER_SGPR: 6
; COMPUTE_PGM_RSRC2:TRAP_HANDLER: 0
; COMPUTE_PGM_RSRC2:TGID_X_EN: 1
; COMPUTE_PGM_RSRC2:TGID_Y_EN: 0
; COMPUTE_PGM_RSRC2:TGID_Z_EN: 0
; COMPUTE_PGM_RSRC2:TIDIG_COMP_CNT: 0
; COMPUTE_PGM_RSRC3_GFX90A:ACCUM_OFFSET: 7
; COMPUTE_PGM_RSRC3_GFX90A:TG_SPLIT: 0
	.section	.text._ZN7rocprim17ROCPRIM_400000_NS6detail17trampoline_kernelINS0_14default_configENS1_20scan_config_selectorIdEEZZNS1_9scan_implILNS1_25lookback_scan_determinismE0ELb1ELb1ES3_N6thrust23THRUST_200600_302600_NS6detail15normal_iteratorINS9_10device_ptrIdEEEENS9_16discard_iteratorINS9_11use_defaultEEEd11max_functorIdEdEEDaPvRmT3_T4_T5_mT6_P12ihipStream_tbENKUlT_T0_E_clISt17integral_constantIbLb1EESX_EEDaSS_ST_EUlSS_E0_NS1_11comp_targetILNS1_3genE3ELNS1_11target_archE908ELNS1_3gpuE7ELNS1_3repE0EEENS1_30default_config_static_selectorELNS0_4arch9wavefront6targetE1EEEvT1_,"axG",@progbits,_ZN7rocprim17ROCPRIM_400000_NS6detail17trampoline_kernelINS0_14default_configENS1_20scan_config_selectorIdEEZZNS1_9scan_implILNS1_25lookback_scan_determinismE0ELb1ELb1ES3_N6thrust23THRUST_200600_302600_NS6detail15normal_iteratorINS9_10device_ptrIdEEEENS9_16discard_iteratorINS9_11use_defaultEEEd11max_functorIdEdEEDaPvRmT3_T4_T5_mT6_P12ihipStream_tbENKUlT_T0_E_clISt17integral_constantIbLb1EESX_EEDaSS_ST_EUlSS_E0_NS1_11comp_targetILNS1_3genE3ELNS1_11target_archE908ELNS1_3gpuE7ELNS1_3repE0EEENS1_30default_config_static_selectorELNS0_4arch9wavefront6targetE1EEEvT1_,comdat
	.protected	_ZN7rocprim17ROCPRIM_400000_NS6detail17trampoline_kernelINS0_14default_configENS1_20scan_config_selectorIdEEZZNS1_9scan_implILNS1_25lookback_scan_determinismE0ELb1ELb1ES3_N6thrust23THRUST_200600_302600_NS6detail15normal_iteratorINS9_10device_ptrIdEEEENS9_16discard_iteratorINS9_11use_defaultEEEd11max_functorIdEdEEDaPvRmT3_T4_T5_mT6_P12ihipStream_tbENKUlT_T0_E_clISt17integral_constantIbLb1EESX_EEDaSS_ST_EUlSS_E0_NS1_11comp_targetILNS1_3genE3ELNS1_11target_archE908ELNS1_3gpuE7ELNS1_3repE0EEENS1_30default_config_static_selectorELNS0_4arch9wavefront6targetE1EEEvT1_ ; -- Begin function _ZN7rocprim17ROCPRIM_400000_NS6detail17trampoline_kernelINS0_14default_configENS1_20scan_config_selectorIdEEZZNS1_9scan_implILNS1_25lookback_scan_determinismE0ELb1ELb1ES3_N6thrust23THRUST_200600_302600_NS6detail15normal_iteratorINS9_10device_ptrIdEEEENS9_16discard_iteratorINS9_11use_defaultEEEd11max_functorIdEdEEDaPvRmT3_T4_T5_mT6_P12ihipStream_tbENKUlT_T0_E_clISt17integral_constantIbLb1EESX_EEDaSS_ST_EUlSS_E0_NS1_11comp_targetILNS1_3genE3ELNS1_11target_archE908ELNS1_3gpuE7ELNS1_3repE0EEENS1_30default_config_static_selectorELNS0_4arch9wavefront6targetE1EEEvT1_
	.globl	_ZN7rocprim17ROCPRIM_400000_NS6detail17trampoline_kernelINS0_14default_configENS1_20scan_config_selectorIdEEZZNS1_9scan_implILNS1_25lookback_scan_determinismE0ELb1ELb1ES3_N6thrust23THRUST_200600_302600_NS6detail15normal_iteratorINS9_10device_ptrIdEEEENS9_16discard_iteratorINS9_11use_defaultEEEd11max_functorIdEdEEDaPvRmT3_T4_T5_mT6_P12ihipStream_tbENKUlT_T0_E_clISt17integral_constantIbLb1EESX_EEDaSS_ST_EUlSS_E0_NS1_11comp_targetILNS1_3genE3ELNS1_11target_archE908ELNS1_3gpuE7ELNS1_3repE0EEENS1_30default_config_static_selectorELNS0_4arch9wavefront6targetE1EEEvT1_
	.p2align	8
	.type	_ZN7rocprim17ROCPRIM_400000_NS6detail17trampoline_kernelINS0_14default_configENS1_20scan_config_selectorIdEEZZNS1_9scan_implILNS1_25lookback_scan_determinismE0ELb1ELb1ES3_N6thrust23THRUST_200600_302600_NS6detail15normal_iteratorINS9_10device_ptrIdEEEENS9_16discard_iteratorINS9_11use_defaultEEEd11max_functorIdEdEEDaPvRmT3_T4_T5_mT6_P12ihipStream_tbENKUlT_T0_E_clISt17integral_constantIbLb1EESX_EEDaSS_ST_EUlSS_E0_NS1_11comp_targetILNS1_3genE3ELNS1_11target_archE908ELNS1_3gpuE7ELNS1_3repE0EEENS1_30default_config_static_selectorELNS0_4arch9wavefront6targetE1EEEvT1_,@function
_ZN7rocprim17ROCPRIM_400000_NS6detail17trampoline_kernelINS0_14default_configENS1_20scan_config_selectorIdEEZZNS1_9scan_implILNS1_25lookback_scan_determinismE0ELb1ELb1ES3_N6thrust23THRUST_200600_302600_NS6detail15normal_iteratorINS9_10device_ptrIdEEEENS9_16discard_iteratorINS9_11use_defaultEEEd11max_functorIdEdEEDaPvRmT3_T4_T5_mT6_P12ihipStream_tbENKUlT_T0_E_clISt17integral_constantIbLb1EESX_EEDaSS_ST_EUlSS_E0_NS1_11comp_targetILNS1_3genE3ELNS1_11target_archE908ELNS1_3gpuE7ELNS1_3repE0EEENS1_30default_config_static_selectorELNS0_4arch9wavefront6targetE1EEEvT1_: ; @_ZN7rocprim17ROCPRIM_400000_NS6detail17trampoline_kernelINS0_14default_configENS1_20scan_config_selectorIdEEZZNS1_9scan_implILNS1_25lookback_scan_determinismE0ELb1ELb1ES3_N6thrust23THRUST_200600_302600_NS6detail15normal_iteratorINS9_10device_ptrIdEEEENS9_16discard_iteratorINS9_11use_defaultEEEd11max_functorIdEdEEDaPvRmT3_T4_T5_mT6_P12ihipStream_tbENKUlT_T0_E_clISt17integral_constantIbLb1EESX_EEDaSS_ST_EUlSS_E0_NS1_11comp_targetILNS1_3genE3ELNS1_11target_archE908ELNS1_3gpuE7ELNS1_3repE0EEENS1_30default_config_static_selectorELNS0_4arch9wavefront6targetE1EEEvT1_
; %bb.0:
	.section	.rodata,"a",@progbits
	.p2align	6, 0x0
	.amdhsa_kernel _ZN7rocprim17ROCPRIM_400000_NS6detail17trampoline_kernelINS0_14default_configENS1_20scan_config_selectorIdEEZZNS1_9scan_implILNS1_25lookback_scan_determinismE0ELb1ELb1ES3_N6thrust23THRUST_200600_302600_NS6detail15normal_iteratorINS9_10device_ptrIdEEEENS9_16discard_iteratorINS9_11use_defaultEEEd11max_functorIdEdEEDaPvRmT3_T4_T5_mT6_P12ihipStream_tbENKUlT_T0_E_clISt17integral_constantIbLb1EESX_EEDaSS_ST_EUlSS_E0_NS1_11comp_targetILNS1_3genE3ELNS1_11target_archE908ELNS1_3gpuE7ELNS1_3repE0EEENS1_30default_config_static_selectorELNS0_4arch9wavefront6targetE1EEEvT1_
		.amdhsa_group_segment_fixed_size 0
		.amdhsa_private_segment_fixed_size 0
		.amdhsa_kernarg_size 48
		.amdhsa_user_sgpr_count 6
		.amdhsa_user_sgpr_private_segment_buffer 1
		.amdhsa_user_sgpr_dispatch_ptr 0
		.amdhsa_user_sgpr_queue_ptr 0
		.amdhsa_user_sgpr_kernarg_segment_ptr 1
		.amdhsa_user_sgpr_dispatch_id 0
		.amdhsa_user_sgpr_flat_scratch_init 0
		.amdhsa_user_sgpr_kernarg_preload_length 0
		.amdhsa_user_sgpr_kernarg_preload_offset 0
		.amdhsa_user_sgpr_private_segment_size 0
		.amdhsa_uses_dynamic_stack 0
		.amdhsa_system_sgpr_private_segment_wavefront_offset 0
		.amdhsa_system_sgpr_workgroup_id_x 1
		.amdhsa_system_sgpr_workgroup_id_y 0
		.amdhsa_system_sgpr_workgroup_id_z 0
		.amdhsa_system_sgpr_workgroup_info 0
		.amdhsa_system_vgpr_workitem_id 0
		.amdhsa_next_free_vgpr 1
		.amdhsa_next_free_sgpr 0
		.amdhsa_accum_offset 4
		.amdhsa_reserve_vcc 0
		.amdhsa_reserve_flat_scratch 0
		.amdhsa_float_round_mode_32 0
		.amdhsa_float_round_mode_16_64 0
		.amdhsa_float_denorm_mode_32 3
		.amdhsa_float_denorm_mode_16_64 3
		.amdhsa_dx10_clamp 1
		.amdhsa_ieee_mode 1
		.amdhsa_fp16_overflow 0
		.amdhsa_tg_split 0
		.amdhsa_exception_fp_ieee_invalid_op 0
		.amdhsa_exception_fp_denorm_src 0
		.amdhsa_exception_fp_ieee_div_zero 0
		.amdhsa_exception_fp_ieee_overflow 0
		.amdhsa_exception_fp_ieee_underflow 0
		.amdhsa_exception_fp_ieee_inexact 0
		.amdhsa_exception_int_div_zero 0
	.end_amdhsa_kernel
	.section	.text._ZN7rocprim17ROCPRIM_400000_NS6detail17trampoline_kernelINS0_14default_configENS1_20scan_config_selectorIdEEZZNS1_9scan_implILNS1_25lookback_scan_determinismE0ELb1ELb1ES3_N6thrust23THRUST_200600_302600_NS6detail15normal_iteratorINS9_10device_ptrIdEEEENS9_16discard_iteratorINS9_11use_defaultEEEd11max_functorIdEdEEDaPvRmT3_T4_T5_mT6_P12ihipStream_tbENKUlT_T0_E_clISt17integral_constantIbLb1EESX_EEDaSS_ST_EUlSS_E0_NS1_11comp_targetILNS1_3genE3ELNS1_11target_archE908ELNS1_3gpuE7ELNS1_3repE0EEENS1_30default_config_static_selectorELNS0_4arch9wavefront6targetE1EEEvT1_,"axG",@progbits,_ZN7rocprim17ROCPRIM_400000_NS6detail17trampoline_kernelINS0_14default_configENS1_20scan_config_selectorIdEEZZNS1_9scan_implILNS1_25lookback_scan_determinismE0ELb1ELb1ES3_N6thrust23THRUST_200600_302600_NS6detail15normal_iteratorINS9_10device_ptrIdEEEENS9_16discard_iteratorINS9_11use_defaultEEEd11max_functorIdEdEEDaPvRmT3_T4_T5_mT6_P12ihipStream_tbENKUlT_T0_E_clISt17integral_constantIbLb1EESX_EEDaSS_ST_EUlSS_E0_NS1_11comp_targetILNS1_3genE3ELNS1_11target_archE908ELNS1_3gpuE7ELNS1_3repE0EEENS1_30default_config_static_selectorELNS0_4arch9wavefront6targetE1EEEvT1_,comdat
.Lfunc_end3092:
	.size	_ZN7rocprim17ROCPRIM_400000_NS6detail17trampoline_kernelINS0_14default_configENS1_20scan_config_selectorIdEEZZNS1_9scan_implILNS1_25lookback_scan_determinismE0ELb1ELb1ES3_N6thrust23THRUST_200600_302600_NS6detail15normal_iteratorINS9_10device_ptrIdEEEENS9_16discard_iteratorINS9_11use_defaultEEEd11max_functorIdEdEEDaPvRmT3_T4_T5_mT6_P12ihipStream_tbENKUlT_T0_E_clISt17integral_constantIbLb1EESX_EEDaSS_ST_EUlSS_E0_NS1_11comp_targetILNS1_3genE3ELNS1_11target_archE908ELNS1_3gpuE7ELNS1_3repE0EEENS1_30default_config_static_selectorELNS0_4arch9wavefront6targetE1EEEvT1_, .Lfunc_end3092-_ZN7rocprim17ROCPRIM_400000_NS6detail17trampoline_kernelINS0_14default_configENS1_20scan_config_selectorIdEEZZNS1_9scan_implILNS1_25lookback_scan_determinismE0ELb1ELb1ES3_N6thrust23THRUST_200600_302600_NS6detail15normal_iteratorINS9_10device_ptrIdEEEENS9_16discard_iteratorINS9_11use_defaultEEEd11max_functorIdEdEEDaPvRmT3_T4_T5_mT6_P12ihipStream_tbENKUlT_T0_E_clISt17integral_constantIbLb1EESX_EEDaSS_ST_EUlSS_E0_NS1_11comp_targetILNS1_3genE3ELNS1_11target_archE908ELNS1_3gpuE7ELNS1_3repE0EEENS1_30default_config_static_selectorELNS0_4arch9wavefront6targetE1EEEvT1_
                                        ; -- End function
	.section	.AMDGPU.csdata,"",@progbits
; Kernel info:
; codeLenInByte = 0
; NumSgprs: 4
; NumVgprs: 0
; NumAgprs: 0
; TotalNumVgprs: 0
; ScratchSize: 0
; MemoryBound: 0
; FloatMode: 240
; IeeeMode: 1
; LDSByteSize: 0 bytes/workgroup (compile time only)
; SGPRBlocks: 0
; VGPRBlocks: 0
; NumSGPRsForWavesPerEU: 4
; NumVGPRsForWavesPerEU: 1
; AccumOffset: 4
; Occupancy: 8
; WaveLimiterHint : 0
; COMPUTE_PGM_RSRC2:SCRATCH_EN: 0
; COMPUTE_PGM_RSRC2:USER_SGPR: 6
; COMPUTE_PGM_RSRC2:TRAP_HANDLER: 0
; COMPUTE_PGM_RSRC2:TGID_X_EN: 1
; COMPUTE_PGM_RSRC2:TGID_Y_EN: 0
; COMPUTE_PGM_RSRC2:TGID_Z_EN: 0
; COMPUTE_PGM_RSRC2:TIDIG_COMP_CNT: 0
; COMPUTE_PGM_RSRC3_GFX90A:ACCUM_OFFSET: 0
; COMPUTE_PGM_RSRC3_GFX90A:TG_SPLIT: 0
	.section	.text._ZN7rocprim17ROCPRIM_400000_NS6detail17trampoline_kernelINS0_14default_configENS1_20scan_config_selectorIdEEZZNS1_9scan_implILNS1_25lookback_scan_determinismE0ELb1ELb1ES3_N6thrust23THRUST_200600_302600_NS6detail15normal_iteratorINS9_10device_ptrIdEEEENS9_16discard_iteratorINS9_11use_defaultEEEd11max_functorIdEdEEDaPvRmT3_T4_T5_mT6_P12ihipStream_tbENKUlT_T0_E_clISt17integral_constantIbLb1EESX_EEDaSS_ST_EUlSS_E0_NS1_11comp_targetILNS1_3genE2ELNS1_11target_archE906ELNS1_3gpuE6ELNS1_3repE0EEENS1_30default_config_static_selectorELNS0_4arch9wavefront6targetE1EEEvT1_,"axG",@progbits,_ZN7rocprim17ROCPRIM_400000_NS6detail17trampoline_kernelINS0_14default_configENS1_20scan_config_selectorIdEEZZNS1_9scan_implILNS1_25lookback_scan_determinismE0ELb1ELb1ES3_N6thrust23THRUST_200600_302600_NS6detail15normal_iteratorINS9_10device_ptrIdEEEENS9_16discard_iteratorINS9_11use_defaultEEEd11max_functorIdEdEEDaPvRmT3_T4_T5_mT6_P12ihipStream_tbENKUlT_T0_E_clISt17integral_constantIbLb1EESX_EEDaSS_ST_EUlSS_E0_NS1_11comp_targetILNS1_3genE2ELNS1_11target_archE906ELNS1_3gpuE6ELNS1_3repE0EEENS1_30default_config_static_selectorELNS0_4arch9wavefront6targetE1EEEvT1_,comdat
	.protected	_ZN7rocprim17ROCPRIM_400000_NS6detail17trampoline_kernelINS0_14default_configENS1_20scan_config_selectorIdEEZZNS1_9scan_implILNS1_25lookback_scan_determinismE0ELb1ELb1ES3_N6thrust23THRUST_200600_302600_NS6detail15normal_iteratorINS9_10device_ptrIdEEEENS9_16discard_iteratorINS9_11use_defaultEEEd11max_functorIdEdEEDaPvRmT3_T4_T5_mT6_P12ihipStream_tbENKUlT_T0_E_clISt17integral_constantIbLb1EESX_EEDaSS_ST_EUlSS_E0_NS1_11comp_targetILNS1_3genE2ELNS1_11target_archE906ELNS1_3gpuE6ELNS1_3repE0EEENS1_30default_config_static_selectorELNS0_4arch9wavefront6targetE1EEEvT1_ ; -- Begin function _ZN7rocprim17ROCPRIM_400000_NS6detail17trampoline_kernelINS0_14default_configENS1_20scan_config_selectorIdEEZZNS1_9scan_implILNS1_25lookback_scan_determinismE0ELb1ELb1ES3_N6thrust23THRUST_200600_302600_NS6detail15normal_iteratorINS9_10device_ptrIdEEEENS9_16discard_iteratorINS9_11use_defaultEEEd11max_functorIdEdEEDaPvRmT3_T4_T5_mT6_P12ihipStream_tbENKUlT_T0_E_clISt17integral_constantIbLb1EESX_EEDaSS_ST_EUlSS_E0_NS1_11comp_targetILNS1_3genE2ELNS1_11target_archE906ELNS1_3gpuE6ELNS1_3repE0EEENS1_30default_config_static_selectorELNS0_4arch9wavefront6targetE1EEEvT1_
	.globl	_ZN7rocprim17ROCPRIM_400000_NS6detail17trampoline_kernelINS0_14default_configENS1_20scan_config_selectorIdEEZZNS1_9scan_implILNS1_25lookback_scan_determinismE0ELb1ELb1ES3_N6thrust23THRUST_200600_302600_NS6detail15normal_iteratorINS9_10device_ptrIdEEEENS9_16discard_iteratorINS9_11use_defaultEEEd11max_functorIdEdEEDaPvRmT3_T4_T5_mT6_P12ihipStream_tbENKUlT_T0_E_clISt17integral_constantIbLb1EESX_EEDaSS_ST_EUlSS_E0_NS1_11comp_targetILNS1_3genE2ELNS1_11target_archE906ELNS1_3gpuE6ELNS1_3repE0EEENS1_30default_config_static_selectorELNS0_4arch9wavefront6targetE1EEEvT1_
	.p2align	8
	.type	_ZN7rocprim17ROCPRIM_400000_NS6detail17trampoline_kernelINS0_14default_configENS1_20scan_config_selectorIdEEZZNS1_9scan_implILNS1_25lookback_scan_determinismE0ELb1ELb1ES3_N6thrust23THRUST_200600_302600_NS6detail15normal_iteratorINS9_10device_ptrIdEEEENS9_16discard_iteratorINS9_11use_defaultEEEd11max_functorIdEdEEDaPvRmT3_T4_T5_mT6_P12ihipStream_tbENKUlT_T0_E_clISt17integral_constantIbLb1EESX_EEDaSS_ST_EUlSS_E0_NS1_11comp_targetILNS1_3genE2ELNS1_11target_archE906ELNS1_3gpuE6ELNS1_3repE0EEENS1_30default_config_static_selectorELNS0_4arch9wavefront6targetE1EEEvT1_,@function
_ZN7rocprim17ROCPRIM_400000_NS6detail17trampoline_kernelINS0_14default_configENS1_20scan_config_selectorIdEEZZNS1_9scan_implILNS1_25lookback_scan_determinismE0ELb1ELb1ES3_N6thrust23THRUST_200600_302600_NS6detail15normal_iteratorINS9_10device_ptrIdEEEENS9_16discard_iteratorINS9_11use_defaultEEEd11max_functorIdEdEEDaPvRmT3_T4_T5_mT6_P12ihipStream_tbENKUlT_T0_E_clISt17integral_constantIbLb1EESX_EEDaSS_ST_EUlSS_E0_NS1_11comp_targetILNS1_3genE2ELNS1_11target_archE906ELNS1_3gpuE6ELNS1_3repE0EEENS1_30default_config_static_selectorELNS0_4arch9wavefront6targetE1EEEvT1_: ; @_ZN7rocprim17ROCPRIM_400000_NS6detail17trampoline_kernelINS0_14default_configENS1_20scan_config_selectorIdEEZZNS1_9scan_implILNS1_25lookback_scan_determinismE0ELb1ELb1ES3_N6thrust23THRUST_200600_302600_NS6detail15normal_iteratorINS9_10device_ptrIdEEEENS9_16discard_iteratorINS9_11use_defaultEEEd11max_functorIdEdEEDaPvRmT3_T4_T5_mT6_P12ihipStream_tbENKUlT_T0_E_clISt17integral_constantIbLb1EESX_EEDaSS_ST_EUlSS_E0_NS1_11comp_targetILNS1_3genE2ELNS1_11target_archE906ELNS1_3gpuE6ELNS1_3repE0EEENS1_30default_config_static_selectorELNS0_4arch9wavefront6targetE1EEEvT1_
; %bb.0:
	.section	.rodata,"a",@progbits
	.p2align	6, 0x0
	.amdhsa_kernel _ZN7rocprim17ROCPRIM_400000_NS6detail17trampoline_kernelINS0_14default_configENS1_20scan_config_selectorIdEEZZNS1_9scan_implILNS1_25lookback_scan_determinismE0ELb1ELb1ES3_N6thrust23THRUST_200600_302600_NS6detail15normal_iteratorINS9_10device_ptrIdEEEENS9_16discard_iteratorINS9_11use_defaultEEEd11max_functorIdEdEEDaPvRmT3_T4_T5_mT6_P12ihipStream_tbENKUlT_T0_E_clISt17integral_constantIbLb1EESX_EEDaSS_ST_EUlSS_E0_NS1_11comp_targetILNS1_3genE2ELNS1_11target_archE906ELNS1_3gpuE6ELNS1_3repE0EEENS1_30default_config_static_selectorELNS0_4arch9wavefront6targetE1EEEvT1_
		.amdhsa_group_segment_fixed_size 0
		.amdhsa_private_segment_fixed_size 0
		.amdhsa_kernarg_size 48
		.amdhsa_user_sgpr_count 6
		.amdhsa_user_sgpr_private_segment_buffer 1
		.amdhsa_user_sgpr_dispatch_ptr 0
		.amdhsa_user_sgpr_queue_ptr 0
		.amdhsa_user_sgpr_kernarg_segment_ptr 1
		.amdhsa_user_sgpr_dispatch_id 0
		.amdhsa_user_sgpr_flat_scratch_init 0
		.amdhsa_user_sgpr_kernarg_preload_length 0
		.amdhsa_user_sgpr_kernarg_preload_offset 0
		.amdhsa_user_sgpr_private_segment_size 0
		.amdhsa_uses_dynamic_stack 0
		.amdhsa_system_sgpr_private_segment_wavefront_offset 0
		.amdhsa_system_sgpr_workgroup_id_x 1
		.amdhsa_system_sgpr_workgroup_id_y 0
		.amdhsa_system_sgpr_workgroup_id_z 0
		.amdhsa_system_sgpr_workgroup_info 0
		.amdhsa_system_vgpr_workitem_id 0
		.amdhsa_next_free_vgpr 1
		.amdhsa_next_free_sgpr 0
		.amdhsa_accum_offset 4
		.amdhsa_reserve_vcc 0
		.amdhsa_reserve_flat_scratch 0
		.amdhsa_float_round_mode_32 0
		.amdhsa_float_round_mode_16_64 0
		.amdhsa_float_denorm_mode_32 3
		.amdhsa_float_denorm_mode_16_64 3
		.amdhsa_dx10_clamp 1
		.amdhsa_ieee_mode 1
		.amdhsa_fp16_overflow 0
		.amdhsa_tg_split 0
		.amdhsa_exception_fp_ieee_invalid_op 0
		.amdhsa_exception_fp_denorm_src 0
		.amdhsa_exception_fp_ieee_div_zero 0
		.amdhsa_exception_fp_ieee_overflow 0
		.amdhsa_exception_fp_ieee_underflow 0
		.amdhsa_exception_fp_ieee_inexact 0
		.amdhsa_exception_int_div_zero 0
	.end_amdhsa_kernel
	.section	.text._ZN7rocprim17ROCPRIM_400000_NS6detail17trampoline_kernelINS0_14default_configENS1_20scan_config_selectorIdEEZZNS1_9scan_implILNS1_25lookback_scan_determinismE0ELb1ELb1ES3_N6thrust23THRUST_200600_302600_NS6detail15normal_iteratorINS9_10device_ptrIdEEEENS9_16discard_iteratorINS9_11use_defaultEEEd11max_functorIdEdEEDaPvRmT3_T4_T5_mT6_P12ihipStream_tbENKUlT_T0_E_clISt17integral_constantIbLb1EESX_EEDaSS_ST_EUlSS_E0_NS1_11comp_targetILNS1_3genE2ELNS1_11target_archE906ELNS1_3gpuE6ELNS1_3repE0EEENS1_30default_config_static_selectorELNS0_4arch9wavefront6targetE1EEEvT1_,"axG",@progbits,_ZN7rocprim17ROCPRIM_400000_NS6detail17trampoline_kernelINS0_14default_configENS1_20scan_config_selectorIdEEZZNS1_9scan_implILNS1_25lookback_scan_determinismE0ELb1ELb1ES3_N6thrust23THRUST_200600_302600_NS6detail15normal_iteratorINS9_10device_ptrIdEEEENS9_16discard_iteratorINS9_11use_defaultEEEd11max_functorIdEdEEDaPvRmT3_T4_T5_mT6_P12ihipStream_tbENKUlT_T0_E_clISt17integral_constantIbLb1EESX_EEDaSS_ST_EUlSS_E0_NS1_11comp_targetILNS1_3genE2ELNS1_11target_archE906ELNS1_3gpuE6ELNS1_3repE0EEENS1_30default_config_static_selectorELNS0_4arch9wavefront6targetE1EEEvT1_,comdat
.Lfunc_end3093:
	.size	_ZN7rocprim17ROCPRIM_400000_NS6detail17trampoline_kernelINS0_14default_configENS1_20scan_config_selectorIdEEZZNS1_9scan_implILNS1_25lookback_scan_determinismE0ELb1ELb1ES3_N6thrust23THRUST_200600_302600_NS6detail15normal_iteratorINS9_10device_ptrIdEEEENS9_16discard_iteratorINS9_11use_defaultEEEd11max_functorIdEdEEDaPvRmT3_T4_T5_mT6_P12ihipStream_tbENKUlT_T0_E_clISt17integral_constantIbLb1EESX_EEDaSS_ST_EUlSS_E0_NS1_11comp_targetILNS1_3genE2ELNS1_11target_archE906ELNS1_3gpuE6ELNS1_3repE0EEENS1_30default_config_static_selectorELNS0_4arch9wavefront6targetE1EEEvT1_, .Lfunc_end3093-_ZN7rocprim17ROCPRIM_400000_NS6detail17trampoline_kernelINS0_14default_configENS1_20scan_config_selectorIdEEZZNS1_9scan_implILNS1_25lookback_scan_determinismE0ELb1ELb1ES3_N6thrust23THRUST_200600_302600_NS6detail15normal_iteratorINS9_10device_ptrIdEEEENS9_16discard_iteratorINS9_11use_defaultEEEd11max_functorIdEdEEDaPvRmT3_T4_T5_mT6_P12ihipStream_tbENKUlT_T0_E_clISt17integral_constantIbLb1EESX_EEDaSS_ST_EUlSS_E0_NS1_11comp_targetILNS1_3genE2ELNS1_11target_archE906ELNS1_3gpuE6ELNS1_3repE0EEENS1_30default_config_static_selectorELNS0_4arch9wavefront6targetE1EEEvT1_
                                        ; -- End function
	.section	.AMDGPU.csdata,"",@progbits
; Kernel info:
; codeLenInByte = 0
; NumSgprs: 4
; NumVgprs: 0
; NumAgprs: 0
; TotalNumVgprs: 0
; ScratchSize: 0
; MemoryBound: 0
; FloatMode: 240
; IeeeMode: 1
; LDSByteSize: 0 bytes/workgroup (compile time only)
; SGPRBlocks: 0
; VGPRBlocks: 0
; NumSGPRsForWavesPerEU: 4
; NumVGPRsForWavesPerEU: 1
; AccumOffset: 4
; Occupancy: 8
; WaveLimiterHint : 0
; COMPUTE_PGM_RSRC2:SCRATCH_EN: 0
; COMPUTE_PGM_RSRC2:USER_SGPR: 6
; COMPUTE_PGM_RSRC2:TRAP_HANDLER: 0
; COMPUTE_PGM_RSRC2:TGID_X_EN: 1
; COMPUTE_PGM_RSRC2:TGID_Y_EN: 0
; COMPUTE_PGM_RSRC2:TGID_Z_EN: 0
; COMPUTE_PGM_RSRC2:TIDIG_COMP_CNT: 0
; COMPUTE_PGM_RSRC3_GFX90A:ACCUM_OFFSET: 0
; COMPUTE_PGM_RSRC3_GFX90A:TG_SPLIT: 0
	.section	.text._ZN7rocprim17ROCPRIM_400000_NS6detail17trampoline_kernelINS0_14default_configENS1_20scan_config_selectorIdEEZZNS1_9scan_implILNS1_25lookback_scan_determinismE0ELb1ELb1ES3_N6thrust23THRUST_200600_302600_NS6detail15normal_iteratorINS9_10device_ptrIdEEEENS9_16discard_iteratorINS9_11use_defaultEEEd11max_functorIdEdEEDaPvRmT3_T4_T5_mT6_P12ihipStream_tbENKUlT_T0_E_clISt17integral_constantIbLb1EESX_EEDaSS_ST_EUlSS_E0_NS1_11comp_targetILNS1_3genE10ELNS1_11target_archE1201ELNS1_3gpuE5ELNS1_3repE0EEENS1_30default_config_static_selectorELNS0_4arch9wavefront6targetE1EEEvT1_,"axG",@progbits,_ZN7rocprim17ROCPRIM_400000_NS6detail17trampoline_kernelINS0_14default_configENS1_20scan_config_selectorIdEEZZNS1_9scan_implILNS1_25lookback_scan_determinismE0ELb1ELb1ES3_N6thrust23THRUST_200600_302600_NS6detail15normal_iteratorINS9_10device_ptrIdEEEENS9_16discard_iteratorINS9_11use_defaultEEEd11max_functorIdEdEEDaPvRmT3_T4_T5_mT6_P12ihipStream_tbENKUlT_T0_E_clISt17integral_constantIbLb1EESX_EEDaSS_ST_EUlSS_E0_NS1_11comp_targetILNS1_3genE10ELNS1_11target_archE1201ELNS1_3gpuE5ELNS1_3repE0EEENS1_30default_config_static_selectorELNS0_4arch9wavefront6targetE1EEEvT1_,comdat
	.protected	_ZN7rocprim17ROCPRIM_400000_NS6detail17trampoline_kernelINS0_14default_configENS1_20scan_config_selectorIdEEZZNS1_9scan_implILNS1_25lookback_scan_determinismE0ELb1ELb1ES3_N6thrust23THRUST_200600_302600_NS6detail15normal_iteratorINS9_10device_ptrIdEEEENS9_16discard_iteratorINS9_11use_defaultEEEd11max_functorIdEdEEDaPvRmT3_T4_T5_mT6_P12ihipStream_tbENKUlT_T0_E_clISt17integral_constantIbLb1EESX_EEDaSS_ST_EUlSS_E0_NS1_11comp_targetILNS1_3genE10ELNS1_11target_archE1201ELNS1_3gpuE5ELNS1_3repE0EEENS1_30default_config_static_selectorELNS0_4arch9wavefront6targetE1EEEvT1_ ; -- Begin function _ZN7rocprim17ROCPRIM_400000_NS6detail17trampoline_kernelINS0_14default_configENS1_20scan_config_selectorIdEEZZNS1_9scan_implILNS1_25lookback_scan_determinismE0ELb1ELb1ES3_N6thrust23THRUST_200600_302600_NS6detail15normal_iteratorINS9_10device_ptrIdEEEENS9_16discard_iteratorINS9_11use_defaultEEEd11max_functorIdEdEEDaPvRmT3_T4_T5_mT6_P12ihipStream_tbENKUlT_T0_E_clISt17integral_constantIbLb1EESX_EEDaSS_ST_EUlSS_E0_NS1_11comp_targetILNS1_3genE10ELNS1_11target_archE1201ELNS1_3gpuE5ELNS1_3repE0EEENS1_30default_config_static_selectorELNS0_4arch9wavefront6targetE1EEEvT1_
	.globl	_ZN7rocprim17ROCPRIM_400000_NS6detail17trampoline_kernelINS0_14default_configENS1_20scan_config_selectorIdEEZZNS1_9scan_implILNS1_25lookback_scan_determinismE0ELb1ELb1ES3_N6thrust23THRUST_200600_302600_NS6detail15normal_iteratorINS9_10device_ptrIdEEEENS9_16discard_iteratorINS9_11use_defaultEEEd11max_functorIdEdEEDaPvRmT3_T4_T5_mT6_P12ihipStream_tbENKUlT_T0_E_clISt17integral_constantIbLb1EESX_EEDaSS_ST_EUlSS_E0_NS1_11comp_targetILNS1_3genE10ELNS1_11target_archE1201ELNS1_3gpuE5ELNS1_3repE0EEENS1_30default_config_static_selectorELNS0_4arch9wavefront6targetE1EEEvT1_
	.p2align	8
	.type	_ZN7rocprim17ROCPRIM_400000_NS6detail17trampoline_kernelINS0_14default_configENS1_20scan_config_selectorIdEEZZNS1_9scan_implILNS1_25lookback_scan_determinismE0ELb1ELb1ES3_N6thrust23THRUST_200600_302600_NS6detail15normal_iteratorINS9_10device_ptrIdEEEENS9_16discard_iteratorINS9_11use_defaultEEEd11max_functorIdEdEEDaPvRmT3_T4_T5_mT6_P12ihipStream_tbENKUlT_T0_E_clISt17integral_constantIbLb1EESX_EEDaSS_ST_EUlSS_E0_NS1_11comp_targetILNS1_3genE10ELNS1_11target_archE1201ELNS1_3gpuE5ELNS1_3repE0EEENS1_30default_config_static_selectorELNS0_4arch9wavefront6targetE1EEEvT1_,@function
_ZN7rocprim17ROCPRIM_400000_NS6detail17trampoline_kernelINS0_14default_configENS1_20scan_config_selectorIdEEZZNS1_9scan_implILNS1_25lookback_scan_determinismE0ELb1ELb1ES3_N6thrust23THRUST_200600_302600_NS6detail15normal_iteratorINS9_10device_ptrIdEEEENS9_16discard_iteratorINS9_11use_defaultEEEd11max_functorIdEdEEDaPvRmT3_T4_T5_mT6_P12ihipStream_tbENKUlT_T0_E_clISt17integral_constantIbLb1EESX_EEDaSS_ST_EUlSS_E0_NS1_11comp_targetILNS1_3genE10ELNS1_11target_archE1201ELNS1_3gpuE5ELNS1_3repE0EEENS1_30default_config_static_selectorELNS0_4arch9wavefront6targetE1EEEvT1_: ; @_ZN7rocprim17ROCPRIM_400000_NS6detail17trampoline_kernelINS0_14default_configENS1_20scan_config_selectorIdEEZZNS1_9scan_implILNS1_25lookback_scan_determinismE0ELb1ELb1ES3_N6thrust23THRUST_200600_302600_NS6detail15normal_iteratorINS9_10device_ptrIdEEEENS9_16discard_iteratorINS9_11use_defaultEEEd11max_functorIdEdEEDaPvRmT3_T4_T5_mT6_P12ihipStream_tbENKUlT_T0_E_clISt17integral_constantIbLb1EESX_EEDaSS_ST_EUlSS_E0_NS1_11comp_targetILNS1_3genE10ELNS1_11target_archE1201ELNS1_3gpuE5ELNS1_3repE0EEENS1_30default_config_static_selectorELNS0_4arch9wavefront6targetE1EEEvT1_
; %bb.0:
	.section	.rodata,"a",@progbits
	.p2align	6, 0x0
	.amdhsa_kernel _ZN7rocprim17ROCPRIM_400000_NS6detail17trampoline_kernelINS0_14default_configENS1_20scan_config_selectorIdEEZZNS1_9scan_implILNS1_25lookback_scan_determinismE0ELb1ELb1ES3_N6thrust23THRUST_200600_302600_NS6detail15normal_iteratorINS9_10device_ptrIdEEEENS9_16discard_iteratorINS9_11use_defaultEEEd11max_functorIdEdEEDaPvRmT3_T4_T5_mT6_P12ihipStream_tbENKUlT_T0_E_clISt17integral_constantIbLb1EESX_EEDaSS_ST_EUlSS_E0_NS1_11comp_targetILNS1_3genE10ELNS1_11target_archE1201ELNS1_3gpuE5ELNS1_3repE0EEENS1_30default_config_static_selectorELNS0_4arch9wavefront6targetE1EEEvT1_
		.amdhsa_group_segment_fixed_size 0
		.amdhsa_private_segment_fixed_size 0
		.amdhsa_kernarg_size 48
		.amdhsa_user_sgpr_count 6
		.amdhsa_user_sgpr_private_segment_buffer 1
		.amdhsa_user_sgpr_dispatch_ptr 0
		.amdhsa_user_sgpr_queue_ptr 0
		.amdhsa_user_sgpr_kernarg_segment_ptr 1
		.amdhsa_user_sgpr_dispatch_id 0
		.amdhsa_user_sgpr_flat_scratch_init 0
		.amdhsa_user_sgpr_kernarg_preload_length 0
		.amdhsa_user_sgpr_kernarg_preload_offset 0
		.amdhsa_user_sgpr_private_segment_size 0
		.amdhsa_uses_dynamic_stack 0
		.amdhsa_system_sgpr_private_segment_wavefront_offset 0
		.amdhsa_system_sgpr_workgroup_id_x 1
		.amdhsa_system_sgpr_workgroup_id_y 0
		.amdhsa_system_sgpr_workgroup_id_z 0
		.amdhsa_system_sgpr_workgroup_info 0
		.amdhsa_system_vgpr_workitem_id 0
		.amdhsa_next_free_vgpr 1
		.amdhsa_next_free_sgpr 0
		.amdhsa_accum_offset 4
		.amdhsa_reserve_vcc 0
		.amdhsa_reserve_flat_scratch 0
		.amdhsa_float_round_mode_32 0
		.amdhsa_float_round_mode_16_64 0
		.amdhsa_float_denorm_mode_32 3
		.amdhsa_float_denorm_mode_16_64 3
		.amdhsa_dx10_clamp 1
		.amdhsa_ieee_mode 1
		.amdhsa_fp16_overflow 0
		.amdhsa_tg_split 0
		.amdhsa_exception_fp_ieee_invalid_op 0
		.amdhsa_exception_fp_denorm_src 0
		.amdhsa_exception_fp_ieee_div_zero 0
		.amdhsa_exception_fp_ieee_overflow 0
		.amdhsa_exception_fp_ieee_underflow 0
		.amdhsa_exception_fp_ieee_inexact 0
		.amdhsa_exception_int_div_zero 0
	.end_amdhsa_kernel
	.section	.text._ZN7rocprim17ROCPRIM_400000_NS6detail17trampoline_kernelINS0_14default_configENS1_20scan_config_selectorIdEEZZNS1_9scan_implILNS1_25lookback_scan_determinismE0ELb1ELb1ES3_N6thrust23THRUST_200600_302600_NS6detail15normal_iteratorINS9_10device_ptrIdEEEENS9_16discard_iteratorINS9_11use_defaultEEEd11max_functorIdEdEEDaPvRmT3_T4_T5_mT6_P12ihipStream_tbENKUlT_T0_E_clISt17integral_constantIbLb1EESX_EEDaSS_ST_EUlSS_E0_NS1_11comp_targetILNS1_3genE10ELNS1_11target_archE1201ELNS1_3gpuE5ELNS1_3repE0EEENS1_30default_config_static_selectorELNS0_4arch9wavefront6targetE1EEEvT1_,"axG",@progbits,_ZN7rocprim17ROCPRIM_400000_NS6detail17trampoline_kernelINS0_14default_configENS1_20scan_config_selectorIdEEZZNS1_9scan_implILNS1_25lookback_scan_determinismE0ELb1ELb1ES3_N6thrust23THRUST_200600_302600_NS6detail15normal_iteratorINS9_10device_ptrIdEEEENS9_16discard_iteratorINS9_11use_defaultEEEd11max_functorIdEdEEDaPvRmT3_T4_T5_mT6_P12ihipStream_tbENKUlT_T0_E_clISt17integral_constantIbLb1EESX_EEDaSS_ST_EUlSS_E0_NS1_11comp_targetILNS1_3genE10ELNS1_11target_archE1201ELNS1_3gpuE5ELNS1_3repE0EEENS1_30default_config_static_selectorELNS0_4arch9wavefront6targetE1EEEvT1_,comdat
.Lfunc_end3094:
	.size	_ZN7rocprim17ROCPRIM_400000_NS6detail17trampoline_kernelINS0_14default_configENS1_20scan_config_selectorIdEEZZNS1_9scan_implILNS1_25lookback_scan_determinismE0ELb1ELb1ES3_N6thrust23THRUST_200600_302600_NS6detail15normal_iteratorINS9_10device_ptrIdEEEENS9_16discard_iteratorINS9_11use_defaultEEEd11max_functorIdEdEEDaPvRmT3_T4_T5_mT6_P12ihipStream_tbENKUlT_T0_E_clISt17integral_constantIbLb1EESX_EEDaSS_ST_EUlSS_E0_NS1_11comp_targetILNS1_3genE10ELNS1_11target_archE1201ELNS1_3gpuE5ELNS1_3repE0EEENS1_30default_config_static_selectorELNS0_4arch9wavefront6targetE1EEEvT1_, .Lfunc_end3094-_ZN7rocprim17ROCPRIM_400000_NS6detail17trampoline_kernelINS0_14default_configENS1_20scan_config_selectorIdEEZZNS1_9scan_implILNS1_25lookback_scan_determinismE0ELb1ELb1ES3_N6thrust23THRUST_200600_302600_NS6detail15normal_iteratorINS9_10device_ptrIdEEEENS9_16discard_iteratorINS9_11use_defaultEEEd11max_functorIdEdEEDaPvRmT3_T4_T5_mT6_P12ihipStream_tbENKUlT_T0_E_clISt17integral_constantIbLb1EESX_EEDaSS_ST_EUlSS_E0_NS1_11comp_targetILNS1_3genE10ELNS1_11target_archE1201ELNS1_3gpuE5ELNS1_3repE0EEENS1_30default_config_static_selectorELNS0_4arch9wavefront6targetE1EEEvT1_
                                        ; -- End function
	.section	.AMDGPU.csdata,"",@progbits
; Kernel info:
; codeLenInByte = 0
; NumSgprs: 4
; NumVgprs: 0
; NumAgprs: 0
; TotalNumVgprs: 0
; ScratchSize: 0
; MemoryBound: 0
; FloatMode: 240
; IeeeMode: 1
; LDSByteSize: 0 bytes/workgroup (compile time only)
; SGPRBlocks: 0
; VGPRBlocks: 0
; NumSGPRsForWavesPerEU: 4
; NumVGPRsForWavesPerEU: 1
; AccumOffset: 4
; Occupancy: 8
; WaveLimiterHint : 0
; COMPUTE_PGM_RSRC2:SCRATCH_EN: 0
; COMPUTE_PGM_RSRC2:USER_SGPR: 6
; COMPUTE_PGM_RSRC2:TRAP_HANDLER: 0
; COMPUTE_PGM_RSRC2:TGID_X_EN: 1
; COMPUTE_PGM_RSRC2:TGID_Y_EN: 0
; COMPUTE_PGM_RSRC2:TGID_Z_EN: 0
; COMPUTE_PGM_RSRC2:TIDIG_COMP_CNT: 0
; COMPUTE_PGM_RSRC3_GFX90A:ACCUM_OFFSET: 0
; COMPUTE_PGM_RSRC3_GFX90A:TG_SPLIT: 0
	.section	.text._ZN7rocprim17ROCPRIM_400000_NS6detail17trampoline_kernelINS0_14default_configENS1_20scan_config_selectorIdEEZZNS1_9scan_implILNS1_25lookback_scan_determinismE0ELb1ELb1ES3_N6thrust23THRUST_200600_302600_NS6detail15normal_iteratorINS9_10device_ptrIdEEEENS9_16discard_iteratorINS9_11use_defaultEEEd11max_functorIdEdEEDaPvRmT3_T4_T5_mT6_P12ihipStream_tbENKUlT_T0_E_clISt17integral_constantIbLb1EESX_EEDaSS_ST_EUlSS_E0_NS1_11comp_targetILNS1_3genE10ELNS1_11target_archE1200ELNS1_3gpuE4ELNS1_3repE0EEENS1_30default_config_static_selectorELNS0_4arch9wavefront6targetE1EEEvT1_,"axG",@progbits,_ZN7rocprim17ROCPRIM_400000_NS6detail17trampoline_kernelINS0_14default_configENS1_20scan_config_selectorIdEEZZNS1_9scan_implILNS1_25lookback_scan_determinismE0ELb1ELb1ES3_N6thrust23THRUST_200600_302600_NS6detail15normal_iteratorINS9_10device_ptrIdEEEENS9_16discard_iteratorINS9_11use_defaultEEEd11max_functorIdEdEEDaPvRmT3_T4_T5_mT6_P12ihipStream_tbENKUlT_T0_E_clISt17integral_constantIbLb1EESX_EEDaSS_ST_EUlSS_E0_NS1_11comp_targetILNS1_3genE10ELNS1_11target_archE1200ELNS1_3gpuE4ELNS1_3repE0EEENS1_30default_config_static_selectorELNS0_4arch9wavefront6targetE1EEEvT1_,comdat
	.protected	_ZN7rocprim17ROCPRIM_400000_NS6detail17trampoline_kernelINS0_14default_configENS1_20scan_config_selectorIdEEZZNS1_9scan_implILNS1_25lookback_scan_determinismE0ELb1ELb1ES3_N6thrust23THRUST_200600_302600_NS6detail15normal_iteratorINS9_10device_ptrIdEEEENS9_16discard_iteratorINS9_11use_defaultEEEd11max_functorIdEdEEDaPvRmT3_T4_T5_mT6_P12ihipStream_tbENKUlT_T0_E_clISt17integral_constantIbLb1EESX_EEDaSS_ST_EUlSS_E0_NS1_11comp_targetILNS1_3genE10ELNS1_11target_archE1200ELNS1_3gpuE4ELNS1_3repE0EEENS1_30default_config_static_selectorELNS0_4arch9wavefront6targetE1EEEvT1_ ; -- Begin function _ZN7rocprim17ROCPRIM_400000_NS6detail17trampoline_kernelINS0_14default_configENS1_20scan_config_selectorIdEEZZNS1_9scan_implILNS1_25lookback_scan_determinismE0ELb1ELb1ES3_N6thrust23THRUST_200600_302600_NS6detail15normal_iteratorINS9_10device_ptrIdEEEENS9_16discard_iteratorINS9_11use_defaultEEEd11max_functorIdEdEEDaPvRmT3_T4_T5_mT6_P12ihipStream_tbENKUlT_T0_E_clISt17integral_constantIbLb1EESX_EEDaSS_ST_EUlSS_E0_NS1_11comp_targetILNS1_3genE10ELNS1_11target_archE1200ELNS1_3gpuE4ELNS1_3repE0EEENS1_30default_config_static_selectorELNS0_4arch9wavefront6targetE1EEEvT1_
	.globl	_ZN7rocprim17ROCPRIM_400000_NS6detail17trampoline_kernelINS0_14default_configENS1_20scan_config_selectorIdEEZZNS1_9scan_implILNS1_25lookback_scan_determinismE0ELb1ELb1ES3_N6thrust23THRUST_200600_302600_NS6detail15normal_iteratorINS9_10device_ptrIdEEEENS9_16discard_iteratorINS9_11use_defaultEEEd11max_functorIdEdEEDaPvRmT3_T4_T5_mT6_P12ihipStream_tbENKUlT_T0_E_clISt17integral_constantIbLb1EESX_EEDaSS_ST_EUlSS_E0_NS1_11comp_targetILNS1_3genE10ELNS1_11target_archE1200ELNS1_3gpuE4ELNS1_3repE0EEENS1_30default_config_static_selectorELNS0_4arch9wavefront6targetE1EEEvT1_
	.p2align	8
	.type	_ZN7rocprim17ROCPRIM_400000_NS6detail17trampoline_kernelINS0_14default_configENS1_20scan_config_selectorIdEEZZNS1_9scan_implILNS1_25lookback_scan_determinismE0ELb1ELb1ES3_N6thrust23THRUST_200600_302600_NS6detail15normal_iteratorINS9_10device_ptrIdEEEENS9_16discard_iteratorINS9_11use_defaultEEEd11max_functorIdEdEEDaPvRmT3_T4_T5_mT6_P12ihipStream_tbENKUlT_T0_E_clISt17integral_constantIbLb1EESX_EEDaSS_ST_EUlSS_E0_NS1_11comp_targetILNS1_3genE10ELNS1_11target_archE1200ELNS1_3gpuE4ELNS1_3repE0EEENS1_30default_config_static_selectorELNS0_4arch9wavefront6targetE1EEEvT1_,@function
_ZN7rocprim17ROCPRIM_400000_NS6detail17trampoline_kernelINS0_14default_configENS1_20scan_config_selectorIdEEZZNS1_9scan_implILNS1_25lookback_scan_determinismE0ELb1ELb1ES3_N6thrust23THRUST_200600_302600_NS6detail15normal_iteratorINS9_10device_ptrIdEEEENS9_16discard_iteratorINS9_11use_defaultEEEd11max_functorIdEdEEDaPvRmT3_T4_T5_mT6_P12ihipStream_tbENKUlT_T0_E_clISt17integral_constantIbLb1EESX_EEDaSS_ST_EUlSS_E0_NS1_11comp_targetILNS1_3genE10ELNS1_11target_archE1200ELNS1_3gpuE4ELNS1_3repE0EEENS1_30default_config_static_selectorELNS0_4arch9wavefront6targetE1EEEvT1_: ; @_ZN7rocprim17ROCPRIM_400000_NS6detail17trampoline_kernelINS0_14default_configENS1_20scan_config_selectorIdEEZZNS1_9scan_implILNS1_25lookback_scan_determinismE0ELb1ELb1ES3_N6thrust23THRUST_200600_302600_NS6detail15normal_iteratorINS9_10device_ptrIdEEEENS9_16discard_iteratorINS9_11use_defaultEEEd11max_functorIdEdEEDaPvRmT3_T4_T5_mT6_P12ihipStream_tbENKUlT_T0_E_clISt17integral_constantIbLb1EESX_EEDaSS_ST_EUlSS_E0_NS1_11comp_targetILNS1_3genE10ELNS1_11target_archE1200ELNS1_3gpuE4ELNS1_3repE0EEENS1_30default_config_static_selectorELNS0_4arch9wavefront6targetE1EEEvT1_
; %bb.0:
	.section	.rodata,"a",@progbits
	.p2align	6, 0x0
	.amdhsa_kernel _ZN7rocprim17ROCPRIM_400000_NS6detail17trampoline_kernelINS0_14default_configENS1_20scan_config_selectorIdEEZZNS1_9scan_implILNS1_25lookback_scan_determinismE0ELb1ELb1ES3_N6thrust23THRUST_200600_302600_NS6detail15normal_iteratorINS9_10device_ptrIdEEEENS9_16discard_iteratorINS9_11use_defaultEEEd11max_functorIdEdEEDaPvRmT3_T4_T5_mT6_P12ihipStream_tbENKUlT_T0_E_clISt17integral_constantIbLb1EESX_EEDaSS_ST_EUlSS_E0_NS1_11comp_targetILNS1_3genE10ELNS1_11target_archE1200ELNS1_3gpuE4ELNS1_3repE0EEENS1_30default_config_static_selectorELNS0_4arch9wavefront6targetE1EEEvT1_
		.amdhsa_group_segment_fixed_size 0
		.amdhsa_private_segment_fixed_size 0
		.amdhsa_kernarg_size 48
		.amdhsa_user_sgpr_count 6
		.amdhsa_user_sgpr_private_segment_buffer 1
		.amdhsa_user_sgpr_dispatch_ptr 0
		.amdhsa_user_sgpr_queue_ptr 0
		.amdhsa_user_sgpr_kernarg_segment_ptr 1
		.amdhsa_user_sgpr_dispatch_id 0
		.amdhsa_user_sgpr_flat_scratch_init 0
		.amdhsa_user_sgpr_kernarg_preload_length 0
		.amdhsa_user_sgpr_kernarg_preload_offset 0
		.amdhsa_user_sgpr_private_segment_size 0
		.amdhsa_uses_dynamic_stack 0
		.amdhsa_system_sgpr_private_segment_wavefront_offset 0
		.amdhsa_system_sgpr_workgroup_id_x 1
		.amdhsa_system_sgpr_workgroup_id_y 0
		.amdhsa_system_sgpr_workgroup_id_z 0
		.amdhsa_system_sgpr_workgroup_info 0
		.amdhsa_system_vgpr_workitem_id 0
		.amdhsa_next_free_vgpr 1
		.amdhsa_next_free_sgpr 0
		.amdhsa_accum_offset 4
		.amdhsa_reserve_vcc 0
		.amdhsa_reserve_flat_scratch 0
		.amdhsa_float_round_mode_32 0
		.amdhsa_float_round_mode_16_64 0
		.amdhsa_float_denorm_mode_32 3
		.amdhsa_float_denorm_mode_16_64 3
		.amdhsa_dx10_clamp 1
		.amdhsa_ieee_mode 1
		.amdhsa_fp16_overflow 0
		.amdhsa_tg_split 0
		.amdhsa_exception_fp_ieee_invalid_op 0
		.amdhsa_exception_fp_denorm_src 0
		.amdhsa_exception_fp_ieee_div_zero 0
		.amdhsa_exception_fp_ieee_overflow 0
		.amdhsa_exception_fp_ieee_underflow 0
		.amdhsa_exception_fp_ieee_inexact 0
		.amdhsa_exception_int_div_zero 0
	.end_amdhsa_kernel
	.section	.text._ZN7rocprim17ROCPRIM_400000_NS6detail17trampoline_kernelINS0_14default_configENS1_20scan_config_selectorIdEEZZNS1_9scan_implILNS1_25lookback_scan_determinismE0ELb1ELb1ES3_N6thrust23THRUST_200600_302600_NS6detail15normal_iteratorINS9_10device_ptrIdEEEENS9_16discard_iteratorINS9_11use_defaultEEEd11max_functorIdEdEEDaPvRmT3_T4_T5_mT6_P12ihipStream_tbENKUlT_T0_E_clISt17integral_constantIbLb1EESX_EEDaSS_ST_EUlSS_E0_NS1_11comp_targetILNS1_3genE10ELNS1_11target_archE1200ELNS1_3gpuE4ELNS1_3repE0EEENS1_30default_config_static_selectorELNS0_4arch9wavefront6targetE1EEEvT1_,"axG",@progbits,_ZN7rocprim17ROCPRIM_400000_NS6detail17trampoline_kernelINS0_14default_configENS1_20scan_config_selectorIdEEZZNS1_9scan_implILNS1_25lookback_scan_determinismE0ELb1ELb1ES3_N6thrust23THRUST_200600_302600_NS6detail15normal_iteratorINS9_10device_ptrIdEEEENS9_16discard_iteratorINS9_11use_defaultEEEd11max_functorIdEdEEDaPvRmT3_T4_T5_mT6_P12ihipStream_tbENKUlT_T0_E_clISt17integral_constantIbLb1EESX_EEDaSS_ST_EUlSS_E0_NS1_11comp_targetILNS1_3genE10ELNS1_11target_archE1200ELNS1_3gpuE4ELNS1_3repE0EEENS1_30default_config_static_selectorELNS0_4arch9wavefront6targetE1EEEvT1_,comdat
.Lfunc_end3095:
	.size	_ZN7rocprim17ROCPRIM_400000_NS6detail17trampoline_kernelINS0_14default_configENS1_20scan_config_selectorIdEEZZNS1_9scan_implILNS1_25lookback_scan_determinismE0ELb1ELb1ES3_N6thrust23THRUST_200600_302600_NS6detail15normal_iteratorINS9_10device_ptrIdEEEENS9_16discard_iteratorINS9_11use_defaultEEEd11max_functorIdEdEEDaPvRmT3_T4_T5_mT6_P12ihipStream_tbENKUlT_T0_E_clISt17integral_constantIbLb1EESX_EEDaSS_ST_EUlSS_E0_NS1_11comp_targetILNS1_3genE10ELNS1_11target_archE1200ELNS1_3gpuE4ELNS1_3repE0EEENS1_30default_config_static_selectorELNS0_4arch9wavefront6targetE1EEEvT1_, .Lfunc_end3095-_ZN7rocprim17ROCPRIM_400000_NS6detail17trampoline_kernelINS0_14default_configENS1_20scan_config_selectorIdEEZZNS1_9scan_implILNS1_25lookback_scan_determinismE0ELb1ELb1ES3_N6thrust23THRUST_200600_302600_NS6detail15normal_iteratorINS9_10device_ptrIdEEEENS9_16discard_iteratorINS9_11use_defaultEEEd11max_functorIdEdEEDaPvRmT3_T4_T5_mT6_P12ihipStream_tbENKUlT_T0_E_clISt17integral_constantIbLb1EESX_EEDaSS_ST_EUlSS_E0_NS1_11comp_targetILNS1_3genE10ELNS1_11target_archE1200ELNS1_3gpuE4ELNS1_3repE0EEENS1_30default_config_static_selectorELNS0_4arch9wavefront6targetE1EEEvT1_
                                        ; -- End function
	.section	.AMDGPU.csdata,"",@progbits
; Kernel info:
; codeLenInByte = 0
; NumSgprs: 4
; NumVgprs: 0
; NumAgprs: 0
; TotalNumVgprs: 0
; ScratchSize: 0
; MemoryBound: 0
; FloatMode: 240
; IeeeMode: 1
; LDSByteSize: 0 bytes/workgroup (compile time only)
; SGPRBlocks: 0
; VGPRBlocks: 0
; NumSGPRsForWavesPerEU: 4
; NumVGPRsForWavesPerEU: 1
; AccumOffset: 4
; Occupancy: 8
; WaveLimiterHint : 0
; COMPUTE_PGM_RSRC2:SCRATCH_EN: 0
; COMPUTE_PGM_RSRC2:USER_SGPR: 6
; COMPUTE_PGM_RSRC2:TRAP_HANDLER: 0
; COMPUTE_PGM_RSRC2:TGID_X_EN: 1
; COMPUTE_PGM_RSRC2:TGID_Y_EN: 0
; COMPUTE_PGM_RSRC2:TGID_Z_EN: 0
; COMPUTE_PGM_RSRC2:TIDIG_COMP_CNT: 0
; COMPUTE_PGM_RSRC3_GFX90A:ACCUM_OFFSET: 0
; COMPUTE_PGM_RSRC3_GFX90A:TG_SPLIT: 0
	.section	.text._ZN7rocprim17ROCPRIM_400000_NS6detail17trampoline_kernelINS0_14default_configENS1_20scan_config_selectorIdEEZZNS1_9scan_implILNS1_25lookback_scan_determinismE0ELb1ELb1ES3_N6thrust23THRUST_200600_302600_NS6detail15normal_iteratorINS9_10device_ptrIdEEEENS9_16discard_iteratorINS9_11use_defaultEEEd11max_functorIdEdEEDaPvRmT3_T4_T5_mT6_P12ihipStream_tbENKUlT_T0_E_clISt17integral_constantIbLb1EESX_EEDaSS_ST_EUlSS_E0_NS1_11comp_targetILNS1_3genE9ELNS1_11target_archE1100ELNS1_3gpuE3ELNS1_3repE0EEENS1_30default_config_static_selectorELNS0_4arch9wavefront6targetE1EEEvT1_,"axG",@progbits,_ZN7rocprim17ROCPRIM_400000_NS6detail17trampoline_kernelINS0_14default_configENS1_20scan_config_selectorIdEEZZNS1_9scan_implILNS1_25lookback_scan_determinismE0ELb1ELb1ES3_N6thrust23THRUST_200600_302600_NS6detail15normal_iteratorINS9_10device_ptrIdEEEENS9_16discard_iteratorINS9_11use_defaultEEEd11max_functorIdEdEEDaPvRmT3_T4_T5_mT6_P12ihipStream_tbENKUlT_T0_E_clISt17integral_constantIbLb1EESX_EEDaSS_ST_EUlSS_E0_NS1_11comp_targetILNS1_3genE9ELNS1_11target_archE1100ELNS1_3gpuE3ELNS1_3repE0EEENS1_30default_config_static_selectorELNS0_4arch9wavefront6targetE1EEEvT1_,comdat
	.protected	_ZN7rocprim17ROCPRIM_400000_NS6detail17trampoline_kernelINS0_14default_configENS1_20scan_config_selectorIdEEZZNS1_9scan_implILNS1_25lookback_scan_determinismE0ELb1ELb1ES3_N6thrust23THRUST_200600_302600_NS6detail15normal_iteratorINS9_10device_ptrIdEEEENS9_16discard_iteratorINS9_11use_defaultEEEd11max_functorIdEdEEDaPvRmT3_T4_T5_mT6_P12ihipStream_tbENKUlT_T0_E_clISt17integral_constantIbLb1EESX_EEDaSS_ST_EUlSS_E0_NS1_11comp_targetILNS1_3genE9ELNS1_11target_archE1100ELNS1_3gpuE3ELNS1_3repE0EEENS1_30default_config_static_selectorELNS0_4arch9wavefront6targetE1EEEvT1_ ; -- Begin function _ZN7rocprim17ROCPRIM_400000_NS6detail17trampoline_kernelINS0_14default_configENS1_20scan_config_selectorIdEEZZNS1_9scan_implILNS1_25lookback_scan_determinismE0ELb1ELb1ES3_N6thrust23THRUST_200600_302600_NS6detail15normal_iteratorINS9_10device_ptrIdEEEENS9_16discard_iteratorINS9_11use_defaultEEEd11max_functorIdEdEEDaPvRmT3_T4_T5_mT6_P12ihipStream_tbENKUlT_T0_E_clISt17integral_constantIbLb1EESX_EEDaSS_ST_EUlSS_E0_NS1_11comp_targetILNS1_3genE9ELNS1_11target_archE1100ELNS1_3gpuE3ELNS1_3repE0EEENS1_30default_config_static_selectorELNS0_4arch9wavefront6targetE1EEEvT1_
	.globl	_ZN7rocprim17ROCPRIM_400000_NS6detail17trampoline_kernelINS0_14default_configENS1_20scan_config_selectorIdEEZZNS1_9scan_implILNS1_25lookback_scan_determinismE0ELb1ELb1ES3_N6thrust23THRUST_200600_302600_NS6detail15normal_iteratorINS9_10device_ptrIdEEEENS9_16discard_iteratorINS9_11use_defaultEEEd11max_functorIdEdEEDaPvRmT3_T4_T5_mT6_P12ihipStream_tbENKUlT_T0_E_clISt17integral_constantIbLb1EESX_EEDaSS_ST_EUlSS_E0_NS1_11comp_targetILNS1_3genE9ELNS1_11target_archE1100ELNS1_3gpuE3ELNS1_3repE0EEENS1_30default_config_static_selectorELNS0_4arch9wavefront6targetE1EEEvT1_
	.p2align	8
	.type	_ZN7rocprim17ROCPRIM_400000_NS6detail17trampoline_kernelINS0_14default_configENS1_20scan_config_selectorIdEEZZNS1_9scan_implILNS1_25lookback_scan_determinismE0ELb1ELb1ES3_N6thrust23THRUST_200600_302600_NS6detail15normal_iteratorINS9_10device_ptrIdEEEENS9_16discard_iteratorINS9_11use_defaultEEEd11max_functorIdEdEEDaPvRmT3_T4_T5_mT6_P12ihipStream_tbENKUlT_T0_E_clISt17integral_constantIbLb1EESX_EEDaSS_ST_EUlSS_E0_NS1_11comp_targetILNS1_3genE9ELNS1_11target_archE1100ELNS1_3gpuE3ELNS1_3repE0EEENS1_30default_config_static_selectorELNS0_4arch9wavefront6targetE1EEEvT1_,@function
_ZN7rocprim17ROCPRIM_400000_NS6detail17trampoline_kernelINS0_14default_configENS1_20scan_config_selectorIdEEZZNS1_9scan_implILNS1_25lookback_scan_determinismE0ELb1ELb1ES3_N6thrust23THRUST_200600_302600_NS6detail15normal_iteratorINS9_10device_ptrIdEEEENS9_16discard_iteratorINS9_11use_defaultEEEd11max_functorIdEdEEDaPvRmT3_T4_T5_mT6_P12ihipStream_tbENKUlT_T0_E_clISt17integral_constantIbLb1EESX_EEDaSS_ST_EUlSS_E0_NS1_11comp_targetILNS1_3genE9ELNS1_11target_archE1100ELNS1_3gpuE3ELNS1_3repE0EEENS1_30default_config_static_selectorELNS0_4arch9wavefront6targetE1EEEvT1_: ; @_ZN7rocprim17ROCPRIM_400000_NS6detail17trampoline_kernelINS0_14default_configENS1_20scan_config_selectorIdEEZZNS1_9scan_implILNS1_25lookback_scan_determinismE0ELb1ELb1ES3_N6thrust23THRUST_200600_302600_NS6detail15normal_iteratorINS9_10device_ptrIdEEEENS9_16discard_iteratorINS9_11use_defaultEEEd11max_functorIdEdEEDaPvRmT3_T4_T5_mT6_P12ihipStream_tbENKUlT_T0_E_clISt17integral_constantIbLb1EESX_EEDaSS_ST_EUlSS_E0_NS1_11comp_targetILNS1_3genE9ELNS1_11target_archE1100ELNS1_3gpuE3ELNS1_3repE0EEENS1_30default_config_static_selectorELNS0_4arch9wavefront6targetE1EEEvT1_
; %bb.0:
	.section	.rodata,"a",@progbits
	.p2align	6, 0x0
	.amdhsa_kernel _ZN7rocprim17ROCPRIM_400000_NS6detail17trampoline_kernelINS0_14default_configENS1_20scan_config_selectorIdEEZZNS1_9scan_implILNS1_25lookback_scan_determinismE0ELb1ELb1ES3_N6thrust23THRUST_200600_302600_NS6detail15normal_iteratorINS9_10device_ptrIdEEEENS9_16discard_iteratorINS9_11use_defaultEEEd11max_functorIdEdEEDaPvRmT3_T4_T5_mT6_P12ihipStream_tbENKUlT_T0_E_clISt17integral_constantIbLb1EESX_EEDaSS_ST_EUlSS_E0_NS1_11comp_targetILNS1_3genE9ELNS1_11target_archE1100ELNS1_3gpuE3ELNS1_3repE0EEENS1_30default_config_static_selectorELNS0_4arch9wavefront6targetE1EEEvT1_
		.amdhsa_group_segment_fixed_size 0
		.amdhsa_private_segment_fixed_size 0
		.amdhsa_kernarg_size 48
		.amdhsa_user_sgpr_count 6
		.amdhsa_user_sgpr_private_segment_buffer 1
		.amdhsa_user_sgpr_dispatch_ptr 0
		.amdhsa_user_sgpr_queue_ptr 0
		.amdhsa_user_sgpr_kernarg_segment_ptr 1
		.amdhsa_user_sgpr_dispatch_id 0
		.amdhsa_user_sgpr_flat_scratch_init 0
		.amdhsa_user_sgpr_kernarg_preload_length 0
		.amdhsa_user_sgpr_kernarg_preload_offset 0
		.amdhsa_user_sgpr_private_segment_size 0
		.amdhsa_uses_dynamic_stack 0
		.amdhsa_system_sgpr_private_segment_wavefront_offset 0
		.amdhsa_system_sgpr_workgroup_id_x 1
		.amdhsa_system_sgpr_workgroup_id_y 0
		.amdhsa_system_sgpr_workgroup_id_z 0
		.amdhsa_system_sgpr_workgroup_info 0
		.amdhsa_system_vgpr_workitem_id 0
		.amdhsa_next_free_vgpr 1
		.amdhsa_next_free_sgpr 0
		.amdhsa_accum_offset 4
		.amdhsa_reserve_vcc 0
		.amdhsa_reserve_flat_scratch 0
		.amdhsa_float_round_mode_32 0
		.amdhsa_float_round_mode_16_64 0
		.amdhsa_float_denorm_mode_32 3
		.amdhsa_float_denorm_mode_16_64 3
		.amdhsa_dx10_clamp 1
		.amdhsa_ieee_mode 1
		.amdhsa_fp16_overflow 0
		.amdhsa_tg_split 0
		.amdhsa_exception_fp_ieee_invalid_op 0
		.amdhsa_exception_fp_denorm_src 0
		.amdhsa_exception_fp_ieee_div_zero 0
		.amdhsa_exception_fp_ieee_overflow 0
		.amdhsa_exception_fp_ieee_underflow 0
		.amdhsa_exception_fp_ieee_inexact 0
		.amdhsa_exception_int_div_zero 0
	.end_amdhsa_kernel
	.section	.text._ZN7rocprim17ROCPRIM_400000_NS6detail17trampoline_kernelINS0_14default_configENS1_20scan_config_selectorIdEEZZNS1_9scan_implILNS1_25lookback_scan_determinismE0ELb1ELb1ES3_N6thrust23THRUST_200600_302600_NS6detail15normal_iteratorINS9_10device_ptrIdEEEENS9_16discard_iteratorINS9_11use_defaultEEEd11max_functorIdEdEEDaPvRmT3_T4_T5_mT6_P12ihipStream_tbENKUlT_T0_E_clISt17integral_constantIbLb1EESX_EEDaSS_ST_EUlSS_E0_NS1_11comp_targetILNS1_3genE9ELNS1_11target_archE1100ELNS1_3gpuE3ELNS1_3repE0EEENS1_30default_config_static_selectorELNS0_4arch9wavefront6targetE1EEEvT1_,"axG",@progbits,_ZN7rocprim17ROCPRIM_400000_NS6detail17trampoline_kernelINS0_14default_configENS1_20scan_config_selectorIdEEZZNS1_9scan_implILNS1_25lookback_scan_determinismE0ELb1ELb1ES3_N6thrust23THRUST_200600_302600_NS6detail15normal_iteratorINS9_10device_ptrIdEEEENS9_16discard_iteratorINS9_11use_defaultEEEd11max_functorIdEdEEDaPvRmT3_T4_T5_mT6_P12ihipStream_tbENKUlT_T0_E_clISt17integral_constantIbLb1EESX_EEDaSS_ST_EUlSS_E0_NS1_11comp_targetILNS1_3genE9ELNS1_11target_archE1100ELNS1_3gpuE3ELNS1_3repE0EEENS1_30default_config_static_selectorELNS0_4arch9wavefront6targetE1EEEvT1_,comdat
.Lfunc_end3096:
	.size	_ZN7rocprim17ROCPRIM_400000_NS6detail17trampoline_kernelINS0_14default_configENS1_20scan_config_selectorIdEEZZNS1_9scan_implILNS1_25lookback_scan_determinismE0ELb1ELb1ES3_N6thrust23THRUST_200600_302600_NS6detail15normal_iteratorINS9_10device_ptrIdEEEENS9_16discard_iteratorINS9_11use_defaultEEEd11max_functorIdEdEEDaPvRmT3_T4_T5_mT6_P12ihipStream_tbENKUlT_T0_E_clISt17integral_constantIbLb1EESX_EEDaSS_ST_EUlSS_E0_NS1_11comp_targetILNS1_3genE9ELNS1_11target_archE1100ELNS1_3gpuE3ELNS1_3repE0EEENS1_30default_config_static_selectorELNS0_4arch9wavefront6targetE1EEEvT1_, .Lfunc_end3096-_ZN7rocprim17ROCPRIM_400000_NS6detail17trampoline_kernelINS0_14default_configENS1_20scan_config_selectorIdEEZZNS1_9scan_implILNS1_25lookback_scan_determinismE0ELb1ELb1ES3_N6thrust23THRUST_200600_302600_NS6detail15normal_iteratorINS9_10device_ptrIdEEEENS9_16discard_iteratorINS9_11use_defaultEEEd11max_functorIdEdEEDaPvRmT3_T4_T5_mT6_P12ihipStream_tbENKUlT_T0_E_clISt17integral_constantIbLb1EESX_EEDaSS_ST_EUlSS_E0_NS1_11comp_targetILNS1_3genE9ELNS1_11target_archE1100ELNS1_3gpuE3ELNS1_3repE0EEENS1_30default_config_static_selectorELNS0_4arch9wavefront6targetE1EEEvT1_
                                        ; -- End function
	.section	.AMDGPU.csdata,"",@progbits
; Kernel info:
; codeLenInByte = 0
; NumSgprs: 4
; NumVgprs: 0
; NumAgprs: 0
; TotalNumVgprs: 0
; ScratchSize: 0
; MemoryBound: 0
; FloatMode: 240
; IeeeMode: 1
; LDSByteSize: 0 bytes/workgroup (compile time only)
; SGPRBlocks: 0
; VGPRBlocks: 0
; NumSGPRsForWavesPerEU: 4
; NumVGPRsForWavesPerEU: 1
; AccumOffset: 4
; Occupancy: 8
; WaveLimiterHint : 0
; COMPUTE_PGM_RSRC2:SCRATCH_EN: 0
; COMPUTE_PGM_RSRC2:USER_SGPR: 6
; COMPUTE_PGM_RSRC2:TRAP_HANDLER: 0
; COMPUTE_PGM_RSRC2:TGID_X_EN: 1
; COMPUTE_PGM_RSRC2:TGID_Y_EN: 0
; COMPUTE_PGM_RSRC2:TGID_Z_EN: 0
; COMPUTE_PGM_RSRC2:TIDIG_COMP_CNT: 0
; COMPUTE_PGM_RSRC3_GFX90A:ACCUM_OFFSET: 0
; COMPUTE_PGM_RSRC3_GFX90A:TG_SPLIT: 0
	.section	.text._ZN7rocprim17ROCPRIM_400000_NS6detail17trampoline_kernelINS0_14default_configENS1_20scan_config_selectorIdEEZZNS1_9scan_implILNS1_25lookback_scan_determinismE0ELb1ELb1ES3_N6thrust23THRUST_200600_302600_NS6detail15normal_iteratorINS9_10device_ptrIdEEEENS9_16discard_iteratorINS9_11use_defaultEEEd11max_functorIdEdEEDaPvRmT3_T4_T5_mT6_P12ihipStream_tbENKUlT_T0_E_clISt17integral_constantIbLb1EESX_EEDaSS_ST_EUlSS_E0_NS1_11comp_targetILNS1_3genE8ELNS1_11target_archE1030ELNS1_3gpuE2ELNS1_3repE0EEENS1_30default_config_static_selectorELNS0_4arch9wavefront6targetE1EEEvT1_,"axG",@progbits,_ZN7rocprim17ROCPRIM_400000_NS6detail17trampoline_kernelINS0_14default_configENS1_20scan_config_selectorIdEEZZNS1_9scan_implILNS1_25lookback_scan_determinismE0ELb1ELb1ES3_N6thrust23THRUST_200600_302600_NS6detail15normal_iteratorINS9_10device_ptrIdEEEENS9_16discard_iteratorINS9_11use_defaultEEEd11max_functorIdEdEEDaPvRmT3_T4_T5_mT6_P12ihipStream_tbENKUlT_T0_E_clISt17integral_constantIbLb1EESX_EEDaSS_ST_EUlSS_E0_NS1_11comp_targetILNS1_3genE8ELNS1_11target_archE1030ELNS1_3gpuE2ELNS1_3repE0EEENS1_30default_config_static_selectorELNS0_4arch9wavefront6targetE1EEEvT1_,comdat
	.protected	_ZN7rocprim17ROCPRIM_400000_NS6detail17trampoline_kernelINS0_14default_configENS1_20scan_config_selectorIdEEZZNS1_9scan_implILNS1_25lookback_scan_determinismE0ELb1ELb1ES3_N6thrust23THRUST_200600_302600_NS6detail15normal_iteratorINS9_10device_ptrIdEEEENS9_16discard_iteratorINS9_11use_defaultEEEd11max_functorIdEdEEDaPvRmT3_T4_T5_mT6_P12ihipStream_tbENKUlT_T0_E_clISt17integral_constantIbLb1EESX_EEDaSS_ST_EUlSS_E0_NS1_11comp_targetILNS1_3genE8ELNS1_11target_archE1030ELNS1_3gpuE2ELNS1_3repE0EEENS1_30default_config_static_selectorELNS0_4arch9wavefront6targetE1EEEvT1_ ; -- Begin function _ZN7rocprim17ROCPRIM_400000_NS6detail17trampoline_kernelINS0_14default_configENS1_20scan_config_selectorIdEEZZNS1_9scan_implILNS1_25lookback_scan_determinismE0ELb1ELb1ES3_N6thrust23THRUST_200600_302600_NS6detail15normal_iteratorINS9_10device_ptrIdEEEENS9_16discard_iteratorINS9_11use_defaultEEEd11max_functorIdEdEEDaPvRmT3_T4_T5_mT6_P12ihipStream_tbENKUlT_T0_E_clISt17integral_constantIbLb1EESX_EEDaSS_ST_EUlSS_E0_NS1_11comp_targetILNS1_3genE8ELNS1_11target_archE1030ELNS1_3gpuE2ELNS1_3repE0EEENS1_30default_config_static_selectorELNS0_4arch9wavefront6targetE1EEEvT1_
	.globl	_ZN7rocprim17ROCPRIM_400000_NS6detail17trampoline_kernelINS0_14default_configENS1_20scan_config_selectorIdEEZZNS1_9scan_implILNS1_25lookback_scan_determinismE0ELb1ELb1ES3_N6thrust23THRUST_200600_302600_NS6detail15normal_iteratorINS9_10device_ptrIdEEEENS9_16discard_iteratorINS9_11use_defaultEEEd11max_functorIdEdEEDaPvRmT3_T4_T5_mT6_P12ihipStream_tbENKUlT_T0_E_clISt17integral_constantIbLb1EESX_EEDaSS_ST_EUlSS_E0_NS1_11comp_targetILNS1_3genE8ELNS1_11target_archE1030ELNS1_3gpuE2ELNS1_3repE0EEENS1_30default_config_static_selectorELNS0_4arch9wavefront6targetE1EEEvT1_
	.p2align	8
	.type	_ZN7rocprim17ROCPRIM_400000_NS6detail17trampoline_kernelINS0_14default_configENS1_20scan_config_selectorIdEEZZNS1_9scan_implILNS1_25lookback_scan_determinismE0ELb1ELb1ES3_N6thrust23THRUST_200600_302600_NS6detail15normal_iteratorINS9_10device_ptrIdEEEENS9_16discard_iteratorINS9_11use_defaultEEEd11max_functorIdEdEEDaPvRmT3_T4_T5_mT6_P12ihipStream_tbENKUlT_T0_E_clISt17integral_constantIbLb1EESX_EEDaSS_ST_EUlSS_E0_NS1_11comp_targetILNS1_3genE8ELNS1_11target_archE1030ELNS1_3gpuE2ELNS1_3repE0EEENS1_30default_config_static_selectorELNS0_4arch9wavefront6targetE1EEEvT1_,@function
_ZN7rocprim17ROCPRIM_400000_NS6detail17trampoline_kernelINS0_14default_configENS1_20scan_config_selectorIdEEZZNS1_9scan_implILNS1_25lookback_scan_determinismE0ELb1ELb1ES3_N6thrust23THRUST_200600_302600_NS6detail15normal_iteratorINS9_10device_ptrIdEEEENS9_16discard_iteratorINS9_11use_defaultEEEd11max_functorIdEdEEDaPvRmT3_T4_T5_mT6_P12ihipStream_tbENKUlT_T0_E_clISt17integral_constantIbLb1EESX_EEDaSS_ST_EUlSS_E0_NS1_11comp_targetILNS1_3genE8ELNS1_11target_archE1030ELNS1_3gpuE2ELNS1_3repE0EEENS1_30default_config_static_selectorELNS0_4arch9wavefront6targetE1EEEvT1_: ; @_ZN7rocprim17ROCPRIM_400000_NS6detail17trampoline_kernelINS0_14default_configENS1_20scan_config_selectorIdEEZZNS1_9scan_implILNS1_25lookback_scan_determinismE0ELb1ELb1ES3_N6thrust23THRUST_200600_302600_NS6detail15normal_iteratorINS9_10device_ptrIdEEEENS9_16discard_iteratorINS9_11use_defaultEEEd11max_functorIdEdEEDaPvRmT3_T4_T5_mT6_P12ihipStream_tbENKUlT_T0_E_clISt17integral_constantIbLb1EESX_EEDaSS_ST_EUlSS_E0_NS1_11comp_targetILNS1_3genE8ELNS1_11target_archE1030ELNS1_3gpuE2ELNS1_3repE0EEENS1_30default_config_static_selectorELNS0_4arch9wavefront6targetE1EEEvT1_
; %bb.0:
	.section	.rodata,"a",@progbits
	.p2align	6, 0x0
	.amdhsa_kernel _ZN7rocprim17ROCPRIM_400000_NS6detail17trampoline_kernelINS0_14default_configENS1_20scan_config_selectorIdEEZZNS1_9scan_implILNS1_25lookback_scan_determinismE0ELb1ELb1ES3_N6thrust23THRUST_200600_302600_NS6detail15normal_iteratorINS9_10device_ptrIdEEEENS9_16discard_iteratorINS9_11use_defaultEEEd11max_functorIdEdEEDaPvRmT3_T4_T5_mT6_P12ihipStream_tbENKUlT_T0_E_clISt17integral_constantIbLb1EESX_EEDaSS_ST_EUlSS_E0_NS1_11comp_targetILNS1_3genE8ELNS1_11target_archE1030ELNS1_3gpuE2ELNS1_3repE0EEENS1_30default_config_static_selectorELNS0_4arch9wavefront6targetE1EEEvT1_
		.amdhsa_group_segment_fixed_size 0
		.amdhsa_private_segment_fixed_size 0
		.amdhsa_kernarg_size 48
		.amdhsa_user_sgpr_count 6
		.amdhsa_user_sgpr_private_segment_buffer 1
		.amdhsa_user_sgpr_dispatch_ptr 0
		.amdhsa_user_sgpr_queue_ptr 0
		.amdhsa_user_sgpr_kernarg_segment_ptr 1
		.amdhsa_user_sgpr_dispatch_id 0
		.amdhsa_user_sgpr_flat_scratch_init 0
		.amdhsa_user_sgpr_kernarg_preload_length 0
		.amdhsa_user_sgpr_kernarg_preload_offset 0
		.amdhsa_user_sgpr_private_segment_size 0
		.amdhsa_uses_dynamic_stack 0
		.amdhsa_system_sgpr_private_segment_wavefront_offset 0
		.amdhsa_system_sgpr_workgroup_id_x 1
		.amdhsa_system_sgpr_workgroup_id_y 0
		.amdhsa_system_sgpr_workgroup_id_z 0
		.amdhsa_system_sgpr_workgroup_info 0
		.amdhsa_system_vgpr_workitem_id 0
		.amdhsa_next_free_vgpr 1
		.amdhsa_next_free_sgpr 0
		.amdhsa_accum_offset 4
		.amdhsa_reserve_vcc 0
		.amdhsa_reserve_flat_scratch 0
		.amdhsa_float_round_mode_32 0
		.amdhsa_float_round_mode_16_64 0
		.amdhsa_float_denorm_mode_32 3
		.amdhsa_float_denorm_mode_16_64 3
		.amdhsa_dx10_clamp 1
		.amdhsa_ieee_mode 1
		.amdhsa_fp16_overflow 0
		.amdhsa_tg_split 0
		.amdhsa_exception_fp_ieee_invalid_op 0
		.amdhsa_exception_fp_denorm_src 0
		.amdhsa_exception_fp_ieee_div_zero 0
		.amdhsa_exception_fp_ieee_overflow 0
		.amdhsa_exception_fp_ieee_underflow 0
		.amdhsa_exception_fp_ieee_inexact 0
		.amdhsa_exception_int_div_zero 0
	.end_amdhsa_kernel
	.section	.text._ZN7rocprim17ROCPRIM_400000_NS6detail17trampoline_kernelINS0_14default_configENS1_20scan_config_selectorIdEEZZNS1_9scan_implILNS1_25lookback_scan_determinismE0ELb1ELb1ES3_N6thrust23THRUST_200600_302600_NS6detail15normal_iteratorINS9_10device_ptrIdEEEENS9_16discard_iteratorINS9_11use_defaultEEEd11max_functorIdEdEEDaPvRmT3_T4_T5_mT6_P12ihipStream_tbENKUlT_T0_E_clISt17integral_constantIbLb1EESX_EEDaSS_ST_EUlSS_E0_NS1_11comp_targetILNS1_3genE8ELNS1_11target_archE1030ELNS1_3gpuE2ELNS1_3repE0EEENS1_30default_config_static_selectorELNS0_4arch9wavefront6targetE1EEEvT1_,"axG",@progbits,_ZN7rocprim17ROCPRIM_400000_NS6detail17trampoline_kernelINS0_14default_configENS1_20scan_config_selectorIdEEZZNS1_9scan_implILNS1_25lookback_scan_determinismE0ELb1ELb1ES3_N6thrust23THRUST_200600_302600_NS6detail15normal_iteratorINS9_10device_ptrIdEEEENS9_16discard_iteratorINS9_11use_defaultEEEd11max_functorIdEdEEDaPvRmT3_T4_T5_mT6_P12ihipStream_tbENKUlT_T0_E_clISt17integral_constantIbLb1EESX_EEDaSS_ST_EUlSS_E0_NS1_11comp_targetILNS1_3genE8ELNS1_11target_archE1030ELNS1_3gpuE2ELNS1_3repE0EEENS1_30default_config_static_selectorELNS0_4arch9wavefront6targetE1EEEvT1_,comdat
.Lfunc_end3097:
	.size	_ZN7rocprim17ROCPRIM_400000_NS6detail17trampoline_kernelINS0_14default_configENS1_20scan_config_selectorIdEEZZNS1_9scan_implILNS1_25lookback_scan_determinismE0ELb1ELb1ES3_N6thrust23THRUST_200600_302600_NS6detail15normal_iteratorINS9_10device_ptrIdEEEENS9_16discard_iteratorINS9_11use_defaultEEEd11max_functorIdEdEEDaPvRmT3_T4_T5_mT6_P12ihipStream_tbENKUlT_T0_E_clISt17integral_constantIbLb1EESX_EEDaSS_ST_EUlSS_E0_NS1_11comp_targetILNS1_3genE8ELNS1_11target_archE1030ELNS1_3gpuE2ELNS1_3repE0EEENS1_30default_config_static_selectorELNS0_4arch9wavefront6targetE1EEEvT1_, .Lfunc_end3097-_ZN7rocprim17ROCPRIM_400000_NS6detail17trampoline_kernelINS0_14default_configENS1_20scan_config_selectorIdEEZZNS1_9scan_implILNS1_25lookback_scan_determinismE0ELb1ELb1ES3_N6thrust23THRUST_200600_302600_NS6detail15normal_iteratorINS9_10device_ptrIdEEEENS9_16discard_iteratorINS9_11use_defaultEEEd11max_functorIdEdEEDaPvRmT3_T4_T5_mT6_P12ihipStream_tbENKUlT_T0_E_clISt17integral_constantIbLb1EESX_EEDaSS_ST_EUlSS_E0_NS1_11comp_targetILNS1_3genE8ELNS1_11target_archE1030ELNS1_3gpuE2ELNS1_3repE0EEENS1_30default_config_static_selectorELNS0_4arch9wavefront6targetE1EEEvT1_
                                        ; -- End function
	.section	.AMDGPU.csdata,"",@progbits
; Kernel info:
; codeLenInByte = 0
; NumSgprs: 4
; NumVgprs: 0
; NumAgprs: 0
; TotalNumVgprs: 0
; ScratchSize: 0
; MemoryBound: 0
; FloatMode: 240
; IeeeMode: 1
; LDSByteSize: 0 bytes/workgroup (compile time only)
; SGPRBlocks: 0
; VGPRBlocks: 0
; NumSGPRsForWavesPerEU: 4
; NumVGPRsForWavesPerEU: 1
; AccumOffset: 4
; Occupancy: 8
; WaveLimiterHint : 0
; COMPUTE_PGM_RSRC2:SCRATCH_EN: 0
; COMPUTE_PGM_RSRC2:USER_SGPR: 6
; COMPUTE_PGM_RSRC2:TRAP_HANDLER: 0
; COMPUTE_PGM_RSRC2:TGID_X_EN: 1
; COMPUTE_PGM_RSRC2:TGID_Y_EN: 0
; COMPUTE_PGM_RSRC2:TGID_Z_EN: 0
; COMPUTE_PGM_RSRC2:TIDIG_COMP_CNT: 0
; COMPUTE_PGM_RSRC3_GFX90A:ACCUM_OFFSET: 0
; COMPUTE_PGM_RSRC3_GFX90A:TG_SPLIT: 0
	.section	.text._ZN7rocprim17ROCPRIM_400000_NS6detail17trampoline_kernelINS0_14default_configENS1_20scan_config_selectorIdEEZZNS1_9scan_implILNS1_25lookback_scan_determinismE0ELb1ELb1ES3_N6thrust23THRUST_200600_302600_NS6detail15normal_iteratorINS9_10device_ptrIdEEEENS9_16discard_iteratorINS9_11use_defaultEEEd11max_functorIdEdEEDaPvRmT3_T4_T5_mT6_P12ihipStream_tbENKUlT_T0_E_clISt17integral_constantIbLb1EESW_IbLb0EEEEDaSS_ST_EUlSS_E_NS1_11comp_targetILNS1_3genE0ELNS1_11target_archE4294967295ELNS1_3gpuE0ELNS1_3repE0EEENS1_30default_config_static_selectorELNS0_4arch9wavefront6targetE1EEEvT1_,"axG",@progbits,_ZN7rocprim17ROCPRIM_400000_NS6detail17trampoline_kernelINS0_14default_configENS1_20scan_config_selectorIdEEZZNS1_9scan_implILNS1_25lookback_scan_determinismE0ELb1ELb1ES3_N6thrust23THRUST_200600_302600_NS6detail15normal_iteratorINS9_10device_ptrIdEEEENS9_16discard_iteratorINS9_11use_defaultEEEd11max_functorIdEdEEDaPvRmT3_T4_T5_mT6_P12ihipStream_tbENKUlT_T0_E_clISt17integral_constantIbLb1EESW_IbLb0EEEEDaSS_ST_EUlSS_E_NS1_11comp_targetILNS1_3genE0ELNS1_11target_archE4294967295ELNS1_3gpuE0ELNS1_3repE0EEENS1_30default_config_static_selectorELNS0_4arch9wavefront6targetE1EEEvT1_,comdat
	.protected	_ZN7rocprim17ROCPRIM_400000_NS6detail17trampoline_kernelINS0_14default_configENS1_20scan_config_selectorIdEEZZNS1_9scan_implILNS1_25lookback_scan_determinismE0ELb1ELb1ES3_N6thrust23THRUST_200600_302600_NS6detail15normal_iteratorINS9_10device_ptrIdEEEENS9_16discard_iteratorINS9_11use_defaultEEEd11max_functorIdEdEEDaPvRmT3_T4_T5_mT6_P12ihipStream_tbENKUlT_T0_E_clISt17integral_constantIbLb1EESW_IbLb0EEEEDaSS_ST_EUlSS_E_NS1_11comp_targetILNS1_3genE0ELNS1_11target_archE4294967295ELNS1_3gpuE0ELNS1_3repE0EEENS1_30default_config_static_selectorELNS0_4arch9wavefront6targetE1EEEvT1_ ; -- Begin function _ZN7rocprim17ROCPRIM_400000_NS6detail17trampoline_kernelINS0_14default_configENS1_20scan_config_selectorIdEEZZNS1_9scan_implILNS1_25lookback_scan_determinismE0ELb1ELb1ES3_N6thrust23THRUST_200600_302600_NS6detail15normal_iteratorINS9_10device_ptrIdEEEENS9_16discard_iteratorINS9_11use_defaultEEEd11max_functorIdEdEEDaPvRmT3_T4_T5_mT6_P12ihipStream_tbENKUlT_T0_E_clISt17integral_constantIbLb1EESW_IbLb0EEEEDaSS_ST_EUlSS_E_NS1_11comp_targetILNS1_3genE0ELNS1_11target_archE4294967295ELNS1_3gpuE0ELNS1_3repE0EEENS1_30default_config_static_selectorELNS0_4arch9wavefront6targetE1EEEvT1_
	.globl	_ZN7rocprim17ROCPRIM_400000_NS6detail17trampoline_kernelINS0_14default_configENS1_20scan_config_selectorIdEEZZNS1_9scan_implILNS1_25lookback_scan_determinismE0ELb1ELb1ES3_N6thrust23THRUST_200600_302600_NS6detail15normal_iteratorINS9_10device_ptrIdEEEENS9_16discard_iteratorINS9_11use_defaultEEEd11max_functorIdEdEEDaPvRmT3_T4_T5_mT6_P12ihipStream_tbENKUlT_T0_E_clISt17integral_constantIbLb1EESW_IbLb0EEEEDaSS_ST_EUlSS_E_NS1_11comp_targetILNS1_3genE0ELNS1_11target_archE4294967295ELNS1_3gpuE0ELNS1_3repE0EEENS1_30default_config_static_selectorELNS0_4arch9wavefront6targetE1EEEvT1_
	.p2align	8
	.type	_ZN7rocprim17ROCPRIM_400000_NS6detail17trampoline_kernelINS0_14default_configENS1_20scan_config_selectorIdEEZZNS1_9scan_implILNS1_25lookback_scan_determinismE0ELb1ELb1ES3_N6thrust23THRUST_200600_302600_NS6detail15normal_iteratorINS9_10device_ptrIdEEEENS9_16discard_iteratorINS9_11use_defaultEEEd11max_functorIdEdEEDaPvRmT3_T4_T5_mT6_P12ihipStream_tbENKUlT_T0_E_clISt17integral_constantIbLb1EESW_IbLb0EEEEDaSS_ST_EUlSS_E_NS1_11comp_targetILNS1_3genE0ELNS1_11target_archE4294967295ELNS1_3gpuE0ELNS1_3repE0EEENS1_30default_config_static_selectorELNS0_4arch9wavefront6targetE1EEEvT1_,@function
_ZN7rocprim17ROCPRIM_400000_NS6detail17trampoline_kernelINS0_14default_configENS1_20scan_config_selectorIdEEZZNS1_9scan_implILNS1_25lookback_scan_determinismE0ELb1ELb1ES3_N6thrust23THRUST_200600_302600_NS6detail15normal_iteratorINS9_10device_ptrIdEEEENS9_16discard_iteratorINS9_11use_defaultEEEd11max_functorIdEdEEDaPvRmT3_T4_T5_mT6_P12ihipStream_tbENKUlT_T0_E_clISt17integral_constantIbLb1EESW_IbLb0EEEEDaSS_ST_EUlSS_E_NS1_11comp_targetILNS1_3genE0ELNS1_11target_archE4294967295ELNS1_3gpuE0ELNS1_3repE0EEENS1_30default_config_static_selectorELNS0_4arch9wavefront6targetE1EEEvT1_: ; @_ZN7rocprim17ROCPRIM_400000_NS6detail17trampoline_kernelINS0_14default_configENS1_20scan_config_selectorIdEEZZNS1_9scan_implILNS1_25lookback_scan_determinismE0ELb1ELb1ES3_N6thrust23THRUST_200600_302600_NS6detail15normal_iteratorINS9_10device_ptrIdEEEENS9_16discard_iteratorINS9_11use_defaultEEEd11max_functorIdEdEEDaPvRmT3_T4_T5_mT6_P12ihipStream_tbENKUlT_T0_E_clISt17integral_constantIbLb1EESW_IbLb0EEEEDaSS_ST_EUlSS_E_NS1_11comp_targetILNS1_3genE0ELNS1_11target_archE4294967295ELNS1_3gpuE0ELNS1_3repE0EEENS1_30default_config_static_selectorELNS0_4arch9wavefront6targetE1EEEvT1_
; %bb.0:
	.section	.rodata,"a",@progbits
	.p2align	6, 0x0
	.amdhsa_kernel _ZN7rocprim17ROCPRIM_400000_NS6detail17trampoline_kernelINS0_14default_configENS1_20scan_config_selectorIdEEZZNS1_9scan_implILNS1_25lookback_scan_determinismE0ELb1ELb1ES3_N6thrust23THRUST_200600_302600_NS6detail15normal_iteratorINS9_10device_ptrIdEEEENS9_16discard_iteratorINS9_11use_defaultEEEd11max_functorIdEdEEDaPvRmT3_T4_T5_mT6_P12ihipStream_tbENKUlT_T0_E_clISt17integral_constantIbLb1EESW_IbLb0EEEEDaSS_ST_EUlSS_E_NS1_11comp_targetILNS1_3genE0ELNS1_11target_archE4294967295ELNS1_3gpuE0ELNS1_3repE0EEENS1_30default_config_static_selectorELNS0_4arch9wavefront6targetE1EEEvT1_
		.amdhsa_group_segment_fixed_size 0
		.amdhsa_private_segment_fixed_size 0
		.amdhsa_kernarg_size 112
		.amdhsa_user_sgpr_count 6
		.amdhsa_user_sgpr_private_segment_buffer 1
		.amdhsa_user_sgpr_dispatch_ptr 0
		.amdhsa_user_sgpr_queue_ptr 0
		.amdhsa_user_sgpr_kernarg_segment_ptr 1
		.amdhsa_user_sgpr_dispatch_id 0
		.amdhsa_user_sgpr_flat_scratch_init 0
		.amdhsa_user_sgpr_kernarg_preload_length 0
		.amdhsa_user_sgpr_kernarg_preload_offset 0
		.amdhsa_user_sgpr_private_segment_size 0
		.amdhsa_uses_dynamic_stack 0
		.amdhsa_system_sgpr_private_segment_wavefront_offset 0
		.amdhsa_system_sgpr_workgroup_id_x 1
		.amdhsa_system_sgpr_workgroup_id_y 0
		.amdhsa_system_sgpr_workgroup_id_z 0
		.amdhsa_system_sgpr_workgroup_info 0
		.amdhsa_system_vgpr_workitem_id 0
		.amdhsa_next_free_vgpr 1
		.amdhsa_next_free_sgpr 0
		.amdhsa_accum_offset 4
		.amdhsa_reserve_vcc 0
		.amdhsa_reserve_flat_scratch 0
		.amdhsa_float_round_mode_32 0
		.amdhsa_float_round_mode_16_64 0
		.amdhsa_float_denorm_mode_32 3
		.amdhsa_float_denorm_mode_16_64 3
		.amdhsa_dx10_clamp 1
		.amdhsa_ieee_mode 1
		.amdhsa_fp16_overflow 0
		.amdhsa_tg_split 0
		.amdhsa_exception_fp_ieee_invalid_op 0
		.amdhsa_exception_fp_denorm_src 0
		.amdhsa_exception_fp_ieee_div_zero 0
		.amdhsa_exception_fp_ieee_overflow 0
		.amdhsa_exception_fp_ieee_underflow 0
		.amdhsa_exception_fp_ieee_inexact 0
		.amdhsa_exception_int_div_zero 0
	.end_amdhsa_kernel
	.section	.text._ZN7rocprim17ROCPRIM_400000_NS6detail17trampoline_kernelINS0_14default_configENS1_20scan_config_selectorIdEEZZNS1_9scan_implILNS1_25lookback_scan_determinismE0ELb1ELb1ES3_N6thrust23THRUST_200600_302600_NS6detail15normal_iteratorINS9_10device_ptrIdEEEENS9_16discard_iteratorINS9_11use_defaultEEEd11max_functorIdEdEEDaPvRmT3_T4_T5_mT6_P12ihipStream_tbENKUlT_T0_E_clISt17integral_constantIbLb1EESW_IbLb0EEEEDaSS_ST_EUlSS_E_NS1_11comp_targetILNS1_3genE0ELNS1_11target_archE4294967295ELNS1_3gpuE0ELNS1_3repE0EEENS1_30default_config_static_selectorELNS0_4arch9wavefront6targetE1EEEvT1_,"axG",@progbits,_ZN7rocprim17ROCPRIM_400000_NS6detail17trampoline_kernelINS0_14default_configENS1_20scan_config_selectorIdEEZZNS1_9scan_implILNS1_25lookback_scan_determinismE0ELb1ELb1ES3_N6thrust23THRUST_200600_302600_NS6detail15normal_iteratorINS9_10device_ptrIdEEEENS9_16discard_iteratorINS9_11use_defaultEEEd11max_functorIdEdEEDaPvRmT3_T4_T5_mT6_P12ihipStream_tbENKUlT_T0_E_clISt17integral_constantIbLb1EESW_IbLb0EEEEDaSS_ST_EUlSS_E_NS1_11comp_targetILNS1_3genE0ELNS1_11target_archE4294967295ELNS1_3gpuE0ELNS1_3repE0EEENS1_30default_config_static_selectorELNS0_4arch9wavefront6targetE1EEEvT1_,comdat
.Lfunc_end3098:
	.size	_ZN7rocprim17ROCPRIM_400000_NS6detail17trampoline_kernelINS0_14default_configENS1_20scan_config_selectorIdEEZZNS1_9scan_implILNS1_25lookback_scan_determinismE0ELb1ELb1ES3_N6thrust23THRUST_200600_302600_NS6detail15normal_iteratorINS9_10device_ptrIdEEEENS9_16discard_iteratorINS9_11use_defaultEEEd11max_functorIdEdEEDaPvRmT3_T4_T5_mT6_P12ihipStream_tbENKUlT_T0_E_clISt17integral_constantIbLb1EESW_IbLb0EEEEDaSS_ST_EUlSS_E_NS1_11comp_targetILNS1_3genE0ELNS1_11target_archE4294967295ELNS1_3gpuE0ELNS1_3repE0EEENS1_30default_config_static_selectorELNS0_4arch9wavefront6targetE1EEEvT1_, .Lfunc_end3098-_ZN7rocprim17ROCPRIM_400000_NS6detail17trampoline_kernelINS0_14default_configENS1_20scan_config_selectorIdEEZZNS1_9scan_implILNS1_25lookback_scan_determinismE0ELb1ELb1ES3_N6thrust23THRUST_200600_302600_NS6detail15normal_iteratorINS9_10device_ptrIdEEEENS9_16discard_iteratorINS9_11use_defaultEEEd11max_functorIdEdEEDaPvRmT3_T4_T5_mT6_P12ihipStream_tbENKUlT_T0_E_clISt17integral_constantIbLb1EESW_IbLb0EEEEDaSS_ST_EUlSS_E_NS1_11comp_targetILNS1_3genE0ELNS1_11target_archE4294967295ELNS1_3gpuE0ELNS1_3repE0EEENS1_30default_config_static_selectorELNS0_4arch9wavefront6targetE1EEEvT1_
                                        ; -- End function
	.section	.AMDGPU.csdata,"",@progbits
; Kernel info:
; codeLenInByte = 0
; NumSgprs: 4
; NumVgprs: 0
; NumAgprs: 0
; TotalNumVgprs: 0
; ScratchSize: 0
; MemoryBound: 0
; FloatMode: 240
; IeeeMode: 1
; LDSByteSize: 0 bytes/workgroup (compile time only)
; SGPRBlocks: 0
; VGPRBlocks: 0
; NumSGPRsForWavesPerEU: 4
; NumVGPRsForWavesPerEU: 1
; AccumOffset: 4
; Occupancy: 8
; WaveLimiterHint : 0
; COMPUTE_PGM_RSRC2:SCRATCH_EN: 0
; COMPUTE_PGM_RSRC2:USER_SGPR: 6
; COMPUTE_PGM_RSRC2:TRAP_HANDLER: 0
; COMPUTE_PGM_RSRC2:TGID_X_EN: 1
; COMPUTE_PGM_RSRC2:TGID_Y_EN: 0
; COMPUTE_PGM_RSRC2:TGID_Z_EN: 0
; COMPUTE_PGM_RSRC2:TIDIG_COMP_CNT: 0
; COMPUTE_PGM_RSRC3_GFX90A:ACCUM_OFFSET: 0
; COMPUTE_PGM_RSRC3_GFX90A:TG_SPLIT: 0
	.section	.text._ZN7rocprim17ROCPRIM_400000_NS6detail17trampoline_kernelINS0_14default_configENS1_20scan_config_selectorIdEEZZNS1_9scan_implILNS1_25lookback_scan_determinismE0ELb1ELb1ES3_N6thrust23THRUST_200600_302600_NS6detail15normal_iteratorINS9_10device_ptrIdEEEENS9_16discard_iteratorINS9_11use_defaultEEEd11max_functorIdEdEEDaPvRmT3_T4_T5_mT6_P12ihipStream_tbENKUlT_T0_E_clISt17integral_constantIbLb1EESW_IbLb0EEEEDaSS_ST_EUlSS_E_NS1_11comp_targetILNS1_3genE5ELNS1_11target_archE942ELNS1_3gpuE9ELNS1_3repE0EEENS1_30default_config_static_selectorELNS0_4arch9wavefront6targetE1EEEvT1_,"axG",@progbits,_ZN7rocprim17ROCPRIM_400000_NS6detail17trampoline_kernelINS0_14default_configENS1_20scan_config_selectorIdEEZZNS1_9scan_implILNS1_25lookback_scan_determinismE0ELb1ELb1ES3_N6thrust23THRUST_200600_302600_NS6detail15normal_iteratorINS9_10device_ptrIdEEEENS9_16discard_iteratorINS9_11use_defaultEEEd11max_functorIdEdEEDaPvRmT3_T4_T5_mT6_P12ihipStream_tbENKUlT_T0_E_clISt17integral_constantIbLb1EESW_IbLb0EEEEDaSS_ST_EUlSS_E_NS1_11comp_targetILNS1_3genE5ELNS1_11target_archE942ELNS1_3gpuE9ELNS1_3repE0EEENS1_30default_config_static_selectorELNS0_4arch9wavefront6targetE1EEEvT1_,comdat
	.protected	_ZN7rocprim17ROCPRIM_400000_NS6detail17trampoline_kernelINS0_14default_configENS1_20scan_config_selectorIdEEZZNS1_9scan_implILNS1_25lookback_scan_determinismE0ELb1ELb1ES3_N6thrust23THRUST_200600_302600_NS6detail15normal_iteratorINS9_10device_ptrIdEEEENS9_16discard_iteratorINS9_11use_defaultEEEd11max_functorIdEdEEDaPvRmT3_T4_T5_mT6_P12ihipStream_tbENKUlT_T0_E_clISt17integral_constantIbLb1EESW_IbLb0EEEEDaSS_ST_EUlSS_E_NS1_11comp_targetILNS1_3genE5ELNS1_11target_archE942ELNS1_3gpuE9ELNS1_3repE0EEENS1_30default_config_static_selectorELNS0_4arch9wavefront6targetE1EEEvT1_ ; -- Begin function _ZN7rocprim17ROCPRIM_400000_NS6detail17trampoline_kernelINS0_14default_configENS1_20scan_config_selectorIdEEZZNS1_9scan_implILNS1_25lookback_scan_determinismE0ELb1ELb1ES3_N6thrust23THRUST_200600_302600_NS6detail15normal_iteratorINS9_10device_ptrIdEEEENS9_16discard_iteratorINS9_11use_defaultEEEd11max_functorIdEdEEDaPvRmT3_T4_T5_mT6_P12ihipStream_tbENKUlT_T0_E_clISt17integral_constantIbLb1EESW_IbLb0EEEEDaSS_ST_EUlSS_E_NS1_11comp_targetILNS1_3genE5ELNS1_11target_archE942ELNS1_3gpuE9ELNS1_3repE0EEENS1_30default_config_static_selectorELNS0_4arch9wavefront6targetE1EEEvT1_
	.globl	_ZN7rocprim17ROCPRIM_400000_NS6detail17trampoline_kernelINS0_14default_configENS1_20scan_config_selectorIdEEZZNS1_9scan_implILNS1_25lookback_scan_determinismE0ELb1ELb1ES3_N6thrust23THRUST_200600_302600_NS6detail15normal_iteratorINS9_10device_ptrIdEEEENS9_16discard_iteratorINS9_11use_defaultEEEd11max_functorIdEdEEDaPvRmT3_T4_T5_mT6_P12ihipStream_tbENKUlT_T0_E_clISt17integral_constantIbLb1EESW_IbLb0EEEEDaSS_ST_EUlSS_E_NS1_11comp_targetILNS1_3genE5ELNS1_11target_archE942ELNS1_3gpuE9ELNS1_3repE0EEENS1_30default_config_static_selectorELNS0_4arch9wavefront6targetE1EEEvT1_
	.p2align	8
	.type	_ZN7rocprim17ROCPRIM_400000_NS6detail17trampoline_kernelINS0_14default_configENS1_20scan_config_selectorIdEEZZNS1_9scan_implILNS1_25lookback_scan_determinismE0ELb1ELb1ES3_N6thrust23THRUST_200600_302600_NS6detail15normal_iteratorINS9_10device_ptrIdEEEENS9_16discard_iteratorINS9_11use_defaultEEEd11max_functorIdEdEEDaPvRmT3_T4_T5_mT6_P12ihipStream_tbENKUlT_T0_E_clISt17integral_constantIbLb1EESW_IbLb0EEEEDaSS_ST_EUlSS_E_NS1_11comp_targetILNS1_3genE5ELNS1_11target_archE942ELNS1_3gpuE9ELNS1_3repE0EEENS1_30default_config_static_selectorELNS0_4arch9wavefront6targetE1EEEvT1_,@function
_ZN7rocprim17ROCPRIM_400000_NS6detail17trampoline_kernelINS0_14default_configENS1_20scan_config_selectorIdEEZZNS1_9scan_implILNS1_25lookback_scan_determinismE0ELb1ELb1ES3_N6thrust23THRUST_200600_302600_NS6detail15normal_iteratorINS9_10device_ptrIdEEEENS9_16discard_iteratorINS9_11use_defaultEEEd11max_functorIdEdEEDaPvRmT3_T4_T5_mT6_P12ihipStream_tbENKUlT_T0_E_clISt17integral_constantIbLb1EESW_IbLb0EEEEDaSS_ST_EUlSS_E_NS1_11comp_targetILNS1_3genE5ELNS1_11target_archE942ELNS1_3gpuE9ELNS1_3repE0EEENS1_30default_config_static_selectorELNS0_4arch9wavefront6targetE1EEEvT1_: ; @_ZN7rocprim17ROCPRIM_400000_NS6detail17trampoline_kernelINS0_14default_configENS1_20scan_config_selectorIdEEZZNS1_9scan_implILNS1_25lookback_scan_determinismE0ELb1ELb1ES3_N6thrust23THRUST_200600_302600_NS6detail15normal_iteratorINS9_10device_ptrIdEEEENS9_16discard_iteratorINS9_11use_defaultEEEd11max_functorIdEdEEDaPvRmT3_T4_T5_mT6_P12ihipStream_tbENKUlT_T0_E_clISt17integral_constantIbLb1EESW_IbLb0EEEEDaSS_ST_EUlSS_E_NS1_11comp_targetILNS1_3genE5ELNS1_11target_archE942ELNS1_3gpuE9ELNS1_3repE0EEENS1_30default_config_static_selectorELNS0_4arch9wavefront6targetE1EEEvT1_
; %bb.0:
	.section	.rodata,"a",@progbits
	.p2align	6, 0x0
	.amdhsa_kernel _ZN7rocprim17ROCPRIM_400000_NS6detail17trampoline_kernelINS0_14default_configENS1_20scan_config_selectorIdEEZZNS1_9scan_implILNS1_25lookback_scan_determinismE0ELb1ELb1ES3_N6thrust23THRUST_200600_302600_NS6detail15normal_iteratorINS9_10device_ptrIdEEEENS9_16discard_iteratorINS9_11use_defaultEEEd11max_functorIdEdEEDaPvRmT3_T4_T5_mT6_P12ihipStream_tbENKUlT_T0_E_clISt17integral_constantIbLb1EESW_IbLb0EEEEDaSS_ST_EUlSS_E_NS1_11comp_targetILNS1_3genE5ELNS1_11target_archE942ELNS1_3gpuE9ELNS1_3repE0EEENS1_30default_config_static_selectorELNS0_4arch9wavefront6targetE1EEEvT1_
		.amdhsa_group_segment_fixed_size 0
		.amdhsa_private_segment_fixed_size 0
		.amdhsa_kernarg_size 112
		.amdhsa_user_sgpr_count 6
		.amdhsa_user_sgpr_private_segment_buffer 1
		.amdhsa_user_sgpr_dispatch_ptr 0
		.amdhsa_user_sgpr_queue_ptr 0
		.amdhsa_user_sgpr_kernarg_segment_ptr 1
		.amdhsa_user_sgpr_dispatch_id 0
		.amdhsa_user_sgpr_flat_scratch_init 0
		.amdhsa_user_sgpr_kernarg_preload_length 0
		.amdhsa_user_sgpr_kernarg_preload_offset 0
		.amdhsa_user_sgpr_private_segment_size 0
		.amdhsa_uses_dynamic_stack 0
		.amdhsa_system_sgpr_private_segment_wavefront_offset 0
		.amdhsa_system_sgpr_workgroup_id_x 1
		.amdhsa_system_sgpr_workgroup_id_y 0
		.amdhsa_system_sgpr_workgroup_id_z 0
		.amdhsa_system_sgpr_workgroup_info 0
		.amdhsa_system_vgpr_workitem_id 0
		.amdhsa_next_free_vgpr 1
		.amdhsa_next_free_sgpr 0
		.amdhsa_accum_offset 4
		.amdhsa_reserve_vcc 0
		.amdhsa_reserve_flat_scratch 0
		.amdhsa_float_round_mode_32 0
		.amdhsa_float_round_mode_16_64 0
		.amdhsa_float_denorm_mode_32 3
		.amdhsa_float_denorm_mode_16_64 3
		.amdhsa_dx10_clamp 1
		.amdhsa_ieee_mode 1
		.amdhsa_fp16_overflow 0
		.amdhsa_tg_split 0
		.amdhsa_exception_fp_ieee_invalid_op 0
		.amdhsa_exception_fp_denorm_src 0
		.amdhsa_exception_fp_ieee_div_zero 0
		.amdhsa_exception_fp_ieee_overflow 0
		.amdhsa_exception_fp_ieee_underflow 0
		.amdhsa_exception_fp_ieee_inexact 0
		.amdhsa_exception_int_div_zero 0
	.end_amdhsa_kernel
	.section	.text._ZN7rocprim17ROCPRIM_400000_NS6detail17trampoline_kernelINS0_14default_configENS1_20scan_config_selectorIdEEZZNS1_9scan_implILNS1_25lookback_scan_determinismE0ELb1ELb1ES3_N6thrust23THRUST_200600_302600_NS6detail15normal_iteratorINS9_10device_ptrIdEEEENS9_16discard_iteratorINS9_11use_defaultEEEd11max_functorIdEdEEDaPvRmT3_T4_T5_mT6_P12ihipStream_tbENKUlT_T0_E_clISt17integral_constantIbLb1EESW_IbLb0EEEEDaSS_ST_EUlSS_E_NS1_11comp_targetILNS1_3genE5ELNS1_11target_archE942ELNS1_3gpuE9ELNS1_3repE0EEENS1_30default_config_static_selectorELNS0_4arch9wavefront6targetE1EEEvT1_,"axG",@progbits,_ZN7rocprim17ROCPRIM_400000_NS6detail17trampoline_kernelINS0_14default_configENS1_20scan_config_selectorIdEEZZNS1_9scan_implILNS1_25lookback_scan_determinismE0ELb1ELb1ES3_N6thrust23THRUST_200600_302600_NS6detail15normal_iteratorINS9_10device_ptrIdEEEENS9_16discard_iteratorINS9_11use_defaultEEEd11max_functorIdEdEEDaPvRmT3_T4_T5_mT6_P12ihipStream_tbENKUlT_T0_E_clISt17integral_constantIbLb1EESW_IbLb0EEEEDaSS_ST_EUlSS_E_NS1_11comp_targetILNS1_3genE5ELNS1_11target_archE942ELNS1_3gpuE9ELNS1_3repE0EEENS1_30default_config_static_selectorELNS0_4arch9wavefront6targetE1EEEvT1_,comdat
.Lfunc_end3099:
	.size	_ZN7rocprim17ROCPRIM_400000_NS6detail17trampoline_kernelINS0_14default_configENS1_20scan_config_selectorIdEEZZNS1_9scan_implILNS1_25lookback_scan_determinismE0ELb1ELb1ES3_N6thrust23THRUST_200600_302600_NS6detail15normal_iteratorINS9_10device_ptrIdEEEENS9_16discard_iteratorINS9_11use_defaultEEEd11max_functorIdEdEEDaPvRmT3_T4_T5_mT6_P12ihipStream_tbENKUlT_T0_E_clISt17integral_constantIbLb1EESW_IbLb0EEEEDaSS_ST_EUlSS_E_NS1_11comp_targetILNS1_3genE5ELNS1_11target_archE942ELNS1_3gpuE9ELNS1_3repE0EEENS1_30default_config_static_selectorELNS0_4arch9wavefront6targetE1EEEvT1_, .Lfunc_end3099-_ZN7rocprim17ROCPRIM_400000_NS6detail17trampoline_kernelINS0_14default_configENS1_20scan_config_selectorIdEEZZNS1_9scan_implILNS1_25lookback_scan_determinismE0ELb1ELb1ES3_N6thrust23THRUST_200600_302600_NS6detail15normal_iteratorINS9_10device_ptrIdEEEENS9_16discard_iteratorINS9_11use_defaultEEEd11max_functorIdEdEEDaPvRmT3_T4_T5_mT6_P12ihipStream_tbENKUlT_T0_E_clISt17integral_constantIbLb1EESW_IbLb0EEEEDaSS_ST_EUlSS_E_NS1_11comp_targetILNS1_3genE5ELNS1_11target_archE942ELNS1_3gpuE9ELNS1_3repE0EEENS1_30default_config_static_selectorELNS0_4arch9wavefront6targetE1EEEvT1_
                                        ; -- End function
	.section	.AMDGPU.csdata,"",@progbits
; Kernel info:
; codeLenInByte = 0
; NumSgprs: 4
; NumVgprs: 0
; NumAgprs: 0
; TotalNumVgprs: 0
; ScratchSize: 0
; MemoryBound: 0
; FloatMode: 240
; IeeeMode: 1
; LDSByteSize: 0 bytes/workgroup (compile time only)
; SGPRBlocks: 0
; VGPRBlocks: 0
; NumSGPRsForWavesPerEU: 4
; NumVGPRsForWavesPerEU: 1
; AccumOffset: 4
; Occupancy: 8
; WaveLimiterHint : 0
; COMPUTE_PGM_RSRC2:SCRATCH_EN: 0
; COMPUTE_PGM_RSRC2:USER_SGPR: 6
; COMPUTE_PGM_RSRC2:TRAP_HANDLER: 0
; COMPUTE_PGM_RSRC2:TGID_X_EN: 1
; COMPUTE_PGM_RSRC2:TGID_Y_EN: 0
; COMPUTE_PGM_RSRC2:TGID_Z_EN: 0
; COMPUTE_PGM_RSRC2:TIDIG_COMP_CNT: 0
; COMPUTE_PGM_RSRC3_GFX90A:ACCUM_OFFSET: 0
; COMPUTE_PGM_RSRC3_GFX90A:TG_SPLIT: 0
	.section	.text._ZN7rocprim17ROCPRIM_400000_NS6detail17trampoline_kernelINS0_14default_configENS1_20scan_config_selectorIdEEZZNS1_9scan_implILNS1_25lookback_scan_determinismE0ELb1ELb1ES3_N6thrust23THRUST_200600_302600_NS6detail15normal_iteratorINS9_10device_ptrIdEEEENS9_16discard_iteratorINS9_11use_defaultEEEd11max_functorIdEdEEDaPvRmT3_T4_T5_mT6_P12ihipStream_tbENKUlT_T0_E_clISt17integral_constantIbLb1EESW_IbLb0EEEEDaSS_ST_EUlSS_E_NS1_11comp_targetILNS1_3genE4ELNS1_11target_archE910ELNS1_3gpuE8ELNS1_3repE0EEENS1_30default_config_static_selectorELNS0_4arch9wavefront6targetE1EEEvT1_,"axG",@progbits,_ZN7rocprim17ROCPRIM_400000_NS6detail17trampoline_kernelINS0_14default_configENS1_20scan_config_selectorIdEEZZNS1_9scan_implILNS1_25lookback_scan_determinismE0ELb1ELb1ES3_N6thrust23THRUST_200600_302600_NS6detail15normal_iteratorINS9_10device_ptrIdEEEENS9_16discard_iteratorINS9_11use_defaultEEEd11max_functorIdEdEEDaPvRmT3_T4_T5_mT6_P12ihipStream_tbENKUlT_T0_E_clISt17integral_constantIbLb1EESW_IbLb0EEEEDaSS_ST_EUlSS_E_NS1_11comp_targetILNS1_3genE4ELNS1_11target_archE910ELNS1_3gpuE8ELNS1_3repE0EEENS1_30default_config_static_selectorELNS0_4arch9wavefront6targetE1EEEvT1_,comdat
	.protected	_ZN7rocprim17ROCPRIM_400000_NS6detail17trampoline_kernelINS0_14default_configENS1_20scan_config_selectorIdEEZZNS1_9scan_implILNS1_25lookback_scan_determinismE0ELb1ELb1ES3_N6thrust23THRUST_200600_302600_NS6detail15normal_iteratorINS9_10device_ptrIdEEEENS9_16discard_iteratorINS9_11use_defaultEEEd11max_functorIdEdEEDaPvRmT3_T4_T5_mT6_P12ihipStream_tbENKUlT_T0_E_clISt17integral_constantIbLb1EESW_IbLb0EEEEDaSS_ST_EUlSS_E_NS1_11comp_targetILNS1_3genE4ELNS1_11target_archE910ELNS1_3gpuE8ELNS1_3repE0EEENS1_30default_config_static_selectorELNS0_4arch9wavefront6targetE1EEEvT1_ ; -- Begin function _ZN7rocprim17ROCPRIM_400000_NS6detail17trampoline_kernelINS0_14default_configENS1_20scan_config_selectorIdEEZZNS1_9scan_implILNS1_25lookback_scan_determinismE0ELb1ELb1ES3_N6thrust23THRUST_200600_302600_NS6detail15normal_iteratorINS9_10device_ptrIdEEEENS9_16discard_iteratorINS9_11use_defaultEEEd11max_functorIdEdEEDaPvRmT3_T4_T5_mT6_P12ihipStream_tbENKUlT_T0_E_clISt17integral_constantIbLb1EESW_IbLb0EEEEDaSS_ST_EUlSS_E_NS1_11comp_targetILNS1_3genE4ELNS1_11target_archE910ELNS1_3gpuE8ELNS1_3repE0EEENS1_30default_config_static_selectorELNS0_4arch9wavefront6targetE1EEEvT1_
	.globl	_ZN7rocprim17ROCPRIM_400000_NS6detail17trampoline_kernelINS0_14default_configENS1_20scan_config_selectorIdEEZZNS1_9scan_implILNS1_25lookback_scan_determinismE0ELb1ELb1ES3_N6thrust23THRUST_200600_302600_NS6detail15normal_iteratorINS9_10device_ptrIdEEEENS9_16discard_iteratorINS9_11use_defaultEEEd11max_functorIdEdEEDaPvRmT3_T4_T5_mT6_P12ihipStream_tbENKUlT_T0_E_clISt17integral_constantIbLb1EESW_IbLb0EEEEDaSS_ST_EUlSS_E_NS1_11comp_targetILNS1_3genE4ELNS1_11target_archE910ELNS1_3gpuE8ELNS1_3repE0EEENS1_30default_config_static_selectorELNS0_4arch9wavefront6targetE1EEEvT1_
	.p2align	8
	.type	_ZN7rocprim17ROCPRIM_400000_NS6detail17trampoline_kernelINS0_14default_configENS1_20scan_config_selectorIdEEZZNS1_9scan_implILNS1_25lookback_scan_determinismE0ELb1ELb1ES3_N6thrust23THRUST_200600_302600_NS6detail15normal_iteratorINS9_10device_ptrIdEEEENS9_16discard_iteratorINS9_11use_defaultEEEd11max_functorIdEdEEDaPvRmT3_T4_T5_mT6_P12ihipStream_tbENKUlT_T0_E_clISt17integral_constantIbLb1EESW_IbLb0EEEEDaSS_ST_EUlSS_E_NS1_11comp_targetILNS1_3genE4ELNS1_11target_archE910ELNS1_3gpuE8ELNS1_3repE0EEENS1_30default_config_static_selectorELNS0_4arch9wavefront6targetE1EEEvT1_,@function
_ZN7rocprim17ROCPRIM_400000_NS6detail17trampoline_kernelINS0_14default_configENS1_20scan_config_selectorIdEEZZNS1_9scan_implILNS1_25lookback_scan_determinismE0ELb1ELb1ES3_N6thrust23THRUST_200600_302600_NS6detail15normal_iteratorINS9_10device_ptrIdEEEENS9_16discard_iteratorINS9_11use_defaultEEEd11max_functorIdEdEEDaPvRmT3_T4_T5_mT6_P12ihipStream_tbENKUlT_T0_E_clISt17integral_constantIbLb1EESW_IbLb0EEEEDaSS_ST_EUlSS_E_NS1_11comp_targetILNS1_3genE4ELNS1_11target_archE910ELNS1_3gpuE8ELNS1_3repE0EEENS1_30default_config_static_selectorELNS0_4arch9wavefront6targetE1EEEvT1_: ; @_ZN7rocprim17ROCPRIM_400000_NS6detail17trampoline_kernelINS0_14default_configENS1_20scan_config_selectorIdEEZZNS1_9scan_implILNS1_25lookback_scan_determinismE0ELb1ELb1ES3_N6thrust23THRUST_200600_302600_NS6detail15normal_iteratorINS9_10device_ptrIdEEEENS9_16discard_iteratorINS9_11use_defaultEEEd11max_functorIdEdEEDaPvRmT3_T4_T5_mT6_P12ihipStream_tbENKUlT_T0_E_clISt17integral_constantIbLb1EESW_IbLb0EEEEDaSS_ST_EUlSS_E_NS1_11comp_targetILNS1_3genE4ELNS1_11target_archE910ELNS1_3gpuE8ELNS1_3repE0EEENS1_30default_config_static_selectorELNS0_4arch9wavefront6targetE1EEEvT1_
; %bb.0:
	s_load_dwordx4 s[0:3], s[4:5], 0x0
	s_load_dwordx4 s[8:11], s[4:5], 0x20
	s_load_dword s7, s[4:5], 0x40
	s_waitcnt lgkmcnt(0)
	s_lshl_b64 s[2:3], s[2:3], 3
	s_add_u32 s20, s0, s2
	s_addc_u32 s21, s1, s3
	s_add_i32 s2, s7, -1
	s_mul_i32 s3, s2, 0x500
	s_sub_u32 s18, s8, s3
	s_subb_u32 s19, s9, 0
	s_mul_i32 s0, s6, 0x500
	s_mov_b32 s1, 0
	s_cmp_lg_u32 s6, s2
	s_cselect_b64 s[8:9], -1, 0
	s_lshl_b64 s[0:1], s[0:1], 3
	s_add_u32 s0, s20, s0
	s_addc_u32 s1, s21, s1
	s_mov_b64 s[2:3], -1
	s_and_b64 vcc, exec, s[8:9]
	s_cbranch_vccz .LBB3100_2
; %bb.1:
	v_lshlrev_b32_e32 v1, 3, v0
	v_mov_b32_e32 v3, s1
	v_add_co_u32_e32 v2, vcc, s0, v1
	v_addc_co_u32_e32 v3, vcc, 0, v3, vcc
	v_add_co_u32_e32 v12, vcc, 0x1000, v2
	v_addc_co_u32_e32 v13, vcc, 0, v3, vcc
	flat_load_dwordx2 v[4:5], v[2:3]
	flat_load_dwordx2 v[6:7], v[2:3] offset:1024
	flat_load_dwordx2 v[8:9], v[2:3] offset:2048
	;; [unrolled: 1-line block ×3, first 2 shown]
	v_add_co_u32_e32 v2, vcc, 0x2000, v2
	v_addc_co_u32_e32 v3, vcc, 0, v3, vcc
	flat_load_dwordx2 v[14:15], v[12:13]
	flat_load_dwordx2 v[16:17], v[12:13] offset:1024
	flat_load_dwordx2 v[18:19], v[12:13] offset:2048
	;; [unrolled: 1-line block ×3, first 2 shown]
	s_nop 0
	flat_load_dwordx2 v[12:13], v[2:3]
	flat_load_dwordx2 v[22:23], v[2:3] offset:1024
	s_mov_b64 s[2:3], 0
	s_waitcnt vmcnt(0) lgkmcnt(0)
	ds_write2st64_b64 v1, v[4:5], v[6:7] offset1:2
	ds_write2st64_b64 v1, v[8:9], v[10:11] offset0:4 offset1:6
	ds_write2st64_b64 v1, v[14:15], v[16:17] offset0:8 offset1:10
	;; [unrolled: 1-line block ×4, first 2 shown]
	s_waitcnt lgkmcnt(0)
	s_barrier
.LBB3100_2:
	s_load_dwordx2 s[12:13], s[4:5], 0x38
	s_andn2_b64 vcc, exec, s[2:3]
	s_cbranch_vccnz .LBB3100_24
; %bb.3:
	v_pk_mov_b32 v[2:3], s[0:1], s[0:1] op_sel:[0,1]
	flat_load_dwordx2 v[2:3], v[2:3]
	v_cmp_gt_u32_e32 vcc, s18, v0
	s_waitcnt vmcnt(0) lgkmcnt(0)
	v_mov_b32_e32 v4, v2
	v_mov_b32_e32 v5, v3
	;; [unrolled: 1-line block ×16, first 2 shown]
	v_pk_mov_b32 v[34:35], v[30:31], v[30:31] op_sel:[0,1]
	v_pk_mov_b32 v[32:33], v[28:29], v[28:29] op_sel:[0,1]
	;; [unrolled: 1-line block ×16, first 2 shown]
	s_and_saveexec_b64 s[2:3], vcc
	s_cbranch_execz .LBB3100_5
; %bb.4:
	v_lshlrev_b32_e32 v1, 3, v0
	v_mov_b32_e32 v5, s1
	v_add_co_u32_e32 v4, vcc, s0, v1
	v_addc_co_u32_e32 v5, vcc, 0, v5, vcc
	flat_load_dwordx2 v[36:37], v[4:5]
	v_mov_b32_e32 v4, v2
	v_mov_b32_e32 v5, v3
	;; [unrolled: 1-line block ×16, first 2 shown]
	v_pk_mov_b32 v[34:35], v[30:31], v[30:31] op_sel:[0,1]
	v_pk_mov_b32 v[32:33], v[28:29], v[28:29] op_sel:[0,1]
	;; [unrolled: 1-line block ×16, first 2 shown]
	s_waitcnt vmcnt(0) lgkmcnt(0)
	v_pk_mov_b32 v[2:3], v[36:37], v[36:37] op_sel:[0,1]
.LBB3100_5:
	s_or_b64 exec, exec, s[2:3]
	v_or_b32_e32 v1, 0x80, v0
	v_cmp_gt_u32_e32 vcc, s18, v1
	s_and_saveexec_b64 s[2:3], vcc
	s_cbranch_execz .LBB3100_7
; %bb.6:
	v_lshlrev_b32_e32 v1, 3, v0
	v_mov_b32_e32 v5, s1
	v_add_co_u32_e32 v4, vcc, s0, v1
	v_addc_co_u32_e32 v5, vcc, 0, v5, vcc
	flat_load_dwordx2 v[6:7], v[4:5] offset:1024
.LBB3100_7:
	s_or_b64 exec, exec, s[2:3]
	v_or_b32_e32 v1, 0x100, v0
	v_cmp_gt_u32_e32 vcc, s18, v1
	s_and_saveexec_b64 s[2:3], vcc
	s_cbranch_execz .LBB3100_9
; %bb.8:
	v_lshlrev_b32_e32 v1, 3, v0
	v_mov_b32_e32 v5, s1
	v_add_co_u32_e32 v4, vcc, s0, v1
	v_addc_co_u32_e32 v5, vcc, 0, v5, vcc
	flat_load_dwordx2 v[8:9], v[4:5] offset:2048
.LBB3100_9:
	s_or_b64 exec, exec, s[2:3]
	v_or_b32_e32 v1, 0x180, v0
	v_cmp_gt_u32_e32 vcc, s18, v1
	s_and_saveexec_b64 s[2:3], vcc
	s_cbranch_execz .LBB3100_11
; %bb.10:
	v_lshlrev_b32_e32 v1, 3, v0
	v_mov_b32_e32 v5, s1
	v_add_co_u32_e32 v4, vcc, s0, v1
	v_addc_co_u32_e32 v5, vcc, 0, v5, vcc
	flat_load_dwordx2 v[10:11], v[4:5] offset:3072
.LBB3100_11:
	s_or_b64 exec, exec, s[2:3]
	v_or_b32_e32 v1, 0x200, v0
	v_cmp_gt_u32_e32 vcc, s18, v1
	s_and_saveexec_b64 s[2:3], vcc
	s_cbranch_execz .LBB3100_13
; %bb.12:
	v_lshlrev_b32_e32 v1, 3, v1
	v_mov_b32_e32 v5, s1
	v_add_co_u32_e32 v4, vcc, s0, v1
	v_addc_co_u32_e32 v5, vcc, 0, v5, vcc
	flat_load_dwordx2 v[12:13], v[4:5]
.LBB3100_13:
	s_or_b64 exec, exec, s[2:3]
	v_or_b32_e32 v1, 0x280, v0
	v_cmp_gt_u32_e32 vcc, s18, v1
	s_and_saveexec_b64 s[2:3], vcc
	s_cbranch_execz .LBB3100_15
; %bb.14:
	v_lshlrev_b32_e32 v1, 3, v1
	v_mov_b32_e32 v5, s1
	v_add_co_u32_e32 v4, vcc, s0, v1
	v_addc_co_u32_e32 v5, vcc, 0, v5, vcc
	flat_load_dwordx2 v[14:15], v[4:5]
.LBB3100_15:
	;; [unrolled: 12-line block ×6, first 2 shown]
	s_or_b64 exec, exec, s[2:3]
	v_lshlrev_b32_e32 v1, 3, v0
	s_waitcnt vmcnt(0) lgkmcnt(0)
	ds_write2st64_b64 v1, v[2:3], v[6:7] offset1:2
	ds_write2st64_b64 v1, v[8:9], v[10:11] offset0:4 offset1:6
	ds_write2st64_b64 v1, v[12:13], v[14:15] offset0:8 offset1:10
	;; [unrolled: 1-line block ×4, first 2 shown]
	s_waitcnt lgkmcnt(0)
	s_barrier
.LBB3100_24:
	v_mul_u32_u24_e32 v44, 10, v0
	v_lshlrev_b32_e32 v45, 3, v44
	s_waitcnt lgkmcnt(0)
	ds_read_b128 v[14:17], v45
	ds_read_b128 v[10:13], v45 offset:16
	ds_read_b128 v[6:9], v45 offset:32
	;; [unrolled: 1-line block ×4, first 2 shown]
	s_cmp_lg_u32 s6, 0
	s_waitcnt lgkmcnt(4)
	v_cmp_lt_f64_e32 vcc, v[14:15], v[16:17]
	v_mbcnt_lo_u32_b32 v1, -1, 0
	s_waitcnt lgkmcnt(0)
	s_barrier
	s_cbranch_scc0 .LBB3100_85
; %bb.25:
	v_cndmask_b32_e32 v23, v15, v17, vcc
	v_cndmask_b32_e32 v22, v14, v16, vcc
	v_cmp_lt_f64_e32 vcc, v[22:23], v[10:11]
	v_cndmask_b32_e32 v23, v23, v11, vcc
	v_cndmask_b32_e32 v22, v22, v10, vcc
	v_cmp_lt_f64_e32 vcc, v[22:23], v[12:13]
	;; [unrolled: 3-line block ×8, first 2 shown]
	v_mbcnt_hi_u32_b32 v33, -1, v1
	v_cndmask_b32_e32 v23, v23, v21, vcc
	v_cndmask_b32_e32 v22, v22, v20, vcc
	v_and_b32_e32 v26, 15, v33
	v_mov_b32_dpp v25, v23 row_shr:1 row_mask:0xf bank_mask:0xf
	v_mov_b32_dpp v24, v22 row_shr:1 row_mask:0xf bank_mask:0xf
	v_cmp_ne_u32_e32 vcc, 0, v26
	s_and_saveexec_b64 s[0:1], vcc
; %bb.26:
	v_cmp_gt_f64_e32 vcc, v[22:23], v[24:25]
	v_cndmask_b32_e32 v23, v25, v23, vcc
	v_cndmask_b32_e32 v22, v24, v22, vcc
; %bb.27:
	s_or_b64 exec, exec, s[0:1]
	s_nop 0
	v_mov_b32_dpp v24, v22 row_shr:2 row_mask:0xf bank_mask:0xf
	v_mov_b32_dpp v25, v23 row_shr:2 row_mask:0xf bank_mask:0xf
	v_cmp_lt_u32_e32 vcc, 1, v26
	s_and_saveexec_b64 s[0:1], vcc
; %bb.28:
	v_cmp_gt_f64_e32 vcc, v[22:23], v[24:25]
	v_cndmask_b32_e32 v23, v25, v23, vcc
	v_cndmask_b32_e32 v22, v24, v22, vcc
; %bb.29:
	s_or_b64 exec, exec, s[0:1]
	s_nop 0
	v_mov_b32_dpp v24, v22 row_shr:4 row_mask:0xf bank_mask:0xf
	v_mov_b32_dpp v25, v23 row_shr:4 row_mask:0xf bank_mask:0xf
	v_cmp_lt_u32_e32 vcc, 3, v26
	;; [unrolled: 11-line block ×3, first 2 shown]
	s_and_saveexec_b64 s[0:1], vcc
; %bb.32:
	v_cmp_gt_f64_e32 vcc, v[22:23], v[24:25]
	v_cndmask_b32_e32 v23, v25, v23, vcc
	v_cndmask_b32_e32 v22, v24, v22, vcc
; %bb.33:
	s_or_b64 exec, exec, s[0:1]
	v_and_b32_e32 v26, 16, v33
	v_mov_b32_dpp v24, v22 row_bcast:15 row_mask:0xf bank_mask:0xf
	v_mov_b32_dpp v25, v23 row_bcast:15 row_mask:0xf bank_mask:0xf
	v_cmp_ne_u32_e32 vcc, 0, v26
	s_and_saveexec_b64 s[0:1], vcc
; %bb.34:
	v_cmp_gt_f64_e32 vcc, v[22:23], v[24:25]
	v_cndmask_b32_e32 v23, v25, v23, vcc
	v_cndmask_b32_e32 v22, v24, v22, vcc
; %bb.35:
	s_or_b64 exec, exec, s[0:1]
	s_nop 0
	v_mov_b32_dpp v24, v22 row_bcast:31 row_mask:0xf bank_mask:0xf
	v_mov_b32_dpp v25, v23 row_bcast:31 row_mask:0xf bank_mask:0xf
	v_cmp_gt_f64_e32 vcc, v[22:23], v[24:25]
	v_cndmask_b32_e32 v24, v24, v22, vcc
	v_cndmask_b32_e32 v25, v25, v23, vcc
	v_cmp_lt_u32_e32 vcc, 31, v33
	v_cndmask_b32_e32 v23, v23, v25, vcc
	v_or_b32_e32 v25, 63, v0
	v_cndmask_b32_e32 v22, v22, v24, vcc
	v_lshrrev_b32_e32 v24, 6, v0
	v_cmp_eq_u32_e32 vcc, v25, v0
	s_and_saveexec_b64 s[0:1], vcc
	s_cbranch_execz .LBB3100_37
; %bb.36:
	v_lshlrev_b32_e32 v25, 3, v24
	ds_write_b64 v25, v[22:23]
.LBB3100_37:
	s_or_b64 exec, exec, s[0:1]
	v_cmp_gt_u32_e32 vcc, 2, v0
	s_waitcnt lgkmcnt(0)
	s_barrier
	s_and_saveexec_b64 s[2:3], vcc
	s_cbranch_execz .LBB3100_39
; %bb.38:
	v_lshlrev_b32_e32 v25, 3, v0
	ds_read_b64 v[26:27], v25
	v_and_b32_e32 v28, 1, v33
	v_cmp_eq_u32_e32 vcc, 0, v28
	s_waitcnt lgkmcnt(0)
	v_mov_b32_dpp v30, v27 row_shr:1 row_mask:0xf bank_mask:0xf
	v_mov_b32_dpp v28, v26 row_shr:1 row_mask:0xf bank_mask:0xf
	v_mov_b32_e32 v29, v30
	v_cmp_gt_f64_e64 s[0:1], v[26:27], v[28:29]
	s_or_b64 vcc, vcc, s[0:1]
	v_cndmask_b32_e32 v27, v30, v27, vcc
	v_cndmask_b32_e32 v26, v28, v26, vcc
	ds_write_b64 v25, v[26:27]
.LBB3100_39:
	s_or_b64 exec, exec, s[2:3]
	v_cmp_gt_u32_e32 vcc, 64, v0
	v_cmp_lt_u32_e64 s[0:1], 63, v0
	s_waitcnt lgkmcnt(0)
	s_barrier
	s_waitcnt lgkmcnt(0)
                                        ; implicit-def: $vgpr30_vgpr31
	s_and_saveexec_b64 s[2:3], s[0:1]
	s_cbranch_execz .LBB3100_41
; %bb.40:
	v_lshl_add_u32 v24, v24, 3, -8
	ds_read_b64 v[30:31], v24
	s_waitcnt lgkmcnt(0)
	v_cmp_lt_f64_e64 s[0:1], v[30:31], v[22:23]
	v_cndmask_b32_e64 v23, v31, v23, s[0:1]
	v_cndmask_b32_e64 v22, v30, v22, s[0:1]
.LBB3100_41:
	s_or_b64 exec, exec, s[2:3]
	v_add_u32_e32 v24, -1, v33
	v_and_b32_e32 v25, 64, v33
	v_cmp_lt_i32_e64 s[0:1], v24, v25
	v_cndmask_b32_e64 v24, v24, v33, s[0:1]
	v_lshlrev_b32_e32 v24, 2, v24
	ds_bpermute_b32 v38, v24, v22
	ds_bpermute_b32 v39, v24, v23
	v_cmp_eq_u32_e64 s[0:1], 0, v33
	s_and_saveexec_b64 s[14:15], vcc
	s_cbranch_execz .LBB3100_84
; %bb.42:
	v_mov_b32_e32 v25, 0
	ds_read_b64 v[22:23], v25 offset:8
	s_and_saveexec_b64 s[2:3], s[0:1]
	s_cbranch_execz .LBB3100_44
; %bb.43:
	s_add_i32 s16, s6, 64
	s_mov_b32 s17, 0
	s_lshl_b64 s[16:17], s[16:17], 4
	s_add_u32 s16, s12, s16
	s_addc_u32 s17, s13, s17
	v_mov_b32_e32 v24, 1
	v_pk_mov_b32 v[26:27], s[16:17], s[16:17] op_sel:[0,1]
	s_waitcnt lgkmcnt(0)
	;;#ASMSTART
	global_store_dwordx4 v[26:27], v[22:25] off	
s_waitcnt vmcnt(0)
	;;#ASMEND
.LBB3100_44:
	s_or_b64 exec, exec, s[2:3]
	v_xad_u32 v32, v33, -1, s6
	v_add_u32_e32 v24, 64, v32
	v_lshlrev_b64 v[26:27], 4, v[24:25]
	v_mov_b32_e32 v24, s13
	v_add_co_u32_e32 v34, vcc, s12, v26
	v_addc_co_u32_e32 v35, vcc, v24, v27, vcc
	;;#ASMSTART
	global_load_dwordx4 v[26:29], v[34:35] off glc	
s_waitcnt vmcnt(0)
	;;#ASMEND
	v_and_b32_e32 v24, 0xff, v27
	v_and_b32_e32 v29, 0xff00, v27
	v_or3_b32 v24, 0, v24, v29
	v_or3_b32 v26, v26, 0, 0
	v_and_b32_e32 v29, 0xff000000, v27
	v_and_b32_e32 v27, 0xff0000, v27
	v_or3_b32 v27, v24, v27, v29
	v_or3_b32 v26, v26, 0, 0
	v_cmp_eq_u16_sdwa s[16:17], v28, v25 src0_sel:BYTE_0 src1_sel:DWORD
	s_and_saveexec_b64 s[2:3], s[16:17]
	s_cbranch_execz .LBB3100_50
; %bb.45:
	s_mov_b32 s7, 1
	s_mov_b64 s[16:17], 0
	v_mov_b32_e32 v24, 0
.LBB3100_46:                            ; =>This Loop Header: Depth=1
                                        ;     Child Loop BB3100_47 Depth 2
	s_max_u32 s22, s7, 1
.LBB3100_47:                            ;   Parent Loop BB3100_46 Depth=1
                                        ; =>  This Inner Loop Header: Depth=2
	s_add_i32 s22, s22, -1
	s_cmp_eq_u32 s22, 0
	s_sleep 1
	s_cbranch_scc0 .LBB3100_47
; %bb.48:                               ;   in Loop: Header=BB3100_46 Depth=1
	s_cmp_lt_u32 s7, 32
	s_cselect_b64 s[22:23], -1, 0
	s_cmp_lg_u64 s[22:23], 0
	s_addc_u32 s7, s7, 0
	;;#ASMSTART
	global_load_dwordx4 v[26:29], v[34:35] off glc	
s_waitcnt vmcnt(0)
	;;#ASMEND
	v_cmp_ne_u16_sdwa s[22:23], v28, v24 src0_sel:BYTE_0 src1_sel:DWORD
	s_or_b64 s[16:17], s[22:23], s[16:17]
	s_andn2_b64 exec, exec, s[16:17]
	s_cbranch_execnz .LBB3100_46
; %bb.49:
	s_or_b64 exec, exec, s[16:17]
.LBB3100_50:
	s_or_b64 exec, exec, s[2:3]
	v_and_b32_e32 v40, 63, v33
	v_mov_b32_e32 v24, 2
	v_cmp_ne_u32_e32 vcc, 63, v40
	v_cmp_eq_u16_sdwa s[2:3], v28, v24 src0_sel:BYTE_0 src1_sel:DWORD
	v_lshlrev_b64 v[24:25], v33, -1
	v_addc_co_u32_e32 v34, vcc, 0, v33, vcc
	v_and_b32_e32 v29, s3, v25
	v_lshlrev_b32_e32 v41, 2, v34
	v_or_b32_e32 v29, 0x80000000, v29
	ds_bpermute_b32 v34, v41, v26
	ds_bpermute_b32 v35, v41, v27
	v_and_b32_e32 v36, s2, v24
	v_ffbl_b32_e32 v29, v29
	v_add_u32_e32 v29, 32, v29
	v_ffbl_b32_e32 v36, v36
	v_min_u32_e32 v29, v36, v29
	v_cmp_lt_u32_e32 vcc, v40, v29
	s_and_saveexec_b64 s[2:3], vcc
	s_cbranch_execz .LBB3100_52
; %bb.51:
	s_waitcnt lgkmcnt(0)
	v_cmp_lt_f64_e32 vcc, v[34:35], v[26:27]
	v_cndmask_b32_e32 v27, v35, v27, vcc
	v_cndmask_b32_e32 v26, v34, v26, vcc
.LBB3100_52:
	s_or_b64 exec, exec, s[2:3]
	v_cmp_gt_u32_e32 vcc, 62, v40
	s_waitcnt lgkmcnt(1)
	v_cndmask_b32_e64 v34, 0, 1, vcc
	v_lshlrev_b32_e32 v34, 1, v34
	v_add_lshl_u32 v42, v34, v33, 2
	ds_bpermute_b32 v34, v42, v26
	s_waitcnt lgkmcnt(1)
	ds_bpermute_b32 v35, v42, v27
	v_add_u32_e32 v43, 2, v40
	v_cmp_le_u32_e32 vcc, v43, v29
	s_and_saveexec_b64 s[2:3], vcc
	s_cbranch_execz .LBB3100_54
; %bb.53:
	s_waitcnt lgkmcnt(0)
	v_cmp_gt_f64_e32 vcc, v[26:27], v[34:35]
	v_cndmask_b32_e32 v27, v35, v27, vcc
	v_cndmask_b32_e32 v26, v34, v26, vcc
.LBB3100_54:
	s_or_b64 exec, exec, s[2:3]
	v_cmp_gt_u32_e32 vcc, 60, v40
	s_waitcnt lgkmcnt(1)
	v_cndmask_b32_e64 v34, 0, 1, vcc
	v_lshlrev_b32_e32 v34, 2, v34
	v_add_lshl_u32 v46, v34, v33, 2
	ds_bpermute_b32 v34, v46, v26
	s_waitcnt lgkmcnt(1)
	ds_bpermute_b32 v35, v46, v27
	v_add_u32_e32 v47, 4, v40
	v_cmp_le_u32_e32 vcc, v47, v29
	s_and_saveexec_b64 s[2:3], vcc
	s_cbranch_execz .LBB3100_56
; %bb.55:
	s_waitcnt lgkmcnt(0)
	v_cmp_gt_f64_e32 vcc, v[26:27], v[34:35]
	v_cndmask_b32_e32 v27, v35, v27, vcc
	v_cndmask_b32_e32 v26, v34, v26, vcc
.LBB3100_56:
	;; [unrolled: 19-line block ×4, first 2 shown]
	s_or_b64 exec, exec, s[2:3]
	v_cmp_gt_u32_e32 vcc, 32, v40
	s_waitcnt lgkmcnt(1)
	v_cndmask_b32_e64 v34, 0, 1, vcc
	v_lshlrev_b32_e32 v34, 5, v34
	v_add_lshl_u32 v52, v34, v33, 2
	ds_bpermute_b32 v34, v52, v27
	ds_bpermute_b32 v36, v52, v26
	v_add_u32_e32 v53, 32, v40
	v_cmp_gt_u32_e32 vcc, v53, v29
	v_mov_b32_e32 v33, 0
	s_waitcnt lgkmcnt(1)
	v_mov_b32_e32 v37, v34
	s_waitcnt lgkmcnt(0)
	v_cmp_gt_f64_e64 s[2:3], v[26:27], v[36:37]
	s_or_b64 vcc, vcc, s[2:3]
	v_cndmask_b32_e32 v27, v34, v27, vcc
	v_cndmask_b32_e32 v26, v36, v26, vcc
	v_mov_b32_e32 v54, 2
	s_branch .LBB3100_62
.LBB3100_61:                            ;   in Loop: Header=BB3100_62 Depth=1
	s_or_b64 exec, exec, s[2:3]
	s_waitcnt lgkmcnt(1)
	ds_bpermute_b32 v36, v52, v27
	ds_bpermute_b32 v56, v52, v26
	v_cmp_gt_u32_e32 vcc, v53, v29
	v_subrev_u32_e32 v32, 64, v32
	s_waitcnt lgkmcnt(1)
	v_mov_b32_e32 v57, v36
	s_waitcnt lgkmcnt(0)
	v_cmp_gt_f64_e64 s[2:3], v[26:27], v[56:57]
	s_or_b64 vcc, vcc, s[2:3]
	v_cndmask_b32_e32 v27, v36, v27, vcc
	v_cndmask_b32_e32 v26, v56, v26, vcc
	v_cmp_lt_f64_e32 vcc, v[26:27], v[34:35]
	v_cndmask_b32_e32 v27, v27, v35, vcc
	v_cndmask_b32_e32 v26, v26, v34, vcc
.LBB3100_62:                            ; =>This Loop Header: Depth=1
                                        ;     Child Loop BB3100_65 Depth 2
                                        ;       Child Loop BB3100_66 Depth 3
	v_cmp_ne_u16_sdwa s[2:3], v28, v54 src0_sel:BYTE_0 src1_sel:DWORD
	v_cndmask_b32_e64 v28, 0, 1, s[2:3]
	;;#ASMSTART
	;;#ASMEND
	v_cmp_ne_u32_e32 vcc, 0, v28
	s_cmp_lg_u64 vcc, exec
	v_pk_mov_b32 v[34:35], v[26:27], v[26:27] op_sel:[0,1]
	s_cbranch_scc1 .LBB3100_79
; %bb.63:                               ;   in Loop: Header=BB3100_62 Depth=1
	v_lshlrev_b64 v[26:27], 4, v[32:33]
	v_mov_b32_e32 v28, s13
	v_add_co_u32_e32 v36, vcc, s12, v26
	v_addc_co_u32_e32 v37, vcc, v28, v27, vcc
	;;#ASMSTART
	global_load_dwordx4 v[26:29], v[36:37] off glc	
s_waitcnt vmcnt(0)
	;;#ASMEND
	v_and_b32_e32 v29, 0xff, v27
	v_and_b32_e32 v55, 0xff00, v27
	v_or3_b32 v29, 0, v29, v55
	v_or3_b32 v26, v26, 0, 0
	v_and_b32_e32 v55, 0xff000000, v27
	v_and_b32_e32 v27, 0xff0000, v27
	v_or3_b32 v27, v29, v27, v55
	v_or3_b32 v26, v26, 0, 0
	v_cmp_eq_u16_sdwa s[16:17], v28, v33 src0_sel:BYTE_0 src1_sel:DWORD
	s_and_saveexec_b64 s[2:3], s[16:17]
	s_cbranch_execz .LBB3100_69
; %bb.64:                               ;   in Loop: Header=BB3100_62 Depth=1
	s_mov_b32 s7, 1
	s_mov_b64 s[16:17], 0
.LBB3100_65:                            ;   Parent Loop BB3100_62 Depth=1
                                        ; =>  This Loop Header: Depth=2
                                        ;       Child Loop BB3100_66 Depth 3
	s_max_u32 s22, s7, 1
.LBB3100_66:                            ;   Parent Loop BB3100_62 Depth=1
                                        ;     Parent Loop BB3100_65 Depth=2
                                        ; =>    This Inner Loop Header: Depth=3
	s_add_i32 s22, s22, -1
	s_cmp_eq_u32 s22, 0
	s_sleep 1
	s_cbranch_scc0 .LBB3100_66
; %bb.67:                               ;   in Loop: Header=BB3100_65 Depth=2
	s_cmp_lt_u32 s7, 32
	s_cselect_b64 s[22:23], -1, 0
	s_cmp_lg_u64 s[22:23], 0
	s_addc_u32 s7, s7, 0
	;;#ASMSTART
	global_load_dwordx4 v[26:29], v[36:37] off glc	
s_waitcnt vmcnt(0)
	;;#ASMEND
	v_cmp_ne_u16_sdwa s[22:23], v28, v33 src0_sel:BYTE_0 src1_sel:DWORD
	s_or_b64 s[16:17], s[22:23], s[16:17]
	s_andn2_b64 exec, exec, s[16:17]
	s_cbranch_execnz .LBB3100_65
; %bb.68:                               ;   in Loop: Header=BB3100_62 Depth=1
	s_or_b64 exec, exec, s[16:17]
.LBB3100_69:                            ;   in Loop: Header=BB3100_62 Depth=1
	s_or_b64 exec, exec, s[2:3]
	v_cmp_eq_u16_sdwa s[2:3], v28, v54 src0_sel:BYTE_0 src1_sel:DWORD
	v_and_b32_e32 v29, s3, v25
	v_or_b32_e32 v29, 0x80000000, v29
	ds_bpermute_b32 v36, v41, v26
	ds_bpermute_b32 v37, v41, v27
	v_and_b32_e32 v55, s2, v24
	v_ffbl_b32_e32 v29, v29
	v_add_u32_e32 v29, 32, v29
	v_ffbl_b32_e32 v55, v55
	v_min_u32_e32 v29, v55, v29
	v_cmp_lt_u32_e32 vcc, v40, v29
	s_and_saveexec_b64 s[2:3], vcc
	s_cbranch_execz .LBB3100_71
; %bb.70:                               ;   in Loop: Header=BB3100_62 Depth=1
	s_waitcnt lgkmcnt(0)
	v_cmp_lt_f64_e32 vcc, v[36:37], v[26:27]
	v_cndmask_b32_e32 v27, v37, v27, vcc
	v_cndmask_b32_e32 v26, v36, v26, vcc
.LBB3100_71:                            ;   in Loop: Header=BB3100_62 Depth=1
	s_or_b64 exec, exec, s[2:3]
	s_waitcnt lgkmcnt(1)
	ds_bpermute_b32 v36, v42, v26
	s_waitcnt lgkmcnt(1)
	ds_bpermute_b32 v37, v42, v27
	v_cmp_le_u32_e32 vcc, v43, v29
	s_and_saveexec_b64 s[2:3], vcc
	s_cbranch_execz .LBB3100_73
; %bb.72:                               ;   in Loop: Header=BB3100_62 Depth=1
	s_waitcnt lgkmcnt(0)
	v_cmp_gt_f64_e32 vcc, v[26:27], v[36:37]
	v_cndmask_b32_e32 v27, v37, v27, vcc
	v_cndmask_b32_e32 v26, v36, v26, vcc
.LBB3100_73:                            ;   in Loop: Header=BB3100_62 Depth=1
	s_or_b64 exec, exec, s[2:3]
	s_waitcnt lgkmcnt(1)
	ds_bpermute_b32 v36, v46, v26
	s_waitcnt lgkmcnt(1)
	ds_bpermute_b32 v37, v46, v27
	v_cmp_le_u32_e32 vcc, v47, v29
	s_and_saveexec_b64 s[2:3], vcc
	s_cbranch_execz .LBB3100_75
; %bb.74:                               ;   in Loop: Header=BB3100_62 Depth=1
	s_waitcnt lgkmcnt(0)
	v_cmp_gt_f64_e32 vcc, v[26:27], v[36:37]
	v_cndmask_b32_e32 v27, v37, v27, vcc
	v_cndmask_b32_e32 v26, v36, v26, vcc
.LBB3100_75:                            ;   in Loop: Header=BB3100_62 Depth=1
	;; [unrolled: 14-line block ×3, first 2 shown]
	s_or_b64 exec, exec, s[2:3]
	s_waitcnt lgkmcnt(1)
	ds_bpermute_b32 v36, v50, v26
	s_waitcnt lgkmcnt(1)
	ds_bpermute_b32 v37, v50, v27
	v_cmp_le_u32_e32 vcc, v51, v29
	s_and_saveexec_b64 s[2:3], vcc
	s_cbranch_execz .LBB3100_61
; %bb.78:                               ;   in Loop: Header=BB3100_62 Depth=1
	s_waitcnt lgkmcnt(0)
	v_cmp_gt_f64_e32 vcc, v[26:27], v[36:37]
	v_cndmask_b32_e32 v27, v37, v27, vcc
	v_cndmask_b32_e32 v26, v36, v26, vcc
	s_branch .LBB3100_61
.LBB3100_79:                            ;   in Loop: Header=BB3100_62 Depth=1
                                        ; implicit-def: $vgpr26_vgpr27
                                        ; implicit-def: $vgpr28
	s_cbranch_execz .LBB3100_62
; %bb.80:
	s_and_saveexec_b64 s[2:3], s[0:1]
	s_cbranch_execz .LBB3100_82
; %bb.81:
	s_add_i32 s6, s6, 64
	s_mov_b32 s7, 0
	s_lshl_b64 s[6:7], s[6:7], 4
	s_add_u32 s6, s12, s6
	v_cmp_lt_f64_e32 vcc, v[34:35], v[22:23]
	s_addc_u32 s7, s13, s7
	v_cndmask_b32_e32 v23, v35, v23, vcc
	v_cndmask_b32_e32 v22, v34, v22, vcc
	v_mov_b32_e32 v24, 2
	v_mov_b32_e32 v25, 0
	v_pk_mov_b32 v[26:27], s[6:7], s[6:7] op_sel:[0,1]
	;;#ASMSTART
	global_store_dwordx4 v[26:27], v[22:25] off	
s_waitcnt vmcnt(0)
	;;#ASMEND
.LBB3100_82:
	s_or_b64 exec, exec, s[2:3]
	v_cmp_eq_u32_e32 vcc, 0, v0
	s_and_b64 exec, exec, vcc
	s_cbranch_execz .LBB3100_84
; %bb.83:
	v_mov_b32_e32 v22, 0
	ds_write_b64 v22, v[34:35] offset:8
.LBB3100_84:
	s_or_b64 exec, exec, s[14:15]
	v_mov_b32_e32 v22, 0
	s_waitcnt lgkmcnt(0)
	s_barrier
	ds_read_b64 v[22:23], v22 offset:8
	v_cndmask_b32_e64 v25, v39, v31, s[0:1]
	v_cndmask_b32_e64 v24, v38, v30, s[0:1]
	s_waitcnt lgkmcnt(0)
	v_cmp_lt_f64_e32 vcc, v[22:23], v[24:25]
	v_cndmask_b32_e32 v24, v22, v24, vcc
	v_cndmask_b32_e32 v25, v23, v25, vcc
	v_cmp_eq_u32_e32 vcc, 0, v0
	v_cndmask_b32_e32 v23, v25, v23, vcc
	v_cndmask_b32_e32 v22, v24, v22, vcc
	v_cmp_lt_f64_e32 vcc, v[22:23], v[14:15]
	v_cndmask_b32_e32 v25, v23, v15, vcc
	v_cndmask_b32_e32 v24, v22, v14, vcc
	v_cmp_lt_f64_e32 vcc, v[24:25], v[16:17]
	;; [unrolled: 3-line block ×9, first 2 shown]
	v_cndmask_b32_e32 v41, v39, v19, vcc
	v_cndmask_b32_e32 v40, v38, v18, vcc
	s_load_dwordx8 s[0:7], s[4:5], 0x48
	s_branch .LBB3100_107
.LBB3100_85:
                                        ; implicit-def: $vgpr40_vgpr41
                                        ; implicit-def: $vgpr36_vgpr37
                                        ; implicit-def: $vgpr32_vgpr33
                                        ; implicit-def: $vgpr28_vgpr29
                                        ; implicit-def: $vgpr24_vgpr25
	s_load_dwordx8 s[0:7], s[4:5], 0x48
	s_cbranch_execz .LBB3100_107
; %bb.86:
	s_waitcnt lgkmcnt(0)
	s_cmp_eq_u64 s[4:5], 0
	v_pk_mov_b32 v[42:43], s[10:11], s[10:11] op_sel:[0,1]
	s_cbranch_scc1 .LBB3100_88
; %bb.87:
	v_mov_b32_e32 v25, s21
	v_add_co_u32_e64 v24, vcc, -8, s20
	v_mov_b32_e32 v22, 0
	v_addc_co_u32_e32 v25, vcc, -1, v25, vcc
	global_load_dwordx2 v[22:23], v22, s[0:1]
	s_nop 0
	flat_load_dwordx2 v[24:25], v[24:25]
	s_waitcnt vmcnt(0) lgkmcnt(0)
	v_cmp_lt_f64_e32 vcc, v[22:23], v[24:25]
	v_cndmask_b32_e32 v43, v23, v25, vcc
	v_cndmask_b32_e32 v42, v22, v24, vcc
.LBB3100_88:
	v_cmp_lt_f64_e32 vcc, v[14:15], v[16:17]
	v_cndmask_b32_e32 v23, v15, v17, vcc
	v_cndmask_b32_e32 v22, v14, v16, vcc
	v_cmp_lt_f64_e32 vcc, v[22:23], v[10:11]
	v_cndmask_b32_e32 v23, v23, v11, vcc
	v_cndmask_b32_e32 v22, v22, v10, vcc
	;; [unrolled: 3-line block ×8, first 2 shown]
	v_cmp_lt_f64_e32 vcc, v[22:23], v[20:21]
	v_mbcnt_hi_u32_b32 v1, -1, v1
	v_cndmask_b32_e32 v21, v23, v21, vcc
	v_cndmask_b32_e32 v20, v22, v20, vcc
	v_and_b32_e32 v24, 15, v1
	v_mov_b32_dpp v23, v21 row_shr:1 row_mask:0xf bank_mask:0xf
	v_mov_b32_dpp v22, v20 row_shr:1 row_mask:0xf bank_mask:0xf
	v_cmp_ne_u32_e32 vcc, 0, v24
	s_and_saveexec_b64 s[0:1], vcc
; %bb.89:
	v_cmp_gt_f64_e32 vcc, v[20:21], v[22:23]
	v_cndmask_b32_e32 v21, v23, v21, vcc
	v_cndmask_b32_e32 v20, v22, v20, vcc
; %bb.90:
	s_or_b64 exec, exec, s[0:1]
	s_nop 0
	v_mov_b32_dpp v22, v20 row_shr:2 row_mask:0xf bank_mask:0xf
	v_mov_b32_dpp v23, v21 row_shr:2 row_mask:0xf bank_mask:0xf
	v_cmp_lt_u32_e32 vcc, 1, v24
	s_and_saveexec_b64 s[0:1], vcc
; %bb.91:
	v_cmp_gt_f64_e32 vcc, v[20:21], v[22:23]
	v_cndmask_b32_e32 v21, v23, v21, vcc
	v_cndmask_b32_e32 v20, v22, v20, vcc
; %bb.92:
	s_or_b64 exec, exec, s[0:1]
	s_nop 0
	v_mov_b32_dpp v22, v20 row_shr:4 row_mask:0xf bank_mask:0xf
	v_mov_b32_dpp v23, v21 row_shr:4 row_mask:0xf bank_mask:0xf
	v_cmp_lt_u32_e32 vcc, 3, v24
	;; [unrolled: 11-line block ×3, first 2 shown]
	s_and_saveexec_b64 s[0:1], vcc
; %bb.95:
	v_cmp_gt_f64_e32 vcc, v[20:21], v[22:23]
	v_cndmask_b32_e32 v21, v23, v21, vcc
	v_cndmask_b32_e32 v20, v22, v20, vcc
; %bb.96:
	s_or_b64 exec, exec, s[0:1]
	v_and_b32_e32 v24, 16, v1
	v_mov_b32_dpp v22, v20 row_bcast:15 row_mask:0xf bank_mask:0xf
	v_mov_b32_dpp v23, v21 row_bcast:15 row_mask:0xf bank_mask:0xf
	v_cmp_ne_u32_e32 vcc, 0, v24
	s_and_saveexec_b64 s[0:1], vcc
; %bb.97:
	v_cmp_gt_f64_e32 vcc, v[20:21], v[22:23]
	v_cndmask_b32_e32 v21, v23, v21, vcc
	v_cndmask_b32_e32 v20, v22, v20, vcc
; %bb.98:
	s_or_b64 exec, exec, s[0:1]
	s_nop 0
	v_mov_b32_dpp v22, v20 row_bcast:31 row_mask:0xf bank_mask:0xf
	v_mov_b32_dpp v23, v21 row_bcast:31 row_mask:0xf bank_mask:0xf
	v_cmp_gt_f64_e32 vcc, v[20:21], v[22:23]
	v_cndmask_b32_e32 v22, v22, v20, vcc
	v_cndmask_b32_e32 v23, v23, v21, vcc
	v_cmp_lt_u32_e32 vcc, 31, v1
	v_cndmask_b32_e32 v20, v20, v22, vcc
	v_or_b32_e32 v22, 63, v0
	v_cndmask_b32_e32 v21, v21, v23, vcc
	v_lshrrev_b32_e32 v24, 6, v0
	v_cmp_eq_u32_e32 vcc, v22, v0
	s_and_saveexec_b64 s[0:1], vcc
	s_cbranch_execz .LBB3100_100
; %bb.99:
	v_lshlrev_b32_e32 v22, 3, v24
	ds_write_b64 v22, v[20:21]
.LBB3100_100:
	s_or_b64 exec, exec, s[0:1]
	v_cmp_gt_u32_e32 vcc, 2, v0
	s_waitcnt lgkmcnt(0)
	s_barrier
	s_and_saveexec_b64 s[4:5], vcc
	s_cbranch_execz .LBB3100_102
; %bb.101:
	s_movk_i32 s0, 0xffb8
	v_mad_i32_i24 v25, v0, s0, v45
	ds_read_b64 v[22:23], v25
	v_and_b32_e32 v26, 1, v1
	v_cmp_eq_u32_e32 vcc, 0, v26
	s_waitcnt lgkmcnt(0)
	v_mov_b32_dpp v28, v23 row_shr:1 row_mask:0xf bank_mask:0xf
	v_mov_b32_dpp v26, v22 row_shr:1 row_mask:0xf bank_mask:0xf
	v_mov_b32_e32 v27, v28
	v_cmp_gt_f64_e64 s[0:1], v[22:23], v[26:27]
	s_or_b64 vcc, vcc, s[0:1]
	v_cndmask_b32_e32 v23, v28, v23, vcc
	v_cndmask_b32_e32 v22, v26, v22, vcc
	ds_write_b64 v25, v[22:23]
.LBB3100_102:
	s_or_b64 exec, exec, s[4:5]
	v_cmp_lt_u32_e32 vcc, 63, v0
	v_pk_mov_b32 v[22:23], v[42:43], v[42:43] op_sel:[0,1]
	s_waitcnt lgkmcnt(0)
	s_barrier
	s_and_saveexec_b64 s[0:1], vcc
	s_cbranch_execz .LBB3100_104
; %bb.103:
	v_lshl_add_u32 v22, v24, 3, -8
	ds_read_b64 v[22:23], v22
	s_waitcnt lgkmcnt(0)
	v_cmp_gt_f64_e32 vcc, v[22:23], v[42:43]
	v_cndmask_b32_e32 v23, v43, v23, vcc
	v_cndmask_b32_e32 v22, v42, v22, vcc
.LBB3100_104:
	s_or_b64 exec, exec, s[0:1]
	v_cmp_lt_f64_e32 vcc, v[22:23], v[20:21]
	v_add_u32_e32 v24, -1, v1
	v_and_b32_e32 v25, 64, v1
	v_cndmask_b32_e32 v21, v23, v21, vcc
	v_cndmask_b32_e32 v20, v22, v20, vcc
	v_cmp_lt_i32_e32 vcc, v24, v25
	v_cndmask_b32_e32 v24, v24, v1, vcc
	v_lshlrev_b32_e32 v24, 2, v24
	ds_bpermute_b32 v20, v24, v20
	ds_bpermute_b32 v21, v24, v21
	v_cmp_eq_u32_e32 vcc, 0, v1
	s_waitcnt lgkmcnt(1)
	v_cndmask_b32_e32 v1, v20, v22, vcc
	s_waitcnt lgkmcnt(0)
	v_cndmask_b32_e32 v20, v21, v23, vcc
	v_cmp_eq_u32_e32 vcc, 0, v0
	v_cndmask_b32_e32 v23, v20, v43, vcc
	v_cndmask_b32_e32 v22, v1, v42, vcc
	v_cmp_lt_f64_e64 s[0:1], v[22:23], v[14:15]
	v_cndmask_b32_e64 v25, v23, v15, s[0:1]
	v_cndmask_b32_e64 v24, v22, v14, s[0:1]
	v_cmp_lt_f64_e64 s[0:1], v[24:25], v[16:17]
	v_cndmask_b32_e64 v27, v25, v17, s[0:1]
	v_cndmask_b32_e64 v26, v24, v16, s[0:1]
	;; [unrolled: 3-line block ×9, first 2 shown]
	s_and_saveexec_b64 s[0:1], vcc
	s_cbranch_execz .LBB3100_106
; %bb.105:
	v_mov_b32_e32 v5, 0
	ds_read_b64 v[2:3], v5 offset:8
	s_add_u32 s4, s12, 0x400
	s_addc_u32 s5, s13, 0
	v_mov_b32_e32 v4, 2
	v_pk_mov_b32 v[6:7], s[4:5], s[4:5] op_sel:[0,1]
	s_waitcnt lgkmcnt(0)
	v_cmp_gt_f64_e32 vcc, v[2:3], v[42:43]
	v_cndmask_b32_e32 v3, v43, v3, vcc
	v_cndmask_b32_e32 v2, v42, v2, vcc
	;;#ASMSTART
	global_store_dwordx4 v[6:7], v[2:5] off	
s_waitcnt vmcnt(0)
	;;#ASMEND
.LBB3100_106:
	s_or_b64 exec, exec, s[0:1]
.LBB3100_107:
	s_waitcnt lgkmcnt(0)
	s_mov_b64 s[0:1], -1
	s_and_b64 vcc, exec, s[8:9]
	s_barrier
	ds_write_b128 v45, v[22:25]
	ds_write_b128 v45, v[26:29] offset:16
	ds_write_b128 v45, v[30:33] offset:32
	;; [unrolled: 1-line block ×4, first 2 shown]
	s_waitcnt lgkmcnt(0)
	s_cbranch_vccz .LBB3100_109
; %bb.108:
	s_barrier
	s_mov_b64 s[0:1], 0
.LBB3100_109:
	s_andn2_b64 vcc, exec, s[0:1]
	s_cbranch_vccnz .LBB3100_145
; %bb.110:
	v_cmp_lt_u64_e64 s[0:1], s[6:7], 2
	s_and_b64 vcc, exec, s[0:1]
	s_barrier
	s_cbranch_vccnz .LBB3100_145
; %bb.111:
	s_add_u32 s0, s18, -1
	s_addc_u32 s1, s19, -1
	s_add_u32 s4, 0, 0x99986000
	s_addc_u32 s5, 0, 0x59
	s_add_i32 s5, s5, 0x19999940
	s_mul_hi_u32 s9, s4, -10
	s_sub_i32 s9, s9, s4
	s_mul_i32 s10, s5, -10
	s_mul_i32 s6, s4, -10
	s_add_i32 s9, s9, s10
	s_mul_hi_u32 s7, s5, s6
	s_mul_i32 s8, s5, s6
	s_mul_i32 s11, s4, s9
	s_mul_hi_u32 s6, s4, s6
	s_mul_hi_u32 s10, s4, s9
	s_add_u32 s6, s6, s11
	s_addc_u32 s10, 0, s10
	s_add_u32 s6, s6, s8
	s_mul_hi_u32 s11, s5, s9
	s_addc_u32 s6, s10, s7
	s_addc_u32 s7, s11, 0
	s_mul_i32 s8, s5, s9
	s_add_u32 s6, s6, s8
	v_mov_b32_e32 v2, s6
	s_addc_u32 s7, 0, s7
	v_add_co_u32_e32 v2, vcc, s4, v2
	s_cmp_lg_u64 vcc, 0
	s_addc_u32 s4, s5, s7
	v_readfirstlane_b32 s7, v2
	s_mul_i32 s6, s0, s4
	s_mul_hi_u32 s8, s0, s7
	s_mul_hi_u32 s5, s0, s4
	s_add_u32 s6, s8, s6
	s_addc_u32 s5, 0, s5
	s_mul_hi_u32 s9, s1, s7
	s_mul_i32 s7, s1, s7
	s_add_u32 s6, s6, s7
	s_mul_hi_u32 s8, s1, s4
	s_addc_u32 s5, s5, s9
	s_addc_u32 s6, s8, 0
	s_mul_i32 s4, s1, s4
	s_add_u32 s4, s5, s4
	s_addc_u32 s5, 0, s6
	s_add_u32 s6, s4, 1
	s_addc_u32 s7, s5, 0
	s_add_u32 s8, s4, 2
	s_mul_i32 s10, s5, 10
	s_mul_hi_u32 s11, s4, 10
	s_addc_u32 s9, s5, 0
	s_add_i32 s11, s11, s10
	s_mul_i32 s10, s4, 10
	v_mov_b32_e32 v2, s10
	v_sub_co_u32_e32 v2, vcc, s0, v2
	s_cmp_lg_u64 vcc, 0
	s_subb_u32 s10, s1, s11
	v_subrev_co_u32_e32 v3, vcc, 10, v2
	s_cmp_lg_u64 vcc, 0
	s_subb_u32 s11, s10, 0
	v_readfirstlane_b32 s12, v3
	s_cmp_gt_u32 s12, 9
	s_cselect_b32 s12, -1, 0
	s_cmp_eq_u32 s11, 0
	s_cselect_b32 s11, s12, -1
	s_cmp_lg_u32 s11, 0
	s_cselect_b32 s6, s8, s6
	v_readfirstlane_b32 s8, v2
	s_cselect_b32 s7, s9, s7
	s_cmp_gt_u32 s8, 9
	s_cselect_b32 s8, -1, 0
	s_cmp_eq_u32 s10, 0
	s_cselect_b32 s8, s8, -1
	s_cmp_lg_u32 s8, 0
	v_mov_b32_e32 v1, 0
	s_cselect_b32 s5, s7, s5
	s_cselect_b32 s4, s6, s4
	v_cmp_eq_u64_e32 vcc, s[4:5], v[0:1]
	s_and_saveexec_b64 s[4:5], vcc
	s_cbranch_execz .LBB3100_145
; %bb.112:
	s_movk_i32 s4, 0xffb8
	v_mad_i32_i24 v2, v0, s4, v45
	v_mul_hi_u32_u24_e32 v1, 10, v0
	v_mov_b32_e32 v3, s1
	v_sub_co_u32_e32 v0, vcc, s0, v44
	v_subb_co_u32_e32 v1, vcc, v3, v1, vcc
	v_cmp_lt_i64_e32 vcc, 4, v[0:1]
	s_and_saveexec_b64 s[0:1], vcc
	s_xor_b64 s[0:1], exec, s[0:1]
	s_cbranch_execz .LBB3100_130
; %bb.113:
	v_cmp_lt_i64_e32 vcc, 6, v[0:1]
	s_and_saveexec_b64 s[4:5], vcc
	s_xor_b64 s[4:5], exec, s[4:5]
	s_cbranch_execz .LBB3100_123
; %bb.114:
	;; [unrolled: 5-line block ×4, first 2 shown]
	ds_read_b64 v[0:1], v2 offset:9216
	v_mov_b32_e32 v2, 0
	s_waitcnt lgkmcnt(0)
	global_store_dwordx2 v2, v[0:1], s[2:3]
                                        ; implicit-def: $vgpr2
.LBB3100_117:
	s_andn2_saveexec_b64 s[8:9], s[8:9]
	s_cbranch_execz .LBB3100_119
; %bb.118:
	ds_read_b64 v[0:1], v2 offset:8192
	v_mov_b32_e32 v2, 0
	s_waitcnt lgkmcnt(0)
	global_store_dwordx2 v2, v[0:1], s[2:3]
.LBB3100_119:
	s_or_b64 exec, exec, s[8:9]
                                        ; implicit-def: $vgpr2
.LBB3100_120:
	s_andn2_saveexec_b64 s[6:7], s[6:7]
	s_cbranch_execz .LBB3100_122
; %bb.121:
	ds_read_b64 v[0:1], v2 offset:7168
	v_mov_b32_e32 v2, 0
	s_waitcnt lgkmcnt(0)
	global_store_dwordx2 v2, v[0:1], s[2:3]
.LBB3100_122:
	s_or_b64 exec, exec, s[6:7]
                                        ; implicit-def: $vgpr2
                                        ; implicit-def: $vgpr0_vgpr1
.LBB3100_123:
	s_andn2_saveexec_b64 s[4:5], s[4:5]
	s_cbranch_execz .LBB3100_129
; %bb.124:
	v_cmp_lt_i64_e32 vcc, 5, v[0:1]
	s_and_saveexec_b64 s[6:7], vcc
	s_xor_b64 s[6:7], exec, s[6:7]
	s_cbranch_execz .LBB3100_126
; %bb.125:
	ds_read_b64 v[0:1], v2 offset:6144
	v_mov_b32_e32 v2, 0
	s_waitcnt lgkmcnt(0)
	global_store_dwordx2 v2, v[0:1], s[2:3]
                                        ; implicit-def: $vgpr2
.LBB3100_126:
	s_andn2_saveexec_b64 s[6:7], s[6:7]
	s_cbranch_execz .LBB3100_128
; %bb.127:
	ds_read_b64 v[0:1], v2 offset:5120
	v_mov_b32_e32 v2, 0
	s_waitcnt lgkmcnt(0)
	global_store_dwordx2 v2, v[0:1], s[2:3]
.LBB3100_128:
	s_or_b64 exec, exec, s[6:7]
.LBB3100_129:
	s_or_b64 exec, exec, s[4:5]
                                        ; implicit-def: $vgpr0_vgpr1
                                        ; implicit-def: $vgpr2
.LBB3100_130:
	s_andn2_saveexec_b64 s[0:1], s[0:1]
	s_cbranch_execz .LBB3100_145
; %bb.131:
	v_cmp_lt_i64_e32 vcc, 2, v[0:1]
	s_and_saveexec_b64 s[0:1], vcc
	s_xor_b64 s[0:1], exec, s[0:1]
	s_cbranch_execz .LBB3100_137
; %bb.132:
	v_cmp_lt_i64_e32 vcc, 3, v[0:1]
	s_and_saveexec_b64 s[4:5], vcc
	s_xor_b64 s[4:5], exec, s[4:5]
	s_cbranch_execz .LBB3100_134
; %bb.133:
	ds_read_b64 v[0:1], v2 offset:4096
	v_mov_b32_e32 v2, 0
	s_waitcnt lgkmcnt(0)
	global_store_dwordx2 v2, v[0:1], s[2:3]
                                        ; implicit-def: $vgpr2
.LBB3100_134:
	s_andn2_saveexec_b64 s[4:5], s[4:5]
	s_cbranch_execz .LBB3100_136
; %bb.135:
	ds_read_b64 v[0:1], v2 offset:3072
	v_mov_b32_e32 v2, 0
	s_waitcnt lgkmcnt(0)
	global_store_dwordx2 v2, v[0:1], s[2:3]
.LBB3100_136:
	s_or_b64 exec, exec, s[4:5]
                                        ; implicit-def: $vgpr0_vgpr1
                                        ; implicit-def: $vgpr2
.LBB3100_137:
	s_andn2_saveexec_b64 s[0:1], s[0:1]
	s_cbranch_execz .LBB3100_145
; %bb.138:
	v_cmp_lt_i64_e32 vcc, 1, v[0:1]
	s_and_saveexec_b64 s[0:1], vcc
	s_xor_b64 s[0:1], exec, s[0:1]
	s_cbranch_execz .LBB3100_140
; %bb.139:
	ds_read_b64 v[0:1], v2 offset:2048
	v_mov_b32_e32 v2, 0
	s_waitcnt lgkmcnt(0)
	global_store_dwordx2 v2, v[0:1], s[2:3]
                                        ; implicit-def: $vgpr2
                                        ; implicit-def: $vgpr0_vgpr1
.LBB3100_140:
	s_andn2_saveexec_b64 s[0:1], s[0:1]
	s_cbranch_execz .LBB3100_145
; %bb.141:
	v_cmp_ne_u64_e32 vcc, 1, v[0:1]
	s_and_saveexec_b64 s[0:1], vcc
	s_xor_b64 s[0:1], exec, s[0:1]
	s_cbranch_execz .LBB3100_143
; %bb.142:
	ds_read_b64 v[0:1], v2
	v_mov_b32_e32 v2, 0
	s_waitcnt lgkmcnt(0)
	global_store_dwordx2 v2, v[0:1], s[2:3]
                                        ; implicit-def: $vgpr2
.LBB3100_143:
	s_andn2_saveexec_b64 s[0:1], s[0:1]
	s_cbranch_execz .LBB3100_145
; %bb.144:
	ds_read_b64 v[0:1], v2 offset:1024
	v_mov_b32_e32 v2, 0
	s_waitcnt lgkmcnt(0)
	global_store_dwordx2 v2, v[0:1], s[2:3]
.LBB3100_145:
	s_endpgm
	.section	.rodata,"a",@progbits
	.p2align	6, 0x0
	.amdhsa_kernel _ZN7rocprim17ROCPRIM_400000_NS6detail17trampoline_kernelINS0_14default_configENS1_20scan_config_selectorIdEEZZNS1_9scan_implILNS1_25lookback_scan_determinismE0ELb1ELb1ES3_N6thrust23THRUST_200600_302600_NS6detail15normal_iteratorINS9_10device_ptrIdEEEENS9_16discard_iteratorINS9_11use_defaultEEEd11max_functorIdEdEEDaPvRmT3_T4_T5_mT6_P12ihipStream_tbENKUlT_T0_E_clISt17integral_constantIbLb1EESW_IbLb0EEEEDaSS_ST_EUlSS_E_NS1_11comp_targetILNS1_3genE4ELNS1_11target_archE910ELNS1_3gpuE8ELNS1_3repE0EEENS1_30default_config_static_selectorELNS0_4arch9wavefront6targetE1EEEvT1_
		.amdhsa_group_segment_fixed_size 10240
		.amdhsa_private_segment_fixed_size 0
		.amdhsa_kernarg_size 112
		.amdhsa_user_sgpr_count 6
		.amdhsa_user_sgpr_private_segment_buffer 1
		.amdhsa_user_sgpr_dispatch_ptr 0
		.amdhsa_user_sgpr_queue_ptr 0
		.amdhsa_user_sgpr_kernarg_segment_ptr 1
		.amdhsa_user_sgpr_dispatch_id 0
		.amdhsa_user_sgpr_flat_scratch_init 0
		.amdhsa_user_sgpr_kernarg_preload_length 0
		.amdhsa_user_sgpr_kernarg_preload_offset 0
		.amdhsa_user_sgpr_private_segment_size 0
		.amdhsa_uses_dynamic_stack 0
		.amdhsa_system_sgpr_private_segment_wavefront_offset 0
		.amdhsa_system_sgpr_workgroup_id_x 1
		.amdhsa_system_sgpr_workgroup_id_y 0
		.amdhsa_system_sgpr_workgroup_id_z 0
		.amdhsa_system_sgpr_workgroup_info 0
		.amdhsa_system_vgpr_workitem_id 0
		.amdhsa_next_free_vgpr 58
		.amdhsa_next_free_sgpr 24
		.amdhsa_accum_offset 60
		.amdhsa_reserve_vcc 1
		.amdhsa_reserve_flat_scratch 0
		.amdhsa_float_round_mode_32 0
		.amdhsa_float_round_mode_16_64 0
		.amdhsa_float_denorm_mode_32 3
		.amdhsa_float_denorm_mode_16_64 3
		.amdhsa_dx10_clamp 1
		.amdhsa_ieee_mode 1
		.amdhsa_fp16_overflow 0
		.amdhsa_tg_split 0
		.amdhsa_exception_fp_ieee_invalid_op 0
		.amdhsa_exception_fp_denorm_src 0
		.amdhsa_exception_fp_ieee_div_zero 0
		.amdhsa_exception_fp_ieee_overflow 0
		.amdhsa_exception_fp_ieee_underflow 0
		.amdhsa_exception_fp_ieee_inexact 0
		.amdhsa_exception_int_div_zero 0
	.end_amdhsa_kernel
	.section	.text._ZN7rocprim17ROCPRIM_400000_NS6detail17trampoline_kernelINS0_14default_configENS1_20scan_config_selectorIdEEZZNS1_9scan_implILNS1_25lookback_scan_determinismE0ELb1ELb1ES3_N6thrust23THRUST_200600_302600_NS6detail15normal_iteratorINS9_10device_ptrIdEEEENS9_16discard_iteratorINS9_11use_defaultEEEd11max_functorIdEdEEDaPvRmT3_T4_T5_mT6_P12ihipStream_tbENKUlT_T0_E_clISt17integral_constantIbLb1EESW_IbLb0EEEEDaSS_ST_EUlSS_E_NS1_11comp_targetILNS1_3genE4ELNS1_11target_archE910ELNS1_3gpuE8ELNS1_3repE0EEENS1_30default_config_static_selectorELNS0_4arch9wavefront6targetE1EEEvT1_,"axG",@progbits,_ZN7rocprim17ROCPRIM_400000_NS6detail17trampoline_kernelINS0_14default_configENS1_20scan_config_selectorIdEEZZNS1_9scan_implILNS1_25lookback_scan_determinismE0ELb1ELb1ES3_N6thrust23THRUST_200600_302600_NS6detail15normal_iteratorINS9_10device_ptrIdEEEENS9_16discard_iteratorINS9_11use_defaultEEEd11max_functorIdEdEEDaPvRmT3_T4_T5_mT6_P12ihipStream_tbENKUlT_T0_E_clISt17integral_constantIbLb1EESW_IbLb0EEEEDaSS_ST_EUlSS_E_NS1_11comp_targetILNS1_3genE4ELNS1_11target_archE910ELNS1_3gpuE8ELNS1_3repE0EEENS1_30default_config_static_selectorELNS0_4arch9wavefront6targetE1EEEvT1_,comdat
.Lfunc_end3100:
	.size	_ZN7rocprim17ROCPRIM_400000_NS6detail17trampoline_kernelINS0_14default_configENS1_20scan_config_selectorIdEEZZNS1_9scan_implILNS1_25lookback_scan_determinismE0ELb1ELb1ES3_N6thrust23THRUST_200600_302600_NS6detail15normal_iteratorINS9_10device_ptrIdEEEENS9_16discard_iteratorINS9_11use_defaultEEEd11max_functorIdEdEEDaPvRmT3_T4_T5_mT6_P12ihipStream_tbENKUlT_T0_E_clISt17integral_constantIbLb1EESW_IbLb0EEEEDaSS_ST_EUlSS_E_NS1_11comp_targetILNS1_3genE4ELNS1_11target_archE910ELNS1_3gpuE8ELNS1_3repE0EEENS1_30default_config_static_selectorELNS0_4arch9wavefront6targetE1EEEvT1_, .Lfunc_end3100-_ZN7rocprim17ROCPRIM_400000_NS6detail17trampoline_kernelINS0_14default_configENS1_20scan_config_selectorIdEEZZNS1_9scan_implILNS1_25lookback_scan_determinismE0ELb1ELb1ES3_N6thrust23THRUST_200600_302600_NS6detail15normal_iteratorINS9_10device_ptrIdEEEENS9_16discard_iteratorINS9_11use_defaultEEEd11max_functorIdEdEEDaPvRmT3_T4_T5_mT6_P12ihipStream_tbENKUlT_T0_E_clISt17integral_constantIbLb1EESW_IbLb0EEEEDaSS_ST_EUlSS_E_NS1_11comp_targetILNS1_3genE4ELNS1_11target_archE910ELNS1_3gpuE8ELNS1_3repE0EEENS1_30default_config_static_selectorELNS0_4arch9wavefront6targetE1EEEvT1_
                                        ; -- End function
	.section	.AMDGPU.csdata,"",@progbits
; Kernel info:
; codeLenInByte = 5720
; NumSgprs: 28
; NumVgprs: 58
; NumAgprs: 0
; TotalNumVgprs: 58
; ScratchSize: 0
; MemoryBound: 0
; FloatMode: 240
; IeeeMode: 1
; LDSByteSize: 10240 bytes/workgroup (compile time only)
; SGPRBlocks: 3
; VGPRBlocks: 7
; NumSGPRsForWavesPerEU: 28
; NumVGPRsForWavesPerEU: 58
; AccumOffset: 60
; Occupancy: 3
; WaveLimiterHint : 1
; COMPUTE_PGM_RSRC2:SCRATCH_EN: 0
; COMPUTE_PGM_RSRC2:USER_SGPR: 6
; COMPUTE_PGM_RSRC2:TRAP_HANDLER: 0
; COMPUTE_PGM_RSRC2:TGID_X_EN: 1
; COMPUTE_PGM_RSRC2:TGID_Y_EN: 0
; COMPUTE_PGM_RSRC2:TGID_Z_EN: 0
; COMPUTE_PGM_RSRC2:TIDIG_COMP_CNT: 0
; COMPUTE_PGM_RSRC3_GFX90A:ACCUM_OFFSET: 14
; COMPUTE_PGM_RSRC3_GFX90A:TG_SPLIT: 0
	.section	.text._ZN7rocprim17ROCPRIM_400000_NS6detail17trampoline_kernelINS0_14default_configENS1_20scan_config_selectorIdEEZZNS1_9scan_implILNS1_25lookback_scan_determinismE0ELb1ELb1ES3_N6thrust23THRUST_200600_302600_NS6detail15normal_iteratorINS9_10device_ptrIdEEEENS9_16discard_iteratorINS9_11use_defaultEEEd11max_functorIdEdEEDaPvRmT3_T4_T5_mT6_P12ihipStream_tbENKUlT_T0_E_clISt17integral_constantIbLb1EESW_IbLb0EEEEDaSS_ST_EUlSS_E_NS1_11comp_targetILNS1_3genE3ELNS1_11target_archE908ELNS1_3gpuE7ELNS1_3repE0EEENS1_30default_config_static_selectorELNS0_4arch9wavefront6targetE1EEEvT1_,"axG",@progbits,_ZN7rocprim17ROCPRIM_400000_NS6detail17trampoline_kernelINS0_14default_configENS1_20scan_config_selectorIdEEZZNS1_9scan_implILNS1_25lookback_scan_determinismE0ELb1ELb1ES3_N6thrust23THRUST_200600_302600_NS6detail15normal_iteratorINS9_10device_ptrIdEEEENS9_16discard_iteratorINS9_11use_defaultEEEd11max_functorIdEdEEDaPvRmT3_T4_T5_mT6_P12ihipStream_tbENKUlT_T0_E_clISt17integral_constantIbLb1EESW_IbLb0EEEEDaSS_ST_EUlSS_E_NS1_11comp_targetILNS1_3genE3ELNS1_11target_archE908ELNS1_3gpuE7ELNS1_3repE0EEENS1_30default_config_static_selectorELNS0_4arch9wavefront6targetE1EEEvT1_,comdat
	.protected	_ZN7rocprim17ROCPRIM_400000_NS6detail17trampoline_kernelINS0_14default_configENS1_20scan_config_selectorIdEEZZNS1_9scan_implILNS1_25lookback_scan_determinismE0ELb1ELb1ES3_N6thrust23THRUST_200600_302600_NS6detail15normal_iteratorINS9_10device_ptrIdEEEENS9_16discard_iteratorINS9_11use_defaultEEEd11max_functorIdEdEEDaPvRmT3_T4_T5_mT6_P12ihipStream_tbENKUlT_T0_E_clISt17integral_constantIbLb1EESW_IbLb0EEEEDaSS_ST_EUlSS_E_NS1_11comp_targetILNS1_3genE3ELNS1_11target_archE908ELNS1_3gpuE7ELNS1_3repE0EEENS1_30default_config_static_selectorELNS0_4arch9wavefront6targetE1EEEvT1_ ; -- Begin function _ZN7rocprim17ROCPRIM_400000_NS6detail17trampoline_kernelINS0_14default_configENS1_20scan_config_selectorIdEEZZNS1_9scan_implILNS1_25lookback_scan_determinismE0ELb1ELb1ES3_N6thrust23THRUST_200600_302600_NS6detail15normal_iteratorINS9_10device_ptrIdEEEENS9_16discard_iteratorINS9_11use_defaultEEEd11max_functorIdEdEEDaPvRmT3_T4_T5_mT6_P12ihipStream_tbENKUlT_T0_E_clISt17integral_constantIbLb1EESW_IbLb0EEEEDaSS_ST_EUlSS_E_NS1_11comp_targetILNS1_3genE3ELNS1_11target_archE908ELNS1_3gpuE7ELNS1_3repE0EEENS1_30default_config_static_selectorELNS0_4arch9wavefront6targetE1EEEvT1_
	.globl	_ZN7rocprim17ROCPRIM_400000_NS6detail17trampoline_kernelINS0_14default_configENS1_20scan_config_selectorIdEEZZNS1_9scan_implILNS1_25lookback_scan_determinismE0ELb1ELb1ES3_N6thrust23THRUST_200600_302600_NS6detail15normal_iteratorINS9_10device_ptrIdEEEENS9_16discard_iteratorINS9_11use_defaultEEEd11max_functorIdEdEEDaPvRmT3_T4_T5_mT6_P12ihipStream_tbENKUlT_T0_E_clISt17integral_constantIbLb1EESW_IbLb0EEEEDaSS_ST_EUlSS_E_NS1_11comp_targetILNS1_3genE3ELNS1_11target_archE908ELNS1_3gpuE7ELNS1_3repE0EEENS1_30default_config_static_selectorELNS0_4arch9wavefront6targetE1EEEvT1_
	.p2align	8
	.type	_ZN7rocprim17ROCPRIM_400000_NS6detail17trampoline_kernelINS0_14default_configENS1_20scan_config_selectorIdEEZZNS1_9scan_implILNS1_25lookback_scan_determinismE0ELb1ELb1ES3_N6thrust23THRUST_200600_302600_NS6detail15normal_iteratorINS9_10device_ptrIdEEEENS9_16discard_iteratorINS9_11use_defaultEEEd11max_functorIdEdEEDaPvRmT3_T4_T5_mT6_P12ihipStream_tbENKUlT_T0_E_clISt17integral_constantIbLb1EESW_IbLb0EEEEDaSS_ST_EUlSS_E_NS1_11comp_targetILNS1_3genE3ELNS1_11target_archE908ELNS1_3gpuE7ELNS1_3repE0EEENS1_30default_config_static_selectorELNS0_4arch9wavefront6targetE1EEEvT1_,@function
_ZN7rocprim17ROCPRIM_400000_NS6detail17trampoline_kernelINS0_14default_configENS1_20scan_config_selectorIdEEZZNS1_9scan_implILNS1_25lookback_scan_determinismE0ELb1ELb1ES3_N6thrust23THRUST_200600_302600_NS6detail15normal_iteratorINS9_10device_ptrIdEEEENS9_16discard_iteratorINS9_11use_defaultEEEd11max_functorIdEdEEDaPvRmT3_T4_T5_mT6_P12ihipStream_tbENKUlT_T0_E_clISt17integral_constantIbLb1EESW_IbLb0EEEEDaSS_ST_EUlSS_E_NS1_11comp_targetILNS1_3genE3ELNS1_11target_archE908ELNS1_3gpuE7ELNS1_3repE0EEENS1_30default_config_static_selectorELNS0_4arch9wavefront6targetE1EEEvT1_: ; @_ZN7rocprim17ROCPRIM_400000_NS6detail17trampoline_kernelINS0_14default_configENS1_20scan_config_selectorIdEEZZNS1_9scan_implILNS1_25lookback_scan_determinismE0ELb1ELb1ES3_N6thrust23THRUST_200600_302600_NS6detail15normal_iteratorINS9_10device_ptrIdEEEENS9_16discard_iteratorINS9_11use_defaultEEEd11max_functorIdEdEEDaPvRmT3_T4_T5_mT6_P12ihipStream_tbENKUlT_T0_E_clISt17integral_constantIbLb1EESW_IbLb0EEEEDaSS_ST_EUlSS_E_NS1_11comp_targetILNS1_3genE3ELNS1_11target_archE908ELNS1_3gpuE7ELNS1_3repE0EEENS1_30default_config_static_selectorELNS0_4arch9wavefront6targetE1EEEvT1_
; %bb.0:
	.section	.rodata,"a",@progbits
	.p2align	6, 0x0
	.amdhsa_kernel _ZN7rocprim17ROCPRIM_400000_NS6detail17trampoline_kernelINS0_14default_configENS1_20scan_config_selectorIdEEZZNS1_9scan_implILNS1_25lookback_scan_determinismE0ELb1ELb1ES3_N6thrust23THRUST_200600_302600_NS6detail15normal_iteratorINS9_10device_ptrIdEEEENS9_16discard_iteratorINS9_11use_defaultEEEd11max_functorIdEdEEDaPvRmT3_T4_T5_mT6_P12ihipStream_tbENKUlT_T0_E_clISt17integral_constantIbLb1EESW_IbLb0EEEEDaSS_ST_EUlSS_E_NS1_11comp_targetILNS1_3genE3ELNS1_11target_archE908ELNS1_3gpuE7ELNS1_3repE0EEENS1_30default_config_static_selectorELNS0_4arch9wavefront6targetE1EEEvT1_
		.amdhsa_group_segment_fixed_size 0
		.amdhsa_private_segment_fixed_size 0
		.amdhsa_kernarg_size 112
		.amdhsa_user_sgpr_count 6
		.amdhsa_user_sgpr_private_segment_buffer 1
		.amdhsa_user_sgpr_dispatch_ptr 0
		.amdhsa_user_sgpr_queue_ptr 0
		.amdhsa_user_sgpr_kernarg_segment_ptr 1
		.amdhsa_user_sgpr_dispatch_id 0
		.amdhsa_user_sgpr_flat_scratch_init 0
		.amdhsa_user_sgpr_kernarg_preload_length 0
		.amdhsa_user_sgpr_kernarg_preload_offset 0
		.amdhsa_user_sgpr_private_segment_size 0
		.amdhsa_uses_dynamic_stack 0
		.amdhsa_system_sgpr_private_segment_wavefront_offset 0
		.amdhsa_system_sgpr_workgroup_id_x 1
		.amdhsa_system_sgpr_workgroup_id_y 0
		.amdhsa_system_sgpr_workgroup_id_z 0
		.amdhsa_system_sgpr_workgroup_info 0
		.amdhsa_system_vgpr_workitem_id 0
		.amdhsa_next_free_vgpr 1
		.amdhsa_next_free_sgpr 0
		.amdhsa_accum_offset 4
		.amdhsa_reserve_vcc 0
		.amdhsa_reserve_flat_scratch 0
		.amdhsa_float_round_mode_32 0
		.amdhsa_float_round_mode_16_64 0
		.amdhsa_float_denorm_mode_32 3
		.amdhsa_float_denorm_mode_16_64 3
		.amdhsa_dx10_clamp 1
		.amdhsa_ieee_mode 1
		.amdhsa_fp16_overflow 0
		.amdhsa_tg_split 0
		.amdhsa_exception_fp_ieee_invalid_op 0
		.amdhsa_exception_fp_denorm_src 0
		.amdhsa_exception_fp_ieee_div_zero 0
		.amdhsa_exception_fp_ieee_overflow 0
		.amdhsa_exception_fp_ieee_underflow 0
		.amdhsa_exception_fp_ieee_inexact 0
		.amdhsa_exception_int_div_zero 0
	.end_amdhsa_kernel
	.section	.text._ZN7rocprim17ROCPRIM_400000_NS6detail17trampoline_kernelINS0_14default_configENS1_20scan_config_selectorIdEEZZNS1_9scan_implILNS1_25lookback_scan_determinismE0ELb1ELb1ES3_N6thrust23THRUST_200600_302600_NS6detail15normal_iteratorINS9_10device_ptrIdEEEENS9_16discard_iteratorINS9_11use_defaultEEEd11max_functorIdEdEEDaPvRmT3_T4_T5_mT6_P12ihipStream_tbENKUlT_T0_E_clISt17integral_constantIbLb1EESW_IbLb0EEEEDaSS_ST_EUlSS_E_NS1_11comp_targetILNS1_3genE3ELNS1_11target_archE908ELNS1_3gpuE7ELNS1_3repE0EEENS1_30default_config_static_selectorELNS0_4arch9wavefront6targetE1EEEvT1_,"axG",@progbits,_ZN7rocprim17ROCPRIM_400000_NS6detail17trampoline_kernelINS0_14default_configENS1_20scan_config_selectorIdEEZZNS1_9scan_implILNS1_25lookback_scan_determinismE0ELb1ELb1ES3_N6thrust23THRUST_200600_302600_NS6detail15normal_iteratorINS9_10device_ptrIdEEEENS9_16discard_iteratorINS9_11use_defaultEEEd11max_functorIdEdEEDaPvRmT3_T4_T5_mT6_P12ihipStream_tbENKUlT_T0_E_clISt17integral_constantIbLb1EESW_IbLb0EEEEDaSS_ST_EUlSS_E_NS1_11comp_targetILNS1_3genE3ELNS1_11target_archE908ELNS1_3gpuE7ELNS1_3repE0EEENS1_30default_config_static_selectorELNS0_4arch9wavefront6targetE1EEEvT1_,comdat
.Lfunc_end3101:
	.size	_ZN7rocprim17ROCPRIM_400000_NS6detail17trampoline_kernelINS0_14default_configENS1_20scan_config_selectorIdEEZZNS1_9scan_implILNS1_25lookback_scan_determinismE0ELb1ELb1ES3_N6thrust23THRUST_200600_302600_NS6detail15normal_iteratorINS9_10device_ptrIdEEEENS9_16discard_iteratorINS9_11use_defaultEEEd11max_functorIdEdEEDaPvRmT3_T4_T5_mT6_P12ihipStream_tbENKUlT_T0_E_clISt17integral_constantIbLb1EESW_IbLb0EEEEDaSS_ST_EUlSS_E_NS1_11comp_targetILNS1_3genE3ELNS1_11target_archE908ELNS1_3gpuE7ELNS1_3repE0EEENS1_30default_config_static_selectorELNS0_4arch9wavefront6targetE1EEEvT1_, .Lfunc_end3101-_ZN7rocprim17ROCPRIM_400000_NS6detail17trampoline_kernelINS0_14default_configENS1_20scan_config_selectorIdEEZZNS1_9scan_implILNS1_25lookback_scan_determinismE0ELb1ELb1ES3_N6thrust23THRUST_200600_302600_NS6detail15normal_iteratorINS9_10device_ptrIdEEEENS9_16discard_iteratorINS9_11use_defaultEEEd11max_functorIdEdEEDaPvRmT3_T4_T5_mT6_P12ihipStream_tbENKUlT_T0_E_clISt17integral_constantIbLb1EESW_IbLb0EEEEDaSS_ST_EUlSS_E_NS1_11comp_targetILNS1_3genE3ELNS1_11target_archE908ELNS1_3gpuE7ELNS1_3repE0EEENS1_30default_config_static_selectorELNS0_4arch9wavefront6targetE1EEEvT1_
                                        ; -- End function
	.section	.AMDGPU.csdata,"",@progbits
; Kernel info:
; codeLenInByte = 0
; NumSgprs: 4
; NumVgprs: 0
; NumAgprs: 0
; TotalNumVgprs: 0
; ScratchSize: 0
; MemoryBound: 0
; FloatMode: 240
; IeeeMode: 1
; LDSByteSize: 0 bytes/workgroup (compile time only)
; SGPRBlocks: 0
; VGPRBlocks: 0
; NumSGPRsForWavesPerEU: 4
; NumVGPRsForWavesPerEU: 1
; AccumOffset: 4
; Occupancy: 8
; WaveLimiterHint : 0
; COMPUTE_PGM_RSRC2:SCRATCH_EN: 0
; COMPUTE_PGM_RSRC2:USER_SGPR: 6
; COMPUTE_PGM_RSRC2:TRAP_HANDLER: 0
; COMPUTE_PGM_RSRC2:TGID_X_EN: 1
; COMPUTE_PGM_RSRC2:TGID_Y_EN: 0
; COMPUTE_PGM_RSRC2:TGID_Z_EN: 0
; COMPUTE_PGM_RSRC2:TIDIG_COMP_CNT: 0
; COMPUTE_PGM_RSRC3_GFX90A:ACCUM_OFFSET: 0
; COMPUTE_PGM_RSRC3_GFX90A:TG_SPLIT: 0
	.section	.text._ZN7rocprim17ROCPRIM_400000_NS6detail17trampoline_kernelINS0_14default_configENS1_20scan_config_selectorIdEEZZNS1_9scan_implILNS1_25lookback_scan_determinismE0ELb1ELb1ES3_N6thrust23THRUST_200600_302600_NS6detail15normal_iteratorINS9_10device_ptrIdEEEENS9_16discard_iteratorINS9_11use_defaultEEEd11max_functorIdEdEEDaPvRmT3_T4_T5_mT6_P12ihipStream_tbENKUlT_T0_E_clISt17integral_constantIbLb1EESW_IbLb0EEEEDaSS_ST_EUlSS_E_NS1_11comp_targetILNS1_3genE2ELNS1_11target_archE906ELNS1_3gpuE6ELNS1_3repE0EEENS1_30default_config_static_selectorELNS0_4arch9wavefront6targetE1EEEvT1_,"axG",@progbits,_ZN7rocprim17ROCPRIM_400000_NS6detail17trampoline_kernelINS0_14default_configENS1_20scan_config_selectorIdEEZZNS1_9scan_implILNS1_25lookback_scan_determinismE0ELb1ELb1ES3_N6thrust23THRUST_200600_302600_NS6detail15normal_iteratorINS9_10device_ptrIdEEEENS9_16discard_iteratorINS9_11use_defaultEEEd11max_functorIdEdEEDaPvRmT3_T4_T5_mT6_P12ihipStream_tbENKUlT_T0_E_clISt17integral_constantIbLb1EESW_IbLb0EEEEDaSS_ST_EUlSS_E_NS1_11comp_targetILNS1_3genE2ELNS1_11target_archE906ELNS1_3gpuE6ELNS1_3repE0EEENS1_30default_config_static_selectorELNS0_4arch9wavefront6targetE1EEEvT1_,comdat
	.protected	_ZN7rocprim17ROCPRIM_400000_NS6detail17trampoline_kernelINS0_14default_configENS1_20scan_config_selectorIdEEZZNS1_9scan_implILNS1_25lookback_scan_determinismE0ELb1ELb1ES3_N6thrust23THRUST_200600_302600_NS6detail15normal_iteratorINS9_10device_ptrIdEEEENS9_16discard_iteratorINS9_11use_defaultEEEd11max_functorIdEdEEDaPvRmT3_T4_T5_mT6_P12ihipStream_tbENKUlT_T0_E_clISt17integral_constantIbLb1EESW_IbLb0EEEEDaSS_ST_EUlSS_E_NS1_11comp_targetILNS1_3genE2ELNS1_11target_archE906ELNS1_3gpuE6ELNS1_3repE0EEENS1_30default_config_static_selectorELNS0_4arch9wavefront6targetE1EEEvT1_ ; -- Begin function _ZN7rocprim17ROCPRIM_400000_NS6detail17trampoline_kernelINS0_14default_configENS1_20scan_config_selectorIdEEZZNS1_9scan_implILNS1_25lookback_scan_determinismE0ELb1ELb1ES3_N6thrust23THRUST_200600_302600_NS6detail15normal_iteratorINS9_10device_ptrIdEEEENS9_16discard_iteratorINS9_11use_defaultEEEd11max_functorIdEdEEDaPvRmT3_T4_T5_mT6_P12ihipStream_tbENKUlT_T0_E_clISt17integral_constantIbLb1EESW_IbLb0EEEEDaSS_ST_EUlSS_E_NS1_11comp_targetILNS1_3genE2ELNS1_11target_archE906ELNS1_3gpuE6ELNS1_3repE0EEENS1_30default_config_static_selectorELNS0_4arch9wavefront6targetE1EEEvT1_
	.globl	_ZN7rocprim17ROCPRIM_400000_NS6detail17trampoline_kernelINS0_14default_configENS1_20scan_config_selectorIdEEZZNS1_9scan_implILNS1_25lookback_scan_determinismE0ELb1ELb1ES3_N6thrust23THRUST_200600_302600_NS6detail15normal_iteratorINS9_10device_ptrIdEEEENS9_16discard_iteratorINS9_11use_defaultEEEd11max_functorIdEdEEDaPvRmT3_T4_T5_mT6_P12ihipStream_tbENKUlT_T0_E_clISt17integral_constantIbLb1EESW_IbLb0EEEEDaSS_ST_EUlSS_E_NS1_11comp_targetILNS1_3genE2ELNS1_11target_archE906ELNS1_3gpuE6ELNS1_3repE0EEENS1_30default_config_static_selectorELNS0_4arch9wavefront6targetE1EEEvT1_
	.p2align	8
	.type	_ZN7rocprim17ROCPRIM_400000_NS6detail17trampoline_kernelINS0_14default_configENS1_20scan_config_selectorIdEEZZNS1_9scan_implILNS1_25lookback_scan_determinismE0ELb1ELb1ES3_N6thrust23THRUST_200600_302600_NS6detail15normal_iteratorINS9_10device_ptrIdEEEENS9_16discard_iteratorINS9_11use_defaultEEEd11max_functorIdEdEEDaPvRmT3_T4_T5_mT6_P12ihipStream_tbENKUlT_T0_E_clISt17integral_constantIbLb1EESW_IbLb0EEEEDaSS_ST_EUlSS_E_NS1_11comp_targetILNS1_3genE2ELNS1_11target_archE906ELNS1_3gpuE6ELNS1_3repE0EEENS1_30default_config_static_selectorELNS0_4arch9wavefront6targetE1EEEvT1_,@function
_ZN7rocprim17ROCPRIM_400000_NS6detail17trampoline_kernelINS0_14default_configENS1_20scan_config_selectorIdEEZZNS1_9scan_implILNS1_25lookback_scan_determinismE0ELb1ELb1ES3_N6thrust23THRUST_200600_302600_NS6detail15normal_iteratorINS9_10device_ptrIdEEEENS9_16discard_iteratorINS9_11use_defaultEEEd11max_functorIdEdEEDaPvRmT3_T4_T5_mT6_P12ihipStream_tbENKUlT_T0_E_clISt17integral_constantIbLb1EESW_IbLb0EEEEDaSS_ST_EUlSS_E_NS1_11comp_targetILNS1_3genE2ELNS1_11target_archE906ELNS1_3gpuE6ELNS1_3repE0EEENS1_30default_config_static_selectorELNS0_4arch9wavefront6targetE1EEEvT1_: ; @_ZN7rocprim17ROCPRIM_400000_NS6detail17trampoline_kernelINS0_14default_configENS1_20scan_config_selectorIdEEZZNS1_9scan_implILNS1_25lookback_scan_determinismE0ELb1ELb1ES3_N6thrust23THRUST_200600_302600_NS6detail15normal_iteratorINS9_10device_ptrIdEEEENS9_16discard_iteratorINS9_11use_defaultEEEd11max_functorIdEdEEDaPvRmT3_T4_T5_mT6_P12ihipStream_tbENKUlT_T0_E_clISt17integral_constantIbLb1EESW_IbLb0EEEEDaSS_ST_EUlSS_E_NS1_11comp_targetILNS1_3genE2ELNS1_11target_archE906ELNS1_3gpuE6ELNS1_3repE0EEENS1_30default_config_static_selectorELNS0_4arch9wavefront6targetE1EEEvT1_
; %bb.0:
	.section	.rodata,"a",@progbits
	.p2align	6, 0x0
	.amdhsa_kernel _ZN7rocprim17ROCPRIM_400000_NS6detail17trampoline_kernelINS0_14default_configENS1_20scan_config_selectorIdEEZZNS1_9scan_implILNS1_25lookback_scan_determinismE0ELb1ELb1ES3_N6thrust23THRUST_200600_302600_NS6detail15normal_iteratorINS9_10device_ptrIdEEEENS9_16discard_iteratorINS9_11use_defaultEEEd11max_functorIdEdEEDaPvRmT3_T4_T5_mT6_P12ihipStream_tbENKUlT_T0_E_clISt17integral_constantIbLb1EESW_IbLb0EEEEDaSS_ST_EUlSS_E_NS1_11comp_targetILNS1_3genE2ELNS1_11target_archE906ELNS1_3gpuE6ELNS1_3repE0EEENS1_30default_config_static_selectorELNS0_4arch9wavefront6targetE1EEEvT1_
		.amdhsa_group_segment_fixed_size 0
		.amdhsa_private_segment_fixed_size 0
		.amdhsa_kernarg_size 112
		.amdhsa_user_sgpr_count 6
		.amdhsa_user_sgpr_private_segment_buffer 1
		.amdhsa_user_sgpr_dispatch_ptr 0
		.amdhsa_user_sgpr_queue_ptr 0
		.amdhsa_user_sgpr_kernarg_segment_ptr 1
		.amdhsa_user_sgpr_dispatch_id 0
		.amdhsa_user_sgpr_flat_scratch_init 0
		.amdhsa_user_sgpr_kernarg_preload_length 0
		.amdhsa_user_sgpr_kernarg_preload_offset 0
		.amdhsa_user_sgpr_private_segment_size 0
		.amdhsa_uses_dynamic_stack 0
		.amdhsa_system_sgpr_private_segment_wavefront_offset 0
		.amdhsa_system_sgpr_workgroup_id_x 1
		.amdhsa_system_sgpr_workgroup_id_y 0
		.amdhsa_system_sgpr_workgroup_id_z 0
		.amdhsa_system_sgpr_workgroup_info 0
		.amdhsa_system_vgpr_workitem_id 0
		.amdhsa_next_free_vgpr 1
		.amdhsa_next_free_sgpr 0
		.amdhsa_accum_offset 4
		.amdhsa_reserve_vcc 0
		.amdhsa_reserve_flat_scratch 0
		.amdhsa_float_round_mode_32 0
		.amdhsa_float_round_mode_16_64 0
		.amdhsa_float_denorm_mode_32 3
		.amdhsa_float_denorm_mode_16_64 3
		.amdhsa_dx10_clamp 1
		.amdhsa_ieee_mode 1
		.amdhsa_fp16_overflow 0
		.amdhsa_tg_split 0
		.amdhsa_exception_fp_ieee_invalid_op 0
		.amdhsa_exception_fp_denorm_src 0
		.amdhsa_exception_fp_ieee_div_zero 0
		.amdhsa_exception_fp_ieee_overflow 0
		.amdhsa_exception_fp_ieee_underflow 0
		.amdhsa_exception_fp_ieee_inexact 0
		.amdhsa_exception_int_div_zero 0
	.end_amdhsa_kernel
	.section	.text._ZN7rocprim17ROCPRIM_400000_NS6detail17trampoline_kernelINS0_14default_configENS1_20scan_config_selectorIdEEZZNS1_9scan_implILNS1_25lookback_scan_determinismE0ELb1ELb1ES3_N6thrust23THRUST_200600_302600_NS6detail15normal_iteratorINS9_10device_ptrIdEEEENS9_16discard_iteratorINS9_11use_defaultEEEd11max_functorIdEdEEDaPvRmT3_T4_T5_mT6_P12ihipStream_tbENKUlT_T0_E_clISt17integral_constantIbLb1EESW_IbLb0EEEEDaSS_ST_EUlSS_E_NS1_11comp_targetILNS1_3genE2ELNS1_11target_archE906ELNS1_3gpuE6ELNS1_3repE0EEENS1_30default_config_static_selectorELNS0_4arch9wavefront6targetE1EEEvT1_,"axG",@progbits,_ZN7rocprim17ROCPRIM_400000_NS6detail17trampoline_kernelINS0_14default_configENS1_20scan_config_selectorIdEEZZNS1_9scan_implILNS1_25lookback_scan_determinismE0ELb1ELb1ES3_N6thrust23THRUST_200600_302600_NS6detail15normal_iteratorINS9_10device_ptrIdEEEENS9_16discard_iteratorINS9_11use_defaultEEEd11max_functorIdEdEEDaPvRmT3_T4_T5_mT6_P12ihipStream_tbENKUlT_T0_E_clISt17integral_constantIbLb1EESW_IbLb0EEEEDaSS_ST_EUlSS_E_NS1_11comp_targetILNS1_3genE2ELNS1_11target_archE906ELNS1_3gpuE6ELNS1_3repE0EEENS1_30default_config_static_selectorELNS0_4arch9wavefront6targetE1EEEvT1_,comdat
.Lfunc_end3102:
	.size	_ZN7rocprim17ROCPRIM_400000_NS6detail17trampoline_kernelINS0_14default_configENS1_20scan_config_selectorIdEEZZNS1_9scan_implILNS1_25lookback_scan_determinismE0ELb1ELb1ES3_N6thrust23THRUST_200600_302600_NS6detail15normal_iteratorINS9_10device_ptrIdEEEENS9_16discard_iteratorINS9_11use_defaultEEEd11max_functorIdEdEEDaPvRmT3_T4_T5_mT6_P12ihipStream_tbENKUlT_T0_E_clISt17integral_constantIbLb1EESW_IbLb0EEEEDaSS_ST_EUlSS_E_NS1_11comp_targetILNS1_3genE2ELNS1_11target_archE906ELNS1_3gpuE6ELNS1_3repE0EEENS1_30default_config_static_selectorELNS0_4arch9wavefront6targetE1EEEvT1_, .Lfunc_end3102-_ZN7rocprim17ROCPRIM_400000_NS6detail17trampoline_kernelINS0_14default_configENS1_20scan_config_selectorIdEEZZNS1_9scan_implILNS1_25lookback_scan_determinismE0ELb1ELb1ES3_N6thrust23THRUST_200600_302600_NS6detail15normal_iteratorINS9_10device_ptrIdEEEENS9_16discard_iteratorINS9_11use_defaultEEEd11max_functorIdEdEEDaPvRmT3_T4_T5_mT6_P12ihipStream_tbENKUlT_T0_E_clISt17integral_constantIbLb1EESW_IbLb0EEEEDaSS_ST_EUlSS_E_NS1_11comp_targetILNS1_3genE2ELNS1_11target_archE906ELNS1_3gpuE6ELNS1_3repE0EEENS1_30default_config_static_selectorELNS0_4arch9wavefront6targetE1EEEvT1_
                                        ; -- End function
	.section	.AMDGPU.csdata,"",@progbits
; Kernel info:
; codeLenInByte = 0
; NumSgprs: 4
; NumVgprs: 0
; NumAgprs: 0
; TotalNumVgprs: 0
; ScratchSize: 0
; MemoryBound: 0
; FloatMode: 240
; IeeeMode: 1
; LDSByteSize: 0 bytes/workgroup (compile time only)
; SGPRBlocks: 0
; VGPRBlocks: 0
; NumSGPRsForWavesPerEU: 4
; NumVGPRsForWavesPerEU: 1
; AccumOffset: 4
; Occupancy: 8
; WaveLimiterHint : 0
; COMPUTE_PGM_RSRC2:SCRATCH_EN: 0
; COMPUTE_PGM_RSRC2:USER_SGPR: 6
; COMPUTE_PGM_RSRC2:TRAP_HANDLER: 0
; COMPUTE_PGM_RSRC2:TGID_X_EN: 1
; COMPUTE_PGM_RSRC2:TGID_Y_EN: 0
; COMPUTE_PGM_RSRC2:TGID_Z_EN: 0
; COMPUTE_PGM_RSRC2:TIDIG_COMP_CNT: 0
; COMPUTE_PGM_RSRC3_GFX90A:ACCUM_OFFSET: 0
; COMPUTE_PGM_RSRC3_GFX90A:TG_SPLIT: 0
	.section	.text._ZN7rocprim17ROCPRIM_400000_NS6detail17trampoline_kernelINS0_14default_configENS1_20scan_config_selectorIdEEZZNS1_9scan_implILNS1_25lookback_scan_determinismE0ELb1ELb1ES3_N6thrust23THRUST_200600_302600_NS6detail15normal_iteratorINS9_10device_ptrIdEEEENS9_16discard_iteratorINS9_11use_defaultEEEd11max_functorIdEdEEDaPvRmT3_T4_T5_mT6_P12ihipStream_tbENKUlT_T0_E_clISt17integral_constantIbLb1EESW_IbLb0EEEEDaSS_ST_EUlSS_E_NS1_11comp_targetILNS1_3genE10ELNS1_11target_archE1201ELNS1_3gpuE5ELNS1_3repE0EEENS1_30default_config_static_selectorELNS0_4arch9wavefront6targetE1EEEvT1_,"axG",@progbits,_ZN7rocprim17ROCPRIM_400000_NS6detail17trampoline_kernelINS0_14default_configENS1_20scan_config_selectorIdEEZZNS1_9scan_implILNS1_25lookback_scan_determinismE0ELb1ELb1ES3_N6thrust23THRUST_200600_302600_NS6detail15normal_iteratorINS9_10device_ptrIdEEEENS9_16discard_iteratorINS9_11use_defaultEEEd11max_functorIdEdEEDaPvRmT3_T4_T5_mT6_P12ihipStream_tbENKUlT_T0_E_clISt17integral_constantIbLb1EESW_IbLb0EEEEDaSS_ST_EUlSS_E_NS1_11comp_targetILNS1_3genE10ELNS1_11target_archE1201ELNS1_3gpuE5ELNS1_3repE0EEENS1_30default_config_static_selectorELNS0_4arch9wavefront6targetE1EEEvT1_,comdat
	.protected	_ZN7rocprim17ROCPRIM_400000_NS6detail17trampoline_kernelINS0_14default_configENS1_20scan_config_selectorIdEEZZNS1_9scan_implILNS1_25lookback_scan_determinismE0ELb1ELb1ES3_N6thrust23THRUST_200600_302600_NS6detail15normal_iteratorINS9_10device_ptrIdEEEENS9_16discard_iteratorINS9_11use_defaultEEEd11max_functorIdEdEEDaPvRmT3_T4_T5_mT6_P12ihipStream_tbENKUlT_T0_E_clISt17integral_constantIbLb1EESW_IbLb0EEEEDaSS_ST_EUlSS_E_NS1_11comp_targetILNS1_3genE10ELNS1_11target_archE1201ELNS1_3gpuE5ELNS1_3repE0EEENS1_30default_config_static_selectorELNS0_4arch9wavefront6targetE1EEEvT1_ ; -- Begin function _ZN7rocprim17ROCPRIM_400000_NS6detail17trampoline_kernelINS0_14default_configENS1_20scan_config_selectorIdEEZZNS1_9scan_implILNS1_25lookback_scan_determinismE0ELb1ELb1ES3_N6thrust23THRUST_200600_302600_NS6detail15normal_iteratorINS9_10device_ptrIdEEEENS9_16discard_iteratorINS9_11use_defaultEEEd11max_functorIdEdEEDaPvRmT3_T4_T5_mT6_P12ihipStream_tbENKUlT_T0_E_clISt17integral_constantIbLb1EESW_IbLb0EEEEDaSS_ST_EUlSS_E_NS1_11comp_targetILNS1_3genE10ELNS1_11target_archE1201ELNS1_3gpuE5ELNS1_3repE0EEENS1_30default_config_static_selectorELNS0_4arch9wavefront6targetE1EEEvT1_
	.globl	_ZN7rocprim17ROCPRIM_400000_NS6detail17trampoline_kernelINS0_14default_configENS1_20scan_config_selectorIdEEZZNS1_9scan_implILNS1_25lookback_scan_determinismE0ELb1ELb1ES3_N6thrust23THRUST_200600_302600_NS6detail15normal_iteratorINS9_10device_ptrIdEEEENS9_16discard_iteratorINS9_11use_defaultEEEd11max_functorIdEdEEDaPvRmT3_T4_T5_mT6_P12ihipStream_tbENKUlT_T0_E_clISt17integral_constantIbLb1EESW_IbLb0EEEEDaSS_ST_EUlSS_E_NS1_11comp_targetILNS1_3genE10ELNS1_11target_archE1201ELNS1_3gpuE5ELNS1_3repE0EEENS1_30default_config_static_selectorELNS0_4arch9wavefront6targetE1EEEvT1_
	.p2align	8
	.type	_ZN7rocprim17ROCPRIM_400000_NS6detail17trampoline_kernelINS0_14default_configENS1_20scan_config_selectorIdEEZZNS1_9scan_implILNS1_25lookback_scan_determinismE0ELb1ELb1ES3_N6thrust23THRUST_200600_302600_NS6detail15normal_iteratorINS9_10device_ptrIdEEEENS9_16discard_iteratorINS9_11use_defaultEEEd11max_functorIdEdEEDaPvRmT3_T4_T5_mT6_P12ihipStream_tbENKUlT_T0_E_clISt17integral_constantIbLb1EESW_IbLb0EEEEDaSS_ST_EUlSS_E_NS1_11comp_targetILNS1_3genE10ELNS1_11target_archE1201ELNS1_3gpuE5ELNS1_3repE0EEENS1_30default_config_static_selectorELNS0_4arch9wavefront6targetE1EEEvT1_,@function
_ZN7rocprim17ROCPRIM_400000_NS6detail17trampoline_kernelINS0_14default_configENS1_20scan_config_selectorIdEEZZNS1_9scan_implILNS1_25lookback_scan_determinismE0ELb1ELb1ES3_N6thrust23THRUST_200600_302600_NS6detail15normal_iteratorINS9_10device_ptrIdEEEENS9_16discard_iteratorINS9_11use_defaultEEEd11max_functorIdEdEEDaPvRmT3_T4_T5_mT6_P12ihipStream_tbENKUlT_T0_E_clISt17integral_constantIbLb1EESW_IbLb0EEEEDaSS_ST_EUlSS_E_NS1_11comp_targetILNS1_3genE10ELNS1_11target_archE1201ELNS1_3gpuE5ELNS1_3repE0EEENS1_30default_config_static_selectorELNS0_4arch9wavefront6targetE1EEEvT1_: ; @_ZN7rocprim17ROCPRIM_400000_NS6detail17trampoline_kernelINS0_14default_configENS1_20scan_config_selectorIdEEZZNS1_9scan_implILNS1_25lookback_scan_determinismE0ELb1ELb1ES3_N6thrust23THRUST_200600_302600_NS6detail15normal_iteratorINS9_10device_ptrIdEEEENS9_16discard_iteratorINS9_11use_defaultEEEd11max_functorIdEdEEDaPvRmT3_T4_T5_mT6_P12ihipStream_tbENKUlT_T0_E_clISt17integral_constantIbLb1EESW_IbLb0EEEEDaSS_ST_EUlSS_E_NS1_11comp_targetILNS1_3genE10ELNS1_11target_archE1201ELNS1_3gpuE5ELNS1_3repE0EEENS1_30default_config_static_selectorELNS0_4arch9wavefront6targetE1EEEvT1_
; %bb.0:
	.section	.rodata,"a",@progbits
	.p2align	6, 0x0
	.amdhsa_kernel _ZN7rocprim17ROCPRIM_400000_NS6detail17trampoline_kernelINS0_14default_configENS1_20scan_config_selectorIdEEZZNS1_9scan_implILNS1_25lookback_scan_determinismE0ELb1ELb1ES3_N6thrust23THRUST_200600_302600_NS6detail15normal_iteratorINS9_10device_ptrIdEEEENS9_16discard_iteratorINS9_11use_defaultEEEd11max_functorIdEdEEDaPvRmT3_T4_T5_mT6_P12ihipStream_tbENKUlT_T0_E_clISt17integral_constantIbLb1EESW_IbLb0EEEEDaSS_ST_EUlSS_E_NS1_11comp_targetILNS1_3genE10ELNS1_11target_archE1201ELNS1_3gpuE5ELNS1_3repE0EEENS1_30default_config_static_selectorELNS0_4arch9wavefront6targetE1EEEvT1_
		.amdhsa_group_segment_fixed_size 0
		.amdhsa_private_segment_fixed_size 0
		.amdhsa_kernarg_size 112
		.amdhsa_user_sgpr_count 6
		.amdhsa_user_sgpr_private_segment_buffer 1
		.amdhsa_user_sgpr_dispatch_ptr 0
		.amdhsa_user_sgpr_queue_ptr 0
		.amdhsa_user_sgpr_kernarg_segment_ptr 1
		.amdhsa_user_sgpr_dispatch_id 0
		.amdhsa_user_sgpr_flat_scratch_init 0
		.amdhsa_user_sgpr_kernarg_preload_length 0
		.amdhsa_user_sgpr_kernarg_preload_offset 0
		.amdhsa_user_sgpr_private_segment_size 0
		.amdhsa_uses_dynamic_stack 0
		.amdhsa_system_sgpr_private_segment_wavefront_offset 0
		.amdhsa_system_sgpr_workgroup_id_x 1
		.amdhsa_system_sgpr_workgroup_id_y 0
		.amdhsa_system_sgpr_workgroup_id_z 0
		.amdhsa_system_sgpr_workgroup_info 0
		.amdhsa_system_vgpr_workitem_id 0
		.amdhsa_next_free_vgpr 1
		.amdhsa_next_free_sgpr 0
		.amdhsa_accum_offset 4
		.amdhsa_reserve_vcc 0
		.amdhsa_reserve_flat_scratch 0
		.amdhsa_float_round_mode_32 0
		.amdhsa_float_round_mode_16_64 0
		.amdhsa_float_denorm_mode_32 3
		.amdhsa_float_denorm_mode_16_64 3
		.amdhsa_dx10_clamp 1
		.amdhsa_ieee_mode 1
		.amdhsa_fp16_overflow 0
		.amdhsa_tg_split 0
		.amdhsa_exception_fp_ieee_invalid_op 0
		.amdhsa_exception_fp_denorm_src 0
		.amdhsa_exception_fp_ieee_div_zero 0
		.amdhsa_exception_fp_ieee_overflow 0
		.amdhsa_exception_fp_ieee_underflow 0
		.amdhsa_exception_fp_ieee_inexact 0
		.amdhsa_exception_int_div_zero 0
	.end_amdhsa_kernel
	.section	.text._ZN7rocprim17ROCPRIM_400000_NS6detail17trampoline_kernelINS0_14default_configENS1_20scan_config_selectorIdEEZZNS1_9scan_implILNS1_25lookback_scan_determinismE0ELb1ELb1ES3_N6thrust23THRUST_200600_302600_NS6detail15normal_iteratorINS9_10device_ptrIdEEEENS9_16discard_iteratorINS9_11use_defaultEEEd11max_functorIdEdEEDaPvRmT3_T4_T5_mT6_P12ihipStream_tbENKUlT_T0_E_clISt17integral_constantIbLb1EESW_IbLb0EEEEDaSS_ST_EUlSS_E_NS1_11comp_targetILNS1_3genE10ELNS1_11target_archE1201ELNS1_3gpuE5ELNS1_3repE0EEENS1_30default_config_static_selectorELNS0_4arch9wavefront6targetE1EEEvT1_,"axG",@progbits,_ZN7rocprim17ROCPRIM_400000_NS6detail17trampoline_kernelINS0_14default_configENS1_20scan_config_selectorIdEEZZNS1_9scan_implILNS1_25lookback_scan_determinismE0ELb1ELb1ES3_N6thrust23THRUST_200600_302600_NS6detail15normal_iteratorINS9_10device_ptrIdEEEENS9_16discard_iteratorINS9_11use_defaultEEEd11max_functorIdEdEEDaPvRmT3_T4_T5_mT6_P12ihipStream_tbENKUlT_T0_E_clISt17integral_constantIbLb1EESW_IbLb0EEEEDaSS_ST_EUlSS_E_NS1_11comp_targetILNS1_3genE10ELNS1_11target_archE1201ELNS1_3gpuE5ELNS1_3repE0EEENS1_30default_config_static_selectorELNS0_4arch9wavefront6targetE1EEEvT1_,comdat
.Lfunc_end3103:
	.size	_ZN7rocprim17ROCPRIM_400000_NS6detail17trampoline_kernelINS0_14default_configENS1_20scan_config_selectorIdEEZZNS1_9scan_implILNS1_25lookback_scan_determinismE0ELb1ELb1ES3_N6thrust23THRUST_200600_302600_NS6detail15normal_iteratorINS9_10device_ptrIdEEEENS9_16discard_iteratorINS9_11use_defaultEEEd11max_functorIdEdEEDaPvRmT3_T4_T5_mT6_P12ihipStream_tbENKUlT_T0_E_clISt17integral_constantIbLb1EESW_IbLb0EEEEDaSS_ST_EUlSS_E_NS1_11comp_targetILNS1_3genE10ELNS1_11target_archE1201ELNS1_3gpuE5ELNS1_3repE0EEENS1_30default_config_static_selectorELNS0_4arch9wavefront6targetE1EEEvT1_, .Lfunc_end3103-_ZN7rocprim17ROCPRIM_400000_NS6detail17trampoline_kernelINS0_14default_configENS1_20scan_config_selectorIdEEZZNS1_9scan_implILNS1_25lookback_scan_determinismE0ELb1ELb1ES3_N6thrust23THRUST_200600_302600_NS6detail15normal_iteratorINS9_10device_ptrIdEEEENS9_16discard_iteratorINS9_11use_defaultEEEd11max_functorIdEdEEDaPvRmT3_T4_T5_mT6_P12ihipStream_tbENKUlT_T0_E_clISt17integral_constantIbLb1EESW_IbLb0EEEEDaSS_ST_EUlSS_E_NS1_11comp_targetILNS1_3genE10ELNS1_11target_archE1201ELNS1_3gpuE5ELNS1_3repE0EEENS1_30default_config_static_selectorELNS0_4arch9wavefront6targetE1EEEvT1_
                                        ; -- End function
	.section	.AMDGPU.csdata,"",@progbits
; Kernel info:
; codeLenInByte = 0
; NumSgprs: 4
; NumVgprs: 0
; NumAgprs: 0
; TotalNumVgprs: 0
; ScratchSize: 0
; MemoryBound: 0
; FloatMode: 240
; IeeeMode: 1
; LDSByteSize: 0 bytes/workgroup (compile time only)
; SGPRBlocks: 0
; VGPRBlocks: 0
; NumSGPRsForWavesPerEU: 4
; NumVGPRsForWavesPerEU: 1
; AccumOffset: 4
; Occupancy: 8
; WaveLimiterHint : 0
; COMPUTE_PGM_RSRC2:SCRATCH_EN: 0
; COMPUTE_PGM_RSRC2:USER_SGPR: 6
; COMPUTE_PGM_RSRC2:TRAP_HANDLER: 0
; COMPUTE_PGM_RSRC2:TGID_X_EN: 1
; COMPUTE_PGM_RSRC2:TGID_Y_EN: 0
; COMPUTE_PGM_RSRC2:TGID_Z_EN: 0
; COMPUTE_PGM_RSRC2:TIDIG_COMP_CNT: 0
; COMPUTE_PGM_RSRC3_GFX90A:ACCUM_OFFSET: 0
; COMPUTE_PGM_RSRC3_GFX90A:TG_SPLIT: 0
	.section	.text._ZN7rocprim17ROCPRIM_400000_NS6detail17trampoline_kernelINS0_14default_configENS1_20scan_config_selectorIdEEZZNS1_9scan_implILNS1_25lookback_scan_determinismE0ELb1ELb1ES3_N6thrust23THRUST_200600_302600_NS6detail15normal_iteratorINS9_10device_ptrIdEEEENS9_16discard_iteratorINS9_11use_defaultEEEd11max_functorIdEdEEDaPvRmT3_T4_T5_mT6_P12ihipStream_tbENKUlT_T0_E_clISt17integral_constantIbLb1EESW_IbLb0EEEEDaSS_ST_EUlSS_E_NS1_11comp_targetILNS1_3genE10ELNS1_11target_archE1200ELNS1_3gpuE4ELNS1_3repE0EEENS1_30default_config_static_selectorELNS0_4arch9wavefront6targetE1EEEvT1_,"axG",@progbits,_ZN7rocprim17ROCPRIM_400000_NS6detail17trampoline_kernelINS0_14default_configENS1_20scan_config_selectorIdEEZZNS1_9scan_implILNS1_25lookback_scan_determinismE0ELb1ELb1ES3_N6thrust23THRUST_200600_302600_NS6detail15normal_iteratorINS9_10device_ptrIdEEEENS9_16discard_iteratorINS9_11use_defaultEEEd11max_functorIdEdEEDaPvRmT3_T4_T5_mT6_P12ihipStream_tbENKUlT_T0_E_clISt17integral_constantIbLb1EESW_IbLb0EEEEDaSS_ST_EUlSS_E_NS1_11comp_targetILNS1_3genE10ELNS1_11target_archE1200ELNS1_3gpuE4ELNS1_3repE0EEENS1_30default_config_static_selectorELNS0_4arch9wavefront6targetE1EEEvT1_,comdat
	.protected	_ZN7rocprim17ROCPRIM_400000_NS6detail17trampoline_kernelINS0_14default_configENS1_20scan_config_selectorIdEEZZNS1_9scan_implILNS1_25lookback_scan_determinismE0ELb1ELb1ES3_N6thrust23THRUST_200600_302600_NS6detail15normal_iteratorINS9_10device_ptrIdEEEENS9_16discard_iteratorINS9_11use_defaultEEEd11max_functorIdEdEEDaPvRmT3_T4_T5_mT6_P12ihipStream_tbENKUlT_T0_E_clISt17integral_constantIbLb1EESW_IbLb0EEEEDaSS_ST_EUlSS_E_NS1_11comp_targetILNS1_3genE10ELNS1_11target_archE1200ELNS1_3gpuE4ELNS1_3repE0EEENS1_30default_config_static_selectorELNS0_4arch9wavefront6targetE1EEEvT1_ ; -- Begin function _ZN7rocprim17ROCPRIM_400000_NS6detail17trampoline_kernelINS0_14default_configENS1_20scan_config_selectorIdEEZZNS1_9scan_implILNS1_25lookback_scan_determinismE0ELb1ELb1ES3_N6thrust23THRUST_200600_302600_NS6detail15normal_iteratorINS9_10device_ptrIdEEEENS9_16discard_iteratorINS9_11use_defaultEEEd11max_functorIdEdEEDaPvRmT3_T4_T5_mT6_P12ihipStream_tbENKUlT_T0_E_clISt17integral_constantIbLb1EESW_IbLb0EEEEDaSS_ST_EUlSS_E_NS1_11comp_targetILNS1_3genE10ELNS1_11target_archE1200ELNS1_3gpuE4ELNS1_3repE0EEENS1_30default_config_static_selectorELNS0_4arch9wavefront6targetE1EEEvT1_
	.globl	_ZN7rocprim17ROCPRIM_400000_NS6detail17trampoline_kernelINS0_14default_configENS1_20scan_config_selectorIdEEZZNS1_9scan_implILNS1_25lookback_scan_determinismE0ELb1ELb1ES3_N6thrust23THRUST_200600_302600_NS6detail15normal_iteratorINS9_10device_ptrIdEEEENS9_16discard_iteratorINS9_11use_defaultEEEd11max_functorIdEdEEDaPvRmT3_T4_T5_mT6_P12ihipStream_tbENKUlT_T0_E_clISt17integral_constantIbLb1EESW_IbLb0EEEEDaSS_ST_EUlSS_E_NS1_11comp_targetILNS1_3genE10ELNS1_11target_archE1200ELNS1_3gpuE4ELNS1_3repE0EEENS1_30default_config_static_selectorELNS0_4arch9wavefront6targetE1EEEvT1_
	.p2align	8
	.type	_ZN7rocprim17ROCPRIM_400000_NS6detail17trampoline_kernelINS0_14default_configENS1_20scan_config_selectorIdEEZZNS1_9scan_implILNS1_25lookback_scan_determinismE0ELb1ELb1ES3_N6thrust23THRUST_200600_302600_NS6detail15normal_iteratorINS9_10device_ptrIdEEEENS9_16discard_iteratorINS9_11use_defaultEEEd11max_functorIdEdEEDaPvRmT3_T4_T5_mT6_P12ihipStream_tbENKUlT_T0_E_clISt17integral_constantIbLb1EESW_IbLb0EEEEDaSS_ST_EUlSS_E_NS1_11comp_targetILNS1_3genE10ELNS1_11target_archE1200ELNS1_3gpuE4ELNS1_3repE0EEENS1_30default_config_static_selectorELNS0_4arch9wavefront6targetE1EEEvT1_,@function
_ZN7rocprim17ROCPRIM_400000_NS6detail17trampoline_kernelINS0_14default_configENS1_20scan_config_selectorIdEEZZNS1_9scan_implILNS1_25lookback_scan_determinismE0ELb1ELb1ES3_N6thrust23THRUST_200600_302600_NS6detail15normal_iteratorINS9_10device_ptrIdEEEENS9_16discard_iteratorINS9_11use_defaultEEEd11max_functorIdEdEEDaPvRmT3_T4_T5_mT6_P12ihipStream_tbENKUlT_T0_E_clISt17integral_constantIbLb1EESW_IbLb0EEEEDaSS_ST_EUlSS_E_NS1_11comp_targetILNS1_3genE10ELNS1_11target_archE1200ELNS1_3gpuE4ELNS1_3repE0EEENS1_30default_config_static_selectorELNS0_4arch9wavefront6targetE1EEEvT1_: ; @_ZN7rocprim17ROCPRIM_400000_NS6detail17trampoline_kernelINS0_14default_configENS1_20scan_config_selectorIdEEZZNS1_9scan_implILNS1_25lookback_scan_determinismE0ELb1ELb1ES3_N6thrust23THRUST_200600_302600_NS6detail15normal_iteratorINS9_10device_ptrIdEEEENS9_16discard_iteratorINS9_11use_defaultEEEd11max_functorIdEdEEDaPvRmT3_T4_T5_mT6_P12ihipStream_tbENKUlT_T0_E_clISt17integral_constantIbLb1EESW_IbLb0EEEEDaSS_ST_EUlSS_E_NS1_11comp_targetILNS1_3genE10ELNS1_11target_archE1200ELNS1_3gpuE4ELNS1_3repE0EEENS1_30default_config_static_selectorELNS0_4arch9wavefront6targetE1EEEvT1_
; %bb.0:
	.section	.rodata,"a",@progbits
	.p2align	6, 0x0
	.amdhsa_kernel _ZN7rocprim17ROCPRIM_400000_NS6detail17trampoline_kernelINS0_14default_configENS1_20scan_config_selectorIdEEZZNS1_9scan_implILNS1_25lookback_scan_determinismE0ELb1ELb1ES3_N6thrust23THRUST_200600_302600_NS6detail15normal_iteratorINS9_10device_ptrIdEEEENS9_16discard_iteratorINS9_11use_defaultEEEd11max_functorIdEdEEDaPvRmT3_T4_T5_mT6_P12ihipStream_tbENKUlT_T0_E_clISt17integral_constantIbLb1EESW_IbLb0EEEEDaSS_ST_EUlSS_E_NS1_11comp_targetILNS1_3genE10ELNS1_11target_archE1200ELNS1_3gpuE4ELNS1_3repE0EEENS1_30default_config_static_selectorELNS0_4arch9wavefront6targetE1EEEvT1_
		.amdhsa_group_segment_fixed_size 0
		.amdhsa_private_segment_fixed_size 0
		.amdhsa_kernarg_size 112
		.amdhsa_user_sgpr_count 6
		.amdhsa_user_sgpr_private_segment_buffer 1
		.amdhsa_user_sgpr_dispatch_ptr 0
		.amdhsa_user_sgpr_queue_ptr 0
		.amdhsa_user_sgpr_kernarg_segment_ptr 1
		.amdhsa_user_sgpr_dispatch_id 0
		.amdhsa_user_sgpr_flat_scratch_init 0
		.amdhsa_user_sgpr_kernarg_preload_length 0
		.amdhsa_user_sgpr_kernarg_preload_offset 0
		.amdhsa_user_sgpr_private_segment_size 0
		.amdhsa_uses_dynamic_stack 0
		.amdhsa_system_sgpr_private_segment_wavefront_offset 0
		.amdhsa_system_sgpr_workgroup_id_x 1
		.amdhsa_system_sgpr_workgroup_id_y 0
		.amdhsa_system_sgpr_workgroup_id_z 0
		.amdhsa_system_sgpr_workgroup_info 0
		.amdhsa_system_vgpr_workitem_id 0
		.amdhsa_next_free_vgpr 1
		.amdhsa_next_free_sgpr 0
		.amdhsa_accum_offset 4
		.amdhsa_reserve_vcc 0
		.amdhsa_reserve_flat_scratch 0
		.amdhsa_float_round_mode_32 0
		.amdhsa_float_round_mode_16_64 0
		.amdhsa_float_denorm_mode_32 3
		.amdhsa_float_denorm_mode_16_64 3
		.amdhsa_dx10_clamp 1
		.amdhsa_ieee_mode 1
		.amdhsa_fp16_overflow 0
		.amdhsa_tg_split 0
		.amdhsa_exception_fp_ieee_invalid_op 0
		.amdhsa_exception_fp_denorm_src 0
		.amdhsa_exception_fp_ieee_div_zero 0
		.amdhsa_exception_fp_ieee_overflow 0
		.amdhsa_exception_fp_ieee_underflow 0
		.amdhsa_exception_fp_ieee_inexact 0
		.amdhsa_exception_int_div_zero 0
	.end_amdhsa_kernel
	.section	.text._ZN7rocprim17ROCPRIM_400000_NS6detail17trampoline_kernelINS0_14default_configENS1_20scan_config_selectorIdEEZZNS1_9scan_implILNS1_25lookback_scan_determinismE0ELb1ELb1ES3_N6thrust23THRUST_200600_302600_NS6detail15normal_iteratorINS9_10device_ptrIdEEEENS9_16discard_iteratorINS9_11use_defaultEEEd11max_functorIdEdEEDaPvRmT3_T4_T5_mT6_P12ihipStream_tbENKUlT_T0_E_clISt17integral_constantIbLb1EESW_IbLb0EEEEDaSS_ST_EUlSS_E_NS1_11comp_targetILNS1_3genE10ELNS1_11target_archE1200ELNS1_3gpuE4ELNS1_3repE0EEENS1_30default_config_static_selectorELNS0_4arch9wavefront6targetE1EEEvT1_,"axG",@progbits,_ZN7rocprim17ROCPRIM_400000_NS6detail17trampoline_kernelINS0_14default_configENS1_20scan_config_selectorIdEEZZNS1_9scan_implILNS1_25lookback_scan_determinismE0ELb1ELb1ES3_N6thrust23THRUST_200600_302600_NS6detail15normal_iteratorINS9_10device_ptrIdEEEENS9_16discard_iteratorINS9_11use_defaultEEEd11max_functorIdEdEEDaPvRmT3_T4_T5_mT6_P12ihipStream_tbENKUlT_T0_E_clISt17integral_constantIbLb1EESW_IbLb0EEEEDaSS_ST_EUlSS_E_NS1_11comp_targetILNS1_3genE10ELNS1_11target_archE1200ELNS1_3gpuE4ELNS1_3repE0EEENS1_30default_config_static_selectorELNS0_4arch9wavefront6targetE1EEEvT1_,comdat
.Lfunc_end3104:
	.size	_ZN7rocprim17ROCPRIM_400000_NS6detail17trampoline_kernelINS0_14default_configENS1_20scan_config_selectorIdEEZZNS1_9scan_implILNS1_25lookback_scan_determinismE0ELb1ELb1ES3_N6thrust23THRUST_200600_302600_NS6detail15normal_iteratorINS9_10device_ptrIdEEEENS9_16discard_iteratorINS9_11use_defaultEEEd11max_functorIdEdEEDaPvRmT3_T4_T5_mT6_P12ihipStream_tbENKUlT_T0_E_clISt17integral_constantIbLb1EESW_IbLb0EEEEDaSS_ST_EUlSS_E_NS1_11comp_targetILNS1_3genE10ELNS1_11target_archE1200ELNS1_3gpuE4ELNS1_3repE0EEENS1_30default_config_static_selectorELNS0_4arch9wavefront6targetE1EEEvT1_, .Lfunc_end3104-_ZN7rocprim17ROCPRIM_400000_NS6detail17trampoline_kernelINS0_14default_configENS1_20scan_config_selectorIdEEZZNS1_9scan_implILNS1_25lookback_scan_determinismE0ELb1ELb1ES3_N6thrust23THRUST_200600_302600_NS6detail15normal_iteratorINS9_10device_ptrIdEEEENS9_16discard_iteratorINS9_11use_defaultEEEd11max_functorIdEdEEDaPvRmT3_T4_T5_mT6_P12ihipStream_tbENKUlT_T0_E_clISt17integral_constantIbLb1EESW_IbLb0EEEEDaSS_ST_EUlSS_E_NS1_11comp_targetILNS1_3genE10ELNS1_11target_archE1200ELNS1_3gpuE4ELNS1_3repE0EEENS1_30default_config_static_selectorELNS0_4arch9wavefront6targetE1EEEvT1_
                                        ; -- End function
	.section	.AMDGPU.csdata,"",@progbits
; Kernel info:
; codeLenInByte = 0
; NumSgprs: 4
; NumVgprs: 0
; NumAgprs: 0
; TotalNumVgprs: 0
; ScratchSize: 0
; MemoryBound: 0
; FloatMode: 240
; IeeeMode: 1
; LDSByteSize: 0 bytes/workgroup (compile time only)
; SGPRBlocks: 0
; VGPRBlocks: 0
; NumSGPRsForWavesPerEU: 4
; NumVGPRsForWavesPerEU: 1
; AccumOffset: 4
; Occupancy: 8
; WaveLimiterHint : 0
; COMPUTE_PGM_RSRC2:SCRATCH_EN: 0
; COMPUTE_PGM_RSRC2:USER_SGPR: 6
; COMPUTE_PGM_RSRC2:TRAP_HANDLER: 0
; COMPUTE_PGM_RSRC2:TGID_X_EN: 1
; COMPUTE_PGM_RSRC2:TGID_Y_EN: 0
; COMPUTE_PGM_RSRC2:TGID_Z_EN: 0
; COMPUTE_PGM_RSRC2:TIDIG_COMP_CNT: 0
; COMPUTE_PGM_RSRC3_GFX90A:ACCUM_OFFSET: 0
; COMPUTE_PGM_RSRC3_GFX90A:TG_SPLIT: 0
	.section	.text._ZN7rocprim17ROCPRIM_400000_NS6detail17trampoline_kernelINS0_14default_configENS1_20scan_config_selectorIdEEZZNS1_9scan_implILNS1_25lookback_scan_determinismE0ELb1ELb1ES3_N6thrust23THRUST_200600_302600_NS6detail15normal_iteratorINS9_10device_ptrIdEEEENS9_16discard_iteratorINS9_11use_defaultEEEd11max_functorIdEdEEDaPvRmT3_T4_T5_mT6_P12ihipStream_tbENKUlT_T0_E_clISt17integral_constantIbLb1EESW_IbLb0EEEEDaSS_ST_EUlSS_E_NS1_11comp_targetILNS1_3genE9ELNS1_11target_archE1100ELNS1_3gpuE3ELNS1_3repE0EEENS1_30default_config_static_selectorELNS0_4arch9wavefront6targetE1EEEvT1_,"axG",@progbits,_ZN7rocprim17ROCPRIM_400000_NS6detail17trampoline_kernelINS0_14default_configENS1_20scan_config_selectorIdEEZZNS1_9scan_implILNS1_25lookback_scan_determinismE0ELb1ELb1ES3_N6thrust23THRUST_200600_302600_NS6detail15normal_iteratorINS9_10device_ptrIdEEEENS9_16discard_iteratorINS9_11use_defaultEEEd11max_functorIdEdEEDaPvRmT3_T4_T5_mT6_P12ihipStream_tbENKUlT_T0_E_clISt17integral_constantIbLb1EESW_IbLb0EEEEDaSS_ST_EUlSS_E_NS1_11comp_targetILNS1_3genE9ELNS1_11target_archE1100ELNS1_3gpuE3ELNS1_3repE0EEENS1_30default_config_static_selectorELNS0_4arch9wavefront6targetE1EEEvT1_,comdat
	.protected	_ZN7rocprim17ROCPRIM_400000_NS6detail17trampoline_kernelINS0_14default_configENS1_20scan_config_selectorIdEEZZNS1_9scan_implILNS1_25lookback_scan_determinismE0ELb1ELb1ES3_N6thrust23THRUST_200600_302600_NS6detail15normal_iteratorINS9_10device_ptrIdEEEENS9_16discard_iteratorINS9_11use_defaultEEEd11max_functorIdEdEEDaPvRmT3_T4_T5_mT6_P12ihipStream_tbENKUlT_T0_E_clISt17integral_constantIbLb1EESW_IbLb0EEEEDaSS_ST_EUlSS_E_NS1_11comp_targetILNS1_3genE9ELNS1_11target_archE1100ELNS1_3gpuE3ELNS1_3repE0EEENS1_30default_config_static_selectorELNS0_4arch9wavefront6targetE1EEEvT1_ ; -- Begin function _ZN7rocprim17ROCPRIM_400000_NS6detail17trampoline_kernelINS0_14default_configENS1_20scan_config_selectorIdEEZZNS1_9scan_implILNS1_25lookback_scan_determinismE0ELb1ELb1ES3_N6thrust23THRUST_200600_302600_NS6detail15normal_iteratorINS9_10device_ptrIdEEEENS9_16discard_iteratorINS9_11use_defaultEEEd11max_functorIdEdEEDaPvRmT3_T4_T5_mT6_P12ihipStream_tbENKUlT_T0_E_clISt17integral_constantIbLb1EESW_IbLb0EEEEDaSS_ST_EUlSS_E_NS1_11comp_targetILNS1_3genE9ELNS1_11target_archE1100ELNS1_3gpuE3ELNS1_3repE0EEENS1_30default_config_static_selectorELNS0_4arch9wavefront6targetE1EEEvT1_
	.globl	_ZN7rocprim17ROCPRIM_400000_NS6detail17trampoline_kernelINS0_14default_configENS1_20scan_config_selectorIdEEZZNS1_9scan_implILNS1_25lookback_scan_determinismE0ELb1ELb1ES3_N6thrust23THRUST_200600_302600_NS6detail15normal_iteratorINS9_10device_ptrIdEEEENS9_16discard_iteratorINS9_11use_defaultEEEd11max_functorIdEdEEDaPvRmT3_T4_T5_mT6_P12ihipStream_tbENKUlT_T0_E_clISt17integral_constantIbLb1EESW_IbLb0EEEEDaSS_ST_EUlSS_E_NS1_11comp_targetILNS1_3genE9ELNS1_11target_archE1100ELNS1_3gpuE3ELNS1_3repE0EEENS1_30default_config_static_selectorELNS0_4arch9wavefront6targetE1EEEvT1_
	.p2align	8
	.type	_ZN7rocprim17ROCPRIM_400000_NS6detail17trampoline_kernelINS0_14default_configENS1_20scan_config_selectorIdEEZZNS1_9scan_implILNS1_25lookback_scan_determinismE0ELb1ELb1ES3_N6thrust23THRUST_200600_302600_NS6detail15normal_iteratorINS9_10device_ptrIdEEEENS9_16discard_iteratorINS9_11use_defaultEEEd11max_functorIdEdEEDaPvRmT3_T4_T5_mT6_P12ihipStream_tbENKUlT_T0_E_clISt17integral_constantIbLb1EESW_IbLb0EEEEDaSS_ST_EUlSS_E_NS1_11comp_targetILNS1_3genE9ELNS1_11target_archE1100ELNS1_3gpuE3ELNS1_3repE0EEENS1_30default_config_static_selectorELNS0_4arch9wavefront6targetE1EEEvT1_,@function
_ZN7rocprim17ROCPRIM_400000_NS6detail17trampoline_kernelINS0_14default_configENS1_20scan_config_selectorIdEEZZNS1_9scan_implILNS1_25lookback_scan_determinismE0ELb1ELb1ES3_N6thrust23THRUST_200600_302600_NS6detail15normal_iteratorINS9_10device_ptrIdEEEENS9_16discard_iteratorINS9_11use_defaultEEEd11max_functorIdEdEEDaPvRmT3_T4_T5_mT6_P12ihipStream_tbENKUlT_T0_E_clISt17integral_constantIbLb1EESW_IbLb0EEEEDaSS_ST_EUlSS_E_NS1_11comp_targetILNS1_3genE9ELNS1_11target_archE1100ELNS1_3gpuE3ELNS1_3repE0EEENS1_30default_config_static_selectorELNS0_4arch9wavefront6targetE1EEEvT1_: ; @_ZN7rocprim17ROCPRIM_400000_NS6detail17trampoline_kernelINS0_14default_configENS1_20scan_config_selectorIdEEZZNS1_9scan_implILNS1_25lookback_scan_determinismE0ELb1ELb1ES3_N6thrust23THRUST_200600_302600_NS6detail15normal_iteratorINS9_10device_ptrIdEEEENS9_16discard_iteratorINS9_11use_defaultEEEd11max_functorIdEdEEDaPvRmT3_T4_T5_mT6_P12ihipStream_tbENKUlT_T0_E_clISt17integral_constantIbLb1EESW_IbLb0EEEEDaSS_ST_EUlSS_E_NS1_11comp_targetILNS1_3genE9ELNS1_11target_archE1100ELNS1_3gpuE3ELNS1_3repE0EEENS1_30default_config_static_selectorELNS0_4arch9wavefront6targetE1EEEvT1_
; %bb.0:
	.section	.rodata,"a",@progbits
	.p2align	6, 0x0
	.amdhsa_kernel _ZN7rocprim17ROCPRIM_400000_NS6detail17trampoline_kernelINS0_14default_configENS1_20scan_config_selectorIdEEZZNS1_9scan_implILNS1_25lookback_scan_determinismE0ELb1ELb1ES3_N6thrust23THRUST_200600_302600_NS6detail15normal_iteratorINS9_10device_ptrIdEEEENS9_16discard_iteratorINS9_11use_defaultEEEd11max_functorIdEdEEDaPvRmT3_T4_T5_mT6_P12ihipStream_tbENKUlT_T0_E_clISt17integral_constantIbLb1EESW_IbLb0EEEEDaSS_ST_EUlSS_E_NS1_11comp_targetILNS1_3genE9ELNS1_11target_archE1100ELNS1_3gpuE3ELNS1_3repE0EEENS1_30default_config_static_selectorELNS0_4arch9wavefront6targetE1EEEvT1_
		.amdhsa_group_segment_fixed_size 0
		.amdhsa_private_segment_fixed_size 0
		.amdhsa_kernarg_size 112
		.amdhsa_user_sgpr_count 6
		.amdhsa_user_sgpr_private_segment_buffer 1
		.amdhsa_user_sgpr_dispatch_ptr 0
		.amdhsa_user_sgpr_queue_ptr 0
		.amdhsa_user_sgpr_kernarg_segment_ptr 1
		.amdhsa_user_sgpr_dispatch_id 0
		.amdhsa_user_sgpr_flat_scratch_init 0
		.amdhsa_user_sgpr_kernarg_preload_length 0
		.amdhsa_user_sgpr_kernarg_preload_offset 0
		.amdhsa_user_sgpr_private_segment_size 0
		.amdhsa_uses_dynamic_stack 0
		.amdhsa_system_sgpr_private_segment_wavefront_offset 0
		.amdhsa_system_sgpr_workgroup_id_x 1
		.amdhsa_system_sgpr_workgroup_id_y 0
		.amdhsa_system_sgpr_workgroup_id_z 0
		.amdhsa_system_sgpr_workgroup_info 0
		.amdhsa_system_vgpr_workitem_id 0
		.amdhsa_next_free_vgpr 1
		.amdhsa_next_free_sgpr 0
		.amdhsa_accum_offset 4
		.amdhsa_reserve_vcc 0
		.amdhsa_reserve_flat_scratch 0
		.amdhsa_float_round_mode_32 0
		.amdhsa_float_round_mode_16_64 0
		.amdhsa_float_denorm_mode_32 3
		.amdhsa_float_denorm_mode_16_64 3
		.amdhsa_dx10_clamp 1
		.amdhsa_ieee_mode 1
		.amdhsa_fp16_overflow 0
		.amdhsa_tg_split 0
		.amdhsa_exception_fp_ieee_invalid_op 0
		.amdhsa_exception_fp_denorm_src 0
		.amdhsa_exception_fp_ieee_div_zero 0
		.amdhsa_exception_fp_ieee_overflow 0
		.amdhsa_exception_fp_ieee_underflow 0
		.amdhsa_exception_fp_ieee_inexact 0
		.amdhsa_exception_int_div_zero 0
	.end_amdhsa_kernel
	.section	.text._ZN7rocprim17ROCPRIM_400000_NS6detail17trampoline_kernelINS0_14default_configENS1_20scan_config_selectorIdEEZZNS1_9scan_implILNS1_25lookback_scan_determinismE0ELb1ELb1ES3_N6thrust23THRUST_200600_302600_NS6detail15normal_iteratorINS9_10device_ptrIdEEEENS9_16discard_iteratorINS9_11use_defaultEEEd11max_functorIdEdEEDaPvRmT3_T4_T5_mT6_P12ihipStream_tbENKUlT_T0_E_clISt17integral_constantIbLb1EESW_IbLb0EEEEDaSS_ST_EUlSS_E_NS1_11comp_targetILNS1_3genE9ELNS1_11target_archE1100ELNS1_3gpuE3ELNS1_3repE0EEENS1_30default_config_static_selectorELNS0_4arch9wavefront6targetE1EEEvT1_,"axG",@progbits,_ZN7rocprim17ROCPRIM_400000_NS6detail17trampoline_kernelINS0_14default_configENS1_20scan_config_selectorIdEEZZNS1_9scan_implILNS1_25lookback_scan_determinismE0ELb1ELb1ES3_N6thrust23THRUST_200600_302600_NS6detail15normal_iteratorINS9_10device_ptrIdEEEENS9_16discard_iteratorINS9_11use_defaultEEEd11max_functorIdEdEEDaPvRmT3_T4_T5_mT6_P12ihipStream_tbENKUlT_T0_E_clISt17integral_constantIbLb1EESW_IbLb0EEEEDaSS_ST_EUlSS_E_NS1_11comp_targetILNS1_3genE9ELNS1_11target_archE1100ELNS1_3gpuE3ELNS1_3repE0EEENS1_30default_config_static_selectorELNS0_4arch9wavefront6targetE1EEEvT1_,comdat
.Lfunc_end3105:
	.size	_ZN7rocprim17ROCPRIM_400000_NS6detail17trampoline_kernelINS0_14default_configENS1_20scan_config_selectorIdEEZZNS1_9scan_implILNS1_25lookback_scan_determinismE0ELb1ELb1ES3_N6thrust23THRUST_200600_302600_NS6detail15normal_iteratorINS9_10device_ptrIdEEEENS9_16discard_iteratorINS9_11use_defaultEEEd11max_functorIdEdEEDaPvRmT3_T4_T5_mT6_P12ihipStream_tbENKUlT_T0_E_clISt17integral_constantIbLb1EESW_IbLb0EEEEDaSS_ST_EUlSS_E_NS1_11comp_targetILNS1_3genE9ELNS1_11target_archE1100ELNS1_3gpuE3ELNS1_3repE0EEENS1_30default_config_static_selectorELNS0_4arch9wavefront6targetE1EEEvT1_, .Lfunc_end3105-_ZN7rocprim17ROCPRIM_400000_NS6detail17trampoline_kernelINS0_14default_configENS1_20scan_config_selectorIdEEZZNS1_9scan_implILNS1_25lookback_scan_determinismE0ELb1ELb1ES3_N6thrust23THRUST_200600_302600_NS6detail15normal_iteratorINS9_10device_ptrIdEEEENS9_16discard_iteratorINS9_11use_defaultEEEd11max_functorIdEdEEDaPvRmT3_T4_T5_mT6_P12ihipStream_tbENKUlT_T0_E_clISt17integral_constantIbLb1EESW_IbLb0EEEEDaSS_ST_EUlSS_E_NS1_11comp_targetILNS1_3genE9ELNS1_11target_archE1100ELNS1_3gpuE3ELNS1_3repE0EEENS1_30default_config_static_selectorELNS0_4arch9wavefront6targetE1EEEvT1_
                                        ; -- End function
	.section	.AMDGPU.csdata,"",@progbits
; Kernel info:
; codeLenInByte = 0
; NumSgprs: 4
; NumVgprs: 0
; NumAgprs: 0
; TotalNumVgprs: 0
; ScratchSize: 0
; MemoryBound: 0
; FloatMode: 240
; IeeeMode: 1
; LDSByteSize: 0 bytes/workgroup (compile time only)
; SGPRBlocks: 0
; VGPRBlocks: 0
; NumSGPRsForWavesPerEU: 4
; NumVGPRsForWavesPerEU: 1
; AccumOffset: 4
; Occupancy: 8
; WaveLimiterHint : 0
; COMPUTE_PGM_RSRC2:SCRATCH_EN: 0
; COMPUTE_PGM_RSRC2:USER_SGPR: 6
; COMPUTE_PGM_RSRC2:TRAP_HANDLER: 0
; COMPUTE_PGM_RSRC2:TGID_X_EN: 1
; COMPUTE_PGM_RSRC2:TGID_Y_EN: 0
; COMPUTE_PGM_RSRC2:TGID_Z_EN: 0
; COMPUTE_PGM_RSRC2:TIDIG_COMP_CNT: 0
; COMPUTE_PGM_RSRC3_GFX90A:ACCUM_OFFSET: 0
; COMPUTE_PGM_RSRC3_GFX90A:TG_SPLIT: 0
	.section	.text._ZN7rocprim17ROCPRIM_400000_NS6detail17trampoline_kernelINS0_14default_configENS1_20scan_config_selectorIdEEZZNS1_9scan_implILNS1_25lookback_scan_determinismE0ELb1ELb1ES3_N6thrust23THRUST_200600_302600_NS6detail15normal_iteratorINS9_10device_ptrIdEEEENS9_16discard_iteratorINS9_11use_defaultEEEd11max_functorIdEdEEDaPvRmT3_T4_T5_mT6_P12ihipStream_tbENKUlT_T0_E_clISt17integral_constantIbLb1EESW_IbLb0EEEEDaSS_ST_EUlSS_E_NS1_11comp_targetILNS1_3genE8ELNS1_11target_archE1030ELNS1_3gpuE2ELNS1_3repE0EEENS1_30default_config_static_selectorELNS0_4arch9wavefront6targetE1EEEvT1_,"axG",@progbits,_ZN7rocprim17ROCPRIM_400000_NS6detail17trampoline_kernelINS0_14default_configENS1_20scan_config_selectorIdEEZZNS1_9scan_implILNS1_25lookback_scan_determinismE0ELb1ELb1ES3_N6thrust23THRUST_200600_302600_NS6detail15normal_iteratorINS9_10device_ptrIdEEEENS9_16discard_iteratorINS9_11use_defaultEEEd11max_functorIdEdEEDaPvRmT3_T4_T5_mT6_P12ihipStream_tbENKUlT_T0_E_clISt17integral_constantIbLb1EESW_IbLb0EEEEDaSS_ST_EUlSS_E_NS1_11comp_targetILNS1_3genE8ELNS1_11target_archE1030ELNS1_3gpuE2ELNS1_3repE0EEENS1_30default_config_static_selectorELNS0_4arch9wavefront6targetE1EEEvT1_,comdat
	.protected	_ZN7rocprim17ROCPRIM_400000_NS6detail17trampoline_kernelINS0_14default_configENS1_20scan_config_selectorIdEEZZNS1_9scan_implILNS1_25lookback_scan_determinismE0ELb1ELb1ES3_N6thrust23THRUST_200600_302600_NS6detail15normal_iteratorINS9_10device_ptrIdEEEENS9_16discard_iteratorINS9_11use_defaultEEEd11max_functorIdEdEEDaPvRmT3_T4_T5_mT6_P12ihipStream_tbENKUlT_T0_E_clISt17integral_constantIbLb1EESW_IbLb0EEEEDaSS_ST_EUlSS_E_NS1_11comp_targetILNS1_3genE8ELNS1_11target_archE1030ELNS1_3gpuE2ELNS1_3repE0EEENS1_30default_config_static_selectorELNS0_4arch9wavefront6targetE1EEEvT1_ ; -- Begin function _ZN7rocprim17ROCPRIM_400000_NS6detail17trampoline_kernelINS0_14default_configENS1_20scan_config_selectorIdEEZZNS1_9scan_implILNS1_25lookback_scan_determinismE0ELb1ELb1ES3_N6thrust23THRUST_200600_302600_NS6detail15normal_iteratorINS9_10device_ptrIdEEEENS9_16discard_iteratorINS9_11use_defaultEEEd11max_functorIdEdEEDaPvRmT3_T4_T5_mT6_P12ihipStream_tbENKUlT_T0_E_clISt17integral_constantIbLb1EESW_IbLb0EEEEDaSS_ST_EUlSS_E_NS1_11comp_targetILNS1_3genE8ELNS1_11target_archE1030ELNS1_3gpuE2ELNS1_3repE0EEENS1_30default_config_static_selectorELNS0_4arch9wavefront6targetE1EEEvT1_
	.globl	_ZN7rocprim17ROCPRIM_400000_NS6detail17trampoline_kernelINS0_14default_configENS1_20scan_config_selectorIdEEZZNS1_9scan_implILNS1_25lookback_scan_determinismE0ELb1ELb1ES3_N6thrust23THRUST_200600_302600_NS6detail15normal_iteratorINS9_10device_ptrIdEEEENS9_16discard_iteratorINS9_11use_defaultEEEd11max_functorIdEdEEDaPvRmT3_T4_T5_mT6_P12ihipStream_tbENKUlT_T0_E_clISt17integral_constantIbLb1EESW_IbLb0EEEEDaSS_ST_EUlSS_E_NS1_11comp_targetILNS1_3genE8ELNS1_11target_archE1030ELNS1_3gpuE2ELNS1_3repE0EEENS1_30default_config_static_selectorELNS0_4arch9wavefront6targetE1EEEvT1_
	.p2align	8
	.type	_ZN7rocprim17ROCPRIM_400000_NS6detail17trampoline_kernelINS0_14default_configENS1_20scan_config_selectorIdEEZZNS1_9scan_implILNS1_25lookback_scan_determinismE0ELb1ELb1ES3_N6thrust23THRUST_200600_302600_NS6detail15normal_iteratorINS9_10device_ptrIdEEEENS9_16discard_iteratorINS9_11use_defaultEEEd11max_functorIdEdEEDaPvRmT3_T4_T5_mT6_P12ihipStream_tbENKUlT_T0_E_clISt17integral_constantIbLb1EESW_IbLb0EEEEDaSS_ST_EUlSS_E_NS1_11comp_targetILNS1_3genE8ELNS1_11target_archE1030ELNS1_3gpuE2ELNS1_3repE0EEENS1_30default_config_static_selectorELNS0_4arch9wavefront6targetE1EEEvT1_,@function
_ZN7rocprim17ROCPRIM_400000_NS6detail17trampoline_kernelINS0_14default_configENS1_20scan_config_selectorIdEEZZNS1_9scan_implILNS1_25lookback_scan_determinismE0ELb1ELb1ES3_N6thrust23THRUST_200600_302600_NS6detail15normal_iteratorINS9_10device_ptrIdEEEENS9_16discard_iteratorINS9_11use_defaultEEEd11max_functorIdEdEEDaPvRmT3_T4_T5_mT6_P12ihipStream_tbENKUlT_T0_E_clISt17integral_constantIbLb1EESW_IbLb0EEEEDaSS_ST_EUlSS_E_NS1_11comp_targetILNS1_3genE8ELNS1_11target_archE1030ELNS1_3gpuE2ELNS1_3repE0EEENS1_30default_config_static_selectorELNS0_4arch9wavefront6targetE1EEEvT1_: ; @_ZN7rocprim17ROCPRIM_400000_NS6detail17trampoline_kernelINS0_14default_configENS1_20scan_config_selectorIdEEZZNS1_9scan_implILNS1_25lookback_scan_determinismE0ELb1ELb1ES3_N6thrust23THRUST_200600_302600_NS6detail15normal_iteratorINS9_10device_ptrIdEEEENS9_16discard_iteratorINS9_11use_defaultEEEd11max_functorIdEdEEDaPvRmT3_T4_T5_mT6_P12ihipStream_tbENKUlT_T0_E_clISt17integral_constantIbLb1EESW_IbLb0EEEEDaSS_ST_EUlSS_E_NS1_11comp_targetILNS1_3genE8ELNS1_11target_archE1030ELNS1_3gpuE2ELNS1_3repE0EEENS1_30default_config_static_selectorELNS0_4arch9wavefront6targetE1EEEvT1_
; %bb.0:
	.section	.rodata,"a",@progbits
	.p2align	6, 0x0
	.amdhsa_kernel _ZN7rocprim17ROCPRIM_400000_NS6detail17trampoline_kernelINS0_14default_configENS1_20scan_config_selectorIdEEZZNS1_9scan_implILNS1_25lookback_scan_determinismE0ELb1ELb1ES3_N6thrust23THRUST_200600_302600_NS6detail15normal_iteratorINS9_10device_ptrIdEEEENS9_16discard_iteratorINS9_11use_defaultEEEd11max_functorIdEdEEDaPvRmT3_T4_T5_mT6_P12ihipStream_tbENKUlT_T0_E_clISt17integral_constantIbLb1EESW_IbLb0EEEEDaSS_ST_EUlSS_E_NS1_11comp_targetILNS1_3genE8ELNS1_11target_archE1030ELNS1_3gpuE2ELNS1_3repE0EEENS1_30default_config_static_selectorELNS0_4arch9wavefront6targetE1EEEvT1_
		.amdhsa_group_segment_fixed_size 0
		.amdhsa_private_segment_fixed_size 0
		.amdhsa_kernarg_size 112
		.amdhsa_user_sgpr_count 6
		.amdhsa_user_sgpr_private_segment_buffer 1
		.amdhsa_user_sgpr_dispatch_ptr 0
		.amdhsa_user_sgpr_queue_ptr 0
		.amdhsa_user_sgpr_kernarg_segment_ptr 1
		.amdhsa_user_sgpr_dispatch_id 0
		.amdhsa_user_sgpr_flat_scratch_init 0
		.amdhsa_user_sgpr_kernarg_preload_length 0
		.amdhsa_user_sgpr_kernarg_preload_offset 0
		.amdhsa_user_sgpr_private_segment_size 0
		.amdhsa_uses_dynamic_stack 0
		.amdhsa_system_sgpr_private_segment_wavefront_offset 0
		.amdhsa_system_sgpr_workgroup_id_x 1
		.amdhsa_system_sgpr_workgroup_id_y 0
		.amdhsa_system_sgpr_workgroup_id_z 0
		.amdhsa_system_sgpr_workgroup_info 0
		.amdhsa_system_vgpr_workitem_id 0
		.amdhsa_next_free_vgpr 1
		.amdhsa_next_free_sgpr 0
		.amdhsa_accum_offset 4
		.amdhsa_reserve_vcc 0
		.amdhsa_reserve_flat_scratch 0
		.amdhsa_float_round_mode_32 0
		.amdhsa_float_round_mode_16_64 0
		.amdhsa_float_denorm_mode_32 3
		.amdhsa_float_denorm_mode_16_64 3
		.amdhsa_dx10_clamp 1
		.amdhsa_ieee_mode 1
		.amdhsa_fp16_overflow 0
		.amdhsa_tg_split 0
		.amdhsa_exception_fp_ieee_invalid_op 0
		.amdhsa_exception_fp_denorm_src 0
		.amdhsa_exception_fp_ieee_div_zero 0
		.amdhsa_exception_fp_ieee_overflow 0
		.amdhsa_exception_fp_ieee_underflow 0
		.amdhsa_exception_fp_ieee_inexact 0
		.amdhsa_exception_int_div_zero 0
	.end_amdhsa_kernel
	.section	.text._ZN7rocprim17ROCPRIM_400000_NS6detail17trampoline_kernelINS0_14default_configENS1_20scan_config_selectorIdEEZZNS1_9scan_implILNS1_25lookback_scan_determinismE0ELb1ELb1ES3_N6thrust23THRUST_200600_302600_NS6detail15normal_iteratorINS9_10device_ptrIdEEEENS9_16discard_iteratorINS9_11use_defaultEEEd11max_functorIdEdEEDaPvRmT3_T4_T5_mT6_P12ihipStream_tbENKUlT_T0_E_clISt17integral_constantIbLb1EESW_IbLb0EEEEDaSS_ST_EUlSS_E_NS1_11comp_targetILNS1_3genE8ELNS1_11target_archE1030ELNS1_3gpuE2ELNS1_3repE0EEENS1_30default_config_static_selectorELNS0_4arch9wavefront6targetE1EEEvT1_,"axG",@progbits,_ZN7rocprim17ROCPRIM_400000_NS6detail17trampoline_kernelINS0_14default_configENS1_20scan_config_selectorIdEEZZNS1_9scan_implILNS1_25lookback_scan_determinismE0ELb1ELb1ES3_N6thrust23THRUST_200600_302600_NS6detail15normal_iteratorINS9_10device_ptrIdEEEENS9_16discard_iteratorINS9_11use_defaultEEEd11max_functorIdEdEEDaPvRmT3_T4_T5_mT6_P12ihipStream_tbENKUlT_T0_E_clISt17integral_constantIbLb1EESW_IbLb0EEEEDaSS_ST_EUlSS_E_NS1_11comp_targetILNS1_3genE8ELNS1_11target_archE1030ELNS1_3gpuE2ELNS1_3repE0EEENS1_30default_config_static_selectorELNS0_4arch9wavefront6targetE1EEEvT1_,comdat
.Lfunc_end3106:
	.size	_ZN7rocprim17ROCPRIM_400000_NS6detail17trampoline_kernelINS0_14default_configENS1_20scan_config_selectorIdEEZZNS1_9scan_implILNS1_25lookback_scan_determinismE0ELb1ELb1ES3_N6thrust23THRUST_200600_302600_NS6detail15normal_iteratorINS9_10device_ptrIdEEEENS9_16discard_iteratorINS9_11use_defaultEEEd11max_functorIdEdEEDaPvRmT3_T4_T5_mT6_P12ihipStream_tbENKUlT_T0_E_clISt17integral_constantIbLb1EESW_IbLb0EEEEDaSS_ST_EUlSS_E_NS1_11comp_targetILNS1_3genE8ELNS1_11target_archE1030ELNS1_3gpuE2ELNS1_3repE0EEENS1_30default_config_static_selectorELNS0_4arch9wavefront6targetE1EEEvT1_, .Lfunc_end3106-_ZN7rocprim17ROCPRIM_400000_NS6detail17trampoline_kernelINS0_14default_configENS1_20scan_config_selectorIdEEZZNS1_9scan_implILNS1_25lookback_scan_determinismE0ELb1ELb1ES3_N6thrust23THRUST_200600_302600_NS6detail15normal_iteratorINS9_10device_ptrIdEEEENS9_16discard_iteratorINS9_11use_defaultEEEd11max_functorIdEdEEDaPvRmT3_T4_T5_mT6_P12ihipStream_tbENKUlT_T0_E_clISt17integral_constantIbLb1EESW_IbLb0EEEEDaSS_ST_EUlSS_E_NS1_11comp_targetILNS1_3genE8ELNS1_11target_archE1030ELNS1_3gpuE2ELNS1_3repE0EEENS1_30default_config_static_selectorELNS0_4arch9wavefront6targetE1EEEvT1_
                                        ; -- End function
	.section	.AMDGPU.csdata,"",@progbits
; Kernel info:
; codeLenInByte = 0
; NumSgprs: 4
; NumVgprs: 0
; NumAgprs: 0
; TotalNumVgprs: 0
; ScratchSize: 0
; MemoryBound: 0
; FloatMode: 240
; IeeeMode: 1
; LDSByteSize: 0 bytes/workgroup (compile time only)
; SGPRBlocks: 0
; VGPRBlocks: 0
; NumSGPRsForWavesPerEU: 4
; NumVGPRsForWavesPerEU: 1
; AccumOffset: 4
; Occupancy: 8
; WaveLimiterHint : 0
; COMPUTE_PGM_RSRC2:SCRATCH_EN: 0
; COMPUTE_PGM_RSRC2:USER_SGPR: 6
; COMPUTE_PGM_RSRC2:TRAP_HANDLER: 0
; COMPUTE_PGM_RSRC2:TGID_X_EN: 1
; COMPUTE_PGM_RSRC2:TGID_Y_EN: 0
; COMPUTE_PGM_RSRC2:TGID_Z_EN: 0
; COMPUTE_PGM_RSRC2:TIDIG_COMP_CNT: 0
; COMPUTE_PGM_RSRC3_GFX90A:ACCUM_OFFSET: 0
; COMPUTE_PGM_RSRC3_GFX90A:TG_SPLIT: 0
	.section	.text._ZN7rocprim17ROCPRIM_400000_NS6detail17trampoline_kernelINS0_14default_configENS1_20scan_config_selectorIdEEZZNS1_9scan_implILNS1_25lookback_scan_determinismE0ELb1ELb1ES3_N6thrust23THRUST_200600_302600_NS6detail15normal_iteratorINS9_10device_ptrIdEEEENS9_16discard_iteratorINS9_11use_defaultEEEd11max_functorIdEdEEDaPvRmT3_T4_T5_mT6_P12ihipStream_tbENKUlT_T0_E_clISt17integral_constantIbLb1EESW_IbLb0EEEEDaSS_ST_EUlSS_E0_NS1_11comp_targetILNS1_3genE0ELNS1_11target_archE4294967295ELNS1_3gpuE0ELNS1_3repE0EEENS1_30default_config_static_selectorELNS0_4arch9wavefront6targetE1EEEvT1_,"axG",@progbits,_ZN7rocprim17ROCPRIM_400000_NS6detail17trampoline_kernelINS0_14default_configENS1_20scan_config_selectorIdEEZZNS1_9scan_implILNS1_25lookback_scan_determinismE0ELb1ELb1ES3_N6thrust23THRUST_200600_302600_NS6detail15normal_iteratorINS9_10device_ptrIdEEEENS9_16discard_iteratorINS9_11use_defaultEEEd11max_functorIdEdEEDaPvRmT3_T4_T5_mT6_P12ihipStream_tbENKUlT_T0_E_clISt17integral_constantIbLb1EESW_IbLb0EEEEDaSS_ST_EUlSS_E0_NS1_11comp_targetILNS1_3genE0ELNS1_11target_archE4294967295ELNS1_3gpuE0ELNS1_3repE0EEENS1_30default_config_static_selectorELNS0_4arch9wavefront6targetE1EEEvT1_,comdat
	.protected	_ZN7rocprim17ROCPRIM_400000_NS6detail17trampoline_kernelINS0_14default_configENS1_20scan_config_selectorIdEEZZNS1_9scan_implILNS1_25lookback_scan_determinismE0ELb1ELb1ES3_N6thrust23THRUST_200600_302600_NS6detail15normal_iteratorINS9_10device_ptrIdEEEENS9_16discard_iteratorINS9_11use_defaultEEEd11max_functorIdEdEEDaPvRmT3_T4_T5_mT6_P12ihipStream_tbENKUlT_T0_E_clISt17integral_constantIbLb1EESW_IbLb0EEEEDaSS_ST_EUlSS_E0_NS1_11comp_targetILNS1_3genE0ELNS1_11target_archE4294967295ELNS1_3gpuE0ELNS1_3repE0EEENS1_30default_config_static_selectorELNS0_4arch9wavefront6targetE1EEEvT1_ ; -- Begin function _ZN7rocprim17ROCPRIM_400000_NS6detail17trampoline_kernelINS0_14default_configENS1_20scan_config_selectorIdEEZZNS1_9scan_implILNS1_25lookback_scan_determinismE0ELb1ELb1ES3_N6thrust23THRUST_200600_302600_NS6detail15normal_iteratorINS9_10device_ptrIdEEEENS9_16discard_iteratorINS9_11use_defaultEEEd11max_functorIdEdEEDaPvRmT3_T4_T5_mT6_P12ihipStream_tbENKUlT_T0_E_clISt17integral_constantIbLb1EESW_IbLb0EEEEDaSS_ST_EUlSS_E0_NS1_11comp_targetILNS1_3genE0ELNS1_11target_archE4294967295ELNS1_3gpuE0ELNS1_3repE0EEENS1_30default_config_static_selectorELNS0_4arch9wavefront6targetE1EEEvT1_
	.globl	_ZN7rocprim17ROCPRIM_400000_NS6detail17trampoline_kernelINS0_14default_configENS1_20scan_config_selectorIdEEZZNS1_9scan_implILNS1_25lookback_scan_determinismE0ELb1ELb1ES3_N6thrust23THRUST_200600_302600_NS6detail15normal_iteratorINS9_10device_ptrIdEEEENS9_16discard_iteratorINS9_11use_defaultEEEd11max_functorIdEdEEDaPvRmT3_T4_T5_mT6_P12ihipStream_tbENKUlT_T0_E_clISt17integral_constantIbLb1EESW_IbLb0EEEEDaSS_ST_EUlSS_E0_NS1_11comp_targetILNS1_3genE0ELNS1_11target_archE4294967295ELNS1_3gpuE0ELNS1_3repE0EEENS1_30default_config_static_selectorELNS0_4arch9wavefront6targetE1EEEvT1_
	.p2align	8
	.type	_ZN7rocprim17ROCPRIM_400000_NS6detail17trampoline_kernelINS0_14default_configENS1_20scan_config_selectorIdEEZZNS1_9scan_implILNS1_25lookback_scan_determinismE0ELb1ELb1ES3_N6thrust23THRUST_200600_302600_NS6detail15normal_iteratorINS9_10device_ptrIdEEEENS9_16discard_iteratorINS9_11use_defaultEEEd11max_functorIdEdEEDaPvRmT3_T4_T5_mT6_P12ihipStream_tbENKUlT_T0_E_clISt17integral_constantIbLb1EESW_IbLb0EEEEDaSS_ST_EUlSS_E0_NS1_11comp_targetILNS1_3genE0ELNS1_11target_archE4294967295ELNS1_3gpuE0ELNS1_3repE0EEENS1_30default_config_static_selectorELNS0_4arch9wavefront6targetE1EEEvT1_,@function
_ZN7rocprim17ROCPRIM_400000_NS6detail17trampoline_kernelINS0_14default_configENS1_20scan_config_selectorIdEEZZNS1_9scan_implILNS1_25lookback_scan_determinismE0ELb1ELb1ES3_N6thrust23THRUST_200600_302600_NS6detail15normal_iteratorINS9_10device_ptrIdEEEENS9_16discard_iteratorINS9_11use_defaultEEEd11max_functorIdEdEEDaPvRmT3_T4_T5_mT6_P12ihipStream_tbENKUlT_T0_E_clISt17integral_constantIbLb1EESW_IbLb0EEEEDaSS_ST_EUlSS_E0_NS1_11comp_targetILNS1_3genE0ELNS1_11target_archE4294967295ELNS1_3gpuE0ELNS1_3repE0EEENS1_30default_config_static_selectorELNS0_4arch9wavefront6targetE1EEEvT1_: ; @_ZN7rocprim17ROCPRIM_400000_NS6detail17trampoline_kernelINS0_14default_configENS1_20scan_config_selectorIdEEZZNS1_9scan_implILNS1_25lookback_scan_determinismE0ELb1ELb1ES3_N6thrust23THRUST_200600_302600_NS6detail15normal_iteratorINS9_10device_ptrIdEEEENS9_16discard_iteratorINS9_11use_defaultEEEd11max_functorIdEdEEDaPvRmT3_T4_T5_mT6_P12ihipStream_tbENKUlT_T0_E_clISt17integral_constantIbLb1EESW_IbLb0EEEEDaSS_ST_EUlSS_E0_NS1_11comp_targetILNS1_3genE0ELNS1_11target_archE4294967295ELNS1_3gpuE0ELNS1_3repE0EEENS1_30default_config_static_selectorELNS0_4arch9wavefront6targetE1EEEvT1_
; %bb.0:
	.section	.rodata,"a",@progbits
	.p2align	6, 0x0
	.amdhsa_kernel _ZN7rocprim17ROCPRIM_400000_NS6detail17trampoline_kernelINS0_14default_configENS1_20scan_config_selectorIdEEZZNS1_9scan_implILNS1_25lookback_scan_determinismE0ELb1ELb1ES3_N6thrust23THRUST_200600_302600_NS6detail15normal_iteratorINS9_10device_ptrIdEEEENS9_16discard_iteratorINS9_11use_defaultEEEd11max_functorIdEdEEDaPvRmT3_T4_T5_mT6_P12ihipStream_tbENKUlT_T0_E_clISt17integral_constantIbLb1EESW_IbLb0EEEEDaSS_ST_EUlSS_E0_NS1_11comp_targetILNS1_3genE0ELNS1_11target_archE4294967295ELNS1_3gpuE0ELNS1_3repE0EEENS1_30default_config_static_selectorELNS0_4arch9wavefront6targetE1EEEvT1_
		.amdhsa_group_segment_fixed_size 0
		.amdhsa_private_segment_fixed_size 0
		.amdhsa_kernarg_size 48
		.amdhsa_user_sgpr_count 6
		.amdhsa_user_sgpr_private_segment_buffer 1
		.amdhsa_user_sgpr_dispatch_ptr 0
		.amdhsa_user_sgpr_queue_ptr 0
		.amdhsa_user_sgpr_kernarg_segment_ptr 1
		.amdhsa_user_sgpr_dispatch_id 0
		.amdhsa_user_sgpr_flat_scratch_init 0
		.amdhsa_user_sgpr_kernarg_preload_length 0
		.amdhsa_user_sgpr_kernarg_preload_offset 0
		.amdhsa_user_sgpr_private_segment_size 0
		.amdhsa_uses_dynamic_stack 0
		.amdhsa_system_sgpr_private_segment_wavefront_offset 0
		.amdhsa_system_sgpr_workgroup_id_x 1
		.amdhsa_system_sgpr_workgroup_id_y 0
		.amdhsa_system_sgpr_workgroup_id_z 0
		.amdhsa_system_sgpr_workgroup_info 0
		.amdhsa_system_vgpr_workitem_id 0
		.amdhsa_next_free_vgpr 1
		.amdhsa_next_free_sgpr 0
		.amdhsa_accum_offset 4
		.amdhsa_reserve_vcc 0
		.amdhsa_reserve_flat_scratch 0
		.amdhsa_float_round_mode_32 0
		.amdhsa_float_round_mode_16_64 0
		.amdhsa_float_denorm_mode_32 3
		.amdhsa_float_denorm_mode_16_64 3
		.amdhsa_dx10_clamp 1
		.amdhsa_ieee_mode 1
		.amdhsa_fp16_overflow 0
		.amdhsa_tg_split 0
		.amdhsa_exception_fp_ieee_invalid_op 0
		.amdhsa_exception_fp_denorm_src 0
		.amdhsa_exception_fp_ieee_div_zero 0
		.amdhsa_exception_fp_ieee_overflow 0
		.amdhsa_exception_fp_ieee_underflow 0
		.amdhsa_exception_fp_ieee_inexact 0
		.amdhsa_exception_int_div_zero 0
	.end_amdhsa_kernel
	.section	.text._ZN7rocprim17ROCPRIM_400000_NS6detail17trampoline_kernelINS0_14default_configENS1_20scan_config_selectorIdEEZZNS1_9scan_implILNS1_25lookback_scan_determinismE0ELb1ELb1ES3_N6thrust23THRUST_200600_302600_NS6detail15normal_iteratorINS9_10device_ptrIdEEEENS9_16discard_iteratorINS9_11use_defaultEEEd11max_functorIdEdEEDaPvRmT3_T4_T5_mT6_P12ihipStream_tbENKUlT_T0_E_clISt17integral_constantIbLb1EESW_IbLb0EEEEDaSS_ST_EUlSS_E0_NS1_11comp_targetILNS1_3genE0ELNS1_11target_archE4294967295ELNS1_3gpuE0ELNS1_3repE0EEENS1_30default_config_static_selectorELNS0_4arch9wavefront6targetE1EEEvT1_,"axG",@progbits,_ZN7rocprim17ROCPRIM_400000_NS6detail17trampoline_kernelINS0_14default_configENS1_20scan_config_selectorIdEEZZNS1_9scan_implILNS1_25lookback_scan_determinismE0ELb1ELb1ES3_N6thrust23THRUST_200600_302600_NS6detail15normal_iteratorINS9_10device_ptrIdEEEENS9_16discard_iteratorINS9_11use_defaultEEEd11max_functorIdEdEEDaPvRmT3_T4_T5_mT6_P12ihipStream_tbENKUlT_T0_E_clISt17integral_constantIbLb1EESW_IbLb0EEEEDaSS_ST_EUlSS_E0_NS1_11comp_targetILNS1_3genE0ELNS1_11target_archE4294967295ELNS1_3gpuE0ELNS1_3repE0EEENS1_30default_config_static_selectorELNS0_4arch9wavefront6targetE1EEEvT1_,comdat
.Lfunc_end3107:
	.size	_ZN7rocprim17ROCPRIM_400000_NS6detail17trampoline_kernelINS0_14default_configENS1_20scan_config_selectorIdEEZZNS1_9scan_implILNS1_25lookback_scan_determinismE0ELb1ELb1ES3_N6thrust23THRUST_200600_302600_NS6detail15normal_iteratorINS9_10device_ptrIdEEEENS9_16discard_iteratorINS9_11use_defaultEEEd11max_functorIdEdEEDaPvRmT3_T4_T5_mT6_P12ihipStream_tbENKUlT_T0_E_clISt17integral_constantIbLb1EESW_IbLb0EEEEDaSS_ST_EUlSS_E0_NS1_11comp_targetILNS1_3genE0ELNS1_11target_archE4294967295ELNS1_3gpuE0ELNS1_3repE0EEENS1_30default_config_static_selectorELNS0_4arch9wavefront6targetE1EEEvT1_, .Lfunc_end3107-_ZN7rocprim17ROCPRIM_400000_NS6detail17trampoline_kernelINS0_14default_configENS1_20scan_config_selectorIdEEZZNS1_9scan_implILNS1_25lookback_scan_determinismE0ELb1ELb1ES3_N6thrust23THRUST_200600_302600_NS6detail15normal_iteratorINS9_10device_ptrIdEEEENS9_16discard_iteratorINS9_11use_defaultEEEd11max_functorIdEdEEDaPvRmT3_T4_T5_mT6_P12ihipStream_tbENKUlT_T0_E_clISt17integral_constantIbLb1EESW_IbLb0EEEEDaSS_ST_EUlSS_E0_NS1_11comp_targetILNS1_3genE0ELNS1_11target_archE4294967295ELNS1_3gpuE0ELNS1_3repE0EEENS1_30default_config_static_selectorELNS0_4arch9wavefront6targetE1EEEvT1_
                                        ; -- End function
	.section	.AMDGPU.csdata,"",@progbits
; Kernel info:
; codeLenInByte = 0
; NumSgprs: 4
; NumVgprs: 0
; NumAgprs: 0
; TotalNumVgprs: 0
; ScratchSize: 0
; MemoryBound: 0
; FloatMode: 240
; IeeeMode: 1
; LDSByteSize: 0 bytes/workgroup (compile time only)
; SGPRBlocks: 0
; VGPRBlocks: 0
; NumSGPRsForWavesPerEU: 4
; NumVGPRsForWavesPerEU: 1
; AccumOffset: 4
; Occupancy: 8
; WaveLimiterHint : 0
; COMPUTE_PGM_RSRC2:SCRATCH_EN: 0
; COMPUTE_PGM_RSRC2:USER_SGPR: 6
; COMPUTE_PGM_RSRC2:TRAP_HANDLER: 0
; COMPUTE_PGM_RSRC2:TGID_X_EN: 1
; COMPUTE_PGM_RSRC2:TGID_Y_EN: 0
; COMPUTE_PGM_RSRC2:TGID_Z_EN: 0
; COMPUTE_PGM_RSRC2:TIDIG_COMP_CNT: 0
; COMPUTE_PGM_RSRC3_GFX90A:ACCUM_OFFSET: 0
; COMPUTE_PGM_RSRC3_GFX90A:TG_SPLIT: 0
	.section	.text._ZN7rocprim17ROCPRIM_400000_NS6detail17trampoline_kernelINS0_14default_configENS1_20scan_config_selectorIdEEZZNS1_9scan_implILNS1_25lookback_scan_determinismE0ELb1ELb1ES3_N6thrust23THRUST_200600_302600_NS6detail15normal_iteratorINS9_10device_ptrIdEEEENS9_16discard_iteratorINS9_11use_defaultEEEd11max_functorIdEdEEDaPvRmT3_T4_T5_mT6_P12ihipStream_tbENKUlT_T0_E_clISt17integral_constantIbLb1EESW_IbLb0EEEEDaSS_ST_EUlSS_E0_NS1_11comp_targetILNS1_3genE5ELNS1_11target_archE942ELNS1_3gpuE9ELNS1_3repE0EEENS1_30default_config_static_selectorELNS0_4arch9wavefront6targetE1EEEvT1_,"axG",@progbits,_ZN7rocprim17ROCPRIM_400000_NS6detail17trampoline_kernelINS0_14default_configENS1_20scan_config_selectorIdEEZZNS1_9scan_implILNS1_25lookback_scan_determinismE0ELb1ELb1ES3_N6thrust23THRUST_200600_302600_NS6detail15normal_iteratorINS9_10device_ptrIdEEEENS9_16discard_iteratorINS9_11use_defaultEEEd11max_functorIdEdEEDaPvRmT3_T4_T5_mT6_P12ihipStream_tbENKUlT_T0_E_clISt17integral_constantIbLb1EESW_IbLb0EEEEDaSS_ST_EUlSS_E0_NS1_11comp_targetILNS1_3genE5ELNS1_11target_archE942ELNS1_3gpuE9ELNS1_3repE0EEENS1_30default_config_static_selectorELNS0_4arch9wavefront6targetE1EEEvT1_,comdat
	.protected	_ZN7rocprim17ROCPRIM_400000_NS6detail17trampoline_kernelINS0_14default_configENS1_20scan_config_selectorIdEEZZNS1_9scan_implILNS1_25lookback_scan_determinismE0ELb1ELb1ES3_N6thrust23THRUST_200600_302600_NS6detail15normal_iteratorINS9_10device_ptrIdEEEENS9_16discard_iteratorINS9_11use_defaultEEEd11max_functorIdEdEEDaPvRmT3_T4_T5_mT6_P12ihipStream_tbENKUlT_T0_E_clISt17integral_constantIbLb1EESW_IbLb0EEEEDaSS_ST_EUlSS_E0_NS1_11comp_targetILNS1_3genE5ELNS1_11target_archE942ELNS1_3gpuE9ELNS1_3repE0EEENS1_30default_config_static_selectorELNS0_4arch9wavefront6targetE1EEEvT1_ ; -- Begin function _ZN7rocprim17ROCPRIM_400000_NS6detail17trampoline_kernelINS0_14default_configENS1_20scan_config_selectorIdEEZZNS1_9scan_implILNS1_25lookback_scan_determinismE0ELb1ELb1ES3_N6thrust23THRUST_200600_302600_NS6detail15normal_iteratorINS9_10device_ptrIdEEEENS9_16discard_iteratorINS9_11use_defaultEEEd11max_functorIdEdEEDaPvRmT3_T4_T5_mT6_P12ihipStream_tbENKUlT_T0_E_clISt17integral_constantIbLb1EESW_IbLb0EEEEDaSS_ST_EUlSS_E0_NS1_11comp_targetILNS1_3genE5ELNS1_11target_archE942ELNS1_3gpuE9ELNS1_3repE0EEENS1_30default_config_static_selectorELNS0_4arch9wavefront6targetE1EEEvT1_
	.globl	_ZN7rocprim17ROCPRIM_400000_NS6detail17trampoline_kernelINS0_14default_configENS1_20scan_config_selectorIdEEZZNS1_9scan_implILNS1_25lookback_scan_determinismE0ELb1ELb1ES3_N6thrust23THRUST_200600_302600_NS6detail15normal_iteratorINS9_10device_ptrIdEEEENS9_16discard_iteratorINS9_11use_defaultEEEd11max_functorIdEdEEDaPvRmT3_T4_T5_mT6_P12ihipStream_tbENKUlT_T0_E_clISt17integral_constantIbLb1EESW_IbLb0EEEEDaSS_ST_EUlSS_E0_NS1_11comp_targetILNS1_3genE5ELNS1_11target_archE942ELNS1_3gpuE9ELNS1_3repE0EEENS1_30default_config_static_selectorELNS0_4arch9wavefront6targetE1EEEvT1_
	.p2align	8
	.type	_ZN7rocprim17ROCPRIM_400000_NS6detail17trampoline_kernelINS0_14default_configENS1_20scan_config_selectorIdEEZZNS1_9scan_implILNS1_25lookback_scan_determinismE0ELb1ELb1ES3_N6thrust23THRUST_200600_302600_NS6detail15normal_iteratorINS9_10device_ptrIdEEEENS9_16discard_iteratorINS9_11use_defaultEEEd11max_functorIdEdEEDaPvRmT3_T4_T5_mT6_P12ihipStream_tbENKUlT_T0_E_clISt17integral_constantIbLb1EESW_IbLb0EEEEDaSS_ST_EUlSS_E0_NS1_11comp_targetILNS1_3genE5ELNS1_11target_archE942ELNS1_3gpuE9ELNS1_3repE0EEENS1_30default_config_static_selectorELNS0_4arch9wavefront6targetE1EEEvT1_,@function
_ZN7rocprim17ROCPRIM_400000_NS6detail17trampoline_kernelINS0_14default_configENS1_20scan_config_selectorIdEEZZNS1_9scan_implILNS1_25lookback_scan_determinismE0ELb1ELb1ES3_N6thrust23THRUST_200600_302600_NS6detail15normal_iteratorINS9_10device_ptrIdEEEENS9_16discard_iteratorINS9_11use_defaultEEEd11max_functorIdEdEEDaPvRmT3_T4_T5_mT6_P12ihipStream_tbENKUlT_T0_E_clISt17integral_constantIbLb1EESW_IbLb0EEEEDaSS_ST_EUlSS_E0_NS1_11comp_targetILNS1_3genE5ELNS1_11target_archE942ELNS1_3gpuE9ELNS1_3repE0EEENS1_30default_config_static_selectorELNS0_4arch9wavefront6targetE1EEEvT1_: ; @_ZN7rocprim17ROCPRIM_400000_NS6detail17trampoline_kernelINS0_14default_configENS1_20scan_config_selectorIdEEZZNS1_9scan_implILNS1_25lookback_scan_determinismE0ELb1ELb1ES3_N6thrust23THRUST_200600_302600_NS6detail15normal_iteratorINS9_10device_ptrIdEEEENS9_16discard_iteratorINS9_11use_defaultEEEd11max_functorIdEdEEDaPvRmT3_T4_T5_mT6_P12ihipStream_tbENKUlT_T0_E_clISt17integral_constantIbLb1EESW_IbLb0EEEEDaSS_ST_EUlSS_E0_NS1_11comp_targetILNS1_3genE5ELNS1_11target_archE942ELNS1_3gpuE9ELNS1_3repE0EEENS1_30default_config_static_selectorELNS0_4arch9wavefront6targetE1EEEvT1_
; %bb.0:
	.section	.rodata,"a",@progbits
	.p2align	6, 0x0
	.amdhsa_kernel _ZN7rocprim17ROCPRIM_400000_NS6detail17trampoline_kernelINS0_14default_configENS1_20scan_config_selectorIdEEZZNS1_9scan_implILNS1_25lookback_scan_determinismE0ELb1ELb1ES3_N6thrust23THRUST_200600_302600_NS6detail15normal_iteratorINS9_10device_ptrIdEEEENS9_16discard_iteratorINS9_11use_defaultEEEd11max_functorIdEdEEDaPvRmT3_T4_T5_mT6_P12ihipStream_tbENKUlT_T0_E_clISt17integral_constantIbLb1EESW_IbLb0EEEEDaSS_ST_EUlSS_E0_NS1_11comp_targetILNS1_3genE5ELNS1_11target_archE942ELNS1_3gpuE9ELNS1_3repE0EEENS1_30default_config_static_selectorELNS0_4arch9wavefront6targetE1EEEvT1_
		.amdhsa_group_segment_fixed_size 0
		.amdhsa_private_segment_fixed_size 0
		.amdhsa_kernarg_size 48
		.amdhsa_user_sgpr_count 6
		.amdhsa_user_sgpr_private_segment_buffer 1
		.amdhsa_user_sgpr_dispatch_ptr 0
		.amdhsa_user_sgpr_queue_ptr 0
		.amdhsa_user_sgpr_kernarg_segment_ptr 1
		.amdhsa_user_sgpr_dispatch_id 0
		.amdhsa_user_sgpr_flat_scratch_init 0
		.amdhsa_user_sgpr_kernarg_preload_length 0
		.amdhsa_user_sgpr_kernarg_preload_offset 0
		.amdhsa_user_sgpr_private_segment_size 0
		.amdhsa_uses_dynamic_stack 0
		.amdhsa_system_sgpr_private_segment_wavefront_offset 0
		.amdhsa_system_sgpr_workgroup_id_x 1
		.amdhsa_system_sgpr_workgroup_id_y 0
		.amdhsa_system_sgpr_workgroup_id_z 0
		.amdhsa_system_sgpr_workgroup_info 0
		.amdhsa_system_vgpr_workitem_id 0
		.amdhsa_next_free_vgpr 1
		.amdhsa_next_free_sgpr 0
		.amdhsa_accum_offset 4
		.amdhsa_reserve_vcc 0
		.amdhsa_reserve_flat_scratch 0
		.amdhsa_float_round_mode_32 0
		.amdhsa_float_round_mode_16_64 0
		.amdhsa_float_denorm_mode_32 3
		.amdhsa_float_denorm_mode_16_64 3
		.amdhsa_dx10_clamp 1
		.amdhsa_ieee_mode 1
		.amdhsa_fp16_overflow 0
		.amdhsa_tg_split 0
		.amdhsa_exception_fp_ieee_invalid_op 0
		.amdhsa_exception_fp_denorm_src 0
		.amdhsa_exception_fp_ieee_div_zero 0
		.amdhsa_exception_fp_ieee_overflow 0
		.amdhsa_exception_fp_ieee_underflow 0
		.amdhsa_exception_fp_ieee_inexact 0
		.amdhsa_exception_int_div_zero 0
	.end_amdhsa_kernel
	.section	.text._ZN7rocprim17ROCPRIM_400000_NS6detail17trampoline_kernelINS0_14default_configENS1_20scan_config_selectorIdEEZZNS1_9scan_implILNS1_25lookback_scan_determinismE0ELb1ELb1ES3_N6thrust23THRUST_200600_302600_NS6detail15normal_iteratorINS9_10device_ptrIdEEEENS9_16discard_iteratorINS9_11use_defaultEEEd11max_functorIdEdEEDaPvRmT3_T4_T5_mT6_P12ihipStream_tbENKUlT_T0_E_clISt17integral_constantIbLb1EESW_IbLb0EEEEDaSS_ST_EUlSS_E0_NS1_11comp_targetILNS1_3genE5ELNS1_11target_archE942ELNS1_3gpuE9ELNS1_3repE0EEENS1_30default_config_static_selectorELNS0_4arch9wavefront6targetE1EEEvT1_,"axG",@progbits,_ZN7rocprim17ROCPRIM_400000_NS6detail17trampoline_kernelINS0_14default_configENS1_20scan_config_selectorIdEEZZNS1_9scan_implILNS1_25lookback_scan_determinismE0ELb1ELb1ES3_N6thrust23THRUST_200600_302600_NS6detail15normal_iteratorINS9_10device_ptrIdEEEENS9_16discard_iteratorINS9_11use_defaultEEEd11max_functorIdEdEEDaPvRmT3_T4_T5_mT6_P12ihipStream_tbENKUlT_T0_E_clISt17integral_constantIbLb1EESW_IbLb0EEEEDaSS_ST_EUlSS_E0_NS1_11comp_targetILNS1_3genE5ELNS1_11target_archE942ELNS1_3gpuE9ELNS1_3repE0EEENS1_30default_config_static_selectorELNS0_4arch9wavefront6targetE1EEEvT1_,comdat
.Lfunc_end3108:
	.size	_ZN7rocprim17ROCPRIM_400000_NS6detail17trampoline_kernelINS0_14default_configENS1_20scan_config_selectorIdEEZZNS1_9scan_implILNS1_25lookback_scan_determinismE0ELb1ELb1ES3_N6thrust23THRUST_200600_302600_NS6detail15normal_iteratorINS9_10device_ptrIdEEEENS9_16discard_iteratorINS9_11use_defaultEEEd11max_functorIdEdEEDaPvRmT3_T4_T5_mT6_P12ihipStream_tbENKUlT_T0_E_clISt17integral_constantIbLb1EESW_IbLb0EEEEDaSS_ST_EUlSS_E0_NS1_11comp_targetILNS1_3genE5ELNS1_11target_archE942ELNS1_3gpuE9ELNS1_3repE0EEENS1_30default_config_static_selectorELNS0_4arch9wavefront6targetE1EEEvT1_, .Lfunc_end3108-_ZN7rocprim17ROCPRIM_400000_NS6detail17trampoline_kernelINS0_14default_configENS1_20scan_config_selectorIdEEZZNS1_9scan_implILNS1_25lookback_scan_determinismE0ELb1ELb1ES3_N6thrust23THRUST_200600_302600_NS6detail15normal_iteratorINS9_10device_ptrIdEEEENS9_16discard_iteratorINS9_11use_defaultEEEd11max_functorIdEdEEDaPvRmT3_T4_T5_mT6_P12ihipStream_tbENKUlT_T0_E_clISt17integral_constantIbLb1EESW_IbLb0EEEEDaSS_ST_EUlSS_E0_NS1_11comp_targetILNS1_3genE5ELNS1_11target_archE942ELNS1_3gpuE9ELNS1_3repE0EEENS1_30default_config_static_selectorELNS0_4arch9wavefront6targetE1EEEvT1_
                                        ; -- End function
	.section	.AMDGPU.csdata,"",@progbits
; Kernel info:
; codeLenInByte = 0
; NumSgprs: 4
; NumVgprs: 0
; NumAgprs: 0
; TotalNumVgprs: 0
; ScratchSize: 0
; MemoryBound: 0
; FloatMode: 240
; IeeeMode: 1
; LDSByteSize: 0 bytes/workgroup (compile time only)
; SGPRBlocks: 0
; VGPRBlocks: 0
; NumSGPRsForWavesPerEU: 4
; NumVGPRsForWavesPerEU: 1
; AccumOffset: 4
; Occupancy: 8
; WaveLimiterHint : 0
; COMPUTE_PGM_RSRC2:SCRATCH_EN: 0
; COMPUTE_PGM_RSRC2:USER_SGPR: 6
; COMPUTE_PGM_RSRC2:TRAP_HANDLER: 0
; COMPUTE_PGM_RSRC2:TGID_X_EN: 1
; COMPUTE_PGM_RSRC2:TGID_Y_EN: 0
; COMPUTE_PGM_RSRC2:TGID_Z_EN: 0
; COMPUTE_PGM_RSRC2:TIDIG_COMP_CNT: 0
; COMPUTE_PGM_RSRC3_GFX90A:ACCUM_OFFSET: 0
; COMPUTE_PGM_RSRC3_GFX90A:TG_SPLIT: 0
	.section	.text._ZN7rocprim17ROCPRIM_400000_NS6detail17trampoline_kernelINS0_14default_configENS1_20scan_config_selectorIdEEZZNS1_9scan_implILNS1_25lookback_scan_determinismE0ELb1ELb1ES3_N6thrust23THRUST_200600_302600_NS6detail15normal_iteratorINS9_10device_ptrIdEEEENS9_16discard_iteratorINS9_11use_defaultEEEd11max_functorIdEdEEDaPvRmT3_T4_T5_mT6_P12ihipStream_tbENKUlT_T0_E_clISt17integral_constantIbLb1EESW_IbLb0EEEEDaSS_ST_EUlSS_E0_NS1_11comp_targetILNS1_3genE4ELNS1_11target_archE910ELNS1_3gpuE8ELNS1_3repE0EEENS1_30default_config_static_selectorELNS0_4arch9wavefront6targetE1EEEvT1_,"axG",@progbits,_ZN7rocprim17ROCPRIM_400000_NS6detail17trampoline_kernelINS0_14default_configENS1_20scan_config_selectorIdEEZZNS1_9scan_implILNS1_25lookback_scan_determinismE0ELb1ELb1ES3_N6thrust23THRUST_200600_302600_NS6detail15normal_iteratorINS9_10device_ptrIdEEEENS9_16discard_iteratorINS9_11use_defaultEEEd11max_functorIdEdEEDaPvRmT3_T4_T5_mT6_P12ihipStream_tbENKUlT_T0_E_clISt17integral_constantIbLb1EESW_IbLb0EEEEDaSS_ST_EUlSS_E0_NS1_11comp_targetILNS1_3genE4ELNS1_11target_archE910ELNS1_3gpuE8ELNS1_3repE0EEENS1_30default_config_static_selectorELNS0_4arch9wavefront6targetE1EEEvT1_,comdat
	.protected	_ZN7rocprim17ROCPRIM_400000_NS6detail17trampoline_kernelINS0_14default_configENS1_20scan_config_selectorIdEEZZNS1_9scan_implILNS1_25lookback_scan_determinismE0ELb1ELb1ES3_N6thrust23THRUST_200600_302600_NS6detail15normal_iteratorINS9_10device_ptrIdEEEENS9_16discard_iteratorINS9_11use_defaultEEEd11max_functorIdEdEEDaPvRmT3_T4_T5_mT6_P12ihipStream_tbENKUlT_T0_E_clISt17integral_constantIbLb1EESW_IbLb0EEEEDaSS_ST_EUlSS_E0_NS1_11comp_targetILNS1_3genE4ELNS1_11target_archE910ELNS1_3gpuE8ELNS1_3repE0EEENS1_30default_config_static_selectorELNS0_4arch9wavefront6targetE1EEEvT1_ ; -- Begin function _ZN7rocprim17ROCPRIM_400000_NS6detail17trampoline_kernelINS0_14default_configENS1_20scan_config_selectorIdEEZZNS1_9scan_implILNS1_25lookback_scan_determinismE0ELb1ELb1ES3_N6thrust23THRUST_200600_302600_NS6detail15normal_iteratorINS9_10device_ptrIdEEEENS9_16discard_iteratorINS9_11use_defaultEEEd11max_functorIdEdEEDaPvRmT3_T4_T5_mT6_P12ihipStream_tbENKUlT_T0_E_clISt17integral_constantIbLb1EESW_IbLb0EEEEDaSS_ST_EUlSS_E0_NS1_11comp_targetILNS1_3genE4ELNS1_11target_archE910ELNS1_3gpuE8ELNS1_3repE0EEENS1_30default_config_static_selectorELNS0_4arch9wavefront6targetE1EEEvT1_
	.globl	_ZN7rocprim17ROCPRIM_400000_NS6detail17trampoline_kernelINS0_14default_configENS1_20scan_config_selectorIdEEZZNS1_9scan_implILNS1_25lookback_scan_determinismE0ELb1ELb1ES3_N6thrust23THRUST_200600_302600_NS6detail15normal_iteratorINS9_10device_ptrIdEEEENS9_16discard_iteratorINS9_11use_defaultEEEd11max_functorIdEdEEDaPvRmT3_T4_T5_mT6_P12ihipStream_tbENKUlT_T0_E_clISt17integral_constantIbLb1EESW_IbLb0EEEEDaSS_ST_EUlSS_E0_NS1_11comp_targetILNS1_3genE4ELNS1_11target_archE910ELNS1_3gpuE8ELNS1_3repE0EEENS1_30default_config_static_selectorELNS0_4arch9wavefront6targetE1EEEvT1_
	.p2align	8
	.type	_ZN7rocprim17ROCPRIM_400000_NS6detail17trampoline_kernelINS0_14default_configENS1_20scan_config_selectorIdEEZZNS1_9scan_implILNS1_25lookback_scan_determinismE0ELb1ELb1ES3_N6thrust23THRUST_200600_302600_NS6detail15normal_iteratorINS9_10device_ptrIdEEEENS9_16discard_iteratorINS9_11use_defaultEEEd11max_functorIdEdEEDaPvRmT3_T4_T5_mT6_P12ihipStream_tbENKUlT_T0_E_clISt17integral_constantIbLb1EESW_IbLb0EEEEDaSS_ST_EUlSS_E0_NS1_11comp_targetILNS1_3genE4ELNS1_11target_archE910ELNS1_3gpuE8ELNS1_3repE0EEENS1_30default_config_static_selectorELNS0_4arch9wavefront6targetE1EEEvT1_,@function
_ZN7rocprim17ROCPRIM_400000_NS6detail17trampoline_kernelINS0_14default_configENS1_20scan_config_selectorIdEEZZNS1_9scan_implILNS1_25lookback_scan_determinismE0ELb1ELb1ES3_N6thrust23THRUST_200600_302600_NS6detail15normal_iteratorINS9_10device_ptrIdEEEENS9_16discard_iteratorINS9_11use_defaultEEEd11max_functorIdEdEEDaPvRmT3_T4_T5_mT6_P12ihipStream_tbENKUlT_T0_E_clISt17integral_constantIbLb1EESW_IbLb0EEEEDaSS_ST_EUlSS_E0_NS1_11comp_targetILNS1_3genE4ELNS1_11target_archE910ELNS1_3gpuE8ELNS1_3repE0EEENS1_30default_config_static_selectorELNS0_4arch9wavefront6targetE1EEEvT1_: ; @_ZN7rocprim17ROCPRIM_400000_NS6detail17trampoline_kernelINS0_14default_configENS1_20scan_config_selectorIdEEZZNS1_9scan_implILNS1_25lookback_scan_determinismE0ELb1ELb1ES3_N6thrust23THRUST_200600_302600_NS6detail15normal_iteratorINS9_10device_ptrIdEEEENS9_16discard_iteratorINS9_11use_defaultEEEd11max_functorIdEdEEDaPvRmT3_T4_T5_mT6_P12ihipStream_tbENKUlT_T0_E_clISt17integral_constantIbLb1EESW_IbLb0EEEEDaSS_ST_EUlSS_E0_NS1_11comp_targetILNS1_3genE4ELNS1_11target_archE910ELNS1_3gpuE8ELNS1_3repE0EEENS1_30default_config_static_selectorELNS0_4arch9wavefront6targetE1EEEvT1_
; %bb.0:
	s_load_dwordx4 s[0:3], s[4:5], 0x0
	v_lshlrev_b32_e32 v1, 3, v0
	s_waitcnt lgkmcnt(0)
	s_load_dwordx2 s[6:7], s[0:1], 0x0
	v_cmp_gt_u32_e32 vcc, s2, v0
	s_waitcnt lgkmcnt(0)
	v_pk_mov_b32 v[2:3], s[6:7], s[6:7] op_sel:[0,1]
	s_and_saveexec_b64 s[8:9], vcc
	s_cbranch_execz .LBB3109_2
; %bb.1:
	global_load_dwordx2 v[2:3], v1, s[0:1]
.LBB3109_2:
	s_or_b64 exec, exec, s[8:9]
	v_or_b32_e32 v4, 0x80, v0
	v_cmp_gt_u32_e32 vcc, s2, v4
	v_pk_mov_b32 v[4:5], s[6:7], s[6:7] op_sel:[0,1]
	s_and_saveexec_b64 s[8:9], vcc
	s_cbranch_execz .LBB3109_4
; %bb.3:
	global_load_dwordx2 v[4:5], v1, s[0:1] offset:1024
.LBB3109_4:
	s_or_b64 exec, exec, s[8:9]
	v_or_b32_e32 v6, 0x100, v0
	v_cmp_gt_u32_e32 vcc, s2, v6
	v_pk_mov_b32 v[6:7], s[6:7], s[6:7] op_sel:[0,1]
	s_and_saveexec_b64 s[8:9], vcc
	s_cbranch_execz .LBB3109_6
; %bb.5:
	global_load_dwordx2 v[6:7], v1, s[0:1] offset:2048
.LBB3109_6:
	;; [unrolled: 9-line block ×3, first 2 shown]
	s_or_b64 exec, exec, s[8:9]
	v_or_b32_e32 v12, 0x200, v0
	v_cmp_gt_u32_e32 vcc, s2, v12
	v_pk_mov_b32 v[10:11], s[6:7], s[6:7] op_sel:[0,1]
	s_and_saveexec_b64 s[8:9], vcc
	s_cbranch_execz .LBB3109_10
; %bb.9:
	v_lshlrev_b32_e32 v10, 3, v12
	global_load_dwordx2 v[10:11], v10, s[0:1]
.LBB3109_10:
	s_or_b64 exec, exec, s[8:9]
	v_or_b32_e32 v14, 0x280, v0
	v_cmp_gt_u32_e32 vcc, s2, v14
	v_pk_mov_b32 v[12:13], s[6:7], s[6:7] op_sel:[0,1]
	s_and_saveexec_b64 s[8:9], vcc
	s_cbranch_execz .LBB3109_12
; %bb.11:
	v_lshlrev_b32_e32 v12, 3, v14
	global_load_dwordx2 v[12:13], v12, s[0:1]
.LBB3109_12:
	;; [unrolled: 10-line block ×6, first 2 shown]
	s_or_b64 exec, exec, s[2:3]
	s_movk_i32 s0, 0x48
	s_waitcnt vmcnt(0)
	ds_write2st64_b64 v1, v[2:3], v[4:5] offset1:2
	ds_write2st64_b64 v1, v[6:7], v[8:9] offset0:4 offset1:6
	ds_write2st64_b64 v1, v[10:11], v[12:13] offset0:8 offset1:10
	;; [unrolled: 1-line block ×4, first 2 shown]
	v_mad_u32_u24 v14, v0, s0, v1
	s_waitcnt lgkmcnt(0)
	s_barrier
	ds_read_b128 v[18:21], v14
	ds_read_b128 v[10:13], v14 offset:16
	ds_read_b128 v[6:9], v14 offset:32
	;; [unrolled: 1-line block ×4, first 2 shown]
	s_waitcnt lgkmcnt(4)
	v_cmp_lt_f64_e32 vcc, v[18:19], v[20:21]
	v_cndmask_b32_e32 v23, v19, v21, vcc
	v_cndmask_b32_e32 v22, v18, v20, vcc
	s_waitcnt lgkmcnt(3)
	v_cmp_lt_f64_e32 vcc, v[22:23], v[10:11]
	v_cndmask_b32_e32 v23, v23, v11, vcc
	v_cndmask_b32_e32 v22, v22, v10, vcc
	v_cmp_lt_f64_e32 vcc, v[22:23], v[12:13]
	v_cndmask_b32_e32 v23, v23, v13, vcc
	v_cndmask_b32_e32 v22, v22, v12, vcc
	s_waitcnt lgkmcnt(2)
	v_cmp_lt_f64_e32 vcc, v[22:23], v[6:7]
	v_cndmask_b32_e32 v23, v23, v7, vcc
	v_cndmask_b32_e32 v22, v22, v6, vcc
	v_cmp_lt_f64_e32 vcc, v[22:23], v[8:9]
	v_cndmask_b32_e32 v23, v23, v9, vcc
	v_cndmask_b32_e32 v22, v22, v8, vcc
	s_waitcnt lgkmcnt(1)
	v_cmp_lt_f64_e32 vcc, v[22:23], v[2:3]
	v_cndmask_b32_e32 v23, v23, v3, vcc
	v_cndmask_b32_e32 v22, v22, v2, vcc
	v_cmp_lt_f64_e32 vcc, v[22:23], v[4:5]
	v_cndmask_b32_e32 v23, v23, v5, vcc
	v_cndmask_b32_e32 v22, v22, v4, vcc
	s_waitcnt lgkmcnt(0)
	v_cmp_lt_f64_e32 vcc, v[22:23], v[14:15]
	v_cndmask_b32_e32 v23, v23, v15, vcc
	v_cndmask_b32_e32 v22, v22, v14, vcc
	v_cmp_lt_f64_e32 vcc, v[22:23], v[16:17]
	v_cndmask_b32_e32 v16, v22, v16, vcc
	v_mbcnt_lo_u32_b32 v22, -1, 0
	v_mbcnt_hi_u32_b32 v24, -1, v22
	v_cndmask_b32_e32 v17, v23, v17, vcc
	v_and_b32_e32 v25, 15, v24
	v_mov_b32_dpp v22, v16 row_shr:1 row_mask:0xf bank_mask:0xf
	v_mov_b32_dpp v23, v17 row_shr:1 row_mask:0xf bank_mask:0xf
	v_cmp_ne_u32_e32 vcc, 0, v25
	s_barrier
	s_and_saveexec_b64 s[0:1], vcc
; %bb.21:
	v_cmp_gt_f64_e32 vcc, v[16:17], v[22:23]
	v_cndmask_b32_e32 v17, v23, v17, vcc
	v_cndmask_b32_e32 v16, v22, v16, vcc
; %bb.22:
	s_or_b64 exec, exec, s[0:1]
	s_nop 0
	v_mov_b32_dpp v22, v16 row_shr:2 row_mask:0xf bank_mask:0xf
	v_mov_b32_dpp v23, v17 row_shr:2 row_mask:0xf bank_mask:0xf
	v_cmp_lt_u32_e32 vcc, 1, v25
	s_and_saveexec_b64 s[0:1], vcc
; %bb.23:
	v_cmp_gt_f64_e32 vcc, v[16:17], v[22:23]
	v_cndmask_b32_e32 v17, v23, v17, vcc
	v_cndmask_b32_e32 v16, v22, v16, vcc
; %bb.24:
	s_or_b64 exec, exec, s[0:1]
	s_nop 0
	v_mov_b32_dpp v22, v16 row_shr:4 row_mask:0xf bank_mask:0xf
	v_mov_b32_dpp v23, v17 row_shr:4 row_mask:0xf bank_mask:0xf
	v_cmp_lt_u32_e32 vcc, 3, v25
	;; [unrolled: 11-line block ×3, first 2 shown]
	s_and_saveexec_b64 s[0:1], vcc
; %bb.27:
	v_cmp_gt_f64_e32 vcc, v[16:17], v[22:23]
	v_cndmask_b32_e32 v17, v23, v17, vcc
	v_cndmask_b32_e32 v16, v22, v16, vcc
; %bb.28:
	s_or_b64 exec, exec, s[0:1]
	s_load_dwordx2 s[2:3], s[4:5], 0x10
	v_and_b32_e32 v25, 16, v24
	v_mov_b32_dpp v22, v16 row_bcast:15 row_mask:0xf bank_mask:0xf
	v_mov_b32_dpp v23, v17 row_bcast:15 row_mask:0xf bank_mask:0xf
	v_cmp_ne_u32_e32 vcc, 0, v25
	s_and_saveexec_b64 s[0:1], vcc
; %bb.29:
	v_cmp_gt_f64_e32 vcc, v[16:17], v[22:23]
	v_cndmask_b32_e32 v17, v23, v17, vcc
	v_cndmask_b32_e32 v16, v22, v16, vcc
; %bb.30:
	s_or_b64 exec, exec, s[0:1]
	s_nop 0
	v_mov_b32_dpp v22, v16 row_bcast:31 row_mask:0xf bank_mask:0xf
	v_mov_b32_dpp v23, v17 row_bcast:31 row_mask:0xf bank_mask:0xf
	v_cmp_gt_f64_e32 vcc, v[16:17], v[22:23]
	v_cndmask_b32_e32 v22, v22, v16, vcc
	v_cndmask_b32_e32 v23, v23, v17, vcc
	v_cmp_lt_u32_e32 vcc, 31, v24
	v_cndmask_b32_e32 v16, v16, v22, vcc
	v_or_b32_e32 v22, 63, v0
	v_cndmask_b32_e32 v17, v17, v23, vcc
	v_lshrrev_b32_e32 v26, 6, v0
	v_cmp_eq_u32_e32 vcc, v22, v0
	s_and_saveexec_b64 s[0:1], vcc
	s_cbranch_execz .LBB3109_32
; %bb.31:
	v_lshlrev_b32_e32 v22, 3, v26
	ds_write_b64 v22, v[16:17]
.LBB3109_32:
	s_or_b64 exec, exec, s[0:1]
	v_cmp_gt_u32_e32 vcc, 2, v0
	s_waitcnt lgkmcnt(0)
	s_barrier
	s_and_saveexec_b64 s[4:5], vcc
	s_cbranch_execz .LBB3109_34
; %bb.33:
	ds_read_b64 v[22:23], v1
	v_and_b32_e32 v25, 1, v24
	v_cmp_eq_u32_e32 vcc, 0, v25
	s_waitcnt lgkmcnt(0)
	v_mov_b32_dpp v30, v23 row_shr:1 row_mask:0xf bank_mask:0xf
	v_mov_b32_dpp v28, v22 row_shr:1 row_mask:0xf bank_mask:0xf
	v_mov_b32_e32 v29, v30
	v_cmp_gt_f64_e64 s[0:1], v[22:23], v[28:29]
	s_or_b64 vcc, vcc, s[0:1]
	v_cndmask_b32_e32 v23, v30, v23, vcc
	v_cndmask_b32_e32 v22, v28, v22, vcc
	ds_write_b64 v1, v[22:23]
.LBB3109_34:
	s_or_b64 exec, exec, s[4:5]
	v_mul_u32_u24_e32 v25, 0x48, v0
	v_cmp_lt_u32_e32 vcc, 63, v0
	v_pk_mov_b32 v[22:23], s[2:3], s[2:3] op_sel:[0,1]
	s_waitcnt lgkmcnt(0)
	s_barrier
	s_and_saveexec_b64 s[0:1], vcc
	s_cbranch_execz .LBB3109_36
; %bb.35:
	v_lshl_add_u32 v22, v26, 3, -8
	ds_read_b64 v[22:23], v22
	v_mov_b32_e32 v26, s3
	s_waitcnt lgkmcnt(0)
	v_cmp_lt_f64_e32 vcc, s[2:3], v[22:23]
	v_cndmask_b32_e32 v23, v26, v23, vcc
	v_mov_b32_e32 v26, s2
	v_cndmask_b32_e32 v22, v26, v22, vcc
.LBB3109_36:
	s_or_b64 exec, exec, s[0:1]
	v_cmp_lt_f64_e32 vcc, v[22:23], v[16:17]
	v_add_u32_e32 v26, -1, v24
	v_and_b32_e32 v27, 64, v24
	v_cndmask_b32_e32 v17, v23, v17, vcc
	v_cndmask_b32_e32 v16, v22, v16, vcc
	v_cmp_lt_i32_e32 vcc, v26, v27
	v_cndmask_b32_e32 v26, v26, v24, vcc
	v_lshlrev_b32_e32 v26, 2, v26
	ds_bpermute_b32 v16, v26, v16
	ds_bpermute_b32 v17, v26, v17
	v_cmp_eq_u32_e32 vcc, 0, v24
	s_waitcnt lgkmcnt(0)
	s_barrier
	v_cndmask_b32_e32 v16, v16, v22, vcc
	v_cndmask_b32_e32 v17, v17, v23, vcc
	v_mov_b32_e32 v22, s3
	v_cmp_eq_u32_e32 vcc, 0, v0
	v_mov_b32_e32 v0, s2
	v_cndmask_b32_e32 v17, v17, v22, vcc
	v_cndmask_b32_e32 v16, v16, v0, vcc
	v_cmp_lt_f64_e32 vcc, v[16:17], v[18:19]
	v_cndmask_b32_e32 v19, v17, v19, vcc
	v_cndmask_b32_e32 v18, v16, v18, vcc
	v_cmp_lt_f64_e32 vcc, v[18:19], v[20:21]
	;; [unrolled: 3-line block ×9, first 2 shown]
	v_add_u32_e32 v0, v1, v25
	v_cndmask_b32_e32 v5, v3, v15, vcc
	v_cndmask_b32_e32 v4, v2, v14, vcc
	ds_write_b128 v0, v[16:19]
	ds_write_b128 v0, v[20:23] offset:16
	ds_write_b128 v0, v[10:13] offset:32
	;; [unrolled: 1-line block ×4, first 2 shown]
	s_waitcnt lgkmcnt(0)
	s_barrier
	s_endpgm
	.section	.rodata,"a",@progbits
	.p2align	6, 0x0
	.amdhsa_kernel _ZN7rocprim17ROCPRIM_400000_NS6detail17trampoline_kernelINS0_14default_configENS1_20scan_config_selectorIdEEZZNS1_9scan_implILNS1_25lookback_scan_determinismE0ELb1ELb1ES3_N6thrust23THRUST_200600_302600_NS6detail15normal_iteratorINS9_10device_ptrIdEEEENS9_16discard_iteratorINS9_11use_defaultEEEd11max_functorIdEdEEDaPvRmT3_T4_T5_mT6_P12ihipStream_tbENKUlT_T0_E_clISt17integral_constantIbLb1EESW_IbLb0EEEEDaSS_ST_EUlSS_E0_NS1_11comp_targetILNS1_3genE4ELNS1_11target_archE910ELNS1_3gpuE8ELNS1_3repE0EEENS1_30default_config_static_selectorELNS0_4arch9wavefront6targetE1EEEvT1_
		.amdhsa_group_segment_fixed_size 10240
		.amdhsa_private_segment_fixed_size 0
		.amdhsa_kernarg_size 48
		.amdhsa_user_sgpr_count 6
		.amdhsa_user_sgpr_private_segment_buffer 1
		.amdhsa_user_sgpr_dispatch_ptr 0
		.amdhsa_user_sgpr_queue_ptr 0
		.amdhsa_user_sgpr_kernarg_segment_ptr 1
		.amdhsa_user_sgpr_dispatch_id 0
		.amdhsa_user_sgpr_flat_scratch_init 0
		.amdhsa_user_sgpr_kernarg_preload_length 0
		.amdhsa_user_sgpr_kernarg_preload_offset 0
		.amdhsa_user_sgpr_private_segment_size 0
		.amdhsa_uses_dynamic_stack 0
		.amdhsa_system_sgpr_private_segment_wavefront_offset 0
		.amdhsa_system_sgpr_workgroup_id_x 1
		.amdhsa_system_sgpr_workgroup_id_y 0
		.amdhsa_system_sgpr_workgroup_id_z 0
		.amdhsa_system_sgpr_workgroup_info 0
		.amdhsa_system_vgpr_workitem_id 0
		.amdhsa_next_free_vgpr 31
		.amdhsa_next_free_sgpr 10
		.amdhsa_accum_offset 32
		.amdhsa_reserve_vcc 1
		.amdhsa_reserve_flat_scratch 0
		.amdhsa_float_round_mode_32 0
		.amdhsa_float_round_mode_16_64 0
		.amdhsa_float_denorm_mode_32 3
		.amdhsa_float_denorm_mode_16_64 3
		.amdhsa_dx10_clamp 1
		.amdhsa_ieee_mode 1
		.amdhsa_fp16_overflow 0
		.amdhsa_tg_split 0
		.amdhsa_exception_fp_ieee_invalid_op 0
		.amdhsa_exception_fp_denorm_src 0
		.amdhsa_exception_fp_ieee_div_zero 0
		.amdhsa_exception_fp_ieee_overflow 0
		.amdhsa_exception_fp_ieee_underflow 0
		.amdhsa_exception_fp_ieee_inexact 0
		.amdhsa_exception_int_div_zero 0
	.end_amdhsa_kernel
	.section	.text._ZN7rocprim17ROCPRIM_400000_NS6detail17trampoline_kernelINS0_14default_configENS1_20scan_config_selectorIdEEZZNS1_9scan_implILNS1_25lookback_scan_determinismE0ELb1ELb1ES3_N6thrust23THRUST_200600_302600_NS6detail15normal_iteratorINS9_10device_ptrIdEEEENS9_16discard_iteratorINS9_11use_defaultEEEd11max_functorIdEdEEDaPvRmT3_T4_T5_mT6_P12ihipStream_tbENKUlT_T0_E_clISt17integral_constantIbLb1EESW_IbLb0EEEEDaSS_ST_EUlSS_E0_NS1_11comp_targetILNS1_3genE4ELNS1_11target_archE910ELNS1_3gpuE8ELNS1_3repE0EEENS1_30default_config_static_selectorELNS0_4arch9wavefront6targetE1EEEvT1_,"axG",@progbits,_ZN7rocprim17ROCPRIM_400000_NS6detail17trampoline_kernelINS0_14default_configENS1_20scan_config_selectorIdEEZZNS1_9scan_implILNS1_25lookback_scan_determinismE0ELb1ELb1ES3_N6thrust23THRUST_200600_302600_NS6detail15normal_iteratorINS9_10device_ptrIdEEEENS9_16discard_iteratorINS9_11use_defaultEEEd11max_functorIdEdEEDaPvRmT3_T4_T5_mT6_P12ihipStream_tbENKUlT_T0_E_clISt17integral_constantIbLb1EESW_IbLb0EEEEDaSS_ST_EUlSS_E0_NS1_11comp_targetILNS1_3genE4ELNS1_11target_archE910ELNS1_3gpuE8ELNS1_3repE0EEENS1_30default_config_static_selectorELNS0_4arch9wavefront6targetE1EEEvT1_,comdat
.Lfunc_end3109:
	.size	_ZN7rocprim17ROCPRIM_400000_NS6detail17trampoline_kernelINS0_14default_configENS1_20scan_config_selectorIdEEZZNS1_9scan_implILNS1_25lookback_scan_determinismE0ELb1ELb1ES3_N6thrust23THRUST_200600_302600_NS6detail15normal_iteratorINS9_10device_ptrIdEEEENS9_16discard_iteratorINS9_11use_defaultEEEd11max_functorIdEdEEDaPvRmT3_T4_T5_mT6_P12ihipStream_tbENKUlT_T0_E_clISt17integral_constantIbLb1EESW_IbLb0EEEEDaSS_ST_EUlSS_E0_NS1_11comp_targetILNS1_3genE4ELNS1_11target_archE910ELNS1_3gpuE8ELNS1_3repE0EEENS1_30default_config_static_selectorELNS0_4arch9wavefront6targetE1EEEvT1_, .Lfunc_end3109-_ZN7rocprim17ROCPRIM_400000_NS6detail17trampoline_kernelINS0_14default_configENS1_20scan_config_selectorIdEEZZNS1_9scan_implILNS1_25lookback_scan_determinismE0ELb1ELb1ES3_N6thrust23THRUST_200600_302600_NS6detail15normal_iteratorINS9_10device_ptrIdEEEENS9_16discard_iteratorINS9_11use_defaultEEEd11max_functorIdEdEEDaPvRmT3_T4_T5_mT6_P12ihipStream_tbENKUlT_T0_E_clISt17integral_constantIbLb1EESW_IbLb0EEEEDaSS_ST_EUlSS_E0_NS1_11comp_targetILNS1_3genE4ELNS1_11target_archE910ELNS1_3gpuE8ELNS1_3repE0EEENS1_30default_config_static_selectorELNS0_4arch9wavefront6targetE1EEEvT1_
                                        ; -- End function
	.section	.AMDGPU.csdata,"",@progbits
; Kernel info:
; codeLenInByte = 1428
; NumSgprs: 14
; NumVgprs: 31
; NumAgprs: 0
; TotalNumVgprs: 31
; ScratchSize: 0
; MemoryBound: 0
; FloatMode: 240
; IeeeMode: 1
; LDSByteSize: 10240 bytes/workgroup (compile time only)
; SGPRBlocks: 1
; VGPRBlocks: 3
; NumSGPRsForWavesPerEU: 14
; NumVGPRsForWavesPerEU: 31
; AccumOffset: 32
; Occupancy: 3
; WaveLimiterHint : 0
; COMPUTE_PGM_RSRC2:SCRATCH_EN: 0
; COMPUTE_PGM_RSRC2:USER_SGPR: 6
; COMPUTE_PGM_RSRC2:TRAP_HANDLER: 0
; COMPUTE_PGM_RSRC2:TGID_X_EN: 1
; COMPUTE_PGM_RSRC2:TGID_Y_EN: 0
; COMPUTE_PGM_RSRC2:TGID_Z_EN: 0
; COMPUTE_PGM_RSRC2:TIDIG_COMP_CNT: 0
; COMPUTE_PGM_RSRC3_GFX90A:ACCUM_OFFSET: 7
; COMPUTE_PGM_RSRC3_GFX90A:TG_SPLIT: 0
	.section	.text._ZN7rocprim17ROCPRIM_400000_NS6detail17trampoline_kernelINS0_14default_configENS1_20scan_config_selectorIdEEZZNS1_9scan_implILNS1_25lookback_scan_determinismE0ELb1ELb1ES3_N6thrust23THRUST_200600_302600_NS6detail15normal_iteratorINS9_10device_ptrIdEEEENS9_16discard_iteratorINS9_11use_defaultEEEd11max_functorIdEdEEDaPvRmT3_T4_T5_mT6_P12ihipStream_tbENKUlT_T0_E_clISt17integral_constantIbLb1EESW_IbLb0EEEEDaSS_ST_EUlSS_E0_NS1_11comp_targetILNS1_3genE3ELNS1_11target_archE908ELNS1_3gpuE7ELNS1_3repE0EEENS1_30default_config_static_selectorELNS0_4arch9wavefront6targetE1EEEvT1_,"axG",@progbits,_ZN7rocprim17ROCPRIM_400000_NS6detail17trampoline_kernelINS0_14default_configENS1_20scan_config_selectorIdEEZZNS1_9scan_implILNS1_25lookback_scan_determinismE0ELb1ELb1ES3_N6thrust23THRUST_200600_302600_NS6detail15normal_iteratorINS9_10device_ptrIdEEEENS9_16discard_iteratorINS9_11use_defaultEEEd11max_functorIdEdEEDaPvRmT3_T4_T5_mT6_P12ihipStream_tbENKUlT_T0_E_clISt17integral_constantIbLb1EESW_IbLb0EEEEDaSS_ST_EUlSS_E0_NS1_11comp_targetILNS1_3genE3ELNS1_11target_archE908ELNS1_3gpuE7ELNS1_3repE0EEENS1_30default_config_static_selectorELNS0_4arch9wavefront6targetE1EEEvT1_,comdat
	.protected	_ZN7rocprim17ROCPRIM_400000_NS6detail17trampoline_kernelINS0_14default_configENS1_20scan_config_selectorIdEEZZNS1_9scan_implILNS1_25lookback_scan_determinismE0ELb1ELb1ES3_N6thrust23THRUST_200600_302600_NS6detail15normal_iteratorINS9_10device_ptrIdEEEENS9_16discard_iteratorINS9_11use_defaultEEEd11max_functorIdEdEEDaPvRmT3_T4_T5_mT6_P12ihipStream_tbENKUlT_T0_E_clISt17integral_constantIbLb1EESW_IbLb0EEEEDaSS_ST_EUlSS_E0_NS1_11comp_targetILNS1_3genE3ELNS1_11target_archE908ELNS1_3gpuE7ELNS1_3repE0EEENS1_30default_config_static_selectorELNS0_4arch9wavefront6targetE1EEEvT1_ ; -- Begin function _ZN7rocprim17ROCPRIM_400000_NS6detail17trampoline_kernelINS0_14default_configENS1_20scan_config_selectorIdEEZZNS1_9scan_implILNS1_25lookback_scan_determinismE0ELb1ELb1ES3_N6thrust23THRUST_200600_302600_NS6detail15normal_iteratorINS9_10device_ptrIdEEEENS9_16discard_iteratorINS9_11use_defaultEEEd11max_functorIdEdEEDaPvRmT3_T4_T5_mT6_P12ihipStream_tbENKUlT_T0_E_clISt17integral_constantIbLb1EESW_IbLb0EEEEDaSS_ST_EUlSS_E0_NS1_11comp_targetILNS1_3genE3ELNS1_11target_archE908ELNS1_3gpuE7ELNS1_3repE0EEENS1_30default_config_static_selectorELNS0_4arch9wavefront6targetE1EEEvT1_
	.globl	_ZN7rocprim17ROCPRIM_400000_NS6detail17trampoline_kernelINS0_14default_configENS1_20scan_config_selectorIdEEZZNS1_9scan_implILNS1_25lookback_scan_determinismE0ELb1ELb1ES3_N6thrust23THRUST_200600_302600_NS6detail15normal_iteratorINS9_10device_ptrIdEEEENS9_16discard_iteratorINS9_11use_defaultEEEd11max_functorIdEdEEDaPvRmT3_T4_T5_mT6_P12ihipStream_tbENKUlT_T0_E_clISt17integral_constantIbLb1EESW_IbLb0EEEEDaSS_ST_EUlSS_E0_NS1_11comp_targetILNS1_3genE3ELNS1_11target_archE908ELNS1_3gpuE7ELNS1_3repE0EEENS1_30default_config_static_selectorELNS0_4arch9wavefront6targetE1EEEvT1_
	.p2align	8
	.type	_ZN7rocprim17ROCPRIM_400000_NS6detail17trampoline_kernelINS0_14default_configENS1_20scan_config_selectorIdEEZZNS1_9scan_implILNS1_25lookback_scan_determinismE0ELb1ELb1ES3_N6thrust23THRUST_200600_302600_NS6detail15normal_iteratorINS9_10device_ptrIdEEEENS9_16discard_iteratorINS9_11use_defaultEEEd11max_functorIdEdEEDaPvRmT3_T4_T5_mT6_P12ihipStream_tbENKUlT_T0_E_clISt17integral_constantIbLb1EESW_IbLb0EEEEDaSS_ST_EUlSS_E0_NS1_11comp_targetILNS1_3genE3ELNS1_11target_archE908ELNS1_3gpuE7ELNS1_3repE0EEENS1_30default_config_static_selectorELNS0_4arch9wavefront6targetE1EEEvT1_,@function
_ZN7rocprim17ROCPRIM_400000_NS6detail17trampoline_kernelINS0_14default_configENS1_20scan_config_selectorIdEEZZNS1_9scan_implILNS1_25lookback_scan_determinismE0ELb1ELb1ES3_N6thrust23THRUST_200600_302600_NS6detail15normal_iteratorINS9_10device_ptrIdEEEENS9_16discard_iteratorINS9_11use_defaultEEEd11max_functorIdEdEEDaPvRmT3_T4_T5_mT6_P12ihipStream_tbENKUlT_T0_E_clISt17integral_constantIbLb1EESW_IbLb0EEEEDaSS_ST_EUlSS_E0_NS1_11comp_targetILNS1_3genE3ELNS1_11target_archE908ELNS1_3gpuE7ELNS1_3repE0EEENS1_30default_config_static_selectorELNS0_4arch9wavefront6targetE1EEEvT1_: ; @_ZN7rocprim17ROCPRIM_400000_NS6detail17trampoline_kernelINS0_14default_configENS1_20scan_config_selectorIdEEZZNS1_9scan_implILNS1_25lookback_scan_determinismE0ELb1ELb1ES3_N6thrust23THRUST_200600_302600_NS6detail15normal_iteratorINS9_10device_ptrIdEEEENS9_16discard_iteratorINS9_11use_defaultEEEd11max_functorIdEdEEDaPvRmT3_T4_T5_mT6_P12ihipStream_tbENKUlT_T0_E_clISt17integral_constantIbLb1EESW_IbLb0EEEEDaSS_ST_EUlSS_E0_NS1_11comp_targetILNS1_3genE3ELNS1_11target_archE908ELNS1_3gpuE7ELNS1_3repE0EEENS1_30default_config_static_selectorELNS0_4arch9wavefront6targetE1EEEvT1_
; %bb.0:
	.section	.rodata,"a",@progbits
	.p2align	6, 0x0
	.amdhsa_kernel _ZN7rocprim17ROCPRIM_400000_NS6detail17trampoline_kernelINS0_14default_configENS1_20scan_config_selectorIdEEZZNS1_9scan_implILNS1_25lookback_scan_determinismE0ELb1ELb1ES3_N6thrust23THRUST_200600_302600_NS6detail15normal_iteratorINS9_10device_ptrIdEEEENS9_16discard_iteratorINS9_11use_defaultEEEd11max_functorIdEdEEDaPvRmT3_T4_T5_mT6_P12ihipStream_tbENKUlT_T0_E_clISt17integral_constantIbLb1EESW_IbLb0EEEEDaSS_ST_EUlSS_E0_NS1_11comp_targetILNS1_3genE3ELNS1_11target_archE908ELNS1_3gpuE7ELNS1_3repE0EEENS1_30default_config_static_selectorELNS0_4arch9wavefront6targetE1EEEvT1_
		.amdhsa_group_segment_fixed_size 0
		.amdhsa_private_segment_fixed_size 0
		.amdhsa_kernarg_size 48
		.amdhsa_user_sgpr_count 6
		.amdhsa_user_sgpr_private_segment_buffer 1
		.amdhsa_user_sgpr_dispatch_ptr 0
		.amdhsa_user_sgpr_queue_ptr 0
		.amdhsa_user_sgpr_kernarg_segment_ptr 1
		.amdhsa_user_sgpr_dispatch_id 0
		.amdhsa_user_sgpr_flat_scratch_init 0
		.amdhsa_user_sgpr_kernarg_preload_length 0
		.amdhsa_user_sgpr_kernarg_preload_offset 0
		.amdhsa_user_sgpr_private_segment_size 0
		.amdhsa_uses_dynamic_stack 0
		.amdhsa_system_sgpr_private_segment_wavefront_offset 0
		.amdhsa_system_sgpr_workgroup_id_x 1
		.amdhsa_system_sgpr_workgroup_id_y 0
		.amdhsa_system_sgpr_workgroup_id_z 0
		.amdhsa_system_sgpr_workgroup_info 0
		.amdhsa_system_vgpr_workitem_id 0
		.amdhsa_next_free_vgpr 1
		.amdhsa_next_free_sgpr 0
		.amdhsa_accum_offset 4
		.amdhsa_reserve_vcc 0
		.amdhsa_reserve_flat_scratch 0
		.amdhsa_float_round_mode_32 0
		.amdhsa_float_round_mode_16_64 0
		.amdhsa_float_denorm_mode_32 3
		.amdhsa_float_denorm_mode_16_64 3
		.amdhsa_dx10_clamp 1
		.amdhsa_ieee_mode 1
		.amdhsa_fp16_overflow 0
		.amdhsa_tg_split 0
		.amdhsa_exception_fp_ieee_invalid_op 0
		.amdhsa_exception_fp_denorm_src 0
		.amdhsa_exception_fp_ieee_div_zero 0
		.amdhsa_exception_fp_ieee_overflow 0
		.amdhsa_exception_fp_ieee_underflow 0
		.amdhsa_exception_fp_ieee_inexact 0
		.amdhsa_exception_int_div_zero 0
	.end_amdhsa_kernel
	.section	.text._ZN7rocprim17ROCPRIM_400000_NS6detail17trampoline_kernelINS0_14default_configENS1_20scan_config_selectorIdEEZZNS1_9scan_implILNS1_25lookback_scan_determinismE0ELb1ELb1ES3_N6thrust23THRUST_200600_302600_NS6detail15normal_iteratorINS9_10device_ptrIdEEEENS9_16discard_iteratorINS9_11use_defaultEEEd11max_functorIdEdEEDaPvRmT3_T4_T5_mT6_P12ihipStream_tbENKUlT_T0_E_clISt17integral_constantIbLb1EESW_IbLb0EEEEDaSS_ST_EUlSS_E0_NS1_11comp_targetILNS1_3genE3ELNS1_11target_archE908ELNS1_3gpuE7ELNS1_3repE0EEENS1_30default_config_static_selectorELNS0_4arch9wavefront6targetE1EEEvT1_,"axG",@progbits,_ZN7rocprim17ROCPRIM_400000_NS6detail17trampoline_kernelINS0_14default_configENS1_20scan_config_selectorIdEEZZNS1_9scan_implILNS1_25lookback_scan_determinismE0ELb1ELb1ES3_N6thrust23THRUST_200600_302600_NS6detail15normal_iteratorINS9_10device_ptrIdEEEENS9_16discard_iteratorINS9_11use_defaultEEEd11max_functorIdEdEEDaPvRmT3_T4_T5_mT6_P12ihipStream_tbENKUlT_T0_E_clISt17integral_constantIbLb1EESW_IbLb0EEEEDaSS_ST_EUlSS_E0_NS1_11comp_targetILNS1_3genE3ELNS1_11target_archE908ELNS1_3gpuE7ELNS1_3repE0EEENS1_30default_config_static_selectorELNS0_4arch9wavefront6targetE1EEEvT1_,comdat
.Lfunc_end3110:
	.size	_ZN7rocprim17ROCPRIM_400000_NS6detail17trampoline_kernelINS0_14default_configENS1_20scan_config_selectorIdEEZZNS1_9scan_implILNS1_25lookback_scan_determinismE0ELb1ELb1ES3_N6thrust23THRUST_200600_302600_NS6detail15normal_iteratorINS9_10device_ptrIdEEEENS9_16discard_iteratorINS9_11use_defaultEEEd11max_functorIdEdEEDaPvRmT3_T4_T5_mT6_P12ihipStream_tbENKUlT_T0_E_clISt17integral_constantIbLb1EESW_IbLb0EEEEDaSS_ST_EUlSS_E0_NS1_11comp_targetILNS1_3genE3ELNS1_11target_archE908ELNS1_3gpuE7ELNS1_3repE0EEENS1_30default_config_static_selectorELNS0_4arch9wavefront6targetE1EEEvT1_, .Lfunc_end3110-_ZN7rocprim17ROCPRIM_400000_NS6detail17trampoline_kernelINS0_14default_configENS1_20scan_config_selectorIdEEZZNS1_9scan_implILNS1_25lookback_scan_determinismE0ELb1ELb1ES3_N6thrust23THRUST_200600_302600_NS6detail15normal_iteratorINS9_10device_ptrIdEEEENS9_16discard_iteratorINS9_11use_defaultEEEd11max_functorIdEdEEDaPvRmT3_T4_T5_mT6_P12ihipStream_tbENKUlT_T0_E_clISt17integral_constantIbLb1EESW_IbLb0EEEEDaSS_ST_EUlSS_E0_NS1_11comp_targetILNS1_3genE3ELNS1_11target_archE908ELNS1_3gpuE7ELNS1_3repE0EEENS1_30default_config_static_selectorELNS0_4arch9wavefront6targetE1EEEvT1_
                                        ; -- End function
	.section	.AMDGPU.csdata,"",@progbits
; Kernel info:
; codeLenInByte = 0
; NumSgprs: 4
; NumVgprs: 0
; NumAgprs: 0
; TotalNumVgprs: 0
; ScratchSize: 0
; MemoryBound: 0
; FloatMode: 240
; IeeeMode: 1
; LDSByteSize: 0 bytes/workgroup (compile time only)
; SGPRBlocks: 0
; VGPRBlocks: 0
; NumSGPRsForWavesPerEU: 4
; NumVGPRsForWavesPerEU: 1
; AccumOffset: 4
; Occupancy: 8
; WaveLimiterHint : 0
; COMPUTE_PGM_RSRC2:SCRATCH_EN: 0
; COMPUTE_PGM_RSRC2:USER_SGPR: 6
; COMPUTE_PGM_RSRC2:TRAP_HANDLER: 0
; COMPUTE_PGM_RSRC2:TGID_X_EN: 1
; COMPUTE_PGM_RSRC2:TGID_Y_EN: 0
; COMPUTE_PGM_RSRC2:TGID_Z_EN: 0
; COMPUTE_PGM_RSRC2:TIDIG_COMP_CNT: 0
; COMPUTE_PGM_RSRC3_GFX90A:ACCUM_OFFSET: 0
; COMPUTE_PGM_RSRC3_GFX90A:TG_SPLIT: 0
	.section	.text._ZN7rocprim17ROCPRIM_400000_NS6detail17trampoline_kernelINS0_14default_configENS1_20scan_config_selectorIdEEZZNS1_9scan_implILNS1_25lookback_scan_determinismE0ELb1ELb1ES3_N6thrust23THRUST_200600_302600_NS6detail15normal_iteratorINS9_10device_ptrIdEEEENS9_16discard_iteratorINS9_11use_defaultEEEd11max_functorIdEdEEDaPvRmT3_T4_T5_mT6_P12ihipStream_tbENKUlT_T0_E_clISt17integral_constantIbLb1EESW_IbLb0EEEEDaSS_ST_EUlSS_E0_NS1_11comp_targetILNS1_3genE2ELNS1_11target_archE906ELNS1_3gpuE6ELNS1_3repE0EEENS1_30default_config_static_selectorELNS0_4arch9wavefront6targetE1EEEvT1_,"axG",@progbits,_ZN7rocprim17ROCPRIM_400000_NS6detail17trampoline_kernelINS0_14default_configENS1_20scan_config_selectorIdEEZZNS1_9scan_implILNS1_25lookback_scan_determinismE0ELb1ELb1ES3_N6thrust23THRUST_200600_302600_NS6detail15normal_iteratorINS9_10device_ptrIdEEEENS9_16discard_iteratorINS9_11use_defaultEEEd11max_functorIdEdEEDaPvRmT3_T4_T5_mT6_P12ihipStream_tbENKUlT_T0_E_clISt17integral_constantIbLb1EESW_IbLb0EEEEDaSS_ST_EUlSS_E0_NS1_11comp_targetILNS1_3genE2ELNS1_11target_archE906ELNS1_3gpuE6ELNS1_3repE0EEENS1_30default_config_static_selectorELNS0_4arch9wavefront6targetE1EEEvT1_,comdat
	.protected	_ZN7rocprim17ROCPRIM_400000_NS6detail17trampoline_kernelINS0_14default_configENS1_20scan_config_selectorIdEEZZNS1_9scan_implILNS1_25lookback_scan_determinismE0ELb1ELb1ES3_N6thrust23THRUST_200600_302600_NS6detail15normal_iteratorINS9_10device_ptrIdEEEENS9_16discard_iteratorINS9_11use_defaultEEEd11max_functorIdEdEEDaPvRmT3_T4_T5_mT6_P12ihipStream_tbENKUlT_T0_E_clISt17integral_constantIbLb1EESW_IbLb0EEEEDaSS_ST_EUlSS_E0_NS1_11comp_targetILNS1_3genE2ELNS1_11target_archE906ELNS1_3gpuE6ELNS1_3repE0EEENS1_30default_config_static_selectorELNS0_4arch9wavefront6targetE1EEEvT1_ ; -- Begin function _ZN7rocprim17ROCPRIM_400000_NS6detail17trampoline_kernelINS0_14default_configENS1_20scan_config_selectorIdEEZZNS1_9scan_implILNS1_25lookback_scan_determinismE0ELb1ELb1ES3_N6thrust23THRUST_200600_302600_NS6detail15normal_iteratorINS9_10device_ptrIdEEEENS9_16discard_iteratorINS9_11use_defaultEEEd11max_functorIdEdEEDaPvRmT3_T4_T5_mT6_P12ihipStream_tbENKUlT_T0_E_clISt17integral_constantIbLb1EESW_IbLb0EEEEDaSS_ST_EUlSS_E0_NS1_11comp_targetILNS1_3genE2ELNS1_11target_archE906ELNS1_3gpuE6ELNS1_3repE0EEENS1_30default_config_static_selectorELNS0_4arch9wavefront6targetE1EEEvT1_
	.globl	_ZN7rocprim17ROCPRIM_400000_NS6detail17trampoline_kernelINS0_14default_configENS1_20scan_config_selectorIdEEZZNS1_9scan_implILNS1_25lookback_scan_determinismE0ELb1ELb1ES3_N6thrust23THRUST_200600_302600_NS6detail15normal_iteratorINS9_10device_ptrIdEEEENS9_16discard_iteratorINS9_11use_defaultEEEd11max_functorIdEdEEDaPvRmT3_T4_T5_mT6_P12ihipStream_tbENKUlT_T0_E_clISt17integral_constantIbLb1EESW_IbLb0EEEEDaSS_ST_EUlSS_E0_NS1_11comp_targetILNS1_3genE2ELNS1_11target_archE906ELNS1_3gpuE6ELNS1_3repE0EEENS1_30default_config_static_selectorELNS0_4arch9wavefront6targetE1EEEvT1_
	.p2align	8
	.type	_ZN7rocprim17ROCPRIM_400000_NS6detail17trampoline_kernelINS0_14default_configENS1_20scan_config_selectorIdEEZZNS1_9scan_implILNS1_25lookback_scan_determinismE0ELb1ELb1ES3_N6thrust23THRUST_200600_302600_NS6detail15normal_iteratorINS9_10device_ptrIdEEEENS9_16discard_iteratorINS9_11use_defaultEEEd11max_functorIdEdEEDaPvRmT3_T4_T5_mT6_P12ihipStream_tbENKUlT_T0_E_clISt17integral_constantIbLb1EESW_IbLb0EEEEDaSS_ST_EUlSS_E0_NS1_11comp_targetILNS1_3genE2ELNS1_11target_archE906ELNS1_3gpuE6ELNS1_3repE0EEENS1_30default_config_static_selectorELNS0_4arch9wavefront6targetE1EEEvT1_,@function
_ZN7rocprim17ROCPRIM_400000_NS6detail17trampoline_kernelINS0_14default_configENS1_20scan_config_selectorIdEEZZNS1_9scan_implILNS1_25lookback_scan_determinismE0ELb1ELb1ES3_N6thrust23THRUST_200600_302600_NS6detail15normal_iteratorINS9_10device_ptrIdEEEENS9_16discard_iteratorINS9_11use_defaultEEEd11max_functorIdEdEEDaPvRmT3_T4_T5_mT6_P12ihipStream_tbENKUlT_T0_E_clISt17integral_constantIbLb1EESW_IbLb0EEEEDaSS_ST_EUlSS_E0_NS1_11comp_targetILNS1_3genE2ELNS1_11target_archE906ELNS1_3gpuE6ELNS1_3repE0EEENS1_30default_config_static_selectorELNS0_4arch9wavefront6targetE1EEEvT1_: ; @_ZN7rocprim17ROCPRIM_400000_NS6detail17trampoline_kernelINS0_14default_configENS1_20scan_config_selectorIdEEZZNS1_9scan_implILNS1_25lookback_scan_determinismE0ELb1ELb1ES3_N6thrust23THRUST_200600_302600_NS6detail15normal_iteratorINS9_10device_ptrIdEEEENS9_16discard_iteratorINS9_11use_defaultEEEd11max_functorIdEdEEDaPvRmT3_T4_T5_mT6_P12ihipStream_tbENKUlT_T0_E_clISt17integral_constantIbLb1EESW_IbLb0EEEEDaSS_ST_EUlSS_E0_NS1_11comp_targetILNS1_3genE2ELNS1_11target_archE906ELNS1_3gpuE6ELNS1_3repE0EEENS1_30default_config_static_selectorELNS0_4arch9wavefront6targetE1EEEvT1_
; %bb.0:
	.section	.rodata,"a",@progbits
	.p2align	6, 0x0
	.amdhsa_kernel _ZN7rocprim17ROCPRIM_400000_NS6detail17trampoline_kernelINS0_14default_configENS1_20scan_config_selectorIdEEZZNS1_9scan_implILNS1_25lookback_scan_determinismE0ELb1ELb1ES3_N6thrust23THRUST_200600_302600_NS6detail15normal_iteratorINS9_10device_ptrIdEEEENS9_16discard_iteratorINS9_11use_defaultEEEd11max_functorIdEdEEDaPvRmT3_T4_T5_mT6_P12ihipStream_tbENKUlT_T0_E_clISt17integral_constantIbLb1EESW_IbLb0EEEEDaSS_ST_EUlSS_E0_NS1_11comp_targetILNS1_3genE2ELNS1_11target_archE906ELNS1_3gpuE6ELNS1_3repE0EEENS1_30default_config_static_selectorELNS0_4arch9wavefront6targetE1EEEvT1_
		.amdhsa_group_segment_fixed_size 0
		.amdhsa_private_segment_fixed_size 0
		.amdhsa_kernarg_size 48
		.amdhsa_user_sgpr_count 6
		.amdhsa_user_sgpr_private_segment_buffer 1
		.amdhsa_user_sgpr_dispatch_ptr 0
		.amdhsa_user_sgpr_queue_ptr 0
		.amdhsa_user_sgpr_kernarg_segment_ptr 1
		.amdhsa_user_sgpr_dispatch_id 0
		.amdhsa_user_sgpr_flat_scratch_init 0
		.amdhsa_user_sgpr_kernarg_preload_length 0
		.amdhsa_user_sgpr_kernarg_preload_offset 0
		.amdhsa_user_sgpr_private_segment_size 0
		.amdhsa_uses_dynamic_stack 0
		.amdhsa_system_sgpr_private_segment_wavefront_offset 0
		.amdhsa_system_sgpr_workgroup_id_x 1
		.amdhsa_system_sgpr_workgroup_id_y 0
		.amdhsa_system_sgpr_workgroup_id_z 0
		.amdhsa_system_sgpr_workgroup_info 0
		.amdhsa_system_vgpr_workitem_id 0
		.amdhsa_next_free_vgpr 1
		.amdhsa_next_free_sgpr 0
		.amdhsa_accum_offset 4
		.amdhsa_reserve_vcc 0
		.amdhsa_reserve_flat_scratch 0
		.amdhsa_float_round_mode_32 0
		.amdhsa_float_round_mode_16_64 0
		.amdhsa_float_denorm_mode_32 3
		.amdhsa_float_denorm_mode_16_64 3
		.amdhsa_dx10_clamp 1
		.amdhsa_ieee_mode 1
		.amdhsa_fp16_overflow 0
		.amdhsa_tg_split 0
		.amdhsa_exception_fp_ieee_invalid_op 0
		.amdhsa_exception_fp_denorm_src 0
		.amdhsa_exception_fp_ieee_div_zero 0
		.amdhsa_exception_fp_ieee_overflow 0
		.amdhsa_exception_fp_ieee_underflow 0
		.amdhsa_exception_fp_ieee_inexact 0
		.amdhsa_exception_int_div_zero 0
	.end_amdhsa_kernel
	.section	.text._ZN7rocprim17ROCPRIM_400000_NS6detail17trampoline_kernelINS0_14default_configENS1_20scan_config_selectorIdEEZZNS1_9scan_implILNS1_25lookback_scan_determinismE0ELb1ELb1ES3_N6thrust23THRUST_200600_302600_NS6detail15normal_iteratorINS9_10device_ptrIdEEEENS9_16discard_iteratorINS9_11use_defaultEEEd11max_functorIdEdEEDaPvRmT3_T4_T5_mT6_P12ihipStream_tbENKUlT_T0_E_clISt17integral_constantIbLb1EESW_IbLb0EEEEDaSS_ST_EUlSS_E0_NS1_11comp_targetILNS1_3genE2ELNS1_11target_archE906ELNS1_3gpuE6ELNS1_3repE0EEENS1_30default_config_static_selectorELNS0_4arch9wavefront6targetE1EEEvT1_,"axG",@progbits,_ZN7rocprim17ROCPRIM_400000_NS6detail17trampoline_kernelINS0_14default_configENS1_20scan_config_selectorIdEEZZNS1_9scan_implILNS1_25lookback_scan_determinismE0ELb1ELb1ES3_N6thrust23THRUST_200600_302600_NS6detail15normal_iteratorINS9_10device_ptrIdEEEENS9_16discard_iteratorINS9_11use_defaultEEEd11max_functorIdEdEEDaPvRmT3_T4_T5_mT6_P12ihipStream_tbENKUlT_T0_E_clISt17integral_constantIbLb1EESW_IbLb0EEEEDaSS_ST_EUlSS_E0_NS1_11comp_targetILNS1_3genE2ELNS1_11target_archE906ELNS1_3gpuE6ELNS1_3repE0EEENS1_30default_config_static_selectorELNS0_4arch9wavefront6targetE1EEEvT1_,comdat
.Lfunc_end3111:
	.size	_ZN7rocprim17ROCPRIM_400000_NS6detail17trampoline_kernelINS0_14default_configENS1_20scan_config_selectorIdEEZZNS1_9scan_implILNS1_25lookback_scan_determinismE0ELb1ELb1ES3_N6thrust23THRUST_200600_302600_NS6detail15normal_iteratorINS9_10device_ptrIdEEEENS9_16discard_iteratorINS9_11use_defaultEEEd11max_functorIdEdEEDaPvRmT3_T4_T5_mT6_P12ihipStream_tbENKUlT_T0_E_clISt17integral_constantIbLb1EESW_IbLb0EEEEDaSS_ST_EUlSS_E0_NS1_11comp_targetILNS1_3genE2ELNS1_11target_archE906ELNS1_3gpuE6ELNS1_3repE0EEENS1_30default_config_static_selectorELNS0_4arch9wavefront6targetE1EEEvT1_, .Lfunc_end3111-_ZN7rocprim17ROCPRIM_400000_NS6detail17trampoline_kernelINS0_14default_configENS1_20scan_config_selectorIdEEZZNS1_9scan_implILNS1_25lookback_scan_determinismE0ELb1ELb1ES3_N6thrust23THRUST_200600_302600_NS6detail15normal_iteratorINS9_10device_ptrIdEEEENS9_16discard_iteratorINS9_11use_defaultEEEd11max_functorIdEdEEDaPvRmT3_T4_T5_mT6_P12ihipStream_tbENKUlT_T0_E_clISt17integral_constantIbLb1EESW_IbLb0EEEEDaSS_ST_EUlSS_E0_NS1_11comp_targetILNS1_3genE2ELNS1_11target_archE906ELNS1_3gpuE6ELNS1_3repE0EEENS1_30default_config_static_selectorELNS0_4arch9wavefront6targetE1EEEvT1_
                                        ; -- End function
	.section	.AMDGPU.csdata,"",@progbits
; Kernel info:
; codeLenInByte = 0
; NumSgprs: 4
; NumVgprs: 0
; NumAgprs: 0
; TotalNumVgprs: 0
; ScratchSize: 0
; MemoryBound: 0
; FloatMode: 240
; IeeeMode: 1
; LDSByteSize: 0 bytes/workgroup (compile time only)
; SGPRBlocks: 0
; VGPRBlocks: 0
; NumSGPRsForWavesPerEU: 4
; NumVGPRsForWavesPerEU: 1
; AccumOffset: 4
; Occupancy: 8
; WaveLimiterHint : 0
; COMPUTE_PGM_RSRC2:SCRATCH_EN: 0
; COMPUTE_PGM_RSRC2:USER_SGPR: 6
; COMPUTE_PGM_RSRC2:TRAP_HANDLER: 0
; COMPUTE_PGM_RSRC2:TGID_X_EN: 1
; COMPUTE_PGM_RSRC2:TGID_Y_EN: 0
; COMPUTE_PGM_RSRC2:TGID_Z_EN: 0
; COMPUTE_PGM_RSRC2:TIDIG_COMP_CNT: 0
; COMPUTE_PGM_RSRC3_GFX90A:ACCUM_OFFSET: 0
; COMPUTE_PGM_RSRC3_GFX90A:TG_SPLIT: 0
	.section	.text._ZN7rocprim17ROCPRIM_400000_NS6detail17trampoline_kernelINS0_14default_configENS1_20scan_config_selectorIdEEZZNS1_9scan_implILNS1_25lookback_scan_determinismE0ELb1ELb1ES3_N6thrust23THRUST_200600_302600_NS6detail15normal_iteratorINS9_10device_ptrIdEEEENS9_16discard_iteratorINS9_11use_defaultEEEd11max_functorIdEdEEDaPvRmT3_T4_T5_mT6_P12ihipStream_tbENKUlT_T0_E_clISt17integral_constantIbLb1EESW_IbLb0EEEEDaSS_ST_EUlSS_E0_NS1_11comp_targetILNS1_3genE10ELNS1_11target_archE1201ELNS1_3gpuE5ELNS1_3repE0EEENS1_30default_config_static_selectorELNS0_4arch9wavefront6targetE1EEEvT1_,"axG",@progbits,_ZN7rocprim17ROCPRIM_400000_NS6detail17trampoline_kernelINS0_14default_configENS1_20scan_config_selectorIdEEZZNS1_9scan_implILNS1_25lookback_scan_determinismE0ELb1ELb1ES3_N6thrust23THRUST_200600_302600_NS6detail15normal_iteratorINS9_10device_ptrIdEEEENS9_16discard_iteratorINS9_11use_defaultEEEd11max_functorIdEdEEDaPvRmT3_T4_T5_mT6_P12ihipStream_tbENKUlT_T0_E_clISt17integral_constantIbLb1EESW_IbLb0EEEEDaSS_ST_EUlSS_E0_NS1_11comp_targetILNS1_3genE10ELNS1_11target_archE1201ELNS1_3gpuE5ELNS1_3repE0EEENS1_30default_config_static_selectorELNS0_4arch9wavefront6targetE1EEEvT1_,comdat
	.protected	_ZN7rocprim17ROCPRIM_400000_NS6detail17trampoline_kernelINS0_14default_configENS1_20scan_config_selectorIdEEZZNS1_9scan_implILNS1_25lookback_scan_determinismE0ELb1ELb1ES3_N6thrust23THRUST_200600_302600_NS6detail15normal_iteratorINS9_10device_ptrIdEEEENS9_16discard_iteratorINS9_11use_defaultEEEd11max_functorIdEdEEDaPvRmT3_T4_T5_mT6_P12ihipStream_tbENKUlT_T0_E_clISt17integral_constantIbLb1EESW_IbLb0EEEEDaSS_ST_EUlSS_E0_NS1_11comp_targetILNS1_3genE10ELNS1_11target_archE1201ELNS1_3gpuE5ELNS1_3repE0EEENS1_30default_config_static_selectorELNS0_4arch9wavefront6targetE1EEEvT1_ ; -- Begin function _ZN7rocprim17ROCPRIM_400000_NS6detail17trampoline_kernelINS0_14default_configENS1_20scan_config_selectorIdEEZZNS1_9scan_implILNS1_25lookback_scan_determinismE0ELb1ELb1ES3_N6thrust23THRUST_200600_302600_NS6detail15normal_iteratorINS9_10device_ptrIdEEEENS9_16discard_iteratorINS9_11use_defaultEEEd11max_functorIdEdEEDaPvRmT3_T4_T5_mT6_P12ihipStream_tbENKUlT_T0_E_clISt17integral_constantIbLb1EESW_IbLb0EEEEDaSS_ST_EUlSS_E0_NS1_11comp_targetILNS1_3genE10ELNS1_11target_archE1201ELNS1_3gpuE5ELNS1_3repE0EEENS1_30default_config_static_selectorELNS0_4arch9wavefront6targetE1EEEvT1_
	.globl	_ZN7rocprim17ROCPRIM_400000_NS6detail17trampoline_kernelINS0_14default_configENS1_20scan_config_selectorIdEEZZNS1_9scan_implILNS1_25lookback_scan_determinismE0ELb1ELb1ES3_N6thrust23THRUST_200600_302600_NS6detail15normal_iteratorINS9_10device_ptrIdEEEENS9_16discard_iteratorINS9_11use_defaultEEEd11max_functorIdEdEEDaPvRmT3_T4_T5_mT6_P12ihipStream_tbENKUlT_T0_E_clISt17integral_constantIbLb1EESW_IbLb0EEEEDaSS_ST_EUlSS_E0_NS1_11comp_targetILNS1_3genE10ELNS1_11target_archE1201ELNS1_3gpuE5ELNS1_3repE0EEENS1_30default_config_static_selectorELNS0_4arch9wavefront6targetE1EEEvT1_
	.p2align	8
	.type	_ZN7rocprim17ROCPRIM_400000_NS6detail17trampoline_kernelINS0_14default_configENS1_20scan_config_selectorIdEEZZNS1_9scan_implILNS1_25lookback_scan_determinismE0ELb1ELb1ES3_N6thrust23THRUST_200600_302600_NS6detail15normal_iteratorINS9_10device_ptrIdEEEENS9_16discard_iteratorINS9_11use_defaultEEEd11max_functorIdEdEEDaPvRmT3_T4_T5_mT6_P12ihipStream_tbENKUlT_T0_E_clISt17integral_constantIbLb1EESW_IbLb0EEEEDaSS_ST_EUlSS_E0_NS1_11comp_targetILNS1_3genE10ELNS1_11target_archE1201ELNS1_3gpuE5ELNS1_3repE0EEENS1_30default_config_static_selectorELNS0_4arch9wavefront6targetE1EEEvT1_,@function
_ZN7rocprim17ROCPRIM_400000_NS6detail17trampoline_kernelINS0_14default_configENS1_20scan_config_selectorIdEEZZNS1_9scan_implILNS1_25lookback_scan_determinismE0ELb1ELb1ES3_N6thrust23THRUST_200600_302600_NS6detail15normal_iteratorINS9_10device_ptrIdEEEENS9_16discard_iteratorINS9_11use_defaultEEEd11max_functorIdEdEEDaPvRmT3_T4_T5_mT6_P12ihipStream_tbENKUlT_T0_E_clISt17integral_constantIbLb1EESW_IbLb0EEEEDaSS_ST_EUlSS_E0_NS1_11comp_targetILNS1_3genE10ELNS1_11target_archE1201ELNS1_3gpuE5ELNS1_3repE0EEENS1_30default_config_static_selectorELNS0_4arch9wavefront6targetE1EEEvT1_: ; @_ZN7rocprim17ROCPRIM_400000_NS6detail17trampoline_kernelINS0_14default_configENS1_20scan_config_selectorIdEEZZNS1_9scan_implILNS1_25lookback_scan_determinismE0ELb1ELb1ES3_N6thrust23THRUST_200600_302600_NS6detail15normal_iteratorINS9_10device_ptrIdEEEENS9_16discard_iteratorINS9_11use_defaultEEEd11max_functorIdEdEEDaPvRmT3_T4_T5_mT6_P12ihipStream_tbENKUlT_T0_E_clISt17integral_constantIbLb1EESW_IbLb0EEEEDaSS_ST_EUlSS_E0_NS1_11comp_targetILNS1_3genE10ELNS1_11target_archE1201ELNS1_3gpuE5ELNS1_3repE0EEENS1_30default_config_static_selectorELNS0_4arch9wavefront6targetE1EEEvT1_
; %bb.0:
	.section	.rodata,"a",@progbits
	.p2align	6, 0x0
	.amdhsa_kernel _ZN7rocprim17ROCPRIM_400000_NS6detail17trampoline_kernelINS0_14default_configENS1_20scan_config_selectorIdEEZZNS1_9scan_implILNS1_25lookback_scan_determinismE0ELb1ELb1ES3_N6thrust23THRUST_200600_302600_NS6detail15normal_iteratorINS9_10device_ptrIdEEEENS9_16discard_iteratorINS9_11use_defaultEEEd11max_functorIdEdEEDaPvRmT3_T4_T5_mT6_P12ihipStream_tbENKUlT_T0_E_clISt17integral_constantIbLb1EESW_IbLb0EEEEDaSS_ST_EUlSS_E0_NS1_11comp_targetILNS1_3genE10ELNS1_11target_archE1201ELNS1_3gpuE5ELNS1_3repE0EEENS1_30default_config_static_selectorELNS0_4arch9wavefront6targetE1EEEvT1_
		.amdhsa_group_segment_fixed_size 0
		.amdhsa_private_segment_fixed_size 0
		.amdhsa_kernarg_size 48
		.amdhsa_user_sgpr_count 6
		.amdhsa_user_sgpr_private_segment_buffer 1
		.amdhsa_user_sgpr_dispatch_ptr 0
		.amdhsa_user_sgpr_queue_ptr 0
		.amdhsa_user_sgpr_kernarg_segment_ptr 1
		.amdhsa_user_sgpr_dispatch_id 0
		.amdhsa_user_sgpr_flat_scratch_init 0
		.amdhsa_user_sgpr_kernarg_preload_length 0
		.amdhsa_user_sgpr_kernarg_preload_offset 0
		.amdhsa_user_sgpr_private_segment_size 0
		.amdhsa_uses_dynamic_stack 0
		.amdhsa_system_sgpr_private_segment_wavefront_offset 0
		.amdhsa_system_sgpr_workgroup_id_x 1
		.amdhsa_system_sgpr_workgroup_id_y 0
		.amdhsa_system_sgpr_workgroup_id_z 0
		.amdhsa_system_sgpr_workgroup_info 0
		.amdhsa_system_vgpr_workitem_id 0
		.amdhsa_next_free_vgpr 1
		.amdhsa_next_free_sgpr 0
		.amdhsa_accum_offset 4
		.amdhsa_reserve_vcc 0
		.amdhsa_reserve_flat_scratch 0
		.amdhsa_float_round_mode_32 0
		.amdhsa_float_round_mode_16_64 0
		.amdhsa_float_denorm_mode_32 3
		.amdhsa_float_denorm_mode_16_64 3
		.amdhsa_dx10_clamp 1
		.amdhsa_ieee_mode 1
		.amdhsa_fp16_overflow 0
		.amdhsa_tg_split 0
		.amdhsa_exception_fp_ieee_invalid_op 0
		.amdhsa_exception_fp_denorm_src 0
		.amdhsa_exception_fp_ieee_div_zero 0
		.amdhsa_exception_fp_ieee_overflow 0
		.amdhsa_exception_fp_ieee_underflow 0
		.amdhsa_exception_fp_ieee_inexact 0
		.amdhsa_exception_int_div_zero 0
	.end_amdhsa_kernel
	.section	.text._ZN7rocprim17ROCPRIM_400000_NS6detail17trampoline_kernelINS0_14default_configENS1_20scan_config_selectorIdEEZZNS1_9scan_implILNS1_25lookback_scan_determinismE0ELb1ELb1ES3_N6thrust23THRUST_200600_302600_NS6detail15normal_iteratorINS9_10device_ptrIdEEEENS9_16discard_iteratorINS9_11use_defaultEEEd11max_functorIdEdEEDaPvRmT3_T4_T5_mT6_P12ihipStream_tbENKUlT_T0_E_clISt17integral_constantIbLb1EESW_IbLb0EEEEDaSS_ST_EUlSS_E0_NS1_11comp_targetILNS1_3genE10ELNS1_11target_archE1201ELNS1_3gpuE5ELNS1_3repE0EEENS1_30default_config_static_selectorELNS0_4arch9wavefront6targetE1EEEvT1_,"axG",@progbits,_ZN7rocprim17ROCPRIM_400000_NS6detail17trampoline_kernelINS0_14default_configENS1_20scan_config_selectorIdEEZZNS1_9scan_implILNS1_25lookback_scan_determinismE0ELb1ELb1ES3_N6thrust23THRUST_200600_302600_NS6detail15normal_iteratorINS9_10device_ptrIdEEEENS9_16discard_iteratorINS9_11use_defaultEEEd11max_functorIdEdEEDaPvRmT3_T4_T5_mT6_P12ihipStream_tbENKUlT_T0_E_clISt17integral_constantIbLb1EESW_IbLb0EEEEDaSS_ST_EUlSS_E0_NS1_11comp_targetILNS1_3genE10ELNS1_11target_archE1201ELNS1_3gpuE5ELNS1_3repE0EEENS1_30default_config_static_selectorELNS0_4arch9wavefront6targetE1EEEvT1_,comdat
.Lfunc_end3112:
	.size	_ZN7rocprim17ROCPRIM_400000_NS6detail17trampoline_kernelINS0_14default_configENS1_20scan_config_selectorIdEEZZNS1_9scan_implILNS1_25lookback_scan_determinismE0ELb1ELb1ES3_N6thrust23THRUST_200600_302600_NS6detail15normal_iteratorINS9_10device_ptrIdEEEENS9_16discard_iteratorINS9_11use_defaultEEEd11max_functorIdEdEEDaPvRmT3_T4_T5_mT6_P12ihipStream_tbENKUlT_T0_E_clISt17integral_constantIbLb1EESW_IbLb0EEEEDaSS_ST_EUlSS_E0_NS1_11comp_targetILNS1_3genE10ELNS1_11target_archE1201ELNS1_3gpuE5ELNS1_3repE0EEENS1_30default_config_static_selectorELNS0_4arch9wavefront6targetE1EEEvT1_, .Lfunc_end3112-_ZN7rocprim17ROCPRIM_400000_NS6detail17trampoline_kernelINS0_14default_configENS1_20scan_config_selectorIdEEZZNS1_9scan_implILNS1_25lookback_scan_determinismE0ELb1ELb1ES3_N6thrust23THRUST_200600_302600_NS6detail15normal_iteratorINS9_10device_ptrIdEEEENS9_16discard_iteratorINS9_11use_defaultEEEd11max_functorIdEdEEDaPvRmT3_T4_T5_mT6_P12ihipStream_tbENKUlT_T0_E_clISt17integral_constantIbLb1EESW_IbLb0EEEEDaSS_ST_EUlSS_E0_NS1_11comp_targetILNS1_3genE10ELNS1_11target_archE1201ELNS1_3gpuE5ELNS1_3repE0EEENS1_30default_config_static_selectorELNS0_4arch9wavefront6targetE1EEEvT1_
                                        ; -- End function
	.section	.AMDGPU.csdata,"",@progbits
; Kernel info:
; codeLenInByte = 0
; NumSgprs: 4
; NumVgprs: 0
; NumAgprs: 0
; TotalNumVgprs: 0
; ScratchSize: 0
; MemoryBound: 0
; FloatMode: 240
; IeeeMode: 1
; LDSByteSize: 0 bytes/workgroup (compile time only)
; SGPRBlocks: 0
; VGPRBlocks: 0
; NumSGPRsForWavesPerEU: 4
; NumVGPRsForWavesPerEU: 1
; AccumOffset: 4
; Occupancy: 8
; WaveLimiterHint : 0
; COMPUTE_PGM_RSRC2:SCRATCH_EN: 0
; COMPUTE_PGM_RSRC2:USER_SGPR: 6
; COMPUTE_PGM_RSRC2:TRAP_HANDLER: 0
; COMPUTE_PGM_RSRC2:TGID_X_EN: 1
; COMPUTE_PGM_RSRC2:TGID_Y_EN: 0
; COMPUTE_PGM_RSRC2:TGID_Z_EN: 0
; COMPUTE_PGM_RSRC2:TIDIG_COMP_CNT: 0
; COMPUTE_PGM_RSRC3_GFX90A:ACCUM_OFFSET: 0
; COMPUTE_PGM_RSRC3_GFX90A:TG_SPLIT: 0
	.section	.text._ZN7rocprim17ROCPRIM_400000_NS6detail17trampoline_kernelINS0_14default_configENS1_20scan_config_selectorIdEEZZNS1_9scan_implILNS1_25lookback_scan_determinismE0ELb1ELb1ES3_N6thrust23THRUST_200600_302600_NS6detail15normal_iteratorINS9_10device_ptrIdEEEENS9_16discard_iteratorINS9_11use_defaultEEEd11max_functorIdEdEEDaPvRmT3_T4_T5_mT6_P12ihipStream_tbENKUlT_T0_E_clISt17integral_constantIbLb1EESW_IbLb0EEEEDaSS_ST_EUlSS_E0_NS1_11comp_targetILNS1_3genE10ELNS1_11target_archE1200ELNS1_3gpuE4ELNS1_3repE0EEENS1_30default_config_static_selectorELNS0_4arch9wavefront6targetE1EEEvT1_,"axG",@progbits,_ZN7rocprim17ROCPRIM_400000_NS6detail17trampoline_kernelINS0_14default_configENS1_20scan_config_selectorIdEEZZNS1_9scan_implILNS1_25lookback_scan_determinismE0ELb1ELb1ES3_N6thrust23THRUST_200600_302600_NS6detail15normal_iteratorINS9_10device_ptrIdEEEENS9_16discard_iteratorINS9_11use_defaultEEEd11max_functorIdEdEEDaPvRmT3_T4_T5_mT6_P12ihipStream_tbENKUlT_T0_E_clISt17integral_constantIbLb1EESW_IbLb0EEEEDaSS_ST_EUlSS_E0_NS1_11comp_targetILNS1_3genE10ELNS1_11target_archE1200ELNS1_3gpuE4ELNS1_3repE0EEENS1_30default_config_static_selectorELNS0_4arch9wavefront6targetE1EEEvT1_,comdat
	.protected	_ZN7rocprim17ROCPRIM_400000_NS6detail17trampoline_kernelINS0_14default_configENS1_20scan_config_selectorIdEEZZNS1_9scan_implILNS1_25lookback_scan_determinismE0ELb1ELb1ES3_N6thrust23THRUST_200600_302600_NS6detail15normal_iteratorINS9_10device_ptrIdEEEENS9_16discard_iteratorINS9_11use_defaultEEEd11max_functorIdEdEEDaPvRmT3_T4_T5_mT6_P12ihipStream_tbENKUlT_T0_E_clISt17integral_constantIbLb1EESW_IbLb0EEEEDaSS_ST_EUlSS_E0_NS1_11comp_targetILNS1_3genE10ELNS1_11target_archE1200ELNS1_3gpuE4ELNS1_3repE0EEENS1_30default_config_static_selectorELNS0_4arch9wavefront6targetE1EEEvT1_ ; -- Begin function _ZN7rocprim17ROCPRIM_400000_NS6detail17trampoline_kernelINS0_14default_configENS1_20scan_config_selectorIdEEZZNS1_9scan_implILNS1_25lookback_scan_determinismE0ELb1ELb1ES3_N6thrust23THRUST_200600_302600_NS6detail15normal_iteratorINS9_10device_ptrIdEEEENS9_16discard_iteratorINS9_11use_defaultEEEd11max_functorIdEdEEDaPvRmT3_T4_T5_mT6_P12ihipStream_tbENKUlT_T0_E_clISt17integral_constantIbLb1EESW_IbLb0EEEEDaSS_ST_EUlSS_E0_NS1_11comp_targetILNS1_3genE10ELNS1_11target_archE1200ELNS1_3gpuE4ELNS1_3repE0EEENS1_30default_config_static_selectorELNS0_4arch9wavefront6targetE1EEEvT1_
	.globl	_ZN7rocprim17ROCPRIM_400000_NS6detail17trampoline_kernelINS0_14default_configENS1_20scan_config_selectorIdEEZZNS1_9scan_implILNS1_25lookback_scan_determinismE0ELb1ELb1ES3_N6thrust23THRUST_200600_302600_NS6detail15normal_iteratorINS9_10device_ptrIdEEEENS9_16discard_iteratorINS9_11use_defaultEEEd11max_functorIdEdEEDaPvRmT3_T4_T5_mT6_P12ihipStream_tbENKUlT_T0_E_clISt17integral_constantIbLb1EESW_IbLb0EEEEDaSS_ST_EUlSS_E0_NS1_11comp_targetILNS1_3genE10ELNS1_11target_archE1200ELNS1_3gpuE4ELNS1_3repE0EEENS1_30default_config_static_selectorELNS0_4arch9wavefront6targetE1EEEvT1_
	.p2align	8
	.type	_ZN7rocprim17ROCPRIM_400000_NS6detail17trampoline_kernelINS0_14default_configENS1_20scan_config_selectorIdEEZZNS1_9scan_implILNS1_25lookback_scan_determinismE0ELb1ELb1ES3_N6thrust23THRUST_200600_302600_NS6detail15normal_iteratorINS9_10device_ptrIdEEEENS9_16discard_iteratorINS9_11use_defaultEEEd11max_functorIdEdEEDaPvRmT3_T4_T5_mT6_P12ihipStream_tbENKUlT_T0_E_clISt17integral_constantIbLb1EESW_IbLb0EEEEDaSS_ST_EUlSS_E0_NS1_11comp_targetILNS1_3genE10ELNS1_11target_archE1200ELNS1_3gpuE4ELNS1_3repE0EEENS1_30default_config_static_selectorELNS0_4arch9wavefront6targetE1EEEvT1_,@function
_ZN7rocprim17ROCPRIM_400000_NS6detail17trampoline_kernelINS0_14default_configENS1_20scan_config_selectorIdEEZZNS1_9scan_implILNS1_25lookback_scan_determinismE0ELb1ELb1ES3_N6thrust23THRUST_200600_302600_NS6detail15normal_iteratorINS9_10device_ptrIdEEEENS9_16discard_iteratorINS9_11use_defaultEEEd11max_functorIdEdEEDaPvRmT3_T4_T5_mT6_P12ihipStream_tbENKUlT_T0_E_clISt17integral_constantIbLb1EESW_IbLb0EEEEDaSS_ST_EUlSS_E0_NS1_11comp_targetILNS1_3genE10ELNS1_11target_archE1200ELNS1_3gpuE4ELNS1_3repE0EEENS1_30default_config_static_selectorELNS0_4arch9wavefront6targetE1EEEvT1_: ; @_ZN7rocprim17ROCPRIM_400000_NS6detail17trampoline_kernelINS0_14default_configENS1_20scan_config_selectorIdEEZZNS1_9scan_implILNS1_25lookback_scan_determinismE0ELb1ELb1ES3_N6thrust23THRUST_200600_302600_NS6detail15normal_iteratorINS9_10device_ptrIdEEEENS9_16discard_iteratorINS9_11use_defaultEEEd11max_functorIdEdEEDaPvRmT3_T4_T5_mT6_P12ihipStream_tbENKUlT_T0_E_clISt17integral_constantIbLb1EESW_IbLb0EEEEDaSS_ST_EUlSS_E0_NS1_11comp_targetILNS1_3genE10ELNS1_11target_archE1200ELNS1_3gpuE4ELNS1_3repE0EEENS1_30default_config_static_selectorELNS0_4arch9wavefront6targetE1EEEvT1_
; %bb.0:
	.section	.rodata,"a",@progbits
	.p2align	6, 0x0
	.amdhsa_kernel _ZN7rocprim17ROCPRIM_400000_NS6detail17trampoline_kernelINS0_14default_configENS1_20scan_config_selectorIdEEZZNS1_9scan_implILNS1_25lookback_scan_determinismE0ELb1ELb1ES3_N6thrust23THRUST_200600_302600_NS6detail15normal_iteratorINS9_10device_ptrIdEEEENS9_16discard_iteratorINS9_11use_defaultEEEd11max_functorIdEdEEDaPvRmT3_T4_T5_mT6_P12ihipStream_tbENKUlT_T0_E_clISt17integral_constantIbLb1EESW_IbLb0EEEEDaSS_ST_EUlSS_E0_NS1_11comp_targetILNS1_3genE10ELNS1_11target_archE1200ELNS1_3gpuE4ELNS1_3repE0EEENS1_30default_config_static_selectorELNS0_4arch9wavefront6targetE1EEEvT1_
		.amdhsa_group_segment_fixed_size 0
		.amdhsa_private_segment_fixed_size 0
		.amdhsa_kernarg_size 48
		.amdhsa_user_sgpr_count 6
		.amdhsa_user_sgpr_private_segment_buffer 1
		.amdhsa_user_sgpr_dispatch_ptr 0
		.amdhsa_user_sgpr_queue_ptr 0
		.amdhsa_user_sgpr_kernarg_segment_ptr 1
		.amdhsa_user_sgpr_dispatch_id 0
		.amdhsa_user_sgpr_flat_scratch_init 0
		.amdhsa_user_sgpr_kernarg_preload_length 0
		.amdhsa_user_sgpr_kernarg_preload_offset 0
		.amdhsa_user_sgpr_private_segment_size 0
		.amdhsa_uses_dynamic_stack 0
		.amdhsa_system_sgpr_private_segment_wavefront_offset 0
		.amdhsa_system_sgpr_workgroup_id_x 1
		.amdhsa_system_sgpr_workgroup_id_y 0
		.amdhsa_system_sgpr_workgroup_id_z 0
		.amdhsa_system_sgpr_workgroup_info 0
		.amdhsa_system_vgpr_workitem_id 0
		.amdhsa_next_free_vgpr 1
		.amdhsa_next_free_sgpr 0
		.amdhsa_accum_offset 4
		.amdhsa_reserve_vcc 0
		.amdhsa_reserve_flat_scratch 0
		.amdhsa_float_round_mode_32 0
		.amdhsa_float_round_mode_16_64 0
		.amdhsa_float_denorm_mode_32 3
		.amdhsa_float_denorm_mode_16_64 3
		.amdhsa_dx10_clamp 1
		.amdhsa_ieee_mode 1
		.amdhsa_fp16_overflow 0
		.amdhsa_tg_split 0
		.amdhsa_exception_fp_ieee_invalid_op 0
		.amdhsa_exception_fp_denorm_src 0
		.amdhsa_exception_fp_ieee_div_zero 0
		.amdhsa_exception_fp_ieee_overflow 0
		.amdhsa_exception_fp_ieee_underflow 0
		.amdhsa_exception_fp_ieee_inexact 0
		.amdhsa_exception_int_div_zero 0
	.end_amdhsa_kernel
	.section	.text._ZN7rocprim17ROCPRIM_400000_NS6detail17trampoline_kernelINS0_14default_configENS1_20scan_config_selectorIdEEZZNS1_9scan_implILNS1_25lookback_scan_determinismE0ELb1ELb1ES3_N6thrust23THRUST_200600_302600_NS6detail15normal_iteratorINS9_10device_ptrIdEEEENS9_16discard_iteratorINS9_11use_defaultEEEd11max_functorIdEdEEDaPvRmT3_T4_T5_mT6_P12ihipStream_tbENKUlT_T0_E_clISt17integral_constantIbLb1EESW_IbLb0EEEEDaSS_ST_EUlSS_E0_NS1_11comp_targetILNS1_3genE10ELNS1_11target_archE1200ELNS1_3gpuE4ELNS1_3repE0EEENS1_30default_config_static_selectorELNS0_4arch9wavefront6targetE1EEEvT1_,"axG",@progbits,_ZN7rocprim17ROCPRIM_400000_NS6detail17trampoline_kernelINS0_14default_configENS1_20scan_config_selectorIdEEZZNS1_9scan_implILNS1_25lookback_scan_determinismE0ELb1ELb1ES3_N6thrust23THRUST_200600_302600_NS6detail15normal_iteratorINS9_10device_ptrIdEEEENS9_16discard_iteratorINS9_11use_defaultEEEd11max_functorIdEdEEDaPvRmT3_T4_T5_mT6_P12ihipStream_tbENKUlT_T0_E_clISt17integral_constantIbLb1EESW_IbLb0EEEEDaSS_ST_EUlSS_E0_NS1_11comp_targetILNS1_3genE10ELNS1_11target_archE1200ELNS1_3gpuE4ELNS1_3repE0EEENS1_30default_config_static_selectorELNS0_4arch9wavefront6targetE1EEEvT1_,comdat
.Lfunc_end3113:
	.size	_ZN7rocprim17ROCPRIM_400000_NS6detail17trampoline_kernelINS0_14default_configENS1_20scan_config_selectorIdEEZZNS1_9scan_implILNS1_25lookback_scan_determinismE0ELb1ELb1ES3_N6thrust23THRUST_200600_302600_NS6detail15normal_iteratorINS9_10device_ptrIdEEEENS9_16discard_iteratorINS9_11use_defaultEEEd11max_functorIdEdEEDaPvRmT3_T4_T5_mT6_P12ihipStream_tbENKUlT_T0_E_clISt17integral_constantIbLb1EESW_IbLb0EEEEDaSS_ST_EUlSS_E0_NS1_11comp_targetILNS1_3genE10ELNS1_11target_archE1200ELNS1_3gpuE4ELNS1_3repE0EEENS1_30default_config_static_selectorELNS0_4arch9wavefront6targetE1EEEvT1_, .Lfunc_end3113-_ZN7rocprim17ROCPRIM_400000_NS6detail17trampoline_kernelINS0_14default_configENS1_20scan_config_selectorIdEEZZNS1_9scan_implILNS1_25lookback_scan_determinismE0ELb1ELb1ES3_N6thrust23THRUST_200600_302600_NS6detail15normal_iteratorINS9_10device_ptrIdEEEENS9_16discard_iteratorINS9_11use_defaultEEEd11max_functorIdEdEEDaPvRmT3_T4_T5_mT6_P12ihipStream_tbENKUlT_T0_E_clISt17integral_constantIbLb1EESW_IbLb0EEEEDaSS_ST_EUlSS_E0_NS1_11comp_targetILNS1_3genE10ELNS1_11target_archE1200ELNS1_3gpuE4ELNS1_3repE0EEENS1_30default_config_static_selectorELNS0_4arch9wavefront6targetE1EEEvT1_
                                        ; -- End function
	.section	.AMDGPU.csdata,"",@progbits
; Kernel info:
; codeLenInByte = 0
; NumSgprs: 4
; NumVgprs: 0
; NumAgprs: 0
; TotalNumVgprs: 0
; ScratchSize: 0
; MemoryBound: 0
; FloatMode: 240
; IeeeMode: 1
; LDSByteSize: 0 bytes/workgroup (compile time only)
; SGPRBlocks: 0
; VGPRBlocks: 0
; NumSGPRsForWavesPerEU: 4
; NumVGPRsForWavesPerEU: 1
; AccumOffset: 4
; Occupancy: 8
; WaveLimiterHint : 0
; COMPUTE_PGM_RSRC2:SCRATCH_EN: 0
; COMPUTE_PGM_RSRC2:USER_SGPR: 6
; COMPUTE_PGM_RSRC2:TRAP_HANDLER: 0
; COMPUTE_PGM_RSRC2:TGID_X_EN: 1
; COMPUTE_PGM_RSRC2:TGID_Y_EN: 0
; COMPUTE_PGM_RSRC2:TGID_Z_EN: 0
; COMPUTE_PGM_RSRC2:TIDIG_COMP_CNT: 0
; COMPUTE_PGM_RSRC3_GFX90A:ACCUM_OFFSET: 0
; COMPUTE_PGM_RSRC3_GFX90A:TG_SPLIT: 0
	.section	.text._ZN7rocprim17ROCPRIM_400000_NS6detail17trampoline_kernelINS0_14default_configENS1_20scan_config_selectorIdEEZZNS1_9scan_implILNS1_25lookback_scan_determinismE0ELb1ELb1ES3_N6thrust23THRUST_200600_302600_NS6detail15normal_iteratorINS9_10device_ptrIdEEEENS9_16discard_iteratorINS9_11use_defaultEEEd11max_functorIdEdEEDaPvRmT3_T4_T5_mT6_P12ihipStream_tbENKUlT_T0_E_clISt17integral_constantIbLb1EESW_IbLb0EEEEDaSS_ST_EUlSS_E0_NS1_11comp_targetILNS1_3genE9ELNS1_11target_archE1100ELNS1_3gpuE3ELNS1_3repE0EEENS1_30default_config_static_selectorELNS0_4arch9wavefront6targetE1EEEvT1_,"axG",@progbits,_ZN7rocprim17ROCPRIM_400000_NS6detail17trampoline_kernelINS0_14default_configENS1_20scan_config_selectorIdEEZZNS1_9scan_implILNS1_25lookback_scan_determinismE0ELb1ELb1ES3_N6thrust23THRUST_200600_302600_NS6detail15normal_iteratorINS9_10device_ptrIdEEEENS9_16discard_iteratorINS9_11use_defaultEEEd11max_functorIdEdEEDaPvRmT3_T4_T5_mT6_P12ihipStream_tbENKUlT_T0_E_clISt17integral_constantIbLb1EESW_IbLb0EEEEDaSS_ST_EUlSS_E0_NS1_11comp_targetILNS1_3genE9ELNS1_11target_archE1100ELNS1_3gpuE3ELNS1_3repE0EEENS1_30default_config_static_selectorELNS0_4arch9wavefront6targetE1EEEvT1_,comdat
	.protected	_ZN7rocprim17ROCPRIM_400000_NS6detail17trampoline_kernelINS0_14default_configENS1_20scan_config_selectorIdEEZZNS1_9scan_implILNS1_25lookback_scan_determinismE0ELb1ELb1ES3_N6thrust23THRUST_200600_302600_NS6detail15normal_iteratorINS9_10device_ptrIdEEEENS9_16discard_iteratorINS9_11use_defaultEEEd11max_functorIdEdEEDaPvRmT3_T4_T5_mT6_P12ihipStream_tbENKUlT_T0_E_clISt17integral_constantIbLb1EESW_IbLb0EEEEDaSS_ST_EUlSS_E0_NS1_11comp_targetILNS1_3genE9ELNS1_11target_archE1100ELNS1_3gpuE3ELNS1_3repE0EEENS1_30default_config_static_selectorELNS0_4arch9wavefront6targetE1EEEvT1_ ; -- Begin function _ZN7rocprim17ROCPRIM_400000_NS6detail17trampoline_kernelINS0_14default_configENS1_20scan_config_selectorIdEEZZNS1_9scan_implILNS1_25lookback_scan_determinismE0ELb1ELb1ES3_N6thrust23THRUST_200600_302600_NS6detail15normal_iteratorINS9_10device_ptrIdEEEENS9_16discard_iteratorINS9_11use_defaultEEEd11max_functorIdEdEEDaPvRmT3_T4_T5_mT6_P12ihipStream_tbENKUlT_T0_E_clISt17integral_constantIbLb1EESW_IbLb0EEEEDaSS_ST_EUlSS_E0_NS1_11comp_targetILNS1_3genE9ELNS1_11target_archE1100ELNS1_3gpuE3ELNS1_3repE0EEENS1_30default_config_static_selectorELNS0_4arch9wavefront6targetE1EEEvT1_
	.globl	_ZN7rocprim17ROCPRIM_400000_NS6detail17trampoline_kernelINS0_14default_configENS1_20scan_config_selectorIdEEZZNS1_9scan_implILNS1_25lookback_scan_determinismE0ELb1ELb1ES3_N6thrust23THRUST_200600_302600_NS6detail15normal_iteratorINS9_10device_ptrIdEEEENS9_16discard_iteratorINS9_11use_defaultEEEd11max_functorIdEdEEDaPvRmT3_T4_T5_mT6_P12ihipStream_tbENKUlT_T0_E_clISt17integral_constantIbLb1EESW_IbLb0EEEEDaSS_ST_EUlSS_E0_NS1_11comp_targetILNS1_3genE9ELNS1_11target_archE1100ELNS1_3gpuE3ELNS1_3repE0EEENS1_30default_config_static_selectorELNS0_4arch9wavefront6targetE1EEEvT1_
	.p2align	8
	.type	_ZN7rocprim17ROCPRIM_400000_NS6detail17trampoline_kernelINS0_14default_configENS1_20scan_config_selectorIdEEZZNS1_9scan_implILNS1_25lookback_scan_determinismE0ELb1ELb1ES3_N6thrust23THRUST_200600_302600_NS6detail15normal_iteratorINS9_10device_ptrIdEEEENS9_16discard_iteratorINS9_11use_defaultEEEd11max_functorIdEdEEDaPvRmT3_T4_T5_mT6_P12ihipStream_tbENKUlT_T0_E_clISt17integral_constantIbLb1EESW_IbLb0EEEEDaSS_ST_EUlSS_E0_NS1_11comp_targetILNS1_3genE9ELNS1_11target_archE1100ELNS1_3gpuE3ELNS1_3repE0EEENS1_30default_config_static_selectorELNS0_4arch9wavefront6targetE1EEEvT1_,@function
_ZN7rocprim17ROCPRIM_400000_NS6detail17trampoline_kernelINS0_14default_configENS1_20scan_config_selectorIdEEZZNS1_9scan_implILNS1_25lookback_scan_determinismE0ELb1ELb1ES3_N6thrust23THRUST_200600_302600_NS6detail15normal_iteratorINS9_10device_ptrIdEEEENS9_16discard_iteratorINS9_11use_defaultEEEd11max_functorIdEdEEDaPvRmT3_T4_T5_mT6_P12ihipStream_tbENKUlT_T0_E_clISt17integral_constantIbLb1EESW_IbLb0EEEEDaSS_ST_EUlSS_E0_NS1_11comp_targetILNS1_3genE9ELNS1_11target_archE1100ELNS1_3gpuE3ELNS1_3repE0EEENS1_30default_config_static_selectorELNS0_4arch9wavefront6targetE1EEEvT1_: ; @_ZN7rocprim17ROCPRIM_400000_NS6detail17trampoline_kernelINS0_14default_configENS1_20scan_config_selectorIdEEZZNS1_9scan_implILNS1_25lookback_scan_determinismE0ELb1ELb1ES3_N6thrust23THRUST_200600_302600_NS6detail15normal_iteratorINS9_10device_ptrIdEEEENS9_16discard_iteratorINS9_11use_defaultEEEd11max_functorIdEdEEDaPvRmT3_T4_T5_mT6_P12ihipStream_tbENKUlT_T0_E_clISt17integral_constantIbLb1EESW_IbLb0EEEEDaSS_ST_EUlSS_E0_NS1_11comp_targetILNS1_3genE9ELNS1_11target_archE1100ELNS1_3gpuE3ELNS1_3repE0EEENS1_30default_config_static_selectorELNS0_4arch9wavefront6targetE1EEEvT1_
; %bb.0:
	.section	.rodata,"a",@progbits
	.p2align	6, 0x0
	.amdhsa_kernel _ZN7rocprim17ROCPRIM_400000_NS6detail17trampoline_kernelINS0_14default_configENS1_20scan_config_selectorIdEEZZNS1_9scan_implILNS1_25lookback_scan_determinismE0ELb1ELb1ES3_N6thrust23THRUST_200600_302600_NS6detail15normal_iteratorINS9_10device_ptrIdEEEENS9_16discard_iteratorINS9_11use_defaultEEEd11max_functorIdEdEEDaPvRmT3_T4_T5_mT6_P12ihipStream_tbENKUlT_T0_E_clISt17integral_constantIbLb1EESW_IbLb0EEEEDaSS_ST_EUlSS_E0_NS1_11comp_targetILNS1_3genE9ELNS1_11target_archE1100ELNS1_3gpuE3ELNS1_3repE0EEENS1_30default_config_static_selectorELNS0_4arch9wavefront6targetE1EEEvT1_
		.amdhsa_group_segment_fixed_size 0
		.amdhsa_private_segment_fixed_size 0
		.amdhsa_kernarg_size 48
		.amdhsa_user_sgpr_count 6
		.amdhsa_user_sgpr_private_segment_buffer 1
		.amdhsa_user_sgpr_dispatch_ptr 0
		.amdhsa_user_sgpr_queue_ptr 0
		.amdhsa_user_sgpr_kernarg_segment_ptr 1
		.amdhsa_user_sgpr_dispatch_id 0
		.amdhsa_user_sgpr_flat_scratch_init 0
		.amdhsa_user_sgpr_kernarg_preload_length 0
		.amdhsa_user_sgpr_kernarg_preload_offset 0
		.amdhsa_user_sgpr_private_segment_size 0
		.amdhsa_uses_dynamic_stack 0
		.amdhsa_system_sgpr_private_segment_wavefront_offset 0
		.amdhsa_system_sgpr_workgroup_id_x 1
		.amdhsa_system_sgpr_workgroup_id_y 0
		.amdhsa_system_sgpr_workgroup_id_z 0
		.amdhsa_system_sgpr_workgroup_info 0
		.amdhsa_system_vgpr_workitem_id 0
		.amdhsa_next_free_vgpr 1
		.amdhsa_next_free_sgpr 0
		.amdhsa_accum_offset 4
		.amdhsa_reserve_vcc 0
		.amdhsa_reserve_flat_scratch 0
		.amdhsa_float_round_mode_32 0
		.amdhsa_float_round_mode_16_64 0
		.amdhsa_float_denorm_mode_32 3
		.amdhsa_float_denorm_mode_16_64 3
		.amdhsa_dx10_clamp 1
		.amdhsa_ieee_mode 1
		.amdhsa_fp16_overflow 0
		.amdhsa_tg_split 0
		.amdhsa_exception_fp_ieee_invalid_op 0
		.amdhsa_exception_fp_denorm_src 0
		.amdhsa_exception_fp_ieee_div_zero 0
		.amdhsa_exception_fp_ieee_overflow 0
		.amdhsa_exception_fp_ieee_underflow 0
		.amdhsa_exception_fp_ieee_inexact 0
		.amdhsa_exception_int_div_zero 0
	.end_amdhsa_kernel
	.section	.text._ZN7rocprim17ROCPRIM_400000_NS6detail17trampoline_kernelINS0_14default_configENS1_20scan_config_selectorIdEEZZNS1_9scan_implILNS1_25lookback_scan_determinismE0ELb1ELb1ES3_N6thrust23THRUST_200600_302600_NS6detail15normal_iteratorINS9_10device_ptrIdEEEENS9_16discard_iteratorINS9_11use_defaultEEEd11max_functorIdEdEEDaPvRmT3_T4_T5_mT6_P12ihipStream_tbENKUlT_T0_E_clISt17integral_constantIbLb1EESW_IbLb0EEEEDaSS_ST_EUlSS_E0_NS1_11comp_targetILNS1_3genE9ELNS1_11target_archE1100ELNS1_3gpuE3ELNS1_3repE0EEENS1_30default_config_static_selectorELNS0_4arch9wavefront6targetE1EEEvT1_,"axG",@progbits,_ZN7rocprim17ROCPRIM_400000_NS6detail17trampoline_kernelINS0_14default_configENS1_20scan_config_selectorIdEEZZNS1_9scan_implILNS1_25lookback_scan_determinismE0ELb1ELb1ES3_N6thrust23THRUST_200600_302600_NS6detail15normal_iteratorINS9_10device_ptrIdEEEENS9_16discard_iteratorINS9_11use_defaultEEEd11max_functorIdEdEEDaPvRmT3_T4_T5_mT6_P12ihipStream_tbENKUlT_T0_E_clISt17integral_constantIbLb1EESW_IbLb0EEEEDaSS_ST_EUlSS_E0_NS1_11comp_targetILNS1_3genE9ELNS1_11target_archE1100ELNS1_3gpuE3ELNS1_3repE0EEENS1_30default_config_static_selectorELNS0_4arch9wavefront6targetE1EEEvT1_,comdat
.Lfunc_end3114:
	.size	_ZN7rocprim17ROCPRIM_400000_NS6detail17trampoline_kernelINS0_14default_configENS1_20scan_config_selectorIdEEZZNS1_9scan_implILNS1_25lookback_scan_determinismE0ELb1ELb1ES3_N6thrust23THRUST_200600_302600_NS6detail15normal_iteratorINS9_10device_ptrIdEEEENS9_16discard_iteratorINS9_11use_defaultEEEd11max_functorIdEdEEDaPvRmT3_T4_T5_mT6_P12ihipStream_tbENKUlT_T0_E_clISt17integral_constantIbLb1EESW_IbLb0EEEEDaSS_ST_EUlSS_E0_NS1_11comp_targetILNS1_3genE9ELNS1_11target_archE1100ELNS1_3gpuE3ELNS1_3repE0EEENS1_30default_config_static_selectorELNS0_4arch9wavefront6targetE1EEEvT1_, .Lfunc_end3114-_ZN7rocprim17ROCPRIM_400000_NS6detail17trampoline_kernelINS0_14default_configENS1_20scan_config_selectorIdEEZZNS1_9scan_implILNS1_25lookback_scan_determinismE0ELb1ELb1ES3_N6thrust23THRUST_200600_302600_NS6detail15normal_iteratorINS9_10device_ptrIdEEEENS9_16discard_iteratorINS9_11use_defaultEEEd11max_functorIdEdEEDaPvRmT3_T4_T5_mT6_P12ihipStream_tbENKUlT_T0_E_clISt17integral_constantIbLb1EESW_IbLb0EEEEDaSS_ST_EUlSS_E0_NS1_11comp_targetILNS1_3genE9ELNS1_11target_archE1100ELNS1_3gpuE3ELNS1_3repE0EEENS1_30default_config_static_selectorELNS0_4arch9wavefront6targetE1EEEvT1_
                                        ; -- End function
	.section	.AMDGPU.csdata,"",@progbits
; Kernel info:
; codeLenInByte = 0
; NumSgprs: 4
; NumVgprs: 0
; NumAgprs: 0
; TotalNumVgprs: 0
; ScratchSize: 0
; MemoryBound: 0
; FloatMode: 240
; IeeeMode: 1
; LDSByteSize: 0 bytes/workgroup (compile time only)
; SGPRBlocks: 0
; VGPRBlocks: 0
; NumSGPRsForWavesPerEU: 4
; NumVGPRsForWavesPerEU: 1
; AccumOffset: 4
; Occupancy: 8
; WaveLimiterHint : 0
; COMPUTE_PGM_RSRC2:SCRATCH_EN: 0
; COMPUTE_PGM_RSRC2:USER_SGPR: 6
; COMPUTE_PGM_RSRC2:TRAP_HANDLER: 0
; COMPUTE_PGM_RSRC2:TGID_X_EN: 1
; COMPUTE_PGM_RSRC2:TGID_Y_EN: 0
; COMPUTE_PGM_RSRC2:TGID_Z_EN: 0
; COMPUTE_PGM_RSRC2:TIDIG_COMP_CNT: 0
; COMPUTE_PGM_RSRC3_GFX90A:ACCUM_OFFSET: 0
; COMPUTE_PGM_RSRC3_GFX90A:TG_SPLIT: 0
	.section	.text._ZN7rocprim17ROCPRIM_400000_NS6detail17trampoline_kernelINS0_14default_configENS1_20scan_config_selectorIdEEZZNS1_9scan_implILNS1_25lookback_scan_determinismE0ELb1ELb1ES3_N6thrust23THRUST_200600_302600_NS6detail15normal_iteratorINS9_10device_ptrIdEEEENS9_16discard_iteratorINS9_11use_defaultEEEd11max_functorIdEdEEDaPvRmT3_T4_T5_mT6_P12ihipStream_tbENKUlT_T0_E_clISt17integral_constantIbLb1EESW_IbLb0EEEEDaSS_ST_EUlSS_E0_NS1_11comp_targetILNS1_3genE8ELNS1_11target_archE1030ELNS1_3gpuE2ELNS1_3repE0EEENS1_30default_config_static_selectorELNS0_4arch9wavefront6targetE1EEEvT1_,"axG",@progbits,_ZN7rocprim17ROCPRIM_400000_NS6detail17trampoline_kernelINS0_14default_configENS1_20scan_config_selectorIdEEZZNS1_9scan_implILNS1_25lookback_scan_determinismE0ELb1ELb1ES3_N6thrust23THRUST_200600_302600_NS6detail15normal_iteratorINS9_10device_ptrIdEEEENS9_16discard_iteratorINS9_11use_defaultEEEd11max_functorIdEdEEDaPvRmT3_T4_T5_mT6_P12ihipStream_tbENKUlT_T0_E_clISt17integral_constantIbLb1EESW_IbLb0EEEEDaSS_ST_EUlSS_E0_NS1_11comp_targetILNS1_3genE8ELNS1_11target_archE1030ELNS1_3gpuE2ELNS1_3repE0EEENS1_30default_config_static_selectorELNS0_4arch9wavefront6targetE1EEEvT1_,comdat
	.protected	_ZN7rocprim17ROCPRIM_400000_NS6detail17trampoline_kernelINS0_14default_configENS1_20scan_config_selectorIdEEZZNS1_9scan_implILNS1_25lookback_scan_determinismE0ELb1ELb1ES3_N6thrust23THRUST_200600_302600_NS6detail15normal_iteratorINS9_10device_ptrIdEEEENS9_16discard_iteratorINS9_11use_defaultEEEd11max_functorIdEdEEDaPvRmT3_T4_T5_mT6_P12ihipStream_tbENKUlT_T0_E_clISt17integral_constantIbLb1EESW_IbLb0EEEEDaSS_ST_EUlSS_E0_NS1_11comp_targetILNS1_3genE8ELNS1_11target_archE1030ELNS1_3gpuE2ELNS1_3repE0EEENS1_30default_config_static_selectorELNS0_4arch9wavefront6targetE1EEEvT1_ ; -- Begin function _ZN7rocprim17ROCPRIM_400000_NS6detail17trampoline_kernelINS0_14default_configENS1_20scan_config_selectorIdEEZZNS1_9scan_implILNS1_25lookback_scan_determinismE0ELb1ELb1ES3_N6thrust23THRUST_200600_302600_NS6detail15normal_iteratorINS9_10device_ptrIdEEEENS9_16discard_iteratorINS9_11use_defaultEEEd11max_functorIdEdEEDaPvRmT3_T4_T5_mT6_P12ihipStream_tbENKUlT_T0_E_clISt17integral_constantIbLb1EESW_IbLb0EEEEDaSS_ST_EUlSS_E0_NS1_11comp_targetILNS1_3genE8ELNS1_11target_archE1030ELNS1_3gpuE2ELNS1_3repE0EEENS1_30default_config_static_selectorELNS0_4arch9wavefront6targetE1EEEvT1_
	.globl	_ZN7rocprim17ROCPRIM_400000_NS6detail17trampoline_kernelINS0_14default_configENS1_20scan_config_selectorIdEEZZNS1_9scan_implILNS1_25lookback_scan_determinismE0ELb1ELb1ES3_N6thrust23THRUST_200600_302600_NS6detail15normal_iteratorINS9_10device_ptrIdEEEENS9_16discard_iteratorINS9_11use_defaultEEEd11max_functorIdEdEEDaPvRmT3_T4_T5_mT6_P12ihipStream_tbENKUlT_T0_E_clISt17integral_constantIbLb1EESW_IbLb0EEEEDaSS_ST_EUlSS_E0_NS1_11comp_targetILNS1_3genE8ELNS1_11target_archE1030ELNS1_3gpuE2ELNS1_3repE0EEENS1_30default_config_static_selectorELNS0_4arch9wavefront6targetE1EEEvT1_
	.p2align	8
	.type	_ZN7rocprim17ROCPRIM_400000_NS6detail17trampoline_kernelINS0_14default_configENS1_20scan_config_selectorIdEEZZNS1_9scan_implILNS1_25lookback_scan_determinismE0ELb1ELb1ES3_N6thrust23THRUST_200600_302600_NS6detail15normal_iteratorINS9_10device_ptrIdEEEENS9_16discard_iteratorINS9_11use_defaultEEEd11max_functorIdEdEEDaPvRmT3_T4_T5_mT6_P12ihipStream_tbENKUlT_T0_E_clISt17integral_constantIbLb1EESW_IbLb0EEEEDaSS_ST_EUlSS_E0_NS1_11comp_targetILNS1_3genE8ELNS1_11target_archE1030ELNS1_3gpuE2ELNS1_3repE0EEENS1_30default_config_static_selectorELNS0_4arch9wavefront6targetE1EEEvT1_,@function
_ZN7rocprim17ROCPRIM_400000_NS6detail17trampoline_kernelINS0_14default_configENS1_20scan_config_selectorIdEEZZNS1_9scan_implILNS1_25lookback_scan_determinismE0ELb1ELb1ES3_N6thrust23THRUST_200600_302600_NS6detail15normal_iteratorINS9_10device_ptrIdEEEENS9_16discard_iteratorINS9_11use_defaultEEEd11max_functorIdEdEEDaPvRmT3_T4_T5_mT6_P12ihipStream_tbENKUlT_T0_E_clISt17integral_constantIbLb1EESW_IbLb0EEEEDaSS_ST_EUlSS_E0_NS1_11comp_targetILNS1_3genE8ELNS1_11target_archE1030ELNS1_3gpuE2ELNS1_3repE0EEENS1_30default_config_static_selectorELNS0_4arch9wavefront6targetE1EEEvT1_: ; @_ZN7rocprim17ROCPRIM_400000_NS6detail17trampoline_kernelINS0_14default_configENS1_20scan_config_selectorIdEEZZNS1_9scan_implILNS1_25lookback_scan_determinismE0ELb1ELb1ES3_N6thrust23THRUST_200600_302600_NS6detail15normal_iteratorINS9_10device_ptrIdEEEENS9_16discard_iteratorINS9_11use_defaultEEEd11max_functorIdEdEEDaPvRmT3_T4_T5_mT6_P12ihipStream_tbENKUlT_T0_E_clISt17integral_constantIbLb1EESW_IbLb0EEEEDaSS_ST_EUlSS_E0_NS1_11comp_targetILNS1_3genE8ELNS1_11target_archE1030ELNS1_3gpuE2ELNS1_3repE0EEENS1_30default_config_static_selectorELNS0_4arch9wavefront6targetE1EEEvT1_
; %bb.0:
	.section	.rodata,"a",@progbits
	.p2align	6, 0x0
	.amdhsa_kernel _ZN7rocprim17ROCPRIM_400000_NS6detail17trampoline_kernelINS0_14default_configENS1_20scan_config_selectorIdEEZZNS1_9scan_implILNS1_25lookback_scan_determinismE0ELb1ELb1ES3_N6thrust23THRUST_200600_302600_NS6detail15normal_iteratorINS9_10device_ptrIdEEEENS9_16discard_iteratorINS9_11use_defaultEEEd11max_functorIdEdEEDaPvRmT3_T4_T5_mT6_P12ihipStream_tbENKUlT_T0_E_clISt17integral_constantIbLb1EESW_IbLb0EEEEDaSS_ST_EUlSS_E0_NS1_11comp_targetILNS1_3genE8ELNS1_11target_archE1030ELNS1_3gpuE2ELNS1_3repE0EEENS1_30default_config_static_selectorELNS0_4arch9wavefront6targetE1EEEvT1_
		.amdhsa_group_segment_fixed_size 0
		.amdhsa_private_segment_fixed_size 0
		.amdhsa_kernarg_size 48
		.amdhsa_user_sgpr_count 6
		.amdhsa_user_sgpr_private_segment_buffer 1
		.amdhsa_user_sgpr_dispatch_ptr 0
		.amdhsa_user_sgpr_queue_ptr 0
		.amdhsa_user_sgpr_kernarg_segment_ptr 1
		.amdhsa_user_sgpr_dispatch_id 0
		.amdhsa_user_sgpr_flat_scratch_init 0
		.amdhsa_user_sgpr_kernarg_preload_length 0
		.amdhsa_user_sgpr_kernarg_preload_offset 0
		.amdhsa_user_sgpr_private_segment_size 0
		.amdhsa_uses_dynamic_stack 0
		.amdhsa_system_sgpr_private_segment_wavefront_offset 0
		.amdhsa_system_sgpr_workgroup_id_x 1
		.amdhsa_system_sgpr_workgroup_id_y 0
		.amdhsa_system_sgpr_workgroup_id_z 0
		.amdhsa_system_sgpr_workgroup_info 0
		.amdhsa_system_vgpr_workitem_id 0
		.amdhsa_next_free_vgpr 1
		.amdhsa_next_free_sgpr 0
		.amdhsa_accum_offset 4
		.amdhsa_reserve_vcc 0
		.amdhsa_reserve_flat_scratch 0
		.amdhsa_float_round_mode_32 0
		.amdhsa_float_round_mode_16_64 0
		.amdhsa_float_denorm_mode_32 3
		.amdhsa_float_denorm_mode_16_64 3
		.amdhsa_dx10_clamp 1
		.amdhsa_ieee_mode 1
		.amdhsa_fp16_overflow 0
		.amdhsa_tg_split 0
		.amdhsa_exception_fp_ieee_invalid_op 0
		.amdhsa_exception_fp_denorm_src 0
		.amdhsa_exception_fp_ieee_div_zero 0
		.amdhsa_exception_fp_ieee_overflow 0
		.amdhsa_exception_fp_ieee_underflow 0
		.amdhsa_exception_fp_ieee_inexact 0
		.amdhsa_exception_int_div_zero 0
	.end_amdhsa_kernel
	.section	.text._ZN7rocprim17ROCPRIM_400000_NS6detail17trampoline_kernelINS0_14default_configENS1_20scan_config_selectorIdEEZZNS1_9scan_implILNS1_25lookback_scan_determinismE0ELb1ELb1ES3_N6thrust23THRUST_200600_302600_NS6detail15normal_iteratorINS9_10device_ptrIdEEEENS9_16discard_iteratorINS9_11use_defaultEEEd11max_functorIdEdEEDaPvRmT3_T4_T5_mT6_P12ihipStream_tbENKUlT_T0_E_clISt17integral_constantIbLb1EESW_IbLb0EEEEDaSS_ST_EUlSS_E0_NS1_11comp_targetILNS1_3genE8ELNS1_11target_archE1030ELNS1_3gpuE2ELNS1_3repE0EEENS1_30default_config_static_selectorELNS0_4arch9wavefront6targetE1EEEvT1_,"axG",@progbits,_ZN7rocprim17ROCPRIM_400000_NS6detail17trampoline_kernelINS0_14default_configENS1_20scan_config_selectorIdEEZZNS1_9scan_implILNS1_25lookback_scan_determinismE0ELb1ELb1ES3_N6thrust23THRUST_200600_302600_NS6detail15normal_iteratorINS9_10device_ptrIdEEEENS9_16discard_iteratorINS9_11use_defaultEEEd11max_functorIdEdEEDaPvRmT3_T4_T5_mT6_P12ihipStream_tbENKUlT_T0_E_clISt17integral_constantIbLb1EESW_IbLb0EEEEDaSS_ST_EUlSS_E0_NS1_11comp_targetILNS1_3genE8ELNS1_11target_archE1030ELNS1_3gpuE2ELNS1_3repE0EEENS1_30default_config_static_selectorELNS0_4arch9wavefront6targetE1EEEvT1_,comdat
.Lfunc_end3115:
	.size	_ZN7rocprim17ROCPRIM_400000_NS6detail17trampoline_kernelINS0_14default_configENS1_20scan_config_selectorIdEEZZNS1_9scan_implILNS1_25lookback_scan_determinismE0ELb1ELb1ES3_N6thrust23THRUST_200600_302600_NS6detail15normal_iteratorINS9_10device_ptrIdEEEENS9_16discard_iteratorINS9_11use_defaultEEEd11max_functorIdEdEEDaPvRmT3_T4_T5_mT6_P12ihipStream_tbENKUlT_T0_E_clISt17integral_constantIbLb1EESW_IbLb0EEEEDaSS_ST_EUlSS_E0_NS1_11comp_targetILNS1_3genE8ELNS1_11target_archE1030ELNS1_3gpuE2ELNS1_3repE0EEENS1_30default_config_static_selectorELNS0_4arch9wavefront6targetE1EEEvT1_, .Lfunc_end3115-_ZN7rocprim17ROCPRIM_400000_NS6detail17trampoline_kernelINS0_14default_configENS1_20scan_config_selectorIdEEZZNS1_9scan_implILNS1_25lookback_scan_determinismE0ELb1ELb1ES3_N6thrust23THRUST_200600_302600_NS6detail15normal_iteratorINS9_10device_ptrIdEEEENS9_16discard_iteratorINS9_11use_defaultEEEd11max_functorIdEdEEDaPvRmT3_T4_T5_mT6_P12ihipStream_tbENKUlT_T0_E_clISt17integral_constantIbLb1EESW_IbLb0EEEEDaSS_ST_EUlSS_E0_NS1_11comp_targetILNS1_3genE8ELNS1_11target_archE1030ELNS1_3gpuE2ELNS1_3repE0EEENS1_30default_config_static_selectorELNS0_4arch9wavefront6targetE1EEEvT1_
                                        ; -- End function
	.section	.AMDGPU.csdata,"",@progbits
; Kernel info:
; codeLenInByte = 0
; NumSgprs: 4
; NumVgprs: 0
; NumAgprs: 0
; TotalNumVgprs: 0
; ScratchSize: 0
; MemoryBound: 0
; FloatMode: 240
; IeeeMode: 1
; LDSByteSize: 0 bytes/workgroup (compile time only)
; SGPRBlocks: 0
; VGPRBlocks: 0
; NumSGPRsForWavesPerEU: 4
; NumVGPRsForWavesPerEU: 1
; AccumOffset: 4
; Occupancy: 8
; WaveLimiterHint : 0
; COMPUTE_PGM_RSRC2:SCRATCH_EN: 0
; COMPUTE_PGM_RSRC2:USER_SGPR: 6
; COMPUTE_PGM_RSRC2:TRAP_HANDLER: 0
; COMPUTE_PGM_RSRC2:TGID_X_EN: 1
; COMPUTE_PGM_RSRC2:TGID_Y_EN: 0
; COMPUTE_PGM_RSRC2:TGID_Z_EN: 0
; COMPUTE_PGM_RSRC2:TIDIG_COMP_CNT: 0
; COMPUTE_PGM_RSRC3_GFX90A:ACCUM_OFFSET: 0
; COMPUTE_PGM_RSRC3_GFX90A:TG_SPLIT: 0
	.section	.text._ZN7rocprim17ROCPRIM_400000_NS6detail17trampoline_kernelINS0_14default_configENS1_20scan_config_selectorIdEEZZNS1_9scan_implILNS1_25lookback_scan_determinismE0ELb1ELb1ES3_N6thrust23THRUST_200600_302600_NS6detail15normal_iteratorINS9_10device_ptrIdEEEENS9_16discard_iteratorINS9_11use_defaultEEEd11max_functorIdEdEEDaPvRmT3_T4_T5_mT6_P12ihipStream_tbENKUlT_T0_E_clISt17integral_constantIbLb0EESW_IbLb1EEEEDaSS_ST_EUlSS_E_NS1_11comp_targetILNS1_3genE0ELNS1_11target_archE4294967295ELNS1_3gpuE0ELNS1_3repE0EEENS1_30default_config_static_selectorELNS0_4arch9wavefront6targetE1EEEvT1_,"axG",@progbits,_ZN7rocprim17ROCPRIM_400000_NS6detail17trampoline_kernelINS0_14default_configENS1_20scan_config_selectorIdEEZZNS1_9scan_implILNS1_25lookback_scan_determinismE0ELb1ELb1ES3_N6thrust23THRUST_200600_302600_NS6detail15normal_iteratorINS9_10device_ptrIdEEEENS9_16discard_iteratorINS9_11use_defaultEEEd11max_functorIdEdEEDaPvRmT3_T4_T5_mT6_P12ihipStream_tbENKUlT_T0_E_clISt17integral_constantIbLb0EESW_IbLb1EEEEDaSS_ST_EUlSS_E_NS1_11comp_targetILNS1_3genE0ELNS1_11target_archE4294967295ELNS1_3gpuE0ELNS1_3repE0EEENS1_30default_config_static_selectorELNS0_4arch9wavefront6targetE1EEEvT1_,comdat
	.protected	_ZN7rocprim17ROCPRIM_400000_NS6detail17trampoline_kernelINS0_14default_configENS1_20scan_config_selectorIdEEZZNS1_9scan_implILNS1_25lookback_scan_determinismE0ELb1ELb1ES3_N6thrust23THRUST_200600_302600_NS6detail15normal_iteratorINS9_10device_ptrIdEEEENS9_16discard_iteratorINS9_11use_defaultEEEd11max_functorIdEdEEDaPvRmT3_T4_T5_mT6_P12ihipStream_tbENKUlT_T0_E_clISt17integral_constantIbLb0EESW_IbLb1EEEEDaSS_ST_EUlSS_E_NS1_11comp_targetILNS1_3genE0ELNS1_11target_archE4294967295ELNS1_3gpuE0ELNS1_3repE0EEENS1_30default_config_static_selectorELNS0_4arch9wavefront6targetE1EEEvT1_ ; -- Begin function _ZN7rocprim17ROCPRIM_400000_NS6detail17trampoline_kernelINS0_14default_configENS1_20scan_config_selectorIdEEZZNS1_9scan_implILNS1_25lookback_scan_determinismE0ELb1ELb1ES3_N6thrust23THRUST_200600_302600_NS6detail15normal_iteratorINS9_10device_ptrIdEEEENS9_16discard_iteratorINS9_11use_defaultEEEd11max_functorIdEdEEDaPvRmT3_T4_T5_mT6_P12ihipStream_tbENKUlT_T0_E_clISt17integral_constantIbLb0EESW_IbLb1EEEEDaSS_ST_EUlSS_E_NS1_11comp_targetILNS1_3genE0ELNS1_11target_archE4294967295ELNS1_3gpuE0ELNS1_3repE0EEENS1_30default_config_static_selectorELNS0_4arch9wavefront6targetE1EEEvT1_
	.globl	_ZN7rocprim17ROCPRIM_400000_NS6detail17trampoline_kernelINS0_14default_configENS1_20scan_config_selectorIdEEZZNS1_9scan_implILNS1_25lookback_scan_determinismE0ELb1ELb1ES3_N6thrust23THRUST_200600_302600_NS6detail15normal_iteratorINS9_10device_ptrIdEEEENS9_16discard_iteratorINS9_11use_defaultEEEd11max_functorIdEdEEDaPvRmT3_T4_T5_mT6_P12ihipStream_tbENKUlT_T0_E_clISt17integral_constantIbLb0EESW_IbLb1EEEEDaSS_ST_EUlSS_E_NS1_11comp_targetILNS1_3genE0ELNS1_11target_archE4294967295ELNS1_3gpuE0ELNS1_3repE0EEENS1_30default_config_static_selectorELNS0_4arch9wavefront6targetE1EEEvT1_
	.p2align	8
	.type	_ZN7rocprim17ROCPRIM_400000_NS6detail17trampoline_kernelINS0_14default_configENS1_20scan_config_selectorIdEEZZNS1_9scan_implILNS1_25lookback_scan_determinismE0ELb1ELb1ES3_N6thrust23THRUST_200600_302600_NS6detail15normal_iteratorINS9_10device_ptrIdEEEENS9_16discard_iteratorINS9_11use_defaultEEEd11max_functorIdEdEEDaPvRmT3_T4_T5_mT6_P12ihipStream_tbENKUlT_T0_E_clISt17integral_constantIbLb0EESW_IbLb1EEEEDaSS_ST_EUlSS_E_NS1_11comp_targetILNS1_3genE0ELNS1_11target_archE4294967295ELNS1_3gpuE0ELNS1_3repE0EEENS1_30default_config_static_selectorELNS0_4arch9wavefront6targetE1EEEvT1_,@function
_ZN7rocprim17ROCPRIM_400000_NS6detail17trampoline_kernelINS0_14default_configENS1_20scan_config_selectorIdEEZZNS1_9scan_implILNS1_25lookback_scan_determinismE0ELb1ELb1ES3_N6thrust23THRUST_200600_302600_NS6detail15normal_iteratorINS9_10device_ptrIdEEEENS9_16discard_iteratorINS9_11use_defaultEEEd11max_functorIdEdEEDaPvRmT3_T4_T5_mT6_P12ihipStream_tbENKUlT_T0_E_clISt17integral_constantIbLb0EESW_IbLb1EEEEDaSS_ST_EUlSS_E_NS1_11comp_targetILNS1_3genE0ELNS1_11target_archE4294967295ELNS1_3gpuE0ELNS1_3repE0EEENS1_30default_config_static_selectorELNS0_4arch9wavefront6targetE1EEEvT1_: ; @_ZN7rocprim17ROCPRIM_400000_NS6detail17trampoline_kernelINS0_14default_configENS1_20scan_config_selectorIdEEZZNS1_9scan_implILNS1_25lookback_scan_determinismE0ELb1ELb1ES3_N6thrust23THRUST_200600_302600_NS6detail15normal_iteratorINS9_10device_ptrIdEEEENS9_16discard_iteratorINS9_11use_defaultEEEd11max_functorIdEdEEDaPvRmT3_T4_T5_mT6_P12ihipStream_tbENKUlT_T0_E_clISt17integral_constantIbLb0EESW_IbLb1EEEEDaSS_ST_EUlSS_E_NS1_11comp_targetILNS1_3genE0ELNS1_11target_archE4294967295ELNS1_3gpuE0ELNS1_3repE0EEENS1_30default_config_static_selectorELNS0_4arch9wavefront6targetE1EEEvT1_
; %bb.0:
	.section	.rodata,"a",@progbits
	.p2align	6, 0x0
	.amdhsa_kernel _ZN7rocprim17ROCPRIM_400000_NS6detail17trampoline_kernelINS0_14default_configENS1_20scan_config_selectorIdEEZZNS1_9scan_implILNS1_25lookback_scan_determinismE0ELb1ELb1ES3_N6thrust23THRUST_200600_302600_NS6detail15normal_iteratorINS9_10device_ptrIdEEEENS9_16discard_iteratorINS9_11use_defaultEEEd11max_functorIdEdEEDaPvRmT3_T4_T5_mT6_P12ihipStream_tbENKUlT_T0_E_clISt17integral_constantIbLb0EESW_IbLb1EEEEDaSS_ST_EUlSS_E_NS1_11comp_targetILNS1_3genE0ELNS1_11target_archE4294967295ELNS1_3gpuE0ELNS1_3repE0EEENS1_30default_config_static_selectorELNS0_4arch9wavefront6targetE1EEEvT1_
		.amdhsa_group_segment_fixed_size 0
		.amdhsa_private_segment_fixed_size 0
		.amdhsa_kernarg_size 112
		.amdhsa_user_sgpr_count 6
		.amdhsa_user_sgpr_private_segment_buffer 1
		.amdhsa_user_sgpr_dispatch_ptr 0
		.amdhsa_user_sgpr_queue_ptr 0
		.amdhsa_user_sgpr_kernarg_segment_ptr 1
		.amdhsa_user_sgpr_dispatch_id 0
		.amdhsa_user_sgpr_flat_scratch_init 0
		.amdhsa_user_sgpr_kernarg_preload_length 0
		.amdhsa_user_sgpr_kernarg_preload_offset 0
		.amdhsa_user_sgpr_private_segment_size 0
		.amdhsa_uses_dynamic_stack 0
		.amdhsa_system_sgpr_private_segment_wavefront_offset 0
		.amdhsa_system_sgpr_workgroup_id_x 1
		.amdhsa_system_sgpr_workgroup_id_y 0
		.amdhsa_system_sgpr_workgroup_id_z 0
		.amdhsa_system_sgpr_workgroup_info 0
		.amdhsa_system_vgpr_workitem_id 0
		.amdhsa_next_free_vgpr 1
		.amdhsa_next_free_sgpr 0
		.amdhsa_accum_offset 4
		.amdhsa_reserve_vcc 0
		.amdhsa_reserve_flat_scratch 0
		.amdhsa_float_round_mode_32 0
		.amdhsa_float_round_mode_16_64 0
		.amdhsa_float_denorm_mode_32 3
		.amdhsa_float_denorm_mode_16_64 3
		.amdhsa_dx10_clamp 1
		.amdhsa_ieee_mode 1
		.amdhsa_fp16_overflow 0
		.amdhsa_tg_split 0
		.amdhsa_exception_fp_ieee_invalid_op 0
		.amdhsa_exception_fp_denorm_src 0
		.amdhsa_exception_fp_ieee_div_zero 0
		.amdhsa_exception_fp_ieee_overflow 0
		.amdhsa_exception_fp_ieee_underflow 0
		.amdhsa_exception_fp_ieee_inexact 0
		.amdhsa_exception_int_div_zero 0
	.end_amdhsa_kernel
	.section	.text._ZN7rocprim17ROCPRIM_400000_NS6detail17trampoline_kernelINS0_14default_configENS1_20scan_config_selectorIdEEZZNS1_9scan_implILNS1_25lookback_scan_determinismE0ELb1ELb1ES3_N6thrust23THRUST_200600_302600_NS6detail15normal_iteratorINS9_10device_ptrIdEEEENS9_16discard_iteratorINS9_11use_defaultEEEd11max_functorIdEdEEDaPvRmT3_T4_T5_mT6_P12ihipStream_tbENKUlT_T0_E_clISt17integral_constantIbLb0EESW_IbLb1EEEEDaSS_ST_EUlSS_E_NS1_11comp_targetILNS1_3genE0ELNS1_11target_archE4294967295ELNS1_3gpuE0ELNS1_3repE0EEENS1_30default_config_static_selectorELNS0_4arch9wavefront6targetE1EEEvT1_,"axG",@progbits,_ZN7rocprim17ROCPRIM_400000_NS6detail17trampoline_kernelINS0_14default_configENS1_20scan_config_selectorIdEEZZNS1_9scan_implILNS1_25lookback_scan_determinismE0ELb1ELb1ES3_N6thrust23THRUST_200600_302600_NS6detail15normal_iteratorINS9_10device_ptrIdEEEENS9_16discard_iteratorINS9_11use_defaultEEEd11max_functorIdEdEEDaPvRmT3_T4_T5_mT6_P12ihipStream_tbENKUlT_T0_E_clISt17integral_constantIbLb0EESW_IbLb1EEEEDaSS_ST_EUlSS_E_NS1_11comp_targetILNS1_3genE0ELNS1_11target_archE4294967295ELNS1_3gpuE0ELNS1_3repE0EEENS1_30default_config_static_selectorELNS0_4arch9wavefront6targetE1EEEvT1_,comdat
.Lfunc_end3116:
	.size	_ZN7rocprim17ROCPRIM_400000_NS6detail17trampoline_kernelINS0_14default_configENS1_20scan_config_selectorIdEEZZNS1_9scan_implILNS1_25lookback_scan_determinismE0ELb1ELb1ES3_N6thrust23THRUST_200600_302600_NS6detail15normal_iteratorINS9_10device_ptrIdEEEENS9_16discard_iteratorINS9_11use_defaultEEEd11max_functorIdEdEEDaPvRmT3_T4_T5_mT6_P12ihipStream_tbENKUlT_T0_E_clISt17integral_constantIbLb0EESW_IbLb1EEEEDaSS_ST_EUlSS_E_NS1_11comp_targetILNS1_3genE0ELNS1_11target_archE4294967295ELNS1_3gpuE0ELNS1_3repE0EEENS1_30default_config_static_selectorELNS0_4arch9wavefront6targetE1EEEvT1_, .Lfunc_end3116-_ZN7rocprim17ROCPRIM_400000_NS6detail17trampoline_kernelINS0_14default_configENS1_20scan_config_selectorIdEEZZNS1_9scan_implILNS1_25lookback_scan_determinismE0ELb1ELb1ES3_N6thrust23THRUST_200600_302600_NS6detail15normal_iteratorINS9_10device_ptrIdEEEENS9_16discard_iteratorINS9_11use_defaultEEEd11max_functorIdEdEEDaPvRmT3_T4_T5_mT6_P12ihipStream_tbENKUlT_T0_E_clISt17integral_constantIbLb0EESW_IbLb1EEEEDaSS_ST_EUlSS_E_NS1_11comp_targetILNS1_3genE0ELNS1_11target_archE4294967295ELNS1_3gpuE0ELNS1_3repE0EEENS1_30default_config_static_selectorELNS0_4arch9wavefront6targetE1EEEvT1_
                                        ; -- End function
	.section	.AMDGPU.csdata,"",@progbits
; Kernel info:
; codeLenInByte = 0
; NumSgprs: 4
; NumVgprs: 0
; NumAgprs: 0
; TotalNumVgprs: 0
; ScratchSize: 0
; MemoryBound: 0
; FloatMode: 240
; IeeeMode: 1
; LDSByteSize: 0 bytes/workgroup (compile time only)
; SGPRBlocks: 0
; VGPRBlocks: 0
; NumSGPRsForWavesPerEU: 4
; NumVGPRsForWavesPerEU: 1
; AccumOffset: 4
; Occupancy: 8
; WaveLimiterHint : 0
; COMPUTE_PGM_RSRC2:SCRATCH_EN: 0
; COMPUTE_PGM_RSRC2:USER_SGPR: 6
; COMPUTE_PGM_RSRC2:TRAP_HANDLER: 0
; COMPUTE_PGM_RSRC2:TGID_X_EN: 1
; COMPUTE_PGM_RSRC2:TGID_Y_EN: 0
; COMPUTE_PGM_RSRC2:TGID_Z_EN: 0
; COMPUTE_PGM_RSRC2:TIDIG_COMP_CNT: 0
; COMPUTE_PGM_RSRC3_GFX90A:ACCUM_OFFSET: 0
; COMPUTE_PGM_RSRC3_GFX90A:TG_SPLIT: 0
	.section	.text._ZN7rocprim17ROCPRIM_400000_NS6detail17trampoline_kernelINS0_14default_configENS1_20scan_config_selectorIdEEZZNS1_9scan_implILNS1_25lookback_scan_determinismE0ELb1ELb1ES3_N6thrust23THRUST_200600_302600_NS6detail15normal_iteratorINS9_10device_ptrIdEEEENS9_16discard_iteratorINS9_11use_defaultEEEd11max_functorIdEdEEDaPvRmT3_T4_T5_mT6_P12ihipStream_tbENKUlT_T0_E_clISt17integral_constantIbLb0EESW_IbLb1EEEEDaSS_ST_EUlSS_E_NS1_11comp_targetILNS1_3genE5ELNS1_11target_archE942ELNS1_3gpuE9ELNS1_3repE0EEENS1_30default_config_static_selectorELNS0_4arch9wavefront6targetE1EEEvT1_,"axG",@progbits,_ZN7rocprim17ROCPRIM_400000_NS6detail17trampoline_kernelINS0_14default_configENS1_20scan_config_selectorIdEEZZNS1_9scan_implILNS1_25lookback_scan_determinismE0ELb1ELb1ES3_N6thrust23THRUST_200600_302600_NS6detail15normal_iteratorINS9_10device_ptrIdEEEENS9_16discard_iteratorINS9_11use_defaultEEEd11max_functorIdEdEEDaPvRmT3_T4_T5_mT6_P12ihipStream_tbENKUlT_T0_E_clISt17integral_constantIbLb0EESW_IbLb1EEEEDaSS_ST_EUlSS_E_NS1_11comp_targetILNS1_3genE5ELNS1_11target_archE942ELNS1_3gpuE9ELNS1_3repE0EEENS1_30default_config_static_selectorELNS0_4arch9wavefront6targetE1EEEvT1_,comdat
	.protected	_ZN7rocprim17ROCPRIM_400000_NS6detail17trampoline_kernelINS0_14default_configENS1_20scan_config_selectorIdEEZZNS1_9scan_implILNS1_25lookback_scan_determinismE0ELb1ELb1ES3_N6thrust23THRUST_200600_302600_NS6detail15normal_iteratorINS9_10device_ptrIdEEEENS9_16discard_iteratorINS9_11use_defaultEEEd11max_functorIdEdEEDaPvRmT3_T4_T5_mT6_P12ihipStream_tbENKUlT_T0_E_clISt17integral_constantIbLb0EESW_IbLb1EEEEDaSS_ST_EUlSS_E_NS1_11comp_targetILNS1_3genE5ELNS1_11target_archE942ELNS1_3gpuE9ELNS1_3repE0EEENS1_30default_config_static_selectorELNS0_4arch9wavefront6targetE1EEEvT1_ ; -- Begin function _ZN7rocprim17ROCPRIM_400000_NS6detail17trampoline_kernelINS0_14default_configENS1_20scan_config_selectorIdEEZZNS1_9scan_implILNS1_25lookback_scan_determinismE0ELb1ELb1ES3_N6thrust23THRUST_200600_302600_NS6detail15normal_iteratorINS9_10device_ptrIdEEEENS9_16discard_iteratorINS9_11use_defaultEEEd11max_functorIdEdEEDaPvRmT3_T4_T5_mT6_P12ihipStream_tbENKUlT_T0_E_clISt17integral_constantIbLb0EESW_IbLb1EEEEDaSS_ST_EUlSS_E_NS1_11comp_targetILNS1_3genE5ELNS1_11target_archE942ELNS1_3gpuE9ELNS1_3repE0EEENS1_30default_config_static_selectorELNS0_4arch9wavefront6targetE1EEEvT1_
	.globl	_ZN7rocprim17ROCPRIM_400000_NS6detail17trampoline_kernelINS0_14default_configENS1_20scan_config_selectorIdEEZZNS1_9scan_implILNS1_25lookback_scan_determinismE0ELb1ELb1ES3_N6thrust23THRUST_200600_302600_NS6detail15normal_iteratorINS9_10device_ptrIdEEEENS9_16discard_iteratorINS9_11use_defaultEEEd11max_functorIdEdEEDaPvRmT3_T4_T5_mT6_P12ihipStream_tbENKUlT_T0_E_clISt17integral_constantIbLb0EESW_IbLb1EEEEDaSS_ST_EUlSS_E_NS1_11comp_targetILNS1_3genE5ELNS1_11target_archE942ELNS1_3gpuE9ELNS1_3repE0EEENS1_30default_config_static_selectorELNS0_4arch9wavefront6targetE1EEEvT1_
	.p2align	8
	.type	_ZN7rocprim17ROCPRIM_400000_NS6detail17trampoline_kernelINS0_14default_configENS1_20scan_config_selectorIdEEZZNS1_9scan_implILNS1_25lookback_scan_determinismE0ELb1ELb1ES3_N6thrust23THRUST_200600_302600_NS6detail15normal_iteratorINS9_10device_ptrIdEEEENS9_16discard_iteratorINS9_11use_defaultEEEd11max_functorIdEdEEDaPvRmT3_T4_T5_mT6_P12ihipStream_tbENKUlT_T0_E_clISt17integral_constantIbLb0EESW_IbLb1EEEEDaSS_ST_EUlSS_E_NS1_11comp_targetILNS1_3genE5ELNS1_11target_archE942ELNS1_3gpuE9ELNS1_3repE0EEENS1_30default_config_static_selectorELNS0_4arch9wavefront6targetE1EEEvT1_,@function
_ZN7rocprim17ROCPRIM_400000_NS6detail17trampoline_kernelINS0_14default_configENS1_20scan_config_selectorIdEEZZNS1_9scan_implILNS1_25lookback_scan_determinismE0ELb1ELb1ES3_N6thrust23THRUST_200600_302600_NS6detail15normal_iteratorINS9_10device_ptrIdEEEENS9_16discard_iteratorINS9_11use_defaultEEEd11max_functorIdEdEEDaPvRmT3_T4_T5_mT6_P12ihipStream_tbENKUlT_T0_E_clISt17integral_constantIbLb0EESW_IbLb1EEEEDaSS_ST_EUlSS_E_NS1_11comp_targetILNS1_3genE5ELNS1_11target_archE942ELNS1_3gpuE9ELNS1_3repE0EEENS1_30default_config_static_selectorELNS0_4arch9wavefront6targetE1EEEvT1_: ; @_ZN7rocprim17ROCPRIM_400000_NS6detail17trampoline_kernelINS0_14default_configENS1_20scan_config_selectorIdEEZZNS1_9scan_implILNS1_25lookback_scan_determinismE0ELb1ELb1ES3_N6thrust23THRUST_200600_302600_NS6detail15normal_iteratorINS9_10device_ptrIdEEEENS9_16discard_iteratorINS9_11use_defaultEEEd11max_functorIdEdEEDaPvRmT3_T4_T5_mT6_P12ihipStream_tbENKUlT_T0_E_clISt17integral_constantIbLb0EESW_IbLb1EEEEDaSS_ST_EUlSS_E_NS1_11comp_targetILNS1_3genE5ELNS1_11target_archE942ELNS1_3gpuE9ELNS1_3repE0EEENS1_30default_config_static_selectorELNS0_4arch9wavefront6targetE1EEEvT1_
; %bb.0:
	.section	.rodata,"a",@progbits
	.p2align	6, 0x0
	.amdhsa_kernel _ZN7rocprim17ROCPRIM_400000_NS6detail17trampoline_kernelINS0_14default_configENS1_20scan_config_selectorIdEEZZNS1_9scan_implILNS1_25lookback_scan_determinismE0ELb1ELb1ES3_N6thrust23THRUST_200600_302600_NS6detail15normal_iteratorINS9_10device_ptrIdEEEENS9_16discard_iteratorINS9_11use_defaultEEEd11max_functorIdEdEEDaPvRmT3_T4_T5_mT6_P12ihipStream_tbENKUlT_T0_E_clISt17integral_constantIbLb0EESW_IbLb1EEEEDaSS_ST_EUlSS_E_NS1_11comp_targetILNS1_3genE5ELNS1_11target_archE942ELNS1_3gpuE9ELNS1_3repE0EEENS1_30default_config_static_selectorELNS0_4arch9wavefront6targetE1EEEvT1_
		.amdhsa_group_segment_fixed_size 0
		.amdhsa_private_segment_fixed_size 0
		.amdhsa_kernarg_size 112
		.amdhsa_user_sgpr_count 6
		.amdhsa_user_sgpr_private_segment_buffer 1
		.amdhsa_user_sgpr_dispatch_ptr 0
		.amdhsa_user_sgpr_queue_ptr 0
		.amdhsa_user_sgpr_kernarg_segment_ptr 1
		.amdhsa_user_sgpr_dispatch_id 0
		.amdhsa_user_sgpr_flat_scratch_init 0
		.amdhsa_user_sgpr_kernarg_preload_length 0
		.amdhsa_user_sgpr_kernarg_preload_offset 0
		.amdhsa_user_sgpr_private_segment_size 0
		.amdhsa_uses_dynamic_stack 0
		.amdhsa_system_sgpr_private_segment_wavefront_offset 0
		.amdhsa_system_sgpr_workgroup_id_x 1
		.amdhsa_system_sgpr_workgroup_id_y 0
		.amdhsa_system_sgpr_workgroup_id_z 0
		.amdhsa_system_sgpr_workgroup_info 0
		.amdhsa_system_vgpr_workitem_id 0
		.amdhsa_next_free_vgpr 1
		.amdhsa_next_free_sgpr 0
		.amdhsa_accum_offset 4
		.amdhsa_reserve_vcc 0
		.amdhsa_reserve_flat_scratch 0
		.amdhsa_float_round_mode_32 0
		.amdhsa_float_round_mode_16_64 0
		.amdhsa_float_denorm_mode_32 3
		.amdhsa_float_denorm_mode_16_64 3
		.amdhsa_dx10_clamp 1
		.amdhsa_ieee_mode 1
		.amdhsa_fp16_overflow 0
		.amdhsa_tg_split 0
		.amdhsa_exception_fp_ieee_invalid_op 0
		.amdhsa_exception_fp_denorm_src 0
		.amdhsa_exception_fp_ieee_div_zero 0
		.amdhsa_exception_fp_ieee_overflow 0
		.amdhsa_exception_fp_ieee_underflow 0
		.amdhsa_exception_fp_ieee_inexact 0
		.amdhsa_exception_int_div_zero 0
	.end_amdhsa_kernel
	.section	.text._ZN7rocprim17ROCPRIM_400000_NS6detail17trampoline_kernelINS0_14default_configENS1_20scan_config_selectorIdEEZZNS1_9scan_implILNS1_25lookback_scan_determinismE0ELb1ELb1ES3_N6thrust23THRUST_200600_302600_NS6detail15normal_iteratorINS9_10device_ptrIdEEEENS9_16discard_iteratorINS9_11use_defaultEEEd11max_functorIdEdEEDaPvRmT3_T4_T5_mT6_P12ihipStream_tbENKUlT_T0_E_clISt17integral_constantIbLb0EESW_IbLb1EEEEDaSS_ST_EUlSS_E_NS1_11comp_targetILNS1_3genE5ELNS1_11target_archE942ELNS1_3gpuE9ELNS1_3repE0EEENS1_30default_config_static_selectorELNS0_4arch9wavefront6targetE1EEEvT1_,"axG",@progbits,_ZN7rocprim17ROCPRIM_400000_NS6detail17trampoline_kernelINS0_14default_configENS1_20scan_config_selectorIdEEZZNS1_9scan_implILNS1_25lookback_scan_determinismE0ELb1ELb1ES3_N6thrust23THRUST_200600_302600_NS6detail15normal_iteratorINS9_10device_ptrIdEEEENS9_16discard_iteratorINS9_11use_defaultEEEd11max_functorIdEdEEDaPvRmT3_T4_T5_mT6_P12ihipStream_tbENKUlT_T0_E_clISt17integral_constantIbLb0EESW_IbLb1EEEEDaSS_ST_EUlSS_E_NS1_11comp_targetILNS1_3genE5ELNS1_11target_archE942ELNS1_3gpuE9ELNS1_3repE0EEENS1_30default_config_static_selectorELNS0_4arch9wavefront6targetE1EEEvT1_,comdat
.Lfunc_end3117:
	.size	_ZN7rocprim17ROCPRIM_400000_NS6detail17trampoline_kernelINS0_14default_configENS1_20scan_config_selectorIdEEZZNS1_9scan_implILNS1_25lookback_scan_determinismE0ELb1ELb1ES3_N6thrust23THRUST_200600_302600_NS6detail15normal_iteratorINS9_10device_ptrIdEEEENS9_16discard_iteratorINS9_11use_defaultEEEd11max_functorIdEdEEDaPvRmT3_T4_T5_mT6_P12ihipStream_tbENKUlT_T0_E_clISt17integral_constantIbLb0EESW_IbLb1EEEEDaSS_ST_EUlSS_E_NS1_11comp_targetILNS1_3genE5ELNS1_11target_archE942ELNS1_3gpuE9ELNS1_3repE0EEENS1_30default_config_static_selectorELNS0_4arch9wavefront6targetE1EEEvT1_, .Lfunc_end3117-_ZN7rocprim17ROCPRIM_400000_NS6detail17trampoline_kernelINS0_14default_configENS1_20scan_config_selectorIdEEZZNS1_9scan_implILNS1_25lookback_scan_determinismE0ELb1ELb1ES3_N6thrust23THRUST_200600_302600_NS6detail15normal_iteratorINS9_10device_ptrIdEEEENS9_16discard_iteratorINS9_11use_defaultEEEd11max_functorIdEdEEDaPvRmT3_T4_T5_mT6_P12ihipStream_tbENKUlT_T0_E_clISt17integral_constantIbLb0EESW_IbLb1EEEEDaSS_ST_EUlSS_E_NS1_11comp_targetILNS1_3genE5ELNS1_11target_archE942ELNS1_3gpuE9ELNS1_3repE0EEENS1_30default_config_static_selectorELNS0_4arch9wavefront6targetE1EEEvT1_
                                        ; -- End function
	.section	.AMDGPU.csdata,"",@progbits
; Kernel info:
; codeLenInByte = 0
; NumSgprs: 4
; NumVgprs: 0
; NumAgprs: 0
; TotalNumVgprs: 0
; ScratchSize: 0
; MemoryBound: 0
; FloatMode: 240
; IeeeMode: 1
; LDSByteSize: 0 bytes/workgroup (compile time only)
; SGPRBlocks: 0
; VGPRBlocks: 0
; NumSGPRsForWavesPerEU: 4
; NumVGPRsForWavesPerEU: 1
; AccumOffset: 4
; Occupancy: 8
; WaveLimiterHint : 0
; COMPUTE_PGM_RSRC2:SCRATCH_EN: 0
; COMPUTE_PGM_RSRC2:USER_SGPR: 6
; COMPUTE_PGM_RSRC2:TRAP_HANDLER: 0
; COMPUTE_PGM_RSRC2:TGID_X_EN: 1
; COMPUTE_PGM_RSRC2:TGID_Y_EN: 0
; COMPUTE_PGM_RSRC2:TGID_Z_EN: 0
; COMPUTE_PGM_RSRC2:TIDIG_COMP_CNT: 0
; COMPUTE_PGM_RSRC3_GFX90A:ACCUM_OFFSET: 0
; COMPUTE_PGM_RSRC3_GFX90A:TG_SPLIT: 0
	.section	.text._ZN7rocprim17ROCPRIM_400000_NS6detail17trampoline_kernelINS0_14default_configENS1_20scan_config_selectorIdEEZZNS1_9scan_implILNS1_25lookback_scan_determinismE0ELb1ELb1ES3_N6thrust23THRUST_200600_302600_NS6detail15normal_iteratorINS9_10device_ptrIdEEEENS9_16discard_iteratorINS9_11use_defaultEEEd11max_functorIdEdEEDaPvRmT3_T4_T5_mT6_P12ihipStream_tbENKUlT_T0_E_clISt17integral_constantIbLb0EESW_IbLb1EEEEDaSS_ST_EUlSS_E_NS1_11comp_targetILNS1_3genE4ELNS1_11target_archE910ELNS1_3gpuE8ELNS1_3repE0EEENS1_30default_config_static_selectorELNS0_4arch9wavefront6targetE1EEEvT1_,"axG",@progbits,_ZN7rocprim17ROCPRIM_400000_NS6detail17trampoline_kernelINS0_14default_configENS1_20scan_config_selectorIdEEZZNS1_9scan_implILNS1_25lookback_scan_determinismE0ELb1ELb1ES3_N6thrust23THRUST_200600_302600_NS6detail15normal_iteratorINS9_10device_ptrIdEEEENS9_16discard_iteratorINS9_11use_defaultEEEd11max_functorIdEdEEDaPvRmT3_T4_T5_mT6_P12ihipStream_tbENKUlT_T0_E_clISt17integral_constantIbLb0EESW_IbLb1EEEEDaSS_ST_EUlSS_E_NS1_11comp_targetILNS1_3genE4ELNS1_11target_archE910ELNS1_3gpuE8ELNS1_3repE0EEENS1_30default_config_static_selectorELNS0_4arch9wavefront6targetE1EEEvT1_,comdat
	.protected	_ZN7rocprim17ROCPRIM_400000_NS6detail17trampoline_kernelINS0_14default_configENS1_20scan_config_selectorIdEEZZNS1_9scan_implILNS1_25lookback_scan_determinismE0ELb1ELb1ES3_N6thrust23THRUST_200600_302600_NS6detail15normal_iteratorINS9_10device_ptrIdEEEENS9_16discard_iteratorINS9_11use_defaultEEEd11max_functorIdEdEEDaPvRmT3_T4_T5_mT6_P12ihipStream_tbENKUlT_T0_E_clISt17integral_constantIbLb0EESW_IbLb1EEEEDaSS_ST_EUlSS_E_NS1_11comp_targetILNS1_3genE4ELNS1_11target_archE910ELNS1_3gpuE8ELNS1_3repE0EEENS1_30default_config_static_selectorELNS0_4arch9wavefront6targetE1EEEvT1_ ; -- Begin function _ZN7rocprim17ROCPRIM_400000_NS6detail17trampoline_kernelINS0_14default_configENS1_20scan_config_selectorIdEEZZNS1_9scan_implILNS1_25lookback_scan_determinismE0ELb1ELb1ES3_N6thrust23THRUST_200600_302600_NS6detail15normal_iteratorINS9_10device_ptrIdEEEENS9_16discard_iteratorINS9_11use_defaultEEEd11max_functorIdEdEEDaPvRmT3_T4_T5_mT6_P12ihipStream_tbENKUlT_T0_E_clISt17integral_constantIbLb0EESW_IbLb1EEEEDaSS_ST_EUlSS_E_NS1_11comp_targetILNS1_3genE4ELNS1_11target_archE910ELNS1_3gpuE8ELNS1_3repE0EEENS1_30default_config_static_selectorELNS0_4arch9wavefront6targetE1EEEvT1_
	.globl	_ZN7rocprim17ROCPRIM_400000_NS6detail17trampoline_kernelINS0_14default_configENS1_20scan_config_selectorIdEEZZNS1_9scan_implILNS1_25lookback_scan_determinismE0ELb1ELb1ES3_N6thrust23THRUST_200600_302600_NS6detail15normal_iteratorINS9_10device_ptrIdEEEENS9_16discard_iteratorINS9_11use_defaultEEEd11max_functorIdEdEEDaPvRmT3_T4_T5_mT6_P12ihipStream_tbENKUlT_T0_E_clISt17integral_constantIbLb0EESW_IbLb1EEEEDaSS_ST_EUlSS_E_NS1_11comp_targetILNS1_3genE4ELNS1_11target_archE910ELNS1_3gpuE8ELNS1_3repE0EEENS1_30default_config_static_selectorELNS0_4arch9wavefront6targetE1EEEvT1_
	.p2align	8
	.type	_ZN7rocprim17ROCPRIM_400000_NS6detail17trampoline_kernelINS0_14default_configENS1_20scan_config_selectorIdEEZZNS1_9scan_implILNS1_25lookback_scan_determinismE0ELb1ELb1ES3_N6thrust23THRUST_200600_302600_NS6detail15normal_iteratorINS9_10device_ptrIdEEEENS9_16discard_iteratorINS9_11use_defaultEEEd11max_functorIdEdEEDaPvRmT3_T4_T5_mT6_P12ihipStream_tbENKUlT_T0_E_clISt17integral_constantIbLb0EESW_IbLb1EEEEDaSS_ST_EUlSS_E_NS1_11comp_targetILNS1_3genE4ELNS1_11target_archE910ELNS1_3gpuE8ELNS1_3repE0EEENS1_30default_config_static_selectorELNS0_4arch9wavefront6targetE1EEEvT1_,@function
_ZN7rocprim17ROCPRIM_400000_NS6detail17trampoline_kernelINS0_14default_configENS1_20scan_config_selectorIdEEZZNS1_9scan_implILNS1_25lookback_scan_determinismE0ELb1ELb1ES3_N6thrust23THRUST_200600_302600_NS6detail15normal_iteratorINS9_10device_ptrIdEEEENS9_16discard_iteratorINS9_11use_defaultEEEd11max_functorIdEdEEDaPvRmT3_T4_T5_mT6_P12ihipStream_tbENKUlT_T0_E_clISt17integral_constantIbLb0EESW_IbLb1EEEEDaSS_ST_EUlSS_E_NS1_11comp_targetILNS1_3genE4ELNS1_11target_archE910ELNS1_3gpuE8ELNS1_3repE0EEENS1_30default_config_static_selectorELNS0_4arch9wavefront6targetE1EEEvT1_: ; @_ZN7rocprim17ROCPRIM_400000_NS6detail17trampoline_kernelINS0_14default_configENS1_20scan_config_selectorIdEEZZNS1_9scan_implILNS1_25lookback_scan_determinismE0ELb1ELb1ES3_N6thrust23THRUST_200600_302600_NS6detail15normal_iteratorINS9_10device_ptrIdEEEENS9_16discard_iteratorINS9_11use_defaultEEEd11max_functorIdEdEEDaPvRmT3_T4_T5_mT6_P12ihipStream_tbENKUlT_T0_E_clISt17integral_constantIbLb0EESW_IbLb1EEEEDaSS_ST_EUlSS_E_NS1_11comp_targetILNS1_3genE4ELNS1_11target_archE910ELNS1_3gpuE8ELNS1_3repE0EEENS1_30default_config_static_selectorELNS0_4arch9wavefront6targetE1EEEvT1_
; %bb.0:
	s_load_dwordx2 s[24:25], s[4:5], 0x38
	v_cmp_eq_u32_e64 s[0:1], 0, v0
	s_and_saveexec_b64 s[2:3], s[0:1]
	s_cbranch_execz .LBB3118_4
; %bb.1:
	s_mov_b64 s[8:9], exec
	v_mbcnt_lo_u32_b32 v1, s8, 0
	v_mbcnt_hi_u32_b32 v1, s9, v1
	v_cmp_eq_u32_e32 vcc, 0, v1
                                        ; implicit-def: $vgpr2
	s_and_saveexec_b64 s[6:7], vcc
	s_cbranch_execz .LBB3118_3
; %bb.2:
	s_load_dwordx2 s[10:11], s[4:5], 0x68
	s_bcnt1_i32_b64 s8, s[8:9]
	v_mov_b32_e32 v2, 0
	v_mov_b32_e32 v3, s8
	s_waitcnt lgkmcnt(0)
	global_atomic_add v2, v2, v3, s[10:11] glc
.LBB3118_3:
	s_or_b64 exec, exec, s[6:7]
	s_waitcnt vmcnt(0)
	v_readfirstlane_b32 s6, v2
	v_add_u32_e32 v1, s6, v1
	v_mov_b32_e32 v2, 0
	ds_write_b32 v2, v1
.LBB3118_4:
	s_or_b64 exec, exec, s[2:3]
	v_mov_b32_e32 v3, 0
	s_load_dwordx4 s[20:23], s[4:5], 0x0
	s_load_dwordx4 s[16:19], s[4:5], 0x20
	s_load_dword s2, s[4:5], 0x40
	s_load_dwordx8 s[8:15], s[4:5], 0x48
	s_waitcnt lgkmcnt(0)
	s_barrier
	ds_read_b32 v1, v3
	s_lshl_b64 s[4:5], s[22:23], 3
	s_add_u32 s26, s20, s4
	s_addc_u32 s27, s21, s5
	s_movk_i32 s3, 0x500
	s_add_i32 s2, s2, -1
	s_waitcnt lgkmcnt(0)
	v_mul_lo_u32 v2, v1, s3
	s_mul_i32 s3, s2, 0x500
	s_sub_u32 s22, s16, s3
	v_readfirstlane_b32 s28, v1
	s_subb_u32 s23, s17, 0
	v_lshlrev_b64 v[2:3], 3, v[2:3]
	s_cmp_lg_u32 s28, s2
	v_mov_b32_e32 v1, s27
	v_add_co_u32_e32 v36, vcc, s26, v2
	s_cselect_b64 s[6:7], -1, 0
	v_addc_co_u32_e32 v37, vcc, v1, v3, vcc
	s_mov_b64 s[2:3], -1
	s_and_b64 vcc, exec, s[6:7]
	s_barrier
	s_cbranch_vccz .LBB3118_6
; %bb.5:
	v_lshlrev_b32_e32 v1, 3, v0
	v_add_co_u32_e32 v2, vcc, v36, v1
	v_addc_co_u32_e32 v3, vcc, 0, v37, vcc
	v_add_co_u32_e32 v12, vcc, 0x1000, v2
	v_addc_co_u32_e32 v13, vcc, 0, v3, vcc
	flat_load_dwordx2 v[4:5], v[2:3]
	flat_load_dwordx2 v[6:7], v[2:3] offset:1024
	flat_load_dwordx2 v[8:9], v[2:3] offset:2048
	;; [unrolled: 1-line block ×3, first 2 shown]
	v_add_co_u32_e32 v2, vcc, 0x2000, v2
	v_addc_co_u32_e32 v3, vcc, 0, v3, vcc
	flat_load_dwordx2 v[14:15], v[12:13]
	flat_load_dwordx2 v[16:17], v[12:13] offset:1024
	flat_load_dwordx2 v[18:19], v[12:13] offset:2048
	flat_load_dwordx2 v[20:21], v[12:13] offset:3072
	s_nop 0
	flat_load_dwordx2 v[12:13], v[2:3]
	flat_load_dwordx2 v[22:23], v[2:3] offset:1024
	s_mov_b64 s[2:3], 0
	s_waitcnt vmcnt(0) lgkmcnt(0)
	ds_write2st64_b64 v1, v[4:5], v[6:7] offset1:2
	ds_write2st64_b64 v1, v[8:9], v[10:11] offset0:4 offset1:6
	ds_write2st64_b64 v1, v[14:15], v[16:17] offset0:8 offset1:10
	;; [unrolled: 1-line block ×4, first 2 shown]
	s_waitcnt lgkmcnt(0)
	s_barrier
.LBB3118_6:
	s_andn2_b64 vcc, exec, s[2:3]
	s_cbranch_vccnz .LBB3118_28
; %bb.7:
	flat_load_dwordx2 v[2:3], v[36:37]
	v_cmp_gt_u32_e32 vcc, s22, v0
	s_waitcnt vmcnt(0) lgkmcnt(0)
	v_mov_b32_e32 v4, v2
	v_mov_b32_e32 v5, v3
	;; [unrolled: 1-line block ×16, first 2 shown]
	v_pk_mov_b32 v[34:35], v[30:31], v[30:31] op_sel:[0,1]
	v_pk_mov_b32 v[32:33], v[28:29], v[28:29] op_sel:[0,1]
	;; [unrolled: 1-line block ×16, first 2 shown]
	s_and_saveexec_b64 s[2:3], vcc
	s_cbranch_execz .LBB3118_9
; %bb.8:
	v_lshlrev_b32_e32 v1, 3, v0
	v_add_co_u32_e32 v4, vcc, v36, v1
	v_addc_co_u32_e32 v5, vcc, 0, v37, vcc
	flat_load_dwordx2 v[38:39], v[4:5]
	v_mov_b32_e32 v4, v2
	v_mov_b32_e32 v5, v3
	;; [unrolled: 1-line block ×16, first 2 shown]
	v_pk_mov_b32 v[34:35], v[30:31], v[30:31] op_sel:[0,1]
	v_pk_mov_b32 v[32:33], v[28:29], v[28:29] op_sel:[0,1]
	v_pk_mov_b32 v[30:31], v[26:27], v[26:27] op_sel:[0,1]
	v_pk_mov_b32 v[28:29], v[24:25], v[24:25] op_sel:[0,1]
	v_pk_mov_b32 v[26:27], v[22:23], v[22:23] op_sel:[0,1]
	v_pk_mov_b32 v[24:25], v[20:21], v[20:21] op_sel:[0,1]
	v_pk_mov_b32 v[22:23], v[18:19], v[18:19] op_sel:[0,1]
	v_pk_mov_b32 v[20:21], v[16:17], v[16:17] op_sel:[0,1]
	v_pk_mov_b32 v[18:19], v[14:15], v[14:15] op_sel:[0,1]
	v_pk_mov_b32 v[16:17], v[12:13], v[12:13] op_sel:[0,1]
	v_pk_mov_b32 v[14:15], v[10:11], v[10:11] op_sel:[0,1]
	v_pk_mov_b32 v[12:13], v[8:9], v[8:9] op_sel:[0,1]
	v_pk_mov_b32 v[10:11], v[6:7], v[6:7] op_sel:[0,1]
	v_pk_mov_b32 v[8:9], v[4:5], v[4:5] op_sel:[0,1]
	v_pk_mov_b32 v[6:7], v[2:3], v[2:3] op_sel:[0,1]
	v_pk_mov_b32 v[4:5], v[0:1], v[0:1] op_sel:[0,1]
	s_waitcnt vmcnt(0) lgkmcnt(0)
	v_pk_mov_b32 v[2:3], v[38:39], v[38:39] op_sel:[0,1]
.LBB3118_9:
	s_or_b64 exec, exec, s[2:3]
	v_or_b32_e32 v1, 0x80, v0
	v_cmp_gt_u32_e32 vcc, s22, v1
	s_and_saveexec_b64 s[2:3], vcc
	s_cbranch_execz .LBB3118_11
; %bb.10:
	v_lshlrev_b32_e32 v1, 3, v0
	v_add_co_u32_e32 v4, vcc, v36, v1
	v_addc_co_u32_e32 v5, vcc, 0, v37, vcc
	flat_load_dwordx2 v[6:7], v[4:5] offset:1024
.LBB3118_11:
	s_or_b64 exec, exec, s[2:3]
	v_or_b32_e32 v1, 0x100, v0
	v_cmp_gt_u32_e32 vcc, s22, v1
	s_and_saveexec_b64 s[2:3], vcc
	s_cbranch_execz .LBB3118_13
; %bb.12:
	v_lshlrev_b32_e32 v1, 3, v0
	v_add_co_u32_e32 v4, vcc, v36, v1
	v_addc_co_u32_e32 v5, vcc, 0, v37, vcc
	flat_load_dwordx2 v[8:9], v[4:5] offset:2048
.LBB3118_13:
	;; [unrolled: 11-line block ×3, first 2 shown]
	s_or_b64 exec, exec, s[2:3]
	v_or_b32_e32 v1, 0x200, v0
	v_cmp_gt_u32_e32 vcc, s22, v1
	s_and_saveexec_b64 s[2:3], vcc
	s_cbranch_execz .LBB3118_17
; %bb.16:
	v_lshlrev_b32_e32 v1, 3, v1
	v_add_co_u32_e32 v4, vcc, v36, v1
	v_addc_co_u32_e32 v5, vcc, 0, v37, vcc
	flat_load_dwordx2 v[12:13], v[4:5]
.LBB3118_17:
	s_or_b64 exec, exec, s[2:3]
	v_or_b32_e32 v1, 0x280, v0
	v_cmp_gt_u32_e32 vcc, s22, v1
	s_and_saveexec_b64 s[2:3], vcc
	s_cbranch_execz .LBB3118_19
; %bb.18:
	v_lshlrev_b32_e32 v1, 3, v1
	v_add_co_u32_e32 v4, vcc, v36, v1
	v_addc_co_u32_e32 v5, vcc, 0, v37, vcc
	flat_load_dwordx2 v[14:15], v[4:5]
.LBB3118_19:
	;; [unrolled: 11-line block ×6, first 2 shown]
	s_or_b64 exec, exec, s[2:3]
	v_lshlrev_b32_e32 v1, 3, v0
	s_waitcnt vmcnt(0) lgkmcnt(0)
	ds_write2st64_b64 v1, v[2:3], v[6:7] offset1:2
	ds_write2st64_b64 v1, v[8:9], v[10:11] offset0:4 offset1:6
	ds_write2st64_b64 v1, v[12:13], v[14:15] offset0:8 offset1:10
	;; [unrolled: 1-line block ×4, first 2 shown]
	s_waitcnt lgkmcnt(0)
	s_barrier
.LBB3118_28:
	v_mul_u32_u24_e32 v44, 10, v0
	v_lshlrev_b32_e32 v45, 3, v44
	ds_read_b128 v[14:17], v45
	ds_read_b128 v[10:13], v45 offset:16
	ds_read_b128 v[6:9], v45 offset:32
	;; [unrolled: 1-line block ×4, first 2 shown]
	s_cmp_lg_u32 s28, 0
	s_waitcnt lgkmcnt(4)
	v_cmp_lt_f64_e32 vcc, v[14:15], v[16:17]
	v_mbcnt_lo_u32_b32 v1, -1, 0
	s_waitcnt lgkmcnt(0)
	s_barrier
	s_cbranch_scc0 .LBB3118_85
; %bb.29:
	v_cndmask_b32_e32 v23, v15, v17, vcc
	v_cndmask_b32_e32 v22, v14, v16, vcc
	v_cmp_lt_f64_e32 vcc, v[22:23], v[10:11]
	v_cndmask_b32_e32 v23, v23, v11, vcc
	v_cndmask_b32_e32 v22, v22, v10, vcc
	v_cmp_lt_f64_e32 vcc, v[22:23], v[12:13]
	;; [unrolled: 3-line block ×8, first 2 shown]
	v_mbcnt_hi_u32_b32 v33, -1, v1
	v_cndmask_b32_e32 v23, v23, v21, vcc
	v_cndmask_b32_e32 v22, v22, v20, vcc
	v_and_b32_e32 v26, 15, v33
	v_mov_b32_dpp v25, v23 row_shr:1 row_mask:0xf bank_mask:0xf
	v_mov_b32_dpp v24, v22 row_shr:1 row_mask:0xf bank_mask:0xf
	v_cmp_ne_u32_e32 vcc, 0, v26
	s_and_saveexec_b64 s[2:3], vcc
; %bb.30:
	v_cmp_gt_f64_e32 vcc, v[22:23], v[24:25]
	v_cndmask_b32_e32 v23, v25, v23, vcc
	v_cndmask_b32_e32 v22, v24, v22, vcc
; %bb.31:
	s_or_b64 exec, exec, s[2:3]
	s_nop 0
	v_mov_b32_dpp v24, v22 row_shr:2 row_mask:0xf bank_mask:0xf
	v_mov_b32_dpp v25, v23 row_shr:2 row_mask:0xf bank_mask:0xf
	v_cmp_lt_u32_e32 vcc, 1, v26
	s_and_saveexec_b64 s[2:3], vcc
; %bb.32:
	v_cmp_gt_f64_e32 vcc, v[22:23], v[24:25]
	v_cndmask_b32_e32 v23, v25, v23, vcc
	v_cndmask_b32_e32 v22, v24, v22, vcc
; %bb.33:
	s_or_b64 exec, exec, s[2:3]
	s_nop 0
	v_mov_b32_dpp v24, v22 row_shr:4 row_mask:0xf bank_mask:0xf
	v_mov_b32_dpp v25, v23 row_shr:4 row_mask:0xf bank_mask:0xf
	v_cmp_lt_u32_e32 vcc, 3, v26
	;; [unrolled: 11-line block ×3, first 2 shown]
	s_and_saveexec_b64 s[2:3], vcc
; %bb.36:
	v_cmp_gt_f64_e32 vcc, v[22:23], v[24:25]
	v_cndmask_b32_e32 v23, v25, v23, vcc
	v_cndmask_b32_e32 v22, v24, v22, vcc
; %bb.37:
	s_or_b64 exec, exec, s[2:3]
	v_and_b32_e32 v26, 16, v33
	v_mov_b32_dpp v24, v22 row_bcast:15 row_mask:0xf bank_mask:0xf
	v_mov_b32_dpp v25, v23 row_bcast:15 row_mask:0xf bank_mask:0xf
	v_cmp_ne_u32_e32 vcc, 0, v26
	s_and_saveexec_b64 s[2:3], vcc
; %bb.38:
	v_cmp_gt_f64_e32 vcc, v[22:23], v[24:25]
	v_cndmask_b32_e32 v23, v25, v23, vcc
	v_cndmask_b32_e32 v22, v24, v22, vcc
; %bb.39:
	s_or_b64 exec, exec, s[2:3]
	s_nop 0
	v_mov_b32_dpp v24, v22 row_bcast:31 row_mask:0xf bank_mask:0xf
	v_mov_b32_dpp v25, v23 row_bcast:31 row_mask:0xf bank_mask:0xf
	v_cmp_gt_f64_e32 vcc, v[22:23], v[24:25]
	v_cndmask_b32_e32 v24, v24, v22, vcc
	v_cndmask_b32_e32 v25, v25, v23, vcc
	v_cmp_lt_u32_e32 vcc, 31, v33
	v_cndmask_b32_e32 v23, v23, v25, vcc
	v_or_b32_e32 v25, 63, v0
	v_cndmask_b32_e32 v22, v22, v24, vcc
	v_lshrrev_b32_e32 v24, 6, v0
	v_cmp_eq_u32_e32 vcc, v25, v0
	s_and_saveexec_b64 s[2:3], vcc
	s_cbranch_execz .LBB3118_41
; %bb.40:
	v_lshlrev_b32_e32 v25, 3, v24
	ds_write_b64 v25, v[22:23]
.LBB3118_41:
	s_or_b64 exec, exec, s[2:3]
	v_cmp_gt_u32_e32 vcc, 2, v0
	s_waitcnt lgkmcnt(0)
	s_barrier
	s_and_saveexec_b64 s[4:5], vcc
	s_cbranch_execz .LBB3118_43
; %bb.42:
	v_lshlrev_b32_e32 v25, 3, v0
	ds_read_b64 v[26:27], v25
	v_and_b32_e32 v28, 1, v33
	v_cmp_eq_u32_e32 vcc, 0, v28
	s_waitcnt lgkmcnt(0)
	v_mov_b32_dpp v30, v27 row_shr:1 row_mask:0xf bank_mask:0xf
	v_mov_b32_dpp v28, v26 row_shr:1 row_mask:0xf bank_mask:0xf
	v_mov_b32_e32 v29, v30
	v_cmp_gt_f64_e64 s[2:3], v[26:27], v[28:29]
	s_or_b64 vcc, vcc, s[2:3]
	v_cndmask_b32_e32 v27, v30, v27, vcc
	v_cndmask_b32_e32 v26, v28, v26, vcc
	ds_write_b64 v25, v[26:27]
.LBB3118_43:
	s_or_b64 exec, exec, s[4:5]
	v_cmp_gt_u32_e32 vcc, 64, v0
	v_cmp_lt_u32_e64 s[2:3], 63, v0
	s_waitcnt lgkmcnt(0)
	s_barrier
	s_waitcnt lgkmcnt(0)
                                        ; implicit-def: $vgpr30_vgpr31
	s_and_saveexec_b64 s[4:5], s[2:3]
	s_cbranch_execz .LBB3118_45
; %bb.44:
	v_lshl_add_u32 v24, v24, 3, -8
	ds_read_b64 v[30:31], v24
	s_waitcnt lgkmcnt(0)
	v_cmp_lt_f64_e64 s[2:3], v[30:31], v[22:23]
	v_cndmask_b32_e64 v23, v31, v23, s[2:3]
	v_cndmask_b32_e64 v22, v30, v22, s[2:3]
.LBB3118_45:
	s_or_b64 exec, exec, s[4:5]
	v_add_u32_e32 v24, -1, v33
	v_and_b32_e32 v25, 64, v33
	v_cmp_lt_i32_e64 s[2:3], v24, v25
	v_cndmask_b32_e64 v24, v24, v33, s[2:3]
	v_lshlrev_b32_e32 v24, 2, v24
	ds_bpermute_b32 v38, v24, v22
	ds_bpermute_b32 v39, v24, v23
	v_cmp_eq_u32_e64 s[2:3], 0, v33
	s_and_saveexec_b64 s[16:17], vcc
	s_cbranch_execz .LBB3118_84
; %bb.46:
	v_mov_b32_e32 v25, 0
	ds_read_b64 v[22:23], v25 offset:8
	s_and_saveexec_b64 s[4:5], s[2:3]
	s_cbranch_execz .LBB3118_48
; %bb.47:
	s_add_i32 s20, s28, 64
	s_mov_b32 s21, 0
	s_lshl_b64 s[20:21], s[20:21], 4
	s_add_u32 s20, s24, s20
	s_addc_u32 s21, s25, s21
	v_mov_b32_e32 v24, 1
	v_pk_mov_b32 v[26:27], s[20:21], s[20:21] op_sel:[0,1]
	s_waitcnt lgkmcnt(0)
	;;#ASMSTART
	global_store_dwordx4 v[26:27], v[22:25] off	
s_waitcnt vmcnt(0)
	;;#ASMEND
.LBB3118_48:
	s_or_b64 exec, exec, s[4:5]
	v_xad_u32 v32, v33, -1, s28
	v_add_u32_e32 v24, 64, v32
	v_lshlrev_b64 v[26:27], 4, v[24:25]
	v_mov_b32_e32 v24, s25
	v_add_co_u32_e32 v34, vcc, s24, v26
	v_addc_co_u32_e32 v35, vcc, v24, v27, vcc
	;;#ASMSTART
	global_load_dwordx4 v[26:29], v[34:35] off glc	
s_waitcnt vmcnt(0)
	;;#ASMEND
	v_and_b32_e32 v24, 0xff, v27
	v_and_b32_e32 v29, 0xff00, v27
	v_or3_b32 v24, 0, v24, v29
	v_or3_b32 v26, v26, 0, 0
	v_and_b32_e32 v29, 0xff000000, v27
	v_and_b32_e32 v27, 0xff0000, v27
	v_or3_b32 v27, v24, v27, v29
	v_or3_b32 v26, v26, 0, 0
	v_cmp_eq_u16_sdwa s[20:21], v28, v25 src0_sel:BYTE_0 src1_sel:DWORD
	s_and_saveexec_b64 s[4:5], s[20:21]
	s_cbranch_execz .LBB3118_52
; %bb.49:
	s_mov_b64 s[20:21], 0
	v_mov_b32_e32 v24, 0
.LBB3118_50:                            ; =>This Inner Loop Header: Depth=1
	;;#ASMSTART
	global_load_dwordx4 v[26:29], v[34:35] off glc	
s_waitcnt vmcnt(0)
	;;#ASMEND
	v_cmp_ne_u16_sdwa s[30:31], v28, v24 src0_sel:BYTE_0 src1_sel:DWORD
	s_or_b64 s[20:21], s[30:31], s[20:21]
	s_andn2_b64 exec, exec, s[20:21]
	s_cbranch_execnz .LBB3118_50
; %bb.51:
	s_or_b64 exec, exec, s[20:21]
.LBB3118_52:
	s_or_b64 exec, exec, s[4:5]
	v_and_b32_e32 v40, 63, v33
	v_mov_b32_e32 v24, 2
	v_cmp_ne_u32_e32 vcc, 63, v40
	v_cmp_eq_u16_sdwa s[4:5], v28, v24 src0_sel:BYTE_0 src1_sel:DWORD
	v_lshlrev_b64 v[24:25], v33, -1
	v_addc_co_u32_e32 v34, vcc, 0, v33, vcc
	v_and_b32_e32 v29, s5, v25
	v_lshlrev_b32_e32 v41, 2, v34
	v_or_b32_e32 v29, 0x80000000, v29
	ds_bpermute_b32 v34, v41, v26
	ds_bpermute_b32 v35, v41, v27
	v_and_b32_e32 v36, s4, v24
	v_ffbl_b32_e32 v29, v29
	v_add_u32_e32 v29, 32, v29
	v_ffbl_b32_e32 v36, v36
	v_min_u32_e32 v29, v36, v29
	v_cmp_lt_u32_e32 vcc, v40, v29
	s_and_saveexec_b64 s[4:5], vcc
	s_cbranch_execz .LBB3118_54
; %bb.53:
	s_waitcnt lgkmcnt(0)
	v_cmp_lt_f64_e32 vcc, v[34:35], v[26:27]
	v_cndmask_b32_e32 v27, v35, v27, vcc
	v_cndmask_b32_e32 v26, v34, v26, vcc
.LBB3118_54:
	s_or_b64 exec, exec, s[4:5]
	v_cmp_gt_u32_e32 vcc, 62, v40
	s_waitcnt lgkmcnt(1)
	v_cndmask_b32_e64 v34, 0, 1, vcc
	v_lshlrev_b32_e32 v34, 1, v34
	v_add_lshl_u32 v42, v34, v33, 2
	ds_bpermute_b32 v34, v42, v26
	s_waitcnt lgkmcnt(1)
	ds_bpermute_b32 v35, v42, v27
	v_add_u32_e32 v43, 2, v40
	v_cmp_le_u32_e32 vcc, v43, v29
	s_and_saveexec_b64 s[4:5], vcc
	s_cbranch_execz .LBB3118_56
; %bb.55:
	s_waitcnt lgkmcnt(0)
	v_cmp_gt_f64_e32 vcc, v[26:27], v[34:35]
	v_cndmask_b32_e32 v27, v35, v27, vcc
	v_cndmask_b32_e32 v26, v34, v26, vcc
.LBB3118_56:
	s_or_b64 exec, exec, s[4:5]
	v_cmp_gt_u32_e32 vcc, 60, v40
	s_waitcnt lgkmcnt(1)
	v_cndmask_b32_e64 v34, 0, 1, vcc
	v_lshlrev_b32_e32 v34, 2, v34
	v_add_lshl_u32 v46, v34, v33, 2
	ds_bpermute_b32 v34, v46, v26
	s_waitcnt lgkmcnt(1)
	ds_bpermute_b32 v35, v46, v27
	v_add_u32_e32 v47, 4, v40
	v_cmp_le_u32_e32 vcc, v47, v29
	s_and_saveexec_b64 s[4:5], vcc
	s_cbranch_execz .LBB3118_58
; %bb.57:
	s_waitcnt lgkmcnt(0)
	v_cmp_gt_f64_e32 vcc, v[26:27], v[34:35]
	v_cndmask_b32_e32 v27, v35, v27, vcc
	v_cndmask_b32_e32 v26, v34, v26, vcc
.LBB3118_58:
	;; [unrolled: 19-line block ×4, first 2 shown]
	s_or_b64 exec, exec, s[4:5]
	v_cmp_gt_u32_e32 vcc, 32, v40
	s_waitcnt lgkmcnt(1)
	v_cndmask_b32_e64 v34, 0, 1, vcc
	v_lshlrev_b32_e32 v34, 5, v34
	v_add_lshl_u32 v52, v34, v33, 2
	ds_bpermute_b32 v34, v52, v27
	ds_bpermute_b32 v36, v52, v26
	v_add_u32_e32 v53, 32, v40
	v_cmp_gt_u32_e32 vcc, v53, v29
	v_mov_b32_e32 v33, 0
	s_waitcnt lgkmcnt(1)
	v_mov_b32_e32 v37, v34
	s_waitcnt lgkmcnt(0)
	v_cmp_gt_f64_e64 s[4:5], v[26:27], v[36:37]
	s_or_b64 vcc, vcc, s[4:5]
	v_cndmask_b32_e32 v27, v34, v27, vcc
	v_cndmask_b32_e32 v26, v36, v26, vcc
	v_mov_b32_e32 v54, 2
	s_branch .LBB3118_64
.LBB3118_63:                            ;   in Loop: Header=BB3118_64 Depth=1
	s_or_b64 exec, exec, s[4:5]
	s_waitcnt lgkmcnt(1)
	ds_bpermute_b32 v36, v52, v27
	ds_bpermute_b32 v56, v52, v26
	v_cmp_gt_u32_e32 vcc, v53, v29
	v_subrev_u32_e32 v32, 64, v32
	s_waitcnt lgkmcnt(1)
	v_mov_b32_e32 v57, v36
	s_waitcnt lgkmcnt(0)
	v_cmp_gt_f64_e64 s[4:5], v[26:27], v[56:57]
	s_or_b64 vcc, vcc, s[4:5]
	v_cndmask_b32_e32 v27, v36, v27, vcc
	v_cndmask_b32_e32 v26, v56, v26, vcc
	v_cmp_lt_f64_e32 vcc, v[26:27], v[34:35]
	v_cndmask_b32_e32 v27, v27, v35, vcc
	v_cndmask_b32_e32 v26, v26, v34, vcc
.LBB3118_64:                            ; =>This Loop Header: Depth=1
                                        ;     Child Loop BB3118_67 Depth 2
	v_cmp_ne_u16_sdwa s[4:5], v28, v54 src0_sel:BYTE_0 src1_sel:DWORD
	v_cndmask_b32_e64 v28, 0, 1, s[4:5]
	;;#ASMSTART
	;;#ASMEND
	v_cmp_ne_u32_e32 vcc, 0, v28
	s_cmp_lg_u64 vcc, exec
	v_pk_mov_b32 v[34:35], v[26:27], v[26:27] op_sel:[0,1]
	s_cbranch_scc1 .LBB3118_79
; %bb.65:                               ;   in Loop: Header=BB3118_64 Depth=1
	v_lshlrev_b64 v[26:27], 4, v[32:33]
	v_mov_b32_e32 v28, s25
	v_add_co_u32_e32 v36, vcc, s24, v26
	v_addc_co_u32_e32 v37, vcc, v28, v27, vcc
	;;#ASMSTART
	global_load_dwordx4 v[26:29], v[36:37] off glc	
s_waitcnt vmcnt(0)
	;;#ASMEND
	v_and_b32_e32 v29, 0xff, v27
	v_and_b32_e32 v55, 0xff00, v27
	v_or3_b32 v29, 0, v29, v55
	v_or3_b32 v26, v26, 0, 0
	v_and_b32_e32 v55, 0xff000000, v27
	v_and_b32_e32 v27, 0xff0000, v27
	v_or3_b32 v27, v29, v27, v55
	v_or3_b32 v26, v26, 0, 0
	v_cmp_eq_u16_sdwa s[20:21], v28, v33 src0_sel:BYTE_0 src1_sel:DWORD
	s_and_saveexec_b64 s[4:5], s[20:21]
	s_cbranch_execz .LBB3118_69
; %bb.66:                               ;   in Loop: Header=BB3118_64 Depth=1
	s_mov_b64 s[20:21], 0
.LBB3118_67:                            ;   Parent Loop BB3118_64 Depth=1
                                        ; =>  This Inner Loop Header: Depth=2
	;;#ASMSTART
	global_load_dwordx4 v[26:29], v[36:37] off glc	
s_waitcnt vmcnt(0)
	;;#ASMEND
	v_cmp_ne_u16_sdwa s[30:31], v28, v33 src0_sel:BYTE_0 src1_sel:DWORD
	s_or_b64 s[20:21], s[30:31], s[20:21]
	s_andn2_b64 exec, exec, s[20:21]
	s_cbranch_execnz .LBB3118_67
; %bb.68:                               ;   in Loop: Header=BB3118_64 Depth=1
	s_or_b64 exec, exec, s[20:21]
.LBB3118_69:                            ;   in Loop: Header=BB3118_64 Depth=1
	s_or_b64 exec, exec, s[4:5]
	v_cmp_eq_u16_sdwa s[4:5], v28, v54 src0_sel:BYTE_0 src1_sel:DWORD
	v_and_b32_e32 v29, s5, v25
	v_or_b32_e32 v29, 0x80000000, v29
	ds_bpermute_b32 v36, v41, v26
	ds_bpermute_b32 v37, v41, v27
	v_and_b32_e32 v55, s4, v24
	v_ffbl_b32_e32 v29, v29
	v_add_u32_e32 v29, 32, v29
	v_ffbl_b32_e32 v55, v55
	v_min_u32_e32 v29, v55, v29
	v_cmp_lt_u32_e32 vcc, v40, v29
	s_and_saveexec_b64 s[4:5], vcc
	s_cbranch_execz .LBB3118_71
; %bb.70:                               ;   in Loop: Header=BB3118_64 Depth=1
	s_waitcnt lgkmcnt(0)
	v_cmp_lt_f64_e32 vcc, v[36:37], v[26:27]
	v_cndmask_b32_e32 v27, v37, v27, vcc
	v_cndmask_b32_e32 v26, v36, v26, vcc
.LBB3118_71:                            ;   in Loop: Header=BB3118_64 Depth=1
	s_or_b64 exec, exec, s[4:5]
	s_waitcnt lgkmcnt(1)
	ds_bpermute_b32 v36, v42, v26
	s_waitcnt lgkmcnt(1)
	ds_bpermute_b32 v37, v42, v27
	v_cmp_le_u32_e32 vcc, v43, v29
	s_and_saveexec_b64 s[4:5], vcc
	s_cbranch_execz .LBB3118_73
; %bb.72:                               ;   in Loop: Header=BB3118_64 Depth=1
	s_waitcnt lgkmcnt(0)
	v_cmp_gt_f64_e32 vcc, v[26:27], v[36:37]
	v_cndmask_b32_e32 v27, v37, v27, vcc
	v_cndmask_b32_e32 v26, v36, v26, vcc
.LBB3118_73:                            ;   in Loop: Header=BB3118_64 Depth=1
	s_or_b64 exec, exec, s[4:5]
	s_waitcnt lgkmcnt(1)
	ds_bpermute_b32 v36, v46, v26
	s_waitcnt lgkmcnt(1)
	ds_bpermute_b32 v37, v46, v27
	v_cmp_le_u32_e32 vcc, v47, v29
	s_and_saveexec_b64 s[4:5], vcc
	s_cbranch_execz .LBB3118_75
; %bb.74:                               ;   in Loop: Header=BB3118_64 Depth=1
	s_waitcnt lgkmcnt(0)
	v_cmp_gt_f64_e32 vcc, v[26:27], v[36:37]
	v_cndmask_b32_e32 v27, v37, v27, vcc
	v_cndmask_b32_e32 v26, v36, v26, vcc
.LBB3118_75:                            ;   in Loop: Header=BB3118_64 Depth=1
	;; [unrolled: 14-line block ×3, first 2 shown]
	s_or_b64 exec, exec, s[4:5]
	s_waitcnt lgkmcnt(1)
	ds_bpermute_b32 v36, v50, v26
	s_waitcnt lgkmcnt(1)
	ds_bpermute_b32 v37, v50, v27
	v_cmp_le_u32_e32 vcc, v51, v29
	s_and_saveexec_b64 s[4:5], vcc
	s_cbranch_execz .LBB3118_63
; %bb.78:                               ;   in Loop: Header=BB3118_64 Depth=1
	s_waitcnt lgkmcnt(0)
	v_cmp_gt_f64_e32 vcc, v[26:27], v[36:37]
	v_cndmask_b32_e32 v27, v37, v27, vcc
	v_cndmask_b32_e32 v26, v36, v26, vcc
	s_branch .LBB3118_63
.LBB3118_79:                            ;   in Loop: Header=BB3118_64 Depth=1
                                        ; implicit-def: $vgpr26_vgpr27
                                        ; implicit-def: $vgpr28
	s_cbranch_execz .LBB3118_64
; %bb.80:
	s_and_saveexec_b64 s[4:5], s[2:3]
	s_cbranch_execz .LBB3118_82
; %bb.81:
	s_add_i32 s20, s28, 64
	s_mov_b32 s21, 0
	s_lshl_b64 s[20:21], s[20:21], 4
	s_add_u32 s20, s24, s20
	v_cmp_lt_f64_e32 vcc, v[34:35], v[22:23]
	s_addc_u32 s21, s25, s21
	v_cndmask_b32_e32 v23, v35, v23, vcc
	v_cndmask_b32_e32 v22, v34, v22, vcc
	v_mov_b32_e32 v24, 2
	v_mov_b32_e32 v25, 0
	v_pk_mov_b32 v[26:27], s[20:21], s[20:21] op_sel:[0,1]
	;;#ASMSTART
	global_store_dwordx4 v[26:27], v[22:25] off	
s_waitcnt vmcnt(0)
	;;#ASMEND
.LBB3118_82:
	s_or_b64 exec, exec, s[4:5]
	s_and_b64 exec, exec, s[0:1]
	s_cbranch_execz .LBB3118_84
; %bb.83:
	v_mov_b32_e32 v22, 0
	ds_write_b64 v22, v[34:35] offset:8
.LBB3118_84:
	s_or_b64 exec, exec, s[16:17]
	v_mov_b32_e32 v22, 0
	s_waitcnt lgkmcnt(0)
	s_barrier
	ds_read_b64 v[22:23], v22 offset:8
	v_cndmask_b32_e64 v25, v39, v31, s[2:3]
	v_cndmask_b32_e64 v24, v38, v30, s[2:3]
	s_waitcnt lgkmcnt(0)
	v_cmp_lt_f64_e32 vcc, v[22:23], v[24:25]
	v_cndmask_b32_e32 v24, v22, v24, vcc
	v_cndmask_b32_e32 v25, v23, v25, vcc
	v_cndmask_b32_e64 v23, v25, v23, s[0:1]
	v_cndmask_b32_e64 v22, v24, v22, s[0:1]
	v_cmp_lt_f64_e32 vcc, v[22:23], v[14:15]
	v_cndmask_b32_e32 v25, v23, v15, vcc
	v_cndmask_b32_e32 v24, v22, v14, vcc
	v_cmp_lt_f64_e32 vcc, v[24:25], v[16:17]
	v_cndmask_b32_e32 v27, v25, v17, vcc
	v_cndmask_b32_e32 v26, v24, v16, vcc
	;; [unrolled: 3-line block ×9, first 2 shown]
	s_branch .LBB3118_107
.LBB3118_85:
                                        ; implicit-def: $vgpr40_vgpr41
                                        ; implicit-def: $vgpr36_vgpr37
                                        ; implicit-def: $vgpr32_vgpr33
                                        ; implicit-def: $vgpr28_vgpr29
                                        ; implicit-def: $vgpr24_vgpr25
	s_cbranch_execz .LBB3118_107
; %bb.86:
	s_cmp_eq_u64 s[12:13], 0
	v_pk_mov_b32 v[42:43], s[18:19], s[18:19] op_sel:[0,1]
	s_cbranch_scc1 .LBB3118_88
; %bb.87:
	v_mov_b32_e32 v25, s27
	v_add_co_u32_e64 v24, vcc, -8, s26
	v_mov_b32_e32 v22, 0
	v_addc_co_u32_e32 v25, vcc, -1, v25, vcc
	global_load_dwordx2 v[22:23], v22, s[8:9]
	s_nop 0
	flat_load_dwordx2 v[24:25], v[24:25]
	s_waitcnt vmcnt(0) lgkmcnt(0)
	v_cmp_lt_f64_e32 vcc, v[22:23], v[24:25]
	v_cndmask_b32_e32 v43, v23, v25, vcc
	v_cndmask_b32_e32 v42, v22, v24, vcc
.LBB3118_88:
	v_cmp_lt_f64_e32 vcc, v[14:15], v[16:17]
	v_cndmask_b32_e32 v23, v15, v17, vcc
	v_cndmask_b32_e32 v22, v14, v16, vcc
	v_cmp_lt_f64_e32 vcc, v[22:23], v[10:11]
	v_cndmask_b32_e32 v23, v23, v11, vcc
	v_cndmask_b32_e32 v22, v22, v10, vcc
	;; [unrolled: 3-line block ×8, first 2 shown]
	v_cmp_lt_f64_e32 vcc, v[22:23], v[20:21]
	v_mbcnt_hi_u32_b32 v1, -1, v1
	v_cndmask_b32_e32 v21, v23, v21, vcc
	v_cndmask_b32_e32 v20, v22, v20, vcc
	v_and_b32_e32 v24, 15, v1
	v_mov_b32_dpp v23, v21 row_shr:1 row_mask:0xf bank_mask:0xf
	v_mov_b32_dpp v22, v20 row_shr:1 row_mask:0xf bank_mask:0xf
	v_cmp_ne_u32_e32 vcc, 0, v24
	s_and_saveexec_b64 s[2:3], vcc
; %bb.89:
	v_cmp_gt_f64_e32 vcc, v[20:21], v[22:23]
	v_cndmask_b32_e32 v21, v23, v21, vcc
	v_cndmask_b32_e32 v20, v22, v20, vcc
; %bb.90:
	s_or_b64 exec, exec, s[2:3]
	s_nop 0
	v_mov_b32_dpp v22, v20 row_shr:2 row_mask:0xf bank_mask:0xf
	v_mov_b32_dpp v23, v21 row_shr:2 row_mask:0xf bank_mask:0xf
	v_cmp_lt_u32_e32 vcc, 1, v24
	s_and_saveexec_b64 s[2:3], vcc
; %bb.91:
	v_cmp_gt_f64_e32 vcc, v[20:21], v[22:23]
	v_cndmask_b32_e32 v21, v23, v21, vcc
	v_cndmask_b32_e32 v20, v22, v20, vcc
; %bb.92:
	s_or_b64 exec, exec, s[2:3]
	s_nop 0
	v_mov_b32_dpp v22, v20 row_shr:4 row_mask:0xf bank_mask:0xf
	v_mov_b32_dpp v23, v21 row_shr:4 row_mask:0xf bank_mask:0xf
	v_cmp_lt_u32_e32 vcc, 3, v24
	s_and_saveexec_b64 s[2:3], vcc
; %bb.93:
	v_cmp_gt_f64_e32 vcc, v[20:21], v[22:23]
	v_cndmask_b32_e32 v21, v23, v21, vcc
	v_cndmask_b32_e32 v20, v22, v20, vcc
; %bb.94:
	s_or_b64 exec, exec, s[2:3]
	s_nop 0
	v_mov_b32_dpp v22, v20 row_shr:8 row_mask:0xf bank_mask:0xf
	v_mov_b32_dpp v23, v21 row_shr:8 row_mask:0xf bank_mask:0xf
	v_cmp_lt_u32_e32 vcc, 7, v24
	s_and_saveexec_b64 s[2:3], vcc
; %bb.95:
	v_cmp_gt_f64_e32 vcc, v[20:21], v[22:23]
	v_cndmask_b32_e32 v21, v23, v21, vcc
	v_cndmask_b32_e32 v20, v22, v20, vcc
; %bb.96:
	s_or_b64 exec, exec, s[2:3]
	v_and_b32_e32 v24, 16, v1
	v_mov_b32_dpp v22, v20 row_bcast:15 row_mask:0xf bank_mask:0xf
	v_mov_b32_dpp v23, v21 row_bcast:15 row_mask:0xf bank_mask:0xf
	v_cmp_ne_u32_e32 vcc, 0, v24
	s_and_saveexec_b64 s[2:3], vcc
; %bb.97:
	v_cmp_gt_f64_e32 vcc, v[20:21], v[22:23]
	v_cndmask_b32_e32 v21, v23, v21, vcc
	v_cndmask_b32_e32 v20, v22, v20, vcc
; %bb.98:
	s_or_b64 exec, exec, s[2:3]
	s_nop 0
	v_mov_b32_dpp v22, v20 row_bcast:31 row_mask:0xf bank_mask:0xf
	v_mov_b32_dpp v23, v21 row_bcast:31 row_mask:0xf bank_mask:0xf
	v_cmp_gt_f64_e32 vcc, v[20:21], v[22:23]
	v_cndmask_b32_e32 v22, v22, v20, vcc
	v_cndmask_b32_e32 v23, v23, v21, vcc
	v_cmp_lt_u32_e32 vcc, 31, v1
	v_cndmask_b32_e32 v20, v20, v22, vcc
	v_or_b32_e32 v22, 63, v0
	v_cndmask_b32_e32 v21, v21, v23, vcc
	v_lshrrev_b32_e32 v24, 6, v0
	v_cmp_eq_u32_e32 vcc, v22, v0
	s_and_saveexec_b64 s[2:3], vcc
	s_cbranch_execz .LBB3118_100
; %bb.99:
	v_lshlrev_b32_e32 v22, 3, v24
	ds_write_b64 v22, v[20:21]
.LBB3118_100:
	s_or_b64 exec, exec, s[2:3]
	v_cmp_gt_u32_e32 vcc, 2, v0
	s_waitcnt lgkmcnt(0)
	s_barrier
	s_and_saveexec_b64 s[4:5], vcc
	s_cbranch_execz .LBB3118_102
; %bb.101:
	s_movk_i32 s2, 0xffb8
	v_mad_i32_i24 v25, v0, s2, v45
	ds_read_b64 v[22:23], v25
	v_and_b32_e32 v26, 1, v1
	v_cmp_eq_u32_e32 vcc, 0, v26
	s_waitcnt lgkmcnt(0)
	v_mov_b32_dpp v28, v23 row_shr:1 row_mask:0xf bank_mask:0xf
	v_mov_b32_dpp v26, v22 row_shr:1 row_mask:0xf bank_mask:0xf
	v_mov_b32_e32 v27, v28
	v_cmp_gt_f64_e64 s[2:3], v[22:23], v[26:27]
	s_or_b64 vcc, vcc, s[2:3]
	v_cndmask_b32_e32 v23, v28, v23, vcc
	v_cndmask_b32_e32 v22, v26, v22, vcc
	ds_write_b64 v25, v[22:23]
.LBB3118_102:
	s_or_b64 exec, exec, s[4:5]
	v_cmp_lt_u32_e32 vcc, 63, v0
	v_pk_mov_b32 v[22:23], v[42:43], v[42:43] op_sel:[0,1]
	s_waitcnt lgkmcnt(0)
	s_barrier
	s_and_saveexec_b64 s[2:3], vcc
	s_cbranch_execz .LBB3118_104
; %bb.103:
	v_lshl_add_u32 v22, v24, 3, -8
	ds_read_b64 v[22:23], v22
	s_waitcnt lgkmcnt(0)
	v_cmp_gt_f64_e32 vcc, v[22:23], v[42:43]
	v_cndmask_b32_e32 v23, v43, v23, vcc
	v_cndmask_b32_e32 v22, v42, v22, vcc
.LBB3118_104:
	s_or_b64 exec, exec, s[2:3]
	v_cmp_lt_f64_e32 vcc, v[22:23], v[20:21]
	v_add_u32_e32 v24, -1, v1
	v_and_b32_e32 v25, 64, v1
	v_cndmask_b32_e32 v21, v23, v21, vcc
	v_cndmask_b32_e32 v20, v22, v20, vcc
	v_cmp_lt_i32_e32 vcc, v24, v25
	v_cndmask_b32_e32 v24, v24, v1, vcc
	v_lshlrev_b32_e32 v24, 2, v24
	ds_bpermute_b32 v20, v24, v20
	ds_bpermute_b32 v21, v24, v21
	v_cmp_eq_u32_e32 vcc, 0, v1
	s_waitcnt lgkmcnt(1)
	v_cndmask_b32_e32 v1, v20, v22, vcc
	s_waitcnt lgkmcnt(0)
	v_cndmask_b32_e32 v20, v21, v23, vcc
	v_cndmask_b32_e64 v23, v20, v43, s[0:1]
	v_cndmask_b32_e64 v22, v1, v42, s[0:1]
	v_cmp_lt_f64_e32 vcc, v[22:23], v[14:15]
	v_cndmask_b32_e32 v25, v23, v15, vcc
	v_cndmask_b32_e32 v24, v22, v14, vcc
	v_cmp_lt_f64_e32 vcc, v[24:25], v[16:17]
	v_cndmask_b32_e32 v27, v25, v17, vcc
	v_cndmask_b32_e32 v26, v24, v16, vcc
	;; [unrolled: 3-line block ×9, first 2 shown]
	s_and_saveexec_b64 s[2:3], s[0:1]
	s_cbranch_execz .LBB3118_106
; %bb.105:
	v_mov_b32_e32 v5, 0
	ds_read_b64 v[2:3], v5 offset:8
	s_add_u32 s0, s24, 0x400
	s_addc_u32 s1, s25, 0
	v_mov_b32_e32 v4, 2
	v_pk_mov_b32 v[6:7], s[0:1], s[0:1] op_sel:[0,1]
	s_waitcnt lgkmcnt(0)
	v_cmp_gt_f64_e32 vcc, v[2:3], v[42:43]
	v_cndmask_b32_e32 v3, v43, v3, vcc
	v_cndmask_b32_e32 v2, v42, v2, vcc
	;;#ASMSTART
	global_store_dwordx4 v[6:7], v[2:5] off	
s_waitcnt vmcnt(0)
	;;#ASMEND
.LBB3118_106:
	s_or_b64 exec, exec, s[2:3]
.LBB3118_107:
	s_mov_b64 s[0:1], -1
	s_and_b64 vcc, exec, s[6:7]
	s_barrier
	ds_write_b128 v45, v[22:25]
	ds_write_b128 v45, v[26:29] offset:16
	ds_write_b128 v45, v[30:33] offset:32
	;; [unrolled: 1-line block ×4, first 2 shown]
	s_waitcnt lgkmcnt(0)
	s_cbranch_vccz .LBB3118_109
; %bb.108:
	s_barrier
	s_mov_b64 s[0:1], 0
.LBB3118_109:
	s_andn2_b64 vcc, exec, s[0:1]
	s_cbranch_vccnz .LBB3118_145
; %bb.110:
	v_cmp_lt_u64_e64 s[0:1], s[14:15], 2
	s_and_b64 vcc, exec, s[0:1]
	s_barrier
	s_cbranch_vccnz .LBB3118_145
; %bb.111:
	s_add_u32 s0, s22, -1
	s_addc_u32 s1, s23, -1
	s_add_u32 s2, 0, 0x99986000
	s_addc_u32 s3, 0, 0x59
	s_add_i32 s3, s3, 0x19999940
	s_mul_hi_u32 s7, s2, -10
	s_sub_i32 s7, s7, s2
	s_mul_i32 s8, s3, -10
	s_mul_i32 s4, s2, -10
	s_add_i32 s7, s7, s8
	s_mul_hi_u32 s5, s3, s4
	s_mul_i32 s6, s3, s4
	s_mul_i32 s9, s2, s7
	s_mul_hi_u32 s4, s2, s4
	s_mul_hi_u32 s8, s2, s7
	s_add_u32 s4, s4, s9
	s_addc_u32 s8, 0, s8
	s_add_u32 s4, s4, s6
	s_mul_hi_u32 s9, s3, s7
	s_addc_u32 s4, s8, s5
	s_addc_u32 s5, s9, 0
	s_mul_i32 s6, s3, s7
	s_add_u32 s4, s4, s6
	v_mov_b32_e32 v2, s4
	s_addc_u32 s5, 0, s5
	v_add_co_u32_e32 v2, vcc, s2, v2
	s_cmp_lg_u64 vcc, 0
	s_addc_u32 s2, s3, s5
	v_readfirstlane_b32 s5, v2
	s_mul_i32 s4, s0, s2
	s_mul_hi_u32 s6, s0, s5
	s_mul_hi_u32 s3, s0, s2
	s_add_u32 s4, s6, s4
	s_addc_u32 s3, 0, s3
	s_mul_hi_u32 s7, s1, s5
	s_mul_i32 s5, s1, s5
	s_add_u32 s4, s4, s5
	s_mul_hi_u32 s6, s1, s2
	s_addc_u32 s3, s3, s7
	s_addc_u32 s4, s6, 0
	s_mul_i32 s2, s1, s2
	s_add_u32 s2, s3, s2
	s_addc_u32 s3, 0, s4
	s_add_u32 s4, s2, 1
	s_addc_u32 s5, s3, 0
	s_add_u32 s6, s2, 2
	s_mul_i32 s8, s3, 10
	s_mul_hi_u32 s9, s2, 10
	s_addc_u32 s7, s3, 0
	s_add_i32 s9, s9, s8
	s_mul_i32 s8, s2, 10
	v_mov_b32_e32 v2, s8
	v_sub_co_u32_e32 v2, vcc, s0, v2
	s_cmp_lg_u64 vcc, 0
	s_subb_u32 s8, s1, s9
	v_subrev_co_u32_e32 v3, vcc, 10, v2
	s_cmp_lg_u64 vcc, 0
	s_subb_u32 s9, s8, 0
	v_readfirstlane_b32 s12, v3
	s_cmp_gt_u32 s12, 9
	s_cselect_b32 s12, -1, 0
	s_cmp_eq_u32 s9, 0
	s_cselect_b32 s9, s12, -1
	s_cmp_lg_u32 s9, 0
	s_cselect_b32 s4, s6, s4
	v_readfirstlane_b32 s6, v2
	s_cselect_b32 s5, s7, s5
	s_cmp_gt_u32 s6, 9
	s_cselect_b32 s6, -1, 0
	s_cmp_eq_u32 s8, 0
	s_cselect_b32 s6, s6, -1
	s_cmp_lg_u32 s6, 0
	v_mov_b32_e32 v1, 0
	s_cselect_b32 s3, s5, s3
	s_cselect_b32 s2, s4, s2
	v_cmp_eq_u64_e32 vcc, s[2:3], v[0:1]
	s_and_saveexec_b64 s[2:3], vcc
	s_cbranch_execz .LBB3118_145
; %bb.112:
	s_movk_i32 s2, 0xffb8
	v_mad_i32_i24 v2, v0, s2, v45
	v_mul_hi_u32_u24_e32 v1, 10, v0
	v_mov_b32_e32 v3, s1
	v_sub_co_u32_e32 v0, vcc, s0, v44
	v_subb_co_u32_e32 v1, vcc, v3, v1, vcc
	v_cmp_lt_i64_e32 vcc, 4, v[0:1]
	s_and_saveexec_b64 s[0:1], vcc
	s_xor_b64 s[0:1], exec, s[0:1]
	s_cbranch_execz .LBB3118_130
; %bb.113:
	v_cmp_lt_i64_e32 vcc, 6, v[0:1]
	s_and_saveexec_b64 s[2:3], vcc
	s_xor_b64 s[2:3], exec, s[2:3]
	s_cbranch_execz .LBB3118_123
; %bb.114:
	;; [unrolled: 5-line block ×4, first 2 shown]
	ds_read_b64 v[0:1], v2 offset:9216
	v_mov_b32_e32 v2, 0
	s_waitcnt lgkmcnt(0)
	global_store_dwordx2 v2, v[0:1], s[10:11]
                                        ; implicit-def: $vgpr2
.LBB3118_117:
	s_andn2_saveexec_b64 s[6:7], s[6:7]
	s_cbranch_execz .LBB3118_119
; %bb.118:
	ds_read_b64 v[0:1], v2 offset:8192
	v_mov_b32_e32 v2, 0
	s_waitcnt lgkmcnt(0)
	global_store_dwordx2 v2, v[0:1], s[10:11]
.LBB3118_119:
	s_or_b64 exec, exec, s[6:7]
                                        ; implicit-def: $vgpr2
.LBB3118_120:
	s_andn2_saveexec_b64 s[4:5], s[4:5]
	s_cbranch_execz .LBB3118_122
; %bb.121:
	ds_read_b64 v[0:1], v2 offset:7168
	v_mov_b32_e32 v2, 0
	s_waitcnt lgkmcnt(0)
	global_store_dwordx2 v2, v[0:1], s[10:11]
.LBB3118_122:
	s_or_b64 exec, exec, s[4:5]
                                        ; implicit-def: $vgpr2
                                        ; implicit-def: $vgpr0_vgpr1
.LBB3118_123:
	s_andn2_saveexec_b64 s[2:3], s[2:3]
	s_cbranch_execz .LBB3118_129
; %bb.124:
	v_cmp_lt_i64_e32 vcc, 5, v[0:1]
	s_and_saveexec_b64 s[4:5], vcc
	s_xor_b64 s[4:5], exec, s[4:5]
	s_cbranch_execz .LBB3118_126
; %bb.125:
	ds_read_b64 v[0:1], v2 offset:6144
	v_mov_b32_e32 v2, 0
	s_waitcnt lgkmcnt(0)
	global_store_dwordx2 v2, v[0:1], s[10:11]
                                        ; implicit-def: $vgpr2
.LBB3118_126:
	s_andn2_saveexec_b64 s[4:5], s[4:5]
	s_cbranch_execz .LBB3118_128
; %bb.127:
	ds_read_b64 v[0:1], v2 offset:5120
	v_mov_b32_e32 v2, 0
	s_waitcnt lgkmcnt(0)
	global_store_dwordx2 v2, v[0:1], s[10:11]
.LBB3118_128:
	s_or_b64 exec, exec, s[4:5]
.LBB3118_129:
	s_or_b64 exec, exec, s[2:3]
                                        ; implicit-def: $vgpr0_vgpr1
                                        ; implicit-def: $vgpr2
.LBB3118_130:
	s_andn2_saveexec_b64 s[0:1], s[0:1]
	s_cbranch_execz .LBB3118_145
; %bb.131:
	v_cmp_lt_i64_e32 vcc, 2, v[0:1]
	s_and_saveexec_b64 s[0:1], vcc
	s_xor_b64 s[0:1], exec, s[0:1]
	s_cbranch_execz .LBB3118_137
; %bb.132:
	v_cmp_lt_i64_e32 vcc, 3, v[0:1]
	s_and_saveexec_b64 s[2:3], vcc
	s_xor_b64 s[2:3], exec, s[2:3]
	s_cbranch_execz .LBB3118_134
; %bb.133:
	ds_read_b64 v[0:1], v2 offset:4096
	v_mov_b32_e32 v2, 0
	s_waitcnt lgkmcnt(0)
	global_store_dwordx2 v2, v[0:1], s[10:11]
                                        ; implicit-def: $vgpr2
.LBB3118_134:
	s_andn2_saveexec_b64 s[2:3], s[2:3]
	s_cbranch_execz .LBB3118_136
; %bb.135:
	ds_read_b64 v[0:1], v2 offset:3072
	v_mov_b32_e32 v2, 0
	s_waitcnt lgkmcnt(0)
	global_store_dwordx2 v2, v[0:1], s[10:11]
.LBB3118_136:
	s_or_b64 exec, exec, s[2:3]
                                        ; implicit-def: $vgpr0_vgpr1
                                        ; implicit-def: $vgpr2
.LBB3118_137:
	s_andn2_saveexec_b64 s[0:1], s[0:1]
	s_cbranch_execz .LBB3118_145
; %bb.138:
	v_cmp_lt_i64_e32 vcc, 1, v[0:1]
	s_and_saveexec_b64 s[0:1], vcc
	s_xor_b64 s[0:1], exec, s[0:1]
	s_cbranch_execz .LBB3118_140
; %bb.139:
	ds_read_b64 v[0:1], v2 offset:2048
	v_mov_b32_e32 v2, 0
	s_waitcnt lgkmcnt(0)
	global_store_dwordx2 v2, v[0:1], s[10:11]
                                        ; implicit-def: $vgpr2
                                        ; implicit-def: $vgpr0_vgpr1
.LBB3118_140:
	s_andn2_saveexec_b64 s[0:1], s[0:1]
	s_cbranch_execz .LBB3118_145
; %bb.141:
	v_cmp_ne_u64_e32 vcc, 1, v[0:1]
	s_and_saveexec_b64 s[0:1], vcc
	s_xor_b64 s[0:1], exec, s[0:1]
	s_cbranch_execz .LBB3118_143
; %bb.142:
	ds_read_b64 v[0:1], v2
	v_mov_b32_e32 v2, 0
	s_waitcnt lgkmcnt(0)
	global_store_dwordx2 v2, v[0:1], s[10:11]
                                        ; implicit-def: $vgpr2
.LBB3118_143:
	s_andn2_saveexec_b64 s[0:1], s[0:1]
	s_cbranch_execz .LBB3118_145
; %bb.144:
	ds_read_b64 v[0:1], v2 offset:1024
	v_mov_b32_e32 v2, 0
	s_waitcnt lgkmcnt(0)
	global_store_dwordx2 v2, v[0:1], s[10:11]
.LBB3118_145:
	s_endpgm
	.section	.rodata,"a",@progbits
	.p2align	6, 0x0
	.amdhsa_kernel _ZN7rocprim17ROCPRIM_400000_NS6detail17trampoline_kernelINS0_14default_configENS1_20scan_config_selectorIdEEZZNS1_9scan_implILNS1_25lookback_scan_determinismE0ELb1ELb1ES3_N6thrust23THRUST_200600_302600_NS6detail15normal_iteratorINS9_10device_ptrIdEEEENS9_16discard_iteratorINS9_11use_defaultEEEd11max_functorIdEdEEDaPvRmT3_T4_T5_mT6_P12ihipStream_tbENKUlT_T0_E_clISt17integral_constantIbLb0EESW_IbLb1EEEEDaSS_ST_EUlSS_E_NS1_11comp_targetILNS1_3genE4ELNS1_11target_archE910ELNS1_3gpuE8ELNS1_3repE0EEENS1_30default_config_static_selectorELNS0_4arch9wavefront6targetE1EEEvT1_
		.amdhsa_group_segment_fixed_size 10240
		.amdhsa_private_segment_fixed_size 0
		.amdhsa_kernarg_size 112
		.amdhsa_user_sgpr_count 6
		.amdhsa_user_sgpr_private_segment_buffer 1
		.amdhsa_user_sgpr_dispatch_ptr 0
		.amdhsa_user_sgpr_queue_ptr 0
		.amdhsa_user_sgpr_kernarg_segment_ptr 1
		.amdhsa_user_sgpr_dispatch_id 0
		.amdhsa_user_sgpr_flat_scratch_init 0
		.amdhsa_user_sgpr_kernarg_preload_length 0
		.amdhsa_user_sgpr_kernarg_preload_offset 0
		.amdhsa_user_sgpr_private_segment_size 0
		.amdhsa_uses_dynamic_stack 0
		.amdhsa_system_sgpr_private_segment_wavefront_offset 0
		.amdhsa_system_sgpr_workgroup_id_x 1
		.amdhsa_system_sgpr_workgroup_id_y 0
		.amdhsa_system_sgpr_workgroup_id_z 0
		.amdhsa_system_sgpr_workgroup_info 0
		.amdhsa_system_vgpr_workitem_id 0
		.amdhsa_next_free_vgpr 58
		.amdhsa_next_free_sgpr 32
		.amdhsa_accum_offset 60
		.amdhsa_reserve_vcc 1
		.amdhsa_reserve_flat_scratch 0
		.amdhsa_float_round_mode_32 0
		.amdhsa_float_round_mode_16_64 0
		.amdhsa_float_denorm_mode_32 3
		.amdhsa_float_denorm_mode_16_64 3
		.amdhsa_dx10_clamp 1
		.amdhsa_ieee_mode 1
		.amdhsa_fp16_overflow 0
		.amdhsa_tg_split 0
		.amdhsa_exception_fp_ieee_invalid_op 0
		.amdhsa_exception_fp_denorm_src 0
		.amdhsa_exception_fp_ieee_div_zero 0
		.amdhsa_exception_fp_ieee_overflow 0
		.amdhsa_exception_fp_ieee_underflow 0
		.amdhsa_exception_fp_ieee_inexact 0
		.amdhsa_exception_int_div_zero 0
	.end_amdhsa_kernel
	.section	.text._ZN7rocprim17ROCPRIM_400000_NS6detail17trampoline_kernelINS0_14default_configENS1_20scan_config_selectorIdEEZZNS1_9scan_implILNS1_25lookback_scan_determinismE0ELb1ELb1ES3_N6thrust23THRUST_200600_302600_NS6detail15normal_iteratorINS9_10device_ptrIdEEEENS9_16discard_iteratorINS9_11use_defaultEEEd11max_functorIdEdEEDaPvRmT3_T4_T5_mT6_P12ihipStream_tbENKUlT_T0_E_clISt17integral_constantIbLb0EESW_IbLb1EEEEDaSS_ST_EUlSS_E_NS1_11comp_targetILNS1_3genE4ELNS1_11target_archE910ELNS1_3gpuE8ELNS1_3repE0EEENS1_30default_config_static_selectorELNS0_4arch9wavefront6targetE1EEEvT1_,"axG",@progbits,_ZN7rocprim17ROCPRIM_400000_NS6detail17trampoline_kernelINS0_14default_configENS1_20scan_config_selectorIdEEZZNS1_9scan_implILNS1_25lookback_scan_determinismE0ELb1ELb1ES3_N6thrust23THRUST_200600_302600_NS6detail15normal_iteratorINS9_10device_ptrIdEEEENS9_16discard_iteratorINS9_11use_defaultEEEd11max_functorIdEdEEDaPvRmT3_T4_T5_mT6_P12ihipStream_tbENKUlT_T0_E_clISt17integral_constantIbLb0EESW_IbLb1EEEEDaSS_ST_EUlSS_E_NS1_11comp_targetILNS1_3genE4ELNS1_11target_archE910ELNS1_3gpuE8ELNS1_3repE0EEENS1_30default_config_static_selectorELNS0_4arch9wavefront6targetE1EEEvT1_,comdat
.Lfunc_end3118:
	.size	_ZN7rocprim17ROCPRIM_400000_NS6detail17trampoline_kernelINS0_14default_configENS1_20scan_config_selectorIdEEZZNS1_9scan_implILNS1_25lookback_scan_determinismE0ELb1ELb1ES3_N6thrust23THRUST_200600_302600_NS6detail15normal_iteratorINS9_10device_ptrIdEEEENS9_16discard_iteratorINS9_11use_defaultEEEd11max_functorIdEdEEDaPvRmT3_T4_T5_mT6_P12ihipStream_tbENKUlT_T0_E_clISt17integral_constantIbLb0EESW_IbLb1EEEEDaSS_ST_EUlSS_E_NS1_11comp_targetILNS1_3genE4ELNS1_11target_archE910ELNS1_3gpuE8ELNS1_3repE0EEENS1_30default_config_static_selectorELNS0_4arch9wavefront6targetE1EEEvT1_, .Lfunc_end3118-_ZN7rocprim17ROCPRIM_400000_NS6detail17trampoline_kernelINS0_14default_configENS1_20scan_config_selectorIdEEZZNS1_9scan_implILNS1_25lookback_scan_determinismE0ELb1ELb1ES3_N6thrust23THRUST_200600_302600_NS6detail15normal_iteratorINS9_10device_ptrIdEEEENS9_16discard_iteratorINS9_11use_defaultEEEd11max_functorIdEdEEDaPvRmT3_T4_T5_mT6_P12ihipStream_tbENKUlT_T0_E_clISt17integral_constantIbLb0EESW_IbLb1EEEEDaSS_ST_EUlSS_E_NS1_11comp_targetILNS1_3genE4ELNS1_11target_archE910ELNS1_3gpuE8ELNS1_3repE0EEENS1_30default_config_static_selectorELNS0_4arch9wavefront6targetE1EEEvT1_
                                        ; -- End function
	.section	.AMDGPU.csdata,"",@progbits
; Kernel info:
; codeLenInByte = 5612
; NumSgprs: 36
; NumVgprs: 58
; NumAgprs: 0
; TotalNumVgprs: 58
; ScratchSize: 0
; MemoryBound: 0
; FloatMode: 240
; IeeeMode: 1
; LDSByteSize: 10240 bytes/workgroup (compile time only)
; SGPRBlocks: 4
; VGPRBlocks: 7
; NumSGPRsForWavesPerEU: 36
; NumVGPRsForWavesPerEU: 58
; AccumOffset: 60
; Occupancy: 3
; WaveLimiterHint : 1
; COMPUTE_PGM_RSRC2:SCRATCH_EN: 0
; COMPUTE_PGM_RSRC2:USER_SGPR: 6
; COMPUTE_PGM_RSRC2:TRAP_HANDLER: 0
; COMPUTE_PGM_RSRC2:TGID_X_EN: 1
; COMPUTE_PGM_RSRC2:TGID_Y_EN: 0
; COMPUTE_PGM_RSRC2:TGID_Z_EN: 0
; COMPUTE_PGM_RSRC2:TIDIG_COMP_CNT: 0
; COMPUTE_PGM_RSRC3_GFX90A:ACCUM_OFFSET: 14
; COMPUTE_PGM_RSRC3_GFX90A:TG_SPLIT: 0
	.section	.text._ZN7rocprim17ROCPRIM_400000_NS6detail17trampoline_kernelINS0_14default_configENS1_20scan_config_selectorIdEEZZNS1_9scan_implILNS1_25lookback_scan_determinismE0ELb1ELb1ES3_N6thrust23THRUST_200600_302600_NS6detail15normal_iteratorINS9_10device_ptrIdEEEENS9_16discard_iteratorINS9_11use_defaultEEEd11max_functorIdEdEEDaPvRmT3_T4_T5_mT6_P12ihipStream_tbENKUlT_T0_E_clISt17integral_constantIbLb0EESW_IbLb1EEEEDaSS_ST_EUlSS_E_NS1_11comp_targetILNS1_3genE3ELNS1_11target_archE908ELNS1_3gpuE7ELNS1_3repE0EEENS1_30default_config_static_selectorELNS0_4arch9wavefront6targetE1EEEvT1_,"axG",@progbits,_ZN7rocprim17ROCPRIM_400000_NS6detail17trampoline_kernelINS0_14default_configENS1_20scan_config_selectorIdEEZZNS1_9scan_implILNS1_25lookback_scan_determinismE0ELb1ELb1ES3_N6thrust23THRUST_200600_302600_NS6detail15normal_iteratorINS9_10device_ptrIdEEEENS9_16discard_iteratorINS9_11use_defaultEEEd11max_functorIdEdEEDaPvRmT3_T4_T5_mT6_P12ihipStream_tbENKUlT_T0_E_clISt17integral_constantIbLb0EESW_IbLb1EEEEDaSS_ST_EUlSS_E_NS1_11comp_targetILNS1_3genE3ELNS1_11target_archE908ELNS1_3gpuE7ELNS1_3repE0EEENS1_30default_config_static_selectorELNS0_4arch9wavefront6targetE1EEEvT1_,comdat
	.protected	_ZN7rocprim17ROCPRIM_400000_NS6detail17trampoline_kernelINS0_14default_configENS1_20scan_config_selectorIdEEZZNS1_9scan_implILNS1_25lookback_scan_determinismE0ELb1ELb1ES3_N6thrust23THRUST_200600_302600_NS6detail15normal_iteratorINS9_10device_ptrIdEEEENS9_16discard_iteratorINS9_11use_defaultEEEd11max_functorIdEdEEDaPvRmT3_T4_T5_mT6_P12ihipStream_tbENKUlT_T0_E_clISt17integral_constantIbLb0EESW_IbLb1EEEEDaSS_ST_EUlSS_E_NS1_11comp_targetILNS1_3genE3ELNS1_11target_archE908ELNS1_3gpuE7ELNS1_3repE0EEENS1_30default_config_static_selectorELNS0_4arch9wavefront6targetE1EEEvT1_ ; -- Begin function _ZN7rocprim17ROCPRIM_400000_NS6detail17trampoline_kernelINS0_14default_configENS1_20scan_config_selectorIdEEZZNS1_9scan_implILNS1_25lookback_scan_determinismE0ELb1ELb1ES3_N6thrust23THRUST_200600_302600_NS6detail15normal_iteratorINS9_10device_ptrIdEEEENS9_16discard_iteratorINS9_11use_defaultEEEd11max_functorIdEdEEDaPvRmT3_T4_T5_mT6_P12ihipStream_tbENKUlT_T0_E_clISt17integral_constantIbLb0EESW_IbLb1EEEEDaSS_ST_EUlSS_E_NS1_11comp_targetILNS1_3genE3ELNS1_11target_archE908ELNS1_3gpuE7ELNS1_3repE0EEENS1_30default_config_static_selectorELNS0_4arch9wavefront6targetE1EEEvT1_
	.globl	_ZN7rocprim17ROCPRIM_400000_NS6detail17trampoline_kernelINS0_14default_configENS1_20scan_config_selectorIdEEZZNS1_9scan_implILNS1_25lookback_scan_determinismE0ELb1ELb1ES3_N6thrust23THRUST_200600_302600_NS6detail15normal_iteratorINS9_10device_ptrIdEEEENS9_16discard_iteratorINS9_11use_defaultEEEd11max_functorIdEdEEDaPvRmT3_T4_T5_mT6_P12ihipStream_tbENKUlT_T0_E_clISt17integral_constantIbLb0EESW_IbLb1EEEEDaSS_ST_EUlSS_E_NS1_11comp_targetILNS1_3genE3ELNS1_11target_archE908ELNS1_3gpuE7ELNS1_3repE0EEENS1_30default_config_static_selectorELNS0_4arch9wavefront6targetE1EEEvT1_
	.p2align	8
	.type	_ZN7rocprim17ROCPRIM_400000_NS6detail17trampoline_kernelINS0_14default_configENS1_20scan_config_selectorIdEEZZNS1_9scan_implILNS1_25lookback_scan_determinismE0ELb1ELb1ES3_N6thrust23THRUST_200600_302600_NS6detail15normal_iteratorINS9_10device_ptrIdEEEENS9_16discard_iteratorINS9_11use_defaultEEEd11max_functorIdEdEEDaPvRmT3_T4_T5_mT6_P12ihipStream_tbENKUlT_T0_E_clISt17integral_constantIbLb0EESW_IbLb1EEEEDaSS_ST_EUlSS_E_NS1_11comp_targetILNS1_3genE3ELNS1_11target_archE908ELNS1_3gpuE7ELNS1_3repE0EEENS1_30default_config_static_selectorELNS0_4arch9wavefront6targetE1EEEvT1_,@function
_ZN7rocprim17ROCPRIM_400000_NS6detail17trampoline_kernelINS0_14default_configENS1_20scan_config_selectorIdEEZZNS1_9scan_implILNS1_25lookback_scan_determinismE0ELb1ELb1ES3_N6thrust23THRUST_200600_302600_NS6detail15normal_iteratorINS9_10device_ptrIdEEEENS9_16discard_iteratorINS9_11use_defaultEEEd11max_functorIdEdEEDaPvRmT3_T4_T5_mT6_P12ihipStream_tbENKUlT_T0_E_clISt17integral_constantIbLb0EESW_IbLb1EEEEDaSS_ST_EUlSS_E_NS1_11comp_targetILNS1_3genE3ELNS1_11target_archE908ELNS1_3gpuE7ELNS1_3repE0EEENS1_30default_config_static_selectorELNS0_4arch9wavefront6targetE1EEEvT1_: ; @_ZN7rocprim17ROCPRIM_400000_NS6detail17trampoline_kernelINS0_14default_configENS1_20scan_config_selectorIdEEZZNS1_9scan_implILNS1_25lookback_scan_determinismE0ELb1ELb1ES3_N6thrust23THRUST_200600_302600_NS6detail15normal_iteratorINS9_10device_ptrIdEEEENS9_16discard_iteratorINS9_11use_defaultEEEd11max_functorIdEdEEDaPvRmT3_T4_T5_mT6_P12ihipStream_tbENKUlT_T0_E_clISt17integral_constantIbLb0EESW_IbLb1EEEEDaSS_ST_EUlSS_E_NS1_11comp_targetILNS1_3genE3ELNS1_11target_archE908ELNS1_3gpuE7ELNS1_3repE0EEENS1_30default_config_static_selectorELNS0_4arch9wavefront6targetE1EEEvT1_
; %bb.0:
	.section	.rodata,"a",@progbits
	.p2align	6, 0x0
	.amdhsa_kernel _ZN7rocprim17ROCPRIM_400000_NS6detail17trampoline_kernelINS0_14default_configENS1_20scan_config_selectorIdEEZZNS1_9scan_implILNS1_25lookback_scan_determinismE0ELb1ELb1ES3_N6thrust23THRUST_200600_302600_NS6detail15normal_iteratorINS9_10device_ptrIdEEEENS9_16discard_iteratorINS9_11use_defaultEEEd11max_functorIdEdEEDaPvRmT3_T4_T5_mT6_P12ihipStream_tbENKUlT_T0_E_clISt17integral_constantIbLb0EESW_IbLb1EEEEDaSS_ST_EUlSS_E_NS1_11comp_targetILNS1_3genE3ELNS1_11target_archE908ELNS1_3gpuE7ELNS1_3repE0EEENS1_30default_config_static_selectorELNS0_4arch9wavefront6targetE1EEEvT1_
		.amdhsa_group_segment_fixed_size 0
		.amdhsa_private_segment_fixed_size 0
		.amdhsa_kernarg_size 112
		.amdhsa_user_sgpr_count 6
		.amdhsa_user_sgpr_private_segment_buffer 1
		.amdhsa_user_sgpr_dispatch_ptr 0
		.amdhsa_user_sgpr_queue_ptr 0
		.amdhsa_user_sgpr_kernarg_segment_ptr 1
		.amdhsa_user_sgpr_dispatch_id 0
		.amdhsa_user_sgpr_flat_scratch_init 0
		.amdhsa_user_sgpr_kernarg_preload_length 0
		.amdhsa_user_sgpr_kernarg_preload_offset 0
		.amdhsa_user_sgpr_private_segment_size 0
		.amdhsa_uses_dynamic_stack 0
		.amdhsa_system_sgpr_private_segment_wavefront_offset 0
		.amdhsa_system_sgpr_workgroup_id_x 1
		.amdhsa_system_sgpr_workgroup_id_y 0
		.amdhsa_system_sgpr_workgroup_id_z 0
		.amdhsa_system_sgpr_workgroup_info 0
		.amdhsa_system_vgpr_workitem_id 0
		.amdhsa_next_free_vgpr 1
		.amdhsa_next_free_sgpr 0
		.amdhsa_accum_offset 4
		.amdhsa_reserve_vcc 0
		.amdhsa_reserve_flat_scratch 0
		.amdhsa_float_round_mode_32 0
		.amdhsa_float_round_mode_16_64 0
		.amdhsa_float_denorm_mode_32 3
		.amdhsa_float_denorm_mode_16_64 3
		.amdhsa_dx10_clamp 1
		.amdhsa_ieee_mode 1
		.amdhsa_fp16_overflow 0
		.amdhsa_tg_split 0
		.amdhsa_exception_fp_ieee_invalid_op 0
		.amdhsa_exception_fp_denorm_src 0
		.amdhsa_exception_fp_ieee_div_zero 0
		.amdhsa_exception_fp_ieee_overflow 0
		.amdhsa_exception_fp_ieee_underflow 0
		.amdhsa_exception_fp_ieee_inexact 0
		.amdhsa_exception_int_div_zero 0
	.end_amdhsa_kernel
	.section	.text._ZN7rocprim17ROCPRIM_400000_NS6detail17trampoline_kernelINS0_14default_configENS1_20scan_config_selectorIdEEZZNS1_9scan_implILNS1_25lookback_scan_determinismE0ELb1ELb1ES3_N6thrust23THRUST_200600_302600_NS6detail15normal_iteratorINS9_10device_ptrIdEEEENS9_16discard_iteratorINS9_11use_defaultEEEd11max_functorIdEdEEDaPvRmT3_T4_T5_mT6_P12ihipStream_tbENKUlT_T0_E_clISt17integral_constantIbLb0EESW_IbLb1EEEEDaSS_ST_EUlSS_E_NS1_11comp_targetILNS1_3genE3ELNS1_11target_archE908ELNS1_3gpuE7ELNS1_3repE0EEENS1_30default_config_static_selectorELNS0_4arch9wavefront6targetE1EEEvT1_,"axG",@progbits,_ZN7rocprim17ROCPRIM_400000_NS6detail17trampoline_kernelINS0_14default_configENS1_20scan_config_selectorIdEEZZNS1_9scan_implILNS1_25lookback_scan_determinismE0ELb1ELb1ES3_N6thrust23THRUST_200600_302600_NS6detail15normal_iteratorINS9_10device_ptrIdEEEENS9_16discard_iteratorINS9_11use_defaultEEEd11max_functorIdEdEEDaPvRmT3_T4_T5_mT6_P12ihipStream_tbENKUlT_T0_E_clISt17integral_constantIbLb0EESW_IbLb1EEEEDaSS_ST_EUlSS_E_NS1_11comp_targetILNS1_3genE3ELNS1_11target_archE908ELNS1_3gpuE7ELNS1_3repE0EEENS1_30default_config_static_selectorELNS0_4arch9wavefront6targetE1EEEvT1_,comdat
.Lfunc_end3119:
	.size	_ZN7rocprim17ROCPRIM_400000_NS6detail17trampoline_kernelINS0_14default_configENS1_20scan_config_selectorIdEEZZNS1_9scan_implILNS1_25lookback_scan_determinismE0ELb1ELb1ES3_N6thrust23THRUST_200600_302600_NS6detail15normal_iteratorINS9_10device_ptrIdEEEENS9_16discard_iteratorINS9_11use_defaultEEEd11max_functorIdEdEEDaPvRmT3_T4_T5_mT6_P12ihipStream_tbENKUlT_T0_E_clISt17integral_constantIbLb0EESW_IbLb1EEEEDaSS_ST_EUlSS_E_NS1_11comp_targetILNS1_3genE3ELNS1_11target_archE908ELNS1_3gpuE7ELNS1_3repE0EEENS1_30default_config_static_selectorELNS0_4arch9wavefront6targetE1EEEvT1_, .Lfunc_end3119-_ZN7rocprim17ROCPRIM_400000_NS6detail17trampoline_kernelINS0_14default_configENS1_20scan_config_selectorIdEEZZNS1_9scan_implILNS1_25lookback_scan_determinismE0ELb1ELb1ES3_N6thrust23THRUST_200600_302600_NS6detail15normal_iteratorINS9_10device_ptrIdEEEENS9_16discard_iteratorINS9_11use_defaultEEEd11max_functorIdEdEEDaPvRmT3_T4_T5_mT6_P12ihipStream_tbENKUlT_T0_E_clISt17integral_constantIbLb0EESW_IbLb1EEEEDaSS_ST_EUlSS_E_NS1_11comp_targetILNS1_3genE3ELNS1_11target_archE908ELNS1_3gpuE7ELNS1_3repE0EEENS1_30default_config_static_selectorELNS0_4arch9wavefront6targetE1EEEvT1_
                                        ; -- End function
	.section	.AMDGPU.csdata,"",@progbits
; Kernel info:
; codeLenInByte = 0
; NumSgprs: 4
; NumVgprs: 0
; NumAgprs: 0
; TotalNumVgprs: 0
; ScratchSize: 0
; MemoryBound: 0
; FloatMode: 240
; IeeeMode: 1
; LDSByteSize: 0 bytes/workgroup (compile time only)
; SGPRBlocks: 0
; VGPRBlocks: 0
; NumSGPRsForWavesPerEU: 4
; NumVGPRsForWavesPerEU: 1
; AccumOffset: 4
; Occupancy: 8
; WaveLimiterHint : 0
; COMPUTE_PGM_RSRC2:SCRATCH_EN: 0
; COMPUTE_PGM_RSRC2:USER_SGPR: 6
; COMPUTE_PGM_RSRC2:TRAP_HANDLER: 0
; COMPUTE_PGM_RSRC2:TGID_X_EN: 1
; COMPUTE_PGM_RSRC2:TGID_Y_EN: 0
; COMPUTE_PGM_RSRC2:TGID_Z_EN: 0
; COMPUTE_PGM_RSRC2:TIDIG_COMP_CNT: 0
; COMPUTE_PGM_RSRC3_GFX90A:ACCUM_OFFSET: 0
; COMPUTE_PGM_RSRC3_GFX90A:TG_SPLIT: 0
	.section	.text._ZN7rocprim17ROCPRIM_400000_NS6detail17trampoline_kernelINS0_14default_configENS1_20scan_config_selectorIdEEZZNS1_9scan_implILNS1_25lookback_scan_determinismE0ELb1ELb1ES3_N6thrust23THRUST_200600_302600_NS6detail15normal_iteratorINS9_10device_ptrIdEEEENS9_16discard_iteratorINS9_11use_defaultEEEd11max_functorIdEdEEDaPvRmT3_T4_T5_mT6_P12ihipStream_tbENKUlT_T0_E_clISt17integral_constantIbLb0EESW_IbLb1EEEEDaSS_ST_EUlSS_E_NS1_11comp_targetILNS1_3genE2ELNS1_11target_archE906ELNS1_3gpuE6ELNS1_3repE0EEENS1_30default_config_static_selectorELNS0_4arch9wavefront6targetE1EEEvT1_,"axG",@progbits,_ZN7rocprim17ROCPRIM_400000_NS6detail17trampoline_kernelINS0_14default_configENS1_20scan_config_selectorIdEEZZNS1_9scan_implILNS1_25lookback_scan_determinismE0ELb1ELb1ES3_N6thrust23THRUST_200600_302600_NS6detail15normal_iteratorINS9_10device_ptrIdEEEENS9_16discard_iteratorINS9_11use_defaultEEEd11max_functorIdEdEEDaPvRmT3_T4_T5_mT6_P12ihipStream_tbENKUlT_T0_E_clISt17integral_constantIbLb0EESW_IbLb1EEEEDaSS_ST_EUlSS_E_NS1_11comp_targetILNS1_3genE2ELNS1_11target_archE906ELNS1_3gpuE6ELNS1_3repE0EEENS1_30default_config_static_selectorELNS0_4arch9wavefront6targetE1EEEvT1_,comdat
	.protected	_ZN7rocprim17ROCPRIM_400000_NS6detail17trampoline_kernelINS0_14default_configENS1_20scan_config_selectorIdEEZZNS1_9scan_implILNS1_25lookback_scan_determinismE0ELb1ELb1ES3_N6thrust23THRUST_200600_302600_NS6detail15normal_iteratorINS9_10device_ptrIdEEEENS9_16discard_iteratorINS9_11use_defaultEEEd11max_functorIdEdEEDaPvRmT3_T4_T5_mT6_P12ihipStream_tbENKUlT_T0_E_clISt17integral_constantIbLb0EESW_IbLb1EEEEDaSS_ST_EUlSS_E_NS1_11comp_targetILNS1_3genE2ELNS1_11target_archE906ELNS1_3gpuE6ELNS1_3repE0EEENS1_30default_config_static_selectorELNS0_4arch9wavefront6targetE1EEEvT1_ ; -- Begin function _ZN7rocprim17ROCPRIM_400000_NS6detail17trampoline_kernelINS0_14default_configENS1_20scan_config_selectorIdEEZZNS1_9scan_implILNS1_25lookback_scan_determinismE0ELb1ELb1ES3_N6thrust23THRUST_200600_302600_NS6detail15normal_iteratorINS9_10device_ptrIdEEEENS9_16discard_iteratorINS9_11use_defaultEEEd11max_functorIdEdEEDaPvRmT3_T4_T5_mT6_P12ihipStream_tbENKUlT_T0_E_clISt17integral_constantIbLb0EESW_IbLb1EEEEDaSS_ST_EUlSS_E_NS1_11comp_targetILNS1_3genE2ELNS1_11target_archE906ELNS1_3gpuE6ELNS1_3repE0EEENS1_30default_config_static_selectorELNS0_4arch9wavefront6targetE1EEEvT1_
	.globl	_ZN7rocprim17ROCPRIM_400000_NS6detail17trampoline_kernelINS0_14default_configENS1_20scan_config_selectorIdEEZZNS1_9scan_implILNS1_25lookback_scan_determinismE0ELb1ELb1ES3_N6thrust23THRUST_200600_302600_NS6detail15normal_iteratorINS9_10device_ptrIdEEEENS9_16discard_iteratorINS9_11use_defaultEEEd11max_functorIdEdEEDaPvRmT3_T4_T5_mT6_P12ihipStream_tbENKUlT_T0_E_clISt17integral_constantIbLb0EESW_IbLb1EEEEDaSS_ST_EUlSS_E_NS1_11comp_targetILNS1_3genE2ELNS1_11target_archE906ELNS1_3gpuE6ELNS1_3repE0EEENS1_30default_config_static_selectorELNS0_4arch9wavefront6targetE1EEEvT1_
	.p2align	8
	.type	_ZN7rocprim17ROCPRIM_400000_NS6detail17trampoline_kernelINS0_14default_configENS1_20scan_config_selectorIdEEZZNS1_9scan_implILNS1_25lookback_scan_determinismE0ELb1ELb1ES3_N6thrust23THRUST_200600_302600_NS6detail15normal_iteratorINS9_10device_ptrIdEEEENS9_16discard_iteratorINS9_11use_defaultEEEd11max_functorIdEdEEDaPvRmT3_T4_T5_mT6_P12ihipStream_tbENKUlT_T0_E_clISt17integral_constantIbLb0EESW_IbLb1EEEEDaSS_ST_EUlSS_E_NS1_11comp_targetILNS1_3genE2ELNS1_11target_archE906ELNS1_3gpuE6ELNS1_3repE0EEENS1_30default_config_static_selectorELNS0_4arch9wavefront6targetE1EEEvT1_,@function
_ZN7rocprim17ROCPRIM_400000_NS6detail17trampoline_kernelINS0_14default_configENS1_20scan_config_selectorIdEEZZNS1_9scan_implILNS1_25lookback_scan_determinismE0ELb1ELb1ES3_N6thrust23THRUST_200600_302600_NS6detail15normal_iteratorINS9_10device_ptrIdEEEENS9_16discard_iteratorINS9_11use_defaultEEEd11max_functorIdEdEEDaPvRmT3_T4_T5_mT6_P12ihipStream_tbENKUlT_T0_E_clISt17integral_constantIbLb0EESW_IbLb1EEEEDaSS_ST_EUlSS_E_NS1_11comp_targetILNS1_3genE2ELNS1_11target_archE906ELNS1_3gpuE6ELNS1_3repE0EEENS1_30default_config_static_selectorELNS0_4arch9wavefront6targetE1EEEvT1_: ; @_ZN7rocprim17ROCPRIM_400000_NS6detail17trampoline_kernelINS0_14default_configENS1_20scan_config_selectorIdEEZZNS1_9scan_implILNS1_25lookback_scan_determinismE0ELb1ELb1ES3_N6thrust23THRUST_200600_302600_NS6detail15normal_iteratorINS9_10device_ptrIdEEEENS9_16discard_iteratorINS9_11use_defaultEEEd11max_functorIdEdEEDaPvRmT3_T4_T5_mT6_P12ihipStream_tbENKUlT_T0_E_clISt17integral_constantIbLb0EESW_IbLb1EEEEDaSS_ST_EUlSS_E_NS1_11comp_targetILNS1_3genE2ELNS1_11target_archE906ELNS1_3gpuE6ELNS1_3repE0EEENS1_30default_config_static_selectorELNS0_4arch9wavefront6targetE1EEEvT1_
; %bb.0:
	.section	.rodata,"a",@progbits
	.p2align	6, 0x0
	.amdhsa_kernel _ZN7rocprim17ROCPRIM_400000_NS6detail17trampoline_kernelINS0_14default_configENS1_20scan_config_selectorIdEEZZNS1_9scan_implILNS1_25lookback_scan_determinismE0ELb1ELb1ES3_N6thrust23THRUST_200600_302600_NS6detail15normal_iteratorINS9_10device_ptrIdEEEENS9_16discard_iteratorINS9_11use_defaultEEEd11max_functorIdEdEEDaPvRmT3_T4_T5_mT6_P12ihipStream_tbENKUlT_T0_E_clISt17integral_constantIbLb0EESW_IbLb1EEEEDaSS_ST_EUlSS_E_NS1_11comp_targetILNS1_3genE2ELNS1_11target_archE906ELNS1_3gpuE6ELNS1_3repE0EEENS1_30default_config_static_selectorELNS0_4arch9wavefront6targetE1EEEvT1_
		.amdhsa_group_segment_fixed_size 0
		.amdhsa_private_segment_fixed_size 0
		.amdhsa_kernarg_size 112
		.amdhsa_user_sgpr_count 6
		.amdhsa_user_sgpr_private_segment_buffer 1
		.amdhsa_user_sgpr_dispatch_ptr 0
		.amdhsa_user_sgpr_queue_ptr 0
		.amdhsa_user_sgpr_kernarg_segment_ptr 1
		.amdhsa_user_sgpr_dispatch_id 0
		.amdhsa_user_sgpr_flat_scratch_init 0
		.amdhsa_user_sgpr_kernarg_preload_length 0
		.amdhsa_user_sgpr_kernarg_preload_offset 0
		.amdhsa_user_sgpr_private_segment_size 0
		.amdhsa_uses_dynamic_stack 0
		.amdhsa_system_sgpr_private_segment_wavefront_offset 0
		.amdhsa_system_sgpr_workgroup_id_x 1
		.amdhsa_system_sgpr_workgroup_id_y 0
		.amdhsa_system_sgpr_workgroup_id_z 0
		.amdhsa_system_sgpr_workgroup_info 0
		.amdhsa_system_vgpr_workitem_id 0
		.amdhsa_next_free_vgpr 1
		.amdhsa_next_free_sgpr 0
		.amdhsa_accum_offset 4
		.amdhsa_reserve_vcc 0
		.amdhsa_reserve_flat_scratch 0
		.amdhsa_float_round_mode_32 0
		.amdhsa_float_round_mode_16_64 0
		.amdhsa_float_denorm_mode_32 3
		.amdhsa_float_denorm_mode_16_64 3
		.amdhsa_dx10_clamp 1
		.amdhsa_ieee_mode 1
		.amdhsa_fp16_overflow 0
		.amdhsa_tg_split 0
		.amdhsa_exception_fp_ieee_invalid_op 0
		.amdhsa_exception_fp_denorm_src 0
		.amdhsa_exception_fp_ieee_div_zero 0
		.amdhsa_exception_fp_ieee_overflow 0
		.amdhsa_exception_fp_ieee_underflow 0
		.amdhsa_exception_fp_ieee_inexact 0
		.amdhsa_exception_int_div_zero 0
	.end_amdhsa_kernel
	.section	.text._ZN7rocprim17ROCPRIM_400000_NS6detail17trampoline_kernelINS0_14default_configENS1_20scan_config_selectorIdEEZZNS1_9scan_implILNS1_25lookback_scan_determinismE0ELb1ELb1ES3_N6thrust23THRUST_200600_302600_NS6detail15normal_iteratorINS9_10device_ptrIdEEEENS9_16discard_iteratorINS9_11use_defaultEEEd11max_functorIdEdEEDaPvRmT3_T4_T5_mT6_P12ihipStream_tbENKUlT_T0_E_clISt17integral_constantIbLb0EESW_IbLb1EEEEDaSS_ST_EUlSS_E_NS1_11comp_targetILNS1_3genE2ELNS1_11target_archE906ELNS1_3gpuE6ELNS1_3repE0EEENS1_30default_config_static_selectorELNS0_4arch9wavefront6targetE1EEEvT1_,"axG",@progbits,_ZN7rocprim17ROCPRIM_400000_NS6detail17trampoline_kernelINS0_14default_configENS1_20scan_config_selectorIdEEZZNS1_9scan_implILNS1_25lookback_scan_determinismE0ELb1ELb1ES3_N6thrust23THRUST_200600_302600_NS6detail15normal_iteratorINS9_10device_ptrIdEEEENS9_16discard_iteratorINS9_11use_defaultEEEd11max_functorIdEdEEDaPvRmT3_T4_T5_mT6_P12ihipStream_tbENKUlT_T0_E_clISt17integral_constantIbLb0EESW_IbLb1EEEEDaSS_ST_EUlSS_E_NS1_11comp_targetILNS1_3genE2ELNS1_11target_archE906ELNS1_3gpuE6ELNS1_3repE0EEENS1_30default_config_static_selectorELNS0_4arch9wavefront6targetE1EEEvT1_,comdat
.Lfunc_end3120:
	.size	_ZN7rocprim17ROCPRIM_400000_NS6detail17trampoline_kernelINS0_14default_configENS1_20scan_config_selectorIdEEZZNS1_9scan_implILNS1_25lookback_scan_determinismE0ELb1ELb1ES3_N6thrust23THRUST_200600_302600_NS6detail15normal_iteratorINS9_10device_ptrIdEEEENS9_16discard_iteratorINS9_11use_defaultEEEd11max_functorIdEdEEDaPvRmT3_T4_T5_mT6_P12ihipStream_tbENKUlT_T0_E_clISt17integral_constantIbLb0EESW_IbLb1EEEEDaSS_ST_EUlSS_E_NS1_11comp_targetILNS1_3genE2ELNS1_11target_archE906ELNS1_3gpuE6ELNS1_3repE0EEENS1_30default_config_static_selectorELNS0_4arch9wavefront6targetE1EEEvT1_, .Lfunc_end3120-_ZN7rocprim17ROCPRIM_400000_NS6detail17trampoline_kernelINS0_14default_configENS1_20scan_config_selectorIdEEZZNS1_9scan_implILNS1_25lookback_scan_determinismE0ELb1ELb1ES3_N6thrust23THRUST_200600_302600_NS6detail15normal_iteratorINS9_10device_ptrIdEEEENS9_16discard_iteratorINS9_11use_defaultEEEd11max_functorIdEdEEDaPvRmT3_T4_T5_mT6_P12ihipStream_tbENKUlT_T0_E_clISt17integral_constantIbLb0EESW_IbLb1EEEEDaSS_ST_EUlSS_E_NS1_11comp_targetILNS1_3genE2ELNS1_11target_archE906ELNS1_3gpuE6ELNS1_3repE0EEENS1_30default_config_static_selectorELNS0_4arch9wavefront6targetE1EEEvT1_
                                        ; -- End function
	.section	.AMDGPU.csdata,"",@progbits
; Kernel info:
; codeLenInByte = 0
; NumSgprs: 4
; NumVgprs: 0
; NumAgprs: 0
; TotalNumVgprs: 0
; ScratchSize: 0
; MemoryBound: 0
; FloatMode: 240
; IeeeMode: 1
; LDSByteSize: 0 bytes/workgroup (compile time only)
; SGPRBlocks: 0
; VGPRBlocks: 0
; NumSGPRsForWavesPerEU: 4
; NumVGPRsForWavesPerEU: 1
; AccumOffset: 4
; Occupancy: 8
; WaveLimiterHint : 0
; COMPUTE_PGM_RSRC2:SCRATCH_EN: 0
; COMPUTE_PGM_RSRC2:USER_SGPR: 6
; COMPUTE_PGM_RSRC2:TRAP_HANDLER: 0
; COMPUTE_PGM_RSRC2:TGID_X_EN: 1
; COMPUTE_PGM_RSRC2:TGID_Y_EN: 0
; COMPUTE_PGM_RSRC2:TGID_Z_EN: 0
; COMPUTE_PGM_RSRC2:TIDIG_COMP_CNT: 0
; COMPUTE_PGM_RSRC3_GFX90A:ACCUM_OFFSET: 0
; COMPUTE_PGM_RSRC3_GFX90A:TG_SPLIT: 0
	.section	.text._ZN7rocprim17ROCPRIM_400000_NS6detail17trampoline_kernelINS0_14default_configENS1_20scan_config_selectorIdEEZZNS1_9scan_implILNS1_25lookback_scan_determinismE0ELb1ELb1ES3_N6thrust23THRUST_200600_302600_NS6detail15normal_iteratorINS9_10device_ptrIdEEEENS9_16discard_iteratorINS9_11use_defaultEEEd11max_functorIdEdEEDaPvRmT3_T4_T5_mT6_P12ihipStream_tbENKUlT_T0_E_clISt17integral_constantIbLb0EESW_IbLb1EEEEDaSS_ST_EUlSS_E_NS1_11comp_targetILNS1_3genE10ELNS1_11target_archE1201ELNS1_3gpuE5ELNS1_3repE0EEENS1_30default_config_static_selectorELNS0_4arch9wavefront6targetE1EEEvT1_,"axG",@progbits,_ZN7rocprim17ROCPRIM_400000_NS6detail17trampoline_kernelINS0_14default_configENS1_20scan_config_selectorIdEEZZNS1_9scan_implILNS1_25lookback_scan_determinismE0ELb1ELb1ES3_N6thrust23THRUST_200600_302600_NS6detail15normal_iteratorINS9_10device_ptrIdEEEENS9_16discard_iteratorINS9_11use_defaultEEEd11max_functorIdEdEEDaPvRmT3_T4_T5_mT6_P12ihipStream_tbENKUlT_T0_E_clISt17integral_constantIbLb0EESW_IbLb1EEEEDaSS_ST_EUlSS_E_NS1_11comp_targetILNS1_3genE10ELNS1_11target_archE1201ELNS1_3gpuE5ELNS1_3repE0EEENS1_30default_config_static_selectorELNS0_4arch9wavefront6targetE1EEEvT1_,comdat
	.protected	_ZN7rocprim17ROCPRIM_400000_NS6detail17trampoline_kernelINS0_14default_configENS1_20scan_config_selectorIdEEZZNS1_9scan_implILNS1_25lookback_scan_determinismE0ELb1ELb1ES3_N6thrust23THRUST_200600_302600_NS6detail15normal_iteratorINS9_10device_ptrIdEEEENS9_16discard_iteratorINS9_11use_defaultEEEd11max_functorIdEdEEDaPvRmT3_T4_T5_mT6_P12ihipStream_tbENKUlT_T0_E_clISt17integral_constantIbLb0EESW_IbLb1EEEEDaSS_ST_EUlSS_E_NS1_11comp_targetILNS1_3genE10ELNS1_11target_archE1201ELNS1_3gpuE5ELNS1_3repE0EEENS1_30default_config_static_selectorELNS0_4arch9wavefront6targetE1EEEvT1_ ; -- Begin function _ZN7rocprim17ROCPRIM_400000_NS6detail17trampoline_kernelINS0_14default_configENS1_20scan_config_selectorIdEEZZNS1_9scan_implILNS1_25lookback_scan_determinismE0ELb1ELb1ES3_N6thrust23THRUST_200600_302600_NS6detail15normal_iteratorINS9_10device_ptrIdEEEENS9_16discard_iteratorINS9_11use_defaultEEEd11max_functorIdEdEEDaPvRmT3_T4_T5_mT6_P12ihipStream_tbENKUlT_T0_E_clISt17integral_constantIbLb0EESW_IbLb1EEEEDaSS_ST_EUlSS_E_NS1_11comp_targetILNS1_3genE10ELNS1_11target_archE1201ELNS1_3gpuE5ELNS1_3repE0EEENS1_30default_config_static_selectorELNS0_4arch9wavefront6targetE1EEEvT1_
	.globl	_ZN7rocprim17ROCPRIM_400000_NS6detail17trampoline_kernelINS0_14default_configENS1_20scan_config_selectorIdEEZZNS1_9scan_implILNS1_25lookback_scan_determinismE0ELb1ELb1ES3_N6thrust23THRUST_200600_302600_NS6detail15normal_iteratorINS9_10device_ptrIdEEEENS9_16discard_iteratorINS9_11use_defaultEEEd11max_functorIdEdEEDaPvRmT3_T4_T5_mT6_P12ihipStream_tbENKUlT_T0_E_clISt17integral_constantIbLb0EESW_IbLb1EEEEDaSS_ST_EUlSS_E_NS1_11comp_targetILNS1_3genE10ELNS1_11target_archE1201ELNS1_3gpuE5ELNS1_3repE0EEENS1_30default_config_static_selectorELNS0_4arch9wavefront6targetE1EEEvT1_
	.p2align	8
	.type	_ZN7rocprim17ROCPRIM_400000_NS6detail17trampoline_kernelINS0_14default_configENS1_20scan_config_selectorIdEEZZNS1_9scan_implILNS1_25lookback_scan_determinismE0ELb1ELb1ES3_N6thrust23THRUST_200600_302600_NS6detail15normal_iteratorINS9_10device_ptrIdEEEENS9_16discard_iteratorINS9_11use_defaultEEEd11max_functorIdEdEEDaPvRmT3_T4_T5_mT6_P12ihipStream_tbENKUlT_T0_E_clISt17integral_constantIbLb0EESW_IbLb1EEEEDaSS_ST_EUlSS_E_NS1_11comp_targetILNS1_3genE10ELNS1_11target_archE1201ELNS1_3gpuE5ELNS1_3repE0EEENS1_30default_config_static_selectorELNS0_4arch9wavefront6targetE1EEEvT1_,@function
_ZN7rocprim17ROCPRIM_400000_NS6detail17trampoline_kernelINS0_14default_configENS1_20scan_config_selectorIdEEZZNS1_9scan_implILNS1_25lookback_scan_determinismE0ELb1ELb1ES3_N6thrust23THRUST_200600_302600_NS6detail15normal_iteratorINS9_10device_ptrIdEEEENS9_16discard_iteratorINS9_11use_defaultEEEd11max_functorIdEdEEDaPvRmT3_T4_T5_mT6_P12ihipStream_tbENKUlT_T0_E_clISt17integral_constantIbLb0EESW_IbLb1EEEEDaSS_ST_EUlSS_E_NS1_11comp_targetILNS1_3genE10ELNS1_11target_archE1201ELNS1_3gpuE5ELNS1_3repE0EEENS1_30default_config_static_selectorELNS0_4arch9wavefront6targetE1EEEvT1_: ; @_ZN7rocprim17ROCPRIM_400000_NS6detail17trampoline_kernelINS0_14default_configENS1_20scan_config_selectorIdEEZZNS1_9scan_implILNS1_25lookback_scan_determinismE0ELb1ELb1ES3_N6thrust23THRUST_200600_302600_NS6detail15normal_iteratorINS9_10device_ptrIdEEEENS9_16discard_iteratorINS9_11use_defaultEEEd11max_functorIdEdEEDaPvRmT3_T4_T5_mT6_P12ihipStream_tbENKUlT_T0_E_clISt17integral_constantIbLb0EESW_IbLb1EEEEDaSS_ST_EUlSS_E_NS1_11comp_targetILNS1_3genE10ELNS1_11target_archE1201ELNS1_3gpuE5ELNS1_3repE0EEENS1_30default_config_static_selectorELNS0_4arch9wavefront6targetE1EEEvT1_
; %bb.0:
	.section	.rodata,"a",@progbits
	.p2align	6, 0x0
	.amdhsa_kernel _ZN7rocprim17ROCPRIM_400000_NS6detail17trampoline_kernelINS0_14default_configENS1_20scan_config_selectorIdEEZZNS1_9scan_implILNS1_25lookback_scan_determinismE0ELb1ELb1ES3_N6thrust23THRUST_200600_302600_NS6detail15normal_iteratorINS9_10device_ptrIdEEEENS9_16discard_iteratorINS9_11use_defaultEEEd11max_functorIdEdEEDaPvRmT3_T4_T5_mT6_P12ihipStream_tbENKUlT_T0_E_clISt17integral_constantIbLb0EESW_IbLb1EEEEDaSS_ST_EUlSS_E_NS1_11comp_targetILNS1_3genE10ELNS1_11target_archE1201ELNS1_3gpuE5ELNS1_3repE0EEENS1_30default_config_static_selectorELNS0_4arch9wavefront6targetE1EEEvT1_
		.amdhsa_group_segment_fixed_size 0
		.amdhsa_private_segment_fixed_size 0
		.amdhsa_kernarg_size 112
		.amdhsa_user_sgpr_count 6
		.amdhsa_user_sgpr_private_segment_buffer 1
		.amdhsa_user_sgpr_dispatch_ptr 0
		.amdhsa_user_sgpr_queue_ptr 0
		.amdhsa_user_sgpr_kernarg_segment_ptr 1
		.amdhsa_user_sgpr_dispatch_id 0
		.amdhsa_user_sgpr_flat_scratch_init 0
		.amdhsa_user_sgpr_kernarg_preload_length 0
		.amdhsa_user_sgpr_kernarg_preload_offset 0
		.amdhsa_user_sgpr_private_segment_size 0
		.amdhsa_uses_dynamic_stack 0
		.amdhsa_system_sgpr_private_segment_wavefront_offset 0
		.amdhsa_system_sgpr_workgroup_id_x 1
		.amdhsa_system_sgpr_workgroup_id_y 0
		.amdhsa_system_sgpr_workgroup_id_z 0
		.amdhsa_system_sgpr_workgroup_info 0
		.amdhsa_system_vgpr_workitem_id 0
		.amdhsa_next_free_vgpr 1
		.amdhsa_next_free_sgpr 0
		.amdhsa_accum_offset 4
		.amdhsa_reserve_vcc 0
		.amdhsa_reserve_flat_scratch 0
		.amdhsa_float_round_mode_32 0
		.amdhsa_float_round_mode_16_64 0
		.amdhsa_float_denorm_mode_32 3
		.amdhsa_float_denorm_mode_16_64 3
		.amdhsa_dx10_clamp 1
		.amdhsa_ieee_mode 1
		.amdhsa_fp16_overflow 0
		.amdhsa_tg_split 0
		.amdhsa_exception_fp_ieee_invalid_op 0
		.amdhsa_exception_fp_denorm_src 0
		.amdhsa_exception_fp_ieee_div_zero 0
		.amdhsa_exception_fp_ieee_overflow 0
		.amdhsa_exception_fp_ieee_underflow 0
		.amdhsa_exception_fp_ieee_inexact 0
		.amdhsa_exception_int_div_zero 0
	.end_amdhsa_kernel
	.section	.text._ZN7rocprim17ROCPRIM_400000_NS6detail17trampoline_kernelINS0_14default_configENS1_20scan_config_selectorIdEEZZNS1_9scan_implILNS1_25lookback_scan_determinismE0ELb1ELb1ES3_N6thrust23THRUST_200600_302600_NS6detail15normal_iteratorINS9_10device_ptrIdEEEENS9_16discard_iteratorINS9_11use_defaultEEEd11max_functorIdEdEEDaPvRmT3_T4_T5_mT6_P12ihipStream_tbENKUlT_T0_E_clISt17integral_constantIbLb0EESW_IbLb1EEEEDaSS_ST_EUlSS_E_NS1_11comp_targetILNS1_3genE10ELNS1_11target_archE1201ELNS1_3gpuE5ELNS1_3repE0EEENS1_30default_config_static_selectorELNS0_4arch9wavefront6targetE1EEEvT1_,"axG",@progbits,_ZN7rocprim17ROCPRIM_400000_NS6detail17trampoline_kernelINS0_14default_configENS1_20scan_config_selectorIdEEZZNS1_9scan_implILNS1_25lookback_scan_determinismE0ELb1ELb1ES3_N6thrust23THRUST_200600_302600_NS6detail15normal_iteratorINS9_10device_ptrIdEEEENS9_16discard_iteratorINS9_11use_defaultEEEd11max_functorIdEdEEDaPvRmT3_T4_T5_mT6_P12ihipStream_tbENKUlT_T0_E_clISt17integral_constantIbLb0EESW_IbLb1EEEEDaSS_ST_EUlSS_E_NS1_11comp_targetILNS1_3genE10ELNS1_11target_archE1201ELNS1_3gpuE5ELNS1_3repE0EEENS1_30default_config_static_selectorELNS0_4arch9wavefront6targetE1EEEvT1_,comdat
.Lfunc_end3121:
	.size	_ZN7rocprim17ROCPRIM_400000_NS6detail17trampoline_kernelINS0_14default_configENS1_20scan_config_selectorIdEEZZNS1_9scan_implILNS1_25lookback_scan_determinismE0ELb1ELb1ES3_N6thrust23THRUST_200600_302600_NS6detail15normal_iteratorINS9_10device_ptrIdEEEENS9_16discard_iteratorINS9_11use_defaultEEEd11max_functorIdEdEEDaPvRmT3_T4_T5_mT6_P12ihipStream_tbENKUlT_T0_E_clISt17integral_constantIbLb0EESW_IbLb1EEEEDaSS_ST_EUlSS_E_NS1_11comp_targetILNS1_3genE10ELNS1_11target_archE1201ELNS1_3gpuE5ELNS1_3repE0EEENS1_30default_config_static_selectorELNS0_4arch9wavefront6targetE1EEEvT1_, .Lfunc_end3121-_ZN7rocprim17ROCPRIM_400000_NS6detail17trampoline_kernelINS0_14default_configENS1_20scan_config_selectorIdEEZZNS1_9scan_implILNS1_25lookback_scan_determinismE0ELb1ELb1ES3_N6thrust23THRUST_200600_302600_NS6detail15normal_iteratorINS9_10device_ptrIdEEEENS9_16discard_iteratorINS9_11use_defaultEEEd11max_functorIdEdEEDaPvRmT3_T4_T5_mT6_P12ihipStream_tbENKUlT_T0_E_clISt17integral_constantIbLb0EESW_IbLb1EEEEDaSS_ST_EUlSS_E_NS1_11comp_targetILNS1_3genE10ELNS1_11target_archE1201ELNS1_3gpuE5ELNS1_3repE0EEENS1_30default_config_static_selectorELNS0_4arch9wavefront6targetE1EEEvT1_
                                        ; -- End function
	.section	.AMDGPU.csdata,"",@progbits
; Kernel info:
; codeLenInByte = 0
; NumSgprs: 4
; NumVgprs: 0
; NumAgprs: 0
; TotalNumVgprs: 0
; ScratchSize: 0
; MemoryBound: 0
; FloatMode: 240
; IeeeMode: 1
; LDSByteSize: 0 bytes/workgroup (compile time only)
; SGPRBlocks: 0
; VGPRBlocks: 0
; NumSGPRsForWavesPerEU: 4
; NumVGPRsForWavesPerEU: 1
; AccumOffset: 4
; Occupancy: 8
; WaveLimiterHint : 0
; COMPUTE_PGM_RSRC2:SCRATCH_EN: 0
; COMPUTE_PGM_RSRC2:USER_SGPR: 6
; COMPUTE_PGM_RSRC2:TRAP_HANDLER: 0
; COMPUTE_PGM_RSRC2:TGID_X_EN: 1
; COMPUTE_PGM_RSRC2:TGID_Y_EN: 0
; COMPUTE_PGM_RSRC2:TGID_Z_EN: 0
; COMPUTE_PGM_RSRC2:TIDIG_COMP_CNT: 0
; COMPUTE_PGM_RSRC3_GFX90A:ACCUM_OFFSET: 0
; COMPUTE_PGM_RSRC3_GFX90A:TG_SPLIT: 0
	.section	.text._ZN7rocprim17ROCPRIM_400000_NS6detail17trampoline_kernelINS0_14default_configENS1_20scan_config_selectorIdEEZZNS1_9scan_implILNS1_25lookback_scan_determinismE0ELb1ELb1ES3_N6thrust23THRUST_200600_302600_NS6detail15normal_iteratorINS9_10device_ptrIdEEEENS9_16discard_iteratorINS9_11use_defaultEEEd11max_functorIdEdEEDaPvRmT3_T4_T5_mT6_P12ihipStream_tbENKUlT_T0_E_clISt17integral_constantIbLb0EESW_IbLb1EEEEDaSS_ST_EUlSS_E_NS1_11comp_targetILNS1_3genE10ELNS1_11target_archE1200ELNS1_3gpuE4ELNS1_3repE0EEENS1_30default_config_static_selectorELNS0_4arch9wavefront6targetE1EEEvT1_,"axG",@progbits,_ZN7rocprim17ROCPRIM_400000_NS6detail17trampoline_kernelINS0_14default_configENS1_20scan_config_selectorIdEEZZNS1_9scan_implILNS1_25lookback_scan_determinismE0ELb1ELb1ES3_N6thrust23THRUST_200600_302600_NS6detail15normal_iteratorINS9_10device_ptrIdEEEENS9_16discard_iteratorINS9_11use_defaultEEEd11max_functorIdEdEEDaPvRmT3_T4_T5_mT6_P12ihipStream_tbENKUlT_T0_E_clISt17integral_constantIbLb0EESW_IbLb1EEEEDaSS_ST_EUlSS_E_NS1_11comp_targetILNS1_3genE10ELNS1_11target_archE1200ELNS1_3gpuE4ELNS1_3repE0EEENS1_30default_config_static_selectorELNS0_4arch9wavefront6targetE1EEEvT1_,comdat
	.protected	_ZN7rocprim17ROCPRIM_400000_NS6detail17trampoline_kernelINS0_14default_configENS1_20scan_config_selectorIdEEZZNS1_9scan_implILNS1_25lookback_scan_determinismE0ELb1ELb1ES3_N6thrust23THRUST_200600_302600_NS6detail15normal_iteratorINS9_10device_ptrIdEEEENS9_16discard_iteratorINS9_11use_defaultEEEd11max_functorIdEdEEDaPvRmT3_T4_T5_mT6_P12ihipStream_tbENKUlT_T0_E_clISt17integral_constantIbLb0EESW_IbLb1EEEEDaSS_ST_EUlSS_E_NS1_11comp_targetILNS1_3genE10ELNS1_11target_archE1200ELNS1_3gpuE4ELNS1_3repE0EEENS1_30default_config_static_selectorELNS0_4arch9wavefront6targetE1EEEvT1_ ; -- Begin function _ZN7rocprim17ROCPRIM_400000_NS6detail17trampoline_kernelINS0_14default_configENS1_20scan_config_selectorIdEEZZNS1_9scan_implILNS1_25lookback_scan_determinismE0ELb1ELb1ES3_N6thrust23THRUST_200600_302600_NS6detail15normal_iteratorINS9_10device_ptrIdEEEENS9_16discard_iteratorINS9_11use_defaultEEEd11max_functorIdEdEEDaPvRmT3_T4_T5_mT6_P12ihipStream_tbENKUlT_T0_E_clISt17integral_constantIbLb0EESW_IbLb1EEEEDaSS_ST_EUlSS_E_NS1_11comp_targetILNS1_3genE10ELNS1_11target_archE1200ELNS1_3gpuE4ELNS1_3repE0EEENS1_30default_config_static_selectorELNS0_4arch9wavefront6targetE1EEEvT1_
	.globl	_ZN7rocprim17ROCPRIM_400000_NS6detail17trampoline_kernelINS0_14default_configENS1_20scan_config_selectorIdEEZZNS1_9scan_implILNS1_25lookback_scan_determinismE0ELb1ELb1ES3_N6thrust23THRUST_200600_302600_NS6detail15normal_iteratorINS9_10device_ptrIdEEEENS9_16discard_iteratorINS9_11use_defaultEEEd11max_functorIdEdEEDaPvRmT3_T4_T5_mT6_P12ihipStream_tbENKUlT_T0_E_clISt17integral_constantIbLb0EESW_IbLb1EEEEDaSS_ST_EUlSS_E_NS1_11comp_targetILNS1_3genE10ELNS1_11target_archE1200ELNS1_3gpuE4ELNS1_3repE0EEENS1_30default_config_static_selectorELNS0_4arch9wavefront6targetE1EEEvT1_
	.p2align	8
	.type	_ZN7rocprim17ROCPRIM_400000_NS6detail17trampoline_kernelINS0_14default_configENS1_20scan_config_selectorIdEEZZNS1_9scan_implILNS1_25lookback_scan_determinismE0ELb1ELb1ES3_N6thrust23THRUST_200600_302600_NS6detail15normal_iteratorINS9_10device_ptrIdEEEENS9_16discard_iteratorINS9_11use_defaultEEEd11max_functorIdEdEEDaPvRmT3_T4_T5_mT6_P12ihipStream_tbENKUlT_T0_E_clISt17integral_constantIbLb0EESW_IbLb1EEEEDaSS_ST_EUlSS_E_NS1_11comp_targetILNS1_3genE10ELNS1_11target_archE1200ELNS1_3gpuE4ELNS1_3repE0EEENS1_30default_config_static_selectorELNS0_4arch9wavefront6targetE1EEEvT1_,@function
_ZN7rocprim17ROCPRIM_400000_NS6detail17trampoline_kernelINS0_14default_configENS1_20scan_config_selectorIdEEZZNS1_9scan_implILNS1_25lookback_scan_determinismE0ELb1ELb1ES3_N6thrust23THRUST_200600_302600_NS6detail15normal_iteratorINS9_10device_ptrIdEEEENS9_16discard_iteratorINS9_11use_defaultEEEd11max_functorIdEdEEDaPvRmT3_T4_T5_mT6_P12ihipStream_tbENKUlT_T0_E_clISt17integral_constantIbLb0EESW_IbLb1EEEEDaSS_ST_EUlSS_E_NS1_11comp_targetILNS1_3genE10ELNS1_11target_archE1200ELNS1_3gpuE4ELNS1_3repE0EEENS1_30default_config_static_selectorELNS0_4arch9wavefront6targetE1EEEvT1_: ; @_ZN7rocprim17ROCPRIM_400000_NS6detail17trampoline_kernelINS0_14default_configENS1_20scan_config_selectorIdEEZZNS1_9scan_implILNS1_25lookback_scan_determinismE0ELb1ELb1ES3_N6thrust23THRUST_200600_302600_NS6detail15normal_iteratorINS9_10device_ptrIdEEEENS9_16discard_iteratorINS9_11use_defaultEEEd11max_functorIdEdEEDaPvRmT3_T4_T5_mT6_P12ihipStream_tbENKUlT_T0_E_clISt17integral_constantIbLb0EESW_IbLb1EEEEDaSS_ST_EUlSS_E_NS1_11comp_targetILNS1_3genE10ELNS1_11target_archE1200ELNS1_3gpuE4ELNS1_3repE0EEENS1_30default_config_static_selectorELNS0_4arch9wavefront6targetE1EEEvT1_
; %bb.0:
	.section	.rodata,"a",@progbits
	.p2align	6, 0x0
	.amdhsa_kernel _ZN7rocprim17ROCPRIM_400000_NS6detail17trampoline_kernelINS0_14default_configENS1_20scan_config_selectorIdEEZZNS1_9scan_implILNS1_25lookback_scan_determinismE0ELb1ELb1ES3_N6thrust23THRUST_200600_302600_NS6detail15normal_iteratorINS9_10device_ptrIdEEEENS9_16discard_iteratorINS9_11use_defaultEEEd11max_functorIdEdEEDaPvRmT3_T4_T5_mT6_P12ihipStream_tbENKUlT_T0_E_clISt17integral_constantIbLb0EESW_IbLb1EEEEDaSS_ST_EUlSS_E_NS1_11comp_targetILNS1_3genE10ELNS1_11target_archE1200ELNS1_3gpuE4ELNS1_3repE0EEENS1_30default_config_static_selectorELNS0_4arch9wavefront6targetE1EEEvT1_
		.amdhsa_group_segment_fixed_size 0
		.amdhsa_private_segment_fixed_size 0
		.amdhsa_kernarg_size 112
		.amdhsa_user_sgpr_count 6
		.amdhsa_user_sgpr_private_segment_buffer 1
		.amdhsa_user_sgpr_dispatch_ptr 0
		.amdhsa_user_sgpr_queue_ptr 0
		.amdhsa_user_sgpr_kernarg_segment_ptr 1
		.amdhsa_user_sgpr_dispatch_id 0
		.amdhsa_user_sgpr_flat_scratch_init 0
		.amdhsa_user_sgpr_kernarg_preload_length 0
		.amdhsa_user_sgpr_kernarg_preload_offset 0
		.amdhsa_user_sgpr_private_segment_size 0
		.amdhsa_uses_dynamic_stack 0
		.amdhsa_system_sgpr_private_segment_wavefront_offset 0
		.amdhsa_system_sgpr_workgroup_id_x 1
		.amdhsa_system_sgpr_workgroup_id_y 0
		.amdhsa_system_sgpr_workgroup_id_z 0
		.amdhsa_system_sgpr_workgroup_info 0
		.amdhsa_system_vgpr_workitem_id 0
		.amdhsa_next_free_vgpr 1
		.amdhsa_next_free_sgpr 0
		.amdhsa_accum_offset 4
		.amdhsa_reserve_vcc 0
		.amdhsa_reserve_flat_scratch 0
		.amdhsa_float_round_mode_32 0
		.amdhsa_float_round_mode_16_64 0
		.amdhsa_float_denorm_mode_32 3
		.amdhsa_float_denorm_mode_16_64 3
		.amdhsa_dx10_clamp 1
		.amdhsa_ieee_mode 1
		.amdhsa_fp16_overflow 0
		.amdhsa_tg_split 0
		.amdhsa_exception_fp_ieee_invalid_op 0
		.amdhsa_exception_fp_denorm_src 0
		.amdhsa_exception_fp_ieee_div_zero 0
		.amdhsa_exception_fp_ieee_overflow 0
		.amdhsa_exception_fp_ieee_underflow 0
		.amdhsa_exception_fp_ieee_inexact 0
		.amdhsa_exception_int_div_zero 0
	.end_amdhsa_kernel
	.section	.text._ZN7rocprim17ROCPRIM_400000_NS6detail17trampoline_kernelINS0_14default_configENS1_20scan_config_selectorIdEEZZNS1_9scan_implILNS1_25lookback_scan_determinismE0ELb1ELb1ES3_N6thrust23THRUST_200600_302600_NS6detail15normal_iteratorINS9_10device_ptrIdEEEENS9_16discard_iteratorINS9_11use_defaultEEEd11max_functorIdEdEEDaPvRmT3_T4_T5_mT6_P12ihipStream_tbENKUlT_T0_E_clISt17integral_constantIbLb0EESW_IbLb1EEEEDaSS_ST_EUlSS_E_NS1_11comp_targetILNS1_3genE10ELNS1_11target_archE1200ELNS1_3gpuE4ELNS1_3repE0EEENS1_30default_config_static_selectorELNS0_4arch9wavefront6targetE1EEEvT1_,"axG",@progbits,_ZN7rocprim17ROCPRIM_400000_NS6detail17trampoline_kernelINS0_14default_configENS1_20scan_config_selectorIdEEZZNS1_9scan_implILNS1_25lookback_scan_determinismE0ELb1ELb1ES3_N6thrust23THRUST_200600_302600_NS6detail15normal_iteratorINS9_10device_ptrIdEEEENS9_16discard_iteratorINS9_11use_defaultEEEd11max_functorIdEdEEDaPvRmT3_T4_T5_mT6_P12ihipStream_tbENKUlT_T0_E_clISt17integral_constantIbLb0EESW_IbLb1EEEEDaSS_ST_EUlSS_E_NS1_11comp_targetILNS1_3genE10ELNS1_11target_archE1200ELNS1_3gpuE4ELNS1_3repE0EEENS1_30default_config_static_selectorELNS0_4arch9wavefront6targetE1EEEvT1_,comdat
.Lfunc_end3122:
	.size	_ZN7rocprim17ROCPRIM_400000_NS6detail17trampoline_kernelINS0_14default_configENS1_20scan_config_selectorIdEEZZNS1_9scan_implILNS1_25lookback_scan_determinismE0ELb1ELb1ES3_N6thrust23THRUST_200600_302600_NS6detail15normal_iteratorINS9_10device_ptrIdEEEENS9_16discard_iteratorINS9_11use_defaultEEEd11max_functorIdEdEEDaPvRmT3_T4_T5_mT6_P12ihipStream_tbENKUlT_T0_E_clISt17integral_constantIbLb0EESW_IbLb1EEEEDaSS_ST_EUlSS_E_NS1_11comp_targetILNS1_3genE10ELNS1_11target_archE1200ELNS1_3gpuE4ELNS1_3repE0EEENS1_30default_config_static_selectorELNS0_4arch9wavefront6targetE1EEEvT1_, .Lfunc_end3122-_ZN7rocprim17ROCPRIM_400000_NS6detail17trampoline_kernelINS0_14default_configENS1_20scan_config_selectorIdEEZZNS1_9scan_implILNS1_25lookback_scan_determinismE0ELb1ELb1ES3_N6thrust23THRUST_200600_302600_NS6detail15normal_iteratorINS9_10device_ptrIdEEEENS9_16discard_iteratorINS9_11use_defaultEEEd11max_functorIdEdEEDaPvRmT3_T4_T5_mT6_P12ihipStream_tbENKUlT_T0_E_clISt17integral_constantIbLb0EESW_IbLb1EEEEDaSS_ST_EUlSS_E_NS1_11comp_targetILNS1_3genE10ELNS1_11target_archE1200ELNS1_3gpuE4ELNS1_3repE0EEENS1_30default_config_static_selectorELNS0_4arch9wavefront6targetE1EEEvT1_
                                        ; -- End function
	.section	.AMDGPU.csdata,"",@progbits
; Kernel info:
; codeLenInByte = 0
; NumSgprs: 4
; NumVgprs: 0
; NumAgprs: 0
; TotalNumVgprs: 0
; ScratchSize: 0
; MemoryBound: 0
; FloatMode: 240
; IeeeMode: 1
; LDSByteSize: 0 bytes/workgroup (compile time only)
; SGPRBlocks: 0
; VGPRBlocks: 0
; NumSGPRsForWavesPerEU: 4
; NumVGPRsForWavesPerEU: 1
; AccumOffset: 4
; Occupancy: 8
; WaveLimiterHint : 0
; COMPUTE_PGM_RSRC2:SCRATCH_EN: 0
; COMPUTE_PGM_RSRC2:USER_SGPR: 6
; COMPUTE_PGM_RSRC2:TRAP_HANDLER: 0
; COMPUTE_PGM_RSRC2:TGID_X_EN: 1
; COMPUTE_PGM_RSRC2:TGID_Y_EN: 0
; COMPUTE_PGM_RSRC2:TGID_Z_EN: 0
; COMPUTE_PGM_RSRC2:TIDIG_COMP_CNT: 0
; COMPUTE_PGM_RSRC3_GFX90A:ACCUM_OFFSET: 0
; COMPUTE_PGM_RSRC3_GFX90A:TG_SPLIT: 0
	.section	.text._ZN7rocprim17ROCPRIM_400000_NS6detail17trampoline_kernelINS0_14default_configENS1_20scan_config_selectorIdEEZZNS1_9scan_implILNS1_25lookback_scan_determinismE0ELb1ELb1ES3_N6thrust23THRUST_200600_302600_NS6detail15normal_iteratorINS9_10device_ptrIdEEEENS9_16discard_iteratorINS9_11use_defaultEEEd11max_functorIdEdEEDaPvRmT3_T4_T5_mT6_P12ihipStream_tbENKUlT_T0_E_clISt17integral_constantIbLb0EESW_IbLb1EEEEDaSS_ST_EUlSS_E_NS1_11comp_targetILNS1_3genE9ELNS1_11target_archE1100ELNS1_3gpuE3ELNS1_3repE0EEENS1_30default_config_static_selectorELNS0_4arch9wavefront6targetE1EEEvT1_,"axG",@progbits,_ZN7rocprim17ROCPRIM_400000_NS6detail17trampoline_kernelINS0_14default_configENS1_20scan_config_selectorIdEEZZNS1_9scan_implILNS1_25lookback_scan_determinismE0ELb1ELb1ES3_N6thrust23THRUST_200600_302600_NS6detail15normal_iteratorINS9_10device_ptrIdEEEENS9_16discard_iteratorINS9_11use_defaultEEEd11max_functorIdEdEEDaPvRmT3_T4_T5_mT6_P12ihipStream_tbENKUlT_T0_E_clISt17integral_constantIbLb0EESW_IbLb1EEEEDaSS_ST_EUlSS_E_NS1_11comp_targetILNS1_3genE9ELNS1_11target_archE1100ELNS1_3gpuE3ELNS1_3repE0EEENS1_30default_config_static_selectorELNS0_4arch9wavefront6targetE1EEEvT1_,comdat
	.protected	_ZN7rocprim17ROCPRIM_400000_NS6detail17trampoline_kernelINS0_14default_configENS1_20scan_config_selectorIdEEZZNS1_9scan_implILNS1_25lookback_scan_determinismE0ELb1ELb1ES3_N6thrust23THRUST_200600_302600_NS6detail15normal_iteratorINS9_10device_ptrIdEEEENS9_16discard_iteratorINS9_11use_defaultEEEd11max_functorIdEdEEDaPvRmT3_T4_T5_mT6_P12ihipStream_tbENKUlT_T0_E_clISt17integral_constantIbLb0EESW_IbLb1EEEEDaSS_ST_EUlSS_E_NS1_11comp_targetILNS1_3genE9ELNS1_11target_archE1100ELNS1_3gpuE3ELNS1_3repE0EEENS1_30default_config_static_selectorELNS0_4arch9wavefront6targetE1EEEvT1_ ; -- Begin function _ZN7rocprim17ROCPRIM_400000_NS6detail17trampoline_kernelINS0_14default_configENS1_20scan_config_selectorIdEEZZNS1_9scan_implILNS1_25lookback_scan_determinismE0ELb1ELb1ES3_N6thrust23THRUST_200600_302600_NS6detail15normal_iteratorINS9_10device_ptrIdEEEENS9_16discard_iteratorINS9_11use_defaultEEEd11max_functorIdEdEEDaPvRmT3_T4_T5_mT6_P12ihipStream_tbENKUlT_T0_E_clISt17integral_constantIbLb0EESW_IbLb1EEEEDaSS_ST_EUlSS_E_NS1_11comp_targetILNS1_3genE9ELNS1_11target_archE1100ELNS1_3gpuE3ELNS1_3repE0EEENS1_30default_config_static_selectorELNS0_4arch9wavefront6targetE1EEEvT1_
	.globl	_ZN7rocprim17ROCPRIM_400000_NS6detail17trampoline_kernelINS0_14default_configENS1_20scan_config_selectorIdEEZZNS1_9scan_implILNS1_25lookback_scan_determinismE0ELb1ELb1ES3_N6thrust23THRUST_200600_302600_NS6detail15normal_iteratorINS9_10device_ptrIdEEEENS9_16discard_iteratorINS9_11use_defaultEEEd11max_functorIdEdEEDaPvRmT3_T4_T5_mT6_P12ihipStream_tbENKUlT_T0_E_clISt17integral_constantIbLb0EESW_IbLb1EEEEDaSS_ST_EUlSS_E_NS1_11comp_targetILNS1_3genE9ELNS1_11target_archE1100ELNS1_3gpuE3ELNS1_3repE0EEENS1_30default_config_static_selectorELNS0_4arch9wavefront6targetE1EEEvT1_
	.p2align	8
	.type	_ZN7rocprim17ROCPRIM_400000_NS6detail17trampoline_kernelINS0_14default_configENS1_20scan_config_selectorIdEEZZNS1_9scan_implILNS1_25lookback_scan_determinismE0ELb1ELb1ES3_N6thrust23THRUST_200600_302600_NS6detail15normal_iteratorINS9_10device_ptrIdEEEENS9_16discard_iteratorINS9_11use_defaultEEEd11max_functorIdEdEEDaPvRmT3_T4_T5_mT6_P12ihipStream_tbENKUlT_T0_E_clISt17integral_constantIbLb0EESW_IbLb1EEEEDaSS_ST_EUlSS_E_NS1_11comp_targetILNS1_3genE9ELNS1_11target_archE1100ELNS1_3gpuE3ELNS1_3repE0EEENS1_30default_config_static_selectorELNS0_4arch9wavefront6targetE1EEEvT1_,@function
_ZN7rocprim17ROCPRIM_400000_NS6detail17trampoline_kernelINS0_14default_configENS1_20scan_config_selectorIdEEZZNS1_9scan_implILNS1_25lookback_scan_determinismE0ELb1ELb1ES3_N6thrust23THRUST_200600_302600_NS6detail15normal_iteratorINS9_10device_ptrIdEEEENS9_16discard_iteratorINS9_11use_defaultEEEd11max_functorIdEdEEDaPvRmT3_T4_T5_mT6_P12ihipStream_tbENKUlT_T0_E_clISt17integral_constantIbLb0EESW_IbLb1EEEEDaSS_ST_EUlSS_E_NS1_11comp_targetILNS1_3genE9ELNS1_11target_archE1100ELNS1_3gpuE3ELNS1_3repE0EEENS1_30default_config_static_selectorELNS0_4arch9wavefront6targetE1EEEvT1_: ; @_ZN7rocprim17ROCPRIM_400000_NS6detail17trampoline_kernelINS0_14default_configENS1_20scan_config_selectorIdEEZZNS1_9scan_implILNS1_25lookback_scan_determinismE0ELb1ELb1ES3_N6thrust23THRUST_200600_302600_NS6detail15normal_iteratorINS9_10device_ptrIdEEEENS9_16discard_iteratorINS9_11use_defaultEEEd11max_functorIdEdEEDaPvRmT3_T4_T5_mT6_P12ihipStream_tbENKUlT_T0_E_clISt17integral_constantIbLb0EESW_IbLb1EEEEDaSS_ST_EUlSS_E_NS1_11comp_targetILNS1_3genE9ELNS1_11target_archE1100ELNS1_3gpuE3ELNS1_3repE0EEENS1_30default_config_static_selectorELNS0_4arch9wavefront6targetE1EEEvT1_
; %bb.0:
	.section	.rodata,"a",@progbits
	.p2align	6, 0x0
	.amdhsa_kernel _ZN7rocprim17ROCPRIM_400000_NS6detail17trampoline_kernelINS0_14default_configENS1_20scan_config_selectorIdEEZZNS1_9scan_implILNS1_25lookback_scan_determinismE0ELb1ELb1ES3_N6thrust23THRUST_200600_302600_NS6detail15normal_iteratorINS9_10device_ptrIdEEEENS9_16discard_iteratorINS9_11use_defaultEEEd11max_functorIdEdEEDaPvRmT3_T4_T5_mT6_P12ihipStream_tbENKUlT_T0_E_clISt17integral_constantIbLb0EESW_IbLb1EEEEDaSS_ST_EUlSS_E_NS1_11comp_targetILNS1_3genE9ELNS1_11target_archE1100ELNS1_3gpuE3ELNS1_3repE0EEENS1_30default_config_static_selectorELNS0_4arch9wavefront6targetE1EEEvT1_
		.amdhsa_group_segment_fixed_size 0
		.amdhsa_private_segment_fixed_size 0
		.amdhsa_kernarg_size 112
		.amdhsa_user_sgpr_count 6
		.amdhsa_user_sgpr_private_segment_buffer 1
		.amdhsa_user_sgpr_dispatch_ptr 0
		.amdhsa_user_sgpr_queue_ptr 0
		.amdhsa_user_sgpr_kernarg_segment_ptr 1
		.amdhsa_user_sgpr_dispatch_id 0
		.amdhsa_user_sgpr_flat_scratch_init 0
		.amdhsa_user_sgpr_kernarg_preload_length 0
		.amdhsa_user_sgpr_kernarg_preload_offset 0
		.amdhsa_user_sgpr_private_segment_size 0
		.amdhsa_uses_dynamic_stack 0
		.amdhsa_system_sgpr_private_segment_wavefront_offset 0
		.amdhsa_system_sgpr_workgroup_id_x 1
		.amdhsa_system_sgpr_workgroup_id_y 0
		.amdhsa_system_sgpr_workgroup_id_z 0
		.amdhsa_system_sgpr_workgroup_info 0
		.amdhsa_system_vgpr_workitem_id 0
		.amdhsa_next_free_vgpr 1
		.amdhsa_next_free_sgpr 0
		.amdhsa_accum_offset 4
		.amdhsa_reserve_vcc 0
		.amdhsa_reserve_flat_scratch 0
		.amdhsa_float_round_mode_32 0
		.amdhsa_float_round_mode_16_64 0
		.amdhsa_float_denorm_mode_32 3
		.amdhsa_float_denorm_mode_16_64 3
		.amdhsa_dx10_clamp 1
		.amdhsa_ieee_mode 1
		.amdhsa_fp16_overflow 0
		.amdhsa_tg_split 0
		.amdhsa_exception_fp_ieee_invalid_op 0
		.amdhsa_exception_fp_denorm_src 0
		.amdhsa_exception_fp_ieee_div_zero 0
		.amdhsa_exception_fp_ieee_overflow 0
		.amdhsa_exception_fp_ieee_underflow 0
		.amdhsa_exception_fp_ieee_inexact 0
		.amdhsa_exception_int_div_zero 0
	.end_amdhsa_kernel
	.section	.text._ZN7rocprim17ROCPRIM_400000_NS6detail17trampoline_kernelINS0_14default_configENS1_20scan_config_selectorIdEEZZNS1_9scan_implILNS1_25lookback_scan_determinismE0ELb1ELb1ES3_N6thrust23THRUST_200600_302600_NS6detail15normal_iteratorINS9_10device_ptrIdEEEENS9_16discard_iteratorINS9_11use_defaultEEEd11max_functorIdEdEEDaPvRmT3_T4_T5_mT6_P12ihipStream_tbENKUlT_T0_E_clISt17integral_constantIbLb0EESW_IbLb1EEEEDaSS_ST_EUlSS_E_NS1_11comp_targetILNS1_3genE9ELNS1_11target_archE1100ELNS1_3gpuE3ELNS1_3repE0EEENS1_30default_config_static_selectorELNS0_4arch9wavefront6targetE1EEEvT1_,"axG",@progbits,_ZN7rocprim17ROCPRIM_400000_NS6detail17trampoline_kernelINS0_14default_configENS1_20scan_config_selectorIdEEZZNS1_9scan_implILNS1_25lookback_scan_determinismE0ELb1ELb1ES3_N6thrust23THRUST_200600_302600_NS6detail15normal_iteratorINS9_10device_ptrIdEEEENS9_16discard_iteratorINS9_11use_defaultEEEd11max_functorIdEdEEDaPvRmT3_T4_T5_mT6_P12ihipStream_tbENKUlT_T0_E_clISt17integral_constantIbLb0EESW_IbLb1EEEEDaSS_ST_EUlSS_E_NS1_11comp_targetILNS1_3genE9ELNS1_11target_archE1100ELNS1_3gpuE3ELNS1_3repE0EEENS1_30default_config_static_selectorELNS0_4arch9wavefront6targetE1EEEvT1_,comdat
.Lfunc_end3123:
	.size	_ZN7rocprim17ROCPRIM_400000_NS6detail17trampoline_kernelINS0_14default_configENS1_20scan_config_selectorIdEEZZNS1_9scan_implILNS1_25lookback_scan_determinismE0ELb1ELb1ES3_N6thrust23THRUST_200600_302600_NS6detail15normal_iteratorINS9_10device_ptrIdEEEENS9_16discard_iteratorINS9_11use_defaultEEEd11max_functorIdEdEEDaPvRmT3_T4_T5_mT6_P12ihipStream_tbENKUlT_T0_E_clISt17integral_constantIbLb0EESW_IbLb1EEEEDaSS_ST_EUlSS_E_NS1_11comp_targetILNS1_3genE9ELNS1_11target_archE1100ELNS1_3gpuE3ELNS1_3repE0EEENS1_30default_config_static_selectorELNS0_4arch9wavefront6targetE1EEEvT1_, .Lfunc_end3123-_ZN7rocprim17ROCPRIM_400000_NS6detail17trampoline_kernelINS0_14default_configENS1_20scan_config_selectorIdEEZZNS1_9scan_implILNS1_25lookback_scan_determinismE0ELb1ELb1ES3_N6thrust23THRUST_200600_302600_NS6detail15normal_iteratorINS9_10device_ptrIdEEEENS9_16discard_iteratorINS9_11use_defaultEEEd11max_functorIdEdEEDaPvRmT3_T4_T5_mT6_P12ihipStream_tbENKUlT_T0_E_clISt17integral_constantIbLb0EESW_IbLb1EEEEDaSS_ST_EUlSS_E_NS1_11comp_targetILNS1_3genE9ELNS1_11target_archE1100ELNS1_3gpuE3ELNS1_3repE0EEENS1_30default_config_static_selectorELNS0_4arch9wavefront6targetE1EEEvT1_
                                        ; -- End function
	.section	.AMDGPU.csdata,"",@progbits
; Kernel info:
; codeLenInByte = 0
; NumSgprs: 4
; NumVgprs: 0
; NumAgprs: 0
; TotalNumVgprs: 0
; ScratchSize: 0
; MemoryBound: 0
; FloatMode: 240
; IeeeMode: 1
; LDSByteSize: 0 bytes/workgroup (compile time only)
; SGPRBlocks: 0
; VGPRBlocks: 0
; NumSGPRsForWavesPerEU: 4
; NumVGPRsForWavesPerEU: 1
; AccumOffset: 4
; Occupancy: 8
; WaveLimiterHint : 0
; COMPUTE_PGM_RSRC2:SCRATCH_EN: 0
; COMPUTE_PGM_RSRC2:USER_SGPR: 6
; COMPUTE_PGM_RSRC2:TRAP_HANDLER: 0
; COMPUTE_PGM_RSRC2:TGID_X_EN: 1
; COMPUTE_PGM_RSRC2:TGID_Y_EN: 0
; COMPUTE_PGM_RSRC2:TGID_Z_EN: 0
; COMPUTE_PGM_RSRC2:TIDIG_COMP_CNT: 0
; COMPUTE_PGM_RSRC3_GFX90A:ACCUM_OFFSET: 0
; COMPUTE_PGM_RSRC3_GFX90A:TG_SPLIT: 0
	.section	.text._ZN7rocprim17ROCPRIM_400000_NS6detail17trampoline_kernelINS0_14default_configENS1_20scan_config_selectorIdEEZZNS1_9scan_implILNS1_25lookback_scan_determinismE0ELb1ELb1ES3_N6thrust23THRUST_200600_302600_NS6detail15normal_iteratorINS9_10device_ptrIdEEEENS9_16discard_iteratorINS9_11use_defaultEEEd11max_functorIdEdEEDaPvRmT3_T4_T5_mT6_P12ihipStream_tbENKUlT_T0_E_clISt17integral_constantIbLb0EESW_IbLb1EEEEDaSS_ST_EUlSS_E_NS1_11comp_targetILNS1_3genE8ELNS1_11target_archE1030ELNS1_3gpuE2ELNS1_3repE0EEENS1_30default_config_static_selectorELNS0_4arch9wavefront6targetE1EEEvT1_,"axG",@progbits,_ZN7rocprim17ROCPRIM_400000_NS6detail17trampoline_kernelINS0_14default_configENS1_20scan_config_selectorIdEEZZNS1_9scan_implILNS1_25lookback_scan_determinismE0ELb1ELb1ES3_N6thrust23THRUST_200600_302600_NS6detail15normal_iteratorINS9_10device_ptrIdEEEENS9_16discard_iteratorINS9_11use_defaultEEEd11max_functorIdEdEEDaPvRmT3_T4_T5_mT6_P12ihipStream_tbENKUlT_T0_E_clISt17integral_constantIbLb0EESW_IbLb1EEEEDaSS_ST_EUlSS_E_NS1_11comp_targetILNS1_3genE8ELNS1_11target_archE1030ELNS1_3gpuE2ELNS1_3repE0EEENS1_30default_config_static_selectorELNS0_4arch9wavefront6targetE1EEEvT1_,comdat
	.protected	_ZN7rocprim17ROCPRIM_400000_NS6detail17trampoline_kernelINS0_14default_configENS1_20scan_config_selectorIdEEZZNS1_9scan_implILNS1_25lookback_scan_determinismE0ELb1ELb1ES3_N6thrust23THRUST_200600_302600_NS6detail15normal_iteratorINS9_10device_ptrIdEEEENS9_16discard_iteratorINS9_11use_defaultEEEd11max_functorIdEdEEDaPvRmT3_T4_T5_mT6_P12ihipStream_tbENKUlT_T0_E_clISt17integral_constantIbLb0EESW_IbLb1EEEEDaSS_ST_EUlSS_E_NS1_11comp_targetILNS1_3genE8ELNS1_11target_archE1030ELNS1_3gpuE2ELNS1_3repE0EEENS1_30default_config_static_selectorELNS0_4arch9wavefront6targetE1EEEvT1_ ; -- Begin function _ZN7rocprim17ROCPRIM_400000_NS6detail17trampoline_kernelINS0_14default_configENS1_20scan_config_selectorIdEEZZNS1_9scan_implILNS1_25lookback_scan_determinismE0ELb1ELb1ES3_N6thrust23THRUST_200600_302600_NS6detail15normal_iteratorINS9_10device_ptrIdEEEENS9_16discard_iteratorINS9_11use_defaultEEEd11max_functorIdEdEEDaPvRmT3_T4_T5_mT6_P12ihipStream_tbENKUlT_T0_E_clISt17integral_constantIbLb0EESW_IbLb1EEEEDaSS_ST_EUlSS_E_NS1_11comp_targetILNS1_3genE8ELNS1_11target_archE1030ELNS1_3gpuE2ELNS1_3repE0EEENS1_30default_config_static_selectorELNS0_4arch9wavefront6targetE1EEEvT1_
	.globl	_ZN7rocprim17ROCPRIM_400000_NS6detail17trampoline_kernelINS0_14default_configENS1_20scan_config_selectorIdEEZZNS1_9scan_implILNS1_25lookback_scan_determinismE0ELb1ELb1ES3_N6thrust23THRUST_200600_302600_NS6detail15normal_iteratorINS9_10device_ptrIdEEEENS9_16discard_iteratorINS9_11use_defaultEEEd11max_functorIdEdEEDaPvRmT3_T4_T5_mT6_P12ihipStream_tbENKUlT_T0_E_clISt17integral_constantIbLb0EESW_IbLb1EEEEDaSS_ST_EUlSS_E_NS1_11comp_targetILNS1_3genE8ELNS1_11target_archE1030ELNS1_3gpuE2ELNS1_3repE0EEENS1_30default_config_static_selectorELNS0_4arch9wavefront6targetE1EEEvT1_
	.p2align	8
	.type	_ZN7rocprim17ROCPRIM_400000_NS6detail17trampoline_kernelINS0_14default_configENS1_20scan_config_selectorIdEEZZNS1_9scan_implILNS1_25lookback_scan_determinismE0ELb1ELb1ES3_N6thrust23THRUST_200600_302600_NS6detail15normal_iteratorINS9_10device_ptrIdEEEENS9_16discard_iteratorINS9_11use_defaultEEEd11max_functorIdEdEEDaPvRmT3_T4_T5_mT6_P12ihipStream_tbENKUlT_T0_E_clISt17integral_constantIbLb0EESW_IbLb1EEEEDaSS_ST_EUlSS_E_NS1_11comp_targetILNS1_3genE8ELNS1_11target_archE1030ELNS1_3gpuE2ELNS1_3repE0EEENS1_30default_config_static_selectorELNS0_4arch9wavefront6targetE1EEEvT1_,@function
_ZN7rocprim17ROCPRIM_400000_NS6detail17trampoline_kernelINS0_14default_configENS1_20scan_config_selectorIdEEZZNS1_9scan_implILNS1_25lookback_scan_determinismE0ELb1ELb1ES3_N6thrust23THRUST_200600_302600_NS6detail15normal_iteratorINS9_10device_ptrIdEEEENS9_16discard_iteratorINS9_11use_defaultEEEd11max_functorIdEdEEDaPvRmT3_T4_T5_mT6_P12ihipStream_tbENKUlT_T0_E_clISt17integral_constantIbLb0EESW_IbLb1EEEEDaSS_ST_EUlSS_E_NS1_11comp_targetILNS1_3genE8ELNS1_11target_archE1030ELNS1_3gpuE2ELNS1_3repE0EEENS1_30default_config_static_selectorELNS0_4arch9wavefront6targetE1EEEvT1_: ; @_ZN7rocprim17ROCPRIM_400000_NS6detail17trampoline_kernelINS0_14default_configENS1_20scan_config_selectorIdEEZZNS1_9scan_implILNS1_25lookback_scan_determinismE0ELb1ELb1ES3_N6thrust23THRUST_200600_302600_NS6detail15normal_iteratorINS9_10device_ptrIdEEEENS9_16discard_iteratorINS9_11use_defaultEEEd11max_functorIdEdEEDaPvRmT3_T4_T5_mT6_P12ihipStream_tbENKUlT_T0_E_clISt17integral_constantIbLb0EESW_IbLb1EEEEDaSS_ST_EUlSS_E_NS1_11comp_targetILNS1_3genE8ELNS1_11target_archE1030ELNS1_3gpuE2ELNS1_3repE0EEENS1_30default_config_static_selectorELNS0_4arch9wavefront6targetE1EEEvT1_
; %bb.0:
	.section	.rodata,"a",@progbits
	.p2align	6, 0x0
	.amdhsa_kernel _ZN7rocprim17ROCPRIM_400000_NS6detail17trampoline_kernelINS0_14default_configENS1_20scan_config_selectorIdEEZZNS1_9scan_implILNS1_25lookback_scan_determinismE0ELb1ELb1ES3_N6thrust23THRUST_200600_302600_NS6detail15normal_iteratorINS9_10device_ptrIdEEEENS9_16discard_iteratorINS9_11use_defaultEEEd11max_functorIdEdEEDaPvRmT3_T4_T5_mT6_P12ihipStream_tbENKUlT_T0_E_clISt17integral_constantIbLb0EESW_IbLb1EEEEDaSS_ST_EUlSS_E_NS1_11comp_targetILNS1_3genE8ELNS1_11target_archE1030ELNS1_3gpuE2ELNS1_3repE0EEENS1_30default_config_static_selectorELNS0_4arch9wavefront6targetE1EEEvT1_
		.amdhsa_group_segment_fixed_size 0
		.amdhsa_private_segment_fixed_size 0
		.amdhsa_kernarg_size 112
		.amdhsa_user_sgpr_count 6
		.amdhsa_user_sgpr_private_segment_buffer 1
		.amdhsa_user_sgpr_dispatch_ptr 0
		.amdhsa_user_sgpr_queue_ptr 0
		.amdhsa_user_sgpr_kernarg_segment_ptr 1
		.amdhsa_user_sgpr_dispatch_id 0
		.amdhsa_user_sgpr_flat_scratch_init 0
		.amdhsa_user_sgpr_kernarg_preload_length 0
		.amdhsa_user_sgpr_kernarg_preload_offset 0
		.amdhsa_user_sgpr_private_segment_size 0
		.amdhsa_uses_dynamic_stack 0
		.amdhsa_system_sgpr_private_segment_wavefront_offset 0
		.amdhsa_system_sgpr_workgroup_id_x 1
		.amdhsa_system_sgpr_workgroup_id_y 0
		.amdhsa_system_sgpr_workgroup_id_z 0
		.amdhsa_system_sgpr_workgroup_info 0
		.amdhsa_system_vgpr_workitem_id 0
		.amdhsa_next_free_vgpr 1
		.amdhsa_next_free_sgpr 0
		.amdhsa_accum_offset 4
		.amdhsa_reserve_vcc 0
		.amdhsa_reserve_flat_scratch 0
		.amdhsa_float_round_mode_32 0
		.amdhsa_float_round_mode_16_64 0
		.amdhsa_float_denorm_mode_32 3
		.amdhsa_float_denorm_mode_16_64 3
		.amdhsa_dx10_clamp 1
		.amdhsa_ieee_mode 1
		.amdhsa_fp16_overflow 0
		.amdhsa_tg_split 0
		.amdhsa_exception_fp_ieee_invalid_op 0
		.amdhsa_exception_fp_denorm_src 0
		.amdhsa_exception_fp_ieee_div_zero 0
		.amdhsa_exception_fp_ieee_overflow 0
		.amdhsa_exception_fp_ieee_underflow 0
		.amdhsa_exception_fp_ieee_inexact 0
		.amdhsa_exception_int_div_zero 0
	.end_amdhsa_kernel
	.section	.text._ZN7rocprim17ROCPRIM_400000_NS6detail17trampoline_kernelINS0_14default_configENS1_20scan_config_selectorIdEEZZNS1_9scan_implILNS1_25lookback_scan_determinismE0ELb1ELb1ES3_N6thrust23THRUST_200600_302600_NS6detail15normal_iteratorINS9_10device_ptrIdEEEENS9_16discard_iteratorINS9_11use_defaultEEEd11max_functorIdEdEEDaPvRmT3_T4_T5_mT6_P12ihipStream_tbENKUlT_T0_E_clISt17integral_constantIbLb0EESW_IbLb1EEEEDaSS_ST_EUlSS_E_NS1_11comp_targetILNS1_3genE8ELNS1_11target_archE1030ELNS1_3gpuE2ELNS1_3repE0EEENS1_30default_config_static_selectorELNS0_4arch9wavefront6targetE1EEEvT1_,"axG",@progbits,_ZN7rocprim17ROCPRIM_400000_NS6detail17trampoline_kernelINS0_14default_configENS1_20scan_config_selectorIdEEZZNS1_9scan_implILNS1_25lookback_scan_determinismE0ELb1ELb1ES3_N6thrust23THRUST_200600_302600_NS6detail15normal_iteratorINS9_10device_ptrIdEEEENS9_16discard_iteratorINS9_11use_defaultEEEd11max_functorIdEdEEDaPvRmT3_T4_T5_mT6_P12ihipStream_tbENKUlT_T0_E_clISt17integral_constantIbLb0EESW_IbLb1EEEEDaSS_ST_EUlSS_E_NS1_11comp_targetILNS1_3genE8ELNS1_11target_archE1030ELNS1_3gpuE2ELNS1_3repE0EEENS1_30default_config_static_selectorELNS0_4arch9wavefront6targetE1EEEvT1_,comdat
.Lfunc_end3124:
	.size	_ZN7rocprim17ROCPRIM_400000_NS6detail17trampoline_kernelINS0_14default_configENS1_20scan_config_selectorIdEEZZNS1_9scan_implILNS1_25lookback_scan_determinismE0ELb1ELb1ES3_N6thrust23THRUST_200600_302600_NS6detail15normal_iteratorINS9_10device_ptrIdEEEENS9_16discard_iteratorINS9_11use_defaultEEEd11max_functorIdEdEEDaPvRmT3_T4_T5_mT6_P12ihipStream_tbENKUlT_T0_E_clISt17integral_constantIbLb0EESW_IbLb1EEEEDaSS_ST_EUlSS_E_NS1_11comp_targetILNS1_3genE8ELNS1_11target_archE1030ELNS1_3gpuE2ELNS1_3repE0EEENS1_30default_config_static_selectorELNS0_4arch9wavefront6targetE1EEEvT1_, .Lfunc_end3124-_ZN7rocprim17ROCPRIM_400000_NS6detail17trampoline_kernelINS0_14default_configENS1_20scan_config_selectorIdEEZZNS1_9scan_implILNS1_25lookback_scan_determinismE0ELb1ELb1ES3_N6thrust23THRUST_200600_302600_NS6detail15normal_iteratorINS9_10device_ptrIdEEEENS9_16discard_iteratorINS9_11use_defaultEEEd11max_functorIdEdEEDaPvRmT3_T4_T5_mT6_P12ihipStream_tbENKUlT_T0_E_clISt17integral_constantIbLb0EESW_IbLb1EEEEDaSS_ST_EUlSS_E_NS1_11comp_targetILNS1_3genE8ELNS1_11target_archE1030ELNS1_3gpuE2ELNS1_3repE0EEENS1_30default_config_static_selectorELNS0_4arch9wavefront6targetE1EEEvT1_
                                        ; -- End function
	.section	.AMDGPU.csdata,"",@progbits
; Kernel info:
; codeLenInByte = 0
; NumSgprs: 4
; NumVgprs: 0
; NumAgprs: 0
; TotalNumVgprs: 0
; ScratchSize: 0
; MemoryBound: 0
; FloatMode: 240
; IeeeMode: 1
; LDSByteSize: 0 bytes/workgroup (compile time only)
; SGPRBlocks: 0
; VGPRBlocks: 0
; NumSGPRsForWavesPerEU: 4
; NumVGPRsForWavesPerEU: 1
; AccumOffset: 4
; Occupancy: 8
; WaveLimiterHint : 0
; COMPUTE_PGM_RSRC2:SCRATCH_EN: 0
; COMPUTE_PGM_RSRC2:USER_SGPR: 6
; COMPUTE_PGM_RSRC2:TRAP_HANDLER: 0
; COMPUTE_PGM_RSRC2:TGID_X_EN: 1
; COMPUTE_PGM_RSRC2:TGID_Y_EN: 0
; COMPUTE_PGM_RSRC2:TGID_Z_EN: 0
; COMPUTE_PGM_RSRC2:TIDIG_COMP_CNT: 0
; COMPUTE_PGM_RSRC3_GFX90A:ACCUM_OFFSET: 0
; COMPUTE_PGM_RSRC3_GFX90A:TG_SPLIT: 0
	.section	.text._ZN7rocprim17ROCPRIM_400000_NS6detail17trampoline_kernelINS0_14default_configENS1_20scan_config_selectorIdEEZZNS1_9scan_implILNS1_25lookback_scan_determinismE0ELb1ELb1ES3_N6thrust23THRUST_200600_302600_NS6detail15normal_iteratorINS9_10device_ptrIdEEEENS9_16discard_iteratorINS9_11use_defaultEEEd11max_functorIdEdEEDaPvRmT3_T4_T5_mT6_P12ihipStream_tbENKUlT_T0_E_clISt17integral_constantIbLb0EESW_IbLb1EEEEDaSS_ST_EUlSS_E0_NS1_11comp_targetILNS1_3genE0ELNS1_11target_archE4294967295ELNS1_3gpuE0ELNS1_3repE0EEENS1_30default_config_static_selectorELNS0_4arch9wavefront6targetE1EEEvT1_,"axG",@progbits,_ZN7rocprim17ROCPRIM_400000_NS6detail17trampoline_kernelINS0_14default_configENS1_20scan_config_selectorIdEEZZNS1_9scan_implILNS1_25lookback_scan_determinismE0ELb1ELb1ES3_N6thrust23THRUST_200600_302600_NS6detail15normal_iteratorINS9_10device_ptrIdEEEENS9_16discard_iteratorINS9_11use_defaultEEEd11max_functorIdEdEEDaPvRmT3_T4_T5_mT6_P12ihipStream_tbENKUlT_T0_E_clISt17integral_constantIbLb0EESW_IbLb1EEEEDaSS_ST_EUlSS_E0_NS1_11comp_targetILNS1_3genE0ELNS1_11target_archE4294967295ELNS1_3gpuE0ELNS1_3repE0EEENS1_30default_config_static_selectorELNS0_4arch9wavefront6targetE1EEEvT1_,comdat
	.protected	_ZN7rocprim17ROCPRIM_400000_NS6detail17trampoline_kernelINS0_14default_configENS1_20scan_config_selectorIdEEZZNS1_9scan_implILNS1_25lookback_scan_determinismE0ELb1ELb1ES3_N6thrust23THRUST_200600_302600_NS6detail15normal_iteratorINS9_10device_ptrIdEEEENS9_16discard_iteratorINS9_11use_defaultEEEd11max_functorIdEdEEDaPvRmT3_T4_T5_mT6_P12ihipStream_tbENKUlT_T0_E_clISt17integral_constantIbLb0EESW_IbLb1EEEEDaSS_ST_EUlSS_E0_NS1_11comp_targetILNS1_3genE0ELNS1_11target_archE4294967295ELNS1_3gpuE0ELNS1_3repE0EEENS1_30default_config_static_selectorELNS0_4arch9wavefront6targetE1EEEvT1_ ; -- Begin function _ZN7rocprim17ROCPRIM_400000_NS6detail17trampoline_kernelINS0_14default_configENS1_20scan_config_selectorIdEEZZNS1_9scan_implILNS1_25lookback_scan_determinismE0ELb1ELb1ES3_N6thrust23THRUST_200600_302600_NS6detail15normal_iteratorINS9_10device_ptrIdEEEENS9_16discard_iteratorINS9_11use_defaultEEEd11max_functorIdEdEEDaPvRmT3_T4_T5_mT6_P12ihipStream_tbENKUlT_T0_E_clISt17integral_constantIbLb0EESW_IbLb1EEEEDaSS_ST_EUlSS_E0_NS1_11comp_targetILNS1_3genE0ELNS1_11target_archE4294967295ELNS1_3gpuE0ELNS1_3repE0EEENS1_30default_config_static_selectorELNS0_4arch9wavefront6targetE1EEEvT1_
	.globl	_ZN7rocprim17ROCPRIM_400000_NS6detail17trampoline_kernelINS0_14default_configENS1_20scan_config_selectorIdEEZZNS1_9scan_implILNS1_25lookback_scan_determinismE0ELb1ELb1ES3_N6thrust23THRUST_200600_302600_NS6detail15normal_iteratorINS9_10device_ptrIdEEEENS9_16discard_iteratorINS9_11use_defaultEEEd11max_functorIdEdEEDaPvRmT3_T4_T5_mT6_P12ihipStream_tbENKUlT_T0_E_clISt17integral_constantIbLb0EESW_IbLb1EEEEDaSS_ST_EUlSS_E0_NS1_11comp_targetILNS1_3genE0ELNS1_11target_archE4294967295ELNS1_3gpuE0ELNS1_3repE0EEENS1_30default_config_static_selectorELNS0_4arch9wavefront6targetE1EEEvT1_
	.p2align	8
	.type	_ZN7rocprim17ROCPRIM_400000_NS6detail17trampoline_kernelINS0_14default_configENS1_20scan_config_selectorIdEEZZNS1_9scan_implILNS1_25lookback_scan_determinismE0ELb1ELb1ES3_N6thrust23THRUST_200600_302600_NS6detail15normal_iteratorINS9_10device_ptrIdEEEENS9_16discard_iteratorINS9_11use_defaultEEEd11max_functorIdEdEEDaPvRmT3_T4_T5_mT6_P12ihipStream_tbENKUlT_T0_E_clISt17integral_constantIbLb0EESW_IbLb1EEEEDaSS_ST_EUlSS_E0_NS1_11comp_targetILNS1_3genE0ELNS1_11target_archE4294967295ELNS1_3gpuE0ELNS1_3repE0EEENS1_30default_config_static_selectorELNS0_4arch9wavefront6targetE1EEEvT1_,@function
_ZN7rocprim17ROCPRIM_400000_NS6detail17trampoline_kernelINS0_14default_configENS1_20scan_config_selectorIdEEZZNS1_9scan_implILNS1_25lookback_scan_determinismE0ELb1ELb1ES3_N6thrust23THRUST_200600_302600_NS6detail15normal_iteratorINS9_10device_ptrIdEEEENS9_16discard_iteratorINS9_11use_defaultEEEd11max_functorIdEdEEDaPvRmT3_T4_T5_mT6_P12ihipStream_tbENKUlT_T0_E_clISt17integral_constantIbLb0EESW_IbLb1EEEEDaSS_ST_EUlSS_E0_NS1_11comp_targetILNS1_3genE0ELNS1_11target_archE4294967295ELNS1_3gpuE0ELNS1_3repE0EEENS1_30default_config_static_selectorELNS0_4arch9wavefront6targetE1EEEvT1_: ; @_ZN7rocprim17ROCPRIM_400000_NS6detail17trampoline_kernelINS0_14default_configENS1_20scan_config_selectorIdEEZZNS1_9scan_implILNS1_25lookback_scan_determinismE0ELb1ELb1ES3_N6thrust23THRUST_200600_302600_NS6detail15normal_iteratorINS9_10device_ptrIdEEEENS9_16discard_iteratorINS9_11use_defaultEEEd11max_functorIdEdEEDaPvRmT3_T4_T5_mT6_P12ihipStream_tbENKUlT_T0_E_clISt17integral_constantIbLb0EESW_IbLb1EEEEDaSS_ST_EUlSS_E0_NS1_11comp_targetILNS1_3genE0ELNS1_11target_archE4294967295ELNS1_3gpuE0ELNS1_3repE0EEENS1_30default_config_static_selectorELNS0_4arch9wavefront6targetE1EEEvT1_
; %bb.0:
	.section	.rodata,"a",@progbits
	.p2align	6, 0x0
	.amdhsa_kernel _ZN7rocprim17ROCPRIM_400000_NS6detail17trampoline_kernelINS0_14default_configENS1_20scan_config_selectorIdEEZZNS1_9scan_implILNS1_25lookback_scan_determinismE0ELb1ELb1ES3_N6thrust23THRUST_200600_302600_NS6detail15normal_iteratorINS9_10device_ptrIdEEEENS9_16discard_iteratorINS9_11use_defaultEEEd11max_functorIdEdEEDaPvRmT3_T4_T5_mT6_P12ihipStream_tbENKUlT_T0_E_clISt17integral_constantIbLb0EESW_IbLb1EEEEDaSS_ST_EUlSS_E0_NS1_11comp_targetILNS1_3genE0ELNS1_11target_archE4294967295ELNS1_3gpuE0ELNS1_3repE0EEENS1_30default_config_static_selectorELNS0_4arch9wavefront6targetE1EEEvT1_
		.amdhsa_group_segment_fixed_size 0
		.amdhsa_private_segment_fixed_size 0
		.amdhsa_kernarg_size 48
		.amdhsa_user_sgpr_count 6
		.amdhsa_user_sgpr_private_segment_buffer 1
		.amdhsa_user_sgpr_dispatch_ptr 0
		.amdhsa_user_sgpr_queue_ptr 0
		.amdhsa_user_sgpr_kernarg_segment_ptr 1
		.amdhsa_user_sgpr_dispatch_id 0
		.amdhsa_user_sgpr_flat_scratch_init 0
		.amdhsa_user_sgpr_kernarg_preload_length 0
		.amdhsa_user_sgpr_kernarg_preload_offset 0
		.amdhsa_user_sgpr_private_segment_size 0
		.amdhsa_uses_dynamic_stack 0
		.amdhsa_system_sgpr_private_segment_wavefront_offset 0
		.amdhsa_system_sgpr_workgroup_id_x 1
		.amdhsa_system_sgpr_workgroup_id_y 0
		.amdhsa_system_sgpr_workgroup_id_z 0
		.amdhsa_system_sgpr_workgroup_info 0
		.amdhsa_system_vgpr_workitem_id 0
		.amdhsa_next_free_vgpr 1
		.amdhsa_next_free_sgpr 0
		.amdhsa_accum_offset 4
		.amdhsa_reserve_vcc 0
		.amdhsa_reserve_flat_scratch 0
		.amdhsa_float_round_mode_32 0
		.amdhsa_float_round_mode_16_64 0
		.amdhsa_float_denorm_mode_32 3
		.amdhsa_float_denorm_mode_16_64 3
		.amdhsa_dx10_clamp 1
		.amdhsa_ieee_mode 1
		.amdhsa_fp16_overflow 0
		.amdhsa_tg_split 0
		.amdhsa_exception_fp_ieee_invalid_op 0
		.amdhsa_exception_fp_denorm_src 0
		.amdhsa_exception_fp_ieee_div_zero 0
		.amdhsa_exception_fp_ieee_overflow 0
		.amdhsa_exception_fp_ieee_underflow 0
		.amdhsa_exception_fp_ieee_inexact 0
		.amdhsa_exception_int_div_zero 0
	.end_amdhsa_kernel
	.section	.text._ZN7rocprim17ROCPRIM_400000_NS6detail17trampoline_kernelINS0_14default_configENS1_20scan_config_selectorIdEEZZNS1_9scan_implILNS1_25lookback_scan_determinismE0ELb1ELb1ES3_N6thrust23THRUST_200600_302600_NS6detail15normal_iteratorINS9_10device_ptrIdEEEENS9_16discard_iteratorINS9_11use_defaultEEEd11max_functorIdEdEEDaPvRmT3_T4_T5_mT6_P12ihipStream_tbENKUlT_T0_E_clISt17integral_constantIbLb0EESW_IbLb1EEEEDaSS_ST_EUlSS_E0_NS1_11comp_targetILNS1_3genE0ELNS1_11target_archE4294967295ELNS1_3gpuE0ELNS1_3repE0EEENS1_30default_config_static_selectorELNS0_4arch9wavefront6targetE1EEEvT1_,"axG",@progbits,_ZN7rocprim17ROCPRIM_400000_NS6detail17trampoline_kernelINS0_14default_configENS1_20scan_config_selectorIdEEZZNS1_9scan_implILNS1_25lookback_scan_determinismE0ELb1ELb1ES3_N6thrust23THRUST_200600_302600_NS6detail15normal_iteratorINS9_10device_ptrIdEEEENS9_16discard_iteratorINS9_11use_defaultEEEd11max_functorIdEdEEDaPvRmT3_T4_T5_mT6_P12ihipStream_tbENKUlT_T0_E_clISt17integral_constantIbLb0EESW_IbLb1EEEEDaSS_ST_EUlSS_E0_NS1_11comp_targetILNS1_3genE0ELNS1_11target_archE4294967295ELNS1_3gpuE0ELNS1_3repE0EEENS1_30default_config_static_selectorELNS0_4arch9wavefront6targetE1EEEvT1_,comdat
.Lfunc_end3125:
	.size	_ZN7rocprim17ROCPRIM_400000_NS6detail17trampoline_kernelINS0_14default_configENS1_20scan_config_selectorIdEEZZNS1_9scan_implILNS1_25lookback_scan_determinismE0ELb1ELb1ES3_N6thrust23THRUST_200600_302600_NS6detail15normal_iteratorINS9_10device_ptrIdEEEENS9_16discard_iteratorINS9_11use_defaultEEEd11max_functorIdEdEEDaPvRmT3_T4_T5_mT6_P12ihipStream_tbENKUlT_T0_E_clISt17integral_constantIbLb0EESW_IbLb1EEEEDaSS_ST_EUlSS_E0_NS1_11comp_targetILNS1_3genE0ELNS1_11target_archE4294967295ELNS1_3gpuE0ELNS1_3repE0EEENS1_30default_config_static_selectorELNS0_4arch9wavefront6targetE1EEEvT1_, .Lfunc_end3125-_ZN7rocprim17ROCPRIM_400000_NS6detail17trampoline_kernelINS0_14default_configENS1_20scan_config_selectorIdEEZZNS1_9scan_implILNS1_25lookback_scan_determinismE0ELb1ELb1ES3_N6thrust23THRUST_200600_302600_NS6detail15normal_iteratorINS9_10device_ptrIdEEEENS9_16discard_iteratorINS9_11use_defaultEEEd11max_functorIdEdEEDaPvRmT3_T4_T5_mT6_P12ihipStream_tbENKUlT_T0_E_clISt17integral_constantIbLb0EESW_IbLb1EEEEDaSS_ST_EUlSS_E0_NS1_11comp_targetILNS1_3genE0ELNS1_11target_archE4294967295ELNS1_3gpuE0ELNS1_3repE0EEENS1_30default_config_static_selectorELNS0_4arch9wavefront6targetE1EEEvT1_
                                        ; -- End function
	.section	.AMDGPU.csdata,"",@progbits
; Kernel info:
; codeLenInByte = 0
; NumSgprs: 4
; NumVgprs: 0
; NumAgprs: 0
; TotalNumVgprs: 0
; ScratchSize: 0
; MemoryBound: 0
; FloatMode: 240
; IeeeMode: 1
; LDSByteSize: 0 bytes/workgroup (compile time only)
; SGPRBlocks: 0
; VGPRBlocks: 0
; NumSGPRsForWavesPerEU: 4
; NumVGPRsForWavesPerEU: 1
; AccumOffset: 4
; Occupancy: 8
; WaveLimiterHint : 0
; COMPUTE_PGM_RSRC2:SCRATCH_EN: 0
; COMPUTE_PGM_RSRC2:USER_SGPR: 6
; COMPUTE_PGM_RSRC2:TRAP_HANDLER: 0
; COMPUTE_PGM_RSRC2:TGID_X_EN: 1
; COMPUTE_PGM_RSRC2:TGID_Y_EN: 0
; COMPUTE_PGM_RSRC2:TGID_Z_EN: 0
; COMPUTE_PGM_RSRC2:TIDIG_COMP_CNT: 0
; COMPUTE_PGM_RSRC3_GFX90A:ACCUM_OFFSET: 0
; COMPUTE_PGM_RSRC3_GFX90A:TG_SPLIT: 0
	.section	.text._ZN7rocprim17ROCPRIM_400000_NS6detail17trampoline_kernelINS0_14default_configENS1_20scan_config_selectorIdEEZZNS1_9scan_implILNS1_25lookback_scan_determinismE0ELb1ELb1ES3_N6thrust23THRUST_200600_302600_NS6detail15normal_iteratorINS9_10device_ptrIdEEEENS9_16discard_iteratorINS9_11use_defaultEEEd11max_functorIdEdEEDaPvRmT3_T4_T5_mT6_P12ihipStream_tbENKUlT_T0_E_clISt17integral_constantIbLb0EESW_IbLb1EEEEDaSS_ST_EUlSS_E0_NS1_11comp_targetILNS1_3genE5ELNS1_11target_archE942ELNS1_3gpuE9ELNS1_3repE0EEENS1_30default_config_static_selectorELNS0_4arch9wavefront6targetE1EEEvT1_,"axG",@progbits,_ZN7rocprim17ROCPRIM_400000_NS6detail17trampoline_kernelINS0_14default_configENS1_20scan_config_selectorIdEEZZNS1_9scan_implILNS1_25lookback_scan_determinismE0ELb1ELb1ES3_N6thrust23THRUST_200600_302600_NS6detail15normal_iteratorINS9_10device_ptrIdEEEENS9_16discard_iteratorINS9_11use_defaultEEEd11max_functorIdEdEEDaPvRmT3_T4_T5_mT6_P12ihipStream_tbENKUlT_T0_E_clISt17integral_constantIbLb0EESW_IbLb1EEEEDaSS_ST_EUlSS_E0_NS1_11comp_targetILNS1_3genE5ELNS1_11target_archE942ELNS1_3gpuE9ELNS1_3repE0EEENS1_30default_config_static_selectorELNS0_4arch9wavefront6targetE1EEEvT1_,comdat
	.protected	_ZN7rocprim17ROCPRIM_400000_NS6detail17trampoline_kernelINS0_14default_configENS1_20scan_config_selectorIdEEZZNS1_9scan_implILNS1_25lookback_scan_determinismE0ELb1ELb1ES3_N6thrust23THRUST_200600_302600_NS6detail15normal_iteratorINS9_10device_ptrIdEEEENS9_16discard_iteratorINS9_11use_defaultEEEd11max_functorIdEdEEDaPvRmT3_T4_T5_mT6_P12ihipStream_tbENKUlT_T0_E_clISt17integral_constantIbLb0EESW_IbLb1EEEEDaSS_ST_EUlSS_E0_NS1_11comp_targetILNS1_3genE5ELNS1_11target_archE942ELNS1_3gpuE9ELNS1_3repE0EEENS1_30default_config_static_selectorELNS0_4arch9wavefront6targetE1EEEvT1_ ; -- Begin function _ZN7rocprim17ROCPRIM_400000_NS6detail17trampoline_kernelINS0_14default_configENS1_20scan_config_selectorIdEEZZNS1_9scan_implILNS1_25lookback_scan_determinismE0ELb1ELb1ES3_N6thrust23THRUST_200600_302600_NS6detail15normal_iteratorINS9_10device_ptrIdEEEENS9_16discard_iteratorINS9_11use_defaultEEEd11max_functorIdEdEEDaPvRmT3_T4_T5_mT6_P12ihipStream_tbENKUlT_T0_E_clISt17integral_constantIbLb0EESW_IbLb1EEEEDaSS_ST_EUlSS_E0_NS1_11comp_targetILNS1_3genE5ELNS1_11target_archE942ELNS1_3gpuE9ELNS1_3repE0EEENS1_30default_config_static_selectorELNS0_4arch9wavefront6targetE1EEEvT1_
	.globl	_ZN7rocprim17ROCPRIM_400000_NS6detail17trampoline_kernelINS0_14default_configENS1_20scan_config_selectorIdEEZZNS1_9scan_implILNS1_25lookback_scan_determinismE0ELb1ELb1ES3_N6thrust23THRUST_200600_302600_NS6detail15normal_iteratorINS9_10device_ptrIdEEEENS9_16discard_iteratorINS9_11use_defaultEEEd11max_functorIdEdEEDaPvRmT3_T4_T5_mT6_P12ihipStream_tbENKUlT_T0_E_clISt17integral_constantIbLb0EESW_IbLb1EEEEDaSS_ST_EUlSS_E0_NS1_11comp_targetILNS1_3genE5ELNS1_11target_archE942ELNS1_3gpuE9ELNS1_3repE0EEENS1_30default_config_static_selectorELNS0_4arch9wavefront6targetE1EEEvT1_
	.p2align	8
	.type	_ZN7rocprim17ROCPRIM_400000_NS6detail17trampoline_kernelINS0_14default_configENS1_20scan_config_selectorIdEEZZNS1_9scan_implILNS1_25lookback_scan_determinismE0ELb1ELb1ES3_N6thrust23THRUST_200600_302600_NS6detail15normal_iteratorINS9_10device_ptrIdEEEENS9_16discard_iteratorINS9_11use_defaultEEEd11max_functorIdEdEEDaPvRmT3_T4_T5_mT6_P12ihipStream_tbENKUlT_T0_E_clISt17integral_constantIbLb0EESW_IbLb1EEEEDaSS_ST_EUlSS_E0_NS1_11comp_targetILNS1_3genE5ELNS1_11target_archE942ELNS1_3gpuE9ELNS1_3repE0EEENS1_30default_config_static_selectorELNS0_4arch9wavefront6targetE1EEEvT1_,@function
_ZN7rocprim17ROCPRIM_400000_NS6detail17trampoline_kernelINS0_14default_configENS1_20scan_config_selectorIdEEZZNS1_9scan_implILNS1_25lookback_scan_determinismE0ELb1ELb1ES3_N6thrust23THRUST_200600_302600_NS6detail15normal_iteratorINS9_10device_ptrIdEEEENS9_16discard_iteratorINS9_11use_defaultEEEd11max_functorIdEdEEDaPvRmT3_T4_T5_mT6_P12ihipStream_tbENKUlT_T0_E_clISt17integral_constantIbLb0EESW_IbLb1EEEEDaSS_ST_EUlSS_E0_NS1_11comp_targetILNS1_3genE5ELNS1_11target_archE942ELNS1_3gpuE9ELNS1_3repE0EEENS1_30default_config_static_selectorELNS0_4arch9wavefront6targetE1EEEvT1_: ; @_ZN7rocprim17ROCPRIM_400000_NS6detail17trampoline_kernelINS0_14default_configENS1_20scan_config_selectorIdEEZZNS1_9scan_implILNS1_25lookback_scan_determinismE0ELb1ELb1ES3_N6thrust23THRUST_200600_302600_NS6detail15normal_iteratorINS9_10device_ptrIdEEEENS9_16discard_iteratorINS9_11use_defaultEEEd11max_functorIdEdEEDaPvRmT3_T4_T5_mT6_P12ihipStream_tbENKUlT_T0_E_clISt17integral_constantIbLb0EESW_IbLb1EEEEDaSS_ST_EUlSS_E0_NS1_11comp_targetILNS1_3genE5ELNS1_11target_archE942ELNS1_3gpuE9ELNS1_3repE0EEENS1_30default_config_static_selectorELNS0_4arch9wavefront6targetE1EEEvT1_
; %bb.0:
	.section	.rodata,"a",@progbits
	.p2align	6, 0x0
	.amdhsa_kernel _ZN7rocprim17ROCPRIM_400000_NS6detail17trampoline_kernelINS0_14default_configENS1_20scan_config_selectorIdEEZZNS1_9scan_implILNS1_25lookback_scan_determinismE0ELb1ELb1ES3_N6thrust23THRUST_200600_302600_NS6detail15normal_iteratorINS9_10device_ptrIdEEEENS9_16discard_iteratorINS9_11use_defaultEEEd11max_functorIdEdEEDaPvRmT3_T4_T5_mT6_P12ihipStream_tbENKUlT_T0_E_clISt17integral_constantIbLb0EESW_IbLb1EEEEDaSS_ST_EUlSS_E0_NS1_11comp_targetILNS1_3genE5ELNS1_11target_archE942ELNS1_3gpuE9ELNS1_3repE0EEENS1_30default_config_static_selectorELNS0_4arch9wavefront6targetE1EEEvT1_
		.amdhsa_group_segment_fixed_size 0
		.amdhsa_private_segment_fixed_size 0
		.amdhsa_kernarg_size 48
		.amdhsa_user_sgpr_count 6
		.amdhsa_user_sgpr_private_segment_buffer 1
		.amdhsa_user_sgpr_dispatch_ptr 0
		.amdhsa_user_sgpr_queue_ptr 0
		.amdhsa_user_sgpr_kernarg_segment_ptr 1
		.amdhsa_user_sgpr_dispatch_id 0
		.amdhsa_user_sgpr_flat_scratch_init 0
		.amdhsa_user_sgpr_kernarg_preload_length 0
		.amdhsa_user_sgpr_kernarg_preload_offset 0
		.amdhsa_user_sgpr_private_segment_size 0
		.amdhsa_uses_dynamic_stack 0
		.amdhsa_system_sgpr_private_segment_wavefront_offset 0
		.amdhsa_system_sgpr_workgroup_id_x 1
		.amdhsa_system_sgpr_workgroup_id_y 0
		.amdhsa_system_sgpr_workgroup_id_z 0
		.amdhsa_system_sgpr_workgroup_info 0
		.amdhsa_system_vgpr_workitem_id 0
		.amdhsa_next_free_vgpr 1
		.amdhsa_next_free_sgpr 0
		.amdhsa_accum_offset 4
		.amdhsa_reserve_vcc 0
		.amdhsa_reserve_flat_scratch 0
		.amdhsa_float_round_mode_32 0
		.amdhsa_float_round_mode_16_64 0
		.amdhsa_float_denorm_mode_32 3
		.amdhsa_float_denorm_mode_16_64 3
		.amdhsa_dx10_clamp 1
		.amdhsa_ieee_mode 1
		.amdhsa_fp16_overflow 0
		.amdhsa_tg_split 0
		.amdhsa_exception_fp_ieee_invalid_op 0
		.amdhsa_exception_fp_denorm_src 0
		.amdhsa_exception_fp_ieee_div_zero 0
		.amdhsa_exception_fp_ieee_overflow 0
		.amdhsa_exception_fp_ieee_underflow 0
		.amdhsa_exception_fp_ieee_inexact 0
		.amdhsa_exception_int_div_zero 0
	.end_amdhsa_kernel
	.section	.text._ZN7rocprim17ROCPRIM_400000_NS6detail17trampoline_kernelINS0_14default_configENS1_20scan_config_selectorIdEEZZNS1_9scan_implILNS1_25lookback_scan_determinismE0ELb1ELb1ES3_N6thrust23THRUST_200600_302600_NS6detail15normal_iteratorINS9_10device_ptrIdEEEENS9_16discard_iteratorINS9_11use_defaultEEEd11max_functorIdEdEEDaPvRmT3_T4_T5_mT6_P12ihipStream_tbENKUlT_T0_E_clISt17integral_constantIbLb0EESW_IbLb1EEEEDaSS_ST_EUlSS_E0_NS1_11comp_targetILNS1_3genE5ELNS1_11target_archE942ELNS1_3gpuE9ELNS1_3repE0EEENS1_30default_config_static_selectorELNS0_4arch9wavefront6targetE1EEEvT1_,"axG",@progbits,_ZN7rocprim17ROCPRIM_400000_NS6detail17trampoline_kernelINS0_14default_configENS1_20scan_config_selectorIdEEZZNS1_9scan_implILNS1_25lookback_scan_determinismE0ELb1ELb1ES3_N6thrust23THRUST_200600_302600_NS6detail15normal_iteratorINS9_10device_ptrIdEEEENS9_16discard_iteratorINS9_11use_defaultEEEd11max_functorIdEdEEDaPvRmT3_T4_T5_mT6_P12ihipStream_tbENKUlT_T0_E_clISt17integral_constantIbLb0EESW_IbLb1EEEEDaSS_ST_EUlSS_E0_NS1_11comp_targetILNS1_3genE5ELNS1_11target_archE942ELNS1_3gpuE9ELNS1_3repE0EEENS1_30default_config_static_selectorELNS0_4arch9wavefront6targetE1EEEvT1_,comdat
.Lfunc_end3126:
	.size	_ZN7rocprim17ROCPRIM_400000_NS6detail17trampoline_kernelINS0_14default_configENS1_20scan_config_selectorIdEEZZNS1_9scan_implILNS1_25lookback_scan_determinismE0ELb1ELb1ES3_N6thrust23THRUST_200600_302600_NS6detail15normal_iteratorINS9_10device_ptrIdEEEENS9_16discard_iteratorINS9_11use_defaultEEEd11max_functorIdEdEEDaPvRmT3_T4_T5_mT6_P12ihipStream_tbENKUlT_T0_E_clISt17integral_constantIbLb0EESW_IbLb1EEEEDaSS_ST_EUlSS_E0_NS1_11comp_targetILNS1_3genE5ELNS1_11target_archE942ELNS1_3gpuE9ELNS1_3repE0EEENS1_30default_config_static_selectorELNS0_4arch9wavefront6targetE1EEEvT1_, .Lfunc_end3126-_ZN7rocprim17ROCPRIM_400000_NS6detail17trampoline_kernelINS0_14default_configENS1_20scan_config_selectorIdEEZZNS1_9scan_implILNS1_25lookback_scan_determinismE0ELb1ELb1ES3_N6thrust23THRUST_200600_302600_NS6detail15normal_iteratorINS9_10device_ptrIdEEEENS9_16discard_iteratorINS9_11use_defaultEEEd11max_functorIdEdEEDaPvRmT3_T4_T5_mT6_P12ihipStream_tbENKUlT_T0_E_clISt17integral_constantIbLb0EESW_IbLb1EEEEDaSS_ST_EUlSS_E0_NS1_11comp_targetILNS1_3genE5ELNS1_11target_archE942ELNS1_3gpuE9ELNS1_3repE0EEENS1_30default_config_static_selectorELNS0_4arch9wavefront6targetE1EEEvT1_
                                        ; -- End function
	.section	.AMDGPU.csdata,"",@progbits
; Kernel info:
; codeLenInByte = 0
; NumSgprs: 4
; NumVgprs: 0
; NumAgprs: 0
; TotalNumVgprs: 0
; ScratchSize: 0
; MemoryBound: 0
; FloatMode: 240
; IeeeMode: 1
; LDSByteSize: 0 bytes/workgroup (compile time only)
; SGPRBlocks: 0
; VGPRBlocks: 0
; NumSGPRsForWavesPerEU: 4
; NumVGPRsForWavesPerEU: 1
; AccumOffset: 4
; Occupancy: 8
; WaveLimiterHint : 0
; COMPUTE_PGM_RSRC2:SCRATCH_EN: 0
; COMPUTE_PGM_RSRC2:USER_SGPR: 6
; COMPUTE_PGM_RSRC2:TRAP_HANDLER: 0
; COMPUTE_PGM_RSRC2:TGID_X_EN: 1
; COMPUTE_PGM_RSRC2:TGID_Y_EN: 0
; COMPUTE_PGM_RSRC2:TGID_Z_EN: 0
; COMPUTE_PGM_RSRC2:TIDIG_COMP_CNT: 0
; COMPUTE_PGM_RSRC3_GFX90A:ACCUM_OFFSET: 0
; COMPUTE_PGM_RSRC3_GFX90A:TG_SPLIT: 0
	.section	.text._ZN7rocprim17ROCPRIM_400000_NS6detail17trampoline_kernelINS0_14default_configENS1_20scan_config_selectorIdEEZZNS1_9scan_implILNS1_25lookback_scan_determinismE0ELb1ELb1ES3_N6thrust23THRUST_200600_302600_NS6detail15normal_iteratorINS9_10device_ptrIdEEEENS9_16discard_iteratorINS9_11use_defaultEEEd11max_functorIdEdEEDaPvRmT3_T4_T5_mT6_P12ihipStream_tbENKUlT_T0_E_clISt17integral_constantIbLb0EESW_IbLb1EEEEDaSS_ST_EUlSS_E0_NS1_11comp_targetILNS1_3genE4ELNS1_11target_archE910ELNS1_3gpuE8ELNS1_3repE0EEENS1_30default_config_static_selectorELNS0_4arch9wavefront6targetE1EEEvT1_,"axG",@progbits,_ZN7rocprim17ROCPRIM_400000_NS6detail17trampoline_kernelINS0_14default_configENS1_20scan_config_selectorIdEEZZNS1_9scan_implILNS1_25lookback_scan_determinismE0ELb1ELb1ES3_N6thrust23THRUST_200600_302600_NS6detail15normal_iteratorINS9_10device_ptrIdEEEENS9_16discard_iteratorINS9_11use_defaultEEEd11max_functorIdEdEEDaPvRmT3_T4_T5_mT6_P12ihipStream_tbENKUlT_T0_E_clISt17integral_constantIbLb0EESW_IbLb1EEEEDaSS_ST_EUlSS_E0_NS1_11comp_targetILNS1_3genE4ELNS1_11target_archE910ELNS1_3gpuE8ELNS1_3repE0EEENS1_30default_config_static_selectorELNS0_4arch9wavefront6targetE1EEEvT1_,comdat
	.protected	_ZN7rocprim17ROCPRIM_400000_NS6detail17trampoline_kernelINS0_14default_configENS1_20scan_config_selectorIdEEZZNS1_9scan_implILNS1_25lookback_scan_determinismE0ELb1ELb1ES3_N6thrust23THRUST_200600_302600_NS6detail15normal_iteratorINS9_10device_ptrIdEEEENS9_16discard_iteratorINS9_11use_defaultEEEd11max_functorIdEdEEDaPvRmT3_T4_T5_mT6_P12ihipStream_tbENKUlT_T0_E_clISt17integral_constantIbLb0EESW_IbLb1EEEEDaSS_ST_EUlSS_E0_NS1_11comp_targetILNS1_3genE4ELNS1_11target_archE910ELNS1_3gpuE8ELNS1_3repE0EEENS1_30default_config_static_selectorELNS0_4arch9wavefront6targetE1EEEvT1_ ; -- Begin function _ZN7rocprim17ROCPRIM_400000_NS6detail17trampoline_kernelINS0_14default_configENS1_20scan_config_selectorIdEEZZNS1_9scan_implILNS1_25lookback_scan_determinismE0ELb1ELb1ES3_N6thrust23THRUST_200600_302600_NS6detail15normal_iteratorINS9_10device_ptrIdEEEENS9_16discard_iteratorINS9_11use_defaultEEEd11max_functorIdEdEEDaPvRmT3_T4_T5_mT6_P12ihipStream_tbENKUlT_T0_E_clISt17integral_constantIbLb0EESW_IbLb1EEEEDaSS_ST_EUlSS_E0_NS1_11comp_targetILNS1_3genE4ELNS1_11target_archE910ELNS1_3gpuE8ELNS1_3repE0EEENS1_30default_config_static_selectorELNS0_4arch9wavefront6targetE1EEEvT1_
	.globl	_ZN7rocprim17ROCPRIM_400000_NS6detail17trampoline_kernelINS0_14default_configENS1_20scan_config_selectorIdEEZZNS1_9scan_implILNS1_25lookback_scan_determinismE0ELb1ELb1ES3_N6thrust23THRUST_200600_302600_NS6detail15normal_iteratorINS9_10device_ptrIdEEEENS9_16discard_iteratorINS9_11use_defaultEEEd11max_functorIdEdEEDaPvRmT3_T4_T5_mT6_P12ihipStream_tbENKUlT_T0_E_clISt17integral_constantIbLb0EESW_IbLb1EEEEDaSS_ST_EUlSS_E0_NS1_11comp_targetILNS1_3genE4ELNS1_11target_archE910ELNS1_3gpuE8ELNS1_3repE0EEENS1_30default_config_static_selectorELNS0_4arch9wavefront6targetE1EEEvT1_
	.p2align	8
	.type	_ZN7rocprim17ROCPRIM_400000_NS6detail17trampoline_kernelINS0_14default_configENS1_20scan_config_selectorIdEEZZNS1_9scan_implILNS1_25lookback_scan_determinismE0ELb1ELb1ES3_N6thrust23THRUST_200600_302600_NS6detail15normal_iteratorINS9_10device_ptrIdEEEENS9_16discard_iteratorINS9_11use_defaultEEEd11max_functorIdEdEEDaPvRmT3_T4_T5_mT6_P12ihipStream_tbENKUlT_T0_E_clISt17integral_constantIbLb0EESW_IbLb1EEEEDaSS_ST_EUlSS_E0_NS1_11comp_targetILNS1_3genE4ELNS1_11target_archE910ELNS1_3gpuE8ELNS1_3repE0EEENS1_30default_config_static_selectorELNS0_4arch9wavefront6targetE1EEEvT1_,@function
_ZN7rocprim17ROCPRIM_400000_NS6detail17trampoline_kernelINS0_14default_configENS1_20scan_config_selectorIdEEZZNS1_9scan_implILNS1_25lookback_scan_determinismE0ELb1ELb1ES3_N6thrust23THRUST_200600_302600_NS6detail15normal_iteratorINS9_10device_ptrIdEEEENS9_16discard_iteratorINS9_11use_defaultEEEd11max_functorIdEdEEDaPvRmT3_T4_T5_mT6_P12ihipStream_tbENKUlT_T0_E_clISt17integral_constantIbLb0EESW_IbLb1EEEEDaSS_ST_EUlSS_E0_NS1_11comp_targetILNS1_3genE4ELNS1_11target_archE910ELNS1_3gpuE8ELNS1_3repE0EEENS1_30default_config_static_selectorELNS0_4arch9wavefront6targetE1EEEvT1_: ; @_ZN7rocprim17ROCPRIM_400000_NS6detail17trampoline_kernelINS0_14default_configENS1_20scan_config_selectorIdEEZZNS1_9scan_implILNS1_25lookback_scan_determinismE0ELb1ELb1ES3_N6thrust23THRUST_200600_302600_NS6detail15normal_iteratorINS9_10device_ptrIdEEEENS9_16discard_iteratorINS9_11use_defaultEEEd11max_functorIdEdEEDaPvRmT3_T4_T5_mT6_P12ihipStream_tbENKUlT_T0_E_clISt17integral_constantIbLb0EESW_IbLb1EEEEDaSS_ST_EUlSS_E0_NS1_11comp_targetILNS1_3genE4ELNS1_11target_archE910ELNS1_3gpuE8ELNS1_3repE0EEENS1_30default_config_static_selectorELNS0_4arch9wavefront6targetE1EEEvT1_
; %bb.0:
	s_load_dwordx4 s[0:3], s[4:5], 0x0
	v_lshlrev_b32_e32 v1, 3, v0
	s_waitcnt lgkmcnt(0)
	s_load_dwordx2 s[6:7], s[0:1], 0x0
	v_cmp_gt_u32_e32 vcc, s2, v0
	s_waitcnt lgkmcnt(0)
	v_pk_mov_b32 v[2:3], s[6:7], s[6:7] op_sel:[0,1]
	s_and_saveexec_b64 s[8:9], vcc
	s_cbranch_execz .LBB3127_2
; %bb.1:
	global_load_dwordx2 v[2:3], v1, s[0:1]
.LBB3127_2:
	s_or_b64 exec, exec, s[8:9]
	v_or_b32_e32 v4, 0x80, v0
	v_cmp_gt_u32_e32 vcc, s2, v4
	v_pk_mov_b32 v[4:5], s[6:7], s[6:7] op_sel:[0,1]
	s_and_saveexec_b64 s[8:9], vcc
	s_cbranch_execz .LBB3127_4
; %bb.3:
	global_load_dwordx2 v[4:5], v1, s[0:1] offset:1024
.LBB3127_4:
	s_or_b64 exec, exec, s[8:9]
	v_or_b32_e32 v6, 0x100, v0
	v_cmp_gt_u32_e32 vcc, s2, v6
	v_pk_mov_b32 v[6:7], s[6:7], s[6:7] op_sel:[0,1]
	s_and_saveexec_b64 s[8:9], vcc
	s_cbranch_execz .LBB3127_6
; %bb.5:
	global_load_dwordx2 v[6:7], v1, s[0:1] offset:2048
.LBB3127_6:
	;; [unrolled: 9-line block ×3, first 2 shown]
	s_or_b64 exec, exec, s[8:9]
	v_or_b32_e32 v12, 0x200, v0
	v_cmp_gt_u32_e32 vcc, s2, v12
	v_pk_mov_b32 v[10:11], s[6:7], s[6:7] op_sel:[0,1]
	s_and_saveexec_b64 s[8:9], vcc
	s_cbranch_execz .LBB3127_10
; %bb.9:
	v_lshlrev_b32_e32 v10, 3, v12
	global_load_dwordx2 v[10:11], v10, s[0:1]
.LBB3127_10:
	s_or_b64 exec, exec, s[8:9]
	v_or_b32_e32 v14, 0x280, v0
	v_cmp_gt_u32_e32 vcc, s2, v14
	v_pk_mov_b32 v[12:13], s[6:7], s[6:7] op_sel:[0,1]
	s_and_saveexec_b64 s[8:9], vcc
	s_cbranch_execz .LBB3127_12
; %bb.11:
	v_lshlrev_b32_e32 v12, 3, v14
	global_load_dwordx2 v[12:13], v12, s[0:1]
.LBB3127_12:
	;; [unrolled: 10-line block ×6, first 2 shown]
	s_or_b64 exec, exec, s[2:3]
	s_movk_i32 s0, 0x48
	s_waitcnt vmcnt(0)
	ds_write2st64_b64 v1, v[2:3], v[4:5] offset1:2
	ds_write2st64_b64 v1, v[6:7], v[8:9] offset0:4 offset1:6
	ds_write2st64_b64 v1, v[10:11], v[12:13] offset0:8 offset1:10
	ds_write2st64_b64 v1, v[14:15], v[16:17] offset0:12 offset1:14
	ds_write2st64_b64 v1, v[18:19], v[20:21] offset0:16 offset1:18
	v_mad_u32_u24 v14, v0, s0, v1
	s_waitcnt lgkmcnt(0)
	s_barrier
	ds_read_b128 v[18:21], v14
	ds_read_b128 v[10:13], v14 offset:16
	ds_read_b128 v[6:9], v14 offset:32
	;; [unrolled: 1-line block ×4, first 2 shown]
	s_waitcnt lgkmcnt(4)
	v_cmp_lt_f64_e32 vcc, v[18:19], v[20:21]
	v_cndmask_b32_e32 v23, v19, v21, vcc
	v_cndmask_b32_e32 v22, v18, v20, vcc
	s_waitcnt lgkmcnt(3)
	v_cmp_lt_f64_e32 vcc, v[22:23], v[10:11]
	v_cndmask_b32_e32 v23, v23, v11, vcc
	v_cndmask_b32_e32 v22, v22, v10, vcc
	v_cmp_lt_f64_e32 vcc, v[22:23], v[12:13]
	v_cndmask_b32_e32 v23, v23, v13, vcc
	v_cndmask_b32_e32 v22, v22, v12, vcc
	s_waitcnt lgkmcnt(2)
	v_cmp_lt_f64_e32 vcc, v[22:23], v[6:7]
	v_cndmask_b32_e32 v23, v23, v7, vcc
	v_cndmask_b32_e32 v22, v22, v6, vcc
	v_cmp_lt_f64_e32 vcc, v[22:23], v[8:9]
	v_cndmask_b32_e32 v23, v23, v9, vcc
	v_cndmask_b32_e32 v22, v22, v8, vcc
	s_waitcnt lgkmcnt(1)
	v_cmp_lt_f64_e32 vcc, v[22:23], v[2:3]
	v_cndmask_b32_e32 v23, v23, v3, vcc
	v_cndmask_b32_e32 v22, v22, v2, vcc
	v_cmp_lt_f64_e32 vcc, v[22:23], v[4:5]
	v_cndmask_b32_e32 v23, v23, v5, vcc
	v_cndmask_b32_e32 v22, v22, v4, vcc
	s_waitcnt lgkmcnt(0)
	v_cmp_lt_f64_e32 vcc, v[22:23], v[14:15]
	v_cndmask_b32_e32 v23, v23, v15, vcc
	v_cndmask_b32_e32 v22, v22, v14, vcc
	v_cmp_lt_f64_e32 vcc, v[22:23], v[16:17]
	v_cndmask_b32_e32 v16, v22, v16, vcc
	v_mbcnt_lo_u32_b32 v22, -1, 0
	v_mbcnt_hi_u32_b32 v24, -1, v22
	v_cndmask_b32_e32 v17, v23, v17, vcc
	v_and_b32_e32 v25, 15, v24
	v_mov_b32_dpp v22, v16 row_shr:1 row_mask:0xf bank_mask:0xf
	v_mov_b32_dpp v23, v17 row_shr:1 row_mask:0xf bank_mask:0xf
	v_cmp_ne_u32_e32 vcc, 0, v25
	s_barrier
	s_and_saveexec_b64 s[0:1], vcc
; %bb.21:
	v_cmp_gt_f64_e32 vcc, v[16:17], v[22:23]
	v_cndmask_b32_e32 v17, v23, v17, vcc
	v_cndmask_b32_e32 v16, v22, v16, vcc
; %bb.22:
	s_or_b64 exec, exec, s[0:1]
	s_nop 0
	v_mov_b32_dpp v22, v16 row_shr:2 row_mask:0xf bank_mask:0xf
	v_mov_b32_dpp v23, v17 row_shr:2 row_mask:0xf bank_mask:0xf
	v_cmp_lt_u32_e32 vcc, 1, v25
	s_and_saveexec_b64 s[0:1], vcc
; %bb.23:
	v_cmp_gt_f64_e32 vcc, v[16:17], v[22:23]
	v_cndmask_b32_e32 v17, v23, v17, vcc
	v_cndmask_b32_e32 v16, v22, v16, vcc
; %bb.24:
	s_or_b64 exec, exec, s[0:1]
	s_nop 0
	v_mov_b32_dpp v22, v16 row_shr:4 row_mask:0xf bank_mask:0xf
	v_mov_b32_dpp v23, v17 row_shr:4 row_mask:0xf bank_mask:0xf
	v_cmp_lt_u32_e32 vcc, 3, v25
	;; [unrolled: 11-line block ×3, first 2 shown]
	s_and_saveexec_b64 s[0:1], vcc
; %bb.27:
	v_cmp_gt_f64_e32 vcc, v[16:17], v[22:23]
	v_cndmask_b32_e32 v17, v23, v17, vcc
	v_cndmask_b32_e32 v16, v22, v16, vcc
; %bb.28:
	s_or_b64 exec, exec, s[0:1]
	s_load_dwordx2 s[2:3], s[4:5], 0x10
	v_and_b32_e32 v25, 16, v24
	v_mov_b32_dpp v22, v16 row_bcast:15 row_mask:0xf bank_mask:0xf
	v_mov_b32_dpp v23, v17 row_bcast:15 row_mask:0xf bank_mask:0xf
	v_cmp_ne_u32_e32 vcc, 0, v25
	s_and_saveexec_b64 s[0:1], vcc
; %bb.29:
	v_cmp_gt_f64_e32 vcc, v[16:17], v[22:23]
	v_cndmask_b32_e32 v17, v23, v17, vcc
	v_cndmask_b32_e32 v16, v22, v16, vcc
; %bb.30:
	s_or_b64 exec, exec, s[0:1]
	s_nop 0
	v_mov_b32_dpp v22, v16 row_bcast:31 row_mask:0xf bank_mask:0xf
	v_mov_b32_dpp v23, v17 row_bcast:31 row_mask:0xf bank_mask:0xf
	v_cmp_gt_f64_e32 vcc, v[16:17], v[22:23]
	v_cndmask_b32_e32 v22, v22, v16, vcc
	v_cndmask_b32_e32 v23, v23, v17, vcc
	v_cmp_lt_u32_e32 vcc, 31, v24
	v_cndmask_b32_e32 v16, v16, v22, vcc
	v_or_b32_e32 v22, 63, v0
	v_cndmask_b32_e32 v17, v17, v23, vcc
	v_lshrrev_b32_e32 v26, 6, v0
	v_cmp_eq_u32_e32 vcc, v22, v0
	s_and_saveexec_b64 s[0:1], vcc
	s_cbranch_execz .LBB3127_32
; %bb.31:
	v_lshlrev_b32_e32 v22, 3, v26
	ds_write_b64 v22, v[16:17]
.LBB3127_32:
	s_or_b64 exec, exec, s[0:1]
	v_cmp_gt_u32_e32 vcc, 2, v0
	s_waitcnt lgkmcnt(0)
	s_barrier
	s_and_saveexec_b64 s[4:5], vcc
	s_cbranch_execz .LBB3127_34
; %bb.33:
	ds_read_b64 v[22:23], v1
	v_and_b32_e32 v25, 1, v24
	v_cmp_eq_u32_e32 vcc, 0, v25
	s_waitcnt lgkmcnt(0)
	v_mov_b32_dpp v30, v23 row_shr:1 row_mask:0xf bank_mask:0xf
	v_mov_b32_dpp v28, v22 row_shr:1 row_mask:0xf bank_mask:0xf
	v_mov_b32_e32 v29, v30
	v_cmp_gt_f64_e64 s[0:1], v[22:23], v[28:29]
	s_or_b64 vcc, vcc, s[0:1]
	v_cndmask_b32_e32 v23, v30, v23, vcc
	v_cndmask_b32_e32 v22, v28, v22, vcc
	ds_write_b64 v1, v[22:23]
.LBB3127_34:
	s_or_b64 exec, exec, s[4:5]
	v_mul_u32_u24_e32 v25, 0x48, v0
	v_cmp_lt_u32_e32 vcc, 63, v0
	v_pk_mov_b32 v[22:23], s[2:3], s[2:3] op_sel:[0,1]
	s_waitcnt lgkmcnt(0)
	s_barrier
	s_and_saveexec_b64 s[0:1], vcc
	s_cbranch_execz .LBB3127_36
; %bb.35:
	v_lshl_add_u32 v22, v26, 3, -8
	ds_read_b64 v[22:23], v22
	v_mov_b32_e32 v26, s3
	s_waitcnt lgkmcnt(0)
	v_cmp_lt_f64_e32 vcc, s[2:3], v[22:23]
	v_cndmask_b32_e32 v23, v26, v23, vcc
	v_mov_b32_e32 v26, s2
	v_cndmask_b32_e32 v22, v26, v22, vcc
.LBB3127_36:
	s_or_b64 exec, exec, s[0:1]
	v_cmp_lt_f64_e32 vcc, v[22:23], v[16:17]
	v_add_u32_e32 v26, -1, v24
	v_and_b32_e32 v27, 64, v24
	v_cndmask_b32_e32 v17, v23, v17, vcc
	v_cndmask_b32_e32 v16, v22, v16, vcc
	v_cmp_lt_i32_e32 vcc, v26, v27
	v_cndmask_b32_e32 v26, v26, v24, vcc
	v_lshlrev_b32_e32 v26, 2, v26
	ds_bpermute_b32 v16, v26, v16
	ds_bpermute_b32 v17, v26, v17
	v_cmp_eq_u32_e32 vcc, 0, v24
	s_waitcnt lgkmcnt(0)
	s_barrier
	v_cndmask_b32_e32 v16, v16, v22, vcc
	v_cndmask_b32_e32 v17, v17, v23, vcc
	v_mov_b32_e32 v22, s3
	v_cmp_eq_u32_e32 vcc, 0, v0
	v_mov_b32_e32 v0, s2
	v_cndmask_b32_e32 v17, v17, v22, vcc
	v_cndmask_b32_e32 v16, v16, v0, vcc
	v_cmp_lt_f64_e32 vcc, v[16:17], v[18:19]
	v_cndmask_b32_e32 v19, v17, v19, vcc
	v_cndmask_b32_e32 v18, v16, v18, vcc
	v_cmp_lt_f64_e32 vcc, v[18:19], v[20:21]
	;; [unrolled: 3-line block ×9, first 2 shown]
	v_add_u32_e32 v0, v1, v25
	v_cndmask_b32_e32 v5, v3, v15, vcc
	v_cndmask_b32_e32 v4, v2, v14, vcc
	ds_write_b128 v0, v[16:19]
	ds_write_b128 v0, v[20:23] offset:16
	ds_write_b128 v0, v[10:13] offset:32
	;; [unrolled: 1-line block ×4, first 2 shown]
	s_waitcnt lgkmcnt(0)
	s_barrier
	s_endpgm
	.section	.rodata,"a",@progbits
	.p2align	6, 0x0
	.amdhsa_kernel _ZN7rocprim17ROCPRIM_400000_NS6detail17trampoline_kernelINS0_14default_configENS1_20scan_config_selectorIdEEZZNS1_9scan_implILNS1_25lookback_scan_determinismE0ELb1ELb1ES3_N6thrust23THRUST_200600_302600_NS6detail15normal_iteratorINS9_10device_ptrIdEEEENS9_16discard_iteratorINS9_11use_defaultEEEd11max_functorIdEdEEDaPvRmT3_T4_T5_mT6_P12ihipStream_tbENKUlT_T0_E_clISt17integral_constantIbLb0EESW_IbLb1EEEEDaSS_ST_EUlSS_E0_NS1_11comp_targetILNS1_3genE4ELNS1_11target_archE910ELNS1_3gpuE8ELNS1_3repE0EEENS1_30default_config_static_selectorELNS0_4arch9wavefront6targetE1EEEvT1_
		.amdhsa_group_segment_fixed_size 10240
		.amdhsa_private_segment_fixed_size 0
		.amdhsa_kernarg_size 48
		.amdhsa_user_sgpr_count 6
		.amdhsa_user_sgpr_private_segment_buffer 1
		.amdhsa_user_sgpr_dispatch_ptr 0
		.amdhsa_user_sgpr_queue_ptr 0
		.amdhsa_user_sgpr_kernarg_segment_ptr 1
		.amdhsa_user_sgpr_dispatch_id 0
		.amdhsa_user_sgpr_flat_scratch_init 0
		.amdhsa_user_sgpr_kernarg_preload_length 0
		.amdhsa_user_sgpr_kernarg_preload_offset 0
		.amdhsa_user_sgpr_private_segment_size 0
		.amdhsa_uses_dynamic_stack 0
		.amdhsa_system_sgpr_private_segment_wavefront_offset 0
		.amdhsa_system_sgpr_workgroup_id_x 1
		.amdhsa_system_sgpr_workgroup_id_y 0
		.amdhsa_system_sgpr_workgroup_id_z 0
		.amdhsa_system_sgpr_workgroup_info 0
		.amdhsa_system_vgpr_workitem_id 0
		.amdhsa_next_free_vgpr 31
		.amdhsa_next_free_sgpr 10
		.amdhsa_accum_offset 32
		.amdhsa_reserve_vcc 1
		.amdhsa_reserve_flat_scratch 0
		.amdhsa_float_round_mode_32 0
		.amdhsa_float_round_mode_16_64 0
		.amdhsa_float_denorm_mode_32 3
		.amdhsa_float_denorm_mode_16_64 3
		.amdhsa_dx10_clamp 1
		.amdhsa_ieee_mode 1
		.amdhsa_fp16_overflow 0
		.amdhsa_tg_split 0
		.amdhsa_exception_fp_ieee_invalid_op 0
		.amdhsa_exception_fp_denorm_src 0
		.amdhsa_exception_fp_ieee_div_zero 0
		.amdhsa_exception_fp_ieee_overflow 0
		.amdhsa_exception_fp_ieee_underflow 0
		.amdhsa_exception_fp_ieee_inexact 0
		.amdhsa_exception_int_div_zero 0
	.end_amdhsa_kernel
	.section	.text._ZN7rocprim17ROCPRIM_400000_NS6detail17trampoline_kernelINS0_14default_configENS1_20scan_config_selectorIdEEZZNS1_9scan_implILNS1_25lookback_scan_determinismE0ELb1ELb1ES3_N6thrust23THRUST_200600_302600_NS6detail15normal_iteratorINS9_10device_ptrIdEEEENS9_16discard_iteratorINS9_11use_defaultEEEd11max_functorIdEdEEDaPvRmT3_T4_T5_mT6_P12ihipStream_tbENKUlT_T0_E_clISt17integral_constantIbLb0EESW_IbLb1EEEEDaSS_ST_EUlSS_E0_NS1_11comp_targetILNS1_3genE4ELNS1_11target_archE910ELNS1_3gpuE8ELNS1_3repE0EEENS1_30default_config_static_selectorELNS0_4arch9wavefront6targetE1EEEvT1_,"axG",@progbits,_ZN7rocprim17ROCPRIM_400000_NS6detail17trampoline_kernelINS0_14default_configENS1_20scan_config_selectorIdEEZZNS1_9scan_implILNS1_25lookback_scan_determinismE0ELb1ELb1ES3_N6thrust23THRUST_200600_302600_NS6detail15normal_iteratorINS9_10device_ptrIdEEEENS9_16discard_iteratorINS9_11use_defaultEEEd11max_functorIdEdEEDaPvRmT3_T4_T5_mT6_P12ihipStream_tbENKUlT_T0_E_clISt17integral_constantIbLb0EESW_IbLb1EEEEDaSS_ST_EUlSS_E0_NS1_11comp_targetILNS1_3genE4ELNS1_11target_archE910ELNS1_3gpuE8ELNS1_3repE0EEENS1_30default_config_static_selectorELNS0_4arch9wavefront6targetE1EEEvT1_,comdat
.Lfunc_end3127:
	.size	_ZN7rocprim17ROCPRIM_400000_NS6detail17trampoline_kernelINS0_14default_configENS1_20scan_config_selectorIdEEZZNS1_9scan_implILNS1_25lookback_scan_determinismE0ELb1ELb1ES3_N6thrust23THRUST_200600_302600_NS6detail15normal_iteratorINS9_10device_ptrIdEEEENS9_16discard_iteratorINS9_11use_defaultEEEd11max_functorIdEdEEDaPvRmT3_T4_T5_mT6_P12ihipStream_tbENKUlT_T0_E_clISt17integral_constantIbLb0EESW_IbLb1EEEEDaSS_ST_EUlSS_E0_NS1_11comp_targetILNS1_3genE4ELNS1_11target_archE910ELNS1_3gpuE8ELNS1_3repE0EEENS1_30default_config_static_selectorELNS0_4arch9wavefront6targetE1EEEvT1_, .Lfunc_end3127-_ZN7rocprim17ROCPRIM_400000_NS6detail17trampoline_kernelINS0_14default_configENS1_20scan_config_selectorIdEEZZNS1_9scan_implILNS1_25lookback_scan_determinismE0ELb1ELb1ES3_N6thrust23THRUST_200600_302600_NS6detail15normal_iteratorINS9_10device_ptrIdEEEENS9_16discard_iteratorINS9_11use_defaultEEEd11max_functorIdEdEEDaPvRmT3_T4_T5_mT6_P12ihipStream_tbENKUlT_T0_E_clISt17integral_constantIbLb0EESW_IbLb1EEEEDaSS_ST_EUlSS_E0_NS1_11comp_targetILNS1_3genE4ELNS1_11target_archE910ELNS1_3gpuE8ELNS1_3repE0EEENS1_30default_config_static_selectorELNS0_4arch9wavefront6targetE1EEEvT1_
                                        ; -- End function
	.section	.AMDGPU.csdata,"",@progbits
; Kernel info:
; codeLenInByte = 1428
; NumSgprs: 14
; NumVgprs: 31
; NumAgprs: 0
; TotalNumVgprs: 31
; ScratchSize: 0
; MemoryBound: 0
; FloatMode: 240
; IeeeMode: 1
; LDSByteSize: 10240 bytes/workgroup (compile time only)
; SGPRBlocks: 1
; VGPRBlocks: 3
; NumSGPRsForWavesPerEU: 14
; NumVGPRsForWavesPerEU: 31
; AccumOffset: 32
; Occupancy: 3
; WaveLimiterHint : 0
; COMPUTE_PGM_RSRC2:SCRATCH_EN: 0
; COMPUTE_PGM_RSRC2:USER_SGPR: 6
; COMPUTE_PGM_RSRC2:TRAP_HANDLER: 0
; COMPUTE_PGM_RSRC2:TGID_X_EN: 1
; COMPUTE_PGM_RSRC2:TGID_Y_EN: 0
; COMPUTE_PGM_RSRC2:TGID_Z_EN: 0
; COMPUTE_PGM_RSRC2:TIDIG_COMP_CNT: 0
; COMPUTE_PGM_RSRC3_GFX90A:ACCUM_OFFSET: 7
; COMPUTE_PGM_RSRC3_GFX90A:TG_SPLIT: 0
	.section	.text._ZN7rocprim17ROCPRIM_400000_NS6detail17trampoline_kernelINS0_14default_configENS1_20scan_config_selectorIdEEZZNS1_9scan_implILNS1_25lookback_scan_determinismE0ELb1ELb1ES3_N6thrust23THRUST_200600_302600_NS6detail15normal_iteratorINS9_10device_ptrIdEEEENS9_16discard_iteratorINS9_11use_defaultEEEd11max_functorIdEdEEDaPvRmT3_T4_T5_mT6_P12ihipStream_tbENKUlT_T0_E_clISt17integral_constantIbLb0EESW_IbLb1EEEEDaSS_ST_EUlSS_E0_NS1_11comp_targetILNS1_3genE3ELNS1_11target_archE908ELNS1_3gpuE7ELNS1_3repE0EEENS1_30default_config_static_selectorELNS0_4arch9wavefront6targetE1EEEvT1_,"axG",@progbits,_ZN7rocprim17ROCPRIM_400000_NS6detail17trampoline_kernelINS0_14default_configENS1_20scan_config_selectorIdEEZZNS1_9scan_implILNS1_25lookback_scan_determinismE0ELb1ELb1ES3_N6thrust23THRUST_200600_302600_NS6detail15normal_iteratorINS9_10device_ptrIdEEEENS9_16discard_iteratorINS9_11use_defaultEEEd11max_functorIdEdEEDaPvRmT3_T4_T5_mT6_P12ihipStream_tbENKUlT_T0_E_clISt17integral_constantIbLb0EESW_IbLb1EEEEDaSS_ST_EUlSS_E0_NS1_11comp_targetILNS1_3genE3ELNS1_11target_archE908ELNS1_3gpuE7ELNS1_3repE0EEENS1_30default_config_static_selectorELNS0_4arch9wavefront6targetE1EEEvT1_,comdat
	.protected	_ZN7rocprim17ROCPRIM_400000_NS6detail17trampoline_kernelINS0_14default_configENS1_20scan_config_selectorIdEEZZNS1_9scan_implILNS1_25lookback_scan_determinismE0ELb1ELb1ES3_N6thrust23THRUST_200600_302600_NS6detail15normal_iteratorINS9_10device_ptrIdEEEENS9_16discard_iteratorINS9_11use_defaultEEEd11max_functorIdEdEEDaPvRmT3_T4_T5_mT6_P12ihipStream_tbENKUlT_T0_E_clISt17integral_constantIbLb0EESW_IbLb1EEEEDaSS_ST_EUlSS_E0_NS1_11comp_targetILNS1_3genE3ELNS1_11target_archE908ELNS1_3gpuE7ELNS1_3repE0EEENS1_30default_config_static_selectorELNS0_4arch9wavefront6targetE1EEEvT1_ ; -- Begin function _ZN7rocprim17ROCPRIM_400000_NS6detail17trampoline_kernelINS0_14default_configENS1_20scan_config_selectorIdEEZZNS1_9scan_implILNS1_25lookback_scan_determinismE0ELb1ELb1ES3_N6thrust23THRUST_200600_302600_NS6detail15normal_iteratorINS9_10device_ptrIdEEEENS9_16discard_iteratorINS9_11use_defaultEEEd11max_functorIdEdEEDaPvRmT3_T4_T5_mT6_P12ihipStream_tbENKUlT_T0_E_clISt17integral_constantIbLb0EESW_IbLb1EEEEDaSS_ST_EUlSS_E0_NS1_11comp_targetILNS1_3genE3ELNS1_11target_archE908ELNS1_3gpuE7ELNS1_3repE0EEENS1_30default_config_static_selectorELNS0_4arch9wavefront6targetE1EEEvT1_
	.globl	_ZN7rocprim17ROCPRIM_400000_NS6detail17trampoline_kernelINS0_14default_configENS1_20scan_config_selectorIdEEZZNS1_9scan_implILNS1_25lookback_scan_determinismE0ELb1ELb1ES3_N6thrust23THRUST_200600_302600_NS6detail15normal_iteratorINS9_10device_ptrIdEEEENS9_16discard_iteratorINS9_11use_defaultEEEd11max_functorIdEdEEDaPvRmT3_T4_T5_mT6_P12ihipStream_tbENKUlT_T0_E_clISt17integral_constantIbLb0EESW_IbLb1EEEEDaSS_ST_EUlSS_E0_NS1_11comp_targetILNS1_3genE3ELNS1_11target_archE908ELNS1_3gpuE7ELNS1_3repE0EEENS1_30default_config_static_selectorELNS0_4arch9wavefront6targetE1EEEvT1_
	.p2align	8
	.type	_ZN7rocprim17ROCPRIM_400000_NS6detail17trampoline_kernelINS0_14default_configENS1_20scan_config_selectorIdEEZZNS1_9scan_implILNS1_25lookback_scan_determinismE0ELb1ELb1ES3_N6thrust23THRUST_200600_302600_NS6detail15normal_iteratorINS9_10device_ptrIdEEEENS9_16discard_iteratorINS9_11use_defaultEEEd11max_functorIdEdEEDaPvRmT3_T4_T5_mT6_P12ihipStream_tbENKUlT_T0_E_clISt17integral_constantIbLb0EESW_IbLb1EEEEDaSS_ST_EUlSS_E0_NS1_11comp_targetILNS1_3genE3ELNS1_11target_archE908ELNS1_3gpuE7ELNS1_3repE0EEENS1_30default_config_static_selectorELNS0_4arch9wavefront6targetE1EEEvT1_,@function
_ZN7rocprim17ROCPRIM_400000_NS6detail17trampoline_kernelINS0_14default_configENS1_20scan_config_selectorIdEEZZNS1_9scan_implILNS1_25lookback_scan_determinismE0ELb1ELb1ES3_N6thrust23THRUST_200600_302600_NS6detail15normal_iteratorINS9_10device_ptrIdEEEENS9_16discard_iteratorINS9_11use_defaultEEEd11max_functorIdEdEEDaPvRmT3_T4_T5_mT6_P12ihipStream_tbENKUlT_T0_E_clISt17integral_constantIbLb0EESW_IbLb1EEEEDaSS_ST_EUlSS_E0_NS1_11comp_targetILNS1_3genE3ELNS1_11target_archE908ELNS1_3gpuE7ELNS1_3repE0EEENS1_30default_config_static_selectorELNS0_4arch9wavefront6targetE1EEEvT1_: ; @_ZN7rocprim17ROCPRIM_400000_NS6detail17trampoline_kernelINS0_14default_configENS1_20scan_config_selectorIdEEZZNS1_9scan_implILNS1_25lookback_scan_determinismE0ELb1ELb1ES3_N6thrust23THRUST_200600_302600_NS6detail15normal_iteratorINS9_10device_ptrIdEEEENS9_16discard_iteratorINS9_11use_defaultEEEd11max_functorIdEdEEDaPvRmT3_T4_T5_mT6_P12ihipStream_tbENKUlT_T0_E_clISt17integral_constantIbLb0EESW_IbLb1EEEEDaSS_ST_EUlSS_E0_NS1_11comp_targetILNS1_3genE3ELNS1_11target_archE908ELNS1_3gpuE7ELNS1_3repE0EEENS1_30default_config_static_selectorELNS0_4arch9wavefront6targetE1EEEvT1_
; %bb.0:
	.section	.rodata,"a",@progbits
	.p2align	6, 0x0
	.amdhsa_kernel _ZN7rocprim17ROCPRIM_400000_NS6detail17trampoline_kernelINS0_14default_configENS1_20scan_config_selectorIdEEZZNS1_9scan_implILNS1_25lookback_scan_determinismE0ELb1ELb1ES3_N6thrust23THRUST_200600_302600_NS6detail15normal_iteratorINS9_10device_ptrIdEEEENS9_16discard_iteratorINS9_11use_defaultEEEd11max_functorIdEdEEDaPvRmT3_T4_T5_mT6_P12ihipStream_tbENKUlT_T0_E_clISt17integral_constantIbLb0EESW_IbLb1EEEEDaSS_ST_EUlSS_E0_NS1_11comp_targetILNS1_3genE3ELNS1_11target_archE908ELNS1_3gpuE7ELNS1_3repE0EEENS1_30default_config_static_selectorELNS0_4arch9wavefront6targetE1EEEvT1_
		.amdhsa_group_segment_fixed_size 0
		.amdhsa_private_segment_fixed_size 0
		.amdhsa_kernarg_size 48
		.amdhsa_user_sgpr_count 6
		.amdhsa_user_sgpr_private_segment_buffer 1
		.amdhsa_user_sgpr_dispatch_ptr 0
		.amdhsa_user_sgpr_queue_ptr 0
		.amdhsa_user_sgpr_kernarg_segment_ptr 1
		.amdhsa_user_sgpr_dispatch_id 0
		.amdhsa_user_sgpr_flat_scratch_init 0
		.amdhsa_user_sgpr_kernarg_preload_length 0
		.amdhsa_user_sgpr_kernarg_preload_offset 0
		.amdhsa_user_sgpr_private_segment_size 0
		.amdhsa_uses_dynamic_stack 0
		.amdhsa_system_sgpr_private_segment_wavefront_offset 0
		.amdhsa_system_sgpr_workgroup_id_x 1
		.amdhsa_system_sgpr_workgroup_id_y 0
		.amdhsa_system_sgpr_workgroup_id_z 0
		.amdhsa_system_sgpr_workgroup_info 0
		.amdhsa_system_vgpr_workitem_id 0
		.amdhsa_next_free_vgpr 1
		.amdhsa_next_free_sgpr 0
		.amdhsa_accum_offset 4
		.amdhsa_reserve_vcc 0
		.amdhsa_reserve_flat_scratch 0
		.amdhsa_float_round_mode_32 0
		.amdhsa_float_round_mode_16_64 0
		.amdhsa_float_denorm_mode_32 3
		.amdhsa_float_denorm_mode_16_64 3
		.amdhsa_dx10_clamp 1
		.amdhsa_ieee_mode 1
		.amdhsa_fp16_overflow 0
		.amdhsa_tg_split 0
		.amdhsa_exception_fp_ieee_invalid_op 0
		.amdhsa_exception_fp_denorm_src 0
		.amdhsa_exception_fp_ieee_div_zero 0
		.amdhsa_exception_fp_ieee_overflow 0
		.amdhsa_exception_fp_ieee_underflow 0
		.amdhsa_exception_fp_ieee_inexact 0
		.amdhsa_exception_int_div_zero 0
	.end_amdhsa_kernel
	.section	.text._ZN7rocprim17ROCPRIM_400000_NS6detail17trampoline_kernelINS0_14default_configENS1_20scan_config_selectorIdEEZZNS1_9scan_implILNS1_25lookback_scan_determinismE0ELb1ELb1ES3_N6thrust23THRUST_200600_302600_NS6detail15normal_iteratorINS9_10device_ptrIdEEEENS9_16discard_iteratorINS9_11use_defaultEEEd11max_functorIdEdEEDaPvRmT3_T4_T5_mT6_P12ihipStream_tbENKUlT_T0_E_clISt17integral_constantIbLb0EESW_IbLb1EEEEDaSS_ST_EUlSS_E0_NS1_11comp_targetILNS1_3genE3ELNS1_11target_archE908ELNS1_3gpuE7ELNS1_3repE0EEENS1_30default_config_static_selectorELNS0_4arch9wavefront6targetE1EEEvT1_,"axG",@progbits,_ZN7rocprim17ROCPRIM_400000_NS6detail17trampoline_kernelINS0_14default_configENS1_20scan_config_selectorIdEEZZNS1_9scan_implILNS1_25lookback_scan_determinismE0ELb1ELb1ES3_N6thrust23THRUST_200600_302600_NS6detail15normal_iteratorINS9_10device_ptrIdEEEENS9_16discard_iteratorINS9_11use_defaultEEEd11max_functorIdEdEEDaPvRmT3_T4_T5_mT6_P12ihipStream_tbENKUlT_T0_E_clISt17integral_constantIbLb0EESW_IbLb1EEEEDaSS_ST_EUlSS_E0_NS1_11comp_targetILNS1_3genE3ELNS1_11target_archE908ELNS1_3gpuE7ELNS1_3repE0EEENS1_30default_config_static_selectorELNS0_4arch9wavefront6targetE1EEEvT1_,comdat
.Lfunc_end3128:
	.size	_ZN7rocprim17ROCPRIM_400000_NS6detail17trampoline_kernelINS0_14default_configENS1_20scan_config_selectorIdEEZZNS1_9scan_implILNS1_25lookback_scan_determinismE0ELb1ELb1ES3_N6thrust23THRUST_200600_302600_NS6detail15normal_iteratorINS9_10device_ptrIdEEEENS9_16discard_iteratorINS9_11use_defaultEEEd11max_functorIdEdEEDaPvRmT3_T4_T5_mT6_P12ihipStream_tbENKUlT_T0_E_clISt17integral_constantIbLb0EESW_IbLb1EEEEDaSS_ST_EUlSS_E0_NS1_11comp_targetILNS1_3genE3ELNS1_11target_archE908ELNS1_3gpuE7ELNS1_3repE0EEENS1_30default_config_static_selectorELNS0_4arch9wavefront6targetE1EEEvT1_, .Lfunc_end3128-_ZN7rocprim17ROCPRIM_400000_NS6detail17trampoline_kernelINS0_14default_configENS1_20scan_config_selectorIdEEZZNS1_9scan_implILNS1_25lookback_scan_determinismE0ELb1ELb1ES3_N6thrust23THRUST_200600_302600_NS6detail15normal_iteratorINS9_10device_ptrIdEEEENS9_16discard_iteratorINS9_11use_defaultEEEd11max_functorIdEdEEDaPvRmT3_T4_T5_mT6_P12ihipStream_tbENKUlT_T0_E_clISt17integral_constantIbLb0EESW_IbLb1EEEEDaSS_ST_EUlSS_E0_NS1_11comp_targetILNS1_3genE3ELNS1_11target_archE908ELNS1_3gpuE7ELNS1_3repE0EEENS1_30default_config_static_selectorELNS0_4arch9wavefront6targetE1EEEvT1_
                                        ; -- End function
	.section	.AMDGPU.csdata,"",@progbits
; Kernel info:
; codeLenInByte = 0
; NumSgprs: 4
; NumVgprs: 0
; NumAgprs: 0
; TotalNumVgprs: 0
; ScratchSize: 0
; MemoryBound: 0
; FloatMode: 240
; IeeeMode: 1
; LDSByteSize: 0 bytes/workgroup (compile time only)
; SGPRBlocks: 0
; VGPRBlocks: 0
; NumSGPRsForWavesPerEU: 4
; NumVGPRsForWavesPerEU: 1
; AccumOffset: 4
; Occupancy: 8
; WaveLimiterHint : 0
; COMPUTE_PGM_RSRC2:SCRATCH_EN: 0
; COMPUTE_PGM_RSRC2:USER_SGPR: 6
; COMPUTE_PGM_RSRC2:TRAP_HANDLER: 0
; COMPUTE_PGM_RSRC2:TGID_X_EN: 1
; COMPUTE_PGM_RSRC2:TGID_Y_EN: 0
; COMPUTE_PGM_RSRC2:TGID_Z_EN: 0
; COMPUTE_PGM_RSRC2:TIDIG_COMP_CNT: 0
; COMPUTE_PGM_RSRC3_GFX90A:ACCUM_OFFSET: 0
; COMPUTE_PGM_RSRC3_GFX90A:TG_SPLIT: 0
	.section	.text._ZN7rocprim17ROCPRIM_400000_NS6detail17trampoline_kernelINS0_14default_configENS1_20scan_config_selectorIdEEZZNS1_9scan_implILNS1_25lookback_scan_determinismE0ELb1ELb1ES3_N6thrust23THRUST_200600_302600_NS6detail15normal_iteratorINS9_10device_ptrIdEEEENS9_16discard_iteratorINS9_11use_defaultEEEd11max_functorIdEdEEDaPvRmT3_T4_T5_mT6_P12ihipStream_tbENKUlT_T0_E_clISt17integral_constantIbLb0EESW_IbLb1EEEEDaSS_ST_EUlSS_E0_NS1_11comp_targetILNS1_3genE2ELNS1_11target_archE906ELNS1_3gpuE6ELNS1_3repE0EEENS1_30default_config_static_selectorELNS0_4arch9wavefront6targetE1EEEvT1_,"axG",@progbits,_ZN7rocprim17ROCPRIM_400000_NS6detail17trampoline_kernelINS0_14default_configENS1_20scan_config_selectorIdEEZZNS1_9scan_implILNS1_25lookback_scan_determinismE0ELb1ELb1ES3_N6thrust23THRUST_200600_302600_NS6detail15normal_iteratorINS9_10device_ptrIdEEEENS9_16discard_iteratorINS9_11use_defaultEEEd11max_functorIdEdEEDaPvRmT3_T4_T5_mT6_P12ihipStream_tbENKUlT_T0_E_clISt17integral_constantIbLb0EESW_IbLb1EEEEDaSS_ST_EUlSS_E0_NS1_11comp_targetILNS1_3genE2ELNS1_11target_archE906ELNS1_3gpuE6ELNS1_3repE0EEENS1_30default_config_static_selectorELNS0_4arch9wavefront6targetE1EEEvT1_,comdat
	.protected	_ZN7rocprim17ROCPRIM_400000_NS6detail17trampoline_kernelINS0_14default_configENS1_20scan_config_selectorIdEEZZNS1_9scan_implILNS1_25lookback_scan_determinismE0ELb1ELb1ES3_N6thrust23THRUST_200600_302600_NS6detail15normal_iteratorINS9_10device_ptrIdEEEENS9_16discard_iteratorINS9_11use_defaultEEEd11max_functorIdEdEEDaPvRmT3_T4_T5_mT6_P12ihipStream_tbENKUlT_T0_E_clISt17integral_constantIbLb0EESW_IbLb1EEEEDaSS_ST_EUlSS_E0_NS1_11comp_targetILNS1_3genE2ELNS1_11target_archE906ELNS1_3gpuE6ELNS1_3repE0EEENS1_30default_config_static_selectorELNS0_4arch9wavefront6targetE1EEEvT1_ ; -- Begin function _ZN7rocprim17ROCPRIM_400000_NS6detail17trampoline_kernelINS0_14default_configENS1_20scan_config_selectorIdEEZZNS1_9scan_implILNS1_25lookback_scan_determinismE0ELb1ELb1ES3_N6thrust23THRUST_200600_302600_NS6detail15normal_iteratorINS9_10device_ptrIdEEEENS9_16discard_iteratorINS9_11use_defaultEEEd11max_functorIdEdEEDaPvRmT3_T4_T5_mT6_P12ihipStream_tbENKUlT_T0_E_clISt17integral_constantIbLb0EESW_IbLb1EEEEDaSS_ST_EUlSS_E0_NS1_11comp_targetILNS1_3genE2ELNS1_11target_archE906ELNS1_3gpuE6ELNS1_3repE0EEENS1_30default_config_static_selectorELNS0_4arch9wavefront6targetE1EEEvT1_
	.globl	_ZN7rocprim17ROCPRIM_400000_NS6detail17trampoline_kernelINS0_14default_configENS1_20scan_config_selectorIdEEZZNS1_9scan_implILNS1_25lookback_scan_determinismE0ELb1ELb1ES3_N6thrust23THRUST_200600_302600_NS6detail15normal_iteratorINS9_10device_ptrIdEEEENS9_16discard_iteratorINS9_11use_defaultEEEd11max_functorIdEdEEDaPvRmT3_T4_T5_mT6_P12ihipStream_tbENKUlT_T0_E_clISt17integral_constantIbLb0EESW_IbLb1EEEEDaSS_ST_EUlSS_E0_NS1_11comp_targetILNS1_3genE2ELNS1_11target_archE906ELNS1_3gpuE6ELNS1_3repE0EEENS1_30default_config_static_selectorELNS0_4arch9wavefront6targetE1EEEvT1_
	.p2align	8
	.type	_ZN7rocprim17ROCPRIM_400000_NS6detail17trampoline_kernelINS0_14default_configENS1_20scan_config_selectorIdEEZZNS1_9scan_implILNS1_25lookback_scan_determinismE0ELb1ELb1ES3_N6thrust23THRUST_200600_302600_NS6detail15normal_iteratorINS9_10device_ptrIdEEEENS9_16discard_iteratorINS9_11use_defaultEEEd11max_functorIdEdEEDaPvRmT3_T4_T5_mT6_P12ihipStream_tbENKUlT_T0_E_clISt17integral_constantIbLb0EESW_IbLb1EEEEDaSS_ST_EUlSS_E0_NS1_11comp_targetILNS1_3genE2ELNS1_11target_archE906ELNS1_3gpuE6ELNS1_3repE0EEENS1_30default_config_static_selectorELNS0_4arch9wavefront6targetE1EEEvT1_,@function
_ZN7rocprim17ROCPRIM_400000_NS6detail17trampoline_kernelINS0_14default_configENS1_20scan_config_selectorIdEEZZNS1_9scan_implILNS1_25lookback_scan_determinismE0ELb1ELb1ES3_N6thrust23THRUST_200600_302600_NS6detail15normal_iteratorINS9_10device_ptrIdEEEENS9_16discard_iteratorINS9_11use_defaultEEEd11max_functorIdEdEEDaPvRmT3_T4_T5_mT6_P12ihipStream_tbENKUlT_T0_E_clISt17integral_constantIbLb0EESW_IbLb1EEEEDaSS_ST_EUlSS_E0_NS1_11comp_targetILNS1_3genE2ELNS1_11target_archE906ELNS1_3gpuE6ELNS1_3repE0EEENS1_30default_config_static_selectorELNS0_4arch9wavefront6targetE1EEEvT1_: ; @_ZN7rocprim17ROCPRIM_400000_NS6detail17trampoline_kernelINS0_14default_configENS1_20scan_config_selectorIdEEZZNS1_9scan_implILNS1_25lookback_scan_determinismE0ELb1ELb1ES3_N6thrust23THRUST_200600_302600_NS6detail15normal_iteratorINS9_10device_ptrIdEEEENS9_16discard_iteratorINS9_11use_defaultEEEd11max_functorIdEdEEDaPvRmT3_T4_T5_mT6_P12ihipStream_tbENKUlT_T0_E_clISt17integral_constantIbLb0EESW_IbLb1EEEEDaSS_ST_EUlSS_E0_NS1_11comp_targetILNS1_3genE2ELNS1_11target_archE906ELNS1_3gpuE6ELNS1_3repE0EEENS1_30default_config_static_selectorELNS0_4arch9wavefront6targetE1EEEvT1_
; %bb.0:
	.section	.rodata,"a",@progbits
	.p2align	6, 0x0
	.amdhsa_kernel _ZN7rocprim17ROCPRIM_400000_NS6detail17trampoline_kernelINS0_14default_configENS1_20scan_config_selectorIdEEZZNS1_9scan_implILNS1_25lookback_scan_determinismE0ELb1ELb1ES3_N6thrust23THRUST_200600_302600_NS6detail15normal_iteratorINS9_10device_ptrIdEEEENS9_16discard_iteratorINS9_11use_defaultEEEd11max_functorIdEdEEDaPvRmT3_T4_T5_mT6_P12ihipStream_tbENKUlT_T0_E_clISt17integral_constantIbLb0EESW_IbLb1EEEEDaSS_ST_EUlSS_E0_NS1_11comp_targetILNS1_3genE2ELNS1_11target_archE906ELNS1_3gpuE6ELNS1_3repE0EEENS1_30default_config_static_selectorELNS0_4arch9wavefront6targetE1EEEvT1_
		.amdhsa_group_segment_fixed_size 0
		.amdhsa_private_segment_fixed_size 0
		.amdhsa_kernarg_size 48
		.amdhsa_user_sgpr_count 6
		.amdhsa_user_sgpr_private_segment_buffer 1
		.amdhsa_user_sgpr_dispatch_ptr 0
		.amdhsa_user_sgpr_queue_ptr 0
		.amdhsa_user_sgpr_kernarg_segment_ptr 1
		.amdhsa_user_sgpr_dispatch_id 0
		.amdhsa_user_sgpr_flat_scratch_init 0
		.amdhsa_user_sgpr_kernarg_preload_length 0
		.amdhsa_user_sgpr_kernarg_preload_offset 0
		.amdhsa_user_sgpr_private_segment_size 0
		.amdhsa_uses_dynamic_stack 0
		.amdhsa_system_sgpr_private_segment_wavefront_offset 0
		.amdhsa_system_sgpr_workgroup_id_x 1
		.amdhsa_system_sgpr_workgroup_id_y 0
		.amdhsa_system_sgpr_workgroup_id_z 0
		.amdhsa_system_sgpr_workgroup_info 0
		.amdhsa_system_vgpr_workitem_id 0
		.amdhsa_next_free_vgpr 1
		.amdhsa_next_free_sgpr 0
		.amdhsa_accum_offset 4
		.amdhsa_reserve_vcc 0
		.amdhsa_reserve_flat_scratch 0
		.amdhsa_float_round_mode_32 0
		.amdhsa_float_round_mode_16_64 0
		.amdhsa_float_denorm_mode_32 3
		.amdhsa_float_denorm_mode_16_64 3
		.amdhsa_dx10_clamp 1
		.amdhsa_ieee_mode 1
		.amdhsa_fp16_overflow 0
		.amdhsa_tg_split 0
		.amdhsa_exception_fp_ieee_invalid_op 0
		.amdhsa_exception_fp_denorm_src 0
		.amdhsa_exception_fp_ieee_div_zero 0
		.amdhsa_exception_fp_ieee_overflow 0
		.amdhsa_exception_fp_ieee_underflow 0
		.amdhsa_exception_fp_ieee_inexact 0
		.amdhsa_exception_int_div_zero 0
	.end_amdhsa_kernel
	.section	.text._ZN7rocprim17ROCPRIM_400000_NS6detail17trampoline_kernelINS0_14default_configENS1_20scan_config_selectorIdEEZZNS1_9scan_implILNS1_25lookback_scan_determinismE0ELb1ELb1ES3_N6thrust23THRUST_200600_302600_NS6detail15normal_iteratorINS9_10device_ptrIdEEEENS9_16discard_iteratorINS9_11use_defaultEEEd11max_functorIdEdEEDaPvRmT3_T4_T5_mT6_P12ihipStream_tbENKUlT_T0_E_clISt17integral_constantIbLb0EESW_IbLb1EEEEDaSS_ST_EUlSS_E0_NS1_11comp_targetILNS1_3genE2ELNS1_11target_archE906ELNS1_3gpuE6ELNS1_3repE0EEENS1_30default_config_static_selectorELNS0_4arch9wavefront6targetE1EEEvT1_,"axG",@progbits,_ZN7rocprim17ROCPRIM_400000_NS6detail17trampoline_kernelINS0_14default_configENS1_20scan_config_selectorIdEEZZNS1_9scan_implILNS1_25lookback_scan_determinismE0ELb1ELb1ES3_N6thrust23THRUST_200600_302600_NS6detail15normal_iteratorINS9_10device_ptrIdEEEENS9_16discard_iteratorINS9_11use_defaultEEEd11max_functorIdEdEEDaPvRmT3_T4_T5_mT6_P12ihipStream_tbENKUlT_T0_E_clISt17integral_constantIbLb0EESW_IbLb1EEEEDaSS_ST_EUlSS_E0_NS1_11comp_targetILNS1_3genE2ELNS1_11target_archE906ELNS1_3gpuE6ELNS1_3repE0EEENS1_30default_config_static_selectorELNS0_4arch9wavefront6targetE1EEEvT1_,comdat
.Lfunc_end3129:
	.size	_ZN7rocprim17ROCPRIM_400000_NS6detail17trampoline_kernelINS0_14default_configENS1_20scan_config_selectorIdEEZZNS1_9scan_implILNS1_25lookback_scan_determinismE0ELb1ELb1ES3_N6thrust23THRUST_200600_302600_NS6detail15normal_iteratorINS9_10device_ptrIdEEEENS9_16discard_iteratorINS9_11use_defaultEEEd11max_functorIdEdEEDaPvRmT3_T4_T5_mT6_P12ihipStream_tbENKUlT_T0_E_clISt17integral_constantIbLb0EESW_IbLb1EEEEDaSS_ST_EUlSS_E0_NS1_11comp_targetILNS1_3genE2ELNS1_11target_archE906ELNS1_3gpuE6ELNS1_3repE0EEENS1_30default_config_static_selectorELNS0_4arch9wavefront6targetE1EEEvT1_, .Lfunc_end3129-_ZN7rocprim17ROCPRIM_400000_NS6detail17trampoline_kernelINS0_14default_configENS1_20scan_config_selectorIdEEZZNS1_9scan_implILNS1_25lookback_scan_determinismE0ELb1ELb1ES3_N6thrust23THRUST_200600_302600_NS6detail15normal_iteratorINS9_10device_ptrIdEEEENS9_16discard_iteratorINS9_11use_defaultEEEd11max_functorIdEdEEDaPvRmT3_T4_T5_mT6_P12ihipStream_tbENKUlT_T0_E_clISt17integral_constantIbLb0EESW_IbLb1EEEEDaSS_ST_EUlSS_E0_NS1_11comp_targetILNS1_3genE2ELNS1_11target_archE906ELNS1_3gpuE6ELNS1_3repE0EEENS1_30default_config_static_selectorELNS0_4arch9wavefront6targetE1EEEvT1_
                                        ; -- End function
	.section	.AMDGPU.csdata,"",@progbits
; Kernel info:
; codeLenInByte = 0
; NumSgprs: 4
; NumVgprs: 0
; NumAgprs: 0
; TotalNumVgprs: 0
; ScratchSize: 0
; MemoryBound: 0
; FloatMode: 240
; IeeeMode: 1
; LDSByteSize: 0 bytes/workgroup (compile time only)
; SGPRBlocks: 0
; VGPRBlocks: 0
; NumSGPRsForWavesPerEU: 4
; NumVGPRsForWavesPerEU: 1
; AccumOffset: 4
; Occupancy: 8
; WaveLimiterHint : 0
; COMPUTE_PGM_RSRC2:SCRATCH_EN: 0
; COMPUTE_PGM_RSRC2:USER_SGPR: 6
; COMPUTE_PGM_RSRC2:TRAP_HANDLER: 0
; COMPUTE_PGM_RSRC2:TGID_X_EN: 1
; COMPUTE_PGM_RSRC2:TGID_Y_EN: 0
; COMPUTE_PGM_RSRC2:TGID_Z_EN: 0
; COMPUTE_PGM_RSRC2:TIDIG_COMP_CNT: 0
; COMPUTE_PGM_RSRC3_GFX90A:ACCUM_OFFSET: 0
; COMPUTE_PGM_RSRC3_GFX90A:TG_SPLIT: 0
	.section	.text._ZN7rocprim17ROCPRIM_400000_NS6detail17trampoline_kernelINS0_14default_configENS1_20scan_config_selectorIdEEZZNS1_9scan_implILNS1_25lookback_scan_determinismE0ELb1ELb1ES3_N6thrust23THRUST_200600_302600_NS6detail15normal_iteratorINS9_10device_ptrIdEEEENS9_16discard_iteratorINS9_11use_defaultEEEd11max_functorIdEdEEDaPvRmT3_T4_T5_mT6_P12ihipStream_tbENKUlT_T0_E_clISt17integral_constantIbLb0EESW_IbLb1EEEEDaSS_ST_EUlSS_E0_NS1_11comp_targetILNS1_3genE10ELNS1_11target_archE1201ELNS1_3gpuE5ELNS1_3repE0EEENS1_30default_config_static_selectorELNS0_4arch9wavefront6targetE1EEEvT1_,"axG",@progbits,_ZN7rocprim17ROCPRIM_400000_NS6detail17trampoline_kernelINS0_14default_configENS1_20scan_config_selectorIdEEZZNS1_9scan_implILNS1_25lookback_scan_determinismE0ELb1ELb1ES3_N6thrust23THRUST_200600_302600_NS6detail15normal_iteratorINS9_10device_ptrIdEEEENS9_16discard_iteratorINS9_11use_defaultEEEd11max_functorIdEdEEDaPvRmT3_T4_T5_mT6_P12ihipStream_tbENKUlT_T0_E_clISt17integral_constantIbLb0EESW_IbLb1EEEEDaSS_ST_EUlSS_E0_NS1_11comp_targetILNS1_3genE10ELNS1_11target_archE1201ELNS1_3gpuE5ELNS1_3repE0EEENS1_30default_config_static_selectorELNS0_4arch9wavefront6targetE1EEEvT1_,comdat
	.protected	_ZN7rocprim17ROCPRIM_400000_NS6detail17trampoline_kernelINS0_14default_configENS1_20scan_config_selectorIdEEZZNS1_9scan_implILNS1_25lookback_scan_determinismE0ELb1ELb1ES3_N6thrust23THRUST_200600_302600_NS6detail15normal_iteratorINS9_10device_ptrIdEEEENS9_16discard_iteratorINS9_11use_defaultEEEd11max_functorIdEdEEDaPvRmT3_T4_T5_mT6_P12ihipStream_tbENKUlT_T0_E_clISt17integral_constantIbLb0EESW_IbLb1EEEEDaSS_ST_EUlSS_E0_NS1_11comp_targetILNS1_3genE10ELNS1_11target_archE1201ELNS1_3gpuE5ELNS1_3repE0EEENS1_30default_config_static_selectorELNS0_4arch9wavefront6targetE1EEEvT1_ ; -- Begin function _ZN7rocprim17ROCPRIM_400000_NS6detail17trampoline_kernelINS0_14default_configENS1_20scan_config_selectorIdEEZZNS1_9scan_implILNS1_25lookback_scan_determinismE0ELb1ELb1ES3_N6thrust23THRUST_200600_302600_NS6detail15normal_iteratorINS9_10device_ptrIdEEEENS9_16discard_iteratorINS9_11use_defaultEEEd11max_functorIdEdEEDaPvRmT3_T4_T5_mT6_P12ihipStream_tbENKUlT_T0_E_clISt17integral_constantIbLb0EESW_IbLb1EEEEDaSS_ST_EUlSS_E0_NS1_11comp_targetILNS1_3genE10ELNS1_11target_archE1201ELNS1_3gpuE5ELNS1_3repE0EEENS1_30default_config_static_selectorELNS0_4arch9wavefront6targetE1EEEvT1_
	.globl	_ZN7rocprim17ROCPRIM_400000_NS6detail17trampoline_kernelINS0_14default_configENS1_20scan_config_selectorIdEEZZNS1_9scan_implILNS1_25lookback_scan_determinismE0ELb1ELb1ES3_N6thrust23THRUST_200600_302600_NS6detail15normal_iteratorINS9_10device_ptrIdEEEENS9_16discard_iteratorINS9_11use_defaultEEEd11max_functorIdEdEEDaPvRmT3_T4_T5_mT6_P12ihipStream_tbENKUlT_T0_E_clISt17integral_constantIbLb0EESW_IbLb1EEEEDaSS_ST_EUlSS_E0_NS1_11comp_targetILNS1_3genE10ELNS1_11target_archE1201ELNS1_3gpuE5ELNS1_3repE0EEENS1_30default_config_static_selectorELNS0_4arch9wavefront6targetE1EEEvT1_
	.p2align	8
	.type	_ZN7rocprim17ROCPRIM_400000_NS6detail17trampoline_kernelINS0_14default_configENS1_20scan_config_selectorIdEEZZNS1_9scan_implILNS1_25lookback_scan_determinismE0ELb1ELb1ES3_N6thrust23THRUST_200600_302600_NS6detail15normal_iteratorINS9_10device_ptrIdEEEENS9_16discard_iteratorINS9_11use_defaultEEEd11max_functorIdEdEEDaPvRmT3_T4_T5_mT6_P12ihipStream_tbENKUlT_T0_E_clISt17integral_constantIbLb0EESW_IbLb1EEEEDaSS_ST_EUlSS_E0_NS1_11comp_targetILNS1_3genE10ELNS1_11target_archE1201ELNS1_3gpuE5ELNS1_3repE0EEENS1_30default_config_static_selectorELNS0_4arch9wavefront6targetE1EEEvT1_,@function
_ZN7rocprim17ROCPRIM_400000_NS6detail17trampoline_kernelINS0_14default_configENS1_20scan_config_selectorIdEEZZNS1_9scan_implILNS1_25lookback_scan_determinismE0ELb1ELb1ES3_N6thrust23THRUST_200600_302600_NS6detail15normal_iteratorINS9_10device_ptrIdEEEENS9_16discard_iteratorINS9_11use_defaultEEEd11max_functorIdEdEEDaPvRmT3_T4_T5_mT6_P12ihipStream_tbENKUlT_T0_E_clISt17integral_constantIbLb0EESW_IbLb1EEEEDaSS_ST_EUlSS_E0_NS1_11comp_targetILNS1_3genE10ELNS1_11target_archE1201ELNS1_3gpuE5ELNS1_3repE0EEENS1_30default_config_static_selectorELNS0_4arch9wavefront6targetE1EEEvT1_: ; @_ZN7rocprim17ROCPRIM_400000_NS6detail17trampoline_kernelINS0_14default_configENS1_20scan_config_selectorIdEEZZNS1_9scan_implILNS1_25lookback_scan_determinismE0ELb1ELb1ES3_N6thrust23THRUST_200600_302600_NS6detail15normal_iteratorINS9_10device_ptrIdEEEENS9_16discard_iteratorINS9_11use_defaultEEEd11max_functorIdEdEEDaPvRmT3_T4_T5_mT6_P12ihipStream_tbENKUlT_T0_E_clISt17integral_constantIbLb0EESW_IbLb1EEEEDaSS_ST_EUlSS_E0_NS1_11comp_targetILNS1_3genE10ELNS1_11target_archE1201ELNS1_3gpuE5ELNS1_3repE0EEENS1_30default_config_static_selectorELNS0_4arch9wavefront6targetE1EEEvT1_
; %bb.0:
	.section	.rodata,"a",@progbits
	.p2align	6, 0x0
	.amdhsa_kernel _ZN7rocprim17ROCPRIM_400000_NS6detail17trampoline_kernelINS0_14default_configENS1_20scan_config_selectorIdEEZZNS1_9scan_implILNS1_25lookback_scan_determinismE0ELb1ELb1ES3_N6thrust23THRUST_200600_302600_NS6detail15normal_iteratorINS9_10device_ptrIdEEEENS9_16discard_iteratorINS9_11use_defaultEEEd11max_functorIdEdEEDaPvRmT3_T4_T5_mT6_P12ihipStream_tbENKUlT_T0_E_clISt17integral_constantIbLb0EESW_IbLb1EEEEDaSS_ST_EUlSS_E0_NS1_11comp_targetILNS1_3genE10ELNS1_11target_archE1201ELNS1_3gpuE5ELNS1_3repE0EEENS1_30default_config_static_selectorELNS0_4arch9wavefront6targetE1EEEvT1_
		.amdhsa_group_segment_fixed_size 0
		.amdhsa_private_segment_fixed_size 0
		.amdhsa_kernarg_size 48
		.amdhsa_user_sgpr_count 6
		.amdhsa_user_sgpr_private_segment_buffer 1
		.amdhsa_user_sgpr_dispatch_ptr 0
		.amdhsa_user_sgpr_queue_ptr 0
		.amdhsa_user_sgpr_kernarg_segment_ptr 1
		.amdhsa_user_sgpr_dispatch_id 0
		.amdhsa_user_sgpr_flat_scratch_init 0
		.amdhsa_user_sgpr_kernarg_preload_length 0
		.amdhsa_user_sgpr_kernarg_preload_offset 0
		.amdhsa_user_sgpr_private_segment_size 0
		.amdhsa_uses_dynamic_stack 0
		.amdhsa_system_sgpr_private_segment_wavefront_offset 0
		.amdhsa_system_sgpr_workgroup_id_x 1
		.amdhsa_system_sgpr_workgroup_id_y 0
		.amdhsa_system_sgpr_workgroup_id_z 0
		.amdhsa_system_sgpr_workgroup_info 0
		.amdhsa_system_vgpr_workitem_id 0
		.amdhsa_next_free_vgpr 1
		.amdhsa_next_free_sgpr 0
		.amdhsa_accum_offset 4
		.amdhsa_reserve_vcc 0
		.amdhsa_reserve_flat_scratch 0
		.amdhsa_float_round_mode_32 0
		.amdhsa_float_round_mode_16_64 0
		.amdhsa_float_denorm_mode_32 3
		.amdhsa_float_denorm_mode_16_64 3
		.amdhsa_dx10_clamp 1
		.amdhsa_ieee_mode 1
		.amdhsa_fp16_overflow 0
		.amdhsa_tg_split 0
		.amdhsa_exception_fp_ieee_invalid_op 0
		.amdhsa_exception_fp_denorm_src 0
		.amdhsa_exception_fp_ieee_div_zero 0
		.amdhsa_exception_fp_ieee_overflow 0
		.amdhsa_exception_fp_ieee_underflow 0
		.amdhsa_exception_fp_ieee_inexact 0
		.amdhsa_exception_int_div_zero 0
	.end_amdhsa_kernel
	.section	.text._ZN7rocprim17ROCPRIM_400000_NS6detail17trampoline_kernelINS0_14default_configENS1_20scan_config_selectorIdEEZZNS1_9scan_implILNS1_25lookback_scan_determinismE0ELb1ELb1ES3_N6thrust23THRUST_200600_302600_NS6detail15normal_iteratorINS9_10device_ptrIdEEEENS9_16discard_iteratorINS9_11use_defaultEEEd11max_functorIdEdEEDaPvRmT3_T4_T5_mT6_P12ihipStream_tbENKUlT_T0_E_clISt17integral_constantIbLb0EESW_IbLb1EEEEDaSS_ST_EUlSS_E0_NS1_11comp_targetILNS1_3genE10ELNS1_11target_archE1201ELNS1_3gpuE5ELNS1_3repE0EEENS1_30default_config_static_selectorELNS0_4arch9wavefront6targetE1EEEvT1_,"axG",@progbits,_ZN7rocprim17ROCPRIM_400000_NS6detail17trampoline_kernelINS0_14default_configENS1_20scan_config_selectorIdEEZZNS1_9scan_implILNS1_25lookback_scan_determinismE0ELb1ELb1ES3_N6thrust23THRUST_200600_302600_NS6detail15normal_iteratorINS9_10device_ptrIdEEEENS9_16discard_iteratorINS9_11use_defaultEEEd11max_functorIdEdEEDaPvRmT3_T4_T5_mT6_P12ihipStream_tbENKUlT_T0_E_clISt17integral_constantIbLb0EESW_IbLb1EEEEDaSS_ST_EUlSS_E0_NS1_11comp_targetILNS1_3genE10ELNS1_11target_archE1201ELNS1_3gpuE5ELNS1_3repE0EEENS1_30default_config_static_selectorELNS0_4arch9wavefront6targetE1EEEvT1_,comdat
.Lfunc_end3130:
	.size	_ZN7rocprim17ROCPRIM_400000_NS6detail17trampoline_kernelINS0_14default_configENS1_20scan_config_selectorIdEEZZNS1_9scan_implILNS1_25lookback_scan_determinismE0ELb1ELb1ES3_N6thrust23THRUST_200600_302600_NS6detail15normal_iteratorINS9_10device_ptrIdEEEENS9_16discard_iteratorINS9_11use_defaultEEEd11max_functorIdEdEEDaPvRmT3_T4_T5_mT6_P12ihipStream_tbENKUlT_T0_E_clISt17integral_constantIbLb0EESW_IbLb1EEEEDaSS_ST_EUlSS_E0_NS1_11comp_targetILNS1_3genE10ELNS1_11target_archE1201ELNS1_3gpuE5ELNS1_3repE0EEENS1_30default_config_static_selectorELNS0_4arch9wavefront6targetE1EEEvT1_, .Lfunc_end3130-_ZN7rocprim17ROCPRIM_400000_NS6detail17trampoline_kernelINS0_14default_configENS1_20scan_config_selectorIdEEZZNS1_9scan_implILNS1_25lookback_scan_determinismE0ELb1ELb1ES3_N6thrust23THRUST_200600_302600_NS6detail15normal_iteratorINS9_10device_ptrIdEEEENS9_16discard_iteratorINS9_11use_defaultEEEd11max_functorIdEdEEDaPvRmT3_T4_T5_mT6_P12ihipStream_tbENKUlT_T0_E_clISt17integral_constantIbLb0EESW_IbLb1EEEEDaSS_ST_EUlSS_E0_NS1_11comp_targetILNS1_3genE10ELNS1_11target_archE1201ELNS1_3gpuE5ELNS1_3repE0EEENS1_30default_config_static_selectorELNS0_4arch9wavefront6targetE1EEEvT1_
                                        ; -- End function
	.section	.AMDGPU.csdata,"",@progbits
; Kernel info:
; codeLenInByte = 0
; NumSgprs: 4
; NumVgprs: 0
; NumAgprs: 0
; TotalNumVgprs: 0
; ScratchSize: 0
; MemoryBound: 0
; FloatMode: 240
; IeeeMode: 1
; LDSByteSize: 0 bytes/workgroup (compile time only)
; SGPRBlocks: 0
; VGPRBlocks: 0
; NumSGPRsForWavesPerEU: 4
; NumVGPRsForWavesPerEU: 1
; AccumOffset: 4
; Occupancy: 8
; WaveLimiterHint : 0
; COMPUTE_PGM_RSRC2:SCRATCH_EN: 0
; COMPUTE_PGM_RSRC2:USER_SGPR: 6
; COMPUTE_PGM_RSRC2:TRAP_HANDLER: 0
; COMPUTE_PGM_RSRC2:TGID_X_EN: 1
; COMPUTE_PGM_RSRC2:TGID_Y_EN: 0
; COMPUTE_PGM_RSRC2:TGID_Z_EN: 0
; COMPUTE_PGM_RSRC2:TIDIG_COMP_CNT: 0
; COMPUTE_PGM_RSRC3_GFX90A:ACCUM_OFFSET: 0
; COMPUTE_PGM_RSRC3_GFX90A:TG_SPLIT: 0
	.section	.text._ZN7rocprim17ROCPRIM_400000_NS6detail17trampoline_kernelINS0_14default_configENS1_20scan_config_selectorIdEEZZNS1_9scan_implILNS1_25lookback_scan_determinismE0ELb1ELb1ES3_N6thrust23THRUST_200600_302600_NS6detail15normal_iteratorINS9_10device_ptrIdEEEENS9_16discard_iteratorINS9_11use_defaultEEEd11max_functorIdEdEEDaPvRmT3_T4_T5_mT6_P12ihipStream_tbENKUlT_T0_E_clISt17integral_constantIbLb0EESW_IbLb1EEEEDaSS_ST_EUlSS_E0_NS1_11comp_targetILNS1_3genE10ELNS1_11target_archE1200ELNS1_3gpuE4ELNS1_3repE0EEENS1_30default_config_static_selectorELNS0_4arch9wavefront6targetE1EEEvT1_,"axG",@progbits,_ZN7rocprim17ROCPRIM_400000_NS6detail17trampoline_kernelINS0_14default_configENS1_20scan_config_selectorIdEEZZNS1_9scan_implILNS1_25lookback_scan_determinismE0ELb1ELb1ES3_N6thrust23THRUST_200600_302600_NS6detail15normal_iteratorINS9_10device_ptrIdEEEENS9_16discard_iteratorINS9_11use_defaultEEEd11max_functorIdEdEEDaPvRmT3_T4_T5_mT6_P12ihipStream_tbENKUlT_T0_E_clISt17integral_constantIbLb0EESW_IbLb1EEEEDaSS_ST_EUlSS_E0_NS1_11comp_targetILNS1_3genE10ELNS1_11target_archE1200ELNS1_3gpuE4ELNS1_3repE0EEENS1_30default_config_static_selectorELNS0_4arch9wavefront6targetE1EEEvT1_,comdat
	.protected	_ZN7rocprim17ROCPRIM_400000_NS6detail17trampoline_kernelINS0_14default_configENS1_20scan_config_selectorIdEEZZNS1_9scan_implILNS1_25lookback_scan_determinismE0ELb1ELb1ES3_N6thrust23THRUST_200600_302600_NS6detail15normal_iteratorINS9_10device_ptrIdEEEENS9_16discard_iteratorINS9_11use_defaultEEEd11max_functorIdEdEEDaPvRmT3_T4_T5_mT6_P12ihipStream_tbENKUlT_T0_E_clISt17integral_constantIbLb0EESW_IbLb1EEEEDaSS_ST_EUlSS_E0_NS1_11comp_targetILNS1_3genE10ELNS1_11target_archE1200ELNS1_3gpuE4ELNS1_3repE0EEENS1_30default_config_static_selectorELNS0_4arch9wavefront6targetE1EEEvT1_ ; -- Begin function _ZN7rocprim17ROCPRIM_400000_NS6detail17trampoline_kernelINS0_14default_configENS1_20scan_config_selectorIdEEZZNS1_9scan_implILNS1_25lookback_scan_determinismE0ELb1ELb1ES3_N6thrust23THRUST_200600_302600_NS6detail15normal_iteratorINS9_10device_ptrIdEEEENS9_16discard_iteratorINS9_11use_defaultEEEd11max_functorIdEdEEDaPvRmT3_T4_T5_mT6_P12ihipStream_tbENKUlT_T0_E_clISt17integral_constantIbLb0EESW_IbLb1EEEEDaSS_ST_EUlSS_E0_NS1_11comp_targetILNS1_3genE10ELNS1_11target_archE1200ELNS1_3gpuE4ELNS1_3repE0EEENS1_30default_config_static_selectorELNS0_4arch9wavefront6targetE1EEEvT1_
	.globl	_ZN7rocprim17ROCPRIM_400000_NS6detail17trampoline_kernelINS0_14default_configENS1_20scan_config_selectorIdEEZZNS1_9scan_implILNS1_25lookback_scan_determinismE0ELb1ELb1ES3_N6thrust23THRUST_200600_302600_NS6detail15normal_iteratorINS9_10device_ptrIdEEEENS9_16discard_iteratorINS9_11use_defaultEEEd11max_functorIdEdEEDaPvRmT3_T4_T5_mT6_P12ihipStream_tbENKUlT_T0_E_clISt17integral_constantIbLb0EESW_IbLb1EEEEDaSS_ST_EUlSS_E0_NS1_11comp_targetILNS1_3genE10ELNS1_11target_archE1200ELNS1_3gpuE4ELNS1_3repE0EEENS1_30default_config_static_selectorELNS0_4arch9wavefront6targetE1EEEvT1_
	.p2align	8
	.type	_ZN7rocprim17ROCPRIM_400000_NS6detail17trampoline_kernelINS0_14default_configENS1_20scan_config_selectorIdEEZZNS1_9scan_implILNS1_25lookback_scan_determinismE0ELb1ELb1ES3_N6thrust23THRUST_200600_302600_NS6detail15normal_iteratorINS9_10device_ptrIdEEEENS9_16discard_iteratorINS9_11use_defaultEEEd11max_functorIdEdEEDaPvRmT3_T4_T5_mT6_P12ihipStream_tbENKUlT_T0_E_clISt17integral_constantIbLb0EESW_IbLb1EEEEDaSS_ST_EUlSS_E0_NS1_11comp_targetILNS1_3genE10ELNS1_11target_archE1200ELNS1_3gpuE4ELNS1_3repE0EEENS1_30default_config_static_selectorELNS0_4arch9wavefront6targetE1EEEvT1_,@function
_ZN7rocprim17ROCPRIM_400000_NS6detail17trampoline_kernelINS0_14default_configENS1_20scan_config_selectorIdEEZZNS1_9scan_implILNS1_25lookback_scan_determinismE0ELb1ELb1ES3_N6thrust23THRUST_200600_302600_NS6detail15normal_iteratorINS9_10device_ptrIdEEEENS9_16discard_iteratorINS9_11use_defaultEEEd11max_functorIdEdEEDaPvRmT3_T4_T5_mT6_P12ihipStream_tbENKUlT_T0_E_clISt17integral_constantIbLb0EESW_IbLb1EEEEDaSS_ST_EUlSS_E0_NS1_11comp_targetILNS1_3genE10ELNS1_11target_archE1200ELNS1_3gpuE4ELNS1_3repE0EEENS1_30default_config_static_selectorELNS0_4arch9wavefront6targetE1EEEvT1_: ; @_ZN7rocprim17ROCPRIM_400000_NS6detail17trampoline_kernelINS0_14default_configENS1_20scan_config_selectorIdEEZZNS1_9scan_implILNS1_25lookback_scan_determinismE0ELb1ELb1ES3_N6thrust23THRUST_200600_302600_NS6detail15normal_iteratorINS9_10device_ptrIdEEEENS9_16discard_iteratorINS9_11use_defaultEEEd11max_functorIdEdEEDaPvRmT3_T4_T5_mT6_P12ihipStream_tbENKUlT_T0_E_clISt17integral_constantIbLb0EESW_IbLb1EEEEDaSS_ST_EUlSS_E0_NS1_11comp_targetILNS1_3genE10ELNS1_11target_archE1200ELNS1_3gpuE4ELNS1_3repE0EEENS1_30default_config_static_selectorELNS0_4arch9wavefront6targetE1EEEvT1_
; %bb.0:
	.section	.rodata,"a",@progbits
	.p2align	6, 0x0
	.amdhsa_kernel _ZN7rocprim17ROCPRIM_400000_NS6detail17trampoline_kernelINS0_14default_configENS1_20scan_config_selectorIdEEZZNS1_9scan_implILNS1_25lookback_scan_determinismE0ELb1ELb1ES3_N6thrust23THRUST_200600_302600_NS6detail15normal_iteratorINS9_10device_ptrIdEEEENS9_16discard_iteratorINS9_11use_defaultEEEd11max_functorIdEdEEDaPvRmT3_T4_T5_mT6_P12ihipStream_tbENKUlT_T0_E_clISt17integral_constantIbLb0EESW_IbLb1EEEEDaSS_ST_EUlSS_E0_NS1_11comp_targetILNS1_3genE10ELNS1_11target_archE1200ELNS1_3gpuE4ELNS1_3repE0EEENS1_30default_config_static_selectorELNS0_4arch9wavefront6targetE1EEEvT1_
		.amdhsa_group_segment_fixed_size 0
		.amdhsa_private_segment_fixed_size 0
		.amdhsa_kernarg_size 48
		.amdhsa_user_sgpr_count 6
		.amdhsa_user_sgpr_private_segment_buffer 1
		.amdhsa_user_sgpr_dispatch_ptr 0
		.amdhsa_user_sgpr_queue_ptr 0
		.amdhsa_user_sgpr_kernarg_segment_ptr 1
		.amdhsa_user_sgpr_dispatch_id 0
		.amdhsa_user_sgpr_flat_scratch_init 0
		.amdhsa_user_sgpr_kernarg_preload_length 0
		.amdhsa_user_sgpr_kernarg_preload_offset 0
		.amdhsa_user_sgpr_private_segment_size 0
		.amdhsa_uses_dynamic_stack 0
		.amdhsa_system_sgpr_private_segment_wavefront_offset 0
		.amdhsa_system_sgpr_workgroup_id_x 1
		.amdhsa_system_sgpr_workgroup_id_y 0
		.amdhsa_system_sgpr_workgroup_id_z 0
		.amdhsa_system_sgpr_workgroup_info 0
		.amdhsa_system_vgpr_workitem_id 0
		.amdhsa_next_free_vgpr 1
		.amdhsa_next_free_sgpr 0
		.amdhsa_accum_offset 4
		.amdhsa_reserve_vcc 0
		.amdhsa_reserve_flat_scratch 0
		.amdhsa_float_round_mode_32 0
		.amdhsa_float_round_mode_16_64 0
		.amdhsa_float_denorm_mode_32 3
		.amdhsa_float_denorm_mode_16_64 3
		.amdhsa_dx10_clamp 1
		.amdhsa_ieee_mode 1
		.amdhsa_fp16_overflow 0
		.amdhsa_tg_split 0
		.amdhsa_exception_fp_ieee_invalid_op 0
		.amdhsa_exception_fp_denorm_src 0
		.amdhsa_exception_fp_ieee_div_zero 0
		.amdhsa_exception_fp_ieee_overflow 0
		.amdhsa_exception_fp_ieee_underflow 0
		.amdhsa_exception_fp_ieee_inexact 0
		.amdhsa_exception_int_div_zero 0
	.end_amdhsa_kernel
	.section	.text._ZN7rocprim17ROCPRIM_400000_NS6detail17trampoline_kernelINS0_14default_configENS1_20scan_config_selectorIdEEZZNS1_9scan_implILNS1_25lookback_scan_determinismE0ELb1ELb1ES3_N6thrust23THRUST_200600_302600_NS6detail15normal_iteratorINS9_10device_ptrIdEEEENS9_16discard_iteratorINS9_11use_defaultEEEd11max_functorIdEdEEDaPvRmT3_T4_T5_mT6_P12ihipStream_tbENKUlT_T0_E_clISt17integral_constantIbLb0EESW_IbLb1EEEEDaSS_ST_EUlSS_E0_NS1_11comp_targetILNS1_3genE10ELNS1_11target_archE1200ELNS1_3gpuE4ELNS1_3repE0EEENS1_30default_config_static_selectorELNS0_4arch9wavefront6targetE1EEEvT1_,"axG",@progbits,_ZN7rocprim17ROCPRIM_400000_NS6detail17trampoline_kernelINS0_14default_configENS1_20scan_config_selectorIdEEZZNS1_9scan_implILNS1_25lookback_scan_determinismE0ELb1ELb1ES3_N6thrust23THRUST_200600_302600_NS6detail15normal_iteratorINS9_10device_ptrIdEEEENS9_16discard_iteratorINS9_11use_defaultEEEd11max_functorIdEdEEDaPvRmT3_T4_T5_mT6_P12ihipStream_tbENKUlT_T0_E_clISt17integral_constantIbLb0EESW_IbLb1EEEEDaSS_ST_EUlSS_E0_NS1_11comp_targetILNS1_3genE10ELNS1_11target_archE1200ELNS1_3gpuE4ELNS1_3repE0EEENS1_30default_config_static_selectorELNS0_4arch9wavefront6targetE1EEEvT1_,comdat
.Lfunc_end3131:
	.size	_ZN7rocprim17ROCPRIM_400000_NS6detail17trampoline_kernelINS0_14default_configENS1_20scan_config_selectorIdEEZZNS1_9scan_implILNS1_25lookback_scan_determinismE0ELb1ELb1ES3_N6thrust23THRUST_200600_302600_NS6detail15normal_iteratorINS9_10device_ptrIdEEEENS9_16discard_iteratorINS9_11use_defaultEEEd11max_functorIdEdEEDaPvRmT3_T4_T5_mT6_P12ihipStream_tbENKUlT_T0_E_clISt17integral_constantIbLb0EESW_IbLb1EEEEDaSS_ST_EUlSS_E0_NS1_11comp_targetILNS1_3genE10ELNS1_11target_archE1200ELNS1_3gpuE4ELNS1_3repE0EEENS1_30default_config_static_selectorELNS0_4arch9wavefront6targetE1EEEvT1_, .Lfunc_end3131-_ZN7rocprim17ROCPRIM_400000_NS6detail17trampoline_kernelINS0_14default_configENS1_20scan_config_selectorIdEEZZNS1_9scan_implILNS1_25lookback_scan_determinismE0ELb1ELb1ES3_N6thrust23THRUST_200600_302600_NS6detail15normal_iteratorINS9_10device_ptrIdEEEENS9_16discard_iteratorINS9_11use_defaultEEEd11max_functorIdEdEEDaPvRmT3_T4_T5_mT6_P12ihipStream_tbENKUlT_T0_E_clISt17integral_constantIbLb0EESW_IbLb1EEEEDaSS_ST_EUlSS_E0_NS1_11comp_targetILNS1_3genE10ELNS1_11target_archE1200ELNS1_3gpuE4ELNS1_3repE0EEENS1_30default_config_static_selectorELNS0_4arch9wavefront6targetE1EEEvT1_
                                        ; -- End function
	.section	.AMDGPU.csdata,"",@progbits
; Kernel info:
; codeLenInByte = 0
; NumSgprs: 4
; NumVgprs: 0
; NumAgprs: 0
; TotalNumVgprs: 0
; ScratchSize: 0
; MemoryBound: 0
; FloatMode: 240
; IeeeMode: 1
; LDSByteSize: 0 bytes/workgroup (compile time only)
; SGPRBlocks: 0
; VGPRBlocks: 0
; NumSGPRsForWavesPerEU: 4
; NumVGPRsForWavesPerEU: 1
; AccumOffset: 4
; Occupancy: 8
; WaveLimiterHint : 0
; COMPUTE_PGM_RSRC2:SCRATCH_EN: 0
; COMPUTE_PGM_RSRC2:USER_SGPR: 6
; COMPUTE_PGM_RSRC2:TRAP_HANDLER: 0
; COMPUTE_PGM_RSRC2:TGID_X_EN: 1
; COMPUTE_PGM_RSRC2:TGID_Y_EN: 0
; COMPUTE_PGM_RSRC2:TGID_Z_EN: 0
; COMPUTE_PGM_RSRC2:TIDIG_COMP_CNT: 0
; COMPUTE_PGM_RSRC3_GFX90A:ACCUM_OFFSET: 0
; COMPUTE_PGM_RSRC3_GFX90A:TG_SPLIT: 0
	.section	.text._ZN7rocprim17ROCPRIM_400000_NS6detail17trampoline_kernelINS0_14default_configENS1_20scan_config_selectorIdEEZZNS1_9scan_implILNS1_25lookback_scan_determinismE0ELb1ELb1ES3_N6thrust23THRUST_200600_302600_NS6detail15normal_iteratorINS9_10device_ptrIdEEEENS9_16discard_iteratorINS9_11use_defaultEEEd11max_functorIdEdEEDaPvRmT3_T4_T5_mT6_P12ihipStream_tbENKUlT_T0_E_clISt17integral_constantIbLb0EESW_IbLb1EEEEDaSS_ST_EUlSS_E0_NS1_11comp_targetILNS1_3genE9ELNS1_11target_archE1100ELNS1_3gpuE3ELNS1_3repE0EEENS1_30default_config_static_selectorELNS0_4arch9wavefront6targetE1EEEvT1_,"axG",@progbits,_ZN7rocprim17ROCPRIM_400000_NS6detail17trampoline_kernelINS0_14default_configENS1_20scan_config_selectorIdEEZZNS1_9scan_implILNS1_25lookback_scan_determinismE0ELb1ELb1ES3_N6thrust23THRUST_200600_302600_NS6detail15normal_iteratorINS9_10device_ptrIdEEEENS9_16discard_iteratorINS9_11use_defaultEEEd11max_functorIdEdEEDaPvRmT3_T4_T5_mT6_P12ihipStream_tbENKUlT_T0_E_clISt17integral_constantIbLb0EESW_IbLb1EEEEDaSS_ST_EUlSS_E0_NS1_11comp_targetILNS1_3genE9ELNS1_11target_archE1100ELNS1_3gpuE3ELNS1_3repE0EEENS1_30default_config_static_selectorELNS0_4arch9wavefront6targetE1EEEvT1_,comdat
	.protected	_ZN7rocprim17ROCPRIM_400000_NS6detail17trampoline_kernelINS0_14default_configENS1_20scan_config_selectorIdEEZZNS1_9scan_implILNS1_25lookback_scan_determinismE0ELb1ELb1ES3_N6thrust23THRUST_200600_302600_NS6detail15normal_iteratorINS9_10device_ptrIdEEEENS9_16discard_iteratorINS9_11use_defaultEEEd11max_functorIdEdEEDaPvRmT3_T4_T5_mT6_P12ihipStream_tbENKUlT_T0_E_clISt17integral_constantIbLb0EESW_IbLb1EEEEDaSS_ST_EUlSS_E0_NS1_11comp_targetILNS1_3genE9ELNS1_11target_archE1100ELNS1_3gpuE3ELNS1_3repE0EEENS1_30default_config_static_selectorELNS0_4arch9wavefront6targetE1EEEvT1_ ; -- Begin function _ZN7rocprim17ROCPRIM_400000_NS6detail17trampoline_kernelINS0_14default_configENS1_20scan_config_selectorIdEEZZNS1_9scan_implILNS1_25lookback_scan_determinismE0ELb1ELb1ES3_N6thrust23THRUST_200600_302600_NS6detail15normal_iteratorINS9_10device_ptrIdEEEENS9_16discard_iteratorINS9_11use_defaultEEEd11max_functorIdEdEEDaPvRmT3_T4_T5_mT6_P12ihipStream_tbENKUlT_T0_E_clISt17integral_constantIbLb0EESW_IbLb1EEEEDaSS_ST_EUlSS_E0_NS1_11comp_targetILNS1_3genE9ELNS1_11target_archE1100ELNS1_3gpuE3ELNS1_3repE0EEENS1_30default_config_static_selectorELNS0_4arch9wavefront6targetE1EEEvT1_
	.globl	_ZN7rocprim17ROCPRIM_400000_NS6detail17trampoline_kernelINS0_14default_configENS1_20scan_config_selectorIdEEZZNS1_9scan_implILNS1_25lookback_scan_determinismE0ELb1ELb1ES3_N6thrust23THRUST_200600_302600_NS6detail15normal_iteratorINS9_10device_ptrIdEEEENS9_16discard_iteratorINS9_11use_defaultEEEd11max_functorIdEdEEDaPvRmT3_T4_T5_mT6_P12ihipStream_tbENKUlT_T0_E_clISt17integral_constantIbLb0EESW_IbLb1EEEEDaSS_ST_EUlSS_E0_NS1_11comp_targetILNS1_3genE9ELNS1_11target_archE1100ELNS1_3gpuE3ELNS1_3repE0EEENS1_30default_config_static_selectorELNS0_4arch9wavefront6targetE1EEEvT1_
	.p2align	8
	.type	_ZN7rocprim17ROCPRIM_400000_NS6detail17trampoline_kernelINS0_14default_configENS1_20scan_config_selectorIdEEZZNS1_9scan_implILNS1_25lookback_scan_determinismE0ELb1ELb1ES3_N6thrust23THRUST_200600_302600_NS6detail15normal_iteratorINS9_10device_ptrIdEEEENS9_16discard_iteratorINS9_11use_defaultEEEd11max_functorIdEdEEDaPvRmT3_T4_T5_mT6_P12ihipStream_tbENKUlT_T0_E_clISt17integral_constantIbLb0EESW_IbLb1EEEEDaSS_ST_EUlSS_E0_NS1_11comp_targetILNS1_3genE9ELNS1_11target_archE1100ELNS1_3gpuE3ELNS1_3repE0EEENS1_30default_config_static_selectorELNS0_4arch9wavefront6targetE1EEEvT1_,@function
_ZN7rocprim17ROCPRIM_400000_NS6detail17trampoline_kernelINS0_14default_configENS1_20scan_config_selectorIdEEZZNS1_9scan_implILNS1_25lookback_scan_determinismE0ELb1ELb1ES3_N6thrust23THRUST_200600_302600_NS6detail15normal_iteratorINS9_10device_ptrIdEEEENS9_16discard_iteratorINS9_11use_defaultEEEd11max_functorIdEdEEDaPvRmT3_T4_T5_mT6_P12ihipStream_tbENKUlT_T0_E_clISt17integral_constantIbLb0EESW_IbLb1EEEEDaSS_ST_EUlSS_E0_NS1_11comp_targetILNS1_3genE9ELNS1_11target_archE1100ELNS1_3gpuE3ELNS1_3repE0EEENS1_30default_config_static_selectorELNS0_4arch9wavefront6targetE1EEEvT1_: ; @_ZN7rocprim17ROCPRIM_400000_NS6detail17trampoline_kernelINS0_14default_configENS1_20scan_config_selectorIdEEZZNS1_9scan_implILNS1_25lookback_scan_determinismE0ELb1ELb1ES3_N6thrust23THRUST_200600_302600_NS6detail15normal_iteratorINS9_10device_ptrIdEEEENS9_16discard_iteratorINS9_11use_defaultEEEd11max_functorIdEdEEDaPvRmT3_T4_T5_mT6_P12ihipStream_tbENKUlT_T0_E_clISt17integral_constantIbLb0EESW_IbLb1EEEEDaSS_ST_EUlSS_E0_NS1_11comp_targetILNS1_3genE9ELNS1_11target_archE1100ELNS1_3gpuE3ELNS1_3repE0EEENS1_30default_config_static_selectorELNS0_4arch9wavefront6targetE1EEEvT1_
; %bb.0:
	.section	.rodata,"a",@progbits
	.p2align	6, 0x0
	.amdhsa_kernel _ZN7rocprim17ROCPRIM_400000_NS6detail17trampoline_kernelINS0_14default_configENS1_20scan_config_selectorIdEEZZNS1_9scan_implILNS1_25lookback_scan_determinismE0ELb1ELb1ES3_N6thrust23THRUST_200600_302600_NS6detail15normal_iteratorINS9_10device_ptrIdEEEENS9_16discard_iteratorINS9_11use_defaultEEEd11max_functorIdEdEEDaPvRmT3_T4_T5_mT6_P12ihipStream_tbENKUlT_T0_E_clISt17integral_constantIbLb0EESW_IbLb1EEEEDaSS_ST_EUlSS_E0_NS1_11comp_targetILNS1_3genE9ELNS1_11target_archE1100ELNS1_3gpuE3ELNS1_3repE0EEENS1_30default_config_static_selectorELNS0_4arch9wavefront6targetE1EEEvT1_
		.amdhsa_group_segment_fixed_size 0
		.amdhsa_private_segment_fixed_size 0
		.amdhsa_kernarg_size 48
		.amdhsa_user_sgpr_count 6
		.amdhsa_user_sgpr_private_segment_buffer 1
		.amdhsa_user_sgpr_dispatch_ptr 0
		.amdhsa_user_sgpr_queue_ptr 0
		.amdhsa_user_sgpr_kernarg_segment_ptr 1
		.amdhsa_user_sgpr_dispatch_id 0
		.amdhsa_user_sgpr_flat_scratch_init 0
		.amdhsa_user_sgpr_kernarg_preload_length 0
		.amdhsa_user_sgpr_kernarg_preload_offset 0
		.amdhsa_user_sgpr_private_segment_size 0
		.amdhsa_uses_dynamic_stack 0
		.amdhsa_system_sgpr_private_segment_wavefront_offset 0
		.amdhsa_system_sgpr_workgroup_id_x 1
		.amdhsa_system_sgpr_workgroup_id_y 0
		.amdhsa_system_sgpr_workgroup_id_z 0
		.amdhsa_system_sgpr_workgroup_info 0
		.amdhsa_system_vgpr_workitem_id 0
		.amdhsa_next_free_vgpr 1
		.amdhsa_next_free_sgpr 0
		.amdhsa_accum_offset 4
		.amdhsa_reserve_vcc 0
		.amdhsa_reserve_flat_scratch 0
		.amdhsa_float_round_mode_32 0
		.amdhsa_float_round_mode_16_64 0
		.amdhsa_float_denorm_mode_32 3
		.amdhsa_float_denorm_mode_16_64 3
		.amdhsa_dx10_clamp 1
		.amdhsa_ieee_mode 1
		.amdhsa_fp16_overflow 0
		.amdhsa_tg_split 0
		.amdhsa_exception_fp_ieee_invalid_op 0
		.amdhsa_exception_fp_denorm_src 0
		.amdhsa_exception_fp_ieee_div_zero 0
		.amdhsa_exception_fp_ieee_overflow 0
		.amdhsa_exception_fp_ieee_underflow 0
		.amdhsa_exception_fp_ieee_inexact 0
		.amdhsa_exception_int_div_zero 0
	.end_amdhsa_kernel
	.section	.text._ZN7rocprim17ROCPRIM_400000_NS6detail17trampoline_kernelINS0_14default_configENS1_20scan_config_selectorIdEEZZNS1_9scan_implILNS1_25lookback_scan_determinismE0ELb1ELb1ES3_N6thrust23THRUST_200600_302600_NS6detail15normal_iteratorINS9_10device_ptrIdEEEENS9_16discard_iteratorINS9_11use_defaultEEEd11max_functorIdEdEEDaPvRmT3_T4_T5_mT6_P12ihipStream_tbENKUlT_T0_E_clISt17integral_constantIbLb0EESW_IbLb1EEEEDaSS_ST_EUlSS_E0_NS1_11comp_targetILNS1_3genE9ELNS1_11target_archE1100ELNS1_3gpuE3ELNS1_3repE0EEENS1_30default_config_static_selectorELNS0_4arch9wavefront6targetE1EEEvT1_,"axG",@progbits,_ZN7rocprim17ROCPRIM_400000_NS6detail17trampoline_kernelINS0_14default_configENS1_20scan_config_selectorIdEEZZNS1_9scan_implILNS1_25lookback_scan_determinismE0ELb1ELb1ES3_N6thrust23THRUST_200600_302600_NS6detail15normal_iteratorINS9_10device_ptrIdEEEENS9_16discard_iteratorINS9_11use_defaultEEEd11max_functorIdEdEEDaPvRmT3_T4_T5_mT6_P12ihipStream_tbENKUlT_T0_E_clISt17integral_constantIbLb0EESW_IbLb1EEEEDaSS_ST_EUlSS_E0_NS1_11comp_targetILNS1_3genE9ELNS1_11target_archE1100ELNS1_3gpuE3ELNS1_3repE0EEENS1_30default_config_static_selectorELNS0_4arch9wavefront6targetE1EEEvT1_,comdat
.Lfunc_end3132:
	.size	_ZN7rocprim17ROCPRIM_400000_NS6detail17trampoline_kernelINS0_14default_configENS1_20scan_config_selectorIdEEZZNS1_9scan_implILNS1_25lookback_scan_determinismE0ELb1ELb1ES3_N6thrust23THRUST_200600_302600_NS6detail15normal_iteratorINS9_10device_ptrIdEEEENS9_16discard_iteratorINS9_11use_defaultEEEd11max_functorIdEdEEDaPvRmT3_T4_T5_mT6_P12ihipStream_tbENKUlT_T0_E_clISt17integral_constantIbLb0EESW_IbLb1EEEEDaSS_ST_EUlSS_E0_NS1_11comp_targetILNS1_3genE9ELNS1_11target_archE1100ELNS1_3gpuE3ELNS1_3repE0EEENS1_30default_config_static_selectorELNS0_4arch9wavefront6targetE1EEEvT1_, .Lfunc_end3132-_ZN7rocprim17ROCPRIM_400000_NS6detail17trampoline_kernelINS0_14default_configENS1_20scan_config_selectorIdEEZZNS1_9scan_implILNS1_25lookback_scan_determinismE0ELb1ELb1ES3_N6thrust23THRUST_200600_302600_NS6detail15normal_iteratorINS9_10device_ptrIdEEEENS9_16discard_iteratorINS9_11use_defaultEEEd11max_functorIdEdEEDaPvRmT3_T4_T5_mT6_P12ihipStream_tbENKUlT_T0_E_clISt17integral_constantIbLb0EESW_IbLb1EEEEDaSS_ST_EUlSS_E0_NS1_11comp_targetILNS1_3genE9ELNS1_11target_archE1100ELNS1_3gpuE3ELNS1_3repE0EEENS1_30default_config_static_selectorELNS0_4arch9wavefront6targetE1EEEvT1_
                                        ; -- End function
	.section	.AMDGPU.csdata,"",@progbits
; Kernel info:
; codeLenInByte = 0
; NumSgprs: 4
; NumVgprs: 0
; NumAgprs: 0
; TotalNumVgprs: 0
; ScratchSize: 0
; MemoryBound: 0
; FloatMode: 240
; IeeeMode: 1
; LDSByteSize: 0 bytes/workgroup (compile time only)
; SGPRBlocks: 0
; VGPRBlocks: 0
; NumSGPRsForWavesPerEU: 4
; NumVGPRsForWavesPerEU: 1
; AccumOffset: 4
; Occupancy: 8
; WaveLimiterHint : 0
; COMPUTE_PGM_RSRC2:SCRATCH_EN: 0
; COMPUTE_PGM_RSRC2:USER_SGPR: 6
; COMPUTE_PGM_RSRC2:TRAP_HANDLER: 0
; COMPUTE_PGM_RSRC2:TGID_X_EN: 1
; COMPUTE_PGM_RSRC2:TGID_Y_EN: 0
; COMPUTE_PGM_RSRC2:TGID_Z_EN: 0
; COMPUTE_PGM_RSRC2:TIDIG_COMP_CNT: 0
; COMPUTE_PGM_RSRC3_GFX90A:ACCUM_OFFSET: 0
; COMPUTE_PGM_RSRC3_GFX90A:TG_SPLIT: 0
	.section	.text._ZN7rocprim17ROCPRIM_400000_NS6detail17trampoline_kernelINS0_14default_configENS1_20scan_config_selectorIdEEZZNS1_9scan_implILNS1_25lookback_scan_determinismE0ELb1ELb1ES3_N6thrust23THRUST_200600_302600_NS6detail15normal_iteratorINS9_10device_ptrIdEEEENS9_16discard_iteratorINS9_11use_defaultEEEd11max_functorIdEdEEDaPvRmT3_T4_T5_mT6_P12ihipStream_tbENKUlT_T0_E_clISt17integral_constantIbLb0EESW_IbLb1EEEEDaSS_ST_EUlSS_E0_NS1_11comp_targetILNS1_3genE8ELNS1_11target_archE1030ELNS1_3gpuE2ELNS1_3repE0EEENS1_30default_config_static_selectorELNS0_4arch9wavefront6targetE1EEEvT1_,"axG",@progbits,_ZN7rocprim17ROCPRIM_400000_NS6detail17trampoline_kernelINS0_14default_configENS1_20scan_config_selectorIdEEZZNS1_9scan_implILNS1_25lookback_scan_determinismE0ELb1ELb1ES3_N6thrust23THRUST_200600_302600_NS6detail15normal_iteratorINS9_10device_ptrIdEEEENS9_16discard_iteratorINS9_11use_defaultEEEd11max_functorIdEdEEDaPvRmT3_T4_T5_mT6_P12ihipStream_tbENKUlT_T0_E_clISt17integral_constantIbLb0EESW_IbLb1EEEEDaSS_ST_EUlSS_E0_NS1_11comp_targetILNS1_3genE8ELNS1_11target_archE1030ELNS1_3gpuE2ELNS1_3repE0EEENS1_30default_config_static_selectorELNS0_4arch9wavefront6targetE1EEEvT1_,comdat
	.protected	_ZN7rocprim17ROCPRIM_400000_NS6detail17trampoline_kernelINS0_14default_configENS1_20scan_config_selectorIdEEZZNS1_9scan_implILNS1_25lookback_scan_determinismE0ELb1ELb1ES3_N6thrust23THRUST_200600_302600_NS6detail15normal_iteratorINS9_10device_ptrIdEEEENS9_16discard_iteratorINS9_11use_defaultEEEd11max_functorIdEdEEDaPvRmT3_T4_T5_mT6_P12ihipStream_tbENKUlT_T0_E_clISt17integral_constantIbLb0EESW_IbLb1EEEEDaSS_ST_EUlSS_E0_NS1_11comp_targetILNS1_3genE8ELNS1_11target_archE1030ELNS1_3gpuE2ELNS1_3repE0EEENS1_30default_config_static_selectorELNS0_4arch9wavefront6targetE1EEEvT1_ ; -- Begin function _ZN7rocprim17ROCPRIM_400000_NS6detail17trampoline_kernelINS0_14default_configENS1_20scan_config_selectorIdEEZZNS1_9scan_implILNS1_25lookback_scan_determinismE0ELb1ELb1ES3_N6thrust23THRUST_200600_302600_NS6detail15normal_iteratorINS9_10device_ptrIdEEEENS9_16discard_iteratorINS9_11use_defaultEEEd11max_functorIdEdEEDaPvRmT3_T4_T5_mT6_P12ihipStream_tbENKUlT_T0_E_clISt17integral_constantIbLb0EESW_IbLb1EEEEDaSS_ST_EUlSS_E0_NS1_11comp_targetILNS1_3genE8ELNS1_11target_archE1030ELNS1_3gpuE2ELNS1_3repE0EEENS1_30default_config_static_selectorELNS0_4arch9wavefront6targetE1EEEvT1_
	.globl	_ZN7rocprim17ROCPRIM_400000_NS6detail17trampoline_kernelINS0_14default_configENS1_20scan_config_selectorIdEEZZNS1_9scan_implILNS1_25lookback_scan_determinismE0ELb1ELb1ES3_N6thrust23THRUST_200600_302600_NS6detail15normal_iteratorINS9_10device_ptrIdEEEENS9_16discard_iteratorINS9_11use_defaultEEEd11max_functorIdEdEEDaPvRmT3_T4_T5_mT6_P12ihipStream_tbENKUlT_T0_E_clISt17integral_constantIbLb0EESW_IbLb1EEEEDaSS_ST_EUlSS_E0_NS1_11comp_targetILNS1_3genE8ELNS1_11target_archE1030ELNS1_3gpuE2ELNS1_3repE0EEENS1_30default_config_static_selectorELNS0_4arch9wavefront6targetE1EEEvT1_
	.p2align	8
	.type	_ZN7rocprim17ROCPRIM_400000_NS6detail17trampoline_kernelINS0_14default_configENS1_20scan_config_selectorIdEEZZNS1_9scan_implILNS1_25lookback_scan_determinismE0ELb1ELb1ES3_N6thrust23THRUST_200600_302600_NS6detail15normal_iteratorINS9_10device_ptrIdEEEENS9_16discard_iteratorINS9_11use_defaultEEEd11max_functorIdEdEEDaPvRmT3_T4_T5_mT6_P12ihipStream_tbENKUlT_T0_E_clISt17integral_constantIbLb0EESW_IbLb1EEEEDaSS_ST_EUlSS_E0_NS1_11comp_targetILNS1_3genE8ELNS1_11target_archE1030ELNS1_3gpuE2ELNS1_3repE0EEENS1_30default_config_static_selectorELNS0_4arch9wavefront6targetE1EEEvT1_,@function
_ZN7rocprim17ROCPRIM_400000_NS6detail17trampoline_kernelINS0_14default_configENS1_20scan_config_selectorIdEEZZNS1_9scan_implILNS1_25lookback_scan_determinismE0ELb1ELb1ES3_N6thrust23THRUST_200600_302600_NS6detail15normal_iteratorINS9_10device_ptrIdEEEENS9_16discard_iteratorINS9_11use_defaultEEEd11max_functorIdEdEEDaPvRmT3_T4_T5_mT6_P12ihipStream_tbENKUlT_T0_E_clISt17integral_constantIbLb0EESW_IbLb1EEEEDaSS_ST_EUlSS_E0_NS1_11comp_targetILNS1_3genE8ELNS1_11target_archE1030ELNS1_3gpuE2ELNS1_3repE0EEENS1_30default_config_static_selectorELNS0_4arch9wavefront6targetE1EEEvT1_: ; @_ZN7rocprim17ROCPRIM_400000_NS6detail17trampoline_kernelINS0_14default_configENS1_20scan_config_selectorIdEEZZNS1_9scan_implILNS1_25lookback_scan_determinismE0ELb1ELb1ES3_N6thrust23THRUST_200600_302600_NS6detail15normal_iteratorINS9_10device_ptrIdEEEENS9_16discard_iteratorINS9_11use_defaultEEEd11max_functorIdEdEEDaPvRmT3_T4_T5_mT6_P12ihipStream_tbENKUlT_T0_E_clISt17integral_constantIbLb0EESW_IbLb1EEEEDaSS_ST_EUlSS_E0_NS1_11comp_targetILNS1_3genE8ELNS1_11target_archE1030ELNS1_3gpuE2ELNS1_3repE0EEENS1_30default_config_static_selectorELNS0_4arch9wavefront6targetE1EEEvT1_
; %bb.0:
	.section	.rodata,"a",@progbits
	.p2align	6, 0x0
	.amdhsa_kernel _ZN7rocprim17ROCPRIM_400000_NS6detail17trampoline_kernelINS0_14default_configENS1_20scan_config_selectorIdEEZZNS1_9scan_implILNS1_25lookback_scan_determinismE0ELb1ELb1ES3_N6thrust23THRUST_200600_302600_NS6detail15normal_iteratorINS9_10device_ptrIdEEEENS9_16discard_iteratorINS9_11use_defaultEEEd11max_functorIdEdEEDaPvRmT3_T4_T5_mT6_P12ihipStream_tbENKUlT_T0_E_clISt17integral_constantIbLb0EESW_IbLb1EEEEDaSS_ST_EUlSS_E0_NS1_11comp_targetILNS1_3genE8ELNS1_11target_archE1030ELNS1_3gpuE2ELNS1_3repE0EEENS1_30default_config_static_selectorELNS0_4arch9wavefront6targetE1EEEvT1_
		.amdhsa_group_segment_fixed_size 0
		.amdhsa_private_segment_fixed_size 0
		.amdhsa_kernarg_size 48
		.amdhsa_user_sgpr_count 6
		.amdhsa_user_sgpr_private_segment_buffer 1
		.amdhsa_user_sgpr_dispatch_ptr 0
		.amdhsa_user_sgpr_queue_ptr 0
		.amdhsa_user_sgpr_kernarg_segment_ptr 1
		.amdhsa_user_sgpr_dispatch_id 0
		.amdhsa_user_sgpr_flat_scratch_init 0
		.amdhsa_user_sgpr_kernarg_preload_length 0
		.amdhsa_user_sgpr_kernarg_preload_offset 0
		.amdhsa_user_sgpr_private_segment_size 0
		.amdhsa_uses_dynamic_stack 0
		.amdhsa_system_sgpr_private_segment_wavefront_offset 0
		.amdhsa_system_sgpr_workgroup_id_x 1
		.amdhsa_system_sgpr_workgroup_id_y 0
		.amdhsa_system_sgpr_workgroup_id_z 0
		.amdhsa_system_sgpr_workgroup_info 0
		.amdhsa_system_vgpr_workitem_id 0
		.amdhsa_next_free_vgpr 1
		.amdhsa_next_free_sgpr 0
		.amdhsa_accum_offset 4
		.amdhsa_reserve_vcc 0
		.amdhsa_reserve_flat_scratch 0
		.amdhsa_float_round_mode_32 0
		.amdhsa_float_round_mode_16_64 0
		.amdhsa_float_denorm_mode_32 3
		.amdhsa_float_denorm_mode_16_64 3
		.amdhsa_dx10_clamp 1
		.amdhsa_ieee_mode 1
		.amdhsa_fp16_overflow 0
		.amdhsa_tg_split 0
		.amdhsa_exception_fp_ieee_invalid_op 0
		.amdhsa_exception_fp_denorm_src 0
		.amdhsa_exception_fp_ieee_div_zero 0
		.amdhsa_exception_fp_ieee_overflow 0
		.amdhsa_exception_fp_ieee_underflow 0
		.amdhsa_exception_fp_ieee_inexact 0
		.amdhsa_exception_int_div_zero 0
	.end_amdhsa_kernel
	.section	.text._ZN7rocprim17ROCPRIM_400000_NS6detail17trampoline_kernelINS0_14default_configENS1_20scan_config_selectorIdEEZZNS1_9scan_implILNS1_25lookback_scan_determinismE0ELb1ELb1ES3_N6thrust23THRUST_200600_302600_NS6detail15normal_iteratorINS9_10device_ptrIdEEEENS9_16discard_iteratorINS9_11use_defaultEEEd11max_functorIdEdEEDaPvRmT3_T4_T5_mT6_P12ihipStream_tbENKUlT_T0_E_clISt17integral_constantIbLb0EESW_IbLb1EEEEDaSS_ST_EUlSS_E0_NS1_11comp_targetILNS1_3genE8ELNS1_11target_archE1030ELNS1_3gpuE2ELNS1_3repE0EEENS1_30default_config_static_selectorELNS0_4arch9wavefront6targetE1EEEvT1_,"axG",@progbits,_ZN7rocprim17ROCPRIM_400000_NS6detail17trampoline_kernelINS0_14default_configENS1_20scan_config_selectorIdEEZZNS1_9scan_implILNS1_25lookback_scan_determinismE0ELb1ELb1ES3_N6thrust23THRUST_200600_302600_NS6detail15normal_iteratorINS9_10device_ptrIdEEEENS9_16discard_iteratorINS9_11use_defaultEEEd11max_functorIdEdEEDaPvRmT3_T4_T5_mT6_P12ihipStream_tbENKUlT_T0_E_clISt17integral_constantIbLb0EESW_IbLb1EEEEDaSS_ST_EUlSS_E0_NS1_11comp_targetILNS1_3genE8ELNS1_11target_archE1030ELNS1_3gpuE2ELNS1_3repE0EEENS1_30default_config_static_selectorELNS0_4arch9wavefront6targetE1EEEvT1_,comdat
.Lfunc_end3133:
	.size	_ZN7rocprim17ROCPRIM_400000_NS6detail17trampoline_kernelINS0_14default_configENS1_20scan_config_selectorIdEEZZNS1_9scan_implILNS1_25lookback_scan_determinismE0ELb1ELb1ES3_N6thrust23THRUST_200600_302600_NS6detail15normal_iteratorINS9_10device_ptrIdEEEENS9_16discard_iteratorINS9_11use_defaultEEEd11max_functorIdEdEEDaPvRmT3_T4_T5_mT6_P12ihipStream_tbENKUlT_T0_E_clISt17integral_constantIbLb0EESW_IbLb1EEEEDaSS_ST_EUlSS_E0_NS1_11comp_targetILNS1_3genE8ELNS1_11target_archE1030ELNS1_3gpuE2ELNS1_3repE0EEENS1_30default_config_static_selectorELNS0_4arch9wavefront6targetE1EEEvT1_, .Lfunc_end3133-_ZN7rocprim17ROCPRIM_400000_NS6detail17trampoline_kernelINS0_14default_configENS1_20scan_config_selectorIdEEZZNS1_9scan_implILNS1_25lookback_scan_determinismE0ELb1ELb1ES3_N6thrust23THRUST_200600_302600_NS6detail15normal_iteratorINS9_10device_ptrIdEEEENS9_16discard_iteratorINS9_11use_defaultEEEd11max_functorIdEdEEDaPvRmT3_T4_T5_mT6_P12ihipStream_tbENKUlT_T0_E_clISt17integral_constantIbLb0EESW_IbLb1EEEEDaSS_ST_EUlSS_E0_NS1_11comp_targetILNS1_3genE8ELNS1_11target_archE1030ELNS1_3gpuE2ELNS1_3repE0EEENS1_30default_config_static_selectorELNS0_4arch9wavefront6targetE1EEEvT1_
                                        ; -- End function
	.section	.AMDGPU.csdata,"",@progbits
; Kernel info:
; codeLenInByte = 0
; NumSgprs: 4
; NumVgprs: 0
; NumAgprs: 0
; TotalNumVgprs: 0
; ScratchSize: 0
; MemoryBound: 0
; FloatMode: 240
; IeeeMode: 1
; LDSByteSize: 0 bytes/workgroup (compile time only)
; SGPRBlocks: 0
; VGPRBlocks: 0
; NumSGPRsForWavesPerEU: 4
; NumVGPRsForWavesPerEU: 1
; AccumOffset: 4
; Occupancy: 8
; WaveLimiterHint : 0
; COMPUTE_PGM_RSRC2:SCRATCH_EN: 0
; COMPUTE_PGM_RSRC2:USER_SGPR: 6
; COMPUTE_PGM_RSRC2:TRAP_HANDLER: 0
; COMPUTE_PGM_RSRC2:TGID_X_EN: 1
; COMPUTE_PGM_RSRC2:TGID_Y_EN: 0
; COMPUTE_PGM_RSRC2:TGID_Z_EN: 0
; COMPUTE_PGM_RSRC2:TIDIG_COMP_CNT: 0
; COMPUTE_PGM_RSRC3_GFX90A:ACCUM_OFFSET: 0
; COMPUTE_PGM_RSRC3_GFX90A:TG_SPLIT: 0
	.section	.text._ZN7rocprim17ROCPRIM_400000_NS6detail17trampoline_kernelINS0_14default_configENS1_20scan_config_selectorIfEEZZNS1_9scan_implILNS1_25lookback_scan_determinismE0ELb0ELb0ES3_N6thrust23THRUST_200600_302600_NS6detail15normal_iteratorINS9_10device_ptrIfEEEENS9_16discard_iteratorINS9_11use_defaultEEEf11max_functorIfEfEEDaPvRmT3_T4_T5_mT6_P12ihipStream_tbENKUlT_T0_E_clISt17integral_constantIbLb0EESX_EEDaSS_ST_EUlSS_E_NS1_11comp_targetILNS1_3genE0ELNS1_11target_archE4294967295ELNS1_3gpuE0ELNS1_3repE0EEENS1_30default_config_static_selectorELNS0_4arch9wavefront6targetE1EEEvT1_,"axG",@progbits,_ZN7rocprim17ROCPRIM_400000_NS6detail17trampoline_kernelINS0_14default_configENS1_20scan_config_selectorIfEEZZNS1_9scan_implILNS1_25lookback_scan_determinismE0ELb0ELb0ES3_N6thrust23THRUST_200600_302600_NS6detail15normal_iteratorINS9_10device_ptrIfEEEENS9_16discard_iteratorINS9_11use_defaultEEEf11max_functorIfEfEEDaPvRmT3_T4_T5_mT6_P12ihipStream_tbENKUlT_T0_E_clISt17integral_constantIbLb0EESX_EEDaSS_ST_EUlSS_E_NS1_11comp_targetILNS1_3genE0ELNS1_11target_archE4294967295ELNS1_3gpuE0ELNS1_3repE0EEENS1_30default_config_static_selectorELNS0_4arch9wavefront6targetE1EEEvT1_,comdat
	.protected	_ZN7rocprim17ROCPRIM_400000_NS6detail17trampoline_kernelINS0_14default_configENS1_20scan_config_selectorIfEEZZNS1_9scan_implILNS1_25lookback_scan_determinismE0ELb0ELb0ES3_N6thrust23THRUST_200600_302600_NS6detail15normal_iteratorINS9_10device_ptrIfEEEENS9_16discard_iteratorINS9_11use_defaultEEEf11max_functorIfEfEEDaPvRmT3_T4_T5_mT6_P12ihipStream_tbENKUlT_T0_E_clISt17integral_constantIbLb0EESX_EEDaSS_ST_EUlSS_E_NS1_11comp_targetILNS1_3genE0ELNS1_11target_archE4294967295ELNS1_3gpuE0ELNS1_3repE0EEENS1_30default_config_static_selectorELNS0_4arch9wavefront6targetE1EEEvT1_ ; -- Begin function _ZN7rocprim17ROCPRIM_400000_NS6detail17trampoline_kernelINS0_14default_configENS1_20scan_config_selectorIfEEZZNS1_9scan_implILNS1_25lookback_scan_determinismE0ELb0ELb0ES3_N6thrust23THRUST_200600_302600_NS6detail15normal_iteratorINS9_10device_ptrIfEEEENS9_16discard_iteratorINS9_11use_defaultEEEf11max_functorIfEfEEDaPvRmT3_T4_T5_mT6_P12ihipStream_tbENKUlT_T0_E_clISt17integral_constantIbLb0EESX_EEDaSS_ST_EUlSS_E_NS1_11comp_targetILNS1_3genE0ELNS1_11target_archE4294967295ELNS1_3gpuE0ELNS1_3repE0EEENS1_30default_config_static_selectorELNS0_4arch9wavefront6targetE1EEEvT1_
	.globl	_ZN7rocprim17ROCPRIM_400000_NS6detail17trampoline_kernelINS0_14default_configENS1_20scan_config_selectorIfEEZZNS1_9scan_implILNS1_25lookback_scan_determinismE0ELb0ELb0ES3_N6thrust23THRUST_200600_302600_NS6detail15normal_iteratorINS9_10device_ptrIfEEEENS9_16discard_iteratorINS9_11use_defaultEEEf11max_functorIfEfEEDaPvRmT3_T4_T5_mT6_P12ihipStream_tbENKUlT_T0_E_clISt17integral_constantIbLb0EESX_EEDaSS_ST_EUlSS_E_NS1_11comp_targetILNS1_3genE0ELNS1_11target_archE4294967295ELNS1_3gpuE0ELNS1_3repE0EEENS1_30default_config_static_selectorELNS0_4arch9wavefront6targetE1EEEvT1_
	.p2align	8
	.type	_ZN7rocprim17ROCPRIM_400000_NS6detail17trampoline_kernelINS0_14default_configENS1_20scan_config_selectorIfEEZZNS1_9scan_implILNS1_25lookback_scan_determinismE0ELb0ELb0ES3_N6thrust23THRUST_200600_302600_NS6detail15normal_iteratorINS9_10device_ptrIfEEEENS9_16discard_iteratorINS9_11use_defaultEEEf11max_functorIfEfEEDaPvRmT3_T4_T5_mT6_P12ihipStream_tbENKUlT_T0_E_clISt17integral_constantIbLb0EESX_EEDaSS_ST_EUlSS_E_NS1_11comp_targetILNS1_3genE0ELNS1_11target_archE4294967295ELNS1_3gpuE0ELNS1_3repE0EEENS1_30default_config_static_selectorELNS0_4arch9wavefront6targetE1EEEvT1_,@function
_ZN7rocprim17ROCPRIM_400000_NS6detail17trampoline_kernelINS0_14default_configENS1_20scan_config_selectorIfEEZZNS1_9scan_implILNS1_25lookback_scan_determinismE0ELb0ELb0ES3_N6thrust23THRUST_200600_302600_NS6detail15normal_iteratorINS9_10device_ptrIfEEEENS9_16discard_iteratorINS9_11use_defaultEEEf11max_functorIfEfEEDaPvRmT3_T4_T5_mT6_P12ihipStream_tbENKUlT_T0_E_clISt17integral_constantIbLb0EESX_EEDaSS_ST_EUlSS_E_NS1_11comp_targetILNS1_3genE0ELNS1_11target_archE4294967295ELNS1_3gpuE0ELNS1_3repE0EEENS1_30default_config_static_selectorELNS0_4arch9wavefront6targetE1EEEvT1_: ; @_ZN7rocprim17ROCPRIM_400000_NS6detail17trampoline_kernelINS0_14default_configENS1_20scan_config_selectorIfEEZZNS1_9scan_implILNS1_25lookback_scan_determinismE0ELb0ELb0ES3_N6thrust23THRUST_200600_302600_NS6detail15normal_iteratorINS9_10device_ptrIfEEEENS9_16discard_iteratorINS9_11use_defaultEEEf11max_functorIfEfEEDaPvRmT3_T4_T5_mT6_P12ihipStream_tbENKUlT_T0_E_clISt17integral_constantIbLb0EESX_EEDaSS_ST_EUlSS_E_NS1_11comp_targetILNS1_3genE0ELNS1_11target_archE4294967295ELNS1_3gpuE0ELNS1_3repE0EEENS1_30default_config_static_selectorELNS0_4arch9wavefront6targetE1EEEvT1_
; %bb.0:
	.section	.rodata,"a",@progbits
	.p2align	6, 0x0
	.amdhsa_kernel _ZN7rocprim17ROCPRIM_400000_NS6detail17trampoline_kernelINS0_14default_configENS1_20scan_config_selectorIfEEZZNS1_9scan_implILNS1_25lookback_scan_determinismE0ELb0ELb0ES3_N6thrust23THRUST_200600_302600_NS6detail15normal_iteratorINS9_10device_ptrIfEEEENS9_16discard_iteratorINS9_11use_defaultEEEf11max_functorIfEfEEDaPvRmT3_T4_T5_mT6_P12ihipStream_tbENKUlT_T0_E_clISt17integral_constantIbLb0EESX_EEDaSS_ST_EUlSS_E_NS1_11comp_targetILNS1_3genE0ELNS1_11target_archE4294967295ELNS1_3gpuE0ELNS1_3repE0EEENS1_30default_config_static_selectorELNS0_4arch9wavefront6targetE1EEEvT1_
		.amdhsa_group_segment_fixed_size 0
		.amdhsa_private_segment_fixed_size 0
		.amdhsa_kernarg_size 104
		.amdhsa_user_sgpr_count 6
		.amdhsa_user_sgpr_private_segment_buffer 1
		.amdhsa_user_sgpr_dispatch_ptr 0
		.amdhsa_user_sgpr_queue_ptr 0
		.amdhsa_user_sgpr_kernarg_segment_ptr 1
		.amdhsa_user_sgpr_dispatch_id 0
		.amdhsa_user_sgpr_flat_scratch_init 0
		.amdhsa_user_sgpr_kernarg_preload_length 0
		.amdhsa_user_sgpr_kernarg_preload_offset 0
		.amdhsa_user_sgpr_private_segment_size 0
		.amdhsa_uses_dynamic_stack 0
		.amdhsa_system_sgpr_private_segment_wavefront_offset 0
		.amdhsa_system_sgpr_workgroup_id_x 1
		.amdhsa_system_sgpr_workgroup_id_y 0
		.amdhsa_system_sgpr_workgroup_id_z 0
		.amdhsa_system_sgpr_workgroup_info 0
		.amdhsa_system_vgpr_workitem_id 0
		.amdhsa_next_free_vgpr 1
		.amdhsa_next_free_sgpr 0
		.amdhsa_accum_offset 4
		.amdhsa_reserve_vcc 0
		.amdhsa_reserve_flat_scratch 0
		.amdhsa_float_round_mode_32 0
		.amdhsa_float_round_mode_16_64 0
		.amdhsa_float_denorm_mode_32 3
		.amdhsa_float_denorm_mode_16_64 3
		.amdhsa_dx10_clamp 1
		.amdhsa_ieee_mode 1
		.amdhsa_fp16_overflow 0
		.amdhsa_tg_split 0
		.amdhsa_exception_fp_ieee_invalid_op 0
		.amdhsa_exception_fp_denorm_src 0
		.amdhsa_exception_fp_ieee_div_zero 0
		.amdhsa_exception_fp_ieee_overflow 0
		.amdhsa_exception_fp_ieee_underflow 0
		.amdhsa_exception_fp_ieee_inexact 0
		.amdhsa_exception_int_div_zero 0
	.end_amdhsa_kernel
	.section	.text._ZN7rocprim17ROCPRIM_400000_NS6detail17trampoline_kernelINS0_14default_configENS1_20scan_config_selectorIfEEZZNS1_9scan_implILNS1_25lookback_scan_determinismE0ELb0ELb0ES3_N6thrust23THRUST_200600_302600_NS6detail15normal_iteratorINS9_10device_ptrIfEEEENS9_16discard_iteratorINS9_11use_defaultEEEf11max_functorIfEfEEDaPvRmT3_T4_T5_mT6_P12ihipStream_tbENKUlT_T0_E_clISt17integral_constantIbLb0EESX_EEDaSS_ST_EUlSS_E_NS1_11comp_targetILNS1_3genE0ELNS1_11target_archE4294967295ELNS1_3gpuE0ELNS1_3repE0EEENS1_30default_config_static_selectorELNS0_4arch9wavefront6targetE1EEEvT1_,"axG",@progbits,_ZN7rocprim17ROCPRIM_400000_NS6detail17trampoline_kernelINS0_14default_configENS1_20scan_config_selectorIfEEZZNS1_9scan_implILNS1_25lookback_scan_determinismE0ELb0ELb0ES3_N6thrust23THRUST_200600_302600_NS6detail15normal_iteratorINS9_10device_ptrIfEEEENS9_16discard_iteratorINS9_11use_defaultEEEf11max_functorIfEfEEDaPvRmT3_T4_T5_mT6_P12ihipStream_tbENKUlT_T0_E_clISt17integral_constantIbLb0EESX_EEDaSS_ST_EUlSS_E_NS1_11comp_targetILNS1_3genE0ELNS1_11target_archE4294967295ELNS1_3gpuE0ELNS1_3repE0EEENS1_30default_config_static_selectorELNS0_4arch9wavefront6targetE1EEEvT1_,comdat
.Lfunc_end3134:
	.size	_ZN7rocprim17ROCPRIM_400000_NS6detail17trampoline_kernelINS0_14default_configENS1_20scan_config_selectorIfEEZZNS1_9scan_implILNS1_25lookback_scan_determinismE0ELb0ELb0ES3_N6thrust23THRUST_200600_302600_NS6detail15normal_iteratorINS9_10device_ptrIfEEEENS9_16discard_iteratorINS9_11use_defaultEEEf11max_functorIfEfEEDaPvRmT3_T4_T5_mT6_P12ihipStream_tbENKUlT_T0_E_clISt17integral_constantIbLb0EESX_EEDaSS_ST_EUlSS_E_NS1_11comp_targetILNS1_3genE0ELNS1_11target_archE4294967295ELNS1_3gpuE0ELNS1_3repE0EEENS1_30default_config_static_selectorELNS0_4arch9wavefront6targetE1EEEvT1_, .Lfunc_end3134-_ZN7rocprim17ROCPRIM_400000_NS6detail17trampoline_kernelINS0_14default_configENS1_20scan_config_selectorIfEEZZNS1_9scan_implILNS1_25lookback_scan_determinismE0ELb0ELb0ES3_N6thrust23THRUST_200600_302600_NS6detail15normal_iteratorINS9_10device_ptrIfEEEENS9_16discard_iteratorINS9_11use_defaultEEEf11max_functorIfEfEEDaPvRmT3_T4_T5_mT6_P12ihipStream_tbENKUlT_T0_E_clISt17integral_constantIbLb0EESX_EEDaSS_ST_EUlSS_E_NS1_11comp_targetILNS1_3genE0ELNS1_11target_archE4294967295ELNS1_3gpuE0ELNS1_3repE0EEENS1_30default_config_static_selectorELNS0_4arch9wavefront6targetE1EEEvT1_
                                        ; -- End function
	.section	.AMDGPU.csdata,"",@progbits
; Kernel info:
; codeLenInByte = 0
; NumSgprs: 4
; NumVgprs: 0
; NumAgprs: 0
; TotalNumVgprs: 0
; ScratchSize: 0
; MemoryBound: 0
; FloatMode: 240
; IeeeMode: 1
; LDSByteSize: 0 bytes/workgroup (compile time only)
; SGPRBlocks: 0
; VGPRBlocks: 0
; NumSGPRsForWavesPerEU: 4
; NumVGPRsForWavesPerEU: 1
; AccumOffset: 4
; Occupancy: 8
; WaveLimiterHint : 0
; COMPUTE_PGM_RSRC2:SCRATCH_EN: 0
; COMPUTE_PGM_RSRC2:USER_SGPR: 6
; COMPUTE_PGM_RSRC2:TRAP_HANDLER: 0
; COMPUTE_PGM_RSRC2:TGID_X_EN: 1
; COMPUTE_PGM_RSRC2:TGID_Y_EN: 0
; COMPUTE_PGM_RSRC2:TGID_Z_EN: 0
; COMPUTE_PGM_RSRC2:TIDIG_COMP_CNT: 0
; COMPUTE_PGM_RSRC3_GFX90A:ACCUM_OFFSET: 0
; COMPUTE_PGM_RSRC3_GFX90A:TG_SPLIT: 0
	.section	.text._ZN7rocprim17ROCPRIM_400000_NS6detail17trampoline_kernelINS0_14default_configENS1_20scan_config_selectorIfEEZZNS1_9scan_implILNS1_25lookback_scan_determinismE0ELb0ELb0ES3_N6thrust23THRUST_200600_302600_NS6detail15normal_iteratorINS9_10device_ptrIfEEEENS9_16discard_iteratorINS9_11use_defaultEEEf11max_functorIfEfEEDaPvRmT3_T4_T5_mT6_P12ihipStream_tbENKUlT_T0_E_clISt17integral_constantIbLb0EESX_EEDaSS_ST_EUlSS_E_NS1_11comp_targetILNS1_3genE5ELNS1_11target_archE942ELNS1_3gpuE9ELNS1_3repE0EEENS1_30default_config_static_selectorELNS0_4arch9wavefront6targetE1EEEvT1_,"axG",@progbits,_ZN7rocprim17ROCPRIM_400000_NS6detail17trampoline_kernelINS0_14default_configENS1_20scan_config_selectorIfEEZZNS1_9scan_implILNS1_25lookback_scan_determinismE0ELb0ELb0ES3_N6thrust23THRUST_200600_302600_NS6detail15normal_iteratorINS9_10device_ptrIfEEEENS9_16discard_iteratorINS9_11use_defaultEEEf11max_functorIfEfEEDaPvRmT3_T4_T5_mT6_P12ihipStream_tbENKUlT_T0_E_clISt17integral_constantIbLb0EESX_EEDaSS_ST_EUlSS_E_NS1_11comp_targetILNS1_3genE5ELNS1_11target_archE942ELNS1_3gpuE9ELNS1_3repE0EEENS1_30default_config_static_selectorELNS0_4arch9wavefront6targetE1EEEvT1_,comdat
	.protected	_ZN7rocprim17ROCPRIM_400000_NS6detail17trampoline_kernelINS0_14default_configENS1_20scan_config_selectorIfEEZZNS1_9scan_implILNS1_25lookback_scan_determinismE0ELb0ELb0ES3_N6thrust23THRUST_200600_302600_NS6detail15normal_iteratorINS9_10device_ptrIfEEEENS9_16discard_iteratorINS9_11use_defaultEEEf11max_functorIfEfEEDaPvRmT3_T4_T5_mT6_P12ihipStream_tbENKUlT_T0_E_clISt17integral_constantIbLb0EESX_EEDaSS_ST_EUlSS_E_NS1_11comp_targetILNS1_3genE5ELNS1_11target_archE942ELNS1_3gpuE9ELNS1_3repE0EEENS1_30default_config_static_selectorELNS0_4arch9wavefront6targetE1EEEvT1_ ; -- Begin function _ZN7rocprim17ROCPRIM_400000_NS6detail17trampoline_kernelINS0_14default_configENS1_20scan_config_selectorIfEEZZNS1_9scan_implILNS1_25lookback_scan_determinismE0ELb0ELb0ES3_N6thrust23THRUST_200600_302600_NS6detail15normal_iteratorINS9_10device_ptrIfEEEENS9_16discard_iteratorINS9_11use_defaultEEEf11max_functorIfEfEEDaPvRmT3_T4_T5_mT6_P12ihipStream_tbENKUlT_T0_E_clISt17integral_constantIbLb0EESX_EEDaSS_ST_EUlSS_E_NS1_11comp_targetILNS1_3genE5ELNS1_11target_archE942ELNS1_3gpuE9ELNS1_3repE0EEENS1_30default_config_static_selectorELNS0_4arch9wavefront6targetE1EEEvT1_
	.globl	_ZN7rocprim17ROCPRIM_400000_NS6detail17trampoline_kernelINS0_14default_configENS1_20scan_config_selectorIfEEZZNS1_9scan_implILNS1_25lookback_scan_determinismE0ELb0ELb0ES3_N6thrust23THRUST_200600_302600_NS6detail15normal_iteratorINS9_10device_ptrIfEEEENS9_16discard_iteratorINS9_11use_defaultEEEf11max_functorIfEfEEDaPvRmT3_T4_T5_mT6_P12ihipStream_tbENKUlT_T0_E_clISt17integral_constantIbLb0EESX_EEDaSS_ST_EUlSS_E_NS1_11comp_targetILNS1_3genE5ELNS1_11target_archE942ELNS1_3gpuE9ELNS1_3repE0EEENS1_30default_config_static_selectorELNS0_4arch9wavefront6targetE1EEEvT1_
	.p2align	8
	.type	_ZN7rocprim17ROCPRIM_400000_NS6detail17trampoline_kernelINS0_14default_configENS1_20scan_config_selectorIfEEZZNS1_9scan_implILNS1_25lookback_scan_determinismE0ELb0ELb0ES3_N6thrust23THRUST_200600_302600_NS6detail15normal_iteratorINS9_10device_ptrIfEEEENS9_16discard_iteratorINS9_11use_defaultEEEf11max_functorIfEfEEDaPvRmT3_T4_T5_mT6_P12ihipStream_tbENKUlT_T0_E_clISt17integral_constantIbLb0EESX_EEDaSS_ST_EUlSS_E_NS1_11comp_targetILNS1_3genE5ELNS1_11target_archE942ELNS1_3gpuE9ELNS1_3repE0EEENS1_30default_config_static_selectorELNS0_4arch9wavefront6targetE1EEEvT1_,@function
_ZN7rocprim17ROCPRIM_400000_NS6detail17trampoline_kernelINS0_14default_configENS1_20scan_config_selectorIfEEZZNS1_9scan_implILNS1_25lookback_scan_determinismE0ELb0ELb0ES3_N6thrust23THRUST_200600_302600_NS6detail15normal_iteratorINS9_10device_ptrIfEEEENS9_16discard_iteratorINS9_11use_defaultEEEf11max_functorIfEfEEDaPvRmT3_T4_T5_mT6_P12ihipStream_tbENKUlT_T0_E_clISt17integral_constantIbLb0EESX_EEDaSS_ST_EUlSS_E_NS1_11comp_targetILNS1_3genE5ELNS1_11target_archE942ELNS1_3gpuE9ELNS1_3repE0EEENS1_30default_config_static_selectorELNS0_4arch9wavefront6targetE1EEEvT1_: ; @_ZN7rocprim17ROCPRIM_400000_NS6detail17trampoline_kernelINS0_14default_configENS1_20scan_config_selectorIfEEZZNS1_9scan_implILNS1_25lookback_scan_determinismE0ELb0ELb0ES3_N6thrust23THRUST_200600_302600_NS6detail15normal_iteratorINS9_10device_ptrIfEEEENS9_16discard_iteratorINS9_11use_defaultEEEf11max_functorIfEfEEDaPvRmT3_T4_T5_mT6_P12ihipStream_tbENKUlT_T0_E_clISt17integral_constantIbLb0EESX_EEDaSS_ST_EUlSS_E_NS1_11comp_targetILNS1_3genE5ELNS1_11target_archE942ELNS1_3gpuE9ELNS1_3repE0EEENS1_30default_config_static_selectorELNS0_4arch9wavefront6targetE1EEEvT1_
; %bb.0:
	.section	.rodata,"a",@progbits
	.p2align	6, 0x0
	.amdhsa_kernel _ZN7rocprim17ROCPRIM_400000_NS6detail17trampoline_kernelINS0_14default_configENS1_20scan_config_selectorIfEEZZNS1_9scan_implILNS1_25lookback_scan_determinismE0ELb0ELb0ES3_N6thrust23THRUST_200600_302600_NS6detail15normal_iteratorINS9_10device_ptrIfEEEENS9_16discard_iteratorINS9_11use_defaultEEEf11max_functorIfEfEEDaPvRmT3_T4_T5_mT6_P12ihipStream_tbENKUlT_T0_E_clISt17integral_constantIbLb0EESX_EEDaSS_ST_EUlSS_E_NS1_11comp_targetILNS1_3genE5ELNS1_11target_archE942ELNS1_3gpuE9ELNS1_3repE0EEENS1_30default_config_static_selectorELNS0_4arch9wavefront6targetE1EEEvT1_
		.amdhsa_group_segment_fixed_size 0
		.amdhsa_private_segment_fixed_size 0
		.amdhsa_kernarg_size 104
		.amdhsa_user_sgpr_count 6
		.amdhsa_user_sgpr_private_segment_buffer 1
		.amdhsa_user_sgpr_dispatch_ptr 0
		.amdhsa_user_sgpr_queue_ptr 0
		.amdhsa_user_sgpr_kernarg_segment_ptr 1
		.amdhsa_user_sgpr_dispatch_id 0
		.amdhsa_user_sgpr_flat_scratch_init 0
		.amdhsa_user_sgpr_kernarg_preload_length 0
		.amdhsa_user_sgpr_kernarg_preload_offset 0
		.amdhsa_user_sgpr_private_segment_size 0
		.amdhsa_uses_dynamic_stack 0
		.amdhsa_system_sgpr_private_segment_wavefront_offset 0
		.amdhsa_system_sgpr_workgroup_id_x 1
		.amdhsa_system_sgpr_workgroup_id_y 0
		.amdhsa_system_sgpr_workgroup_id_z 0
		.amdhsa_system_sgpr_workgroup_info 0
		.amdhsa_system_vgpr_workitem_id 0
		.amdhsa_next_free_vgpr 1
		.amdhsa_next_free_sgpr 0
		.amdhsa_accum_offset 4
		.amdhsa_reserve_vcc 0
		.amdhsa_reserve_flat_scratch 0
		.amdhsa_float_round_mode_32 0
		.amdhsa_float_round_mode_16_64 0
		.amdhsa_float_denorm_mode_32 3
		.amdhsa_float_denorm_mode_16_64 3
		.amdhsa_dx10_clamp 1
		.amdhsa_ieee_mode 1
		.amdhsa_fp16_overflow 0
		.amdhsa_tg_split 0
		.amdhsa_exception_fp_ieee_invalid_op 0
		.amdhsa_exception_fp_denorm_src 0
		.amdhsa_exception_fp_ieee_div_zero 0
		.amdhsa_exception_fp_ieee_overflow 0
		.amdhsa_exception_fp_ieee_underflow 0
		.amdhsa_exception_fp_ieee_inexact 0
		.amdhsa_exception_int_div_zero 0
	.end_amdhsa_kernel
	.section	.text._ZN7rocprim17ROCPRIM_400000_NS6detail17trampoline_kernelINS0_14default_configENS1_20scan_config_selectorIfEEZZNS1_9scan_implILNS1_25lookback_scan_determinismE0ELb0ELb0ES3_N6thrust23THRUST_200600_302600_NS6detail15normal_iteratorINS9_10device_ptrIfEEEENS9_16discard_iteratorINS9_11use_defaultEEEf11max_functorIfEfEEDaPvRmT3_T4_T5_mT6_P12ihipStream_tbENKUlT_T0_E_clISt17integral_constantIbLb0EESX_EEDaSS_ST_EUlSS_E_NS1_11comp_targetILNS1_3genE5ELNS1_11target_archE942ELNS1_3gpuE9ELNS1_3repE0EEENS1_30default_config_static_selectorELNS0_4arch9wavefront6targetE1EEEvT1_,"axG",@progbits,_ZN7rocprim17ROCPRIM_400000_NS6detail17trampoline_kernelINS0_14default_configENS1_20scan_config_selectorIfEEZZNS1_9scan_implILNS1_25lookback_scan_determinismE0ELb0ELb0ES3_N6thrust23THRUST_200600_302600_NS6detail15normal_iteratorINS9_10device_ptrIfEEEENS9_16discard_iteratorINS9_11use_defaultEEEf11max_functorIfEfEEDaPvRmT3_T4_T5_mT6_P12ihipStream_tbENKUlT_T0_E_clISt17integral_constantIbLb0EESX_EEDaSS_ST_EUlSS_E_NS1_11comp_targetILNS1_3genE5ELNS1_11target_archE942ELNS1_3gpuE9ELNS1_3repE0EEENS1_30default_config_static_selectorELNS0_4arch9wavefront6targetE1EEEvT1_,comdat
.Lfunc_end3135:
	.size	_ZN7rocprim17ROCPRIM_400000_NS6detail17trampoline_kernelINS0_14default_configENS1_20scan_config_selectorIfEEZZNS1_9scan_implILNS1_25lookback_scan_determinismE0ELb0ELb0ES3_N6thrust23THRUST_200600_302600_NS6detail15normal_iteratorINS9_10device_ptrIfEEEENS9_16discard_iteratorINS9_11use_defaultEEEf11max_functorIfEfEEDaPvRmT3_T4_T5_mT6_P12ihipStream_tbENKUlT_T0_E_clISt17integral_constantIbLb0EESX_EEDaSS_ST_EUlSS_E_NS1_11comp_targetILNS1_3genE5ELNS1_11target_archE942ELNS1_3gpuE9ELNS1_3repE0EEENS1_30default_config_static_selectorELNS0_4arch9wavefront6targetE1EEEvT1_, .Lfunc_end3135-_ZN7rocprim17ROCPRIM_400000_NS6detail17trampoline_kernelINS0_14default_configENS1_20scan_config_selectorIfEEZZNS1_9scan_implILNS1_25lookback_scan_determinismE0ELb0ELb0ES3_N6thrust23THRUST_200600_302600_NS6detail15normal_iteratorINS9_10device_ptrIfEEEENS9_16discard_iteratorINS9_11use_defaultEEEf11max_functorIfEfEEDaPvRmT3_T4_T5_mT6_P12ihipStream_tbENKUlT_T0_E_clISt17integral_constantIbLb0EESX_EEDaSS_ST_EUlSS_E_NS1_11comp_targetILNS1_3genE5ELNS1_11target_archE942ELNS1_3gpuE9ELNS1_3repE0EEENS1_30default_config_static_selectorELNS0_4arch9wavefront6targetE1EEEvT1_
                                        ; -- End function
	.section	.AMDGPU.csdata,"",@progbits
; Kernel info:
; codeLenInByte = 0
; NumSgprs: 4
; NumVgprs: 0
; NumAgprs: 0
; TotalNumVgprs: 0
; ScratchSize: 0
; MemoryBound: 0
; FloatMode: 240
; IeeeMode: 1
; LDSByteSize: 0 bytes/workgroup (compile time only)
; SGPRBlocks: 0
; VGPRBlocks: 0
; NumSGPRsForWavesPerEU: 4
; NumVGPRsForWavesPerEU: 1
; AccumOffset: 4
; Occupancy: 8
; WaveLimiterHint : 0
; COMPUTE_PGM_RSRC2:SCRATCH_EN: 0
; COMPUTE_PGM_RSRC2:USER_SGPR: 6
; COMPUTE_PGM_RSRC2:TRAP_HANDLER: 0
; COMPUTE_PGM_RSRC2:TGID_X_EN: 1
; COMPUTE_PGM_RSRC2:TGID_Y_EN: 0
; COMPUTE_PGM_RSRC2:TGID_Z_EN: 0
; COMPUTE_PGM_RSRC2:TIDIG_COMP_CNT: 0
; COMPUTE_PGM_RSRC3_GFX90A:ACCUM_OFFSET: 0
; COMPUTE_PGM_RSRC3_GFX90A:TG_SPLIT: 0
	.section	.text._ZN7rocprim17ROCPRIM_400000_NS6detail17trampoline_kernelINS0_14default_configENS1_20scan_config_selectorIfEEZZNS1_9scan_implILNS1_25lookback_scan_determinismE0ELb0ELb0ES3_N6thrust23THRUST_200600_302600_NS6detail15normal_iteratorINS9_10device_ptrIfEEEENS9_16discard_iteratorINS9_11use_defaultEEEf11max_functorIfEfEEDaPvRmT3_T4_T5_mT6_P12ihipStream_tbENKUlT_T0_E_clISt17integral_constantIbLb0EESX_EEDaSS_ST_EUlSS_E_NS1_11comp_targetILNS1_3genE4ELNS1_11target_archE910ELNS1_3gpuE8ELNS1_3repE0EEENS1_30default_config_static_selectorELNS0_4arch9wavefront6targetE1EEEvT1_,"axG",@progbits,_ZN7rocprim17ROCPRIM_400000_NS6detail17trampoline_kernelINS0_14default_configENS1_20scan_config_selectorIfEEZZNS1_9scan_implILNS1_25lookback_scan_determinismE0ELb0ELb0ES3_N6thrust23THRUST_200600_302600_NS6detail15normal_iteratorINS9_10device_ptrIfEEEENS9_16discard_iteratorINS9_11use_defaultEEEf11max_functorIfEfEEDaPvRmT3_T4_T5_mT6_P12ihipStream_tbENKUlT_T0_E_clISt17integral_constantIbLb0EESX_EEDaSS_ST_EUlSS_E_NS1_11comp_targetILNS1_3genE4ELNS1_11target_archE910ELNS1_3gpuE8ELNS1_3repE0EEENS1_30default_config_static_selectorELNS0_4arch9wavefront6targetE1EEEvT1_,comdat
	.protected	_ZN7rocprim17ROCPRIM_400000_NS6detail17trampoline_kernelINS0_14default_configENS1_20scan_config_selectorIfEEZZNS1_9scan_implILNS1_25lookback_scan_determinismE0ELb0ELb0ES3_N6thrust23THRUST_200600_302600_NS6detail15normal_iteratorINS9_10device_ptrIfEEEENS9_16discard_iteratorINS9_11use_defaultEEEf11max_functorIfEfEEDaPvRmT3_T4_T5_mT6_P12ihipStream_tbENKUlT_T0_E_clISt17integral_constantIbLb0EESX_EEDaSS_ST_EUlSS_E_NS1_11comp_targetILNS1_3genE4ELNS1_11target_archE910ELNS1_3gpuE8ELNS1_3repE0EEENS1_30default_config_static_selectorELNS0_4arch9wavefront6targetE1EEEvT1_ ; -- Begin function _ZN7rocprim17ROCPRIM_400000_NS6detail17trampoline_kernelINS0_14default_configENS1_20scan_config_selectorIfEEZZNS1_9scan_implILNS1_25lookback_scan_determinismE0ELb0ELb0ES3_N6thrust23THRUST_200600_302600_NS6detail15normal_iteratorINS9_10device_ptrIfEEEENS9_16discard_iteratorINS9_11use_defaultEEEf11max_functorIfEfEEDaPvRmT3_T4_T5_mT6_P12ihipStream_tbENKUlT_T0_E_clISt17integral_constantIbLb0EESX_EEDaSS_ST_EUlSS_E_NS1_11comp_targetILNS1_3genE4ELNS1_11target_archE910ELNS1_3gpuE8ELNS1_3repE0EEENS1_30default_config_static_selectorELNS0_4arch9wavefront6targetE1EEEvT1_
	.globl	_ZN7rocprim17ROCPRIM_400000_NS6detail17trampoline_kernelINS0_14default_configENS1_20scan_config_selectorIfEEZZNS1_9scan_implILNS1_25lookback_scan_determinismE0ELb0ELb0ES3_N6thrust23THRUST_200600_302600_NS6detail15normal_iteratorINS9_10device_ptrIfEEEENS9_16discard_iteratorINS9_11use_defaultEEEf11max_functorIfEfEEDaPvRmT3_T4_T5_mT6_P12ihipStream_tbENKUlT_T0_E_clISt17integral_constantIbLb0EESX_EEDaSS_ST_EUlSS_E_NS1_11comp_targetILNS1_3genE4ELNS1_11target_archE910ELNS1_3gpuE8ELNS1_3repE0EEENS1_30default_config_static_selectorELNS0_4arch9wavefront6targetE1EEEvT1_
	.p2align	8
	.type	_ZN7rocprim17ROCPRIM_400000_NS6detail17trampoline_kernelINS0_14default_configENS1_20scan_config_selectorIfEEZZNS1_9scan_implILNS1_25lookback_scan_determinismE0ELb0ELb0ES3_N6thrust23THRUST_200600_302600_NS6detail15normal_iteratorINS9_10device_ptrIfEEEENS9_16discard_iteratorINS9_11use_defaultEEEf11max_functorIfEfEEDaPvRmT3_T4_T5_mT6_P12ihipStream_tbENKUlT_T0_E_clISt17integral_constantIbLb0EESX_EEDaSS_ST_EUlSS_E_NS1_11comp_targetILNS1_3genE4ELNS1_11target_archE910ELNS1_3gpuE8ELNS1_3repE0EEENS1_30default_config_static_selectorELNS0_4arch9wavefront6targetE1EEEvT1_,@function
_ZN7rocprim17ROCPRIM_400000_NS6detail17trampoline_kernelINS0_14default_configENS1_20scan_config_selectorIfEEZZNS1_9scan_implILNS1_25lookback_scan_determinismE0ELb0ELb0ES3_N6thrust23THRUST_200600_302600_NS6detail15normal_iteratorINS9_10device_ptrIfEEEENS9_16discard_iteratorINS9_11use_defaultEEEf11max_functorIfEfEEDaPvRmT3_T4_T5_mT6_P12ihipStream_tbENKUlT_T0_E_clISt17integral_constantIbLb0EESX_EEDaSS_ST_EUlSS_E_NS1_11comp_targetILNS1_3genE4ELNS1_11target_archE910ELNS1_3gpuE8ELNS1_3repE0EEENS1_30default_config_static_selectorELNS0_4arch9wavefront6targetE1EEEvT1_: ; @_ZN7rocprim17ROCPRIM_400000_NS6detail17trampoline_kernelINS0_14default_configENS1_20scan_config_selectorIfEEZZNS1_9scan_implILNS1_25lookback_scan_determinismE0ELb0ELb0ES3_N6thrust23THRUST_200600_302600_NS6detail15normal_iteratorINS9_10device_ptrIfEEEENS9_16discard_iteratorINS9_11use_defaultEEEf11max_functorIfEfEEDaPvRmT3_T4_T5_mT6_P12ihipStream_tbENKUlT_T0_E_clISt17integral_constantIbLb0EESX_EEDaSS_ST_EUlSS_E_NS1_11comp_targetILNS1_3genE4ELNS1_11target_archE910ELNS1_3gpuE8ELNS1_3repE0EEENS1_30default_config_static_selectorELNS0_4arch9wavefront6targetE1EEEvT1_
; %bb.0:
	s_load_dwordx4 s[0:3], s[4:5], 0x0
	s_load_dwordx2 s[8:9], s[4:5], 0x20
	s_load_dword s7, s[4:5], 0x38
	v_lshlrev_b32_e32 v18, 2, v0
	s_waitcnt lgkmcnt(0)
	s_lshl_b64 s[2:3], s[2:3], 2
	s_add_u32 s2, s0, s2
	s_addc_u32 s3, s1, s3
	s_add_i32 s7, s7, -1
	s_mul_i32 s10, s7, 0x700
	s_sub_u32 s20, s8, s10
	s_subb_u32 s21, s9, 0
	s_mul_i32 s0, s6, 0x700
	s_mov_b32 s1, 0
	s_cmp_lg_u32 s6, s7
	s_cselect_b64 s[16:17], -1, 0
	s_lshl_b64 s[0:1], s[0:1], 2
	s_add_u32 s0, s2, s0
	s_addc_u32 s1, s3, s1
	s_mov_b64 s[2:3], -1
	s_and_b64 vcc, exec, s[16:17]
	s_cbranch_vccz .LBB3136_2
; %bb.1:
	v_mov_b32_e32 v1, s1
	v_add_co_u32_e32 v2, vcc, s0, v18
	v_addc_co_u32_e32 v3, vcc, 0, v1, vcc
	flat_load_dword v1, v[2:3]
	flat_load_dword v4, v[2:3] offset:512
	flat_load_dword v5, v[2:3] offset:1024
	;; [unrolled: 1-line block ×7, first 2 shown]
	v_add_co_u32_e32 v2, vcc, 0x1000, v2
	v_addc_co_u32_e32 v3, vcc, 0, v3, vcc
	flat_load_dword v11, v[2:3]
	flat_load_dword v12, v[2:3] offset:512
	flat_load_dword v13, v[2:3] offset:1024
	;; [unrolled: 1-line block ×5, first 2 shown]
	s_mov_b64 s[2:3], 0
	s_waitcnt vmcnt(0) lgkmcnt(0)
	ds_write2st64_b32 v18, v1, v4 offset1:2
	ds_write2st64_b32 v18, v5, v6 offset0:4 offset1:6
	ds_write2st64_b32 v18, v7, v8 offset0:8 offset1:10
	;; [unrolled: 1-line block ×6, first 2 shown]
	s_waitcnt lgkmcnt(0)
	s_barrier
.LBB3136_2:
	s_load_dwordx2 s[18:19], s[4:5], 0x30
	s_andn2_b64 vcc, exec, s[2:3]
	s_cbranch_vccnz .LBB3136_32
; %bb.3:
	v_pk_mov_b32 v[2:3], s[0:1], s[0:1] op_sel:[0,1]
	flat_load_dword v1, v[2:3]
	v_cmp_gt_u32_e32 vcc, s20, v0
	s_waitcnt vmcnt(0) lgkmcnt(0)
	v_mov_b32_e32 v2, v1
	v_mov_b32_e32 v3, v1
	;; [unrolled: 1-line block ×12, first 2 shown]
	v_pk_mov_b32 v[16:17], v[14:15], v[14:15] op_sel:[0,1]
	v_pk_mov_b32 v[14:15], v[12:13], v[12:13] op_sel:[0,1]
	;; [unrolled: 1-line block ×8, first 2 shown]
	s_and_saveexec_b64 s[2:3], vcc
	s_cbranch_execz .LBB3136_5
; %bb.4:
	v_mov_b32_e32 v3, s1
	v_add_co_u32_e32 v2, vcc, s0, v18
	v_addc_co_u32_e32 v3, vcc, 0, v3, vcc
	flat_load_dword v19, v[2:3]
	v_mov_b32_e32 v2, v1
	v_mov_b32_e32 v3, v1
	;; [unrolled: 1-line block ×12, first 2 shown]
	v_pk_mov_b32 v[16:17], v[14:15], v[14:15] op_sel:[0,1]
	v_pk_mov_b32 v[14:15], v[12:13], v[12:13] op_sel:[0,1]
	;; [unrolled: 1-line block ×8, first 2 shown]
	s_waitcnt vmcnt(0) lgkmcnt(0)
	v_mov_b32_e32 v1, v19
.LBB3136_5:
	s_or_b64 exec, exec, s[2:3]
	v_or_b32_e32 v2, 0x80, v0
	v_cmp_gt_u32_e32 vcc, s20, v2
	s_and_saveexec_b64 s[2:3], vcc
	s_cbranch_execz .LBB3136_7
; %bb.6:
	v_mov_b32_e32 v3, s1
	v_add_co_u32_e32 v2, vcc, s0, v18
	v_addc_co_u32_e32 v3, vcc, 0, v3, vcc
	flat_load_dword v3, v[2:3] offset:512
.LBB3136_7:
	s_or_b64 exec, exec, s[2:3]
	v_or_b32_e32 v2, 0x100, v0
	v_cmp_gt_u32_e32 vcc, s20, v2
	s_and_saveexec_b64 s[2:3], vcc
	s_cbranch_execz .LBB3136_9
; %bb.8:
	v_mov_b32_e32 v2, s1
	v_add_co_u32_e32 v16, vcc, s0, v18
	v_addc_co_u32_e32 v17, vcc, 0, v2, vcc
	flat_load_dword v4, v[16:17] offset:1024
.LBB3136_9:
	;; [unrolled: 11-line block ×7, first 2 shown]
	s_or_b64 exec, exec, s[2:3]
	v_or_b32_e32 v2, 0x400, v0
	v_cmp_gt_u32_e32 vcc, s20, v2
	s_and_saveexec_b64 s[2:3], vcc
	s_cbranch_execz .LBB3136_21
; %bb.20:
	v_lshlrev_b32_e32 v2, 2, v2
	v_mov_b32_e32 v10, s1
	v_add_co_u32_e32 v16, vcc, s0, v2
	v_addc_co_u32_e32 v17, vcc, 0, v10, vcc
	flat_load_dword v10, v[16:17]
.LBB3136_21:
	s_or_b64 exec, exec, s[2:3]
	v_or_b32_e32 v2, 0x480, v0
	v_cmp_gt_u32_e32 vcc, s20, v2
	s_and_saveexec_b64 s[2:3], vcc
	s_cbranch_execz .LBB3136_23
; %bb.22:
	v_lshlrev_b32_e32 v2, 2, v2
	v_mov_b32_e32 v11, s1
	v_add_co_u32_e32 v16, vcc, s0, v2
	v_addc_co_u32_e32 v17, vcc, 0, v11, vcc
	flat_load_dword v11, v[16:17]
.LBB3136_23:
	s_or_b64 exec, exec, s[2:3]
	v_or_b32_e32 v2, 0x500, v0
	v_cmp_gt_u32_e32 vcc, s20, v2
	s_and_saveexec_b64 s[2:3], vcc
	s_cbranch_execz .LBB3136_25
; %bb.24:
	v_lshlrev_b32_e32 v2, 2, v2
	v_mov_b32_e32 v12, s1
	v_add_co_u32_e32 v16, vcc, s0, v2
	v_addc_co_u32_e32 v17, vcc, 0, v12, vcc
	flat_load_dword v12, v[16:17]
.LBB3136_25:
	s_or_b64 exec, exec, s[2:3]
	v_or_b32_e32 v2, 0x580, v0
	v_cmp_gt_u32_e32 vcc, s20, v2
	s_and_saveexec_b64 s[2:3], vcc
	s_cbranch_execz .LBB3136_27
; %bb.26:
	v_lshlrev_b32_e32 v2, 2, v2
	v_mov_b32_e32 v13, s1
	v_add_co_u32_e32 v16, vcc, s0, v2
	v_addc_co_u32_e32 v17, vcc, 0, v13, vcc
	flat_load_dword v13, v[16:17]
.LBB3136_27:
	s_or_b64 exec, exec, s[2:3]
	v_or_b32_e32 v2, 0x600, v0
	v_cmp_gt_u32_e32 vcc, s20, v2
	s_and_saveexec_b64 s[2:3], vcc
	s_cbranch_execz .LBB3136_29
; %bb.28:
	v_lshlrev_b32_e32 v2, 2, v2
	v_mov_b32_e32 v14, s1
	v_add_co_u32_e32 v16, vcc, s0, v2
	v_addc_co_u32_e32 v17, vcc, 0, v14, vcc
	flat_load_dword v14, v[16:17]
.LBB3136_29:
	s_or_b64 exec, exec, s[2:3]
	v_or_b32_e32 v2, 0x680, v0
	v_cmp_gt_u32_e32 vcc, s20, v2
	s_and_saveexec_b64 s[2:3], vcc
	s_cbranch_execz .LBB3136_31
; %bb.30:
	v_lshlrev_b32_e32 v2, 2, v2
	v_mov_b32_e32 v15, s1
	v_add_co_u32_e32 v16, vcc, s0, v2
	v_addc_co_u32_e32 v17, vcc, 0, v15, vcc
	flat_load_dword v15, v[16:17]
.LBB3136_31:
	s_or_b64 exec, exec, s[2:3]
	s_waitcnt vmcnt(0) lgkmcnt(0)
	ds_write2st64_b32 v18, v1, v3 offset1:2
	ds_write2st64_b32 v18, v4, v5 offset0:4 offset1:6
	ds_write2st64_b32 v18, v6, v7 offset0:8 offset1:10
	;; [unrolled: 1-line block ×6, first 2 shown]
	s_waitcnt lgkmcnt(0)
	s_barrier
.LBB3136_32:
	v_mul_u32_u24_e32 v32, 14, v0
	v_lshlrev_b32_e32 v33, 2, v32
	s_waitcnt lgkmcnt(0)
	ds_read2_b64 v[2:5], v33 offset1:1
	ds_read2_b64 v[26:29], v33 offset0:2 offset1:3
	ds_read2_b64 v[22:25], v33 offset0:4 offset1:5
	ds_read_b64 v[30:31], v33 offset:48
	s_cmp_lg_u32 s6, 0
	v_lshrrev_b32_e32 v1, 5, v0
	v_cmp_gt_u32_e32 vcc, 64, v0
	s_waitcnt lgkmcnt(0)
	s_barrier
	s_cbranch_scc0 .LBB3136_57
; %bb.33:
	v_cmp_lt_f32_e64 s[0:1], v2, v3
	v_cndmask_b32_e64 v6, v2, v3, s[0:1]
	v_cmp_lt_f32_e64 s[0:1], v6, v4
	v_cndmask_b32_e64 v6, v6, v4, s[0:1]
	;; [unrolled: 2-line block ×13, first 2 shown]
	v_add_lshl_u32 v6, v1, v0, 2
	ds_write_b32 v6, v16
	s_waitcnt lgkmcnt(0)
	s_barrier
	s_and_saveexec_b64 s[12:13], vcc
	s_cbranch_execz .LBB3136_35
; %bb.34:
	v_lshlrev_b32_e32 v6, 1, v0
	v_lshrrev_b32_e32 v7, 4, v0
	v_add_lshl_u32 v8, v7, v6, 2
	ds_read2_b32 v[6:7], v8 offset1:1
	v_mbcnt_lo_u32_b32 v9, -1, 0
	v_mbcnt_hi_u32_b32 v9, -1, v9
	v_and_b32_e32 v10, 15, v9
	v_cmp_lt_u32_e64 s[10:11], 31, v9
	s_waitcnt lgkmcnt(0)
	v_cmp_lt_f32_e64 s[0:1], v6, v7
	v_cndmask_b32_e64 v7, v6, v7, s[0:1]
	v_cmp_gt_u32_e64 s[8:9], 32, v9
	s_nop 0
	v_mov_b32_dpp v11, v7 row_shr:1 row_mask:0xf bank_mask:0xf
	v_cmp_gt_f32_e64 s[0:1], v7, v11
	v_cndmask_b32_e64 v11, v11, v7, s[0:1]
	v_cmp_eq_u32_e64 s[0:1], 0, v10
	v_cndmask_b32_e64 v7, v11, v7, s[0:1]
	; wave barrier
	s_nop 1
	v_mov_b32_dpp v11, v7 row_shr:2 row_mask:0xf bank_mask:0xf
	v_cmp_gt_f32_e64 s[0:1], v7, v11
	v_cndmask_b32_e64 v11, v11, v7, s[0:1]
	v_cmp_lt_u32_e64 s[0:1], 1, v10
	v_cndmask_b32_e64 v11, v7, v11, s[0:1]
	s_nop 1
	v_mov_b32_dpp v12, v11 row_shr:4 row_mask:0xf bank_mask:0xf
	v_cmp_gt_f32_e64 s[2:3], v11, v12
	v_cndmask_b32_e64 v12, v12, v11, s[2:3]
	v_cmp_lt_u32_e64 s[2:3], 3, v10
	v_cndmask_b32_e64 v11, v11, v12, s[2:3]
	;; [unrolled: 6-line block ×3, first 2 shown]
	v_and_b32_e32 v12, 16, v9
	s_nop 0
	v_mov_b32_dpp v11, v10 row_bcast:15 row_mask:0xf bank_mask:0xf
	v_cmp_gt_f32_e64 s[2:3], v10, v11
	v_cndmask_b32_e64 v11, v11, v10, s[2:3]
	v_cmp_ne_u32_e64 s[2:3], 0, v12
	v_cndmask_b32_e64 v10, v10, v11, s[2:3]
	s_or_b64 s[10:11], s[2:3], s[10:11]
	s_or_b64 s[0:1], s[0:1], s[10:11]
	v_mov_b32_dpp v11, v10 row_bcast:31 row_mask:0xf bank_mask:0xf
	v_cmp_gt_f32_e64 s[2:3], v10, v11
	s_or_b64 s[2:3], s[8:9], s[2:3]
	v_cndmask_b32_e64 v10, v11, v10, s[2:3]
	v_cndmask_b32_e64 v7, v7, v10, s[0:1]
	v_add_u32_e32 v10, -1, v9
	v_and_b32_e32 v11, 64, v9
	v_cmp_lt_i32_e64 s[0:1], v10, v11
	v_cndmask_b32_e64 v9, v10, v9, s[0:1]
	v_lshlrev_b32_e32 v9, 2, v9
	ds_bpermute_b32 v7, v9, v7
	s_waitcnt lgkmcnt(0)
	v_cmp_gt_f32_e64 s[0:1], v6, v7
	v_cndmask_b32_e64 v6, v7, v6, s[0:1]
	v_cmp_eq_u32_e64 s[0:1], 0, v0
	v_cndmask_b32_e64 v6, v6, v16, s[0:1]
	ds_write_b32 v8, v6
	; wave barrier
	ds_read_b32 v7, v8 offset:4
	s_waitcnt lgkmcnt(0)
	v_cmp_lt_f32_e64 s[0:1], v6, v7
	v_cndmask_b32_e64 v6, v6, v7, s[0:1]
	ds_write_b32 v8, v6 offset:4
.LBB3136_35:
	s_or_b64 exec, exec, s[12:13]
	v_cmp_eq_u32_e64 s[0:1], 0, v0
	v_cmp_ne_u32_e64 s[2:3], 0, v0
	s_waitcnt lgkmcnt(0)
	s_barrier
	s_and_saveexec_b64 s[8:9], s[2:3]
	s_cbranch_execz .LBB3136_37
; %bb.36:
	v_add_u32_e32 v6, -1, v0
	v_lshrrev_b32_e32 v7, 5, v6
	v_add_lshl_u32 v6, v7, v6, 2
	ds_read_b32 v16, v6
.LBB3136_37:
	s_or_b64 exec, exec, s[8:9]
	s_and_saveexec_b64 s[12:13], vcc
	s_cbranch_execz .LBB3136_56
; %bb.38:
	v_mov_b32_e32 v13, 0
	ds_read_b32 v6, v13 offset:520
	v_mbcnt_lo_u32_b32 v7, -1, 0
	v_mbcnt_hi_u32_b32 v9, -1, v7
	s_mov_b32 s11, 0
	v_cmp_eq_u32_e64 s[2:3], 0, v9
	s_and_saveexec_b64 s[8:9], s[2:3]
	s_cbranch_execz .LBB3136_40
; %bb.39:
	s_add_i32 s10, s6, 64
	s_lshl_b64 s[10:11], s[10:11], 3
	s_add_u32 s10, s18, s10
	v_mov_b32_e32 v7, 1
	s_addc_u32 s11, s19, s11
	s_waitcnt lgkmcnt(0)
	global_store_dwordx2 v13, v[6:7], s[10:11]
.LBB3136_40:
	s_or_b64 exec, exec, s[8:9]
	v_xad_u32 v8, v9, -1, s6
	v_add_u32_e32 v12, 64, v8
	v_lshlrev_b64 v[10:11], 3, v[12:13]
	v_mov_b32_e32 v7, s19
	v_add_co_u32_e32 v14, vcc, s18, v10
	v_addc_co_u32_e32 v15, vcc, v7, v11, vcc
	global_load_dwordx2 v[10:11], v[14:15], off glc
	s_waitcnt vmcnt(0)
	v_cmp_eq_u16_sdwa s[10:11], v11, v13 src0_sel:BYTE_0 src1_sel:DWORD
	s_and_saveexec_b64 s[8:9], s[10:11]
	s_cbranch_execz .LBB3136_44
; %bb.41:
	s_mov_b64 s[10:11], 0
	v_mov_b32_e32 v7, 0
.LBB3136_42:                            ; =>This Inner Loop Header: Depth=1
	global_load_dwordx2 v[10:11], v[14:15], off glc
	s_waitcnt vmcnt(0)
	v_cmp_ne_u16_sdwa s[14:15], v11, v7 src0_sel:BYTE_0 src1_sel:DWORD
	s_or_b64 s[10:11], s[14:15], s[10:11]
	s_andn2_b64 exec, exec, s[10:11]
	s_cbranch_execnz .LBB3136_42
; %bb.43:
	s_or_b64 exec, exec, s[10:11]
.LBB3136_44:
	s_or_b64 exec, exec, s[8:9]
	v_and_b32_e32 v17, 63, v9
	v_cmp_ne_u32_e32 vcc, 63, v17
	v_addc_co_u32_e32 v18, vcc, 0, v9, vcc
	v_lshlrev_b32_e32 v18, 2, v18
	v_mov_b32_e32 v7, 2
	ds_bpermute_b32 v19, v18, v10
	v_cmp_eq_u16_sdwa s[8:9], v11, v7 src0_sel:BYTE_0 src1_sel:DWORD
	v_lshlrev_b64 v[12:13], v9, -1
	v_and_b32_e32 v14, s9, v13
	v_or_b32_e32 v14, 0x80000000, v14
	v_and_b32_e32 v15, s8, v12
	v_ffbl_b32_e32 v14, v14
	v_add_u32_e32 v14, 32, v14
	v_ffbl_b32_e32 v15, v15
	s_waitcnt lgkmcnt(0)
	v_cmp_lt_f32_e32 vcc, v19, v10
	v_cmp_gt_u32_e64 s[8:9], 62, v17
	v_min_u32_e32 v14, v15, v14
	v_cndmask_b32_e32 v15, v19, v10, vcc
	v_cndmask_b32_e64 v19, 0, 1, s[8:9]
	v_cmp_lt_u32_e32 vcc, v17, v14
	v_lshlrev_b32_e32 v19, 1, v19
	v_cndmask_b32_e32 v15, v10, v15, vcc
	v_add_lshl_u32 v19, v19, v9, 2
	ds_bpermute_b32 v21, v19, v15
	v_add_u32_e32 v20, 2, v17
	v_add_u32_e32 v34, 4, v17
	;; [unrolled: 1-line block ×4, first 2 shown]
	s_waitcnt lgkmcnt(0)
	v_cmp_gt_f32_e64 s[8:9], v15, v21
	v_cndmask_b32_e64 v21, v21, v15, s[8:9]
	v_cmp_gt_u32_e64 s[8:9], v20, v14
	v_cndmask_b32_e64 v15, v21, v15, s[8:9]
	v_cmp_gt_u32_e64 s[8:9], 60, v17
	v_cndmask_b32_e64 v21, 0, 1, s[8:9]
	v_lshlrev_b32_e32 v21, 2, v21
	v_add_lshl_u32 v21, v21, v9, 2
	ds_bpermute_b32 v35, v21, v15
	v_add_u32_e32 v41, 32, v17
	s_waitcnt lgkmcnt(0)
	v_cmp_gt_f32_e64 s[8:9], v15, v35
	v_cndmask_b32_e64 v35, v35, v15, s[8:9]
	v_cmp_gt_u32_e64 s[8:9], v34, v14
	v_cndmask_b32_e64 v15, v35, v15, s[8:9]
	v_cmp_gt_u32_e64 s[8:9], 56, v17
	v_cndmask_b32_e64 v35, 0, 1, s[8:9]
	v_lshlrev_b32_e32 v35, 3, v35
	v_add_lshl_u32 v35, v35, v9, 2
	ds_bpermute_b32 v37, v35, v15
	s_waitcnt lgkmcnt(0)
	v_cmp_gt_f32_e64 s[8:9], v15, v37
	v_cndmask_b32_e64 v37, v37, v15, s[8:9]
	v_cmp_gt_u32_e64 s[8:9], v36, v14
	v_cndmask_b32_e64 v15, v37, v15, s[8:9]
	v_cmp_gt_u32_e64 s[8:9], 48, v17
	v_cndmask_b32_e64 v37, 0, 1, s[8:9]
	v_lshlrev_b32_e32 v37, 4, v37
	v_add_lshl_u32 v37, v37, v9, 2
	ds_bpermute_b32 v38, v37, v15
	;; [unrolled: 10-line block ×3, first 2 shown]
	v_cmp_gt_u32_e64 s[8:9], v41, v14
	s_waitcnt lgkmcnt(0)
	v_cmp_gt_f32_e64 s[10:11], v15, v9
	s_or_b64 s[8:9], s[8:9], s[10:11]
	v_cndmask_b32_e64 v9, v9, v15, s[8:9]
	v_cndmask_b32_e32 v10, v10, v9, vcc
	v_mov_b32_e32 v9, 0
	s_branch .LBB3136_46
.LBB3136_45:                            ;   in Loop: Header=BB3136_46 Depth=1
	s_or_b64 exec, exec, s[8:9]
	v_cmp_eq_u16_sdwa s[8:9], v11, v7 src0_sel:BYTE_0 src1_sel:DWORD
	ds_bpermute_b32 v42, v18, v10
	v_and_b32_e32 v14, s9, v13
	v_or_b32_e32 v14, 0x80000000, v14
	v_and_b32_e32 v15, s8, v12
	v_ffbl_b32_e32 v14, v14
	v_add_u32_e32 v14, 32, v14
	v_ffbl_b32_e32 v15, v15
	v_min_u32_e32 v14, v15, v14
	s_waitcnt lgkmcnt(0)
	v_cmp_lt_f32_e32 vcc, v42, v10
	v_cndmask_b32_e32 v15, v42, v10, vcc
	v_cmp_lt_u32_e32 vcc, v17, v14
	v_cndmask_b32_e32 v15, v10, v15, vcc
	ds_bpermute_b32 v42, v19, v15
	v_subrev_u32_e32 v8, 64, v8
	s_waitcnt lgkmcnt(0)
	v_cmp_gt_f32_e64 s[8:9], v15, v42
	v_cndmask_b32_e64 v42, v42, v15, s[8:9]
	v_cmp_gt_u32_e64 s[8:9], v20, v14
	v_cndmask_b32_e64 v15, v42, v15, s[8:9]
	ds_bpermute_b32 v42, v21, v15
	s_waitcnt lgkmcnt(0)
	v_cmp_gt_f32_e64 s[8:9], v15, v42
	v_cndmask_b32_e64 v42, v42, v15, s[8:9]
	v_cmp_gt_u32_e64 s[8:9], v34, v14
	v_cndmask_b32_e64 v15, v42, v15, s[8:9]
	ds_bpermute_b32 v42, v35, v15
	;; [unrolled: 6-line block ×4, first 2 shown]
	v_cmp_gt_u32_e64 s[8:9], v41, v14
	s_waitcnt lgkmcnt(0)
	v_cmp_gt_f32_e64 s[10:11], v15, v42
	s_or_b64 s[8:9], s[8:9], s[10:11]
	v_cndmask_b32_e64 v14, v42, v15, s[8:9]
	v_cndmask_b32_e32 v10, v10, v14, vcc
	v_cmp_lt_f32_e32 vcc, v10, v38
	v_cndmask_b32_e32 v10, v10, v38, vcc
.LBB3136_46:                            ; =>This Loop Header: Depth=1
                                        ;     Child Loop BB3136_49 Depth 2
	v_cmp_ne_u16_sdwa s[8:9], v11, v7 src0_sel:BYTE_0 src1_sel:DWORD
	v_cndmask_b32_e64 v11, 0, 1, s[8:9]
	;;#ASMSTART
	;;#ASMEND
	v_cmp_ne_u32_e32 vcc, 0, v11
	s_cmp_lg_u64 vcc, exec
	v_mov_b32_e32 v38, v10
	s_cbranch_scc1 .LBB3136_51
; %bb.47:                               ;   in Loop: Header=BB3136_46 Depth=1
	v_lshlrev_b64 v[10:11], 3, v[8:9]
	v_mov_b32_e32 v15, s19
	v_add_co_u32_e32 v14, vcc, s18, v10
	v_addc_co_u32_e32 v15, vcc, v15, v11, vcc
	global_load_dwordx2 v[10:11], v[14:15], off glc
	s_waitcnt vmcnt(0)
	v_cmp_eq_u16_sdwa s[10:11], v11, v9 src0_sel:BYTE_0 src1_sel:DWORD
	s_and_saveexec_b64 s[8:9], s[10:11]
	s_cbranch_execz .LBB3136_45
; %bb.48:                               ;   in Loop: Header=BB3136_46 Depth=1
	s_mov_b64 s[10:11], 0
.LBB3136_49:                            ;   Parent Loop BB3136_46 Depth=1
                                        ; =>  This Inner Loop Header: Depth=2
	global_load_dwordx2 v[10:11], v[14:15], off glc
	s_waitcnt vmcnt(0)
	v_cmp_ne_u16_sdwa s[14:15], v11, v9 src0_sel:BYTE_0 src1_sel:DWORD
	s_or_b64 s[10:11], s[14:15], s[10:11]
	s_andn2_b64 exec, exec, s[10:11]
	s_cbranch_execnz .LBB3136_49
; %bb.50:                               ;   in Loop: Header=BB3136_46 Depth=1
	s_or_b64 exec, exec, s[10:11]
	s_branch .LBB3136_45
.LBB3136_51:                            ;   in Loop: Header=BB3136_46 Depth=1
                                        ; implicit-def: $vgpr10
                                        ; implicit-def: $vgpr11
	s_cbranch_execz .LBB3136_46
; %bb.52:
	s_and_saveexec_b64 s[8:9], s[2:3]
	s_cbranch_execz .LBB3136_54
; %bb.53:
	s_add_i32 s2, s6, 64
	s_mov_b32 s3, 0
	s_lshl_b64 s[2:3], s[2:3], 3
	v_cmp_lt_f32_e32 vcc, v38, v6
	s_add_u32 s2, s18, s2
	v_cndmask_b32_e32 v6, v38, v6, vcc
	v_mov_b32_e32 v7, 2
	s_addc_u32 s3, s19, s3
	v_mov_b32_e32 v8, 0
	global_store_dwordx2 v8, v[6:7], s[2:3]
.LBB3136_54:
	s_or_b64 exec, exec, s[8:9]
	s_and_b64 exec, exec, s[0:1]
	s_cbranch_execz .LBB3136_56
; %bb.55:
	v_mov_b32_e32 v6, 0
	ds_write_b32 v6, v38
.LBB3136_56:
	s_or_b64 exec, exec, s[12:13]
	v_mov_b32_e32 v6, 0
	s_waitcnt lgkmcnt(0)
	s_barrier
	ds_read_b32 v6, v6
	v_cmp_lt_f32_e32 vcc, v16, v2
	s_or_b64 vcc, s[0:1], vcc
	v_cndmask_b32_e32 v7, v16, v2, vcc
	s_waitcnt lgkmcnt(0)
	v_cmp_lt_f32_e32 vcc, v6, v7
	v_cndmask_b32_e32 v6, v6, v7, vcc
	v_cmp_lt_f32_e32 vcc, v6, v3
	v_cndmask_b32_e32 v7, v6, v3, vcc
	;; [unrolled: 2-line block ×14, first 2 shown]
	s_load_dwordx8 s[8:15], s[4:5], 0x40
	s_branch .LBB3136_69
.LBB3136_57:
                                        ; implicit-def: $vgpr6_vgpr7_vgpr8_vgpr9_vgpr10_vgpr11_vgpr12_vgpr13_vgpr14_vgpr15_vgpr16_vgpr17_vgpr18_vgpr19_vgpr20_vgpr21
	s_load_dwordx8 s[8:15], s[4:5], 0x40
	s_cbranch_execz .LBB3136_69
; %bb.58:
	s_waitcnt lgkmcnt(0)
	s_cmp_lg_u64 s[12:13], 0
	s_cselect_b64 s[2:3], -1, 0
	v_cmp_eq_u32_e64 s[0:1], 0, v0
	v_cmp_ne_u32_e32 vcc, 0, v0
	s_and_b64 s[2:3], s[0:1], s[2:3]
	s_and_saveexec_b64 s[4:5], s[2:3]
	s_cbranch_execz .LBB3136_60
; %bb.59:
	v_mov_b32_e32 v6, 0
	global_load_dword v6, v6, s[8:9]
	s_waitcnt vmcnt(0)
	v_cmp_lt_f32_e64 s[2:3], v6, v2
	v_cndmask_b32_e64 v2, v6, v2, s[2:3]
.LBB3136_60:
	s_or_b64 exec, exec, s[4:5]
	v_cmp_lt_f32_e64 s[2:3], v2, v3
	v_cndmask_b32_e64 v6, v2, v3, s[2:3]
	v_cmp_lt_f32_e64 s[2:3], v6, v4
	v_cndmask_b32_e64 v6, v6, v4, s[2:3]
	;; [unrolled: 2-line block ×13, first 2 shown]
	v_add_lshl_u32 v1, v1, v0, 2
	v_cmp_gt_u32_e64 s[2:3], 64, v0
	ds_write_b32 v1, v6
	s_waitcnt lgkmcnt(0)
	s_barrier
	s_and_saveexec_b64 s[12:13], s[2:3]
	s_cbranch_execz .LBB3136_62
; %bb.61:
	v_lshlrev_b32_e32 v1, 1, v0
	v_lshrrev_b32_e32 v7, 4, v0
	v_add_lshl_u32 v1, v7, v1, 2
	ds_read2_b32 v[8:9], v1 offset1:1
	v_mbcnt_lo_u32_b32 v7, -1, 0
	v_mbcnt_hi_u32_b32 v7, -1, v7
	v_and_b32_e32 v10, 15, v7
	v_cmp_lt_u32_e64 s[8:9], 31, v7
	s_waitcnt lgkmcnt(0)
	v_cmp_lt_f32_e64 s[2:3], v8, v9
	v_cndmask_b32_e64 v9, v8, v9, s[2:3]
	v_cmp_gt_u32_e64 s[6:7], 32, v7
	s_nop 0
	v_mov_b32_dpp v11, v9 row_shr:1 row_mask:0xf bank_mask:0xf
	v_cmp_gt_f32_e64 s[2:3], v9, v11
	v_cndmask_b32_e64 v11, v11, v9, s[2:3]
	v_cmp_eq_u32_e64 s[2:3], 0, v10
	v_cndmask_b32_e64 v9, v11, v9, s[2:3]
	; wave barrier
	s_nop 1
	v_mov_b32_dpp v11, v9 row_shr:2 row_mask:0xf bank_mask:0xf
	v_cmp_gt_f32_e64 s[2:3], v9, v11
	v_cndmask_b32_e64 v11, v11, v9, s[2:3]
	v_cmp_lt_u32_e64 s[2:3], 1, v10
	v_cndmask_b32_e64 v11, v9, v11, s[2:3]
	s_nop 1
	v_mov_b32_dpp v12, v11 row_shr:4 row_mask:0xf bank_mask:0xf
	v_cmp_gt_f32_e64 s[4:5], v11, v12
	v_cndmask_b32_e64 v12, v12, v11, s[4:5]
	v_cmp_lt_u32_e64 s[4:5], 3, v10
	v_cndmask_b32_e64 v11, v11, v12, s[4:5]
	s_nop 1
	v_mov_b32_dpp v12, v11 row_shr:8 row_mask:0xf bank_mask:0xf
	v_cmp_gt_f32_e64 s[4:5], v11, v12
	v_cndmask_b32_e64 v12, v12, v11, s[4:5]
	v_cmp_lt_u32_e64 s[4:5], 7, v10
	v_cndmask_b32_e64 v10, v11, v12, s[4:5]
	v_and_b32_e32 v12, 16, v7
	s_nop 0
	v_mov_b32_dpp v11, v10 row_bcast:15 row_mask:0xf bank_mask:0xf
	v_cmp_gt_f32_e64 s[4:5], v10, v11
	v_cndmask_b32_e64 v11, v11, v10, s[4:5]
	v_cmp_ne_u32_e64 s[4:5], 0, v12
	v_cndmask_b32_e64 v10, v10, v11, s[4:5]
	s_or_b64 s[8:9], s[4:5], s[8:9]
	s_or_b64 s[2:3], s[2:3], s[8:9]
	v_mov_b32_dpp v11, v10 row_bcast:31 row_mask:0xf bank_mask:0xf
	v_cmp_gt_f32_e64 s[4:5], v10, v11
	s_or_b64 s[4:5], s[6:7], s[4:5]
	v_cndmask_b32_e64 v10, v11, v10, s[4:5]
	v_cndmask_b32_e64 v9, v9, v10, s[2:3]
	v_add_u32_e32 v10, -1, v7
	v_and_b32_e32 v11, 64, v7
	v_cmp_lt_i32_e64 s[2:3], v10, v11
	v_cndmask_b32_e64 v7, v10, v7, s[2:3]
	v_lshlrev_b32_e32 v7, 2, v7
	ds_bpermute_b32 v7, v7, v9
	s_waitcnt lgkmcnt(0)
	v_cmp_gt_f32_e64 s[2:3], v8, v7
	v_cndmask_b32_e64 v7, v7, v8, s[2:3]
	v_cndmask_b32_e64 v7, v7, v6, s[0:1]
	ds_write_b32 v1, v7
	; wave barrier
	ds_read_b32 v8, v1 offset:4
	s_waitcnt lgkmcnt(0)
	v_cmp_lt_f32_e64 s[0:1], v7, v8
	v_cndmask_b32_e64 v7, v7, v8, s[0:1]
	ds_write_b32 v1, v7 offset:4
.LBB3136_62:
	s_or_b64 exec, exec, s[12:13]
	s_waitcnt lgkmcnt(0)
	s_barrier
	s_and_saveexec_b64 s[0:1], vcc
	s_cbranch_execz .LBB3136_64
; %bb.63:
	v_add_u32_e32 v1, -1, v0
	v_lshrrev_b32_e32 v6, 5, v1
	v_add_lshl_u32 v1, v6, v1, 2
	ds_read_b32 v6, v1
.LBB3136_64:
	s_or_b64 exec, exec, s[0:1]
	s_and_saveexec_b64 s[0:1], vcc
	s_cbranch_execz .LBB3136_66
; %bb.65:
	s_waitcnt lgkmcnt(0)
	v_cmp_gt_f32_e32 vcc, v2, v6
	v_cndmask_b32_e32 v2, v6, v2, vcc
	;;#ASMSTART
	;;#ASMEND
.LBB3136_66:
	s_or_b64 exec, exec, s[0:1]
	v_cmp_gt_f32_e32 vcc, v3, v2
	v_cndmask_b32_e32 v3, v2, v3, vcc
	v_cmp_lt_f32_e32 vcc, v3, v4
	v_cndmask_b32_e32 v4, v3, v4, vcc
	v_cmp_lt_f32_e32 vcc, v4, v5
	;; [unrolled: 2-line block ×3, first 2 shown]
	s_waitcnt lgkmcnt(0)
	v_cndmask_b32_e32 v6, v5, v26, vcc
	v_cmp_lt_f32_e32 vcc, v6, v27
	v_cndmask_b32_e32 v7, v6, v27, vcc
	v_cmp_lt_f32_e32 vcc, v7, v28
	;; [unrolled: 2-line block ×9, first 2 shown]
	s_movk_i32 s0, 0x7f
	v_cndmask_b32_e32 v15, v14, v31, vcc
	v_cmp_eq_u32_e32 vcc, s0, v0
	s_and_saveexec_b64 s[0:1], vcc
	s_cbranch_execz .LBB3136_68
; %bb.67:
	v_mov_b32_e32 v1, 0
	v_mov_b32_e32 v17, 2
	;; [unrolled: 1-line block ×3, first 2 shown]
	global_store_dwordx2 v1, v[16:17], s[18:19] offset:512
.LBB3136_68:
	s_or_b64 exec, exec, s[0:1]
	v_pk_mov_b32 v[20:21], v[16:17], v[16:17] op_sel:[0,1]
	v_pk_mov_b32 v[18:19], v[14:15], v[14:15] op_sel:[0,1]
	;; [unrolled: 1-line block ×8, first 2 shown]
.LBB3136_69:
	s_mov_b64 s[0:1], -1
	s_and_b64 vcc, exec, s[16:17]
	s_waitcnt lgkmcnt(0)
	s_barrier
	ds_write2_b64 v33, v[6:7], v[8:9] offset1:1
	ds_write2_b64 v33, v[10:11], v[12:13] offset0:2 offset1:3
	ds_write2_b64 v33, v[14:15], v[16:17] offset0:4 offset1:5
	ds_write_b64 v33, v[18:19] offset:48
	s_waitcnt lgkmcnt(0)
	s_cbranch_vccz .LBB3136_71
; %bb.70:
	s_barrier
	s_mov_b64 s[0:1], 0
.LBB3136_71:
	s_andn2_b64 vcc, exec, s[0:1]
	s_cbranch_vccnz .LBB3136_123
; %bb.72:
	v_cmp_lt_u64_e64 s[0:1], s[14:15], 2
	s_and_b64 vcc, exec, s[0:1]
	s_barrier
	s_cbranch_vccnz .LBB3136_123
; %bb.73:
	s_add_u32 s0, s20, -1
	s_addc_u32 s1, s21, -1
	s_add_u32 s2, 0, 0x49240800
	s_addc_u32 s3, 0, 50
	s_add_i32 s3, s3, 0x12492460
	s_mul_hi_u32 s7, s2, -14
	s_sub_i32 s7, s7, s2
	s_mul_i32 s8, s3, -14
	s_mul_i32 s4, s2, -14
	s_add_i32 s7, s7, s8
	s_mul_hi_u32 s5, s3, s4
	s_mul_i32 s6, s3, s4
	s_mul_i32 s9, s2, s7
	s_mul_hi_u32 s4, s2, s4
	s_mul_hi_u32 s8, s2, s7
	s_add_u32 s4, s4, s9
	s_addc_u32 s8, 0, s8
	s_add_u32 s4, s4, s6
	s_mul_hi_u32 s9, s3, s7
	s_addc_u32 s4, s8, s5
	s_addc_u32 s5, s9, 0
	s_mul_i32 s6, s3, s7
	s_add_u32 s4, s4, s6
	v_mov_b32_e32 v2, s4
	s_addc_u32 s5, 0, s5
	v_add_co_u32_e32 v2, vcc, s2, v2
	s_cmp_lg_u64 vcc, 0
	s_addc_u32 s2, s3, s5
	v_readfirstlane_b32 s5, v2
	s_mul_i32 s4, s0, s2
	s_mul_hi_u32 s6, s0, s5
	s_mul_hi_u32 s3, s0, s2
	s_add_u32 s4, s6, s4
	s_addc_u32 s3, 0, s3
	s_mul_hi_u32 s7, s1, s5
	s_mul_i32 s5, s1, s5
	s_add_u32 s4, s4, s5
	s_mul_hi_u32 s6, s1, s2
	s_addc_u32 s3, s3, s7
	s_addc_u32 s4, s6, 0
	s_mul_i32 s2, s1, s2
	s_add_u32 s2, s3, s2
	s_addc_u32 s3, 0, s4
	s_add_u32 s4, s2, 1
	s_addc_u32 s5, s3, 0
	s_add_u32 s6, s2, 2
	s_mul_i32 s8, s3, 14
	s_mul_hi_u32 s9, s2, 14
	s_addc_u32 s7, s3, 0
	s_add_i32 s9, s9, s8
	s_mul_i32 s8, s2, 14
	v_mov_b32_e32 v2, s8
	v_sub_co_u32_e32 v2, vcc, s0, v2
	s_cmp_lg_u64 vcc, 0
	s_subb_u32 s8, s1, s9
	v_subrev_co_u32_e32 v3, vcc, 14, v2
	s_cmp_lg_u64 vcc, 0
	s_subb_u32 s9, s8, 0
	v_readfirstlane_b32 s12, v3
	s_cmp_gt_u32 s12, 13
	s_cselect_b32 s12, -1, 0
	s_cmp_eq_u32 s9, 0
	s_cselect_b32 s9, s12, -1
	s_cmp_lg_u32 s9, 0
	s_cselect_b32 s4, s6, s4
	v_readfirstlane_b32 s6, v2
	s_cselect_b32 s5, s7, s5
	s_cmp_gt_u32 s6, 13
	s_cselect_b32 s6, -1, 0
	s_cmp_eq_u32 s8, 0
	s_cselect_b32 s6, s6, -1
	s_cmp_lg_u32 s6, 0
	v_mov_b32_e32 v1, 0
	s_cselect_b32 s3, s5, s3
	s_cselect_b32 s2, s4, s2
	v_cmp_eq_u64_e32 vcc, s[2:3], v[0:1]
	s_and_saveexec_b64 s[2:3], vcc
	s_cbranch_execz .LBB3136_123
; %bb.74:
	s_movk_i32 s2, 0xffcc
	v_mad_i32_i24 v2, v0, s2, v33
	v_mul_hi_u32_u24_e32 v1, 14, v0
	v_mov_b32_e32 v3, s1
	v_sub_co_u32_e32 v0, vcc, s0, v32
	v_subb_co_u32_e32 v1, vcc, v3, v1, vcc
	v_cmp_lt_i64_e32 vcc, 6, v[0:1]
	s_and_saveexec_b64 s[0:1], vcc
	s_xor_b64 s[0:1], exec, s[0:1]
	s_cbranch_execz .LBB3136_100
; %bb.75:
	v_cmp_lt_i64_e32 vcc, 9, v[0:1]
	s_and_saveexec_b64 s[2:3], vcc
	s_xor_b64 s[2:3], exec, s[2:3]
	s_cbranch_execz .LBB3136_89
; %bb.76:
	;; [unrolled: 5-line block ×4, first 2 shown]
	ds_read_b32 v0, v2 offset:6656
	v_mov_b32_e32 v1, 0
                                        ; implicit-def: $vgpr2
	s_waitcnt lgkmcnt(0)
	global_store_dword v1, v0, s[10:11]
.LBB3136_79:
	s_andn2_saveexec_b64 s[6:7], s[6:7]
	s_cbranch_execz .LBB3136_81
; %bb.80:
	ds_read_b32 v0, v2 offset:6144
	v_mov_b32_e32 v1, 0
	s_waitcnt lgkmcnt(0)
	global_store_dword v1, v0, s[10:11]
.LBB3136_81:
	s_or_b64 exec, exec, s[6:7]
                                        ; implicit-def: $vgpr2
                                        ; implicit-def: $vgpr0_vgpr1
.LBB3136_82:
	s_andn2_saveexec_b64 s[4:5], s[4:5]
	s_cbranch_execz .LBB3136_88
; %bb.83:
	v_cmp_lt_i64_e32 vcc, 10, v[0:1]
	s_and_saveexec_b64 s[6:7], vcc
	s_xor_b64 s[6:7], exec, s[6:7]
	s_cbranch_execz .LBB3136_85
; %bb.84:
	ds_read_b32 v0, v2 offset:5632
	v_mov_b32_e32 v1, 0
                                        ; implicit-def: $vgpr2
	s_waitcnt lgkmcnt(0)
	global_store_dword v1, v0, s[10:11]
.LBB3136_85:
	s_andn2_saveexec_b64 s[6:7], s[6:7]
	s_cbranch_execz .LBB3136_87
; %bb.86:
	ds_read_b32 v0, v2 offset:5120
	v_mov_b32_e32 v1, 0
	s_waitcnt lgkmcnt(0)
	global_store_dword v1, v0, s[10:11]
.LBB3136_87:
	s_or_b64 exec, exec, s[6:7]
.LBB3136_88:
	s_or_b64 exec, exec, s[4:5]
                                        ; implicit-def: $vgpr2
                                        ; implicit-def: $vgpr0_vgpr1
.LBB3136_89:
	s_andn2_saveexec_b64 s[2:3], s[2:3]
	s_cbranch_execz .LBB3136_99
; %bb.90:
	v_cmp_lt_i64_e32 vcc, 7, v[0:1]
	s_and_saveexec_b64 s[4:5], vcc
	s_xor_b64 s[4:5], exec, s[4:5]
	s_cbranch_execz .LBB3136_96
; %bb.91:
	v_cmp_lt_i64_e32 vcc, 8, v[0:1]
	s_and_saveexec_b64 s[6:7], vcc
	s_xor_b64 s[6:7], exec, s[6:7]
	s_cbranch_execz .LBB3136_93
; %bb.92:
	ds_read_b32 v0, v2 offset:4608
	v_mov_b32_e32 v1, 0
                                        ; implicit-def: $vgpr2
	s_waitcnt lgkmcnt(0)
	global_store_dword v1, v0, s[10:11]
.LBB3136_93:
	s_andn2_saveexec_b64 s[6:7], s[6:7]
	s_cbranch_execz .LBB3136_95
; %bb.94:
	ds_read_b32 v0, v2 offset:4096
	v_mov_b32_e32 v1, 0
	s_waitcnt lgkmcnt(0)
	global_store_dword v1, v0, s[10:11]
.LBB3136_95:
	s_or_b64 exec, exec, s[6:7]
                                        ; implicit-def: $vgpr2
.LBB3136_96:
	s_andn2_saveexec_b64 s[4:5], s[4:5]
	s_cbranch_execz .LBB3136_98
; %bb.97:
	ds_read_b32 v0, v2 offset:3584
	v_mov_b32_e32 v1, 0
	s_waitcnt lgkmcnt(0)
	global_store_dword v1, v0, s[10:11]
.LBB3136_98:
	s_or_b64 exec, exec, s[4:5]
.LBB3136_99:
	s_or_b64 exec, exec, s[2:3]
                                        ; implicit-def: $vgpr0_vgpr1
                                        ; implicit-def: $vgpr2
.LBB3136_100:
	s_andn2_saveexec_b64 s[0:1], s[0:1]
	s_cbranch_execz .LBB3136_123
; %bb.101:
	v_cmp_lt_i64_e32 vcc, 3, v[0:1]
	s_and_saveexec_b64 s[0:1], vcc
	s_xor_b64 s[0:1], exec, s[0:1]
	s_cbranch_execz .LBB3136_111
; %bb.102:
	v_cmp_lt_i64_e32 vcc, 4, v[0:1]
	s_and_saveexec_b64 s[2:3], vcc
	s_xor_b64 s[2:3], exec, s[2:3]
	s_cbranch_execz .LBB3136_108
; %bb.103:
	v_cmp_lt_i64_e32 vcc, 5, v[0:1]
	s_and_saveexec_b64 s[4:5], vcc
	s_xor_b64 s[4:5], exec, s[4:5]
	s_cbranch_execz .LBB3136_105
; %bb.104:
	ds_read_b32 v0, v2 offset:3072
	v_mov_b32_e32 v1, 0
                                        ; implicit-def: $vgpr2
	s_waitcnt lgkmcnt(0)
	global_store_dword v1, v0, s[10:11]
.LBB3136_105:
	s_andn2_saveexec_b64 s[4:5], s[4:5]
	s_cbranch_execz .LBB3136_107
; %bb.106:
	ds_read_b32 v0, v2 offset:2560
	v_mov_b32_e32 v1, 0
	s_waitcnt lgkmcnt(0)
	global_store_dword v1, v0, s[10:11]
.LBB3136_107:
	s_or_b64 exec, exec, s[4:5]
                                        ; implicit-def: $vgpr2
.LBB3136_108:
	s_andn2_saveexec_b64 s[2:3], s[2:3]
	s_cbranch_execz .LBB3136_110
; %bb.109:
	ds_read_b32 v0, v2 offset:2048
	v_mov_b32_e32 v1, 0
	s_waitcnt lgkmcnt(0)
	global_store_dword v1, v0, s[10:11]
.LBB3136_110:
	s_or_b64 exec, exec, s[2:3]
                                        ; implicit-def: $vgpr0_vgpr1
                                        ; implicit-def: $vgpr2
.LBB3136_111:
	s_andn2_saveexec_b64 s[0:1], s[0:1]
	s_cbranch_execz .LBB3136_123
; %bb.112:
	v_cmp_lt_i64_e32 vcc, 1, v[0:1]
	s_and_saveexec_b64 s[0:1], vcc
	s_xor_b64 s[0:1], exec, s[0:1]
	s_cbranch_execz .LBB3136_118
; %bb.113:
	v_cmp_lt_i64_e32 vcc, 2, v[0:1]
	s_and_saveexec_b64 s[2:3], vcc
	s_xor_b64 s[2:3], exec, s[2:3]
	s_cbranch_execz .LBB3136_115
; %bb.114:
	ds_read_b32 v0, v2 offset:1536
	v_mov_b32_e32 v1, 0
                                        ; implicit-def: $vgpr2
	s_waitcnt lgkmcnt(0)
	global_store_dword v1, v0, s[10:11]
.LBB3136_115:
	s_andn2_saveexec_b64 s[2:3], s[2:3]
	s_cbranch_execz .LBB3136_117
; %bb.116:
	ds_read_b32 v0, v2 offset:1024
	v_mov_b32_e32 v1, 0
	s_waitcnt lgkmcnt(0)
	global_store_dword v1, v0, s[10:11]
.LBB3136_117:
	s_or_b64 exec, exec, s[2:3]
                                        ; implicit-def: $vgpr2
                                        ; implicit-def: $vgpr0_vgpr1
.LBB3136_118:
	s_andn2_saveexec_b64 s[0:1], s[0:1]
	s_cbranch_execz .LBB3136_123
; %bb.119:
	v_cmp_ne_u64_e32 vcc, 1, v[0:1]
	s_and_saveexec_b64 s[0:1], vcc
	s_xor_b64 s[0:1], exec, s[0:1]
	s_cbranch_execz .LBB3136_121
; %bb.120:
	ds_read_b32 v0, v2
	v_mov_b32_e32 v1, 0
                                        ; implicit-def: $vgpr2
	s_waitcnt lgkmcnt(0)
	global_store_dword v1, v0, s[10:11]
.LBB3136_121:
	s_andn2_saveexec_b64 s[0:1], s[0:1]
	s_cbranch_execz .LBB3136_123
; %bb.122:
	ds_read_b32 v0, v2 offset:512
	v_mov_b32_e32 v1, 0
	s_waitcnt lgkmcnt(0)
	global_store_dword v1, v0, s[10:11]
.LBB3136_123:
	s_endpgm
	.section	.rodata,"a",@progbits
	.p2align	6, 0x0
	.amdhsa_kernel _ZN7rocprim17ROCPRIM_400000_NS6detail17trampoline_kernelINS0_14default_configENS1_20scan_config_selectorIfEEZZNS1_9scan_implILNS1_25lookback_scan_determinismE0ELb0ELb0ES3_N6thrust23THRUST_200600_302600_NS6detail15normal_iteratorINS9_10device_ptrIfEEEENS9_16discard_iteratorINS9_11use_defaultEEEf11max_functorIfEfEEDaPvRmT3_T4_T5_mT6_P12ihipStream_tbENKUlT_T0_E_clISt17integral_constantIbLb0EESX_EEDaSS_ST_EUlSS_E_NS1_11comp_targetILNS1_3genE4ELNS1_11target_archE910ELNS1_3gpuE8ELNS1_3repE0EEENS1_30default_config_static_selectorELNS0_4arch9wavefront6targetE1EEEvT1_
		.amdhsa_group_segment_fixed_size 7168
		.amdhsa_private_segment_fixed_size 0
		.amdhsa_kernarg_size 104
		.amdhsa_user_sgpr_count 6
		.amdhsa_user_sgpr_private_segment_buffer 1
		.amdhsa_user_sgpr_dispatch_ptr 0
		.amdhsa_user_sgpr_queue_ptr 0
		.amdhsa_user_sgpr_kernarg_segment_ptr 1
		.amdhsa_user_sgpr_dispatch_id 0
		.amdhsa_user_sgpr_flat_scratch_init 0
		.amdhsa_user_sgpr_kernarg_preload_length 0
		.amdhsa_user_sgpr_kernarg_preload_offset 0
		.amdhsa_user_sgpr_private_segment_size 0
		.amdhsa_uses_dynamic_stack 0
		.amdhsa_system_sgpr_private_segment_wavefront_offset 0
		.amdhsa_system_sgpr_workgroup_id_x 1
		.amdhsa_system_sgpr_workgroup_id_y 0
		.amdhsa_system_sgpr_workgroup_id_z 0
		.amdhsa_system_sgpr_workgroup_info 0
		.amdhsa_system_vgpr_workitem_id 0
		.amdhsa_next_free_vgpr 43
		.amdhsa_next_free_sgpr 22
		.amdhsa_accum_offset 44
		.amdhsa_reserve_vcc 1
		.amdhsa_reserve_flat_scratch 0
		.amdhsa_float_round_mode_32 0
		.amdhsa_float_round_mode_16_64 0
		.amdhsa_float_denorm_mode_32 3
		.amdhsa_float_denorm_mode_16_64 3
		.amdhsa_dx10_clamp 1
		.amdhsa_ieee_mode 1
		.amdhsa_fp16_overflow 0
		.amdhsa_tg_split 0
		.amdhsa_exception_fp_ieee_invalid_op 0
		.amdhsa_exception_fp_denorm_src 0
		.amdhsa_exception_fp_ieee_div_zero 0
		.amdhsa_exception_fp_ieee_overflow 0
		.amdhsa_exception_fp_ieee_underflow 0
		.amdhsa_exception_fp_ieee_inexact 0
		.amdhsa_exception_int_div_zero 0
	.end_amdhsa_kernel
	.section	.text._ZN7rocprim17ROCPRIM_400000_NS6detail17trampoline_kernelINS0_14default_configENS1_20scan_config_selectorIfEEZZNS1_9scan_implILNS1_25lookback_scan_determinismE0ELb0ELb0ES3_N6thrust23THRUST_200600_302600_NS6detail15normal_iteratorINS9_10device_ptrIfEEEENS9_16discard_iteratorINS9_11use_defaultEEEf11max_functorIfEfEEDaPvRmT3_T4_T5_mT6_P12ihipStream_tbENKUlT_T0_E_clISt17integral_constantIbLb0EESX_EEDaSS_ST_EUlSS_E_NS1_11comp_targetILNS1_3genE4ELNS1_11target_archE910ELNS1_3gpuE8ELNS1_3repE0EEENS1_30default_config_static_selectorELNS0_4arch9wavefront6targetE1EEEvT1_,"axG",@progbits,_ZN7rocprim17ROCPRIM_400000_NS6detail17trampoline_kernelINS0_14default_configENS1_20scan_config_selectorIfEEZZNS1_9scan_implILNS1_25lookback_scan_determinismE0ELb0ELb0ES3_N6thrust23THRUST_200600_302600_NS6detail15normal_iteratorINS9_10device_ptrIfEEEENS9_16discard_iteratorINS9_11use_defaultEEEf11max_functorIfEfEEDaPvRmT3_T4_T5_mT6_P12ihipStream_tbENKUlT_T0_E_clISt17integral_constantIbLb0EESX_EEDaSS_ST_EUlSS_E_NS1_11comp_targetILNS1_3genE4ELNS1_11target_archE910ELNS1_3gpuE8ELNS1_3repE0EEENS1_30default_config_static_selectorELNS0_4arch9wavefront6targetE1EEEvT1_,comdat
.Lfunc_end3136:
	.size	_ZN7rocprim17ROCPRIM_400000_NS6detail17trampoline_kernelINS0_14default_configENS1_20scan_config_selectorIfEEZZNS1_9scan_implILNS1_25lookback_scan_determinismE0ELb0ELb0ES3_N6thrust23THRUST_200600_302600_NS6detail15normal_iteratorINS9_10device_ptrIfEEEENS9_16discard_iteratorINS9_11use_defaultEEEf11max_functorIfEfEEDaPvRmT3_T4_T5_mT6_P12ihipStream_tbENKUlT_T0_E_clISt17integral_constantIbLb0EESX_EEDaSS_ST_EUlSS_E_NS1_11comp_targetILNS1_3genE4ELNS1_11target_archE910ELNS1_3gpuE8ELNS1_3repE0EEENS1_30default_config_static_selectorELNS0_4arch9wavefront6targetE1EEEvT1_, .Lfunc_end3136-_ZN7rocprim17ROCPRIM_400000_NS6detail17trampoline_kernelINS0_14default_configENS1_20scan_config_selectorIfEEZZNS1_9scan_implILNS1_25lookback_scan_determinismE0ELb0ELb0ES3_N6thrust23THRUST_200600_302600_NS6detail15normal_iteratorINS9_10device_ptrIfEEEENS9_16discard_iteratorINS9_11use_defaultEEEf11max_functorIfEfEEDaPvRmT3_T4_T5_mT6_P12ihipStream_tbENKUlT_T0_E_clISt17integral_constantIbLb0EESX_EEDaSS_ST_EUlSS_E_NS1_11comp_targetILNS1_3genE4ELNS1_11target_archE910ELNS1_3gpuE8ELNS1_3repE0EEENS1_30default_config_static_selectorELNS0_4arch9wavefront6targetE1EEEvT1_
                                        ; -- End function
	.section	.AMDGPU.csdata,"",@progbits
; Kernel info:
; codeLenInByte = 5676
; NumSgprs: 26
; NumVgprs: 43
; NumAgprs: 0
; TotalNumVgprs: 43
; ScratchSize: 0
; MemoryBound: 0
; FloatMode: 240
; IeeeMode: 1
; LDSByteSize: 7168 bytes/workgroup (compile time only)
; SGPRBlocks: 3
; VGPRBlocks: 5
; NumSGPRsForWavesPerEU: 26
; NumVGPRsForWavesPerEU: 43
; AccumOffset: 44
; Occupancy: 5
; WaveLimiterHint : 1
; COMPUTE_PGM_RSRC2:SCRATCH_EN: 0
; COMPUTE_PGM_RSRC2:USER_SGPR: 6
; COMPUTE_PGM_RSRC2:TRAP_HANDLER: 0
; COMPUTE_PGM_RSRC2:TGID_X_EN: 1
; COMPUTE_PGM_RSRC2:TGID_Y_EN: 0
; COMPUTE_PGM_RSRC2:TGID_Z_EN: 0
; COMPUTE_PGM_RSRC2:TIDIG_COMP_CNT: 0
; COMPUTE_PGM_RSRC3_GFX90A:ACCUM_OFFSET: 10
; COMPUTE_PGM_RSRC3_GFX90A:TG_SPLIT: 0
	.section	.text._ZN7rocprim17ROCPRIM_400000_NS6detail17trampoline_kernelINS0_14default_configENS1_20scan_config_selectorIfEEZZNS1_9scan_implILNS1_25lookback_scan_determinismE0ELb0ELb0ES3_N6thrust23THRUST_200600_302600_NS6detail15normal_iteratorINS9_10device_ptrIfEEEENS9_16discard_iteratorINS9_11use_defaultEEEf11max_functorIfEfEEDaPvRmT3_T4_T5_mT6_P12ihipStream_tbENKUlT_T0_E_clISt17integral_constantIbLb0EESX_EEDaSS_ST_EUlSS_E_NS1_11comp_targetILNS1_3genE3ELNS1_11target_archE908ELNS1_3gpuE7ELNS1_3repE0EEENS1_30default_config_static_selectorELNS0_4arch9wavefront6targetE1EEEvT1_,"axG",@progbits,_ZN7rocprim17ROCPRIM_400000_NS6detail17trampoline_kernelINS0_14default_configENS1_20scan_config_selectorIfEEZZNS1_9scan_implILNS1_25lookback_scan_determinismE0ELb0ELb0ES3_N6thrust23THRUST_200600_302600_NS6detail15normal_iteratorINS9_10device_ptrIfEEEENS9_16discard_iteratorINS9_11use_defaultEEEf11max_functorIfEfEEDaPvRmT3_T4_T5_mT6_P12ihipStream_tbENKUlT_T0_E_clISt17integral_constantIbLb0EESX_EEDaSS_ST_EUlSS_E_NS1_11comp_targetILNS1_3genE3ELNS1_11target_archE908ELNS1_3gpuE7ELNS1_3repE0EEENS1_30default_config_static_selectorELNS0_4arch9wavefront6targetE1EEEvT1_,comdat
	.protected	_ZN7rocprim17ROCPRIM_400000_NS6detail17trampoline_kernelINS0_14default_configENS1_20scan_config_selectorIfEEZZNS1_9scan_implILNS1_25lookback_scan_determinismE0ELb0ELb0ES3_N6thrust23THRUST_200600_302600_NS6detail15normal_iteratorINS9_10device_ptrIfEEEENS9_16discard_iteratorINS9_11use_defaultEEEf11max_functorIfEfEEDaPvRmT3_T4_T5_mT6_P12ihipStream_tbENKUlT_T0_E_clISt17integral_constantIbLb0EESX_EEDaSS_ST_EUlSS_E_NS1_11comp_targetILNS1_3genE3ELNS1_11target_archE908ELNS1_3gpuE7ELNS1_3repE0EEENS1_30default_config_static_selectorELNS0_4arch9wavefront6targetE1EEEvT1_ ; -- Begin function _ZN7rocprim17ROCPRIM_400000_NS6detail17trampoline_kernelINS0_14default_configENS1_20scan_config_selectorIfEEZZNS1_9scan_implILNS1_25lookback_scan_determinismE0ELb0ELb0ES3_N6thrust23THRUST_200600_302600_NS6detail15normal_iteratorINS9_10device_ptrIfEEEENS9_16discard_iteratorINS9_11use_defaultEEEf11max_functorIfEfEEDaPvRmT3_T4_T5_mT6_P12ihipStream_tbENKUlT_T0_E_clISt17integral_constantIbLb0EESX_EEDaSS_ST_EUlSS_E_NS1_11comp_targetILNS1_3genE3ELNS1_11target_archE908ELNS1_3gpuE7ELNS1_3repE0EEENS1_30default_config_static_selectorELNS0_4arch9wavefront6targetE1EEEvT1_
	.globl	_ZN7rocprim17ROCPRIM_400000_NS6detail17trampoline_kernelINS0_14default_configENS1_20scan_config_selectorIfEEZZNS1_9scan_implILNS1_25lookback_scan_determinismE0ELb0ELb0ES3_N6thrust23THRUST_200600_302600_NS6detail15normal_iteratorINS9_10device_ptrIfEEEENS9_16discard_iteratorINS9_11use_defaultEEEf11max_functorIfEfEEDaPvRmT3_T4_T5_mT6_P12ihipStream_tbENKUlT_T0_E_clISt17integral_constantIbLb0EESX_EEDaSS_ST_EUlSS_E_NS1_11comp_targetILNS1_3genE3ELNS1_11target_archE908ELNS1_3gpuE7ELNS1_3repE0EEENS1_30default_config_static_selectorELNS0_4arch9wavefront6targetE1EEEvT1_
	.p2align	8
	.type	_ZN7rocprim17ROCPRIM_400000_NS6detail17trampoline_kernelINS0_14default_configENS1_20scan_config_selectorIfEEZZNS1_9scan_implILNS1_25lookback_scan_determinismE0ELb0ELb0ES3_N6thrust23THRUST_200600_302600_NS6detail15normal_iteratorINS9_10device_ptrIfEEEENS9_16discard_iteratorINS9_11use_defaultEEEf11max_functorIfEfEEDaPvRmT3_T4_T5_mT6_P12ihipStream_tbENKUlT_T0_E_clISt17integral_constantIbLb0EESX_EEDaSS_ST_EUlSS_E_NS1_11comp_targetILNS1_3genE3ELNS1_11target_archE908ELNS1_3gpuE7ELNS1_3repE0EEENS1_30default_config_static_selectorELNS0_4arch9wavefront6targetE1EEEvT1_,@function
_ZN7rocprim17ROCPRIM_400000_NS6detail17trampoline_kernelINS0_14default_configENS1_20scan_config_selectorIfEEZZNS1_9scan_implILNS1_25lookback_scan_determinismE0ELb0ELb0ES3_N6thrust23THRUST_200600_302600_NS6detail15normal_iteratorINS9_10device_ptrIfEEEENS9_16discard_iteratorINS9_11use_defaultEEEf11max_functorIfEfEEDaPvRmT3_T4_T5_mT6_P12ihipStream_tbENKUlT_T0_E_clISt17integral_constantIbLb0EESX_EEDaSS_ST_EUlSS_E_NS1_11comp_targetILNS1_3genE3ELNS1_11target_archE908ELNS1_3gpuE7ELNS1_3repE0EEENS1_30default_config_static_selectorELNS0_4arch9wavefront6targetE1EEEvT1_: ; @_ZN7rocprim17ROCPRIM_400000_NS6detail17trampoline_kernelINS0_14default_configENS1_20scan_config_selectorIfEEZZNS1_9scan_implILNS1_25lookback_scan_determinismE0ELb0ELb0ES3_N6thrust23THRUST_200600_302600_NS6detail15normal_iteratorINS9_10device_ptrIfEEEENS9_16discard_iteratorINS9_11use_defaultEEEf11max_functorIfEfEEDaPvRmT3_T4_T5_mT6_P12ihipStream_tbENKUlT_T0_E_clISt17integral_constantIbLb0EESX_EEDaSS_ST_EUlSS_E_NS1_11comp_targetILNS1_3genE3ELNS1_11target_archE908ELNS1_3gpuE7ELNS1_3repE0EEENS1_30default_config_static_selectorELNS0_4arch9wavefront6targetE1EEEvT1_
; %bb.0:
	.section	.rodata,"a",@progbits
	.p2align	6, 0x0
	.amdhsa_kernel _ZN7rocprim17ROCPRIM_400000_NS6detail17trampoline_kernelINS0_14default_configENS1_20scan_config_selectorIfEEZZNS1_9scan_implILNS1_25lookback_scan_determinismE0ELb0ELb0ES3_N6thrust23THRUST_200600_302600_NS6detail15normal_iteratorINS9_10device_ptrIfEEEENS9_16discard_iteratorINS9_11use_defaultEEEf11max_functorIfEfEEDaPvRmT3_T4_T5_mT6_P12ihipStream_tbENKUlT_T0_E_clISt17integral_constantIbLb0EESX_EEDaSS_ST_EUlSS_E_NS1_11comp_targetILNS1_3genE3ELNS1_11target_archE908ELNS1_3gpuE7ELNS1_3repE0EEENS1_30default_config_static_selectorELNS0_4arch9wavefront6targetE1EEEvT1_
		.amdhsa_group_segment_fixed_size 0
		.amdhsa_private_segment_fixed_size 0
		.amdhsa_kernarg_size 104
		.amdhsa_user_sgpr_count 6
		.amdhsa_user_sgpr_private_segment_buffer 1
		.amdhsa_user_sgpr_dispatch_ptr 0
		.amdhsa_user_sgpr_queue_ptr 0
		.amdhsa_user_sgpr_kernarg_segment_ptr 1
		.amdhsa_user_sgpr_dispatch_id 0
		.amdhsa_user_sgpr_flat_scratch_init 0
		.amdhsa_user_sgpr_kernarg_preload_length 0
		.amdhsa_user_sgpr_kernarg_preload_offset 0
		.amdhsa_user_sgpr_private_segment_size 0
		.amdhsa_uses_dynamic_stack 0
		.amdhsa_system_sgpr_private_segment_wavefront_offset 0
		.amdhsa_system_sgpr_workgroup_id_x 1
		.amdhsa_system_sgpr_workgroup_id_y 0
		.amdhsa_system_sgpr_workgroup_id_z 0
		.amdhsa_system_sgpr_workgroup_info 0
		.amdhsa_system_vgpr_workitem_id 0
		.amdhsa_next_free_vgpr 1
		.amdhsa_next_free_sgpr 0
		.amdhsa_accum_offset 4
		.amdhsa_reserve_vcc 0
		.amdhsa_reserve_flat_scratch 0
		.amdhsa_float_round_mode_32 0
		.amdhsa_float_round_mode_16_64 0
		.amdhsa_float_denorm_mode_32 3
		.amdhsa_float_denorm_mode_16_64 3
		.amdhsa_dx10_clamp 1
		.amdhsa_ieee_mode 1
		.amdhsa_fp16_overflow 0
		.amdhsa_tg_split 0
		.amdhsa_exception_fp_ieee_invalid_op 0
		.amdhsa_exception_fp_denorm_src 0
		.amdhsa_exception_fp_ieee_div_zero 0
		.amdhsa_exception_fp_ieee_overflow 0
		.amdhsa_exception_fp_ieee_underflow 0
		.amdhsa_exception_fp_ieee_inexact 0
		.amdhsa_exception_int_div_zero 0
	.end_amdhsa_kernel
	.section	.text._ZN7rocprim17ROCPRIM_400000_NS6detail17trampoline_kernelINS0_14default_configENS1_20scan_config_selectorIfEEZZNS1_9scan_implILNS1_25lookback_scan_determinismE0ELb0ELb0ES3_N6thrust23THRUST_200600_302600_NS6detail15normal_iteratorINS9_10device_ptrIfEEEENS9_16discard_iteratorINS9_11use_defaultEEEf11max_functorIfEfEEDaPvRmT3_T4_T5_mT6_P12ihipStream_tbENKUlT_T0_E_clISt17integral_constantIbLb0EESX_EEDaSS_ST_EUlSS_E_NS1_11comp_targetILNS1_3genE3ELNS1_11target_archE908ELNS1_3gpuE7ELNS1_3repE0EEENS1_30default_config_static_selectorELNS0_4arch9wavefront6targetE1EEEvT1_,"axG",@progbits,_ZN7rocprim17ROCPRIM_400000_NS6detail17trampoline_kernelINS0_14default_configENS1_20scan_config_selectorIfEEZZNS1_9scan_implILNS1_25lookback_scan_determinismE0ELb0ELb0ES3_N6thrust23THRUST_200600_302600_NS6detail15normal_iteratorINS9_10device_ptrIfEEEENS9_16discard_iteratorINS9_11use_defaultEEEf11max_functorIfEfEEDaPvRmT3_T4_T5_mT6_P12ihipStream_tbENKUlT_T0_E_clISt17integral_constantIbLb0EESX_EEDaSS_ST_EUlSS_E_NS1_11comp_targetILNS1_3genE3ELNS1_11target_archE908ELNS1_3gpuE7ELNS1_3repE0EEENS1_30default_config_static_selectorELNS0_4arch9wavefront6targetE1EEEvT1_,comdat
.Lfunc_end3137:
	.size	_ZN7rocprim17ROCPRIM_400000_NS6detail17trampoline_kernelINS0_14default_configENS1_20scan_config_selectorIfEEZZNS1_9scan_implILNS1_25lookback_scan_determinismE0ELb0ELb0ES3_N6thrust23THRUST_200600_302600_NS6detail15normal_iteratorINS9_10device_ptrIfEEEENS9_16discard_iteratorINS9_11use_defaultEEEf11max_functorIfEfEEDaPvRmT3_T4_T5_mT6_P12ihipStream_tbENKUlT_T0_E_clISt17integral_constantIbLb0EESX_EEDaSS_ST_EUlSS_E_NS1_11comp_targetILNS1_3genE3ELNS1_11target_archE908ELNS1_3gpuE7ELNS1_3repE0EEENS1_30default_config_static_selectorELNS0_4arch9wavefront6targetE1EEEvT1_, .Lfunc_end3137-_ZN7rocprim17ROCPRIM_400000_NS6detail17trampoline_kernelINS0_14default_configENS1_20scan_config_selectorIfEEZZNS1_9scan_implILNS1_25lookback_scan_determinismE0ELb0ELb0ES3_N6thrust23THRUST_200600_302600_NS6detail15normal_iteratorINS9_10device_ptrIfEEEENS9_16discard_iteratorINS9_11use_defaultEEEf11max_functorIfEfEEDaPvRmT3_T4_T5_mT6_P12ihipStream_tbENKUlT_T0_E_clISt17integral_constantIbLb0EESX_EEDaSS_ST_EUlSS_E_NS1_11comp_targetILNS1_3genE3ELNS1_11target_archE908ELNS1_3gpuE7ELNS1_3repE0EEENS1_30default_config_static_selectorELNS0_4arch9wavefront6targetE1EEEvT1_
                                        ; -- End function
	.section	.AMDGPU.csdata,"",@progbits
; Kernel info:
; codeLenInByte = 0
; NumSgprs: 4
; NumVgprs: 0
; NumAgprs: 0
; TotalNumVgprs: 0
; ScratchSize: 0
; MemoryBound: 0
; FloatMode: 240
; IeeeMode: 1
; LDSByteSize: 0 bytes/workgroup (compile time only)
; SGPRBlocks: 0
; VGPRBlocks: 0
; NumSGPRsForWavesPerEU: 4
; NumVGPRsForWavesPerEU: 1
; AccumOffset: 4
; Occupancy: 8
; WaveLimiterHint : 0
; COMPUTE_PGM_RSRC2:SCRATCH_EN: 0
; COMPUTE_PGM_RSRC2:USER_SGPR: 6
; COMPUTE_PGM_RSRC2:TRAP_HANDLER: 0
; COMPUTE_PGM_RSRC2:TGID_X_EN: 1
; COMPUTE_PGM_RSRC2:TGID_Y_EN: 0
; COMPUTE_PGM_RSRC2:TGID_Z_EN: 0
; COMPUTE_PGM_RSRC2:TIDIG_COMP_CNT: 0
; COMPUTE_PGM_RSRC3_GFX90A:ACCUM_OFFSET: 0
; COMPUTE_PGM_RSRC3_GFX90A:TG_SPLIT: 0
	.section	.text._ZN7rocprim17ROCPRIM_400000_NS6detail17trampoline_kernelINS0_14default_configENS1_20scan_config_selectorIfEEZZNS1_9scan_implILNS1_25lookback_scan_determinismE0ELb0ELb0ES3_N6thrust23THRUST_200600_302600_NS6detail15normal_iteratorINS9_10device_ptrIfEEEENS9_16discard_iteratorINS9_11use_defaultEEEf11max_functorIfEfEEDaPvRmT3_T4_T5_mT6_P12ihipStream_tbENKUlT_T0_E_clISt17integral_constantIbLb0EESX_EEDaSS_ST_EUlSS_E_NS1_11comp_targetILNS1_3genE2ELNS1_11target_archE906ELNS1_3gpuE6ELNS1_3repE0EEENS1_30default_config_static_selectorELNS0_4arch9wavefront6targetE1EEEvT1_,"axG",@progbits,_ZN7rocprim17ROCPRIM_400000_NS6detail17trampoline_kernelINS0_14default_configENS1_20scan_config_selectorIfEEZZNS1_9scan_implILNS1_25lookback_scan_determinismE0ELb0ELb0ES3_N6thrust23THRUST_200600_302600_NS6detail15normal_iteratorINS9_10device_ptrIfEEEENS9_16discard_iteratorINS9_11use_defaultEEEf11max_functorIfEfEEDaPvRmT3_T4_T5_mT6_P12ihipStream_tbENKUlT_T0_E_clISt17integral_constantIbLb0EESX_EEDaSS_ST_EUlSS_E_NS1_11comp_targetILNS1_3genE2ELNS1_11target_archE906ELNS1_3gpuE6ELNS1_3repE0EEENS1_30default_config_static_selectorELNS0_4arch9wavefront6targetE1EEEvT1_,comdat
	.protected	_ZN7rocprim17ROCPRIM_400000_NS6detail17trampoline_kernelINS0_14default_configENS1_20scan_config_selectorIfEEZZNS1_9scan_implILNS1_25lookback_scan_determinismE0ELb0ELb0ES3_N6thrust23THRUST_200600_302600_NS6detail15normal_iteratorINS9_10device_ptrIfEEEENS9_16discard_iteratorINS9_11use_defaultEEEf11max_functorIfEfEEDaPvRmT3_T4_T5_mT6_P12ihipStream_tbENKUlT_T0_E_clISt17integral_constantIbLb0EESX_EEDaSS_ST_EUlSS_E_NS1_11comp_targetILNS1_3genE2ELNS1_11target_archE906ELNS1_3gpuE6ELNS1_3repE0EEENS1_30default_config_static_selectorELNS0_4arch9wavefront6targetE1EEEvT1_ ; -- Begin function _ZN7rocprim17ROCPRIM_400000_NS6detail17trampoline_kernelINS0_14default_configENS1_20scan_config_selectorIfEEZZNS1_9scan_implILNS1_25lookback_scan_determinismE0ELb0ELb0ES3_N6thrust23THRUST_200600_302600_NS6detail15normal_iteratorINS9_10device_ptrIfEEEENS9_16discard_iteratorINS9_11use_defaultEEEf11max_functorIfEfEEDaPvRmT3_T4_T5_mT6_P12ihipStream_tbENKUlT_T0_E_clISt17integral_constantIbLb0EESX_EEDaSS_ST_EUlSS_E_NS1_11comp_targetILNS1_3genE2ELNS1_11target_archE906ELNS1_3gpuE6ELNS1_3repE0EEENS1_30default_config_static_selectorELNS0_4arch9wavefront6targetE1EEEvT1_
	.globl	_ZN7rocprim17ROCPRIM_400000_NS6detail17trampoline_kernelINS0_14default_configENS1_20scan_config_selectorIfEEZZNS1_9scan_implILNS1_25lookback_scan_determinismE0ELb0ELb0ES3_N6thrust23THRUST_200600_302600_NS6detail15normal_iteratorINS9_10device_ptrIfEEEENS9_16discard_iteratorINS9_11use_defaultEEEf11max_functorIfEfEEDaPvRmT3_T4_T5_mT6_P12ihipStream_tbENKUlT_T0_E_clISt17integral_constantIbLb0EESX_EEDaSS_ST_EUlSS_E_NS1_11comp_targetILNS1_3genE2ELNS1_11target_archE906ELNS1_3gpuE6ELNS1_3repE0EEENS1_30default_config_static_selectorELNS0_4arch9wavefront6targetE1EEEvT1_
	.p2align	8
	.type	_ZN7rocprim17ROCPRIM_400000_NS6detail17trampoline_kernelINS0_14default_configENS1_20scan_config_selectorIfEEZZNS1_9scan_implILNS1_25lookback_scan_determinismE0ELb0ELb0ES3_N6thrust23THRUST_200600_302600_NS6detail15normal_iteratorINS9_10device_ptrIfEEEENS9_16discard_iteratorINS9_11use_defaultEEEf11max_functorIfEfEEDaPvRmT3_T4_T5_mT6_P12ihipStream_tbENKUlT_T0_E_clISt17integral_constantIbLb0EESX_EEDaSS_ST_EUlSS_E_NS1_11comp_targetILNS1_3genE2ELNS1_11target_archE906ELNS1_3gpuE6ELNS1_3repE0EEENS1_30default_config_static_selectorELNS0_4arch9wavefront6targetE1EEEvT1_,@function
_ZN7rocprim17ROCPRIM_400000_NS6detail17trampoline_kernelINS0_14default_configENS1_20scan_config_selectorIfEEZZNS1_9scan_implILNS1_25lookback_scan_determinismE0ELb0ELb0ES3_N6thrust23THRUST_200600_302600_NS6detail15normal_iteratorINS9_10device_ptrIfEEEENS9_16discard_iteratorINS9_11use_defaultEEEf11max_functorIfEfEEDaPvRmT3_T4_T5_mT6_P12ihipStream_tbENKUlT_T0_E_clISt17integral_constantIbLb0EESX_EEDaSS_ST_EUlSS_E_NS1_11comp_targetILNS1_3genE2ELNS1_11target_archE906ELNS1_3gpuE6ELNS1_3repE0EEENS1_30default_config_static_selectorELNS0_4arch9wavefront6targetE1EEEvT1_: ; @_ZN7rocprim17ROCPRIM_400000_NS6detail17trampoline_kernelINS0_14default_configENS1_20scan_config_selectorIfEEZZNS1_9scan_implILNS1_25lookback_scan_determinismE0ELb0ELb0ES3_N6thrust23THRUST_200600_302600_NS6detail15normal_iteratorINS9_10device_ptrIfEEEENS9_16discard_iteratorINS9_11use_defaultEEEf11max_functorIfEfEEDaPvRmT3_T4_T5_mT6_P12ihipStream_tbENKUlT_T0_E_clISt17integral_constantIbLb0EESX_EEDaSS_ST_EUlSS_E_NS1_11comp_targetILNS1_3genE2ELNS1_11target_archE906ELNS1_3gpuE6ELNS1_3repE0EEENS1_30default_config_static_selectorELNS0_4arch9wavefront6targetE1EEEvT1_
; %bb.0:
	.section	.rodata,"a",@progbits
	.p2align	6, 0x0
	.amdhsa_kernel _ZN7rocprim17ROCPRIM_400000_NS6detail17trampoline_kernelINS0_14default_configENS1_20scan_config_selectorIfEEZZNS1_9scan_implILNS1_25lookback_scan_determinismE0ELb0ELb0ES3_N6thrust23THRUST_200600_302600_NS6detail15normal_iteratorINS9_10device_ptrIfEEEENS9_16discard_iteratorINS9_11use_defaultEEEf11max_functorIfEfEEDaPvRmT3_T4_T5_mT6_P12ihipStream_tbENKUlT_T0_E_clISt17integral_constantIbLb0EESX_EEDaSS_ST_EUlSS_E_NS1_11comp_targetILNS1_3genE2ELNS1_11target_archE906ELNS1_3gpuE6ELNS1_3repE0EEENS1_30default_config_static_selectorELNS0_4arch9wavefront6targetE1EEEvT1_
		.amdhsa_group_segment_fixed_size 0
		.amdhsa_private_segment_fixed_size 0
		.amdhsa_kernarg_size 104
		.amdhsa_user_sgpr_count 6
		.amdhsa_user_sgpr_private_segment_buffer 1
		.amdhsa_user_sgpr_dispatch_ptr 0
		.amdhsa_user_sgpr_queue_ptr 0
		.amdhsa_user_sgpr_kernarg_segment_ptr 1
		.amdhsa_user_sgpr_dispatch_id 0
		.amdhsa_user_sgpr_flat_scratch_init 0
		.amdhsa_user_sgpr_kernarg_preload_length 0
		.amdhsa_user_sgpr_kernarg_preload_offset 0
		.amdhsa_user_sgpr_private_segment_size 0
		.amdhsa_uses_dynamic_stack 0
		.amdhsa_system_sgpr_private_segment_wavefront_offset 0
		.amdhsa_system_sgpr_workgroup_id_x 1
		.amdhsa_system_sgpr_workgroup_id_y 0
		.amdhsa_system_sgpr_workgroup_id_z 0
		.amdhsa_system_sgpr_workgroup_info 0
		.amdhsa_system_vgpr_workitem_id 0
		.amdhsa_next_free_vgpr 1
		.amdhsa_next_free_sgpr 0
		.amdhsa_accum_offset 4
		.amdhsa_reserve_vcc 0
		.amdhsa_reserve_flat_scratch 0
		.amdhsa_float_round_mode_32 0
		.amdhsa_float_round_mode_16_64 0
		.amdhsa_float_denorm_mode_32 3
		.amdhsa_float_denorm_mode_16_64 3
		.amdhsa_dx10_clamp 1
		.amdhsa_ieee_mode 1
		.amdhsa_fp16_overflow 0
		.amdhsa_tg_split 0
		.amdhsa_exception_fp_ieee_invalid_op 0
		.amdhsa_exception_fp_denorm_src 0
		.amdhsa_exception_fp_ieee_div_zero 0
		.amdhsa_exception_fp_ieee_overflow 0
		.amdhsa_exception_fp_ieee_underflow 0
		.amdhsa_exception_fp_ieee_inexact 0
		.amdhsa_exception_int_div_zero 0
	.end_amdhsa_kernel
	.section	.text._ZN7rocprim17ROCPRIM_400000_NS6detail17trampoline_kernelINS0_14default_configENS1_20scan_config_selectorIfEEZZNS1_9scan_implILNS1_25lookback_scan_determinismE0ELb0ELb0ES3_N6thrust23THRUST_200600_302600_NS6detail15normal_iteratorINS9_10device_ptrIfEEEENS9_16discard_iteratorINS9_11use_defaultEEEf11max_functorIfEfEEDaPvRmT3_T4_T5_mT6_P12ihipStream_tbENKUlT_T0_E_clISt17integral_constantIbLb0EESX_EEDaSS_ST_EUlSS_E_NS1_11comp_targetILNS1_3genE2ELNS1_11target_archE906ELNS1_3gpuE6ELNS1_3repE0EEENS1_30default_config_static_selectorELNS0_4arch9wavefront6targetE1EEEvT1_,"axG",@progbits,_ZN7rocprim17ROCPRIM_400000_NS6detail17trampoline_kernelINS0_14default_configENS1_20scan_config_selectorIfEEZZNS1_9scan_implILNS1_25lookback_scan_determinismE0ELb0ELb0ES3_N6thrust23THRUST_200600_302600_NS6detail15normal_iteratorINS9_10device_ptrIfEEEENS9_16discard_iteratorINS9_11use_defaultEEEf11max_functorIfEfEEDaPvRmT3_T4_T5_mT6_P12ihipStream_tbENKUlT_T0_E_clISt17integral_constantIbLb0EESX_EEDaSS_ST_EUlSS_E_NS1_11comp_targetILNS1_3genE2ELNS1_11target_archE906ELNS1_3gpuE6ELNS1_3repE0EEENS1_30default_config_static_selectorELNS0_4arch9wavefront6targetE1EEEvT1_,comdat
.Lfunc_end3138:
	.size	_ZN7rocprim17ROCPRIM_400000_NS6detail17trampoline_kernelINS0_14default_configENS1_20scan_config_selectorIfEEZZNS1_9scan_implILNS1_25lookback_scan_determinismE0ELb0ELb0ES3_N6thrust23THRUST_200600_302600_NS6detail15normal_iteratorINS9_10device_ptrIfEEEENS9_16discard_iteratorINS9_11use_defaultEEEf11max_functorIfEfEEDaPvRmT3_T4_T5_mT6_P12ihipStream_tbENKUlT_T0_E_clISt17integral_constantIbLb0EESX_EEDaSS_ST_EUlSS_E_NS1_11comp_targetILNS1_3genE2ELNS1_11target_archE906ELNS1_3gpuE6ELNS1_3repE0EEENS1_30default_config_static_selectorELNS0_4arch9wavefront6targetE1EEEvT1_, .Lfunc_end3138-_ZN7rocprim17ROCPRIM_400000_NS6detail17trampoline_kernelINS0_14default_configENS1_20scan_config_selectorIfEEZZNS1_9scan_implILNS1_25lookback_scan_determinismE0ELb0ELb0ES3_N6thrust23THRUST_200600_302600_NS6detail15normal_iteratorINS9_10device_ptrIfEEEENS9_16discard_iteratorINS9_11use_defaultEEEf11max_functorIfEfEEDaPvRmT3_T4_T5_mT6_P12ihipStream_tbENKUlT_T0_E_clISt17integral_constantIbLb0EESX_EEDaSS_ST_EUlSS_E_NS1_11comp_targetILNS1_3genE2ELNS1_11target_archE906ELNS1_3gpuE6ELNS1_3repE0EEENS1_30default_config_static_selectorELNS0_4arch9wavefront6targetE1EEEvT1_
                                        ; -- End function
	.section	.AMDGPU.csdata,"",@progbits
; Kernel info:
; codeLenInByte = 0
; NumSgprs: 4
; NumVgprs: 0
; NumAgprs: 0
; TotalNumVgprs: 0
; ScratchSize: 0
; MemoryBound: 0
; FloatMode: 240
; IeeeMode: 1
; LDSByteSize: 0 bytes/workgroup (compile time only)
; SGPRBlocks: 0
; VGPRBlocks: 0
; NumSGPRsForWavesPerEU: 4
; NumVGPRsForWavesPerEU: 1
; AccumOffset: 4
; Occupancy: 8
; WaveLimiterHint : 0
; COMPUTE_PGM_RSRC2:SCRATCH_EN: 0
; COMPUTE_PGM_RSRC2:USER_SGPR: 6
; COMPUTE_PGM_RSRC2:TRAP_HANDLER: 0
; COMPUTE_PGM_RSRC2:TGID_X_EN: 1
; COMPUTE_PGM_RSRC2:TGID_Y_EN: 0
; COMPUTE_PGM_RSRC2:TGID_Z_EN: 0
; COMPUTE_PGM_RSRC2:TIDIG_COMP_CNT: 0
; COMPUTE_PGM_RSRC3_GFX90A:ACCUM_OFFSET: 0
; COMPUTE_PGM_RSRC3_GFX90A:TG_SPLIT: 0
	.section	.text._ZN7rocprim17ROCPRIM_400000_NS6detail17trampoline_kernelINS0_14default_configENS1_20scan_config_selectorIfEEZZNS1_9scan_implILNS1_25lookback_scan_determinismE0ELb0ELb0ES3_N6thrust23THRUST_200600_302600_NS6detail15normal_iteratorINS9_10device_ptrIfEEEENS9_16discard_iteratorINS9_11use_defaultEEEf11max_functorIfEfEEDaPvRmT3_T4_T5_mT6_P12ihipStream_tbENKUlT_T0_E_clISt17integral_constantIbLb0EESX_EEDaSS_ST_EUlSS_E_NS1_11comp_targetILNS1_3genE10ELNS1_11target_archE1201ELNS1_3gpuE5ELNS1_3repE0EEENS1_30default_config_static_selectorELNS0_4arch9wavefront6targetE1EEEvT1_,"axG",@progbits,_ZN7rocprim17ROCPRIM_400000_NS6detail17trampoline_kernelINS0_14default_configENS1_20scan_config_selectorIfEEZZNS1_9scan_implILNS1_25lookback_scan_determinismE0ELb0ELb0ES3_N6thrust23THRUST_200600_302600_NS6detail15normal_iteratorINS9_10device_ptrIfEEEENS9_16discard_iteratorINS9_11use_defaultEEEf11max_functorIfEfEEDaPvRmT3_T4_T5_mT6_P12ihipStream_tbENKUlT_T0_E_clISt17integral_constantIbLb0EESX_EEDaSS_ST_EUlSS_E_NS1_11comp_targetILNS1_3genE10ELNS1_11target_archE1201ELNS1_3gpuE5ELNS1_3repE0EEENS1_30default_config_static_selectorELNS0_4arch9wavefront6targetE1EEEvT1_,comdat
	.protected	_ZN7rocprim17ROCPRIM_400000_NS6detail17trampoline_kernelINS0_14default_configENS1_20scan_config_selectorIfEEZZNS1_9scan_implILNS1_25lookback_scan_determinismE0ELb0ELb0ES3_N6thrust23THRUST_200600_302600_NS6detail15normal_iteratorINS9_10device_ptrIfEEEENS9_16discard_iteratorINS9_11use_defaultEEEf11max_functorIfEfEEDaPvRmT3_T4_T5_mT6_P12ihipStream_tbENKUlT_T0_E_clISt17integral_constantIbLb0EESX_EEDaSS_ST_EUlSS_E_NS1_11comp_targetILNS1_3genE10ELNS1_11target_archE1201ELNS1_3gpuE5ELNS1_3repE0EEENS1_30default_config_static_selectorELNS0_4arch9wavefront6targetE1EEEvT1_ ; -- Begin function _ZN7rocprim17ROCPRIM_400000_NS6detail17trampoline_kernelINS0_14default_configENS1_20scan_config_selectorIfEEZZNS1_9scan_implILNS1_25lookback_scan_determinismE0ELb0ELb0ES3_N6thrust23THRUST_200600_302600_NS6detail15normal_iteratorINS9_10device_ptrIfEEEENS9_16discard_iteratorINS9_11use_defaultEEEf11max_functorIfEfEEDaPvRmT3_T4_T5_mT6_P12ihipStream_tbENKUlT_T0_E_clISt17integral_constantIbLb0EESX_EEDaSS_ST_EUlSS_E_NS1_11comp_targetILNS1_3genE10ELNS1_11target_archE1201ELNS1_3gpuE5ELNS1_3repE0EEENS1_30default_config_static_selectorELNS0_4arch9wavefront6targetE1EEEvT1_
	.globl	_ZN7rocprim17ROCPRIM_400000_NS6detail17trampoline_kernelINS0_14default_configENS1_20scan_config_selectorIfEEZZNS1_9scan_implILNS1_25lookback_scan_determinismE0ELb0ELb0ES3_N6thrust23THRUST_200600_302600_NS6detail15normal_iteratorINS9_10device_ptrIfEEEENS9_16discard_iteratorINS9_11use_defaultEEEf11max_functorIfEfEEDaPvRmT3_T4_T5_mT6_P12ihipStream_tbENKUlT_T0_E_clISt17integral_constantIbLb0EESX_EEDaSS_ST_EUlSS_E_NS1_11comp_targetILNS1_3genE10ELNS1_11target_archE1201ELNS1_3gpuE5ELNS1_3repE0EEENS1_30default_config_static_selectorELNS0_4arch9wavefront6targetE1EEEvT1_
	.p2align	8
	.type	_ZN7rocprim17ROCPRIM_400000_NS6detail17trampoline_kernelINS0_14default_configENS1_20scan_config_selectorIfEEZZNS1_9scan_implILNS1_25lookback_scan_determinismE0ELb0ELb0ES3_N6thrust23THRUST_200600_302600_NS6detail15normal_iteratorINS9_10device_ptrIfEEEENS9_16discard_iteratorINS9_11use_defaultEEEf11max_functorIfEfEEDaPvRmT3_T4_T5_mT6_P12ihipStream_tbENKUlT_T0_E_clISt17integral_constantIbLb0EESX_EEDaSS_ST_EUlSS_E_NS1_11comp_targetILNS1_3genE10ELNS1_11target_archE1201ELNS1_3gpuE5ELNS1_3repE0EEENS1_30default_config_static_selectorELNS0_4arch9wavefront6targetE1EEEvT1_,@function
_ZN7rocprim17ROCPRIM_400000_NS6detail17trampoline_kernelINS0_14default_configENS1_20scan_config_selectorIfEEZZNS1_9scan_implILNS1_25lookback_scan_determinismE0ELb0ELb0ES3_N6thrust23THRUST_200600_302600_NS6detail15normal_iteratorINS9_10device_ptrIfEEEENS9_16discard_iteratorINS9_11use_defaultEEEf11max_functorIfEfEEDaPvRmT3_T4_T5_mT6_P12ihipStream_tbENKUlT_T0_E_clISt17integral_constantIbLb0EESX_EEDaSS_ST_EUlSS_E_NS1_11comp_targetILNS1_3genE10ELNS1_11target_archE1201ELNS1_3gpuE5ELNS1_3repE0EEENS1_30default_config_static_selectorELNS0_4arch9wavefront6targetE1EEEvT1_: ; @_ZN7rocprim17ROCPRIM_400000_NS6detail17trampoline_kernelINS0_14default_configENS1_20scan_config_selectorIfEEZZNS1_9scan_implILNS1_25lookback_scan_determinismE0ELb0ELb0ES3_N6thrust23THRUST_200600_302600_NS6detail15normal_iteratorINS9_10device_ptrIfEEEENS9_16discard_iteratorINS9_11use_defaultEEEf11max_functorIfEfEEDaPvRmT3_T4_T5_mT6_P12ihipStream_tbENKUlT_T0_E_clISt17integral_constantIbLb0EESX_EEDaSS_ST_EUlSS_E_NS1_11comp_targetILNS1_3genE10ELNS1_11target_archE1201ELNS1_3gpuE5ELNS1_3repE0EEENS1_30default_config_static_selectorELNS0_4arch9wavefront6targetE1EEEvT1_
; %bb.0:
	.section	.rodata,"a",@progbits
	.p2align	6, 0x0
	.amdhsa_kernel _ZN7rocprim17ROCPRIM_400000_NS6detail17trampoline_kernelINS0_14default_configENS1_20scan_config_selectorIfEEZZNS1_9scan_implILNS1_25lookback_scan_determinismE0ELb0ELb0ES3_N6thrust23THRUST_200600_302600_NS6detail15normal_iteratorINS9_10device_ptrIfEEEENS9_16discard_iteratorINS9_11use_defaultEEEf11max_functorIfEfEEDaPvRmT3_T4_T5_mT6_P12ihipStream_tbENKUlT_T0_E_clISt17integral_constantIbLb0EESX_EEDaSS_ST_EUlSS_E_NS1_11comp_targetILNS1_3genE10ELNS1_11target_archE1201ELNS1_3gpuE5ELNS1_3repE0EEENS1_30default_config_static_selectorELNS0_4arch9wavefront6targetE1EEEvT1_
		.amdhsa_group_segment_fixed_size 0
		.amdhsa_private_segment_fixed_size 0
		.amdhsa_kernarg_size 104
		.amdhsa_user_sgpr_count 6
		.amdhsa_user_sgpr_private_segment_buffer 1
		.amdhsa_user_sgpr_dispatch_ptr 0
		.amdhsa_user_sgpr_queue_ptr 0
		.amdhsa_user_sgpr_kernarg_segment_ptr 1
		.amdhsa_user_sgpr_dispatch_id 0
		.amdhsa_user_sgpr_flat_scratch_init 0
		.amdhsa_user_sgpr_kernarg_preload_length 0
		.amdhsa_user_sgpr_kernarg_preload_offset 0
		.amdhsa_user_sgpr_private_segment_size 0
		.amdhsa_uses_dynamic_stack 0
		.amdhsa_system_sgpr_private_segment_wavefront_offset 0
		.amdhsa_system_sgpr_workgroup_id_x 1
		.amdhsa_system_sgpr_workgroup_id_y 0
		.amdhsa_system_sgpr_workgroup_id_z 0
		.amdhsa_system_sgpr_workgroup_info 0
		.amdhsa_system_vgpr_workitem_id 0
		.amdhsa_next_free_vgpr 1
		.amdhsa_next_free_sgpr 0
		.amdhsa_accum_offset 4
		.amdhsa_reserve_vcc 0
		.amdhsa_reserve_flat_scratch 0
		.amdhsa_float_round_mode_32 0
		.amdhsa_float_round_mode_16_64 0
		.amdhsa_float_denorm_mode_32 3
		.amdhsa_float_denorm_mode_16_64 3
		.amdhsa_dx10_clamp 1
		.amdhsa_ieee_mode 1
		.amdhsa_fp16_overflow 0
		.amdhsa_tg_split 0
		.amdhsa_exception_fp_ieee_invalid_op 0
		.amdhsa_exception_fp_denorm_src 0
		.amdhsa_exception_fp_ieee_div_zero 0
		.amdhsa_exception_fp_ieee_overflow 0
		.amdhsa_exception_fp_ieee_underflow 0
		.amdhsa_exception_fp_ieee_inexact 0
		.amdhsa_exception_int_div_zero 0
	.end_amdhsa_kernel
	.section	.text._ZN7rocprim17ROCPRIM_400000_NS6detail17trampoline_kernelINS0_14default_configENS1_20scan_config_selectorIfEEZZNS1_9scan_implILNS1_25lookback_scan_determinismE0ELb0ELb0ES3_N6thrust23THRUST_200600_302600_NS6detail15normal_iteratorINS9_10device_ptrIfEEEENS9_16discard_iteratorINS9_11use_defaultEEEf11max_functorIfEfEEDaPvRmT3_T4_T5_mT6_P12ihipStream_tbENKUlT_T0_E_clISt17integral_constantIbLb0EESX_EEDaSS_ST_EUlSS_E_NS1_11comp_targetILNS1_3genE10ELNS1_11target_archE1201ELNS1_3gpuE5ELNS1_3repE0EEENS1_30default_config_static_selectorELNS0_4arch9wavefront6targetE1EEEvT1_,"axG",@progbits,_ZN7rocprim17ROCPRIM_400000_NS6detail17trampoline_kernelINS0_14default_configENS1_20scan_config_selectorIfEEZZNS1_9scan_implILNS1_25lookback_scan_determinismE0ELb0ELb0ES3_N6thrust23THRUST_200600_302600_NS6detail15normal_iteratorINS9_10device_ptrIfEEEENS9_16discard_iteratorINS9_11use_defaultEEEf11max_functorIfEfEEDaPvRmT3_T4_T5_mT6_P12ihipStream_tbENKUlT_T0_E_clISt17integral_constantIbLb0EESX_EEDaSS_ST_EUlSS_E_NS1_11comp_targetILNS1_3genE10ELNS1_11target_archE1201ELNS1_3gpuE5ELNS1_3repE0EEENS1_30default_config_static_selectorELNS0_4arch9wavefront6targetE1EEEvT1_,comdat
.Lfunc_end3139:
	.size	_ZN7rocprim17ROCPRIM_400000_NS6detail17trampoline_kernelINS0_14default_configENS1_20scan_config_selectorIfEEZZNS1_9scan_implILNS1_25lookback_scan_determinismE0ELb0ELb0ES3_N6thrust23THRUST_200600_302600_NS6detail15normal_iteratorINS9_10device_ptrIfEEEENS9_16discard_iteratorINS9_11use_defaultEEEf11max_functorIfEfEEDaPvRmT3_T4_T5_mT6_P12ihipStream_tbENKUlT_T0_E_clISt17integral_constantIbLb0EESX_EEDaSS_ST_EUlSS_E_NS1_11comp_targetILNS1_3genE10ELNS1_11target_archE1201ELNS1_3gpuE5ELNS1_3repE0EEENS1_30default_config_static_selectorELNS0_4arch9wavefront6targetE1EEEvT1_, .Lfunc_end3139-_ZN7rocprim17ROCPRIM_400000_NS6detail17trampoline_kernelINS0_14default_configENS1_20scan_config_selectorIfEEZZNS1_9scan_implILNS1_25lookback_scan_determinismE0ELb0ELb0ES3_N6thrust23THRUST_200600_302600_NS6detail15normal_iteratorINS9_10device_ptrIfEEEENS9_16discard_iteratorINS9_11use_defaultEEEf11max_functorIfEfEEDaPvRmT3_T4_T5_mT6_P12ihipStream_tbENKUlT_T0_E_clISt17integral_constantIbLb0EESX_EEDaSS_ST_EUlSS_E_NS1_11comp_targetILNS1_3genE10ELNS1_11target_archE1201ELNS1_3gpuE5ELNS1_3repE0EEENS1_30default_config_static_selectorELNS0_4arch9wavefront6targetE1EEEvT1_
                                        ; -- End function
	.section	.AMDGPU.csdata,"",@progbits
; Kernel info:
; codeLenInByte = 0
; NumSgprs: 4
; NumVgprs: 0
; NumAgprs: 0
; TotalNumVgprs: 0
; ScratchSize: 0
; MemoryBound: 0
; FloatMode: 240
; IeeeMode: 1
; LDSByteSize: 0 bytes/workgroup (compile time only)
; SGPRBlocks: 0
; VGPRBlocks: 0
; NumSGPRsForWavesPerEU: 4
; NumVGPRsForWavesPerEU: 1
; AccumOffset: 4
; Occupancy: 8
; WaveLimiterHint : 0
; COMPUTE_PGM_RSRC2:SCRATCH_EN: 0
; COMPUTE_PGM_RSRC2:USER_SGPR: 6
; COMPUTE_PGM_RSRC2:TRAP_HANDLER: 0
; COMPUTE_PGM_RSRC2:TGID_X_EN: 1
; COMPUTE_PGM_RSRC2:TGID_Y_EN: 0
; COMPUTE_PGM_RSRC2:TGID_Z_EN: 0
; COMPUTE_PGM_RSRC2:TIDIG_COMP_CNT: 0
; COMPUTE_PGM_RSRC3_GFX90A:ACCUM_OFFSET: 0
; COMPUTE_PGM_RSRC3_GFX90A:TG_SPLIT: 0
	.section	.text._ZN7rocprim17ROCPRIM_400000_NS6detail17trampoline_kernelINS0_14default_configENS1_20scan_config_selectorIfEEZZNS1_9scan_implILNS1_25lookback_scan_determinismE0ELb0ELb0ES3_N6thrust23THRUST_200600_302600_NS6detail15normal_iteratorINS9_10device_ptrIfEEEENS9_16discard_iteratorINS9_11use_defaultEEEf11max_functorIfEfEEDaPvRmT3_T4_T5_mT6_P12ihipStream_tbENKUlT_T0_E_clISt17integral_constantIbLb0EESX_EEDaSS_ST_EUlSS_E_NS1_11comp_targetILNS1_3genE10ELNS1_11target_archE1200ELNS1_3gpuE4ELNS1_3repE0EEENS1_30default_config_static_selectorELNS0_4arch9wavefront6targetE1EEEvT1_,"axG",@progbits,_ZN7rocprim17ROCPRIM_400000_NS6detail17trampoline_kernelINS0_14default_configENS1_20scan_config_selectorIfEEZZNS1_9scan_implILNS1_25lookback_scan_determinismE0ELb0ELb0ES3_N6thrust23THRUST_200600_302600_NS6detail15normal_iteratorINS9_10device_ptrIfEEEENS9_16discard_iteratorINS9_11use_defaultEEEf11max_functorIfEfEEDaPvRmT3_T4_T5_mT6_P12ihipStream_tbENKUlT_T0_E_clISt17integral_constantIbLb0EESX_EEDaSS_ST_EUlSS_E_NS1_11comp_targetILNS1_3genE10ELNS1_11target_archE1200ELNS1_3gpuE4ELNS1_3repE0EEENS1_30default_config_static_selectorELNS0_4arch9wavefront6targetE1EEEvT1_,comdat
	.protected	_ZN7rocprim17ROCPRIM_400000_NS6detail17trampoline_kernelINS0_14default_configENS1_20scan_config_selectorIfEEZZNS1_9scan_implILNS1_25lookback_scan_determinismE0ELb0ELb0ES3_N6thrust23THRUST_200600_302600_NS6detail15normal_iteratorINS9_10device_ptrIfEEEENS9_16discard_iteratorINS9_11use_defaultEEEf11max_functorIfEfEEDaPvRmT3_T4_T5_mT6_P12ihipStream_tbENKUlT_T0_E_clISt17integral_constantIbLb0EESX_EEDaSS_ST_EUlSS_E_NS1_11comp_targetILNS1_3genE10ELNS1_11target_archE1200ELNS1_3gpuE4ELNS1_3repE0EEENS1_30default_config_static_selectorELNS0_4arch9wavefront6targetE1EEEvT1_ ; -- Begin function _ZN7rocprim17ROCPRIM_400000_NS6detail17trampoline_kernelINS0_14default_configENS1_20scan_config_selectorIfEEZZNS1_9scan_implILNS1_25lookback_scan_determinismE0ELb0ELb0ES3_N6thrust23THRUST_200600_302600_NS6detail15normal_iteratorINS9_10device_ptrIfEEEENS9_16discard_iteratorINS9_11use_defaultEEEf11max_functorIfEfEEDaPvRmT3_T4_T5_mT6_P12ihipStream_tbENKUlT_T0_E_clISt17integral_constantIbLb0EESX_EEDaSS_ST_EUlSS_E_NS1_11comp_targetILNS1_3genE10ELNS1_11target_archE1200ELNS1_3gpuE4ELNS1_3repE0EEENS1_30default_config_static_selectorELNS0_4arch9wavefront6targetE1EEEvT1_
	.globl	_ZN7rocprim17ROCPRIM_400000_NS6detail17trampoline_kernelINS0_14default_configENS1_20scan_config_selectorIfEEZZNS1_9scan_implILNS1_25lookback_scan_determinismE0ELb0ELb0ES3_N6thrust23THRUST_200600_302600_NS6detail15normal_iteratorINS9_10device_ptrIfEEEENS9_16discard_iteratorINS9_11use_defaultEEEf11max_functorIfEfEEDaPvRmT3_T4_T5_mT6_P12ihipStream_tbENKUlT_T0_E_clISt17integral_constantIbLb0EESX_EEDaSS_ST_EUlSS_E_NS1_11comp_targetILNS1_3genE10ELNS1_11target_archE1200ELNS1_3gpuE4ELNS1_3repE0EEENS1_30default_config_static_selectorELNS0_4arch9wavefront6targetE1EEEvT1_
	.p2align	8
	.type	_ZN7rocprim17ROCPRIM_400000_NS6detail17trampoline_kernelINS0_14default_configENS1_20scan_config_selectorIfEEZZNS1_9scan_implILNS1_25lookback_scan_determinismE0ELb0ELb0ES3_N6thrust23THRUST_200600_302600_NS6detail15normal_iteratorINS9_10device_ptrIfEEEENS9_16discard_iteratorINS9_11use_defaultEEEf11max_functorIfEfEEDaPvRmT3_T4_T5_mT6_P12ihipStream_tbENKUlT_T0_E_clISt17integral_constantIbLb0EESX_EEDaSS_ST_EUlSS_E_NS1_11comp_targetILNS1_3genE10ELNS1_11target_archE1200ELNS1_3gpuE4ELNS1_3repE0EEENS1_30default_config_static_selectorELNS0_4arch9wavefront6targetE1EEEvT1_,@function
_ZN7rocprim17ROCPRIM_400000_NS6detail17trampoline_kernelINS0_14default_configENS1_20scan_config_selectorIfEEZZNS1_9scan_implILNS1_25lookback_scan_determinismE0ELb0ELb0ES3_N6thrust23THRUST_200600_302600_NS6detail15normal_iteratorINS9_10device_ptrIfEEEENS9_16discard_iteratorINS9_11use_defaultEEEf11max_functorIfEfEEDaPvRmT3_T4_T5_mT6_P12ihipStream_tbENKUlT_T0_E_clISt17integral_constantIbLb0EESX_EEDaSS_ST_EUlSS_E_NS1_11comp_targetILNS1_3genE10ELNS1_11target_archE1200ELNS1_3gpuE4ELNS1_3repE0EEENS1_30default_config_static_selectorELNS0_4arch9wavefront6targetE1EEEvT1_: ; @_ZN7rocprim17ROCPRIM_400000_NS6detail17trampoline_kernelINS0_14default_configENS1_20scan_config_selectorIfEEZZNS1_9scan_implILNS1_25lookback_scan_determinismE0ELb0ELb0ES3_N6thrust23THRUST_200600_302600_NS6detail15normal_iteratorINS9_10device_ptrIfEEEENS9_16discard_iteratorINS9_11use_defaultEEEf11max_functorIfEfEEDaPvRmT3_T4_T5_mT6_P12ihipStream_tbENKUlT_T0_E_clISt17integral_constantIbLb0EESX_EEDaSS_ST_EUlSS_E_NS1_11comp_targetILNS1_3genE10ELNS1_11target_archE1200ELNS1_3gpuE4ELNS1_3repE0EEENS1_30default_config_static_selectorELNS0_4arch9wavefront6targetE1EEEvT1_
; %bb.0:
	.section	.rodata,"a",@progbits
	.p2align	6, 0x0
	.amdhsa_kernel _ZN7rocprim17ROCPRIM_400000_NS6detail17trampoline_kernelINS0_14default_configENS1_20scan_config_selectorIfEEZZNS1_9scan_implILNS1_25lookback_scan_determinismE0ELb0ELb0ES3_N6thrust23THRUST_200600_302600_NS6detail15normal_iteratorINS9_10device_ptrIfEEEENS9_16discard_iteratorINS9_11use_defaultEEEf11max_functorIfEfEEDaPvRmT3_T4_T5_mT6_P12ihipStream_tbENKUlT_T0_E_clISt17integral_constantIbLb0EESX_EEDaSS_ST_EUlSS_E_NS1_11comp_targetILNS1_3genE10ELNS1_11target_archE1200ELNS1_3gpuE4ELNS1_3repE0EEENS1_30default_config_static_selectorELNS0_4arch9wavefront6targetE1EEEvT1_
		.amdhsa_group_segment_fixed_size 0
		.amdhsa_private_segment_fixed_size 0
		.amdhsa_kernarg_size 104
		.amdhsa_user_sgpr_count 6
		.amdhsa_user_sgpr_private_segment_buffer 1
		.amdhsa_user_sgpr_dispatch_ptr 0
		.amdhsa_user_sgpr_queue_ptr 0
		.amdhsa_user_sgpr_kernarg_segment_ptr 1
		.amdhsa_user_sgpr_dispatch_id 0
		.amdhsa_user_sgpr_flat_scratch_init 0
		.amdhsa_user_sgpr_kernarg_preload_length 0
		.amdhsa_user_sgpr_kernarg_preload_offset 0
		.amdhsa_user_sgpr_private_segment_size 0
		.amdhsa_uses_dynamic_stack 0
		.amdhsa_system_sgpr_private_segment_wavefront_offset 0
		.amdhsa_system_sgpr_workgroup_id_x 1
		.amdhsa_system_sgpr_workgroup_id_y 0
		.amdhsa_system_sgpr_workgroup_id_z 0
		.amdhsa_system_sgpr_workgroup_info 0
		.amdhsa_system_vgpr_workitem_id 0
		.amdhsa_next_free_vgpr 1
		.amdhsa_next_free_sgpr 0
		.amdhsa_accum_offset 4
		.amdhsa_reserve_vcc 0
		.amdhsa_reserve_flat_scratch 0
		.amdhsa_float_round_mode_32 0
		.amdhsa_float_round_mode_16_64 0
		.amdhsa_float_denorm_mode_32 3
		.amdhsa_float_denorm_mode_16_64 3
		.amdhsa_dx10_clamp 1
		.amdhsa_ieee_mode 1
		.amdhsa_fp16_overflow 0
		.amdhsa_tg_split 0
		.amdhsa_exception_fp_ieee_invalid_op 0
		.amdhsa_exception_fp_denorm_src 0
		.amdhsa_exception_fp_ieee_div_zero 0
		.amdhsa_exception_fp_ieee_overflow 0
		.amdhsa_exception_fp_ieee_underflow 0
		.amdhsa_exception_fp_ieee_inexact 0
		.amdhsa_exception_int_div_zero 0
	.end_amdhsa_kernel
	.section	.text._ZN7rocprim17ROCPRIM_400000_NS6detail17trampoline_kernelINS0_14default_configENS1_20scan_config_selectorIfEEZZNS1_9scan_implILNS1_25lookback_scan_determinismE0ELb0ELb0ES3_N6thrust23THRUST_200600_302600_NS6detail15normal_iteratorINS9_10device_ptrIfEEEENS9_16discard_iteratorINS9_11use_defaultEEEf11max_functorIfEfEEDaPvRmT3_T4_T5_mT6_P12ihipStream_tbENKUlT_T0_E_clISt17integral_constantIbLb0EESX_EEDaSS_ST_EUlSS_E_NS1_11comp_targetILNS1_3genE10ELNS1_11target_archE1200ELNS1_3gpuE4ELNS1_3repE0EEENS1_30default_config_static_selectorELNS0_4arch9wavefront6targetE1EEEvT1_,"axG",@progbits,_ZN7rocprim17ROCPRIM_400000_NS6detail17trampoline_kernelINS0_14default_configENS1_20scan_config_selectorIfEEZZNS1_9scan_implILNS1_25lookback_scan_determinismE0ELb0ELb0ES3_N6thrust23THRUST_200600_302600_NS6detail15normal_iteratorINS9_10device_ptrIfEEEENS9_16discard_iteratorINS9_11use_defaultEEEf11max_functorIfEfEEDaPvRmT3_T4_T5_mT6_P12ihipStream_tbENKUlT_T0_E_clISt17integral_constantIbLb0EESX_EEDaSS_ST_EUlSS_E_NS1_11comp_targetILNS1_3genE10ELNS1_11target_archE1200ELNS1_3gpuE4ELNS1_3repE0EEENS1_30default_config_static_selectorELNS0_4arch9wavefront6targetE1EEEvT1_,comdat
.Lfunc_end3140:
	.size	_ZN7rocprim17ROCPRIM_400000_NS6detail17trampoline_kernelINS0_14default_configENS1_20scan_config_selectorIfEEZZNS1_9scan_implILNS1_25lookback_scan_determinismE0ELb0ELb0ES3_N6thrust23THRUST_200600_302600_NS6detail15normal_iteratorINS9_10device_ptrIfEEEENS9_16discard_iteratorINS9_11use_defaultEEEf11max_functorIfEfEEDaPvRmT3_T4_T5_mT6_P12ihipStream_tbENKUlT_T0_E_clISt17integral_constantIbLb0EESX_EEDaSS_ST_EUlSS_E_NS1_11comp_targetILNS1_3genE10ELNS1_11target_archE1200ELNS1_3gpuE4ELNS1_3repE0EEENS1_30default_config_static_selectorELNS0_4arch9wavefront6targetE1EEEvT1_, .Lfunc_end3140-_ZN7rocprim17ROCPRIM_400000_NS6detail17trampoline_kernelINS0_14default_configENS1_20scan_config_selectorIfEEZZNS1_9scan_implILNS1_25lookback_scan_determinismE0ELb0ELb0ES3_N6thrust23THRUST_200600_302600_NS6detail15normal_iteratorINS9_10device_ptrIfEEEENS9_16discard_iteratorINS9_11use_defaultEEEf11max_functorIfEfEEDaPvRmT3_T4_T5_mT6_P12ihipStream_tbENKUlT_T0_E_clISt17integral_constantIbLb0EESX_EEDaSS_ST_EUlSS_E_NS1_11comp_targetILNS1_3genE10ELNS1_11target_archE1200ELNS1_3gpuE4ELNS1_3repE0EEENS1_30default_config_static_selectorELNS0_4arch9wavefront6targetE1EEEvT1_
                                        ; -- End function
	.section	.AMDGPU.csdata,"",@progbits
; Kernel info:
; codeLenInByte = 0
; NumSgprs: 4
; NumVgprs: 0
; NumAgprs: 0
; TotalNumVgprs: 0
; ScratchSize: 0
; MemoryBound: 0
; FloatMode: 240
; IeeeMode: 1
; LDSByteSize: 0 bytes/workgroup (compile time only)
; SGPRBlocks: 0
; VGPRBlocks: 0
; NumSGPRsForWavesPerEU: 4
; NumVGPRsForWavesPerEU: 1
; AccumOffset: 4
; Occupancy: 8
; WaveLimiterHint : 0
; COMPUTE_PGM_RSRC2:SCRATCH_EN: 0
; COMPUTE_PGM_RSRC2:USER_SGPR: 6
; COMPUTE_PGM_RSRC2:TRAP_HANDLER: 0
; COMPUTE_PGM_RSRC2:TGID_X_EN: 1
; COMPUTE_PGM_RSRC2:TGID_Y_EN: 0
; COMPUTE_PGM_RSRC2:TGID_Z_EN: 0
; COMPUTE_PGM_RSRC2:TIDIG_COMP_CNT: 0
; COMPUTE_PGM_RSRC3_GFX90A:ACCUM_OFFSET: 0
; COMPUTE_PGM_RSRC3_GFX90A:TG_SPLIT: 0
	.section	.text._ZN7rocprim17ROCPRIM_400000_NS6detail17trampoline_kernelINS0_14default_configENS1_20scan_config_selectorIfEEZZNS1_9scan_implILNS1_25lookback_scan_determinismE0ELb0ELb0ES3_N6thrust23THRUST_200600_302600_NS6detail15normal_iteratorINS9_10device_ptrIfEEEENS9_16discard_iteratorINS9_11use_defaultEEEf11max_functorIfEfEEDaPvRmT3_T4_T5_mT6_P12ihipStream_tbENKUlT_T0_E_clISt17integral_constantIbLb0EESX_EEDaSS_ST_EUlSS_E_NS1_11comp_targetILNS1_3genE9ELNS1_11target_archE1100ELNS1_3gpuE3ELNS1_3repE0EEENS1_30default_config_static_selectorELNS0_4arch9wavefront6targetE1EEEvT1_,"axG",@progbits,_ZN7rocprim17ROCPRIM_400000_NS6detail17trampoline_kernelINS0_14default_configENS1_20scan_config_selectorIfEEZZNS1_9scan_implILNS1_25lookback_scan_determinismE0ELb0ELb0ES3_N6thrust23THRUST_200600_302600_NS6detail15normal_iteratorINS9_10device_ptrIfEEEENS9_16discard_iteratorINS9_11use_defaultEEEf11max_functorIfEfEEDaPvRmT3_T4_T5_mT6_P12ihipStream_tbENKUlT_T0_E_clISt17integral_constantIbLb0EESX_EEDaSS_ST_EUlSS_E_NS1_11comp_targetILNS1_3genE9ELNS1_11target_archE1100ELNS1_3gpuE3ELNS1_3repE0EEENS1_30default_config_static_selectorELNS0_4arch9wavefront6targetE1EEEvT1_,comdat
	.protected	_ZN7rocprim17ROCPRIM_400000_NS6detail17trampoline_kernelINS0_14default_configENS1_20scan_config_selectorIfEEZZNS1_9scan_implILNS1_25lookback_scan_determinismE0ELb0ELb0ES3_N6thrust23THRUST_200600_302600_NS6detail15normal_iteratorINS9_10device_ptrIfEEEENS9_16discard_iteratorINS9_11use_defaultEEEf11max_functorIfEfEEDaPvRmT3_T4_T5_mT6_P12ihipStream_tbENKUlT_T0_E_clISt17integral_constantIbLb0EESX_EEDaSS_ST_EUlSS_E_NS1_11comp_targetILNS1_3genE9ELNS1_11target_archE1100ELNS1_3gpuE3ELNS1_3repE0EEENS1_30default_config_static_selectorELNS0_4arch9wavefront6targetE1EEEvT1_ ; -- Begin function _ZN7rocprim17ROCPRIM_400000_NS6detail17trampoline_kernelINS0_14default_configENS1_20scan_config_selectorIfEEZZNS1_9scan_implILNS1_25lookback_scan_determinismE0ELb0ELb0ES3_N6thrust23THRUST_200600_302600_NS6detail15normal_iteratorINS9_10device_ptrIfEEEENS9_16discard_iteratorINS9_11use_defaultEEEf11max_functorIfEfEEDaPvRmT3_T4_T5_mT6_P12ihipStream_tbENKUlT_T0_E_clISt17integral_constantIbLb0EESX_EEDaSS_ST_EUlSS_E_NS1_11comp_targetILNS1_3genE9ELNS1_11target_archE1100ELNS1_3gpuE3ELNS1_3repE0EEENS1_30default_config_static_selectorELNS0_4arch9wavefront6targetE1EEEvT1_
	.globl	_ZN7rocprim17ROCPRIM_400000_NS6detail17trampoline_kernelINS0_14default_configENS1_20scan_config_selectorIfEEZZNS1_9scan_implILNS1_25lookback_scan_determinismE0ELb0ELb0ES3_N6thrust23THRUST_200600_302600_NS6detail15normal_iteratorINS9_10device_ptrIfEEEENS9_16discard_iteratorINS9_11use_defaultEEEf11max_functorIfEfEEDaPvRmT3_T4_T5_mT6_P12ihipStream_tbENKUlT_T0_E_clISt17integral_constantIbLb0EESX_EEDaSS_ST_EUlSS_E_NS1_11comp_targetILNS1_3genE9ELNS1_11target_archE1100ELNS1_3gpuE3ELNS1_3repE0EEENS1_30default_config_static_selectorELNS0_4arch9wavefront6targetE1EEEvT1_
	.p2align	8
	.type	_ZN7rocprim17ROCPRIM_400000_NS6detail17trampoline_kernelINS0_14default_configENS1_20scan_config_selectorIfEEZZNS1_9scan_implILNS1_25lookback_scan_determinismE0ELb0ELb0ES3_N6thrust23THRUST_200600_302600_NS6detail15normal_iteratorINS9_10device_ptrIfEEEENS9_16discard_iteratorINS9_11use_defaultEEEf11max_functorIfEfEEDaPvRmT3_T4_T5_mT6_P12ihipStream_tbENKUlT_T0_E_clISt17integral_constantIbLb0EESX_EEDaSS_ST_EUlSS_E_NS1_11comp_targetILNS1_3genE9ELNS1_11target_archE1100ELNS1_3gpuE3ELNS1_3repE0EEENS1_30default_config_static_selectorELNS0_4arch9wavefront6targetE1EEEvT1_,@function
_ZN7rocprim17ROCPRIM_400000_NS6detail17trampoline_kernelINS0_14default_configENS1_20scan_config_selectorIfEEZZNS1_9scan_implILNS1_25lookback_scan_determinismE0ELb0ELb0ES3_N6thrust23THRUST_200600_302600_NS6detail15normal_iteratorINS9_10device_ptrIfEEEENS9_16discard_iteratorINS9_11use_defaultEEEf11max_functorIfEfEEDaPvRmT3_T4_T5_mT6_P12ihipStream_tbENKUlT_T0_E_clISt17integral_constantIbLb0EESX_EEDaSS_ST_EUlSS_E_NS1_11comp_targetILNS1_3genE9ELNS1_11target_archE1100ELNS1_3gpuE3ELNS1_3repE0EEENS1_30default_config_static_selectorELNS0_4arch9wavefront6targetE1EEEvT1_: ; @_ZN7rocprim17ROCPRIM_400000_NS6detail17trampoline_kernelINS0_14default_configENS1_20scan_config_selectorIfEEZZNS1_9scan_implILNS1_25lookback_scan_determinismE0ELb0ELb0ES3_N6thrust23THRUST_200600_302600_NS6detail15normal_iteratorINS9_10device_ptrIfEEEENS9_16discard_iteratorINS9_11use_defaultEEEf11max_functorIfEfEEDaPvRmT3_T4_T5_mT6_P12ihipStream_tbENKUlT_T0_E_clISt17integral_constantIbLb0EESX_EEDaSS_ST_EUlSS_E_NS1_11comp_targetILNS1_3genE9ELNS1_11target_archE1100ELNS1_3gpuE3ELNS1_3repE0EEENS1_30default_config_static_selectorELNS0_4arch9wavefront6targetE1EEEvT1_
; %bb.0:
	.section	.rodata,"a",@progbits
	.p2align	6, 0x0
	.amdhsa_kernel _ZN7rocprim17ROCPRIM_400000_NS6detail17trampoline_kernelINS0_14default_configENS1_20scan_config_selectorIfEEZZNS1_9scan_implILNS1_25lookback_scan_determinismE0ELb0ELb0ES3_N6thrust23THRUST_200600_302600_NS6detail15normal_iteratorINS9_10device_ptrIfEEEENS9_16discard_iteratorINS9_11use_defaultEEEf11max_functorIfEfEEDaPvRmT3_T4_T5_mT6_P12ihipStream_tbENKUlT_T0_E_clISt17integral_constantIbLb0EESX_EEDaSS_ST_EUlSS_E_NS1_11comp_targetILNS1_3genE9ELNS1_11target_archE1100ELNS1_3gpuE3ELNS1_3repE0EEENS1_30default_config_static_selectorELNS0_4arch9wavefront6targetE1EEEvT1_
		.amdhsa_group_segment_fixed_size 0
		.amdhsa_private_segment_fixed_size 0
		.amdhsa_kernarg_size 104
		.amdhsa_user_sgpr_count 6
		.amdhsa_user_sgpr_private_segment_buffer 1
		.amdhsa_user_sgpr_dispatch_ptr 0
		.amdhsa_user_sgpr_queue_ptr 0
		.amdhsa_user_sgpr_kernarg_segment_ptr 1
		.amdhsa_user_sgpr_dispatch_id 0
		.amdhsa_user_sgpr_flat_scratch_init 0
		.amdhsa_user_sgpr_kernarg_preload_length 0
		.amdhsa_user_sgpr_kernarg_preload_offset 0
		.amdhsa_user_sgpr_private_segment_size 0
		.amdhsa_uses_dynamic_stack 0
		.amdhsa_system_sgpr_private_segment_wavefront_offset 0
		.amdhsa_system_sgpr_workgroup_id_x 1
		.amdhsa_system_sgpr_workgroup_id_y 0
		.amdhsa_system_sgpr_workgroup_id_z 0
		.amdhsa_system_sgpr_workgroup_info 0
		.amdhsa_system_vgpr_workitem_id 0
		.amdhsa_next_free_vgpr 1
		.amdhsa_next_free_sgpr 0
		.amdhsa_accum_offset 4
		.amdhsa_reserve_vcc 0
		.amdhsa_reserve_flat_scratch 0
		.amdhsa_float_round_mode_32 0
		.amdhsa_float_round_mode_16_64 0
		.amdhsa_float_denorm_mode_32 3
		.amdhsa_float_denorm_mode_16_64 3
		.amdhsa_dx10_clamp 1
		.amdhsa_ieee_mode 1
		.amdhsa_fp16_overflow 0
		.amdhsa_tg_split 0
		.amdhsa_exception_fp_ieee_invalid_op 0
		.amdhsa_exception_fp_denorm_src 0
		.amdhsa_exception_fp_ieee_div_zero 0
		.amdhsa_exception_fp_ieee_overflow 0
		.amdhsa_exception_fp_ieee_underflow 0
		.amdhsa_exception_fp_ieee_inexact 0
		.amdhsa_exception_int_div_zero 0
	.end_amdhsa_kernel
	.section	.text._ZN7rocprim17ROCPRIM_400000_NS6detail17trampoline_kernelINS0_14default_configENS1_20scan_config_selectorIfEEZZNS1_9scan_implILNS1_25lookback_scan_determinismE0ELb0ELb0ES3_N6thrust23THRUST_200600_302600_NS6detail15normal_iteratorINS9_10device_ptrIfEEEENS9_16discard_iteratorINS9_11use_defaultEEEf11max_functorIfEfEEDaPvRmT3_T4_T5_mT6_P12ihipStream_tbENKUlT_T0_E_clISt17integral_constantIbLb0EESX_EEDaSS_ST_EUlSS_E_NS1_11comp_targetILNS1_3genE9ELNS1_11target_archE1100ELNS1_3gpuE3ELNS1_3repE0EEENS1_30default_config_static_selectorELNS0_4arch9wavefront6targetE1EEEvT1_,"axG",@progbits,_ZN7rocprim17ROCPRIM_400000_NS6detail17trampoline_kernelINS0_14default_configENS1_20scan_config_selectorIfEEZZNS1_9scan_implILNS1_25lookback_scan_determinismE0ELb0ELb0ES3_N6thrust23THRUST_200600_302600_NS6detail15normal_iteratorINS9_10device_ptrIfEEEENS9_16discard_iteratorINS9_11use_defaultEEEf11max_functorIfEfEEDaPvRmT3_T4_T5_mT6_P12ihipStream_tbENKUlT_T0_E_clISt17integral_constantIbLb0EESX_EEDaSS_ST_EUlSS_E_NS1_11comp_targetILNS1_3genE9ELNS1_11target_archE1100ELNS1_3gpuE3ELNS1_3repE0EEENS1_30default_config_static_selectorELNS0_4arch9wavefront6targetE1EEEvT1_,comdat
.Lfunc_end3141:
	.size	_ZN7rocprim17ROCPRIM_400000_NS6detail17trampoline_kernelINS0_14default_configENS1_20scan_config_selectorIfEEZZNS1_9scan_implILNS1_25lookback_scan_determinismE0ELb0ELb0ES3_N6thrust23THRUST_200600_302600_NS6detail15normal_iteratorINS9_10device_ptrIfEEEENS9_16discard_iteratorINS9_11use_defaultEEEf11max_functorIfEfEEDaPvRmT3_T4_T5_mT6_P12ihipStream_tbENKUlT_T0_E_clISt17integral_constantIbLb0EESX_EEDaSS_ST_EUlSS_E_NS1_11comp_targetILNS1_3genE9ELNS1_11target_archE1100ELNS1_3gpuE3ELNS1_3repE0EEENS1_30default_config_static_selectorELNS0_4arch9wavefront6targetE1EEEvT1_, .Lfunc_end3141-_ZN7rocprim17ROCPRIM_400000_NS6detail17trampoline_kernelINS0_14default_configENS1_20scan_config_selectorIfEEZZNS1_9scan_implILNS1_25lookback_scan_determinismE0ELb0ELb0ES3_N6thrust23THRUST_200600_302600_NS6detail15normal_iteratorINS9_10device_ptrIfEEEENS9_16discard_iteratorINS9_11use_defaultEEEf11max_functorIfEfEEDaPvRmT3_T4_T5_mT6_P12ihipStream_tbENKUlT_T0_E_clISt17integral_constantIbLb0EESX_EEDaSS_ST_EUlSS_E_NS1_11comp_targetILNS1_3genE9ELNS1_11target_archE1100ELNS1_3gpuE3ELNS1_3repE0EEENS1_30default_config_static_selectorELNS0_4arch9wavefront6targetE1EEEvT1_
                                        ; -- End function
	.section	.AMDGPU.csdata,"",@progbits
; Kernel info:
; codeLenInByte = 0
; NumSgprs: 4
; NumVgprs: 0
; NumAgprs: 0
; TotalNumVgprs: 0
; ScratchSize: 0
; MemoryBound: 0
; FloatMode: 240
; IeeeMode: 1
; LDSByteSize: 0 bytes/workgroup (compile time only)
; SGPRBlocks: 0
; VGPRBlocks: 0
; NumSGPRsForWavesPerEU: 4
; NumVGPRsForWavesPerEU: 1
; AccumOffset: 4
; Occupancy: 8
; WaveLimiterHint : 0
; COMPUTE_PGM_RSRC2:SCRATCH_EN: 0
; COMPUTE_PGM_RSRC2:USER_SGPR: 6
; COMPUTE_PGM_RSRC2:TRAP_HANDLER: 0
; COMPUTE_PGM_RSRC2:TGID_X_EN: 1
; COMPUTE_PGM_RSRC2:TGID_Y_EN: 0
; COMPUTE_PGM_RSRC2:TGID_Z_EN: 0
; COMPUTE_PGM_RSRC2:TIDIG_COMP_CNT: 0
; COMPUTE_PGM_RSRC3_GFX90A:ACCUM_OFFSET: 0
; COMPUTE_PGM_RSRC3_GFX90A:TG_SPLIT: 0
	.section	.text._ZN7rocprim17ROCPRIM_400000_NS6detail17trampoline_kernelINS0_14default_configENS1_20scan_config_selectorIfEEZZNS1_9scan_implILNS1_25lookback_scan_determinismE0ELb0ELb0ES3_N6thrust23THRUST_200600_302600_NS6detail15normal_iteratorINS9_10device_ptrIfEEEENS9_16discard_iteratorINS9_11use_defaultEEEf11max_functorIfEfEEDaPvRmT3_T4_T5_mT6_P12ihipStream_tbENKUlT_T0_E_clISt17integral_constantIbLb0EESX_EEDaSS_ST_EUlSS_E_NS1_11comp_targetILNS1_3genE8ELNS1_11target_archE1030ELNS1_3gpuE2ELNS1_3repE0EEENS1_30default_config_static_selectorELNS0_4arch9wavefront6targetE1EEEvT1_,"axG",@progbits,_ZN7rocprim17ROCPRIM_400000_NS6detail17trampoline_kernelINS0_14default_configENS1_20scan_config_selectorIfEEZZNS1_9scan_implILNS1_25lookback_scan_determinismE0ELb0ELb0ES3_N6thrust23THRUST_200600_302600_NS6detail15normal_iteratorINS9_10device_ptrIfEEEENS9_16discard_iteratorINS9_11use_defaultEEEf11max_functorIfEfEEDaPvRmT3_T4_T5_mT6_P12ihipStream_tbENKUlT_T0_E_clISt17integral_constantIbLb0EESX_EEDaSS_ST_EUlSS_E_NS1_11comp_targetILNS1_3genE8ELNS1_11target_archE1030ELNS1_3gpuE2ELNS1_3repE0EEENS1_30default_config_static_selectorELNS0_4arch9wavefront6targetE1EEEvT1_,comdat
	.protected	_ZN7rocprim17ROCPRIM_400000_NS6detail17trampoline_kernelINS0_14default_configENS1_20scan_config_selectorIfEEZZNS1_9scan_implILNS1_25lookback_scan_determinismE0ELb0ELb0ES3_N6thrust23THRUST_200600_302600_NS6detail15normal_iteratorINS9_10device_ptrIfEEEENS9_16discard_iteratorINS9_11use_defaultEEEf11max_functorIfEfEEDaPvRmT3_T4_T5_mT6_P12ihipStream_tbENKUlT_T0_E_clISt17integral_constantIbLb0EESX_EEDaSS_ST_EUlSS_E_NS1_11comp_targetILNS1_3genE8ELNS1_11target_archE1030ELNS1_3gpuE2ELNS1_3repE0EEENS1_30default_config_static_selectorELNS0_4arch9wavefront6targetE1EEEvT1_ ; -- Begin function _ZN7rocprim17ROCPRIM_400000_NS6detail17trampoline_kernelINS0_14default_configENS1_20scan_config_selectorIfEEZZNS1_9scan_implILNS1_25lookback_scan_determinismE0ELb0ELb0ES3_N6thrust23THRUST_200600_302600_NS6detail15normal_iteratorINS9_10device_ptrIfEEEENS9_16discard_iteratorINS9_11use_defaultEEEf11max_functorIfEfEEDaPvRmT3_T4_T5_mT6_P12ihipStream_tbENKUlT_T0_E_clISt17integral_constantIbLb0EESX_EEDaSS_ST_EUlSS_E_NS1_11comp_targetILNS1_3genE8ELNS1_11target_archE1030ELNS1_3gpuE2ELNS1_3repE0EEENS1_30default_config_static_selectorELNS0_4arch9wavefront6targetE1EEEvT1_
	.globl	_ZN7rocprim17ROCPRIM_400000_NS6detail17trampoline_kernelINS0_14default_configENS1_20scan_config_selectorIfEEZZNS1_9scan_implILNS1_25lookback_scan_determinismE0ELb0ELb0ES3_N6thrust23THRUST_200600_302600_NS6detail15normal_iteratorINS9_10device_ptrIfEEEENS9_16discard_iteratorINS9_11use_defaultEEEf11max_functorIfEfEEDaPvRmT3_T4_T5_mT6_P12ihipStream_tbENKUlT_T0_E_clISt17integral_constantIbLb0EESX_EEDaSS_ST_EUlSS_E_NS1_11comp_targetILNS1_3genE8ELNS1_11target_archE1030ELNS1_3gpuE2ELNS1_3repE0EEENS1_30default_config_static_selectorELNS0_4arch9wavefront6targetE1EEEvT1_
	.p2align	8
	.type	_ZN7rocprim17ROCPRIM_400000_NS6detail17trampoline_kernelINS0_14default_configENS1_20scan_config_selectorIfEEZZNS1_9scan_implILNS1_25lookback_scan_determinismE0ELb0ELb0ES3_N6thrust23THRUST_200600_302600_NS6detail15normal_iteratorINS9_10device_ptrIfEEEENS9_16discard_iteratorINS9_11use_defaultEEEf11max_functorIfEfEEDaPvRmT3_T4_T5_mT6_P12ihipStream_tbENKUlT_T0_E_clISt17integral_constantIbLb0EESX_EEDaSS_ST_EUlSS_E_NS1_11comp_targetILNS1_3genE8ELNS1_11target_archE1030ELNS1_3gpuE2ELNS1_3repE0EEENS1_30default_config_static_selectorELNS0_4arch9wavefront6targetE1EEEvT1_,@function
_ZN7rocprim17ROCPRIM_400000_NS6detail17trampoline_kernelINS0_14default_configENS1_20scan_config_selectorIfEEZZNS1_9scan_implILNS1_25lookback_scan_determinismE0ELb0ELb0ES3_N6thrust23THRUST_200600_302600_NS6detail15normal_iteratorINS9_10device_ptrIfEEEENS9_16discard_iteratorINS9_11use_defaultEEEf11max_functorIfEfEEDaPvRmT3_T4_T5_mT6_P12ihipStream_tbENKUlT_T0_E_clISt17integral_constantIbLb0EESX_EEDaSS_ST_EUlSS_E_NS1_11comp_targetILNS1_3genE8ELNS1_11target_archE1030ELNS1_3gpuE2ELNS1_3repE0EEENS1_30default_config_static_selectorELNS0_4arch9wavefront6targetE1EEEvT1_: ; @_ZN7rocprim17ROCPRIM_400000_NS6detail17trampoline_kernelINS0_14default_configENS1_20scan_config_selectorIfEEZZNS1_9scan_implILNS1_25lookback_scan_determinismE0ELb0ELb0ES3_N6thrust23THRUST_200600_302600_NS6detail15normal_iteratorINS9_10device_ptrIfEEEENS9_16discard_iteratorINS9_11use_defaultEEEf11max_functorIfEfEEDaPvRmT3_T4_T5_mT6_P12ihipStream_tbENKUlT_T0_E_clISt17integral_constantIbLb0EESX_EEDaSS_ST_EUlSS_E_NS1_11comp_targetILNS1_3genE8ELNS1_11target_archE1030ELNS1_3gpuE2ELNS1_3repE0EEENS1_30default_config_static_selectorELNS0_4arch9wavefront6targetE1EEEvT1_
; %bb.0:
	.section	.rodata,"a",@progbits
	.p2align	6, 0x0
	.amdhsa_kernel _ZN7rocprim17ROCPRIM_400000_NS6detail17trampoline_kernelINS0_14default_configENS1_20scan_config_selectorIfEEZZNS1_9scan_implILNS1_25lookback_scan_determinismE0ELb0ELb0ES3_N6thrust23THRUST_200600_302600_NS6detail15normal_iteratorINS9_10device_ptrIfEEEENS9_16discard_iteratorINS9_11use_defaultEEEf11max_functorIfEfEEDaPvRmT3_T4_T5_mT6_P12ihipStream_tbENKUlT_T0_E_clISt17integral_constantIbLb0EESX_EEDaSS_ST_EUlSS_E_NS1_11comp_targetILNS1_3genE8ELNS1_11target_archE1030ELNS1_3gpuE2ELNS1_3repE0EEENS1_30default_config_static_selectorELNS0_4arch9wavefront6targetE1EEEvT1_
		.amdhsa_group_segment_fixed_size 0
		.amdhsa_private_segment_fixed_size 0
		.amdhsa_kernarg_size 104
		.amdhsa_user_sgpr_count 6
		.amdhsa_user_sgpr_private_segment_buffer 1
		.amdhsa_user_sgpr_dispatch_ptr 0
		.amdhsa_user_sgpr_queue_ptr 0
		.amdhsa_user_sgpr_kernarg_segment_ptr 1
		.amdhsa_user_sgpr_dispatch_id 0
		.amdhsa_user_sgpr_flat_scratch_init 0
		.amdhsa_user_sgpr_kernarg_preload_length 0
		.amdhsa_user_sgpr_kernarg_preload_offset 0
		.amdhsa_user_sgpr_private_segment_size 0
		.amdhsa_uses_dynamic_stack 0
		.amdhsa_system_sgpr_private_segment_wavefront_offset 0
		.amdhsa_system_sgpr_workgroup_id_x 1
		.amdhsa_system_sgpr_workgroup_id_y 0
		.amdhsa_system_sgpr_workgroup_id_z 0
		.amdhsa_system_sgpr_workgroup_info 0
		.amdhsa_system_vgpr_workitem_id 0
		.amdhsa_next_free_vgpr 1
		.amdhsa_next_free_sgpr 0
		.amdhsa_accum_offset 4
		.amdhsa_reserve_vcc 0
		.amdhsa_reserve_flat_scratch 0
		.amdhsa_float_round_mode_32 0
		.amdhsa_float_round_mode_16_64 0
		.amdhsa_float_denorm_mode_32 3
		.amdhsa_float_denorm_mode_16_64 3
		.amdhsa_dx10_clamp 1
		.amdhsa_ieee_mode 1
		.amdhsa_fp16_overflow 0
		.amdhsa_tg_split 0
		.amdhsa_exception_fp_ieee_invalid_op 0
		.amdhsa_exception_fp_denorm_src 0
		.amdhsa_exception_fp_ieee_div_zero 0
		.amdhsa_exception_fp_ieee_overflow 0
		.amdhsa_exception_fp_ieee_underflow 0
		.amdhsa_exception_fp_ieee_inexact 0
		.amdhsa_exception_int_div_zero 0
	.end_amdhsa_kernel
	.section	.text._ZN7rocprim17ROCPRIM_400000_NS6detail17trampoline_kernelINS0_14default_configENS1_20scan_config_selectorIfEEZZNS1_9scan_implILNS1_25lookback_scan_determinismE0ELb0ELb0ES3_N6thrust23THRUST_200600_302600_NS6detail15normal_iteratorINS9_10device_ptrIfEEEENS9_16discard_iteratorINS9_11use_defaultEEEf11max_functorIfEfEEDaPvRmT3_T4_T5_mT6_P12ihipStream_tbENKUlT_T0_E_clISt17integral_constantIbLb0EESX_EEDaSS_ST_EUlSS_E_NS1_11comp_targetILNS1_3genE8ELNS1_11target_archE1030ELNS1_3gpuE2ELNS1_3repE0EEENS1_30default_config_static_selectorELNS0_4arch9wavefront6targetE1EEEvT1_,"axG",@progbits,_ZN7rocprim17ROCPRIM_400000_NS6detail17trampoline_kernelINS0_14default_configENS1_20scan_config_selectorIfEEZZNS1_9scan_implILNS1_25lookback_scan_determinismE0ELb0ELb0ES3_N6thrust23THRUST_200600_302600_NS6detail15normal_iteratorINS9_10device_ptrIfEEEENS9_16discard_iteratorINS9_11use_defaultEEEf11max_functorIfEfEEDaPvRmT3_T4_T5_mT6_P12ihipStream_tbENKUlT_T0_E_clISt17integral_constantIbLb0EESX_EEDaSS_ST_EUlSS_E_NS1_11comp_targetILNS1_3genE8ELNS1_11target_archE1030ELNS1_3gpuE2ELNS1_3repE0EEENS1_30default_config_static_selectorELNS0_4arch9wavefront6targetE1EEEvT1_,comdat
.Lfunc_end3142:
	.size	_ZN7rocprim17ROCPRIM_400000_NS6detail17trampoline_kernelINS0_14default_configENS1_20scan_config_selectorIfEEZZNS1_9scan_implILNS1_25lookback_scan_determinismE0ELb0ELb0ES3_N6thrust23THRUST_200600_302600_NS6detail15normal_iteratorINS9_10device_ptrIfEEEENS9_16discard_iteratorINS9_11use_defaultEEEf11max_functorIfEfEEDaPvRmT3_T4_T5_mT6_P12ihipStream_tbENKUlT_T0_E_clISt17integral_constantIbLb0EESX_EEDaSS_ST_EUlSS_E_NS1_11comp_targetILNS1_3genE8ELNS1_11target_archE1030ELNS1_3gpuE2ELNS1_3repE0EEENS1_30default_config_static_selectorELNS0_4arch9wavefront6targetE1EEEvT1_, .Lfunc_end3142-_ZN7rocprim17ROCPRIM_400000_NS6detail17trampoline_kernelINS0_14default_configENS1_20scan_config_selectorIfEEZZNS1_9scan_implILNS1_25lookback_scan_determinismE0ELb0ELb0ES3_N6thrust23THRUST_200600_302600_NS6detail15normal_iteratorINS9_10device_ptrIfEEEENS9_16discard_iteratorINS9_11use_defaultEEEf11max_functorIfEfEEDaPvRmT3_T4_T5_mT6_P12ihipStream_tbENKUlT_T0_E_clISt17integral_constantIbLb0EESX_EEDaSS_ST_EUlSS_E_NS1_11comp_targetILNS1_3genE8ELNS1_11target_archE1030ELNS1_3gpuE2ELNS1_3repE0EEENS1_30default_config_static_selectorELNS0_4arch9wavefront6targetE1EEEvT1_
                                        ; -- End function
	.section	.AMDGPU.csdata,"",@progbits
; Kernel info:
; codeLenInByte = 0
; NumSgprs: 4
; NumVgprs: 0
; NumAgprs: 0
; TotalNumVgprs: 0
; ScratchSize: 0
; MemoryBound: 0
; FloatMode: 240
; IeeeMode: 1
; LDSByteSize: 0 bytes/workgroup (compile time only)
; SGPRBlocks: 0
; VGPRBlocks: 0
; NumSGPRsForWavesPerEU: 4
; NumVGPRsForWavesPerEU: 1
; AccumOffset: 4
; Occupancy: 8
; WaveLimiterHint : 0
; COMPUTE_PGM_RSRC2:SCRATCH_EN: 0
; COMPUTE_PGM_RSRC2:USER_SGPR: 6
; COMPUTE_PGM_RSRC2:TRAP_HANDLER: 0
; COMPUTE_PGM_RSRC2:TGID_X_EN: 1
; COMPUTE_PGM_RSRC2:TGID_Y_EN: 0
; COMPUTE_PGM_RSRC2:TGID_Z_EN: 0
; COMPUTE_PGM_RSRC2:TIDIG_COMP_CNT: 0
; COMPUTE_PGM_RSRC3_GFX90A:ACCUM_OFFSET: 0
; COMPUTE_PGM_RSRC3_GFX90A:TG_SPLIT: 0
	.section	.text._ZN7rocprim17ROCPRIM_400000_NS6detail17trampoline_kernelINS0_14default_configENS1_20scan_config_selectorIfEEZZNS1_9scan_implILNS1_25lookback_scan_determinismE0ELb0ELb0ES3_N6thrust23THRUST_200600_302600_NS6detail15normal_iteratorINS9_10device_ptrIfEEEENS9_16discard_iteratorINS9_11use_defaultEEEf11max_functorIfEfEEDaPvRmT3_T4_T5_mT6_P12ihipStream_tbENKUlT_T0_E_clISt17integral_constantIbLb0EESX_EEDaSS_ST_EUlSS_E0_NS1_11comp_targetILNS1_3genE0ELNS1_11target_archE4294967295ELNS1_3gpuE0ELNS1_3repE0EEENS1_30default_config_static_selectorELNS0_4arch9wavefront6targetE1EEEvT1_,"axG",@progbits,_ZN7rocprim17ROCPRIM_400000_NS6detail17trampoline_kernelINS0_14default_configENS1_20scan_config_selectorIfEEZZNS1_9scan_implILNS1_25lookback_scan_determinismE0ELb0ELb0ES3_N6thrust23THRUST_200600_302600_NS6detail15normal_iteratorINS9_10device_ptrIfEEEENS9_16discard_iteratorINS9_11use_defaultEEEf11max_functorIfEfEEDaPvRmT3_T4_T5_mT6_P12ihipStream_tbENKUlT_T0_E_clISt17integral_constantIbLb0EESX_EEDaSS_ST_EUlSS_E0_NS1_11comp_targetILNS1_3genE0ELNS1_11target_archE4294967295ELNS1_3gpuE0ELNS1_3repE0EEENS1_30default_config_static_selectorELNS0_4arch9wavefront6targetE1EEEvT1_,comdat
	.protected	_ZN7rocprim17ROCPRIM_400000_NS6detail17trampoline_kernelINS0_14default_configENS1_20scan_config_selectorIfEEZZNS1_9scan_implILNS1_25lookback_scan_determinismE0ELb0ELb0ES3_N6thrust23THRUST_200600_302600_NS6detail15normal_iteratorINS9_10device_ptrIfEEEENS9_16discard_iteratorINS9_11use_defaultEEEf11max_functorIfEfEEDaPvRmT3_T4_T5_mT6_P12ihipStream_tbENKUlT_T0_E_clISt17integral_constantIbLb0EESX_EEDaSS_ST_EUlSS_E0_NS1_11comp_targetILNS1_3genE0ELNS1_11target_archE4294967295ELNS1_3gpuE0ELNS1_3repE0EEENS1_30default_config_static_selectorELNS0_4arch9wavefront6targetE1EEEvT1_ ; -- Begin function _ZN7rocprim17ROCPRIM_400000_NS6detail17trampoline_kernelINS0_14default_configENS1_20scan_config_selectorIfEEZZNS1_9scan_implILNS1_25lookback_scan_determinismE0ELb0ELb0ES3_N6thrust23THRUST_200600_302600_NS6detail15normal_iteratorINS9_10device_ptrIfEEEENS9_16discard_iteratorINS9_11use_defaultEEEf11max_functorIfEfEEDaPvRmT3_T4_T5_mT6_P12ihipStream_tbENKUlT_T0_E_clISt17integral_constantIbLb0EESX_EEDaSS_ST_EUlSS_E0_NS1_11comp_targetILNS1_3genE0ELNS1_11target_archE4294967295ELNS1_3gpuE0ELNS1_3repE0EEENS1_30default_config_static_selectorELNS0_4arch9wavefront6targetE1EEEvT1_
	.globl	_ZN7rocprim17ROCPRIM_400000_NS6detail17trampoline_kernelINS0_14default_configENS1_20scan_config_selectorIfEEZZNS1_9scan_implILNS1_25lookback_scan_determinismE0ELb0ELb0ES3_N6thrust23THRUST_200600_302600_NS6detail15normal_iteratorINS9_10device_ptrIfEEEENS9_16discard_iteratorINS9_11use_defaultEEEf11max_functorIfEfEEDaPvRmT3_T4_T5_mT6_P12ihipStream_tbENKUlT_T0_E_clISt17integral_constantIbLb0EESX_EEDaSS_ST_EUlSS_E0_NS1_11comp_targetILNS1_3genE0ELNS1_11target_archE4294967295ELNS1_3gpuE0ELNS1_3repE0EEENS1_30default_config_static_selectorELNS0_4arch9wavefront6targetE1EEEvT1_
	.p2align	8
	.type	_ZN7rocprim17ROCPRIM_400000_NS6detail17trampoline_kernelINS0_14default_configENS1_20scan_config_selectorIfEEZZNS1_9scan_implILNS1_25lookback_scan_determinismE0ELb0ELb0ES3_N6thrust23THRUST_200600_302600_NS6detail15normal_iteratorINS9_10device_ptrIfEEEENS9_16discard_iteratorINS9_11use_defaultEEEf11max_functorIfEfEEDaPvRmT3_T4_T5_mT6_P12ihipStream_tbENKUlT_T0_E_clISt17integral_constantIbLb0EESX_EEDaSS_ST_EUlSS_E0_NS1_11comp_targetILNS1_3genE0ELNS1_11target_archE4294967295ELNS1_3gpuE0ELNS1_3repE0EEENS1_30default_config_static_selectorELNS0_4arch9wavefront6targetE1EEEvT1_,@function
_ZN7rocprim17ROCPRIM_400000_NS6detail17trampoline_kernelINS0_14default_configENS1_20scan_config_selectorIfEEZZNS1_9scan_implILNS1_25lookback_scan_determinismE0ELb0ELb0ES3_N6thrust23THRUST_200600_302600_NS6detail15normal_iteratorINS9_10device_ptrIfEEEENS9_16discard_iteratorINS9_11use_defaultEEEf11max_functorIfEfEEDaPvRmT3_T4_T5_mT6_P12ihipStream_tbENKUlT_T0_E_clISt17integral_constantIbLb0EESX_EEDaSS_ST_EUlSS_E0_NS1_11comp_targetILNS1_3genE0ELNS1_11target_archE4294967295ELNS1_3gpuE0ELNS1_3repE0EEENS1_30default_config_static_selectorELNS0_4arch9wavefront6targetE1EEEvT1_: ; @_ZN7rocprim17ROCPRIM_400000_NS6detail17trampoline_kernelINS0_14default_configENS1_20scan_config_selectorIfEEZZNS1_9scan_implILNS1_25lookback_scan_determinismE0ELb0ELb0ES3_N6thrust23THRUST_200600_302600_NS6detail15normal_iteratorINS9_10device_ptrIfEEEENS9_16discard_iteratorINS9_11use_defaultEEEf11max_functorIfEfEEDaPvRmT3_T4_T5_mT6_P12ihipStream_tbENKUlT_T0_E_clISt17integral_constantIbLb0EESX_EEDaSS_ST_EUlSS_E0_NS1_11comp_targetILNS1_3genE0ELNS1_11target_archE4294967295ELNS1_3gpuE0ELNS1_3repE0EEENS1_30default_config_static_selectorELNS0_4arch9wavefront6targetE1EEEvT1_
; %bb.0:
	.section	.rodata,"a",@progbits
	.p2align	6, 0x0
	.amdhsa_kernel _ZN7rocprim17ROCPRIM_400000_NS6detail17trampoline_kernelINS0_14default_configENS1_20scan_config_selectorIfEEZZNS1_9scan_implILNS1_25lookback_scan_determinismE0ELb0ELb0ES3_N6thrust23THRUST_200600_302600_NS6detail15normal_iteratorINS9_10device_ptrIfEEEENS9_16discard_iteratorINS9_11use_defaultEEEf11max_functorIfEfEEDaPvRmT3_T4_T5_mT6_P12ihipStream_tbENKUlT_T0_E_clISt17integral_constantIbLb0EESX_EEDaSS_ST_EUlSS_E0_NS1_11comp_targetILNS1_3genE0ELNS1_11target_archE4294967295ELNS1_3gpuE0ELNS1_3repE0EEENS1_30default_config_static_selectorELNS0_4arch9wavefront6targetE1EEEvT1_
		.amdhsa_group_segment_fixed_size 0
		.amdhsa_private_segment_fixed_size 0
		.amdhsa_kernarg_size 40
		.amdhsa_user_sgpr_count 6
		.amdhsa_user_sgpr_private_segment_buffer 1
		.amdhsa_user_sgpr_dispatch_ptr 0
		.amdhsa_user_sgpr_queue_ptr 0
		.amdhsa_user_sgpr_kernarg_segment_ptr 1
		.amdhsa_user_sgpr_dispatch_id 0
		.amdhsa_user_sgpr_flat_scratch_init 0
		.amdhsa_user_sgpr_kernarg_preload_length 0
		.amdhsa_user_sgpr_kernarg_preload_offset 0
		.amdhsa_user_sgpr_private_segment_size 0
		.amdhsa_uses_dynamic_stack 0
		.amdhsa_system_sgpr_private_segment_wavefront_offset 0
		.amdhsa_system_sgpr_workgroup_id_x 1
		.amdhsa_system_sgpr_workgroup_id_y 0
		.amdhsa_system_sgpr_workgroup_id_z 0
		.amdhsa_system_sgpr_workgroup_info 0
		.amdhsa_system_vgpr_workitem_id 0
		.amdhsa_next_free_vgpr 1
		.amdhsa_next_free_sgpr 0
		.amdhsa_accum_offset 4
		.amdhsa_reserve_vcc 0
		.amdhsa_reserve_flat_scratch 0
		.amdhsa_float_round_mode_32 0
		.amdhsa_float_round_mode_16_64 0
		.amdhsa_float_denorm_mode_32 3
		.amdhsa_float_denorm_mode_16_64 3
		.amdhsa_dx10_clamp 1
		.amdhsa_ieee_mode 1
		.amdhsa_fp16_overflow 0
		.amdhsa_tg_split 0
		.amdhsa_exception_fp_ieee_invalid_op 0
		.amdhsa_exception_fp_denorm_src 0
		.amdhsa_exception_fp_ieee_div_zero 0
		.amdhsa_exception_fp_ieee_overflow 0
		.amdhsa_exception_fp_ieee_underflow 0
		.amdhsa_exception_fp_ieee_inexact 0
		.amdhsa_exception_int_div_zero 0
	.end_amdhsa_kernel
	.section	.text._ZN7rocprim17ROCPRIM_400000_NS6detail17trampoline_kernelINS0_14default_configENS1_20scan_config_selectorIfEEZZNS1_9scan_implILNS1_25lookback_scan_determinismE0ELb0ELb0ES3_N6thrust23THRUST_200600_302600_NS6detail15normal_iteratorINS9_10device_ptrIfEEEENS9_16discard_iteratorINS9_11use_defaultEEEf11max_functorIfEfEEDaPvRmT3_T4_T5_mT6_P12ihipStream_tbENKUlT_T0_E_clISt17integral_constantIbLb0EESX_EEDaSS_ST_EUlSS_E0_NS1_11comp_targetILNS1_3genE0ELNS1_11target_archE4294967295ELNS1_3gpuE0ELNS1_3repE0EEENS1_30default_config_static_selectorELNS0_4arch9wavefront6targetE1EEEvT1_,"axG",@progbits,_ZN7rocprim17ROCPRIM_400000_NS6detail17trampoline_kernelINS0_14default_configENS1_20scan_config_selectorIfEEZZNS1_9scan_implILNS1_25lookback_scan_determinismE0ELb0ELb0ES3_N6thrust23THRUST_200600_302600_NS6detail15normal_iteratorINS9_10device_ptrIfEEEENS9_16discard_iteratorINS9_11use_defaultEEEf11max_functorIfEfEEDaPvRmT3_T4_T5_mT6_P12ihipStream_tbENKUlT_T0_E_clISt17integral_constantIbLb0EESX_EEDaSS_ST_EUlSS_E0_NS1_11comp_targetILNS1_3genE0ELNS1_11target_archE4294967295ELNS1_3gpuE0ELNS1_3repE0EEENS1_30default_config_static_selectorELNS0_4arch9wavefront6targetE1EEEvT1_,comdat
.Lfunc_end3143:
	.size	_ZN7rocprim17ROCPRIM_400000_NS6detail17trampoline_kernelINS0_14default_configENS1_20scan_config_selectorIfEEZZNS1_9scan_implILNS1_25lookback_scan_determinismE0ELb0ELb0ES3_N6thrust23THRUST_200600_302600_NS6detail15normal_iteratorINS9_10device_ptrIfEEEENS9_16discard_iteratorINS9_11use_defaultEEEf11max_functorIfEfEEDaPvRmT3_T4_T5_mT6_P12ihipStream_tbENKUlT_T0_E_clISt17integral_constantIbLb0EESX_EEDaSS_ST_EUlSS_E0_NS1_11comp_targetILNS1_3genE0ELNS1_11target_archE4294967295ELNS1_3gpuE0ELNS1_3repE0EEENS1_30default_config_static_selectorELNS0_4arch9wavefront6targetE1EEEvT1_, .Lfunc_end3143-_ZN7rocprim17ROCPRIM_400000_NS6detail17trampoline_kernelINS0_14default_configENS1_20scan_config_selectorIfEEZZNS1_9scan_implILNS1_25lookback_scan_determinismE0ELb0ELb0ES3_N6thrust23THRUST_200600_302600_NS6detail15normal_iteratorINS9_10device_ptrIfEEEENS9_16discard_iteratorINS9_11use_defaultEEEf11max_functorIfEfEEDaPvRmT3_T4_T5_mT6_P12ihipStream_tbENKUlT_T0_E_clISt17integral_constantIbLb0EESX_EEDaSS_ST_EUlSS_E0_NS1_11comp_targetILNS1_3genE0ELNS1_11target_archE4294967295ELNS1_3gpuE0ELNS1_3repE0EEENS1_30default_config_static_selectorELNS0_4arch9wavefront6targetE1EEEvT1_
                                        ; -- End function
	.section	.AMDGPU.csdata,"",@progbits
; Kernel info:
; codeLenInByte = 0
; NumSgprs: 4
; NumVgprs: 0
; NumAgprs: 0
; TotalNumVgprs: 0
; ScratchSize: 0
; MemoryBound: 0
; FloatMode: 240
; IeeeMode: 1
; LDSByteSize: 0 bytes/workgroup (compile time only)
; SGPRBlocks: 0
; VGPRBlocks: 0
; NumSGPRsForWavesPerEU: 4
; NumVGPRsForWavesPerEU: 1
; AccumOffset: 4
; Occupancy: 8
; WaveLimiterHint : 0
; COMPUTE_PGM_RSRC2:SCRATCH_EN: 0
; COMPUTE_PGM_RSRC2:USER_SGPR: 6
; COMPUTE_PGM_RSRC2:TRAP_HANDLER: 0
; COMPUTE_PGM_RSRC2:TGID_X_EN: 1
; COMPUTE_PGM_RSRC2:TGID_Y_EN: 0
; COMPUTE_PGM_RSRC2:TGID_Z_EN: 0
; COMPUTE_PGM_RSRC2:TIDIG_COMP_CNT: 0
; COMPUTE_PGM_RSRC3_GFX90A:ACCUM_OFFSET: 0
; COMPUTE_PGM_RSRC3_GFX90A:TG_SPLIT: 0
	.section	.text._ZN7rocprim17ROCPRIM_400000_NS6detail17trampoline_kernelINS0_14default_configENS1_20scan_config_selectorIfEEZZNS1_9scan_implILNS1_25lookback_scan_determinismE0ELb0ELb0ES3_N6thrust23THRUST_200600_302600_NS6detail15normal_iteratorINS9_10device_ptrIfEEEENS9_16discard_iteratorINS9_11use_defaultEEEf11max_functorIfEfEEDaPvRmT3_T4_T5_mT6_P12ihipStream_tbENKUlT_T0_E_clISt17integral_constantIbLb0EESX_EEDaSS_ST_EUlSS_E0_NS1_11comp_targetILNS1_3genE5ELNS1_11target_archE942ELNS1_3gpuE9ELNS1_3repE0EEENS1_30default_config_static_selectorELNS0_4arch9wavefront6targetE1EEEvT1_,"axG",@progbits,_ZN7rocprim17ROCPRIM_400000_NS6detail17trampoline_kernelINS0_14default_configENS1_20scan_config_selectorIfEEZZNS1_9scan_implILNS1_25lookback_scan_determinismE0ELb0ELb0ES3_N6thrust23THRUST_200600_302600_NS6detail15normal_iteratorINS9_10device_ptrIfEEEENS9_16discard_iteratorINS9_11use_defaultEEEf11max_functorIfEfEEDaPvRmT3_T4_T5_mT6_P12ihipStream_tbENKUlT_T0_E_clISt17integral_constantIbLb0EESX_EEDaSS_ST_EUlSS_E0_NS1_11comp_targetILNS1_3genE5ELNS1_11target_archE942ELNS1_3gpuE9ELNS1_3repE0EEENS1_30default_config_static_selectorELNS0_4arch9wavefront6targetE1EEEvT1_,comdat
	.protected	_ZN7rocprim17ROCPRIM_400000_NS6detail17trampoline_kernelINS0_14default_configENS1_20scan_config_selectorIfEEZZNS1_9scan_implILNS1_25lookback_scan_determinismE0ELb0ELb0ES3_N6thrust23THRUST_200600_302600_NS6detail15normal_iteratorINS9_10device_ptrIfEEEENS9_16discard_iteratorINS9_11use_defaultEEEf11max_functorIfEfEEDaPvRmT3_T4_T5_mT6_P12ihipStream_tbENKUlT_T0_E_clISt17integral_constantIbLb0EESX_EEDaSS_ST_EUlSS_E0_NS1_11comp_targetILNS1_3genE5ELNS1_11target_archE942ELNS1_3gpuE9ELNS1_3repE0EEENS1_30default_config_static_selectorELNS0_4arch9wavefront6targetE1EEEvT1_ ; -- Begin function _ZN7rocprim17ROCPRIM_400000_NS6detail17trampoline_kernelINS0_14default_configENS1_20scan_config_selectorIfEEZZNS1_9scan_implILNS1_25lookback_scan_determinismE0ELb0ELb0ES3_N6thrust23THRUST_200600_302600_NS6detail15normal_iteratorINS9_10device_ptrIfEEEENS9_16discard_iteratorINS9_11use_defaultEEEf11max_functorIfEfEEDaPvRmT3_T4_T5_mT6_P12ihipStream_tbENKUlT_T0_E_clISt17integral_constantIbLb0EESX_EEDaSS_ST_EUlSS_E0_NS1_11comp_targetILNS1_3genE5ELNS1_11target_archE942ELNS1_3gpuE9ELNS1_3repE0EEENS1_30default_config_static_selectorELNS0_4arch9wavefront6targetE1EEEvT1_
	.globl	_ZN7rocprim17ROCPRIM_400000_NS6detail17trampoline_kernelINS0_14default_configENS1_20scan_config_selectorIfEEZZNS1_9scan_implILNS1_25lookback_scan_determinismE0ELb0ELb0ES3_N6thrust23THRUST_200600_302600_NS6detail15normal_iteratorINS9_10device_ptrIfEEEENS9_16discard_iteratorINS9_11use_defaultEEEf11max_functorIfEfEEDaPvRmT3_T4_T5_mT6_P12ihipStream_tbENKUlT_T0_E_clISt17integral_constantIbLb0EESX_EEDaSS_ST_EUlSS_E0_NS1_11comp_targetILNS1_3genE5ELNS1_11target_archE942ELNS1_3gpuE9ELNS1_3repE0EEENS1_30default_config_static_selectorELNS0_4arch9wavefront6targetE1EEEvT1_
	.p2align	8
	.type	_ZN7rocprim17ROCPRIM_400000_NS6detail17trampoline_kernelINS0_14default_configENS1_20scan_config_selectorIfEEZZNS1_9scan_implILNS1_25lookback_scan_determinismE0ELb0ELb0ES3_N6thrust23THRUST_200600_302600_NS6detail15normal_iteratorINS9_10device_ptrIfEEEENS9_16discard_iteratorINS9_11use_defaultEEEf11max_functorIfEfEEDaPvRmT3_T4_T5_mT6_P12ihipStream_tbENKUlT_T0_E_clISt17integral_constantIbLb0EESX_EEDaSS_ST_EUlSS_E0_NS1_11comp_targetILNS1_3genE5ELNS1_11target_archE942ELNS1_3gpuE9ELNS1_3repE0EEENS1_30default_config_static_selectorELNS0_4arch9wavefront6targetE1EEEvT1_,@function
_ZN7rocprim17ROCPRIM_400000_NS6detail17trampoline_kernelINS0_14default_configENS1_20scan_config_selectorIfEEZZNS1_9scan_implILNS1_25lookback_scan_determinismE0ELb0ELb0ES3_N6thrust23THRUST_200600_302600_NS6detail15normal_iteratorINS9_10device_ptrIfEEEENS9_16discard_iteratorINS9_11use_defaultEEEf11max_functorIfEfEEDaPvRmT3_T4_T5_mT6_P12ihipStream_tbENKUlT_T0_E_clISt17integral_constantIbLb0EESX_EEDaSS_ST_EUlSS_E0_NS1_11comp_targetILNS1_3genE5ELNS1_11target_archE942ELNS1_3gpuE9ELNS1_3repE0EEENS1_30default_config_static_selectorELNS0_4arch9wavefront6targetE1EEEvT1_: ; @_ZN7rocprim17ROCPRIM_400000_NS6detail17trampoline_kernelINS0_14default_configENS1_20scan_config_selectorIfEEZZNS1_9scan_implILNS1_25lookback_scan_determinismE0ELb0ELb0ES3_N6thrust23THRUST_200600_302600_NS6detail15normal_iteratorINS9_10device_ptrIfEEEENS9_16discard_iteratorINS9_11use_defaultEEEf11max_functorIfEfEEDaPvRmT3_T4_T5_mT6_P12ihipStream_tbENKUlT_T0_E_clISt17integral_constantIbLb0EESX_EEDaSS_ST_EUlSS_E0_NS1_11comp_targetILNS1_3genE5ELNS1_11target_archE942ELNS1_3gpuE9ELNS1_3repE0EEENS1_30default_config_static_selectorELNS0_4arch9wavefront6targetE1EEEvT1_
; %bb.0:
	.section	.rodata,"a",@progbits
	.p2align	6, 0x0
	.amdhsa_kernel _ZN7rocprim17ROCPRIM_400000_NS6detail17trampoline_kernelINS0_14default_configENS1_20scan_config_selectorIfEEZZNS1_9scan_implILNS1_25lookback_scan_determinismE0ELb0ELb0ES3_N6thrust23THRUST_200600_302600_NS6detail15normal_iteratorINS9_10device_ptrIfEEEENS9_16discard_iteratorINS9_11use_defaultEEEf11max_functorIfEfEEDaPvRmT3_T4_T5_mT6_P12ihipStream_tbENKUlT_T0_E_clISt17integral_constantIbLb0EESX_EEDaSS_ST_EUlSS_E0_NS1_11comp_targetILNS1_3genE5ELNS1_11target_archE942ELNS1_3gpuE9ELNS1_3repE0EEENS1_30default_config_static_selectorELNS0_4arch9wavefront6targetE1EEEvT1_
		.amdhsa_group_segment_fixed_size 0
		.amdhsa_private_segment_fixed_size 0
		.amdhsa_kernarg_size 40
		.amdhsa_user_sgpr_count 6
		.amdhsa_user_sgpr_private_segment_buffer 1
		.amdhsa_user_sgpr_dispatch_ptr 0
		.amdhsa_user_sgpr_queue_ptr 0
		.amdhsa_user_sgpr_kernarg_segment_ptr 1
		.amdhsa_user_sgpr_dispatch_id 0
		.amdhsa_user_sgpr_flat_scratch_init 0
		.amdhsa_user_sgpr_kernarg_preload_length 0
		.amdhsa_user_sgpr_kernarg_preload_offset 0
		.amdhsa_user_sgpr_private_segment_size 0
		.amdhsa_uses_dynamic_stack 0
		.amdhsa_system_sgpr_private_segment_wavefront_offset 0
		.amdhsa_system_sgpr_workgroup_id_x 1
		.amdhsa_system_sgpr_workgroup_id_y 0
		.amdhsa_system_sgpr_workgroup_id_z 0
		.amdhsa_system_sgpr_workgroup_info 0
		.amdhsa_system_vgpr_workitem_id 0
		.amdhsa_next_free_vgpr 1
		.amdhsa_next_free_sgpr 0
		.amdhsa_accum_offset 4
		.amdhsa_reserve_vcc 0
		.amdhsa_reserve_flat_scratch 0
		.amdhsa_float_round_mode_32 0
		.amdhsa_float_round_mode_16_64 0
		.amdhsa_float_denorm_mode_32 3
		.amdhsa_float_denorm_mode_16_64 3
		.amdhsa_dx10_clamp 1
		.amdhsa_ieee_mode 1
		.amdhsa_fp16_overflow 0
		.amdhsa_tg_split 0
		.amdhsa_exception_fp_ieee_invalid_op 0
		.amdhsa_exception_fp_denorm_src 0
		.amdhsa_exception_fp_ieee_div_zero 0
		.amdhsa_exception_fp_ieee_overflow 0
		.amdhsa_exception_fp_ieee_underflow 0
		.amdhsa_exception_fp_ieee_inexact 0
		.amdhsa_exception_int_div_zero 0
	.end_amdhsa_kernel
	.section	.text._ZN7rocprim17ROCPRIM_400000_NS6detail17trampoline_kernelINS0_14default_configENS1_20scan_config_selectorIfEEZZNS1_9scan_implILNS1_25lookback_scan_determinismE0ELb0ELb0ES3_N6thrust23THRUST_200600_302600_NS6detail15normal_iteratorINS9_10device_ptrIfEEEENS9_16discard_iteratorINS9_11use_defaultEEEf11max_functorIfEfEEDaPvRmT3_T4_T5_mT6_P12ihipStream_tbENKUlT_T0_E_clISt17integral_constantIbLb0EESX_EEDaSS_ST_EUlSS_E0_NS1_11comp_targetILNS1_3genE5ELNS1_11target_archE942ELNS1_3gpuE9ELNS1_3repE0EEENS1_30default_config_static_selectorELNS0_4arch9wavefront6targetE1EEEvT1_,"axG",@progbits,_ZN7rocprim17ROCPRIM_400000_NS6detail17trampoline_kernelINS0_14default_configENS1_20scan_config_selectorIfEEZZNS1_9scan_implILNS1_25lookback_scan_determinismE0ELb0ELb0ES3_N6thrust23THRUST_200600_302600_NS6detail15normal_iteratorINS9_10device_ptrIfEEEENS9_16discard_iteratorINS9_11use_defaultEEEf11max_functorIfEfEEDaPvRmT3_T4_T5_mT6_P12ihipStream_tbENKUlT_T0_E_clISt17integral_constantIbLb0EESX_EEDaSS_ST_EUlSS_E0_NS1_11comp_targetILNS1_3genE5ELNS1_11target_archE942ELNS1_3gpuE9ELNS1_3repE0EEENS1_30default_config_static_selectorELNS0_4arch9wavefront6targetE1EEEvT1_,comdat
.Lfunc_end3144:
	.size	_ZN7rocprim17ROCPRIM_400000_NS6detail17trampoline_kernelINS0_14default_configENS1_20scan_config_selectorIfEEZZNS1_9scan_implILNS1_25lookback_scan_determinismE0ELb0ELb0ES3_N6thrust23THRUST_200600_302600_NS6detail15normal_iteratorINS9_10device_ptrIfEEEENS9_16discard_iteratorINS9_11use_defaultEEEf11max_functorIfEfEEDaPvRmT3_T4_T5_mT6_P12ihipStream_tbENKUlT_T0_E_clISt17integral_constantIbLb0EESX_EEDaSS_ST_EUlSS_E0_NS1_11comp_targetILNS1_3genE5ELNS1_11target_archE942ELNS1_3gpuE9ELNS1_3repE0EEENS1_30default_config_static_selectorELNS0_4arch9wavefront6targetE1EEEvT1_, .Lfunc_end3144-_ZN7rocprim17ROCPRIM_400000_NS6detail17trampoline_kernelINS0_14default_configENS1_20scan_config_selectorIfEEZZNS1_9scan_implILNS1_25lookback_scan_determinismE0ELb0ELb0ES3_N6thrust23THRUST_200600_302600_NS6detail15normal_iteratorINS9_10device_ptrIfEEEENS9_16discard_iteratorINS9_11use_defaultEEEf11max_functorIfEfEEDaPvRmT3_T4_T5_mT6_P12ihipStream_tbENKUlT_T0_E_clISt17integral_constantIbLb0EESX_EEDaSS_ST_EUlSS_E0_NS1_11comp_targetILNS1_3genE5ELNS1_11target_archE942ELNS1_3gpuE9ELNS1_3repE0EEENS1_30default_config_static_selectorELNS0_4arch9wavefront6targetE1EEEvT1_
                                        ; -- End function
	.section	.AMDGPU.csdata,"",@progbits
; Kernel info:
; codeLenInByte = 0
; NumSgprs: 4
; NumVgprs: 0
; NumAgprs: 0
; TotalNumVgprs: 0
; ScratchSize: 0
; MemoryBound: 0
; FloatMode: 240
; IeeeMode: 1
; LDSByteSize: 0 bytes/workgroup (compile time only)
; SGPRBlocks: 0
; VGPRBlocks: 0
; NumSGPRsForWavesPerEU: 4
; NumVGPRsForWavesPerEU: 1
; AccumOffset: 4
; Occupancy: 8
; WaveLimiterHint : 0
; COMPUTE_PGM_RSRC2:SCRATCH_EN: 0
; COMPUTE_PGM_RSRC2:USER_SGPR: 6
; COMPUTE_PGM_RSRC2:TRAP_HANDLER: 0
; COMPUTE_PGM_RSRC2:TGID_X_EN: 1
; COMPUTE_PGM_RSRC2:TGID_Y_EN: 0
; COMPUTE_PGM_RSRC2:TGID_Z_EN: 0
; COMPUTE_PGM_RSRC2:TIDIG_COMP_CNT: 0
; COMPUTE_PGM_RSRC3_GFX90A:ACCUM_OFFSET: 0
; COMPUTE_PGM_RSRC3_GFX90A:TG_SPLIT: 0
	.section	.text._ZN7rocprim17ROCPRIM_400000_NS6detail17trampoline_kernelINS0_14default_configENS1_20scan_config_selectorIfEEZZNS1_9scan_implILNS1_25lookback_scan_determinismE0ELb0ELb0ES3_N6thrust23THRUST_200600_302600_NS6detail15normal_iteratorINS9_10device_ptrIfEEEENS9_16discard_iteratorINS9_11use_defaultEEEf11max_functorIfEfEEDaPvRmT3_T4_T5_mT6_P12ihipStream_tbENKUlT_T0_E_clISt17integral_constantIbLb0EESX_EEDaSS_ST_EUlSS_E0_NS1_11comp_targetILNS1_3genE4ELNS1_11target_archE910ELNS1_3gpuE8ELNS1_3repE0EEENS1_30default_config_static_selectorELNS0_4arch9wavefront6targetE1EEEvT1_,"axG",@progbits,_ZN7rocprim17ROCPRIM_400000_NS6detail17trampoline_kernelINS0_14default_configENS1_20scan_config_selectorIfEEZZNS1_9scan_implILNS1_25lookback_scan_determinismE0ELb0ELb0ES3_N6thrust23THRUST_200600_302600_NS6detail15normal_iteratorINS9_10device_ptrIfEEEENS9_16discard_iteratorINS9_11use_defaultEEEf11max_functorIfEfEEDaPvRmT3_T4_T5_mT6_P12ihipStream_tbENKUlT_T0_E_clISt17integral_constantIbLb0EESX_EEDaSS_ST_EUlSS_E0_NS1_11comp_targetILNS1_3genE4ELNS1_11target_archE910ELNS1_3gpuE8ELNS1_3repE0EEENS1_30default_config_static_selectorELNS0_4arch9wavefront6targetE1EEEvT1_,comdat
	.protected	_ZN7rocprim17ROCPRIM_400000_NS6detail17trampoline_kernelINS0_14default_configENS1_20scan_config_selectorIfEEZZNS1_9scan_implILNS1_25lookback_scan_determinismE0ELb0ELb0ES3_N6thrust23THRUST_200600_302600_NS6detail15normal_iteratorINS9_10device_ptrIfEEEENS9_16discard_iteratorINS9_11use_defaultEEEf11max_functorIfEfEEDaPvRmT3_T4_T5_mT6_P12ihipStream_tbENKUlT_T0_E_clISt17integral_constantIbLb0EESX_EEDaSS_ST_EUlSS_E0_NS1_11comp_targetILNS1_3genE4ELNS1_11target_archE910ELNS1_3gpuE8ELNS1_3repE0EEENS1_30default_config_static_selectorELNS0_4arch9wavefront6targetE1EEEvT1_ ; -- Begin function _ZN7rocprim17ROCPRIM_400000_NS6detail17trampoline_kernelINS0_14default_configENS1_20scan_config_selectorIfEEZZNS1_9scan_implILNS1_25lookback_scan_determinismE0ELb0ELb0ES3_N6thrust23THRUST_200600_302600_NS6detail15normal_iteratorINS9_10device_ptrIfEEEENS9_16discard_iteratorINS9_11use_defaultEEEf11max_functorIfEfEEDaPvRmT3_T4_T5_mT6_P12ihipStream_tbENKUlT_T0_E_clISt17integral_constantIbLb0EESX_EEDaSS_ST_EUlSS_E0_NS1_11comp_targetILNS1_3genE4ELNS1_11target_archE910ELNS1_3gpuE8ELNS1_3repE0EEENS1_30default_config_static_selectorELNS0_4arch9wavefront6targetE1EEEvT1_
	.globl	_ZN7rocprim17ROCPRIM_400000_NS6detail17trampoline_kernelINS0_14default_configENS1_20scan_config_selectorIfEEZZNS1_9scan_implILNS1_25lookback_scan_determinismE0ELb0ELb0ES3_N6thrust23THRUST_200600_302600_NS6detail15normal_iteratorINS9_10device_ptrIfEEEENS9_16discard_iteratorINS9_11use_defaultEEEf11max_functorIfEfEEDaPvRmT3_T4_T5_mT6_P12ihipStream_tbENKUlT_T0_E_clISt17integral_constantIbLb0EESX_EEDaSS_ST_EUlSS_E0_NS1_11comp_targetILNS1_3genE4ELNS1_11target_archE910ELNS1_3gpuE8ELNS1_3repE0EEENS1_30default_config_static_selectorELNS0_4arch9wavefront6targetE1EEEvT1_
	.p2align	8
	.type	_ZN7rocprim17ROCPRIM_400000_NS6detail17trampoline_kernelINS0_14default_configENS1_20scan_config_selectorIfEEZZNS1_9scan_implILNS1_25lookback_scan_determinismE0ELb0ELb0ES3_N6thrust23THRUST_200600_302600_NS6detail15normal_iteratorINS9_10device_ptrIfEEEENS9_16discard_iteratorINS9_11use_defaultEEEf11max_functorIfEfEEDaPvRmT3_T4_T5_mT6_P12ihipStream_tbENKUlT_T0_E_clISt17integral_constantIbLb0EESX_EEDaSS_ST_EUlSS_E0_NS1_11comp_targetILNS1_3genE4ELNS1_11target_archE910ELNS1_3gpuE8ELNS1_3repE0EEENS1_30default_config_static_selectorELNS0_4arch9wavefront6targetE1EEEvT1_,@function
_ZN7rocprim17ROCPRIM_400000_NS6detail17trampoline_kernelINS0_14default_configENS1_20scan_config_selectorIfEEZZNS1_9scan_implILNS1_25lookback_scan_determinismE0ELb0ELb0ES3_N6thrust23THRUST_200600_302600_NS6detail15normal_iteratorINS9_10device_ptrIfEEEENS9_16discard_iteratorINS9_11use_defaultEEEf11max_functorIfEfEEDaPvRmT3_T4_T5_mT6_P12ihipStream_tbENKUlT_T0_E_clISt17integral_constantIbLb0EESX_EEDaSS_ST_EUlSS_E0_NS1_11comp_targetILNS1_3genE4ELNS1_11target_archE910ELNS1_3gpuE8ELNS1_3repE0EEENS1_30default_config_static_selectorELNS0_4arch9wavefront6targetE1EEEvT1_: ; @_ZN7rocprim17ROCPRIM_400000_NS6detail17trampoline_kernelINS0_14default_configENS1_20scan_config_selectorIfEEZZNS1_9scan_implILNS1_25lookback_scan_determinismE0ELb0ELb0ES3_N6thrust23THRUST_200600_302600_NS6detail15normal_iteratorINS9_10device_ptrIfEEEENS9_16discard_iteratorINS9_11use_defaultEEEf11max_functorIfEfEEDaPvRmT3_T4_T5_mT6_P12ihipStream_tbENKUlT_T0_E_clISt17integral_constantIbLb0EESX_EEDaSS_ST_EUlSS_E0_NS1_11comp_targetILNS1_3genE4ELNS1_11target_archE910ELNS1_3gpuE8ELNS1_3repE0EEENS1_30default_config_static_selectorELNS0_4arch9wavefront6targetE1EEEvT1_
; %bb.0:
	s_load_dwordx4 s[0:3], s[4:5], 0x0
	v_lshlrev_b32_e32 v1, 2, v0
	s_waitcnt lgkmcnt(0)
	s_load_dword s3, s[0:1], 0x0
	v_cmp_gt_u32_e32 vcc, s2, v0
	s_waitcnt lgkmcnt(0)
	v_mov_b32_e32 v2, s3
	s_and_saveexec_b64 s[4:5], vcc
	s_cbranch_execz .LBB3145_2
; %bb.1:
	global_load_dword v2, v1, s[0:1]
.LBB3145_2:
	s_or_b64 exec, exec, s[4:5]
	v_or_b32_e32 v3, 0x80, v0
	v_cmp_gt_u32_e32 vcc, s2, v3
	v_mov_b32_e32 v3, s3
	s_and_saveexec_b64 s[4:5], vcc
	s_cbranch_execz .LBB3145_4
; %bb.3:
	global_load_dword v3, v1, s[0:1] offset:512
.LBB3145_4:
	s_or_b64 exec, exec, s[4:5]
	v_or_b32_e32 v4, 0x100, v0
	v_cmp_gt_u32_e32 vcc, s2, v4
	v_mov_b32_e32 v4, s3
	s_and_saveexec_b64 s[4:5], vcc
	s_cbranch_execz .LBB3145_6
; %bb.5:
	global_load_dword v4, v1, s[0:1] offset:1024
.LBB3145_6:
	;; [unrolled: 9-line block ×7, first 2 shown]
	s_or_b64 exec, exec, s[4:5]
	v_or_b32_e32 v11, 0x400, v0
	v_cmp_gt_u32_e32 vcc, s2, v11
	v_mov_b32_e32 v10, s3
	s_and_saveexec_b64 s[4:5], vcc
	s_cbranch_execz .LBB3145_18
; %bb.17:
	v_lshlrev_b32_e32 v10, 2, v11
	global_load_dword v10, v10, s[0:1]
.LBB3145_18:
	s_or_b64 exec, exec, s[4:5]
	v_or_b32_e32 v12, 0x480, v0
	v_cmp_gt_u32_e32 vcc, s2, v12
	v_mov_b32_e32 v11, s3
	s_and_saveexec_b64 s[4:5], vcc
	s_cbranch_execz .LBB3145_20
; %bb.19:
	v_lshlrev_b32_e32 v11, 2, v12
	global_load_dword v11, v11, s[0:1]
.LBB3145_20:
	s_or_b64 exec, exec, s[4:5]
	v_or_b32_e32 v13, 0x500, v0
	v_cmp_gt_u32_e32 vcc, s2, v13
	v_mov_b32_e32 v12, s3
	s_and_saveexec_b64 s[4:5], vcc
	s_cbranch_execz .LBB3145_22
; %bb.21:
	v_lshlrev_b32_e32 v12, 2, v13
	global_load_dword v12, v12, s[0:1]
.LBB3145_22:
	s_or_b64 exec, exec, s[4:5]
	v_or_b32_e32 v14, 0x580, v0
	v_cmp_gt_u32_e32 vcc, s2, v14
	v_mov_b32_e32 v13, s3
	s_and_saveexec_b64 s[4:5], vcc
	s_cbranch_execz .LBB3145_24
; %bb.23:
	v_lshlrev_b32_e32 v13, 2, v14
	global_load_dword v13, v13, s[0:1]
.LBB3145_24:
	s_or_b64 exec, exec, s[4:5]
	v_or_b32_e32 v15, 0x600, v0
	v_cmp_gt_u32_e32 vcc, s2, v15
	v_mov_b32_e32 v14, s3
	s_and_saveexec_b64 s[4:5], vcc
	s_cbranch_execz .LBB3145_26
; %bb.25:
	v_lshlrev_b32_e32 v14, 2, v15
	global_load_dword v14, v14, s[0:1]
.LBB3145_26:
	s_or_b64 exec, exec, s[4:5]
	v_or_b32_e32 v16, 0x680, v0
	v_cmp_gt_u32_e32 vcc, s2, v16
	v_mov_b32_e32 v15, s3
	s_and_saveexec_b64 s[2:3], vcc
	s_cbranch_execz .LBB3145_28
; %bb.27:
	v_lshlrev_b32_e32 v15, 2, v16
	global_load_dword v15, v15, s[0:1]
.LBB3145_28:
	s_or_b64 exec, exec, s[2:3]
	s_waitcnt vmcnt(0)
	ds_write2st64_b32 v1, v2, v3 offset1:2
	ds_write2st64_b32 v1, v4, v5 offset0:4 offset1:6
	ds_write2st64_b32 v1, v6, v7 offset0:8 offset1:10
	;; [unrolled: 1-line block ×6, first 2 shown]
	v_mad_u32_u24 v14, v0, 52, v1
	s_waitcnt lgkmcnt(0)
	s_barrier
	ds_read2_b64 v[2:5], v14 offset1:1
	ds_read2_b64 v[10:13], v14 offset0:2 offset1:3
	ds_read2_b64 v[6:9], v14 offset0:4 offset1:5
	ds_read_b64 v[14:15], v14 offset:48
	v_lshrrev_b32_e32 v17, 3, v0
	s_waitcnt lgkmcnt(3)
	v_cmp_lt_f32_e32 vcc, v2, v3
	v_cndmask_b32_e32 v16, v2, v3, vcc
	v_cmp_lt_f32_e32 vcc, v16, v4
	v_cndmask_b32_e32 v16, v16, v4, vcc
	v_cmp_lt_f32_e32 vcc, v16, v5
	v_cndmask_b32_e32 v16, v16, v5, vcc
	s_waitcnt lgkmcnt(2)
	v_cmp_lt_f32_e32 vcc, v16, v10
	v_cndmask_b32_e32 v16, v16, v10, vcc
	v_cmp_lt_f32_e32 vcc, v16, v11
	v_cndmask_b32_e32 v16, v16, v11, vcc
	v_cmp_lt_f32_e32 vcc, v16, v12
	v_cndmask_b32_e32 v16, v16, v12, vcc
	v_cmp_lt_f32_e32 vcc, v16, v13
	v_cndmask_b32_e32 v16, v16, v13, vcc
	s_waitcnt lgkmcnt(1)
	v_cmp_lt_f32_e32 vcc, v16, v6
	v_cndmask_b32_e32 v16, v16, v6, vcc
	;; [unrolled: 9-line block ×3, first 2 shown]
	v_cmp_lt_f32_e32 vcc, v16, v15
	v_and_b32_e32 v17, 12, v17
	v_cndmask_b32_e32 v16, v16, v15, vcc
	v_add_u32_e32 v17, v1, v17
	v_cmp_gt_u32_e32 vcc, 64, v0
	s_barrier
	ds_write_b32 v17, v16
	s_waitcnt lgkmcnt(0)
	s_barrier
	s_and_saveexec_b64 s[6:7], vcc
	s_cbranch_execz .LBB3145_30
; %bb.29:
	v_lshlrev_b32_e32 v17, 1, v0
	v_lshrrev_b32_e32 v18, 4, v0
	v_add_lshl_u32 v17, v18, v17, 2
	ds_read2_b32 v[18:19], v17 offset1:1
	v_mbcnt_lo_u32_b32 v20, -1, 0
	v_mbcnt_hi_u32_b32 v20, -1, v20
	v_and_b32_e32 v21, 15, v20
	v_cmp_lt_u32_e64 s[4:5], 31, v20
	s_waitcnt lgkmcnt(0)
	v_cmp_lt_f32_e32 vcc, v18, v19
	v_cndmask_b32_e32 v19, v18, v19, vcc
	v_cmp_gt_u32_e64 s[2:3], 32, v20
	s_nop 0
	v_mov_b32_dpp v22, v19 row_shr:1 row_mask:0xf bank_mask:0xf
	v_cmp_gt_f32_e32 vcc, v19, v22
	v_cndmask_b32_e32 v22, v22, v19, vcc
	v_cmp_eq_u32_e32 vcc, 0, v21
	v_cndmask_b32_e32 v19, v22, v19, vcc
	; wave barrier
	s_nop 1
	v_mov_b32_dpp v22, v19 row_shr:2 row_mask:0xf bank_mask:0xf
	v_cmp_gt_f32_e32 vcc, v19, v22
	v_cndmask_b32_e32 v22, v22, v19, vcc
	v_cmp_lt_u32_e32 vcc, 1, v21
	v_cndmask_b32_e32 v22, v19, v22, vcc
	s_nop 1
	v_mov_b32_dpp v23, v22 row_shr:4 row_mask:0xf bank_mask:0xf
	v_cmp_gt_f32_e64 s[0:1], v22, v23
	v_cndmask_b32_e64 v23, v23, v22, s[0:1]
	v_cmp_lt_u32_e64 s[0:1], 3, v21
	v_cndmask_b32_e64 v22, v22, v23, s[0:1]
	s_nop 1
	v_mov_b32_dpp v23, v22 row_shr:8 row_mask:0xf bank_mask:0xf
	v_cmp_gt_f32_e64 s[0:1], v22, v23
	v_cndmask_b32_e64 v23, v23, v22, s[0:1]
	v_cmp_lt_u32_e64 s[0:1], 7, v21
	v_cndmask_b32_e64 v21, v22, v23, s[0:1]
	v_and_b32_e32 v23, 16, v20
	s_nop 0
	v_mov_b32_dpp v22, v21 row_bcast:15 row_mask:0xf bank_mask:0xf
	v_cmp_gt_f32_e64 s[0:1], v21, v22
	v_cndmask_b32_e64 v22, v22, v21, s[0:1]
	v_cmp_ne_u32_e64 s[0:1], 0, v23
	v_cndmask_b32_e64 v21, v21, v22, s[0:1]
	s_or_b64 s[4:5], s[0:1], s[4:5]
	s_or_b64 vcc, vcc, s[4:5]
	v_mov_b32_dpp v22, v21 row_bcast:31 row_mask:0xf bank_mask:0xf
	v_cmp_gt_f32_e64 s[0:1], v21, v22
	s_or_b64 s[0:1], s[2:3], s[0:1]
	v_cndmask_b32_e64 v21, v22, v21, s[0:1]
	v_cndmask_b32_e32 v19, v19, v21, vcc
	v_add_u32_e32 v21, -1, v20
	v_and_b32_e32 v22, 64, v20
	v_cmp_lt_i32_e32 vcc, v21, v22
	v_cndmask_b32_e32 v20, v21, v20, vcc
	v_lshlrev_b32_e32 v20, 2, v20
	ds_bpermute_b32 v19, v20, v19
	s_waitcnt lgkmcnt(0)
	v_cmp_gt_f32_e32 vcc, v18, v19
	v_cndmask_b32_e32 v18, v19, v18, vcc
	v_cmp_eq_u32_e32 vcc, 0, v0
	v_cndmask_b32_e32 v18, v18, v16, vcc
	ds_write_b32 v17, v18
	; wave barrier
	ds_read_b32 v19, v17 offset:4
	s_waitcnt lgkmcnt(0)
	v_cmp_lt_f32_e32 vcc, v18, v19
	v_cndmask_b32_e32 v18, v18, v19, vcc
	ds_write_b32 v17, v18 offset:4
.LBB3145_30:
	s_or_b64 exec, exec, s[6:7]
	v_cmp_ne_u32_e32 vcc, 0, v0
	s_waitcnt lgkmcnt(0)
	s_barrier
	s_and_saveexec_b64 s[0:1], vcc
	s_cbranch_execz .LBB3145_32
; %bb.31:
	v_add_u32_e32 v16, -1, v0
	v_lshrrev_b32_e32 v17, 5, v16
	v_add_lshl_u32 v16, v17, v16, 2
	ds_read_b32 v16, v16
.LBB3145_32:
	s_or_b64 exec, exec, s[0:1]
	v_mul_u32_u24_e32 v0, 52, v0
	s_and_saveexec_b64 s[0:1], vcc
	s_cbranch_execz .LBB3145_34
; %bb.33:
	s_waitcnt lgkmcnt(0)
	v_cmp_gt_f32_e32 vcc, v2, v16
	v_cndmask_b32_e32 v2, v16, v2, vcc
	;;#ASMSTART
	;;#ASMEND
.LBB3145_34:
	s_or_b64 exec, exec, s[0:1]
	v_cmp_gt_f32_e32 vcc, v3, v2
	v_cndmask_b32_e32 v3, v2, v3, vcc
	v_cmp_lt_f32_e32 vcc, v3, v4
	v_cndmask_b32_e32 v4, v3, v4, vcc
	v_cmp_lt_f32_e32 vcc, v4, v5
	;; [unrolled: 2-line block ×12, first 2 shown]
	v_add_u32_e32 v0, v1, v0
	v_cndmask_b32_e32 v15, v14, v15, vcc
	s_waitcnt lgkmcnt(0)
	s_barrier
	ds_write2_b64 v0, v[2:3], v[4:5] offset1:1
	ds_write2_b64 v0, v[10:11], v[12:13] offset0:2 offset1:3
	ds_write2_b64 v0, v[6:7], v[8:9] offset0:4 offset1:5
	ds_write_b64 v0, v[14:15] offset:48
	s_waitcnt lgkmcnt(0)
	s_barrier
	s_endpgm
	.section	.rodata,"a",@progbits
	.p2align	6, 0x0
	.amdhsa_kernel _ZN7rocprim17ROCPRIM_400000_NS6detail17trampoline_kernelINS0_14default_configENS1_20scan_config_selectorIfEEZZNS1_9scan_implILNS1_25lookback_scan_determinismE0ELb0ELb0ES3_N6thrust23THRUST_200600_302600_NS6detail15normal_iteratorINS9_10device_ptrIfEEEENS9_16discard_iteratorINS9_11use_defaultEEEf11max_functorIfEfEEDaPvRmT3_T4_T5_mT6_P12ihipStream_tbENKUlT_T0_E_clISt17integral_constantIbLb0EESX_EEDaSS_ST_EUlSS_E0_NS1_11comp_targetILNS1_3genE4ELNS1_11target_archE910ELNS1_3gpuE8ELNS1_3repE0EEENS1_30default_config_static_selectorELNS0_4arch9wavefront6targetE1EEEvT1_
		.amdhsa_group_segment_fixed_size 7168
		.amdhsa_private_segment_fixed_size 0
		.amdhsa_kernarg_size 40
		.amdhsa_user_sgpr_count 6
		.amdhsa_user_sgpr_private_segment_buffer 1
		.amdhsa_user_sgpr_dispatch_ptr 0
		.amdhsa_user_sgpr_queue_ptr 0
		.amdhsa_user_sgpr_kernarg_segment_ptr 1
		.amdhsa_user_sgpr_dispatch_id 0
		.amdhsa_user_sgpr_flat_scratch_init 0
		.amdhsa_user_sgpr_kernarg_preload_length 0
		.amdhsa_user_sgpr_kernarg_preload_offset 0
		.amdhsa_user_sgpr_private_segment_size 0
		.amdhsa_uses_dynamic_stack 0
		.amdhsa_system_sgpr_private_segment_wavefront_offset 0
		.amdhsa_system_sgpr_workgroup_id_x 1
		.amdhsa_system_sgpr_workgroup_id_y 0
		.amdhsa_system_sgpr_workgroup_id_z 0
		.amdhsa_system_sgpr_workgroup_info 0
		.amdhsa_system_vgpr_workitem_id 0
		.amdhsa_next_free_vgpr 24
		.amdhsa_next_free_sgpr 8
		.amdhsa_accum_offset 24
		.amdhsa_reserve_vcc 1
		.amdhsa_reserve_flat_scratch 0
		.amdhsa_float_round_mode_32 0
		.amdhsa_float_round_mode_16_64 0
		.amdhsa_float_denorm_mode_32 3
		.amdhsa_float_denorm_mode_16_64 3
		.amdhsa_dx10_clamp 1
		.amdhsa_ieee_mode 1
		.amdhsa_fp16_overflow 0
		.amdhsa_tg_split 0
		.amdhsa_exception_fp_ieee_invalid_op 0
		.amdhsa_exception_fp_denorm_src 0
		.amdhsa_exception_fp_ieee_div_zero 0
		.amdhsa_exception_fp_ieee_overflow 0
		.amdhsa_exception_fp_ieee_underflow 0
		.amdhsa_exception_fp_ieee_inexact 0
		.amdhsa_exception_int_div_zero 0
	.end_amdhsa_kernel
	.section	.text._ZN7rocprim17ROCPRIM_400000_NS6detail17trampoline_kernelINS0_14default_configENS1_20scan_config_selectorIfEEZZNS1_9scan_implILNS1_25lookback_scan_determinismE0ELb0ELb0ES3_N6thrust23THRUST_200600_302600_NS6detail15normal_iteratorINS9_10device_ptrIfEEEENS9_16discard_iteratorINS9_11use_defaultEEEf11max_functorIfEfEEDaPvRmT3_T4_T5_mT6_P12ihipStream_tbENKUlT_T0_E_clISt17integral_constantIbLb0EESX_EEDaSS_ST_EUlSS_E0_NS1_11comp_targetILNS1_3genE4ELNS1_11target_archE910ELNS1_3gpuE8ELNS1_3repE0EEENS1_30default_config_static_selectorELNS0_4arch9wavefront6targetE1EEEvT1_,"axG",@progbits,_ZN7rocprim17ROCPRIM_400000_NS6detail17trampoline_kernelINS0_14default_configENS1_20scan_config_selectorIfEEZZNS1_9scan_implILNS1_25lookback_scan_determinismE0ELb0ELb0ES3_N6thrust23THRUST_200600_302600_NS6detail15normal_iteratorINS9_10device_ptrIfEEEENS9_16discard_iteratorINS9_11use_defaultEEEf11max_functorIfEfEEDaPvRmT3_T4_T5_mT6_P12ihipStream_tbENKUlT_T0_E_clISt17integral_constantIbLb0EESX_EEDaSS_ST_EUlSS_E0_NS1_11comp_targetILNS1_3genE4ELNS1_11target_archE910ELNS1_3gpuE8ELNS1_3repE0EEENS1_30default_config_static_selectorELNS0_4arch9wavefront6targetE1EEEvT1_,comdat
.Lfunc_end3145:
	.size	_ZN7rocprim17ROCPRIM_400000_NS6detail17trampoline_kernelINS0_14default_configENS1_20scan_config_selectorIfEEZZNS1_9scan_implILNS1_25lookback_scan_determinismE0ELb0ELb0ES3_N6thrust23THRUST_200600_302600_NS6detail15normal_iteratorINS9_10device_ptrIfEEEENS9_16discard_iteratorINS9_11use_defaultEEEf11max_functorIfEfEEDaPvRmT3_T4_T5_mT6_P12ihipStream_tbENKUlT_T0_E_clISt17integral_constantIbLb0EESX_EEDaSS_ST_EUlSS_E0_NS1_11comp_targetILNS1_3genE4ELNS1_11target_archE910ELNS1_3gpuE8ELNS1_3repE0EEENS1_30default_config_static_selectorELNS0_4arch9wavefront6targetE1EEEvT1_, .Lfunc_end3145-_ZN7rocprim17ROCPRIM_400000_NS6detail17trampoline_kernelINS0_14default_configENS1_20scan_config_selectorIfEEZZNS1_9scan_implILNS1_25lookback_scan_determinismE0ELb0ELb0ES3_N6thrust23THRUST_200600_302600_NS6detail15normal_iteratorINS9_10device_ptrIfEEEENS9_16discard_iteratorINS9_11use_defaultEEEf11max_functorIfEfEEDaPvRmT3_T4_T5_mT6_P12ihipStream_tbENKUlT_T0_E_clISt17integral_constantIbLb0EESX_EEDaSS_ST_EUlSS_E0_NS1_11comp_targetILNS1_3genE4ELNS1_11target_archE910ELNS1_3gpuE8ELNS1_3repE0EEENS1_30default_config_static_selectorELNS0_4arch9wavefront6targetE1EEEvT1_
                                        ; -- End function
	.section	.AMDGPU.csdata,"",@progbits
; Kernel info:
; codeLenInByte = 1448
; NumSgprs: 12
; NumVgprs: 24
; NumAgprs: 0
; TotalNumVgprs: 24
; ScratchSize: 0
; MemoryBound: 0
; FloatMode: 240
; IeeeMode: 1
; LDSByteSize: 7168 bytes/workgroup (compile time only)
; SGPRBlocks: 1
; VGPRBlocks: 2
; NumSGPRsForWavesPerEU: 12
; NumVGPRsForWavesPerEU: 24
; AccumOffset: 24
; Occupancy: 5
; WaveLimiterHint : 0
; COMPUTE_PGM_RSRC2:SCRATCH_EN: 0
; COMPUTE_PGM_RSRC2:USER_SGPR: 6
; COMPUTE_PGM_RSRC2:TRAP_HANDLER: 0
; COMPUTE_PGM_RSRC2:TGID_X_EN: 1
; COMPUTE_PGM_RSRC2:TGID_Y_EN: 0
; COMPUTE_PGM_RSRC2:TGID_Z_EN: 0
; COMPUTE_PGM_RSRC2:TIDIG_COMP_CNT: 0
; COMPUTE_PGM_RSRC3_GFX90A:ACCUM_OFFSET: 5
; COMPUTE_PGM_RSRC3_GFX90A:TG_SPLIT: 0
	.section	.text._ZN7rocprim17ROCPRIM_400000_NS6detail17trampoline_kernelINS0_14default_configENS1_20scan_config_selectorIfEEZZNS1_9scan_implILNS1_25lookback_scan_determinismE0ELb0ELb0ES3_N6thrust23THRUST_200600_302600_NS6detail15normal_iteratorINS9_10device_ptrIfEEEENS9_16discard_iteratorINS9_11use_defaultEEEf11max_functorIfEfEEDaPvRmT3_T4_T5_mT6_P12ihipStream_tbENKUlT_T0_E_clISt17integral_constantIbLb0EESX_EEDaSS_ST_EUlSS_E0_NS1_11comp_targetILNS1_3genE3ELNS1_11target_archE908ELNS1_3gpuE7ELNS1_3repE0EEENS1_30default_config_static_selectorELNS0_4arch9wavefront6targetE1EEEvT1_,"axG",@progbits,_ZN7rocprim17ROCPRIM_400000_NS6detail17trampoline_kernelINS0_14default_configENS1_20scan_config_selectorIfEEZZNS1_9scan_implILNS1_25lookback_scan_determinismE0ELb0ELb0ES3_N6thrust23THRUST_200600_302600_NS6detail15normal_iteratorINS9_10device_ptrIfEEEENS9_16discard_iteratorINS9_11use_defaultEEEf11max_functorIfEfEEDaPvRmT3_T4_T5_mT6_P12ihipStream_tbENKUlT_T0_E_clISt17integral_constantIbLb0EESX_EEDaSS_ST_EUlSS_E0_NS1_11comp_targetILNS1_3genE3ELNS1_11target_archE908ELNS1_3gpuE7ELNS1_3repE0EEENS1_30default_config_static_selectorELNS0_4arch9wavefront6targetE1EEEvT1_,comdat
	.protected	_ZN7rocprim17ROCPRIM_400000_NS6detail17trampoline_kernelINS0_14default_configENS1_20scan_config_selectorIfEEZZNS1_9scan_implILNS1_25lookback_scan_determinismE0ELb0ELb0ES3_N6thrust23THRUST_200600_302600_NS6detail15normal_iteratorINS9_10device_ptrIfEEEENS9_16discard_iteratorINS9_11use_defaultEEEf11max_functorIfEfEEDaPvRmT3_T4_T5_mT6_P12ihipStream_tbENKUlT_T0_E_clISt17integral_constantIbLb0EESX_EEDaSS_ST_EUlSS_E0_NS1_11comp_targetILNS1_3genE3ELNS1_11target_archE908ELNS1_3gpuE7ELNS1_3repE0EEENS1_30default_config_static_selectorELNS0_4arch9wavefront6targetE1EEEvT1_ ; -- Begin function _ZN7rocprim17ROCPRIM_400000_NS6detail17trampoline_kernelINS0_14default_configENS1_20scan_config_selectorIfEEZZNS1_9scan_implILNS1_25lookback_scan_determinismE0ELb0ELb0ES3_N6thrust23THRUST_200600_302600_NS6detail15normal_iteratorINS9_10device_ptrIfEEEENS9_16discard_iteratorINS9_11use_defaultEEEf11max_functorIfEfEEDaPvRmT3_T4_T5_mT6_P12ihipStream_tbENKUlT_T0_E_clISt17integral_constantIbLb0EESX_EEDaSS_ST_EUlSS_E0_NS1_11comp_targetILNS1_3genE3ELNS1_11target_archE908ELNS1_3gpuE7ELNS1_3repE0EEENS1_30default_config_static_selectorELNS0_4arch9wavefront6targetE1EEEvT1_
	.globl	_ZN7rocprim17ROCPRIM_400000_NS6detail17trampoline_kernelINS0_14default_configENS1_20scan_config_selectorIfEEZZNS1_9scan_implILNS1_25lookback_scan_determinismE0ELb0ELb0ES3_N6thrust23THRUST_200600_302600_NS6detail15normal_iteratorINS9_10device_ptrIfEEEENS9_16discard_iteratorINS9_11use_defaultEEEf11max_functorIfEfEEDaPvRmT3_T4_T5_mT6_P12ihipStream_tbENKUlT_T0_E_clISt17integral_constantIbLb0EESX_EEDaSS_ST_EUlSS_E0_NS1_11comp_targetILNS1_3genE3ELNS1_11target_archE908ELNS1_3gpuE7ELNS1_3repE0EEENS1_30default_config_static_selectorELNS0_4arch9wavefront6targetE1EEEvT1_
	.p2align	8
	.type	_ZN7rocprim17ROCPRIM_400000_NS6detail17trampoline_kernelINS0_14default_configENS1_20scan_config_selectorIfEEZZNS1_9scan_implILNS1_25lookback_scan_determinismE0ELb0ELb0ES3_N6thrust23THRUST_200600_302600_NS6detail15normal_iteratorINS9_10device_ptrIfEEEENS9_16discard_iteratorINS9_11use_defaultEEEf11max_functorIfEfEEDaPvRmT3_T4_T5_mT6_P12ihipStream_tbENKUlT_T0_E_clISt17integral_constantIbLb0EESX_EEDaSS_ST_EUlSS_E0_NS1_11comp_targetILNS1_3genE3ELNS1_11target_archE908ELNS1_3gpuE7ELNS1_3repE0EEENS1_30default_config_static_selectorELNS0_4arch9wavefront6targetE1EEEvT1_,@function
_ZN7rocprim17ROCPRIM_400000_NS6detail17trampoline_kernelINS0_14default_configENS1_20scan_config_selectorIfEEZZNS1_9scan_implILNS1_25lookback_scan_determinismE0ELb0ELb0ES3_N6thrust23THRUST_200600_302600_NS6detail15normal_iteratorINS9_10device_ptrIfEEEENS9_16discard_iteratorINS9_11use_defaultEEEf11max_functorIfEfEEDaPvRmT3_T4_T5_mT6_P12ihipStream_tbENKUlT_T0_E_clISt17integral_constantIbLb0EESX_EEDaSS_ST_EUlSS_E0_NS1_11comp_targetILNS1_3genE3ELNS1_11target_archE908ELNS1_3gpuE7ELNS1_3repE0EEENS1_30default_config_static_selectorELNS0_4arch9wavefront6targetE1EEEvT1_: ; @_ZN7rocprim17ROCPRIM_400000_NS6detail17trampoline_kernelINS0_14default_configENS1_20scan_config_selectorIfEEZZNS1_9scan_implILNS1_25lookback_scan_determinismE0ELb0ELb0ES3_N6thrust23THRUST_200600_302600_NS6detail15normal_iteratorINS9_10device_ptrIfEEEENS9_16discard_iteratorINS9_11use_defaultEEEf11max_functorIfEfEEDaPvRmT3_T4_T5_mT6_P12ihipStream_tbENKUlT_T0_E_clISt17integral_constantIbLb0EESX_EEDaSS_ST_EUlSS_E0_NS1_11comp_targetILNS1_3genE3ELNS1_11target_archE908ELNS1_3gpuE7ELNS1_3repE0EEENS1_30default_config_static_selectorELNS0_4arch9wavefront6targetE1EEEvT1_
; %bb.0:
	.section	.rodata,"a",@progbits
	.p2align	6, 0x0
	.amdhsa_kernel _ZN7rocprim17ROCPRIM_400000_NS6detail17trampoline_kernelINS0_14default_configENS1_20scan_config_selectorIfEEZZNS1_9scan_implILNS1_25lookback_scan_determinismE0ELb0ELb0ES3_N6thrust23THRUST_200600_302600_NS6detail15normal_iteratorINS9_10device_ptrIfEEEENS9_16discard_iteratorINS9_11use_defaultEEEf11max_functorIfEfEEDaPvRmT3_T4_T5_mT6_P12ihipStream_tbENKUlT_T0_E_clISt17integral_constantIbLb0EESX_EEDaSS_ST_EUlSS_E0_NS1_11comp_targetILNS1_3genE3ELNS1_11target_archE908ELNS1_3gpuE7ELNS1_3repE0EEENS1_30default_config_static_selectorELNS0_4arch9wavefront6targetE1EEEvT1_
		.amdhsa_group_segment_fixed_size 0
		.amdhsa_private_segment_fixed_size 0
		.amdhsa_kernarg_size 40
		.amdhsa_user_sgpr_count 6
		.amdhsa_user_sgpr_private_segment_buffer 1
		.amdhsa_user_sgpr_dispatch_ptr 0
		.amdhsa_user_sgpr_queue_ptr 0
		.amdhsa_user_sgpr_kernarg_segment_ptr 1
		.amdhsa_user_sgpr_dispatch_id 0
		.amdhsa_user_sgpr_flat_scratch_init 0
		.amdhsa_user_sgpr_kernarg_preload_length 0
		.amdhsa_user_sgpr_kernarg_preload_offset 0
		.amdhsa_user_sgpr_private_segment_size 0
		.amdhsa_uses_dynamic_stack 0
		.amdhsa_system_sgpr_private_segment_wavefront_offset 0
		.amdhsa_system_sgpr_workgroup_id_x 1
		.amdhsa_system_sgpr_workgroup_id_y 0
		.amdhsa_system_sgpr_workgroup_id_z 0
		.amdhsa_system_sgpr_workgroup_info 0
		.amdhsa_system_vgpr_workitem_id 0
		.amdhsa_next_free_vgpr 1
		.amdhsa_next_free_sgpr 0
		.amdhsa_accum_offset 4
		.amdhsa_reserve_vcc 0
		.amdhsa_reserve_flat_scratch 0
		.amdhsa_float_round_mode_32 0
		.amdhsa_float_round_mode_16_64 0
		.amdhsa_float_denorm_mode_32 3
		.amdhsa_float_denorm_mode_16_64 3
		.amdhsa_dx10_clamp 1
		.amdhsa_ieee_mode 1
		.amdhsa_fp16_overflow 0
		.amdhsa_tg_split 0
		.amdhsa_exception_fp_ieee_invalid_op 0
		.amdhsa_exception_fp_denorm_src 0
		.amdhsa_exception_fp_ieee_div_zero 0
		.amdhsa_exception_fp_ieee_overflow 0
		.amdhsa_exception_fp_ieee_underflow 0
		.amdhsa_exception_fp_ieee_inexact 0
		.amdhsa_exception_int_div_zero 0
	.end_amdhsa_kernel
	.section	.text._ZN7rocprim17ROCPRIM_400000_NS6detail17trampoline_kernelINS0_14default_configENS1_20scan_config_selectorIfEEZZNS1_9scan_implILNS1_25lookback_scan_determinismE0ELb0ELb0ES3_N6thrust23THRUST_200600_302600_NS6detail15normal_iteratorINS9_10device_ptrIfEEEENS9_16discard_iteratorINS9_11use_defaultEEEf11max_functorIfEfEEDaPvRmT3_T4_T5_mT6_P12ihipStream_tbENKUlT_T0_E_clISt17integral_constantIbLb0EESX_EEDaSS_ST_EUlSS_E0_NS1_11comp_targetILNS1_3genE3ELNS1_11target_archE908ELNS1_3gpuE7ELNS1_3repE0EEENS1_30default_config_static_selectorELNS0_4arch9wavefront6targetE1EEEvT1_,"axG",@progbits,_ZN7rocprim17ROCPRIM_400000_NS6detail17trampoline_kernelINS0_14default_configENS1_20scan_config_selectorIfEEZZNS1_9scan_implILNS1_25lookback_scan_determinismE0ELb0ELb0ES3_N6thrust23THRUST_200600_302600_NS6detail15normal_iteratorINS9_10device_ptrIfEEEENS9_16discard_iteratorINS9_11use_defaultEEEf11max_functorIfEfEEDaPvRmT3_T4_T5_mT6_P12ihipStream_tbENKUlT_T0_E_clISt17integral_constantIbLb0EESX_EEDaSS_ST_EUlSS_E0_NS1_11comp_targetILNS1_3genE3ELNS1_11target_archE908ELNS1_3gpuE7ELNS1_3repE0EEENS1_30default_config_static_selectorELNS0_4arch9wavefront6targetE1EEEvT1_,comdat
.Lfunc_end3146:
	.size	_ZN7rocprim17ROCPRIM_400000_NS6detail17trampoline_kernelINS0_14default_configENS1_20scan_config_selectorIfEEZZNS1_9scan_implILNS1_25lookback_scan_determinismE0ELb0ELb0ES3_N6thrust23THRUST_200600_302600_NS6detail15normal_iteratorINS9_10device_ptrIfEEEENS9_16discard_iteratorINS9_11use_defaultEEEf11max_functorIfEfEEDaPvRmT3_T4_T5_mT6_P12ihipStream_tbENKUlT_T0_E_clISt17integral_constantIbLb0EESX_EEDaSS_ST_EUlSS_E0_NS1_11comp_targetILNS1_3genE3ELNS1_11target_archE908ELNS1_3gpuE7ELNS1_3repE0EEENS1_30default_config_static_selectorELNS0_4arch9wavefront6targetE1EEEvT1_, .Lfunc_end3146-_ZN7rocprim17ROCPRIM_400000_NS6detail17trampoline_kernelINS0_14default_configENS1_20scan_config_selectorIfEEZZNS1_9scan_implILNS1_25lookback_scan_determinismE0ELb0ELb0ES3_N6thrust23THRUST_200600_302600_NS6detail15normal_iteratorINS9_10device_ptrIfEEEENS9_16discard_iteratorINS9_11use_defaultEEEf11max_functorIfEfEEDaPvRmT3_T4_T5_mT6_P12ihipStream_tbENKUlT_T0_E_clISt17integral_constantIbLb0EESX_EEDaSS_ST_EUlSS_E0_NS1_11comp_targetILNS1_3genE3ELNS1_11target_archE908ELNS1_3gpuE7ELNS1_3repE0EEENS1_30default_config_static_selectorELNS0_4arch9wavefront6targetE1EEEvT1_
                                        ; -- End function
	.section	.AMDGPU.csdata,"",@progbits
; Kernel info:
; codeLenInByte = 0
; NumSgprs: 4
; NumVgprs: 0
; NumAgprs: 0
; TotalNumVgprs: 0
; ScratchSize: 0
; MemoryBound: 0
; FloatMode: 240
; IeeeMode: 1
; LDSByteSize: 0 bytes/workgroup (compile time only)
; SGPRBlocks: 0
; VGPRBlocks: 0
; NumSGPRsForWavesPerEU: 4
; NumVGPRsForWavesPerEU: 1
; AccumOffset: 4
; Occupancy: 8
; WaveLimiterHint : 0
; COMPUTE_PGM_RSRC2:SCRATCH_EN: 0
; COMPUTE_PGM_RSRC2:USER_SGPR: 6
; COMPUTE_PGM_RSRC2:TRAP_HANDLER: 0
; COMPUTE_PGM_RSRC2:TGID_X_EN: 1
; COMPUTE_PGM_RSRC2:TGID_Y_EN: 0
; COMPUTE_PGM_RSRC2:TGID_Z_EN: 0
; COMPUTE_PGM_RSRC2:TIDIG_COMP_CNT: 0
; COMPUTE_PGM_RSRC3_GFX90A:ACCUM_OFFSET: 0
; COMPUTE_PGM_RSRC3_GFX90A:TG_SPLIT: 0
	.section	.text._ZN7rocprim17ROCPRIM_400000_NS6detail17trampoline_kernelINS0_14default_configENS1_20scan_config_selectorIfEEZZNS1_9scan_implILNS1_25lookback_scan_determinismE0ELb0ELb0ES3_N6thrust23THRUST_200600_302600_NS6detail15normal_iteratorINS9_10device_ptrIfEEEENS9_16discard_iteratorINS9_11use_defaultEEEf11max_functorIfEfEEDaPvRmT3_T4_T5_mT6_P12ihipStream_tbENKUlT_T0_E_clISt17integral_constantIbLb0EESX_EEDaSS_ST_EUlSS_E0_NS1_11comp_targetILNS1_3genE2ELNS1_11target_archE906ELNS1_3gpuE6ELNS1_3repE0EEENS1_30default_config_static_selectorELNS0_4arch9wavefront6targetE1EEEvT1_,"axG",@progbits,_ZN7rocprim17ROCPRIM_400000_NS6detail17trampoline_kernelINS0_14default_configENS1_20scan_config_selectorIfEEZZNS1_9scan_implILNS1_25lookback_scan_determinismE0ELb0ELb0ES3_N6thrust23THRUST_200600_302600_NS6detail15normal_iteratorINS9_10device_ptrIfEEEENS9_16discard_iteratorINS9_11use_defaultEEEf11max_functorIfEfEEDaPvRmT3_T4_T5_mT6_P12ihipStream_tbENKUlT_T0_E_clISt17integral_constantIbLb0EESX_EEDaSS_ST_EUlSS_E0_NS1_11comp_targetILNS1_3genE2ELNS1_11target_archE906ELNS1_3gpuE6ELNS1_3repE0EEENS1_30default_config_static_selectorELNS0_4arch9wavefront6targetE1EEEvT1_,comdat
	.protected	_ZN7rocprim17ROCPRIM_400000_NS6detail17trampoline_kernelINS0_14default_configENS1_20scan_config_selectorIfEEZZNS1_9scan_implILNS1_25lookback_scan_determinismE0ELb0ELb0ES3_N6thrust23THRUST_200600_302600_NS6detail15normal_iteratorINS9_10device_ptrIfEEEENS9_16discard_iteratorINS9_11use_defaultEEEf11max_functorIfEfEEDaPvRmT3_T4_T5_mT6_P12ihipStream_tbENKUlT_T0_E_clISt17integral_constantIbLb0EESX_EEDaSS_ST_EUlSS_E0_NS1_11comp_targetILNS1_3genE2ELNS1_11target_archE906ELNS1_3gpuE6ELNS1_3repE0EEENS1_30default_config_static_selectorELNS0_4arch9wavefront6targetE1EEEvT1_ ; -- Begin function _ZN7rocprim17ROCPRIM_400000_NS6detail17trampoline_kernelINS0_14default_configENS1_20scan_config_selectorIfEEZZNS1_9scan_implILNS1_25lookback_scan_determinismE0ELb0ELb0ES3_N6thrust23THRUST_200600_302600_NS6detail15normal_iteratorINS9_10device_ptrIfEEEENS9_16discard_iteratorINS9_11use_defaultEEEf11max_functorIfEfEEDaPvRmT3_T4_T5_mT6_P12ihipStream_tbENKUlT_T0_E_clISt17integral_constantIbLb0EESX_EEDaSS_ST_EUlSS_E0_NS1_11comp_targetILNS1_3genE2ELNS1_11target_archE906ELNS1_3gpuE6ELNS1_3repE0EEENS1_30default_config_static_selectorELNS0_4arch9wavefront6targetE1EEEvT1_
	.globl	_ZN7rocprim17ROCPRIM_400000_NS6detail17trampoline_kernelINS0_14default_configENS1_20scan_config_selectorIfEEZZNS1_9scan_implILNS1_25lookback_scan_determinismE0ELb0ELb0ES3_N6thrust23THRUST_200600_302600_NS6detail15normal_iteratorINS9_10device_ptrIfEEEENS9_16discard_iteratorINS9_11use_defaultEEEf11max_functorIfEfEEDaPvRmT3_T4_T5_mT6_P12ihipStream_tbENKUlT_T0_E_clISt17integral_constantIbLb0EESX_EEDaSS_ST_EUlSS_E0_NS1_11comp_targetILNS1_3genE2ELNS1_11target_archE906ELNS1_3gpuE6ELNS1_3repE0EEENS1_30default_config_static_selectorELNS0_4arch9wavefront6targetE1EEEvT1_
	.p2align	8
	.type	_ZN7rocprim17ROCPRIM_400000_NS6detail17trampoline_kernelINS0_14default_configENS1_20scan_config_selectorIfEEZZNS1_9scan_implILNS1_25lookback_scan_determinismE0ELb0ELb0ES3_N6thrust23THRUST_200600_302600_NS6detail15normal_iteratorINS9_10device_ptrIfEEEENS9_16discard_iteratorINS9_11use_defaultEEEf11max_functorIfEfEEDaPvRmT3_T4_T5_mT6_P12ihipStream_tbENKUlT_T0_E_clISt17integral_constantIbLb0EESX_EEDaSS_ST_EUlSS_E0_NS1_11comp_targetILNS1_3genE2ELNS1_11target_archE906ELNS1_3gpuE6ELNS1_3repE0EEENS1_30default_config_static_selectorELNS0_4arch9wavefront6targetE1EEEvT1_,@function
_ZN7rocprim17ROCPRIM_400000_NS6detail17trampoline_kernelINS0_14default_configENS1_20scan_config_selectorIfEEZZNS1_9scan_implILNS1_25lookback_scan_determinismE0ELb0ELb0ES3_N6thrust23THRUST_200600_302600_NS6detail15normal_iteratorINS9_10device_ptrIfEEEENS9_16discard_iteratorINS9_11use_defaultEEEf11max_functorIfEfEEDaPvRmT3_T4_T5_mT6_P12ihipStream_tbENKUlT_T0_E_clISt17integral_constantIbLb0EESX_EEDaSS_ST_EUlSS_E0_NS1_11comp_targetILNS1_3genE2ELNS1_11target_archE906ELNS1_3gpuE6ELNS1_3repE0EEENS1_30default_config_static_selectorELNS0_4arch9wavefront6targetE1EEEvT1_: ; @_ZN7rocprim17ROCPRIM_400000_NS6detail17trampoline_kernelINS0_14default_configENS1_20scan_config_selectorIfEEZZNS1_9scan_implILNS1_25lookback_scan_determinismE0ELb0ELb0ES3_N6thrust23THRUST_200600_302600_NS6detail15normal_iteratorINS9_10device_ptrIfEEEENS9_16discard_iteratorINS9_11use_defaultEEEf11max_functorIfEfEEDaPvRmT3_T4_T5_mT6_P12ihipStream_tbENKUlT_T0_E_clISt17integral_constantIbLb0EESX_EEDaSS_ST_EUlSS_E0_NS1_11comp_targetILNS1_3genE2ELNS1_11target_archE906ELNS1_3gpuE6ELNS1_3repE0EEENS1_30default_config_static_selectorELNS0_4arch9wavefront6targetE1EEEvT1_
; %bb.0:
	.section	.rodata,"a",@progbits
	.p2align	6, 0x0
	.amdhsa_kernel _ZN7rocprim17ROCPRIM_400000_NS6detail17trampoline_kernelINS0_14default_configENS1_20scan_config_selectorIfEEZZNS1_9scan_implILNS1_25lookback_scan_determinismE0ELb0ELb0ES3_N6thrust23THRUST_200600_302600_NS6detail15normal_iteratorINS9_10device_ptrIfEEEENS9_16discard_iteratorINS9_11use_defaultEEEf11max_functorIfEfEEDaPvRmT3_T4_T5_mT6_P12ihipStream_tbENKUlT_T0_E_clISt17integral_constantIbLb0EESX_EEDaSS_ST_EUlSS_E0_NS1_11comp_targetILNS1_3genE2ELNS1_11target_archE906ELNS1_3gpuE6ELNS1_3repE0EEENS1_30default_config_static_selectorELNS0_4arch9wavefront6targetE1EEEvT1_
		.amdhsa_group_segment_fixed_size 0
		.amdhsa_private_segment_fixed_size 0
		.amdhsa_kernarg_size 40
		.amdhsa_user_sgpr_count 6
		.amdhsa_user_sgpr_private_segment_buffer 1
		.amdhsa_user_sgpr_dispatch_ptr 0
		.amdhsa_user_sgpr_queue_ptr 0
		.amdhsa_user_sgpr_kernarg_segment_ptr 1
		.amdhsa_user_sgpr_dispatch_id 0
		.amdhsa_user_sgpr_flat_scratch_init 0
		.amdhsa_user_sgpr_kernarg_preload_length 0
		.amdhsa_user_sgpr_kernarg_preload_offset 0
		.amdhsa_user_sgpr_private_segment_size 0
		.amdhsa_uses_dynamic_stack 0
		.amdhsa_system_sgpr_private_segment_wavefront_offset 0
		.amdhsa_system_sgpr_workgroup_id_x 1
		.amdhsa_system_sgpr_workgroup_id_y 0
		.amdhsa_system_sgpr_workgroup_id_z 0
		.amdhsa_system_sgpr_workgroup_info 0
		.amdhsa_system_vgpr_workitem_id 0
		.amdhsa_next_free_vgpr 1
		.amdhsa_next_free_sgpr 0
		.amdhsa_accum_offset 4
		.amdhsa_reserve_vcc 0
		.amdhsa_reserve_flat_scratch 0
		.amdhsa_float_round_mode_32 0
		.amdhsa_float_round_mode_16_64 0
		.amdhsa_float_denorm_mode_32 3
		.amdhsa_float_denorm_mode_16_64 3
		.amdhsa_dx10_clamp 1
		.amdhsa_ieee_mode 1
		.amdhsa_fp16_overflow 0
		.amdhsa_tg_split 0
		.amdhsa_exception_fp_ieee_invalid_op 0
		.amdhsa_exception_fp_denorm_src 0
		.amdhsa_exception_fp_ieee_div_zero 0
		.amdhsa_exception_fp_ieee_overflow 0
		.amdhsa_exception_fp_ieee_underflow 0
		.amdhsa_exception_fp_ieee_inexact 0
		.amdhsa_exception_int_div_zero 0
	.end_amdhsa_kernel
	.section	.text._ZN7rocprim17ROCPRIM_400000_NS6detail17trampoline_kernelINS0_14default_configENS1_20scan_config_selectorIfEEZZNS1_9scan_implILNS1_25lookback_scan_determinismE0ELb0ELb0ES3_N6thrust23THRUST_200600_302600_NS6detail15normal_iteratorINS9_10device_ptrIfEEEENS9_16discard_iteratorINS9_11use_defaultEEEf11max_functorIfEfEEDaPvRmT3_T4_T5_mT6_P12ihipStream_tbENKUlT_T0_E_clISt17integral_constantIbLb0EESX_EEDaSS_ST_EUlSS_E0_NS1_11comp_targetILNS1_3genE2ELNS1_11target_archE906ELNS1_3gpuE6ELNS1_3repE0EEENS1_30default_config_static_selectorELNS0_4arch9wavefront6targetE1EEEvT1_,"axG",@progbits,_ZN7rocprim17ROCPRIM_400000_NS6detail17trampoline_kernelINS0_14default_configENS1_20scan_config_selectorIfEEZZNS1_9scan_implILNS1_25lookback_scan_determinismE0ELb0ELb0ES3_N6thrust23THRUST_200600_302600_NS6detail15normal_iteratorINS9_10device_ptrIfEEEENS9_16discard_iteratorINS9_11use_defaultEEEf11max_functorIfEfEEDaPvRmT3_T4_T5_mT6_P12ihipStream_tbENKUlT_T0_E_clISt17integral_constantIbLb0EESX_EEDaSS_ST_EUlSS_E0_NS1_11comp_targetILNS1_3genE2ELNS1_11target_archE906ELNS1_3gpuE6ELNS1_3repE0EEENS1_30default_config_static_selectorELNS0_4arch9wavefront6targetE1EEEvT1_,comdat
.Lfunc_end3147:
	.size	_ZN7rocprim17ROCPRIM_400000_NS6detail17trampoline_kernelINS0_14default_configENS1_20scan_config_selectorIfEEZZNS1_9scan_implILNS1_25lookback_scan_determinismE0ELb0ELb0ES3_N6thrust23THRUST_200600_302600_NS6detail15normal_iteratorINS9_10device_ptrIfEEEENS9_16discard_iteratorINS9_11use_defaultEEEf11max_functorIfEfEEDaPvRmT3_T4_T5_mT6_P12ihipStream_tbENKUlT_T0_E_clISt17integral_constantIbLb0EESX_EEDaSS_ST_EUlSS_E0_NS1_11comp_targetILNS1_3genE2ELNS1_11target_archE906ELNS1_3gpuE6ELNS1_3repE0EEENS1_30default_config_static_selectorELNS0_4arch9wavefront6targetE1EEEvT1_, .Lfunc_end3147-_ZN7rocprim17ROCPRIM_400000_NS6detail17trampoline_kernelINS0_14default_configENS1_20scan_config_selectorIfEEZZNS1_9scan_implILNS1_25lookback_scan_determinismE0ELb0ELb0ES3_N6thrust23THRUST_200600_302600_NS6detail15normal_iteratorINS9_10device_ptrIfEEEENS9_16discard_iteratorINS9_11use_defaultEEEf11max_functorIfEfEEDaPvRmT3_T4_T5_mT6_P12ihipStream_tbENKUlT_T0_E_clISt17integral_constantIbLb0EESX_EEDaSS_ST_EUlSS_E0_NS1_11comp_targetILNS1_3genE2ELNS1_11target_archE906ELNS1_3gpuE6ELNS1_3repE0EEENS1_30default_config_static_selectorELNS0_4arch9wavefront6targetE1EEEvT1_
                                        ; -- End function
	.section	.AMDGPU.csdata,"",@progbits
; Kernel info:
; codeLenInByte = 0
; NumSgprs: 4
; NumVgprs: 0
; NumAgprs: 0
; TotalNumVgprs: 0
; ScratchSize: 0
; MemoryBound: 0
; FloatMode: 240
; IeeeMode: 1
; LDSByteSize: 0 bytes/workgroup (compile time only)
; SGPRBlocks: 0
; VGPRBlocks: 0
; NumSGPRsForWavesPerEU: 4
; NumVGPRsForWavesPerEU: 1
; AccumOffset: 4
; Occupancy: 8
; WaveLimiterHint : 0
; COMPUTE_PGM_RSRC2:SCRATCH_EN: 0
; COMPUTE_PGM_RSRC2:USER_SGPR: 6
; COMPUTE_PGM_RSRC2:TRAP_HANDLER: 0
; COMPUTE_PGM_RSRC2:TGID_X_EN: 1
; COMPUTE_PGM_RSRC2:TGID_Y_EN: 0
; COMPUTE_PGM_RSRC2:TGID_Z_EN: 0
; COMPUTE_PGM_RSRC2:TIDIG_COMP_CNT: 0
; COMPUTE_PGM_RSRC3_GFX90A:ACCUM_OFFSET: 0
; COMPUTE_PGM_RSRC3_GFX90A:TG_SPLIT: 0
	.section	.text._ZN7rocprim17ROCPRIM_400000_NS6detail17trampoline_kernelINS0_14default_configENS1_20scan_config_selectorIfEEZZNS1_9scan_implILNS1_25lookback_scan_determinismE0ELb0ELb0ES3_N6thrust23THRUST_200600_302600_NS6detail15normal_iteratorINS9_10device_ptrIfEEEENS9_16discard_iteratorINS9_11use_defaultEEEf11max_functorIfEfEEDaPvRmT3_T4_T5_mT6_P12ihipStream_tbENKUlT_T0_E_clISt17integral_constantIbLb0EESX_EEDaSS_ST_EUlSS_E0_NS1_11comp_targetILNS1_3genE10ELNS1_11target_archE1201ELNS1_3gpuE5ELNS1_3repE0EEENS1_30default_config_static_selectorELNS0_4arch9wavefront6targetE1EEEvT1_,"axG",@progbits,_ZN7rocprim17ROCPRIM_400000_NS6detail17trampoline_kernelINS0_14default_configENS1_20scan_config_selectorIfEEZZNS1_9scan_implILNS1_25lookback_scan_determinismE0ELb0ELb0ES3_N6thrust23THRUST_200600_302600_NS6detail15normal_iteratorINS9_10device_ptrIfEEEENS9_16discard_iteratorINS9_11use_defaultEEEf11max_functorIfEfEEDaPvRmT3_T4_T5_mT6_P12ihipStream_tbENKUlT_T0_E_clISt17integral_constantIbLb0EESX_EEDaSS_ST_EUlSS_E0_NS1_11comp_targetILNS1_3genE10ELNS1_11target_archE1201ELNS1_3gpuE5ELNS1_3repE0EEENS1_30default_config_static_selectorELNS0_4arch9wavefront6targetE1EEEvT1_,comdat
	.protected	_ZN7rocprim17ROCPRIM_400000_NS6detail17trampoline_kernelINS0_14default_configENS1_20scan_config_selectorIfEEZZNS1_9scan_implILNS1_25lookback_scan_determinismE0ELb0ELb0ES3_N6thrust23THRUST_200600_302600_NS6detail15normal_iteratorINS9_10device_ptrIfEEEENS9_16discard_iteratorINS9_11use_defaultEEEf11max_functorIfEfEEDaPvRmT3_T4_T5_mT6_P12ihipStream_tbENKUlT_T0_E_clISt17integral_constantIbLb0EESX_EEDaSS_ST_EUlSS_E0_NS1_11comp_targetILNS1_3genE10ELNS1_11target_archE1201ELNS1_3gpuE5ELNS1_3repE0EEENS1_30default_config_static_selectorELNS0_4arch9wavefront6targetE1EEEvT1_ ; -- Begin function _ZN7rocprim17ROCPRIM_400000_NS6detail17trampoline_kernelINS0_14default_configENS1_20scan_config_selectorIfEEZZNS1_9scan_implILNS1_25lookback_scan_determinismE0ELb0ELb0ES3_N6thrust23THRUST_200600_302600_NS6detail15normal_iteratorINS9_10device_ptrIfEEEENS9_16discard_iteratorINS9_11use_defaultEEEf11max_functorIfEfEEDaPvRmT3_T4_T5_mT6_P12ihipStream_tbENKUlT_T0_E_clISt17integral_constantIbLb0EESX_EEDaSS_ST_EUlSS_E0_NS1_11comp_targetILNS1_3genE10ELNS1_11target_archE1201ELNS1_3gpuE5ELNS1_3repE0EEENS1_30default_config_static_selectorELNS0_4arch9wavefront6targetE1EEEvT1_
	.globl	_ZN7rocprim17ROCPRIM_400000_NS6detail17trampoline_kernelINS0_14default_configENS1_20scan_config_selectorIfEEZZNS1_9scan_implILNS1_25lookback_scan_determinismE0ELb0ELb0ES3_N6thrust23THRUST_200600_302600_NS6detail15normal_iteratorINS9_10device_ptrIfEEEENS9_16discard_iteratorINS9_11use_defaultEEEf11max_functorIfEfEEDaPvRmT3_T4_T5_mT6_P12ihipStream_tbENKUlT_T0_E_clISt17integral_constantIbLb0EESX_EEDaSS_ST_EUlSS_E0_NS1_11comp_targetILNS1_3genE10ELNS1_11target_archE1201ELNS1_3gpuE5ELNS1_3repE0EEENS1_30default_config_static_selectorELNS0_4arch9wavefront6targetE1EEEvT1_
	.p2align	8
	.type	_ZN7rocprim17ROCPRIM_400000_NS6detail17trampoline_kernelINS0_14default_configENS1_20scan_config_selectorIfEEZZNS1_9scan_implILNS1_25lookback_scan_determinismE0ELb0ELb0ES3_N6thrust23THRUST_200600_302600_NS6detail15normal_iteratorINS9_10device_ptrIfEEEENS9_16discard_iteratorINS9_11use_defaultEEEf11max_functorIfEfEEDaPvRmT3_T4_T5_mT6_P12ihipStream_tbENKUlT_T0_E_clISt17integral_constantIbLb0EESX_EEDaSS_ST_EUlSS_E0_NS1_11comp_targetILNS1_3genE10ELNS1_11target_archE1201ELNS1_3gpuE5ELNS1_3repE0EEENS1_30default_config_static_selectorELNS0_4arch9wavefront6targetE1EEEvT1_,@function
_ZN7rocprim17ROCPRIM_400000_NS6detail17trampoline_kernelINS0_14default_configENS1_20scan_config_selectorIfEEZZNS1_9scan_implILNS1_25lookback_scan_determinismE0ELb0ELb0ES3_N6thrust23THRUST_200600_302600_NS6detail15normal_iteratorINS9_10device_ptrIfEEEENS9_16discard_iteratorINS9_11use_defaultEEEf11max_functorIfEfEEDaPvRmT3_T4_T5_mT6_P12ihipStream_tbENKUlT_T0_E_clISt17integral_constantIbLb0EESX_EEDaSS_ST_EUlSS_E0_NS1_11comp_targetILNS1_3genE10ELNS1_11target_archE1201ELNS1_3gpuE5ELNS1_3repE0EEENS1_30default_config_static_selectorELNS0_4arch9wavefront6targetE1EEEvT1_: ; @_ZN7rocprim17ROCPRIM_400000_NS6detail17trampoline_kernelINS0_14default_configENS1_20scan_config_selectorIfEEZZNS1_9scan_implILNS1_25lookback_scan_determinismE0ELb0ELb0ES3_N6thrust23THRUST_200600_302600_NS6detail15normal_iteratorINS9_10device_ptrIfEEEENS9_16discard_iteratorINS9_11use_defaultEEEf11max_functorIfEfEEDaPvRmT3_T4_T5_mT6_P12ihipStream_tbENKUlT_T0_E_clISt17integral_constantIbLb0EESX_EEDaSS_ST_EUlSS_E0_NS1_11comp_targetILNS1_3genE10ELNS1_11target_archE1201ELNS1_3gpuE5ELNS1_3repE0EEENS1_30default_config_static_selectorELNS0_4arch9wavefront6targetE1EEEvT1_
; %bb.0:
	.section	.rodata,"a",@progbits
	.p2align	6, 0x0
	.amdhsa_kernel _ZN7rocprim17ROCPRIM_400000_NS6detail17trampoline_kernelINS0_14default_configENS1_20scan_config_selectorIfEEZZNS1_9scan_implILNS1_25lookback_scan_determinismE0ELb0ELb0ES3_N6thrust23THRUST_200600_302600_NS6detail15normal_iteratorINS9_10device_ptrIfEEEENS9_16discard_iteratorINS9_11use_defaultEEEf11max_functorIfEfEEDaPvRmT3_T4_T5_mT6_P12ihipStream_tbENKUlT_T0_E_clISt17integral_constantIbLb0EESX_EEDaSS_ST_EUlSS_E0_NS1_11comp_targetILNS1_3genE10ELNS1_11target_archE1201ELNS1_3gpuE5ELNS1_3repE0EEENS1_30default_config_static_selectorELNS0_4arch9wavefront6targetE1EEEvT1_
		.amdhsa_group_segment_fixed_size 0
		.amdhsa_private_segment_fixed_size 0
		.amdhsa_kernarg_size 40
		.amdhsa_user_sgpr_count 6
		.amdhsa_user_sgpr_private_segment_buffer 1
		.amdhsa_user_sgpr_dispatch_ptr 0
		.amdhsa_user_sgpr_queue_ptr 0
		.amdhsa_user_sgpr_kernarg_segment_ptr 1
		.amdhsa_user_sgpr_dispatch_id 0
		.amdhsa_user_sgpr_flat_scratch_init 0
		.amdhsa_user_sgpr_kernarg_preload_length 0
		.amdhsa_user_sgpr_kernarg_preload_offset 0
		.amdhsa_user_sgpr_private_segment_size 0
		.amdhsa_uses_dynamic_stack 0
		.amdhsa_system_sgpr_private_segment_wavefront_offset 0
		.amdhsa_system_sgpr_workgroup_id_x 1
		.amdhsa_system_sgpr_workgroup_id_y 0
		.amdhsa_system_sgpr_workgroup_id_z 0
		.amdhsa_system_sgpr_workgroup_info 0
		.amdhsa_system_vgpr_workitem_id 0
		.amdhsa_next_free_vgpr 1
		.amdhsa_next_free_sgpr 0
		.amdhsa_accum_offset 4
		.amdhsa_reserve_vcc 0
		.amdhsa_reserve_flat_scratch 0
		.amdhsa_float_round_mode_32 0
		.amdhsa_float_round_mode_16_64 0
		.amdhsa_float_denorm_mode_32 3
		.amdhsa_float_denorm_mode_16_64 3
		.amdhsa_dx10_clamp 1
		.amdhsa_ieee_mode 1
		.amdhsa_fp16_overflow 0
		.amdhsa_tg_split 0
		.amdhsa_exception_fp_ieee_invalid_op 0
		.amdhsa_exception_fp_denorm_src 0
		.amdhsa_exception_fp_ieee_div_zero 0
		.amdhsa_exception_fp_ieee_overflow 0
		.amdhsa_exception_fp_ieee_underflow 0
		.amdhsa_exception_fp_ieee_inexact 0
		.amdhsa_exception_int_div_zero 0
	.end_amdhsa_kernel
	.section	.text._ZN7rocprim17ROCPRIM_400000_NS6detail17trampoline_kernelINS0_14default_configENS1_20scan_config_selectorIfEEZZNS1_9scan_implILNS1_25lookback_scan_determinismE0ELb0ELb0ES3_N6thrust23THRUST_200600_302600_NS6detail15normal_iteratorINS9_10device_ptrIfEEEENS9_16discard_iteratorINS9_11use_defaultEEEf11max_functorIfEfEEDaPvRmT3_T4_T5_mT6_P12ihipStream_tbENKUlT_T0_E_clISt17integral_constantIbLb0EESX_EEDaSS_ST_EUlSS_E0_NS1_11comp_targetILNS1_3genE10ELNS1_11target_archE1201ELNS1_3gpuE5ELNS1_3repE0EEENS1_30default_config_static_selectorELNS0_4arch9wavefront6targetE1EEEvT1_,"axG",@progbits,_ZN7rocprim17ROCPRIM_400000_NS6detail17trampoline_kernelINS0_14default_configENS1_20scan_config_selectorIfEEZZNS1_9scan_implILNS1_25lookback_scan_determinismE0ELb0ELb0ES3_N6thrust23THRUST_200600_302600_NS6detail15normal_iteratorINS9_10device_ptrIfEEEENS9_16discard_iteratorINS9_11use_defaultEEEf11max_functorIfEfEEDaPvRmT3_T4_T5_mT6_P12ihipStream_tbENKUlT_T0_E_clISt17integral_constantIbLb0EESX_EEDaSS_ST_EUlSS_E0_NS1_11comp_targetILNS1_3genE10ELNS1_11target_archE1201ELNS1_3gpuE5ELNS1_3repE0EEENS1_30default_config_static_selectorELNS0_4arch9wavefront6targetE1EEEvT1_,comdat
.Lfunc_end3148:
	.size	_ZN7rocprim17ROCPRIM_400000_NS6detail17trampoline_kernelINS0_14default_configENS1_20scan_config_selectorIfEEZZNS1_9scan_implILNS1_25lookback_scan_determinismE0ELb0ELb0ES3_N6thrust23THRUST_200600_302600_NS6detail15normal_iteratorINS9_10device_ptrIfEEEENS9_16discard_iteratorINS9_11use_defaultEEEf11max_functorIfEfEEDaPvRmT3_T4_T5_mT6_P12ihipStream_tbENKUlT_T0_E_clISt17integral_constantIbLb0EESX_EEDaSS_ST_EUlSS_E0_NS1_11comp_targetILNS1_3genE10ELNS1_11target_archE1201ELNS1_3gpuE5ELNS1_3repE0EEENS1_30default_config_static_selectorELNS0_4arch9wavefront6targetE1EEEvT1_, .Lfunc_end3148-_ZN7rocprim17ROCPRIM_400000_NS6detail17trampoline_kernelINS0_14default_configENS1_20scan_config_selectorIfEEZZNS1_9scan_implILNS1_25lookback_scan_determinismE0ELb0ELb0ES3_N6thrust23THRUST_200600_302600_NS6detail15normal_iteratorINS9_10device_ptrIfEEEENS9_16discard_iteratorINS9_11use_defaultEEEf11max_functorIfEfEEDaPvRmT3_T4_T5_mT6_P12ihipStream_tbENKUlT_T0_E_clISt17integral_constantIbLb0EESX_EEDaSS_ST_EUlSS_E0_NS1_11comp_targetILNS1_3genE10ELNS1_11target_archE1201ELNS1_3gpuE5ELNS1_3repE0EEENS1_30default_config_static_selectorELNS0_4arch9wavefront6targetE1EEEvT1_
                                        ; -- End function
	.section	.AMDGPU.csdata,"",@progbits
; Kernel info:
; codeLenInByte = 0
; NumSgprs: 4
; NumVgprs: 0
; NumAgprs: 0
; TotalNumVgprs: 0
; ScratchSize: 0
; MemoryBound: 0
; FloatMode: 240
; IeeeMode: 1
; LDSByteSize: 0 bytes/workgroup (compile time only)
; SGPRBlocks: 0
; VGPRBlocks: 0
; NumSGPRsForWavesPerEU: 4
; NumVGPRsForWavesPerEU: 1
; AccumOffset: 4
; Occupancy: 8
; WaveLimiterHint : 0
; COMPUTE_PGM_RSRC2:SCRATCH_EN: 0
; COMPUTE_PGM_RSRC2:USER_SGPR: 6
; COMPUTE_PGM_RSRC2:TRAP_HANDLER: 0
; COMPUTE_PGM_RSRC2:TGID_X_EN: 1
; COMPUTE_PGM_RSRC2:TGID_Y_EN: 0
; COMPUTE_PGM_RSRC2:TGID_Z_EN: 0
; COMPUTE_PGM_RSRC2:TIDIG_COMP_CNT: 0
; COMPUTE_PGM_RSRC3_GFX90A:ACCUM_OFFSET: 0
; COMPUTE_PGM_RSRC3_GFX90A:TG_SPLIT: 0
	.section	.text._ZN7rocprim17ROCPRIM_400000_NS6detail17trampoline_kernelINS0_14default_configENS1_20scan_config_selectorIfEEZZNS1_9scan_implILNS1_25lookback_scan_determinismE0ELb0ELb0ES3_N6thrust23THRUST_200600_302600_NS6detail15normal_iteratorINS9_10device_ptrIfEEEENS9_16discard_iteratorINS9_11use_defaultEEEf11max_functorIfEfEEDaPvRmT3_T4_T5_mT6_P12ihipStream_tbENKUlT_T0_E_clISt17integral_constantIbLb0EESX_EEDaSS_ST_EUlSS_E0_NS1_11comp_targetILNS1_3genE10ELNS1_11target_archE1200ELNS1_3gpuE4ELNS1_3repE0EEENS1_30default_config_static_selectorELNS0_4arch9wavefront6targetE1EEEvT1_,"axG",@progbits,_ZN7rocprim17ROCPRIM_400000_NS6detail17trampoline_kernelINS0_14default_configENS1_20scan_config_selectorIfEEZZNS1_9scan_implILNS1_25lookback_scan_determinismE0ELb0ELb0ES3_N6thrust23THRUST_200600_302600_NS6detail15normal_iteratorINS9_10device_ptrIfEEEENS9_16discard_iteratorINS9_11use_defaultEEEf11max_functorIfEfEEDaPvRmT3_T4_T5_mT6_P12ihipStream_tbENKUlT_T0_E_clISt17integral_constantIbLb0EESX_EEDaSS_ST_EUlSS_E0_NS1_11comp_targetILNS1_3genE10ELNS1_11target_archE1200ELNS1_3gpuE4ELNS1_3repE0EEENS1_30default_config_static_selectorELNS0_4arch9wavefront6targetE1EEEvT1_,comdat
	.protected	_ZN7rocprim17ROCPRIM_400000_NS6detail17trampoline_kernelINS0_14default_configENS1_20scan_config_selectorIfEEZZNS1_9scan_implILNS1_25lookback_scan_determinismE0ELb0ELb0ES3_N6thrust23THRUST_200600_302600_NS6detail15normal_iteratorINS9_10device_ptrIfEEEENS9_16discard_iteratorINS9_11use_defaultEEEf11max_functorIfEfEEDaPvRmT3_T4_T5_mT6_P12ihipStream_tbENKUlT_T0_E_clISt17integral_constantIbLb0EESX_EEDaSS_ST_EUlSS_E0_NS1_11comp_targetILNS1_3genE10ELNS1_11target_archE1200ELNS1_3gpuE4ELNS1_3repE0EEENS1_30default_config_static_selectorELNS0_4arch9wavefront6targetE1EEEvT1_ ; -- Begin function _ZN7rocprim17ROCPRIM_400000_NS6detail17trampoline_kernelINS0_14default_configENS1_20scan_config_selectorIfEEZZNS1_9scan_implILNS1_25lookback_scan_determinismE0ELb0ELb0ES3_N6thrust23THRUST_200600_302600_NS6detail15normal_iteratorINS9_10device_ptrIfEEEENS9_16discard_iteratorINS9_11use_defaultEEEf11max_functorIfEfEEDaPvRmT3_T4_T5_mT6_P12ihipStream_tbENKUlT_T0_E_clISt17integral_constantIbLb0EESX_EEDaSS_ST_EUlSS_E0_NS1_11comp_targetILNS1_3genE10ELNS1_11target_archE1200ELNS1_3gpuE4ELNS1_3repE0EEENS1_30default_config_static_selectorELNS0_4arch9wavefront6targetE1EEEvT1_
	.globl	_ZN7rocprim17ROCPRIM_400000_NS6detail17trampoline_kernelINS0_14default_configENS1_20scan_config_selectorIfEEZZNS1_9scan_implILNS1_25lookback_scan_determinismE0ELb0ELb0ES3_N6thrust23THRUST_200600_302600_NS6detail15normal_iteratorINS9_10device_ptrIfEEEENS9_16discard_iteratorINS9_11use_defaultEEEf11max_functorIfEfEEDaPvRmT3_T4_T5_mT6_P12ihipStream_tbENKUlT_T0_E_clISt17integral_constantIbLb0EESX_EEDaSS_ST_EUlSS_E0_NS1_11comp_targetILNS1_3genE10ELNS1_11target_archE1200ELNS1_3gpuE4ELNS1_3repE0EEENS1_30default_config_static_selectorELNS0_4arch9wavefront6targetE1EEEvT1_
	.p2align	8
	.type	_ZN7rocprim17ROCPRIM_400000_NS6detail17trampoline_kernelINS0_14default_configENS1_20scan_config_selectorIfEEZZNS1_9scan_implILNS1_25lookback_scan_determinismE0ELb0ELb0ES3_N6thrust23THRUST_200600_302600_NS6detail15normal_iteratorINS9_10device_ptrIfEEEENS9_16discard_iteratorINS9_11use_defaultEEEf11max_functorIfEfEEDaPvRmT3_T4_T5_mT6_P12ihipStream_tbENKUlT_T0_E_clISt17integral_constantIbLb0EESX_EEDaSS_ST_EUlSS_E0_NS1_11comp_targetILNS1_3genE10ELNS1_11target_archE1200ELNS1_3gpuE4ELNS1_3repE0EEENS1_30default_config_static_selectorELNS0_4arch9wavefront6targetE1EEEvT1_,@function
_ZN7rocprim17ROCPRIM_400000_NS6detail17trampoline_kernelINS0_14default_configENS1_20scan_config_selectorIfEEZZNS1_9scan_implILNS1_25lookback_scan_determinismE0ELb0ELb0ES3_N6thrust23THRUST_200600_302600_NS6detail15normal_iteratorINS9_10device_ptrIfEEEENS9_16discard_iteratorINS9_11use_defaultEEEf11max_functorIfEfEEDaPvRmT3_T4_T5_mT6_P12ihipStream_tbENKUlT_T0_E_clISt17integral_constantIbLb0EESX_EEDaSS_ST_EUlSS_E0_NS1_11comp_targetILNS1_3genE10ELNS1_11target_archE1200ELNS1_3gpuE4ELNS1_3repE0EEENS1_30default_config_static_selectorELNS0_4arch9wavefront6targetE1EEEvT1_: ; @_ZN7rocprim17ROCPRIM_400000_NS6detail17trampoline_kernelINS0_14default_configENS1_20scan_config_selectorIfEEZZNS1_9scan_implILNS1_25lookback_scan_determinismE0ELb0ELb0ES3_N6thrust23THRUST_200600_302600_NS6detail15normal_iteratorINS9_10device_ptrIfEEEENS9_16discard_iteratorINS9_11use_defaultEEEf11max_functorIfEfEEDaPvRmT3_T4_T5_mT6_P12ihipStream_tbENKUlT_T0_E_clISt17integral_constantIbLb0EESX_EEDaSS_ST_EUlSS_E0_NS1_11comp_targetILNS1_3genE10ELNS1_11target_archE1200ELNS1_3gpuE4ELNS1_3repE0EEENS1_30default_config_static_selectorELNS0_4arch9wavefront6targetE1EEEvT1_
; %bb.0:
	.section	.rodata,"a",@progbits
	.p2align	6, 0x0
	.amdhsa_kernel _ZN7rocprim17ROCPRIM_400000_NS6detail17trampoline_kernelINS0_14default_configENS1_20scan_config_selectorIfEEZZNS1_9scan_implILNS1_25lookback_scan_determinismE0ELb0ELb0ES3_N6thrust23THRUST_200600_302600_NS6detail15normal_iteratorINS9_10device_ptrIfEEEENS9_16discard_iteratorINS9_11use_defaultEEEf11max_functorIfEfEEDaPvRmT3_T4_T5_mT6_P12ihipStream_tbENKUlT_T0_E_clISt17integral_constantIbLb0EESX_EEDaSS_ST_EUlSS_E0_NS1_11comp_targetILNS1_3genE10ELNS1_11target_archE1200ELNS1_3gpuE4ELNS1_3repE0EEENS1_30default_config_static_selectorELNS0_4arch9wavefront6targetE1EEEvT1_
		.amdhsa_group_segment_fixed_size 0
		.amdhsa_private_segment_fixed_size 0
		.amdhsa_kernarg_size 40
		.amdhsa_user_sgpr_count 6
		.amdhsa_user_sgpr_private_segment_buffer 1
		.amdhsa_user_sgpr_dispatch_ptr 0
		.amdhsa_user_sgpr_queue_ptr 0
		.amdhsa_user_sgpr_kernarg_segment_ptr 1
		.amdhsa_user_sgpr_dispatch_id 0
		.amdhsa_user_sgpr_flat_scratch_init 0
		.amdhsa_user_sgpr_kernarg_preload_length 0
		.amdhsa_user_sgpr_kernarg_preload_offset 0
		.amdhsa_user_sgpr_private_segment_size 0
		.amdhsa_uses_dynamic_stack 0
		.amdhsa_system_sgpr_private_segment_wavefront_offset 0
		.amdhsa_system_sgpr_workgroup_id_x 1
		.amdhsa_system_sgpr_workgroup_id_y 0
		.amdhsa_system_sgpr_workgroup_id_z 0
		.amdhsa_system_sgpr_workgroup_info 0
		.amdhsa_system_vgpr_workitem_id 0
		.amdhsa_next_free_vgpr 1
		.amdhsa_next_free_sgpr 0
		.amdhsa_accum_offset 4
		.amdhsa_reserve_vcc 0
		.amdhsa_reserve_flat_scratch 0
		.amdhsa_float_round_mode_32 0
		.amdhsa_float_round_mode_16_64 0
		.amdhsa_float_denorm_mode_32 3
		.amdhsa_float_denorm_mode_16_64 3
		.amdhsa_dx10_clamp 1
		.amdhsa_ieee_mode 1
		.amdhsa_fp16_overflow 0
		.amdhsa_tg_split 0
		.amdhsa_exception_fp_ieee_invalid_op 0
		.amdhsa_exception_fp_denorm_src 0
		.amdhsa_exception_fp_ieee_div_zero 0
		.amdhsa_exception_fp_ieee_overflow 0
		.amdhsa_exception_fp_ieee_underflow 0
		.amdhsa_exception_fp_ieee_inexact 0
		.amdhsa_exception_int_div_zero 0
	.end_amdhsa_kernel
	.section	.text._ZN7rocprim17ROCPRIM_400000_NS6detail17trampoline_kernelINS0_14default_configENS1_20scan_config_selectorIfEEZZNS1_9scan_implILNS1_25lookback_scan_determinismE0ELb0ELb0ES3_N6thrust23THRUST_200600_302600_NS6detail15normal_iteratorINS9_10device_ptrIfEEEENS9_16discard_iteratorINS9_11use_defaultEEEf11max_functorIfEfEEDaPvRmT3_T4_T5_mT6_P12ihipStream_tbENKUlT_T0_E_clISt17integral_constantIbLb0EESX_EEDaSS_ST_EUlSS_E0_NS1_11comp_targetILNS1_3genE10ELNS1_11target_archE1200ELNS1_3gpuE4ELNS1_3repE0EEENS1_30default_config_static_selectorELNS0_4arch9wavefront6targetE1EEEvT1_,"axG",@progbits,_ZN7rocprim17ROCPRIM_400000_NS6detail17trampoline_kernelINS0_14default_configENS1_20scan_config_selectorIfEEZZNS1_9scan_implILNS1_25lookback_scan_determinismE0ELb0ELb0ES3_N6thrust23THRUST_200600_302600_NS6detail15normal_iteratorINS9_10device_ptrIfEEEENS9_16discard_iteratorINS9_11use_defaultEEEf11max_functorIfEfEEDaPvRmT3_T4_T5_mT6_P12ihipStream_tbENKUlT_T0_E_clISt17integral_constantIbLb0EESX_EEDaSS_ST_EUlSS_E0_NS1_11comp_targetILNS1_3genE10ELNS1_11target_archE1200ELNS1_3gpuE4ELNS1_3repE0EEENS1_30default_config_static_selectorELNS0_4arch9wavefront6targetE1EEEvT1_,comdat
.Lfunc_end3149:
	.size	_ZN7rocprim17ROCPRIM_400000_NS6detail17trampoline_kernelINS0_14default_configENS1_20scan_config_selectorIfEEZZNS1_9scan_implILNS1_25lookback_scan_determinismE0ELb0ELb0ES3_N6thrust23THRUST_200600_302600_NS6detail15normal_iteratorINS9_10device_ptrIfEEEENS9_16discard_iteratorINS9_11use_defaultEEEf11max_functorIfEfEEDaPvRmT3_T4_T5_mT6_P12ihipStream_tbENKUlT_T0_E_clISt17integral_constantIbLb0EESX_EEDaSS_ST_EUlSS_E0_NS1_11comp_targetILNS1_3genE10ELNS1_11target_archE1200ELNS1_3gpuE4ELNS1_3repE0EEENS1_30default_config_static_selectorELNS0_4arch9wavefront6targetE1EEEvT1_, .Lfunc_end3149-_ZN7rocprim17ROCPRIM_400000_NS6detail17trampoline_kernelINS0_14default_configENS1_20scan_config_selectorIfEEZZNS1_9scan_implILNS1_25lookback_scan_determinismE0ELb0ELb0ES3_N6thrust23THRUST_200600_302600_NS6detail15normal_iteratorINS9_10device_ptrIfEEEENS9_16discard_iteratorINS9_11use_defaultEEEf11max_functorIfEfEEDaPvRmT3_T4_T5_mT6_P12ihipStream_tbENKUlT_T0_E_clISt17integral_constantIbLb0EESX_EEDaSS_ST_EUlSS_E0_NS1_11comp_targetILNS1_3genE10ELNS1_11target_archE1200ELNS1_3gpuE4ELNS1_3repE0EEENS1_30default_config_static_selectorELNS0_4arch9wavefront6targetE1EEEvT1_
                                        ; -- End function
	.section	.AMDGPU.csdata,"",@progbits
; Kernel info:
; codeLenInByte = 0
; NumSgprs: 4
; NumVgprs: 0
; NumAgprs: 0
; TotalNumVgprs: 0
; ScratchSize: 0
; MemoryBound: 0
; FloatMode: 240
; IeeeMode: 1
; LDSByteSize: 0 bytes/workgroup (compile time only)
; SGPRBlocks: 0
; VGPRBlocks: 0
; NumSGPRsForWavesPerEU: 4
; NumVGPRsForWavesPerEU: 1
; AccumOffset: 4
; Occupancy: 8
; WaveLimiterHint : 0
; COMPUTE_PGM_RSRC2:SCRATCH_EN: 0
; COMPUTE_PGM_RSRC2:USER_SGPR: 6
; COMPUTE_PGM_RSRC2:TRAP_HANDLER: 0
; COMPUTE_PGM_RSRC2:TGID_X_EN: 1
; COMPUTE_PGM_RSRC2:TGID_Y_EN: 0
; COMPUTE_PGM_RSRC2:TGID_Z_EN: 0
; COMPUTE_PGM_RSRC2:TIDIG_COMP_CNT: 0
; COMPUTE_PGM_RSRC3_GFX90A:ACCUM_OFFSET: 0
; COMPUTE_PGM_RSRC3_GFX90A:TG_SPLIT: 0
	.section	.text._ZN7rocprim17ROCPRIM_400000_NS6detail17trampoline_kernelINS0_14default_configENS1_20scan_config_selectorIfEEZZNS1_9scan_implILNS1_25lookback_scan_determinismE0ELb0ELb0ES3_N6thrust23THRUST_200600_302600_NS6detail15normal_iteratorINS9_10device_ptrIfEEEENS9_16discard_iteratorINS9_11use_defaultEEEf11max_functorIfEfEEDaPvRmT3_T4_T5_mT6_P12ihipStream_tbENKUlT_T0_E_clISt17integral_constantIbLb0EESX_EEDaSS_ST_EUlSS_E0_NS1_11comp_targetILNS1_3genE9ELNS1_11target_archE1100ELNS1_3gpuE3ELNS1_3repE0EEENS1_30default_config_static_selectorELNS0_4arch9wavefront6targetE1EEEvT1_,"axG",@progbits,_ZN7rocprim17ROCPRIM_400000_NS6detail17trampoline_kernelINS0_14default_configENS1_20scan_config_selectorIfEEZZNS1_9scan_implILNS1_25lookback_scan_determinismE0ELb0ELb0ES3_N6thrust23THRUST_200600_302600_NS6detail15normal_iteratorINS9_10device_ptrIfEEEENS9_16discard_iteratorINS9_11use_defaultEEEf11max_functorIfEfEEDaPvRmT3_T4_T5_mT6_P12ihipStream_tbENKUlT_T0_E_clISt17integral_constantIbLb0EESX_EEDaSS_ST_EUlSS_E0_NS1_11comp_targetILNS1_3genE9ELNS1_11target_archE1100ELNS1_3gpuE3ELNS1_3repE0EEENS1_30default_config_static_selectorELNS0_4arch9wavefront6targetE1EEEvT1_,comdat
	.protected	_ZN7rocprim17ROCPRIM_400000_NS6detail17trampoline_kernelINS0_14default_configENS1_20scan_config_selectorIfEEZZNS1_9scan_implILNS1_25lookback_scan_determinismE0ELb0ELb0ES3_N6thrust23THRUST_200600_302600_NS6detail15normal_iteratorINS9_10device_ptrIfEEEENS9_16discard_iteratorINS9_11use_defaultEEEf11max_functorIfEfEEDaPvRmT3_T4_T5_mT6_P12ihipStream_tbENKUlT_T0_E_clISt17integral_constantIbLb0EESX_EEDaSS_ST_EUlSS_E0_NS1_11comp_targetILNS1_3genE9ELNS1_11target_archE1100ELNS1_3gpuE3ELNS1_3repE0EEENS1_30default_config_static_selectorELNS0_4arch9wavefront6targetE1EEEvT1_ ; -- Begin function _ZN7rocprim17ROCPRIM_400000_NS6detail17trampoline_kernelINS0_14default_configENS1_20scan_config_selectorIfEEZZNS1_9scan_implILNS1_25lookback_scan_determinismE0ELb0ELb0ES3_N6thrust23THRUST_200600_302600_NS6detail15normal_iteratorINS9_10device_ptrIfEEEENS9_16discard_iteratorINS9_11use_defaultEEEf11max_functorIfEfEEDaPvRmT3_T4_T5_mT6_P12ihipStream_tbENKUlT_T0_E_clISt17integral_constantIbLb0EESX_EEDaSS_ST_EUlSS_E0_NS1_11comp_targetILNS1_3genE9ELNS1_11target_archE1100ELNS1_3gpuE3ELNS1_3repE0EEENS1_30default_config_static_selectorELNS0_4arch9wavefront6targetE1EEEvT1_
	.globl	_ZN7rocprim17ROCPRIM_400000_NS6detail17trampoline_kernelINS0_14default_configENS1_20scan_config_selectorIfEEZZNS1_9scan_implILNS1_25lookback_scan_determinismE0ELb0ELb0ES3_N6thrust23THRUST_200600_302600_NS6detail15normal_iteratorINS9_10device_ptrIfEEEENS9_16discard_iteratorINS9_11use_defaultEEEf11max_functorIfEfEEDaPvRmT3_T4_T5_mT6_P12ihipStream_tbENKUlT_T0_E_clISt17integral_constantIbLb0EESX_EEDaSS_ST_EUlSS_E0_NS1_11comp_targetILNS1_3genE9ELNS1_11target_archE1100ELNS1_3gpuE3ELNS1_3repE0EEENS1_30default_config_static_selectorELNS0_4arch9wavefront6targetE1EEEvT1_
	.p2align	8
	.type	_ZN7rocprim17ROCPRIM_400000_NS6detail17trampoline_kernelINS0_14default_configENS1_20scan_config_selectorIfEEZZNS1_9scan_implILNS1_25lookback_scan_determinismE0ELb0ELb0ES3_N6thrust23THRUST_200600_302600_NS6detail15normal_iteratorINS9_10device_ptrIfEEEENS9_16discard_iteratorINS9_11use_defaultEEEf11max_functorIfEfEEDaPvRmT3_T4_T5_mT6_P12ihipStream_tbENKUlT_T0_E_clISt17integral_constantIbLb0EESX_EEDaSS_ST_EUlSS_E0_NS1_11comp_targetILNS1_3genE9ELNS1_11target_archE1100ELNS1_3gpuE3ELNS1_3repE0EEENS1_30default_config_static_selectorELNS0_4arch9wavefront6targetE1EEEvT1_,@function
_ZN7rocprim17ROCPRIM_400000_NS6detail17trampoline_kernelINS0_14default_configENS1_20scan_config_selectorIfEEZZNS1_9scan_implILNS1_25lookback_scan_determinismE0ELb0ELb0ES3_N6thrust23THRUST_200600_302600_NS6detail15normal_iteratorINS9_10device_ptrIfEEEENS9_16discard_iteratorINS9_11use_defaultEEEf11max_functorIfEfEEDaPvRmT3_T4_T5_mT6_P12ihipStream_tbENKUlT_T0_E_clISt17integral_constantIbLb0EESX_EEDaSS_ST_EUlSS_E0_NS1_11comp_targetILNS1_3genE9ELNS1_11target_archE1100ELNS1_3gpuE3ELNS1_3repE0EEENS1_30default_config_static_selectorELNS0_4arch9wavefront6targetE1EEEvT1_: ; @_ZN7rocprim17ROCPRIM_400000_NS6detail17trampoline_kernelINS0_14default_configENS1_20scan_config_selectorIfEEZZNS1_9scan_implILNS1_25lookback_scan_determinismE0ELb0ELb0ES3_N6thrust23THRUST_200600_302600_NS6detail15normal_iteratorINS9_10device_ptrIfEEEENS9_16discard_iteratorINS9_11use_defaultEEEf11max_functorIfEfEEDaPvRmT3_T4_T5_mT6_P12ihipStream_tbENKUlT_T0_E_clISt17integral_constantIbLb0EESX_EEDaSS_ST_EUlSS_E0_NS1_11comp_targetILNS1_3genE9ELNS1_11target_archE1100ELNS1_3gpuE3ELNS1_3repE0EEENS1_30default_config_static_selectorELNS0_4arch9wavefront6targetE1EEEvT1_
; %bb.0:
	.section	.rodata,"a",@progbits
	.p2align	6, 0x0
	.amdhsa_kernel _ZN7rocprim17ROCPRIM_400000_NS6detail17trampoline_kernelINS0_14default_configENS1_20scan_config_selectorIfEEZZNS1_9scan_implILNS1_25lookback_scan_determinismE0ELb0ELb0ES3_N6thrust23THRUST_200600_302600_NS6detail15normal_iteratorINS9_10device_ptrIfEEEENS9_16discard_iteratorINS9_11use_defaultEEEf11max_functorIfEfEEDaPvRmT3_T4_T5_mT6_P12ihipStream_tbENKUlT_T0_E_clISt17integral_constantIbLb0EESX_EEDaSS_ST_EUlSS_E0_NS1_11comp_targetILNS1_3genE9ELNS1_11target_archE1100ELNS1_3gpuE3ELNS1_3repE0EEENS1_30default_config_static_selectorELNS0_4arch9wavefront6targetE1EEEvT1_
		.amdhsa_group_segment_fixed_size 0
		.amdhsa_private_segment_fixed_size 0
		.amdhsa_kernarg_size 40
		.amdhsa_user_sgpr_count 6
		.amdhsa_user_sgpr_private_segment_buffer 1
		.amdhsa_user_sgpr_dispatch_ptr 0
		.amdhsa_user_sgpr_queue_ptr 0
		.amdhsa_user_sgpr_kernarg_segment_ptr 1
		.amdhsa_user_sgpr_dispatch_id 0
		.amdhsa_user_sgpr_flat_scratch_init 0
		.amdhsa_user_sgpr_kernarg_preload_length 0
		.amdhsa_user_sgpr_kernarg_preload_offset 0
		.amdhsa_user_sgpr_private_segment_size 0
		.amdhsa_uses_dynamic_stack 0
		.amdhsa_system_sgpr_private_segment_wavefront_offset 0
		.amdhsa_system_sgpr_workgroup_id_x 1
		.amdhsa_system_sgpr_workgroup_id_y 0
		.amdhsa_system_sgpr_workgroup_id_z 0
		.amdhsa_system_sgpr_workgroup_info 0
		.amdhsa_system_vgpr_workitem_id 0
		.amdhsa_next_free_vgpr 1
		.amdhsa_next_free_sgpr 0
		.amdhsa_accum_offset 4
		.amdhsa_reserve_vcc 0
		.amdhsa_reserve_flat_scratch 0
		.amdhsa_float_round_mode_32 0
		.amdhsa_float_round_mode_16_64 0
		.amdhsa_float_denorm_mode_32 3
		.amdhsa_float_denorm_mode_16_64 3
		.amdhsa_dx10_clamp 1
		.amdhsa_ieee_mode 1
		.amdhsa_fp16_overflow 0
		.amdhsa_tg_split 0
		.amdhsa_exception_fp_ieee_invalid_op 0
		.amdhsa_exception_fp_denorm_src 0
		.amdhsa_exception_fp_ieee_div_zero 0
		.amdhsa_exception_fp_ieee_overflow 0
		.amdhsa_exception_fp_ieee_underflow 0
		.amdhsa_exception_fp_ieee_inexact 0
		.amdhsa_exception_int_div_zero 0
	.end_amdhsa_kernel
	.section	.text._ZN7rocprim17ROCPRIM_400000_NS6detail17trampoline_kernelINS0_14default_configENS1_20scan_config_selectorIfEEZZNS1_9scan_implILNS1_25lookback_scan_determinismE0ELb0ELb0ES3_N6thrust23THRUST_200600_302600_NS6detail15normal_iteratorINS9_10device_ptrIfEEEENS9_16discard_iteratorINS9_11use_defaultEEEf11max_functorIfEfEEDaPvRmT3_T4_T5_mT6_P12ihipStream_tbENKUlT_T0_E_clISt17integral_constantIbLb0EESX_EEDaSS_ST_EUlSS_E0_NS1_11comp_targetILNS1_3genE9ELNS1_11target_archE1100ELNS1_3gpuE3ELNS1_3repE0EEENS1_30default_config_static_selectorELNS0_4arch9wavefront6targetE1EEEvT1_,"axG",@progbits,_ZN7rocprim17ROCPRIM_400000_NS6detail17trampoline_kernelINS0_14default_configENS1_20scan_config_selectorIfEEZZNS1_9scan_implILNS1_25lookback_scan_determinismE0ELb0ELb0ES3_N6thrust23THRUST_200600_302600_NS6detail15normal_iteratorINS9_10device_ptrIfEEEENS9_16discard_iteratorINS9_11use_defaultEEEf11max_functorIfEfEEDaPvRmT3_T4_T5_mT6_P12ihipStream_tbENKUlT_T0_E_clISt17integral_constantIbLb0EESX_EEDaSS_ST_EUlSS_E0_NS1_11comp_targetILNS1_3genE9ELNS1_11target_archE1100ELNS1_3gpuE3ELNS1_3repE0EEENS1_30default_config_static_selectorELNS0_4arch9wavefront6targetE1EEEvT1_,comdat
.Lfunc_end3150:
	.size	_ZN7rocprim17ROCPRIM_400000_NS6detail17trampoline_kernelINS0_14default_configENS1_20scan_config_selectorIfEEZZNS1_9scan_implILNS1_25lookback_scan_determinismE0ELb0ELb0ES3_N6thrust23THRUST_200600_302600_NS6detail15normal_iteratorINS9_10device_ptrIfEEEENS9_16discard_iteratorINS9_11use_defaultEEEf11max_functorIfEfEEDaPvRmT3_T4_T5_mT6_P12ihipStream_tbENKUlT_T0_E_clISt17integral_constantIbLb0EESX_EEDaSS_ST_EUlSS_E0_NS1_11comp_targetILNS1_3genE9ELNS1_11target_archE1100ELNS1_3gpuE3ELNS1_3repE0EEENS1_30default_config_static_selectorELNS0_4arch9wavefront6targetE1EEEvT1_, .Lfunc_end3150-_ZN7rocprim17ROCPRIM_400000_NS6detail17trampoline_kernelINS0_14default_configENS1_20scan_config_selectorIfEEZZNS1_9scan_implILNS1_25lookback_scan_determinismE0ELb0ELb0ES3_N6thrust23THRUST_200600_302600_NS6detail15normal_iteratorINS9_10device_ptrIfEEEENS9_16discard_iteratorINS9_11use_defaultEEEf11max_functorIfEfEEDaPvRmT3_T4_T5_mT6_P12ihipStream_tbENKUlT_T0_E_clISt17integral_constantIbLb0EESX_EEDaSS_ST_EUlSS_E0_NS1_11comp_targetILNS1_3genE9ELNS1_11target_archE1100ELNS1_3gpuE3ELNS1_3repE0EEENS1_30default_config_static_selectorELNS0_4arch9wavefront6targetE1EEEvT1_
                                        ; -- End function
	.section	.AMDGPU.csdata,"",@progbits
; Kernel info:
; codeLenInByte = 0
; NumSgprs: 4
; NumVgprs: 0
; NumAgprs: 0
; TotalNumVgprs: 0
; ScratchSize: 0
; MemoryBound: 0
; FloatMode: 240
; IeeeMode: 1
; LDSByteSize: 0 bytes/workgroup (compile time only)
; SGPRBlocks: 0
; VGPRBlocks: 0
; NumSGPRsForWavesPerEU: 4
; NumVGPRsForWavesPerEU: 1
; AccumOffset: 4
; Occupancy: 8
; WaveLimiterHint : 0
; COMPUTE_PGM_RSRC2:SCRATCH_EN: 0
; COMPUTE_PGM_RSRC2:USER_SGPR: 6
; COMPUTE_PGM_RSRC2:TRAP_HANDLER: 0
; COMPUTE_PGM_RSRC2:TGID_X_EN: 1
; COMPUTE_PGM_RSRC2:TGID_Y_EN: 0
; COMPUTE_PGM_RSRC2:TGID_Z_EN: 0
; COMPUTE_PGM_RSRC2:TIDIG_COMP_CNT: 0
; COMPUTE_PGM_RSRC3_GFX90A:ACCUM_OFFSET: 0
; COMPUTE_PGM_RSRC3_GFX90A:TG_SPLIT: 0
	.section	.text._ZN7rocprim17ROCPRIM_400000_NS6detail17trampoline_kernelINS0_14default_configENS1_20scan_config_selectorIfEEZZNS1_9scan_implILNS1_25lookback_scan_determinismE0ELb0ELb0ES3_N6thrust23THRUST_200600_302600_NS6detail15normal_iteratorINS9_10device_ptrIfEEEENS9_16discard_iteratorINS9_11use_defaultEEEf11max_functorIfEfEEDaPvRmT3_T4_T5_mT6_P12ihipStream_tbENKUlT_T0_E_clISt17integral_constantIbLb0EESX_EEDaSS_ST_EUlSS_E0_NS1_11comp_targetILNS1_3genE8ELNS1_11target_archE1030ELNS1_3gpuE2ELNS1_3repE0EEENS1_30default_config_static_selectorELNS0_4arch9wavefront6targetE1EEEvT1_,"axG",@progbits,_ZN7rocprim17ROCPRIM_400000_NS6detail17trampoline_kernelINS0_14default_configENS1_20scan_config_selectorIfEEZZNS1_9scan_implILNS1_25lookback_scan_determinismE0ELb0ELb0ES3_N6thrust23THRUST_200600_302600_NS6detail15normal_iteratorINS9_10device_ptrIfEEEENS9_16discard_iteratorINS9_11use_defaultEEEf11max_functorIfEfEEDaPvRmT3_T4_T5_mT6_P12ihipStream_tbENKUlT_T0_E_clISt17integral_constantIbLb0EESX_EEDaSS_ST_EUlSS_E0_NS1_11comp_targetILNS1_3genE8ELNS1_11target_archE1030ELNS1_3gpuE2ELNS1_3repE0EEENS1_30default_config_static_selectorELNS0_4arch9wavefront6targetE1EEEvT1_,comdat
	.protected	_ZN7rocprim17ROCPRIM_400000_NS6detail17trampoline_kernelINS0_14default_configENS1_20scan_config_selectorIfEEZZNS1_9scan_implILNS1_25lookback_scan_determinismE0ELb0ELb0ES3_N6thrust23THRUST_200600_302600_NS6detail15normal_iteratorINS9_10device_ptrIfEEEENS9_16discard_iteratorINS9_11use_defaultEEEf11max_functorIfEfEEDaPvRmT3_T4_T5_mT6_P12ihipStream_tbENKUlT_T0_E_clISt17integral_constantIbLb0EESX_EEDaSS_ST_EUlSS_E0_NS1_11comp_targetILNS1_3genE8ELNS1_11target_archE1030ELNS1_3gpuE2ELNS1_3repE0EEENS1_30default_config_static_selectorELNS0_4arch9wavefront6targetE1EEEvT1_ ; -- Begin function _ZN7rocprim17ROCPRIM_400000_NS6detail17trampoline_kernelINS0_14default_configENS1_20scan_config_selectorIfEEZZNS1_9scan_implILNS1_25lookback_scan_determinismE0ELb0ELb0ES3_N6thrust23THRUST_200600_302600_NS6detail15normal_iteratorINS9_10device_ptrIfEEEENS9_16discard_iteratorINS9_11use_defaultEEEf11max_functorIfEfEEDaPvRmT3_T4_T5_mT6_P12ihipStream_tbENKUlT_T0_E_clISt17integral_constantIbLb0EESX_EEDaSS_ST_EUlSS_E0_NS1_11comp_targetILNS1_3genE8ELNS1_11target_archE1030ELNS1_3gpuE2ELNS1_3repE0EEENS1_30default_config_static_selectorELNS0_4arch9wavefront6targetE1EEEvT1_
	.globl	_ZN7rocprim17ROCPRIM_400000_NS6detail17trampoline_kernelINS0_14default_configENS1_20scan_config_selectorIfEEZZNS1_9scan_implILNS1_25lookback_scan_determinismE0ELb0ELb0ES3_N6thrust23THRUST_200600_302600_NS6detail15normal_iteratorINS9_10device_ptrIfEEEENS9_16discard_iteratorINS9_11use_defaultEEEf11max_functorIfEfEEDaPvRmT3_T4_T5_mT6_P12ihipStream_tbENKUlT_T0_E_clISt17integral_constantIbLb0EESX_EEDaSS_ST_EUlSS_E0_NS1_11comp_targetILNS1_3genE8ELNS1_11target_archE1030ELNS1_3gpuE2ELNS1_3repE0EEENS1_30default_config_static_selectorELNS0_4arch9wavefront6targetE1EEEvT1_
	.p2align	8
	.type	_ZN7rocprim17ROCPRIM_400000_NS6detail17trampoline_kernelINS0_14default_configENS1_20scan_config_selectorIfEEZZNS1_9scan_implILNS1_25lookback_scan_determinismE0ELb0ELb0ES3_N6thrust23THRUST_200600_302600_NS6detail15normal_iteratorINS9_10device_ptrIfEEEENS9_16discard_iteratorINS9_11use_defaultEEEf11max_functorIfEfEEDaPvRmT3_T4_T5_mT6_P12ihipStream_tbENKUlT_T0_E_clISt17integral_constantIbLb0EESX_EEDaSS_ST_EUlSS_E0_NS1_11comp_targetILNS1_3genE8ELNS1_11target_archE1030ELNS1_3gpuE2ELNS1_3repE0EEENS1_30default_config_static_selectorELNS0_4arch9wavefront6targetE1EEEvT1_,@function
_ZN7rocprim17ROCPRIM_400000_NS6detail17trampoline_kernelINS0_14default_configENS1_20scan_config_selectorIfEEZZNS1_9scan_implILNS1_25lookback_scan_determinismE0ELb0ELb0ES3_N6thrust23THRUST_200600_302600_NS6detail15normal_iteratorINS9_10device_ptrIfEEEENS9_16discard_iteratorINS9_11use_defaultEEEf11max_functorIfEfEEDaPvRmT3_T4_T5_mT6_P12ihipStream_tbENKUlT_T0_E_clISt17integral_constantIbLb0EESX_EEDaSS_ST_EUlSS_E0_NS1_11comp_targetILNS1_3genE8ELNS1_11target_archE1030ELNS1_3gpuE2ELNS1_3repE0EEENS1_30default_config_static_selectorELNS0_4arch9wavefront6targetE1EEEvT1_: ; @_ZN7rocprim17ROCPRIM_400000_NS6detail17trampoline_kernelINS0_14default_configENS1_20scan_config_selectorIfEEZZNS1_9scan_implILNS1_25lookback_scan_determinismE0ELb0ELb0ES3_N6thrust23THRUST_200600_302600_NS6detail15normal_iteratorINS9_10device_ptrIfEEEENS9_16discard_iteratorINS9_11use_defaultEEEf11max_functorIfEfEEDaPvRmT3_T4_T5_mT6_P12ihipStream_tbENKUlT_T0_E_clISt17integral_constantIbLb0EESX_EEDaSS_ST_EUlSS_E0_NS1_11comp_targetILNS1_3genE8ELNS1_11target_archE1030ELNS1_3gpuE2ELNS1_3repE0EEENS1_30default_config_static_selectorELNS0_4arch9wavefront6targetE1EEEvT1_
; %bb.0:
	.section	.rodata,"a",@progbits
	.p2align	6, 0x0
	.amdhsa_kernel _ZN7rocprim17ROCPRIM_400000_NS6detail17trampoline_kernelINS0_14default_configENS1_20scan_config_selectorIfEEZZNS1_9scan_implILNS1_25lookback_scan_determinismE0ELb0ELb0ES3_N6thrust23THRUST_200600_302600_NS6detail15normal_iteratorINS9_10device_ptrIfEEEENS9_16discard_iteratorINS9_11use_defaultEEEf11max_functorIfEfEEDaPvRmT3_T4_T5_mT6_P12ihipStream_tbENKUlT_T0_E_clISt17integral_constantIbLb0EESX_EEDaSS_ST_EUlSS_E0_NS1_11comp_targetILNS1_3genE8ELNS1_11target_archE1030ELNS1_3gpuE2ELNS1_3repE0EEENS1_30default_config_static_selectorELNS0_4arch9wavefront6targetE1EEEvT1_
		.amdhsa_group_segment_fixed_size 0
		.amdhsa_private_segment_fixed_size 0
		.amdhsa_kernarg_size 40
		.amdhsa_user_sgpr_count 6
		.amdhsa_user_sgpr_private_segment_buffer 1
		.amdhsa_user_sgpr_dispatch_ptr 0
		.amdhsa_user_sgpr_queue_ptr 0
		.amdhsa_user_sgpr_kernarg_segment_ptr 1
		.amdhsa_user_sgpr_dispatch_id 0
		.amdhsa_user_sgpr_flat_scratch_init 0
		.amdhsa_user_sgpr_kernarg_preload_length 0
		.amdhsa_user_sgpr_kernarg_preload_offset 0
		.amdhsa_user_sgpr_private_segment_size 0
		.amdhsa_uses_dynamic_stack 0
		.amdhsa_system_sgpr_private_segment_wavefront_offset 0
		.amdhsa_system_sgpr_workgroup_id_x 1
		.amdhsa_system_sgpr_workgroup_id_y 0
		.amdhsa_system_sgpr_workgroup_id_z 0
		.amdhsa_system_sgpr_workgroup_info 0
		.amdhsa_system_vgpr_workitem_id 0
		.amdhsa_next_free_vgpr 1
		.amdhsa_next_free_sgpr 0
		.amdhsa_accum_offset 4
		.amdhsa_reserve_vcc 0
		.amdhsa_reserve_flat_scratch 0
		.amdhsa_float_round_mode_32 0
		.amdhsa_float_round_mode_16_64 0
		.amdhsa_float_denorm_mode_32 3
		.amdhsa_float_denorm_mode_16_64 3
		.amdhsa_dx10_clamp 1
		.amdhsa_ieee_mode 1
		.amdhsa_fp16_overflow 0
		.amdhsa_tg_split 0
		.amdhsa_exception_fp_ieee_invalid_op 0
		.amdhsa_exception_fp_denorm_src 0
		.amdhsa_exception_fp_ieee_div_zero 0
		.amdhsa_exception_fp_ieee_overflow 0
		.amdhsa_exception_fp_ieee_underflow 0
		.amdhsa_exception_fp_ieee_inexact 0
		.amdhsa_exception_int_div_zero 0
	.end_amdhsa_kernel
	.section	.text._ZN7rocprim17ROCPRIM_400000_NS6detail17trampoline_kernelINS0_14default_configENS1_20scan_config_selectorIfEEZZNS1_9scan_implILNS1_25lookback_scan_determinismE0ELb0ELb0ES3_N6thrust23THRUST_200600_302600_NS6detail15normal_iteratorINS9_10device_ptrIfEEEENS9_16discard_iteratorINS9_11use_defaultEEEf11max_functorIfEfEEDaPvRmT3_T4_T5_mT6_P12ihipStream_tbENKUlT_T0_E_clISt17integral_constantIbLb0EESX_EEDaSS_ST_EUlSS_E0_NS1_11comp_targetILNS1_3genE8ELNS1_11target_archE1030ELNS1_3gpuE2ELNS1_3repE0EEENS1_30default_config_static_selectorELNS0_4arch9wavefront6targetE1EEEvT1_,"axG",@progbits,_ZN7rocprim17ROCPRIM_400000_NS6detail17trampoline_kernelINS0_14default_configENS1_20scan_config_selectorIfEEZZNS1_9scan_implILNS1_25lookback_scan_determinismE0ELb0ELb0ES3_N6thrust23THRUST_200600_302600_NS6detail15normal_iteratorINS9_10device_ptrIfEEEENS9_16discard_iteratorINS9_11use_defaultEEEf11max_functorIfEfEEDaPvRmT3_T4_T5_mT6_P12ihipStream_tbENKUlT_T0_E_clISt17integral_constantIbLb0EESX_EEDaSS_ST_EUlSS_E0_NS1_11comp_targetILNS1_3genE8ELNS1_11target_archE1030ELNS1_3gpuE2ELNS1_3repE0EEENS1_30default_config_static_selectorELNS0_4arch9wavefront6targetE1EEEvT1_,comdat
.Lfunc_end3151:
	.size	_ZN7rocprim17ROCPRIM_400000_NS6detail17trampoline_kernelINS0_14default_configENS1_20scan_config_selectorIfEEZZNS1_9scan_implILNS1_25lookback_scan_determinismE0ELb0ELb0ES3_N6thrust23THRUST_200600_302600_NS6detail15normal_iteratorINS9_10device_ptrIfEEEENS9_16discard_iteratorINS9_11use_defaultEEEf11max_functorIfEfEEDaPvRmT3_T4_T5_mT6_P12ihipStream_tbENKUlT_T0_E_clISt17integral_constantIbLb0EESX_EEDaSS_ST_EUlSS_E0_NS1_11comp_targetILNS1_3genE8ELNS1_11target_archE1030ELNS1_3gpuE2ELNS1_3repE0EEENS1_30default_config_static_selectorELNS0_4arch9wavefront6targetE1EEEvT1_, .Lfunc_end3151-_ZN7rocprim17ROCPRIM_400000_NS6detail17trampoline_kernelINS0_14default_configENS1_20scan_config_selectorIfEEZZNS1_9scan_implILNS1_25lookback_scan_determinismE0ELb0ELb0ES3_N6thrust23THRUST_200600_302600_NS6detail15normal_iteratorINS9_10device_ptrIfEEEENS9_16discard_iteratorINS9_11use_defaultEEEf11max_functorIfEfEEDaPvRmT3_T4_T5_mT6_P12ihipStream_tbENKUlT_T0_E_clISt17integral_constantIbLb0EESX_EEDaSS_ST_EUlSS_E0_NS1_11comp_targetILNS1_3genE8ELNS1_11target_archE1030ELNS1_3gpuE2ELNS1_3repE0EEENS1_30default_config_static_selectorELNS0_4arch9wavefront6targetE1EEEvT1_
                                        ; -- End function
	.section	.AMDGPU.csdata,"",@progbits
; Kernel info:
; codeLenInByte = 0
; NumSgprs: 4
; NumVgprs: 0
; NumAgprs: 0
; TotalNumVgprs: 0
; ScratchSize: 0
; MemoryBound: 0
; FloatMode: 240
; IeeeMode: 1
; LDSByteSize: 0 bytes/workgroup (compile time only)
; SGPRBlocks: 0
; VGPRBlocks: 0
; NumSGPRsForWavesPerEU: 4
; NumVGPRsForWavesPerEU: 1
; AccumOffset: 4
; Occupancy: 8
; WaveLimiterHint : 0
; COMPUTE_PGM_RSRC2:SCRATCH_EN: 0
; COMPUTE_PGM_RSRC2:USER_SGPR: 6
; COMPUTE_PGM_RSRC2:TRAP_HANDLER: 0
; COMPUTE_PGM_RSRC2:TGID_X_EN: 1
; COMPUTE_PGM_RSRC2:TGID_Y_EN: 0
; COMPUTE_PGM_RSRC2:TGID_Z_EN: 0
; COMPUTE_PGM_RSRC2:TIDIG_COMP_CNT: 0
; COMPUTE_PGM_RSRC3_GFX90A:ACCUM_OFFSET: 0
; COMPUTE_PGM_RSRC3_GFX90A:TG_SPLIT: 0
	.section	.text._ZN7rocprim17ROCPRIM_400000_NS6detail17trampoline_kernelINS0_14default_configENS1_20scan_config_selectorIfEEZZNS1_9scan_implILNS1_25lookback_scan_determinismE0ELb0ELb0ES3_N6thrust23THRUST_200600_302600_NS6detail15normal_iteratorINS9_10device_ptrIfEEEENS9_16discard_iteratorINS9_11use_defaultEEEf11max_functorIfEfEEDaPvRmT3_T4_T5_mT6_P12ihipStream_tbENKUlT_T0_E_clISt17integral_constantIbLb1EESX_EEDaSS_ST_EUlSS_E_NS1_11comp_targetILNS1_3genE0ELNS1_11target_archE4294967295ELNS1_3gpuE0ELNS1_3repE0EEENS1_30default_config_static_selectorELNS0_4arch9wavefront6targetE1EEEvT1_,"axG",@progbits,_ZN7rocprim17ROCPRIM_400000_NS6detail17trampoline_kernelINS0_14default_configENS1_20scan_config_selectorIfEEZZNS1_9scan_implILNS1_25lookback_scan_determinismE0ELb0ELb0ES3_N6thrust23THRUST_200600_302600_NS6detail15normal_iteratorINS9_10device_ptrIfEEEENS9_16discard_iteratorINS9_11use_defaultEEEf11max_functorIfEfEEDaPvRmT3_T4_T5_mT6_P12ihipStream_tbENKUlT_T0_E_clISt17integral_constantIbLb1EESX_EEDaSS_ST_EUlSS_E_NS1_11comp_targetILNS1_3genE0ELNS1_11target_archE4294967295ELNS1_3gpuE0ELNS1_3repE0EEENS1_30default_config_static_selectorELNS0_4arch9wavefront6targetE1EEEvT1_,comdat
	.protected	_ZN7rocprim17ROCPRIM_400000_NS6detail17trampoline_kernelINS0_14default_configENS1_20scan_config_selectorIfEEZZNS1_9scan_implILNS1_25lookback_scan_determinismE0ELb0ELb0ES3_N6thrust23THRUST_200600_302600_NS6detail15normal_iteratorINS9_10device_ptrIfEEEENS9_16discard_iteratorINS9_11use_defaultEEEf11max_functorIfEfEEDaPvRmT3_T4_T5_mT6_P12ihipStream_tbENKUlT_T0_E_clISt17integral_constantIbLb1EESX_EEDaSS_ST_EUlSS_E_NS1_11comp_targetILNS1_3genE0ELNS1_11target_archE4294967295ELNS1_3gpuE0ELNS1_3repE0EEENS1_30default_config_static_selectorELNS0_4arch9wavefront6targetE1EEEvT1_ ; -- Begin function _ZN7rocprim17ROCPRIM_400000_NS6detail17trampoline_kernelINS0_14default_configENS1_20scan_config_selectorIfEEZZNS1_9scan_implILNS1_25lookback_scan_determinismE0ELb0ELb0ES3_N6thrust23THRUST_200600_302600_NS6detail15normal_iteratorINS9_10device_ptrIfEEEENS9_16discard_iteratorINS9_11use_defaultEEEf11max_functorIfEfEEDaPvRmT3_T4_T5_mT6_P12ihipStream_tbENKUlT_T0_E_clISt17integral_constantIbLb1EESX_EEDaSS_ST_EUlSS_E_NS1_11comp_targetILNS1_3genE0ELNS1_11target_archE4294967295ELNS1_3gpuE0ELNS1_3repE0EEENS1_30default_config_static_selectorELNS0_4arch9wavefront6targetE1EEEvT1_
	.globl	_ZN7rocprim17ROCPRIM_400000_NS6detail17trampoline_kernelINS0_14default_configENS1_20scan_config_selectorIfEEZZNS1_9scan_implILNS1_25lookback_scan_determinismE0ELb0ELb0ES3_N6thrust23THRUST_200600_302600_NS6detail15normal_iteratorINS9_10device_ptrIfEEEENS9_16discard_iteratorINS9_11use_defaultEEEf11max_functorIfEfEEDaPvRmT3_T4_T5_mT6_P12ihipStream_tbENKUlT_T0_E_clISt17integral_constantIbLb1EESX_EEDaSS_ST_EUlSS_E_NS1_11comp_targetILNS1_3genE0ELNS1_11target_archE4294967295ELNS1_3gpuE0ELNS1_3repE0EEENS1_30default_config_static_selectorELNS0_4arch9wavefront6targetE1EEEvT1_
	.p2align	8
	.type	_ZN7rocprim17ROCPRIM_400000_NS6detail17trampoline_kernelINS0_14default_configENS1_20scan_config_selectorIfEEZZNS1_9scan_implILNS1_25lookback_scan_determinismE0ELb0ELb0ES3_N6thrust23THRUST_200600_302600_NS6detail15normal_iteratorINS9_10device_ptrIfEEEENS9_16discard_iteratorINS9_11use_defaultEEEf11max_functorIfEfEEDaPvRmT3_T4_T5_mT6_P12ihipStream_tbENKUlT_T0_E_clISt17integral_constantIbLb1EESX_EEDaSS_ST_EUlSS_E_NS1_11comp_targetILNS1_3genE0ELNS1_11target_archE4294967295ELNS1_3gpuE0ELNS1_3repE0EEENS1_30default_config_static_selectorELNS0_4arch9wavefront6targetE1EEEvT1_,@function
_ZN7rocprim17ROCPRIM_400000_NS6detail17trampoline_kernelINS0_14default_configENS1_20scan_config_selectorIfEEZZNS1_9scan_implILNS1_25lookback_scan_determinismE0ELb0ELb0ES3_N6thrust23THRUST_200600_302600_NS6detail15normal_iteratorINS9_10device_ptrIfEEEENS9_16discard_iteratorINS9_11use_defaultEEEf11max_functorIfEfEEDaPvRmT3_T4_T5_mT6_P12ihipStream_tbENKUlT_T0_E_clISt17integral_constantIbLb1EESX_EEDaSS_ST_EUlSS_E_NS1_11comp_targetILNS1_3genE0ELNS1_11target_archE4294967295ELNS1_3gpuE0ELNS1_3repE0EEENS1_30default_config_static_selectorELNS0_4arch9wavefront6targetE1EEEvT1_: ; @_ZN7rocprim17ROCPRIM_400000_NS6detail17trampoline_kernelINS0_14default_configENS1_20scan_config_selectorIfEEZZNS1_9scan_implILNS1_25lookback_scan_determinismE0ELb0ELb0ES3_N6thrust23THRUST_200600_302600_NS6detail15normal_iteratorINS9_10device_ptrIfEEEENS9_16discard_iteratorINS9_11use_defaultEEEf11max_functorIfEfEEDaPvRmT3_T4_T5_mT6_P12ihipStream_tbENKUlT_T0_E_clISt17integral_constantIbLb1EESX_EEDaSS_ST_EUlSS_E_NS1_11comp_targetILNS1_3genE0ELNS1_11target_archE4294967295ELNS1_3gpuE0ELNS1_3repE0EEENS1_30default_config_static_selectorELNS0_4arch9wavefront6targetE1EEEvT1_
; %bb.0:
	.section	.rodata,"a",@progbits
	.p2align	6, 0x0
	.amdhsa_kernel _ZN7rocprim17ROCPRIM_400000_NS6detail17trampoline_kernelINS0_14default_configENS1_20scan_config_selectorIfEEZZNS1_9scan_implILNS1_25lookback_scan_determinismE0ELb0ELb0ES3_N6thrust23THRUST_200600_302600_NS6detail15normal_iteratorINS9_10device_ptrIfEEEENS9_16discard_iteratorINS9_11use_defaultEEEf11max_functorIfEfEEDaPvRmT3_T4_T5_mT6_P12ihipStream_tbENKUlT_T0_E_clISt17integral_constantIbLb1EESX_EEDaSS_ST_EUlSS_E_NS1_11comp_targetILNS1_3genE0ELNS1_11target_archE4294967295ELNS1_3gpuE0ELNS1_3repE0EEENS1_30default_config_static_selectorELNS0_4arch9wavefront6targetE1EEEvT1_
		.amdhsa_group_segment_fixed_size 0
		.amdhsa_private_segment_fixed_size 0
		.amdhsa_kernarg_size 104
		.amdhsa_user_sgpr_count 6
		.amdhsa_user_sgpr_private_segment_buffer 1
		.amdhsa_user_sgpr_dispatch_ptr 0
		.amdhsa_user_sgpr_queue_ptr 0
		.amdhsa_user_sgpr_kernarg_segment_ptr 1
		.amdhsa_user_sgpr_dispatch_id 0
		.amdhsa_user_sgpr_flat_scratch_init 0
		.amdhsa_user_sgpr_kernarg_preload_length 0
		.amdhsa_user_sgpr_kernarg_preload_offset 0
		.amdhsa_user_sgpr_private_segment_size 0
		.amdhsa_uses_dynamic_stack 0
		.amdhsa_system_sgpr_private_segment_wavefront_offset 0
		.amdhsa_system_sgpr_workgroup_id_x 1
		.amdhsa_system_sgpr_workgroup_id_y 0
		.amdhsa_system_sgpr_workgroup_id_z 0
		.amdhsa_system_sgpr_workgroup_info 0
		.amdhsa_system_vgpr_workitem_id 0
		.amdhsa_next_free_vgpr 1
		.amdhsa_next_free_sgpr 0
		.amdhsa_accum_offset 4
		.amdhsa_reserve_vcc 0
		.amdhsa_reserve_flat_scratch 0
		.amdhsa_float_round_mode_32 0
		.amdhsa_float_round_mode_16_64 0
		.amdhsa_float_denorm_mode_32 3
		.amdhsa_float_denorm_mode_16_64 3
		.amdhsa_dx10_clamp 1
		.amdhsa_ieee_mode 1
		.amdhsa_fp16_overflow 0
		.amdhsa_tg_split 0
		.amdhsa_exception_fp_ieee_invalid_op 0
		.amdhsa_exception_fp_denorm_src 0
		.amdhsa_exception_fp_ieee_div_zero 0
		.amdhsa_exception_fp_ieee_overflow 0
		.amdhsa_exception_fp_ieee_underflow 0
		.amdhsa_exception_fp_ieee_inexact 0
		.amdhsa_exception_int_div_zero 0
	.end_amdhsa_kernel
	.section	.text._ZN7rocprim17ROCPRIM_400000_NS6detail17trampoline_kernelINS0_14default_configENS1_20scan_config_selectorIfEEZZNS1_9scan_implILNS1_25lookback_scan_determinismE0ELb0ELb0ES3_N6thrust23THRUST_200600_302600_NS6detail15normal_iteratorINS9_10device_ptrIfEEEENS9_16discard_iteratorINS9_11use_defaultEEEf11max_functorIfEfEEDaPvRmT3_T4_T5_mT6_P12ihipStream_tbENKUlT_T0_E_clISt17integral_constantIbLb1EESX_EEDaSS_ST_EUlSS_E_NS1_11comp_targetILNS1_3genE0ELNS1_11target_archE4294967295ELNS1_3gpuE0ELNS1_3repE0EEENS1_30default_config_static_selectorELNS0_4arch9wavefront6targetE1EEEvT1_,"axG",@progbits,_ZN7rocprim17ROCPRIM_400000_NS6detail17trampoline_kernelINS0_14default_configENS1_20scan_config_selectorIfEEZZNS1_9scan_implILNS1_25lookback_scan_determinismE0ELb0ELb0ES3_N6thrust23THRUST_200600_302600_NS6detail15normal_iteratorINS9_10device_ptrIfEEEENS9_16discard_iteratorINS9_11use_defaultEEEf11max_functorIfEfEEDaPvRmT3_T4_T5_mT6_P12ihipStream_tbENKUlT_T0_E_clISt17integral_constantIbLb1EESX_EEDaSS_ST_EUlSS_E_NS1_11comp_targetILNS1_3genE0ELNS1_11target_archE4294967295ELNS1_3gpuE0ELNS1_3repE0EEENS1_30default_config_static_selectorELNS0_4arch9wavefront6targetE1EEEvT1_,comdat
.Lfunc_end3152:
	.size	_ZN7rocprim17ROCPRIM_400000_NS6detail17trampoline_kernelINS0_14default_configENS1_20scan_config_selectorIfEEZZNS1_9scan_implILNS1_25lookback_scan_determinismE0ELb0ELb0ES3_N6thrust23THRUST_200600_302600_NS6detail15normal_iteratorINS9_10device_ptrIfEEEENS9_16discard_iteratorINS9_11use_defaultEEEf11max_functorIfEfEEDaPvRmT3_T4_T5_mT6_P12ihipStream_tbENKUlT_T0_E_clISt17integral_constantIbLb1EESX_EEDaSS_ST_EUlSS_E_NS1_11comp_targetILNS1_3genE0ELNS1_11target_archE4294967295ELNS1_3gpuE0ELNS1_3repE0EEENS1_30default_config_static_selectorELNS0_4arch9wavefront6targetE1EEEvT1_, .Lfunc_end3152-_ZN7rocprim17ROCPRIM_400000_NS6detail17trampoline_kernelINS0_14default_configENS1_20scan_config_selectorIfEEZZNS1_9scan_implILNS1_25lookback_scan_determinismE0ELb0ELb0ES3_N6thrust23THRUST_200600_302600_NS6detail15normal_iteratorINS9_10device_ptrIfEEEENS9_16discard_iteratorINS9_11use_defaultEEEf11max_functorIfEfEEDaPvRmT3_T4_T5_mT6_P12ihipStream_tbENKUlT_T0_E_clISt17integral_constantIbLb1EESX_EEDaSS_ST_EUlSS_E_NS1_11comp_targetILNS1_3genE0ELNS1_11target_archE4294967295ELNS1_3gpuE0ELNS1_3repE0EEENS1_30default_config_static_selectorELNS0_4arch9wavefront6targetE1EEEvT1_
                                        ; -- End function
	.section	.AMDGPU.csdata,"",@progbits
; Kernel info:
; codeLenInByte = 0
; NumSgprs: 4
; NumVgprs: 0
; NumAgprs: 0
; TotalNumVgprs: 0
; ScratchSize: 0
; MemoryBound: 0
; FloatMode: 240
; IeeeMode: 1
; LDSByteSize: 0 bytes/workgroup (compile time only)
; SGPRBlocks: 0
; VGPRBlocks: 0
; NumSGPRsForWavesPerEU: 4
; NumVGPRsForWavesPerEU: 1
; AccumOffset: 4
; Occupancy: 8
; WaveLimiterHint : 0
; COMPUTE_PGM_RSRC2:SCRATCH_EN: 0
; COMPUTE_PGM_RSRC2:USER_SGPR: 6
; COMPUTE_PGM_RSRC2:TRAP_HANDLER: 0
; COMPUTE_PGM_RSRC2:TGID_X_EN: 1
; COMPUTE_PGM_RSRC2:TGID_Y_EN: 0
; COMPUTE_PGM_RSRC2:TGID_Z_EN: 0
; COMPUTE_PGM_RSRC2:TIDIG_COMP_CNT: 0
; COMPUTE_PGM_RSRC3_GFX90A:ACCUM_OFFSET: 0
; COMPUTE_PGM_RSRC3_GFX90A:TG_SPLIT: 0
	.section	.text._ZN7rocprim17ROCPRIM_400000_NS6detail17trampoline_kernelINS0_14default_configENS1_20scan_config_selectorIfEEZZNS1_9scan_implILNS1_25lookback_scan_determinismE0ELb0ELb0ES3_N6thrust23THRUST_200600_302600_NS6detail15normal_iteratorINS9_10device_ptrIfEEEENS9_16discard_iteratorINS9_11use_defaultEEEf11max_functorIfEfEEDaPvRmT3_T4_T5_mT6_P12ihipStream_tbENKUlT_T0_E_clISt17integral_constantIbLb1EESX_EEDaSS_ST_EUlSS_E_NS1_11comp_targetILNS1_3genE5ELNS1_11target_archE942ELNS1_3gpuE9ELNS1_3repE0EEENS1_30default_config_static_selectorELNS0_4arch9wavefront6targetE1EEEvT1_,"axG",@progbits,_ZN7rocprim17ROCPRIM_400000_NS6detail17trampoline_kernelINS0_14default_configENS1_20scan_config_selectorIfEEZZNS1_9scan_implILNS1_25lookback_scan_determinismE0ELb0ELb0ES3_N6thrust23THRUST_200600_302600_NS6detail15normal_iteratorINS9_10device_ptrIfEEEENS9_16discard_iteratorINS9_11use_defaultEEEf11max_functorIfEfEEDaPvRmT3_T4_T5_mT6_P12ihipStream_tbENKUlT_T0_E_clISt17integral_constantIbLb1EESX_EEDaSS_ST_EUlSS_E_NS1_11comp_targetILNS1_3genE5ELNS1_11target_archE942ELNS1_3gpuE9ELNS1_3repE0EEENS1_30default_config_static_selectorELNS0_4arch9wavefront6targetE1EEEvT1_,comdat
	.protected	_ZN7rocprim17ROCPRIM_400000_NS6detail17trampoline_kernelINS0_14default_configENS1_20scan_config_selectorIfEEZZNS1_9scan_implILNS1_25lookback_scan_determinismE0ELb0ELb0ES3_N6thrust23THRUST_200600_302600_NS6detail15normal_iteratorINS9_10device_ptrIfEEEENS9_16discard_iteratorINS9_11use_defaultEEEf11max_functorIfEfEEDaPvRmT3_T4_T5_mT6_P12ihipStream_tbENKUlT_T0_E_clISt17integral_constantIbLb1EESX_EEDaSS_ST_EUlSS_E_NS1_11comp_targetILNS1_3genE5ELNS1_11target_archE942ELNS1_3gpuE9ELNS1_3repE0EEENS1_30default_config_static_selectorELNS0_4arch9wavefront6targetE1EEEvT1_ ; -- Begin function _ZN7rocprim17ROCPRIM_400000_NS6detail17trampoline_kernelINS0_14default_configENS1_20scan_config_selectorIfEEZZNS1_9scan_implILNS1_25lookback_scan_determinismE0ELb0ELb0ES3_N6thrust23THRUST_200600_302600_NS6detail15normal_iteratorINS9_10device_ptrIfEEEENS9_16discard_iteratorINS9_11use_defaultEEEf11max_functorIfEfEEDaPvRmT3_T4_T5_mT6_P12ihipStream_tbENKUlT_T0_E_clISt17integral_constantIbLb1EESX_EEDaSS_ST_EUlSS_E_NS1_11comp_targetILNS1_3genE5ELNS1_11target_archE942ELNS1_3gpuE9ELNS1_3repE0EEENS1_30default_config_static_selectorELNS0_4arch9wavefront6targetE1EEEvT1_
	.globl	_ZN7rocprim17ROCPRIM_400000_NS6detail17trampoline_kernelINS0_14default_configENS1_20scan_config_selectorIfEEZZNS1_9scan_implILNS1_25lookback_scan_determinismE0ELb0ELb0ES3_N6thrust23THRUST_200600_302600_NS6detail15normal_iteratorINS9_10device_ptrIfEEEENS9_16discard_iteratorINS9_11use_defaultEEEf11max_functorIfEfEEDaPvRmT3_T4_T5_mT6_P12ihipStream_tbENKUlT_T0_E_clISt17integral_constantIbLb1EESX_EEDaSS_ST_EUlSS_E_NS1_11comp_targetILNS1_3genE5ELNS1_11target_archE942ELNS1_3gpuE9ELNS1_3repE0EEENS1_30default_config_static_selectorELNS0_4arch9wavefront6targetE1EEEvT1_
	.p2align	8
	.type	_ZN7rocprim17ROCPRIM_400000_NS6detail17trampoline_kernelINS0_14default_configENS1_20scan_config_selectorIfEEZZNS1_9scan_implILNS1_25lookback_scan_determinismE0ELb0ELb0ES3_N6thrust23THRUST_200600_302600_NS6detail15normal_iteratorINS9_10device_ptrIfEEEENS9_16discard_iteratorINS9_11use_defaultEEEf11max_functorIfEfEEDaPvRmT3_T4_T5_mT6_P12ihipStream_tbENKUlT_T0_E_clISt17integral_constantIbLb1EESX_EEDaSS_ST_EUlSS_E_NS1_11comp_targetILNS1_3genE5ELNS1_11target_archE942ELNS1_3gpuE9ELNS1_3repE0EEENS1_30default_config_static_selectorELNS0_4arch9wavefront6targetE1EEEvT1_,@function
_ZN7rocprim17ROCPRIM_400000_NS6detail17trampoline_kernelINS0_14default_configENS1_20scan_config_selectorIfEEZZNS1_9scan_implILNS1_25lookback_scan_determinismE0ELb0ELb0ES3_N6thrust23THRUST_200600_302600_NS6detail15normal_iteratorINS9_10device_ptrIfEEEENS9_16discard_iteratorINS9_11use_defaultEEEf11max_functorIfEfEEDaPvRmT3_T4_T5_mT6_P12ihipStream_tbENKUlT_T0_E_clISt17integral_constantIbLb1EESX_EEDaSS_ST_EUlSS_E_NS1_11comp_targetILNS1_3genE5ELNS1_11target_archE942ELNS1_3gpuE9ELNS1_3repE0EEENS1_30default_config_static_selectorELNS0_4arch9wavefront6targetE1EEEvT1_: ; @_ZN7rocprim17ROCPRIM_400000_NS6detail17trampoline_kernelINS0_14default_configENS1_20scan_config_selectorIfEEZZNS1_9scan_implILNS1_25lookback_scan_determinismE0ELb0ELb0ES3_N6thrust23THRUST_200600_302600_NS6detail15normal_iteratorINS9_10device_ptrIfEEEENS9_16discard_iteratorINS9_11use_defaultEEEf11max_functorIfEfEEDaPvRmT3_T4_T5_mT6_P12ihipStream_tbENKUlT_T0_E_clISt17integral_constantIbLb1EESX_EEDaSS_ST_EUlSS_E_NS1_11comp_targetILNS1_3genE5ELNS1_11target_archE942ELNS1_3gpuE9ELNS1_3repE0EEENS1_30default_config_static_selectorELNS0_4arch9wavefront6targetE1EEEvT1_
; %bb.0:
	.section	.rodata,"a",@progbits
	.p2align	6, 0x0
	.amdhsa_kernel _ZN7rocprim17ROCPRIM_400000_NS6detail17trampoline_kernelINS0_14default_configENS1_20scan_config_selectorIfEEZZNS1_9scan_implILNS1_25lookback_scan_determinismE0ELb0ELb0ES3_N6thrust23THRUST_200600_302600_NS6detail15normal_iteratorINS9_10device_ptrIfEEEENS9_16discard_iteratorINS9_11use_defaultEEEf11max_functorIfEfEEDaPvRmT3_T4_T5_mT6_P12ihipStream_tbENKUlT_T0_E_clISt17integral_constantIbLb1EESX_EEDaSS_ST_EUlSS_E_NS1_11comp_targetILNS1_3genE5ELNS1_11target_archE942ELNS1_3gpuE9ELNS1_3repE0EEENS1_30default_config_static_selectorELNS0_4arch9wavefront6targetE1EEEvT1_
		.amdhsa_group_segment_fixed_size 0
		.amdhsa_private_segment_fixed_size 0
		.amdhsa_kernarg_size 104
		.amdhsa_user_sgpr_count 6
		.amdhsa_user_sgpr_private_segment_buffer 1
		.amdhsa_user_sgpr_dispatch_ptr 0
		.amdhsa_user_sgpr_queue_ptr 0
		.amdhsa_user_sgpr_kernarg_segment_ptr 1
		.amdhsa_user_sgpr_dispatch_id 0
		.amdhsa_user_sgpr_flat_scratch_init 0
		.amdhsa_user_sgpr_kernarg_preload_length 0
		.amdhsa_user_sgpr_kernarg_preload_offset 0
		.amdhsa_user_sgpr_private_segment_size 0
		.amdhsa_uses_dynamic_stack 0
		.amdhsa_system_sgpr_private_segment_wavefront_offset 0
		.amdhsa_system_sgpr_workgroup_id_x 1
		.amdhsa_system_sgpr_workgroup_id_y 0
		.amdhsa_system_sgpr_workgroup_id_z 0
		.amdhsa_system_sgpr_workgroup_info 0
		.amdhsa_system_vgpr_workitem_id 0
		.amdhsa_next_free_vgpr 1
		.amdhsa_next_free_sgpr 0
		.amdhsa_accum_offset 4
		.amdhsa_reserve_vcc 0
		.amdhsa_reserve_flat_scratch 0
		.amdhsa_float_round_mode_32 0
		.amdhsa_float_round_mode_16_64 0
		.amdhsa_float_denorm_mode_32 3
		.amdhsa_float_denorm_mode_16_64 3
		.amdhsa_dx10_clamp 1
		.amdhsa_ieee_mode 1
		.amdhsa_fp16_overflow 0
		.amdhsa_tg_split 0
		.amdhsa_exception_fp_ieee_invalid_op 0
		.amdhsa_exception_fp_denorm_src 0
		.amdhsa_exception_fp_ieee_div_zero 0
		.amdhsa_exception_fp_ieee_overflow 0
		.amdhsa_exception_fp_ieee_underflow 0
		.amdhsa_exception_fp_ieee_inexact 0
		.amdhsa_exception_int_div_zero 0
	.end_amdhsa_kernel
	.section	.text._ZN7rocprim17ROCPRIM_400000_NS6detail17trampoline_kernelINS0_14default_configENS1_20scan_config_selectorIfEEZZNS1_9scan_implILNS1_25lookback_scan_determinismE0ELb0ELb0ES3_N6thrust23THRUST_200600_302600_NS6detail15normal_iteratorINS9_10device_ptrIfEEEENS9_16discard_iteratorINS9_11use_defaultEEEf11max_functorIfEfEEDaPvRmT3_T4_T5_mT6_P12ihipStream_tbENKUlT_T0_E_clISt17integral_constantIbLb1EESX_EEDaSS_ST_EUlSS_E_NS1_11comp_targetILNS1_3genE5ELNS1_11target_archE942ELNS1_3gpuE9ELNS1_3repE0EEENS1_30default_config_static_selectorELNS0_4arch9wavefront6targetE1EEEvT1_,"axG",@progbits,_ZN7rocprim17ROCPRIM_400000_NS6detail17trampoline_kernelINS0_14default_configENS1_20scan_config_selectorIfEEZZNS1_9scan_implILNS1_25lookback_scan_determinismE0ELb0ELb0ES3_N6thrust23THRUST_200600_302600_NS6detail15normal_iteratorINS9_10device_ptrIfEEEENS9_16discard_iteratorINS9_11use_defaultEEEf11max_functorIfEfEEDaPvRmT3_T4_T5_mT6_P12ihipStream_tbENKUlT_T0_E_clISt17integral_constantIbLb1EESX_EEDaSS_ST_EUlSS_E_NS1_11comp_targetILNS1_3genE5ELNS1_11target_archE942ELNS1_3gpuE9ELNS1_3repE0EEENS1_30default_config_static_selectorELNS0_4arch9wavefront6targetE1EEEvT1_,comdat
.Lfunc_end3153:
	.size	_ZN7rocprim17ROCPRIM_400000_NS6detail17trampoline_kernelINS0_14default_configENS1_20scan_config_selectorIfEEZZNS1_9scan_implILNS1_25lookback_scan_determinismE0ELb0ELb0ES3_N6thrust23THRUST_200600_302600_NS6detail15normal_iteratorINS9_10device_ptrIfEEEENS9_16discard_iteratorINS9_11use_defaultEEEf11max_functorIfEfEEDaPvRmT3_T4_T5_mT6_P12ihipStream_tbENKUlT_T0_E_clISt17integral_constantIbLb1EESX_EEDaSS_ST_EUlSS_E_NS1_11comp_targetILNS1_3genE5ELNS1_11target_archE942ELNS1_3gpuE9ELNS1_3repE0EEENS1_30default_config_static_selectorELNS0_4arch9wavefront6targetE1EEEvT1_, .Lfunc_end3153-_ZN7rocprim17ROCPRIM_400000_NS6detail17trampoline_kernelINS0_14default_configENS1_20scan_config_selectorIfEEZZNS1_9scan_implILNS1_25lookback_scan_determinismE0ELb0ELb0ES3_N6thrust23THRUST_200600_302600_NS6detail15normal_iteratorINS9_10device_ptrIfEEEENS9_16discard_iteratorINS9_11use_defaultEEEf11max_functorIfEfEEDaPvRmT3_T4_T5_mT6_P12ihipStream_tbENKUlT_T0_E_clISt17integral_constantIbLb1EESX_EEDaSS_ST_EUlSS_E_NS1_11comp_targetILNS1_3genE5ELNS1_11target_archE942ELNS1_3gpuE9ELNS1_3repE0EEENS1_30default_config_static_selectorELNS0_4arch9wavefront6targetE1EEEvT1_
                                        ; -- End function
	.section	.AMDGPU.csdata,"",@progbits
; Kernel info:
; codeLenInByte = 0
; NumSgprs: 4
; NumVgprs: 0
; NumAgprs: 0
; TotalNumVgprs: 0
; ScratchSize: 0
; MemoryBound: 0
; FloatMode: 240
; IeeeMode: 1
; LDSByteSize: 0 bytes/workgroup (compile time only)
; SGPRBlocks: 0
; VGPRBlocks: 0
; NumSGPRsForWavesPerEU: 4
; NumVGPRsForWavesPerEU: 1
; AccumOffset: 4
; Occupancy: 8
; WaveLimiterHint : 0
; COMPUTE_PGM_RSRC2:SCRATCH_EN: 0
; COMPUTE_PGM_RSRC2:USER_SGPR: 6
; COMPUTE_PGM_RSRC2:TRAP_HANDLER: 0
; COMPUTE_PGM_RSRC2:TGID_X_EN: 1
; COMPUTE_PGM_RSRC2:TGID_Y_EN: 0
; COMPUTE_PGM_RSRC2:TGID_Z_EN: 0
; COMPUTE_PGM_RSRC2:TIDIG_COMP_CNT: 0
; COMPUTE_PGM_RSRC3_GFX90A:ACCUM_OFFSET: 0
; COMPUTE_PGM_RSRC3_GFX90A:TG_SPLIT: 0
	.section	.text._ZN7rocprim17ROCPRIM_400000_NS6detail17trampoline_kernelINS0_14default_configENS1_20scan_config_selectorIfEEZZNS1_9scan_implILNS1_25lookback_scan_determinismE0ELb0ELb0ES3_N6thrust23THRUST_200600_302600_NS6detail15normal_iteratorINS9_10device_ptrIfEEEENS9_16discard_iteratorINS9_11use_defaultEEEf11max_functorIfEfEEDaPvRmT3_T4_T5_mT6_P12ihipStream_tbENKUlT_T0_E_clISt17integral_constantIbLb1EESX_EEDaSS_ST_EUlSS_E_NS1_11comp_targetILNS1_3genE4ELNS1_11target_archE910ELNS1_3gpuE8ELNS1_3repE0EEENS1_30default_config_static_selectorELNS0_4arch9wavefront6targetE1EEEvT1_,"axG",@progbits,_ZN7rocprim17ROCPRIM_400000_NS6detail17trampoline_kernelINS0_14default_configENS1_20scan_config_selectorIfEEZZNS1_9scan_implILNS1_25lookback_scan_determinismE0ELb0ELb0ES3_N6thrust23THRUST_200600_302600_NS6detail15normal_iteratorINS9_10device_ptrIfEEEENS9_16discard_iteratorINS9_11use_defaultEEEf11max_functorIfEfEEDaPvRmT3_T4_T5_mT6_P12ihipStream_tbENKUlT_T0_E_clISt17integral_constantIbLb1EESX_EEDaSS_ST_EUlSS_E_NS1_11comp_targetILNS1_3genE4ELNS1_11target_archE910ELNS1_3gpuE8ELNS1_3repE0EEENS1_30default_config_static_selectorELNS0_4arch9wavefront6targetE1EEEvT1_,comdat
	.protected	_ZN7rocprim17ROCPRIM_400000_NS6detail17trampoline_kernelINS0_14default_configENS1_20scan_config_selectorIfEEZZNS1_9scan_implILNS1_25lookback_scan_determinismE0ELb0ELb0ES3_N6thrust23THRUST_200600_302600_NS6detail15normal_iteratorINS9_10device_ptrIfEEEENS9_16discard_iteratorINS9_11use_defaultEEEf11max_functorIfEfEEDaPvRmT3_T4_T5_mT6_P12ihipStream_tbENKUlT_T0_E_clISt17integral_constantIbLb1EESX_EEDaSS_ST_EUlSS_E_NS1_11comp_targetILNS1_3genE4ELNS1_11target_archE910ELNS1_3gpuE8ELNS1_3repE0EEENS1_30default_config_static_selectorELNS0_4arch9wavefront6targetE1EEEvT1_ ; -- Begin function _ZN7rocprim17ROCPRIM_400000_NS6detail17trampoline_kernelINS0_14default_configENS1_20scan_config_selectorIfEEZZNS1_9scan_implILNS1_25lookback_scan_determinismE0ELb0ELb0ES3_N6thrust23THRUST_200600_302600_NS6detail15normal_iteratorINS9_10device_ptrIfEEEENS9_16discard_iteratorINS9_11use_defaultEEEf11max_functorIfEfEEDaPvRmT3_T4_T5_mT6_P12ihipStream_tbENKUlT_T0_E_clISt17integral_constantIbLb1EESX_EEDaSS_ST_EUlSS_E_NS1_11comp_targetILNS1_3genE4ELNS1_11target_archE910ELNS1_3gpuE8ELNS1_3repE0EEENS1_30default_config_static_selectorELNS0_4arch9wavefront6targetE1EEEvT1_
	.globl	_ZN7rocprim17ROCPRIM_400000_NS6detail17trampoline_kernelINS0_14default_configENS1_20scan_config_selectorIfEEZZNS1_9scan_implILNS1_25lookback_scan_determinismE0ELb0ELb0ES3_N6thrust23THRUST_200600_302600_NS6detail15normal_iteratorINS9_10device_ptrIfEEEENS9_16discard_iteratorINS9_11use_defaultEEEf11max_functorIfEfEEDaPvRmT3_T4_T5_mT6_P12ihipStream_tbENKUlT_T0_E_clISt17integral_constantIbLb1EESX_EEDaSS_ST_EUlSS_E_NS1_11comp_targetILNS1_3genE4ELNS1_11target_archE910ELNS1_3gpuE8ELNS1_3repE0EEENS1_30default_config_static_selectorELNS0_4arch9wavefront6targetE1EEEvT1_
	.p2align	8
	.type	_ZN7rocprim17ROCPRIM_400000_NS6detail17trampoline_kernelINS0_14default_configENS1_20scan_config_selectorIfEEZZNS1_9scan_implILNS1_25lookback_scan_determinismE0ELb0ELb0ES3_N6thrust23THRUST_200600_302600_NS6detail15normal_iteratorINS9_10device_ptrIfEEEENS9_16discard_iteratorINS9_11use_defaultEEEf11max_functorIfEfEEDaPvRmT3_T4_T5_mT6_P12ihipStream_tbENKUlT_T0_E_clISt17integral_constantIbLb1EESX_EEDaSS_ST_EUlSS_E_NS1_11comp_targetILNS1_3genE4ELNS1_11target_archE910ELNS1_3gpuE8ELNS1_3repE0EEENS1_30default_config_static_selectorELNS0_4arch9wavefront6targetE1EEEvT1_,@function
_ZN7rocprim17ROCPRIM_400000_NS6detail17trampoline_kernelINS0_14default_configENS1_20scan_config_selectorIfEEZZNS1_9scan_implILNS1_25lookback_scan_determinismE0ELb0ELb0ES3_N6thrust23THRUST_200600_302600_NS6detail15normal_iteratorINS9_10device_ptrIfEEEENS9_16discard_iteratorINS9_11use_defaultEEEf11max_functorIfEfEEDaPvRmT3_T4_T5_mT6_P12ihipStream_tbENKUlT_T0_E_clISt17integral_constantIbLb1EESX_EEDaSS_ST_EUlSS_E_NS1_11comp_targetILNS1_3genE4ELNS1_11target_archE910ELNS1_3gpuE8ELNS1_3repE0EEENS1_30default_config_static_selectorELNS0_4arch9wavefront6targetE1EEEvT1_: ; @_ZN7rocprim17ROCPRIM_400000_NS6detail17trampoline_kernelINS0_14default_configENS1_20scan_config_selectorIfEEZZNS1_9scan_implILNS1_25lookback_scan_determinismE0ELb0ELb0ES3_N6thrust23THRUST_200600_302600_NS6detail15normal_iteratorINS9_10device_ptrIfEEEENS9_16discard_iteratorINS9_11use_defaultEEEf11max_functorIfEfEEDaPvRmT3_T4_T5_mT6_P12ihipStream_tbENKUlT_T0_E_clISt17integral_constantIbLb1EESX_EEDaSS_ST_EUlSS_E_NS1_11comp_targetILNS1_3genE4ELNS1_11target_archE910ELNS1_3gpuE8ELNS1_3repE0EEENS1_30default_config_static_selectorELNS0_4arch9wavefront6targetE1EEEvT1_
; %bb.0:
	s_load_dwordx2 s[6:7], s[4:5], 0x20
	s_load_dwordx2 s[20:21], s[4:5], 0x30
	v_cmp_ne_u32_e64 s[0:1], 0, v0
	v_cmp_eq_u32_e64 s[2:3], 0, v0
	s_and_saveexec_b64 s[8:9], s[2:3]
	s_cbranch_execz .LBB3154_4
; %bb.1:
	s_mov_b64 s[12:13], exec
	v_mbcnt_lo_u32_b32 v1, s12, 0
	v_mbcnt_hi_u32_b32 v1, s13, v1
	v_cmp_eq_u32_e32 vcc, 0, v1
                                        ; implicit-def: $vgpr2
	s_and_saveexec_b64 s[10:11], vcc
	s_cbranch_execz .LBB3154_3
; %bb.2:
	s_load_dwordx2 s[14:15], s[4:5], 0x60
	s_bcnt1_i32_b64 s12, s[12:13]
	v_mov_b32_e32 v2, 0
	v_mov_b32_e32 v3, s12
	s_waitcnt lgkmcnt(0)
	global_atomic_add v2, v2, v3, s[14:15] glc
.LBB3154_3:
	s_or_b64 exec, exec, s[10:11]
	s_waitcnt vmcnt(0)
	v_readfirstlane_b32 s10, v2
	v_add_u32_e32 v1, s10, v1
	v_mov_b32_e32 v2, 0
	ds_write_b32 v2, v1
.LBB3154_4:
	s_or_b64 exec, exec, s[8:9]
	v_mov_b32_e32 v3, 0
	s_load_dwordx4 s[8:11], s[4:5], 0x0
	s_load_dword s22, s[4:5], 0x38
	s_load_dwordx8 s[12:19], s[4:5], 0x40
	s_waitcnt lgkmcnt(0)
	s_barrier
	ds_read_b32 v1, v3
	s_lshl_b64 s[4:5], s[10:11], 2
	s_add_u32 s4, s8, s4
	s_movk_i32 s8, 0x700
	s_addc_u32 s5, s9, s5
	s_waitcnt lgkmcnt(0)
	v_mul_lo_u32 v2, v1, s8
	s_add_i32 s8, s22, -1
	s_mul_i32 s9, s8, 0x700
	s_sub_u32 s26, s6, s9
	v_readfirstlane_b32 s28, v1
	s_subb_u32 s27, s7, 0
	v_lshlrev_b64 v[2:3], 2, v[2:3]
	s_cmp_lg_u32 s28, s8
	v_mov_b32_e32 v1, s5
	v_add_co_u32_e32 v18, vcc, s4, v2
	s_cselect_b64 s[22:23], -1, 0
	v_addc_co_u32_e32 v19, vcc, v1, v3, vcc
	s_mov_b64 s[4:5], -1
	s_and_b64 vcc, exec, s[22:23]
	v_lshlrev_b32_e32 v20, 2, v0
	s_barrier
	s_cbranch_vccz .LBB3154_6
; %bb.5:
	v_add_co_u32_e32 v2, vcc, v18, v20
	v_addc_co_u32_e32 v3, vcc, 0, v19, vcc
	flat_load_dword v1, v[2:3]
	flat_load_dword v4, v[2:3] offset:512
	flat_load_dword v5, v[2:3] offset:1024
	;; [unrolled: 1-line block ×7, first 2 shown]
	v_add_co_u32_e32 v2, vcc, 0x1000, v2
	v_addc_co_u32_e32 v3, vcc, 0, v3, vcc
	flat_load_dword v11, v[2:3]
	flat_load_dword v12, v[2:3] offset:512
	flat_load_dword v13, v[2:3] offset:1024
	;; [unrolled: 1-line block ×5, first 2 shown]
	s_mov_b64 s[4:5], 0
	s_waitcnt vmcnt(0) lgkmcnt(0)
	ds_write2st64_b32 v20, v1, v4 offset1:2
	ds_write2st64_b32 v20, v5, v6 offset0:4 offset1:6
	ds_write2st64_b32 v20, v7, v8 offset0:8 offset1:10
	;; [unrolled: 1-line block ×6, first 2 shown]
	s_waitcnt lgkmcnt(0)
	s_barrier
.LBB3154_6:
	s_andn2_b64 vcc, exec, s[4:5]
	s_cbranch_vccnz .LBB3154_36
; %bb.7:
	flat_load_dword v1, v[18:19]
	v_cmp_gt_u32_e32 vcc, s26, v0
	s_waitcnt vmcnt(0) lgkmcnt(0)
	v_mov_b32_e32 v2, v1
	v_mov_b32_e32 v3, v1
	;; [unrolled: 1-line block ×12, first 2 shown]
	v_pk_mov_b32 v[16:17], v[14:15], v[14:15] op_sel:[0,1]
	v_pk_mov_b32 v[14:15], v[12:13], v[12:13] op_sel:[0,1]
	;; [unrolled: 1-line block ×8, first 2 shown]
	s_and_saveexec_b64 s[4:5], vcc
	s_cbranch_execz .LBB3154_9
; %bb.8:
	v_add_co_u32_e32 v2, vcc, v18, v20
	v_addc_co_u32_e32 v3, vcc, 0, v19, vcc
	flat_load_dword v21, v[2:3]
	v_mov_b32_e32 v2, v1
	v_mov_b32_e32 v3, v1
	;; [unrolled: 1-line block ×12, first 2 shown]
	v_pk_mov_b32 v[16:17], v[14:15], v[14:15] op_sel:[0,1]
	v_pk_mov_b32 v[14:15], v[12:13], v[12:13] op_sel:[0,1]
	;; [unrolled: 1-line block ×8, first 2 shown]
	s_waitcnt vmcnt(0) lgkmcnt(0)
	v_mov_b32_e32 v1, v21
.LBB3154_9:
	s_or_b64 exec, exec, s[4:5]
	v_or_b32_e32 v2, 0x80, v0
	v_cmp_gt_u32_e32 vcc, s26, v2
	s_and_saveexec_b64 s[4:5], vcc
	s_cbranch_execz .LBB3154_11
; %bb.10:
	v_add_co_u32_e32 v2, vcc, v18, v20
	v_addc_co_u32_e32 v3, vcc, 0, v19, vcc
	flat_load_dword v3, v[2:3] offset:512
.LBB3154_11:
	s_or_b64 exec, exec, s[4:5]
	v_or_b32_e32 v2, 0x100, v0
	v_cmp_gt_u32_e32 vcc, s26, v2
	s_and_saveexec_b64 s[4:5], vcc
	s_cbranch_execz .LBB3154_13
; %bb.12:
	v_add_co_u32_e32 v16, vcc, v18, v20
	v_addc_co_u32_e32 v17, vcc, 0, v19, vcc
	flat_load_dword v4, v[16:17] offset:1024
.LBB3154_13:
	;; [unrolled: 10-line block ×7, first 2 shown]
	s_or_b64 exec, exec, s[4:5]
	v_or_b32_e32 v2, 0x400, v0
	v_cmp_gt_u32_e32 vcc, s26, v2
	s_and_saveexec_b64 s[4:5], vcc
	s_cbranch_execz .LBB3154_25
; %bb.24:
	v_lshlrev_b32_e32 v2, 2, v2
	v_add_co_u32_e32 v16, vcc, v18, v2
	v_addc_co_u32_e32 v17, vcc, 0, v19, vcc
	flat_load_dword v10, v[16:17]
.LBB3154_25:
	s_or_b64 exec, exec, s[4:5]
	v_or_b32_e32 v2, 0x480, v0
	v_cmp_gt_u32_e32 vcc, s26, v2
	s_and_saveexec_b64 s[4:5], vcc
	s_cbranch_execz .LBB3154_27
; %bb.26:
	v_lshlrev_b32_e32 v2, 2, v2
	v_add_co_u32_e32 v16, vcc, v18, v2
	v_addc_co_u32_e32 v17, vcc, 0, v19, vcc
	flat_load_dword v11, v[16:17]
.LBB3154_27:
	;; [unrolled: 11-line block ×6, first 2 shown]
	s_or_b64 exec, exec, s[4:5]
	s_waitcnt vmcnt(0) lgkmcnt(0)
	ds_write2st64_b32 v20, v1, v3 offset1:2
	ds_write2st64_b32 v20, v4, v5 offset0:4 offset1:6
	ds_write2st64_b32 v20, v6, v7 offset0:8 offset1:10
	;; [unrolled: 1-line block ×6, first 2 shown]
	s_waitcnt lgkmcnt(0)
	s_barrier
.LBB3154_36:
	v_mul_u32_u24_e32 v32, 14, v0
	v_lshlrev_b32_e32 v33, 2, v32
	ds_read2_b64 v[2:5], v33 offset1:1
	ds_read2_b64 v[26:29], v33 offset0:2 offset1:3
	ds_read2_b64 v[22:25], v33 offset0:4 offset1:5
	ds_read_b64 v[30:31], v33 offset:48
	s_cmp_lg_u32 s28, 0
	v_lshrrev_b32_e32 v1, 5, v0
	v_cmp_gt_u32_e32 vcc, 64, v0
	s_waitcnt lgkmcnt(0)
	s_barrier
	s_cbranch_scc0 .LBB3154_65
; %bb.37:
	v_cmp_lt_f32_e64 s[4:5], v2, v3
	v_cndmask_b32_e64 v6, v2, v3, s[4:5]
	v_cmp_lt_f32_e64 s[4:5], v6, v4
	v_cndmask_b32_e64 v6, v6, v4, s[4:5]
	;; [unrolled: 2-line block ×13, first 2 shown]
	v_add_lshl_u32 v6, v1, v0, 2
	ds_write_b32 v6, v16
	s_waitcnt lgkmcnt(0)
	s_barrier
	s_and_saveexec_b64 s[24:25], vcc
	s_cbranch_execz .LBB3154_39
; %bb.38:
	v_lshlrev_b32_e32 v6, 1, v0
	v_lshrrev_b32_e32 v7, 4, v0
	v_add_lshl_u32 v8, v7, v6, 2
	ds_read2_b32 v[6:7], v8 offset1:1
	v_mbcnt_lo_u32_b32 v9, -1, 0
	v_mbcnt_hi_u32_b32 v9, -1, v9
	v_and_b32_e32 v10, 15, v9
	v_cmp_lt_u32_e64 s[10:11], 31, v9
	s_waitcnt lgkmcnt(0)
	v_cmp_lt_f32_e64 s[4:5], v6, v7
	v_cndmask_b32_e64 v7, v6, v7, s[4:5]
	v_cmp_gt_u32_e64 s[8:9], 32, v9
	s_nop 0
	v_mov_b32_dpp v11, v7 row_shr:1 row_mask:0xf bank_mask:0xf
	v_cmp_gt_f32_e64 s[4:5], v7, v11
	v_cndmask_b32_e64 v11, v11, v7, s[4:5]
	v_cmp_eq_u32_e64 s[4:5], 0, v10
	v_cndmask_b32_e64 v7, v11, v7, s[4:5]
	; wave barrier
	s_nop 1
	v_mov_b32_dpp v11, v7 row_shr:2 row_mask:0xf bank_mask:0xf
	v_cmp_gt_f32_e64 s[4:5], v7, v11
	v_cndmask_b32_e64 v11, v11, v7, s[4:5]
	v_cmp_lt_u32_e64 s[4:5], 1, v10
	v_cndmask_b32_e64 v11, v7, v11, s[4:5]
	s_nop 1
	v_mov_b32_dpp v12, v11 row_shr:4 row_mask:0xf bank_mask:0xf
	v_cmp_gt_f32_e64 s[6:7], v11, v12
	v_cndmask_b32_e64 v12, v12, v11, s[6:7]
	v_cmp_lt_u32_e64 s[6:7], 3, v10
	v_cndmask_b32_e64 v11, v11, v12, s[6:7]
	;; [unrolled: 6-line block ×3, first 2 shown]
	v_and_b32_e32 v12, 16, v9
	s_nop 0
	v_mov_b32_dpp v11, v10 row_bcast:15 row_mask:0xf bank_mask:0xf
	v_cmp_gt_f32_e64 s[6:7], v10, v11
	v_cndmask_b32_e64 v11, v11, v10, s[6:7]
	v_cmp_ne_u32_e64 s[6:7], 0, v12
	v_cndmask_b32_e64 v10, v10, v11, s[6:7]
	s_or_b64 s[10:11], s[6:7], s[10:11]
	s_or_b64 s[4:5], s[4:5], s[10:11]
	v_mov_b32_dpp v11, v10 row_bcast:31 row_mask:0xf bank_mask:0xf
	v_cmp_gt_f32_e64 s[6:7], v10, v11
	s_or_b64 s[6:7], s[8:9], s[6:7]
	v_cndmask_b32_e64 v10, v11, v10, s[6:7]
	v_cndmask_b32_e64 v7, v7, v10, s[4:5]
	v_add_u32_e32 v10, -1, v9
	v_and_b32_e32 v11, 64, v9
	v_cmp_lt_i32_e64 s[4:5], v10, v11
	v_cndmask_b32_e64 v9, v10, v9, s[4:5]
	v_lshlrev_b32_e32 v9, 2, v9
	ds_bpermute_b32 v7, v9, v7
	s_waitcnt lgkmcnt(0)
	v_cmp_gt_f32_e64 s[4:5], v6, v7
	v_cndmask_b32_e64 v6, v7, v6, s[4:5]
	v_cndmask_b32_e64 v6, v6, v16, s[2:3]
	ds_write_b32 v8, v6
	; wave barrier
	ds_read_b32 v7, v8 offset:4
	s_waitcnt lgkmcnt(0)
	v_cmp_lt_f32_e64 s[4:5], v6, v7
	v_cndmask_b32_e64 v6, v6, v7, s[4:5]
	ds_write_b32 v8, v6 offset:4
.LBB3154_39:
	s_or_b64 exec, exec, s[24:25]
	s_waitcnt lgkmcnt(0)
	s_barrier
	s_and_saveexec_b64 s[4:5], s[0:1]
	s_cbranch_execz .LBB3154_41
; %bb.40:
	v_add_u32_e32 v6, -1, v0
	v_lshrrev_b32_e32 v7, 5, v6
	v_add_lshl_u32 v6, v7, v6, 2
	ds_read_b32 v16, v6
.LBB3154_41:
	s_or_b64 exec, exec, s[4:5]
	s_and_saveexec_b64 s[10:11], vcc
	s_cbranch_execz .LBB3154_64
; %bb.42:
	v_mov_b32_e32 v15, 0
	ds_read_b32 v6, v15 offset:520
	v_mbcnt_lo_u32_b32 v7, -1, 0
	v_mbcnt_hi_u32_b32 v9, -1, v7
	s_mov_b32 s9, 0
	v_cmp_eq_u32_e64 s[4:5], 0, v9
	s_and_saveexec_b64 s[6:7], s[4:5]
	s_cbranch_execz .LBB3154_44
; %bb.43:
	s_add_i32 s8, s28, 64
	s_lshl_b64 s[8:9], s[8:9], 3
	s_add_u32 s8, s20, s8
	v_mov_b32_e32 v7, 1
	s_addc_u32 s9, s21, s9
	s_waitcnt lgkmcnt(0)
	global_store_dwordx2 v15, v[6:7], s[8:9]
.LBB3154_44:
	s_or_b64 exec, exec, s[6:7]
	v_xad_u32 v8, v9, -1, s28
	v_add_u32_e32 v14, 64, v8
	v_lshlrev_b64 v[10:11], 3, v[14:15]
	v_mov_b32_e32 v7, s21
	v_add_co_u32_e32 v10, vcc, s20, v10
	v_addc_co_u32_e32 v11, vcc, v7, v11, vcc
	global_load_dwordx2 v[12:13], v[10:11], off glc
	s_waitcnt vmcnt(0)
	v_cmp_eq_u16_sdwa s[8:9], v13, v15 src0_sel:BYTE_0 src1_sel:DWORD
	s_and_saveexec_b64 s[6:7], s[8:9]
	s_cbranch_execz .LBB3154_50
; %bb.45:
	s_mov_b32 s24, 1
	s_mov_b64 s[8:9], 0
	v_mov_b32_e32 v7, 0
.LBB3154_46:                            ; =>This Loop Header: Depth=1
                                        ;     Child Loop BB3154_47 Depth 2
	s_max_u32 s25, s24, 1
.LBB3154_47:                            ;   Parent Loop BB3154_46 Depth=1
                                        ; =>  This Inner Loop Header: Depth=2
	s_add_i32 s25, s25, -1
	s_cmp_eq_u32 s25, 0
	s_sleep 1
	s_cbranch_scc0 .LBB3154_47
; %bb.48:                               ;   in Loop: Header=BB3154_46 Depth=1
	global_load_dwordx2 v[12:13], v[10:11], off glc
	s_cmp_lt_u32 s24, 32
	s_cselect_b64 s[30:31], -1, 0
	s_cmp_lg_u64 s[30:31], 0
	s_addc_u32 s24, s24, 0
	s_waitcnt vmcnt(0)
	v_cmp_ne_u16_sdwa s[30:31], v13, v7 src0_sel:BYTE_0 src1_sel:DWORD
	s_or_b64 s[8:9], s[30:31], s[8:9]
	s_andn2_b64 exec, exec, s[8:9]
	s_cbranch_execnz .LBB3154_46
; %bb.49:
	s_or_b64 exec, exec, s[8:9]
.LBB3154_50:
	s_or_b64 exec, exec, s[6:7]
	v_and_b32_e32 v17, 63, v9
	v_cmp_ne_u32_e32 vcc, 63, v17
	v_addc_co_u32_e32 v18, vcc, 0, v9, vcc
	v_lshlrev_b32_e32 v18, 2, v18
	v_mov_b32_e32 v7, 2
	ds_bpermute_b32 v19, v18, v12
	v_cmp_eq_u16_sdwa s[6:7], v13, v7 src0_sel:BYTE_0 src1_sel:DWORD
	v_lshlrev_b64 v[10:11], v9, -1
	v_and_b32_e32 v14, s7, v11
	v_or_b32_e32 v14, 0x80000000, v14
	v_and_b32_e32 v15, s6, v10
	v_ffbl_b32_e32 v14, v14
	v_add_u32_e32 v14, 32, v14
	v_ffbl_b32_e32 v15, v15
	s_waitcnt lgkmcnt(0)
	v_cmp_lt_f32_e32 vcc, v19, v12
	v_cmp_gt_u32_e64 s[6:7], 62, v17
	v_min_u32_e32 v14, v15, v14
	v_cndmask_b32_e32 v15, v19, v12, vcc
	v_cndmask_b32_e64 v19, 0, 1, s[6:7]
	v_cmp_lt_u32_e32 vcc, v17, v14
	v_lshlrev_b32_e32 v19, 1, v19
	v_cndmask_b32_e32 v15, v12, v15, vcc
	v_add_lshl_u32 v19, v19, v9, 2
	ds_bpermute_b32 v21, v19, v15
	v_add_u32_e32 v20, 2, v17
	v_add_u32_e32 v34, 4, v17
	;; [unrolled: 1-line block ×4, first 2 shown]
	s_waitcnt lgkmcnt(0)
	v_cmp_gt_f32_e64 s[6:7], v15, v21
	v_cndmask_b32_e64 v21, v21, v15, s[6:7]
	v_cmp_gt_u32_e64 s[6:7], v20, v14
	v_cndmask_b32_e64 v15, v21, v15, s[6:7]
	v_cmp_gt_u32_e64 s[6:7], 60, v17
	v_cndmask_b32_e64 v21, 0, 1, s[6:7]
	v_lshlrev_b32_e32 v21, 2, v21
	v_add_lshl_u32 v21, v21, v9, 2
	ds_bpermute_b32 v35, v21, v15
	v_add_u32_e32 v41, 32, v17
	s_waitcnt lgkmcnt(0)
	v_cmp_gt_f32_e64 s[6:7], v15, v35
	v_cndmask_b32_e64 v35, v35, v15, s[6:7]
	v_cmp_gt_u32_e64 s[6:7], v34, v14
	v_cndmask_b32_e64 v15, v35, v15, s[6:7]
	v_cmp_gt_u32_e64 s[6:7], 56, v17
	v_cndmask_b32_e64 v35, 0, 1, s[6:7]
	v_lshlrev_b32_e32 v35, 3, v35
	v_add_lshl_u32 v35, v35, v9, 2
	ds_bpermute_b32 v37, v35, v15
	s_waitcnt lgkmcnt(0)
	v_cmp_gt_f32_e64 s[6:7], v15, v37
	v_cndmask_b32_e64 v37, v37, v15, s[6:7]
	v_cmp_gt_u32_e64 s[6:7], v36, v14
	v_cndmask_b32_e64 v15, v37, v15, s[6:7]
	v_cmp_gt_u32_e64 s[6:7], 48, v17
	v_cndmask_b32_e64 v37, 0, 1, s[6:7]
	v_lshlrev_b32_e32 v37, 4, v37
	v_add_lshl_u32 v37, v37, v9, 2
	ds_bpermute_b32 v38, v37, v15
	;; [unrolled: 10-line block ×3, first 2 shown]
	v_cmp_gt_u32_e64 s[6:7], v41, v14
	s_waitcnt lgkmcnt(0)
	v_cmp_gt_f32_e64 s[8:9], v15, v9
	s_or_b64 s[6:7], s[6:7], s[8:9]
	v_cndmask_b32_e64 v9, v9, v15, s[6:7]
	v_cndmask_b32_e32 v12, v12, v9, vcc
	v_mov_b32_e32 v9, 0
	s_branch .LBB3154_52
.LBB3154_51:                            ;   in Loop: Header=BB3154_52 Depth=1
	s_or_b64 exec, exec, s[6:7]
	v_cmp_eq_u16_sdwa s[6:7], v13, v7 src0_sel:BYTE_0 src1_sel:DWORD
	ds_bpermute_b32 v42, v18, v12
	v_and_b32_e32 v14, s7, v11
	v_or_b32_e32 v14, 0x80000000, v14
	v_and_b32_e32 v15, s6, v10
	v_ffbl_b32_e32 v14, v14
	v_add_u32_e32 v14, 32, v14
	v_ffbl_b32_e32 v15, v15
	v_min_u32_e32 v14, v15, v14
	s_waitcnt lgkmcnt(0)
	v_cmp_lt_f32_e32 vcc, v42, v12
	v_cndmask_b32_e32 v15, v42, v12, vcc
	v_cmp_lt_u32_e32 vcc, v17, v14
	v_cndmask_b32_e32 v15, v12, v15, vcc
	ds_bpermute_b32 v42, v19, v15
	v_subrev_u32_e32 v8, 64, v8
	s_waitcnt lgkmcnt(0)
	v_cmp_gt_f32_e64 s[6:7], v15, v42
	v_cndmask_b32_e64 v42, v42, v15, s[6:7]
	v_cmp_gt_u32_e64 s[6:7], v20, v14
	v_cndmask_b32_e64 v15, v42, v15, s[6:7]
	ds_bpermute_b32 v42, v21, v15
	s_waitcnt lgkmcnt(0)
	v_cmp_gt_f32_e64 s[6:7], v15, v42
	v_cndmask_b32_e64 v42, v42, v15, s[6:7]
	v_cmp_gt_u32_e64 s[6:7], v34, v14
	v_cndmask_b32_e64 v15, v42, v15, s[6:7]
	ds_bpermute_b32 v42, v35, v15
	;; [unrolled: 6-line block ×4, first 2 shown]
	v_cmp_gt_u32_e64 s[6:7], v41, v14
	s_waitcnt lgkmcnt(0)
	v_cmp_gt_f32_e64 s[8:9], v15, v42
	s_or_b64 s[6:7], s[6:7], s[8:9]
	v_cndmask_b32_e64 v14, v42, v15, s[6:7]
	v_cndmask_b32_e32 v12, v12, v14, vcc
	v_cmp_lt_f32_e32 vcc, v12, v38
	v_cndmask_b32_e32 v12, v12, v38, vcc
.LBB3154_52:                            ; =>This Loop Header: Depth=1
                                        ;     Child Loop BB3154_55 Depth 2
                                        ;       Child Loop BB3154_56 Depth 3
	v_cmp_ne_u16_sdwa s[6:7], v13, v7 src0_sel:BYTE_0 src1_sel:DWORD
	v_cndmask_b32_e64 v13, 0, 1, s[6:7]
	;;#ASMSTART
	;;#ASMEND
	v_cmp_ne_u32_e32 vcc, 0, v13
	s_cmp_lg_u64 vcc, exec
	v_mov_b32_e32 v38, v12
	s_cbranch_scc1 .LBB3154_59
; %bb.53:                               ;   in Loop: Header=BB3154_52 Depth=1
	v_lshlrev_b64 v[12:13], 3, v[8:9]
	v_mov_b32_e32 v15, s21
	v_add_co_u32_e32 v14, vcc, s20, v12
	v_addc_co_u32_e32 v15, vcc, v15, v13, vcc
	global_load_dwordx2 v[12:13], v[14:15], off glc
	s_waitcnt vmcnt(0)
	v_cmp_eq_u16_sdwa s[8:9], v13, v9 src0_sel:BYTE_0 src1_sel:DWORD
	s_and_saveexec_b64 s[6:7], s[8:9]
	s_cbranch_execz .LBB3154_51
; %bb.54:                               ;   in Loop: Header=BB3154_52 Depth=1
	s_mov_b32 s24, 1
	s_mov_b64 s[8:9], 0
.LBB3154_55:                            ;   Parent Loop BB3154_52 Depth=1
                                        ; =>  This Loop Header: Depth=2
                                        ;       Child Loop BB3154_56 Depth 3
	s_max_u32 s25, s24, 1
.LBB3154_56:                            ;   Parent Loop BB3154_52 Depth=1
                                        ;     Parent Loop BB3154_55 Depth=2
                                        ; =>    This Inner Loop Header: Depth=3
	s_add_i32 s25, s25, -1
	s_cmp_eq_u32 s25, 0
	s_sleep 1
	s_cbranch_scc0 .LBB3154_56
; %bb.57:                               ;   in Loop: Header=BB3154_55 Depth=2
	global_load_dwordx2 v[12:13], v[14:15], off glc
	s_cmp_lt_u32 s24, 32
	s_cselect_b64 s[30:31], -1, 0
	s_cmp_lg_u64 s[30:31], 0
	s_addc_u32 s24, s24, 0
	s_waitcnt vmcnt(0)
	v_cmp_ne_u16_sdwa s[30:31], v13, v9 src0_sel:BYTE_0 src1_sel:DWORD
	s_or_b64 s[8:9], s[30:31], s[8:9]
	s_andn2_b64 exec, exec, s[8:9]
	s_cbranch_execnz .LBB3154_55
; %bb.58:                               ;   in Loop: Header=BB3154_52 Depth=1
	s_or_b64 exec, exec, s[8:9]
	s_branch .LBB3154_51
.LBB3154_59:                            ;   in Loop: Header=BB3154_52 Depth=1
                                        ; implicit-def: $vgpr12
                                        ; implicit-def: $vgpr13
	s_cbranch_execz .LBB3154_52
; %bb.60:
	s_and_saveexec_b64 s[6:7], s[4:5]
	s_cbranch_execz .LBB3154_62
; %bb.61:
	s_add_i32 s4, s28, 64
	s_mov_b32 s5, 0
	s_lshl_b64 s[4:5], s[4:5], 3
	v_cmp_lt_f32_e32 vcc, v38, v6
	s_add_u32 s4, s20, s4
	v_cndmask_b32_e32 v6, v38, v6, vcc
	v_mov_b32_e32 v7, 2
	s_addc_u32 s5, s21, s5
	v_mov_b32_e32 v8, 0
	global_store_dwordx2 v8, v[6:7], s[4:5]
.LBB3154_62:
	s_or_b64 exec, exec, s[6:7]
	s_and_b64 exec, exec, s[2:3]
	s_cbranch_execz .LBB3154_64
; %bb.63:
	v_mov_b32_e32 v6, 0
	ds_write_b32 v6, v38
.LBB3154_64:
	s_or_b64 exec, exec, s[10:11]
	v_mov_b32_e32 v6, 0
	s_waitcnt lgkmcnt(0)
	s_barrier
	ds_read_b32 v6, v6
	v_cmp_lt_f32_e32 vcc, v16, v2
	s_or_b64 vcc, s[2:3], vcc
	v_cndmask_b32_e32 v7, v16, v2, vcc
	s_waitcnt lgkmcnt(0)
	v_cmp_lt_f32_e32 vcc, v6, v7
	v_cndmask_b32_e32 v6, v6, v7, vcc
	v_cmp_lt_f32_e32 vcc, v6, v3
	v_cndmask_b32_e32 v7, v6, v3, vcc
	;; [unrolled: 2-line block ×14, first 2 shown]
	s_branch .LBB3154_77
.LBB3154_65:
                                        ; implicit-def: $vgpr6_vgpr7_vgpr8_vgpr9_vgpr10_vgpr11_vgpr12_vgpr13_vgpr14_vgpr15_vgpr16_vgpr17_vgpr18_vgpr19_vgpr20_vgpr21
	s_cbranch_execz .LBB3154_77
; %bb.66:
	s_cmp_lg_u64 s[16:17], 0
	s_cselect_b64 s[4:5], -1, 0
	s_and_b64 s[6:7], s[2:3], s[4:5]
	s_and_saveexec_b64 s[4:5], s[6:7]
	s_cbranch_execz .LBB3154_68
; %bb.67:
	v_mov_b32_e32 v6, 0
	global_load_dword v6, v6, s[12:13]
	s_waitcnt vmcnt(0)
	v_cmp_lt_f32_e32 vcc, v6, v2
	v_cndmask_b32_e32 v2, v6, v2, vcc
.LBB3154_68:
	s_or_b64 exec, exec, s[4:5]
	v_cmp_lt_f32_e32 vcc, v2, v3
	v_cndmask_b32_e32 v6, v2, v3, vcc
	v_cmp_lt_f32_e32 vcc, v6, v4
	v_cndmask_b32_e32 v6, v6, v4, vcc
	;; [unrolled: 2-line block ×13, first 2 shown]
	v_add_lshl_u32 v1, v1, v0, 2
	v_cmp_gt_u32_e32 vcc, 64, v0
	ds_write_b32 v1, v6
	s_waitcnt lgkmcnt(0)
	s_barrier
	s_and_saveexec_b64 s[10:11], vcc
	s_cbranch_execz .LBB3154_70
; %bb.69:
	v_lshlrev_b32_e32 v1, 1, v0
	v_lshrrev_b32_e32 v7, 4, v0
	v_add_lshl_u32 v1, v7, v1, 2
	ds_read2_b32 v[8:9], v1 offset1:1
	v_mbcnt_lo_u32_b32 v7, -1, 0
	v_mbcnt_hi_u32_b32 v7, -1, v7
	v_and_b32_e32 v10, 15, v7
	v_cmp_lt_u32_e64 s[8:9], 31, v7
	s_waitcnt lgkmcnt(0)
	v_cmp_lt_f32_e32 vcc, v8, v9
	v_cndmask_b32_e32 v9, v8, v9, vcc
	v_cmp_gt_u32_e64 s[6:7], 32, v7
	s_nop 0
	v_mov_b32_dpp v11, v9 row_shr:1 row_mask:0xf bank_mask:0xf
	v_cmp_gt_f32_e32 vcc, v9, v11
	v_cndmask_b32_e32 v11, v11, v9, vcc
	v_cmp_eq_u32_e32 vcc, 0, v10
	v_cndmask_b32_e32 v9, v11, v9, vcc
	; wave barrier
	s_nop 1
	v_mov_b32_dpp v11, v9 row_shr:2 row_mask:0xf bank_mask:0xf
	v_cmp_gt_f32_e32 vcc, v9, v11
	v_cndmask_b32_e32 v11, v11, v9, vcc
	v_cmp_lt_u32_e32 vcc, 1, v10
	v_cndmask_b32_e32 v11, v9, v11, vcc
	s_nop 1
	v_mov_b32_dpp v12, v11 row_shr:4 row_mask:0xf bank_mask:0xf
	v_cmp_gt_f32_e64 s[4:5], v11, v12
	v_cndmask_b32_e64 v12, v12, v11, s[4:5]
	v_cmp_lt_u32_e64 s[4:5], 3, v10
	v_cndmask_b32_e64 v11, v11, v12, s[4:5]
	s_nop 1
	v_mov_b32_dpp v12, v11 row_shr:8 row_mask:0xf bank_mask:0xf
	v_cmp_gt_f32_e64 s[4:5], v11, v12
	v_cndmask_b32_e64 v12, v12, v11, s[4:5]
	v_cmp_lt_u32_e64 s[4:5], 7, v10
	v_cndmask_b32_e64 v10, v11, v12, s[4:5]
	v_and_b32_e32 v12, 16, v7
	s_nop 0
	v_mov_b32_dpp v11, v10 row_bcast:15 row_mask:0xf bank_mask:0xf
	v_cmp_gt_f32_e64 s[4:5], v10, v11
	v_cndmask_b32_e64 v11, v11, v10, s[4:5]
	v_cmp_ne_u32_e64 s[4:5], 0, v12
	v_cndmask_b32_e64 v10, v10, v11, s[4:5]
	s_or_b64 s[8:9], s[4:5], s[8:9]
	s_or_b64 vcc, vcc, s[8:9]
	v_mov_b32_dpp v11, v10 row_bcast:31 row_mask:0xf bank_mask:0xf
	v_cmp_gt_f32_e64 s[4:5], v10, v11
	s_or_b64 s[4:5], s[6:7], s[4:5]
	v_cndmask_b32_e64 v10, v11, v10, s[4:5]
	v_cndmask_b32_e32 v9, v9, v10, vcc
	v_add_u32_e32 v10, -1, v7
	v_and_b32_e32 v11, 64, v7
	v_cmp_lt_i32_e32 vcc, v10, v11
	v_cndmask_b32_e32 v7, v10, v7, vcc
	v_lshlrev_b32_e32 v7, 2, v7
	ds_bpermute_b32 v7, v7, v9
	s_waitcnt lgkmcnt(0)
	v_cmp_gt_f32_e32 vcc, v8, v7
	v_cndmask_b32_e32 v7, v7, v8, vcc
	v_cndmask_b32_e64 v7, v7, v6, s[2:3]
	ds_write_b32 v1, v7
	; wave barrier
	ds_read_b32 v8, v1 offset:4
	s_waitcnt lgkmcnt(0)
	v_cmp_lt_f32_e32 vcc, v7, v8
	v_cndmask_b32_e32 v7, v7, v8, vcc
	ds_write_b32 v1, v7 offset:4
.LBB3154_70:
	s_or_b64 exec, exec, s[10:11]
	s_waitcnt lgkmcnt(0)
	s_barrier
	s_and_saveexec_b64 s[2:3], s[0:1]
	s_cbranch_execz .LBB3154_72
; %bb.71:
	v_add_u32_e32 v1, -1, v0
	v_lshrrev_b32_e32 v6, 5, v1
	v_add_lshl_u32 v1, v6, v1, 2
	ds_read_b32 v6, v1
.LBB3154_72:
	s_or_b64 exec, exec, s[2:3]
	s_and_saveexec_b64 s[2:3], s[0:1]
	s_cbranch_execz .LBB3154_74
; %bb.73:
	s_waitcnt lgkmcnt(0)
	v_cmp_gt_f32_e32 vcc, v2, v6
	v_cndmask_b32_e32 v2, v6, v2, vcc
	;;#ASMSTART
	;;#ASMEND
.LBB3154_74:
	s_or_b64 exec, exec, s[2:3]
	v_cmp_gt_f32_e32 vcc, v3, v2
	v_cndmask_b32_e32 v3, v2, v3, vcc
	v_cmp_lt_f32_e32 vcc, v3, v4
	v_cndmask_b32_e32 v4, v3, v4, vcc
	v_cmp_lt_f32_e32 vcc, v4, v5
	;; [unrolled: 2-line block ×3, first 2 shown]
	s_waitcnt lgkmcnt(0)
	v_cndmask_b32_e32 v6, v5, v26, vcc
	v_cmp_lt_f32_e32 vcc, v6, v27
	v_cndmask_b32_e32 v7, v6, v27, vcc
	v_cmp_lt_f32_e32 vcc, v7, v28
	v_cndmask_b32_e32 v8, v7, v28, vcc
	v_cmp_lt_f32_e32 vcc, v8, v29
	v_cndmask_b32_e32 v9, v8, v29, vcc
	v_cmp_lt_f32_e32 vcc, v9, v22
	v_cndmask_b32_e32 v10, v9, v22, vcc
	v_cmp_lt_f32_e32 vcc, v10, v23
	v_cndmask_b32_e32 v11, v10, v23, vcc
	v_cmp_lt_f32_e32 vcc, v11, v24
	v_cndmask_b32_e32 v12, v11, v24, vcc
	v_cmp_lt_f32_e32 vcc, v12, v25
	v_cndmask_b32_e32 v13, v12, v25, vcc
	v_cmp_lt_f32_e32 vcc, v13, v30
	v_cndmask_b32_e32 v14, v13, v30, vcc
	v_cmp_lt_f32_e32 vcc, v14, v31
	s_movk_i32 s0, 0x7f
	v_cndmask_b32_e32 v15, v14, v31, vcc
	v_cmp_eq_u32_e32 vcc, s0, v0
	s_and_saveexec_b64 s[0:1], vcc
	s_cbranch_execz .LBB3154_76
; %bb.75:
	v_mov_b32_e32 v1, 0
	v_mov_b32_e32 v17, 2
	;; [unrolled: 1-line block ×3, first 2 shown]
	global_store_dwordx2 v1, v[16:17], s[20:21] offset:512
.LBB3154_76:
	s_or_b64 exec, exec, s[0:1]
	v_pk_mov_b32 v[20:21], v[16:17], v[16:17] op_sel:[0,1]
	v_pk_mov_b32 v[18:19], v[14:15], v[14:15] op_sel:[0,1]
	;; [unrolled: 1-line block ×8, first 2 shown]
.LBB3154_77:
	s_mov_b64 s[0:1], -1
	s_and_b64 vcc, exec, s[22:23]
	s_barrier
	ds_write2_b64 v33, v[6:7], v[8:9] offset1:1
	ds_write2_b64 v33, v[10:11], v[12:13] offset0:2 offset1:3
	ds_write2_b64 v33, v[14:15], v[16:17] offset0:4 offset1:5
	ds_write_b64 v33, v[18:19] offset:48
	s_waitcnt lgkmcnt(0)
	s_cbranch_vccz .LBB3154_79
; %bb.78:
	s_barrier
	s_mov_b64 s[0:1], 0
.LBB3154_79:
	s_andn2_b64 vcc, exec, s[0:1]
	s_cbranch_vccnz .LBB3154_131
; %bb.80:
	v_cmp_lt_u64_e64 s[0:1], s[18:19], 2
	s_and_b64 vcc, exec, s[0:1]
	s_barrier
	s_cbranch_vccnz .LBB3154_131
; %bb.81:
	s_add_u32 s0, s26, -1
	s_addc_u32 s1, s27, -1
	s_add_u32 s2, 0, 0x49240800
	s_addc_u32 s3, 0, 50
	s_add_i32 s3, s3, 0x12492460
	s_mul_hi_u32 s7, s2, -14
	s_sub_i32 s7, s7, s2
	s_mul_i32 s8, s3, -14
	s_mul_i32 s4, s2, -14
	s_add_i32 s7, s7, s8
	s_mul_hi_u32 s5, s3, s4
	s_mul_i32 s6, s3, s4
	s_mul_i32 s9, s2, s7
	s_mul_hi_u32 s4, s2, s4
	s_mul_hi_u32 s8, s2, s7
	s_add_u32 s4, s4, s9
	s_addc_u32 s8, 0, s8
	s_add_u32 s4, s4, s6
	s_mul_hi_u32 s9, s3, s7
	s_addc_u32 s4, s8, s5
	s_addc_u32 s5, s9, 0
	s_mul_i32 s6, s3, s7
	s_add_u32 s4, s4, s6
	v_mov_b32_e32 v2, s4
	s_addc_u32 s5, 0, s5
	v_add_co_u32_e32 v2, vcc, s2, v2
	s_cmp_lg_u64 vcc, 0
	s_addc_u32 s2, s3, s5
	v_readfirstlane_b32 s5, v2
	s_mul_i32 s4, s0, s2
	s_mul_hi_u32 s6, s0, s5
	s_mul_hi_u32 s3, s0, s2
	s_add_u32 s4, s6, s4
	s_addc_u32 s3, 0, s3
	s_mul_hi_u32 s7, s1, s5
	s_mul_i32 s5, s1, s5
	s_add_u32 s4, s4, s5
	s_mul_hi_u32 s6, s1, s2
	s_addc_u32 s3, s3, s7
	s_addc_u32 s4, s6, 0
	s_mul_i32 s2, s1, s2
	s_add_u32 s2, s3, s2
	s_addc_u32 s3, 0, s4
	s_add_u32 s4, s2, 1
	s_addc_u32 s5, s3, 0
	s_add_u32 s6, s2, 2
	s_mul_i32 s8, s3, 14
	s_mul_hi_u32 s9, s2, 14
	s_addc_u32 s7, s3, 0
	s_add_i32 s9, s9, s8
	s_mul_i32 s8, s2, 14
	v_mov_b32_e32 v2, s8
	v_sub_co_u32_e32 v2, vcc, s0, v2
	s_cmp_lg_u64 vcc, 0
	s_subb_u32 s8, s1, s9
	v_subrev_co_u32_e32 v3, vcc, 14, v2
	s_cmp_lg_u64 vcc, 0
	s_subb_u32 s9, s8, 0
	v_readfirstlane_b32 s10, v3
	s_cmp_gt_u32 s10, 13
	s_cselect_b32 s10, -1, 0
	s_cmp_eq_u32 s9, 0
	s_cselect_b32 s9, s10, -1
	s_cmp_lg_u32 s9, 0
	s_cselect_b32 s4, s6, s4
	v_readfirstlane_b32 s6, v2
	s_cselect_b32 s5, s7, s5
	s_cmp_gt_u32 s6, 13
	s_cselect_b32 s6, -1, 0
	s_cmp_eq_u32 s8, 0
	s_cselect_b32 s6, s6, -1
	s_cmp_lg_u32 s6, 0
	v_mov_b32_e32 v1, 0
	s_cselect_b32 s3, s5, s3
	s_cselect_b32 s2, s4, s2
	v_cmp_eq_u64_e32 vcc, s[2:3], v[0:1]
	s_and_saveexec_b64 s[2:3], vcc
	s_cbranch_execz .LBB3154_131
; %bb.82:
	s_movk_i32 s2, 0xffcc
	v_mad_i32_i24 v2, v0, s2, v33
	v_mul_hi_u32_u24_e32 v1, 14, v0
	v_mov_b32_e32 v3, s1
	v_sub_co_u32_e32 v0, vcc, s0, v32
	v_subb_co_u32_e32 v1, vcc, v3, v1, vcc
	v_cmp_lt_i64_e32 vcc, 6, v[0:1]
	s_and_saveexec_b64 s[0:1], vcc
	s_xor_b64 s[0:1], exec, s[0:1]
	s_cbranch_execz .LBB3154_108
; %bb.83:
	v_cmp_lt_i64_e32 vcc, 9, v[0:1]
	s_and_saveexec_b64 s[2:3], vcc
	s_xor_b64 s[2:3], exec, s[2:3]
	s_cbranch_execz .LBB3154_97
; %bb.84:
	;; [unrolled: 5-line block ×4, first 2 shown]
	ds_read_b32 v0, v2 offset:6656
	v_mov_b32_e32 v1, 0
                                        ; implicit-def: $vgpr2
	s_waitcnt lgkmcnt(0)
	global_store_dword v1, v0, s[14:15]
.LBB3154_87:
	s_andn2_saveexec_b64 s[6:7], s[6:7]
	s_cbranch_execz .LBB3154_89
; %bb.88:
	ds_read_b32 v0, v2 offset:6144
	v_mov_b32_e32 v1, 0
	s_waitcnt lgkmcnt(0)
	global_store_dword v1, v0, s[14:15]
.LBB3154_89:
	s_or_b64 exec, exec, s[6:7]
                                        ; implicit-def: $vgpr2
                                        ; implicit-def: $vgpr0_vgpr1
.LBB3154_90:
	s_andn2_saveexec_b64 s[4:5], s[4:5]
	s_cbranch_execz .LBB3154_96
; %bb.91:
	v_cmp_lt_i64_e32 vcc, 10, v[0:1]
	s_and_saveexec_b64 s[6:7], vcc
	s_xor_b64 s[6:7], exec, s[6:7]
	s_cbranch_execz .LBB3154_93
; %bb.92:
	ds_read_b32 v0, v2 offset:5632
	v_mov_b32_e32 v1, 0
                                        ; implicit-def: $vgpr2
	s_waitcnt lgkmcnt(0)
	global_store_dword v1, v0, s[14:15]
.LBB3154_93:
	s_andn2_saveexec_b64 s[6:7], s[6:7]
	s_cbranch_execz .LBB3154_95
; %bb.94:
	ds_read_b32 v0, v2 offset:5120
	v_mov_b32_e32 v1, 0
	s_waitcnt lgkmcnt(0)
	global_store_dword v1, v0, s[14:15]
.LBB3154_95:
	s_or_b64 exec, exec, s[6:7]
.LBB3154_96:
	s_or_b64 exec, exec, s[4:5]
                                        ; implicit-def: $vgpr2
                                        ; implicit-def: $vgpr0_vgpr1
.LBB3154_97:
	s_andn2_saveexec_b64 s[2:3], s[2:3]
	s_cbranch_execz .LBB3154_107
; %bb.98:
	v_cmp_lt_i64_e32 vcc, 7, v[0:1]
	s_and_saveexec_b64 s[4:5], vcc
	s_xor_b64 s[4:5], exec, s[4:5]
	s_cbranch_execz .LBB3154_104
; %bb.99:
	v_cmp_lt_i64_e32 vcc, 8, v[0:1]
	s_and_saveexec_b64 s[6:7], vcc
	s_xor_b64 s[6:7], exec, s[6:7]
	s_cbranch_execz .LBB3154_101
; %bb.100:
	ds_read_b32 v0, v2 offset:4608
	v_mov_b32_e32 v1, 0
                                        ; implicit-def: $vgpr2
	s_waitcnt lgkmcnt(0)
	global_store_dword v1, v0, s[14:15]
.LBB3154_101:
	s_andn2_saveexec_b64 s[6:7], s[6:7]
	s_cbranch_execz .LBB3154_103
; %bb.102:
	ds_read_b32 v0, v2 offset:4096
	v_mov_b32_e32 v1, 0
	s_waitcnt lgkmcnt(0)
	global_store_dword v1, v0, s[14:15]
.LBB3154_103:
	s_or_b64 exec, exec, s[6:7]
                                        ; implicit-def: $vgpr2
.LBB3154_104:
	s_andn2_saveexec_b64 s[4:5], s[4:5]
	s_cbranch_execz .LBB3154_106
; %bb.105:
	ds_read_b32 v0, v2 offset:3584
	v_mov_b32_e32 v1, 0
	s_waitcnt lgkmcnt(0)
	global_store_dword v1, v0, s[14:15]
.LBB3154_106:
	s_or_b64 exec, exec, s[4:5]
.LBB3154_107:
	s_or_b64 exec, exec, s[2:3]
                                        ; implicit-def: $vgpr0_vgpr1
                                        ; implicit-def: $vgpr2
.LBB3154_108:
	s_andn2_saveexec_b64 s[0:1], s[0:1]
	s_cbranch_execz .LBB3154_131
; %bb.109:
	v_cmp_lt_i64_e32 vcc, 3, v[0:1]
	s_and_saveexec_b64 s[0:1], vcc
	s_xor_b64 s[0:1], exec, s[0:1]
	s_cbranch_execz .LBB3154_119
; %bb.110:
	v_cmp_lt_i64_e32 vcc, 4, v[0:1]
	s_and_saveexec_b64 s[2:3], vcc
	s_xor_b64 s[2:3], exec, s[2:3]
	;; [unrolled: 5-line block ×3, first 2 shown]
	s_cbranch_execz .LBB3154_113
; %bb.112:
	ds_read_b32 v0, v2 offset:3072
	v_mov_b32_e32 v1, 0
                                        ; implicit-def: $vgpr2
	s_waitcnt lgkmcnt(0)
	global_store_dword v1, v0, s[14:15]
.LBB3154_113:
	s_andn2_saveexec_b64 s[4:5], s[4:5]
	s_cbranch_execz .LBB3154_115
; %bb.114:
	ds_read_b32 v0, v2 offset:2560
	v_mov_b32_e32 v1, 0
	s_waitcnt lgkmcnt(0)
	global_store_dword v1, v0, s[14:15]
.LBB3154_115:
	s_or_b64 exec, exec, s[4:5]
                                        ; implicit-def: $vgpr2
.LBB3154_116:
	s_andn2_saveexec_b64 s[2:3], s[2:3]
	s_cbranch_execz .LBB3154_118
; %bb.117:
	ds_read_b32 v0, v2 offset:2048
	v_mov_b32_e32 v1, 0
	s_waitcnt lgkmcnt(0)
	global_store_dword v1, v0, s[14:15]
.LBB3154_118:
	s_or_b64 exec, exec, s[2:3]
                                        ; implicit-def: $vgpr0_vgpr1
                                        ; implicit-def: $vgpr2
.LBB3154_119:
	s_andn2_saveexec_b64 s[0:1], s[0:1]
	s_cbranch_execz .LBB3154_131
; %bb.120:
	v_cmp_lt_i64_e32 vcc, 1, v[0:1]
	s_and_saveexec_b64 s[0:1], vcc
	s_xor_b64 s[0:1], exec, s[0:1]
	s_cbranch_execz .LBB3154_126
; %bb.121:
	v_cmp_lt_i64_e32 vcc, 2, v[0:1]
	s_and_saveexec_b64 s[2:3], vcc
	s_xor_b64 s[2:3], exec, s[2:3]
	s_cbranch_execz .LBB3154_123
; %bb.122:
	ds_read_b32 v0, v2 offset:1536
	v_mov_b32_e32 v1, 0
                                        ; implicit-def: $vgpr2
	s_waitcnt lgkmcnt(0)
	global_store_dword v1, v0, s[14:15]
.LBB3154_123:
	s_andn2_saveexec_b64 s[2:3], s[2:3]
	s_cbranch_execz .LBB3154_125
; %bb.124:
	ds_read_b32 v0, v2 offset:1024
	v_mov_b32_e32 v1, 0
	s_waitcnt lgkmcnt(0)
	global_store_dword v1, v0, s[14:15]
.LBB3154_125:
	s_or_b64 exec, exec, s[2:3]
                                        ; implicit-def: $vgpr2
                                        ; implicit-def: $vgpr0_vgpr1
.LBB3154_126:
	s_andn2_saveexec_b64 s[0:1], s[0:1]
	s_cbranch_execz .LBB3154_131
; %bb.127:
	v_cmp_ne_u64_e32 vcc, 1, v[0:1]
	s_and_saveexec_b64 s[0:1], vcc
	s_xor_b64 s[0:1], exec, s[0:1]
	s_cbranch_execz .LBB3154_129
; %bb.128:
	ds_read_b32 v0, v2
	v_mov_b32_e32 v1, 0
                                        ; implicit-def: $vgpr2
	s_waitcnt lgkmcnt(0)
	global_store_dword v1, v0, s[14:15]
.LBB3154_129:
	s_andn2_saveexec_b64 s[0:1], s[0:1]
	s_cbranch_execz .LBB3154_131
; %bb.130:
	ds_read_b32 v0, v2 offset:512
	v_mov_b32_e32 v1, 0
	s_waitcnt lgkmcnt(0)
	global_store_dword v1, v0, s[14:15]
.LBB3154_131:
	s_endpgm
	.section	.rodata,"a",@progbits
	.p2align	6, 0x0
	.amdhsa_kernel _ZN7rocprim17ROCPRIM_400000_NS6detail17trampoline_kernelINS0_14default_configENS1_20scan_config_selectorIfEEZZNS1_9scan_implILNS1_25lookback_scan_determinismE0ELb0ELb0ES3_N6thrust23THRUST_200600_302600_NS6detail15normal_iteratorINS9_10device_ptrIfEEEENS9_16discard_iteratorINS9_11use_defaultEEEf11max_functorIfEfEEDaPvRmT3_T4_T5_mT6_P12ihipStream_tbENKUlT_T0_E_clISt17integral_constantIbLb1EESX_EEDaSS_ST_EUlSS_E_NS1_11comp_targetILNS1_3genE4ELNS1_11target_archE910ELNS1_3gpuE8ELNS1_3repE0EEENS1_30default_config_static_selectorELNS0_4arch9wavefront6targetE1EEEvT1_
		.amdhsa_group_segment_fixed_size 7168
		.amdhsa_private_segment_fixed_size 0
		.amdhsa_kernarg_size 104
		.amdhsa_user_sgpr_count 6
		.amdhsa_user_sgpr_private_segment_buffer 1
		.amdhsa_user_sgpr_dispatch_ptr 0
		.amdhsa_user_sgpr_queue_ptr 0
		.amdhsa_user_sgpr_kernarg_segment_ptr 1
		.amdhsa_user_sgpr_dispatch_id 0
		.amdhsa_user_sgpr_flat_scratch_init 0
		.amdhsa_user_sgpr_kernarg_preload_length 0
		.amdhsa_user_sgpr_kernarg_preload_offset 0
		.amdhsa_user_sgpr_private_segment_size 0
		.amdhsa_uses_dynamic_stack 0
		.amdhsa_system_sgpr_private_segment_wavefront_offset 0
		.amdhsa_system_sgpr_workgroup_id_x 1
		.amdhsa_system_sgpr_workgroup_id_y 0
		.amdhsa_system_sgpr_workgroup_id_z 0
		.amdhsa_system_sgpr_workgroup_info 0
		.amdhsa_system_vgpr_workitem_id 0
		.amdhsa_next_free_vgpr 43
		.amdhsa_next_free_sgpr 32
		.amdhsa_accum_offset 44
		.amdhsa_reserve_vcc 1
		.amdhsa_reserve_flat_scratch 0
		.amdhsa_float_round_mode_32 0
		.amdhsa_float_round_mode_16_64 0
		.amdhsa_float_denorm_mode_32 3
		.amdhsa_float_denorm_mode_16_64 3
		.amdhsa_dx10_clamp 1
		.amdhsa_ieee_mode 1
		.amdhsa_fp16_overflow 0
		.amdhsa_tg_split 0
		.amdhsa_exception_fp_ieee_invalid_op 0
		.amdhsa_exception_fp_denorm_src 0
		.amdhsa_exception_fp_ieee_div_zero 0
		.amdhsa_exception_fp_ieee_overflow 0
		.amdhsa_exception_fp_ieee_underflow 0
		.amdhsa_exception_fp_ieee_inexact 0
		.amdhsa_exception_int_div_zero 0
	.end_amdhsa_kernel
	.section	.text._ZN7rocprim17ROCPRIM_400000_NS6detail17trampoline_kernelINS0_14default_configENS1_20scan_config_selectorIfEEZZNS1_9scan_implILNS1_25lookback_scan_determinismE0ELb0ELb0ES3_N6thrust23THRUST_200600_302600_NS6detail15normal_iteratorINS9_10device_ptrIfEEEENS9_16discard_iteratorINS9_11use_defaultEEEf11max_functorIfEfEEDaPvRmT3_T4_T5_mT6_P12ihipStream_tbENKUlT_T0_E_clISt17integral_constantIbLb1EESX_EEDaSS_ST_EUlSS_E_NS1_11comp_targetILNS1_3genE4ELNS1_11target_archE910ELNS1_3gpuE8ELNS1_3repE0EEENS1_30default_config_static_selectorELNS0_4arch9wavefront6targetE1EEEvT1_,"axG",@progbits,_ZN7rocprim17ROCPRIM_400000_NS6detail17trampoline_kernelINS0_14default_configENS1_20scan_config_selectorIfEEZZNS1_9scan_implILNS1_25lookback_scan_determinismE0ELb0ELb0ES3_N6thrust23THRUST_200600_302600_NS6detail15normal_iteratorINS9_10device_ptrIfEEEENS9_16discard_iteratorINS9_11use_defaultEEEf11max_functorIfEfEEDaPvRmT3_T4_T5_mT6_P12ihipStream_tbENKUlT_T0_E_clISt17integral_constantIbLb1EESX_EEDaSS_ST_EUlSS_E_NS1_11comp_targetILNS1_3genE4ELNS1_11target_archE910ELNS1_3gpuE8ELNS1_3repE0EEENS1_30default_config_static_selectorELNS0_4arch9wavefront6targetE1EEEvT1_,comdat
.Lfunc_end3154:
	.size	_ZN7rocprim17ROCPRIM_400000_NS6detail17trampoline_kernelINS0_14default_configENS1_20scan_config_selectorIfEEZZNS1_9scan_implILNS1_25lookback_scan_determinismE0ELb0ELb0ES3_N6thrust23THRUST_200600_302600_NS6detail15normal_iteratorINS9_10device_ptrIfEEEENS9_16discard_iteratorINS9_11use_defaultEEEf11max_functorIfEfEEDaPvRmT3_T4_T5_mT6_P12ihipStream_tbENKUlT_T0_E_clISt17integral_constantIbLb1EESX_EEDaSS_ST_EUlSS_E_NS1_11comp_targetILNS1_3genE4ELNS1_11target_archE910ELNS1_3gpuE8ELNS1_3repE0EEENS1_30default_config_static_selectorELNS0_4arch9wavefront6targetE1EEEvT1_, .Lfunc_end3154-_ZN7rocprim17ROCPRIM_400000_NS6detail17trampoline_kernelINS0_14default_configENS1_20scan_config_selectorIfEEZZNS1_9scan_implILNS1_25lookback_scan_determinismE0ELb0ELb0ES3_N6thrust23THRUST_200600_302600_NS6detail15normal_iteratorINS9_10device_ptrIfEEEENS9_16discard_iteratorINS9_11use_defaultEEEf11max_functorIfEfEEDaPvRmT3_T4_T5_mT6_P12ihipStream_tbENKUlT_T0_E_clISt17integral_constantIbLb1EESX_EEDaSS_ST_EUlSS_E_NS1_11comp_targetILNS1_3genE4ELNS1_11target_archE910ELNS1_3gpuE8ELNS1_3repE0EEENS1_30default_config_static_selectorELNS0_4arch9wavefront6targetE1EEEvT1_
                                        ; -- End function
	.section	.AMDGPU.csdata,"",@progbits
; Kernel info:
; codeLenInByte = 5604
; NumSgprs: 36
; NumVgprs: 43
; NumAgprs: 0
; TotalNumVgprs: 43
; ScratchSize: 0
; MemoryBound: 0
; FloatMode: 240
; IeeeMode: 1
; LDSByteSize: 7168 bytes/workgroup (compile time only)
; SGPRBlocks: 4
; VGPRBlocks: 5
; NumSGPRsForWavesPerEU: 36
; NumVGPRsForWavesPerEU: 43
; AccumOffset: 44
; Occupancy: 5
; WaveLimiterHint : 1
; COMPUTE_PGM_RSRC2:SCRATCH_EN: 0
; COMPUTE_PGM_RSRC2:USER_SGPR: 6
; COMPUTE_PGM_RSRC2:TRAP_HANDLER: 0
; COMPUTE_PGM_RSRC2:TGID_X_EN: 1
; COMPUTE_PGM_RSRC2:TGID_Y_EN: 0
; COMPUTE_PGM_RSRC2:TGID_Z_EN: 0
; COMPUTE_PGM_RSRC2:TIDIG_COMP_CNT: 0
; COMPUTE_PGM_RSRC3_GFX90A:ACCUM_OFFSET: 10
; COMPUTE_PGM_RSRC3_GFX90A:TG_SPLIT: 0
	.section	.text._ZN7rocprim17ROCPRIM_400000_NS6detail17trampoline_kernelINS0_14default_configENS1_20scan_config_selectorIfEEZZNS1_9scan_implILNS1_25lookback_scan_determinismE0ELb0ELb0ES3_N6thrust23THRUST_200600_302600_NS6detail15normal_iteratorINS9_10device_ptrIfEEEENS9_16discard_iteratorINS9_11use_defaultEEEf11max_functorIfEfEEDaPvRmT3_T4_T5_mT6_P12ihipStream_tbENKUlT_T0_E_clISt17integral_constantIbLb1EESX_EEDaSS_ST_EUlSS_E_NS1_11comp_targetILNS1_3genE3ELNS1_11target_archE908ELNS1_3gpuE7ELNS1_3repE0EEENS1_30default_config_static_selectorELNS0_4arch9wavefront6targetE1EEEvT1_,"axG",@progbits,_ZN7rocprim17ROCPRIM_400000_NS6detail17trampoline_kernelINS0_14default_configENS1_20scan_config_selectorIfEEZZNS1_9scan_implILNS1_25lookback_scan_determinismE0ELb0ELb0ES3_N6thrust23THRUST_200600_302600_NS6detail15normal_iteratorINS9_10device_ptrIfEEEENS9_16discard_iteratorINS9_11use_defaultEEEf11max_functorIfEfEEDaPvRmT3_T4_T5_mT6_P12ihipStream_tbENKUlT_T0_E_clISt17integral_constantIbLb1EESX_EEDaSS_ST_EUlSS_E_NS1_11comp_targetILNS1_3genE3ELNS1_11target_archE908ELNS1_3gpuE7ELNS1_3repE0EEENS1_30default_config_static_selectorELNS0_4arch9wavefront6targetE1EEEvT1_,comdat
	.protected	_ZN7rocprim17ROCPRIM_400000_NS6detail17trampoline_kernelINS0_14default_configENS1_20scan_config_selectorIfEEZZNS1_9scan_implILNS1_25lookback_scan_determinismE0ELb0ELb0ES3_N6thrust23THRUST_200600_302600_NS6detail15normal_iteratorINS9_10device_ptrIfEEEENS9_16discard_iteratorINS9_11use_defaultEEEf11max_functorIfEfEEDaPvRmT3_T4_T5_mT6_P12ihipStream_tbENKUlT_T0_E_clISt17integral_constantIbLb1EESX_EEDaSS_ST_EUlSS_E_NS1_11comp_targetILNS1_3genE3ELNS1_11target_archE908ELNS1_3gpuE7ELNS1_3repE0EEENS1_30default_config_static_selectorELNS0_4arch9wavefront6targetE1EEEvT1_ ; -- Begin function _ZN7rocprim17ROCPRIM_400000_NS6detail17trampoline_kernelINS0_14default_configENS1_20scan_config_selectorIfEEZZNS1_9scan_implILNS1_25lookback_scan_determinismE0ELb0ELb0ES3_N6thrust23THRUST_200600_302600_NS6detail15normal_iteratorINS9_10device_ptrIfEEEENS9_16discard_iteratorINS9_11use_defaultEEEf11max_functorIfEfEEDaPvRmT3_T4_T5_mT6_P12ihipStream_tbENKUlT_T0_E_clISt17integral_constantIbLb1EESX_EEDaSS_ST_EUlSS_E_NS1_11comp_targetILNS1_3genE3ELNS1_11target_archE908ELNS1_3gpuE7ELNS1_3repE0EEENS1_30default_config_static_selectorELNS0_4arch9wavefront6targetE1EEEvT1_
	.globl	_ZN7rocprim17ROCPRIM_400000_NS6detail17trampoline_kernelINS0_14default_configENS1_20scan_config_selectorIfEEZZNS1_9scan_implILNS1_25lookback_scan_determinismE0ELb0ELb0ES3_N6thrust23THRUST_200600_302600_NS6detail15normal_iteratorINS9_10device_ptrIfEEEENS9_16discard_iteratorINS9_11use_defaultEEEf11max_functorIfEfEEDaPvRmT3_T4_T5_mT6_P12ihipStream_tbENKUlT_T0_E_clISt17integral_constantIbLb1EESX_EEDaSS_ST_EUlSS_E_NS1_11comp_targetILNS1_3genE3ELNS1_11target_archE908ELNS1_3gpuE7ELNS1_3repE0EEENS1_30default_config_static_selectorELNS0_4arch9wavefront6targetE1EEEvT1_
	.p2align	8
	.type	_ZN7rocprim17ROCPRIM_400000_NS6detail17trampoline_kernelINS0_14default_configENS1_20scan_config_selectorIfEEZZNS1_9scan_implILNS1_25lookback_scan_determinismE0ELb0ELb0ES3_N6thrust23THRUST_200600_302600_NS6detail15normal_iteratorINS9_10device_ptrIfEEEENS9_16discard_iteratorINS9_11use_defaultEEEf11max_functorIfEfEEDaPvRmT3_T4_T5_mT6_P12ihipStream_tbENKUlT_T0_E_clISt17integral_constantIbLb1EESX_EEDaSS_ST_EUlSS_E_NS1_11comp_targetILNS1_3genE3ELNS1_11target_archE908ELNS1_3gpuE7ELNS1_3repE0EEENS1_30default_config_static_selectorELNS0_4arch9wavefront6targetE1EEEvT1_,@function
_ZN7rocprim17ROCPRIM_400000_NS6detail17trampoline_kernelINS0_14default_configENS1_20scan_config_selectorIfEEZZNS1_9scan_implILNS1_25lookback_scan_determinismE0ELb0ELb0ES3_N6thrust23THRUST_200600_302600_NS6detail15normal_iteratorINS9_10device_ptrIfEEEENS9_16discard_iteratorINS9_11use_defaultEEEf11max_functorIfEfEEDaPvRmT3_T4_T5_mT6_P12ihipStream_tbENKUlT_T0_E_clISt17integral_constantIbLb1EESX_EEDaSS_ST_EUlSS_E_NS1_11comp_targetILNS1_3genE3ELNS1_11target_archE908ELNS1_3gpuE7ELNS1_3repE0EEENS1_30default_config_static_selectorELNS0_4arch9wavefront6targetE1EEEvT1_: ; @_ZN7rocprim17ROCPRIM_400000_NS6detail17trampoline_kernelINS0_14default_configENS1_20scan_config_selectorIfEEZZNS1_9scan_implILNS1_25lookback_scan_determinismE0ELb0ELb0ES3_N6thrust23THRUST_200600_302600_NS6detail15normal_iteratorINS9_10device_ptrIfEEEENS9_16discard_iteratorINS9_11use_defaultEEEf11max_functorIfEfEEDaPvRmT3_T4_T5_mT6_P12ihipStream_tbENKUlT_T0_E_clISt17integral_constantIbLb1EESX_EEDaSS_ST_EUlSS_E_NS1_11comp_targetILNS1_3genE3ELNS1_11target_archE908ELNS1_3gpuE7ELNS1_3repE0EEENS1_30default_config_static_selectorELNS0_4arch9wavefront6targetE1EEEvT1_
; %bb.0:
	.section	.rodata,"a",@progbits
	.p2align	6, 0x0
	.amdhsa_kernel _ZN7rocprim17ROCPRIM_400000_NS6detail17trampoline_kernelINS0_14default_configENS1_20scan_config_selectorIfEEZZNS1_9scan_implILNS1_25lookback_scan_determinismE0ELb0ELb0ES3_N6thrust23THRUST_200600_302600_NS6detail15normal_iteratorINS9_10device_ptrIfEEEENS9_16discard_iteratorINS9_11use_defaultEEEf11max_functorIfEfEEDaPvRmT3_T4_T5_mT6_P12ihipStream_tbENKUlT_T0_E_clISt17integral_constantIbLb1EESX_EEDaSS_ST_EUlSS_E_NS1_11comp_targetILNS1_3genE3ELNS1_11target_archE908ELNS1_3gpuE7ELNS1_3repE0EEENS1_30default_config_static_selectorELNS0_4arch9wavefront6targetE1EEEvT1_
		.amdhsa_group_segment_fixed_size 0
		.amdhsa_private_segment_fixed_size 0
		.amdhsa_kernarg_size 104
		.amdhsa_user_sgpr_count 6
		.amdhsa_user_sgpr_private_segment_buffer 1
		.amdhsa_user_sgpr_dispatch_ptr 0
		.amdhsa_user_sgpr_queue_ptr 0
		.amdhsa_user_sgpr_kernarg_segment_ptr 1
		.amdhsa_user_sgpr_dispatch_id 0
		.amdhsa_user_sgpr_flat_scratch_init 0
		.amdhsa_user_sgpr_kernarg_preload_length 0
		.amdhsa_user_sgpr_kernarg_preload_offset 0
		.amdhsa_user_sgpr_private_segment_size 0
		.amdhsa_uses_dynamic_stack 0
		.amdhsa_system_sgpr_private_segment_wavefront_offset 0
		.amdhsa_system_sgpr_workgroup_id_x 1
		.amdhsa_system_sgpr_workgroup_id_y 0
		.amdhsa_system_sgpr_workgroup_id_z 0
		.amdhsa_system_sgpr_workgroup_info 0
		.amdhsa_system_vgpr_workitem_id 0
		.amdhsa_next_free_vgpr 1
		.amdhsa_next_free_sgpr 0
		.amdhsa_accum_offset 4
		.amdhsa_reserve_vcc 0
		.amdhsa_reserve_flat_scratch 0
		.amdhsa_float_round_mode_32 0
		.amdhsa_float_round_mode_16_64 0
		.amdhsa_float_denorm_mode_32 3
		.amdhsa_float_denorm_mode_16_64 3
		.amdhsa_dx10_clamp 1
		.amdhsa_ieee_mode 1
		.amdhsa_fp16_overflow 0
		.amdhsa_tg_split 0
		.amdhsa_exception_fp_ieee_invalid_op 0
		.amdhsa_exception_fp_denorm_src 0
		.amdhsa_exception_fp_ieee_div_zero 0
		.amdhsa_exception_fp_ieee_overflow 0
		.amdhsa_exception_fp_ieee_underflow 0
		.amdhsa_exception_fp_ieee_inexact 0
		.amdhsa_exception_int_div_zero 0
	.end_amdhsa_kernel
	.section	.text._ZN7rocprim17ROCPRIM_400000_NS6detail17trampoline_kernelINS0_14default_configENS1_20scan_config_selectorIfEEZZNS1_9scan_implILNS1_25lookback_scan_determinismE0ELb0ELb0ES3_N6thrust23THRUST_200600_302600_NS6detail15normal_iteratorINS9_10device_ptrIfEEEENS9_16discard_iteratorINS9_11use_defaultEEEf11max_functorIfEfEEDaPvRmT3_T4_T5_mT6_P12ihipStream_tbENKUlT_T0_E_clISt17integral_constantIbLb1EESX_EEDaSS_ST_EUlSS_E_NS1_11comp_targetILNS1_3genE3ELNS1_11target_archE908ELNS1_3gpuE7ELNS1_3repE0EEENS1_30default_config_static_selectorELNS0_4arch9wavefront6targetE1EEEvT1_,"axG",@progbits,_ZN7rocprim17ROCPRIM_400000_NS6detail17trampoline_kernelINS0_14default_configENS1_20scan_config_selectorIfEEZZNS1_9scan_implILNS1_25lookback_scan_determinismE0ELb0ELb0ES3_N6thrust23THRUST_200600_302600_NS6detail15normal_iteratorINS9_10device_ptrIfEEEENS9_16discard_iteratorINS9_11use_defaultEEEf11max_functorIfEfEEDaPvRmT3_T4_T5_mT6_P12ihipStream_tbENKUlT_T0_E_clISt17integral_constantIbLb1EESX_EEDaSS_ST_EUlSS_E_NS1_11comp_targetILNS1_3genE3ELNS1_11target_archE908ELNS1_3gpuE7ELNS1_3repE0EEENS1_30default_config_static_selectorELNS0_4arch9wavefront6targetE1EEEvT1_,comdat
.Lfunc_end3155:
	.size	_ZN7rocprim17ROCPRIM_400000_NS6detail17trampoline_kernelINS0_14default_configENS1_20scan_config_selectorIfEEZZNS1_9scan_implILNS1_25lookback_scan_determinismE0ELb0ELb0ES3_N6thrust23THRUST_200600_302600_NS6detail15normal_iteratorINS9_10device_ptrIfEEEENS9_16discard_iteratorINS9_11use_defaultEEEf11max_functorIfEfEEDaPvRmT3_T4_T5_mT6_P12ihipStream_tbENKUlT_T0_E_clISt17integral_constantIbLb1EESX_EEDaSS_ST_EUlSS_E_NS1_11comp_targetILNS1_3genE3ELNS1_11target_archE908ELNS1_3gpuE7ELNS1_3repE0EEENS1_30default_config_static_selectorELNS0_4arch9wavefront6targetE1EEEvT1_, .Lfunc_end3155-_ZN7rocprim17ROCPRIM_400000_NS6detail17trampoline_kernelINS0_14default_configENS1_20scan_config_selectorIfEEZZNS1_9scan_implILNS1_25lookback_scan_determinismE0ELb0ELb0ES3_N6thrust23THRUST_200600_302600_NS6detail15normal_iteratorINS9_10device_ptrIfEEEENS9_16discard_iteratorINS9_11use_defaultEEEf11max_functorIfEfEEDaPvRmT3_T4_T5_mT6_P12ihipStream_tbENKUlT_T0_E_clISt17integral_constantIbLb1EESX_EEDaSS_ST_EUlSS_E_NS1_11comp_targetILNS1_3genE3ELNS1_11target_archE908ELNS1_3gpuE7ELNS1_3repE0EEENS1_30default_config_static_selectorELNS0_4arch9wavefront6targetE1EEEvT1_
                                        ; -- End function
	.section	.AMDGPU.csdata,"",@progbits
; Kernel info:
; codeLenInByte = 0
; NumSgprs: 4
; NumVgprs: 0
; NumAgprs: 0
; TotalNumVgprs: 0
; ScratchSize: 0
; MemoryBound: 0
; FloatMode: 240
; IeeeMode: 1
; LDSByteSize: 0 bytes/workgroup (compile time only)
; SGPRBlocks: 0
; VGPRBlocks: 0
; NumSGPRsForWavesPerEU: 4
; NumVGPRsForWavesPerEU: 1
; AccumOffset: 4
; Occupancy: 8
; WaveLimiterHint : 0
; COMPUTE_PGM_RSRC2:SCRATCH_EN: 0
; COMPUTE_PGM_RSRC2:USER_SGPR: 6
; COMPUTE_PGM_RSRC2:TRAP_HANDLER: 0
; COMPUTE_PGM_RSRC2:TGID_X_EN: 1
; COMPUTE_PGM_RSRC2:TGID_Y_EN: 0
; COMPUTE_PGM_RSRC2:TGID_Z_EN: 0
; COMPUTE_PGM_RSRC2:TIDIG_COMP_CNT: 0
; COMPUTE_PGM_RSRC3_GFX90A:ACCUM_OFFSET: 0
; COMPUTE_PGM_RSRC3_GFX90A:TG_SPLIT: 0
	.section	.text._ZN7rocprim17ROCPRIM_400000_NS6detail17trampoline_kernelINS0_14default_configENS1_20scan_config_selectorIfEEZZNS1_9scan_implILNS1_25lookback_scan_determinismE0ELb0ELb0ES3_N6thrust23THRUST_200600_302600_NS6detail15normal_iteratorINS9_10device_ptrIfEEEENS9_16discard_iteratorINS9_11use_defaultEEEf11max_functorIfEfEEDaPvRmT3_T4_T5_mT6_P12ihipStream_tbENKUlT_T0_E_clISt17integral_constantIbLb1EESX_EEDaSS_ST_EUlSS_E_NS1_11comp_targetILNS1_3genE2ELNS1_11target_archE906ELNS1_3gpuE6ELNS1_3repE0EEENS1_30default_config_static_selectorELNS0_4arch9wavefront6targetE1EEEvT1_,"axG",@progbits,_ZN7rocprim17ROCPRIM_400000_NS6detail17trampoline_kernelINS0_14default_configENS1_20scan_config_selectorIfEEZZNS1_9scan_implILNS1_25lookback_scan_determinismE0ELb0ELb0ES3_N6thrust23THRUST_200600_302600_NS6detail15normal_iteratorINS9_10device_ptrIfEEEENS9_16discard_iteratorINS9_11use_defaultEEEf11max_functorIfEfEEDaPvRmT3_T4_T5_mT6_P12ihipStream_tbENKUlT_T0_E_clISt17integral_constantIbLb1EESX_EEDaSS_ST_EUlSS_E_NS1_11comp_targetILNS1_3genE2ELNS1_11target_archE906ELNS1_3gpuE6ELNS1_3repE0EEENS1_30default_config_static_selectorELNS0_4arch9wavefront6targetE1EEEvT1_,comdat
	.protected	_ZN7rocprim17ROCPRIM_400000_NS6detail17trampoline_kernelINS0_14default_configENS1_20scan_config_selectorIfEEZZNS1_9scan_implILNS1_25lookback_scan_determinismE0ELb0ELb0ES3_N6thrust23THRUST_200600_302600_NS6detail15normal_iteratorINS9_10device_ptrIfEEEENS9_16discard_iteratorINS9_11use_defaultEEEf11max_functorIfEfEEDaPvRmT3_T4_T5_mT6_P12ihipStream_tbENKUlT_T0_E_clISt17integral_constantIbLb1EESX_EEDaSS_ST_EUlSS_E_NS1_11comp_targetILNS1_3genE2ELNS1_11target_archE906ELNS1_3gpuE6ELNS1_3repE0EEENS1_30default_config_static_selectorELNS0_4arch9wavefront6targetE1EEEvT1_ ; -- Begin function _ZN7rocprim17ROCPRIM_400000_NS6detail17trampoline_kernelINS0_14default_configENS1_20scan_config_selectorIfEEZZNS1_9scan_implILNS1_25lookback_scan_determinismE0ELb0ELb0ES3_N6thrust23THRUST_200600_302600_NS6detail15normal_iteratorINS9_10device_ptrIfEEEENS9_16discard_iteratorINS9_11use_defaultEEEf11max_functorIfEfEEDaPvRmT3_T4_T5_mT6_P12ihipStream_tbENKUlT_T0_E_clISt17integral_constantIbLb1EESX_EEDaSS_ST_EUlSS_E_NS1_11comp_targetILNS1_3genE2ELNS1_11target_archE906ELNS1_3gpuE6ELNS1_3repE0EEENS1_30default_config_static_selectorELNS0_4arch9wavefront6targetE1EEEvT1_
	.globl	_ZN7rocprim17ROCPRIM_400000_NS6detail17trampoline_kernelINS0_14default_configENS1_20scan_config_selectorIfEEZZNS1_9scan_implILNS1_25lookback_scan_determinismE0ELb0ELb0ES3_N6thrust23THRUST_200600_302600_NS6detail15normal_iteratorINS9_10device_ptrIfEEEENS9_16discard_iteratorINS9_11use_defaultEEEf11max_functorIfEfEEDaPvRmT3_T4_T5_mT6_P12ihipStream_tbENKUlT_T0_E_clISt17integral_constantIbLb1EESX_EEDaSS_ST_EUlSS_E_NS1_11comp_targetILNS1_3genE2ELNS1_11target_archE906ELNS1_3gpuE6ELNS1_3repE0EEENS1_30default_config_static_selectorELNS0_4arch9wavefront6targetE1EEEvT1_
	.p2align	8
	.type	_ZN7rocprim17ROCPRIM_400000_NS6detail17trampoline_kernelINS0_14default_configENS1_20scan_config_selectorIfEEZZNS1_9scan_implILNS1_25lookback_scan_determinismE0ELb0ELb0ES3_N6thrust23THRUST_200600_302600_NS6detail15normal_iteratorINS9_10device_ptrIfEEEENS9_16discard_iteratorINS9_11use_defaultEEEf11max_functorIfEfEEDaPvRmT3_T4_T5_mT6_P12ihipStream_tbENKUlT_T0_E_clISt17integral_constantIbLb1EESX_EEDaSS_ST_EUlSS_E_NS1_11comp_targetILNS1_3genE2ELNS1_11target_archE906ELNS1_3gpuE6ELNS1_3repE0EEENS1_30default_config_static_selectorELNS0_4arch9wavefront6targetE1EEEvT1_,@function
_ZN7rocprim17ROCPRIM_400000_NS6detail17trampoline_kernelINS0_14default_configENS1_20scan_config_selectorIfEEZZNS1_9scan_implILNS1_25lookback_scan_determinismE0ELb0ELb0ES3_N6thrust23THRUST_200600_302600_NS6detail15normal_iteratorINS9_10device_ptrIfEEEENS9_16discard_iteratorINS9_11use_defaultEEEf11max_functorIfEfEEDaPvRmT3_T4_T5_mT6_P12ihipStream_tbENKUlT_T0_E_clISt17integral_constantIbLb1EESX_EEDaSS_ST_EUlSS_E_NS1_11comp_targetILNS1_3genE2ELNS1_11target_archE906ELNS1_3gpuE6ELNS1_3repE0EEENS1_30default_config_static_selectorELNS0_4arch9wavefront6targetE1EEEvT1_: ; @_ZN7rocprim17ROCPRIM_400000_NS6detail17trampoline_kernelINS0_14default_configENS1_20scan_config_selectorIfEEZZNS1_9scan_implILNS1_25lookback_scan_determinismE0ELb0ELb0ES3_N6thrust23THRUST_200600_302600_NS6detail15normal_iteratorINS9_10device_ptrIfEEEENS9_16discard_iteratorINS9_11use_defaultEEEf11max_functorIfEfEEDaPvRmT3_T4_T5_mT6_P12ihipStream_tbENKUlT_T0_E_clISt17integral_constantIbLb1EESX_EEDaSS_ST_EUlSS_E_NS1_11comp_targetILNS1_3genE2ELNS1_11target_archE906ELNS1_3gpuE6ELNS1_3repE0EEENS1_30default_config_static_selectorELNS0_4arch9wavefront6targetE1EEEvT1_
; %bb.0:
	.section	.rodata,"a",@progbits
	.p2align	6, 0x0
	.amdhsa_kernel _ZN7rocprim17ROCPRIM_400000_NS6detail17trampoline_kernelINS0_14default_configENS1_20scan_config_selectorIfEEZZNS1_9scan_implILNS1_25lookback_scan_determinismE0ELb0ELb0ES3_N6thrust23THRUST_200600_302600_NS6detail15normal_iteratorINS9_10device_ptrIfEEEENS9_16discard_iteratorINS9_11use_defaultEEEf11max_functorIfEfEEDaPvRmT3_T4_T5_mT6_P12ihipStream_tbENKUlT_T0_E_clISt17integral_constantIbLb1EESX_EEDaSS_ST_EUlSS_E_NS1_11comp_targetILNS1_3genE2ELNS1_11target_archE906ELNS1_3gpuE6ELNS1_3repE0EEENS1_30default_config_static_selectorELNS0_4arch9wavefront6targetE1EEEvT1_
		.amdhsa_group_segment_fixed_size 0
		.amdhsa_private_segment_fixed_size 0
		.amdhsa_kernarg_size 104
		.amdhsa_user_sgpr_count 6
		.amdhsa_user_sgpr_private_segment_buffer 1
		.amdhsa_user_sgpr_dispatch_ptr 0
		.amdhsa_user_sgpr_queue_ptr 0
		.amdhsa_user_sgpr_kernarg_segment_ptr 1
		.amdhsa_user_sgpr_dispatch_id 0
		.amdhsa_user_sgpr_flat_scratch_init 0
		.amdhsa_user_sgpr_kernarg_preload_length 0
		.amdhsa_user_sgpr_kernarg_preload_offset 0
		.amdhsa_user_sgpr_private_segment_size 0
		.amdhsa_uses_dynamic_stack 0
		.amdhsa_system_sgpr_private_segment_wavefront_offset 0
		.amdhsa_system_sgpr_workgroup_id_x 1
		.amdhsa_system_sgpr_workgroup_id_y 0
		.amdhsa_system_sgpr_workgroup_id_z 0
		.amdhsa_system_sgpr_workgroup_info 0
		.amdhsa_system_vgpr_workitem_id 0
		.amdhsa_next_free_vgpr 1
		.amdhsa_next_free_sgpr 0
		.amdhsa_accum_offset 4
		.amdhsa_reserve_vcc 0
		.amdhsa_reserve_flat_scratch 0
		.amdhsa_float_round_mode_32 0
		.amdhsa_float_round_mode_16_64 0
		.amdhsa_float_denorm_mode_32 3
		.amdhsa_float_denorm_mode_16_64 3
		.amdhsa_dx10_clamp 1
		.amdhsa_ieee_mode 1
		.amdhsa_fp16_overflow 0
		.amdhsa_tg_split 0
		.amdhsa_exception_fp_ieee_invalid_op 0
		.amdhsa_exception_fp_denorm_src 0
		.amdhsa_exception_fp_ieee_div_zero 0
		.amdhsa_exception_fp_ieee_overflow 0
		.amdhsa_exception_fp_ieee_underflow 0
		.amdhsa_exception_fp_ieee_inexact 0
		.amdhsa_exception_int_div_zero 0
	.end_amdhsa_kernel
	.section	.text._ZN7rocprim17ROCPRIM_400000_NS6detail17trampoline_kernelINS0_14default_configENS1_20scan_config_selectorIfEEZZNS1_9scan_implILNS1_25lookback_scan_determinismE0ELb0ELb0ES3_N6thrust23THRUST_200600_302600_NS6detail15normal_iteratorINS9_10device_ptrIfEEEENS9_16discard_iteratorINS9_11use_defaultEEEf11max_functorIfEfEEDaPvRmT3_T4_T5_mT6_P12ihipStream_tbENKUlT_T0_E_clISt17integral_constantIbLb1EESX_EEDaSS_ST_EUlSS_E_NS1_11comp_targetILNS1_3genE2ELNS1_11target_archE906ELNS1_3gpuE6ELNS1_3repE0EEENS1_30default_config_static_selectorELNS0_4arch9wavefront6targetE1EEEvT1_,"axG",@progbits,_ZN7rocprim17ROCPRIM_400000_NS6detail17trampoline_kernelINS0_14default_configENS1_20scan_config_selectorIfEEZZNS1_9scan_implILNS1_25lookback_scan_determinismE0ELb0ELb0ES3_N6thrust23THRUST_200600_302600_NS6detail15normal_iteratorINS9_10device_ptrIfEEEENS9_16discard_iteratorINS9_11use_defaultEEEf11max_functorIfEfEEDaPvRmT3_T4_T5_mT6_P12ihipStream_tbENKUlT_T0_E_clISt17integral_constantIbLb1EESX_EEDaSS_ST_EUlSS_E_NS1_11comp_targetILNS1_3genE2ELNS1_11target_archE906ELNS1_3gpuE6ELNS1_3repE0EEENS1_30default_config_static_selectorELNS0_4arch9wavefront6targetE1EEEvT1_,comdat
.Lfunc_end3156:
	.size	_ZN7rocprim17ROCPRIM_400000_NS6detail17trampoline_kernelINS0_14default_configENS1_20scan_config_selectorIfEEZZNS1_9scan_implILNS1_25lookback_scan_determinismE0ELb0ELb0ES3_N6thrust23THRUST_200600_302600_NS6detail15normal_iteratorINS9_10device_ptrIfEEEENS9_16discard_iteratorINS9_11use_defaultEEEf11max_functorIfEfEEDaPvRmT3_T4_T5_mT6_P12ihipStream_tbENKUlT_T0_E_clISt17integral_constantIbLb1EESX_EEDaSS_ST_EUlSS_E_NS1_11comp_targetILNS1_3genE2ELNS1_11target_archE906ELNS1_3gpuE6ELNS1_3repE0EEENS1_30default_config_static_selectorELNS0_4arch9wavefront6targetE1EEEvT1_, .Lfunc_end3156-_ZN7rocprim17ROCPRIM_400000_NS6detail17trampoline_kernelINS0_14default_configENS1_20scan_config_selectorIfEEZZNS1_9scan_implILNS1_25lookback_scan_determinismE0ELb0ELb0ES3_N6thrust23THRUST_200600_302600_NS6detail15normal_iteratorINS9_10device_ptrIfEEEENS9_16discard_iteratorINS9_11use_defaultEEEf11max_functorIfEfEEDaPvRmT3_T4_T5_mT6_P12ihipStream_tbENKUlT_T0_E_clISt17integral_constantIbLb1EESX_EEDaSS_ST_EUlSS_E_NS1_11comp_targetILNS1_3genE2ELNS1_11target_archE906ELNS1_3gpuE6ELNS1_3repE0EEENS1_30default_config_static_selectorELNS0_4arch9wavefront6targetE1EEEvT1_
                                        ; -- End function
	.section	.AMDGPU.csdata,"",@progbits
; Kernel info:
; codeLenInByte = 0
; NumSgprs: 4
; NumVgprs: 0
; NumAgprs: 0
; TotalNumVgprs: 0
; ScratchSize: 0
; MemoryBound: 0
; FloatMode: 240
; IeeeMode: 1
; LDSByteSize: 0 bytes/workgroup (compile time only)
; SGPRBlocks: 0
; VGPRBlocks: 0
; NumSGPRsForWavesPerEU: 4
; NumVGPRsForWavesPerEU: 1
; AccumOffset: 4
; Occupancy: 8
; WaveLimiterHint : 0
; COMPUTE_PGM_RSRC2:SCRATCH_EN: 0
; COMPUTE_PGM_RSRC2:USER_SGPR: 6
; COMPUTE_PGM_RSRC2:TRAP_HANDLER: 0
; COMPUTE_PGM_RSRC2:TGID_X_EN: 1
; COMPUTE_PGM_RSRC2:TGID_Y_EN: 0
; COMPUTE_PGM_RSRC2:TGID_Z_EN: 0
; COMPUTE_PGM_RSRC2:TIDIG_COMP_CNT: 0
; COMPUTE_PGM_RSRC3_GFX90A:ACCUM_OFFSET: 0
; COMPUTE_PGM_RSRC3_GFX90A:TG_SPLIT: 0
	.section	.text._ZN7rocprim17ROCPRIM_400000_NS6detail17trampoline_kernelINS0_14default_configENS1_20scan_config_selectorIfEEZZNS1_9scan_implILNS1_25lookback_scan_determinismE0ELb0ELb0ES3_N6thrust23THRUST_200600_302600_NS6detail15normal_iteratorINS9_10device_ptrIfEEEENS9_16discard_iteratorINS9_11use_defaultEEEf11max_functorIfEfEEDaPvRmT3_T4_T5_mT6_P12ihipStream_tbENKUlT_T0_E_clISt17integral_constantIbLb1EESX_EEDaSS_ST_EUlSS_E_NS1_11comp_targetILNS1_3genE10ELNS1_11target_archE1201ELNS1_3gpuE5ELNS1_3repE0EEENS1_30default_config_static_selectorELNS0_4arch9wavefront6targetE1EEEvT1_,"axG",@progbits,_ZN7rocprim17ROCPRIM_400000_NS6detail17trampoline_kernelINS0_14default_configENS1_20scan_config_selectorIfEEZZNS1_9scan_implILNS1_25lookback_scan_determinismE0ELb0ELb0ES3_N6thrust23THRUST_200600_302600_NS6detail15normal_iteratorINS9_10device_ptrIfEEEENS9_16discard_iteratorINS9_11use_defaultEEEf11max_functorIfEfEEDaPvRmT3_T4_T5_mT6_P12ihipStream_tbENKUlT_T0_E_clISt17integral_constantIbLb1EESX_EEDaSS_ST_EUlSS_E_NS1_11comp_targetILNS1_3genE10ELNS1_11target_archE1201ELNS1_3gpuE5ELNS1_3repE0EEENS1_30default_config_static_selectorELNS0_4arch9wavefront6targetE1EEEvT1_,comdat
	.protected	_ZN7rocprim17ROCPRIM_400000_NS6detail17trampoline_kernelINS0_14default_configENS1_20scan_config_selectorIfEEZZNS1_9scan_implILNS1_25lookback_scan_determinismE0ELb0ELb0ES3_N6thrust23THRUST_200600_302600_NS6detail15normal_iteratorINS9_10device_ptrIfEEEENS9_16discard_iteratorINS9_11use_defaultEEEf11max_functorIfEfEEDaPvRmT3_T4_T5_mT6_P12ihipStream_tbENKUlT_T0_E_clISt17integral_constantIbLb1EESX_EEDaSS_ST_EUlSS_E_NS1_11comp_targetILNS1_3genE10ELNS1_11target_archE1201ELNS1_3gpuE5ELNS1_3repE0EEENS1_30default_config_static_selectorELNS0_4arch9wavefront6targetE1EEEvT1_ ; -- Begin function _ZN7rocprim17ROCPRIM_400000_NS6detail17trampoline_kernelINS0_14default_configENS1_20scan_config_selectorIfEEZZNS1_9scan_implILNS1_25lookback_scan_determinismE0ELb0ELb0ES3_N6thrust23THRUST_200600_302600_NS6detail15normal_iteratorINS9_10device_ptrIfEEEENS9_16discard_iteratorINS9_11use_defaultEEEf11max_functorIfEfEEDaPvRmT3_T4_T5_mT6_P12ihipStream_tbENKUlT_T0_E_clISt17integral_constantIbLb1EESX_EEDaSS_ST_EUlSS_E_NS1_11comp_targetILNS1_3genE10ELNS1_11target_archE1201ELNS1_3gpuE5ELNS1_3repE0EEENS1_30default_config_static_selectorELNS0_4arch9wavefront6targetE1EEEvT1_
	.globl	_ZN7rocprim17ROCPRIM_400000_NS6detail17trampoline_kernelINS0_14default_configENS1_20scan_config_selectorIfEEZZNS1_9scan_implILNS1_25lookback_scan_determinismE0ELb0ELb0ES3_N6thrust23THRUST_200600_302600_NS6detail15normal_iteratorINS9_10device_ptrIfEEEENS9_16discard_iteratorINS9_11use_defaultEEEf11max_functorIfEfEEDaPvRmT3_T4_T5_mT6_P12ihipStream_tbENKUlT_T0_E_clISt17integral_constantIbLb1EESX_EEDaSS_ST_EUlSS_E_NS1_11comp_targetILNS1_3genE10ELNS1_11target_archE1201ELNS1_3gpuE5ELNS1_3repE0EEENS1_30default_config_static_selectorELNS0_4arch9wavefront6targetE1EEEvT1_
	.p2align	8
	.type	_ZN7rocprim17ROCPRIM_400000_NS6detail17trampoline_kernelINS0_14default_configENS1_20scan_config_selectorIfEEZZNS1_9scan_implILNS1_25lookback_scan_determinismE0ELb0ELb0ES3_N6thrust23THRUST_200600_302600_NS6detail15normal_iteratorINS9_10device_ptrIfEEEENS9_16discard_iteratorINS9_11use_defaultEEEf11max_functorIfEfEEDaPvRmT3_T4_T5_mT6_P12ihipStream_tbENKUlT_T0_E_clISt17integral_constantIbLb1EESX_EEDaSS_ST_EUlSS_E_NS1_11comp_targetILNS1_3genE10ELNS1_11target_archE1201ELNS1_3gpuE5ELNS1_3repE0EEENS1_30default_config_static_selectorELNS0_4arch9wavefront6targetE1EEEvT1_,@function
_ZN7rocprim17ROCPRIM_400000_NS6detail17trampoline_kernelINS0_14default_configENS1_20scan_config_selectorIfEEZZNS1_9scan_implILNS1_25lookback_scan_determinismE0ELb0ELb0ES3_N6thrust23THRUST_200600_302600_NS6detail15normal_iteratorINS9_10device_ptrIfEEEENS9_16discard_iteratorINS9_11use_defaultEEEf11max_functorIfEfEEDaPvRmT3_T4_T5_mT6_P12ihipStream_tbENKUlT_T0_E_clISt17integral_constantIbLb1EESX_EEDaSS_ST_EUlSS_E_NS1_11comp_targetILNS1_3genE10ELNS1_11target_archE1201ELNS1_3gpuE5ELNS1_3repE0EEENS1_30default_config_static_selectorELNS0_4arch9wavefront6targetE1EEEvT1_: ; @_ZN7rocprim17ROCPRIM_400000_NS6detail17trampoline_kernelINS0_14default_configENS1_20scan_config_selectorIfEEZZNS1_9scan_implILNS1_25lookback_scan_determinismE0ELb0ELb0ES3_N6thrust23THRUST_200600_302600_NS6detail15normal_iteratorINS9_10device_ptrIfEEEENS9_16discard_iteratorINS9_11use_defaultEEEf11max_functorIfEfEEDaPvRmT3_T4_T5_mT6_P12ihipStream_tbENKUlT_T0_E_clISt17integral_constantIbLb1EESX_EEDaSS_ST_EUlSS_E_NS1_11comp_targetILNS1_3genE10ELNS1_11target_archE1201ELNS1_3gpuE5ELNS1_3repE0EEENS1_30default_config_static_selectorELNS0_4arch9wavefront6targetE1EEEvT1_
; %bb.0:
	.section	.rodata,"a",@progbits
	.p2align	6, 0x0
	.amdhsa_kernel _ZN7rocprim17ROCPRIM_400000_NS6detail17trampoline_kernelINS0_14default_configENS1_20scan_config_selectorIfEEZZNS1_9scan_implILNS1_25lookback_scan_determinismE0ELb0ELb0ES3_N6thrust23THRUST_200600_302600_NS6detail15normal_iteratorINS9_10device_ptrIfEEEENS9_16discard_iteratorINS9_11use_defaultEEEf11max_functorIfEfEEDaPvRmT3_T4_T5_mT6_P12ihipStream_tbENKUlT_T0_E_clISt17integral_constantIbLb1EESX_EEDaSS_ST_EUlSS_E_NS1_11comp_targetILNS1_3genE10ELNS1_11target_archE1201ELNS1_3gpuE5ELNS1_3repE0EEENS1_30default_config_static_selectorELNS0_4arch9wavefront6targetE1EEEvT1_
		.amdhsa_group_segment_fixed_size 0
		.amdhsa_private_segment_fixed_size 0
		.amdhsa_kernarg_size 104
		.amdhsa_user_sgpr_count 6
		.amdhsa_user_sgpr_private_segment_buffer 1
		.amdhsa_user_sgpr_dispatch_ptr 0
		.amdhsa_user_sgpr_queue_ptr 0
		.amdhsa_user_sgpr_kernarg_segment_ptr 1
		.amdhsa_user_sgpr_dispatch_id 0
		.amdhsa_user_sgpr_flat_scratch_init 0
		.amdhsa_user_sgpr_kernarg_preload_length 0
		.amdhsa_user_sgpr_kernarg_preload_offset 0
		.amdhsa_user_sgpr_private_segment_size 0
		.amdhsa_uses_dynamic_stack 0
		.amdhsa_system_sgpr_private_segment_wavefront_offset 0
		.amdhsa_system_sgpr_workgroup_id_x 1
		.amdhsa_system_sgpr_workgroup_id_y 0
		.amdhsa_system_sgpr_workgroup_id_z 0
		.amdhsa_system_sgpr_workgroup_info 0
		.amdhsa_system_vgpr_workitem_id 0
		.amdhsa_next_free_vgpr 1
		.amdhsa_next_free_sgpr 0
		.amdhsa_accum_offset 4
		.amdhsa_reserve_vcc 0
		.amdhsa_reserve_flat_scratch 0
		.amdhsa_float_round_mode_32 0
		.amdhsa_float_round_mode_16_64 0
		.amdhsa_float_denorm_mode_32 3
		.amdhsa_float_denorm_mode_16_64 3
		.amdhsa_dx10_clamp 1
		.amdhsa_ieee_mode 1
		.amdhsa_fp16_overflow 0
		.amdhsa_tg_split 0
		.amdhsa_exception_fp_ieee_invalid_op 0
		.amdhsa_exception_fp_denorm_src 0
		.amdhsa_exception_fp_ieee_div_zero 0
		.amdhsa_exception_fp_ieee_overflow 0
		.amdhsa_exception_fp_ieee_underflow 0
		.amdhsa_exception_fp_ieee_inexact 0
		.amdhsa_exception_int_div_zero 0
	.end_amdhsa_kernel
	.section	.text._ZN7rocprim17ROCPRIM_400000_NS6detail17trampoline_kernelINS0_14default_configENS1_20scan_config_selectorIfEEZZNS1_9scan_implILNS1_25lookback_scan_determinismE0ELb0ELb0ES3_N6thrust23THRUST_200600_302600_NS6detail15normal_iteratorINS9_10device_ptrIfEEEENS9_16discard_iteratorINS9_11use_defaultEEEf11max_functorIfEfEEDaPvRmT3_T4_T5_mT6_P12ihipStream_tbENKUlT_T0_E_clISt17integral_constantIbLb1EESX_EEDaSS_ST_EUlSS_E_NS1_11comp_targetILNS1_3genE10ELNS1_11target_archE1201ELNS1_3gpuE5ELNS1_3repE0EEENS1_30default_config_static_selectorELNS0_4arch9wavefront6targetE1EEEvT1_,"axG",@progbits,_ZN7rocprim17ROCPRIM_400000_NS6detail17trampoline_kernelINS0_14default_configENS1_20scan_config_selectorIfEEZZNS1_9scan_implILNS1_25lookback_scan_determinismE0ELb0ELb0ES3_N6thrust23THRUST_200600_302600_NS6detail15normal_iteratorINS9_10device_ptrIfEEEENS9_16discard_iteratorINS9_11use_defaultEEEf11max_functorIfEfEEDaPvRmT3_T4_T5_mT6_P12ihipStream_tbENKUlT_T0_E_clISt17integral_constantIbLb1EESX_EEDaSS_ST_EUlSS_E_NS1_11comp_targetILNS1_3genE10ELNS1_11target_archE1201ELNS1_3gpuE5ELNS1_3repE0EEENS1_30default_config_static_selectorELNS0_4arch9wavefront6targetE1EEEvT1_,comdat
.Lfunc_end3157:
	.size	_ZN7rocprim17ROCPRIM_400000_NS6detail17trampoline_kernelINS0_14default_configENS1_20scan_config_selectorIfEEZZNS1_9scan_implILNS1_25lookback_scan_determinismE0ELb0ELb0ES3_N6thrust23THRUST_200600_302600_NS6detail15normal_iteratorINS9_10device_ptrIfEEEENS9_16discard_iteratorINS9_11use_defaultEEEf11max_functorIfEfEEDaPvRmT3_T4_T5_mT6_P12ihipStream_tbENKUlT_T0_E_clISt17integral_constantIbLb1EESX_EEDaSS_ST_EUlSS_E_NS1_11comp_targetILNS1_3genE10ELNS1_11target_archE1201ELNS1_3gpuE5ELNS1_3repE0EEENS1_30default_config_static_selectorELNS0_4arch9wavefront6targetE1EEEvT1_, .Lfunc_end3157-_ZN7rocprim17ROCPRIM_400000_NS6detail17trampoline_kernelINS0_14default_configENS1_20scan_config_selectorIfEEZZNS1_9scan_implILNS1_25lookback_scan_determinismE0ELb0ELb0ES3_N6thrust23THRUST_200600_302600_NS6detail15normal_iteratorINS9_10device_ptrIfEEEENS9_16discard_iteratorINS9_11use_defaultEEEf11max_functorIfEfEEDaPvRmT3_T4_T5_mT6_P12ihipStream_tbENKUlT_T0_E_clISt17integral_constantIbLb1EESX_EEDaSS_ST_EUlSS_E_NS1_11comp_targetILNS1_3genE10ELNS1_11target_archE1201ELNS1_3gpuE5ELNS1_3repE0EEENS1_30default_config_static_selectorELNS0_4arch9wavefront6targetE1EEEvT1_
                                        ; -- End function
	.section	.AMDGPU.csdata,"",@progbits
; Kernel info:
; codeLenInByte = 0
; NumSgprs: 4
; NumVgprs: 0
; NumAgprs: 0
; TotalNumVgprs: 0
; ScratchSize: 0
; MemoryBound: 0
; FloatMode: 240
; IeeeMode: 1
; LDSByteSize: 0 bytes/workgroup (compile time only)
; SGPRBlocks: 0
; VGPRBlocks: 0
; NumSGPRsForWavesPerEU: 4
; NumVGPRsForWavesPerEU: 1
; AccumOffset: 4
; Occupancy: 8
; WaveLimiterHint : 0
; COMPUTE_PGM_RSRC2:SCRATCH_EN: 0
; COMPUTE_PGM_RSRC2:USER_SGPR: 6
; COMPUTE_PGM_RSRC2:TRAP_HANDLER: 0
; COMPUTE_PGM_RSRC2:TGID_X_EN: 1
; COMPUTE_PGM_RSRC2:TGID_Y_EN: 0
; COMPUTE_PGM_RSRC2:TGID_Z_EN: 0
; COMPUTE_PGM_RSRC2:TIDIG_COMP_CNT: 0
; COMPUTE_PGM_RSRC3_GFX90A:ACCUM_OFFSET: 0
; COMPUTE_PGM_RSRC3_GFX90A:TG_SPLIT: 0
	.section	.text._ZN7rocprim17ROCPRIM_400000_NS6detail17trampoline_kernelINS0_14default_configENS1_20scan_config_selectorIfEEZZNS1_9scan_implILNS1_25lookback_scan_determinismE0ELb0ELb0ES3_N6thrust23THRUST_200600_302600_NS6detail15normal_iteratorINS9_10device_ptrIfEEEENS9_16discard_iteratorINS9_11use_defaultEEEf11max_functorIfEfEEDaPvRmT3_T4_T5_mT6_P12ihipStream_tbENKUlT_T0_E_clISt17integral_constantIbLb1EESX_EEDaSS_ST_EUlSS_E_NS1_11comp_targetILNS1_3genE10ELNS1_11target_archE1200ELNS1_3gpuE4ELNS1_3repE0EEENS1_30default_config_static_selectorELNS0_4arch9wavefront6targetE1EEEvT1_,"axG",@progbits,_ZN7rocprim17ROCPRIM_400000_NS6detail17trampoline_kernelINS0_14default_configENS1_20scan_config_selectorIfEEZZNS1_9scan_implILNS1_25lookback_scan_determinismE0ELb0ELb0ES3_N6thrust23THRUST_200600_302600_NS6detail15normal_iteratorINS9_10device_ptrIfEEEENS9_16discard_iteratorINS9_11use_defaultEEEf11max_functorIfEfEEDaPvRmT3_T4_T5_mT6_P12ihipStream_tbENKUlT_T0_E_clISt17integral_constantIbLb1EESX_EEDaSS_ST_EUlSS_E_NS1_11comp_targetILNS1_3genE10ELNS1_11target_archE1200ELNS1_3gpuE4ELNS1_3repE0EEENS1_30default_config_static_selectorELNS0_4arch9wavefront6targetE1EEEvT1_,comdat
	.protected	_ZN7rocprim17ROCPRIM_400000_NS6detail17trampoline_kernelINS0_14default_configENS1_20scan_config_selectorIfEEZZNS1_9scan_implILNS1_25lookback_scan_determinismE0ELb0ELb0ES3_N6thrust23THRUST_200600_302600_NS6detail15normal_iteratorINS9_10device_ptrIfEEEENS9_16discard_iteratorINS9_11use_defaultEEEf11max_functorIfEfEEDaPvRmT3_T4_T5_mT6_P12ihipStream_tbENKUlT_T0_E_clISt17integral_constantIbLb1EESX_EEDaSS_ST_EUlSS_E_NS1_11comp_targetILNS1_3genE10ELNS1_11target_archE1200ELNS1_3gpuE4ELNS1_3repE0EEENS1_30default_config_static_selectorELNS0_4arch9wavefront6targetE1EEEvT1_ ; -- Begin function _ZN7rocprim17ROCPRIM_400000_NS6detail17trampoline_kernelINS0_14default_configENS1_20scan_config_selectorIfEEZZNS1_9scan_implILNS1_25lookback_scan_determinismE0ELb0ELb0ES3_N6thrust23THRUST_200600_302600_NS6detail15normal_iteratorINS9_10device_ptrIfEEEENS9_16discard_iteratorINS9_11use_defaultEEEf11max_functorIfEfEEDaPvRmT3_T4_T5_mT6_P12ihipStream_tbENKUlT_T0_E_clISt17integral_constantIbLb1EESX_EEDaSS_ST_EUlSS_E_NS1_11comp_targetILNS1_3genE10ELNS1_11target_archE1200ELNS1_3gpuE4ELNS1_3repE0EEENS1_30default_config_static_selectorELNS0_4arch9wavefront6targetE1EEEvT1_
	.globl	_ZN7rocprim17ROCPRIM_400000_NS6detail17trampoline_kernelINS0_14default_configENS1_20scan_config_selectorIfEEZZNS1_9scan_implILNS1_25lookback_scan_determinismE0ELb0ELb0ES3_N6thrust23THRUST_200600_302600_NS6detail15normal_iteratorINS9_10device_ptrIfEEEENS9_16discard_iteratorINS9_11use_defaultEEEf11max_functorIfEfEEDaPvRmT3_T4_T5_mT6_P12ihipStream_tbENKUlT_T0_E_clISt17integral_constantIbLb1EESX_EEDaSS_ST_EUlSS_E_NS1_11comp_targetILNS1_3genE10ELNS1_11target_archE1200ELNS1_3gpuE4ELNS1_3repE0EEENS1_30default_config_static_selectorELNS0_4arch9wavefront6targetE1EEEvT1_
	.p2align	8
	.type	_ZN7rocprim17ROCPRIM_400000_NS6detail17trampoline_kernelINS0_14default_configENS1_20scan_config_selectorIfEEZZNS1_9scan_implILNS1_25lookback_scan_determinismE0ELb0ELb0ES3_N6thrust23THRUST_200600_302600_NS6detail15normal_iteratorINS9_10device_ptrIfEEEENS9_16discard_iteratorINS9_11use_defaultEEEf11max_functorIfEfEEDaPvRmT3_T4_T5_mT6_P12ihipStream_tbENKUlT_T0_E_clISt17integral_constantIbLb1EESX_EEDaSS_ST_EUlSS_E_NS1_11comp_targetILNS1_3genE10ELNS1_11target_archE1200ELNS1_3gpuE4ELNS1_3repE0EEENS1_30default_config_static_selectorELNS0_4arch9wavefront6targetE1EEEvT1_,@function
_ZN7rocprim17ROCPRIM_400000_NS6detail17trampoline_kernelINS0_14default_configENS1_20scan_config_selectorIfEEZZNS1_9scan_implILNS1_25lookback_scan_determinismE0ELb0ELb0ES3_N6thrust23THRUST_200600_302600_NS6detail15normal_iteratorINS9_10device_ptrIfEEEENS9_16discard_iteratorINS9_11use_defaultEEEf11max_functorIfEfEEDaPvRmT3_T4_T5_mT6_P12ihipStream_tbENKUlT_T0_E_clISt17integral_constantIbLb1EESX_EEDaSS_ST_EUlSS_E_NS1_11comp_targetILNS1_3genE10ELNS1_11target_archE1200ELNS1_3gpuE4ELNS1_3repE0EEENS1_30default_config_static_selectorELNS0_4arch9wavefront6targetE1EEEvT1_: ; @_ZN7rocprim17ROCPRIM_400000_NS6detail17trampoline_kernelINS0_14default_configENS1_20scan_config_selectorIfEEZZNS1_9scan_implILNS1_25lookback_scan_determinismE0ELb0ELb0ES3_N6thrust23THRUST_200600_302600_NS6detail15normal_iteratorINS9_10device_ptrIfEEEENS9_16discard_iteratorINS9_11use_defaultEEEf11max_functorIfEfEEDaPvRmT3_T4_T5_mT6_P12ihipStream_tbENKUlT_T0_E_clISt17integral_constantIbLb1EESX_EEDaSS_ST_EUlSS_E_NS1_11comp_targetILNS1_3genE10ELNS1_11target_archE1200ELNS1_3gpuE4ELNS1_3repE0EEENS1_30default_config_static_selectorELNS0_4arch9wavefront6targetE1EEEvT1_
; %bb.0:
	.section	.rodata,"a",@progbits
	.p2align	6, 0x0
	.amdhsa_kernel _ZN7rocprim17ROCPRIM_400000_NS6detail17trampoline_kernelINS0_14default_configENS1_20scan_config_selectorIfEEZZNS1_9scan_implILNS1_25lookback_scan_determinismE0ELb0ELb0ES3_N6thrust23THRUST_200600_302600_NS6detail15normal_iteratorINS9_10device_ptrIfEEEENS9_16discard_iteratorINS9_11use_defaultEEEf11max_functorIfEfEEDaPvRmT3_T4_T5_mT6_P12ihipStream_tbENKUlT_T0_E_clISt17integral_constantIbLb1EESX_EEDaSS_ST_EUlSS_E_NS1_11comp_targetILNS1_3genE10ELNS1_11target_archE1200ELNS1_3gpuE4ELNS1_3repE0EEENS1_30default_config_static_selectorELNS0_4arch9wavefront6targetE1EEEvT1_
		.amdhsa_group_segment_fixed_size 0
		.amdhsa_private_segment_fixed_size 0
		.amdhsa_kernarg_size 104
		.amdhsa_user_sgpr_count 6
		.amdhsa_user_sgpr_private_segment_buffer 1
		.amdhsa_user_sgpr_dispatch_ptr 0
		.amdhsa_user_sgpr_queue_ptr 0
		.amdhsa_user_sgpr_kernarg_segment_ptr 1
		.amdhsa_user_sgpr_dispatch_id 0
		.amdhsa_user_sgpr_flat_scratch_init 0
		.amdhsa_user_sgpr_kernarg_preload_length 0
		.amdhsa_user_sgpr_kernarg_preload_offset 0
		.amdhsa_user_sgpr_private_segment_size 0
		.amdhsa_uses_dynamic_stack 0
		.amdhsa_system_sgpr_private_segment_wavefront_offset 0
		.amdhsa_system_sgpr_workgroup_id_x 1
		.amdhsa_system_sgpr_workgroup_id_y 0
		.amdhsa_system_sgpr_workgroup_id_z 0
		.amdhsa_system_sgpr_workgroup_info 0
		.amdhsa_system_vgpr_workitem_id 0
		.amdhsa_next_free_vgpr 1
		.amdhsa_next_free_sgpr 0
		.amdhsa_accum_offset 4
		.amdhsa_reserve_vcc 0
		.amdhsa_reserve_flat_scratch 0
		.amdhsa_float_round_mode_32 0
		.amdhsa_float_round_mode_16_64 0
		.amdhsa_float_denorm_mode_32 3
		.amdhsa_float_denorm_mode_16_64 3
		.amdhsa_dx10_clamp 1
		.amdhsa_ieee_mode 1
		.amdhsa_fp16_overflow 0
		.amdhsa_tg_split 0
		.amdhsa_exception_fp_ieee_invalid_op 0
		.amdhsa_exception_fp_denorm_src 0
		.amdhsa_exception_fp_ieee_div_zero 0
		.amdhsa_exception_fp_ieee_overflow 0
		.amdhsa_exception_fp_ieee_underflow 0
		.amdhsa_exception_fp_ieee_inexact 0
		.amdhsa_exception_int_div_zero 0
	.end_amdhsa_kernel
	.section	.text._ZN7rocprim17ROCPRIM_400000_NS6detail17trampoline_kernelINS0_14default_configENS1_20scan_config_selectorIfEEZZNS1_9scan_implILNS1_25lookback_scan_determinismE0ELb0ELb0ES3_N6thrust23THRUST_200600_302600_NS6detail15normal_iteratorINS9_10device_ptrIfEEEENS9_16discard_iteratorINS9_11use_defaultEEEf11max_functorIfEfEEDaPvRmT3_T4_T5_mT6_P12ihipStream_tbENKUlT_T0_E_clISt17integral_constantIbLb1EESX_EEDaSS_ST_EUlSS_E_NS1_11comp_targetILNS1_3genE10ELNS1_11target_archE1200ELNS1_3gpuE4ELNS1_3repE0EEENS1_30default_config_static_selectorELNS0_4arch9wavefront6targetE1EEEvT1_,"axG",@progbits,_ZN7rocprim17ROCPRIM_400000_NS6detail17trampoline_kernelINS0_14default_configENS1_20scan_config_selectorIfEEZZNS1_9scan_implILNS1_25lookback_scan_determinismE0ELb0ELb0ES3_N6thrust23THRUST_200600_302600_NS6detail15normal_iteratorINS9_10device_ptrIfEEEENS9_16discard_iteratorINS9_11use_defaultEEEf11max_functorIfEfEEDaPvRmT3_T4_T5_mT6_P12ihipStream_tbENKUlT_T0_E_clISt17integral_constantIbLb1EESX_EEDaSS_ST_EUlSS_E_NS1_11comp_targetILNS1_3genE10ELNS1_11target_archE1200ELNS1_3gpuE4ELNS1_3repE0EEENS1_30default_config_static_selectorELNS0_4arch9wavefront6targetE1EEEvT1_,comdat
.Lfunc_end3158:
	.size	_ZN7rocprim17ROCPRIM_400000_NS6detail17trampoline_kernelINS0_14default_configENS1_20scan_config_selectorIfEEZZNS1_9scan_implILNS1_25lookback_scan_determinismE0ELb0ELb0ES3_N6thrust23THRUST_200600_302600_NS6detail15normal_iteratorINS9_10device_ptrIfEEEENS9_16discard_iteratorINS9_11use_defaultEEEf11max_functorIfEfEEDaPvRmT3_T4_T5_mT6_P12ihipStream_tbENKUlT_T0_E_clISt17integral_constantIbLb1EESX_EEDaSS_ST_EUlSS_E_NS1_11comp_targetILNS1_3genE10ELNS1_11target_archE1200ELNS1_3gpuE4ELNS1_3repE0EEENS1_30default_config_static_selectorELNS0_4arch9wavefront6targetE1EEEvT1_, .Lfunc_end3158-_ZN7rocprim17ROCPRIM_400000_NS6detail17trampoline_kernelINS0_14default_configENS1_20scan_config_selectorIfEEZZNS1_9scan_implILNS1_25lookback_scan_determinismE0ELb0ELb0ES3_N6thrust23THRUST_200600_302600_NS6detail15normal_iteratorINS9_10device_ptrIfEEEENS9_16discard_iteratorINS9_11use_defaultEEEf11max_functorIfEfEEDaPvRmT3_T4_T5_mT6_P12ihipStream_tbENKUlT_T0_E_clISt17integral_constantIbLb1EESX_EEDaSS_ST_EUlSS_E_NS1_11comp_targetILNS1_3genE10ELNS1_11target_archE1200ELNS1_3gpuE4ELNS1_3repE0EEENS1_30default_config_static_selectorELNS0_4arch9wavefront6targetE1EEEvT1_
                                        ; -- End function
	.section	.AMDGPU.csdata,"",@progbits
; Kernel info:
; codeLenInByte = 0
; NumSgprs: 4
; NumVgprs: 0
; NumAgprs: 0
; TotalNumVgprs: 0
; ScratchSize: 0
; MemoryBound: 0
; FloatMode: 240
; IeeeMode: 1
; LDSByteSize: 0 bytes/workgroup (compile time only)
; SGPRBlocks: 0
; VGPRBlocks: 0
; NumSGPRsForWavesPerEU: 4
; NumVGPRsForWavesPerEU: 1
; AccumOffset: 4
; Occupancy: 8
; WaveLimiterHint : 0
; COMPUTE_PGM_RSRC2:SCRATCH_EN: 0
; COMPUTE_PGM_RSRC2:USER_SGPR: 6
; COMPUTE_PGM_RSRC2:TRAP_HANDLER: 0
; COMPUTE_PGM_RSRC2:TGID_X_EN: 1
; COMPUTE_PGM_RSRC2:TGID_Y_EN: 0
; COMPUTE_PGM_RSRC2:TGID_Z_EN: 0
; COMPUTE_PGM_RSRC2:TIDIG_COMP_CNT: 0
; COMPUTE_PGM_RSRC3_GFX90A:ACCUM_OFFSET: 0
; COMPUTE_PGM_RSRC3_GFX90A:TG_SPLIT: 0
	.section	.text._ZN7rocprim17ROCPRIM_400000_NS6detail17trampoline_kernelINS0_14default_configENS1_20scan_config_selectorIfEEZZNS1_9scan_implILNS1_25lookback_scan_determinismE0ELb0ELb0ES3_N6thrust23THRUST_200600_302600_NS6detail15normal_iteratorINS9_10device_ptrIfEEEENS9_16discard_iteratorINS9_11use_defaultEEEf11max_functorIfEfEEDaPvRmT3_T4_T5_mT6_P12ihipStream_tbENKUlT_T0_E_clISt17integral_constantIbLb1EESX_EEDaSS_ST_EUlSS_E_NS1_11comp_targetILNS1_3genE9ELNS1_11target_archE1100ELNS1_3gpuE3ELNS1_3repE0EEENS1_30default_config_static_selectorELNS0_4arch9wavefront6targetE1EEEvT1_,"axG",@progbits,_ZN7rocprim17ROCPRIM_400000_NS6detail17trampoline_kernelINS0_14default_configENS1_20scan_config_selectorIfEEZZNS1_9scan_implILNS1_25lookback_scan_determinismE0ELb0ELb0ES3_N6thrust23THRUST_200600_302600_NS6detail15normal_iteratorINS9_10device_ptrIfEEEENS9_16discard_iteratorINS9_11use_defaultEEEf11max_functorIfEfEEDaPvRmT3_T4_T5_mT6_P12ihipStream_tbENKUlT_T0_E_clISt17integral_constantIbLb1EESX_EEDaSS_ST_EUlSS_E_NS1_11comp_targetILNS1_3genE9ELNS1_11target_archE1100ELNS1_3gpuE3ELNS1_3repE0EEENS1_30default_config_static_selectorELNS0_4arch9wavefront6targetE1EEEvT1_,comdat
	.protected	_ZN7rocprim17ROCPRIM_400000_NS6detail17trampoline_kernelINS0_14default_configENS1_20scan_config_selectorIfEEZZNS1_9scan_implILNS1_25lookback_scan_determinismE0ELb0ELb0ES3_N6thrust23THRUST_200600_302600_NS6detail15normal_iteratorINS9_10device_ptrIfEEEENS9_16discard_iteratorINS9_11use_defaultEEEf11max_functorIfEfEEDaPvRmT3_T4_T5_mT6_P12ihipStream_tbENKUlT_T0_E_clISt17integral_constantIbLb1EESX_EEDaSS_ST_EUlSS_E_NS1_11comp_targetILNS1_3genE9ELNS1_11target_archE1100ELNS1_3gpuE3ELNS1_3repE0EEENS1_30default_config_static_selectorELNS0_4arch9wavefront6targetE1EEEvT1_ ; -- Begin function _ZN7rocprim17ROCPRIM_400000_NS6detail17trampoline_kernelINS0_14default_configENS1_20scan_config_selectorIfEEZZNS1_9scan_implILNS1_25lookback_scan_determinismE0ELb0ELb0ES3_N6thrust23THRUST_200600_302600_NS6detail15normal_iteratorINS9_10device_ptrIfEEEENS9_16discard_iteratorINS9_11use_defaultEEEf11max_functorIfEfEEDaPvRmT3_T4_T5_mT6_P12ihipStream_tbENKUlT_T0_E_clISt17integral_constantIbLb1EESX_EEDaSS_ST_EUlSS_E_NS1_11comp_targetILNS1_3genE9ELNS1_11target_archE1100ELNS1_3gpuE3ELNS1_3repE0EEENS1_30default_config_static_selectorELNS0_4arch9wavefront6targetE1EEEvT1_
	.globl	_ZN7rocprim17ROCPRIM_400000_NS6detail17trampoline_kernelINS0_14default_configENS1_20scan_config_selectorIfEEZZNS1_9scan_implILNS1_25lookback_scan_determinismE0ELb0ELb0ES3_N6thrust23THRUST_200600_302600_NS6detail15normal_iteratorINS9_10device_ptrIfEEEENS9_16discard_iteratorINS9_11use_defaultEEEf11max_functorIfEfEEDaPvRmT3_T4_T5_mT6_P12ihipStream_tbENKUlT_T0_E_clISt17integral_constantIbLb1EESX_EEDaSS_ST_EUlSS_E_NS1_11comp_targetILNS1_3genE9ELNS1_11target_archE1100ELNS1_3gpuE3ELNS1_3repE0EEENS1_30default_config_static_selectorELNS0_4arch9wavefront6targetE1EEEvT1_
	.p2align	8
	.type	_ZN7rocprim17ROCPRIM_400000_NS6detail17trampoline_kernelINS0_14default_configENS1_20scan_config_selectorIfEEZZNS1_9scan_implILNS1_25lookback_scan_determinismE0ELb0ELb0ES3_N6thrust23THRUST_200600_302600_NS6detail15normal_iteratorINS9_10device_ptrIfEEEENS9_16discard_iteratorINS9_11use_defaultEEEf11max_functorIfEfEEDaPvRmT3_T4_T5_mT6_P12ihipStream_tbENKUlT_T0_E_clISt17integral_constantIbLb1EESX_EEDaSS_ST_EUlSS_E_NS1_11comp_targetILNS1_3genE9ELNS1_11target_archE1100ELNS1_3gpuE3ELNS1_3repE0EEENS1_30default_config_static_selectorELNS0_4arch9wavefront6targetE1EEEvT1_,@function
_ZN7rocprim17ROCPRIM_400000_NS6detail17trampoline_kernelINS0_14default_configENS1_20scan_config_selectorIfEEZZNS1_9scan_implILNS1_25lookback_scan_determinismE0ELb0ELb0ES3_N6thrust23THRUST_200600_302600_NS6detail15normal_iteratorINS9_10device_ptrIfEEEENS9_16discard_iteratorINS9_11use_defaultEEEf11max_functorIfEfEEDaPvRmT3_T4_T5_mT6_P12ihipStream_tbENKUlT_T0_E_clISt17integral_constantIbLb1EESX_EEDaSS_ST_EUlSS_E_NS1_11comp_targetILNS1_3genE9ELNS1_11target_archE1100ELNS1_3gpuE3ELNS1_3repE0EEENS1_30default_config_static_selectorELNS0_4arch9wavefront6targetE1EEEvT1_: ; @_ZN7rocprim17ROCPRIM_400000_NS6detail17trampoline_kernelINS0_14default_configENS1_20scan_config_selectorIfEEZZNS1_9scan_implILNS1_25lookback_scan_determinismE0ELb0ELb0ES3_N6thrust23THRUST_200600_302600_NS6detail15normal_iteratorINS9_10device_ptrIfEEEENS9_16discard_iteratorINS9_11use_defaultEEEf11max_functorIfEfEEDaPvRmT3_T4_T5_mT6_P12ihipStream_tbENKUlT_T0_E_clISt17integral_constantIbLb1EESX_EEDaSS_ST_EUlSS_E_NS1_11comp_targetILNS1_3genE9ELNS1_11target_archE1100ELNS1_3gpuE3ELNS1_3repE0EEENS1_30default_config_static_selectorELNS0_4arch9wavefront6targetE1EEEvT1_
; %bb.0:
	.section	.rodata,"a",@progbits
	.p2align	6, 0x0
	.amdhsa_kernel _ZN7rocprim17ROCPRIM_400000_NS6detail17trampoline_kernelINS0_14default_configENS1_20scan_config_selectorIfEEZZNS1_9scan_implILNS1_25lookback_scan_determinismE0ELb0ELb0ES3_N6thrust23THRUST_200600_302600_NS6detail15normal_iteratorINS9_10device_ptrIfEEEENS9_16discard_iteratorINS9_11use_defaultEEEf11max_functorIfEfEEDaPvRmT3_T4_T5_mT6_P12ihipStream_tbENKUlT_T0_E_clISt17integral_constantIbLb1EESX_EEDaSS_ST_EUlSS_E_NS1_11comp_targetILNS1_3genE9ELNS1_11target_archE1100ELNS1_3gpuE3ELNS1_3repE0EEENS1_30default_config_static_selectorELNS0_4arch9wavefront6targetE1EEEvT1_
		.amdhsa_group_segment_fixed_size 0
		.amdhsa_private_segment_fixed_size 0
		.amdhsa_kernarg_size 104
		.amdhsa_user_sgpr_count 6
		.amdhsa_user_sgpr_private_segment_buffer 1
		.amdhsa_user_sgpr_dispatch_ptr 0
		.amdhsa_user_sgpr_queue_ptr 0
		.amdhsa_user_sgpr_kernarg_segment_ptr 1
		.amdhsa_user_sgpr_dispatch_id 0
		.amdhsa_user_sgpr_flat_scratch_init 0
		.amdhsa_user_sgpr_kernarg_preload_length 0
		.amdhsa_user_sgpr_kernarg_preload_offset 0
		.amdhsa_user_sgpr_private_segment_size 0
		.amdhsa_uses_dynamic_stack 0
		.amdhsa_system_sgpr_private_segment_wavefront_offset 0
		.amdhsa_system_sgpr_workgroup_id_x 1
		.amdhsa_system_sgpr_workgroup_id_y 0
		.amdhsa_system_sgpr_workgroup_id_z 0
		.amdhsa_system_sgpr_workgroup_info 0
		.amdhsa_system_vgpr_workitem_id 0
		.amdhsa_next_free_vgpr 1
		.amdhsa_next_free_sgpr 0
		.amdhsa_accum_offset 4
		.amdhsa_reserve_vcc 0
		.amdhsa_reserve_flat_scratch 0
		.amdhsa_float_round_mode_32 0
		.amdhsa_float_round_mode_16_64 0
		.amdhsa_float_denorm_mode_32 3
		.amdhsa_float_denorm_mode_16_64 3
		.amdhsa_dx10_clamp 1
		.amdhsa_ieee_mode 1
		.amdhsa_fp16_overflow 0
		.amdhsa_tg_split 0
		.amdhsa_exception_fp_ieee_invalid_op 0
		.amdhsa_exception_fp_denorm_src 0
		.amdhsa_exception_fp_ieee_div_zero 0
		.amdhsa_exception_fp_ieee_overflow 0
		.amdhsa_exception_fp_ieee_underflow 0
		.amdhsa_exception_fp_ieee_inexact 0
		.amdhsa_exception_int_div_zero 0
	.end_amdhsa_kernel
	.section	.text._ZN7rocprim17ROCPRIM_400000_NS6detail17trampoline_kernelINS0_14default_configENS1_20scan_config_selectorIfEEZZNS1_9scan_implILNS1_25lookback_scan_determinismE0ELb0ELb0ES3_N6thrust23THRUST_200600_302600_NS6detail15normal_iteratorINS9_10device_ptrIfEEEENS9_16discard_iteratorINS9_11use_defaultEEEf11max_functorIfEfEEDaPvRmT3_T4_T5_mT6_P12ihipStream_tbENKUlT_T0_E_clISt17integral_constantIbLb1EESX_EEDaSS_ST_EUlSS_E_NS1_11comp_targetILNS1_3genE9ELNS1_11target_archE1100ELNS1_3gpuE3ELNS1_3repE0EEENS1_30default_config_static_selectorELNS0_4arch9wavefront6targetE1EEEvT1_,"axG",@progbits,_ZN7rocprim17ROCPRIM_400000_NS6detail17trampoline_kernelINS0_14default_configENS1_20scan_config_selectorIfEEZZNS1_9scan_implILNS1_25lookback_scan_determinismE0ELb0ELb0ES3_N6thrust23THRUST_200600_302600_NS6detail15normal_iteratorINS9_10device_ptrIfEEEENS9_16discard_iteratorINS9_11use_defaultEEEf11max_functorIfEfEEDaPvRmT3_T4_T5_mT6_P12ihipStream_tbENKUlT_T0_E_clISt17integral_constantIbLb1EESX_EEDaSS_ST_EUlSS_E_NS1_11comp_targetILNS1_3genE9ELNS1_11target_archE1100ELNS1_3gpuE3ELNS1_3repE0EEENS1_30default_config_static_selectorELNS0_4arch9wavefront6targetE1EEEvT1_,comdat
.Lfunc_end3159:
	.size	_ZN7rocprim17ROCPRIM_400000_NS6detail17trampoline_kernelINS0_14default_configENS1_20scan_config_selectorIfEEZZNS1_9scan_implILNS1_25lookback_scan_determinismE0ELb0ELb0ES3_N6thrust23THRUST_200600_302600_NS6detail15normal_iteratorINS9_10device_ptrIfEEEENS9_16discard_iteratorINS9_11use_defaultEEEf11max_functorIfEfEEDaPvRmT3_T4_T5_mT6_P12ihipStream_tbENKUlT_T0_E_clISt17integral_constantIbLb1EESX_EEDaSS_ST_EUlSS_E_NS1_11comp_targetILNS1_3genE9ELNS1_11target_archE1100ELNS1_3gpuE3ELNS1_3repE0EEENS1_30default_config_static_selectorELNS0_4arch9wavefront6targetE1EEEvT1_, .Lfunc_end3159-_ZN7rocprim17ROCPRIM_400000_NS6detail17trampoline_kernelINS0_14default_configENS1_20scan_config_selectorIfEEZZNS1_9scan_implILNS1_25lookback_scan_determinismE0ELb0ELb0ES3_N6thrust23THRUST_200600_302600_NS6detail15normal_iteratorINS9_10device_ptrIfEEEENS9_16discard_iteratorINS9_11use_defaultEEEf11max_functorIfEfEEDaPvRmT3_T4_T5_mT6_P12ihipStream_tbENKUlT_T0_E_clISt17integral_constantIbLb1EESX_EEDaSS_ST_EUlSS_E_NS1_11comp_targetILNS1_3genE9ELNS1_11target_archE1100ELNS1_3gpuE3ELNS1_3repE0EEENS1_30default_config_static_selectorELNS0_4arch9wavefront6targetE1EEEvT1_
                                        ; -- End function
	.section	.AMDGPU.csdata,"",@progbits
; Kernel info:
; codeLenInByte = 0
; NumSgprs: 4
; NumVgprs: 0
; NumAgprs: 0
; TotalNumVgprs: 0
; ScratchSize: 0
; MemoryBound: 0
; FloatMode: 240
; IeeeMode: 1
; LDSByteSize: 0 bytes/workgroup (compile time only)
; SGPRBlocks: 0
; VGPRBlocks: 0
; NumSGPRsForWavesPerEU: 4
; NumVGPRsForWavesPerEU: 1
; AccumOffset: 4
; Occupancy: 8
; WaveLimiterHint : 0
; COMPUTE_PGM_RSRC2:SCRATCH_EN: 0
; COMPUTE_PGM_RSRC2:USER_SGPR: 6
; COMPUTE_PGM_RSRC2:TRAP_HANDLER: 0
; COMPUTE_PGM_RSRC2:TGID_X_EN: 1
; COMPUTE_PGM_RSRC2:TGID_Y_EN: 0
; COMPUTE_PGM_RSRC2:TGID_Z_EN: 0
; COMPUTE_PGM_RSRC2:TIDIG_COMP_CNT: 0
; COMPUTE_PGM_RSRC3_GFX90A:ACCUM_OFFSET: 0
; COMPUTE_PGM_RSRC3_GFX90A:TG_SPLIT: 0
	.section	.text._ZN7rocprim17ROCPRIM_400000_NS6detail17trampoline_kernelINS0_14default_configENS1_20scan_config_selectorIfEEZZNS1_9scan_implILNS1_25lookback_scan_determinismE0ELb0ELb0ES3_N6thrust23THRUST_200600_302600_NS6detail15normal_iteratorINS9_10device_ptrIfEEEENS9_16discard_iteratorINS9_11use_defaultEEEf11max_functorIfEfEEDaPvRmT3_T4_T5_mT6_P12ihipStream_tbENKUlT_T0_E_clISt17integral_constantIbLb1EESX_EEDaSS_ST_EUlSS_E_NS1_11comp_targetILNS1_3genE8ELNS1_11target_archE1030ELNS1_3gpuE2ELNS1_3repE0EEENS1_30default_config_static_selectorELNS0_4arch9wavefront6targetE1EEEvT1_,"axG",@progbits,_ZN7rocprim17ROCPRIM_400000_NS6detail17trampoline_kernelINS0_14default_configENS1_20scan_config_selectorIfEEZZNS1_9scan_implILNS1_25lookback_scan_determinismE0ELb0ELb0ES3_N6thrust23THRUST_200600_302600_NS6detail15normal_iteratorINS9_10device_ptrIfEEEENS9_16discard_iteratorINS9_11use_defaultEEEf11max_functorIfEfEEDaPvRmT3_T4_T5_mT6_P12ihipStream_tbENKUlT_T0_E_clISt17integral_constantIbLb1EESX_EEDaSS_ST_EUlSS_E_NS1_11comp_targetILNS1_3genE8ELNS1_11target_archE1030ELNS1_3gpuE2ELNS1_3repE0EEENS1_30default_config_static_selectorELNS0_4arch9wavefront6targetE1EEEvT1_,comdat
	.protected	_ZN7rocprim17ROCPRIM_400000_NS6detail17trampoline_kernelINS0_14default_configENS1_20scan_config_selectorIfEEZZNS1_9scan_implILNS1_25lookback_scan_determinismE0ELb0ELb0ES3_N6thrust23THRUST_200600_302600_NS6detail15normal_iteratorINS9_10device_ptrIfEEEENS9_16discard_iteratorINS9_11use_defaultEEEf11max_functorIfEfEEDaPvRmT3_T4_T5_mT6_P12ihipStream_tbENKUlT_T0_E_clISt17integral_constantIbLb1EESX_EEDaSS_ST_EUlSS_E_NS1_11comp_targetILNS1_3genE8ELNS1_11target_archE1030ELNS1_3gpuE2ELNS1_3repE0EEENS1_30default_config_static_selectorELNS0_4arch9wavefront6targetE1EEEvT1_ ; -- Begin function _ZN7rocprim17ROCPRIM_400000_NS6detail17trampoline_kernelINS0_14default_configENS1_20scan_config_selectorIfEEZZNS1_9scan_implILNS1_25lookback_scan_determinismE0ELb0ELb0ES3_N6thrust23THRUST_200600_302600_NS6detail15normal_iteratorINS9_10device_ptrIfEEEENS9_16discard_iteratorINS9_11use_defaultEEEf11max_functorIfEfEEDaPvRmT3_T4_T5_mT6_P12ihipStream_tbENKUlT_T0_E_clISt17integral_constantIbLb1EESX_EEDaSS_ST_EUlSS_E_NS1_11comp_targetILNS1_3genE8ELNS1_11target_archE1030ELNS1_3gpuE2ELNS1_3repE0EEENS1_30default_config_static_selectorELNS0_4arch9wavefront6targetE1EEEvT1_
	.globl	_ZN7rocprim17ROCPRIM_400000_NS6detail17trampoline_kernelINS0_14default_configENS1_20scan_config_selectorIfEEZZNS1_9scan_implILNS1_25lookback_scan_determinismE0ELb0ELb0ES3_N6thrust23THRUST_200600_302600_NS6detail15normal_iteratorINS9_10device_ptrIfEEEENS9_16discard_iteratorINS9_11use_defaultEEEf11max_functorIfEfEEDaPvRmT3_T4_T5_mT6_P12ihipStream_tbENKUlT_T0_E_clISt17integral_constantIbLb1EESX_EEDaSS_ST_EUlSS_E_NS1_11comp_targetILNS1_3genE8ELNS1_11target_archE1030ELNS1_3gpuE2ELNS1_3repE0EEENS1_30default_config_static_selectorELNS0_4arch9wavefront6targetE1EEEvT1_
	.p2align	8
	.type	_ZN7rocprim17ROCPRIM_400000_NS6detail17trampoline_kernelINS0_14default_configENS1_20scan_config_selectorIfEEZZNS1_9scan_implILNS1_25lookback_scan_determinismE0ELb0ELb0ES3_N6thrust23THRUST_200600_302600_NS6detail15normal_iteratorINS9_10device_ptrIfEEEENS9_16discard_iteratorINS9_11use_defaultEEEf11max_functorIfEfEEDaPvRmT3_T4_T5_mT6_P12ihipStream_tbENKUlT_T0_E_clISt17integral_constantIbLb1EESX_EEDaSS_ST_EUlSS_E_NS1_11comp_targetILNS1_3genE8ELNS1_11target_archE1030ELNS1_3gpuE2ELNS1_3repE0EEENS1_30default_config_static_selectorELNS0_4arch9wavefront6targetE1EEEvT1_,@function
_ZN7rocprim17ROCPRIM_400000_NS6detail17trampoline_kernelINS0_14default_configENS1_20scan_config_selectorIfEEZZNS1_9scan_implILNS1_25lookback_scan_determinismE0ELb0ELb0ES3_N6thrust23THRUST_200600_302600_NS6detail15normal_iteratorINS9_10device_ptrIfEEEENS9_16discard_iteratorINS9_11use_defaultEEEf11max_functorIfEfEEDaPvRmT3_T4_T5_mT6_P12ihipStream_tbENKUlT_T0_E_clISt17integral_constantIbLb1EESX_EEDaSS_ST_EUlSS_E_NS1_11comp_targetILNS1_3genE8ELNS1_11target_archE1030ELNS1_3gpuE2ELNS1_3repE0EEENS1_30default_config_static_selectorELNS0_4arch9wavefront6targetE1EEEvT1_: ; @_ZN7rocprim17ROCPRIM_400000_NS6detail17trampoline_kernelINS0_14default_configENS1_20scan_config_selectorIfEEZZNS1_9scan_implILNS1_25lookback_scan_determinismE0ELb0ELb0ES3_N6thrust23THRUST_200600_302600_NS6detail15normal_iteratorINS9_10device_ptrIfEEEENS9_16discard_iteratorINS9_11use_defaultEEEf11max_functorIfEfEEDaPvRmT3_T4_T5_mT6_P12ihipStream_tbENKUlT_T0_E_clISt17integral_constantIbLb1EESX_EEDaSS_ST_EUlSS_E_NS1_11comp_targetILNS1_3genE8ELNS1_11target_archE1030ELNS1_3gpuE2ELNS1_3repE0EEENS1_30default_config_static_selectorELNS0_4arch9wavefront6targetE1EEEvT1_
; %bb.0:
	.section	.rodata,"a",@progbits
	.p2align	6, 0x0
	.amdhsa_kernel _ZN7rocprim17ROCPRIM_400000_NS6detail17trampoline_kernelINS0_14default_configENS1_20scan_config_selectorIfEEZZNS1_9scan_implILNS1_25lookback_scan_determinismE0ELb0ELb0ES3_N6thrust23THRUST_200600_302600_NS6detail15normal_iteratorINS9_10device_ptrIfEEEENS9_16discard_iteratorINS9_11use_defaultEEEf11max_functorIfEfEEDaPvRmT3_T4_T5_mT6_P12ihipStream_tbENKUlT_T0_E_clISt17integral_constantIbLb1EESX_EEDaSS_ST_EUlSS_E_NS1_11comp_targetILNS1_3genE8ELNS1_11target_archE1030ELNS1_3gpuE2ELNS1_3repE0EEENS1_30default_config_static_selectorELNS0_4arch9wavefront6targetE1EEEvT1_
		.amdhsa_group_segment_fixed_size 0
		.amdhsa_private_segment_fixed_size 0
		.amdhsa_kernarg_size 104
		.amdhsa_user_sgpr_count 6
		.amdhsa_user_sgpr_private_segment_buffer 1
		.amdhsa_user_sgpr_dispatch_ptr 0
		.amdhsa_user_sgpr_queue_ptr 0
		.amdhsa_user_sgpr_kernarg_segment_ptr 1
		.amdhsa_user_sgpr_dispatch_id 0
		.amdhsa_user_sgpr_flat_scratch_init 0
		.amdhsa_user_sgpr_kernarg_preload_length 0
		.amdhsa_user_sgpr_kernarg_preload_offset 0
		.amdhsa_user_sgpr_private_segment_size 0
		.amdhsa_uses_dynamic_stack 0
		.amdhsa_system_sgpr_private_segment_wavefront_offset 0
		.amdhsa_system_sgpr_workgroup_id_x 1
		.amdhsa_system_sgpr_workgroup_id_y 0
		.amdhsa_system_sgpr_workgroup_id_z 0
		.amdhsa_system_sgpr_workgroup_info 0
		.amdhsa_system_vgpr_workitem_id 0
		.amdhsa_next_free_vgpr 1
		.amdhsa_next_free_sgpr 0
		.amdhsa_accum_offset 4
		.amdhsa_reserve_vcc 0
		.amdhsa_reserve_flat_scratch 0
		.amdhsa_float_round_mode_32 0
		.amdhsa_float_round_mode_16_64 0
		.amdhsa_float_denorm_mode_32 3
		.amdhsa_float_denorm_mode_16_64 3
		.amdhsa_dx10_clamp 1
		.amdhsa_ieee_mode 1
		.amdhsa_fp16_overflow 0
		.amdhsa_tg_split 0
		.amdhsa_exception_fp_ieee_invalid_op 0
		.amdhsa_exception_fp_denorm_src 0
		.amdhsa_exception_fp_ieee_div_zero 0
		.amdhsa_exception_fp_ieee_overflow 0
		.amdhsa_exception_fp_ieee_underflow 0
		.amdhsa_exception_fp_ieee_inexact 0
		.amdhsa_exception_int_div_zero 0
	.end_amdhsa_kernel
	.section	.text._ZN7rocprim17ROCPRIM_400000_NS6detail17trampoline_kernelINS0_14default_configENS1_20scan_config_selectorIfEEZZNS1_9scan_implILNS1_25lookback_scan_determinismE0ELb0ELb0ES3_N6thrust23THRUST_200600_302600_NS6detail15normal_iteratorINS9_10device_ptrIfEEEENS9_16discard_iteratorINS9_11use_defaultEEEf11max_functorIfEfEEDaPvRmT3_T4_T5_mT6_P12ihipStream_tbENKUlT_T0_E_clISt17integral_constantIbLb1EESX_EEDaSS_ST_EUlSS_E_NS1_11comp_targetILNS1_3genE8ELNS1_11target_archE1030ELNS1_3gpuE2ELNS1_3repE0EEENS1_30default_config_static_selectorELNS0_4arch9wavefront6targetE1EEEvT1_,"axG",@progbits,_ZN7rocprim17ROCPRIM_400000_NS6detail17trampoline_kernelINS0_14default_configENS1_20scan_config_selectorIfEEZZNS1_9scan_implILNS1_25lookback_scan_determinismE0ELb0ELb0ES3_N6thrust23THRUST_200600_302600_NS6detail15normal_iteratorINS9_10device_ptrIfEEEENS9_16discard_iteratorINS9_11use_defaultEEEf11max_functorIfEfEEDaPvRmT3_T4_T5_mT6_P12ihipStream_tbENKUlT_T0_E_clISt17integral_constantIbLb1EESX_EEDaSS_ST_EUlSS_E_NS1_11comp_targetILNS1_3genE8ELNS1_11target_archE1030ELNS1_3gpuE2ELNS1_3repE0EEENS1_30default_config_static_selectorELNS0_4arch9wavefront6targetE1EEEvT1_,comdat
.Lfunc_end3160:
	.size	_ZN7rocprim17ROCPRIM_400000_NS6detail17trampoline_kernelINS0_14default_configENS1_20scan_config_selectorIfEEZZNS1_9scan_implILNS1_25lookback_scan_determinismE0ELb0ELb0ES3_N6thrust23THRUST_200600_302600_NS6detail15normal_iteratorINS9_10device_ptrIfEEEENS9_16discard_iteratorINS9_11use_defaultEEEf11max_functorIfEfEEDaPvRmT3_T4_T5_mT6_P12ihipStream_tbENKUlT_T0_E_clISt17integral_constantIbLb1EESX_EEDaSS_ST_EUlSS_E_NS1_11comp_targetILNS1_3genE8ELNS1_11target_archE1030ELNS1_3gpuE2ELNS1_3repE0EEENS1_30default_config_static_selectorELNS0_4arch9wavefront6targetE1EEEvT1_, .Lfunc_end3160-_ZN7rocprim17ROCPRIM_400000_NS6detail17trampoline_kernelINS0_14default_configENS1_20scan_config_selectorIfEEZZNS1_9scan_implILNS1_25lookback_scan_determinismE0ELb0ELb0ES3_N6thrust23THRUST_200600_302600_NS6detail15normal_iteratorINS9_10device_ptrIfEEEENS9_16discard_iteratorINS9_11use_defaultEEEf11max_functorIfEfEEDaPvRmT3_T4_T5_mT6_P12ihipStream_tbENKUlT_T0_E_clISt17integral_constantIbLb1EESX_EEDaSS_ST_EUlSS_E_NS1_11comp_targetILNS1_3genE8ELNS1_11target_archE1030ELNS1_3gpuE2ELNS1_3repE0EEENS1_30default_config_static_selectorELNS0_4arch9wavefront6targetE1EEEvT1_
                                        ; -- End function
	.section	.AMDGPU.csdata,"",@progbits
; Kernel info:
; codeLenInByte = 0
; NumSgprs: 4
; NumVgprs: 0
; NumAgprs: 0
; TotalNumVgprs: 0
; ScratchSize: 0
; MemoryBound: 0
; FloatMode: 240
; IeeeMode: 1
; LDSByteSize: 0 bytes/workgroup (compile time only)
; SGPRBlocks: 0
; VGPRBlocks: 0
; NumSGPRsForWavesPerEU: 4
; NumVGPRsForWavesPerEU: 1
; AccumOffset: 4
; Occupancy: 8
; WaveLimiterHint : 0
; COMPUTE_PGM_RSRC2:SCRATCH_EN: 0
; COMPUTE_PGM_RSRC2:USER_SGPR: 6
; COMPUTE_PGM_RSRC2:TRAP_HANDLER: 0
; COMPUTE_PGM_RSRC2:TGID_X_EN: 1
; COMPUTE_PGM_RSRC2:TGID_Y_EN: 0
; COMPUTE_PGM_RSRC2:TGID_Z_EN: 0
; COMPUTE_PGM_RSRC2:TIDIG_COMP_CNT: 0
; COMPUTE_PGM_RSRC3_GFX90A:ACCUM_OFFSET: 0
; COMPUTE_PGM_RSRC3_GFX90A:TG_SPLIT: 0
	.section	.text._ZN7rocprim17ROCPRIM_400000_NS6detail17trampoline_kernelINS0_14default_configENS1_20scan_config_selectorIfEEZZNS1_9scan_implILNS1_25lookback_scan_determinismE0ELb0ELb0ES3_N6thrust23THRUST_200600_302600_NS6detail15normal_iteratorINS9_10device_ptrIfEEEENS9_16discard_iteratorINS9_11use_defaultEEEf11max_functorIfEfEEDaPvRmT3_T4_T5_mT6_P12ihipStream_tbENKUlT_T0_E_clISt17integral_constantIbLb1EESX_EEDaSS_ST_EUlSS_E0_NS1_11comp_targetILNS1_3genE0ELNS1_11target_archE4294967295ELNS1_3gpuE0ELNS1_3repE0EEENS1_30default_config_static_selectorELNS0_4arch9wavefront6targetE1EEEvT1_,"axG",@progbits,_ZN7rocprim17ROCPRIM_400000_NS6detail17trampoline_kernelINS0_14default_configENS1_20scan_config_selectorIfEEZZNS1_9scan_implILNS1_25lookback_scan_determinismE0ELb0ELb0ES3_N6thrust23THRUST_200600_302600_NS6detail15normal_iteratorINS9_10device_ptrIfEEEENS9_16discard_iteratorINS9_11use_defaultEEEf11max_functorIfEfEEDaPvRmT3_T4_T5_mT6_P12ihipStream_tbENKUlT_T0_E_clISt17integral_constantIbLb1EESX_EEDaSS_ST_EUlSS_E0_NS1_11comp_targetILNS1_3genE0ELNS1_11target_archE4294967295ELNS1_3gpuE0ELNS1_3repE0EEENS1_30default_config_static_selectorELNS0_4arch9wavefront6targetE1EEEvT1_,comdat
	.protected	_ZN7rocprim17ROCPRIM_400000_NS6detail17trampoline_kernelINS0_14default_configENS1_20scan_config_selectorIfEEZZNS1_9scan_implILNS1_25lookback_scan_determinismE0ELb0ELb0ES3_N6thrust23THRUST_200600_302600_NS6detail15normal_iteratorINS9_10device_ptrIfEEEENS9_16discard_iteratorINS9_11use_defaultEEEf11max_functorIfEfEEDaPvRmT3_T4_T5_mT6_P12ihipStream_tbENKUlT_T0_E_clISt17integral_constantIbLb1EESX_EEDaSS_ST_EUlSS_E0_NS1_11comp_targetILNS1_3genE0ELNS1_11target_archE4294967295ELNS1_3gpuE0ELNS1_3repE0EEENS1_30default_config_static_selectorELNS0_4arch9wavefront6targetE1EEEvT1_ ; -- Begin function _ZN7rocprim17ROCPRIM_400000_NS6detail17trampoline_kernelINS0_14default_configENS1_20scan_config_selectorIfEEZZNS1_9scan_implILNS1_25lookback_scan_determinismE0ELb0ELb0ES3_N6thrust23THRUST_200600_302600_NS6detail15normal_iteratorINS9_10device_ptrIfEEEENS9_16discard_iteratorINS9_11use_defaultEEEf11max_functorIfEfEEDaPvRmT3_T4_T5_mT6_P12ihipStream_tbENKUlT_T0_E_clISt17integral_constantIbLb1EESX_EEDaSS_ST_EUlSS_E0_NS1_11comp_targetILNS1_3genE0ELNS1_11target_archE4294967295ELNS1_3gpuE0ELNS1_3repE0EEENS1_30default_config_static_selectorELNS0_4arch9wavefront6targetE1EEEvT1_
	.globl	_ZN7rocprim17ROCPRIM_400000_NS6detail17trampoline_kernelINS0_14default_configENS1_20scan_config_selectorIfEEZZNS1_9scan_implILNS1_25lookback_scan_determinismE0ELb0ELb0ES3_N6thrust23THRUST_200600_302600_NS6detail15normal_iteratorINS9_10device_ptrIfEEEENS9_16discard_iteratorINS9_11use_defaultEEEf11max_functorIfEfEEDaPvRmT3_T4_T5_mT6_P12ihipStream_tbENKUlT_T0_E_clISt17integral_constantIbLb1EESX_EEDaSS_ST_EUlSS_E0_NS1_11comp_targetILNS1_3genE0ELNS1_11target_archE4294967295ELNS1_3gpuE0ELNS1_3repE0EEENS1_30default_config_static_selectorELNS0_4arch9wavefront6targetE1EEEvT1_
	.p2align	8
	.type	_ZN7rocprim17ROCPRIM_400000_NS6detail17trampoline_kernelINS0_14default_configENS1_20scan_config_selectorIfEEZZNS1_9scan_implILNS1_25lookback_scan_determinismE0ELb0ELb0ES3_N6thrust23THRUST_200600_302600_NS6detail15normal_iteratorINS9_10device_ptrIfEEEENS9_16discard_iteratorINS9_11use_defaultEEEf11max_functorIfEfEEDaPvRmT3_T4_T5_mT6_P12ihipStream_tbENKUlT_T0_E_clISt17integral_constantIbLb1EESX_EEDaSS_ST_EUlSS_E0_NS1_11comp_targetILNS1_3genE0ELNS1_11target_archE4294967295ELNS1_3gpuE0ELNS1_3repE0EEENS1_30default_config_static_selectorELNS0_4arch9wavefront6targetE1EEEvT1_,@function
_ZN7rocprim17ROCPRIM_400000_NS6detail17trampoline_kernelINS0_14default_configENS1_20scan_config_selectorIfEEZZNS1_9scan_implILNS1_25lookback_scan_determinismE0ELb0ELb0ES3_N6thrust23THRUST_200600_302600_NS6detail15normal_iteratorINS9_10device_ptrIfEEEENS9_16discard_iteratorINS9_11use_defaultEEEf11max_functorIfEfEEDaPvRmT3_T4_T5_mT6_P12ihipStream_tbENKUlT_T0_E_clISt17integral_constantIbLb1EESX_EEDaSS_ST_EUlSS_E0_NS1_11comp_targetILNS1_3genE0ELNS1_11target_archE4294967295ELNS1_3gpuE0ELNS1_3repE0EEENS1_30default_config_static_selectorELNS0_4arch9wavefront6targetE1EEEvT1_: ; @_ZN7rocprim17ROCPRIM_400000_NS6detail17trampoline_kernelINS0_14default_configENS1_20scan_config_selectorIfEEZZNS1_9scan_implILNS1_25lookback_scan_determinismE0ELb0ELb0ES3_N6thrust23THRUST_200600_302600_NS6detail15normal_iteratorINS9_10device_ptrIfEEEENS9_16discard_iteratorINS9_11use_defaultEEEf11max_functorIfEfEEDaPvRmT3_T4_T5_mT6_P12ihipStream_tbENKUlT_T0_E_clISt17integral_constantIbLb1EESX_EEDaSS_ST_EUlSS_E0_NS1_11comp_targetILNS1_3genE0ELNS1_11target_archE4294967295ELNS1_3gpuE0ELNS1_3repE0EEENS1_30default_config_static_selectorELNS0_4arch9wavefront6targetE1EEEvT1_
; %bb.0:
	.section	.rodata,"a",@progbits
	.p2align	6, 0x0
	.amdhsa_kernel _ZN7rocprim17ROCPRIM_400000_NS6detail17trampoline_kernelINS0_14default_configENS1_20scan_config_selectorIfEEZZNS1_9scan_implILNS1_25lookback_scan_determinismE0ELb0ELb0ES3_N6thrust23THRUST_200600_302600_NS6detail15normal_iteratorINS9_10device_ptrIfEEEENS9_16discard_iteratorINS9_11use_defaultEEEf11max_functorIfEfEEDaPvRmT3_T4_T5_mT6_P12ihipStream_tbENKUlT_T0_E_clISt17integral_constantIbLb1EESX_EEDaSS_ST_EUlSS_E0_NS1_11comp_targetILNS1_3genE0ELNS1_11target_archE4294967295ELNS1_3gpuE0ELNS1_3repE0EEENS1_30default_config_static_selectorELNS0_4arch9wavefront6targetE1EEEvT1_
		.amdhsa_group_segment_fixed_size 0
		.amdhsa_private_segment_fixed_size 0
		.amdhsa_kernarg_size 40
		.amdhsa_user_sgpr_count 6
		.amdhsa_user_sgpr_private_segment_buffer 1
		.amdhsa_user_sgpr_dispatch_ptr 0
		.amdhsa_user_sgpr_queue_ptr 0
		.amdhsa_user_sgpr_kernarg_segment_ptr 1
		.amdhsa_user_sgpr_dispatch_id 0
		.amdhsa_user_sgpr_flat_scratch_init 0
		.amdhsa_user_sgpr_kernarg_preload_length 0
		.amdhsa_user_sgpr_kernarg_preload_offset 0
		.amdhsa_user_sgpr_private_segment_size 0
		.amdhsa_uses_dynamic_stack 0
		.amdhsa_system_sgpr_private_segment_wavefront_offset 0
		.amdhsa_system_sgpr_workgroup_id_x 1
		.amdhsa_system_sgpr_workgroup_id_y 0
		.amdhsa_system_sgpr_workgroup_id_z 0
		.amdhsa_system_sgpr_workgroup_info 0
		.amdhsa_system_vgpr_workitem_id 0
		.amdhsa_next_free_vgpr 1
		.amdhsa_next_free_sgpr 0
		.amdhsa_accum_offset 4
		.amdhsa_reserve_vcc 0
		.amdhsa_reserve_flat_scratch 0
		.amdhsa_float_round_mode_32 0
		.amdhsa_float_round_mode_16_64 0
		.amdhsa_float_denorm_mode_32 3
		.amdhsa_float_denorm_mode_16_64 3
		.amdhsa_dx10_clamp 1
		.amdhsa_ieee_mode 1
		.amdhsa_fp16_overflow 0
		.amdhsa_tg_split 0
		.amdhsa_exception_fp_ieee_invalid_op 0
		.amdhsa_exception_fp_denorm_src 0
		.amdhsa_exception_fp_ieee_div_zero 0
		.amdhsa_exception_fp_ieee_overflow 0
		.amdhsa_exception_fp_ieee_underflow 0
		.amdhsa_exception_fp_ieee_inexact 0
		.amdhsa_exception_int_div_zero 0
	.end_amdhsa_kernel
	.section	.text._ZN7rocprim17ROCPRIM_400000_NS6detail17trampoline_kernelINS0_14default_configENS1_20scan_config_selectorIfEEZZNS1_9scan_implILNS1_25lookback_scan_determinismE0ELb0ELb0ES3_N6thrust23THRUST_200600_302600_NS6detail15normal_iteratorINS9_10device_ptrIfEEEENS9_16discard_iteratorINS9_11use_defaultEEEf11max_functorIfEfEEDaPvRmT3_T4_T5_mT6_P12ihipStream_tbENKUlT_T0_E_clISt17integral_constantIbLb1EESX_EEDaSS_ST_EUlSS_E0_NS1_11comp_targetILNS1_3genE0ELNS1_11target_archE4294967295ELNS1_3gpuE0ELNS1_3repE0EEENS1_30default_config_static_selectorELNS0_4arch9wavefront6targetE1EEEvT1_,"axG",@progbits,_ZN7rocprim17ROCPRIM_400000_NS6detail17trampoline_kernelINS0_14default_configENS1_20scan_config_selectorIfEEZZNS1_9scan_implILNS1_25lookback_scan_determinismE0ELb0ELb0ES3_N6thrust23THRUST_200600_302600_NS6detail15normal_iteratorINS9_10device_ptrIfEEEENS9_16discard_iteratorINS9_11use_defaultEEEf11max_functorIfEfEEDaPvRmT3_T4_T5_mT6_P12ihipStream_tbENKUlT_T0_E_clISt17integral_constantIbLb1EESX_EEDaSS_ST_EUlSS_E0_NS1_11comp_targetILNS1_3genE0ELNS1_11target_archE4294967295ELNS1_3gpuE0ELNS1_3repE0EEENS1_30default_config_static_selectorELNS0_4arch9wavefront6targetE1EEEvT1_,comdat
.Lfunc_end3161:
	.size	_ZN7rocprim17ROCPRIM_400000_NS6detail17trampoline_kernelINS0_14default_configENS1_20scan_config_selectorIfEEZZNS1_9scan_implILNS1_25lookback_scan_determinismE0ELb0ELb0ES3_N6thrust23THRUST_200600_302600_NS6detail15normal_iteratorINS9_10device_ptrIfEEEENS9_16discard_iteratorINS9_11use_defaultEEEf11max_functorIfEfEEDaPvRmT3_T4_T5_mT6_P12ihipStream_tbENKUlT_T0_E_clISt17integral_constantIbLb1EESX_EEDaSS_ST_EUlSS_E0_NS1_11comp_targetILNS1_3genE0ELNS1_11target_archE4294967295ELNS1_3gpuE0ELNS1_3repE0EEENS1_30default_config_static_selectorELNS0_4arch9wavefront6targetE1EEEvT1_, .Lfunc_end3161-_ZN7rocprim17ROCPRIM_400000_NS6detail17trampoline_kernelINS0_14default_configENS1_20scan_config_selectorIfEEZZNS1_9scan_implILNS1_25lookback_scan_determinismE0ELb0ELb0ES3_N6thrust23THRUST_200600_302600_NS6detail15normal_iteratorINS9_10device_ptrIfEEEENS9_16discard_iteratorINS9_11use_defaultEEEf11max_functorIfEfEEDaPvRmT3_T4_T5_mT6_P12ihipStream_tbENKUlT_T0_E_clISt17integral_constantIbLb1EESX_EEDaSS_ST_EUlSS_E0_NS1_11comp_targetILNS1_3genE0ELNS1_11target_archE4294967295ELNS1_3gpuE0ELNS1_3repE0EEENS1_30default_config_static_selectorELNS0_4arch9wavefront6targetE1EEEvT1_
                                        ; -- End function
	.section	.AMDGPU.csdata,"",@progbits
; Kernel info:
; codeLenInByte = 0
; NumSgprs: 4
; NumVgprs: 0
; NumAgprs: 0
; TotalNumVgprs: 0
; ScratchSize: 0
; MemoryBound: 0
; FloatMode: 240
; IeeeMode: 1
; LDSByteSize: 0 bytes/workgroup (compile time only)
; SGPRBlocks: 0
; VGPRBlocks: 0
; NumSGPRsForWavesPerEU: 4
; NumVGPRsForWavesPerEU: 1
; AccumOffset: 4
; Occupancy: 8
; WaveLimiterHint : 0
; COMPUTE_PGM_RSRC2:SCRATCH_EN: 0
; COMPUTE_PGM_RSRC2:USER_SGPR: 6
; COMPUTE_PGM_RSRC2:TRAP_HANDLER: 0
; COMPUTE_PGM_RSRC2:TGID_X_EN: 1
; COMPUTE_PGM_RSRC2:TGID_Y_EN: 0
; COMPUTE_PGM_RSRC2:TGID_Z_EN: 0
; COMPUTE_PGM_RSRC2:TIDIG_COMP_CNT: 0
; COMPUTE_PGM_RSRC3_GFX90A:ACCUM_OFFSET: 0
; COMPUTE_PGM_RSRC3_GFX90A:TG_SPLIT: 0
	.section	.text._ZN7rocprim17ROCPRIM_400000_NS6detail17trampoline_kernelINS0_14default_configENS1_20scan_config_selectorIfEEZZNS1_9scan_implILNS1_25lookback_scan_determinismE0ELb0ELb0ES3_N6thrust23THRUST_200600_302600_NS6detail15normal_iteratorINS9_10device_ptrIfEEEENS9_16discard_iteratorINS9_11use_defaultEEEf11max_functorIfEfEEDaPvRmT3_T4_T5_mT6_P12ihipStream_tbENKUlT_T0_E_clISt17integral_constantIbLb1EESX_EEDaSS_ST_EUlSS_E0_NS1_11comp_targetILNS1_3genE5ELNS1_11target_archE942ELNS1_3gpuE9ELNS1_3repE0EEENS1_30default_config_static_selectorELNS0_4arch9wavefront6targetE1EEEvT1_,"axG",@progbits,_ZN7rocprim17ROCPRIM_400000_NS6detail17trampoline_kernelINS0_14default_configENS1_20scan_config_selectorIfEEZZNS1_9scan_implILNS1_25lookback_scan_determinismE0ELb0ELb0ES3_N6thrust23THRUST_200600_302600_NS6detail15normal_iteratorINS9_10device_ptrIfEEEENS9_16discard_iteratorINS9_11use_defaultEEEf11max_functorIfEfEEDaPvRmT3_T4_T5_mT6_P12ihipStream_tbENKUlT_T0_E_clISt17integral_constantIbLb1EESX_EEDaSS_ST_EUlSS_E0_NS1_11comp_targetILNS1_3genE5ELNS1_11target_archE942ELNS1_3gpuE9ELNS1_3repE0EEENS1_30default_config_static_selectorELNS0_4arch9wavefront6targetE1EEEvT1_,comdat
	.protected	_ZN7rocprim17ROCPRIM_400000_NS6detail17trampoline_kernelINS0_14default_configENS1_20scan_config_selectorIfEEZZNS1_9scan_implILNS1_25lookback_scan_determinismE0ELb0ELb0ES3_N6thrust23THRUST_200600_302600_NS6detail15normal_iteratorINS9_10device_ptrIfEEEENS9_16discard_iteratorINS9_11use_defaultEEEf11max_functorIfEfEEDaPvRmT3_T4_T5_mT6_P12ihipStream_tbENKUlT_T0_E_clISt17integral_constantIbLb1EESX_EEDaSS_ST_EUlSS_E0_NS1_11comp_targetILNS1_3genE5ELNS1_11target_archE942ELNS1_3gpuE9ELNS1_3repE0EEENS1_30default_config_static_selectorELNS0_4arch9wavefront6targetE1EEEvT1_ ; -- Begin function _ZN7rocprim17ROCPRIM_400000_NS6detail17trampoline_kernelINS0_14default_configENS1_20scan_config_selectorIfEEZZNS1_9scan_implILNS1_25lookback_scan_determinismE0ELb0ELb0ES3_N6thrust23THRUST_200600_302600_NS6detail15normal_iteratorINS9_10device_ptrIfEEEENS9_16discard_iteratorINS9_11use_defaultEEEf11max_functorIfEfEEDaPvRmT3_T4_T5_mT6_P12ihipStream_tbENKUlT_T0_E_clISt17integral_constantIbLb1EESX_EEDaSS_ST_EUlSS_E0_NS1_11comp_targetILNS1_3genE5ELNS1_11target_archE942ELNS1_3gpuE9ELNS1_3repE0EEENS1_30default_config_static_selectorELNS0_4arch9wavefront6targetE1EEEvT1_
	.globl	_ZN7rocprim17ROCPRIM_400000_NS6detail17trampoline_kernelINS0_14default_configENS1_20scan_config_selectorIfEEZZNS1_9scan_implILNS1_25lookback_scan_determinismE0ELb0ELb0ES3_N6thrust23THRUST_200600_302600_NS6detail15normal_iteratorINS9_10device_ptrIfEEEENS9_16discard_iteratorINS9_11use_defaultEEEf11max_functorIfEfEEDaPvRmT3_T4_T5_mT6_P12ihipStream_tbENKUlT_T0_E_clISt17integral_constantIbLb1EESX_EEDaSS_ST_EUlSS_E0_NS1_11comp_targetILNS1_3genE5ELNS1_11target_archE942ELNS1_3gpuE9ELNS1_3repE0EEENS1_30default_config_static_selectorELNS0_4arch9wavefront6targetE1EEEvT1_
	.p2align	8
	.type	_ZN7rocprim17ROCPRIM_400000_NS6detail17trampoline_kernelINS0_14default_configENS1_20scan_config_selectorIfEEZZNS1_9scan_implILNS1_25lookback_scan_determinismE0ELb0ELb0ES3_N6thrust23THRUST_200600_302600_NS6detail15normal_iteratorINS9_10device_ptrIfEEEENS9_16discard_iteratorINS9_11use_defaultEEEf11max_functorIfEfEEDaPvRmT3_T4_T5_mT6_P12ihipStream_tbENKUlT_T0_E_clISt17integral_constantIbLb1EESX_EEDaSS_ST_EUlSS_E0_NS1_11comp_targetILNS1_3genE5ELNS1_11target_archE942ELNS1_3gpuE9ELNS1_3repE0EEENS1_30default_config_static_selectorELNS0_4arch9wavefront6targetE1EEEvT1_,@function
_ZN7rocprim17ROCPRIM_400000_NS6detail17trampoline_kernelINS0_14default_configENS1_20scan_config_selectorIfEEZZNS1_9scan_implILNS1_25lookback_scan_determinismE0ELb0ELb0ES3_N6thrust23THRUST_200600_302600_NS6detail15normal_iteratorINS9_10device_ptrIfEEEENS9_16discard_iteratorINS9_11use_defaultEEEf11max_functorIfEfEEDaPvRmT3_T4_T5_mT6_P12ihipStream_tbENKUlT_T0_E_clISt17integral_constantIbLb1EESX_EEDaSS_ST_EUlSS_E0_NS1_11comp_targetILNS1_3genE5ELNS1_11target_archE942ELNS1_3gpuE9ELNS1_3repE0EEENS1_30default_config_static_selectorELNS0_4arch9wavefront6targetE1EEEvT1_: ; @_ZN7rocprim17ROCPRIM_400000_NS6detail17trampoline_kernelINS0_14default_configENS1_20scan_config_selectorIfEEZZNS1_9scan_implILNS1_25lookback_scan_determinismE0ELb0ELb0ES3_N6thrust23THRUST_200600_302600_NS6detail15normal_iteratorINS9_10device_ptrIfEEEENS9_16discard_iteratorINS9_11use_defaultEEEf11max_functorIfEfEEDaPvRmT3_T4_T5_mT6_P12ihipStream_tbENKUlT_T0_E_clISt17integral_constantIbLb1EESX_EEDaSS_ST_EUlSS_E0_NS1_11comp_targetILNS1_3genE5ELNS1_11target_archE942ELNS1_3gpuE9ELNS1_3repE0EEENS1_30default_config_static_selectorELNS0_4arch9wavefront6targetE1EEEvT1_
; %bb.0:
	.section	.rodata,"a",@progbits
	.p2align	6, 0x0
	.amdhsa_kernel _ZN7rocprim17ROCPRIM_400000_NS6detail17trampoline_kernelINS0_14default_configENS1_20scan_config_selectorIfEEZZNS1_9scan_implILNS1_25lookback_scan_determinismE0ELb0ELb0ES3_N6thrust23THRUST_200600_302600_NS6detail15normal_iteratorINS9_10device_ptrIfEEEENS9_16discard_iteratorINS9_11use_defaultEEEf11max_functorIfEfEEDaPvRmT3_T4_T5_mT6_P12ihipStream_tbENKUlT_T0_E_clISt17integral_constantIbLb1EESX_EEDaSS_ST_EUlSS_E0_NS1_11comp_targetILNS1_3genE5ELNS1_11target_archE942ELNS1_3gpuE9ELNS1_3repE0EEENS1_30default_config_static_selectorELNS0_4arch9wavefront6targetE1EEEvT1_
		.amdhsa_group_segment_fixed_size 0
		.amdhsa_private_segment_fixed_size 0
		.amdhsa_kernarg_size 40
		.amdhsa_user_sgpr_count 6
		.amdhsa_user_sgpr_private_segment_buffer 1
		.amdhsa_user_sgpr_dispatch_ptr 0
		.amdhsa_user_sgpr_queue_ptr 0
		.amdhsa_user_sgpr_kernarg_segment_ptr 1
		.amdhsa_user_sgpr_dispatch_id 0
		.amdhsa_user_sgpr_flat_scratch_init 0
		.amdhsa_user_sgpr_kernarg_preload_length 0
		.amdhsa_user_sgpr_kernarg_preload_offset 0
		.amdhsa_user_sgpr_private_segment_size 0
		.amdhsa_uses_dynamic_stack 0
		.amdhsa_system_sgpr_private_segment_wavefront_offset 0
		.amdhsa_system_sgpr_workgroup_id_x 1
		.amdhsa_system_sgpr_workgroup_id_y 0
		.amdhsa_system_sgpr_workgroup_id_z 0
		.amdhsa_system_sgpr_workgroup_info 0
		.amdhsa_system_vgpr_workitem_id 0
		.amdhsa_next_free_vgpr 1
		.amdhsa_next_free_sgpr 0
		.amdhsa_accum_offset 4
		.amdhsa_reserve_vcc 0
		.amdhsa_reserve_flat_scratch 0
		.amdhsa_float_round_mode_32 0
		.amdhsa_float_round_mode_16_64 0
		.amdhsa_float_denorm_mode_32 3
		.amdhsa_float_denorm_mode_16_64 3
		.amdhsa_dx10_clamp 1
		.amdhsa_ieee_mode 1
		.amdhsa_fp16_overflow 0
		.amdhsa_tg_split 0
		.amdhsa_exception_fp_ieee_invalid_op 0
		.amdhsa_exception_fp_denorm_src 0
		.amdhsa_exception_fp_ieee_div_zero 0
		.amdhsa_exception_fp_ieee_overflow 0
		.amdhsa_exception_fp_ieee_underflow 0
		.amdhsa_exception_fp_ieee_inexact 0
		.amdhsa_exception_int_div_zero 0
	.end_amdhsa_kernel
	.section	.text._ZN7rocprim17ROCPRIM_400000_NS6detail17trampoline_kernelINS0_14default_configENS1_20scan_config_selectorIfEEZZNS1_9scan_implILNS1_25lookback_scan_determinismE0ELb0ELb0ES3_N6thrust23THRUST_200600_302600_NS6detail15normal_iteratorINS9_10device_ptrIfEEEENS9_16discard_iteratorINS9_11use_defaultEEEf11max_functorIfEfEEDaPvRmT3_T4_T5_mT6_P12ihipStream_tbENKUlT_T0_E_clISt17integral_constantIbLb1EESX_EEDaSS_ST_EUlSS_E0_NS1_11comp_targetILNS1_3genE5ELNS1_11target_archE942ELNS1_3gpuE9ELNS1_3repE0EEENS1_30default_config_static_selectorELNS0_4arch9wavefront6targetE1EEEvT1_,"axG",@progbits,_ZN7rocprim17ROCPRIM_400000_NS6detail17trampoline_kernelINS0_14default_configENS1_20scan_config_selectorIfEEZZNS1_9scan_implILNS1_25lookback_scan_determinismE0ELb0ELb0ES3_N6thrust23THRUST_200600_302600_NS6detail15normal_iteratorINS9_10device_ptrIfEEEENS9_16discard_iteratorINS9_11use_defaultEEEf11max_functorIfEfEEDaPvRmT3_T4_T5_mT6_P12ihipStream_tbENKUlT_T0_E_clISt17integral_constantIbLb1EESX_EEDaSS_ST_EUlSS_E0_NS1_11comp_targetILNS1_3genE5ELNS1_11target_archE942ELNS1_3gpuE9ELNS1_3repE0EEENS1_30default_config_static_selectorELNS0_4arch9wavefront6targetE1EEEvT1_,comdat
.Lfunc_end3162:
	.size	_ZN7rocprim17ROCPRIM_400000_NS6detail17trampoline_kernelINS0_14default_configENS1_20scan_config_selectorIfEEZZNS1_9scan_implILNS1_25lookback_scan_determinismE0ELb0ELb0ES3_N6thrust23THRUST_200600_302600_NS6detail15normal_iteratorINS9_10device_ptrIfEEEENS9_16discard_iteratorINS9_11use_defaultEEEf11max_functorIfEfEEDaPvRmT3_T4_T5_mT6_P12ihipStream_tbENKUlT_T0_E_clISt17integral_constantIbLb1EESX_EEDaSS_ST_EUlSS_E0_NS1_11comp_targetILNS1_3genE5ELNS1_11target_archE942ELNS1_3gpuE9ELNS1_3repE0EEENS1_30default_config_static_selectorELNS0_4arch9wavefront6targetE1EEEvT1_, .Lfunc_end3162-_ZN7rocprim17ROCPRIM_400000_NS6detail17trampoline_kernelINS0_14default_configENS1_20scan_config_selectorIfEEZZNS1_9scan_implILNS1_25lookback_scan_determinismE0ELb0ELb0ES3_N6thrust23THRUST_200600_302600_NS6detail15normal_iteratorINS9_10device_ptrIfEEEENS9_16discard_iteratorINS9_11use_defaultEEEf11max_functorIfEfEEDaPvRmT3_T4_T5_mT6_P12ihipStream_tbENKUlT_T0_E_clISt17integral_constantIbLb1EESX_EEDaSS_ST_EUlSS_E0_NS1_11comp_targetILNS1_3genE5ELNS1_11target_archE942ELNS1_3gpuE9ELNS1_3repE0EEENS1_30default_config_static_selectorELNS0_4arch9wavefront6targetE1EEEvT1_
                                        ; -- End function
	.section	.AMDGPU.csdata,"",@progbits
; Kernel info:
; codeLenInByte = 0
; NumSgprs: 4
; NumVgprs: 0
; NumAgprs: 0
; TotalNumVgprs: 0
; ScratchSize: 0
; MemoryBound: 0
; FloatMode: 240
; IeeeMode: 1
; LDSByteSize: 0 bytes/workgroup (compile time only)
; SGPRBlocks: 0
; VGPRBlocks: 0
; NumSGPRsForWavesPerEU: 4
; NumVGPRsForWavesPerEU: 1
; AccumOffset: 4
; Occupancy: 8
; WaveLimiterHint : 0
; COMPUTE_PGM_RSRC2:SCRATCH_EN: 0
; COMPUTE_PGM_RSRC2:USER_SGPR: 6
; COMPUTE_PGM_RSRC2:TRAP_HANDLER: 0
; COMPUTE_PGM_RSRC2:TGID_X_EN: 1
; COMPUTE_PGM_RSRC2:TGID_Y_EN: 0
; COMPUTE_PGM_RSRC2:TGID_Z_EN: 0
; COMPUTE_PGM_RSRC2:TIDIG_COMP_CNT: 0
; COMPUTE_PGM_RSRC3_GFX90A:ACCUM_OFFSET: 0
; COMPUTE_PGM_RSRC3_GFX90A:TG_SPLIT: 0
	.section	.text._ZN7rocprim17ROCPRIM_400000_NS6detail17trampoline_kernelINS0_14default_configENS1_20scan_config_selectorIfEEZZNS1_9scan_implILNS1_25lookback_scan_determinismE0ELb0ELb0ES3_N6thrust23THRUST_200600_302600_NS6detail15normal_iteratorINS9_10device_ptrIfEEEENS9_16discard_iteratorINS9_11use_defaultEEEf11max_functorIfEfEEDaPvRmT3_T4_T5_mT6_P12ihipStream_tbENKUlT_T0_E_clISt17integral_constantIbLb1EESX_EEDaSS_ST_EUlSS_E0_NS1_11comp_targetILNS1_3genE4ELNS1_11target_archE910ELNS1_3gpuE8ELNS1_3repE0EEENS1_30default_config_static_selectorELNS0_4arch9wavefront6targetE1EEEvT1_,"axG",@progbits,_ZN7rocprim17ROCPRIM_400000_NS6detail17trampoline_kernelINS0_14default_configENS1_20scan_config_selectorIfEEZZNS1_9scan_implILNS1_25lookback_scan_determinismE0ELb0ELb0ES3_N6thrust23THRUST_200600_302600_NS6detail15normal_iteratorINS9_10device_ptrIfEEEENS9_16discard_iteratorINS9_11use_defaultEEEf11max_functorIfEfEEDaPvRmT3_T4_T5_mT6_P12ihipStream_tbENKUlT_T0_E_clISt17integral_constantIbLb1EESX_EEDaSS_ST_EUlSS_E0_NS1_11comp_targetILNS1_3genE4ELNS1_11target_archE910ELNS1_3gpuE8ELNS1_3repE0EEENS1_30default_config_static_selectorELNS0_4arch9wavefront6targetE1EEEvT1_,comdat
	.protected	_ZN7rocprim17ROCPRIM_400000_NS6detail17trampoline_kernelINS0_14default_configENS1_20scan_config_selectorIfEEZZNS1_9scan_implILNS1_25lookback_scan_determinismE0ELb0ELb0ES3_N6thrust23THRUST_200600_302600_NS6detail15normal_iteratorINS9_10device_ptrIfEEEENS9_16discard_iteratorINS9_11use_defaultEEEf11max_functorIfEfEEDaPvRmT3_T4_T5_mT6_P12ihipStream_tbENKUlT_T0_E_clISt17integral_constantIbLb1EESX_EEDaSS_ST_EUlSS_E0_NS1_11comp_targetILNS1_3genE4ELNS1_11target_archE910ELNS1_3gpuE8ELNS1_3repE0EEENS1_30default_config_static_selectorELNS0_4arch9wavefront6targetE1EEEvT1_ ; -- Begin function _ZN7rocprim17ROCPRIM_400000_NS6detail17trampoline_kernelINS0_14default_configENS1_20scan_config_selectorIfEEZZNS1_9scan_implILNS1_25lookback_scan_determinismE0ELb0ELb0ES3_N6thrust23THRUST_200600_302600_NS6detail15normal_iteratorINS9_10device_ptrIfEEEENS9_16discard_iteratorINS9_11use_defaultEEEf11max_functorIfEfEEDaPvRmT3_T4_T5_mT6_P12ihipStream_tbENKUlT_T0_E_clISt17integral_constantIbLb1EESX_EEDaSS_ST_EUlSS_E0_NS1_11comp_targetILNS1_3genE4ELNS1_11target_archE910ELNS1_3gpuE8ELNS1_3repE0EEENS1_30default_config_static_selectorELNS0_4arch9wavefront6targetE1EEEvT1_
	.globl	_ZN7rocprim17ROCPRIM_400000_NS6detail17trampoline_kernelINS0_14default_configENS1_20scan_config_selectorIfEEZZNS1_9scan_implILNS1_25lookback_scan_determinismE0ELb0ELb0ES3_N6thrust23THRUST_200600_302600_NS6detail15normal_iteratorINS9_10device_ptrIfEEEENS9_16discard_iteratorINS9_11use_defaultEEEf11max_functorIfEfEEDaPvRmT3_T4_T5_mT6_P12ihipStream_tbENKUlT_T0_E_clISt17integral_constantIbLb1EESX_EEDaSS_ST_EUlSS_E0_NS1_11comp_targetILNS1_3genE4ELNS1_11target_archE910ELNS1_3gpuE8ELNS1_3repE0EEENS1_30default_config_static_selectorELNS0_4arch9wavefront6targetE1EEEvT1_
	.p2align	8
	.type	_ZN7rocprim17ROCPRIM_400000_NS6detail17trampoline_kernelINS0_14default_configENS1_20scan_config_selectorIfEEZZNS1_9scan_implILNS1_25lookback_scan_determinismE0ELb0ELb0ES3_N6thrust23THRUST_200600_302600_NS6detail15normal_iteratorINS9_10device_ptrIfEEEENS9_16discard_iteratorINS9_11use_defaultEEEf11max_functorIfEfEEDaPvRmT3_T4_T5_mT6_P12ihipStream_tbENKUlT_T0_E_clISt17integral_constantIbLb1EESX_EEDaSS_ST_EUlSS_E0_NS1_11comp_targetILNS1_3genE4ELNS1_11target_archE910ELNS1_3gpuE8ELNS1_3repE0EEENS1_30default_config_static_selectorELNS0_4arch9wavefront6targetE1EEEvT1_,@function
_ZN7rocprim17ROCPRIM_400000_NS6detail17trampoline_kernelINS0_14default_configENS1_20scan_config_selectorIfEEZZNS1_9scan_implILNS1_25lookback_scan_determinismE0ELb0ELb0ES3_N6thrust23THRUST_200600_302600_NS6detail15normal_iteratorINS9_10device_ptrIfEEEENS9_16discard_iteratorINS9_11use_defaultEEEf11max_functorIfEfEEDaPvRmT3_T4_T5_mT6_P12ihipStream_tbENKUlT_T0_E_clISt17integral_constantIbLb1EESX_EEDaSS_ST_EUlSS_E0_NS1_11comp_targetILNS1_3genE4ELNS1_11target_archE910ELNS1_3gpuE8ELNS1_3repE0EEENS1_30default_config_static_selectorELNS0_4arch9wavefront6targetE1EEEvT1_: ; @_ZN7rocprim17ROCPRIM_400000_NS6detail17trampoline_kernelINS0_14default_configENS1_20scan_config_selectorIfEEZZNS1_9scan_implILNS1_25lookback_scan_determinismE0ELb0ELb0ES3_N6thrust23THRUST_200600_302600_NS6detail15normal_iteratorINS9_10device_ptrIfEEEENS9_16discard_iteratorINS9_11use_defaultEEEf11max_functorIfEfEEDaPvRmT3_T4_T5_mT6_P12ihipStream_tbENKUlT_T0_E_clISt17integral_constantIbLb1EESX_EEDaSS_ST_EUlSS_E0_NS1_11comp_targetILNS1_3genE4ELNS1_11target_archE910ELNS1_3gpuE8ELNS1_3repE0EEENS1_30default_config_static_selectorELNS0_4arch9wavefront6targetE1EEEvT1_
; %bb.0:
	s_load_dwordx4 s[0:3], s[4:5], 0x0
	v_lshlrev_b32_e32 v1, 2, v0
	s_waitcnt lgkmcnt(0)
	s_load_dword s3, s[0:1], 0x0
	v_cmp_gt_u32_e32 vcc, s2, v0
	s_waitcnt lgkmcnt(0)
	v_mov_b32_e32 v2, s3
	s_and_saveexec_b64 s[4:5], vcc
	s_cbranch_execz .LBB3163_2
; %bb.1:
	global_load_dword v2, v1, s[0:1]
.LBB3163_2:
	s_or_b64 exec, exec, s[4:5]
	v_or_b32_e32 v3, 0x80, v0
	v_cmp_gt_u32_e32 vcc, s2, v3
	v_mov_b32_e32 v3, s3
	s_and_saveexec_b64 s[4:5], vcc
	s_cbranch_execz .LBB3163_4
; %bb.3:
	global_load_dword v3, v1, s[0:1] offset:512
.LBB3163_4:
	s_or_b64 exec, exec, s[4:5]
	v_or_b32_e32 v4, 0x100, v0
	v_cmp_gt_u32_e32 vcc, s2, v4
	v_mov_b32_e32 v4, s3
	s_and_saveexec_b64 s[4:5], vcc
	s_cbranch_execz .LBB3163_6
; %bb.5:
	global_load_dword v4, v1, s[0:1] offset:1024
.LBB3163_6:
	;; [unrolled: 9-line block ×7, first 2 shown]
	s_or_b64 exec, exec, s[4:5]
	v_or_b32_e32 v11, 0x400, v0
	v_cmp_gt_u32_e32 vcc, s2, v11
	v_mov_b32_e32 v10, s3
	s_and_saveexec_b64 s[4:5], vcc
	s_cbranch_execz .LBB3163_18
; %bb.17:
	v_lshlrev_b32_e32 v10, 2, v11
	global_load_dword v10, v10, s[0:1]
.LBB3163_18:
	s_or_b64 exec, exec, s[4:5]
	v_or_b32_e32 v12, 0x480, v0
	v_cmp_gt_u32_e32 vcc, s2, v12
	v_mov_b32_e32 v11, s3
	s_and_saveexec_b64 s[4:5], vcc
	s_cbranch_execz .LBB3163_20
; %bb.19:
	v_lshlrev_b32_e32 v11, 2, v12
	global_load_dword v11, v11, s[0:1]
.LBB3163_20:
	;; [unrolled: 10-line block ×6, first 2 shown]
	s_or_b64 exec, exec, s[2:3]
	s_waitcnt vmcnt(0)
	ds_write2st64_b32 v1, v2, v3 offset1:2
	ds_write2st64_b32 v1, v4, v5 offset0:4 offset1:6
	ds_write2st64_b32 v1, v6, v7 offset0:8 offset1:10
	;; [unrolled: 1-line block ×6, first 2 shown]
	v_mad_u32_u24 v14, v0, 52, v1
	s_waitcnt lgkmcnt(0)
	s_barrier
	ds_read2_b64 v[2:5], v14 offset1:1
	ds_read2_b64 v[10:13], v14 offset0:2 offset1:3
	ds_read2_b64 v[6:9], v14 offset0:4 offset1:5
	ds_read_b64 v[14:15], v14 offset:48
	v_lshrrev_b32_e32 v17, 3, v0
	s_waitcnt lgkmcnt(3)
	v_cmp_lt_f32_e32 vcc, v2, v3
	v_cndmask_b32_e32 v16, v2, v3, vcc
	v_cmp_lt_f32_e32 vcc, v16, v4
	v_cndmask_b32_e32 v16, v16, v4, vcc
	v_cmp_lt_f32_e32 vcc, v16, v5
	v_cndmask_b32_e32 v16, v16, v5, vcc
	s_waitcnt lgkmcnt(2)
	v_cmp_lt_f32_e32 vcc, v16, v10
	v_cndmask_b32_e32 v16, v16, v10, vcc
	v_cmp_lt_f32_e32 vcc, v16, v11
	v_cndmask_b32_e32 v16, v16, v11, vcc
	v_cmp_lt_f32_e32 vcc, v16, v12
	v_cndmask_b32_e32 v16, v16, v12, vcc
	v_cmp_lt_f32_e32 vcc, v16, v13
	v_cndmask_b32_e32 v16, v16, v13, vcc
	s_waitcnt lgkmcnt(1)
	v_cmp_lt_f32_e32 vcc, v16, v6
	v_cndmask_b32_e32 v16, v16, v6, vcc
	;; [unrolled: 9-line block ×3, first 2 shown]
	v_cmp_lt_f32_e32 vcc, v16, v15
	v_and_b32_e32 v17, 12, v17
	v_cndmask_b32_e32 v16, v16, v15, vcc
	v_add_u32_e32 v17, v1, v17
	v_cmp_gt_u32_e32 vcc, 64, v0
	s_barrier
	ds_write_b32 v17, v16
	s_waitcnt lgkmcnt(0)
	s_barrier
	s_and_saveexec_b64 s[6:7], vcc
	s_cbranch_execz .LBB3163_30
; %bb.29:
	v_lshlrev_b32_e32 v17, 1, v0
	v_lshrrev_b32_e32 v18, 4, v0
	v_add_lshl_u32 v17, v18, v17, 2
	ds_read2_b32 v[18:19], v17 offset1:1
	v_mbcnt_lo_u32_b32 v20, -1, 0
	v_mbcnt_hi_u32_b32 v20, -1, v20
	v_and_b32_e32 v21, 15, v20
	v_cmp_lt_u32_e64 s[4:5], 31, v20
	s_waitcnt lgkmcnt(0)
	v_cmp_lt_f32_e32 vcc, v18, v19
	v_cndmask_b32_e32 v19, v18, v19, vcc
	v_cmp_gt_u32_e64 s[2:3], 32, v20
	s_nop 0
	v_mov_b32_dpp v22, v19 row_shr:1 row_mask:0xf bank_mask:0xf
	v_cmp_gt_f32_e32 vcc, v19, v22
	v_cndmask_b32_e32 v22, v22, v19, vcc
	v_cmp_eq_u32_e32 vcc, 0, v21
	v_cndmask_b32_e32 v19, v22, v19, vcc
	; wave barrier
	s_nop 1
	v_mov_b32_dpp v22, v19 row_shr:2 row_mask:0xf bank_mask:0xf
	v_cmp_gt_f32_e32 vcc, v19, v22
	v_cndmask_b32_e32 v22, v22, v19, vcc
	v_cmp_lt_u32_e32 vcc, 1, v21
	v_cndmask_b32_e32 v22, v19, v22, vcc
	s_nop 1
	v_mov_b32_dpp v23, v22 row_shr:4 row_mask:0xf bank_mask:0xf
	v_cmp_gt_f32_e64 s[0:1], v22, v23
	v_cndmask_b32_e64 v23, v23, v22, s[0:1]
	v_cmp_lt_u32_e64 s[0:1], 3, v21
	v_cndmask_b32_e64 v22, v22, v23, s[0:1]
	s_nop 1
	v_mov_b32_dpp v23, v22 row_shr:8 row_mask:0xf bank_mask:0xf
	v_cmp_gt_f32_e64 s[0:1], v22, v23
	v_cndmask_b32_e64 v23, v23, v22, s[0:1]
	v_cmp_lt_u32_e64 s[0:1], 7, v21
	v_cndmask_b32_e64 v21, v22, v23, s[0:1]
	v_and_b32_e32 v23, 16, v20
	s_nop 0
	v_mov_b32_dpp v22, v21 row_bcast:15 row_mask:0xf bank_mask:0xf
	v_cmp_gt_f32_e64 s[0:1], v21, v22
	v_cndmask_b32_e64 v22, v22, v21, s[0:1]
	v_cmp_ne_u32_e64 s[0:1], 0, v23
	v_cndmask_b32_e64 v21, v21, v22, s[0:1]
	s_or_b64 s[4:5], s[0:1], s[4:5]
	s_or_b64 vcc, vcc, s[4:5]
	v_mov_b32_dpp v22, v21 row_bcast:31 row_mask:0xf bank_mask:0xf
	v_cmp_gt_f32_e64 s[0:1], v21, v22
	s_or_b64 s[0:1], s[2:3], s[0:1]
	v_cndmask_b32_e64 v21, v22, v21, s[0:1]
	v_cndmask_b32_e32 v19, v19, v21, vcc
	v_add_u32_e32 v21, -1, v20
	v_and_b32_e32 v22, 64, v20
	v_cmp_lt_i32_e32 vcc, v21, v22
	v_cndmask_b32_e32 v20, v21, v20, vcc
	v_lshlrev_b32_e32 v20, 2, v20
	ds_bpermute_b32 v19, v20, v19
	s_waitcnt lgkmcnt(0)
	v_cmp_gt_f32_e32 vcc, v18, v19
	v_cndmask_b32_e32 v18, v19, v18, vcc
	v_cmp_eq_u32_e32 vcc, 0, v0
	v_cndmask_b32_e32 v18, v18, v16, vcc
	ds_write_b32 v17, v18
	; wave barrier
	ds_read_b32 v19, v17 offset:4
	s_waitcnt lgkmcnt(0)
	v_cmp_lt_f32_e32 vcc, v18, v19
	v_cndmask_b32_e32 v18, v18, v19, vcc
	ds_write_b32 v17, v18 offset:4
.LBB3163_30:
	s_or_b64 exec, exec, s[6:7]
	v_cmp_ne_u32_e32 vcc, 0, v0
	s_waitcnt lgkmcnt(0)
	s_barrier
	s_and_saveexec_b64 s[0:1], vcc
	s_cbranch_execz .LBB3163_32
; %bb.31:
	v_add_u32_e32 v16, -1, v0
	v_lshrrev_b32_e32 v17, 5, v16
	v_add_lshl_u32 v16, v17, v16, 2
	ds_read_b32 v16, v16
.LBB3163_32:
	s_or_b64 exec, exec, s[0:1]
	v_mul_u32_u24_e32 v0, 52, v0
	s_and_saveexec_b64 s[0:1], vcc
	s_cbranch_execz .LBB3163_34
; %bb.33:
	s_waitcnt lgkmcnt(0)
	v_cmp_gt_f32_e32 vcc, v2, v16
	v_cndmask_b32_e32 v2, v16, v2, vcc
	;;#ASMSTART
	;;#ASMEND
.LBB3163_34:
	s_or_b64 exec, exec, s[0:1]
	v_cmp_gt_f32_e32 vcc, v3, v2
	v_cndmask_b32_e32 v3, v2, v3, vcc
	v_cmp_lt_f32_e32 vcc, v3, v4
	v_cndmask_b32_e32 v4, v3, v4, vcc
	v_cmp_lt_f32_e32 vcc, v4, v5
	;; [unrolled: 2-line block ×12, first 2 shown]
	v_add_u32_e32 v0, v1, v0
	v_cndmask_b32_e32 v15, v14, v15, vcc
	s_waitcnt lgkmcnt(0)
	s_barrier
	ds_write2_b64 v0, v[2:3], v[4:5] offset1:1
	ds_write2_b64 v0, v[10:11], v[12:13] offset0:2 offset1:3
	ds_write2_b64 v0, v[6:7], v[8:9] offset0:4 offset1:5
	ds_write_b64 v0, v[14:15] offset:48
	s_waitcnt lgkmcnt(0)
	s_barrier
	s_endpgm
	.section	.rodata,"a",@progbits
	.p2align	6, 0x0
	.amdhsa_kernel _ZN7rocprim17ROCPRIM_400000_NS6detail17trampoline_kernelINS0_14default_configENS1_20scan_config_selectorIfEEZZNS1_9scan_implILNS1_25lookback_scan_determinismE0ELb0ELb0ES3_N6thrust23THRUST_200600_302600_NS6detail15normal_iteratorINS9_10device_ptrIfEEEENS9_16discard_iteratorINS9_11use_defaultEEEf11max_functorIfEfEEDaPvRmT3_T4_T5_mT6_P12ihipStream_tbENKUlT_T0_E_clISt17integral_constantIbLb1EESX_EEDaSS_ST_EUlSS_E0_NS1_11comp_targetILNS1_3genE4ELNS1_11target_archE910ELNS1_3gpuE8ELNS1_3repE0EEENS1_30default_config_static_selectorELNS0_4arch9wavefront6targetE1EEEvT1_
		.amdhsa_group_segment_fixed_size 7168
		.amdhsa_private_segment_fixed_size 0
		.amdhsa_kernarg_size 40
		.amdhsa_user_sgpr_count 6
		.amdhsa_user_sgpr_private_segment_buffer 1
		.amdhsa_user_sgpr_dispatch_ptr 0
		.amdhsa_user_sgpr_queue_ptr 0
		.amdhsa_user_sgpr_kernarg_segment_ptr 1
		.amdhsa_user_sgpr_dispatch_id 0
		.amdhsa_user_sgpr_flat_scratch_init 0
		.amdhsa_user_sgpr_kernarg_preload_length 0
		.amdhsa_user_sgpr_kernarg_preload_offset 0
		.amdhsa_user_sgpr_private_segment_size 0
		.amdhsa_uses_dynamic_stack 0
		.amdhsa_system_sgpr_private_segment_wavefront_offset 0
		.amdhsa_system_sgpr_workgroup_id_x 1
		.amdhsa_system_sgpr_workgroup_id_y 0
		.amdhsa_system_sgpr_workgroup_id_z 0
		.amdhsa_system_sgpr_workgroup_info 0
		.amdhsa_system_vgpr_workitem_id 0
		.amdhsa_next_free_vgpr 24
		.amdhsa_next_free_sgpr 8
		.amdhsa_accum_offset 24
		.amdhsa_reserve_vcc 1
		.amdhsa_reserve_flat_scratch 0
		.amdhsa_float_round_mode_32 0
		.amdhsa_float_round_mode_16_64 0
		.amdhsa_float_denorm_mode_32 3
		.amdhsa_float_denorm_mode_16_64 3
		.amdhsa_dx10_clamp 1
		.amdhsa_ieee_mode 1
		.amdhsa_fp16_overflow 0
		.amdhsa_tg_split 0
		.amdhsa_exception_fp_ieee_invalid_op 0
		.amdhsa_exception_fp_denorm_src 0
		.amdhsa_exception_fp_ieee_div_zero 0
		.amdhsa_exception_fp_ieee_overflow 0
		.amdhsa_exception_fp_ieee_underflow 0
		.amdhsa_exception_fp_ieee_inexact 0
		.amdhsa_exception_int_div_zero 0
	.end_amdhsa_kernel
	.section	.text._ZN7rocprim17ROCPRIM_400000_NS6detail17trampoline_kernelINS0_14default_configENS1_20scan_config_selectorIfEEZZNS1_9scan_implILNS1_25lookback_scan_determinismE0ELb0ELb0ES3_N6thrust23THRUST_200600_302600_NS6detail15normal_iteratorINS9_10device_ptrIfEEEENS9_16discard_iteratorINS9_11use_defaultEEEf11max_functorIfEfEEDaPvRmT3_T4_T5_mT6_P12ihipStream_tbENKUlT_T0_E_clISt17integral_constantIbLb1EESX_EEDaSS_ST_EUlSS_E0_NS1_11comp_targetILNS1_3genE4ELNS1_11target_archE910ELNS1_3gpuE8ELNS1_3repE0EEENS1_30default_config_static_selectorELNS0_4arch9wavefront6targetE1EEEvT1_,"axG",@progbits,_ZN7rocprim17ROCPRIM_400000_NS6detail17trampoline_kernelINS0_14default_configENS1_20scan_config_selectorIfEEZZNS1_9scan_implILNS1_25lookback_scan_determinismE0ELb0ELb0ES3_N6thrust23THRUST_200600_302600_NS6detail15normal_iteratorINS9_10device_ptrIfEEEENS9_16discard_iteratorINS9_11use_defaultEEEf11max_functorIfEfEEDaPvRmT3_T4_T5_mT6_P12ihipStream_tbENKUlT_T0_E_clISt17integral_constantIbLb1EESX_EEDaSS_ST_EUlSS_E0_NS1_11comp_targetILNS1_3genE4ELNS1_11target_archE910ELNS1_3gpuE8ELNS1_3repE0EEENS1_30default_config_static_selectorELNS0_4arch9wavefront6targetE1EEEvT1_,comdat
.Lfunc_end3163:
	.size	_ZN7rocprim17ROCPRIM_400000_NS6detail17trampoline_kernelINS0_14default_configENS1_20scan_config_selectorIfEEZZNS1_9scan_implILNS1_25lookback_scan_determinismE0ELb0ELb0ES3_N6thrust23THRUST_200600_302600_NS6detail15normal_iteratorINS9_10device_ptrIfEEEENS9_16discard_iteratorINS9_11use_defaultEEEf11max_functorIfEfEEDaPvRmT3_T4_T5_mT6_P12ihipStream_tbENKUlT_T0_E_clISt17integral_constantIbLb1EESX_EEDaSS_ST_EUlSS_E0_NS1_11comp_targetILNS1_3genE4ELNS1_11target_archE910ELNS1_3gpuE8ELNS1_3repE0EEENS1_30default_config_static_selectorELNS0_4arch9wavefront6targetE1EEEvT1_, .Lfunc_end3163-_ZN7rocprim17ROCPRIM_400000_NS6detail17trampoline_kernelINS0_14default_configENS1_20scan_config_selectorIfEEZZNS1_9scan_implILNS1_25lookback_scan_determinismE0ELb0ELb0ES3_N6thrust23THRUST_200600_302600_NS6detail15normal_iteratorINS9_10device_ptrIfEEEENS9_16discard_iteratorINS9_11use_defaultEEEf11max_functorIfEfEEDaPvRmT3_T4_T5_mT6_P12ihipStream_tbENKUlT_T0_E_clISt17integral_constantIbLb1EESX_EEDaSS_ST_EUlSS_E0_NS1_11comp_targetILNS1_3genE4ELNS1_11target_archE910ELNS1_3gpuE8ELNS1_3repE0EEENS1_30default_config_static_selectorELNS0_4arch9wavefront6targetE1EEEvT1_
                                        ; -- End function
	.section	.AMDGPU.csdata,"",@progbits
; Kernel info:
; codeLenInByte = 1448
; NumSgprs: 12
; NumVgprs: 24
; NumAgprs: 0
; TotalNumVgprs: 24
; ScratchSize: 0
; MemoryBound: 0
; FloatMode: 240
; IeeeMode: 1
; LDSByteSize: 7168 bytes/workgroup (compile time only)
; SGPRBlocks: 1
; VGPRBlocks: 2
; NumSGPRsForWavesPerEU: 12
; NumVGPRsForWavesPerEU: 24
; AccumOffset: 24
; Occupancy: 5
; WaveLimiterHint : 0
; COMPUTE_PGM_RSRC2:SCRATCH_EN: 0
; COMPUTE_PGM_RSRC2:USER_SGPR: 6
; COMPUTE_PGM_RSRC2:TRAP_HANDLER: 0
; COMPUTE_PGM_RSRC2:TGID_X_EN: 1
; COMPUTE_PGM_RSRC2:TGID_Y_EN: 0
; COMPUTE_PGM_RSRC2:TGID_Z_EN: 0
; COMPUTE_PGM_RSRC2:TIDIG_COMP_CNT: 0
; COMPUTE_PGM_RSRC3_GFX90A:ACCUM_OFFSET: 5
; COMPUTE_PGM_RSRC3_GFX90A:TG_SPLIT: 0
	.section	.text._ZN7rocprim17ROCPRIM_400000_NS6detail17trampoline_kernelINS0_14default_configENS1_20scan_config_selectorIfEEZZNS1_9scan_implILNS1_25lookback_scan_determinismE0ELb0ELb0ES3_N6thrust23THRUST_200600_302600_NS6detail15normal_iteratorINS9_10device_ptrIfEEEENS9_16discard_iteratorINS9_11use_defaultEEEf11max_functorIfEfEEDaPvRmT3_T4_T5_mT6_P12ihipStream_tbENKUlT_T0_E_clISt17integral_constantIbLb1EESX_EEDaSS_ST_EUlSS_E0_NS1_11comp_targetILNS1_3genE3ELNS1_11target_archE908ELNS1_3gpuE7ELNS1_3repE0EEENS1_30default_config_static_selectorELNS0_4arch9wavefront6targetE1EEEvT1_,"axG",@progbits,_ZN7rocprim17ROCPRIM_400000_NS6detail17trampoline_kernelINS0_14default_configENS1_20scan_config_selectorIfEEZZNS1_9scan_implILNS1_25lookback_scan_determinismE0ELb0ELb0ES3_N6thrust23THRUST_200600_302600_NS6detail15normal_iteratorINS9_10device_ptrIfEEEENS9_16discard_iteratorINS9_11use_defaultEEEf11max_functorIfEfEEDaPvRmT3_T4_T5_mT6_P12ihipStream_tbENKUlT_T0_E_clISt17integral_constantIbLb1EESX_EEDaSS_ST_EUlSS_E0_NS1_11comp_targetILNS1_3genE3ELNS1_11target_archE908ELNS1_3gpuE7ELNS1_3repE0EEENS1_30default_config_static_selectorELNS0_4arch9wavefront6targetE1EEEvT1_,comdat
	.protected	_ZN7rocprim17ROCPRIM_400000_NS6detail17trampoline_kernelINS0_14default_configENS1_20scan_config_selectorIfEEZZNS1_9scan_implILNS1_25lookback_scan_determinismE0ELb0ELb0ES3_N6thrust23THRUST_200600_302600_NS6detail15normal_iteratorINS9_10device_ptrIfEEEENS9_16discard_iteratorINS9_11use_defaultEEEf11max_functorIfEfEEDaPvRmT3_T4_T5_mT6_P12ihipStream_tbENKUlT_T0_E_clISt17integral_constantIbLb1EESX_EEDaSS_ST_EUlSS_E0_NS1_11comp_targetILNS1_3genE3ELNS1_11target_archE908ELNS1_3gpuE7ELNS1_3repE0EEENS1_30default_config_static_selectorELNS0_4arch9wavefront6targetE1EEEvT1_ ; -- Begin function _ZN7rocprim17ROCPRIM_400000_NS6detail17trampoline_kernelINS0_14default_configENS1_20scan_config_selectorIfEEZZNS1_9scan_implILNS1_25lookback_scan_determinismE0ELb0ELb0ES3_N6thrust23THRUST_200600_302600_NS6detail15normal_iteratorINS9_10device_ptrIfEEEENS9_16discard_iteratorINS9_11use_defaultEEEf11max_functorIfEfEEDaPvRmT3_T4_T5_mT6_P12ihipStream_tbENKUlT_T0_E_clISt17integral_constantIbLb1EESX_EEDaSS_ST_EUlSS_E0_NS1_11comp_targetILNS1_3genE3ELNS1_11target_archE908ELNS1_3gpuE7ELNS1_3repE0EEENS1_30default_config_static_selectorELNS0_4arch9wavefront6targetE1EEEvT1_
	.globl	_ZN7rocprim17ROCPRIM_400000_NS6detail17trampoline_kernelINS0_14default_configENS1_20scan_config_selectorIfEEZZNS1_9scan_implILNS1_25lookback_scan_determinismE0ELb0ELb0ES3_N6thrust23THRUST_200600_302600_NS6detail15normal_iteratorINS9_10device_ptrIfEEEENS9_16discard_iteratorINS9_11use_defaultEEEf11max_functorIfEfEEDaPvRmT3_T4_T5_mT6_P12ihipStream_tbENKUlT_T0_E_clISt17integral_constantIbLb1EESX_EEDaSS_ST_EUlSS_E0_NS1_11comp_targetILNS1_3genE3ELNS1_11target_archE908ELNS1_3gpuE7ELNS1_3repE0EEENS1_30default_config_static_selectorELNS0_4arch9wavefront6targetE1EEEvT1_
	.p2align	8
	.type	_ZN7rocprim17ROCPRIM_400000_NS6detail17trampoline_kernelINS0_14default_configENS1_20scan_config_selectorIfEEZZNS1_9scan_implILNS1_25lookback_scan_determinismE0ELb0ELb0ES3_N6thrust23THRUST_200600_302600_NS6detail15normal_iteratorINS9_10device_ptrIfEEEENS9_16discard_iteratorINS9_11use_defaultEEEf11max_functorIfEfEEDaPvRmT3_T4_T5_mT6_P12ihipStream_tbENKUlT_T0_E_clISt17integral_constantIbLb1EESX_EEDaSS_ST_EUlSS_E0_NS1_11comp_targetILNS1_3genE3ELNS1_11target_archE908ELNS1_3gpuE7ELNS1_3repE0EEENS1_30default_config_static_selectorELNS0_4arch9wavefront6targetE1EEEvT1_,@function
_ZN7rocprim17ROCPRIM_400000_NS6detail17trampoline_kernelINS0_14default_configENS1_20scan_config_selectorIfEEZZNS1_9scan_implILNS1_25lookback_scan_determinismE0ELb0ELb0ES3_N6thrust23THRUST_200600_302600_NS6detail15normal_iteratorINS9_10device_ptrIfEEEENS9_16discard_iteratorINS9_11use_defaultEEEf11max_functorIfEfEEDaPvRmT3_T4_T5_mT6_P12ihipStream_tbENKUlT_T0_E_clISt17integral_constantIbLb1EESX_EEDaSS_ST_EUlSS_E0_NS1_11comp_targetILNS1_3genE3ELNS1_11target_archE908ELNS1_3gpuE7ELNS1_3repE0EEENS1_30default_config_static_selectorELNS0_4arch9wavefront6targetE1EEEvT1_: ; @_ZN7rocprim17ROCPRIM_400000_NS6detail17trampoline_kernelINS0_14default_configENS1_20scan_config_selectorIfEEZZNS1_9scan_implILNS1_25lookback_scan_determinismE0ELb0ELb0ES3_N6thrust23THRUST_200600_302600_NS6detail15normal_iteratorINS9_10device_ptrIfEEEENS9_16discard_iteratorINS9_11use_defaultEEEf11max_functorIfEfEEDaPvRmT3_T4_T5_mT6_P12ihipStream_tbENKUlT_T0_E_clISt17integral_constantIbLb1EESX_EEDaSS_ST_EUlSS_E0_NS1_11comp_targetILNS1_3genE3ELNS1_11target_archE908ELNS1_3gpuE7ELNS1_3repE0EEENS1_30default_config_static_selectorELNS0_4arch9wavefront6targetE1EEEvT1_
; %bb.0:
	.section	.rodata,"a",@progbits
	.p2align	6, 0x0
	.amdhsa_kernel _ZN7rocprim17ROCPRIM_400000_NS6detail17trampoline_kernelINS0_14default_configENS1_20scan_config_selectorIfEEZZNS1_9scan_implILNS1_25lookback_scan_determinismE0ELb0ELb0ES3_N6thrust23THRUST_200600_302600_NS6detail15normal_iteratorINS9_10device_ptrIfEEEENS9_16discard_iteratorINS9_11use_defaultEEEf11max_functorIfEfEEDaPvRmT3_T4_T5_mT6_P12ihipStream_tbENKUlT_T0_E_clISt17integral_constantIbLb1EESX_EEDaSS_ST_EUlSS_E0_NS1_11comp_targetILNS1_3genE3ELNS1_11target_archE908ELNS1_3gpuE7ELNS1_3repE0EEENS1_30default_config_static_selectorELNS0_4arch9wavefront6targetE1EEEvT1_
		.amdhsa_group_segment_fixed_size 0
		.amdhsa_private_segment_fixed_size 0
		.amdhsa_kernarg_size 40
		.amdhsa_user_sgpr_count 6
		.amdhsa_user_sgpr_private_segment_buffer 1
		.amdhsa_user_sgpr_dispatch_ptr 0
		.amdhsa_user_sgpr_queue_ptr 0
		.amdhsa_user_sgpr_kernarg_segment_ptr 1
		.amdhsa_user_sgpr_dispatch_id 0
		.amdhsa_user_sgpr_flat_scratch_init 0
		.amdhsa_user_sgpr_kernarg_preload_length 0
		.amdhsa_user_sgpr_kernarg_preload_offset 0
		.amdhsa_user_sgpr_private_segment_size 0
		.amdhsa_uses_dynamic_stack 0
		.amdhsa_system_sgpr_private_segment_wavefront_offset 0
		.amdhsa_system_sgpr_workgroup_id_x 1
		.amdhsa_system_sgpr_workgroup_id_y 0
		.amdhsa_system_sgpr_workgroup_id_z 0
		.amdhsa_system_sgpr_workgroup_info 0
		.amdhsa_system_vgpr_workitem_id 0
		.amdhsa_next_free_vgpr 1
		.amdhsa_next_free_sgpr 0
		.amdhsa_accum_offset 4
		.amdhsa_reserve_vcc 0
		.amdhsa_reserve_flat_scratch 0
		.amdhsa_float_round_mode_32 0
		.amdhsa_float_round_mode_16_64 0
		.amdhsa_float_denorm_mode_32 3
		.amdhsa_float_denorm_mode_16_64 3
		.amdhsa_dx10_clamp 1
		.amdhsa_ieee_mode 1
		.amdhsa_fp16_overflow 0
		.amdhsa_tg_split 0
		.amdhsa_exception_fp_ieee_invalid_op 0
		.amdhsa_exception_fp_denorm_src 0
		.amdhsa_exception_fp_ieee_div_zero 0
		.amdhsa_exception_fp_ieee_overflow 0
		.amdhsa_exception_fp_ieee_underflow 0
		.amdhsa_exception_fp_ieee_inexact 0
		.amdhsa_exception_int_div_zero 0
	.end_amdhsa_kernel
	.section	.text._ZN7rocprim17ROCPRIM_400000_NS6detail17trampoline_kernelINS0_14default_configENS1_20scan_config_selectorIfEEZZNS1_9scan_implILNS1_25lookback_scan_determinismE0ELb0ELb0ES3_N6thrust23THRUST_200600_302600_NS6detail15normal_iteratorINS9_10device_ptrIfEEEENS9_16discard_iteratorINS9_11use_defaultEEEf11max_functorIfEfEEDaPvRmT3_T4_T5_mT6_P12ihipStream_tbENKUlT_T0_E_clISt17integral_constantIbLb1EESX_EEDaSS_ST_EUlSS_E0_NS1_11comp_targetILNS1_3genE3ELNS1_11target_archE908ELNS1_3gpuE7ELNS1_3repE0EEENS1_30default_config_static_selectorELNS0_4arch9wavefront6targetE1EEEvT1_,"axG",@progbits,_ZN7rocprim17ROCPRIM_400000_NS6detail17trampoline_kernelINS0_14default_configENS1_20scan_config_selectorIfEEZZNS1_9scan_implILNS1_25lookback_scan_determinismE0ELb0ELb0ES3_N6thrust23THRUST_200600_302600_NS6detail15normal_iteratorINS9_10device_ptrIfEEEENS9_16discard_iteratorINS9_11use_defaultEEEf11max_functorIfEfEEDaPvRmT3_T4_T5_mT6_P12ihipStream_tbENKUlT_T0_E_clISt17integral_constantIbLb1EESX_EEDaSS_ST_EUlSS_E0_NS1_11comp_targetILNS1_3genE3ELNS1_11target_archE908ELNS1_3gpuE7ELNS1_3repE0EEENS1_30default_config_static_selectorELNS0_4arch9wavefront6targetE1EEEvT1_,comdat
.Lfunc_end3164:
	.size	_ZN7rocprim17ROCPRIM_400000_NS6detail17trampoline_kernelINS0_14default_configENS1_20scan_config_selectorIfEEZZNS1_9scan_implILNS1_25lookback_scan_determinismE0ELb0ELb0ES3_N6thrust23THRUST_200600_302600_NS6detail15normal_iteratorINS9_10device_ptrIfEEEENS9_16discard_iteratorINS9_11use_defaultEEEf11max_functorIfEfEEDaPvRmT3_T4_T5_mT6_P12ihipStream_tbENKUlT_T0_E_clISt17integral_constantIbLb1EESX_EEDaSS_ST_EUlSS_E0_NS1_11comp_targetILNS1_3genE3ELNS1_11target_archE908ELNS1_3gpuE7ELNS1_3repE0EEENS1_30default_config_static_selectorELNS0_4arch9wavefront6targetE1EEEvT1_, .Lfunc_end3164-_ZN7rocprim17ROCPRIM_400000_NS6detail17trampoline_kernelINS0_14default_configENS1_20scan_config_selectorIfEEZZNS1_9scan_implILNS1_25lookback_scan_determinismE0ELb0ELb0ES3_N6thrust23THRUST_200600_302600_NS6detail15normal_iteratorINS9_10device_ptrIfEEEENS9_16discard_iteratorINS9_11use_defaultEEEf11max_functorIfEfEEDaPvRmT3_T4_T5_mT6_P12ihipStream_tbENKUlT_T0_E_clISt17integral_constantIbLb1EESX_EEDaSS_ST_EUlSS_E0_NS1_11comp_targetILNS1_3genE3ELNS1_11target_archE908ELNS1_3gpuE7ELNS1_3repE0EEENS1_30default_config_static_selectorELNS0_4arch9wavefront6targetE1EEEvT1_
                                        ; -- End function
	.section	.AMDGPU.csdata,"",@progbits
; Kernel info:
; codeLenInByte = 0
; NumSgprs: 4
; NumVgprs: 0
; NumAgprs: 0
; TotalNumVgprs: 0
; ScratchSize: 0
; MemoryBound: 0
; FloatMode: 240
; IeeeMode: 1
; LDSByteSize: 0 bytes/workgroup (compile time only)
; SGPRBlocks: 0
; VGPRBlocks: 0
; NumSGPRsForWavesPerEU: 4
; NumVGPRsForWavesPerEU: 1
; AccumOffset: 4
; Occupancy: 8
; WaveLimiterHint : 0
; COMPUTE_PGM_RSRC2:SCRATCH_EN: 0
; COMPUTE_PGM_RSRC2:USER_SGPR: 6
; COMPUTE_PGM_RSRC2:TRAP_HANDLER: 0
; COMPUTE_PGM_RSRC2:TGID_X_EN: 1
; COMPUTE_PGM_RSRC2:TGID_Y_EN: 0
; COMPUTE_PGM_RSRC2:TGID_Z_EN: 0
; COMPUTE_PGM_RSRC2:TIDIG_COMP_CNT: 0
; COMPUTE_PGM_RSRC3_GFX90A:ACCUM_OFFSET: 0
; COMPUTE_PGM_RSRC3_GFX90A:TG_SPLIT: 0
	.section	.text._ZN7rocprim17ROCPRIM_400000_NS6detail17trampoline_kernelINS0_14default_configENS1_20scan_config_selectorIfEEZZNS1_9scan_implILNS1_25lookback_scan_determinismE0ELb0ELb0ES3_N6thrust23THRUST_200600_302600_NS6detail15normal_iteratorINS9_10device_ptrIfEEEENS9_16discard_iteratorINS9_11use_defaultEEEf11max_functorIfEfEEDaPvRmT3_T4_T5_mT6_P12ihipStream_tbENKUlT_T0_E_clISt17integral_constantIbLb1EESX_EEDaSS_ST_EUlSS_E0_NS1_11comp_targetILNS1_3genE2ELNS1_11target_archE906ELNS1_3gpuE6ELNS1_3repE0EEENS1_30default_config_static_selectorELNS0_4arch9wavefront6targetE1EEEvT1_,"axG",@progbits,_ZN7rocprim17ROCPRIM_400000_NS6detail17trampoline_kernelINS0_14default_configENS1_20scan_config_selectorIfEEZZNS1_9scan_implILNS1_25lookback_scan_determinismE0ELb0ELb0ES3_N6thrust23THRUST_200600_302600_NS6detail15normal_iteratorINS9_10device_ptrIfEEEENS9_16discard_iteratorINS9_11use_defaultEEEf11max_functorIfEfEEDaPvRmT3_T4_T5_mT6_P12ihipStream_tbENKUlT_T0_E_clISt17integral_constantIbLb1EESX_EEDaSS_ST_EUlSS_E0_NS1_11comp_targetILNS1_3genE2ELNS1_11target_archE906ELNS1_3gpuE6ELNS1_3repE0EEENS1_30default_config_static_selectorELNS0_4arch9wavefront6targetE1EEEvT1_,comdat
	.protected	_ZN7rocprim17ROCPRIM_400000_NS6detail17trampoline_kernelINS0_14default_configENS1_20scan_config_selectorIfEEZZNS1_9scan_implILNS1_25lookback_scan_determinismE0ELb0ELb0ES3_N6thrust23THRUST_200600_302600_NS6detail15normal_iteratorINS9_10device_ptrIfEEEENS9_16discard_iteratorINS9_11use_defaultEEEf11max_functorIfEfEEDaPvRmT3_T4_T5_mT6_P12ihipStream_tbENKUlT_T0_E_clISt17integral_constantIbLb1EESX_EEDaSS_ST_EUlSS_E0_NS1_11comp_targetILNS1_3genE2ELNS1_11target_archE906ELNS1_3gpuE6ELNS1_3repE0EEENS1_30default_config_static_selectorELNS0_4arch9wavefront6targetE1EEEvT1_ ; -- Begin function _ZN7rocprim17ROCPRIM_400000_NS6detail17trampoline_kernelINS0_14default_configENS1_20scan_config_selectorIfEEZZNS1_9scan_implILNS1_25lookback_scan_determinismE0ELb0ELb0ES3_N6thrust23THRUST_200600_302600_NS6detail15normal_iteratorINS9_10device_ptrIfEEEENS9_16discard_iteratorINS9_11use_defaultEEEf11max_functorIfEfEEDaPvRmT3_T4_T5_mT6_P12ihipStream_tbENKUlT_T0_E_clISt17integral_constantIbLb1EESX_EEDaSS_ST_EUlSS_E0_NS1_11comp_targetILNS1_3genE2ELNS1_11target_archE906ELNS1_3gpuE6ELNS1_3repE0EEENS1_30default_config_static_selectorELNS0_4arch9wavefront6targetE1EEEvT1_
	.globl	_ZN7rocprim17ROCPRIM_400000_NS6detail17trampoline_kernelINS0_14default_configENS1_20scan_config_selectorIfEEZZNS1_9scan_implILNS1_25lookback_scan_determinismE0ELb0ELb0ES3_N6thrust23THRUST_200600_302600_NS6detail15normal_iteratorINS9_10device_ptrIfEEEENS9_16discard_iteratorINS9_11use_defaultEEEf11max_functorIfEfEEDaPvRmT3_T4_T5_mT6_P12ihipStream_tbENKUlT_T0_E_clISt17integral_constantIbLb1EESX_EEDaSS_ST_EUlSS_E0_NS1_11comp_targetILNS1_3genE2ELNS1_11target_archE906ELNS1_3gpuE6ELNS1_3repE0EEENS1_30default_config_static_selectorELNS0_4arch9wavefront6targetE1EEEvT1_
	.p2align	8
	.type	_ZN7rocprim17ROCPRIM_400000_NS6detail17trampoline_kernelINS0_14default_configENS1_20scan_config_selectorIfEEZZNS1_9scan_implILNS1_25lookback_scan_determinismE0ELb0ELb0ES3_N6thrust23THRUST_200600_302600_NS6detail15normal_iteratorINS9_10device_ptrIfEEEENS9_16discard_iteratorINS9_11use_defaultEEEf11max_functorIfEfEEDaPvRmT3_T4_T5_mT6_P12ihipStream_tbENKUlT_T0_E_clISt17integral_constantIbLb1EESX_EEDaSS_ST_EUlSS_E0_NS1_11comp_targetILNS1_3genE2ELNS1_11target_archE906ELNS1_3gpuE6ELNS1_3repE0EEENS1_30default_config_static_selectorELNS0_4arch9wavefront6targetE1EEEvT1_,@function
_ZN7rocprim17ROCPRIM_400000_NS6detail17trampoline_kernelINS0_14default_configENS1_20scan_config_selectorIfEEZZNS1_9scan_implILNS1_25lookback_scan_determinismE0ELb0ELb0ES3_N6thrust23THRUST_200600_302600_NS6detail15normal_iteratorINS9_10device_ptrIfEEEENS9_16discard_iteratorINS9_11use_defaultEEEf11max_functorIfEfEEDaPvRmT3_T4_T5_mT6_P12ihipStream_tbENKUlT_T0_E_clISt17integral_constantIbLb1EESX_EEDaSS_ST_EUlSS_E0_NS1_11comp_targetILNS1_3genE2ELNS1_11target_archE906ELNS1_3gpuE6ELNS1_3repE0EEENS1_30default_config_static_selectorELNS0_4arch9wavefront6targetE1EEEvT1_: ; @_ZN7rocprim17ROCPRIM_400000_NS6detail17trampoline_kernelINS0_14default_configENS1_20scan_config_selectorIfEEZZNS1_9scan_implILNS1_25lookback_scan_determinismE0ELb0ELb0ES3_N6thrust23THRUST_200600_302600_NS6detail15normal_iteratorINS9_10device_ptrIfEEEENS9_16discard_iteratorINS9_11use_defaultEEEf11max_functorIfEfEEDaPvRmT3_T4_T5_mT6_P12ihipStream_tbENKUlT_T0_E_clISt17integral_constantIbLb1EESX_EEDaSS_ST_EUlSS_E0_NS1_11comp_targetILNS1_3genE2ELNS1_11target_archE906ELNS1_3gpuE6ELNS1_3repE0EEENS1_30default_config_static_selectorELNS0_4arch9wavefront6targetE1EEEvT1_
; %bb.0:
	.section	.rodata,"a",@progbits
	.p2align	6, 0x0
	.amdhsa_kernel _ZN7rocprim17ROCPRIM_400000_NS6detail17trampoline_kernelINS0_14default_configENS1_20scan_config_selectorIfEEZZNS1_9scan_implILNS1_25lookback_scan_determinismE0ELb0ELb0ES3_N6thrust23THRUST_200600_302600_NS6detail15normal_iteratorINS9_10device_ptrIfEEEENS9_16discard_iteratorINS9_11use_defaultEEEf11max_functorIfEfEEDaPvRmT3_T4_T5_mT6_P12ihipStream_tbENKUlT_T0_E_clISt17integral_constantIbLb1EESX_EEDaSS_ST_EUlSS_E0_NS1_11comp_targetILNS1_3genE2ELNS1_11target_archE906ELNS1_3gpuE6ELNS1_3repE0EEENS1_30default_config_static_selectorELNS0_4arch9wavefront6targetE1EEEvT1_
		.amdhsa_group_segment_fixed_size 0
		.amdhsa_private_segment_fixed_size 0
		.amdhsa_kernarg_size 40
		.amdhsa_user_sgpr_count 6
		.amdhsa_user_sgpr_private_segment_buffer 1
		.amdhsa_user_sgpr_dispatch_ptr 0
		.amdhsa_user_sgpr_queue_ptr 0
		.amdhsa_user_sgpr_kernarg_segment_ptr 1
		.amdhsa_user_sgpr_dispatch_id 0
		.amdhsa_user_sgpr_flat_scratch_init 0
		.amdhsa_user_sgpr_kernarg_preload_length 0
		.amdhsa_user_sgpr_kernarg_preload_offset 0
		.amdhsa_user_sgpr_private_segment_size 0
		.amdhsa_uses_dynamic_stack 0
		.amdhsa_system_sgpr_private_segment_wavefront_offset 0
		.amdhsa_system_sgpr_workgroup_id_x 1
		.amdhsa_system_sgpr_workgroup_id_y 0
		.amdhsa_system_sgpr_workgroup_id_z 0
		.amdhsa_system_sgpr_workgroup_info 0
		.amdhsa_system_vgpr_workitem_id 0
		.amdhsa_next_free_vgpr 1
		.amdhsa_next_free_sgpr 0
		.amdhsa_accum_offset 4
		.amdhsa_reserve_vcc 0
		.amdhsa_reserve_flat_scratch 0
		.amdhsa_float_round_mode_32 0
		.amdhsa_float_round_mode_16_64 0
		.amdhsa_float_denorm_mode_32 3
		.amdhsa_float_denorm_mode_16_64 3
		.amdhsa_dx10_clamp 1
		.amdhsa_ieee_mode 1
		.amdhsa_fp16_overflow 0
		.amdhsa_tg_split 0
		.amdhsa_exception_fp_ieee_invalid_op 0
		.amdhsa_exception_fp_denorm_src 0
		.amdhsa_exception_fp_ieee_div_zero 0
		.amdhsa_exception_fp_ieee_overflow 0
		.amdhsa_exception_fp_ieee_underflow 0
		.amdhsa_exception_fp_ieee_inexact 0
		.amdhsa_exception_int_div_zero 0
	.end_amdhsa_kernel
	.section	.text._ZN7rocprim17ROCPRIM_400000_NS6detail17trampoline_kernelINS0_14default_configENS1_20scan_config_selectorIfEEZZNS1_9scan_implILNS1_25lookback_scan_determinismE0ELb0ELb0ES3_N6thrust23THRUST_200600_302600_NS6detail15normal_iteratorINS9_10device_ptrIfEEEENS9_16discard_iteratorINS9_11use_defaultEEEf11max_functorIfEfEEDaPvRmT3_T4_T5_mT6_P12ihipStream_tbENKUlT_T0_E_clISt17integral_constantIbLb1EESX_EEDaSS_ST_EUlSS_E0_NS1_11comp_targetILNS1_3genE2ELNS1_11target_archE906ELNS1_3gpuE6ELNS1_3repE0EEENS1_30default_config_static_selectorELNS0_4arch9wavefront6targetE1EEEvT1_,"axG",@progbits,_ZN7rocprim17ROCPRIM_400000_NS6detail17trampoline_kernelINS0_14default_configENS1_20scan_config_selectorIfEEZZNS1_9scan_implILNS1_25lookback_scan_determinismE0ELb0ELb0ES3_N6thrust23THRUST_200600_302600_NS6detail15normal_iteratorINS9_10device_ptrIfEEEENS9_16discard_iteratorINS9_11use_defaultEEEf11max_functorIfEfEEDaPvRmT3_T4_T5_mT6_P12ihipStream_tbENKUlT_T0_E_clISt17integral_constantIbLb1EESX_EEDaSS_ST_EUlSS_E0_NS1_11comp_targetILNS1_3genE2ELNS1_11target_archE906ELNS1_3gpuE6ELNS1_3repE0EEENS1_30default_config_static_selectorELNS0_4arch9wavefront6targetE1EEEvT1_,comdat
.Lfunc_end3165:
	.size	_ZN7rocprim17ROCPRIM_400000_NS6detail17trampoline_kernelINS0_14default_configENS1_20scan_config_selectorIfEEZZNS1_9scan_implILNS1_25lookback_scan_determinismE0ELb0ELb0ES3_N6thrust23THRUST_200600_302600_NS6detail15normal_iteratorINS9_10device_ptrIfEEEENS9_16discard_iteratorINS9_11use_defaultEEEf11max_functorIfEfEEDaPvRmT3_T4_T5_mT6_P12ihipStream_tbENKUlT_T0_E_clISt17integral_constantIbLb1EESX_EEDaSS_ST_EUlSS_E0_NS1_11comp_targetILNS1_3genE2ELNS1_11target_archE906ELNS1_3gpuE6ELNS1_3repE0EEENS1_30default_config_static_selectorELNS0_4arch9wavefront6targetE1EEEvT1_, .Lfunc_end3165-_ZN7rocprim17ROCPRIM_400000_NS6detail17trampoline_kernelINS0_14default_configENS1_20scan_config_selectorIfEEZZNS1_9scan_implILNS1_25lookback_scan_determinismE0ELb0ELb0ES3_N6thrust23THRUST_200600_302600_NS6detail15normal_iteratorINS9_10device_ptrIfEEEENS9_16discard_iteratorINS9_11use_defaultEEEf11max_functorIfEfEEDaPvRmT3_T4_T5_mT6_P12ihipStream_tbENKUlT_T0_E_clISt17integral_constantIbLb1EESX_EEDaSS_ST_EUlSS_E0_NS1_11comp_targetILNS1_3genE2ELNS1_11target_archE906ELNS1_3gpuE6ELNS1_3repE0EEENS1_30default_config_static_selectorELNS0_4arch9wavefront6targetE1EEEvT1_
                                        ; -- End function
	.section	.AMDGPU.csdata,"",@progbits
; Kernel info:
; codeLenInByte = 0
; NumSgprs: 4
; NumVgprs: 0
; NumAgprs: 0
; TotalNumVgprs: 0
; ScratchSize: 0
; MemoryBound: 0
; FloatMode: 240
; IeeeMode: 1
; LDSByteSize: 0 bytes/workgroup (compile time only)
; SGPRBlocks: 0
; VGPRBlocks: 0
; NumSGPRsForWavesPerEU: 4
; NumVGPRsForWavesPerEU: 1
; AccumOffset: 4
; Occupancy: 8
; WaveLimiterHint : 0
; COMPUTE_PGM_RSRC2:SCRATCH_EN: 0
; COMPUTE_PGM_RSRC2:USER_SGPR: 6
; COMPUTE_PGM_RSRC2:TRAP_HANDLER: 0
; COMPUTE_PGM_RSRC2:TGID_X_EN: 1
; COMPUTE_PGM_RSRC2:TGID_Y_EN: 0
; COMPUTE_PGM_RSRC2:TGID_Z_EN: 0
; COMPUTE_PGM_RSRC2:TIDIG_COMP_CNT: 0
; COMPUTE_PGM_RSRC3_GFX90A:ACCUM_OFFSET: 0
; COMPUTE_PGM_RSRC3_GFX90A:TG_SPLIT: 0
	.section	.text._ZN7rocprim17ROCPRIM_400000_NS6detail17trampoline_kernelINS0_14default_configENS1_20scan_config_selectorIfEEZZNS1_9scan_implILNS1_25lookback_scan_determinismE0ELb0ELb0ES3_N6thrust23THRUST_200600_302600_NS6detail15normal_iteratorINS9_10device_ptrIfEEEENS9_16discard_iteratorINS9_11use_defaultEEEf11max_functorIfEfEEDaPvRmT3_T4_T5_mT6_P12ihipStream_tbENKUlT_T0_E_clISt17integral_constantIbLb1EESX_EEDaSS_ST_EUlSS_E0_NS1_11comp_targetILNS1_3genE10ELNS1_11target_archE1201ELNS1_3gpuE5ELNS1_3repE0EEENS1_30default_config_static_selectorELNS0_4arch9wavefront6targetE1EEEvT1_,"axG",@progbits,_ZN7rocprim17ROCPRIM_400000_NS6detail17trampoline_kernelINS0_14default_configENS1_20scan_config_selectorIfEEZZNS1_9scan_implILNS1_25lookback_scan_determinismE0ELb0ELb0ES3_N6thrust23THRUST_200600_302600_NS6detail15normal_iteratorINS9_10device_ptrIfEEEENS9_16discard_iteratorINS9_11use_defaultEEEf11max_functorIfEfEEDaPvRmT3_T4_T5_mT6_P12ihipStream_tbENKUlT_T0_E_clISt17integral_constantIbLb1EESX_EEDaSS_ST_EUlSS_E0_NS1_11comp_targetILNS1_3genE10ELNS1_11target_archE1201ELNS1_3gpuE5ELNS1_3repE0EEENS1_30default_config_static_selectorELNS0_4arch9wavefront6targetE1EEEvT1_,comdat
	.protected	_ZN7rocprim17ROCPRIM_400000_NS6detail17trampoline_kernelINS0_14default_configENS1_20scan_config_selectorIfEEZZNS1_9scan_implILNS1_25lookback_scan_determinismE0ELb0ELb0ES3_N6thrust23THRUST_200600_302600_NS6detail15normal_iteratorINS9_10device_ptrIfEEEENS9_16discard_iteratorINS9_11use_defaultEEEf11max_functorIfEfEEDaPvRmT3_T4_T5_mT6_P12ihipStream_tbENKUlT_T0_E_clISt17integral_constantIbLb1EESX_EEDaSS_ST_EUlSS_E0_NS1_11comp_targetILNS1_3genE10ELNS1_11target_archE1201ELNS1_3gpuE5ELNS1_3repE0EEENS1_30default_config_static_selectorELNS0_4arch9wavefront6targetE1EEEvT1_ ; -- Begin function _ZN7rocprim17ROCPRIM_400000_NS6detail17trampoline_kernelINS0_14default_configENS1_20scan_config_selectorIfEEZZNS1_9scan_implILNS1_25lookback_scan_determinismE0ELb0ELb0ES3_N6thrust23THRUST_200600_302600_NS6detail15normal_iteratorINS9_10device_ptrIfEEEENS9_16discard_iteratorINS9_11use_defaultEEEf11max_functorIfEfEEDaPvRmT3_T4_T5_mT6_P12ihipStream_tbENKUlT_T0_E_clISt17integral_constantIbLb1EESX_EEDaSS_ST_EUlSS_E0_NS1_11comp_targetILNS1_3genE10ELNS1_11target_archE1201ELNS1_3gpuE5ELNS1_3repE0EEENS1_30default_config_static_selectorELNS0_4arch9wavefront6targetE1EEEvT1_
	.globl	_ZN7rocprim17ROCPRIM_400000_NS6detail17trampoline_kernelINS0_14default_configENS1_20scan_config_selectorIfEEZZNS1_9scan_implILNS1_25lookback_scan_determinismE0ELb0ELb0ES3_N6thrust23THRUST_200600_302600_NS6detail15normal_iteratorINS9_10device_ptrIfEEEENS9_16discard_iteratorINS9_11use_defaultEEEf11max_functorIfEfEEDaPvRmT3_T4_T5_mT6_P12ihipStream_tbENKUlT_T0_E_clISt17integral_constantIbLb1EESX_EEDaSS_ST_EUlSS_E0_NS1_11comp_targetILNS1_3genE10ELNS1_11target_archE1201ELNS1_3gpuE5ELNS1_3repE0EEENS1_30default_config_static_selectorELNS0_4arch9wavefront6targetE1EEEvT1_
	.p2align	8
	.type	_ZN7rocprim17ROCPRIM_400000_NS6detail17trampoline_kernelINS0_14default_configENS1_20scan_config_selectorIfEEZZNS1_9scan_implILNS1_25lookback_scan_determinismE0ELb0ELb0ES3_N6thrust23THRUST_200600_302600_NS6detail15normal_iteratorINS9_10device_ptrIfEEEENS9_16discard_iteratorINS9_11use_defaultEEEf11max_functorIfEfEEDaPvRmT3_T4_T5_mT6_P12ihipStream_tbENKUlT_T0_E_clISt17integral_constantIbLb1EESX_EEDaSS_ST_EUlSS_E0_NS1_11comp_targetILNS1_3genE10ELNS1_11target_archE1201ELNS1_3gpuE5ELNS1_3repE0EEENS1_30default_config_static_selectorELNS0_4arch9wavefront6targetE1EEEvT1_,@function
_ZN7rocprim17ROCPRIM_400000_NS6detail17trampoline_kernelINS0_14default_configENS1_20scan_config_selectorIfEEZZNS1_9scan_implILNS1_25lookback_scan_determinismE0ELb0ELb0ES3_N6thrust23THRUST_200600_302600_NS6detail15normal_iteratorINS9_10device_ptrIfEEEENS9_16discard_iteratorINS9_11use_defaultEEEf11max_functorIfEfEEDaPvRmT3_T4_T5_mT6_P12ihipStream_tbENKUlT_T0_E_clISt17integral_constantIbLb1EESX_EEDaSS_ST_EUlSS_E0_NS1_11comp_targetILNS1_3genE10ELNS1_11target_archE1201ELNS1_3gpuE5ELNS1_3repE0EEENS1_30default_config_static_selectorELNS0_4arch9wavefront6targetE1EEEvT1_: ; @_ZN7rocprim17ROCPRIM_400000_NS6detail17trampoline_kernelINS0_14default_configENS1_20scan_config_selectorIfEEZZNS1_9scan_implILNS1_25lookback_scan_determinismE0ELb0ELb0ES3_N6thrust23THRUST_200600_302600_NS6detail15normal_iteratorINS9_10device_ptrIfEEEENS9_16discard_iteratorINS9_11use_defaultEEEf11max_functorIfEfEEDaPvRmT3_T4_T5_mT6_P12ihipStream_tbENKUlT_T0_E_clISt17integral_constantIbLb1EESX_EEDaSS_ST_EUlSS_E0_NS1_11comp_targetILNS1_3genE10ELNS1_11target_archE1201ELNS1_3gpuE5ELNS1_3repE0EEENS1_30default_config_static_selectorELNS0_4arch9wavefront6targetE1EEEvT1_
; %bb.0:
	.section	.rodata,"a",@progbits
	.p2align	6, 0x0
	.amdhsa_kernel _ZN7rocprim17ROCPRIM_400000_NS6detail17trampoline_kernelINS0_14default_configENS1_20scan_config_selectorIfEEZZNS1_9scan_implILNS1_25lookback_scan_determinismE0ELb0ELb0ES3_N6thrust23THRUST_200600_302600_NS6detail15normal_iteratorINS9_10device_ptrIfEEEENS9_16discard_iteratorINS9_11use_defaultEEEf11max_functorIfEfEEDaPvRmT3_T4_T5_mT6_P12ihipStream_tbENKUlT_T0_E_clISt17integral_constantIbLb1EESX_EEDaSS_ST_EUlSS_E0_NS1_11comp_targetILNS1_3genE10ELNS1_11target_archE1201ELNS1_3gpuE5ELNS1_3repE0EEENS1_30default_config_static_selectorELNS0_4arch9wavefront6targetE1EEEvT1_
		.amdhsa_group_segment_fixed_size 0
		.amdhsa_private_segment_fixed_size 0
		.amdhsa_kernarg_size 40
		.amdhsa_user_sgpr_count 6
		.amdhsa_user_sgpr_private_segment_buffer 1
		.amdhsa_user_sgpr_dispatch_ptr 0
		.amdhsa_user_sgpr_queue_ptr 0
		.amdhsa_user_sgpr_kernarg_segment_ptr 1
		.amdhsa_user_sgpr_dispatch_id 0
		.amdhsa_user_sgpr_flat_scratch_init 0
		.amdhsa_user_sgpr_kernarg_preload_length 0
		.amdhsa_user_sgpr_kernarg_preload_offset 0
		.amdhsa_user_sgpr_private_segment_size 0
		.amdhsa_uses_dynamic_stack 0
		.amdhsa_system_sgpr_private_segment_wavefront_offset 0
		.amdhsa_system_sgpr_workgroup_id_x 1
		.amdhsa_system_sgpr_workgroup_id_y 0
		.amdhsa_system_sgpr_workgroup_id_z 0
		.amdhsa_system_sgpr_workgroup_info 0
		.amdhsa_system_vgpr_workitem_id 0
		.amdhsa_next_free_vgpr 1
		.amdhsa_next_free_sgpr 0
		.amdhsa_accum_offset 4
		.amdhsa_reserve_vcc 0
		.amdhsa_reserve_flat_scratch 0
		.amdhsa_float_round_mode_32 0
		.amdhsa_float_round_mode_16_64 0
		.amdhsa_float_denorm_mode_32 3
		.amdhsa_float_denorm_mode_16_64 3
		.amdhsa_dx10_clamp 1
		.amdhsa_ieee_mode 1
		.amdhsa_fp16_overflow 0
		.amdhsa_tg_split 0
		.amdhsa_exception_fp_ieee_invalid_op 0
		.amdhsa_exception_fp_denorm_src 0
		.amdhsa_exception_fp_ieee_div_zero 0
		.amdhsa_exception_fp_ieee_overflow 0
		.amdhsa_exception_fp_ieee_underflow 0
		.amdhsa_exception_fp_ieee_inexact 0
		.amdhsa_exception_int_div_zero 0
	.end_amdhsa_kernel
	.section	.text._ZN7rocprim17ROCPRIM_400000_NS6detail17trampoline_kernelINS0_14default_configENS1_20scan_config_selectorIfEEZZNS1_9scan_implILNS1_25lookback_scan_determinismE0ELb0ELb0ES3_N6thrust23THRUST_200600_302600_NS6detail15normal_iteratorINS9_10device_ptrIfEEEENS9_16discard_iteratorINS9_11use_defaultEEEf11max_functorIfEfEEDaPvRmT3_T4_T5_mT6_P12ihipStream_tbENKUlT_T0_E_clISt17integral_constantIbLb1EESX_EEDaSS_ST_EUlSS_E0_NS1_11comp_targetILNS1_3genE10ELNS1_11target_archE1201ELNS1_3gpuE5ELNS1_3repE0EEENS1_30default_config_static_selectorELNS0_4arch9wavefront6targetE1EEEvT1_,"axG",@progbits,_ZN7rocprim17ROCPRIM_400000_NS6detail17trampoline_kernelINS0_14default_configENS1_20scan_config_selectorIfEEZZNS1_9scan_implILNS1_25lookback_scan_determinismE0ELb0ELb0ES3_N6thrust23THRUST_200600_302600_NS6detail15normal_iteratorINS9_10device_ptrIfEEEENS9_16discard_iteratorINS9_11use_defaultEEEf11max_functorIfEfEEDaPvRmT3_T4_T5_mT6_P12ihipStream_tbENKUlT_T0_E_clISt17integral_constantIbLb1EESX_EEDaSS_ST_EUlSS_E0_NS1_11comp_targetILNS1_3genE10ELNS1_11target_archE1201ELNS1_3gpuE5ELNS1_3repE0EEENS1_30default_config_static_selectorELNS0_4arch9wavefront6targetE1EEEvT1_,comdat
.Lfunc_end3166:
	.size	_ZN7rocprim17ROCPRIM_400000_NS6detail17trampoline_kernelINS0_14default_configENS1_20scan_config_selectorIfEEZZNS1_9scan_implILNS1_25lookback_scan_determinismE0ELb0ELb0ES3_N6thrust23THRUST_200600_302600_NS6detail15normal_iteratorINS9_10device_ptrIfEEEENS9_16discard_iteratorINS9_11use_defaultEEEf11max_functorIfEfEEDaPvRmT3_T4_T5_mT6_P12ihipStream_tbENKUlT_T0_E_clISt17integral_constantIbLb1EESX_EEDaSS_ST_EUlSS_E0_NS1_11comp_targetILNS1_3genE10ELNS1_11target_archE1201ELNS1_3gpuE5ELNS1_3repE0EEENS1_30default_config_static_selectorELNS0_4arch9wavefront6targetE1EEEvT1_, .Lfunc_end3166-_ZN7rocprim17ROCPRIM_400000_NS6detail17trampoline_kernelINS0_14default_configENS1_20scan_config_selectorIfEEZZNS1_9scan_implILNS1_25lookback_scan_determinismE0ELb0ELb0ES3_N6thrust23THRUST_200600_302600_NS6detail15normal_iteratorINS9_10device_ptrIfEEEENS9_16discard_iteratorINS9_11use_defaultEEEf11max_functorIfEfEEDaPvRmT3_T4_T5_mT6_P12ihipStream_tbENKUlT_T0_E_clISt17integral_constantIbLb1EESX_EEDaSS_ST_EUlSS_E0_NS1_11comp_targetILNS1_3genE10ELNS1_11target_archE1201ELNS1_3gpuE5ELNS1_3repE0EEENS1_30default_config_static_selectorELNS0_4arch9wavefront6targetE1EEEvT1_
                                        ; -- End function
	.section	.AMDGPU.csdata,"",@progbits
; Kernel info:
; codeLenInByte = 0
; NumSgprs: 4
; NumVgprs: 0
; NumAgprs: 0
; TotalNumVgprs: 0
; ScratchSize: 0
; MemoryBound: 0
; FloatMode: 240
; IeeeMode: 1
; LDSByteSize: 0 bytes/workgroup (compile time only)
; SGPRBlocks: 0
; VGPRBlocks: 0
; NumSGPRsForWavesPerEU: 4
; NumVGPRsForWavesPerEU: 1
; AccumOffset: 4
; Occupancy: 8
; WaveLimiterHint : 0
; COMPUTE_PGM_RSRC2:SCRATCH_EN: 0
; COMPUTE_PGM_RSRC2:USER_SGPR: 6
; COMPUTE_PGM_RSRC2:TRAP_HANDLER: 0
; COMPUTE_PGM_RSRC2:TGID_X_EN: 1
; COMPUTE_PGM_RSRC2:TGID_Y_EN: 0
; COMPUTE_PGM_RSRC2:TGID_Z_EN: 0
; COMPUTE_PGM_RSRC2:TIDIG_COMP_CNT: 0
; COMPUTE_PGM_RSRC3_GFX90A:ACCUM_OFFSET: 0
; COMPUTE_PGM_RSRC3_GFX90A:TG_SPLIT: 0
	.section	.text._ZN7rocprim17ROCPRIM_400000_NS6detail17trampoline_kernelINS0_14default_configENS1_20scan_config_selectorIfEEZZNS1_9scan_implILNS1_25lookback_scan_determinismE0ELb0ELb0ES3_N6thrust23THRUST_200600_302600_NS6detail15normal_iteratorINS9_10device_ptrIfEEEENS9_16discard_iteratorINS9_11use_defaultEEEf11max_functorIfEfEEDaPvRmT3_T4_T5_mT6_P12ihipStream_tbENKUlT_T0_E_clISt17integral_constantIbLb1EESX_EEDaSS_ST_EUlSS_E0_NS1_11comp_targetILNS1_3genE10ELNS1_11target_archE1200ELNS1_3gpuE4ELNS1_3repE0EEENS1_30default_config_static_selectorELNS0_4arch9wavefront6targetE1EEEvT1_,"axG",@progbits,_ZN7rocprim17ROCPRIM_400000_NS6detail17trampoline_kernelINS0_14default_configENS1_20scan_config_selectorIfEEZZNS1_9scan_implILNS1_25lookback_scan_determinismE0ELb0ELb0ES3_N6thrust23THRUST_200600_302600_NS6detail15normal_iteratorINS9_10device_ptrIfEEEENS9_16discard_iteratorINS9_11use_defaultEEEf11max_functorIfEfEEDaPvRmT3_T4_T5_mT6_P12ihipStream_tbENKUlT_T0_E_clISt17integral_constantIbLb1EESX_EEDaSS_ST_EUlSS_E0_NS1_11comp_targetILNS1_3genE10ELNS1_11target_archE1200ELNS1_3gpuE4ELNS1_3repE0EEENS1_30default_config_static_selectorELNS0_4arch9wavefront6targetE1EEEvT1_,comdat
	.protected	_ZN7rocprim17ROCPRIM_400000_NS6detail17trampoline_kernelINS0_14default_configENS1_20scan_config_selectorIfEEZZNS1_9scan_implILNS1_25lookback_scan_determinismE0ELb0ELb0ES3_N6thrust23THRUST_200600_302600_NS6detail15normal_iteratorINS9_10device_ptrIfEEEENS9_16discard_iteratorINS9_11use_defaultEEEf11max_functorIfEfEEDaPvRmT3_T4_T5_mT6_P12ihipStream_tbENKUlT_T0_E_clISt17integral_constantIbLb1EESX_EEDaSS_ST_EUlSS_E0_NS1_11comp_targetILNS1_3genE10ELNS1_11target_archE1200ELNS1_3gpuE4ELNS1_3repE0EEENS1_30default_config_static_selectorELNS0_4arch9wavefront6targetE1EEEvT1_ ; -- Begin function _ZN7rocprim17ROCPRIM_400000_NS6detail17trampoline_kernelINS0_14default_configENS1_20scan_config_selectorIfEEZZNS1_9scan_implILNS1_25lookback_scan_determinismE0ELb0ELb0ES3_N6thrust23THRUST_200600_302600_NS6detail15normal_iteratorINS9_10device_ptrIfEEEENS9_16discard_iteratorINS9_11use_defaultEEEf11max_functorIfEfEEDaPvRmT3_T4_T5_mT6_P12ihipStream_tbENKUlT_T0_E_clISt17integral_constantIbLb1EESX_EEDaSS_ST_EUlSS_E0_NS1_11comp_targetILNS1_3genE10ELNS1_11target_archE1200ELNS1_3gpuE4ELNS1_3repE0EEENS1_30default_config_static_selectorELNS0_4arch9wavefront6targetE1EEEvT1_
	.globl	_ZN7rocprim17ROCPRIM_400000_NS6detail17trampoline_kernelINS0_14default_configENS1_20scan_config_selectorIfEEZZNS1_9scan_implILNS1_25lookback_scan_determinismE0ELb0ELb0ES3_N6thrust23THRUST_200600_302600_NS6detail15normal_iteratorINS9_10device_ptrIfEEEENS9_16discard_iteratorINS9_11use_defaultEEEf11max_functorIfEfEEDaPvRmT3_T4_T5_mT6_P12ihipStream_tbENKUlT_T0_E_clISt17integral_constantIbLb1EESX_EEDaSS_ST_EUlSS_E0_NS1_11comp_targetILNS1_3genE10ELNS1_11target_archE1200ELNS1_3gpuE4ELNS1_3repE0EEENS1_30default_config_static_selectorELNS0_4arch9wavefront6targetE1EEEvT1_
	.p2align	8
	.type	_ZN7rocprim17ROCPRIM_400000_NS6detail17trampoline_kernelINS0_14default_configENS1_20scan_config_selectorIfEEZZNS1_9scan_implILNS1_25lookback_scan_determinismE0ELb0ELb0ES3_N6thrust23THRUST_200600_302600_NS6detail15normal_iteratorINS9_10device_ptrIfEEEENS9_16discard_iteratorINS9_11use_defaultEEEf11max_functorIfEfEEDaPvRmT3_T4_T5_mT6_P12ihipStream_tbENKUlT_T0_E_clISt17integral_constantIbLb1EESX_EEDaSS_ST_EUlSS_E0_NS1_11comp_targetILNS1_3genE10ELNS1_11target_archE1200ELNS1_3gpuE4ELNS1_3repE0EEENS1_30default_config_static_selectorELNS0_4arch9wavefront6targetE1EEEvT1_,@function
_ZN7rocprim17ROCPRIM_400000_NS6detail17trampoline_kernelINS0_14default_configENS1_20scan_config_selectorIfEEZZNS1_9scan_implILNS1_25lookback_scan_determinismE0ELb0ELb0ES3_N6thrust23THRUST_200600_302600_NS6detail15normal_iteratorINS9_10device_ptrIfEEEENS9_16discard_iteratorINS9_11use_defaultEEEf11max_functorIfEfEEDaPvRmT3_T4_T5_mT6_P12ihipStream_tbENKUlT_T0_E_clISt17integral_constantIbLb1EESX_EEDaSS_ST_EUlSS_E0_NS1_11comp_targetILNS1_3genE10ELNS1_11target_archE1200ELNS1_3gpuE4ELNS1_3repE0EEENS1_30default_config_static_selectorELNS0_4arch9wavefront6targetE1EEEvT1_: ; @_ZN7rocprim17ROCPRIM_400000_NS6detail17trampoline_kernelINS0_14default_configENS1_20scan_config_selectorIfEEZZNS1_9scan_implILNS1_25lookback_scan_determinismE0ELb0ELb0ES3_N6thrust23THRUST_200600_302600_NS6detail15normal_iteratorINS9_10device_ptrIfEEEENS9_16discard_iteratorINS9_11use_defaultEEEf11max_functorIfEfEEDaPvRmT3_T4_T5_mT6_P12ihipStream_tbENKUlT_T0_E_clISt17integral_constantIbLb1EESX_EEDaSS_ST_EUlSS_E0_NS1_11comp_targetILNS1_3genE10ELNS1_11target_archE1200ELNS1_3gpuE4ELNS1_3repE0EEENS1_30default_config_static_selectorELNS0_4arch9wavefront6targetE1EEEvT1_
; %bb.0:
	.section	.rodata,"a",@progbits
	.p2align	6, 0x0
	.amdhsa_kernel _ZN7rocprim17ROCPRIM_400000_NS6detail17trampoline_kernelINS0_14default_configENS1_20scan_config_selectorIfEEZZNS1_9scan_implILNS1_25lookback_scan_determinismE0ELb0ELb0ES3_N6thrust23THRUST_200600_302600_NS6detail15normal_iteratorINS9_10device_ptrIfEEEENS9_16discard_iteratorINS9_11use_defaultEEEf11max_functorIfEfEEDaPvRmT3_T4_T5_mT6_P12ihipStream_tbENKUlT_T0_E_clISt17integral_constantIbLb1EESX_EEDaSS_ST_EUlSS_E0_NS1_11comp_targetILNS1_3genE10ELNS1_11target_archE1200ELNS1_3gpuE4ELNS1_3repE0EEENS1_30default_config_static_selectorELNS0_4arch9wavefront6targetE1EEEvT1_
		.amdhsa_group_segment_fixed_size 0
		.amdhsa_private_segment_fixed_size 0
		.amdhsa_kernarg_size 40
		.amdhsa_user_sgpr_count 6
		.amdhsa_user_sgpr_private_segment_buffer 1
		.amdhsa_user_sgpr_dispatch_ptr 0
		.amdhsa_user_sgpr_queue_ptr 0
		.amdhsa_user_sgpr_kernarg_segment_ptr 1
		.amdhsa_user_sgpr_dispatch_id 0
		.amdhsa_user_sgpr_flat_scratch_init 0
		.amdhsa_user_sgpr_kernarg_preload_length 0
		.amdhsa_user_sgpr_kernarg_preload_offset 0
		.amdhsa_user_sgpr_private_segment_size 0
		.amdhsa_uses_dynamic_stack 0
		.amdhsa_system_sgpr_private_segment_wavefront_offset 0
		.amdhsa_system_sgpr_workgroup_id_x 1
		.amdhsa_system_sgpr_workgroup_id_y 0
		.amdhsa_system_sgpr_workgroup_id_z 0
		.amdhsa_system_sgpr_workgroup_info 0
		.amdhsa_system_vgpr_workitem_id 0
		.amdhsa_next_free_vgpr 1
		.amdhsa_next_free_sgpr 0
		.amdhsa_accum_offset 4
		.amdhsa_reserve_vcc 0
		.amdhsa_reserve_flat_scratch 0
		.amdhsa_float_round_mode_32 0
		.amdhsa_float_round_mode_16_64 0
		.amdhsa_float_denorm_mode_32 3
		.amdhsa_float_denorm_mode_16_64 3
		.amdhsa_dx10_clamp 1
		.amdhsa_ieee_mode 1
		.amdhsa_fp16_overflow 0
		.amdhsa_tg_split 0
		.amdhsa_exception_fp_ieee_invalid_op 0
		.amdhsa_exception_fp_denorm_src 0
		.amdhsa_exception_fp_ieee_div_zero 0
		.amdhsa_exception_fp_ieee_overflow 0
		.amdhsa_exception_fp_ieee_underflow 0
		.amdhsa_exception_fp_ieee_inexact 0
		.amdhsa_exception_int_div_zero 0
	.end_amdhsa_kernel
	.section	.text._ZN7rocprim17ROCPRIM_400000_NS6detail17trampoline_kernelINS0_14default_configENS1_20scan_config_selectorIfEEZZNS1_9scan_implILNS1_25lookback_scan_determinismE0ELb0ELb0ES3_N6thrust23THRUST_200600_302600_NS6detail15normal_iteratorINS9_10device_ptrIfEEEENS9_16discard_iteratorINS9_11use_defaultEEEf11max_functorIfEfEEDaPvRmT3_T4_T5_mT6_P12ihipStream_tbENKUlT_T0_E_clISt17integral_constantIbLb1EESX_EEDaSS_ST_EUlSS_E0_NS1_11comp_targetILNS1_3genE10ELNS1_11target_archE1200ELNS1_3gpuE4ELNS1_3repE0EEENS1_30default_config_static_selectorELNS0_4arch9wavefront6targetE1EEEvT1_,"axG",@progbits,_ZN7rocprim17ROCPRIM_400000_NS6detail17trampoline_kernelINS0_14default_configENS1_20scan_config_selectorIfEEZZNS1_9scan_implILNS1_25lookback_scan_determinismE0ELb0ELb0ES3_N6thrust23THRUST_200600_302600_NS6detail15normal_iteratorINS9_10device_ptrIfEEEENS9_16discard_iteratorINS9_11use_defaultEEEf11max_functorIfEfEEDaPvRmT3_T4_T5_mT6_P12ihipStream_tbENKUlT_T0_E_clISt17integral_constantIbLb1EESX_EEDaSS_ST_EUlSS_E0_NS1_11comp_targetILNS1_3genE10ELNS1_11target_archE1200ELNS1_3gpuE4ELNS1_3repE0EEENS1_30default_config_static_selectorELNS0_4arch9wavefront6targetE1EEEvT1_,comdat
.Lfunc_end3167:
	.size	_ZN7rocprim17ROCPRIM_400000_NS6detail17trampoline_kernelINS0_14default_configENS1_20scan_config_selectorIfEEZZNS1_9scan_implILNS1_25lookback_scan_determinismE0ELb0ELb0ES3_N6thrust23THRUST_200600_302600_NS6detail15normal_iteratorINS9_10device_ptrIfEEEENS9_16discard_iteratorINS9_11use_defaultEEEf11max_functorIfEfEEDaPvRmT3_T4_T5_mT6_P12ihipStream_tbENKUlT_T0_E_clISt17integral_constantIbLb1EESX_EEDaSS_ST_EUlSS_E0_NS1_11comp_targetILNS1_3genE10ELNS1_11target_archE1200ELNS1_3gpuE4ELNS1_3repE0EEENS1_30default_config_static_selectorELNS0_4arch9wavefront6targetE1EEEvT1_, .Lfunc_end3167-_ZN7rocprim17ROCPRIM_400000_NS6detail17trampoline_kernelINS0_14default_configENS1_20scan_config_selectorIfEEZZNS1_9scan_implILNS1_25lookback_scan_determinismE0ELb0ELb0ES3_N6thrust23THRUST_200600_302600_NS6detail15normal_iteratorINS9_10device_ptrIfEEEENS9_16discard_iteratorINS9_11use_defaultEEEf11max_functorIfEfEEDaPvRmT3_T4_T5_mT6_P12ihipStream_tbENKUlT_T0_E_clISt17integral_constantIbLb1EESX_EEDaSS_ST_EUlSS_E0_NS1_11comp_targetILNS1_3genE10ELNS1_11target_archE1200ELNS1_3gpuE4ELNS1_3repE0EEENS1_30default_config_static_selectorELNS0_4arch9wavefront6targetE1EEEvT1_
                                        ; -- End function
	.section	.AMDGPU.csdata,"",@progbits
; Kernel info:
; codeLenInByte = 0
; NumSgprs: 4
; NumVgprs: 0
; NumAgprs: 0
; TotalNumVgprs: 0
; ScratchSize: 0
; MemoryBound: 0
; FloatMode: 240
; IeeeMode: 1
; LDSByteSize: 0 bytes/workgroup (compile time only)
; SGPRBlocks: 0
; VGPRBlocks: 0
; NumSGPRsForWavesPerEU: 4
; NumVGPRsForWavesPerEU: 1
; AccumOffset: 4
; Occupancy: 8
; WaveLimiterHint : 0
; COMPUTE_PGM_RSRC2:SCRATCH_EN: 0
; COMPUTE_PGM_RSRC2:USER_SGPR: 6
; COMPUTE_PGM_RSRC2:TRAP_HANDLER: 0
; COMPUTE_PGM_RSRC2:TGID_X_EN: 1
; COMPUTE_PGM_RSRC2:TGID_Y_EN: 0
; COMPUTE_PGM_RSRC2:TGID_Z_EN: 0
; COMPUTE_PGM_RSRC2:TIDIG_COMP_CNT: 0
; COMPUTE_PGM_RSRC3_GFX90A:ACCUM_OFFSET: 0
; COMPUTE_PGM_RSRC3_GFX90A:TG_SPLIT: 0
	.section	.text._ZN7rocprim17ROCPRIM_400000_NS6detail17trampoline_kernelINS0_14default_configENS1_20scan_config_selectorIfEEZZNS1_9scan_implILNS1_25lookback_scan_determinismE0ELb0ELb0ES3_N6thrust23THRUST_200600_302600_NS6detail15normal_iteratorINS9_10device_ptrIfEEEENS9_16discard_iteratorINS9_11use_defaultEEEf11max_functorIfEfEEDaPvRmT3_T4_T5_mT6_P12ihipStream_tbENKUlT_T0_E_clISt17integral_constantIbLb1EESX_EEDaSS_ST_EUlSS_E0_NS1_11comp_targetILNS1_3genE9ELNS1_11target_archE1100ELNS1_3gpuE3ELNS1_3repE0EEENS1_30default_config_static_selectorELNS0_4arch9wavefront6targetE1EEEvT1_,"axG",@progbits,_ZN7rocprim17ROCPRIM_400000_NS6detail17trampoline_kernelINS0_14default_configENS1_20scan_config_selectorIfEEZZNS1_9scan_implILNS1_25lookback_scan_determinismE0ELb0ELb0ES3_N6thrust23THRUST_200600_302600_NS6detail15normal_iteratorINS9_10device_ptrIfEEEENS9_16discard_iteratorINS9_11use_defaultEEEf11max_functorIfEfEEDaPvRmT3_T4_T5_mT6_P12ihipStream_tbENKUlT_T0_E_clISt17integral_constantIbLb1EESX_EEDaSS_ST_EUlSS_E0_NS1_11comp_targetILNS1_3genE9ELNS1_11target_archE1100ELNS1_3gpuE3ELNS1_3repE0EEENS1_30default_config_static_selectorELNS0_4arch9wavefront6targetE1EEEvT1_,comdat
	.protected	_ZN7rocprim17ROCPRIM_400000_NS6detail17trampoline_kernelINS0_14default_configENS1_20scan_config_selectorIfEEZZNS1_9scan_implILNS1_25lookback_scan_determinismE0ELb0ELb0ES3_N6thrust23THRUST_200600_302600_NS6detail15normal_iteratorINS9_10device_ptrIfEEEENS9_16discard_iteratorINS9_11use_defaultEEEf11max_functorIfEfEEDaPvRmT3_T4_T5_mT6_P12ihipStream_tbENKUlT_T0_E_clISt17integral_constantIbLb1EESX_EEDaSS_ST_EUlSS_E0_NS1_11comp_targetILNS1_3genE9ELNS1_11target_archE1100ELNS1_3gpuE3ELNS1_3repE0EEENS1_30default_config_static_selectorELNS0_4arch9wavefront6targetE1EEEvT1_ ; -- Begin function _ZN7rocprim17ROCPRIM_400000_NS6detail17trampoline_kernelINS0_14default_configENS1_20scan_config_selectorIfEEZZNS1_9scan_implILNS1_25lookback_scan_determinismE0ELb0ELb0ES3_N6thrust23THRUST_200600_302600_NS6detail15normal_iteratorINS9_10device_ptrIfEEEENS9_16discard_iteratorINS9_11use_defaultEEEf11max_functorIfEfEEDaPvRmT3_T4_T5_mT6_P12ihipStream_tbENKUlT_T0_E_clISt17integral_constantIbLb1EESX_EEDaSS_ST_EUlSS_E0_NS1_11comp_targetILNS1_3genE9ELNS1_11target_archE1100ELNS1_3gpuE3ELNS1_3repE0EEENS1_30default_config_static_selectorELNS0_4arch9wavefront6targetE1EEEvT1_
	.globl	_ZN7rocprim17ROCPRIM_400000_NS6detail17trampoline_kernelINS0_14default_configENS1_20scan_config_selectorIfEEZZNS1_9scan_implILNS1_25lookback_scan_determinismE0ELb0ELb0ES3_N6thrust23THRUST_200600_302600_NS6detail15normal_iteratorINS9_10device_ptrIfEEEENS9_16discard_iteratorINS9_11use_defaultEEEf11max_functorIfEfEEDaPvRmT3_T4_T5_mT6_P12ihipStream_tbENKUlT_T0_E_clISt17integral_constantIbLb1EESX_EEDaSS_ST_EUlSS_E0_NS1_11comp_targetILNS1_3genE9ELNS1_11target_archE1100ELNS1_3gpuE3ELNS1_3repE0EEENS1_30default_config_static_selectorELNS0_4arch9wavefront6targetE1EEEvT1_
	.p2align	8
	.type	_ZN7rocprim17ROCPRIM_400000_NS6detail17trampoline_kernelINS0_14default_configENS1_20scan_config_selectorIfEEZZNS1_9scan_implILNS1_25lookback_scan_determinismE0ELb0ELb0ES3_N6thrust23THRUST_200600_302600_NS6detail15normal_iteratorINS9_10device_ptrIfEEEENS9_16discard_iteratorINS9_11use_defaultEEEf11max_functorIfEfEEDaPvRmT3_T4_T5_mT6_P12ihipStream_tbENKUlT_T0_E_clISt17integral_constantIbLb1EESX_EEDaSS_ST_EUlSS_E0_NS1_11comp_targetILNS1_3genE9ELNS1_11target_archE1100ELNS1_3gpuE3ELNS1_3repE0EEENS1_30default_config_static_selectorELNS0_4arch9wavefront6targetE1EEEvT1_,@function
_ZN7rocprim17ROCPRIM_400000_NS6detail17trampoline_kernelINS0_14default_configENS1_20scan_config_selectorIfEEZZNS1_9scan_implILNS1_25lookback_scan_determinismE0ELb0ELb0ES3_N6thrust23THRUST_200600_302600_NS6detail15normal_iteratorINS9_10device_ptrIfEEEENS9_16discard_iteratorINS9_11use_defaultEEEf11max_functorIfEfEEDaPvRmT3_T4_T5_mT6_P12ihipStream_tbENKUlT_T0_E_clISt17integral_constantIbLb1EESX_EEDaSS_ST_EUlSS_E0_NS1_11comp_targetILNS1_3genE9ELNS1_11target_archE1100ELNS1_3gpuE3ELNS1_3repE0EEENS1_30default_config_static_selectorELNS0_4arch9wavefront6targetE1EEEvT1_: ; @_ZN7rocprim17ROCPRIM_400000_NS6detail17trampoline_kernelINS0_14default_configENS1_20scan_config_selectorIfEEZZNS1_9scan_implILNS1_25lookback_scan_determinismE0ELb0ELb0ES3_N6thrust23THRUST_200600_302600_NS6detail15normal_iteratorINS9_10device_ptrIfEEEENS9_16discard_iteratorINS9_11use_defaultEEEf11max_functorIfEfEEDaPvRmT3_T4_T5_mT6_P12ihipStream_tbENKUlT_T0_E_clISt17integral_constantIbLb1EESX_EEDaSS_ST_EUlSS_E0_NS1_11comp_targetILNS1_3genE9ELNS1_11target_archE1100ELNS1_3gpuE3ELNS1_3repE0EEENS1_30default_config_static_selectorELNS0_4arch9wavefront6targetE1EEEvT1_
; %bb.0:
	.section	.rodata,"a",@progbits
	.p2align	6, 0x0
	.amdhsa_kernel _ZN7rocprim17ROCPRIM_400000_NS6detail17trampoline_kernelINS0_14default_configENS1_20scan_config_selectorIfEEZZNS1_9scan_implILNS1_25lookback_scan_determinismE0ELb0ELb0ES3_N6thrust23THRUST_200600_302600_NS6detail15normal_iteratorINS9_10device_ptrIfEEEENS9_16discard_iteratorINS9_11use_defaultEEEf11max_functorIfEfEEDaPvRmT3_T4_T5_mT6_P12ihipStream_tbENKUlT_T0_E_clISt17integral_constantIbLb1EESX_EEDaSS_ST_EUlSS_E0_NS1_11comp_targetILNS1_3genE9ELNS1_11target_archE1100ELNS1_3gpuE3ELNS1_3repE0EEENS1_30default_config_static_selectorELNS0_4arch9wavefront6targetE1EEEvT1_
		.amdhsa_group_segment_fixed_size 0
		.amdhsa_private_segment_fixed_size 0
		.amdhsa_kernarg_size 40
		.amdhsa_user_sgpr_count 6
		.amdhsa_user_sgpr_private_segment_buffer 1
		.amdhsa_user_sgpr_dispatch_ptr 0
		.amdhsa_user_sgpr_queue_ptr 0
		.amdhsa_user_sgpr_kernarg_segment_ptr 1
		.amdhsa_user_sgpr_dispatch_id 0
		.amdhsa_user_sgpr_flat_scratch_init 0
		.amdhsa_user_sgpr_kernarg_preload_length 0
		.amdhsa_user_sgpr_kernarg_preload_offset 0
		.amdhsa_user_sgpr_private_segment_size 0
		.amdhsa_uses_dynamic_stack 0
		.amdhsa_system_sgpr_private_segment_wavefront_offset 0
		.amdhsa_system_sgpr_workgroup_id_x 1
		.amdhsa_system_sgpr_workgroup_id_y 0
		.amdhsa_system_sgpr_workgroup_id_z 0
		.amdhsa_system_sgpr_workgroup_info 0
		.amdhsa_system_vgpr_workitem_id 0
		.amdhsa_next_free_vgpr 1
		.amdhsa_next_free_sgpr 0
		.amdhsa_accum_offset 4
		.amdhsa_reserve_vcc 0
		.amdhsa_reserve_flat_scratch 0
		.amdhsa_float_round_mode_32 0
		.amdhsa_float_round_mode_16_64 0
		.amdhsa_float_denorm_mode_32 3
		.amdhsa_float_denorm_mode_16_64 3
		.amdhsa_dx10_clamp 1
		.amdhsa_ieee_mode 1
		.amdhsa_fp16_overflow 0
		.amdhsa_tg_split 0
		.amdhsa_exception_fp_ieee_invalid_op 0
		.amdhsa_exception_fp_denorm_src 0
		.amdhsa_exception_fp_ieee_div_zero 0
		.amdhsa_exception_fp_ieee_overflow 0
		.amdhsa_exception_fp_ieee_underflow 0
		.amdhsa_exception_fp_ieee_inexact 0
		.amdhsa_exception_int_div_zero 0
	.end_amdhsa_kernel
	.section	.text._ZN7rocprim17ROCPRIM_400000_NS6detail17trampoline_kernelINS0_14default_configENS1_20scan_config_selectorIfEEZZNS1_9scan_implILNS1_25lookback_scan_determinismE0ELb0ELb0ES3_N6thrust23THRUST_200600_302600_NS6detail15normal_iteratorINS9_10device_ptrIfEEEENS9_16discard_iteratorINS9_11use_defaultEEEf11max_functorIfEfEEDaPvRmT3_T4_T5_mT6_P12ihipStream_tbENKUlT_T0_E_clISt17integral_constantIbLb1EESX_EEDaSS_ST_EUlSS_E0_NS1_11comp_targetILNS1_3genE9ELNS1_11target_archE1100ELNS1_3gpuE3ELNS1_3repE0EEENS1_30default_config_static_selectorELNS0_4arch9wavefront6targetE1EEEvT1_,"axG",@progbits,_ZN7rocprim17ROCPRIM_400000_NS6detail17trampoline_kernelINS0_14default_configENS1_20scan_config_selectorIfEEZZNS1_9scan_implILNS1_25lookback_scan_determinismE0ELb0ELb0ES3_N6thrust23THRUST_200600_302600_NS6detail15normal_iteratorINS9_10device_ptrIfEEEENS9_16discard_iteratorINS9_11use_defaultEEEf11max_functorIfEfEEDaPvRmT3_T4_T5_mT6_P12ihipStream_tbENKUlT_T0_E_clISt17integral_constantIbLb1EESX_EEDaSS_ST_EUlSS_E0_NS1_11comp_targetILNS1_3genE9ELNS1_11target_archE1100ELNS1_3gpuE3ELNS1_3repE0EEENS1_30default_config_static_selectorELNS0_4arch9wavefront6targetE1EEEvT1_,comdat
.Lfunc_end3168:
	.size	_ZN7rocprim17ROCPRIM_400000_NS6detail17trampoline_kernelINS0_14default_configENS1_20scan_config_selectorIfEEZZNS1_9scan_implILNS1_25lookback_scan_determinismE0ELb0ELb0ES3_N6thrust23THRUST_200600_302600_NS6detail15normal_iteratorINS9_10device_ptrIfEEEENS9_16discard_iteratorINS9_11use_defaultEEEf11max_functorIfEfEEDaPvRmT3_T4_T5_mT6_P12ihipStream_tbENKUlT_T0_E_clISt17integral_constantIbLb1EESX_EEDaSS_ST_EUlSS_E0_NS1_11comp_targetILNS1_3genE9ELNS1_11target_archE1100ELNS1_3gpuE3ELNS1_3repE0EEENS1_30default_config_static_selectorELNS0_4arch9wavefront6targetE1EEEvT1_, .Lfunc_end3168-_ZN7rocprim17ROCPRIM_400000_NS6detail17trampoline_kernelINS0_14default_configENS1_20scan_config_selectorIfEEZZNS1_9scan_implILNS1_25lookback_scan_determinismE0ELb0ELb0ES3_N6thrust23THRUST_200600_302600_NS6detail15normal_iteratorINS9_10device_ptrIfEEEENS9_16discard_iteratorINS9_11use_defaultEEEf11max_functorIfEfEEDaPvRmT3_T4_T5_mT6_P12ihipStream_tbENKUlT_T0_E_clISt17integral_constantIbLb1EESX_EEDaSS_ST_EUlSS_E0_NS1_11comp_targetILNS1_3genE9ELNS1_11target_archE1100ELNS1_3gpuE3ELNS1_3repE0EEENS1_30default_config_static_selectorELNS0_4arch9wavefront6targetE1EEEvT1_
                                        ; -- End function
	.section	.AMDGPU.csdata,"",@progbits
; Kernel info:
; codeLenInByte = 0
; NumSgprs: 4
; NumVgprs: 0
; NumAgprs: 0
; TotalNumVgprs: 0
; ScratchSize: 0
; MemoryBound: 0
; FloatMode: 240
; IeeeMode: 1
; LDSByteSize: 0 bytes/workgroup (compile time only)
; SGPRBlocks: 0
; VGPRBlocks: 0
; NumSGPRsForWavesPerEU: 4
; NumVGPRsForWavesPerEU: 1
; AccumOffset: 4
; Occupancy: 8
; WaveLimiterHint : 0
; COMPUTE_PGM_RSRC2:SCRATCH_EN: 0
; COMPUTE_PGM_RSRC2:USER_SGPR: 6
; COMPUTE_PGM_RSRC2:TRAP_HANDLER: 0
; COMPUTE_PGM_RSRC2:TGID_X_EN: 1
; COMPUTE_PGM_RSRC2:TGID_Y_EN: 0
; COMPUTE_PGM_RSRC2:TGID_Z_EN: 0
; COMPUTE_PGM_RSRC2:TIDIG_COMP_CNT: 0
; COMPUTE_PGM_RSRC3_GFX90A:ACCUM_OFFSET: 0
; COMPUTE_PGM_RSRC3_GFX90A:TG_SPLIT: 0
	.section	.text._ZN7rocprim17ROCPRIM_400000_NS6detail17trampoline_kernelINS0_14default_configENS1_20scan_config_selectorIfEEZZNS1_9scan_implILNS1_25lookback_scan_determinismE0ELb0ELb0ES3_N6thrust23THRUST_200600_302600_NS6detail15normal_iteratorINS9_10device_ptrIfEEEENS9_16discard_iteratorINS9_11use_defaultEEEf11max_functorIfEfEEDaPvRmT3_T4_T5_mT6_P12ihipStream_tbENKUlT_T0_E_clISt17integral_constantIbLb1EESX_EEDaSS_ST_EUlSS_E0_NS1_11comp_targetILNS1_3genE8ELNS1_11target_archE1030ELNS1_3gpuE2ELNS1_3repE0EEENS1_30default_config_static_selectorELNS0_4arch9wavefront6targetE1EEEvT1_,"axG",@progbits,_ZN7rocprim17ROCPRIM_400000_NS6detail17trampoline_kernelINS0_14default_configENS1_20scan_config_selectorIfEEZZNS1_9scan_implILNS1_25lookback_scan_determinismE0ELb0ELb0ES3_N6thrust23THRUST_200600_302600_NS6detail15normal_iteratorINS9_10device_ptrIfEEEENS9_16discard_iteratorINS9_11use_defaultEEEf11max_functorIfEfEEDaPvRmT3_T4_T5_mT6_P12ihipStream_tbENKUlT_T0_E_clISt17integral_constantIbLb1EESX_EEDaSS_ST_EUlSS_E0_NS1_11comp_targetILNS1_3genE8ELNS1_11target_archE1030ELNS1_3gpuE2ELNS1_3repE0EEENS1_30default_config_static_selectorELNS0_4arch9wavefront6targetE1EEEvT1_,comdat
	.protected	_ZN7rocprim17ROCPRIM_400000_NS6detail17trampoline_kernelINS0_14default_configENS1_20scan_config_selectorIfEEZZNS1_9scan_implILNS1_25lookback_scan_determinismE0ELb0ELb0ES3_N6thrust23THRUST_200600_302600_NS6detail15normal_iteratorINS9_10device_ptrIfEEEENS9_16discard_iteratorINS9_11use_defaultEEEf11max_functorIfEfEEDaPvRmT3_T4_T5_mT6_P12ihipStream_tbENKUlT_T0_E_clISt17integral_constantIbLb1EESX_EEDaSS_ST_EUlSS_E0_NS1_11comp_targetILNS1_3genE8ELNS1_11target_archE1030ELNS1_3gpuE2ELNS1_3repE0EEENS1_30default_config_static_selectorELNS0_4arch9wavefront6targetE1EEEvT1_ ; -- Begin function _ZN7rocprim17ROCPRIM_400000_NS6detail17trampoline_kernelINS0_14default_configENS1_20scan_config_selectorIfEEZZNS1_9scan_implILNS1_25lookback_scan_determinismE0ELb0ELb0ES3_N6thrust23THRUST_200600_302600_NS6detail15normal_iteratorINS9_10device_ptrIfEEEENS9_16discard_iteratorINS9_11use_defaultEEEf11max_functorIfEfEEDaPvRmT3_T4_T5_mT6_P12ihipStream_tbENKUlT_T0_E_clISt17integral_constantIbLb1EESX_EEDaSS_ST_EUlSS_E0_NS1_11comp_targetILNS1_3genE8ELNS1_11target_archE1030ELNS1_3gpuE2ELNS1_3repE0EEENS1_30default_config_static_selectorELNS0_4arch9wavefront6targetE1EEEvT1_
	.globl	_ZN7rocprim17ROCPRIM_400000_NS6detail17trampoline_kernelINS0_14default_configENS1_20scan_config_selectorIfEEZZNS1_9scan_implILNS1_25lookback_scan_determinismE0ELb0ELb0ES3_N6thrust23THRUST_200600_302600_NS6detail15normal_iteratorINS9_10device_ptrIfEEEENS9_16discard_iteratorINS9_11use_defaultEEEf11max_functorIfEfEEDaPvRmT3_T4_T5_mT6_P12ihipStream_tbENKUlT_T0_E_clISt17integral_constantIbLb1EESX_EEDaSS_ST_EUlSS_E0_NS1_11comp_targetILNS1_3genE8ELNS1_11target_archE1030ELNS1_3gpuE2ELNS1_3repE0EEENS1_30default_config_static_selectorELNS0_4arch9wavefront6targetE1EEEvT1_
	.p2align	8
	.type	_ZN7rocprim17ROCPRIM_400000_NS6detail17trampoline_kernelINS0_14default_configENS1_20scan_config_selectorIfEEZZNS1_9scan_implILNS1_25lookback_scan_determinismE0ELb0ELb0ES3_N6thrust23THRUST_200600_302600_NS6detail15normal_iteratorINS9_10device_ptrIfEEEENS9_16discard_iteratorINS9_11use_defaultEEEf11max_functorIfEfEEDaPvRmT3_T4_T5_mT6_P12ihipStream_tbENKUlT_T0_E_clISt17integral_constantIbLb1EESX_EEDaSS_ST_EUlSS_E0_NS1_11comp_targetILNS1_3genE8ELNS1_11target_archE1030ELNS1_3gpuE2ELNS1_3repE0EEENS1_30default_config_static_selectorELNS0_4arch9wavefront6targetE1EEEvT1_,@function
_ZN7rocprim17ROCPRIM_400000_NS6detail17trampoline_kernelINS0_14default_configENS1_20scan_config_selectorIfEEZZNS1_9scan_implILNS1_25lookback_scan_determinismE0ELb0ELb0ES3_N6thrust23THRUST_200600_302600_NS6detail15normal_iteratorINS9_10device_ptrIfEEEENS9_16discard_iteratorINS9_11use_defaultEEEf11max_functorIfEfEEDaPvRmT3_T4_T5_mT6_P12ihipStream_tbENKUlT_T0_E_clISt17integral_constantIbLb1EESX_EEDaSS_ST_EUlSS_E0_NS1_11comp_targetILNS1_3genE8ELNS1_11target_archE1030ELNS1_3gpuE2ELNS1_3repE0EEENS1_30default_config_static_selectorELNS0_4arch9wavefront6targetE1EEEvT1_: ; @_ZN7rocprim17ROCPRIM_400000_NS6detail17trampoline_kernelINS0_14default_configENS1_20scan_config_selectorIfEEZZNS1_9scan_implILNS1_25lookback_scan_determinismE0ELb0ELb0ES3_N6thrust23THRUST_200600_302600_NS6detail15normal_iteratorINS9_10device_ptrIfEEEENS9_16discard_iteratorINS9_11use_defaultEEEf11max_functorIfEfEEDaPvRmT3_T4_T5_mT6_P12ihipStream_tbENKUlT_T0_E_clISt17integral_constantIbLb1EESX_EEDaSS_ST_EUlSS_E0_NS1_11comp_targetILNS1_3genE8ELNS1_11target_archE1030ELNS1_3gpuE2ELNS1_3repE0EEENS1_30default_config_static_selectorELNS0_4arch9wavefront6targetE1EEEvT1_
; %bb.0:
	.section	.rodata,"a",@progbits
	.p2align	6, 0x0
	.amdhsa_kernel _ZN7rocprim17ROCPRIM_400000_NS6detail17trampoline_kernelINS0_14default_configENS1_20scan_config_selectorIfEEZZNS1_9scan_implILNS1_25lookback_scan_determinismE0ELb0ELb0ES3_N6thrust23THRUST_200600_302600_NS6detail15normal_iteratorINS9_10device_ptrIfEEEENS9_16discard_iteratorINS9_11use_defaultEEEf11max_functorIfEfEEDaPvRmT3_T4_T5_mT6_P12ihipStream_tbENKUlT_T0_E_clISt17integral_constantIbLb1EESX_EEDaSS_ST_EUlSS_E0_NS1_11comp_targetILNS1_3genE8ELNS1_11target_archE1030ELNS1_3gpuE2ELNS1_3repE0EEENS1_30default_config_static_selectorELNS0_4arch9wavefront6targetE1EEEvT1_
		.amdhsa_group_segment_fixed_size 0
		.amdhsa_private_segment_fixed_size 0
		.amdhsa_kernarg_size 40
		.amdhsa_user_sgpr_count 6
		.amdhsa_user_sgpr_private_segment_buffer 1
		.amdhsa_user_sgpr_dispatch_ptr 0
		.amdhsa_user_sgpr_queue_ptr 0
		.amdhsa_user_sgpr_kernarg_segment_ptr 1
		.amdhsa_user_sgpr_dispatch_id 0
		.amdhsa_user_sgpr_flat_scratch_init 0
		.amdhsa_user_sgpr_kernarg_preload_length 0
		.amdhsa_user_sgpr_kernarg_preload_offset 0
		.amdhsa_user_sgpr_private_segment_size 0
		.amdhsa_uses_dynamic_stack 0
		.amdhsa_system_sgpr_private_segment_wavefront_offset 0
		.amdhsa_system_sgpr_workgroup_id_x 1
		.amdhsa_system_sgpr_workgroup_id_y 0
		.amdhsa_system_sgpr_workgroup_id_z 0
		.amdhsa_system_sgpr_workgroup_info 0
		.amdhsa_system_vgpr_workitem_id 0
		.amdhsa_next_free_vgpr 1
		.amdhsa_next_free_sgpr 0
		.amdhsa_accum_offset 4
		.amdhsa_reserve_vcc 0
		.amdhsa_reserve_flat_scratch 0
		.amdhsa_float_round_mode_32 0
		.amdhsa_float_round_mode_16_64 0
		.amdhsa_float_denorm_mode_32 3
		.amdhsa_float_denorm_mode_16_64 3
		.amdhsa_dx10_clamp 1
		.amdhsa_ieee_mode 1
		.amdhsa_fp16_overflow 0
		.amdhsa_tg_split 0
		.amdhsa_exception_fp_ieee_invalid_op 0
		.amdhsa_exception_fp_denorm_src 0
		.amdhsa_exception_fp_ieee_div_zero 0
		.amdhsa_exception_fp_ieee_overflow 0
		.amdhsa_exception_fp_ieee_underflow 0
		.amdhsa_exception_fp_ieee_inexact 0
		.amdhsa_exception_int_div_zero 0
	.end_amdhsa_kernel
	.section	.text._ZN7rocprim17ROCPRIM_400000_NS6detail17trampoline_kernelINS0_14default_configENS1_20scan_config_selectorIfEEZZNS1_9scan_implILNS1_25lookback_scan_determinismE0ELb0ELb0ES3_N6thrust23THRUST_200600_302600_NS6detail15normal_iteratorINS9_10device_ptrIfEEEENS9_16discard_iteratorINS9_11use_defaultEEEf11max_functorIfEfEEDaPvRmT3_T4_T5_mT6_P12ihipStream_tbENKUlT_T0_E_clISt17integral_constantIbLb1EESX_EEDaSS_ST_EUlSS_E0_NS1_11comp_targetILNS1_3genE8ELNS1_11target_archE1030ELNS1_3gpuE2ELNS1_3repE0EEENS1_30default_config_static_selectorELNS0_4arch9wavefront6targetE1EEEvT1_,"axG",@progbits,_ZN7rocprim17ROCPRIM_400000_NS6detail17trampoline_kernelINS0_14default_configENS1_20scan_config_selectorIfEEZZNS1_9scan_implILNS1_25lookback_scan_determinismE0ELb0ELb0ES3_N6thrust23THRUST_200600_302600_NS6detail15normal_iteratorINS9_10device_ptrIfEEEENS9_16discard_iteratorINS9_11use_defaultEEEf11max_functorIfEfEEDaPvRmT3_T4_T5_mT6_P12ihipStream_tbENKUlT_T0_E_clISt17integral_constantIbLb1EESX_EEDaSS_ST_EUlSS_E0_NS1_11comp_targetILNS1_3genE8ELNS1_11target_archE1030ELNS1_3gpuE2ELNS1_3repE0EEENS1_30default_config_static_selectorELNS0_4arch9wavefront6targetE1EEEvT1_,comdat
.Lfunc_end3169:
	.size	_ZN7rocprim17ROCPRIM_400000_NS6detail17trampoline_kernelINS0_14default_configENS1_20scan_config_selectorIfEEZZNS1_9scan_implILNS1_25lookback_scan_determinismE0ELb0ELb0ES3_N6thrust23THRUST_200600_302600_NS6detail15normal_iteratorINS9_10device_ptrIfEEEENS9_16discard_iteratorINS9_11use_defaultEEEf11max_functorIfEfEEDaPvRmT3_T4_T5_mT6_P12ihipStream_tbENKUlT_T0_E_clISt17integral_constantIbLb1EESX_EEDaSS_ST_EUlSS_E0_NS1_11comp_targetILNS1_3genE8ELNS1_11target_archE1030ELNS1_3gpuE2ELNS1_3repE0EEENS1_30default_config_static_selectorELNS0_4arch9wavefront6targetE1EEEvT1_, .Lfunc_end3169-_ZN7rocprim17ROCPRIM_400000_NS6detail17trampoline_kernelINS0_14default_configENS1_20scan_config_selectorIfEEZZNS1_9scan_implILNS1_25lookback_scan_determinismE0ELb0ELb0ES3_N6thrust23THRUST_200600_302600_NS6detail15normal_iteratorINS9_10device_ptrIfEEEENS9_16discard_iteratorINS9_11use_defaultEEEf11max_functorIfEfEEDaPvRmT3_T4_T5_mT6_P12ihipStream_tbENKUlT_T0_E_clISt17integral_constantIbLb1EESX_EEDaSS_ST_EUlSS_E0_NS1_11comp_targetILNS1_3genE8ELNS1_11target_archE1030ELNS1_3gpuE2ELNS1_3repE0EEENS1_30default_config_static_selectorELNS0_4arch9wavefront6targetE1EEEvT1_
                                        ; -- End function
	.section	.AMDGPU.csdata,"",@progbits
; Kernel info:
; codeLenInByte = 0
; NumSgprs: 4
; NumVgprs: 0
; NumAgprs: 0
; TotalNumVgprs: 0
; ScratchSize: 0
; MemoryBound: 0
; FloatMode: 240
; IeeeMode: 1
; LDSByteSize: 0 bytes/workgroup (compile time only)
; SGPRBlocks: 0
; VGPRBlocks: 0
; NumSGPRsForWavesPerEU: 4
; NumVGPRsForWavesPerEU: 1
; AccumOffset: 4
; Occupancy: 8
; WaveLimiterHint : 0
; COMPUTE_PGM_RSRC2:SCRATCH_EN: 0
; COMPUTE_PGM_RSRC2:USER_SGPR: 6
; COMPUTE_PGM_RSRC2:TRAP_HANDLER: 0
; COMPUTE_PGM_RSRC2:TGID_X_EN: 1
; COMPUTE_PGM_RSRC2:TGID_Y_EN: 0
; COMPUTE_PGM_RSRC2:TGID_Z_EN: 0
; COMPUTE_PGM_RSRC2:TIDIG_COMP_CNT: 0
; COMPUTE_PGM_RSRC3_GFX90A:ACCUM_OFFSET: 0
; COMPUTE_PGM_RSRC3_GFX90A:TG_SPLIT: 0
	.section	.text._ZN7rocprim17ROCPRIM_400000_NS6detail17trampoline_kernelINS0_14default_configENS1_20scan_config_selectorIfEEZZNS1_9scan_implILNS1_25lookback_scan_determinismE0ELb0ELb0ES3_N6thrust23THRUST_200600_302600_NS6detail15normal_iteratorINS9_10device_ptrIfEEEENS9_16discard_iteratorINS9_11use_defaultEEEf11max_functorIfEfEEDaPvRmT3_T4_T5_mT6_P12ihipStream_tbENKUlT_T0_E_clISt17integral_constantIbLb1EESW_IbLb0EEEEDaSS_ST_EUlSS_E_NS1_11comp_targetILNS1_3genE0ELNS1_11target_archE4294967295ELNS1_3gpuE0ELNS1_3repE0EEENS1_30default_config_static_selectorELNS0_4arch9wavefront6targetE1EEEvT1_,"axG",@progbits,_ZN7rocprim17ROCPRIM_400000_NS6detail17trampoline_kernelINS0_14default_configENS1_20scan_config_selectorIfEEZZNS1_9scan_implILNS1_25lookback_scan_determinismE0ELb0ELb0ES3_N6thrust23THRUST_200600_302600_NS6detail15normal_iteratorINS9_10device_ptrIfEEEENS9_16discard_iteratorINS9_11use_defaultEEEf11max_functorIfEfEEDaPvRmT3_T4_T5_mT6_P12ihipStream_tbENKUlT_T0_E_clISt17integral_constantIbLb1EESW_IbLb0EEEEDaSS_ST_EUlSS_E_NS1_11comp_targetILNS1_3genE0ELNS1_11target_archE4294967295ELNS1_3gpuE0ELNS1_3repE0EEENS1_30default_config_static_selectorELNS0_4arch9wavefront6targetE1EEEvT1_,comdat
	.protected	_ZN7rocprim17ROCPRIM_400000_NS6detail17trampoline_kernelINS0_14default_configENS1_20scan_config_selectorIfEEZZNS1_9scan_implILNS1_25lookback_scan_determinismE0ELb0ELb0ES3_N6thrust23THRUST_200600_302600_NS6detail15normal_iteratorINS9_10device_ptrIfEEEENS9_16discard_iteratorINS9_11use_defaultEEEf11max_functorIfEfEEDaPvRmT3_T4_T5_mT6_P12ihipStream_tbENKUlT_T0_E_clISt17integral_constantIbLb1EESW_IbLb0EEEEDaSS_ST_EUlSS_E_NS1_11comp_targetILNS1_3genE0ELNS1_11target_archE4294967295ELNS1_3gpuE0ELNS1_3repE0EEENS1_30default_config_static_selectorELNS0_4arch9wavefront6targetE1EEEvT1_ ; -- Begin function _ZN7rocprim17ROCPRIM_400000_NS6detail17trampoline_kernelINS0_14default_configENS1_20scan_config_selectorIfEEZZNS1_9scan_implILNS1_25lookback_scan_determinismE0ELb0ELb0ES3_N6thrust23THRUST_200600_302600_NS6detail15normal_iteratorINS9_10device_ptrIfEEEENS9_16discard_iteratorINS9_11use_defaultEEEf11max_functorIfEfEEDaPvRmT3_T4_T5_mT6_P12ihipStream_tbENKUlT_T0_E_clISt17integral_constantIbLb1EESW_IbLb0EEEEDaSS_ST_EUlSS_E_NS1_11comp_targetILNS1_3genE0ELNS1_11target_archE4294967295ELNS1_3gpuE0ELNS1_3repE0EEENS1_30default_config_static_selectorELNS0_4arch9wavefront6targetE1EEEvT1_
	.globl	_ZN7rocprim17ROCPRIM_400000_NS6detail17trampoline_kernelINS0_14default_configENS1_20scan_config_selectorIfEEZZNS1_9scan_implILNS1_25lookback_scan_determinismE0ELb0ELb0ES3_N6thrust23THRUST_200600_302600_NS6detail15normal_iteratorINS9_10device_ptrIfEEEENS9_16discard_iteratorINS9_11use_defaultEEEf11max_functorIfEfEEDaPvRmT3_T4_T5_mT6_P12ihipStream_tbENKUlT_T0_E_clISt17integral_constantIbLb1EESW_IbLb0EEEEDaSS_ST_EUlSS_E_NS1_11comp_targetILNS1_3genE0ELNS1_11target_archE4294967295ELNS1_3gpuE0ELNS1_3repE0EEENS1_30default_config_static_selectorELNS0_4arch9wavefront6targetE1EEEvT1_
	.p2align	8
	.type	_ZN7rocprim17ROCPRIM_400000_NS6detail17trampoline_kernelINS0_14default_configENS1_20scan_config_selectorIfEEZZNS1_9scan_implILNS1_25lookback_scan_determinismE0ELb0ELb0ES3_N6thrust23THRUST_200600_302600_NS6detail15normal_iteratorINS9_10device_ptrIfEEEENS9_16discard_iteratorINS9_11use_defaultEEEf11max_functorIfEfEEDaPvRmT3_T4_T5_mT6_P12ihipStream_tbENKUlT_T0_E_clISt17integral_constantIbLb1EESW_IbLb0EEEEDaSS_ST_EUlSS_E_NS1_11comp_targetILNS1_3genE0ELNS1_11target_archE4294967295ELNS1_3gpuE0ELNS1_3repE0EEENS1_30default_config_static_selectorELNS0_4arch9wavefront6targetE1EEEvT1_,@function
_ZN7rocprim17ROCPRIM_400000_NS6detail17trampoline_kernelINS0_14default_configENS1_20scan_config_selectorIfEEZZNS1_9scan_implILNS1_25lookback_scan_determinismE0ELb0ELb0ES3_N6thrust23THRUST_200600_302600_NS6detail15normal_iteratorINS9_10device_ptrIfEEEENS9_16discard_iteratorINS9_11use_defaultEEEf11max_functorIfEfEEDaPvRmT3_T4_T5_mT6_P12ihipStream_tbENKUlT_T0_E_clISt17integral_constantIbLb1EESW_IbLb0EEEEDaSS_ST_EUlSS_E_NS1_11comp_targetILNS1_3genE0ELNS1_11target_archE4294967295ELNS1_3gpuE0ELNS1_3repE0EEENS1_30default_config_static_selectorELNS0_4arch9wavefront6targetE1EEEvT1_: ; @_ZN7rocprim17ROCPRIM_400000_NS6detail17trampoline_kernelINS0_14default_configENS1_20scan_config_selectorIfEEZZNS1_9scan_implILNS1_25lookback_scan_determinismE0ELb0ELb0ES3_N6thrust23THRUST_200600_302600_NS6detail15normal_iteratorINS9_10device_ptrIfEEEENS9_16discard_iteratorINS9_11use_defaultEEEf11max_functorIfEfEEDaPvRmT3_T4_T5_mT6_P12ihipStream_tbENKUlT_T0_E_clISt17integral_constantIbLb1EESW_IbLb0EEEEDaSS_ST_EUlSS_E_NS1_11comp_targetILNS1_3genE0ELNS1_11target_archE4294967295ELNS1_3gpuE0ELNS1_3repE0EEENS1_30default_config_static_selectorELNS0_4arch9wavefront6targetE1EEEvT1_
; %bb.0:
	.section	.rodata,"a",@progbits
	.p2align	6, 0x0
	.amdhsa_kernel _ZN7rocprim17ROCPRIM_400000_NS6detail17trampoline_kernelINS0_14default_configENS1_20scan_config_selectorIfEEZZNS1_9scan_implILNS1_25lookback_scan_determinismE0ELb0ELb0ES3_N6thrust23THRUST_200600_302600_NS6detail15normal_iteratorINS9_10device_ptrIfEEEENS9_16discard_iteratorINS9_11use_defaultEEEf11max_functorIfEfEEDaPvRmT3_T4_T5_mT6_P12ihipStream_tbENKUlT_T0_E_clISt17integral_constantIbLb1EESW_IbLb0EEEEDaSS_ST_EUlSS_E_NS1_11comp_targetILNS1_3genE0ELNS1_11target_archE4294967295ELNS1_3gpuE0ELNS1_3repE0EEENS1_30default_config_static_selectorELNS0_4arch9wavefront6targetE1EEEvT1_
		.amdhsa_group_segment_fixed_size 0
		.amdhsa_private_segment_fixed_size 0
		.amdhsa_kernarg_size 104
		.amdhsa_user_sgpr_count 6
		.amdhsa_user_sgpr_private_segment_buffer 1
		.amdhsa_user_sgpr_dispatch_ptr 0
		.amdhsa_user_sgpr_queue_ptr 0
		.amdhsa_user_sgpr_kernarg_segment_ptr 1
		.amdhsa_user_sgpr_dispatch_id 0
		.amdhsa_user_sgpr_flat_scratch_init 0
		.amdhsa_user_sgpr_kernarg_preload_length 0
		.amdhsa_user_sgpr_kernarg_preload_offset 0
		.amdhsa_user_sgpr_private_segment_size 0
		.amdhsa_uses_dynamic_stack 0
		.amdhsa_system_sgpr_private_segment_wavefront_offset 0
		.amdhsa_system_sgpr_workgroup_id_x 1
		.amdhsa_system_sgpr_workgroup_id_y 0
		.amdhsa_system_sgpr_workgroup_id_z 0
		.amdhsa_system_sgpr_workgroup_info 0
		.amdhsa_system_vgpr_workitem_id 0
		.amdhsa_next_free_vgpr 1
		.amdhsa_next_free_sgpr 0
		.amdhsa_accum_offset 4
		.amdhsa_reserve_vcc 0
		.amdhsa_reserve_flat_scratch 0
		.amdhsa_float_round_mode_32 0
		.amdhsa_float_round_mode_16_64 0
		.amdhsa_float_denorm_mode_32 3
		.amdhsa_float_denorm_mode_16_64 3
		.amdhsa_dx10_clamp 1
		.amdhsa_ieee_mode 1
		.amdhsa_fp16_overflow 0
		.amdhsa_tg_split 0
		.amdhsa_exception_fp_ieee_invalid_op 0
		.amdhsa_exception_fp_denorm_src 0
		.amdhsa_exception_fp_ieee_div_zero 0
		.amdhsa_exception_fp_ieee_overflow 0
		.amdhsa_exception_fp_ieee_underflow 0
		.amdhsa_exception_fp_ieee_inexact 0
		.amdhsa_exception_int_div_zero 0
	.end_amdhsa_kernel
	.section	.text._ZN7rocprim17ROCPRIM_400000_NS6detail17trampoline_kernelINS0_14default_configENS1_20scan_config_selectorIfEEZZNS1_9scan_implILNS1_25lookback_scan_determinismE0ELb0ELb0ES3_N6thrust23THRUST_200600_302600_NS6detail15normal_iteratorINS9_10device_ptrIfEEEENS9_16discard_iteratorINS9_11use_defaultEEEf11max_functorIfEfEEDaPvRmT3_T4_T5_mT6_P12ihipStream_tbENKUlT_T0_E_clISt17integral_constantIbLb1EESW_IbLb0EEEEDaSS_ST_EUlSS_E_NS1_11comp_targetILNS1_3genE0ELNS1_11target_archE4294967295ELNS1_3gpuE0ELNS1_3repE0EEENS1_30default_config_static_selectorELNS0_4arch9wavefront6targetE1EEEvT1_,"axG",@progbits,_ZN7rocprim17ROCPRIM_400000_NS6detail17trampoline_kernelINS0_14default_configENS1_20scan_config_selectorIfEEZZNS1_9scan_implILNS1_25lookback_scan_determinismE0ELb0ELb0ES3_N6thrust23THRUST_200600_302600_NS6detail15normal_iteratorINS9_10device_ptrIfEEEENS9_16discard_iteratorINS9_11use_defaultEEEf11max_functorIfEfEEDaPvRmT3_T4_T5_mT6_P12ihipStream_tbENKUlT_T0_E_clISt17integral_constantIbLb1EESW_IbLb0EEEEDaSS_ST_EUlSS_E_NS1_11comp_targetILNS1_3genE0ELNS1_11target_archE4294967295ELNS1_3gpuE0ELNS1_3repE0EEENS1_30default_config_static_selectorELNS0_4arch9wavefront6targetE1EEEvT1_,comdat
.Lfunc_end3170:
	.size	_ZN7rocprim17ROCPRIM_400000_NS6detail17trampoline_kernelINS0_14default_configENS1_20scan_config_selectorIfEEZZNS1_9scan_implILNS1_25lookback_scan_determinismE0ELb0ELb0ES3_N6thrust23THRUST_200600_302600_NS6detail15normal_iteratorINS9_10device_ptrIfEEEENS9_16discard_iteratorINS9_11use_defaultEEEf11max_functorIfEfEEDaPvRmT3_T4_T5_mT6_P12ihipStream_tbENKUlT_T0_E_clISt17integral_constantIbLb1EESW_IbLb0EEEEDaSS_ST_EUlSS_E_NS1_11comp_targetILNS1_3genE0ELNS1_11target_archE4294967295ELNS1_3gpuE0ELNS1_3repE0EEENS1_30default_config_static_selectorELNS0_4arch9wavefront6targetE1EEEvT1_, .Lfunc_end3170-_ZN7rocprim17ROCPRIM_400000_NS6detail17trampoline_kernelINS0_14default_configENS1_20scan_config_selectorIfEEZZNS1_9scan_implILNS1_25lookback_scan_determinismE0ELb0ELb0ES3_N6thrust23THRUST_200600_302600_NS6detail15normal_iteratorINS9_10device_ptrIfEEEENS9_16discard_iteratorINS9_11use_defaultEEEf11max_functorIfEfEEDaPvRmT3_T4_T5_mT6_P12ihipStream_tbENKUlT_T0_E_clISt17integral_constantIbLb1EESW_IbLb0EEEEDaSS_ST_EUlSS_E_NS1_11comp_targetILNS1_3genE0ELNS1_11target_archE4294967295ELNS1_3gpuE0ELNS1_3repE0EEENS1_30default_config_static_selectorELNS0_4arch9wavefront6targetE1EEEvT1_
                                        ; -- End function
	.section	.AMDGPU.csdata,"",@progbits
; Kernel info:
; codeLenInByte = 0
; NumSgprs: 4
; NumVgprs: 0
; NumAgprs: 0
; TotalNumVgprs: 0
; ScratchSize: 0
; MemoryBound: 0
; FloatMode: 240
; IeeeMode: 1
; LDSByteSize: 0 bytes/workgroup (compile time only)
; SGPRBlocks: 0
; VGPRBlocks: 0
; NumSGPRsForWavesPerEU: 4
; NumVGPRsForWavesPerEU: 1
; AccumOffset: 4
; Occupancy: 8
; WaveLimiterHint : 0
; COMPUTE_PGM_RSRC2:SCRATCH_EN: 0
; COMPUTE_PGM_RSRC2:USER_SGPR: 6
; COMPUTE_PGM_RSRC2:TRAP_HANDLER: 0
; COMPUTE_PGM_RSRC2:TGID_X_EN: 1
; COMPUTE_PGM_RSRC2:TGID_Y_EN: 0
; COMPUTE_PGM_RSRC2:TGID_Z_EN: 0
; COMPUTE_PGM_RSRC2:TIDIG_COMP_CNT: 0
; COMPUTE_PGM_RSRC3_GFX90A:ACCUM_OFFSET: 0
; COMPUTE_PGM_RSRC3_GFX90A:TG_SPLIT: 0
	.section	.text._ZN7rocprim17ROCPRIM_400000_NS6detail17trampoline_kernelINS0_14default_configENS1_20scan_config_selectorIfEEZZNS1_9scan_implILNS1_25lookback_scan_determinismE0ELb0ELb0ES3_N6thrust23THRUST_200600_302600_NS6detail15normal_iteratorINS9_10device_ptrIfEEEENS9_16discard_iteratorINS9_11use_defaultEEEf11max_functorIfEfEEDaPvRmT3_T4_T5_mT6_P12ihipStream_tbENKUlT_T0_E_clISt17integral_constantIbLb1EESW_IbLb0EEEEDaSS_ST_EUlSS_E_NS1_11comp_targetILNS1_3genE5ELNS1_11target_archE942ELNS1_3gpuE9ELNS1_3repE0EEENS1_30default_config_static_selectorELNS0_4arch9wavefront6targetE1EEEvT1_,"axG",@progbits,_ZN7rocprim17ROCPRIM_400000_NS6detail17trampoline_kernelINS0_14default_configENS1_20scan_config_selectorIfEEZZNS1_9scan_implILNS1_25lookback_scan_determinismE0ELb0ELb0ES3_N6thrust23THRUST_200600_302600_NS6detail15normal_iteratorINS9_10device_ptrIfEEEENS9_16discard_iteratorINS9_11use_defaultEEEf11max_functorIfEfEEDaPvRmT3_T4_T5_mT6_P12ihipStream_tbENKUlT_T0_E_clISt17integral_constantIbLb1EESW_IbLb0EEEEDaSS_ST_EUlSS_E_NS1_11comp_targetILNS1_3genE5ELNS1_11target_archE942ELNS1_3gpuE9ELNS1_3repE0EEENS1_30default_config_static_selectorELNS0_4arch9wavefront6targetE1EEEvT1_,comdat
	.protected	_ZN7rocprim17ROCPRIM_400000_NS6detail17trampoline_kernelINS0_14default_configENS1_20scan_config_selectorIfEEZZNS1_9scan_implILNS1_25lookback_scan_determinismE0ELb0ELb0ES3_N6thrust23THRUST_200600_302600_NS6detail15normal_iteratorINS9_10device_ptrIfEEEENS9_16discard_iteratorINS9_11use_defaultEEEf11max_functorIfEfEEDaPvRmT3_T4_T5_mT6_P12ihipStream_tbENKUlT_T0_E_clISt17integral_constantIbLb1EESW_IbLb0EEEEDaSS_ST_EUlSS_E_NS1_11comp_targetILNS1_3genE5ELNS1_11target_archE942ELNS1_3gpuE9ELNS1_3repE0EEENS1_30default_config_static_selectorELNS0_4arch9wavefront6targetE1EEEvT1_ ; -- Begin function _ZN7rocprim17ROCPRIM_400000_NS6detail17trampoline_kernelINS0_14default_configENS1_20scan_config_selectorIfEEZZNS1_9scan_implILNS1_25lookback_scan_determinismE0ELb0ELb0ES3_N6thrust23THRUST_200600_302600_NS6detail15normal_iteratorINS9_10device_ptrIfEEEENS9_16discard_iteratorINS9_11use_defaultEEEf11max_functorIfEfEEDaPvRmT3_T4_T5_mT6_P12ihipStream_tbENKUlT_T0_E_clISt17integral_constantIbLb1EESW_IbLb0EEEEDaSS_ST_EUlSS_E_NS1_11comp_targetILNS1_3genE5ELNS1_11target_archE942ELNS1_3gpuE9ELNS1_3repE0EEENS1_30default_config_static_selectorELNS0_4arch9wavefront6targetE1EEEvT1_
	.globl	_ZN7rocprim17ROCPRIM_400000_NS6detail17trampoline_kernelINS0_14default_configENS1_20scan_config_selectorIfEEZZNS1_9scan_implILNS1_25lookback_scan_determinismE0ELb0ELb0ES3_N6thrust23THRUST_200600_302600_NS6detail15normal_iteratorINS9_10device_ptrIfEEEENS9_16discard_iteratorINS9_11use_defaultEEEf11max_functorIfEfEEDaPvRmT3_T4_T5_mT6_P12ihipStream_tbENKUlT_T0_E_clISt17integral_constantIbLb1EESW_IbLb0EEEEDaSS_ST_EUlSS_E_NS1_11comp_targetILNS1_3genE5ELNS1_11target_archE942ELNS1_3gpuE9ELNS1_3repE0EEENS1_30default_config_static_selectorELNS0_4arch9wavefront6targetE1EEEvT1_
	.p2align	8
	.type	_ZN7rocprim17ROCPRIM_400000_NS6detail17trampoline_kernelINS0_14default_configENS1_20scan_config_selectorIfEEZZNS1_9scan_implILNS1_25lookback_scan_determinismE0ELb0ELb0ES3_N6thrust23THRUST_200600_302600_NS6detail15normal_iteratorINS9_10device_ptrIfEEEENS9_16discard_iteratorINS9_11use_defaultEEEf11max_functorIfEfEEDaPvRmT3_T4_T5_mT6_P12ihipStream_tbENKUlT_T0_E_clISt17integral_constantIbLb1EESW_IbLb0EEEEDaSS_ST_EUlSS_E_NS1_11comp_targetILNS1_3genE5ELNS1_11target_archE942ELNS1_3gpuE9ELNS1_3repE0EEENS1_30default_config_static_selectorELNS0_4arch9wavefront6targetE1EEEvT1_,@function
_ZN7rocprim17ROCPRIM_400000_NS6detail17trampoline_kernelINS0_14default_configENS1_20scan_config_selectorIfEEZZNS1_9scan_implILNS1_25lookback_scan_determinismE0ELb0ELb0ES3_N6thrust23THRUST_200600_302600_NS6detail15normal_iteratorINS9_10device_ptrIfEEEENS9_16discard_iteratorINS9_11use_defaultEEEf11max_functorIfEfEEDaPvRmT3_T4_T5_mT6_P12ihipStream_tbENKUlT_T0_E_clISt17integral_constantIbLb1EESW_IbLb0EEEEDaSS_ST_EUlSS_E_NS1_11comp_targetILNS1_3genE5ELNS1_11target_archE942ELNS1_3gpuE9ELNS1_3repE0EEENS1_30default_config_static_selectorELNS0_4arch9wavefront6targetE1EEEvT1_: ; @_ZN7rocprim17ROCPRIM_400000_NS6detail17trampoline_kernelINS0_14default_configENS1_20scan_config_selectorIfEEZZNS1_9scan_implILNS1_25lookback_scan_determinismE0ELb0ELb0ES3_N6thrust23THRUST_200600_302600_NS6detail15normal_iteratorINS9_10device_ptrIfEEEENS9_16discard_iteratorINS9_11use_defaultEEEf11max_functorIfEfEEDaPvRmT3_T4_T5_mT6_P12ihipStream_tbENKUlT_T0_E_clISt17integral_constantIbLb1EESW_IbLb0EEEEDaSS_ST_EUlSS_E_NS1_11comp_targetILNS1_3genE5ELNS1_11target_archE942ELNS1_3gpuE9ELNS1_3repE0EEENS1_30default_config_static_selectorELNS0_4arch9wavefront6targetE1EEEvT1_
; %bb.0:
	.section	.rodata,"a",@progbits
	.p2align	6, 0x0
	.amdhsa_kernel _ZN7rocprim17ROCPRIM_400000_NS6detail17trampoline_kernelINS0_14default_configENS1_20scan_config_selectorIfEEZZNS1_9scan_implILNS1_25lookback_scan_determinismE0ELb0ELb0ES3_N6thrust23THRUST_200600_302600_NS6detail15normal_iteratorINS9_10device_ptrIfEEEENS9_16discard_iteratorINS9_11use_defaultEEEf11max_functorIfEfEEDaPvRmT3_T4_T5_mT6_P12ihipStream_tbENKUlT_T0_E_clISt17integral_constantIbLb1EESW_IbLb0EEEEDaSS_ST_EUlSS_E_NS1_11comp_targetILNS1_3genE5ELNS1_11target_archE942ELNS1_3gpuE9ELNS1_3repE0EEENS1_30default_config_static_selectorELNS0_4arch9wavefront6targetE1EEEvT1_
		.amdhsa_group_segment_fixed_size 0
		.amdhsa_private_segment_fixed_size 0
		.amdhsa_kernarg_size 104
		.amdhsa_user_sgpr_count 6
		.amdhsa_user_sgpr_private_segment_buffer 1
		.amdhsa_user_sgpr_dispatch_ptr 0
		.amdhsa_user_sgpr_queue_ptr 0
		.amdhsa_user_sgpr_kernarg_segment_ptr 1
		.amdhsa_user_sgpr_dispatch_id 0
		.amdhsa_user_sgpr_flat_scratch_init 0
		.amdhsa_user_sgpr_kernarg_preload_length 0
		.amdhsa_user_sgpr_kernarg_preload_offset 0
		.amdhsa_user_sgpr_private_segment_size 0
		.amdhsa_uses_dynamic_stack 0
		.amdhsa_system_sgpr_private_segment_wavefront_offset 0
		.amdhsa_system_sgpr_workgroup_id_x 1
		.amdhsa_system_sgpr_workgroup_id_y 0
		.amdhsa_system_sgpr_workgroup_id_z 0
		.amdhsa_system_sgpr_workgroup_info 0
		.amdhsa_system_vgpr_workitem_id 0
		.amdhsa_next_free_vgpr 1
		.amdhsa_next_free_sgpr 0
		.amdhsa_accum_offset 4
		.amdhsa_reserve_vcc 0
		.amdhsa_reserve_flat_scratch 0
		.amdhsa_float_round_mode_32 0
		.amdhsa_float_round_mode_16_64 0
		.amdhsa_float_denorm_mode_32 3
		.amdhsa_float_denorm_mode_16_64 3
		.amdhsa_dx10_clamp 1
		.amdhsa_ieee_mode 1
		.amdhsa_fp16_overflow 0
		.amdhsa_tg_split 0
		.amdhsa_exception_fp_ieee_invalid_op 0
		.amdhsa_exception_fp_denorm_src 0
		.amdhsa_exception_fp_ieee_div_zero 0
		.amdhsa_exception_fp_ieee_overflow 0
		.amdhsa_exception_fp_ieee_underflow 0
		.amdhsa_exception_fp_ieee_inexact 0
		.amdhsa_exception_int_div_zero 0
	.end_amdhsa_kernel
	.section	.text._ZN7rocprim17ROCPRIM_400000_NS6detail17trampoline_kernelINS0_14default_configENS1_20scan_config_selectorIfEEZZNS1_9scan_implILNS1_25lookback_scan_determinismE0ELb0ELb0ES3_N6thrust23THRUST_200600_302600_NS6detail15normal_iteratorINS9_10device_ptrIfEEEENS9_16discard_iteratorINS9_11use_defaultEEEf11max_functorIfEfEEDaPvRmT3_T4_T5_mT6_P12ihipStream_tbENKUlT_T0_E_clISt17integral_constantIbLb1EESW_IbLb0EEEEDaSS_ST_EUlSS_E_NS1_11comp_targetILNS1_3genE5ELNS1_11target_archE942ELNS1_3gpuE9ELNS1_3repE0EEENS1_30default_config_static_selectorELNS0_4arch9wavefront6targetE1EEEvT1_,"axG",@progbits,_ZN7rocprim17ROCPRIM_400000_NS6detail17trampoline_kernelINS0_14default_configENS1_20scan_config_selectorIfEEZZNS1_9scan_implILNS1_25lookback_scan_determinismE0ELb0ELb0ES3_N6thrust23THRUST_200600_302600_NS6detail15normal_iteratorINS9_10device_ptrIfEEEENS9_16discard_iteratorINS9_11use_defaultEEEf11max_functorIfEfEEDaPvRmT3_T4_T5_mT6_P12ihipStream_tbENKUlT_T0_E_clISt17integral_constantIbLb1EESW_IbLb0EEEEDaSS_ST_EUlSS_E_NS1_11comp_targetILNS1_3genE5ELNS1_11target_archE942ELNS1_3gpuE9ELNS1_3repE0EEENS1_30default_config_static_selectorELNS0_4arch9wavefront6targetE1EEEvT1_,comdat
.Lfunc_end3171:
	.size	_ZN7rocprim17ROCPRIM_400000_NS6detail17trampoline_kernelINS0_14default_configENS1_20scan_config_selectorIfEEZZNS1_9scan_implILNS1_25lookback_scan_determinismE0ELb0ELb0ES3_N6thrust23THRUST_200600_302600_NS6detail15normal_iteratorINS9_10device_ptrIfEEEENS9_16discard_iteratorINS9_11use_defaultEEEf11max_functorIfEfEEDaPvRmT3_T4_T5_mT6_P12ihipStream_tbENKUlT_T0_E_clISt17integral_constantIbLb1EESW_IbLb0EEEEDaSS_ST_EUlSS_E_NS1_11comp_targetILNS1_3genE5ELNS1_11target_archE942ELNS1_3gpuE9ELNS1_3repE0EEENS1_30default_config_static_selectorELNS0_4arch9wavefront6targetE1EEEvT1_, .Lfunc_end3171-_ZN7rocprim17ROCPRIM_400000_NS6detail17trampoline_kernelINS0_14default_configENS1_20scan_config_selectorIfEEZZNS1_9scan_implILNS1_25lookback_scan_determinismE0ELb0ELb0ES3_N6thrust23THRUST_200600_302600_NS6detail15normal_iteratorINS9_10device_ptrIfEEEENS9_16discard_iteratorINS9_11use_defaultEEEf11max_functorIfEfEEDaPvRmT3_T4_T5_mT6_P12ihipStream_tbENKUlT_T0_E_clISt17integral_constantIbLb1EESW_IbLb0EEEEDaSS_ST_EUlSS_E_NS1_11comp_targetILNS1_3genE5ELNS1_11target_archE942ELNS1_3gpuE9ELNS1_3repE0EEENS1_30default_config_static_selectorELNS0_4arch9wavefront6targetE1EEEvT1_
                                        ; -- End function
	.section	.AMDGPU.csdata,"",@progbits
; Kernel info:
; codeLenInByte = 0
; NumSgprs: 4
; NumVgprs: 0
; NumAgprs: 0
; TotalNumVgprs: 0
; ScratchSize: 0
; MemoryBound: 0
; FloatMode: 240
; IeeeMode: 1
; LDSByteSize: 0 bytes/workgroup (compile time only)
; SGPRBlocks: 0
; VGPRBlocks: 0
; NumSGPRsForWavesPerEU: 4
; NumVGPRsForWavesPerEU: 1
; AccumOffset: 4
; Occupancy: 8
; WaveLimiterHint : 0
; COMPUTE_PGM_RSRC2:SCRATCH_EN: 0
; COMPUTE_PGM_RSRC2:USER_SGPR: 6
; COMPUTE_PGM_RSRC2:TRAP_HANDLER: 0
; COMPUTE_PGM_RSRC2:TGID_X_EN: 1
; COMPUTE_PGM_RSRC2:TGID_Y_EN: 0
; COMPUTE_PGM_RSRC2:TGID_Z_EN: 0
; COMPUTE_PGM_RSRC2:TIDIG_COMP_CNT: 0
; COMPUTE_PGM_RSRC3_GFX90A:ACCUM_OFFSET: 0
; COMPUTE_PGM_RSRC3_GFX90A:TG_SPLIT: 0
	.section	.text._ZN7rocprim17ROCPRIM_400000_NS6detail17trampoline_kernelINS0_14default_configENS1_20scan_config_selectorIfEEZZNS1_9scan_implILNS1_25lookback_scan_determinismE0ELb0ELb0ES3_N6thrust23THRUST_200600_302600_NS6detail15normal_iteratorINS9_10device_ptrIfEEEENS9_16discard_iteratorINS9_11use_defaultEEEf11max_functorIfEfEEDaPvRmT3_T4_T5_mT6_P12ihipStream_tbENKUlT_T0_E_clISt17integral_constantIbLb1EESW_IbLb0EEEEDaSS_ST_EUlSS_E_NS1_11comp_targetILNS1_3genE4ELNS1_11target_archE910ELNS1_3gpuE8ELNS1_3repE0EEENS1_30default_config_static_selectorELNS0_4arch9wavefront6targetE1EEEvT1_,"axG",@progbits,_ZN7rocprim17ROCPRIM_400000_NS6detail17trampoline_kernelINS0_14default_configENS1_20scan_config_selectorIfEEZZNS1_9scan_implILNS1_25lookback_scan_determinismE0ELb0ELb0ES3_N6thrust23THRUST_200600_302600_NS6detail15normal_iteratorINS9_10device_ptrIfEEEENS9_16discard_iteratorINS9_11use_defaultEEEf11max_functorIfEfEEDaPvRmT3_T4_T5_mT6_P12ihipStream_tbENKUlT_T0_E_clISt17integral_constantIbLb1EESW_IbLb0EEEEDaSS_ST_EUlSS_E_NS1_11comp_targetILNS1_3genE4ELNS1_11target_archE910ELNS1_3gpuE8ELNS1_3repE0EEENS1_30default_config_static_selectorELNS0_4arch9wavefront6targetE1EEEvT1_,comdat
	.protected	_ZN7rocprim17ROCPRIM_400000_NS6detail17trampoline_kernelINS0_14default_configENS1_20scan_config_selectorIfEEZZNS1_9scan_implILNS1_25lookback_scan_determinismE0ELb0ELb0ES3_N6thrust23THRUST_200600_302600_NS6detail15normal_iteratorINS9_10device_ptrIfEEEENS9_16discard_iteratorINS9_11use_defaultEEEf11max_functorIfEfEEDaPvRmT3_T4_T5_mT6_P12ihipStream_tbENKUlT_T0_E_clISt17integral_constantIbLb1EESW_IbLb0EEEEDaSS_ST_EUlSS_E_NS1_11comp_targetILNS1_3genE4ELNS1_11target_archE910ELNS1_3gpuE8ELNS1_3repE0EEENS1_30default_config_static_selectorELNS0_4arch9wavefront6targetE1EEEvT1_ ; -- Begin function _ZN7rocprim17ROCPRIM_400000_NS6detail17trampoline_kernelINS0_14default_configENS1_20scan_config_selectorIfEEZZNS1_9scan_implILNS1_25lookback_scan_determinismE0ELb0ELb0ES3_N6thrust23THRUST_200600_302600_NS6detail15normal_iteratorINS9_10device_ptrIfEEEENS9_16discard_iteratorINS9_11use_defaultEEEf11max_functorIfEfEEDaPvRmT3_T4_T5_mT6_P12ihipStream_tbENKUlT_T0_E_clISt17integral_constantIbLb1EESW_IbLb0EEEEDaSS_ST_EUlSS_E_NS1_11comp_targetILNS1_3genE4ELNS1_11target_archE910ELNS1_3gpuE8ELNS1_3repE0EEENS1_30default_config_static_selectorELNS0_4arch9wavefront6targetE1EEEvT1_
	.globl	_ZN7rocprim17ROCPRIM_400000_NS6detail17trampoline_kernelINS0_14default_configENS1_20scan_config_selectorIfEEZZNS1_9scan_implILNS1_25lookback_scan_determinismE0ELb0ELb0ES3_N6thrust23THRUST_200600_302600_NS6detail15normal_iteratorINS9_10device_ptrIfEEEENS9_16discard_iteratorINS9_11use_defaultEEEf11max_functorIfEfEEDaPvRmT3_T4_T5_mT6_P12ihipStream_tbENKUlT_T0_E_clISt17integral_constantIbLb1EESW_IbLb0EEEEDaSS_ST_EUlSS_E_NS1_11comp_targetILNS1_3genE4ELNS1_11target_archE910ELNS1_3gpuE8ELNS1_3repE0EEENS1_30default_config_static_selectorELNS0_4arch9wavefront6targetE1EEEvT1_
	.p2align	8
	.type	_ZN7rocprim17ROCPRIM_400000_NS6detail17trampoline_kernelINS0_14default_configENS1_20scan_config_selectorIfEEZZNS1_9scan_implILNS1_25lookback_scan_determinismE0ELb0ELb0ES3_N6thrust23THRUST_200600_302600_NS6detail15normal_iteratorINS9_10device_ptrIfEEEENS9_16discard_iteratorINS9_11use_defaultEEEf11max_functorIfEfEEDaPvRmT3_T4_T5_mT6_P12ihipStream_tbENKUlT_T0_E_clISt17integral_constantIbLb1EESW_IbLb0EEEEDaSS_ST_EUlSS_E_NS1_11comp_targetILNS1_3genE4ELNS1_11target_archE910ELNS1_3gpuE8ELNS1_3repE0EEENS1_30default_config_static_selectorELNS0_4arch9wavefront6targetE1EEEvT1_,@function
_ZN7rocprim17ROCPRIM_400000_NS6detail17trampoline_kernelINS0_14default_configENS1_20scan_config_selectorIfEEZZNS1_9scan_implILNS1_25lookback_scan_determinismE0ELb0ELb0ES3_N6thrust23THRUST_200600_302600_NS6detail15normal_iteratorINS9_10device_ptrIfEEEENS9_16discard_iteratorINS9_11use_defaultEEEf11max_functorIfEfEEDaPvRmT3_T4_T5_mT6_P12ihipStream_tbENKUlT_T0_E_clISt17integral_constantIbLb1EESW_IbLb0EEEEDaSS_ST_EUlSS_E_NS1_11comp_targetILNS1_3genE4ELNS1_11target_archE910ELNS1_3gpuE8ELNS1_3repE0EEENS1_30default_config_static_selectorELNS0_4arch9wavefront6targetE1EEEvT1_: ; @_ZN7rocprim17ROCPRIM_400000_NS6detail17trampoline_kernelINS0_14default_configENS1_20scan_config_selectorIfEEZZNS1_9scan_implILNS1_25lookback_scan_determinismE0ELb0ELb0ES3_N6thrust23THRUST_200600_302600_NS6detail15normal_iteratorINS9_10device_ptrIfEEEENS9_16discard_iteratorINS9_11use_defaultEEEf11max_functorIfEfEEDaPvRmT3_T4_T5_mT6_P12ihipStream_tbENKUlT_T0_E_clISt17integral_constantIbLb1EESW_IbLb0EEEEDaSS_ST_EUlSS_E_NS1_11comp_targetILNS1_3genE4ELNS1_11target_archE910ELNS1_3gpuE8ELNS1_3repE0EEENS1_30default_config_static_selectorELNS0_4arch9wavefront6targetE1EEEvT1_
; %bb.0:
	s_load_dwordx4 s[0:3], s[4:5], 0x0
	s_load_dwordx2 s[8:9], s[4:5], 0x20
	s_load_dword s7, s[4:5], 0x38
	v_lshlrev_b32_e32 v18, 2, v0
	s_waitcnt lgkmcnt(0)
	s_lshl_b64 s[2:3], s[2:3], 2
	s_add_u32 s2, s0, s2
	s_addc_u32 s3, s1, s3
	s_add_i32 s7, s7, -1
	s_mul_i32 s10, s7, 0x700
	s_sub_u32 s20, s8, s10
	s_subb_u32 s21, s9, 0
	s_mul_i32 s0, s6, 0x700
	s_mov_b32 s1, 0
	s_cmp_lg_u32 s6, s7
	s_cselect_b64 s[16:17], -1, 0
	s_lshl_b64 s[0:1], s[0:1], 2
	s_add_u32 s0, s2, s0
	s_addc_u32 s1, s3, s1
	s_mov_b64 s[2:3], -1
	s_and_b64 vcc, exec, s[16:17]
	s_cbranch_vccz .LBB3172_2
; %bb.1:
	v_mov_b32_e32 v1, s1
	v_add_co_u32_e32 v2, vcc, s0, v18
	v_addc_co_u32_e32 v3, vcc, 0, v1, vcc
	flat_load_dword v1, v[2:3]
	flat_load_dword v4, v[2:3] offset:512
	flat_load_dword v5, v[2:3] offset:1024
	;; [unrolled: 1-line block ×7, first 2 shown]
	v_add_co_u32_e32 v2, vcc, 0x1000, v2
	v_addc_co_u32_e32 v3, vcc, 0, v3, vcc
	flat_load_dword v11, v[2:3]
	flat_load_dword v12, v[2:3] offset:512
	flat_load_dword v13, v[2:3] offset:1024
	flat_load_dword v14, v[2:3] offset:1536
	flat_load_dword v15, v[2:3] offset:2048
	flat_load_dword v16, v[2:3] offset:2560
	s_mov_b64 s[2:3], 0
	s_waitcnt vmcnt(0) lgkmcnt(0)
	ds_write2st64_b32 v18, v1, v4 offset1:2
	ds_write2st64_b32 v18, v5, v6 offset0:4 offset1:6
	ds_write2st64_b32 v18, v7, v8 offset0:8 offset1:10
	;; [unrolled: 1-line block ×6, first 2 shown]
	s_waitcnt lgkmcnt(0)
	s_barrier
.LBB3172_2:
	s_load_dwordx2 s[18:19], s[4:5], 0x30
	s_andn2_b64 vcc, exec, s[2:3]
	s_cbranch_vccnz .LBB3172_32
; %bb.3:
	v_pk_mov_b32 v[2:3], s[0:1], s[0:1] op_sel:[0,1]
	flat_load_dword v1, v[2:3]
	v_cmp_gt_u32_e32 vcc, s20, v0
	s_waitcnt vmcnt(0) lgkmcnt(0)
	v_mov_b32_e32 v2, v1
	v_mov_b32_e32 v3, v1
	;; [unrolled: 1-line block ×12, first 2 shown]
	v_pk_mov_b32 v[16:17], v[14:15], v[14:15] op_sel:[0,1]
	v_pk_mov_b32 v[14:15], v[12:13], v[12:13] op_sel:[0,1]
	;; [unrolled: 1-line block ×8, first 2 shown]
	s_and_saveexec_b64 s[2:3], vcc
	s_cbranch_execz .LBB3172_5
; %bb.4:
	v_mov_b32_e32 v3, s1
	v_add_co_u32_e32 v2, vcc, s0, v18
	v_addc_co_u32_e32 v3, vcc, 0, v3, vcc
	flat_load_dword v19, v[2:3]
	v_mov_b32_e32 v2, v1
	v_mov_b32_e32 v3, v1
	;; [unrolled: 1-line block ×12, first 2 shown]
	v_pk_mov_b32 v[16:17], v[14:15], v[14:15] op_sel:[0,1]
	v_pk_mov_b32 v[14:15], v[12:13], v[12:13] op_sel:[0,1]
	;; [unrolled: 1-line block ×8, first 2 shown]
	s_waitcnt vmcnt(0) lgkmcnt(0)
	v_mov_b32_e32 v1, v19
.LBB3172_5:
	s_or_b64 exec, exec, s[2:3]
	v_or_b32_e32 v2, 0x80, v0
	v_cmp_gt_u32_e32 vcc, s20, v2
	s_and_saveexec_b64 s[2:3], vcc
	s_cbranch_execz .LBB3172_7
; %bb.6:
	v_mov_b32_e32 v3, s1
	v_add_co_u32_e32 v2, vcc, s0, v18
	v_addc_co_u32_e32 v3, vcc, 0, v3, vcc
	flat_load_dword v3, v[2:3] offset:512
.LBB3172_7:
	s_or_b64 exec, exec, s[2:3]
	v_or_b32_e32 v2, 0x100, v0
	v_cmp_gt_u32_e32 vcc, s20, v2
	s_and_saveexec_b64 s[2:3], vcc
	s_cbranch_execz .LBB3172_9
; %bb.8:
	v_mov_b32_e32 v2, s1
	v_add_co_u32_e32 v16, vcc, s0, v18
	v_addc_co_u32_e32 v17, vcc, 0, v2, vcc
	flat_load_dword v4, v[16:17] offset:1024
.LBB3172_9:
	s_or_b64 exec, exec, s[2:3]
	v_or_b32_e32 v2, 0x180, v0
	v_cmp_gt_u32_e32 vcc, s20, v2
	s_and_saveexec_b64 s[2:3], vcc
	s_cbranch_execz .LBB3172_11
; %bb.10:
	v_mov_b32_e32 v2, s1
	v_add_co_u32_e32 v16, vcc, s0, v18
	v_addc_co_u32_e32 v17, vcc, 0, v2, vcc
	flat_load_dword v5, v[16:17] offset:1536
.LBB3172_11:
	s_or_b64 exec, exec, s[2:3]
	v_or_b32_e32 v2, 0x200, v0
	v_cmp_gt_u32_e32 vcc, s20, v2
	s_and_saveexec_b64 s[2:3], vcc
	s_cbranch_execz .LBB3172_13
; %bb.12:
	v_mov_b32_e32 v2, s1
	v_add_co_u32_e32 v16, vcc, s0, v18
	v_addc_co_u32_e32 v17, vcc, 0, v2, vcc
	flat_load_dword v6, v[16:17] offset:2048
.LBB3172_13:
	s_or_b64 exec, exec, s[2:3]
	v_or_b32_e32 v2, 0x280, v0
	v_cmp_gt_u32_e32 vcc, s20, v2
	s_and_saveexec_b64 s[2:3], vcc
	s_cbranch_execz .LBB3172_15
; %bb.14:
	v_mov_b32_e32 v2, s1
	v_add_co_u32_e32 v16, vcc, s0, v18
	v_addc_co_u32_e32 v17, vcc, 0, v2, vcc
	flat_load_dword v7, v[16:17] offset:2560
.LBB3172_15:
	s_or_b64 exec, exec, s[2:3]
	v_or_b32_e32 v2, 0x300, v0
	v_cmp_gt_u32_e32 vcc, s20, v2
	s_and_saveexec_b64 s[2:3], vcc
	s_cbranch_execz .LBB3172_17
; %bb.16:
	v_mov_b32_e32 v2, s1
	v_add_co_u32_e32 v16, vcc, s0, v18
	v_addc_co_u32_e32 v17, vcc, 0, v2, vcc
	flat_load_dword v8, v[16:17] offset:3072
.LBB3172_17:
	s_or_b64 exec, exec, s[2:3]
	v_or_b32_e32 v2, 0x380, v0
	v_cmp_gt_u32_e32 vcc, s20, v2
	s_and_saveexec_b64 s[2:3], vcc
	s_cbranch_execz .LBB3172_19
; %bb.18:
	v_mov_b32_e32 v2, s1
	v_add_co_u32_e32 v16, vcc, s0, v18
	v_addc_co_u32_e32 v17, vcc, 0, v2, vcc
	flat_load_dword v9, v[16:17] offset:3584
.LBB3172_19:
	s_or_b64 exec, exec, s[2:3]
	v_or_b32_e32 v2, 0x400, v0
	v_cmp_gt_u32_e32 vcc, s20, v2
	s_and_saveexec_b64 s[2:3], vcc
	s_cbranch_execz .LBB3172_21
; %bb.20:
	v_lshlrev_b32_e32 v2, 2, v2
	v_mov_b32_e32 v10, s1
	v_add_co_u32_e32 v16, vcc, s0, v2
	v_addc_co_u32_e32 v17, vcc, 0, v10, vcc
	flat_load_dword v10, v[16:17]
.LBB3172_21:
	s_or_b64 exec, exec, s[2:3]
	v_or_b32_e32 v2, 0x480, v0
	v_cmp_gt_u32_e32 vcc, s20, v2
	s_and_saveexec_b64 s[2:3], vcc
	s_cbranch_execz .LBB3172_23
; %bb.22:
	v_lshlrev_b32_e32 v2, 2, v2
	v_mov_b32_e32 v11, s1
	v_add_co_u32_e32 v16, vcc, s0, v2
	v_addc_co_u32_e32 v17, vcc, 0, v11, vcc
	flat_load_dword v11, v[16:17]
.LBB3172_23:
	;; [unrolled: 12-line block ×6, first 2 shown]
	s_or_b64 exec, exec, s[2:3]
	s_waitcnt vmcnt(0) lgkmcnt(0)
	ds_write2st64_b32 v18, v1, v3 offset1:2
	ds_write2st64_b32 v18, v4, v5 offset0:4 offset1:6
	ds_write2st64_b32 v18, v6, v7 offset0:8 offset1:10
	;; [unrolled: 1-line block ×6, first 2 shown]
	s_waitcnt lgkmcnt(0)
	s_barrier
.LBB3172_32:
	v_mul_u32_u24_e32 v32, 14, v0
	v_lshlrev_b32_e32 v33, 2, v32
	s_waitcnt lgkmcnt(0)
	ds_read2_b64 v[2:5], v33 offset1:1
	ds_read2_b64 v[26:29], v33 offset0:2 offset1:3
	ds_read2_b64 v[22:25], v33 offset0:4 offset1:5
	ds_read_b64 v[30:31], v33 offset:48
	s_cmp_lg_u32 s6, 0
	v_lshrrev_b32_e32 v1, 5, v0
	v_cmp_gt_u32_e32 vcc, 64, v0
	s_waitcnt lgkmcnt(0)
	s_barrier
	s_cbranch_scc0 .LBB3172_61
; %bb.33:
	v_cmp_lt_f32_e64 s[0:1], v2, v3
	v_cndmask_b32_e64 v6, v2, v3, s[0:1]
	v_cmp_lt_f32_e64 s[0:1], v6, v4
	v_cndmask_b32_e64 v6, v6, v4, s[0:1]
	v_cmp_lt_f32_e64 s[0:1], v6, v5
	v_cndmask_b32_e64 v6, v6, v5, s[0:1]
	v_cmp_lt_f32_e64 s[0:1], v6, v26
	v_cndmask_b32_e64 v6, v6, v26, s[0:1]
	v_cmp_lt_f32_e64 s[0:1], v6, v27
	v_cndmask_b32_e64 v6, v6, v27, s[0:1]
	v_cmp_lt_f32_e64 s[0:1], v6, v28
	v_cndmask_b32_e64 v6, v6, v28, s[0:1]
	v_cmp_lt_f32_e64 s[0:1], v6, v29
	v_cndmask_b32_e64 v6, v6, v29, s[0:1]
	v_cmp_lt_f32_e64 s[0:1], v6, v22
	v_cndmask_b32_e64 v6, v6, v22, s[0:1]
	v_cmp_lt_f32_e64 s[0:1], v6, v23
	v_cndmask_b32_e64 v6, v6, v23, s[0:1]
	v_cmp_lt_f32_e64 s[0:1], v6, v24
	v_cndmask_b32_e64 v6, v6, v24, s[0:1]
	v_cmp_lt_f32_e64 s[0:1], v6, v25
	v_cndmask_b32_e64 v6, v6, v25, s[0:1]
	v_cmp_lt_f32_e64 s[0:1], v6, v30
	v_cndmask_b32_e64 v6, v6, v30, s[0:1]
	v_cmp_lt_f32_e64 s[0:1], v6, v31
	v_cndmask_b32_e64 v16, v6, v31, s[0:1]
	v_add_lshl_u32 v6, v1, v0, 2
	ds_write_b32 v6, v16
	s_waitcnt lgkmcnt(0)
	s_barrier
	s_and_saveexec_b64 s[12:13], vcc
	s_cbranch_execz .LBB3172_35
; %bb.34:
	v_lshlrev_b32_e32 v6, 1, v0
	v_lshrrev_b32_e32 v7, 4, v0
	v_add_lshl_u32 v8, v7, v6, 2
	ds_read2_b32 v[6:7], v8 offset1:1
	v_mbcnt_lo_u32_b32 v9, -1, 0
	v_mbcnt_hi_u32_b32 v9, -1, v9
	v_and_b32_e32 v10, 15, v9
	v_cmp_lt_u32_e64 s[10:11], 31, v9
	s_waitcnt lgkmcnt(0)
	v_cmp_lt_f32_e64 s[0:1], v6, v7
	v_cndmask_b32_e64 v7, v6, v7, s[0:1]
	v_cmp_gt_u32_e64 s[8:9], 32, v9
	s_nop 0
	v_mov_b32_dpp v11, v7 row_shr:1 row_mask:0xf bank_mask:0xf
	v_cmp_gt_f32_e64 s[0:1], v7, v11
	v_cndmask_b32_e64 v11, v11, v7, s[0:1]
	v_cmp_eq_u32_e64 s[0:1], 0, v10
	v_cndmask_b32_e64 v7, v11, v7, s[0:1]
	; wave barrier
	s_nop 1
	v_mov_b32_dpp v11, v7 row_shr:2 row_mask:0xf bank_mask:0xf
	v_cmp_gt_f32_e64 s[0:1], v7, v11
	v_cndmask_b32_e64 v11, v11, v7, s[0:1]
	v_cmp_lt_u32_e64 s[0:1], 1, v10
	v_cndmask_b32_e64 v11, v7, v11, s[0:1]
	s_nop 1
	v_mov_b32_dpp v12, v11 row_shr:4 row_mask:0xf bank_mask:0xf
	v_cmp_gt_f32_e64 s[2:3], v11, v12
	v_cndmask_b32_e64 v12, v12, v11, s[2:3]
	v_cmp_lt_u32_e64 s[2:3], 3, v10
	v_cndmask_b32_e64 v11, v11, v12, s[2:3]
	;; [unrolled: 6-line block ×3, first 2 shown]
	v_and_b32_e32 v12, 16, v9
	s_nop 0
	v_mov_b32_dpp v11, v10 row_bcast:15 row_mask:0xf bank_mask:0xf
	v_cmp_gt_f32_e64 s[2:3], v10, v11
	v_cndmask_b32_e64 v11, v11, v10, s[2:3]
	v_cmp_ne_u32_e64 s[2:3], 0, v12
	v_cndmask_b32_e64 v10, v10, v11, s[2:3]
	s_or_b64 s[10:11], s[2:3], s[10:11]
	s_or_b64 s[0:1], s[0:1], s[10:11]
	v_mov_b32_dpp v11, v10 row_bcast:31 row_mask:0xf bank_mask:0xf
	v_cmp_gt_f32_e64 s[2:3], v10, v11
	s_or_b64 s[2:3], s[8:9], s[2:3]
	v_cndmask_b32_e64 v10, v11, v10, s[2:3]
	v_cndmask_b32_e64 v7, v7, v10, s[0:1]
	v_add_u32_e32 v10, -1, v9
	v_and_b32_e32 v11, 64, v9
	v_cmp_lt_i32_e64 s[0:1], v10, v11
	v_cndmask_b32_e64 v9, v10, v9, s[0:1]
	v_lshlrev_b32_e32 v9, 2, v9
	ds_bpermute_b32 v7, v9, v7
	s_waitcnt lgkmcnt(0)
	v_cmp_gt_f32_e64 s[0:1], v6, v7
	v_cndmask_b32_e64 v6, v7, v6, s[0:1]
	v_cmp_eq_u32_e64 s[0:1], 0, v0
	v_cndmask_b32_e64 v6, v6, v16, s[0:1]
	ds_write_b32 v8, v6
	; wave barrier
	ds_read_b32 v7, v8 offset:4
	s_waitcnt lgkmcnt(0)
	v_cmp_lt_f32_e64 s[0:1], v6, v7
	v_cndmask_b32_e64 v6, v6, v7, s[0:1]
	ds_write_b32 v8, v6 offset:4
.LBB3172_35:
	s_or_b64 exec, exec, s[12:13]
	v_cmp_eq_u32_e64 s[0:1], 0, v0
	v_cmp_ne_u32_e64 s[2:3], 0, v0
	s_waitcnt lgkmcnt(0)
	s_barrier
	s_and_saveexec_b64 s[8:9], s[2:3]
	s_cbranch_execz .LBB3172_37
; %bb.36:
	v_add_u32_e32 v6, -1, v0
	v_lshrrev_b32_e32 v7, 5, v6
	v_add_lshl_u32 v6, v7, v6, 2
	ds_read_b32 v16, v6
.LBB3172_37:
	s_or_b64 exec, exec, s[8:9]
	s_and_saveexec_b64 s[12:13], vcc
	s_cbranch_execz .LBB3172_60
; %bb.38:
	v_mov_b32_e32 v15, 0
	ds_read_b32 v6, v15 offset:520
	v_mbcnt_lo_u32_b32 v7, -1, 0
	v_mbcnt_hi_u32_b32 v9, -1, v7
	s_mov_b32 s11, 0
	v_cmp_eq_u32_e64 s[2:3], 0, v9
	s_and_saveexec_b64 s[8:9], s[2:3]
	s_cbranch_execz .LBB3172_40
; %bb.39:
	s_add_i32 s10, s6, 64
	s_lshl_b64 s[10:11], s[10:11], 3
	s_add_u32 s10, s18, s10
	v_mov_b32_e32 v7, 1
	s_addc_u32 s11, s19, s11
	s_waitcnt lgkmcnt(0)
	global_store_dwordx2 v15, v[6:7], s[10:11]
.LBB3172_40:
	s_or_b64 exec, exec, s[8:9]
	v_xad_u32 v8, v9, -1, s6
	v_add_u32_e32 v14, 64, v8
	v_lshlrev_b64 v[10:11], 3, v[14:15]
	v_mov_b32_e32 v7, s19
	v_add_co_u32_e32 v10, vcc, s18, v10
	v_addc_co_u32_e32 v11, vcc, v7, v11, vcc
	global_load_dwordx2 v[12:13], v[10:11], off glc
	s_waitcnt vmcnt(0)
	v_cmp_eq_u16_sdwa s[10:11], v13, v15 src0_sel:BYTE_0 src1_sel:DWORD
	s_and_saveexec_b64 s[8:9], s[10:11]
	s_cbranch_execz .LBB3172_46
; %bb.41:
	s_mov_b32 s7, 1
	s_mov_b64 s[10:11], 0
	v_mov_b32_e32 v7, 0
.LBB3172_42:                            ; =>This Loop Header: Depth=1
                                        ;     Child Loop BB3172_43 Depth 2
	s_max_u32 s14, s7, 1
.LBB3172_43:                            ;   Parent Loop BB3172_42 Depth=1
                                        ; =>  This Inner Loop Header: Depth=2
	s_add_i32 s14, s14, -1
	s_cmp_eq_u32 s14, 0
	s_sleep 1
	s_cbranch_scc0 .LBB3172_43
; %bb.44:                               ;   in Loop: Header=BB3172_42 Depth=1
	global_load_dwordx2 v[12:13], v[10:11], off glc
	s_cmp_lt_u32 s7, 32
	s_cselect_b64 s[14:15], -1, 0
	s_cmp_lg_u64 s[14:15], 0
	s_addc_u32 s7, s7, 0
	s_waitcnt vmcnt(0)
	v_cmp_ne_u16_sdwa s[14:15], v13, v7 src0_sel:BYTE_0 src1_sel:DWORD
	s_or_b64 s[10:11], s[14:15], s[10:11]
	s_andn2_b64 exec, exec, s[10:11]
	s_cbranch_execnz .LBB3172_42
; %bb.45:
	s_or_b64 exec, exec, s[10:11]
.LBB3172_46:
	s_or_b64 exec, exec, s[8:9]
	v_and_b32_e32 v17, 63, v9
	v_cmp_ne_u32_e32 vcc, 63, v17
	v_addc_co_u32_e32 v18, vcc, 0, v9, vcc
	v_lshlrev_b32_e32 v18, 2, v18
	v_mov_b32_e32 v7, 2
	ds_bpermute_b32 v19, v18, v12
	v_cmp_eq_u16_sdwa s[8:9], v13, v7 src0_sel:BYTE_0 src1_sel:DWORD
	v_lshlrev_b64 v[10:11], v9, -1
	v_and_b32_e32 v14, s9, v11
	v_or_b32_e32 v14, 0x80000000, v14
	v_and_b32_e32 v15, s8, v10
	v_ffbl_b32_e32 v14, v14
	v_add_u32_e32 v14, 32, v14
	v_ffbl_b32_e32 v15, v15
	s_waitcnt lgkmcnt(0)
	v_cmp_lt_f32_e32 vcc, v19, v12
	v_cmp_gt_u32_e64 s[8:9], 62, v17
	v_min_u32_e32 v14, v15, v14
	v_cndmask_b32_e32 v15, v19, v12, vcc
	v_cndmask_b32_e64 v19, 0, 1, s[8:9]
	v_cmp_lt_u32_e32 vcc, v17, v14
	v_lshlrev_b32_e32 v19, 1, v19
	v_cndmask_b32_e32 v15, v12, v15, vcc
	v_add_lshl_u32 v19, v19, v9, 2
	ds_bpermute_b32 v21, v19, v15
	v_add_u32_e32 v20, 2, v17
	v_add_u32_e32 v34, 4, v17
	;; [unrolled: 1-line block ×4, first 2 shown]
	s_waitcnt lgkmcnt(0)
	v_cmp_gt_f32_e64 s[8:9], v15, v21
	v_cndmask_b32_e64 v21, v21, v15, s[8:9]
	v_cmp_gt_u32_e64 s[8:9], v20, v14
	v_cndmask_b32_e64 v15, v21, v15, s[8:9]
	v_cmp_gt_u32_e64 s[8:9], 60, v17
	v_cndmask_b32_e64 v21, 0, 1, s[8:9]
	v_lshlrev_b32_e32 v21, 2, v21
	v_add_lshl_u32 v21, v21, v9, 2
	ds_bpermute_b32 v35, v21, v15
	v_add_u32_e32 v41, 32, v17
	s_waitcnt lgkmcnt(0)
	v_cmp_gt_f32_e64 s[8:9], v15, v35
	v_cndmask_b32_e64 v35, v35, v15, s[8:9]
	v_cmp_gt_u32_e64 s[8:9], v34, v14
	v_cndmask_b32_e64 v15, v35, v15, s[8:9]
	v_cmp_gt_u32_e64 s[8:9], 56, v17
	v_cndmask_b32_e64 v35, 0, 1, s[8:9]
	v_lshlrev_b32_e32 v35, 3, v35
	v_add_lshl_u32 v35, v35, v9, 2
	ds_bpermute_b32 v37, v35, v15
	s_waitcnt lgkmcnt(0)
	v_cmp_gt_f32_e64 s[8:9], v15, v37
	v_cndmask_b32_e64 v37, v37, v15, s[8:9]
	v_cmp_gt_u32_e64 s[8:9], v36, v14
	v_cndmask_b32_e64 v15, v37, v15, s[8:9]
	v_cmp_gt_u32_e64 s[8:9], 48, v17
	v_cndmask_b32_e64 v37, 0, 1, s[8:9]
	v_lshlrev_b32_e32 v37, 4, v37
	v_add_lshl_u32 v37, v37, v9, 2
	ds_bpermute_b32 v38, v37, v15
	s_waitcnt lgkmcnt(0)
	v_cmp_gt_f32_e64 s[8:9], v15, v38
	v_cndmask_b32_e64 v38, v38, v15, s[8:9]
	v_cmp_gt_u32_e64 s[8:9], v39, v14
	v_cndmask_b32_e64 v15, v38, v15, s[8:9]
	v_cmp_gt_u32_e64 s[8:9], 32, v17
	v_cndmask_b32_e64 v38, 0, 1, s[8:9]
	v_lshlrev_b32_e32 v38, 5, v38
	v_add_lshl_u32 v40, v38, v9, 2
	ds_bpermute_b32 v9, v40, v15
	v_cmp_gt_u32_e64 s[8:9], v41, v14
	s_waitcnt lgkmcnt(0)
	v_cmp_gt_f32_e64 s[10:11], v15, v9
	s_or_b64 s[8:9], s[8:9], s[10:11]
	v_cndmask_b32_e64 v9, v9, v15, s[8:9]
	v_cndmask_b32_e32 v12, v12, v9, vcc
	v_mov_b32_e32 v9, 0
	s_branch .LBB3172_48
.LBB3172_47:                            ;   in Loop: Header=BB3172_48 Depth=1
	s_or_b64 exec, exec, s[8:9]
	v_cmp_eq_u16_sdwa s[8:9], v13, v7 src0_sel:BYTE_0 src1_sel:DWORD
	ds_bpermute_b32 v42, v18, v12
	v_and_b32_e32 v14, s9, v11
	v_or_b32_e32 v14, 0x80000000, v14
	v_and_b32_e32 v15, s8, v10
	v_ffbl_b32_e32 v14, v14
	v_add_u32_e32 v14, 32, v14
	v_ffbl_b32_e32 v15, v15
	v_min_u32_e32 v14, v15, v14
	s_waitcnt lgkmcnt(0)
	v_cmp_lt_f32_e32 vcc, v42, v12
	v_cndmask_b32_e32 v15, v42, v12, vcc
	v_cmp_lt_u32_e32 vcc, v17, v14
	v_cndmask_b32_e32 v15, v12, v15, vcc
	ds_bpermute_b32 v42, v19, v15
	v_subrev_u32_e32 v8, 64, v8
	s_waitcnt lgkmcnt(0)
	v_cmp_gt_f32_e64 s[8:9], v15, v42
	v_cndmask_b32_e64 v42, v42, v15, s[8:9]
	v_cmp_gt_u32_e64 s[8:9], v20, v14
	v_cndmask_b32_e64 v15, v42, v15, s[8:9]
	ds_bpermute_b32 v42, v21, v15
	s_waitcnt lgkmcnt(0)
	v_cmp_gt_f32_e64 s[8:9], v15, v42
	v_cndmask_b32_e64 v42, v42, v15, s[8:9]
	v_cmp_gt_u32_e64 s[8:9], v34, v14
	v_cndmask_b32_e64 v15, v42, v15, s[8:9]
	ds_bpermute_b32 v42, v35, v15
	;; [unrolled: 6-line block ×4, first 2 shown]
	v_cmp_gt_u32_e64 s[8:9], v41, v14
	s_waitcnt lgkmcnt(0)
	v_cmp_gt_f32_e64 s[10:11], v15, v42
	s_or_b64 s[8:9], s[8:9], s[10:11]
	v_cndmask_b32_e64 v14, v42, v15, s[8:9]
	v_cndmask_b32_e32 v12, v12, v14, vcc
	v_cmp_lt_f32_e32 vcc, v12, v38
	v_cndmask_b32_e32 v12, v12, v38, vcc
.LBB3172_48:                            ; =>This Loop Header: Depth=1
                                        ;     Child Loop BB3172_51 Depth 2
                                        ;       Child Loop BB3172_52 Depth 3
	v_cmp_ne_u16_sdwa s[8:9], v13, v7 src0_sel:BYTE_0 src1_sel:DWORD
	v_cndmask_b32_e64 v13, 0, 1, s[8:9]
	;;#ASMSTART
	;;#ASMEND
	v_cmp_ne_u32_e32 vcc, 0, v13
	s_cmp_lg_u64 vcc, exec
	v_mov_b32_e32 v38, v12
	s_cbranch_scc1 .LBB3172_55
; %bb.49:                               ;   in Loop: Header=BB3172_48 Depth=1
	v_lshlrev_b64 v[12:13], 3, v[8:9]
	v_mov_b32_e32 v15, s19
	v_add_co_u32_e32 v14, vcc, s18, v12
	v_addc_co_u32_e32 v15, vcc, v15, v13, vcc
	global_load_dwordx2 v[12:13], v[14:15], off glc
	s_waitcnt vmcnt(0)
	v_cmp_eq_u16_sdwa s[10:11], v13, v9 src0_sel:BYTE_0 src1_sel:DWORD
	s_and_saveexec_b64 s[8:9], s[10:11]
	s_cbranch_execz .LBB3172_47
; %bb.50:                               ;   in Loop: Header=BB3172_48 Depth=1
	s_mov_b32 s7, 1
	s_mov_b64 s[10:11], 0
.LBB3172_51:                            ;   Parent Loop BB3172_48 Depth=1
                                        ; =>  This Loop Header: Depth=2
                                        ;       Child Loop BB3172_52 Depth 3
	s_max_u32 s14, s7, 1
.LBB3172_52:                            ;   Parent Loop BB3172_48 Depth=1
                                        ;     Parent Loop BB3172_51 Depth=2
                                        ; =>    This Inner Loop Header: Depth=3
	s_add_i32 s14, s14, -1
	s_cmp_eq_u32 s14, 0
	s_sleep 1
	s_cbranch_scc0 .LBB3172_52
; %bb.53:                               ;   in Loop: Header=BB3172_51 Depth=2
	global_load_dwordx2 v[12:13], v[14:15], off glc
	s_cmp_lt_u32 s7, 32
	s_cselect_b64 s[14:15], -1, 0
	s_cmp_lg_u64 s[14:15], 0
	s_addc_u32 s7, s7, 0
	s_waitcnt vmcnt(0)
	v_cmp_ne_u16_sdwa s[14:15], v13, v9 src0_sel:BYTE_0 src1_sel:DWORD
	s_or_b64 s[10:11], s[14:15], s[10:11]
	s_andn2_b64 exec, exec, s[10:11]
	s_cbranch_execnz .LBB3172_51
; %bb.54:                               ;   in Loop: Header=BB3172_48 Depth=1
	s_or_b64 exec, exec, s[10:11]
	s_branch .LBB3172_47
.LBB3172_55:                            ;   in Loop: Header=BB3172_48 Depth=1
                                        ; implicit-def: $vgpr12
                                        ; implicit-def: $vgpr13
	s_cbranch_execz .LBB3172_48
; %bb.56:
	s_and_saveexec_b64 s[8:9], s[2:3]
	s_cbranch_execz .LBB3172_58
; %bb.57:
	s_add_i32 s2, s6, 64
	s_mov_b32 s3, 0
	s_lshl_b64 s[2:3], s[2:3], 3
	v_cmp_lt_f32_e32 vcc, v38, v6
	s_add_u32 s2, s18, s2
	v_cndmask_b32_e32 v6, v38, v6, vcc
	v_mov_b32_e32 v7, 2
	s_addc_u32 s3, s19, s3
	v_mov_b32_e32 v8, 0
	global_store_dwordx2 v8, v[6:7], s[2:3]
.LBB3172_58:
	s_or_b64 exec, exec, s[8:9]
	s_and_b64 exec, exec, s[0:1]
	s_cbranch_execz .LBB3172_60
; %bb.59:
	v_mov_b32_e32 v6, 0
	ds_write_b32 v6, v38
.LBB3172_60:
	s_or_b64 exec, exec, s[12:13]
	v_mov_b32_e32 v6, 0
	s_waitcnt lgkmcnt(0)
	s_barrier
	ds_read_b32 v6, v6
	v_cmp_lt_f32_e32 vcc, v16, v2
	s_or_b64 vcc, s[0:1], vcc
	v_cndmask_b32_e32 v7, v16, v2, vcc
	s_waitcnt lgkmcnt(0)
	v_cmp_lt_f32_e32 vcc, v6, v7
	v_cndmask_b32_e32 v6, v6, v7, vcc
	v_cmp_lt_f32_e32 vcc, v6, v3
	v_cndmask_b32_e32 v7, v6, v3, vcc
	;; [unrolled: 2-line block ×14, first 2 shown]
	s_load_dwordx8 s[8:15], s[4:5], 0x40
	s_branch .LBB3172_73
.LBB3172_61:
                                        ; implicit-def: $vgpr6_vgpr7_vgpr8_vgpr9_vgpr10_vgpr11_vgpr12_vgpr13_vgpr14_vgpr15_vgpr16_vgpr17_vgpr18_vgpr19_vgpr20_vgpr21
	s_load_dwordx8 s[8:15], s[4:5], 0x40
	s_cbranch_execz .LBB3172_73
; %bb.62:
	s_waitcnt lgkmcnt(0)
	s_cmp_lg_u64 s[12:13], 0
	s_cselect_b64 s[2:3], -1, 0
	v_cmp_eq_u32_e64 s[0:1], 0, v0
	v_cmp_ne_u32_e32 vcc, 0, v0
	s_and_b64 s[2:3], s[0:1], s[2:3]
	s_and_saveexec_b64 s[4:5], s[2:3]
	s_cbranch_execz .LBB3172_64
; %bb.63:
	v_mov_b32_e32 v6, 0
	global_load_dword v6, v6, s[8:9]
	s_waitcnt vmcnt(0)
	v_cmp_lt_f32_e64 s[2:3], v6, v2
	v_cndmask_b32_e64 v2, v6, v2, s[2:3]
.LBB3172_64:
	s_or_b64 exec, exec, s[4:5]
	v_cmp_lt_f32_e64 s[2:3], v2, v3
	v_cndmask_b32_e64 v6, v2, v3, s[2:3]
	v_cmp_lt_f32_e64 s[2:3], v6, v4
	v_cndmask_b32_e64 v6, v6, v4, s[2:3]
	;; [unrolled: 2-line block ×13, first 2 shown]
	v_add_lshl_u32 v1, v1, v0, 2
	v_cmp_gt_u32_e64 s[2:3], 64, v0
	ds_write_b32 v1, v6
	s_waitcnt lgkmcnt(0)
	s_barrier
	s_and_saveexec_b64 s[12:13], s[2:3]
	s_cbranch_execz .LBB3172_66
; %bb.65:
	v_lshlrev_b32_e32 v1, 1, v0
	v_lshrrev_b32_e32 v7, 4, v0
	v_add_lshl_u32 v1, v7, v1, 2
	ds_read2_b32 v[8:9], v1 offset1:1
	v_mbcnt_lo_u32_b32 v7, -1, 0
	v_mbcnt_hi_u32_b32 v7, -1, v7
	v_and_b32_e32 v10, 15, v7
	v_cmp_lt_u32_e64 s[8:9], 31, v7
	s_waitcnt lgkmcnt(0)
	v_cmp_lt_f32_e64 s[2:3], v8, v9
	v_cndmask_b32_e64 v9, v8, v9, s[2:3]
	v_cmp_gt_u32_e64 s[6:7], 32, v7
	s_nop 0
	v_mov_b32_dpp v11, v9 row_shr:1 row_mask:0xf bank_mask:0xf
	v_cmp_gt_f32_e64 s[2:3], v9, v11
	v_cndmask_b32_e64 v11, v11, v9, s[2:3]
	v_cmp_eq_u32_e64 s[2:3], 0, v10
	v_cndmask_b32_e64 v9, v11, v9, s[2:3]
	; wave barrier
	s_nop 1
	v_mov_b32_dpp v11, v9 row_shr:2 row_mask:0xf bank_mask:0xf
	v_cmp_gt_f32_e64 s[2:3], v9, v11
	v_cndmask_b32_e64 v11, v11, v9, s[2:3]
	v_cmp_lt_u32_e64 s[2:3], 1, v10
	v_cndmask_b32_e64 v11, v9, v11, s[2:3]
	s_nop 1
	v_mov_b32_dpp v12, v11 row_shr:4 row_mask:0xf bank_mask:0xf
	v_cmp_gt_f32_e64 s[4:5], v11, v12
	v_cndmask_b32_e64 v12, v12, v11, s[4:5]
	v_cmp_lt_u32_e64 s[4:5], 3, v10
	v_cndmask_b32_e64 v11, v11, v12, s[4:5]
	;; [unrolled: 6-line block ×3, first 2 shown]
	v_and_b32_e32 v12, 16, v7
	s_nop 0
	v_mov_b32_dpp v11, v10 row_bcast:15 row_mask:0xf bank_mask:0xf
	v_cmp_gt_f32_e64 s[4:5], v10, v11
	v_cndmask_b32_e64 v11, v11, v10, s[4:5]
	v_cmp_ne_u32_e64 s[4:5], 0, v12
	v_cndmask_b32_e64 v10, v10, v11, s[4:5]
	s_or_b64 s[8:9], s[4:5], s[8:9]
	s_or_b64 s[2:3], s[2:3], s[8:9]
	v_mov_b32_dpp v11, v10 row_bcast:31 row_mask:0xf bank_mask:0xf
	v_cmp_gt_f32_e64 s[4:5], v10, v11
	s_or_b64 s[4:5], s[6:7], s[4:5]
	v_cndmask_b32_e64 v10, v11, v10, s[4:5]
	v_cndmask_b32_e64 v9, v9, v10, s[2:3]
	v_add_u32_e32 v10, -1, v7
	v_and_b32_e32 v11, 64, v7
	v_cmp_lt_i32_e64 s[2:3], v10, v11
	v_cndmask_b32_e64 v7, v10, v7, s[2:3]
	v_lshlrev_b32_e32 v7, 2, v7
	ds_bpermute_b32 v7, v7, v9
	s_waitcnt lgkmcnt(0)
	v_cmp_gt_f32_e64 s[2:3], v8, v7
	v_cndmask_b32_e64 v7, v7, v8, s[2:3]
	v_cndmask_b32_e64 v7, v7, v6, s[0:1]
	ds_write_b32 v1, v7
	; wave barrier
	ds_read_b32 v8, v1 offset:4
	s_waitcnt lgkmcnt(0)
	v_cmp_lt_f32_e64 s[0:1], v7, v8
	v_cndmask_b32_e64 v7, v7, v8, s[0:1]
	ds_write_b32 v1, v7 offset:4
.LBB3172_66:
	s_or_b64 exec, exec, s[12:13]
	s_waitcnt lgkmcnt(0)
	s_barrier
	s_and_saveexec_b64 s[0:1], vcc
	s_cbranch_execz .LBB3172_68
; %bb.67:
	v_add_u32_e32 v1, -1, v0
	v_lshrrev_b32_e32 v6, 5, v1
	v_add_lshl_u32 v1, v6, v1, 2
	ds_read_b32 v6, v1
.LBB3172_68:
	s_or_b64 exec, exec, s[0:1]
	s_and_saveexec_b64 s[0:1], vcc
	s_cbranch_execz .LBB3172_70
; %bb.69:
	s_waitcnt lgkmcnt(0)
	v_cmp_gt_f32_e32 vcc, v2, v6
	v_cndmask_b32_e32 v2, v6, v2, vcc
	;;#ASMSTART
	;;#ASMEND
.LBB3172_70:
	s_or_b64 exec, exec, s[0:1]
	v_cmp_gt_f32_e32 vcc, v3, v2
	v_cndmask_b32_e32 v3, v2, v3, vcc
	v_cmp_lt_f32_e32 vcc, v3, v4
	v_cndmask_b32_e32 v4, v3, v4, vcc
	v_cmp_lt_f32_e32 vcc, v4, v5
	;; [unrolled: 2-line block ×3, first 2 shown]
	s_waitcnt lgkmcnt(0)
	v_cndmask_b32_e32 v6, v5, v26, vcc
	v_cmp_lt_f32_e32 vcc, v6, v27
	v_cndmask_b32_e32 v7, v6, v27, vcc
	v_cmp_lt_f32_e32 vcc, v7, v28
	;; [unrolled: 2-line block ×9, first 2 shown]
	s_movk_i32 s0, 0x7f
	v_cndmask_b32_e32 v15, v14, v31, vcc
	v_cmp_eq_u32_e32 vcc, s0, v0
	s_and_saveexec_b64 s[0:1], vcc
	s_cbranch_execz .LBB3172_72
; %bb.71:
	v_mov_b32_e32 v1, 0
	v_mov_b32_e32 v17, 2
	;; [unrolled: 1-line block ×3, first 2 shown]
	global_store_dwordx2 v1, v[16:17], s[18:19] offset:512
.LBB3172_72:
	s_or_b64 exec, exec, s[0:1]
	v_pk_mov_b32 v[20:21], v[16:17], v[16:17] op_sel:[0,1]
	v_pk_mov_b32 v[18:19], v[14:15], v[14:15] op_sel:[0,1]
	;; [unrolled: 1-line block ×8, first 2 shown]
.LBB3172_73:
	s_mov_b64 s[0:1], -1
	s_and_b64 vcc, exec, s[16:17]
	s_waitcnt lgkmcnt(0)
	s_barrier
	ds_write2_b64 v33, v[6:7], v[8:9] offset1:1
	ds_write2_b64 v33, v[10:11], v[12:13] offset0:2 offset1:3
	ds_write2_b64 v33, v[14:15], v[16:17] offset0:4 offset1:5
	ds_write_b64 v33, v[18:19] offset:48
	s_waitcnt lgkmcnt(0)
	s_cbranch_vccz .LBB3172_75
; %bb.74:
	s_barrier
	s_mov_b64 s[0:1], 0
.LBB3172_75:
	s_andn2_b64 vcc, exec, s[0:1]
	s_cbranch_vccnz .LBB3172_127
; %bb.76:
	v_cmp_lt_u64_e64 s[0:1], s[14:15], 2
	s_and_b64 vcc, exec, s[0:1]
	s_barrier
	s_cbranch_vccnz .LBB3172_127
; %bb.77:
	s_add_u32 s0, s20, -1
	s_addc_u32 s1, s21, -1
	s_add_u32 s2, 0, 0x49240800
	s_addc_u32 s3, 0, 50
	s_add_i32 s3, s3, 0x12492460
	s_mul_hi_u32 s7, s2, -14
	s_sub_i32 s7, s7, s2
	s_mul_i32 s8, s3, -14
	s_mul_i32 s4, s2, -14
	s_add_i32 s7, s7, s8
	s_mul_hi_u32 s5, s3, s4
	s_mul_i32 s6, s3, s4
	s_mul_i32 s9, s2, s7
	s_mul_hi_u32 s4, s2, s4
	s_mul_hi_u32 s8, s2, s7
	s_add_u32 s4, s4, s9
	s_addc_u32 s8, 0, s8
	s_add_u32 s4, s4, s6
	s_mul_hi_u32 s9, s3, s7
	s_addc_u32 s4, s8, s5
	s_addc_u32 s5, s9, 0
	s_mul_i32 s6, s3, s7
	s_add_u32 s4, s4, s6
	v_mov_b32_e32 v2, s4
	s_addc_u32 s5, 0, s5
	v_add_co_u32_e32 v2, vcc, s2, v2
	s_cmp_lg_u64 vcc, 0
	s_addc_u32 s2, s3, s5
	v_readfirstlane_b32 s5, v2
	s_mul_i32 s4, s0, s2
	s_mul_hi_u32 s6, s0, s5
	s_mul_hi_u32 s3, s0, s2
	s_add_u32 s4, s6, s4
	s_addc_u32 s3, 0, s3
	s_mul_hi_u32 s7, s1, s5
	s_mul_i32 s5, s1, s5
	s_add_u32 s4, s4, s5
	s_mul_hi_u32 s6, s1, s2
	s_addc_u32 s3, s3, s7
	s_addc_u32 s4, s6, 0
	s_mul_i32 s2, s1, s2
	s_add_u32 s2, s3, s2
	s_addc_u32 s3, 0, s4
	s_add_u32 s4, s2, 1
	s_addc_u32 s5, s3, 0
	s_add_u32 s6, s2, 2
	s_mul_i32 s8, s3, 14
	s_mul_hi_u32 s9, s2, 14
	s_addc_u32 s7, s3, 0
	s_add_i32 s9, s9, s8
	s_mul_i32 s8, s2, 14
	v_mov_b32_e32 v2, s8
	v_sub_co_u32_e32 v2, vcc, s0, v2
	s_cmp_lg_u64 vcc, 0
	s_subb_u32 s8, s1, s9
	v_subrev_co_u32_e32 v3, vcc, 14, v2
	s_cmp_lg_u64 vcc, 0
	s_subb_u32 s9, s8, 0
	v_readfirstlane_b32 s12, v3
	s_cmp_gt_u32 s12, 13
	s_cselect_b32 s12, -1, 0
	s_cmp_eq_u32 s9, 0
	s_cselect_b32 s9, s12, -1
	s_cmp_lg_u32 s9, 0
	s_cselect_b32 s4, s6, s4
	v_readfirstlane_b32 s6, v2
	s_cselect_b32 s5, s7, s5
	s_cmp_gt_u32 s6, 13
	s_cselect_b32 s6, -1, 0
	s_cmp_eq_u32 s8, 0
	s_cselect_b32 s6, s6, -1
	s_cmp_lg_u32 s6, 0
	v_mov_b32_e32 v1, 0
	s_cselect_b32 s3, s5, s3
	s_cselect_b32 s2, s4, s2
	v_cmp_eq_u64_e32 vcc, s[2:3], v[0:1]
	s_and_saveexec_b64 s[2:3], vcc
	s_cbranch_execz .LBB3172_127
; %bb.78:
	s_movk_i32 s2, 0xffcc
	v_mad_i32_i24 v2, v0, s2, v33
	v_mul_hi_u32_u24_e32 v1, 14, v0
	v_mov_b32_e32 v3, s1
	v_sub_co_u32_e32 v0, vcc, s0, v32
	v_subb_co_u32_e32 v1, vcc, v3, v1, vcc
	v_cmp_lt_i64_e32 vcc, 6, v[0:1]
	s_and_saveexec_b64 s[0:1], vcc
	s_xor_b64 s[0:1], exec, s[0:1]
	s_cbranch_execz .LBB3172_104
; %bb.79:
	v_cmp_lt_i64_e32 vcc, 9, v[0:1]
	s_and_saveexec_b64 s[2:3], vcc
	s_xor_b64 s[2:3], exec, s[2:3]
	s_cbranch_execz .LBB3172_93
; %bb.80:
	;; [unrolled: 5-line block ×4, first 2 shown]
	ds_read_b32 v0, v2 offset:6656
	v_mov_b32_e32 v1, 0
                                        ; implicit-def: $vgpr2
	s_waitcnt lgkmcnt(0)
	global_store_dword v1, v0, s[10:11]
.LBB3172_83:
	s_andn2_saveexec_b64 s[6:7], s[6:7]
	s_cbranch_execz .LBB3172_85
; %bb.84:
	ds_read_b32 v0, v2 offset:6144
	v_mov_b32_e32 v1, 0
	s_waitcnt lgkmcnt(0)
	global_store_dword v1, v0, s[10:11]
.LBB3172_85:
	s_or_b64 exec, exec, s[6:7]
                                        ; implicit-def: $vgpr2
                                        ; implicit-def: $vgpr0_vgpr1
.LBB3172_86:
	s_andn2_saveexec_b64 s[4:5], s[4:5]
	s_cbranch_execz .LBB3172_92
; %bb.87:
	v_cmp_lt_i64_e32 vcc, 10, v[0:1]
	s_and_saveexec_b64 s[6:7], vcc
	s_xor_b64 s[6:7], exec, s[6:7]
	s_cbranch_execz .LBB3172_89
; %bb.88:
	ds_read_b32 v0, v2 offset:5632
	v_mov_b32_e32 v1, 0
                                        ; implicit-def: $vgpr2
	s_waitcnt lgkmcnt(0)
	global_store_dword v1, v0, s[10:11]
.LBB3172_89:
	s_andn2_saveexec_b64 s[6:7], s[6:7]
	s_cbranch_execz .LBB3172_91
; %bb.90:
	ds_read_b32 v0, v2 offset:5120
	v_mov_b32_e32 v1, 0
	s_waitcnt lgkmcnt(0)
	global_store_dword v1, v0, s[10:11]
.LBB3172_91:
	s_or_b64 exec, exec, s[6:7]
.LBB3172_92:
	s_or_b64 exec, exec, s[4:5]
                                        ; implicit-def: $vgpr2
                                        ; implicit-def: $vgpr0_vgpr1
.LBB3172_93:
	s_andn2_saveexec_b64 s[2:3], s[2:3]
	s_cbranch_execz .LBB3172_103
; %bb.94:
	v_cmp_lt_i64_e32 vcc, 7, v[0:1]
	s_and_saveexec_b64 s[4:5], vcc
	s_xor_b64 s[4:5], exec, s[4:5]
	s_cbranch_execz .LBB3172_100
; %bb.95:
	v_cmp_lt_i64_e32 vcc, 8, v[0:1]
	s_and_saveexec_b64 s[6:7], vcc
	s_xor_b64 s[6:7], exec, s[6:7]
	s_cbranch_execz .LBB3172_97
; %bb.96:
	ds_read_b32 v0, v2 offset:4608
	v_mov_b32_e32 v1, 0
                                        ; implicit-def: $vgpr2
	s_waitcnt lgkmcnt(0)
	global_store_dword v1, v0, s[10:11]
.LBB3172_97:
	s_andn2_saveexec_b64 s[6:7], s[6:7]
	s_cbranch_execz .LBB3172_99
; %bb.98:
	ds_read_b32 v0, v2 offset:4096
	v_mov_b32_e32 v1, 0
	s_waitcnt lgkmcnt(0)
	global_store_dword v1, v0, s[10:11]
.LBB3172_99:
	s_or_b64 exec, exec, s[6:7]
                                        ; implicit-def: $vgpr2
.LBB3172_100:
	s_andn2_saveexec_b64 s[4:5], s[4:5]
	s_cbranch_execz .LBB3172_102
; %bb.101:
	ds_read_b32 v0, v2 offset:3584
	v_mov_b32_e32 v1, 0
	s_waitcnt lgkmcnt(0)
	global_store_dword v1, v0, s[10:11]
.LBB3172_102:
	s_or_b64 exec, exec, s[4:5]
.LBB3172_103:
	s_or_b64 exec, exec, s[2:3]
                                        ; implicit-def: $vgpr0_vgpr1
                                        ; implicit-def: $vgpr2
.LBB3172_104:
	s_andn2_saveexec_b64 s[0:1], s[0:1]
	s_cbranch_execz .LBB3172_127
; %bb.105:
	v_cmp_lt_i64_e32 vcc, 3, v[0:1]
	s_and_saveexec_b64 s[0:1], vcc
	s_xor_b64 s[0:1], exec, s[0:1]
	s_cbranch_execz .LBB3172_115
; %bb.106:
	v_cmp_lt_i64_e32 vcc, 4, v[0:1]
	s_and_saveexec_b64 s[2:3], vcc
	s_xor_b64 s[2:3], exec, s[2:3]
	s_cbranch_execz .LBB3172_112
; %bb.107:
	v_cmp_lt_i64_e32 vcc, 5, v[0:1]
	s_and_saveexec_b64 s[4:5], vcc
	s_xor_b64 s[4:5], exec, s[4:5]
	s_cbranch_execz .LBB3172_109
; %bb.108:
	ds_read_b32 v0, v2 offset:3072
	v_mov_b32_e32 v1, 0
                                        ; implicit-def: $vgpr2
	s_waitcnt lgkmcnt(0)
	global_store_dword v1, v0, s[10:11]
.LBB3172_109:
	s_andn2_saveexec_b64 s[4:5], s[4:5]
	s_cbranch_execz .LBB3172_111
; %bb.110:
	ds_read_b32 v0, v2 offset:2560
	v_mov_b32_e32 v1, 0
	s_waitcnt lgkmcnt(0)
	global_store_dword v1, v0, s[10:11]
.LBB3172_111:
	s_or_b64 exec, exec, s[4:5]
                                        ; implicit-def: $vgpr2
.LBB3172_112:
	s_andn2_saveexec_b64 s[2:3], s[2:3]
	s_cbranch_execz .LBB3172_114
; %bb.113:
	ds_read_b32 v0, v2 offset:2048
	v_mov_b32_e32 v1, 0
	s_waitcnt lgkmcnt(0)
	global_store_dword v1, v0, s[10:11]
.LBB3172_114:
	s_or_b64 exec, exec, s[2:3]
                                        ; implicit-def: $vgpr0_vgpr1
                                        ; implicit-def: $vgpr2
.LBB3172_115:
	s_andn2_saveexec_b64 s[0:1], s[0:1]
	s_cbranch_execz .LBB3172_127
; %bb.116:
	v_cmp_lt_i64_e32 vcc, 1, v[0:1]
	s_and_saveexec_b64 s[0:1], vcc
	s_xor_b64 s[0:1], exec, s[0:1]
	s_cbranch_execz .LBB3172_122
; %bb.117:
	v_cmp_lt_i64_e32 vcc, 2, v[0:1]
	s_and_saveexec_b64 s[2:3], vcc
	s_xor_b64 s[2:3], exec, s[2:3]
	s_cbranch_execz .LBB3172_119
; %bb.118:
	ds_read_b32 v0, v2 offset:1536
	v_mov_b32_e32 v1, 0
                                        ; implicit-def: $vgpr2
	s_waitcnt lgkmcnt(0)
	global_store_dword v1, v0, s[10:11]
.LBB3172_119:
	s_andn2_saveexec_b64 s[2:3], s[2:3]
	s_cbranch_execz .LBB3172_121
; %bb.120:
	ds_read_b32 v0, v2 offset:1024
	v_mov_b32_e32 v1, 0
	s_waitcnt lgkmcnt(0)
	global_store_dword v1, v0, s[10:11]
.LBB3172_121:
	s_or_b64 exec, exec, s[2:3]
                                        ; implicit-def: $vgpr2
                                        ; implicit-def: $vgpr0_vgpr1
.LBB3172_122:
	s_andn2_saveexec_b64 s[0:1], s[0:1]
	s_cbranch_execz .LBB3172_127
; %bb.123:
	v_cmp_ne_u64_e32 vcc, 1, v[0:1]
	s_and_saveexec_b64 s[0:1], vcc
	s_xor_b64 s[0:1], exec, s[0:1]
	s_cbranch_execz .LBB3172_125
; %bb.124:
	ds_read_b32 v0, v2
	v_mov_b32_e32 v1, 0
                                        ; implicit-def: $vgpr2
	s_waitcnt lgkmcnt(0)
	global_store_dword v1, v0, s[10:11]
.LBB3172_125:
	s_andn2_saveexec_b64 s[0:1], s[0:1]
	s_cbranch_execz .LBB3172_127
; %bb.126:
	ds_read_b32 v0, v2 offset:512
	v_mov_b32_e32 v1, 0
	s_waitcnt lgkmcnt(0)
	global_store_dword v1, v0, s[10:11]
.LBB3172_127:
	s_endpgm
	.section	.rodata,"a",@progbits
	.p2align	6, 0x0
	.amdhsa_kernel _ZN7rocprim17ROCPRIM_400000_NS6detail17trampoline_kernelINS0_14default_configENS1_20scan_config_selectorIfEEZZNS1_9scan_implILNS1_25lookback_scan_determinismE0ELb0ELb0ES3_N6thrust23THRUST_200600_302600_NS6detail15normal_iteratorINS9_10device_ptrIfEEEENS9_16discard_iteratorINS9_11use_defaultEEEf11max_functorIfEfEEDaPvRmT3_T4_T5_mT6_P12ihipStream_tbENKUlT_T0_E_clISt17integral_constantIbLb1EESW_IbLb0EEEEDaSS_ST_EUlSS_E_NS1_11comp_targetILNS1_3genE4ELNS1_11target_archE910ELNS1_3gpuE8ELNS1_3repE0EEENS1_30default_config_static_selectorELNS0_4arch9wavefront6targetE1EEEvT1_
		.amdhsa_group_segment_fixed_size 7168
		.amdhsa_private_segment_fixed_size 0
		.amdhsa_kernarg_size 104
		.amdhsa_user_sgpr_count 6
		.amdhsa_user_sgpr_private_segment_buffer 1
		.amdhsa_user_sgpr_dispatch_ptr 0
		.amdhsa_user_sgpr_queue_ptr 0
		.amdhsa_user_sgpr_kernarg_segment_ptr 1
		.amdhsa_user_sgpr_dispatch_id 0
		.amdhsa_user_sgpr_flat_scratch_init 0
		.amdhsa_user_sgpr_kernarg_preload_length 0
		.amdhsa_user_sgpr_kernarg_preload_offset 0
		.amdhsa_user_sgpr_private_segment_size 0
		.amdhsa_uses_dynamic_stack 0
		.amdhsa_system_sgpr_private_segment_wavefront_offset 0
		.amdhsa_system_sgpr_workgroup_id_x 1
		.amdhsa_system_sgpr_workgroup_id_y 0
		.amdhsa_system_sgpr_workgroup_id_z 0
		.amdhsa_system_sgpr_workgroup_info 0
		.amdhsa_system_vgpr_workitem_id 0
		.amdhsa_next_free_vgpr 43
		.amdhsa_next_free_sgpr 22
		.amdhsa_accum_offset 44
		.amdhsa_reserve_vcc 1
		.amdhsa_reserve_flat_scratch 0
		.amdhsa_float_round_mode_32 0
		.amdhsa_float_round_mode_16_64 0
		.amdhsa_float_denorm_mode_32 3
		.amdhsa_float_denorm_mode_16_64 3
		.amdhsa_dx10_clamp 1
		.amdhsa_ieee_mode 1
		.amdhsa_fp16_overflow 0
		.amdhsa_tg_split 0
		.amdhsa_exception_fp_ieee_invalid_op 0
		.amdhsa_exception_fp_denorm_src 0
		.amdhsa_exception_fp_ieee_div_zero 0
		.amdhsa_exception_fp_ieee_overflow 0
		.amdhsa_exception_fp_ieee_underflow 0
		.amdhsa_exception_fp_ieee_inexact 0
		.amdhsa_exception_int_div_zero 0
	.end_amdhsa_kernel
	.section	.text._ZN7rocprim17ROCPRIM_400000_NS6detail17trampoline_kernelINS0_14default_configENS1_20scan_config_selectorIfEEZZNS1_9scan_implILNS1_25lookback_scan_determinismE0ELb0ELb0ES3_N6thrust23THRUST_200600_302600_NS6detail15normal_iteratorINS9_10device_ptrIfEEEENS9_16discard_iteratorINS9_11use_defaultEEEf11max_functorIfEfEEDaPvRmT3_T4_T5_mT6_P12ihipStream_tbENKUlT_T0_E_clISt17integral_constantIbLb1EESW_IbLb0EEEEDaSS_ST_EUlSS_E_NS1_11comp_targetILNS1_3genE4ELNS1_11target_archE910ELNS1_3gpuE8ELNS1_3repE0EEENS1_30default_config_static_selectorELNS0_4arch9wavefront6targetE1EEEvT1_,"axG",@progbits,_ZN7rocprim17ROCPRIM_400000_NS6detail17trampoline_kernelINS0_14default_configENS1_20scan_config_selectorIfEEZZNS1_9scan_implILNS1_25lookback_scan_determinismE0ELb0ELb0ES3_N6thrust23THRUST_200600_302600_NS6detail15normal_iteratorINS9_10device_ptrIfEEEENS9_16discard_iteratorINS9_11use_defaultEEEf11max_functorIfEfEEDaPvRmT3_T4_T5_mT6_P12ihipStream_tbENKUlT_T0_E_clISt17integral_constantIbLb1EESW_IbLb0EEEEDaSS_ST_EUlSS_E_NS1_11comp_targetILNS1_3genE4ELNS1_11target_archE910ELNS1_3gpuE8ELNS1_3repE0EEENS1_30default_config_static_selectorELNS0_4arch9wavefront6targetE1EEEvT1_,comdat
.Lfunc_end3172:
	.size	_ZN7rocprim17ROCPRIM_400000_NS6detail17trampoline_kernelINS0_14default_configENS1_20scan_config_selectorIfEEZZNS1_9scan_implILNS1_25lookback_scan_determinismE0ELb0ELb0ES3_N6thrust23THRUST_200600_302600_NS6detail15normal_iteratorINS9_10device_ptrIfEEEENS9_16discard_iteratorINS9_11use_defaultEEEf11max_functorIfEfEEDaPvRmT3_T4_T5_mT6_P12ihipStream_tbENKUlT_T0_E_clISt17integral_constantIbLb1EESW_IbLb0EEEEDaSS_ST_EUlSS_E_NS1_11comp_targetILNS1_3genE4ELNS1_11target_archE910ELNS1_3gpuE8ELNS1_3repE0EEENS1_30default_config_static_selectorELNS0_4arch9wavefront6targetE1EEEvT1_, .Lfunc_end3172-_ZN7rocprim17ROCPRIM_400000_NS6detail17trampoline_kernelINS0_14default_configENS1_20scan_config_selectorIfEEZZNS1_9scan_implILNS1_25lookback_scan_determinismE0ELb0ELb0ES3_N6thrust23THRUST_200600_302600_NS6detail15normal_iteratorINS9_10device_ptrIfEEEENS9_16discard_iteratorINS9_11use_defaultEEEf11max_functorIfEfEEDaPvRmT3_T4_T5_mT6_P12ihipStream_tbENKUlT_T0_E_clISt17integral_constantIbLb1EESW_IbLb0EEEEDaSS_ST_EUlSS_E_NS1_11comp_targetILNS1_3genE4ELNS1_11target_archE910ELNS1_3gpuE8ELNS1_3repE0EEENS1_30default_config_static_selectorELNS0_4arch9wavefront6targetE1EEEvT1_
                                        ; -- End function
	.section	.AMDGPU.csdata,"",@progbits
; Kernel info:
; codeLenInByte = 5756
; NumSgprs: 26
; NumVgprs: 43
; NumAgprs: 0
; TotalNumVgprs: 43
; ScratchSize: 0
; MemoryBound: 0
; FloatMode: 240
; IeeeMode: 1
; LDSByteSize: 7168 bytes/workgroup (compile time only)
; SGPRBlocks: 3
; VGPRBlocks: 5
; NumSGPRsForWavesPerEU: 26
; NumVGPRsForWavesPerEU: 43
; AccumOffset: 44
; Occupancy: 5
; WaveLimiterHint : 1
; COMPUTE_PGM_RSRC2:SCRATCH_EN: 0
; COMPUTE_PGM_RSRC2:USER_SGPR: 6
; COMPUTE_PGM_RSRC2:TRAP_HANDLER: 0
; COMPUTE_PGM_RSRC2:TGID_X_EN: 1
; COMPUTE_PGM_RSRC2:TGID_Y_EN: 0
; COMPUTE_PGM_RSRC2:TGID_Z_EN: 0
; COMPUTE_PGM_RSRC2:TIDIG_COMP_CNT: 0
; COMPUTE_PGM_RSRC3_GFX90A:ACCUM_OFFSET: 10
; COMPUTE_PGM_RSRC3_GFX90A:TG_SPLIT: 0
	.section	.text._ZN7rocprim17ROCPRIM_400000_NS6detail17trampoline_kernelINS0_14default_configENS1_20scan_config_selectorIfEEZZNS1_9scan_implILNS1_25lookback_scan_determinismE0ELb0ELb0ES3_N6thrust23THRUST_200600_302600_NS6detail15normal_iteratorINS9_10device_ptrIfEEEENS9_16discard_iteratorINS9_11use_defaultEEEf11max_functorIfEfEEDaPvRmT3_T4_T5_mT6_P12ihipStream_tbENKUlT_T0_E_clISt17integral_constantIbLb1EESW_IbLb0EEEEDaSS_ST_EUlSS_E_NS1_11comp_targetILNS1_3genE3ELNS1_11target_archE908ELNS1_3gpuE7ELNS1_3repE0EEENS1_30default_config_static_selectorELNS0_4arch9wavefront6targetE1EEEvT1_,"axG",@progbits,_ZN7rocprim17ROCPRIM_400000_NS6detail17trampoline_kernelINS0_14default_configENS1_20scan_config_selectorIfEEZZNS1_9scan_implILNS1_25lookback_scan_determinismE0ELb0ELb0ES3_N6thrust23THRUST_200600_302600_NS6detail15normal_iteratorINS9_10device_ptrIfEEEENS9_16discard_iteratorINS9_11use_defaultEEEf11max_functorIfEfEEDaPvRmT3_T4_T5_mT6_P12ihipStream_tbENKUlT_T0_E_clISt17integral_constantIbLb1EESW_IbLb0EEEEDaSS_ST_EUlSS_E_NS1_11comp_targetILNS1_3genE3ELNS1_11target_archE908ELNS1_3gpuE7ELNS1_3repE0EEENS1_30default_config_static_selectorELNS0_4arch9wavefront6targetE1EEEvT1_,comdat
	.protected	_ZN7rocprim17ROCPRIM_400000_NS6detail17trampoline_kernelINS0_14default_configENS1_20scan_config_selectorIfEEZZNS1_9scan_implILNS1_25lookback_scan_determinismE0ELb0ELb0ES3_N6thrust23THRUST_200600_302600_NS6detail15normal_iteratorINS9_10device_ptrIfEEEENS9_16discard_iteratorINS9_11use_defaultEEEf11max_functorIfEfEEDaPvRmT3_T4_T5_mT6_P12ihipStream_tbENKUlT_T0_E_clISt17integral_constantIbLb1EESW_IbLb0EEEEDaSS_ST_EUlSS_E_NS1_11comp_targetILNS1_3genE3ELNS1_11target_archE908ELNS1_3gpuE7ELNS1_3repE0EEENS1_30default_config_static_selectorELNS0_4arch9wavefront6targetE1EEEvT1_ ; -- Begin function _ZN7rocprim17ROCPRIM_400000_NS6detail17trampoline_kernelINS0_14default_configENS1_20scan_config_selectorIfEEZZNS1_9scan_implILNS1_25lookback_scan_determinismE0ELb0ELb0ES3_N6thrust23THRUST_200600_302600_NS6detail15normal_iteratorINS9_10device_ptrIfEEEENS9_16discard_iteratorINS9_11use_defaultEEEf11max_functorIfEfEEDaPvRmT3_T4_T5_mT6_P12ihipStream_tbENKUlT_T0_E_clISt17integral_constantIbLb1EESW_IbLb0EEEEDaSS_ST_EUlSS_E_NS1_11comp_targetILNS1_3genE3ELNS1_11target_archE908ELNS1_3gpuE7ELNS1_3repE0EEENS1_30default_config_static_selectorELNS0_4arch9wavefront6targetE1EEEvT1_
	.globl	_ZN7rocprim17ROCPRIM_400000_NS6detail17trampoline_kernelINS0_14default_configENS1_20scan_config_selectorIfEEZZNS1_9scan_implILNS1_25lookback_scan_determinismE0ELb0ELb0ES3_N6thrust23THRUST_200600_302600_NS6detail15normal_iteratorINS9_10device_ptrIfEEEENS9_16discard_iteratorINS9_11use_defaultEEEf11max_functorIfEfEEDaPvRmT3_T4_T5_mT6_P12ihipStream_tbENKUlT_T0_E_clISt17integral_constantIbLb1EESW_IbLb0EEEEDaSS_ST_EUlSS_E_NS1_11comp_targetILNS1_3genE3ELNS1_11target_archE908ELNS1_3gpuE7ELNS1_3repE0EEENS1_30default_config_static_selectorELNS0_4arch9wavefront6targetE1EEEvT1_
	.p2align	8
	.type	_ZN7rocprim17ROCPRIM_400000_NS6detail17trampoline_kernelINS0_14default_configENS1_20scan_config_selectorIfEEZZNS1_9scan_implILNS1_25lookback_scan_determinismE0ELb0ELb0ES3_N6thrust23THRUST_200600_302600_NS6detail15normal_iteratorINS9_10device_ptrIfEEEENS9_16discard_iteratorINS9_11use_defaultEEEf11max_functorIfEfEEDaPvRmT3_T4_T5_mT6_P12ihipStream_tbENKUlT_T0_E_clISt17integral_constantIbLb1EESW_IbLb0EEEEDaSS_ST_EUlSS_E_NS1_11comp_targetILNS1_3genE3ELNS1_11target_archE908ELNS1_3gpuE7ELNS1_3repE0EEENS1_30default_config_static_selectorELNS0_4arch9wavefront6targetE1EEEvT1_,@function
_ZN7rocprim17ROCPRIM_400000_NS6detail17trampoline_kernelINS0_14default_configENS1_20scan_config_selectorIfEEZZNS1_9scan_implILNS1_25lookback_scan_determinismE0ELb0ELb0ES3_N6thrust23THRUST_200600_302600_NS6detail15normal_iteratorINS9_10device_ptrIfEEEENS9_16discard_iteratorINS9_11use_defaultEEEf11max_functorIfEfEEDaPvRmT3_T4_T5_mT6_P12ihipStream_tbENKUlT_T0_E_clISt17integral_constantIbLb1EESW_IbLb0EEEEDaSS_ST_EUlSS_E_NS1_11comp_targetILNS1_3genE3ELNS1_11target_archE908ELNS1_3gpuE7ELNS1_3repE0EEENS1_30default_config_static_selectorELNS0_4arch9wavefront6targetE1EEEvT1_: ; @_ZN7rocprim17ROCPRIM_400000_NS6detail17trampoline_kernelINS0_14default_configENS1_20scan_config_selectorIfEEZZNS1_9scan_implILNS1_25lookback_scan_determinismE0ELb0ELb0ES3_N6thrust23THRUST_200600_302600_NS6detail15normal_iteratorINS9_10device_ptrIfEEEENS9_16discard_iteratorINS9_11use_defaultEEEf11max_functorIfEfEEDaPvRmT3_T4_T5_mT6_P12ihipStream_tbENKUlT_T0_E_clISt17integral_constantIbLb1EESW_IbLb0EEEEDaSS_ST_EUlSS_E_NS1_11comp_targetILNS1_3genE3ELNS1_11target_archE908ELNS1_3gpuE7ELNS1_3repE0EEENS1_30default_config_static_selectorELNS0_4arch9wavefront6targetE1EEEvT1_
; %bb.0:
	.section	.rodata,"a",@progbits
	.p2align	6, 0x0
	.amdhsa_kernel _ZN7rocprim17ROCPRIM_400000_NS6detail17trampoline_kernelINS0_14default_configENS1_20scan_config_selectorIfEEZZNS1_9scan_implILNS1_25lookback_scan_determinismE0ELb0ELb0ES3_N6thrust23THRUST_200600_302600_NS6detail15normal_iteratorINS9_10device_ptrIfEEEENS9_16discard_iteratorINS9_11use_defaultEEEf11max_functorIfEfEEDaPvRmT3_T4_T5_mT6_P12ihipStream_tbENKUlT_T0_E_clISt17integral_constantIbLb1EESW_IbLb0EEEEDaSS_ST_EUlSS_E_NS1_11comp_targetILNS1_3genE3ELNS1_11target_archE908ELNS1_3gpuE7ELNS1_3repE0EEENS1_30default_config_static_selectorELNS0_4arch9wavefront6targetE1EEEvT1_
		.amdhsa_group_segment_fixed_size 0
		.amdhsa_private_segment_fixed_size 0
		.amdhsa_kernarg_size 104
		.amdhsa_user_sgpr_count 6
		.amdhsa_user_sgpr_private_segment_buffer 1
		.amdhsa_user_sgpr_dispatch_ptr 0
		.amdhsa_user_sgpr_queue_ptr 0
		.amdhsa_user_sgpr_kernarg_segment_ptr 1
		.amdhsa_user_sgpr_dispatch_id 0
		.amdhsa_user_sgpr_flat_scratch_init 0
		.amdhsa_user_sgpr_kernarg_preload_length 0
		.amdhsa_user_sgpr_kernarg_preload_offset 0
		.amdhsa_user_sgpr_private_segment_size 0
		.amdhsa_uses_dynamic_stack 0
		.amdhsa_system_sgpr_private_segment_wavefront_offset 0
		.amdhsa_system_sgpr_workgroup_id_x 1
		.amdhsa_system_sgpr_workgroup_id_y 0
		.amdhsa_system_sgpr_workgroup_id_z 0
		.amdhsa_system_sgpr_workgroup_info 0
		.amdhsa_system_vgpr_workitem_id 0
		.amdhsa_next_free_vgpr 1
		.amdhsa_next_free_sgpr 0
		.amdhsa_accum_offset 4
		.amdhsa_reserve_vcc 0
		.amdhsa_reserve_flat_scratch 0
		.amdhsa_float_round_mode_32 0
		.amdhsa_float_round_mode_16_64 0
		.amdhsa_float_denorm_mode_32 3
		.amdhsa_float_denorm_mode_16_64 3
		.amdhsa_dx10_clamp 1
		.amdhsa_ieee_mode 1
		.amdhsa_fp16_overflow 0
		.amdhsa_tg_split 0
		.amdhsa_exception_fp_ieee_invalid_op 0
		.amdhsa_exception_fp_denorm_src 0
		.amdhsa_exception_fp_ieee_div_zero 0
		.amdhsa_exception_fp_ieee_overflow 0
		.amdhsa_exception_fp_ieee_underflow 0
		.amdhsa_exception_fp_ieee_inexact 0
		.amdhsa_exception_int_div_zero 0
	.end_amdhsa_kernel
	.section	.text._ZN7rocprim17ROCPRIM_400000_NS6detail17trampoline_kernelINS0_14default_configENS1_20scan_config_selectorIfEEZZNS1_9scan_implILNS1_25lookback_scan_determinismE0ELb0ELb0ES3_N6thrust23THRUST_200600_302600_NS6detail15normal_iteratorINS9_10device_ptrIfEEEENS9_16discard_iteratorINS9_11use_defaultEEEf11max_functorIfEfEEDaPvRmT3_T4_T5_mT6_P12ihipStream_tbENKUlT_T0_E_clISt17integral_constantIbLb1EESW_IbLb0EEEEDaSS_ST_EUlSS_E_NS1_11comp_targetILNS1_3genE3ELNS1_11target_archE908ELNS1_3gpuE7ELNS1_3repE0EEENS1_30default_config_static_selectorELNS0_4arch9wavefront6targetE1EEEvT1_,"axG",@progbits,_ZN7rocprim17ROCPRIM_400000_NS6detail17trampoline_kernelINS0_14default_configENS1_20scan_config_selectorIfEEZZNS1_9scan_implILNS1_25lookback_scan_determinismE0ELb0ELb0ES3_N6thrust23THRUST_200600_302600_NS6detail15normal_iteratorINS9_10device_ptrIfEEEENS9_16discard_iteratorINS9_11use_defaultEEEf11max_functorIfEfEEDaPvRmT3_T4_T5_mT6_P12ihipStream_tbENKUlT_T0_E_clISt17integral_constantIbLb1EESW_IbLb0EEEEDaSS_ST_EUlSS_E_NS1_11comp_targetILNS1_3genE3ELNS1_11target_archE908ELNS1_3gpuE7ELNS1_3repE0EEENS1_30default_config_static_selectorELNS0_4arch9wavefront6targetE1EEEvT1_,comdat
.Lfunc_end3173:
	.size	_ZN7rocprim17ROCPRIM_400000_NS6detail17trampoline_kernelINS0_14default_configENS1_20scan_config_selectorIfEEZZNS1_9scan_implILNS1_25lookback_scan_determinismE0ELb0ELb0ES3_N6thrust23THRUST_200600_302600_NS6detail15normal_iteratorINS9_10device_ptrIfEEEENS9_16discard_iteratorINS9_11use_defaultEEEf11max_functorIfEfEEDaPvRmT3_T4_T5_mT6_P12ihipStream_tbENKUlT_T0_E_clISt17integral_constantIbLb1EESW_IbLb0EEEEDaSS_ST_EUlSS_E_NS1_11comp_targetILNS1_3genE3ELNS1_11target_archE908ELNS1_3gpuE7ELNS1_3repE0EEENS1_30default_config_static_selectorELNS0_4arch9wavefront6targetE1EEEvT1_, .Lfunc_end3173-_ZN7rocprim17ROCPRIM_400000_NS6detail17trampoline_kernelINS0_14default_configENS1_20scan_config_selectorIfEEZZNS1_9scan_implILNS1_25lookback_scan_determinismE0ELb0ELb0ES3_N6thrust23THRUST_200600_302600_NS6detail15normal_iteratorINS9_10device_ptrIfEEEENS9_16discard_iteratorINS9_11use_defaultEEEf11max_functorIfEfEEDaPvRmT3_T4_T5_mT6_P12ihipStream_tbENKUlT_T0_E_clISt17integral_constantIbLb1EESW_IbLb0EEEEDaSS_ST_EUlSS_E_NS1_11comp_targetILNS1_3genE3ELNS1_11target_archE908ELNS1_3gpuE7ELNS1_3repE0EEENS1_30default_config_static_selectorELNS0_4arch9wavefront6targetE1EEEvT1_
                                        ; -- End function
	.section	.AMDGPU.csdata,"",@progbits
; Kernel info:
; codeLenInByte = 0
; NumSgprs: 4
; NumVgprs: 0
; NumAgprs: 0
; TotalNumVgprs: 0
; ScratchSize: 0
; MemoryBound: 0
; FloatMode: 240
; IeeeMode: 1
; LDSByteSize: 0 bytes/workgroup (compile time only)
; SGPRBlocks: 0
; VGPRBlocks: 0
; NumSGPRsForWavesPerEU: 4
; NumVGPRsForWavesPerEU: 1
; AccumOffset: 4
; Occupancy: 8
; WaveLimiterHint : 0
; COMPUTE_PGM_RSRC2:SCRATCH_EN: 0
; COMPUTE_PGM_RSRC2:USER_SGPR: 6
; COMPUTE_PGM_RSRC2:TRAP_HANDLER: 0
; COMPUTE_PGM_RSRC2:TGID_X_EN: 1
; COMPUTE_PGM_RSRC2:TGID_Y_EN: 0
; COMPUTE_PGM_RSRC2:TGID_Z_EN: 0
; COMPUTE_PGM_RSRC2:TIDIG_COMP_CNT: 0
; COMPUTE_PGM_RSRC3_GFX90A:ACCUM_OFFSET: 0
; COMPUTE_PGM_RSRC3_GFX90A:TG_SPLIT: 0
	.section	.text._ZN7rocprim17ROCPRIM_400000_NS6detail17trampoline_kernelINS0_14default_configENS1_20scan_config_selectorIfEEZZNS1_9scan_implILNS1_25lookback_scan_determinismE0ELb0ELb0ES3_N6thrust23THRUST_200600_302600_NS6detail15normal_iteratorINS9_10device_ptrIfEEEENS9_16discard_iteratorINS9_11use_defaultEEEf11max_functorIfEfEEDaPvRmT3_T4_T5_mT6_P12ihipStream_tbENKUlT_T0_E_clISt17integral_constantIbLb1EESW_IbLb0EEEEDaSS_ST_EUlSS_E_NS1_11comp_targetILNS1_3genE2ELNS1_11target_archE906ELNS1_3gpuE6ELNS1_3repE0EEENS1_30default_config_static_selectorELNS0_4arch9wavefront6targetE1EEEvT1_,"axG",@progbits,_ZN7rocprim17ROCPRIM_400000_NS6detail17trampoline_kernelINS0_14default_configENS1_20scan_config_selectorIfEEZZNS1_9scan_implILNS1_25lookback_scan_determinismE0ELb0ELb0ES3_N6thrust23THRUST_200600_302600_NS6detail15normal_iteratorINS9_10device_ptrIfEEEENS9_16discard_iteratorINS9_11use_defaultEEEf11max_functorIfEfEEDaPvRmT3_T4_T5_mT6_P12ihipStream_tbENKUlT_T0_E_clISt17integral_constantIbLb1EESW_IbLb0EEEEDaSS_ST_EUlSS_E_NS1_11comp_targetILNS1_3genE2ELNS1_11target_archE906ELNS1_3gpuE6ELNS1_3repE0EEENS1_30default_config_static_selectorELNS0_4arch9wavefront6targetE1EEEvT1_,comdat
	.protected	_ZN7rocprim17ROCPRIM_400000_NS6detail17trampoline_kernelINS0_14default_configENS1_20scan_config_selectorIfEEZZNS1_9scan_implILNS1_25lookback_scan_determinismE0ELb0ELb0ES3_N6thrust23THRUST_200600_302600_NS6detail15normal_iteratorINS9_10device_ptrIfEEEENS9_16discard_iteratorINS9_11use_defaultEEEf11max_functorIfEfEEDaPvRmT3_T4_T5_mT6_P12ihipStream_tbENKUlT_T0_E_clISt17integral_constantIbLb1EESW_IbLb0EEEEDaSS_ST_EUlSS_E_NS1_11comp_targetILNS1_3genE2ELNS1_11target_archE906ELNS1_3gpuE6ELNS1_3repE0EEENS1_30default_config_static_selectorELNS0_4arch9wavefront6targetE1EEEvT1_ ; -- Begin function _ZN7rocprim17ROCPRIM_400000_NS6detail17trampoline_kernelINS0_14default_configENS1_20scan_config_selectorIfEEZZNS1_9scan_implILNS1_25lookback_scan_determinismE0ELb0ELb0ES3_N6thrust23THRUST_200600_302600_NS6detail15normal_iteratorINS9_10device_ptrIfEEEENS9_16discard_iteratorINS9_11use_defaultEEEf11max_functorIfEfEEDaPvRmT3_T4_T5_mT6_P12ihipStream_tbENKUlT_T0_E_clISt17integral_constantIbLb1EESW_IbLb0EEEEDaSS_ST_EUlSS_E_NS1_11comp_targetILNS1_3genE2ELNS1_11target_archE906ELNS1_3gpuE6ELNS1_3repE0EEENS1_30default_config_static_selectorELNS0_4arch9wavefront6targetE1EEEvT1_
	.globl	_ZN7rocprim17ROCPRIM_400000_NS6detail17trampoline_kernelINS0_14default_configENS1_20scan_config_selectorIfEEZZNS1_9scan_implILNS1_25lookback_scan_determinismE0ELb0ELb0ES3_N6thrust23THRUST_200600_302600_NS6detail15normal_iteratorINS9_10device_ptrIfEEEENS9_16discard_iteratorINS9_11use_defaultEEEf11max_functorIfEfEEDaPvRmT3_T4_T5_mT6_P12ihipStream_tbENKUlT_T0_E_clISt17integral_constantIbLb1EESW_IbLb0EEEEDaSS_ST_EUlSS_E_NS1_11comp_targetILNS1_3genE2ELNS1_11target_archE906ELNS1_3gpuE6ELNS1_3repE0EEENS1_30default_config_static_selectorELNS0_4arch9wavefront6targetE1EEEvT1_
	.p2align	8
	.type	_ZN7rocprim17ROCPRIM_400000_NS6detail17trampoline_kernelINS0_14default_configENS1_20scan_config_selectorIfEEZZNS1_9scan_implILNS1_25lookback_scan_determinismE0ELb0ELb0ES3_N6thrust23THRUST_200600_302600_NS6detail15normal_iteratorINS9_10device_ptrIfEEEENS9_16discard_iteratorINS9_11use_defaultEEEf11max_functorIfEfEEDaPvRmT3_T4_T5_mT6_P12ihipStream_tbENKUlT_T0_E_clISt17integral_constantIbLb1EESW_IbLb0EEEEDaSS_ST_EUlSS_E_NS1_11comp_targetILNS1_3genE2ELNS1_11target_archE906ELNS1_3gpuE6ELNS1_3repE0EEENS1_30default_config_static_selectorELNS0_4arch9wavefront6targetE1EEEvT1_,@function
_ZN7rocprim17ROCPRIM_400000_NS6detail17trampoline_kernelINS0_14default_configENS1_20scan_config_selectorIfEEZZNS1_9scan_implILNS1_25lookback_scan_determinismE0ELb0ELb0ES3_N6thrust23THRUST_200600_302600_NS6detail15normal_iteratorINS9_10device_ptrIfEEEENS9_16discard_iteratorINS9_11use_defaultEEEf11max_functorIfEfEEDaPvRmT3_T4_T5_mT6_P12ihipStream_tbENKUlT_T0_E_clISt17integral_constantIbLb1EESW_IbLb0EEEEDaSS_ST_EUlSS_E_NS1_11comp_targetILNS1_3genE2ELNS1_11target_archE906ELNS1_3gpuE6ELNS1_3repE0EEENS1_30default_config_static_selectorELNS0_4arch9wavefront6targetE1EEEvT1_: ; @_ZN7rocprim17ROCPRIM_400000_NS6detail17trampoline_kernelINS0_14default_configENS1_20scan_config_selectorIfEEZZNS1_9scan_implILNS1_25lookback_scan_determinismE0ELb0ELb0ES3_N6thrust23THRUST_200600_302600_NS6detail15normal_iteratorINS9_10device_ptrIfEEEENS9_16discard_iteratorINS9_11use_defaultEEEf11max_functorIfEfEEDaPvRmT3_T4_T5_mT6_P12ihipStream_tbENKUlT_T0_E_clISt17integral_constantIbLb1EESW_IbLb0EEEEDaSS_ST_EUlSS_E_NS1_11comp_targetILNS1_3genE2ELNS1_11target_archE906ELNS1_3gpuE6ELNS1_3repE0EEENS1_30default_config_static_selectorELNS0_4arch9wavefront6targetE1EEEvT1_
; %bb.0:
	.section	.rodata,"a",@progbits
	.p2align	6, 0x0
	.amdhsa_kernel _ZN7rocprim17ROCPRIM_400000_NS6detail17trampoline_kernelINS0_14default_configENS1_20scan_config_selectorIfEEZZNS1_9scan_implILNS1_25lookback_scan_determinismE0ELb0ELb0ES3_N6thrust23THRUST_200600_302600_NS6detail15normal_iteratorINS9_10device_ptrIfEEEENS9_16discard_iteratorINS9_11use_defaultEEEf11max_functorIfEfEEDaPvRmT3_T4_T5_mT6_P12ihipStream_tbENKUlT_T0_E_clISt17integral_constantIbLb1EESW_IbLb0EEEEDaSS_ST_EUlSS_E_NS1_11comp_targetILNS1_3genE2ELNS1_11target_archE906ELNS1_3gpuE6ELNS1_3repE0EEENS1_30default_config_static_selectorELNS0_4arch9wavefront6targetE1EEEvT1_
		.amdhsa_group_segment_fixed_size 0
		.amdhsa_private_segment_fixed_size 0
		.amdhsa_kernarg_size 104
		.amdhsa_user_sgpr_count 6
		.amdhsa_user_sgpr_private_segment_buffer 1
		.amdhsa_user_sgpr_dispatch_ptr 0
		.amdhsa_user_sgpr_queue_ptr 0
		.amdhsa_user_sgpr_kernarg_segment_ptr 1
		.amdhsa_user_sgpr_dispatch_id 0
		.amdhsa_user_sgpr_flat_scratch_init 0
		.amdhsa_user_sgpr_kernarg_preload_length 0
		.amdhsa_user_sgpr_kernarg_preload_offset 0
		.amdhsa_user_sgpr_private_segment_size 0
		.amdhsa_uses_dynamic_stack 0
		.amdhsa_system_sgpr_private_segment_wavefront_offset 0
		.amdhsa_system_sgpr_workgroup_id_x 1
		.amdhsa_system_sgpr_workgroup_id_y 0
		.amdhsa_system_sgpr_workgroup_id_z 0
		.amdhsa_system_sgpr_workgroup_info 0
		.amdhsa_system_vgpr_workitem_id 0
		.amdhsa_next_free_vgpr 1
		.amdhsa_next_free_sgpr 0
		.amdhsa_accum_offset 4
		.amdhsa_reserve_vcc 0
		.amdhsa_reserve_flat_scratch 0
		.amdhsa_float_round_mode_32 0
		.amdhsa_float_round_mode_16_64 0
		.amdhsa_float_denorm_mode_32 3
		.amdhsa_float_denorm_mode_16_64 3
		.amdhsa_dx10_clamp 1
		.amdhsa_ieee_mode 1
		.amdhsa_fp16_overflow 0
		.amdhsa_tg_split 0
		.amdhsa_exception_fp_ieee_invalid_op 0
		.amdhsa_exception_fp_denorm_src 0
		.amdhsa_exception_fp_ieee_div_zero 0
		.amdhsa_exception_fp_ieee_overflow 0
		.amdhsa_exception_fp_ieee_underflow 0
		.amdhsa_exception_fp_ieee_inexact 0
		.amdhsa_exception_int_div_zero 0
	.end_amdhsa_kernel
	.section	.text._ZN7rocprim17ROCPRIM_400000_NS6detail17trampoline_kernelINS0_14default_configENS1_20scan_config_selectorIfEEZZNS1_9scan_implILNS1_25lookback_scan_determinismE0ELb0ELb0ES3_N6thrust23THRUST_200600_302600_NS6detail15normal_iteratorINS9_10device_ptrIfEEEENS9_16discard_iteratorINS9_11use_defaultEEEf11max_functorIfEfEEDaPvRmT3_T4_T5_mT6_P12ihipStream_tbENKUlT_T0_E_clISt17integral_constantIbLb1EESW_IbLb0EEEEDaSS_ST_EUlSS_E_NS1_11comp_targetILNS1_3genE2ELNS1_11target_archE906ELNS1_3gpuE6ELNS1_3repE0EEENS1_30default_config_static_selectorELNS0_4arch9wavefront6targetE1EEEvT1_,"axG",@progbits,_ZN7rocprim17ROCPRIM_400000_NS6detail17trampoline_kernelINS0_14default_configENS1_20scan_config_selectorIfEEZZNS1_9scan_implILNS1_25lookback_scan_determinismE0ELb0ELb0ES3_N6thrust23THRUST_200600_302600_NS6detail15normal_iteratorINS9_10device_ptrIfEEEENS9_16discard_iteratorINS9_11use_defaultEEEf11max_functorIfEfEEDaPvRmT3_T4_T5_mT6_P12ihipStream_tbENKUlT_T0_E_clISt17integral_constantIbLb1EESW_IbLb0EEEEDaSS_ST_EUlSS_E_NS1_11comp_targetILNS1_3genE2ELNS1_11target_archE906ELNS1_3gpuE6ELNS1_3repE0EEENS1_30default_config_static_selectorELNS0_4arch9wavefront6targetE1EEEvT1_,comdat
.Lfunc_end3174:
	.size	_ZN7rocprim17ROCPRIM_400000_NS6detail17trampoline_kernelINS0_14default_configENS1_20scan_config_selectorIfEEZZNS1_9scan_implILNS1_25lookback_scan_determinismE0ELb0ELb0ES3_N6thrust23THRUST_200600_302600_NS6detail15normal_iteratorINS9_10device_ptrIfEEEENS9_16discard_iteratorINS9_11use_defaultEEEf11max_functorIfEfEEDaPvRmT3_T4_T5_mT6_P12ihipStream_tbENKUlT_T0_E_clISt17integral_constantIbLb1EESW_IbLb0EEEEDaSS_ST_EUlSS_E_NS1_11comp_targetILNS1_3genE2ELNS1_11target_archE906ELNS1_3gpuE6ELNS1_3repE0EEENS1_30default_config_static_selectorELNS0_4arch9wavefront6targetE1EEEvT1_, .Lfunc_end3174-_ZN7rocprim17ROCPRIM_400000_NS6detail17trampoline_kernelINS0_14default_configENS1_20scan_config_selectorIfEEZZNS1_9scan_implILNS1_25lookback_scan_determinismE0ELb0ELb0ES3_N6thrust23THRUST_200600_302600_NS6detail15normal_iteratorINS9_10device_ptrIfEEEENS9_16discard_iteratorINS9_11use_defaultEEEf11max_functorIfEfEEDaPvRmT3_T4_T5_mT6_P12ihipStream_tbENKUlT_T0_E_clISt17integral_constantIbLb1EESW_IbLb0EEEEDaSS_ST_EUlSS_E_NS1_11comp_targetILNS1_3genE2ELNS1_11target_archE906ELNS1_3gpuE6ELNS1_3repE0EEENS1_30default_config_static_selectorELNS0_4arch9wavefront6targetE1EEEvT1_
                                        ; -- End function
	.section	.AMDGPU.csdata,"",@progbits
; Kernel info:
; codeLenInByte = 0
; NumSgprs: 4
; NumVgprs: 0
; NumAgprs: 0
; TotalNumVgprs: 0
; ScratchSize: 0
; MemoryBound: 0
; FloatMode: 240
; IeeeMode: 1
; LDSByteSize: 0 bytes/workgroup (compile time only)
; SGPRBlocks: 0
; VGPRBlocks: 0
; NumSGPRsForWavesPerEU: 4
; NumVGPRsForWavesPerEU: 1
; AccumOffset: 4
; Occupancy: 8
; WaveLimiterHint : 0
; COMPUTE_PGM_RSRC2:SCRATCH_EN: 0
; COMPUTE_PGM_RSRC2:USER_SGPR: 6
; COMPUTE_PGM_RSRC2:TRAP_HANDLER: 0
; COMPUTE_PGM_RSRC2:TGID_X_EN: 1
; COMPUTE_PGM_RSRC2:TGID_Y_EN: 0
; COMPUTE_PGM_RSRC2:TGID_Z_EN: 0
; COMPUTE_PGM_RSRC2:TIDIG_COMP_CNT: 0
; COMPUTE_PGM_RSRC3_GFX90A:ACCUM_OFFSET: 0
; COMPUTE_PGM_RSRC3_GFX90A:TG_SPLIT: 0
	.section	.text._ZN7rocprim17ROCPRIM_400000_NS6detail17trampoline_kernelINS0_14default_configENS1_20scan_config_selectorIfEEZZNS1_9scan_implILNS1_25lookback_scan_determinismE0ELb0ELb0ES3_N6thrust23THRUST_200600_302600_NS6detail15normal_iteratorINS9_10device_ptrIfEEEENS9_16discard_iteratorINS9_11use_defaultEEEf11max_functorIfEfEEDaPvRmT3_T4_T5_mT6_P12ihipStream_tbENKUlT_T0_E_clISt17integral_constantIbLb1EESW_IbLb0EEEEDaSS_ST_EUlSS_E_NS1_11comp_targetILNS1_3genE10ELNS1_11target_archE1201ELNS1_3gpuE5ELNS1_3repE0EEENS1_30default_config_static_selectorELNS0_4arch9wavefront6targetE1EEEvT1_,"axG",@progbits,_ZN7rocprim17ROCPRIM_400000_NS6detail17trampoline_kernelINS0_14default_configENS1_20scan_config_selectorIfEEZZNS1_9scan_implILNS1_25lookback_scan_determinismE0ELb0ELb0ES3_N6thrust23THRUST_200600_302600_NS6detail15normal_iteratorINS9_10device_ptrIfEEEENS9_16discard_iteratorINS9_11use_defaultEEEf11max_functorIfEfEEDaPvRmT3_T4_T5_mT6_P12ihipStream_tbENKUlT_T0_E_clISt17integral_constantIbLb1EESW_IbLb0EEEEDaSS_ST_EUlSS_E_NS1_11comp_targetILNS1_3genE10ELNS1_11target_archE1201ELNS1_3gpuE5ELNS1_3repE0EEENS1_30default_config_static_selectorELNS0_4arch9wavefront6targetE1EEEvT1_,comdat
	.protected	_ZN7rocprim17ROCPRIM_400000_NS6detail17trampoline_kernelINS0_14default_configENS1_20scan_config_selectorIfEEZZNS1_9scan_implILNS1_25lookback_scan_determinismE0ELb0ELb0ES3_N6thrust23THRUST_200600_302600_NS6detail15normal_iteratorINS9_10device_ptrIfEEEENS9_16discard_iteratorINS9_11use_defaultEEEf11max_functorIfEfEEDaPvRmT3_T4_T5_mT6_P12ihipStream_tbENKUlT_T0_E_clISt17integral_constantIbLb1EESW_IbLb0EEEEDaSS_ST_EUlSS_E_NS1_11comp_targetILNS1_3genE10ELNS1_11target_archE1201ELNS1_3gpuE5ELNS1_3repE0EEENS1_30default_config_static_selectorELNS0_4arch9wavefront6targetE1EEEvT1_ ; -- Begin function _ZN7rocprim17ROCPRIM_400000_NS6detail17trampoline_kernelINS0_14default_configENS1_20scan_config_selectorIfEEZZNS1_9scan_implILNS1_25lookback_scan_determinismE0ELb0ELb0ES3_N6thrust23THRUST_200600_302600_NS6detail15normal_iteratorINS9_10device_ptrIfEEEENS9_16discard_iteratorINS9_11use_defaultEEEf11max_functorIfEfEEDaPvRmT3_T4_T5_mT6_P12ihipStream_tbENKUlT_T0_E_clISt17integral_constantIbLb1EESW_IbLb0EEEEDaSS_ST_EUlSS_E_NS1_11comp_targetILNS1_3genE10ELNS1_11target_archE1201ELNS1_3gpuE5ELNS1_3repE0EEENS1_30default_config_static_selectorELNS0_4arch9wavefront6targetE1EEEvT1_
	.globl	_ZN7rocprim17ROCPRIM_400000_NS6detail17trampoline_kernelINS0_14default_configENS1_20scan_config_selectorIfEEZZNS1_9scan_implILNS1_25lookback_scan_determinismE0ELb0ELb0ES3_N6thrust23THRUST_200600_302600_NS6detail15normal_iteratorINS9_10device_ptrIfEEEENS9_16discard_iteratorINS9_11use_defaultEEEf11max_functorIfEfEEDaPvRmT3_T4_T5_mT6_P12ihipStream_tbENKUlT_T0_E_clISt17integral_constantIbLb1EESW_IbLb0EEEEDaSS_ST_EUlSS_E_NS1_11comp_targetILNS1_3genE10ELNS1_11target_archE1201ELNS1_3gpuE5ELNS1_3repE0EEENS1_30default_config_static_selectorELNS0_4arch9wavefront6targetE1EEEvT1_
	.p2align	8
	.type	_ZN7rocprim17ROCPRIM_400000_NS6detail17trampoline_kernelINS0_14default_configENS1_20scan_config_selectorIfEEZZNS1_9scan_implILNS1_25lookback_scan_determinismE0ELb0ELb0ES3_N6thrust23THRUST_200600_302600_NS6detail15normal_iteratorINS9_10device_ptrIfEEEENS9_16discard_iteratorINS9_11use_defaultEEEf11max_functorIfEfEEDaPvRmT3_T4_T5_mT6_P12ihipStream_tbENKUlT_T0_E_clISt17integral_constantIbLb1EESW_IbLb0EEEEDaSS_ST_EUlSS_E_NS1_11comp_targetILNS1_3genE10ELNS1_11target_archE1201ELNS1_3gpuE5ELNS1_3repE0EEENS1_30default_config_static_selectorELNS0_4arch9wavefront6targetE1EEEvT1_,@function
_ZN7rocprim17ROCPRIM_400000_NS6detail17trampoline_kernelINS0_14default_configENS1_20scan_config_selectorIfEEZZNS1_9scan_implILNS1_25lookback_scan_determinismE0ELb0ELb0ES3_N6thrust23THRUST_200600_302600_NS6detail15normal_iteratorINS9_10device_ptrIfEEEENS9_16discard_iteratorINS9_11use_defaultEEEf11max_functorIfEfEEDaPvRmT3_T4_T5_mT6_P12ihipStream_tbENKUlT_T0_E_clISt17integral_constantIbLb1EESW_IbLb0EEEEDaSS_ST_EUlSS_E_NS1_11comp_targetILNS1_3genE10ELNS1_11target_archE1201ELNS1_3gpuE5ELNS1_3repE0EEENS1_30default_config_static_selectorELNS0_4arch9wavefront6targetE1EEEvT1_: ; @_ZN7rocprim17ROCPRIM_400000_NS6detail17trampoline_kernelINS0_14default_configENS1_20scan_config_selectorIfEEZZNS1_9scan_implILNS1_25lookback_scan_determinismE0ELb0ELb0ES3_N6thrust23THRUST_200600_302600_NS6detail15normal_iteratorINS9_10device_ptrIfEEEENS9_16discard_iteratorINS9_11use_defaultEEEf11max_functorIfEfEEDaPvRmT3_T4_T5_mT6_P12ihipStream_tbENKUlT_T0_E_clISt17integral_constantIbLb1EESW_IbLb0EEEEDaSS_ST_EUlSS_E_NS1_11comp_targetILNS1_3genE10ELNS1_11target_archE1201ELNS1_3gpuE5ELNS1_3repE0EEENS1_30default_config_static_selectorELNS0_4arch9wavefront6targetE1EEEvT1_
; %bb.0:
	.section	.rodata,"a",@progbits
	.p2align	6, 0x0
	.amdhsa_kernel _ZN7rocprim17ROCPRIM_400000_NS6detail17trampoline_kernelINS0_14default_configENS1_20scan_config_selectorIfEEZZNS1_9scan_implILNS1_25lookback_scan_determinismE0ELb0ELb0ES3_N6thrust23THRUST_200600_302600_NS6detail15normal_iteratorINS9_10device_ptrIfEEEENS9_16discard_iteratorINS9_11use_defaultEEEf11max_functorIfEfEEDaPvRmT3_T4_T5_mT6_P12ihipStream_tbENKUlT_T0_E_clISt17integral_constantIbLb1EESW_IbLb0EEEEDaSS_ST_EUlSS_E_NS1_11comp_targetILNS1_3genE10ELNS1_11target_archE1201ELNS1_3gpuE5ELNS1_3repE0EEENS1_30default_config_static_selectorELNS0_4arch9wavefront6targetE1EEEvT1_
		.amdhsa_group_segment_fixed_size 0
		.amdhsa_private_segment_fixed_size 0
		.amdhsa_kernarg_size 104
		.amdhsa_user_sgpr_count 6
		.amdhsa_user_sgpr_private_segment_buffer 1
		.amdhsa_user_sgpr_dispatch_ptr 0
		.amdhsa_user_sgpr_queue_ptr 0
		.amdhsa_user_sgpr_kernarg_segment_ptr 1
		.amdhsa_user_sgpr_dispatch_id 0
		.amdhsa_user_sgpr_flat_scratch_init 0
		.amdhsa_user_sgpr_kernarg_preload_length 0
		.amdhsa_user_sgpr_kernarg_preload_offset 0
		.amdhsa_user_sgpr_private_segment_size 0
		.amdhsa_uses_dynamic_stack 0
		.amdhsa_system_sgpr_private_segment_wavefront_offset 0
		.amdhsa_system_sgpr_workgroup_id_x 1
		.amdhsa_system_sgpr_workgroup_id_y 0
		.amdhsa_system_sgpr_workgroup_id_z 0
		.amdhsa_system_sgpr_workgroup_info 0
		.amdhsa_system_vgpr_workitem_id 0
		.amdhsa_next_free_vgpr 1
		.amdhsa_next_free_sgpr 0
		.amdhsa_accum_offset 4
		.amdhsa_reserve_vcc 0
		.amdhsa_reserve_flat_scratch 0
		.amdhsa_float_round_mode_32 0
		.amdhsa_float_round_mode_16_64 0
		.amdhsa_float_denorm_mode_32 3
		.amdhsa_float_denorm_mode_16_64 3
		.amdhsa_dx10_clamp 1
		.amdhsa_ieee_mode 1
		.amdhsa_fp16_overflow 0
		.amdhsa_tg_split 0
		.amdhsa_exception_fp_ieee_invalid_op 0
		.amdhsa_exception_fp_denorm_src 0
		.amdhsa_exception_fp_ieee_div_zero 0
		.amdhsa_exception_fp_ieee_overflow 0
		.amdhsa_exception_fp_ieee_underflow 0
		.amdhsa_exception_fp_ieee_inexact 0
		.amdhsa_exception_int_div_zero 0
	.end_amdhsa_kernel
	.section	.text._ZN7rocprim17ROCPRIM_400000_NS6detail17trampoline_kernelINS0_14default_configENS1_20scan_config_selectorIfEEZZNS1_9scan_implILNS1_25lookback_scan_determinismE0ELb0ELb0ES3_N6thrust23THRUST_200600_302600_NS6detail15normal_iteratorINS9_10device_ptrIfEEEENS9_16discard_iteratorINS9_11use_defaultEEEf11max_functorIfEfEEDaPvRmT3_T4_T5_mT6_P12ihipStream_tbENKUlT_T0_E_clISt17integral_constantIbLb1EESW_IbLb0EEEEDaSS_ST_EUlSS_E_NS1_11comp_targetILNS1_3genE10ELNS1_11target_archE1201ELNS1_3gpuE5ELNS1_3repE0EEENS1_30default_config_static_selectorELNS0_4arch9wavefront6targetE1EEEvT1_,"axG",@progbits,_ZN7rocprim17ROCPRIM_400000_NS6detail17trampoline_kernelINS0_14default_configENS1_20scan_config_selectorIfEEZZNS1_9scan_implILNS1_25lookback_scan_determinismE0ELb0ELb0ES3_N6thrust23THRUST_200600_302600_NS6detail15normal_iteratorINS9_10device_ptrIfEEEENS9_16discard_iteratorINS9_11use_defaultEEEf11max_functorIfEfEEDaPvRmT3_T4_T5_mT6_P12ihipStream_tbENKUlT_T0_E_clISt17integral_constantIbLb1EESW_IbLb0EEEEDaSS_ST_EUlSS_E_NS1_11comp_targetILNS1_3genE10ELNS1_11target_archE1201ELNS1_3gpuE5ELNS1_3repE0EEENS1_30default_config_static_selectorELNS0_4arch9wavefront6targetE1EEEvT1_,comdat
.Lfunc_end3175:
	.size	_ZN7rocprim17ROCPRIM_400000_NS6detail17trampoline_kernelINS0_14default_configENS1_20scan_config_selectorIfEEZZNS1_9scan_implILNS1_25lookback_scan_determinismE0ELb0ELb0ES3_N6thrust23THRUST_200600_302600_NS6detail15normal_iteratorINS9_10device_ptrIfEEEENS9_16discard_iteratorINS9_11use_defaultEEEf11max_functorIfEfEEDaPvRmT3_T4_T5_mT6_P12ihipStream_tbENKUlT_T0_E_clISt17integral_constantIbLb1EESW_IbLb0EEEEDaSS_ST_EUlSS_E_NS1_11comp_targetILNS1_3genE10ELNS1_11target_archE1201ELNS1_3gpuE5ELNS1_3repE0EEENS1_30default_config_static_selectorELNS0_4arch9wavefront6targetE1EEEvT1_, .Lfunc_end3175-_ZN7rocprim17ROCPRIM_400000_NS6detail17trampoline_kernelINS0_14default_configENS1_20scan_config_selectorIfEEZZNS1_9scan_implILNS1_25lookback_scan_determinismE0ELb0ELb0ES3_N6thrust23THRUST_200600_302600_NS6detail15normal_iteratorINS9_10device_ptrIfEEEENS9_16discard_iteratorINS9_11use_defaultEEEf11max_functorIfEfEEDaPvRmT3_T4_T5_mT6_P12ihipStream_tbENKUlT_T0_E_clISt17integral_constantIbLb1EESW_IbLb0EEEEDaSS_ST_EUlSS_E_NS1_11comp_targetILNS1_3genE10ELNS1_11target_archE1201ELNS1_3gpuE5ELNS1_3repE0EEENS1_30default_config_static_selectorELNS0_4arch9wavefront6targetE1EEEvT1_
                                        ; -- End function
	.section	.AMDGPU.csdata,"",@progbits
; Kernel info:
; codeLenInByte = 0
; NumSgprs: 4
; NumVgprs: 0
; NumAgprs: 0
; TotalNumVgprs: 0
; ScratchSize: 0
; MemoryBound: 0
; FloatMode: 240
; IeeeMode: 1
; LDSByteSize: 0 bytes/workgroup (compile time only)
; SGPRBlocks: 0
; VGPRBlocks: 0
; NumSGPRsForWavesPerEU: 4
; NumVGPRsForWavesPerEU: 1
; AccumOffset: 4
; Occupancy: 8
; WaveLimiterHint : 0
; COMPUTE_PGM_RSRC2:SCRATCH_EN: 0
; COMPUTE_PGM_RSRC2:USER_SGPR: 6
; COMPUTE_PGM_RSRC2:TRAP_HANDLER: 0
; COMPUTE_PGM_RSRC2:TGID_X_EN: 1
; COMPUTE_PGM_RSRC2:TGID_Y_EN: 0
; COMPUTE_PGM_RSRC2:TGID_Z_EN: 0
; COMPUTE_PGM_RSRC2:TIDIG_COMP_CNT: 0
; COMPUTE_PGM_RSRC3_GFX90A:ACCUM_OFFSET: 0
; COMPUTE_PGM_RSRC3_GFX90A:TG_SPLIT: 0
	.section	.text._ZN7rocprim17ROCPRIM_400000_NS6detail17trampoline_kernelINS0_14default_configENS1_20scan_config_selectorIfEEZZNS1_9scan_implILNS1_25lookback_scan_determinismE0ELb0ELb0ES3_N6thrust23THRUST_200600_302600_NS6detail15normal_iteratorINS9_10device_ptrIfEEEENS9_16discard_iteratorINS9_11use_defaultEEEf11max_functorIfEfEEDaPvRmT3_T4_T5_mT6_P12ihipStream_tbENKUlT_T0_E_clISt17integral_constantIbLb1EESW_IbLb0EEEEDaSS_ST_EUlSS_E_NS1_11comp_targetILNS1_3genE10ELNS1_11target_archE1200ELNS1_3gpuE4ELNS1_3repE0EEENS1_30default_config_static_selectorELNS0_4arch9wavefront6targetE1EEEvT1_,"axG",@progbits,_ZN7rocprim17ROCPRIM_400000_NS6detail17trampoline_kernelINS0_14default_configENS1_20scan_config_selectorIfEEZZNS1_9scan_implILNS1_25lookback_scan_determinismE0ELb0ELb0ES3_N6thrust23THRUST_200600_302600_NS6detail15normal_iteratorINS9_10device_ptrIfEEEENS9_16discard_iteratorINS9_11use_defaultEEEf11max_functorIfEfEEDaPvRmT3_T4_T5_mT6_P12ihipStream_tbENKUlT_T0_E_clISt17integral_constantIbLb1EESW_IbLb0EEEEDaSS_ST_EUlSS_E_NS1_11comp_targetILNS1_3genE10ELNS1_11target_archE1200ELNS1_3gpuE4ELNS1_3repE0EEENS1_30default_config_static_selectorELNS0_4arch9wavefront6targetE1EEEvT1_,comdat
	.protected	_ZN7rocprim17ROCPRIM_400000_NS6detail17trampoline_kernelINS0_14default_configENS1_20scan_config_selectorIfEEZZNS1_9scan_implILNS1_25lookback_scan_determinismE0ELb0ELb0ES3_N6thrust23THRUST_200600_302600_NS6detail15normal_iteratorINS9_10device_ptrIfEEEENS9_16discard_iteratorINS9_11use_defaultEEEf11max_functorIfEfEEDaPvRmT3_T4_T5_mT6_P12ihipStream_tbENKUlT_T0_E_clISt17integral_constantIbLb1EESW_IbLb0EEEEDaSS_ST_EUlSS_E_NS1_11comp_targetILNS1_3genE10ELNS1_11target_archE1200ELNS1_3gpuE4ELNS1_3repE0EEENS1_30default_config_static_selectorELNS0_4arch9wavefront6targetE1EEEvT1_ ; -- Begin function _ZN7rocprim17ROCPRIM_400000_NS6detail17trampoline_kernelINS0_14default_configENS1_20scan_config_selectorIfEEZZNS1_9scan_implILNS1_25lookback_scan_determinismE0ELb0ELb0ES3_N6thrust23THRUST_200600_302600_NS6detail15normal_iteratorINS9_10device_ptrIfEEEENS9_16discard_iteratorINS9_11use_defaultEEEf11max_functorIfEfEEDaPvRmT3_T4_T5_mT6_P12ihipStream_tbENKUlT_T0_E_clISt17integral_constantIbLb1EESW_IbLb0EEEEDaSS_ST_EUlSS_E_NS1_11comp_targetILNS1_3genE10ELNS1_11target_archE1200ELNS1_3gpuE4ELNS1_3repE0EEENS1_30default_config_static_selectorELNS0_4arch9wavefront6targetE1EEEvT1_
	.globl	_ZN7rocprim17ROCPRIM_400000_NS6detail17trampoline_kernelINS0_14default_configENS1_20scan_config_selectorIfEEZZNS1_9scan_implILNS1_25lookback_scan_determinismE0ELb0ELb0ES3_N6thrust23THRUST_200600_302600_NS6detail15normal_iteratorINS9_10device_ptrIfEEEENS9_16discard_iteratorINS9_11use_defaultEEEf11max_functorIfEfEEDaPvRmT3_T4_T5_mT6_P12ihipStream_tbENKUlT_T0_E_clISt17integral_constantIbLb1EESW_IbLb0EEEEDaSS_ST_EUlSS_E_NS1_11comp_targetILNS1_3genE10ELNS1_11target_archE1200ELNS1_3gpuE4ELNS1_3repE0EEENS1_30default_config_static_selectorELNS0_4arch9wavefront6targetE1EEEvT1_
	.p2align	8
	.type	_ZN7rocprim17ROCPRIM_400000_NS6detail17trampoline_kernelINS0_14default_configENS1_20scan_config_selectorIfEEZZNS1_9scan_implILNS1_25lookback_scan_determinismE0ELb0ELb0ES3_N6thrust23THRUST_200600_302600_NS6detail15normal_iteratorINS9_10device_ptrIfEEEENS9_16discard_iteratorINS9_11use_defaultEEEf11max_functorIfEfEEDaPvRmT3_T4_T5_mT6_P12ihipStream_tbENKUlT_T0_E_clISt17integral_constantIbLb1EESW_IbLb0EEEEDaSS_ST_EUlSS_E_NS1_11comp_targetILNS1_3genE10ELNS1_11target_archE1200ELNS1_3gpuE4ELNS1_3repE0EEENS1_30default_config_static_selectorELNS0_4arch9wavefront6targetE1EEEvT1_,@function
_ZN7rocprim17ROCPRIM_400000_NS6detail17trampoline_kernelINS0_14default_configENS1_20scan_config_selectorIfEEZZNS1_9scan_implILNS1_25lookback_scan_determinismE0ELb0ELb0ES3_N6thrust23THRUST_200600_302600_NS6detail15normal_iteratorINS9_10device_ptrIfEEEENS9_16discard_iteratorINS9_11use_defaultEEEf11max_functorIfEfEEDaPvRmT3_T4_T5_mT6_P12ihipStream_tbENKUlT_T0_E_clISt17integral_constantIbLb1EESW_IbLb0EEEEDaSS_ST_EUlSS_E_NS1_11comp_targetILNS1_3genE10ELNS1_11target_archE1200ELNS1_3gpuE4ELNS1_3repE0EEENS1_30default_config_static_selectorELNS0_4arch9wavefront6targetE1EEEvT1_: ; @_ZN7rocprim17ROCPRIM_400000_NS6detail17trampoline_kernelINS0_14default_configENS1_20scan_config_selectorIfEEZZNS1_9scan_implILNS1_25lookback_scan_determinismE0ELb0ELb0ES3_N6thrust23THRUST_200600_302600_NS6detail15normal_iteratorINS9_10device_ptrIfEEEENS9_16discard_iteratorINS9_11use_defaultEEEf11max_functorIfEfEEDaPvRmT3_T4_T5_mT6_P12ihipStream_tbENKUlT_T0_E_clISt17integral_constantIbLb1EESW_IbLb0EEEEDaSS_ST_EUlSS_E_NS1_11comp_targetILNS1_3genE10ELNS1_11target_archE1200ELNS1_3gpuE4ELNS1_3repE0EEENS1_30default_config_static_selectorELNS0_4arch9wavefront6targetE1EEEvT1_
; %bb.0:
	.section	.rodata,"a",@progbits
	.p2align	6, 0x0
	.amdhsa_kernel _ZN7rocprim17ROCPRIM_400000_NS6detail17trampoline_kernelINS0_14default_configENS1_20scan_config_selectorIfEEZZNS1_9scan_implILNS1_25lookback_scan_determinismE0ELb0ELb0ES3_N6thrust23THRUST_200600_302600_NS6detail15normal_iteratorINS9_10device_ptrIfEEEENS9_16discard_iteratorINS9_11use_defaultEEEf11max_functorIfEfEEDaPvRmT3_T4_T5_mT6_P12ihipStream_tbENKUlT_T0_E_clISt17integral_constantIbLb1EESW_IbLb0EEEEDaSS_ST_EUlSS_E_NS1_11comp_targetILNS1_3genE10ELNS1_11target_archE1200ELNS1_3gpuE4ELNS1_3repE0EEENS1_30default_config_static_selectorELNS0_4arch9wavefront6targetE1EEEvT1_
		.amdhsa_group_segment_fixed_size 0
		.amdhsa_private_segment_fixed_size 0
		.amdhsa_kernarg_size 104
		.amdhsa_user_sgpr_count 6
		.amdhsa_user_sgpr_private_segment_buffer 1
		.amdhsa_user_sgpr_dispatch_ptr 0
		.amdhsa_user_sgpr_queue_ptr 0
		.amdhsa_user_sgpr_kernarg_segment_ptr 1
		.amdhsa_user_sgpr_dispatch_id 0
		.amdhsa_user_sgpr_flat_scratch_init 0
		.amdhsa_user_sgpr_kernarg_preload_length 0
		.amdhsa_user_sgpr_kernarg_preload_offset 0
		.amdhsa_user_sgpr_private_segment_size 0
		.amdhsa_uses_dynamic_stack 0
		.amdhsa_system_sgpr_private_segment_wavefront_offset 0
		.amdhsa_system_sgpr_workgroup_id_x 1
		.amdhsa_system_sgpr_workgroup_id_y 0
		.amdhsa_system_sgpr_workgroup_id_z 0
		.amdhsa_system_sgpr_workgroup_info 0
		.amdhsa_system_vgpr_workitem_id 0
		.amdhsa_next_free_vgpr 1
		.amdhsa_next_free_sgpr 0
		.amdhsa_accum_offset 4
		.amdhsa_reserve_vcc 0
		.amdhsa_reserve_flat_scratch 0
		.amdhsa_float_round_mode_32 0
		.amdhsa_float_round_mode_16_64 0
		.amdhsa_float_denorm_mode_32 3
		.amdhsa_float_denorm_mode_16_64 3
		.amdhsa_dx10_clamp 1
		.amdhsa_ieee_mode 1
		.amdhsa_fp16_overflow 0
		.amdhsa_tg_split 0
		.amdhsa_exception_fp_ieee_invalid_op 0
		.amdhsa_exception_fp_denorm_src 0
		.amdhsa_exception_fp_ieee_div_zero 0
		.amdhsa_exception_fp_ieee_overflow 0
		.amdhsa_exception_fp_ieee_underflow 0
		.amdhsa_exception_fp_ieee_inexact 0
		.amdhsa_exception_int_div_zero 0
	.end_amdhsa_kernel
	.section	.text._ZN7rocprim17ROCPRIM_400000_NS6detail17trampoline_kernelINS0_14default_configENS1_20scan_config_selectorIfEEZZNS1_9scan_implILNS1_25lookback_scan_determinismE0ELb0ELb0ES3_N6thrust23THRUST_200600_302600_NS6detail15normal_iteratorINS9_10device_ptrIfEEEENS9_16discard_iteratorINS9_11use_defaultEEEf11max_functorIfEfEEDaPvRmT3_T4_T5_mT6_P12ihipStream_tbENKUlT_T0_E_clISt17integral_constantIbLb1EESW_IbLb0EEEEDaSS_ST_EUlSS_E_NS1_11comp_targetILNS1_3genE10ELNS1_11target_archE1200ELNS1_3gpuE4ELNS1_3repE0EEENS1_30default_config_static_selectorELNS0_4arch9wavefront6targetE1EEEvT1_,"axG",@progbits,_ZN7rocprim17ROCPRIM_400000_NS6detail17trampoline_kernelINS0_14default_configENS1_20scan_config_selectorIfEEZZNS1_9scan_implILNS1_25lookback_scan_determinismE0ELb0ELb0ES3_N6thrust23THRUST_200600_302600_NS6detail15normal_iteratorINS9_10device_ptrIfEEEENS9_16discard_iteratorINS9_11use_defaultEEEf11max_functorIfEfEEDaPvRmT3_T4_T5_mT6_P12ihipStream_tbENKUlT_T0_E_clISt17integral_constantIbLb1EESW_IbLb0EEEEDaSS_ST_EUlSS_E_NS1_11comp_targetILNS1_3genE10ELNS1_11target_archE1200ELNS1_3gpuE4ELNS1_3repE0EEENS1_30default_config_static_selectorELNS0_4arch9wavefront6targetE1EEEvT1_,comdat
.Lfunc_end3176:
	.size	_ZN7rocprim17ROCPRIM_400000_NS6detail17trampoline_kernelINS0_14default_configENS1_20scan_config_selectorIfEEZZNS1_9scan_implILNS1_25lookback_scan_determinismE0ELb0ELb0ES3_N6thrust23THRUST_200600_302600_NS6detail15normal_iteratorINS9_10device_ptrIfEEEENS9_16discard_iteratorINS9_11use_defaultEEEf11max_functorIfEfEEDaPvRmT3_T4_T5_mT6_P12ihipStream_tbENKUlT_T0_E_clISt17integral_constantIbLb1EESW_IbLb0EEEEDaSS_ST_EUlSS_E_NS1_11comp_targetILNS1_3genE10ELNS1_11target_archE1200ELNS1_3gpuE4ELNS1_3repE0EEENS1_30default_config_static_selectorELNS0_4arch9wavefront6targetE1EEEvT1_, .Lfunc_end3176-_ZN7rocprim17ROCPRIM_400000_NS6detail17trampoline_kernelINS0_14default_configENS1_20scan_config_selectorIfEEZZNS1_9scan_implILNS1_25lookback_scan_determinismE0ELb0ELb0ES3_N6thrust23THRUST_200600_302600_NS6detail15normal_iteratorINS9_10device_ptrIfEEEENS9_16discard_iteratorINS9_11use_defaultEEEf11max_functorIfEfEEDaPvRmT3_T4_T5_mT6_P12ihipStream_tbENKUlT_T0_E_clISt17integral_constantIbLb1EESW_IbLb0EEEEDaSS_ST_EUlSS_E_NS1_11comp_targetILNS1_3genE10ELNS1_11target_archE1200ELNS1_3gpuE4ELNS1_3repE0EEENS1_30default_config_static_selectorELNS0_4arch9wavefront6targetE1EEEvT1_
                                        ; -- End function
	.section	.AMDGPU.csdata,"",@progbits
; Kernel info:
; codeLenInByte = 0
; NumSgprs: 4
; NumVgprs: 0
; NumAgprs: 0
; TotalNumVgprs: 0
; ScratchSize: 0
; MemoryBound: 0
; FloatMode: 240
; IeeeMode: 1
; LDSByteSize: 0 bytes/workgroup (compile time only)
; SGPRBlocks: 0
; VGPRBlocks: 0
; NumSGPRsForWavesPerEU: 4
; NumVGPRsForWavesPerEU: 1
; AccumOffset: 4
; Occupancy: 8
; WaveLimiterHint : 0
; COMPUTE_PGM_RSRC2:SCRATCH_EN: 0
; COMPUTE_PGM_RSRC2:USER_SGPR: 6
; COMPUTE_PGM_RSRC2:TRAP_HANDLER: 0
; COMPUTE_PGM_RSRC2:TGID_X_EN: 1
; COMPUTE_PGM_RSRC2:TGID_Y_EN: 0
; COMPUTE_PGM_RSRC2:TGID_Z_EN: 0
; COMPUTE_PGM_RSRC2:TIDIG_COMP_CNT: 0
; COMPUTE_PGM_RSRC3_GFX90A:ACCUM_OFFSET: 0
; COMPUTE_PGM_RSRC3_GFX90A:TG_SPLIT: 0
	.section	.text._ZN7rocprim17ROCPRIM_400000_NS6detail17trampoline_kernelINS0_14default_configENS1_20scan_config_selectorIfEEZZNS1_9scan_implILNS1_25lookback_scan_determinismE0ELb0ELb0ES3_N6thrust23THRUST_200600_302600_NS6detail15normal_iteratorINS9_10device_ptrIfEEEENS9_16discard_iteratorINS9_11use_defaultEEEf11max_functorIfEfEEDaPvRmT3_T4_T5_mT6_P12ihipStream_tbENKUlT_T0_E_clISt17integral_constantIbLb1EESW_IbLb0EEEEDaSS_ST_EUlSS_E_NS1_11comp_targetILNS1_3genE9ELNS1_11target_archE1100ELNS1_3gpuE3ELNS1_3repE0EEENS1_30default_config_static_selectorELNS0_4arch9wavefront6targetE1EEEvT1_,"axG",@progbits,_ZN7rocprim17ROCPRIM_400000_NS6detail17trampoline_kernelINS0_14default_configENS1_20scan_config_selectorIfEEZZNS1_9scan_implILNS1_25lookback_scan_determinismE0ELb0ELb0ES3_N6thrust23THRUST_200600_302600_NS6detail15normal_iteratorINS9_10device_ptrIfEEEENS9_16discard_iteratorINS9_11use_defaultEEEf11max_functorIfEfEEDaPvRmT3_T4_T5_mT6_P12ihipStream_tbENKUlT_T0_E_clISt17integral_constantIbLb1EESW_IbLb0EEEEDaSS_ST_EUlSS_E_NS1_11comp_targetILNS1_3genE9ELNS1_11target_archE1100ELNS1_3gpuE3ELNS1_3repE0EEENS1_30default_config_static_selectorELNS0_4arch9wavefront6targetE1EEEvT1_,comdat
	.protected	_ZN7rocprim17ROCPRIM_400000_NS6detail17trampoline_kernelINS0_14default_configENS1_20scan_config_selectorIfEEZZNS1_9scan_implILNS1_25lookback_scan_determinismE0ELb0ELb0ES3_N6thrust23THRUST_200600_302600_NS6detail15normal_iteratorINS9_10device_ptrIfEEEENS9_16discard_iteratorINS9_11use_defaultEEEf11max_functorIfEfEEDaPvRmT3_T4_T5_mT6_P12ihipStream_tbENKUlT_T0_E_clISt17integral_constantIbLb1EESW_IbLb0EEEEDaSS_ST_EUlSS_E_NS1_11comp_targetILNS1_3genE9ELNS1_11target_archE1100ELNS1_3gpuE3ELNS1_3repE0EEENS1_30default_config_static_selectorELNS0_4arch9wavefront6targetE1EEEvT1_ ; -- Begin function _ZN7rocprim17ROCPRIM_400000_NS6detail17trampoline_kernelINS0_14default_configENS1_20scan_config_selectorIfEEZZNS1_9scan_implILNS1_25lookback_scan_determinismE0ELb0ELb0ES3_N6thrust23THRUST_200600_302600_NS6detail15normal_iteratorINS9_10device_ptrIfEEEENS9_16discard_iteratorINS9_11use_defaultEEEf11max_functorIfEfEEDaPvRmT3_T4_T5_mT6_P12ihipStream_tbENKUlT_T0_E_clISt17integral_constantIbLb1EESW_IbLb0EEEEDaSS_ST_EUlSS_E_NS1_11comp_targetILNS1_3genE9ELNS1_11target_archE1100ELNS1_3gpuE3ELNS1_3repE0EEENS1_30default_config_static_selectorELNS0_4arch9wavefront6targetE1EEEvT1_
	.globl	_ZN7rocprim17ROCPRIM_400000_NS6detail17trampoline_kernelINS0_14default_configENS1_20scan_config_selectorIfEEZZNS1_9scan_implILNS1_25lookback_scan_determinismE0ELb0ELb0ES3_N6thrust23THRUST_200600_302600_NS6detail15normal_iteratorINS9_10device_ptrIfEEEENS9_16discard_iteratorINS9_11use_defaultEEEf11max_functorIfEfEEDaPvRmT3_T4_T5_mT6_P12ihipStream_tbENKUlT_T0_E_clISt17integral_constantIbLb1EESW_IbLb0EEEEDaSS_ST_EUlSS_E_NS1_11comp_targetILNS1_3genE9ELNS1_11target_archE1100ELNS1_3gpuE3ELNS1_3repE0EEENS1_30default_config_static_selectorELNS0_4arch9wavefront6targetE1EEEvT1_
	.p2align	8
	.type	_ZN7rocprim17ROCPRIM_400000_NS6detail17trampoline_kernelINS0_14default_configENS1_20scan_config_selectorIfEEZZNS1_9scan_implILNS1_25lookback_scan_determinismE0ELb0ELb0ES3_N6thrust23THRUST_200600_302600_NS6detail15normal_iteratorINS9_10device_ptrIfEEEENS9_16discard_iteratorINS9_11use_defaultEEEf11max_functorIfEfEEDaPvRmT3_T4_T5_mT6_P12ihipStream_tbENKUlT_T0_E_clISt17integral_constantIbLb1EESW_IbLb0EEEEDaSS_ST_EUlSS_E_NS1_11comp_targetILNS1_3genE9ELNS1_11target_archE1100ELNS1_3gpuE3ELNS1_3repE0EEENS1_30default_config_static_selectorELNS0_4arch9wavefront6targetE1EEEvT1_,@function
_ZN7rocprim17ROCPRIM_400000_NS6detail17trampoline_kernelINS0_14default_configENS1_20scan_config_selectorIfEEZZNS1_9scan_implILNS1_25lookback_scan_determinismE0ELb0ELb0ES3_N6thrust23THRUST_200600_302600_NS6detail15normal_iteratorINS9_10device_ptrIfEEEENS9_16discard_iteratorINS9_11use_defaultEEEf11max_functorIfEfEEDaPvRmT3_T4_T5_mT6_P12ihipStream_tbENKUlT_T0_E_clISt17integral_constantIbLb1EESW_IbLb0EEEEDaSS_ST_EUlSS_E_NS1_11comp_targetILNS1_3genE9ELNS1_11target_archE1100ELNS1_3gpuE3ELNS1_3repE0EEENS1_30default_config_static_selectorELNS0_4arch9wavefront6targetE1EEEvT1_: ; @_ZN7rocprim17ROCPRIM_400000_NS6detail17trampoline_kernelINS0_14default_configENS1_20scan_config_selectorIfEEZZNS1_9scan_implILNS1_25lookback_scan_determinismE0ELb0ELb0ES3_N6thrust23THRUST_200600_302600_NS6detail15normal_iteratorINS9_10device_ptrIfEEEENS9_16discard_iteratorINS9_11use_defaultEEEf11max_functorIfEfEEDaPvRmT3_T4_T5_mT6_P12ihipStream_tbENKUlT_T0_E_clISt17integral_constantIbLb1EESW_IbLb0EEEEDaSS_ST_EUlSS_E_NS1_11comp_targetILNS1_3genE9ELNS1_11target_archE1100ELNS1_3gpuE3ELNS1_3repE0EEENS1_30default_config_static_selectorELNS0_4arch9wavefront6targetE1EEEvT1_
; %bb.0:
	.section	.rodata,"a",@progbits
	.p2align	6, 0x0
	.amdhsa_kernel _ZN7rocprim17ROCPRIM_400000_NS6detail17trampoline_kernelINS0_14default_configENS1_20scan_config_selectorIfEEZZNS1_9scan_implILNS1_25lookback_scan_determinismE0ELb0ELb0ES3_N6thrust23THRUST_200600_302600_NS6detail15normal_iteratorINS9_10device_ptrIfEEEENS9_16discard_iteratorINS9_11use_defaultEEEf11max_functorIfEfEEDaPvRmT3_T4_T5_mT6_P12ihipStream_tbENKUlT_T0_E_clISt17integral_constantIbLb1EESW_IbLb0EEEEDaSS_ST_EUlSS_E_NS1_11comp_targetILNS1_3genE9ELNS1_11target_archE1100ELNS1_3gpuE3ELNS1_3repE0EEENS1_30default_config_static_selectorELNS0_4arch9wavefront6targetE1EEEvT1_
		.amdhsa_group_segment_fixed_size 0
		.amdhsa_private_segment_fixed_size 0
		.amdhsa_kernarg_size 104
		.amdhsa_user_sgpr_count 6
		.amdhsa_user_sgpr_private_segment_buffer 1
		.amdhsa_user_sgpr_dispatch_ptr 0
		.amdhsa_user_sgpr_queue_ptr 0
		.amdhsa_user_sgpr_kernarg_segment_ptr 1
		.amdhsa_user_sgpr_dispatch_id 0
		.amdhsa_user_sgpr_flat_scratch_init 0
		.amdhsa_user_sgpr_kernarg_preload_length 0
		.amdhsa_user_sgpr_kernarg_preload_offset 0
		.amdhsa_user_sgpr_private_segment_size 0
		.amdhsa_uses_dynamic_stack 0
		.amdhsa_system_sgpr_private_segment_wavefront_offset 0
		.amdhsa_system_sgpr_workgroup_id_x 1
		.amdhsa_system_sgpr_workgroup_id_y 0
		.amdhsa_system_sgpr_workgroup_id_z 0
		.amdhsa_system_sgpr_workgroup_info 0
		.amdhsa_system_vgpr_workitem_id 0
		.amdhsa_next_free_vgpr 1
		.amdhsa_next_free_sgpr 0
		.amdhsa_accum_offset 4
		.amdhsa_reserve_vcc 0
		.amdhsa_reserve_flat_scratch 0
		.amdhsa_float_round_mode_32 0
		.amdhsa_float_round_mode_16_64 0
		.amdhsa_float_denorm_mode_32 3
		.amdhsa_float_denorm_mode_16_64 3
		.amdhsa_dx10_clamp 1
		.amdhsa_ieee_mode 1
		.amdhsa_fp16_overflow 0
		.amdhsa_tg_split 0
		.amdhsa_exception_fp_ieee_invalid_op 0
		.amdhsa_exception_fp_denorm_src 0
		.amdhsa_exception_fp_ieee_div_zero 0
		.amdhsa_exception_fp_ieee_overflow 0
		.amdhsa_exception_fp_ieee_underflow 0
		.amdhsa_exception_fp_ieee_inexact 0
		.amdhsa_exception_int_div_zero 0
	.end_amdhsa_kernel
	.section	.text._ZN7rocprim17ROCPRIM_400000_NS6detail17trampoline_kernelINS0_14default_configENS1_20scan_config_selectorIfEEZZNS1_9scan_implILNS1_25lookback_scan_determinismE0ELb0ELb0ES3_N6thrust23THRUST_200600_302600_NS6detail15normal_iteratorINS9_10device_ptrIfEEEENS9_16discard_iteratorINS9_11use_defaultEEEf11max_functorIfEfEEDaPvRmT3_T4_T5_mT6_P12ihipStream_tbENKUlT_T0_E_clISt17integral_constantIbLb1EESW_IbLb0EEEEDaSS_ST_EUlSS_E_NS1_11comp_targetILNS1_3genE9ELNS1_11target_archE1100ELNS1_3gpuE3ELNS1_3repE0EEENS1_30default_config_static_selectorELNS0_4arch9wavefront6targetE1EEEvT1_,"axG",@progbits,_ZN7rocprim17ROCPRIM_400000_NS6detail17trampoline_kernelINS0_14default_configENS1_20scan_config_selectorIfEEZZNS1_9scan_implILNS1_25lookback_scan_determinismE0ELb0ELb0ES3_N6thrust23THRUST_200600_302600_NS6detail15normal_iteratorINS9_10device_ptrIfEEEENS9_16discard_iteratorINS9_11use_defaultEEEf11max_functorIfEfEEDaPvRmT3_T4_T5_mT6_P12ihipStream_tbENKUlT_T0_E_clISt17integral_constantIbLb1EESW_IbLb0EEEEDaSS_ST_EUlSS_E_NS1_11comp_targetILNS1_3genE9ELNS1_11target_archE1100ELNS1_3gpuE3ELNS1_3repE0EEENS1_30default_config_static_selectorELNS0_4arch9wavefront6targetE1EEEvT1_,comdat
.Lfunc_end3177:
	.size	_ZN7rocprim17ROCPRIM_400000_NS6detail17trampoline_kernelINS0_14default_configENS1_20scan_config_selectorIfEEZZNS1_9scan_implILNS1_25lookback_scan_determinismE0ELb0ELb0ES3_N6thrust23THRUST_200600_302600_NS6detail15normal_iteratorINS9_10device_ptrIfEEEENS9_16discard_iteratorINS9_11use_defaultEEEf11max_functorIfEfEEDaPvRmT3_T4_T5_mT6_P12ihipStream_tbENKUlT_T0_E_clISt17integral_constantIbLb1EESW_IbLb0EEEEDaSS_ST_EUlSS_E_NS1_11comp_targetILNS1_3genE9ELNS1_11target_archE1100ELNS1_3gpuE3ELNS1_3repE0EEENS1_30default_config_static_selectorELNS0_4arch9wavefront6targetE1EEEvT1_, .Lfunc_end3177-_ZN7rocprim17ROCPRIM_400000_NS6detail17trampoline_kernelINS0_14default_configENS1_20scan_config_selectorIfEEZZNS1_9scan_implILNS1_25lookback_scan_determinismE0ELb0ELb0ES3_N6thrust23THRUST_200600_302600_NS6detail15normal_iteratorINS9_10device_ptrIfEEEENS9_16discard_iteratorINS9_11use_defaultEEEf11max_functorIfEfEEDaPvRmT3_T4_T5_mT6_P12ihipStream_tbENKUlT_T0_E_clISt17integral_constantIbLb1EESW_IbLb0EEEEDaSS_ST_EUlSS_E_NS1_11comp_targetILNS1_3genE9ELNS1_11target_archE1100ELNS1_3gpuE3ELNS1_3repE0EEENS1_30default_config_static_selectorELNS0_4arch9wavefront6targetE1EEEvT1_
                                        ; -- End function
	.section	.AMDGPU.csdata,"",@progbits
; Kernel info:
; codeLenInByte = 0
; NumSgprs: 4
; NumVgprs: 0
; NumAgprs: 0
; TotalNumVgprs: 0
; ScratchSize: 0
; MemoryBound: 0
; FloatMode: 240
; IeeeMode: 1
; LDSByteSize: 0 bytes/workgroup (compile time only)
; SGPRBlocks: 0
; VGPRBlocks: 0
; NumSGPRsForWavesPerEU: 4
; NumVGPRsForWavesPerEU: 1
; AccumOffset: 4
; Occupancy: 8
; WaveLimiterHint : 0
; COMPUTE_PGM_RSRC2:SCRATCH_EN: 0
; COMPUTE_PGM_RSRC2:USER_SGPR: 6
; COMPUTE_PGM_RSRC2:TRAP_HANDLER: 0
; COMPUTE_PGM_RSRC2:TGID_X_EN: 1
; COMPUTE_PGM_RSRC2:TGID_Y_EN: 0
; COMPUTE_PGM_RSRC2:TGID_Z_EN: 0
; COMPUTE_PGM_RSRC2:TIDIG_COMP_CNT: 0
; COMPUTE_PGM_RSRC3_GFX90A:ACCUM_OFFSET: 0
; COMPUTE_PGM_RSRC3_GFX90A:TG_SPLIT: 0
	.section	.text._ZN7rocprim17ROCPRIM_400000_NS6detail17trampoline_kernelINS0_14default_configENS1_20scan_config_selectorIfEEZZNS1_9scan_implILNS1_25lookback_scan_determinismE0ELb0ELb0ES3_N6thrust23THRUST_200600_302600_NS6detail15normal_iteratorINS9_10device_ptrIfEEEENS9_16discard_iteratorINS9_11use_defaultEEEf11max_functorIfEfEEDaPvRmT3_T4_T5_mT6_P12ihipStream_tbENKUlT_T0_E_clISt17integral_constantIbLb1EESW_IbLb0EEEEDaSS_ST_EUlSS_E_NS1_11comp_targetILNS1_3genE8ELNS1_11target_archE1030ELNS1_3gpuE2ELNS1_3repE0EEENS1_30default_config_static_selectorELNS0_4arch9wavefront6targetE1EEEvT1_,"axG",@progbits,_ZN7rocprim17ROCPRIM_400000_NS6detail17trampoline_kernelINS0_14default_configENS1_20scan_config_selectorIfEEZZNS1_9scan_implILNS1_25lookback_scan_determinismE0ELb0ELb0ES3_N6thrust23THRUST_200600_302600_NS6detail15normal_iteratorINS9_10device_ptrIfEEEENS9_16discard_iteratorINS9_11use_defaultEEEf11max_functorIfEfEEDaPvRmT3_T4_T5_mT6_P12ihipStream_tbENKUlT_T0_E_clISt17integral_constantIbLb1EESW_IbLb0EEEEDaSS_ST_EUlSS_E_NS1_11comp_targetILNS1_3genE8ELNS1_11target_archE1030ELNS1_3gpuE2ELNS1_3repE0EEENS1_30default_config_static_selectorELNS0_4arch9wavefront6targetE1EEEvT1_,comdat
	.protected	_ZN7rocprim17ROCPRIM_400000_NS6detail17trampoline_kernelINS0_14default_configENS1_20scan_config_selectorIfEEZZNS1_9scan_implILNS1_25lookback_scan_determinismE0ELb0ELb0ES3_N6thrust23THRUST_200600_302600_NS6detail15normal_iteratorINS9_10device_ptrIfEEEENS9_16discard_iteratorINS9_11use_defaultEEEf11max_functorIfEfEEDaPvRmT3_T4_T5_mT6_P12ihipStream_tbENKUlT_T0_E_clISt17integral_constantIbLb1EESW_IbLb0EEEEDaSS_ST_EUlSS_E_NS1_11comp_targetILNS1_3genE8ELNS1_11target_archE1030ELNS1_3gpuE2ELNS1_3repE0EEENS1_30default_config_static_selectorELNS0_4arch9wavefront6targetE1EEEvT1_ ; -- Begin function _ZN7rocprim17ROCPRIM_400000_NS6detail17trampoline_kernelINS0_14default_configENS1_20scan_config_selectorIfEEZZNS1_9scan_implILNS1_25lookback_scan_determinismE0ELb0ELb0ES3_N6thrust23THRUST_200600_302600_NS6detail15normal_iteratorINS9_10device_ptrIfEEEENS9_16discard_iteratorINS9_11use_defaultEEEf11max_functorIfEfEEDaPvRmT3_T4_T5_mT6_P12ihipStream_tbENKUlT_T0_E_clISt17integral_constantIbLb1EESW_IbLb0EEEEDaSS_ST_EUlSS_E_NS1_11comp_targetILNS1_3genE8ELNS1_11target_archE1030ELNS1_3gpuE2ELNS1_3repE0EEENS1_30default_config_static_selectorELNS0_4arch9wavefront6targetE1EEEvT1_
	.globl	_ZN7rocprim17ROCPRIM_400000_NS6detail17trampoline_kernelINS0_14default_configENS1_20scan_config_selectorIfEEZZNS1_9scan_implILNS1_25lookback_scan_determinismE0ELb0ELb0ES3_N6thrust23THRUST_200600_302600_NS6detail15normal_iteratorINS9_10device_ptrIfEEEENS9_16discard_iteratorINS9_11use_defaultEEEf11max_functorIfEfEEDaPvRmT3_T4_T5_mT6_P12ihipStream_tbENKUlT_T0_E_clISt17integral_constantIbLb1EESW_IbLb0EEEEDaSS_ST_EUlSS_E_NS1_11comp_targetILNS1_3genE8ELNS1_11target_archE1030ELNS1_3gpuE2ELNS1_3repE0EEENS1_30default_config_static_selectorELNS0_4arch9wavefront6targetE1EEEvT1_
	.p2align	8
	.type	_ZN7rocprim17ROCPRIM_400000_NS6detail17trampoline_kernelINS0_14default_configENS1_20scan_config_selectorIfEEZZNS1_9scan_implILNS1_25lookback_scan_determinismE0ELb0ELb0ES3_N6thrust23THRUST_200600_302600_NS6detail15normal_iteratorINS9_10device_ptrIfEEEENS9_16discard_iteratorINS9_11use_defaultEEEf11max_functorIfEfEEDaPvRmT3_T4_T5_mT6_P12ihipStream_tbENKUlT_T0_E_clISt17integral_constantIbLb1EESW_IbLb0EEEEDaSS_ST_EUlSS_E_NS1_11comp_targetILNS1_3genE8ELNS1_11target_archE1030ELNS1_3gpuE2ELNS1_3repE0EEENS1_30default_config_static_selectorELNS0_4arch9wavefront6targetE1EEEvT1_,@function
_ZN7rocprim17ROCPRIM_400000_NS6detail17trampoline_kernelINS0_14default_configENS1_20scan_config_selectorIfEEZZNS1_9scan_implILNS1_25lookback_scan_determinismE0ELb0ELb0ES3_N6thrust23THRUST_200600_302600_NS6detail15normal_iteratorINS9_10device_ptrIfEEEENS9_16discard_iteratorINS9_11use_defaultEEEf11max_functorIfEfEEDaPvRmT3_T4_T5_mT6_P12ihipStream_tbENKUlT_T0_E_clISt17integral_constantIbLb1EESW_IbLb0EEEEDaSS_ST_EUlSS_E_NS1_11comp_targetILNS1_3genE8ELNS1_11target_archE1030ELNS1_3gpuE2ELNS1_3repE0EEENS1_30default_config_static_selectorELNS0_4arch9wavefront6targetE1EEEvT1_: ; @_ZN7rocprim17ROCPRIM_400000_NS6detail17trampoline_kernelINS0_14default_configENS1_20scan_config_selectorIfEEZZNS1_9scan_implILNS1_25lookback_scan_determinismE0ELb0ELb0ES3_N6thrust23THRUST_200600_302600_NS6detail15normal_iteratorINS9_10device_ptrIfEEEENS9_16discard_iteratorINS9_11use_defaultEEEf11max_functorIfEfEEDaPvRmT3_T4_T5_mT6_P12ihipStream_tbENKUlT_T0_E_clISt17integral_constantIbLb1EESW_IbLb0EEEEDaSS_ST_EUlSS_E_NS1_11comp_targetILNS1_3genE8ELNS1_11target_archE1030ELNS1_3gpuE2ELNS1_3repE0EEENS1_30default_config_static_selectorELNS0_4arch9wavefront6targetE1EEEvT1_
; %bb.0:
	.section	.rodata,"a",@progbits
	.p2align	6, 0x0
	.amdhsa_kernel _ZN7rocprim17ROCPRIM_400000_NS6detail17trampoline_kernelINS0_14default_configENS1_20scan_config_selectorIfEEZZNS1_9scan_implILNS1_25lookback_scan_determinismE0ELb0ELb0ES3_N6thrust23THRUST_200600_302600_NS6detail15normal_iteratorINS9_10device_ptrIfEEEENS9_16discard_iteratorINS9_11use_defaultEEEf11max_functorIfEfEEDaPvRmT3_T4_T5_mT6_P12ihipStream_tbENKUlT_T0_E_clISt17integral_constantIbLb1EESW_IbLb0EEEEDaSS_ST_EUlSS_E_NS1_11comp_targetILNS1_3genE8ELNS1_11target_archE1030ELNS1_3gpuE2ELNS1_3repE0EEENS1_30default_config_static_selectorELNS0_4arch9wavefront6targetE1EEEvT1_
		.amdhsa_group_segment_fixed_size 0
		.amdhsa_private_segment_fixed_size 0
		.amdhsa_kernarg_size 104
		.amdhsa_user_sgpr_count 6
		.amdhsa_user_sgpr_private_segment_buffer 1
		.amdhsa_user_sgpr_dispatch_ptr 0
		.amdhsa_user_sgpr_queue_ptr 0
		.amdhsa_user_sgpr_kernarg_segment_ptr 1
		.amdhsa_user_sgpr_dispatch_id 0
		.amdhsa_user_sgpr_flat_scratch_init 0
		.amdhsa_user_sgpr_kernarg_preload_length 0
		.amdhsa_user_sgpr_kernarg_preload_offset 0
		.amdhsa_user_sgpr_private_segment_size 0
		.amdhsa_uses_dynamic_stack 0
		.amdhsa_system_sgpr_private_segment_wavefront_offset 0
		.amdhsa_system_sgpr_workgroup_id_x 1
		.amdhsa_system_sgpr_workgroup_id_y 0
		.amdhsa_system_sgpr_workgroup_id_z 0
		.amdhsa_system_sgpr_workgroup_info 0
		.amdhsa_system_vgpr_workitem_id 0
		.amdhsa_next_free_vgpr 1
		.amdhsa_next_free_sgpr 0
		.amdhsa_accum_offset 4
		.amdhsa_reserve_vcc 0
		.amdhsa_reserve_flat_scratch 0
		.amdhsa_float_round_mode_32 0
		.amdhsa_float_round_mode_16_64 0
		.amdhsa_float_denorm_mode_32 3
		.amdhsa_float_denorm_mode_16_64 3
		.amdhsa_dx10_clamp 1
		.amdhsa_ieee_mode 1
		.amdhsa_fp16_overflow 0
		.amdhsa_tg_split 0
		.amdhsa_exception_fp_ieee_invalid_op 0
		.amdhsa_exception_fp_denorm_src 0
		.amdhsa_exception_fp_ieee_div_zero 0
		.amdhsa_exception_fp_ieee_overflow 0
		.amdhsa_exception_fp_ieee_underflow 0
		.amdhsa_exception_fp_ieee_inexact 0
		.amdhsa_exception_int_div_zero 0
	.end_amdhsa_kernel
	.section	.text._ZN7rocprim17ROCPRIM_400000_NS6detail17trampoline_kernelINS0_14default_configENS1_20scan_config_selectorIfEEZZNS1_9scan_implILNS1_25lookback_scan_determinismE0ELb0ELb0ES3_N6thrust23THRUST_200600_302600_NS6detail15normal_iteratorINS9_10device_ptrIfEEEENS9_16discard_iteratorINS9_11use_defaultEEEf11max_functorIfEfEEDaPvRmT3_T4_T5_mT6_P12ihipStream_tbENKUlT_T0_E_clISt17integral_constantIbLb1EESW_IbLb0EEEEDaSS_ST_EUlSS_E_NS1_11comp_targetILNS1_3genE8ELNS1_11target_archE1030ELNS1_3gpuE2ELNS1_3repE0EEENS1_30default_config_static_selectorELNS0_4arch9wavefront6targetE1EEEvT1_,"axG",@progbits,_ZN7rocprim17ROCPRIM_400000_NS6detail17trampoline_kernelINS0_14default_configENS1_20scan_config_selectorIfEEZZNS1_9scan_implILNS1_25lookback_scan_determinismE0ELb0ELb0ES3_N6thrust23THRUST_200600_302600_NS6detail15normal_iteratorINS9_10device_ptrIfEEEENS9_16discard_iteratorINS9_11use_defaultEEEf11max_functorIfEfEEDaPvRmT3_T4_T5_mT6_P12ihipStream_tbENKUlT_T0_E_clISt17integral_constantIbLb1EESW_IbLb0EEEEDaSS_ST_EUlSS_E_NS1_11comp_targetILNS1_3genE8ELNS1_11target_archE1030ELNS1_3gpuE2ELNS1_3repE0EEENS1_30default_config_static_selectorELNS0_4arch9wavefront6targetE1EEEvT1_,comdat
.Lfunc_end3178:
	.size	_ZN7rocprim17ROCPRIM_400000_NS6detail17trampoline_kernelINS0_14default_configENS1_20scan_config_selectorIfEEZZNS1_9scan_implILNS1_25lookback_scan_determinismE0ELb0ELb0ES3_N6thrust23THRUST_200600_302600_NS6detail15normal_iteratorINS9_10device_ptrIfEEEENS9_16discard_iteratorINS9_11use_defaultEEEf11max_functorIfEfEEDaPvRmT3_T4_T5_mT6_P12ihipStream_tbENKUlT_T0_E_clISt17integral_constantIbLb1EESW_IbLb0EEEEDaSS_ST_EUlSS_E_NS1_11comp_targetILNS1_3genE8ELNS1_11target_archE1030ELNS1_3gpuE2ELNS1_3repE0EEENS1_30default_config_static_selectorELNS0_4arch9wavefront6targetE1EEEvT1_, .Lfunc_end3178-_ZN7rocprim17ROCPRIM_400000_NS6detail17trampoline_kernelINS0_14default_configENS1_20scan_config_selectorIfEEZZNS1_9scan_implILNS1_25lookback_scan_determinismE0ELb0ELb0ES3_N6thrust23THRUST_200600_302600_NS6detail15normal_iteratorINS9_10device_ptrIfEEEENS9_16discard_iteratorINS9_11use_defaultEEEf11max_functorIfEfEEDaPvRmT3_T4_T5_mT6_P12ihipStream_tbENKUlT_T0_E_clISt17integral_constantIbLb1EESW_IbLb0EEEEDaSS_ST_EUlSS_E_NS1_11comp_targetILNS1_3genE8ELNS1_11target_archE1030ELNS1_3gpuE2ELNS1_3repE0EEENS1_30default_config_static_selectorELNS0_4arch9wavefront6targetE1EEEvT1_
                                        ; -- End function
	.section	.AMDGPU.csdata,"",@progbits
; Kernel info:
; codeLenInByte = 0
; NumSgprs: 4
; NumVgprs: 0
; NumAgprs: 0
; TotalNumVgprs: 0
; ScratchSize: 0
; MemoryBound: 0
; FloatMode: 240
; IeeeMode: 1
; LDSByteSize: 0 bytes/workgroup (compile time only)
; SGPRBlocks: 0
; VGPRBlocks: 0
; NumSGPRsForWavesPerEU: 4
; NumVGPRsForWavesPerEU: 1
; AccumOffset: 4
; Occupancy: 8
; WaveLimiterHint : 0
; COMPUTE_PGM_RSRC2:SCRATCH_EN: 0
; COMPUTE_PGM_RSRC2:USER_SGPR: 6
; COMPUTE_PGM_RSRC2:TRAP_HANDLER: 0
; COMPUTE_PGM_RSRC2:TGID_X_EN: 1
; COMPUTE_PGM_RSRC2:TGID_Y_EN: 0
; COMPUTE_PGM_RSRC2:TGID_Z_EN: 0
; COMPUTE_PGM_RSRC2:TIDIG_COMP_CNT: 0
; COMPUTE_PGM_RSRC3_GFX90A:ACCUM_OFFSET: 0
; COMPUTE_PGM_RSRC3_GFX90A:TG_SPLIT: 0
	.section	.text._ZN7rocprim17ROCPRIM_400000_NS6detail17trampoline_kernelINS0_14default_configENS1_20scan_config_selectorIfEEZZNS1_9scan_implILNS1_25lookback_scan_determinismE0ELb0ELb0ES3_N6thrust23THRUST_200600_302600_NS6detail15normal_iteratorINS9_10device_ptrIfEEEENS9_16discard_iteratorINS9_11use_defaultEEEf11max_functorIfEfEEDaPvRmT3_T4_T5_mT6_P12ihipStream_tbENKUlT_T0_E_clISt17integral_constantIbLb1EESW_IbLb0EEEEDaSS_ST_EUlSS_E0_NS1_11comp_targetILNS1_3genE0ELNS1_11target_archE4294967295ELNS1_3gpuE0ELNS1_3repE0EEENS1_30default_config_static_selectorELNS0_4arch9wavefront6targetE1EEEvT1_,"axG",@progbits,_ZN7rocprim17ROCPRIM_400000_NS6detail17trampoline_kernelINS0_14default_configENS1_20scan_config_selectorIfEEZZNS1_9scan_implILNS1_25lookback_scan_determinismE0ELb0ELb0ES3_N6thrust23THRUST_200600_302600_NS6detail15normal_iteratorINS9_10device_ptrIfEEEENS9_16discard_iteratorINS9_11use_defaultEEEf11max_functorIfEfEEDaPvRmT3_T4_T5_mT6_P12ihipStream_tbENKUlT_T0_E_clISt17integral_constantIbLb1EESW_IbLb0EEEEDaSS_ST_EUlSS_E0_NS1_11comp_targetILNS1_3genE0ELNS1_11target_archE4294967295ELNS1_3gpuE0ELNS1_3repE0EEENS1_30default_config_static_selectorELNS0_4arch9wavefront6targetE1EEEvT1_,comdat
	.protected	_ZN7rocprim17ROCPRIM_400000_NS6detail17trampoline_kernelINS0_14default_configENS1_20scan_config_selectorIfEEZZNS1_9scan_implILNS1_25lookback_scan_determinismE0ELb0ELb0ES3_N6thrust23THRUST_200600_302600_NS6detail15normal_iteratorINS9_10device_ptrIfEEEENS9_16discard_iteratorINS9_11use_defaultEEEf11max_functorIfEfEEDaPvRmT3_T4_T5_mT6_P12ihipStream_tbENKUlT_T0_E_clISt17integral_constantIbLb1EESW_IbLb0EEEEDaSS_ST_EUlSS_E0_NS1_11comp_targetILNS1_3genE0ELNS1_11target_archE4294967295ELNS1_3gpuE0ELNS1_3repE0EEENS1_30default_config_static_selectorELNS0_4arch9wavefront6targetE1EEEvT1_ ; -- Begin function _ZN7rocprim17ROCPRIM_400000_NS6detail17trampoline_kernelINS0_14default_configENS1_20scan_config_selectorIfEEZZNS1_9scan_implILNS1_25lookback_scan_determinismE0ELb0ELb0ES3_N6thrust23THRUST_200600_302600_NS6detail15normal_iteratorINS9_10device_ptrIfEEEENS9_16discard_iteratorINS9_11use_defaultEEEf11max_functorIfEfEEDaPvRmT3_T4_T5_mT6_P12ihipStream_tbENKUlT_T0_E_clISt17integral_constantIbLb1EESW_IbLb0EEEEDaSS_ST_EUlSS_E0_NS1_11comp_targetILNS1_3genE0ELNS1_11target_archE4294967295ELNS1_3gpuE0ELNS1_3repE0EEENS1_30default_config_static_selectorELNS0_4arch9wavefront6targetE1EEEvT1_
	.globl	_ZN7rocprim17ROCPRIM_400000_NS6detail17trampoline_kernelINS0_14default_configENS1_20scan_config_selectorIfEEZZNS1_9scan_implILNS1_25lookback_scan_determinismE0ELb0ELb0ES3_N6thrust23THRUST_200600_302600_NS6detail15normal_iteratorINS9_10device_ptrIfEEEENS9_16discard_iteratorINS9_11use_defaultEEEf11max_functorIfEfEEDaPvRmT3_T4_T5_mT6_P12ihipStream_tbENKUlT_T0_E_clISt17integral_constantIbLb1EESW_IbLb0EEEEDaSS_ST_EUlSS_E0_NS1_11comp_targetILNS1_3genE0ELNS1_11target_archE4294967295ELNS1_3gpuE0ELNS1_3repE0EEENS1_30default_config_static_selectorELNS0_4arch9wavefront6targetE1EEEvT1_
	.p2align	8
	.type	_ZN7rocprim17ROCPRIM_400000_NS6detail17trampoline_kernelINS0_14default_configENS1_20scan_config_selectorIfEEZZNS1_9scan_implILNS1_25lookback_scan_determinismE0ELb0ELb0ES3_N6thrust23THRUST_200600_302600_NS6detail15normal_iteratorINS9_10device_ptrIfEEEENS9_16discard_iteratorINS9_11use_defaultEEEf11max_functorIfEfEEDaPvRmT3_T4_T5_mT6_P12ihipStream_tbENKUlT_T0_E_clISt17integral_constantIbLb1EESW_IbLb0EEEEDaSS_ST_EUlSS_E0_NS1_11comp_targetILNS1_3genE0ELNS1_11target_archE4294967295ELNS1_3gpuE0ELNS1_3repE0EEENS1_30default_config_static_selectorELNS0_4arch9wavefront6targetE1EEEvT1_,@function
_ZN7rocprim17ROCPRIM_400000_NS6detail17trampoline_kernelINS0_14default_configENS1_20scan_config_selectorIfEEZZNS1_9scan_implILNS1_25lookback_scan_determinismE0ELb0ELb0ES3_N6thrust23THRUST_200600_302600_NS6detail15normal_iteratorINS9_10device_ptrIfEEEENS9_16discard_iteratorINS9_11use_defaultEEEf11max_functorIfEfEEDaPvRmT3_T4_T5_mT6_P12ihipStream_tbENKUlT_T0_E_clISt17integral_constantIbLb1EESW_IbLb0EEEEDaSS_ST_EUlSS_E0_NS1_11comp_targetILNS1_3genE0ELNS1_11target_archE4294967295ELNS1_3gpuE0ELNS1_3repE0EEENS1_30default_config_static_selectorELNS0_4arch9wavefront6targetE1EEEvT1_: ; @_ZN7rocprim17ROCPRIM_400000_NS6detail17trampoline_kernelINS0_14default_configENS1_20scan_config_selectorIfEEZZNS1_9scan_implILNS1_25lookback_scan_determinismE0ELb0ELb0ES3_N6thrust23THRUST_200600_302600_NS6detail15normal_iteratorINS9_10device_ptrIfEEEENS9_16discard_iteratorINS9_11use_defaultEEEf11max_functorIfEfEEDaPvRmT3_T4_T5_mT6_P12ihipStream_tbENKUlT_T0_E_clISt17integral_constantIbLb1EESW_IbLb0EEEEDaSS_ST_EUlSS_E0_NS1_11comp_targetILNS1_3genE0ELNS1_11target_archE4294967295ELNS1_3gpuE0ELNS1_3repE0EEENS1_30default_config_static_selectorELNS0_4arch9wavefront6targetE1EEEvT1_
; %bb.0:
	.section	.rodata,"a",@progbits
	.p2align	6, 0x0
	.amdhsa_kernel _ZN7rocprim17ROCPRIM_400000_NS6detail17trampoline_kernelINS0_14default_configENS1_20scan_config_selectorIfEEZZNS1_9scan_implILNS1_25lookback_scan_determinismE0ELb0ELb0ES3_N6thrust23THRUST_200600_302600_NS6detail15normal_iteratorINS9_10device_ptrIfEEEENS9_16discard_iteratorINS9_11use_defaultEEEf11max_functorIfEfEEDaPvRmT3_T4_T5_mT6_P12ihipStream_tbENKUlT_T0_E_clISt17integral_constantIbLb1EESW_IbLb0EEEEDaSS_ST_EUlSS_E0_NS1_11comp_targetILNS1_3genE0ELNS1_11target_archE4294967295ELNS1_3gpuE0ELNS1_3repE0EEENS1_30default_config_static_selectorELNS0_4arch9wavefront6targetE1EEEvT1_
		.amdhsa_group_segment_fixed_size 0
		.amdhsa_private_segment_fixed_size 0
		.amdhsa_kernarg_size 40
		.amdhsa_user_sgpr_count 6
		.amdhsa_user_sgpr_private_segment_buffer 1
		.amdhsa_user_sgpr_dispatch_ptr 0
		.amdhsa_user_sgpr_queue_ptr 0
		.amdhsa_user_sgpr_kernarg_segment_ptr 1
		.amdhsa_user_sgpr_dispatch_id 0
		.amdhsa_user_sgpr_flat_scratch_init 0
		.amdhsa_user_sgpr_kernarg_preload_length 0
		.amdhsa_user_sgpr_kernarg_preload_offset 0
		.amdhsa_user_sgpr_private_segment_size 0
		.amdhsa_uses_dynamic_stack 0
		.amdhsa_system_sgpr_private_segment_wavefront_offset 0
		.amdhsa_system_sgpr_workgroup_id_x 1
		.amdhsa_system_sgpr_workgroup_id_y 0
		.amdhsa_system_sgpr_workgroup_id_z 0
		.amdhsa_system_sgpr_workgroup_info 0
		.amdhsa_system_vgpr_workitem_id 0
		.amdhsa_next_free_vgpr 1
		.amdhsa_next_free_sgpr 0
		.amdhsa_accum_offset 4
		.amdhsa_reserve_vcc 0
		.amdhsa_reserve_flat_scratch 0
		.amdhsa_float_round_mode_32 0
		.amdhsa_float_round_mode_16_64 0
		.amdhsa_float_denorm_mode_32 3
		.amdhsa_float_denorm_mode_16_64 3
		.amdhsa_dx10_clamp 1
		.amdhsa_ieee_mode 1
		.amdhsa_fp16_overflow 0
		.amdhsa_tg_split 0
		.amdhsa_exception_fp_ieee_invalid_op 0
		.amdhsa_exception_fp_denorm_src 0
		.amdhsa_exception_fp_ieee_div_zero 0
		.amdhsa_exception_fp_ieee_overflow 0
		.amdhsa_exception_fp_ieee_underflow 0
		.amdhsa_exception_fp_ieee_inexact 0
		.amdhsa_exception_int_div_zero 0
	.end_amdhsa_kernel
	.section	.text._ZN7rocprim17ROCPRIM_400000_NS6detail17trampoline_kernelINS0_14default_configENS1_20scan_config_selectorIfEEZZNS1_9scan_implILNS1_25lookback_scan_determinismE0ELb0ELb0ES3_N6thrust23THRUST_200600_302600_NS6detail15normal_iteratorINS9_10device_ptrIfEEEENS9_16discard_iteratorINS9_11use_defaultEEEf11max_functorIfEfEEDaPvRmT3_T4_T5_mT6_P12ihipStream_tbENKUlT_T0_E_clISt17integral_constantIbLb1EESW_IbLb0EEEEDaSS_ST_EUlSS_E0_NS1_11comp_targetILNS1_3genE0ELNS1_11target_archE4294967295ELNS1_3gpuE0ELNS1_3repE0EEENS1_30default_config_static_selectorELNS0_4arch9wavefront6targetE1EEEvT1_,"axG",@progbits,_ZN7rocprim17ROCPRIM_400000_NS6detail17trampoline_kernelINS0_14default_configENS1_20scan_config_selectorIfEEZZNS1_9scan_implILNS1_25lookback_scan_determinismE0ELb0ELb0ES3_N6thrust23THRUST_200600_302600_NS6detail15normal_iteratorINS9_10device_ptrIfEEEENS9_16discard_iteratorINS9_11use_defaultEEEf11max_functorIfEfEEDaPvRmT3_T4_T5_mT6_P12ihipStream_tbENKUlT_T0_E_clISt17integral_constantIbLb1EESW_IbLb0EEEEDaSS_ST_EUlSS_E0_NS1_11comp_targetILNS1_3genE0ELNS1_11target_archE4294967295ELNS1_3gpuE0ELNS1_3repE0EEENS1_30default_config_static_selectorELNS0_4arch9wavefront6targetE1EEEvT1_,comdat
.Lfunc_end3179:
	.size	_ZN7rocprim17ROCPRIM_400000_NS6detail17trampoline_kernelINS0_14default_configENS1_20scan_config_selectorIfEEZZNS1_9scan_implILNS1_25lookback_scan_determinismE0ELb0ELb0ES3_N6thrust23THRUST_200600_302600_NS6detail15normal_iteratorINS9_10device_ptrIfEEEENS9_16discard_iteratorINS9_11use_defaultEEEf11max_functorIfEfEEDaPvRmT3_T4_T5_mT6_P12ihipStream_tbENKUlT_T0_E_clISt17integral_constantIbLb1EESW_IbLb0EEEEDaSS_ST_EUlSS_E0_NS1_11comp_targetILNS1_3genE0ELNS1_11target_archE4294967295ELNS1_3gpuE0ELNS1_3repE0EEENS1_30default_config_static_selectorELNS0_4arch9wavefront6targetE1EEEvT1_, .Lfunc_end3179-_ZN7rocprim17ROCPRIM_400000_NS6detail17trampoline_kernelINS0_14default_configENS1_20scan_config_selectorIfEEZZNS1_9scan_implILNS1_25lookback_scan_determinismE0ELb0ELb0ES3_N6thrust23THRUST_200600_302600_NS6detail15normal_iteratorINS9_10device_ptrIfEEEENS9_16discard_iteratorINS9_11use_defaultEEEf11max_functorIfEfEEDaPvRmT3_T4_T5_mT6_P12ihipStream_tbENKUlT_T0_E_clISt17integral_constantIbLb1EESW_IbLb0EEEEDaSS_ST_EUlSS_E0_NS1_11comp_targetILNS1_3genE0ELNS1_11target_archE4294967295ELNS1_3gpuE0ELNS1_3repE0EEENS1_30default_config_static_selectorELNS0_4arch9wavefront6targetE1EEEvT1_
                                        ; -- End function
	.section	.AMDGPU.csdata,"",@progbits
; Kernel info:
; codeLenInByte = 0
; NumSgprs: 4
; NumVgprs: 0
; NumAgprs: 0
; TotalNumVgprs: 0
; ScratchSize: 0
; MemoryBound: 0
; FloatMode: 240
; IeeeMode: 1
; LDSByteSize: 0 bytes/workgroup (compile time only)
; SGPRBlocks: 0
; VGPRBlocks: 0
; NumSGPRsForWavesPerEU: 4
; NumVGPRsForWavesPerEU: 1
; AccumOffset: 4
; Occupancy: 8
; WaveLimiterHint : 0
; COMPUTE_PGM_RSRC2:SCRATCH_EN: 0
; COMPUTE_PGM_RSRC2:USER_SGPR: 6
; COMPUTE_PGM_RSRC2:TRAP_HANDLER: 0
; COMPUTE_PGM_RSRC2:TGID_X_EN: 1
; COMPUTE_PGM_RSRC2:TGID_Y_EN: 0
; COMPUTE_PGM_RSRC2:TGID_Z_EN: 0
; COMPUTE_PGM_RSRC2:TIDIG_COMP_CNT: 0
; COMPUTE_PGM_RSRC3_GFX90A:ACCUM_OFFSET: 0
; COMPUTE_PGM_RSRC3_GFX90A:TG_SPLIT: 0
	.section	.text._ZN7rocprim17ROCPRIM_400000_NS6detail17trampoline_kernelINS0_14default_configENS1_20scan_config_selectorIfEEZZNS1_9scan_implILNS1_25lookback_scan_determinismE0ELb0ELb0ES3_N6thrust23THRUST_200600_302600_NS6detail15normal_iteratorINS9_10device_ptrIfEEEENS9_16discard_iteratorINS9_11use_defaultEEEf11max_functorIfEfEEDaPvRmT3_T4_T5_mT6_P12ihipStream_tbENKUlT_T0_E_clISt17integral_constantIbLb1EESW_IbLb0EEEEDaSS_ST_EUlSS_E0_NS1_11comp_targetILNS1_3genE5ELNS1_11target_archE942ELNS1_3gpuE9ELNS1_3repE0EEENS1_30default_config_static_selectorELNS0_4arch9wavefront6targetE1EEEvT1_,"axG",@progbits,_ZN7rocprim17ROCPRIM_400000_NS6detail17trampoline_kernelINS0_14default_configENS1_20scan_config_selectorIfEEZZNS1_9scan_implILNS1_25lookback_scan_determinismE0ELb0ELb0ES3_N6thrust23THRUST_200600_302600_NS6detail15normal_iteratorINS9_10device_ptrIfEEEENS9_16discard_iteratorINS9_11use_defaultEEEf11max_functorIfEfEEDaPvRmT3_T4_T5_mT6_P12ihipStream_tbENKUlT_T0_E_clISt17integral_constantIbLb1EESW_IbLb0EEEEDaSS_ST_EUlSS_E0_NS1_11comp_targetILNS1_3genE5ELNS1_11target_archE942ELNS1_3gpuE9ELNS1_3repE0EEENS1_30default_config_static_selectorELNS0_4arch9wavefront6targetE1EEEvT1_,comdat
	.protected	_ZN7rocprim17ROCPRIM_400000_NS6detail17trampoline_kernelINS0_14default_configENS1_20scan_config_selectorIfEEZZNS1_9scan_implILNS1_25lookback_scan_determinismE0ELb0ELb0ES3_N6thrust23THRUST_200600_302600_NS6detail15normal_iteratorINS9_10device_ptrIfEEEENS9_16discard_iteratorINS9_11use_defaultEEEf11max_functorIfEfEEDaPvRmT3_T4_T5_mT6_P12ihipStream_tbENKUlT_T0_E_clISt17integral_constantIbLb1EESW_IbLb0EEEEDaSS_ST_EUlSS_E0_NS1_11comp_targetILNS1_3genE5ELNS1_11target_archE942ELNS1_3gpuE9ELNS1_3repE0EEENS1_30default_config_static_selectorELNS0_4arch9wavefront6targetE1EEEvT1_ ; -- Begin function _ZN7rocprim17ROCPRIM_400000_NS6detail17trampoline_kernelINS0_14default_configENS1_20scan_config_selectorIfEEZZNS1_9scan_implILNS1_25lookback_scan_determinismE0ELb0ELb0ES3_N6thrust23THRUST_200600_302600_NS6detail15normal_iteratorINS9_10device_ptrIfEEEENS9_16discard_iteratorINS9_11use_defaultEEEf11max_functorIfEfEEDaPvRmT3_T4_T5_mT6_P12ihipStream_tbENKUlT_T0_E_clISt17integral_constantIbLb1EESW_IbLb0EEEEDaSS_ST_EUlSS_E0_NS1_11comp_targetILNS1_3genE5ELNS1_11target_archE942ELNS1_3gpuE9ELNS1_3repE0EEENS1_30default_config_static_selectorELNS0_4arch9wavefront6targetE1EEEvT1_
	.globl	_ZN7rocprim17ROCPRIM_400000_NS6detail17trampoline_kernelINS0_14default_configENS1_20scan_config_selectorIfEEZZNS1_9scan_implILNS1_25lookback_scan_determinismE0ELb0ELb0ES3_N6thrust23THRUST_200600_302600_NS6detail15normal_iteratorINS9_10device_ptrIfEEEENS9_16discard_iteratorINS9_11use_defaultEEEf11max_functorIfEfEEDaPvRmT3_T4_T5_mT6_P12ihipStream_tbENKUlT_T0_E_clISt17integral_constantIbLb1EESW_IbLb0EEEEDaSS_ST_EUlSS_E0_NS1_11comp_targetILNS1_3genE5ELNS1_11target_archE942ELNS1_3gpuE9ELNS1_3repE0EEENS1_30default_config_static_selectorELNS0_4arch9wavefront6targetE1EEEvT1_
	.p2align	8
	.type	_ZN7rocprim17ROCPRIM_400000_NS6detail17trampoline_kernelINS0_14default_configENS1_20scan_config_selectorIfEEZZNS1_9scan_implILNS1_25lookback_scan_determinismE0ELb0ELb0ES3_N6thrust23THRUST_200600_302600_NS6detail15normal_iteratorINS9_10device_ptrIfEEEENS9_16discard_iteratorINS9_11use_defaultEEEf11max_functorIfEfEEDaPvRmT3_T4_T5_mT6_P12ihipStream_tbENKUlT_T0_E_clISt17integral_constantIbLb1EESW_IbLb0EEEEDaSS_ST_EUlSS_E0_NS1_11comp_targetILNS1_3genE5ELNS1_11target_archE942ELNS1_3gpuE9ELNS1_3repE0EEENS1_30default_config_static_selectorELNS0_4arch9wavefront6targetE1EEEvT1_,@function
_ZN7rocprim17ROCPRIM_400000_NS6detail17trampoline_kernelINS0_14default_configENS1_20scan_config_selectorIfEEZZNS1_9scan_implILNS1_25lookback_scan_determinismE0ELb0ELb0ES3_N6thrust23THRUST_200600_302600_NS6detail15normal_iteratorINS9_10device_ptrIfEEEENS9_16discard_iteratorINS9_11use_defaultEEEf11max_functorIfEfEEDaPvRmT3_T4_T5_mT6_P12ihipStream_tbENKUlT_T0_E_clISt17integral_constantIbLb1EESW_IbLb0EEEEDaSS_ST_EUlSS_E0_NS1_11comp_targetILNS1_3genE5ELNS1_11target_archE942ELNS1_3gpuE9ELNS1_3repE0EEENS1_30default_config_static_selectorELNS0_4arch9wavefront6targetE1EEEvT1_: ; @_ZN7rocprim17ROCPRIM_400000_NS6detail17trampoline_kernelINS0_14default_configENS1_20scan_config_selectorIfEEZZNS1_9scan_implILNS1_25lookback_scan_determinismE0ELb0ELb0ES3_N6thrust23THRUST_200600_302600_NS6detail15normal_iteratorINS9_10device_ptrIfEEEENS9_16discard_iteratorINS9_11use_defaultEEEf11max_functorIfEfEEDaPvRmT3_T4_T5_mT6_P12ihipStream_tbENKUlT_T0_E_clISt17integral_constantIbLb1EESW_IbLb0EEEEDaSS_ST_EUlSS_E0_NS1_11comp_targetILNS1_3genE5ELNS1_11target_archE942ELNS1_3gpuE9ELNS1_3repE0EEENS1_30default_config_static_selectorELNS0_4arch9wavefront6targetE1EEEvT1_
; %bb.0:
	.section	.rodata,"a",@progbits
	.p2align	6, 0x0
	.amdhsa_kernel _ZN7rocprim17ROCPRIM_400000_NS6detail17trampoline_kernelINS0_14default_configENS1_20scan_config_selectorIfEEZZNS1_9scan_implILNS1_25lookback_scan_determinismE0ELb0ELb0ES3_N6thrust23THRUST_200600_302600_NS6detail15normal_iteratorINS9_10device_ptrIfEEEENS9_16discard_iteratorINS9_11use_defaultEEEf11max_functorIfEfEEDaPvRmT3_T4_T5_mT6_P12ihipStream_tbENKUlT_T0_E_clISt17integral_constantIbLb1EESW_IbLb0EEEEDaSS_ST_EUlSS_E0_NS1_11comp_targetILNS1_3genE5ELNS1_11target_archE942ELNS1_3gpuE9ELNS1_3repE0EEENS1_30default_config_static_selectorELNS0_4arch9wavefront6targetE1EEEvT1_
		.amdhsa_group_segment_fixed_size 0
		.amdhsa_private_segment_fixed_size 0
		.amdhsa_kernarg_size 40
		.amdhsa_user_sgpr_count 6
		.amdhsa_user_sgpr_private_segment_buffer 1
		.amdhsa_user_sgpr_dispatch_ptr 0
		.amdhsa_user_sgpr_queue_ptr 0
		.amdhsa_user_sgpr_kernarg_segment_ptr 1
		.amdhsa_user_sgpr_dispatch_id 0
		.amdhsa_user_sgpr_flat_scratch_init 0
		.amdhsa_user_sgpr_kernarg_preload_length 0
		.amdhsa_user_sgpr_kernarg_preload_offset 0
		.amdhsa_user_sgpr_private_segment_size 0
		.amdhsa_uses_dynamic_stack 0
		.amdhsa_system_sgpr_private_segment_wavefront_offset 0
		.amdhsa_system_sgpr_workgroup_id_x 1
		.amdhsa_system_sgpr_workgroup_id_y 0
		.amdhsa_system_sgpr_workgroup_id_z 0
		.amdhsa_system_sgpr_workgroup_info 0
		.amdhsa_system_vgpr_workitem_id 0
		.amdhsa_next_free_vgpr 1
		.amdhsa_next_free_sgpr 0
		.amdhsa_accum_offset 4
		.amdhsa_reserve_vcc 0
		.amdhsa_reserve_flat_scratch 0
		.amdhsa_float_round_mode_32 0
		.amdhsa_float_round_mode_16_64 0
		.amdhsa_float_denorm_mode_32 3
		.amdhsa_float_denorm_mode_16_64 3
		.amdhsa_dx10_clamp 1
		.amdhsa_ieee_mode 1
		.amdhsa_fp16_overflow 0
		.amdhsa_tg_split 0
		.amdhsa_exception_fp_ieee_invalid_op 0
		.amdhsa_exception_fp_denorm_src 0
		.amdhsa_exception_fp_ieee_div_zero 0
		.amdhsa_exception_fp_ieee_overflow 0
		.amdhsa_exception_fp_ieee_underflow 0
		.amdhsa_exception_fp_ieee_inexact 0
		.amdhsa_exception_int_div_zero 0
	.end_amdhsa_kernel
	.section	.text._ZN7rocprim17ROCPRIM_400000_NS6detail17trampoline_kernelINS0_14default_configENS1_20scan_config_selectorIfEEZZNS1_9scan_implILNS1_25lookback_scan_determinismE0ELb0ELb0ES3_N6thrust23THRUST_200600_302600_NS6detail15normal_iteratorINS9_10device_ptrIfEEEENS9_16discard_iteratorINS9_11use_defaultEEEf11max_functorIfEfEEDaPvRmT3_T4_T5_mT6_P12ihipStream_tbENKUlT_T0_E_clISt17integral_constantIbLb1EESW_IbLb0EEEEDaSS_ST_EUlSS_E0_NS1_11comp_targetILNS1_3genE5ELNS1_11target_archE942ELNS1_3gpuE9ELNS1_3repE0EEENS1_30default_config_static_selectorELNS0_4arch9wavefront6targetE1EEEvT1_,"axG",@progbits,_ZN7rocprim17ROCPRIM_400000_NS6detail17trampoline_kernelINS0_14default_configENS1_20scan_config_selectorIfEEZZNS1_9scan_implILNS1_25lookback_scan_determinismE0ELb0ELb0ES3_N6thrust23THRUST_200600_302600_NS6detail15normal_iteratorINS9_10device_ptrIfEEEENS9_16discard_iteratorINS9_11use_defaultEEEf11max_functorIfEfEEDaPvRmT3_T4_T5_mT6_P12ihipStream_tbENKUlT_T0_E_clISt17integral_constantIbLb1EESW_IbLb0EEEEDaSS_ST_EUlSS_E0_NS1_11comp_targetILNS1_3genE5ELNS1_11target_archE942ELNS1_3gpuE9ELNS1_3repE0EEENS1_30default_config_static_selectorELNS0_4arch9wavefront6targetE1EEEvT1_,comdat
.Lfunc_end3180:
	.size	_ZN7rocprim17ROCPRIM_400000_NS6detail17trampoline_kernelINS0_14default_configENS1_20scan_config_selectorIfEEZZNS1_9scan_implILNS1_25lookback_scan_determinismE0ELb0ELb0ES3_N6thrust23THRUST_200600_302600_NS6detail15normal_iteratorINS9_10device_ptrIfEEEENS9_16discard_iteratorINS9_11use_defaultEEEf11max_functorIfEfEEDaPvRmT3_T4_T5_mT6_P12ihipStream_tbENKUlT_T0_E_clISt17integral_constantIbLb1EESW_IbLb0EEEEDaSS_ST_EUlSS_E0_NS1_11comp_targetILNS1_3genE5ELNS1_11target_archE942ELNS1_3gpuE9ELNS1_3repE0EEENS1_30default_config_static_selectorELNS0_4arch9wavefront6targetE1EEEvT1_, .Lfunc_end3180-_ZN7rocprim17ROCPRIM_400000_NS6detail17trampoline_kernelINS0_14default_configENS1_20scan_config_selectorIfEEZZNS1_9scan_implILNS1_25lookback_scan_determinismE0ELb0ELb0ES3_N6thrust23THRUST_200600_302600_NS6detail15normal_iteratorINS9_10device_ptrIfEEEENS9_16discard_iteratorINS9_11use_defaultEEEf11max_functorIfEfEEDaPvRmT3_T4_T5_mT6_P12ihipStream_tbENKUlT_T0_E_clISt17integral_constantIbLb1EESW_IbLb0EEEEDaSS_ST_EUlSS_E0_NS1_11comp_targetILNS1_3genE5ELNS1_11target_archE942ELNS1_3gpuE9ELNS1_3repE0EEENS1_30default_config_static_selectorELNS0_4arch9wavefront6targetE1EEEvT1_
                                        ; -- End function
	.section	.AMDGPU.csdata,"",@progbits
; Kernel info:
; codeLenInByte = 0
; NumSgprs: 4
; NumVgprs: 0
; NumAgprs: 0
; TotalNumVgprs: 0
; ScratchSize: 0
; MemoryBound: 0
; FloatMode: 240
; IeeeMode: 1
; LDSByteSize: 0 bytes/workgroup (compile time only)
; SGPRBlocks: 0
; VGPRBlocks: 0
; NumSGPRsForWavesPerEU: 4
; NumVGPRsForWavesPerEU: 1
; AccumOffset: 4
; Occupancy: 8
; WaveLimiterHint : 0
; COMPUTE_PGM_RSRC2:SCRATCH_EN: 0
; COMPUTE_PGM_RSRC2:USER_SGPR: 6
; COMPUTE_PGM_RSRC2:TRAP_HANDLER: 0
; COMPUTE_PGM_RSRC2:TGID_X_EN: 1
; COMPUTE_PGM_RSRC2:TGID_Y_EN: 0
; COMPUTE_PGM_RSRC2:TGID_Z_EN: 0
; COMPUTE_PGM_RSRC2:TIDIG_COMP_CNT: 0
; COMPUTE_PGM_RSRC3_GFX90A:ACCUM_OFFSET: 0
; COMPUTE_PGM_RSRC3_GFX90A:TG_SPLIT: 0
	.section	.text._ZN7rocprim17ROCPRIM_400000_NS6detail17trampoline_kernelINS0_14default_configENS1_20scan_config_selectorIfEEZZNS1_9scan_implILNS1_25lookback_scan_determinismE0ELb0ELb0ES3_N6thrust23THRUST_200600_302600_NS6detail15normal_iteratorINS9_10device_ptrIfEEEENS9_16discard_iteratorINS9_11use_defaultEEEf11max_functorIfEfEEDaPvRmT3_T4_T5_mT6_P12ihipStream_tbENKUlT_T0_E_clISt17integral_constantIbLb1EESW_IbLb0EEEEDaSS_ST_EUlSS_E0_NS1_11comp_targetILNS1_3genE4ELNS1_11target_archE910ELNS1_3gpuE8ELNS1_3repE0EEENS1_30default_config_static_selectorELNS0_4arch9wavefront6targetE1EEEvT1_,"axG",@progbits,_ZN7rocprim17ROCPRIM_400000_NS6detail17trampoline_kernelINS0_14default_configENS1_20scan_config_selectorIfEEZZNS1_9scan_implILNS1_25lookback_scan_determinismE0ELb0ELb0ES3_N6thrust23THRUST_200600_302600_NS6detail15normal_iteratorINS9_10device_ptrIfEEEENS9_16discard_iteratorINS9_11use_defaultEEEf11max_functorIfEfEEDaPvRmT3_T4_T5_mT6_P12ihipStream_tbENKUlT_T0_E_clISt17integral_constantIbLb1EESW_IbLb0EEEEDaSS_ST_EUlSS_E0_NS1_11comp_targetILNS1_3genE4ELNS1_11target_archE910ELNS1_3gpuE8ELNS1_3repE0EEENS1_30default_config_static_selectorELNS0_4arch9wavefront6targetE1EEEvT1_,comdat
	.protected	_ZN7rocprim17ROCPRIM_400000_NS6detail17trampoline_kernelINS0_14default_configENS1_20scan_config_selectorIfEEZZNS1_9scan_implILNS1_25lookback_scan_determinismE0ELb0ELb0ES3_N6thrust23THRUST_200600_302600_NS6detail15normal_iteratorINS9_10device_ptrIfEEEENS9_16discard_iteratorINS9_11use_defaultEEEf11max_functorIfEfEEDaPvRmT3_T4_T5_mT6_P12ihipStream_tbENKUlT_T0_E_clISt17integral_constantIbLb1EESW_IbLb0EEEEDaSS_ST_EUlSS_E0_NS1_11comp_targetILNS1_3genE4ELNS1_11target_archE910ELNS1_3gpuE8ELNS1_3repE0EEENS1_30default_config_static_selectorELNS0_4arch9wavefront6targetE1EEEvT1_ ; -- Begin function _ZN7rocprim17ROCPRIM_400000_NS6detail17trampoline_kernelINS0_14default_configENS1_20scan_config_selectorIfEEZZNS1_9scan_implILNS1_25lookback_scan_determinismE0ELb0ELb0ES3_N6thrust23THRUST_200600_302600_NS6detail15normal_iteratorINS9_10device_ptrIfEEEENS9_16discard_iteratorINS9_11use_defaultEEEf11max_functorIfEfEEDaPvRmT3_T4_T5_mT6_P12ihipStream_tbENKUlT_T0_E_clISt17integral_constantIbLb1EESW_IbLb0EEEEDaSS_ST_EUlSS_E0_NS1_11comp_targetILNS1_3genE4ELNS1_11target_archE910ELNS1_3gpuE8ELNS1_3repE0EEENS1_30default_config_static_selectorELNS0_4arch9wavefront6targetE1EEEvT1_
	.globl	_ZN7rocprim17ROCPRIM_400000_NS6detail17trampoline_kernelINS0_14default_configENS1_20scan_config_selectorIfEEZZNS1_9scan_implILNS1_25lookback_scan_determinismE0ELb0ELb0ES3_N6thrust23THRUST_200600_302600_NS6detail15normal_iteratorINS9_10device_ptrIfEEEENS9_16discard_iteratorINS9_11use_defaultEEEf11max_functorIfEfEEDaPvRmT3_T4_T5_mT6_P12ihipStream_tbENKUlT_T0_E_clISt17integral_constantIbLb1EESW_IbLb0EEEEDaSS_ST_EUlSS_E0_NS1_11comp_targetILNS1_3genE4ELNS1_11target_archE910ELNS1_3gpuE8ELNS1_3repE0EEENS1_30default_config_static_selectorELNS0_4arch9wavefront6targetE1EEEvT1_
	.p2align	8
	.type	_ZN7rocprim17ROCPRIM_400000_NS6detail17trampoline_kernelINS0_14default_configENS1_20scan_config_selectorIfEEZZNS1_9scan_implILNS1_25lookback_scan_determinismE0ELb0ELb0ES3_N6thrust23THRUST_200600_302600_NS6detail15normal_iteratorINS9_10device_ptrIfEEEENS9_16discard_iteratorINS9_11use_defaultEEEf11max_functorIfEfEEDaPvRmT3_T4_T5_mT6_P12ihipStream_tbENKUlT_T0_E_clISt17integral_constantIbLb1EESW_IbLb0EEEEDaSS_ST_EUlSS_E0_NS1_11comp_targetILNS1_3genE4ELNS1_11target_archE910ELNS1_3gpuE8ELNS1_3repE0EEENS1_30default_config_static_selectorELNS0_4arch9wavefront6targetE1EEEvT1_,@function
_ZN7rocprim17ROCPRIM_400000_NS6detail17trampoline_kernelINS0_14default_configENS1_20scan_config_selectorIfEEZZNS1_9scan_implILNS1_25lookback_scan_determinismE0ELb0ELb0ES3_N6thrust23THRUST_200600_302600_NS6detail15normal_iteratorINS9_10device_ptrIfEEEENS9_16discard_iteratorINS9_11use_defaultEEEf11max_functorIfEfEEDaPvRmT3_T4_T5_mT6_P12ihipStream_tbENKUlT_T0_E_clISt17integral_constantIbLb1EESW_IbLb0EEEEDaSS_ST_EUlSS_E0_NS1_11comp_targetILNS1_3genE4ELNS1_11target_archE910ELNS1_3gpuE8ELNS1_3repE0EEENS1_30default_config_static_selectorELNS0_4arch9wavefront6targetE1EEEvT1_: ; @_ZN7rocprim17ROCPRIM_400000_NS6detail17trampoline_kernelINS0_14default_configENS1_20scan_config_selectorIfEEZZNS1_9scan_implILNS1_25lookback_scan_determinismE0ELb0ELb0ES3_N6thrust23THRUST_200600_302600_NS6detail15normal_iteratorINS9_10device_ptrIfEEEENS9_16discard_iteratorINS9_11use_defaultEEEf11max_functorIfEfEEDaPvRmT3_T4_T5_mT6_P12ihipStream_tbENKUlT_T0_E_clISt17integral_constantIbLb1EESW_IbLb0EEEEDaSS_ST_EUlSS_E0_NS1_11comp_targetILNS1_3genE4ELNS1_11target_archE910ELNS1_3gpuE8ELNS1_3repE0EEENS1_30default_config_static_selectorELNS0_4arch9wavefront6targetE1EEEvT1_
; %bb.0:
	s_load_dwordx4 s[0:3], s[4:5], 0x0
	v_lshlrev_b32_e32 v1, 2, v0
	s_waitcnt lgkmcnt(0)
	s_load_dword s3, s[0:1], 0x0
	v_cmp_gt_u32_e32 vcc, s2, v0
	s_waitcnt lgkmcnt(0)
	v_mov_b32_e32 v2, s3
	s_and_saveexec_b64 s[4:5], vcc
	s_cbranch_execz .LBB3181_2
; %bb.1:
	global_load_dword v2, v1, s[0:1]
.LBB3181_2:
	s_or_b64 exec, exec, s[4:5]
	v_or_b32_e32 v3, 0x80, v0
	v_cmp_gt_u32_e32 vcc, s2, v3
	v_mov_b32_e32 v3, s3
	s_and_saveexec_b64 s[4:5], vcc
	s_cbranch_execz .LBB3181_4
; %bb.3:
	global_load_dword v3, v1, s[0:1] offset:512
.LBB3181_4:
	s_or_b64 exec, exec, s[4:5]
	v_or_b32_e32 v4, 0x100, v0
	v_cmp_gt_u32_e32 vcc, s2, v4
	v_mov_b32_e32 v4, s3
	s_and_saveexec_b64 s[4:5], vcc
	s_cbranch_execz .LBB3181_6
; %bb.5:
	global_load_dword v4, v1, s[0:1] offset:1024
.LBB3181_6:
	;; [unrolled: 9-line block ×7, first 2 shown]
	s_or_b64 exec, exec, s[4:5]
	v_or_b32_e32 v11, 0x400, v0
	v_cmp_gt_u32_e32 vcc, s2, v11
	v_mov_b32_e32 v10, s3
	s_and_saveexec_b64 s[4:5], vcc
	s_cbranch_execz .LBB3181_18
; %bb.17:
	v_lshlrev_b32_e32 v10, 2, v11
	global_load_dword v10, v10, s[0:1]
.LBB3181_18:
	s_or_b64 exec, exec, s[4:5]
	v_or_b32_e32 v12, 0x480, v0
	v_cmp_gt_u32_e32 vcc, s2, v12
	v_mov_b32_e32 v11, s3
	s_and_saveexec_b64 s[4:5], vcc
	s_cbranch_execz .LBB3181_20
; %bb.19:
	v_lshlrev_b32_e32 v11, 2, v12
	global_load_dword v11, v11, s[0:1]
.LBB3181_20:
	;; [unrolled: 10-line block ×6, first 2 shown]
	s_or_b64 exec, exec, s[2:3]
	s_waitcnt vmcnt(0)
	ds_write2st64_b32 v1, v2, v3 offset1:2
	ds_write2st64_b32 v1, v4, v5 offset0:4 offset1:6
	ds_write2st64_b32 v1, v6, v7 offset0:8 offset1:10
	;; [unrolled: 1-line block ×6, first 2 shown]
	v_mad_u32_u24 v14, v0, 52, v1
	s_waitcnt lgkmcnt(0)
	s_barrier
	ds_read2_b64 v[2:5], v14 offset1:1
	ds_read2_b64 v[10:13], v14 offset0:2 offset1:3
	ds_read2_b64 v[6:9], v14 offset0:4 offset1:5
	ds_read_b64 v[14:15], v14 offset:48
	v_lshrrev_b32_e32 v17, 3, v0
	s_waitcnt lgkmcnt(3)
	v_cmp_lt_f32_e32 vcc, v2, v3
	v_cndmask_b32_e32 v16, v2, v3, vcc
	v_cmp_lt_f32_e32 vcc, v16, v4
	v_cndmask_b32_e32 v16, v16, v4, vcc
	v_cmp_lt_f32_e32 vcc, v16, v5
	v_cndmask_b32_e32 v16, v16, v5, vcc
	s_waitcnt lgkmcnt(2)
	v_cmp_lt_f32_e32 vcc, v16, v10
	v_cndmask_b32_e32 v16, v16, v10, vcc
	v_cmp_lt_f32_e32 vcc, v16, v11
	v_cndmask_b32_e32 v16, v16, v11, vcc
	v_cmp_lt_f32_e32 vcc, v16, v12
	v_cndmask_b32_e32 v16, v16, v12, vcc
	v_cmp_lt_f32_e32 vcc, v16, v13
	v_cndmask_b32_e32 v16, v16, v13, vcc
	s_waitcnt lgkmcnt(1)
	v_cmp_lt_f32_e32 vcc, v16, v6
	v_cndmask_b32_e32 v16, v16, v6, vcc
	v_cmp_lt_f32_e32 vcc, v16, v7
	v_cndmask_b32_e32 v16, v16, v7, vcc
	v_cmp_lt_f32_e32 vcc, v16, v8
	v_cndmask_b32_e32 v16, v16, v8, vcc
	v_cmp_lt_f32_e32 vcc, v16, v9
	v_cndmask_b32_e32 v16, v16, v9, vcc
	s_waitcnt lgkmcnt(0)
	v_cmp_lt_f32_e32 vcc, v16, v14
	v_cndmask_b32_e32 v16, v16, v14, vcc
	v_cmp_lt_f32_e32 vcc, v16, v15
	v_and_b32_e32 v17, 12, v17
	v_cndmask_b32_e32 v16, v16, v15, vcc
	v_add_u32_e32 v17, v1, v17
	v_cmp_gt_u32_e32 vcc, 64, v0
	s_barrier
	ds_write_b32 v17, v16
	s_waitcnt lgkmcnt(0)
	s_barrier
	s_and_saveexec_b64 s[6:7], vcc
	s_cbranch_execz .LBB3181_30
; %bb.29:
	v_lshlrev_b32_e32 v17, 1, v0
	v_lshrrev_b32_e32 v18, 4, v0
	v_add_lshl_u32 v17, v18, v17, 2
	ds_read2_b32 v[18:19], v17 offset1:1
	v_mbcnt_lo_u32_b32 v20, -1, 0
	v_mbcnt_hi_u32_b32 v20, -1, v20
	v_and_b32_e32 v21, 15, v20
	v_cmp_lt_u32_e64 s[4:5], 31, v20
	s_waitcnt lgkmcnt(0)
	v_cmp_lt_f32_e32 vcc, v18, v19
	v_cndmask_b32_e32 v19, v18, v19, vcc
	v_cmp_gt_u32_e64 s[2:3], 32, v20
	s_nop 0
	v_mov_b32_dpp v22, v19 row_shr:1 row_mask:0xf bank_mask:0xf
	v_cmp_gt_f32_e32 vcc, v19, v22
	v_cndmask_b32_e32 v22, v22, v19, vcc
	v_cmp_eq_u32_e32 vcc, 0, v21
	v_cndmask_b32_e32 v19, v22, v19, vcc
	; wave barrier
	s_nop 1
	v_mov_b32_dpp v22, v19 row_shr:2 row_mask:0xf bank_mask:0xf
	v_cmp_gt_f32_e32 vcc, v19, v22
	v_cndmask_b32_e32 v22, v22, v19, vcc
	v_cmp_lt_u32_e32 vcc, 1, v21
	v_cndmask_b32_e32 v22, v19, v22, vcc
	s_nop 1
	v_mov_b32_dpp v23, v22 row_shr:4 row_mask:0xf bank_mask:0xf
	v_cmp_gt_f32_e64 s[0:1], v22, v23
	v_cndmask_b32_e64 v23, v23, v22, s[0:1]
	v_cmp_lt_u32_e64 s[0:1], 3, v21
	v_cndmask_b32_e64 v22, v22, v23, s[0:1]
	s_nop 1
	v_mov_b32_dpp v23, v22 row_shr:8 row_mask:0xf bank_mask:0xf
	v_cmp_gt_f32_e64 s[0:1], v22, v23
	v_cndmask_b32_e64 v23, v23, v22, s[0:1]
	v_cmp_lt_u32_e64 s[0:1], 7, v21
	v_cndmask_b32_e64 v21, v22, v23, s[0:1]
	v_and_b32_e32 v23, 16, v20
	s_nop 0
	v_mov_b32_dpp v22, v21 row_bcast:15 row_mask:0xf bank_mask:0xf
	v_cmp_gt_f32_e64 s[0:1], v21, v22
	v_cndmask_b32_e64 v22, v22, v21, s[0:1]
	v_cmp_ne_u32_e64 s[0:1], 0, v23
	v_cndmask_b32_e64 v21, v21, v22, s[0:1]
	s_or_b64 s[4:5], s[0:1], s[4:5]
	s_or_b64 vcc, vcc, s[4:5]
	v_mov_b32_dpp v22, v21 row_bcast:31 row_mask:0xf bank_mask:0xf
	v_cmp_gt_f32_e64 s[0:1], v21, v22
	s_or_b64 s[0:1], s[2:3], s[0:1]
	v_cndmask_b32_e64 v21, v22, v21, s[0:1]
	v_cndmask_b32_e32 v19, v19, v21, vcc
	v_add_u32_e32 v21, -1, v20
	v_and_b32_e32 v22, 64, v20
	v_cmp_lt_i32_e32 vcc, v21, v22
	v_cndmask_b32_e32 v20, v21, v20, vcc
	v_lshlrev_b32_e32 v20, 2, v20
	ds_bpermute_b32 v19, v20, v19
	s_waitcnt lgkmcnt(0)
	v_cmp_gt_f32_e32 vcc, v18, v19
	v_cndmask_b32_e32 v18, v19, v18, vcc
	v_cmp_eq_u32_e32 vcc, 0, v0
	v_cndmask_b32_e32 v18, v18, v16, vcc
	ds_write_b32 v17, v18
	; wave barrier
	ds_read_b32 v19, v17 offset:4
	s_waitcnt lgkmcnt(0)
	v_cmp_lt_f32_e32 vcc, v18, v19
	v_cndmask_b32_e32 v18, v18, v19, vcc
	ds_write_b32 v17, v18 offset:4
.LBB3181_30:
	s_or_b64 exec, exec, s[6:7]
	v_cmp_ne_u32_e32 vcc, 0, v0
	s_waitcnt lgkmcnt(0)
	s_barrier
	s_and_saveexec_b64 s[0:1], vcc
	s_cbranch_execz .LBB3181_32
; %bb.31:
	v_add_u32_e32 v16, -1, v0
	v_lshrrev_b32_e32 v17, 5, v16
	v_add_lshl_u32 v16, v17, v16, 2
	ds_read_b32 v16, v16
.LBB3181_32:
	s_or_b64 exec, exec, s[0:1]
	v_mul_u32_u24_e32 v0, 52, v0
	s_and_saveexec_b64 s[0:1], vcc
	s_cbranch_execz .LBB3181_34
; %bb.33:
	s_waitcnt lgkmcnt(0)
	v_cmp_gt_f32_e32 vcc, v2, v16
	v_cndmask_b32_e32 v2, v16, v2, vcc
	;;#ASMSTART
	;;#ASMEND
.LBB3181_34:
	s_or_b64 exec, exec, s[0:1]
	v_cmp_gt_f32_e32 vcc, v3, v2
	v_cndmask_b32_e32 v3, v2, v3, vcc
	v_cmp_lt_f32_e32 vcc, v3, v4
	v_cndmask_b32_e32 v4, v3, v4, vcc
	v_cmp_lt_f32_e32 vcc, v4, v5
	;; [unrolled: 2-line block ×12, first 2 shown]
	v_add_u32_e32 v0, v1, v0
	v_cndmask_b32_e32 v15, v14, v15, vcc
	s_waitcnt lgkmcnt(0)
	s_barrier
	ds_write2_b64 v0, v[2:3], v[4:5] offset1:1
	ds_write2_b64 v0, v[10:11], v[12:13] offset0:2 offset1:3
	ds_write2_b64 v0, v[6:7], v[8:9] offset0:4 offset1:5
	ds_write_b64 v0, v[14:15] offset:48
	s_waitcnt lgkmcnt(0)
	s_barrier
	s_endpgm
	.section	.rodata,"a",@progbits
	.p2align	6, 0x0
	.amdhsa_kernel _ZN7rocprim17ROCPRIM_400000_NS6detail17trampoline_kernelINS0_14default_configENS1_20scan_config_selectorIfEEZZNS1_9scan_implILNS1_25lookback_scan_determinismE0ELb0ELb0ES3_N6thrust23THRUST_200600_302600_NS6detail15normal_iteratorINS9_10device_ptrIfEEEENS9_16discard_iteratorINS9_11use_defaultEEEf11max_functorIfEfEEDaPvRmT3_T4_T5_mT6_P12ihipStream_tbENKUlT_T0_E_clISt17integral_constantIbLb1EESW_IbLb0EEEEDaSS_ST_EUlSS_E0_NS1_11comp_targetILNS1_3genE4ELNS1_11target_archE910ELNS1_3gpuE8ELNS1_3repE0EEENS1_30default_config_static_selectorELNS0_4arch9wavefront6targetE1EEEvT1_
		.amdhsa_group_segment_fixed_size 7168
		.amdhsa_private_segment_fixed_size 0
		.amdhsa_kernarg_size 40
		.amdhsa_user_sgpr_count 6
		.amdhsa_user_sgpr_private_segment_buffer 1
		.amdhsa_user_sgpr_dispatch_ptr 0
		.amdhsa_user_sgpr_queue_ptr 0
		.amdhsa_user_sgpr_kernarg_segment_ptr 1
		.amdhsa_user_sgpr_dispatch_id 0
		.amdhsa_user_sgpr_flat_scratch_init 0
		.amdhsa_user_sgpr_kernarg_preload_length 0
		.amdhsa_user_sgpr_kernarg_preload_offset 0
		.amdhsa_user_sgpr_private_segment_size 0
		.amdhsa_uses_dynamic_stack 0
		.amdhsa_system_sgpr_private_segment_wavefront_offset 0
		.amdhsa_system_sgpr_workgroup_id_x 1
		.amdhsa_system_sgpr_workgroup_id_y 0
		.amdhsa_system_sgpr_workgroup_id_z 0
		.amdhsa_system_sgpr_workgroup_info 0
		.amdhsa_system_vgpr_workitem_id 0
		.amdhsa_next_free_vgpr 24
		.amdhsa_next_free_sgpr 8
		.amdhsa_accum_offset 24
		.amdhsa_reserve_vcc 1
		.amdhsa_reserve_flat_scratch 0
		.amdhsa_float_round_mode_32 0
		.amdhsa_float_round_mode_16_64 0
		.amdhsa_float_denorm_mode_32 3
		.amdhsa_float_denorm_mode_16_64 3
		.amdhsa_dx10_clamp 1
		.amdhsa_ieee_mode 1
		.amdhsa_fp16_overflow 0
		.amdhsa_tg_split 0
		.amdhsa_exception_fp_ieee_invalid_op 0
		.amdhsa_exception_fp_denorm_src 0
		.amdhsa_exception_fp_ieee_div_zero 0
		.amdhsa_exception_fp_ieee_overflow 0
		.amdhsa_exception_fp_ieee_underflow 0
		.amdhsa_exception_fp_ieee_inexact 0
		.amdhsa_exception_int_div_zero 0
	.end_amdhsa_kernel
	.section	.text._ZN7rocprim17ROCPRIM_400000_NS6detail17trampoline_kernelINS0_14default_configENS1_20scan_config_selectorIfEEZZNS1_9scan_implILNS1_25lookback_scan_determinismE0ELb0ELb0ES3_N6thrust23THRUST_200600_302600_NS6detail15normal_iteratorINS9_10device_ptrIfEEEENS9_16discard_iteratorINS9_11use_defaultEEEf11max_functorIfEfEEDaPvRmT3_T4_T5_mT6_P12ihipStream_tbENKUlT_T0_E_clISt17integral_constantIbLb1EESW_IbLb0EEEEDaSS_ST_EUlSS_E0_NS1_11comp_targetILNS1_3genE4ELNS1_11target_archE910ELNS1_3gpuE8ELNS1_3repE0EEENS1_30default_config_static_selectorELNS0_4arch9wavefront6targetE1EEEvT1_,"axG",@progbits,_ZN7rocprim17ROCPRIM_400000_NS6detail17trampoline_kernelINS0_14default_configENS1_20scan_config_selectorIfEEZZNS1_9scan_implILNS1_25lookback_scan_determinismE0ELb0ELb0ES3_N6thrust23THRUST_200600_302600_NS6detail15normal_iteratorINS9_10device_ptrIfEEEENS9_16discard_iteratorINS9_11use_defaultEEEf11max_functorIfEfEEDaPvRmT3_T4_T5_mT6_P12ihipStream_tbENKUlT_T0_E_clISt17integral_constantIbLb1EESW_IbLb0EEEEDaSS_ST_EUlSS_E0_NS1_11comp_targetILNS1_3genE4ELNS1_11target_archE910ELNS1_3gpuE8ELNS1_3repE0EEENS1_30default_config_static_selectorELNS0_4arch9wavefront6targetE1EEEvT1_,comdat
.Lfunc_end3181:
	.size	_ZN7rocprim17ROCPRIM_400000_NS6detail17trampoline_kernelINS0_14default_configENS1_20scan_config_selectorIfEEZZNS1_9scan_implILNS1_25lookback_scan_determinismE0ELb0ELb0ES3_N6thrust23THRUST_200600_302600_NS6detail15normal_iteratorINS9_10device_ptrIfEEEENS9_16discard_iteratorINS9_11use_defaultEEEf11max_functorIfEfEEDaPvRmT3_T4_T5_mT6_P12ihipStream_tbENKUlT_T0_E_clISt17integral_constantIbLb1EESW_IbLb0EEEEDaSS_ST_EUlSS_E0_NS1_11comp_targetILNS1_3genE4ELNS1_11target_archE910ELNS1_3gpuE8ELNS1_3repE0EEENS1_30default_config_static_selectorELNS0_4arch9wavefront6targetE1EEEvT1_, .Lfunc_end3181-_ZN7rocprim17ROCPRIM_400000_NS6detail17trampoline_kernelINS0_14default_configENS1_20scan_config_selectorIfEEZZNS1_9scan_implILNS1_25lookback_scan_determinismE0ELb0ELb0ES3_N6thrust23THRUST_200600_302600_NS6detail15normal_iteratorINS9_10device_ptrIfEEEENS9_16discard_iteratorINS9_11use_defaultEEEf11max_functorIfEfEEDaPvRmT3_T4_T5_mT6_P12ihipStream_tbENKUlT_T0_E_clISt17integral_constantIbLb1EESW_IbLb0EEEEDaSS_ST_EUlSS_E0_NS1_11comp_targetILNS1_3genE4ELNS1_11target_archE910ELNS1_3gpuE8ELNS1_3repE0EEENS1_30default_config_static_selectorELNS0_4arch9wavefront6targetE1EEEvT1_
                                        ; -- End function
	.section	.AMDGPU.csdata,"",@progbits
; Kernel info:
; codeLenInByte = 1448
; NumSgprs: 12
; NumVgprs: 24
; NumAgprs: 0
; TotalNumVgprs: 24
; ScratchSize: 0
; MemoryBound: 0
; FloatMode: 240
; IeeeMode: 1
; LDSByteSize: 7168 bytes/workgroup (compile time only)
; SGPRBlocks: 1
; VGPRBlocks: 2
; NumSGPRsForWavesPerEU: 12
; NumVGPRsForWavesPerEU: 24
; AccumOffset: 24
; Occupancy: 5
; WaveLimiterHint : 0
; COMPUTE_PGM_RSRC2:SCRATCH_EN: 0
; COMPUTE_PGM_RSRC2:USER_SGPR: 6
; COMPUTE_PGM_RSRC2:TRAP_HANDLER: 0
; COMPUTE_PGM_RSRC2:TGID_X_EN: 1
; COMPUTE_PGM_RSRC2:TGID_Y_EN: 0
; COMPUTE_PGM_RSRC2:TGID_Z_EN: 0
; COMPUTE_PGM_RSRC2:TIDIG_COMP_CNT: 0
; COMPUTE_PGM_RSRC3_GFX90A:ACCUM_OFFSET: 5
; COMPUTE_PGM_RSRC3_GFX90A:TG_SPLIT: 0
	.section	.text._ZN7rocprim17ROCPRIM_400000_NS6detail17trampoline_kernelINS0_14default_configENS1_20scan_config_selectorIfEEZZNS1_9scan_implILNS1_25lookback_scan_determinismE0ELb0ELb0ES3_N6thrust23THRUST_200600_302600_NS6detail15normal_iteratorINS9_10device_ptrIfEEEENS9_16discard_iteratorINS9_11use_defaultEEEf11max_functorIfEfEEDaPvRmT3_T4_T5_mT6_P12ihipStream_tbENKUlT_T0_E_clISt17integral_constantIbLb1EESW_IbLb0EEEEDaSS_ST_EUlSS_E0_NS1_11comp_targetILNS1_3genE3ELNS1_11target_archE908ELNS1_3gpuE7ELNS1_3repE0EEENS1_30default_config_static_selectorELNS0_4arch9wavefront6targetE1EEEvT1_,"axG",@progbits,_ZN7rocprim17ROCPRIM_400000_NS6detail17trampoline_kernelINS0_14default_configENS1_20scan_config_selectorIfEEZZNS1_9scan_implILNS1_25lookback_scan_determinismE0ELb0ELb0ES3_N6thrust23THRUST_200600_302600_NS6detail15normal_iteratorINS9_10device_ptrIfEEEENS9_16discard_iteratorINS9_11use_defaultEEEf11max_functorIfEfEEDaPvRmT3_T4_T5_mT6_P12ihipStream_tbENKUlT_T0_E_clISt17integral_constantIbLb1EESW_IbLb0EEEEDaSS_ST_EUlSS_E0_NS1_11comp_targetILNS1_3genE3ELNS1_11target_archE908ELNS1_3gpuE7ELNS1_3repE0EEENS1_30default_config_static_selectorELNS0_4arch9wavefront6targetE1EEEvT1_,comdat
	.protected	_ZN7rocprim17ROCPRIM_400000_NS6detail17trampoline_kernelINS0_14default_configENS1_20scan_config_selectorIfEEZZNS1_9scan_implILNS1_25lookback_scan_determinismE0ELb0ELb0ES3_N6thrust23THRUST_200600_302600_NS6detail15normal_iteratorINS9_10device_ptrIfEEEENS9_16discard_iteratorINS9_11use_defaultEEEf11max_functorIfEfEEDaPvRmT3_T4_T5_mT6_P12ihipStream_tbENKUlT_T0_E_clISt17integral_constantIbLb1EESW_IbLb0EEEEDaSS_ST_EUlSS_E0_NS1_11comp_targetILNS1_3genE3ELNS1_11target_archE908ELNS1_3gpuE7ELNS1_3repE0EEENS1_30default_config_static_selectorELNS0_4arch9wavefront6targetE1EEEvT1_ ; -- Begin function _ZN7rocprim17ROCPRIM_400000_NS6detail17trampoline_kernelINS0_14default_configENS1_20scan_config_selectorIfEEZZNS1_9scan_implILNS1_25lookback_scan_determinismE0ELb0ELb0ES3_N6thrust23THRUST_200600_302600_NS6detail15normal_iteratorINS9_10device_ptrIfEEEENS9_16discard_iteratorINS9_11use_defaultEEEf11max_functorIfEfEEDaPvRmT3_T4_T5_mT6_P12ihipStream_tbENKUlT_T0_E_clISt17integral_constantIbLb1EESW_IbLb0EEEEDaSS_ST_EUlSS_E0_NS1_11comp_targetILNS1_3genE3ELNS1_11target_archE908ELNS1_3gpuE7ELNS1_3repE0EEENS1_30default_config_static_selectorELNS0_4arch9wavefront6targetE1EEEvT1_
	.globl	_ZN7rocprim17ROCPRIM_400000_NS6detail17trampoline_kernelINS0_14default_configENS1_20scan_config_selectorIfEEZZNS1_9scan_implILNS1_25lookback_scan_determinismE0ELb0ELb0ES3_N6thrust23THRUST_200600_302600_NS6detail15normal_iteratorINS9_10device_ptrIfEEEENS9_16discard_iteratorINS9_11use_defaultEEEf11max_functorIfEfEEDaPvRmT3_T4_T5_mT6_P12ihipStream_tbENKUlT_T0_E_clISt17integral_constantIbLb1EESW_IbLb0EEEEDaSS_ST_EUlSS_E0_NS1_11comp_targetILNS1_3genE3ELNS1_11target_archE908ELNS1_3gpuE7ELNS1_3repE0EEENS1_30default_config_static_selectorELNS0_4arch9wavefront6targetE1EEEvT1_
	.p2align	8
	.type	_ZN7rocprim17ROCPRIM_400000_NS6detail17trampoline_kernelINS0_14default_configENS1_20scan_config_selectorIfEEZZNS1_9scan_implILNS1_25lookback_scan_determinismE0ELb0ELb0ES3_N6thrust23THRUST_200600_302600_NS6detail15normal_iteratorINS9_10device_ptrIfEEEENS9_16discard_iteratorINS9_11use_defaultEEEf11max_functorIfEfEEDaPvRmT3_T4_T5_mT6_P12ihipStream_tbENKUlT_T0_E_clISt17integral_constantIbLb1EESW_IbLb0EEEEDaSS_ST_EUlSS_E0_NS1_11comp_targetILNS1_3genE3ELNS1_11target_archE908ELNS1_3gpuE7ELNS1_3repE0EEENS1_30default_config_static_selectorELNS0_4arch9wavefront6targetE1EEEvT1_,@function
_ZN7rocprim17ROCPRIM_400000_NS6detail17trampoline_kernelINS0_14default_configENS1_20scan_config_selectorIfEEZZNS1_9scan_implILNS1_25lookback_scan_determinismE0ELb0ELb0ES3_N6thrust23THRUST_200600_302600_NS6detail15normal_iteratorINS9_10device_ptrIfEEEENS9_16discard_iteratorINS9_11use_defaultEEEf11max_functorIfEfEEDaPvRmT3_T4_T5_mT6_P12ihipStream_tbENKUlT_T0_E_clISt17integral_constantIbLb1EESW_IbLb0EEEEDaSS_ST_EUlSS_E0_NS1_11comp_targetILNS1_3genE3ELNS1_11target_archE908ELNS1_3gpuE7ELNS1_3repE0EEENS1_30default_config_static_selectorELNS0_4arch9wavefront6targetE1EEEvT1_: ; @_ZN7rocprim17ROCPRIM_400000_NS6detail17trampoline_kernelINS0_14default_configENS1_20scan_config_selectorIfEEZZNS1_9scan_implILNS1_25lookback_scan_determinismE0ELb0ELb0ES3_N6thrust23THRUST_200600_302600_NS6detail15normal_iteratorINS9_10device_ptrIfEEEENS9_16discard_iteratorINS9_11use_defaultEEEf11max_functorIfEfEEDaPvRmT3_T4_T5_mT6_P12ihipStream_tbENKUlT_T0_E_clISt17integral_constantIbLb1EESW_IbLb0EEEEDaSS_ST_EUlSS_E0_NS1_11comp_targetILNS1_3genE3ELNS1_11target_archE908ELNS1_3gpuE7ELNS1_3repE0EEENS1_30default_config_static_selectorELNS0_4arch9wavefront6targetE1EEEvT1_
; %bb.0:
	.section	.rodata,"a",@progbits
	.p2align	6, 0x0
	.amdhsa_kernel _ZN7rocprim17ROCPRIM_400000_NS6detail17trampoline_kernelINS0_14default_configENS1_20scan_config_selectorIfEEZZNS1_9scan_implILNS1_25lookback_scan_determinismE0ELb0ELb0ES3_N6thrust23THRUST_200600_302600_NS6detail15normal_iteratorINS9_10device_ptrIfEEEENS9_16discard_iteratorINS9_11use_defaultEEEf11max_functorIfEfEEDaPvRmT3_T4_T5_mT6_P12ihipStream_tbENKUlT_T0_E_clISt17integral_constantIbLb1EESW_IbLb0EEEEDaSS_ST_EUlSS_E0_NS1_11comp_targetILNS1_3genE3ELNS1_11target_archE908ELNS1_3gpuE7ELNS1_3repE0EEENS1_30default_config_static_selectorELNS0_4arch9wavefront6targetE1EEEvT1_
		.amdhsa_group_segment_fixed_size 0
		.amdhsa_private_segment_fixed_size 0
		.amdhsa_kernarg_size 40
		.amdhsa_user_sgpr_count 6
		.amdhsa_user_sgpr_private_segment_buffer 1
		.amdhsa_user_sgpr_dispatch_ptr 0
		.amdhsa_user_sgpr_queue_ptr 0
		.amdhsa_user_sgpr_kernarg_segment_ptr 1
		.amdhsa_user_sgpr_dispatch_id 0
		.amdhsa_user_sgpr_flat_scratch_init 0
		.amdhsa_user_sgpr_kernarg_preload_length 0
		.amdhsa_user_sgpr_kernarg_preload_offset 0
		.amdhsa_user_sgpr_private_segment_size 0
		.amdhsa_uses_dynamic_stack 0
		.amdhsa_system_sgpr_private_segment_wavefront_offset 0
		.amdhsa_system_sgpr_workgroup_id_x 1
		.amdhsa_system_sgpr_workgroup_id_y 0
		.amdhsa_system_sgpr_workgroup_id_z 0
		.amdhsa_system_sgpr_workgroup_info 0
		.amdhsa_system_vgpr_workitem_id 0
		.amdhsa_next_free_vgpr 1
		.amdhsa_next_free_sgpr 0
		.amdhsa_accum_offset 4
		.amdhsa_reserve_vcc 0
		.amdhsa_reserve_flat_scratch 0
		.amdhsa_float_round_mode_32 0
		.amdhsa_float_round_mode_16_64 0
		.amdhsa_float_denorm_mode_32 3
		.amdhsa_float_denorm_mode_16_64 3
		.amdhsa_dx10_clamp 1
		.amdhsa_ieee_mode 1
		.amdhsa_fp16_overflow 0
		.amdhsa_tg_split 0
		.amdhsa_exception_fp_ieee_invalid_op 0
		.amdhsa_exception_fp_denorm_src 0
		.amdhsa_exception_fp_ieee_div_zero 0
		.amdhsa_exception_fp_ieee_overflow 0
		.amdhsa_exception_fp_ieee_underflow 0
		.amdhsa_exception_fp_ieee_inexact 0
		.amdhsa_exception_int_div_zero 0
	.end_amdhsa_kernel
	.section	.text._ZN7rocprim17ROCPRIM_400000_NS6detail17trampoline_kernelINS0_14default_configENS1_20scan_config_selectorIfEEZZNS1_9scan_implILNS1_25lookback_scan_determinismE0ELb0ELb0ES3_N6thrust23THRUST_200600_302600_NS6detail15normal_iteratorINS9_10device_ptrIfEEEENS9_16discard_iteratorINS9_11use_defaultEEEf11max_functorIfEfEEDaPvRmT3_T4_T5_mT6_P12ihipStream_tbENKUlT_T0_E_clISt17integral_constantIbLb1EESW_IbLb0EEEEDaSS_ST_EUlSS_E0_NS1_11comp_targetILNS1_3genE3ELNS1_11target_archE908ELNS1_3gpuE7ELNS1_3repE0EEENS1_30default_config_static_selectorELNS0_4arch9wavefront6targetE1EEEvT1_,"axG",@progbits,_ZN7rocprim17ROCPRIM_400000_NS6detail17trampoline_kernelINS0_14default_configENS1_20scan_config_selectorIfEEZZNS1_9scan_implILNS1_25lookback_scan_determinismE0ELb0ELb0ES3_N6thrust23THRUST_200600_302600_NS6detail15normal_iteratorINS9_10device_ptrIfEEEENS9_16discard_iteratorINS9_11use_defaultEEEf11max_functorIfEfEEDaPvRmT3_T4_T5_mT6_P12ihipStream_tbENKUlT_T0_E_clISt17integral_constantIbLb1EESW_IbLb0EEEEDaSS_ST_EUlSS_E0_NS1_11comp_targetILNS1_3genE3ELNS1_11target_archE908ELNS1_3gpuE7ELNS1_3repE0EEENS1_30default_config_static_selectorELNS0_4arch9wavefront6targetE1EEEvT1_,comdat
.Lfunc_end3182:
	.size	_ZN7rocprim17ROCPRIM_400000_NS6detail17trampoline_kernelINS0_14default_configENS1_20scan_config_selectorIfEEZZNS1_9scan_implILNS1_25lookback_scan_determinismE0ELb0ELb0ES3_N6thrust23THRUST_200600_302600_NS6detail15normal_iteratorINS9_10device_ptrIfEEEENS9_16discard_iteratorINS9_11use_defaultEEEf11max_functorIfEfEEDaPvRmT3_T4_T5_mT6_P12ihipStream_tbENKUlT_T0_E_clISt17integral_constantIbLb1EESW_IbLb0EEEEDaSS_ST_EUlSS_E0_NS1_11comp_targetILNS1_3genE3ELNS1_11target_archE908ELNS1_3gpuE7ELNS1_3repE0EEENS1_30default_config_static_selectorELNS0_4arch9wavefront6targetE1EEEvT1_, .Lfunc_end3182-_ZN7rocprim17ROCPRIM_400000_NS6detail17trampoline_kernelINS0_14default_configENS1_20scan_config_selectorIfEEZZNS1_9scan_implILNS1_25lookback_scan_determinismE0ELb0ELb0ES3_N6thrust23THRUST_200600_302600_NS6detail15normal_iteratorINS9_10device_ptrIfEEEENS9_16discard_iteratorINS9_11use_defaultEEEf11max_functorIfEfEEDaPvRmT3_T4_T5_mT6_P12ihipStream_tbENKUlT_T0_E_clISt17integral_constantIbLb1EESW_IbLb0EEEEDaSS_ST_EUlSS_E0_NS1_11comp_targetILNS1_3genE3ELNS1_11target_archE908ELNS1_3gpuE7ELNS1_3repE0EEENS1_30default_config_static_selectorELNS0_4arch9wavefront6targetE1EEEvT1_
                                        ; -- End function
	.section	.AMDGPU.csdata,"",@progbits
; Kernel info:
; codeLenInByte = 0
; NumSgprs: 4
; NumVgprs: 0
; NumAgprs: 0
; TotalNumVgprs: 0
; ScratchSize: 0
; MemoryBound: 0
; FloatMode: 240
; IeeeMode: 1
; LDSByteSize: 0 bytes/workgroup (compile time only)
; SGPRBlocks: 0
; VGPRBlocks: 0
; NumSGPRsForWavesPerEU: 4
; NumVGPRsForWavesPerEU: 1
; AccumOffset: 4
; Occupancy: 8
; WaveLimiterHint : 0
; COMPUTE_PGM_RSRC2:SCRATCH_EN: 0
; COMPUTE_PGM_RSRC2:USER_SGPR: 6
; COMPUTE_PGM_RSRC2:TRAP_HANDLER: 0
; COMPUTE_PGM_RSRC2:TGID_X_EN: 1
; COMPUTE_PGM_RSRC2:TGID_Y_EN: 0
; COMPUTE_PGM_RSRC2:TGID_Z_EN: 0
; COMPUTE_PGM_RSRC2:TIDIG_COMP_CNT: 0
; COMPUTE_PGM_RSRC3_GFX90A:ACCUM_OFFSET: 0
; COMPUTE_PGM_RSRC3_GFX90A:TG_SPLIT: 0
	.section	.text._ZN7rocprim17ROCPRIM_400000_NS6detail17trampoline_kernelINS0_14default_configENS1_20scan_config_selectorIfEEZZNS1_9scan_implILNS1_25lookback_scan_determinismE0ELb0ELb0ES3_N6thrust23THRUST_200600_302600_NS6detail15normal_iteratorINS9_10device_ptrIfEEEENS9_16discard_iteratorINS9_11use_defaultEEEf11max_functorIfEfEEDaPvRmT3_T4_T5_mT6_P12ihipStream_tbENKUlT_T0_E_clISt17integral_constantIbLb1EESW_IbLb0EEEEDaSS_ST_EUlSS_E0_NS1_11comp_targetILNS1_3genE2ELNS1_11target_archE906ELNS1_3gpuE6ELNS1_3repE0EEENS1_30default_config_static_selectorELNS0_4arch9wavefront6targetE1EEEvT1_,"axG",@progbits,_ZN7rocprim17ROCPRIM_400000_NS6detail17trampoline_kernelINS0_14default_configENS1_20scan_config_selectorIfEEZZNS1_9scan_implILNS1_25lookback_scan_determinismE0ELb0ELb0ES3_N6thrust23THRUST_200600_302600_NS6detail15normal_iteratorINS9_10device_ptrIfEEEENS9_16discard_iteratorINS9_11use_defaultEEEf11max_functorIfEfEEDaPvRmT3_T4_T5_mT6_P12ihipStream_tbENKUlT_T0_E_clISt17integral_constantIbLb1EESW_IbLb0EEEEDaSS_ST_EUlSS_E0_NS1_11comp_targetILNS1_3genE2ELNS1_11target_archE906ELNS1_3gpuE6ELNS1_3repE0EEENS1_30default_config_static_selectorELNS0_4arch9wavefront6targetE1EEEvT1_,comdat
	.protected	_ZN7rocprim17ROCPRIM_400000_NS6detail17trampoline_kernelINS0_14default_configENS1_20scan_config_selectorIfEEZZNS1_9scan_implILNS1_25lookback_scan_determinismE0ELb0ELb0ES3_N6thrust23THRUST_200600_302600_NS6detail15normal_iteratorINS9_10device_ptrIfEEEENS9_16discard_iteratorINS9_11use_defaultEEEf11max_functorIfEfEEDaPvRmT3_T4_T5_mT6_P12ihipStream_tbENKUlT_T0_E_clISt17integral_constantIbLb1EESW_IbLb0EEEEDaSS_ST_EUlSS_E0_NS1_11comp_targetILNS1_3genE2ELNS1_11target_archE906ELNS1_3gpuE6ELNS1_3repE0EEENS1_30default_config_static_selectorELNS0_4arch9wavefront6targetE1EEEvT1_ ; -- Begin function _ZN7rocprim17ROCPRIM_400000_NS6detail17trampoline_kernelINS0_14default_configENS1_20scan_config_selectorIfEEZZNS1_9scan_implILNS1_25lookback_scan_determinismE0ELb0ELb0ES3_N6thrust23THRUST_200600_302600_NS6detail15normal_iteratorINS9_10device_ptrIfEEEENS9_16discard_iteratorINS9_11use_defaultEEEf11max_functorIfEfEEDaPvRmT3_T4_T5_mT6_P12ihipStream_tbENKUlT_T0_E_clISt17integral_constantIbLb1EESW_IbLb0EEEEDaSS_ST_EUlSS_E0_NS1_11comp_targetILNS1_3genE2ELNS1_11target_archE906ELNS1_3gpuE6ELNS1_3repE0EEENS1_30default_config_static_selectorELNS0_4arch9wavefront6targetE1EEEvT1_
	.globl	_ZN7rocprim17ROCPRIM_400000_NS6detail17trampoline_kernelINS0_14default_configENS1_20scan_config_selectorIfEEZZNS1_9scan_implILNS1_25lookback_scan_determinismE0ELb0ELb0ES3_N6thrust23THRUST_200600_302600_NS6detail15normal_iteratorINS9_10device_ptrIfEEEENS9_16discard_iteratorINS9_11use_defaultEEEf11max_functorIfEfEEDaPvRmT3_T4_T5_mT6_P12ihipStream_tbENKUlT_T0_E_clISt17integral_constantIbLb1EESW_IbLb0EEEEDaSS_ST_EUlSS_E0_NS1_11comp_targetILNS1_3genE2ELNS1_11target_archE906ELNS1_3gpuE6ELNS1_3repE0EEENS1_30default_config_static_selectorELNS0_4arch9wavefront6targetE1EEEvT1_
	.p2align	8
	.type	_ZN7rocprim17ROCPRIM_400000_NS6detail17trampoline_kernelINS0_14default_configENS1_20scan_config_selectorIfEEZZNS1_9scan_implILNS1_25lookback_scan_determinismE0ELb0ELb0ES3_N6thrust23THRUST_200600_302600_NS6detail15normal_iteratorINS9_10device_ptrIfEEEENS9_16discard_iteratorINS9_11use_defaultEEEf11max_functorIfEfEEDaPvRmT3_T4_T5_mT6_P12ihipStream_tbENKUlT_T0_E_clISt17integral_constantIbLb1EESW_IbLb0EEEEDaSS_ST_EUlSS_E0_NS1_11comp_targetILNS1_3genE2ELNS1_11target_archE906ELNS1_3gpuE6ELNS1_3repE0EEENS1_30default_config_static_selectorELNS0_4arch9wavefront6targetE1EEEvT1_,@function
_ZN7rocprim17ROCPRIM_400000_NS6detail17trampoline_kernelINS0_14default_configENS1_20scan_config_selectorIfEEZZNS1_9scan_implILNS1_25lookback_scan_determinismE0ELb0ELb0ES3_N6thrust23THRUST_200600_302600_NS6detail15normal_iteratorINS9_10device_ptrIfEEEENS9_16discard_iteratorINS9_11use_defaultEEEf11max_functorIfEfEEDaPvRmT3_T4_T5_mT6_P12ihipStream_tbENKUlT_T0_E_clISt17integral_constantIbLb1EESW_IbLb0EEEEDaSS_ST_EUlSS_E0_NS1_11comp_targetILNS1_3genE2ELNS1_11target_archE906ELNS1_3gpuE6ELNS1_3repE0EEENS1_30default_config_static_selectorELNS0_4arch9wavefront6targetE1EEEvT1_: ; @_ZN7rocprim17ROCPRIM_400000_NS6detail17trampoline_kernelINS0_14default_configENS1_20scan_config_selectorIfEEZZNS1_9scan_implILNS1_25lookback_scan_determinismE0ELb0ELb0ES3_N6thrust23THRUST_200600_302600_NS6detail15normal_iteratorINS9_10device_ptrIfEEEENS9_16discard_iteratorINS9_11use_defaultEEEf11max_functorIfEfEEDaPvRmT3_T4_T5_mT6_P12ihipStream_tbENKUlT_T0_E_clISt17integral_constantIbLb1EESW_IbLb0EEEEDaSS_ST_EUlSS_E0_NS1_11comp_targetILNS1_3genE2ELNS1_11target_archE906ELNS1_3gpuE6ELNS1_3repE0EEENS1_30default_config_static_selectorELNS0_4arch9wavefront6targetE1EEEvT1_
; %bb.0:
	.section	.rodata,"a",@progbits
	.p2align	6, 0x0
	.amdhsa_kernel _ZN7rocprim17ROCPRIM_400000_NS6detail17trampoline_kernelINS0_14default_configENS1_20scan_config_selectorIfEEZZNS1_9scan_implILNS1_25lookback_scan_determinismE0ELb0ELb0ES3_N6thrust23THRUST_200600_302600_NS6detail15normal_iteratorINS9_10device_ptrIfEEEENS9_16discard_iteratorINS9_11use_defaultEEEf11max_functorIfEfEEDaPvRmT3_T4_T5_mT6_P12ihipStream_tbENKUlT_T0_E_clISt17integral_constantIbLb1EESW_IbLb0EEEEDaSS_ST_EUlSS_E0_NS1_11comp_targetILNS1_3genE2ELNS1_11target_archE906ELNS1_3gpuE6ELNS1_3repE0EEENS1_30default_config_static_selectorELNS0_4arch9wavefront6targetE1EEEvT1_
		.amdhsa_group_segment_fixed_size 0
		.amdhsa_private_segment_fixed_size 0
		.amdhsa_kernarg_size 40
		.amdhsa_user_sgpr_count 6
		.amdhsa_user_sgpr_private_segment_buffer 1
		.amdhsa_user_sgpr_dispatch_ptr 0
		.amdhsa_user_sgpr_queue_ptr 0
		.amdhsa_user_sgpr_kernarg_segment_ptr 1
		.amdhsa_user_sgpr_dispatch_id 0
		.amdhsa_user_sgpr_flat_scratch_init 0
		.amdhsa_user_sgpr_kernarg_preload_length 0
		.amdhsa_user_sgpr_kernarg_preload_offset 0
		.amdhsa_user_sgpr_private_segment_size 0
		.amdhsa_uses_dynamic_stack 0
		.amdhsa_system_sgpr_private_segment_wavefront_offset 0
		.amdhsa_system_sgpr_workgroup_id_x 1
		.amdhsa_system_sgpr_workgroup_id_y 0
		.amdhsa_system_sgpr_workgroup_id_z 0
		.amdhsa_system_sgpr_workgroup_info 0
		.amdhsa_system_vgpr_workitem_id 0
		.amdhsa_next_free_vgpr 1
		.amdhsa_next_free_sgpr 0
		.amdhsa_accum_offset 4
		.amdhsa_reserve_vcc 0
		.amdhsa_reserve_flat_scratch 0
		.amdhsa_float_round_mode_32 0
		.amdhsa_float_round_mode_16_64 0
		.amdhsa_float_denorm_mode_32 3
		.amdhsa_float_denorm_mode_16_64 3
		.amdhsa_dx10_clamp 1
		.amdhsa_ieee_mode 1
		.amdhsa_fp16_overflow 0
		.amdhsa_tg_split 0
		.amdhsa_exception_fp_ieee_invalid_op 0
		.amdhsa_exception_fp_denorm_src 0
		.amdhsa_exception_fp_ieee_div_zero 0
		.amdhsa_exception_fp_ieee_overflow 0
		.amdhsa_exception_fp_ieee_underflow 0
		.amdhsa_exception_fp_ieee_inexact 0
		.amdhsa_exception_int_div_zero 0
	.end_amdhsa_kernel
	.section	.text._ZN7rocprim17ROCPRIM_400000_NS6detail17trampoline_kernelINS0_14default_configENS1_20scan_config_selectorIfEEZZNS1_9scan_implILNS1_25lookback_scan_determinismE0ELb0ELb0ES3_N6thrust23THRUST_200600_302600_NS6detail15normal_iteratorINS9_10device_ptrIfEEEENS9_16discard_iteratorINS9_11use_defaultEEEf11max_functorIfEfEEDaPvRmT3_T4_T5_mT6_P12ihipStream_tbENKUlT_T0_E_clISt17integral_constantIbLb1EESW_IbLb0EEEEDaSS_ST_EUlSS_E0_NS1_11comp_targetILNS1_3genE2ELNS1_11target_archE906ELNS1_3gpuE6ELNS1_3repE0EEENS1_30default_config_static_selectorELNS0_4arch9wavefront6targetE1EEEvT1_,"axG",@progbits,_ZN7rocprim17ROCPRIM_400000_NS6detail17trampoline_kernelINS0_14default_configENS1_20scan_config_selectorIfEEZZNS1_9scan_implILNS1_25lookback_scan_determinismE0ELb0ELb0ES3_N6thrust23THRUST_200600_302600_NS6detail15normal_iteratorINS9_10device_ptrIfEEEENS9_16discard_iteratorINS9_11use_defaultEEEf11max_functorIfEfEEDaPvRmT3_T4_T5_mT6_P12ihipStream_tbENKUlT_T0_E_clISt17integral_constantIbLb1EESW_IbLb0EEEEDaSS_ST_EUlSS_E0_NS1_11comp_targetILNS1_3genE2ELNS1_11target_archE906ELNS1_3gpuE6ELNS1_3repE0EEENS1_30default_config_static_selectorELNS0_4arch9wavefront6targetE1EEEvT1_,comdat
.Lfunc_end3183:
	.size	_ZN7rocprim17ROCPRIM_400000_NS6detail17trampoline_kernelINS0_14default_configENS1_20scan_config_selectorIfEEZZNS1_9scan_implILNS1_25lookback_scan_determinismE0ELb0ELb0ES3_N6thrust23THRUST_200600_302600_NS6detail15normal_iteratorINS9_10device_ptrIfEEEENS9_16discard_iteratorINS9_11use_defaultEEEf11max_functorIfEfEEDaPvRmT3_T4_T5_mT6_P12ihipStream_tbENKUlT_T0_E_clISt17integral_constantIbLb1EESW_IbLb0EEEEDaSS_ST_EUlSS_E0_NS1_11comp_targetILNS1_3genE2ELNS1_11target_archE906ELNS1_3gpuE6ELNS1_3repE0EEENS1_30default_config_static_selectorELNS0_4arch9wavefront6targetE1EEEvT1_, .Lfunc_end3183-_ZN7rocprim17ROCPRIM_400000_NS6detail17trampoline_kernelINS0_14default_configENS1_20scan_config_selectorIfEEZZNS1_9scan_implILNS1_25lookback_scan_determinismE0ELb0ELb0ES3_N6thrust23THRUST_200600_302600_NS6detail15normal_iteratorINS9_10device_ptrIfEEEENS9_16discard_iteratorINS9_11use_defaultEEEf11max_functorIfEfEEDaPvRmT3_T4_T5_mT6_P12ihipStream_tbENKUlT_T0_E_clISt17integral_constantIbLb1EESW_IbLb0EEEEDaSS_ST_EUlSS_E0_NS1_11comp_targetILNS1_3genE2ELNS1_11target_archE906ELNS1_3gpuE6ELNS1_3repE0EEENS1_30default_config_static_selectorELNS0_4arch9wavefront6targetE1EEEvT1_
                                        ; -- End function
	.section	.AMDGPU.csdata,"",@progbits
; Kernel info:
; codeLenInByte = 0
; NumSgprs: 4
; NumVgprs: 0
; NumAgprs: 0
; TotalNumVgprs: 0
; ScratchSize: 0
; MemoryBound: 0
; FloatMode: 240
; IeeeMode: 1
; LDSByteSize: 0 bytes/workgroup (compile time only)
; SGPRBlocks: 0
; VGPRBlocks: 0
; NumSGPRsForWavesPerEU: 4
; NumVGPRsForWavesPerEU: 1
; AccumOffset: 4
; Occupancy: 8
; WaveLimiterHint : 0
; COMPUTE_PGM_RSRC2:SCRATCH_EN: 0
; COMPUTE_PGM_RSRC2:USER_SGPR: 6
; COMPUTE_PGM_RSRC2:TRAP_HANDLER: 0
; COMPUTE_PGM_RSRC2:TGID_X_EN: 1
; COMPUTE_PGM_RSRC2:TGID_Y_EN: 0
; COMPUTE_PGM_RSRC2:TGID_Z_EN: 0
; COMPUTE_PGM_RSRC2:TIDIG_COMP_CNT: 0
; COMPUTE_PGM_RSRC3_GFX90A:ACCUM_OFFSET: 0
; COMPUTE_PGM_RSRC3_GFX90A:TG_SPLIT: 0
	.section	.text._ZN7rocprim17ROCPRIM_400000_NS6detail17trampoline_kernelINS0_14default_configENS1_20scan_config_selectorIfEEZZNS1_9scan_implILNS1_25lookback_scan_determinismE0ELb0ELb0ES3_N6thrust23THRUST_200600_302600_NS6detail15normal_iteratorINS9_10device_ptrIfEEEENS9_16discard_iteratorINS9_11use_defaultEEEf11max_functorIfEfEEDaPvRmT3_T4_T5_mT6_P12ihipStream_tbENKUlT_T0_E_clISt17integral_constantIbLb1EESW_IbLb0EEEEDaSS_ST_EUlSS_E0_NS1_11comp_targetILNS1_3genE10ELNS1_11target_archE1201ELNS1_3gpuE5ELNS1_3repE0EEENS1_30default_config_static_selectorELNS0_4arch9wavefront6targetE1EEEvT1_,"axG",@progbits,_ZN7rocprim17ROCPRIM_400000_NS6detail17trampoline_kernelINS0_14default_configENS1_20scan_config_selectorIfEEZZNS1_9scan_implILNS1_25lookback_scan_determinismE0ELb0ELb0ES3_N6thrust23THRUST_200600_302600_NS6detail15normal_iteratorINS9_10device_ptrIfEEEENS9_16discard_iteratorINS9_11use_defaultEEEf11max_functorIfEfEEDaPvRmT3_T4_T5_mT6_P12ihipStream_tbENKUlT_T0_E_clISt17integral_constantIbLb1EESW_IbLb0EEEEDaSS_ST_EUlSS_E0_NS1_11comp_targetILNS1_3genE10ELNS1_11target_archE1201ELNS1_3gpuE5ELNS1_3repE0EEENS1_30default_config_static_selectorELNS0_4arch9wavefront6targetE1EEEvT1_,comdat
	.protected	_ZN7rocprim17ROCPRIM_400000_NS6detail17trampoline_kernelINS0_14default_configENS1_20scan_config_selectorIfEEZZNS1_9scan_implILNS1_25lookback_scan_determinismE0ELb0ELb0ES3_N6thrust23THRUST_200600_302600_NS6detail15normal_iteratorINS9_10device_ptrIfEEEENS9_16discard_iteratorINS9_11use_defaultEEEf11max_functorIfEfEEDaPvRmT3_T4_T5_mT6_P12ihipStream_tbENKUlT_T0_E_clISt17integral_constantIbLb1EESW_IbLb0EEEEDaSS_ST_EUlSS_E0_NS1_11comp_targetILNS1_3genE10ELNS1_11target_archE1201ELNS1_3gpuE5ELNS1_3repE0EEENS1_30default_config_static_selectorELNS0_4arch9wavefront6targetE1EEEvT1_ ; -- Begin function _ZN7rocprim17ROCPRIM_400000_NS6detail17trampoline_kernelINS0_14default_configENS1_20scan_config_selectorIfEEZZNS1_9scan_implILNS1_25lookback_scan_determinismE0ELb0ELb0ES3_N6thrust23THRUST_200600_302600_NS6detail15normal_iteratorINS9_10device_ptrIfEEEENS9_16discard_iteratorINS9_11use_defaultEEEf11max_functorIfEfEEDaPvRmT3_T4_T5_mT6_P12ihipStream_tbENKUlT_T0_E_clISt17integral_constantIbLb1EESW_IbLb0EEEEDaSS_ST_EUlSS_E0_NS1_11comp_targetILNS1_3genE10ELNS1_11target_archE1201ELNS1_3gpuE5ELNS1_3repE0EEENS1_30default_config_static_selectorELNS0_4arch9wavefront6targetE1EEEvT1_
	.globl	_ZN7rocprim17ROCPRIM_400000_NS6detail17trampoline_kernelINS0_14default_configENS1_20scan_config_selectorIfEEZZNS1_9scan_implILNS1_25lookback_scan_determinismE0ELb0ELb0ES3_N6thrust23THRUST_200600_302600_NS6detail15normal_iteratorINS9_10device_ptrIfEEEENS9_16discard_iteratorINS9_11use_defaultEEEf11max_functorIfEfEEDaPvRmT3_T4_T5_mT6_P12ihipStream_tbENKUlT_T0_E_clISt17integral_constantIbLb1EESW_IbLb0EEEEDaSS_ST_EUlSS_E0_NS1_11comp_targetILNS1_3genE10ELNS1_11target_archE1201ELNS1_3gpuE5ELNS1_3repE0EEENS1_30default_config_static_selectorELNS0_4arch9wavefront6targetE1EEEvT1_
	.p2align	8
	.type	_ZN7rocprim17ROCPRIM_400000_NS6detail17trampoline_kernelINS0_14default_configENS1_20scan_config_selectorIfEEZZNS1_9scan_implILNS1_25lookback_scan_determinismE0ELb0ELb0ES3_N6thrust23THRUST_200600_302600_NS6detail15normal_iteratorINS9_10device_ptrIfEEEENS9_16discard_iteratorINS9_11use_defaultEEEf11max_functorIfEfEEDaPvRmT3_T4_T5_mT6_P12ihipStream_tbENKUlT_T0_E_clISt17integral_constantIbLb1EESW_IbLb0EEEEDaSS_ST_EUlSS_E0_NS1_11comp_targetILNS1_3genE10ELNS1_11target_archE1201ELNS1_3gpuE5ELNS1_3repE0EEENS1_30default_config_static_selectorELNS0_4arch9wavefront6targetE1EEEvT1_,@function
_ZN7rocprim17ROCPRIM_400000_NS6detail17trampoline_kernelINS0_14default_configENS1_20scan_config_selectorIfEEZZNS1_9scan_implILNS1_25lookback_scan_determinismE0ELb0ELb0ES3_N6thrust23THRUST_200600_302600_NS6detail15normal_iteratorINS9_10device_ptrIfEEEENS9_16discard_iteratorINS9_11use_defaultEEEf11max_functorIfEfEEDaPvRmT3_T4_T5_mT6_P12ihipStream_tbENKUlT_T0_E_clISt17integral_constantIbLb1EESW_IbLb0EEEEDaSS_ST_EUlSS_E0_NS1_11comp_targetILNS1_3genE10ELNS1_11target_archE1201ELNS1_3gpuE5ELNS1_3repE0EEENS1_30default_config_static_selectorELNS0_4arch9wavefront6targetE1EEEvT1_: ; @_ZN7rocprim17ROCPRIM_400000_NS6detail17trampoline_kernelINS0_14default_configENS1_20scan_config_selectorIfEEZZNS1_9scan_implILNS1_25lookback_scan_determinismE0ELb0ELb0ES3_N6thrust23THRUST_200600_302600_NS6detail15normal_iteratorINS9_10device_ptrIfEEEENS9_16discard_iteratorINS9_11use_defaultEEEf11max_functorIfEfEEDaPvRmT3_T4_T5_mT6_P12ihipStream_tbENKUlT_T0_E_clISt17integral_constantIbLb1EESW_IbLb0EEEEDaSS_ST_EUlSS_E0_NS1_11comp_targetILNS1_3genE10ELNS1_11target_archE1201ELNS1_3gpuE5ELNS1_3repE0EEENS1_30default_config_static_selectorELNS0_4arch9wavefront6targetE1EEEvT1_
; %bb.0:
	.section	.rodata,"a",@progbits
	.p2align	6, 0x0
	.amdhsa_kernel _ZN7rocprim17ROCPRIM_400000_NS6detail17trampoline_kernelINS0_14default_configENS1_20scan_config_selectorIfEEZZNS1_9scan_implILNS1_25lookback_scan_determinismE0ELb0ELb0ES3_N6thrust23THRUST_200600_302600_NS6detail15normal_iteratorINS9_10device_ptrIfEEEENS9_16discard_iteratorINS9_11use_defaultEEEf11max_functorIfEfEEDaPvRmT3_T4_T5_mT6_P12ihipStream_tbENKUlT_T0_E_clISt17integral_constantIbLb1EESW_IbLb0EEEEDaSS_ST_EUlSS_E0_NS1_11comp_targetILNS1_3genE10ELNS1_11target_archE1201ELNS1_3gpuE5ELNS1_3repE0EEENS1_30default_config_static_selectorELNS0_4arch9wavefront6targetE1EEEvT1_
		.amdhsa_group_segment_fixed_size 0
		.amdhsa_private_segment_fixed_size 0
		.amdhsa_kernarg_size 40
		.amdhsa_user_sgpr_count 6
		.amdhsa_user_sgpr_private_segment_buffer 1
		.amdhsa_user_sgpr_dispatch_ptr 0
		.amdhsa_user_sgpr_queue_ptr 0
		.amdhsa_user_sgpr_kernarg_segment_ptr 1
		.amdhsa_user_sgpr_dispatch_id 0
		.amdhsa_user_sgpr_flat_scratch_init 0
		.amdhsa_user_sgpr_kernarg_preload_length 0
		.amdhsa_user_sgpr_kernarg_preload_offset 0
		.amdhsa_user_sgpr_private_segment_size 0
		.amdhsa_uses_dynamic_stack 0
		.amdhsa_system_sgpr_private_segment_wavefront_offset 0
		.amdhsa_system_sgpr_workgroup_id_x 1
		.amdhsa_system_sgpr_workgroup_id_y 0
		.amdhsa_system_sgpr_workgroup_id_z 0
		.amdhsa_system_sgpr_workgroup_info 0
		.amdhsa_system_vgpr_workitem_id 0
		.amdhsa_next_free_vgpr 1
		.amdhsa_next_free_sgpr 0
		.amdhsa_accum_offset 4
		.amdhsa_reserve_vcc 0
		.amdhsa_reserve_flat_scratch 0
		.amdhsa_float_round_mode_32 0
		.amdhsa_float_round_mode_16_64 0
		.amdhsa_float_denorm_mode_32 3
		.amdhsa_float_denorm_mode_16_64 3
		.amdhsa_dx10_clamp 1
		.amdhsa_ieee_mode 1
		.amdhsa_fp16_overflow 0
		.amdhsa_tg_split 0
		.amdhsa_exception_fp_ieee_invalid_op 0
		.amdhsa_exception_fp_denorm_src 0
		.amdhsa_exception_fp_ieee_div_zero 0
		.amdhsa_exception_fp_ieee_overflow 0
		.amdhsa_exception_fp_ieee_underflow 0
		.amdhsa_exception_fp_ieee_inexact 0
		.amdhsa_exception_int_div_zero 0
	.end_amdhsa_kernel
	.section	.text._ZN7rocprim17ROCPRIM_400000_NS6detail17trampoline_kernelINS0_14default_configENS1_20scan_config_selectorIfEEZZNS1_9scan_implILNS1_25lookback_scan_determinismE0ELb0ELb0ES3_N6thrust23THRUST_200600_302600_NS6detail15normal_iteratorINS9_10device_ptrIfEEEENS9_16discard_iteratorINS9_11use_defaultEEEf11max_functorIfEfEEDaPvRmT3_T4_T5_mT6_P12ihipStream_tbENKUlT_T0_E_clISt17integral_constantIbLb1EESW_IbLb0EEEEDaSS_ST_EUlSS_E0_NS1_11comp_targetILNS1_3genE10ELNS1_11target_archE1201ELNS1_3gpuE5ELNS1_3repE0EEENS1_30default_config_static_selectorELNS0_4arch9wavefront6targetE1EEEvT1_,"axG",@progbits,_ZN7rocprim17ROCPRIM_400000_NS6detail17trampoline_kernelINS0_14default_configENS1_20scan_config_selectorIfEEZZNS1_9scan_implILNS1_25lookback_scan_determinismE0ELb0ELb0ES3_N6thrust23THRUST_200600_302600_NS6detail15normal_iteratorINS9_10device_ptrIfEEEENS9_16discard_iteratorINS9_11use_defaultEEEf11max_functorIfEfEEDaPvRmT3_T4_T5_mT6_P12ihipStream_tbENKUlT_T0_E_clISt17integral_constantIbLb1EESW_IbLb0EEEEDaSS_ST_EUlSS_E0_NS1_11comp_targetILNS1_3genE10ELNS1_11target_archE1201ELNS1_3gpuE5ELNS1_3repE0EEENS1_30default_config_static_selectorELNS0_4arch9wavefront6targetE1EEEvT1_,comdat
.Lfunc_end3184:
	.size	_ZN7rocprim17ROCPRIM_400000_NS6detail17trampoline_kernelINS0_14default_configENS1_20scan_config_selectorIfEEZZNS1_9scan_implILNS1_25lookback_scan_determinismE0ELb0ELb0ES3_N6thrust23THRUST_200600_302600_NS6detail15normal_iteratorINS9_10device_ptrIfEEEENS9_16discard_iteratorINS9_11use_defaultEEEf11max_functorIfEfEEDaPvRmT3_T4_T5_mT6_P12ihipStream_tbENKUlT_T0_E_clISt17integral_constantIbLb1EESW_IbLb0EEEEDaSS_ST_EUlSS_E0_NS1_11comp_targetILNS1_3genE10ELNS1_11target_archE1201ELNS1_3gpuE5ELNS1_3repE0EEENS1_30default_config_static_selectorELNS0_4arch9wavefront6targetE1EEEvT1_, .Lfunc_end3184-_ZN7rocprim17ROCPRIM_400000_NS6detail17trampoline_kernelINS0_14default_configENS1_20scan_config_selectorIfEEZZNS1_9scan_implILNS1_25lookback_scan_determinismE0ELb0ELb0ES3_N6thrust23THRUST_200600_302600_NS6detail15normal_iteratorINS9_10device_ptrIfEEEENS9_16discard_iteratorINS9_11use_defaultEEEf11max_functorIfEfEEDaPvRmT3_T4_T5_mT6_P12ihipStream_tbENKUlT_T0_E_clISt17integral_constantIbLb1EESW_IbLb0EEEEDaSS_ST_EUlSS_E0_NS1_11comp_targetILNS1_3genE10ELNS1_11target_archE1201ELNS1_3gpuE5ELNS1_3repE0EEENS1_30default_config_static_selectorELNS0_4arch9wavefront6targetE1EEEvT1_
                                        ; -- End function
	.section	.AMDGPU.csdata,"",@progbits
; Kernel info:
; codeLenInByte = 0
; NumSgprs: 4
; NumVgprs: 0
; NumAgprs: 0
; TotalNumVgprs: 0
; ScratchSize: 0
; MemoryBound: 0
; FloatMode: 240
; IeeeMode: 1
; LDSByteSize: 0 bytes/workgroup (compile time only)
; SGPRBlocks: 0
; VGPRBlocks: 0
; NumSGPRsForWavesPerEU: 4
; NumVGPRsForWavesPerEU: 1
; AccumOffset: 4
; Occupancy: 8
; WaveLimiterHint : 0
; COMPUTE_PGM_RSRC2:SCRATCH_EN: 0
; COMPUTE_PGM_RSRC2:USER_SGPR: 6
; COMPUTE_PGM_RSRC2:TRAP_HANDLER: 0
; COMPUTE_PGM_RSRC2:TGID_X_EN: 1
; COMPUTE_PGM_RSRC2:TGID_Y_EN: 0
; COMPUTE_PGM_RSRC2:TGID_Z_EN: 0
; COMPUTE_PGM_RSRC2:TIDIG_COMP_CNT: 0
; COMPUTE_PGM_RSRC3_GFX90A:ACCUM_OFFSET: 0
; COMPUTE_PGM_RSRC3_GFX90A:TG_SPLIT: 0
	.section	.text._ZN7rocprim17ROCPRIM_400000_NS6detail17trampoline_kernelINS0_14default_configENS1_20scan_config_selectorIfEEZZNS1_9scan_implILNS1_25lookback_scan_determinismE0ELb0ELb0ES3_N6thrust23THRUST_200600_302600_NS6detail15normal_iteratorINS9_10device_ptrIfEEEENS9_16discard_iteratorINS9_11use_defaultEEEf11max_functorIfEfEEDaPvRmT3_T4_T5_mT6_P12ihipStream_tbENKUlT_T0_E_clISt17integral_constantIbLb1EESW_IbLb0EEEEDaSS_ST_EUlSS_E0_NS1_11comp_targetILNS1_3genE10ELNS1_11target_archE1200ELNS1_3gpuE4ELNS1_3repE0EEENS1_30default_config_static_selectorELNS0_4arch9wavefront6targetE1EEEvT1_,"axG",@progbits,_ZN7rocprim17ROCPRIM_400000_NS6detail17trampoline_kernelINS0_14default_configENS1_20scan_config_selectorIfEEZZNS1_9scan_implILNS1_25lookback_scan_determinismE0ELb0ELb0ES3_N6thrust23THRUST_200600_302600_NS6detail15normal_iteratorINS9_10device_ptrIfEEEENS9_16discard_iteratorINS9_11use_defaultEEEf11max_functorIfEfEEDaPvRmT3_T4_T5_mT6_P12ihipStream_tbENKUlT_T0_E_clISt17integral_constantIbLb1EESW_IbLb0EEEEDaSS_ST_EUlSS_E0_NS1_11comp_targetILNS1_3genE10ELNS1_11target_archE1200ELNS1_3gpuE4ELNS1_3repE0EEENS1_30default_config_static_selectorELNS0_4arch9wavefront6targetE1EEEvT1_,comdat
	.protected	_ZN7rocprim17ROCPRIM_400000_NS6detail17trampoline_kernelINS0_14default_configENS1_20scan_config_selectorIfEEZZNS1_9scan_implILNS1_25lookback_scan_determinismE0ELb0ELb0ES3_N6thrust23THRUST_200600_302600_NS6detail15normal_iteratorINS9_10device_ptrIfEEEENS9_16discard_iteratorINS9_11use_defaultEEEf11max_functorIfEfEEDaPvRmT3_T4_T5_mT6_P12ihipStream_tbENKUlT_T0_E_clISt17integral_constantIbLb1EESW_IbLb0EEEEDaSS_ST_EUlSS_E0_NS1_11comp_targetILNS1_3genE10ELNS1_11target_archE1200ELNS1_3gpuE4ELNS1_3repE0EEENS1_30default_config_static_selectorELNS0_4arch9wavefront6targetE1EEEvT1_ ; -- Begin function _ZN7rocprim17ROCPRIM_400000_NS6detail17trampoline_kernelINS0_14default_configENS1_20scan_config_selectorIfEEZZNS1_9scan_implILNS1_25lookback_scan_determinismE0ELb0ELb0ES3_N6thrust23THRUST_200600_302600_NS6detail15normal_iteratorINS9_10device_ptrIfEEEENS9_16discard_iteratorINS9_11use_defaultEEEf11max_functorIfEfEEDaPvRmT3_T4_T5_mT6_P12ihipStream_tbENKUlT_T0_E_clISt17integral_constantIbLb1EESW_IbLb0EEEEDaSS_ST_EUlSS_E0_NS1_11comp_targetILNS1_3genE10ELNS1_11target_archE1200ELNS1_3gpuE4ELNS1_3repE0EEENS1_30default_config_static_selectorELNS0_4arch9wavefront6targetE1EEEvT1_
	.globl	_ZN7rocprim17ROCPRIM_400000_NS6detail17trampoline_kernelINS0_14default_configENS1_20scan_config_selectorIfEEZZNS1_9scan_implILNS1_25lookback_scan_determinismE0ELb0ELb0ES3_N6thrust23THRUST_200600_302600_NS6detail15normal_iteratorINS9_10device_ptrIfEEEENS9_16discard_iteratorINS9_11use_defaultEEEf11max_functorIfEfEEDaPvRmT3_T4_T5_mT6_P12ihipStream_tbENKUlT_T0_E_clISt17integral_constantIbLb1EESW_IbLb0EEEEDaSS_ST_EUlSS_E0_NS1_11comp_targetILNS1_3genE10ELNS1_11target_archE1200ELNS1_3gpuE4ELNS1_3repE0EEENS1_30default_config_static_selectorELNS0_4arch9wavefront6targetE1EEEvT1_
	.p2align	8
	.type	_ZN7rocprim17ROCPRIM_400000_NS6detail17trampoline_kernelINS0_14default_configENS1_20scan_config_selectorIfEEZZNS1_9scan_implILNS1_25lookback_scan_determinismE0ELb0ELb0ES3_N6thrust23THRUST_200600_302600_NS6detail15normal_iteratorINS9_10device_ptrIfEEEENS9_16discard_iteratorINS9_11use_defaultEEEf11max_functorIfEfEEDaPvRmT3_T4_T5_mT6_P12ihipStream_tbENKUlT_T0_E_clISt17integral_constantIbLb1EESW_IbLb0EEEEDaSS_ST_EUlSS_E0_NS1_11comp_targetILNS1_3genE10ELNS1_11target_archE1200ELNS1_3gpuE4ELNS1_3repE0EEENS1_30default_config_static_selectorELNS0_4arch9wavefront6targetE1EEEvT1_,@function
_ZN7rocprim17ROCPRIM_400000_NS6detail17trampoline_kernelINS0_14default_configENS1_20scan_config_selectorIfEEZZNS1_9scan_implILNS1_25lookback_scan_determinismE0ELb0ELb0ES3_N6thrust23THRUST_200600_302600_NS6detail15normal_iteratorINS9_10device_ptrIfEEEENS9_16discard_iteratorINS9_11use_defaultEEEf11max_functorIfEfEEDaPvRmT3_T4_T5_mT6_P12ihipStream_tbENKUlT_T0_E_clISt17integral_constantIbLb1EESW_IbLb0EEEEDaSS_ST_EUlSS_E0_NS1_11comp_targetILNS1_3genE10ELNS1_11target_archE1200ELNS1_3gpuE4ELNS1_3repE0EEENS1_30default_config_static_selectorELNS0_4arch9wavefront6targetE1EEEvT1_: ; @_ZN7rocprim17ROCPRIM_400000_NS6detail17trampoline_kernelINS0_14default_configENS1_20scan_config_selectorIfEEZZNS1_9scan_implILNS1_25lookback_scan_determinismE0ELb0ELb0ES3_N6thrust23THRUST_200600_302600_NS6detail15normal_iteratorINS9_10device_ptrIfEEEENS9_16discard_iteratorINS9_11use_defaultEEEf11max_functorIfEfEEDaPvRmT3_T4_T5_mT6_P12ihipStream_tbENKUlT_T0_E_clISt17integral_constantIbLb1EESW_IbLb0EEEEDaSS_ST_EUlSS_E0_NS1_11comp_targetILNS1_3genE10ELNS1_11target_archE1200ELNS1_3gpuE4ELNS1_3repE0EEENS1_30default_config_static_selectorELNS0_4arch9wavefront6targetE1EEEvT1_
; %bb.0:
	.section	.rodata,"a",@progbits
	.p2align	6, 0x0
	.amdhsa_kernel _ZN7rocprim17ROCPRIM_400000_NS6detail17trampoline_kernelINS0_14default_configENS1_20scan_config_selectorIfEEZZNS1_9scan_implILNS1_25lookback_scan_determinismE0ELb0ELb0ES3_N6thrust23THRUST_200600_302600_NS6detail15normal_iteratorINS9_10device_ptrIfEEEENS9_16discard_iteratorINS9_11use_defaultEEEf11max_functorIfEfEEDaPvRmT3_T4_T5_mT6_P12ihipStream_tbENKUlT_T0_E_clISt17integral_constantIbLb1EESW_IbLb0EEEEDaSS_ST_EUlSS_E0_NS1_11comp_targetILNS1_3genE10ELNS1_11target_archE1200ELNS1_3gpuE4ELNS1_3repE0EEENS1_30default_config_static_selectorELNS0_4arch9wavefront6targetE1EEEvT1_
		.amdhsa_group_segment_fixed_size 0
		.amdhsa_private_segment_fixed_size 0
		.amdhsa_kernarg_size 40
		.amdhsa_user_sgpr_count 6
		.amdhsa_user_sgpr_private_segment_buffer 1
		.amdhsa_user_sgpr_dispatch_ptr 0
		.amdhsa_user_sgpr_queue_ptr 0
		.amdhsa_user_sgpr_kernarg_segment_ptr 1
		.amdhsa_user_sgpr_dispatch_id 0
		.amdhsa_user_sgpr_flat_scratch_init 0
		.amdhsa_user_sgpr_kernarg_preload_length 0
		.amdhsa_user_sgpr_kernarg_preload_offset 0
		.amdhsa_user_sgpr_private_segment_size 0
		.amdhsa_uses_dynamic_stack 0
		.amdhsa_system_sgpr_private_segment_wavefront_offset 0
		.amdhsa_system_sgpr_workgroup_id_x 1
		.amdhsa_system_sgpr_workgroup_id_y 0
		.amdhsa_system_sgpr_workgroup_id_z 0
		.amdhsa_system_sgpr_workgroup_info 0
		.amdhsa_system_vgpr_workitem_id 0
		.amdhsa_next_free_vgpr 1
		.amdhsa_next_free_sgpr 0
		.amdhsa_accum_offset 4
		.amdhsa_reserve_vcc 0
		.amdhsa_reserve_flat_scratch 0
		.amdhsa_float_round_mode_32 0
		.amdhsa_float_round_mode_16_64 0
		.amdhsa_float_denorm_mode_32 3
		.amdhsa_float_denorm_mode_16_64 3
		.amdhsa_dx10_clamp 1
		.amdhsa_ieee_mode 1
		.amdhsa_fp16_overflow 0
		.amdhsa_tg_split 0
		.amdhsa_exception_fp_ieee_invalid_op 0
		.amdhsa_exception_fp_denorm_src 0
		.amdhsa_exception_fp_ieee_div_zero 0
		.amdhsa_exception_fp_ieee_overflow 0
		.amdhsa_exception_fp_ieee_underflow 0
		.amdhsa_exception_fp_ieee_inexact 0
		.amdhsa_exception_int_div_zero 0
	.end_amdhsa_kernel
	.section	.text._ZN7rocprim17ROCPRIM_400000_NS6detail17trampoline_kernelINS0_14default_configENS1_20scan_config_selectorIfEEZZNS1_9scan_implILNS1_25lookback_scan_determinismE0ELb0ELb0ES3_N6thrust23THRUST_200600_302600_NS6detail15normal_iteratorINS9_10device_ptrIfEEEENS9_16discard_iteratorINS9_11use_defaultEEEf11max_functorIfEfEEDaPvRmT3_T4_T5_mT6_P12ihipStream_tbENKUlT_T0_E_clISt17integral_constantIbLb1EESW_IbLb0EEEEDaSS_ST_EUlSS_E0_NS1_11comp_targetILNS1_3genE10ELNS1_11target_archE1200ELNS1_3gpuE4ELNS1_3repE0EEENS1_30default_config_static_selectorELNS0_4arch9wavefront6targetE1EEEvT1_,"axG",@progbits,_ZN7rocprim17ROCPRIM_400000_NS6detail17trampoline_kernelINS0_14default_configENS1_20scan_config_selectorIfEEZZNS1_9scan_implILNS1_25lookback_scan_determinismE0ELb0ELb0ES3_N6thrust23THRUST_200600_302600_NS6detail15normal_iteratorINS9_10device_ptrIfEEEENS9_16discard_iteratorINS9_11use_defaultEEEf11max_functorIfEfEEDaPvRmT3_T4_T5_mT6_P12ihipStream_tbENKUlT_T0_E_clISt17integral_constantIbLb1EESW_IbLb0EEEEDaSS_ST_EUlSS_E0_NS1_11comp_targetILNS1_3genE10ELNS1_11target_archE1200ELNS1_3gpuE4ELNS1_3repE0EEENS1_30default_config_static_selectorELNS0_4arch9wavefront6targetE1EEEvT1_,comdat
.Lfunc_end3185:
	.size	_ZN7rocprim17ROCPRIM_400000_NS6detail17trampoline_kernelINS0_14default_configENS1_20scan_config_selectorIfEEZZNS1_9scan_implILNS1_25lookback_scan_determinismE0ELb0ELb0ES3_N6thrust23THRUST_200600_302600_NS6detail15normal_iteratorINS9_10device_ptrIfEEEENS9_16discard_iteratorINS9_11use_defaultEEEf11max_functorIfEfEEDaPvRmT3_T4_T5_mT6_P12ihipStream_tbENKUlT_T0_E_clISt17integral_constantIbLb1EESW_IbLb0EEEEDaSS_ST_EUlSS_E0_NS1_11comp_targetILNS1_3genE10ELNS1_11target_archE1200ELNS1_3gpuE4ELNS1_3repE0EEENS1_30default_config_static_selectorELNS0_4arch9wavefront6targetE1EEEvT1_, .Lfunc_end3185-_ZN7rocprim17ROCPRIM_400000_NS6detail17trampoline_kernelINS0_14default_configENS1_20scan_config_selectorIfEEZZNS1_9scan_implILNS1_25lookback_scan_determinismE0ELb0ELb0ES3_N6thrust23THRUST_200600_302600_NS6detail15normal_iteratorINS9_10device_ptrIfEEEENS9_16discard_iteratorINS9_11use_defaultEEEf11max_functorIfEfEEDaPvRmT3_T4_T5_mT6_P12ihipStream_tbENKUlT_T0_E_clISt17integral_constantIbLb1EESW_IbLb0EEEEDaSS_ST_EUlSS_E0_NS1_11comp_targetILNS1_3genE10ELNS1_11target_archE1200ELNS1_3gpuE4ELNS1_3repE0EEENS1_30default_config_static_selectorELNS0_4arch9wavefront6targetE1EEEvT1_
                                        ; -- End function
	.section	.AMDGPU.csdata,"",@progbits
; Kernel info:
; codeLenInByte = 0
; NumSgprs: 4
; NumVgprs: 0
; NumAgprs: 0
; TotalNumVgprs: 0
; ScratchSize: 0
; MemoryBound: 0
; FloatMode: 240
; IeeeMode: 1
; LDSByteSize: 0 bytes/workgroup (compile time only)
; SGPRBlocks: 0
; VGPRBlocks: 0
; NumSGPRsForWavesPerEU: 4
; NumVGPRsForWavesPerEU: 1
; AccumOffset: 4
; Occupancy: 8
; WaveLimiterHint : 0
; COMPUTE_PGM_RSRC2:SCRATCH_EN: 0
; COMPUTE_PGM_RSRC2:USER_SGPR: 6
; COMPUTE_PGM_RSRC2:TRAP_HANDLER: 0
; COMPUTE_PGM_RSRC2:TGID_X_EN: 1
; COMPUTE_PGM_RSRC2:TGID_Y_EN: 0
; COMPUTE_PGM_RSRC2:TGID_Z_EN: 0
; COMPUTE_PGM_RSRC2:TIDIG_COMP_CNT: 0
; COMPUTE_PGM_RSRC3_GFX90A:ACCUM_OFFSET: 0
; COMPUTE_PGM_RSRC3_GFX90A:TG_SPLIT: 0
	.section	.text._ZN7rocprim17ROCPRIM_400000_NS6detail17trampoline_kernelINS0_14default_configENS1_20scan_config_selectorIfEEZZNS1_9scan_implILNS1_25lookback_scan_determinismE0ELb0ELb0ES3_N6thrust23THRUST_200600_302600_NS6detail15normal_iteratorINS9_10device_ptrIfEEEENS9_16discard_iteratorINS9_11use_defaultEEEf11max_functorIfEfEEDaPvRmT3_T4_T5_mT6_P12ihipStream_tbENKUlT_T0_E_clISt17integral_constantIbLb1EESW_IbLb0EEEEDaSS_ST_EUlSS_E0_NS1_11comp_targetILNS1_3genE9ELNS1_11target_archE1100ELNS1_3gpuE3ELNS1_3repE0EEENS1_30default_config_static_selectorELNS0_4arch9wavefront6targetE1EEEvT1_,"axG",@progbits,_ZN7rocprim17ROCPRIM_400000_NS6detail17trampoline_kernelINS0_14default_configENS1_20scan_config_selectorIfEEZZNS1_9scan_implILNS1_25lookback_scan_determinismE0ELb0ELb0ES3_N6thrust23THRUST_200600_302600_NS6detail15normal_iteratorINS9_10device_ptrIfEEEENS9_16discard_iteratorINS9_11use_defaultEEEf11max_functorIfEfEEDaPvRmT3_T4_T5_mT6_P12ihipStream_tbENKUlT_T0_E_clISt17integral_constantIbLb1EESW_IbLb0EEEEDaSS_ST_EUlSS_E0_NS1_11comp_targetILNS1_3genE9ELNS1_11target_archE1100ELNS1_3gpuE3ELNS1_3repE0EEENS1_30default_config_static_selectorELNS0_4arch9wavefront6targetE1EEEvT1_,comdat
	.protected	_ZN7rocprim17ROCPRIM_400000_NS6detail17trampoline_kernelINS0_14default_configENS1_20scan_config_selectorIfEEZZNS1_9scan_implILNS1_25lookback_scan_determinismE0ELb0ELb0ES3_N6thrust23THRUST_200600_302600_NS6detail15normal_iteratorINS9_10device_ptrIfEEEENS9_16discard_iteratorINS9_11use_defaultEEEf11max_functorIfEfEEDaPvRmT3_T4_T5_mT6_P12ihipStream_tbENKUlT_T0_E_clISt17integral_constantIbLb1EESW_IbLb0EEEEDaSS_ST_EUlSS_E0_NS1_11comp_targetILNS1_3genE9ELNS1_11target_archE1100ELNS1_3gpuE3ELNS1_3repE0EEENS1_30default_config_static_selectorELNS0_4arch9wavefront6targetE1EEEvT1_ ; -- Begin function _ZN7rocprim17ROCPRIM_400000_NS6detail17trampoline_kernelINS0_14default_configENS1_20scan_config_selectorIfEEZZNS1_9scan_implILNS1_25lookback_scan_determinismE0ELb0ELb0ES3_N6thrust23THRUST_200600_302600_NS6detail15normal_iteratorINS9_10device_ptrIfEEEENS9_16discard_iteratorINS9_11use_defaultEEEf11max_functorIfEfEEDaPvRmT3_T4_T5_mT6_P12ihipStream_tbENKUlT_T0_E_clISt17integral_constantIbLb1EESW_IbLb0EEEEDaSS_ST_EUlSS_E0_NS1_11comp_targetILNS1_3genE9ELNS1_11target_archE1100ELNS1_3gpuE3ELNS1_3repE0EEENS1_30default_config_static_selectorELNS0_4arch9wavefront6targetE1EEEvT1_
	.globl	_ZN7rocprim17ROCPRIM_400000_NS6detail17trampoline_kernelINS0_14default_configENS1_20scan_config_selectorIfEEZZNS1_9scan_implILNS1_25lookback_scan_determinismE0ELb0ELb0ES3_N6thrust23THRUST_200600_302600_NS6detail15normal_iteratorINS9_10device_ptrIfEEEENS9_16discard_iteratorINS9_11use_defaultEEEf11max_functorIfEfEEDaPvRmT3_T4_T5_mT6_P12ihipStream_tbENKUlT_T0_E_clISt17integral_constantIbLb1EESW_IbLb0EEEEDaSS_ST_EUlSS_E0_NS1_11comp_targetILNS1_3genE9ELNS1_11target_archE1100ELNS1_3gpuE3ELNS1_3repE0EEENS1_30default_config_static_selectorELNS0_4arch9wavefront6targetE1EEEvT1_
	.p2align	8
	.type	_ZN7rocprim17ROCPRIM_400000_NS6detail17trampoline_kernelINS0_14default_configENS1_20scan_config_selectorIfEEZZNS1_9scan_implILNS1_25lookback_scan_determinismE0ELb0ELb0ES3_N6thrust23THRUST_200600_302600_NS6detail15normal_iteratorINS9_10device_ptrIfEEEENS9_16discard_iteratorINS9_11use_defaultEEEf11max_functorIfEfEEDaPvRmT3_T4_T5_mT6_P12ihipStream_tbENKUlT_T0_E_clISt17integral_constantIbLb1EESW_IbLb0EEEEDaSS_ST_EUlSS_E0_NS1_11comp_targetILNS1_3genE9ELNS1_11target_archE1100ELNS1_3gpuE3ELNS1_3repE0EEENS1_30default_config_static_selectorELNS0_4arch9wavefront6targetE1EEEvT1_,@function
_ZN7rocprim17ROCPRIM_400000_NS6detail17trampoline_kernelINS0_14default_configENS1_20scan_config_selectorIfEEZZNS1_9scan_implILNS1_25lookback_scan_determinismE0ELb0ELb0ES3_N6thrust23THRUST_200600_302600_NS6detail15normal_iteratorINS9_10device_ptrIfEEEENS9_16discard_iteratorINS9_11use_defaultEEEf11max_functorIfEfEEDaPvRmT3_T4_T5_mT6_P12ihipStream_tbENKUlT_T0_E_clISt17integral_constantIbLb1EESW_IbLb0EEEEDaSS_ST_EUlSS_E0_NS1_11comp_targetILNS1_3genE9ELNS1_11target_archE1100ELNS1_3gpuE3ELNS1_3repE0EEENS1_30default_config_static_selectorELNS0_4arch9wavefront6targetE1EEEvT1_: ; @_ZN7rocprim17ROCPRIM_400000_NS6detail17trampoline_kernelINS0_14default_configENS1_20scan_config_selectorIfEEZZNS1_9scan_implILNS1_25lookback_scan_determinismE0ELb0ELb0ES3_N6thrust23THRUST_200600_302600_NS6detail15normal_iteratorINS9_10device_ptrIfEEEENS9_16discard_iteratorINS9_11use_defaultEEEf11max_functorIfEfEEDaPvRmT3_T4_T5_mT6_P12ihipStream_tbENKUlT_T0_E_clISt17integral_constantIbLb1EESW_IbLb0EEEEDaSS_ST_EUlSS_E0_NS1_11comp_targetILNS1_3genE9ELNS1_11target_archE1100ELNS1_3gpuE3ELNS1_3repE0EEENS1_30default_config_static_selectorELNS0_4arch9wavefront6targetE1EEEvT1_
; %bb.0:
	.section	.rodata,"a",@progbits
	.p2align	6, 0x0
	.amdhsa_kernel _ZN7rocprim17ROCPRIM_400000_NS6detail17trampoline_kernelINS0_14default_configENS1_20scan_config_selectorIfEEZZNS1_9scan_implILNS1_25lookback_scan_determinismE0ELb0ELb0ES3_N6thrust23THRUST_200600_302600_NS6detail15normal_iteratorINS9_10device_ptrIfEEEENS9_16discard_iteratorINS9_11use_defaultEEEf11max_functorIfEfEEDaPvRmT3_T4_T5_mT6_P12ihipStream_tbENKUlT_T0_E_clISt17integral_constantIbLb1EESW_IbLb0EEEEDaSS_ST_EUlSS_E0_NS1_11comp_targetILNS1_3genE9ELNS1_11target_archE1100ELNS1_3gpuE3ELNS1_3repE0EEENS1_30default_config_static_selectorELNS0_4arch9wavefront6targetE1EEEvT1_
		.amdhsa_group_segment_fixed_size 0
		.amdhsa_private_segment_fixed_size 0
		.amdhsa_kernarg_size 40
		.amdhsa_user_sgpr_count 6
		.amdhsa_user_sgpr_private_segment_buffer 1
		.amdhsa_user_sgpr_dispatch_ptr 0
		.amdhsa_user_sgpr_queue_ptr 0
		.amdhsa_user_sgpr_kernarg_segment_ptr 1
		.amdhsa_user_sgpr_dispatch_id 0
		.amdhsa_user_sgpr_flat_scratch_init 0
		.amdhsa_user_sgpr_kernarg_preload_length 0
		.amdhsa_user_sgpr_kernarg_preload_offset 0
		.amdhsa_user_sgpr_private_segment_size 0
		.amdhsa_uses_dynamic_stack 0
		.amdhsa_system_sgpr_private_segment_wavefront_offset 0
		.amdhsa_system_sgpr_workgroup_id_x 1
		.amdhsa_system_sgpr_workgroup_id_y 0
		.amdhsa_system_sgpr_workgroup_id_z 0
		.amdhsa_system_sgpr_workgroup_info 0
		.amdhsa_system_vgpr_workitem_id 0
		.amdhsa_next_free_vgpr 1
		.amdhsa_next_free_sgpr 0
		.amdhsa_accum_offset 4
		.amdhsa_reserve_vcc 0
		.amdhsa_reserve_flat_scratch 0
		.amdhsa_float_round_mode_32 0
		.amdhsa_float_round_mode_16_64 0
		.amdhsa_float_denorm_mode_32 3
		.amdhsa_float_denorm_mode_16_64 3
		.amdhsa_dx10_clamp 1
		.amdhsa_ieee_mode 1
		.amdhsa_fp16_overflow 0
		.amdhsa_tg_split 0
		.amdhsa_exception_fp_ieee_invalid_op 0
		.amdhsa_exception_fp_denorm_src 0
		.amdhsa_exception_fp_ieee_div_zero 0
		.amdhsa_exception_fp_ieee_overflow 0
		.amdhsa_exception_fp_ieee_underflow 0
		.amdhsa_exception_fp_ieee_inexact 0
		.amdhsa_exception_int_div_zero 0
	.end_amdhsa_kernel
	.section	.text._ZN7rocprim17ROCPRIM_400000_NS6detail17trampoline_kernelINS0_14default_configENS1_20scan_config_selectorIfEEZZNS1_9scan_implILNS1_25lookback_scan_determinismE0ELb0ELb0ES3_N6thrust23THRUST_200600_302600_NS6detail15normal_iteratorINS9_10device_ptrIfEEEENS9_16discard_iteratorINS9_11use_defaultEEEf11max_functorIfEfEEDaPvRmT3_T4_T5_mT6_P12ihipStream_tbENKUlT_T0_E_clISt17integral_constantIbLb1EESW_IbLb0EEEEDaSS_ST_EUlSS_E0_NS1_11comp_targetILNS1_3genE9ELNS1_11target_archE1100ELNS1_3gpuE3ELNS1_3repE0EEENS1_30default_config_static_selectorELNS0_4arch9wavefront6targetE1EEEvT1_,"axG",@progbits,_ZN7rocprim17ROCPRIM_400000_NS6detail17trampoline_kernelINS0_14default_configENS1_20scan_config_selectorIfEEZZNS1_9scan_implILNS1_25lookback_scan_determinismE0ELb0ELb0ES3_N6thrust23THRUST_200600_302600_NS6detail15normal_iteratorINS9_10device_ptrIfEEEENS9_16discard_iteratorINS9_11use_defaultEEEf11max_functorIfEfEEDaPvRmT3_T4_T5_mT6_P12ihipStream_tbENKUlT_T0_E_clISt17integral_constantIbLb1EESW_IbLb0EEEEDaSS_ST_EUlSS_E0_NS1_11comp_targetILNS1_3genE9ELNS1_11target_archE1100ELNS1_3gpuE3ELNS1_3repE0EEENS1_30default_config_static_selectorELNS0_4arch9wavefront6targetE1EEEvT1_,comdat
.Lfunc_end3186:
	.size	_ZN7rocprim17ROCPRIM_400000_NS6detail17trampoline_kernelINS0_14default_configENS1_20scan_config_selectorIfEEZZNS1_9scan_implILNS1_25lookback_scan_determinismE0ELb0ELb0ES3_N6thrust23THRUST_200600_302600_NS6detail15normal_iteratorINS9_10device_ptrIfEEEENS9_16discard_iteratorINS9_11use_defaultEEEf11max_functorIfEfEEDaPvRmT3_T4_T5_mT6_P12ihipStream_tbENKUlT_T0_E_clISt17integral_constantIbLb1EESW_IbLb0EEEEDaSS_ST_EUlSS_E0_NS1_11comp_targetILNS1_3genE9ELNS1_11target_archE1100ELNS1_3gpuE3ELNS1_3repE0EEENS1_30default_config_static_selectorELNS0_4arch9wavefront6targetE1EEEvT1_, .Lfunc_end3186-_ZN7rocprim17ROCPRIM_400000_NS6detail17trampoline_kernelINS0_14default_configENS1_20scan_config_selectorIfEEZZNS1_9scan_implILNS1_25lookback_scan_determinismE0ELb0ELb0ES3_N6thrust23THRUST_200600_302600_NS6detail15normal_iteratorINS9_10device_ptrIfEEEENS9_16discard_iteratorINS9_11use_defaultEEEf11max_functorIfEfEEDaPvRmT3_T4_T5_mT6_P12ihipStream_tbENKUlT_T0_E_clISt17integral_constantIbLb1EESW_IbLb0EEEEDaSS_ST_EUlSS_E0_NS1_11comp_targetILNS1_3genE9ELNS1_11target_archE1100ELNS1_3gpuE3ELNS1_3repE0EEENS1_30default_config_static_selectorELNS0_4arch9wavefront6targetE1EEEvT1_
                                        ; -- End function
	.section	.AMDGPU.csdata,"",@progbits
; Kernel info:
; codeLenInByte = 0
; NumSgprs: 4
; NumVgprs: 0
; NumAgprs: 0
; TotalNumVgprs: 0
; ScratchSize: 0
; MemoryBound: 0
; FloatMode: 240
; IeeeMode: 1
; LDSByteSize: 0 bytes/workgroup (compile time only)
; SGPRBlocks: 0
; VGPRBlocks: 0
; NumSGPRsForWavesPerEU: 4
; NumVGPRsForWavesPerEU: 1
; AccumOffset: 4
; Occupancy: 8
; WaveLimiterHint : 0
; COMPUTE_PGM_RSRC2:SCRATCH_EN: 0
; COMPUTE_PGM_RSRC2:USER_SGPR: 6
; COMPUTE_PGM_RSRC2:TRAP_HANDLER: 0
; COMPUTE_PGM_RSRC2:TGID_X_EN: 1
; COMPUTE_PGM_RSRC2:TGID_Y_EN: 0
; COMPUTE_PGM_RSRC2:TGID_Z_EN: 0
; COMPUTE_PGM_RSRC2:TIDIG_COMP_CNT: 0
; COMPUTE_PGM_RSRC3_GFX90A:ACCUM_OFFSET: 0
; COMPUTE_PGM_RSRC3_GFX90A:TG_SPLIT: 0
	.section	.text._ZN7rocprim17ROCPRIM_400000_NS6detail17trampoline_kernelINS0_14default_configENS1_20scan_config_selectorIfEEZZNS1_9scan_implILNS1_25lookback_scan_determinismE0ELb0ELb0ES3_N6thrust23THRUST_200600_302600_NS6detail15normal_iteratorINS9_10device_ptrIfEEEENS9_16discard_iteratorINS9_11use_defaultEEEf11max_functorIfEfEEDaPvRmT3_T4_T5_mT6_P12ihipStream_tbENKUlT_T0_E_clISt17integral_constantIbLb1EESW_IbLb0EEEEDaSS_ST_EUlSS_E0_NS1_11comp_targetILNS1_3genE8ELNS1_11target_archE1030ELNS1_3gpuE2ELNS1_3repE0EEENS1_30default_config_static_selectorELNS0_4arch9wavefront6targetE1EEEvT1_,"axG",@progbits,_ZN7rocprim17ROCPRIM_400000_NS6detail17trampoline_kernelINS0_14default_configENS1_20scan_config_selectorIfEEZZNS1_9scan_implILNS1_25lookback_scan_determinismE0ELb0ELb0ES3_N6thrust23THRUST_200600_302600_NS6detail15normal_iteratorINS9_10device_ptrIfEEEENS9_16discard_iteratorINS9_11use_defaultEEEf11max_functorIfEfEEDaPvRmT3_T4_T5_mT6_P12ihipStream_tbENKUlT_T0_E_clISt17integral_constantIbLb1EESW_IbLb0EEEEDaSS_ST_EUlSS_E0_NS1_11comp_targetILNS1_3genE8ELNS1_11target_archE1030ELNS1_3gpuE2ELNS1_3repE0EEENS1_30default_config_static_selectorELNS0_4arch9wavefront6targetE1EEEvT1_,comdat
	.protected	_ZN7rocprim17ROCPRIM_400000_NS6detail17trampoline_kernelINS0_14default_configENS1_20scan_config_selectorIfEEZZNS1_9scan_implILNS1_25lookback_scan_determinismE0ELb0ELb0ES3_N6thrust23THRUST_200600_302600_NS6detail15normal_iteratorINS9_10device_ptrIfEEEENS9_16discard_iteratorINS9_11use_defaultEEEf11max_functorIfEfEEDaPvRmT3_T4_T5_mT6_P12ihipStream_tbENKUlT_T0_E_clISt17integral_constantIbLb1EESW_IbLb0EEEEDaSS_ST_EUlSS_E0_NS1_11comp_targetILNS1_3genE8ELNS1_11target_archE1030ELNS1_3gpuE2ELNS1_3repE0EEENS1_30default_config_static_selectorELNS0_4arch9wavefront6targetE1EEEvT1_ ; -- Begin function _ZN7rocprim17ROCPRIM_400000_NS6detail17trampoline_kernelINS0_14default_configENS1_20scan_config_selectorIfEEZZNS1_9scan_implILNS1_25lookback_scan_determinismE0ELb0ELb0ES3_N6thrust23THRUST_200600_302600_NS6detail15normal_iteratorINS9_10device_ptrIfEEEENS9_16discard_iteratorINS9_11use_defaultEEEf11max_functorIfEfEEDaPvRmT3_T4_T5_mT6_P12ihipStream_tbENKUlT_T0_E_clISt17integral_constantIbLb1EESW_IbLb0EEEEDaSS_ST_EUlSS_E0_NS1_11comp_targetILNS1_3genE8ELNS1_11target_archE1030ELNS1_3gpuE2ELNS1_3repE0EEENS1_30default_config_static_selectorELNS0_4arch9wavefront6targetE1EEEvT1_
	.globl	_ZN7rocprim17ROCPRIM_400000_NS6detail17trampoline_kernelINS0_14default_configENS1_20scan_config_selectorIfEEZZNS1_9scan_implILNS1_25lookback_scan_determinismE0ELb0ELb0ES3_N6thrust23THRUST_200600_302600_NS6detail15normal_iteratorINS9_10device_ptrIfEEEENS9_16discard_iteratorINS9_11use_defaultEEEf11max_functorIfEfEEDaPvRmT3_T4_T5_mT6_P12ihipStream_tbENKUlT_T0_E_clISt17integral_constantIbLb1EESW_IbLb0EEEEDaSS_ST_EUlSS_E0_NS1_11comp_targetILNS1_3genE8ELNS1_11target_archE1030ELNS1_3gpuE2ELNS1_3repE0EEENS1_30default_config_static_selectorELNS0_4arch9wavefront6targetE1EEEvT1_
	.p2align	8
	.type	_ZN7rocprim17ROCPRIM_400000_NS6detail17trampoline_kernelINS0_14default_configENS1_20scan_config_selectorIfEEZZNS1_9scan_implILNS1_25lookback_scan_determinismE0ELb0ELb0ES3_N6thrust23THRUST_200600_302600_NS6detail15normal_iteratorINS9_10device_ptrIfEEEENS9_16discard_iteratorINS9_11use_defaultEEEf11max_functorIfEfEEDaPvRmT3_T4_T5_mT6_P12ihipStream_tbENKUlT_T0_E_clISt17integral_constantIbLb1EESW_IbLb0EEEEDaSS_ST_EUlSS_E0_NS1_11comp_targetILNS1_3genE8ELNS1_11target_archE1030ELNS1_3gpuE2ELNS1_3repE0EEENS1_30default_config_static_selectorELNS0_4arch9wavefront6targetE1EEEvT1_,@function
_ZN7rocprim17ROCPRIM_400000_NS6detail17trampoline_kernelINS0_14default_configENS1_20scan_config_selectorIfEEZZNS1_9scan_implILNS1_25lookback_scan_determinismE0ELb0ELb0ES3_N6thrust23THRUST_200600_302600_NS6detail15normal_iteratorINS9_10device_ptrIfEEEENS9_16discard_iteratorINS9_11use_defaultEEEf11max_functorIfEfEEDaPvRmT3_T4_T5_mT6_P12ihipStream_tbENKUlT_T0_E_clISt17integral_constantIbLb1EESW_IbLb0EEEEDaSS_ST_EUlSS_E0_NS1_11comp_targetILNS1_3genE8ELNS1_11target_archE1030ELNS1_3gpuE2ELNS1_3repE0EEENS1_30default_config_static_selectorELNS0_4arch9wavefront6targetE1EEEvT1_: ; @_ZN7rocprim17ROCPRIM_400000_NS6detail17trampoline_kernelINS0_14default_configENS1_20scan_config_selectorIfEEZZNS1_9scan_implILNS1_25lookback_scan_determinismE0ELb0ELb0ES3_N6thrust23THRUST_200600_302600_NS6detail15normal_iteratorINS9_10device_ptrIfEEEENS9_16discard_iteratorINS9_11use_defaultEEEf11max_functorIfEfEEDaPvRmT3_T4_T5_mT6_P12ihipStream_tbENKUlT_T0_E_clISt17integral_constantIbLb1EESW_IbLb0EEEEDaSS_ST_EUlSS_E0_NS1_11comp_targetILNS1_3genE8ELNS1_11target_archE1030ELNS1_3gpuE2ELNS1_3repE0EEENS1_30default_config_static_selectorELNS0_4arch9wavefront6targetE1EEEvT1_
; %bb.0:
	.section	.rodata,"a",@progbits
	.p2align	6, 0x0
	.amdhsa_kernel _ZN7rocprim17ROCPRIM_400000_NS6detail17trampoline_kernelINS0_14default_configENS1_20scan_config_selectorIfEEZZNS1_9scan_implILNS1_25lookback_scan_determinismE0ELb0ELb0ES3_N6thrust23THRUST_200600_302600_NS6detail15normal_iteratorINS9_10device_ptrIfEEEENS9_16discard_iteratorINS9_11use_defaultEEEf11max_functorIfEfEEDaPvRmT3_T4_T5_mT6_P12ihipStream_tbENKUlT_T0_E_clISt17integral_constantIbLb1EESW_IbLb0EEEEDaSS_ST_EUlSS_E0_NS1_11comp_targetILNS1_3genE8ELNS1_11target_archE1030ELNS1_3gpuE2ELNS1_3repE0EEENS1_30default_config_static_selectorELNS0_4arch9wavefront6targetE1EEEvT1_
		.amdhsa_group_segment_fixed_size 0
		.amdhsa_private_segment_fixed_size 0
		.amdhsa_kernarg_size 40
		.amdhsa_user_sgpr_count 6
		.amdhsa_user_sgpr_private_segment_buffer 1
		.amdhsa_user_sgpr_dispatch_ptr 0
		.amdhsa_user_sgpr_queue_ptr 0
		.amdhsa_user_sgpr_kernarg_segment_ptr 1
		.amdhsa_user_sgpr_dispatch_id 0
		.amdhsa_user_sgpr_flat_scratch_init 0
		.amdhsa_user_sgpr_kernarg_preload_length 0
		.amdhsa_user_sgpr_kernarg_preload_offset 0
		.amdhsa_user_sgpr_private_segment_size 0
		.amdhsa_uses_dynamic_stack 0
		.amdhsa_system_sgpr_private_segment_wavefront_offset 0
		.amdhsa_system_sgpr_workgroup_id_x 1
		.amdhsa_system_sgpr_workgroup_id_y 0
		.amdhsa_system_sgpr_workgroup_id_z 0
		.amdhsa_system_sgpr_workgroup_info 0
		.amdhsa_system_vgpr_workitem_id 0
		.amdhsa_next_free_vgpr 1
		.amdhsa_next_free_sgpr 0
		.amdhsa_accum_offset 4
		.amdhsa_reserve_vcc 0
		.amdhsa_reserve_flat_scratch 0
		.amdhsa_float_round_mode_32 0
		.amdhsa_float_round_mode_16_64 0
		.amdhsa_float_denorm_mode_32 3
		.amdhsa_float_denorm_mode_16_64 3
		.amdhsa_dx10_clamp 1
		.amdhsa_ieee_mode 1
		.amdhsa_fp16_overflow 0
		.amdhsa_tg_split 0
		.amdhsa_exception_fp_ieee_invalid_op 0
		.amdhsa_exception_fp_denorm_src 0
		.amdhsa_exception_fp_ieee_div_zero 0
		.amdhsa_exception_fp_ieee_overflow 0
		.amdhsa_exception_fp_ieee_underflow 0
		.amdhsa_exception_fp_ieee_inexact 0
		.amdhsa_exception_int_div_zero 0
	.end_amdhsa_kernel
	.section	.text._ZN7rocprim17ROCPRIM_400000_NS6detail17trampoline_kernelINS0_14default_configENS1_20scan_config_selectorIfEEZZNS1_9scan_implILNS1_25lookback_scan_determinismE0ELb0ELb0ES3_N6thrust23THRUST_200600_302600_NS6detail15normal_iteratorINS9_10device_ptrIfEEEENS9_16discard_iteratorINS9_11use_defaultEEEf11max_functorIfEfEEDaPvRmT3_T4_T5_mT6_P12ihipStream_tbENKUlT_T0_E_clISt17integral_constantIbLb1EESW_IbLb0EEEEDaSS_ST_EUlSS_E0_NS1_11comp_targetILNS1_3genE8ELNS1_11target_archE1030ELNS1_3gpuE2ELNS1_3repE0EEENS1_30default_config_static_selectorELNS0_4arch9wavefront6targetE1EEEvT1_,"axG",@progbits,_ZN7rocprim17ROCPRIM_400000_NS6detail17trampoline_kernelINS0_14default_configENS1_20scan_config_selectorIfEEZZNS1_9scan_implILNS1_25lookback_scan_determinismE0ELb0ELb0ES3_N6thrust23THRUST_200600_302600_NS6detail15normal_iteratorINS9_10device_ptrIfEEEENS9_16discard_iteratorINS9_11use_defaultEEEf11max_functorIfEfEEDaPvRmT3_T4_T5_mT6_P12ihipStream_tbENKUlT_T0_E_clISt17integral_constantIbLb1EESW_IbLb0EEEEDaSS_ST_EUlSS_E0_NS1_11comp_targetILNS1_3genE8ELNS1_11target_archE1030ELNS1_3gpuE2ELNS1_3repE0EEENS1_30default_config_static_selectorELNS0_4arch9wavefront6targetE1EEEvT1_,comdat
.Lfunc_end3187:
	.size	_ZN7rocprim17ROCPRIM_400000_NS6detail17trampoline_kernelINS0_14default_configENS1_20scan_config_selectorIfEEZZNS1_9scan_implILNS1_25lookback_scan_determinismE0ELb0ELb0ES3_N6thrust23THRUST_200600_302600_NS6detail15normal_iteratorINS9_10device_ptrIfEEEENS9_16discard_iteratorINS9_11use_defaultEEEf11max_functorIfEfEEDaPvRmT3_T4_T5_mT6_P12ihipStream_tbENKUlT_T0_E_clISt17integral_constantIbLb1EESW_IbLb0EEEEDaSS_ST_EUlSS_E0_NS1_11comp_targetILNS1_3genE8ELNS1_11target_archE1030ELNS1_3gpuE2ELNS1_3repE0EEENS1_30default_config_static_selectorELNS0_4arch9wavefront6targetE1EEEvT1_, .Lfunc_end3187-_ZN7rocprim17ROCPRIM_400000_NS6detail17trampoline_kernelINS0_14default_configENS1_20scan_config_selectorIfEEZZNS1_9scan_implILNS1_25lookback_scan_determinismE0ELb0ELb0ES3_N6thrust23THRUST_200600_302600_NS6detail15normal_iteratorINS9_10device_ptrIfEEEENS9_16discard_iteratorINS9_11use_defaultEEEf11max_functorIfEfEEDaPvRmT3_T4_T5_mT6_P12ihipStream_tbENKUlT_T0_E_clISt17integral_constantIbLb1EESW_IbLb0EEEEDaSS_ST_EUlSS_E0_NS1_11comp_targetILNS1_3genE8ELNS1_11target_archE1030ELNS1_3gpuE2ELNS1_3repE0EEENS1_30default_config_static_selectorELNS0_4arch9wavefront6targetE1EEEvT1_
                                        ; -- End function
	.section	.AMDGPU.csdata,"",@progbits
; Kernel info:
; codeLenInByte = 0
; NumSgprs: 4
; NumVgprs: 0
; NumAgprs: 0
; TotalNumVgprs: 0
; ScratchSize: 0
; MemoryBound: 0
; FloatMode: 240
; IeeeMode: 1
; LDSByteSize: 0 bytes/workgroup (compile time only)
; SGPRBlocks: 0
; VGPRBlocks: 0
; NumSGPRsForWavesPerEU: 4
; NumVGPRsForWavesPerEU: 1
; AccumOffset: 4
; Occupancy: 8
; WaveLimiterHint : 0
; COMPUTE_PGM_RSRC2:SCRATCH_EN: 0
; COMPUTE_PGM_RSRC2:USER_SGPR: 6
; COMPUTE_PGM_RSRC2:TRAP_HANDLER: 0
; COMPUTE_PGM_RSRC2:TGID_X_EN: 1
; COMPUTE_PGM_RSRC2:TGID_Y_EN: 0
; COMPUTE_PGM_RSRC2:TGID_Z_EN: 0
; COMPUTE_PGM_RSRC2:TIDIG_COMP_CNT: 0
; COMPUTE_PGM_RSRC3_GFX90A:ACCUM_OFFSET: 0
; COMPUTE_PGM_RSRC3_GFX90A:TG_SPLIT: 0
	.section	.text._ZN7rocprim17ROCPRIM_400000_NS6detail17trampoline_kernelINS0_14default_configENS1_20scan_config_selectorIfEEZZNS1_9scan_implILNS1_25lookback_scan_determinismE0ELb0ELb0ES3_N6thrust23THRUST_200600_302600_NS6detail15normal_iteratorINS9_10device_ptrIfEEEENS9_16discard_iteratorINS9_11use_defaultEEEf11max_functorIfEfEEDaPvRmT3_T4_T5_mT6_P12ihipStream_tbENKUlT_T0_E_clISt17integral_constantIbLb0EESW_IbLb1EEEEDaSS_ST_EUlSS_E_NS1_11comp_targetILNS1_3genE0ELNS1_11target_archE4294967295ELNS1_3gpuE0ELNS1_3repE0EEENS1_30default_config_static_selectorELNS0_4arch9wavefront6targetE1EEEvT1_,"axG",@progbits,_ZN7rocprim17ROCPRIM_400000_NS6detail17trampoline_kernelINS0_14default_configENS1_20scan_config_selectorIfEEZZNS1_9scan_implILNS1_25lookback_scan_determinismE0ELb0ELb0ES3_N6thrust23THRUST_200600_302600_NS6detail15normal_iteratorINS9_10device_ptrIfEEEENS9_16discard_iteratorINS9_11use_defaultEEEf11max_functorIfEfEEDaPvRmT3_T4_T5_mT6_P12ihipStream_tbENKUlT_T0_E_clISt17integral_constantIbLb0EESW_IbLb1EEEEDaSS_ST_EUlSS_E_NS1_11comp_targetILNS1_3genE0ELNS1_11target_archE4294967295ELNS1_3gpuE0ELNS1_3repE0EEENS1_30default_config_static_selectorELNS0_4arch9wavefront6targetE1EEEvT1_,comdat
	.protected	_ZN7rocprim17ROCPRIM_400000_NS6detail17trampoline_kernelINS0_14default_configENS1_20scan_config_selectorIfEEZZNS1_9scan_implILNS1_25lookback_scan_determinismE0ELb0ELb0ES3_N6thrust23THRUST_200600_302600_NS6detail15normal_iteratorINS9_10device_ptrIfEEEENS9_16discard_iteratorINS9_11use_defaultEEEf11max_functorIfEfEEDaPvRmT3_T4_T5_mT6_P12ihipStream_tbENKUlT_T0_E_clISt17integral_constantIbLb0EESW_IbLb1EEEEDaSS_ST_EUlSS_E_NS1_11comp_targetILNS1_3genE0ELNS1_11target_archE4294967295ELNS1_3gpuE0ELNS1_3repE0EEENS1_30default_config_static_selectorELNS0_4arch9wavefront6targetE1EEEvT1_ ; -- Begin function _ZN7rocprim17ROCPRIM_400000_NS6detail17trampoline_kernelINS0_14default_configENS1_20scan_config_selectorIfEEZZNS1_9scan_implILNS1_25lookback_scan_determinismE0ELb0ELb0ES3_N6thrust23THRUST_200600_302600_NS6detail15normal_iteratorINS9_10device_ptrIfEEEENS9_16discard_iteratorINS9_11use_defaultEEEf11max_functorIfEfEEDaPvRmT3_T4_T5_mT6_P12ihipStream_tbENKUlT_T0_E_clISt17integral_constantIbLb0EESW_IbLb1EEEEDaSS_ST_EUlSS_E_NS1_11comp_targetILNS1_3genE0ELNS1_11target_archE4294967295ELNS1_3gpuE0ELNS1_3repE0EEENS1_30default_config_static_selectorELNS0_4arch9wavefront6targetE1EEEvT1_
	.globl	_ZN7rocprim17ROCPRIM_400000_NS6detail17trampoline_kernelINS0_14default_configENS1_20scan_config_selectorIfEEZZNS1_9scan_implILNS1_25lookback_scan_determinismE0ELb0ELb0ES3_N6thrust23THRUST_200600_302600_NS6detail15normal_iteratorINS9_10device_ptrIfEEEENS9_16discard_iteratorINS9_11use_defaultEEEf11max_functorIfEfEEDaPvRmT3_T4_T5_mT6_P12ihipStream_tbENKUlT_T0_E_clISt17integral_constantIbLb0EESW_IbLb1EEEEDaSS_ST_EUlSS_E_NS1_11comp_targetILNS1_3genE0ELNS1_11target_archE4294967295ELNS1_3gpuE0ELNS1_3repE0EEENS1_30default_config_static_selectorELNS0_4arch9wavefront6targetE1EEEvT1_
	.p2align	8
	.type	_ZN7rocprim17ROCPRIM_400000_NS6detail17trampoline_kernelINS0_14default_configENS1_20scan_config_selectorIfEEZZNS1_9scan_implILNS1_25lookback_scan_determinismE0ELb0ELb0ES3_N6thrust23THRUST_200600_302600_NS6detail15normal_iteratorINS9_10device_ptrIfEEEENS9_16discard_iteratorINS9_11use_defaultEEEf11max_functorIfEfEEDaPvRmT3_T4_T5_mT6_P12ihipStream_tbENKUlT_T0_E_clISt17integral_constantIbLb0EESW_IbLb1EEEEDaSS_ST_EUlSS_E_NS1_11comp_targetILNS1_3genE0ELNS1_11target_archE4294967295ELNS1_3gpuE0ELNS1_3repE0EEENS1_30default_config_static_selectorELNS0_4arch9wavefront6targetE1EEEvT1_,@function
_ZN7rocprim17ROCPRIM_400000_NS6detail17trampoline_kernelINS0_14default_configENS1_20scan_config_selectorIfEEZZNS1_9scan_implILNS1_25lookback_scan_determinismE0ELb0ELb0ES3_N6thrust23THRUST_200600_302600_NS6detail15normal_iteratorINS9_10device_ptrIfEEEENS9_16discard_iteratorINS9_11use_defaultEEEf11max_functorIfEfEEDaPvRmT3_T4_T5_mT6_P12ihipStream_tbENKUlT_T0_E_clISt17integral_constantIbLb0EESW_IbLb1EEEEDaSS_ST_EUlSS_E_NS1_11comp_targetILNS1_3genE0ELNS1_11target_archE4294967295ELNS1_3gpuE0ELNS1_3repE0EEENS1_30default_config_static_selectorELNS0_4arch9wavefront6targetE1EEEvT1_: ; @_ZN7rocprim17ROCPRIM_400000_NS6detail17trampoline_kernelINS0_14default_configENS1_20scan_config_selectorIfEEZZNS1_9scan_implILNS1_25lookback_scan_determinismE0ELb0ELb0ES3_N6thrust23THRUST_200600_302600_NS6detail15normal_iteratorINS9_10device_ptrIfEEEENS9_16discard_iteratorINS9_11use_defaultEEEf11max_functorIfEfEEDaPvRmT3_T4_T5_mT6_P12ihipStream_tbENKUlT_T0_E_clISt17integral_constantIbLb0EESW_IbLb1EEEEDaSS_ST_EUlSS_E_NS1_11comp_targetILNS1_3genE0ELNS1_11target_archE4294967295ELNS1_3gpuE0ELNS1_3repE0EEENS1_30default_config_static_selectorELNS0_4arch9wavefront6targetE1EEEvT1_
; %bb.0:
	.section	.rodata,"a",@progbits
	.p2align	6, 0x0
	.amdhsa_kernel _ZN7rocprim17ROCPRIM_400000_NS6detail17trampoline_kernelINS0_14default_configENS1_20scan_config_selectorIfEEZZNS1_9scan_implILNS1_25lookback_scan_determinismE0ELb0ELb0ES3_N6thrust23THRUST_200600_302600_NS6detail15normal_iteratorINS9_10device_ptrIfEEEENS9_16discard_iteratorINS9_11use_defaultEEEf11max_functorIfEfEEDaPvRmT3_T4_T5_mT6_P12ihipStream_tbENKUlT_T0_E_clISt17integral_constantIbLb0EESW_IbLb1EEEEDaSS_ST_EUlSS_E_NS1_11comp_targetILNS1_3genE0ELNS1_11target_archE4294967295ELNS1_3gpuE0ELNS1_3repE0EEENS1_30default_config_static_selectorELNS0_4arch9wavefront6targetE1EEEvT1_
		.amdhsa_group_segment_fixed_size 0
		.amdhsa_private_segment_fixed_size 0
		.amdhsa_kernarg_size 104
		.amdhsa_user_sgpr_count 6
		.amdhsa_user_sgpr_private_segment_buffer 1
		.amdhsa_user_sgpr_dispatch_ptr 0
		.amdhsa_user_sgpr_queue_ptr 0
		.amdhsa_user_sgpr_kernarg_segment_ptr 1
		.amdhsa_user_sgpr_dispatch_id 0
		.amdhsa_user_sgpr_flat_scratch_init 0
		.amdhsa_user_sgpr_kernarg_preload_length 0
		.amdhsa_user_sgpr_kernarg_preload_offset 0
		.amdhsa_user_sgpr_private_segment_size 0
		.amdhsa_uses_dynamic_stack 0
		.amdhsa_system_sgpr_private_segment_wavefront_offset 0
		.amdhsa_system_sgpr_workgroup_id_x 1
		.amdhsa_system_sgpr_workgroup_id_y 0
		.amdhsa_system_sgpr_workgroup_id_z 0
		.amdhsa_system_sgpr_workgroup_info 0
		.amdhsa_system_vgpr_workitem_id 0
		.amdhsa_next_free_vgpr 1
		.amdhsa_next_free_sgpr 0
		.amdhsa_accum_offset 4
		.amdhsa_reserve_vcc 0
		.amdhsa_reserve_flat_scratch 0
		.amdhsa_float_round_mode_32 0
		.amdhsa_float_round_mode_16_64 0
		.amdhsa_float_denorm_mode_32 3
		.amdhsa_float_denorm_mode_16_64 3
		.amdhsa_dx10_clamp 1
		.amdhsa_ieee_mode 1
		.amdhsa_fp16_overflow 0
		.amdhsa_tg_split 0
		.amdhsa_exception_fp_ieee_invalid_op 0
		.amdhsa_exception_fp_denorm_src 0
		.amdhsa_exception_fp_ieee_div_zero 0
		.amdhsa_exception_fp_ieee_overflow 0
		.amdhsa_exception_fp_ieee_underflow 0
		.amdhsa_exception_fp_ieee_inexact 0
		.amdhsa_exception_int_div_zero 0
	.end_amdhsa_kernel
	.section	.text._ZN7rocprim17ROCPRIM_400000_NS6detail17trampoline_kernelINS0_14default_configENS1_20scan_config_selectorIfEEZZNS1_9scan_implILNS1_25lookback_scan_determinismE0ELb0ELb0ES3_N6thrust23THRUST_200600_302600_NS6detail15normal_iteratorINS9_10device_ptrIfEEEENS9_16discard_iteratorINS9_11use_defaultEEEf11max_functorIfEfEEDaPvRmT3_T4_T5_mT6_P12ihipStream_tbENKUlT_T0_E_clISt17integral_constantIbLb0EESW_IbLb1EEEEDaSS_ST_EUlSS_E_NS1_11comp_targetILNS1_3genE0ELNS1_11target_archE4294967295ELNS1_3gpuE0ELNS1_3repE0EEENS1_30default_config_static_selectorELNS0_4arch9wavefront6targetE1EEEvT1_,"axG",@progbits,_ZN7rocprim17ROCPRIM_400000_NS6detail17trampoline_kernelINS0_14default_configENS1_20scan_config_selectorIfEEZZNS1_9scan_implILNS1_25lookback_scan_determinismE0ELb0ELb0ES3_N6thrust23THRUST_200600_302600_NS6detail15normal_iteratorINS9_10device_ptrIfEEEENS9_16discard_iteratorINS9_11use_defaultEEEf11max_functorIfEfEEDaPvRmT3_T4_T5_mT6_P12ihipStream_tbENKUlT_T0_E_clISt17integral_constantIbLb0EESW_IbLb1EEEEDaSS_ST_EUlSS_E_NS1_11comp_targetILNS1_3genE0ELNS1_11target_archE4294967295ELNS1_3gpuE0ELNS1_3repE0EEENS1_30default_config_static_selectorELNS0_4arch9wavefront6targetE1EEEvT1_,comdat
.Lfunc_end3188:
	.size	_ZN7rocprim17ROCPRIM_400000_NS6detail17trampoline_kernelINS0_14default_configENS1_20scan_config_selectorIfEEZZNS1_9scan_implILNS1_25lookback_scan_determinismE0ELb0ELb0ES3_N6thrust23THRUST_200600_302600_NS6detail15normal_iteratorINS9_10device_ptrIfEEEENS9_16discard_iteratorINS9_11use_defaultEEEf11max_functorIfEfEEDaPvRmT3_T4_T5_mT6_P12ihipStream_tbENKUlT_T0_E_clISt17integral_constantIbLb0EESW_IbLb1EEEEDaSS_ST_EUlSS_E_NS1_11comp_targetILNS1_3genE0ELNS1_11target_archE4294967295ELNS1_3gpuE0ELNS1_3repE0EEENS1_30default_config_static_selectorELNS0_4arch9wavefront6targetE1EEEvT1_, .Lfunc_end3188-_ZN7rocprim17ROCPRIM_400000_NS6detail17trampoline_kernelINS0_14default_configENS1_20scan_config_selectorIfEEZZNS1_9scan_implILNS1_25lookback_scan_determinismE0ELb0ELb0ES3_N6thrust23THRUST_200600_302600_NS6detail15normal_iteratorINS9_10device_ptrIfEEEENS9_16discard_iteratorINS9_11use_defaultEEEf11max_functorIfEfEEDaPvRmT3_T4_T5_mT6_P12ihipStream_tbENKUlT_T0_E_clISt17integral_constantIbLb0EESW_IbLb1EEEEDaSS_ST_EUlSS_E_NS1_11comp_targetILNS1_3genE0ELNS1_11target_archE4294967295ELNS1_3gpuE0ELNS1_3repE0EEENS1_30default_config_static_selectorELNS0_4arch9wavefront6targetE1EEEvT1_
                                        ; -- End function
	.section	.AMDGPU.csdata,"",@progbits
; Kernel info:
; codeLenInByte = 0
; NumSgprs: 4
; NumVgprs: 0
; NumAgprs: 0
; TotalNumVgprs: 0
; ScratchSize: 0
; MemoryBound: 0
; FloatMode: 240
; IeeeMode: 1
; LDSByteSize: 0 bytes/workgroup (compile time only)
; SGPRBlocks: 0
; VGPRBlocks: 0
; NumSGPRsForWavesPerEU: 4
; NumVGPRsForWavesPerEU: 1
; AccumOffset: 4
; Occupancy: 8
; WaveLimiterHint : 0
; COMPUTE_PGM_RSRC2:SCRATCH_EN: 0
; COMPUTE_PGM_RSRC2:USER_SGPR: 6
; COMPUTE_PGM_RSRC2:TRAP_HANDLER: 0
; COMPUTE_PGM_RSRC2:TGID_X_EN: 1
; COMPUTE_PGM_RSRC2:TGID_Y_EN: 0
; COMPUTE_PGM_RSRC2:TGID_Z_EN: 0
; COMPUTE_PGM_RSRC2:TIDIG_COMP_CNT: 0
; COMPUTE_PGM_RSRC3_GFX90A:ACCUM_OFFSET: 0
; COMPUTE_PGM_RSRC3_GFX90A:TG_SPLIT: 0
	.section	.text._ZN7rocprim17ROCPRIM_400000_NS6detail17trampoline_kernelINS0_14default_configENS1_20scan_config_selectorIfEEZZNS1_9scan_implILNS1_25lookback_scan_determinismE0ELb0ELb0ES3_N6thrust23THRUST_200600_302600_NS6detail15normal_iteratorINS9_10device_ptrIfEEEENS9_16discard_iteratorINS9_11use_defaultEEEf11max_functorIfEfEEDaPvRmT3_T4_T5_mT6_P12ihipStream_tbENKUlT_T0_E_clISt17integral_constantIbLb0EESW_IbLb1EEEEDaSS_ST_EUlSS_E_NS1_11comp_targetILNS1_3genE5ELNS1_11target_archE942ELNS1_3gpuE9ELNS1_3repE0EEENS1_30default_config_static_selectorELNS0_4arch9wavefront6targetE1EEEvT1_,"axG",@progbits,_ZN7rocprim17ROCPRIM_400000_NS6detail17trampoline_kernelINS0_14default_configENS1_20scan_config_selectorIfEEZZNS1_9scan_implILNS1_25lookback_scan_determinismE0ELb0ELb0ES3_N6thrust23THRUST_200600_302600_NS6detail15normal_iteratorINS9_10device_ptrIfEEEENS9_16discard_iteratorINS9_11use_defaultEEEf11max_functorIfEfEEDaPvRmT3_T4_T5_mT6_P12ihipStream_tbENKUlT_T0_E_clISt17integral_constantIbLb0EESW_IbLb1EEEEDaSS_ST_EUlSS_E_NS1_11comp_targetILNS1_3genE5ELNS1_11target_archE942ELNS1_3gpuE9ELNS1_3repE0EEENS1_30default_config_static_selectorELNS0_4arch9wavefront6targetE1EEEvT1_,comdat
	.protected	_ZN7rocprim17ROCPRIM_400000_NS6detail17trampoline_kernelINS0_14default_configENS1_20scan_config_selectorIfEEZZNS1_9scan_implILNS1_25lookback_scan_determinismE0ELb0ELb0ES3_N6thrust23THRUST_200600_302600_NS6detail15normal_iteratorINS9_10device_ptrIfEEEENS9_16discard_iteratorINS9_11use_defaultEEEf11max_functorIfEfEEDaPvRmT3_T4_T5_mT6_P12ihipStream_tbENKUlT_T0_E_clISt17integral_constantIbLb0EESW_IbLb1EEEEDaSS_ST_EUlSS_E_NS1_11comp_targetILNS1_3genE5ELNS1_11target_archE942ELNS1_3gpuE9ELNS1_3repE0EEENS1_30default_config_static_selectorELNS0_4arch9wavefront6targetE1EEEvT1_ ; -- Begin function _ZN7rocprim17ROCPRIM_400000_NS6detail17trampoline_kernelINS0_14default_configENS1_20scan_config_selectorIfEEZZNS1_9scan_implILNS1_25lookback_scan_determinismE0ELb0ELb0ES3_N6thrust23THRUST_200600_302600_NS6detail15normal_iteratorINS9_10device_ptrIfEEEENS9_16discard_iteratorINS9_11use_defaultEEEf11max_functorIfEfEEDaPvRmT3_T4_T5_mT6_P12ihipStream_tbENKUlT_T0_E_clISt17integral_constantIbLb0EESW_IbLb1EEEEDaSS_ST_EUlSS_E_NS1_11comp_targetILNS1_3genE5ELNS1_11target_archE942ELNS1_3gpuE9ELNS1_3repE0EEENS1_30default_config_static_selectorELNS0_4arch9wavefront6targetE1EEEvT1_
	.globl	_ZN7rocprim17ROCPRIM_400000_NS6detail17trampoline_kernelINS0_14default_configENS1_20scan_config_selectorIfEEZZNS1_9scan_implILNS1_25lookback_scan_determinismE0ELb0ELb0ES3_N6thrust23THRUST_200600_302600_NS6detail15normal_iteratorINS9_10device_ptrIfEEEENS9_16discard_iteratorINS9_11use_defaultEEEf11max_functorIfEfEEDaPvRmT3_T4_T5_mT6_P12ihipStream_tbENKUlT_T0_E_clISt17integral_constantIbLb0EESW_IbLb1EEEEDaSS_ST_EUlSS_E_NS1_11comp_targetILNS1_3genE5ELNS1_11target_archE942ELNS1_3gpuE9ELNS1_3repE0EEENS1_30default_config_static_selectorELNS0_4arch9wavefront6targetE1EEEvT1_
	.p2align	8
	.type	_ZN7rocprim17ROCPRIM_400000_NS6detail17trampoline_kernelINS0_14default_configENS1_20scan_config_selectorIfEEZZNS1_9scan_implILNS1_25lookback_scan_determinismE0ELb0ELb0ES3_N6thrust23THRUST_200600_302600_NS6detail15normal_iteratorINS9_10device_ptrIfEEEENS9_16discard_iteratorINS9_11use_defaultEEEf11max_functorIfEfEEDaPvRmT3_T4_T5_mT6_P12ihipStream_tbENKUlT_T0_E_clISt17integral_constantIbLb0EESW_IbLb1EEEEDaSS_ST_EUlSS_E_NS1_11comp_targetILNS1_3genE5ELNS1_11target_archE942ELNS1_3gpuE9ELNS1_3repE0EEENS1_30default_config_static_selectorELNS0_4arch9wavefront6targetE1EEEvT1_,@function
_ZN7rocprim17ROCPRIM_400000_NS6detail17trampoline_kernelINS0_14default_configENS1_20scan_config_selectorIfEEZZNS1_9scan_implILNS1_25lookback_scan_determinismE0ELb0ELb0ES3_N6thrust23THRUST_200600_302600_NS6detail15normal_iteratorINS9_10device_ptrIfEEEENS9_16discard_iteratorINS9_11use_defaultEEEf11max_functorIfEfEEDaPvRmT3_T4_T5_mT6_P12ihipStream_tbENKUlT_T0_E_clISt17integral_constantIbLb0EESW_IbLb1EEEEDaSS_ST_EUlSS_E_NS1_11comp_targetILNS1_3genE5ELNS1_11target_archE942ELNS1_3gpuE9ELNS1_3repE0EEENS1_30default_config_static_selectorELNS0_4arch9wavefront6targetE1EEEvT1_: ; @_ZN7rocprim17ROCPRIM_400000_NS6detail17trampoline_kernelINS0_14default_configENS1_20scan_config_selectorIfEEZZNS1_9scan_implILNS1_25lookback_scan_determinismE0ELb0ELb0ES3_N6thrust23THRUST_200600_302600_NS6detail15normal_iteratorINS9_10device_ptrIfEEEENS9_16discard_iteratorINS9_11use_defaultEEEf11max_functorIfEfEEDaPvRmT3_T4_T5_mT6_P12ihipStream_tbENKUlT_T0_E_clISt17integral_constantIbLb0EESW_IbLb1EEEEDaSS_ST_EUlSS_E_NS1_11comp_targetILNS1_3genE5ELNS1_11target_archE942ELNS1_3gpuE9ELNS1_3repE0EEENS1_30default_config_static_selectorELNS0_4arch9wavefront6targetE1EEEvT1_
; %bb.0:
	.section	.rodata,"a",@progbits
	.p2align	6, 0x0
	.amdhsa_kernel _ZN7rocprim17ROCPRIM_400000_NS6detail17trampoline_kernelINS0_14default_configENS1_20scan_config_selectorIfEEZZNS1_9scan_implILNS1_25lookback_scan_determinismE0ELb0ELb0ES3_N6thrust23THRUST_200600_302600_NS6detail15normal_iteratorINS9_10device_ptrIfEEEENS9_16discard_iteratorINS9_11use_defaultEEEf11max_functorIfEfEEDaPvRmT3_T4_T5_mT6_P12ihipStream_tbENKUlT_T0_E_clISt17integral_constantIbLb0EESW_IbLb1EEEEDaSS_ST_EUlSS_E_NS1_11comp_targetILNS1_3genE5ELNS1_11target_archE942ELNS1_3gpuE9ELNS1_3repE0EEENS1_30default_config_static_selectorELNS0_4arch9wavefront6targetE1EEEvT1_
		.amdhsa_group_segment_fixed_size 0
		.amdhsa_private_segment_fixed_size 0
		.amdhsa_kernarg_size 104
		.amdhsa_user_sgpr_count 6
		.amdhsa_user_sgpr_private_segment_buffer 1
		.amdhsa_user_sgpr_dispatch_ptr 0
		.amdhsa_user_sgpr_queue_ptr 0
		.amdhsa_user_sgpr_kernarg_segment_ptr 1
		.amdhsa_user_sgpr_dispatch_id 0
		.amdhsa_user_sgpr_flat_scratch_init 0
		.amdhsa_user_sgpr_kernarg_preload_length 0
		.amdhsa_user_sgpr_kernarg_preload_offset 0
		.amdhsa_user_sgpr_private_segment_size 0
		.amdhsa_uses_dynamic_stack 0
		.amdhsa_system_sgpr_private_segment_wavefront_offset 0
		.amdhsa_system_sgpr_workgroup_id_x 1
		.amdhsa_system_sgpr_workgroup_id_y 0
		.amdhsa_system_sgpr_workgroup_id_z 0
		.amdhsa_system_sgpr_workgroup_info 0
		.amdhsa_system_vgpr_workitem_id 0
		.amdhsa_next_free_vgpr 1
		.amdhsa_next_free_sgpr 0
		.amdhsa_accum_offset 4
		.amdhsa_reserve_vcc 0
		.amdhsa_reserve_flat_scratch 0
		.amdhsa_float_round_mode_32 0
		.amdhsa_float_round_mode_16_64 0
		.amdhsa_float_denorm_mode_32 3
		.amdhsa_float_denorm_mode_16_64 3
		.amdhsa_dx10_clamp 1
		.amdhsa_ieee_mode 1
		.amdhsa_fp16_overflow 0
		.amdhsa_tg_split 0
		.amdhsa_exception_fp_ieee_invalid_op 0
		.amdhsa_exception_fp_denorm_src 0
		.amdhsa_exception_fp_ieee_div_zero 0
		.amdhsa_exception_fp_ieee_overflow 0
		.amdhsa_exception_fp_ieee_underflow 0
		.amdhsa_exception_fp_ieee_inexact 0
		.amdhsa_exception_int_div_zero 0
	.end_amdhsa_kernel
	.section	.text._ZN7rocprim17ROCPRIM_400000_NS6detail17trampoline_kernelINS0_14default_configENS1_20scan_config_selectorIfEEZZNS1_9scan_implILNS1_25lookback_scan_determinismE0ELb0ELb0ES3_N6thrust23THRUST_200600_302600_NS6detail15normal_iteratorINS9_10device_ptrIfEEEENS9_16discard_iteratorINS9_11use_defaultEEEf11max_functorIfEfEEDaPvRmT3_T4_T5_mT6_P12ihipStream_tbENKUlT_T0_E_clISt17integral_constantIbLb0EESW_IbLb1EEEEDaSS_ST_EUlSS_E_NS1_11comp_targetILNS1_3genE5ELNS1_11target_archE942ELNS1_3gpuE9ELNS1_3repE0EEENS1_30default_config_static_selectorELNS0_4arch9wavefront6targetE1EEEvT1_,"axG",@progbits,_ZN7rocprim17ROCPRIM_400000_NS6detail17trampoline_kernelINS0_14default_configENS1_20scan_config_selectorIfEEZZNS1_9scan_implILNS1_25lookback_scan_determinismE0ELb0ELb0ES3_N6thrust23THRUST_200600_302600_NS6detail15normal_iteratorINS9_10device_ptrIfEEEENS9_16discard_iteratorINS9_11use_defaultEEEf11max_functorIfEfEEDaPvRmT3_T4_T5_mT6_P12ihipStream_tbENKUlT_T0_E_clISt17integral_constantIbLb0EESW_IbLb1EEEEDaSS_ST_EUlSS_E_NS1_11comp_targetILNS1_3genE5ELNS1_11target_archE942ELNS1_3gpuE9ELNS1_3repE0EEENS1_30default_config_static_selectorELNS0_4arch9wavefront6targetE1EEEvT1_,comdat
.Lfunc_end3189:
	.size	_ZN7rocprim17ROCPRIM_400000_NS6detail17trampoline_kernelINS0_14default_configENS1_20scan_config_selectorIfEEZZNS1_9scan_implILNS1_25lookback_scan_determinismE0ELb0ELb0ES3_N6thrust23THRUST_200600_302600_NS6detail15normal_iteratorINS9_10device_ptrIfEEEENS9_16discard_iteratorINS9_11use_defaultEEEf11max_functorIfEfEEDaPvRmT3_T4_T5_mT6_P12ihipStream_tbENKUlT_T0_E_clISt17integral_constantIbLb0EESW_IbLb1EEEEDaSS_ST_EUlSS_E_NS1_11comp_targetILNS1_3genE5ELNS1_11target_archE942ELNS1_3gpuE9ELNS1_3repE0EEENS1_30default_config_static_selectorELNS0_4arch9wavefront6targetE1EEEvT1_, .Lfunc_end3189-_ZN7rocprim17ROCPRIM_400000_NS6detail17trampoline_kernelINS0_14default_configENS1_20scan_config_selectorIfEEZZNS1_9scan_implILNS1_25lookback_scan_determinismE0ELb0ELb0ES3_N6thrust23THRUST_200600_302600_NS6detail15normal_iteratorINS9_10device_ptrIfEEEENS9_16discard_iteratorINS9_11use_defaultEEEf11max_functorIfEfEEDaPvRmT3_T4_T5_mT6_P12ihipStream_tbENKUlT_T0_E_clISt17integral_constantIbLb0EESW_IbLb1EEEEDaSS_ST_EUlSS_E_NS1_11comp_targetILNS1_3genE5ELNS1_11target_archE942ELNS1_3gpuE9ELNS1_3repE0EEENS1_30default_config_static_selectorELNS0_4arch9wavefront6targetE1EEEvT1_
                                        ; -- End function
	.section	.AMDGPU.csdata,"",@progbits
; Kernel info:
; codeLenInByte = 0
; NumSgprs: 4
; NumVgprs: 0
; NumAgprs: 0
; TotalNumVgprs: 0
; ScratchSize: 0
; MemoryBound: 0
; FloatMode: 240
; IeeeMode: 1
; LDSByteSize: 0 bytes/workgroup (compile time only)
; SGPRBlocks: 0
; VGPRBlocks: 0
; NumSGPRsForWavesPerEU: 4
; NumVGPRsForWavesPerEU: 1
; AccumOffset: 4
; Occupancy: 8
; WaveLimiterHint : 0
; COMPUTE_PGM_RSRC2:SCRATCH_EN: 0
; COMPUTE_PGM_RSRC2:USER_SGPR: 6
; COMPUTE_PGM_RSRC2:TRAP_HANDLER: 0
; COMPUTE_PGM_RSRC2:TGID_X_EN: 1
; COMPUTE_PGM_RSRC2:TGID_Y_EN: 0
; COMPUTE_PGM_RSRC2:TGID_Z_EN: 0
; COMPUTE_PGM_RSRC2:TIDIG_COMP_CNT: 0
; COMPUTE_PGM_RSRC3_GFX90A:ACCUM_OFFSET: 0
; COMPUTE_PGM_RSRC3_GFX90A:TG_SPLIT: 0
	.section	.text._ZN7rocprim17ROCPRIM_400000_NS6detail17trampoline_kernelINS0_14default_configENS1_20scan_config_selectorIfEEZZNS1_9scan_implILNS1_25lookback_scan_determinismE0ELb0ELb0ES3_N6thrust23THRUST_200600_302600_NS6detail15normal_iteratorINS9_10device_ptrIfEEEENS9_16discard_iteratorINS9_11use_defaultEEEf11max_functorIfEfEEDaPvRmT3_T4_T5_mT6_P12ihipStream_tbENKUlT_T0_E_clISt17integral_constantIbLb0EESW_IbLb1EEEEDaSS_ST_EUlSS_E_NS1_11comp_targetILNS1_3genE4ELNS1_11target_archE910ELNS1_3gpuE8ELNS1_3repE0EEENS1_30default_config_static_selectorELNS0_4arch9wavefront6targetE1EEEvT1_,"axG",@progbits,_ZN7rocprim17ROCPRIM_400000_NS6detail17trampoline_kernelINS0_14default_configENS1_20scan_config_selectorIfEEZZNS1_9scan_implILNS1_25lookback_scan_determinismE0ELb0ELb0ES3_N6thrust23THRUST_200600_302600_NS6detail15normal_iteratorINS9_10device_ptrIfEEEENS9_16discard_iteratorINS9_11use_defaultEEEf11max_functorIfEfEEDaPvRmT3_T4_T5_mT6_P12ihipStream_tbENKUlT_T0_E_clISt17integral_constantIbLb0EESW_IbLb1EEEEDaSS_ST_EUlSS_E_NS1_11comp_targetILNS1_3genE4ELNS1_11target_archE910ELNS1_3gpuE8ELNS1_3repE0EEENS1_30default_config_static_selectorELNS0_4arch9wavefront6targetE1EEEvT1_,comdat
	.protected	_ZN7rocprim17ROCPRIM_400000_NS6detail17trampoline_kernelINS0_14default_configENS1_20scan_config_selectorIfEEZZNS1_9scan_implILNS1_25lookback_scan_determinismE0ELb0ELb0ES3_N6thrust23THRUST_200600_302600_NS6detail15normal_iteratorINS9_10device_ptrIfEEEENS9_16discard_iteratorINS9_11use_defaultEEEf11max_functorIfEfEEDaPvRmT3_T4_T5_mT6_P12ihipStream_tbENKUlT_T0_E_clISt17integral_constantIbLb0EESW_IbLb1EEEEDaSS_ST_EUlSS_E_NS1_11comp_targetILNS1_3genE4ELNS1_11target_archE910ELNS1_3gpuE8ELNS1_3repE0EEENS1_30default_config_static_selectorELNS0_4arch9wavefront6targetE1EEEvT1_ ; -- Begin function _ZN7rocprim17ROCPRIM_400000_NS6detail17trampoline_kernelINS0_14default_configENS1_20scan_config_selectorIfEEZZNS1_9scan_implILNS1_25lookback_scan_determinismE0ELb0ELb0ES3_N6thrust23THRUST_200600_302600_NS6detail15normal_iteratorINS9_10device_ptrIfEEEENS9_16discard_iteratorINS9_11use_defaultEEEf11max_functorIfEfEEDaPvRmT3_T4_T5_mT6_P12ihipStream_tbENKUlT_T0_E_clISt17integral_constantIbLb0EESW_IbLb1EEEEDaSS_ST_EUlSS_E_NS1_11comp_targetILNS1_3genE4ELNS1_11target_archE910ELNS1_3gpuE8ELNS1_3repE0EEENS1_30default_config_static_selectorELNS0_4arch9wavefront6targetE1EEEvT1_
	.globl	_ZN7rocprim17ROCPRIM_400000_NS6detail17trampoline_kernelINS0_14default_configENS1_20scan_config_selectorIfEEZZNS1_9scan_implILNS1_25lookback_scan_determinismE0ELb0ELb0ES3_N6thrust23THRUST_200600_302600_NS6detail15normal_iteratorINS9_10device_ptrIfEEEENS9_16discard_iteratorINS9_11use_defaultEEEf11max_functorIfEfEEDaPvRmT3_T4_T5_mT6_P12ihipStream_tbENKUlT_T0_E_clISt17integral_constantIbLb0EESW_IbLb1EEEEDaSS_ST_EUlSS_E_NS1_11comp_targetILNS1_3genE4ELNS1_11target_archE910ELNS1_3gpuE8ELNS1_3repE0EEENS1_30default_config_static_selectorELNS0_4arch9wavefront6targetE1EEEvT1_
	.p2align	8
	.type	_ZN7rocprim17ROCPRIM_400000_NS6detail17trampoline_kernelINS0_14default_configENS1_20scan_config_selectorIfEEZZNS1_9scan_implILNS1_25lookback_scan_determinismE0ELb0ELb0ES3_N6thrust23THRUST_200600_302600_NS6detail15normal_iteratorINS9_10device_ptrIfEEEENS9_16discard_iteratorINS9_11use_defaultEEEf11max_functorIfEfEEDaPvRmT3_T4_T5_mT6_P12ihipStream_tbENKUlT_T0_E_clISt17integral_constantIbLb0EESW_IbLb1EEEEDaSS_ST_EUlSS_E_NS1_11comp_targetILNS1_3genE4ELNS1_11target_archE910ELNS1_3gpuE8ELNS1_3repE0EEENS1_30default_config_static_selectorELNS0_4arch9wavefront6targetE1EEEvT1_,@function
_ZN7rocprim17ROCPRIM_400000_NS6detail17trampoline_kernelINS0_14default_configENS1_20scan_config_selectorIfEEZZNS1_9scan_implILNS1_25lookback_scan_determinismE0ELb0ELb0ES3_N6thrust23THRUST_200600_302600_NS6detail15normal_iteratorINS9_10device_ptrIfEEEENS9_16discard_iteratorINS9_11use_defaultEEEf11max_functorIfEfEEDaPvRmT3_T4_T5_mT6_P12ihipStream_tbENKUlT_T0_E_clISt17integral_constantIbLb0EESW_IbLb1EEEEDaSS_ST_EUlSS_E_NS1_11comp_targetILNS1_3genE4ELNS1_11target_archE910ELNS1_3gpuE8ELNS1_3repE0EEENS1_30default_config_static_selectorELNS0_4arch9wavefront6targetE1EEEvT1_: ; @_ZN7rocprim17ROCPRIM_400000_NS6detail17trampoline_kernelINS0_14default_configENS1_20scan_config_selectorIfEEZZNS1_9scan_implILNS1_25lookback_scan_determinismE0ELb0ELb0ES3_N6thrust23THRUST_200600_302600_NS6detail15normal_iteratorINS9_10device_ptrIfEEEENS9_16discard_iteratorINS9_11use_defaultEEEf11max_functorIfEfEEDaPvRmT3_T4_T5_mT6_P12ihipStream_tbENKUlT_T0_E_clISt17integral_constantIbLb0EESW_IbLb1EEEEDaSS_ST_EUlSS_E_NS1_11comp_targetILNS1_3genE4ELNS1_11target_archE910ELNS1_3gpuE8ELNS1_3repE0EEENS1_30default_config_static_selectorELNS0_4arch9wavefront6targetE1EEEvT1_
; %bb.0:
	s_load_dwordx2 s[6:7], s[4:5], 0x20
	s_load_dwordx2 s[20:21], s[4:5], 0x30
	v_cmp_ne_u32_e64 s[0:1], 0, v0
	v_cmp_eq_u32_e64 s[2:3], 0, v0
	s_and_saveexec_b64 s[8:9], s[2:3]
	s_cbranch_execz .LBB3190_4
; %bb.1:
	s_mov_b64 s[12:13], exec
	v_mbcnt_lo_u32_b32 v1, s12, 0
	v_mbcnt_hi_u32_b32 v1, s13, v1
	v_cmp_eq_u32_e32 vcc, 0, v1
                                        ; implicit-def: $vgpr2
	s_and_saveexec_b64 s[10:11], vcc
	s_cbranch_execz .LBB3190_3
; %bb.2:
	s_load_dwordx2 s[14:15], s[4:5], 0x60
	s_bcnt1_i32_b64 s12, s[12:13]
	v_mov_b32_e32 v2, 0
	v_mov_b32_e32 v3, s12
	s_waitcnt lgkmcnt(0)
	global_atomic_add v2, v2, v3, s[14:15] glc
.LBB3190_3:
	s_or_b64 exec, exec, s[10:11]
	s_waitcnt vmcnt(0)
	v_readfirstlane_b32 s10, v2
	v_add_u32_e32 v1, s10, v1
	v_mov_b32_e32 v2, 0
	ds_write_b32 v2, v1
.LBB3190_4:
	s_or_b64 exec, exec, s[8:9]
	v_mov_b32_e32 v3, 0
	s_load_dwordx4 s[8:11], s[4:5], 0x0
	s_load_dword s22, s[4:5], 0x38
	s_load_dwordx8 s[12:19], s[4:5], 0x40
	s_waitcnt lgkmcnt(0)
	s_barrier
	ds_read_b32 v1, v3
	s_lshl_b64 s[4:5], s[10:11], 2
	s_add_u32 s4, s8, s4
	s_movk_i32 s8, 0x700
	s_addc_u32 s5, s9, s5
	s_waitcnt lgkmcnt(0)
	v_mul_lo_u32 v2, v1, s8
	s_add_i32 s8, s22, -1
	s_mul_i32 s9, s8, 0x700
	s_sub_u32 s26, s6, s9
	v_readfirstlane_b32 s28, v1
	s_subb_u32 s27, s7, 0
	v_lshlrev_b64 v[2:3], 2, v[2:3]
	s_cmp_lg_u32 s28, s8
	v_mov_b32_e32 v1, s5
	v_add_co_u32_e32 v18, vcc, s4, v2
	s_cselect_b64 s[22:23], -1, 0
	v_addc_co_u32_e32 v19, vcc, v1, v3, vcc
	s_mov_b64 s[4:5], -1
	s_and_b64 vcc, exec, s[22:23]
	v_lshlrev_b32_e32 v20, 2, v0
	s_barrier
	s_cbranch_vccz .LBB3190_6
; %bb.5:
	v_add_co_u32_e32 v2, vcc, v18, v20
	v_addc_co_u32_e32 v3, vcc, 0, v19, vcc
	flat_load_dword v1, v[2:3]
	flat_load_dword v4, v[2:3] offset:512
	flat_load_dword v5, v[2:3] offset:1024
	;; [unrolled: 1-line block ×7, first 2 shown]
	v_add_co_u32_e32 v2, vcc, 0x1000, v2
	v_addc_co_u32_e32 v3, vcc, 0, v3, vcc
	flat_load_dword v11, v[2:3]
	flat_load_dword v12, v[2:3] offset:512
	flat_load_dword v13, v[2:3] offset:1024
	;; [unrolled: 1-line block ×5, first 2 shown]
	s_mov_b64 s[4:5], 0
	s_waitcnt vmcnt(0) lgkmcnt(0)
	ds_write2st64_b32 v20, v1, v4 offset1:2
	ds_write2st64_b32 v20, v5, v6 offset0:4 offset1:6
	ds_write2st64_b32 v20, v7, v8 offset0:8 offset1:10
	;; [unrolled: 1-line block ×6, first 2 shown]
	s_waitcnt lgkmcnt(0)
	s_barrier
.LBB3190_6:
	s_andn2_b64 vcc, exec, s[4:5]
	s_cbranch_vccnz .LBB3190_36
; %bb.7:
	flat_load_dword v1, v[18:19]
	v_cmp_gt_u32_e32 vcc, s26, v0
	s_waitcnt vmcnt(0) lgkmcnt(0)
	v_mov_b32_e32 v2, v1
	v_mov_b32_e32 v3, v1
	;; [unrolled: 1-line block ×12, first 2 shown]
	v_pk_mov_b32 v[16:17], v[14:15], v[14:15] op_sel:[0,1]
	v_pk_mov_b32 v[14:15], v[12:13], v[12:13] op_sel:[0,1]
	;; [unrolled: 1-line block ×8, first 2 shown]
	s_and_saveexec_b64 s[4:5], vcc
	s_cbranch_execz .LBB3190_9
; %bb.8:
	v_add_co_u32_e32 v2, vcc, v18, v20
	v_addc_co_u32_e32 v3, vcc, 0, v19, vcc
	flat_load_dword v21, v[2:3]
	v_mov_b32_e32 v2, v1
	v_mov_b32_e32 v3, v1
	;; [unrolled: 1-line block ×12, first 2 shown]
	v_pk_mov_b32 v[16:17], v[14:15], v[14:15] op_sel:[0,1]
	v_pk_mov_b32 v[14:15], v[12:13], v[12:13] op_sel:[0,1]
	;; [unrolled: 1-line block ×8, first 2 shown]
	s_waitcnt vmcnt(0) lgkmcnt(0)
	v_mov_b32_e32 v1, v21
.LBB3190_9:
	s_or_b64 exec, exec, s[4:5]
	v_or_b32_e32 v2, 0x80, v0
	v_cmp_gt_u32_e32 vcc, s26, v2
	s_and_saveexec_b64 s[4:5], vcc
	s_cbranch_execz .LBB3190_11
; %bb.10:
	v_add_co_u32_e32 v2, vcc, v18, v20
	v_addc_co_u32_e32 v3, vcc, 0, v19, vcc
	flat_load_dword v3, v[2:3] offset:512
.LBB3190_11:
	s_or_b64 exec, exec, s[4:5]
	v_or_b32_e32 v2, 0x100, v0
	v_cmp_gt_u32_e32 vcc, s26, v2
	s_and_saveexec_b64 s[4:5], vcc
	s_cbranch_execz .LBB3190_13
; %bb.12:
	v_add_co_u32_e32 v16, vcc, v18, v20
	v_addc_co_u32_e32 v17, vcc, 0, v19, vcc
	flat_load_dword v4, v[16:17] offset:1024
.LBB3190_13:
	;; [unrolled: 10-line block ×7, first 2 shown]
	s_or_b64 exec, exec, s[4:5]
	v_or_b32_e32 v2, 0x400, v0
	v_cmp_gt_u32_e32 vcc, s26, v2
	s_and_saveexec_b64 s[4:5], vcc
	s_cbranch_execz .LBB3190_25
; %bb.24:
	v_lshlrev_b32_e32 v2, 2, v2
	v_add_co_u32_e32 v16, vcc, v18, v2
	v_addc_co_u32_e32 v17, vcc, 0, v19, vcc
	flat_load_dword v10, v[16:17]
.LBB3190_25:
	s_or_b64 exec, exec, s[4:5]
	v_or_b32_e32 v2, 0x480, v0
	v_cmp_gt_u32_e32 vcc, s26, v2
	s_and_saveexec_b64 s[4:5], vcc
	s_cbranch_execz .LBB3190_27
; %bb.26:
	v_lshlrev_b32_e32 v2, 2, v2
	v_add_co_u32_e32 v16, vcc, v18, v2
	v_addc_co_u32_e32 v17, vcc, 0, v19, vcc
	flat_load_dword v11, v[16:17]
.LBB3190_27:
	;; [unrolled: 11-line block ×6, first 2 shown]
	s_or_b64 exec, exec, s[4:5]
	s_waitcnt vmcnt(0) lgkmcnt(0)
	ds_write2st64_b32 v20, v1, v3 offset1:2
	ds_write2st64_b32 v20, v4, v5 offset0:4 offset1:6
	ds_write2st64_b32 v20, v6, v7 offset0:8 offset1:10
	;; [unrolled: 1-line block ×6, first 2 shown]
	s_waitcnt lgkmcnt(0)
	s_barrier
.LBB3190_36:
	v_mul_u32_u24_e32 v32, 14, v0
	v_lshlrev_b32_e32 v33, 2, v32
	ds_read2_b64 v[2:5], v33 offset1:1
	ds_read2_b64 v[26:29], v33 offset0:2 offset1:3
	ds_read2_b64 v[22:25], v33 offset0:4 offset1:5
	ds_read_b64 v[30:31], v33 offset:48
	s_cmp_lg_u32 s28, 0
	v_lshrrev_b32_e32 v1, 5, v0
	v_cmp_gt_u32_e32 vcc, 64, v0
	s_waitcnt lgkmcnt(0)
	s_barrier
	s_cbranch_scc0 .LBB3190_61
; %bb.37:
	v_cmp_lt_f32_e64 s[4:5], v2, v3
	v_cndmask_b32_e64 v6, v2, v3, s[4:5]
	v_cmp_lt_f32_e64 s[4:5], v6, v4
	v_cndmask_b32_e64 v6, v6, v4, s[4:5]
	;; [unrolled: 2-line block ×13, first 2 shown]
	v_add_lshl_u32 v6, v1, v0, 2
	ds_write_b32 v6, v16
	s_waitcnt lgkmcnt(0)
	s_barrier
	s_and_saveexec_b64 s[24:25], vcc
	s_cbranch_execz .LBB3190_39
; %bb.38:
	v_lshlrev_b32_e32 v6, 1, v0
	v_lshrrev_b32_e32 v7, 4, v0
	v_add_lshl_u32 v8, v7, v6, 2
	ds_read2_b32 v[6:7], v8 offset1:1
	v_mbcnt_lo_u32_b32 v9, -1, 0
	v_mbcnt_hi_u32_b32 v9, -1, v9
	v_and_b32_e32 v10, 15, v9
	v_cmp_lt_u32_e64 s[10:11], 31, v9
	s_waitcnt lgkmcnt(0)
	v_cmp_lt_f32_e64 s[4:5], v6, v7
	v_cndmask_b32_e64 v7, v6, v7, s[4:5]
	v_cmp_gt_u32_e64 s[8:9], 32, v9
	s_nop 0
	v_mov_b32_dpp v11, v7 row_shr:1 row_mask:0xf bank_mask:0xf
	v_cmp_gt_f32_e64 s[4:5], v7, v11
	v_cndmask_b32_e64 v11, v11, v7, s[4:5]
	v_cmp_eq_u32_e64 s[4:5], 0, v10
	v_cndmask_b32_e64 v7, v11, v7, s[4:5]
	; wave barrier
	s_nop 1
	v_mov_b32_dpp v11, v7 row_shr:2 row_mask:0xf bank_mask:0xf
	v_cmp_gt_f32_e64 s[4:5], v7, v11
	v_cndmask_b32_e64 v11, v11, v7, s[4:5]
	v_cmp_lt_u32_e64 s[4:5], 1, v10
	v_cndmask_b32_e64 v11, v7, v11, s[4:5]
	s_nop 1
	v_mov_b32_dpp v12, v11 row_shr:4 row_mask:0xf bank_mask:0xf
	v_cmp_gt_f32_e64 s[6:7], v11, v12
	v_cndmask_b32_e64 v12, v12, v11, s[6:7]
	v_cmp_lt_u32_e64 s[6:7], 3, v10
	v_cndmask_b32_e64 v11, v11, v12, s[6:7]
	;; [unrolled: 6-line block ×3, first 2 shown]
	v_and_b32_e32 v12, 16, v9
	s_nop 0
	v_mov_b32_dpp v11, v10 row_bcast:15 row_mask:0xf bank_mask:0xf
	v_cmp_gt_f32_e64 s[6:7], v10, v11
	v_cndmask_b32_e64 v11, v11, v10, s[6:7]
	v_cmp_ne_u32_e64 s[6:7], 0, v12
	v_cndmask_b32_e64 v10, v10, v11, s[6:7]
	s_or_b64 s[10:11], s[6:7], s[10:11]
	s_or_b64 s[4:5], s[4:5], s[10:11]
	v_mov_b32_dpp v11, v10 row_bcast:31 row_mask:0xf bank_mask:0xf
	v_cmp_gt_f32_e64 s[6:7], v10, v11
	s_or_b64 s[6:7], s[8:9], s[6:7]
	v_cndmask_b32_e64 v10, v11, v10, s[6:7]
	v_cndmask_b32_e64 v7, v7, v10, s[4:5]
	v_add_u32_e32 v10, -1, v9
	v_and_b32_e32 v11, 64, v9
	v_cmp_lt_i32_e64 s[4:5], v10, v11
	v_cndmask_b32_e64 v9, v10, v9, s[4:5]
	v_lshlrev_b32_e32 v9, 2, v9
	ds_bpermute_b32 v7, v9, v7
	s_waitcnt lgkmcnt(0)
	v_cmp_gt_f32_e64 s[4:5], v6, v7
	v_cndmask_b32_e64 v6, v7, v6, s[4:5]
	v_cndmask_b32_e64 v6, v6, v16, s[2:3]
	ds_write_b32 v8, v6
	; wave barrier
	ds_read_b32 v7, v8 offset:4
	s_waitcnt lgkmcnt(0)
	v_cmp_lt_f32_e64 s[4:5], v6, v7
	v_cndmask_b32_e64 v6, v6, v7, s[4:5]
	ds_write_b32 v8, v6 offset:4
.LBB3190_39:
	s_or_b64 exec, exec, s[24:25]
	s_waitcnt lgkmcnt(0)
	s_barrier
	s_and_saveexec_b64 s[4:5], s[0:1]
	s_cbranch_execz .LBB3190_41
; %bb.40:
	v_add_u32_e32 v6, -1, v0
	v_lshrrev_b32_e32 v7, 5, v6
	v_add_lshl_u32 v6, v7, v6, 2
	ds_read_b32 v16, v6
.LBB3190_41:
	s_or_b64 exec, exec, s[4:5]
	s_and_saveexec_b64 s[10:11], vcc
	s_cbranch_execz .LBB3190_60
; %bb.42:
	v_mov_b32_e32 v13, 0
	ds_read_b32 v6, v13 offset:520
	v_mbcnt_lo_u32_b32 v7, -1, 0
	v_mbcnt_hi_u32_b32 v9, -1, v7
	s_mov_b32 s9, 0
	v_cmp_eq_u32_e64 s[4:5], 0, v9
	s_and_saveexec_b64 s[6:7], s[4:5]
	s_cbranch_execz .LBB3190_44
; %bb.43:
	s_add_i32 s8, s28, 64
	s_lshl_b64 s[8:9], s[8:9], 3
	s_add_u32 s8, s20, s8
	v_mov_b32_e32 v7, 1
	s_addc_u32 s9, s21, s9
	s_waitcnt lgkmcnt(0)
	global_store_dwordx2 v13, v[6:7], s[8:9]
.LBB3190_44:
	s_or_b64 exec, exec, s[6:7]
	v_xad_u32 v8, v9, -1, s28
	v_add_u32_e32 v12, 64, v8
	v_lshlrev_b64 v[10:11], 3, v[12:13]
	v_mov_b32_e32 v7, s21
	v_add_co_u32_e32 v14, vcc, s20, v10
	v_addc_co_u32_e32 v15, vcc, v7, v11, vcc
	global_load_dwordx2 v[10:11], v[14:15], off glc
	s_waitcnt vmcnt(0)
	v_cmp_eq_u16_sdwa s[8:9], v11, v13 src0_sel:BYTE_0 src1_sel:DWORD
	s_and_saveexec_b64 s[6:7], s[8:9]
	s_cbranch_execz .LBB3190_48
; %bb.45:
	s_mov_b64 s[8:9], 0
	v_mov_b32_e32 v7, 0
.LBB3190_46:                            ; =>This Inner Loop Header: Depth=1
	global_load_dwordx2 v[10:11], v[14:15], off glc
	s_waitcnt vmcnt(0)
	v_cmp_ne_u16_sdwa s[24:25], v11, v7 src0_sel:BYTE_0 src1_sel:DWORD
	s_or_b64 s[8:9], s[24:25], s[8:9]
	s_andn2_b64 exec, exec, s[8:9]
	s_cbranch_execnz .LBB3190_46
; %bb.47:
	s_or_b64 exec, exec, s[8:9]
.LBB3190_48:
	s_or_b64 exec, exec, s[6:7]
	v_and_b32_e32 v17, 63, v9
	v_cmp_ne_u32_e32 vcc, 63, v17
	v_addc_co_u32_e32 v18, vcc, 0, v9, vcc
	v_lshlrev_b32_e32 v18, 2, v18
	v_mov_b32_e32 v7, 2
	ds_bpermute_b32 v19, v18, v10
	v_cmp_eq_u16_sdwa s[6:7], v11, v7 src0_sel:BYTE_0 src1_sel:DWORD
	v_lshlrev_b64 v[12:13], v9, -1
	v_and_b32_e32 v14, s7, v13
	v_or_b32_e32 v14, 0x80000000, v14
	v_and_b32_e32 v15, s6, v12
	v_ffbl_b32_e32 v14, v14
	v_add_u32_e32 v14, 32, v14
	v_ffbl_b32_e32 v15, v15
	s_waitcnt lgkmcnt(0)
	v_cmp_lt_f32_e32 vcc, v19, v10
	v_cmp_gt_u32_e64 s[6:7], 62, v17
	v_min_u32_e32 v14, v15, v14
	v_cndmask_b32_e32 v15, v19, v10, vcc
	v_cndmask_b32_e64 v19, 0, 1, s[6:7]
	v_cmp_lt_u32_e32 vcc, v17, v14
	v_lshlrev_b32_e32 v19, 1, v19
	v_cndmask_b32_e32 v15, v10, v15, vcc
	v_add_lshl_u32 v19, v19, v9, 2
	ds_bpermute_b32 v21, v19, v15
	v_add_u32_e32 v20, 2, v17
	v_add_u32_e32 v34, 4, v17
	;; [unrolled: 1-line block ×4, first 2 shown]
	s_waitcnt lgkmcnt(0)
	v_cmp_gt_f32_e64 s[6:7], v15, v21
	v_cndmask_b32_e64 v21, v21, v15, s[6:7]
	v_cmp_gt_u32_e64 s[6:7], v20, v14
	v_cndmask_b32_e64 v15, v21, v15, s[6:7]
	v_cmp_gt_u32_e64 s[6:7], 60, v17
	v_cndmask_b32_e64 v21, 0, 1, s[6:7]
	v_lshlrev_b32_e32 v21, 2, v21
	v_add_lshl_u32 v21, v21, v9, 2
	ds_bpermute_b32 v35, v21, v15
	v_add_u32_e32 v41, 32, v17
	s_waitcnt lgkmcnt(0)
	v_cmp_gt_f32_e64 s[6:7], v15, v35
	v_cndmask_b32_e64 v35, v35, v15, s[6:7]
	v_cmp_gt_u32_e64 s[6:7], v34, v14
	v_cndmask_b32_e64 v15, v35, v15, s[6:7]
	v_cmp_gt_u32_e64 s[6:7], 56, v17
	v_cndmask_b32_e64 v35, 0, 1, s[6:7]
	v_lshlrev_b32_e32 v35, 3, v35
	v_add_lshl_u32 v35, v35, v9, 2
	ds_bpermute_b32 v37, v35, v15
	s_waitcnt lgkmcnt(0)
	v_cmp_gt_f32_e64 s[6:7], v15, v37
	v_cndmask_b32_e64 v37, v37, v15, s[6:7]
	v_cmp_gt_u32_e64 s[6:7], v36, v14
	v_cndmask_b32_e64 v15, v37, v15, s[6:7]
	v_cmp_gt_u32_e64 s[6:7], 48, v17
	v_cndmask_b32_e64 v37, 0, 1, s[6:7]
	v_lshlrev_b32_e32 v37, 4, v37
	v_add_lshl_u32 v37, v37, v9, 2
	ds_bpermute_b32 v38, v37, v15
	;; [unrolled: 10-line block ×3, first 2 shown]
	v_cmp_gt_u32_e64 s[6:7], v41, v14
	s_waitcnt lgkmcnt(0)
	v_cmp_gt_f32_e64 s[8:9], v15, v9
	s_or_b64 s[6:7], s[6:7], s[8:9]
	v_cndmask_b32_e64 v9, v9, v15, s[6:7]
	v_cndmask_b32_e32 v10, v10, v9, vcc
	v_mov_b32_e32 v9, 0
	s_branch .LBB3190_50
.LBB3190_49:                            ;   in Loop: Header=BB3190_50 Depth=1
	s_or_b64 exec, exec, s[6:7]
	v_cmp_eq_u16_sdwa s[6:7], v11, v7 src0_sel:BYTE_0 src1_sel:DWORD
	ds_bpermute_b32 v42, v18, v10
	v_and_b32_e32 v14, s7, v13
	v_or_b32_e32 v14, 0x80000000, v14
	v_and_b32_e32 v15, s6, v12
	v_ffbl_b32_e32 v14, v14
	v_add_u32_e32 v14, 32, v14
	v_ffbl_b32_e32 v15, v15
	v_min_u32_e32 v14, v15, v14
	s_waitcnt lgkmcnt(0)
	v_cmp_lt_f32_e32 vcc, v42, v10
	v_cndmask_b32_e32 v15, v42, v10, vcc
	v_cmp_lt_u32_e32 vcc, v17, v14
	v_cndmask_b32_e32 v15, v10, v15, vcc
	ds_bpermute_b32 v42, v19, v15
	v_subrev_u32_e32 v8, 64, v8
	s_waitcnt lgkmcnt(0)
	v_cmp_gt_f32_e64 s[6:7], v15, v42
	v_cndmask_b32_e64 v42, v42, v15, s[6:7]
	v_cmp_gt_u32_e64 s[6:7], v20, v14
	v_cndmask_b32_e64 v15, v42, v15, s[6:7]
	ds_bpermute_b32 v42, v21, v15
	s_waitcnt lgkmcnt(0)
	v_cmp_gt_f32_e64 s[6:7], v15, v42
	v_cndmask_b32_e64 v42, v42, v15, s[6:7]
	v_cmp_gt_u32_e64 s[6:7], v34, v14
	v_cndmask_b32_e64 v15, v42, v15, s[6:7]
	ds_bpermute_b32 v42, v35, v15
	;; [unrolled: 6-line block ×4, first 2 shown]
	v_cmp_gt_u32_e64 s[6:7], v41, v14
	s_waitcnt lgkmcnt(0)
	v_cmp_gt_f32_e64 s[8:9], v15, v42
	s_or_b64 s[6:7], s[6:7], s[8:9]
	v_cndmask_b32_e64 v14, v42, v15, s[6:7]
	v_cndmask_b32_e32 v10, v10, v14, vcc
	v_cmp_lt_f32_e32 vcc, v10, v38
	v_cndmask_b32_e32 v10, v10, v38, vcc
.LBB3190_50:                            ; =>This Loop Header: Depth=1
                                        ;     Child Loop BB3190_53 Depth 2
	v_cmp_ne_u16_sdwa s[6:7], v11, v7 src0_sel:BYTE_0 src1_sel:DWORD
	v_cndmask_b32_e64 v11, 0, 1, s[6:7]
	;;#ASMSTART
	;;#ASMEND
	v_cmp_ne_u32_e32 vcc, 0, v11
	s_cmp_lg_u64 vcc, exec
	v_mov_b32_e32 v38, v10
	s_cbranch_scc1 .LBB3190_55
; %bb.51:                               ;   in Loop: Header=BB3190_50 Depth=1
	v_lshlrev_b64 v[10:11], 3, v[8:9]
	v_mov_b32_e32 v15, s21
	v_add_co_u32_e32 v14, vcc, s20, v10
	v_addc_co_u32_e32 v15, vcc, v15, v11, vcc
	global_load_dwordx2 v[10:11], v[14:15], off glc
	s_waitcnt vmcnt(0)
	v_cmp_eq_u16_sdwa s[8:9], v11, v9 src0_sel:BYTE_0 src1_sel:DWORD
	s_and_saveexec_b64 s[6:7], s[8:9]
	s_cbranch_execz .LBB3190_49
; %bb.52:                               ;   in Loop: Header=BB3190_50 Depth=1
	s_mov_b64 s[8:9], 0
.LBB3190_53:                            ;   Parent Loop BB3190_50 Depth=1
                                        ; =>  This Inner Loop Header: Depth=2
	global_load_dwordx2 v[10:11], v[14:15], off glc
	s_waitcnt vmcnt(0)
	v_cmp_ne_u16_sdwa s[24:25], v11, v9 src0_sel:BYTE_0 src1_sel:DWORD
	s_or_b64 s[8:9], s[24:25], s[8:9]
	s_andn2_b64 exec, exec, s[8:9]
	s_cbranch_execnz .LBB3190_53
; %bb.54:                               ;   in Loop: Header=BB3190_50 Depth=1
	s_or_b64 exec, exec, s[8:9]
	s_branch .LBB3190_49
.LBB3190_55:                            ;   in Loop: Header=BB3190_50 Depth=1
                                        ; implicit-def: $vgpr10
                                        ; implicit-def: $vgpr11
	s_cbranch_execz .LBB3190_50
; %bb.56:
	s_and_saveexec_b64 s[6:7], s[4:5]
	s_cbranch_execz .LBB3190_58
; %bb.57:
	s_add_i32 s4, s28, 64
	s_mov_b32 s5, 0
	s_lshl_b64 s[4:5], s[4:5], 3
	v_cmp_lt_f32_e32 vcc, v38, v6
	s_add_u32 s4, s20, s4
	v_cndmask_b32_e32 v6, v38, v6, vcc
	v_mov_b32_e32 v7, 2
	s_addc_u32 s5, s21, s5
	v_mov_b32_e32 v8, 0
	global_store_dwordx2 v8, v[6:7], s[4:5]
.LBB3190_58:
	s_or_b64 exec, exec, s[6:7]
	s_and_b64 exec, exec, s[2:3]
	s_cbranch_execz .LBB3190_60
; %bb.59:
	v_mov_b32_e32 v6, 0
	ds_write_b32 v6, v38
.LBB3190_60:
	s_or_b64 exec, exec, s[10:11]
	v_mov_b32_e32 v6, 0
	s_waitcnt lgkmcnt(0)
	s_barrier
	ds_read_b32 v6, v6
	v_cmp_lt_f32_e32 vcc, v16, v2
	s_or_b64 vcc, s[2:3], vcc
	v_cndmask_b32_e32 v7, v16, v2, vcc
	s_waitcnt lgkmcnt(0)
	v_cmp_lt_f32_e32 vcc, v6, v7
	v_cndmask_b32_e32 v6, v6, v7, vcc
	v_cmp_lt_f32_e32 vcc, v6, v3
	v_cndmask_b32_e32 v7, v6, v3, vcc
	;; [unrolled: 2-line block ×14, first 2 shown]
	s_branch .LBB3190_73
.LBB3190_61:
                                        ; implicit-def: $vgpr6_vgpr7_vgpr8_vgpr9_vgpr10_vgpr11_vgpr12_vgpr13_vgpr14_vgpr15_vgpr16_vgpr17_vgpr18_vgpr19_vgpr20_vgpr21
	s_cbranch_execz .LBB3190_73
; %bb.62:
	s_cmp_lg_u64 s[16:17], 0
	s_cselect_b64 s[4:5], -1, 0
	s_and_b64 s[6:7], s[2:3], s[4:5]
	s_and_saveexec_b64 s[4:5], s[6:7]
	s_cbranch_execz .LBB3190_64
; %bb.63:
	v_mov_b32_e32 v6, 0
	global_load_dword v6, v6, s[12:13]
	s_waitcnt vmcnt(0)
	v_cmp_lt_f32_e32 vcc, v6, v2
	v_cndmask_b32_e32 v2, v6, v2, vcc
.LBB3190_64:
	s_or_b64 exec, exec, s[4:5]
	v_cmp_lt_f32_e32 vcc, v2, v3
	v_cndmask_b32_e32 v6, v2, v3, vcc
	v_cmp_lt_f32_e32 vcc, v6, v4
	v_cndmask_b32_e32 v6, v6, v4, vcc
	;; [unrolled: 2-line block ×13, first 2 shown]
	v_add_lshl_u32 v1, v1, v0, 2
	v_cmp_gt_u32_e32 vcc, 64, v0
	ds_write_b32 v1, v6
	s_waitcnt lgkmcnt(0)
	s_barrier
	s_and_saveexec_b64 s[10:11], vcc
	s_cbranch_execz .LBB3190_66
; %bb.65:
	v_lshlrev_b32_e32 v1, 1, v0
	v_lshrrev_b32_e32 v7, 4, v0
	v_add_lshl_u32 v1, v7, v1, 2
	ds_read2_b32 v[8:9], v1 offset1:1
	v_mbcnt_lo_u32_b32 v7, -1, 0
	v_mbcnt_hi_u32_b32 v7, -1, v7
	v_and_b32_e32 v10, 15, v7
	v_cmp_lt_u32_e64 s[8:9], 31, v7
	s_waitcnt lgkmcnt(0)
	v_cmp_lt_f32_e32 vcc, v8, v9
	v_cndmask_b32_e32 v9, v8, v9, vcc
	v_cmp_gt_u32_e64 s[6:7], 32, v7
	s_nop 0
	v_mov_b32_dpp v11, v9 row_shr:1 row_mask:0xf bank_mask:0xf
	v_cmp_gt_f32_e32 vcc, v9, v11
	v_cndmask_b32_e32 v11, v11, v9, vcc
	v_cmp_eq_u32_e32 vcc, 0, v10
	v_cndmask_b32_e32 v9, v11, v9, vcc
	; wave barrier
	s_nop 1
	v_mov_b32_dpp v11, v9 row_shr:2 row_mask:0xf bank_mask:0xf
	v_cmp_gt_f32_e32 vcc, v9, v11
	v_cndmask_b32_e32 v11, v11, v9, vcc
	v_cmp_lt_u32_e32 vcc, 1, v10
	v_cndmask_b32_e32 v11, v9, v11, vcc
	s_nop 1
	v_mov_b32_dpp v12, v11 row_shr:4 row_mask:0xf bank_mask:0xf
	v_cmp_gt_f32_e64 s[4:5], v11, v12
	v_cndmask_b32_e64 v12, v12, v11, s[4:5]
	v_cmp_lt_u32_e64 s[4:5], 3, v10
	v_cndmask_b32_e64 v11, v11, v12, s[4:5]
	s_nop 1
	v_mov_b32_dpp v12, v11 row_shr:8 row_mask:0xf bank_mask:0xf
	v_cmp_gt_f32_e64 s[4:5], v11, v12
	v_cndmask_b32_e64 v12, v12, v11, s[4:5]
	v_cmp_lt_u32_e64 s[4:5], 7, v10
	v_cndmask_b32_e64 v10, v11, v12, s[4:5]
	v_and_b32_e32 v12, 16, v7
	s_nop 0
	v_mov_b32_dpp v11, v10 row_bcast:15 row_mask:0xf bank_mask:0xf
	v_cmp_gt_f32_e64 s[4:5], v10, v11
	v_cndmask_b32_e64 v11, v11, v10, s[4:5]
	v_cmp_ne_u32_e64 s[4:5], 0, v12
	v_cndmask_b32_e64 v10, v10, v11, s[4:5]
	s_or_b64 s[8:9], s[4:5], s[8:9]
	s_or_b64 vcc, vcc, s[8:9]
	v_mov_b32_dpp v11, v10 row_bcast:31 row_mask:0xf bank_mask:0xf
	v_cmp_gt_f32_e64 s[4:5], v10, v11
	s_or_b64 s[4:5], s[6:7], s[4:5]
	v_cndmask_b32_e64 v10, v11, v10, s[4:5]
	v_cndmask_b32_e32 v9, v9, v10, vcc
	v_add_u32_e32 v10, -1, v7
	v_and_b32_e32 v11, 64, v7
	v_cmp_lt_i32_e32 vcc, v10, v11
	v_cndmask_b32_e32 v7, v10, v7, vcc
	v_lshlrev_b32_e32 v7, 2, v7
	ds_bpermute_b32 v7, v7, v9
	s_waitcnt lgkmcnt(0)
	v_cmp_gt_f32_e32 vcc, v8, v7
	v_cndmask_b32_e32 v7, v7, v8, vcc
	v_cndmask_b32_e64 v7, v7, v6, s[2:3]
	ds_write_b32 v1, v7
	; wave barrier
	ds_read_b32 v8, v1 offset:4
	s_waitcnt lgkmcnt(0)
	v_cmp_lt_f32_e32 vcc, v7, v8
	v_cndmask_b32_e32 v7, v7, v8, vcc
	ds_write_b32 v1, v7 offset:4
.LBB3190_66:
	s_or_b64 exec, exec, s[10:11]
	s_waitcnt lgkmcnt(0)
	s_barrier
	s_and_saveexec_b64 s[2:3], s[0:1]
	s_cbranch_execz .LBB3190_68
; %bb.67:
	v_add_u32_e32 v1, -1, v0
	v_lshrrev_b32_e32 v6, 5, v1
	v_add_lshl_u32 v1, v6, v1, 2
	ds_read_b32 v6, v1
.LBB3190_68:
	s_or_b64 exec, exec, s[2:3]
	s_and_saveexec_b64 s[2:3], s[0:1]
	s_cbranch_execz .LBB3190_70
; %bb.69:
	s_waitcnt lgkmcnt(0)
	v_cmp_gt_f32_e32 vcc, v2, v6
	v_cndmask_b32_e32 v2, v6, v2, vcc
	;;#ASMSTART
	;;#ASMEND
.LBB3190_70:
	s_or_b64 exec, exec, s[2:3]
	v_cmp_gt_f32_e32 vcc, v3, v2
	v_cndmask_b32_e32 v3, v2, v3, vcc
	v_cmp_lt_f32_e32 vcc, v3, v4
	v_cndmask_b32_e32 v4, v3, v4, vcc
	v_cmp_lt_f32_e32 vcc, v4, v5
	;; [unrolled: 2-line block ×3, first 2 shown]
	s_waitcnt lgkmcnt(0)
	v_cndmask_b32_e32 v6, v5, v26, vcc
	v_cmp_lt_f32_e32 vcc, v6, v27
	v_cndmask_b32_e32 v7, v6, v27, vcc
	v_cmp_lt_f32_e32 vcc, v7, v28
	;; [unrolled: 2-line block ×9, first 2 shown]
	s_movk_i32 s0, 0x7f
	v_cndmask_b32_e32 v15, v14, v31, vcc
	v_cmp_eq_u32_e32 vcc, s0, v0
	s_and_saveexec_b64 s[0:1], vcc
	s_cbranch_execz .LBB3190_72
; %bb.71:
	v_mov_b32_e32 v1, 0
	v_mov_b32_e32 v17, 2
	;; [unrolled: 1-line block ×3, first 2 shown]
	global_store_dwordx2 v1, v[16:17], s[20:21] offset:512
.LBB3190_72:
	s_or_b64 exec, exec, s[0:1]
	v_pk_mov_b32 v[20:21], v[16:17], v[16:17] op_sel:[0,1]
	v_pk_mov_b32 v[18:19], v[14:15], v[14:15] op_sel:[0,1]
	;; [unrolled: 1-line block ×8, first 2 shown]
.LBB3190_73:
	s_mov_b64 s[0:1], -1
	s_and_b64 vcc, exec, s[22:23]
	s_barrier
	ds_write2_b64 v33, v[6:7], v[8:9] offset1:1
	ds_write2_b64 v33, v[10:11], v[12:13] offset0:2 offset1:3
	ds_write2_b64 v33, v[14:15], v[16:17] offset0:4 offset1:5
	ds_write_b64 v33, v[18:19] offset:48
	s_waitcnt lgkmcnt(0)
	s_cbranch_vccz .LBB3190_75
; %bb.74:
	s_barrier
	s_mov_b64 s[0:1], 0
.LBB3190_75:
	s_andn2_b64 vcc, exec, s[0:1]
	s_cbranch_vccnz .LBB3190_127
; %bb.76:
	v_cmp_lt_u64_e64 s[0:1], s[18:19], 2
	s_and_b64 vcc, exec, s[0:1]
	s_barrier
	s_cbranch_vccnz .LBB3190_127
; %bb.77:
	s_add_u32 s0, s26, -1
	s_addc_u32 s1, s27, -1
	s_add_u32 s2, 0, 0x49240800
	s_addc_u32 s3, 0, 50
	s_add_i32 s3, s3, 0x12492460
	s_mul_hi_u32 s7, s2, -14
	s_sub_i32 s7, s7, s2
	s_mul_i32 s8, s3, -14
	s_mul_i32 s4, s2, -14
	s_add_i32 s7, s7, s8
	s_mul_hi_u32 s5, s3, s4
	s_mul_i32 s6, s3, s4
	s_mul_i32 s9, s2, s7
	s_mul_hi_u32 s4, s2, s4
	s_mul_hi_u32 s8, s2, s7
	s_add_u32 s4, s4, s9
	s_addc_u32 s8, 0, s8
	s_add_u32 s4, s4, s6
	s_mul_hi_u32 s9, s3, s7
	s_addc_u32 s4, s8, s5
	s_addc_u32 s5, s9, 0
	s_mul_i32 s6, s3, s7
	s_add_u32 s4, s4, s6
	v_mov_b32_e32 v2, s4
	s_addc_u32 s5, 0, s5
	v_add_co_u32_e32 v2, vcc, s2, v2
	s_cmp_lg_u64 vcc, 0
	s_addc_u32 s2, s3, s5
	v_readfirstlane_b32 s5, v2
	s_mul_i32 s4, s0, s2
	s_mul_hi_u32 s6, s0, s5
	s_mul_hi_u32 s3, s0, s2
	s_add_u32 s4, s6, s4
	s_addc_u32 s3, 0, s3
	s_mul_hi_u32 s7, s1, s5
	s_mul_i32 s5, s1, s5
	s_add_u32 s4, s4, s5
	s_mul_hi_u32 s6, s1, s2
	s_addc_u32 s3, s3, s7
	s_addc_u32 s4, s6, 0
	s_mul_i32 s2, s1, s2
	s_add_u32 s2, s3, s2
	s_addc_u32 s3, 0, s4
	s_add_u32 s4, s2, 1
	s_addc_u32 s5, s3, 0
	s_add_u32 s6, s2, 2
	s_mul_i32 s8, s3, 14
	s_mul_hi_u32 s9, s2, 14
	s_addc_u32 s7, s3, 0
	s_add_i32 s9, s9, s8
	s_mul_i32 s8, s2, 14
	v_mov_b32_e32 v2, s8
	v_sub_co_u32_e32 v2, vcc, s0, v2
	s_cmp_lg_u64 vcc, 0
	s_subb_u32 s8, s1, s9
	v_subrev_co_u32_e32 v3, vcc, 14, v2
	s_cmp_lg_u64 vcc, 0
	s_subb_u32 s9, s8, 0
	v_readfirstlane_b32 s10, v3
	s_cmp_gt_u32 s10, 13
	s_cselect_b32 s10, -1, 0
	s_cmp_eq_u32 s9, 0
	s_cselect_b32 s9, s10, -1
	s_cmp_lg_u32 s9, 0
	s_cselect_b32 s4, s6, s4
	v_readfirstlane_b32 s6, v2
	s_cselect_b32 s5, s7, s5
	s_cmp_gt_u32 s6, 13
	s_cselect_b32 s6, -1, 0
	s_cmp_eq_u32 s8, 0
	s_cselect_b32 s6, s6, -1
	s_cmp_lg_u32 s6, 0
	v_mov_b32_e32 v1, 0
	s_cselect_b32 s3, s5, s3
	s_cselect_b32 s2, s4, s2
	v_cmp_eq_u64_e32 vcc, s[2:3], v[0:1]
	s_and_saveexec_b64 s[2:3], vcc
	s_cbranch_execz .LBB3190_127
; %bb.78:
	s_movk_i32 s2, 0xffcc
	v_mad_i32_i24 v2, v0, s2, v33
	v_mul_hi_u32_u24_e32 v1, 14, v0
	v_mov_b32_e32 v3, s1
	v_sub_co_u32_e32 v0, vcc, s0, v32
	v_subb_co_u32_e32 v1, vcc, v3, v1, vcc
	v_cmp_lt_i64_e32 vcc, 6, v[0:1]
	s_and_saveexec_b64 s[0:1], vcc
	s_xor_b64 s[0:1], exec, s[0:1]
	s_cbranch_execz .LBB3190_104
; %bb.79:
	v_cmp_lt_i64_e32 vcc, 9, v[0:1]
	s_and_saveexec_b64 s[2:3], vcc
	s_xor_b64 s[2:3], exec, s[2:3]
	s_cbranch_execz .LBB3190_93
; %bb.80:
	;; [unrolled: 5-line block ×4, first 2 shown]
	ds_read_b32 v0, v2 offset:6656
	v_mov_b32_e32 v1, 0
                                        ; implicit-def: $vgpr2
	s_waitcnt lgkmcnt(0)
	global_store_dword v1, v0, s[14:15]
.LBB3190_83:
	s_andn2_saveexec_b64 s[6:7], s[6:7]
	s_cbranch_execz .LBB3190_85
; %bb.84:
	ds_read_b32 v0, v2 offset:6144
	v_mov_b32_e32 v1, 0
	s_waitcnt lgkmcnt(0)
	global_store_dword v1, v0, s[14:15]
.LBB3190_85:
	s_or_b64 exec, exec, s[6:7]
                                        ; implicit-def: $vgpr2
                                        ; implicit-def: $vgpr0_vgpr1
.LBB3190_86:
	s_andn2_saveexec_b64 s[4:5], s[4:5]
	s_cbranch_execz .LBB3190_92
; %bb.87:
	v_cmp_lt_i64_e32 vcc, 10, v[0:1]
	s_and_saveexec_b64 s[6:7], vcc
	s_xor_b64 s[6:7], exec, s[6:7]
	s_cbranch_execz .LBB3190_89
; %bb.88:
	ds_read_b32 v0, v2 offset:5632
	v_mov_b32_e32 v1, 0
                                        ; implicit-def: $vgpr2
	s_waitcnt lgkmcnt(0)
	global_store_dword v1, v0, s[14:15]
.LBB3190_89:
	s_andn2_saveexec_b64 s[6:7], s[6:7]
	s_cbranch_execz .LBB3190_91
; %bb.90:
	ds_read_b32 v0, v2 offset:5120
	v_mov_b32_e32 v1, 0
	s_waitcnt lgkmcnt(0)
	global_store_dword v1, v0, s[14:15]
.LBB3190_91:
	s_or_b64 exec, exec, s[6:7]
.LBB3190_92:
	s_or_b64 exec, exec, s[4:5]
                                        ; implicit-def: $vgpr2
                                        ; implicit-def: $vgpr0_vgpr1
.LBB3190_93:
	s_andn2_saveexec_b64 s[2:3], s[2:3]
	s_cbranch_execz .LBB3190_103
; %bb.94:
	v_cmp_lt_i64_e32 vcc, 7, v[0:1]
	s_and_saveexec_b64 s[4:5], vcc
	s_xor_b64 s[4:5], exec, s[4:5]
	s_cbranch_execz .LBB3190_100
; %bb.95:
	v_cmp_lt_i64_e32 vcc, 8, v[0:1]
	s_and_saveexec_b64 s[6:7], vcc
	s_xor_b64 s[6:7], exec, s[6:7]
	s_cbranch_execz .LBB3190_97
; %bb.96:
	ds_read_b32 v0, v2 offset:4608
	v_mov_b32_e32 v1, 0
                                        ; implicit-def: $vgpr2
	s_waitcnt lgkmcnt(0)
	global_store_dword v1, v0, s[14:15]
.LBB3190_97:
	s_andn2_saveexec_b64 s[6:7], s[6:7]
	s_cbranch_execz .LBB3190_99
; %bb.98:
	ds_read_b32 v0, v2 offset:4096
	v_mov_b32_e32 v1, 0
	s_waitcnt lgkmcnt(0)
	global_store_dword v1, v0, s[14:15]
.LBB3190_99:
	s_or_b64 exec, exec, s[6:7]
                                        ; implicit-def: $vgpr2
.LBB3190_100:
	s_andn2_saveexec_b64 s[4:5], s[4:5]
	s_cbranch_execz .LBB3190_102
; %bb.101:
	ds_read_b32 v0, v2 offset:3584
	v_mov_b32_e32 v1, 0
	s_waitcnt lgkmcnt(0)
	global_store_dword v1, v0, s[14:15]
.LBB3190_102:
	s_or_b64 exec, exec, s[4:5]
.LBB3190_103:
	s_or_b64 exec, exec, s[2:3]
                                        ; implicit-def: $vgpr0_vgpr1
                                        ; implicit-def: $vgpr2
.LBB3190_104:
	s_andn2_saveexec_b64 s[0:1], s[0:1]
	s_cbranch_execz .LBB3190_127
; %bb.105:
	v_cmp_lt_i64_e32 vcc, 3, v[0:1]
	s_and_saveexec_b64 s[0:1], vcc
	s_xor_b64 s[0:1], exec, s[0:1]
	s_cbranch_execz .LBB3190_115
; %bb.106:
	v_cmp_lt_i64_e32 vcc, 4, v[0:1]
	s_and_saveexec_b64 s[2:3], vcc
	s_xor_b64 s[2:3], exec, s[2:3]
	s_cbranch_execz .LBB3190_112
; %bb.107:
	v_cmp_lt_i64_e32 vcc, 5, v[0:1]
	s_and_saveexec_b64 s[4:5], vcc
	s_xor_b64 s[4:5], exec, s[4:5]
	s_cbranch_execz .LBB3190_109
; %bb.108:
	ds_read_b32 v0, v2 offset:3072
	v_mov_b32_e32 v1, 0
                                        ; implicit-def: $vgpr2
	s_waitcnt lgkmcnt(0)
	global_store_dword v1, v0, s[14:15]
.LBB3190_109:
	s_andn2_saveexec_b64 s[4:5], s[4:5]
	s_cbranch_execz .LBB3190_111
; %bb.110:
	ds_read_b32 v0, v2 offset:2560
	v_mov_b32_e32 v1, 0
	s_waitcnt lgkmcnt(0)
	global_store_dword v1, v0, s[14:15]
.LBB3190_111:
	s_or_b64 exec, exec, s[4:5]
                                        ; implicit-def: $vgpr2
.LBB3190_112:
	s_andn2_saveexec_b64 s[2:3], s[2:3]
	s_cbranch_execz .LBB3190_114
; %bb.113:
	ds_read_b32 v0, v2 offset:2048
	v_mov_b32_e32 v1, 0
	s_waitcnt lgkmcnt(0)
	global_store_dword v1, v0, s[14:15]
.LBB3190_114:
	s_or_b64 exec, exec, s[2:3]
                                        ; implicit-def: $vgpr0_vgpr1
                                        ; implicit-def: $vgpr2
.LBB3190_115:
	s_andn2_saveexec_b64 s[0:1], s[0:1]
	s_cbranch_execz .LBB3190_127
; %bb.116:
	v_cmp_lt_i64_e32 vcc, 1, v[0:1]
	s_and_saveexec_b64 s[0:1], vcc
	s_xor_b64 s[0:1], exec, s[0:1]
	s_cbranch_execz .LBB3190_122
; %bb.117:
	v_cmp_lt_i64_e32 vcc, 2, v[0:1]
	s_and_saveexec_b64 s[2:3], vcc
	s_xor_b64 s[2:3], exec, s[2:3]
	s_cbranch_execz .LBB3190_119
; %bb.118:
	ds_read_b32 v0, v2 offset:1536
	v_mov_b32_e32 v1, 0
                                        ; implicit-def: $vgpr2
	s_waitcnt lgkmcnt(0)
	global_store_dword v1, v0, s[14:15]
.LBB3190_119:
	s_andn2_saveexec_b64 s[2:3], s[2:3]
	s_cbranch_execz .LBB3190_121
; %bb.120:
	ds_read_b32 v0, v2 offset:1024
	v_mov_b32_e32 v1, 0
	s_waitcnt lgkmcnt(0)
	global_store_dword v1, v0, s[14:15]
.LBB3190_121:
	s_or_b64 exec, exec, s[2:3]
                                        ; implicit-def: $vgpr2
                                        ; implicit-def: $vgpr0_vgpr1
.LBB3190_122:
	s_andn2_saveexec_b64 s[0:1], s[0:1]
	s_cbranch_execz .LBB3190_127
; %bb.123:
	v_cmp_ne_u64_e32 vcc, 1, v[0:1]
	s_and_saveexec_b64 s[0:1], vcc
	s_xor_b64 s[0:1], exec, s[0:1]
	s_cbranch_execz .LBB3190_125
; %bb.124:
	ds_read_b32 v0, v2
	v_mov_b32_e32 v1, 0
                                        ; implicit-def: $vgpr2
	s_waitcnt lgkmcnt(0)
	global_store_dword v1, v0, s[14:15]
.LBB3190_125:
	s_andn2_saveexec_b64 s[0:1], s[0:1]
	s_cbranch_execz .LBB3190_127
; %bb.126:
	ds_read_b32 v0, v2 offset:512
	v_mov_b32_e32 v1, 0
	s_waitcnt lgkmcnt(0)
	global_store_dword v1, v0, s[14:15]
.LBB3190_127:
	s_endpgm
	.section	.rodata,"a",@progbits
	.p2align	6, 0x0
	.amdhsa_kernel _ZN7rocprim17ROCPRIM_400000_NS6detail17trampoline_kernelINS0_14default_configENS1_20scan_config_selectorIfEEZZNS1_9scan_implILNS1_25lookback_scan_determinismE0ELb0ELb0ES3_N6thrust23THRUST_200600_302600_NS6detail15normal_iteratorINS9_10device_ptrIfEEEENS9_16discard_iteratorINS9_11use_defaultEEEf11max_functorIfEfEEDaPvRmT3_T4_T5_mT6_P12ihipStream_tbENKUlT_T0_E_clISt17integral_constantIbLb0EESW_IbLb1EEEEDaSS_ST_EUlSS_E_NS1_11comp_targetILNS1_3genE4ELNS1_11target_archE910ELNS1_3gpuE8ELNS1_3repE0EEENS1_30default_config_static_selectorELNS0_4arch9wavefront6targetE1EEEvT1_
		.amdhsa_group_segment_fixed_size 7168
		.amdhsa_private_segment_fixed_size 0
		.amdhsa_kernarg_size 104
		.amdhsa_user_sgpr_count 6
		.amdhsa_user_sgpr_private_segment_buffer 1
		.amdhsa_user_sgpr_dispatch_ptr 0
		.amdhsa_user_sgpr_queue_ptr 0
		.amdhsa_user_sgpr_kernarg_segment_ptr 1
		.amdhsa_user_sgpr_dispatch_id 0
		.amdhsa_user_sgpr_flat_scratch_init 0
		.amdhsa_user_sgpr_kernarg_preload_length 0
		.amdhsa_user_sgpr_kernarg_preload_offset 0
		.amdhsa_user_sgpr_private_segment_size 0
		.amdhsa_uses_dynamic_stack 0
		.amdhsa_system_sgpr_private_segment_wavefront_offset 0
		.amdhsa_system_sgpr_workgroup_id_x 1
		.amdhsa_system_sgpr_workgroup_id_y 0
		.amdhsa_system_sgpr_workgroup_id_z 0
		.amdhsa_system_sgpr_workgroup_info 0
		.amdhsa_system_vgpr_workitem_id 0
		.amdhsa_next_free_vgpr 43
		.amdhsa_next_free_sgpr 29
		.amdhsa_accum_offset 44
		.amdhsa_reserve_vcc 1
		.amdhsa_reserve_flat_scratch 0
		.amdhsa_float_round_mode_32 0
		.amdhsa_float_round_mode_16_64 0
		.amdhsa_float_denorm_mode_32 3
		.amdhsa_float_denorm_mode_16_64 3
		.amdhsa_dx10_clamp 1
		.amdhsa_ieee_mode 1
		.amdhsa_fp16_overflow 0
		.amdhsa_tg_split 0
		.amdhsa_exception_fp_ieee_invalid_op 0
		.amdhsa_exception_fp_denorm_src 0
		.amdhsa_exception_fp_ieee_div_zero 0
		.amdhsa_exception_fp_ieee_overflow 0
		.amdhsa_exception_fp_ieee_underflow 0
		.amdhsa_exception_fp_ieee_inexact 0
		.amdhsa_exception_int_div_zero 0
	.end_amdhsa_kernel
	.section	.text._ZN7rocprim17ROCPRIM_400000_NS6detail17trampoline_kernelINS0_14default_configENS1_20scan_config_selectorIfEEZZNS1_9scan_implILNS1_25lookback_scan_determinismE0ELb0ELb0ES3_N6thrust23THRUST_200600_302600_NS6detail15normal_iteratorINS9_10device_ptrIfEEEENS9_16discard_iteratorINS9_11use_defaultEEEf11max_functorIfEfEEDaPvRmT3_T4_T5_mT6_P12ihipStream_tbENKUlT_T0_E_clISt17integral_constantIbLb0EESW_IbLb1EEEEDaSS_ST_EUlSS_E_NS1_11comp_targetILNS1_3genE4ELNS1_11target_archE910ELNS1_3gpuE8ELNS1_3repE0EEENS1_30default_config_static_selectorELNS0_4arch9wavefront6targetE1EEEvT1_,"axG",@progbits,_ZN7rocprim17ROCPRIM_400000_NS6detail17trampoline_kernelINS0_14default_configENS1_20scan_config_selectorIfEEZZNS1_9scan_implILNS1_25lookback_scan_determinismE0ELb0ELb0ES3_N6thrust23THRUST_200600_302600_NS6detail15normal_iteratorINS9_10device_ptrIfEEEENS9_16discard_iteratorINS9_11use_defaultEEEf11max_functorIfEfEEDaPvRmT3_T4_T5_mT6_P12ihipStream_tbENKUlT_T0_E_clISt17integral_constantIbLb0EESW_IbLb1EEEEDaSS_ST_EUlSS_E_NS1_11comp_targetILNS1_3genE4ELNS1_11target_archE910ELNS1_3gpuE8ELNS1_3repE0EEENS1_30default_config_static_selectorELNS0_4arch9wavefront6targetE1EEEvT1_,comdat
.Lfunc_end3190:
	.size	_ZN7rocprim17ROCPRIM_400000_NS6detail17trampoline_kernelINS0_14default_configENS1_20scan_config_selectorIfEEZZNS1_9scan_implILNS1_25lookback_scan_determinismE0ELb0ELb0ES3_N6thrust23THRUST_200600_302600_NS6detail15normal_iteratorINS9_10device_ptrIfEEEENS9_16discard_iteratorINS9_11use_defaultEEEf11max_functorIfEfEEDaPvRmT3_T4_T5_mT6_P12ihipStream_tbENKUlT_T0_E_clISt17integral_constantIbLb0EESW_IbLb1EEEEDaSS_ST_EUlSS_E_NS1_11comp_targetILNS1_3genE4ELNS1_11target_archE910ELNS1_3gpuE8ELNS1_3repE0EEENS1_30default_config_static_selectorELNS0_4arch9wavefront6targetE1EEEvT1_, .Lfunc_end3190-_ZN7rocprim17ROCPRIM_400000_NS6detail17trampoline_kernelINS0_14default_configENS1_20scan_config_selectorIfEEZZNS1_9scan_implILNS1_25lookback_scan_determinismE0ELb0ELb0ES3_N6thrust23THRUST_200600_302600_NS6detail15normal_iteratorINS9_10device_ptrIfEEEENS9_16discard_iteratorINS9_11use_defaultEEEf11max_functorIfEfEEDaPvRmT3_T4_T5_mT6_P12ihipStream_tbENKUlT_T0_E_clISt17integral_constantIbLb0EESW_IbLb1EEEEDaSS_ST_EUlSS_E_NS1_11comp_targetILNS1_3genE4ELNS1_11target_archE910ELNS1_3gpuE8ELNS1_3repE0EEENS1_30default_config_static_selectorELNS0_4arch9wavefront6targetE1EEEvT1_
                                        ; -- End function
	.section	.AMDGPU.csdata,"",@progbits
; Kernel info:
; codeLenInByte = 5524
; NumSgprs: 33
; NumVgprs: 43
; NumAgprs: 0
; TotalNumVgprs: 43
; ScratchSize: 0
; MemoryBound: 0
; FloatMode: 240
; IeeeMode: 1
; LDSByteSize: 7168 bytes/workgroup (compile time only)
; SGPRBlocks: 4
; VGPRBlocks: 5
; NumSGPRsForWavesPerEU: 33
; NumVGPRsForWavesPerEU: 43
; AccumOffset: 44
; Occupancy: 5
; WaveLimiterHint : 1
; COMPUTE_PGM_RSRC2:SCRATCH_EN: 0
; COMPUTE_PGM_RSRC2:USER_SGPR: 6
; COMPUTE_PGM_RSRC2:TRAP_HANDLER: 0
; COMPUTE_PGM_RSRC2:TGID_X_EN: 1
; COMPUTE_PGM_RSRC2:TGID_Y_EN: 0
; COMPUTE_PGM_RSRC2:TGID_Z_EN: 0
; COMPUTE_PGM_RSRC2:TIDIG_COMP_CNT: 0
; COMPUTE_PGM_RSRC3_GFX90A:ACCUM_OFFSET: 10
; COMPUTE_PGM_RSRC3_GFX90A:TG_SPLIT: 0
	.section	.text._ZN7rocprim17ROCPRIM_400000_NS6detail17trampoline_kernelINS0_14default_configENS1_20scan_config_selectorIfEEZZNS1_9scan_implILNS1_25lookback_scan_determinismE0ELb0ELb0ES3_N6thrust23THRUST_200600_302600_NS6detail15normal_iteratorINS9_10device_ptrIfEEEENS9_16discard_iteratorINS9_11use_defaultEEEf11max_functorIfEfEEDaPvRmT3_T4_T5_mT6_P12ihipStream_tbENKUlT_T0_E_clISt17integral_constantIbLb0EESW_IbLb1EEEEDaSS_ST_EUlSS_E_NS1_11comp_targetILNS1_3genE3ELNS1_11target_archE908ELNS1_3gpuE7ELNS1_3repE0EEENS1_30default_config_static_selectorELNS0_4arch9wavefront6targetE1EEEvT1_,"axG",@progbits,_ZN7rocprim17ROCPRIM_400000_NS6detail17trampoline_kernelINS0_14default_configENS1_20scan_config_selectorIfEEZZNS1_9scan_implILNS1_25lookback_scan_determinismE0ELb0ELb0ES3_N6thrust23THRUST_200600_302600_NS6detail15normal_iteratorINS9_10device_ptrIfEEEENS9_16discard_iteratorINS9_11use_defaultEEEf11max_functorIfEfEEDaPvRmT3_T4_T5_mT6_P12ihipStream_tbENKUlT_T0_E_clISt17integral_constantIbLb0EESW_IbLb1EEEEDaSS_ST_EUlSS_E_NS1_11comp_targetILNS1_3genE3ELNS1_11target_archE908ELNS1_3gpuE7ELNS1_3repE0EEENS1_30default_config_static_selectorELNS0_4arch9wavefront6targetE1EEEvT1_,comdat
	.protected	_ZN7rocprim17ROCPRIM_400000_NS6detail17trampoline_kernelINS0_14default_configENS1_20scan_config_selectorIfEEZZNS1_9scan_implILNS1_25lookback_scan_determinismE0ELb0ELb0ES3_N6thrust23THRUST_200600_302600_NS6detail15normal_iteratorINS9_10device_ptrIfEEEENS9_16discard_iteratorINS9_11use_defaultEEEf11max_functorIfEfEEDaPvRmT3_T4_T5_mT6_P12ihipStream_tbENKUlT_T0_E_clISt17integral_constantIbLb0EESW_IbLb1EEEEDaSS_ST_EUlSS_E_NS1_11comp_targetILNS1_3genE3ELNS1_11target_archE908ELNS1_3gpuE7ELNS1_3repE0EEENS1_30default_config_static_selectorELNS0_4arch9wavefront6targetE1EEEvT1_ ; -- Begin function _ZN7rocprim17ROCPRIM_400000_NS6detail17trampoline_kernelINS0_14default_configENS1_20scan_config_selectorIfEEZZNS1_9scan_implILNS1_25lookback_scan_determinismE0ELb0ELb0ES3_N6thrust23THRUST_200600_302600_NS6detail15normal_iteratorINS9_10device_ptrIfEEEENS9_16discard_iteratorINS9_11use_defaultEEEf11max_functorIfEfEEDaPvRmT3_T4_T5_mT6_P12ihipStream_tbENKUlT_T0_E_clISt17integral_constantIbLb0EESW_IbLb1EEEEDaSS_ST_EUlSS_E_NS1_11comp_targetILNS1_3genE3ELNS1_11target_archE908ELNS1_3gpuE7ELNS1_3repE0EEENS1_30default_config_static_selectorELNS0_4arch9wavefront6targetE1EEEvT1_
	.globl	_ZN7rocprim17ROCPRIM_400000_NS6detail17trampoline_kernelINS0_14default_configENS1_20scan_config_selectorIfEEZZNS1_9scan_implILNS1_25lookback_scan_determinismE0ELb0ELb0ES3_N6thrust23THRUST_200600_302600_NS6detail15normal_iteratorINS9_10device_ptrIfEEEENS9_16discard_iteratorINS9_11use_defaultEEEf11max_functorIfEfEEDaPvRmT3_T4_T5_mT6_P12ihipStream_tbENKUlT_T0_E_clISt17integral_constantIbLb0EESW_IbLb1EEEEDaSS_ST_EUlSS_E_NS1_11comp_targetILNS1_3genE3ELNS1_11target_archE908ELNS1_3gpuE7ELNS1_3repE0EEENS1_30default_config_static_selectorELNS0_4arch9wavefront6targetE1EEEvT1_
	.p2align	8
	.type	_ZN7rocprim17ROCPRIM_400000_NS6detail17trampoline_kernelINS0_14default_configENS1_20scan_config_selectorIfEEZZNS1_9scan_implILNS1_25lookback_scan_determinismE0ELb0ELb0ES3_N6thrust23THRUST_200600_302600_NS6detail15normal_iteratorINS9_10device_ptrIfEEEENS9_16discard_iteratorINS9_11use_defaultEEEf11max_functorIfEfEEDaPvRmT3_T4_T5_mT6_P12ihipStream_tbENKUlT_T0_E_clISt17integral_constantIbLb0EESW_IbLb1EEEEDaSS_ST_EUlSS_E_NS1_11comp_targetILNS1_3genE3ELNS1_11target_archE908ELNS1_3gpuE7ELNS1_3repE0EEENS1_30default_config_static_selectorELNS0_4arch9wavefront6targetE1EEEvT1_,@function
_ZN7rocprim17ROCPRIM_400000_NS6detail17trampoline_kernelINS0_14default_configENS1_20scan_config_selectorIfEEZZNS1_9scan_implILNS1_25lookback_scan_determinismE0ELb0ELb0ES3_N6thrust23THRUST_200600_302600_NS6detail15normal_iteratorINS9_10device_ptrIfEEEENS9_16discard_iteratorINS9_11use_defaultEEEf11max_functorIfEfEEDaPvRmT3_T4_T5_mT6_P12ihipStream_tbENKUlT_T0_E_clISt17integral_constantIbLb0EESW_IbLb1EEEEDaSS_ST_EUlSS_E_NS1_11comp_targetILNS1_3genE3ELNS1_11target_archE908ELNS1_3gpuE7ELNS1_3repE0EEENS1_30default_config_static_selectorELNS0_4arch9wavefront6targetE1EEEvT1_: ; @_ZN7rocprim17ROCPRIM_400000_NS6detail17trampoline_kernelINS0_14default_configENS1_20scan_config_selectorIfEEZZNS1_9scan_implILNS1_25lookback_scan_determinismE0ELb0ELb0ES3_N6thrust23THRUST_200600_302600_NS6detail15normal_iteratorINS9_10device_ptrIfEEEENS9_16discard_iteratorINS9_11use_defaultEEEf11max_functorIfEfEEDaPvRmT3_T4_T5_mT6_P12ihipStream_tbENKUlT_T0_E_clISt17integral_constantIbLb0EESW_IbLb1EEEEDaSS_ST_EUlSS_E_NS1_11comp_targetILNS1_3genE3ELNS1_11target_archE908ELNS1_3gpuE7ELNS1_3repE0EEENS1_30default_config_static_selectorELNS0_4arch9wavefront6targetE1EEEvT1_
; %bb.0:
	.section	.rodata,"a",@progbits
	.p2align	6, 0x0
	.amdhsa_kernel _ZN7rocprim17ROCPRIM_400000_NS6detail17trampoline_kernelINS0_14default_configENS1_20scan_config_selectorIfEEZZNS1_9scan_implILNS1_25lookback_scan_determinismE0ELb0ELb0ES3_N6thrust23THRUST_200600_302600_NS6detail15normal_iteratorINS9_10device_ptrIfEEEENS9_16discard_iteratorINS9_11use_defaultEEEf11max_functorIfEfEEDaPvRmT3_T4_T5_mT6_P12ihipStream_tbENKUlT_T0_E_clISt17integral_constantIbLb0EESW_IbLb1EEEEDaSS_ST_EUlSS_E_NS1_11comp_targetILNS1_3genE3ELNS1_11target_archE908ELNS1_3gpuE7ELNS1_3repE0EEENS1_30default_config_static_selectorELNS0_4arch9wavefront6targetE1EEEvT1_
		.amdhsa_group_segment_fixed_size 0
		.amdhsa_private_segment_fixed_size 0
		.amdhsa_kernarg_size 104
		.amdhsa_user_sgpr_count 6
		.amdhsa_user_sgpr_private_segment_buffer 1
		.amdhsa_user_sgpr_dispatch_ptr 0
		.amdhsa_user_sgpr_queue_ptr 0
		.amdhsa_user_sgpr_kernarg_segment_ptr 1
		.amdhsa_user_sgpr_dispatch_id 0
		.amdhsa_user_sgpr_flat_scratch_init 0
		.amdhsa_user_sgpr_kernarg_preload_length 0
		.amdhsa_user_sgpr_kernarg_preload_offset 0
		.amdhsa_user_sgpr_private_segment_size 0
		.amdhsa_uses_dynamic_stack 0
		.amdhsa_system_sgpr_private_segment_wavefront_offset 0
		.amdhsa_system_sgpr_workgroup_id_x 1
		.amdhsa_system_sgpr_workgroup_id_y 0
		.amdhsa_system_sgpr_workgroup_id_z 0
		.amdhsa_system_sgpr_workgroup_info 0
		.amdhsa_system_vgpr_workitem_id 0
		.amdhsa_next_free_vgpr 1
		.amdhsa_next_free_sgpr 0
		.amdhsa_accum_offset 4
		.amdhsa_reserve_vcc 0
		.amdhsa_reserve_flat_scratch 0
		.amdhsa_float_round_mode_32 0
		.amdhsa_float_round_mode_16_64 0
		.amdhsa_float_denorm_mode_32 3
		.amdhsa_float_denorm_mode_16_64 3
		.amdhsa_dx10_clamp 1
		.amdhsa_ieee_mode 1
		.amdhsa_fp16_overflow 0
		.amdhsa_tg_split 0
		.amdhsa_exception_fp_ieee_invalid_op 0
		.amdhsa_exception_fp_denorm_src 0
		.amdhsa_exception_fp_ieee_div_zero 0
		.amdhsa_exception_fp_ieee_overflow 0
		.amdhsa_exception_fp_ieee_underflow 0
		.amdhsa_exception_fp_ieee_inexact 0
		.amdhsa_exception_int_div_zero 0
	.end_amdhsa_kernel
	.section	.text._ZN7rocprim17ROCPRIM_400000_NS6detail17trampoline_kernelINS0_14default_configENS1_20scan_config_selectorIfEEZZNS1_9scan_implILNS1_25lookback_scan_determinismE0ELb0ELb0ES3_N6thrust23THRUST_200600_302600_NS6detail15normal_iteratorINS9_10device_ptrIfEEEENS9_16discard_iteratorINS9_11use_defaultEEEf11max_functorIfEfEEDaPvRmT3_T4_T5_mT6_P12ihipStream_tbENKUlT_T0_E_clISt17integral_constantIbLb0EESW_IbLb1EEEEDaSS_ST_EUlSS_E_NS1_11comp_targetILNS1_3genE3ELNS1_11target_archE908ELNS1_3gpuE7ELNS1_3repE0EEENS1_30default_config_static_selectorELNS0_4arch9wavefront6targetE1EEEvT1_,"axG",@progbits,_ZN7rocprim17ROCPRIM_400000_NS6detail17trampoline_kernelINS0_14default_configENS1_20scan_config_selectorIfEEZZNS1_9scan_implILNS1_25lookback_scan_determinismE0ELb0ELb0ES3_N6thrust23THRUST_200600_302600_NS6detail15normal_iteratorINS9_10device_ptrIfEEEENS9_16discard_iteratorINS9_11use_defaultEEEf11max_functorIfEfEEDaPvRmT3_T4_T5_mT6_P12ihipStream_tbENKUlT_T0_E_clISt17integral_constantIbLb0EESW_IbLb1EEEEDaSS_ST_EUlSS_E_NS1_11comp_targetILNS1_3genE3ELNS1_11target_archE908ELNS1_3gpuE7ELNS1_3repE0EEENS1_30default_config_static_selectorELNS0_4arch9wavefront6targetE1EEEvT1_,comdat
.Lfunc_end3191:
	.size	_ZN7rocprim17ROCPRIM_400000_NS6detail17trampoline_kernelINS0_14default_configENS1_20scan_config_selectorIfEEZZNS1_9scan_implILNS1_25lookback_scan_determinismE0ELb0ELb0ES3_N6thrust23THRUST_200600_302600_NS6detail15normal_iteratorINS9_10device_ptrIfEEEENS9_16discard_iteratorINS9_11use_defaultEEEf11max_functorIfEfEEDaPvRmT3_T4_T5_mT6_P12ihipStream_tbENKUlT_T0_E_clISt17integral_constantIbLb0EESW_IbLb1EEEEDaSS_ST_EUlSS_E_NS1_11comp_targetILNS1_3genE3ELNS1_11target_archE908ELNS1_3gpuE7ELNS1_3repE0EEENS1_30default_config_static_selectorELNS0_4arch9wavefront6targetE1EEEvT1_, .Lfunc_end3191-_ZN7rocprim17ROCPRIM_400000_NS6detail17trampoline_kernelINS0_14default_configENS1_20scan_config_selectorIfEEZZNS1_9scan_implILNS1_25lookback_scan_determinismE0ELb0ELb0ES3_N6thrust23THRUST_200600_302600_NS6detail15normal_iteratorINS9_10device_ptrIfEEEENS9_16discard_iteratorINS9_11use_defaultEEEf11max_functorIfEfEEDaPvRmT3_T4_T5_mT6_P12ihipStream_tbENKUlT_T0_E_clISt17integral_constantIbLb0EESW_IbLb1EEEEDaSS_ST_EUlSS_E_NS1_11comp_targetILNS1_3genE3ELNS1_11target_archE908ELNS1_3gpuE7ELNS1_3repE0EEENS1_30default_config_static_selectorELNS0_4arch9wavefront6targetE1EEEvT1_
                                        ; -- End function
	.section	.AMDGPU.csdata,"",@progbits
; Kernel info:
; codeLenInByte = 0
; NumSgprs: 4
; NumVgprs: 0
; NumAgprs: 0
; TotalNumVgprs: 0
; ScratchSize: 0
; MemoryBound: 0
; FloatMode: 240
; IeeeMode: 1
; LDSByteSize: 0 bytes/workgroup (compile time only)
; SGPRBlocks: 0
; VGPRBlocks: 0
; NumSGPRsForWavesPerEU: 4
; NumVGPRsForWavesPerEU: 1
; AccumOffset: 4
; Occupancy: 8
; WaveLimiterHint : 0
; COMPUTE_PGM_RSRC2:SCRATCH_EN: 0
; COMPUTE_PGM_RSRC2:USER_SGPR: 6
; COMPUTE_PGM_RSRC2:TRAP_HANDLER: 0
; COMPUTE_PGM_RSRC2:TGID_X_EN: 1
; COMPUTE_PGM_RSRC2:TGID_Y_EN: 0
; COMPUTE_PGM_RSRC2:TGID_Z_EN: 0
; COMPUTE_PGM_RSRC2:TIDIG_COMP_CNT: 0
; COMPUTE_PGM_RSRC3_GFX90A:ACCUM_OFFSET: 0
; COMPUTE_PGM_RSRC3_GFX90A:TG_SPLIT: 0
	.section	.text._ZN7rocprim17ROCPRIM_400000_NS6detail17trampoline_kernelINS0_14default_configENS1_20scan_config_selectorIfEEZZNS1_9scan_implILNS1_25lookback_scan_determinismE0ELb0ELb0ES3_N6thrust23THRUST_200600_302600_NS6detail15normal_iteratorINS9_10device_ptrIfEEEENS9_16discard_iteratorINS9_11use_defaultEEEf11max_functorIfEfEEDaPvRmT3_T4_T5_mT6_P12ihipStream_tbENKUlT_T0_E_clISt17integral_constantIbLb0EESW_IbLb1EEEEDaSS_ST_EUlSS_E_NS1_11comp_targetILNS1_3genE2ELNS1_11target_archE906ELNS1_3gpuE6ELNS1_3repE0EEENS1_30default_config_static_selectorELNS0_4arch9wavefront6targetE1EEEvT1_,"axG",@progbits,_ZN7rocprim17ROCPRIM_400000_NS6detail17trampoline_kernelINS0_14default_configENS1_20scan_config_selectorIfEEZZNS1_9scan_implILNS1_25lookback_scan_determinismE0ELb0ELb0ES3_N6thrust23THRUST_200600_302600_NS6detail15normal_iteratorINS9_10device_ptrIfEEEENS9_16discard_iteratorINS9_11use_defaultEEEf11max_functorIfEfEEDaPvRmT3_T4_T5_mT6_P12ihipStream_tbENKUlT_T0_E_clISt17integral_constantIbLb0EESW_IbLb1EEEEDaSS_ST_EUlSS_E_NS1_11comp_targetILNS1_3genE2ELNS1_11target_archE906ELNS1_3gpuE6ELNS1_3repE0EEENS1_30default_config_static_selectorELNS0_4arch9wavefront6targetE1EEEvT1_,comdat
	.protected	_ZN7rocprim17ROCPRIM_400000_NS6detail17trampoline_kernelINS0_14default_configENS1_20scan_config_selectorIfEEZZNS1_9scan_implILNS1_25lookback_scan_determinismE0ELb0ELb0ES3_N6thrust23THRUST_200600_302600_NS6detail15normal_iteratorINS9_10device_ptrIfEEEENS9_16discard_iteratorINS9_11use_defaultEEEf11max_functorIfEfEEDaPvRmT3_T4_T5_mT6_P12ihipStream_tbENKUlT_T0_E_clISt17integral_constantIbLb0EESW_IbLb1EEEEDaSS_ST_EUlSS_E_NS1_11comp_targetILNS1_3genE2ELNS1_11target_archE906ELNS1_3gpuE6ELNS1_3repE0EEENS1_30default_config_static_selectorELNS0_4arch9wavefront6targetE1EEEvT1_ ; -- Begin function _ZN7rocprim17ROCPRIM_400000_NS6detail17trampoline_kernelINS0_14default_configENS1_20scan_config_selectorIfEEZZNS1_9scan_implILNS1_25lookback_scan_determinismE0ELb0ELb0ES3_N6thrust23THRUST_200600_302600_NS6detail15normal_iteratorINS9_10device_ptrIfEEEENS9_16discard_iteratorINS9_11use_defaultEEEf11max_functorIfEfEEDaPvRmT3_T4_T5_mT6_P12ihipStream_tbENKUlT_T0_E_clISt17integral_constantIbLb0EESW_IbLb1EEEEDaSS_ST_EUlSS_E_NS1_11comp_targetILNS1_3genE2ELNS1_11target_archE906ELNS1_3gpuE6ELNS1_3repE0EEENS1_30default_config_static_selectorELNS0_4arch9wavefront6targetE1EEEvT1_
	.globl	_ZN7rocprim17ROCPRIM_400000_NS6detail17trampoline_kernelINS0_14default_configENS1_20scan_config_selectorIfEEZZNS1_9scan_implILNS1_25lookback_scan_determinismE0ELb0ELb0ES3_N6thrust23THRUST_200600_302600_NS6detail15normal_iteratorINS9_10device_ptrIfEEEENS9_16discard_iteratorINS9_11use_defaultEEEf11max_functorIfEfEEDaPvRmT3_T4_T5_mT6_P12ihipStream_tbENKUlT_T0_E_clISt17integral_constantIbLb0EESW_IbLb1EEEEDaSS_ST_EUlSS_E_NS1_11comp_targetILNS1_3genE2ELNS1_11target_archE906ELNS1_3gpuE6ELNS1_3repE0EEENS1_30default_config_static_selectorELNS0_4arch9wavefront6targetE1EEEvT1_
	.p2align	8
	.type	_ZN7rocprim17ROCPRIM_400000_NS6detail17trampoline_kernelINS0_14default_configENS1_20scan_config_selectorIfEEZZNS1_9scan_implILNS1_25lookback_scan_determinismE0ELb0ELb0ES3_N6thrust23THRUST_200600_302600_NS6detail15normal_iteratorINS9_10device_ptrIfEEEENS9_16discard_iteratorINS9_11use_defaultEEEf11max_functorIfEfEEDaPvRmT3_T4_T5_mT6_P12ihipStream_tbENKUlT_T0_E_clISt17integral_constantIbLb0EESW_IbLb1EEEEDaSS_ST_EUlSS_E_NS1_11comp_targetILNS1_3genE2ELNS1_11target_archE906ELNS1_3gpuE6ELNS1_3repE0EEENS1_30default_config_static_selectorELNS0_4arch9wavefront6targetE1EEEvT1_,@function
_ZN7rocprim17ROCPRIM_400000_NS6detail17trampoline_kernelINS0_14default_configENS1_20scan_config_selectorIfEEZZNS1_9scan_implILNS1_25lookback_scan_determinismE0ELb0ELb0ES3_N6thrust23THRUST_200600_302600_NS6detail15normal_iteratorINS9_10device_ptrIfEEEENS9_16discard_iteratorINS9_11use_defaultEEEf11max_functorIfEfEEDaPvRmT3_T4_T5_mT6_P12ihipStream_tbENKUlT_T0_E_clISt17integral_constantIbLb0EESW_IbLb1EEEEDaSS_ST_EUlSS_E_NS1_11comp_targetILNS1_3genE2ELNS1_11target_archE906ELNS1_3gpuE6ELNS1_3repE0EEENS1_30default_config_static_selectorELNS0_4arch9wavefront6targetE1EEEvT1_: ; @_ZN7rocprim17ROCPRIM_400000_NS6detail17trampoline_kernelINS0_14default_configENS1_20scan_config_selectorIfEEZZNS1_9scan_implILNS1_25lookback_scan_determinismE0ELb0ELb0ES3_N6thrust23THRUST_200600_302600_NS6detail15normal_iteratorINS9_10device_ptrIfEEEENS9_16discard_iteratorINS9_11use_defaultEEEf11max_functorIfEfEEDaPvRmT3_T4_T5_mT6_P12ihipStream_tbENKUlT_T0_E_clISt17integral_constantIbLb0EESW_IbLb1EEEEDaSS_ST_EUlSS_E_NS1_11comp_targetILNS1_3genE2ELNS1_11target_archE906ELNS1_3gpuE6ELNS1_3repE0EEENS1_30default_config_static_selectorELNS0_4arch9wavefront6targetE1EEEvT1_
; %bb.0:
	.section	.rodata,"a",@progbits
	.p2align	6, 0x0
	.amdhsa_kernel _ZN7rocprim17ROCPRIM_400000_NS6detail17trampoline_kernelINS0_14default_configENS1_20scan_config_selectorIfEEZZNS1_9scan_implILNS1_25lookback_scan_determinismE0ELb0ELb0ES3_N6thrust23THRUST_200600_302600_NS6detail15normal_iteratorINS9_10device_ptrIfEEEENS9_16discard_iteratorINS9_11use_defaultEEEf11max_functorIfEfEEDaPvRmT3_T4_T5_mT6_P12ihipStream_tbENKUlT_T0_E_clISt17integral_constantIbLb0EESW_IbLb1EEEEDaSS_ST_EUlSS_E_NS1_11comp_targetILNS1_3genE2ELNS1_11target_archE906ELNS1_3gpuE6ELNS1_3repE0EEENS1_30default_config_static_selectorELNS0_4arch9wavefront6targetE1EEEvT1_
		.amdhsa_group_segment_fixed_size 0
		.amdhsa_private_segment_fixed_size 0
		.amdhsa_kernarg_size 104
		.amdhsa_user_sgpr_count 6
		.amdhsa_user_sgpr_private_segment_buffer 1
		.amdhsa_user_sgpr_dispatch_ptr 0
		.amdhsa_user_sgpr_queue_ptr 0
		.amdhsa_user_sgpr_kernarg_segment_ptr 1
		.amdhsa_user_sgpr_dispatch_id 0
		.amdhsa_user_sgpr_flat_scratch_init 0
		.amdhsa_user_sgpr_kernarg_preload_length 0
		.amdhsa_user_sgpr_kernarg_preload_offset 0
		.amdhsa_user_sgpr_private_segment_size 0
		.amdhsa_uses_dynamic_stack 0
		.amdhsa_system_sgpr_private_segment_wavefront_offset 0
		.amdhsa_system_sgpr_workgroup_id_x 1
		.amdhsa_system_sgpr_workgroup_id_y 0
		.amdhsa_system_sgpr_workgroup_id_z 0
		.amdhsa_system_sgpr_workgroup_info 0
		.amdhsa_system_vgpr_workitem_id 0
		.amdhsa_next_free_vgpr 1
		.amdhsa_next_free_sgpr 0
		.amdhsa_accum_offset 4
		.amdhsa_reserve_vcc 0
		.amdhsa_reserve_flat_scratch 0
		.amdhsa_float_round_mode_32 0
		.amdhsa_float_round_mode_16_64 0
		.amdhsa_float_denorm_mode_32 3
		.amdhsa_float_denorm_mode_16_64 3
		.amdhsa_dx10_clamp 1
		.amdhsa_ieee_mode 1
		.amdhsa_fp16_overflow 0
		.amdhsa_tg_split 0
		.amdhsa_exception_fp_ieee_invalid_op 0
		.amdhsa_exception_fp_denorm_src 0
		.amdhsa_exception_fp_ieee_div_zero 0
		.amdhsa_exception_fp_ieee_overflow 0
		.amdhsa_exception_fp_ieee_underflow 0
		.amdhsa_exception_fp_ieee_inexact 0
		.amdhsa_exception_int_div_zero 0
	.end_amdhsa_kernel
	.section	.text._ZN7rocprim17ROCPRIM_400000_NS6detail17trampoline_kernelINS0_14default_configENS1_20scan_config_selectorIfEEZZNS1_9scan_implILNS1_25lookback_scan_determinismE0ELb0ELb0ES3_N6thrust23THRUST_200600_302600_NS6detail15normal_iteratorINS9_10device_ptrIfEEEENS9_16discard_iteratorINS9_11use_defaultEEEf11max_functorIfEfEEDaPvRmT3_T4_T5_mT6_P12ihipStream_tbENKUlT_T0_E_clISt17integral_constantIbLb0EESW_IbLb1EEEEDaSS_ST_EUlSS_E_NS1_11comp_targetILNS1_3genE2ELNS1_11target_archE906ELNS1_3gpuE6ELNS1_3repE0EEENS1_30default_config_static_selectorELNS0_4arch9wavefront6targetE1EEEvT1_,"axG",@progbits,_ZN7rocprim17ROCPRIM_400000_NS6detail17trampoline_kernelINS0_14default_configENS1_20scan_config_selectorIfEEZZNS1_9scan_implILNS1_25lookback_scan_determinismE0ELb0ELb0ES3_N6thrust23THRUST_200600_302600_NS6detail15normal_iteratorINS9_10device_ptrIfEEEENS9_16discard_iteratorINS9_11use_defaultEEEf11max_functorIfEfEEDaPvRmT3_T4_T5_mT6_P12ihipStream_tbENKUlT_T0_E_clISt17integral_constantIbLb0EESW_IbLb1EEEEDaSS_ST_EUlSS_E_NS1_11comp_targetILNS1_3genE2ELNS1_11target_archE906ELNS1_3gpuE6ELNS1_3repE0EEENS1_30default_config_static_selectorELNS0_4arch9wavefront6targetE1EEEvT1_,comdat
.Lfunc_end3192:
	.size	_ZN7rocprim17ROCPRIM_400000_NS6detail17trampoline_kernelINS0_14default_configENS1_20scan_config_selectorIfEEZZNS1_9scan_implILNS1_25lookback_scan_determinismE0ELb0ELb0ES3_N6thrust23THRUST_200600_302600_NS6detail15normal_iteratorINS9_10device_ptrIfEEEENS9_16discard_iteratorINS9_11use_defaultEEEf11max_functorIfEfEEDaPvRmT3_T4_T5_mT6_P12ihipStream_tbENKUlT_T0_E_clISt17integral_constantIbLb0EESW_IbLb1EEEEDaSS_ST_EUlSS_E_NS1_11comp_targetILNS1_3genE2ELNS1_11target_archE906ELNS1_3gpuE6ELNS1_3repE0EEENS1_30default_config_static_selectorELNS0_4arch9wavefront6targetE1EEEvT1_, .Lfunc_end3192-_ZN7rocprim17ROCPRIM_400000_NS6detail17trampoline_kernelINS0_14default_configENS1_20scan_config_selectorIfEEZZNS1_9scan_implILNS1_25lookback_scan_determinismE0ELb0ELb0ES3_N6thrust23THRUST_200600_302600_NS6detail15normal_iteratorINS9_10device_ptrIfEEEENS9_16discard_iteratorINS9_11use_defaultEEEf11max_functorIfEfEEDaPvRmT3_T4_T5_mT6_P12ihipStream_tbENKUlT_T0_E_clISt17integral_constantIbLb0EESW_IbLb1EEEEDaSS_ST_EUlSS_E_NS1_11comp_targetILNS1_3genE2ELNS1_11target_archE906ELNS1_3gpuE6ELNS1_3repE0EEENS1_30default_config_static_selectorELNS0_4arch9wavefront6targetE1EEEvT1_
                                        ; -- End function
	.section	.AMDGPU.csdata,"",@progbits
; Kernel info:
; codeLenInByte = 0
; NumSgprs: 4
; NumVgprs: 0
; NumAgprs: 0
; TotalNumVgprs: 0
; ScratchSize: 0
; MemoryBound: 0
; FloatMode: 240
; IeeeMode: 1
; LDSByteSize: 0 bytes/workgroup (compile time only)
; SGPRBlocks: 0
; VGPRBlocks: 0
; NumSGPRsForWavesPerEU: 4
; NumVGPRsForWavesPerEU: 1
; AccumOffset: 4
; Occupancy: 8
; WaveLimiterHint : 0
; COMPUTE_PGM_RSRC2:SCRATCH_EN: 0
; COMPUTE_PGM_RSRC2:USER_SGPR: 6
; COMPUTE_PGM_RSRC2:TRAP_HANDLER: 0
; COMPUTE_PGM_RSRC2:TGID_X_EN: 1
; COMPUTE_PGM_RSRC2:TGID_Y_EN: 0
; COMPUTE_PGM_RSRC2:TGID_Z_EN: 0
; COMPUTE_PGM_RSRC2:TIDIG_COMP_CNT: 0
; COMPUTE_PGM_RSRC3_GFX90A:ACCUM_OFFSET: 0
; COMPUTE_PGM_RSRC3_GFX90A:TG_SPLIT: 0
	.section	.text._ZN7rocprim17ROCPRIM_400000_NS6detail17trampoline_kernelINS0_14default_configENS1_20scan_config_selectorIfEEZZNS1_9scan_implILNS1_25lookback_scan_determinismE0ELb0ELb0ES3_N6thrust23THRUST_200600_302600_NS6detail15normal_iteratorINS9_10device_ptrIfEEEENS9_16discard_iteratorINS9_11use_defaultEEEf11max_functorIfEfEEDaPvRmT3_T4_T5_mT6_P12ihipStream_tbENKUlT_T0_E_clISt17integral_constantIbLb0EESW_IbLb1EEEEDaSS_ST_EUlSS_E_NS1_11comp_targetILNS1_3genE10ELNS1_11target_archE1201ELNS1_3gpuE5ELNS1_3repE0EEENS1_30default_config_static_selectorELNS0_4arch9wavefront6targetE1EEEvT1_,"axG",@progbits,_ZN7rocprim17ROCPRIM_400000_NS6detail17trampoline_kernelINS0_14default_configENS1_20scan_config_selectorIfEEZZNS1_9scan_implILNS1_25lookback_scan_determinismE0ELb0ELb0ES3_N6thrust23THRUST_200600_302600_NS6detail15normal_iteratorINS9_10device_ptrIfEEEENS9_16discard_iteratorINS9_11use_defaultEEEf11max_functorIfEfEEDaPvRmT3_T4_T5_mT6_P12ihipStream_tbENKUlT_T0_E_clISt17integral_constantIbLb0EESW_IbLb1EEEEDaSS_ST_EUlSS_E_NS1_11comp_targetILNS1_3genE10ELNS1_11target_archE1201ELNS1_3gpuE5ELNS1_3repE0EEENS1_30default_config_static_selectorELNS0_4arch9wavefront6targetE1EEEvT1_,comdat
	.protected	_ZN7rocprim17ROCPRIM_400000_NS6detail17trampoline_kernelINS0_14default_configENS1_20scan_config_selectorIfEEZZNS1_9scan_implILNS1_25lookback_scan_determinismE0ELb0ELb0ES3_N6thrust23THRUST_200600_302600_NS6detail15normal_iteratorINS9_10device_ptrIfEEEENS9_16discard_iteratorINS9_11use_defaultEEEf11max_functorIfEfEEDaPvRmT3_T4_T5_mT6_P12ihipStream_tbENKUlT_T0_E_clISt17integral_constantIbLb0EESW_IbLb1EEEEDaSS_ST_EUlSS_E_NS1_11comp_targetILNS1_3genE10ELNS1_11target_archE1201ELNS1_3gpuE5ELNS1_3repE0EEENS1_30default_config_static_selectorELNS0_4arch9wavefront6targetE1EEEvT1_ ; -- Begin function _ZN7rocprim17ROCPRIM_400000_NS6detail17trampoline_kernelINS0_14default_configENS1_20scan_config_selectorIfEEZZNS1_9scan_implILNS1_25lookback_scan_determinismE0ELb0ELb0ES3_N6thrust23THRUST_200600_302600_NS6detail15normal_iteratorINS9_10device_ptrIfEEEENS9_16discard_iteratorINS9_11use_defaultEEEf11max_functorIfEfEEDaPvRmT3_T4_T5_mT6_P12ihipStream_tbENKUlT_T0_E_clISt17integral_constantIbLb0EESW_IbLb1EEEEDaSS_ST_EUlSS_E_NS1_11comp_targetILNS1_3genE10ELNS1_11target_archE1201ELNS1_3gpuE5ELNS1_3repE0EEENS1_30default_config_static_selectorELNS0_4arch9wavefront6targetE1EEEvT1_
	.globl	_ZN7rocprim17ROCPRIM_400000_NS6detail17trampoline_kernelINS0_14default_configENS1_20scan_config_selectorIfEEZZNS1_9scan_implILNS1_25lookback_scan_determinismE0ELb0ELb0ES3_N6thrust23THRUST_200600_302600_NS6detail15normal_iteratorINS9_10device_ptrIfEEEENS9_16discard_iteratorINS9_11use_defaultEEEf11max_functorIfEfEEDaPvRmT3_T4_T5_mT6_P12ihipStream_tbENKUlT_T0_E_clISt17integral_constantIbLb0EESW_IbLb1EEEEDaSS_ST_EUlSS_E_NS1_11comp_targetILNS1_3genE10ELNS1_11target_archE1201ELNS1_3gpuE5ELNS1_3repE0EEENS1_30default_config_static_selectorELNS0_4arch9wavefront6targetE1EEEvT1_
	.p2align	8
	.type	_ZN7rocprim17ROCPRIM_400000_NS6detail17trampoline_kernelINS0_14default_configENS1_20scan_config_selectorIfEEZZNS1_9scan_implILNS1_25lookback_scan_determinismE0ELb0ELb0ES3_N6thrust23THRUST_200600_302600_NS6detail15normal_iteratorINS9_10device_ptrIfEEEENS9_16discard_iteratorINS9_11use_defaultEEEf11max_functorIfEfEEDaPvRmT3_T4_T5_mT6_P12ihipStream_tbENKUlT_T0_E_clISt17integral_constantIbLb0EESW_IbLb1EEEEDaSS_ST_EUlSS_E_NS1_11comp_targetILNS1_3genE10ELNS1_11target_archE1201ELNS1_3gpuE5ELNS1_3repE0EEENS1_30default_config_static_selectorELNS0_4arch9wavefront6targetE1EEEvT1_,@function
_ZN7rocprim17ROCPRIM_400000_NS6detail17trampoline_kernelINS0_14default_configENS1_20scan_config_selectorIfEEZZNS1_9scan_implILNS1_25lookback_scan_determinismE0ELb0ELb0ES3_N6thrust23THRUST_200600_302600_NS6detail15normal_iteratorINS9_10device_ptrIfEEEENS9_16discard_iteratorINS9_11use_defaultEEEf11max_functorIfEfEEDaPvRmT3_T4_T5_mT6_P12ihipStream_tbENKUlT_T0_E_clISt17integral_constantIbLb0EESW_IbLb1EEEEDaSS_ST_EUlSS_E_NS1_11comp_targetILNS1_3genE10ELNS1_11target_archE1201ELNS1_3gpuE5ELNS1_3repE0EEENS1_30default_config_static_selectorELNS0_4arch9wavefront6targetE1EEEvT1_: ; @_ZN7rocprim17ROCPRIM_400000_NS6detail17trampoline_kernelINS0_14default_configENS1_20scan_config_selectorIfEEZZNS1_9scan_implILNS1_25lookback_scan_determinismE0ELb0ELb0ES3_N6thrust23THRUST_200600_302600_NS6detail15normal_iteratorINS9_10device_ptrIfEEEENS9_16discard_iteratorINS9_11use_defaultEEEf11max_functorIfEfEEDaPvRmT3_T4_T5_mT6_P12ihipStream_tbENKUlT_T0_E_clISt17integral_constantIbLb0EESW_IbLb1EEEEDaSS_ST_EUlSS_E_NS1_11comp_targetILNS1_3genE10ELNS1_11target_archE1201ELNS1_3gpuE5ELNS1_3repE0EEENS1_30default_config_static_selectorELNS0_4arch9wavefront6targetE1EEEvT1_
; %bb.0:
	.section	.rodata,"a",@progbits
	.p2align	6, 0x0
	.amdhsa_kernel _ZN7rocprim17ROCPRIM_400000_NS6detail17trampoline_kernelINS0_14default_configENS1_20scan_config_selectorIfEEZZNS1_9scan_implILNS1_25lookback_scan_determinismE0ELb0ELb0ES3_N6thrust23THRUST_200600_302600_NS6detail15normal_iteratorINS9_10device_ptrIfEEEENS9_16discard_iteratorINS9_11use_defaultEEEf11max_functorIfEfEEDaPvRmT3_T4_T5_mT6_P12ihipStream_tbENKUlT_T0_E_clISt17integral_constantIbLb0EESW_IbLb1EEEEDaSS_ST_EUlSS_E_NS1_11comp_targetILNS1_3genE10ELNS1_11target_archE1201ELNS1_3gpuE5ELNS1_3repE0EEENS1_30default_config_static_selectorELNS0_4arch9wavefront6targetE1EEEvT1_
		.amdhsa_group_segment_fixed_size 0
		.amdhsa_private_segment_fixed_size 0
		.amdhsa_kernarg_size 104
		.amdhsa_user_sgpr_count 6
		.amdhsa_user_sgpr_private_segment_buffer 1
		.amdhsa_user_sgpr_dispatch_ptr 0
		.amdhsa_user_sgpr_queue_ptr 0
		.amdhsa_user_sgpr_kernarg_segment_ptr 1
		.amdhsa_user_sgpr_dispatch_id 0
		.amdhsa_user_sgpr_flat_scratch_init 0
		.amdhsa_user_sgpr_kernarg_preload_length 0
		.amdhsa_user_sgpr_kernarg_preload_offset 0
		.amdhsa_user_sgpr_private_segment_size 0
		.amdhsa_uses_dynamic_stack 0
		.amdhsa_system_sgpr_private_segment_wavefront_offset 0
		.amdhsa_system_sgpr_workgroup_id_x 1
		.amdhsa_system_sgpr_workgroup_id_y 0
		.amdhsa_system_sgpr_workgroup_id_z 0
		.amdhsa_system_sgpr_workgroup_info 0
		.amdhsa_system_vgpr_workitem_id 0
		.amdhsa_next_free_vgpr 1
		.amdhsa_next_free_sgpr 0
		.amdhsa_accum_offset 4
		.amdhsa_reserve_vcc 0
		.amdhsa_reserve_flat_scratch 0
		.amdhsa_float_round_mode_32 0
		.amdhsa_float_round_mode_16_64 0
		.amdhsa_float_denorm_mode_32 3
		.amdhsa_float_denorm_mode_16_64 3
		.amdhsa_dx10_clamp 1
		.amdhsa_ieee_mode 1
		.amdhsa_fp16_overflow 0
		.amdhsa_tg_split 0
		.amdhsa_exception_fp_ieee_invalid_op 0
		.amdhsa_exception_fp_denorm_src 0
		.amdhsa_exception_fp_ieee_div_zero 0
		.amdhsa_exception_fp_ieee_overflow 0
		.amdhsa_exception_fp_ieee_underflow 0
		.amdhsa_exception_fp_ieee_inexact 0
		.amdhsa_exception_int_div_zero 0
	.end_amdhsa_kernel
	.section	.text._ZN7rocprim17ROCPRIM_400000_NS6detail17trampoline_kernelINS0_14default_configENS1_20scan_config_selectorIfEEZZNS1_9scan_implILNS1_25lookback_scan_determinismE0ELb0ELb0ES3_N6thrust23THRUST_200600_302600_NS6detail15normal_iteratorINS9_10device_ptrIfEEEENS9_16discard_iteratorINS9_11use_defaultEEEf11max_functorIfEfEEDaPvRmT3_T4_T5_mT6_P12ihipStream_tbENKUlT_T0_E_clISt17integral_constantIbLb0EESW_IbLb1EEEEDaSS_ST_EUlSS_E_NS1_11comp_targetILNS1_3genE10ELNS1_11target_archE1201ELNS1_3gpuE5ELNS1_3repE0EEENS1_30default_config_static_selectorELNS0_4arch9wavefront6targetE1EEEvT1_,"axG",@progbits,_ZN7rocprim17ROCPRIM_400000_NS6detail17trampoline_kernelINS0_14default_configENS1_20scan_config_selectorIfEEZZNS1_9scan_implILNS1_25lookback_scan_determinismE0ELb0ELb0ES3_N6thrust23THRUST_200600_302600_NS6detail15normal_iteratorINS9_10device_ptrIfEEEENS9_16discard_iteratorINS9_11use_defaultEEEf11max_functorIfEfEEDaPvRmT3_T4_T5_mT6_P12ihipStream_tbENKUlT_T0_E_clISt17integral_constantIbLb0EESW_IbLb1EEEEDaSS_ST_EUlSS_E_NS1_11comp_targetILNS1_3genE10ELNS1_11target_archE1201ELNS1_3gpuE5ELNS1_3repE0EEENS1_30default_config_static_selectorELNS0_4arch9wavefront6targetE1EEEvT1_,comdat
.Lfunc_end3193:
	.size	_ZN7rocprim17ROCPRIM_400000_NS6detail17trampoline_kernelINS0_14default_configENS1_20scan_config_selectorIfEEZZNS1_9scan_implILNS1_25lookback_scan_determinismE0ELb0ELb0ES3_N6thrust23THRUST_200600_302600_NS6detail15normal_iteratorINS9_10device_ptrIfEEEENS9_16discard_iteratorINS9_11use_defaultEEEf11max_functorIfEfEEDaPvRmT3_T4_T5_mT6_P12ihipStream_tbENKUlT_T0_E_clISt17integral_constantIbLb0EESW_IbLb1EEEEDaSS_ST_EUlSS_E_NS1_11comp_targetILNS1_3genE10ELNS1_11target_archE1201ELNS1_3gpuE5ELNS1_3repE0EEENS1_30default_config_static_selectorELNS0_4arch9wavefront6targetE1EEEvT1_, .Lfunc_end3193-_ZN7rocprim17ROCPRIM_400000_NS6detail17trampoline_kernelINS0_14default_configENS1_20scan_config_selectorIfEEZZNS1_9scan_implILNS1_25lookback_scan_determinismE0ELb0ELb0ES3_N6thrust23THRUST_200600_302600_NS6detail15normal_iteratorINS9_10device_ptrIfEEEENS9_16discard_iteratorINS9_11use_defaultEEEf11max_functorIfEfEEDaPvRmT3_T4_T5_mT6_P12ihipStream_tbENKUlT_T0_E_clISt17integral_constantIbLb0EESW_IbLb1EEEEDaSS_ST_EUlSS_E_NS1_11comp_targetILNS1_3genE10ELNS1_11target_archE1201ELNS1_3gpuE5ELNS1_3repE0EEENS1_30default_config_static_selectorELNS0_4arch9wavefront6targetE1EEEvT1_
                                        ; -- End function
	.section	.AMDGPU.csdata,"",@progbits
; Kernel info:
; codeLenInByte = 0
; NumSgprs: 4
; NumVgprs: 0
; NumAgprs: 0
; TotalNumVgprs: 0
; ScratchSize: 0
; MemoryBound: 0
; FloatMode: 240
; IeeeMode: 1
; LDSByteSize: 0 bytes/workgroup (compile time only)
; SGPRBlocks: 0
; VGPRBlocks: 0
; NumSGPRsForWavesPerEU: 4
; NumVGPRsForWavesPerEU: 1
; AccumOffset: 4
; Occupancy: 8
; WaveLimiterHint : 0
; COMPUTE_PGM_RSRC2:SCRATCH_EN: 0
; COMPUTE_PGM_RSRC2:USER_SGPR: 6
; COMPUTE_PGM_RSRC2:TRAP_HANDLER: 0
; COMPUTE_PGM_RSRC2:TGID_X_EN: 1
; COMPUTE_PGM_RSRC2:TGID_Y_EN: 0
; COMPUTE_PGM_RSRC2:TGID_Z_EN: 0
; COMPUTE_PGM_RSRC2:TIDIG_COMP_CNT: 0
; COMPUTE_PGM_RSRC3_GFX90A:ACCUM_OFFSET: 0
; COMPUTE_PGM_RSRC3_GFX90A:TG_SPLIT: 0
	.section	.text._ZN7rocprim17ROCPRIM_400000_NS6detail17trampoline_kernelINS0_14default_configENS1_20scan_config_selectorIfEEZZNS1_9scan_implILNS1_25lookback_scan_determinismE0ELb0ELb0ES3_N6thrust23THRUST_200600_302600_NS6detail15normal_iteratorINS9_10device_ptrIfEEEENS9_16discard_iteratorINS9_11use_defaultEEEf11max_functorIfEfEEDaPvRmT3_T4_T5_mT6_P12ihipStream_tbENKUlT_T0_E_clISt17integral_constantIbLb0EESW_IbLb1EEEEDaSS_ST_EUlSS_E_NS1_11comp_targetILNS1_3genE10ELNS1_11target_archE1200ELNS1_3gpuE4ELNS1_3repE0EEENS1_30default_config_static_selectorELNS0_4arch9wavefront6targetE1EEEvT1_,"axG",@progbits,_ZN7rocprim17ROCPRIM_400000_NS6detail17trampoline_kernelINS0_14default_configENS1_20scan_config_selectorIfEEZZNS1_9scan_implILNS1_25lookback_scan_determinismE0ELb0ELb0ES3_N6thrust23THRUST_200600_302600_NS6detail15normal_iteratorINS9_10device_ptrIfEEEENS9_16discard_iteratorINS9_11use_defaultEEEf11max_functorIfEfEEDaPvRmT3_T4_T5_mT6_P12ihipStream_tbENKUlT_T0_E_clISt17integral_constantIbLb0EESW_IbLb1EEEEDaSS_ST_EUlSS_E_NS1_11comp_targetILNS1_3genE10ELNS1_11target_archE1200ELNS1_3gpuE4ELNS1_3repE0EEENS1_30default_config_static_selectorELNS0_4arch9wavefront6targetE1EEEvT1_,comdat
	.protected	_ZN7rocprim17ROCPRIM_400000_NS6detail17trampoline_kernelINS0_14default_configENS1_20scan_config_selectorIfEEZZNS1_9scan_implILNS1_25lookback_scan_determinismE0ELb0ELb0ES3_N6thrust23THRUST_200600_302600_NS6detail15normal_iteratorINS9_10device_ptrIfEEEENS9_16discard_iteratorINS9_11use_defaultEEEf11max_functorIfEfEEDaPvRmT3_T4_T5_mT6_P12ihipStream_tbENKUlT_T0_E_clISt17integral_constantIbLb0EESW_IbLb1EEEEDaSS_ST_EUlSS_E_NS1_11comp_targetILNS1_3genE10ELNS1_11target_archE1200ELNS1_3gpuE4ELNS1_3repE0EEENS1_30default_config_static_selectorELNS0_4arch9wavefront6targetE1EEEvT1_ ; -- Begin function _ZN7rocprim17ROCPRIM_400000_NS6detail17trampoline_kernelINS0_14default_configENS1_20scan_config_selectorIfEEZZNS1_9scan_implILNS1_25lookback_scan_determinismE0ELb0ELb0ES3_N6thrust23THRUST_200600_302600_NS6detail15normal_iteratorINS9_10device_ptrIfEEEENS9_16discard_iteratorINS9_11use_defaultEEEf11max_functorIfEfEEDaPvRmT3_T4_T5_mT6_P12ihipStream_tbENKUlT_T0_E_clISt17integral_constantIbLb0EESW_IbLb1EEEEDaSS_ST_EUlSS_E_NS1_11comp_targetILNS1_3genE10ELNS1_11target_archE1200ELNS1_3gpuE4ELNS1_3repE0EEENS1_30default_config_static_selectorELNS0_4arch9wavefront6targetE1EEEvT1_
	.globl	_ZN7rocprim17ROCPRIM_400000_NS6detail17trampoline_kernelINS0_14default_configENS1_20scan_config_selectorIfEEZZNS1_9scan_implILNS1_25lookback_scan_determinismE0ELb0ELb0ES3_N6thrust23THRUST_200600_302600_NS6detail15normal_iteratorINS9_10device_ptrIfEEEENS9_16discard_iteratorINS9_11use_defaultEEEf11max_functorIfEfEEDaPvRmT3_T4_T5_mT6_P12ihipStream_tbENKUlT_T0_E_clISt17integral_constantIbLb0EESW_IbLb1EEEEDaSS_ST_EUlSS_E_NS1_11comp_targetILNS1_3genE10ELNS1_11target_archE1200ELNS1_3gpuE4ELNS1_3repE0EEENS1_30default_config_static_selectorELNS0_4arch9wavefront6targetE1EEEvT1_
	.p2align	8
	.type	_ZN7rocprim17ROCPRIM_400000_NS6detail17trampoline_kernelINS0_14default_configENS1_20scan_config_selectorIfEEZZNS1_9scan_implILNS1_25lookback_scan_determinismE0ELb0ELb0ES3_N6thrust23THRUST_200600_302600_NS6detail15normal_iteratorINS9_10device_ptrIfEEEENS9_16discard_iteratorINS9_11use_defaultEEEf11max_functorIfEfEEDaPvRmT3_T4_T5_mT6_P12ihipStream_tbENKUlT_T0_E_clISt17integral_constantIbLb0EESW_IbLb1EEEEDaSS_ST_EUlSS_E_NS1_11comp_targetILNS1_3genE10ELNS1_11target_archE1200ELNS1_3gpuE4ELNS1_3repE0EEENS1_30default_config_static_selectorELNS0_4arch9wavefront6targetE1EEEvT1_,@function
_ZN7rocprim17ROCPRIM_400000_NS6detail17trampoline_kernelINS0_14default_configENS1_20scan_config_selectorIfEEZZNS1_9scan_implILNS1_25lookback_scan_determinismE0ELb0ELb0ES3_N6thrust23THRUST_200600_302600_NS6detail15normal_iteratorINS9_10device_ptrIfEEEENS9_16discard_iteratorINS9_11use_defaultEEEf11max_functorIfEfEEDaPvRmT3_T4_T5_mT6_P12ihipStream_tbENKUlT_T0_E_clISt17integral_constantIbLb0EESW_IbLb1EEEEDaSS_ST_EUlSS_E_NS1_11comp_targetILNS1_3genE10ELNS1_11target_archE1200ELNS1_3gpuE4ELNS1_3repE0EEENS1_30default_config_static_selectorELNS0_4arch9wavefront6targetE1EEEvT1_: ; @_ZN7rocprim17ROCPRIM_400000_NS6detail17trampoline_kernelINS0_14default_configENS1_20scan_config_selectorIfEEZZNS1_9scan_implILNS1_25lookback_scan_determinismE0ELb0ELb0ES3_N6thrust23THRUST_200600_302600_NS6detail15normal_iteratorINS9_10device_ptrIfEEEENS9_16discard_iteratorINS9_11use_defaultEEEf11max_functorIfEfEEDaPvRmT3_T4_T5_mT6_P12ihipStream_tbENKUlT_T0_E_clISt17integral_constantIbLb0EESW_IbLb1EEEEDaSS_ST_EUlSS_E_NS1_11comp_targetILNS1_3genE10ELNS1_11target_archE1200ELNS1_3gpuE4ELNS1_3repE0EEENS1_30default_config_static_selectorELNS0_4arch9wavefront6targetE1EEEvT1_
; %bb.0:
	.section	.rodata,"a",@progbits
	.p2align	6, 0x0
	.amdhsa_kernel _ZN7rocprim17ROCPRIM_400000_NS6detail17trampoline_kernelINS0_14default_configENS1_20scan_config_selectorIfEEZZNS1_9scan_implILNS1_25lookback_scan_determinismE0ELb0ELb0ES3_N6thrust23THRUST_200600_302600_NS6detail15normal_iteratorINS9_10device_ptrIfEEEENS9_16discard_iteratorINS9_11use_defaultEEEf11max_functorIfEfEEDaPvRmT3_T4_T5_mT6_P12ihipStream_tbENKUlT_T0_E_clISt17integral_constantIbLb0EESW_IbLb1EEEEDaSS_ST_EUlSS_E_NS1_11comp_targetILNS1_3genE10ELNS1_11target_archE1200ELNS1_3gpuE4ELNS1_3repE0EEENS1_30default_config_static_selectorELNS0_4arch9wavefront6targetE1EEEvT1_
		.amdhsa_group_segment_fixed_size 0
		.amdhsa_private_segment_fixed_size 0
		.amdhsa_kernarg_size 104
		.amdhsa_user_sgpr_count 6
		.amdhsa_user_sgpr_private_segment_buffer 1
		.amdhsa_user_sgpr_dispatch_ptr 0
		.amdhsa_user_sgpr_queue_ptr 0
		.amdhsa_user_sgpr_kernarg_segment_ptr 1
		.amdhsa_user_sgpr_dispatch_id 0
		.amdhsa_user_sgpr_flat_scratch_init 0
		.amdhsa_user_sgpr_kernarg_preload_length 0
		.amdhsa_user_sgpr_kernarg_preload_offset 0
		.amdhsa_user_sgpr_private_segment_size 0
		.amdhsa_uses_dynamic_stack 0
		.amdhsa_system_sgpr_private_segment_wavefront_offset 0
		.amdhsa_system_sgpr_workgroup_id_x 1
		.amdhsa_system_sgpr_workgroup_id_y 0
		.amdhsa_system_sgpr_workgroup_id_z 0
		.amdhsa_system_sgpr_workgroup_info 0
		.amdhsa_system_vgpr_workitem_id 0
		.amdhsa_next_free_vgpr 1
		.amdhsa_next_free_sgpr 0
		.amdhsa_accum_offset 4
		.amdhsa_reserve_vcc 0
		.amdhsa_reserve_flat_scratch 0
		.amdhsa_float_round_mode_32 0
		.amdhsa_float_round_mode_16_64 0
		.amdhsa_float_denorm_mode_32 3
		.amdhsa_float_denorm_mode_16_64 3
		.amdhsa_dx10_clamp 1
		.amdhsa_ieee_mode 1
		.amdhsa_fp16_overflow 0
		.amdhsa_tg_split 0
		.amdhsa_exception_fp_ieee_invalid_op 0
		.amdhsa_exception_fp_denorm_src 0
		.amdhsa_exception_fp_ieee_div_zero 0
		.amdhsa_exception_fp_ieee_overflow 0
		.amdhsa_exception_fp_ieee_underflow 0
		.amdhsa_exception_fp_ieee_inexact 0
		.amdhsa_exception_int_div_zero 0
	.end_amdhsa_kernel
	.section	.text._ZN7rocprim17ROCPRIM_400000_NS6detail17trampoline_kernelINS0_14default_configENS1_20scan_config_selectorIfEEZZNS1_9scan_implILNS1_25lookback_scan_determinismE0ELb0ELb0ES3_N6thrust23THRUST_200600_302600_NS6detail15normal_iteratorINS9_10device_ptrIfEEEENS9_16discard_iteratorINS9_11use_defaultEEEf11max_functorIfEfEEDaPvRmT3_T4_T5_mT6_P12ihipStream_tbENKUlT_T0_E_clISt17integral_constantIbLb0EESW_IbLb1EEEEDaSS_ST_EUlSS_E_NS1_11comp_targetILNS1_3genE10ELNS1_11target_archE1200ELNS1_3gpuE4ELNS1_3repE0EEENS1_30default_config_static_selectorELNS0_4arch9wavefront6targetE1EEEvT1_,"axG",@progbits,_ZN7rocprim17ROCPRIM_400000_NS6detail17trampoline_kernelINS0_14default_configENS1_20scan_config_selectorIfEEZZNS1_9scan_implILNS1_25lookback_scan_determinismE0ELb0ELb0ES3_N6thrust23THRUST_200600_302600_NS6detail15normal_iteratorINS9_10device_ptrIfEEEENS9_16discard_iteratorINS9_11use_defaultEEEf11max_functorIfEfEEDaPvRmT3_T4_T5_mT6_P12ihipStream_tbENKUlT_T0_E_clISt17integral_constantIbLb0EESW_IbLb1EEEEDaSS_ST_EUlSS_E_NS1_11comp_targetILNS1_3genE10ELNS1_11target_archE1200ELNS1_3gpuE4ELNS1_3repE0EEENS1_30default_config_static_selectorELNS0_4arch9wavefront6targetE1EEEvT1_,comdat
.Lfunc_end3194:
	.size	_ZN7rocprim17ROCPRIM_400000_NS6detail17trampoline_kernelINS0_14default_configENS1_20scan_config_selectorIfEEZZNS1_9scan_implILNS1_25lookback_scan_determinismE0ELb0ELb0ES3_N6thrust23THRUST_200600_302600_NS6detail15normal_iteratorINS9_10device_ptrIfEEEENS9_16discard_iteratorINS9_11use_defaultEEEf11max_functorIfEfEEDaPvRmT3_T4_T5_mT6_P12ihipStream_tbENKUlT_T0_E_clISt17integral_constantIbLb0EESW_IbLb1EEEEDaSS_ST_EUlSS_E_NS1_11comp_targetILNS1_3genE10ELNS1_11target_archE1200ELNS1_3gpuE4ELNS1_3repE0EEENS1_30default_config_static_selectorELNS0_4arch9wavefront6targetE1EEEvT1_, .Lfunc_end3194-_ZN7rocprim17ROCPRIM_400000_NS6detail17trampoline_kernelINS0_14default_configENS1_20scan_config_selectorIfEEZZNS1_9scan_implILNS1_25lookback_scan_determinismE0ELb0ELb0ES3_N6thrust23THRUST_200600_302600_NS6detail15normal_iteratorINS9_10device_ptrIfEEEENS9_16discard_iteratorINS9_11use_defaultEEEf11max_functorIfEfEEDaPvRmT3_T4_T5_mT6_P12ihipStream_tbENKUlT_T0_E_clISt17integral_constantIbLb0EESW_IbLb1EEEEDaSS_ST_EUlSS_E_NS1_11comp_targetILNS1_3genE10ELNS1_11target_archE1200ELNS1_3gpuE4ELNS1_3repE0EEENS1_30default_config_static_selectorELNS0_4arch9wavefront6targetE1EEEvT1_
                                        ; -- End function
	.section	.AMDGPU.csdata,"",@progbits
; Kernel info:
; codeLenInByte = 0
; NumSgprs: 4
; NumVgprs: 0
; NumAgprs: 0
; TotalNumVgprs: 0
; ScratchSize: 0
; MemoryBound: 0
; FloatMode: 240
; IeeeMode: 1
; LDSByteSize: 0 bytes/workgroup (compile time only)
; SGPRBlocks: 0
; VGPRBlocks: 0
; NumSGPRsForWavesPerEU: 4
; NumVGPRsForWavesPerEU: 1
; AccumOffset: 4
; Occupancy: 8
; WaveLimiterHint : 0
; COMPUTE_PGM_RSRC2:SCRATCH_EN: 0
; COMPUTE_PGM_RSRC2:USER_SGPR: 6
; COMPUTE_PGM_RSRC2:TRAP_HANDLER: 0
; COMPUTE_PGM_RSRC2:TGID_X_EN: 1
; COMPUTE_PGM_RSRC2:TGID_Y_EN: 0
; COMPUTE_PGM_RSRC2:TGID_Z_EN: 0
; COMPUTE_PGM_RSRC2:TIDIG_COMP_CNT: 0
; COMPUTE_PGM_RSRC3_GFX90A:ACCUM_OFFSET: 0
; COMPUTE_PGM_RSRC3_GFX90A:TG_SPLIT: 0
	.section	.text._ZN7rocprim17ROCPRIM_400000_NS6detail17trampoline_kernelINS0_14default_configENS1_20scan_config_selectorIfEEZZNS1_9scan_implILNS1_25lookback_scan_determinismE0ELb0ELb0ES3_N6thrust23THRUST_200600_302600_NS6detail15normal_iteratorINS9_10device_ptrIfEEEENS9_16discard_iteratorINS9_11use_defaultEEEf11max_functorIfEfEEDaPvRmT3_T4_T5_mT6_P12ihipStream_tbENKUlT_T0_E_clISt17integral_constantIbLb0EESW_IbLb1EEEEDaSS_ST_EUlSS_E_NS1_11comp_targetILNS1_3genE9ELNS1_11target_archE1100ELNS1_3gpuE3ELNS1_3repE0EEENS1_30default_config_static_selectorELNS0_4arch9wavefront6targetE1EEEvT1_,"axG",@progbits,_ZN7rocprim17ROCPRIM_400000_NS6detail17trampoline_kernelINS0_14default_configENS1_20scan_config_selectorIfEEZZNS1_9scan_implILNS1_25lookback_scan_determinismE0ELb0ELb0ES3_N6thrust23THRUST_200600_302600_NS6detail15normal_iteratorINS9_10device_ptrIfEEEENS9_16discard_iteratorINS9_11use_defaultEEEf11max_functorIfEfEEDaPvRmT3_T4_T5_mT6_P12ihipStream_tbENKUlT_T0_E_clISt17integral_constantIbLb0EESW_IbLb1EEEEDaSS_ST_EUlSS_E_NS1_11comp_targetILNS1_3genE9ELNS1_11target_archE1100ELNS1_3gpuE3ELNS1_3repE0EEENS1_30default_config_static_selectorELNS0_4arch9wavefront6targetE1EEEvT1_,comdat
	.protected	_ZN7rocprim17ROCPRIM_400000_NS6detail17trampoline_kernelINS0_14default_configENS1_20scan_config_selectorIfEEZZNS1_9scan_implILNS1_25lookback_scan_determinismE0ELb0ELb0ES3_N6thrust23THRUST_200600_302600_NS6detail15normal_iteratorINS9_10device_ptrIfEEEENS9_16discard_iteratorINS9_11use_defaultEEEf11max_functorIfEfEEDaPvRmT3_T4_T5_mT6_P12ihipStream_tbENKUlT_T0_E_clISt17integral_constantIbLb0EESW_IbLb1EEEEDaSS_ST_EUlSS_E_NS1_11comp_targetILNS1_3genE9ELNS1_11target_archE1100ELNS1_3gpuE3ELNS1_3repE0EEENS1_30default_config_static_selectorELNS0_4arch9wavefront6targetE1EEEvT1_ ; -- Begin function _ZN7rocprim17ROCPRIM_400000_NS6detail17trampoline_kernelINS0_14default_configENS1_20scan_config_selectorIfEEZZNS1_9scan_implILNS1_25lookback_scan_determinismE0ELb0ELb0ES3_N6thrust23THRUST_200600_302600_NS6detail15normal_iteratorINS9_10device_ptrIfEEEENS9_16discard_iteratorINS9_11use_defaultEEEf11max_functorIfEfEEDaPvRmT3_T4_T5_mT6_P12ihipStream_tbENKUlT_T0_E_clISt17integral_constantIbLb0EESW_IbLb1EEEEDaSS_ST_EUlSS_E_NS1_11comp_targetILNS1_3genE9ELNS1_11target_archE1100ELNS1_3gpuE3ELNS1_3repE0EEENS1_30default_config_static_selectorELNS0_4arch9wavefront6targetE1EEEvT1_
	.globl	_ZN7rocprim17ROCPRIM_400000_NS6detail17trampoline_kernelINS0_14default_configENS1_20scan_config_selectorIfEEZZNS1_9scan_implILNS1_25lookback_scan_determinismE0ELb0ELb0ES3_N6thrust23THRUST_200600_302600_NS6detail15normal_iteratorINS9_10device_ptrIfEEEENS9_16discard_iteratorINS9_11use_defaultEEEf11max_functorIfEfEEDaPvRmT3_T4_T5_mT6_P12ihipStream_tbENKUlT_T0_E_clISt17integral_constantIbLb0EESW_IbLb1EEEEDaSS_ST_EUlSS_E_NS1_11comp_targetILNS1_3genE9ELNS1_11target_archE1100ELNS1_3gpuE3ELNS1_3repE0EEENS1_30default_config_static_selectorELNS0_4arch9wavefront6targetE1EEEvT1_
	.p2align	8
	.type	_ZN7rocprim17ROCPRIM_400000_NS6detail17trampoline_kernelINS0_14default_configENS1_20scan_config_selectorIfEEZZNS1_9scan_implILNS1_25lookback_scan_determinismE0ELb0ELb0ES3_N6thrust23THRUST_200600_302600_NS6detail15normal_iteratorINS9_10device_ptrIfEEEENS9_16discard_iteratorINS9_11use_defaultEEEf11max_functorIfEfEEDaPvRmT3_T4_T5_mT6_P12ihipStream_tbENKUlT_T0_E_clISt17integral_constantIbLb0EESW_IbLb1EEEEDaSS_ST_EUlSS_E_NS1_11comp_targetILNS1_3genE9ELNS1_11target_archE1100ELNS1_3gpuE3ELNS1_3repE0EEENS1_30default_config_static_selectorELNS0_4arch9wavefront6targetE1EEEvT1_,@function
_ZN7rocprim17ROCPRIM_400000_NS6detail17trampoline_kernelINS0_14default_configENS1_20scan_config_selectorIfEEZZNS1_9scan_implILNS1_25lookback_scan_determinismE0ELb0ELb0ES3_N6thrust23THRUST_200600_302600_NS6detail15normal_iteratorINS9_10device_ptrIfEEEENS9_16discard_iteratorINS9_11use_defaultEEEf11max_functorIfEfEEDaPvRmT3_T4_T5_mT6_P12ihipStream_tbENKUlT_T0_E_clISt17integral_constantIbLb0EESW_IbLb1EEEEDaSS_ST_EUlSS_E_NS1_11comp_targetILNS1_3genE9ELNS1_11target_archE1100ELNS1_3gpuE3ELNS1_3repE0EEENS1_30default_config_static_selectorELNS0_4arch9wavefront6targetE1EEEvT1_: ; @_ZN7rocprim17ROCPRIM_400000_NS6detail17trampoline_kernelINS0_14default_configENS1_20scan_config_selectorIfEEZZNS1_9scan_implILNS1_25lookback_scan_determinismE0ELb0ELb0ES3_N6thrust23THRUST_200600_302600_NS6detail15normal_iteratorINS9_10device_ptrIfEEEENS9_16discard_iteratorINS9_11use_defaultEEEf11max_functorIfEfEEDaPvRmT3_T4_T5_mT6_P12ihipStream_tbENKUlT_T0_E_clISt17integral_constantIbLb0EESW_IbLb1EEEEDaSS_ST_EUlSS_E_NS1_11comp_targetILNS1_3genE9ELNS1_11target_archE1100ELNS1_3gpuE3ELNS1_3repE0EEENS1_30default_config_static_selectorELNS0_4arch9wavefront6targetE1EEEvT1_
; %bb.0:
	.section	.rodata,"a",@progbits
	.p2align	6, 0x0
	.amdhsa_kernel _ZN7rocprim17ROCPRIM_400000_NS6detail17trampoline_kernelINS0_14default_configENS1_20scan_config_selectorIfEEZZNS1_9scan_implILNS1_25lookback_scan_determinismE0ELb0ELb0ES3_N6thrust23THRUST_200600_302600_NS6detail15normal_iteratorINS9_10device_ptrIfEEEENS9_16discard_iteratorINS9_11use_defaultEEEf11max_functorIfEfEEDaPvRmT3_T4_T5_mT6_P12ihipStream_tbENKUlT_T0_E_clISt17integral_constantIbLb0EESW_IbLb1EEEEDaSS_ST_EUlSS_E_NS1_11comp_targetILNS1_3genE9ELNS1_11target_archE1100ELNS1_3gpuE3ELNS1_3repE0EEENS1_30default_config_static_selectorELNS0_4arch9wavefront6targetE1EEEvT1_
		.amdhsa_group_segment_fixed_size 0
		.amdhsa_private_segment_fixed_size 0
		.amdhsa_kernarg_size 104
		.amdhsa_user_sgpr_count 6
		.amdhsa_user_sgpr_private_segment_buffer 1
		.amdhsa_user_sgpr_dispatch_ptr 0
		.amdhsa_user_sgpr_queue_ptr 0
		.amdhsa_user_sgpr_kernarg_segment_ptr 1
		.amdhsa_user_sgpr_dispatch_id 0
		.amdhsa_user_sgpr_flat_scratch_init 0
		.amdhsa_user_sgpr_kernarg_preload_length 0
		.amdhsa_user_sgpr_kernarg_preload_offset 0
		.amdhsa_user_sgpr_private_segment_size 0
		.amdhsa_uses_dynamic_stack 0
		.amdhsa_system_sgpr_private_segment_wavefront_offset 0
		.amdhsa_system_sgpr_workgroup_id_x 1
		.amdhsa_system_sgpr_workgroup_id_y 0
		.amdhsa_system_sgpr_workgroup_id_z 0
		.amdhsa_system_sgpr_workgroup_info 0
		.amdhsa_system_vgpr_workitem_id 0
		.amdhsa_next_free_vgpr 1
		.amdhsa_next_free_sgpr 0
		.amdhsa_accum_offset 4
		.amdhsa_reserve_vcc 0
		.amdhsa_reserve_flat_scratch 0
		.amdhsa_float_round_mode_32 0
		.amdhsa_float_round_mode_16_64 0
		.amdhsa_float_denorm_mode_32 3
		.amdhsa_float_denorm_mode_16_64 3
		.amdhsa_dx10_clamp 1
		.amdhsa_ieee_mode 1
		.amdhsa_fp16_overflow 0
		.amdhsa_tg_split 0
		.amdhsa_exception_fp_ieee_invalid_op 0
		.amdhsa_exception_fp_denorm_src 0
		.amdhsa_exception_fp_ieee_div_zero 0
		.amdhsa_exception_fp_ieee_overflow 0
		.amdhsa_exception_fp_ieee_underflow 0
		.amdhsa_exception_fp_ieee_inexact 0
		.amdhsa_exception_int_div_zero 0
	.end_amdhsa_kernel
	.section	.text._ZN7rocprim17ROCPRIM_400000_NS6detail17trampoline_kernelINS0_14default_configENS1_20scan_config_selectorIfEEZZNS1_9scan_implILNS1_25lookback_scan_determinismE0ELb0ELb0ES3_N6thrust23THRUST_200600_302600_NS6detail15normal_iteratorINS9_10device_ptrIfEEEENS9_16discard_iteratorINS9_11use_defaultEEEf11max_functorIfEfEEDaPvRmT3_T4_T5_mT6_P12ihipStream_tbENKUlT_T0_E_clISt17integral_constantIbLb0EESW_IbLb1EEEEDaSS_ST_EUlSS_E_NS1_11comp_targetILNS1_3genE9ELNS1_11target_archE1100ELNS1_3gpuE3ELNS1_3repE0EEENS1_30default_config_static_selectorELNS0_4arch9wavefront6targetE1EEEvT1_,"axG",@progbits,_ZN7rocprim17ROCPRIM_400000_NS6detail17trampoline_kernelINS0_14default_configENS1_20scan_config_selectorIfEEZZNS1_9scan_implILNS1_25lookback_scan_determinismE0ELb0ELb0ES3_N6thrust23THRUST_200600_302600_NS6detail15normal_iteratorINS9_10device_ptrIfEEEENS9_16discard_iteratorINS9_11use_defaultEEEf11max_functorIfEfEEDaPvRmT3_T4_T5_mT6_P12ihipStream_tbENKUlT_T0_E_clISt17integral_constantIbLb0EESW_IbLb1EEEEDaSS_ST_EUlSS_E_NS1_11comp_targetILNS1_3genE9ELNS1_11target_archE1100ELNS1_3gpuE3ELNS1_3repE0EEENS1_30default_config_static_selectorELNS0_4arch9wavefront6targetE1EEEvT1_,comdat
.Lfunc_end3195:
	.size	_ZN7rocprim17ROCPRIM_400000_NS6detail17trampoline_kernelINS0_14default_configENS1_20scan_config_selectorIfEEZZNS1_9scan_implILNS1_25lookback_scan_determinismE0ELb0ELb0ES3_N6thrust23THRUST_200600_302600_NS6detail15normal_iteratorINS9_10device_ptrIfEEEENS9_16discard_iteratorINS9_11use_defaultEEEf11max_functorIfEfEEDaPvRmT3_T4_T5_mT6_P12ihipStream_tbENKUlT_T0_E_clISt17integral_constantIbLb0EESW_IbLb1EEEEDaSS_ST_EUlSS_E_NS1_11comp_targetILNS1_3genE9ELNS1_11target_archE1100ELNS1_3gpuE3ELNS1_3repE0EEENS1_30default_config_static_selectorELNS0_4arch9wavefront6targetE1EEEvT1_, .Lfunc_end3195-_ZN7rocprim17ROCPRIM_400000_NS6detail17trampoline_kernelINS0_14default_configENS1_20scan_config_selectorIfEEZZNS1_9scan_implILNS1_25lookback_scan_determinismE0ELb0ELb0ES3_N6thrust23THRUST_200600_302600_NS6detail15normal_iteratorINS9_10device_ptrIfEEEENS9_16discard_iteratorINS9_11use_defaultEEEf11max_functorIfEfEEDaPvRmT3_T4_T5_mT6_P12ihipStream_tbENKUlT_T0_E_clISt17integral_constantIbLb0EESW_IbLb1EEEEDaSS_ST_EUlSS_E_NS1_11comp_targetILNS1_3genE9ELNS1_11target_archE1100ELNS1_3gpuE3ELNS1_3repE0EEENS1_30default_config_static_selectorELNS0_4arch9wavefront6targetE1EEEvT1_
                                        ; -- End function
	.section	.AMDGPU.csdata,"",@progbits
; Kernel info:
; codeLenInByte = 0
; NumSgprs: 4
; NumVgprs: 0
; NumAgprs: 0
; TotalNumVgprs: 0
; ScratchSize: 0
; MemoryBound: 0
; FloatMode: 240
; IeeeMode: 1
; LDSByteSize: 0 bytes/workgroup (compile time only)
; SGPRBlocks: 0
; VGPRBlocks: 0
; NumSGPRsForWavesPerEU: 4
; NumVGPRsForWavesPerEU: 1
; AccumOffset: 4
; Occupancy: 8
; WaveLimiterHint : 0
; COMPUTE_PGM_RSRC2:SCRATCH_EN: 0
; COMPUTE_PGM_RSRC2:USER_SGPR: 6
; COMPUTE_PGM_RSRC2:TRAP_HANDLER: 0
; COMPUTE_PGM_RSRC2:TGID_X_EN: 1
; COMPUTE_PGM_RSRC2:TGID_Y_EN: 0
; COMPUTE_PGM_RSRC2:TGID_Z_EN: 0
; COMPUTE_PGM_RSRC2:TIDIG_COMP_CNT: 0
; COMPUTE_PGM_RSRC3_GFX90A:ACCUM_OFFSET: 0
; COMPUTE_PGM_RSRC3_GFX90A:TG_SPLIT: 0
	.section	.text._ZN7rocprim17ROCPRIM_400000_NS6detail17trampoline_kernelINS0_14default_configENS1_20scan_config_selectorIfEEZZNS1_9scan_implILNS1_25lookback_scan_determinismE0ELb0ELb0ES3_N6thrust23THRUST_200600_302600_NS6detail15normal_iteratorINS9_10device_ptrIfEEEENS9_16discard_iteratorINS9_11use_defaultEEEf11max_functorIfEfEEDaPvRmT3_T4_T5_mT6_P12ihipStream_tbENKUlT_T0_E_clISt17integral_constantIbLb0EESW_IbLb1EEEEDaSS_ST_EUlSS_E_NS1_11comp_targetILNS1_3genE8ELNS1_11target_archE1030ELNS1_3gpuE2ELNS1_3repE0EEENS1_30default_config_static_selectorELNS0_4arch9wavefront6targetE1EEEvT1_,"axG",@progbits,_ZN7rocprim17ROCPRIM_400000_NS6detail17trampoline_kernelINS0_14default_configENS1_20scan_config_selectorIfEEZZNS1_9scan_implILNS1_25lookback_scan_determinismE0ELb0ELb0ES3_N6thrust23THRUST_200600_302600_NS6detail15normal_iteratorINS9_10device_ptrIfEEEENS9_16discard_iteratorINS9_11use_defaultEEEf11max_functorIfEfEEDaPvRmT3_T4_T5_mT6_P12ihipStream_tbENKUlT_T0_E_clISt17integral_constantIbLb0EESW_IbLb1EEEEDaSS_ST_EUlSS_E_NS1_11comp_targetILNS1_3genE8ELNS1_11target_archE1030ELNS1_3gpuE2ELNS1_3repE0EEENS1_30default_config_static_selectorELNS0_4arch9wavefront6targetE1EEEvT1_,comdat
	.protected	_ZN7rocprim17ROCPRIM_400000_NS6detail17trampoline_kernelINS0_14default_configENS1_20scan_config_selectorIfEEZZNS1_9scan_implILNS1_25lookback_scan_determinismE0ELb0ELb0ES3_N6thrust23THRUST_200600_302600_NS6detail15normal_iteratorINS9_10device_ptrIfEEEENS9_16discard_iteratorINS9_11use_defaultEEEf11max_functorIfEfEEDaPvRmT3_T4_T5_mT6_P12ihipStream_tbENKUlT_T0_E_clISt17integral_constantIbLb0EESW_IbLb1EEEEDaSS_ST_EUlSS_E_NS1_11comp_targetILNS1_3genE8ELNS1_11target_archE1030ELNS1_3gpuE2ELNS1_3repE0EEENS1_30default_config_static_selectorELNS0_4arch9wavefront6targetE1EEEvT1_ ; -- Begin function _ZN7rocprim17ROCPRIM_400000_NS6detail17trampoline_kernelINS0_14default_configENS1_20scan_config_selectorIfEEZZNS1_9scan_implILNS1_25lookback_scan_determinismE0ELb0ELb0ES3_N6thrust23THRUST_200600_302600_NS6detail15normal_iteratorINS9_10device_ptrIfEEEENS9_16discard_iteratorINS9_11use_defaultEEEf11max_functorIfEfEEDaPvRmT3_T4_T5_mT6_P12ihipStream_tbENKUlT_T0_E_clISt17integral_constantIbLb0EESW_IbLb1EEEEDaSS_ST_EUlSS_E_NS1_11comp_targetILNS1_3genE8ELNS1_11target_archE1030ELNS1_3gpuE2ELNS1_3repE0EEENS1_30default_config_static_selectorELNS0_4arch9wavefront6targetE1EEEvT1_
	.globl	_ZN7rocprim17ROCPRIM_400000_NS6detail17trampoline_kernelINS0_14default_configENS1_20scan_config_selectorIfEEZZNS1_9scan_implILNS1_25lookback_scan_determinismE0ELb0ELb0ES3_N6thrust23THRUST_200600_302600_NS6detail15normal_iteratorINS9_10device_ptrIfEEEENS9_16discard_iteratorINS9_11use_defaultEEEf11max_functorIfEfEEDaPvRmT3_T4_T5_mT6_P12ihipStream_tbENKUlT_T0_E_clISt17integral_constantIbLb0EESW_IbLb1EEEEDaSS_ST_EUlSS_E_NS1_11comp_targetILNS1_3genE8ELNS1_11target_archE1030ELNS1_3gpuE2ELNS1_3repE0EEENS1_30default_config_static_selectorELNS0_4arch9wavefront6targetE1EEEvT1_
	.p2align	8
	.type	_ZN7rocprim17ROCPRIM_400000_NS6detail17trampoline_kernelINS0_14default_configENS1_20scan_config_selectorIfEEZZNS1_9scan_implILNS1_25lookback_scan_determinismE0ELb0ELb0ES3_N6thrust23THRUST_200600_302600_NS6detail15normal_iteratorINS9_10device_ptrIfEEEENS9_16discard_iteratorINS9_11use_defaultEEEf11max_functorIfEfEEDaPvRmT3_T4_T5_mT6_P12ihipStream_tbENKUlT_T0_E_clISt17integral_constantIbLb0EESW_IbLb1EEEEDaSS_ST_EUlSS_E_NS1_11comp_targetILNS1_3genE8ELNS1_11target_archE1030ELNS1_3gpuE2ELNS1_3repE0EEENS1_30default_config_static_selectorELNS0_4arch9wavefront6targetE1EEEvT1_,@function
_ZN7rocprim17ROCPRIM_400000_NS6detail17trampoline_kernelINS0_14default_configENS1_20scan_config_selectorIfEEZZNS1_9scan_implILNS1_25lookback_scan_determinismE0ELb0ELb0ES3_N6thrust23THRUST_200600_302600_NS6detail15normal_iteratorINS9_10device_ptrIfEEEENS9_16discard_iteratorINS9_11use_defaultEEEf11max_functorIfEfEEDaPvRmT3_T4_T5_mT6_P12ihipStream_tbENKUlT_T0_E_clISt17integral_constantIbLb0EESW_IbLb1EEEEDaSS_ST_EUlSS_E_NS1_11comp_targetILNS1_3genE8ELNS1_11target_archE1030ELNS1_3gpuE2ELNS1_3repE0EEENS1_30default_config_static_selectorELNS0_4arch9wavefront6targetE1EEEvT1_: ; @_ZN7rocprim17ROCPRIM_400000_NS6detail17trampoline_kernelINS0_14default_configENS1_20scan_config_selectorIfEEZZNS1_9scan_implILNS1_25lookback_scan_determinismE0ELb0ELb0ES3_N6thrust23THRUST_200600_302600_NS6detail15normal_iteratorINS9_10device_ptrIfEEEENS9_16discard_iteratorINS9_11use_defaultEEEf11max_functorIfEfEEDaPvRmT3_T4_T5_mT6_P12ihipStream_tbENKUlT_T0_E_clISt17integral_constantIbLb0EESW_IbLb1EEEEDaSS_ST_EUlSS_E_NS1_11comp_targetILNS1_3genE8ELNS1_11target_archE1030ELNS1_3gpuE2ELNS1_3repE0EEENS1_30default_config_static_selectorELNS0_4arch9wavefront6targetE1EEEvT1_
; %bb.0:
	.section	.rodata,"a",@progbits
	.p2align	6, 0x0
	.amdhsa_kernel _ZN7rocprim17ROCPRIM_400000_NS6detail17trampoline_kernelINS0_14default_configENS1_20scan_config_selectorIfEEZZNS1_9scan_implILNS1_25lookback_scan_determinismE0ELb0ELb0ES3_N6thrust23THRUST_200600_302600_NS6detail15normal_iteratorINS9_10device_ptrIfEEEENS9_16discard_iteratorINS9_11use_defaultEEEf11max_functorIfEfEEDaPvRmT3_T4_T5_mT6_P12ihipStream_tbENKUlT_T0_E_clISt17integral_constantIbLb0EESW_IbLb1EEEEDaSS_ST_EUlSS_E_NS1_11comp_targetILNS1_3genE8ELNS1_11target_archE1030ELNS1_3gpuE2ELNS1_3repE0EEENS1_30default_config_static_selectorELNS0_4arch9wavefront6targetE1EEEvT1_
		.amdhsa_group_segment_fixed_size 0
		.amdhsa_private_segment_fixed_size 0
		.amdhsa_kernarg_size 104
		.amdhsa_user_sgpr_count 6
		.amdhsa_user_sgpr_private_segment_buffer 1
		.amdhsa_user_sgpr_dispatch_ptr 0
		.amdhsa_user_sgpr_queue_ptr 0
		.amdhsa_user_sgpr_kernarg_segment_ptr 1
		.amdhsa_user_sgpr_dispatch_id 0
		.amdhsa_user_sgpr_flat_scratch_init 0
		.amdhsa_user_sgpr_kernarg_preload_length 0
		.amdhsa_user_sgpr_kernarg_preload_offset 0
		.amdhsa_user_sgpr_private_segment_size 0
		.amdhsa_uses_dynamic_stack 0
		.amdhsa_system_sgpr_private_segment_wavefront_offset 0
		.amdhsa_system_sgpr_workgroup_id_x 1
		.amdhsa_system_sgpr_workgroup_id_y 0
		.amdhsa_system_sgpr_workgroup_id_z 0
		.amdhsa_system_sgpr_workgroup_info 0
		.amdhsa_system_vgpr_workitem_id 0
		.amdhsa_next_free_vgpr 1
		.amdhsa_next_free_sgpr 0
		.amdhsa_accum_offset 4
		.amdhsa_reserve_vcc 0
		.amdhsa_reserve_flat_scratch 0
		.amdhsa_float_round_mode_32 0
		.amdhsa_float_round_mode_16_64 0
		.amdhsa_float_denorm_mode_32 3
		.amdhsa_float_denorm_mode_16_64 3
		.amdhsa_dx10_clamp 1
		.amdhsa_ieee_mode 1
		.amdhsa_fp16_overflow 0
		.amdhsa_tg_split 0
		.amdhsa_exception_fp_ieee_invalid_op 0
		.amdhsa_exception_fp_denorm_src 0
		.amdhsa_exception_fp_ieee_div_zero 0
		.amdhsa_exception_fp_ieee_overflow 0
		.amdhsa_exception_fp_ieee_underflow 0
		.amdhsa_exception_fp_ieee_inexact 0
		.amdhsa_exception_int_div_zero 0
	.end_amdhsa_kernel
	.section	.text._ZN7rocprim17ROCPRIM_400000_NS6detail17trampoline_kernelINS0_14default_configENS1_20scan_config_selectorIfEEZZNS1_9scan_implILNS1_25lookback_scan_determinismE0ELb0ELb0ES3_N6thrust23THRUST_200600_302600_NS6detail15normal_iteratorINS9_10device_ptrIfEEEENS9_16discard_iteratorINS9_11use_defaultEEEf11max_functorIfEfEEDaPvRmT3_T4_T5_mT6_P12ihipStream_tbENKUlT_T0_E_clISt17integral_constantIbLb0EESW_IbLb1EEEEDaSS_ST_EUlSS_E_NS1_11comp_targetILNS1_3genE8ELNS1_11target_archE1030ELNS1_3gpuE2ELNS1_3repE0EEENS1_30default_config_static_selectorELNS0_4arch9wavefront6targetE1EEEvT1_,"axG",@progbits,_ZN7rocprim17ROCPRIM_400000_NS6detail17trampoline_kernelINS0_14default_configENS1_20scan_config_selectorIfEEZZNS1_9scan_implILNS1_25lookback_scan_determinismE0ELb0ELb0ES3_N6thrust23THRUST_200600_302600_NS6detail15normal_iteratorINS9_10device_ptrIfEEEENS9_16discard_iteratorINS9_11use_defaultEEEf11max_functorIfEfEEDaPvRmT3_T4_T5_mT6_P12ihipStream_tbENKUlT_T0_E_clISt17integral_constantIbLb0EESW_IbLb1EEEEDaSS_ST_EUlSS_E_NS1_11comp_targetILNS1_3genE8ELNS1_11target_archE1030ELNS1_3gpuE2ELNS1_3repE0EEENS1_30default_config_static_selectorELNS0_4arch9wavefront6targetE1EEEvT1_,comdat
.Lfunc_end3196:
	.size	_ZN7rocprim17ROCPRIM_400000_NS6detail17trampoline_kernelINS0_14default_configENS1_20scan_config_selectorIfEEZZNS1_9scan_implILNS1_25lookback_scan_determinismE0ELb0ELb0ES3_N6thrust23THRUST_200600_302600_NS6detail15normal_iteratorINS9_10device_ptrIfEEEENS9_16discard_iteratorINS9_11use_defaultEEEf11max_functorIfEfEEDaPvRmT3_T4_T5_mT6_P12ihipStream_tbENKUlT_T0_E_clISt17integral_constantIbLb0EESW_IbLb1EEEEDaSS_ST_EUlSS_E_NS1_11comp_targetILNS1_3genE8ELNS1_11target_archE1030ELNS1_3gpuE2ELNS1_3repE0EEENS1_30default_config_static_selectorELNS0_4arch9wavefront6targetE1EEEvT1_, .Lfunc_end3196-_ZN7rocprim17ROCPRIM_400000_NS6detail17trampoline_kernelINS0_14default_configENS1_20scan_config_selectorIfEEZZNS1_9scan_implILNS1_25lookback_scan_determinismE0ELb0ELb0ES3_N6thrust23THRUST_200600_302600_NS6detail15normal_iteratorINS9_10device_ptrIfEEEENS9_16discard_iteratorINS9_11use_defaultEEEf11max_functorIfEfEEDaPvRmT3_T4_T5_mT6_P12ihipStream_tbENKUlT_T0_E_clISt17integral_constantIbLb0EESW_IbLb1EEEEDaSS_ST_EUlSS_E_NS1_11comp_targetILNS1_3genE8ELNS1_11target_archE1030ELNS1_3gpuE2ELNS1_3repE0EEENS1_30default_config_static_selectorELNS0_4arch9wavefront6targetE1EEEvT1_
                                        ; -- End function
	.section	.AMDGPU.csdata,"",@progbits
; Kernel info:
; codeLenInByte = 0
; NumSgprs: 4
; NumVgprs: 0
; NumAgprs: 0
; TotalNumVgprs: 0
; ScratchSize: 0
; MemoryBound: 0
; FloatMode: 240
; IeeeMode: 1
; LDSByteSize: 0 bytes/workgroup (compile time only)
; SGPRBlocks: 0
; VGPRBlocks: 0
; NumSGPRsForWavesPerEU: 4
; NumVGPRsForWavesPerEU: 1
; AccumOffset: 4
; Occupancy: 8
; WaveLimiterHint : 0
; COMPUTE_PGM_RSRC2:SCRATCH_EN: 0
; COMPUTE_PGM_RSRC2:USER_SGPR: 6
; COMPUTE_PGM_RSRC2:TRAP_HANDLER: 0
; COMPUTE_PGM_RSRC2:TGID_X_EN: 1
; COMPUTE_PGM_RSRC2:TGID_Y_EN: 0
; COMPUTE_PGM_RSRC2:TGID_Z_EN: 0
; COMPUTE_PGM_RSRC2:TIDIG_COMP_CNT: 0
; COMPUTE_PGM_RSRC3_GFX90A:ACCUM_OFFSET: 0
; COMPUTE_PGM_RSRC3_GFX90A:TG_SPLIT: 0
	.section	.text._ZN7rocprim17ROCPRIM_400000_NS6detail17trampoline_kernelINS0_14default_configENS1_20scan_config_selectorIfEEZZNS1_9scan_implILNS1_25lookback_scan_determinismE0ELb0ELb0ES3_N6thrust23THRUST_200600_302600_NS6detail15normal_iteratorINS9_10device_ptrIfEEEENS9_16discard_iteratorINS9_11use_defaultEEEf11max_functorIfEfEEDaPvRmT3_T4_T5_mT6_P12ihipStream_tbENKUlT_T0_E_clISt17integral_constantIbLb0EESW_IbLb1EEEEDaSS_ST_EUlSS_E0_NS1_11comp_targetILNS1_3genE0ELNS1_11target_archE4294967295ELNS1_3gpuE0ELNS1_3repE0EEENS1_30default_config_static_selectorELNS0_4arch9wavefront6targetE1EEEvT1_,"axG",@progbits,_ZN7rocprim17ROCPRIM_400000_NS6detail17trampoline_kernelINS0_14default_configENS1_20scan_config_selectorIfEEZZNS1_9scan_implILNS1_25lookback_scan_determinismE0ELb0ELb0ES3_N6thrust23THRUST_200600_302600_NS6detail15normal_iteratorINS9_10device_ptrIfEEEENS9_16discard_iteratorINS9_11use_defaultEEEf11max_functorIfEfEEDaPvRmT3_T4_T5_mT6_P12ihipStream_tbENKUlT_T0_E_clISt17integral_constantIbLb0EESW_IbLb1EEEEDaSS_ST_EUlSS_E0_NS1_11comp_targetILNS1_3genE0ELNS1_11target_archE4294967295ELNS1_3gpuE0ELNS1_3repE0EEENS1_30default_config_static_selectorELNS0_4arch9wavefront6targetE1EEEvT1_,comdat
	.protected	_ZN7rocprim17ROCPRIM_400000_NS6detail17trampoline_kernelINS0_14default_configENS1_20scan_config_selectorIfEEZZNS1_9scan_implILNS1_25lookback_scan_determinismE0ELb0ELb0ES3_N6thrust23THRUST_200600_302600_NS6detail15normal_iteratorINS9_10device_ptrIfEEEENS9_16discard_iteratorINS9_11use_defaultEEEf11max_functorIfEfEEDaPvRmT3_T4_T5_mT6_P12ihipStream_tbENKUlT_T0_E_clISt17integral_constantIbLb0EESW_IbLb1EEEEDaSS_ST_EUlSS_E0_NS1_11comp_targetILNS1_3genE0ELNS1_11target_archE4294967295ELNS1_3gpuE0ELNS1_3repE0EEENS1_30default_config_static_selectorELNS0_4arch9wavefront6targetE1EEEvT1_ ; -- Begin function _ZN7rocprim17ROCPRIM_400000_NS6detail17trampoline_kernelINS0_14default_configENS1_20scan_config_selectorIfEEZZNS1_9scan_implILNS1_25lookback_scan_determinismE0ELb0ELb0ES3_N6thrust23THRUST_200600_302600_NS6detail15normal_iteratorINS9_10device_ptrIfEEEENS9_16discard_iteratorINS9_11use_defaultEEEf11max_functorIfEfEEDaPvRmT3_T4_T5_mT6_P12ihipStream_tbENKUlT_T0_E_clISt17integral_constantIbLb0EESW_IbLb1EEEEDaSS_ST_EUlSS_E0_NS1_11comp_targetILNS1_3genE0ELNS1_11target_archE4294967295ELNS1_3gpuE0ELNS1_3repE0EEENS1_30default_config_static_selectorELNS0_4arch9wavefront6targetE1EEEvT1_
	.globl	_ZN7rocprim17ROCPRIM_400000_NS6detail17trampoline_kernelINS0_14default_configENS1_20scan_config_selectorIfEEZZNS1_9scan_implILNS1_25lookback_scan_determinismE0ELb0ELb0ES3_N6thrust23THRUST_200600_302600_NS6detail15normal_iteratorINS9_10device_ptrIfEEEENS9_16discard_iteratorINS9_11use_defaultEEEf11max_functorIfEfEEDaPvRmT3_T4_T5_mT6_P12ihipStream_tbENKUlT_T0_E_clISt17integral_constantIbLb0EESW_IbLb1EEEEDaSS_ST_EUlSS_E0_NS1_11comp_targetILNS1_3genE0ELNS1_11target_archE4294967295ELNS1_3gpuE0ELNS1_3repE0EEENS1_30default_config_static_selectorELNS0_4arch9wavefront6targetE1EEEvT1_
	.p2align	8
	.type	_ZN7rocprim17ROCPRIM_400000_NS6detail17trampoline_kernelINS0_14default_configENS1_20scan_config_selectorIfEEZZNS1_9scan_implILNS1_25lookback_scan_determinismE0ELb0ELb0ES3_N6thrust23THRUST_200600_302600_NS6detail15normal_iteratorINS9_10device_ptrIfEEEENS9_16discard_iteratorINS9_11use_defaultEEEf11max_functorIfEfEEDaPvRmT3_T4_T5_mT6_P12ihipStream_tbENKUlT_T0_E_clISt17integral_constantIbLb0EESW_IbLb1EEEEDaSS_ST_EUlSS_E0_NS1_11comp_targetILNS1_3genE0ELNS1_11target_archE4294967295ELNS1_3gpuE0ELNS1_3repE0EEENS1_30default_config_static_selectorELNS0_4arch9wavefront6targetE1EEEvT1_,@function
_ZN7rocprim17ROCPRIM_400000_NS6detail17trampoline_kernelINS0_14default_configENS1_20scan_config_selectorIfEEZZNS1_9scan_implILNS1_25lookback_scan_determinismE0ELb0ELb0ES3_N6thrust23THRUST_200600_302600_NS6detail15normal_iteratorINS9_10device_ptrIfEEEENS9_16discard_iteratorINS9_11use_defaultEEEf11max_functorIfEfEEDaPvRmT3_T4_T5_mT6_P12ihipStream_tbENKUlT_T0_E_clISt17integral_constantIbLb0EESW_IbLb1EEEEDaSS_ST_EUlSS_E0_NS1_11comp_targetILNS1_3genE0ELNS1_11target_archE4294967295ELNS1_3gpuE0ELNS1_3repE0EEENS1_30default_config_static_selectorELNS0_4arch9wavefront6targetE1EEEvT1_: ; @_ZN7rocprim17ROCPRIM_400000_NS6detail17trampoline_kernelINS0_14default_configENS1_20scan_config_selectorIfEEZZNS1_9scan_implILNS1_25lookback_scan_determinismE0ELb0ELb0ES3_N6thrust23THRUST_200600_302600_NS6detail15normal_iteratorINS9_10device_ptrIfEEEENS9_16discard_iteratorINS9_11use_defaultEEEf11max_functorIfEfEEDaPvRmT3_T4_T5_mT6_P12ihipStream_tbENKUlT_T0_E_clISt17integral_constantIbLb0EESW_IbLb1EEEEDaSS_ST_EUlSS_E0_NS1_11comp_targetILNS1_3genE0ELNS1_11target_archE4294967295ELNS1_3gpuE0ELNS1_3repE0EEENS1_30default_config_static_selectorELNS0_4arch9wavefront6targetE1EEEvT1_
; %bb.0:
	.section	.rodata,"a",@progbits
	.p2align	6, 0x0
	.amdhsa_kernel _ZN7rocprim17ROCPRIM_400000_NS6detail17trampoline_kernelINS0_14default_configENS1_20scan_config_selectorIfEEZZNS1_9scan_implILNS1_25lookback_scan_determinismE0ELb0ELb0ES3_N6thrust23THRUST_200600_302600_NS6detail15normal_iteratorINS9_10device_ptrIfEEEENS9_16discard_iteratorINS9_11use_defaultEEEf11max_functorIfEfEEDaPvRmT3_T4_T5_mT6_P12ihipStream_tbENKUlT_T0_E_clISt17integral_constantIbLb0EESW_IbLb1EEEEDaSS_ST_EUlSS_E0_NS1_11comp_targetILNS1_3genE0ELNS1_11target_archE4294967295ELNS1_3gpuE0ELNS1_3repE0EEENS1_30default_config_static_selectorELNS0_4arch9wavefront6targetE1EEEvT1_
		.amdhsa_group_segment_fixed_size 0
		.amdhsa_private_segment_fixed_size 0
		.amdhsa_kernarg_size 40
		.amdhsa_user_sgpr_count 6
		.amdhsa_user_sgpr_private_segment_buffer 1
		.amdhsa_user_sgpr_dispatch_ptr 0
		.amdhsa_user_sgpr_queue_ptr 0
		.amdhsa_user_sgpr_kernarg_segment_ptr 1
		.amdhsa_user_sgpr_dispatch_id 0
		.amdhsa_user_sgpr_flat_scratch_init 0
		.amdhsa_user_sgpr_kernarg_preload_length 0
		.amdhsa_user_sgpr_kernarg_preload_offset 0
		.amdhsa_user_sgpr_private_segment_size 0
		.amdhsa_uses_dynamic_stack 0
		.amdhsa_system_sgpr_private_segment_wavefront_offset 0
		.amdhsa_system_sgpr_workgroup_id_x 1
		.amdhsa_system_sgpr_workgroup_id_y 0
		.amdhsa_system_sgpr_workgroup_id_z 0
		.amdhsa_system_sgpr_workgroup_info 0
		.amdhsa_system_vgpr_workitem_id 0
		.amdhsa_next_free_vgpr 1
		.amdhsa_next_free_sgpr 0
		.amdhsa_accum_offset 4
		.amdhsa_reserve_vcc 0
		.amdhsa_reserve_flat_scratch 0
		.amdhsa_float_round_mode_32 0
		.amdhsa_float_round_mode_16_64 0
		.amdhsa_float_denorm_mode_32 3
		.amdhsa_float_denorm_mode_16_64 3
		.amdhsa_dx10_clamp 1
		.amdhsa_ieee_mode 1
		.amdhsa_fp16_overflow 0
		.amdhsa_tg_split 0
		.amdhsa_exception_fp_ieee_invalid_op 0
		.amdhsa_exception_fp_denorm_src 0
		.amdhsa_exception_fp_ieee_div_zero 0
		.amdhsa_exception_fp_ieee_overflow 0
		.amdhsa_exception_fp_ieee_underflow 0
		.amdhsa_exception_fp_ieee_inexact 0
		.amdhsa_exception_int_div_zero 0
	.end_amdhsa_kernel
	.section	.text._ZN7rocprim17ROCPRIM_400000_NS6detail17trampoline_kernelINS0_14default_configENS1_20scan_config_selectorIfEEZZNS1_9scan_implILNS1_25lookback_scan_determinismE0ELb0ELb0ES3_N6thrust23THRUST_200600_302600_NS6detail15normal_iteratorINS9_10device_ptrIfEEEENS9_16discard_iteratorINS9_11use_defaultEEEf11max_functorIfEfEEDaPvRmT3_T4_T5_mT6_P12ihipStream_tbENKUlT_T0_E_clISt17integral_constantIbLb0EESW_IbLb1EEEEDaSS_ST_EUlSS_E0_NS1_11comp_targetILNS1_3genE0ELNS1_11target_archE4294967295ELNS1_3gpuE0ELNS1_3repE0EEENS1_30default_config_static_selectorELNS0_4arch9wavefront6targetE1EEEvT1_,"axG",@progbits,_ZN7rocprim17ROCPRIM_400000_NS6detail17trampoline_kernelINS0_14default_configENS1_20scan_config_selectorIfEEZZNS1_9scan_implILNS1_25lookback_scan_determinismE0ELb0ELb0ES3_N6thrust23THRUST_200600_302600_NS6detail15normal_iteratorINS9_10device_ptrIfEEEENS9_16discard_iteratorINS9_11use_defaultEEEf11max_functorIfEfEEDaPvRmT3_T4_T5_mT6_P12ihipStream_tbENKUlT_T0_E_clISt17integral_constantIbLb0EESW_IbLb1EEEEDaSS_ST_EUlSS_E0_NS1_11comp_targetILNS1_3genE0ELNS1_11target_archE4294967295ELNS1_3gpuE0ELNS1_3repE0EEENS1_30default_config_static_selectorELNS0_4arch9wavefront6targetE1EEEvT1_,comdat
.Lfunc_end3197:
	.size	_ZN7rocprim17ROCPRIM_400000_NS6detail17trampoline_kernelINS0_14default_configENS1_20scan_config_selectorIfEEZZNS1_9scan_implILNS1_25lookback_scan_determinismE0ELb0ELb0ES3_N6thrust23THRUST_200600_302600_NS6detail15normal_iteratorINS9_10device_ptrIfEEEENS9_16discard_iteratorINS9_11use_defaultEEEf11max_functorIfEfEEDaPvRmT3_T4_T5_mT6_P12ihipStream_tbENKUlT_T0_E_clISt17integral_constantIbLb0EESW_IbLb1EEEEDaSS_ST_EUlSS_E0_NS1_11comp_targetILNS1_3genE0ELNS1_11target_archE4294967295ELNS1_3gpuE0ELNS1_3repE0EEENS1_30default_config_static_selectorELNS0_4arch9wavefront6targetE1EEEvT1_, .Lfunc_end3197-_ZN7rocprim17ROCPRIM_400000_NS6detail17trampoline_kernelINS0_14default_configENS1_20scan_config_selectorIfEEZZNS1_9scan_implILNS1_25lookback_scan_determinismE0ELb0ELb0ES3_N6thrust23THRUST_200600_302600_NS6detail15normal_iteratorINS9_10device_ptrIfEEEENS9_16discard_iteratorINS9_11use_defaultEEEf11max_functorIfEfEEDaPvRmT3_T4_T5_mT6_P12ihipStream_tbENKUlT_T0_E_clISt17integral_constantIbLb0EESW_IbLb1EEEEDaSS_ST_EUlSS_E0_NS1_11comp_targetILNS1_3genE0ELNS1_11target_archE4294967295ELNS1_3gpuE0ELNS1_3repE0EEENS1_30default_config_static_selectorELNS0_4arch9wavefront6targetE1EEEvT1_
                                        ; -- End function
	.section	.AMDGPU.csdata,"",@progbits
; Kernel info:
; codeLenInByte = 0
; NumSgprs: 4
; NumVgprs: 0
; NumAgprs: 0
; TotalNumVgprs: 0
; ScratchSize: 0
; MemoryBound: 0
; FloatMode: 240
; IeeeMode: 1
; LDSByteSize: 0 bytes/workgroup (compile time only)
; SGPRBlocks: 0
; VGPRBlocks: 0
; NumSGPRsForWavesPerEU: 4
; NumVGPRsForWavesPerEU: 1
; AccumOffset: 4
; Occupancy: 8
; WaveLimiterHint : 0
; COMPUTE_PGM_RSRC2:SCRATCH_EN: 0
; COMPUTE_PGM_RSRC2:USER_SGPR: 6
; COMPUTE_PGM_RSRC2:TRAP_HANDLER: 0
; COMPUTE_PGM_RSRC2:TGID_X_EN: 1
; COMPUTE_PGM_RSRC2:TGID_Y_EN: 0
; COMPUTE_PGM_RSRC2:TGID_Z_EN: 0
; COMPUTE_PGM_RSRC2:TIDIG_COMP_CNT: 0
; COMPUTE_PGM_RSRC3_GFX90A:ACCUM_OFFSET: 0
; COMPUTE_PGM_RSRC3_GFX90A:TG_SPLIT: 0
	.section	.text._ZN7rocprim17ROCPRIM_400000_NS6detail17trampoline_kernelINS0_14default_configENS1_20scan_config_selectorIfEEZZNS1_9scan_implILNS1_25lookback_scan_determinismE0ELb0ELb0ES3_N6thrust23THRUST_200600_302600_NS6detail15normal_iteratorINS9_10device_ptrIfEEEENS9_16discard_iteratorINS9_11use_defaultEEEf11max_functorIfEfEEDaPvRmT3_T4_T5_mT6_P12ihipStream_tbENKUlT_T0_E_clISt17integral_constantIbLb0EESW_IbLb1EEEEDaSS_ST_EUlSS_E0_NS1_11comp_targetILNS1_3genE5ELNS1_11target_archE942ELNS1_3gpuE9ELNS1_3repE0EEENS1_30default_config_static_selectorELNS0_4arch9wavefront6targetE1EEEvT1_,"axG",@progbits,_ZN7rocprim17ROCPRIM_400000_NS6detail17trampoline_kernelINS0_14default_configENS1_20scan_config_selectorIfEEZZNS1_9scan_implILNS1_25lookback_scan_determinismE0ELb0ELb0ES3_N6thrust23THRUST_200600_302600_NS6detail15normal_iteratorINS9_10device_ptrIfEEEENS9_16discard_iteratorINS9_11use_defaultEEEf11max_functorIfEfEEDaPvRmT3_T4_T5_mT6_P12ihipStream_tbENKUlT_T0_E_clISt17integral_constantIbLb0EESW_IbLb1EEEEDaSS_ST_EUlSS_E0_NS1_11comp_targetILNS1_3genE5ELNS1_11target_archE942ELNS1_3gpuE9ELNS1_3repE0EEENS1_30default_config_static_selectorELNS0_4arch9wavefront6targetE1EEEvT1_,comdat
	.protected	_ZN7rocprim17ROCPRIM_400000_NS6detail17trampoline_kernelINS0_14default_configENS1_20scan_config_selectorIfEEZZNS1_9scan_implILNS1_25lookback_scan_determinismE0ELb0ELb0ES3_N6thrust23THRUST_200600_302600_NS6detail15normal_iteratorINS9_10device_ptrIfEEEENS9_16discard_iteratorINS9_11use_defaultEEEf11max_functorIfEfEEDaPvRmT3_T4_T5_mT6_P12ihipStream_tbENKUlT_T0_E_clISt17integral_constantIbLb0EESW_IbLb1EEEEDaSS_ST_EUlSS_E0_NS1_11comp_targetILNS1_3genE5ELNS1_11target_archE942ELNS1_3gpuE9ELNS1_3repE0EEENS1_30default_config_static_selectorELNS0_4arch9wavefront6targetE1EEEvT1_ ; -- Begin function _ZN7rocprim17ROCPRIM_400000_NS6detail17trampoline_kernelINS0_14default_configENS1_20scan_config_selectorIfEEZZNS1_9scan_implILNS1_25lookback_scan_determinismE0ELb0ELb0ES3_N6thrust23THRUST_200600_302600_NS6detail15normal_iteratorINS9_10device_ptrIfEEEENS9_16discard_iteratorINS9_11use_defaultEEEf11max_functorIfEfEEDaPvRmT3_T4_T5_mT6_P12ihipStream_tbENKUlT_T0_E_clISt17integral_constantIbLb0EESW_IbLb1EEEEDaSS_ST_EUlSS_E0_NS1_11comp_targetILNS1_3genE5ELNS1_11target_archE942ELNS1_3gpuE9ELNS1_3repE0EEENS1_30default_config_static_selectorELNS0_4arch9wavefront6targetE1EEEvT1_
	.globl	_ZN7rocprim17ROCPRIM_400000_NS6detail17trampoline_kernelINS0_14default_configENS1_20scan_config_selectorIfEEZZNS1_9scan_implILNS1_25lookback_scan_determinismE0ELb0ELb0ES3_N6thrust23THRUST_200600_302600_NS6detail15normal_iteratorINS9_10device_ptrIfEEEENS9_16discard_iteratorINS9_11use_defaultEEEf11max_functorIfEfEEDaPvRmT3_T4_T5_mT6_P12ihipStream_tbENKUlT_T0_E_clISt17integral_constantIbLb0EESW_IbLb1EEEEDaSS_ST_EUlSS_E0_NS1_11comp_targetILNS1_3genE5ELNS1_11target_archE942ELNS1_3gpuE9ELNS1_3repE0EEENS1_30default_config_static_selectorELNS0_4arch9wavefront6targetE1EEEvT1_
	.p2align	8
	.type	_ZN7rocprim17ROCPRIM_400000_NS6detail17trampoline_kernelINS0_14default_configENS1_20scan_config_selectorIfEEZZNS1_9scan_implILNS1_25lookback_scan_determinismE0ELb0ELb0ES3_N6thrust23THRUST_200600_302600_NS6detail15normal_iteratorINS9_10device_ptrIfEEEENS9_16discard_iteratorINS9_11use_defaultEEEf11max_functorIfEfEEDaPvRmT3_T4_T5_mT6_P12ihipStream_tbENKUlT_T0_E_clISt17integral_constantIbLb0EESW_IbLb1EEEEDaSS_ST_EUlSS_E0_NS1_11comp_targetILNS1_3genE5ELNS1_11target_archE942ELNS1_3gpuE9ELNS1_3repE0EEENS1_30default_config_static_selectorELNS0_4arch9wavefront6targetE1EEEvT1_,@function
_ZN7rocprim17ROCPRIM_400000_NS6detail17trampoline_kernelINS0_14default_configENS1_20scan_config_selectorIfEEZZNS1_9scan_implILNS1_25lookback_scan_determinismE0ELb0ELb0ES3_N6thrust23THRUST_200600_302600_NS6detail15normal_iteratorINS9_10device_ptrIfEEEENS9_16discard_iteratorINS9_11use_defaultEEEf11max_functorIfEfEEDaPvRmT3_T4_T5_mT6_P12ihipStream_tbENKUlT_T0_E_clISt17integral_constantIbLb0EESW_IbLb1EEEEDaSS_ST_EUlSS_E0_NS1_11comp_targetILNS1_3genE5ELNS1_11target_archE942ELNS1_3gpuE9ELNS1_3repE0EEENS1_30default_config_static_selectorELNS0_4arch9wavefront6targetE1EEEvT1_: ; @_ZN7rocprim17ROCPRIM_400000_NS6detail17trampoline_kernelINS0_14default_configENS1_20scan_config_selectorIfEEZZNS1_9scan_implILNS1_25lookback_scan_determinismE0ELb0ELb0ES3_N6thrust23THRUST_200600_302600_NS6detail15normal_iteratorINS9_10device_ptrIfEEEENS9_16discard_iteratorINS9_11use_defaultEEEf11max_functorIfEfEEDaPvRmT3_T4_T5_mT6_P12ihipStream_tbENKUlT_T0_E_clISt17integral_constantIbLb0EESW_IbLb1EEEEDaSS_ST_EUlSS_E0_NS1_11comp_targetILNS1_3genE5ELNS1_11target_archE942ELNS1_3gpuE9ELNS1_3repE0EEENS1_30default_config_static_selectorELNS0_4arch9wavefront6targetE1EEEvT1_
; %bb.0:
	.section	.rodata,"a",@progbits
	.p2align	6, 0x0
	.amdhsa_kernel _ZN7rocprim17ROCPRIM_400000_NS6detail17trampoline_kernelINS0_14default_configENS1_20scan_config_selectorIfEEZZNS1_9scan_implILNS1_25lookback_scan_determinismE0ELb0ELb0ES3_N6thrust23THRUST_200600_302600_NS6detail15normal_iteratorINS9_10device_ptrIfEEEENS9_16discard_iteratorINS9_11use_defaultEEEf11max_functorIfEfEEDaPvRmT3_T4_T5_mT6_P12ihipStream_tbENKUlT_T0_E_clISt17integral_constantIbLb0EESW_IbLb1EEEEDaSS_ST_EUlSS_E0_NS1_11comp_targetILNS1_3genE5ELNS1_11target_archE942ELNS1_3gpuE9ELNS1_3repE0EEENS1_30default_config_static_selectorELNS0_4arch9wavefront6targetE1EEEvT1_
		.amdhsa_group_segment_fixed_size 0
		.amdhsa_private_segment_fixed_size 0
		.amdhsa_kernarg_size 40
		.amdhsa_user_sgpr_count 6
		.amdhsa_user_sgpr_private_segment_buffer 1
		.amdhsa_user_sgpr_dispatch_ptr 0
		.amdhsa_user_sgpr_queue_ptr 0
		.amdhsa_user_sgpr_kernarg_segment_ptr 1
		.amdhsa_user_sgpr_dispatch_id 0
		.amdhsa_user_sgpr_flat_scratch_init 0
		.amdhsa_user_sgpr_kernarg_preload_length 0
		.amdhsa_user_sgpr_kernarg_preload_offset 0
		.amdhsa_user_sgpr_private_segment_size 0
		.amdhsa_uses_dynamic_stack 0
		.amdhsa_system_sgpr_private_segment_wavefront_offset 0
		.amdhsa_system_sgpr_workgroup_id_x 1
		.amdhsa_system_sgpr_workgroup_id_y 0
		.amdhsa_system_sgpr_workgroup_id_z 0
		.amdhsa_system_sgpr_workgroup_info 0
		.amdhsa_system_vgpr_workitem_id 0
		.amdhsa_next_free_vgpr 1
		.amdhsa_next_free_sgpr 0
		.amdhsa_accum_offset 4
		.amdhsa_reserve_vcc 0
		.amdhsa_reserve_flat_scratch 0
		.amdhsa_float_round_mode_32 0
		.amdhsa_float_round_mode_16_64 0
		.amdhsa_float_denorm_mode_32 3
		.amdhsa_float_denorm_mode_16_64 3
		.amdhsa_dx10_clamp 1
		.amdhsa_ieee_mode 1
		.amdhsa_fp16_overflow 0
		.amdhsa_tg_split 0
		.amdhsa_exception_fp_ieee_invalid_op 0
		.amdhsa_exception_fp_denorm_src 0
		.amdhsa_exception_fp_ieee_div_zero 0
		.amdhsa_exception_fp_ieee_overflow 0
		.amdhsa_exception_fp_ieee_underflow 0
		.amdhsa_exception_fp_ieee_inexact 0
		.amdhsa_exception_int_div_zero 0
	.end_amdhsa_kernel
	.section	.text._ZN7rocprim17ROCPRIM_400000_NS6detail17trampoline_kernelINS0_14default_configENS1_20scan_config_selectorIfEEZZNS1_9scan_implILNS1_25lookback_scan_determinismE0ELb0ELb0ES3_N6thrust23THRUST_200600_302600_NS6detail15normal_iteratorINS9_10device_ptrIfEEEENS9_16discard_iteratorINS9_11use_defaultEEEf11max_functorIfEfEEDaPvRmT3_T4_T5_mT6_P12ihipStream_tbENKUlT_T0_E_clISt17integral_constantIbLb0EESW_IbLb1EEEEDaSS_ST_EUlSS_E0_NS1_11comp_targetILNS1_3genE5ELNS1_11target_archE942ELNS1_3gpuE9ELNS1_3repE0EEENS1_30default_config_static_selectorELNS0_4arch9wavefront6targetE1EEEvT1_,"axG",@progbits,_ZN7rocprim17ROCPRIM_400000_NS6detail17trampoline_kernelINS0_14default_configENS1_20scan_config_selectorIfEEZZNS1_9scan_implILNS1_25lookback_scan_determinismE0ELb0ELb0ES3_N6thrust23THRUST_200600_302600_NS6detail15normal_iteratorINS9_10device_ptrIfEEEENS9_16discard_iteratorINS9_11use_defaultEEEf11max_functorIfEfEEDaPvRmT3_T4_T5_mT6_P12ihipStream_tbENKUlT_T0_E_clISt17integral_constantIbLb0EESW_IbLb1EEEEDaSS_ST_EUlSS_E0_NS1_11comp_targetILNS1_3genE5ELNS1_11target_archE942ELNS1_3gpuE9ELNS1_3repE0EEENS1_30default_config_static_selectorELNS0_4arch9wavefront6targetE1EEEvT1_,comdat
.Lfunc_end3198:
	.size	_ZN7rocprim17ROCPRIM_400000_NS6detail17trampoline_kernelINS0_14default_configENS1_20scan_config_selectorIfEEZZNS1_9scan_implILNS1_25lookback_scan_determinismE0ELb0ELb0ES3_N6thrust23THRUST_200600_302600_NS6detail15normal_iteratorINS9_10device_ptrIfEEEENS9_16discard_iteratorINS9_11use_defaultEEEf11max_functorIfEfEEDaPvRmT3_T4_T5_mT6_P12ihipStream_tbENKUlT_T0_E_clISt17integral_constantIbLb0EESW_IbLb1EEEEDaSS_ST_EUlSS_E0_NS1_11comp_targetILNS1_3genE5ELNS1_11target_archE942ELNS1_3gpuE9ELNS1_3repE0EEENS1_30default_config_static_selectorELNS0_4arch9wavefront6targetE1EEEvT1_, .Lfunc_end3198-_ZN7rocprim17ROCPRIM_400000_NS6detail17trampoline_kernelINS0_14default_configENS1_20scan_config_selectorIfEEZZNS1_9scan_implILNS1_25lookback_scan_determinismE0ELb0ELb0ES3_N6thrust23THRUST_200600_302600_NS6detail15normal_iteratorINS9_10device_ptrIfEEEENS9_16discard_iteratorINS9_11use_defaultEEEf11max_functorIfEfEEDaPvRmT3_T4_T5_mT6_P12ihipStream_tbENKUlT_T0_E_clISt17integral_constantIbLb0EESW_IbLb1EEEEDaSS_ST_EUlSS_E0_NS1_11comp_targetILNS1_3genE5ELNS1_11target_archE942ELNS1_3gpuE9ELNS1_3repE0EEENS1_30default_config_static_selectorELNS0_4arch9wavefront6targetE1EEEvT1_
                                        ; -- End function
	.section	.AMDGPU.csdata,"",@progbits
; Kernel info:
; codeLenInByte = 0
; NumSgprs: 4
; NumVgprs: 0
; NumAgprs: 0
; TotalNumVgprs: 0
; ScratchSize: 0
; MemoryBound: 0
; FloatMode: 240
; IeeeMode: 1
; LDSByteSize: 0 bytes/workgroup (compile time only)
; SGPRBlocks: 0
; VGPRBlocks: 0
; NumSGPRsForWavesPerEU: 4
; NumVGPRsForWavesPerEU: 1
; AccumOffset: 4
; Occupancy: 8
; WaveLimiterHint : 0
; COMPUTE_PGM_RSRC2:SCRATCH_EN: 0
; COMPUTE_PGM_RSRC2:USER_SGPR: 6
; COMPUTE_PGM_RSRC2:TRAP_HANDLER: 0
; COMPUTE_PGM_RSRC2:TGID_X_EN: 1
; COMPUTE_PGM_RSRC2:TGID_Y_EN: 0
; COMPUTE_PGM_RSRC2:TGID_Z_EN: 0
; COMPUTE_PGM_RSRC2:TIDIG_COMP_CNT: 0
; COMPUTE_PGM_RSRC3_GFX90A:ACCUM_OFFSET: 0
; COMPUTE_PGM_RSRC3_GFX90A:TG_SPLIT: 0
	.section	.text._ZN7rocprim17ROCPRIM_400000_NS6detail17trampoline_kernelINS0_14default_configENS1_20scan_config_selectorIfEEZZNS1_9scan_implILNS1_25lookback_scan_determinismE0ELb0ELb0ES3_N6thrust23THRUST_200600_302600_NS6detail15normal_iteratorINS9_10device_ptrIfEEEENS9_16discard_iteratorINS9_11use_defaultEEEf11max_functorIfEfEEDaPvRmT3_T4_T5_mT6_P12ihipStream_tbENKUlT_T0_E_clISt17integral_constantIbLb0EESW_IbLb1EEEEDaSS_ST_EUlSS_E0_NS1_11comp_targetILNS1_3genE4ELNS1_11target_archE910ELNS1_3gpuE8ELNS1_3repE0EEENS1_30default_config_static_selectorELNS0_4arch9wavefront6targetE1EEEvT1_,"axG",@progbits,_ZN7rocprim17ROCPRIM_400000_NS6detail17trampoline_kernelINS0_14default_configENS1_20scan_config_selectorIfEEZZNS1_9scan_implILNS1_25lookback_scan_determinismE0ELb0ELb0ES3_N6thrust23THRUST_200600_302600_NS6detail15normal_iteratorINS9_10device_ptrIfEEEENS9_16discard_iteratorINS9_11use_defaultEEEf11max_functorIfEfEEDaPvRmT3_T4_T5_mT6_P12ihipStream_tbENKUlT_T0_E_clISt17integral_constantIbLb0EESW_IbLb1EEEEDaSS_ST_EUlSS_E0_NS1_11comp_targetILNS1_3genE4ELNS1_11target_archE910ELNS1_3gpuE8ELNS1_3repE0EEENS1_30default_config_static_selectorELNS0_4arch9wavefront6targetE1EEEvT1_,comdat
	.protected	_ZN7rocprim17ROCPRIM_400000_NS6detail17trampoline_kernelINS0_14default_configENS1_20scan_config_selectorIfEEZZNS1_9scan_implILNS1_25lookback_scan_determinismE0ELb0ELb0ES3_N6thrust23THRUST_200600_302600_NS6detail15normal_iteratorINS9_10device_ptrIfEEEENS9_16discard_iteratorINS9_11use_defaultEEEf11max_functorIfEfEEDaPvRmT3_T4_T5_mT6_P12ihipStream_tbENKUlT_T0_E_clISt17integral_constantIbLb0EESW_IbLb1EEEEDaSS_ST_EUlSS_E0_NS1_11comp_targetILNS1_3genE4ELNS1_11target_archE910ELNS1_3gpuE8ELNS1_3repE0EEENS1_30default_config_static_selectorELNS0_4arch9wavefront6targetE1EEEvT1_ ; -- Begin function _ZN7rocprim17ROCPRIM_400000_NS6detail17trampoline_kernelINS0_14default_configENS1_20scan_config_selectorIfEEZZNS1_9scan_implILNS1_25lookback_scan_determinismE0ELb0ELb0ES3_N6thrust23THRUST_200600_302600_NS6detail15normal_iteratorINS9_10device_ptrIfEEEENS9_16discard_iteratorINS9_11use_defaultEEEf11max_functorIfEfEEDaPvRmT3_T4_T5_mT6_P12ihipStream_tbENKUlT_T0_E_clISt17integral_constantIbLb0EESW_IbLb1EEEEDaSS_ST_EUlSS_E0_NS1_11comp_targetILNS1_3genE4ELNS1_11target_archE910ELNS1_3gpuE8ELNS1_3repE0EEENS1_30default_config_static_selectorELNS0_4arch9wavefront6targetE1EEEvT1_
	.globl	_ZN7rocprim17ROCPRIM_400000_NS6detail17trampoline_kernelINS0_14default_configENS1_20scan_config_selectorIfEEZZNS1_9scan_implILNS1_25lookback_scan_determinismE0ELb0ELb0ES3_N6thrust23THRUST_200600_302600_NS6detail15normal_iteratorINS9_10device_ptrIfEEEENS9_16discard_iteratorINS9_11use_defaultEEEf11max_functorIfEfEEDaPvRmT3_T4_T5_mT6_P12ihipStream_tbENKUlT_T0_E_clISt17integral_constantIbLb0EESW_IbLb1EEEEDaSS_ST_EUlSS_E0_NS1_11comp_targetILNS1_3genE4ELNS1_11target_archE910ELNS1_3gpuE8ELNS1_3repE0EEENS1_30default_config_static_selectorELNS0_4arch9wavefront6targetE1EEEvT1_
	.p2align	8
	.type	_ZN7rocprim17ROCPRIM_400000_NS6detail17trampoline_kernelINS0_14default_configENS1_20scan_config_selectorIfEEZZNS1_9scan_implILNS1_25lookback_scan_determinismE0ELb0ELb0ES3_N6thrust23THRUST_200600_302600_NS6detail15normal_iteratorINS9_10device_ptrIfEEEENS9_16discard_iteratorINS9_11use_defaultEEEf11max_functorIfEfEEDaPvRmT3_T4_T5_mT6_P12ihipStream_tbENKUlT_T0_E_clISt17integral_constantIbLb0EESW_IbLb1EEEEDaSS_ST_EUlSS_E0_NS1_11comp_targetILNS1_3genE4ELNS1_11target_archE910ELNS1_3gpuE8ELNS1_3repE0EEENS1_30default_config_static_selectorELNS0_4arch9wavefront6targetE1EEEvT1_,@function
_ZN7rocprim17ROCPRIM_400000_NS6detail17trampoline_kernelINS0_14default_configENS1_20scan_config_selectorIfEEZZNS1_9scan_implILNS1_25lookback_scan_determinismE0ELb0ELb0ES3_N6thrust23THRUST_200600_302600_NS6detail15normal_iteratorINS9_10device_ptrIfEEEENS9_16discard_iteratorINS9_11use_defaultEEEf11max_functorIfEfEEDaPvRmT3_T4_T5_mT6_P12ihipStream_tbENKUlT_T0_E_clISt17integral_constantIbLb0EESW_IbLb1EEEEDaSS_ST_EUlSS_E0_NS1_11comp_targetILNS1_3genE4ELNS1_11target_archE910ELNS1_3gpuE8ELNS1_3repE0EEENS1_30default_config_static_selectorELNS0_4arch9wavefront6targetE1EEEvT1_: ; @_ZN7rocprim17ROCPRIM_400000_NS6detail17trampoline_kernelINS0_14default_configENS1_20scan_config_selectorIfEEZZNS1_9scan_implILNS1_25lookback_scan_determinismE0ELb0ELb0ES3_N6thrust23THRUST_200600_302600_NS6detail15normal_iteratorINS9_10device_ptrIfEEEENS9_16discard_iteratorINS9_11use_defaultEEEf11max_functorIfEfEEDaPvRmT3_T4_T5_mT6_P12ihipStream_tbENKUlT_T0_E_clISt17integral_constantIbLb0EESW_IbLb1EEEEDaSS_ST_EUlSS_E0_NS1_11comp_targetILNS1_3genE4ELNS1_11target_archE910ELNS1_3gpuE8ELNS1_3repE0EEENS1_30default_config_static_selectorELNS0_4arch9wavefront6targetE1EEEvT1_
; %bb.0:
	s_load_dwordx4 s[0:3], s[4:5], 0x0
	v_lshlrev_b32_e32 v1, 2, v0
	s_waitcnt lgkmcnt(0)
	s_load_dword s3, s[0:1], 0x0
	v_cmp_gt_u32_e32 vcc, s2, v0
	s_waitcnt lgkmcnt(0)
	v_mov_b32_e32 v2, s3
	s_and_saveexec_b64 s[4:5], vcc
	s_cbranch_execz .LBB3199_2
; %bb.1:
	global_load_dword v2, v1, s[0:1]
.LBB3199_2:
	s_or_b64 exec, exec, s[4:5]
	v_or_b32_e32 v3, 0x80, v0
	v_cmp_gt_u32_e32 vcc, s2, v3
	v_mov_b32_e32 v3, s3
	s_and_saveexec_b64 s[4:5], vcc
	s_cbranch_execz .LBB3199_4
; %bb.3:
	global_load_dword v3, v1, s[0:1] offset:512
.LBB3199_4:
	s_or_b64 exec, exec, s[4:5]
	v_or_b32_e32 v4, 0x100, v0
	v_cmp_gt_u32_e32 vcc, s2, v4
	v_mov_b32_e32 v4, s3
	s_and_saveexec_b64 s[4:5], vcc
	s_cbranch_execz .LBB3199_6
; %bb.5:
	global_load_dword v4, v1, s[0:1] offset:1024
.LBB3199_6:
	;; [unrolled: 9-line block ×7, first 2 shown]
	s_or_b64 exec, exec, s[4:5]
	v_or_b32_e32 v11, 0x400, v0
	v_cmp_gt_u32_e32 vcc, s2, v11
	v_mov_b32_e32 v10, s3
	s_and_saveexec_b64 s[4:5], vcc
	s_cbranch_execz .LBB3199_18
; %bb.17:
	v_lshlrev_b32_e32 v10, 2, v11
	global_load_dword v10, v10, s[0:1]
.LBB3199_18:
	s_or_b64 exec, exec, s[4:5]
	v_or_b32_e32 v12, 0x480, v0
	v_cmp_gt_u32_e32 vcc, s2, v12
	v_mov_b32_e32 v11, s3
	s_and_saveexec_b64 s[4:5], vcc
	s_cbranch_execz .LBB3199_20
; %bb.19:
	v_lshlrev_b32_e32 v11, 2, v12
	global_load_dword v11, v11, s[0:1]
.LBB3199_20:
	;; [unrolled: 10-line block ×6, first 2 shown]
	s_or_b64 exec, exec, s[2:3]
	s_waitcnt vmcnt(0)
	ds_write2st64_b32 v1, v2, v3 offset1:2
	ds_write2st64_b32 v1, v4, v5 offset0:4 offset1:6
	ds_write2st64_b32 v1, v6, v7 offset0:8 offset1:10
	ds_write2st64_b32 v1, v8, v9 offset0:12 offset1:14
	ds_write2st64_b32 v1, v10, v11 offset0:16 offset1:18
	ds_write2st64_b32 v1, v12, v13 offset0:20 offset1:22
	ds_write2st64_b32 v1, v14, v15 offset0:24 offset1:26
	v_mad_u32_u24 v14, v0, 52, v1
	s_waitcnt lgkmcnt(0)
	s_barrier
	ds_read2_b64 v[2:5], v14 offset1:1
	ds_read2_b64 v[10:13], v14 offset0:2 offset1:3
	ds_read2_b64 v[6:9], v14 offset0:4 offset1:5
	ds_read_b64 v[14:15], v14 offset:48
	v_lshrrev_b32_e32 v17, 3, v0
	s_waitcnt lgkmcnt(3)
	v_cmp_lt_f32_e32 vcc, v2, v3
	v_cndmask_b32_e32 v16, v2, v3, vcc
	v_cmp_lt_f32_e32 vcc, v16, v4
	v_cndmask_b32_e32 v16, v16, v4, vcc
	v_cmp_lt_f32_e32 vcc, v16, v5
	v_cndmask_b32_e32 v16, v16, v5, vcc
	s_waitcnt lgkmcnt(2)
	v_cmp_lt_f32_e32 vcc, v16, v10
	v_cndmask_b32_e32 v16, v16, v10, vcc
	v_cmp_lt_f32_e32 vcc, v16, v11
	v_cndmask_b32_e32 v16, v16, v11, vcc
	v_cmp_lt_f32_e32 vcc, v16, v12
	v_cndmask_b32_e32 v16, v16, v12, vcc
	v_cmp_lt_f32_e32 vcc, v16, v13
	v_cndmask_b32_e32 v16, v16, v13, vcc
	s_waitcnt lgkmcnt(1)
	v_cmp_lt_f32_e32 vcc, v16, v6
	v_cndmask_b32_e32 v16, v16, v6, vcc
	;; [unrolled: 9-line block ×3, first 2 shown]
	v_cmp_lt_f32_e32 vcc, v16, v15
	v_and_b32_e32 v17, 12, v17
	v_cndmask_b32_e32 v16, v16, v15, vcc
	v_add_u32_e32 v17, v1, v17
	v_cmp_gt_u32_e32 vcc, 64, v0
	s_barrier
	ds_write_b32 v17, v16
	s_waitcnt lgkmcnt(0)
	s_barrier
	s_and_saveexec_b64 s[6:7], vcc
	s_cbranch_execz .LBB3199_30
; %bb.29:
	v_lshlrev_b32_e32 v17, 1, v0
	v_lshrrev_b32_e32 v18, 4, v0
	v_add_lshl_u32 v17, v18, v17, 2
	ds_read2_b32 v[18:19], v17 offset1:1
	v_mbcnt_lo_u32_b32 v20, -1, 0
	v_mbcnt_hi_u32_b32 v20, -1, v20
	v_and_b32_e32 v21, 15, v20
	v_cmp_lt_u32_e64 s[4:5], 31, v20
	s_waitcnt lgkmcnt(0)
	v_cmp_lt_f32_e32 vcc, v18, v19
	v_cndmask_b32_e32 v19, v18, v19, vcc
	v_cmp_gt_u32_e64 s[2:3], 32, v20
	s_nop 0
	v_mov_b32_dpp v22, v19 row_shr:1 row_mask:0xf bank_mask:0xf
	v_cmp_gt_f32_e32 vcc, v19, v22
	v_cndmask_b32_e32 v22, v22, v19, vcc
	v_cmp_eq_u32_e32 vcc, 0, v21
	v_cndmask_b32_e32 v19, v22, v19, vcc
	; wave barrier
	s_nop 1
	v_mov_b32_dpp v22, v19 row_shr:2 row_mask:0xf bank_mask:0xf
	v_cmp_gt_f32_e32 vcc, v19, v22
	v_cndmask_b32_e32 v22, v22, v19, vcc
	v_cmp_lt_u32_e32 vcc, 1, v21
	v_cndmask_b32_e32 v22, v19, v22, vcc
	s_nop 1
	v_mov_b32_dpp v23, v22 row_shr:4 row_mask:0xf bank_mask:0xf
	v_cmp_gt_f32_e64 s[0:1], v22, v23
	v_cndmask_b32_e64 v23, v23, v22, s[0:1]
	v_cmp_lt_u32_e64 s[0:1], 3, v21
	v_cndmask_b32_e64 v22, v22, v23, s[0:1]
	s_nop 1
	v_mov_b32_dpp v23, v22 row_shr:8 row_mask:0xf bank_mask:0xf
	v_cmp_gt_f32_e64 s[0:1], v22, v23
	v_cndmask_b32_e64 v23, v23, v22, s[0:1]
	v_cmp_lt_u32_e64 s[0:1], 7, v21
	v_cndmask_b32_e64 v21, v22, v23, s[0:1]
	v_and_b32_e32 v23, 16, v20
	s_nop 0
	v_mov_b32_dpp v22, v21 row_bcast:15 row_mask:0xf bank_mask:0xf
	v_cmp_gt_f32_e64 s[0:1], v21, v22
	v_cndmask_b32_e64 v22, v22, v21, s[0:1]
	v_cmp_ne_u32_e64 s[0:1], 0, v23
	v_cndmask_b32_e64 v21, v21, v22, s[0:1]
	s_or_b64 s[4:5], s[0:1], s[4:5]
	s_or_b64 vcc, vcc, s[4:5]
	v_mov_b32_dpp v22, v21 row_bcast:31 row_mask:0xf bank_mask:0xf
	v_cmp_gt_f32_e64 s[0:1], v21, v22
	s_or_b64 s[0:1], s[2:3], s[0:1]
	v_cndmask_b32_e64 v21, v22, v21, s[0:1]
	v_cndmask_b32_e32 v19, v19, v21, vcc
	v_add_u32_e32 v21, -1, v20
	v_and_b32_e32 v22, 64, v20
	v_cmp_lt_i32_e32 vcc, v21, v22
	v_cndmask_b32_e32 v20, v21, v20, vcc
	v_lshlrev_b32_e32 v20, 2, v20
	ds_bpermute_b32 v19, v20, v19
	s_waitcnt lgkmcnt(0)
	v_cmp_gt_f32_e32 vcc, v18, v19
	v_cndmask_b32_e32 v18, v19, v18, vcc
	v_cmp_eq_u32_e32 vcc, 0, v0
	v_cndmask_b32_e32 v18, v18, v16, vcc
	ds_write_b32 v17, v18
	; wave barrier
	ds_read_b32 v19, v17 offset:4
	s_waitcnt lgkmcnt(0)
	v_cmp_lt_f32_e32 vcc, v18, v19
	v_cndmask_b32_e32 v18, v18, v19, vcc
	ds_write_b32 v17, v18 offset:4
.LBB3199_30:
	s_or_b64 exec, exec, s[6:7]
	v_cmp_ne_u32_e32 vcc, 0, v0
	s_waitcnt lgkmcnt(0)
	s_barrier
	s_and_saveexec_b64 s[0:1], vcc
	s_cbranch_execz .LBB3199_32
; %bb.31:
	v_add_u32_e32 v16, -1, v0
	v_lshrrev_b32_e32 v17, 5, v16
	v_add_lshl_u32 v16, v17, v16, 2
	ds_read_b32 v16, v16
.LBB3199_32:
	s_or_b64 exec, exec, s[0:1]
	v_mul_u32_u24_e32 v0, 52, v0
	s_and_saveexec_b64 s[0:1], vcc
	s_cbranch_execz .LBB3199_34
; %bb.33:
	s_waitcnt lgkmcnt(0)
	v_cmp_gt_f32_e32 vcc, v2, v16
	v_cndmask_b32_e32 v2, v16, v2, vcc
	;;#ASMSTART
	;;#ASMEND
.LBB3199_34:
	s_or_b64 exec, exec, s[0:1]
	v_cmp_gt_f32_e32 vcc, v3, v2
	v_cndmask_b32_e32 v3, v2, v3, vcc
	v_cmp_lt_f32_e32 vcc, v3, v4
	v_cndmask_b32_e32 v4, v3, v4, vcc
	v_cmp_lt_f32_e32 vcc, v4, v5
	;; [unrolled: 2-line block ×12, first 2 shown]
	v_add_u32_e32 v0, v1, v0
	v_cndmask_b32_e32 v15, v14, v15, vcc
	s_waitcnt lgkmcnt(0)
	s_barrier
	ds_write2_b64 v0, v[2:3], v[4:5] offset1:1
	ds_write2_b64 v0, v[10:11], v[12:13] offset0:2 offset1:3
	ds_write2_b64 v0, v[6:7], v[8:9] offset0:4 offset1:5
	ds_write_b64 v0, v[14:15] offset:48
	s_waitcnt lgkmcnt(0)
	s_barrier
	s_endpgm
	.section	.rodata,"a",@progbits
	.p2align	6, 0x0
	.amdhsa_kernel _ZN7rocprim17ROCPRIM_400000_NS6detail17trampoline_kernelINS0_14default_configENS1_20scan_config_selectorIfEEZZNS1_9scan_implILNS1_25lookback_scan_determinismE0ELb0ELb0ES3_N6thrust23THRUST_200600_302600_NS6detail15normal_iteratorINS9_10device_ptrIfEEEENS9_16discard_iteratorINS9_11use_defaultEEEf11max_functorIfEfEEDaPvRmT3_T4_T5_mT6_P12ihipStream_tbENKUlT_T0_E_clISt17integral_constantIbLb0EESW_IbLb1EEEEDaSS_ST_EUlSS_E0_NS1_11comp_targetILNS1_3genE4ELNS1_11target_archE910ELNS1_3gpuE8ELNS1_3repE0EEENS1_30default_config_static_selectorELNS0_4arch9wavefront6targetE1EEEvT1_
		.amdhsa_group_segment_fixed_size 7168
		.amdhsa_private_segment_fixed_size 0
		.amdhsa_kernarg_size 40
		.amdhsa_user_sgpr_count 6
		.amdhsa_user_sgpr_private_segment_buffer 1
		.amdhsa_user_sgpr_dispatch_ptr 0
		.amdhsa_user_sgpr_queue_ptr 0
		.amdhsa_user_sgpr_kernarg_segment_ptr 1
		.amdhsa_user_sgpr_dispatch_id 0
		.amdhsa_user_sgpr_flat_scratch_init 0
		.amdhsa_user_sgpr_kernarg_preload_length 0
		.amdhsa_user_sgpr_kernarg_preload_offset 0
		.amdhsa_user_sgpr_private_segment_size 0
		.amdhsa_uses_dynamic_stack 0
		.amdhsa_system_sgpr_private_segment_wavefront_offset 0
		.amdhsa_system_sgpr_workgroup_id_x 1
		.amdhsa_system_sgpr_workgroup_id_y 0
		.amdhsa_system_sgpr_workgroup_id_z 0
		.amdhsa_system_sgpr_workgroup_info 0
		.amdhsa_system_vgpr_workitem_id 0
		.amdhsa_next_free_vgpr 24
		.amdhsa_next_free_sgpr 8
		.amdhsa_accum_offset 24
		.amdhsa_reserve_vcc 1
		.amdhsa_reserve_flat_scratch 0
		.amdhsa_float_round_mode_32 0
		.amdhsa_float_round_mode_16_64 0
		.amdhsa_float_denorm_mode_32 3
		.amdhsa_float_denorm_mode_16_64 3
		.amdhsa_dx10_clamp 1
		.amdhsa_ieee_mode 1
		.amdhsa_fp16_overflow 0
		.amdhsa_tg_split 0
		.amdhsa_exception_fp_ieee_invalid_op 0
		.amdhsa_exception_fp_denorm_src 0
		.amdhsa_exception_fp_ieee_div_zero 0
		.amdhsa_exception_fp_ieee_overflow 0
		.amdhsa_exception_fp_ieee_underflow 0
		.amdhsa_exception_fp_ieee_inexact 0
		.amdhsa_exception_int_div_zero 0
	.end_amdhsa_kernel
	.section	.text._ZN7rocprim17ROCPRIM_400000_NS6detail17trampoline_kernelINS0_14default_configENS1_20scan_config_selectorIfEEZZNS1_9scan_implILNS1_25lookback_scan_determinismE0ELb0ELb0ES3_N6thrust23THRUST_200600_302600_NS6detail15normal_iteratorINS9_10device_ptrIfEEEENS9_16discard_iteratorINS9_11use_defaultEEEf11max_functorIfEfEEDaPvRmT3_T4_T5_mT6_P12ihipStream_tbENKUlT_T0_E_clISt17integral_constantIbLb0EESW_IbLb1EEEEDaSS_ST_EUlSS_E0_NS1_11comp_targetILNS1_3genE4ELNS1_11target_archE910ELNS1_3gpuE8ELNS1_3repE0EEENS1_30default_config_static_selectorELNS0_4arch9wavefront6targetE1EEEvT1_,"axG",@progbits,_ZN7rocprim17ROCPRIM_400000_NS6detail17trampoline_kernelINS0_14default_configENS1_20scan_config_selectorIfEEZZNS1_9scan_implILNS1_25lookback_scan_determinismE0ELb0ELb0ES3_N6thrust23THRUST_200600_302600_NS6detail15normal_iteratorINS9_10device_ptrIfEEEENS9_16discard_iteratorINS9_11use_defaultEEEf11max_functorIfEfEEDaPvRmT3_T4_T5_mT6_P12ihipStream_tbENKUlT_T0_E_clISt17integral_constantIbLb0EESW_IbLb1EEEEDaSS_ST_EUlSS_E0_NS1_11comp_targetILNS1_3genE4ELNS1_11target_archE910ELNS1_3gpuE8ELNS1_3repE0EEENS1_30default_config_static_selectorELNS0_4arch9wavefront6targetE1EEEvT1_,comdat
.Lfunc_end3199:
	.size	_ZN7rocprim17ROCPRIM_400000_NS6detail17trampoline_kernelINS0_14default_configENS1_20scan_config_selectorIfEEZZNS1_9scan_implILNS1_25lookback_scan_determinismE0ELb0ELb0ES3_N6thrust23THRUST_200600_302600_NS6detail15normal_iteratorINS9_10device_ptrIfEEEENS9_16discard_iteratorINS9_11use_defaultEEEf11max_functorIfEfEEDaPvRmT3_T4_T5_mT6_P12ihipStream_tbENKUlT_T0_E_clISt17integral_constantIbLb0EESW_IbLb1EEEEDaSS_ST_EUlSS_E0_NS1_11comp_targetILNS1_3genE4ELNS1_11target_archE910ELNS1_3gpuE8ELNS1_3repE0EEENS1_30default_config_static_selectorELNS0_4arch9wavefront6targetE1EEEvT1_, .Lfunc_end3199-_ZN7rocprim17ROCPRIM_400000_NS6detail17trampoline_kernelINS0_14default_configENS1_20scan_config_selectorIfEEZZNS1_9scan_implILNS1_25lookback_scan_determinismE0ELb0ELb0ES3_N6thrust23THRUST_200600_302600_NS6detail15normal_iteratorINS9_10device_ptrIfEEEENS9_16discard_iteratorINS9_11use_defaultEEEf11max_functorIfEfEEDaPvRmT3_T4_T5_mT6_P12ihipStream_tbENKUlT_T0_E_clISt17integral_constantIbLb0EESW_IbLb1EEEEDaSS_ST_EUlSS_E0_NS1_11comp_targetILNS1_3genE4ELNS1_11target_archE910ELNS1_3gpuE8ELNS1_3repE0EEENS1_30default_config_static_selectorELNS0_4arch9wavefront6targetE1EEEvT1_
                                        ; -- End function
	.section	.AMDGPU.csdata,"",@progbits
; Kernel info:
; codeLenInByte = 1448
; NumSgprs: 12
; NumVgprs: 24
; NumAgprs: 0
; TotalNumVgprs: 24
; ScratchSize: 0
; MemoryBound: 0
; FloatMode: 240
; IeeeMode: 1
; LDSByteSize: 7168 bytes/workgroup (compile time only)
; SGPRBlocks: 1
; VGPRBlocks: 2
; NumSGPRsForWavesPerEU: 12
; NumVGPRsForWavesPerEU: 24
; AccumOffset: 24
; Occupancy: 5
; WaveLimiterHint : 0
; COMPUTE_PGM_RSRC2:SCRATCH_EN: 0
; COMPUTE_PGM_RSRC2:USER_SGPR: 6
; COMPUTE_PGM_RSRC2:TRAP_HANDLER: 0
; COMPUTE_PGM_RSRC2:TGID_X_EN: 1
; COMPUTE_PGM_RSRC2:TGID_Y_EN: 0
; COMPUTE_PGM_RSRC2:TGID_Z_EN: 0
; COMPUTE_PGM_RSRC2:TIDIG_COMP_CNT: 0
; COMPUTE_PGM_RSRC3_GFX90A:ACCUM_OFFSET: 5
; COMPUTE_PGM_RSRC3_GFX90A:TG_SPLIT: 0
	.section	.text._ZN7rocprim17ROCPRIM_400000_NS6detail17trampoline_kernelINS0_14default_configENS1_20scan_config_selectorIfEEZZNS1_9scan_implILNS1_25lookback_scan_determinismE0ELb0ELb0ES3_N6thrust23THRUST_200600_302600_NS6detail15normal_iteratorINS9_10device_ptrIfEEEENS9_16discard_iteratorINS9_11use_defaultEEEf11max_functorIfEfEEDaPvRmT3_T4_T5_mT6_P12ihipStream_tbENKUlT_T0_E_clISt17integral_constantIbLb0EESW_IbLb1EEEEDaSS_ST_EUlSS_E0_NS1_11comp_targetILNS1_3genE3ELNS1_11target_archE908ELNS1_3gpuE7ELNS1_3repE0EEENS1_30default_config_static_selectorELNS0_4arch9wavefront6targetE1EEEvT1_,"axG",@progbits,_ZN7rocprim17ROCPRIM_400000_NS6detail17trampoline_kernelINS0_14default_configENS1_20scan_config_selectorIfEEZZNS1_9scan_implILNS1_25lookback_scan_determinismE0ELb0ELb0ES3_N6thrust23THRUST_200600_302600_NS6detail15normal_iteratorINS9_10device_ptrIfEEEENS9_16discard_iteratorINS9_11use_defaultEEEf11max_functorIfEfEEDaPvRmT3_T4_T5_mT6_P12ihipStream_tbENKUlT_T0_E_clISt17integral_constantIbLb0EESW_IbLb1EEEEDaSS_ST_EUlSS_E0_NS1_11comp_targetILNS1_3genE3ELNS1_11target_archE908ELNS1_3gpuE7ELNS1_3repE0EEENS1_30default_config_static_selectorELNS0_4arch9wavefront6targetE1EEEvT1_,comdat
	.protected	_ZN7rocprim17ROCPRIM_400000_NS6detail17trampoline_kernelINS0_14default_configENS1_20scan_config_selectorIfEEZZNS1_9scan_implILNS1_25lookback_scan_determinismE0ELb0ELb0ES3_N6thrust23THRUST_200600_302600_NS6detail15normal_iteratorINS9_10device_ptrIfEEEENS9_16discard_iteratorINS9_11use_defaultEEEf11max_functorIfEfEEDaPvRmT3_T4_T5_mT6_P12ihipStream_tbENKUlT_T0_E_clISt17integral_constantIbLb0EESW_IbLb1EEEEDaSS_ST_EUlSS_E0_NS1_11comp_targetILNS1_3genE3ELNS1_11target_archE908ELNS1_3gpuE7ELNS1_3repE0EEENS1_30default_config_static_selectorELNS0_4arch9wavefront6targetE1EEEvT1_ ; -- Begin function _ZN7rocprim17ROCPRIM_400000_NS6detail17trampoline_kernelINS0_14default_configENS1_20scan_config_selectorIfEEZZNS1_9scan_implILNS1_25lookback_scan_determinismE0ELb0ELb0ES3_N6thrust23THRUST_200600_302600_NS6detail15normal_iteratorINS9_10device_ptrIfEEEENS9_16discard_iteratorINS9_11use_defaultEEEf11max_functorIfEfEEDaPvRmT3_T4_T5_mT6_P12ihipStream_tbENKUlT_T0_E_clISt17integral_constantIbLb0EESW_IbLb1EEEEDaSS_ST_EUlSS_E0_NS1_11comp_targetILNS1_3genE3ELNS1_11target_archE908ELNS1_3gpuE7ELNS1_3repE0EEENS1_30default_config_static_selectorELNS0_4arch9wavefront6targetE1EEEvT1_
	.globl	_ZN7rocprim17ROCPRIM_400000_NS6detail17trampoline_kernelINS0_14default_configENS1_20scan_config_selectorIfEEZZNS1_9scan_implILNS1_25lookback_scan_determinismE0ELb0ELb0ES3_N6thrust23THRUST_200600_302600_NS6detail15normal_iteratorINS9_10device_ptrIfEEEENS9_16discard_iteratorINS9_11use_defaultEEEf11max_functorIfEfEEDaPvRmT3_T4_T5_mT6_P12ihipStream_tbENKUlT_T0_E_clISt17integral_constantIbLb0EESW_IbLb1EEEEDaSS_ST_EUlSS_E0_NS1_11comp_targetILNS1_3genE3ELNS1_11target_archE908ELNS1_3gpuE7ELNS1_3repE0EEENS1_30default_config_static_selectorELNS0_4arch9wavefront6targetE1EEEvT1_
	.p2align	8
	.type	_ZN7rocprim17ROCPRIM_400000_NS6detail17trampoline_kernelINS0_14default_configENS1_20scan_config_selectorIfEEZZNS1_9scan_implILNS1_25lookback_scan_determinismE0ELb0ELb0ES3_N6thrust23THRUST_200600_302600_NS6detail15normal_iteratorINS9_10device_ptrIfEEEENS9_16discard_iteratorINS9_11use_defaultEEEf11max_functorIfEfEEDaPvRmT3_T4_T5_mT6_P12ihipStream_tbENKUlT_T0_E_clISt17integral_constantIbLb0EESW_IbLb1EEEEDaSS_ST_EUlSS_E0_NS1_11comp_targetILNS1_3genE3ELNS1_11target_archE908ELNS1_3gpuE7ELNS1_3repE0EEENS1_30default_config_static_selectorELNS0_4arch9wavefront6targetE1EEEvT1_,@function
_ZN7rocprim17ROCPRIM_400000_NS6detail17trampoline_kernelINS0_14default_configENS1_20scan_config_selectorIfEEZZNS1_9scan_implILNS1_25lookback_scan_determinismE0ELb0ELb0ES3_N6thrust23THRUST_200600_302600_NS6detail15normal_iteratorINS9_10device_ptrIfEEEENS9_16discard_iteratorINS9_11use_defaultEEEf11max_functorIfEfEEDaPvRmT3_T4_T5_mT6_P12ihipStream_tbENKUlT_T0_E_clISt17integral_constantIbLb0EESW_IbLb1EEEEDaSS_ST_EUlSS_E0_NS1_11comp_targetILNS1_3genE3ELNS1_11target_archE908ELNS1_3gpuE7ELNS1_3repE0EEENS1_30default_config_static_selectorELNS0_4arch9wavefront6targetE1EEEvT1_: ; @_ZN7rocprim17ROCPRIM_400000_NS6detail17trampoline_kernelINS0_14default_configENS1_20scan_config_selectorIfEEZZNS1_9scan_implILNS1_25lookback_scan_determinismE0ELb0ELb0ES3_N6thrust23THRUST_200600_302600_NS6detail15normal_iteratorINS9_10device_ptrIfEEEENS9_16discard_iteratorINS9_11use_defaultEEEf11max_functorIfEfEEDaPvRmT3_T4_T5_mT6_P12ihipStream_tbENKUlT_T0_E_clISt17integral_constantIbLb0EESW_IbLb1EEEEDaSS_ST_EUlSS_E0_NS1_11comp_targetILNS1_3genE3ELNS1_11target_archE908ELNS1_3gpuE7ELNS1_3repE0EEENS1_30default_config_static_selectorELNS0_4arch9wavefront6targetE1EEEvT1_
; %bb.0:
	.section	.rodata,"a",@progbits
	.p2align	6, 0x0
	.amdhsa_kernel _ZN7rocprim17ROCPRIM_400000_NS6detail17trampoline_kernelINS0_14default_configENS1_20scan_config_selectorIfEEZZNS1_9scan_implILNS1_25lookback_scan_determinismE0ELb0ELb0ES3_N6thrust23THRUST_200600_302600_NS6detail15normal_iteratorINS9_10device_ptrIfEEEENS9_16discard_iteratorINS9_11use_defaultEEEf11max_functorIfEfEEDaPvRmT3_T4_T5_mT6_P12ihipStream_tbENKUlT_T0_E_clISt17integral_constantIbLb0EESW_IbLb1EEEEDaSS_ST_EUlSS_E0_NS1_11comp_targetILNS1_3genE3ELNS1_11target_archE908ELNS1_3gpuE7ELNS1_3repE0EEENS1_30default_config_static_selectorELNS0_4arch9wavefront6targetE1EEEvT1_
		.amdhsa_group_segment_fixed_size 0
		.amdhsa_private_segment_fixed_size 0
		.amdhsa_kernarg_size 40
		.amdhsa_user_sgpr_count 6
		.amdhsa_user_sgpr_private_segment_buffer 1
		.amdhsa_user_sgpr_dispatch_ptr 0
		.amdhsa_user_sgpr_queue_ptr 0
		.amdhsa_user_sgpr_kernarg_segment_ptr 1
		.amdhsa_user_sgpr_dispatch_id 0
		.amdhsa_user_sgpr_flat_scratch_init 0
		.amdhsa_user_sgpr_kernarg_preload_length 0
		.amdhsa_user_sgpr_kernarg_preload_offset 0
		.amdhsa_user_sgpr_private_segment_size 0
		.amdhsa_uses_dynamic_stack 0
		.amdhsa_system_sgpr_private_segment_wavefront_offset 0
		.amdhsa_system_sgpr_workgroup_id_x 1
		.amdhsa_system_sgpr_workgroup_id_y 0
		.amdhsa_system_sgpr_workgroup_id_z 0
		.amdhsa_system_sgpr_workgroup_info 0
		.amdhsa_system_vgpr_workitem_id 0
		.amdhsa_next_free_vgpr 1
		.amdhsa_next_free_sgpr 0
		.amdhsa_accum_offset 4
		.amdhsa_reserve_vcc 0
		.amdhsa_reserve_flat_scratch 0
		.amdhsa_float_round_mode_32 0
		.amdhsa_float_round_mode_16_64 0
		.amdhsa_float_denorm_mode_32 3
		.amdhsa_float_denorm_mode_16_64 3
		.amdhsa_dx10_clamp 1
		.amdhsa_ieee_mode 1
		.amdhsa_fp16_overflow 0
		.amdhsa_tg_split 0
		.amdhsa_exception_fp_ieee_invalid_op 0
		.amdhsa_exception_fp_denorm_src 0
		.amdhsa_exception_fp_ieee_div_zero 0
		.amdhsa_exception_fp_ieee_overflow 0
		.amdhsa_exception_fp_ieee_underflow 0
		.amdhsa_exception_fp_ieee_inexact 0
		.amdhsa_exception_int_div_zero 0
	.end_amdhsa_kernel
	.section	.text._ZN7rocprim17ROCPRIM_400000_NS6detail17trampoline_kernelINS0_14default_configENS1_20scan_config_selectorIfEEZZNS1_9scan_implILNS1_25lookback_scan_determinismE0ELb0ELb0ES3_N6thrust23THRUST_200600_302600_NS6detail15normal_iteratorINS9_10device_ptrIfEEEENS9_16discard_iteratorINS9_11use_defaultEEEf11max_functorIfEfEEDaPvRmT3_T4_T5_mT6_P12ihipStream_tbENKUlT_T0_E_clISt17integral_constantIbLb0EESW_IbLb1EEEEDaSS_ST_EUlSS_E0_NS1_11comp_targetILNS1_3genE3ELNS1_11target_archE908ELNS1_3gpuE7ELNS1_3repE0EEENS1_30default_config_static_selectorELNS0_4arch9wavefront6targetE1EEEvT1_,"axG",@progbits,_ZN7rocprim17ROCPRIM_400000_NS6detail17trampoline_kernelINS0_14default_configENS1_20scan_config_selectorIfEEZZNS1_9scan_implILNS1_25lookback_scan_determinismE0ELb0ELb0ES3_N6thrust23THRUST_200600_302600_NS6detail15normal_iteratorINS9_10device_ptrIfEEEENS9_16discard_iteratorINS9_11use_defaultEEEf11max_functorIfEfEEDaPvRmT3_T4_T5_mT6_P12ihipStream_tbENKUlT_T0_E_clISt17integral_constantIbLb0EESW_IbLb1EEEEDaSS_ST_EUlSS_E0_NS1_11comp_targetILNS1_3genE3ELNS1_11target_archE908ELNS1_3gpuE7ELNS1_3repE0EEENS1_30default_config_static_selectorELNS0_4arch9wavefront6targetE1EEEvT1_,comdat
.Lfunc_end3200:
	.size	_ZN7rocprim17ROCPRIM_400000_NS6detail17trampoline_kernelINS0_14default_configENS1_20scan_config_selectorIfEEZZNS1_9scan_implILNS1_25lookback_scan_determinismE0ELb0ELb0ES3_N6thrust23THRUST_200600_302600_NS6detail15normal_iteratorINS9_10device_ptrIfEEEENS9_16discard_iteratorINS9_11use_defaultEEEf11max_functorIfEfEEDaPvRmT3_T4_T5_mT6_P12ihipStream_tbENKUlT_T0_E_clISt17integral_constantIbLb0EESW_IbLb1EEEEDaSS_ST_EUlSS_E0_NS1_11comp_targetILNS1_3genE3ELNS1_11target_archE908ELNS1_3gpuE7ELNS1_3repE0EEENS1_30default_config_static_selectorELNS0_4arch9wavefront6targetE1EEEvT1_, .Lfunc_end3200-_ZN7rocprim17ROCPRIM_400000_NS6detail17trampoline_kernelINS0_14default_configENS1_20scan_config_selectorIfEEZZNS1_9scan_implILNS1_25lookback_scan_determinismE0ELb0ELb0ES3_N6thrust23THRUST_200600_302600_NS6detail15normal_iteratorINS9_10device_ptrIfEEEENS9_16discard_iteratorINS9_11use_defaultEEEf11max_functorIfEfEEDaPvRmT3_T4_T5_mT6_P12ihipStream_tbENKUlT_T0_E_clISt17integral_constantIbLb0EESW_IbLb1EEEEDaSS_ST_EUlSS_E0_NS1_11comp_targetILNS1_3genE3ELNS1_11target_archE908ELNS1_3gpuE7ELNS1_3repE0EEENS1_30default_config_static_selectorELNS0_4arch9wavefront6targetE1EEEvT1_
                                        ; -- End function
	.section	.AMDGPU.csdata,"",@progbits
; Kernel info:
; codeLenInByte = 0
; NumSgprs: 4
; NumVgprs: 0
; NumAgprs: 0
; TotalNumVgprs: 0
; ScratchSize: 0
; MemoryBound: 0
; FloatMode: 240
; IeeeMode: 1
; LDSByteSize: 0 bytes/workgroup (compile time only)
; SGPRBlocks: 0
; VGPRBlocks: 0
; NumSGPRsForWavesPerEU: 4
; NumVGPRsForWavesPerEU: 1
; AccumOffset: 4
; Occupancy: 8
; WaveLimiterHint : 0
; COMPUTE_PGM_RSRC2:SCRATCH_EN: 0
; COMPUTE_PGM_RSRC2:USER_SGPR: 6
; COMPUTE_PGM_RSRC2:TRAP_HANDLER: 0
; COMPUTE_PGM_RSRC2:TGID_X_EN: 1
; COMPUTE_PGM_RSRC2:TGID_Y_EN: 0
; COMPUTE_PGM_RSRC2:TGID_Z_EN: 0
; COMPUTE_PGM_RSRC2:TIDIG_COMP_CNT: 0
; COMPUTE_PGM_RSRC3_GFX90A:ACCUM_OFFSET: 0
; COMPUTE_PGM_RSRC3_GFX90A:TG_SPLIT: 0
	.section	.text._ZN7rocprim17ROCPRIM_400000_NS6detail17trampoline_kernelINS0_14default_configENS1_20scan_config_selectorIfEEZZNS1_9scan_implILNS1_25lookback_scan_determinismE0ELb0ELb0ES3_N6thrust23THRUST_200600_302600_NS6detail15normal_iteratorINS9_10device_ptrIfEEEENS9_16discard_iteratorINS9_11use_defaultEEEf11max_functorIfEfEEDaPvRmT3_T4_T5_mT6_P12ihipStream_tbENKUlT_T0_E_clISt17integral_constantIbLb0EESW_IbLb1EEEEDaSS_ST_EUlSS_E0_NS1_11comp_targetILNS1_3genE2ELNS1_11target_archE906ELNS1_3gpuE6ELNS1_3repE0EEENS1_30default_config_static_selectorELNS0_4arch9wavefront6targetE1EEEvT1_,"axG",@progbits,_ZN7rocprim17ROCPRIM_400000_NS6detail17trampoline_kernelINS0_14default_configENS1_20scan_config_selectorIfEEZZNS1_9scan_implILNS1_25lookback_scan_determinismE0ELb0ELb0ES3_N6thrust23THRUST_200600_302600_NS6detail15normal_iteratorINS9_10device_ptrIfEEEENS9_16discard_iteratorINS9_11use_defaultEEEf11max_functorIfEfEEDaPvRmT3_T4_T5_mT6_P12ihipStream_tbENKUlT_T0_E_clISt17integral_constantIbLb0EESW_IbLb1EEEEDaSS_ST_EUlSS_E0_NS1_11comp_targetILNS1_3genE2ELNS1_11target_archE906ELNS1_3gpuE6ELNS1_3repE0EEENS1_30default_config_static_selectorELNS0_4arch9wavefront6targetE1EEEvT1_,comdat
	.protected	_ZN7rocprim17ROCPRIM_400000_NS6detail17trampoline_kernelINS0_14default_configENS1_20scan_config_selectorIfEEZZNS1_9scan_implILNS1_25lookback_scan_determinismE0ELb0ELb0ES3_N6thrust23THRUST_200600_302600_NS6detail15normal_iteratorINS9_10device_ptrIfEEEENS9_16discard_iteratorINS9_11use_defaultEEEf11max_functorIfEfEEDaPvRmT3_T4_T5_mT6_P12ihipStream_tbENKUlT_T0_E_clISt17integral_constantIbLb0EESW_IbLb1EEEEDaSS_ST_EUlSS_E0_NS1_11comp_targetILNS1_3genE2ELNS1_11target_archE906ELNS1_3gpuE6ELNS1_3repE0EEENS1_30default_config_static_selectorELNS0_4arch9wavefront6targetE1EEEvT1_ ; -- Begin function _ZN7rocprim17ROCPRIM_400000_NS6detail17trampoline_kernelINS0_14default_configENS1_20scan_config_selectorIfEEZZNS1_9scan_implILNS1_25lookback_scan_determinismE0ELb0ELb0ES3_N6thrust23THRUST_200600_302600_NS6detail15normal_iteratorINS9_10device_ptrIfEEEENS9_16discard_iteratorINS9_11use_defaultEEEf11max_functorIfEfEEDaPvRmT3_T4_T5_mT6_P12ihipStream_tbENKUlT_T0_E_clISt17integral_constantIbLb0EESW_IbLb1EEEEDaSS_ST_EUlSS_E0_NS1_11comp_targetILNS1_3genE2ELNS1_11target_archE906ELNS1_3gpuE6ELNS1_3repE0EEENS1_30default_config_static_selectorELNS0_4arch9wavefront6targetE1EEEvT1_
	.globl	_ZN7rocprim17ROCPRIM_400000_NS6detail17trampoline_kernelINS0_14default_configENS1_20scan_config_selectorIfEEZZNS1_9scan_implILNS1_25lookback_scan_determinismE0ELb0ELb0ES3_N6thrust23THRUST_200600_302600_NS6detail15normal_iteratorINS9_10device_ptrIfEEEENS9_16discard_iteratorINS9_11use_defaultEEEf11max_functorIfEfEEDaPvRmT3_T4_T5_mT6_P12ihipStream_tbENKUlT_T0_E_clISt17integral_constantIbLb0EESW_IbLb1EEEEDaSS_ST_EUlSS_E0_NS1_11comp_targetILNS1_3genE2ELNS1_11target_archE906ELNS1_3gpuE6ELNS1_3repE0EEENS1_30default_config_static_selectorELNS0_4arch9wavefront6targetE1EEEvT1_
	.p2align	8
	.type	_ZN7rocprim17ROCPRIM_400000_NS6detail17trampoline_kernelINS0_14default_configENS1_20scan_config_selectorIfEEZZNS1_9scan_implILNS1_25lookback_scan_determinismE0ELb0ELb0ES3_N6thrust23THRUST_200600_302600_NS6detail15normal_iteratorINS9_10device_ptrIfEEEENS9_16discard_iteratorINS9_11use_defaultEEEf11max_functorIfEfEEDaPvRmT3_T4_T5_mT6_P12ihipStream_tbENKUlT_T0_E_clISt17integral_constantIbLb0EESW_IbLb1EEEEDaSS_ST_EUlSS_E0_NS1_11comp_targetILNS1_3genE2ELNS1_11target_archE906ELNS1_3gpuE6ELNS1_3repE0EEENS1_30default_config_static_selectorELNS0_4arch9wavefront6targetE1EEEvT1_,@function
_ZN7rocprim17ROCPRIM_400000_NS6detail17trampoline_kernelINS0_14default_configENS1_20scan_config_selectorIfEEZZNS1_9scan_implILNS1_25lookback_scan_determinismE0ELb0ELb0ES3_N6thrust23THRUST_200600_302600_NS6detail15normal_iteratorINS9_10device_ptrIfEEEENS9_16discard_iteratorINS9_11use_defaultEEEf11max_functorIfEfEEDaPvRmT3_T4_T5_mT6_P12ihipStream_tbENKUlT_T0_E_clISt17integral_constantIbLb0EESW_IbLb1EEEEDaSS_ST_EUlSS_E0_NS1_11comp_targetILNS1_3genE2ELNS1_11target_archE906ELNS1_3gpuE6ELNS1_3repE0EEENS1_30default_config_static_selectorELNS0_4arch9wavefront6targetE1EEEvT1_: ; @_ZN7rocprim17ROCPRIM_400000_NS6detail17trampoline_kernelINS0_14default_configENS1_20scan_config_selectorIfEEZZNS1_9scan_implILNS1_25lookback_scan_determinismE0ELb0ELb0ES3_N6thrust23THRUST_200600_302600_NS6detail15normal_iteratorINS9_10device_ptrIfEEEENS9_16discard_iteratorINS9_11use_defaultEEEf11max_functorIfEfEEDaPvRmT3_T4_T5_mT6_P12ihipStream_tbENKUlT_T0_E_clISt17integral_constantIbLb0EESW_IbLb1EEEEDaSS_ST_EUlSS_E0_NS1_11comp_targetILNS1_3genE2ELNS1_11target_archE906ELNS1_3gpuE6ELNS1_3repE0EEENS1_30default_config_static_selectorELNS0_4arch9wavefront6targetE1EEEvT1_
; %bb.0:
	.section	.rodata,"a",@progbits
	.p2align	6, 0x0
	.amdhsa_kernel _ZN7rocprim17ROCPRIM_400000_NS6detail17trampoline_kernelINS0_14default_configENS1_20scan_config_selectorIfEEZZNS1_9scan_implILNS1_25lookback_scan_determinismE0ELb0ELb0ES3_N6thrust23THRUST_200600_302600_NS6detail15normal_iteratorINS9_10device_ptrIfEEEENS9_16discard_iteratorINS9_11use_defaultEEEf11max_functorIfEfEEDaPvRmT3_T4_T5_mT6_P12ihipStream_tbENKUlT_T0_E_clISt17integral_constantIbLb0EESW_IbLb1EEEEDaSS_ST_EUlSS_E0_NS1_11comp_targetILNS1_3genE2ELNS1_11target_archE906ELNS1_3gpuE6ELNS1_3repE0EEENS1_30default_config_static_selectorELNS0_4arch9wavefront6targetE1EEEvT1_
		.amdhsa_group_segment_fixed_size 0
		.amdhsa_private_segment_fixed_size 0
		.amdhsa_kernarg_size 40
		.amdhsa_user_sgpr_count 6
		.amdhsa_user_sgpr_private_segment_buffer 1
		.amdhsa_user_sgpr_dispatch_ptr 0
		.amdhsa_user_sgpr_queue_ptr 0
		.amdhsa_user_sgpr_kernarg_segment_ptr 1
		.amdhsa_user_sgpr_dispatch_id 0
		.amdhsa_user_sgpr_flat_scratch_init 0
		.amdhsa_user_sgpr_kernarg_preload_length 0
		.amdhsa_user_sgpr_kernarg_preload_offset 0
		.amdhsa_user_sgpr_private_segment_size 0
		.amdhsa_uses_dynamic_stack 0
		.amdhsa_system_sgpr_private_segment_wavefront_offset 0
		.amdhsa_system_sgpr_workgroup_id_x 1
		.amdhsa_system_sgpr_workgroup_id_y 0
		.amdhsa_system_sgpr_workgroup_id_z 0
		.amdhsa_system_sgpr_workgroup_info 0
		.amdhsa_system_vgpr_workitem_id 0
		.amdhsa_next_free_vgpr 1
		.amdhsa_next_free_sgpr 0
		.amdhsa_accum_offset 4
		.amdhsa_reserve_vcc 0
		.amdhsa_reserve_flat_scratch 0
		.amdhsa_float_round_mode_32 0
		.amdhsa_float_round_mode_16_64 0
		.amdhsa_float_denorm_mode_32 3
		.amdhsa_float_denorm_mode_16_64 3
		.amdhsa_dx10_clamp 1
		.amdhsa_ieee_mode 1
		.amdhsa_fp16_overflow 0
		.amdhsa_tg_split 0
		.amdhsa_exception_fp_ieee_invalid_op 0
		.amdhsa_exception_fp_denorm_src 0
		.amdhsa_exception_fp_ieee_div_zero 0
		.amdhsa_exception_fp_ieee_overflow 0
		.amdhsa_exception_fp_ieee_underflow 0
		.amdhsa_exception_fp_ieee_inexact 0
		.amdhsa_exception_int_div_zero 0
	.end_amdhsa_kernel
	.section	.text._ZN7rocprim17ROCPRIM_400000_NS6detail17trampoline_kernelINS0_14default_configENS1_20scan_config_selectorIfEEZZNS1_9scan_implILNS1_25lookback_scan_determinismE0ELb0ELb0ES3_N6thrust23THRUST_200600_302600_NS6detail15normal_iteratorINS9_10device_ptrIfEEEENS9_16discard_iteratorINS9_11use_defaultEEEf11max_functorIfEfEEDaPvRmT3_T4_T5_mT6_P12ihipStream_tbENKUlT_T0_E_clISt17integral_constantIbLb0EESW_IbLb1EEEEDaSS_ST_EUlSS_E0_NS1_11comp_targetILNS1_3genE2ELNS1_11target_archE906ELNS1_3gpuE6ELNS1_3repE0EEENS1_30default_config_static_selectorELNS0_4arch9wavefront6targetE1EEEvT1_,"axG",@progbits,_ZN7rocprim17ROCPRIM_400000_NS6detail17trampoline_kernelINS0_14default_configENS1_20scan_config_selectorIfEEZZNS1_9scan_implILNS1_25lookback_scan_determinismE0ELb0ELb0ES3_N6thrust23THRUST_200600_302600_NS6detail15normal_iteratorINS9_10device_ptrIfEEEENS9_16discard_iteratorINS9_11use_defaultEEEf11max_functorIfEfEEDaPvRmT3_T4_T5_mT6_P12ihipStream_tbENKUlT_T0_E_clISt17integral_constantIbLb0EESW_IbLb1EEEEDaSS_ST_EUlSS_E0_NS1_11comp_targetILNS1_3genE2ELNS1_11target_archE906ELNS1_3gpuE6ELNS1_3repE0EEENS1_30default_config_static_selectorELNS0_4arch9wavefront6targetE1EEEvT1_,comdat
.Lfunc_end3201:
	.size	_ZN7rocprim17ROCPRIM_400000_NS6detail17trampoline_kernelINS0_14default_configENS1_20scan_config_selectorIfEEZZNS1_9scan_implILNS1_25lookback_scan_determinismE0ELb0ELb0ES3_N6thrust23THRUST_200600_302600_NS6detail15normal_iteratorINS9_10device_ptrIfEEEENS9_16discard_iteratorINS9_11use_defaultEEEf11max_functorIfEfEEDaPvRmT3_T4_T5_mT6_P12ihipStream_tbENKUlT_T0_E_clISt17integral_constantIbLb0EESW_IbLb1EEEEDaSS_ST_EUlSS_E0_NS1_11comp_targetILNS1_3genE2ELNS1_11target_archE906ELNS1_3gpuE6ELNS1_3repE0EEENS1_30default_config_static_selectorELNS0_4arch9wavefront6targetE1EEEvT1_, .Lfunc_end3201-_ZN7rocprim17ROCPRIM_400000_NS6detail17trampoline_kernelINS0_14default_configENS1_20scan_config_selectorIfEEZZNS1_9scan_implILNS1_25lookback_scan_determinismE0ELb0ELb0ES3_N6thrust23THRUST_200600_302600_NS6detail15normal_iteratorINS9_10device_ptrIfEEEENS9_16discard_iteratorINS9_11use_defaultEEEf11max_functorIfEfEEDaPvRmT3_T4_T5_mT6_P12ihipStream_tbENKUlT_T0_E_clISt17integral_constantIbLb0EESW_IbLb1EEEEDaSS_ST_EUlSS_E0_NS1_11comp_targetILNS1_3genE2ELNS1_11target_archE906ELNS1_3gpuE6ELNS1_3repE0EEENS1_30default_config_static_selectorELNS0_4arch9wavefront6targetE1EEEvT1_
                                        ; -- End function
	.section	.AMDGPU.csdata,"",@progbits
; Kernel info:
; codeLenInByte = 0
; NumSgprs: 4
; NumVgprs: 0
; NumAgprs: 0
; TotalNumVgprs: 0
; ScratchSize: 0
; MemoryBound: 0
; FloatMode: 240
; IeeeMode: 1
; LDSByteSize: 0 bytes/workgroup (compile time only)
; SGPRBlocks: 0
; VGPRBlocks: 0
; NumSGPRsForWavesPerEU: 4
; NumVGPRsForWavesPerEU: 1
; AccumOffset: 4
; Occupancy: 8
; WaveLimiterHint : 0
; COMPUTE_PGM_RSRC2:SCRATCH_EN: 0
; COMPUTE_PGM_RSRC2:USER_SGPR: 6
; COMPUTE_PGM_RSRC2:TRAP_HANDLER: 0
; COMPUTE_PGM_RSRC2:TGID_X_EN: 1
; COMPUTE_PGM_RSRC2:TGID_Y_EN: 0
; COMPUTE_PGM_RSRC2:TGID_Z_EN: 0
; COMPUTE_PGM_RSRC2:TIDIG_COMP_CNT: 0
; COMPUTE_PGM_RSRC3_GFX90A:ACCUM_OFFSET: 0
; COMPUTE_PGM_RSRC3_GFX90A:TG_SPLIT: 0
	.section	.text._ZN7rocprim17ROCPRIM_400000_NS6detail17trampoline_kernelINS0_14default_configENS1_20scan_config_selectorIfEEZZNS1_9scan_implILNS1_25lookback_scan_determinismE0ELb0ELb0ES3_N6thrust23THRUST_200600_302600_NS6detail15normal_iteratorINS9_10device_ptrIfEEEENS9_16discard_iteratorINS9_11use_defaultEEEf11max_functorIfEfEEDaPvRmT3_T4_T5_mT6_P12ihipStream_tbENKUlT_T0_E_clISt17integral_constantIbLb0EESW_IbLb1EEEEDaSS_ST_EUlSS_E0_NS1_11comp_targetILNS1_3genE10ELNS1_11target_archE1201ELNS1_3gpuE5ELNS1_3repE0EEENS1_30default_config_static_selectorELNS0_4arch9wavefront6targetE1EEEvT1_,"axG",@progbits,_ZN7rocprim17ROCPRIM_400000_NS6detail17trampoline_kernelINS0_14default_configENS1_20scan_config_selectorIfEEZZNS1_9scan_implILNS1_25lookback_scan_determinismE0ELb0ELb0ES3_N6thrust23THRUST_200600_302600_NS6detail15normal_iteratorINS9_10device_ptrIfEEEENS9_16discard_iteratorINS9_11use_defaultEEEf11max_functorIfEfEEDaPvRmT3_T4_T5_mT6_P12ihipStream_tbENKUlT_T0_E_clISt17integral_constantIbLb0EESW_IbLb1EEEEDaSS_ST_EUlSS_E0_NS1_11comp_targetILNS1_3genE10ELNS1_11target_archE1201ELNS1_3gpuE5ELNS1_3repE0EEENS1_30default_config_static_selectorELNS0_4arch9wavefront6targetE1EEEvT1_,comdat
	.protected	_ZN7rocprim17ROCPRIM_400000_NS6detail17trampoline_kernelINS0_14default_configENS1_20scan_config_selectorIfEEZZNS1_9scan_implILNS1_25lookback_scan_determinismE0ELb0ELb0ES3_N6thrust23THRUST_200600_302600_NS6detail15normal_iteratorINS9_10device_ptrIfEEEENS9_16discard_iteratorINS9_11use_defaultEEEf11max_functorIfEfEEDaPvRmT3_T4_T5_mT6_P12ihipStream_tbENKUlT_T0_E_clISt17integral_constantIbLb0EESW_IbLb1EEEEDaSS_ST_EUlSS_E0_NS1_11comp_targetILNS1_3genE10ELNS1_11target_archE1201ELNS1_3gpuE5ELNS1_3repE0EEENS1_30default_config_static_selectorELNS0_4arch9wavefront6targetE1EEEvT1_ ; -- Begin function _ZN7rocprim17ROCPRIM_400000_NS6detail17trampoline_kernelINS0_14default_configENS1_20scan_config_selectorIfEEZZNS1_9scan_implILNS1_25lookback_scan_determinismE0ELb0ELb0ES3_N6thrust23THRUST_200600_302600_NS6detail15normal_iteratorINS9_10device_ptrIfEEEENS9_16discard_iteratorINS9_11use_defaultEEEf11max_functorIfEfEEDaPvRmT3_T4_T5_mT6_P12ihipStream_tbENKUlT_T0_E_clISt17integral_constantIbLb0EESW_IbLb1EEEEDaSS_ST_EUlSS_E0_NS1_11comp_targetILNS1_3genE10ELNS1_11target_archE1201ELNS1_3gpuE5ELNS1_3repE0EEENS1_30default_config_static_selectorELNS0_4arch9wavefront6targetE1EEEvT1_
	.globl	_ZN7rocprim17ROCPRIM_400000_NS6detail17trampoline_kernelINS0_14default_configENS1_20scan_config_selectorIfEEZZNS1_9scan_implILNS1_25lookback_scan_determinismE0ELb0ELb0ES3_N6thrust23THRUST_200600_302600_NS6detail15normal_iteratorINS9_10device_ptrIfEEEENS9_16discard_iteratorINS9_11use_defaultEEEf11max_functorIfEfEEDaPvRmT3_T4_T5_mT6_P12ihipStream_tbENKUlT_T0_E_clISt17integral_constantIbLb0EESW_IbLb1EEEEDaSS_ST_EUlSS_E0_NS1_11comp_targetILNS1_3genE10ELNS1_11target_archE1201ELNS1_3gpuE5ELNS1_3repE0EEENS1_30default_config_static_selectorELNS0_4arch9wavefront6targetE1EEEvT1_
	.p2align	8
	.type	_ZN7rocprim17ROCPRIM_400000_NS6detail17trampoline_kernelINS0_14default_configENS1_20scan_config_selectorIfEEZZNS1_9scan_implILNS1_25lookback_scan_determinismE0ELb0ELb0ES3_N6thrust23THRUST_200600_302600_NS6detail15normal_iteratorINS9_10device_ptrIfEEEENS9_16discard_iteratorINS9_11use_defaultEEEf11max_functorIfEfEEDaPvRmT3_T4_T5_mT6_P12ihipStream_tbENKUlT_T0_E_clISt17integral_constantIbLb0EESW_IbLb1EEEEDaSS_ST_EUlSS_E0_NS1_11comp_targetILNS1_3genE10ELNS1_11target_archE1201ELNS1_3gpuE5ELNS1_3repE0EEENS1_30default_config_static_selectorELNS0_4arch9wavefront6targetE1EEEvT1_,@function
_ZN7rocprim17ROCPRIM_400000_NS6detail17trampoline_kernelINS0_14default_configENS1_20scan_config_selectorIfEEZZNS1_9scan_implILNS1_25lookback_scan_determinismE0ELb0ELb0ES3_N6thrust23THRUST_200600_302600_NS6detail15normal_iteratorINS9_10device_ptrIfEEEENS9_16discard_iteratorINS9_11use_defaultEEEf11max_functorIfEfEEDaPvRmT3_T4_T5_mT6_P12ihipStream_tbENKUlT_T0_E_clISt17integral_constantIbLb0EESW_IbLb1EEEEDaSS_ST_EUlSS_E0_NS1_11comp_targetILNS1_3genE10ELNS1_11target_archE1201ELNS1_3gpuE5ELNS1_3repE0EEENS1_30default_config_static_selectorELNS0_4arch9wavefront6targetE1EEEvT1_: ; @_ZN7rocprim17ROCPRIM_400000_NS6detail17trampoline_kernelINS0_14default_configENS1_20scan_config_selectorIfEEZZNS1_9scan_implILNS1_25lookback_scan_determinismE0ELb0ELb0ES3_N6thrust23THRUST_200600_302600_NS6detail15normal_iteratorINS9_10device_ptrIfEEEENS9_16discard_iteratorINS9_11use_defaultEEEf11max_functorIfEfEEDaPvRmT3_T4_T5_mT6_P12ihipStream_tbENKUlT_T0_E_clISt17integral_constantIbLb0EESW_IbLb1EEEEDaSS_ST_EUlSS_E0_NS1_11comp_targetILNS1_3genE10ELNS1_11target_archE1201ELNS1_3gpuE5ELNS1_3repE0EEENS1_30default_config_static_selectorELNS0_4arch9wavefront6targetE1EEEvT1_
; %bb.0:
	.section	.rodata,"a",@progbits
	.p2align	6, 0x0
	.amdhsa_kernel _ZN7rocprim17ROCPRIM_400000_NS6detail17trampoline_kernelINS0_14default_configENS1_20scan_config_selectorIfEEZZNS1_9scan_implILNS1_25lookback_scan_determinismE0ELb0ELb0ES3_N6thrust23THRUST_200600_302600_NS6detail15normal_iteratorINS9_10device_ptrIfEEEENS9_16discard_iteratorINS9_11use_defaultEEEf11max_functorIfEfEEDaPvRmT3_T4_T5_mT6_P12ihipStream_tbENKUlT_T0_E_clISt17integral_constantIbLb0EESW_IbLb1EEEEDaSS_ST_EUlSS_E0_NS1_11comp_targetILNS1_3genE10ELNS1_11target_archE1201ELNS1_3gpuE5ELNS1_3repE0EEENS1_30default_config_static_selectorELNS0_4arch9wavefront6targetE1EEEvT1_
		.amdhsa_group_segment_fixed_size 0
		.amdhsa_private_segment_fixed_size 0
		.amdhsa_kernarg_size 40
		.amdhsa_user_sgpr_count 6
		.amdhsa_user_sgpr_private_segment_buffer 1
		.amdhsa_user_sgpr_dispatch_ptr 0
		.amdhsa_user_sgpr_queue_ptr 0
		.amdhsa_user_sgpr_kernarg_segment_ptr 1
		.amdhsa_user_sgpr_dispatch_id 0
		.amdhsa_user_sgpr_flat_scratch_init 0
		.amdhsa_user_sgpr_kernarg_preload_length 0
		.amdhsa_user_sgpr_kernarg_preload_offset 0
		.amdhsa_user_sgpr_private_segment_size 0
		.amdhsa_uses_dynamic_stack 0
		.amdhsa_system_sgpr_private_segment_wavefront_offset 0
		.amdhsa_system_sgpr_workgroup_id_x 1
		.amdhsa_system_sgpr_workgroup_id_y 0
		.amdhsa_system_sgpr_workgroup_id_z 0
		.amdhsa_system_sgpr_workgroup_info 0
		.amdhsa_system_vgpr_workitem_id 0
		.amdhsa_next_free_vgpr 1
		.amdhsa_next_free_sgpr 0
		.amdhsa_accum_offset 4
		.amdhsa_reserve_vcc 0
		.amdhsa_reserve_flat_scratch 0
		.amdhsa_float_round_mode_32 0
		.amdhsa_float_round_mode_16_64 0
		.amdhsa_float_denorm_mode_32 3
		.amdhsa_float_denorm_mode_16_64 3
		.amdhsa_dx10_clamp 1
		.amdhsa_ieee_mode 1
		.amdhsa_fp16_overflow 0
		.amdhsa_tg_split 0
		.amdhsa_exception_fp_ieee_invalid_op 0
		.amdhsa_exception_fp_denorm_src 0
		.amdhsa_exception_fp_ieee_div_zero 0
		.amdhsa_exception_fp_ieee_overflow 0
		.amdhsa_exception_fp_ieee_underflow 0
		.amdhsa_exception_fp_ieee_inexact 0
		.amdhsa_exception_int_div_zero 0
	.end_amdhsa_kernel
	.section	.text._ZN7rocprim17ROCPRIM_400000_NS6detail17trampoline_kernelINS0_14default_configENS1_20scan_config_selectorIfEEZZNS1_9scan_implILNS1_25lookback_scan_determinismE0ELb0ELb0ES3_N6thrust23THRUST_200600_302600_NS6detail15normal_iteratorINS9_10device_ptrIfEEEENS9_16discard_iteratorINS9_11use_defaultEEEf11max_functorIfEfEEDaPvRmT3_T4_T5_mT6_P12ihipStream_tbENKUlT_T0_E_clISt17integral_constantIbLb0EESW_IbLb1EEEEDaSS_ST_EUlSS_E0_NS1_11comp_targetILNS1_3genE10ELNS1_11target_archE1201ELNS1_3gpuE5ELNS1_3repE0EEENS1_30default_config_static_selectorELNS0_4arch9wavefront6targetE1EEEvT1_,"axG",@progbits,_ZN7rocprim17ROCPRIM_400000_NS6detail17trampoline_kernelINS0_14default_configENS1_20scan_config_selectorIfEEZZNS1_9scan_implILNS1_25lookback_scan_determinismE0ELb0ELb0ES3_N6thrust23THRUST_200600_302600_NS6detail15normal_iteratorINS9_10device_ptrIfEEEENS9_16discard_iteratorINS9_11use_defaultEEEf11max_functorIfEfEEDaPvRmT3_T4_T5_mT6_P12ihipStream_tbENKUlT_T0_E_clISt17integral_constantIbLb0EESW_IbLb1EEEEDaSS_ST_EUlSS_E0_NS1_11comp_targetILNS1_3genE10ELNS1_11target_archE1201ELNS1_3gpuE5ELNS1_3repE0EEENS1_30default_config_static_selectorELNS0_4arch9wavefront6targetE1EEEvT1_,comdat
.Lfunc_end3202:
	.size	_ZN7rocprim17ROCPRIM_400000_NS6detail17trampoline_kernelINS0_14default_configENS1_20scan_config_selectorIfEEZZNS1_9scan_implILNS1_25lookback_scan_determinismE0ELb0ELb0ES3_N6thrust23THRUST_200600_302600_NS6detail15normal_iteratorINS9_10device_ptrIfEEEENS9_16discard_iteratorINS9_11use_defaultEEEf11max_functorIfEfEEDaPvRmT3_T4_T5_mT6_P12ihipStream_tbENKUlT_T0_E_clISt17integral_constantIbLb0EESW_IbLb1EEEEDaSS_ST_EUlSS_E0_NS1_11comp_targetILNS1_3genE10ELNS1_11target_archE1201ELNS1_3gpuE5ELNS1_3repE0EEENS1_30default_config_static_selectorELNS0_4arch9wavefront6targetE1EEEvT1_, .Lfunc_end3202-_ZN7rocprim17ROCPRIM_400000_NS6detail17trampoline_kernelINS0_14default_configENS1_20scan_config_selectorIfEEZZNS1_9scan_implILNS1_25lookback_scan_determinismE0ELb0ELb0ES3_N6thrust23THRUST_200600_302600_NS6detail15normal_iteratorINS9_10device_ptrIfEEEENS9_16discard_iteratorINS9_11use_defaultEEEf11max_functorIfEfEEDaPvRmT3_T4_T5_mT6_P12ihipStream_tbENKUlT_T0_E_clISt17integral_constantIbLb0EESW_IbLb1EEEEDaSS_ST_EUlSS_E0_NS1_11comp_targetILNS1_3genE10ELNS1_11target_archE1201ELNS1_3gpuE5ELNS1_3repE0EEENS1_30default_config_static_selectorELNS0_4arch9wavefront6targetE1EEEvT1_
                                        ; -- End function
	.section	.AMDGPU.csdata,"",@progbits
; Kernel info:
; codeLenInByte = 0
; NumSgprs: 4
; NumVgprs: 0
; NumAgprs: 0
; TotalNumVgprs: 0
; ScratchSize: 0
; MemoryBound: 0
; FloatMode: 240
; IeeeMode: 1
; LDSByteSize: 0 bytes/workgroup (compile time only)
; SGPRBlocks: 0
; VGPRBlocks: 0
; NumSGPRsForWavesPerEU: 4
; NumVGPRsForWavesPerEU: 1
; AccumOffset: 4
; Occupancy: 8
; WaveLimiterHint : 0
; COMPUTE_PGM_RSRC2:SCRATCH_EN: 0
; COMPUTE_PGM_RSRC2:USER_SGPR: 6
; COMPUTE_PGM_RSRC2:TRAP_HANDLER: 0
; COMPUTE_PGM_RSRC2:TGID_X_EN: 1
; COMPUTE_PGM_RSRC2:TGID_Y_EN: 0
; COMPUTE_PGM_RSRC2:TGID_Z_EN: 0
; COMPUTE_PGM_RSRC2:TIDIG_COMP_CNT: 0
; COMPUTE_PGM_RSRC3_GFX90A:ACCUM_OFFSET: 0
; COMPUTE_PGM_RSRC3_GFX90A:TG_SPLIT: 0
	.section	.text._ZN7rocprim17ROCPRIM_400000_NS6detail17trampoline_kernelINS0_14default_configENS1_20scan_config_selectorIfEEZZNS1_9scan_implILNS1_25lookback_scan_determinismE0ELb0ELb0ES3_N6thrust23THRUST_200600_302600_NS6detail15normal_iteratorINS9_10device_ptrIfEEEENS9_16discard_iteratorINS9_11use_defaultEEEf11max_functorIfEfEEDaPvRmT3_T4_T5_mT6_P12ihipStream_tbENKUlT_T0_E_clISt17integral_constantIbLb0EESW_IbLb1EEEEDaSS_ST_EUlSS_E0_NS1_11comp_targetILNS1_3genE10ELNS1_11target_archE1200ELNS1_3gpuE4ELNS1_3repE0EEENS1_30default_config_static_selectorELNS0_4arch9wavefront6targetE1EEEvT1_,"axG",@progbits,_ZN7rocprim17ROCPRIM_400000_NS6detail17trampoline_kernelINS0_14default_configENS1_20scan_config_selectorIfEEZZNS1_9scan_implILNS1_25lookback_scan_determinismE0ELb0ELb0ES3_N6thrust23THRUST_200600_302600_NS6detail15normal_iteratorINS9_10device_ptrIfEEEENS9_16discard_iteratorINS9_11use_defaultEEEf11max_functorIfEfEEDaPvRmT3_T4_T5_mT6_P12ihipStream_tbENKUlT_T0_E_clISt17integral_constantIbLb0EESW_IbLb1EEEEDaSS_ST_EUlSS_E0_NS1_11comp_targetILNS1_3genE10ELNS1_11target_archE1200ELNS1_3gpuE4ELNS1_3repE0EEENS1_30default_config_static_selectorELNS0_4arch9wavefront6targetE1EEEvT1_,comdat
	.protected	_ZN7rocprim17ROCPRIM_400000_NS6detail17trampoline_kernelINS0_14default_configENS1_20scan_config_selectorIfEEZZNS1_9scan_implILNS1_25lookback_scan_determinismE0ELb0ELb0ES3_N6thrust23THRUST_200600_302600_NS6detail15normal_iteratorINS9_10device_ptrIfEEEENS9_16discard_iteratorINS9_11use_defaultEEEf11max_functorIfEfEEDaPvRmT3_T4_T5_mT6_P12ihipStream_tbENKUlT_T0_E_clISt17integral_constantIbLb0EESW_IbLb1EEEEDaSS_ST_EUlSS_E0_NS1_11comp_targetILNS1_3genE10ELNS1_11target_archE1200ELNS1_3gpuE4ELNS1_3repE0EEENS1_30default_config_static_selectorELNS0_4arch9wavefront6targetE1EEEvT1_ ; -- Begin function _ZN7rocprim17ROCPRIM_400000_NS6detail17trampoline_kernelINS0_14default_configENS1_20scan_config_selectorIfEEZZNS1_9scan_implILNS1_25lookback_scan_determinismE0ELb0ELb0ES3_N6thrust23THRUST_200600_302600_NS6detail15normal_iteratorINS9_10device_ptrIfEEEENS9_16discard_iteratorINS9_11use_defaultEEEf11max_functorIfEfEEDaPvRmT3_T4_T5_mT6_P12ihipStream_tbENKUlT_T0_E_clISt17integral_constantIbLb0EESW_IbLb1EEEEDaSS_ST_EUlSS_E0_NS1_11comp_targetILNS1_3genE10ELNS1_11target_archE1200ELNS1_3gpuE4ELNS1_3repE0EEENS1_30default_config_static_selectorELNS0_4arch9wavefront6targetE1EEEvT1_
	.globl	_ZN7rocprim17ROCPRIM_400000_NS6detail17trampoline_kernelINS0_14default_configENS1_20scan_config_selectorIfEEZZNS1_9scan_implILNS1_25lookback_scan_determinismE0ELb0ELb0ES3_N6thrust23THRUST_200600_302600_NS6detail15normal_iteratorINS9_10device_ptrIfEEEENS9_16discard_iteratorINS9_11use_defaultEEEf11max_functorIfEfEEDaPvRmT3_T4_T5_mT6_P12ihipStream_tbENKUlT_T0_E_clISt17integral_constantIbLb0EESW_IbLb1EEEEDaSS_ST_EUlSS_E0_NS1_11comp_targetILNS1_3genE10ELNS1_11target_archE1200ELNS1_3gpuE4ELNS1_3repE0EEENS1_30default_config_static_selectorELNS0_4arch9wavefront6targetE1EEEvT1_
	.p2align	8
	.type	_ZN7rocprim17ROCPRIM_400000_NS6detail17trampoline_kernelINS0_14default_configENS1_20scan_config_selectorIfEEZZNS1_9scan_implILNS1_25lookback_scan_determinismE0ELb0ELb0ES3_N6thrust23THRUST_200600_302600_NS6detail15normal_iteratorINS9_10device_ptrIfEEEENS9_16discard_iteratorINS9_11use_defaultEEEf11max_functorIfEfEEDaPvRmT3_T4_T5_mT6_P12ihipStream_tbENKUlT_T0_E_clISt17integral_constantIbLb0EESW_IbLb1EEEEDaSS_ST_EUlSS_E0_NS1_11comp_targetILNS1_3genE10ELNS1_11target_archE1200ELNS1_3gpuE4ELNS1_3repE0EEENS1_30default_config_static_selectorELNS0_4arch9wavefront6targetE1EEEvT1_,@function
_ZN7rocprim17ROCPRIM_400000_NS6detail17trampoline_kernelINS0_14default_configENS1_20scan_config_selectorIfEEZZNS1_9scan_implILNS1_25lookback_scan_determinismE0ELb0ELb0ES3_N6thrust23THRUST_200600_302600_NS6detail15normal_iteratorINS9_10device_ptrIfEEEENS9_16discard_iteratorINS9_11use_defaultEEEf11max_functorIfEfEEDaPvRmT3_T4_T5_mT6_P12ihipStream_tbENKUlT_T0_E_clISt17integral_constantIbLb0EESW_IbLb1EEEEDaSS_ST_EUlSS_E0_NS1_11comp_targetILNS1_3genE10ELNS1_11target_archE1200ELNS1_3gpuE4ELNS1_3repE0EEENS1_30default_config_static_selectorELNS0_4arch9wavefront6targetE1EEEvT1_: ; @_ZN7rocprim17ROCPRIM_400000_NS6detail17trampoline_kernelINS0_14default_configENS1_20scan_config_selectorIfEEZZNS1_9scan_implILNS1_25lookback_scan_determinismE0ELb0ELb0ES3_N6thrust23THRUST_200600_302600_NS6detail15normal_iteratorINS9_10device_ptrIfEEEENS9_16discard_iteratorINS9_11use_defaultEEEf11max_functorIfEfEEDaPvRmT3_T4_T5_mT6_P12ihipStream_tbENKUlT_T0_E_clISt17integral_constantIbLb0EESW_IbLb1EEEEDaSS_ST_EUlSS_E0_NS1_11comp_targetILNS1_3genE10ELNS1_11target_archE1200ELNS1_3gpuE4ELNS1_3repE0EEENS1_30default_config_static_selectorELNS0_4arch9wavefront6targetE1EEEvT1_
; %bb.0:
	.section	.rodata,"a",@progbits
	.p2align	6, 0x0
	.amdhsa_kernel _ZN7rocprim17ROCPRIM_400000_NS6detail17trampoline_kernelINS0_14default_configENS1_20scan_config_selectorIfEEZZNS1_9scan_implILNS1_25lookback_scan_determinismE0ELb0ELb0ES3_N6thrust23THRUST_200600_302600_NS6detail15normal_iteratorINS9_10device_ptrIfEEEENS9_16discard_iteratorINS9_11use_defaultEEEf11max_functorIfEfEEDaPvRmT3_T4_T5_mT6_P12ihipStream_tbENKUlT_T0_E_clISt17integral_constantIbLb0EESW_IbLb1EEEEDaSS_ST_EUlSS_E0_NS1_11comp_targetILNS1_3genE10ELNS1_11target_archE1200ELNS1_3gpuE4ELNS1_3repE0EEENS1_30default_config_static_selectorELNS0_4arch9wavefront6targetE1EEEvT1_
		.amdhsa_group_segment_fixed_size 0
		.amdhsa_private_segment_fixed_size 0
		.amdhsa_kernarg_size 40
		.amdhsa_user_sgpr_count 6
		.amdhsa_user_sgpr_private_segment_buffer 1
		.amdhsa_user_sgpr_dispatch_ptr 0
		.amdhsa_user_sgpr_queue_ptr 0
		.amdhsa_user_sgpr_kernarg_segment_ptr 1
		.amdhsa_user_sgpr_dispatch_id 0
		.amdhsa_user_sgpr_flat_scratch_init 0
		.amdhsa_user_sgpr_kernarg_preload_length 0
		.amdhsa_user_sgpr_kernarg_preload_offset 0
		.amdhsa_user_sgpr_private_segment_size 0
		.amdhsa_uses_dynamic_stack 0
		.amdhsa_system_sgpr_private_segment_wavefront_offset 0
		.amdhsa_system_sgpr_workgroup_id_x 1
		.amdhsa_system_sgpr_workgroup_id_y 0
		.amdhsa_system_sgpr_workgroup_id_z 0
		.amdhsa_system_sgpr_workgroup_info 0
		.amdhsa_system_vgpr_workitem_id 0
		.amdhsa_next_free_vgpr 1
		.amdhsa_next_free_sgpr 0
		.amdhsa_accum_offset 4
		.amdhsa_reserve_vcc 0
		.amdhsa_reserve_flat_scratch 0
		.amdhsa_float_round_mode_32 0
		.amdhsa_float_round_mode_16_64 0
		.amdhsa_float_denorm_mode_32 3
		.amdhsa_float_denorm_mode_16_64 3
		.amdhsa_dx10_clamp 1
		.amdhsa_ieee_mode 1
		.amdhsa_fp16_overflow 0
		.amdhsa_tg_split 0
		.amdhsa_exception_fp_ieee_invalid_op 0
		.amdhsa_exception_fp_denorm_src 0
		.amdhsa_exception_fp_ieee_div_zero 0
		.amdhsa_exception_fp_ieee_overflow 0
		.amdhsa_exception_fp_ieee_underflow 0
		.amdhsa_exception_fp_ieee_inexact 0
		.amdhsa_exception_int_div_zero 0
	.end_amdhsa_kernel
	.section	.text._ZN7rocprim17ROCPRIM_400000_NS6detail17trampoline_kernelINS0_14default_configENS1_20scan_config_selectorIfEEZZNS1_9scan_implILNS1_25lookback_scan_determinismE0ELb0ELb0ES3_N6thrust23THRUST_200600_302600_NS6detail15normal_iteratorINS9_10device_ptrIfEEEENS9_16discard_iteratorINS9_11use_defaultEEEf11max_functorIfEfEEDaPvRmT3_T4_T5_mT6_P12ihipStream_tbENKUlT_T0_E_clISt17integral_constantIbLb0EESW_IbLb1EEEEDaSS_ST_EUlSS_E0_NS1_11comp_targetILNS1_3genE10ELNS1_11target_archE1200ELNS1_3gpuE4ELNS1_3repE0EEENS1_30default_config_static_selectorELNS0_4arch9wavefront6targetE1EEEvT1_,"axG",@progbits,_ZN7rocprim17ROCPRIM_400000_NS6detail17trampoline_kernelINS0_14default_configENS1_20scan_config_selectorIfEEZZNS1_9scan_implILNS1_25lookback_scan_determinismE0ELb0ELb0ES3_N6thrust23THRUST_200600_302600_NS6detail15normal_iteratorINS9_10device_ptrIfEEEENS9_16discard_iteratorINS9_11use_defaultEEEf11max_functorIfEfEEDaPvRmT3_T4_T5_mT6_P12ihipStream_tbENKUlT_T0_E_clISt17integral_constantIbLb0EESW_IbLb1EEEEDaSS_ST_EUlSS_E0_NS1_11comp_targetILNS1_3genE10ELNS1_11target_archE1200ELNS1_3gpuE4ELNS1_3repE0EEENS1_30default_config_static_selectorELNS0_4arch9wavefront6targetE1EEEvT1_,comdat
.Lfunc_end3203:
	.size	_ZN7rocprim17ROCPRIM_400000_NS6detail17trampoline_kernelINS0_14default_configENS1_20scan_config_selectorIfEEZZNS1_9scan_implILNS1_25lookback_scan_determinismE0ELb0ELb0ES3_N6thrust23THRUST_200600_302600_NS6detail15normal_iteratorINS9_10device_ptrIfEEEENS9_16discard_iteratorINS9_11use_defaultEEEf11max_functorIfEfEEDaPvRmT3_T4_T5_mT6_P12ihipStream_tbENKUlT_T0_E_clISt17integral_constantIbLb0EESW_IbLb1EEEEDaSS_ST_EUlSS_E0_NS1_11comp_targetILNS1_3genE10ELNS1_11target_archE1200ELNS1_3gpuE4ELNS1_3repE0EEENS1_30default_config_static_selectorELNS0_4arch9wavefront6targetE1EEEvT1_, .Lfunc_end3203-_ZN7rocprim17ROCPRIM_400000_NS6detail17trampoline_kernelINS0_14default_configENS1_20scan_config_selectorIfEEZZNS1_9scan_implILNS1_25lookback_scan_determinismE0ELb0ELb0ES3_N6thrust23THRUST_200600_302600_NS6detail15normal_iteratorINS9_10device_ptrIfEEEENS9_16discard_iteratorINS9_11use_defaultEEEf11max_functorIfEfEEDaPvRmT3_T4_T5_mT6_P12ihipStream_tbENKUlT_T0_E_clISt17integral_constantIbLb0EESW_IbLb1EEEEDaSS_ST_EUlSS_E0_NS1_11comp_targetILNS1_3genE10ELNS1_11target_archE1200ELNS1_3gpuE4ELNS1_3repE0EEENS1_30default_config_static_selectorELNS0_4arch9wavefront6targetE1EEEvT1_
                                        ; -- End function
	.section	.AMDGPU.csdata,"",@progbits
; Kernel info:
; codeLenInByte = 0
; NumSgprs: 4
; NumVgprs: 0
; NumAgprs: 0
; TotalNumVgprs: 0
; ScratchSize: 0
; MemoryBound: 0
; FloatMode: 240
; IeeeMode: 1
; LDSByteSize: 0 bytes/workgroup (compile time only)
; SGPRBlocks: 0
; VGPRBlocks: 0
; NumSGPRsForWavesPerEU: 4
; NumVGPRsForWavesPerEU: 1
; AccumOffset: 4
; Occupancy: 8
; WaveLimiterHint : 0
; COMPUTE_PGM_RSRC2:SCRATCH_EN: 0
; COMPUTE_PGM_RSRC2:USER_SGPR: 6
; COMPUTE_PGM_RSRC2:TRAP_HANDLER: 0
; COMPUTE_PGM_RSRC2:TGID_X_EN: 1
; COMPUTE_PGM_RSRC2:TGID_Y_EN: 0
; COMPUTE_PGM_RSRC2:TGID_Z_EN: 0
; COMPUTE_PGM_RSRC2:TIDIG_COMP_CNT: 0
; COMPUTE_PGM_RSRC3_GFX90A:ACCUM_OFFSET: 0
; COMPUTE_PGM_RSRC3_GFX90A:TG_SPLIT: 0
	.section	.text._ZN7rocprim17ROCPRIM_400000_NS6detail17trampoline_kernelINS0_14default_configENS1_20scan_config_selectorIfEEZZNS1_9scan_implILNS1_25lookback_scan_determinismE0ELb0ELb0ES3_N6thrust23THRUST_200600_302600_NS6detail15normal_iteratorINS9_10device_ptrIfEEEENS9_16discard_iteratorINS9_11use_defaultEEEf11max_functorIfEfEEDaPvRmT3_T4_T5_mT6_P12ihipStream_tbENKUlT_T0_E_clISt17integral_constantIbLb0EESW_IbLb1EEEEDaSS_ST_EUlSS_E0_NS1_11comp_targetILNS1_3genE9ELNS1_11target_archE1100ELNS1_3gpuE3ELNS1_3repE0EEENS1_30default_config_static_selectorELNS0_4arch9wavefront6targetE1EEEvT1_,"axG",@progbits,_ZN7rocprim17ROCPRIM_400000_NS6detail17trampoline_kernelINS0_14default_configENS1_20scan_config_selectorIfEEZZNS1_9scan_implILNS1_25lookback_scan_determinismE0ELb0ELb0ES3_N6thrust23THRUST_200600_302600_NS6detail15normal_iteratorINS9_10device_ptrIfEEEENS9_16discard_iteratorINS9_11use_defaultEEEf11max_functorIfEfEEDaPvRmT3_T4_T5_mT6_P12ihipStream_tbENKUlT_T0_E_clISt17integral_constantIbLb0EESW_IbLb1EEEEDaSS_ST_EUlSS_E0_NS1_11comp_targetILNS1_3genE9ELNS1_11target_archE1100ELNS1_3gpuE3ELNS1_3repE0EEENS1_30default_config_static_selectorELNS0_4arch9wavefront6targetE1EEEvT1_,comdat
	.protected	_ZN7rocprim17ROCPRIM_400000_NS6detail17trampoline_kernelINS0_14default_configENS1_20scan_config_selectorIfEEZZNS1_9scan_implILNS1_25lookback_scan_determinismE0ELb0ELb0ES3_N6thrust23THRUST_200600_302600_NS6detail15normal_iteratorINS9_10device_ptrIfEEEENS9_16discard_iteratorINS9_11use_defaultEEEf11max_functorIfEfEEDaPvRmT3_T4_T5_mT6_P12ihipStream_tbENKUlT_T0_E_clISt17integral_constantIbLb0EESW_IbLb1EEEEDaSS_ST_EUlSS_E0_NS1_11comp_targetILNS1_3genE9ELNS1_11target_archE1100ELNS1_3gpuE3ELNS1_3repE0EEENS1_30default_config_static_selectorELNS0_4arch9wavefront6targetE1EEEvT1_ ; -- Begin function _ZN7rocprim17ROCPRIM_400000_NS6detail17trampoline_kernelINS0_14default_configENS1_20scan_config_selectorIfEEZZNS1_9scan_implILNS1_25lookback_scan_determinismE0ELb0ELb0ES3_N6thrust23THRUST_200600_302600_NS6detail15normal_iteratorINS9_10device_ptrIfEEEENS9_16discard_iteratorINS9_11use_defaultEEEf11max_functorIfEfEEDaPvRmT3_T4_T5_mT6_P12ihipStream_tbENKUlT_T0_E_clISt17integral_constantIbLb0EESW_IbLb1EEEEDaSS_ST_EUlSS_E0_NS1_11comp_targetILNS1_3genE9ELNS1_11target_archE1100ELNS1_3gpuE3ELNS1_3repE0EEENS1_30default_config_static_selectorELNS0_4arch9wavefront6targetE1EEEvT1_
	.globl	_ZN7rocprim17ROCPRIM_400000_NS6detail17trampoline_kernelINS0_14default_configENS1_20scan_config_selectorIfEEZZNS1_9scan_implILNS1_25lookback_scan_determinismE0ELb0ELb0ES3_N6thrust23THRUST_200600_302600_NS6detail15normal_iteratorINS9_10device_ptrIfEEEENS9_16discard_iteratorINS9_11use_defaultEEEf11max_functorIfEfEEDaPvRmT3_T4_T5_mT6_P12ihipStream_tbENKUlT_T0_E_clISt17integral_constantIbLb0EESW_IbLb1EEEEDaSS_ST_EUlSS_E0_NS1_11comp_targetILNS1_3genE9ELNS1_11target_archE1100ELNS1_3gpuE3ELNS1_3repE0EEENS1_30default_config_static_selectorELNS0_4arch9wavefront6targetE1EEEvT1_
	.p2align	8
	.type	_ZN7rocprim17ROCPRIM_400000_NS6detail17trampoline_kernelINS0_14default_configENS1_20scan_config_selectorIfEEZZNS1_9scan_implILNS1_25lookback_scan_determinismE0ELb0ELb0ES3_N6thrust23THRUST_200600_302600_NS6detail15normal_iteratorINS9_10device_ptrIfEEEENS9_16discard_iteratorINS9_11use_defaultEEEf11max_functorIfEfEEDaPvRmT3_T4_T5_mT6_P12ihipStream_tbENKUlT_T0_E_clISt17integral_constantIbLb0EESW_IbLb1EEEEDaSS_ST_EUlSS_E0_NS1_11comp_targetILNS1_3genE9ELNS1_11target_archE1100ELNS1_3gpuE3ELNS1_3repE0EEENS1_30default_config_static_selectorELNS0_4arch9wavefront6targetE1EEEvT1_,@function
_ZN7rocprim17ROCPRIM_400000_NS6detail17trampoline_kernelINS0_14default_configENS1_20scan_config_selectorIfEEZZNS1_9scan_implILNS1_25lookback_scan_determinismE0ELb0ELb0ES3_N6thrust23THRUST_200600_302600_NS6detail15normal_iteratorINS9_10device_ptrIfEEEENS9_16discard_iteratorINS9_11use_defaultEEEf11max_functorIfEfEEDaPvRmT3_T4_T5_mT6_P12ihipStream_tbENKUlT_T0_E_clISt17integral_constantIbLb0EESW_IbLb1EEEEDaSS_ST_EUlSS_E0_NS1_11comp_targetILNS1_3genE9ELNS1_11target_archE1100ELNS1_3gpuE3ELNS1_3repE0EEENS1_30default_config_static_selectorELNS0_4arch9wavefront6targetE1EEEvT1_: ; @_ZN7rocprim17ROCPRIM_400000_NS6detail17trampoline_kernelINS0_14default_configENS1_20scan_config_selectorIfEEZZNS1_9scan_implILNS1_25lookback_scan_determinismE0ELb0ELb0ES3_N6thrust23THRUST_200600_302600_NS6detail15normal_iteratorINS9_10device_ptrIfEEEENS9_16discard_iteratorINS9_11use_defaultEEEf11max_functorIfEfEEDaPvRmT3_T4_T5_mT6_P12ihipStream_tbENKUlT_T0_E_clISt17integral_constantIbLb0EESW_IbLb1EEEEDaSS_ST_EUlSS_E0_NS1_11comp_targetILNS1_3genE9ELNS1_11target_archE1100ELNS1_3gpuE3ELNS1_3repE0EEENS1_30default_config_static_selectorELNS0_4arch9wavefront6targetE1EEEvT1_
; %bb.0:
	.section	.rodata,"a",@progbits
	.p2align	6, 0x0
	.amdhsa_kernel _ZN7rocprim17ROCPRIM_400000_NS6detail17trampoline_kernelINS0_14default_configENS1_20scan_config_selectorIfEEZZNS1_9scan_implILNS1_25lookback_scan_determinismE0ELb0ELb0ES3_N6thrust23THRUST_200600_302600_NS6detail15normal_iteratorINS9_10device_ptrIfEEEENS9_16discard_iteratorINS9_11use_defaultEEEf11max_functorIfEfEEDaPvRmT3_T4_T5_mT6_P12ihipStream_tbENKUlT_T0_E_clISt17integral_constantIbLb0EESW_IbLb1EEEEDaSS_ST_EUlSS_E0_NS1_11comp_targetILNS1_3genE9ELNS1_11target_archE1100ELNS1_3gpuE3ELNS1_3repE0EEENS1_30default_config_static_selectorELNS0_4arch9wavefront6targetE1EEEvT1_
		.amdhsa_group_segment_fixed_size 0
		.amdhsa_private_segment_fixed_size 0
		.amdhsa_kernarg_size 40
		.amdhsa_user_sgpr_count 6
		.amdhsa_user_sgpr_private_segment_buffer 1
		.amdhsa_user_sgpr_dispatch_ptr 0
		.amdhsa_user_sgpr_queue_ptr 0
		.amdhsa_user_sgpr_kernarg_segment_ptr 1
		.amdhsa_user_sgpr_dispatch_id 0
		.amdhsa_user_sgpr_flat_scratch_init 0
		.amdhsa_user_sgpr_kernarg_preload_length 0
		.amdhsa_user_sgpr_kernarg_preload_offset 0
		.amdhsa_user_sgpr_private_segment_size 0
		.amdhsa_uses_dynamic_stack 0
		.amdhsa_system_sgpr_private_segment_wavefront_offset 0
		.amdhsa_system_sgpr_workgroup_id_x 1
		.amdhsa_system_sgpr_workgroup_id_y 0
		.amdhsa_system_sgpr_workgroup_id_z 0
		.amdhsa_system_sgpr_workgroup_info 0
		.amdhsa_system_vgpr_workitem_id 0
		.amdhsa_next_free_vgpr 1
		.amdhsa_next_free_sgpr 0
		.amdhsa_accum_offset 4
		.amdhsa_reserve_vcc 0
		.amdhsa_reserve_flat_scratch 0
		.amdhsa_float_round_mode_32 0
		.amdhsa_float_round_mode_16_64 0
		.amdhsa_float_denorm_mode_32 3
		.amdhsa_float_denorm_mode_16_64 3
		.amdhsa_dx10_clamp 1
		.amdhsa_ieee_mode 1
		.amdhsa_fp16_overflow 0
		.amdhsa_tg_split 0
		.amdhsa_exception_fp_ieee_invalid_op 0
		.amdhsa_exception_fp_denorm_src 0
		.amdhsa_exception_fp_ieee_div_zero 0
		.amdhsa_exception_fp_ieee_overflow 0
		.amdhsa_exception_fp_ieee_underflow 0
		.amdhsa_exception_fp_ieee_inexact 0
		.amdhsa_exception_int_div_zero 0
	.end_amdhsa_kernel
	.section	.text._ZN7rocprim17ROCPRIM_400000_NS6detail17trampoline_kernelINS0_14default_configENS1_20scan_config_selectorIfEEZZNS1_9scan_implILNS1_25lookback_scan_determinismE0ELb0ELb0ES3_N6thrust23THRUST_200600_302600_NS6detail15normal_iteratorINS9_10device_ptrIfEEEENS9_16discard_iteratorINS9_11use_defaultEEEf11max_functorIfEfEEDaPvRmT3_T4_T5_mT6_P12ihipStream_tbENKUlT_T0_E_clISt17integral_constantIbLb0EESW_IbLb1EEEEDaSS_ST_EUlSS_E0_NS1_11comp_targetILNS1_3genE9ELNS1_11target_archE1100ELNS1_3gpuE3ELNS1_3repE0EEENS1_30default_config_static_selectorELNS0_4arch9wavefront6targetE1EEEvT1_,"axG",@progbits,_ZN7rocprim17ROCPRIM_400000_NS6detail17trampoline_kernelINS0_14default_configENS1_20scan_config_selectorIfEEZZNS1_9scan_implILNS1_25lookback_scan_determinismE0ELb0ELb0ES3_N6thrust23THRUST_200600_302600_NS6detail15normal_iteratorINS9_10device_ptrIfEEEENS9_16discard_iteratorINS9_11use_defaultEEEf11max_functorIfEfEEDaPvRmT3_T4_T5_mT6_P12ihipStream_tbENKUlT_T0_E_clISt17integral_constantIbLb0EESW_IbLb1EEEEDaSS_ST_EUlSS_E0_NS1_11comp_targetILNS1_3genE9ELNS1_11target_archE1100ELNS1_3gpuE3ELNS1_3repE0EEENS1_30default_config_static_selectorELNS0_4arch9wavefront6targetE1EEEvT1_,comdat
.Lfunc_end3204:
	.size	_ZN7rocprim17ROCPRIM_400000_NS6detail17trampoline_kernelINS0_14default_configENS1_20scan_config_selectorIfEEZZNS1_9scan_implILNS1_25lookback_scan_determinismE0ELb0ELb0ES3_N6thrust23THRUST_200600_302600_NS6detail15normal_iteratorINS9_10device_ptrIfEEEENS9_16discard_iteratorINS9_11use_defaultEEEf11max_functorIfEfEEDaPvRmT3_T4_T5_mT6_P12ihipStream_tbENKUlT_T0_E_clISt17integral_constantIbLb0EESW_IbLb1EEEEDaSS_ST_EUlSS_E0_NS1_11comp_targetILNS1_3genE9ELNS1_11target_archE1100ELNS1_3gpuE3ELNS1_3repE0EEENS1_30default_config_static_selectorELNS0_4arch9wavefront6targetE1EEEvT1_, .Lfunc_end3204-_ZN7rocprim17ROCPRIM_400000_NS6detail17trampoline_kernelINS0_14default_configENS1_20scan_config_selectorIfEEZZNS1_9scan_implILNS1_25lookback_scan_determinismE0ELb0ELb0ES3_N6thrust23THRUST_200600_302600_NS6detail15normal_iteratorINS9_10device_ptrIfEEEENS9_16discard_iteratorINS9_11use_defaultEEEf11max_functorIfEfEEDaPvRmT3_T4_T5_mT6_P12ihipStream_tbENKUlT_T0_E_clISt17integral_constantIbLb0EESW_IbLb1EEEEDaSS_ST_EUlSS_E0_NS1_11comp_targetILNS1_3genE9ELNS1_11target_archE1100ELNS1_3gpuE3ELNS1_3repE0EEENS1_30default_config_static_selectorELNS0_4arch9wavefront6targetE1EEEvT1_
                                        ; -- End function
	.section	.AMDGPU.csdata,"",@progbits
; Kernel info:
; codeLenInByte = 0
; NumSgprs: 4
; NumVgprs: 0
; NumAgprs: 0
; TotalNumVgprs: 0
; ScratchSize: 0
; MemoryBound: 0
; FloatMode: 240
; IeeeMode: 1
; LDSByteSize: 0 bytes/workgroup (compile time only)
; SGPRBlocks: 0
; VGPRBlocks: 0
; NumSGPRsForWavesPerEU: 4
; NumVGPRsForWavesPerEU: 1
; AccumOffset: 4
; Occupancy: 8
; WaveLimiterHint : 0
; COMPUTE_PGM_RSRC2:SCRATCH_EN: 0
; COMPUTE_PGM_RSRC2:USER_SGPR: 6
; COMPUTE_PGM_RSRC2:TRAP_HANDLER: 0
; COMPUTE_PGM_RSRC2:TGID_X_EN: 1
; COMPUTE_PGM_RSRC2:TGID_Y_EN: 0
; COMPUTE_PGM_RSRC2:TGID_Z_EN: 0
; COMPUTE_PGM_RSRC2:TIDIG_COMP_CNT: 0
; COMPUTE_PGM_RSRC3_GFX90A:ACCUM_OFFSET: 0
; COMPUTE_PGM_RSRC3_GFX90A:TG_SPLIT: 0
	.section	.text._ZN7rocprim17ROCPRIM_400000_NS6detail17trampoline_kernelINS0_14default_configENS1_20scan_config_selectorIfEEZZNS1_9scan_implILNS1_25lookback_scan_determinismE0ELb0ELb0ES3_N6thrust23THRUST_200600_302600_NS6detail15normal_iteratorINS9_10device_ptrIfEEEENS9_16discard_iteratorINS9_11use_defaultEEEf11max_functorIfEfEEDaPvRmT3_T4_T5_mT6_P12ihipStream_tbENKUlT_T0_E_clISt17integral_constantIbLb0EESW_IbLb1EEEEDaSS_ST_EUlSS_E0_NS1_11comp_targetILNS1_3genE8ELNS1_11target_archE1030ELNS1_3gpuE2ELNS1_3repE0EEENS1_30default_config_static_selectorELNS0_4arch9wavefront6targetE1EEEvT1_,"axG",@progbits,_ZN7rocprim17ROCPRIM_400000_NS6detail17trampoline_kernelINS0_14default_configENS1_20scan_config_selectorIfEEZZNS1_9scan_implILNS1_25lookback_scan_determinismE0ELb0ELb0ES3_N6thrust23THRUST_200600_302600_NS6detail15normal_iteratorINS9_10device_ptrIfEEEENS9_16discard_iteratorINS9_11use_defaultEEEf11max_functorIfEfEEDaPvRmT3_T4_T5_mT6_P12ihipStream_tbENKUlT_T0_E_clISt17integral_constantIbLb0EESW_IbLb1EEEEDaSS_ST_EUlSS_E0_NS1_11comp_targetILNS1_3genE8ELNS1_11target_archE1030ELNS1_3gpuE2ELNS1_3repE0EEENS1_30default_config_static_selectorELNS0_4arch9wavefront6targetE1EEEvT1_,comdat
	.protected	_ZN7rocprim17ROCPRIM_400000_NS6detail17trampoline_kernelINS0_14default_configENS1_20scan_config_selectorIfEEZZNS1_9scan_implILNS1_25lookback_scan_determinismE0ELb0ELb0ES3_N6thrust23THRUST_200600_302600_NS6detail15normal_iteratorINS9_10device_ptrIfEEEENS9_16discard_iteratorINS9_11use_defaultEEEf11max_functorIfEfEEDaPvRmT3_T4_T5_mT6_P12ihipStream_tbENKUlT_T0_E_clISt17integral_constantIbLb0EESW_IbLb1EEEEDaSS_ST_EUlSS_E0_NS1_11comp_targetILNS1_3genE8ELNS1_11target_archE1030ELNS1_3gpuE2ELNS1_3repE0EEENS1_30default_config_static_selectorELNS0_4arch9wavefront6targetE1EEEvT1_ ; -- Begin function _ZN7rocprim17ROCPRIM_400000_NS6detail17trampoline_kernelINS0_14default_configENS1_20scan_config_selectorIfEEZZNS1_9scan_implILNS1_25lookback_scan_determinismE0ELb0ELb0ES3_N6thrust23THRUST_200600_302600_NS6detail15normal_iteratorINS9_10device_ptrIfEEEENS9_16discard_iteratorINS9_11use_defaultEEEf11max_functorIfEfEEDaPvRmT3_T4_T5_mT6_P12ihipStream_tbENKUlT_T0_E_clISt17integral_constantIbLb0EESW_IbLb1EEEEDaSS_ST_EUlSS_E0_NS1_11comp_targetILNS1_3genE8ELNS1_11target_archE1030ELNS1_3gpuE2ELNS1_3repE0EEENS1_30default_config_static_selectorELNS0_4arch9wavefront6targetE1EEEvT1_
	.globl	_ZN7rocprim17ROCPRIM_400000_NS6detail17trampoline_kernelINS0_14default_configENS1_20scan_config_selectorIfEEZZNS1_9scan_implILNS1_25lookback_scan_determinismE0ELb0ELb0ES3_N6thrust23THRUST_200600_302600_NS6detail15normal_iteratorINS9_10device_ptrIfEEEENS9_16discard_iteratorINS9_11use_defaultEEEf11max_functorIfEfEEDaPvRmT3_T4_T5_mT6_P12ihipStream_tbENKUlT_T0_E_clISt17integral_constantIbLb0EESW_IbLb1EEEEDaSS_ST_EUlSS_E0_NS1_11comp_targetILNS1_3genE8ELNS1_11target_archE1030ELNS1_3gpuE2ELNS1_3repE0EEENS1_30default_config_static_selectorELNS0_4arch9wavefront6targetE1EEEvT1_
	.p2align	8
	.type	_ZN7rocprim17ROCPRIM_400000_NS6detail17trampoline_kernelINS0_14default_configENS1_20scan_config_selectorIfEEZZNS1_9scan_implILNS1_25lookback_scan_determinismE0ELb0ELb0ES3_N6thrust23THRUST_200600_302600_NS6detail15normal_iteratorINS9_10device_ptrIfEEEENS9_16discard_iteratorINS9_11use_defaultEEEf11max_functorIfEfEEDaPvRmT3_T4_T5_mT6_P12ihipStream_tbENKUlT_T0_E_clISt17integral_constantIbLb0EESW_IbLb1EEEEDaSS_ST_EUlSS_E0_NS1_11comp_targetILNS1_3genE8ELNS1_11target_archE1030ELNS1_3gpuE2ELNS1_3repE0EEENS1_30default_config_static_selectorELNS0_4arch9wavefront6targetE1EEEvT1_,@function
_ZN7rocprim17ROCPRIM_400000_NS6detail17trampoline_kernelINS0_14default_configENS1_20scan_config_selectorIfEEZZNS1_9scan_implILNS1_25lookback_scan_determinismE0ELb0ELb0ES3_N6thrust23THRUST_200600_302600_NS6detail15normal_iteratorINS9_10device_ptrIfEEEENS9_16discard_iteratorINS9_11use_defaultEEEf11max_functorIfEfEEDaPvRmT3_T4_T5_mT6_P12ihipStream_tbENKUlT_T0_E_clISt17integral_constantIbLb0EESW_IbLb1EEEEDaSS_ST_EUlSS_E0_NS1_11comp_targetILNS1_3genE8ELNS1_11target_archE1030ELNS1_3gpuE2ELNS1_3repE0EEENS1_30default_config_static_selectorELNS0_4arch9wavefront6targetE1EEEvT1_: ; @_ZN7rocprim17ROCPRIM_400000_NS6detail17trampoline_kernelINS0_14default_configENS1_20scan_config_selectorIfEEZZNS1_9scan_implILNS1_25lookback_scan_determinismE0ELb0ELb0ES3_N6thrust23THRUST_200600_302600_NS6detail15normal_iteratorINS9_10device_ptrIfEEEENS9_16discard_iteratorINS9_11use_defaultEEEf11max_functorIfEfEEDaPvRmT3_T4_T5_mT6_P12ihipStream_tbENKUlT_T0_E_clISt17integral_constantIbLb0EESW_IbLb1EEEEDaSS_ST_EUlSS_E0_NS1_11comp_targetILNS1_3genE8ELNS1_11target_archE1030ELNS1_3gpuE2ELNS1_3repE0EEENS1_30default_config_static_selectorELNS0_4arch9wavefront6targetE1EEEvT1_
; %bb.0:
	.section	.rodata,"a",@progbits
	.p2align	6, 0x0
	.amdhsa_kernel _ZN7rocprim17ROCPRIM_400000_NS6detail17trampoline_kernelINS0_14default_configENS1_20scan_config_selectorIfEEZZNS1_9scan_implILNS1_25lookback_scan_determinismE0ELb0ELb0ES3_N6thrust23THRUST_200600_302600_NS6detail15normal_iteratorINS9_10device_ptrIfEEEENS9_16discard_iteratorINS9_11use_defaultEEEf11max_functorIfEfEEDaPvRmT3_T4_T5_mT6_P12ihipStream_tbENKUlT_T0_E_clISt17integral_constantIbLb0EESW_IbLb1EEEEDaSS_ST_EUlSS_E0_NS1_11comp_targetILNS1_3genE8ELNS1_11target_archE1030ELNS1_3gpuE2ELNS1_3repE0EEENS1_30default_config_static_selectorELNS0_4arch9wavefront6targetE1EEEvT1_
		.amdhsa_group_segment_fixed_size 0
		.amdhsa_private_segment_fixed_size 0
		.amdhsa_kernarg_size 40
		.amdhsa_user_sgpr_count 6
		.amdhsa_user_sgpr_private_segment_buffer 1
		.amdhsa_user_sgpr_dispatch_ptr 0
		.amdhsa_user_sgpr_queue_ptr 0
		.amdhsa_user_sgpr_kernarg_segment_ptr 1
		.amdhsa_user_sgpr_dispatch_id 0
		.amdhsa_user_sgpr_flat_scratch_init 0
		.amdhsa_user_sgpr_kernarg_preload_length 0
		.amdhsa_user_sgpr_kernarg_preload_offset 0
		.amdhsa_user_sgpr_private_segment_size 0
		.amdhsa_uses_dynamic_stack 0
		.amdhsa_system_sgpr_private_segment_wavefront_offset 0
		.amdhsa_system_sgpr_workgroup_id_x 1
		.amdhsa_system_sgpr_workgroup_id_y 0
		.amdhsa_system_sgpr_workgroup_id_z 0
		.amdhsa_system_sgpr_workgroup_info 0
		.amdhsa_system_vgpr_workitem_id 0
		.amdhsa_next_free_vgpr 1
		.amdhsa_next_free_sgpr 0
		.amdhsa_accum_offset 4
		.amdhsa_reserve_vcc 0
		.amdhsa_reserve_flat_scratch 0
		.amdhsa_float_round_mode_32 0
		.amdhsa_float_round_mode_16_64 0
		.amdhsa_float_denorm_mode_32 3
		.amdhsa_float_denorm_mode_16_64 3
		.amdhsa_dx10_clamp 1
		.amdhsa_ieee_mode 1
		.amdhsa_fp16_overflow 0
		.amdhsa_tg_split 0
		.amdhsa_exception_fp_ieee_invalid_op 0
		.amdhsa_exception_fp_denorm_src 0
		.amdhsa_exception_fp_ieee_div_zero 0
		.amdhsa_exception_fp_ieee_overflow 0
		.amdhsa_exception_fp_ieee_underflow 0
		.amdhsa_exception_fp_ieee_inexact 0
		.amdhsa_exception_int_div_zero 0
	.end_amdhsa_kernel
	.section	.text._ZN7rocprim17ROCPRIM_400000_NS6detail17trampoline_kernelINS0_14default_configENS1_20scan_config_selectorIfEEZZNS1_9scan_implILNS1_25lookback_scan_determinismE0ELb0ELb0ES3_N6thrust23THRUST_200600_302600_NS6detail15normal_iteratorINS9_10device_ptrIfEEEENS9_16discard_iteratorINS9_11use_defaultEEEf11max_functorIfEfEEDaPvRmT3_T4_T5_mT6_P12ihipStream_tbENKUlT_T0_E_clISt17integral_constantIbLb0EESW_IbLb1EEEEDaSS_ST_EUlSS_E0_NS1_11comp_targetILNS1_3genE8ELNS1_11target_archE1030ELNS1_3gpuE2ELNS1_3repE0EEENS1_30default_config_static_selectorELNS0_4arch9wavefront6targetE1EEEvT1_,"axG",@progbits,_ZN7rocprim17ROCPRIM_400000_NS6detail17trampoline_kernelINS0_14default_configENS1_20scan_config_selectorIfEEZZNS1_9scan_implILNS1_25lookback_scan_determinismE0ELb0ELb0ES3_N6thrust23THRUST_200600_302600_NS6detail15normal_iteratorINS9_10device_ptrIfEEEENS9_16discard_iteratorINS9_11use_defaultEEEf11max_functorIfEfEEDaPvRmT3_T4_T5_mT6_P12ihipStream_tbENKUlT_T0_E_clISt17integral_constantIbLb0EESW_IbLb1EEEEDaSS_ST_EUlSS_E0_NS1_11comp_targetILNS1_3genE8ELNS1_11target_archE1030ELNS1_3gpuE2ELNS1_3repE0EEENS1_30default_config_static_selectorELNS0_4arch9wavefront6targetE1EEEvT1_,comdat
.Lfunc_end3205:
	.size	_ZN7rocprim17ROCPRIM_400000_NS6detail17trampoline_kernelINS0_14default_configENS1_20scan_config_selectorIfEEZZNS1_9scan_implILNS1_25lookback_scan_determinismE0ELb0ELb0ES3_N6thrust23THRUST_200600_302600_NS6detail15normal_iteratorINS9_10device_ptrIfEEEENS9_16discard_iteratorINS9_11use_defaultEEEf11max_functorIfEfEEDaPvRmT3_T4_T5_mT6_P12ihipStream_tbENKUlT_T0_E_clISt17integral_constantIbLb0EESW_IbLb1EEEEDaSS_ST_EUlSS_E0_NS1_11comp_targetILNS1_3genE8ELNS1_11target_archE1030ELNS1_3gpuE2ELNS1_3repE0EEENS1_30default_config_static_selectorELNS0_4arch9wavefront6targetE1EEEvT1_, .Lfunc_end3205-_ZN7rocprim17ROCPRIM_400000_NS6detail17trampoline_kernelINS0_14default_configENS1_20scan_config_selectorIfEEZZNS1_9scan_implILNS1_25lookback_scan_determinismE0ELb0ELb0ES3_N6thrust23THRUST_200600_302600_NS6detail15normal_iteratorINS9_10device_ptrIfEEEENS9_16discard_iteratorINS9_11use_defaultEEEf11max_functorIfEfEEDaPvRmT3_T4_T5_mT6_P12ihipStream_tbENKUlT_T0_E_clISt17integral_constantIbLb0EESW_IbLb1EEEEDaSS_ST_EUlSS_E0_NS1_11comp_targetILNS1_3genE8ELNS1_11target_archE1030ELNS1_3gpuE2ELNS1_3repE0EEENS1_30default_config_static_selectorELNS0_4arch9wavefront6targetE1EEEvT1_
                                        ; -- End function
	.section	.AMDGPU.csdata,"",@progbits
; Kernel info:
; codeLenInByte = 0
; NumSgprs: 4
; NumVgprs: 0
; NumAgprs: 0
; TotalNumVgprs: 0
; ScratchSize: 0
; MemoryBound: 0
; FloatMode: 240
; IeeeMode: 1
; LDSByteSize: 0 bytes/workgroup (compile time only)
; SGPRBlocks: 0
; VGPRBlocks: 0
; NumSGPRsForWavesPerEU: 4
; NumVGPRsForWavesPerEU: 1
; AccumOffset: 4
; Occupancy: 8
; WaveLimiterHint : 0
; COMPUTE_PGM_RSRC2:SCRATCH_EN: 0
; COMPUTE_PGM_RSRC2:USER_SGPR: 6
; COMPUTE_PGM_RSRC2:TRAP_HANDLER: 0
; COMPUTE_PGM_RSRC2:TGID_X_EN: 1
; COMPUTE_PGM_RSRC2:TGID_Y_EN: 0
; COMPUTE_PGM_RSRC2:TGID_Z_EN: 0
; COMPUTE_PGM_RSRC2:TIDIG_COMP_CNT: 0
; COMPUTE_PGM_RSRC3_GFX90A:ACCUM_OFFSET: 0
; COMPUTE_PGM_RSRC3_GFX90A:TG_SPLIT: 0
	.section	.text._ZN7rocprim17ROCPRIM_400000_NS6detail17trampoline_kernelINS0_14default_configENS1_20scan_config_selectorIfEEZZNS1_9scan_implILNS1_25lookback_scan_determinismE0ELb1ELb1ES3_N6thrust23THRUST_200600_302600_NS6detail15normal_iteratorINS9_10device_ptrIfEEEENS9_16discard_iteratorINS9_11use_defaultEEEf11max_functorIfEfEEDaPvRmT3_T4_T5_mT6_P12ihipStream_tbENKUlT_T0_E_clISt17integral_constantIbLb0EESX_EEDaSS_ST_EUlSS_E_NS1_11comp_targetILNS1_3genE0ELNS1_11target_archE4294967295ELNS1_3gpuE0ELNS1_3repE0EEENS1_30default_config_static_selectorELNS0_4arch9wavefront6targetE1EEEvT1_,"axG",@progbits,_ZN7rocprim17ROCPRIM_400000_NS6detail17trampoline_kernelINS0_14default_configENS1_20scan_config_selectorIfEEZZNS1_9scan_implILNS1_25lookback_scan_determinismE0ELb1ELb1ES3_N6thrust23THRUST_200600_302600_NS6detail15normal_iteratorINS9_10device_ptrIfEEEENS9_16discard_iteratorINS9_11use_defaultEEEf11max_functorIfEfEEDaPvRmT3_T4_T5_mT6_P12ihipStream_tbENKUlT_T0_E_clISt17integral_constantIbLb0EESX_EEDaSS_ST_EUlSS_E_NS1_11comp_targetILNS1_3genE0ELNS1_11target_archE4294967295ELNS1_3gpuE0ELNS1_3repE0EEENS1_30default_config_static_selectorELNS0_4arch9wavefront6targetE1EEEvT1_,comdat
	.protected	_ZN7rocprim17ROCPRIM_400000_NS6detail17trampoline_kernelINS0_14default_configENS1_20scan_config_selectorIfEEZZNS1_9scan_implILNS1_25lookback_scan_determinismE0ELb1ELb1ES3_N6thrust23THRUST_200600_302600_NS6detail15normal_iteratorINS9_10device_ptrIfEEEENS9_16discard_iteratorINS9_11use_defaultEEEf11max_functorIfEfEEDaPvRmT3_T4_T5_mT6_P12ihipStream_tbENKUlT_T0_E_clISt17integral_constantIbLb0EESX_EEDaSS_ST_EUlSS_E_NS1_11comp_targetILNS1_3genE0ELNS1_11target_archE4294967295ELNS1_3gpuE0ELNS1_3repE0EEENS1_30default_config_static_selectorELNS0_4arch9wavefront6targetE1EEEvT1_ ; -- Begin function _ZN7rocprim17ROCPRIM_400000_NS6detail17trampoline_kernelINS0_14default_configENS1_20scan_config_selectorIfEEZZNS1_9scan_implILNS1_25lookback_scan_determinismE0ELb1ELb1ES3_N6thrust23THRUST_200600_302600_NS6detail15normal_iteratorINS9_10device_ptrIfEEEENS9_16discard_iteratorINS9_11use_defaultEEEf11max_functorIfEfEEDaPvRmT3_T4_T5_mT6_P12ihipStream_tbENKUlT_T0_E_clISt17integral_constantIbLb0EESX_EEDaSS_ST_EUlSS_E_NS1_11comp_targetILNS1_3genE0ELNS1_11target_archE4294967295ELNS1_3gpuE0ELNS1_3repE0EEENS1_30default_config_static_selectorELNS0_4arch9wavefront6targetE1EEEvT1_
	.globl	_ZN7rocprim17ROCPRIM_400000_NS6detail17trampoline_kernelINS0_14default_configENS1_20scan_config_selectorIfEEZZNS1_9scan_implILNS1_25lookback_scan_determinismE0ELb1ELb1ES3_N6thrust23THRUST_200600_302600_NS6detail15normal_iteratorINS9_10device_ptrIfEEEENS9_16discard_iteratorINS9_11use_defaultEEEf11max_functorIfEfEEDaPvRmT3_T4_T5_mT6_P12ihipStream_tbENKUlT_T0_E_clISt17integral_constantIbLb0EESX_EEDaSS_ST_EUlSS_E_NS1_11comp_targetILNS1_3genE0ELNS1_11target_archE4294967295ELNS1_3gpuE0ELNS1_3repE0EEENS1_30default_config_static_selectorELNS0_4arch9wavefront6targetE1EEEvT1_
	.p2align	8
	.type	_ZN7rocprim17ROCPRIM_400000_NS6detail17trampoline_kernelINS0_14default_configENS1_20scan_config_selectorIfEEZZNS1_9scan_implILNS1_25lookback_scan_determinismE0ELb1ELb1ES3_N6thrust23THRUST_200600_302600_NS6detail15normal_iteratorINS9_10device_ptrIfEEEENS9_16discard_iteratorINS9_11use_defaultEEEf11max_functorIfEfEEDaPvRmT3_T4_T5_mT6_P12ihipStream_tbENKUlT_T0_E_clISt17integral_constantIbLb0EESX_EEDaSS_ST_EUlSS_E_NS1_11comp_targetILNS1_3genE0ELNS1_11target_archE4294967295ELNS1_3gpuE0ELNS1_3repE0EEENS1_30default_config_static_selectorELNS0_4arch9wavefront6targetE1EEEvT1_,@function
_ZN7rocprim17ROCPRIM_400000_NS6detail17trampoline_kernelINS0_14default_configENS1_20scan_config_selectorIfEEZZNS1_9scan_implILNS1_25lookback_scan_determinismE0ELb1ELb1ES3_N6thrust23THRUST_200600_302600_NS6detail15normal_iteratorINS9_10device_ptrIfEEEENS9_16discard_iteratorINS9_11use_defaultEEEf11max_functorIfEfEEDaPvRmT3_T4_T5_mT6_P12ihipStream_tbENKUlT_T0_E_clISt17integral_constantIbLb0EESX_EEDaSS_ST_EUlSS_E_NS1_11comp_targetILNS1_3genE0ELNS1_11target_archE4294967295ELNS1_3gpuE0ELNS1_3repE0EEENS1_30default_config_static_selectorELNS0_4arch9wavefront6targetE1EEEvT1_: ; @_ZN7rocprim17ROCPRIM_400000_NS6detail17trampoline_kernelINS0_14default_configENS1_20scan_config_selectorIfEEZZNS1_9scan_implILNS1_25lookback_scan_determinismE0ELb1ELb1ES3_N6thrust23THRUST_200600_302600_NS6detail15normal_iteratorINS9_10device_ptrIfEEEENS9_16discard_iteratorINS9_11use_defaultEEEf11max_functorIfEfEEDaPvRmT3_T4_T5_mT6_P12ihipStream_tbENKUlT_T0_E_clISt17integral_constantIbLb0EESX_EEDaSS_ST_EUlSS_E_NS1_11comp_targetILNS1_3genE0ELNS1_11target_archE4294967295ELNS1_3gpuE0ELNS1_3repE0EEENS1_30default_config_static_selectorELNS0_4arch9wavefront6targetE1EEEvT1_
; %bb.0:
	.section	.rodata,"a",@progbits
	.p2align	6, 0x0
	.amdhsa_kernel _ZN7rocprim17ROCPRIM_400000_NS6detail17trampoline_kernelINS0_14default_configENS1_20scan_config_selectorIfEEZZNS1_9scan_implILNS1_25lookback_scan_determinismE0ELb1ELb1ES3_N6thrust23THRUST_200600_302600_NS6detail15normal_iteratorINS9_10device_ptrIfEEEENS9_16discard_iteratorINS9_11use_defaultEEEf11max_functorIfEfEEDaPvRmT3_T4_T5_mT6_P12ihipStream_tbENKUlT_T0_E_clISt17integral_constantIbLb0EESX_EEDaSS_ST_EUlSS_E_NS1_11comp_targetILNS1_3genE0ELNS1_11target_archE4294967295ELNS1_3gpuE0ELNS1_3repE0EEENS1_30default_config_static_selectorELNS0_4arch9wavefront6targetE1EEEvT1_
		.amdhsa_group_segment_fixed_size 0
		.amdhsa_private_segment_fixed_size 0
		.amdhsa_kernarg_size 104
		.amdhsa_user_sgpr_count 6
		.amdhsa_user_sgpr_private_segment_buffer 1
		.amdhsa_user_sgpr_dispatch_ptr 0
		.amdhsa_user_sgpr_queue_ptr 0
		.amdhsa_user_sgpr_kernarg_segment_ptr 1
		.amdhsa_user_sgpr_dispatch_id 0
		.amdhsa_user_sgpr_flat_scratch_init 0
		.amdhsa_user_sgpr_kernarg_preload_length 0
		.amdhsa_user_sgpr_kernarg_preload_offset 0
		.amdhsa_user_sgpr_private_segment_size 0
		.amdhsa_uses_dynamic_stack 0
		.amdhsa_system_sgpr_private_segment_wavefront_offset 0
		.amdhsa_system_sgpr_workgroup_id_x 1
		.amdhsa_system_sgpr_workgroup_id_y 0
		.amdhsa_system_sgpr_workgroup_id_z 0
		.amdhsa_system_sgpr_workgroup_info 0
		.amdhsa_system_vgpr_workitem_id 0
		.amdhsa_next_free_vgpr 1
		.amdhsa_next_free_sgpr 0
		.amdhsa_accum_offset 4
		.amdhsa_reserve_vcc 0
		.amdhsa_reserve_flat_scratch 0
		.amdhsa_float_round_mode_32 0
		.amdhsa_float_round_mode_16_64 0
		.amdhsa_float_denorm_mode_32 3
		.amdhsa_float_denorm_mode_16_64 3
		.amdhsa_dx10_clamp 1
		.amdhsa_ieee_mode 1
		.amdhsa_fp16_overflow 0
		.amdhsa_tg_split 0
		.amdhsa_exception_fp_ieee_invalid_op 0
		.amdhsa_exception_fp_denorm_src 0
		.amdhsa_exception_fp_ieee_div_zero 0
		.amdhsa_exception_fp_ieee_overflow 0
		.amdhsa_exception_fp_ieee_underflow 0
		.amdhsa_exception_fp_ieee_inexact 0
		.amdhsa_exception_int_div_zero 0
	.end_amdhsa_kernel
	.section	.text._ZN7rocprim17ROCPRIM_400000_NS6detail17trampoline_kernelINS0_14default_configENS1_20scan_config_selectorIfEEZZNS1_9scan_implILNS1_25lookback_scan_determinismE0ELb1ELb1ES3_N6thrust23THRUST_200600_302600_NS6detail15normal_iteratorINS9_10device_ptrIfEEEENS9_16discard_iteratorINS9_11use_defaultEEEf11max_functorIfEfEEDaPvRmT3_T4_T5_mT6_P12ihipStream_tbENKUlT_T0_E_clISt17integral_constantIbLb0EESX_EEDaSS_ST_EUlSS_E_NS1_11comp_targetILNS1_3genE0ELNS1_11target_archE4294967295ELNS1_3gpuE0ELNS1_3repE0EEENS1_30default_config_static_selectorELNS0_4arch9wavefront6targetE1EEEvT1_,"axG",@progbits,_ZN7rocprim17ROCPRIM_400000_NS6detail17trampoline_kernelINS0_14default_configENS1_20scan_config_selectorIfEEZZNS1_9scan_implILNS1_25lookback_scan_determinismE0ELb1ELb1ES3_N6thrust23THRUST_200600_302600_NS6detail15normal_iteratorINS9_10device_ptrIfEEEENS9_16discard_iteratorINS9_11use_defaultEEEf11max_functorIfEfEEDaPvRmT3_T4_T5_mT6_P12ihipStream_tbENKUlT_T0_E_clISt17integral_constantIbLb0EESX_EEDaSS_ST_EUlSS_E_NS1_11comp_targetILNS1_3genE0ELNS1_11target_archE4294967295ELNS1_3gpuE0ELNS1_3repE0EEENS1_30default_config_static_selectorELNS0_4arch9wavefront6targetE1EEEvT1_,comdat
.Lfunc_end3206:
	.size	_ZN7rocprim17ROCPRIM_400000_NS6detail17trampoline_kernelINS0_14default_configENS1_20scan_config_selectorIfEEZZNS1_9scan_implILNS1_25lookback_scan_determinismE0ELb1ELb1ES3_N6thrust23THRUST_200600_302600_NS6detail15normal_iteratorINS9_10device_ptrIfEEEENS9_16discard_iteratorINS9_11use_defaultEEEf11max_functorIfEfEEDaPvRmT3_T4_T5_mT6_P12ihipStream_tbENKUlT_T0_E_clISt17integral_constantIbLb0EESX_EEDaSS_ST_EUlSS_E_NS1_11comp_targetILNS1_3genE0ELNS1_11target_archE4294967295ELNS1_3gpuE0ELNS1_3repE0EEENS1_30default_config_static_selectorELNS0_4arch9wavefront6targetE1EEEvT1_, .Lfunc_end3206-_ZN7rocprim17ROCPRIM_400000_NS6detail17trampoline_kernelINS0_14default_configENS1_20scan_config_selectorIfEEZZNS1_9scan_implILNS1_25lookback_scan_determinismE0ELb1ELb1ES3_N6thrust23THRUST_200600_302600_NS6detail15normal_iteratorINS9_10device_ptrIfEEEENS9_16discard_iteratorINS9_11use_defaultEEEf11max_functorIfEfEEDaPvRmT3_T4_T5_mT6_P12ihipStream_tbENKUlT_T0_E_clISt17integral_constantIbLb0EESX_EEDaSS_ST_EUlSS_E_NS1_11comp_targetILNS1_3genE0ELNS1_11target_archE4294967295ELNS1_3gpuE0ELNS1_3repE0EEENS1_30default_config_static_selectorELNS0_4arch9wavefront6targetE1EEEvT1_
                                        ; -- End function
	.section	.AMDGPU.csdata,"",@progbits
; Kernel info:
; codeLenInByte = 0
; NumSgprs: 4
; NumVgprs: 0
; NumAgprs: 0
; TotalNumVgprs: 0
; ScratchSize: 0
; MemoryBound: 0
; FloatMode: 240
; IeeeMode: 1
; LDSByteSize: 0 bytes/workgroup (compile time only)
; SGPRBlocks: 0
; VGPRBlocks: 0
; NumSGPRsForWavesPerEU: 4
; NumVGPRsForWavesPerEU: 1
; AccumOffset: 4
; Occupancy: 8
; WaveLimiterHint : 0
; COMPUTE_PGM_RSRC2:SCRATCH_EN: 0
; COMPUTE_PGM_RSRC2:USER_SGPR: 6
; COMPUTE_PGM_RSRC2:TRAP_HANDLER: 0
; COMPUTE_PGM_RSRC2:TGID_X_EN: 1
; COMPUTE_PGM_RSRC2:TGID_Y_EN: 0
; COMPUTE_PGM_RSRC2:TGID_Z_EN: 0
; COMPUTE_PGM_RSRC2:TIDIG_COMP_CNT: 0
; COMPUTE_PGM_RSRC3_GFX90A:ACCUM_OFFSET: 0
; COMPUTE_PGM_RSRC3_GFX90A:TG_SPLIT: 0
	.section	.text._ZN7rocprim17ROCPRIM_400000_NS6detail17trampoline_kernelINS0_14default_configENS1_20scan_config_selectorIfEEZZNS1_9scan_implILNS1_25lookback_scan_determinismE0ELb1ELb1ES3_N6thrust23THRUST_200600_302600_NS6detail15normal_iteratorINS9_10device_ptrIfEEEENS9_16discard_iteratorINS9_11use_defaultEEEf11max_functorIfEfEEDaPvRmT3_T4_T5_mT6_P12ihipStream_tbENKUlT_T0_E_clISt17integral_constantIbLb0EESX_EEDaSS_ST_EUlSS_E_NS1_11comp_targetILNS1_3genE5ELNS1_11target_archE942ELNS1_3gpuE9ELNS1_3repE0EEENS1_30default_config_static_selectorELNS0_4arch9wavefront6targetE1EEEvT1_,"axG",@progbits,_ZN7rocprim17ROCPRIM_400000_NS6detail17trampoline_kernelINS0_14default_configENS1_20scan_config_selectorIfEEZZNS1_9scan_implILNS1_25lookback_scan_determinismE0ELb1ELb1ES3_N6thrust23THRUST_200600_302600_NS6detail15normal_iteratorINS9_10device_ptrIfEEEENS9_16discard_iteratorINS9_11use_defaultEEEf11max_functorIfEfEEDaPvRmT3_T4_T5_mT6_P12ihipStream_tbENKUlT_T0_E_clISt17integral_constantIbLb0EESX_EEDaSS_ST_EUlSS_E_NS1_11comp_targetILNS1_3genE5ELNS1_11target_archE942ELNS1_3gpuE9ELNS1_3repE0EEENS1_30default_config_static_selectorELNS0_4arch9wavefront6targetE1EEEvT1_,comdat
	.protected	_ZN7rocprim17ROCPRIM_400000_NS6detail17trampoline_kernelINS0_14default_configENS1_20scan_config_selectorIfEEZZNS1_9scan_implILNS1_25lookback_scan_determinismE0ELb1ELb1ES3_N6thrust23THRUST_200600_302600_NS6detail15normal_iteratorINS9_10device_ptrIfEEEENS9_16discard_iteratorINS9_11use_defaultEEEf11max_functorIfEfEEDaPvRmT3_T4_T5_mT6_P12ihipStream_tbENKUlT_T0_E_clISt17integral_constantIbLb0EESX_EEDaSS_ST_EUlSS_E_NS1_11comp_targetILNS1_3genE5ELNS1_11target_archE942ELNS1_3gpuE9ELNS1_3repE0EEENS1_30default_config_static_selectorELNS0_4arch9wavefront6targetE1EEEvT1_ ; -- Begin function _ZN7rocprim17ROCPRIM_400000_NS6detail17trampoline_kernelINS0_14default_configENS1_20scan_config_selectorIfEEZZNS1_9scan_implILNS1_25lookback_scan_determinismE0ELb1ELb1ES3_N6thrust23THRUST_200600_302600_NS6detail15normal_iteratorINS9_10device_ptrIfEEEENS9_16discard_iteratorINS9_11use_defaultEEEf11max_functorIfEfEEDaPvRmT3_T4_T5_mT6_P12ihipStream_tbENKUlT_T0_E_clISt17integral_constantIbLb0EESX_EEDaSS_ST_EUlSS_E_NS1_11comp_targetILNS1_3genE5ELNS1_11target_archE942ELNS1_3gpuE9ELNS1_3repE0EEENS1_30default_config_static_selectorELNS0_4arch9wavefront6targetE1EEEvT1_
	.globl	_ZN7rocprim17ROCPRIM_400000_NS6detail17trampoline_kernelINS0_14default_configENS1_20scan_config_selectorIfEEZZNS1_9scan_implILNS1_25lookback_scan_determinismE0ELb1ELb1ES3_N6thrust23THRUST_200600_302600_NS6detail15normal_iteratorINS9_10device_ptrIfEEEENS9_16discard_iteratorINS9_11use_defaultEEEf11max_functorIfEfEEDaPvRmT3_T4_T5_mT6_P12ihipStream_tbENKUlT_T0_E_clISt17integral_constantIbLb0EESX_EEDaSS_ST_EUlSS_E_NS1_11comp_targetILNS1_3genE5ELNS1_11target_archE942ELNS1_3gpuE9ELNS1_3repE0EEENS1_30default_config_static_selectorELNS0_4arch9wavefront6targetE1EEEvT1_
	.p2align	8
	.type	_ZN7rocprim17ROCPRIM_400000_NS6detail17trampoline_kernelINS0_14default_configENS1_20scan_config_selectorIfEEZZNS1_9scan_implILNS1_25lookback_scan_determinismE0ELb1ELb1ES3_N6thrust23THRUST_200600_302600_NS6detail15normal_iteratorINS9_10device_ptrIfEEEENS9_16discard_iteratorINS9_11use_defaultEEEf11max_functorIfEfEEDaPvRmT3_T4_T5_mT6_P12ihipStream_tbENKUlT_T0_E_clISt17integral_constantIbLb0EESX_EEDaSS_ST_EUlSS_E_NS1_11comp_targetILNS1_3genE5ELNS1_11target_archE942ELNS1_3gpuE9ELNS1_3repE0EEENS1_30default_config_static_selectorELNS0_4arch9wavefront6targetE1EEEvT1_,@function
_ZN7rocprim17ROCPRIM_400000_NS6detail17trampoline_kernelINS0_14default_configENS1_20scan_config_selectorIfEEZZNS1_9scan_implILNS1_25lookback_scan_determinismE0ELb1ELb1ES3_N6thrust23THRUST_200600_302600_NS6detail15normal_iteratorINS9_10device_ptrIfEEEENS9_16discard_iteratorINS9_11use_defaultEEEf11max_functorIfEfEEDaPvRmT3_T4_T5_mT6_P12ihipStream_tbENKUlT_T0_E_clISt17integral_constantIbLb0EESX_EEDaSS_ST_EUlSS_E_NS1_11comp_targetILNS1_3genE5ELNS1_11target_archE942ELNS1_3gpuE9ELNS1_3repE0EEENS1_30default_config_static_selectorELNS0_4arch9wavefront6targetE1EEEvT1_: ; @_ZN7rocprim17ROCPRIM_400000_NS6detail17trampoline_kernelINS0_14default_configENS1_20scan_config_selectorIfEEZZNS1_9scan_implILNS1_25lookback_scan_determinismE0ELb1ELb1ES3_N6thrust23THRUST_200600_302600_NS6detail15normal_iteratorINS9_10device_ptrIfEEEENS9_16discard_iteratorINS9_11use_defaultEEEf11max_functorIfEfEEDaPvRmT3_T4_T5_mT6_P12ihipStream_tbENKUlT_T0_E_clISt17integral_constantIbLb0EESX_EEDaSS_ST_EUlSS_E_NS1_11comp_targetILNS1_3genE5ELNS1_11target_archE942ELNS1_3gpuE9ELNS1_3repE0EEENS1_30default_config_static_selectorELNS0_4arch9wavefront6targetE1EEEvT1_
; %bb.0:
	.section	.rodata,"a",@progbits
	.p2align	6, 0x0
	.amdhsa_kernel _ZN7rocprim17ROCPRIM_400000_NS6detail17trampoline_kernelINS0_14default_configENS1_20scan_config_selectorIfEEZZNS1_9scan_implILNS1_25lookback_scan_determinismE0ELb1ELb1ES3_N6thrust23THRUST_200600_302600_NS6detail15normal_iteratorINS9_10device_ptrIfEEEENS9_16discard_iteratorINS9_11use_defaultEEEf11max_functorIfEfEEDaPvRmT3_T4_T5_mT6_P12ihipStream_tbENKUlT_T0_E_clISt17integral_constantIbLb0EESX_EEDaSS_ST_EUlSS_E_NS1_11comp_targetILNS1_3genE5ELNS1_11target_archE942ELNS1_3gpuE9ELNS1_3repE0EEENS1_30default_config_static_selectorELNS0_4arch9wavefront6targetE1EEEvT1_
		.amdhsa_group_segment_fixed_size 0
		.amdhsa_private_segment_fixed_size 0
		.amdhsa_kernarg_size 104
		.amdhsa_user_sgpr_count 6
		.amdhsa_user_sgpr_private_segment_buffer 1
		.amdhsa_user_sgpr_dispatch_ptr 0
		.amdhsa_user_sgpr_queue_ptr 0
		.amdhsa_user_sgpr_kernarg_segment_ptr 1
		.amdhsa_user_sgpr_dispatch_id 0
		.amdhsa_user_sgpr_flat_scratch_init 0
		.amdhsa_user_sgpr_kernarg_preload_length 0
		.amdhsa_user_sgpr_kernarg_preload_offset 0
		.amdhsa_user_sgpr_private_segment_size 0
		.amdhsa_uses_dynamic_stack 0
		.amdhsa_system_sgpr_private_segment_wavefront_offset 0
		.amdhsa_system_sgpr_workgroup_id_x 1
		.amdhsa_system_sgpr_workgroup_id_y 0
		.amdhsa_system_sgpr_workgroup_id_z 0
		.amdhsa_system_sgpr_workgroup_info 0
		.amdhsa_system_vgpr_workitem_id 0
		.amdhsa_next_free_vgpr 1
		.amdhsa_next_free_sgpr 0
		.amdhsa_accum_offset 4
		.amdhsa_reserve_vcc 0
		.amdhsa_reserve_flat_scratch 0
		.amdhsa_float_round_mode_32 0
		.amdhsa_float_round_mode_16_64 0
		.amdhsa_float_denorm_mode_32 3
		.amdhsa_float_denorm_mode_16_64 3
		.amdhsa_dx10_clamp 1
		.amdhsa_ieee_mode 1
		.amdhsa_fp16_overflow 0
		.amdhsa_tg_split 0
		.amdhsa_exception_fp_ieee_invalid_op 0
		.amdhsa_exception_fp_denorm_src 0
		.amdhsa_exception_fp_ieee_div_zero 0
		.amdhsa_exception_fp_ieee_overflow 0
		.amdhsa_exception_fp_ieee_underflow 0
		.amdhsa_exception_fp_ieee_inexact 0
		.amdhsa_exception_int_div_zero 0
	.end_amdhsa_kernel
	.section	.text._ZN7rocprim17ROCPRIM_400000_NS6detail17trampoline_kernelINS0_14default_configENS1_20scan_config_selectorIfEEZZNS1_9scan_implILNS1_25lookback_scan_determinismE0ELb1ELb1ES3_N6thrust23THRUST_200600_302600_NS6detail15normal_iteratorINS9_10device_ptrIfEEEENS9_16discard_iteratorINS9_11use_defaultEEEf11max_functorIfEfEEDaPvRmT3_T4_T5_mT6_P12ihipStream_tbENKUlT_T0_E_clISt17integral_constantIbLb0EESX_EEDaSS_ST_EUlSS_E_NS1_11comp_targetILNS1_3genE5ELNS1_11target_archE942ELNS1_3gpuE9ELNS1_3repE0EEENS1_30default_config_static_selectorELNS0_4arch9wavefront6targetE1EEEvT1_,"axG",@progbits,_ZN7rocprim17ROCPRIM_400000_NS6detail17trampoline_kernelINS0_14default_configENS1_20scan_config_selectorIfEEZZNS1_9scan_implILNS1_25lookback_scan_determinismE0ELb1ELb1ES3_N6thrust23THRUST_200600_302600_NS6detail15normal_iteratorINS9_10device_ptrIfEEEENS9_16discard_iteratorINS9_11use_defaultEEEf11max_functorIfEfEEDaPvRmT3_T4_T5_mT6_P12ihipStream_tbENKUlT_T0_E_clISt17integral_constantIbLb0EESX_EEDaSS_ST_EUlSS_E_NS1_11comp_targetILNS1_3genE5ELNS1_11target_archE942ELNS1_3gpuE9ELNS1_3repE0EEENS1_30default_config_static_selectorELNS0_4arch9wavefront6targetE1EEEvT1_,comdat
.Lfunc_end3207:
	.size	_ZN7rocprim17ROCPRIM_400000_NS6detail17trampoline_kernelINS0_14default_configENS1_20scan_config_selectorIfEEZZNS1_9scan_implILNS1_25lookback_scan_determinismE0ELb1ELb1ES3_N6thrust23THRUST_200600_302600_NS6detail15normal_iteratorINS9_10device_ptrIfEEEENS9_16discard_iteratorINS9_11use_defaultEEEf11max_functorIfEfEEDaPvRmT3_T4_T5_mT6_P12ihipStream_tbENKUlT_T0_E_clISt17integral_constantIbLb0EESX_EEDaSS_ST_EUlSS_E_NS1_11comp_targetILNS1_3genE5ELNS1_11target_archE942ELNS1_3gpuE9ELNS1_3repE0EEENS1_30default_config_static_selectorELNS0_4arch9wavefront6targetE1EEEvT1_, .Lfunc_end3207-_ZN7rocprim17ROCPRIM_400000_NS6detail17trampoline_kernelINS0_14default_configENS1_20scan_config_selectorIfEEZZNS1_9scan_implILNS1_25lookback_scan_determinismE0ELb1ELb1ES3_N6thrust23THRUST_200600_302600_NS6detail15normal_iteratorINS9_10device_ptrIfEEEENS9_16discard_iteratorINS9_11use_defaultEEEf11max_functorIfEfEEDaPvRmT3_T4_T5_mT6_P12ihipStream_tbENKUlT_T0_E_clISt17integral_constantIbLb0EESX_EEDaSS_ST_EUlSS_E_NS1_11comp_targetILNS1_3genE5ELNS1_11target_archE942ELNS1_3gpuE9ELNS1_3repE0EEENS1_30default_config_static_selectorELNS0_4arch9wavefront6targetE1EEEvT1_
                                        ; -- End function
	.section	.AMDGPU.csdata,"",@progbits
; Kernel info:
; codeLenInByte = 0
; NumSgprs: 4
; NumVgprs: 0
; NumAgprs: 0
; TotalNumVgprs: 0
; ScratchSize: 0
; MemoryBound: 0
; FloatMode: 240
; IeeeMode: 1
; LDSByteSize: 0 bytes/workgroup (compile time only)
; SGPRBlocks: 0
; VGPRBlocks: 0
; NumSGPRsForWavesPerEU: 4
; NumVGPRsForWavesPerEU: 1
; AccumOffset: 4
; Occupancy: 8
; WaveLimiterHint : 0
; COMPUTE_PGM_RSRC2:SCRATCH_EN: 0
; COMPUTE_PGM_RSRC2:USER_SGPR: 6
; COMPUTE_PGM_RSRC2:TRAP_HANDLER: 0
; COMPUTE_PGM_RSRC2:TGID_X_EN: 1
; COMPUTE_PGM_RSRC2:TGID_Y_EN: 0
; COMPUTE_PGM_RSRC2:TGID_Z_EN: 0
; COMPUTE_PGM_RSRC2:TIDIG_COMP_CNT: 0
; COMPUTE_PGM_RSRC3_GFX90A:ACCUM_OFFSET: 0
; COMPUTE_PGM_RSRC3_GFX90A:TG_SPLIT: 0
	.section	.text._ZN7rocprim17ROCPRIM_400000_NS6detail17trampoline_kernelINS0_14default_configENS1_20scan_config_selectorIfEEZZNS1_9scan_implILNS1_25lookback_scan_determinismE0ELb1ELb1ES3_N6thrust23THRUST_200600_302600_NS6detail15normal_iteratorINS9_10device_ptrIfEEEENS9_16discard_iteratorINS9_11use_defaultEEEf11max_functorIfEfEEDaPvRmT3_T4_T5_mT6_P12ihipStream_tbENKUlT_T0_E_clISt17integral_constantIbLb0EESX_EEDaSS_ST_EUlSS_E_NS1_11comp_targetILNS1_3genE4ELNS1_11target_archE910ELNS1_3gpuE8ELNS1_3repE0EEENS1_30default_config_static_selectorELNS0_4arch9wavefront6targetE1EEEvT1_,"axG",@progbits,_ZN7rocprim17ROCPRIM_400000_NS6detail17trampoline_kernelINS0_14default_configENS1_20scan_config_selectorIfEEZZNS1_9scan_implILNS1_25lookback_scan_determinismE0ELb1ELb1ES3_N6thrust23THRUST_200600_302600_NS6detail15normal_iteratorINS9_10device_ptrIfEEEENS9_16discard_iteratorINS9_11use_defaultEEEf11max_functorIfEfEEDaPvRmT3_T4_T5_mT6_P12ihipStream_tbENKUlT_T0_E_clISt17integral_constantIbLb0EESX_EEDaSS_ST_EUlSS_E_NS1_11comp_targetILNS1_3genE4ELNS1_11target_archE910ELNS1_3gpuE8ELNS1_3repE0EEENS1_30default_config_static_selectorELNS0_4arch9wavefront6targetE1EEEvT1_,comdat
	.protected	_ZN7rocprim17ROCPRIM_400000_NS6detail17trampoline_kernelINS0_14default_configENS1_20scan_config_selectorIfEEZZNS1_9scan_implILNS1_25lookback_scan_determinismE0ELb1ELb1ES3_N6thrust23THRUST_200600_302600_NS6detail15normal_iteratorINS9_10device_ptrIfEEEENS9_16discard_iteratorINS9_11use_defaultEEEf11max_functorIfEfEEDaPvRmT3_T4_T5_mT6_P12ihipStream_tbENKUlT_T0_E_clISt17integral_constantIbLb0EESX_EEDaSS_ST_EUlSS_E_NS1_11comp_targetILNS1_3genE4ELNS1_11target_archE910ELNS1_3gpuE8ELNS1_3repE0EEENS1_30default_config_static_selectorELNS0_4arch9wavefront6targetE1EEEvT1_ ; -- Begin function _ZN7rocprim17ROCPRIM_400000_NS6detail17trampoline_kernelINS0_14default_configENS1_20scan_config_selectorIfEEZZNS1_9scan_implILNS1_25lookback_scan_determinismE0ELb1ELb1ES3_N6thrust23THRUST_200600_302600_NS6detail15normal_iteratorINS9_10device_ptrIfEEEENS9_16discard_iteratorINS9_11use_defaultEEEf11max_functorIfEfEEDaPvRmT3_T4_T5_mT6_P12ihipStream_tbENKUlT_T0_E_clISt17integral_constantIbLb0EESX_EEDaSS_ST_EUlSS_E_NS1_11comp_targetILNS1_3genE4ELNS1_11target_archE910ELNS1_3gpuE8ELNS1_3repE0EEENS1_30default_config_static_selectorELNS0_4arch9wavefront6targetE1EEEvT1_
	.globl	_ZN7rocprim17ROCPRIM_400000_NS6detail17trampoline_kernelINS0_14default_configENS1_20scan_config_selectorIfEEZZNS1_9scan_implILNS1_25lookback_scan_determinismE0ELb1ELb1ES3_N6thrust23THRUST_200600_302600_NS6detail15normal_iteratorINS9_10device_ptrIfEEEENS9_16discard_iteratorINS9_11use_defaultEEEf11max_functorIfEfEEDaPvRmT3_T4_T5_mT6_P12ihipStream_tbENKUlT_T0_E_clISt17integral_constantIbLb0EESX_EEDaSS_ST_EUlSS_E_NS1_11comp_targetILNS1_3genE4ELNS1_11target_archE910ELNS1_3gpuE8ELNS1_3repE0EEENS1_30default_config_static_selectorELNS0_4arch9wavefront6targetE1EEEvT1_
	.p2align	8
	.type	_ZN7rocprim17ROCPRIM_400000_NS6detail17trampoline_kernelINS0_14default_configENS1_20scan_config_selectorIfEEZZNS1_9scan_implILNS1_25lookback_scan_determinismE0ELb1ELb1ES3_N6thrust23THRUST_200600_302600_NS6detail15normal_iteratorINS9_10device_ptrIfEEEENS9_16discard_iteratorINS9_11use_defaultEEEf11max_functorIfEfEEDaPvRmT3_T4_T5_mT6_P12ihipStream_tbENKUlT_T0_E_clISt17integral_constantIbLb0EESX_EEDaSS_ST_EUlSS_E_NS1_11comp_targetILNS1_3genE4ELNS1_11target_archE910ELNS1_3gpuE8ELNS1_3repE0EEENS1_30default_config_static_selectorELNS0_4arch9wavefront6targetE1EEEvT1_,@function
_ZN7rocprim17ROCPRIM_400000_NS6detail17trampoline_kernelINS0_14default_configENS1_20scan_config_selectorIfEEZZNS1_9scan_implILNS1_25lookback_scan_determinismE0ELb1ELb1ES3_N6thrust23THRUST_200600_302600_NS6detail15normal_iteratorINS9_10device_ptrIfEEEENS9_16discard_iteratorINS9_11use_defaultEEEf11max_functorIfEfEEDaPvRmT3_T4_T5_mT6_P12ihipStream_tbENKUlT_T0_E_clISt17integral_constantIbLb0EESX_EEDaSS_ST_EUlSS_E_NS1_11comp_targetILNS1_3genE4ELNS1_11target_archE910ELNS1_3gpuE8ELNS1_3repE0EEENS1_30default_config_static_selectorELNS0_4arch9wavefront6targetE1EEEvT1_: ; @_ZN7rocprim17ROCPRIM_400000_NS6detail17trampoline_kernelINS0_14default_configENS1_20scan_config_selectorIfEEZZNS1_9scan_implILNS1_25lookback_scan_determinismE0ELb1ELb1ES3_N6thrust23THRUST_200600_302600_NS6detail15normal_iteratorINS9_10device_ptrIfEEEENS9_16discard_iteratorINS9_11use_defaultEEEf11max_functorIfEfEEDaPvRmT3_T4_T5_mT6_P12ihipStream_tbENKUlT_T0_E_clISt17integral_constantIbLb0EESX_EEDaSS_ST_EUlSS_E_NS1_11comp_targetILNS1_3genE4ELNS1_11target_archE910ELNS1_3gpuE8ELNS1_3repE0EEENS1_30default_config_static_selectorELNS0_4arch9wavefront6targetE1EEEvT1_
; %bb.0:
	s_load_dwordx4 s[0:3], s[4:5], 0x0
	s_load_dwordx2 s[8:9], s[4:5], 0x20
	s_load_dword s10, s[4:5], 0x38
	v_lshlrev_b32_e32 v18, 2, v0
	s_waitcnt lgkmcnt(0)
	s_lshl_b64 s[2:3], s[2:3], 2
	s_add_u32 s7, s0, s2
	s_addc_u32 s22, s1, s3
	s_add_i32 s2, s10, -1
	s_mul_i32 s3, s2, 0x700
	s_sub_u32 s20, s8, s3
	s_subb_u32 s21, s9, 0
	s_mul_i32 s0, s6, 0x700
	s_mov_b32 s1, 0
	s_cmp_lg_u32 s6, s2
	s_cselect_b64 s[16:17], -1, 0
	s_lshl_b64 s[0:1], s[0:1], 2
	s_add_u32 s0, s7, s0
	s_addc_u32 s1, s22, s1
	s_mov_b64 s[2:3], -1
	s_and_b64 vcc, exec, s[16:17]
	s_cbranch_vccz .LBB3208_2
; %bb.1:
	v_mov_b32_e32 v1, s1
	v_add_co_u32_e32 v2, vcc, s0, v18
	v_addc_co_u32_e32 v3, vcc, 0, v1, vcc
	flat_load_dword v1, v[2:3]
	flat_load_dword v4, v[2:3] offset:512
	flat_load_dword v5, v[2:3] offset:1024
	;; [unrolled: 1-line block ×7, first 2 shown]
	v_add_co_u32_e32 v2, vcc, 0x1000, v2
	v_addc_co_u32_e32 v3, vcc, 0, v3, vcc
	flat_load_dword v11, v[2:3]
	flat_load_dword v12, v[2:3] offset:512
	flat_load_dword v13, v[2:3] offset:1024
	;; [unrolled: 1-line block ×5, first 2 shown]
	s_mov_b64 s[2:3], 0
	s_waitcnt vmcnt(0) lgkmcnt(0)
	ds_write2st64_b32 v18, v1, v4 offset1:2
	ds_write2st64_b32 v18, v5, v6 offset0:4 offset1:6
	ds_write2st64_b32 v18, v7, v8 offset0:8 offset1:10
	;; [unrolled: 1-line block ×6, first 2 shown]
	s_waitcnt lgkmcnt(0)
	s_barrier
.LBB3208_2:
	s_load_dwordx2 s[18:19], s[4:5], 0x30
	s_andn2_b64 vcc, exec, s[2:3]
	s_cbranch_vccnz .LBB3208_32
; %bb.3:
	v_pk_mov_b32 v[2:3], s[0:1], s[0:1] op_sel:[0,1]
	flat_load_dword v1, v[2:3]
	v_cmp_gt_u32_e32 vcc, s20, v0
	s_waitcnt vmcnt(0) lgkmcnt(0)
	v_mov_b32_e32 v2, v1
	v_mov_b32_e32 v3, v1
	;; [unrolled: 1-line block ×12, first 2 shown]
	v_pk_mov_b32 v[16:17], v[14:15], v[14:15] op_sel:[0,1]
	v_pk_mov_b32 v[14:15], v[12:13], v[12:13] op_sel:[0,1]
	v_pk_mov_b32 v[12:13], v[10:11], v[10:11] op_sel:[0,1]
	v_pk_mov_b32 v[10:11], v[8:9], v[8:9] op_sel:[0,1]
	v_pk_mov_b32 v[8:9], v[6:7], v[6:7] op_sel:[0,1]
	v_pk_mov_b32 v[6:7], v[4:5], v[4:5] op_sel:[0,1]
	v_pk_mov_b32 v[4:5], v[2:3], v[2:3] op_sel:[0,1]
	v_pk_mov_b32 v[2:3], v[0:1], v[0:1] op_sel:[0,1]
	s_and_saveexec_b64 s[2:3], vcc
	s_cbranch_execz .LBB3208_5
; %bb.4:
	v_mov_b32_e32 v3, s1
	v_add_co_u32_e32 v2, vcc, s0, v18
	v_addc_co_u32_e32 v3, vcc, 0, v3, vcc
	flat_load_dword v19, v[2:3]
	v_mov_b32_e32 v2, v1
	v_mov_b32_e32 v3, v1
	;; [unrolled: 1-line block ×12, first 2 shown]
	v_pk_mov_b32 v[16:17], v[14:15], v[14:15] op_sel:[0,1]
	v_pk_mov_b32 v[14:15], v[12:13], v[12:13] op_sel:[0,1]
	;; [unrolled: 1-line block ×8, first 2 shown]
	s_waitcnt vmcnt(0) lgkmcnt(0)
	v_mov_b32_e32 v1, v19
.LBB3208_5:
	s_or_b64 exec, exec, s[2:3]
	v_or_b32_e32 v2, 0x80, v0
	v_cmp_gt_u32_e32 vcc, s20, v2
	s_and_saveexec_b64 s[2:3], vcc
	s_cbranch_execz .LBB3208_7
; %bb.6:
	v_mov_b32_e32 v3, s1
	v_add_co_u32_e32 v2, vcc, s0, v18
	v_addc_co_u32_e32 v3, vcc, 0, v3, vcc
	flat_load_dword v3, v[2:3] offset:512
.LBB3208_7:
	s_or_b64 exec, exec, s[2:3]
	v_or_b32_e32 v2, 0x100, v0
	v_cmp_gt_u32_e32 vcc, s20, v2
	s_and_saveexec_b64 s[2:3], vcc
	s_cbranch_execz .LBB3208_9
; %bb.8:
	v_mov_b32_e32 v2, s1
	v_add_co_u32_e32 v16, vcc, s0, v18
	v_addc_co_u32_e32 v17, vcc, 0, v2, vcc
	flat_load_dword v4, v[16:17] offset:1024
.LBB3208_9:
	;; [unrolled: 11-line block ×7, first 2 shown]
	s_or_b64 exec, exec, s[2:3]
	v_or_b32_e32 v2, 0x400, v0
	v_cmp_gt_u32_e32 vcc, s20, v2
	s_and_saveexec_b64 s[2:3], vcc
	s_cbranch_execz .LBB3208_21
; %bb.20:
	v_lshlrev_b32_e32 v2, 2, v2
	v_mov_b32_e32 v10, s1
	v_add_co_u32_e32 v16, vcc, s0, v2
	v_addc_co_u32_e32 v17, vcc, 0, v10, vcc
	flat_load_dword v10, v[16:17]
.LBB3208_21:
	s_or_b64 exec, exec, s[2:3]
	v_or_b32_e32 v2, 0x480, v0
	v_cmp_gt_u32_e32 vcc, s20, v2
	s_and_saveexec_b64 s[2:3], vcc
	s_cbranch_execz .LBB3208_23
; %bb.22:
	v_lshlrev_b32_e32 v2, 2, v2
	v_mov_b32_e32 v11, s1
	v_add_co_u32_e32 v16, vcc, s0, v2
	v_addc_co_u32_e32 v17, vcc, 0, v11, vcc
	flat_load_dword v11, v[16:17]
.LBB3208_23:
	;; [unrolled: 12-line block ×6, first 2 shown]
	s_or_b64 exec, exec, s[2:3]
	s_waitcnt vmcnt(0) lgkmcnt(0)
	ds_write2st64_b32 v18, v1, v3 offset1:2
	ds_write2st64_b32 v18, v4, v5 offset0:4 offset1:6
	ds_write2st64_b32 v18, v6, v7 offset0:8 offset1:10
	;; [unrolled: 1-line block ×6, first 2 shown]
	s_waitcnt lgkmcnt(0)
	s_barrier
.LBB3208_32:
	v_mul_u32_u24_e32 v32, 14, v0
	v_lshlrev_b32_e32 v33, 2, v32
	s_waitcnt lgkmcnt(0)
	ds_read2_b64 v[26:29], v33 offset1:1
	ds_read2_b64 v[22:25], v33 offset0:2 offset1:3
	ds_read2_b64 v[18:21], v33 offset0:4 offset1:5
	ds_read_b64 v[30:31], v33 offset:48
	s_cmp_lg_u32 s6, 0
	s_waitcnt lgkmcnt(3)
	v_cmp_lt_f32_e64 s[0:1], v26, v27
	v_lshrrev_b32_e32 v1, 5, v0
	v_cmp_gt_u32_e32 vcc, 64, v0
	s_waitcnt lgkmcnt(0)
	s_barrier
	s_cbranch_scc0 .LBB3208_57
; %bb.33:
	v_cndmask_b32_e64 v2, v26, v27, s[0:1]
	v_cmp_lt_f32_e64 s[0:1], v2, v28
	v_cndmask_b32_e64 v2, v2, v28, s[0:1]
	v_cmp_lt_f32_e64 s[0:1], v2, v29
	;; [unrolled: 2-line block ×12, first 2 shown]
	v_cndmask_b32_e64 v12, v2, v31, s[0:1]
	v_add_lshl_u32 v2, v1, v0, 2
	ds_write_b32 v2, v12
	s_waitcnt lgkmcnt(0)
	s_barrier
	s_and_saveexec_b64 s[12:13], vcc
	s_cbranch_execz .LBB3208_35
; %bb.34:
	v_lshlrev_b32_e32 v2, 1, v0
	v_lshrrev_b32_e32 v3, 4, v0
	v_add_lshl_u32 v4, v3, v2, 2
	ds_read2_b32 v[2:3], v4 offset1:1
	v_mbcnt_lo_u32_b32 v5, -1, 0
	v_mbcnt_hi_u32_b32 v5, -1, v5
	v_and_b32_e32 v6, 15, v5
	v_cmp_lt_u32_e64 s[10:11], 31, v5
	s_waitcnt lgkmcnt(0)
	v_cmp_lt_f32_e64 s[0:1], v2, v3
	v_cndmask_b32_e64 v3, v2, v3, s[0:1]
	v_cmp_gt_u32_e64 s[8:9], 32, v5
	s_nop 0
	v_mov_b32_dpp v7, v3 row_shr:1 row_mask:0xf bank_mask:0xf
	v_cmp_gt_f32_e64 s[0:1], v3, v7
	v_cndmask_b32_e64 v7, v7, v3, s[0:1]
	v_cmp_eq_u32_e64 s[0:1], 0, v6
	v_cndmask_b32_e64 v3, v7, v3, s[0:1]
	; wave barrier
	s_nop 1
	v_mov_b32_dpp v7, v3 row_shr:2 row_mask:0xf bank_mask:0xf
	v_cmp_gt_f32_e64 s[0:1], v3, v7
	v_cndmask_b32_e64 v7, v7, v3, s[0:1]
	v_cmp_lt_u32_e64 s[0:1], 1, v6
	v_cndmask_b32_e64 v7, v3, v7, s[0:1]
	s_nop 1
	v_mov_b32_dpp v8, v7 row_shr:4 row_mask:0xf bank_mask:0xf
	v_cmp_gt_f32_e64 s[2:3], v7, v8
	v_cndmask_b32_e64 v8, v8, v7, s[2:3]
	v_cmp_lt_u32_e64 s[2:3], 3, v6
	v_cndmask_b32_e64 v7, v7, v8, s[2:3]
	;; [unrolled: 6-line block ×3, first 2 shown]
	v_and_b32_e32 v8, 16, v5
	s_nop 0
	v_mov_b32_dpp v7, v6 row_bcast:15 row_mask:0xf bank_mask:0xf
	v_cmp_gt_f32_e64 s[2:3], v6, v7
	v_cndmask_b32_e64 v7, v7, v6, s[2:3]
	v_cmp_ne_u32_e64 s[2:3], 0, v8
	v_cndmask_b32_e64 v6, v6, v7, s[2:3]
	s_or_b64 s[10:11], s[2:3], s[10:11]
	s_or_b64 s[0:1], s[0:1], s[10:11]
	v_mov_b32_dpp v7, v6 row_bcast:31 row_mask:0xf bank_mask:0xf
	v_cmp_gt_f32_e64 s[2:3], v6, v7
	s_or_b64 s[2:3], s[8:9], s[2:3]
	v_cndmask_b32_e64 v6, v7, v6, s[2:3]
	v_cndmask_b32_e64 v3, v3, v6, s[0:1]
	v_add_u32_e32 v6, -1, v5
	v_and_b32_e32 v7, 64, v5
	v_cmp_lt_i32_e64 s[0:1], v6, v7
	v_cndmask_b32_e64 v5, v6, v5, s[0:1]
	v_lshlrev_b32_e32 v5, 2, v5
	ds_bpermute_b32 v3, v5, v3
	s_waitcnt lgkmcnt(0)
	v_cmp_gt_f32_e64 s[0:1], v2, v3
	v_cndmask_b32_e64 v2, v3, v2, s[0:1]
	v_cmp_eq_u32_e64 s[0:1], 0, v0
	v_cndmask_b32_e64 v2, v2, v12, s[0:1]
	ds_write_b32 v4, v2
	; wave barrier
	ds_read_b32 v3, v4 offset:4
	s_waitcnt lgkmcnt(0)
	v_cmp_lt_f32_e64 s[0:1], v2, v3
	v_cndmask_b32_e64 v2, v2, v3, s[0:1]
	ds_write_b32 v4, v2 offset:4
.LBB3208_35:
	s_or_b64 exec, exec, s[12:13]
	v_cmp_eq_u32_e64 s[0:1], 0, v0
	v_cmp_ne_u32_e64 s[2:3], 0, v0
	s_waitcnt lgkmcnt(0)
	s_barrier
	s_and_saveexec_b64 s[8:9], s[2:3]
	s_cbranch_execz .LBB3208_37
; %bb.36:
	v_add_u32_e32 v2, -1, v0
	v_lshrrev_b32_e32 v3, 5, v2
	v_add_lshl_u32 v2, v3, v2, 2
	ds_read_b32 v12, v2
.LBB3208_37:
	s_or_b64 exec, exec, s[8:9]
	s_and_saveexec_b64 s[12:13], vcc
	s_cbranch_execz .LBB3208_56
; %bb.38:
	v_mov_b32_e32 v9, 0
	ds_read_b32 v2, v9 offset:520
	v_mbcnt_lo_u32_b32 v3, -1, 0
	v_mbcnt_hi_u32_b32 v5, -1, v3
	s_mov_b32 s11, 0
	v_cmp_eq_u32_e64 s[2:3], 0, v5
	s_and_saveexec_b64 s[8:9], s[2:3]
	s_cbranch_execz .LBB3208_40
; %bb.39:
	s_add_i32 s10, s6, 64
	s_lshl_b64 s[10:11], s[10:11], 3
	s_add_u32 s10, s18, s10
	v_mov_b32_e32 v3, 1
	s_addc_u32 s11, s19, s11
	s_waitcnt lgkmcnt(0)
	global_store_dwordx2 v9, v[2:3], s[10:11]
.LBB3208_40:
	s_or_b64 exec, exec, s[8:9]
	v_xad_u32 v4, v5, -1, s6
	v_add_u32_e32 v8, 64, v4
	v_lshlrev_b64 v[6:7], 3, v[8:9]
	v_mov_b32_e32 v3, s19
	v_add_co_u32_e32 v10, vcc, s18, v6
	v_addc_co_u32_e32 v11, vcc, v3, v7, vcc
	global_load_dwordx2 v[6:7], v[10:11], off glc
	s_waitcnt vmcnt(0)
	v_cmp_eq_u16_sdwa s[10:11], v7, v9 src0_sel:BYTE_0 src1_sel:DWORD
	s_and_saveexec_b64 s[8:9], s[10:11]
	s_cbranch_execz .LBB3208_44
; %bb.41:
	s_mov_b64 s[10:11], 0
	v_mov_b32_e32 v3, 0
.LBB3208_42:                            ; =>This Inner Loop Header: Depth=1
	global_load_dwordx2 v[6:7], v[10:11], off glc
	s_waitcnt vmcnt(0)
	v_cmp_ne_u16_sdwa s[14:15], v7, v3 src0_sel:BYTE_0 src1_sel:DWORD
	s_or_b64 s[10:11], s[14:15], s[10:11]
	s_andn2_b64 exec, exec, s[10:11]
	s_cbranch_execnz .LBB3208_42
; %bb.43:
	s_or_b64 exec, exec, s[10:11]
.LBB3208_44:
	s_or_b64 exec, exec, s[8:9]
	v_and_b32_e32 v13, 63, v5
	v_cmp_ne_u32_e32 vcc, 63, v13
	v_addc_co_u32_e32 v14, vcc, 0, v5, vcc
	v_lshlrev_b32_e32 v14, 2, v14
	v_mov_b32_e32 v3, 2
	ds_bpermute_b32 v15, v14, v6
	v_cmp_eq_u16_sdwa s[8:9], v7, v3 src0_sel:BYTE_0 src1_sel:DWORD
	v_lshlrev_b64 v[8:9], v5, -1
	v_and_b32_e32 v10, s9, v9
	v_or_b32_e32 v10, 0x80000000, v10
	v_and_b32_e32 v11, s8, v8
	v_ffbl_b32_e32 v10, v10
	v_add_u32_e32 v10, 32, v10
	v_ffbl_b32_e32 v11, v11
	s_waitcnt lgkmcnt(0)
	v_cmp_lt_f32_e32 vcc, v15, v6
	v_cmp_gt_u32_e64 s[8:9], 62, v13
	v_min_u32_e32 v10, v11, v10
	v_cndmask_b32_e32 v11, v15, v6, vcc
	v_cndmask_b32_e64 v15, 0, 1, s[8:9]
	v_cmp_lt_u32_e32 vcc, v13, v10
	v_lshlrev_b32_e32 v15, 1, v15
	v_cndmask_b32_e32 v11, v6, v11, vcc
	v_add_lshl_u32 v15, v15, v5, 2
	ds_bpermute_b32 v17, v15, v11
	v_add_u32_e32 v16, 2, v13
	v_add_u32_e32 v34, 4, v13
	;; [unrolled: 1-line block ×4, first 2 shown]
	s_waitcnt lgkmcnt(0)
	v_cmp_gt_f32_e64 s[8:9], v11, v17
	v_cndmask_b32_e64 v17, v17, v11, s[8:9]
	v_cmp_gt_u32_e64 s[8:9], v16, v10
	v_cndmask_b32_e64 v11, v17, v11, s[8:9]
	v_cmp_gt_u32_e64 s[8:9], 60, v13
	v_cndmask_b32_e64 v17, 0, 1, s[8:9]
	v_lshlrev_b32_e32 v17, 2, v17
	v_add_lshl_u32 v17, v17, v5, 2
	ds_bpermute_b32 v35, v17, v11
	v_add_u32_e32 v41, 32, v13
	s_waitcnt lgkmcnt(0)
	v_cmp_gt_f32_e64 s[8:9], v11, v35
	v_cndmask_b32_e64 v35, v35, v11, s[8:9]
	v_cmp_gt_u32_e64 s[8:9], v34, v10
	v_cndmask_b32_e64 v11, v35, v11, s[8:9]
	v_cmp_gt_u32_e64 s[8:9], 56, v13
	v_cndmask_b32_e64 v35, 0, 1, s[8:9]
	v_lshlrev_b32_e32 v35, 3, v35
	v_add_lshl_u32 v35, v35, v5, 2
	ds_bpermute_b32 v37, v35, v11
	s_waitcnt lgkmcnt(0)
	v_cmp_gt_f32_e64 s[8:9], v11, v37
	v_cndmask_b32_e64 v37, v37, v11, s[8:9]
	v_cmp_gt_u32_e64 s[8:9], v36, v10
	v_cndmask_b32_e64 v11, v37, v11, s[8:9]
	v_cmp_gt_u32_e64 s[8:9], 48, v13
	v_cndmask_b32_e64 v37, 0, 1, s[8:9]
	v_lshlrev_b32_e32 v37, 4, v37
	v_add_lshl_u32 v37, v37, v5, 2
	ds_bpermute_b32 v38, v37, v11
	;; [unrolled: 10-line block ×3, first 2 shown]
	v_cmp_gt_u32_e64 s[8:9], v41, v10
	s_waitcnt lgkmcnt(0)
	v_cmp_gt_f32_e64 s[10:11], v11, v5
	s_or_b64 s[8:9], s[8:9], s[10:11]
	v_cndmask_b32_e64 v5, v5, v11, s[8:9]
	v_cndmask_b32_e32 v6, v6, v5, vcc
	v_mov_b32_e32 v5, 0
	s_branch .LBB3208_46
.LBB3208_45:                            ;   in Loop: Header=BB3208_46 Depth=1
	s_or_b64 exec, exec, s[8:9]
	v_cmp_eq_u16_sdwa s[8:9], v7, v3 src0_sel:BYTE_0 src1_sel:DWORD
	ds_bpermute_b32 v42, v14, v6
	v_and_b32_e32 v10, s9, v9
	v_or_b32_e32 v10, 0x80000000, v10
	v_and_b32_e32 v11, s8, v8
	v_ffbl_b32_e32 v10, v10
	v_add_u32_e32 v10, 32, v10
	v_ffbl_b32_e32 v11, v11
	v_min_u32_e32 v10, v11, v10
	s_waitcnt lgkmcnt(0)
	v_cmp_lt_f32_e32 vcc, v42, v6
	v_cndmask_b32_e32 v11, v42, v6, vcc
	v_cmp_lt_u32_e32 vcc, v13, v10
	v_cndmask_b32_e32 v11, v6, v11, vcc
	ds_bpermute_b32 v42, v15, v11
	v_subrev_u32_e32 v4, 64, v4
	s_waitcnt lgkmcnt(0)
	v_cmp_gt_f32_e64 s[8:9], v11, v42
	v_cndmask_b32_e64 v42, v42, v11, s[8:9]
	v_cmp_gt_u32_e64 s[8:9], v16, v10
	v_cndmask_b32_e64 v11, v42, v11, s[8:9]
	ds_bpermute_b32 v42, v17, v11
	s_waitcnt lgkmcnt(0)
	v_cmp_gt_f32_e64 s[8:9], v11, v42
	v_cndmask_b32_e64 v42, v42, v11, s[8:9]
	v_cmp_gt_u32_e64 s[8:9], v34, v10
	v_cndmask_b32_e64 v11, v42, v11, s[8:9]
	ds_bpermute_b32 v42, v35, v11
	;; [unrolled: 6-line block ×4, first 2 shown]
	v_cmp_gt_u32_e64 s[8:9], v41, v10
	s_waitcnt lgkmcnt(0)
	v_cmp_gt_f32_e64 s[10:11], v11, v42
	s_or_b64 s[8:9], s[8:9], s[10:11]
	v_cndmask_b32_e64 v10, v42, v11, s[8:9]
	v_cndmask_b32_e32 v6, v6, v10, vcc
	v_cmp_lt_f32_e32 vcc, v6, v38
	v_cndmask_b32_e32 v6, v6, v38, vcc
.LBB3208_46:                            ; =>This Loop Header: Depth=1
                                        ;     Child Loop BB3208_49 Depth 2
	v_cmp_ne_u16_sdwa s[8:9], v7, v3 src0_sel:BYTE_0 src1_sel:DWORD
	v_cndmask_b32_e64 v7, 0, 1, s[8:9]
	;;#ASMSTART
	;;#ASMEND
	v_cmp_ne_u32_e32 vcc, 0, v7
	s_cmp_lg_u64 vcc, exec
	v_mov_b32_e32 v38, v6
	s_cbranch_scc1 .LBB3208_51
; %bb.47:                               ;   in Loop: Header=BB3208_46 Depth=1
	v_lshlrev_b64 v[6:7], 3, v[4:5]
	v_mov_b32_e32 v11, s19
	v_add_co_u32_e32 v10, vcc, s18, v6
	v_addc_co_u32_e32 v11, vcc, v11, v7, vcc
	global_load_dwordx2 v[6:7], v[10:11], off glc
	s_waitcnt vmcnt(0)
	v_cmp_eq_u16_sdwa s[10:11], v7, v5 src0_sel:BYTE_0 src1_sel:DWORD
	s_and_saveexec_b64 s[8:9], s[10:11]
	s_cbranch_execz .LBB3208_45
; %bb.48:                               ;   in Loop: Header=BB3208_46 Depth=1
	s_mov_b64 s[10:11], 0
.LBB3208_49:                            ;   Parent Loop BB3208_46 Depth=1
                                        ; =>  This Inner Loop Header: Depth=2
	global_load_dwordx2 v[6:7], v[10:11], off glc
	s_waitcnt vmcnt(0)
	v_cmp_ne_u16_sdwa s[14:15], v7, v5 src0_sel:BYTE_0 src1_sel:DWORD
	s_or_b64 s[10:11], s[14:15], s[10:11]
	s_andn2_b64 exec, exec, s[10:11]
	s_cbranch_execnz .LBB3208_49
; %bb.50:                               ;   in Loop: Header=BB3208_46 Depth=1
	s_or_b64 exec, exec, s[10:11]
	s_branch .LBB3208_45
.LBB3208_51:                            ;   in Loop: Header=BB3208_46 Depth=1
                                        ; implicit-def: $vgpr6
                                        ; implicit-def: $vgpr7
	s_cbranch_execz .LBB3208_46
; %bb.52:
	s_and_saveexec_b64 s[8:9], s[2:3]
	s_cbranch_execz .LBB3208_54
; %bb.53:
	s_add_i32 s2, s6, 64
	s_mov_b32 s3, 0
	s_lshl_b64 s[2:3], s[2:3], 3
	v_cmp_lt_f32_e32 vcc, v38, v2
	s_add_u32 s2, s18, s2
	v_cndmask_b32_e32 v2, v38, v2, vcc
	v_mov_b32_e32 v3, 2
	s_addc_u32 s3, s19, s3
	v_mov_b32_e32 v4, 0
	global_store_dwordx2 v4, v[2:3], s[2:3]
.LBB3208_54:
	s_or_b64 exec, exec, s[8:9]
	s_and_b64 exec, exec, s[0:1]
	s_cbranch_execz .LBB3208_56
; %bb.55:
	v_mov_b32_e32 v2, 0
	ds_write_b32 v2, v38
.LBB3208_56:
	s_or_b64 exec, exec, s[12:13]
	v_mov_b32_e32 v2, 0
	s_waitcnt lgkmcnt(0)
	s_barrier
	ds_read_b32 v2, v2
	s_waitcnt lgkmcnt(0)
	v_cmp_lt_f32_e32 vcc, v2, v12
	v_cndmask_b32_e32 v3, v2, v12, vcc
	v_cndmask_b32_e64 v2, v3, v2, s[0:1]
	v_cmp_lt_f32_e32 vcc, v2, v26
	v_cndmask_b32_e32 v3, v2, v26, vcc
	v_cmp_lt_f32_e32 vcc, v3, v27
	v_cndmask_b32_e32 v4, v3, v27, vcc
	v_cmp_lt_f32_e32 vcc, v4, v28
	v_cndmask_b32_e32 v5, v4, v28, vcc
	v_cmp_lt_f32_e32 vcc, v5, v29
	v_cndmask_b32_e32 v6, v5, v29, vcc
	v_cmp_lt_f32_e32 vcc, v6, v22
	v_cndmask_b32_e32 v7, v6, v22, vcc
	v_cmp_lt_f32_e32 vcc, v7, v23
	v_cndmask_b32_e32 v8, v7, v23, vcc
	v_cmp_lt_f32_e32 vcc, v8, v24
	v_cndmask_b32_e32 v9, v8, v24, vcc
	v_cmp_lt_f32_e32 vcc, v9, v25
	v_cndmask_b32_e32 v10, v9, v25, vcc
	v_cmp_lt_f32_e32 vcc, v10, v18
	v_cndmask_b32_e32 v11, v10, v18, vcc
	v_cmp_lt_f32_e32 vcc, v11, v19
	v_cndmask_b32_e32 v12, v11, v19, vcc
	v_cmp_lt_f32_e32 vcc, v12, v20
	v_cndmask_b32_e32 v13, v12, v20, vcc
	v_cmp_lt_f32_e32 vcc, v13, v21
	v_cndmask_b32_e32 v14, v13, v21, vcc
	v_cmp_lt_f32_e32 vcc, v14, v30
	v_cndmask_b32_e32 v15, v14, v30, vcc
	s_load_dwordx8 s[8:15], s[4:5], 0x40
	s_branch .LBB3208_67
.LBB3208_57:
                                        ; implicit-def: $vgpr2_vgpr3_vgpr4_vgpr5_vgpr6_vgpr7_vgpr8_vgpr9_vgpr10_vgpr11_vgpr12_vgpr13_vgpr14_vgpr15_vgpr16_vgpr17
	s_load_dwordx8 s[8:15], s[4:5], 0x40
	s_cbranch_execz .LBB3208_67
; %bb.58:
	s_load_dword s0, s[4:5], 0x28
	s_waitcnt lgkmcnt(0)
	s_cmp_eq_u64 s[12:13], 0
	v_mov_b32_e32 v16, s0
	s_cbranch_scc1 .LBB3208_60
; %bb.59:
	v_mov_b32_e32 v2, 0
	global_load_dword v4, v2, s[8:9]
	v_mov_b32_e32 v3, s22
	v_add_co_u32_e64 v2, vcc, -4, s7
	v_addc_co_u32_e32 v3, vcc, -1, v3, vcc
	flat_load_dword v2, v[2:3]
	s_waitcnt vmcnt(0) lgkmcnt(0)
	v_cmp_lt_f32_e32 vcc, v4, v2
	v_cndmask_b32_e32 v16, v4, v2, vcc
.LBB3208_60:
	v_cmp_lt_f32_e32 vcc, v26, v27
	v_cndmask_b32_e32 v2, v26, v27, vcc
	v_cmp_lt_f32_e32 vcc, v2, v28
	v_cndmask_b32_e32 v2, v2, v28, vcc
	;; [unrolled: 2-line block ×13, first 2 shown]
	v_add_lshl_u32 v1, v1, v0, 2
	v_cmp_gt_u32_e32 vcc, 64, v0
	ds_write_b32 v1, v2
	s_waitcnt lgkmcnt(0)
	s_barrier
	s_and_saveexec_b64 s[6:7], vcc
	s_cbranch_execz .LBB3208_62
; %bb.61:
	v_lshlrev_b32_e32 v1, 1, v0
	v_lshrrev_b32_e32 v3, 4, v0
	v_add_lshl_u32 v1, v3, v1, 2
	ds_read2_b32 v[4:5], v1 offset1:1
	v_mbcnt_lo_u32_b32 v3, -1, 0
	v_mbcnt_hi_u32_b32 v3, -1, v3
	v_and_b32_e32 v6, 15, v3
	v_cmp_lt_u32_e64 s[4:5], 31, v3
	s_waitcnt lgkmcnt(0)
	v_cmp_lt_f32_e32 vcc, v4, v5
	v_cndmask_b32_e32 v5, v4, v5, vcc
	v_cmp_gt_u32_e64 s[2:3], 32, v3
	s_nop 0
	v_mov_b32_dpp v7, v5 row_shr:1 row_mask:0xf bank_mask:0xf
	v_cmp_gt_f32_e32 vcc, v5, v7
	v_cndmask_b32_e32 v7, v7, v5, vcc
	v_cmp_eq_u32_e32 vcc, 0, v6
	v_cndmask_b32_e32 v5, v7, v5, vcc
	; wave barrier
	s_nop 1
	v_mov_b32_dpp v7, v5 row_shr:2 row_mask:0xf bank_mask:0xf
	v_cmp_gt_f32_e32 vcc, v5, v7
	v_cndmask_b32_e32 v7, v7, v5, vcc
	v_cmp_lt_u32_e32 vcc, 1, v6
	v_cndmask_b32_e32 v7, v5, v7, vcc
	s_nop 1
	v_mov_b32_dpp v8, v7 row_shr:4 row_mask:0xf bank_mask:0xf
	v_cmp_gt_f32_e64 s[0:1], v7, v8
	v_cndmask_b32_e64 v8, v8, v7, s[0:1]
	v_cmp_lt_u32_e64 s[0:1], 3, v6
	v_cndmask_b32_e64 v7, v7, v8, s[0:1]
	s_nop 1
	v_mov_b32_dpp v8, v7 row_shr:8 row_mask:0xf bank_mask:0xf
	v_cmp_gt_f32_e64 s[0:1], v7, v8
	v_cndmask_b32_e64 v8, v8, v7, s[0:1]
	v_cmp_lt_u32_e64 s[0:1], 7, v6
	v_cndmask_b32_e64 v6, v7, v8, s[0:1]
	v_and_b32_e32 v8, 16, v3
	s_nop 0
	v_mov_b32_dpp v7, v6 row_bcast:15 row_mask:0xf bank_mask:0xf
	v_cmp_gt_f32_e64 s[0:1], v6, v7
	v_cndmask_b32_e64 v7, v7, v6, s[0:1]
	v_cmp_ne_u32_e64 s[0:1], 0, v8
	v_cndmask_b32_e64 v6, v6, v7, s[0:1]
	s_or_b64 s[4:5], s[0:1], s[4:5]
	s_or_b64 vcc, vcc, s[4:5]
	v_mov_b32_dpp v7, v6 row_bcast:31 row_mask:0xf bank_mask:0xf
	v_cmp_gt_f32_e64 s[0:1], v6, v7
	s_or_b64 s[0:1], s[2:3], s[0:1]
	v_cndmask_b32_e64 v6, v7, v6, s[0:1]
	v_cndmask_b32_e32 v5, v5, v6, vcc
	v_add_u32_e32 v6, -1, v3
	v_and_b32_e32 v7, 64, v3
	v_cmp_lt_i32_e32 vcc, v6, v7
	v_cndmask_b32_e32 v3, v6, v3, vcc
	v_lshlrev_b32_e32 v3, 2, v3
	ds_bpermute_b32 v3, v3, v5
	s_waitcnt lgkmcnt(0)
	v_cmp_gt_f32_e32 vcc, v4, v3
	v_cndmask_b32_e32 v3, v3, v4, vcc
	v_cmp_eq_u32_e32 vcc, 0, v0
	v_cndmask_b32_e32 v2, v3, v2, vcc
	ds_write_b32 v1, v2
	; wave barrier
	ds_read_b32 v3, v1 offset:4
	s_waitcnt lgkmcnt(0)
	v_cmp_lt_f32_e32 vcc, v2, v3
	v_cndmask_b32_e32 v2, v2, v3, vcc
	ds_write_b32 v1, v2 offset:4
.LBB3208_62:
	s_or_b64 exec, exec, s[6:7]
	v_cmp_eq_u32_e32 vcc, 0, v0
	v_cmp_ne_u32_e64 s[0:1], 0, v0
	v_mov_b32_e32 v2, v16
	s_waitcnt lgkmcnt(0)
	s_barrier
	s_and_saveexec_b64 s[2:3], s[0:1]
	s_cbranch_execz .LBB3208_64
; %bb.63:
	v_add_u32_e32 v1, -1, v0
	v_lshrrev_b32_e32 v2, 5, v1
	v_add_lshl_u32 v1, v2, v1, 2
	ds_read_b32 v1, v1
	s_waitcnt lgkmcnt(0)
	v_cmp_gt_f32_e64 s[0:1], v1, v16
	v_cndmask_b32_e64 v2, v16, v1, s[0:1]
.LBB3208_64:
	s_or_b64 exec, exec, s[2:3]
	v_cmp_lt_f32_e64 s[0:1], v2, v26
	v_cndmask_b32_e64 v3, v2, v26, s[0:1]
	v_cmp_lt_f32_e64 s[0:1], v3, v27
	v_cndmask_b32_e64 v4, v3, v27, s[0:1]
	;; [unrolled: 2-line block ×13, first 2 shown]
	s_and_saveexec_b64 s[0:1], vcc
	s_cbranch_execz .LBB3208_66
; %bb.65:
	v_mov_b32_e32 v1, 0
	ds_read_b32 v17, v1 offset:520
	s_waitcnt lgkmcnt(0)
	v_cmp_gt_f32_e32 vcc, v17, v16
	v_cndmask_b32_e32 v16, v16, v17, vcc
	v_mov_b32_e32 v17, 2
	global_store_dwordx2 v1, v[16:17], s[18:19] offset:512
.LBB3208_66:
	s_or_b64 exec, exec, s[0:1]
.LBB3208_67:
	s_mov_b64 s[0:1], -1
	s_and_b64 vcc, exec, s[16:17]
	s_waitcnt lgkmcnt(0)
	s_barrier
	ds_write2_b64 v33, v[2:3], v[4:5] offset1:1
	ds_write2_b64 v33, v[6:7], v[8:9] offset0:2 offset1:3
	ds_write2_b64 v33, v[10:11], v[12:13] offset0:4 offset1:5
	ds_write_b64 v33, v[14:15] offset:48
	s_waitcnt lgkmcnt(0)
	s_cbranch_vccz .LBB3208_69
; %bb.68:
	s_barrier
	s_mov_b64 s[0:1], 0
.LBB3208_69:
	s_andn2_b64 vcc, exec, s[0:1]
	s_cbranch_vccnz .LBB3208_121
; %bb.70:
	v_cmp_lt_u64_e64 s[0:1], s[14:15], 2
	s_and_b64 vcc, exec, s[0:1]
	s_barrier
	s_cbranch_vccnz .LBB3208_121
; %bb.71:
	s_add_u32 s0, s20, -1
	s_addc_u32 s1, s21, -1
	s_add_u32 s2, 0, 0x49240800
	s_addc_u32 s3, 0, 50
	s_add_i32 s3, s3, 0x12492460
	s_mul_hi_u32 s7, s2, -14
	s_sub_i32 s7, s7, s2
	s_mul_i32 s8, s3, -14
	s_mul_i32 s4, s2, -14
	s_add_i32 s7, s7, s8
	s_mul_hi_u32 s5, s3, s4
	s_mul_i32 s6, s3, s4
	s_mul_i32 s9, s2, s7
	s_mul_hi_u32 s4, s2, s4
	s_mul_hi_u32 s8, s2, s7
	s_add_u32 s4, s4, s9
	s_addc_u32 s8, 0, s8
	s_add_u32 s4, s4, s6
	s_mul_hi_u32 s9, s3, s7
	s_addc_u32 s4, s8, s5
	s_addc_u32 s5, s9, 0
	s_mul_i32 s6, s3, s7
	s_add_u32 s4, s4, s6
	v_mov_b32_e32 v2, s4
	s_addc_u32 s5, 0, s5
	v_add_co_u32_e32 v2, vcc, s2, v2
	s_cmp_lg_u64 vcc, 0
	s_addc_u32 s2, s3, s5
	v_readfirstlane_b32 s5, v2
	s_mul_i32 s4, s0, s2
	s_mul_hi_u32 s6, s0, s5
	s_mul_hi_u32 s3, s0, s2
	s_add_u32 s4, s6, s4
	s_addc_u32 s3, 0, s3
	s_mul_hi_u32 s7, s1, s5
	s_mul_i32 s5, s1, s5
	s_add_u32 s4, s4, s5
	s_mul_hi_u32 s6, s1, s2
	s_addc_u32 s3, s3, s7
	s_addc_u32 s4, s6, 0
	s_mul_i32 s2, s1, s2
	s_add_u32 s2, s3, s2
	s_addc_u32 s3, 0, s4
	s_add_u32 s4, s2, 1
	s_addc_u32 s5, s3, 0
	s_add_u32 s6, s2, 2
	s_mul_i32 s8, s3, 14
	s_mul_hi_u32 s9, s2, 14
	s_addc_u32 s7, s3, 0
	s_add_i32 s9, s9, s8
	s_mul_i32 s8, s2, 14
	v_mov_b32_e32 v2, s8
	v_sub_co_u32_e32 v2, vcc, s0, v2
	s_cmp_lg_u64 vcc, 0
	s_subb_u32 s8, s1, s9
	v_subrev_co_u32_e32 v3, vcc, 14, v2
	s_cmp_lg_u64 vcc, 0
	s_subb_u32 s9, s8, 0
	v_readfirstlane_b32 s12, v3
	s_cmp_gt_u32 s12, 13
	s_cselect_b32 s12, -1, 0
	s_cmp_eq_u32 s9, 0
	s_cselect_b32 s9, s12, -1
	s_cmp_lg_u32 s9, 0
	s_cselect_b32 s4, s6, s4
	v_readfirstlane_b32 s6, v2
	s_cselect_b32 s5, s7, s5
	s_cmp_gt_u32 s6, 13
	s_cselect_b32 s6, -1, 0
	s_cmp_eq_u32 s8, 0
	s_cselect_b32 s6, s6, -1
	s_cmp_lg_u32 s6, 0
	v_mov_b32_e32 v1, 0
	s_cselect_b32 s3, s5, s3
	s_cselect_b32 s2, s4, s2
	v_cmp_eq_u64_e32 vcc, s[2:3], v[0:1]
	s_and_saveexec_b64 s[2:3], vcc
	s_cbranch_execz .LBB3208_121
; %bb.72:
	s_movk_i32 s2, 0xffcc
	v_mad_i32_i24 v2, v0, s2, v33
	v_mul_hi_u32_u24_e32 v1, 14, v0
	v_mov_b32_e32 v3, s1
	v_sub_co_u32_e32 v0, vcc, s0, v32
	v_subb_co_u32_e32 v1, vcc, v3, v1, vcc
	v_cmp_lt_i64_e32 vcc, 6, v[0:1]
	s_and_saveexec_b64 s[0:1], vcc
	s_xor_b64 s[0:1], exec, s[0:1]
	s_cbranch_execz .LBB3208_98
; %bb.73:
	v_cmp_lt_i64_e32 vcc, 9, v[0:1]
	s_and_saveexec_b64 s[2:3], vcc
	s_xor_b64 s[2:3], exec, s[2:3]
	s_cbranch_execz .LBB3208_87
; %bb.74:
	;; [unrolled: 5-line block ×4, first 2 shown]
	ds_read_b32 v0, v2 offset:6656
	v_mov_b32_e32 v1, 0
                                        ; implicit-def: $vgpr2
	s_waitcnt lgkmcnt(0)
	global_store_dword v1, v0, s[10:11]
.LBB3208_77:
	s_andn2_saveexec_b64 s[6:7], s[6:7]
	s_cbranch_execz .LBB3208_79
; %bb.78:
	ds_read_b32 v0, v2 offset:6144
	v_mov_b32_e32 v1, 0
	s_waitcnt lgkmcnt(0)
	global_store_dword v1, v0, s[10:11]
.LBB3208_79:
	s_or_b64 exec, exec, s[6:7]
                                        ; implicit-def: $vgpr2
                                        ; implicit-def: $vgpr0_vgpr1
.LBB3208_80:
	s_andn2_saveexec_b64 s[4:5], s[4:5]
	s_cbranch_execz .LBB3208_86
; %bb.81:
	v_cmp_lt_i64_e32 vcc, 10, v[0:1]
	s_and_saveexec_b64 s[6:7], vcc
	s_xor_b64 s[6:7], exec, s[6:7]
	s_cbranch_execz .LBB3208_83
; %bb.82:
	ds_read_b32 v0, v2 offset:5632
	v_mov_b32_e32 v1, 0
                                        ; implicit-def: $vgpr2
	s_waitcnt lgkmcnt(0)
	global_store_dword v1, v0, s[10:11]
.LBB3208_83:
	s_andn2_saveexec_b64 s[6:7], s[6:7]
	s_cbranch_execz .LBB3208_85
; %bb.84:
	ds_read_b32 v0, v2 offset:5120
	v_mov_b32_e32 v1, 0
	s_waitcnt lgkmcnt(0)
	global_store_dword v1, v0, s[10:11]
.LBB3208_85:
	s_or_b64 exec, exec, s[6:7]
.LBB3208_86:
	s_or_b64 exec, exec, s[4:5]
                                        ; implicit-def: $vgpr2
                                        ; implicit-def: $vgpr0_vgpr1
.LBB3208_87:
	s_andn2_saveexec_b64 s[2:3], s[2:3]
	s_cbranch_execz .LBB3208_97
; %bb.88:
	v_cmp_lt_i64_e32 vcc, 7, v[0:1]
	s_and_saveexec_b64 s[4:5], vcc
	s_xor_b64 s[4:5], exec, s[4:5]
	s_cbranch_execz .LBB3208_94
; %bb.89:
	v_cmp_lt_i64_e32 vcc, 8, v[0:1]
	s_and_saveexec_b64 s[6:7], vcc
	s_xor_b64 s[6:7], exec, s[6:7]
	s_cbranch_execz .LBB3208_91
; %bb.90:
	ds_read_b32 v0, v2 offset:4608
	v_mov_b32_e32 v1, 0
                                        ; implicit-def: $vgpr2
	s_waitcnt lgkmcnt(0)
	global_store_dword v1, v0, s[10:11]
.LBB3208_91:
	s_andn2_saveexec_b64 s[6:7], s[6:7]
	s_cbranch_execz .LBB3208_93
; %bb.92:
	ds_read_b32 v0, v2 offset:4096
	v_mov_b32_e32 v1, 0
	s_waitcnt lgkmcnt(0)
	global_store_dword v1, v0, s[10:11]
.LBB3208_93:
	s_or_b64 exec, exec, s[6:7]
                                        ; implicit-def: $vgpr2
.LBB3208_94:
	s_andn2_saveexec_b64 s[4:5], s[4:5]
	s_cbranch_execz .LBB3208_96
; %bb.95:
	ds_read_b32 v0, v2 offset:3584
	v_mov_b32_e32 v1, 0
	s_waitcnt lgkmcnt(0)
	global_store_dword v1, v0, s[10:11]
.LBB3208_96:
	s_or_b64 exec, exec, s[4:5]
.LBB3208_97:
	s_or_b64 exec, exec, s[2:3]
                                        ; implicit-def: $vgpr0_vgpr1
                                        ; implicit-def: $vgpr2
.LBB3208_98:
	s_andn2_saveexec_b64 s[0:1], s[0:1]
	s_cbranch_execz .LBB3208_121
; %bb.99:
	v_cmp_lt_i64_e32 vcc, 3, v[0:1]
	s_and_saveexec_b64 s[0:1], vcc
	s_xor_b64 s[0:1], exec, s[0:1]
	s_cbranch_execz .LBB3208_109
; %bb.100:
	v_cmp_lt_i64_e32 vcc, 4, v[0:1]
	s_and_saveexec_b64 s[2:3], vcc
	s_xor_b64 s[2:3], exec, s[2:3]
	;; [unrolled: 5-line block ×3, first 2 shown]
	s_cbranch_execz .LBB3208_103
; %bb.102:
	ds_read_b32 v0, v2 offset:3072
	v_mov_b32_e32 v1, 0
                                        ; implicit-def: $vgpr2
	s_waitcnt lgkmcnt(0)
	global_store_dword v1, v0, s[10:11]
.LBB3208_103:
	s_andn2_saveexec_b64 s[4:5], s[4:5]
	s_cbranch_execz .LBB3208_105
; %bb.104:
	ds_read_b32 v0, v2 offset:2560
	v_mov_b32_e32 v1, 0
	s_waitcnt lgkmcnt(0)
	global_store_dword v1, v0, s[10:11]
.LBB3208_105:
	s_or_b64 exec, exec, s[4:5]
                                        ; implicit-def: $vgpr2
.LBB3208_106:
	s_andn2_saveexec_b64 s[2:3], s[2:3]
	s_cbranch_execz .LBB3208_108
; %bb.107:
	ds_read_b32 v0, v2 offset:2048
	v_mov_b32_e32 v1, 0
	s_waitcnt lgkmcnt(0)
	global_store_dword v1, v0, s[10:11]
.LBB3208_108:
	s_or_b64 exec, exec, s[2:3]
                                        ; implicit-def: $vgpr0_vgpr1
                                        ; implicit-def: $vgpr2
.LBB3208_109:
	s_andn2_saveexec_b64 s[0:1], s[0:1]
	s_cbranch_execz .LBB3208_121
; %bb.110:
	v_cmp_lt_i64_e32 vcc, 1, v[0:1]
	s_and_saveexec_b64 s[0:1], vcc
	s_xor_b64 s[0:1], exec, s[0:1]
	s_cbranch_execz .LBB3208_116
; %bb.111:
	v_cmp_lt_i64_e32 vcc, 2, v[0:1]
	s_and_saveexec_b64 s[2:3], vcc
	s_xor_b64 s[2:3], exec, s[2:3]
	s_cbranch_execz .LBB3208_113
; %bb.112:
	ds_read_b32 v0, v2 offset:1536
	v_mov_b32_e32 v1, 0
                                        ; implicit-def: $vgpr2
	s_waitcnt lgkmcnt(0)
	global_store_dword v1, v0, s[10:11]
.LBB3208_113:
	s_andn2_saveexec_b64 s[2:3], s[2:3]
	s_cbranch_execz .LBB3208_115
; %bb.114:
	ds_read_b32 v0, v2 offset:1024
	v_mov_b32_e32 v1, 0
	s_waitcnt lgkmcnt(0)
	global_store_dword v1, v0, s[10:11]
.LBB3208_115:
	s_or_b64 exec, exec, s[2:3]
                                        ; implicit-def: $vgpr2
                                        ; implicit-def: $vgpr0_vgpr1
.LBB3208_116:
	s_andn2_saveexec_b64 s[0:1], s[0:1]
	s_cbranch_execz .LBB3208_121
; %bb.117:
	v_cmp_ne_u64_e32 vcc, 1, v[0:1]
	s_and_saveexec_b64 s[0:1], vcc
	s_xor_b64 s[0:1], exec, s[0:1]
	s_cbranch_execz .LBB3208_119
; %bb.118:
	ds_read_b32 v0, v2
	v_mov_b32_e32 v1, 0
                                        ; implicit-def: $vgpr2
	s_waitcnt lgkmcnt(0)
	global_store_dword v1, v0, s[10:11]
.LBB3208_119:
	s_andn2_saveexec_b64 s[0:1], s[0:1]
	s_cbranch_execz .LBB3208_121
; %bb.120:
	ds_read_b32 v0, v2 offset:512
	v_mov_b32_e32 v1, 0
	s_waitcnt lgkmcnt(0)
	global_store_dword v1, v0, s[10:11]
.LBB3208_121:
	s_endpgm
	.section	.rodata,"a",@progbits
	.p2align	6, 0x0
	.amdhsa_kernel _ZN7rocprim17ROCPRIM_400000_NS6detail17trampoline_kernelINS0_14default_configENS1_20scan_config_selectorIfEEZZNS1_9scan_implILNS1_25lookback_scan_determinismE0ELb1ELb1ES3_N6thrust23THRUST_200600_302600_NS6detail15normal_iteratorINS9_10device_ptrIfEEEENS9_16discard_iteratorINS9_11use_defaultEEEf11max_functorIfEfEEDaPvRmT3_T4_T5_mT6_P12ihipStream_tbENKUlT_T0_E_clISt17integral_constantIbLb0EESX_EEDaSS_ST_EUlSS_E_NS1_11comp_targetILNS1_3genE4ELNS1_11target_archE910ELNS1_3gpuE8ELNS1_3repE0EEENS1_30default_config_static_selectorELNS0_4arch9wavefront6targetE1EEEvT1_
		.amdhsa_group_segment_fixed_size 7168
		.amdhsa_private_segment_fixed_size 0
		.amdhsa_kernarg_size 104
		.amdhsa_user_sgpr_count 6
		.amdhsa_user_sgpr_private_segment_buffer 1
		.amdhsa_user_sgpr_dispatch_ptr 0
		.amdhsa_user_sgpr_queue_ptr 0
		.amdhsa_user_sgpr_kernarg_segment_ptr 1
		.amdhsa_user_sgpr_dispatch_id 0
		.amdhsa_user_sgpr_flat_scratch_init 0
		.amdhsa_user_sgpr_kernarg_preload_length 0
		.amdhsa_user_sgpr_kernarg_preload_offset 0
		.amdhsa_user_sgpr_private_segment_size 0
		.amdhsa_uses_dynamic_stack 0
		.amdhsa_system_sgpr_private_segment_wavefront_offset 0
		.amdhsa_system_sgpr_workgroup_id_x 1
		.amdhsa_system_sgpr_workgroup_id_y 0
		.amdhsa_system_sgpr_workgroup_id_z 0
		.amdhsa_system_sgpr_workgroup_info 0
		.amdhsa_system_vgpr_workitem_id 0
		.amdhsa_next_free_vgpr 43
		.amdhsa_next_free_sgpr 23
		.amdhsa_accum_offset 44
		.amdhsa_reserve_vcc 1
		.amdhsa_reserve_flat_scratch 0
		.amdhsa_float_round_mode_32 0
		.amdhsa_float_round_mode_16_64 0
		.amdhsa_float_denorm_mode_32 3
		.amdhsa_float_denorm_mode_16_64 3
		.amdhsa_dx10_clamp 1
		.amdhsa_ieee_mode 1
		.amdhsa_fp16_overflow 0
		.amdhsa_tg_split 0
		.amdhsa_exception_fp_ieee_invalid_op 0
		.amdhsa_exception_fp_denorm_src 0
		.amdhsa_exception_fp_ieee_div_zero 0
		.amdhsa_exception_fp_ieee_overflow 0
		.amdhsa_exception_fp_ieee_underflow 0
		.amdhsa_exception_fp_ieee_inexact 0
		.amdhsa_exception_int_div_zero 0
	.end_amdhsa_kernel
	.section	.text._ZN7rocprim17ROCPRIM_400000_NS6detail17trampoline_kernelINS0_14default_configENS1_20scan_config_selectorIfEEZZNS1_9scan_implILNS1_25lookback_scan_determinismE0ELb1ELb1ES3_N6thrust23THRUST_200600_302600_NS6detail15normal_iteratorINS9_10device_ptrIfEEEENS9_16discard_iteratorINS9_11use_defaultEEEf11max_functorIfEfEEDaPvRmT3_T4_T5_mT6_P12ihipStream_tbENKUlT_T0_E_clISt17integral_constantIbLb0EESX_EEDaSS_ST_EUlSS_E_NS1_11comp_targetILNS1_3genE4ELNS1_11target_archE910ELNS1_3gpuE8ELNS1_3repE0EEENS1_30default_config_static_selectorELNS0_4arch9wavefront6targetE1EEEvT1_,"axG",@progbits,_ZN7rocprim17ROCPRIM_400000_NS6detail17trampoline_kernelINS0_14default_configENS1_20scan_config_selectorIfEEZZNS1_9scan_implILNS1_25lookback_scan_determinismE0ELb1ELb1ES3_N6thrust23THRUST_200600_302600_NS6detail15normal_iteratorINS9_10device_ptrIfEEEENS9_16discard_iteratorINS9_11use_defaultEEEf11max_functorIfEfEEDaPvRmT3_T4_T5_mT6_P12ihipStream_tbENKUlT_T0_E_clISt17integral_constantIbLb0EESX_EEDaSS_ST_EUlSS_E_NS1_11comp_targetILNS1_3genE4ELNS1_11target_archE910ELNS1_3gpuE8ELNS1_3repE0EEENS1_30default_config_static_selectorELNS0_4arch9wavefront6targetE1EEEvT1_,comdat
.Lfunc_end3208:
	.size	_ZN7rocprim17ROCPRIM_400000_NS6detail17trampoline_kernelINS0_14default_configENS1_20scan_config_selectorIfEEZZNS1_9scan_implILNS1_25lookback_scan_determinismE0ELb1ELb1ES3_N6thrust23THRUST_200600_302600_NS6detail15normal_iteratorINS9_10device_ptrIfEEEENS9_16discard_iteratorINS9_11use_defaultEEEf11max_functorIfEfEEDaPvRmT3_T4_T5_mT6_P12ihipStream_tbENKUlT_T0_E_clISt17integral_constantIbLb0EESX_EEDaSS_ST_EUlSS_E_NS1_11comp_targetILNS1_3genE4ELNS1_11target_archE910ELNS1_3gpuE8ELNS1_3repE0EEENS1_30default_config_static_selectorELNS0_4arch9wavefront6targetE1EEEvT1_, .Lfunc_end3208-_ZN7rocprim17ROCPRIM_400000_NS6detail17trampoline_kernelINS0_14default_configENS1_20scan_config_selectorIfEEZZNS1_9scan_implILNS1_25lookback_scan_determinismE0ELb1ELb1ES3_N6thrust23THRUST_200600_302600_NS6detail15normal_iteratorINS9_10device_ptrIfEEEENS9_16discard_iteratorINS9_11use_defaultEEEf11max_functorIfEfEEDaPvRmT3_T4_T5_mT6_P12ihipStream_tbENKUlT_T0_E_clISt17integral_constantIbLb0EESX_EEDaSS_ST_EUlSS_E_NS1_11comp_targetILNS1_3genE4ELNS1_11target_archE910ELNS1_3gpuE8ELNS1_3repE0EEENS1_30default_config_static_selectorELNS0_4arch9wavefront6targetE1EEEvT1_
                                        ; -- End function
	.section	.AMDGPU.csdata,"",@progbits
; Kernel info:
; codeLenInByte = 5556
; NumSgprs: 27
; NumVgprs: 43
; NumAgprs: 0
; TotalNumVgprs: 43
; ScratchSize: 0
; MemoryBound: 0
; FloatMode: 240
; IeeeMode: 1
; LDSByteSize: 7168 bytes/workgroup (compile time only)
; SGPRBlocks: 3
; VGPRBlocks: 5
; NumSGPRsForWavesPerEU: 27
; NumVGPRsForWavesPerEU: 43
; AccumOffset: 44
; Occupancy: 5
; WaveLimiterHint : 1
; COMPUTE_PGM_RSRC2:SCRATCH_EN: 0
; COMPUTE_PGM_RSRC2:USER_SGPR: 6
; COMPUTE_PGM_RSRC2:TRAP_HANDLER: 0
; COMPUTE_PGM_RSRC2:TGID_X_EN: 1
; COMPUTE_PGM_RSRC2:TGID_Y_EN: 0
; COMPUTE_PGM_RSRC2:TGID_Z_EN: 0
; COMPUTE_PGM_RSRC2:TIDIG_COMP_CNT: 0
; COMPUTE_PGM_RSRC3_GFX90A:ACCUM_OFFSET: 10
; COMPUTE_PGM_RSRC3_GFX90A:TG_SPLIT: 0
	.section	.text._ZN7rocprim17ROCPRIM_400000_NS6detail17trampoline_kernelINS0_14default_configENS1_20scan_config_selectorIfEEZZNS1_9scan_implILNS1_25lookback_scan_determinismE0ELb1ELb1ES3_N6thrust23THRUST_200600_302600_NS6detail15normal_iteratorINS9_10device_ptrIfEEEENS9_16discard_iteratorINS9_11use_defaultEEEf11max_functorIfEfEEDaPvRmT3_T4_T5_mT6_P12ihipStream_tbENKUlT_T0_E_clISt17integral_constantIbLb0EESX_EEDaSS_ST_EUlSS_E_NS1_11comp_targetILNS1_3genE3ELNS1_11target_archE908ELNS1_3gpuE7ELNS1_3repE0EEENS1_30default_config_static_selectorELNS0_4arch9wavefront6targetE1EEEvT1_,"axG",@progbits,_ZN7rocprim17ROCPRIM_400000_NS6detail17trampoline_kernelINS0_14default_configENS1_20scan_config_selectorIfEEZZNS1_9scan_implILNS1_25lookback_scan_determinismE0ELb1ELb1ES3_N6thrust23THRUST_200600_302600_NS6detail15normal_iteratorINS9_10device_ptrIfEEEENS9_16discard_iteratorINS9_11use_defaultEEEf11max_functorIfEfEEDaPvRmT3_T4_T5_mT6_P12ihipStream_tbENKUlT_T0_E_clISt17integral_constantIbLb0EESX_EEDaSS_ST_EUlSS_E_NS1_11comp_targetILNS1_3genE3ELNS1_11target_archE908ELNS1_3gpuE7ELNS1_3repE0EEENS1_30default_config_static_selectorELNS0_4arch9wavefront6targetE1EEEvT1_,comdat
	.protected	_ZN7rocprim17ROCPRIM_400000_NS6detail17trampoline_kernelINS0_14default_configENS1_20scan_config_selectorIfEEZZNS1_9scan_implILNS1_25lookback_scan_determinismE0ELb1ELb1ES3_N6thrust23THRUST_200600_302600_NS6detail15normal_iteratorINS9_10device_ptrIfEEEENS9_16discard_iteratorINS9_11use_defaultEEEf11max_functorIfEfEEDaPvRmT3_T4_T5_mT6_P12ihipStream_tbENKUlT_T0_E_clISt17integral_constantIbLb0EESX_EEDaSS_ST_EUlSS_E_NS1_11comp_targetILNS1_3genE3ELNS1_11target_archE908ELNS1_3gpuE7ELNS1_3repE0EEENS1_30default_config_static_selectorELNS0_4arch9wavefront6targetE1EEEvT1_ ; -- Begin function _ZN7rocprim17ROCPRIM_400000_NS6detail17trampoline_kernelINS0_14default_configENS1_20scan_config_selectorIfEEZZNS1_9scan_implILNS1_25lookback_scan_determinismE0ELb1ELb1ES3_N6thrust23THRUST_200600_302600_NS6detail15normal_iteratorINS9_10device_ptrIfEEEENS9_16discard_iteratorINS9_11use_defaultEEEf11max_functorIfEfEEDaPvRmT3_T4_T5_mT6_P12ihipStream_tbENKUlT_T0_E_clISt17integral_constantIbLb0EESX_EEDaSS_ST_EUlSS_E_NS1_11comp_targetILNS1_3genE3ELNS1_11target_archE908ELNS1_3gpuE7ELNS1_3repE0EEENS1_30default_config_static_selectorELNS0_4arch9wavefront6targetE1EEEvT1_
	.globl	_ZN7rocprim17ROCPRIM_400000_NS6detail17trampoline_kernelINS0_14default_configENS1_20scan_config_selectorIfEEZZNS1_9scan_implILNS1_25lookback_scan_determinismE0ELb1ELb1ES3_N6thrust23THRUST_200600_302600_NS6detail15normal_iteratorINS9_10device_ptrIfEEEENS9_16discard_iteratorINS9_11use_defaultEEEf11max_functorIfEfEEDaPvRmT3_T4_T5_mT6_P12ihipStream_tbENKUlT_T0_E_clISt17integral_constantIbLb0EESX_EEDaSS_ST_EUlSS_E_NS1_11comp_targetILNS1_3genE3ELNS1_11target_archE908ELNS1_3gpuE7ELNS1_3repE0EEENS1_30default_config_static_selectorELNS0_4arch9wavefront6targetE1EEEvT1_
	.p2align	8
	.type	_ZN7rocprim17ROCPRIM_400000_NS6detail17trampoline_kernelINS0_14default_configENS1_20scan_config_selectorIfEEZZNS1_9scan_implILNS1_25lookback_scan_determinismE0ELb1ELb1ES3_N6thrust23THRUST_200600_302600_NS6detail15normal_iteratorINS9_10device_ptrIfEEEENS9_16discard_iteratorINS9_11use_defaultEEEf11max_functorIfEfEEDaPvRmT3_T4_T5_mT6_P12ihipStream_tbENKUlT_T0_E_clISt17integral_constantIbLb0EESX_EEDaSS_ST_EUlSS_E_NS1_11comp_targetILNS1_3genE3ELNS1_11target_archE908ELNS1_3gpuE7ELNS1_3repE0EEENS1_30default_config_static_selectorELNS0_4arch9wavefront6targetE1EEEvT1_,@function
_ZN7rocprim17ROCPRIM_400000_NS6detail17trampoline_kernelINS0_14default_configENS1_20scan_config_selectorIfEEZZNS1_9scan_implILNS1_25lookback_scan_determinismE0ELb1ELb1ES3_N6thrust23THRUST_200600_302600_NS6detail15normal_iteratorINS9_10device_ptrIfEEEENS9_16discard_iteratorINS9_11use_defaultEEEf11max_functorIfEfEEDaPvRmT3_T4_T5_mT6_P12ihipStream_tbENKUlT_T0_E_clISt17integral_constantIbLb0EESX_EEDaSS_ST_EUlSS_E_NS1_11comp_targetILNS1_3genE3ELNS1_11target_archE908ELNS1_3gpuE7ELNS1_3repE0EEENS1_30default_config_static_selectorELNS0_4arch9wavefront6targetE1EEEvT1_: ; @_ZN7rocprim17ROCPRIM_400000_NS6detail17trampoline_kernelINS0_14default_configENS1_20scan_config_selectorIfEEZZNS1_9scan_implILNS1_25lookback_scan_determinismE0ELb1ELb1ES3_N6thrust23THRUST_200600_302600_NS6detail15normal_iteratorINS9_10device_ptrIfEEEENS9_16discard_iteratorINS9_11use_defaultEEEf11max_functorIfEfEEDaPvRmT3_T4_T5_mT6_P12ihipStream_tbENKUlT_T0_E_clISt17integral_constantIbLb0EESX_EEDaSS_ST_EUlSS_E_NS1_11comp_targetILNS1_3genE3ELNS1_11target_archE908ELNS1_3gpuE7ELNS1_3repE0EEENS1_30default_config_static_selectorELNS0_4arch9wavefront6targetE1EEEvT1_
; %bb.0:
	.section	.rodata,"a",@progbits
	.p2align	6, 0x0
	.amdhsa_kernel _ZN7rocprim17ROCPRIM_400000_NS6detail17trampoline_kernelINS0_14default_configENS1_20scan_config_selectorIfEEZZNS1_9scan_implILNS1_25lookback_scan_determinismE0ELb1ELb1ES3_N6thrust23THRUST_200600_302600_NS6detail15normal_iteratorINS9_10device_ptrIfEEEENS9_16discard_iteratorINS9_11use_defaultEEEf11max_functorIfEfEEDaPvRmT3_T4_T5_mT6_P12ihipStream_tbENKUlT_T0_E_clISt17integral_constantIbLb0EESX_EEDaSS_ST_EUlSS_E_NS1_11comp_targetILNS1_3genE3ELNS1_11target_archE908ELNS1_3gpuE7ELNS1_3repE0EEENS1_30default_config_static_selectorELNS0_4arch9wavefront6targetE1EEEvT1_
		.amdhsa_group_segment_fixed_size 0
		.amdhsa_private_segment_fixed_size 0
		.amdhsa_kernarg_size 104
		.amdhsa_user_sgpr_count 6
		.amdhsa_user_sgpr_private_segment_buffer 1
		.amdhsa_user_sgpr_dispatch_ptr 0
		.amdhsa_user_sgpr_queue_ptr 0
		.amdhsa_user_sgpr_kernarg_segment_ptr 1
		.amdhsa_user_sgpr_dispatch_id 0
		.amdhsa_user_sgpr_flat_scratch_init 0
		.amdhsa_user_sgpr_kernarg_preload_length 0
		.amdhsa_user_sgpr_kernarg_preload_offset 0
		.amdhsa_user_sgpr_private_segment_size 0
		.amdhsa_uses_dynamic_stack 0
		.amdhsa_system_sgpr_private_segment_wavefront_offset 0
		.amdhsa_system_sgpr_workgroup_id_x 1
		.amdhsa_system_sgpr_workgroup_id_y 0
		.amdhsa_system_sgpr_workgroup_id_z 0
		.amdhsa_system_sgpr_workgroup_info 0
		.amdhsa_system_vgpr_workitem_id 0
		.amdhsa_next_free_vgpr 1
		.amdhsa_next_free_sgpr 0
		.amdhsa_accum_offset 4
		.amdhsa_reserve_vcc 0
		.amdhsa_reserve_flat_scratch 0
		.amdhsa_float_round_mode_32 0
		.amdhsa_float_round_mode_16_64 0
		.amdhsa_float_denorm_mode_32 3
		.amdhsa_float_denorm_mode_16_64 3
		.amdhsa_dx10_clamp 1
		.amdhsa_ieee_mode 1
		.amdhsa_fp16_overflow 0
		.amdhsa_tg_split 0
		.amdhsa_exception_fp_ieee_invalid_op 0
		.amdhsa_exception_fp_denorm_src 0
		.amdhsa_exception_fp_ieee_div_zero 0
		.amdhsa_exception_fp_ieee_overflow 0
		.amdhsa_exception_fp_ieee_underflow 0
		.amdhsa_exception_fp_ieee_inexact 0
		.amdhsa_exception_int_div_zero 0
	.end_amdhsa_kernel
	.section	.text._ZN7rocprim17ROCPRIM_400000_NS6detail17trampoline_kernelINS0_14default_configENS1_20scan_config_selectorIfEEZZNS1_9scan_implILNS1_25lookback_scan_determinismE0ELb1ELb1ES3_N6thrust23THRUST_200600_302600_NS6detail15normal_iteratorINS9_10device_ptrIfEEEENS9_16discard_iteratorINS9_11use_defaultEEEf11max_functorIfEfEEDaPvRmT3_T4_T5_mT6_P12ihipStream_tbENKUlT_T0_E_clISt17integral_constantIbLb0EESX_EEDaSS_ST_EUlSS_E_NS1_11comp_targetILNS1_3genE3ELNS1_11target_archE908ELNS1_3gpuE7ELNS1_3repE0EEENS1_30default_config_static_selectorELNS0_4arch9wavefront6targetE1EEEvT1_,"axG",@progbits,_ZN7rocprim17ROCPRIM_400000_NS6detail17trampoline_kernelINS0_14default_configENS1_20scan_config_selectorIfEEZZNS1_9scan_implILNS1_25lookback_scan_determinismE0ELb1ELb1ES3_N6thrust23THRUST_200600_302600_NS6detail15normal_iteratorINS9_10device_ptrIfEEEENS9_16discard_iteratorINS9_11use_defaultEEEf11max_functorIfEfEEDaPvRmT3_T4_T5_mT6_P12ihipStream_tbENKUlT_T0_E_clISt17integral_constantIbLb0EESX_EEDaSS_ST_EUlSS_E_NS1_11comp_targetILNS1_3genE3ELNS1_11target_archE908ELNS1_3gpuE7ELNS1_3repE0EEENS1_30default_config_static_selectorELNS0_4arch9wavefront6targetE1EEEvT1_,comdat
.Lfunc_end3209:
	.size	_ZN7rocprim17ROCPRIM_400000_NS6detail17trampoline_kernelINS0_14default_configENS1_20scan_config_selectorIfEEZZNS1_9scan_implILNS1_25lookback_scan_determinismE0ELb1ELb1ES3_N6thrust23THRUST_200600_302600_NS6detail15normal_iteratorINS9_10device_ptrIfEEEENS9_16discard_iteratorINS9_11use_defaultEEEf11max_functorIfEfEEDaPvRmT3_T4_T5_mT6_P12ihipStream_tbENKUlT_T0_E_clISt17integral_constantIbLb0EESX_EEDaSS_ST_EUlSS_E_NS1_11comp_targetILNS1_3genE3ELNS1_11target_archE908ELNS1_3gpuE7ELNS1_3repE0EEENS1_30default_config_static_selectorELNS0_4arch9wavefront6targetE1EEEvT1_, .Lfunc_end3209-_ZN7rocprim17ROCPRIM_400000_NS6detail17trampoline_kernelINS0_14default_configENS1_20scan_config_selectorIfEEZZNS1_9scan_implILNS1_25lookback_scan_determinismE0ELb1ELb1ES3_N6thrust23THRUST_200600_302600_NS6detail15normal_iteratorINS9_10device_ptrIfEEEENS9_16discard_iteratorINS9_11use_defaultEEEf11max_functorIfEfEEDaPvRmT3_T4_T5_mT6_P12ihipStream_tbENKUlT_T0_E_clISt17integral_constantIbLb0EESX_EEDaSS_ST_EUlSS_E_NS1_11comp_targetILNS1_3genE3ELNS1_11target_archE908ELNS1_3gpuE7ELNS1_3repE0EEENS1_30default_config_static_selectorELNS0_4arch9wavefront6targetE1EEEvT1_
                                        ; -- End function
	.section	.AMDGPU.csdata,"",@progbits
; Kernel info:
; codeLenInByte = 0
; NumSgprs: 4
; NumVgprs: 0
; NumAgprs: 0
; TotalNumVgprs: 0
; ScratchSize: 0
; MemoryBound: 0
; FloatMode: 240
; IeeeMode: 1
; LDSByteSize: 0 bytes/workgroup (compile time only)
; SGPRBlocks: 0
; VGPRBlocks: 0
; NumSGPRsForWavesPerEU: 4
; NumVGPRsForWavesPerEU: 1
; AccumOffset: 4
; Occupancy: 8
; WaveLimiterHint : 0
; COMPUTE_PGM_RSRC2:SCRATCH_EN: 0
; COMPUTE_PGM_RSRC2:USER_SGPR: 6
; COMPUTE_PGM_RSRC2:TRAP_HANDLER: 0
; COMPUTE_PGM_RSRC2:TGID_X_EN: 1
; COMPUTE_PGM_RSRC2:TGID_Y_EN: 0
; COMPUTE_PGM_RSRC2:TGID_Z_EN: 0
; COMPUTE_PGM_RSRC2:TIDIG_COMP_CNT: 0
; COMPUTE_PGM_RSRC3_GFX90A:ACCUM_OFFSET: 0
; COMPUTE_PGM_RSRC3_GFX90A:TG_SPLIT: 0
	.section	.text._ZN7rocprim17ROCPRIM_400000_NS6detail17trampoline_kernelINS0_14default_configENS1_20scan_config_selectorIfEEZZNS1_9scan_implILNS1_25lookback_scan_determinismE0ELb1ELb1ES3_N6thrust23THRUST_200600_302600_NS6detail15normal_iteratorINS9_10device_ptrIfEEEENS9_16discard_iteratorINS9_11use_defaultEEEf11max_functorIfEfEEDaPvRmT3_T4_T5_mT6_P12ihipStream_tbENKUlT_T0_E_clISt17integral_constantIbLb0EESX_EEDaSS_ST_EUlSS_E_NS1_11comp_targetILNS1_3genE2ELNS1_11target_archE906ELNS1_3gpuE6ELNS1_3repE0EEENS1_30default_config_static_selectorELNS0_4arch9wavefront6targetE1EEEvT1_,"axG",@progbits,_ZN7rocprim17ROCPRIM_400000_NS6detail17trampoline_kernelINS0_14default_configENS1_20scan_config_selectorIfEEZZNS1_9scan_implILNS1_25lookback_scan_determinismE0ELb1ELb1ES3_N6thrust23THRUST_200600_302600_NS6detail15normal_iteratorINS9_10device_ptrIfEEEENS9_16discard_iteratorINS9_11use_defaultEEEf11max_functorIfEfEEDaPvRmT3_T4_T5_mT6_P12ihipStream_tbENKUlT_T0_E_clISt17integral_constantIbLb0EESX_EEDaSS_ST_EUlSS_E_NS1_11comp_targetILNS1_3genE2ELNS1_11target_archE906ELNS1_3gpuE6ELNS1_3repE0EEENS1_30default_config_static_selectorELNS0_4arch9wavefront6targetE1EEEvT1_,comdat
	.protected	_ZN7rocprim17ROCPRIM_400000_NS6detail17trampoline_kernelINS0_14default_configENS1_20scan_config_selectorIfEEZZNS1_9scan_implILNS1_25lookback_scan_determinismE0ELb1ELb1ES3_N6thrust23THRUST_200600_302600_NS6detail15normal_iteratorINS9_10device_ptrIfEEEENS9_16discard_iteratorINS9_11use_defaultEEEf11max_functorIfEfEEDaPvRmT3_T4_T5_mT6_P12ihipStream_tbENKUlT_T0_E_clISt17integral_constantIbLb0EESX_EEDaSS_ST_EUlSS_E_NS1_11comp_targetILNS1_3genE2ELNS1_11target_archE906ELNS1_3gpuE6ELNS1_3repE0EEENS1_30default_config_static_selectorELNS0_4arch9wavefront6targetE1EEEvT1_ ; -- Begin function _ZN7rocprim17ROCPRIM_400000_NS6detail17trampoline_kernelINS0_14default_configENS1_20scan_config_selectorIfEEZZNS1_9scan_implILNS1_25lookback_scan_determinismE0ELb1ELb1ES3_N6thrust23THRUST_200600_302600_NS6detail15normal_iteratorINS9_10device_ptrIfEEEENS9_16discard_iteratorINS9_11use_defaultEEEf11max_functorIfEfEEDaPvRmT3_T4_T5_mT6_P12ihipStream_tbENKUlT_T0_E_clISt17integral_constantIbLb0EESX_EEDaSS_ST_EUlSS_E_NS1_11comp_targetILNS1_3genE2ELNS1_11target_archE906ELNS1_3gpuE6ELNS1_3repE0EEENS1_30default_config_static_selectorELNS0_4arch9wavefront6targetE1EEEvT1_
	.globl	_ZN7rocprim17ROCPRIM_400000_NS6detail17trampoline_kernelINS0_14default_configENS1_20scan_config_selectorIfEEZZNS1_9scan_implILNS1_25lookback_scan_determinismE0ELb1ELb1ES3_N6thrust23THRUST_200600_302600_NS6detail15normal_iteratorINS9_10device_ptrIfEEEENS9_16discard_iteratorINS9_11use_defaultEEEf11max_functorIfEfEEDaPvRmT3_T4_T5_mT6_P12ihipStream_tbENKUlT_T0_E_clISt17integral_constantIbLb0EESX_EEDaSS_ST_EUlSS_E_NS1_11comp_targetILNS1_3genE2ELNS1_11target_archE906ELNS1_3gpuE6ELNS1_3repE0EEENS1_30default_config_static_selectorELNS0_4arch9wavefront6targetE1EEEvT1_
	.p2align	8
	.type	_ZN7rocprim17ROCPRIM_400000_NS6detail17trampoline_kernelINS0_14default_configENS1_20scan_config_selectorIfEEZZNS1_9scan_implILNS1_25lookback_scan_determinismE0ELb1ELb1ES3_N6thrust23THRUST_200600_302600_NS6detail15normal_iteratorINS9_10device_ptrIfEEEENS9_16discard_iteratorINS9_11use_defaultEEEf11max_functorIfEfEEDaPvRmT3_T4_T5_mT6_P12ihipStream_tbENKUlT_T0_E_clISt17integral_constantIbLb0EESX_EEDaSS_ST_EUlSS_E_NS1_11comp_targetILNS1_3genE2ELNS1_11target_archE906ELNS1_3gpuE6ELNS1_3repE0EEENS1_30default_config_static_selectorELNS0_4arch9wavefront6targetE1EEEvT1_,@function
_ZN7rocprim17ROCPRIM_400000_NS6detail17trampoline_kernelINS0_14default_configENS1_20scan_config_selectorIfEEZZNS1_9scan_implILNS1_25lookback_scan_determinismE0ELb1ELb1ES3_N6thrust23THRUST_200600_302600_NS6detail15normal_iteratorINS9_10device_ptrIfEEEENS9_16discard_iteratorINS9_11use_defaultEEEf11max_functorIfEfEEDaPvRmT3_T4_T5_mT6_P12ihipStream_tbENKUlT_T0_E_clISt17integral_constantIbLb0EESX_EEDaSS_ST_EUlSS_E_NS1_11comp_targetILNS1_3genE2ELNS1_11target_archE906ELNS1_3gpuE6ELNS1_3repE0EEENS1_30default_config_static_selectorELNS0_4arch9wavefront6targetE1EEEvT1_: ; @_ZN7rocprim17ROCPRIM_400000_NS6detail17trampoline_kernelINS0_14default_configENS1_20scan_config_selectorIfEEZZNS1_9scan_implILNS1_25lookback_scan_determinismE0ELb1ELb1ES3_N6thrust23THRUST_200600_302600_NS6detail15normal_iteratorINS9_10device_ptrIfEEEENS9_16discard_iteratorINS9_11use_defaultEEEf11max_functorIfEfEEDaPvRmT3_T4_T5_mT6_P12ihipStream_tbENKUlT_T0_E_clISt17integral_constantIbLb0EESX_EEDaSS_ST_EUlSS_E_NS1_11comp_targetILNS1_3genE2ELNS1_11target_archE906ELNS1_3gpuE6ELNS1_3repE0EEENS1_30default_config_static_selectorELNS0_4arch9wavefront6targetE1EEEvT1_
; %bb.0:
	.section	.rodata,"a",@progbits
	.p2align	6, 0x0
	.amdhsa_kernel _ZN7rocprim17ROCPRIM_400000_NS6detail17trampoline_kernelINS0_14default_configENS1_20scan_config_selectorIfEEZZNS1_9scan_implILNS1_25lookback_scan_determinismE0ELb1ELb1ES3_N6thrust23THRUST_200600_302600_NS6detail15normal_iteratorINS9_10device_ptrIfEEEENS9_16discard_iteratorINS9_11use_defaultEEEf11max_functorIfEfEEDaPvRmT3_T4_T5_mT6_P12ihipStream_tbENKUlT_T0_E_clISt17integral_constantIbLb0EESX_EEDaSS_ST_EUlSS_E_NS1_11comp_targetILNS1_3genE2ELNS1_11target_archE906ELNS1_3gpuE6ELNS1_3repE0EEENS1_30default_config_static_selectorELNS0_4arch9wavefront6targetE1EEEvT1_
		.amdhsa_group_segment_fixed_size 0
		.amdhsa_private_segment_fixed_size 0
		.amdhsa_kernarg_size 104
		.amdhsa_user_sgpr_count 6
		.amdhsa_user_sgpr_private_segment_buffer 1
		.amdhsa_user_sgpr_dispatch_ptr 0
		.amdhsa_user_sgpr_queue_ptr 0
		.amdhsa_user_sgpr_kernarg_segment_ptr 1
		.amdhsa_user_sgpr_dispatch_id 0
		.amdhsa_user_sgpr_flat_scratch_init 0
		.amdhsa_user_sgpr_kernarg_preload_length 0
		.amdhsa_user_sgpr_kernarg_preload_offset 0
		.amdhsa_user_sgpr_private_segment_size 0
		.amdhsa_uses_dynamic_stack 0
		.amdhsa_system_sgpr_private_segment_wavefront_offset 0
		.amdhsa_system_sgpr_workgroup_id_x 1
		.amdhsa_system_sgpr_workgroup_id_y 0
		.amdhsa_system_sgpr_workgroup_id_z 0
		.amdhsa_system_sgpr_workgroup_info 0
		.amdhsa_system_vgpr_workitem_id 0
		.amdhsa_next_free_vgpr 1
		.amdhsa_next_free_sgpr 0
		.amdhsa_accum_offset 4
		.amdhsa_reserve_vcc 0
		.amdhsa_reserve_flat_scratch 0
		.amdhsa_float_round_mode_32 0
		.amdhsa_float_round_mode_16_64 0
		.amdhsa_float_denorm_mode_32 3
		.amdhsa_float_denorm_mode_16_64 3
		.amdhsa_dx10_clamp 1
		.amdhsa_ieee_mode 1
		.amdhsa_fp16_overflow 0
		.amdhsa_tg_split 0
		.amdhsa_exception_fp_ieee_invalid_op 0
		.amdhsa_exception_fp_denorm_src 0
		.amdhsa_exception_fp_ieee_div_zero 0
		.amdhsa_exception_fp_ieee_overflow 0
		.amdhsa_exception_fp_ieee_underflow 0
		.amdhsa_exception_fp_ieee_inexact 0
		.amdhsa_exception_int_div_zero 0
	.end_amdhsa_kernel
	.section	.text._ZN7rocprim17ROCPRIM_400000_NS6detail17trampoline_kernelINS0_14default_configENS1_20scan_config_selectorIfEEZZNS1_9scan_implILNS1_25lookback_scan_determinismE0ELb1ELb1ES3_N6thrust23THRUST_200600_302600_NS6detail15normal_iteratorINS9_10device_ptrIfEEEENS9_16discard_iteratorINS9_11use_defaultEEEf11max_functorIfEfEEDaPvRmT3_T4_T5_mT6_P12ihipStream_tbENKUlT_T0_E_clISt17integral_constantIbLb0EESX_EEDaSS_ST_EUlSS_E_NS1_11comp_targetILNS1_3genE2ELNS1_11target_archE906ELNS1_3gpuE6ELNS1_3repE0EEENS1_30default_config_static_selectorELNS0_4arch9wavefront6targetE1EEEvT1_,"axG",@progbits,_ZN7rocprim17ROCPRIM_400000_NS6detail17trampoline_kernelINS0_14default_configENS1_20scan_config_selectorIfEEZZNS1_9scan_implILNS1_25lookback_scan_determinismE0ELb1ELb1ES3_N6thrust23THRUST_200600_302600_NS6detail15normal_iteratorINS9_10device_ptrIfEEEENS9_16discard_iteratorINS9_11use_defaultEEEf11max_functorIfEfEEDaPvRmT3_T4_T5_mT6_P12ihipStream_tbENKUlT_T0_E_clISt17integral_constantIbLb0EESX_EEDaSS_ST_EUlSS_E_NS1_11comp_targetILNS1_3genE2ELNS1_11target_archE906ELNS1_3gpuE6ELNS1_3repE0EEENS1_30default_config_static_selectorELNS0_4arch9wavefront6targetE1EEEvT1_,comdat
.Lfunc_end3210:
	.size	_ZN7rocprim17ROCPRIM_400000_NS6detail17trampoline_kernelINS0_14default_configENS1_20scan_config_selectorIfEEZZNS1_9scan_implILNS1_25lookback_scan_determinismE0ELb1ELb1ES3_N6thrust23THRUST_200600_302600_NS6detail15normal_iteratorINS9_10device_ptrIfEEEENS9_16discard_iteratorINS9_11use_defaultEEEf11max_functorIfEfEEDaPvRmT3_T4_T5_mT6_P12ihipStream_tbENKUlT_T0_E_clISt17integral_constantIbLb0EESX_EEDaSS_ST_EUlSS_E_NS1_11comp_targetILNS1_3genE2ELNS1_11target_archE906ELNS1_3gpuE6ELNS1_3repE0EEENS1_30default_config_static_selectorELNS0_4arch9wavefront6targetE1EEEvT1_, .Lfunc_end3210-_ZN7rocprim17ROCPRIM_400000_NS6detail17trampoline_kernelINS0_14default_configENS1_20scan_config_selectorIfEEZZNS1_9scan_implILNS1_25lookback_scan_determinismE0ELb1ELb1ES3_N6thrust23THRUST_200600_302600_NS6detail15normal_iteratorINS9_10device_ptrIfEEEENS9_16discard_iteratorINS9_11use_defaultEEEf11max_functorIfEfEEDaPvRmT3_T4_T5_mT6_P12ihipStream_tbENKUlT_T0_E_clISt17integral_constantIbLb0EESX_EEDaSS_ST_EUlSS_E_NS1_11comp_targetILNS1_3genE2ELNS1_11target_archE906ELNS1_3gpuE6ELNS1_3repE0EEENS1_30default_config_static_selectorELNS0_4arch9wavefront6targetE1EEEvT1_
                                        ; -- End function
	.section	.AMDGPU.csdata,"",@progbits
; Kernel info:
; codeLenInByte = 0
; NumSgprs: 4
; NumVgprs: 0
; NumAgprs: 0
; TotalNumVgprs: 0
; ScratchSize: 0
; MemoryBound: 0
; FloatMode: 240
; IeeeMode: 1
; LDSByteSize: 0 bytes/workgroup (compile time only)
; SGPRBlocks: 0
; VGPRBlocks: 0
; NumSGPRsForWavesPerEU: 4
; NumVGPRsForWavesPerEU: 1
; AccumOffset: 4
; Occupancy: 8
; WaveLimiterHint : 0
; COMPUTE_PGM_RSRC2:SCRATCH_EN: 0
; COMPUTE_PGM_RSRC2:USER_SGPR: 6
; COMPUTE_PGM_RSRC2:TRAP_HANDLER: 0
; COMPUTE_PGM_RSRC2:TGID_X_EN: 1
; COMPUTE_PGM_RSRC2:TGID_Y_EN: 0
; COMPUTE_PGM_RSRC2:TGID_Z_EN: 0
; COMPUTE_PGM_RSRC2:TIDIG_COMP_CNT: 0
; COMPUTE_PGM_RSRC3_GFX90A:ACCUM_OFFSET: 0
; COMPUTE_PGM_RSRC3_GFX90A:TG_SPLIT: 0
	.section	.text._ZN7rocprim17ROCPRIM_400000_NS6detail17trampoline_kernelINS0_14default_configENS1_20scan_config_selectorIfEEZZNS1_9scan_implILNS1_25lookback_scan_determinismE0ELb1ELb1ES3_N6thrust23THRUST_200600_302600_NS6detail15normal_iteratorINS9_10device_ptrIfEEEENS9_16discard_iteratorINS9_11use_defaultEEEf11max_functorIfEfEEDaPvRmT3_T4_T5_mT6_P12ihipStream_tbENKUlT_T0_E_clISt17integral_constantIbLb0EESX_EEDaSS_ST_EUlSS_E_NS1_11comp_targetILNS1_3genE10ELNS1_11target_archE1201ELNS1_3gpuE5ELNS1_3repE0EEENS1_30default_config_static_selectorELNS0_4arch9wavefront6targetE1EEEvT1_,"axG",@progbits,_ZN7rocprim17ROCPRIM_400000_NS6detail17trampoline_kernelINS0_14default_configENS1_20scan_config_selectorIfEEZZNS1_9scan_implILNS1_25lookback_scan_determinismE0ELb1ELb1ES3_N6thrust23THRUST_200600_302600_NS6detail15normal_iteratorINS9_10device_ptrIfEEEENS9_16discard_iteratorINS9_11use_defaultEEEf11max_functorIfEfEEDaPvRmT3_T4_T5_mT6_P12ihipStream_tbENKUlT_T0_E_clISt17integral_constantIbLb0EESX_EEDaSS_ST_EUlSS_E_NS1_11comp_targetILNS1_3genE10ELNS1_11target_archE1201ELNS1_3gpuE5ELNS1_3repE0EEENS1_30default_config_static_selectorELNS0_4arch9wavefront6targetE1EEEvT1_,comdat
	.protected	_ZN7rocprim17ROCPRIM_400000_NS6detail17trampoline_kernelINS0_14default_configENS1_20scan_config_selectorIfEEZZNS1_9scan_implILNS1_25lookback_scan_determinismE0ELb1ELb1ES3_N6thrust23THRUST_200600_302600_NS6detail15normal_iteratorINS9_10device_ptrIfEEEENS9_16discard_iteratorINS9_11use_defaultEEEf11max_functorIfEfEEDaPvRmT3_T4_T5_mT6_P12ihipStream_tbENKUlT_T0_E_clISt17integral_constantIbLb0EESX_EEDaSS_ST_EUlSS_E_NS1_11comp_targetILNS1_3genE10ELNS1_11target_archE1201ELNS1_3gpuE5ELNS1_3repE0EEENS1_30default_config_static_selectorELNS0_4arch9wavefront6targetE1EEEvT1_ ; -- Begin function _ZN7rocprim17ROCPRIM_400000_NS6detail17trampoline_kernelINS0_14default_configENS1_20scan_config_selectorIfEEZZNS1_9scan_implILNS1_25lookback_scan_determinismE0ELb1ELb1ES3_N6thrust23THRUST_200600_302600_NS6detail15normal_iteratorINS9_10device_ptrIfEEEENS9_16discard_iteratorINS9_11use_defaultEEEf11max_functorIfEfEEDaPvRmT3_T4_T5_mT6_P12ihipStream_tbENKUlT_T0_E_clISt17integral_constantIbLb0EESX_EEDaSS_ST_EUlSS_E_NS1_11comp_targetILNS1_3genE10ELNS1_11target_archE1201ELNS1_3gpuE5ELNS1_3repE0EEENS1_30default_config_static_selectorELNS0_4arch9wavefront6targetE1EEEvT1_
	.globl	_ZN7rocprim17ROCPRIM_400000_NS6detail17trampoline_kernelINS0_14default_configENS1_20scan_config_selectorIfEEZZNS1_9scan_implILNS1_25lookback_scan_determinismE0ELb1ELb1ES3_N6thrust23THRUST_200600_302600_NS6detail15normal_iteratorINS9_10device_ptrIfEEEENS9_16discard_iteratorINS9_11use_defaultEEEf11max_functorIfEfEEDaPvRmT3_T4_T5_mT6_P12ihipStream_tbENKUlT_T0_E_clISt17integral_constantIbLb0EESX_EEDaSS_ST_EUlSS_E_NS1_11comp_targetILNS1_3genE10ELNS1_11target_archE1201ELNS1_3gpuE5ELNS1_3repE0EEENS1_30default_config_static_selectorELNS0_4arch9wavefront6targetE1EEEvT1_
	.p2align	8
	.type	_ZN7rocprim17ROCPRIM_400000_NS6detail17trampoline_kernelINS0_14default_configENS1_20scan_config_selectorIfEEZZNS1_9scan_implILNS1_25lookback_scan_determinismE0ELb1ELb1ES3_N6thrust23THRUST_200600_302600_NS6detail15normal_iteratorINS9_10device_ptrIfEEEENS9_16discard_iteratorINS9_11use_defaultEEEf11max_functorIfEfEEDaPvRmT3_T4_T5_mT6_P12ihipStream_tbENKUlT_T0_E_clISt17integral_constantIbLb0EESX_EEDaSS_ST_EUlSS_E_NS1_11comp_targetILNS1_3genE10ELNS1_11target_archE1201ELNS1_3gpuE5ELNS1_3repE0EEENS1_30default_config_static_selectorELNS0_4arch9wavefront6targetE1EEEvT1_,@function
_ZN7rocprim17ROCPRIM_400000_NS6detail17trampoline_kernelINS0_14default_configENS1_20scan_config_selectorIfEEZZNS1_9scan_implILNS1_25lookback_scan_determinismE0ELb1ELb1ES3_N6thrust23THRUST_200600_302600_NS6detail15normal_iteratorINS9_10device_ptrIfEEEENS9_16discard_iteratorINS9_11use_defaultEEEf11max_functorIfEfEEDaPvRmT3_T4_T5_mT6_P12ihipStream_tbENKUlT_T0_E_clISt17integral_constantIbLb0EESX_EEDaSS_ST_EUlSS_E_NS1_11comp_targetILNS1_3genE10ELNS1_11target_archE1201ELNS1_3gpuE5ELNS1_3repE0EEENS1_30default_config_static_selectorELNS0_4arch9wavefront6targetE1EEEvT1_: ; @_ZN7rocprim17ROCPRIM_400000_NS6detail17trampoline_kernelINS0_14default_configENS1_20scan_config_selectorIfEEZZNS1_9scan_implILNS1_25lookback_scan_determinismE0ELb1ELb1ES3_N6thrust23THRUST_200600_302600_NS6detail15normal_iteratorINS9_10device_ptrIfEEEENS9_16discard_iteratorINS9_11use_defaultEEEf11max_functorIfEfEEDaPvRmT3_T4_T5_mT6_P12ihipStream_tbENKUlT_T0_E_clISt17integral_constantIbLb0EESX_EEDaSS_ST_EUlSS_E_NS1_11comp_targetILNS1_3genE10ELNS1_11target_archE1201ELNS1_3gpuE5ELNS1_3repE0EEENS1_30default_config_static_selectorELNS0_4arch9wavefront6targetE1EEEvT1_
; %bb.0:
	.section	.rodata,"a",@progbits
	.p2align	6, 0x0
	.amdhsa_kernel _ZN7rocprim17ROCPRIM_400000_NS6detail17trampoline_kernelINS0_14default_configENS1_20scan_config_selectorIfEEZZNS1_9scan_implILNS1_25lookback_scan_determinismE0ELb1ELb1ES3_N6thrust23THRUST_200600_302600_NS6detail15normal_iteratorINS9_10device_ptrIfEEEENS9_16discard_iteratorINS9_11use_defaultEEEf11max_functorIfEfEEDaPvRmT3_T4_T5_mT6_P12ihipStream_tbENKUlT_T0_E_clISt17integral_constantIbLb0EESX_EEDaSS_ST_EUlSS_E_NS1_11comp_targetILNS1_3genE10ELNS1_11target_archE1201ELNS1_3gpuE5ELNS1_3repE0EEENS1_30default_config_static_selectorELNS0_4arch9wavefront6targetE1EEEvT1_
		.amdhsa_group_segment_fixed_size 0
		.amdhsa_private_segment_fixed_size 0
		.amdhsa_kernarg_size 104
		.amdhsa_user_sgpr_count 6
		.amdhsa_user_sgpr_private_segment_buffer 1
		.amdhsa_user_sgpr_dispatch_ptr 0
		.amdhsa_user_sgpr_queue_ptr 0
		.amdhsa_user_sgpr_kernarg_segment_ptr 1
		.amdhsa_user_sgpr_dispatch_id 0
		.amdhsa_user_sgpr_flat_scratch_init 0
		.amdhsa_user_sgpr_kernarg_preload_length 0
		.amdhsa_user_sgpr_kernarg_preload_offset 0
		.amdhsa_user_sgpr_private_segment_size 0
		.amdhsa_uses_dynamic_stack 0
		.amdhsa_system_sgpr_private_segment_wavefront_offset 0
		.amdhsa_system_sgpr_workgroup_id_x 1
		.amdhsa_system_sgpr_workgroup_id_y 0
		.amdhsa_system_sgpr_workgroup_id_z 0
		.amdhsa_system_sgpr_workgroup_info 0
		.amdhsa_system_vgpr_workitem_id 0
		.amdhsa_next_free_vgpr 1
		.amdhsa_next_free_sgpr 0
		.amdhsa_accum_offset 4
		.amdhsa_reserve_vcc 0
		.amdhsa_reserve_flat_scratch 0
		.amdhsa_float_round_mode_32 0
		.amdhsa_float_round_mode_16_64 0
		.amdhsa_float_denorm_mode_32 3
		.amdhsa_float_denorm_mode_16_64 3
		.amdhsa_dx10_clamp 1
		.amdhsa_ieee_mode 1
		.amdhsa_fp16_overflow 0
		.amdhsa_tg_split 0
		.amdhsa_exception_fp_ieee_invalid_op 0
		.amdhsa_exception_fp_denorm_src 0
		.amdhsa_exception_fp_ieee_div_zero 0
		.amdhsa_exception_fp_ieee_overflow 0
		.amdhsa_exception_fp_ieee_underflow 0
		.amdhsa_exception_fp_ieee_inexact 0
		.amdhsa_exception_int_div_zero 0
	.end_amdhsa_kernel
	.section	.text._ZN7rocprim17ROCPRIM_400000_NS6detail17trampoline_kernelINS0_14default_configENS1_20scan_config_selectorIfEEZZNS1_9scan_implILNS1_25lookback_scan_determinismE0ELb1ELb1ES3_N6thrust23THRUST_200600_302600_NS6detail15normal_iteratorINS9_10device_ptrIfEEEENS9_16discard_iteratorINS9_11use_defaultEEEf11max_functorIfEfEEDaPvRmT3_T4_T5_mT6_P12ihipStream_tbENKUlT_T0_E_clISt17integral_constantIbLb0EESX_EEDaSS_ST_EUlSS_E_NS1_11comp_targetILNS1_3genE10ELNS1_11target_archE1201ELNS1_3gpuE5ELNS1_3repE0EEENS1_30default_config_static_selectorELNS0_4arch9wavefront6targetE1EEEvT1_,"axG",@progbits,_ZN7rocprim17ROCPRIM_400000_NS6detail17trampoline_kernelINS0_14default_configENS1_20scan_config_selectorIfEEZZNS1_9scan_implILNS1_25lookback_scan_determinismE0ELb1ELb1ES3_N6thrust23THRUST_200600_302600_NS6detail15normal_iteratorINS9_10device_ptrIfEEEENS9_16discard_iteratorINS9_11use_defaultEEEf11max_functorIfEfEEDaPvRmT3_T4_T5_mT6_P12ihipStream_tbENKUlT_T0_E_clISt17integral_constantIbLb0EESX_EEDaSS_ST_EUlSS_E_NS1_11comp_targetILNS1_3genE10ELNS1_11target_archE1201ELNS1_3gpuE5ELNS1_3repE0EEENS1_30default_config_static_selectorELNS0_4arch9wavefront6targetE1EEEvT1_,comdat
.Lfunc_end3211:
	.size	_ZN7rocprim17ROCPRIM_400000_NS6detail17trampoline_kernelINS0_14default_configENS1_20scan_config_selectorIfEEZZNS1_9scan_implILNS1_25lookback_scan_determinismE0ELb1ELb1ES3_N6thrust23THRUST_200600_302600_NS6detail15normal_iteratorINS9_10device_ptrIfEEEENS9_16discard_iteratorINS9_11use_defaultEEEf11max_functorIfEfEEDaPvRmT3_T4_T5_mT6_P12ihipStream_tbENKUlT_T0_E_clISt17integral_constantIbLb0EESX_EEDaSS_ST_EUlSS_E_NS1_11comp_targetILNS1_3genE10ELNS1_11target_archE1201ELNS1_3gpuE5ELNS1_3repE0EEENS1_30default_config_static_selectorELNS0_4arch9wavefront6targetE1EEEvT1_, .Lfunc_end3211-_ZN7rocprim17ROCPRIM_400000_NS6detail17trampoline_kernelINS0_14default_configENS1_20scan_config_selectorIfEEZZNS1_9scan_implILNS1_25lookback_scan_determinismE0ELb1ELb1ES3_N6thrust23THRUST_200600_302600_NS6detail15normal_iteratorINS9_10device_ptrIfEEEENS9_16discard_iteratorINS9_11use_defaultEEEf11max_functorIfEfEEDaPvRmT3_T4_T5_mT6_P12ihipStream_tbENKUlT_T0_E_clISt17integral_constantIbLb0EESX_EEDaSS_ST_EUlSS_E_NS1_11comp_targetILNS1_3genE10ELNS1_11target_archE1201ELNS1_3gpuE5ELNS1_3repE0EEENS1_30default_config_static_selectorELNS0_4arch9wavefront6targetE1EEEvT1_
                                        ; -- End function
	.section	.AMDGPU.csdata,"",@progbits
; Kernel info:
; codeLenInByte = 0
; NumSgprs: 4
; NumVgprs: 0
; NumAgprs: 0
; TotalNumVgprs: 0
; ScratchSize: 0
; MemoryBound: 0
; FloatMode: 240
; IeeeMode: 1
; LDSByteSize: 0 bytes/workgroup (compile time only)
; SGPRBlocks: 0
; VGPRBlocks: 0
; NumSGPRsForWavesPerEU: 4
; NumVGPRsForWavesPerEU: 1
; AccumOffset: 4
; Occupancy: 8
; WaveLimiterHint : 0
; COMPUTE_PGM_RSRC2:SCRATCH_EN: 0
; COMPUTE_PGM_RSRC2:USER_SGPR: 6
; COMPUTE_PGM_RSRC2:TRAP_HANDLER: 0
; COMPUTE_PGM_RSRC2:TGID_X_EN: 1
; COMPUTE_PGM_RSRC2:TGID_Y_EN: 0
; COMPUTE_PGM_RSRC2:TGID_Z_EN: 0
; COMPUTE_PGM_RSRC2:TIDIG_COMP_CNT: 0
; COMPUTE_PGM_RSRC3_GFX90A:ACCUM_OFFSET: 0
; COMPUTE_PGM_RSRC3_GFX90A:TG_SPLIT: 0
	.section	.text._ZN7rocprim17ROCPRIM_400000_NS6detail17trampoline_kernelINS0_14default_configENS1_20scan_config_selectorIfEEZZNS1_9scan_implILNS1_25lookback_scan_determinismE0ELb1ELb1ES3_N6thrust23THRUST_200600_302600_NS6detail15normal_iteratorINS9_10device_ptrIfEEEENS9_16discard_iteratorINS9_11use_defaultEEEf11max_functorIfEfEEDaPvRmT3_T4_T5_mT6_P12ihipStream_tbENKUlT_T0_E_clISt17integral_constantIbLb0EESX_EEDaSS_ST_EUlSS_E_NS1_11comp_targetILNS1_3genE10ELNS1_11target_archE1200ELNS1_3gpuE4ELNS1_3repE0EEENS1_30default_config_static_selectorELNS0_4arch9wavefront6targetE1EEEvT1_,"axG",@progbits,_ZN7rocprim17ROCPRIM_400000_NS6detail17trampoline_kernelINS0_14default_configENS1_20scan_config_selectorIfEEZZNS1_9scan_implILNS1_25lookback_scan_determinismE0ELb1ELb1ES3_N6thrust23THRUST_200600_302600_NS6detail15normal_iteratorINS9_10device_ptrIfEEEENS9_16discard_iteratorINS9_11use_defaultEEEf11max_functorIfEfEEDaPvRmT3_T4_T5_mT6_P12ihipStream_tbENKUlT_T0_E_clISt17integral_constantIbLb0EESX_EEDaSS_ST_EUlSS_E_NS1_11comp_targetILNS1_3genE10ELNS1_11target_archE1200ELNS1_3gpuE4ELNS1_3repE0EEENS1_30default_config_static_selectorELNS0_4arch9wavefront6targetE1EEEvT1_,comdat
	.protected	_ZN7rocprim17ROCPRIM_400000_NS6detail17trampoline_kernelINS0_14default_configENS1_20scan_config_selectorIfEEZZNS1_9scan_implILNS1_25lookback_scan_determinismE0ELb1ELb1ES3_N6thrust23THRUST_200600_302600_NS6detail15normal_iteratorINS9_10device_ptrIfEEEENS9_16discard_iteratorINS9_11use_defaultEEEf11max_functorIfEfEEDaPvRmT3_T4_T5_mT6_P12ihipStream_tbENKUlT_T0_E_clISt17integral_constantIbLb0EESX_EEDaSS_ST_EUlSS_E_NS1_11comp_targetILNS1_3genE10ELNS1_11target_archE1200ELNS1_3gpuE4ELNS1_3repE0EEENS1_30default_config_static_selectorELNS0_4arch9wavefront6targetE1EEEvT1_ ; -- Begin function _ZN7rocprim17ROCPRIM_400000_NS6detail17trampoline_kernelINS0_14default_configENS1_20scan_config_selectorIfEEZZNS1_9scan_implILNS1_25lookback_scan_determinismE0ELb1ELb1ES3_N6thrust23THRUST_200600_302600_NS6detail15normal_iteratorINS9_10device_ptrIfEEEENS9_16discard_iteratorINS9_11use_defaultEEEf11max_functorIfEfEEDaPvRmT3_T4_T5_mT6_P12ihipStream_tbENKUlT_T0_E_clISt17integral_constantIbLb0EESX_EEDaSS_ST_EUlSS_E_NS1_11comp_targetILNS1_3genE10ELNS1_11target_archE1200ELNS1_3gpuE4ELNS1_3repE0EEENS1_30default_config_static_selectorELNS0_4arch9wavefront6targetE1EEEvT1_
	.globl	_ZN7rocprim17ROCPRIM_400000_NS6detail17trampoline_kernelINS0_14default_configENS1_20scan_config_selectorIfEEZZNS1_9scan_implILNS1_25lookback_scan_determinismE0ELb1ELb1ES3_N6thrust23THRUST_200600_302600_NS6detail15normal_iteratorINS9_10device_ptrIfEEEENS9_16discard_iteratorINS9_11use_defaultEEEf11max_functorIfEfEEDaPvRmT3_T4_T5_mT6_P12ihipStream_tbENKUlT_T0_E_clISt17integral_constantIbLb0EESX_EEDaSS_ST_EUlSS_E_NS1_11comp_targetILNS1_3genE10ELNS1_11target_archE1200ELNS1_3gpuE4ELNS1_3repE0EEENS1_30default_config_static_selectorELNS0_4arch9wavefront6targetE1EEEvT1_
	.p2align	8
	.type	_ZN7rocprim17ROCPRIM_400000_NS6detail17trampoline_kernelINS0_14default_configENS1_20scan_config_selectorIfEEZZNS1_9scan_implILNS1_25lookback_scan_determinismE0ELb1ELb1ES3_N6thrust23THRUST_200600_302600_NS6detail15normal_iteratorINS9_10device_ptrIfEEEENS9_16discard_iteratorINS9_11use_defaultEEEf11max_functorIfEfEEDaPvRmT3_T4_T5_mT6_P12ihipStream_tbENKUlT_T0_E_clISt17integral_constantIbLb0EESX_EEDaSS_ST_EUlSS_E_NS1_11comp_targetILNS1_3genE10ELNS1_11target_archE1200ELNS1_3gpuE4ELNS1_3repE0EEENS1_30default_config_static_selectorELNS0_4arch9wavefront6targetE1EEEvT1_,@function
_ZN7rocprim17ROCPRIM_400000_NS6detail17trampoline_kernelINS0_14default_configENS1_20scan_config_selectorIfEEZZNS1_9scan_implILNS1_25lookback_scan_determinismE0ELb1ELb1ES3_N6thrust23THRUST_200600_302600_NS6detail15normal_iteratorINS9_10device_ptrIfEEEENS9_16discard_iteratorINS9_11use_defaultEEEf11max_functorIfEfEEDaPvRmT3_T4_T5_mT6_P12ihipStream_tbENKUlT_T0_E_clISt17integral_constantIbLb0EESX_EEDaSS_ST_EUlSS_E_NS1_11comp_targetILNS1_3genE10ELNS1_11target_archE1200ELNS1_3gpuE4ELNS1_3repE0EEENS1_30default_config_static_selectorELNS0_4arch9wavefront6targetE1EEEvT1_: ; @_ZN7rocprim17ROCPRIM_400000_NS6detail17trampoline_kernelINS0_14default_configENS1_20scan_config_selectorIfEEZZNS1_9scan_implILNS1_25lookback_scan_determinismE0ELb1ELb1ES3_N6thrust23THRUST_200600_302600_NS6detail15normal_iteratorINS9_10device_ptrIfEEEENS9_16discard_iteratorINS9_11use_defaultEEEf11max_functorIfEfEEDaPvRmT3_T4_T5_mT6_P12ihipStream_tbENKUlT_T0_E_clISt17integral_constantIbLb0EESX_EEDaSS_ST_EUlSS_E_NS1_11comp_targetILNS1_3genE10ELNS1_11target_archE1200ELNS1_3gpuE4ELNS1_3repE0EEENS1_30default_config_static_selectorELNS0_4arch9wavefront6targetE1EEEvT1_
; %bb.0:
	.section	.rodata,"a",@progbits
	.p2align	6, 0x0
	.amdhsa_kernel _ZN7rocprim17ROCPRIM_400000_NS6detail17trampoline_kernelINS0_14default_configENS1_20scan_config_selectorIfEEZZNS1_9scan_implILNS1_25lookback_scan_determinismE0ELb1ELb1ES3_N6thrust23THRUST_200600_302600_NS6detail15normal_iteratorINS9_10device_ptrIfEEEENS9_16discard_iteratorINS9_11use_defaultEEEf11max_functorIfEfEEDaPvRmT3_T4_T5_mT6_P12ihipStream_tbENKUlT_T0_E_clISt17integral_constantIbLb0EESX_EEDaSS_ST_EUlSS_E_NS1_11comp_targetILNS1_3genE10ELNS1_11target_archE1200ELNS1_3gpuE4ELNS1_3repE0EEENS1_30default_config_static_selectorELNS0_4arch9wavefront6targetE1EEEvT1_
		.amdhsa_group_segment_fixed_size 0
		.amdhsa_private_segment_fixed_size 0
		.amdhsa_kernarg_size 104
		.amdhsa_user_sgpr_count 6
		.amdhsa_user_sgpr_private_segment_buffer 1
		.amdhsa_user_sgpr_dispatch_ptr 0
		.amdhsa_user_sgpr_queue_ptr 0
		.amdhsa_user_sgpr_kernarg_segment_ptr 1
		.amdhsa_user_sgpr_dispatch_id 0
		.amdhsa_user_sgpr_flat_scratch_init 0
		.amdhsa_user_sgpr_kernarg_preload_length 0
		.amdhsa_user_sgpr_kernarg_preload_offset 0
		.amdhsa_user_sgpr_private_segment_size 0
		.amdhsa_uses_dynamic_stack 0
		.amdhsa_system_sgpr_private_segment_wavefront_offset 0
		.amdhsa_system_sgpr_workgroup_id_x 1
		.amdhsa_system_sgpr_workgroup_id_y 0
		.amdhsa_system_sgpr_workgroup_id_z 0
		.amdhsa_system_sgpr_workgroup_info 0
		.amdhsa_system_vgpr_workitem_id 0
		.amdhsa_next_free_vgpr 1
		.amdhsa_next_free_sgpr 0
		.amdhsa_accum_offset 4
		.amdhsa_reserve_vcc 0
		.amdhsa_reserve_flat_scratch 0
		.amdhsa_float_round_mode_32 0
		.amdhsa_float_round_mode_16_64 0
		.amdhsa_float_denorm_mode_32 3
		.amdhsa_float_denorm_mode_16_64 3
		.amdhsa_dx10_clamp 1
		.amdhsa_ieee_mode 1
		.amdhsa_fp16_overflow 0
		.amdhsa_tg_split 0
		.amdhsa_exception_fp_ieee_invalid_op 0
		.amdhsa_exception_fp_denorm_src 0
		.amdhsa_exception_fp_ieee_div_zero 0
		.amdhsa_exception_fp_ieee_overflow 0
		.amdhsa_exception_fp_ieee_underflow 0
		.amdhsa_exception_fp_ieee_inexact 0
		.amdhsa_exception_int_div_zero 0
	.end_amdhsa_kernel
	.section	.text._ZN7rocprim17ROCPRIM_400000_NS6detail17trampoline_kernelINS0_14default_configENS1_20scan_config_selectorIfEEZZNS1_9scan_implILNS1_25lookback_scan_determinismE0ELb1ELb1ES3_N6thrust23THRUST_200600_302600_NS6detail15normal_iteratorINS9_10device_ptrIfEEEENS9_16discard_iteratorINS9_11use_defaultEEEf11max_functorIfEfEEDaPvRmT3_T4_T5_mT6_P12ihipStream_tbENKUlT_T0_E_clISt17integral_constantIbLb0EESX_EEDaSS_ST_EUlSS_E_NS1_11comp_targetILNS1_3genE10ELNS1_11target_archE1200ELNS1_3gpuE4ELNS1_3repE0EEENS1_30default_config_static_selectorELNS0_4arch9wavefront6targetE1EEEvT1_,"axG",@progbits,_ZN7rocprim17ROCPRIM_400000_NS6detail17trampoline_kernelINS0_14default_configENS1_20scan_config_selectorIfEEZZNS1_9scan_implILNS1_25lookback_scan_determinismE0ELb1ELb1ES3_N6thrust23THRUST_200600_302600_NS6detail15normal_iteratorINS9_10device_ptrIfEEEENS9_16discard_iteratorINS9_11use_defaultEEEf11max_functorIfEfEEDaPvRmT3_T4_T5_mT6_P12ihipStream_tbENKUlT_T0_E_clISt17integral_constantIbLb0EESX_EEDaSS_ST_EUlSS_E_NS1_11comp_targetILNS1_3genE10ELNS1_11target_archE1200ELNS1_3gpuE4ELNS1_3repE0EEENS1_30default_config_static_selectorELNS0_4arch9wavefront6targetE1EEEvT1_,comdat
.Lfunc_end3212:
	.size	_ZN7rocprim17ROCPRIM_400000_NS6detail17trampoline_kernelINS0_14default_configENS1_20scan_config_selectorIfEEZZNS1_9scan_implILNS1_25lookback_scan_determinismE0ELb1ELb1ES3_N6thrust23THRUST_200600_302600_NS6detail15normal_iteratorINS9_10device_ptrIfEEEENS9_16discard_iteratorINS9_11use_defaultEEEf11max_functorIfEfEEDaPvRmT3_T4_T5_mT6_P12ihipStream_tbENKUlT_T0_E_clISt17integral_constantIbLb0EESX_EEDaSS_ST_EUlSS_E_NS1_11comp_targetILNS1_3genE10ELNS1_11target_archE1200ELNS1_3gpuE4ELNS1_3repE0EEENS1_30default_config_static_selectorELNS0_4arch9wavefront6targetE1EEEvT1_, .Lfunc_end3212-_ZN7rocprim17ROCPRIM_400000_NS6detail17trampoline_kernelINS0_14default_configENS1_20scan_config_selectorIfEEZZNS1_9scan_implILNS1_25lookback_scan_determinismE0ELb1ELb1ES3_N6thrust23THRUST_200600_302600_NS6detail15normal_iteratorINS9_10device_ptrIfEEEENS9_16discard_iteratorINS9_11use_defaultEEEf11max_functorIfEfEEDaPvRmT3_T4_T5_mT6_P12ihipStream_tbENKUlT_T0_E_clISt17integral_constantIbLb0EESX_EEDaSS_ST_EUlSS_E_NS1_11comp_targetILNS1_3genE10ELNS1_11target_archE1200ELNS1_3gpuE4ELNS1_3repE0EEENS1_30default_config_static_selectorELNS0_4arch9wavefront6targetE1EEEvT1_
                                        ; -- End function
	.section	.AMDGPU.csdata,"",@progbits
; Kernel info:
; codeLenInByte = 0
; NumSgprs: 4
; NumVgprs: 0
; NumAgprs: 0
; TotalNumVgprs: 0
; ScratchSize: 0
; MemoryBound: 0
; FloatMode: 240
; IeeeMode: 1
; LDSByteSize: 0 bytes/workgroup (compile time only)
; SGPRBlocks: 0
; VGPRBlocks: 0
; NumSGPRsForWavesPerEU: 4
; NumVGPRsForWavesPerEU: 1
; AccumOffset: 4
; Occupancy: 8
; WaveLimiterHint : 0
; COMPUTE_PGM_RSRC2:SCRATCH_EN: 0
; COMPUTE_PGM_RSRC2:USER_SGPR: 6
; COMPUTE_PGM_RSRC2:TRAP_HANDLER: 0
; COMPUTE_PGM_RSRC2:TGID_X_EN: 1
; COMPUTE_PGM_RSRC2:TGID_Y_EN: 0
; COMPUTE_PGM_RSRC2:TGID_Z_EN: 0
; COMPUTE_PGM_RSRC2:TIDIG_COMP_CNT: 0
; COMPUTE_PGM_RSRC3_GFX90A:ACCUM_OFFSET: 0
; COMPUTE_PGM_RSRC3_GFX90A:TG_SPLIT: 0
	.section	.text._ZN7rocprim17ROCPRIM_400000_NS6detail17trampoline_kernelINS0_14default_configENS1_20scan_config_selectorIfEEZZNS1_9scan_implILNS1_25lookback_scan_determinismE0ELb1ELb1ES3_N6thrust23THRUST_200600_302600_NS6detail15normal_iteratorINS9_10device_ptrIfEEEENS9_16discard_iteratorINS9_11use_defaultEEEf11max_functorIfEfEEDaPvRmT3_T4_T5_mT6_P12ihipStream_tbENKUlT_T0_E_clISt17integral_constantIbLb0EESX_EEDaSS_ST_EUlSS_E_NS1_11comp_targetILNS1_3genE9ELNS1_11target_archE1100ELNS1_3gpuE3ELNS1_3repE0EEENS1_30default_config_static_selectorELNS0_4arch9wavefront6targetE1EEEvT1_,"axG",@progbits,_ZN7rocprim17ROCPRIM_400000_NS6detail17trampoline_kernelINS0_14default_configENS1_20scan_config_selectorIfEEZZNS1_9scan_implILNS1_25lookback_scan_determinismE0ELb1ELb1ES3_N6thrust23THRUST_200600_302600_NS6detail15normal_iteratorINS9_10device_ptrIfEEEENS9_16discard_iteratorINS9_11use_defaultEEEf11max_functorIfEfEEDaPvRmT3_T4_T5_mT6_P12ihipStream_tbENKUlT_T0_E_clISt17integral_constantIbLb0EESX_EEDaSS_ST_EUlSS_E_NS1_11comp_targetILNS1_3genE9ELNS1_11target_archE1100ELNS1_3gpuE3ELNS1_3repE0EEENS1_30default_config_static_selectorELNS0_4arch9wavefront6targetE1EEEvT1_,comdat
	.protected	_ZN7rocprim17ROCPRIM_400000_NS6detail17trampoline_kernelINS0_14default_configENS1_20scan_config_selectorIfEEZZNS1_9scan_implILNS1_25lookback_scan_determinismE0ELb1ELb1ES3_N6thrust23THRUST_200600_302600_NS6detail15normal_iteratorINS9_10device_ptrIfEEEENS9_16discard_iteratorINS9_11use_defaultEEEf11max_functorIfEfEEDaPvRmT3_T4_T5_mT6_P12ihipStream_tbENKUlT_T0_E_clISt17integral_constantIbLb0EESX_EEDaSS_ST_EUlSS_E_NS1_11comp_targetILNS1_3genE9ELNS1_11target_archE1100ELNS1_3gpuE3ELNS1_3repE0EEENS1_30default_config_static_selectorELNS0_4arch9wavefront6targetE1EEEvT1_ ; -- Begin function _ZN7rocprim17ROCPRIM_400000_NS6detail17trampoline_kernelINS0_14default_configENS1_20scan_config_selectorIfEEZZNS1_9scan_implILNS1_25lookback_scan_determinismE0ELb1ELb1ES3_N6thrust23THRUST_200600_302600_NS6detail15normal_iteratorINS9_10device_ptrIfEEEENS9_16discard_iteratorINS9_11use_defaultEEEf11max_functorIfEfEEDaPvRmT3_T4_T5_mT6_P12ihipStream_tbENKUlT_T0_E_clISt17integral_constantIbLb0EESX_EEDaSS_ST_EUlSS_E_NS1_11comp_targetILNS1_3genE9ELNS1_11target_archE1100ELNS1_3gpuE3ELNS1_3repE0EEENS1_30default_config_static_selectorELNS0_4arch9wavefront6targetE1EEEvT1_
	.globl	_ZN7rocprim17ROCPRIM_400000_NS6detail17trampoline_kernelINS0_14default_configENS1_20scan_config_selectorIfEEZZNS1_9scan_implILNS1_25lookback_scan_determinismE0ELb1ELb1ES3_N6thrust23THRUST_200600_302600_NS6detail15normal_iteratorINS9_10device_ptrIfEEEENS9_16discard_iteratorINS9_11use_defaultEEEf11max_functorIfEfEEDaPvRmT3_T4_T5_mT6_P12ihipStream_tbENKUlT_T0_E_clISt17integral_constantIbLb0EESX_EEDaSS_ST_EUlSS_E_NS1_11comp_targetILNS1_3genE9ELNS1_11target_archE1100ELNS1_3gpuE3ELNS1_3repE0EEENS1_30default_config_static_selectorELNS0_4arch9wavefront6targetE1EEEvT1_
	.p2align	8
	.type	_ZN7rocprim17ROCPRIM_400000_NS6detail17trampoline_kernelINS0_14default_configENS1_20scan_config_selectorIfEEZZNS1_9scan_implILNS1_25lookback_scan_determinismE0ELb1ELb1ES3_N6thrust23THRUST_200600_302600_NS6detail15normal_iteratorINS9_10device_ptrIfEEEENS9_16discard_iteratorINS9_11use_defaultEEEf11max_functorIfEfEEDaPvRmT3_T4_T5_mT6_P12ihipStream_tbENKUlT_T0_E_clISt17integral_constantIbLb0EESX_EEDaSS_ST_EUlSS_E_NS1_11comp_targetILNS1_3genE9ELNS1_11target_archE1100ELNS1_3gpuE3ELNS1_3repE0EEENS1_30default_config_static_selectorELNS0_4arch9wavefront6targetE1EEEvT1_,@function
_ZN7rocprim17ROCPRIM_400000_NS6detail17trampoline_kernelINS0_14default_configENS1_20scan_config_selectorIfEEZZNS1_9scan_implILNS1_25lookback_scan_determinismE0ELb1ELb1ES3_N6thrust23THRUST_200600_302600_NS6detail15normal_iteratorINS9_10device_ptrIfEEEENS9_16discard_iteratorINS9_11use_defaultEEEf11max_functorIfEfEEDaPvRmT3_T4_T5_mT6_P12ihipStream_tbENKUlT_T0_E_clISt17integral_constantIbLb0EESX_EEDaSS_ST_EUlSS_E_NS1_11comp_targetILNS1_3genE9ELNS1_11target_archE1100ELNS1_3gpuE3ELNS1_3repE0EEENS1_30default_config_static_selectorELNS0_4arch9wavefront6targetE1EEEvT1_: ; @_ZN7rocprim17ROCPRIM_400000_NS6detail17trampoline_kernelINS0_14default_configENS1_20scan_config_selectorIfEEZZNS1_9scan_implILNS1_25lookback_scan_determinismE0ELb1ELb1ES3_N6thrust23THRUST_200600_302600_NS6detail15normal_iteratorINS9_10device_ptrIfEEEENS9_16discard_iteratorINS9_11use_defaultEEEf11max_functorIfEfEEDaPvRmT3_T4_T5_mT6_P12ihipStream_tbENKUlT_T0_E_clISt17integral_constantIbLb0EESX_EEDaSS_ST_EUlSS_E_NS1_11comp_targetILNS1_3genE9ELNS1_11target_archE1100ELNS1_3gpuE3ELNS1_3repE0EEENS1_30default_config_static_selectorELNS0_4arch9wavefront6targetE1EEEvT1_
; %bb.0:
	.section	.rodata,"a",@progbits
	.p2align	6, 0x0
	.amdhsa_kernel _ZN7rocprim17ROCPRIM_400000_NS6detail17trampoline_kernelINS0_14default_configENS1_20scan_config_selectorIfEEZZNS1_9scan_implILNS1_25lookback_scan_determinismE0ELb1ELb1ES3_N6thrust23THRUST_200600_302600_NS6detail15normal_iteratorINS9_10device_ptrIfEEEENS9_16discard_iteratorINS9_11use_defaultEEEf11max_functorIfEfEEDaPvRmT3_T4_T5_mT6_P12ihipStream_tbENKUlT_T0_E_clISt17integral_constantIbLb0EESX_EEDaSS_ST_EUlSS_E_NS1_11comp_targetILNS1_3genE9ELNS1_11target_archE1100ELNS1_3gpuE3ELNS1_3repE0EEENS1_30default_config_static_selectorELNS0_4arch9wavefront6targetE1EEEvT1_
		.amdhsa_group_segment_fixed_size 0
		.amdhsa_private_segment_fixed_size 0
		.amdhsa_kernarg_size 104
		.amdhsa_user_sgpr_count 6
		.amdhsa_user_sgpr_private_segment_buffer 1
		.amdhsa_user_sgpr_dispatch_ptr 0
		.amdhsa_user_sgpr_queue_ptr 0
		.amdhsa_user_sgpr_kernarg_segment_ptr 1
		.amdhsa_user_sgpr_dispatch_id 0
		.amdhsa_user_sgpr_flat_scratch_init 0
		.amdhsa_user_sgpr_kernarg_preload_length 0
		.amdhsa_user_sgpr_kernarg_preload_offset 0
		.amdhsa_user_sgpr_private_segment_size 0
		.amdhsa_uses_dynamic_stack 0
		.amdhsa_system_sgpr_private_segment_wavefront_offset 0
		.amdhsa_system_sgpr_workgroup_id_x 1
		.amdhsa_system_sgpr_workgroup_id_y 0
		.amdhsa_system_sgpr_workgroup_id_z 0
		.amdhsa_system_sgpr_workgroup_info 0
		.amdhsa_system_vgpr_workitem_id 0
		.amdhsa_next_free_vgpr 1
		.amdhsa_next_free_sgpr 0
		.amdhsa_accum_offset 4
		.amdhsa_reserve_vcc 0
		.amdhsa_reserve_flat_scratch 0
		.amdhsa_float_round_mode_32 0
		.amdhsa_float_round_mode_16_64 0
		.amdhsa_float_denorm_mode_32 3
		.amdhsa_float_denorm_mode_16_64 3
		.amdhsa_dx10_clamp 1
		.amdhsa_ieee_mode 1
		.amdhsa_fp16_overflow 0
		.amdhsa_tg_split 0
		.amdhsa_exception_fp_ieee_invalid_op 0
		.amdhsa_exception_fp_denorm_src 0
		.amdhsa_exception_fp_ieee_div_zero 0
		.amdhsa_exception_fp_ieee_overflow 0
		.amdhsa_exception_fp_ieee_underflow 0
		.amdhsa_exception_fp_ieee_inexact 0
		.amdhsa_exception_int_div_zero 0
	.end_amdhsa_kernel
	.section	.text._ZN7rocprim17ROCPRIM_400000_NS6detail17trampoline_kernelINS0_14default_configENS1_20scan_config_selectorIfEEZZNS1_9scan_implILNS1_25lookback_scan_determinismE0ELb1ELb1ES3_N6thrust23THRUST_200600_302600_NS6detail15normal_iteratorINS9_10device_ptrIfEEEENS9_16discard_iteratorINS9_11use_defaultEEEf11max_functorIfEfEEDaPvRmT3_T4_T5_mT6_P12ihipStream_tbENKUlT_T0_E_clISt17integral_constantIbLb0EESX_EEDaSS_ST_EUlSS_E_NS1_11comp_targetILNS1_3genE9ELNS1_11target_archE1100ELNS1_3gpuE3ELNS1_3repE0EEENS1_30default_config_static_selectorELNS0_4arch9wavefront6targetE1EEEvT1_,"axG",@progbits,_ZN7rocprim17ROCPRIM_400000_NS6detail17trampoline_kernelINS0_14default_configENS1_20scan_config_selectorIfEEZZNS1_9scan_implILNS1_25lookback_scan_determinismE0ELb1ELb1ES3_N6thrust23THRUST_200600_302600_NS6detail15normal_iteratorINS9_10device_ptrIfEEEENS9_16discard_iteratorINS9_11use_defaultEEEf11max_functorIfEfEEDaPvRmT3_T4_T5_mT6_P12ihipStream_tbENKUlT_T0_E_clISt17integral_constantIbLb0EESX_EEDaSS_ST_EUlSS_E_NS1_11comp_targetILNS1_3genE9ELNS1_11target_archE1100ELNS1_3gpuE3ELNS1_3repE0EEENS1_30default_config_static_selectorELNS0_4arch9wavefront6targetE1EEEvT1_,comdat
.Lfunc_end3213:
	.size	_ZN7rocprim17ROCPRIM_400000_NS6detail17trampoline_kernelINS0_14default_configENS1_20scan_config_selectorIfEEZZNS1_9scan_implILNS1_25lookback_scan_determinismE0ELb1ELb1ES3_N6thrust23THRUST_200600_302600_NS6detail15normal_iteratorINS9_10device_ptrIfEEEENS9_16discard_iteratorINS9_11use_defaultEEEf11max_functorIfEfEEDaPvRmT3_T4_T5_mT6_P12ihipStream_tbENKUlT_T0_E_clISt17integral_constantIbLb0EESX_EEDaSS_ST_EUlSS_E_NS1_11comp_targetILNS1_3genE9ELNS1_11target_archE1100ELNS1_3gpuE3ELNS1_3repE0EEENS1_30default_config_static_selectorELNS0_4arch9wavefront6targetE1EEEvT1_, .Lfunc_end3213-_ZN7rocprim17ROCPRIM_400000_NS6detail17trampoline_kernelINS0_14default_configENS1_20scan_config_selectorIfEEZZNS1_9scan_implILNS1_25lookback_scan_determinismE0ELb1ELb1ES3_N6thrust23THRUST_200600_302600_NS6detail15normal_iteratorINS9_10device_ptrIfEEEENS9_16discard_iteratorINS9_11use_defaultEEEf11max_functorIfEfEEDaPvRmT3_T4_T5_mT6_P12ihipStream_tbENKUlT_T0_E_clISt17integral_constantIbLb0EESX_EEDaSS_ST_EUlSS_E_NS1_11comp_targetILNS1_3genE9ELNS1_11target_archE1100ELNS1_3gpuE3ELNS1_3repE0EEENS1_30default_config_static_selectorELNS0_4arch9wavefront6targetE1EEEvT1_
                                        ; -- End function
	.section	.AMDGPU.csdata,"",@progbits
; Kernel info:
; codeLenInByte = 0
; NumSgprs: 4
; NumVgprs: 0
; NumAgprs: 0
; TotalNumVgprs: 0
; ScratchSize: 0
; MemoryBound: 0
; FloatMode: 240
; IeeeMode: 1
; LDSByteSize: 0 bytes/workgroup (compile time only)
; SGPRBlocks: 0
; VGPRBlocks: 0
; NumSGPRsForWavesPerEU: 4
; NumVGPRsForWavesPerEU: 1
; AccumOffset: 4
; Occupancy: 8
; WaveLimiterHint : 0
; COMPUTE_PGM_RSRC2:SCRATCH_EN: 0
; COMPUTE_PGM_RSRC2:USER_SGPR: 6
; COMPUTE_PGM_RSRC2:TRAP_HANDLER: 0
; COMPUTE_PGM_RSRC2:TGID_X_EN: 1
; COMPUTE_PGM_RSRC2:TGID_Y_EN: 0
; COMPUTE_PGM_RSRC2:TGID_Z_EN: 0
; COMPUTE_PGM_RSRC2:TIDIG_COMP_CNT: 0
; COMPUTE_PGM_RSRC3_GFX90A:ACCUM_OFFSET: 0
; COMPUTE_PGM_RSRC3_GFX90A:TG_SPLIT: 0
	.section	.text._ZN7rocprim17ROCPRIM_400000_NS6detail17trampoline_kernelINS0_14default_configENS1_20scan_config_selectorIfEEZZNS1_9scan_implILNS1_25lookback_scan_determinismE0ELb1ELb1ES3_N6thrust23THRUST_200600_302600_NS6detail15normal_iteratorINS9_10device_ptrIfEEEENS9_16discard_iteratorINS9_11use_defaultEEEf11max_functorIfEfEEDaPvRmT3_T4_T5_mT6_P12ihipStream_tbENKUlT_T0_E_clISt17integral_constantIbLb0EESX_EEDaSS_ST_EUlSS_E_NS1_11comp_targetILNS1_3genE8ELNS1_11target_archE1030ELNS1_3gpuE2ELNS1_3repE0EEENS1_30default_config_static_selectorELNS0_4arch9wavefront6targetE1EEEvT1_,"axG",@progbits,_ZN7rocprim17ROCPRIM_400000_NS6detail17trampoline_kernelINS0_14default_configENS1_20scan_config_selectorIfEEZZNS1_9scan_implILNS1_25lookback_scan_determinismE0ELb1ELb1ES3_N6thrust23THRUST_200600_302600_NS6detail15normal_iteratorINS9_10device_ptrIfEEEENS9_16discard_iteratorINS9_11use_defaultEEEf11max_functorIfEfEEDaPvRmT3_T4_T5_mT6_P12ihipStream_tbENKUlT_T0_E_clISt17integral_constantIbLb0EESX_EEDaSS_ST_EUlSS_E_NS1_11comp_targetILNS1_3genE8ELNS1_11target_archE1030ELNS1_3gpuE2ELNS1_3repE0EEENS1_30default_config_static_selectorELNS0_4arch9wavefront6targetE1EEEvT1_,comdat
	.protected	_ZN7rocprim17ROCPRIM_400000_NS6detail17trampoline_kernelINS0_14default_configENS1_20scan_config_selectorIfEEZZNS1_9scan_implILNS1_25lookback_scan_determinismE0ELb1ELb1ES3_N6thrust23THRUST_200600_302600_NS6detail15normal_iteratorINS9_10device_ptrIfEEEENS9_16discard_iteratorINS9_11use_defaultEEEf11max_functorIfEfEEDaPvRmT3_T4_T5_mT6_P12ihipStream_tbENKUlT_T0_E_clISt17integral_constantIbLb0EESX_EEDaSS_ST_EUlSS_E_NS1_11comp_targetILNS1_3genE8ELNS1_11target_archE1030ELNS1_3gpuE2ELNS1_3repE0EEENS1_30default_config_static_selectorELNS0_4arch9wavefront6targetE1EEEvT1_ ; -- Begin function _ZN7rocprim17ROCPRIM_400000_NS6detail17trampoline_kernelINS0_14default_configENS1_20scan_config_selectorIfEEZZNS1_9scan_implILNS1_25lookback_scan_determinismE0ELb1ELb1ES3_N6thrust23THRUST_200600_302600_NS6detail15normal_iteratorINS9_10device_ptrIfEEEENS9_16discard_iteratorINS9_11use_defaultEEEf11max_functorIfEfEEDaPvRmT3_T4_T5_mT6_P12ihipStream_tbENKUlT_T0_E_clISt17integral_constantIbLb0EESX_EEDaSS_ST_EUlSS_E_NS1_11comp_targetILNS1_3genE8ELNS1_11target_archE1030ELNS1_3gpuE2ELNS1_3repE0EEENS1_30default_config_static_selectorELNS0_4arch9wavefront6targetE1EEEvT1_
	.globl	_ZN7rocprim17ROCPRIM_400000_NS6detail17trampoline_kernelINS0_14default_configENS1_20scan_config_selectorIfEEZZNS1_9scan_implILNS1_25lookback_scan_determinismE0ELb1ELb1ES3_N6thrust23THRUST_200600_302600_NS6detail15normal_iteratorINS9_10device_ptrIfEEEENS9_16discard_iteratorINS9_11use_defaultEEEf11max_functorIfEfEEDaPvRmT3_T4_T5_mT6_P12ihipStream_tbENKUlT_T0_E_clISt17integral_constantIbLb0EESX_EEDaSS_ST_EUlSS_E_NS1_11comp_targetILNS1_3genE8ELNS1_11target_archE1030ELNS1_3gpuE2ELNS1_3repE0EEENS1_30default_config_static_selectorELNS0_4arch9wavefront6targetE1EEEvT1_
	.p2align	8
	.type	_ZN7rocprim17ROCPRIM_400000_NS6detail17trampoline_kernelINS0_14default_configENS1_20scan_config_selectorIfEEZZNS1_9scan_implILNS1_25lookback_scan_determinismE0ELb1ELb1ES3_N6thrust23THRUST_200600_302600_NS6detail15normal_iteratorINS9_10device_ptrIfEEEENS9_16discard_iteratorINS9_11use_defaultEEEf11max_functorIfEfEEDaPvRmT3_T4_T5_mT6_P12ihipStream_tbENKUlT_T0_E_clISt17integral_constantIbLb0EESX_EEDaSS_ST_EUlSS_E_NS1_11comp_targetILNS1_3genE8ELNS1_11target_archE1030ELNS1_3gpuE2ELNS1_3repE0EEENS1_30default_config_static_selectorELNS0_4arch9wavefront6targetE1EEEvT1_,@function
_ZN7rocprim17ROCPRIM_400000_NS6detail17trampoline_kernelINS0_14default_configENS1_20scan_config_selectorIfEEZZNS1_9scan_implILNS1_25lookback_scan_determinismE0ELb1ELb1ES3_N6thrust23THRUST_200600_302600_NS6detail15normal_iteratorINS9_10device_ptrIfEEEENS9_16discard_iteratorINS9_11use_defaultEEEf11max_functorIfEfEEDaPvRmT3_T4_T5_mT6_P12ihipStream_tbENKUlT_T0_E_clISt17integral_constantIbLb0EESX_EEDaSS_ST_EUlSS_E_NS1_11comp_targetILNS1_3genE8ELNS1_11target_archE1030ELNS1_3gpuE2ELNS1_3repE0EEENS1_30default_config_static_selectorELNS0_4arch9wavefront6targetE1EEEvT1_: ; @_ZN7rocprim17ROCPRIM_400000_NS6detail17trampoline_kernelINS0_14default_configENS1_20scan_config_selectorIfEEZZNS1_9scan_implILNS1_25lookback_scan_determinismE0ELb1ELb1ES3_N6thrust23THRUST_200600_302600_NS6detail15normal_iteratorINS9_10device_ptrIfEEEENS9_16discard_iteratorINS9_11use_defaultEEEf11max_functorIfEfEEDaPvRmT3_T4_T5_mT6_P12ihipStream_tbENKUlT_T0_E_clISt17integral_constantIbLb0EESX_EEDaSS_ST_EUlSS_E_NS1_11comp_targetILNS1_3genE8ELNS1_11target_archE1030ELNS1_3gpuE2ELNS1_3repE0EEENS1_30default_config_static_selectorELNS0_4arch9wavefront6targetE1EEEvT1_
; %bb.0:
	.section	.rodata,"a",@progbits
	.p2align	6, 0x0
	.amdhsa_kernel _ZN7rocprim17ROCPRIM_400000_NS6detail17trampoline_kernelINS0_14default_configENS1_20scan_config_selectorIfEEZZNS1_9scan_implILNS1_25lookback_scan_determinismE0ELb1ELb1ES3_N6thrust23THRUST_200600_302600_NS6detail15normal_iteratorINS9_10device_ptrIfEEEENS9_16discard_iteratorINS9_11use_defaultEEEf11max_functorIfEfEEDaPvRmT3_T4_T5_mT6_P12ihipStream_tbENKUlT_T0_E_clISt17integral_constantIbLb0EESX_EEDaSS_ST_EUlSS_E_NS1_11comp_targetILNS1_3genE8ELNS1_11target_archE1030ELNS1_3gpuE2ELNS1_3repE0EEENS1_30default_config_static_selectorELNS0_4arch9wavefront6targetE1EEEvT1_
		.amdhsa_group_segment_fixed_size 0
		.amdhsa_private_segment_fixed_size 0
		.amdhsa_kernarg_size 104
		.amdhsa_user_sgpr_count 6
		.amdhsa_user_sgpr_private_segment_buffer 1
		.amdhsa_user_sgpr_dispatch_ptr 0
		.amdhsa_user_sgpr_queue_ptr 0
		.amdhsa_user_sgpr_kernarg_segment_ptr 1
		.amdhsa_user_sgpr_dispatch_id 0
		.amdhsa_user_sgpr_flat_scratch_init 0
		.amdhsa_user_sgpr_kernarg_preload_length 0
		.amdhsa_user_sgpr_kernarg_preload_offset 0
		.amdhsa_user_sgpr_private_segment_size 0
		.amdhsa_uses_dynamic_stack 0
		.amdhsa_system_sgpr_private_segment_wavefront_offset 0
		.amdhsa_system_sgpr_workgroup_id_x 1
		.amdhsa_system_sgpr_workgroup_id_y 0
		.amdhsa_system_sgpr_workgroup_id_z 0
		.amdhsa_system_sgpr_workgroup_info 0
		.amdhsa_system_vgpr_workitem_id 0
		.amdhsa_next_free_vgpr 1
		.amdhsa_next_free_sgpr 0
		.amdhsa_accum_offset 4
		.amdhsa_reserve_vcc 0
		.amdhsa_reserve_flat_scratch 0
		.amdhsa_float_round_mode_32 0
		.amdhsa_float_round_mode_16_64 0
		.amdhsa_float_denorm_mode_32 3
		.amdhsa_float_denorm_mode_16_64 3
		.amdhsa_dx10_clamp 1
		.amdhsa_ieee_mode 1
		.amdhsa_fp16_overflow 0
		.amdhsa_tg_split 0
		.amdhsa_exception_fp_ieee_invalid_op 0
		.amdhsa_exception_fp_denorm_src 0
		.amdhsa_exception_fp_ieee_div_zero 0
		.amdhsa_exception_fp_ieee_overflow 0
		.amdhsa_exception_fp_ieee_underflow 0
		.amdhsa_exception_fp_ieee_inexact 0
		.amdhsa_exception_int_div_zero 0
	.end_amdhsa_kernel
	.section	.text._ZN7rocprim17ROCPRIM_400000_NS6detail17trampoline_kernelINS0_14default_configENS1_20scan_config_selectorIfEEZZNS1_9scan_implILNS1_25lookback_scan_determinismE0ELb1ELb1ES3_N6thrust23THRUST_200600_302600_NS6detail15normal_iteratorINS9_10device_ptrIfEEEENS9_16discard_iteratorINS9_11use_defaultEEEf11max_functorIfEfEEDaPvRmT3_T4_T5_mT6_P12ihipStream_tbENKUlT_T0_E_clISt17integral_constantIbLb0EESX_EEDaSS_ST_EUlSS_E_NS1_11comp_targetILNS1_3genE8ELNS1_11target_archE1030ELNS1_3gpuE2ELNS1_3repE0EEENS1_30default_config_static_selectorELNS0_4arch9wavefront6targetE1EEEvT1_,"axG",@progbits,_ZN7rocprim17ROCPRIM_400000_NS6detail17trampoline_kernelINS0_14default_configENS1_20scan_config_selectorIfEEZZNS1_9scan_implILNS1_25lookback_scan_determinismE0ELb1ELb1ES3_N6thrust23THRUST_200600_302600_NS6detail15normal_iteratorINS9_10device_ptrIfEEEENS9_16discard_iteratorINS9_11use_defaultEEEf11max_functorIfEfEEDaPvRmT3_T4_T5_mT6_P12ihipStream_tbENKUlT_T0_E_clISt17integral_constantIbLb0EESX_EEDaSS_ST_EUlSS_E_NS1_11comp_targetILNS1_3genE8ELNS1_11target_archE1030ELNS1_3gpuE2ELNS1_3repE0EEENS1_30default_config_static_selectorELNS0_4arch9wavefront6targetE1EEEvT1_,comdat
.Lfunc_end3214:
	.size	_ZN7rocprim17ROCPRIM_400000_NS6detail17trampoline_kernelINS0_14default_configENS1_20scan_config_selectorIfEEZZNS1_9scan_implILNS1_25lookback_scan_determinismE0ELb1ELb1ES3_N6thrust23THRUST_200600_302600_NS6detail15normal_iteratorINS9_10device_ptrIfEEEENS9_16discard_iteratorINS9_11use_defaultEEEf11max_functorIfEfEEDaPvRmT3_T4_T5_mT6_P12ihipStream_tbENKUlT_T0_E_clISt17integral_constantIbLb0EESX_EEDaSS_ST_EUlSS_E_NS1_11comp_targetILNS1_3genE8ELNS1_11target_archE1030ELNS1_3gpuE2ELNS1_3repE0EEENS1_30default_config_static_selectorELNS0_4arch9wavefront6targetE1EEEvT1_, .Lfunc_end3214-_ZN7rocprim17ROCPRIM_400000_NS6detail17trampoline_kernelINS0_14default_configENS1_20scan_config_selectorIfEEZZNS1_9scan_implILNS1_25lookback_scan_determinismE0ELb1ELb1ES3_N6thrust23THRUST_200600_302600_NS6detail15normal_iteratorINS9_10device_ptrIfEEEENS9_16discard_iteratorINS9_11use_defaultEEEf11max_functorIfEfEEDaPvRmT3_T4_T5_mT6_P12ihipStream_tbENKUlT_T0_E_clISt17integral_constantIbLb0EESX_EEDaSS_ST_EUlSS_E_NS1_11comp_targetILNS1_3genE8ELNS1_11target_archE1030ELNS1_3gpuE2ELNS1_3repE0EEENS1_30default_config_static_selectorELNS0_4arch9wavefront6targetE1EEEvT1_
                                        ; -- End function
	.section	.AMDGPU.csdata,"",@progbits
; Kernel info:
; codeLenInByte = 0
; NumSgprs: 4
; NumVgprs: 0
; NumAgprs: 0
; TotalNumVgprs: 0
; ScratchSize: 0
; MemoryBound: 0
; FloatMode: 240
; IeeeMode: 1
; LDSByteSize: 0 bytes/workgroup (compile time only)
; SGPRBlocks: 0
; VGPRBlocks: 0
; NumSGPRsForWavesPerEU: 4
; NumVGPRsForWavesPerEU: 1
; AccumOffset: 4
; Occupancy: 8
; WaveLimiterHint : 0
; COMPUTE_PGM_RSRC2:SCRATCH_EN: 0
; COMPUTE_PGM_RSRC2:USER_SGPR: 6
; COMPUTE_PGM_RSRC2:TRAP_HANDLER: 0
; COMPUTE_PGM_RSRC2:TGID_X_EN: 1
; COMPUTE_PGM_RSRC2:TGID_Y_EN: 0
; COMPUTE_PGM_RSRC2:TGID_Z_EN: 0
; COMPUTE_PGM_RSRC2:TIDIG_COMP_CNT: 0
; COMPUTE_PGM_RSRC3_GFX90A:ACCUM_OFFSET: 0
; COMPUTE_PGM_RSRC3_GFX90A:TG_SPLIT: 0
	.section	.text._ZN7rocprim17ROCPRIM_400000_NS6detail17trampoline_kernelINS0_14default_configENS1_20scan_config_selectorIfEEZZNS1_9scan_implILNS1_25lookback_scan_determinismE0ELb1ELb1ES3_N6thrust23THRUST_200600_302600_NS6detail15normal_iteratorINS9_10device_ptrIfEEEENS9_16discard_iteratorINS9_11use_defaultEEEf11max_functorIfEfEEDaPvRmT3_T4_T5_mT6_P12ihipStream_tbENKUlT_T0_E_clISt17integral_constantIbLb0EESX_EEDaSS_ST_EUlSS_E0_NS1_11comp_targetILNS1_3genE0ELNS1_11target_archE4294967295ELNS1_3gpuE0ELNS1_3repE0EEENS1_30default_config_static_selectorELNS0_4arch9wavefront6targetE1EEEvT1_,"axG",@progbits,_ZN7rocprim17ROCPRIM_400000_NS6detail17trampoline_kernelINS0_14default_configENS1_20scan_config_selectorIfEEZZNS1_9scan_implILNS1_25lookback_scan_determinismE0ELb1ELb1ES3_N6thrust23THRUST_200600_302600_NS6detail15normal_iteratorINS9_10device_ptrIfEEEENS9_16discard_iteratorINS9_11use_defaultEEEf11max_functorIfEfEEDaPvRmT3_T4_T5_mT6_P12ihipStream_tbENKUlT_T0_E_clISt17integral_constantIbLb0EESX_EEDaSS_ST_EUlSS_E0_NS1_11comp_targetILNS1_3genE0ELNS1_11target_archE4294967295ELNS1_3gpuE0ELNS1_3repE0EEENS1_30default_config_static_selectorELNS0_4arch9wavefront6targetE1EEEvT1_,comdat
	.protected	_ZN7rocprim17ROCPRIM_400000_NS6detail17trampoline_kernelINS0_14default_configENS1_20scan_config_selectorIfEEZZNS1_9scan_implILNS1_25lookback_scan_determinismE0ELb1ELb1ES3_N6thrust23THRUST_200600_302600_NS6detail15normal_iteratorINS9_10device_ptrIfEEEENS9_16discard_iteratorINS9_11use_defaultEEEf11max_functorIfEfEEDaPvRmT3_T4_T5_mT6_P12ihipStream_tbENKUlT_T0_E_clISt17integral_constantIbLb0EESX_EEDaSS_ST_EUlSS_E0_NS1_11comp_targetILNS1_3genE0ELNS1_11target_archE4294967295ELNS1_3gpuE0ELNS1_3repE0EEENS1_30default_config_static_selectorELNS0_4arch9wavefront6targetE1EEEvT1_ ; -- Begin function _ZN7rocprim17ROCPRIM_400000_NS6detail17trampoline_kernelINS0_14default_configENS1_20scan_config_selectorIfEEZZNS1_9scan_implILNS1_25lookback_scan_determinismE0ELb1ELb1ES3_N6thrust23THRUST_200600_302600_NS6detail15normal_iteratorINS9_10device_ptrIfEEEENS9_16discard_iteratorINS9_11use_defaultEEEf11max_functorIfEfEEDaPvRmT3_T4_T5_mT6_P12ihipStream_tbENKUlT_T0_E_clISt17integral_constantIbLb0EESX_EEDaSS_ST_EUlSS_E0_NS1_11comp_targetILNS1_3genE0ELNS1_11target_archE4294967295ELNS1_3gpuE0ELNS1_3repE0EEENS1_30default_config_static_selectorELNS0_4arch9wavefront6targetE1EEEvT1_
	.globl	_ZN7rocprim17ROCPRIM_400000_NS6detail17trampoline_kernelINS0_14default_configENS1_20scan_config_selectorIfEEZZNS1_9scan_implILNS1_25lookback_scan_determinismE0ELb1ELb1ES3_N6thrust23THRUST_200600_302600_NS6detail15normal_iteratorINS9_10device_ptrIfEEEENS9_16discard_iteratorINS9_11use_defaultEEEf11max_functorIfEfEEDaPvRmT3_T4_T5_mT6_P12ihipStream_tbENKUlT_T0_E_clISt17integral_constantIbLb0EESX_EEDaSS_ST_EUlSS_E0_NS1_11comp_targetILNS1_3genE0ELNS1_11target_archE4294967295ELNS1_3gpuE0ELNS1_3repE0EEENS1_30default_config_static_selectorELNS0_4arch9wavefront6targetE1EEEvT1_
	.p2align	8
	.type	_ZN7rocprim17ROCPRIM_400000_NS6detail17trampoline_kernelINS0_14default_configENS1_20scan_config_selectorIfEEZZNS1_9scan_implILNS1_25lookback_scan_determinismE0ELb1ELb1ES3_N6thrust23THRUST_200600_302600_NS6detail15normal_iteratorINS9_10device_ptrIfEEEENS9_16discard_iteratorINS9_11use_defaultEEEf11max_functorIfEfEEDaPvRmT3_T4_T5_mT6_P12ihipStream_tbENKUlT_T0_E_clISt17integral_constantIbLb0EESX_EEDaSS_ST_EUlSS_E0_NS1_11comp_targetILNS1_3genE0ELNS1_11target_archE4294967295ELNS1_3gpuE0ELNS1_3repE0EEENS1_30default_config_static_selectorELNS0_4arch9wavefront6targetE1EEEvT1_,@function
_ZN7rocprim17ROCPRIM_400000_NS6detail17trampoline_kernelINS0_14default_configENS1_20scan_config_selectorIfEEZZNS1_9scan_implILNS1_25lookback_scan_determinismE0ELb1ELb1ES3_N6thrust23THRUST_200600_302600_NS6detail15normal_iteratorINS9_10device_ptrIfEEEENS9_16discard_iteratorINS9_11use_defaultEEEf11max_functorIfEfEEDaPvRmT3_T4_T5_mT6_P12ihipStream_tbENKUlT_T0_E_clISt17integral_constantIbLb0EESX_EEDaSS_ST_EUlSS_E0_NS1_11comp_targetILNS1_3genE0ELNS1_11target_archE4294967295ELNS1_3gpuE0ELNS1_3repE0EEENS1_30default_config_static_selectorELNS0_4arch9wavefront6targetE1EEEvT1_: ; @_ZN7rocprim17ROCPRIM_400000_NS6detail17trampoline_kernelINS0_14default_configENS1_20scan_config_selectorIfEEZZNS1_9scan_implILNS1_25lookback_scan_determinismE0ELb1ELb1ES3_N6thrust23THRUST_200600_302600_NS6detail15normal_iteratorINS9_10device_ptrIfEEEENS9_16discard_iteratorINS9_11use_defaultEEEf11max_functorIfEfEEDaPvRmT3_T4_T5_mT6_P12ihipStream_tbENKUlT_T0_E_clISt17integral_constantIbLb0EESX_EEDaSS_ST_EUlSS_E0_NS1_11comp_targetILNS1_3genE0ELNS1_11target_archE4294967295ELNS1_3gpuE0ELNS1_3repE0EEENS1_30default_config_static_selectorELNS0_4arch9wavefront6targetE1EEEvT1_
; %bb.0:
	.section	.rodata,"a",@progbits
	.p2align	6, 0x0
	.amdhsa_kernel _ZN7rocprim17ROCPRIM_400000_NS6detail17trampoline_kernelINS0_14default_configENS1_20scan_config_selectorIfEEZZNS1_9scan_implILNS1_25lookback_scan_determinismE0ELb1ELb1ES3_N6thrust23THRUST_200600_302600_NS6detail15normal_iteratorINS9_10device_ptrIfEEEENS9_16discard_iteratorINS9_11use_defaultEEEf11max_functorIfEfEEDaPvRmT3_T4_T5_mT6_P12ihipStream_tbENKUlT_T0_E_clISt17integral_constantIbLb0EESX_EEDaSS_ST_EUlSS_E0_NS1_11comp_targetILNS1_3genE0ELNS1_11target_archE4294967295ELNS1_3gpuE0ELNS1_3repE0EEENS1_30default_config_static_selectorELNS0_4arch9wavefront6targetE1EEEvT1_
		.amdhsa_group_segment_fixed_size 0
		.amdhsa_private_segment_fixed_size 0
		.amdhsa_kernarg_size 40
		.amdhsa_user_sgpr_count 6
		.amdhsa_user_sgpr_private_segment_buffer 1
		.amdhsa_user_sgpr_dispatch_ptr 0
		.amdhsa_user_sgpr_queue_ptr 0
		.amdhsa_user_sgpr_kernarg_segment_ptr 1
		.amdhsa_user_sgpr_dispatch_id 0
		.amdhsa_user_sgpr_flat_scratch_init 0
		.amdhsa_user_sgpr_kernarg_preload_length 0
		.amdhsa_user_sgpr_kernarg_preload_offset 0
		.amdhsa_user_sgpr_private_segment_size 0
		.amdhsa_uses_dynamic_stack 0
		.amdhsa_system_sgpr_private_segment_wavefront_offset 0
		.amdhsa_system_sgpr_workgroup_id_x 1
		.amdhsa_system_sgpr_workgroup_id_y 0
		.amdhsa_system_sgpr_workgroup_id_z 0
		.amdhsa_system_sgpr_workgroup_info 0
		.amdhsa_system_vgpr_workitem_id 0
		.amdhsa_next_free_vgpr 1
		.amdhsa_next_free_sgpr 0
		.amdhsa_accum_offset 4
		.amdhsa_reserve_vcc 0
		.amdhsa_reserve_flat_scratch 0
		.amdhsa_float_round_mode_32 0
		.amdhsa_float_round_mode_16_64 0
		.amdhsa_float_denorm_mode_32 3
		.amdhsa_float_denorm_mode_16_64 3
		.amdhsa_dx10_clamp 1
		.amdhsa_ieee_mode 1
		.amdhsa_fp16_overflow 0
		.amdhsa_tg_split 0
		.amdhsa_exception_fp_ieee_invalid_op 0
		.amdhsa_exception_fp_denorm_src 0
		.amdhsa_exception_fp_ieee_div_zero 0
		.amdhsa_exception_fp_ieee_overflow 0
		.amdhsa_exception_fp_ieee_underflow 0
		.amdhsa_exception_fp_ieee_inexact 0
		.amdhsa_exception_int_div_zero 0
	.end_amdhsa_kernel
	.section	.text._ZN7rocprim17ROCPRIM_400000_NS6detail17trampoline_kernelINS0_14default_configENS1_20scan_config_selectorIfEEZZNS1_9scan_implILNS1_25lookback_scan_determinismE0ELb1ELb1ES3_N6thrust23THRUST_200600_302600_NS6detail15normal_iteratorINS9_10device_ptrIfEEEENS9_16discard_iteratorINS9_11use_defaultEEEf11max_functorIfEfEEDaPvRmT3_T4_T5_mT6_P12ihipStream_tbENKUlT_T0_E_clISt17integral_constantIbLb0EESX_EEDaSS_ST_EUlSS_E0_NS1_11comp_targetILNS1_3genE0ELNS1_11target_archE4294967295ELNS1_3gpuE0ELNS1_3repE0EEENS1_30default_config_static_selectorELNS0_4arch9wavefront6targetE1EEEvT1_,"axG",@progbits,_ZN7rocprim17ROCPRIM_400000_NS6detail17trampoline_kernelINS0_14default_configENS1_20scan_config_selectorIfEEZZNS1_9scan_implILNS1_25lookback_scan_determinismE0ELb1ELb1ES3_N6thrust23THRUST_200600_302600_NS6detail15normal_iteratorINS9_10device_ptrIfEEEENS9_16discard_iteratorINS9_11use_defaultEEEf11max_functorIfEfEEDaPvRmT3_T4_T5_mT6_P12ihipStream_tbENKUlT_T0_E_clISt17integral_constantIbLb0EESX_EEDaSS_ST_EUlSS_E0_NS1_11comp_targetILNS1_3genE0ELNS1_11target_archE4294967295ELNS1_3gpuE0ELNS1_3repE0EEENS1_30default_config_static_selectorELNS0_4arch9wavefront6targetE1EEEvT1_,comdat
.Lfunc_end3215:
	.size	_ZN7rocprim17ROCPRIM_400000_NS6detail17trampoline_kernelINS0_14default_configENS1_20scan_config_selectorIfEEZZNS1_9scan_implILNS1_25lookback_scan_determinismE0ELb1ELb1ES3_N6thrust23THRUST_200600_302600_NS6detail15normal_iteratorINS9_10device_ptrIfEEEENS9_16discard_iteratorINS9_11use_defaultEEEf11max_functorIfEfEEDaPvRmT3_T4_T5_mT6_P12ihipStream_tbENKUlT_T0_E_clISt17integral_constantIbLb0EESX_EEDaSS_ST_EUlSS_E0_NS1_11comp_targetILNS1_3genE0ELNS1_11target_archE4294967295ELNS1_3gpuE0ELNS1_3repE0EEENS1_30default_config_static_selectorELNS0_4arch9wavefront6targetE1EEEvT1_, .Lfunc_end3215-_ZN7rocprim17ROCPRIM_400000_NS6detail17trampoline_kernelINS0_14default_configENS1_20scan_config_selectorIfEEZZNS1_9scan_implILNS1_25lookback_scan_determinismE0ELb1ELb1ES3_N6thrust23THRUST_200600_302600_NS6detail15normal_iteratorINS9_10device_ptrIfEEEENS9_16discard_iteratorINS9_11use_defaultEEEf11max_functorIfEfEEDaPvRmT3_T4_T5_mT6_P12ihipStream_tbENKUlT_T0_E_clISt17integral_constantIbLb0EESX_EEDaSS_ST_EUlSS_E0_NS1_11comp_targetILNS1_3genE0ELNS1_11target_archE4294967295ELNS1_3gpuE0ELNS1_3repE0EEENS1_30default_config_static_selectorELNS0_4arch9wavefront6targetE1EEEvT1_
                                        ; -- End function
	.section	.AMDGPU.csdata,"",@progbits
; Kernel info:
; codeLenInByte = 0
; NumSgprs: 4
; NumVgprs: 0
; NumAgprs: 0
; TotalNumVgprs: 0
; ScratchSize: 0
; MemoryBound: 0
; FloatMode: 240
; IeeeMode: 1
; LDSByteSize: 0 bytes/workgroup (compile time only)
; SGPRBlocks: 0
; VGPRBlocks: 0
; NumSGPRsForWavesPerEU: 4
; NumVGPRsForWavesPerEU: 1
; AccumOffset: 4
; Occupancy: 8
; WaveLimiterHint : 0
; COMPUTE_PGM_RSRC2:SCRATCH_EN: 0
; COMPUTE_PGM_RSRC2:USER_SGPR: 6
; COMPUTE_PGM_RSRC2:TRAP_HANDLER: 0
; COMPUTE_PGM_RSRC2:TGID_X_EN: 1
; COMPUTE_PGM_RSRC2:TGID_Y_EN: 0
; COMPUTE_PGM_RSRC2:TGID_Z_EN: 0
; COMPUTE_PGM_RSRC2:TIDIG_COMP_CNT: 0
; COMPUTE_PGM_RSRC3_GFX90A:ACCUM_OFFSET: 0
; COMPUTE_PGM_RSRC3_GFX90A:TG_SPLIT: 0
	.section	.text._ZN7rocprim17ROCPRIM_400000_NS6detail17trampoline_kernelINS0_14default_configENS1_20scan_config_selectorIfEEZZNS1_9scan_implILNS1_25lookback_scan_determinismE0ELb1ELb1ES3_N6thrust23THRUST_200600_302600_NS6detail15normal_iteratorINS9_10device_ptrIfEEEENS9_16discard_iteratorINS9_11use_defaultEEEf11max_functorIfEfEEDaPvRmT3_T4_T5_mT6_P12ihipStream_tbENKUlT_T0_E_clISt17integral_constantIbLb0EESX_EEDaSS_ST_EUlSS_E0_NS1_11comp_targetILNS1_3genE5ELNS1_11target_archE942ELNS1_3gpuE9ELNS1_3repE0EEENS1_30default_config_static_selectorELNS0_4arch9wavefront6targetE1EEEvT1_,"axG",@progbits,_ZN7rocprim17ROCPRIM_400000_NS6detail17trampoline_kernelINS0_14default_configENS1_20scan_config_selectorIfEEZZNS1_9scan_implILNS1_25lookback_scan_determinismE0ELb1ELb1ES3_N6thrust23THRUST_200600_302600_NS6detail15normal_iteratorINS9_10device_ptrIfEEEENS9_16discard_iteratorINS9_11use_defaultEEEf11max_functorIfEfEEDaPvRmT3_T4_T5_mT6_P12ihipStream_tbENKUlT_T0_E_clISt17integral_constantIbLb0EESX_EEDaSS_ST_EUlSS_E0_NS1_11comp_targetILNS1_3genE5ELNS1_11target_archE942ELNS1_3gpuE9ELNS1_3repE0EEENS1_30default_config_static_selectorELNS0_4arch9wavefront6targetE1EEEvT1_,comdat
	.protected	_ZN7rocprim17ROCPRIM_400000_NS6detail17trampoline_kernelINS0_14default_configENS1_20scan_config_selectorIfEEZZNS1_9scan_implILNS1_25lookback_scan_determinismE0ELb1ELb1ES3_N6thrust23THRUST_200600_302600_NS6detail15normal_iteratorINS9_10device_ptrIfEEEENS9_16discard_iteratorINS9_11use_defaultEEEf11max_functorIfEfEEDaPvRmT3_T4_T5_mT6_P12ihipStream_tbENKUlT_T0_E_clISt17integral_constantIbLb0EESX_EEDaSS_ST_EUlSS_E0_NS1_11comp_targetILNS1_3genE5ELNS1_11target_archE942ELNS1_3gpuE9ELNS1_3repE0EEENS1_30default_config_static_selectorELNS0_4arch9wavefront6targetE1EEEvT1_ ; -- Begin function _ZN7rocprim17ROCPRIM_400000_NS6detail17trampoline_kernelINS0_14default_configENS1_20scan_config_selectorIfEEZZNS1_9scan_implILNS1_25lookback_scan_determinismE0ELb1ELb1ES3_N6thrust23THRUST_200600_302600_NS6detail15normal_iteratorINS9_10device_ptrIfEEEENS9_16discard_iteratorINS9_11use_defaultEEEf11max_functorIfEfEEDaPvRmT3_T4_T5_mT6_P12ihipStream_tbENKUlT_T0_E_clISt17integral_constantIbLb0EESX_EEDaSS_ST_EUlSS_E0_NS1_11comp_targetILNS1_3genE5ELNS1_11target_archE942ELNS1_3gpuE9ELNS1_3repE0EEENS1_30default_config_static_selectorELNS0_4arch9wavefront6targetE1EEEvT1_
	.globl	_ZN7rocprim17ROCPRIM_400000_NS6detail17trampoline_kernelINS0_14default_configENS1_20scan_config_selectorIfEEZZNS1_9scan_implILNS1_25lookback_scan_determinismE0ELb1ELb1ES3_N6thrust23THRUST_200600_302600_NS6detail15normal_iteratorINS9_10device_ptrIfEEEENS9_16discard_iteratorINS9_11use_defaultEEEf11max_functorIfEfEEDaPvRmT3_T4_T5_mT6_P12ihipStream_tbENKUlT_T0_E_clISt17integral_constantIbLb0EESX_EEDaSS_ST_EUlSS_E0_NS1_11comp_targetILNS1_3genE5ELNS1_11target_archE942ELNS1_3gpuE9ELNS1_3repE0EEENS1_30default_config_static_selectorELNS0_4arch9wavefront6targetE1EEEvT1_
	.p2align	8
	.type	_ZN7rocprim17ROCPRIM_400000_NS6detail17trampoline_kernelINS0_14default_configENS1_20scan_config_selectorIfEEZZNS1_9scan_implILNS1_25lookback_scan_determinismE0ELb1ELb1ES3_N6thrust23THRUST_200600_302600_NS6detail15normal_iteratorINS9_10device_ptrIfEEEENS9_16discard_iteratorINS9_11use_defaultEEEf11max_functorIfEfEEDaPvRmT3_T4_T5_mT6_P12ihipStream_tbENKUlT_T0_E_clISt17integral_constantIbLb0EESX_EEDaSS_ST_EUlSS_E0_NS1_11comp_targetILNS1_3genE5ELNS1_11target_archE942ELNS1_3gpuE9ELNS1_3repE0EEENS1_30default_config_static_selectorELNS0_4arch9wavefront6targetE1EEEvT1_,@function
_ZN7rocprim17ROCPRIM_400000_NS6detail17trampoline_kernelINS0_14default_configENS1_20scan_config_selectorIfEEZZNS1_9scan_implILNS1_25lookback_scan_determinismE0ELb1ELb1ES3_N6thrust23THRUST_200600_302600_NS6detail15normal_iteratorINS9_10device_ptrIfEEEENS9_16discard_iteratorINS9_11use_defaultEEEf11max_functorIfEfEEDaPvRmT3_T4_T5_mT6_P12ihipStream_tbENKUlT_T0_E_clISt17integral_constantIbLb0EESX_EEDaSS_ST_EUlSS_E0_NS1_11comp_targetILNS1_3genE5ELNS1_11target_archE942ELNS1_3gpuE9ELNS1_3repE0EEENS1_30default_config_static_selectorELNS0_4arch9wavefront6targetE1EEEvT1_: ; @_ZN7rocprim17ROCPRIM_400000_NS6detail17trampoline_kernelINS0_14default_configENS1_20scan_config_selectorIfEEZZNS1_9scan_implILNS1_25lookback_scan_determinismE0ELb1ELb1ES3_N6thrust23THRUST_200600_302600_NS6detail15normal_iteratorINS9_10device_ptrIfEEEENS9_16discard_iteratorINS9_11use_defaultEEEf11max_functorIfEfEEDaPvRmT3_T4_T5_mT6_P12ihipStream_tbENKUlT_T0_E_clISt17integral_constantIbLb0EESX_EEDaSS_ST_EUlSS_E0_NS1_11comp_targetILNS1_3genE5ELNS1_11target_archE942ELNS1_3gpuE9ELNS1_3repE0EEENS1_30default_config_static_selectorELNS0_4arch9wavefront6targetE1EEEvT1_
; %bb.0:
	.section	.rodata,"a",@progbits
	.p2align	6, 0x0
	.amdhsa_kernel _ZN7rocprim17ROCPRIM_400000_NS6detail17trampoline_kernelINS0_14default_configENS1_20scan_config_selectorIfEEZZNS1_9scan_implILNS1_25lookback_scan_determinismE0ELb1ELb1ES3_N6thrust23THRUST_200600_302600_NS6detail15normal_iteratorINS9_10device_ptrIfEEEENS9_16discard_iteratorINS9_11use_defaultEEEf11max_functorIfEfEEDaPvRmT3_T4_T5_mT6_P12ihipStream_tbENKUlT_T0_E_clISt17integral_constantIbLb0EESX_EEDaSS_ST_EUlSS_E0_NS1_11comp_targetILNS1_3genE5ELNS1_11target_archE942ELNS1_3gpuE9ELNS1_3repE0EEENS1_30default_config_static_selectorELNS0_4arch9wavefront6targetE1EEEvT1_
		.amdhsa_group_segment_fixed_size 0
		.amdhsa_private_segment_fixed_size 0
		.amdhsa_kernarg_size 40
		.amdhsa_user_sgpr_count 6
		.amdhsa_user_sgpr_private_segment_buffer 1
		.amdhsa_user_sgpr_dispatch_ptr 0
		.amdhsa_user_sgpr_queue_ptr 0
		.amdhsa_user_sgpr_kernarg_segment_ptr 1
		.amdhsa_user_sgpr_dispatch_id 0
		.amdhsa_user_sgpr_flat_scratch_init 0
		.amdhsa_user_sgpr_kernarg_preload_length 0
		.amdhsa_user_sgpr_kernarg_preload_offset 0
		.amdhsa_user_sgpr_private_segment_size 0
		.amdhsa_uses_dynamic_stack 0
		.amdhsa_system_sgpr_private_segment_wavefront_offset 0
		.amdhsa_system_sgpr_workgroup_id_x 1
		.amdhsa_system_sgpr_workgroup_id_y 0
		.amdhsa_system_sgpr_workgroup_id_z 0
		.amdhsa_system_sgpr_workgroup_info 0
		.amdhsa_system_vgpr_workitem_id 0
		.amdhsa_next_free_vgpr 1
		.amdhsa_next_free_sgpr 0
		.amdhsa_accum_offset 4
		.amdhsa_reserve_vcc 0
		.amdhsa_reserve_flat_scratch 0
		.amdhsa_float_round_mode_32 0
		.amdhsa_float_round_mode_16_64 0
		.amdhsa_float_denorm_mode_32 3
		.amdhsa_float_denorm_mode_16_64 3
		.amdhsa_dx10_clamp 1
		.amdhsa_ieee_mode 1
		.amdhsa_fp16_overflow 0
		.amdhsa_tg_split 0
		.amdhsa_exception_fp_ieee_invalid_op 0
		.amdhsa_exception_fp_denorm_src 0
		.amdhsa_exception_fp_ieee_div_zero 0
		.amdhsa_exception_fp_ieee_overflow 0
		.amdhsa_exception_fp_ieee_underflow 0
		.amdhsa_exception_fp_ieee_inexact 0
		.amdhsa_exception_int_div_zero 0
	.end_amdhsa_kernel
	.section	.text._ZN7rocprim17ROCPRIM_400000_NS6detail17trampoline_kernelINS0_14default_configENS1_20scan_config_selectorIfEEZZNS1_9scan_implILNS1_25lookback_scan_determinismE0ELb1ELb1ES3_N6thrust23THRUST_200600_302600_NS6detail15normal_iteratorINS9_10device_ptrIfEEEENS9_16discard_iteratorINS9_11use_defaultEEEf11max_functorIfEfEEDaPvRmT3_T4_T5_mT6_P12ihipStream_tbENKUlT_T0_E_clISt17integral_constantIbLb0EESX_EEDaSS_ST_EUlSS_E0_NS1_11comp_targetILNS1_3genE5ELNS1_11target_archE942ELNS1_3gpuE9ELNS1_3repE0EEENS1_30default_config_static_selectorELNS0_4arch9wavefront6targetE1EEEvT1_,"axG",@progbits,_ZN7rocprim17ROCPRIM_400000_NS6detail17trampoline_kernelINS0_14default_configENS1_20scan_config_selectorIfEEZZNS1_9scan_implILNS1_25lookback_scan_determinismE0ELb1ELb1ES3_N6thrust23THRUST_200600_302600_NS6detail15normal_iteratorINS9_10device_ptrIfEEEENS9_16discard_iteratorINS9_11use_defaultEEEf11max_functorIfEfEEDaPvRmT3_T4_T5_mT6_P12ihipStream_tbENKUlT_T0_E_clISt17integral_constantIbLb0EESX_EEDaSS_ST_EUlSS_E0_NS1_11comp_targetILNS1_3genE5ELNS1_11target_archE942ELNS1_3gpuE9ELNS1_3repE0EEENS1_30default_config_static_selectorELNS0_4arch9wavefront6targetE1EEEvT1_,comdat
.Lfunc_end3216:
	.size	_ZN7rocprim17ROCPRIM_400000_NS6detail17trampoline_kernelINS0_14default_configENS1_20scan_config_selectorIfEEZZNS1_9scan_implILNS1_25lookback_scan_determinismE0ELb1ELb1ES3_N6thrust23THRUST_200600_302600_NS6detail15normal_iteratorINS9_10device_ptrIfEEEENS9_16discard_iteratorINS9_11use_defaultEEEf11max_functorIfEfEEDaPvRmT3_T4_T5_mT6_P12ihipStream_tbENKUlT_T0_E_clISt17integral_constantIbLb0EESX_EEDaSS_ST_EUlSS_E0_NS1_11comp_targetILNS1_3genE5ELNS1_11target_archE942ELNS1_3gpuE9ELNS1_3repE0EEENS1_30default_config_static_selectorELNS0_4arch9wavefront6targetE1EEEvT1_, .Lfunc_end3216-_ZN7rocprim17ROCPRIM_400000_NS6detail17trampoline_kernelINS0_14default_configENS1_20scan_config_selectorIfEEZZNS1_9scan_implILNS1_25lookback_scan_determinismE0ELb1ELb1ES3_N6thrust23THRUST_200600_302600_NS6detail15normal_iteratorINS9_10device_ptrIfEEEENS9_16discard_iteratorINS9_11use_defaultEEEf11max_functorIfEfEEDaPvRmT3_T4_T5_mT6_P12ihipStream_tbENKUlT_T0_E_clISt17integral_constantIbLb0EESX_EEDaSS_ST_EUlSS_E0_NS1_11comp_targetILNS1_3genE5ELNS1_11target_archE942ELNS1_3gpuE9ELNS1_3repE0EEENS1_30default_config_static_selectorELNS0_4arch9wavefront6targetE1EEEvT1_
                                        ; -- End function
	.section	.AMDGPU.csdata,"",@progbits
; Kernel info:
; codeLenInByte = 0
; NumSgprs: 4
; NumVgprs: 0
; NumAgprs: 0
; TotalNumVgprs: 0
; ScratchSize: 0
; MemoryBound: 0
; FloatMode: 240
; IeeeMode: 1
; LDSByteSize: 0 bytes/workgroup (compile time only)
; SGPRBlocks: 0
; VGPRBlocks: 0
; NumSGPRsForWavesPerEU: 4
; NumVGPRsForWavesPerEU: 1
; AccumOffset: 4
; Occupancy: 8
; WaveLimiterHint : 0
; COMPUTE_PGM_RSRC2:SCRATCH_EN: 0
; COMPUTE_PGM_RSRC2:USER_SGPR: 6
; COMPUTE_PGM_RSRC2:TRAP_HANDLER: 0
; COMPUTE_PGM_RSRC2:TGID_X_EN: 1
; COMPUTE_PGM_RSRC2:TGID_Y_EN: 0
; COMPUTE_PGM_RSRC2:TGID_Z_EN: 0
; COMPUTE_PGM_RSRC2:TIDIG_COMP_CNT: 0
; COMPUTE_PGM_RSRC3_GFX90A:ACCUM_OFFSET: 0
; COMPUTE_PGM_RSRC3_GFX90A:TG_SPLIT: 0
	.section	.text._ZN7rocprim17ROCPRIM_400000_NS6detail17trampoline_kernelINS0_14default_configENS1_20scan_config_selectorIfEEZZNS1_9scan_implILNS1_25lookback_scan_determinismE0ELb1ELb1ES3_N6thrust23THRUST_200600_302600_NS6detail15normal_iteratorINS9_10device_ptrIfEEEENS9_16discard_iteratorINS9_11use_defaultEEEf11max_functorIfEfEEDaPvRmT3_T4_T5_mT6_P12ihipStream_tbENKUlT_T0_E_clISt17integral_constantIbLb0EESX_EEDaSS_ST_EUlSS_E0_NS1_11comp_targetILNS1_3genE4ELNS1_11target_archE910ELNS1_3gpuE8ELNS1_3repE0EEENS1_30default_config_static_selectorELNS0_4arch9wavefront6targetE1EEEvT1_,"axG",@progbits,_ZN7rocprim17ROCPRIM_400000_NS6detail17trampoline_kernelINS0_14default_configENS1_20scan_config_selectorIfEEZZNS1_9scan_implILNS1_25lookback_scan_determinismE0ELb1ELb1ES3_N6thrust23THRUST_200600_302600_NS6detail15normal_iteratorINS9_10device_ptrIfEEEENS9_16discard_iteratorINS9_11use_defaultEEEf11max_functorIfEfEEDaPvRmT3_T4_T5_mT6_P12ihipStream_tbENKUlT_T0_E_clISt17integral_constantIbLb0EESX_EEDaSS_ST_EUlSS_E0_NS1_11comp_targetILNS1_3genE4ELNS1_11target_archE910ELNS1_3gpuE8ELNS1_3repE0EEENS1_30default_config_static_selectorELNS0_4arch9wavefront6targetE1EEEvT1_,comdat
	.protected	_ZN7rocprim17ROCPRIM_400000_NS6detail17trampoline_kernelINS0_14default_configENS1_20scan_config_selectorIfEEZZNS1_9scan_implILNS1_25lookback_scan_determinismE0ELb1ELb1ES3_N6thrust23THRUST_200600_302600_NS6detail15normal_iteratorINS9_10device_ptrIfEEEENS9_16discard_iteratorINS9_11use_defaultEEEf11max_functorIfEfEEDaPvRmT3_T4_T5_mT6_P12ihipStream_tbENKUlT_T0_E_clISt17integral_constantIbLb0EESX_EEDaSS_ST_EUlSS_E0_NS1_11comp_targetILNS1_3genE4ELNS1_11target_archE910ELNS1_3gpuE8ELNS1_3repE0EEENS1_30default_config_static_selectorELNS0_4arch9wavefront6targetE1EEEvT1_ ; -- Begin function _ZN7rocprim17ROCPRIM_400000_NS6detail17trampoline_kernelINS0_14default_configENS1_20scan_config_selectorIfEEZZNS1_9scan_implILNS1_25lookback_scan_determinismE0ELb1ELb1ES3_N6thrust23THRUST_200600_302600_NS6detail15normal_iteratorINS9_10device_ptrIfEEEENS9_16discard_iteratorINS9_11use_defaultEEEf11max_functorIfEfEEDaPvRmT3_T4_T5_mT6_P12ihipStream_tbENKUlT_T0_E_clISt17integral_constantIbLb0EESX_EEDaSS_ST_EUlSS_E0_NS1_11comp_targetILNS1_3genE4ELNS1_11target_archE910ELNS1_3gpuE8ELNS1_3repE0EEENS1_30default_config_static_selectorELNS0_4arch9wavefront6targetE1EEEvT1_
	.globl	_ZN7rocprim17ROCPRIM_400000_NS6detail17trampoline_kernelINS0_14default_configENS1_20scan_config_selectorIfEEZZNS1_9scan_implILNS1_25lookback_scan_determinismE0ELb1ELb1ES3_N6thrust23THRUST_200600_302600_NS6detail15normal_iteratorINS9_10device_ptrIfEEEENS9_16discard_iteratorINS9_11use_defaultEEEf11max_functorIfEfEEDaPvRmT3_T4_T5_mT6_P12ihipStream_tbENKUlT_T0_E_clISt17integral_constantIbLb0EESX_EEDaSS_ST_EUlSS_E0_NS1_11comp_targetILNS1_3genE4ELNS1_11target_archE910ELNS1_3gpuE8ELNS1_3repE0EEENS1_30default_config_static_selectorELNS0_4arch9wavefront6targetE1EEEvT1_
	.p2align	8
	.type	_ZN7rocprim17ROCPRIM_400000_NS6detail17trampoline_kernelINS0_14default_configENS1_20scan_config_selectorIfEEZZNS1_9scan_implILNS1_25lookback_scan_determinismE0ELb1ELb1ES3_N6thrust23THRUST_200600_302600_NS6detail15normal_iteratorINS9_10device_ptrIfEEEENS9_16discard_iteratorINS9_11use_defaultEEEf11max_functorIfEfEEDaPvRmT3_T4_T5_mT6_P12ihipStream_tbENKUlT_T0_E_clISt17integral_constantIbLb0EESX_EEDaSS_ST_EUlSS_E0_NS1_11comp_targetILNS1_3genE4ELNS1_11target_archE910ELNS1_3gpuE8ELNS1_3repE0EEENS1_30default_config_static_selectorELNS0_4arch9wavefront6targetE1EEEvT1_,@function
_ZN7rocprim17ROCPRIM_400000_NS6detail17trampoline_kernelINS0_14default_configENS1_20scan_config_selectorIfEEZZNS1_9scan_implILNS1_25lookback_scan_determinismE0ELb1ELb1ES3_N6thrust23THRUST_200600_302600_NS6detail15normal_iteratorINS9_10device_ptrIfEEEENS9_16discard_iteratorINS9_11use_defaultEEEf11max_functorIfEfEEDaPvRmT3_T4_T5_mT6_P12ihipStream_tbENKUlT_T0_E_clISt17integral_constantIbLb0EESX_EEDaSS_ST_EUlSS_E0_NS1_11comp_targetILNS1_3genE4ELNS1_11target_archE910ELNS1_3gpuE8ELNS1_3repE0EEENS1_30default_config_static_selectorELNS0_4arch9wavefront6targetE1EEEvT1_: ; @_ZN7rocprim17ROCPRIM_400000_NS6detail17trampoline_kernelINS0_14default_configENS1_20scan_config_selectorIfEEZZNS1_9scan_implILNS1_25lookback_scan_determinismE0ELb1ELb1ES3_N6thrust23THRUST_200600_302600_NS6detail15normal_iteratorINS9_10device_ptrIfEEEENS9_16discard_iteratorINS9_11use_defaultEEEf11max_functorIfEfEEDaPvRmT3_T4_T5_mT6_P12ihipStream_tbENKUlT_T0_E_clISt17integral_constantIbLb0EESX_EEDaSS_ST_EUlSS_E0_NS1_11comp_targetILNS1_3genE4ELNS1_11target_archE910ELNS1_3gpuE8ELNS1_3repE0EEENS1_30default_config_static_selectorELNS0_4arch9wavefront6targetE1EEEvT1_
; %bb.0:
	s_load_dwordx4 s[0:3], s[4:5], 0x0
	v_lshlrev_b32_e32 v1, 2, v0
	s_waitcnt lgkmcnt(0)
	s_load_dword s3, s[0:1], 0x0
	v_cmp_gt_u32_e32 vcc, s2, v0
	s_waitcnt lgkmcnt(0)
	v_mov_b32_e32 v2, s3
	s_and_saveexec_b64 s[6:7], vcc
	s_cbranch_execz .LBB3217_2
; %bb.1:
	global_load_dword v2, v1, s[0:1]
.LBB3217_2:
	s_or_b64 exec, exec, s[6:7]
	v_or_b32_e32 v3, 0x80, v0
	v_cmp_gt_u32_e32 vcc, s2, v3
	v_mov_b32_e32 v3, s3
	s_and_saveexec_b64 s[6:7], vcc
	s_cbranch_execz .LBB3217_4
; %bb.3:
	global_load_dword v3, v1, s[0:1] offset:512
.LBB3217_4:
	s_or_b64 exec, exec, s[6:7]
	v_or_b32_e32 v4, 0x100, v0
	v_cmp_gt_u32_e32 vcc, s2, v4
	v_mov_b32_e32 v4, s3
	s_and_saveexec_b64 s[6:7], vcc
	s_cbranch_execz .LBB3217_6
; %bb.5:
	global_load_dword v4, v1, s[0:1] offset:1024
.LBB3217_6:
	s_or_b64 exec, exec, s[6:7]
	v_or_b32_e32 v5, 0x180, v0
	v_cmp_gt_u32_e32 vcc, s2, v5
	v_mov_b32_e32 v5, s3
	s_and_saveexec_b64 s[6:7], vcc
	s_cbranch_execz .LBB3217_8
; %bb.7:
	global_load_dword v5, v1, s[0:1] offset:1536
.LBB3217_8:
	s_or_b64 exec, exec, s[6:7]
	v_or_b32_e32 v6, 0x200, v0
	v_cmp_gt_u32_e32 vcc, s2, v6
	v_mov_b32_e32 v6, s3
	s_and_saveexec_b64 s[6:7], vcc
	s_cbranch_execz .LBB3217_10
; %bb.9:
	global_load_dword v6, v1, s[0:1] offset:2048
.LBB3217_10:
	s_or_b64 exec, exec, s[6:7]
	v_or_b32_e32 v7, 0x280, v0
	v_cmp_gt_u32_e32 vcc, s2, v7
	v_mov_b32_e32 v7, s3
	s_and_saveexec_b64 s[6:7], vcc
	s_cbranch_execz .LBB3217_12
; %bb.11:
	global_load_dword v7, v1, s[0:1] offset:2560
.LBB3217_12:
	s_or_b64 exec, exec, s[6:7]
	v_or_b32_e32 v8, 0x300, v0
	v_cmp_gt_u32_e32 vcc, s2, v8
	v_mov_b32_e32 v8, s3
	s_and_saveexec_b64 s[6:7], vcc
	s_cbranch_execz .LBB3217_14
; %bb.13:
	global_load_dword v8, v1, s[0:1] offset:3072
.LBB3217_14:
	s_or_b64 exec, exec, s[6:7]
	v_or_b32_e32 v9, 0x380, v0
	v_cmp_gt_u32_e32 vcc, s2, v9
	v_mov_b32_e32 v9, s3
	s_and_saveexec_b64 s[6:7], vcc
	s_cbranch_execz .LBB3217_16
; %bb.15:
	global_load_dword v9, v1, s[0:1] offset:3584
.LBB3217_16:
	s_or_b64 exec, exec, s[6:7]
	v_or_b32_e32 v11, 0x400, v0
	v_cmp_gt_u32_e32 vcc, s2, v11
	v_mov_b32_e32 v10, s3
	s_and_saveexec_b64 s[6:7], vcc
	s_cbranch_execz .LBB3217_18
; %bb.17:
	v_lshlrev_b32_e32 v10, 2, v11
	global_load_dword v10, v10, s[0:1]
.LBB3217_18:
	s_or_b64 exec, exec, s[6:7]
	v_or_b32_e32 v12, 0x480, v0
	v_cmp_gt_u32_e32 vcc, s2, v12
	v_mov_b32_e32 v11, s3
	s_and_saveexec_b64 s[6:7], vcc
	s_cbranch_execz .LBB3217_20
; %bb.19:
	v_lshlrev_b32_e32 v11, 2, v12
	global_load_dword v11, v11, s[0:1]
.LBB3217_20:
	;; [unrolled: 10-line block ×5, first 2 shown]
	s_or_b64 exec, exec, s[6:7]
	s_load_dword s8, s[4:5], 0x10
	v_or_b32_e32 v16, 0x680, v0
	v_cmp_gt_u32_e32 vcc, s2, v16
	v_mov_b32_e32 v15, s3
	s_and_saveexec_b64 s[2:3], vcc
	s_cbranch_execz .LBB3217_28
; %bb.27:
	v_lshlrev_b32_e32 v15, 2, v16
	global_load_dword v15, v15, s[0:1]
.LBB3217_28:
	s_or_b64 exec, exec, s[2:3]
	s_waitcnt vmcnt(0)
	ds_write2st64_b32 v1, v2, v3 offset1:2
	ds_write2st64_b32 v1, v4, v5 offset0:4 offset1:6
	ds_write2st64_b32 v1, v6, v7 offset0:8 offset1:10
	;; [unrolled: 1-line block ×6, first 2 shown]
	v_mad_u32_u24 v14, v0, 52, v1
	s_waitcnt lgkmcnt(0)
	s_barrier
	ds_read2_b64 v[10:13], v14 offset1:1
	ds_read2_b64 v[6:9], v14 offset0:2 offset1:3
	ds_read2_b64 v[2:5], v14 offset0:4 offset1:5
	ds_read_b64 v[14:15], v14 offset:48
	s_waitcnt lgkmcnt(0)
	v_cmp_lt_f32_e32 vcc, v10, v11
	v_cndmask_b32_e32 v16, v10, v11, vcc
	v_cmp_lt_f32_e32 vcc, v16, v12
	v_cndmask_b32_e32 v16, v16, v12, vcc
	;; [unrolled: 2-line block ×13, first 2 shown]
	v_lshrrev_b32_e32 v16, 3, v0
	v_and_b32_e32 v16, 12, v16
	v_add_u32_e32 v16, v1, v16
	v_cmp_gt_u32_e32 vcc, 64, v0
	s_barrier
	ds_write_b32 v16, v15
	s_waitcnt lgkmcnt(0)
	s_barrier
	s_and_saveexec_b64 s[6:7], vcc
	s_cbranch_execz .LBB3217_30
; %bb.29:
	v_lshlrev_b32_e32 v16, 1, v0
	v_lshrrev_b32_e32 v17, 4, v0
	v_add_lshl_u32 v18, v17, v16, 2
	ds_read2_b32 v[16:17], v18 offset1:1
	v_mbcnt_lo_u32_b32 v19, -1, 0
	v_mbcnt_hi_u32_b32 v19, -1, v19
	v_and_b32_e32 v20, 15, v19
	v_cmp_lt_u32_e64 s[4:5], 31, v19
	s_waitcnt lgkmcnt(0)
	v_cmp_lt_f32_e32 vcc, v16, v17
	v_cndmask_b32_e32 v17, v16, v17, vcc
	v_cmp_gt_u32_e64 s[2:3], 32, v19
	s_nop 0
	v_mov_b32_dpp v21, v17 row_shr:1 row_mask:0xf bank_mask:0xf
	v_cmp_gt_f32_e32 vcc, v17, v21
	v_cndmask_b32_e32 v21, v21, v17, vcc
	v_cmp_eq_u32_e32 vcc, 0, v20
	v_cndmask_b32_e32 v17, v21, v17, vcc
	; wave barrier
	s_nop 1
	v_mov_b32_dpp v21, v17 row_shr:2 row_mask:0xf bank_mask:0xf
	v_cmp_gt_f32_e32 vcc, v17, v21
	v_cndmask_b32_e32 v21, v21, v17, vcc
	v_cmp_lt_u32_e32 vcc, 1, v20
	v_cndmask_b32_e32 v21, v17, v21, vcc
	s_nop 1
	v_mov_b32_dpp v22, v21 row_shr:4 row_mask:0xf bank_mask:0xf
	v_cmp_gt_f32_e64 s[0:1], v21, v22
	v_cndmask_b32_e64 v22, v22, v21, s[0:1]
	v_cmp_lt_u32_e64 s[0:1], 3, v20
	v_cndmask_b32_e64 v21, v21, v22, s[0:1]
	s_nop 1
	v_mov_b32_dpp v22, v21 row_shr:8 row_mask:0xf bank_mask:0xf
	v_cmp_gt_f32_e64 s[0:1], v21, v22
	v_cndmask_b32_e64 v22, v22, v21, s[0:1]
	v_cmp_lt_u32_e64 s[0:1], 7, v20
	v_cndmask_b32_e64 v20, v21, v22, s[0:1]
	v_and_b32_e32 v22, 16, v19
	s_nop 0
	v_mov_b32_dpp v21, v20 row_bcast:15 row_mask:0xf bank_mask:0xf
	v_cmp_gt_f32_e64 s[0:1], v20, v21
	v_cndmask_b32_e64 v21, v21, v20, s[0:1]
	v_cmp_ne_u32_e64 s[0:1], 0, v22
	v_cndmask_b32_e64 v20, v20, v21, s[0:1]
	s_or_b64 s[4:5], s[0:1], s[4:5]
	s_or_b64 vcc, vcc, s[4:5]
	v_mov_b32_dpp v21, v20 row_bcast:31 row_mask:0xf bank_mask:0xf
	v_cmp_gt_f32_e64 s[0:1], v20, v21
	s_or_b64 s[0:1], s[2:3], s[0:1]
	v_cndmask_b32_e64 v20, v21, v20, s[0:1]
	v_cndmask_b32_e32 v17, v17, v20, vcc
	v_add_u32_e32 v20, -1, v19
	v_and_b32_e32 v21, 64, v19
	v_cmp_lt_i32_e32 vcc, v20, v21
	v_cndmask_b32_e32 v19, v20, v19, vcc
	v_lshlrev_b32_e32 v19, 2, v19
	ds_bpermute_b32 v17, v19, v17
	s_waitcnt lgkmcnt(0)
	v_cmp_gt_f32_e32 vcc, v16, v17
	v_cndmask_b32_e32 v16, v17, v16, vcc
	v_cmp_eq_u32_e32 vcc, 0, v0
	v_cndmask_b32_e32 v15, v16, v15, vcc
	ds_write_b32 v18, v15
	; wave barrier
	ds_read_b32 v16, v18 offset:4
	s_waitcnt lgkmcnt(0)
	v_cmp_lt_f32_e32 vcc, v15, v16
	v_cndmask_b32_e32 v15, v15, v16, vcc
	ds_write_b32 v18, v15 offset:4
.LBB3217_30:
	s_or_b64 exec, exec, s[6:7]
	v_mul_u32_u24_e32 v15, 52, v0
	v_cmp_ne_u32_e32 vcc, 0, v0
	v_mov_b32_e32 v16, s8
	s_waitcnt lgkmcnt(0)
	s_barrier
	s_and_saveexec_b64 s[0:1], vcc
	s_cbranch_execz .LBB3217_32
; %bb.31:
	v_add_u32_e32 v0, -1, v0
	v_lshrrev_b32_e32 v16, 5, v0
	v_add_lshl_u32 v0, v16, v0, 2
	ds_read_b32 v0, v0
	v_mov_b32_e32 v16, s8
	s_waitcnt lgkmcnt(0)
	v_cmp_lt_f32_e32 vcc, s8, v0
	v_cndmask_b32_e32 v16, v16, v0, vcc
.LBB3217_32:
	s_or_b64 exec, exec, s[0:1]
	v_cmp_lt_f32_e32 vcc, v16, v10
	v_cndmask_b32_e32 v17, v16, v10, vcc
	v_cmp_lt_f32_e32 vcc, v17, v11
	v_cndmask_b32_e32 v10, v17, v11, vcc
	;; [unrolled: 2-line block ×12, first 2 shown]
	v_cmp_lt_f32_e32 vcc, v4, v14
	v_add_u32_e32 v0, v1, v15
	v_cndmask_b32_e32 v5, v4, v14, vcc
	s_barrier
	ds_write2_b64 v0, v[16:17], v[10:11] offset1:1
	ds_write2_b64 v0, v[12:13], v[6:7] offset0:2 offset1:3
	ds_write2_b64 v0, v[8:9], v[2:3] offset0:4 offset1:5
	ds_write_b64 v0, v[4:5] offset:48
	s_waitcnt lgkmcnt(0)
	s_barrier
	s_endpgm
	.section	.rodata,"a",@progbits
	.p2align	6, 0x0
	.amdhsa_kernel _ZN7rocprim17ROCPRIM_400000_NS6detail17trampoline_kernelINS0_14default_configENS1_20scan_config_selectorIfEEZZNS1_9scan_implILNS1_25lookback_scan_determinismE0ELb1ELb1ES3_N6thrust23THRUST_200600_302600_NS6detail15normal_iteratorINS9_10device_ptrIfEEEENS9_16discard_iteratorINS9_11use_defaultEEEf11max_functorIfEfEEDaPvRmT3_T4_T5_mT6_P12ihipStream_tbENKUlT_T0_E_clISt17integral_constantIbLb0EESX_EEDaSS_ST_EUlSS_E0_NS1_11comp_targetILNS1_3genE4ELNS1_11target_archE910ELNS1_3gpuE8ELNS1_3repE0EEENS1_30default_config_static_selectorELNS0_4arch9wavefront6targetE1EEEvT1_
		.amdhsa_group_segment_fixed_size 7168
		.amdhsa_private_segment_fixed_size 0
		.amdhsa_kernarg_size 40
		.amdhsa_user_sgpr_count 6
		.amdhsa_user_sgpr_private_segment_buffer 1
		.amdhsa_user_sgpr_dispatch_ptr 0
		.amdhsa_user_sgpr_queue_ptr 0
		.amdhsa_user_sgpr_kernarg_segment_ptr 1
		.amdhsa_user_sgpr_dispatch_id 0
		.amdhsa_user_sgpr_flat_scratch_init 0
		.amdhsa_user_sgpr_kernarg_preload_length 0
		.amdhsa_user_sgpr_kernarg_preload_offset 0
		.amdhsa_user_sgpr_private_segment_size 0
		.amdhsa_uses_dynamic_stack 0
		.amdhsa_system_sgpr_private_segment_wavefront_offset 0
		.amdhsa_system_sgpr_workgroup_id_x 1
		.amdhsa_system_sgpr_workgroup_id_y 0
		.amdhsa_system_sgpr_workgroup_id_z 0
		.amdhsa_system_sgpr_workgroup_info 0
		.amdhsa_system_vgpr_workitem_id 0
		.amdhsa_next_free_vgpr 23
		.amdhsa_next_free_sgpr 9
		.amdhsa_accum_offset 24
		.amdhsa_reserve_vcc 1
		.amdhsa_reserve_flat_scratch 0
		.amdhsa_float_round_mode_32 0
		.amdhsa_float_round_mode_16_64 0
		.amdhsa_float_denorm_mode_32 3
		.amdhsa_float_denorm_mode_16_64 3
		.amdhsa_dx10_clamp 1
		.amdhsa_ieee_mode 1
		.amdhsa_fp16_overflow 0
		.amdhsa_tg_split 0
		.amdhsa_exception_fp_ieee_invalid_op 0
		.amdhsa_exception_fp_denorm_src 0
		.amdhsa_exception_fp_ieee_div_zero 0
		.amdhsa_exception_fp_ieee_overflow 0
		.amdhsa_exception_fp_ieee_underflow 0
		.amdhsa_exception_fp_ieee_inexact 0
		.amdhsa_exception_int_div_zero 0
	.end_amdhsa_kernel
	.section	.text._ZN7rocprim17ROCPRIM_400000_NS6detail17trampoline_kernelINS0_14default_configENS1_20scan_config_selectorIfEEZZNS1_9scan_implILNS1_25lookback_scan_determinismE0ELb1ELb1ES3_N6thrust23THRUST_200600_302600_NS6detail15normal_iteratorINS9_10device_ptrIfEEEENS9_16discard_iteratorINS9_11use_defaultEEEf11max_functorIfEfEEDaPvRmT3_T4_T5_mT6_P12ihipStream_tbENKUlT_T0_E_clISt17integral_constantIbLb0EESX_EEDaSS_ST_EUlSS_E0_NS1_11comp_targetILNS1_3genE4ELNS1_11target_archE910ELNS1_3gpuE8ELNS1_3repE0EEENS1_30default_config_static_selectorELNS0_4arch9wavefront6targetE1EEEvT1_,"axG",@progbits,_ZN7rocprim17ROCPRIM_400000_NS6detail17trampoline_kernelINS0_14default_configENS1_20scan_config_selectorIfEEZZNS1_9scan_implILNS1_25lookback_scan_determinismE0ELb1ELb1ES3_N6thrust23THRUST_200600_302600_NS6detail15normal_iteratorINS9_10device_ptrIfEEEENS9_16discard_iteratorINS9_11use_defaultEEEf11max_functorIfEfEEDaPvRmT3_T4_T5_mT6_P12ihipStream_tbENKUlT_T0_E_clISt17integral_constantIbLb0EESX_EEDaSS_ST_EUlSS_E0_NS1_11comp_targetILNS1_3genE4ELNS1_11target_archE910ELNS1_3gpuE8ELNS1_3repE0EEENS1_30default_config_static_selectorELNS0_4arch9wavefront6targetE1EEEvT1_,comdat
.Lfunc_end3217:
	.size	_ZN7rocprim17ROCPRIM_400000_NS6detail17trampoline_kernelINS0_14default_configENS1_20scan_config_selectorIfEEZZNS1_9scan_implILNS1_25lookback_scan_determinismE0ELb1ELb1ES3_N6thrust23THRUST_200600_302600_NS6detail15normal_iteratorINS9_10device_ptrIfEEEENS9_16discard_iteratorINS9_11use_defaultEEEf11max_functorIfEfEEDaPvRmT3_T4_T5_mT6_P12ihipStream_tbENKUlT_T0_E_clISt17integral_constantIbLb0EESX_EEDaSS_ST_EUlSS_E0_NS1_11comp_targetILNS1_3genE4ELNS1_11target_archE910ELNS1_3gpuE8ELNS1_3repE0EEENS1_30default_config_static_selectorELNS0_4arch9wavefront6targetE1EEEvT1_, .Lfunc_end3217-_ZN7rocprim17ROCPRIM_400000_NS6detail17trampoline_kernelINS0_14default_configENS1_20scan_config_selectorIfEEZZNS1_9scan_implILNS1_25lookback_scan_determinismE0ELb1ELb1ES3_N6thrust23THRUST_200600_302600_NS6detail15normal_iteratorINS9_10device_ptrIfEEEENS9_16discard_iteratorINS9_11use_defaultEEEf11max_functorIfEfEEDaPvRmT3_T4_T5_mT6_P12ihipStream_tbENKUlT_T0_E_clISt17integral_constantIbLb0EESX_EEDaSS_ST_EUlSS_E0_NS1_11comp_targetILNS1_3genE4ELNS1_11target_archE910ELNS1_3gpuE8ELNS1_3repE0EEENS1_30default_config_static_selectorELNS0_4arch9wavefront6targetE1EEEvT1_
                                        ; -- End function
	.section	.AMDGPU.csdata,"",@progbits
; Kernel info:
; codeLenInByte = 1436
; NumSgprs: 13
; NumVgprs: 23
; NumAgprs: 0
; TotalNumVgprs: 23
; ScratchSize: 0
; MemoryBound: 0
; FloatMode: 240
; IeeeMode: 1
; LDSByteSize: 7168 bytes/workgroup (compile time only)
; SGPRBlocks: 1
; VGPRBlocks: 2
; NumSGPRsForWavesPerEU: 13
; NumVGPRsForWavesPerEU: 23
; AccumOffset: 24
; Occupancy: 5
; WaveLimiterHint : 0
; COMPUTE_PGM_RSRC2:SCRATCH_EN: 0
; COMPUTE_PGM_RSRC2:USER_SGPR: 6
; COMPUTE_PGM_RSRC2:TRAP_HANDLER: 0
; COMPUTE_PGM_RSRC2:TGID_X_EN: 1
; COMPUTE_PGM_RSRC2:TGID_Y_EN: 0
; COMPUTE_PGM_RSRC2:TGID_Z_EN: 0
; COMPUTE_PGM_RSRC2:TIDIG_COMP_CNT: 0
; COMPUTE_PGM_RSRC3_GFX90A:ACCUM_OFFSET: 5
; COMPUTE_PGM_RSRC3_GFX90A:TG_SPLIT: 0
	.section	.text._ZN7rocprim17ROCPRIM_400000_NS6detail17trampoline_kernelINS0_14default_configENS1_20scan_config_selectorIfEEZZNS1_9scan_implILNS1_25lookback_scan_determinismE0ELb1ELb1ES3_N6thrust23THRUST_200600_302600_NS6detail15normal_iteratorINS9_10device_ptrIfEEEENS9_16discard_iteratorINS9_11use_defaultEEEf11max_functorIfEfEEDaPvRmT3_T4_T5_mT6_P12ihipStream_tbENKUlT_T0_E_clISt17integral_constantIbLb0EESX_EEDaSS_ST_EUlSS_E0_NS1_11comp_targetILNS1_3genE3ELNS1_11target_archE908ELNS1_3gpuE7ELNS1_3repE0EEENS1_30default_config_static_selectorELNS0_4arch9wavefront6targetE1EEEvT1_,"axG",@progbits,_ZN7rocprim17ROCPRIM_400000_NS6detail17trampoline_kernelINS0_14default_configENS1_20scan_config_selectorIfEEZZNS1_9scan_implILNS1_25lookback_scan_determinismE0ELb1ELb1ES3_N6thrust23THRUST_200600_302600_NS6detail15normal_iteratorINS9_10device_ptrIfEEEENS9_16discard_iteratorINS9_11use_defaultEEEf11max_functorIfEfEEDaPvRmT3_T4_T5_mT6_P12ihipStream_tbENKUlT_T0_E_clISt17integral_constantIbLb0EESX_EEDaSS_ST_EUlSS_E0_NS1_11comp_targetILNS1_3genE3ELNS1_11target_archE908ELNS1_3gpuE7ELNS1_3repE0EEENS1_30default_config_static_selectorELNS0_4arch9wavefront6targetE1EEEvT1_,comdat
	.protected	_ZN7rocprim17ROCPRIM_400000_NS6detail17trampoline_kernelINS0_14default_configENS1_20scan_config_selectorIfEEZZNS1_9scan_implILNS1_25lookback_scan_determinismE0ELb1ELb1ES3_N6thrust23THRUST_200600_302600_NS6detail15normal_iteratorINS9_10device_ptrIfEEEENS9_16discard_iteratorINS9_11use_defaultEEEf11max_functorIfEfEEDaPvRmT3_T4_T5_mT6_P12ihipStream_tbENKUlT_T0_E_clISt17integral_constantIbLb0EESX_EEDaSS_ST_EUlSS_E0_NS1_11comp_targetILNS1_3genE3ELNS1_11target_archE908ELNS1_3gpuE7ELNS1_3repE0EEENS1_30default_config_static_selectorELNS0_4arch9wavefront6targetE1EEEvT1_ ; -- Begin function _ZN7rocprim17ROCPRIM_400000_NS6detail17trampoline_kernelINS0_14default_configENS1_20scan_config_selectorIfEEZZNS1_9scan_implILNS1_25lookback_scan_determinismE0ELb1ELb1ES3_N6thrust23THRUST_200600_302600_NS6detail15normal_iteratorINS9_10device_ptrIfEEEENS9_16discard_iteratorINS9_11use_defaultEEEf11max_functorIfEfEEDaPvRmT3_T4_T5_mT6_P12ihipStream_tbENKUlT_T0_E_clISt17integral_constantIbLb0EESX_EEDaSS_ST_EUlSS_E0_NS1_11comp_targetILNS1_3genE3ELNS1_11target_archE908ELNS1_3gpuE7ELNS1_3repE0EEENS1_30default_config_static_selectorELNS0_4arch9wavefront6targetE1EEEvT1_
	.globl	_ZN7rocprim17ROCPRIM_400000_NS6detail17trampoline_kernelINS0_14default_configENS1_20scan_config_selectorIfEEZZNS1_9scan_implILNS1_25lookback_scan_determinismE0ELb1ELb1ES3_N6thrust23THRUST_200600_302600_NS6detail15normal_iteratorINS9_10device_ptrIfEEEENS9_16discard_iteratorINS9_11use_defaultEEEf11max_functorIfEfEEDaPvRmT3_T4_T5_mT6_P12ihipStream_tbENKUlT_T0_E_clISt17integral_constantIbLb0EESX_EEDaSS_ST_EUlSS_E0_NS1_11comp_targetILNS1_3genE3ELNS1_11target_archE908ELNS1_3gpuE7ELNS1_3repE0EEENS1_30default_config_static_selectorELNS0_4arch9wavefront6targetE1EEEvT1_
	.p2align	8
	.type	_ZN7rocprim17ROCPRIM_400000_NS6detail17trampoline_kernelINS0_14default_configENS1_20scan_config_selectorIfEEZZNS1_9scan_implILNS1_25lookback_scan_determinismE0ELb1ELb1ES3_N6thrust23THRUST_200600_302600_NS6detail15normal_iteratorINS9_10device_ptrIfEEEENS9_16discard_iteratorINS9_11use_defaultEEEf11max_functorIfEfEEDaPvRmT3_T4_T5_mT6_P12ihipStream_tbENKUlT_T0_E_clISt17integral_constantIbLb0EESX_EEDaSS_ST_EUlSS_E0_NS1_11comp_targetILNS1_3genE3ELNS1_11target_archE908ELNS1_3gpuE7ELNS1_3repE0EEENS1_30default_config_static_selectorELNS0_4arch9wavefront6targetE1EEEvT1_,@function
_ZN7rocprim17ROCPRIM_400000_NS6detail17trampoline_kernelINS0_14default_configENS1_20scan_config_selectorIfEEZZNS1_9scan_implILNS1_25lookback_scan_determinismE0ELb1ELb1ES3_N6thrust23THRUST_200600_302600_NS6detail15normal_iteratorINS9_10device_ptrIfEEEENS9_16discard_iteratorINS9_11use_defaultEEEf11max_functorIfEfEEDaPvRmT3_T4_T5_mT6_P12ihipStream_tbENKUlT_T0_E_clISt17integral_constantIbLb0EESX_EEDaSS_ST_EUlSS_E0_NS1_11comp_targetILNS1_3genE3ELNS1_11target_archE908ELNS1_3gpuE7ELNS1_3repE0EEENS1_30default_config_static_selectorELNS0_4arch9wavefront6targetE1EEEvT1_: ; @_ZN7rocprim17ROCPRIM_400000_NS6detail17trampoline_kernelINS0_14default_configENS1_20scan_config_selectorIfEEZZNS1_9scan_implILNS1_25lookback_scan_determinismE0ELb1ELb1ES3_N6thrust23THRUST_200600_302600_NS6detail15normal_iteratorINS9_10device_ptrIfEEEENS9_16discard_iteratorINS9_11use_defaultEEEf11max_functorIfEfEEDaPvRmT3_T4_T5_mT6_P12ihipStream_tbENKUlT_T0_E_clISt17integral_constantIbLb0EESX_EEDaSS_ST_EUlSS_E0_NS1_11comp_targetILNS1_3genE3ELNS1_11target_archE908ELNS1_3gpuE7ELNS1_3repE0EEENS1_30default_config_static_selectorELNS0_4arch9wavefront6targetE1EEEvT1_
; %bb.0:
	.section	.rodata,"a",@progbits
	.p2align	6, 0x0
	.amdhsa_kernel _ZN7rocprim17ROCPRIM_400000_NS6detail17trampoline_kernelINS0_14default_configENS1_20scan_config_selectorIfEEZZNS1_9scan_implILNS1_25lookback_scan_determinismE0ELb1ELb1ES3_N6thrust23THRUST_200600_302600_NS6detail15normal_iteratorINS9_10device_ptrIfEEEENS9_16discard_iteratorINS9_11use_defaultEEEf11max_functorIfEfEEDaPvRmT3_T4_T5_mT6_P12ihipStream_tbENKUlT_T0_E_clISt17integral_constantIbLb0EESX_EEDaSS_ST_EUlSS_E0_NS1_11comp_targetILNS1_3genE3ELNS1_11target_archE908ELNS1_3gpuE7ELNS1_3repE0EEENS1_30default_config_static_selectorELNS0_4arch9wavefront6targetE1EEEvT1_
		.amdhsa_group_segment_fixed_size 0
		.amdhsa_private_segment_fixed_size 0
		.amdhsa_kernarg_size 40
		.amdhsa_user_sgpr_count 6
		.amdhsa_user_sgpr_private_segment_buffer 1
		.amdhsa_user_sgpr_dispatch_ptr 0
		.amdhsa_user_sgpr_queue_ptr 0
		.amdhsa_user_sgpr_kernarg_segment_ptr 1
		.amdhsa_user_sgpr_dispatch_id 0
		.amdhsa_user_sgpr_flat_scratch_init 0
		.amdhsa_user_sgpr_kernarg_preload_length 0
		.amdhsa_user_sgpr_kernarg_preload_offset 0
		.amdhsa_user_sgpr_private_segment_size 0
		.amdhsa_uses_dynamic_stack 0
		.amdhsa_system_sgpr_private_segment_wavefront_offset 0
		.amdhsa_system_sgpr_workgroup_id_x 1
		.amdhsa_system_sgpr_workgroup_id_y 0
		.amdhsa_system_sgpr_workgroup_id_z 0
		.amdhsa_system_sgpr_workgroup_info 0
		.amdhsa_system_vgpr_workitem_id 0
		.amdhsa_next_free_vgpr 1
		.amdhsa_next_free_sgpr 0
		.amdhsa_accum_offset 4
		.amdhsa_reserve_vcc 0
		.amdhsa_reserve_flat_scratch 0
		.amdhsa_float_round_mode_32 0
		.amdhsa_float_round_mode_16_64 0
		.amdhsa_float_denorm_mode_32 3
		.amdhsa_float_denorm_mode_16_64 3
		.amdhsa_dx10_clamp 1
		.amdhsa_ieee_mode 1
		.amdhsa_fp16_overflow 0
		.amdhsa_tg_split 0
		.amdhsa_exception_fp_ieee_invalid_op 0
		.amdhsa_exception_fp_denorm_src 0
		.amdhsa_exception_fp_ieee_div_zero 0
		.amdhsa_exception_fp_ieee_overflow 0
		.amdhsa_exception_fp_ieee_underflow 0
		.amdhsa_exception_fp_ieee_inexact 0
		.amdhsa_exception_int_div_zero 0
	.end_amdhsa_kernel
	.section	.text._ZN7rocprim17ROCPRIM_400000_NS6detail17trampoline_kernelINS0_14default_configENS1_20scan_config_selectorIfEEZZNS1_9scan_implILNS1_25lookback_scan_determinismE0ELb1ELb1ES3_N6thrust23THRUST_200600_302600_NS6detail15normal_iteratorINS9_10device_ptrIfEEEENS9_16discard_iteratorINS9_11use_defaultEEEf11max_functorIfEfEEDaPvRmT3_T4_T5_mT6_P12ihipStream_tbENKUlT_T0_E_clISt17integral_constantIbLb0EESX_EEDaSS_ST_EUlSS_E0_NS1_11comp_targetILNS1_3genE3ELNS1_11target_archE908ELNS1_3gpuE7ELNS1_3repE0EEENS1_30default_config_static_selectorELNS0_4arch9wavefront6targetE1EEEvT1_,"axG",@progbits,_ZN7rocprim17ROCPRIM_400000_NS6detail17trampoline_kernelINS0_14default_configENS1_20scan_config_selectorIfEEZZNS1_9scan_implILNS1_25lookback_scan_determinismE0ELb1ELb1ES3_N6thrust23THRUST_200600_302600_NS6detail15normal_iteratorINS9_10device_ptrIfEEEENS9_16discard_iteratorINS9_11use_defaultEEEf11max_functorIfEfEEDaPvRmT3_T4_T5_mT6_P12ihipStream_tbENKUlT_T0_E_clISt17integral_constantIbLb0EESX_EEDaSS_ST_EUlSS_E0_NS1_11comp_targetILNS1_3genE3ELNS1_11target_archE908ELNS1_3gpuE7ELNS1_3repE0EEENS1_30default_config_static_selectorELNS0_4arch9wavefront6targetE1EEEvT1_,comdat
.Lfunc_end3218:
	.size	_ZN7rocprim17ROCPRIM_400000_NS6detail17trampoline_kernelINS0_14default_configENS1_20scan_config_selectorIfEEZZNS1_9scan_implILNS1_25lookback_scan_determinismE0ELb1ELb1ES3_N6thrust23THRUST_200600_302600_NS6detail15normal_iteratorINS9_10device_ptrIfEEEENS9_16discard_iteratorINS9_11use_defaultEEEf11max_functorIfEfEEDaPvRmT3_T4_T5_mT6_P12ihipStream_tbENKUlT_T0_E_clISt17integral_constantIbLb0EESX_EEDaSS_ST_EUlSS_E0_NS1_11comp_targetILNS1_3genE3ELNS1_11target_archE908ELNS1_3gpuE7ELNS1_3repE0EEENS1_30default_config_static_selectorELNS0_4arch9wavefront6targetE1EEEvT1_, .Lfunc_end3218-_ZN7rocprim17ROCPRIM_400000_NS6detail17trampoline_kernelINS0_14default_configENS1_20scan_config_selectorIfEEZZNS1_9scan_implILNS1_25lookback_scan_determinismE0ELb1ELb1ES3_N6thrust23THRUST_200600_302600_NS6detail15normal_iteratorINS9_10device_ptrIfEEEENS9_16discard_iteratorINS9_11use_defaultEEEf11max_functorIfEfEEDaPvRmT3_T4_T5_mT6_P12ihipStream_tbENKUlT_T0_E_clISt17integral_constantIbLb0EESX_EEDaSS_ST_EUlSS_E0_NS1_11comp_targetILNS1_3genE3ELNS1_11target_archE908ELNS1_3gpuE7ELNS1_3repE0EEENS1_30default_config_static_selectorELNS0_4arch9wavefront6targetE1EEEvT1_
                                        ; -- End function
	.section	.AMDGPU.csdata,"",@progbits
; Kernel info:
; codeLenInByte = 0
; NumSgprs: 4
; NumVgprs: 0
; NumAgprs: 0
; TotalNumVgprs: 0
; ScratchSize: 0
; MemoryBound: 0
; FloatMode: 240
; IeeeMode: 1
; LDSByteSize: 0 bytes/workgroup (compile time only)
; SGPRBlocks: 0
; VGPRBlocks: 0
; NumSGPRsForWavesPerEU: 4
; NumVGPRsForWavesPerEU: 1
; AccumOffset: 4
; Occupancy: 8
; WaveLimiterHint : 0
; COMPUTE_PGM_RSRC2:SCRATCH_EN: 0
; COMPUTE_PGM_RSRC2:USER_SGPR: 6
; COMPUTE_PGM_RSRC2:TRAP_HANDLER: 0
; COMPUTE_PGM_RSRC2:TGID_X_EN: 1
; COMPUTE_PGM_RSRC2:TGID_Y_EN: 0
; COMPUTE_PGM_RSRC2:TGID_Z_EN: 0
; COMPUTE_PGM_RSRC2:TIDIG_COMP_CNT: 0
; COMPUTE_PGM_RSRC3_GFX90A:ACCUM_OFFSET: 0
; COMPUTE_PGM_RSRC3_GFX90A:TG_SPLIT: 0
	.section	.text._ZN7rocprim17ROCPRIM_400000_NS6detail17trampoline_kernelINS0_14default_configENS1_20scan_config_selectorIfEEZZNS1_9scan_implILNS1_25lookback_scan_determinismE0ELb1ELb1ES3_N6thrust23THRUST_200600_302600_NS6detail15normal_iteratorINS9_10device_ptrIfEEEENS9_16discard_iteratorINS9_11use_defaultEEEf11max_functorIfEfEEDaPvRmT3_T4_T5_mT6_P12ihipStream_tbENKUlT_T0_E_clISt17integral_constantIbLb0EESX_EEDaSS_ST_EUlSS_E0_NS1_11comp_targetILNS1_3genE2ELNS1_11target_archE906ELNS1_3gpuE6ELNS1_3repE0EEENS1_30default_config_static_selectorELNS0_4arch9wavefront6targetE1EEEvT1_,"axG",@progbits,_ZN7rocprim17ROCPRIM_400000_NS6detail17trampoline_kernelINS0_14default_configENS1_20scan_config_selectorIfEEZZNS1_9scan_implILNS1_25lookback_scan_determinismE0ELb1ELb1ES3_N6thrust23THRUST_200600_302600_NS6detail15normal_iteratorINS9_10device_ptrIfEEEENS9_16discard_iteratorINS9_11use_defaultEEEf11max_functorIfEfEEDaPvRmT3_T4_T5_mT6_P12ihipStream_tbENKUlT_T0_E_clISt17integral_constantIbLb0EESX_EEDaSS_ST_EUlSS_E0_NS1_11comp_targetILNS1_3genE2ELNS1_11target_archE906ELNS1_3gpuE6ELNS1_3repE0EEENS1_30default_config_static_selectorELNS0_4arch9wavefront6targetE1EEEvT1_,comdat
	.protected	_ZN7rocprim17ROCPRIM_400000_NS6detail17trampoline_kernelINS0_14default_configENS1_20scan_config_selectorIfEEZZNS1_9scan_implILNS1_25lookback_scan_determinismE0ELb1ELb1ES3_N6thrust23THRUST_200600_302600_NS6detail15normal_iteratorINS9_10device_ptrIfEEEENS9_16discard_iteratorINS9_11use_defaultEEEf11max_functorIfEfEEDaPvRmT3_T4_T5_mT6_P12ihipStream_tbENKUlT_T0_E_clISt17integral_constantIbLb0EESX_EEDaSS_ST_EUlSS_E0_NS1_11comp_targetILNS1_3genE2ELNS1_11target_archE906ELNS1_3gpuE6ELNS1_3repE0EEENS1_30default_config_static_selectorELNS0_4arch9wavefront6targetE1EEEvT1_ ; -- Begin function _ZN7rocprim17ROCPRIM_400000_NS6detail17trampoline_kernelINS0_14default_configENS1_20scan_config_selectorIfEEZZNS1_9scan_implILNS1_25lookback_scan_determinismE0ELb1ELb1ES3_N6thrust23THRUST_200600_302600_NS6detail15normal_iteratorINS9_10device_ptrIfEEEENS9_16discard_iteratorINS9_11use_defaultEEEf11max_functorIfEfEEDaPvRmT3_T4_T5_mT6_P12ihipStream_tbENKUlT_T0_E_clISt17integral_constantIbLb0EESX_EEDaSS_ST_EUlSS_E0_NS1_11comp_targetILNS1_3genE2ELNS1_11target_archE906ELNS1_3gpuE6ELNS1_3repE0EEENS1_30default_config_static_selectorELNS0_4arch9wavefront6targetE1EEEvT1_
	.globl	_ZN7rocprim17ROCPRIM_400000_NS6detail17trampoline_kernelINS0_14default_configENS1_20scan_config_selectorIfEEZZNS1_9scan_implILNS1_25lookback_scan_determinismE0ELb1ELb1ES3_N6thrust23THRUST_200600_302600_NS6detail15normal_iteratorINS9_10device_ptrIfEEEENS9_16discard_iteratorINS9_11use_defaultEEEf11max_functorIfEfEEDaPvRmT3_T4_T5_mT6_P12ihipStream_tbENKUlT_T0_E_clISt17integral_constantIbLb0EESX_EEDaSS_ST_EUlSS_E0_NS1_11comp_targetILNS1_3genE2ELNS1_11target_archE906ELNS1_3gpuE6ELNS1_3repE0EEENS1_30default_config_static_selectorELNS0_4arch9wavefront6targetE1EEEvT1_
	.p2align	8
	.type	_ZN7rocprim17ROCPRIM_400000_NS6detail17trampoline_kernelINS0_14default_configENS1_20scan_config_selectorIfEEZZNS1_9scan_implILNS1_25lookback_scan_determinismE0ELb1ELb1ES3_N6thrust23THRUST_200600_302600_NS6detail15normal_iteratorINS9_10device_ptrIfEEEENS9_16discard_iteratorINS9_11use_defaultEEEf11max_functorIfEfEEDaPvRmT3_T4_T5_mT6_P12ihipStream_tbENKUlT_T0_E_clISt17integral_constantIbLb0EESX_EEDaSS_ST_EUlSS_E0_NS1_11comp_targetILNS1_3genE2ELNS1_11target_archE906ELNS1_3gpuE6ELNS1_3repE0EEENS1_30default_config_static_selectorELNS0_4arch9wavefront6targetE1EEEvT1_,@function
_ZN7rocprim17ROCPRIM_400000_NS6detail17trampoline_kernelINS0_14default_configENS1_20scan_config_selectorIfEEZZNS1_9scan_implILNS1_25lookback_scan_determinismE0ELb1ELb1ES3_N6thrust23THRUST_200600_302600_NS6detail15normal_iteratorINS9_10device_ptrIfEEEENS9_16discard_iteratorINS9_11use_defaultEEEf11max_functorIfEfEEDaPvRmT3_T4_T5_mT6_P12ihipStream_tbENKUlT_T0_E_clISt17integral_constantIbLb0EESX_EEDaSS_ST_EUlSS_E0_NS1_11comp_targetILNS1_3genE2ELNS1_11target_archE906ELNS1_3gpuE6ELNS1_3repE0EEENS1_30default_config_static_selectorELNS0_4arch9wavefront6targetE1EEEvT1_: ; @_ZN7rocprim17ROCPRIM_400000_NS6detail17trampoline_kernelINS0_14default_configENS1_20scan_config_selectorIfEEZZNS1_9scan_implILNS1_25lookback_scan_determinismE0ELb1ELb1ES3_N6thrust23THRUST_200600_302600_NS6detail15normal_iteratorINS9_10device_ptrIfEEEENS9_16discard_iteratorINS9_11use_defaultEEEf11max_functorIfEfEEDaPvRmT3_T4_T5_mT6_P12ihipStream_tbENKUlT_T0_E_clISt17integral_constantIbLb0EESX_EEDaSS_ST_EUlSS_E0_NS1_11comp_targetILNS1_3genE2ELNS1_11target_archE906ELNS1_3gpuE6ELNS1_3repE0EEENS1_30default_config_static_selectorELNS0_4arch9wavefront6targetE1EEEvT1_
; %bb.0:
	.section	.rodata,"a",@progbits
	.p2align	6, 0x0
	.amdhsa_kernel _ZN7rocprim17ROCPRIM_400000_NS6detail17trampoline_kernelINS0_14default_configENS1_20scan_config_selectorIfEEZZNS1_9scan_implILNS1_25lookback_scan_determinismE0ELb1ELb1ES3_N6thrust23THRUST_200600_302600_NS6detail15normal_iteratorINS9_10device_ptrIfEEEENS9_16discard_iteratorINS9_11use_defaultEEEf11max_functorIfEfEEDaPvRmT3_T4_T5_mT6_P12ihipStream_tbENKUlT_T0_E_clISt17integral_constantIbLb0EESX_EEDaSS_ST_EUlSS_E0_NS1_11comp_targetILNS1_3genE2ELNS1_11target_archE906ELNS1_3gpuE6ELNS1_3repE0EEENS1_30default_config_static_selectorELNS0_4arch9wavefront6targetE1EEEvT1_
		.amdhsa_group_segment_fixed_size 0
		.amdhsa_private_segment_fixed_size 0
		.amdhsa_kernarg_size 40
		.amdhsa_user_sgpr_count 6
		.amdhsa_user_sgpr_private_segment_buffer 1
		.amdhsa_user_sgpr_dispatch_ptr 0
		.amdhsa_user_sgpr_queue_ptr 0
		.amdhsa_user_sgpr_kernarg_segment_ptr 1
		.amdhsa_user_sgpr_dispatch_id 0
		.amdhsa_user_sgpr_flat_scratch_init 0
		.amdhsa_user_sgpr_kernarg_preload_length 0
		.amdhsa_user_sgpr_kernarg_preload_offset 0
		.amdhsa_user_sgpr_private_segment_size 0
		.amdhsa_uses_dynamic_stack 0
		.amdhsa_system_sgpr_private_segment_wavefront_offset 0
		.amdhsa_system_sgpr_workgroup_id_x 1
		.amdhsa_system_sgpr_workgroup_id_y 0
		.amdhsa_system_sgpr_workgroup_id_z 0
		.amdhsa_system_sgpr_workgroup_info 0
		.amdhsa_system_vgpr_workitem_id 0
		.amdhsa_next_free_vgpr 1
		.amdhsa_next_free_sgpr 0
		.amdhsa_accum_offset 4
		.amdhsa_reserve_vcc 0
		.amdhsa_reserve_flat_scratch 0
		.amdhsa_float_round_mode_32 0
		.amdhsa_float_round_mode_16_64 0
		.amdhsa_float_denorm_mode_32 3
		.amdhsa_float_denorm_mode_16_64 3
		.amdhsa_dx10_clamp 1
		.amdhsa_ieee_mode 1
		.amdhsa_fp16_overflow 0
		.amdhsa_tg_split 0
		.amdhsa_exception_fp_ieee_invalid_op 0
		.amdhsa_exception_fp_denorm_src 0
		.amdhsa_exception_fp_ieee_div_zero 0
		.amdhsa_exception_fp_ieee_overflow 0
		.amdhsa_exception_fp_ieee_underflow 0
		.amdhsa_exception_fp_ieee_inexact 0
		.amdhsa_exception_int_div_zero 0
	.end_amdhsa_kernel
	.section	.text._ZN7rocprim17ROCPRIM_400000_NS6detail17trampoline_kernelINS0_14default_configENS1_20scan_config_selectorIfEEZZNS1_9scan_implILNS1_25lookback_scan_determinismE0ELb1ELb1ES3_N6thrust23THRUST_200600_302600_NS6detail15normal_iteratorINS9_10device_ptrIfEEEENS9_16discard_iteratorINS9_11use_defaultEEEf11max_functorIfEfEEDaPvRmT3_T4_T5_mT6_P12ihipStream_tbENKUlT_T0_E_clISt17integral_constantIbLb0EESX_EEDaSS_ST_EUlSS_E0_NS1_11comp_targetILNS1_3genE2ELNS1_11target_archE906ELNS1_3gpuE6ELNS1_3repE0EEENS1_30default_config_static_selectorELNS0_4arch9wavefront6targetE1EEEvT1_,"axG",@progbits,_ZN7rocprim17ROCPRIM_400000_NS6detail17trampoline_kernelINS0_14default_configENS1_20scan_config_selectorIfEEZZNS1_9scan_implILNS1_25lookback_scan_determinismE0ELb1ELb1ES3_N6thrust23THRUST_200600_302600_NS6detail15normal_iteratorINS9_10device_ptrIfEEEENS9_16discard_iteratorINS9_11use_defaultEEEf11max_functorIfEfEEDaPvRmT3_T4_T5_mT6_P12ihipStream_tbENKUlT_T0_E_clISt17integral_constantIbLb0EESX_EEDaSS_ST_EUlSS_E0_NS1_11comp_targetILNS1_3genE2ELNS1_11target_archE906ELNS1_3gpuE6ELNS1_3repE0EEENS1_30default_config_static_selectorELNS0_4arch9wavefront6targetE1EEEvT1_,comdat
.Lfunc_end3219:
	.size	_ZN7rocprim17ROCPRIM_400000_NS6detail17trampoline_kernelINS0_14default_configENS1_20scan_config_selectorIfEEZZNS1_9scan_implILNS1_25lookback_scan_determinismE0ELb1ELb1ES3_N6thrust23THRUST_200600_302600_NS6detail15normal_iteratorINS9_10device_ptrIfEEEENS9_16discard_iteratorINS9_11use_defaultEEEf11max_functorIfEfEEDaPvRmT3_T4_T5_mT6_P12ihipStream_tbENKUlT_T0_E_clISt17integral_constantIbLb0EESX_EEDaSS_ST_EUlSS_E0_NS1_11comp_targetILNS1_3genE2ELNS1_11target_archE906ELNS1_3gpuE6ELNS1_3repE0EEENS1_30default_config_static_selectorELNS0_4arch9wavefront6targetE1EEEvT1_, .Lfunc_end3219-_ZN7rocprim17ROCPRIM_400000_NS6detail17trampoline_kernelINS0_14default_configENS1_20scan_config_selectorIfEEZZNS1_9scan_implILNS1_25lookback_scan_determinismE0ELb1ELb1ES3_N6thrust23THRUST_200600_302600_NS6detail15normal_iteratorINS9_10device_ptrIfEEEENS9_16discard_iteratorINS9_11use_defaultEEEf11max_functorIfEfEEDaPvRmT3_T4_T5_mT6_P12ihipStream_tbENKUlT_T0_E_clISt17integral_constantIbLb0EESX_EEDaSS_ST_EUlSS_E0_NS1_11comp_targetILNS1_3genE2ELNS1_11target_archE906ELNS1_3gpuE6ELNS1_3repE0EEENS1_30default_config_static_selectorELNS0_4arch9wavefront6targetE1EEEvT1_
                                        ; -- End function
	.section	.AMDGPU.csdata,"",@progbits
; Kernel info:
; codeLenInByte = 0
; NumSgprs: 4
; NumVgprs: 0
; NumAgprs: 0
; TotalNumVgprs: 0
; ScratchSize: 0
; MemoryBound: 0
; FloatMode: 240
; IeeeMode: 1
; LDSByteSize: 0 bytes/workgroup (compile time only)
; SGPRBlocks: 0
; VGPRBlocks: 0
; NumSGPRsForWavesPerEU: 4
; NumVGPRsForWavesPerEU: 1
; AccumOffset: 4
; Occupancy: 8
; WaveLimiterHint : 0
; COMPUTE_PGM_RSRC2:SCRATCH_EN: 0
; COMPUTE_PGM_RSRC2:USER_SGPR: 6
; COMPUTE_PGM_RSRC2:TRAP_HANDLER: 0
; COMPUTE_PGM_RSRC2:TGID_X_EN: 1
; COMPUTE_PGM_RSRC2:TGID_Y_EN: 0
; COMPUTE_PGM_RSRC2:TGID_Z_EN: 0
; COMPUTE_PGM_RSRC2:TIDIG_COMP_CNT: 0
; COMPUTE_PGM_RSRC3_GFX90A:ACCUM_OFFSET: 0
; COMPUTE_PGM_RSRC3_GFX90A:TG_SPLIT: 0
	.section	.text._ZN7rocprim17ROCPRIM_400000_NS6detail17trampoline_kernelINS0_14default_configENS1_20scan_config_selectorIfEEZZNS1_9scan_implILNS1_25lookback_scan_determinismE0ELb1ELb1ES3_N6thrust23THRUST_200600_302600_NS6detail15normal_iteratorINS9_10device_ptrIfEEEENS9_16discard_iteratorINS9_11use_defaultEEEf11max_functorIfEfEEDaPvRmT3_T4_T5_mT6_P12ihipStream_tbENKUlT_T0_E_clISt17integral_constantIbLb0EESX_EEDaSS_ST_EUlSS_E0_NS1_11comp_targetILNS1_3genE10ELNS1_11target_archE1201ELNS1_3gpuE5ELNS1_3repE0EEENS1_30default_config_static_selectorELNS0_4arch9wavefront6targetE1EEEvT1_,"axG",@progbits,_ZN7rocprim17ROCPRIM_400000_NS6detail17trampoline_kernelINS0_14default_configENS1_20scan_config_selectorIfEEZZNS1_9scan_implILNS1_25lookback_scan_determinismE0ELb1ELb1ES3_N6thrust23THRUST_200600_302600_NS6detail15normal_iteratorINS9_10device_ptrIfEEEENS9_16discard_iteratorINS9_11use_defaultEEEf11max_functorIfEfEEDaPvRmT3_T4_T5_mT6_P12ihipStream_tbENKUlT_T0_E_clISt17integral_constantIbLb0EESX_EEDaSS_ST_EUlSS_E0_NS1_11comp_targetILNS1_3genE10ELNS1_11target_archE1201ELNS1_3gpuE5ELNS1_3repE0EEENS1_30default_config_static_selectorELNS0_4arch9wavefront6targetE1EEEvT1_,comdat
	.protected	_ZN7rocprim17ROCPRIM_400000_NS6detail17trampoline_kernelINS0_14default_configENS1_20scan_config_selectorIfEEZZNS1_9scan_implILNS1_25lookback_scan_determinismE0ELb1ELb1ES3_N6thrust23THRUST_200600_302600_NS6detail15normal_iteratorINS9_10device_ptrIfEEEENS9_16discard_iteratorINS9_11use_defaultEEEf11max_functorIfEfEEDaPvRmT3_T4_T5_mT6_P12ihipStream_tbENKUlT_T0_E_clISt17integral_constantIbLb0EESX_EEDaSS_ST_EUlSS_E0_NS1_11comp_targetILNS1_3genE10ELNS1_11target_archE1201ELNS1_3gpuE5ELNS1_3repE0EEENS1_30default_config_static_selectorELNS0_4arch9wavefront6targetE1EEEvT1_ ; -- Begin function _ZN7rocprim17ROCPRIM_400000_NS6detail17trampoline_kernelINS0_14default_configENS1_20scan_config_selectorIfEEZZNS1_9scan_implILNS1_25lookback_scan_determinismE0ELb1ELb1ES3_N6thrust23THRUST_200600_302600_NS6detail15normal_iteratorINS9_10device_ptrIfEEEENS9_16discard_iteratorINS9_11use_defaultEEEf11max_functorIfEfEEDaPvRmT3_T4_T5_mT6_P12ihipStream_tbENKUlT_T0_E_clISt17integral_constantIbLb0EESX_EEDaSS_ST_EUlSS_E0_NS1_11comp_targetILNS1_3genE10ELNS1_11target_archE1201ELNS1_3gpuE5ELNS1_3repE0EEENS1_30default_config_static_selectorELNS0_4arch9wavefront6targetE1EEEvT1_
	.globl	_ZN7rocprim17ROCPRIM_400000_NS6detail17trampoline_kernelINS0_14default_configENS1_20scan_config_selectorIfEEZZNS1_9scan_implILNS1_25lookback_scan_determinismE0ELb1ELb1ES3_N6thrust23THRUST_200600_302600_NS6detail15normal_iteratorINS9_10device_ptrIfEEEENS9_16discard_iteratorINS9_11use_defaultEEEf11max_functorIfEfEEDaPvRmT3_T4_T5_mT6_P12ihipStream_tbENKUlT_T0_E_clISt17integral_constantIbLb0EESX_EEDaSS_ST_EUlSS_E0_NS1_11comp_targetILNS1_3genE10ELNS1_11target_archE1201ELNS1_3gpuE5ELNS1_3repE0EEENS1_30default_config_static_selectorELNS0_4arch9wavefront6targetE1EEEvT1_
	.p2align	8
	.type	_ZN7rocprim17ROCPRIM_400000_NS6detail17trampoline_kernelINS0_14default_configENS1_20scan_config_selectorIfEEZZNS1_9scan_implILNS1_25lookback_scan_determinismE0ELb1ELb1ES3_N6thrust23THRUST_200600_302600_NS6detail15normal_iteratorINS9_10device_ptrIfEEEENS9_16discard_iteratorINS9_11use_defaultEEEf11max_functorIfEfEEDaPvRmT3_T4_T5_mT6_P12ihipStream_tbENKUlT_T0_E_clISt17integral_constantIbLb0EESX_EEDaSS_ST_EUlSS_E0_NS1_11comp_targetILNS1_3genE10ELNS1_11target_archE1201ELNS1_3gpuE5ELNS1_3repE0EEENS1_30default_config_static_selectorELNS0_4arch9wavefront6targetE1EEEvT1_,@function
_ZN7rocprim17ROCPRIM_400000_NS6detail17trampoline_kernelINS0_14default_configENS1_20scan_config_selectorIfEEZZNS1_9scan_implILNS1_25lookback_scan_determinismE0ELb1ELb1ES3_N6thrust23THRUST_200600_302600_NS6detail15normal_iteratorINS9_10device_ptrIfEEEENS9_16discard_iteratorINS9_11use_defaultEEEf11max_functorIfEfEEDaPvRmT3_T4_T5_mT6_P12ihipStream_tbENKUlT_T0_E_clISt17integral_constantIbLb0EESX_EEDaSS_ST_EUlSS_E0_NS1_11comp_targetILNS1_3genE10ELNS1_11target_archE1201ELNS1_3gpuE5ELNS1_3repE0EEENS1_30default_config_static_selectorELNS0_4arch9wavefront6targetE1EEEvT1_: ; @_ZN7rocprim17ROCPRIM_400000_NS6detail17trampoline_kernelINS0_14default_configENS1_20scan_config_selectorIfEEZZNS1_9scan_implILNS1_25lookback_scan_determinismE0ELb1ELb1ES3_N6thrust23THRUST_200600_302600_NS6detail15normal_iteratorINS9_10device_ptrIfEEEENS9_16discard_iteratorINS9_11use_defaultEEEf11max_functorIfEfEEDaPvRmT3_T4_T5_mT6_P12ihipStream_tbENKUlT_T0_E_clISt17integral_constantIbLb0EESX_EEDaSS_ST_EUlSS_E0_NS1_11comp_targetILNS1_3genE10ELNS1_11target_archE1201ELNS1_3gpuE5ELNS1_3repE0EEENS1_30default_config_static_selectorELNS0_4arch9wavefront6targetE1EEEvT1_
; %bb.0:
	.section	.rodata,"a",@progbits
	.p2align	6, 0x0
	.amdhsa_kernel _ZN7rocprim17ROCPRIM_400000_NS6detail17trampoline_kernelINS0_14default_configENS1_20scan_config_selectorIfEEZZNS1_9scan_implILNS1_25lookback_scan_determinismE0ELb1ELb1ES3_N6thrust23THRUST_200600_302600_NS6detail15normal_iteratorINS9_10device_ptrIfEEEENS9_16discard_iteratorINS9_11use_defaultEEEf11max_functorIfEfEEDaPvRmT3_T4_T5_mT6_P12ihipStream_tbENKUlT_T0_E_clISt17integral_constantIbLb0EESX_EEDaSS_ST_EUlSS_E0_NS1_11comp_targetILNS1_3genE10ELNS1_11target_archE1201ELNS1_3gpuE5ELNS1_3repE0EEENS1_30default_config_static_selectorELNS0_4arch9wavefront6targetE1EEEvT1_
		.amdhsa_group_segment_fixed_size 0
		.amdhsa_private_segment_fixed_size 0
		.amdhsa_kernarg_size 40
		.amdhsa_user_sgpr_count 6
		.amdhsa_user_sgpr_private_segment_buffer 1
		.amdhsa_user_sgpr_dispatch_ptr 0
		.amdhsa_user_sgpr_queue_ptr 0
		.amdhsa_user_sgpr_kernarg_segment_ptr 1
		.amdhsa_user_sgpr_dispatch_id 0
		.amdhsa_user_sgpr_flat_scratch_init 0
		.amdhsa_user_sgpr_kernarg_preload_length 0
		.amdhsa_user_sgpr_kernarg_preload_offset 0
		.amdhsa_user_sgpr_private_segment_size 0
		.amdhsa_uses_dynamic_stack 0
		.amdhsa_system_sgpr_private_segment_wavefront_offset 0
		.amdhsa_system_sgpr_workgroup_id_x 1
		.amdhsa_system_sgpr_workgroup_id_y 0
		.amdhsa_system_sgpr_workgroup_id_z 0
		.amdhsa_system_sgpr_workgroup_info 0
		.amdhsa_system_vgpr_workitem_id 0
		.amdhsa_next_free_vgpr 1
		.amdhsa_next_free_sgpr 0
		.amdhsa_accum_offset 4
		.amdhsa_reserve_vcc 0
		.amdhsa_reserve_flat_scratch 0
		.amdhsa_float_round_mode_32 0
		.amdhsa_float_round_mode_16_64 0
		.amdhsa_float_denorm_mode_32 3
		.amdhsa_float_denorm_mode_16_64 3
		.amdhsa_dx10_clamp 1
		.amdhsa_ieee_mode 1
		.amdhsa_fp16_overflow 0
		.amdhsa_tg_split 0
		.amdhsa_exception_fp_ieee_invalid_op 0
		.amdhsa_exception_fp_denorm_src 0
		.amdhsa_exception_fp_ieee_div_zero 0
		.amdhsa_exception_fp_ieee_overflow 0
		.amdhsa_exception_fp_ieee_underflow 0
		.amdhsa_exception_fp_ieee_inexact 0
		.amdhsa_exception_int_div_zero 0
	.end_amdhsa_kernel
	.section	.text._ZN7rocprim17ROCPRIM_400000_NS6detail17trampoline_kernelINS0_14default_configENS1_20scan_config_selectorIfEEZZNS1_9scan_implILNS1_25lookback_scan_determinismE0ELb1ELb1ES3_N6thrust23THRUST_200600_302600_NS6detail15normal_iteratorINS9_10device_ptrIfEEEENS9_16discard_iteratorINS9_11use_defaultEEEf11max_functorIfEfEEDaPvRmT3_T4_T5_mT6_P12ihipStream_tbENKUlT_T0_E_clISt17integral_constantIbLb0EESX_EEDaSS_ST_EUlSS_E0_NS1_11comp_targetILNS1_3genE10ELNS1_11target_archE1201ELNS1_3gpuE5ELNS1_3repE0EEENS1_30default_config_static_selectorELNS0_4arch9wavefront6targetE1EEEvT1_,"axG",@progbits,_ZN7rocprim17ROCPRIM_400000_NS6detail17trampoline_kernelINS0_14default_configENS1_20scan_config_selectorIfEEZZNS1_9scan_implILNS1_25lookback_scan_determinismE0ELb1ELb1ES3_N6thrust23THRUST_200600_302600_NS6detail15normal_iteratorINS9_10device_ptrIfEEEENS9_16discard_iteratorINS9_11use_defaultEEEf11max_functorIfEfEEDaPvRmT3_T4_T5_mT6_P12ihipStream_tbENKUlT_T0_E_clISt17integral_constantIbLb0EESX_EEDaSS_ST_EUlSS_E0_NS1_11comp_targetILNS1_3genE10ELNS1_11target_archE1201ELNS1_3gpuE5ELNS1_3repE0EEENS1_30default_config_static_selectorELNS0_4arch9wavefront6targetE1EEEvT1_,comdat
.Lfunc_end3220:
	.size	_ZN7rocprim17ROCPRIM_400000_NS6detail17trampoline_kernelINS0_14default_configENS1_20scan_config_selectorIfEEZZNS1_9scan_implILNS1_25lookback_scan_determinismE0ELb1ELb1ES3_N6thrust23THRUST_200600_302600_NS6detail15normal_iteratorINS9_10device_ptrIfEEEENS9_16discard_iteratorINS9_11use_defaultEEEf11max_functorIfEfEEDaPvRmT3_T4_T5_mT6_P12ihipStream_tbENKUlT_T0_E_clISt17integral_constantIbLb0EESX_EEDaSS_ST_EUlSS_E0_NS1_11comp_targetILNS1_3genE10ELNS1_11target_archE1201ELNS1_3gpuE5ELNS1_3repE0EEENS1_30default_config_static_selectorELNS0_4arch9wavefront6targetE1EEEvT1_, .Lfunc_end3220-_ZN7rocprim17ROCPRIM_400000_NS6detail17trampoline_kernelINS0_14default_configENS1_20scan_config_selectorIfEEZZNS1_9scan_implILNS1_25lookback_scan_determinismE0ELb1ELb1ES3_N6thrust23THRUST_200600_302600_NS6detail15normal_iteratorINS9_10device_ptrIfEEEENS9_16discard_iteratorINS9_11use_defaultEEEf11max_functorIfEfEEDaPvRmT3_T4_T5_mT6_P12ihipStream_tbENKUlT_T0_E_clISt17integral_constantIbLb0EESX_EEDaSS_ST_EUlSS_E0_NS1_11comp_targetILNS1_3genE10ELNS1_11target_archE1201ELNS1_3gpuE5ELNS1_3repE0EEENS1_30default_config_static_selectorELNS0_4arch9wavefront6targetE1EEEvT1_
                                        ; -- End function
	.section	.AMDGPU.csdata,"",@progbits
; Kernel info:
; codeLenInByte = 0
; NumSgprs: 4
; NumVgprs: 0
; NumAgprs: 0
; TotalNumVgprs: 0
; ScratchSize: 0
; MemoryBound: 0
; FloatMode: 240
; IeeeMode: 1
; LDSByteSize: 0 bytes/workgroup (compile time only)
; SGPRBlocks: 0
; VGPRBlocks: 0
; NumSGPRsForWavesPerEU: 4
; NumVGPRsForWavesPerEU: 1
; AccumOffset: 4
; Occupancy: 8
; WaveLimiterHint : 0
; COMPUTE_PGM_RSRC2:SCRATCH_EN: 0
; COMPUTE_PGM_RSRC2:USER_SGPR: 6
; COMPUTE_PGM_RSRC2:TRAP_HANDLER: 0
; COMPUTE_PGM_RSRC2:TGID_X_EN: 1
; COMPUTE_PGM_RSRC2:TGID_Y_EN: 0
; COMPUTE_PGM_RSRC2:TGID_Z_EN: 0
; COMPUTE_PGM_RSRC2:TIDIG_COMP_CNT: 0
; COMPUTE_PGM_RSRC3_GFX90A:ACCUM_OFFSET: 0
; COMPUTE_PGM_RSRC3_GFX90A:TG_SPLIT: 0
	.section	.text._ZN7rocprim17ROCPRIM_400000_NS6detail17trampoline_kernelINS0_14default_configENS1_20scan_config_selectorIfEEZZNS1_9scan_implILNS1_25lookback_scan_determinismE0ELb1ELb1ES3_N6thrust23THRUST_200600_302600_NS6detail15normal_iteratorINS9_10device_ptrIfEEEENS9_16discard_iteratorINS9_11use_defaultEEEf11max_functorIfEfEEDaPvRmT3_T4_T5_mT6_P12ihipStream_tbENKUlT_T0_E_clISt17integral_constantIbLb0EESX_EEDaSS_ST_EUlSS_E0_NS1_11comp_targetILNS1_3genE10ELNS1_11target_archE1200ELNS1_3gpuE4ELNS1_3repE0EEENS1_30default_config_static_selectorELNS0_4arch9wavefront6targetE1EEEvT1_,"axG",@progbits,_ZN7rocprim17ROCPRIM_400000_NS6detail17trampoline_kernelINS0_14default_configENS1_20scan_config_selectorIfEEZZNS1_9scan_implILNS1_25lookback_scan_determinismE0ELb1ELb1ES3_N6thrust23THRUST_200600_302600_NS6detail15normal_iteratorINS9_10device_ptrIfEEEENS9_16discard_iteratorINS9_11use_defaultEEEf11max_functorIfEfEEDaPvRmT3_T4_T5_mT6_P12ihipStream_tbENKUlT_T0_E_clISt17integral_constantIbLb0EESX_EEDaSS_ST_EUlSS_E0_NS1_11comp_targetILNS1_3genE10ELNS1_11target_archE1200ELNS1_3gpuE4ELNS1_3repE0EEENS1_30default_config_static_selectorELNS0_4arch9wavefront6targetE1EEEvT1_,comdat
	.protected	_ZN7rocprim17ROCPRIM_400000_NS6detail17trampoline_kernelINS0_14default_configENS1_20scan_config_selectorIfEEZZNS1_9scan_implILNS1_25lookback_scan_determinismE0ELb1ELb1ES3_N6thrust23THRUST_200600_302600_NS6detail15normal_iteratorINS9_10device_ptrIfEEEENS9_16discard_iteratorINS9_11use_defaultEEEf11max_functorIfEfEEDaPvRmT3_T4_T5_mT6_P12ihipStream_tbENKUlT_T0_E_clISt17integral_constantIbLb0EESX_EEDaSS_ST_EUlSS_E0_NS1_11comp_targetILNS1_3genE10ELNS1_11target_archE1200ELNS1_3gpuE4ELNS1_3repE0EEENS1_30default_config_static_selectorELNS0_4arch9wavefront6targetE1EEEvT1_ ; -- Begin function _ZN7rocprim17ROCPRIM_400000_NS6detail17trampoline_kernelINS0_14default_configENS1_20scan_config_selectorIfEEZZNS1_9scan_implILNS1_25lookback_scan_determinismE0ELb1ELb1ES3_N6thrust23THRUST_200600_302600_NS6detail15normal_iteratorINS9_10device_ptrIfEEEENS9_16discard_iteratorINS9_11use_defaultEEEf11max_functorIfEfEEDaPvRmT3_T4_T5_mT6_P12ihipStream_tbENKUlT_T0_E_clISt17integral_constantIbLb0EESX_EEDaSS_ST_EUlSS_E0_NS1_11comp_targetILNS1_3genE10ELNS1_11target_archE1200ELNS1_3gpuE4ELNS1_3repE0EEENS1_30default_config_static_selectorELNS0_4arch9wavefront6targetE1EEEvT1_
	.globl	_ZN7rocprim17ROCPRIM_400000_NS6detail17trampoline_kernelINS0_14default_configENS1_20scan_config_selectorIfEEZZNS1_9scan_implILNS1_25lookback_scan_determinismE0ELb1ELb1ES3_N6thrust23THRUST_200600_302600_NS6detail15normal_iteratorINS9_10device_ptrIfEEEENS9_16discard_iteratorINS9_11use_defaultEEEf11max_functorIfEfEEDaPvRmT3_T4_T5_mT6_P12ihipStream_tbENKUlT_T0_E_clISt17integral_constantIbLb0EESX_EEDaSS_ST_EUlSS_E0_NS1_11comp_targetILNS1_3genE10ELNS1_11target_archE1200ELNS1_3gpuE4ELNS1_3repE0EEENS1_30default_config_static_selectorELNS0_4arch9wavefront6targetE1EEEvT1_
	.p2align	8
	.type	_ZN7rocprim17ROCPRIM_400000_NS6detail17trampoline_kernelINS0_14default_configENS1_20scan_config_selectorIfEEZZNS1_9scan_implILNS1_25lookback_scan_determinismE0ELb1ELb1ES3_N6thrust23THRUST_200600_302600_NS6detail15normal_iteratorINS9_10device_ptrIfEEEENS9_16discard_iteratorINS9_11use_defaultEEEf11max_functorIfEfEEDaPvRmT3_T4_T5_mT6_P12ihipStream_tbENKUlT_T0_E_clISt17integral_constantIbLb0EESX_EEDaSS_ST_EUlSS_E0_NS1_11comp_targetILNS1_3genE10ELNS1_11target_archE1200ELNS1_3gpuE4ELNS1_3repE0EEENS1_30default_config_static_selectorELNS0_4arch9wavefront6targetE1EEEvT1_,@function
_ZN7rocprim17ROCPRIM_400000_NS6detail17trampoline_kernelINS0_14default_configENS1_20scan_config_selectorIfEEZZNS1_9scan_implILNS1_25lookback_scan_determinismE0ELb1ELb1ES3_N6thrust23THRUST_200600_302600_NS6detail15normal_iteratorINS9_10device_ptrIfEEEENS9_16discard_iteratorINS9_11use_defaultEEEf11max_functorIfEfEEDaPvRmT3_T4_T5_mT6_P12ihipStream_tbENKUlT_T0_E_clISt17integral_constantIbLb0EESX_EEDaSS_ST_EUlSS_E0_NS1_11comp_targetILNS1_3genE10ELNS1_11target_archE1200ELNS1_3gpuE4ELNS1_3repE0EEENS1_30default_config_static_selectorELNS0_4arch9wavefront6targetE1EEEvT1_: ; @_ZN7rocprim17ROCPRIM_400000_NS6detail17trampoline_kernelINS0_14default_configENS1_20scan_config_selectorIfEEZZNS1_9scan_implILNS1_25lookback_scan_determinismE0ELb1ELb1ES3_N6thrust23THRUST_200600_302600_NS6detail15normal_iteratorINS9_10device_ptrIfEEEENS9_16discard_iteratorINS9_11use_defaultEEEf11max_functorIfEfEEDaPvRmT3_T4_T5_mT6_P12ihipStream_tbENKUlT_T0_E_clISt17integral_constantIbLb0EESX_EEDaSS_ST_EUlSS_E0_NS1_11comp_targetILNS1_3genE10ELNS1_11target_archE1200ELNS1_3gpuE4ELNS1_3repE0EEENS1_30default_config_static_selectorELNS0_4arch9wavefront6targetE1EEEvT1_
; %bb.0:
	.section	.rodata,"a",@progbits
	.p2align	6, 0x0
	.amdhsa_kernel _ZN7rocprim17ROCPRIM_400000_NS6detail17trampoline_kernelINS0_14default_configENS1_20scan_config_selectorIfEEZZNS1_9scan_implILNS1_25lookback_scan_determinismE0ELb1ELb1ES3_N6thrust23THRUST_200600_302600_NS6detail15normal_iteratorINS9_10device_ptrIfEEEENS9_16discard_iteratorINS9_11use_defaultEEEf11max_functorIfEfEEDaPvRmT3_T4_T5_mT6_P12ihipStream_tbENKUlT_T0_E_clISt17integral_constantIbLb0EESX_EEDaSS_ST_EUlSS_E0_NS1_11comp_targetILNS1_3genE10ELNS1_11target_archE1200ELNS1_3gpuE4ELNS1_3repE0EEENS1_30default_config_static_selectorELNS0_4arch9wavefront6targetE1EEEvT1_
		.amdhsa_group_segment_fixed_size 0
		.amdhsa_private_segment_fixed_size 0
		.amdhsa_kernarg_size 40
		.amdhsa_user_sgpr_count 6
		.amdhsa_user_sgpr_private_segment_buffer 1
		.amdhsa_user_sgpr_dispatch_ptr 0
		.amdhsa_user_sgpr_queue_ptr 0
		.amdhsa_user_sgpr_kernarg_segment_ptr 1
		.amdhsa_user_sgpr_dispatch_id 0
		.amdhsa_user_sgpr_flat_scratch_init 0
		.amdhsa_user_sgpr_kernarg_preload_length 0
		.amdhsa_user_sgpr_kernarg_preload_offset 0
		.amdhsa_user_sgpr_private_segment_size 0
		.amdhsa_uses_dynamic_stack 0
		.amdhsa_system_sgpr_private_segment_wavefront_offset 0
		.amdhsa_system_sgpr_workgroup_id_x 1
		.amdhsa_system_sgpr_workgroup_id_y 0
		.amdhsa_system_sgpr_workgroup_id_z 0
		.amdhsa_system_sgpr_workgroup_info 0
		.amdhsa_system_vgpr_workitem_id 0
		.amdhsa_next_free_vgpr 1
		.amdhsa_next_free_sgpr 0
		.amdhsa_accum_offset 4
		.amdhsa_reserve_vcc 0
		.amdhsa_reserve_flat_scratch 0
		.amdhsa_float_round_mode_32 0
		.amdhsa_float_round_mode_16_64 0
		.amdhsa_float_denorm_mode_32 3
		.amdhsa_float_denorm_mode_16_64 3
		.amdhsa_dx10_clamp 1
		.amdhsa_ieee_mode 1
		.amdhsa_fp16_overflow 0
		.amdhsa_tg_split 0
		.amdhsa_exception_fp_ieee_invalid_op 0
		.amdhsa_exception_fp_denorm_src 0
		.amdhsa_exception_fp_ieee_div_zero 0
		.amdhsa_exception_fp_ieee_overflow 0
		.amdhsa_exception_fp_ieee_underflow 0
		.amdhsa_exception_fp_ieee_inexact 0
		.amdhsa_exception_int_div_zero 0
	.end_amdhsa_kernel
	.section	.text._ZN7rocprim17ROCPRIM_400000_NS6detail17trampoline_kernelINS0_14default_configENS1_20scan_config_selectorIfEEZZNS1_9scan_implILNS1_25lookback_scan_determinismE0ELb1ELb1ES3_N6thrust23THRUST_200600_302600_NS6detail15normal_iteratorINS9_10device_ptrIfEEEENS9_16discard_iteratorINS9_11use_defaultEEEf11max_functorIfEfEEDaPvRmT3_T4_T5_mT6_P12ihipStream_tbENKUlT_T0_E_clISt17integral_constantIbLb0EESX_EEDaSS_ST_EUlSS_E0_NS1_11comp_targetILNS1_3genE10ELNS1_11target_archE1200ELNS1_3gpuE4ELNS1_3repE0EEENS1_30default_config_static_selectorELNS0_4arch9wavefront6targetE1EEEvT1_,"axG",@progbits,_ZN7rocprim17ROCPRIM_400000_NS6detail17trampoline_kernelINS0_14default_configENS1_20scan_config_selectorIfEEZZNS1_9scan_implILNS1_25lookback_scan_determinismE0ELb1ELb1ES3_N6thrust23THRUST_200600_302600_NS6detail15normal_iteratorINS9_10device_ptrIfEEEENS9_16discard_iteratorINS9_11use_defaultEEEf11max_functorIfEfEEDaPvRmT3_T4_T5_mT6_P12ihipStream_tbENKUlT_T0_E_clISt17integral_constantIbLb0EESX_EEDaSS_ST_EUlSS_E0_NS1_11comp_targetILNS1_3genE10ELNS1_11target_archE1200ELNS1_3gpuE4ELNS1_3repE0EEENS1_30default_config_static_selectorELNS0_4arch9wavefront6targetE1EEEvT1_,comdat
.Lfunc_end3221:
	.size	_ZN7rocprim17ROCPRIM_400000_NS6detail17trampoline_kernelINS0_14default_configENS1_20scan_config_selectorIfEEZZNS1_9scan_implILNS1_25lookback_scan_determinismE0ELb1ELb1ES3_N6thrust23THRUST_200600_302600_NS6detail15normal_iteratorINS9_10device_ptrIfEEEENS9_16discard_iteratorINS9_11use_defaultEEEf11max_functorIfEfEEDaPvRmT3_T4_T5_mT6_P12ihipStream_tbENKUlT_T0_E_clISt17integral_constantIbLb0EESX_EEDaSS_ST_EUlSS_E0_NS1_11comp_targetILNS1_3genE10ELNS1_11target_archE1200ELNS1_3gpuE4ELNS1_3repE0EEENS1_30default_config_static_selectorELNS0_4arch9wavefront6targetE1EEEvT1_, .Lfunc_end3221-_ZN7rocprim17ROCPRIM_400000_NS6detail17trampoline_kernelINS0_14default_configENS1_20scan_config_selectorIfEEZZNS1_9scan_implILNS1_25lookback_scan_determinismE0ELb1ELb1ES3_N6thrust23THRUST_200600_302600_NS6detail15normal_iteratorINS9_10device_ptrIfEEEENS9_16discard_iteratorINS9_11use_defaultEEEf11max_functorIfEfEEDaPvRmT3_T4_T5_mT6_P12ihipStream_tbENKUlT_T0_E_clISt17integral_constantIbLb0EESX_EEDaSS_ST_EUlSS_E0_NS1_11comp_targetILNS1_3genE10ELNS1_11target_archE1200ELNS1_3gpuE4ELNS1_3repE0EEENS1_30default_config_static_selectorELNS0_4arch9wavefront6targetE1EEEvT1_
                                        ; -- End function
	.section	.AMDGPU.csdata,"",@progbits
; Kernel info:
; codeLenInByte = 0
; NumSgprs: 4
; NumVgprs: 0
; NumAgprs: 0
; TotalNumVgprs: 0
; ScratchSize: 0
; MemoryBound: 0
; FloatMode: 240
; IeeeMode: 1
; LDSByteSize: 0 bytes/workgroup (compile time only)
; SGPRBlocks: 0
; VGPRBlocks: 0
; NumSGPRsForWavesPerEU: 4
; NumVGPRsForWavesPerEU: 1
; AccumOffset: 4
; Occupancy: 8
; WaveLimiterHint : 0
; COMPUTE_PGM_RSRC2:SCRATCH_EN: 0
; COMPUTE_PGM_RSRC2:USER_SGPR: 6
; COMPUTE_PGM_RSRC2:TRAP_HANDLER: 0
; COMPUTE_PGM_RSRC2:TGID_X_EN: 1
; COMPUTE_PGM_RSRC2:TGID_Y_EN: 0
; COMPUTE_PGM_RSRC2:TGID_Z_EN: 0
; COMPUTE_PGM_RSRC2:TIDIG_COMP_CNT: 0
; COMPUTE_PGM_RSRC3_GFX90A:ACCUM_OFFSET: 0
; COMPUTE_PGM_RSRC3_GFX90A:TG_SPLIT: 0
	.section	.text._ZN7rocprim17ROCPRIM_400000_NS6detail17trampoline_kernelINS0_14default_configENS1_20scan_config_selectorIfEEZZNS1_9scan_implILNS1_25lookback_scan_determinismE0ELb1ELb1ES3_N6thrust23THRUST_200600_302600_NS6detail15normal_iteratorINS9_10device_ptrIfEEEENS9_16discard_iteratorINS9_11use_defaultEEEf11max_functorIfEfEEDaPvRmT3_T4_T5_mT6_P12ihipStream_tbENKUlT_T0_E_clISt17integral_constantIbLb0EESX_EEDaSS_ST_EUlSS_E0_NS1_11comp_targetILNS1_3genE9ELNS1_11target_archE1100ELNS1_3gpuE3ELNS1_3repE0EEENS1_30default_config_static_selectorELNS0_4arch9wavefront6targetE1EEEvT1_,"axG",@progbits,_ZN7rocprim17ROCPRIM_400000_NS6detail17trampoline_kernelINS0_14default_configENS1_20scan_config_selectorIfEEZZNS1_9scan_implILNS1_25lookback_scan_determinismE0ELb1ELb1ES3_N6thrust23THRUST_200600_302600_NS6detail15normal_iteratorINS9_10device_ptrIfEEEENS9_16discard_iteratorINS9_11use_defaultEEEf11max_functorIfEfEEDaPvRmT3_T4_T5_mT6_P12ihipStream_tbENKUlT_T0_E_clISt17integral_constantIbLb0EESX_EEDaSS_ST_EUlSS_E0_NS1_11comp_targetILNS1_3genE9ELNS1_11target_archE1100ELNS1_3gpuE3ELNS1_3repE0EEENS1_30default_config_static_selectorELNS0_4arch9wavefront6targetE1EEEvT1_,comdat
	.protected	_ZN7rocprim17ROCPRIM_400000_NS6detail17trampoline_kernelINS0_14default_configENS1_20scan_config_selectorIfEEZZNS1_9scan_implILNS1_25lookback_scan_determinismE0ELb1ELb1ES3_N6thrust23THRUST_200600_302600_NS6detail15normal_iteratorINS9_10device_ptrIfEEEENS9_16discard_iteratorINS9_11use_defaultEEEf11max_functorIfEfEEDaPvRmT3_T4_T5_mT6_P12ihipStream_tbENKUlT_T0_E_clISt17integral_constantIbLb0EESX_EEDaSS_ST_EUlSS_E0_NS1_11comp_targetILNS1_3genE9ELNS1_11target_archE1100ELNS1_3gpuE3ELNS1_3repE0EEENS1_30default_config_static_selectorELNS0_4arch9wavefront6targetE1EEEvT1_ ; -- Begin function _ZN7rocprim17ROCPRIM_400000_NS6detail17trampoline_kernelINS0_14default_configENS1_20scan_config_selectorIfEEZZNS1_9scan_implILNS1_25lookback_scan_determinismE0ELb1ELb1ES3_N6thrust23THRUST_200600_302600_NS6detail15normal_iteratorINS9_10device_ptrIfEEEENS9_16discard_iteratorINS9_11use_defaultEEEf11max_functorIfEfEEDaPvRmT3_T4_T5_mT6_P12ihipStream_tbENKUlT_T0_E_clISt17integral_constantIbLb0EESX_EEDaSS_ST_EUlSS_E0_NS1_11comp_targetILNS1_3genE9ELNS1_11target_archE1100ELNS1_3gpuE3ELNS1_3repE0EEENS1_30default_config_static_selectorELNS0_4arch9wavefront6targetE1EEEvT1_
	.globl	_ZN7rocprim17ROCPRIM_400000_NS6detail17trampoline_kernelINS0_14default_configENS1_20scan_config_selectorIfEEZZNS1_9scan_implILNS1_25lookback_scan_determinismE0ELb1ELb1ES3_N6thrust23THRUST_200600_302600_NS6detail15normal_iteratorINS9_10device_ptrIfEEEENS9_16discard_iteratorINS9_11use_defaultEEEf11max_functorIfEfEEDaPvRmT3_T4_T5_mT6_P12ihipStream_tbENKUlT_T0_E_clISt17integral_constantIbLb0EESX_EEDaSS_ST_EUlSS_E0_NS1_11comp_targetILNS1_3genE9ELNS1_11target_archE1100ELNS1_3gpuE3ELNS1_3repE0EEENS1_30default_config_static_selectorELNS0_4arch9wavefront6targetE1EEEvT1_
	.p2align	8
	.type	_ZN7rocprim17ROCPRIM_400000_NS6detail17trampoline_kernelINS0_14default_configENS1_20scan_config_selectorIfEEZZNS1_9scan_implILNS1_25lookback_scan_determinismE0ELb1ELb1ES3_N6thrust23THRUST_200600_302600_NS6detail15normal_iteratorINS9_10device_ptrIfEEEENS9_16discard_iteratorINS9_11use_defaultEEEf11max_functorIfEfEEDaPvRmT3_T4_T5_mT6_P12ihipStream_tbENKUlT_T0_E_clISt17integral_constantIbLb0EESX_EEDaSS_ST_EUlSS_E0_NS1_11comp_targetILNS1_3genE9ELNS1_11target_archE1100ELNS1_3gpuE3ELNS1_3repE0EEENS1_30default_config_static_selectorELNS0_4arch9wavefront6targetE1EEEvT1_,@function
_ZN7rocprim17ROCPRIM_400000_NS6detail17trampoline_kernelINS0_14default_configENS1_20scan_config_selectorIfEEZZNS1_9scan_implILNS1_25lookback_scan_determinismE0ELb1ELb1ES3_N6thrust23THRUST_200600_302600_NS6detail15normal_iteratorINS9_10device_ptrIfEEEENS9_16discard_iteratorINS9_11use_defaultEEEf11max_functorIfEfEEDaPvRmT3_T4_T5_mT6_P12ihipStream_tbENKUlT_T0_E_clISt17integral_constantIbLb0EESX_EEDaSS_ST_EUlSS_E0_NS1_11comp_targetILNS1_3genE9ELNS1_11target_archE1100ELNS1_3gpuE3ELNS1_3repE0EEENS1_30default_config_static_selectorELNS0_4arch9wavefront6targetE1EEEvT1_: ; @_ZN7rocprim17ROCPRIM_400000_NS6detail17trampoline_kernelINS0_14default_configENS1_20scan_config_selectorIfEEZZNS1_9scan_implILNS1_25lookback_scan_determinismE0ELb1ELb1ES3_N6thrust23THRUST_200600_302600_NS6detail15normal_iteratorINS9_10device_ptrIfEEEENS9_16discard_iteratorINS9_11use_defaultEEEf11max_functorIfEfEEDaPvRmT3_T4_T5_mT6_P12ihipStream_tbENKUlT_T0_E_clISt17integral_constantIbLb0EESX_EEDaSS_ST_EUlSS_E0_NS1_11comp_targetILNS1_3genE9ELNS1_11target_archE1100ELNS1_3gpuE3ELNS1_3repE0EEENS1_30default_config_static_selectorELNS0_4arch9wavefront6targetE1EEEvT1_
; %bb.0:
	.section	.rodata,"a",@progbits
	.p2align	6, 0x0
	.amdhsa_kernel _ZN7rocprim17ROCPRIM_400000_NS6detail17trampoline_kernelINS0_14default_configENS1_20scan_config_selectorIfEEZZNS1_9scan_implILNS1_25lookback_scan_determinismE0ELb1ELb1ES3_N6thrust23THRUST_200600_302600_NS6detail15normal_iteratorINS9_10device_ptrIfEEEENS9_16discard_iteratorINS9_11use_defaultEEEf11max_functorIfEfEEDaPvRmT3_T4_T5_mT6_P12ihipStream_tbENKUlT_T0_E_clISt17integral_constantIbLb0EESX_EEDaSS_ST_EUlSS_E0_NS1_11comp_targetILNS1_3genE9ELNS1_11target_archE1100ELNS1_3gpuE3ELNS1_3repE0EEENS1_30default_config_static_selectorELNS0_4arch9wavefront6targetE1EEEvT1_
		.amdhsa_group_segment_fixed_size 0
		.amdhsa_private_segment_fixed_size 0
		.amdhsa_kernarg_size 40
		.amdhsa_user_sgpr_count 6
		.amdhsa_user_sgpr_private_segment_buffer 1
		.amdhsa_user_sgpr_dispatch_ptr 0
		.amdhsa_user_sgpr_queue_ptr 0
		.amdhsa_user_sgpr_kernarg_segment_ptr 1
		.amdhsa_user_sgpr_dispatch_id 0
		.amdhsa_user_sgpr_flat_scratch_init 0
		.amdhsa_user_sgpr_kernarg_preload_length 0
		.amdhsa_user_sgpr_kernarg_preload_offset 0
		.amdhsa_user_sgpr_private_segment_size 0
		.amdhsa_uses_dynamic_stack 0
		.amdhsa_system_sgpr_private_segment_wavefront_offset 0
		.amdhsa_system_sgpr_workgroup_id_x 1
		.amdhsa_system_sgpr_workgroup_id_y 0
		.amdhsa_system_sgpr_workgroup_id_z 0
		.amdhsa_system_sgpr_workgroup_info 0
		.amdhsa_system_vgpr_workitem_id 0
		.amdhsa_next_free_vgpr 1
		.amdhsa_next_free_sgpr 0
		.amdhsa_accum_offset 4
		.amdhsa_reserve_vcc 0
		.amdhsa_reserve_flat_scratch 0
		.amdhsa_float_round_mode_32 0
		.amdhsa_float_round_mode_16_64 0
		.amdhsa_float_denorm_mode_32 3
		.amdhsa_float_denorm_mode_16_64 3
		.amdhsa_dx10_clamp 1
		.amdhsa_ieee_mode 1
		.amdhsa_fp16_overflow 0
		.amdhsa_tg_split 0
		.amdhsa_exception_fp_ieee_invalid_op 0
		.amdhsa_exception_fp_denorm_src 0
		.amdhsa_exception_fp_ieee_div_zero 0
		.amdhsa_exception_fp_ieee_overflow 0
		.amdhsa_exception_fp_ieee_underflow 0
		.amdhsa_exception_fp_ieee_inexact 0
		.amdhsa_exception_int_div_zero 0
	.end_amdhsa_kernel
	.section	.text._ZN7rocprim17ROCPRIM_400000_NS6detail17trampoline_kernelINS0_14default_configENS1_20scan_config_selectorIfEEZZNS1_9scan_implILNS1_25lookback_scan_determinismE0ELb1ELb1ES3_N6thrust23THRUST_200600_302600_NS6detail15normal_iteratorINS9_10device_ptrIfEEEENS9_16discard_iteratorINS9_11use_defaultEEEf11max_functorIfEfEEDaPvRmT3_T4_T5_mT6_P12ihipStream_tbENKUlT_T0_E_clISt17integral_constantIbLb0EESX_EEDaSS_ST_EUlSS_E0_NS1_11comp_targetILNS1_3genE9ELNS1_11target_archE1100ELNS1_3gpuE3ELNS1_3repE0EEENS1_30default_config_static_selectorELNS0_4arch9wavefront6targetE1EEEvT1_,"axG",@progbits,_ZN7rocprim17ROCPRIM_400000_NS6detail17trampoline_kernelINS0_14default_configENS1_20scan_config_selectorIfEEZZNS1_9scan_implILNS1_25lookback_scan_determinismE0ELb1ELb1ES3_N6thrust23THRUST_200600_302600_NS6detail15normal_iteratorINS9_10device_ptrIfEEEENS9_16discard_iteratorINS9_11use_defaultEEEf11max_functorIfEfEEDaPvRmT3_T4_T5_mT6_P12ihipStream_tbENKUlT_T0_E_clISt17integral_constantIbLb0EESX_EEDaSS_ST_EUlSS_E0_NS1_11comp_targetILNS1_3genE9ELNS1_11target_archE1100ELNS1_3gpuE3ELNS1_3repE0EEENS1_30default_config_static_selectorELNS0_4arch9wavefront6targetE1EEEvT1_,comdat
.Lfunc_end3222:
	.size	_ZN7rocprim17ROCPRIM_400000_NS6detail17trampoline_kernelINS0_14default_configENS1_20scan_config_selectorIfEEZZNS1_9scan_implILNS1_25lookback_scan_determinismE0ELb1ELb1ES3_N6thrust23THRUST_200600_302600_NS6detail15normal_iteratorINS9_10device_ptrIfEEEENS9_16discard_iteratorINS9_11use_defaultEEEf11max_functorIfEfEEDaPvRmT3_T4_T5_mT6_P12ihipStream_tbENKUlT_T0_E_clISt17integral_constantIbLb0EESX_EEDaSS_ST_EUlSS_E0_NS1_11comp_targetILNS1_3genE9ELNS1_11target_archE1100ELNS1_3gpuE3ELNS1_3repE0EEENS1_30default_config_static_selectorELNS0_4arch9wavefront6targetE1EEEvT1_, .Lfunc_end3222-_ZN7rocprim17ROCPRIM_400000_NS6detail17trampoline_kernelINS0_14default_configENS1_20scan_config_selectorIfEEZZNS1_9scan_implILNS1_25lookback_scan_determinismE0ELb1ELb1ES3_N6thrust23THRUST_200600_302600_NS6detail15normal_iteratorINS9_10device_ptrIfEEEENS9_16discard_iteratorINS9_11use_defaultEEEf11max_functorIfEfEEDaPvRmT3_T4_T5_mT6_P12ihipStream_tbENKUlT_T0_E_clISt17integral_constantIbLb0EESX_EEDaSS_ST_EUlSS_E0_NS1_11comp_targetILNS1_3genE9ELNS1_11target_archE1100ELNS1_3gpuE3ELNS1_3repE0EEENS1_30default_config_static_selectorELNS0_4arch9wavefront6targetE1EEEvT1_
                                        ; -- End function
	.section	.AMDGPU.csdata,"",@progbits
; Kernel info:
; codeLenInByte = 0
; NumSgprs: 4
; NumVgprs: 0
; NumAgprs: 0
; TotalNumVgprs: 0
; ScratchSize: 0
; MemoryBound: 0
; FloatMode: 240
; IeeeMode: 1
; LDSByteSize: 0 bytes/workgroup (compile time only)
; SGPRBlocks: 0
; VGPRBlocks: 0
; NumSGPRsForWavesPerEU: 4
; NumVGPRsForWavesPerEU: 1
; AccumOffset: 4
; Occupancy: 8
; WaveLimiterHint : 0
; COMPUTE_PGM_RSRC2:SCRATCH_EN: 0
; COMPUTE_PGM_RSRC2:USER_SGPR: 6
; COMPUTE_PGM_RSRC2:TRAP_HANDLER: 0
; COMPUTE_PGM_RSRC2:TGID_X_EN: 1
; COMPUTE_PGM_RSRC2:TGID_Y_EN: 0
; COMPUTE_PGM_RSRC2:TGID_Z_EN: 0
; COMPUTE_PGM_RSRC2:TIDIG_COMP_CNT: 0
; COMPUTE_PGM_RSRC3_GFX90A:ACCUM_OFFSET: 0
; COMPUTE_PGM_RSRC3_GFX90A:TG_SPLIT: 0
	.section	.text._ZN7rocprim17ROCPRIM_400000_NS6detail17trampoline_kernelINS0_14default_configENS1_20scan_config_selectorIfEEZZNS1_9scan_implILNS1_25lookback_scan_determinismE0ELb1ELb1ES3_N6thrust23THRUST_200600_302600_NS6detail15normal_iteratorINS9_10device_ptrIfEEEENS9_16discard_iteratorINS9_11use_defaultEEEf11max_functorIfEfEEDaPvRmT3_T4_T5_mT6_P12ihipStream_tbENKUlT_T0_E_clISt17integral_constantIbLb0EESX_EEDaSS_ST_EUlSS_E0_NS1_11comp_targetILNS1_3genE8ELNS1_11target_archE1030ELNS1_3gpuE2ELNS1_3repE0EEENS1_30default_config_static_selectorELNS0_4arch9wavefront6targetE1EEEvT1_,"axG",@progbits,_ZN7rocprim17ROCPRIM_400000_NS6detail17trampoline_kernelINS0_14default_configENS1_20scan_config_selectorIfEEZZNS1_9scan_implILNS1_25lookback_scan_determinismE0ELb1ELb1ES3_N6thrust23THRUST_200600_302600_NS6detail15normal_iteratorINS9_10device_ptrIfEEEENS9_16discard_iteratorINS9_11use_defaultEEEf11max_functorIfEfEEDaPvRmT3_T4_T5_mT6_P12ihipStream_tbENKUlT_T0_E_clISt17integral_constantIbLb0EESX_EEDaSS_ST_EUlSS_E0_NS1_11comp_targetILNS1_3genE8ELNS1_11target_archE1030ELNS1_3gpuE2ELNS1_3repE0EEENS1_30default_config_static_selectorELNS0_4arch9wavefront6targetE1EEEvT1_,comdat
	.protected	_ZN7rocprim17ROCPRIM_400000_NS6detail17trampoline_kernelINS0_14default_configENS1_20scan_config_selectorIfEEZZNS1_9scan_implILNS1_25lookback_scan_determinismE0ELb1ELb1ES3_N6thrust23THRUST_200600_302600_NS6detail15normal_iteratorINS9_10device_ptrIfEEEENS9_16discard_iteratorINS9_11use_defaultEEEf11max_functorIfEfEEDaPvRmT3_T4_T5_mT6_P12ihipStream_tbENKUlT_T0_E_clISt17integral_constantIbLb0EESX_EEDaSS_ST_EUlSS_E0_NS1_11comp_targetILNS1_3genE8ELNS1_11target_archE1030ELNS1_3gpuE2ELNS1_3repE0EEENS1_30default_config_static_selectorELNS0_4arch9wavefront6targetE1EEEvT1_ ; -- Begin function _ZN7rocprim17ROCPRIM_400000_NS6detail17trampoline_kernelINS0_14default_configENS1_20scan_config_selectorIfEEZZNS1_9scan_implILNS1_25lookback_scan_determinismE0ELb1ELb1ES3_N6thrust23THRUST_200600_302600_NS6detail15normal_iteratorINS9_10device_ptrIfEEEENS9_16discard_iteratorINS9_11use_defaultEEEf11max_functorIfEfEEDaPvRmT3_T4_T5_mT6_P12ihipStream_tbENKUlT_T0_E_clISt17integral_constantIbLb0EESX_EEDaSS_ST_EUlSS_E0_NS1_11comp_targetILNS1_3genE8ELNS1_11target_archE1030ELNS1_3gpuE2ELNS1_3repE0EEENS1_30default_config_static_selectorELNS0_4arch9wavefront6targetE1EEEvT1_
	.globl	_ZN7rocprim17ROCPRIM_400000_NS6detail17trampoline_kernelINS0_14default_configENS1_20scan_config_selectorIfEEZZNS1_9scan_implILNS1_25lookback_scan_determinismE0ELb1ELb1ES3_N6thrust23THRUST_200600_302600_NS6detail15normal_iteratorINS9_10device_ptrIfEEEENS9_16discard_iteratorINS9_11use_defaultEEEf11max_functorIfEfEEDaPvRmT3_T4_T5_mT6_P12ihipStream_tbENKUlT_T0_E_clISt17integral_constantIbLb0EESX_EEDaSS_ST_EUlSS_E0_NS1_11comp_targetILNS1_3genE8ELNS1_11target_archE1030ELNS1_3gpuE2ELNS1_3repE0EEENS1_30default_config_static_selectorELNS0_4arch9wavefront6targetE1EEEvT1_
	.p2align	8
	.type	_ZN7rocprim17ROCPRIM_400000_NS6detail17trampoline_kernelINS0_14default_configENS1_20scan_config_selectorIfEEZZNS1_9scan_implILNS1_25lookback_scan_determinismE0ELb1ELb1ES3_N6thrust23THRUST_200600_302600_NS6detail15normal_iteratorINS9_10device_ptrIfEEEENS9_16discard_iteratorINS9_11use_defaultEEEf11max_functorIfEfEEDaPvRmT3_T4_T5_mT6_P12ihipStream_tbENKUlT_T0_E_clISt17integral_constantIbLb0EESX_EEDaSS_ST_EUlSS_E0_NS1_11comp_targetILNS1_3genE8ELNS1_11target_archE1030ELNS1_3gpuE2ELNS1_3repE0EEENS1_30default_config_static_selectorELNS0_4arch9wavefront6targetE1EEEvT1_,@function
_ZN7rocprim17ROCPRIM_400000_NS6detail17trampoline_kernelINS0_14default_configENS1_20scan_config_selectorIfEEZZNS1_9scan_implILNS1_25lookback_scan_determinismE0ELb1ELb1ES3_N6thrust23THRUST_200600_302600_NS6detail15normal_iteratorINS9_10device_ptrIfEEEENS9_16discard_iteratorINS9_11use_defaultEEEf11max_functorIfEfEEDaPvRmT3_T4_T5_mT6_P12ihipStream_tbENKUlT_T0_E_clISt17integral_constantIbLb0EESX_EEDaSS_ST_EUlSS_E0_NS1_11comp_targetILNS1_3genE8ELNS1_11target_archE1030ELNS1_3gpuE2ELNS1_3repE0EEENS1_30default_config_static_selectorELNS0_4arch9wavefront6targetE1EEEvT1_: ; @_ZN7rocprim17ROCPRIM_400000_NS6detail17trampoline_kernelINS0_14default_configENS1_20scan_config_selectorIfEEZZNS1_9scan_implILNS1_25lookback_scan_determinismE0ELb1ELb1ES3_N6thrust23THRUST_200600_302600_NS6detail15normal_iteratorINS9_10device_ptrIfEEEENS9_16discard_iteratorINS9_11use_defaultEEEf11max_functorIfEfEEDaPvRmT3_T4_T5_mT6_P12ihipStream_tbENKUlT_T0_E_clISt17integral_constantIbLb0EESX_EEDaSS_ST_EUlSS_E0_NS1_11comp_targetILNS1_3genE8ELNS1_11target_archE1030ELNS1_3gpuE2ELNS1_3repE0EEENS1_30default_config_static_selectorELNS0_4arch9wavefront6targetE1EEEvT1_
; %bb.0:
	.section	.rodata,"a",@progbits
	.p2align	6, 0x0
	.amdhsa_kernel _ZN7rocprim17ROCPRIM_400000_NS6detail17trampoline_kernelINS0_14default_configENS1_20scan_config_selectorIfEEZZNS1_9scan_implILNS1_25lookback_scan_determinismE0ELb1ELb1ES3_N6thrust23THRUST_200600_302600_NS6detail15normal_iteratorINS9_10device_ptrIfEEEENS9_16discard_iteratorINS9_11use_defaultEEEf11max_functorIfEfEEDaPvRmT3_T4_T5_mT6_P12ihipStream_tbENKUlT_T0_E_clISt17integral_constantIbLb0EESX_EEDaSS_ST_EUlSS_E0_NS1_11comp_targetILNS1_3genE8ELNS1_11target_archE1030ELNS1_3gpuE2ELNS1_3repE0EEENS1_30default_config_static_selectorELNS0_4arch9wavefront6targetE1EEEvT1_
		.amdhsa_group_segment_fixed_size 0
		.amdhsa_private_segment_fixed_size 0
		.amdhsa_kernarg_size 40
		.amdhsa_user_sgpr_count 6
		.amdhsa_user_sgpr_private_segment_buffer 1
		.amdhsa_user_sgpr_dispatch_ptr 0
		.amdhsa_user_sgpr_queue_ptr 0
		.amdhsa_user_sgpr_kernarg_segment_ptr 1
		.amdhsa_user_sgpr_dispatch_id 0
		.amdhsa_user_sgpr_flat_scratch_init 0
		.amdhsa_user_sgpr_kernarg_preload_length 0
		.amdhsa_user_sgpr_kernarg_preload_offset 0
		.amdhsa_user_sgpr_private_segment_size 0
		.amdhsa_uses_dynamic_stack 0
		.amdhsa_system_sgpr_private_segment_wavefront_offset 0
		.amdhsa_system_sgpr_workgroup_id_x 1
		.amdhsa_system_sgpr_workgroup_id_y 0
		.amdhsa_system_sgpr_workgroup_id_z 0
		.amdhsa_system_sgpr_workgroup_info 0
		.amdhsa_system_vgpr_workitem_id 0
		.amdhsa_next_free_vgpr 1
		.amdhsa_next_free_sgpr 0
		.amdhsa_accum_offset 4
		.amdhsa_reserve_vcc 0
		.amdhsa_reserve_flat_scratch 0
		.amdhsa_float_round_mode_32 0
		.amdhsa_float_round_mode_16_64 0
		.amdhsa_float_denorm_mode_32 3
		.amdhsa_float_denorm_mode_16_64 3
		.amdhsa_dx10_clamp 1
		.amdhsa_ieee_mode 1
		.amdhsa_fp16_overflow 0
		.amdhsa_tg_split 0
		.amdhsa_exception_fp_ieee_invalid_op 0
		.amdhsa_exception_fp_denorm_src 0
		.amdhsa_exception_fp_ieee_div_zero 0
		.amdhsa_exception_fp_ieee_overflow 0
		.amdhsa_exception_fp_ieee_underflow 0
		.amdhsa_exception_fp_ieee_inexact 0
		.amdhsa_exception_int_div_zero 0
	.end_amdhsa_kernel
	.section	.text._ZN7rocprim17ROCPRIM_400000_NS6detail17trampoline_kernelINS0_14default_configENS1_20scan_config_selectorIfEEZZNS1_9scan_implILNS1_25lookback_scan_determinismE0ELb1ELb1ES3_N6thrust23THRUST_200600_302600_NS6detail15normal_iteratorINS9_10device_ptrIfEEEENS9_16discard_iteratorINS9_11use_defaultEEEf11max_functorIfEfEEDaPvRmT3_T4_T5_mT6_P12ihipStream_tbENKUlT_T0_E_clISt17integral_constantIbLb0EESX_EEDaSS_ST_EUlSS_E0_NS1_11comp_targetILNS1_3genE8ELNS1_11target_archE1030ELNS1_3gpuE2ELNS1_3repE0EEENS1_30default_config_static_selectorELNS0_4arch9wavefront6targetE1EEEvT1_,"axG",@progbits,_ZN7rocprim17ROCPRIM_400000_NS6detail17trampoline_kernelINS0_14default_configENS1_20scan_config_selectorIfEEZZNS1_9scan_implILNS1_25lookback_scan_determinismE0ELb1ELb1ES3_N6thrust23THRUST_200600_302600_NS6detail15normal_iteratorINS9_10device_ptrIfEEEENS9_16discard_iteratorINS9_11use_defaultEEEf11max_functorIfEfEEDaPvRmT3_T4_T5_mT6_P12ihipStream_tbENKUlT_T0_E_clISt17integral_constantIbLb0EESX_EEDaSS_ST_EUlSS_E0_NS1_11comp_targetILNS1_3genE8ELNS1_11target_archE1030ELNS1_3gpuE2ELNS1_3repE0EEENS1_30default_config_static_selectorELNS0_4arch9wavefront6targetE1EEEvT1_,comdat
.Lfunc_end3223:
	.size	_ZN7rocprim17ROCPRIM_400000_NS6detail17trampoline_kernelINS0_14default_configENS1_20scan_config_selectorIfEEZZNS1_9scan_implILNS1_25lookback_scan_determinismE0ELb1ELb1ES3_N6thrust23THRUST_200600_302600_NS6detail15normal_iteratorINS9_10device_ptrIfEEEENS9_16discard_iteratorINS9_11use_defaultEEEf11max_functorIfEfEEDaPvRmT3_T4_T5_mT6_P12ihipStream_tbENKUlT_T0_E_clISt17integral_constantIbLb0EESX_EEDaSS_ST_EUlSS_E0_NS1_11comp_targetILNS1_3genE8ELNS1_11target_archE1030ELNS1_3gpuE2ELNS1_3repE0EEENS1_30default_config_static_selectorELNS0_4arch9wavefront6targetE1EEEvT1_, .Lfunc_end3223-_ZN7rocprim17ROCPRIM_400000_NS6detail17trampoline_kernelINS0_14default_configENS1_20scan_config_selectorIfEEZZNS1_9scan_implILNS1_25lookback_scan_determinismE0ELb1ELb1ES3_N6thrust23THRUST_200600_302600_NS6detail15normal_iteratorINS9_10device_ptrIfEEEENS9_16discard_iteratorINS9_11use_defaultEEEf11max_functorIfEfEEDaPvRmT3_T4_T5_mT6_P12ihipStream_tbENKUlT_T0_E_clISt17integral_constantIbLb0EESX_EEDaSS_ST_EUlSS_E0_NS1_11comp_targetILNS1_3genE8ELNS1_11target_archE1030ELNS1_3gpuE2ELNS1_3repE0EEENS1_30default_config_static_selectorELNS0_4arch9wavefront6targetE1EEEvT1_
                                        ; -- End function
	.section	.AMDGPU.csdata,"",@progbits
; Kernel info:
; codeLenInByte = 0
; NumSgprs: 4
; NumVgprs: 0
; NumAgprs: 0
; TotalNumVgprs: 0
; ScratchSize: 0
; MemoryBound: 0
; FloatMode: 240
; IeeeMode: 1
; LDSByteSize: 0 bytes/workgroup (compile time only)
; SGPRBlocks: 0
; VGPRBlocks: 0
; NumSGPRsForWavesPerEU: 4
; NumVGPRsForWavesPerEU: 1
; AccumOffset: 4
; Occupancy: 8
; WaveLimiterHint : 0
; COMPUTE_PGM_RSRC2:SCRATCH_EN: 0
; COMPUTE_PGM_RSRC2:USER_SGPR: 6
; COMPUTE_PGM_RSRC2:TRAP_HANDLER: 0
; COMPUTE_PGM_RSRC2:TGID_X_EN: 1
; COMPUTE_PGM_RSRC2:TGID_Y_EN: 0
; COMPUTE_PGM_RSRC2:TGID_Z_EN: 0
; COMPUTE_PGM_RSRC2:TIDIG_COMP_CNT: 0
; COMPUTE_PGM_RSRC3_GFX90A:ACCUM_OFFSET: 0
; COMPUTE_PGM_RSRC3_GFX90A:TG_SPLIT: 0
	.section	.text._ZN7rocprim17ROCPRIM_400000_NS6detail17trampoline_kernelINS0_14default_configENS1_20scan_config_selectorIfEEZZNS1_9scan_implILNS1_25lookback_scan_determinismE0ELb1ELb1ES3_N6thrust23THRUST_200600_302600_NS6detail15normal_iteratorINS9_10device_ptrIfEEEENS9_16discard_iteratorINS9_11use_defaultEEEf11max_functorIfEfEEDaPvRmT3_T4_T5_mT6_P12ihipStream_tbENKUlT_T0_E_clISt17integral_constantIbLb1EESX_EEDaSS_ST_EUlSS_E_NS1_11comp_targetILNS1_3genE0ELNS1_11target_archE4294967295ELNS1_3gpuE0ELNS1_3repE0EEENS1_30default_config_static_selectorELNS0_4arch9wavefront6targetE1EEEvT1_,"axG",@progbits,_ZN7rocprim17ROCPRIM_400000_NS6detail17trampoline_kernelINS0_14default_configENS1_20scan_config_selectorIfEEZZNS1_9scan_implILNS1_25lookback_scan_determinismE0ELb1ELb1ES3_N6thrust23THRUST_200600_302600_NS6detail15normal_iteratorINS9_10device_ptrIfEEEENS9_16discard_iteratorINS9_11use_defaultEEEf11max_functorIfEfEEDaPvRmT3_T4_T5_mT6_P12ihipStream_tbENKUlT_T0_E_clISt17integral_constantIbLb1EESX_EEDaSS_ST_EUlSS_E_NS1_11comp_targetILNS1_3genE0ELNS1_11target_archE4294967295ELNS1_3gpuE0ELNS1_3repE0EEENS1_30default_config_static_selectorELNS0_4arch9wavefront6targetE1EEEvT1_,comdat
	.protected	_ZN7rocprim17ROCPRIM_400000_NS6detail17trampoline_kernelINS0_14default_configENS1_20scan_config_selectorIfEEZZNS1_9scan_implILNS1_25lookback_scan_determinismE0ELb1ELb1ES3_N6thrust23THRUST_200600_302600_NS6detail15normal_iteratorINS9_10device_ptrIfEEEENS9_16discard_iteratorINS9_11use_defaultEEEf11max_functorIfEfEEDaPvRmT3_T4_T5_mT6_P12ihipStream_tbENKUlT_T0_E_clISt17integral_constantIbLb1EESX_EEDaSS_ST_EUlSS_E_NS1_11comp_targetILNS1_3genE0ELNS1_11target_archE4294967295ELNS1_3gpuE0ELNS1_3repE0EEENS1_30default_config_static_selectorELNS0_4arch9wavefront6targetE1EEEvT1_ ; -- Begin function _ZN7rocprim17ROCPRIM_400000_NS6detail17trampoline_kernelINS0_14default_configENS1_20scan_config_selectorIfEEZZNS1_9scan_implILNS1_25lookback_scan_determinismE0ELb1ELb1ES3_N6thrust23THRUST_200600_302600_NS6detail15normal_iteratorINS9_10device_ptrIfEEEENS9_16discard_iteratorINS9_11use_defaultEEEf11max_functorIfEfEEDaPvRmT3_T4_T5_mT6_P12ihipStream_tbENKUlT_T0_E_clISt17integral_constantIbLb1EESX_EEDaSS_ST_EUlSS_E_NS1_11comp_targetILNS1_3genE0ELNS1_11target_archE4294967295ELNS1_3gpuE0ELNS1_3repE0EEENS1_30default_config_static_selectorELNS0_4arch9wavefront6targetE1EEEvT1_
	.globl	_ZN7rocprim17ROCPRIM_400000_NS6detail17trampoline_kernelINS0_14default_configENS1_20scan_config_selectorIfEEZZNS1_9scan_implILNS1_25lookback_scan_determinismE0ELb1ELb1ES3_N6thrust23THRUST_200600_302600_NS6detail15normal_iteratorINS9_10device_ptrIfEEEENS9_16discard_iteratorINS9_11use_defaultEEEf11max_functorIfEfEEDaPvRmT3_T4_T5_mT6_P12ihipStream_tbENKUlT_T0_E_clISt17integral_constantIbLb1EESX_EEDaSS_ST_EUlSS_E_NS1_11comp_targetILNS1_3genE0ELNS1_11target_archE4294967295ELNS1_3gpuE0ELNS1_3repE0EEENS1_30default_config_static_selectorELNS0_4arch9wavefront6targetE1EEEvT1_
	.p2align	8
	.type	_ZN7rocprim17ROCPRIM_400000_NS6detail17trampoline_kernelINS0_14default_configENS1_20scan_config_selectorIfEEZZNS1_9scan_implILNS1_25lookback_scan_determinismE0ELb1ELb1ES3_N6thrust23THRUST_200600_302600_NS6detail15normal_iteratorINS9_10device_ptrIfEEEENS9_16discard_iteratorINS9_11use_defaultEEEf11max_functorIfEfEEDaPvRmT3_T4_T5_mT6_P12ihipStream_tbENKUlT_T0_E_clISt17integral_constantIbLb1EESX_EEDaSS_ST_EUlSS_E_NS1_11comp_targetILNS1_3genE0ELNS1_11target_archE4294967295ELNS1_3gpuE0ELNS1_3repE0EEENS1_30default_config_static_selectorELNS0_4arch9wavefront6targetE1EEEvT1_,@function
_ZN7rocprim17ROCPRIM_400000_NS6detail17trampoline_kernelINS0_14default_configENS1_20scan_config_selectorIfEEZZNS1_9scan_implILNS1_25lookback_scan_determinismE0ELb1ELb1ES3_N6thrust23THRUST_200600_302600_NS6detail15normal_iteratorINS9_10device_ptrIfEEEENS9_16discard_iteratorINS9_11use_defaultEEEf11max_functorIfEfEEDaPvRmT3_T4_T5_mT6_P12ihipStream_tbENKUlT_T0_E_clISt17integral_constantIbLb1EESX_EEDaSS_ST_EUlSS_E_NS1_11comp_targetILNS1_3genE0ELNS1_11target_archE4294967295ELNS1_3gpuE0ELNS1_3repE0EEENS1_30default_config_static_selectorELNS0_4arch9wavefront6targetE1EEEvT1_: ; @_ZN7rocprim17ROCPRIM_400000_NS6detail17trampoline_kernelINS0_14default_configENS1_20scan_config_selectorIfEEZZNS1_9scan_implILNS1_25lookback_scan_determinismE0ELb1ELb1ES3_N6thrust23THRUST_200600_302600_NS6detail15normal_iteratorINS9_10device_ptrIfEEEENS9_16discard_iteratorINS9_11use_defaultEEEf11max_functorIfEfEEDaPvRmT3_T4_T5_mT6_P12ihipStream_tbENKUlT_T0_E_clISt17integral_constantIbLb1EESX_EEDaSS_ST_EUlSS_E_NS1_11comp_targetILNS1_3genE0ELNS1_11target_archE4294967295ELNS1_3gpuE0ELNS1_3repE0EEENS1_30default_config_static_selectorELNS0_4arch9wavefront6targetE1EEEvT1_
; %bb.0:
	.section	.rodata,"a",@progbits
	.p2align	6, 0x0
	.amdhsa_kernel _ZN7rocprim17ROCPRIM_400000_NS6detail17trampoline_kernelINS0_14default_configENS1_20scan_config_selectorIfEEZZNS1_9scan_implILNS1_25lookback_scan_determinismE0ELb1ELb1ES3_N6thrust23THRUST_200600_302600_NS6detail15normal_iteratorINS9_10device_ptrIfEEEENS9_16discard_iteratorINS9_11use_defaultEEEf11max_functorIfEfEEDaPvRmT3_T4_T5_mT6_P12ihipStream_tbENKUlT_T0_E_clISt17integral_constantIbLb1EESX_EEDaSS_ST_EUlSS_E_NS1_11comp_targetILNS1_3genE0ELNS1_11target_archE4294967295ELNS1_3gpuE0ELNS1_3repE0EEENS1_30default_config_static_selectorELNS0_4arch9wavefront6targetE1EEEvT1_
		.amdhsa_group_segment_fixed_size 0
		.amdhsa_private_segment_fixed_size 0
		.amdhsa_kernarg_size 104
		.amdhsa_user_sgpr_count 6
		.amdhsa_user_sgpr_private_segment_buffer 1
		.amdhsa_user_sgpr_dispatch_ptr 0
		.amdhsa_user_sgpr_queue_ptr 0
		.amdhsa_user_sgpr_kernarg_segment_ptr 1
		.amdhsa_user_sgpr_dispatch_id 0
		.amdhsa_user_sgpr_flat_scratch_init 0
		.amdhsa_user_sgpr_kernarg_preload_length 0
		.amdhsa_user_sgpr_kernarg_preload_offset 0
		.amdhsa_user_sgpr_private_segment_size 0
		.amdhsa_uses_dynamic_stack 0
		.amdhsa_system_sgpr_private_segment_wavefront_offset 0
		.amdhsa_system_sgpr_workgroup_id_x 1
		.amdhsa_system_sgpr_workgroup_id_y 0
		.amdhsa_system_sgpr_workgroup_id_z 0
		.amdhsa_system_sgpr_workgroup_info 0
		.amdhsa_system_vgpr_workitem_id 0
		.amdhsa_next_free_vgpr 1
		.amdhsa_next_free_sgpr 0
		.amdhsa_accum_offset 4
		.amdhsa_reserve_vcc 0
		.amdhsa_reserve_flat_scratch 0
		.amdhsa_float_round_mode_32 0
		.amdhsa_float_round_mode_16_64 0
		.amdhsa_float_denorm_mode_32 3
		.amdhsa_float_denorm_mode_16_64 3
		.amdhsa_dx10_clamp 1
		.amdhsa_ieee_mode 1
		.amdhsa_fp16_overflow 0
		.amdhsa_tg_split 0
		.amdhsa_exception_fp_ieee_invalid_op 0
		.amdhsa_exception_fp_denorm_src 0
		.amdhsa_exception_fp_ieee_div_zero 0
		.amdhsa_exception_fp_ieee_overflow 0
		.amdhsa_exception_fp_ieee_underflow 0
		.amdhsa_exception_fp_ieee_inexact 0
		.amdhsa_exception_int_div_zero 0
	.end_amdhsa_kernel
	.section	.text._ZN7rocprim17ROCPRIM_400000_NS6detail17trampoline_kernelINS0_14default_configENS1_20scan_config_selectorIfEEZZNS1_9scan_implILNS1_25lookback_scan_determinismE0ELb1ELb1ES3_N6thrust23THRUST_200600_302600_NS6detail15normal_iteratorINS9_10device_ptrIfEEEENS9_16discard_iteratorINS9_11use_defaultEEEf11max_functorIfEfEEDaPvRmT3_T4_T5_mT6_P12ihipStream_tbENKUlT_T0_E_clISt17integral_constantIbLb1EESX_EEDaSS_ST_EUlSS_E_NS1_11comp_targetILNS1_3genE0ELNS1_11target_archE4294967295ELNS1_3gpuE0ELNS1_3repE0EEENS1_30default_config_static_selectorELNS0_4arch9wavefront6targetE1EEEvT1_,"axG",@progbits,_ZN7rocprim17ROCPRIM_400000_NS6detail17trampoline_kernelINS0_14default_configENS1_20scan_config_selectorIfEEZZNS1_9scan_implILNS1_25lookback_scan_determinismE0ELb1ELb1ES3_N6thrust23THRUST_200600_302600_NS6detail15normal_iteratorINS9_10device_ptrIfEEEENS9_16discard_iteratorINS9_11use_defaultEEEf11max_functorIfEfEEDaPvRmT3_T4_T5_mT6_P12ihipStream_tbENKUlT_T0_E_clISt17integral_constantIbLb1EESX_EEDaSS_ST_EUlSS_E_NS1_11comp_targetILNS1_3genE0ELNS1_11target_archE4294967295ELNS1_3gpuE0ELNS1_3repE0EEENS1_30default_config_static_selectorELNS0_4arch9wavefront6targetE1EEEvT1_,comdat
.Lfunc_end3224:
	.size	_ZN7rocprim17ROCPRIM_400000_NS6detail17trampoline_kernelINS0_14default_configENS1_20scan_config_selectorIfEEZZNS1_9scan_implILNS1_25lookback_scan_determinismE0ELb1ELb1ES3_N6thrust23THRUST_200600_302600_NS6detail15normal_iteratorINS9_10device_ptrIfEEEENS9_16discard_iteratorINS9_11use_defaultEEEf11max_functorIfEfEEDaPvRmT3_T4_T5_mT6_P12ihipStream_tbENKUlT_T0_E_clISt17integral_constantIbLb1EESX_EEDaSS_ST_EUlSS_E_NS1_11comp_targetILNS1_3genE0ELNS1_11target_archE4294967295ELNS1_3gpuE0ELNS1_3repE0EEENS1_30default_config_static_selectorELNS0_4arch9wavefront6targetE1EEEvT1_, .Lfunc_end3224-_ZN7rocprim17ROCPRIM_400000_NS6detail17trampoline_kernelINS0_14default_configENS1_20scan_config_selectorIfEEZZNS1_9scan_implILNS1_25lookback_scan_determinismE0ELb1ELb1ES3_N6thrust23THRUST_200600_302600_NS6detail15normal_iteratorINS9_10device_ptrIfEEEENS9_16discard_iteratorINS9_11use_defaultEEEf11max_functorIfEfEEDaPvRmT3_T4_T5_mT6_P12ihipStream_tbENKUlT_T0_E_clISt17integral_constantIbLb1EESX_EEDaSS_ST_EUlSS_E_NS1_11comp_targetILNS1_3genE0ELNS1_11target_archE4294967295ELNS1_3gpuE0ELNS1_3repE0EEENS1_30default_config_static_selectorELNS0_4arch9wavefront6targetE1EEEvT1_
                                        ; -- End function
	.section	.AMDGPU.csdata,"",@progbits
; Kernel info:
; codeLenInByte = 0
; NumSgprs: 4
; NumVgprs: 0
; NumAgprs: 0
; TotalNumVgprs: 0
; ScratchSize: 0
; MemoryBound: 0
; FloatMode: 240
; IeeeMode: 1
; LDSByteSize: 0 bytes/workgroup (compile time only)
; SGPRBlocks: 0
; VGPRBlocks: 0
; NumSGPRsForWavesPerEU: 4
; NumVGPRsForWavesPerEU: 1
; AccumOffset: 4
; Occupancy: 8
; WaveLimiterHint : 0
; COMPUTE_PGM_RSRC2:SCRATCH_EN: 0
; COMPUTE_PGM_RSRC2:USER_SGPR: 6
; COMPUTE_PGM_RSRC2:TRAP_HANDLER: 0
; COMPUTE_PGM_RSRC2:TGID_X_EN: 1
; COMPUTE_PGM_RSRC2:TGID_Y_EN: 0
; COMPUTE_PGM_RSRC2:TGID_Z_EN: 0
; COMPUTE_PGM_RSRC2:TIDIG_COMP_CNT: 0
; COMPUTE_PGM_RSRC3_GFX90A:ACCUM_OFFSET: 0
; COMPUTE_PGM_RSRC3_GFX90A:TG_SPLIT: 0
	.section	.text._ZN7rocprim17ROCPRIM_400000_NS6detail17trampoline_kernelINS0_14default_configENS1_20scan_config_selectorIfEEZZNS1_9scan_implILNS1_25lookback_scan_determinismE0ELb1ELb1ES3_N6thrust23THRUST_200600_302600_NS6detail15normal_iteratorINS9_10device_ptrIfEEEENS9_16discard_iteratorINS9_11use_defaultEEEf11max_functorIfEfEEDaPvRmT3_T4_T5_mT6_P12ihipStream_tbENKUlT_T0_E_clISt17integral_constantIbLb1EESX_EEDaSS_ST_EUlSS_E_NS1_11comp_targetILNS1_3genE5ELNS1_11target_archE942ELNS1_3gpuE9ELNS1_3repE0EEENS1_30default_config_static_selectorELNS0_4arch9wavefront6targetE1EEEvT1_,"axG",@progbits,_ZN7rocprim17ROCPRIM_400000_NS6detail17trampoline_kernelINS0_14default_configENS1_20scan_config_selectorIfEEZZNS1_9scan_implILNS1_25lookback_scan_determinismE0ELb1ELb1ES3_N6thrust23THRUST_200600_302600_NS6detail15normal_iteratorINS9_10device_ptrIfEEEENS9_16discard_iteratorINS9_11use_defaultEEEf11max_functorIfEfEEDaPvRmT3_T4_T5_mT6_P12ihipStream_tbENKUlT_T0_E_clISt17integral_constantIbLb1EESX_EEDaSS_ST_EUlSS_E_NS1_11comp_targetILNS1_3genE5ELNS1_11target_archE942ELNS1_3gpuE9ELNS1_3repE0EEENS1_30default_config_static_selectorELNS0_4arch9wavefront6targetE1EEEvT1_,comdat
	.protected	_ZN7rocprim17ROCPRIM_400000_NS6detail17trampoline_kernelINS0_14default_configENS1_20scan_config_selectorIfEEZZNS1_9scan_implILNS1_25lookback_scan_determinismE0ELb1ELb1ES3_N6thrust23THRUST_200600_302600_NS6detail15normal_iteratorINS9_10device_ptrIfEEEENS9_16discard_iteratorINS9_11use_defaultEEEf11max_functorIfEfEEDaPvRmT3_T4_T5_mT6_P12ihipStream_tbENKUlT_T0_E_clISt17integral_constantIbLb1EESX_EEDaSS_ST_EUlSS_E_NS1_11comp_targetILNS1_3genE5ELNS1_11target_archE942ELNS1_3gpuE9ELNS1_3repE0EEENS1_30default_config_static_selectorELNS0_4arch9wavefront6targetE1EEEvT1_ ; -- Begin function _ZN7rocprim17ROCPRIM_400000_NS6detail17trampoline_kernelINS0_14default_configENS1_20scan_config_selectorIfEEZZNS1_9scan_implILNS1_25lookback_scan_determinismE0ELb1ELb1ES3_N6thrust23THRUST_200600_302600_NS6detail15normal_iteratorINS9_10device_ptrIfEEEENS9_16discard_iteratorINS9_11use_defaultEEEf11max_functorIfEfEEDaPvRmT3_T4_T5_mT6_P12ihipStream_tbENKUlT_T0_E_clISt17integral_constantIbLb1EESX_EEDaSS_ST_EUlSS_E_NS1_11comp_targetILNS1_3genE5ELNS1_11target_archE942ELNS1_3gpuE9ELNS1_3repE0EEENS1_30default_config_static_selectorELNS0_4arch9wavefront6targetE1EEEvT1_
	.globl	_ZN7rocprim17ROCPRIM_400000_NS6detail17trampoline_kernelINS0_14default_configENS1_20scan_config_selectorIfEEZZNS1_9scan_implILNS1_25lookback_scan_determinismE0ELb1ELb1ES3_N6thrust23THRUST_200600_302600_NS6detail15normal_iteratorINS9_10device_ptrIfEEEENS9_16discard_iteratorINS9_11use_defaultEEEf11max_functorIfEfEEDaPvRmT3_T4_T5_mT6_P12ihipStream_tbENKUlT_T0_E_clISt17integral_constantIbLb1EESX_EEDaSS_ST_EUlSS_E_NS1_11comp_targetILNS1_3genE5ELNS1_11target_archE942ELNS1_3gpuE9ELNS1_3repE0EEENS1_30default_config_static_selectorELNS0_4arch9wavefront6targetE1EEEvT1_
	.p2align	8
	.type	_ZN7rocprim17ROCPRIM_400000_NS6detail17trampoline_kernelINS0_14default_configENS1_20scan_config_selectorIfEEZZNS1_9scan_implILNS1_25lookback_scan_determinismE0ELb1ELb1ES3_N6thrust23THRUST_200600_302600_NS6detail15normal_iteratorINS9_10device_ptrIfEEEENS9_16discard_iteratorINS9_11use_defaultEEEf11max_functorIfEfEEDaPvRmT3_T4_T5_mT6_P12ihipStream_tbENKUlT_T0_E_clISt17integral_constantIbLb1EESX_EEDaSS_ST_EUlSS_E_NS1_11comp_targetILNS1_3genE5ELNS1_11target_archE942ELNS1_3gpuE9ELNS1_3repE0EEENS1_30default_config_static_selectorELNS0_4arch9wavefront6targetE1EEEvT1_,@function
_ZN7rocprim17ROCPRIM_400000_NS6detail17trampoline_kernelINS0_14default_configENS1_20scan_config_selectorIfEEZZNS1_9scan_implILNS1_25lookback_scan_determinismE0ELb1ELb1ES3_N6thrust23THRUST_200600_302600_NS6detail15normal_iteratorINS9_10device_ptrIfEEEENS9_16discard_iteratorINS9_11use_defaultEEEf11max_functorIfEfEEDaPvRmT3_T4_T5_mT6_P12ihipStream_tbENKUlT_T0_E_clISt17integral_constantIbLb1EESX_EEDaSS_ST_EUlSS_E_NS1_11comp_targetILNS1_3genE5ELNS1_11target_archE942ELNS1_3gpuE9ELNS1_3repE0EEENS1_30default_config_static_selectorELNS0_4arch9wavefront6targetE1EEEvT1_: ; @_ZN7rocprim17ROCPRIM_400000_NS6detail17trampoline_kernelINS0_14default_configENS1_20scan_config_selectorIfEEZZNS1_9scan_implILNS1_25lookback_scan_determinismE0ELb1ELb1ES3_N6thrust23THRUST_200600_302600_NS6detail15normal_iteratorINS9_10device_ptrIfEEEENS9_16discard_iteratorINS9_11use_defaultEEEf11max_functorIfEfEEDaPvRmT3_T4_T5_mT6_P12ihipStream_tbENKUlT_T0_E_clISt17integral_constantIbLb1EESX_EEDaSS_ST_EUlSS_E_NS1_11comp_targetILNS1_3genE5ELNS1_11target_archE942ELNS1_3gpuE9ELNS1_3repE0EEENS1_30default_config_static_selectorELNS0_4arch9wavefront6targetE1EEEvT1_
; %bb.0:
	.section	.rodata,"a",@progbits
	.p2align	6, 0x0
	.amdhsa_kernel _ZN7rocprim17ROCPRIM_400000_NS6detail17trampoline_kernelINS0_14default_configENS1_20scan_config_selectorIfEEZZNS1_9scan_implILNS1_25lookback_scan_determinismE0ELb1ELb1ES3_N6thrust23THRUST_200600_302600_NS6detail15normal_iteratorINS9_10device_ptrIfEEEENS9_16discard_iteratorINS9_11use_defaultEEEf11max_functorIfEfEEDaPvRmT3_T4_T5_mT6_P12ihipStream_tbENKUlT_T0_E_clISt17integral_constantIbLb1EESX_EEDaSS_ST_EUlSS_E_NS1_11comp_targetILNS1_3genE5ELNS1_11target_archE942ELNS1_3gpuE9ELNS1_3repE0EEENS1_30default_config_static_selectorELNS0_4arch9wavefront6targetE1EEEvT1_
		.amdhsa_group_segment_fixed_size 0
		.amdhsa_private_segment_fixed_size 0
		.amdhsa_kernarg_size 104
		.amdhsa_user_sgpr_count 6
		.amdhsa_user_sgpr_private_segment_buffer 1
		.amdhsa_user_sgpr_dispatch_ptr 0
		.amdhsa_user_sgpr_queue_ptr 0
		.amdhsa_user_sgpr_kernarg_segment_ptr 1
		.amdhsa_user_sgpr_dispatch_id 0
		.amdhsa_user_sgpr_flat_scratch_init 0
		.amdhsa_user_sgpr_kernarg_preload_length 0
		.amdhsa_user_sgpr_kernarg_preload_offset 0
		.amdhsa_user_sgpr_private_segment_size 0
		.amdhsa_uses_dynamic_stack 0
		.amdhsa_system_sgpr_private_segment_wavefront_offset 0
		.amdhsa_system_sgpr_workgroup_id_x 1
		.amdhsa_system_sgpr_workgroup_id_y 0
		.amdhsa_system_sgpr_workgroup_id_z 0
		.amdhsa_system_sgpr_workgroup_info 0
		.amdhsa_system_vgpr_workitem_id 0
		.amdhsa_next_free_vgpr 1
		.amdhsa_next_free_sgpr 0
		.amdhsa_accum_offset 4
		.amdhsa_reserve_vcc 0
		.amdhsa_reserve_flat_scratch 0
		.amdhsa_float_round_mode_32 0
		.amdhsa_float_round_mode_16_64 0
		.amdhsa_float_denorm_mode_32 3
		.amdhsa_float_denorm_mode_16_64 3
		.amdhsa_dx10_clamp 1
		.amdhsa_ieee_mode 1
		.amdhsa_fp16_overflow 0
		.amdhsa_tg_split 0
		.amdhsa_exception_fp_ieee_invalid_op 0
		.amdhsa_exception_fp_denorm_src 0
		.amdhsa_exception_fp_ieee_div_zero 0
		.amdhsa_exception_fp_ieee_overflow 0
		.amdhsa_exception_fp_ieee_underflow 0
		.amdhsa_exception_fp_ieee_inexact 0
		.amdhsa_exception_int_div_zero 0
	.end_amdhsa_kernel
	.section	.text._ZN7rocprim17ROCPRIM_400000_NS6detail17trampoline_kernelINS0_14default_configENS1_20scan_config_selectorIfEEZZNS1_9scan_implILNS1_25lookback_scan_determinismE0ELb1ELb1ES3_N6thrust23THRUST_200600_302600_NS6detail15normal_iteratorINS9_10device_ptrIfEEEENS9_16discard_iteratorINS9_11use_defaultEEEf11max_functorIfEfEEDaPvRmT3_T4_T5_mT6_P12ihipStream_tbENKUlT_T0_E_clISt17integral_constantIbLb1EESX_EEDaSS_ST_EUlSS_E_NS1_11comp_targetILNS1_3genE5ELNS1_11target_archE942ELNS1_3gpuE9ELNS1_3repE0EEENS1_30default_config_static_selectorELNS0_4arch9wavefront6targetE1EEEvT1_,"axG",@progbits,_ZN7rocprim17ROCPRIM_400000_NS6detail17trampoline_kernelINS0_14default_configENS1_20scan_config_selectorIfEEZZNS1_9scan_implILNS1_25lookback_scan_determinismE0ELb1ELb1ES3_N6thrust23THRUST_200600_302600_NS6detail15normal_iteratorINS9_10device_ptrIfEEEENS9_16discard_iteratorINS9_11use_defaultEEEf11max_functorIfEfEEDaPvRmT3_T4_T5_mT6_P12ihipStream_tbENKUlT_T0_E_clISt17integral_constantIbLb1EESX_EEDaSS_ST_EUlSS_E_NS1_11comp_targetILNS1_3genE5ELNS1_11target_archE942ELNS1_3gpuE9ELNS1_3repE0EEENS1_30default_config_static_selectorELNS0_4arch9wavefront6targetE1EEEvT1_,comdat
.Lfunc_end3225:
	.size	_ZN7rocprim17ROCPRIM_400000_NS6detail17trampoline_kernelINS0_14default_configENS1_20scan_config_selectorIfEEZZNS1_9scan_implILNS1_25lookback_scan_determinismE0ELb1ELb1ES3_N6thrust23THRUST_200600_302600_NS6detail15normal_iteratorINS9_10device_ptrIfEEEENS9_16discard_iteratorINS9_11use_defaultEEEf11max_functorIfEfEEDaPvRmT3_T4_T5_mT6_P12ihipStream_tbENKUlT_T0_E_clISt17integral_constantIbLb1EESX_EEDaSS_ST_EUlSS_E_NS1_11comp_targetILNS1_3genE5ELNS1_11target_archE942ELNS1_3gpuE9ELNS1_3repE0EEENS1_30default_config_static_selectorELNS0_4arch9wavefront6targetE1EEEvT1_, .Lfunc_end3225-_ZN7rocprim17ROCPRIM_400000_NS6detail17trampoline_kernelINS0_14default_configENS1_20scan_config_selectorIfEEZZNS1_9scan_implILNS1_25lookback_scan_determinismE0ELb1ELb1ES3_N6thrust23THRUST_200600_302600_NS6detail15normal_iteratorINS9_10device_ptrIfEEEENS9_16discard_iteratorINS9_11use_defaultEEEf11max_functorIfEfEEDaPvRmT3_T4_T5_mT6_P12ihipStream_tbENKUlT_T0_E_clISt17integral_constantIbLb1EESX_EEDaSS_ST_EUlSS_E_NS1_11comp_targetILNS1_3genE5ELNS1_11target_archE942ELNS1_3gpuE9ELNS1_3repE0EEENS1_30default_config_static_selectorELNS0_4arch9wavefront6targetE1EEEvT1_
                                        ; -- End function
	.section	.AMDGPU.csdata,"",@progbits
; Kernel info:
; codeLenInByte = 0
; NumSgprs: 4
; NumVgprs: 0
; NumAgprs: 0
; TotalNumVgprs: 0
; ScratchSize: 0
; MemoryBound: 0
; FloatMode: 240
; IeeeMode: 1
; LDSByteSize: 0 bytes/workgroup (compile time only)
; SGPRBlocks: 0
; VGPRBlocks: 0
; NumSGPRsForWavesPerEU: 4
; NumVGPRsForWavesPerEU: 1
; AccumOffset: 4
; Occupancy: 8
; WaveLimiterHint : 0
; COMPUTE_PGM_RSRC2:SCRATCH_EN: 0
; COMPUTE_PGM_RSRC2:USER_SGPR: 6
; COMPUTE_PGM_RSRC2:TRAP_HANDLER: 0
; COMPUTE_PGM_RSRC2:TGID_X_EN: 1
; COMPUTE_PGM_RSRC2:TGID_Y_EN: 0
; COMPUTE_PGM_RSRC2:TGID_Z_EN: 0
; COMPUTE_PGM_RSRC2:TIDIG_COMP_CNT: 0
; COMPUTE_PGM_RSRC3_GFX90A:ACCUM_OFFSET: 0
; COMPUTE_PGM_RSRC3_GFX90A:TG_SPLIT: 0
	.section	.text._ZN7rocprim17ROCPRIM_400000_NS6detail17trampoline_kernelINS0_14default_configENS1_20scan_config_selectorIfEEZZNS1_9scan_implILNS1_25lookback_scan_determinismE0ELb1ELb1ES3_N6thrust23THRUST_200600_302600_NS6detail15normal_iteratorINS9_10device_ptrIfEEEENS9_16discard_iteratorINS9_11use_defaultEEEf11max_functorIfEfEEDaPvRmT3_T4_T5_mT6_P12ihipStream_tbENKUlT_T0_E_clISt17integral_constantIbLb1EESX_EEDaSS_ST_EUlSS_E_NS1_11comp_targetILNS1_3genE4ELNS1_11target_archE910ELNS1_3gpuE8ELNS1_3repE0EEENS1_30default_config_static_selectorELNS0_4arch9wavefront6targetE1EEEvT1_,"axG",@progbits,_ZN7rocprim17ROCPRIM_400000_NS6detail17trampoline_kernelINS0_14default_configENS1_20scan_config_selectorIfEEZZNS1_9scan_implILNS1_25lookback_scan_determinismE0ELb1ELb1ES3_N6thrust23THRUST_200600_302600_NS6detail15normal_iteratorINS9_10device_ptrIfEEEENS9_16discard_iteratorINS9_11use_defaultEEEf11max_functorIfEfEEDaPvRmT3_T4_T5_mT6_P12ihipStream_tbENKUlT_T0_E_clISt17integral_constantIbLb1EESX_EEDaSS_ST_EUlSS_E_NS1_11comp_targetILNS1_3genE4ELNS1_11target_archE910ELNS1_3gpuE8ELNS1_3repE0EEENS1_30default_config_static_selectorELNS0_4arch9wavefront6targetE1EEEvT1_,comdat
	.protected	_ZN7rocprim17ROCPRIM_400000_NS6detail17trampoline_kernelINS0_14default_configENS1_20scan_config_selectorIfEEZZNS1_9scan_implILNS1_25lookback_scan_determinismE0ELb1ELb1ES3_N6thrust23THRUST_200600_302600_NS6detail15normal_iteratorINS9_10device_ptrIfEEEENS9_16discard_iteratorINS9_11use_defaultEEEf11max_functorIfEfEEDaPvRmT3_T4_T5_mT6_P12ihipStream_tbENKUlT_T0_E_clISt17integral_constantIbLb1EESX_EEDaSS_ST_EUlSS_E_NS1_11comp_targetILNS1_3genE4ELNS1_11target_archE910ELNS1_3gpuE8ELNS1_3repE0EEENS1_30default_config_static_selectorELNS0_4arch9wavefront6targetE1EEEvT1_ ; -- Begin function _ZN7rocprim17ROCPRIM_400000_NS6detail17trampoline_kernelINS0_14default_configENS1_20scan_config_selectorIfEEZZNS1_9scan_implILNS1_25lookback_scan_determinismE0ELb1ELb1ES3_N6thrust23THRUST_200600_302600_NS6detail15normal_iteratorINS9_10device_ptrIfEEEENS9_16discard_iteratorINS9_11use_defaultEEEf11max_functorIfEfEEDaPvRmT3_T4_T5_mT6_P12ihipStream_tbENKUlT_T0_E_clISt17integral_constantIbLb1EESX_EEDaSS_ST_EUlSS_E_NS1_11comp_targetILNS1_3genE4ELNS1_11target_archE910ELNS1_3gpuE8ELNS1_3repE0EEENS1_30default_config_static_selectorELNS0_4arch9wavefront6targetE1EEEvT1_
	.globl	_ZN7rocprim17ROCPRIM_400000_NS6detail17trampoline_kernelINS0_14default_configENS1_20scan_config_selectorIfEEZZNS1_9scan_implILNS1_25lookback_scan_determinismE0ELb1ELb1ES3_N6thrust23THRUST_200600_302600_NS6detail15normal_iteratorINS9_10device_ptrIfEEEENS9_16discard_iteratorINS9_11use_defaultEEEf11max_functorIfEfEEDaPvRmT3_T4_T5_mT6_P12ihipStream_tbENKUlT_T0_E_clISt17integral_constantIbLb1EESX_EEDaSS_ST_EUlSS_E_NS1_11comp_targetILNS1_3genE4ELNS1_11target_archE910ELNS1_3gpuE8ELNS1_3repE0EEENS1_30default_config_static_selectorELNS0_4arch9wavefront6targetE1EEEvT1_
	.p2align	8
	.type	_ZN7rocprim17ROCPRIM_400000_NS6detail17trampoline_kernelINS0_14default_configENS1_20scan_config_selectorIfEEZZNS1_9scan_implILNS1_25lookback_scan_determinismE0ELb1ELb1ES3_N6thrust23THRUST_200600_302600_NS6detail15normal_iteratorINS9_10device_ptrIfEEEENS9_16discard_iteratorINS9_11use_defaultEEEf11max_functorIfEfEEDaPvRmT3_T4_T5_mT6_P12ihipStream_tbENKUlT_T0_E_clISt17integral_constantIbLb1EESX_EEDaSS_ST_EUlSS_E_NS1_11comp_targetILNS1_3genE4ELNS1_11target_archE910ELNS1_3gpuE8ELNS1_3repE0EEENS1_30default_config_static_selectorELNS0_4arch9wavefront6targetE1EEEvT1_,@function
_ZN7rocprim17ROCPRIM_400000_NS6detail17trampoline_kernelINS0_14default_configENS1_20scan_config_selectorIfEEZZNS1_9scan_implILNS1_25lookback_scan_determinismE0ELb1ELb1ES3_N6thrust23THRUST_200600_302600_NS6detail15normal_iteratorINS9_10device_ptrIfEEEENS9_16discard_iteratorINS9_11use_defaultEEEf11max_functorIfEfEEDaPvRmT3_T4_T5_mT6_P12ihipStream_tbENKUlT_T0_E_clISt17integral_constantIbLb1EESX_EEDaSS_ST_EUlSS_E_NS1_11comp_targetILNS1_3genE4ELNS1_11target_archE910ELNS1_3gpuE8ELNS1_3repE0EEENS1_30default_config_static_selectorELNS0_4arch9wavefront6targetE1EEEvT1_: ; @_ZN7rocprim17ROCPRIM_400000_NS6detail17trampoline_kernelINS0_14default_configENS1_20scan_config_selectorIfEEZZNS1_9scan_implILNS1_25lookback_scan_determinismE0ELb1ELb1ES3_N6thrust23THRUST_200600_302600_NS6detail15normal_iteratorINS9_10device_ptrIfEEEENS9_16discard_iteratorINS9_11use_defaultEEEf11max_functorIfEfEEDaPvRmT3_T4_T5_mT6_P12ihipStream_tbENKUlT_T0_E_clISt17integral_constantIbLb1EESX_EEDaSS_ST_EUlSS_E_NS1_11comp_targetILNS1_3genE4ELNS1_11target_archE910ELNS1_3gpuE8ELNS1_3repE0EEENS1_30default_config_static_selectorELNS0_4arch9wavefront6targetE1EEEvT1_
; %bb.0:
	s_load_dwordx2 s[6:7], s[4:5], 0x20
	s_load_dword s28, s[4:5], 0x28
	s_load_dwordx2 s[20:21], s[4:5], 0x30
	v_cmp_ne_u32_e64 s[2:3], 0, v0
	v_cmp_eq_u32_e64 s[0:1], 0, v0
	s_and_saveexec_b64 s[8:9], s[0:1]
	s_cbranch_execz .LBB3226_4
; %bb.1:
	s_mov_b64 s[12:13], exec
	v_mbcnt_lo_u32_b32 v1, s12, 0
	v_mbcnt_hi_u32_b32 v1, s13, v1
	v_cmp_eq_u32_e32 vcc, 0, v1
                                        ; implicit-def: $vgpr2
	s_and_saveexec_b64 s[10:11], vcc
	s_cbranch_execz .LBB3226_3
; %bb.2:
	s_load_dwordx2 s[14:15], s[4:5], 0x60
	s_bcnt1_i32_b64 s12, s[12:13]
	v_mov_b32_e32 v2, 0
	v_mov_b32_e32 v3, s12
	s_waitcnt lgkmcnt(0)
	global_atomic_add v2, v2, v3, s[14:15] glc
.LBB3226_3:
	s_or_b64 exec, exec, s[10:11]
	s_waitcnt vmcnt(0)
	v_readfirstlane_b32 s10, v2
	v_add_u32_e32 v1, s10, v1
	v_mov_b32_e32 v2, 0
	ds_write_b32 v2, v1
.LBB3226_4:
	s_or_b64 exec, exec, s[8:9]
	v_mov_b32_e32 v3, 0
	s_load_dwordx4 s[8:11], s[4:5], 0x0
	s_load_dword s22, s[4:5], 0x38
	s_load_dwordx8 s[12:19], s[4:5], 0x40
	s_waitcnt lgkmcnt(0)
	s_barrier
	ds_read_b32 v1, v3
	s_lshl_b64 s[4:5], s[10:11], 2
	s_add_u32 s29, s8, s4
	s_movk_i32 s4, 0x700
	s_addc_u32 s30, s9, s5
	s_waitcnt lgkmcnt(0)
	v_mul_lo_u32 v2, v1, s4
	s_add_i32 s4, s22, -1
	s_mul_i32 s5, s4, 0x700
	s_sub_u32 s26, s6, s5
	v_readfirstlane_b32 s31, v1
	s_subb_u32 s27, s7, 0
	v_lshlrev_b64 v[2:3], 2, v[2:3]
	s_cmp_lg_u32 s31, s4
	v_mov_b32_e32 v1, s30
	v_add_co_u32_e32 v18, vcc, s29, v2
	s_cselect_b64 s[22:23], -1, 0
	v_addc_co_u32_e32 v19, vcc, v1, v3, vcc
	s_mov_b64 s[4:5], -1
	s_and_b64 vcc, exec, s[22:23]
	v_lshlrev_b32_e32 v20, 2, v0
	s_barrier
	s_cbranch_vccz .LBB3226_6
; %bb.5:
	v_add_co_u32_e32 v2, vcc, v18, v20
	v_addc_co_u32_e32 v3, vcc, 0, v19, vcc
	flat_load_dword v1, v[2:3]
	flat_load_dword v4, v[2:3] offset:512
	flat_load_dword v5, v[2:3] offset:1024
	;; [unrolled: 1-line block ×7, first 2 shown]
	v_add_co_u32_e32 v2, vcc, 0x1000, v2
	v_addc_co_u32_e32 v3, vcc, 0, v3, vcc
	flat_load_dword v11, v[2:3]
	flat_load_dword v12, v[2:3] offset:512
	flat_load_dword v13, v[2:3] offset:1024
	;; [unrolled: 1-line block ×5, first 2 shown]
	s_mov_b64 s[4:5], 0
	s_waitcnt vmcnt(0) lgkmcnt(0)
	ds_write2st64_b32 v20, v1, v4 offset1:2
	ds_write2st64_b32 v20, v5, v6 offset0:4 offset1:6
	ds_write2st64_b32 v20, v7, v8 offset0:8 offset1:10
	;; [unrolled: 1-line block ×6, first 2 shown]
	s_waitcnt lgkmcnt(0)
	s_barrier
.LBB3226_6:
	s_andn2_b64 vcc, exec, s[4:5]
	s_cbranch_vccnz .LBB3226_36
; %bb.7:
	flat_load_dword v1, v[18:19]
	v_cmp_gt_u32_e32 vcc, s26, v0
	s_waitcnt vmcnt(0) lgkmcnt(0)
	v_mov_b32_e32 v2, v1
	v_mov_b32_e32 v3, v1
	;; [unrolled: 1-line block ×12, first 2 shown]
	v_pk_mov_b32 v[16:17], v[14:15], v[14:15] op_sel:[0,1]
	v_pk_mov_b32 v[14:15], v[12:13], v[12:13] op_sel:[0,1]
	v_pk_mov_b32 v[12:13], v[10:11], v[10:11] op_sel:[0,1]
	v_pk_mov_b32 v[10:11], v[8:9], v[8:9] op_sel:[0,1]
	v_pk_mov_b32 v[8:9], v[6:7], v[6:7] op_sel:[0,1]
	v_pk_mov_b32 v[6:7], v[4:5], v[4:5] op_sel:[0,1]
	v_pk_mov_b32 v[4:5], v[2:3], v[2:3] op_sel:[0,1]
	v_pk_mov_b32 v[2:3], v[0:1], v[0:1] op_sel:[0,1]
	s_and_saveexec_b64 s[4:5], vcc
	s_cbranch_execz .LBB3226_9
; %bb.8:
	v_add_co_u32_e32 v2, vcc, v18, v20
	v_addc_co_u32_e32 v3, vcc, 0, v19, vcc
	flat_load_dword v21, v[2:3]
	v_mov_b32_e32 v2, v1
	v_mov_b32_e32 v3, v1
	;; [unrolled: 1-line block ×12, first 2 shown]
	v_pk_mov_b32 v[16:17], v[14:15], v[14:15] op_sel:[0,1]
	v_pk_mov_b32 v[14:15], v[12:13], v[12:13] op_sel:[0,1]
	;; [unrolled: 1-line block ×8, first 2 shown]
	s_waitcnt vmcnt(0) lgkmcnt(0)
	v_mov_b32_e32 v1, v21
.LBB3226_9:
	s_or_b64 exec, exec, s[4:5]
	v_or_b32_e32 v2, 0x80, v0
	v_cmp_gt_u32_e32 vcc, s26, v2
	s_and_saveexec_b64 s[4:5], vcc
	s_cbranch_execz .LBB3226_11
; %bb.10:
	v_add_co_u32_e32 v2, vcc, v18, v20
	v_addc_co_u32_e32 v3, vcc, 0, v19, vcc
	flat_load_dword v3, v[2:3] offset:512
.LBB3226_11:
	s_or_b64 exec, exec, s[4:5]
	v_or_b32_e32 v2, 0x100, v0
	v_cmp_gt_u32_e32 vcc, s26, v2
	s_and_saveexec_b64 s[4:5], vcc
	s_cbranch_execz .LBB3226_13
; %bb.12:
	v_add_co_u32_e32 v16, vcc, v18, v20
	v_addc_co_u32_e32 v17, vcc, 0, v19, vcc
	flat_load_dword v4, v[16:17] offset:1024
.LBB3226_13:
	;; [unrolled: 10-line block ×7, first 2 shown]
	s_or_b64 exec, exec, s[4:5]
	v_or_b32_e32 v2, 0x400, v0
	v_cmp_gt_u32_e32 vcc, s26, v2
	s_and_saveexec_b64 s[4:5], vcc
	s_cbranch_execz .LBB3226_25
; %bb.24:
	v_lshlrev_b32_e32 v2, 2, v2
	v_add_co_u32_e32 v16, vcc, v18, v2
	v_addc_co_u32_e32 v17, vcc, 0, v19, vcc
	flat_load_dword v10, v[16:17]
.LBB3226_25:
	s_or_b64 exec, exec, s[4:5]
	v_or_b32_e32 v2, 0x480, v0
	v_cmp_gt_u32_e32 vcc, s26, v2
	s_and_saveexec_b64 s[4:5], vcc
	s_cbranch_execz .LBB3226_27
; %bb.26:
	v_lshlrev_b32_e32 v2, 2, v2
	v_add_co_u32_e32 v16, vcc, v18, v2
	v_addc_co_u32_e32 v17, vcc, 0, v19, vcc
	flat_load_dword v11, v[16:17]
.LBB3226_27:
	s_or_b64 exec, exec, s[4:5]
	v_or_b32_e32 v2, 0x500, v0
	v_cmp_gt_u32_e32 vcc, s26, v2
	s_and_saveexec_b64 s[4:5], vcc
	s_cbranch_execz .LBB3226_29
; %bb.28:
	v_lshlrev_b32_e32 v2, 2, v2
	v_add_co_u32_e32 v16, vcc, v18, v2
	v_addc_co_u32_e32 v17, vcc, 0, v19, vcc
	flat_load_dword v12, v[16:17]
.LBB3226_29:
	s_or_b64 exec, exec, s[4:5]
	v_or_b32_e32 v2, 0x580, v0
	v_cmp_gt_u32_e32 vcc, s26, v2
	s_and_saveexec_b64 s[4:5], vcc
	s_cbranch_execz .LBB3226_31
; %bb.30:
	v_lshlrev_b32_e32 v2, 2, v2
	v_add_co_u32_e32 v16, vcc, v18, v2
	v_addc_co_u32_e32 v17, vcc, 0, v19, vcc
	flat_load_dword v13, v[16:17]
.LBB3226_31:
	s_or_b64 exec, exec, s[4:5]
	v_or_b32_e32 v2, 0x600, v0
	v_cmp_gt_u32_e32 vcc, s26, v2
	s_and_saveexec_b64 s[4:5], vcc
	s_cbranch_execz .LBB3226_33
; %bb.32:
	v_lshlrev_b32_e32 v2, 2, v2
	v_add_co_u32_e32 v16, vcc, v18, v2
	v_addc_co_u32_e32 v17, vcc, 0, v19, vcc
	flat_load_dword v14, v[16:17]
.LBB3226_33:
	s_or_b64 exec, exec, s[4:5]
	v_or_b32_e32 v2, 0x680, v0
	v_cmp_gt_u32_e32 vcc, s26, v2
	s_and_saveexec_b64 s[4:5], vcc
	s_cbranch_execz .LBB3226_35
; %bb.34:
	v_lshlrev_b32_e32 v2, 2, v2
	v_add_co_u32_e32 v16, vcc, v18, v2
	v_addc_co_u32_e32 v17, vcc, 0, v19, vcc
	flat_load_dword v15, v[16:17]
.LBB3226_35:
	s_or_b64 exec, exec, s[4:5]
	s_waitcnt vmcnt(0) lgkmcnt(0)
	ds_write2st64_b32 v20, v1, v3 offset1:2
	ds_write2st64_b32 v20, v4, v5 offset0:4 offset1:6
	ds_write2st64_b32 v20, v6, v7 offset0:8 offset1:10
	;; [unrolled: 1-line block ×6, first 2 shown]
	s_waitcnt lgkmcnt(0)
	s_barrier
.LBB3226_36:
	v_mul_u32_u24_e32 v32, 14, v0
	v_lshlrev_b32_e32 v33, 2, v32
	ds_read2_b64 v[26:29], v33 offset1:1
	ds_read2_b64 v[22:25], v33 offset0:2 offset1:3
	ds_read2_b64 v[18:21], v33 offset0:4 offset1:5
	ds_read_b64 v[30:31], v33 offset:48
	s_cmp_lg_u32 s31, 0
	s_waitcnt lgkmcnt(3)
	v_cmp_lt_f32_e64 s[4:5], v26, v27
	v_lshrrev_b32_e32 v1, 5, v0
	v_cmp_gt_u32_e32 vcc, 64, v0
	s_waitcnt lgkmcnt(0)
	s_barrier
	s_cbranch_scc0 .LBB3226_65
; %bb.37:
	v_cndmask_b32_e64 v2, v26, v27, s[4:5]
	v_cmp_lt_f32_e64 s[4:5], v2, v28
	v_cndmask_b32_e64 v2, v2, v28, s[4:5]
	v_cmp_lt_f32_e64 s[4:5], v2, v29
	;; [unrolled: 2-line block ×12, first 2 shown]
	v_cndmask_b32_e64 v12, v2, v31, s[4:5]
	v_add_lshl_u32 v2, v1, v0, 2
	ds_write_b32 v2, v12
	s_waitcnt lgkmcnt(0)
	s_barrier
	s_and_saveexec_b64 s[24:25], vcc
	s_cbranch_execz .LBB3226_39
; %bb.38:
	v_lshlrev_b32_e32 v2, 1, v0
	v_lshrrev_b32_e32 v3, 4, v0
	v_add_lshl_u32 v4, v3, v2, 2
	ds_read2_b32 v[2:3], v4 offset1:1
	v_mbcnt_lo_u32_b32 v5, -1, 0
	v_mbcnt_hi_u32_b32 v5, -1, v5
	v_and_b32_e32 v6, 15, v5
	v_cmp_lt_u32_e64 s[10:11], 31, v5
	s_waitcnt lgkmcnt(0)
	v_cmp_lt_f32_e64 s[4:5], v2, v3
	v_cndmask_b32_e64 v3, v2, v3, s[4:5]
	v_cmp_gt_u32_e64 s[8:9], 32, v5
	s_nop 0
	v_mov_b32_dpp v7, v3 row_shr:1 row_mask:0xf bank_mask:0xf
	v_cmp_gt_f32_e64 s[4:5], v3, v7
	v_cndmask_b32_e64 v7, v7, v3, s[4:5]
	v_cmp_eq_u32_e64 s[4:5], 0, v6
	v_cndmask_b32_e64 v3, v7, v3, s[4:5]
	; wave barrier
	s_nop 1
	v_mov_b32_dpp v7, v3 row_shr:2 row_mask:0xf bank_mask:0xf
	v_cmp_gt_f32_e64 s[4:5], v3, v7
	v_cndmask_b32_e64 v7, v7, v3, s[4:5]
	v_cmp_lt_u32_e64 s[4:5], 1, v6
	v_cndmask_b32_e64 v7, v3, v7, s[4:5]
	s_nop 1
	v_mov_b32_dpp v8, v7 row_shr:4 row_mask:0xf bank_mask:0xf
	v_cmp_gt_f32_e64 s[6:7], v7, v8
	v_cndmask_b32_e64 v8, v8, v7, s[6:7]
	v_cmp_lt_u32_e64 s[6:7], 3, v6
	v_cndmask_b32_e64 v7, v7, v8, s[6:7]
	;; [unrolled: 6-line block ×3, first 2 shown]
	v_and_b32_e32 v8, 16, v5
	s_nop 0
	v_mov_b32_dpp v7, v6 row_bcast:15 row_mask:0xf bank_mask:0xf
	v_cmp_gt_f32_e64 s[6:7], v6, v7
	v_cndmask_b32_e64 v7, v7, v6, s[6:7]
	v_cmp_ne_u32_e64 s[6:7], 0, v8
	v_cndmask_b32_e64 v6, v6, v7, s[6:7]
	s_or_b64 s[10:11], s[6:7], s[10:11]
	s_or_b64 s[4:5], s[4:5], s[10:11]
	v_mov_b32_dpp v7, v6 row_bcast:31 row_mask:0xf bank_mask:0xf
	v_cmp_gt_f32_e64 s[6:7], v6, v7
	s_or_b64 s[6:7], s[8:9], s[6:7]
	v_cndmask_b32_e64 v6, v7, v6, s[6:7]
	v_cndmask_b32_e64 v3, v3, v6, s[4:5]
	v_add_u32_e32 v6, -1, v5
	v_and_b32_e32 v7, 64, v5
	v_cmp_lt_i32_e64 s[4:5], v6, v7
	v_cndmask_b32_e64 v5, v6, v5, s[4:5]
	v_lshlrev_b32_e32 v5, 2, v5
	ds_bpermute_b32 v3, v5, v3
	s_waitcnt lgkmcnt(0)
	v_cmp_gt_f32_e64 s[4:5], v2, v3
	v_cndmask_b32_e64 v2, v3, v2, s[4:5]
	v_cndmask_b32_e64 v2, v2, v12, s[0:1]
	ds_write_b32 v4, v2
	; wave barrier
	ds_read_b32 v3, v4 offset:4
	s_waitcnt lgkmcnt(0)
	v_cmp_lt_f32_e64 s[4:5], v2, v3
	v_cndmask_b32_e64 v2, v2, v3, s[4:5]
	ds_write_b32 v4, v2 offset:4
.LBB3226_39:
	s_or_b64 exec, exec, s[24:25]
	s_waitcnt lgkmcnt(0)
	s_barrier
	s_and_saveexec_b64 s[4:5], s[2:3]
	s_cbranch_execz .LBB3226_41
; %bb.40:
	v_add_u32_e32 v2, -1, v0
	v_lshrrev_b32_e32 v3, 5, v2
	v_add_lshl_u32 v2, v3, v2, 2
	ds_read_b32 v12, v2
.LBB3226_41:
	s_or_b64 exec, exec, s[4:5]
	s_and_saveexec_b64 s[10:11], vcc
	s_cbranch_execz .LBB3226_64
; %bb.42:
	v_mov_b32_e32 v11, 0
	ds_read_b32 v2, v11 offset:520
	v_mbcnt_lo_u32_b32 v3, -1, 0
	v_mbcnt_hi_u32_b32 v5, -1, v3
	s_mov_b32 s9, 0
	v_cmp_eq_u32_e64 s[4:5], 0, v5
	s_and_saveexec_b64 s[6:7], s[4:5]
	s_cbranch_execz .LBB3226_44
; %bb.43:
	s_add_i32 s8, s31, 64
	s_lshl_b64 s[8:9], s[8:9], 3
	s_add_u32 s8, s20, s8
	v_mov_b32_e32 v3, 1
	s_addc_u32 s9, s21, s9
	s_waitcnt lgkmcnt(0)
	global_store_dwordx2 v11, v[2:3], s[8:9]
.LBB3226_44:
	s_or_b64 exec, exec, s[6:7]
	v_xad_u32 v4, v5, -1, s31
	v_add_u32_e32 v10, 64, v4
	v_lshlrev_b64 v[6:7], 3, v[10:11]
	v_mov_b32_e32 v3, s21
	v_add_co_u32_e32 v6, vcc, s20, v6
	v_addc_co_u32_e32 v7, vcc, v3, v7, vcc
	global_load_dwordx2 v[8:9], v[6:7], off glc
	s_waitcnt vmcnt(0)
	v_cmp_eq_u16_sdwa s[8:9], v9, v11 src0_sel:BYTE_0 src1_sel:DWORD
	s_and_saveexec_b64 s[6:7], s[8:9]
	s_cbranch_execz .LBB3226_50
; %bb.45:
	s_mov_b32 s24, 1
	s_mov_b64 s[8:9], 0
	v_mov_b32_e32 v3, 0
.LBB3226_46:                            ; =>This Loop Header: Depth=1
                                        ;     Child Loop BB3226_47 Depth 2
	s_max_u32 s25, s24, 1
.LBB3226_47:                            ;   Parent Loop BB3226_46 Depth=1
                                        ; =>  This Inner Loop Header: Depth=2
	s_add_i32 s25, s25, -1
	s_cmp_eq_u32 s25, 0
	s_sleep 1
	s_cbranch_scc0 .LBB3226_47
; %bb.48:                               ;   in Loop: Header=BB3226_46 Depth=1
	global_load_dwordx2 v[8:9], v[6:7], off glc
	s_cmp_lt_u32 s24, 32
	s_cselect_b64 s[34:35], -1, 0
	s_cmp_lg_u64 s[34:35], 0
	s_addc_u32 s24, s24, 0
	s_waitcnt vmcnt(0)
	v_cmp_ne_u16_sdwa s[34:35], v9, v3 src0_sel:BYTE_0 src1_sel:DWORD
	s_or_b64 s[8:9], s[34:35], s[8:9]
	s_andn2_b64 exec, exec, s[8:9]
	s_cbranch_execnz .LBB3226_46
; %bb.49:
	s_or_b64 exec, exec, s[8:9]
.LBB3226_50:
	s_or_b64 exec, exec, s[6:7]
	v_and_b32_e32 v13, 63, v5
	v_cmp_ne_u32_e32 vcc, 63, v13
	v_addc_co_u32_e32 v14, vcc, 0, v5, vcc
	v_lshlrev_b32_e32 v14, 2, v14
	v_mov_b32_e32 v3, 2
	ds_bpermute_b32 v15, v14, v8
	v_cmp_eq_u16_sdwa s[6:7], v9, v3 src0_sel:BYTE_0 src1_sel:DWORD
	v_lshlrev_b64 v[6:7], v5, -1
	v_and_b32_e32 v10, s7, v7
	v_or_b32_e32 v10, 0x80000000, v10
	v_and_b32_e32 v11, s6, v6
	v_ffbl_b32_e32 v10, v10
	v_add_u32_e32 v10, 32, v10
	v_ffbl_b32_e32 v11, v11
	s_waitcnt lgkmcnt(0)
	v_cmp_lt_f32_e32 vcc, v15, v8
	v_cmp_gt_u32_e64 s[6:7], 62, v13
	v_min_u32_e32 v10, v11, v10
	v_cndmask_b32_e32 v11, v15, v8, vcc
	v_cndmask_b32_e64 v15, 0, 1, s[6:7]
	v_cmp_lt_u32_e32 vcc, v13, v10
	v_lshlrev_b32_e32 v15, 1, v15
	v_cndmask_b32_e32 v11, v8, v11, vcc
	v_add_lshl_u32 v15, v15, v5, 2
	ds_bpermute_b32 v17, v15, v11
	v_add_u32_e32 v16, 2, v13
	v_add_u32_e32 v34, 4, v13
	;; [unrolled: 1-line block ×4, first 2 shown]
	s_waitcnt lgkmcnt(0)
	v_cmp_gt_f32_e64 s[6:7], v11, v17
	v_cndmask_b32_e64 v17, v17, v11, s[6:7]
	v_cmp_gt_u32_e64 s[6:7], v16, v10
	v_cndmask_b32_e64 v11, v17, v11, s[6:7]
	v_cmp_gt_u32_e64 s[6:7], 60, v13
	v_cndmask_b32_e64 v17, 0, 1, s[6:7]
	v_lshlrev_b32_e32 v17, 2, v17
	v_add_lshl_u32 v17, v17, v5, 2
	ds_bpermute_b32 v35, v17, v11
	v_add_u32_e32 v41, 32, v13
	s_waitcnt lgkmcnt(0)
	v_cmp_gt_f32_e64 s[6:7], v11, v35
	v_cndmask_b32_e64 v35, v35, v11, s[6:7]
	v_cmp_gt_u32_e64 s[6:7], v34, v10
	v_cndmask_b32_e64 v11, v35, v11, s[6:7]
	v_cmp_gt_u32_e64 s[6:7], 56, v13
	v_cndmask_b32_e64 v35, 0, 1, s[6:7]
	v_lshlrev_b32_e32 v35, 3, v35
	v_add_lshl_u32 v35, v35, v5, 2
	ds_bpermute_b32 v37, v35, v11
	s_waitcnt lgkmcnt(0)
	v_cmp_gt_f32_e64 s[6:7], v11, v37
	v_cndmask_b32_e64 v37, v37, v11, s[6:7]
	v_cmp_gt_u32_e64 s[6:7], v36, v10
	v_cndmask_b32_e64 v11, v37, v11, s[6:7]
	v_cmp_gt_u32_e64 s[6:7], 48, v13
	v_cndmask_b32_e64 v37, 0, 1, s[6:7]
	v_lshlrev_b32_e32 v37, 4, v37
	v_add_lshl_u32 v37, v37, v5, 2
	ds_bpermute_b32 v38, v37, v11
	;; [unrolled: 10-line block ×3, first 2 shown]
	v_cmp_gt_u32_e64 s[6:7], v41, v10
	s_waitcnt lgkmcnt(0)
	v_cmp_gt_f32_e64 s[8:9], v11, v5
	s_or_b64 s[6:7], s[6:7], s[8:9]
	v_cndmask_b32_e64 v5, v5, v11, s[6:7]
	v_cndmask_b32_e32 v8, v8, v5, vcc
	v_mov_b32_e32 v5, 0
	s_branch .LBB3226_52
.LBB3226_51:                            ;   in Loop: Header=BB3226_52 Depth=1
	s_or_b64 exec, exec, s[6:7]
	v_cmp_eq_u16_sdwa s[6:7], v9, v3 src0_sel:BYTE_0 src1_sel:DWORD
	ds_bpermute_b32 v42, v14, v8
	v_and_b32_e32 v10, s7, v7
	v_or_b32_e32 v10, 0x80000000, v10
	v_and_b32_e32 v11, s6, v6
	v_ffbl_b32_e32 v10, v10
	v_add_u32_e32 v10, 32, v10
	v_ffbl_b32_e32 v11, v11
	v_min_u32_e32 v10, v11, v10
	s_waitcnt lgkmcnt(0)
	v_cmp_lt_f32_e32 vcc, v42, v8
	v_cndmask_b32_e32 v11, v42, v8, vcc
	v_cmp_lt_u32_e32 vcc, v13, v10
	v_cndmask_b32_e32 v11, v8, v11, vcc
	ds_bpermute_b32 v42, v15, v11
	v_subrev_u32_e32 v4, 64, v4
	s_waitcnt lgkmcnt(0)
	v_cmp_gt_f32_e64 s[6:7], v11, v42
	v_cndmask_b32_e64 v42, v42, v11, s[6:7]
	v_cmp_gt_u32_e64 s[6:7], v16, v10
	v_cndmask_b32_e64 v11, v42, v11, s[6:7]
	ds_bpermute_b32 v42, v17, v11
	s_waitcnt lgkmcnt(0)
	v_cmp_gt_f32_e64 s[6:7], v11, v42
	v_cndmask_b32_e64 v42, v42, v11, s[6:7]
	v_cmp_gt_u32_e64 s[6:7], v34, v10
	v_cndmask_b32_e64 v11, v42, v11, s[6:7]
	ds_bpermute_b32 v42, v35, v11
	;; [unrolled: 6-line block ×4, first 2 shown]
	v_cmp_gt_u32_e64 s[6:7], v41, v10
	s_waitcnt lgkmcnt(0)
	v_cmp_gt_f32_e64 s[8:9], v11, v42
	s_or_b64 s[6:7], s[6:7], s[8:9]
	v_cndmask_b32_e64 v10, v42, v11, s[6:7]
	v_cndmask_b32_e32 v8, v8, v10, vcc
	v_cmp_lt_f32_e32 vcc, v8, v38
	v_cndmask_b32_e32 v8, v8, v38, vcc
.LBB3226_52:                            ; =>This Loop Header: Depth=1
                                        ;     Child Loop BB3226_55 Depth 2
                                        ;       Child Loop BB3226_56 Depth 3
	v_cmp_ne_u16_sdwa s[6:7], v9, v3 src0_sel:BYTE_0 src1_sel:DWORD
	v_cndmask_b32_e64 v9, 0, 1, s[6:7]
	;;#ASMSTART
	;;#ASMEND
	v_cmp_ne_u32_e32 vcc, 0, v9
	s_cmp_lg_u64 vcc, exec
	v_mov_b32_e32 v38, v8
	s_cbranch_scc1 .LBB3226_59
; %bb.53:                               ;   in Loop: Header=BB3226_52 Depth=1
	v_lshlrev_b64 v[8:9], 3, v[4:5]
	v_mov_b32_e32 v11, s21
	v_add_co_u32_e32 v10, vcc, s20, v8
	v_addc_co_u32_e32 v11, vcc, v11, v9, vcc
	global_load_dwordx2 v[8:9], v[10:11], off glc
	s_waitcnt vmcnt(0)
	v_cmp_eq_u16_sdwa s[8:9], v9, v5 src0_sel:BYTE_0 src1_sel:DWORD
	s_and_saveexec_b64 s[6:7], s[8:9]
	s_cbranch_execz .LBB3226_51
; %bb.54:                               ;   in Loop: Header=BB3226_52 Depth=1
	s_mov_b32 s24, 1
	s_mov_b64 s[8:9], 0
.LBB3226_55:                            ;   Parent Loop BB3226_52 Depth=1
                                        ; =>  This Loop Header: Depth=2
                                        ;       Child Loop BB3226_56 Depth 3
	s_max_u32 s25, s24, 1
.LBB3226_56:                            ;   Parent Loop BB3226_52 Depth=1
                                        ;     Parent Loop BB3226_55 Depth=2
                                        ; =>    This Inner Loop Header: Depth=3
	s_add_i32 s25, s25, -1
	s_cmp_eq_u32 s25, 0
	s_sleep 1
	s_cbranch_scc0 .LBB3226_56
; %bb.57:                               ;   in Loop: Header=BB3226_55 Depth=2
	global_load_dwordx2 v[8:9], v[10:11], off glc
	s_cmp_lt_u32 s24, 32
	s_cselect_b64 s[34:35], -1, 0
	s_cmp_lg_u64 s[34:35], 0
	s_addc_u32 s24, s24, 0
	s_waitcnt vmcnt(0)
	v_cmp_ne_u16_sdwa s[34:35], v9, v5 src0_sel:BYTE_0 src1_sel:DWORD
	s_or_b64 s[8:9], s[34:35], s[8:9]
	s_andn2_b64 exec, exec, s[8:9]
	s_cbranch_execnz .LBB3226_55
; %bb.58:                               ;   in Loop: Header=BB3226_52 Depth=1
	s_or_b64 exec, exec, s[8:9]
	s_branch .LBB3226_51
.LBB3226_59:                            ;   in Loop: Header=BB3226_52 Depth=1
                                        ; implicit-def: $vgpr8
                                        ; implicit-def: $vgpr9
	s_cbranch_execz .LBB3226_52
; %bb.60:
	s_and_saveexec_b64 s[6:7], s[4:5]
	s_cbranch_execz .LBB3226_62
; %bb.61:
	s_add_i32 s4, s31, 64
	s_mov_b32 s5, 0
	s_lshl_b64 s[4:5], s[4:5], 3
	v_cmp_lt_f32_e32 vcc, v38, v2
	s_add_u32 s4, s20, s4
	v_cndmask_b32_e32 v2, v38, v2, vcc
	v_mov_b32_e32 v3, 2
	s_addc_u32 s5, s21, s5
	v_mov_b32_e32 v4, 0
	global_store_dwordx2 v4, v[2:3], s[4:5]
.LBB3226_62:
	s_or_b64 exec, exec, s[6:7]
	s_and_b64 exec, exec, s[0:1]
	s_cbranch_execz .LBB3226_64
; %bb.63:
	v_mov_b32_e32 v2, 0
	ds_write_b32 v2, v38
.LBB3226_64:
	s_or_b64 exec, exec, s[10:11]
	v_mov_b32_e32 v2, 0
	s_waitcnt lgkmcnt(0)
	s_barrier
	ds_read_b32 v2, v2
	s_waitcnt lgkmcnt(0)
	v_cmp_lt_f32_e32 vcc, v2, v12
	v_cndmask_b32_e32 v3, v2, v12, vcc
	v_cndmask_b32_e64 v2, v3, v2, s[0:1]
	v_cmp_lt_f32_e32 vcc, v2, v26
	v_cndmask_b32_e32 v3, v2, v26, vcc
	v_cmp_lt_f32_e32 vcc, v3, v27
	v_cndmask_b32_e32 v4, v3, v27, vcc
	;; [unrolled: 2-line block ×13, first 2 shown]
	s_branch .LBB3226_75
.LBB3226_65:
                                        ; implicit-def: $vgpr2_vgpr3_vgpr4_vgpr5_vgpr6_vgpr7_vgpr8_vgpr9_vgpr10_vgpr11_vgpr12_vgpr13_vgpr14_vgpr15_vgpr16_vgpr17
	s_cbranch_execz .LBB3226_75
; %bb.66:
	s_cmp_eq_u64 s[16:17], 0
	v_mov_b32_e32 v16, s28
	s_cbranch_scc1 .LBB3226_68
; %bb.67:
	v_mov_b32_e32 v2, 0
	global_load_dword v4, v2, s[12:13]
	v_mov_b32_e32 v3, s30
	v_add_co_u32_e64 v2, vcc, -4, s29
	v_addc_co_u32_e32 v3, vcc, -1, v3, vcc
	flat_load_dword v2, v[2:3]
	s_waitcnt vmcnt(0) lgkmcnt(0)
	v_cmp_lt_f32_e32 vcc, v4, v2
	v_cndmask_b32_e32 v16, v4, v2, vcc
.LBB3226_68:
	v_cmp_lt_f32_e32 vcc, v26, v27
	v_cndmask_b32_e32 v2, v26, v27, vcc
	v_cmp_lt_f32_e32 vcc, v2, v28
	v_cndmask_b32_e32 v2, v2, v28, vcc
	v_cmp_lt_f32_e32 vcc, v2, v29
	v_cndmask_b32_e32 v2, v2, v29, vcc
	v_cmp_lt_f32_e32 vcc, v2, v22
	v_cndmask_b32_e32 v2, v2, v22, vcc
	v_cmp_lt_f32_e32 vcc, v2, v23
	v_cndmask_b32_e32 v2, v2, v23, vcc
	v_cmp_lt_f32_e32 vcc, v2, v24
	v_cndmask_b32_e32 v2, v2, v24, vcc
	v_cmp_lt_f32_e32 vcc, v2, v25
	v_cndmask_b32_e32 v2, v2, v25, vcc
	v_cmp_lt_f32_e32 vcc, v2, v18
	v_cndmask_b32_e32 v2, v2, v18, vcc
	v_cmp_lt_f32_e32 vcc, v2, v19
	v_cndmask_b32_e32 v2, v2, v19, vcc
	v_cmp_lt_f32_e32 vcc, v2, v20
	v_cndmask_b32_e32 v2, v2, v20, vcc
	v_cmp_lt_f32_e32 vcc, v2, v21
	v_cndmask_b32_e32 v2, v2, v21, vcc
	v_cmp_lt_f32_e32 vcc, v2, v30
	v_cndmask_b32_e32 v2, v2, v30, vcc
	v_cmp_lt_f32_e32 vcc, v2, v31
	v_cndmask_b32_e32 v2, v2, v31, vcc
	v_add_lshl_u32 v1, v1, v0, 2
	v_cmp_gt_u32_e32 vcc, 64, v0
	ds_write_b32 v1, v2
	s_waitcnt lgkmcnt(0)
	s_barrier
	s_and_saveexec_b64 s[10:11], vcc
	s_cbranch_execz .LBB3226_70
; %bb.69:
	v_lshlrev_b32_e32 v1, 1, v0
	v_lshrrev_b32_e32 v3, 4, v0
	v_add_lshl_u32 v1, v3, v1, 2
	ds_read2_b32 v[4:5], v1 offset1:1
	v_mbcnt_lo_u32_b32 v3, -1, 0
	v_mbcnt_hi_u32_b32 v3, -1, v3
	v_and_b32_e32 v6, 15, v3
	v_cmp_lt_u32_e64 s[8:9], 31, v3
	s_waitcnt lgkmcnt(0)
	v_cmp_lt_f32_e32 vcc, v4, v5
	v_cndmask_b32_e32 v5, v4, v5, vcc
	v_cmp_gt_u32_e64 s[6:7], 32, v3
	s_nop 0
	v_mov_b32_dpp v7, v5 row_shr:1 row_mask:0xf bank_mask:0xf
	v_cmp_gt_f32_e32 vcc, v5, v7
	v_cndmask_b32_e32 v7, v7, v5, vcc
	v_cmp_eq_u32_e32 vcc, 0, v6
	v_cndmask_b32_e32 v5, v7, v5, vcc
	; wave barrier
	s_nop 1
	v_mov_b32_dpp v7, v5 row_shr:2 row_mask:0xf bank_mask:0xf
	v_cmp_gt_f32_e32 vcc, v5, v7
	v_cndmask_b32_e32 v7, v7, v5, vcc
	v_cmp_lt_u32_e32 vcc, 1, v6
	v_cndmask_b32_e32 v7, v5, v7, vcc
	s_nop 1
	v_mov_b32_dpp v8, v7 row_shr:4 row_mask:0xf bank_mask:0xf
	v_cmp_gt_f32_e64 s[4:5], v7, v8
	v_cndmask_b32_e64 v8, v8, v7, s[4:5]
	v_cmp_lt_u32_e64 s[4:5], 3, v6
	v_cndmask_b32_e64 v7, v7, v8, s[4:5]
	s_nop 1
	v_mov_b32_dpp v8, v7 row_shr:8 row_mask:0xf bank_mask:0xf
	v_cmp_gt_f32_e64 s[4:5], v7, v8
	v_cndmask_b32_e64 v8, v8, v7, s[4:5]
	v_cmp_lt_u32_e64 s[4:5], 7, v6
	v_cndmask_b32_e64 v6, v7, v8, s[4:5]
	v_and_b32_e32 v8, 16, v3
	s_nop 0
	v_mov_b32_dpp v7, v6 row_bcast:15 row_mask:0xf bank_mask:0xf
	v_cmp_gt_f32_e64 s[4:5], v6, v7
	v_cndmask_b32_e64 v7, v7, v6, s[4:5]
	v_cmp_ne_u32_e64 s[4:5], 0, v8
	v_cndmask_b32_e64 v6, v6, v7, s[4:5]
	s_or_b64 s[8:9], s[4:5], s[8:9]
	s_or_b64 vcc, vcc, s[8:9]
	v_mov_b32_dpp v7, v6 row_bcast:31 row_mask:0xf bank_mask:0xf
	v_cmp_gt_f32_e64 s[4:5], v6, v7
	s_or_b64 s[4:5], s[6:7], s[4:5]
	v_cndmask_b32_e64 v6, v7, v6, s[4:5]
	v_cndmask_b32_e32 v5, v5, v6, vcc
	v_add_u32_e32 v6, -1, v3
	v_and_b32_e32 v7, 64, v3
	v_cmp_lt_i32_e32 vcc, v6, v7
	v_cndmask_b32_e32 v3, v6, v3, vcc
	v_lshlrev_b32_e32 v3, 2, v3
	ds_bpermute_b32 v3, v3, v5
	s_waitcnt lgkmcnt(0)
	v_cmp_gt_f32_e32 vcc, v4, v3
	v_cndmask_b32_e32 v3, v3, v4, vcc
	v_cndmask_b32_e64 v2, v3, v2, s[0:1]
	ds_write_b32 v1, v2
	; wave barrier
	ds_read_b32 v3, v1 offset:4
	s_waitcnt lgkmcnt(0)
	v_cmp_lt_f32_e32 vcc, v2, v3
	v_cndmask_b32_e32 v2, v2, v3, vcc
	ds_write_b32 v1, v2 offset:4
.LBB3226_70:
	s_or_b64 exec, exec, s[10:11]
	v_mov_b32_e32 v2, v16
	s_waitcnt lgkmcnt(0)
	s_barrier
	s_and_saveexec_b64 s[4:5], s[2:3]
	s_cbranch_execz .LBB3226_72
; %bb.71:
	v_add_u32_e32 v1, -1, v0
	v_lshrrev_b32_e32 v2, 5, v1
	v_add_lshl_u32 v1, v2, v1, 2
	ds_read_b32 v1, v1
	s_waitcnt lgkmcnt(0)
	v_cmp_gt_f32_e32 vcc, v1, v16
	v_cndmask_b32_e32 v2, v16, v1, vcc
.LBB3226_72:
	s_or_b64 exec, exec, s[4:5]
	v_cmp_lt_f32_e32 vcc, v2, v26
	v_cndmask_b32_e32 v3, v2, v26, vcc
	v_cmp_lt_f32_e32 vcc, v3, v27
	v_cndmask_b32_e32 v4, v3, v27, vcc
	;; [unrolled: 2-line block ×13, first 2 shown]
	s_and_saveexec_b64 s[2:3], s[0:1]
	s_cbranch_execz .LBB3226_74
; %bb.73:
	v_mov_b32_e32 v1, 0
	ds_read_b32 v17, v1 offset:520
	s_waitcnt lgkmcnt(0)
	v_cmp_gt_f32_e32 vcc, v17, v16
	v_cndmask_b32_e32 v16, v16, v17, vcc
	v_mov_b32_e32 v17, 2
	global_store_dwordx2 v1, v[16:17], s[20:21] offset:512
.LBB3226_74:
	s_or_b64 exec, exec, s[2:3]
.LBB3226_75:
	s_mov_b64 s[0:1], -1
	s_and_b64 vcc, exec, s[22:23]
	s_barrier
	ds_write2_b64 v33, v[2:3], v[4:5] offset1:1
	ds_write2_b64 v33, v[6:7], v[8:9] offset0:2 offset1:3
	ds_write2_b64 v33, v[10:11], v[12:13] offset0:4 offset1:5
	ds_write_b64 v33, v[14:15] offset:48
	s_waitcnt lgkmcnt(0)
	s_cbranch_vccz .LBB3226_77
; %bb.76:
	s_barrier
	s_mov_b64 s[0:1], 0
.LBB3226_77:
	s_andn2_b64 vcc, exec, s[0:1]
	s_cbranch_vccnz .LBB3226_129
; %bb.78:
	v_cmp_lt_u64_e64 s[0:1], s[18:19], 2
	s_and_b64 vcc, exec, s[0:1]
	s_barrier
	s_cbranch_vccnz .LBB3226_129
; %bb.79:
	s_add_u32 s0, s26, -1
	s_addc_u32 s1, s27, -1
	s_add_u32 s2, 0, 0x49240800
	s_addc_u32 s3, 0, 50
	s_add_i32 s3, s3, 0x12492460
	s_mul_hi_u32 s7, s2, -14
	s_sub_i32 s7, s7, s2
	s_mul_i32 s8, s3, -14
	s_mul_i32 s4, s2, -14
	s_add_i32 s7, s7, s8
	s_mul_hi_u32 s5, s3, s4
	s_mul_i32 s6, s3, s4
	s_mul_i32 s9, s2, s7
	s_mul_hi_u32 s4, s2, s4
	s_mul_hi_u32 s8, s2, s7
	s_add_u32 s4, s4, s9
	s_addc_u32 s8, 0, s8
	s_add_u32 s4, s4, s6
	s_mul_hi_u32 s9, s3, s7
	s_addc_u32 s4, s8, s5
	s_addc_u32 s5, s9, 0
	s_mul_i32 s6, s3, s7
	s_add_u32 s4, s4, s6
	v_mov_b32_e32 v2, s4
	s_addc_u32 s5, 0, s5
	v_add_co_u32_e32 v2, vcc, s2, v2
	s_cmp_lg_u64 vcc, 0
	s_addc_u32 s2, s3, s5
	v_readfirstlane_b32 s5, v2
	s_mul_i32 s4, s0, s2
	s_mul_hi_u32 s6, s0, s5
	s_mul_hi_u32 s3, s0, s2
	s_add_u32 s4, s6, s4
	s_addc_u32 s3, 0, s3
	s_mul_hi_u32 s7, s1, s5
	s_mul_i32 s5, s1, s5
	s_add_u32 s4, s4, s5
	s_mul_hi_u32 s6, s1, s2
	s_addc_u32 s3, s3, s7
	s_addc_u32 s4, s6, 0
	s_mul_i32 s2, s1, s2
	s_add_u32 s2, s3, s2
	s_addc_u32 s3, 0, s4
	s_add_u32 s4, s2, 1
	s_addc_u32 s5, s3, 0
	s_add_u32 s6, s2, 2
	s_mul_i32 s8, s3, 14
	s_mul_hi_u32 s9, s2, 14
	s_addc_u32 s7, s3, 0
	s_add_i32 s9, s9, s8
	s_mul_i32 s8, s2, 14
	v_mov_b32_e32 v2, s8
	v_sub_co_u32_e32 v2, vcc, s0, v2
	s_cmp_lg_u64 vcc, 0
	s_subb_u32 s8, s1, s9
	v_subrev_co_u32_e32 v3, vcc, 14, v2
	s_cmp_lg_u64 vcc, 0
	s_subb_u32 s9, s8, 0
	v_readfirstlane_b32 s10, v3
	s_cmp_gt_u32 s10, 13
	s_cselect_b32 s10, -1, 0
	s_cmp_eq_u32 s9, 0
	s_cselect_b32 s9, s10, -1
	s_cmp_lg_u32 s9, 0
	s_cselect_b32 s4, s6, s4
	v_readfirstlane_b32 s6, v2
	s_cselect_b32 s5, s7, s5
	s_cmp_gt_u32 s6, 13
	s_cselect_b32 s6, -1, 0
	s_cmp_eq_u32 s8, 0
	s_cselect_b32 s6, s6, -1
	s_cmp_lg_u32 s6, 0
	v_mov_b32_e32 v1, 0
	s_cselect_b32 s3, s5, s3
	s_cselect_b32 s2, s4, s2
	v_cmp_eq_u64_e32 vcc, s[2:3], v[0:1]
	s_and_saveexec_b64 s[2:3], vcc
	s_cbranch_execz .LBB3226_129
; %bb.80:
	s_movk_i32 s2, 0xffcc
	v_mad_i32_i24 v2, v0, s2, v33
	v_mul_hi_u32_u24_e32 v1, 14, v0
	v_mov_b32_e32 v3, s1
	v_sub_co_u32_e32 v0, vcc, s0, v32
	v_subb_co_u32_e32 v1, vcc, v3, v1, vcc
	v_cmp_lt_i64_e32 vcc, 6, v[0:1]
	s_and_saveexec_b64 s[0:1], vcc
	s_xor_b64 s[0:1], exec, s[0:1]
	s_cbranch_execz .LBB3226_106
; %bb.81:
	v_cmp_lt_i64_e32 vcc, 9, v[0:1]
	s_and_saveexec_b64 s[2:3], vcc
	s_xor_b64 s[2:3], exec, s[2:3]
	s_cbranch_execz .LBB3226_95
; %bb.82:
	;; [unrolled: 5-line block ×4, first 2 shown]
	ds_read_b32 v0, v2 offset:6656
	v_mov_b32_e32 v1, 0
                                        ; implicit-def: $vgpr2
	s_waitcnt lgkmcnt(0)
	global_store_dword v1, v0, s[14:15]
.LBB3226_85:
	s_andn2_saveexec_b64 s[6:7], s[6:7]
	s_cbranch_execz .LBB3226_87
; %bb.86:
	ds_read_b32 v0, v2 offset:6144
	v_mov_b32_e32 v1, 0
	s_waitcnt lgkmcnt(0)
	global_store_dword v1, v0, s[14:15]
.LBB3226_87:
	s_or_b64 exec, exec, s[6:7]
                                        ; implicit-def: $vgpr2
                                        ; implicit-def: $vgpr0_vgpr1
.LBB3226_88:
	s_andn2_saveexec_b64 s[4:5], s[4:5]
	s_cbranch_execz .LBB3226_94
; %bb.89:
	v_cmp_lt_i64_e32 vcc, 10, v[0:1]
	s_and_saveexec_b64 s[6:7], vcc
	s_xor_b64 s[6:7], exec, s[6:7]
	s_cbranch_execz .LBB3226_91
; %bb.90:
	ds_read_b32 v0, v2 offset:5632
	v_mov_b32_e32 v1, 0
                                        ; implicit-def: $vgpr2
	s_waitcnt lgkmcnt(0)
	global_store_dword v1, v0, s[14:15]
.LBB3226_91:
	s_andn2_saveexec_b64 s[6:7], s[6:7]
	s_cbranch_execz .LBB3226_93
; %bb.92:
	ds_read_b32 v0, v2 offset:5120
	v_mov_b32_e32 v1, 0
	s_waitcnt lgkmcnt(0)
	global_store_dword v1, v0, s[14:15]
.LBB3226_93:
	s_or_b64 exec, exec, s[6:7]
.LBB3226_94:
	s_or_b64 exec, exec, s[4:5]
                                        ; implicit-def: $vgpr2
                                        ; implicit-def: $vgpr0_vgpr1
.LBB3226_95:
	s_andn2_saveexec_b64 s[2:3], s[2:3]
	s_cbranch_execz .LBB3226_105
; %bb.96:
	v_cmp_lt_i64_e32 vcc, 7, v[0:1]
	s_and_saveexec_b64 s[4:5], vcc
	s_xor_b64 s[4:5], exec, s[4:5]
	s_cbranch_execz .LBB3226_102
; %bb.97:
	v_cmp_lt_i64_e32 vcc, 8, v[0:1]
	s_and_saveexec_b64 s[6:7], vcc
	s_xor_b64 s[6:7], exec, s[6:7]
	s_cbranch_execz .LBB3226_99
; %bb.98:
	ds_read_b32 v0, v2 offset:4608
	v_mov_b32_e32 v1, 0
                                        ; implicit-def: $vgpr2
	s_waitcnt lgkmcnt(0)
	global_store_dword v1, v0, s[14:15]
.LBB3226_99:
	s_andn2_saveexec_b64 s[6:7], s[6:7]
	s_cbranch_execz .LBB3226_101
; %bb.100:
	ds_read_b32 v0, v2 offset:4096
	v_mov_b32_e32 v1, 0
	s_waitcnt lgkmcnt(0)
	global_store_dword v1, v0, s[14:15]
.LBB3226_101:
	s_or_b64 exec, exec, s[6:7]
                                        ; implicit-def: $vgpr2
.LBB3226_102:
	s_andn2_saveexec_b64 s[4:5], s[4:5]
	s_cbranch_execz .LBB3226_104
; %bb.103:
	ds_read_b32 v0, v2 offset:3584
	v_mov_b32_e32 v1, 0
	s_waitcnt lgkmcnt(0)
	global_store_dword v1, v0, s[14:15]
.LBB3226_104:
	s_or_b64 exec, exec, s[4:5]
.LBB3226_105:
	s_or_b64 exec, exec, s[2:3]
                                        ; implicit-def: $vgpr0_vgpr1
                                        ; implicit-def: $vgpr2
.LBB3226_106:
	s_andn2_saveexec_b64 s[0:1], s[0:1]
	s_cbranch_execz .LBB3226_129
; %bb.107:
	v_cmp_lt_i64_e32 vcc, 3, v[0:1]
	s_and_saveexec_b64 s[0:1], vcc
	s_xor_b64 s[0:1], exec, s[0:1]
	s_cbranch_execz .LBB3226_117
; %bb.108:
	v_cmp_lt_i64_e32 vcc, 4, v[0:1]
	s_and_saveexec_b64 s[2:3], vcc
	s_xor_b64 s[2:3], exec, s[2:3]
	;; [unrolled: 5-line block ×3, first 2 shown]
	s_cbranch_execz .LBB3226_111
; %bb.110:
	ds_read_b32 v0, v2 offset:3072
	v_mov_b32_e32 v1, 0
                                        ; implicit-def: $vgpr2
	s_waitcnt lgkmcnt(0)
	global_store_dword v1, v0, s[14:15]
.LBB3226_111:
	s_andn2_saveexec_b64 s[4:5], s[4:5]
	s_cbranch_execz .LBB3226_113
; %bb.112:
	ds_read_b32 v0, v2 offset:2560
	v_mov_b32_e32 v1, 0
	s_waitcnt lgkmcnt(0)
	global_store_dword v1, v0, s[14:15]
.LBB3226_113:
	s_or_b64 exec, exec, s[4:5]
                                        ; implicit-def: $vgpr2
.LBB3226_114:
	s_andn2_saveexec_b64 s[2:3], s[2:3]
	s_cbranch_execz .LBB3226_116
; %bb.115:
	ds_read_b32 v0, v2 offset:2048
	v_mov_b32_e32 v1, 0
	s_waitcnt lgkmcnt(0)
	global_store_dword v1, v0, s[14:15]
.LBB3226_116:
	s_or_b64 exec, exec, s[2:3]
                                        ; implicit-def: $vgpr0_vgpr1
                                        ; implicit-def: $vgpr2
.LBB3226_117:
	s_andn2_saveexec_b64 s[0:1], s[0:1]
	s_cbranch_execz .LBB3226_129
; %bb.118:
	v_cmp_lt_i64_e32 vcc, 1, v[0:1]
	s_and_saveexec_b64 s[0:1], vcc
	s_xor_b64 s[0:1], exec, s[0:1]
	s_cbranch_execz .LBB3226_124
; %bb.119:
	v_cmp_lt_i64_e32 vcc, 2, v[0:1]
	s_and_saveexec_b64 s[2:3], vcc
	s_xor_b64 s[2:3], exec, s[2:3]
	s_cbranch_execz .LBB3226_121
; %bb.120:
	ds_read_b32 v0, v2 offset:1536
	v_mov_b32_e32 v1, 0
                                        ; implicit-def: $vgpr2
	s_waitcnt lgkmcnt(0)
	global_store_dword v1, v0, s[14:15]
.LBB3226_121:
	s_andn2_saveexec_b64 s[2:3], s[2:3]
	s_cbranch_execz .LBB3226_123
; %bb.122:
	ds_read_b32 v0, v2 offset:1024
	v_mov_b32_e32 v1, 0
	s_waitcnt lgkmcnt(0)
	global_store_dword v1, v0, s[14:15]
.LBB3226_123:
	s_or_b64 exec, exec, s[2:3]
                                        ; implicit-def: $vgpr2
                                        ; implicit-def: $vgpr0_vgpr1
.LBB3226_124:
	s_andn2_saveexec_b64 s[0:1], s[0:1]
	s_cbranch_execz .LBB3226_129
; %bb.125:
	v_cmp_ne_u64_e32 vcc, 1, v[0:1]
	s_and_saveexec_b64 s[0:1], vcc
	s_xor_b64 s[0:1], exec, s[0:1]
	s_cbranch_execz .LBB3226_127
; %bb.126:
	ds_read_b32 v0, v2
	v_mov_b32_e32 v1, 0
                                        ; implicit-def: $vgpr2
	s_waitcnt lgkmcnt(0)
	global_store_dword v1, v0, s[14:15]
.LBB3226_127:
	s_andn2_saveexec_b64 s[0:1], s[0:1]
	s_cbranch_execz .LBB3226_129
; %bb.128:
	ds_read_b32 v0, v2 offset:512
	v_mov_b32_e32 v1, 0
	s_waitcnt lgkmcnt(0)
	global_store_dword v1, v0, s[14:15]
.LBB3226_129:
	s_endpgm
	.section	.rodata,"a",@progbits
	.p2align	6, 0x0
	.amdhsa_kernel _ZN7rocprim17ROCPRIM_400000_NS6detail17trampoline_kernelINS0_14default_configENS1_20scan_config_selectorIfEEZZNS1_9scan_implILNS1_25lookback_scan_determinismE0ELb1ELb1ES3_N6thrust23THRUST_200600_302600_NS6detail15normal_iteratorINS9_10device_ptrIfEEEENS9_16discard_iteratorINS9_11use_defaultEEEf11max_functorIfEfEEDaPvRmT3_T4_T5_mT6_P12ihipStream_tbENKUlT_T0_E_clISt17integral_constantIbLb1EESX_EEDaSS_ST_EUlSS_E_NS1_11comp_targetILNS1_3genE4ELNS1_11target_archE910ELNS1_3gpuE8ELNS1_3repE0EEENS1_30default_config_static_selectorELNS0_4arch9wavefront6targetE1EEEvT1_
		.amdhsa_group_segment_fixed_size 7168
		.amdhsa_private_segment_fixed_size 0
		.amdhsa_kernarg_size 104
		.amdhsa_user_sgpr_count 6
		.amdhsa_user_sgpr_private_segment_buffer 1
		.amdhsa_user_sgpr_dispatch_ptr 0
		.amdhsa_user_sgpr_queue_ptr 0
		.amdhsa_user_sgpr_kernarg_segment_ptr 1
		.amdhsa_user_sgpr_dispatch_id 0
		.amdhsa_user_sgpr_flat_scratch_init 0
		.amdhsa_user_sgpr_kernarg_preload_length 0
		.amdhsa_user_sgpr_kernarg_preload_offset 0
		.amdhsa_user_sgpr_private_segment_size 0
		.amdhsa_uses_dynamic_stack 0
		.amdhsa_system_sgpr_private_segment_wavefront_offset 0
		.amdhsa_system_sgpr_workgroup_id_x 1
		.amdhsa_system_sgpr_workgroup_id_y 0
		.amdhsa_system_sgpr_workgroup_id_z 0
		.amdhsa_system_sgpr_workgroup_info 0
		.amdhsa_system_vgpr_workitem_id 0
		.amdhsa_next_free_vgpr 43
		.amdhsa_next_free_sgpr 36
		.amdhsa_accum_offset 44
		.amdhsa_reserve_vcc 1
		.amdhsa_reserve_flat_scratch 0
		.amdhsa_float_round_mode_32 0
		.amdhsa_float_round_mode_16_64 0
		.amdhsa_float_denorm_mode_32 3
		.amdhsa_float_denorm_mode_16_64 3
		.amdhsa_dx10_clamp 1
		.amdhsa_ieee_mode 1
		.amdhsa_fp16_overflow 0
		.amdhsa_tg_split 0
		.amdhsa_exception_fp_ieee_invalid_op 0
		.amdhsa_exception_fp_denorm_src 0
		.amdhsa_exception_fp_ieee_div_zero 0
		.amdhsa_exception_fp_ieee_overflow 0
		.amdhsa_exception_fp_ieee_underflow 0
		.amdhsa_exception_fp_ieee_inexact 0
		.amdhsa_exception_int_div_zero 0
	.end_amdhsa_kernel
	.section	.text._ZN7rocprim17ROCPRIM_400000_NS6detail17trampoline_kernelINS0_14default_configENS1_20scan_config_selectorIfEEZZNS1_9scan_implILNS1_25lookback_scan_determinismE0ELb1ELb1ES3_N6thrust23THRUST_200600_302600_NS6detail15normal_iteratorINS9_10device_ptrIfEEEENS9_16discard_iteratorINS9_11use_defaultEEEf11max_functorIfEfEEDaPvRmT3_T4_T5_mT6_P12ihipStream_tbENKUlT_T0_E_clISt17integral_constantIbLb1EESX_EEDaSS_ST_EUlSS_E_NS1_11comp_targetILNS1_3genE4ELNS1_11target_archE910ELNS1_3gpuE8ELNS1_3repE0EEENS1_30default_config_static_selectorELNS0_4arch9wavefront6targetE1EEEvT1_,"axG",@progbits,_ZN7rocprim17ROCPRIM_400000_NS6detail17trampoline_kernelINS0_14default_configENS1_20scan_config_selectorIfEEZZNS1_9scan_implILNS1_25lookback_scan_determinismE0ELb1ELb1ES3_N6thrust23THRUST_200600_302600_NS6detail15normal_iteratorINS9_10device_ptrIfEEEENS9_16discard_iteratorINS9_11use_defaultEEEf11max_functorIfEfEEDaPvRmT3_T4_T5_mT6_P12ihipStream_tbENKUlT_T0_E_clISt17integral_constantIbLb1EESX_EEDaSS_ST_EUlSS_E_NS1_11comp_targetILNS1_3genE4ELNS1_11target_archE910ELNS1_3gpuE8ELNS1_3repE0EEENS1_30default_config_static_selectorELNS0_4arch9wavefront6targetE1EEEvT1_,comdat
.Lfunc_end3226:
	.size	_ZN7rocprim17ROCPRIM_400000_NS6detail17trampoline_kernelINS0_14default_configENS1_20scan_config_selectorIfEEZZNS1_9scan_implILNS1_25lookback_scan_determinismE0ELb1ELb1ES3_N6thrust23THRUST_200600_302600_NS6detail15normal_iteratorINS9_10device_ptrIfEEEENS9_16discard_iteratorINS9_11use_defaultEEEf11max_functorIfEfEEDaPvRmT3_T4_T5_mT6_P12ihipStream_tbENKUlT_T0_E_clISt17integral_constantIbLb1EESX_EEDaSS_ST_EUlSS_E_NS1_11comp_targetILNS1_3genE4ELNS1_11target_archE910ELNS1_3gpuE8ELNS1_3repE0EEENS1_30default_config_static_selectorELNS0_4arch9wavefront6targetE1EEEvT1_, .Lfunc_end3226-_ZN7rocprim17ROCPRIM_400000_NS6detail17trampoline_kernelINS0_14default_configENS1_20scan_config_selectorIfEEZZNS1_9scan_implILNS1_25lookback_scan_determinismE0ELb1ELb1ES3_N6thrust23THRUST_200600_302600_NS6detail15normal_iteratorINS9_10device_ptrIfEEEENS9_16discard_iteratorINS9_11use_defaultEEEf11max_functorIfEfEEDaPvRmT3_T4_T5_mT6_P12ihipStream_tbENKUlT_T0_E_clISt17integral_constantIbLb1EESX_EEDaSS_ST_EUlSS_E_NS1_11comp_targetILNS1_3genE4ELNS1_11target_archE910ELNS1_3gpuE8ELNS1_3repE0EEENS1_30default_config_static_selectorELNS0_4arch9wavefront6targetE1EEEvT1_
                                        ; -- End function
	.section	.AMDGPU.csdata,"",@progbits
; Kernel info:
; codeLenInByte = 5556
; NumSgprs: 40
; NumVgprs: 43
; NumAgprs: 0
; TotalNumVgprs: 43
; ScratchSize: 0
; MemoryBound: 0
; FloatMode: 240
; IeeeMode: 1
; LDSByteSize: 7168 bytes/workgroup (compile time only)
; SGPRBlocks: 4
; VGPRBlocks: 5
; NumSGPRsForWavesPerEU: 40
; NumVGPRsForWavesPerEU: 43
; AccumOffset: 44
; Occupancy: 5
; WaveLimiterHint : 1
; COMPUTE_PGM_RSRC2:SCRATCH_EN: 0
; COMPUTE_PGM_RSRC2:USER_SGPR: 6
; COMPUTE_PGM_RSRC2:TRAP_HANDLER: 0
; COMPUTE_PGM_RSRC2:TGID_X_EN: 1
; COMPUTE_PGM_RSRC2:TGID_Y_EN: 0
; COMPUTE_PGM_RSRC2:TGID_Z_EN: 0
; COMPUTE_PGM_RSRC2:TIDIG_COMP_CNT: 0
; COMPUTE_PGM_RSRC3_GFX90A:ACCUM_OFFSET: 10
; COMPUTE_PGM_RSRC3_GFX90A:TG_SPLIT: 0
	.section	.text._ZN7rocprim17ROCPRIM_400000_NS6detail17trampoline_kernelINS0_14default_configENS1_20scan_config_selectorIfEEZZNS1_9scan_implILNS1_25lookback_scan_determinismE0ELb1ELb1ES3_N6thrust23THRUST_200600_302600_NS6detail15normal_iteratorINS9_10device_ptrIfEEEENS9_16discard_iteratorINS9_11use_defaultEEEf11max_functorIfEfEEDaPvRmT3_T4_T5_mT6_P12ihipStream_tbENKUlT_T0_E_clISt17integral_constantIbLb1EESX_EEDaSS_ST_EUlSS_E_NS1_11comp_targetILNS1_3genE3ELNS1_11target_archE908ELNS1_3gpuE7ELNS1_3repE0EEENS1_30default_config_static_selectorELNS0_4arch9wavefront6targetE1EEEvT1_,"axG",@progbits,_ZN7rocprim17ROCPRIM_400000_NS6detail17trampoline_kernelINS0_14default_configENS1_20scan_config_selectorIfEEZZNS1_9scan_implILNS1_25lookback_scan_determinismE0ELb1ELb1ES3_N6thrust23THRUST_200600_302600_NS6detail15normal_iteratorINS9_10device_ptrIfEEEENS9_16discard_iteratorINS9_11use_defaultEEEf11max_functorIfEfEEDaPvRmT3_T4_T5_mT6_P12ihipStream_tbENKUlT_T0_E_clISt17integral_constantIbLb1EESX_EEDaSS_ST_EUlSS_E_NS1_11comp_targetILNS1_3genE3ELNS1_11target_archE908ELNS1_3gpuE7ELNS1_3repE0EEENS1_30default_config_static_selectorELNS0_4arch9wavefront6targetE1EEEvT1_,comdat
	.protected	_ZN7rocprim17ROCPRIM_400000_NS6detail17trampoline_kernelINS0_14default_configENS1_20scan_config_selectorIfEEZZNS1_9scan_implILNS1_25lookback_scan_determinismE0ELb1ELb1ES3_N6thrust23THRUST_200600_302600_NS6detail15normal_iteratorINS9_10device_ptrIfEEEENS9_16discard_iteratorINS9_11use_defaultEEEf11max_functorIfEfEEDaPvRmT3_T4_T5_mT6_P12ihipStream_tbENKUlT_T0_E_clISt17integral_constantIbLb1EESX_EEDaSS_ST_EUlSS_E_NS1_11comp_targetILNS1_3genE3ELNS1_11target_archE908ELNS1_3gpuE7ELNS1_3repE0EEENS1_30default_config_static_selectorELNS0_4arch9wavefront6targetE1EEEvT1_ ; -- Begin function _ZN7rocprim17ROCPRIM_400000_NS6detail17trampoline_kernelINS0_14default_configENS1_20scan_config_selectorIfEEZZNS1_9scan_implILNS1_25lookback_scan_determinismE0ELb1ELb1ES3_N6thrust23THRUST_200600_302600_NS6detail15normal_iteratorINS9_10device_ptrIfEEEENS9_16discard_iteratorINS9_11use_defaultEEEf11max_functorIfEfEEDaPvRmT3_T4_T5_mT6_P12ihipStream_tbENKUlT_T0_E_clISt17integral_constantIbLb1EESX_EEDaSS_ST_EUlSS_E_NS1_11comp_targetILNS1_3genE3ELNS1_11target_archE908ELNS1_3gpuE7ELNS1_3repE0EEENS1_30default_config_static_selectorELNS0_4arch9wavefront6targetE1EEEvT1_
	.globl	_ZN7rocprim17ROCPRIM_400000_NS6detail17trampoline_kernelINS0_14default_configENS1_20scan_config_selectorIfEEZZNS1_9scan_implILNS1_25lookback_scan_determinismE0ELb1ELb1ES3_N6thrust23THRUST_200600_302600_NS6detail15normal_iteratorINS9_10device_ptrIfEEEENS9_16discard_iteratorINS9_11use_defaultEEEf11max_functorIfEfEEDaPvRmT3_T4_T5_mT6_P12ihipStream_tbENKUlT_T0_E_clISt17integral_constantIbLb1EESX_EEDaSS_ST_EUlSS_E_NS1_11comp_targetILNS1_3genE3ELNS1_11target_archE908ELNS1_3gpuE7ELNS1_3repE0EEENS1_30default_config_static_selectorELNS0_4arch9wavefront6targetE1EEEvT1_
	.p2align	8
	.type	_ZN7rocprim17ROCPRIM_400000_NS6detail17trampoline_kernelINS0_14default_configENS1_20scan_config_selectorIfEEZZNS1_9scan_implILNS1_25lookback_scan_determinismE0ELb1ELb1ES3_N6thrust23THRUST_200600_302600_NS6detail15normal_iteratorINS9_10device_ptrIfEEEENS9_16discard_iteratorINS9_11use_defaultEEEf11max_functorIfEfEEDaPvRmT3_T4_T5_mT6_P12ihipStream_tbENKUlT_T0_E_clISt17integral_constantIbLb1EESX_EEDaSS_ST_EUlSS_E_NS1_11comp_targetILNS1_3genE3ELNS1_11target_archE908ELNS1_3gpuE7ELNS1_3repE0EEENS1_30default_config_static_selectorELNS0_4arch9wavefront6targetE1EEEvT1_,@function
_ZN7rocprim17ROCPRIM_400000_NS6detail17trampoline_kernelINS0_14default_configENS1_20scan_config_selectorIfEEZZNS1_9scan_implILNS1_25lookback_scan_determinismE0ELb1ELb1ES3_N6thrust23THRUST_200600_302600_NS6detail15normal_iteratorINS9_10device_ptrIfEEEENS9_16discard_iteratorINS9_11use_defaultEEEf11max_functorIfEfEEDaPvRmT3_T4_T5_mT6_P12ihipStream_tbENKUlT_T0_E_clISt17integral_constantIbLb1EESX_EEDaSS_ST_EUlSS_E_NS1_11comp_targetILNS1_3genE3ELNS1_11target_archE908ELNS1_3gpuE7ELNS1_3repE0EEENS1_30default_config_static_selectorELNS0_4arch9wavefront6targetE1EEEvT1_: ; @_ZN7rocprim17ROCPRIM_400000_NS6detail17trampoline_kernelINS0_14default_configENS1_20scan_config_selectorIfEEZZNS1_9scan_implILNS1_25lookback_scan_determinismE0ELb1ELb1ES3_N6thrust23THRUST_200600_302600_NS6detail15normal_iteratorINS9_10device_ptrIfEEEENS9_16discard_iteratorINS9_11use_defaultEEEf11max_functorIfEfEEDaPvRmT3_T4_T5_mT6_P12ihipStream_tbENKUlT_T0_E_clISt17integral_constantIbLb1EESX_EEDaSS_ST_EUlSS_E_NS1_11comp_targetILNS1_3genE3ELNS1_11target_archE908ELNS1_3gpuE7ELNS1_3repE0EEENS1_30default_config_static_selectorELNS0_4arch9wavefront6targetE1EEEvT1_
; %bb.0:
	.section	.rodata,"a",@progbits
	.p2align	6, 0x0
	.amdhsa_kernel _ZN7rocprim17ROCPRIM_400000_NS6detail17trampoline_kernelINS0_14default_configENS1_20scan_config_selectorIfEEZZNS1_9scan_implILNS1_25lookback_scan_determinismE0ELb1ELb1ES3_N6thrust23THRUST_200600_302600_NS6detail15normal_iteratorINS9_10device_ptrIfEEEENS9_16discard_iteratorINS9_11use_defaultEEEf11max_functorIfEfEEDaPvRmT3_T4_T5_mT6_P12ihipStream_tbENKUlT_T0_E_clISt17integral_constantIbLb1EESX_EEDaSS_ST_EUlSS_E_NS1_11comp_targetILNS1_3genE3ELNS1_11target_archE908ELNS1_3gpuE7ELNS1_3repE0EEENS1_30default_config_static_selectorELNS0_4arch9wavefront6targetE1EEEvT1_
		.amdhsa_group_segment_fixed_size 0
		.amdhsa_private_segment_fixed_size 0
		.amdhsa_kernarg_size 104
		.amdhsa_user_sgpr_count 6
		.amdhsa_user_sgpr_private_segment_buffer 1
		.amdhsa_user_sgpr_dispatch_ptr 0
		.amdhsa_user_sgpr_queue_ptr 0
		.amdhsa_user_sgpr_kernarg_segment_ptr 1
		.amdhsa_user_sgpr_dispatch_id 0
		.amdhsa_user_sgpr_flat_scratch_init 0
		.amdhsa_user_sgpr_kernarg_preload_length 0
		.amdhsa_user_sgpr_kernarg_preload_offset 0
		.amdhsa_user_sgpr_private_segment_size 0
		.amdhsa_uses_dynamic_stack 0
		.amdhsa_system_sgpr_private_segment_wavefront_offset 0
		.amdhsa_system_sgpr_workgroup_id_x 1
		.amdhsa_system_sgpr_workgroup_id_y 0
		.amdhsa_system_sgpr_workgroup_id_z 0
		.amdhsa_system_sgpr_workgroup_info 0
		.amdhsa_system_vgpr_workitem_id 0
		.amdhsa_next_free_vgpr 1
		.amdhsa_next_free_sgpr 0
		.amdhsa_accum_offset 4
		.amdhsa_reserve_vcc 0
		.amdhsa_reserve_flat_scratch 0
		.amdhsa_float_round_mode_32 0
		.amdhsa_float_round_mode_16_64 0
		.amdhsa_float_denorm_mode_32 3
		.amdhsa_float_denorm_mode_16_64 3
		.amdhsa_dx10_clamp 1
		.amdhsa_ieee_mode 1
		.amdhsa_fp16_overflow 0
		.amdhsa_tg_split 0
		.amdhsa_exception_fp_ieee_invalid_op 0
		.amdhsa_exception_fp_denorm_src 0
		.amdhsa_exception_fp_ieee_div_zero 0
		.amdhsa_exception_fp_ieee_overflow 0
		.amdhsa_exception_fp_ieee_underflow 0
		.amdhsa_exception_fp_ieee_inexact 0
		.amdhsa_exception_int_div_zero 0
	.end_amdhsa_kernel
	.section	.text._ZN7rocprim17ROCPRIM_400000_NS6detail17trampoline_kernelINS0_14default_configENS1_20scan_config_selectorIfEEZZNS1_9scan_implILNS1_25lookback_scan_determinismE0ELb1ELb1ES3_N6thrust23THRUST_200600_302600_NS6detail15normal_iteratorINS9_10device_ptrIfEEEENS9_16discard_iteratorINS9_11use_defaultEEEf11max_functorIfEfEEDaPvRmT3_T4_T5_mT6_P12ihipStream_tbENKUlT_T0_E_clISt17integral_constantIbLb1EESX_EEDaSS_ST_EUlSS_E_NS1_11comp_targetILNS1_3genE3ELNS1_11target_archE908ELNS1_3gpuE7ELNS1_3repE0EEENS1_30default_config_static_selectorELNS0_4arch9wavefront6targetE1EEEvT1_,"axG",@progbits,_ZN7rocprim17ROCPRIM_400000_NS6detail17trampoline_kernelINS0_14default_configENS1_20scan_config_selectorIfEEZZNS1_9scan_implILNS1_25lookback_scan_determinismE0ELb1ELb1ES3_N6thrust23THRUST_200600_302600_NS6detail15normal_iteratorINS9_10device_ptrIfEEEENS9_16discard_iteratorINS9_11use_defaultEEEf11max_functorIfEfEEDaPvRmT3_T4_T5_mT6_P12ihipStream_tbENKUlT_T0_E_clISt17integral_constantIbLb1EESX_EEDaSS_ST_EUlSS_E_NS1_11comp_targetILNS1_3genE3ELNS1_11target_archE908ELNS1_3gpuE7ELNS1_3repE0EEENS1_30default_config_static_selectorELNS0_4arch9wavefront6targetE1EEEvT1_,comdat
.Lfunc_end3227:
	.size	_ZN7rocprim17ROCPRIM_400000_NS6detail17trampoline_kernelINS0_14default_configENS1_20scan_config_selectorIfEEZZNS1_9scan_implILNS1_25lookback_scan_determinismE0ELb1ELb1ES3_N6thrust23THRUST_200600_302600_NS6detail15normal_iteratorINS9_10device_ptrIfEEEENS9_16discard_iteratorINS9_11use_defaultEEEf11max_functorIfEfEEDaPvRmT3_T4_T5_mT6_P12ihipStream_tbENKUlT_T0_E_clISt17integral_constantIbLb1EESX_EEDaSS_ST_EUlSS_E_NS1_11comp_targetILNS1_3genE3ELNS1_11target_archE908ELNS1_3gpuE7ELNS1_3repE0EEENS1_30default_config_static_selectorELNS0_4arch9wavefront6targetE1EEEvT1_, .Lfunc_end3227-_ZN7rocprim17ROCPRIM_400000_NS6detail17trampoline_kernelINS0_14default_configENS1_20scan_config_selectorIfEEZZNS1_9scan_implILNS1_25lookback_scan_determinismE0ELb1ELb1ES3_N6thrust23THRUST_200600_302600_NS6detail15normal_iteratorINS9_10device_ptrIfEEEENS9_16discard_iteratorINS9_11use_defaultEEEf11max_functorIfEfEEDaPvRmT3_T4_T5_mT6_P12ihipStream_tbENKUlT_T0_E_clISt17integral_constantIbLb1EESX_EEDaSS_ST_EUlSS_E_NS1_11comp_targetILNS1_3genE3ELNS1_11target_archE908ELNS1_3gpuE7ELNS1_3repE0EEENS1_30default_config_static_selectorELNS0_4arch9wavefront6targetE1EEEvT1_
                                        ; -- End function
	.section	.AMDGPU.csdata,"",@progbits
; Kernel info:
; codeLenInByte = 0
; NumSgprs: 4
; NumVgprs: 0
; NumAgprs: 0
; TotalNumVgprs: 0
; ScratchSize: 0
; MemoryBound: 0
; FloatMode: 240
; IeeeMode: 1
; LDSByteSize: 0 bytes/workgroup (compile time only)
; SGPRBlocks: 0
; VGPRBlocks: 0
; NumSGPRsForWavesPerEU: 4
; NumVGPRsForWavesPerEU: 1
; AccumOffset: 4
; Occupancy: 8
; WaveLimiterHint : 0
; COMPUTE_PGM_RSRC2:SCRATCH_EN: 0
; COMPUTE_PGM_RSRC2:USER_SGPR: 6
; COMPUTE_PGM_RSRC2:TRAP_HANDLER: 0
; COMPUTE_PGM_RSRC2:TGID_X_EN: 1
; COMPUTE_PGM_RSRC2:TGID_Y_EN: 0
; COMPUTE_PGM_RSRC2:TGID_Z_EN: 0
; COMPUTE_PGM_RSRC2:TIDIG_COMP_CNT: 0
; COMPUTE_PGM_RSRC3_GFX90A:ACCUM_OFFSET: 0
; COMPUTE_PGM_RSRC3_GFX90A:TG_SPLIT: 0
	.section	.text._ZN7rocprim17ROCPRIM_400000_NS6detail17trampoline_kernelINS0_14default_configENS1_20scan_config_selectorIfEEZZNS1_9scan_implILNS1_25lookback_scan_determinismE0ELb1ELb1ES3_N6thrust23THRUST_200600_302600_NS6detail15normal_iteratorINS9_10device_ptrIfEEEENS9_16discard_iteratorINS9_11use_defaultEEEf11max_functorIfEfEEDaPvRmT3_T4_T5_mT6_P12ihipStream_tbENKUlT_T0_E_clISt17integral_constantIbLb1EESX_EEDaSS_ST_EUlSS_E_NS1_11comp_targetILNS1_3genE2ELNS1_11target_archE906ELNS1_3gpuE6ELNS1_3repE0EEENS1_30default_config_static_selectorELNS0_4arch9wavefront6targetE1EEEvT1_,"axG",@progbits,_ZN7rocprim17ROCPRIM_400000_NS6detail17trampoline_kernelINS0_14default_configENS1_20scan_config_selectorIfEEZZNS1_9scan_implILNS1_25lookback_scan_determinismE0ELb1ELb1ES3_N6thrust23THRUST_200600_302600_NS6detail15normal_iteratorINS9_10device_ptrIfEEEENS9_16discard_iteratorINS9_11use_defaultEEEf11max_functorIfEfEEDaPvRmT3_T4_T5_mT6_P12ihipStream_tbENKUlT_T0_E_clISt17integral_constantIbLb1EESX_EEDaSS_ST_EUlSS_E_NS1_11comp_targetILNS1_3genE2ELNS1_11target_archE906ELNS1_3gpuE6ELNS1_3repE0EEENS1_30default_config_static_selectorELNS0_4arch9wavefront6targetE1EEEvT1_,comdat
	.protected	_ZN7rocprim17ROCPRIM_400000_NS6detail17trampoline_kernelINS0_14default_configENS1_20scan_config_selectorIfEEZZNS1_9scan_implILNS1_25lookback_scan_determinismE0ELb1ELb1ES3_N6thrust23THRUST_200600_302600_NS6detail15normal_iteratorINS9_10device_ptrIfEEEENS9_16discard_iteratorINS9_11use_defaultEEEf11max_functorIfEfEEDaPvRmT3_T4_T5_mT6_P12ihipStream_tbENKUlT_T0_E_clISt17integral_constantIbLb1EESX_EEDaSS_ST_EUlSS_E_NS1_11comp_targetILNS1_3genE2ELNS1_11target_archE906ELNS1_3gpuE6ELNS1_3repE0EEENS1_30default_config_static_selectorELNS0_4arch9wavefront6targetE1EEEvT1_ ; -- Begin function _ZN7rocprim17ROCPRIM_400000_NS6detail17trampoline_kernelINS0_14default_configENS1_20scan_config_selectorIfEEZZNS1_9scan_implILNS1_25lookback_scan_determinismE0ELb1ELb1ES3_N6thrust23THRUST_200600_302600_NS6detail15normal_iteratorINS9_10device_ptrIfEEEENS9_16discard_iteratorINS9_11use_defaultEEEf11max_functorIfEfEEDaPvRmT3_T4_T5_mT6_P12ihipStream_tbENKUlT_T0_E_clISt17integral_constantIbLb1EESX_EEDaSS_ST_EUlSS_E_NS1_11comp_targetILNS1_3genE2ELNS1_11target_archE906ELNS1_3gpuE6ELNS1_3repE0EEENS1_30default_config_static_selectorELNS0_4arch9wavefront6targetE1EEEvT1_
	.globl	_ZN7rocprim17ROCPRIM_400000_NS6detail17trampoline_kernelINS0_14default_configENS1_20scan_config_selectorIfEEZZNS1_9scan_implILNS1_25lookback_scan_determinismE0ELb1ELb1ES3_N6thrust23THRUST_200600_302600_NS6detail15normal_iteratorINS9_10device_ptrIfEEEENS9_16discard_iteratorINS9_11use_defaultEEEf11max_functorIfEfEEDaPvRmT3_T4_T5_mT6_P12ihipStream_tbENKUlT_T0_E_clISt17integral_constantIbLb1EESX_EEDaSS_ST_EUlSS_E_NS1_11comp_targetILNS1_3genE2ELNS1_11target_archE906ELNS1_3gpuE6ELNS1_3repE0EEENS1_30default_config_static_selectorELNS0_4arch9wavefront6targetE1EEEvT1_
	.p2align	8
	.type	_ZN7rocprim17ROCPRIM_400000_NS6detail17trampoline_kernelINS0_14default_configENS1_20scan_config_selectorIfEEZZNS1_9scan_implILNS1_25lookback_scan_determinismE0ELb1ELb1ES3_N6thrust23THRUST_200600_302600_NS6detail15normal_iteratorINS9_10device_ptrIfEEEENS9_16discard_iteratorINS9_11use_defaultEEEf11max_functorIfEfEEDaPvRmT3_T4_T5_mT6_P12ihipStream_tbENKUlT_T0_E_clISt17integral_constantIbLb1EESX_EEDaSS_ST_EUlSS_E_NS1_11comp_targetILNS1_3genE2ELNS1_11target_archE906ELNS1_3gpuE6ELNS1_3repE0EEENS1_30default_config_static_selectorELNS0_4arch9wavefront6targetE1EEEvT1_,@function
_ZN7rocprim17ROCPRIM_400000_NS6detail17trampoline_kernelINS0_14default_configENS1_20scan_config_selectorIfEEZZNS1_9scan_implILNS1_25lookback_scan_determinismE0ELb1ELb1ES3_N6thrust23THRUST_200600_302600_NS6detail15normal_iteratorINS9_10device_ptrIfEEEENS9_16discard_iteratorINS9_11use_defaultEEEf11max_functorIfEfEEDaPvRmT3_T4_T5_mT6_P12ihipStream_tbENKUlT_T0_E_clISt17integral_constantIbLb1EESX_EEDaSS_ST_EUlSS_E_NS1_11comp_targetILNS1_3genE2ELNS1_11target_archE906ELNS1_3gpuE6ELNS1_3repE0EEENS1_30default_config_static_selectorELNS0_4arch9wavefront6targetE1EEEvT1_: ; @_ZN7rocprim17ROCPRIM_400000_NS6detail17trampoline_kernelINS0_14default_configENS1_20scan_config_selectorIfEEZZNS1_9scan_implILNS1_25lookback_scan_determinismE0ELb1ELb1ES3_N6thrust23THRUST_200600_302600_NS6detail15normal_iteratorINS9_10device_ptrIfEEEENS9_16discard_iteratorINS9_11use_defaultEEEf11max_functorIfEfEEDaPvRmT3_T4_T5_mT6_P12ihipStream_tbENKUlT_T0_E_clISt17integral_constantIbLb1EESX_EEDaSS_ST_EUlSS_E_NS1_11comp_targetILNS1_3genE2ELNS1_11target_archE906ELNS1_3gpuE6ELNS1_3repE0EEENS1_30default_config_static_selectorELNS0_4arch9wavefront6targetE1EEEvT1_
; %bb.0:
	.section	.rodata,"a",@progbits
	.p2align	6, 0x0
	.amdhsa_kernel _ZN7rocprim17ROCPRIM_400000_NS6detail17trampoline_kernelINS0_14default_configENS1_20scan_config_selectorIfEEZZNS1_9scan_implILNS1_25lookback_scan_determinismE0ELb1ELb1ES3_N6thrust23THRUST_200600_302600_NS6detail15normal_iteratorINS9_10device_ptrIfEEEENS9_16discard_iteratorINS9_11use_defaultEEEf11max_functorIfEfEEDaPvRmT3_T4_T5_mT6_P12ihipStream_tbENKUlT_T0_E_clISt17integral_constantIbLb1EESX_EEDaSS_ST_EUlSS_E_NS1_11comp_targetILNS1_3genE2ELNS1_11target_archE906ELNS1_3gpuE6ELNS1_3repE0EEENS1_30default_config_static_selectorELNS0_4arch9wavefront6targetE1EEEvT1_
		.amdhsa_group_segment_fixed_size 0
		.amdhsa_private_segment_fixed_size 0
		.amdhsa_kernarg_size 104
		.amdhsa_user_sgpr_count 6
		.amdhsa_user_sgpr_private_segment_buffer 1
		.amdhsa_user_sgpr_dispatch_ptr 0
		.amdhsa_user_sgpr_queue_ptr 0
		.amdhsa_user_sgpr_kernarg_segment_ptr 1
		.amdhsa_user_sgpr_dispatch_id 0
		.amdhsa_user_sgpr_flat_scratch_init 0
		.amdhsa_user_sgpr_kernarg_preload_length 0
		.amdhsa_user_sgpr_kernarg_preload_offset 0
		.amdhsa_user_sgpr_private_segment_size 0
		.amdhsa_uses_dynamic_stack 0
		.amdhsa_system_sgpr_private_segment_wavefront_offset 0
		.amdhsa_system_sgpr_workgroup_id_x 1
		.amdhsa_system_sgpr_workgroup_id_y 0
		.amdhsa_system_sgpr_workgroup_id_z 0
		.amdhsa_system_sgpr_workgroup_info 0
		.amdhsa_system_vgpr_workitem_id 0
		.amdhsa_next_free_vgpr 1
		.amdhsa_next_free_sgpr 0
		.amdhsa_accum_offset 4
		.amdhsa_reserve_vcc 0
		.amdhsa_reserve_flat_scratch 0
		.amdhsa_float_round_mode_32 0
		.amdhsa_float_round_mode_16_64 0
		.amdhsa_float_denorm_mode_32 3
		.amdhsa_float_denorm_mode_16_64 3
		.amdhsa_dx10_clamp 1
		.amdhsa_ieee_mode 1
		.amdhsa_fp16_overflow 0
		.amdhsa_tg_split 0
		.amdhsa_exception_fp_ieee_invalid_op 0
		.amdhsa_exception_fp_denorm_src 0
		.amdhsa_exception_fp_ieee_div_zero 0
		.amdhsa_exception_fp_ieee_overflow 0
		.amdhsa_exception_fp_ieee_underflow 0
		.amdhsa_exception_fp_ieee_inexact 0
		.amdhsa_exception_int_div_zero 0
	.end_amdhsa_kernel
	.section	.text._ZN7rocprim17ROCPRIM_400000_NS6detail17trampoline_kernelINS0_14default_configENS1_20scan_config_selectorIfEEZZNS1_9scan_implILNS1_25lookback_scan_determinismE0ELb1ELb1ES3_N6thrust23THRUST_200600_302600_NS6detail15normal_iteratorINS9_10device_ptrIfEEEENS9_16discard_iteratorINS9_11use_defaultEEEf11max_functorIfEfEEDaPvRmT3_T4_T5_mT6_P12ihipStream_tbENKUlT_T0_E_clISt17integral_constantIbLb1EESX_EEDaSS_ST_EUlSS_E_NS1_11comp_targetILNS1_3genE2ELNS1_11target_archE906ELNS1_3gpuE6ELNS1_3repE0EEENS1_30default_config_static_selectorELNS0_4arch9wavefront6targetE1EEEvT1_,"axG",@progbits,_ZN7rocprim17ROCPRIM_400000_NS6detail17trampoline_kernelINS0_14default_configENS1_20scan_config_selectorIfEEZZNS1_9scan_implILNS1_25lookback_scan_determinismE0ELb1ELb1ES3_N6thrust23THRUST_200600_302600_NS6detail15normal_iteratorINS9_10device_ptrIfEEEENS9_16discard_iteratorINS9_11use_defaultEEEf11max_functorIfEfEEDaPvRmT3_T4_T5_mT6_P12ihipStream_tbENKUlT_T0_E_clISt17integral_constantIbLb1EESX_EEDaSS_ST_EUlSS_E_NS1_11comp_targetILNS1_3genE2ELNS1_11target_archE906ELNS1_3gpuE6ELNS1_3repE0EEENS1_30default_config_static_selectorELNS0_4arch9wavefront6targetE1EEEvT1_,comdat
.Lfunc_end3228:
	.size	_ZN7rocprim17ROCPRIM_400000_NS6detail17trampoline_kernelINS0_14default_configENS1_20scan_config_selectorIfEEZZNS1_9scan_implILNS1_25lookback_scan_determinismE0ELb1ELb1ES3_N6thrust23THRUST_200600_302600_NS6detail15normal_iteratorINS9_10device_ptrIfEEEENS9_16discard_iteratorINS9_11use_defaultEEEf11max_functorIfEfEEDaPvRmT3_T4_T5_mT6_P12ihipStream_tbENKUlT_T0_E_clISt17integral_constantIbLb1EESX_EEDaSS_ST_EUlSS_E_NS1_11comp_targetILNS1_3genE2ELNS1_11target_archE906ELNS1_3gpuE6ELNS1_3repE0EEENS1_30default_config_static_selectorELNS0_4arch9wavefront6targetE1EEEvT1_, .Lfunc_end3228-_ZN7rocprim17ROCPRIM_400000_NS6detail17trampoline_kernelINS0_14default_configENS1_20scan_config_selectorIfEEZZNS1_9scan_implILNS1_25lookback_scan_determinismE0ELb1ELb1ES3_N6thrust23THRUST_200600_302600_NS6detail15normal_iteratorINS9_10device_ptrIfEEEENS9_16discard_iteratorINS9_11use_defaultEEEf11max_functorIfEfEEDaPvRmT3_T4_T5_mT6_P12ihipStream_tbENKUlT_T0_E_clISt17integral_constantIbLb1EESX_EEDaSS_ST_EUlSS_E_NS1_11comp_targetILNS1_3genE2ELNS1_11target_archE906ELNS1_3gpuE6ELNS1_3repE0EEENS1_30default_config_static_selectorELNS0_4arch9wavefront6targetE1EEEvT1_
                                        ; -- End function
	.section	.AMDGPU.csdata,"",@progbits
; Kernel info:
; codeLenInByte = 0
; NumSgprs: 4
; NumVgprs: 0
; NumAgprs: 0
; TotalNumVgprs: 0
; ScratchSize: 0
; MemoryBound: 0
; FloatMode: 240
; IeeeMode: 1
; LDSByteSize: 0 bytes/workgroup (compile time only)
; SGPRBlocks: 0
; VGPRBlocks: 0
; NumSGPRsForWavesPerEU: 4
; NumVGPRsForWavesPerEU: 1
; AccumOffset: 4
; Occupancy: 8
; WaveLimiterHint : 0
; COMPUTE_PGM_RSRC2:SCRATCH_EN: 0
; COMPUTE_PGM_RSRC2:USER_SGPR: 6
; COMPUTE_PGM_RSRC2:TRAP_HANDLER: 0
; COMPUTE_PGM_RSRC2:TGID_X_EN: 1
; COMPUTE_PGM_RSRC2:TGID_Y_EN: 0
; COMPUTE_PGM_RSRC2:TGID_Z_EN: 0
; COMPUTE_PGM_RSRC2:TIDIG_COMP_CNT: 0
; COMPUTE_PGM_RSRC3_GFX90A:ACCUM_OFFSET: 0
; COMPUTE_PGM_RSRC3_GFX90A:TG_SPLIT: 0
	.section	.text._ZN7rocprim17ROCPRIM_400000_NS6detail17trampoline_kernelINS0_14default_configENS1_20scan_config_selectorIfEEZZNS1_9scan_implILNS1_25lookback_scan_determinismE0ELb1ELb1ES3_N6thrust23THRUST_200600_302600_NS6detail15normal_iteratorINS9_10device_ptrIfEEEENS9_16discard_iteratorINS9_11use_defaultEEEf11max_functorIfEfEEDaPvRmT3_T4_T5_mT6_P12ihipStream_tbENKUlT_T0_E_clISt17integral_constantIbLb1EESX_EEDaSS_ST_EUlSS_E_NS1_11comp_targetILNS1_3genE10ELNS1_11target_archE1201ELNS1_3gpuE5ELNS1_3repE0EEENS1_30default_config_static_selectorELNS0_4arch9wavefront6targetE1EEEvT1_,"axG",@progbits,_ZN7rocprim17ROCPRIM_400000_NS6detail17trampoline_kernelINS0_14default_configENS1_20scan_config_selectorIfEEZZNS1_9scan_implILNS1_25lookback_scan_determinismE0ELb1ELb1ES3_N6thrust23THRUST_200600_302600_NS6detail15normal_iteratorINS9_10device_ptrIfEEEENS9_16discard_iteratorINS9_11use_defaultEEEf11max_functorIfEfEEDaPvRmT3_T4_T5_mT6_P12ihipStream_tbENKUlT_T0_E_clISt17integral_constantIbLb1EESX_EEDaSS_ST_EUlSS_E_NS1_11comp_targetILNS1_3genE10ELNS1_11target_archE1201ELNS1_3gpuE5ELNS1_3repE0EEENS1_30default_config_static_selectorELNS0_4arch9wavefront6targetE1EEEvT1_,comdat
	.protected	_ZN7rocprim17ROCPRIM_400000_NS6detail17trampoline_kernelINS0_14default_configENS1_20scan_config_selectorIfEEZZNS1_9scan_implILNS1_25lookback_scan_determinismE0ELb1ELb1ES3_N6thrust23THRUST_200600_302600_NS6detail15normal_iteratorINS9_10device_ptrIfEEEENS9_16discard_iteratorINS9_11use_defaultEEEf11max_functorIfEfEEDaPvRmT3_T4_T5_mT6_P12ihipStream_tbENKUlT_T0_E_clISt17integral_constantIbLb1EESX_EEDaSS_ST_EUlSS_E_NS1_11comp_targetILNS1_3genE10ELNS1_11target_archE1201ELNS1_3gpuE5ELNS1_3repE0EEENS1_30default_config_static_selectorELNS0_4arch9wavefront6targetE1EEEvT1_ ; -- Begin function _ZN7rocprim17ROCPRIM_400000_NS6detail17trampoline_kernelINS0_14default_configENS1_20scan_config_selectorIfEEZZNS1_9scan_implILNS1_25lookback_scan_determinismE0ELb1ELb1ES3_N6thrust23THRUST_200600_302600_NS6detail15normal_iteratorINS9_10device_ptrIfEEEENS9_16discard_iteratorINS9_11use_defaultEEEf11max_functorIfEfEEDaPvRmT3_T4_T5_mT6_P12ihipStream_tbENKUlT_T0_E_clISt17integral_constantIbLb1EESX_EEDaSS_ST_EUlSS_E_NS1_11comp_targetILNS1_3genE10ELNS1_11target_archE1201ELNS1_3gpuE5ELNS1_3repE0EEENS1_30default_config_static_selectorELNS0_4arch9wavefront6targetE1EEEvT1_
	.globl	_ZN7rocprim17ROCPRIM_400000_NS6detail17trampoline_kernelINS0_14default_configENS1_20scan_config_selectorIfEEZZNS1_9scan_implILNS1_25lookback_scan_determinismE0ELb1ELb1ES3_N6thrust23THRUST_200600_302600_NS6detail15normal_iteratorINS9_10device_ptrIfEEEENS9_16discard_iteratorINS9_11use_defaultEEEf11max_functorIfEfEEDaPvRmT3_T4_T5_mT6_P12ihipStream_tbENKUlT_T0_E_clISt17integral_constantIbLb1EESX_EEDaSS_ST_EUlSS_E_NS1_11comp_targetILNS1_3genE10ELNS1_11target_archE1201ELNS1_3gpuE5ELNS1_3repE0EEENS1_30default_config_static_selectorELNS0_4arch9wavefront6targetE1EEEvT1_
	.p2align	8
	.type	_ZN7rocprim17ROCPRIM_400000_NS6detail17trampoline_kernelINS0_14default_configENS1_20scan_config_selectorIfEEZZNS1_9scan_implILNS1_25lookback_scan_determinismE0ELb1ELb1ES3_N6thrust23THRUST_200600_302600_NS6detail15normal_iteratorINS9_10device_ptrIfEEEENS9_16discard_iteratorINS9_11use_defaultEEEf11max_functorIfEfEEDaPvRmT3_T4_T5_mT6_P12ihipStream_tbENKUlT_T0_E_clISt17integral_constantIbLb1EESX_EEDaSS_ST_EUlSS_E_NS1_11comp_targetILNS1_3genE10ELNS1_11target_archE1201ELNS1_3gpuE5ELNS1_3repE0EEENS1_30default_config_static_selectorELNS0_4arch9wavefront6targetE1EEEvT1_,@function
_ZN7rocprim17ROCPRIM_400000_NS6detail17trampoline_kernelINS0_14default_configENS1_20scan_config_selectorIfEEZZNS1_9scan_implILNS1_25lookback_scan_determinismE0ELb1ELb1ES3_N6thrust23THRUST_200600_302600_NS6detail15normal_iteratorINS9_10device_ptrIfEEEENS9_16discard_iteratorINS9_11use_defaultEEEf11max_functorIfEfEEDaPvRmT3_T4_T5_mT6_P12ihipStream_tbENKUlT_T0_E_clISt17integral_constantIbLb1EESX_EEDaSS_ST_EUlSS_E_NS1_11comp_targetILNS1_3genE10ELNS1_11target_archE1201ELNS1_3gpuE5ELNS1_3repE0EEENS1_30default_config_static_selectorELNS0_4arch9wavefront6targetE1EEEvT1_: ; @_ZN7rocprim17ROCPRIM_400000_NS6detail17trampoline_kernelINS0_14default_configENS1_20scan_config_selectorIfEEZZNS1_9scan_implILNS1_25lookback_scan_determinismE0ELb1ELb1ES3_N6thrust23THRUST_200600_302600_NS6detail15normal_iteratorINS9_10device_ptrIfEEEENS9_16discard_iteratorINS9_11use_defaultEEEf11max_functorIfEfEEDaPvRmT3_T4_T5_mT6_P12ihipStream_tbENKUlT_T0_E_clISt17integral_constantIbLb1EESX_EEDaSS_ST_EUlSS_E_NS1_11comp_targetILNS1_3genE10ELNS1_11target_archE1201ELNS1_3gpuE5ELNS1_3repE0EEENS1_30default_config_static_selectorELNS0_4arch9wavefront6targetE1EEEvT1_
; %bb.0:
	.section	.rodata,"a",@progbits
	.p2align	6, 0x0
	.amdhsa_kernel _ZN7rocprim17ROCPRIM_400000_NS6detail17trampoline_kernelINS0_14default_configENS1_20scan_config_selectorIfEEZZNS1_9scan_implILNS1_25lookback_scan_determinismE0ELb1ELb1ES3_N6thrust23THRUST_200600_302600_NS6detail15normal_iteratorINS9_10device_ptrIfEEEENS9_16discard_iteratorINS9_11use_defaultEEEf11max_functorIfEfEEDaPvRmT3_T4_T5_mT6_P12ihipStream_tbENKUlT_T0_E_clISt17integral_constantIbLb1EESX_EEDaSS_ST_EUlSS_E_NS1_11comp_targetILNS1_3genE10ELNS1_11target_archE1201ELNS1_3gpuE5ELNS1_3repE0EEENS1_30default_config_static_selectorELNS0_4arch9wavefront6targetE1EEEvT1_
		.amdhsa_group_segment_fixed_size 0
		.amdhsa_private_segment_fixed_size 0
		.amdhsa_kernarg_size 104
		.amdhsa_user_sgpr_count 6
		.amdhsa_user_sgpr_private_segment_buffer 1
		.amdhsa_user_sgpr_dispatch_ptr 0
		.amdhsa_user_sgpr_queue_ptr 0
		.amdhsa_user_sgpr_kernarg_segment_ptr 1
		.amdhsa_user_sgpr_dispatch_id 0
		.amdhsa_user_sgpr_flat_scratch_init 0
		.amdhsa_user_sgpr_kernarg_preload_length 0
		.amdhsa_user_sgpr_kernarg_preload_offset 0
		.amdhsa_user_sgpr_private_segment_size 0
		.amdhsa_uses_dynamic_stack 0
		.amdhsa_system_sgpr_private_segment_wavefront_offset 0
		.amdhsa_system_sgpr_workgroup_id_x 1
		.amdhsa_system_sgpr_workgroup_id_y 0
		.amdhsa_system_sgpr_workgroup_id_z 0
		.amdhsa_system_sgpr_workgroup_info 0
		.amdhsa_system_vgpr_workitem_id 0
		.amdhsa_next_free_vgpr 1
		.amdhsa_next_free_sgpr 0
		.amdhsa_accum_offset 4
		.amdhsa_reserve_vcc 0
		.amdhsa_reserve_flat_scratch 0
		.amdhsa_float_round_mode_32 0
		.amdhsa_float_round_mode_16_64 0
		.amdhsa_float_denorm_mode_32 3
		.amdhsa_float_denorm_mode_16_64 3
		.amdhsa_dx10_clamp 1
		.amdhsa_ieee_mode 1
		.amdhsa_fp16_overflow 0
		.amdhsa_tg_split 0
		.amdhsa_exception_fp_ieee_invalid_op 0
		.amdhsa_exception_fp_denorm_src 0
		.amdhsa_exception_fp_ieee_div_zero 0
		.amdhsa_exception_fp_ieee_overflow 0
		.amdhsa_exception_fp_ieee_underflow 0
		.amdhsa_exception_fp_ieee_inexact 0
		.amdhsa_exception_int_div_zero 0
	.end_amdhsa_kernel
	.section	.text._ZN7rocprim17ROCPRIM_400000_NS6detail17trampoline_kernelINS0_14default_configENS1_20scan_config_selectorIfEEZZNS1_9scan_implILNS1_25lookback_scan_determinismE0ELb1ELb1ES3_N6thrust23THRUST_200600_302600_NS6detail15normal_iteratorINS9_10device_ptrIfEEEENS9_16discard_iteratorINS9_11use_defaultEEEf11max_functorIfEfEEDaPvRmT3_T4_T5_mT6_P12ihipStream_tbENKUlT_T0_E_clISt17integral_constantIbLb1EESX_EEDaSS_ST_EUlSS_E_NS1_11comp_targetILNS1_3genE10ELNS1_11target_archE1201ELNS1_3gpuE5ELNS1_3repE0EEENS1_30default_config_static_selectorELNS0_4arch9wavefront6targetE1EEEvT1_,"axG",@progbits,_ZN7rocprim17ROCPRIM_400000_NS6detail17trampoline_kernelINS0_14default_configENS1_20scan_config_selectorIfEEZZNS1_9scan_implILNS1_25lookback_scan_determinismE0ELb1ELb1ES3_N6thrust23THRUST_200600_302600_NS6detail15normal_iteratorINS9_10device_ptrIfEEEENS9_16discard_iteratorINS9_11use_defaultEEEf11max_functorIfEfEEDaPvRmT3_T4_T5_mT6_P12ihipStream_tbENKUlT_T0_E_clISt17integral_constantIbLb1EESX_EEDaSS_ST_EUlSS_E_NS1_11comp_targetILNS1_3genE10ELNS1_11target_archE1201ELNS1_3gpuE5ELNS1_3repE0EEENS1_30default_config_static_selectorELNS0_4arch9wavefront6targetE1EEEvT1_,comdat
.Lfunc_end3229:
	.size	_ZN7rocprim17ROCPRIM_400000_NS6detail17trampoline_kernelINS0_14default_configENS1_20scan_config_selectorIfEEZZNS1_9scan_implILNS1_25lookback_scan_determinismE0ELb1ELb1ES3_N6thrust23THRUST_200600_302600_NS6detail15normal_iteratorINS9_10device_ptrIfEEEENS9_16discard_iteratorINS9_11use_defaultEEEf11max_functorIfEfEEDaPvRmT3_T4_T5_mT6_P12ihipStream_tbENKUlT_T0_E_clISt17integral_constantIbLb1EESX_EEDaSS_ST_EUlSS_E_NS1_11comp_targetILNS1_3genE10ELNS1_11target_archE1201ELNS1_3gpuE5ELNS1_3repE0EEENS1_30default_config_static_selectorELNS0_4arch9wavefront6targetE1EEEvT1_, .Lfunc_end3229-_ZN7rocprim17ROCPRIM_400000_NS6detail17trampoline_kernelINS0_14default_configENS1_20scan_config_selectorIfEEZZNS1_9scan_implILNS1_25lookback_scan_determinismE0ELb1ELb1ES3_N6thrust23THRUST_200600_302600_NS6detail15normal_iteratorINS9_10device_ptrIfEEEENS9_16discard_iteratorINS9_11use_defaultEEEf11max_functorIfEfEEDaPvRmT3_T4_T5_mT6_P12ihipStream_tbENKUlT_T0_E_clISt17integral_constantIbLb1EESX_EEDaSS_ST_EUlSS_E_NS1_11comp_targetILNS1_3genE10ELNS1_11target_archE1201ELNS1_3gpuE5ELNS1_3repE0EEENS1_30default_config_static_selectorELNS0_4arch9wavefront6targetE1EEEvT1_
                                        ; -- End function
	.section	.AMDGPU.csdata,"",@progbits
; Kernel info:
; codeLenInByte = 0
; NumSgprs: 4
; NumVgprs: 0
; NumAgprs: 0
; TotalNumVgprs: 0
; ScratchSize: 0
; MemoryBound: 0
; FloatMode: 240
; IeeeMode: 1
; LDSByteSize: 0 bytes/workgroup (compile time only)
; SGPRBlocks: 0
; VGPRBlocks: 0
; NumSGPRsForWavesPerEU: 4
; NumVGPRsForWavesPerEU: 1
; AccumOffset: 4
; Occupancy: 8
; WaveLimiterHint : 0
; COMPUTE_PGM_RSRC2:SCRATCH_EN: 0
; COMPUTE_PGM_RSRC2:USER_SGPR: 6
; COMPUTE_PGM_RSRC2:TRAP_HANDLER: 0
; COMPUTE_PGM_RSRC2:TGID_X_EN: 1
; COMPUTE_PGM_RSRC2:TGID_Y_EN: 0
; COMPUTE_PGM_RSRC2:TGID_Z_EN: 0
; COMPUTE_PGM_RSRC2:TIDIG_COMP_CNT: 0
; COMPUTE_PGM_RSRC3_GFX90A:ACCUM_OFFSET: 0
; COMPUTE_PGM_RSRC3_GFX90A:TG_SPLIT: 0
	.section	.text._ZN7rocprim17ROCPRIM_400000_NS6detail17trampoline_kernelINS0_14default_configENS1_20scan_config_selectorIfEEZZNS1_9scan_implILNS1_25lookback_scan_determinismE0ELb1ELb1ES3_N6thrust23THRUST_200600_302600_NS6detail15normal_iteratorINS9_10device_ptrIfEEEENS9_16discard_iteratorINS9_11use_defaultEEEf11max_functorIfEfEEDaPvRmT3_T4_T5_mT6_P12ihipStream_tbENKUlT_T0_E_clISt17integral_constantIbLb1EESX_EEDaSS_ST_EUlSS_E_NS1_11comp_targetILNS1_3genE10ELNS1_11target_archE1200ELNS1_3gpuE4ELNS1_3repE0EEENS1_30default_config_static_selectorELNS0_4arch9wavefront6targetE1EEEvT1_,"axG",@progbits,_ZN7rocprim17ROCPRIM_400000_NS6detail17trampoline_kernelINS0_14default_configENS1_20scan_config_selectorIfEEZZNS1_9scan_implILNS1_25lookback_scan_determinismE0ELb1ELb1ES3_N6thrust23THRUST_200600_302600_NS6detail15normal_iteratorINS9_10device_ptrIfEEEENS9_16discard_iteratorINS9_11use_defaultEEEf11max_functorIfEfEEDaPvRmT3_T4_T5_mT6_P12ihipStream_tbENKUlT_T0_E_clISt17integral_constantIbLb1EESX_EEDaSS_ST_EUlSS_E_NS1_11comp_targetILNS1_3genE10ELNS1_11target_archE1200ELNS1_3gpuE4ELNS1_3repE0EEENS1_30default_config_static_selectorELNS0_4arch9wavefront6targetE1EEEvT1_,comdat
	.protected	_ZN7rocprim17ROCPRIM_400000_NS6detail17trampoline_kernelINS0_14default_configENS1_20scan_config_selectorIfEEZZNS1_9scan_implILNS1_25lookback_scan_determinismE0ELb1ELb1ES3_N6thrust23THRUST_200600_302600_NS6detail15normal_iteratorINS9_10device_ptrIfEEEENS9_16discard_iteratorINS9_11use_defaultEEEf11max_functorIfEfEEDaPvRmT3_T4_T5_mT6_P12ihipStream_tbENKUlT_T0_E_clISt17integral_constantIbLb1EESX_EEDaSS_ST_EUlSS_E_NS1_11comp_targetILNS1_3genE10ELNS1_11target_archE1200ELNS1_3gpuE4ELNS1_3repE0EEENS1_30default_config_static_selectorELNS0_4arch9wavefront6targetE1EEEvT1_ ; -- Begin function _ZN7rocprim17ROCPRIM_400000_NS6detail17trampoline_kernelINS0_14default_configENS1_20scan_config_selectorIfEEZZNS1_9scan_implILNS1_25lookback_scan_determinismE0ELb1ELb1ES3_N6thrust23THRUST_200600_302600_NS6detail15normal_iteratorINS9_10device_ptrIfEEEENS9_16discard_iteratorINS9_11use_defaultEEEf11max_functorIfEfEEDaPvRmT3_T4_T5_mT6_P12ihipStream_tbENKUlT_T0_E_clISt17integral_constantIbLb1EESX_EEDaSS_ST_EUlSS_E_NS1_11comp_targetILNS1_3genE10ELNS1_11target_archE1200ELNS1_3gpuE4ELNS1_3repE0EEENS1_30default_config_static_selectorELNS0_4arch9wavefront6targetE1EEEvT1_
	.globl	_ZN7rocprim17ROCPRIM_400000_NS6detail17trampoline_kernelINS0_14default_configENS1_20scan_config_selectorIfEEZZNS1_9scan_implILNS1_25lookback_scan_determinismE0ELb1ELb1ES3_N6thrust23THRUST_200600_302600_NS6detail15normal_iteratorINS9_10device_ptrIfEEEENS9_16discard_iteratorINS9_11use_defaultEEEf11max_functorIfEfEEDaPvRmT3_T4_T5_mT6_P12ihipStream_tbENKUlT_T0_E_clISt17integral_constantIbLb1EESX_EEDaSS_ST_EUlSS_E_NS1_11comp_targetILNS1_3genE10ELNS1_11target_archE1200ELNS1_3gpuE4ELNS1_3repE0EEENS1_30default_config_static_selectorELNS0_4arch9wavefront6targetE1EEEvT1_
	.p2align	8
	.type	_ZN7rocprim17ROCPRIM_400000_NS6detail17trampoline_kernelINS0_14default_configENS1_20scan_config_selectorIfEEZZNS1_9scan_implILNS1_25lookback_scan_determinismE0ELb1ELb1ES3_N6thrust23THRUST_200600_302600_NS6detail15normal_iteratorINS9_10device_ptrIfEEEENS9_16discard_iteratorINS9_11use_defaultEEEf11max_functorIfEfEEDaPvRmT3_T4_T5_mT6_P12ihipStream_tbENKUlT_T0_E_clISt17integral_constantIbLb1EESX_EEDaSS_ST_EUlSS_E_NS1_11comp_targetILNS1_3genE10ELNS1_11target_archE1200ELNS1_3gpuE4ELNS1_3repE0EEENS1_30default_config_static_selectorELNS0_4arch9wavefront6targetE1EEEvT1_,@function
_ZN7rocprim17ROCPRIM_400000_NS6detail17trampoline_kernelINS0_14default_configENS1_20scan_config_selectorIfEEZZNS1_9scan_implILNS1_25lookback_scan_determinismE0ELb1ELb1ES3_N6thrust23THRUST_200600_302600_NS6detail15normal_iteratorINS9_10device_ptrIfEEEENS9_16discard_iteratorINS9_11use_defaultEEEf11max_functorIfEfEEDaPvRmT3_T4_T5_mT6_P12ihipStream_tbENKUlT_T0_E_clISt17integral_constantIbLb1EESX_EEDaSS_ST_EUlSS_E_NS1_11comp_targetILNS1_3genE10ELNS1_11target_archE1200ELNS1_3gpuE4ELNS1_3repE0EEENS1_30default_config_static_selectorELNS0_4arch9wavefront6targetE1EEEvT1_: ; @_ZN7rocprim17ROCPRIM_400000_NS6detail17trampoline_kernelINS0_14default_configENS1_20scan_config_selectorIfEEZZNS1_9scan_implILNS1_25lookback_scan_determinismE0ELb1ELb1ES3_N6thrust23THRUST_200600_302600_NS6detail15normal_iteratorINS9_10device_ptrIfEEEENS9_16discard_iteratorINS9_11use_defaultEEEf11max_functorIfEfEEDaPvRmT3_T4_T5_mT6_P12ihipStream_tbENKUlT_T0_E_clISt17integral_constantIbLb1EESX_EEDaSS_ST_EUlSS_E_NS1_11comp_targetILNS1_3genE10ELNS1_11target_archE1200ELNS1_3gpuE4ELNS1_3repE0EEENS1_30default_config_static_selectorELNS0_4arch9wavefront6targetE1EEEvT1_
; %bb.0:
	.section	.rodata,"a",@progbits
	.p2align	6, 0x0
	.amdhsa_kernel _ZN7rocprim17ROCPRIM_400000_NS6detail17trampoline_kernelINS0_14default_configENS1_20scan_config_selectorIfEEZZNS1_9scan_implILNS1_25lookback_scan_determinismE0ELb1ELb1ES3_N6thrust23THRUST_200600_302600_NS6detail15normal_iteratorINS9_10device_ptrIfEEEENS9_16discard_iteratorINS9_11use_defaultEEEf11max_functorIfEfEEDaPvRmT3_T4_T5_mT6_P12ihipStream_tbENKUlT_T0_E_clISt17integral_constantIbLb1EESX_EEDaSS_ST_EUlSS_E_NS1_11comp_targetILNS1_3genE10ELNS1_11target_archE1200ELNS1_3gpuE4ELNS1_3repE0EEENS1_30default_config_static_selectorELNS0_4arch9wavefront6targetE1EEEvT1_
		.amdhsa_group_segment_fixed_size 0
		.amdhsa_private_segment_fixed_size 0
		.amdhsa_kernarg_size 104
		.amdhsa_user_sgpr_count 6
		.amdhsa_user_sgpr_private_segment_buffer 1
		.amdhsa_user_sgpr_dispatch_ptr 0
		.amdhsa_user_sgpr_queue_ptr 0
		.amdhsa_user_sgpr_kernarg_segment_ptr 1
		.amdhsa_user_sgpr_dispatch_id 0
		.amdhsa_user_sgpr_flat_scratch_init 0
		.amdhsa_user_sgpr_kernarg_preload_length 0
		.amdhsa_user_sgpr_kernarg_preload_offset 0
		.amdhsa_user_sgpr_private_segment_size 0
		.amdhsa_uses_dynamic_stack 0
		.amdhsa_system_sgpr_private_segment_wavefront_offset 0
		.amdhsa_system_sgpr_workgroup_id_x 1
		.amdhsa_system_sgpr_workgroup_id_y 0
		.amdhsa_system_sgpr_workgroup_id_z 0
		.amdhsa_system_sgpr_workgroup_info 0
		.amdhsa_system_vgpr_workitem_id 0
		.amdhsa_next_free_vgpr 1
		.amdhsa_next_free_sgpr 0
		.amdhsa_accum_offset 4
		.amdhsa_reserve_vcc 0
		.amdhsa_reserve_flat_scratch 0
		.amdhsa_float_round_mode_32 0
		.amdhsa_float_round_mode_16_64 0
		.amdhsa_float_denorm_mode_32 3
		.amdhsa_float_denorm_mode_16_64 3
		.amdhsa_dx10_clamp 1
		.amdhsa_ieee_mode 1
		.amdhsa_fp16_overflow 0
		.amdhsa_tg_split 0
		.amdhsa_exception_fp_ieee_invalid_op 0
		.amdhsa_exception_fp_denorm_src 0
		.amdhsa_exception_fp_ieee_div_zero 0
		.amdhsa_exception_fp_ieee_overflow 0
		.amdhsa_exception_fp_ieee_underflow 0
		.amdhsa_exception_fp_ieee_inexact 0
		.amdhsa_exception_int_div_zero 0
	.end_amdhsa_kernel
	.section	.text._ZN7rocprim17ROCPRIM_400000_NS6detail17trampoline_kernelINS0_14default_configENS1_20scan_config_selectorIfEEZZNS1_9scan_implILNS1_25lookback_scan_determinismE0ELb1ELb1ES3_N6thrust23THRUST_200600_302600_NS6detail15normal_iteratorINS9_10device_ptrIfEEEENS9_16discard_iteratorINS9_11use_defaultEEEf11max_functorIfEfEEDaPvRmT3_T4_T5_mT6_P12ihipStream_tbENKUlT_T0_E_clISt17integral_constantIbLb1EESX_EEDaSS_ST_EUlSS_E_NS1_11comp_targetILNS1_3genE10ELNS1_11target_archE1200ELNS1_3gpuE4ELNS1_3repE0EEENS1_30default_config_static_selectorELNS0_4arch9wavefront6targetE1EEEvT1_,"axG",@progbits,_ZN7rocprim17ROCPRIM_400000_NS6detail17trampoline_kernelINS0_14default_configENS1_20scan_config_selectorIfEEZZNS1_9scan_implILNS1_25lookback_scan_determinismE0ELb1ELb1ES3_N6thrust23THRUST_200600_302600_NS6detail15normal_iteratorINS9_10device_ptrIfEEEENS9_16discard_iteratorINS9_11use_defaultEEEf11max_functorIfEfEEDaPvRmT3_T4_T5_mT6_P12ihipStream_tbENKUlT_T0_E_clISt17integral_constantIbLb1EESX_EEDaSS_ST_EUlSS_E_NS1_11comp_targetILNS1_3genE10ELNS1_11target_archE1200ELNS1_3gpuE4ELNS1_3repE0EEENS1_30default_config_static_selectorELNS0_4arch9wavefront6targetE1EEEvT1_,comdat
.Lfunc_end3230:
	.size	_ZN7rocprim17ROCPRIM_400000_NS6detail17trampoline_kernelINS0_14default_configENS1_20scan_config_selectorIfEEZZNS1_9scan_implILNS1_25lookback_scan_determinismE0ELb1ELb1ES3_N6thrust23THRUST_200600_302600_NS6detail15normal_iteratorINS9_10device_ptrIfEEEENS9_16discard_iteratorINS9_11use_defaultEEEf11max_functorIfEfEEDaPvRmT3_T4_T5_mT6_P12ihipStream_tbENKUlT_T0_E_clISt17integral_constantIbLb1EESX_EEDaSS_ST_EUlSS_E_NS1_11comp_targetILNS1_3genE10ELNS1_11target_archE1200ELNS1_3gpuE4ELNS1_3repE0EEENS1_30default_config_static_selectorELNS0_4arch9wavefront6targetE1EEEvT1_, .Lfunc_end3230-_ZN7rocprim17ROCPRIM_400000_NS6detail17trampoline_kernelINS0_14default_configENS1_20scan_config_selectorIfEEZZNS1_9scan_implILNS1_25lookback_scan_determinismE0ELb1ELb1ES3_N6thrust23THRUST_200600_302600_NS6detail15normal_iteratorINS9_10device_ptrIfEEEENS9_16discard_iteratorINS9_11use_defaultEEEf11max_functorIfEfEEDaPvRmT3_T4_T5_mT6_P12ihipStream_tbENKUlT_T0_E_clISt17integral_constantIbLb1EESX_EEDaSS_ST_EUlSS_E_NS1_11comp_targetILNS1_3genE10ELNS1_11target_archE1200ELNS1_3gpuE4ELNS1_3repE0EEENS1_30default_config_static_selectorELNS0_4arch9wavefront6targetE1EEEvT1_
                                        ; -- End function
	.section	.AMDGPU.csdata,"",@progbits
; Kernel info:
; codeLenInByte = 0
; NumSgprs: 4
; NumVgprs: 0
; NumAgprs: 0
; TotalNumVgprs: 0
; ScratchSize: 0
; MemoryBound: 0
; FloatMode: 240
; IeeeMode: 1
; LDSByteSize: 0 bytes/workgroup (compile time only)
; SGPRBlocks: 0
; VGPRBlocks: 0
; NumSGPRsForWavesPerEU: 4
; NumVGPRsForWavesPerEU: 1
; AccumOffset: 4
; Occupancy: 8
; WaveLimiterHint : 0
; COMPUTE_PGM_RSRC2:SCRATCH_EN: 0
; COMPUTE_PGM_RSRC2:USER_SGPR: 6
; COMPUTE_PGM_RSRC2:TRAP_HANDLER: 0
; COMPUTE_PGM_RSRC2:TGID_X_EN: 1
; COMPUTE_PGM_RSRC2:TGID_Y_EN: 0
; COMPUTE_PGM_RSRC2:TGID_Z_EN: 0
; COMPUTE_PGM_RSRC2:TIDIG_COMP_CNT: 0
; COMPUTE_PGM_RSRC3_GFX90A:ACCUM_OFFSET: 0
; COMPUTE_PGM_RSRC3_GFX90A:TG_SPLIT: 0
	.section	.text._ZN7rocprim17ROCPRIM_400000_NS6detail17trampoline_kernelINS0_14default_configENS1_20scan_config_selectorIfEEZZNS1_9scan_implILNS1_25lookback_scan_determinismE0ELb1ELb1ES3_N6thrust23THRUST_200600_302600_NS6detail15normal_iteratorINS9_10device_ptrIfEEEENS9_16discard_iteratorINS9_11use_defaultEEEf11max_functorIfEfEEDaPvRmT3_T4_T5_mT6_P12ihipStream_tbENKUlT_T0_E_clISt17integral_constantIbLb1EESX_EEDaSS_ST_EUlSS_E_NS1_11comp_targetILNS1_3genE9ELNS1_11target_archE1100ELNS1_3gpuE3ELNS1_3repE0EEENS1_30default_config_static_selectorELNS0_4arch9wavefront6targetE1EEEvT1_,"axG",@progbits,_ZN7rocprim17ROCPRIM_400000_NS6detail17trampoline_kernelINS0_14default_configENS1_20scan_config_selectorIfEEZZNS1_9scan_implILNS1_25lookback_scan_determinismE0ELb1ELb1ES3_N6thrust23THRUST_200600_302600_NS6detail15normal_iteratorINS9_10device_ptrIfEEEENS9_16discard_iteratorINS9_11use_defaultEEEf11max_functorIfEfEEDaPvRmT3_T4_T5_mT6_P12ihipStream_tbENKUlT_T0_E_clISt17integral_constantIbLb1EESX_EEDaSS_ST_EUlSS_E_NS1_11comp_targetILNS1_3genE9ELNS1_11target_archE1100ELNS1_3gpuE3ELNS1_3repE0EEENS1_30default_config_static_selectorELNS0_4arch9wavefront6targetE1EEEvT1_,comdat
	.protected	_ZN7rocprim17ROCPRIM_400000_NS6detail17trampoline_kernelINS0_14default_configENS1_20scan_config_selectorIfEEZZNS1_9scan_implILNS1_25lookback_scan_determinismE0ELb1ELb1ES3_N6thrust23THRUST_200600_302600_NS6detail15normal_iteratorINS9_10device_ptrIfEEEENS9_16discard_iteratorINS9_11use_defaultEEEf11max_functorIfEfEEDaPvRmT3_T4_T5_mT6_P12ihipStream_tbENKUlT_T0_E_clISt17integral_constantIbLb1EESX_EEDaSS_ST_EUlSS_E_NS1_11comp_targetILNS1_3genE9ELNS1_11target_archE1100ELNS1_3gpuE3ELNS1_3repE0EEENS1_30default_config_static_selectorELNS0_4arch9wavefront6targetE1EEEvT1_ ; -- Begin function _ZN7rocprim17ROCPRIM_400000_NS6detail17trampoline_kernelINS0_14default_configENS1_20scan_config_selectorIfEEZZNS1_9scan_implILNS1_25lookback_scan_determinismE0ELb1ELb1ES3_N6thrust23THRUST_200600_302600_NS6detail15normal_iteratorINS9_10device_ptrIfEEEENS9_16discard_iteratorINS9_11use_defaultEEEf11max_functorIfEfEEDaPvRmT3_T4_T5_mT6_P12ihipStream_tbENKUlT_T0_E_clISt17integral_constantIbLb1EESX_EEDaSS_ST_EUlSS_E_NS1_11comp_targetILNS1_3genE9ELNS1_11target_archE1100ELNS1_3gpuE3ELNS1_3repE0EEENS1_30default_config_static_selectorELNS0_4arch9wavefront6targetE1EEEvT1_
	.globl	_ZN7rocprim17ROCPRIM_400000_NS6detail17trampoline_kernelINS0_14default_configENS1_20scan_config_selectorIfEEZZNS1_9scan_implILNS1_25lookback_scan_determinismE0ELb1ELb1ES3_N6thrust23THRUST_200600_302600_NS6detail15normal_iteratorINS9_10device_ptrIfEEEENS9_16discard_iteratorINS9_11use_defaultEEEf11max_functorIfEfEEDaPvRmT3_T4_T5_mT6_P12ihipStream_tbENKUlT_T0_E_clISt17integral_constantIbLb1EESX_EEDaSS_ST_EUlSS_E_NS1_11comp_targetILNS1_3genE9ELNS1_11target_archE1100ELNS1_3gpuE3ELNS1_3repE0EEENS1_30default_config_static_selectorELNS0_4arch9wavefront6targetE1EEEvT1_
	.p2align	8
	.type	_ZN7rocprim17ROCPRIM_400000_NS6detail17trampoline_kernelINS0_14default_configENS1_20scan_config_selectorIfEEZZNS1_9scan_implILNS1_25lookback_scan_determinismE0ELb1ELb1ES3_N6thrust23THRUST_200600_302600_NS6detail15normal_iteratorINS9_10device_ptrIfEEEENS9_16discard_iteratorINS9_11use_defaultEEEf11max_functorIfEfEEDaPvRmT3_T4_T5_mT6_P12ihipStream_tbENKUlT_T0_E_clISt17integral_constantIbLb1EESX_EEDaSS_ST_EUlSS_E_NS1_11comp_targetILNS1_3genE9ELNS1_11target_archE1100ELNS1_3gpuE3ELNS1_3repE0EEENS1_30default_config_static_selectorELNS0_4arch9wavefront6targetE1EEEvT1_,@function
_ZN7rocprim17ROCPRIM_400000_NS6detail17trampoline_kernelINS0_14default_configENS1_20scan_config_selectorIfEEZZNS1_9scan_implILNS1_25lookback_scan_determinismE0ELb1ELb1ES3_N6thrust23THRUST_200600_302600_NS6detail15normal_iteratorINS9_10device_ptrIfEEEENS9_16discard_iteratorINS9_11use_defaultEEEf11max_functorIfEfEEDaPvRmT3_T4_T5_mT6_P12ihipStream_tbENKUlT_T0_E_clISt17integral_constantIbLb1EESX_EEDaSS_ST_EUlSS_E_NS1_11comp_targetILNS1_3genE9ELNS1_11target_archE1100ELNS1_3gpuE3ELNS1_3repE0EEENS1_30default_config_static_selectorELNS0_4arch9wavefront6targetE1EEEvT1_: ; @_ZN7rocprim17ROCPRIM_400000_NS6detail17trampoline_kernelINS0_14default_configENS1_20scan_config_selectorIfEEZZNS1_9scan_implILNS1_25lookback_scan_determinismE0ELb1ELb1ES3_N6thrust23THRUST_200600_302600_NS6detail15normal_iteratorINS9_10device_ptrIfEEEENS9_16discard_iteratorINS9_11use_defaultEEEf11max_functorIfEfEEDaPvRmT3_T4_T5_mT6_P12ihipStream_tbENKUlT_T0_E_clISt17integral_constantIbLb1EESX_EEDaSS_ST_EUlSS_E_NS1_11comp_targetILNS1_3genE9ELNS1_11target_archE1100ELNS1_3gpuE3ELNS1_3repE0EEENS1_30default_config_static_selectorELNS0_4arch9wavefront6targetE1EEEvT1_
; %bb.0:
	.section	.rodata,"a",@progbits
	.p2align	6, 0x0
	.amdhsa_kernel _ZN7rocprim17ROCPRIM_400000_NS6detail17trampoline_kernelINS0_14default_configENS1_20scan_config_selectorIfEEZZNS1_9scan_implILNS1_25lookback_scan_determinismE0ELb1ELb1ES3_N6thrust23THRUST_200600_302600_NS6detail15normal_iteratorINS9_10device_ptrIfEEEENS9_16discard_iteratorINS9_11use_defaultEEEf11max_functorIfEfEEDaPvRmT3_T4_T5_mT6_P12ihipStream_tbENKUlT_T0_E_clISt17integral_constantIbLb1EESX_EEDaSS_ST_EUlSS_E_NS1_11comp_targetILNS1_3genE9ELNS1_11target_archE1100ELNS1_3gpuE3ELNS1_3repE0EEENS1_30default_config_static_selectorELNS0_4arch9wavefront6targetE1EEEvT1_
		.amdhsa_group_segment_fixed_size 0
		.amdhsa_private_segment_fixed_size 0
		.amdhsa_kernarg_size 104
		.amdhsa_user_sgpr_count 6
		.amdhsa_user_sgpr_private_segment_buffer 1
		.amdhsa_user_sgpr_dispatch_ptr 0
		.amdhsa_user_sgpr_queue_ptr 0
		.amdhsa_user_sgpr_kernarg_segment_ptr 1
		.amdhsa_user_sgpr_dispatch_id 0
		.amdhsa_user_sgpr_flat_scratch_init 0
		.amdhsa_user_sgpr_kernarg_preload_length 0
		.amdhsa_user_sgpr_kernarg_preload_offset 0
		.amdhsa_user_sgpr_private_segment_size 0
		.amdhsa_uses_dynamic_stack 0
		.amdhsa_system_sgpr_private_segment_wavefront_offset 0
		.amdhsa_system_sgpr_workgroup_id_x 1
		.amdhsa_system_sgpr_workgroup_id_y 0
		.amdhsa_system_sgpr_workgroup_id_z 0
		.amdhsa_system_sgpr_workgroup_info 0
		.amdhsa_system_vgpr_workitem_id 0
		.amdhsa_next_free_vgpr 1
		.amdhsa_next_free_sgpr 0
		.amdhsa_accum_offset 4
		.amdhsa_reserve_vcc 0
		.amdhsa_reserve_flat_scratch 0
		.amdhsa_float_round_mode_32 0
		.amdhsa_float_round_mode_16_64 0
		.amdhsa_float_denorm_mode_32 3
		.amdhsa_float_denorm_mode_16_64 3
		.amdhsa_dx10_clamp 1
		.amdhsa_ieee_mode 1
		.amdhsa_fp16_overflow 0
		.amdhsa_tg_split 0
		.amdhsa_exception_fp_ieee_invalid_op 0
		.amdhsa_exception_fp_denorm_src 0
		.amdhsa_exception_fp_ieee_div_zero 0
		.amdhsa_exception_fp_ieee_overflow 0
		.amdhsa_exception_fp_ieee_underflow 0
		.amdhsa_exception_fp_ieee_inexact 0
		.amdhsa_exception_int_div_zero 0
	.end_amdhsa_kernel
	.section	.text._ZN7rocprim17ROCPRIM_400000_NS6detail17trampoline_kernelINS0_14default_configENS1_20scan_config_selectorIfEEZZNS1_9scan_implILNS1_25lookback_scan_determinismE0ELb1ELb1ES3_N6thrust23THRUST_200600_302600_NS6detail15normal_iteratorINS9_10device_ptrIfEEEENS9_16discard_iteratorINS9_11use_defaultEEEf11max_functorIfEfEEDaPvRmT3_T4_T5_mT6_P12ihipStream_tbENKUlT_T0_E_clISt17integral_constantIbLb1EESX_EEDaSS_ST_EUlSS_E_NS1_11comp_targetILNS1_3genE9ELNS1_11target_archE1100ELNS1_3gpuE3ELNS1_3repE0EEENS1_30default_config_static_selectorELNS0_4arch9wavefront6targetE1EEEvT1_,"axG",@progbits,_ZN7rocprim17ROCPRIM_400000_NS6detail17trampoline_kernelINS0_14default_configENS1_20scan_config_selectorIfEEZZNS1_9scan_implILNS1_25lookback_scan_determinismE0ELb1ELb1ES3_N6thrust23THRUST_200600_302600_NS6detail15normal_iteratorINS9_10device_ptrIfEEEENS9_16discard_iteratorINS9_11use_defaultEEEf11max_functorIfEfEEDaPvRmT3_T4_T5_mT6_P12ihipStream_tbENKUlT_T0_E_clISt17integral_constantIbLb1EESX_EEDaSS_ST_EUlSS_E_NS1_11comp_targetILNS1_3genE9ELNS1_11target_archE1100ELNS1_3gpuE3ELNS1_3repE0EEENS1_30default_config_static_selectorELNS0_4arch9wavefront6targetE1EEEvT1_,comdat
.Lfunc_end3231:
	.size	_ZN7rocprim17ROCPRIM_400000_NS6detail17trampoline_kernelINS0_14default_configENS1_20scan_config_selectorIfEEZZNS1_9scan_implILNS1_25lookback_scan_determinismE0ELb1ELb1ES3_N6thrust23THRUST_200600_302600_NS6detail15normal_iteratorINS9_10device_ptrIfEEEENS9_16discard_iteratorINS9_11use_defaultEEEf11max_functorIfEfEEDaPvRmT3_T4_T5_mT6_P12ihipStream_tbENKUlT_T0_E_clISt17integral_constantIbLb1EESX_EEDaSS_ST_EUlSS_E_NS1_11comp_targetILNS1_3genE9ELNS1_11target_archE1100ELNS1_3gpuE3ELNS1_3repE0EEENS1_30default_config_static_selectorELNS0_4arch9wavefront6targetE1EEEvT1_, .Lfunc_end3231-_ZN7rocprim17ROCPRIM_400000_NS6detail17trampoline_kernelINS0_14default_configENS1_20scan_config_selectorIfEEZZNS1_9scan_implILNS1_25lookback_scan_determinismE0ELb1ELb1ES3_N6thrust23THRUST_200600_302600_NS6detail15normal_iteratorINS9_10device_ptrIfEEEENS9_16discard_iteratorINS9_11use_defaultEEEf11max_functorIfEfEEDaPvRmT3_T4_T5_mT6_P12ihipStream_tbENKUlT_T0_E_clISt17integral_constantIbLb1EESX_EEDaSS_ST_EUlSS_E_NS1_11comp_targetILNS1_3genE9ELNS1_11target_archE1100ELNS1_3gpuE3ELNS1_3repE0EEENS1_30default_config_static_selectorELNS0_4arch9wavefront6targetE1EEEvT1_
                                        ; -- End function
	.section	.AMDGPU.csdata,"",@progbits
; Kernel info:
; codeLenInByte = 0
; NumSgprs: 4
; NumVgprs: 0
; NumAgprs: 0
; TotalNumVgprs: 0
; ScratchSize: 0
; MemoryBound: 0
; FloatMode: 240
; IeeeMode: 1
; LDSByteSize: 0 bytes/workgroup (compile time only)
; SGPRBlocks: 0
; VGPRBlocks: 0
; NumSGPRsForWavesPerEU: 4
; NumVGPRsForWavesPerEU: 1
; AccumOffset: 4
; Occupancy: 8
; WaveLimiterHint : 0
; COMPUTE_PGM_RSRC2:SCRATCH_EN: 0
; COMPUTE_PGM_RSRC2:USER_SGPR: 6
; COMPUTE_PGM_RSRC2:TRAP_HANDLER: 0
; COMPUTE_PGM_RSRC2:TGID_X_EN: 1
; COMPUTE_PGM_RSRC2:TGID_Y_EN: 0
; COMPUTE_PGM_RSRC2:TGID_Z_EN: 0
; COMPUTE_PGM_RSRC2:TIDIG_COMP_CNT: 0
; COMPUTE_PGM_RSRC3_GFX90A:ACCUM_OFFSET: 0
; COMPUTE_PGM_RSRC3_GFX90A:TG_SPLIT: 0
	.section	.text._ZN7rocprim17ROCPRIM_400000_NS6detail17trampoline_kernelINS0_14default_configENS1_20scan_config_selectorIfEEZZNS1_9scan_implILNS1_25lookback_scan_determinismE0ELb1ELb1ES3_N6thrust23THRUST_200600_302600_NS6detail15normal_iteratorINS9_10device_ptrIfEEEENS9_16discard_iteratorINS9_11use_defaultEEEf11max_functorIfEfEEDaPvRmT3_T4_T5_mT6_P12ihipStream_tbENKUlT_T0_E_clISt17integral_constantIbLb1EESX_EEDaSS_ST_EUlSS_E_NS1_11comp_targetILNS1_3genE8ELNS1_11target_archE1030ELNS1_3gpuE2ELNS1_3repE0EEENS1_30default_config_static_selectorELNS0_4arch9wavefront6targetE1EEEvT1_,"axG",@progbits,_ZN7rocprim17ROCPRIM_400000_NS6detail17trampoline_kernelINS0_14default_configENS1_20scan_config_selectorIfEEZZNS1_9scan_implILNS1_25lookback_scan_determinismE0ELb1ELb1ES3_N6thrust23THRUST_200600_302600_NS6detail15normal_iteratorINS9_10device_ptrIfEEEENS9_16discard_iteratorINS9_11use_defaultEEEf11max_functorIfEfEEDaPvRmT3_T4_T5_mT6_P12ihipStream_tbENKUlT_T0_E_clISt17integral_constantIbLb1EESX_EEDaSS_ST_EUlSS_E_NS1_11comp_targetILNS1_3genE8ELNS1_11target_archE1030ELNS1_3gpuE2ELNS1_3repE0EEENS1_30default_config_static_selectorELNS0_4arch9wavefront6targetE1EEEvT1_,comdat
	.protected	_ZN7rocprim17ROCPRIM_400000_NS6detail17trampoline_kernelINS0_14default_configENS1_20scan_config_selectorIfEEZZNS1_9scan_implILNS1_25lookback_scan_determinismE0ELb1ELb1ES3_N6thrust23THRUST_200600_302600_NS6detail15normal_iteratorINS9_10device_ptrIfEEEENS9_16discard_iteratorINS9_11use_defaultEEEf11max_functorIfEfEEDaPvRmT3_T4_T5_mT6_P12ihipStream_tbENKUlT_T0_E_clISt17integral_constantIbLb1EESX_EEDaSS_ST_EUlSS_E_NS1_11comp_targetILNS1_3genE8ELNS1_11target_archE1030ELNS1_3gpuE2ELNS1_3repE0EEENS1_30default_config_static_selectorELNS0_4arch9wavefront6targetE1EEEvT1_ ; -- Begin function _ZN7rocprim17ROCPRIM_400000_NS6detail17trampoline_kernelINS0_14default_configENS1_20scan_config_selectorIfEEZZNS1_9scan_implILNS1_25lookback_scan_determinismE0ELb1ELb1ES3_N6thrust23THRUST_200600_302600_NS6detail15normal_iteratorINS9_10device_ptrIfEEEENS9_16discard_iteratorINS9_11use_defaultEEEf11max_functorIfEfEEDaPvRmT3_T4_T5_mT6_P12ihipStream_tbENKUlT_T0_E_clISt17integral_constantIbLb1EESX_EEDaSS_ST_EUlSS_E_NS1_11comp_targetILNS1_3genE8ELNS1_11target_archE1030ELNS1_3gpuE2ELNS1_3repE0EEENS1_30default_config_static_selectorELNS0_4arch9wavefront6targetE1EEEvT1_
	.globl	_ZN7rocprim17ROCPRIM_400000_NS6detail17trampoline_kernelINS0_14default_configENS1_20scan_config_selectorIfEEZZNS1_9scan_implILNS1_25lookback_scan_determinismE0ELb1ELb1ES3_N6thrust23THRUST_200600_302600_NS6detail15normal_iteratorINS9_10device_ptrIfEEEENS9_16discard_iteratorINS9_11use_defaultEEEf11max_functorIfEfEEDaPvRmT3_T4_T5_mT6_P12ihipStream_tbENKUlT_T0_E_clISt17integral_constantIbLb1EESX_EEDaSS_ST_EUlSS_E_NS1_11comp_targetILNS1_3genE8ELNS1_11target_archE1030ELNS1_3gpuE2ELNS1_3repE0EEENS1_30default_config_static_selectorELNS0_4arch9wavefront6targetE1EEEvT1_
	.p2align	8
	.type	_ZN7rocprim17ROCPRIM_400000_NS6detail17trampoline_kernelINS0_14default_configENS1_20scan_config_selectorIfEEZZNS1_9scan_implILNS1_25lookback_scan_determinismE0ELb1ELb1ES3_N6thrust23THRUST_200600_302600_NS6detail15normal_iteratorINS9_10device_ptrIfEEEENS9_16discard_iteratorINS9_11use_defaultEEEf11max_functorIfEfEEDaPvRmT3_T4_T5_mT6_P12ihipStream_tbENKUlT_T0_E_clISt17integral_constantIbLb1EESX_EEDaSS_ST_EUlSS_E_NS1_11comp_targetILNS1_3genE8ELNS1_11target_archE1030ELNS1_3gpuE2ELNS1_3repE0EEENS1_30default_config_static_selectorELNS0_4arch9wavefront6targetE1EEEvT1_,@function
_ZN7rocprim17ROCPRIM_400000_NS6detail17trampoline_kernelINS0_14default_configENS1_20scan_config_selectorIfEEZZNS1_9scan_implILNS1_25lookback_scan_determinismE0ELb1ELb1ES3_N6thrust23THRUST_200600_302600_NS6detail15normal_iteratorINS9_10device_ptrIfEEEENS9_16discard_iteratorINS9_11use_defaultEEEf11max_functorIfEfEEDaPvRmT3_T4_T5_mT6_P12ihipStream_tbENKUlT_T0_E_clISt17integral_constantIbLb1EESX_EEDaSS_ST_EUlSS_E_NS1_11comp_targetILNS1_3genE8ELNS1_11target_archE1030ELNS1_3gpuE2ELNS1_3repE0EEENS1_30default_config_static_selectorELNS0_4arch9wavefront6targetE1EEEvT1_: ; @_ZN7rocprim17ROCPRIM_400000_NS6detail17trampoline_kernelINS0_14default_configENS1_20scan_config_selectorIfEEZZNS1_9scan_implILNS1_25lookback_scan_determinismE0ELb1ELb1ES3_N6thrust23THRUST_200600_302600_NS6detail15normal_iteratorINS9_10device_ptrIfEEEENS9_16discard_iteratorINS9_11use_defaultEEEf11max_functorIfEfEEDaPvRmT3_T4_T5_mT6_P12ihipStream_tbENKUlT_T0_E_clISt17integral_constantIbLb1EESX_EEDaSS_ST_EUlSS_E_NS1_11comp_targetILNS1_3genE8ELNS1_11target_archE1030ELNS1_3gpuE2ELNS1_3repE0EEENS1_30default_config_static_selectorELNS0_4arch9wavefront6targetE1EEEvT1_
; %bb.0:
	.section	.rodata,"a",@progbits
	.p2align	6, 0x0
	.amdhsa_kernel _ZN7rocprim17ROCPRIM_400000_NS6detail17trampoline_kernelINS0_14default_configENS1_20scan_config_selectorIfEEZZNS1_9scan_implILNS1_25lookback_scan_determinismE0ELb1ELb1ES3_N6thrust23THRUST_200600_302600_NS6detail15normal_iteratorINS9_10device_ptrIfEEEENS9_16discard_iteratorINS9_11use_defaultEEEf11max_functorIfEfEEDaPvRmT3_T4_T5_mT6_P12ihipStream_tbENKUlT_T0_E_clISt17integral_constantIbLb1EESX_EEDaSS_ST_EUlSS_E_NS1_11comp_targetILNS1_3genE8ELNS1_11target_archE1030ELNS1_3gpuE2ELNS1_3repE0EEENS1_30default_config_static_selectorELNS0_4arch9wavefront6targetE1EEEvT1_
		.amdhsa_group_segment_fixed_size 0
		.amdhsa_private_segment_fixed_size 0
		.amdhsa_kernarg_size 104
		.amdhsa_user_sgpr_count 6
		.amdhsa_user_sgpr_private_segment_buffer 1
		.amdhsa_user_sgpr_dispatch_ptr 0
		.amdhsa_user_sgpr_queue_ptr 0
		.amdhsa_user_sgpr_kernarg_segment_ptr 1
		.amdhsa_user_sgpr_dispatch_id 0
		.amdhsa_user_sgpr_flat_scratch_init 0
		.amdhsa_user_sgpr_kernarg_preload_length 0
		.amdhsa_user_sgpr_kernarg_preload_offset 0
		.amdhsa_user_sgpr_private_segment_size 0
		.amdhsa_uses_dynamic_stack 0
		.amdhsa_system_sgpr_private_segment_wavefront_offset 0
		.amdhsa_system_sgpr_workgroup_id_x 1
		.amdhsa_system_sgpr_workgroup_id_y 0
		.amdhsa_system_sgpr_workgroup_id_z 0
		.amdhsa_system_sgpr_workgroup_info 0
		.amdhsa_system_vgpr_workitem_id 0
		.amdhsa_next_free_vgpr 1
		.amdhsa_next_free_sgpr 0
		.amdhsa_accum_offset 4
		.amdhsa_reserve_vcc 0
		.amdhsa_reserve_flat_scratch 0
		.amdhsa_float_round_mode_32 0
		.amdhsa_float_round_mode_16_64 0
		.amdhsa_float_denorm_mode_32 3
		.amdhsa_float_denorm_mode_16_64 3
		.amdhsa_dx10_clamp 1
		.amdhsa_ieee_mode 1
		.amdhsa_fp16_overflow 0
		.amdhsa_tg_split 0
		.amdhsa_exception_fp_ieee_invalid_op 0
		.amdhsa_exception_fp_denorm_src 0
		.amdhsa_exception_fp_ieee_div_zero 0
		.amdhsa_exception_fp_ieee_overflow 0
		.amdhsa_exception_fp_ieee_underflow 0
		.amdhsa_exception_fp_ieee_inexact 0
		.amdhsa_exception_int_div_zero 0
	.end_amdhsa_kernel
	.section	.text._ZN7rocprim17ROCPRIM_400000_NS6detail17trampoline_kernelINS0_14default_configENS1_20scan_config_selectorIfEEZZNS1_9scan_implILNS1_25lookback_scan_determinismE0ELb1ELb1ES3_N6thrust23THRUST_200600_302600_NS6detail15normal_iteratorINS9_10device_ptrIfEEEENS9_16discard_iteratorINS9_11use_defaultEEEf11max_functorIfEfEEDaPvRmT3_T4_T5_mT6_P12ihipStream_tbENKUlT_T0_E_clISt17integral_constantIbLb1EESX_EEDaSS_ST_EUlSS_E_NS1_11comp_targetILNS1_3genE8ELNS1_11target_archE1030ELNS1_3gpuE2ELNS1_3repE0EEENS1_30default_config_static_selectorELNS0_4arch9wavefront6targetE1EEEvT1_,"axG",@progbits,_ZN7rocprim17ROCPRIM_400000_NS6detail17trampoline_kernelINS0_14default_configENS1_20scan_config_selectorIfEEZZNS1_9scan_implILNS1_25lookback_scan_determinismE0ELb1ELb1ES3_N6thrust23THRUST_200600_302600_NS6detail15normal_iteratorINS9_10device_ptrIfEEEENS9_16discard_iteratorINS9_11use_defaultEEEf11max_functorIfEfEEDaPvRmT3_T4_T5_mT6_P12ihipStream_tbENKUlT_T0_E_clISt17integral_constantIbLb1EESX_EEDaSS_ST_EUlSS_E_NS1_11comp_targetILNS1_3genE8ELNS1_11target_archE1030ELNS1_3gpuE2ELNS1_3repE0EEENS1_30default_config_static_selectorELNS0_4arch9wavefront6targetE1EEEvT1_,comdat
.Lfunc_end3232:
	.size	_ZN7rocprim17ROCPRIM_400000_NS6detail17trampoline_kernelINS0_14default_configENS1_20scan_config_selectorIfEEZZNS1_9scan_implILNS1_25lookback_scan_determinismE0ELb1ELb1ES3_N6thrust23THRUST_200600_302600_NS6detail15normal_iteratorINS9_10device_ptrIfEEEENS9_16discard_iteratorINS9_11use_defaultEEEf11max_functorIfEfEEDaPvRmT3_T4_T5_mT6_P12ihipStream_tbENKUlT_T0_E_clISt17integral_constantIbLb1EESX_EEDaSS_ST_EUlSS_E_NS1_11comp_targetILNS1_3genE8ELNS1_11target_archE1030ELNS1_3gpuE2ELNS1_3repE0EEENS1_30default_config_static_selectorELNS0_4arch9wavefront6targetE1EEEvT1_, .Lfunc_end3232-_ZN7rocprim17ROCPRIM_400000_NS6detail17trampoline_kernelINS0_14default_configENS1_20scan_config_selectorIfEEZZNS1_9scan_implILNS1_25lookback_scan_determinismE0ELb1ELb1ES3_N6thrust23THRUST_200600_302600_NS6detail15normal_iteratorINS9_10device_ptrIfEEEENS9_16discard_iteratorINS9_11use_defaultEEEf11max_functorIfEfEEDaPvRmT3_T4_T5_mT6_P12ihipStream_tbENKUlT_T0_E_clISt17integral_constantIbLb1EESX_EEDaSS_ST_EUlSS_E_NS1_11comp_targetILNS1_3genE8ELNS1_11target_archE1030ELNS1_3gpuE2ELNS1_3repE0EEENS1_30default_config_static_selectorELNS0_4arch9wavefront6targetE1EEEvT1_
                                        ; -- End function
	.section	.AMDGPU.csdata,"",@progbits
; Kernel info:
; codeLenInByte = 0
; NumSgprs: 4
; NumVgprs: 0
; NumAgprs: 0
; TotalNumVgprs: 0
; ScratchSize: 0
; MemoryBound: 0
; FloatMode: 240
; IeeeMode: 1
; LDSByteSize: 0 bytes/workgroup (compile time only)
; SGPRBlocks: 0
; VGPRBlocks: 0
; NumSGPRsForWavesPerEU: 4
; NumVGPRsForWavesPerEU: 1
; AccumOffset: 4
; Occupancy: 8
; WaveLimiterHint : 0
; COMPUTE_PGM_RSRC2:SCRATCH_EN: 0
; COMPUTE_PGM_RSRC2:USER_SGPR: 6
; COMPUTE_PGM_RSRC2:TRAP_HANDLER: 0
; COMPUTE_PGM_RSRC2:TGID_X_EN: 1
; COMPUTE_PGM_RSRC2:TGID_Y_EN: 0
; COMPUTE_PGM_RSRC2:TGID_Z_EN: 0
; COMPUTE_PGM_RSRC2:TIDIG_COMP_CNT: 0
; COMPUTE_PGM_RSRC3_GFX90A:ACCUM_OFFSET: 0
; COMPUTE_PGM_RSRC3_GFX90A:TG_SPLIT: 0
	.section	.text._ZN7rocprim17ROCPRIM_400000_NS6detail17trampoline_kernelINS0_14default_configENS1_20scan_config_selectorIfEEZZNS1_9scan_implILNS1_25lookback_scan_determinismE0ELb1ELb1ES3_N6thrust23THRUST_200600_302600_NS6detail15normal_iteratorINS9_10device_ptrIfEEEENS9_16discard_iteratorINS9_11use_defaultEEEf11max_functorIfEfEEDaPvRmT3_T4_T5_mT6_P12ihipStream_tbENKUlT_T0_E_clISt17integral_constantIbLb1EESX_EEDaSS_ST_EUlSS_E0_NS1_11comp_targetILNS1_3genE0ELNS1_11target_archE4294967295ELNS1_3gpuE0ELNS1_3repE0EEENS1_30default_config_static_selectorELNS0_4arch9wavefront6targetE1EEEvT1_,"axG",@progbits,_ZN7rocprim17ROCPRIM_400000_NS6detail17trampoline_kernelINS0_14default_configENS1_20scan_config_selectorIfEEZZNS1_9scan_implILNS1_25lookback_scan_determinismE0ELb1ELb1ES3_N6thrust23THRUST_200600_302600_NS6detail15normal_iteratorINS9_10device_ptrIfEEEENS9_16discard_iteratorINS9_11use_defaultEEEf11max_functorIfEfEEDaPvRmT3_T4_T5_mT6_P12ihipStream_tbENKUlT_T0_E_clISt17integral_constantIbLb1EESX_EEDaSS_ST_EUlSS_E0_NS1_11comp_targetILNS1_3genE0ELNS1_11target_archE4294967295ELNS1_3gpuE0ELNS1_3repE0EEENS1_30default_config_static_selectorELNS0_4arch9wavefront6targetE1EEEvT1_,comdat
	.protected	_ZN7rocprim17ROCPRIM_400000_NS6detail17trampoline_kernelINS0_14default_configENS1_20scan_config_selectorIfEEZZNS1_9scan_implILNS1_25lookback_scan_determinismE0ELb1ELb1ES3_N6thrust23THRUST_200600_302600_NS6detail15normal_iteratorINS9_10device_ptrIfEEEENS9_16discard_iteratorINS9_11use_defaultEEEf11max_functorIfEfEEDaPvRmT3_T4_T5_mT6_P12ihipStream_tbENKUlT_T0_E_clISt17integral_constantIbLb1EESX_EEDaSS_ST_EUlSS_E0_NS1_11comp_targetILNS1_3genE0ELNS1_11target_archE4294967295ELNS1_3gpuE0ELNS1_3repE0EEENS1_30default_config_static_selectorELNS0_4arch9wavefront6targetE1EEEvT1_ ; -- Begin function _ZN7rocprim17ROCPRIM_400000_NS6detail17trampoline_kernelINS0_14default_configENS1_20scan_config_selectorIfEEZZNS1_9scan_implILNS1_25lookback_scan_determinismE0ELb1ELb1ES3_N6thrust23THRUST_200600_302600_NS6detail15normal_iteratorINS9_10device_ptrIfEEEENS9_16discard_iteratorINS9_11use_defaultEEEf11max_functorIfEfEEDaPvRmT3_T4_T5_mT6_P12ihipStream_tbENKUlT_T0_E_clISt17integral_constantIbLb1EESX_EEDaSS_ST_EUlSS_E0_NS1_11comp_targetILNS1_3genE0ELNS1_11target_archE4294967295ELNS1_3gpuE0ELNS1_3repE0EEENS1_30default_config_static_selectorELNS0_4arch9wavefront6targetE1EEEvT1_
	.globl	_ZN7rocprim17ROCPRIM_400000_NS6detail17trampoline_kernelINS0_14default_configENS1_20scan_config_selectorIfEEZZNS1_9scan_implILNS1_25lookback_scan_determinismE0ELb1ELb1ES3_N6thrust23THRUST_200600_302600_NS6detail15normal_iteratorINS9_10device_ptrIfEEEENS9_16discard_iteratorINS9_11use_defaultEEEf11max_functorIfEfEEDaPvRmT3_T4_T5_mT6_P12ihipStream_tbENKUlT_T0_E_clISt17integral_constantIbLb1EESX_EEDaSS_ST_EUlSS_E0_NS1_11comp_targetILNS1_3genE0ELNS1_11target_archE4294967295ELNS1_3gpuE0ELNS1_3repE0EEENS1_30default_config_static_selectorELNS0_4arch9wavefront6targetE1EEEvT1_
	.p2align	8
	.type	_ZN7rocprim17ROCPRIM_400000_NS6detail17trampoline_kernelINS0_14default_configENS1_20scan_config_selectorIfEEZZNS1_9scan_implILNS1_25lookback_scan_determinismE0ELb1ELb1ES3_N6thrust23THRUST_200600_302600_NS6detail15normal_iteratorINS9_10device_ptrIfEEEENS9_16discard_iteratorINS9_11use_defaultEEEf11max_functorIfEfEEDaPvRmT3_T4_T5_mT6_P12ihipStream_tbENKUlT_T0_E_clISt17integral_constantIbLb1EESX_EEDaSS_ST_EUlSS_E0_NS1_11comp_targetILNS1_3genE0ELNS1_11target_archE4294967295ELNS1_3gpuE0ELNS1_3repE0EEENS1_30default_config_static_selectorELNS0_4arch9wavefront6targetE1EEEvT1_,@function
_ZN7rocprim17ROCPRIM_400000_NS6detail17trampoline_kernelINS0_14default_configENS1_20scan_config_selectorIfEEZZNS1_9scan_implILNS1_25lookback_scan_determinismE0ELb1ELb1ES3_N6thrust23THRUST_200600_302600_NS6detail15normal_iteratorINS9_10device_ptrIfEEEENS9_16discard_iteratorINS9_11use_defaultEEEf11max_functorIfEfEEDaPvRmT3_T4_T5_mT6_P12ihipStream_tbENKUlT_T0_E_clISt17integral_constantIbLb1EESX_EEDaSS_ST_EUlSS_E0_NS1_11comp_targetILNS1_3genE0ELNS1_11target_archE4294967295ELNS1_3gpuE0ELNS1_3repE0EEENS1_30default_config_static_selectorELNS0_4arch9wavefront6targetE1EEEvT1_: ; @_ZN7rocprim17ROCPRIM_400000_NS6detail17trampoline_kernelINS0_14default_configENS1_20scan_config_selectorIfEEZZNS1_9scan_implILNS1_25lookback_scan_determinismE0ELb1ELb1ES3_N6thrust23THRUST_200600_302600_NS6detail15normal_iteratorINS9_10device_ptrIfEEEENS9_16discard_iteratorINS9_11use_defaultEEEf11max_functorIfEfEEDaPvRmT3_T4_T5_mT6_P12ihipStream_tbENKUlT_T0_E_clISt17integral_constantIbLb1EESX_EEDaSS_ST_EUlSS_E0_NS1_11comp_targetILNS1_3genE0ELNS1_11target_archE4294967295ELNS1_3gpuE0ELNS1_3repE0EEENS1_30default_config_static_selectorELNS0_4arch9wavefront6targetE1EEEvT1_
; %bb.0:
	.section	.rodata,"a",@progbits
	.p2align	6, 0x0
	.amdhsa_kernel _ZN7rocprim17ROCPRIM_400000_NS6detail17trampoline_kernelINS0_14default_configENS1_20scan_config_selectorIfEEZZNS1_9scan_implILNS1_25lookback_scan_determinismE0ELb1ELb1ES3_N6thrust23THRUST_200600_302600_NS6detail15normal_iteratorINS9_10device_ptrIfEEEENS9_16discard_iteratorINS9_11use_defaultEEEf11max_functorIfEfEEDaPvRmT3_T4_T5_mT6_P12ihipStream_tbENKUlT_T0_E_clISt17integral_constantIbLb1EESX_EEDaSS_ST_EUlSS_E0_NS1_11comp_targetILNS1_3genE0ELNS1_11target_archE4294967295ELNS1_3gpuE0ELNS1_3repE0EEENS1_30default_config_static_selectorELNS0_4arch9wavefront6targetE1EEEvT1_
		.amdhsa_group_segment_fixed_size 0
		.amdhsa_private_segment_fixed_size 0
		.amdhsa_kernarg_size 40
		.amdhsa_user_sgpr_count 6
		.amdhsa_user_sgpr_private_segment_buffer 1
		.amdhsa_user_sgpr_dispatch_ptr 0
		.amdhsa_user_sgpr_queue_ptr 0
		.amdhsa_user_sgpr_kernarg_segment_ptr 1
		.amdhsa_user_sgpr_dispatch_id 0
		.amdhsa_user_sgpr_flat_scratch_init 0
		.amdhsa_user_sgpr_kernarg_preload_length 0
		.amdhsa_user_sgpr_kernarg_preload_offset 0
		.amdhsa_user_sgpr_private_segment_size 0
		.amdhsa_uses_dynamic_stack 0
		.amdhsa_system_sgpr_private_segment_wavefront_offset 0
		.amdhsa_system_sgpr_workgroup_id_x 1
		.amdhsa_system_sgpr_workgroup_id_y 0
		.amdhsa_system_sgpr_workgroup_id_z 0
		.amdhsa_system_sgpr_workgroup_info 0
		.amdhsa_system_vgpr_workitem_id 0
		.amdhsa_next_free_vgpr 1
		.amdhsa_next_free_sgpr 0
		.amdhsa_accum_offset 4
		.amdhsa_reserve_vcc 0
		.amdhsa_reserve_flat_scratch 0
		.amdhsa_float_round_mode_32 0
		.amdhsa_float_round_mode_16_64 0
		.amdhsa_float_denorm_mode_32 3
		.amdhsa_float_denorm_mode_16_64 3
		.amdhsa_dx10_clamp 1
		.amdhsa_ieee_mode 1
		.amdhsa_fp16_overflow 0
		.amdhsa_tg_split 0
		.amdhsa_exception_fp_ieee_invalid_op 0
		.amdhsa_exception_fp_denorm_src 0
		.amdhsa_exception_fp_ieee_div_zero 0
		.amdhsa_exception_fp_ieee_overflow 0
		.amdhsa_exception_fp_ieee_underflow 0
		.amdhsa_exception_fp_ieee_inexact 0
		.amdhsa_exception_int_div_zero 0
	.end_amdhsa_kernel
	.section	.text._ZN7rocprim17ROCPRIM_400000_NS6detail17trampoline_kernelINS0_14default_configENS1_20scan_config_selectorIfEEZZNS1_9scan_implILNS1_25lookback_scan_determinismE0ELb1ELb1ES3_N6thrust23THRUST_200600_302600_NS6detail15normal_iteratorINS9_10device_ptrIfEEEENS9_16discard_iteratorINS9_11use_defaultEEEf11max_functorIfEfEEDaPvRmT3_T4_T5_mT6_P12ihipStream_tbENKUlT_T0_E_clISt17integral_constantIbLb1EESX_EEDaSS_ST_EUlSS_E0_NS1_11comp_targetILNS1_3genE0ELNS1_11target_archE4294967295ELNS1_3gpuE0ELNS1_3repE0EEENS1_30default_config_static_selectorELNS0_4arch9wavefront6targetE1EEEvT1_,"axG",@progbits,_ZN7rocprim17ROCPRIM_400000_NS6detail17trampoline_kernelINS0_14default_configENS1_20scan_config_selectorIfEEZZNS1_9scan_implILNS1_25lookback_scan_determinismE0ELb1ELb1ES3_N6thrust23THRUST_200600_302600_NS6detail15normal_iteratorINS9_10device_ptrIfEEEENS9_16discard_iteratorINS9_11use_defaultEEEf11max_functorIfEfEEDaPvRmT3_T4_T5_mT6_P12ihipStream_tbENKUlT_T0_E_clISt17integral_constantIbLb1EESX_EEDaSS_ST_EUlSS_E0_NS1_11comp_targetILNS1_3genE0ELNS1_11target_archE4294967295ELNS1_3gpuE0ELNS1_3repE0EEENS1_30default_config_static_selectorELNS0_4arch9wavefront6targetE1EEEvT1_,comdat
.Lfunc_end3233:
	.size	_ZN7rocprim17ROCPRIM_400000_NS6detail17trampoline_kernelINS0_14default_configENS1_20scan_config_selectorIfEEZZNS1_9scan_implILNS1_25lookback_scan_determinismE0ELb1ELb1ES3_N6thrust23THRUST_200600_302600_NS6detail15normal_iteratorINS9_10device_ptrIfEEEENS9_16discard_iteratorINS9_11use_defaultEEEf11max_functorIfEfEEDaPvRmT3_T4_T5_mT6_P12ihipStream_tbENKUlT_T0_E_clISt17integral_constantIbLb1EESX_EEDaSS_ST_EUlSS_E0_NS1_11comp_targetILNS1_3genE0ELNS1_11target_archE4294967295ELNS1_3gpuE0ELNS1_3repE0EEENS1_30default_config_static_selectorELNS0_4arch9wavefront6targetE1EEEvT1_, .Lfunc_end3233-_ZN7rocprim17ROCPRIM_400000_NS6detail17trampoline_kernelINS0_14default_configENS1_20scan_config_selectorIfEEZZNS1_9scan_implILNS1_25lookback_scan_determinismE0ELb1ELb1ES3_N6thrust23THRUST_200600_302600_NS6detail15normal_iteratorINS9_10device_ptrIfEEEENS9_16discard_iteratorINS9_11use_defaultEEEf11max_functorIfEfEEDaPvRmT3_T4_T5_mT6_P12ihipStream_tbENKUlT_T0_E_clISt17integral_constantIbLb1EESX_EEDaSS_ST_EUlSS_E0_NS1_11comp_targetILNS1_3genE0ELNS1_11target_archE4294967295ELNS1_3gpuE0ELNS1_3repE0EEENS1_30default_config_static_selectorELNS0_4arch9wavefront6targetE1EEEvT1_
                                        ; -- End function
	.section	.AMDGPU.csdata,"",@progbits
; Kernel info:
; codeLenInByte = 0
; NumSgprs: 4
; NumVgprs: 0
; NumAgprs: 0
; TotalNumVgprs: 0
; ScratchSize: 0
; MemoryBound: 0
; FloatMode: 240
; IeeeMode: 1
; LDSByteSize: 0 bytes/workgroup (compile time only)
; SGPRBlocks: 0
; VGPRBlocks: 0
; NumSGPRsForWavesPerEU: 4
; NumVGPRsForWavesPerEU: 1
; AccumOffset: 4
; Occupancy: 8
; WaveLimiterHint : 0
; COMPUTE_PGM_RSRC2:SCRATCH_EN: 0
; COMPUTE_PGM_RSRC2:USER_SGPR: 6
; COMPUTE_PGM_RSRC2:TRAP_HANDLER: 0
; COMPUTE_PGM_RSRC2:TGID_X_EN: 1
; COMPUTE_PGM_RSRC2:TGID_Y_EN: 0
; COMPUTE_PGM_RSRC2:TGID_Z_EN: 0
; COMPUTE_PGM_RSRC2:TIDIG_COMP_CNT: 0
; COMPUTE_PGM_RSRC3_GFX90A:ACCUM_OFFSET: 0
; COMPUTE_PGM_RSRC3_GFX90A:TG_SPLIT: 0
	.section	.text._ZN7rocprim17ROCPRIM_400000_NS6detail17trampoline_kernelINS0_14default_configENS1_20scan_config_selectorIfEEZZNS1_9scan_implILNS1_25lookback_scan_determinismE0ELb1ELb1ES3_N6thrust23THRUST_200600_302600_NS6detail15normal_iteratorINS9_10device_ptrIfEEEENS9_16discard_iteratorINS9_11use_defaultEEEf11max_functorIfEfEEDaPvRmT3_T4_T5_mT6_P12ihipStream_tbENKUlT_T0_E_clISt17integral_constantIbLb1EESX_EEDaSS_ST_EUlSS_E0_NS1_11comp_targetILNS1_3genE5ELNS1_11target_archE942ELNS1_3gpuE9ELNS1_3repE0EEENS1_30default_config_static_selectorELNS0_4arch9wavefront6targetE1EEEvT1_,"axG",@progbits,_ZN7rocprim17ROCPRIM_400000_NS6detail17trampoline_kernelINS0_14default_configENS1_20scan_config_selectorIfEEZZNS1_9scan_implILNS1_25lookback_scan_determinismE0ELb1ELb1ES3_N6thrust23THRUST_200600_302600_NS6detail15normal_iteratorINS9_10device_ptrIfEEEENS9_16discard_iteratorINS9_11use_defaultEEEf11max_functorIfEfEEDaPvRmT3_T4_T5_mT6_P12ihipStream_tbENKUlT_T0_E_clISt17integral_constantIbLb1EESX_EEDaSS_ST_EUlSS_E0_NS1_11comp_targetILNS1_3genE5ELNS1_11target_archE942ELNS1_3gpuE9ELNS1_3repE0EEENS1_30default_config_static_selectorELNS0_4arch9wavefront6targetE1EEEvT1_,comdat
	.protected	_ZN7rocprim17ROCPRIM_400000_NS6detail17trampoline_kernelINS0_14default_configENS1_20scan_config_selectorIfEEZZNS1_9scan_implILNS1_25lookback_scan_determinismE0ELb1ELb1ES3_N6thrust23THRUST_200600_302600_NS6detail15normal_iteratorINS9_10device_ptrIfEEEENS9_16discard_iteratorINS9_11use_defaultEEEf11max_functorIfEfEEDaPvRmT3_T4_T5_mT6_P12ihipStream_tbENKUlT_T0_E_clISt17integral_constantIbLb1EESX_EEDaSS_ST_EUlSS_E0_NS1_11comp_targetILNS1_3genE5ELNS1_11target_archE942ELNS1_3gpuE9ELNS1_3repE0EEENS1_30default_config_static_selectorELNS0_4arch9wavefront6targetE1EEEvT1_ ; -- Begin function _ZN7rocprim17ROCPRIM_400000_NS6detail17trampoline_kernelINS0_14default_configENS1_20scan_config_selectorIfEEZZNS1_9scan_implILNS1_25lookback_scan_determinismE0ELb1ELb1ES3_N6thrust23THRUST_200600_302600_NS6detail15normal_iteratorINS9_10device_ptrIfEEEENS9_16discard_iteratorINS9_11use_defaultEEEf11max_functorIfEfEEDaPvRmT3_T4_T5_mT6_P12ihipStream_tbENKUlT_T0_E_clISt17integral_constantIbLb1EESX_EEDaSS_ST_EUlSS_E0_NS1_11comp_targetILNS1_3genE5ELNS1_11target_archE942ELNS1_3gpuE9ELNS1_3repE0EEENS1_30default_config_static_selectorELNS0_4arch9wavefront6targetE1EEEvT1_
	.globl	_ZN7rocprim17ROCPRIM_400000_NS6detail17trampoline_kernelINS0_14default_configENS1_20scan_config_selectorIfEEZZNS1_9scan_implILNS1_25lookback_scan_determinismE0ELb1ELb1ES3_N6thrust23THRUST_200600_302600_NS6detail15normal_iteratorINS9_10device_ptrIfEEEENS9_16discard_iteratorINS9_11use_defaultEEEf11max_functorIfEfEEDaPvRmT3_T4_T5_mT6_P12ihipStream_tbENKUlT_T0_E_clISt17integral_constantIbLb1EESX_EEDaSS_ST_EUlSS_E0_NS1_11comp_targetILNS1_3genE5ELNS1_11target_archE942ELNS1_3gpuE9ELNS1_3repE0EEENS1_30default_config_static_selectorELNS0_4arch9wavefront6targetE1EEEvT1_
	.p2align	8
	.type	_ZN7rocprim17ROCPRIM_400000_NS6detail17trampoline_kernelINS0_14default_configENS1_20scan_config_selectorIfEEZZNS1_9scan_implILNS1_25lookback_scan_determinismE0ELb1ELb1ES3_N6thrust23THRUST_200600_302600_NS6detail15normal_iteratorINS9_10device_ptrIfEEEENS9_16discard_iteratorINS9_11use_defaultEEEf11max_functorIfEfEEDaPvRmT3_T4_T5_mT6_P12ihipStream_tbENKUlT_T0_E_clISt17integral_constantIbLb1EESX_EEDaSS_ST_EUlSS_E0_NS1_11comp_targetILNS1_3genE5ELNS1_11target_archE942ELNS1_3gpuE9ELNS1_3repE0EEENS1_30default_config_static_selectorELNS0_4arch9wavefront6targetE1EEEvT1_,@function
_ZN7rocprim17ROCPRIM_400000_NS6detail17trampoline_kernelINS0_14default_configENS1_20scan_config_selectorIfEEZZNS1_9scan_implILNS1_25lookback_scan_determinismE0ELb1ELb1ES3_N6thrust23THRUST_200600_302600_NS6detail15normal_iteratorINS9_10device_ptrIfEEEENS9_16discard_iteratorINS9_11use_defaultEEEf11max_functorIfEfEEDaPvRmT3_T4_T5_mT6_P12ihipStream_tbENKUlT_T0_E_clISt17integral_constantIbLb1EESX_EEDaSS_ST_EUlSS_E0_NS1_11comp_targetILNS1_3genE5ELNS1_11target_archE942ELNS1_3gpuE9ELNS1_3repE0EEENS1_30default_config_static_selectorELNS0_4arch9wavefront6targetE1EEEvT1_: ; @_ZN7rocprim17ROCPRIM_400000_NS6detail17trampoline_kernelINS0_14default_configENS1_20scan_config_selectorIfEEZZNS1_9scan_implILNS1_25lookback_scan_determinismE0ELb1ELb1ES3_N6thrust23THRUST_200600_302600_NS6detail15normal_iteratorINS9_10device_ptrIfEEEENS9_16discard_iteratorINS9_11use_defaultEEEf11max_functorIfEfEEDaPvRmT3_T4_T5_mT6_P12ihipStream_tbENKUlT_T0_E_clISt17integral_constantIbLb1EESX_EEDaSS_ST_EUlSS_E0_NS1_11comp_targetILNS1_3genE5ELNS1_11target_archE942ELNS1_3gpuE9ELNS1_3repE0EEENS1_30default_config_static_selectorELNS0_4arch9wavefront6targetE1EEEvT1_
; %bb.0:
	.section	.rodata,"a",@progbits
	.p2align	6, 0x0
	.amdhsa_kernel _ZN7rocprim17ROCPRIM_400000_NS6detail17trampoline_kernelINS0_14default_configENS1_20scan_config_selectorIfEEZZNS1_9scan_implILNS1_25lookback_scan_determinismE0ELb1ELb1ES3_N6thrust23THRUST_200600_302600_NS6detail15normal_iteratorINS9_10device_ptrIfEEEENS9_16discard_iteratorINS9_11use_defaultEEEf11max_functorIfEfEEDaPvRmT3_T4_T5_mT6_P12ihipStream_tbENKUlT_T0_E_clISt17integral_constantIbLb1EESX_EEDaSS_ST_EUlSS_E0_NS1_11comp_targetILNS1_3genE5ELNS1_11target_archE942ELNS1_3gpuE9ELNS1_3repE0EEENS1_30default_config_static_selectorELNS0_4arch9wavefront6targetE1EEEvT1_
		.amdhsa_group_segment_fixed_size 0
		.amdhsa_private_segment_fixed_size 0
		.amdhsa_kernarg_size 40
		.amdhsa_user_sgpr_count 6
		.amdhsa_user_sgpr_private_segment_buffer 1
		.amdhsa_user_sgpr_dispatch_ptr 0
		.amdhsa_user_sgpr_queue_ptr 0
		.amdhsa_user_sgpr_kernarg_segment_ptr 1
		.amdhsa_user_sgpr_dispatch_id 0
		.amdhsa_user_sgpr_flat_scratch_init 0
		.amdhsa_user_sgpr_kernarg_preload_length 0
		.amdhsa_user_sgpr_kernarg_preload_offset 0
		.amdhsa_user_sgpr_private_segment_size 0
		.amdhsa_uses_dynamic_stack 0
		.amdhsa_system_sgpr_private_segment_wavefront_offset 0
		.amdhsa_system_sgpr_workgroup_id_x 1
		.amdhsa_system_sgpr_workgroup_id_y 0
		.amdhsa_system_sgpr_workgroup_id_z 0
		.amdhsa_system_sgpr_workgroup_info 0
		.amdhsa_system_vgpr_workitem_id 0
		.amdhsa_next_free_vgpr 1
		.amdhsa_next_free_sgpr 0
		.amdhsa_accum_offset 4
		.amdhsa_reserve_vcc 0
		.amdhsa_reserve_flat_scratch 0
		.amdhsa_float_round_mode_32 0
		.amdhsa_float_round_mode_16_64 0
		.amdhsa_float_denorm_mode_32 3
		.amdhsa_float_denorm_mode_16_64 3
		.amdhsa_dx10_clamp 1
		.amdhsa_ieee_mode 1
		.amdhsa_fp16_overflow 0
		.amdhsa_tg_split 0
		.amdhsa_exception_fp_ieee_invalid_op 0
		.amdhsa_exception_fp_denorm_src 0
		.amdhsa_exception_fp_ieee_div_zero 0
		.amdhsa_exception_fp_ieee_overflow 0
		.amdhsa_exception_fp_ieee_underflow 0
		.amdhsa_exception_fp_ieee_inexact 0
		.amdhsa_exception_int_div_zero 0
	.end_amdhsa_kernel
	.section	.text._ZN7rocprim17ROCPRIM_400000_NS6detail17trampoline_kernelINS0_14default_configENS1_20scan_config_selectorIfEEZZNS1_9scan_implILNS1_25lookback_scan_determinismE0ELb1ELb1ES3_N6thrust23THRUST_200600_302600_NS6detail15normal_iteratorINS9_10device_ptrIfEEEENS9_16discard_iteratorINS9_11use_defaultEEEf11max_functorIfEfEEDaPvRmT3_T4_T5_mT6_P12ihipStream_tbENKUlT_T0_E_clISt17integral_constantIbLb1EESX_EEDaSS_ST_EUlSS_E0_NS1_11comp_targetILNS1_3genE5ELNS1_11target_archE942ELNS1_3gpuE9ELNS1_3repE0EEENS1_30default_config_static_selectorELNS0_4arch9wavefront6targetE1EEEvT1_,"axG",@progbits,_ZN7rocprim17ROCPRIM_400000_NS6detail17trampoline_kernelINS0_14default_configENS1_20scan_config_selectorIfEEZZNS1_9scan_implILNS1_25lookback_scan_determinismE0ELb1ELb1ES3_N6thrust23THRUST_200600_302600_NS6detail15normal_iteratorINS9_10device_ptrIfEEEENS9_16discard_iteratorINS9_11use_defaultEEEf11max_functorIfEfEEDaPvRmT3_T4_T5_mT6_P12ihipStream_tbENKUlT_T0_E_clISt17integral_constantIbLb1EESX_EEDaSS_ST_EUlSS_E0_NS1_11comp_targetILNS1_3genE5ELNS1_11target_archE942ELNS1_3gpuE9ELNS1_3repE0EEENS1_30default_config_static_selectorELNS0_4arch9wavefront6targetE1EEEvT1_,comdat
.Lfunc_end3234:
	.size	_ZN7rocprim17ROCPRIM_400000_NS6detail17trampoline_kernelINS0_14default_configENS1_20scan_config_selectorIfEEZZNS1_9scan_implILNS1_25lookback_scan_determinismE0ELb1ELb1ES3_N6thrust23THRUST_200600_302600_NS6detail15normal_iteratorINS9_10device_ptrIfEEEENS9_16discard_iteratorINS9_11use_defaultEEEf11max_functorIfEfEEDaPvRmT3_T4_T5_mT6_P12ihipStream_tbENKUlT_T0_E_clISt17integral_constantIbLb1EESX_EEDaSS_ST_EUlSS_E0_NS1_11comp_targetILNS1_3genE5ELNS1_11target_archE942ELNS1_3gpuE9ELNS1_3repE0EEENS1_30default_config_static_selectorELNS0_4arch9wavefront6targetE1EEEvT1_, .Lfunc_end3234-_ZN7rocprim17ROCPRIM_400000_NS6detail17trampoline_kernelINS0_14default_configENS1_20scan_config_selectorIfEEZZNS1_9scan_implILNS1_25lookback_scan_determinismE0ELb1ELb1ES3_N6thrust23THRUST_200600_302600_NS6detail15normal_iteratorINS9_10device_ptrIfEEEENS9_16discard_iteratorINS9_11use_defaultEEEf11max_functorIfEfEEDaPvRmT3_T4_T5_mT6_P12ihipStream_tbENKUlT_T0_E_clISt17integral_constantIbLb1EESX_EEDaSS_ST_EUlSS_E0_NS1_11comp_targetILNS1_3genE5ELNS1_11target_archE942ELNS1_3gpuE9ELNS1_3repE0EEENS1_30default_config_static_selectorELNS0_4arch9wavefront6targetE1EEEvT1_
                                        ; -- End function
	.section	.AMDGPU.csdata,"",@progbits
; Kernel info:
; codeLenInByte = 0
; NumSgprs: 4
; NumVgprs: 0
; NumAgprs: 0
; TotalNumVgprs: 0
; ScratchSize: 0
; MemoryBound: 0
; FloatMode: 240
; IeeeMode: 1
; LDSByteSize: 0 bytes/workgroup (compile time only)
; SGPRBlocks: 0
; VGPRBlocks: 0
; NumSGPRsForWavesPerEU: 4
; NumVGPRsForWavesPerEU: 1
; AccumOffset: 4
; Occupancy: 8
; WaveLimiterHint : 0
; COMPUTE_PGM_RSRC2:SCRATCH_EN: 0
; COMPUTE_PGM_RSRC2:USER_SGPR: 6
; COMPUTE_PGM_RSRC2:TRAP_HANDLER: 0
; COMPUTE_PGM_RSRC2:TGID_X_EN: 1
; COMPUTE_PGM_RSRC2:TGID_Y_EN: 0
; COMPUTE_PGM_RSRC2:TGID_Z_EN: 0
; COMPUTE_PGM_RSRC2:TIDIG_COMP_CNT: 0
; COMPUTE_PGM_RSRC3_GFX90A:ACCUM_OFFSET: 0
; COMPUTE_PGM_RSRC3_GFX90A:TG_SPLIT: 0
	.section	.text._ZN7rocprim17ROCPRIM_400000_NS6detail17trampoline_kernelINS0_14default_configENS1_20scan_config_selectorIfEEZZNS1_9scan_implILNS1_25lookback_scan_determinismE0ELb1ELb1ES3_N6thrust23THRUST_200600_302600_NS6detail15normal_iteratorINS9_10device_ptrIfEEEENS9_16discard_iteratorINS9_11use_defaultEEEf11max_functorIfEfEEDaPvRmT3_T4_T5_mT6_P12ihipStream_tbENKUlT_T0_E_clISt17integral_constantIbLb1EESX_EEDaSS_ST_EUlSS_E0_NS1_11comp_targetILNS1_3genE4ELNS1_11target_archE910ELNS1_3gpuE8ELNS1_3repE0EEENS1_30default_config_static_selectorELNS0_4arch9wavefront6targetE1EEEvT1_,"axG",@progbits,_ZN7rocprim17ROCPRIM_400000_NS6detail17trampoline_kernelINS0_14default_configENS1_20scan_config_selectorIfEEZZNS1_9scan_implILNS1_25lookback_scan_determinismE0ELb1ELb1ES3_N6thrust23THRUST_200600_302600_NS6detail15normal_iteratorINS9_10device_ptrIfEEEENS9_16discard_iteratorINS9_11use_defaultEEEf11max_functorIfEfEEDaPvRmT3_T4_T5_mT6_P12ihipStream_tbENKUlT_T0_E_clISt17integral_constantIbLb1EESX_EEDaSS_ST_EUlSS_E0_NS1_11comp_targetILNS1_3genE4ELNS1_11target_archE910ELNS1_3gpuE8ELNS1_3repE0EEENS1_30default_config_static_selectorELNS0_4arch9wavefront6targetE1EEEvT1_,comdat
	.protected	_ZN7rocprim17ROCPRIM_400000_NS6detail17trampoline_kernelINS0_14default_configENS1_20scan_config_selectorIfEEZZNS1_9scan_implILNS1_25lookback_scan_determinismE0ELb1ELb1ES3_N6thrust23THRUST_200600_302600_NS6detail15normal_iteratorINS9_10device_ptrIfEEEENS9_16discard_iteratorINS9_11use_defaultEEEf11max_functorIfEfEEDaPvRmT3_T4_T5_mT6_P12ihipStream_tbENKUlT_T0_E_clISt17integral_constantIbLb1EESX_EEDaSS_ST_EUlSS_E0_NS1_11comp_targetILNS1_3genE4ELNS1_11target_archE910ELNS1_3gpuE8ELNS1_3repE0EEENS1_30default_config_static_selectorELNS0_4arch9wavefront6targetE1EEEvT1_ ; -- Begin function _ZN7rocprim17ROCPRIM_400000_NS6detail17trampoline_kernelINS0_14default_configENS1_20scan_config_selectorIfEEZZNS1_9scan_implILNS1_25lookback_scan_determinismE0ELb1ELb1ES3_N6thrust23THRUST_200600_302600_NS6detail15normal_iteratorINS9_10device_ptrIfEEEENS9_16discard_iteratorINS9_11use_defaultEEEf11max_functorIfEfEEDaPvRmT3_T4_T5_mT6_P12ihipStream_tbENKUlT_T0_E_clISt17integral_constantIbLb1EESX_EEDaSS_ST_EUlSS_E0_NS1_11comp_targetILNS1_3genE4ELNS1_11target_archE910ELNS1_3gpuE8ELNS1_3repE0EEENS1_30default_config_static_selectorELNS0_4arch9wavefront6targetE1EEEvT1_
	.globl	_ZN7rocprim17ROCPRIM_400000_NS6detail17trampoline_kernelINS0_14default_configENS1_20scan_config_selectorIfEEZZNS1_9scan_implILNS1_25lookback_scan_determinismE0ELb1ELb1ES3_N6thrust23THRUST_200600_302600_NS6detail15normal_iteratorINS9_10device_ptrIfEEEENS9_16discard_iteratorINS9_11use_defaultEEEf11max_functorIfEfEEDaPvRmT3_T4_T5_mT6_P12ihipStream_tbENKUlT_T0_E_clISt17integral_constantIbLb1EESX_EEDaSS_ST_EUlSS_E0_NS1_11comp_targetILNS1_3genE4ELNS1_11target_archE910ELNS1_3gpuE8ELNS1_3repE0EEENS1_30default_config_static_selectorELNS0_4arch9wavefront6targetE1EEEvT1_
	.p2align	8
	.type	_ZN7rocprim17ROCPRIM_400000_NS6detail17trampoline_kernelINS0_14default_configENS1_20scan_config_selectorIfEEZZNS1_9scan_implILNS1_25lookback_scan_determinismE0ELb1ELb1ES3_N6thrust23THRUST_200600_302600_NS6detail15normal_iteratorINS9_10device_ptrIfEEEENS9_16discard_iteratorINS9_11use_defaultEEEf11max_functorIfEfEEDaPvRmT3_T4_T5_mT6_P12ihipStream_tbENKUlT_T0_E_clISt17integral_constantIbLb1EESX_EEDaSS_ST_EUlSS_E0_NS1_11comp_targetILNS1_3genE4ELNS1_11target_archE910ELNS1_3gpuE8ELNS1_3repE0EEENS1_30default_config_static_selectorELNS0_4arch9wavefront6targetE1EEEvT1_,@function
_ZN7rocprim17ROCPRIM_400000_NS6detail17trampoline_kernelINS0_14default_configENS1_20scan_config_selectorIfEEZZNS1_9scan_implILNS1_25lookback_scan_determinismE0ELb1ELb1ES3_N6thrust23THRUST_200600_302600_NS6detail15normal_iteratorINS9_10device_ptrIfEEEENS9_16discard_iteratorINS9_11use_defaultEEEf11max_functorIfEfEEDaPvRmT3_T4_T5_mT6_P12ihipStream_tbENKUlT_T0_E_clISt17integral_constantIbLb1EESX_EEDaSS_ST_EUlSS_E0_NS1_11comp_targetILNS1_3genE4ELNS1_11target_archE910ELNS1_3gpuE8ELNS1_3repE0EEENS1_30default_config_static_selectorELNS0_4arch9wavefront6targetE1EEEvT1_: ; @_ZN7rocprim17ROCPRIM_400000_NS6detail17trampoline_kernelINS0_14default_configENS1_20scan_config_selectorIfEEZZNS1_9scan_implILNS1_25lookback_scan_determinismE0ELb1ELb1ES3_N6thrust23THRUST_200600_302600_NS6detail15normal_iteratorINS9_10device_ptrIfEEEENS9_16discard_iteratorINS9_11use_defaultEEEf11max_functorIfEfEEDaPvRmT3_T4_T5_mT6_P12ihipStream_tbENKUlT_T0_E_clISt17integral_constantIbLb1EESX_EEDaSS_ST_EUlSS_E0_NS1_11comp_targetILNS1_3genE4ELNS1_11target_archE910ELNS1_3gpuE8ELNS1_3repE0EEENS1_30default_config_static_selectorELNS0_4arch9wavefront6targetE1EEEvT1_
; %bb.0:
	s_load_dwordx4 s[0:3], s[4:5], 0x0
	v_lshlrev_b32_e32 v1, 2, v0
	s_waitcnt lgkmcnt(0)
	s_load_dword s3, s[0:1], 0x0
	v_cmp_gt_u32_e32 vcc, s2, v0
	s_waitcnt lgkmcnt(0)
	v_mov_b32_e32 v2, s3
	s_and_saveexec_b64 s[6:7], vcc
	s_cbranch_execz .LBB3235_2
; %bb.1:
	global_load_dword v2, v1, s[0:1]
.LBB3235_2:
	s_or_b64 exec, exec, s[6:7]
	v_or_b32_e32 v3, 0x80, v0
	v_cmp_gt_u32_e32 vcc, s2, v3
	v_mov_b32_e32 v3, s3
	s_and_saveexec_b64 s[6:7], vcc
	s_cbranch_execz .LBB3235_4
; %bb.3:
	global_load_dword v3, v1, s[0:1] offset:512
.LBB3235_4:
	s_or_b64 exec, exec, s[6:7]
	v_or_b32_e32 v4, 0x100, v0
	v_cmp_gt_u32_e32 vcc, s2, v4
	v_mov_b32_e32 v4, s3
	s_and_saveexec_b64 s[6:7], vcc
	s_cbranch_execz .LBB3235_6
; %bb.5:
	global_load_dword v4, v1, s[0:1] offset:1024
.LBB3235_6:
	;; [unrolled: 9-line block ×7, first 2 shown]
	s_or_b64 exec, exec, s[6:7]
	v_or_b32_e32 v11, 0x400, v0
	v_cmp_gt_u32_e32 vcc, s2, v11
	v_mov_b32_e32 v10, s3
	s_and_saveexec_b64 s[6:7], vcc
	s_cbranch_execz .LBB3235_18
; %bb.17:
	v_lshlrev_b32_e32 v10, 2, v11
	global_load_dword v10, v10, s[0:1]
.LBB3235_18:
	s_or_b64 exec, exec, s[6:7]
	v_or_b32_e32 v12, 0x480, v0
	v_cmp_gt_u32_e32 vcc, s2, v12
	v_mov_b32_e32 v11, s3
	s_and_saveexec_b64 s[6:7], vcc
	s_cbranch_execz .LBB3235_20
; %bb.19:
	v_lshlrev_b32_e32 v11, 2, v12
	global_load_dword v11, v11, s[0:1]
.LBB3235_20:
	;; [unrolled: 10-line block ×5, first 2 shown]
	s_or_b64 exec, exec, s[6:7]
	s_load_dword s8, s[4:5], 0x10
	v_or_b32_e32 v16, 0x680, v0
	v_cmp_gt_u32_e32 vcc, s2, v16
	v_mov_b32_e32 v15, s3
	s_and_saveexec_b64 s[2:3], vcc
	s_cbranch_execz .LBB3235_28
; %bb.27:
	v_lshlrev_b32_e32 v15, 2, v16
	global_load_dword v15, v15, s[0:1]
.LBB3235_28:
	s_or_b64 exec, exec, s[2:3]
	s_waitcnt vmcnt(0)
	ds_write2st64_b32 v1, v2, v3 offset1:2
	ds_write2st64_b32 v1, v4, v5 offset0:4 offset1:6
	ds_write2st64_b32 v1, v6, v7 offset0:8 offset1:10
	;; [unrolled: 1-line block ×6, first 2 shown]
	v_mad_u32_u24 v14, v0, 52, v1
	s_waitcnt lgkmcnt(0)
	s_barrier
	ds_read2_b64 v[10:13], v14 offset1:1
	ds_read2_b64 v[6:9], v14 offset0:2 offset1:3
	ds_read2_b64 v[2:5], v14 offset0:4 offset1:5
	ds_read_b64 v[14:15], v14 offset:48
	s_waitcnt lgkmcnt(0)
	v_cmp_lt_f32_e32 vcc, v10, v11
	v_cndmask_b32_e32 v16, v10, v11, vcc
	v_cmp_lt_f32_e32 vcc, v16, v12
	v_cndmask_b32_e32 v16, v16, v12, vcc
	;; [unrolled: 2-line block ×13, first 2 shown]
	v_lshrrev_b32_e32 v16, 3, v0
	v_and_b32_e32 v16, 12, v16
	v_add_u32_e32 v16, v1, v16
	v_cmp_gt_u32_e32 vcc, 64, v0
	s_barrier
	ds_write_b32 v16, v15
	s_waitcnt lgkmcnt(0)
	s_barrier
	s_and_saveexec_b64 s[6:7], vcc
	s_cbranch_execz .LBB3235_30
; %bb.29:
	v_lshlrev_b32_e32 v16, 1, v0
	v_lshrrev_b32_e32 v17, 4, v0
	v_add_lshl_u32 v18, v17, v16, 2
	ds_read2_b32 v[16:17], v18 offset1:1
	v_mbcnt_lo_u32_b32 v19, -1, 0
	v_mbcnt_hi_u32_b32 v19, -1, v19
	v_and_b32_e32 v20, 15, v19
	v_cmp_lt_u32_e64 s[4:5], 31, v19
	s_waitcnt lgkmcnt(0)
	v_cmp_lt_f32_e32 vcc, v16, v17
	v_cndmask_b32_e32 v17, v16, v17, vcc
	v_cmp_gt_u32_e64 s[2:3], 32, v19
	s_nop 0
	v_mov_b32_dpp v21, v17 row_shr:1 row_mask:0xf bank_mask:0xf
	v_cmp_gt_f32_e32 vcc, v17, v21
	v_cndmask_b32_e32 v21, v21, v17, vcc
	v_cmp_eq_u32_e32 vcc, 0, v20
	v_cndmask_b32_e32 v17, v21, v17, vcc
	; wave barrier
	s_nop 1
	v_mov_b32_dpp v21, v17 row_shr:2 row_mask:0xf bank_mask:0xf
	v_cmp_gt_f32_e32 vcc, v17, v21
	v_cndmask_b32_e32 v21, v21, v17, vcc
	v_cmp_lt_u32_e32 vcc, 1, v20
	v_cndmask_b32_e32 v21, v17, v21, vcc
	s_nop 1
	v_mov_b32_dpp v22, v21 row_shr:4 row_mask:0xf bank_mask:0xf
	v_cmp_gt_f32_e64 s[0:1], v21, v22
	v_cndmask_b32_e64 v22, v22, v21, s[0:1]
	v_cmp_lt_u32_e64 s[0:1], 3, v20
	v_cndmask_b32_e64 v21, v21, v22, s[0:1]
	s_nop 1
	v_mov_b32_dpp v22, v21 row_shr:8 row_mask:0xf bank_mask:0xf
	v_cmp_gt_f32_e64 s[0:1], v21, v22
	v_cndmask_b32_e64 v22, v22, v21, s[0:1]
	v_cmp_lt_u32_e64 s[0:1], 7, v20
	v_cndmask_b32_e64 v20, v21, v22, s[0:1]
	v_and_b32_e32 v22, 16, v19
	s_nop 0
	v_mov_b32_dpp v21, v20 row_bcast:15 row_mask:0xf bank_mask:0xf
	v_cmp_gt_f32_e64 s[0:1], v20, v21
	v_cndmask_b32_e64 v21, v21, v20, s[0:1]
	v_cmp_ne_u32_e64 s[0:1], 0, v22
	v_cndmask_b32_e64 v20, v20, v21, s[0:1]
	s_or_b64 s[4:5], s[0:1], s[4:5]
	s_or_b64 vcc, vcc, s[4:5]
	v_mov_b32_dpp v21, v20 row_bcast:31 row_mask:0xf bank_mask:0xf
	v_cmp_gt_f32_e64 s[0:1], v20, v21
	s_or_b64 s[0:1], s[2:3], s[0:1]
	v_cndmask_b32_e64 v20, v21, v20, s[0:1]
	v_cndmask_b32_e32 v17, v17, v20, vcc
	v_add_u32_e32 v20, -1, v19
	v_and_b32_e32 v21, 64, v19
	v_cmp_lt_i32_e32 vcc, v20, v21
	v_cndmask_b32_e32 v19, v20, v19, vcc
	v_lshlrev_b32_e32 v19, 2, v19
	ds_bpermute_b32 v17, v19, v17
	s_waitcnt lgkmcnt(0)
	v_cmp_gt_f32_e32 vcc, v16, v17
	v_cndmask_b32_e32 v16, v17, v16, vcc
	v_cmp_eq_u32_e32 vcc, 0, v0
	v_cndmask_b32_e32 v15, v16, v15, vcc
	ds_write_b32 v18, v15
	; wave barrier
	ds_read_b32 v16, v18 offset:4
	s_waitcnt lgkmcnt(0)
	v_cmp_lt_f32_e32 vcc, v15, v16
	v_cndmask_b32_e32 v15, v15, v16, vcc
	ds_write_b32 v18, v15 offset:4
.LBB3235_30:
	s_or_b64 exec, exec, s[6:7]
	v_mul_u32_u24_e32 v15, 52, v0
	v_cmp_ne_u32_e32 vcc, 0, v0
	v_mov_b32_e32 v16, s8
	s_waitcnt lgkmcnt(0)
	s_barrier
	s_and_saveexec_b64 s[0:1], vcc
	s_cbranch_execz .LBB3235_32
; %bb.31:
	v_add_u32_e32 v0, -1, v0
	v_lshrrev_b32_e32 v16, 5, v0
	v_add_lshl_u32 v0, v16, v0, 2
	ds_read_b32 v0, v0
	v_mov_b32_e32 v16, s8
	s_waitcnt lgkmcnt(0)
	v_cmp_lt_f32_e32 vcc, s8, v0
	v_cndmask_b32_e32 v16, v16, v0, vcc
.LBB3235_32:
	s_or_b64 exec, exec, s[0:1]
	v_cmp_lt_f32_e32 vcc, v16, v10
	v_cndmask_b32_e32 v17, v16, v10, vcc
	v_cmp_lt_f32_e32 vcc, v17, v11
	v_cndmask_b32_e32 v10, v17, v11, vcc
	;; [unrolled: 2-line block ×12, first 2 shown]
	v_cmp_lt_f32_e32 vcc, v4, v14
	v_add_u32_e32 v0, v1, v15
	v_cndmask_b32_e32 v5, v4, v14, vcc
	s_barrier
	ds_write2_b64 v0, v[16:17], v[10:11] offset1:1
	ds_write2_b64 v0, v[12:13], v[6:7] offset0:2 offset1:3
	ds_write2_b64 v0, v[8:9], v[2:3] offset0:4 offset1:5
	ds_write_b64 v0, v[4:5] offset:48
	s_waitcnt lgkmcnt(0)
	s_barrier
	s_endpgm
	.section	.rodata,"a",@progbits
	.p2align	6, 0x0
	.amdhsa_kernel _ZN7rocprim17ROCPRIM_400000_NS6detail17trampoline_kernelINS0_14default_configENS1_20scan_config_selectorIfEEZZNS1_9scan_implILNS1_25lookback_scan_determinismE0ELb1ELb1ES3_N6thrust23THRUST_200600_302600_NS6detail15normal_iteratorINS9_10device_ptrIfEEEENS9_16discard_iteratorINS9_11use_defaultEEEf11max_functorIfEfEEDaPvRmT3_T4_T5_mT6_P12ihipStream_tbENKUlT_T0_E_clISt17integral_constantIbLb1EESX_EEDaSS_ST_EUlSS_E0_NS1_11comp_targetILNS1_3genE4ELNS1_11target_archE910ELNS1_3gpuE8ELNS1_3repE0EEENS1_30default_config_static_selectorELNS0_4arch9wavefront6targetE1EEEvT1_
		.amdhsa_group_segment_fixed_size 7168
		.amdhsa_private_segment_fixed_size 0
		.amdhsa_kernarg_size 40
		.amdhsa_user_sgpr_count 6
		.amdhsa_user_sgpr_private_segment_buffer 1
		.amdhsa_user_sgpr_dispatch_ptr 0
		.amdhsa_user_sgpr_queue_ptr 0
		.amdhsa_user_sgpr_kernarg_segment_ptr 1
		.amdhsa_user_sgpr_dispatch_id 0
		.amdhsa_user_sgpr_flat_scratch_init 0
		.amdhsa_user_sgpr_kernarg_preload_length 0
		.amdhsa_user_sgpr_kernarg_preload_offset 0
		.amdhsa_user_sgpr_private_segment_size 0
		.amdhsa_uses_dynamic_stack 0
		.amdhsa_system_sgpr_private_segment_wavefront_offset 0
		.amdhsa_system_sgpr_workgroup_id_x 1
		.amdhsa_system_sgpr_workgroup_id_y 0
		.amdhsa_system_sgpr_workgroup_id_z 0
		.amdhsa_system_sgpr_workgroup_info 0
		.amdhsa_system_vgpr_workitem_id 0
		.amdhsa_next_free_vgpr 23
		.amdhsa_next_free_sgpr 9
		.amdhsa_accum_offset 24
		.amdhsa_reserve_vcc 1
		.amdhsa_reserve_flat_scratch 0
		.amdhsa_float_round_mode_32 0
		.amdhsa_float_round_mode_16_64 0
		.amdhsa_float_denorm_mode_32 3
		.amdhsa_float_denorm_mode_16_64 3
		.amdhsa_dx10_clamp 1
		.amdhsa_ieee_mode 1
		.amdhsa_fp16_overflow 0
		.amdhsa_tg_split 0
		.amdhsa_exception_fp_ieee_invalid_op 0
		.amdhsa_exception_fp_denorm_src 0
		.amdhsa_exception_fp_ieee_div_zero 0
		.amdhsa_exception_fp_ieee_overflow 0
		.amdhsa_exception_fp_ieee_underflow 0
		.amdhsa_exception_fp_ieee_inexact 0
		.amdhsa_exception_int_div_zero 0
	.end_amdhsa_kernel
	.section	.text._ZN7rocprim17ROCPRIM_400000_NS6detail17trampoline_kernelINS0_14default_configENS1_20scan_config_selectorIfEEZZNS1_9scan_implILNS1_25lookback_scan_determinismE0ELb1ELb1ES3_N6thrust23THRUST_200600_302600_NS6detail15normal_iteratorINS9_10device_ptrIfEEEENS9_16discard_iteratorINS9_11use_defaultEEEf11max_functorIfEfEEDaPvRmT3_T4_T5_mT6_P12ihipStream_tbENKUlT_T0_E_clISt17integral_constantIbLb1EESX_EEDaSS_ST_EUlSS_E0_NS1_11comp_targetILNS1_3genE4ELNS1_11target_archE910ELNS1_3gpuE8ELNS1_3repE0EEENS1_30default_config_static_selectorELNS0_4arch9wavefront6targetE1EEEvT1_,"axG",@progbits,_ZN7rocprim17ROCPRIM_400000_NS6detail17trampoline_kernelINS0_14default_configENS1_20scan_config_selectorIfEEZZNS1_9scan_implILNS1_25lookback_scan_determinismE0ELb1ELb1ES3_N6thrust23THRUST_200600_302600_NS6detail15normal_iteratorINS9_10device_ptrIfEEEENS9_16discard_iteratorINS9_11use_defaultEEEf11max_functorIfEfEEDaPvRmT3_T4_T5_mT6_P12ihipStream_tbENKUlT_T0_E_clISt17integral_constantIbLb1EESX_EEDaSS_ST_EUlSS_E0_NS1_11comp_targetILNS1_3genE4ELNS1_11target_archE910ELNS1_3gpuE8ELNS1_3repE0EEENS1_30default_config_static_selectorELNS0_4arch9wavefront6targetE1EEEvT1_,comdat
.Lfunc_end3235:
	.size	_ZN7rocprim17ROCPRIM_400000_NS6detail17trampoline_kernelINS0_14default_configENS1_20scan_config_selectorIfEEZZNS1_9scan_implILNS1_25lookback_scan_determinismE0ELb1ELb1ES3_N6thrust23THRUST_200600_302600_NS6detail15normal_iteratorINS9_10device_ptrIfEEEENS9_16discard_iteratorINS9_11use_defaultEEEf11max_functorIfEfEEDaPvRmT3_T4_T5_mT6_P12ihipStream_tbENKUlT_T0_E_clISt17integral_constantIbLb1EESX_EEDaSS_ST_EUlSS_E0_NS1_11comp_targetILNS1_3genE4ELNS1_11target_archE910ELNS1_3gpuE8ELNS1_3repE0EEENS1_30default_config_static_selectorELNS0_4arch9wavefront6targetE1EEEvT1_, .Lfunc_end3235-_ZN7rocprim17ROCPRIM_400000_NS6detail17trampoline_kernelINS0_14default_configENS1_20scan_config_selectorIfEEZZNS1_9scan_implILNS1_25lookback_scan_determinismE0ELb1ELb1ES3_N6thrust23THRUST_200600_302600_NS6detail15normal_iteratorINS9_10device_ptrIfEEEENS9_16discard_iteratorINS9_11use_defaultEEEf11max_functorIfEfEEDaPvRmT3_T4_T5_mT6_P12ihipStream_tbENKUlT_T0_E_clISt17integral_constantIbLb1EESX_EEDaSS_ST_EUlSS_E0_NS1_11comp_targetILNS1_3genE4ELNS1_11target_archE910ELNS1_3gpuE8ELNS1_3repE0EEENS1_30default_config_static_selectorELNS0_4arch9wavefront6targetE1EEEvT1_
                                        ; -- End function
	.section	.AMDGPU.csdata,"",@progbits
; Kernel info:
; codeLenInByte = 1436
; NumSgprs: 13
; NumVgprs: 23
; NumAgprs: 0
; TotalNumVgprs: 23
; ScratchSize: 0
; MemoryBound: 0
; FloatMode: 240
; IeeeMode: 1
; LDSByteSize: 7168 bytes/workgroup (compile time only)
; SGPRBlocks: 1
; VGPRBlocks: 2
; NumSGPRsForWavesPerEU: 13
; NumVGPRsForWavesPerEU: 23
; AccumOffset: 24
; Occupancy: 5
; WaveLimiterHint : 0
; COMPUTE_PGM_RSRC2:SCRATCH_EN: 0
; COMPUTE_PGM_RSRC2:USER_SGPR: 6
; COMPUTE_PGM_RSRC2:TRAP_HANDLER: 0
; COMPUTE_PGM_RSRC2:TGID_X_EN: 1
; COMPUTE_PGM_RSRC2:TGID_Y_EN: 0
; COMPUTE_PGM_RSRC2:TGID_Z_EN: 0
; COMPUTE_PGM_RSRC2:TIDIG_COMP_CNT: 0
; COMPUTE_PGM_RSRC3_GFX90A:ACCUM_OFFSET: 5
; COMPUTE_PGM_RSRC3_GFX90A:TG_SPLIT: 0
	.section	.text._ZN7rocprim17ROCPRIM_400000_NS6detail17trampoline_kernelINS0_14default_configENS1_20scan_config_selectorIfEEZZNS1_9scan_implILNS1_25lookback_scan_determinismE0ELb1ELb1ES3_N6thrust23THRUST_200600_302600_NS6detail15normal_iteratorINS9_10device_ptrIfEEEENS9_16discard_iteratorINS9_11use_defaultEEEf11max_functorIfEfEEDaPvRmT3_T4_T5_mT6_P12ihipStream_tbENKUlT_T0_E_clISt17integral_constantIbLb1EESX_EEDaSS_ST_EUlSS_E0_NS1_11comp_targetILNS1_3genE3ELNS1_11target_archE908ELNS1_3gpuE7ELNS1_3repE0EEENS1_30default_config_static_selectorELNS0_4arch9wavefront6targetE1EEEvT1_,"axG",@progbits,_ZN7rocprim17ROCPRIM_400000_NS6detail17trampoline_kernelINS0_14default_configENS1_20scan_config_selectorIfEEZZNS1_9scan_implILNS1_25lookback_scan_determinismE0ELb1ELb1ES3_N6thrust23THRUST_200600_302600_NS6detail15normal_iteratorINS9_10device_ptrIfEEEENS9_16discard_iteratorINS9_11use_defaultEEEf11max_functorIfEfEEDaPvRmT3_T4_T5_mT6_P12ihipStream_tbENKUlT_T0_E_clISt17integral_constantIbLb1EESX_EEDaSS_ST_EUlSS_E0_NS1_11comp_targetILNS1_3genE3ELNS1_11target_archE908ELNS1_3gpuE7ELNS1_3repE0EEENS1_30default_config_static_selectorELNS0_4arch9wavefront6targetE1EEEvT1_,comdat
	.protected	_ZN7rocprim17ROCPRIM_400000_NS6detail17trampoline_kernelINS0_14default_configENS1_20scan_config_selectorIfEEZZNS1_9scan_implILNS1_25lookback_scan_determinismE0ELb1ELb1ES3_N6thrust23THRUST_200600_302600_NS6detail15normal_iteratorINS9_10device_ptrIfEEEENS9_16discard_iteratorINS9_11use_defaultEEEf11max_functorIfEfEEDaPvRmT3_T4_T5_mT6_P12ihipStream_tbENKUlT_T0_E_clISt17integral_constantIbLb1EESX_EEDaSS_ST_EUlSS_E0_NS1_11comp_targetILNS1_3genE3ELNS1_11target_archE908ELNS1_3gpuE7ELNS1_3repE0EEENS1_30default_config_static_selectorELNS0_4arch9wavefront6targetE1EEEvT1_ ; -- Begin function _ZN7rocprim17ROCPRIM_400000_NS6detail17trampoline_kernelINS0_14default_configENS1_20scan_config_selectorIfEEZZNS1_9scan_implILNS1_25lookback_scan_determinismE0ELb1ELb1ES3_N6thrust23THRUST_200600_302600_NS6detail15normal_iteratorINS9_10device_ptrIfEEEENS9_16discard_iteratorINS9_11use_defaultEEEf11max_functorIfEfEEDaPvRmT3_T4_T5_mT6_P12ihipStream_tbENKUlT_T0_E_clISt17integral_constantIbLb1EESX_EEDaSS_ST_EUlSS_E0_NS1_11comp_targetILNS1_3genE3ELNS1_11target_archE908ELNS1_3gpuE7ELNS1_3repE0EEENS1_30default_config_static_selectorELNS0_4arch9wavefront6targetE1EEEvT1_
	.globl	_ZN7rocprim17ROCPRIM_400000_NS6detail17trampoline_kernelINS0_14default_configENS1_20scan_config_selectorIfEEZZNS1_9scan_implILNS1_25lookback_scan_determinismE0ELb1ELb1ES3_N6thrust23THRUST_200600_302600_NS6detail15normal_iteratorINS9_10device_ptrIfEEEENS9_16discard_iteratorINS9_11use_defaultEEEf11max_functorIfEfEEDaPvRmT3_T4_T5_mT6_P12ihipStream_tbENKUlT_T0_E_clISt17integral_constantIbLb1EESX_EEDaSS_ST_EUlSS_E0_NS1_11comp_targetILNS1_3genE3ELNS1_11target_archE908ELNS1_3gpuE7ELNS1_3repE0EEENS1_30default_config_static_selectorELNS0_4arch9wavefront6targetE1EEEvT1_
	.p2align	8
	.type	_ZN7rocprim17ROCPRIM_400000_NS6detail17trampoline_kernelINS0_14default_configENS1_20scan_config_selectorIfEEZZNS1_9scan_implILNS1_25lookback_scan_determinismE0ELb1ELb1ES3_N6thrust23THRUST_200600_302600_NS6detail15normal_iteratorINS9_10device_ptrIfEEEENS9_16discard_iteratorINS9_11use_defaultEEEf11max_functorIfEfEEDaPvRmT3_T4_T5_mT6_P12ihipStream_tbENKUlT_T0_E_clISt17integral_constantIbLb1EESX_EEDaSS_ST_EUlSS_E0_NS1_11comp_targetILNS1_3genE3ELNS1_11target_archE908ELNS1_3gpuE7ELNS1_3repE0EEENS1_30default_config_static_selectorELNS0_4arch9wavefront6targetE1EEEvT1_,@function
_ZN7rocprim17ROCPRIM_400000_NS6detail17trampoline_kernelINS0_14default_configENS1_20scan_config_selectorIfEEZZNS1_9scan_implILNS1_25lookback_scan_determinismE0ELb1ELb1ES3_N6thrust23THRUST_200600_302600_NS6detail15normal_iteratorINS9_10device_ptrIfEEEENS9_16discard_iteratorINS9_11use_defaultEEEf11max_functorIfEfEEDaPvRmT3_T4_T5_mT6_P12ihipStream_tbENKUlT_T0_E_clISt17integral_constantIbLb1EESX_EEDaSS_ST_EUlSS_E0_NS1_11comp_targetILNS1_3genE3ELNS1_11target_archE908ELNS1_3gpuE7ELNS1_3repE0EEENS1_30default_config_static_selectorELNS0_4arch9wavefront6targetE1EEEvT1_: ; @_ZN7rocprim17ROCPRIM_400000_NS6detail17trampoline_kernelINS0_14default_configENS1_20scan_config_selectorIfEEZZNS1_9scan_implILNS1_25lookback_scan_determinismE0ELb1ELb1ES3_N6thrust23THRUST_200600_302600_NS6detail15normal_iteratorINS9_10device_ptrIfEEEENS9_16discard_iteratorINS9_11use_defaultEEEf11max_functorIfEfEEDaPvRmT3_T4_T5_mT6_P12ihipStream_tbENKUlT_T0_E_clISt17integral_constantIbLb1EESX_EEDaSS_ST_EUlSS_E0_NS1_11comp_targetILNS1_3genE3ELNS1_11target_archE908ELNS1_3gpuE7ELNS1_3repE0EEENS1_30default_config_static_selectorELNS0_4arch9wavefront6targetE1EEEvT1_
; %bb.0:
	.section	.rodata,"a",@progbits
	.p2align	6, 0x0
	.amdhsa_kernel _ZN7rocprim17ROCPRIM_400000_NS6detail17trampoline_kernelINS0_14default_configENS1_20scan_config_selectorIfEEZZNS1_9scan_implILNS1_25lookback_scan_determinismE0ELb1ELb1ES3_N6thrust23THRUST_200600_302600_NS6detail15normal_iteratorINS9_10device_ptrIfEEEENS9_16discard_iteratorINS9_11use_defaultEEEf11max_functorIfEfEEDaPvRmT3_T4_T5_mT6_P12ihipStream_tbENKUlT_T0_E_clISt17integral_constantIbLb1EESX_EEDaSS_ST_EUlSS_E0_NS1_11comp_targetILNS1_3genE3ELNS1_11target_archE908ELNS1_3gpuE7ELNS1_3repE0EEENS1_30default_config_static_selectorELNS0_4arch9wavefront6targetE1EEEvT1_
		.amdhsa_group_segment_fixed_size 0
		.amdhsa_private_segment_fixed_size 0
		.amdhsa_kernarg_size 40
		.amdhsa_user_sgpr_count 6
		.amdhsa_user_sgpr_private_segment_buffer 1
		.amdhsa_user_sgpr_dispatch_ptr 0
		.amdhsa_user_sgpr_queue_ptr 0
		.amdhsa_user_sgpr_kernarg_segment_ptr 1
		.amdhsa_user_sgpr_dispatch_id 0
		.amdhsa_user_sgpr_flat_scratch_init 0
		.amdhsa_user_sgpr_kernarg_preload_length 0
		.amdhsa_user_sgpr_kernarg_preload_offset 0
		.amdhsa_user_sgpr_private_segment_size 0
		.amdhsa_uses_dynamic_stack 0
		.amdhsa_system_sgpr_private_segment_wavefront_offset 0
		.amdhsa_system_sgpr_workgroup_id_x 1
		.amdhsa_system_sgpr_workgroup_id_y 0
		.amdhsa_system_sgpr_workgroup_id_z 0
		.amdhsa_system_sgpr_workgroup_info 0
		.amdhsa_system_vgpr_workitem_id 0
		.amdhsa_next_free_vgpr 1
		.amdhsa_next_free_sgpr 0
		.amdhsa_accum_offset 4
		.amdhsa_reserve_vcc 0
		.amdhsa_reserve_flat_scratch 0
		.amdhsa_float_round_mode_32 0
		.amdhsa_float_round_mode_16_64 0
		.amdhsa_float_denorm_mode_32 3
		.amdhsa_float_denorm_mode_16_64 3
		.amdhsa_dx10_clamp 1
		.amdhsa_ieee_mode 1
		.amdhsa_fp16_overflow 0
		.amdhsa_tg_split 0
		.amdhsa_exception_fp_ieee_invalid_op 0
		.amdhsa_exception_fp_denorm_src 0
		.amdhsa_exception_fp_ieee_div_zero 0
		.amdhsa_exception_fp_ieee_overflow 0
		.amdhsa_exception_fp_ieee_underflow 0
		.amdhsa_exception_fp_ieee_inexact 0
		.amdhsa_exception_int_div_zero 0
	.end_amdhsa_kernel
	.section	.text._ZN7rocprim17ROCPRIM_400000_NS6detail17trampoline_kernelINS0_14default_configENS1_20scan_config_selectorIfEEZZNS1_9scan_implILNS1_25lookback_scan_determinismE0ELb1ELb1ES3_N6thrust23THRUST_200600_302600_NS6detail15normal_iteratorINS9_10device_ptrIfEEEENS9_16discard_iteratorINS9_11use_defaultEEEf11max_functorIfEfEEDaPvRmT3_T4_T5_mT6_P12ihipStream_tbENKUlT_T0_E_clISt17integral_constantIbLb1EESX_EEDaSS_ST_EUlSS_E0_NS1_11comp_targetILNS1_3genE3ELNS1_11target_archE908ELNS1_3gpuE7ELNS1_3repE0EEENS1_30default_config_static_selectorELNS0_4arch9wavefront6targetE1EEEvT1_,"axG",@progbits,_ZN7rocprim17ROCPRIM_400000_NS6detail17trampoline_kernelINS0_14default_configENS1_20scan_config_selectorIfEEZZNS1_9scan_implILNS1_25lookback_scan_determinismE0ELb1ELb1ES3_N6thrust23THRUST_200600_302600_NS6detail15normal_iteratorINS9_10device_ptrIfEEEENS9_16discard_iteratorINS9_11use_defaultEEEf11max_functorIfEfEEDaPvRmT3_T4_T5_mT6_P12ihipStream_tbENKUlT_T0_E_clISt17integral_constantIbLb1EESX_EEDaSS_ST_EUlSS_E0_NS1_11comp_targetILNS1_3genE3ELNS1_11target_archE908ELNS1_3gpuE7ELNS1_3repE0EEENS1_30default_config_static_selectorELNS0_4arch9wavefront6targetE1EEEvT1_,comdat
.Lfunc_end3236:
	.size	_ZN7rocprim17ROCPRIM_400000_NS6detail17trampoline_kernelINS0_14default_configENS1_20scan_config_selectorIfEEZZNS1_9scan_implILNS1_25lookback_scan_determinismE0ELb1ELb1ES3_N6thrust23THRUST_200600_302600_NS6detail15normal_iteratorINS9_10device_ptrIfEEEENS9_16discard_iteratorINS9_11use_defaultEEEf11max_functorIfEfEEDaPvRmT3_T4_T5_mT6_P12ihipStream_tbENKUlT_T0_E_clISt17integral_constantIbLb1EESX_EEDaSS_ST_EUlSS_E0_NS1_11comp_targetILNS1_3genE3ELNS1_11target_archE908ELNS1_3gpuE7ELNS1_3repE0EEENS1_30default_config_static_selectorELNS0_4arch9wavefront6targetE1EEEvT1_, .Lfunc_end3236-_ZN7rocprim17ROCPRIM_400000_NS6detail17trampoline_kernelINS0_14default_configENS1_20scan_config_selectorIfEEZZNS1_9scan_implILNS1_25lookback_scan_determinismE0ELb1ELb1ES3_N6thrust23THRUST_200600_302600_NS6detail15normal_iteratorINS9_10device_ptrIfEEEENS9_16discard_iteratorINS9_11use_defaultEEEf11max_functorIfEfEEDaPvRmT3_T4_T5_mT6_P12ihipStream_tbENKUlT_T0_E_clISt17integral_constantIbLb1EESX_EEDaSS_ST_EUlSS_E0_NS1_11comp_targetILNS1_3genE3ELNS1_11target_archE908ELNS1_3gpuE7ELNS1_3repE0EEENS1_30default_config_static_selectorELNS0_4arch9wavefront6targetE1EEEvT1_
                                        ; -- End function
	.section	.AMDGPU.csdata,"",@progbits
; Kernel info:
; codeLenInByte = 0
; NumSgprs: 4
; NumVgprs: 0
; NumAgprs: 0
; TotalNumVgprs: 0
; ScratchSize: 0
; MemoryBound: 0
; FloatMode: 240
; IeeeMode: 1
; LDSByteSize: 0 bytes/workgroup (compile time only)
; SGPRBlocks: 0
; VGPRBlocks: 0
; NumSGPRsForWavesPerEU: 4
; NumVGPRsForWavesPerEU: 1
; AccumOffset: 4
; Occupancy: 8
; WaveLimiterHint : 0
; COMPUTE_PGM_RSRC2:SCRATCH_EN: 0
; COMPUTE_PGM_RSRC2:USER_SGPR: 6
; COMPUTE_PGM_RSRC2:TRAP_HANDLER: 0
; COMPUTE_PGM_RSRC2:TGID_X_EN: 1
; COMPUTE_PGM_RSRC2:TGID_Y_EN: 0
; COMPUTE_PGM_RSRC2:TGID_Z_EN: 0
; COMPUTE_PGM_RSRC2:TIDIG_COMP_CNT: 0
; COMPUTE_PGM_RSRC3_GFX90A:ACCUM_OFFSET: 0
; COMPUTE_PGM_RSRC3_GFX90A:TG_SPLIT: 0
	.section	.text._ZN7rocprim17ROCPRIM_400000_NS6detail17trampoline_kernelINS0_14default_configENS1_20scan_config_selectorIfEEZZNS1_9scan_implILNS1_25lookback_scan_determinismE0ELb1ELb1ES3_N6thrust23THRUST_200600_302600_NS6detail15normal_iteratorINS9_10device_ptrIfEEEENS9_16discard_iteratorINS9_11use_defaultEEEf11max_functorIfEfEEDaPvRmT3_T4_T5_mT6_P12ihipStream_tbENKUlT_T0_E_clISt17integral_constantIbLb1EESX_EEDaSS_ST_EUlSS_E0_NS1_11comp_targetILNS1_3genE2ELNS1_11target_archE906ELNS1_3gpuE6ELNS1_3repE0EEENS1_30default_config_static_selectorELNS0_4arch9wavefront6targetE1EEEvT1_,"axG",@progbits,_ZN7rocprim17ROCPRIM_400000_NS6detail17trampoline_kernelINS0_14default_configENS1_20scan_config_selectorIfEEZZNS1_9scan_implILNS1_25lookback_scan_determinismE0ELb1ELb1ES3_N6thrust23THRUST_200600_302600_NS6detail15normal_iteratorINS9_10device_ptrIfEEEENS9_16discard_iteratorINS9_11use_defaultEEEf11max_functorIfEfEEDaPvRmT3_T4_T5_mT6_P12ihipStream_tbENKUlT_T0_E_clISt17integral_constantIbLb1EESX_EEDaSS_ST_EUlSS_E0_NS1_11comp_targetILNS1_3genE2ELNS1_11target_archE906ELNS1_3gpuE6ELNS1_3repE0EEENS1_30default_config_static_selectorELNS0_4arch9wavefront6targetE1EEEvT1_,comdat
	.protected	_ZN7rocprim17ROCPRIM_400000_NS6detail17trampoline_kernelINS0_14default_configENS1_20scan_config_selectorIfEEZZNS1_9scan_implILNS1_25lookback_scan_determinismE0ELb1ELb1ES3_N6thrust23THRUST_200600_302600_NS6detail15normal_iteratorINS9_10device_ptrIfEEEENS9_16discard_iteratorINS9_11use_defaultEEEf11max_functorIfEfEEDaPvRmT3_T4_T5_mT6_P12ihipStream_tbENKUlT_T0_E_clISt17integral_constantIbLb1EESX_EEDaSS_ST_EUlSS_E0_NS1_11comp_targetILNS1_3genE2ELNS1_11target_archE906ELNS1_3gpuE6ELNS1_3repE0EEENS1_30default_config_static_selectorELNS0_4arch9wavefront6targetE1EEEvT1_ ; -- Begin function _ZN7rocprim17ROCPRIM_400000_NS6detail17trampoline_kernelINS0_14default_configENS1_20scan_config_selectorIfEEZZNS1_9scan_implILNS1_25lookback_scan_determinismE0ELb1ELb1ES3_N6thrust23THRUST_200600_302600_NS6detail15normal_iteratorINS9_10device_ptrIfEEEENS9_16discard_iteratorINS9_11use_defaultEEEf11max_functorIfEfEEDaPvRmT3_T4_T5_mT6_P12ihipStream_tbENKUlT_T0_E_clISt17integral_constantIbLb1EESX_EEDaSS_ST_EUlSS_E0_NS1_11comp_targetILNS1_3genE2ELNS1_11target_archE906ELNS1_3gpuE6ELNS1_3repE0EEENS1_30default_config_static_selectorELNS0_4arch9wavefront6targetE1EEEvT1_
	.globl	_ZN7rocprim17ROCPRIM_400000_NS6detail17trampoline_kernelINS0_14default_configENS1_20scan_config_selectorIfEEZZNS1_9scan_implILNS1_25lookback_scan_determinismE0ELb1ELb1ES3_N6thrust23THRUST_200600_302600_NS6detail15normal_iteratorINS9_10device_ptrIfEEEENS9_16discard_iteratorINS9_11use_defaultEEEf11max_functorIfEfEEDaPvRmT3_T4_T5_mT6_P12ihipStream_tbENKUlT_T0_E_clISt17integral_constantIbLb1EESX_EEDaSS_ST_EUlSS_E0_NS1_11comp_targetILNS1_3genE2ELNS1_11target_archE906ELNS1_3gpuE6ELNS1_3repE0EEENS1_30default_config_static_selectorELNS0_4arch9wavefront6targetE1EEEvT1_
	.p2align	8
	.type	_ZN7rocprim17ROCPRIM_400000_NS6detail17trampoline_kernelINS0_14default_configENS1_20scan_config_selectorIfEEZZNS1_9scan_implILNS1_25lookback_scan_determinismE0ELb1ELb1ES3_N6thrust23THRUST_200600_302600_NS6detail15normal_iteratorINS9_10device_ptrIfEEEENS9_16discard_iteratorINS9_11use_defaultEEEf11max_functorIfEfEEDaPvRmT3_T4_T5_mT6_P12ihipStream_tbENKUlT_T0_E_clISt17integral_constantIbLb1EESX_EEDaSS_ST_EUlSS_E0_NS1_11comp_targetILNS1_3genE2ELNS1_11target_archE906ELNS1_3gpuE6ELNS1_3repE0EEENS1_30default_config_static_selectorELNS0_4arch9wavefront6targetE1EEEvT1_,@function
_ZN7rocprim17ROCPRIM_400000_NS6detail17trampoline_kernelINS0_14default_configENS1_20scan_config_selectorIfEEZZNS1_9scan_implILNS1_25lookback_scan_determinismE0ELb1ELb1ES3_N6thrust23THRUST_200600_302600_NS6detail15normal_iteratorINS9_10device_ptrIfEEEENS9_16discard_iteratorINS9_11use_defaultEEEf11max_functorIfEfEEDaPvRmT3_T4_T5_mT6_P12ihipStream_tbENKUlT_T0_E_clISt17integral_constantIbLb1EESX_EEDaSS_ST_EUlSS_E0_NS1_11comp_targetILNS1_3genE2ELNS1_11target_archE906ELNS1_3gpuE6ELNS1_3repE0EEENS1_30default_config_static_selectorELNS0_4arch9wavefront6targetE1EEEvT1_: ; @_ZN7rocprim17ROCPRIM_400000_NS6detail17trampoline_kernelINS0_14default_configENS1_20scan_config_selectorIfEEZZNS1_9scan_implILNS1_25lookback_scan_determinismE0ELb1ELb1ES3_N6thrust23THRUST_200600_302600_NS6detail15normal_iteratorINS9_10device_ptrIfEEEENS9_16discard_iteratorINS9_11use_defaultEEEf11max_functorIfEfEEDaPvRmT3_T4_T5_mT6_P12ihipStream_tbENKUlT_T0_E_clISt17integral_constantIbLb1EESX_EEDaSS_ST_EUlSS_E0_NS1_11comp_targetILNS1_3genE2ELNS1_11target_archE906ELNS1_3gpuE6ELNS1_3repE0EEENS1_30default_config_static_selectorELNS0_4arch9wavefront6targetE1EEEvT1_
; %bb.0:
	.section	.rodata,"a",@progbits
	.p2align	6, 0x0
	.amdhsa_kernel _ZN7rocprim17ROCPRIM_400000_NS6detail17trampoline_kernelINS0_14default_configENS1_20scan_config_selectorIfEEZZNS1_9scan_implILNS1_25lookback_scan_determinismE0ELb1ELb1ES3_N6thrust23THRUST_200600_302600_NS6detail15normal_iteratorINS9_10device_ptrIfEEEENS9_16discard_iteratorINS9_11use_defaultEEEf11max_functorIfEfEEDaPvRmT3_T4_T5_mT6_P12ihipStream_tbENKUlT_T0_E_clISt17integral_constantIbLb1EESX_EEDaSS_ST_EUlSS_E0_NS1_11comp_targetILNS1_3genE2ELNS1_11target_archE906ELNS1_3gpuE6ELNS1_3repE0EEENS1_30default_config_static_selectorELNS0_4arch9wavefront6targetE1EEEvT1_
		.amdhsa_group_segment_fixed_size 0
		.amdhsa_private_segment_fixed_size 0
		.amdhsa_kernarg_size 40
		.amdhsa_user_sgpr_count 6
		.amdhsa_user_sgpr_private_segment_buffer 1
		.amdhsa_user_sgpr_dispatch_ptr 0
		.amdhsa_user_sgpr_queue_ptr 0
		.amdhsa_user_sgpr_kernarg_segment_ptr 1
		.amdhsa_user_sgpr_dispatch_id 0
		.amdhsa_user_sgpr_flat_scratch_init 0
		.amdhsa_user_sgpr_kernarg_preload_length 0
		.amdhsa_user_sgpr_kernarg_preload_offset 0
		.amdhsa_user_sgpr_private_segment_size 0
		.amdhsa_uses_dynamic_stack 0
		.amdhsa_system_sgpr_private_segment_wavefront_offset 0
		.amdhsa_system_sgpr_workgroup_id_x 1
		.amdhsa_system_sgpr_workgroup_id_y 0
		.amdhsa_system_sgpr_workgroup_id_z 0
		.amdhsa_system_sgpr_workgroup_info 0
		.amdhsa_system_vgpr_workitem_id 0
		.amdhsa_next_free_vgpr 1
		.amdhsa_next_free_sgpr 0
		.amdhsa_accum_offset 4
		.amdhsa_reserve_vcc 0
		.amdhsa_reserve_flat_scratch 0
		.amdhsa_float_round_mode_32 0
		.amdhsa_float_round_mode_16_64 0
		.amdhsa_float_denorm_mode_32 3
		.amdhsa_float_denorm_mode_16_64 3
		.amdhsa_dx10_clamp 1
		.amdhsa_ieee_mode 1
		.amdhsa_fp16_overflow 0
		.amdhsa_tg_split 0
		.amdhsa_exception_fp_ieee_invalid_op 0
		.amdhsa_exception_fp_denorm_src 0
		.amdhsa_exception_fp_ieee_div_zero 0
		.amdhsa_exception_fp_ieee_overflow 0
		.amdhsa_exception_fp_ieee_underflow 0
		.amdhsa_exception_fp_ieee_inexact 0
		.amdhsa_exception_int_div_zero 0
	.end_amdhsa_kernel
	.section	.text._ZN7rocprim17ROCPRIM_400000_NS6detail17trampoline_kernelINS0_14default_configENS1_20scan_config_selectorIfEEZZNS1_9scan_implILNS1_25lookback_scan_determinismE0ELb1ELb1ES3_N6thrust23THRUST_200600_302600_NS6detail15normal_iteratorINS9_10device_ptrIfEEEENS9_16discard_iteratorINS9_11use_defaultEEEf11max_functorIfEfEEDaPvRmT3_T4_T5_mT6_P12ihipStream_tbENKUlT_T0_E_clISt17integral_constantIbLb1EESX_EEDaSS_ST_EUlSS_E0_NS1_11comp_targetILNS1_3genE2ELNS1_11target_archE906ELNS1_3gpuE6ELNS1_3repE0EEENS1_30default_config_static_selectorELNS0_4arch9wavefront6targetE1EEEvT1_,"axG",@progbits,_ZN7rocprim17ROCPRIM_400000_NS6detail17trampoline_kernelINS0_14default_configENS1_20scan_config_selectorIfEEZZNS1_9scan_implILNS1_25lookback_scan_determinismE0ELb1ELb1ES3_N6thrust23THRUST_200600_302600_NS6detail15normal_iteratorINS9_10device_ptrIfEEEENS9_16discard_iteratorINS9_11use_defaultEEEf11max_functorIfEfEEDaPvRmT3_T4_T5_mT6_P12ihipStream_tbENKUlT_T0_E_clISt17integral_constantIbLb1EESX_EEDaSS_ST_EUlSS_E0_NS1_11comp_targetILNS1_3genE2ELNS1_11target_archE906ELNS1_3gpuE6ELNS1_3repE0EEENS1_30default_config_static_selectorELNS0_4arch9wavefront6targetE1EEEvT1_,comdat
.Lfunc_end3237:
	.size	_ZN7rocprim17ROCPRIM_400000_NS6detail17trampoline_kernelINS0_14default_configENS1_20scan_config_selectorIfEEZZNS1_9scan_implILNS1_25lookback_scan_determinismE0ELb1ELb1ES3_N6thrust23THRUST_200600_302600_NS6detail15normal_iteratorINS9_10device_ptrIfEEEENS9_16discard_iteratorINS9_11use_defaultEEEf11max_functorIfEfEEDaPvRmT3_T4_T5_mT6_P12ihipStream_tbENKUlT_T0_E_clISt17integral_constantIbLb1EESX_EEDaSS_ST_EUlSS_E0_NS1_11comp_targetILNS1_3genE2ELNS1_11target_archE906ELNS1_3gpuE6ELNS1_3repE0EEENS1_30default_config_static_selectorELNS0_4arch9wavefront6targetE1EEEvT1_, .Lfunc_end3237-_ZN7rocprim17ROCPRIM_400000_NS6detail17trampoline_kernelINS0_14default_configENS1_20scan_config_selectorIfEEZZNS1_9scan_implILNS1_25lookback_scan_determinismE0ELb1ELb1ES3_N6thrust23THRUST_200600_302600_NS6detail15normal_iteratorINS9_10device_ptrIfEEEENS9_16discard_iteratorINS9_11use_defaultEEEf11max_functorIfEfEEDaPvRmT3_T4_T5_mT6_P12ihipStream_tbENKUlT_T0_E_clISt17integral_constantIbLb1EESX_EEDaSS_ST_EUlSS_E0_NS1_11comp_targetILNS1_3genE2ELNS1_11target_archE906ELNS1_3gpuE6ELNS1_3repE0EEENS1_30default_config_static_selectorELNS0_4arch9wavefront6targetE1EEEvT1_
                                        ; -- End function
	.section	.AMDGPU.csdata,"",@progbits
; Kernel info:
; codeLenInByte = 0
; NumSgprs: 4
; NumVgprs: 0
; NumAgprs: 0
; TotalNumVgprs: 0
; ScratchSize: 0
; MemoryBound: 0
; FloatMode: 240
; IeeeMode: 1
; LDSByteSize: 0 bytes/workgroup (compile time only)
; SGPRBlocks: 0
; VGPRBlocks: 0
; NumSGPRsForWavesPerEU: 4
; NumVGPRsForWavesPerEU: 1
; AccumOffset: 4
; Occupancy: 8
; WaveLimiterHint : 0
; COMPUTE_PGM_RSRC2:SCRATCH_EN: 0
; COMPUTE_PGM_RSRC2:USER_SGPR: 6
; COMPUTE_PGM_RSRC2:TRAP_HANDLER: 0
; COMPUTE_PGM_RSRC2:TGID_X_EN: 1
; COMPUTE_PGM_RSRC2:TGID_Y_EN: 0
; COMPUTE_PGM_RSRC2:TGID_Z_EN: 0
; COMPUTE_PGM_RSRC2:TIDIG_COMP_CNT: 0
; COMPUTE_PGM_RSRC3_GFX90A:ACCUM_OFFSET: 0
; COMPUTE_PGM_RSRC3_GFX90A:TG_SPLIT: 0
	.section	.text._ZN7rocprim17ROCPRIM_400000_NS6detail17trampoline_kernelINS0_14default_configENS1_20scan_config_selectorIfEEZZNS1_9scan_implILNS1_25lookback_scan_determinismE0ELb1ELb1ES3_N6thrust23THRUST_200600_302600_NS6detail15normal_iteratorINS9_10device_ptrIfEEEENS9_16discard_iteratorINS9_11use_defaultEEEf11max_functorIfEfEEDaPvRmT3_T4_T5_mT6_P12ihipStream_tbENKUlT_T0_E_clISt17integral_constantIbLb1EESX_EEDaSS_ST_EUlSS_E0_NS1_11comp_targetILNS1_3genE10ELNS1_11target_archE1201ELNS1_3gpuE5ELNS1_3repE0EEENS1_30default_config_static_selectorELNS0_4arch9wavefront6targetE1EEEvT1_,"axG",@progbits,_ZN7rocprim17ROCPRIM_400000_NS6detail17trampoline_kernelINS0_14default_configENS1_20scan_config_selectorIfEEZZNS1_9scan_implILNS1_25lookback_scan_determinismE0ELb1ELb1ES3_N6thrust23THRUST_200600_302600_NS6detail15normal_iteratorINS9_10device_ptrIfEEEENS9_16discard_iteratorINS9_11use_defaultEEEf11max_functorIfEfEEDaPvRmT3_T4_T5_mT6_P12ihipStream_tbENKUlT_T0_E_clISt17integral_constantIbLb1EESX_EEDaSS_ST_EUlSS_E0_NS1_11comp_targetILNS1_3genE10ELNS1_11target_archE1201ELNS1_3gpuE5ELNS1_3repE0EEENS1_30default_config_static_selectorELNS0_4arch9wavefront6targetE1EEEvT1_,comdat
	.protected	_ZN7rocprim17ROCPRIM_400000_NS6detail17trampoline_kernelINS0_14default_configENS1_20scan_config_selectorIfEEZZNS1_9scan_implILNS1_25lookback_scan_determinismE0ELb1ELb1ES3_N6thrust23THRUST_200600_302600_NS6detail15normal_iteratorINS9_10device_ptrIfEEEENS9_16discard_iteratorINS9_11use_defaultEEEf11max_functorIfEfEEDaPvRmT3_T4_T5_mT6_P12ihipStream_tbENKUlT_T0_E_clISt17integral_constantIbLb1EESX_EEDaSS_ST_EUlSS_E0_NS1_11comp_targetILNS1_3genE10ELNS1_11target_archE1201ELNS1_3gpuE5ELNS1_3repE0EEENS1_30default_config_static_selectorELNS0_4arch9wavefront6targetE1EEEvT1_ ; -- Begin function _ZN7rocprim17ROCPRIM_400000_NS6detail17trampoline_kernelINS0_14default_configENS1_20scan_config_selectorIfEEZZNS1_9scan_implILNS1_25lookback_scan_determinismE0ELb1ELb1ES3_N6thrust23THRUST_200600_302600_NS6detail15normal_iteratorINS9_10device_ptrIfEEEENS9_16discard_iteratorINS9_11use_defaultEEEf11max_functorIfEfEEDaPvRmT3_T4_T5_mT6_P12ihipStream_tbENKUlT_T0_E_clISt17integral_constantIbLb1EESX_EEDaSS_ST_EUlSS_E0_NS1_11comp_targetILNS1_3genE10ELNS1_11target_archE1201ELNS1_3gpuE5ELNS1_3repE0EEENS1_30default_config_static_selectorELNS0_4arch9wavefront6targetE1EEEvT1_
	.globl	_ZN7rocprim17ROCPRIM_400000_NS6detail17trampoline_kernelINS0_14default_configENS1_20scan_config_selectorIfEEZZNS1_9scan_implILNS1_25lookback_scan_determinismE0ELb1ELb1ES3_N6thrust23THRUST_200600_302600_NS6detail15normal_iteratorINS9_10device_ptrIfEEEENS9_16discard_iteratorINS9_11use_defaultEEEf11max_functorIfEfEEDaPvRmT3_T4_T5_mT6_P12ihipStream_tbENKUlT_T0_E_clISt17integral_constantIbLb1EESX_EEDaSS_ST_EUlSS_E0_NS1_11comp_targetILNS1_3genE10ELNS1_11target_archE1201ELNS1_3gpuE5ELNS1_3repE0EEENS1_30default_config_static_selectorELNS0_4arch9wavefront6targetE1EEEvT1_
	.p2align	8
	.type	_ZN7rocprim17ROCPRIM_400000_NS6detail17trampoline_kernelINS0_14default_configENS1_20scan_config_selectorIfEEZZNS1_9scan_implILNS1_25lookback_scan_determinismE0ELb1ELb1ES3_N6thrust23THRUST_200600_302600_NS6detail15normal_iteratorINS9_10device_ptrIfEEEENS9_16discard_iteratorINS9_11use_defaultEEEf11max_functorIfEfEEDaPvRmT3_T4_T5_mT6_P12ihipStream_tbENKUlT_T0_E_clISt17integral_constantIbLb1EESX_EEDaSS_ST_EUlSS_E0_NS1_11comp_targetILNS1_3genE10ELNS1_11target_archE1201ELNS1_3gpuE5ELNS1_3repE0EEENS1_30default_config_static_selectorELNS0_4arch9wavefront6targetE1EEEvT1_,@function
_ZN7rocprim17ROCPRIM_400000_NS6detail17trampoline_kernelINS0_14default_configENS1_20scan_config_selectorIfEEZZNS1_9scan_implILNS1_25lookback_scan_determinismE0ELb1ELb1ES3_N6thrust23THRUST_200600_302600_NS6detail15normal_iteratorINS9_10device_ptrIfEEEENS9_16discard_iteratorINS9_11use_defaultEEEf11max_functorIfEfEEDaPvRmT3_T4_T5_mT6_P12ihipStream_tbENKUlT_T0_E_clISt17integral_constantIbLb1EESX_EEDaSS_ST_EUlSS_E0_NS1_11comp_targetILNS1_3genE10ELNS1_11target_archE1201ELNS1_3gpuE5ELNS1_3repE0EEENS1_30default_config_static_selectorELNS0_4arch9wavefront6targetE1EEEvT1_: ; @_ZN7rocprim17ROCPRIM_400000_NS6detail17trampoline_kernelINS0_14default_configENS1_20scan_config_selectorIfEEZZNS1_9scan_implILNS1_25lookback_scan_determinismE0ELb1ELb1ES3_N6thrust23THRUST_200600_302600_NS6detail15normal_iteratorINS9_10device_ptrIfEEEENS9_16discard_iteratorINS9_11use_defaultEEEf11max_functorIfEfEEDaPvRmT3_T4_T5_mT6_P12ihipStream_tbENKUlT_T0_E_clISt17integral_constantIbLb1EESX_EEDaSS_ST_EUlSS_E0_NS1_11comp_targetILNS1_3genE10ELNS1_11target_archE1201ELNS1_3gpuE5ELNS1_3repE0EEENS1_30default_config_static_selectorELNS0_4arch9wavefront6targetE1EEEvT1_
; %bb.0:
	.section	.rodata,"a",@progbits
	.p2align	6, 0x0
	.amdhsa_kernel _ZN7rocprim17ROCPRIM_400000_NS6detail17trampoline_kernelINS0_14default_configENS1_20scan_config_selectorIfEEZZNS1_9scan_implILNS1_25lookback_scan_determinismE0ELb1ELb1ES3_N6thrust23THRUST_200600_302600_NS6detail15normal_iteratorINS9_10device_ptrIfEEEENS9_16discard_iteratorINS9_11use_defaultEEEf11max_functorIfEfEEDaPvRmT3_T4_T5_mT6_P12ihipStream_tbENKUlT_T0_E_clISt17integral_constantIbLb1EESX_EEDaSS_ST_EUlSS_E0_NS1_11comp_targetILNS1_3genE10ELNS1_11target_archE1201ELNS1_3gpuE5ELNS1_3repE0EEENS1_30default_config_static_selectorELNS0_4arch9wavefront6targetE1EEEvT1_
		.amdhsa_group_segment_fixed_size 0
		.amdhsa_private_segment_fixed_size 0
		.amdhsa_kernarg_size 40
		.amdhsa_user_sgpr_count 6
		.amdhsa_user_sgpr_private_segment_buffer 1
		.amdhsa_user_sgpr_dispatch_ptr 0
		.amdhsa_user_sgpr_queue_ptr 0
		.amdhsa_user_sgpr_kernarg_segment_ptr 1
		.amdhsa_user_sgpr_dispatch_id 0
		.amdhsa_user_sgpr_flat_scratch_init 0
		.amdhsa_user_sgpr_kernarg_preload_length 0
		.amdhsa_user_sgpr_kernarg_preload_offset 0
		.amdhsa_user_sgpr_private_segment_size 0
		.amdhsa_uses_dynamic_stack 0
		.amdhsa_system_sgpr_private_segment_wavefront_offset 0
		.amdhsa_system_sgpr_workgroup_id_x 1
		.amdhsa_system_sgpr_workgroup_id_y 0
		.amdhsa_system_sgpr_workgroup_id_z 0
		.amdhsa_system_sgpr_workgroup_info 0
		.amdhsa_system_vgpr_workitem_id 0
		.amdhsa_next_free_vgpr 1
		.amdhsa_next_free_sgpr 0
		.amdhsa_accum_offset 4
		.amdhsa_reserve_vcc 0
		.amdhsa_reserve_flat_scratch 0
		.amdhsa_float_round_mode_32 0
		.amdhsa_float_round_mode_16_64 0
		.amdhsa_float_denorm_mode_32 3
		.amdhsa_float_denorm_mode_16_64 3
		.amdhsa_dx10_clamp 1
		.amdhsa_ieee_mode 1
		.amdhsa_fp16_overflow 0
		.amdhsa_tg_split 0
		.amdhsa_exception_fp_ieee_invalid_op 0
		.amdhsa_exception_fp_denorm_src 0
		.amdhsa_exception_fp_ieee_div_zero 0
		.amdhsa_exception_fp_ieee_overflow 0
		.amdhsa_exception_fp_ieee_underflow 0
		.amdhsa_exception_fp_ieee_inexact 0
		.amdhsa_exception_int_div_zero 0
	.end_amdhsa_kernel
	.section	.text._ZN7rocprim17ROCPRIM_400000_NS6detail17trampoline_kernelINS0_14default_configENS1_20scan_config_selectorIfEEZZNS1_9scan_implILNS1_25lookback_scan_determinismE0ELb1ELb1ES3_N6thrust23THRUST_200600_302600_NS6detail15normal_iteratorINS9_10device_ptrIfEEEENS9_16discard_iteratorINS9_11use_defaultEEEf11max_functorIfEfEEDaPvRmT3_T4_T5_mT6_P12ihipStream_tbENKUlT_T0_E_clISt17integral_constantIbLb1EESX_EEDaSS_ST_EUlSS_E0_NS1_11comp_targetILNS1_3genE10ELNS1_11target_archE1201ELNS1_3gpuE5ELNS1_3repE0EEENS1_30default_config_static_selectorELNS0_4arch9wavefront6targetE1EEEvT1_,"axG",@progbits,_ZN7rocprim17ROCPRIM_400000_NS6detail17trampoline_kernelINS0_14default_configENS1_20scan_config_selectorIfEEZZNS1_9scan_implILNS1_25lookback_scan_determinismE0ELb1ELb1ES3_N6thrust23THRUST_200600_302600_NS6detail15normal_iteratorINS9_10device_ptrIfEEEENS9_16discard_iteratorINS9_11use_defaultEEEf11max_functorIfEfEEDaPvRmT3_T4_T5_mT6_P12ihipStream_tbENKUlT_T0_E_clISt17integral_constantIbLb1EESX_EEDaSS_ST_EUlSS_E0_NS1_11comp_targetILNS1_3genE10ELNS1_11target_archE1201ELNS1_3gpuE5ELNS1_3repE0EEENS1_30default_config_static_selectorELNS0_4arch9wavefront6targetE1EEEvT1_,comdat
.Lfunc_end3238:
	.size	_ZN7rocprim17ROCPRIM_400000_NS6detail17trampoline_kernelINS0_14default_configENS1_20scan_config_selectorIfEEZZNS1_9scan_implILNS1_25lookback_scan_determinismE0ELb1ELb1ES3_N6thrust23THRUST_200600_302600_NS6detail15normal_iteratorINS9_10device_ptrIfEEEENS9_16discard_iteratorINS9_11use_defaultEEEf11max_functorIfEfEEDaPvRmT3_T4_T5_mT6_P12ihipStream_tbENKUlT_T0_E_clISt17integral_constantIbLb1EESX_EEDaSS_ST_EUlSS_E0_NS1_11comp_targetILNS1_3genE10ELNS1_11target_archE1201ELNS1_3gpuE5ELNS1_3repE0EEENS1_30default_config_static_selectorELNS0_4arch9wavefront6targetE1EEEvT1_, .Lfunc_end3238-_ZN7rocprim17ROCPRIM_400000_NS6detail17trampoline_kernelINS0_14default_configENS1_20scan_config_selectorIfEEZZNS1_9scan_implILNS1_25lookback_scan_determinismE0ELb1ELb1ES3_N6thrust23THRUST_200600_302600_NS6detail15normal_iteratorINS9_10device_ptrIfEEEENS9_16discard_iteratorINS9_11use_defaultEEEf11max_functorIfEfEEDaPvRmT3_T4_T5_mT6_P12ihipStream_tbENKUlT_T0_E_clISt17integral_constantIbLb1EESX_EEDaSS_ST_EUlSS_E0_NS1_11comp_targetILNS1_3genE10ELNS1_11target_archE1201ELNS1_3gpuE5ELNS1_3repE0EEENS1_30default_config_static_selectorELNS0_4arch9wavefront6targetE1EEEvT1_
                                        ; -- End function
	.section	.AMDGPU.csdata,"",@progbits
; Kernel info:
; codeLenInByte = 0
; NumSgprs: 4
; NumVgprs: 0
; NumAgprs: 0
; TotalNumVgprs: 0
; ScratchSize: 0
; MemoryBound: 0
; FloatMode: 240
; IeeeMode: 1
; LDSByteSize: 0 bytes/workgroup (compile time only)
; SGPRBlocks: 0
; VGPRBlocks: 0
; NumSGPRsForWavesPerEU: 4
; NumVGPRsForWavesPerEU: 1
; AccumOffset: 4
; Occupancy: 8
; WaveLimiterHint : 0
; COMPUTE_PGM_RSRC2:SCRATCH_EN: 0
; COMPUTE_PGM_RSRC2:USER_SGPR: 6
; COMPUTE_PGM_RSRC2:TRAP_HANDLER: 0
; COMPUTE_PGM_RSRC2:TGID_X_EN: 1
; COMPUTE_PGM_RSRC2:TGID_Y_EN: 0
; COMPUTE_PGM_RSRC2:TGID_Z_EN: 0
; COMPUTE_PGM_RSRC2:TIDIG_COMP_CNT: 0
; COMPUTE_PGM_RSRC3_GFX90A:ACCUM_OFFSET: 0
; COMPUTE_PGM_RSRC3_GFX90A:TG_SPLIT: 0
	.section	.text._ZN7rocprim17ROCPRIM_400000_NS6detail17trampoline_kernelINS0_14default_configENS1_20scan_config_selectorIfEEZZNS1_9scan_implILNS1_25lookback_scan_determinismE0ELb1ELb1ES3_N6thrust23THRUST_200600_302600_NS6detail15normal_iteratorINS9_10device_ptrIfEEEENS9_16discard_iteratorINS9_11use_defaultEEEf11max_functorIfEfEEDaPvRmT3_T4_T5_mT6_P12ihipStream_tbENKUlT_T0_E_clISt17integral_constantIbLb1EESX_EEDaSS_ST_EUlSS_E0_NS1_11comp_targetILNS1_3genE10ELNS1_11target_archE1200ELNS1_3gpuE4ELNS1_3repE0EEENS1_30default_config_static_selectorELNS0_4arch9wavefront6targetE1EEEvT1_,"axG",@progbits,_ZN7rocprim17ROCPRIM_400000_NS6detail17trampoline_kernelINS0_14default_configENS1_20scan_config_selectorIfEEZZNS1_9scan_implILNS1_25lookback_scan_determinismE0ELb1ELb1ES3_N6thrust23THRUST_200600_302600_NS6detail15normal_iteratorINS9_10device_ptrIfEEEENS9_16discard_iteratorINS9_11use_defaultEEEf11max_functorIfEfEEDaPvRmT3_T4_T5_mT6_P12ihipStream_tbENKUlT_T0_E_clISt17integral_constantIbLb1EESX_EEDaSS_ST_EUlSS_E0_NS1_11comp_targetILNS1_3genE10ELNS1_11target_archE1200ELNS1_3gpuE4ELNS1_3repE0EEENS1_30default_config_static_selectorELNS0_4arch9wavefront6targetE1EEEvT1_,comdat
	.protected	_ZN7rocprim17ROCPRIM_400000_NS6detail17trampoline_kernelINS0_14default_configENS1_20scan_config_selectorIfEEZZNS1_9scan_implILNS1_25lookback_scan_determinismE0ELb1ELb1ES3_N6thrust23THRUST_200600_302600_NS6detail15normal_iteratorINS9_10device_ptrIfEEEENS9_16discard_iteratorINS9_11use_defaultEEEf11max_functorIfEfEEDaPvRmT3_T4_T5_mT6_P12ihipStream_tbENKUlT_T0_E_clISt17integral_constantIbLb1EESX_EEDaSS_ST_EUlSS_E0_NS1_11comp_targetILNS1_3genE10ELNS1_11target_archE1200ELNS1_3gpuE4ELNS1_3repE0EEENS1_30default_config_static_selectorELNS0_4arch9wavefront6targetE1EEEvT1_ ; -- Begin function _ZN7rocprim17ROCPRIM_400000_NS6detail17trampoline_kernelINS0_14default_configENS1_20scan_config_selectorIfEEZZNS1_9scan_implILNS1_25lookback_scan_determinismE0ELb1ELb1ES3_N6thrust23THRUST_200600_302600_NS6detail15normal_iteratorINS9_10device_ptrIfEEEENS9_16discard_iteratorINS9_11use_defaultEEEf11max_functorIfEfEEDaPvRmT3_T4_T5_mT6_P12ihipStream_tbENKUlT_T0_E_clISt17integral_constantIbLb1EESX_EEDaSS_ST_EUlSS_E0_NS1_11comp_targetILNS1_3genE10ELNS1_11target_archE1200ELNS1_3gpuE4ELNS1_3repE0EEENS1_30default_config_static_selectorELNS0_4arch9wavefront6targetE1EEEvT1_
	.globl	_ZN7rocprim17ROCPRIM_400000_NS6detail17trampoline_kernelINS0_14default_configENS1_20scan_config_selectorIfEEZZNS1_9scan_implILNS1_25lookback_scan_determinismE0ELb1ELb1ES3_N6thrust23THRUST_200600_302600_NS6detail15normal_iteratorINS9_10device_ptrIfEEEENS9_16discard_iteratorINS9_11use_defaultEEEf11max_functorIfEfEEDaPvRmT3_T4_T5_mT6_P12ihipStream_tbENKUlT_T0_E_clISt17integral_constantIbLb1EESX_EEDaSS_ST_EUlSS_E0_NS1_11comp_targetILNS1_3genE10ELNS1_11target_archE1200ELNS1_3gpuE4ELNS1_3repE0EEENS1_30default_config_static_selectorELNS0_4arch9wavefront6targetE1EEEvT1_
	.p2align	8
	.type	_ZN7rocprim17ROCPRIM_400000_NS6detail17trampoline_kernelINS0_14default_configENS1_20scan_config_selectorIfEEZZNS1_9scan_implILNS1_25lookback_scan_determinismE0ELb1ELb1ES3_N6thrust23THRUST_200600_302600_NS6detail15normal_iteratorINS9_10device_ptrIfEEEENS9_16discard_iteratorINS9_11use_defaultEEEf11max_functorIfEfEEDaPvRmT3_T4_T5_mT6_P12ihipStream_tbENKUlT_T0_E_clISt17integral_constantIbLb1EESX_EEDaSS_ST_EUlSS_E0_NS1_11comp_targetILNS1_3genE10ELNS1_11target_archE1200ELNS1_3gpuE4ELNS1_3repE0EEENS1_30default_config_static_selectorELNS0_4arch9wavefront6targetE1EEEvT1_,@function
_ZN7rocprim17ROCPRIM_400000_NS6detail17trampoline_kernelINS0_14default_configENS1_20scan_config_selectorIfEEZZNS1_9scan_implILNS1_25lookback_scan_determinismE0ELb1ELb1ES3_N6thrust23THRUST_200600_302600_NS6detail15normal_iteratorINS9_10device_ptrIfEEEENS9_16discard_iteratorINS9_11use_defaultEEEf11max_functorIfEfEEDaPvRmT3_T4_T5_mT6_P12ihipStream_tbENKUlT_T0_E_clISt17integral_constantIbLb1EESX_EEDaSS_ST_EUlSS_E0_NS1_11comp_targetILNS1_3genE10ELNS1_11target_archE1200ELNS1_3gpuE4ELNS1_3repE0EEENS1_30default_config_static_selectorELNS0_4arch9wavefront6targetE1EEEvT1_: ; @_ZN7rocprim17ROCPRIM_400000_NS6detail17trampoline_kernelINS0_14default_configENS1_20scan_config_selectorIfEEZZNS1_9scan_implILNS1_25lookback_scan_determinismE0ELb1ELb1ES3_N6thrust23THRUST_200600_302600_NS6detail15normal_iteratorINS9_10device_ptrIfEEEENS9_16discard_iteratorINS9_11use_defaultEEEf11max_functorIfEfEEDaPvRmT3_T4_T5_mT6_P12ihipStream_tbENKUlT_T0_E_clISt17integral_constantIbLb1EESX_EEDaSS_ST_EUlSS_E0_NS1_11comp_targetILNS1_3genE10ELNS1_11target_archE1200ELNS1_3gpuE4ELNS1_3repE0EEENS1_30default_config_static_selectorELNS0_4arch9wavefront6targetE1EEEvT1_
; %bb.0:
	.section	.rodata,"a",@progbits
	.p2align	6, 0x0
	.amdhsa_kernel _ZN7rocprim17ROCPRIM_400000_NS6detail17trampoline_kernelINS0_14default_configENS1_20scan_config_selectorIfEEZZNS1_9scan_implILNS1_25lookback_scan_determinismE0ELb1ELb1ES3_N6thrust23THRUST_200600_302600_NS6detail15normal_iteratorINS9_10device_ptrIfEEEENS9_16discard_iteratorINS9_11use_defaultEEEf11max_functorIfEfEEDaPvRmT3_T4_T5_mT6_P12ihipStream_tbENKUlT_T0_E_clISt17integral_constantIbLb1EESX_EEDaSS_ST_EUlSS_E0_NS1_11comp_targetILNS1_3genE10ELNS1_11target_archE1200ELNS1_3gpuE4ELNS1_3repE0EEENS1_30default_config_static_selectorELNS0_4arch9wavefront6targetE1EEEvT1_
		.amdhsa_group_segment_fixed_size 0
		.amdhsa_private_segment_fixed_size 0
		.amdhsa_kernarg_size 40
		.amdhsa_user_sgpr_count 6
		.amdhsa_user_sgpr_private_segment_buffer 1
		.amdhsa_user_sgpr_dispatch_ptr 0
		.amdhsa_user_sgpr_queue_ptr 0
		.amdhsa_user_sgpr_kernarg_segment_ptr 1
		.amdhsa_user_sgpr_dispatch_id 0
		.amdhsa_user_sgpr_flat_scratch_init 0
		.amdhsa_user_sgpr_kernarg_preload_length 0
		.amdhsa_user_sgpr_kernarg_preload_offset 0
		.amdhsa_user_sgpr_private_segment_size 0
		.amdhsa_uses_dynamic_stack 0
		.amdhsa_system_sgpr_private_segment_wavefront_offset 0
		.amdhsa_system_sgpr_workgroup_id_x 1
		.amdhsa_system_sgpr_workgroup_id_y 0
		.amdhsa_system_sgpr_workgroup_id_z 0
		.amdhsa_system_sgpr_workgroup_info 0
		.amdhsa_system_vgpr_workitem_id 0
		.amdhsa_next_free_vgpr 1
		.amdhsa_next_free_sgpr 0
		.amdhsa_accum_offset 4
		.amdhsa_reserve_vcc 0
		.amdhsa_reserve_flat_scratch 0
		.amdhsa_float_round_mode_32 0
		.amdhsa_float_round_mode_16_64 0
		.amdhsa_float_denorm_mode_32 3
		.amdhsa_float_denorm_mode_16_64 3
		.amdhsa_dx10_clamp 1
		.amdhsa_ieee_mode 1
		.amdhsa_fp16_overflow 0
		.amdhsa_tg_split 0
		.amdhsa_exception_fp_ieee_invalid_op 0
		.amdhsa_exception_fp_denorm_src 0
		.amdhsa_exception_fp_ieee_div_zero 0
		.amdhsa_exception_fp_ieee_overflow 0
		.amdhsa_exception_fp_ieee_underflow 0
		.amdhsa_exception_fp_ieee_inexact 0
		.amdhsa_exception_int_div_zero 0
	.end_amdhsa_kernel
	.section	.text._ZN7rocprim17ROCPRIM_400000_NS6detail17trampoline_kernelINS0_14default_configENS1_20scan_config_selectorIfEEZZNS1_9scan_implILNS1_25lookback_scan_determinismE0ELb1ELb1ES3_N6thrust23THRUST_200600_302600_NS6detail15normal_iteratorINS9_10device_ptrIfEEEENS9_16discard_iteratorINS9_11use_defaultEEEf11max_functorIfEfEEDaPvRmT3_T4_T5_mT6_P12ihipStream_tbENKUlT_T0_E_clISt17integral_constantIbLb1EESX_EEDaSS_ST_EUlSS_E0_NS1_11comp_targetILNS1_3genE10ELNS1_11target_archE1200ELNS1_3gpuE4ELNS1_3repE0EEENS1_30default_config_static_selectorELNS0_4arch9wavefront6targetE1EEEvT1_,"axG",@progbits,_ZN7rocprim17ROCPRIM_400000_NS6detail17trampoline_kernelINS0_14default_configENS1_20scan_config_selectorIfEEZZNS1_9scan_implILNS1_25lookback_scan_determinismE0ELb1ELb1ES3_N6thrust23THRUST_200600_302600_NS6detail15normal_iteratorINS9_10device_ptrIfEEEENS9_16discard_iteratorINS9_11use_defaultEEEf11max_functorIfEfEEDaPvRmT3_T4_T5_mT6_P12ihipStream_tbENKUlT_T0_E_clISt17integral_constantIbLb1EESX_EEDaSS_ST_EUlSS_E0_NS1_11comp_targetILNS1_3genE10ELNS1_11target_archE1200ELNS1_3gpuE4ELNS1_3repE0EEENS1_30default_config_static_selectorELNS0_4arch9wavefront6targetE1EEEvT1_,comdat
.Lfunc_end3239:
	.size	_ZN7rocprim17ROCPRIM_400000_NS6detail17trampoline_kernelINS0_14default_configENS1_20scan_config_selectorIfEEZZNS1_9scan_implILNS1_25lookback_scan_determinismE0ELb1ELb1ES3_N6thrust23THRUST_200600_302600_NS6detail15normal_iteratorINS9_10device_ptrIfEEEENS9_16discard_iteratorINS9_11use_defaultEEEf11max_functorIfEfEEDaPvRmT3_T4_T5_mT6_P12ihipStream_tbENKUlT_T0_E_clISt17integral_constantIbLb1EESX_EEDaSS_ST_EUlSS_E0_NS1_11comp_targetILNS1_3genE10ELNS1_11target_archE1200ELNS1_3gpuE4ELNS1_3repE0EEENS1_30default_config_static_selectorELNS0_4arch9wavefront6targetE1EEEvT1_, .Lfunc_end3239-_ZN7rocprim17ROCPRIM_400000_NS6detail17trampoline_kernelINS0_14default_configENS1_20scan_config_selectorIfEEZZNS1_9scan_implILNS1_25lookback_scan_determinismE0ELb1ELb1ES3_N6thrust23THRUST_200600_302600_NS6detail15normal_iteratorINS9_10device_ptrIfEEEENS9_16discard_iteratorINS9_11use_defaultEEEf11max_functorIfEfEEDaPvRmT3_T4_T5_mT6_P12ihipStream_tbENKUlT_T0_E_clISt17integral_constantIbLb1EESX_EEDaSS_ST_EUlSS_E0_NS1_11comp_targetILNS1_3genE10ELNS1_11target_archE1200ELNS1_3gpuE4ELNS1_3repE0EEENS1_30default_config_static_selectorELNS0_4arch9wavefront6targetE1EEEvT1_
                                        ; -- End function
	.section	.AMDGPU.csdata,"",@progbits
; Kernel info:
; codeLenInByte = 0
; NumSgprs: 4
; NumVgprs: 0
; NumAgprs: 0
; TotalNumVgprs: 0
; ScratchSize: 0
; MemoryBound: 0
; FloatMode: 240
; IeeeMode: 1
; LDSByteSize: 0 bytes/workgroup (compile time only)
; SGPRBlocks: 0
; VGPRBlocks: 0
; NumSGPRsForWavesPerEU: 4
; NumVGPRsForWavesPerEU: 1
; AccumOffset: 4
; Occupancy: 8
; WaveLimiterHint : 0
; COMPUTE_PGM_RSRC2:SCRATCH_EN: 0
; COMPUTE_PGM_RSRC2:USER_SGPR: 6
; COMPUTE_PGM_RSRC2:TRAP_HANDLER: 0
; COMPUTE_PGM_RSRC2:TGID_X_EN: 1
; COMPUTE_PGM_RSRC2:TGID_Y_EN: 0
; COMPUTE_PGM_RSRC2:TGID_Z_EN: 0
; COMPUTE_PGM_RSRC2:TIDIG_COMP_CNT: 0
; COMPUTE_PGM_RSRC3_GFX90A:ACCUM_OFFSET: 0
; COMPUTE_PGM_RSRC3_GFX90A:TG_SPLIT: 0
	.section	.text._ZN7rocprim17ROCPRIM_400000_NS6detail17trampoline_kernelINS0_14default_configENS1_20scan_config_selectorIfEEZZNS1_9scan_implILNS1_25lookback_scan_determinismE0ELb1ELb1ES3_N6thrust23THRUST_200600_302600_NS6detail15normal_iteratorINS9_10device_ptrIfEEEENS9_16discard_iteratorINS9_11use_defaultEEEf11max_functorIfEfEEDaPvRmT3_T4_T5_mT6_P12ihipStream_tbENKUlT_T0_E_clISt17integral_constantIbLb1EESX_EEDaSS_ST_EUlSS_E0_NS1_11comp_targetILNS1_3genE9ELNS1_11target_archE1100ELNS1_3gpuE3ELNS1_3repE0EEENS1_30default_config_static_selectorELNS0_4arch9wavefront6targetE1EEEvT1_,"axG",@progbits,_ZN7rocprim17ROCPRIM_400000_NS6detail17trampoline_kernelINS0_14default_configENS1_20scan_config_selectorIfEEZZNS1_9scan_implILNS1_25lookback_scan_determinismE0ELb1ELb1ES3_N6thrust23THRUST_200600_302600_NS6detail15normal_iteratorINS9_10device_ptrIfEEEENS9_16discard_iteratorINS9_11use_defaultEEEf11max_functorIfEfEEDaPvRmT3_T4_T5_mT6_P12ihipStream_tbENKUlT_T0_E_clISt17integral_constantIbLb1EESX_EEDaSS_ST_EUlSS_E0_NS1_11comp_targetILNS1_3genE9ELNS1_11target_archE1100ELNS1_3gpuE3ELNS1_3repE0EEENS1_30default_config_static_selectorELNS0_4arch9wavefront6targetE1EEEvT1_,comdat
	.protected	_ZN7rocprim17ROCPRIM_400000_NS6detail17trampoline_kernelINS0_14default_configENS1_20scan_config_selectorIfEEZZNS1_9scan_implILNS1_25lookback_scan_determinismE0ELb1ELb1ES3_N6thrust23THRUST_200600_302600_NS6detail15normal_iteratorINS9_10device_ptrIfEEEENS9_16discard_iteratorINS9_11use_defaultEEEf11max_functorIfEfEEDaPvRmT3_T4_T5_mT6_P12ihipStream_tbENKUlT_T0_E_clISt17integral_constantIbLb1EESX_EEDaSS_ST_EUlSS_E0_NS1_11comp_targetILNS1_3genE9ELNS1_11target_archE1100ELNS1_3gpuE3ELNS1_3repE0EEENS1_30default_config_static_selectorELNS0_4arch9wavefront6targetE1EEEvT1_ ; -- Begin function _ZN7rocprim17ROCPRIM_400000_NS6detail17trampoline_kernelINS0_14default_configENS1_20scan_config_selectorIfEEZZNS1_9scan_implILNS1_25lookback_scan_determinismE0ELb1ELb1ES3_N6thrust23THRUST_200600_302600_NS6detail15normal_iteratorINS9_10device_ptrIfEEEENS9_16discard_iteratorINS9_11use_defaultEEEf11max_functorIfEfEEDaPvRmT3_T4_T5_mT6_P12ihipStream_tbENKUlT_T0_E_clISt17integral_constantIbLb1EESX_EEDaSS_ST_EUlSS_E0_NS1_11comp_targetILNS1_3genE9ELNS1_11target_archE1100ELNS1_3gpuE3ELNS1_3repE0EEENS1_30default_config_static_selectorELNS0_4arch9wavefront6targetE1EEEvT1_
	.globl	_ZN7rocprim17ROCPRIM_400000_NS6detail17trampoline_kernelINS0_14default_configENS1_20scan_config_selectorIfEEZZNS1_9scan_implILNS1_25lookback_scan_determinismE0ELb1ELb1ES3_N6thrust23THRUST_200600_302600_NS6detail15normal_iteratorINS9_10device_ptrIfEEEENS9_16discard_iteratorINS9_11use_defaultEEEf11max_functorIfEfEEDaPvRmT3_T4_T5_mT6_P12ihipStream_tbENKUlT_T0_E_clISt17integral_constantIbLb1EESX_EEDaSS_ST_EUlSS_E0_NS1_11comp_targetILNS1_3genE9ELNS1_11target_archE1100ELNS1_3gpuE3ELNS1_3repE0EEENS1_30default_config_static_selectorELNS0_4arch9wavefront6targetE1EEEvT1_
	.p2align	8
	.type	_ZN7rocprim17ROCPRIM_400000_NS6detail17trampoline_kernelINS0_14default_configENS1_20scan_config_selectorIfEEZZNS1_9scan_implILNS1_25lookback_scan_determinismE0ELb1ELb1ES3_N6thrust23THRUST_200600_302600_NS6detail15normal_iteratorINS9_10device_ptrIfEEEENS9_16discard_iteratorINS9_11use_defaultEEEf11max_functorIfEfEEDaPvRmT3_T4_T5_mT6_P12ihipStream_tbENKUlT_T0_E_clISt17integral_constantIbLb1EESX_EEDaSS_ST_EUlSS_E0_NS1_11comp_targetILNS1_3genE9ELNS1_11target_archE1100ELNS1_3gpuE3ELNS1_3repE0EEENS1_30default_config_static_selectorELNS0_4arch9wavefront6targetE1EEEvT1_,@function
_ZN7rocprim17ROCPRIM_400000_NS6detail17trampoline_kernelINS0_14default_configENS1_20scan_config_selectorIfEEZZNS1_9scan_implILNS1_25lookback_scan_determinismE0ELb1ELb1ES3_N6thrust23THRUST_200600_302600_NS6detail15normal_iteratorINS9_10device_ptrIfEEEENS9_16discard_iteratorINS9_11use_defaultEEEf11max_functorIfEfEEDaPvRmT3_T4_T5_mT6_P12ihipStream_tbENKUlT_T0_E_clISt17integral_constantIbLb1EESX_EEDaSS_ST_EUlSS_E0_NS1_11comp_targetILNS1_3genE9ELNS1_11target_archE1100ELNS1_3gpuE3ELNS1_3repE0EEENS1_30default_config_static_selectorELNS0_4arch9wavefront6targetE1EEEvT1_: ; @_ZN7rocprim17ROCPRIM_400000_NS6detail17trampoline_kernelINS0_14default_configENS1_20scan_config_selectorIfEEZZNS1_9scan_implILNS1_25lookback_scan_determinismE0ELb1ELb1ES3_N6thrust23THRUST_200600_302600_NS6detail15normal_iteratorINS9_10device_ptrIfEEEENS9_16discard_iteratorINS9_11use_defaultEEEf11max_functorIfEfEEDaPvRmT3_T4_T5_mT6_P12ihipStream_tbENKUlT_T0_E_clISt17integral_constantIbLb1EESX_EEDaSS_ST_EUlSS_E0_NS1_11comp_targetILNS1_3genE9ELNS1_11target_archE1100ELNS1_3gpuE3ELNS1_3repE0EEENS1_30default_config_static_selectorELNS0_4arch9wavefront6targetE1EEEvT1_
; %bb.0:
	.section	.rodata,"a",@progbits
	.p2align	6, 0x0
	.amdhsa_kernel _ZN7rocprim17ROCPRIM_400000_NS6detail17trampoline_kernelINS0_14default_configENS1_20scan_config_selectorIfEEZZNS1_9scan_implILNS1_25lookback_scan_determinismE0ELb1ELb1ES3_N6thrust23THRUST_200600_302600_NS6detail15normal_iteratorINS9_10device_ptrIfEEEENS9_16discard_iteratorINS9_11use_defaultEEEf11max_functorIfEfEEDaPvRmT3_T4_T5_mT6_P12ihipStream_tbENKUlT_T0_E_clISt17integral_constantIbLb1EESX_EEDaSS_ST_EUlSS_E0_NS1_11comp_targetILNS1_3genE9ELNS1_11target_archE1100ELNS1_3gpuE3ELNS1_3repE0EEENS1_30default_config_static_selectorELNS0_4arch9wavefront6targetE1EEEvT1_
		.amdhsa_group_segment_fixed_size 0
		.amdhsa_private_segment_fixed_size 0
		.amdhsa_kernarg_size 40
		.amdhsa_user_sgpr_count 6
		.amdhsa_user_sgpr_private_segment_buffer 1
		.amdhsa_user_sgpr_dispatch_ptr 0
		.amdhsa_user_sgpr_queue_ptr 0
		.amdhsa_user_sgpr_kernarg_segment_ptr 1
		.amdhsa_user_sgpr_dispatch_id 0
		.amdhsa_user_sgpr_flat_scratch_init 0
		.amdhsa_user_sgpr_kernarg_preload_length 0
		.amdhsa_user_sgpr_kernarg_preload_offset 0
		.amdhsa_user_sgpr_private_segment_size 0
		.amdhsa_uses_dynamic_stack 0
		.amdhsa_system_sgpr_private_segment_wavefront_offset 0
		.amdhsa_system_sgpr_workgroup_id_x 1
		.amdhsa_system_sgpr_workgroup_id_y 0
		.amdhsa_system_sgpr_workgroup_id_z 0
		.amdhsa_system_sgpr_workgroup_info 0
		.amdhsa_system_vgpr_workitem_id 0
		.amdhsa_next_free_vgpr 1
		.amdhsa_next_free_sgpr 0
		.amdhsa_accum_offset 4
		.amdhsa_reserve_vcc 0
		.amdhsa_reserve_flat_scratch 0
		.amdhsa_float_round_mode_32 0
		.amdhsa_float_round_mode_16_64 0
		.amdhsa_float_denorm_mode_32 3
		.amdhsa_float_denorm_mode_16_64 3
		.amdhsa_dx10_clamp 1
		.amdhsa_ieee_mode 1
		.amdhsa_fp16_overflow 0
		.amdhsa_tg_split 0
		.amdhsa_exception_fp_ieee_invalid_op 0
		.amdhsa_exception_fp_denorm_src 0
		.amdhsa_exception_fp_ieee_div_zero 0
		.amdhsa_exception_fp_ieee_overflow 0
		.amdhsa_exception_fp_ieee_underflow 0
		.amdhsa_exception_fp_ieee_inexact 0
		.amdhsa_exception_int_div_zero 0
	.end_amdhsa_kernel
	.section	.text._ZN7rocprim17ROCPRIM_400000_NS6detail17trampoline_kernelINS0_14default_configENS1_20scan_config_selectorIfEEZZNS1_9scan_implILNS1_25lookback_scan_determinismE0ELb1ELb1ES3_N6thrust23THRUST_200600_302600_NS6detail15normal_iteratorINS9_10device_ptrIfEEEENS9_16discard_iteratorINS9_11use_defaultEEEf11max_functorIfEfEEDaPvRmT3_T4_T5_mT6_P12ihipStream_tbENKUlT_T0_E_clISt17integral_constantIbLb1EESX_EEDaSS_ST_EUlSS_E0_NS1_11comp_targetILNS1_3genE9ELNS1_11target_archE1100ELNS1_3gpuE3ELNS1_3repE0EEENS1_30default_config_static_selectorELNS0_4arch9wavefront6targetE1EEEvT1_,"axG",@progbits,_ZN7rocprim17ROCPRIM_400000_NS6detail17trampoline_kernelINS0_14default_configENS1_20scan_config_selectorIfEEZZNS1_9scan_implILNS1_25lookback_scan_determinismE0ELb1ELb1ES3_N6thrust23THRUST_200600_302600_NS6detail15normal_iteratorINS9_10device_ptrIfEEEENS9_16discard_iteratorINS9_11use_defaultEEEf11max_functorIfEfEEDaPvRmT3_T4_T5_mT6_P12ihipStream_tbENKUlT_T0_E_clISt17integral_constantIbLb1EESX_EEDaSS_ST_EUlSS_E0_NS1_11comp_targetILNS1_3genE9ELNS1_11target_archE1100ELNS1_3gpuE3ELNS1_3repE0EEENS1_30default_config_static_selectorELNS0_4arch9wavefront6targetE1EEEvT1_,comdat
.Lfunc_end3240:
	.size	_ZN7rocprim17ROCPRIM_400000_NS6detail17trampoline_kernelINS0_14default_configENS1_20scan_config_selectorIfEEZZNS1_9scan_implILNS1_25lookback_scan_determinismE0ELb1ELb1ES3_N6thrust23THRUST_200600_302600_NS6detail15normal_iteratorINS9_10device_ptrIfEEEENS9_16discard_iteratorINS9_11use_defaultEEEf11max_functorIfEfEEDaPvRmT3_T4_T5_mT6_P12ihipStream_tbENKUlT_T0_E_clISt17integral_constantIbLb1EESX_EEDaSS_ST_EUlSS_E0_NS1_11comp_targetILNS1_3genE9ELNS1_11target_archE1100ELNS1_3gpuE3ELNS1_3repE0EEENS1_30default_config_static_selectorELNS0_4arch9wavefront6targetE1EEEvT1_, .Lfunc_end3240-_ZN7rocprim17ROCPRIM_400000_NS6detail17trampoline_kernelINS0_14default_configENS1_20scan_config_selectorIfEEZZNS1_9scan_implILNS1_25lookback_scan_determinismE0ELb1ELb1ES3_N6thrust23THRUST_200600_302600_NS6detail15normal_iteratorINS9_10device_ptrIfEEEENS9_16discard_iteratorINS9_11use_defaultEEEf11max_functorIfEfEEDaPvRmT3_T4_T5_mT6_P12ihipStream_tbENKUlT_T0_E_clISt17integral_constantIbLb1EESX_EEDaSS_ST_EUlSS_E0_NS1_11comp_targetILNS1_3genE9ELNS1_11target_archE1100ELNS1_3gpuE3ELNS1_3repE0EEENS1_30default_config_static_selectorELNS0_4arch9wavefront6targetE1EEEvT1_
                                        ; -- End function
	.section	.AMDGPU.csdata,"",@progbits
; Kernel info:
; codeLenInByte = 0
; NumSgprs: 4
; NumVgprs: 0
; NumAgprs: 0
; TotalNumVgprs: 0
; ScratchSize: 0
; MemoryBound: 0
; FloatMode: 240
; IeeeMode: 1
; LDSByteSize: 0 bytes/workgroup (compile time only)
; SGPRBlocks: 0
; VGPRBlocks: 0
; NumSGPRsForWavesPerEU: 4
; NumVGPRsForWavesPerEU: 1
; AccumOffset: 4
; Occupancy: 8
; WaveLimiterHint : 0
; COMPUTE_PGM_RSRC2:SCRATCH_EN: 0
; COMPUTE_PGM_RSRC2:USER_SGPR: 6
; COMPUTE_PGM_RSRC2:TRAP_HANDLER: 0
; COMPUTE_PGM_RSRC2:TGID_X_EN: 1
; COMPUTE_PGM_RSRC2:TGID_Y_EN: 0
; COMPUTE_PGM_RSRC2:TGID_Z_EN: 0
; COMPUTE_PGM_RSRC2:TIDIG_COMP_CNT: 0
; COMPUTE_PGM_RSRC3_GFX90A:ACCUM_OFFSET: 0
; COMPUTE_PGM_RSRC3_GFX90A:TG_SPLIT: 0
	.section	.text._ZN7rocprim17ROCPRIM_400000_NS6detail17trampoline_kernelINS0_14default_configENS1_20scan_config_selectorIfEEZZNS1_9scan_implILNS1_25lookback_scan_determinismE0ELb1ELb1ES3_N6thrust23THRUST_200600_302600_NS6detail15normal_iteratorINS9_10device_ptrIfEEEENS9_16discard_iteratorINS9_11use_defaultEEEf11max_functorIfEfEEDaPvRmT3_T4_T5_mT6_P12ihipStream_tbENKUlT_T0_E_clISt17integral_constantIbLb1EESX_EEDaSS_ST_EUlSS_E0_NS1_11comp_targetILNS1_3genE8ELNS1_11target_archE1030ELNS1_3gpuE2ELNS1_3repE0EEENS1_30default_config_static_selectorELNS0_4arch9wavefront6targetE1EEEvT1_,"axG",@progbits,_ZN7rocprim17ROCPRIM_400000_NS6detail17trampoline_kernelINS0_14default_configENS1_20scan_config_selectorIfEEZZNS1_9scan_implILNS1_25lookback_scan_determinismE0ELb1ELb1ES3_N6thrust23THRUST_200600_302600_NS6detail15normal_iteratorINS9_10device_ptrIfEEEENS9_16discard_iteratorINS9_11use_defaultEEEf11max_functorIfEfEEDaPvRmT3_T4_T5_mT6_P12ihipStream_tbENKUlT_T0_E_clISt17integral_constantIbLb1EESX_EEDaSS_ST_EUlSS_E0_NS1_11comp_targetILNS1_3genE8ELNS1_11target_archE1030ELNS1_3gpuE2ELNS1_3repE0EEENS1_30default_config_static_selectorELNS0_4arch9wavefront6targetE1EEEvT1_,comdat
	.protected	_ZN7rocprim17ROCPRIM_400000_NS6detail17trampoline_kernelINS0_14default_configENS1_20scan_config_selectorIfEEZZNS1_9scan_implILNS1_25lookback_scan_determinismE0ELb1ELb1ES3_N6thrust23THRUST_200600_302600_NS6detail15normal_iteratorINS9_10device_ptrIfEEEENS9_16discard_iteratorINS9_11use_defaultEEEf11max_functorIfEfEEDaPvRmT3_T4_T5_mT6_P12ihipStream_tbENKUlT_T0_E_clISt17integral_constantIbLb1EESX_EEDaSS_ST_EUlSS_E0_NS1_11comp_targetILNS1_3genE8ELNS1_11target_archE1030ELNS1_3gpuE2ELNS1_3repE0EEENS1_30default_config_static_selectorELNS0_4arch9wavefront6targetE1EEEvT1_ ; -- Begin function _ZN7rocprim17ROCPRIM_400000_NS6detail17trampoline_kernelINS0_14default_configENS1_20scan_config_selectorIfEEZZNS1_9scan_implILNS1_25lookback_scan_determinismE0ELb1ELb1ES3_N6thrust23THRUST_200600_302600_NS6detail15normal_iteratorINS9_10device_ptrIfEEEENS9_16discard_iteratorINS9_11use_defaultEEEf11max_functorIfEfEEDaPvRmT3_T4_T5_mT6_P12ihipStream_tbENKUlT_T0_E_clISt17integral_constantIbLb1EESX_EEDaSS_ST_EUlSS_E0_NS1_11comp_targetILNS1_3genE8ELNS1_11target_archE1030ELNS1_3gpuE2ELNS1_3repE0EEENS1_30default_config_static_selectorELNS0_4arch9wavefront6targetE1EEEvT1_
	.globl	_ZN7rocprim17ROCPRIM_400000_NS6detail17trampoline_kernelINS0_14default_configENS1_20scan_config_selectorIfEEZZNS1_9scan_implILNS1_25lookback_scan_determinismE0ELb1ELb1ES3_N6thrust23THRUST_200600_302600_NS6detail15normal_iteratorINS9_10device_ptrIfEEEENS9_16discard_iteratorINS9_11use_defaultEEEf11max_functorIfEfEEDaPvRmT3_T4_T5_mT6_P12ihipStream_tbENKUlT_T0_E_clISt17integral_constantIbLb1EESX_EEDaSS_ST_EUlSS_E0_NS1_11comp_targetILNS1_3genE8ELNS1_11target_archE1030ELNS1_3gpuE2ELNS1_3repE0EEENS1_30default_config_static_selectorELNS0_4arch9wavefront6targetE1EEEvT1_
	.p2align	8
	.type	_ZN7rocprim17ROCPRIM_400000_NS6detail17trampoline_kernelINS0_14default_configENS1_20scan_config_selectorIfEEZZNS1_9scan_implILNS1_25lookback_scan_determinismE0ELb1ELb1ES3_N6thrust23THRUST_200600_302600_NS6detail15normal_iteratorINS9_10device_ptrIfEEEENS9_16discard_iteratorINS9_11use_defaultEEEf11max_functorIfEfEEDaPvRmT3_T4_T5_mT6_P12ihipStream_tbENKUlT_T0_E_clISt17integral_constantIbLb1EESX_EEDaSS_ST_EUlSS_E0_NS1_11comp_targetILNS1_3genE8ELNS1_11target_archE1030ELNS1_3gpuE2ELNS1_3repE0EEENS1_30default_config_static_selectorELNS0_4arch9wavefront6targetE1EEEvT1_,@function
_ZN7rocprim17ROCPRIM_400000_NS6detail17trampoline_kernelINS0_14default_configENS1_20scan_config_selectorIfEEZZNS1_9scan_implILNS1_25lookback_scan_determinismE0ELb1ELb1ES3_N6thrust23THRUST_200600_302600_NS6detail15normal_iteratorINS9_10device_ptrIfEEEENS9_16discard_iteratorINS9_11use_defaultEEEf11max_functorIfEfEEDaPvRmT3_T4_T5_mT6_P12ihipStream_tbENKUlT_T0_E_clISt17integral_constantIbLb1EESX_EEDaSS_ST_EUlSS_E0_NS1_11comp_targetILNS1_3genE8ELNS1_11target_archE1030ELNS1_3gpuE2ELNS1_3repE0EEENS1_30default_config_static_selectorELNS0_4arch9wavefront6targetE1EEEvT1_: ; @_ZN7rocprim17ROCPRIM_400000_NS6detail17trampoline_kernelINS0_14default_configENS1_20scan_config_selectorIfEEZZNS1_9scan_implILNS1_25lookback_scan_determinismE0ELb1ELb1ES3_N6thrust23THRUST_200600_302600_NS6detail15normal_iteratorINS9_10device_ptrIfEEEENS9_16discard_iteratorINS9_11use_defaultEEEf11max_functorIfEfEEDaPvRmT3_T4_T5_mT6_P12ihipStream_tbENKUlT_T0_E_clISt17integral_constantIbLb1EESX_EEDaSS_ST_EUlSS_E0_NS1_11comp_targetILNS1_3genE8ELNS1_11target_archE1030ELNS1_3gpuE2ELNS1_3repE0EEENS1_30default_config_static_selectorELNS0_4arch9wavefront6targetE1EEEvT1_
; %bb.0:
	.section	.rodata,"a",@progbits
	.p2align	6, 0x0
	.amdhsa_kernel _ZN7rocprim17ROCPRIM_400000_NS6detail17trampoline_kernelINS0_14default_configENS1_20scan_config_selectorIfEEZZNS1_9scan_implILNS1_25lookback_scan_determinismE0ELb1ELb1ES3_N6thrust23THRUST_200600_302600_NS6detail15normal_iteratorINS9_10device_ptrIfEEEENS9_16discard_iteratorINS9_11use_defaultEEEf11max_functorIfEfEEDaPvRmT3_T4_T5_mT6_P12ihipStream_tbENKUlT_T0_E_clISt17integral_constantIbLb1EESX_EEDaSS_ST_EUlSS_E0_NS1_11comp_targetILNS1_3genE8ELNS1_11target_archE1030ELNS1_3gpuE2ELNS1_3repE0EEENS1_30default_config_static_selectorELNS0_4arch9wavefront6targetE1EEEvT1_
		.amdhsa_group_segment_fixed_size 0
		.amdhsa_private_segment_fixed_size 0
		.amdhsa_kernarg_size 40
		.amdhsa_user_sgpr_count 6
		.amdhsa_user_sgpr_private_segment_buffer 1
		.amdhsa_user_sgpr_dispatch_ptr 0
		.amdhsa_user_sgpr_queue_ptr 0
		.amdhsa_user_sgpr_kernarg_segment_ptr 1
		.amdhsa_user_sgpr_dispatch_id 0
		.amdhsa_user_sgpr_flat_scratch_init 0
		.amdhsa_user_sgpr_kernarg_preload_length 0
		.amdhsa_user_sgpr_kernarg_preload_offset 0
		.amdhsa_user_sgpr_private_segment_size 0
		.amdhsa_uses_dynamic_stack 0
		.amdhsa_system_sgpr_private_segment_wavefront_offset 0
		.amdhsa_system_sgpr_workgroup_id_x 1
		.amdhsa_system_sgpr_workgroup_id_y 0
		.amdhsa_system_sgpr_workgroup_id_z 0
		.amdhsa_system_sgpr_workgroup_info 0
		.amdhsa_system_vgpr_workitem_id 0
		.amdhsa_next_free_vgpr 1
		.amdhsa_next_free_sgpr 0
		.amdhsa_accum_offset 4
		.amdhsa_reserve_vcc 0
		.amdhsa_reserve_flat_scratch 0
		.amdhsa_float_round_mode_32 0
		.amdhsa_float_round_mode_16_64 0
		.amdhsa_float_denorm_mode_32 3
		.amdhsa_float_denorm_mode_16_64 3
		.amdhsa_dx10_clamp 1
		.amdhsa_ieee_mode 1
		.amdhsa_fp16_overflow 0
		.amdhsa_tg_split 0
		.amdhsa_exception_fp_ieee_invalid_op 0
		.amdhsa_exception_fp_denorm_src 0
		.amdhsa_exception_fp_ieee_div_zero 0
		.amdhsa_exception_fp_ieee_overflow 0
		.amdhsa_exception_fp_ieee_underflow 0
		.amdhsa_exception_fp_ieee_inexact 0
		.amdhsa_exception_int_div_zero 0
	.end_amdhsa_kernel
	.section	.text._ZN7rocprim17ROCPRIM_400000_NS6detail17trampoline_kernelINS0_14default_configENS1_20scan_config_selectorIfEEZZNS1_9scan_implILNS1_25lookback_scan_determinismE0ELb1ELb1ES3_N6thrust23THRUST_200600_302600_NS6detail15normal_iteratorINS9_10device_ptrIfEEEENS9_16discard_iteratorINS9_11use_defaultEEEf11max_functorIfEfEEDaPvRmT3_T4_T5_mT6_P12ihipStream_tbENKUlT_T0_E_clISt17integral_constantIbLb1EESX_EEDaSS_ST_EUlSS_E0_NS1_11comp_targetILNS1_3genE8ELNS1_11target_archE1030ELNS1_3gpuE2ELNS1_3repE0EEENS1_30default_config_static_selectorELNS0_4arch9wavefront6targetE1EEEvT1_,"axG",@progbits,_ZN7rocprim17ROCPRIM_400000_NS6detail17trampoline_kernelINS0_14default_configENS1_20scan_config_selectorIfEEZZNS1_9scan_implILNS1_25lookback_scan_determinismE0ELb1ELb1ES3_N6thrust23THRUST_200600_302600_NS6detail15normal_iteratorINS9_10device_ptrIfEEEENS9_16discard_iteratorINS9_11use_defaultEEEf11max_functorIfEfEEDaPvRmT3_T4_T5_mT6_P12ihipStream_tbENKUlT_T0_E_clISt17integral_constantIbLb1EESX_EEDaSS_ST_EUlSS_E0_NS1_11comp_targetILNS1_3genE8ELNS1_11target_archE1030ELNS1_3gpuE2ELNS1_3repE0EEENS1_30default_config_static_selectorELNS0_4arch9wavefront6targetE1EEEvT1_,comdat
.Lfunc_end3241:
	.size	_ZN7rocprim17ROCPRIM_400000_NS6detail17trampoline_kernelINS0_14default_configENS1_20scan_config_selectorIfEEZZNS1_9scan_implILNS1_25lookback_scan_determinismE0ELb1ELb1ES3_N6thrust23THRUST_200600_302600_NS6detail15normal_iteratorINS9_10device_ptrIfEEEENS9_16discard_iteratorINS9_11use_defaultEEEf11max_functorIfEfEEDaPvRmT3_T4_T5_mT6_P12ihipStream_tbENKUlT_T0_E_clISt17integral_constantIbLb1EESX_EEDaSS_ST_EUlSS_E0_NS1_11comp_targetILNS1_3genE8ELNS1_11target_archE1030ELNS1_3gpuE2ELNS1_3repE0EEENS1_30default_config_static_selectorELNS0_4arch9wavefront6targetE1EEEvT1_, .Lfunc_end3241-_ZN7rocprim17ROCPRIM_400000_NS6detail17trampoline_kernelINS0_14default_configENS1_20scan_config_selectorIfEEZZNS1_9scan_implILNS1_25lookback_scan_determinismE0ELb1ELb1ES3_N6thrust23THRUST_200600_302600_NS6detail15normal_iteratorINS9_10device_ptrIfEEEENS9_16discard_iteratorINS9_11use_defaultEEEf11max_functorIfEfEEDaPvRmT3_T4_T5_mT6_P12ihipStream_tbENKUlT_T0_E_clISt17integral_constantIbLb1EESX_EEDaSS_ST_EUlSS_E0_NS1_11comp_targetILNS1_3genE8ELNS1_11target_archE1030ELNS1_3gpuE2ELNS1_3repE0EEENS1_30default_config_static_selectorELNS0_4arch9wavefront6targetE1EEEvT1_
                                        ; -- End function
	.section	.AMDGPU.csdata,"",@progbits
; Kernel info:
; codeLenInByte = 0
; NumSgprs: 4
; NumVgprs: 0
; NumAgprs: 0
; TotalNumVgprs: 0
; ScratchSize: 0
; MemoryBound: 0
; FloatMode: 240
; IeeeMode: 1
; LDSByteSize: 0 bytes/workgroup (compile time only)
; SGPRBlocks: 0
; VGPRBlocks: 0
; NumSGPRsForWavesPerEU: 4
; NumVGPRsForWavesPerEU: 1
; AccumOffset: 4
; Occupancy: 8
; WaveLimiterHint : 0
; COMPUTE_PGM_RSRC2:SCRATCH_EN: 0
; COMPUTE_PGM_RSRC2:USER_SGPR: 6
; COMPUTE_PGM_RSRC2:TRAP_HANDLER: 0
; COMPUTE_PGM_RSRC2:TGID_X_EN: 1
; COMPUTE_PGM_RSRC2:TGID_Y_EN: 0
; COMPUTE_PGM_RSRC2:TGID_Z_EN: 0
; COMPUTE_PGM_RSRC2:TIDIG_COMP_CNT: 0
; COMPUTE_PGM_RSRC3_GFX90A:ACCUM_OFFSET: 0
; COMPUTE_PGM_RSRC3_GFX90A:TG_SPLIT: 0
	.section	.text._ZN7rocprim17ROCPRIM_400000_NS6detail17trampoline_kernelINS0_14default_configENS1_20scan_config_selectorIfEEZZNS1_9scan_implILNS1_25lookback_scan_determinismE0ELb1ELb1ES3_N6thrust23THRUST_200600_302600_NS6detail15normal_iteratorINS9_10device_ptrIfEEEENS9_16discard_iteratorINS9_11use_defaultEEEf11max_functorIfEfEEDaPvRmT3_T4_T5_mT6_P12ihipStream_tbENKUlT_T0_E_clISt17integral_constantIbLb1EESW_IbLb0EEEEDaSS_ST_EUlSS_E_NS1_11comp_targetILNS1_3genE0ELNS1_11target_archE4294967295ELNS1_3gpuE0ELNS1_3repE0EEENS1_30default_config_static_selectorELNS0_4arch9wavefront6targetE1EEEvT1_,"axG",@progbits,_ZN7rocprim17ROCPRIM_400000_NS6detail17trampoline_kernelINS0_14default_configENS1_20scan_config_selectorIfEEZZNS1_9scan_implILNS1_25lookback_scan_determinismE0ELb1ELb1ES3_N6thrust23THRUST_200600_302600_NS6detail15normal_iteratorINS9_10device_ptrIfEEEENS9_16discard_iteratorINS9_11use_defaultEEEf11max_functorIfEfEEDaPvRmT3_T4_T5_mT6_P12ihipStream_tbENKUlT_T0_E_clISt17integral_constantIbLb1EESW_IbLb0EEEEDaSS_ST_EUlSS_E_NS1_11comp_targetILNS1_3genE0ELNS1_11target_archE4294967295ELNS1_3gpuE0ELNS1_3repE0EEENS1_30default_config_static_selectorELNS0_4arch9wavefront6targetE1EEEvT1_,comdat
	.protected	_ZN7rocprim17ROCPRIM_400000_NS6detail17trampoline_kernelINS0_14default_configENS1_20scan_config_selectorIfEEZZNS1_9scan_implILNS1_25lookback_scan_determinismE0ELb1ELb1ES3_N6thrust23THRUST_200600_302600_NS6detail15normal_iteratorINS9_10device_ptrIfEEEENS9_16discard_iteratorINS9_11use_defaultEEEf11max_functorIfEfEEDaPvRmT3_T4_T5_mT6_P12ihipStream_tbENKUlT_T0_E_clISt17integral_constantIbLb1EESW_IbLb0EEEEDaSS_ST_EUlSS_E_NS1_11comp_targetILNS1_3genE0ELNS1_11target_archE4294967295ELNS1_3gpuE0ELNS1_3repE0EEENS1_30default_config_static_selectorELNS0_4arch9wavefront6targetE1EEEvT1_ ; -- Begin function _ZN7rocprim17ROCPRIM_400000_NS6detail17trampoline_kernelINS0_14default_configENS1_20scan_config_selectorIfEEZZNS1_9scan_implILNS1_25lookback_scan_determinismE0ELb1ELb1ES3_N6thrust23THRUST_200600_302600_NS6detail15normal_iteratorINS9_10device_ptrIfEEEENS9_16discard_iteratorINS9_11use_defaultEEEf11max_functorIfEfEEDaPvRmT3_T4_T5_mT6_P12ihipStream_tbENKUlT_T0_E_clISt17integral_constantIbLb1EESW_IbLb0EEEEDaSS_ST_EUlSS_E_NS1_11comp_targetILNS1_3genE0ELNS1_11target_archE4294967295ELNS1_3gpuE0ELNS1_3repE0EEENS1_30default_config_static_selectorELNS0_4arch9wavefront6targetE1EEEvT1_
	.globl	_ZN7rocprim17ROCPRIM_400000_NS6detail17trampoline_kernelINS0_14default_configENS1_20scan_config_selectorIfEEZZNS1_9scan_implILNS1_25lookback_scan_determinismE0ELb1ELb1ES3_N6thrust23THRUST_200600_302600_NS6detail15normal_iteratorINS9_10device_ptrIfEEEENS9_16discard_iteratorINS9_11use_defaultEEEf11max_functorIfEfEEDaPvRmT3_T4_T5_mT6_P12ihipStream_tbENKUlT_T0_E_clISt17integral_constantIbLb1EESW_IbLb0EEEEDaSS_ST_EUlSS_E_NS1_11comp_targetILNS1_3genE0ELNS1_11target_archE4294967295ELNS1_3gpuE0ELNS1_3repE0EEENS1_30default_config_static_selectorELNS0_4arch9wavefront6targetE1EEEvT1_
	.p2align	8
	.type	_ZN7rocprim17ROCPRIM_400000_NS6detail17trampoline_kernelINS0_14default_configENS1_20scan_config_selectorIfEEZZNS1_9scan_implILNS1_25lookback_scan_determinismE0ELb1ELb1ES3_N6thrust23THRUST_200600_302600_NS6detail15normal_iteratorINS9_10device_ptrIfEEEENS9_16discard_iteratorINS9_11use_defaultEEEf11max_functorIfEfEEDaPvRmT3_T4_T5_mT6_P12ihipStream_tbENKUlT_T0_E_clISt17integral_constantIbLb1EESW_IbLb0EEEEDaSS_ST_EUlSS_E_NS1_11comp_targetILNS1_3genE0ELNS1_11target_archE4294967295ELNS1_3gpuE0ELNS1_3repE0EEENS1_30default_config_static_selectorELNS0_4arch9wavefront6targetE1EEEvT1_,@function
_ZN7rocprim17ROCPRIM_400000_NS6detail17trampoline_kernelINS0_14default_configENS1_20scan_config_selectorIfEEZZNS1_9scan_implILNS1_25lookback_scan_determinismE0ELb1ELb1ES3_N6thrust23THRUST_200600_302600_NS6detail15normal_iteratorINS9_10device_ptrIfEEEENS9_16discard_iteratorINS9_11use_defaultEEEf11max_functorIfEfEEDaPvRmT3_T4_T5_mT6_P12ihipStream_tbENKUlT_T0_E_clISt17integral_constantIbLb1EESW_IbLb0EEEEDaSS_ST_EUlSS_E_NS1_11comp_targetILNS1_3genE0ELNS1_11target_archE4294967295ELNS1_3gpuE0ELNS1_3repE0EEENS1_30default_config_static_selectorELNS0_4arch9wavefront6targetE1EEEvT1_: ; @_ZN7rocprim17ROCPRIM_400000_NS6detail17trampoline_kernelINS0_14default_configENS1_20scan_config_selectorIfEEZZNS1_9scan_implILNS1_25lookback_scan_determinismE0ELb1ELb1ES3_N6thrust23THRUST_200600_302600_NS6detail15normal_iteratorINS9_10device_ptrIfEEEENS9_16discard_iteratorINS9_11use_defaultEEEf11max_functorIfEfEEDaPvRmT3_T4_T5_mT6_P12ihipStream_tbENKUlT_T0_E_clISt17integral_constantIbLb1EESW_IbLb0EEEEDaSS_ST_EUlSS_E_NS1_11comp_targetILNS1_3genE0ELNS1_11target_archE4294967295ELNS1_3gpuE0ELNS1_3repE0EEENS1_30default_config_static_selectorELNS0_4arch9wavefront6targetE1EEEvT1_
; %bb.0:
	.section	.rodata,"a",@progbits
	.p2align	6, 0x0
	.amdhsa_kernel _ZN7rocprim17ROCPRIM_400000_NS6detail17trampoline_kernelINS0_14default_configENS1_20scan_config_selectorIfEEZZNS1_9scan_implILNS1_25lookback_scan_determinismE0ELb1ELb1ES3_N6thrust23THRUST_200600_302600_NS6detail15normal_iteratorINS9_10device_ptrIfEEEENS9_16discard_iteratorINS9_11use_defaultEEEf11max_functorIfEfEEDaPvRmT3_T4_T5_mT6_P12ihipStream_tbENKUlT_T0_E_clISt17integral_constantIbLb1EESW_IbLb0EEEEDaSS_ST_EUlSS_E_NS1_11comp_targetILNS1_3genE0ELNS1_11target_archE4294967295ELNS1_3gpuE0ELNS1_3repE0EEENS1_30default_config_static_selectorELNS0_4arch9wavefront6targetE1EEEvT1_
		.amdhsa_group_segment_fixed_size 0
		.amdhsa_private_segment_fixed_size 0
		.amdhsa_kernarg_size 104
		.amdhsa_user_sgpr_count 6
		.amdhsa_user_sgpr_private_segment_buffer 1
		.amdhsa_user_sgpr_dispatch_ptr 0
		.amdhsa_user_sgpr_queue_ptr 0
		.amdhsa_user_sgpr_kernarg_segment_ptr 1
		.amdhsa_user_sgpr_dispatch_id 0
		.amdhsa_user_sgpr_flat_scratch_init 0
		.amdhsa_user_sgpr_kernarg_preload_length 0
		.amdhsa_user_sgpr_kernarg_preload_offset 0
		.amdhsa_user_sgpr_private_segment_size 0
		.amdhsa_uses_dynamic_stack 0
		.amdhsa_system_sgpr_private_segment_wavefront_offset 0
		.amdhsa_system_sgpr_workgroup_id_x 1
		.amdhsa_system_sgpr_workgroup_id_y 0
		.amdhsa_system_sgpr_workgroup_id_z 0
		.amdhsa_system_sgpr_workgroup_info 0
		.amdhsa_system_vgpr_workitem_id 0
		.amdhsa_next_free_vgpr 1
		.amdhsa_next_free_sgpr 0
		.amdhsa_accum_offset 4
		.amdhsa_reserve_vcc 0
		.amdhsa_reserve_flat_scratch 0
		.amdhsa_float_round_mode_32 0
		.amdhsa_float_round_mode_16_64 0
		.amdhsa_float_denorm_mode_32 3
		.amdhsa_float_denorm_mode_16_64 3
		.amdhsa_dx10_clamp 1
		.amdhsa_ieee_mode 1
		.amdhsa_fp16_overflow 0
		.amdhsa_tg_split 0
		.amdhsa_exception_fp_ieee_invalid_op 0
		.amdhsa_exception_fp_denorm_src 0
		.amdhsa_exception_fp_ieee_div_zero 0
		.amdhsa_exception_fp_ieee_overflow 0
		.amdhsa_exception_fp_ieee_underflow 0
		.amdhsa_exception_fp_ieee_inexact 0
		.amdhsa_exception_int_div_zero 0
	.end_amdhsa_kernel
	.section	.text._ZN7rocprim17ROCPRIM_400000_NS6detail17trampoline_kernelINS0_14default_configENS1_20scan_config_selectorIfEEZZNS1_9scan_implILNS1_25lookback_scan_determinismE0ELb1ELb1ES3_N6thrust23THRUST_200600_302600_NS6detail15normal_iteratorINS9_10device_ptrIfEEEENS9_16discard_iteratorINS9_11use_defaultEEEf11max_functorIfEfEEDaPvRmT3_T4_T5_mT6_P12ihipStream_tbENKUlT_T0_E_clISt17integral_constantIbLb1EESW_IbLb0EEEEDaSS_ST_EUlSS_E_NS1_11comp_targetILNS1_3genE0ELNS1_11target_archE4294967295ELNS1_3gpuE0ELNS1_3repE0EEENS1_30default_config_static_selectorELNS0_4arch9wavefront6targetE1EEEvT1_,"axG",@progbits,_ZN7rocprim17ROCPRIM_400000_NS6detail17trampoline_kernelINS0_14default_configENS1_20scan_config_selectorIfEEZZNS1_9scan_implILNS1_25lookback_scan_determinismE0ELb1ELb1ES3_N6thrust23THRUST_200600_302600_NS6detail15normal_iteratorINS9_10device_ptrIfEEEENS9_16discard_iteratorINS9_11use_defaultEEEf11max_functorIfEfEEDaPvRmT3_T4_T5_mT6_P12ihipStream_tbENKUlT_T0_E_clISt17integral_constantIbLb1EESW_IbLb0EEEEDaSS_ST_EUlSS_E_NS1_11comp_targetILNS1_3genE0ELNS1_11target_archE4294967295ELNS1_3gpuE0ELNS1_3repE0EEENS1_30default_config_static_selectorELNS0_4arch9wavefront6targetE1EEEvT1_,comdat
.Lfunc_end3242:
	.size	_ZN7rocprim17ROCPRIM_400000_NS6detail17trampoline_kernelINS0_14default_configENS1_20scan_config_selectorIfEEZZNS1_9scan_implILNS1_25lookback_scan_determinismE0ELb1ELb1ES3_N6thrust23THRUST_200600_302600_NS6detail15normal_iteratorINS9_10device_ptrIfEEEENS9_16discard_iteratorINS9_11use_defaultEEEf11max_functorIfEfEEDaPvRmT3_T4_T5_mT6_P12ihipStream_tbENKUlT_T0_E_clISt17integral_constantIbLb1EESW_IbLb0EEEEDaSS_ST_EUlSS_E_NS1_11comp_targetILNS1_3genE0ELNS1_11target_archE4294967295ELNS1_3gpuE0ELNS1_3repE0EEENS1_30default_config_static_selectorELNS0_4arch9wavefront6targetE1EEEvT1_, .Lfunc_end3242-_ZN7rocprim17ROCPRIM_400000_NS6detail17trampoline_kernelINS0_14default_configENS1_20scan_config_selectorIfEEZZNS1_9scan_implILNS1_25lookback_scan_determinismE0ELb1ELb1ES3_N6thrust23THRUST_200600_302600_NS6detail15normal_iteratorINS9_10device_ptrIfEEEENS9_16discard_iteratorINS9_11use_defaultEEEf11max_functorIfEfEEDaPvRmT3_T4_T5_mT6_P12ihipStream_tbENKUlT_T0_E_clISt17integral_constantIbLb1EESW_IbLb0EEEEDaSS_ST_EUlSS_E_NS1_11comp_targetILNS1_3genE0ELNS1_11target_archE4294967295ELNS1_3gpuE0ELNS1_3repE0EEENS1_30default_config_static_selectorELNS0_4arch9wavefront6targetE1EEEvT1_
                                        ; -- End function
	.section	.AMDGPU.csdata,"",@progbits
; Kernel info:
; codeLenInByte = 0
; NumSgprs: 4
; NumVgprs: 0
; NumAgprs: 0
; TotalNumVgprs: 0
; ScratchSize: 0
; MemoryBound: 0
; FloatMode: 240
; IeeeMode: 1
; LDSByteSize: 0 bytes/workgroup (compile time only)
; SGPRBlocks: 0
; VGPRBlocks: 0
; NumSGPRsForWavesPerEU: 4
; NumVGPRsForWavesPerEU: 1
; AccumOffset: 4
; Occupancy: 8
; WaveLimiterHint : 0
; COMPUTE_PGM_RSRC2:SCRATCH_EN: 0
; COMPUTE_PGM_RSRC2:USER_SGPR: 6
; COMPUTE_PGM_RSRC2:TRAP_HANDLER: 0
; COMPUTE_PGM_RSRC2:TGID_X_EN: 1
; COMPUTE_PGM_RSRC2:TGID_Y_EN: 0
; COMPUTE_PGM_RSRC2:TGID_Z_EN: 0
; COMPUTE_PGM_RSRC2:TIDIG_COMP_CNT: 0
; COMPUTE_PGM_RSRC3_GFX90A:ACCUM_OFFSET: 0
; COMPUTE_PGM_RSRC3_GFX90A:TG_SPLIT: 0
	.section	.text._ZN7rocprim17ROCPRIM_400000_NS6detail17trampoline_kernelINS0_14default_configENS1_20scan_config_selectorIfEEZZNS1_9scan_implILNS1_25lookback_scan_determinismE0ELb1ELb1ES3_N6thrust23THRUST_200600_302600_NS6detail15normal_iteratorINS9_10device_ptrIfEEEENS9_16discard_iteratorINS9_11use_defaultEEEf11max_functorIfEfEEDaPvRmT3_T4_T5_mT6_P12ihipStream_tbENKUlT_T0_E_clISt17integral_constantIbLb1EESW_IbLb0EEEEDaSS_ST_EUlSS_E_NS1_11comp_targetILNS1_3genE5ELNS1_11target_archE942ELNS1_3gpuE9ELNS1_3repE0EEENS1_30default_config_static_selectorELNS0_4arch9wavefront6targetE1EEEvT1_,"axG",@progbits,_ZN7rocprim17ROCPRIM_400000_NS6detail17trampoline_kernelINS0_14default_configENS1_20scan_config_selectorIfEEZZNS1_9scan_implILNS1_25lookback_scan_determinismE0ELb1ELb1ES3_N6thrust23THRUST_200600_302600_NS6detail15normal_iteratorINS9_10device_ptrIfEEEENS9_16discard_iteratorINS9_11use_defaultEEEf11max_functorIfEfEEDaPvRmT3_T4_T5_mT6_P12ihipStream_tbENKUlT_T0_E_clISt17integral_constantIbLb1EESW_IbLb0EEEEDaSS_ST_EUlSS_E_NS1_11comp_targetILNS1_3genE5ELNS1_11target_archE942ELNS1_3gpuE9ELNS1_3repE0EEENS1_30default_config_static_selectorELNS0_4arch9wavefront6targetE1EEEvT1_,comdat
	.protected	_ZN7rocprim17ROCPRIM_400000_NS6detail17trampoline_kernelINS0_14default_configENS1_20scan_config_selectorIfEEZZNS1_9scan_implILNS1_25lookback_scan_determinismE0ELb1ELb1ES3_N6thrust23THRUST_200600_302600_NS6detail15normal_iteratorINS9_10device_ptrIfEEEENS9_16discard_iteratorINS9_11use_defaultEEEf11max_functorIfEfEEDaPvRmT3_T4_T5_mT6_P12ihipStream_tbENKUlT_T0_E_clISt17integral_constantIbLb1EESW_IbLb0EEEEDaSS_ST_EUlSS_E_NS1_11comp_targetILNS1_3genE5ELNS1_11target_archE942ELNS1_3gpuE9ELNS1_3repE0EEENS1_30default_config_static_selectorELNS0_4arch9wavefront6targetE1EEEvT1_ ; -- Begin function _ZN7rocprim17ROCPRIM_400000_NS6detail17trampoline_kernelINS0_14default_configENS1_20scan_config_selectorIfEEZZNS1_9scan_implILNS1_25lookback_scan_determinismE0ELb1ELb1ES3_N6thrust23THRUST_200600_302600_NS6detail15normal_iteratorINS9_10device_ptrIfEEEENS9_16discard_iteratorINS9_11use_defaultEEEf11max_functorIfEfEEDaPvRmT3_T4_T5_mT6_P12ihipStream_tbENKUlT_T0_E_clISt17integral_constantIbLb1EESW_IbLb0EEEEDaSS_ST_EUlSS_E_NS1_11comp_targetILNS1_3genE5ELNS1_11target_archE942ELNS1_3gpuE9ELNS1_3repE0EEENS1_30default_config_static_selectorELNS0_4arch9wavefront6targetE1EEEvT1_
	.globl	_ZN7rocprim17ROCPRIM_400000_NS6detail17trampoline_kernelINS0_14default_configENS1_20scan_config_selectorIfEEZZNS1_9scan_implILNS1_25lookback_scan_determinismE0ELb1ELb1ES3_N6thrust23THRUST_200600_302600_NS6detail15normal_iteratorINS9_10device_ptrIfEEEENS9_16discard_iteratorINS9_11use_defaultEEEf11max_functorIfEfEEDaPvRmT3_T4_T5_mT6_P12ihipStream_tbENKUlT_T0_E_clISt17integral_constantIbLb1EESW_IbLb0EEEEDaSS_ST_EUlSS_E_NS1_11comp_targetILNS1_3genE5ELNS1_11target_archE942ELNS1_3gpuE9ELNS1_3repE0EEENS1_30default_config_static_selectorELNS0_4arch9wavefront6targetE1EEEvT1_
	.p2align	8
	.type	_ZN7rocprim17ROCPRIM_400000_NS6detail17trampoline_kernelINS0_14default_configENS1_20scan_config_selectorIfEEZZNS1_9scan_implILNS1_25lookback_scan_determinismE0ELb1ELb1ES3_N6thrust23THRUST_200600_302600_NS6detail15normal_iteratorINS9_10device_ptrIfEEEENS9_16discard_iteratorINS9_11use_defaultEEEf11max_functorIfEfEEDaPvRmT3_T4_T5_mT6_P12ihipStream_tbENKUlT_T0_E_clISt17integral_constantIbLb1EESW_IbLb0EEEEDaSS_ST_EUlSS_E_NS1_11comp_targetILNS1_3genE5ELNS1_11target_archE942ELNS1_3gpuE9ELNS1_3repE0EEENS1_30default_config_static_selectorELNS0_4arch9wavefront6targetE1EEEvT1_,@function
_ZN7rocprim17ROCPRIM_400000_NS6detail17trampoline_kernelINS0_14default_configENS1_20scan_config_selectorIfEEZZNS1_9scan_implILNS1_25lookback_scan_determinismE0ELb1ELb1ES3_N6thrust23THRUST_200600_302600_NS6detail15normal_iteratorINS9_10device_ptrIfEEEENS9_16discard_iteratorINS9_11use_defaultEEEf11max_functorIfEfEEDaPvRmT3_T4_T5_mT6_P12ihipStream_tbENKUlT_T0_E_clISt17integral_constantIbLb1EESW_IbLb0EEEEDaSS_ST_EUlSS_E_NS1_11comp_targetILNS1_3genE5ELNS1_11target_archE942ELNS1_3gpuE9ELNS1_3repE0EEENS1_30default_config_static_selectorELNS0_4arch9wavefront6targetE1EEEvT1_: ; @_ZN7rocprim17ROCPRIM_400000_NS6detail17trampoline_kernelINS0_14default_configENS1_20scan_config_selectorIfEEZZNS1_9scan_implILNS1_25lookback_scan_determinismE0ELb1ELb1ES3_N6thrust23THRUST_200600_302600_NS6detail15normal_iteratorINS9_10device_ptrIfEEEENS9_16discard_iteratorINS9_11use_defaultEEEf11max_functorIfEfEEDaPvRmT3_T4_T5_mT6_P12ihipStream_tbENKUlT_T0_E_clISt17integral_constantIbLb1EESW_IbLb0EEEEDaSS_ST_EUlSS_E_NS1_11comp_targetILNS1_3genE5ELNS1_11target_archE942ELNS1_3gpuE9ELNS1_3repE0EEENS1_30default_config_static_selectorELNS0_4arch9wavefront6targetE1EEEvT1_
; %bb.0:
	.section	.rodata,"a",@progbits
	.p2align	6, 0x0
	.amdhsa_kernel _ZN7rocprim17ROCPRIM_400000_NS6detail17trampoline_kernelINS0_14default_configENS1_20scan_config_selectorIfEEZZNS1_9scan_implILNS1_25lookback_scan_determinismE0ELb1ELb1ES3_N6thrust23THRUST_200600_302600_NS6detail15normal_iteratorINS9_10device_ptrIfEEEENS9_16discard_iteratorINS9_11use_defaultEEEf11max_functorIfEfEEDaPvRmT3_T4_T5_mT6_P12ihipStream_tbENKUlT_T0_E_clISt17integral_constantIbLb1EESW_IbLb0EEEEDaSS_ST_EUlSS_E_NS1_11comp_targetILNS1_3genE5ELNS1_11target_archE942ELNS1_3gpuE9ELNS1_3repE0EEENS1_30default_config_static_selectorELNS0_4arch9wavefront6targetE1EEEvT1_
		.amdhsa_group_segment_fixed_size 0
		.amdhsa_private_segment_fixed_size 0
		.amdhsa_kernarg_size 104
		.amdhsa_user_sgpr_count 6
		.amdhsa_user_sgpr_private_segment_buffer 1
		.amdhsa_user_sgpr_dispatch_ptr 0
		.amdhsa_user_sgpr_queue_ptr 0
		.amdhsa_user_sgpr_kernarg_segment_ptr 1
		.amdhsa_user_sgpr_dispatch_id 0
		.amdhsa_user_sgpr_flat_scratch_init 0
		.amdhsa_user_sgpr_kernarg_preload_length 0
		.amdhsa_user_sgpr_kernarg_preload_offset 0
		.amdhsa_user_sgpr_private_segment_size 0
		.amdhsa_uses_dynamic_stack 0
		.amdhsa_system_sgpr_private_segment_wavefront_offset 0
		.amdhsa_system_sgpr_workgroup_id_x 1
		.amdhsa_system_sgpr_workgroup_id_y 0
		.amdhsa_system_sgpr_workgroup_id_z 0
		.amdhsa_system_sgpr_workgroup_info 0
		.amdhsa_system_vgpr_workitem_id 0
		.amdhsa_next_free_vgpr 1
		.amdhsa_next_free_sgpr 0
		.amdhsa_accum_offset 4
		.amdhsa_reserve_vcc 0
		.amdhsa_reserve_flat_scratch 0
		.amdhsa_float_round_mode_32 0
		.amdhsa_float_round_mode_16_64 0
		.amdhsa_float_denorm_mode_32 3
		.amdhsa_float_denorm_mode_16_64 3
		.amdhsa_dx10_clamp 1
		.amdhsa_ieee_mode 1
		.amdhsa_fp16_overflow 0
		.amdhsa_tg_split 0
		.amdhsa_exception_fp_ieee_invalid_op 0
		.amdhsa_exception_fp_denorm_src 0
		.amdhsa_exception_fp_ieee_div_zero 0
		.amdhsa_exception_fp_ieee_overflow 0
		.amdhsa_exception_fp_ieee_underflow 0
		.amdhsa_exception_fp_ieee_inexact 0
		.amdhsa_exception_int_div_zero 0
	.end_amdhsa_kernel
	.section	.text._ZN7rocprim17ROCPRIM_400000_NS6detail17trampoline_kernelINS0_14default_configENS1_20scan_config_selectorIfEEZZNS1_9scan_implILNS1_25lookback_scan_determinismE0ELb1ELb1ES3_N6thrust23THRUST_200600_302600_NS6detail15normal_iteratorINS9_10device_ptrIfEEEENS9_16discard_iteratorINS9_11use_defaultEEEf11max_functorIfEfEEDaPvRmT3_T4_T5_mT6_P12ihipStream_tbENKUlT_T0_E_clISt17integral_constantIbLb1EESW_IbLb0EEEEDaSS_ST_EUlSS_E_NS1_11comp_targetILNS1_3genE5ELNS1_11target_archE942ELNS1_3gpuE9ELNS1_3repE0EEENS1_30default_config_static_selectorELNS0_4arch9wavefront6targetE1EEEvT1_,"axG",@progbits,_ZN7rocprim17ROCPRIM_400000_NS6detail17trampoline_kernelINS0_14default_configENS1_20scan_config_selectorIfEEZZNS1_9scan_implILNS1_25lookback_scan_determinismE0ELb1ELb1ES3_N6thrust23THRUST_200600_302600_NS6detail15normal_iteratorINS9_10device_ptrIfEEEENS9_16discard_iteratorINS9_11use_defaultEEEf11max_functorIfEfEEDaPvRmT3_T4_T5_mT6_P12ihipStream_tbENKUlT_T0_E_clISt17integral_constantIbLb1EESW_IbLb0EEEEDaSS_ST_EUlSS_E_NS1_11comp_targetILNS1_3genE5ELNS1_11target_archE942ELNS1_3gpuE9ELNS1_3repE0EEENS1_30default_config_static_selectorELNS0_4arch9wavefront6targetE1EEEvT1_,comdat
.Lfunc_end3243:
	.size	_ZN7rocprim17ROCPRIM_400000_NS6detail17trampoline_kernelINS0_14default_configENS1_20scan_config_selectorIfEEZZNS1_9scan_implILNS1_25lookback_scan_determinismE0ELb1ELb1ES3_N6thrust23THRUST_200600_302600_NS6detail15normal_iteratorINS9_10device_ptrIfEEEENS9_16discard_iteratorINS9_11use_defaultEEEf11max_functorIfEfEEDaPvRmT3_T4_T5_mT6_P12ihipStream_tbENKUlT_T0_E_clISt17integral_constantIbLb1EESW_IbLb0EEEEDaSS_ST_EUlSS_E_NS1_11comp_targetILNS1_3genE5ELNS1_11target_archE942ELNS1_3gpuE9ELNS1_3repE0EEENS1_30default_config_static_selectorELNS0_4arch9wavefront6targetE1EEEvT1_, .Lfunc_end3243-_ZN7rocprim17ROCPRIM_400000_NS6detail17trampoline_kernelINS0_14default_configENS1_20scan_config_selectorIfEEZZNS1_9scan_implILNS1_25lookback_scan_determinismE0ELb1ELb1ES3_N6thrust23THRUST_200600_302600_NS6detail15normal_iteratorINS9_10device_ptrIfEEEENS9_16discard_iteratorINS9_11use_defaultEEEf11max_functorIfEfEEDaPvRmT3_T4_T5_mT6_P12ihipStream_tbENKUlT_T0_E_clISt17integral_constantIbLb1EESW_IbLb0EEEEDaSS_ST_EUlSS_E_NS1_11comp_targetILNS1_3genE5ELNS1_11target_archE942ELNS1_3gpuE9ELNS1_3repE0EEENS1_30default_config_static_selectorELNS0_4arch9wavefront6targetE1EEEvT1_
                                        ; -- End function
	.section	.AMDGPU.csdata,"",@progbits
; Kernel info:
; codeLenInByte = 0
; NumSgprs: 4
; NumVgprs: 0
; NumAgprs: 0
; TotalNumVgprs: 0
; ScratchSize: 0
; MemoryBound: 0
; FloatMode: 240
; IeeeMode: 1
; LDSByteSize: 0 bytes/workgroup (compile time only)
; SGPRBlocks: 0
; VGPRBlocks: 0
; NumSGPRsForWavesPerEU: 4
; NumVGPRsForWavesPerEU: 1
; AccumOffset: 4
; Occupancy: 8
; WaveLimiterHint : 0
; COMPUTE_PGM_RSRC2:SCRATCH_EN: 0
; COMPUTE_PGM_RSRC2:USER_SGPR: 6
; COMPUTE_PGM_RSRC2:TRAP_HANDLER: 0
; COMPUTE_PGM_RSRC2:TGID_X_EN: 1
; COMPUTE_PGM_RSRC2:TGID_Y_EN: 0
; COMPUTE_PGM_RSRC2:TGID_Z_EN: 0
; COMPUTE_PGM_RSRC2:TIDIG_COMP_CNT: 0
; COMPUTE_PGM_RSRC3_GFX90A:ACCUM_OFFSET: 0
; COMPUTE_PGM_RSRC3_GFX90A:TG_SPLIT: 0
	.section	.text._ZN7rocprim17ROCPRIM_400000_NS6detail17trampoline_kernelINS0_14default_configENS1_20scan_config_selectorIfEEZZNS1_9scan_implILNS1_25lookback_scan_determinismE0ELb1ELb1ES3_N6thrust23THRUST_200600_302600_NS6detail15normal_iteratorINS9_10device_ptrIfEEEENS9_16discard_iteratorINS9_11use_defaultEEEf11max_functorIfEfEEDaPvRmT3_T4_T5_mT6_P12ihipStream_tbENKUlT_T0_E_clISt17integral_constantIbLb1EESW_IbLb0EEEEDaSS_ST_EUlSS_E_NS1_11comp_targetILNS1_3genE4ELNS1_11target_archE910ELNS1_3gpuE8ELNS1_3repE0EEENS1_30default_config_static_selectorELNS0_4arch9wavefront6targetE1EEEvT1_,"axG",@progbits,_ZN7rocprim17ROCPRIM_400000_NS6detail17trampoline_kernelINS0_14default_configENS1_20scan_config_selectorIfEEZZNS1_9scan_implILNS1_25lookback_scan_determinismE0ELb1ELb1ES3_N6thrust23THRUST_200600_302600_NS6detail15normal_iteratorINS9_10device_ptrIfEEEENS9_16discard_iteratorINS9_11use_defaultEEEf11max_functorIfEfEEDaPvRmT3_T4_T5_mT6_P12ihipStream_tbENKUlT_T0_E_clISt17integral_constantIbLb1EESW_IbLb0EEEEDaSS_ST_EUlSS_E_NS1_11comp_targetILNS1_3genE4ELNS1_11target_archE910ELNS1_3gpuE8ELNS1_3repE0EEENS1_30default_config_static_selectorELNS0_4arch9wavefront6targetE1EEEvT1_,comdat
	.protected	_ZN7rocprim17ROCPRIM_400000_NS6detail17trampoline_kernelINS0_14default_configENS1_20scan_config_selectorIfEEZZNS1_9scan_implILNS1_25lookback_scan_determinismE0ELb1ELb1ES3_N6thrust23THRUST_200600_302600_NS6detail15normal_iteratorINS9_10device_ptrIfEEEENS9_16discard_iteratorINS9_11use_defaultEEEf11max_functorIfEfEEDaPvRmT3_T4_T5_mT6_P12ihipStream_tbENKUlT_T0_E_clISt17integral_constantIbLb1EESW_IbLb0EEEEDaSS_ST_EUlSS_E_NS1_11comp_targetILNS1_3genE4ELNS1_11target_archE910ELNS1_3gpuE8ELNS1_3repE0EEENS1_30default_config_static_selectorELNS0_4arch9wavefront6targetE1EEEvT1_ ; -- Begin function _ZN7rocprim17ROCPRIM_400000_NS6detail17trampoline_kernelINS0_14default_configENS1_20scan_config_selectorIfEEZZNS1_9scan_implILNS1_25lookback_scan_determinismE0ELb1ELb1ES3_N6thrust23THRUST_200600_302600_NS6detail15normal_iteratorINS9_10device_ptrIfEEEENS9_16discard_iteratorINS9_11use_defaultEEEf11max_functorIfEfEEDaPvRmT3_T4_T5_mT6_P12ihipStream_tbENKUlT_T0_E_clISt17integral_constantIbLb1EESW_IbLb0EEEEDaSS_ST_EUlSS_E_NS1_11comp_targetILNS1_3genE4ELNS1_11target_archE910ELNS1_3gpuE8ELNS1_3repE0EEENS1_30default_config_static_selectorELNS0_4arch9wavefront6targetE1EEEvT1_
	.globl	_ZN7rocprim17ROCPRIM_400000_NS6detail17trampoline_kernelINS0_14default_configENS1_20scan_config_selectorIfEEZZNS1_9scan_implILNS1_25lookback_scan_determinismE0ELb1ELb1ES3_N6thrust23THRUST_200600_302600_NS6detail15normal_iteratorINS9_10device_ptrIfEEEENS9_16discard_iteratorINS9_11use_defaultEEEf11max_functorIfEfEEDaPvRmT3_T4_T5_mT6_P12ihipStream_tbENKUlT_T0_E_clISt17integral_constantIbLb1EESW_IbLb0EEEEDaSS_ST_EUlSS_E_NS1_11comp_targetILNS1_3genE4ELNS1_11target_archE910ELNS1_3gpuE8ELNS1_3repE0EEENS1_30default_config_static_selectorELNS0_4arch9wavefront6targetE1EEEvT1_
	.p2align	8
	.type	_ZN7rocprim17ROCPRIM_400000_NS6detail17trampoline_kernelINS0_14default_configENS1_20scan_config_selectorIfEEZZNS1_9scan_implILNS1_25lookback_scan_determinismE0ELb1ELb1ES3_N6thrust23THRUST_200600_302600_NS6detail15normal_iteratorINS9_10device_ptrIfEEEENS9_16discard_iteratorINS9_11use_defaultEEEf11max_functorIfEfEEDaPvRmT3_T4_T5_mT6_P12ihipStream_tbENKUlT_T0_E_clISt17integral_constantIbLb1EESW_IbLb0EEEEDaSS_ST_EUlSS_E_NS1_11comp_targetILNS1_3genE4ELNS1_11target_archE910ELNS1_3gpuE8ELNS1_3repE0EEENS1_30default_config_static_selectorELNS0_4arch9wavefront6targetE1EEEvT1_,@function
_ZN7rocprim17ROCPRIM_400000_NS6detail17trampoline_kernelINS0_14default_configENS1_20scan_config_selectorIfEEZZNS1_9scan_implILNS1_25lookback_scan_determinismE0ELb1ELb1ES3_N6thrust23THRUST_200600_302600_NS6detail15normal_iteratorINS9_10device_ptrIfEEEENS9_16discard_iteratorINS9_11use_defaultEEEf11max_functorIfEfEEDaPvRmT3_T4_T5_mT6_P12ihipStream_tbENKUlT_T0_E_clISt17integral_constantIbLb1EESW_IbLb0EEEEDaSS_ST_EUlSS_E_NS1_11comp_targetILNS1_3genE4ELNS1_11target_archE910ELNS1_3gpuE8ELNS1_3repE0EEENS1_30default_config_static_selectorELNS0_4arch9wavefront6targetE1EEEvT1_: ; @_ZN7rocprim17ROCPRIM_400000_NS6detail17trampoline_kernelINS0_14default_configENS1_20scan_config_selectorIfEEZZNS1_9scan_implILNS1_25lookback_scan_determinismE0ELb1ELb1ES3_N6thrust23THRUST_200600_302600_NS6detail15normal_iteratorINS9_10device_ptrIfEEEENS9_16discard_iteratorINS9_11use_defaultEEEf11max_functorIfEfEEDaPvRmT3_T4_T5_mT6_P12ihipStream_tbENKUlT_T0_E_clISt17integral_constantIbLb1EESW_IbLb0EEEEDaSS_ST_EUlSS_E_NS1_11comp_targetILNS1_3genE4ELNS1_11target_archE910ELNS1_3gpuE8ELNS1_3repE0EEENS1_30default_config_static_selectorELNS0_4arch9wavefront6targetE1EEEvT1_
; %bb.0:
	s_load_dwordx4 s[0:3], s[4:5], 0x0
	s_load_dwordx2 s[8:9], s[4:5], 0x20
	s_load_dword s10, s[4:5], 0x38
	v_lshlrev_b32_e32 v18, 2, v0
	s_waitcnt lgkmcnt(0)
	s_lshl_b64 s[2:3], s[2:3], 2
	s_add_u32 s7, s0, s2
	s_addc_u32 s22, s1, s3
	s_add_i32 s2, s10, -1
	s_mul_i32 s3, s2, 0x700
	s_sub_u32 s20, s8, s3
	s_subb_u32 s21, s9, 0
	s_mul_i32 s0, s6, 0x700
	s_mov_b32 s1, 0
	s_cmp_lg_u32 s6, s2
	s_cselect_b64 s[16:17], -1, 0
	s_lshl_b64 s[0:1], s[0:1], 2
	s_add_u32 s0, s7, s0
	s_addc_u32 s1, s22, s1
	s_mov_b64 s[2:3], -1
	s_and_b64 vcc, exec, s[16:17]
	s_cbranch_vccz .LBB3244_2
; %bb.1:
	v_mov_b32_e32 v1, s1
	v_add_co_u32_e32 v2, vcc, s0, v18
	v_addc_co_u32_e32 v3, vcc, 0, v1, vcc
	flat_load_dword v1, v[2:3]
	flat_load_dword v4, v[2:3] offset:512
	flat_load_dword v5, v[2:3] offset:1024
	;; [unrolled: 1-line block ×7, first 2 shown]
	v_add_co_u32_e32 v2, vcc, 0x1000, v2
	v_addc_co_u32_e32 v3, vcc, 0, v3, vcc
	flat_load_dword v11, v[2:3]
	flat_load_dword v12, v[2:3] offset:512
	flat_load_dword v13, v[2:3] offset:1024
	;; [unrolled: 1-line block ×5, first 2 shown]
	s_mov_b64 s[2:3], 0
	s_waitcnt vmcnt(0) lgkmcnt(0)
	ds_write2st64_b32 v18, v1, v4 offset1:2
	ds_write2st64_b32 v18, v5, v6 offset0:4 offset1:6
	ds_write2st64_b32 v18, v7, v8 offset0:8 offset1:10
	;; [unrolled: 1-line block ×6, first 2 shown]
	s_waitcnt lgkmcnt(0)
	s_barrier
.LBB3244_2:
	s_load_dwordx2 s[18:19], s[4:5], 0x30
	s_andn2_b64 vcc, exec, s[2:3]
	s_cbranch_vccnz .LBB3244_32
; %bb.3:
	v_pk_mov_b32 v[2:3], s[0:1], s[0:1] op_sel:[0,1]
	flat_load_dword v1, v[2:3]
	v_cmp_gt_u32_e32 vcc, s20, v0
	s_waitcnt vmcnt(0) lgkmcnt(0)
	v_mov_b32_e32 v2, v1
	v_mov_b32_e32 v3, v1
	;; [unrolled: 1-line block ×12, first 2 shown]
	v_pk_mov_b32 v[16:17], v[14:15], v[14:15] op_sel:[0,1]
	v_pk_mov_b32 v[14:15], v[12:13], v[12:13] op_sel:[0,1]
	v_pk_mov_b32 v[12:13], v[10:11], v[10:11] op_sel:[0,1]
	v_pk_mov_b32 v[10:11], v[8:9], v[8:9] op_sel:[0,1]
	v_pk_mov_b32 v[8:9], v[6:7], v[6:7] op_sel:[0,1]
	v_pk_mov_b32 v[6:7], v[4:5], v[4:5] op_sel:[0,1]
	v_pk_mov_b32 v[4:5], v[2:3], v[2:3] op_sel:[0,1]
	v_pk_mov_b32 v[2:3], v[0:1], v[0:1] op_sel:[0,1]
	s_and_saveexec_b64 s[2:3], vcc
	s_cbranch_execz .LBB3244_5
; %bb.4:
	v_mov_b32_e32 v3, s1
	v_add_co_u32_e32 v2, vcc, s0, v18
	v_addc_co_u32_e32 v3, vcc, 0, v3, vcc
	flat_load_dword v19, v[2:3]
	v_mov_b32_e32 v2, v1
	v_mov_b32_e32 v3, v1
	;; [unrolled: 1-line block ×12, first 2 shown]
	v_pk_mov_b32 v[16:17], v[14:15], v[14:15] op_sel:[0,1]
	v_pk_mov_b32 v[14:15], v[12:13], v[12:13] op_sel:[0,1]
	v_pk_mov_b32 v[12:13], v[10:11], v[10:11] op_sel:[0,1]
	v_pk_mov_b32 v[10:11], v[8:9], v[8:9] op_sel:[0,1]
	v_pk_mov_b32 v[8:9], v[6:7], v[6:7] op_sel:[0,1]
	v_pk_mov_b32 v[6:7], v[4:5], v[4:5] op_sel:[0,1]
	v_pk_mov_b32 v[4:5], v[2:3], v[2:3] op_sel:[0,1]
	v_pk_mov_b32 v[2:3], v[0:1], v[0:1] op_sel:[0,1]
	s_waitcnt vmcnt(0) lgkmcnt(0)
	v_mov_b32_e32 v1, v19
.LBB3244_5:
	s_or_b64 exec, exec, s[2:3]
	v_or_b32_e32 v2, 0x80, v0
	v_cmp_gt_u32_e32 vcc, s20, v2
	s_and_saveexec_b64 s[2:3], vcc
	s_cbranch_execz .LBB3244_7
; %bb.6:
	v_mov_b32_e32 v3, s1
	v_add_co_u32_e32 v2, vcc, s0, v18
	v_addc_co_u32_e32 v3, vcc, 0, v3, vcc
	flat_load_dword v3, v[2:3] offset:512
.LBB3244_7:
	s_or_b64 exec, exec, s[2:3]
	v_or_b32_e32 v2, 0x100, v0
	v_cmp_gt_u32_e32 vcc, s20, v2
	s_and_saveexec_b64 s[2:3], vcc
	s_cbranch_execz .LBB3244_9
; %bb.8:
	v_mov_b32_e32 v2, s1
	v_add_co_u32_e32 v16, vcc, s0, v18
	v_addc_co_u32_e32 v17, vcc, 0, v2, vcc
	flat_load_dword v4, v[16:17] offset:1024
.LBB3244_9:
	s_or_b64 exec, exec, s[2:3]
	v_or_b32_e32 v2, 0x180, v0
	v_cmp_gt_u32_e32 vcc, s20, v2
	s_and_saveexec_b64 s[2:3], vcc
	s_cbranch_execz .LBB3244_11
; %bb.10:
	v_mov_b32_e32 v2, s1
	v_add_co_u32_e32 v16, vcc, s0, v18
	v_addc_co_u32_e32 v17, vcc, 0, v2, vcc
	flat_load_dword v5, v[16:17] offset:1536
.LBB3244_11:
	s_or_b64 exec, exec, s[2:3]
	v_or_b32_e32 v2, 0x200, v0
	v_cmp_gt_u32_e32 vcc, s20, v2
	s_and_saveexec_b64 s[2:3], vcc
	s_cbranch_execz .LBB3244_13
; %bb.12:
	v_mov_b32_e32 v2, s1
	v_add_co_u32_e32 v16, vcc, s0, v18
	v_addc_co_u32_e32 v17, vcc, 0, v2, vcc
	flat_load_dword v6, v[16:17] offset:2048
.LBB3244_13:
	s_or_b64 exec, exec, s[2:3]
	v_or_b32_e32 v2, 0x280, v0
	v_cmp_gt_u32_e32 vcc, s20, v2
	s_and_saveexec_b64 s[2:3], vcc
	s_cbranch_execz .LBB3244_15
; %bb.14:
	v_mov_b32_e32 v2, s1
	v_add_co_u32_e32 v16, vcc, s0, v18
	v_addc_co_u32_e32 v17, vcc, 0, v2, vcc
	flat_load_dword v7, v[16:17] offset:2560
.LBB3244_15:
	s_or_b64 exec, exec, s[2:3]
	v_or_b32_e32 v2, 0x300, v0
	v_cmp_gt_u32_e32 vcc, s20, v2
	s_and_saveexec_b64 s[2:3], vcc
	s_cbranch_execz .LBB3244_17
; %bb.16:
	v_mov_b32_e32 v2, s1
	v_add_co_u32_e32 v16, vcc, s0, v18
	v_addc_co_u32_e32 v17, vcc, 0, v2, vcc
	flat_load_dword v8, v[16:17] offset:3072
.LBB3244_17:
	s_or_b64 exec, exec, s[2:3]
	v_or_b32_e32 v2, 0x380, v0
	v_cmp_gt_u32_e32 vcc, s20, v2
	s_and_saveexec_b64 s[2:3], vcc
	s_cbranch_execz .LBB3244_19
; %bb.18:
	v_mov_b32_e32 v2, s1
	v_add_co_u32_e32 v16, vcc, s0, v18
	v_addc_co_u32_e32 v17, vcc, 0, v2, vcc
	flat_load_dword v9, v[16:17] offset:3584
.LBB3244_19:
	s_or_b64 exec, exec, s[2:3]
	v_or_b32_e32 v2, 0x400, v0
	v_cmp_gt_u32_e32 vcc, s20, v2
	s_and_saveexec_b64 s[2:3], vcc
	s_cbranch_execz .LBB3244_21
; %bb.20:
	v_lshlrev_b32_e32 v2, 2, v2
	v_mov_b32_e32 v10, s1
	v_add_co_u32_e32 v16, vcc, s0, v2
	v_addc_co_u32_e32 v17, vcc, 0, v10, vcc
	flat_load_dword v10, v[16:17]
.LBB3244_21:
	s_or_b64 exec, exec, s[2:3]
	v_or_b32_e32 v2, 0x480, v0
	v_cmp_gt_u32_e32 vcc, s20, v2
	s_and_saveexec_b64 s[2:3], vcc
	s_cbranch_execz .LBB3244_23
; %bb.22:
	v_lshlrev_b32_e32 v2, 2, v2
	v_mov_b32_e32 v11, s1
	v_add_co_u32_e32 v16, vcc, s0, v2
	v_addc_co_u32_e32 v17, vcc, 0, v11, vcc
	flat_load_dword v11, v[16:17]
.LBB3244_23:
	;; [unrolled: 12-line block ×6, first 2 shown]
	s_or_b64 exec, exec, s[2:3]
	s_waitcnt vmcnt(0) lgkmcnt(0)
	ds_write2st64_b32 v18, v1, v3 offset1:2
	ds_write2st64_b32 v18, v4, v5 offset0:4 offset1:6
	ds_write2st64_b32 v18, v6, v7 offset0:8 offset1:10
	;; [unrolled: 1-line block ×6, first 2 shown]
	s_waitcnt lgkmcnt(0)
	s_barrier
.LBB3244_32:
	v_mul_u32_u24_e32 v32, 14, v0
	v_lshlrev_b32_e32 v33, 2, v32
	s_waitcnt lgkmcnt(0)
	ds_read2_b64 v[26:29], v33 offset1:1
	ds_read2_b64 v[22:25], v33 offset0:2 offset1:3
	ds_read2_b64 v[18:21], v33 offset0:4 offset1:5
	ds_read_b64 v[30:31], v33 offset:48
	s_cmp_lg_u32 s6, 0
	s_waitcnt lgkmcnt(3)
	v_cmp_lt_f32_e64 s[0:1], v26, v27
	v_lshrrev_b32_e32 v1, 5, v0
	v_cmp_gt_u32_e32 vcc, 64, v0
	s_waitcnt lgkmcnt(0)
	s_barrier
	s_cbranch_scc0 .LBB3244_61
; %bb.33:
	v_cndmask_b32_e64 v2, v26, v27, s[0:1]
	v_cmp_lt_f32_e64 s[0:1], v2, v28
	v_cndmask_b32_e64 v2, v2, v28, s[0:1]
	v_cmp_lt_f32_e64 s[0:1], v2, v29
	v_cndmask_b32_e64 v2, v2, v29, s[0:1]
	v_cmp_lt_f32_e64 s[0:1], v2, v22
	v_cndmask_b32_e64 v2, v2, v22, s[0:1]
	v_cmp_lt_f32_e64 s[0:1], v2, v23
	v_cndmask_b32_e64 v2, v2, v23, s[0:1]
	v_cmp_lt_f32_e64 s[0:1], v2, v24
	v_cndmask_b32_e64 v2, v2, v24, s[0:1]
	v_cmp_lt_f32_e64 s[0:1], v2, v25
	v_cndmask_b32_e64 v2, v2, v25, s[0:1]
	v_cmp_lt_f32_e64 s[0:1], v2, v18
	v_cndmask_b32_e64 v2, v2, v18, s[0:1]
	v_cmp_lt_f32_e64 s[0:1], v2, v19
	v_cndmask_b32_e64 v2, v2, v19, s[0:1]
	v_cmp_lt_f32_e64 s[0:1], v2, v20
	v_cndmask_b32_e64 v2, v2, v20, s[0:1]
	v_cmp_lt_f32_e64 s[0:1], v2, v21
	v_cndmask_b32_e64 v2, v2, v21, s[0:1]
	v_cmp_lt_f32_e64 s[0:1], v2, v30
	v_cndmask_b32_e64 v2, v2, v30, s[0:1]
	v_cmp_lt_f32_e64 s[0:1], v2, v31
	v_cndmask_b32_e64 v12, v2, v31, s[0:1]
	v_add_lshl_u32 v2, v1, v0, 2
	ds_write_b32 v2, v12
	s_waitcnt lgkmcnt(0)
	s_barrier
	s_and_saveexec_b64 s[12:13], vcc
	s_cbranch_execz .LBB3244_35
; %bb.34:
	v_lshlrev_b32_e32 v2, 1, v0
	v_lshrrev_b32_e32 v3, 4, v0
	v_add_lshl_u32 v4, v3, v2, 2
	ds_read2_b32 v[2:3], v4 offset1:1
	v_mbcnt_lo_u32_b32 v5, -1, 0
	v_mbcnt_hi_u32_b32 v5, -1, v5
	v_and_b32_e32 v6, 15, v5
	v_cmp_lt_u32_e64 s[10:11], 31, v5
	s_waitcnt lgkmcnt(0)
	v_cmp_lt_f32_e64 s[0:1], v2, v3
	v_cndmask_b32_e64 v3, v2, v3, s[0:1]
	v_cmp_gt_u32_e64 s[8:9], 32, v5
	s_nop 0
	v_mov_b32_dpp v7, v3 row_shr:1 row_mask:0xf bank_mask:0xf
	v_cmp_gt_f32_e64 s[0:1], v3, v7
	v_cndmask_b32_e64 v7, v7, v3, s[0:1]
	v_cmp_eq_u32_e64 s[0:1], 0, v6
	v_cndmask_b32_e64 v3, v7, v3, s[0:1]
	; wave barrier
	s_nop 1
	v_mov_b32_dpp v7, v3 row_shr:2 row_mask:0xf bank_mask:0xf
	v_cmp_gt_f32_e64 s[0:1], v3, v7
	v_cndmask_b32_e64 v7, v7, v3, s[0:1]
	v_cmp_lt_u32_e64 s[0:1], 1, v6
	v_cndmask_b32_e64 v7, v3, v7, s[0:1]
	s_nop 1
	v_mov_b32_dpp v8, v7 row_shr:4 row_mask:0xf bank_mask:0xf
	v_cmp_gt_f32_e64 s[2:3], v7, v8
	v_cndmask_b32_e64 v8, v8, v7, s[2:3]
	v_cmp_lt_u32_e64 s[2:3], 3, v6
	v_cndmask_b32_e64 v7, v7, v8, s[2:3]
	;; [unrolled: 6-line block ×3, first 2 shown]
	v_and_b32_e32 v8, 16, v5
	s_nop 0
	v_mov_b32_dpp v7, v6 row_bcast:15 row_mask:0xf bank_mask:0xf
	v_cmp_gt_f32_e64 s[2:3], v6, v7
	v_cndmask_b32_e64 v7, v7, v6, s[2:3]
	v_cmp_ne_u32_e64 s[2:3], 0, v8
	v_cndmask_b32_e64 v6, v6, v7, s[2:3]
	s_or_b64 s[10:11], s[2:3], s[10:11]
	s_or_b64 s[0:1], s[0:1], s[10:11]
	v_mov_b32_dpp v7, v6 row_bcast:31 row_mask:0xf bank_mask:0xf
	v_cmp_gt_f32_e64 s[2:3], v6, v7
	s_or_b64 s[2:3], s[8:9], s[2:3]
	v_cndmask_b32_e64 v6, v7, v6, s[2:3]
	v_cndmask_b32_e64 v3, v3, v6, s[0:1]
	v_add_u32_e32 v6, -1, v5
	v_and_b32_e32 v7, 64, v5
	v_cmp_lt_i32_e64 s[0:1], v6, v7
	v_cndmask_b32_e64 v5, v6, v5, s[0:1]
	v_lshlrev_b32_e32 v5, 2, v5
	ds_bpermute_b32 v3, v5, v3
	s_waitcnt lgkmcnt(0)
	v_cmp_gt_f32_e64 s[0:1], v2, v3
	v_cndmask_b32_e64 v2, v3, v2, s[0:1]
	v_cmp_eq_u32_e64 s[0:1], 0, v0
	v_cndmask_b32_e64 v2, v2, v12, s[0:1]
	ds_write_b32 v4, v2
	; wave barrier
	ds_read_b32 v3, v4 offset:4
	s_waitcnt lgkmcnt(0)
	v_cmp_lt_f32_e64 s[0:1], v2, v3
	v_cndmask_b32_e64 v2, v2, v3, s[0:1]
	ds_write_b32 v4, v2 offset:4
.LBB3244_35:
	s_or_b64 exec, exec, s[12:13]
	v_cmp_eq_u32_e64 s[0:1], 0, v0
	v_cmp_ne_u32_e64 s[2:3], 0, v0
	s_waitcnt lgkmcnt(0)
	s_barrier
	s_and_saveexec_b64 s[8:9], s[2:3]
	s_cbranch_execz .LBB3244_37
; %bb.36:
	v_add_u32_e32 v2, -1, v0
	v_lshrrev_b32_e32 v3, 5, v2
	v_add_lshl_u32 v2, v3, v2, 2
	ds_read_b32 v12, v2
.LBB3244_37:
	s_or_b64 exec, exec, s[8:9]
	s_and_saveexec_b64 s[12:13], vcc
	s_cbranch_execz .LBB3244_60
; %bb.38:
	v_mov_b32_e32 v11, 0
	ds_read_b32 v2, v11 offset:520
	v_mbcnt_lo_u32_b32 v3, -1, 0
	v_mbcnt_hi_u32_b32 v5, -1, v3
	s_mov_b32 s11, 0
	v_cmp_eq_u32_e64 s[2:3], 0, v5
	s_and_saveexec_b64 s[8:9], s[2:3]
	s_cbranch_execz .LBB3244_40
; %bb.39:
	s_add_i32 s10, s6, 64
	s_lshl_b64 s[10:11], s[10:11], 3
	s_add_u32 s10, s18, s10
	v_mov_b32_e32 v3, 1
	s_addc_u32 s11, s19, s11
	s_waitcnt lgkmcnt(0)
	global_store_dwordx2 v11, v[2:3], s[10:11]
.LBB3244_40:
	s_or_b64 exec, exec, s[8:9]
	v_xad_u32 v4, v5, -1, s6
	v_add_u32_e32 v10, 64, v4
	v_lshlrev_b64 v[6:7], 3, v[10:11]
	v_mov_b32_e32 v3, s19
	v_add_co_u32_e32 v6, vcc, s18, v6
	v_addc_co_u32_e32 v7, vcc, v3, v7, vcc
	global_load_dwordx2 v[8:9], v[6:7], off glc
	s_waitcnt vmcnt(0)
	v_cmp_eq_u16_sdwa s[10:11], v9, v11 src0_sel:BYTE_0 src1_sel:DWORD
	s_and_saveexec_b64 s[8:9], s[10:11]
	s_cbranch_execz .LBB3244_46
; %bb.41:
	s_mov_b32 s14, 1
	s_mov_b64 s[10:11], 0
	v_mov_b32_e32 v3, 0
.LBB3244_42:                            ; =>This Loop Header: Depth=1
                                        ;     Child Loop BB3244_43 Depth 2
	s_max_u32 s15, s14, 1
.LBB3244_43:                            ;   Parent Loop BB3244_42 Depth=1
                                        ; =>  This Inner Loop Header: Depth=2
	s_add_i32 s15, s15, -1
	s_cmp_eq_u32 s15, 0
	s_sleep 1
	s_cbranch_scc0 .LBB3244_43
; %bb.44:                               ;   in Loop: Header=BB3244_42 Depth=1
	global_load_dwordx2 v[8:9], v[6:7], off glc
	s_cmp_lt_u32 s14, 32
	s_cselect_b64 s[24:25], -1, 0
	s_cmp_lg_u64 s[24:25], 0
	s_addc_u32 s14, s14, 0
	s_waitcnt vmcnt(0)
	v_cmp_ne_u16_sdwa s[24:25], v9, v3 src0_sel:BYTE_0 src1_sel:DWORD
	s_or_b64 s[10:11], s[24:25], s[10:11]
	s_andn2_b64 exec, exec, s[10:11]
	s_cbranch_execnz .LBB3244_42
; %bb.45:
	s_or_b64 exec, exec, s[10:11]
.LBB3244_46:
	s_or_b64 exec, exec, s[8:9]
	v_and_b32_e32 v13, 63, v5
	v_cmp_ne_u32_e32 vcc, 63, v13
	v_addc_co_u32_e32 v14, vcc, 0, v5, vcc
	v_lshlrev_b32_e32 v14, 2, v14
	v_mov_b32_e32 v3, 2
	ds_bpermute_b32 v15, v14, v8
	v_cmp_eq_u16_sdwa s[8:9], v9, v3 src0_sel:BYTE_0 src1_sel:DWORD
	v_lshlrev_b64 v[6:7], v5, -1
	v_and_b32_e32 v10, s9, v7
	v_or_b32_e32 v10, 0x80000000, v10
	v_and_b32_e32 v11, s8, v6
	v_ffbl_b32_e32 v10, v10
	v_add_u32_e32 v10, 32, v10
	v_ffbl_b32_e32 v11, v11
	s_waitcnt lgkmcnt(0)
	v_cmp_lt_f32_e32 vcc, v15, v8
	v_cmp_gt_u32_e64 s[8:9], 62, v13
	v_min_u32_e32 v10, v11, v10
	v_cndmask_b32_e32 v11, v15, v8, vcc
	v_cndmask_b32_e64 v15, 0, 1, s[8:9]
	v_cmp_lt_u32_e32 vcc, v13, v10
	v_lshlrev_b32_e32 v15, 1, v15
	v_cndmask_b32_e32 v11, v8, v11, vcc
	v_add_lshl_u32 v15, v15, v5, 2
	ds_bpermute_b32 v17, v15, v11
	v_add_u32_e32 v16, 2, v13
	v_add_u32_e32 v34, 4, v13
	;; [unrolled: 1-line block ×4, first 2 shown]
	s_waitcnt lgkmcnt(0)
	v_cmp_gt_f32_e64 s[8:9], v11, v17
	v_cndmask_b32_e64 v17, v17, v11, s[8:9]
	v_cmp_gt_u32_e64 s[8:9], v16, v10
	v_cndmask_b32_e64 v11, v17, v11, s[8:9]
	v_cmp_gt_u32_e64 s[8:9], 60, v13
	v_cndmask_b32_e64 v17, 0, 1, s[8:9]
	v_lshlrev_b32_e32 v17, 2, v17
	v_add_lshl_u32 v17, v17, v5, 2
	ds_bpermute_b32 v35, v17, v11
	v_add_u32_e32 v41, 32, v13
	s_waitcnt lgkmcnt(0)
	v_cmp_gt_f32_e64 s[8:9], v11, v35
	v_cndmask_b32_e64 v35, v35, v11, s[8:9]
	v_cmp_gt_u32_e64 s[8:9], v34, v10
	v_cndmask_b32_e64 v11, v35, v11, s[8:9]
	v_cmp_gt_u32_e64 s[8:9], 56, v13
	v_cndmask_b32_e64 v35, 0, 1, s[8:9]
	v_lshlrev_b32_e32 v35, 3, v35
	v_add_lshl_u32 v35, v35, v5, 2
	ds_bpermute_b32 v37, v35, v11
	s_waitcnt lgkmcnt(0)
	v_cmp_gt_f32_e64 s[8:9], v11, v37
	v_cndmask_b32_e64 v37, v37, v11, s[8:9]
	v_cmp_gt_u32_e64 s[8:9], v36, v10
	v_cndmask_b32_e64 v11, v37, v11, s[8:9]
	v_cmp_gt_u32_e64 s[8:9], 48, v13
	v_cndmask_b32_e64 v37, 0, 1, s[8:9]
	v_lshlrev_b32_e32 v37, 4, v37
	v_add_lshl_u32 v37, v37, v5, 2
	ds_bpermute_b32 v38, v37, v11
	;; [unrolled: 10-line block ×3, first 2 shown]
	v_cmp_gt_u32_e64 s[8:9], v41, v10
	s_waitcnt lgkmcnt(0)
	v_cmp_gt_f32_e64 s[10:11], v11, v5
	s_or_b64 s[8:9], s[8:9], s[10:11]
	v_cndmask_b32_e64 v5, v5, v11, s[8:9]
	v_cndmask_b32_e32 v8, v8, v5, vcc
	v_mov_b32_e32 v5, 0
	s_branch .LBB3244_48
.LBB3244_47:                            ;   in Loop: Header=BB3244_48 Depth=1
	s_or_b64 exec, exec, s[8:9]
	v_cmp_eq_u16_sdwa s[8:9], v9, v3 src0_sel:BYTE_0 src1_sel:DWORD
	ds_bpermute_b32 v42, v14, v8
	v_and_b32_e32 v10, s9, v7
	v_or_b32_e32 v10, 0x80000000, v10
	v_and_b32_e32 v11, s8, v6
	v_ffbl_b32_e32 v10, v10
	v_add_u32_e32 v10, 32, v10
	v_ffbl_b32_e32 v11, v11
	v_min_u32_e32 v10, v11, v10
	s_waitcnt lgkmcnt(0)
	v_cmp_lt_f32_e32 vcc, v42, v8
	v_cndmask_b32_e32 v11, v42, v8, vcc
	v_cmp_lt_u32_e32 vcc, v13, v10
	v_cndmask_b32_e32 v11, v8, v11, vcc
	ds_bpermute_b32 v42, v15, v11
	v_subrev_u32_e32 v4, 64, v4
	s_waitcnt lgkmcnt(0)
	v_cmp_gt_f32_e64 s[8:9], v11, v42
	v_cndmask_b32_e64 v42, v42, v11, s[8:9]
	v_cmp_gt_u32_e64 s[8:9], v16, v10
	v_cndmask_b32_e64 v11, v42, v11, s[8:9]
	ds_bpermute_b32 v42, v17, v11
	s_waitcnt lgkmcnt(0)
	v_cmp_gt_f32_e64 s[8:9], v11, v42
	v_cndmask_b32_e64 v42, v42, v11, s[8:9]
	v_cmp_gt_u32_e64 s[8:9], v34, v10
	v_cndmask_b32_e64 v11, v42, v11, s[8:9]
	ds_bpermute_b32 v42, v35, v11
	;; [unrolled: 6-line block ×4, first 2 shown]
	v_cmp_gt_u32_e64 s[8:9], v41, v10
	s_waitcnt lgkmcnt(0)
	v_cmp_gt_f32_e64 s[10:11], v11, v42
	s_or_b64 s[8:9], s[8:9], s[10:11]
	v_cndmask_b32_e64 v10, v42, v11, s[8:9]
	v_cndmask_b32_e32 v8, v8, v10, vcc
	v_cmp_lt_f32_e32 vcc, v8, v38
	v_cndmask_b32_e32 v8, v8, v38, vcc
.LBB3244_48:                            ; =>This Loop Header: Depth=1
                                        ;     Child Loop BB3244_51 Depth 2
                                        ;       Child Loop BB3244_52 Depth 3
	v_cmp_ne_u16_sdwa s[8:9], v9, v3 src0_sel:BYTE_0 src1_sel:DWORD
	v_cndmask_b32_e64 v9, 0, 1, s[8:9]
	;;#ASMSTART
	;;#ASMEND
	v_cmp_ne_u32_e32 vcc, 0, v9
	s_cmp_lg_u64 vcc, exec
	v_mov_b32_e32 v38, v8
	s_cbranch_scc1 .LBB3244_55
; %bb.49:                               ;   in Loop: Header=BB3244_48 Depth=1
	v_lshlrev_b64 v[8:9], 3, v[4:5]
	v_mov_b32_e32 v11, s19
	v_add_co_u32_e32 v10, vcc, s18, v8
	v_addc_co_u32_e32 v11, vcc, v11, v9, vcc
	global_load_dwordx2 v[8:9], v[10:11], off glc
	s_waitcnt vmcnt(0)
	v_cmp_eq_u16_sdwa s[10:11], v9, v5 src0_sel:BYTE_0 src1_sel:DWORD
	s_and_saveexec_b64 s[8:9], s[10:11]
	s_cbranch_execz .LBB3244_47
; %bb.50:                               ;   in Loop: Header=BB3244_48 Depth=1
	s_mov_b32 s14, 1
	s_mov_b64 s[10:11], 0
.LBB3244_51:                            ;   Parent Loop BB3244_48 Depth=1
                                        ; =>  This Loop Header: Depth=2
                                        ;       Child Loop BB3244_52 Depth 3
	s_max_u32 s15, s14, 1
.LBB3244_52:                            ;   Parent Loop BB3244_48 Depth=1
                                        ;     Parent Loop BB3244_51 Depth=2
                                        ; =>    This Inner Loop Header: Depth=3
	s_add_i32 s15, s15, -1
	s_cmp_eq_u32 s15, 0
	s_sleep 1
	s_cbranch_scc0 .LBB3244_52
; %bb.53:                               ;   in Loop: Header=BB3244_51 Depth=2
	global_load_dwordx2 v[8:9], v[10:11], off glc
	s_cmp_lt_u32 s14, 32
	s_cselect_b64 s[24:25], -1, 0
	s_cmp_lg_u64 s[24:25], 0
	s_addc_u32 s14, s14, 0
	s_waitcnt vmcnt(0)
	v_cmp_ne_u16_sdwa s[24:25], v9, v5 src0_sel:BYTE_0 src1_sel:DWORD
	s_or_b64 s[10:11], s[24:25], s[10:11]
	s_andn2_b64 exec, exec, s[10:11]
	s_cbranch_execnz .LBB3244_51
; %bb.54:                               ;   in Loop: Header=BB3244_48 Depth=1
	s_or_b64 exec, exec, s[10:11]
	s_branch .LBB3244_47
.LBB3244_55:                            ;   in Loop: Header=BB3244_48 Depth=1
                                        ; implicit-def: $vgpr8
                                        ; implicit-def: $vgpr9
	s_cbranch_execz .LBB3244_48
; %bb.56:
	s_and_saveexec_b64 s[8:9], s[2:3]
	s_cbranch_execz .LBB3244_58
; %bb.57:
	s_add_i32 s2, s6, 64
	s_mov_b32 s3, 0
	s_lshl_b64 s[2:3], s[2:3], 3
	v_cmp_lt_f32_e32 vcc, v38, v2
	s_add_u32 s2, s18, s2
	v_cndmask_b32_e32 v2, v38, v2, vcc
	v_mov_b32_e32 v3, 2
	s_addc_u32 s3, s19, s3
	v_mov_b32_e32 v4, 0
	global_store_dwordx2 v4, v[2:3], s[2:3]
.LBB3244_58:
	s_or_b64 exec, exec, s[8:9]
	s_and_b64 exec, exec, s[0:1]
	s_cbranch_execz .LBB3244_60
; %bb.59:
	v_mov_b32_e32 v2, 0
	ds_write_b32 v2, v38
.LBB3244_60:
	s_or_b64 exec, exec, s[12:13]
	v_mov_b32_e32 v2, 0
	s_waitcnt lgkmcnt(0)
	s_barrier
	ds_read_b32 v2, v2
	s_waitcnt lgkmcnt(0)
	v_cmp_lt_f32_e32 vcc, v2, v12
	v_cndmask_b32_e32 v3, v2, v12, vcc
	v_cndmask_b32_e64 v2, v3, v2, s[0:1]
	v_cmp_lt_f32_e32 vcc, v2, v26
	v_cndmask_b32_e32 v3, v2, v26, vcc
	v_cmp_lt_f32_e32 vcc, v3, v27
	v_cndmask_b32_e32 v4, v3, v27, vcc
	;; [unrolled: 2-line block ×13, first 2 shown]
	s_load_dwordx8 s[8:15], s[4:5], 0x40
	s_branch .LBB3244_71
.LBB3244_61:
                                        ; implicit-def: $vgpr2_vgpr3_vgpr4_vgpr5_vgpr6_vgpr7_vgpr8_vgpr9_vgpr10_vgpr11_vgpr12_vgpr13_vgpr14_vgpr15_vgpr16_vgpr17
	s_load_dwordx8 s[8:15], s[4:5], 0x40
	s_cbranch_execz .LBB3244_71
; %bb.62:
	s_load_dword s0, s[4:5], 0x28
	s_waitcnt lgkmcnt(0)
	s_cmp_eq_u64 s[12:13], 0
	v_mov_b32_e32 v16, s0
	s_cbranch_scc1 .LBB3244_64
; %bb.63:
	v_mov_b32_e32 v2, 0
	global_load_dword v4, v2, s[8:9]
	v_mov_b32_e32 v3, s22
	v_add_co_u32_e64 v2, vcc, -4, s7
	v_addc_co_u32_e32 v3, vcc, -1, v3, vcc
	flat_load_dword v2, v[2:3]
	s_waitcnt vmcnt(0) lgkmcnt(0)
	v_cmp_lt_f32_e32 vcc, v4, v2
	v_cndmask_b32_e32 v16, v4, v2, vcc
.LBB3244_64:
	v_cmp_lt_f32_e32 vcc, v26, v27
	v_cndmask_b32_e32 v2, v26, v27, vcc
	v_cmp_lt_f32_e32 vcc, v2, v28
	v_cndmask_b32_e32 v2, v2, v28, vcc
	;; [unrolled: 2-line block ×13, first 2 shown]
	v_add_lshl_u32 v1, v1, v0, 2
	v_cmp_gt_u32_e32 vcc, 64, v0
	ds_write_b32 v1, v2
	s_waitcnt lgkmcnt(0)
	s_barrier
	s_and_saveexec_b64 s[6:7], vcc
	s_cbranch_execz .LBB3244_66
; %bb.65:
	v_lshlrev_b32_e32 v1, 1, v0
	v_lshrrev_b32_e32 v3, 4, v0
	v_add_lshl_u32 v1, v3, v1, 2
	ds_read2_b32 v[4:5], v1 offset1:1
	v_mbcnt_lo_u32_b32 v3, -1, 0
	v_mbcnt_hi_u32_b32 v3, -1, v3
	v_and_b32_e32 v6, 15, v3
	v_cmp_lt_u32_e64 s[4:5], 31, v3
	s_waitcnt lgkmcnt(0)
	v_cmp_lt_f32_e32 vcc, v4, v5
	v_cndmask_b32_e32 v5, v4, v5, vcc
	v_cmp_gt_u32_e64 s[2:3], 32, v3
	s_nop 0
	v_mov_b32_dpp v7, v5 row_shr:1 row_mask:0xf bank_mask:0xf
	v_cmp_gt_f32_e32 vcc, v5, v7
	v_cndmask_b32_e32 v7, v7, v5, vcc
	v_cmp_eq_u32_e32 vcc, 0, v6
	v_cndmask_b32_e32 v5, v7, v5, vcc
	; wave barrier
	s_nop 1
	v_mov_b32_dpp v7, v5 row_shr:2 row_mask:0xf bank_mask:0xf
	v_cmp_gt_f32_e32 vcc, v5, v7
	v_cndmask_b32_e32 v7, v7, v5, vcc
	v_cmp_lt_u32_e32 vcc, 1, v6
	v_cndmask_b32_e32 v7, v5, v7, vcc
	s_nop 1
	v_mov_b32_dpp v8, v7 row_shr:4 row_mask:0xf bank_mask:0xf
	v_cmp_gt_f32_e64 s[0:1], v7, v8
	v_cndmask_b32_e64 v8, v8, v7, s[0:1]
	v_cmp_lt_u32_e64 s[0:1], 3, v6
	v_cndmask_b32_e64 v7, v7, v8, s[0:1]
	s_nop 1
	v_mov_b32_dpp v8, v7 row_shr:8 row_mask:0xf bank_mask:0xf
	v_cmp_gt_f32_e64 s[0:1], v7, v8
	v_cndmask_b32_e64 v8, v8, v7, s[0:1]
	v_cmp_lt_u32_e64 s[0:1], 7, v6
	v_cndmask_b32_e64 v6, v7, v8, s[0:1]
	v_and_b32_e32 v8, 16, v3
	s_nop 0
	v_mov_b32_dpp v7, v6 row_bcast:15 row_mask:0xf bank_mask:0xf
	v_cmp_gt_f32_e64 s[0:1], v6, v7
	v_cndmask_b32_e64 v7, v7, v6, s[0:1]
	v_cmp_ne_u32_e64 s[0:1], 0, v8
	v_cndmask_b32_e64 v6, v6, v7, s[0:1]
	s_or_b64 s[4:5], s[0:1], s[4:5]
	s_or_b64 vcc, vcc, s[4:5]
	v_mov_b32_dpp v7, v6 row_bcast:31 row_mask:0xf bank_mask:0xf
	v_cmp_gt_f32_e64 s[0:1], v6, v7
	s_or_b64 s[0:1], s[2:3], s[0:1]
	v_cndmask_b32_e64 v6, v7, v6, s[0:1]
	v_cndmask_b32_e32 v5, v5, v6, vcc
	v_add_u32_e32 v6, -1, v3
	v_and_b32_e32 v7, 64, v3
	v_cmp_lt_i32_e32 vcc, v6, v7
	v_cndmask_b32_e32 v3, v6, v3, vcc
	v_lshlrev_b32_e32 v3, 2, v3
	ds_bpermute_b32 v3, v3, v5
	s_waitcnt lgkmcnt(0)
	v_cmp_gt_f32_e32 vcc, v4, v3
	v_cndmask_b32_e32 v3, v3, v4, vcc
	v_cmp_eq_u32_e32 vcc, 0, v0
	v_cndmask_b32_e32 v2, v3, v2, vcc
	ds_write_b32 v1, v2
	; wave barrier
	ds_read_b32 v3, v1 offset:4
	s_waitcnt lgkmcnt(0)
	v_cmp_lt_f32_e32 vcc, v2, v3
	v_cndmask_b32_e32 v2, v2, v3, vcc
	ds_write_b32 v1, v2 offset:4
.LBB3244_66:
	s_or_b64 exec, exec, s[6:7]
	v_cmp_eq_u32_e32 vcc, 0, v0
	v_cmp_ne_u32_e64 s[0:1], 0, v0
	v_mov_b32_e32 v2, v16
	s_waitcnt lgkmcnt(0)
	s_barrier
	s_and_saveexec_b64 s[2:3], s[0:1]
	s_cbranch_execz .LBB3244_68
; %bb.67:
	v_add_u32_e32 v1, -1, v0
	v_lshrrev_b32_e32 v2, 5, v1
	v_add_lshl_u32 v1, v2, v1, 2
	ds_read_b32 v1, v1
	s_waitcnt lgkmcnt(0)
	v_cmp_gt_f32_e64 s[0:1], v1, v16
	v_cndmask_b32_e64 v2, v16, v1, s[0:1]
.LBB3244_68:
	s_or_b64 exec, exec, s[2:3]
	v_cmp_lt_f32_e64 s[0:1], v2, v26
	v_cndmask_b32_e64 v3, v2, v26, s[0:1]
	v_cmp_lt_f32_e64 s[0:1], v3, v27
	v_cndmask_b32_e64 v4, v3, v27, s[0:1]
	;; [unrolled: 2-line block ×13, first 2 shown]
	s_and_saveexec_b64 s[0:1], vcc
	s_cbranch_execz .LBB3244_70
; %bb.69:
	v_mov_b32_e32 v1, 0
	ds_read_b32 v17, v1 offset:520
	s_waitcnt lgkmcnt(0)
	v_cmp_gt_f32_e32 vcc, v17, v16
	v_cndmask_b32_e32 v16, v16, v17, vcc
	v_mov_b32_e32 v17, 2
	global_store_dwordx2 v1, v[16:17], s[18:19] offset:512
.LBB3244_70:
	s_or_b64 exec, exec, s[0:1]
.LBB3244_71:
	s_mov_b64 s[0:1], -1
	s_and_b64 vcc, exec, s[16:17]
	s_waitcnt lgkmcnt(0)
	s_barrier
	ds_write2_b64 v33, v[2:3], v[4:5] offset1:1
	ds_write2_b64 v33, v[6:7], v[8:9] offset0:2 offset1:3
	ds_write2_b64 v33, v[10:11], v[12:13] offset0:4 offset1:5
	ds_write_b64 v33, v[14:15] offset:48
	s_waitcnt lgkmcnt(0)
	s_cbranch_vccz .LBB3244_73
; %bb.72:
	s_barrier
	s_mov_b64 s[0:1], 0
.LBB3244_73:
	s_andn2_b64 vcc, exec, s[0:1]
	s_cbranch_vccnz .LBB3244_125
; %bb.74:
	v_cmp_lt_u64_e64 s[0:1], s[14:15], 2
	s_and_b64 vcc, exec, s[0:1]
	s_barrier
	s_cbranch_vccnz .LBB3244_125
; %bb.75:
	s_add_u32 s0, s20, -1
	s_addc_u32 s1, s21, -1
	s_add_u32 s2, 0, 0x49240800
	s_addc_u32 s3, 0, 50
	s_add_i32 s3, s3, 0x12492460
	s_mul_hi_u32 s7, s2, -14
	s_sub_i32 s7, s7, s2
	s_mul_i32 s8, s3, -14
	s_mul_i32 s4, s2, -14
	s_add_i32 s7, s7, s8
	s_mul_hi_u32 s5, s3, s4
	s_mul_i32 s6, s3, s4
	s_mul_i32 s9, s2, s7
	s_mul_hi_u32 s4, s2, s4
	s_mul_hi_u32 s8, s2, s7
	s_add_u32 s4, s4, s9
	s_addc_u32 s8, 0, s8
	s_add_u32 s4, s4, s6
	s_mul_hi_u32 s9, s3, s7
	s_addc_u32 s4, s8, s5
	s_addc_u32 s5, s9, 0
	s_mul_i32 s6, s3, s7
	s_add_u32 s4, s4, s6
	v_mov_b32_e32 v2, s4
	s_addc_u32 s5, 0, s5
	v_add_co_u32_e32 v2, vcc, s2, v2
	s_cmp_lg_u64 vcc, 0
	s_addc_u32 s2, s3, s5
	v_readfirstlane_b32 s5, v2
	s_mul_i32 s4, s0, s2
	s_mul_hi_u32 s6, s0, s5
	s_mul_hi_u32 s3, s0, s2
	s_add_u32 s4, s6, s4
	s_addc_u32 s3, 0, s3
	s_mul_hi_u32 s7, s1, s5
	s_mul_i32 s5, s1, s5
	s_add_u32 s4, s4, s5
	s_mul_hi_u32 s6, s1, s2
	s_addc_u32 s3, s3, s7
	s_addc_u32 s4, s6, 0
	s_mul_i32 s2, s1, s2
	s_add_u32 s2, s3, s2
	s_addc_u32 s3, 0, s4
	s_add_u32 s4, s2, 1
	s_addc_u32 s5, s3, 0
	s_add_u32 s6, s2, 2
	s_mul_i32 s8, s3, 14
	s_mul_hi_u32 s9, s2, 14
	s_addc_u32 s7, s3, 0
	s_add_i32 s9, s9, s8
	s_mul_i32 s8, s2, 14
	v_mov_b32_e32 v2, s8
	v_sub_co_u32_e32 v2, vcc, s0, v2
	s_cmp_lg_u64 vcc, 0
	s_subb_u32 s8, s1, s9
	v_subrev_co_u32_e32 v3, vcc, 14, v2
	s_cmp_lg_u64 vcc, 0
	s_subb_u32 s9, s8, 0
	v_readfirstlane_b32 s12, v3
	s_cmp_gt_u32 s12, 13
	s_cselect_b32 s12, -1, 0
	s_cmp_eq_u32 s9, 0
	s_cselect_b32 s9, s12, -1
	s_cmp_lg_u32 s9, 0
	s_cselect_b32 s4, s6, s4
	v_readfirstlane_b32 s6, v2
	s_cselect_b32 s5, s7, s5
	s_cmp_gt_u32 s6, 13
	s_cselect_b32 s6, -1, 0
	s_cmp_eq_u32 s8, 0
	s_cselect_b32 s6, s6, -1
	s_cmp_lg_u32 s6, 0
	v_mov_b32_e32 v1, 0
	s_cselect_b32 s3, s5, s3
	s_cselect_b32 s2, s4, s2
	v_cmp_eq_u64_e32 vcc, s[2:3], v[0:1]
	s_and_saveexec_b64 s[2:3], vcc
	s_cbranch_execz .LBB3244_125
; %bb.76:
	s_movk_i32 s2, 0xffcc
	v_mad_i32_i24 v2, v0, s2, v33
	v_mul_hi_u32_u24_e32 v1, 14, v0
	v_mov_b32_e32 v3, s1
	v_sub_co_u32_e32 v0, vcc, s0, v32
	v_subb_co_u32_e32 v1, vcc, v3, v1, vcc
	v_cmp_lt_i64_e32 vcc, 6, v[0:1]
	s_and_saveexec_b64 s[0:1], vcc
	s_xor_b64 s[0:1], exec, s[0:1]
	s_cbranch_execz .LBB3244_102
; %bb.77:
	v_cmp_lt_i64_e32 vcc, 9, v[0:1]
	s_and_saveexec_b64 s[2:3], vcc
	s_xor_b64 s[2:3], exec, s[2:3]
	s_cbranch_execz .LBB3244_91
; %bb.78:
	;; [unrolled: 5-line block ×4, first 2 shown]
	ds_read_b32 v0, v2 offset:6656
	v_mov_b32_e32 v1, 0
                                        ; implicit-def: $vgpr2
	s_waitcnt lgkmcnt(0)
	global_store_dword v1, v0, s[10:11]
.LBB3244_81:
	s_andn2_saveexec_b64 s[6:7], s[6:7]
	s_cbranch_execz .LBB3244_83
; %bb.82:
	ds_read_b32 v0, v2 offset:6144
	v_mov_b32_e32 v1, 0
	s_waitcnt lgkmcnt(0)
	global_store_dword v1, v0, s[10:11]
.LBB3244_83:
	s_or_b64 exec, exec, s[6:7]
                                        ; implicit-def: $vgpr2
                                        ; implicit-def: $vgpr0_vgpr1
.LBB3244_84:
	s_andn2_saveexec_b64 s[4:5], s[4:5]
	s_cbranch_execz .LBB3244_90
; %bb.85:
	v_cmp_lt_i64_e32 vcc, 10, v[0:1]
	s_and_saveexec_b64 s[6:7], vcc
	s_xor_b64 s[6:7], exec, s[6:7]
	s_cbranch_execz .LBB3244_87
; %bb.86:
	ds_read_b32 v0, v2 offset:5632
	v_mov_b32_e32 v1, 0
                                        ; implicit-def: $vgpr2
	s_waitcnt lgkmcnt(0)
	global_store_dword v1, v0, s[10:11]
.LBB3244_87:
	s_andn2_saveexec_b64 s[6:7], s[6:7]
	s_cbranch_execz .LBB3244_89
; %bb.88:
	ds_read_b32 v0, v2 offset:5120
	v_mov_b32_e32 v1, 0
	s_waitcnt lgkmcnt(0)
	global_store_dword v1, v0, s[10:11]
.LBB3244_89:
	s_or_b64 exec, exec, s[6:7]
.LBB3244_90:
	s_or_b64 exec, exec, s[4:5]
                                        ; implicit-def: $vgpr2
                                        ; implicit-def: $vgpr0_vgpr1
.LBB3244_91:
	s_andn2_saveexec_b64 s[2:3], s[2:3]
	s_cbranch_execz .LBB3244_101
; %bb.92:
	v_cmp_lt_i64_e32 vcc, 7, v[0:1]
	s_and_saveexec_b64 s[4:5], vcc
	s_xor_b64 s[4:5], exec, s[4:5]
	s_cbranch_execz .LBB3244_98
; %bb.93:
	v_cmp_lt_i64_e32 vcc, 8, v[0:1]
	s_and_saveexec_b64 s[6:7], vcc
	s_xor_b64 s[6:7], exec, s[6:7]
	s_cbranch_execz .LBB3244_95
; %bb.94:
	ds_read_b32 v0, v2 offset:4608
	v_mov_b32_e32 v1, 0
                                        ; implicit-def: $vgpr2
	s_waitcnt lgkmcnt(0)
	global_store_dword v1, v0, s[10:11]
.LBB3244_95:
	s_andn2_saveexec_b64 s[6:7], s[6:7]
	s_cbranch_execz .LBB3244_97
; %bb.96:
	ds_read_b32 v0, v2 offset:4096
	v_mov_b32_e32 v1, 0
	s_waitcnt lgkmcnt(0)
	global_store_dword v1, v0, s[10:11]
.LBB3244_97:
	s_or_b64 exec, exec, s[6:7]
                                        ; implicit-def: $vgpr2
.LBB3244_98:
	s_andn2_saveexec_b64 s[4:5], s[4:5]
	s_cbranch_execz .LBB3244_100
; %bb.99:
	ds_read_b32 v0, v2 offset:3584
	v_mov_b32_e32 v1, 0
	s_waitcnt lgkmcnt(0)
	global_store_dword v1, v0, s[10:11]
.LBB3244_100:
	s_or_b64 exec, exec, s[4:5]
.LBB3244_101:
	s_or_b64 exec, exec, s[2:3]
                                        ; implicit-def: $vgpr0_vgpr1
                                        ; implicit-def: $vgpr2
.LBB3244_102:
	s_andn2_saveexec_b64 s[0:1], s[0:1]
	s_cbranch_execz .LBB3244_125
; %bb.103:
	v_cmp_lt_i64_e32 vcc, 3, v[0:1]
	s_and_saveexec_b64 s[0:1], vcc
	s_xor_b64 s[0:1], exec, s[0:1]
	s_cbranch_execz .LBB3244_113
; %bb.104:
	v_cmp_lt_i64_e32 vcc, 4, v[0:1]
	s_and_saveexec_b64 s[2:3], vcc
	s_xor_b64 s[2:3], exec, s[2:3]
	;; [unrolled: 5-line block ×3, first 2 shown]
	s_cbranch_execz .LBB3244_107
; %bb.106:
	ds_read_b32 v0, v2 offset:3072
	v_mov_b32_e32 v1, 0
                                        ; implicit-def: $vgpr2
	s_waitcnt lgkmcnt(0)
	global_store_dword v1, v0, s[10:11]
.LBB3244_107:
	s_andn2_saveexec_b64 s[4:5], s[4:5]
	s_cbranch_execz .LBB3244_109
; %bb.108:
	ds_read_b32 v0, v2 offset:2560
	v_mov_b32_e32 v1, 0
	s_waitcnt lgkmcnt(0)
	global_store_dword v1, v0, s[10:11]
.LBB3244_109:
	s_or_b64 exec, exec, s[4:5]
                                        ; implicit-def: $vgpr2
.LBB3244_110:
	s_andn2_saveexec_b64 s[2:3], s[2:3]
	s_cbranch_execz .LBB3244_112
; %bb.111:
	ds_read_b32 v0, v2 offset:2048
	v_mov_b32_e32 v1, 0
	s_waitcnt lgkmcnt(0)
	global_store_dword v1, v0, s[10:11]
.LBB3244_112:
	s_or_b64 exec, exec, s[2:3]
                                        ; implicit-def: $vgpr0_vgpr1
                                        ; implicit-def: $vgpr2
.LBB3244_113:
	s_andn2_saveexec_b64 s[0:1], s[0:1]
	s_cbranch_execz .LBB3244_125
; %bb.114:
	v_cmp_lt_i64_e32 vcc, 1, v[0:1]
	s_and_saveexec_b64 s[0:1], vcc
	s_xor_b64 s[0:1], exec, s[0:1]
	s_cbranch_execz .LBB3244_120
; %bb.115:
	v_cmp_lt_i64_e32 vcc, 2, v[0:1]
	s_and_saveexec_b64 s[2:3], vcc
	s_xor_b64 s[2:3], exec, s[2:3]
	s_cbranch_execz .LBB3244_117
; %bb.116:
	ds_read_b32 v0, v2 offset:1536
	v_mov_b32_e32 v1, 0
                                        ; implicit-def: $vgpr2
	s_waitcnt lgkmcnt(0)
	global_store_dword v1, v0, s[10:11]
.LBB3244_117:
	s_andn2_saveexec_b64 s[2:3], s[2:3]
	s_cbranch_execz .LBB3244_119
; %bb.118:
	ds_read_b32 v0, v2 offset:1024
	v_mov_b32_e32 v1, 0
	s_waitcnt lgkmcnt(0)
	global_store_dword v1, v0, s[10:11]
.LBB3244_119:
	s_or_b64 exec, exec, s[2:3]
                                        ; implicit-def: $vgpr2
                                        ; implicit-def: $vgpr0_vgpr1
.LBB3244_120:
	s_andn2_saveexec_b64 s[0:1], s[0:1]
	s_cbranch_execz .LBB3244_125
; %bb.121:
	v_cmp_ne_u64_e32 vcc, 1, v[0:1]
	s_and_saveexec_b64 s[0:1], vcc
	s_xor_b64 s[0:1], exec, s[0:1]
	s_cbranch_execz .LBB3244_123
; %bb.122:
	ds_read_b32 v0, v2
	v_mov_b32_e32 v1, 0
                                        ; implicit-def: $vgpr2
	s_waitcnt lgkmcnt(0)
	global_store_dword v1, v0, s[10:11]
.LBB3244_123:
	s_andn2_saveexec_b64 s[0:1], s[0:1]
	s_cbranch_execz .LBB3244_125
; %bb.124:
	ds_read_b32 v0, v2 offset:512
	v_mov_b32_e32 v1, 0
	s_waitcnt lgkmcnt(0)
	global_store_dword v1, v0, s[10:11]
.LBB3244_125:
	s_endpgm
	.section	.rodata,"a",@progbits
	.p2align	6, 0x0
	.amdhsa_kernel _ZN7rocprim17ROCPRIM_400000_NS6detail17trampoline_kernelINS0_14default_configENS1_20scan_config_selectorIfEEZZNS1_9scan_implILNS1_25lookback_scan_determinismE0ELb1ELb1ES3_N6thrust23THRUST_200600_302600_NS6detail15normal_iteratorINS9_10device_ptrIfEEEENS9_16discard_iteratorINS9_11use_defaultEEEf11max_functorIfEfEEDaPvRmT3_T4_T5_mT6_P12ihipStream_tbENKUlT_T0_E_clISt17integral_constantIbLb1EESW_IbLb0EEEEDaSS_ST_EUlSS_E_NS1_11comp_targetILNS1_3genE4ELNS1_11target_archE910ELNS1_3gpuE8ELNS1_3repE0EEENS1_30default_config_static_selectorELNS0_4arch9wavefront6targetE1EEEvT1_
		.amdhsa_group_segment_fixed_size 7168
		.amdhsa_private_segment_fixed_size 0
		.amdhsa_kernarg_size 104
		.amdhsa_user_sgpr_count 6
		.amdhsa_user_sgpr_private_segment_buffer 1
		.amdhsa_user_sgpr_dispatch_ptr 0
		.amdhsa_user_sgpr_queue_ptr 0
		.amdhsa_user_sgpr_kernarg_segment_ptr 1
		.amdhsa_user_sgpr_dispatch_id 0
		.amdhsa_user_sgpr_flat_scratch_init 0
		.amdhsa_user_sgpr_kernarg_preload_length 0
		.amdhsa_user_sgpr_kernarg_preload_offset 0
		.amdhsa_user_sgpr_private_segment_size 0
		.amdhsa_uses_dynamic_stack 0
		.amdhsa_system_sgpr_private_segment_wavefront_offset 0
		.amdhsa_system_sgpr_workgroup_id_x 1
		.amdhsa_system_sgpr_workgroup_id_y 0
		.amdhsa_system_sgpr_workgroup_id_z 0
		.amdhsa_system_sgpr_workgroup_info 0
		.amdhsa_system_vgpr_workitem_id 0
		.amdhsa_next_free_vgpr 43
		.amdhsa_next_free_sgpr 26
		.amdhsa_accum_offset 44
		.amdhsa_reserve_vcc 1
		.amdhsa_reserve_flat_scratch 0
		.amdhsa_float_round_mode_32 0
		.amdhsa_float_round_mode_16_64 0
		.amdhsa_float_denorm_mode_32 3
		.amdhsa_float_denorm_mode_16_64 3
		.amdhsa_dx10_clamp 1
		.amdhsa_ieee_mode 1
		.amdhsa_fp16_overflow 0
		.amdhsa_tg_split 0
		.amdhsa_exception_fp_ieee_invalid_op 0
		.amdhsa_exception_fp_denorm_src 0
		.amdhsa_exception_fp_ieee_div_zero 0
		.amdhsa_exception_fp_ieee_overflow 0
		.amdhsa_exception_fp_ieee_underflow 0
		.amdhsa_exception_fp_ieee_inexact 0
		.amdhsa_exception_int_div_zero 0
	.end_amdhsa_kernel
	.section	.text._ZN7rocprim17ROCPRIM_400000_NS6detail17trampoline_kernelINS0_14default_configENS1_20scan_config_selectorIfEEZZNS1_9scan_implILNS1_25lookback_scan_determinismE0ELb1ELb1ES3_N6thrust23THRUST_200600_302600_NS6detail15normal_iteratorINS9_10device_ptrIfEEEENS9_16discard_iteratorINS9_11use_defaultEEEf11max_functorIfEfEEDaPvRmT3_T4_T5_mT6_P12ihipStream_tbENKUlT_T0_E_clISt17integral_constantIbLb1EESW_IbLb0EEEEDaSS_ST_EUlSS_E_NS1_11comp_targetILNS1_3genE4ELNS1_11target_archE910ELNS1_3gpuE8ELNS1_3repE0EEENS1_30default_config_static_selectorELNS0_4arch9wavefront6targetE1EEEvT1_,"axG",@progbits,_ZN7rocprim17ROCPRIM_400000_NS6detail17trampoline_kernelINS0_14default_configENS1_20scan_config_selectorIfEEZZNS1_9scan_implILNS1_25lookback_scan_determinismE0ELb1ELb1ES3_N6thrust23THRUST_200600_302600_NS6detail15normal_iteratorINS9_10device_ptrIfEEEENS9_16discard_iteratorINS9_11use_defaultEEEf11max_functorIfEfEEDaPvRmT3_T4_T5_mT6_P12ihipStream_tbENKUlT_T0_E_clISt17integral_constantIbLb1EESW_IbLb0EEEEDaSS_ST_EUlSS_E_NS1_11comp_targetILNS1_3genE4ELNS1_11target_archE910ELNS1_3gpuE8ELNS1_3repE0EEENS1_30default_config_static_selectorELNS0_4arch9wavefront6targetE1EEEvT1_,comdat
.Lfunc_end3244:
	.size	_ZN7rocprim17ROCPRIM_400000_NS6detail17trampoline_kernelINS0_14default_configENS1_20scan_config_selectorIfEEZZNS1_9scan_implILNS1_25lookback_scan_determinismE0ELb1ELb1ES3_N6thrust23THRUST_200600_302600_NS6detail15normal_iteratorINS9_10device_ptrIfEEEENS9_16discard_iteratorINS9_11use_defaultEEEf11max_functorIfEfEEDaPvRmT3_T4_T5_mT6_P12ihipStream_tbENKUlT_T0_E_clISt17integral_constantIbLb1EESW_IbLb0EEEEDaSS_ST_EUlSS_E_NS1_11comp_targetILNS1_3genE4ELNS1_11target_archE910ELNS1_3gpuE8ELNS1_3repE0EEENS1_30default_config_static_selectorELNS0_4arch9wavefront6targetE1EEEvT1_, .Lfunc_end3244-_ZN7rocprim17ROCPRIM_400000_NS6detail17trampoline_kernelINS0_14default_configENS1_20scan_config_selectorIfEEZZNS1_9scan_implILNS1_25lookback_scan_determinismE0ELb1ELb1ES3_N6thrust23THRUST_200600_302600_NS6detail15normal_iteratorINS9_10device_ptrIfEEEENS9_16discard_iteratorINS9_11use_defaultEEEf11max_functorIfEfEEDaPvRmT3_T4_T5_mT6_P12ihipStream_tbENKUlT_T0_E_clISt17integral_constantIbLb1EESW_IbLb0EEEEDaSS_ST_EUlSS_E_NS1_11comp_targetILNS1_3genE4ELNS1_11target_archE910ELNS1_3gpuE8ELNS1_3repE0EEENS1_30default_config_static_selectorELNS0_4arch9wavefront6targetE1EEEvT1_
                                        ; -- End function
	.section	.AMDGPU.csdata,"",@progbits
; Kernel info:
; codeLenInByte = 5636
; NumSgprs: 30
; NumVgprs: 43
; NumAgprs: 0
; TotalNumVgprs: 43
; ScratchSize: 0
; MemoryBound: 0
; FloatMode: 240
; IeeeMode: 1
; LDSByteSize: 7168 bytes/workgroup (compile time only)
; SGPRBlocks: 3
; VGPRBlocks: 5
; NumSGPRsForWavesPerEU: 30
; NumVGPRsForWavesPerEU: 43
; AccumOffset: 44
; Occupancy: 5
; WaveLimiterHint : 1
; COMPUTE_PGM_RSRC2:SCRATCH_EN: 0
; COMPUTE_PGM_RSRC2:USER_SGPR: 6
; COMPUTE_PGM_RSRC2:TRAP_HANDLER: 0
; COMPUTE_PGM_RSRC2:TGID_X_EN: 1
; COMPUTE_PGM_RSRC2:TGID_Y_EN: 0
; COMPUTE_PGM_RSRC2:TGID_Z_EN: 0
; COMPUTE_PGM_RSRC2:TIDIG_COMP_CNT: 0
; COMPUTE_PGM_RSRC3_GFX90A:ACCUM_OFFSET: 10
; COMPUTE_PGM_RSRC3_GFX90A:TG_SPLIT: 0
	.section	.text._ZN7rocprim17ROCPRIM_400000_NS6detail17trampoline_kernelINS0_14default_configENS1_20scan_config_selectorIfEEZZNS1_9scan_implILNS1_25lookback_scan_determinismE0ELb1ELb1ES3_N6thrust23THRUST_200600_302600_NS6detail15normal_iteratorINS9_10device_ptrIfEEEENS9_16discard_iteratorINS9_11use_defaultEEEf11max_functorIfEfEEDaPvRmT3_T4_T5_mT6_P12ihipStream_tbENKUlT_T0_E_clISt17integral_constantIbLb1EESW_IbLb0EEEEDaSS_ST_EUlSS_E_NS1_11comp_targetILNS1_3genE3ELNS1_11target_archE908ELNS1_3gpuE7ELNS1_3repE0EEENS1_30default_config_static_selectorELNS0_4arch9wavefront6targetE1EEEvT1_,"axG",@progbits,_ZN7rocprim17ROCPRIM_400000_NS6detail17trampoline_kernelINS0_14default_configENS1_20scan_config_selectorIfEEZZNS1_9scan_implILNS1_25lookback_scan_determinismE0ELb1ELb1ES3_N6thrust23THRUST_200600_302600_NS6detail15normal_iteratorINS9_10device_ptrIfEEEENS9_16discard_iteratorINS9_11use_defaultEEEf11max_functorIfEfEEDaPvRmT3_T4_T5_mT6_P12ihipStream_tbENKUlT_T0_E_clISt17integral_constantIbLb1EESW_IbLb0EEEEDaSS_ST_EUlSS_E_NS1_11comp_targetILNS1_3genE3ELNS1_11target_archE908ELNS1_3gpuE7ELNS1_3repE0EEENS1_30default_config_static_selectorELNS0_4arch9wavefront6targetE1EEEvT1_,comdat
	.protected	_ZN7rocprim17ROCPRIM_400000_NS6detail17trampoline_kernelINS0_14default_configENS1_20scan_config_selectorIfEEZZNS1_9scan_implILNS1_25lookback_scan_determinismE0ELb1ELb1ES3_N6thrust23THRUST_200600_302600_NS6detail15normal_iteratorINS9_10device_ptrIfEEEENS9_16discard_iteratorINS9_11use_defaultEEEf11max_functorIfEfEEDaPvRmT3_T4_T5_mT6_P12ihipStream_tbENKUlT_T0_E_clISt17integral_constantIbLb1EESW_IbLb0EEEEDaSS_ST_EUlSS_E_NS1_11comp_targetILNS1_3genE3ELNS1_11target_archE908ELNS1_3gpuE7ELNS1_3repE0EEENS1_30default_config_static_selectorELNS0_4arch9wavefront6targetE1EEEvT1_ ; -- Begin function _ZN7rocprim17ROCPRIM_400000_NS6detail17trampoline_kernelINS0_14default_configENS1_20scan_config_selectorIfEEZZNS1_9scan_implILNS1_25lookback_scan_determinismE0ELb1ELb1ES3_N6thrust23THRUST_200600_302600_NS6detail15normal_iteratorINS9_10device_ptrIfEEEENS9_16discard_iteratorINS9_11use_defaultEEEf11max_functorIfEfEEDaPvRmT3_T4_T5_mT6_P12ihipStream_tbENKUlT_T0_E_clISt17integral_constantIbLb1EESW_IbLb0EEEEDaSS_ST_EUlSS_E_NS1_11comp_targetILNS1_3genE3ELNS1_11target_archE908ELNS1_3gpuE7ELNS1_3repE0EEENS1_30default_config_static_selectorELNS0_4arch9wavefront6targetE1EEEvT1_
	.globl	_ZN7rocprim17ROCPRIM_400000_NS6detail17trampoline_kernelINS0_14default_configENS1_20scan_config_selectorIfEEZZNS1_9scan_implILNS1_25lookback_scan_determinismE0ELb1ELb1ES3_N6thrust23THRUST_200600_302600_NS6detail15normal_iteratorINS9_10device_ptrIfEEEENS9_16discard_iteratorINS9_11use_defaultEEEf11max_functorIfEfEEDaPvRmT3_T4_T5_mT6_P12ihipStream_tbENKUlT_T0_E_clISt17integral_constantIbLb1EESW_IbLb0EEEEDaSS_ST_EUlSS_E_NS1_11comp_targetILNS1_3genE3ELNS1_11target_archE908ELNS1_3gpuE7ELNS1_3repE0EEENS1_30default_config_static_selectorELNS0_4arch9wavefront6targetE1EEEvT1_
	.p2align	8
	.type	_ZN7rocprim17ROCPRIM_400000_NS6detail17trampoline_kernelINS0_14default_configENS1_20scan_config_selectorIfEEZZNS1_9scan_implILNS1_25lookback_scan_determinismE0ELb1ELb1ES3_N6thrust23THRUST_200600_302600_NS6detail15normal_iteratorINS9_10device_ptrIfEEEENS9_16discard_iteratorINS9_11use_defaultEEEf11max_functorIfEfEEDaPvRmT3_T4_T5_mT6_P12ihipStream_tbENKUlT_T0_E_clISt17integral_constantIbLb1EESW_IbLb0EEEEDaSS_ST_EUlSS_E_NS1_11comp_targetILNS1_3genE3ELNS1_11target_archE908ELNS1_3gpuE7ELNS1_3repE0EEENS1_30default_config_static_selectorELNS0_4arch9wavefront6targetE1EEEvT1_,@function
_ZN7rocprim17ROCPRIM_400000_NS6detail17trampoline_kernelINS0_14default_configENS1_20scan_config_selectorIfEEZZNS1_9scan_implILNS1_25lookback_scan_determinismE0ELb1ELb1ES3_N6thrust23THRUST_200600_302600_NS6detail15normal_iteratorINS9_10device_ptrIfEEEENS9_16discard_iteratorINS9_11use_defaultEEEf11max_functorIfEfEEDaPvRmT3_T4_T5_mT6_P12ihipStream_tbENKUlT_T0_E_clISt17integral_constantIbLb1EESW_IbLb0EEEEDaSS_ST_EUlSS_E_NS1_11comp_targetILNS1_3genE3ELNS1_11target_archE908ELNS1_3gpuE7ELNS1_3repE0EEENS1_30default_config_static_selectorELNS0_4arch9wavefront6targetE1EEEvT1_: ; @_ZN7rocprim17ROCPRIM_400000_NS6detail17trampoline_kernelINS0_14default_configENS1_20scan_config_selectorIfEEZZNS1_9scan_implILNS1_25lookback_scan_determinismE0ELb1ELb1ES3_N6thrust23THRUST_200600_302600_NS6detail15normal_iteratorINS9_10device_ptrIfEEEENS9_16discard_iteratorINS9_11use_defaultEEEf11max_functorIfEfEEDaPvRmT3_T4_T5_mT6_P12ihipStream_tbENKUlT_T0_E_clISt17integral_constantIbLb1EESW_IbLb0EEEEDaSS_ST_EUlSS_E_NS1_11comp_targetILNS1_3genE3ELNS1_11target_archE908ELNS1_3gpuE7ELNS1_3repE0EEENS1_30default_config_static_selectorELNS0_4arch9wavefront6targetE1EEEvT1_
; %bb.0:
	.section	.rodata,"a",@progbits
	.p2align	6, 0x0
	.amdhsa_kernel _ZN7rocprim17ROCPRIM_400000_NS6detail17trampoline_kernelINS0_14default_configENS1_20scan_config_selectorIfEEZZNS1_9scan_implILNS1_25lookback_scan_determinismE0ELb1ELb1ES3_N6thrust23THRUST_200600_302600_NS6detail15normal_iteratorINS9_10device_ptrIfEEEENS9_16discard_iteratorINS9_11use_defaultEEEf11max_functorIfEfEEDaPvRmT3_T4_T5_mT6_P12ihipStream_tbENKUlT_T0_E_clISt17integral_constantIbLb1EESW_IbLb0EEEEDaSS_ST_EUlSS_E_NS1_11comp_targetILNS1_3genE3ELNS1_11target_archE908ELNS1_3gpuE7ELNS1_3repE0EEENS1_30default_config_static_selectorELNS0_4arch9wavefront6targetE1EEEvT1_
		.amdhsa_group_segment_fixed_size 0
		.amdhsa_private_segment_fixed_size 0
		.amdhsa_kernarg_size 104
		.amdhsa_user_sgpr_count 6
		.amdhsa_user_sgpr_private_segment_buffer 1
		.amdhsa_user_sgpr_dispatch_ptr 0
		.amdhsa_user_sgpr_queue_ptr 0
		.amdhsa_user_sgpr_kernarg_segment_ptr 1
		.amdhsa_user_sgpr_dispatch_id 0
		.amdhsa_user_sgpr_flat_scratch_init 0
		.amdhsa_user_sgpr_kernarg_preload_length 0
		.amdhsa_user_sgpr_kernarg_preload_offset 0
		.amdhsa_user_sgpr_private_segment_size 0
		.amdhsa_uses_dynamic_stack 0
		.amdhsa_system_sgpr_private_segment_wavefront_offset 0
		.amdhsa_system_sgpr_workgroup_id_x 1
		.amdhsa_system_sgpr_workgroup_id_y 0
		.amdhsa_system_sgpr_workgroup_id_z 0
		.amdhsa_system_sgpr_workgroup_info 0
		.amdhsa_system_vgpr_workitem_id 0
		.amdhsa_next_free_vgpr 1
		.amdhsa_next_free_sgpr 0
		.amdhsa_accum_offset 4
		.amdhsa_reserve_vcc 0
		.amdhsa_reserve_flat_scratch 0
		.amdhsa_float_round_mode_32 0
		.amdhsa_float_round_mode_16_64 0
		.amdhsa_float_denorm_mode_32 3
		.amdhsa_float_denorm_mode_16_64 3
		.amdhsa_dx10_clamp 1
		.amdhsa_ieee_mode 1
		.amdhsa_fp16_overflow 0
		.amdhsa_tg_split 0
		.amdhsa_exception_fp_ieee_invalid_op 0
		.amdhsa_exception_fp_denorm_src 0
		.amdhsa_exception_fp_ieee_div_zero 0
		.amdhsa_exception_fp_ieee_overflow 0
		.amdhsa_exception_fp_ieee_underflow 0
		.amdhsa_exception_fp_ieee_inexact 0
		.amdhsa_exception_int_div_zero 0
	.end_amdhsa_kernel
	.section	.text._ZN7rocprim17ROCPRIM_400000_NS6detail17trampoline_kernelINS0_14default_configENS1_20scan_config_selectorIfEEZZNS1_9scan_implILNS1_25lookback_scan_determinismE0ELb1ELb1ES3_N6thrust23THRUST_200600_302600_NS6detail15normal_iteratorINS9_10device_ptrIfEEEENS9_16discard_iteratorINS9_11use_defaultEEEf11max_functorIfEfEEDaPvRmT3_T4_T5_mT6_P12ihipStream_tbENKUlT_T0_E_clISt17integral_constantIbLb1EESW_IbLb0EEEEDaSS_ST_EUlSS_E_NS1_11comp_targetILNS1_3genE3ELNS1_11target_archE908ELNS1_3gpuE7ELNS1_3repE0EEENS1_30default_config_static_selectorELNS0_4arch9wavefront6targetE1EEEvT1_,"axG",@progbits,_ZN7rocprim17ROCPRIM_400000_NS6detail17trampoline_kernelINS0_14default_configENS1_20scan_config_selectorIfEEZZNS1_9scan_implILNS1_25lookback_scan_determinismE0ELb1ELb1ES3_N6thrust23THRUST_200600_302600_NS6detail15normal_iteratorINS9_10device_ptrIfEEEENS9_16discard_iteratorINS9_11use_defaultEEEf11max_functorIfEfEEDaPvRmT3_T4_T5_mT6_P12ihipStream_tbENKUlT_T0_E_clISt17integral_constantIbLb1EESW_IbLb0EEEEDaSS_ST_EUlSS_E_NS1_11comp_targetILNS1_3genE3ELNS1_11target_archE908ELNS1_3gpuE7ELNS1_3repE0EEENS1_30default_config_static_selectorELNS0_4arch9wavefront6targetE1EEEvT1_,comdat
.Lfunc_end3245:
	.size	_ZN7rocprim17ROCPRIM_400000_NS6detail17trampoline_kernelINS0_14default_configENS1_20scan_config_selectorIfEEZZNS1_9scan_implILNS1_25lookback_scan_determinismE0ELb1ELb1ES3_N6thrust23THRUST_200600_302600_NS6detail15normal_iteratorINS9_10device_ptrIfEEEENS9_16discard_iteratorINS9_11use_defaultEEEf11max_functorIfEfEEDaPvRmT3_T4_T5_mT6_P12ihipStream_tbENKUlT_T0_E_clISt17integral_constantIbLb1EESW_IbLb0EEEEDaSS_ST_EUlSS_E_NS1_11comp_targetILNS1_3genE3ELNS1_11target_archE908ELNS1_3gpuE7ELNS1_3repE0EEENS1_30default_config_static_selectorELNS0_4arch9wavefront6targetE1EEEvT1_, .Lfunc_end3245-_ZN7rocprim17ROCPRIM_400000_NS6detail17trampoline_kernelINS0_14default_configENS1_20scan_config_selectorIfEEZZNS1_9scan_implILNS1_25lookback_scan_determinismE0ELb1ELb1ES3_N6thrust23THRUST_200600_302600_NS6detail15normal_iteratorINS9_10device_ptrIfEEEENS9_16discard_iteratorINS9_11use_defaultEEEf11max_functorIfEfEEDaPvRmT3_T4_T5_mT6_P12ihipStream_tbENKUlT_T0_E_clISt17integral_constantIbLb1EESW_IbLb0EEEEDaSS_ST_EUlSS_E_NS1_11comp_targetILNS1_3genE3ELNS1_11target_archE908ELNS1_3gpuE7ELNS1_3repE0EEENS1_30default_config_static_selectorELNS0_4arch9wavefront6targetE1EEEvT1_
                                        ; -- End function
	.section	.AMDGPU.csdata,"",@progbits
; Kernel info:
; codeLenInByte = 0
; NumSgprs: 4
; NumVgprs: 0
; NumAgprs: 0
; TotalNumVgprs: 0
; ScratchSize: 0
; MemoryBound: 0
; FloatMode: 240
; IeeeMode: 1
; LDSByteSize: 0 bytes/workgroup (compile time only)
; SGPRBlocks: 0
; VGPRBlocks: 0
; NumSGPRsForWavesPerEU: 4
; NumVGPRsForWavesPerEU: 1
; AccumOffset: 4
; Occupancy: 8
; WaveLimiterHint : 0
; COMPUTE_PGM_RSRC2:SCRATCH_EN: 0
; COMPUTE_PGM_RSRC2:USER_SGPR: 6
; COMPUTE_PGM_RSRC2:TRAP_HANDLER: 0
; COMPUTE_PGM_RSRC2:TGID_X_EN: 1
; COMPUTE_PGM_RSRC2:TGID_Y_EN: 0
; COMPUTE_PGM_RSRC2:TGID_Z_EN: 0
; COMPUTE_PGM_RSRC2:TIDIG_COMP_CNT: 0
; COMPUTE_PGM_RSRC3_GFX90A:ACCUM_OFFSET: 0
; COMPUTE_PGM_RSRC3_GFX90A:TG_SPLIT: 0
	.section	.text._ZN7rocprim17ROCPRIM_400000_NS6detail17trampoline_kernelINS0_14default_configENS1_20scan_config_selectorIfEEZZNS1_9scan_implILNS1_25lookback_scan_determinismE0ELb1ELb1ES3_N6thrust23THRUST_200600_302600_NS6detail15normal_iteratorINS9_10device_ptrIfEEEENS9_16discard_iteratorINS9_11use_defaultEEEf11max_functorIfEfEEDaPvRmT3_T4_T5_mT6_P12ihipStream_tbENKUlT_T0_E_clISt17integral_constantIbLb1EESW_IbLb0EEEEDaSS_ST_EUlSS_E_NS1_11comp_targetILNS1_3genE2ELNS1_11target_archE906ELNS1_3gpuE6ELNS1_3repE0EEENS1_30default_config_static_selectorELNS0_4arch9wavefront6targetE1EEEvT1_,"axG",@progbits,_ZN7rocprim17ROCPRIM_400000_NS6detail17trampoline_kernelINS0_14default_configENS1_20scan_config_selectorIfEEZZNS1_9scan_implILNS1_25lookback_scan_determinismE0ELb1ELb1ES3_N6thrust23THRUST_200600_302600_NS6detail15normal_iteratorINS9_10device_ptrIfEEEENS9_16discard_iteratorINS9_11use_defaultEEEf11max_functorIfEfEEDaPvRmT3_T4_T5_mT6_P12ihipStream_tbENKUlT_T0_E_clISt17integral_constantIbLb1EESW_IbLb0EEEEDaSS_ST_EUlSS_E_NS1_11comp_targetILNS1_3genE2ELNS1_11target_archE906ELNS1_3gpuE6ELNS1_3repE0EEENS1_30default_config_static_selectorELNS0_4arch9wavefront6targetE1EEEvT1_,comdat
	.protected	_ZN7rocprim17ROCPRIM_400000_NS6detail17trampoline_kernelINS0_14default_configENS1_20scan_config_selectorIfEEZZNS1_9scan_implILNS1_25lookback_scan_determinismE0ELb1ELb1ES3_N6thrust23THRUST_200600_302600_NS6detail15normal_iteratorINS9_10device_ptrIfEEEENS9_16discard_iteratorINS9_11use_defaultEEEf11max_functorIfEfEEDaPvRmT3_T4_T5_mT6_P12ihipStream_tbENKUlT_T0_E_clISt17integral_constantIbLb1EESW_IbLb0EEEEDaSS_ST_EUlSS_E_NS1_11comp_targetILNS1_3genE2ELNS1_11target_archE906ELNS1_3gpuE6ELNS1_3repE0EEENS1_30default_config_static_selectorELNS0_4arch9wavefront6targetE1EEEvT1_ ; -- Begin function _ZN7rocprim17ROCPRIM_400000_NS6detail17trampoline_kernelINS0_14default_configENS1_20scan_config_selectorIfEEZZNS1_9scan_implILNS1_25lookback_scan_determinismE0ELb1ELb1ES3_N6thrust23THRUST_200600_302600_NS6detail15normal_iteratorINS9_10device_ptrIfEEEENS9_16discard_iteratorINS9_11use_defaultEEEf11max_functorIfEfEEDaPvRmT3_T4_T5_mT6_P12ihipStream_tbENKUlT_T0_E_clISt17integral_constantIbLb1EESW_IbLb0EEEEDaSS_ST_EUlSS_E_NS1_11comp_targetILNS1_3genE2ELNS1_11target_archE906ELNS1_3gpuE6ELNS1_3repE0EEENS1_30default_config_static_selectorELNS0_4arch9wavefront6targetE1EEEvT1_
	.globl	_ZN7rocprim17ROCPRIM_400000_NS6detail17trampoline_kernelINS0_14default_configENS1_20scan_config_selectorIfEEZZNS1_9scan_implILNS1_25lookback_scan_determinismE0ELb1ELb1ES3_N6thrust23THRUST_200600_302600_NS6detail15normal_iteratorINS9_10device_ptrIfEEEENS9_16discard_iteratorINS9_11use_defaultEEEf11max_functorIfEfEEDaPvRmT3_T4_T5_mT6_P12ihipStream_tbENKUlT_T0_E_clISt17integral_constantIbLb1EESW_IbLb0EEEEDaSS_ST_EUlSS_E_NS1_11comp_targetILNS1_3genE2ELNS1_11target_archE906ELNS1_3gpuE6ELNS1_3repE0EEENS1_30default_config_static_selectorELNS0_4arch9wavefront6targetE1EEEvT1_
	.p2align	8
	.type	_ZN7rocprim17ROCPRIM_400000_NS6detail17trampoline_kernelINS0_14default_configENS1_20scan_config_selectorIfEEZZNS1_9scan_implILNS1_25lookback_scan_determinismE0ELb1ELb1ES3_N6thrust23THRUST_200600_302600_NS6detail15normal_iteratorINS9_10device_ptrIfEEEENS9_16discard_iteratorINS9_11use_defaultEEEf11max_functorIfEfEEDaPvRmT3_T4_T5_mT6_P12ihipStream_tbENKUlT_T0_E_clISt17integral_constantIbLb1EESW_IbLb0EEEEDaSS_ST_EUlSS_E_NS1_11comp_targetILNS1_3genE2ELNS1_11target_archE906ELNS1_3gpuE6ELNS1_3repE0EEENS1_30default_config_static_selectorELNS0_4arch9wavefront6targetE1EEEvT1_,@function
_ZN7rocprim17ROCPRIM_400000_NS6detail17trampoline_kernelINS0_14default_configENS1_20scan_config_selectorIfEEZZNS1_9scan_implILNS1_25lookback_scan_determinismE0ELb1ELb1ES3_N6thrust23THRUST_200600_302600_NS6detail15normal_iteratorINS9_10device_ptrIfEEEENS9_16discard_iteratorINS9_11use_defaultEEEf11max_functorIfEfEEDaPvRmT3_T4_T5_mT6_P12ihipStream_tbENKUlT_T0_E_clISt17integral_constantIbLb1EESW_IbLb0EEEEDaSS_ST_EUlSS_E_NS1_11comp_targetILNS1_3genE2ELNS1_11target_archE906ELNS1_3gpuE6ELNS1_3repE0EEENS1_30default_config_static_selectorELNS0_4arch9wavefront6targetE1EEEvT1_: ; @_ZN7rocprim17ROCPRIM_400000_NS6detail17trampoline_kernelINS0_14default_configENS1_20scan_config_selectorIfEEZZNS1_9scan_implILNS1_25lookback_scan_determinismE0ELb1ELb1ES3_N6thrust23THRUST_200600_302600_NS6detail15normal_iteratorINS9_10device_ptrIfEEEENS9_16discard_iteratorINS9_11use_defaultEEEf11max_functorIfEfEEDaPvRmT3_T4_T5_mT6_P12ihipStream_tbENKUlT_T0_E_clISt17integral_constantIbLb1EESW_IbLb0EEEEDaSS_ST_EUlSS_E_NS1_11comp_targetILNS1_3genE2ELNS1_11target_archE906ELNS1_3gpuE6ELNS1_3repE0EEENS1_30default_config_static_selectorELNS0_4arch9wavefront6targetE1EEEvT1_
; %bb.0:
	.section	.rodata,"a",@progbits
	.p2align	6, 0x0
	.amdhsa_kernel _ZN7rocprim17ROCPRIM_400000_NS6detail17trampoline_kernelINS0_14default_configENS1_20scan_config_selectorIfEEZZNS1_9scan_implILNS1_25lookback_scan_determinismE0ELb1ELb1ES3_N6thrust23THRUST_200600_302600_NS6detail15normal_iteratorINS9_10device_ptrIfEEEENS9_16discard_iteratorINS9_11use_defaultEEEf11max_functorIfEfEEDaPvRmT3_T4_T5_mT6_P12ihipStream_tbENKUlT_T0_E_clISt17integral_constantIbLb1EESW_IbLb0EEEEDaSS_ST_EUlSS_E_NS1_11comp_targetILNS1_3genE2ELNS1_11target_archE906ELNS1_3gpuE6ELNS1_3repE0EEENS1_30default_config_static_selectorELNS0_4arch9wavefront6targetE1EEEvT1_
		.amdhsa_group_segment_fixed_size 0
		.amdhsa_private_segment_fixed_size 0
		.amdhsa_kernarg_size 104
		.amdhsa_user_sgpr_count 6
		.amdhsa_user_sgpr_private_segment_buffer 1
		.amdhsa_user_sgpr_dispatch_ptr 0
		.amdhsa_user_sgpr_queue_ptr 0
		.amdhsa_user_sgpr_kernarg_segment_ptr 1
		.amdhsa_user_sgpr_dispatch_id 0
		.amdhsa_user_sgpr_flat_scratch_init 0
		.amdhsa_user_sgpr_kernarg_preload_length 0
		.amdhsa_user_sgpr_kernarg_preload_offset 0
		.amdhsa_user_sgpr_private_segment_size 0
		.amdhsa_uses_dynamic_stack 0
		.amdhsa_system_sgpr_private_segment_wavefront_offset 0
		.amdhsa_system_sgpr_workgroup_id_x 1
		.amdhsa_system_sgpr_workgroup_id_y 0
		.amdhsa_system_sgpr_workgroup_id_z 0
		.amdhsa_system_sgpr_workgroup_info 0
		.amdhsa_system_vgpr_workitem_id 0
		.amdhsa_next_free_vgpr 1
		.amdhsa_next_free_sgpr 0
		.amdhsa_accum_offset 4
		.amdhsa_reserve_vcc 0
		.amdhsa_reserve_flat_scratch 0
		.amdhsa_float_round_mode_32 0
		.amdhsa_float_round_mode_16_64 0
		.amdhsa_float_denorm_mode_32 3
		.amdhsa_float_denorm_mode_16_64 3
		.amdhsa_dx10_clamp 1
		.amdhsa_ieee_mode 1
		.amdhsa_fp16_overflow 0
		.amdhsa_tg_split 0
		.amdhsa_exception_fp_ieee_invalid_op 0
		.amdhsa_exception_fp_denorm_src 0
		.amdhsa_exception_fp_ieee_div_zero 0
		.amdhsa_exception_fp_ieee_overflow 0
		.amdhsa_exception_fp_ieee_underflow 0
		.amdhsa_exception_fp_ieee_inexact 0
		.amdhsa_exception_int_div_zero 0
	.end_amdhsa_kernel
	.section	.text._ZN7rocprim17ROCPRIM_400000_NS6detail17trampoline_kernelINS0_14default_configENS1_20scan_config_selectorIfEEZZNS1_9scan_implILNS1_25lookback_scan_determinismE0ELb1ELb1ES3_N6thrust23THRUST_200600_302600_NS6detail15normal_iteratorINS9_10device_ptrIfEEEENS9_16discard_iteratorINS9_11use_defaultEEEf11max_functorIfEfEEDaPvRmT3_T4_T5_mT6_P12ihipStream_tbENKUlT_T0_E_clISt17integral_constantIbLb1EESW_IbLb0EEEEDaSS_ST_EUlSS_E_NS1_11comp_targetILNS1_3genE2ELNS1_11target_archE906ELNS1_3gpuE6ELNS1_3repE0EEENS1_30default_config_static_selectorELNS0_4arch9wavefront6targetE1EEEvT1_,"axG",@progbits,_ZN7rocprim17ROCPRIM_400000_NS6detail17trampoline_kernelINS0_14default_configENS1_20scan_config_selectorIfEEZZNS1_9scan_implILNS1_25lookback_scan_determinismE0ELb1ELb1ES3_N6thrust23THRUST_200600_302600_NS6detail15normal_iteratorINS9_10device_ptrIfEEEENS9_16discard_iteratorINS9_11use_defaultEEEf11max_functorIfEfEEDaPvRmT3_T4_T5_mT6_P12ihipStream_tbENKUlT_T0_E_clISt17integral_constantIbLb1EESW_IbLb0EEEEDaSS_ST_EUlSS_E_NS1_11comp_targetILNS1_3genE2ELNS1_11target_archE906ELNS1_3gpuE6ELNS1_3repE0EEENS1_30default_config_static_selectorELNS0_4arch9wavefront6targetE1EEEvT1_,comdat
.Lfunc_end3246:
	.size	_ZN7rocprim17ROCPRIM_400000_NS6detail17trampoline_kernelINS0_14default_configENS1_20scan_config_selectorIfEEZZNS1_9scan_implILNS1_25lookback_scan_determinismE0ELb1ELb1ES3_N6thrust23THRUST_200600_302600_NS6detail15normal_iteratorINS9_10device_ptrIfEEEENS9_16discard_iteratorINS9_11use_defaultEEEf11max_functorIfEfEEDaPvRmT3_T4_T5_mT6_P12ihipStream_tbENKUlT_T0_E_clISt17integral_constantIbLb1EESW_IbLb0EEEEDaSS_ST_EUlSS_E_NS1_11comp_targetILNS1_3genE2ELNS1_11target_archE906ELNS1_3gpuE6ELNS1_3repE0EEENS1_30default_config_static_selectorELNS0_4arch9wavefront6targetE1EEEvT1_, .Lfunc_end3246-_ZN7rocprim17ROCPRIM_400000_NS6detail17trampoline_kernelINS0_14default_configENS1_20scan_config_selectorIfEEZZNS1_9scan_implILNS1_25lookback_scan_determinismE0ELb1ELb1ES3_N6thrust23THRUST_200600_302600_NS6detail15normal_iteratorINS9_10device_ptrIfEEEENS9_16discard_iteratorINS9_11use_defaultEEEf11max_functorIfEfEEDaPvRmT3_T4_T5_mT6_P12ihipStream_tbENKUlT_T0_E_clISt17integral_constantIbLb1EESW_IbLb0EEEEDaSS_ST_EUlSS_E_NS1_11comp_targetILNS1_3genE2ELNS1_11target_archE906ELNS1_3gpuE6ELNS1_3repE0EEENS1_30default_config_static_selectorELNS0_4arch9wavefront6targetE1EEEvT1_
                                        ; -- End function
	.section	.AMDGPU.csdata,"",@progbits
; Kernel info:
; codeLenInByte = 0
; NumSgprs: 4
; NumVgprs: 0
; NumAgprs: 0
; TotalNumVgprs: 0
; ScratchSize: 0
; MemoryBound: 0
; FloatMode: 240
; IeeeMode: 1
; LDSByteSize: 0 bytes/workgroup (compile time only)
; SGPRBlocks: 0
; VGPRBlocks: 0
; NumSGPRsForWavesPerEU: 4
; NumVGPRsForWavesPerEU: 1
; AccumOffset: 4
; Occupancy: 8
; WaveLimiterHint : 0
; COMPUTE_PGM_RSRC2:SCRATCH_EN: 0
; COMPUTE_PGM_RSRC2:USER_SGPR: 6
; COMPUTE_PGM_RSRC2:TRAP_HANDLER: 0
; COMPUTE_PGM_RSRC2:TGID_X_EN: 1
; COMPUTE_PGM_RSRC2:TGID_Y_EN: 0
; COMPUTE_PGM_RSRC2:TGID_Z_EN: 0
; COMPUTE_PGM_RSRC2:TIDIG_COMP_CNT: 0
; COMPUTE_PGM_RSRC3_GFX90A:ACCUM_OFFSET: 0
; COMPUTE_PGM_RSRC3_GFX90A:TG_SPLIT: 0
	.section	.text._ZN7rocprim17ROCPRIM_400000_NS6detail17trampoline_kernelINS0_14default_configENS1_20scan_config_selectorIfEEZZNS1_9scan_implILNS1_25lookback_scan_determinismE0ELb1ELb1ES3_N6thrust23THRUST_200600_302600_NS6detail15normal_iteratorINS9_10device_ptrIfEEEENS9_16discard_iteratorINS9_11use_defaultEEEf11max_functorIfEfEEDaPvRmT3_T4_T5_mT6_P12ihipStream_tbENKUlT_T0_E_clISt17integral_constantIbLb1EESW_IbLb0EEEEDaSS_ST_EUlSS_E_NS1_11comp_targetILNS1_3genE10ELNS1_11target_archE1201ELNS1_3gpuE5ELNS1_3repE0EEENS1_30default_config_static_selectorELNS0_4arch9wavefront6targetE1EEEvT1_,"axG",@progbits,_ZN7rocprim17ROCPRIM_400000_NS6detail17trampoline_kernelINS0_14default_configENS1_20scan_config_selectorIfEEZZNS1_9scan_implILNS1_25lookback_scan_determinismE0ELb1ELb1ES3_N6thrust23THRUST_200600_302600_NS6detail15normal_iteratorINS9_10device_ptrIfEEEENS9_16discard_iteratorINS9_11use_defaultEEEf11max_functorIfEfEEDaPvRmT3_T4_T5_mT6_P12ihipStream_tbENKUlT_T0_E_clISt17integral_constantIbLb1EESW_IbLb0EEEEDaSS_ST_EUlSS_E_NS1_11comp_targetILNS1_3genE10ELNS1_11target_archE1201ELNS1_3gpuE5ELNS1_3repE0EEENS1_30default_config_static_selectorELNS0_4arch9wavefront6targetE1EEEvT1_,comdat
	.protected	_ZN7rocprim17ROCPRIM_400000_NS6detail17trampoline_kernelINS0_14default_configENS1_20scan_config_selectorIfEEZZNS1_9scan_implILNS1_25lookback_scan_determinismE0ELb1ELb1ES3_N6thrust23THRUST_200600_302600_NS6detail15normal_iteratorINS9_10device_ptrIfEEEENS9_16discard_iteratorINS9_11use_defaultEEEf11max_functorIfEfEEDaPvRmT3_T4_T5_mT6_P12ihipStream_tbENKUlT_T0_E_clISt17integral_constantIbLb1EESW_IbLb0EEEEDaSS_ST_EUlSS_E_NS1_11comp_targetILNS1_3genE10ELNS1_11target_archE1201ELNS1_3gpuE5ELNS1_3repE0EEENS1_30default_config_static_selectorELNS0_4arch9wavefront6targetE1EEEvT1_ ; -- Begin function _ZN7rocprim17ROCPRIM_400000_NS6detail17trampoline_kernelINS0_14default_configENS1_20scan_config_selectorIfEEZZNS1_9scan_implILNS1_25lookback_scan_determinismE0ELb1ELb1ES3_N6thrust23THRUST_200600_302600_NS6detail15normal_iteratorINS9_10device_ptrIfEEEENS9_16discard_iteratorINS9_11use_defaultEEEf11max_functorIfEfEEDaPvRmT3_T4_T5_mT6_P12ihipStream_tbENKUlT_T0_E_clISt17integral_constantIbLb1EESW_IbLb0EEEEDaSS_ST_EUlSS_E_NS1_11comp_targetILNS1_3genE10ELNS1_11target_archE1201ELNS1_3gpuE5ELNS1_3repE0EEENS1_30default_config_static_selectorELNS0_4arch9wavefront6targetE1EEEvT1_
	.globl	_ZN7rocprim17ROCPRIM_400000_NS6detail17trampoline_kernelINS0_14default_configENS1_20scan_config_selectorIfEEZZNS1_9scan_implILNS1_25lookback_scan_determinismE0ELb1ELb1ES3_N6thrust23THRUST_200600_302600_NS6detail15normal_iteratorINS9_10device_ptrIfEEEENS9_16discard_iteratorINS9_11use_defaultEEEf11max_functorIfEfEEDaPvRmT3_T4_T5_mT6_P12ihipStream_tbENKUlT_T0_E_clISt17integral_constantIbLb1EESW_IbLb0EEEEDaSS_ST_EUlSS_E_NS1_11comp_targetILNS1_3genE10ELNS1_11target_archE1201ELNS1_3gpuE5ELNS1_3repE0EEENS1_30default_config_static_selectorELNS0_4arch9wavefront6targetE1EEEvT1_
	.p2align	8
	.type	_ZN7rocprim17ROCPRIM_400000_NS6detail17trampoline_kernelINS0_14default_configENS1_20scan_config_selectorIfEEZZNS1_9scan_implILNS1_25lookback_scan_determinismE0ELb1ELb1ES3_N6thrust23THRUST_200600_302600_NS6detail15normal_iteratorINS9_10device_ptrIfEEEENS9_16discard_iteratorINS9_11use_defaultEEEf11max_functorIfEfEEDaPvRmT3_T4_T5_mT6_P12ihipStream_tbENKUlT_T0_E_clISt17integral_constantIbLb1EESW_IbLb0EEEEDaSS_ST_EUlSS_E_NS1_11comp_targetILNS1_3genE10ELNS1_11target_archE1201ELNS1_3gpuE5ELNS1_3repE0EEENS1_30default_config_static_selectorELNS0_4arch9wavefront6targetE1EEEvT1_,@function
_ZN7rocprim17ROCPRIM_400000_NS6detail17trampoline_kernelINS0_14default_configENS1_20scan_config_selectorIfEEZZNS1_9scan_implILNS1_25lookback_scan_determinismE0ELb1ELb1ES3_N6thrust23THRUST_200600_302600_NS6detail15normal_iteratorINS9_10device_ptrIfEEEENS9_16discard_iteratorINS9_11use_defaultEEEf11max_functorIfEfEEDaPvRmT3_T4_T5_mT6_P12ihipStream_tbENKUlT_T0_E_clISt17integral_constantIbLb1EESW_IbLb0EEEEDaSS_ST_EUlSS_E_NS1_11comp_targetILNS1_3genE10ELNS1_11target_archE1201ELNS1_3gpuE5ELNS1_3repE0EEENS1_30default_config_static_selectorELNS0_4arch9wavefront6targetE1EEEvT1_: ; @_ZN7rocprim17ROCPRIM_400000_NS6detail17trampoline_kernelINS0_14default_configENS1_20scan_config_selectorIfEEZZNS1_9scan_implILNS1_25lookback_scan_determinismE0ELb1ELb1ES3_N6thrust23THRUST_200600_302600_NS6detail15normal_iteratorINS9_10device_ptrIfEEEENS9_16discard_iteratorINS9_11use_defaultEEEf11max_functorIfEfEEDaPvRmT3_T4_T5_mT6_P12ihipStream_tbENKUlT_T0_E_clISt17integral_constantIbLb1EESW_IbLb0EEEEDaSS_ST_EUlSS_E_NS1_11comp_targetILNS1_3genE10ELNS1_11target_archE1201ELNS1_3gpuE5ELNS1_3repE0EEENS1_30default_config_static_selectorELNS0_4arch9wavefront6targetE1EEEvT1_
; %bb.0:
	.section	.rodata,"a",@progbits
	.p2align	6, 0x0
	.amdhsa_kernel _ZN7rocprim17ROCPRIM_400000_NS6detail17trampoline_kernelINS0_14default_configENS1_20scan_config_selectorIfEEZZNS1_9scan_implILNS1_25lookback_scan_determinismE0ELb1ELb1ES3_N6thrust23THRUST_200600_302600_NS6detail15normal_iteratorINS9_10device_ptrIfEEEENS9_16discard_iteratorINS9_11use_defaultEEEf11max_functorIfEfEEDaPvRmT3_T4_T5_mT6_P12ihipStream_tbENKUlT_T0_E_clISt17integral_constantIbLb1EESW_IbLb0EEEEDaSS_ST_EUlSS_E_NS1_11comp_targetILNS1_3genE10ELNS1_11target_archE1201ELNS1_3gpuE5ELNS1_3repE0EEENS1_30default_config_static_selectorELNS0_4arch9wavefront6targetE1EEEvT1_
		.amdhsa_group_segment_fixed_size 0
		.amdhsa_private_segment_fixed_size 0
		.amdhsa_kernarg_size 104
		.amdhsa_user_sgpr_count 6
		.amdhsa_user_sgpr_private_segment_buffer 1
		.amdhsa_user_sgpr_dispatch_ptr 0
		.amdhsa_user_sgpr_queue_ptr 0
		.amdhsa_user_sgpr_kernarg_segment_ptr 1
		.amdhsa_user_sgpr_dispatch_id 0
		.amdhsa_user_sgpr_flat_scratch_init 0
		.amdhsa_user_sgpr_kernarg_preload_length 0
		.amdhsa_user_sgpr_kernarg_preload_offset 0
		.amdhsa_user_sgpr_private_segment_size 0
		.amdhsa_uses_dynamic_stack 0
		.amdhsa_system_sgpr_private_segment_wavefront_offset 0
		.amdhsa_system_sgpr_workgroup_id_x 1
		.amdhsa_system_sgpr_workgroup_id_y 0
		.amdhsa_system_sgpr_workgroup_id_z 0
		.amdhsa_system_sgpr_workgroup_info 0
		.amdhsa_system_vgpr_workitem_id 0
		.amdhsa_next_free_vgpr 1
		.amdhsa_next_free_sgpr 0
		.amdhsa_accum_offset 4
		.amdhsa_reserve_vcc 0
		.amdhsa_reserve_flat_scratch 0
		.amdhsa_float_round_mode_32 0
		.amdhsa_float_round_mode_16_64 0
		.amdhsa_float_denorm_mode_32 3
		.amdhsa_float_denorm_mode_16_64 3
		.amdhsa_dx10_clamp 1
		.amdhsa_ieee_mode 1
		.amdhsa_fp16_overflow 0
		.amdhsa_tg_split 0
		.amdhsa_exception_fp_ieee_invalid_op 0
		.amdhsa_exception_fp_denorm_src 0
		.amdhsa_exception_fp_ieee_div_zero 0
		.amdhsa_exception_fp_ieee_overflow 0
		.amdhsa_exception_fp_ieee_underflow 0
		.amdhsa_exception_fp_ieee_inexact 0
		.amdhsa_exception_int_div_zero 0
	.end_amdhsa_kernel
	.section	.text._ZN7rocprim17ROCPRIM_400000_NS6detail17trampoline_kernelINS0_14default_configENS1_20scan_config_selectorIfEEZZNS1_9scan_implILNS1_25lookback_scan_determinismE0ELb1ELb1ES3_N6thrust23THRUST_200600_302600_NS6detail15normal_iteratorINS9_10device_ptrIfEEEENS9_16discard_iteratorINS9_11use_defaultEEEf11max_functorIfEfEEDaPvRmT3_T4_T5_mT6_P12ihipStream_tbENKUlT_T0_E_clISt17integral_constantIbLb1EESW_IbLb0EEEEDaSS_ST_EUlSS_E_NS1_11comp_targetILNS1_3genE10ELNS1_11target_archE1201ELNS1_3gpuE5ELNS1_3repE0EEENS1_30default_config_static_selectorELNS0_4arch9wavefront6targetE1EEEvT1_,"axG",@progbits,_ZN7rocprim17ROCPRIM_400000_NS6detail17trampoline_kernelINS0_14default_configENS1_20scan_config_selectorIfEEZZNS1_9scan_implILNS1_25lookback_scan_determinismE0ELb1ELb1ES3_N6thrust23THRUST_200600_302600_NS6detail15normal_iteratorINS9_10device_ptrIfEEEENS9_16discard_iteratorINS9_11use_defaultEEEf11max_functorIfEfEEDaPvRmT3_T4_T5_mT6_P12ihipStream_tbENKUlT_T0_E_clISt17integral_constantIbLb1EESW_IbLb0EEEEDaSS_ST_EUlSS_E_NS1_11comp_targetILNS1_3genE10ELNS1_11target_archE1201ELNS1_3gpuE5ELNS1_3repE0EEENS1_30default_config_static_selectorELNS0_4arch9wavefront6targetE1EEEvT1_,comdat
.Lfunc_end3247:
	.size	_ZN7rocprim17ROCPRIM_400000_NS6detail17trampoline_kernelINS0_14default_configENS1_20scan_config_selectorIfEEZZNS1_9scan_implILNS1_25lookback_scan_determinismE0ELb1ELb1ES3_N6thrust23THRUST_200600_302600_NS6detail15normal_iteratorINS9_10device_ptrIfEEEENS9_16discard_iteratorINS9_11use_defaultEEEf11max_functorIfEfEEDaPvRmT3_T4_T5_mT6_P12ihipStream_tbENKUlT_T0_E_clISt17integral_constantIbLb1EESW_IbLb0EEEEDaSS_ST_EUlSS_E_NS1_11comp_targetILNS1_3genE10ELNS1_11target_archE1201ELNS1_3gpuE5ELNS1_3repE0EEENS1_30default_config_static_selectorELNS0_4arch9wavefront6targetE1EEEvT1_, .Lfunc_end3247-_ZN7rocprim17ROCPRIM_400000_NS6detail17trampoline_kernelINS0_14default_configENS1_20scan_config_selectorIfEEZZNS1_9scan_implILNS1_25lookback_scan_determinismE0ELb1ELb1ES3_N6thrust23THRUST_200600_302600_NS6detail15normal_iteratorINS9_10device_ptrIfEEEENS9_16discard_iteratorINS9_11use_defaultEEEf11max_functorIfEfEEDaPvRmT3_T4_T5_mT6_P12ihipStream_tbENKUlT_T0_E_clISt17integral_constantIbLb1EESW_IbLb0EEEEDaSS_ST_EUlSS_E_NS1_11comp_targetILNS1_3genE10ELNS1_11target_archE1201ELNS1_3gpuE5ELNS1_3repE0EEENS1_30default_config_static_selectorELNS0_4arch9wavefront6targetE1EEEvT1_
                                        ; -- End function
	.section	.AMDGPU.csdata,"",@progbits
; Kernel info:
; codeLenInByte = 0
; NumSgprs: 4
; NumVgprs: 0
; NumAgprs: 0
; TotalNumVgprs: 0
; ScratchSize: 0
; MemoryBound: 0
; FloatMode: 240
; IeeeMode: 1
; LDSByteSize: 0 bytes/workgroup (compile time only)
; SGPRBlocks: 0
; VGPRBlocks: 0
; NumSGPRsForWavesPerEU: 4
; NumVGPRsForWavesPerEU: 1
; AccumOffset: 4
; Occupancy: 8
; WaveLimiterHint : 0
; COMPUTE_PGM_RSRC2:SCRATCH_EN: 0
; COMPUTE_PGM_RSRC2:USER_SGPR: 6
; COMPUTE_PGM_RSRC2:TRAP_HANDLER: 0
; COMPUTE_PGM_RSRC2:TGID_X_EN: 1
; COMPUTE_PGM_RSRC2:TGID_Y_EN: 0
; COMPUTE_PGM_RSRC2:TGID_Z_EN: 0
; COMPUTE_PGM_RSRC2:TIDIG_COMP_CNT: 0
; COMPUTE_PGM_RSRC3_GFX90A:ACCUM_OFFSET: 0
; COMPUTE_PGM_RSRC3_GFX90A:TG_SPLIT: 0
	.section	.text._ZN7rocprim17ROCPRIM_400000_NS6detail17trampoline_kernelINS0_14default_configENS1_20scan_config_selectorIfEEZZNS1_9scan_implILNS1_25lookback_scan_determinismE0ELb1ELb1ES3_N6thrust23THRUST_200600_302600_NS6detail15normal_iteratorINS9_10device_ptrIfEEEENS9_16discard_iteratorINS9_11use_defaultEEEf11max_functorIfEfEEDaPvRmT3_T4_T5_mT6_P12ihipStream_tbENKUlT_T0_E_clISt17integral_constantIbLb1EESW_IbLb0EEEEDaSS_ST_EUlSS_E_NS1_11comp_targetILNS1_3genE10ELNS1_11target_archE1200ELNS1_3gpuE4ELNS1_3repE0EEENS1_30default_config_static_selectorELNS0_4arch9wavefront6targetE1EEEvT1_,"axG",@progbits,_ZN7rocprim17ROCPRIM_400000_NS6detail17trampoline_kernelINS0_14default_configENS1_20scan_config_selectorIfEEZZNS1_9scan_implILNS1_25lookback_scan_determinismE0ELb1ELb1ES3_N6thrust23THRUST_200600_302600_NS6detail15normal_iteratorINS9_10device_ptrIfEEEENS9_16discard_iteratorINS9_11use_defaultEEEf11max_functorIfEfEEDaPvRmT3_T4_T5_mT6_P12ihipStream_tbENKUlT_T0_E_clISt17integral_constantIbLb1EESW_IbLb0EEEEDaSS_ST_EUlSS_E_NS1_11comp_targetILNS1_3genE10ELNS1_11target_archE1200ELNS1_3gpuE4ELNS1_3repE0EEENS1_30default_config_static_selectorELNS0_4arch9wavefront6targetE1EEEvT1_,comdat
	.protected	_ZN7rocprim17ROCPRIM_400000_NS6detail17trampoline_kernelINS0_14default_configENS1_20scan_config_selectorIfEEZZNS1_9scan_implILNS1_25lookback_scan_determinismE0ELb1ELb1ES3_N6thrust23THRUST_200600_302600_NS6detail15normal_iteratorINS9_10device_ptrIfEEEENS9_16discard_iteratorINS9_11use_defaultEEEf11max_functorIfEfEEDaPvRmT3_T4_T5_mT6_P12ihipStream_tbENKUlT_T0_E_clISt17integral_constantIbLb1EESW_IbLb0EEEEDaSS_ST_EUlSS_E_NS1_11comp_targetILNS1_3genE10ELNS1_11target_archE1200ELNS1_3gpuE4ELNS1_3repE0EEENS1_30default_config_static_selectorELNS0_4arch9wavefront6targetE1EEEvT1_ ; -- Begin function _ZN7rocprim17ROCPRIM_400000_NS6detail17trampoline_kernelINS0_14default_configENS1_20scan_config_selectorIfEEZZNS1_9scan_implILNS1_25lookback_scan_determinismE0ELb1ELb1ES3_N6thrust23THRUST_200600_302600_NS6detail15normal_iteratorINS9_10device_ptrIfEEEENS9_16discard_iteratorINS9_11use_defaultEEEf11max_functorIfEfEEDaPvRmT3_T4_T5_mT6_P12ihipStream_tbENKUlT_T0_E_clISt17integral_constantIbLb1EESW_IbLb0EEEEDaSS_ST_EUlSS_E_NS1_11comp_targetILNS1_3genE10ELNS1_11target_archE1200ELNS1_3gpuE4ELNS1_3repE0EEENS1_30default_config_static_selectorELNS0_4arch9wavefront6targetE1EEEvT1_
	.globl	_ZN7rocprim17ROCPRIM_400000_NS6detail17trampoline_kernelINS0_14default_configENS1_20scan_config_selectorIfEEZZNS1_9scan_implILNS1_25lookback_scan_determinismE0ELb1ELb1ES3_N6thrust23THRUST_200600_302600_NS6detail15normal_iteratorINS9_10device_ptrIfEEEENS9_16discard_iteratorINS9_11use_defaultEEEf11max_functorIfEfEEDaPvRmT3_T4_T5_mT6_P12ihipStream_tbENKUlT_T0_E_clISt17integral_constantIbLb1EESW_IbLb0EEEEDaSS_ST_EUlSS_E_NS1_11comp_targetILNS1_3genE10ELNS1_11target_archE1200ELNS1_3gpuE4ELNS1_3repE0EEENS1_30default_config_static_selectorELNS0_4arch9wavefront6targetE1EEEvT1_
	.p2align	8
	.type	_ZN7rocprim17ROCPRIM_400000_NS6detail17trampoline_kernelINS0_14default_configENS1_20scan_config_selectorIfEEZZNS1_9scan_implILNS1_25lookback_scan_determinismE0ELb1ELb1ES3_N6thrust23THRUST_200600_302600_NS6detail15normal_iteratorINS9_10device_ptrIfEEEENS9_16discard_iteratorINS9_11use_defaultEEEf11max_functorIfEfEEDaPvRmT3_T4_T5_mT6_P12ihipStream_tbENKUlT_T0_E_clISt17integral_constantIbLb1EESW_IbLb0EEEEDaSS_ST_EUlSS_E_NS1_11comp_targetILNS1_3genE10ELNS1_11target_archE1200ELNS1_3gpuE4ELNS1_3repE0EEENS1_30default_config_static_selectorELNS0_4arch9wavefront6targetE1EEEvT1_,@function
_ZN7rocprim17ROCPRIM_400000_NS6detail17trampoline_kernelINS0_14default_configENS1_20scan_config_selectorIfEEZZNS1_9scan_implILNS1_25lookback_scan_determinismE0ELb1ELb1ES3_N6thrust23THRUST_200600_302600_NS6detail15normal_iteratorINS9_10device_ptrIfEEEENS9_16discard_iteratorINS9_11use_defaultEEEf11max_functorIfEfEEDaPvRmT3_T4_T5_mT6_P12ihipStream_tbENKUlT_T0_E_clISt17integral_constantIbLb1EESW_IbLb0EEEEDaSS_ST_EUlSS_E_NS1_11comp_targetILNS1_3genE10ELNS1_11target_archE1200ELNS1_3gpuE4ELNS1_3repE0EEENS1_30default_config_static_selectorELNS0_4arch9wavefront6targetE1EEEvT1_: ; @_ZN7rocprim17ROCPRIM_400000_NS6detail17trampoline_kernelINS0_14default_configENS1_20scan_config_selectorIfEEZZNS1_9scan_implILNS1_25lookback_scan_determinismE0ELb1ELb1ES3_N6thrust23THRUST_200600_302600_NS6detail15normal_iteratorINS9_10device_ptrIfEEEENS9_16discard_iteratorINS9_11use_defaultEEEf11max_functorIfEfEEDaPvRmT3_T4_T5_mT6_P12ihipStream_tbENKUlT_T0_E_clISt17integral_constantIbLb1EESW_IbLb0EEEEDaSS_ST_EUlSS_E_NS1_11comp_targetILNS1_3genE10ELNS1_11target_archE1200ELNS1_3gpuE4ELNS1_3repE0EEENS1_30default_config_static_selectorELNS0_4arch9wavefront6targetE1EEEvT1_
; %bb.0:
	.section	.rodata,"a",@progbits
	.p2align	6, 0x0
	.amdhsa_kernel _ZN7rocprim17ROCPRIM_400000_NS6detail17trampoline_kernelINS0_14default_configENS1_20scan_config_selectorIfEEZZNS1_9scan_implILNS1_25lookback_scan_determinismE0ELb1ELb1ES3_N6thrust23THRUST_200600_302600_NS6detail15normal_iteratorINS9_10device_ptrIfEEEENS9_16discard_iteratorINS9_11use_defaultEEEf11max_functorIfEfEEDaPvRmT3_T4_T5_mT6_P12ihipStream_tbENKUlT_T0_E_clISt17integral_constantIbLb1EESW_IbLb0EEEEDaSS_ST_EUlSS_E_NS1_11comp_targetILNS1_3genE10ELNS1_11target_archE1200ELNS1_3gpuE4ELNS1_3repE0EEENS1_30default_config_static_selectorELNS0_4arch9wavefront6targetE1EEEvT1_
		.amdhsa_group_segment_fixed_size 0
		.amdhsa_private_segment_fixed_size 0
		.amdhsa_kernarg_size 104
		.amdhsa_user_sgpr_count 6
		.amdhsa_user_sgpr_private_segment_buffer 1
		.amdhsa_user_sgpr_dispatch_ptr 0
		.amdhsa_user_sgpr_queue_ptr 0
		.amdhsa_user_sgpr_kernarg_segment_ptr 1
		.amdhsa_user_sgpr_dispatch_id 0
		.amdhsa_user_sgpr_flat_scratch_init 0
		.amdhsa_user_sgpr_kernarg_preload_length 0
		.amdhsa_user_sgpr_kernarg_preload_offset 0
		.amdhsa_user_sgpr_private_segment_size 0
		.amdhsa_uses_dynamic_stack 0
		.amdhsa_system_sgpr_private_segment_wavefront_offset 0
		.amdhsa_system_sgpr_workgroup_id_x 1
		.amdhsa_system_sgpr_workgroup_id_y 0
		.amdhsa_system_sgpr_workgroup_id_z 0
		.amdhsa_system_sgpr_workgroup_info 0
		.amdhsa_system_vgpr_workitem_id 0
		.amdhsa_next_free_vgpr 1
		.amdhsa_next_free_sgpr 0
		.amdhsa_accum_offset 4
		.amdhsa_reserve_vcc 0
		.amdhsa_reserve_flat_scratch 0
		.amdhsa_float_round_mode_32 0
		.amdhsa_float_round_mode_16_64 0
		.amdhsa_float_denorm_mode_32 3
		.amdhsa_float_denorm_mode_16_64 3
		.amdhsa_dx10_clamp 1
		.amdhsa_ieee_mode 1
		.amdhsa_fp16_overflow 0
		.amdhsa_tg_split 0
		.amdhsa_exception_fp_ieee_invalid_op 0
		.amdhsa_exception_fp_denorm_src 0
		.amdhsa_exception_fp_ieee_div_zero 0
		.amdhsa_exception_fp_ieee_overflow 0
		.amdhsa_exception_fp_ieee_underflow 0
		.amdhsa_exception_fp_ieee_inexact 0
		.amdhsa_exception_int_div_zero 0
	.end_amdhsa_kernel
	.section	.text._ZN7rocprim17ROCPRIM_400000_NS6detail17trampoline_kernelINS0_14default_configENS1_20scan_config_selectorIfEEZZNS1_9scan_implILNS1_25lookback_scan_determinismE0ELb1ELb1ES3_N6thrust23THRUST_200600_302600_NS6detail15normal_iteratorINS9_10device_ptrIfEEEENS9_16discard_iteratorINS9_11use_defaultEEEf11max_functorIfEfEEDaPvRmT3_T4_T5_mT6_P12ihipStream_tbENKUlT_T0_E_clISt17integral_constantIbLb1EESW_IbLb0EEEEDaSS_ST_EUlSS_E_NS1_11comp_targetILNS1_3genE10ELNS1_11target_archE1200ELNS1_3gpuE4ELNS1_3repE0EEENS1_30default_config_static_selectorELNS0_4arch9wavefront6targetE1EEEvT1_,"axG",@progbits,_ZN7rocprim17ROCPRIM_400000_NS6detail17trampoline_kernelINS0_14default_configENS1_20scan_config_selectorIfEEZZNS1_9scan_implILNS1_25lookback_scan_determinismE0ELb1ELb1ES3_N6thrust23THRUST_200600_302600_NS6detail15normal_iteratorINS9_10device_ptrIfEEEENS9_16discard_iteratorINS9_11use_defaultEEEf11max_functorIfEfEEDaPvRmT3_T4_T5_mT6_P12ihipStream_tbENKUlT_T0_E_clISt17integral_constantIbLb1EESW_IbLb0EEEEDaSS_ST_EUlSS_E_NS1_11comp_targetILNS1_3genE10ELNS1_11target_archE1200ELNS1_3gpuE4ELNS1_3repE0EEENS1_30default_config_static_selectorELNS0_4arch9wavefront6targetE1EEEvT1_,comdat
.Lfunc_end3248:
	.size	_ZN7rocprim17ROCPRIM_400000_NS6detail17trampoline_kernelINS0_14default_configENS1_20scan_config_selectorIfEEZZNS1_9scan_implILNS1_25lookback_scan_determinismE0ELb1ELb1ES3_N6thrust23THRUST_200600_302600_NS6detail15normal_iteratorINS9_10device_ptrIfEEEENS9_16discard_iteratorINS9_11use_defaultEEEf11max_functorIfEfEEDaPvRmT3_T4_T5_mT6_P12ihipStream_tbENKUlT_T0_E_clISt17integral_constantIbLb1EESW_IbLb0EEEEDaSS_ST_EUlSS_E_NS1_11comp_targetILNS1_3genE10ELNS1_11target_archE1200ELNS1_3gpuE4ELNS1_3repE0EEENS1_30default_config_static_selectorELNS0_4arch9wavefront6targetE1EEEvT1_, .Lfunc_end3248-_ZN7rocprim17ROCPRIM_400000_NS6detail17trampoline_kernelINS0_14default_configENS1_20scan_config_selectorIfEEZZNS1_9scan_implILNS1_25lookback_scan_determinismE0ELb1ELb1ES3_N6thrust23THRUST_200600_302600_NS6detail15normal_iteratorINS9_10device_ptrIfEEEENS9_16discard_iteratorINS9_11use_defaultEEEf11max_functorIfEfEEDaPvRmT3_T4_T5_mT6_P12ihipStream_tbENKUlT_T0_E_clISt17integral_constantIbLb1EESW_IbLb0EEEEDaSS_ST_EUlSS_E_NS1_11comp_targetILNS1_3genE10ELNS1_11target_archE1200ELNS1_3gpuE4ELNS1_3repE0EEENS1_30default_config_static_selectorELNS0_4arch9wavefront6targetE1EEEvT1_
                                        ; -- End function
	.section	.AMDGPU.csdata,"",@progbits
; Kernel info:
; codeLenInByte = 0
; NumSgprs: 4
; NumVgprs: 0
; NumAgprs: 0
; TotalNumVgprs: 0
; ScratchSize: 0
; MemoryBound: 0
; FloatMode: 240
; IeeeMode: 1
; LDSByteSize: 0 bytes/workgroup (compile time only)
; SGPRBlocks: 0
; VGPRBlocks: 0
; NumSGPRsForWavesPerEU: 4
; NumVGPRsForWavesPerEU: 1
; AccumOffset: 4
; Occupancy: 8
; WaveLimiterHint : 0
; COMPUTE_PGM_RSRC2:SCRATCH_EN: 0
; COMPUTE_PGM_RSRC2:USER_SGPR: 6
; COMPUTE_PGM_RSRC2:TRAP_HANDLER: 0
; COMPUTE_PGM_RSRC2:TGID_X_EN: 1
; COMPUTE_PGM_RSRC2:TGID_Y_EN: 0
; COMPUTE_PGM_RSRC2:TGID_Z_EN: 0
; COMPUTE_PGM_RSRC2:TIDIG_COMP_CNT: 0
; COMPUTE_PGM_RSRC3_GFX90A:ACCUM_OFFSET: 0
; COMPUTE_PGM_RSRC3_GFX90A:TG_SPLIT: 0
	.section	.text._ZN7rocprim17ROCPRIM_400000_NS6detail17trampoline_kernelINS0_14default_configENS1_20scan_config_selectorIfEEZZNS1_9scan_implILNS1_25lookback_scan_determinismE0ELb1ELb1ES3_N6thrust23THRUST_200600_302600_NS6detail15normal_iteratorINS9_10device_ptrIfEEEENS9_16discard_iteratorINS9_11use_defaultEEEf11max_functorIfEfEEDaPvRmT3_T4_T5_mT6_P12ihipStream_tbENKUlT_T0_E_clISt17integral_constantIbLb1EESW_IbLb0EEEEDaSS_ST_EUlSS_E_NS1_11comp_targetILNS1_3genE9ELNS1_11target_archE1100ELNS1_3gpuE3ELNS1_3repE0EEENS1_30default_config_static_selectorELNS0_4arch9wavefront6targetE1EEEvT1_,"axG",@progbits,_ZN7rocprim17ROCPRIM_400000_NS6detail17trampoline_kernelINS0_14default_configENS1_20scan_config_selectorIfEEZZNS1_9scan_implILNS1_25lookback_scan_determinismE0ELb1ELb1ES3_N6thrust23THRUST_200600_302600_NS6detail15normal_iteratorINS9_10device_ptrIfEEEENS9_16discard_iteratorINS9_11use_defaultEEEf11max_functorIfEfEEDaPvRmT3_T4_T5_mT6_P12ihipStream_tbENKUlT_T0_E_clISt17integral_constantIbLb1EESW_IbLb0EEEEDaSS_ST_EUlSS_E_NS1_11comp_targetILNS1_3genE9ELNS1_11target_archE1100ELNS1_3gpuE3ELNS1_3repE0EEENS1_30default_config_static_selectorELNS0_4arch9wavefront6targetE1EEEvT1_,comdat
	.protected	_ZN7rocprim17ROCPRIM_400000_NS6detail17trampoline_kernelINS0_14default_configENS1_20scan_config_selectorIfEEZZNS1_9scan_implILNS1_25lookback_scan_determinismE0ELb1ELb1ES3_N6thrust23THRUST_200600_302600_NS6detail15normal_iteratorINS9_10device_ptrIfEEEENS9_16discard_iteratorINS9_11use_defaultEEEf11max_functorIfEfEEDaPvRmT3_T4_T5_mT6_P12ihipStream_tbENKUlT_T0_E_clISt17integral_constantIbLb1EESW_IbLb0EEEEDaSS_ST_EUlSS_E_NS1_11comp_targetILNS1_3genE9ELNS1_11target_archE1100ELNS1_3gpuE3ELNS1_3repE0EEENS1_30default_config_static_selectorELNS0_4arch9wavefront6targetE1EEEvT1_ ; -- Begin function _ZN7rocprim17ROCPRIM_400000_NS6detail17trampoline_kernelINS0_14default_configENS1_20scan_config_selectorIfEEZZNS1_9scan_implILNS1_25lookback_scan_determinismE0ELb1ELb1ES3_N6thrust23THRUST_200600_302600_NS6detail15normal_iteratorINS9_10device_ptrIfEEEENS9_16discard_iteratorINS9_11use_defaultEEEf11max_functorIfEfEEDaPvRmT3_T4_T5_mT6_P12ihipStream_tbENKUlT_T0_E_clISt17integral_constantIbLb1EESW_IbLb0EEEEDaSS_ST_EUlSS_E_NS1_11comp_targetILNS1_3genE9ELNS1_11target_archE1100ELNS1_3gpuE3ELNS1_3repE0EEENS1_30default_config_static_selectorELNS0_4arch9wavefront6targetE1EEEvT1_
	.globl	_ZN7rocprim17ROCPRIM_400000_NS6detail17trampoline_kernelINS0_14default_configENS1_20scan_config_selectorIfEEZZNS1_9scan_implILNS1_25lookback_scan_determinismE0ELb1ELb1ES3_N6thrust23THRUST_200600_302600_NS6detail15normal_iteratorINS9_10device_ptrIfEEEENS9_16discard_iteratorINS9_11use_defaultEEEf11max_functorIfEfEEDaPvRmT3_T4_T5_mT6_P12ihipStream_tbENKUlT_T0_E_clISt17integral_constantIbLb1EESW_IbLb0EEEEDaSS_ST_EUlSS_E_NS1_11comp_targetILNS1_3genE9ELNS1_11target_archE1100ELNS1_3gpuE3ELNS1_3repE0EEENS1_30default_config_static_selectorELNS0_4arch9wavefront6targetE1EEEvT1_
	.p2align	8
	.type	_ZN7rocprim17ROCPRIM_400000_NS6detail17trampoline_kernelINS0_14default_configENS1_20scan_config_selectorIfEEZZNS1_9scan_implILNS1_25lookback_scan_determinismE0ELb1ELb1ES3_N6thrust23THRUST_200600_302600_NS6detail15normal_iteratorINS9_10device_ptrIfEEEENS9_16discard_iteratorINS9_11use_defaultEEEf11max_functorIfEfEEDaPvRmT3_T4_T5_mT6_P12ihipStream_tbENKUlT_T0_E_clISt17integral_constantIbLb1EESW_IbLb0EEEEDaSS_ST_EUlSS_E_NS1_11comp_targetILNS1_3genE9ELNS1_11target_archE1100ELNS1_3gpuE3ELNS1_3repE0EEENS1_30default_config_static_selectorELNS0_4arch9wavefront6targetE1EEEvT1_,@function
_ZN7rocprim17ROCPRIM_400000_NS6detail17trampoline_kernelINS0_14default_configENS1_20scan_config_selectorIfEEZZNS1_9scan_implILNS1_25lookback_scan_determinismE0ELb1ELb1ES3_N6thrust23THRUST_200600_302600_NS6detail15normal_iteratorINS9_10device_ptrIfEEEENS9_16discard_iteratorINS9_11use_defaultEEEf11max_functorIfEfEEDaPvRmT3_T4_T5_mT6_P12ihipStream_tbENKUlT_T0_E_clISt17integral_constantIbLb1EESW_IbLb0EEEEDaSS_ST_EUlSS_E_NS1_11comp_targetILNS1_3genE9ELNS1_11target_archE1100ELNS1_3gpuE3ELNS1_3repE0EEENS1_30default_config_static_selectorELNS0_4arch9wavefront6targetE1EEEvT1_: ; @_ZN7rocprim17ROCPRIM_400000_NS6detail17trampoline_kernelINS0_14default_configENS1_20scan_config_selectorIfEEZZNS1_9scan_implILNS1_25lookback_scan_determinismE0ELb1ELb1ES3_N6thrust23THRUST_200600_302600_NS6detail15normal_iteratorINS9_10device_ptrIfEEEENS9_16discard_iteratorINS9_11use_defaultEEEf11max_functorIfEfEEDaPvRmT3_T4_T5_mT6_P12ihipStream_tbENKUlT_T0_E_clISt17integral_constantIbLb1EESW_IbLb0EEEEDaSS_ST_EUlSS_E_NS1_11comp_targetILNS1_3genE9ELNS1_11target_archE1100ELNS1_3gpuE3ELNS1_3repE0EEENS1_30default_config_static_selectorELNS0_4arch9wavefront6targetE1EEEvT1_
; %bb.0:
	.section	.rodata,"a",@progbits
	.p2align	6, 0x0
	.amdhsa_kernel _ZN7rocprim17ROCPRIM_400000_NS6detail17trampoline_kernelINS0_14default_configENS1_20scan_config_selectorIfEEZZNS1_9scan_implILNS1_25lookback_scan_determinismE0ELb1ELb1ES3_N6thrust23THRUST_200600_302600_NS6detail15normal_iteratorINS9_10device_ptrIfEEEENS9_16discard_iteratorINS9_11use_defaultEEEf11max_functorIfEfEEDaPvRmT3_T4_T5_mT6_P12ihipStream_tbENKUlT_T0_E_clISt17integral_constantIbLb1EESW_IbLb0EEEEDaSS_ST_EUlSS_E_NS1_11comp_targetILNS1_3genE9ELNS1_11target_archE1100ELNS1_3gpuE3ELNS1_3repE0EEENS1_30default_config_static_selectorELNS0_4arch9wavefront6targetE1EEEvT1_
		.amdhsa_group_segment_fixed_size 0
		.amdhsa_private_segment_fixed_size 0
		.amdhsa_kernarg_size 104
		.amdhsa_user_sgpr_count 6
		.amdhsa_user_sgpr_private_segment_buffer 1
		.amdhsa_user_sgpr_dispatch_ptr 0
		.amdhsa_user_sgpr_queue_ptr 0
		.amdhsa_user_sgpr_kernarg_segment_ptr 1
		.amdhsa_user_sgpr_dispatch_id 0
		.amdhsa_user_sgpr_flat_scratch_init 0
		.amdhsa_user_sgpr_kernarg_preload_length 0
		.amdhsa_user_sgpr_kernarg_preload_offset 0
		.amdhsa_user_sgpr_private_segment_size 0
		.amdhsa_uses_dynamic_stack 0
		.amdhsa_system_sgpr_private_segment_wavefront_offset 0
		.amdhsa_system_sgpr_workgroup_id_x 1
		.amdhsa_system_sgpr_workgroup_id_y 0
		.amdhsa_system_sgpr_workgroup_id_z 0
		.amdhsa_system_sgpr_workgroup_info 0
		.amdhsa_system_vgpr_workitem_id 0
		.amdhsa_next_free_vgpr 1
		.amdhsa_next_free_sgpr 0
		.amdhsa_accum_offset 4
		.amdhsa_reserve_vcc 0
		.amdhsa_reserve_flat_scratch 0
		.amdhsa_float_round_mode_32 0
		.amdhsa_float_round_mode_16_64 0
		.amdhsa_float_denorm_mode_32 3
		.amdhsa_float_denorm_mode_16_64 3
		.amdhsa_dx10_clamp 1
		.amdhsa_ieee_mode 1
		.amdhsa_fp16_overflow 0
		.amdhsa_tg_split 0
		.amdhsa_exception_fp_ieee_invalid_op 0
		.amdhsa_exception_fp_denorm_src 0
		.amdhsa_exception_fp_ieee_div_zero 0
		.amdhsa_exception_fp_ieee_overflow 0
		.amdhsa_exception_fp_ieee_underflow 0
		.amdhsa_exception_fp_ieee_inexact 0
		.amdhsa_exception_int_div_zero 0
	.end_amdhsa_kernel
	.section	.text._ZN7rocprim17ROCPRIM_400000_NS6detail17trampoline_kernelINS0_14default_configENS1_20scan_config_selectorIfEEZZNS1_9scan_implILNS1_25lookback_scan_determinismE0ELb1ELb1ES3_N6thrust23THRUST_200600_302600_NS6detail15normal_iteratorINS9_10device_ptrIfEEEENS9_16discard_iteratorINS9_11use_defaultEEEf11max_functorIfEfEEDaPvRmT3_T4_T5_mT6_P12ihipStream_tbENKUlT_T0_E_clISt17integral_constantIbLb1EESW_IbLb0EEEEDaSS_ST_EUlSS_E_NS1_11comp_targetILNS1_3genE9ELNS1_11target_archE1100ELNS1_3gpuE3ELNS1_3repE0EEENS1_30default_config_static_selectorELNS0_4arch9wavefront6targetE1EEEvT1_,"axG",@progbits,_ZN7rocprim17ROCPRIM_400000_NS6detail17trampoline_kernelINS0_14default_configENS1_20scan_config_selectorIfEEZZNS1_9scan_implILNS1_25lookback_scan_determinismE0ELb1ELb1ES3_N6thrust23THRUST_200600_302600_NS6detail15normal_iteratorINS9_10device_ptrIfEEEENS9_16discard_iteratorINS9_11use_defaultEEEf11max_functorIfEfEEDaPvRmT3_T4_T5_mT6_P12ihipStream_tbENKUlT_T0_E_clISt17integral_constantIbLb1EESW_IbLb0EEEEDaSS_ST_EUlSS_E_NS1_11comp_targetILNS1_3genE9ELNS1_11target_archE1100ELNS1_3gpuE3ELNS1_3repE0EEENS1_30default_config_static_selectorELNS0_4arch9wavefront6targetE1EEEvT1_,comdat
.Lfunc_end3249:
	.size	_ZN7rocprim17ROCPRIM_400000_NS6detail17trampoline_kernelINS0_14default_configENS1_20scan_config_selectorIfEEZZNS1_9scan_implILNS1_25lookback_scan_determinismE0ELb1ELb1ES3_N6thrust23THRUST_200600_302600_NS6detail15normal_iteratorINS9_10device_ptrIfEEEENS9_16discard_iteratorINS9_11use_defaultEEEf11max_functorIfEfEEDaPvRmT3_T4_T5_mT6_P12ihipStream_tbENKUlT_T0_E_clISt17integral_constantIbLb1EESW_IbLb0EEEEDaSS_ST_EUlSS_E_NS1_11comp_targetILNS1_3genE9ELNS1_11target_archE1100ELNS1_3gpuE3ELNS1_3repE0EEENS1_30default_config_static_selectorELNS0_4arch9wavefront6targetE1EEEvT1_, .Lfunc_end3249-_ZN7rocprim17ROCPRIM_400000_NS6detail17trampoline_kernelINS0_14default_configENS1_20scan_config_selectorIfEEZZNS1_9scan_implILNS1_25lookback_scan_determinismE0ELb1ELb1ES3_N6thrust23THRUST_200600_302600_NS6detail15normal_iteratorINS9_10device_ptrIfEEEENS9_16discard_iteratorINS9_11use_defaultEEEf11max_functorIfEfEEDaPvRmT3_T4_T5_mT6_P12ihipStream_tbENKUlT_T0_E_clISt17integral_constantIbLb1EESW_IbLb0EEEEDaSS_ST_EUlSS_E_NS1_11comp_targetILNS1_3genE9ELNS1_11target_archE1100ELNS1_3gpuE3ELNS1_3repE0EEENS1_30default_config_static_selectorELNS0_4arch9wavefront6targetE1EEEvT1_
                                        ; -- End function
	.section	.AMDGPU.csdata,"",@progbits
; Kernel info:
; codeLenInByte = 0
; NumSgprs: 4
; NumVgprs: 0
; NumAgprs: 0
; TotalNumVgprs: 0
; ScratchSize: 0
; MemoryBound: 0
; FloatMode: 240
; IeeeMode: 1
; LDSByteSize: 0 bytes/workgroup (compile time only)
; SGPRBlocks: 0
; VGPRBlocks: 0
; NumSGPRsForWavesPerEU: 4
; NumVGPRsForWavesPerEU: 1
; AccumOffset: 4
; Occupancy: 8
; WaveLimiterHint : 0
; COMPUTE_PGM_RSRC2:SCRATCH_EN: 0
; COMPUTE_PGM_RSRC2:USER_SGPR: 6
; COMPUTE_PGM_RSRC2:TRAP_HANDLER: 0
; COMPUTE_PGM_RSRC2:TGID_X_EN: 1
; COMPUTE_PGM_RSRC2:TGID_Y_EN: 0
; COMPUTE_PGM_RSRC2:TGID_Z_EN: 0
; COMPUTE_PGM_RSRC2:TIDIG_COMP_CNT: 0
; COMPUTE_PGM_RSRC3_GFX90A:ACCUM_OFFSET: 0
; COMPUTE_PGM_RSRC3_GFX90A:TG_SPLIT: 0
	.section	.text._ZN7rocprim17ROCPRIM_400000_NS6detail17trampoline_kernelINS0_14default_configENS1_20scan_config_selectorIfEEZZNS1_9scan_implILNS1_25lookback_scan_determinismE0ELb1ELb1ES3_N6thrust23THRUST_200600_302600_NS6detail15normal_iteratorINS9_10device_ptrIfEEEENS9_16discard_iteratorINS9_11use_defaultEEEf11max_functorIfEfEEDaPvRmT3_T4_T5_mT6_P12ihipStream_tbENKUlT_T0_E_clISt17integral_constantIbLb1EESW_IbLb0EEEEDaSS_ST_EUlSS_E_NS1_11comp_targetILNS1_3genE8ELNS1_11target_archE1030ELNS1_3gpuE2ELNS1_3repE0EEENS1_30default_config_static_selectorELNS0_4arch9wavefront6targetE1EEEvT1_,"axG",@progbits,_ZN7rocprim17ROCPRIM_400000_NS6detail17trampoline_kernelINS0_14default_configENS1_20scan_config_selectorIfEEZZNS1_9scan_implILNS1_25lookback_scan_determinismE0ELb1ELb1ES3_N6thrust23THRUST_200600_302600_NS6detail15normal_iteratorINS9_10device_ptrIfEEEENS9_16discard_iteratorINS9_11use_defaultEEEf11max_functorIfEfEEDaPvRmT3_T4_T5_mT6_P12ihipStream_tbENKUlT_T0_E_clISt17integral_constantIbLb1EESW_IbLb0EEEEDaSS_ST_EUlSS_E_NS1_11comp_targetILNS1_3genE8ELNS1_11target_archE1030ELNS1_3gpuE2ELNS1_3repE0EEENS1_30default_config_static_selectorELNS0_4arch9wavefront6targetE1EEEvT1_,comdat
	.protected	_ZN7rocprim17ROCPRIM_400000_NS6detail17trampoline_kernelINS0_14default_configENS1_20scan_config_selectorIfEEZZNS1_9scan_implILNS1_25lookback_scan_determinismE0ELb1ELb1ES3_N6thrust23THRUST_200600_302600_NS6detail15normal_iteratorINS9_10device_ptrIfEEEENS9_16discard_iteratorINS9_11use_defaultEEEf11max_functorIfEfEEDaPvRmT3_T4_T5_mT6_P12ihipStream_tbENKUlT_T0_E_clISt17integral_constantIbLb1EESW_IbLb0EEEEDaSS_ST_EUlSS_E_NS1_11comp_targetILNS1_3genE8ELNS1_11target_archE1030ELNS1_3gpuE2ELNS1_3repE0EEENS1_30default_config_static_selectorELNS0_4arch9wavefront6targetE1EEEvT1_ ; -- Begin function _ZN7rocprim17ROCPRIM_400000_NS6detail17trampoline_kernelINS0_14default_configENS1_20scan_config_selectorIfEEZZNS1_9scan_implILNS1_25lookback_scan_determinismE0ELb1ELb1ES3_N6thrust23THRUST_200600_302600_NS6detail15normal_iteratorINS9_10device_ptrIfEEEENS9_16discard_iteratorINS9_11use_defaultEEEf11max_functorIfEfEEDaPvRmT3_T4_T5_mT6_P12ihipStream_tbENKUlT_T0_E_clISt17integral_constantIbLb1EESW_IbLb0EEEEDaSS_ST_EUlSS_E_NS1_11comp_targetILNS1_3genE8ELNS1_11target_archE1030ELNS1_3gpuE2ELNS1_3repE0EEENS1_30default_config_static_selectorELNS0_4arch9wavefront6targetE1EEEvT1_
	.globl	_ZN7rocprim17ROCPRIM_400000_NS6detail17trampoline_kernelINS0_14default_configENS1_20scan_config_selectorIfEEZZNS1_9scan_implILNS1_25lookback_scan_determinismE0ELb1ELb1ES3_N6thrust23THRUST_200600_302600_NS6detail15normal_iteratorINS9_10device_ptrIfEEEENS9_16discard_iteratorINS9_11use_defaultEEEf11max_functorIfEfEEDaPvRmT3_T4_T5_mT6_P12ihipStream_tbENKUlT_T0_E_clISt17integral_constantIbLb1EESW_IbLb0EEEEDaSS_ST_EUlSS_E_NS1_11comp_targetILNS1_3genE8ELNS1_11target_archE1030ELNS1_3gpuE2ELNS1_3repE0EEENS1_30default_config_static_selectorELNS0_4arch9wavefront6targetE1EEEvT1_
	.p2align	8
	.type	_ZN7rocprim17ROCPRIM_400000_NS6detail17trampoline_kernelINS0_14default_configENS1_20scan_config_selectorIfEEZZNS1_9scan_implILNS1_25lookback_scan_determinismE0ELb1ELb1ES3_N6thrust23THRUST_200600_302600_NS6detail15normal_iteratorINS9_10device_ptrIfEEEENS9_16discard_iteratorINS9_11use_defaultEEEf11max_functorIfEfEEDaPvRmT3_T4_T5_mT6_P12ihipStream_tbENKUlT_T0_E_clISt17integral_constantIbLb1EESW_IbLb0EEEEDaSS_ST_EUlSS_E_NS1_11comp_targetILNS1_3genE8ELNS1_11target_archE1030ELNS1_3gpuE2ELNS1_3repE0EEENS1_30default_config_static_selectorELNS0_4arch9wavefront6targetE1EEEvT1_,@function
_ZN7rocprim17ROCPRIM_400000_NS6detail17trampoline_kernelINS0_14default_configENS1_20scan_config_selectorIfEEZZNS1_9scan_implILNS1_25lookback_scan_determinismE0ELb1ELb1ES3_N6thrust23THRUST_200600_302600_NS6detail15normal_iteratorINS9_10device_ptrIfEEEENS9_16discard_iteratorINS9_11use_defaultEEEf11max_functorIfEfEEDaPvRmT3_T4_T5_mT6_P12ihipStream_tbENKUlT_T0_E_clISt17integral_constantIbLb1EESW_IbLb0EEEEDaSS_ST_EUlSS_E_NS1_11comp_targetILNS1_3genE8ELNS1_11target_archE1030ELNS1_3gpuE2ELNS1_3repE0EEENS1_30default_config_static_selectorELNS0_4arch9wavefront6targetE1EEEvT1_: ; @_ZN7rocprim17ROCPRIM_400000_NS6detail17trampoline_kernelINS0_14default_configENS1_20scan_config_selectorIfEEZZNS1_9scan_implILNS1_25lookback_scan_determinismE0ELb1ELb1ES3_N6thrust23THRUST_200600_302600_NS6detail15normal_iteratorINS9_10device_ptrIfEEEENS9_16discard_iteratorINS9_11use_defaultEEEf11max_functorIfEfEEDaPvRmT3_T4_T5_mT6_P12ihipStream_tbENKUlT_T0_E_clISt17integral_constantIbLb1EESW_IbLb0EEEEDaSS_ST_EUlSS_E_NS1_11comp_targetILNS1_3genE8ELNS1_11target_archE1030ELNS1_3gpuE2ELNS1_3repE0EEENS1_30default_config_static_selectorELNS0_4arch9wavefront6targetE1EEEvT1_
; %bb.0:
	.section	.rodata,"a",@progbits
	.p2align	6, 0x0
	.amdhsa_kernel _ZN7rocprim17ROCPRIM_400000_NS6detail17trampoline_kernelINS0_14default_configENS1_20scan_config_selectorIfEEZZNS1_9scan_implILNS1_25lookback_scan_determinismE0ELb1ELb1ES3_N6thrust23THRUST_200600_302600_NS6detail15normal_iteratorINS9_10device_ptrIfEEEENS9_16discard_iteratorINS9_11use_defaultEEEf11max_functorIfEfEEDaPvRmT3_T4_T5_mT6_P12ihipStream_tbENKUlT_T0_E_clISt17integral_constantIbLb1EESW_IbLb0EEEEDaSS_ST_EUlSS_E_NS1_11comp_targetILNS1_3genE8ELNS1_11target_archE1030ELNS1_3gpuE2ELNS1_3repE0EEENS1_30default_config_static_selectorELNS0_4arch9wavefront6targetE1EEEvT1_
		.amdhsa_group_segment_fixed_size 0
		.amdhsa_private_segment_fixed_size 0
		.amdhsa_kernarg_size 104
		.amdhsa_user_sgpr_count 6
		.amdhsa_user_sgpr_private_segment_buffer 1
		.amdhsa_user_sgpr_dispatch_ptr 0
		.amdhsa_user_sgpr_queue_ptr 0
		.amdhsa_user_sgpr_kernarg_segment_ptr 1
		.amdhsa_user_sgpr_dispatch_id 0
		.amdhsa_user_sgpr_flat_scratch_init 0
		.amdhsa_user_sgpr_kernarg_preload_length 0
		.amdhsa_user_sgpr_kernarg_preload_offset 0
		.amdhsa_user_sgpr_private_segment_size 0
		.amdhsa_uses_dynamic_stack 0
		.amdhsa_system_sgpr_private_segment_wavefront_offset 0
		.amdhsa_system_sgpr_workgroup_id_x 1
		.amdhsa_system_sgpr_workgroup_id_y 0
		.amdhsa_system_sgpr_workgroup_id_z 0
		.amdhsa_system_sgpr_workgroup_info 0
		.amdhsa_system_vgpr_workitem_id 0
		.amdhsa_next_free_vgpr 1
		.amdhsa_next_free_sgpr 0
		.amdhsa_accum_offset 4
		.amdhsa_reserve_vcc 0
		.amdhsa_reserve_flat_scratch 0
		.amdhsa_float_round_mode_32 0
		.amdhsa_float_round_mode_16_64 0
		.amdhsa_float_denorm_mode_32 3
		.amdhsa_float_denorm_mode_16_64 3
		.amdhsa_dx10_clamp 1
		.amdhsa_ieee_mode 1
		.amdhsa_fp16_overflow 0
		.amdhsa_tg_split 0
		.amdhsa_exception_fp_ieee_invalid_op 0
		.amdhsa_exception_fp_denorm_src 0
		.amdhsa_exception_fp_ieee_div_zero 0
		.amdhsa_exception_fp_ieee_overflow 0
		.amdhsa_exception_fp_ieee_underflow 0
		.amdhsa_exception_fp_ieee_inexact 0
		.amdhsa_exception_int_div_zero 0
	.end_amdhsa_kernel
	.section	.text._ZN7rocprim17ROCPRIM_400000_NS6detail17trampoline_kernelINS0_14default_configENS1_20scan_config_selectorIfEEZZNS1_9scan_implILNS1_25lookback_scan_determinismE0ELb1ELb1ES3_N6thrust23THRUST_200600_302600_NS6detail15normal_iteratorINS9_10device_ptrIfEEEENS9_16discard_iteratorINS9_11use_defaultEEEf11max_functorIfEfEEDaPvRmT3_T4_T5_mT6_P12ihipStream_tbENKUlT_T0_E_clISt17integral_constantIbLb1EESW_IbLb0EEEEDaSS_ST_EUlSS_E_NS1_11comp_targetILNS1_3genE8ELNS1_11target_archE1030ELNS1_3gpuE2ELNS1_3repE0EEENS1_30default_config_static_selectorELNS0_4arch9wavefront6targetE1EEEvT1_,"axG",@progbits,_ZN7rocprim17ROCPRIM_400000_NS6detail17trampoline_kernelINS0_14default_configENS1_20scan_config_selectorIfEEZZNS1_9scan_implILNS1_25lookback_scan_determinismE0ELb1ELb1ES3_N6thrust23THRUST_200600_302600_NS6detail15normal_iteratorINS9_10device_ptrIfEEEENS9_16discard_iteratorINS9_11use_defaultEEEf11max_functorIfEfEEDaPvRmT3_T4_T5_mT6_P12ihipStream_tbENKUlT_T0_E_clISt17integral_constantIbLb1EESW_IbLb0EEEEDaSS_ST_EUlSS_E_NS1_11comp_targetILNS1_3genE8ELNS1_11target_archE1030ELNS1_3gpuE2ELNS1_3repE0EEENS1_30default_config_static_selectorELNS0_4arch9wavefront6targetE1EEEvT1_,comdat
.Lfunc_end3250:
	.size	_ZN7rocprim17ROCPRIM_400000_NS6detail17trampoline_kernelINS0_14default_configENS1_20scan_config_selectorIfEEZZNS1_9scan_implILNS1_25lookback_scan_determinismE0ELb1ELb1ES3_N6thrust23THRUST_200600_302600_NS6detail15normal_iteratorINS9_10device_ptrIfEEEENS9_16discard_iteratorINS9_11use_defaultEEEf11max_functorIfEfEEDaPvRmT3_T4_T5_mT6_P12ihipStream_tbENKUlT_T0_E_clISt17integral_constantIbLb1EESW_IbLb0EEEEDaSS_ST_EUlSS_E_NS1_11comp_targetILNS1_3genE8ELNS1_11target_archE1030ELNS1_3gpuE2ELNS1_3repE0EEENS1_30default_config_static_selectorELNS0_4arch9wavefront6targetE1EEEvT1_, .Lfunc_end3250-_ZN7rocprim17ROCPRIM_400000_NS6detail17trampoline_kernelINS0_14default_configENS1_20scan_config_selectorIfEEZZNS1_9scan_implILNS1_25lookback_scan_determinismE0ELb1ELb1ES3_N6thrust23THRUST_200600_302600_NS6detail15normal_iteratorINS9_10device_ptrIfEEEENS9_16discard_iteratorINS9_11use_defaultEEEf11max_functorIfEfEEDaPvRmT3_T4_T5_mT6_P12ihipStream_tbENKUlT_T0_E_clISt17integral_constantIbLb1EESW_IbLb0EEEEDaSS_ST_EUlSS_E_NS1_11comp_targetILNS1_3genE8ELNS1_11target_archE1030ELNS1_3gpuE2ELNS1_3repE0EEENS1_30default_config_static_selectorELNS0_4arch9wavefront6targetE1EEEvT1_
                                        ; -- End function
	.section	.AMDGPU.csdata,"",@progbits
; Kernel info:
; codeLenInByte = 0
; NumSgprs: 4
; NumVgprs: 0
; NumAgprs: 0
; TotalNumVgprs: 0
; ScratchSize: 0
; MemoryBound: 0
; FloatMode: 240
; IeeeMode: 1
; LDSByteSize: 0 bytes/workgroup (compile time only)
; SGPRBlocks: 0
; VGPRBlocks: 0
; NumSGPRsForWavesPerEU: 4
; NumVGPRsForWavesPerEU: 1
; AccumOffset: 4
; Occupancy: 8
; WaveLimiterHint : 0
; COMPUTE_PGM_RSRC2:SCRATCH_EN: 0
; COMPUTE_PGM_RSRC2:USER_SGPR: 6
; COMPUTE_PGM_RSRC2:TRAP_HANDLER: 0
; COMPUTE_PGM_RSRC2:TGID_X_EN: 1
; COMPUTE_PGM_RSRC2:TGID_Y_EN: 0
; COMPUTE_PGM_RSRC2:TGID_Z_EN: 0
; COMPUTE_PGM_RSRC2:TIDIG_COMP_CNT: 0
; COMPUTE_PGM_RSRC3_GFX90A:ACCUM_OFFSET: 0
; COMPUTE_PGM_RSRC3_GFX90A:TG_SPLIT: 0
	.section	.text._ZN7rocprim17ROCPRIM_400000_NS6detail17trampoline_kernelINS0_14default_configENS1_20scan_config_selectorIfEEZZNS1_9scan_implILNS1_25lookback_scan_determinismE0ELb1ELb1ES3_N6thrust23THRUST_200600_302600_NS6detail15normal_iteratorINS9_10device_ptrIfEEEENS9_16discard_iteratorINS9_11use_defaultEEEf11max_functorIfEfEEDaPvRmT3_T4_T5_mT6_P12ihipStream_tbENKUlT_T0_E_clISt17integral_constantIbLb1EESW_IbLb0EEEEDaSS_ST_EUlSS_E0_NS1_11comp_targetILNS1_3genE0ELNS1_11target_archE4294967295ELNS1_3gpuE0ELNS1_3repE0EEENS1_30default_config_static_selectorELNS0_4arch9wavefront6targetE1EEEvT1_,"axG",@progbits,_ZN7rocprim17ROCPRIM_400000_NS6detail17trampoline_kernelINS0_14default_configENS1_20scan_config_selectorIfEEZZNS1_9scan_implILNS1_25lookback_scan_determinismE0ELb1ELb1ES3_N6thrust23THRUST_200600_302600_NS6detail15normal_iteratorINS9_10device_ptrIfEEEENS9_16discard_iteratorINS9_11use_defaultEEEf11max_functorIfEfEEDaPvRmT3_T4_T5_mT6_P12ihipStream_tbENKUlT_T0_E_clISt17integral_constantIbLb1EESW_IbLb0EEEEDaSS_ST_EUlSS_E0_NS1_11comp_targetILNS1_3genE0ELNS1_11target_archE4294967295ELNS1_3gpuE0ELNS1_3repE0EEENS1_30default_config_static_selectorELNS0_4arch9wavefront6targetE1EEEvT1_,comdat
	.protected	_ZN7rocprim17ROCPRIM_400000_NS6detail17trampoline_kernelINS0_14default_configENS1_20scan_config_selectorIfEEZZNS1_9scan_implILNS1_25lookback_scan_determinismE0ELb1ELb1ES3_N6thrust23THRUST_200600_302600_NS6detail15normal_iteratorINS9_10device_ptrIfEEEENS9_16discard_iteratorINS9_11use_defaultEEEf11max_functorIfEfEEDaPvRmT3_T4_T5_mT6_P12ihipStream_tbENKUlT_T0_E_clISt17integral_constantIbLb1EESW_IbLb0EEEEDaSS_ST_EUlSS_E0_NS1_11comp_targetILNS1_3genE0ELNS1_11target_archE4294967295ELNS1_3gpuE0ELNS1_3repE0EEENS1_30default_config_static_selectorELNS0_4arch9wavefront6targetE1EEEvT1_ ; -- Begin function _ZN7rocprim17ROCPRIM_400000_NS6detail17trampoline_kernelINS0_14default_configENS1_20scan_config_selectorIfEEZZNS1_9scan_implILNS1_25lookback_scan_determinismE0ELb1ELb1ES3_N6thrust23THRUST_200600_302600_NS6detail15normal_iteratorINS9_10device_ptrIfEEEENS9_16discard_iteratorINS9_11use_defaultEEEf11max_functorIfEfEEDaPvRmT3_T4_T5_mT6_P12ihipStream_tbENKUlT_T0_E_clISt17integral_constantIbLb1EESW_IbLb0EEEEDaSS_ST_EUlSS_E0_NS1_11comp_targetILNS1_3genE0ELNS1_11target_archE4294967295ELNS1_3gpuE0ELNS1_3repE0EEENS1_30default_config_static_selectorELNS0_4arch9wavefront6targetE1EEEvT1_
	.globl	_ZN7rocprim17ROCPRIM_400000_NS6detail17trampoline_kernelINS0_14default_configENS1_20scan_config_selectorIfEEZZNS1_9scan_implILNS1_25lookback_scan_determinismE0ELb1ELb1ES3_N6thrust23THRUST_200600_302600_NS6detail15normal_iteratorINS9_10device_ptrIfEEEENS9_16discard_iteratorINS9_11use_defaultEEEf11max_functorIfEfEEDaPvRmT3_T4_T5_mT6_P12ihipStream_tbENKUlT_T0_E_clISt17integral_constantIbLb1EESW_IbLb0EEEEDaSS_ST_EUlSS_E0_NS1_11comp_targetILNS1_3genE0ELNS1_11target_archE4294967295ELNS1_3gpuE0ELNS1_3repE0EEENS1_30default_config_static_selectorELNS0_4arch9wavefront6targetE1EEEvT1_
	.p2align	8
	.type	_ZN7rocprim17ROCPRIM_400000_NS6detail17trampoline_kernelINS0_14default_configENS1_20scan_config_selectorIfEEZZNS1_9scan_implILNS1_25lookback_scan_determinismE0ELb1ELb1ES3_N6thrust23THRUST_200600_302600_NS6detail15normal_iteratorINS9_10device_ptrIfEEEENS9_16discard_iteratorINS9_11use_defaultEEEf11max_functorIfEfEEDaPvRmT3_T4_T5_mT6_P12ihipStream_tbENKUlT_T0_E_clISt17integral_constantIbLb1EESW_IbLb0EEEEDaSS_ST_EUlSS_E0_NS1_11comp_targetILNS1_3genE0ELNS1_11target_archE4294967295ELNS1_3gpuE0ELNS1_3repE0EEENS1_30default_config_static_selectorELNS0_4arch9wavefront6targetE1EEEvT1_,@function
_ZN7rocprim17ROCPRIM_400000_NS6detail17trampoline_kernelINS0_14default_configENS1_20scan_config_selectorIfEEZZNS1_9scan_implILNS1_25lookback_scan_determinismE0ELb1ELb1ES3_N6thrust23THRUST_200600_302600_NS6detail15normal_iteratorINS9_10device_ptrIfEEEENS9_16discard_iteratorINS9_11use_defaultEEEf11max_functorIfEfEEDaPvRmT3_T4_T5_mT6_P12ihipStream_tbENKUlT_T0_E_clISt17integral_constantIbLb1EESW_IbLb0EEEEDaSS_ST_EUlSS_E0_NS1_11comp_targetILNS1_3genE0ELNS1_11target_archE4294967295ELNS1_3gpuE0ELNS1_3repE0EEENS1_30default_config_static_selectorELNS0_4arch9wavefront6targetE1EEEvT1_: ; @_ZN7rocprim17ROCPRIM_400000_NS6detail17trampoline_kernelINS0_14default_configENS1_20scan_config_selectorIfEEZZNS1_9scan_implILNS1_25lookback_scan_determinismE0ELb1ELb1ES3_N6thrust23THRUST_200600_302600_NS6detail15normal_iteratorINS9_10device_ptrIfEEEENS9_16discard_iteratorINS9_11use_defaultEEEf11max_functorIfEfEEDaPvRmT3_T4_T5_mT6_P12ihipStream_tbENKUlT_T0_E_clISt17integral_constantIbLb1EESW_IbLb0EEEEDaSS_ST_EUlSS_E0_NS1_11comp_targetILNS1_3genE0ELNS1_11target_archE4294967295ELNS1_3gpuE0ELNS1_3repE0EEENS1_30default_config_static_selectorELNS0_4arch9wavefront6targetE1EEEvT1_
; %bb.0:
	.section	.rodata,"a",@progbits
	.p2align	6, 0x0
	.amdhsa_kernel _ZN7rocprim17ROCPRIM_400000_NS6detail17trampoline_kernelINS0_14default_configENS1_20scan_config_selectorIfEEZZNS1_9scan_implILNS1_25lookback_scan_determinismE0ELb1ELb1ES3_N6thrust23THRUST_200600_302600_NS6detail15normal_iteratorINS9_10device_ptrIfEEEENS9_16discard_iteratorINS9_11use_defaultEEEf11max_functorIfEfEEDaPvRmT3_T4_T5_mT6_P12ihipStream_tbENKUlT_T0_E_clISt17integral_constantIbLb1EESW_IbLb0EEEEDaSS_ST_EUlSS_E0_NS1_11comp_targetILNS1_3genE0ELNS1_11target_archE4294967295ELNS1_3gpuE0ELNS1_3repE0EEENS1_30default_config_static_selectorELNS0_4arch9wavefront6targetE1EEEvT1_
		.amdhsa_group_segment_fixed_size 0
		.amdhsa_private_segment_fixed_size 0
		.amdhsa_kernarg_size 40
		.amdhsa_user_sgpr_count 6
		.amdhsa_user_sgpr_private_segment_buffer 1
		.amdhsa_user_sgpr_dispatch_ptr 0
		.amdhsa_user_sgpr_queue_ptr 0
		.amdhsa_user_sgpr_kernarg_segment_ptr 1
		.amdhsa_user_sgpr_dispatch_id 0
		.amdhsa_user_sgpr_flat_scratch_init 0
		.amdhsa_user_sgpr_kernarg_preload_length 0
		.amdhsa_user_sgpr_kernarg_preload_offset 0
		.amdhsa_user_sgpr_private_segment_size 0
		.amdhsa_uses_dynamic_stack 0
		.amdhsa_system_sgpr_private_segment_wavefront_offset 0
		.amdhsa_system_sgpr_workgroup_id_x 1
		.amdhsa_system_sgpr_workgroup_id_y 0
		.amdhsa_system_sgpr_workgroup_id_z 0
		.amdhsa_system_sgpr_workgroup_info 0
		.amdhsa_system_vgpr_workitem_id 0
		.amdhsa_next_free_vgpr 1
		.amdhsa_next_free_sgpr 0
		.amdhsa_accum_offset 4
		.amdhsa_reserve_vcc 0
		.amdhsa_reserve_flat_scratch 0
		.amdhsa_float_round_mode_32 0
		.amdhsa_float_round_mode_16_64 0
		.amdhsa_float_denorm_mode_32 3
		.amdhsa_float_denorm_mode_16_64 3
		.amdhsa_dx10_clamp 1
		.amdhsa_ieee_mode 1
		.amdhsa_fp16_overflow 0
		.amdhsa_tg_split 0
		.amdhsa_exception_fp_ieee_invalid_op 0
		.amdhsa_exception_fp_denorm_src 0
		.amdhsa_exception_fp_ieee_div_zero 0
		.amdhsa_exception_fp_ieee_overflow 0
		.amdhsa_exception_fp_ieee_underflow 0
		.amdhsa_exception_fp_ieee_inexact 0
		.amdhsa_exception_int_div_zero 0
	.end_amdhsa_kernel
	.section	.text._ZN7rocprim17ROCPRIM_400000_NS6detail17trampoline_kernelINS0_14default_configENS1_20scan_config_selectorIfEEZZNS1_9scan_implILNS1_25lookback_scan_determinismE0ELb1ELb1ES3_N6thrust23THRUST_200600_302600_NS6detail15normal_iteratorINS9_10device_ptrIfEEEENS9_16discard_iteratorINS9_11use_defaultEEEf11max_functorIfEfEEDaPvRmT3_T4_T5_mT6_P12ihipStream_tbENKUlT_T0_E_clISt17integral_constantIbLb1EESW_IbLb0EEEEDaSS_ST_EUlSS_E0_NS1_11comp_targetILNS1_3genE0ELNS1_11target_archE4294967295ELNS1_3gpuE0ELNS1_3repE0EEENS1_30default_config_static_selectorELNS0_4arch9wavefront6targetE1EEEvT1_,"axG",@progbits,_ZN7rocprim17ROCPRIM_400000_NS6detail17trampoline_kernelINS0_14default_configENS1_20scan_config_selectorIfEEZZNS1_9scan_implILNS1_25lookback_scan_determinismE0ELb1ELb1ES3_N6thrust23THRUST_200600_302600_NS6detail15normal_iteratorINS9_10device_ptrIfEEEENS9_16discard_iteratorINS9_11use_defaultEEEf11max_functorIfEfEEDaPvRmT3_T4_T5_mT6_P12ihipStream_tbENKUlT_T0_E_clISt17integral_constantIbLb1EESW_IbLb0EEEEDaSS_ST_EUlSS_E0_NS1_11comp_targetILNS1_3genE0ELNS1_11target_archE4294967295ELNS1_3gpuE0ELNS1_3repE0EEENS1_30default_config_static_selectorELNS0_4arch9wavefront6targetE1EEEvT1_,comdat
.Lfunc_end3251:
	.size	_ZN7rocprim17ROCPRIM_400000_NS6detail17trampoline_kernelINS0_14default_configENS1_20scan_config_selectorIfEEZZNS1_9scan_implILNS1_25lookback_scan_determinismE0ELb1ELb1ES3_N6thrust23THRUST_200600_302600_NS6detail15normal_iteratorINS9_10device_ptrIfEEEENS9_16discard_iteratorINS9_11use_defaultEEEf11max_functorIfEfEEDaPvRmT3_T4_T5_mT6_P12ihipStream_tbENKUlT_T0_E_clISt17integral_constantIbLb1EESW_IbLb0EEEEDaSS_ST_EUlSS_E0_NS1_11comp_targetILNS1_3genE0ELNS1_11target_archE4294967295ELNS1_3gpuE0ELNS1_3repE0EEENS1_30default_config_static_selectorELNS0_4arch9wavefront6targetE1EEEvT1_, .Lfunc_end3251-_ZN7rocprim17ROCPRIM_400000_NS6detail17trampoline_kernelINS0_14default_configENS1_20scan_config_selectorIfEEZZNS1_9scan_implILNS1_25lookback_scan_determinismE0ELb1ELb1ES3_N6thrust23THRUST_200600_302600_NS6detail15normal_iteratorINS9_10device_ptrIfEEEENS9_16discard_iteratorINS9_11use_defaultEEEf11max_functorIfEfEEDaPvRmT3_T4_T5_mT6_P12ihipStream_tbENKUlT_T0_E_clISt17integral_constantIbLb1EESW_IbLb0EEEEDaSS_ST_EUlSS_E0_NS1_11comp_targetILNS1_3genE0ELNS1_11target_archE4294967295ELNS1_3gpuE0ELNS1_3repE0EEENS1_30default_config_static_selectorELNS0_4arch9wavefront6targetE1EEEvT1_
                                        ; -- End function
	.section	.AMDGPU.csdata,"",@progbits
; Kernel info:
; codeLenInByte = 0
; NumSgprs: 4
; NumVgprs: 0
; NumAgprs: 0
; TotalNumVgprs: 0
; ScratchSize: 0
; MemoryBound: 0
; FloatMode: 240
; IeeeMode: 1
; LDSByteSize: 0 bytes/workgroup (compile time only)
; SGPRBlocks: 0
; VGPRBlocks: 0
; NumSGPRsForWavesPerEU: 4
; NumVGPRsForWavesPerEU: 1
; AccumOffset: 4
; Occupancy: 8
; WaveLimiterHint : 0
; COMPUTE_PGM_RSRC2:SCRATCH_EN: 0
; COMPUTE_PGM_RSRC2:USER_SGPR: 6
; COMPUTE_PGM_RSRC2:TRAP_HANDLER: 0
; COMPUTE_PGM_RSRC2:TGID_X_EN: 1
; COMPUTE_PGM_RSRC2:TGID_Y_EN: 0
; COMPUTE_PGM_RSRC2:TGID_Z_EN: 0
; COMPUTE_PGM_RSRC2:TIDIG_COMP_CNT: 0
; COMPUTE_PGM_RSRC3_GFX90A:ACCUM_OFFSET: 0
; COMPUTE_PGM_RSRC3_GFX90A:TG_SPLIT: 0
	.section	.text._ZN7rocprim17ROCPRIM_400000_NS6detail17trampoline_kernelINS0_14default_configENS1_20scan_config_selectorIfEEZZNS1_9scan_implILNS1_25lookback_scan_determinismE0ELb1ELb1ES3_N6thrust23THRUST_200600_302600_NS6detail15normal_iteratorINS9_10device_ptrIfEEEENS9_16discard_iteratorINS9_11use_defaultEEEf11max_functorIfEfEEDaPvRmT3_T4_T5_mT6_P12ihipStream_tbENKUlT_T0_E_clISt17integral_constantIbLb1EESW_IbLb0EEEEDaSS_ST_EUlSS_E0_NS1_11comp_targetILNS1_3genE5ELNS1_11target_archE942ELNS1_3gpuE9ELNS1_3repE0EEENS1_30default_config_static_selectorELNS0_4arch9wavefront6targetE1EEEvT1_,"axG",@progbits,_ZN7rocprim17ROCPRIM_400000_NS6detail17trampoline_kernelINS0_14default_configENS1_20scan_config_selectorIfEEZZNS1_9scan_implILNS1_25lookback_scan_determinismE0ELb1ELb1ES3_N6thrust23THRUST_200600_302600_NS6detail15normal_iteratorINS9_10device_ptrIfEEEENS9_16discard_iteratorINS9_11use_defaultEEEf11max_functorIfEfEEDaPvRmT3_T4_T5_mT6_P12ihipStream_tbENKUlT_T0_E_clISt17integral_constantIbLb1EESW_IbLb0EEEEDaSS_ST_EUlSS_E0_NS1_11comp_targetILNS1_3genE5ELNS1_11target_archE942ELNS1_3gpuE9ELNS1_3repE0EEENS1_30default_config_static_selectorELNS0_4arch9wavefront6targetE1EEEvT1_,comdat
	.protected	_ZN7rocprim17ROCPRIM_400000_NS6detail17trampoline_kernelINS0_14default_configENS1_20scan_config_selectorIfEEZZNS1_9scan_implILNS1_25lookback_scan_determinismE0ELb1ELb1ES3_N6thrust23THRUST_200600_302600_NS6detail15normal_iteratorINS9_10device_ptrIfEEEENS9_16discard_iteratorINS9_11use_defaultEEEf11max_functorIfEfEEDaPvRmT3_T4_T5_mT6_P12ihipStream_tbENKUlT_T0_E_clISt17integral_constantIbLb1EESW_IbLb0EEEEDaSS_ST_EUlSS_E0_NS1_11comp_targetILNS1_3genE5ELNS1_11target_archE942ELNS1_3gpuE9ELNS1_3repE0EEENS1_30default_config_static_selectorELNS0_4arch9wavefront6targetE1EEEvT1_ ; -- Begin function _ZN7rocprim17ROCPRIM_400000_NS6detail17trampoline_kernelINS0_14default_configENS1_20scan_config_selectorIfEEZZNS1_9scan_implILNS1_25lookback_scan_determinismE0ELb1ELb1ES3_N6thrust23THRUST_200600_302600_NS6detail15normal_iteratorINS9_10device_ptrIfEEEENS9_16discard_iteratorINS9_11use_defaultEEEf11max_functorIfEfEEDaPvRmT3_T4_T5_mT6_P12ihipStream_tbENKUlT_T0_E_clISt17integral_constantIbLb1EESW_IbLb0EEEEDaSS_ST_EUlSS_E0_NS1_11comp_targetILNS1_3genE5ELNS1_11target_archE942ELNS1_3gpuE9ELNS1_3repE0EEENS1_30default_config_static_selectorELNS0_4arch9wavefront6targetE1EEEvT1_
	.globl	_ZN7rocprim17ROCPRIM_400000_NS6detail17trampoline_kernelINS0_14default_configENS1_20scan_config_selectorIfEEZZNS1_9scan_implILNS1_25lookback_scan_determinismE0ELb1ELb1ES3_N6thrust23THRUST_200600_302600_NS6detail15normal_iteratorINS9_10device_ptrIfEEEENS9_16discard_iteratorINS9_11use_defaultEEEf11max_functorIfEfEEDaPvRmT3_T4_T5_mT6_P12ihipStream_tbENKUlT_T0_E_clISt17integral_constantIbLb1EESW_IbLb0EEEEDaSS_ST_EUlSS_E0_NS1_11comp_targetILNS1_3genE5ELNS1_11target_archE942ELNS1_3gpuE9ELNS1_3repE0EEENS1_30default_config_static_selectorELNS0_4arch9wavefront6targetE1EEEvT1_
	.p2align	8
	.type	_ZN7rocprim17ROCPRIM_400000_NS6detail17trampoline_kernelINS0_14default_configENS1_20scan_config_selectorIfEEZZNS1_9scan_implILNS1_25lookback_scan_determinismE0ELb1ELb1ES3_N6thrust23THRUST_200600_302600_NS6detail15normal_iteratorINS9_10device_ptrIfEEEENS9_16discard_iteratorINS9_11use_defaultEEEf11max_functorIfEfEEDaPvRmT3_T4_T5_mT6_P12ihipStream_tbENKUlT_T0_E_clISt17integral_constantIbLb1EESW_IbLb0EEEEDaSS_ST_EUlSS_E0_NS1_11comp_targetILNS1_3genE5ELNS1_11target_archE942ELNS1_3gpuE9ELNS1_3repE0EEENS1_30default_config_static_selectorELNS0_4arch9wavefront6targetE1EEEvT1_,@function
_ZN7rocprim17ROCPRIM_400000_NS6detail17trampoline_kernelINS0_14default_configENS1_20scan_config_selectorIfEEZZNS1_9scan_implILNS1_25lookback_scan_determinismE0ELb1ELb1ES3_N6thrust23THRUST_200600_302600_NS6detail15normal_iteratorINS9_10device_ptrIfEEEENS9_16discard_iteratorINS9_11use_defaultEEEf11max_functorIfEfEEDaPvRmT3_T4_T5_mT6_P12ihipStream_tbENKUlT_T0_E_clISt17integral_constantIbLb1EESW_IbLb0EEEEDaSS_ST_EUlSS_E0_NS1_11comp_targetILNS1_3genE5ELNS1_11target_archE942ELNS1_3gpuE9ELNS1_3repE0EEENS1_30default_config_static_selectorELNS0_4arch9wavefront6targetE1EEEvT1_: ; @_ZN7rocprim17ROCPRIM_400000_NS6detail17trampoline_kernelINS0_14default_configENS1_20scan_config_selectorIfEEZZNS1_9scan_implILNS1_25lookback_scan_determinismE0ELb1ELb1ES3_N6thrust23THRUST_200600_302600_NS6detail15normal_iteratorINS9_10device_ptrIfEEEENS9_16discard_iteratorINS9_11use_defaultEEEf11max_functorIfEfEEDaPvRmT3_T4_T5_mT6_P12ihipStream_tbENKUlT_T0_E_clISt17integral_constantIbLb1EESW_IbLb0EEEEDaSS_ST_EUlSS_E0_NS1_11comp_targetILNS1_3genE5ELNS1_11target_archE942ELNS1_3gpuE9ELNS1_3repE0EEENS1_30default_config_static_selectorELNS0_4arch9wavefront6targetE1EEEvT1_
; %bb.0:
	.section	.rodata,"a",@progbits
	.p2align	6, 0x0
	.amdhsa_kernel _ZN7rocprim17ROCPRIM_400000_NS6detail17trampoline_kernelINS0_14default_configENS1_20scan_config_selectorIfEEZZNS1_9scan_implILNS1_25lookback_scan_determinismE0ELb1ELb1ES3_N6thrust23THRUST_200600_302600_NS6detail15normal_iteratorINS9_10device_ptrIfEEEENS9_16discard_iteratorINS9_11use_defaultEEEf11max_functorIfEfEEDaPvRmT3_T4_T5_mT6_P12ihipStream_tbENKUlT_T0_E_clISt17integral_constantIbLb1EESW_IbLb0EEEEDaSS_ST_EUlSS_E0_NS1_11comp_targetILNS1_3genE5ELNS1_11target_archE942ELNS1_3gpuE9ELNS1_3repE0EEENS1_30default_config_static_selectorELNS0_4arch9wavefront6targetE1EEEvT1_
		.amdhsa_group_segment_fixed_size 0
		.amdhsa_private_segment_fixed_size 0
		.amdhsa_kernarg_size 40
		.amdhsa_user_sgpr_count 6
		.amdhsa_user_sgpr_private_segment_buffer 1
		.amdhsa_user_sgpr_dispatch_ptr 0
		.amdhsa_user_sgpr_queue_ptr 0
		.amdhsa_user_sgpr_kernarg_segment_ptr 1
		.amdhsa_user_sgpr_dispatch_id 0
		.amdhsa_user_sgpr_flat_scratch_init 0
		.amdhsa_user_sgpr_kernarg_preload_length 0
		.amdhsa_user_sgpr_kernarg_preload_offset 0
		.amdhsa_user_sgpr_private_segment_size 0
		.amdhsa_uses_dynamic_stack 0
		.amdhsa_system_sgpr_private_segment_wavefront_offset 0
		.amdhsa_system_sgpr_workgroup_id_x 1
		.amdhsa_system_sgpr_workgroup_id_y 0
		.amdhsa_system_sgpr_workgroup_id_z 0
		.amdhsa_system_sgpr_workgroup_info 0
		.amdhsa_system_vgpr_workitem_id 0
		.amdhsa_next_free_vgpr 1
		.amdhsa_next_free_sgpr 0
		.amdhsa_accum_offset 4
		.amdhsa_reserve_vcc 0
		.amdhsa_reserve_flat_scratch 0
		.amdhsa_float_round_mode_32 0
		.amdhsa_float_round_mode_16_64 0
		.amdhsa_float_denorm_mode_32 3
		.amdhsa_float_denorm_mode_16_64 3
		.amdhsa_dx10_clamp 1
		.amdhsa_ieee_mode 1
		.amdhsa_fp16_overflow 0
		.amdhsa_tg_split 0
		.amdhsa_exception_fp_ieee_invalid_op 0
		.amdhsa_exception_fp_denorm_src 0
		.amdhsa_exception_fp_ieee_div_zero 0
		.amdhsa_exception_fp_ieee_overflow 0
		.amdhsa_exception_fp_ieee_underflow 0
		.amdhsa_exception_fp_ieee_inexact 0
		.amdhsa_exception_int_div_zero 0
	.end_amdhsa_kernel
	.section	.text._ZN7rocprim17ROCPRIM_400000_NS6detail17trampoline_kernelINS0_14default_configENS1_20scan_config_selectorIfEEZZNS1_9scan_implILNS1_25lookback_scan_determinismE0ELb1ELb1ES3_N6thrust23THRUST_200600_302600_NS6detail15normal_iteratorINS9_10device_ptrIfEEEENS9_16discard_iteratorINS9_11use_defaultEEEf11max_functorIfEfEEDaPvRmT3_T4_T5_mT6_P12ihipStream_tbENKUlT_T0_E_clISt17integral_constantIbLb1EESW_IbLb0EEEEDaSS_ST_EUlSS_E0_NS1_11comp_targetILNS1_3genE5ELNS1_11target_archE942ELNS1_3gpuE9ELNS1_3repE0EEENS1_30default_config_static_selectorELNS0_4arch9wavefront6targetE1EEEvT1_,"axG",@progbits,_ZN7rocprim17ROCPRIM_400000_NS6detail17trampoline_kernelINS0_14default_configENS1_20scan_config_selectorIfEEZZNS1_9scan_implILNS1_25lookback_scan_determinismE0ELb1ELb1ES3_N6thrust23THRUST_200600_302600_NS6detail15normal_iteratorINS9_10device_ptrIfEEEENS9_16discard_iteratorINS9_11use_defaultEEEf11max_functorIfEfEEDaPvRmT3_T4_T5_mT6_P12ihipStream_tbENKUlT_T0_E_clISt17integral_constantIbLb1EESW_IbLb0EEEEDaSS_ST_EUlSS_E0_NS1_11comp_targetILNS1_3genE5ELNS1_11target_archE942ELNS1_3gpuE9ELNS1_3repE0EEENS1_30default_config_static_selectorELNS0_4arch9wavefront6targetE1EEEvT1_,comdat
.Lfunc_end3252:
	.size	_ZN7rocprim17ROCPRIM_400000_NS6detail17trampoline_kernelINS0_14default_configENS1_20scan_config_selectorIfEEZZNS1_9scan_implILNS1_25lookback_scan_determinismE0ELb1ELb1ES3_N6thrust23THRUST_200600_302600_NS6detail15normal_iteratorINS9_10device_ptrIfEEEENS9_16discard_iteratorINS9_11use_defaultEEEf11max_functorIfEfEEDaPvRmT3_T4_T5_mT6_P12ihipStream_tbENKUlT_T0_E_clISt17integral_constantIbLb1EESW_IbLb0EEEEDaSS_ST_EUlSS_E0_NS1_11comp_targetILNS1_3genE5ELNS1_11target_archE942ELNS1_3gpuE9ELNS1_3repE0EEENS1_30default_config_static_selectorELNS0_4arch9wavefront6targetE1EEEvT1_, .Lfunc_end3252-_ZN7rocprim17ROCPRIM_400000_NS6detail17trampoline_kernelINS0_14default_configENS1_20scan_config_selectorIfEEZZNS1_9scan_implILNS1_25lookback_scan_determinismE0ELb1ELb1ES3_N6thrust23THRUST_200600_302600_NS6detail15normal_iteratorINS9_10device_ptrIfEEEENS9_16discard_iteratorINS9_11use_defaultEEEf11max_functorIfEfEEDaPvRmT3_T4_T5_mT6_P12ihipStream_tbENKUlT_T0_E_clISt17integral_constantIbLb1EESW_IbLb0EEEEDaSS_ST_EUlSS_E0_NS1_11comp_targetILNS1_3genE5ELNS1_11target_archE942ELNS1_3gpuE9ELNS1_3repE0EEENS1_30default_config_static_selectorELNS0_4arch9wavefront6targetE1EEEvT1_
                                        ; -- End function
	.section	.AMDGPU.csdata,"",@progbits
; Kernel info:
; codeLenInByte = 0
; NumSgprs: 4
; NumVgprs: 0
; NumAgprs: 0
; TotalNumVgprs: 0
; ScratchSize: 0
; MemoryBound: 0
; FloatMode: 240
; IeeeMode: 1
; LDSByteSize: 0 bytes/workgroup (compile time only)
; SGPRBlocks: 0
; VGPRBlocks: 0
; NumSGPRsForWavesPerEU: 4
; NumVGPRsForWavesPerEU: 1
; AccumOffset: 4
; Occupancy: 8
; WaveLimiterHint : 0
; COMPUTE_PGM_RSRC2:SCRATCH_EN: 0
; COMPUTE_PGM_RSRC2:USER_SGPR: 6
; COMPUTE_PGM_RSRC2:TRAP_HANDLER: 0
; COMPUTE_PGM_RSRC2:TGID_X_EN: 1
; COMPUTE_PGM_RSRC2:TGID_Y_EN: 0
; COMPUTE_PGM_RSRC2:TGID_Z_EN: 0
; COMPUTE_PGM_RSRC2:TIDIG_COMP_CNT: 0
; COMPUTE_PGM_RSRC3_GFX90A:ACCUM_OFFSET: 0
; COMPUTE_PGM_RSRC3_GFX90A:TG_SPLIT: 0
	.section	.text._ZN7rocprim17ROCPRIM_400000_NS6detail17trampoline_kernelINS0_14default_configENS1_20scan_config_selectorIfEEZZNS1_9scan_implILNS1_25lookback_scan_determinismE0ELb1ELb1ES3_N6thrust23THRUST_200600_302600_NS6detail15normal_iteratorINS9_10device_ptrIfEEEENS9_16discard_iteratorINS9_11use_defaultEEEf11max_functorIfEfEEDaPvRmT3_T4_T5_mT6_P12ihipStream_tbENKUlT_T0_E_clISt17integral_constantIbLb1EESW_IbLb0EEEEDaSS_ST_EUlSS_E0_NS1_11comp_targetILNS1_3genE4ELNS1_11target_archE910ELNS1_3gpuE8ELNS1_3repE0EEENS1_30default_config_static_selectorELNS0_4arch9wavefront6targetE1EEEvT1_,"axG",@progbits,_ZN7rocprim17ROCPRIM_400000_NS6detail17trampoline_kernelINS0_14default_configENS1_20scan_config_selectorIfEEZZNS1_9scan_implILNS1_25lookback_scan_determinismE0ELb1ELb1ES3_N6thrust23THRUST_200600_302600_NS6detail15normal_iteratorINS9_10device_ptrIfEEEENS9_16discard_iteratorINS9_11use_defaultEEEf11max_functorIfEfEEDaPvRmT3_T4_T5_mT6_P12ihipStream_tbENKUlT_T0_E_clISt17integral_constantIbLb1EESW_IbLb0EEEEDaSS_ST_EUlSS_E0_NS1_11comp_targetILNS1_3genE4ELNS1_11target_archE910ELNS1_3gpuE8ELNS1_3repE0EEENS1_30default_config_static_selectorELNS0_4arch9wavefront6targetE1EEEvT1_,comdat
	.protected	_ZN7rocprim17ROCPRIM_400000_NS6detail17trampoline_kernelINS0_14default_configENS1_20scan_config_selectorIfEEZZNS1_9scan_implILNS1_25lookback_scan_determinismE0ELb1ELb1ES3_N6thrust23THRUST_200600_302600_NS6detail15normal_iteratorINS9_10device_ptrIfEEEENS9_16discard_iteratorINS9_11use_defaultEEEf11max_functorIfEfEEDaPvRmT3_T4_T5_mT6_P12ihipStream_tbENKUlT_T0_E_clISt17integral_constantIbLb1EESW_IbLb0EEEEDaSS_ST_EUlSS_E0_NS1_11comp_targetILNS1_3genE4ELNS1_11target_archE910ELNS1_3gpuE8ELNS1_3repE0EEENS1_30default_config_static_selectorELNS0_4arch9wavefront6targetE1EEEvT1_ ; -- Begin function _ZN7rocprim17ROCPRIM_400000_NS6detail17trampoline_kernelINS0_14default_configENS1_20scan_config_selectorIfEEZZNS1_9scan_implILNS1_25lookback_scan_determinismE0ELb1ELb1ES3_N6thrust23THRUST_200600_302600_NS6detail15normal_iteratorINS9_10device_ptrIfEEEENS9_16discard_iteratorINS9_11use_defaultEEEf11max_functorIfEfEEDaPvRmT3_T4_T5_mT6_P12ihipStream_tbENKUlT_T0_E_clISt17integral_constantIbLb1EESW_IbLb0EEEEDaSS_ST_EUlSS_E0_NS1_11comp_targetILNS1_3genE4ELNS1_11target_archE910ELNS1_3gpuE8ELNS1_3repE0EEENS1_30default_config_static_selectorELNS0_4arch9wavefront6targetE1EEEvT1_
	.globl	_ZN7rocprim17ROCPRIM_400000_NS6detail17trampoline_kernelINS0_14default_configENS1_20scan_config_selectorIfEEZZNS1_9scan_implILNS1_25lookback_scan_determinismE0ELb1ELb1ES3_N6thrust23THRUST_200600_302600_NS6detail15normal_iteratorINS9_10device_ptrIfEEEENS9_16discard_iteratorINS9_11use_defaultEEEf11max_functorIfEfEEDaPvRmT3_T4_T5_mT6_P12ihipStream_tbENKUlT_T0_E_clISt17integral_constantIbLb1EESW_IbLb0EEEEDaSS_ST_EUlSS_E0_NS1_11comp_targetILNS1_3genE4ELNS1_11target_archE910ELNS1_3gpuE8ELNS1_3repE0EEENS1_30default_config_static_selectorELNS0_4arch9wavefront6targetE1EEEvT1_
	.p2align	8
	.type	_ZN7rocprim17ROCPRIM_400000_NS6detail17trampoline_kernelINS0_14default_configENS1_20scan_config_selectorIfEEZZNS1_9scan_implILNS1_25lookback_scan_determinismE0ELb1ELb1ES3_N6thrust23THRUST_200600_302600_NS6detail15normal_iteratorINS9_10device_ptrIfEEEENS9_16discard_iteratorINS9_11use_defaultEEEf11max_functorIfEfEEDaPvRmT3_T4_T5_mT6_P12ihipStream_tbENKUlT_T0_E_clISt17integral_constantIbLb1EESW_IbLb0EEEEDaSS_ST_EUlSS_E0_NS1_11comp_targetILNS1_3genE4ELNS1_11target_archE910ELNS1_3gpuE8ELNS1_3repE0EEENS1_30default_config_static_selectorELNS0_4arch9wavefront6targetE1EEEvT1_,@function
_ZN7rocprim17ROCPRIM_400000_NS6detail17trampoline_kernelINS0_14default_configENS1_20scan_config_selectorIfEEZZNS1_9scan_implILNS1_25lookback_scan_determinismE0ELb1ELb1ES3_N6thrust23THRUST_200600_302600_NS6detail15normal_iteratorINS9_10device_ptrIfEEEENS9_16discard_iteratorINS9_11use_defaultEEEf11max_functorIfEfEEDaPvRmT3_T4_T5_mT6_P12ihipStream_tbENKUlT_T0_E_clISt17integral_constantIbLb1EESW_IbLb0EEEEDaSS_ST_EUlSS_E0_NS1_11comp_targetILNS1_3genE4ELNS1_11target_archE910ELNS1_3gpuE8ELNS1_3repE0EEENS1_30default_config_static_selectorELNS0_4arch9wavefront6targetE1EEEvT1_: ; @_ZN7rocprim17ROCPRIM_400000_NS6detail17trampoline_kernelINS0_14default_configENS1_20scan_config_selectorIfEEZZNS1_9scan_implILNS1_25lookback_scan_determinismE0ELb1ELb1ES3_N6thrust23THRUST_200600_302600_NS6detail15normal_iteratorINS9_10device_ptrIfEEEENS9_16discard_iteratorINS9_11use_defaultEEEf11max_functorIfEfEEDaPvRmT3_T4_T5_mT6_P12ihipStream_tbENKUlT_T0_E_clISt17integral_constantIbLb1EESW_IbLb0EEEEDaSS_ST_EUlSS_E0_NS1_11comp_targetILNS1_3genE4ELNS1_11target_archE910ELNS1_3gpuE8ELNS1_3repE0EEENS1_30default_config_static_selectorELNS0_4arch9wavefront6targetE1EEEvT1_
; %bb.0:
	s_load_dwordx4 s[0:3], s[4:5], 0x0
	v_lshlrev_b32_e32 v1, 2, v0
	s_waitcnt lgkmcnt(0)
	s_load_dword s3, s[0:1], 0x0
	v_cmp_gt_u32_e32 vcc, s2, v0
	s_waitcnt lgkmcnt(0)
	v_mov_b32_e32 v2, s3
	s_and_saveexec_b64 s[6:7], vcc
	s_cbranch_execz .LBB3253_2
; %bb.1:
	global_load_dword v2, v1, s[0:1]
.LBB3253_2:
	s_or_b64 exec, exec, s[6:7]
	v_or_b32_e32 v3, 0x80, v0
	v_cmp_gt_u32_e32 vcc, s2, v3
	v_mov_b32_e32 v3, s3
	s_and_saveexec_b64 s[6:7], vcc
	s_cbranch_execz .LBB3253_4
; %bb.3:
	global_load_dword v3, v1, s[0:1] offset:512
.LBB3253_4:
	s_or_b64 exec, exec, s[6:7]
	v_or_b32_e32 v4, 0x100, v0
	v_cmp_gt_u32_e32 vcc, s2, v4
	v_mov_b32_e32 v4, s3
	s_and_saveexec_b64 s[6:7], vcc
	s_cbranch_execz .LBB3253_6
; %bb.5:
	global_load_dword v4, v1, s[0:1] offset:1024
.LBB3253_6:
	;; [unrolled: 9-line block ×7, first 2 shown]
	s_or_b64 exec, exec, s[6:7]
	v_or_b32_e32 v11, 0x400, v0
	v_cmp_gt_u32_e32 vcc, s2, v11
	v_mov_b32_e32 v10, s3
	s_and_saveexec_b64 s[6:7], vcc
	s_cbranch_execz .LBB3253_18
; %bb.17:
	v_lshlrev_b32_e32 v10, 2, v11
	global_load_dword v10, v10, s[0:1]
.LBB3253_18:
	s_or_b64 exec, exec, s[6:7]
	v_or_b32_e32 v12, 0x480, v0
	v_cmp_gt_u32_e32 vcc, s2, v12
	v_mov_b32_e32 v11, s3
	s_and_saveexec_b64 s[6:7], vcc
	s_cbranch_execz .LBB3253_20
; %bb.19:
	v_lshlrev_b32_e32 v11, 2, v12
	global_load_dword v11, v11, s[0:1]
.LBB3253_20:
	;; [unrolled: 10-line block ×5, first 2 shown]
	s_or_b64 exec, exec, s[6:7]
	s_load_dword s8, s[4:5], 0x10
	v_or_b32_e32 v16, 0x680, v0
	v_cmp_gt_u32_e32 vcc, s2, v16
	v_mov_b32_e32 v15, s3
	s_and_saveexec_b64 s[2:3], vcc
	s_cbranch_execz .LBB3253_28
; %bb.27:
	v_lshlrev_b32_e32 v15, 2, v16
	global_load_dword v15, v15, s[0:1]
.LBB3253_28:
	s_or_b64 exec, exec, s[2:3]
	s_waitcnt vmcnt(0)
	ds_write2st64_b32 v1, v2, v3 offset1:2
	ds_write2st64_b32 v1, v4, v5 offset0:4 offset1:6
	ds_write2st64_b32 v1, v6, v7 offset0:8 offset1:10
	ds_write2st64_b32 v1, v8, v9 offset0:12 offset1:14
	ds_write2st64_b32 v1, v10, v11 offset0:16 offset1:18
	ds_write2st64_b32 v1, v12, v13 offset0:20 offset1:22
	ds_write2st64_b32 v1, v14, v15 offset0:24 offset1:26
	v_mad_u32_u24 v14, v0, 52, v1
	s_waitcnt lgkmcnt(0)
	s_barrier
	ds_read2_b64 v[10:13], v14 offset1:1
	ds_read2_b64 v[6:9], v14 offset0:2 offset1:3
	ds_read2_b64 v[2:5], v14 offset0:4 offset1:5
	ds_read_b64 v[14:15], v14 offset:48
	s_waitcnt lgkmcnt(0)
	v_cmp_lt_f32_e32 vcc, v10, v11
	v_cndmask_b32_e32 v16, v10, v11, vcc
	v_cmp_lt_f32_e32 vcc, v16, v12
	v_cndmask_b32_e32 v16, v16, v12, vcc
	;; [unrolled: 2-line block ×13, first 2 shown]
	v_lshrrev_b32_e32 v16, 3, v0
	v_and_b32_e32 v16, 12, v16
	v_add_u32_e32 v16, v1, v16
	v_cmp_gt_u32_e32 vcc, 64, v0
	s_barrier
	ds_write_b32 v16, v15
	s_waitcnt lgkmcnt(0)
	s_barrier
	s_and_saveexec_b64 s[6:7], vcc
	s_cbranch_execz .LBB3253_30
; %bb.29:
	v_lshlrev_b32_e32 v16, 1, v0
	v_lshrrev_b32_e32 v17, 4, v0
	v_add_lshl_u32 v18, v17, v16, 2
	ds_read2_b32 v[16:17], v18 offset1:1
	v_mbcnt_lo_u32_b32 v19, -1, 0
	v_mbcnt_hi_u32_b32 v19, -1, v19
	v_and_b32_e32 v20, 15, v19
	v_cmp_lt_u32_e64 s[4:5], 31, v19
	s_waitcnt lgkmcnt(0)
	v_cmp_lt_f32_e32 vcc, v16, v17
	v_cndmask_b32_e32 v17, v16, v17, vcc
	v_cmp_gt_u32_e64 s[2:3], 32, v19
	s_nop 0
	v_mov_b32_dpp v21, v17 row_shr:1 row_mask:0xf bank_mask:0xf
	v_cmp_gt_f32_e32 vcc, v17, v21
	v_cndmask_b32_e32 v21, v21, v17, vcc
	v_cmp_eq_u32_e32 vcc, 0, v20
	v_cndmask_b32_e32 v17, v21, v17, vcc
	; wave barrier
	s_nop 1
	v_mov_b32_dpp v21, v17 row_shr:2 row_mask:0xf bank_mask:0xf
	v_cmp_gt_f32_e32 vcc, v17, v21
	v_cndmask_b32_e32 v21, v21, v17, vcc
	v_cmp_lt_u32_e32 vcc, 1, v20
	v_cndmask_b32_e32 v21, v17, v21, vcc
	s_nop 1
	v_mov_b32_dpp v22, v21 row_shr:4 row_mask:0xf bank_mask:0xf
	v_cmp_gt_f32_e64 s[0:1], v21, v22
	v_cndmask_b32_e64 v22, v22, v21, s[0:1]
	v_cmp_lt_u32_e64 s[0:1], 3, v20
	v_cndmask_b32_e64 v21, v21, v22, s[0:1]
	s_nop 1
	v_mov_b32_dpp v22, v21 row_shr:8 row_mask:0xf bank_mask:0xf
	v_cmp_gt_f32_e64 s[0:1], v21, v22
	v_cndmask_b32_e64 v22, v22, v21, s[0:1]
	v_cmp_lt_u32_e64 s[0:1], 7, v20
	v_cndmask_b32_e64 v20, v21, v22, s[0:1]
	v_and_b32_e32 v22, 16, v19
	s_nop 0
	v_mov_b32_dpp v21, v20 row_bcast:15 row_mask:0xf bank_mask:0xf
	v_cmp_gt_f32_e64 s[0:1], v20, v21
	v_cndmask_b32_e64 v21, v21, v20, s[0:1]
	v_cmp_ne_u32_e64 s[0:1], 0, v22
	v_cndmask_b32_e64 v20, v20, v21, s[0:1]
	s_or_b64 s[4:5], s[0:1], s[4:5]
	s_or_b64 vcc, vcc, s[4:5]
	v_mov_b32_dpp v21, v20 row_bcast:31 row_mask:0xf bank_mask:0xf
	v_cmp_gt_f32_e64 s[0:1], v20, v21
	s_or_b64 s[0:1], s[2:3], s[0:1]
	v_cndmask_b32_e64 v20, v21, v20, s[0:1]
	v_cndmask_b32_e32 v17, v17, v20, vcc
	v_add_u32_e32 v20, -1, v19
	v_and_b32_e32 v21, 64, v19
	v_cmp_lt_i32_e32 vcc, v20, v21
	v_cndmask_b32_e32 v19, v20, v19, vcc
	v_lshlrev_b32_e32 v19, 2, v19
	ds_bpermute_b32 v17, v19, v17
	s_waitcnt lgkmcnt(0)
	v_cmp_gt_f32_e32 vcc, v16, v17
	v_cndmask_b32_e32 v16, v17, v16, vcc
	v_cmp_eq_u32_e32 vcc, 0, v0
	v_cndmask_b32_e32 v15, v16, v15, vcc
	ds_write_b32 v18, v15
	; wave barrier
	ds_read_b32 v16, v18 offset:4
	s_waitcnt lgkmcnt(0)
	v_cmp_lt_f32_e32 vcc, v15, v16
	v_cndmask_b32_e32 v15, v15, v16, vcc
	ds_write_b32 v18, v15 offset:4
.LBB3253_30:
	s_or_b64 exec, exec, s[6:7]
	v_mul_u32_u24_e32 v15, 52, v0
	v_cmp_ne_u32_e32 vcc, 0, v0
	v_mov_b32_e32 v16, s8
	s_waitcnt lgkmcnt(0)
	s_barrier
	s_and_saveexec_b64 s[0:1], vcc
	s_cbranch_execz .LBB3253_32
; %bb.31:
	v_add_u32_e32 v0, -1, v0
	v_lshrrev_b32_e32 v16, 5, v0
	v_add_lshl_u32 v0, v16, v0, 2
	ds_read_b32 v0, v0
	v_mov_b32_e32 v16, s8
	s_waitcnt lgkmcnt(0)
	v_cmp_lt_f32_e32 vcc, s8, v0
	v_cndmask_b32_e32 v16, v16, v0, vcc
.LBB3253_32:
	s_or_b64 exec, exec, s[0:1]
	v_cmp_lt_f32_e32 vcc, v16, v10
	v_cndmask_b32_e32 v17, v16, v10, vcc
	v_cmp_lt_f32_e32 vcc, v17, v11
	v_cndmask_b32_e32 v10, v17, v11, vcc
	;; [unrolled: 2-line block ×12, first 2 shown]
	v_cmp_lt_f32_e32 vcc, v4, v14
	v_add_u32_e32 v0, v1, v15
	v_cndmask_b32_e32 v5, v4, v14, vcc
	s_barrier
	ds_write2_b64 v0, v[16:17], v[10:11] offset1:1
	ds_write2_b64 v0, v[12:13], v[6:7] offset0:2 offset1:3
	ds_write2_b64 v0, v[8:9], v[2:3] offset0:4 offset1:5
	ds_write_b64 v0, v[4:5] offset:48
	s_waitcnt lgkmcnt(0)
	s_barrier
	s_endpgm
	.section	.rodata,"a",@progbits
	.p2align	6, 0x0
	.amdhsa_kernel _ZN7rocprim17ROCPRIM_400000_NS6detail17trampoline_kernelINS0_14default_configENS1_20scan_config_selectorIfEEZZNS1_9scan_implILNS1_25lookback_scan_determinismE0ELb1ELb1ES3_N6thrust23THRUST_200600_302600_NS6detail15normal_iteratorINS9_10device_ptrIfEEEENS9_16discard_iteratorINS9_11use_defaultEEEf11max_functorIfEfEEDaPvRmT3_T4_T5_mT6_P12ihipStream_tbENKUlT_T0_E_clISt17integral_constantIbLb1EESW_IbLb0EEEEDaSS_ST_EUlSS_E0_NS1_11comp_targetILNS1_3genE4ELNS1_11target_archE910ELNS1_3gpuE8ELNS1_3repE0EEENS1_30default_config_static_selectorELNS0_4arch9wavefront6targetE1EEEvT1_
		.amdhsa_group_segment_fixed_size 7168
		.amdhsa_private_segment_fixed_size 0
		.amdhsa_kernarg_size 40
		.amdhsa_user_sgpr_count 6
		.amdhsa_user_sgpr_private_segment_buffer 1
		.amdhsa_user_sgpr_dispatch_ptr 0
		.amdhsa_user_sgpr_queue_ptr 0
		.amdhsa_user_sgpr_kernarg_segment_ptr 1
		.amdhsa_user_sgpr_dispatch_id 0
		.amdhsa_user_sgpr_flat_scratch_init 0
		.amdhsa_user_sgpr_kernarg_preload_length 0
		.amdhsa_user_sgpr_kernarg_preload_offset 0
		.amdhsa_user_sgpr_private_segment_size 0
		.amdhsa_uses_dynamic_stack 0
		.amdhsa_system_sgpr_private_segment_wavefront_offset 0
		.amdhsa_system_sgpr_workgroup_id_x 1
		.amdhsa_system_sgpr_workgroup_id_y 0
		.amdhsa_system_sgpr_workgroup_id_z 0
		.amdhsa_system_sgpr_workgroup_info 0
		.amdhsa_system_vgpr_workitem_id 0
		.amdhsa_next_free_vgpr 23
		.amdhsa_next_free_sgpr 9
		.amdhsa_accum_offset 24
		.amdhsa_reserve_vcc 1
		.amdhsa_reserve_flat_scratch 0
		.amdhsa_float_round_mode_32 0
		.amdhsa_float_round_mode_16_64 0
		.amdhsa_float_denorm_mode_32 3
		.amdhsa_float_denorm_mode_16_64 3
		.amdhsa_dx10_clamp 1
		.amdhsa_ieee_mode 1
		.amdhsa_fp16_overflow 0
		.amdhsa_tg_split 0
		.amdhsa_exception_fp_ieee_invalid_op 0
		.amdhsa_exception_fp_denorm_src 0
		.amdhsa_exception_fp_ieee_div_zero 0
		.amdhsa_exception_fp_ieee_overflow 0
		.amdhsa_exception_fp_ieee_underflow 0
		.amdhsa_exception_fp_ieee_inexact 0
		.amdhsa_exception_int_div_zero 0
	.end_amdhsa_kernel
	.section	.text._ZN7rocprim17ROCPRIM_400000_NS6detail17trampoline_kernelINS0_14default_configENS1_20scan_config_selectorIfEEZZNS1_9scan_implILNS1_25lookback_scan_determinismE0ELb1ELb1ES3_N6thrust23THRUST_200600_302600_NS6detail15normal_iteratorINS9_10device_ptrIfEEEENS9_16discard_iteratorINS9_11use_defaultEEEf11max_functorIfEfEEDaPvRmT3_T4_T5_mT6_P12ihipStream_tbENKUlT_T0_E_clISt17integral_constantIbLb1EESW_IbLb0EEEEDaSS_ST_EUlSS_E0_NS1_11comp_targetILNS1_3genE4ELNS1_11target_archE910ELNS1_3gpuE8ELNS1_3repE0EEENS1_30default_config_static_selectorELNS0_4arch9wavefront6targetE1EEEvT1_,"axG",@progbits,_ZN7rocprim17ROCPRIM_400000_NS6detail17trampoline_kernelINS0_14default_configENS1_20scan_config_selectorIfEEZZNS1_9scan_implILNS1_25lookback_scan_determinismE0ELb1ELb1ES3_N6thrust23THRUST_200600_302600_NS6detail15normal_iteratorINS9_10device_ptrIfEEEENS9_16discard_iteratorINS9_11use_defaultEEEf11max_functorIfEfEEDaPvRmT3_T4_T5_mT6_P12ihipStream_tbENKUlT_T0_E_clISt17integral_constantIbLb1EESW_IbLb0EEEEDaSS_ST_EUlSS_E0_NS1_11comp_targetILNS1_3genE4ELNS1_11target_archE910ELNS1_3gpuE8ELNS1_3repE0EEENS1_30default_config_static_selectorELNS0_4arch9wavefront6targetE1EEEvT1_,comdat
.Lfunc_end3253:
	.size	_ZN7rocprim17ROCPRIM_400000_NS6detail17trampoline_kernelINS0_14default_configENS1_20scan_config_selectorIfEEZZNS1_9scan_implILNS1_25lookback_scan_determinismE0ELb1ELb1ES3_N6thrust23THRUST_200600_302600_NS6detail15normal_iteratorINS9_10device_ptrIfEEEENS9_16discard_iteratorINS9_11use_defaultEEEf11max_functorIfEfEEDaPvRmT3_T4_T5_mT6_P12ihipStream_tbENKUlT_T0_E_clISt17integral_constantIbLb1EESW_IbLb0EEEEDaSS_ST_EUlSS_E0_NS1_11comp_targetILNS1_3genE4ELNS1_11target_archE910ELNS1_3gpuE8ELNS1_3repE0EEENS1_30default_config_static_selectorELNS0_4arch9wavefront6targetE1EEEvT1_, .Lfunc_end3253-_ZN7rocprim17ROCPRIM_400000_NS6detail17trampoline_kernelINS0_14default_configENS1_20scan_config_selectorIfEEZZNS1_9scan_implILNS1_25lookback_scan_determinismE0ELb1ELb1ES3_N6thrust23THRUST_200600_302600_NS6detail15normal_iteratorINS9_10device_ptrIfEEEENS9_16discard_iteratorINS9_11use_defaultEEEf11max_functorIfEfEEDaPvRmT3_T4_T5_mT6_P12ihipStream_tbENKUlT_T0_E_clISt17integral_constantIbLb1EESW_IbLb0EEEEDaSS_ST_EUlSS_E0_NS1_11comp_targetILNS1_3genE4ELNS1_11target_archE910ELNS1_3gpuE8ELNS1_3repE0EEENS1_30default_config_static_selectorELNS0_4arch9wavefront6targetE1EEEvT1_
                                        ; -- End function
	.section	.AMDGPU.csdata,"",@progbits
; Kernel info:
; codeLenInByte = 1436
; NumSgprs: 13
; NumVgprs: 23
; NumAgprs: 0
; TotalNumVgprs: 23
; ScratchSize: 0
; MemoryBound: 0
; FloatMode: 240
; IeeeMode: 1
; LDSByteSize: 7168 bytes/workgroup (compile time only)
; SGPRBlocks: 1
; VGPRBlocks: 2
; NumSGPRsForWavesPerEU: 13
; NumVGPRsForWavesPerEU: 23
; AccumOffset: 24
; Occupancy: 5
; WaveLimiterHint : 0
; COMPUTE_PGM_RSRC2:SCRATCH_EN: 0
; COMPUTE_PGM_RSRC2:USER_SGPR: 6
; COMPUTE_PGM_RSRC2:TRAP_HANDLER: 0
; COMPUTE_PGM_RSRC2:TGID_X_EN: 1
; COMPUTE_PGM_RSRC2:TGID_Y_EN: 0
; COMPUTE_PGM_RSRC2:TGID_Z_EN: 0
; COMPUTE_PGM_RSRC2:TIDIG_COMP_CNT: 0
; COMPUTE_PGM_RSRC3_GFX90A:ACCUM_OFFSET: 5
; COMPUTE_PGM_RSRC3_GFX90A:TG_SPLIT: 0
	.section	.text._ZN7rocprim17ROCPRIM_400000_NS6detail17trampoline_kernelINS0_14default_configENS1_20scan_config_selectorIfEEZZNS1_9scan_implILNS1_25lookback_scan_determinismE0ELb1ELb1ES3_N6thrust23THRUST_200600_302600_NS6detail15normal_iteratorINS9_10device_ptrIfEEEENS9_16discard_iteratorINS9_11use_defaultEEEf11max_functorIfEfEEDaPvRmT3_T4_T5_mT6_P12ihipStream_tbENKUlT_T0_E_clISt17integral_constantIbLb1EESW_IbLb0EEEEDaSS_ST_EUlSS_E0_NS1_11comp_targetILNS1_3genE3ELNS1_11target_archE908ELNS1_3gpuE7ELNS1_3repE0EEENS1_30default_config_static_selectorELNS0_4arch9wavefront6targetE1EEEvT1_,"axG",@progbits,_ZN7rocprim17ROCPRIM_400000_NS6detail17trampoline_kernelINS0_14default_configENS1_20scan_config_selectorIfEEZZNS1_9scan_implILNS1_25lookback_scan_determinismE0ELb1ELb1ES3_N6thrust23THRUST_200600_302600_NS6detail15normal_iteratorINS9_10device_ptrIfEEEENS9_16discard_iteratorINS9_11use_defaultEEEf11max_functorIfEfEEDaPvRmT3_T4_T5_mT6_P12ihipStream_tbENKUlT_T0_E_clISt17integral_constantIbLb1EESW_IbLb0EEEEDaSS_ST_EUlSS_E0_NS1_11comp_targetILNS1_3genE3ELNS1_11target_archE908ELNS1_3gpuE7ELNS1_3repE0EEENS1_30default_config_static_selectorELNS0_4arch9wavefront6targetE1EEEvT1_,comdat
	.protected	_ZN7rocprim17ROCPRIM_400000_NS6detail17trampoline_kernelINS0_14default_configENS1_20scan_config_selectorIfEEZZNS1_9scan_implILNS1_25lookback_scan_determinismE0ELb1ELb1ES3_N6thrust23THRUST_200600_302600_NS6detail15normal_iteratorINS9_10device_ptrIfEEEENS9_16discard_iteratorINS9_11use_defaultEEEf11max_functorIfEfEEDaPvRmT3_T4_T5_mT6_P12ihipStream_tbENKUlT_T0_E_clISt17integral_constantIbLb1EESW_IbLb0EEEEDaSS_ST_EUlSS_E0_NS1_11comp_targetILNS1_3genE3ELNS1_11target_archE908ELNS1_3gpuE7ELNS1_3repE0EEENS1_30default_config_static_selectorELNS0_4arch9wavefront6targetE1EEEvT1_ ; -- Begin function _ZN7rocprim17ROCPRIM_400000_NS6detail17trampoline_kernelINS0_14default_configENS1_20scan_config_selectorIfEEZZNS1_9scan_implILNS1_25lookback_scan_determinismE0ELb1ELb1ES3_N6thrust23THRUST_200600_302600_NS6detail15normal_iteratorINS9_10device_ptrIfEEEENS9_16discard_iteratorINS9_11use_defaultEEEf11max_functorIfEfEEDaPvRmT3_T4_T5_mT6_P12ihipStream_tbENKUlT_T0_E_clISt17integral_constantIbLb1EESW_IbLb0EEEEDaSS_ST_EUlSS_E0_NS1_11comp_targetILNS1_3genE3ELNS1_11target_archE908ELNS1_3gpuE7ELNS1_3repE0EEENS1_30default_config_static_selectorELNS0_4arch9wavefront6targetE1EEEvT1_
	.globl	_ZN7rocprim17ROCPRIM_400000_NS6detail17trampoline_kernelINS0_14default_configENS1_20scan_config_selectorIfEEZZNS1_9scan_implILNS1_25lookback_scan_determinismE0ELb1ELb1ES3_N6thrust23THRUST_200600_302600_NS6detail15normal_iteratorINS9_10device_ptrIfEEEENS9_16discard_iteratorINS9_11use_defaultEEEf11max_functorIfEfEEDaPvRmT3_T4_T5_mT6_P12ihipStream_tbENKUlT_T0_E_clISt17integral_constantIbLb1EESW_IbLb0EEEEDaSS_ST_EUlSS_E0_NS1_11comp_targetILNS1_3genE3ELNS1_11target_archE908ELNS1_3gpuE7ELNS1_3repE0EEENS1_30default_config_static_selectorELNS0_4arch9wavefront6targetE1EEEvT1_
	.p2align	8
	.type	_ZN7rocprim17ROCPRIM_400000_NS6detail17trampoline_kernelINS0_14default_configENS1_20scan_config_selectorIfEEZZNS1_9scan_implILNS1_25lookback_scan_determinismE0ELb1ELb1ES3_N6thrust23THRUST_200600_302600_NS6detail15normal_iteratorINS9_10device_ptrIfEEEENS9_16discard_iteratorINS9_11use_defaultEEEf11max_functorIfEfEEDaPvRmT3_T4_T5_mT6_P12ihipStream_tbENKUlT_T0_E_clISt17integral_constantIbLb1EESW_IbLb0EEEEDaSS_ST_EUlSS_E0_NS1_11comp_targetILNS1_3genE3ELNS1_11target_archE908ELNS1_3gpuE7ELNS1_3repE0EEENS1_30default_config_static_selectorELNS0_4arch9wavefront6targetE1EEEvT1_,@function
_ZN7rocprim17ROCPRIM_400000_NS6detail17trampoline_kernelINS0_14default_configENS1_20scan_config_selectorIfEEZZNS1_9scan_implILNS1_25lookback_scan_determinismE0ELb1ELb1ES3_N6thrust23THRUST_200600_302600_NS6detail15normal_iteratorINS9_10device_ptrIfEEEENS9_16discard_iteratorINS9_11use_defaultEEEf11max_functorIfEfEEDaPvRmT3_T4_T5_mT6_P12ihipStream_tbENKUlT_T0_E_clISt17integral_constantIbLb1EESW_IbLb0EEEEDaSS_ST_EUlSS_E0_NS1_11comp_targetILNS1_3genE3ELNS1_11target_archE908ELNS1_3gpuE7ELNS1_3repE0EEENS1_30default_config_static_selectorELNS0_4arch9wavefront6targetE1EEEvT1_: ; @_ZN7rocprim17ROCPRIM_400000_NS6detail17trampoline_kernelINS0_14default_configENS1_20scan_config_selectorIfEEZZNS1_9scan_implILNS1_25lookback_scan_determinismE0ELb1ELb1ES3_N6thrust23THRUST_200600_302600_NS6detail15normal_iteratorINS9_10device_ptrIfEEEENS9_16discard_iteratorINS9_11use_defaultEEEf11max_functorIfEfEEDaPvRmT3_T4_T5_mT6_P12ihipStream_tbENKUlT_T0_E_clISt17integral_constantIbLb1EESW_IbLb0EEEEDaSS_ST_EUlSS_E0_NS1_11comp_targetILNS1_3genE3ELNS1_11target_archE908ELNS1_3gpuE7ELNS1_3repE0EEENS1_30default_config_static_selectorELNS0_4arch9wavefront6targetE1EEEvT1_
; %bb.0:
	.section	.rodata,"a",@progbits
	.p2align	6, 0x0
	.amdhsa_kernel _ZN7rocprim17ROCPRIM_400000_NS6detail17trampoline_kernelINS0_14default_configENS1_20scan_config_selectorIfEEZZNS1_9scan_implILNS1_25lookback_scan_determinismE0ELb1ELb1ES3_N6thrust23THRUST_200600_302600_NS6detail15normal_iteratorINS9_10device_ptrIfEEEENS9_16discard_iteratorINS9_11use_defaultEEEf11max_functorIfEfEEDaPvRmT3_T4_T5_mT6_P12ihipStream_tbENKUlT_T0_E_clISt17integral_constantIbLb1EESW_IbLb0EEEEDaSS_ST_EUlSS_E0_NS1_11comp_targetILNS1_3genE3ELNS1_11target_archE908ELNS1_3gpuE7ELNS1_3repE0EEENS1_30default_config_static_selectorELNS0_4arch9wavefront6targetE1EEEvT1_
		.amdhsa_group_segment_fixed_size 0
		.amdhsa_private_segment_fixed_size 0
		.amdhsa_kernarg_size 40
		.amdhsa_user_sgpr_count 6
		.amdhsa_user_sgpr_private_segment_buffer 1
		.amdhsa_user_sgpr_dispatch_ptr 0
		.amdhsa_user_sgpr_queue_ptr 0
		.amdhsa_user_sgpr_kernarg_segment_ptr 1
		.amdhsa_user_sgpr_dispatch_id 0
		.amdhsa_user_sgpr_flat_scratch_init 0
		.amdhsa_user_sgpr_kernarg_preload_length 0
		.amdhsa_user_sgpr_kernarg_preload_offset 0
		.amdhsa_user_sgpr_private_segment_size 0
		.amdhsa_uses_dynamic_stack 0
		.amdhsa_system_sgpr_private_segment_wavefront_offset 0
		.amdhsa_system_sgpr_workgroup_id_x 1
		.amdhsa_system_sgpr_workgroup_id_y 0
		.amdhsa_system_sgpr_workgroup_id_z 0
		.amdhsa_system_sgpr_workgroup_info 0
		.amdhsa_system_vgpr_workitem_id 0
		.amdhsa_next_free_vgpr 1
		.amdhsa_next_free_sgpr 0
		.amdhsa_accum_offset 4
		.amdhsa_reserve_vcc 0
		.amdhsa_reserve_flat_scratch 0
		.amdhsa_float_round_mode_32 0
		.amdhsa_float_round_mode_16_64 0
		.amdhsa_float_denorm_mode_32 3
		.amdhsa_float_denorm_mode_16_64 3
		.amdhsa_dx10_clamp 1
		.amdhsa_ieee_mode 1
		.amdhsa_fp16_overflow 0
		.amdhsa_tg_split 0
		.amdhsa_exception_fp_ieee_invalid_op 0
		.amdhsa_exception_fp_denorm_src 0
		.amdhsa_exception_fp_ieee_div_zero 0
		.amdhsa_exception_fp_ieee_overflow 0
		.amdhsa_exception_fp_ieee_underflow 0
		.amdhsa_exception_fp_ieee_inexact 0
		.amdhsa_exception_int_div_zero 0
	.end_amdhsa_kernel
	.section	.text._ZN7rocprim17ROCPRIM_400000_NS6detail17trampoline_kernelINS0_14default_configENS1_20scan_config_selectorIfEEZZNS1_9scan_implILNS1_25lookback_scan_determinismE0ELb1ELb1ES3_N6thrust23THRUST_200600_302600_NS6detail15normal_iteratorINS9_10device_ptrIfEEEENS9_16discard_iteratorINS9_11use_defaultEEEf11max_functorIfEfEEDaPvRmT3_T4_T5_mT6_P12ihipStream_tbENKUlT_T0_E_clISt17integral_constantIbLb1EESW_IbLb0EEEEDaSS_ST_EUlSS_E0_NS1_11comp_targetILNS1_3genE3ELNS1_11target_archE908ELNS1_3gpuE7ELNS1_3repE0EEENS1_30default_config_static_selectorELNS0_4arch9wavefront6targetE1EEEvT1_,"axG",@progbits,_ZN7rocprim17ROCPRIM_400000_NS6detail17trampoline_kernelINS0_14default_configENS1_20scan_config_selectorIfEEZZNS1_9scan_implILNS1_25lookback_scan_determinismE0ELb1ELb1ES3_N6thrust23THRUST_200600_302600_NS6detail15normal_iteratorINS9_10device_ptrIfEEEENS9_16discard_iteratorINS9_11use_defaultEEEf11max_functorIfEfEEDaPvRmT3_T4_T5_mT6_P12ihipStream_tbENKUlT_T0_E_clISt17integral_constantIbLb1EESW_IbLb0EEEEDaSS_ST_EUlSS_E0_NS1_11comp_targetILNS1_3genE3ELNS1_11target_archE908ELNS1_3gpuE7ELNS1_3repE0EEENS1_30default_config_static_selectorELNS0_4arch9wavefront6targetE1EEEvT1_,comdat
.Lfunc_end3254:
	.size	_ZN7rocprim17ROCPRIM_400000_NS6detail17trampoline_kernelINS0_14default_configENS1_20scan_config_selectorIfEEZZNS1_9scan_implILNS1_25lookback_scan_determinismE0ELb1ELb1ES3_N6thrust23THRUST_200600_302600_NS6detail15normal_iteratorINS9_10device_ptrIfEEEENS9_16discard_iteratorINS9_11use_defaultEEEf11max_functorIfEfEEDaPvRmT3_T4_T5_mT6_P12ihipStream_tbENKUlT_T0_E_clISt17integral_constantIbLb1EESW_IbLb0EEEEDaSS_ST_EUlSS_E0_NS1_11comp_targetILNS1_3genE3ELNS1_11target_archE908ELNS1_3gpuE7ELNS1_3repE0EEENS1_30default_config_static_selectorELNS0_4arch9wavefront6targetE1EEEvT1_, .Lfunc_end3254-_ZN7rocprim17ROCPRIM_400000_NS6detail17trampoline_kernelINS0_14default_configENS1_20scan_config_selectorIfEEZZNS1_9scan_implILNS1_25lookback_scan_determinismE0ELb1ELb1ES3_N6thrust23THRUST_200600_302600_NS6detail15normal_iteratorINS9_10device_ptrIfEEEENS9_16discard_iteratorINS9_11use_defaultEEEf11max_functorIfEfEEDaPvRmT3_T4_T5_mT6_P12ihipStream_tbENKUlT_T0_E_clISt17integral_constantIbLb1EESW_IbLb0EEEEDaSS_ST_EUlSS_E0_NS1_11comp_targetILNS1_3genE3ELNS1_11target_archE908ELNS1_3gpuE7ELNS1_3repE0EEENS1_30default_config_static_selectorELNS0_4arch9wavefront6targetE1EEEvT1_
                                        ; -- End function
	.section	.AMDGPU.csdata,"",@progbits
; Kernel info:
; codeLenInByte = 0
; NumSgprs: 4
; NumVgprs: 0
; NumAgprs: 0
; TotalNumVgprs: 0
; ScratchSize: 0
; MemoryBound: 0
; FloatMode: 240
; IeeeMode: 1
; LDSByteSize: 0 bytes/workgroup (compile time only)
; SGPRBlocks: 0
; VGPRBlocks: 0
; NumSGPRsForWavesPerEU: 4
; NumVGPRsForWavesPerEU: 1
; AccumOffset: 4
; Occupancy: 8
; WaveLimiterHint : 0
; COMPUTE_PGM_RSRC2:SCRATCH_EN: 0
; COMPUTE_PGM_RSRC2:USER_SGPR: 6
; COMPUTE_PGM_RSRC2:TRAP_HANDLER: 0
; COMPUTE_PGM_RSRC2:TGID_X_EN: 1
; COMPUTE_PGM_RSRC2:TGID_Y_EN: 0
; COMPUTE_PGM_RSRC2:TGID_Z_EN: 0
; COMPUTE_PGM_RSRC2:TIDIG_COMP_CNT: 0
; COMPUTE_PGM_RSRC3_GFX90A:ACCUM_OFFSET: 0
; COMPUTE_PGM_RSRC3_GFX90A:TG_SPLIT: 0
	.section	.text._ZN7rocprim17ROCPRIM_400000_NS6detail17trampoline_kernelINS0_14default_configENS1_20scan_config_selectorIfEEZZNS1_9scan_implILNS1_25lookback_scan_determinismE0ELb1ELb1ES3_N6thrust23THRUST_200600_302600_NS6detail15normal_iteratorINS9_10device_ptrIfEEEENS9_16discard_iteratorINS9_11use_defaultEEEf11max_functorIfEfEEDaPvRmT3_T4_T5_mT6_P12ihipStream_tbENKUlT_T0_E_clISt17integral_constantIbLb1EESW_IbLb0EEEEDaSS_ST_EUlSS_E0_NS1_11comp_targetILNS1_3genE2ELNS1_11target_archE906ELNS1_3gpuE6ELNS1_3repE0EEENS1_30default_config_static_selectorELNS0_4arch9wavefront6targetE1EEEvT1_,"axG",@progbits,_ZN7rocprim17ROCPRIM_400000_NS6detail17trampoline_kernelINS0_14default_configENS1_20scan_config_selectorIfEEZZNS1_9scan_implILNS1_25lookback_scan_determinismE0ELb1ELb1ES3_N6thrust23THRUST_200600_302600_NS6detail15normal_iteratorINS9_10device_ptrIfEEEENS9_16discard_iteratorINS9_11use_defaultEEEf11max_functorIfEfEEDaPvRmT3_T4_T5_mT6_P12ihipStream_tbENKUlT_T0_E_clISt17integral_constantIbLb1EESW_IbLb0EEEEDaSS_ST_EUlSS_E0_NS1_11comp_targetILNS1_3genE2ELNS1_11target_archE906ELNS1_3gpuE6ELNS1_3repE0EEENS1_30default_config_static_selectorELNS0_4arch9wavefront6targetE1EEEvT1_,comdat
	.protected	_ZN7rocprim17ROCPRIM_400000_NS6detail17trampoline_kernelINS0_14default_configENS1_20scan_config_selectorIfEEZZNS1_9scan_implILNS1_25lookback_scan_determinismE0ELb1ELb1ES3_N6thrust23THRUST_200600_302600_NS6detail15normal_iteratorINS9_10device_ptrIfEEEENS9_16discard_iteratorINS9_11use_defaultEEEf11max_functorIfEfEEDaPvRmT3_T4_T5_mT6_P12ihipStream_tbENKUlT_T0_E_clISt17integral_constantIbLb1EESW_IbLb0EEEEDaSS_ST_EUlSS_E0_NS1_11comp_targetILNS1_3genE2ELNS1_11target_archE906ELNS1_3gpuE6ELNS1_3repE0EEENS1_30default_config_static_selectorELNS0_4arch9wavefront6targetE1EEEvT1_ ; -- Begin function _ZN7rocprim17ROCPRIM_400000_NS6detail17trampoline_kernelINS0_14default_configENS1_20scan_config_selectorIfEEZZNS1_9scan_implILNS1_25lookback_scan_determinismE0ELb1ELb1ES3_N6thrust23THRUST_200600_302600_NS6detail15normal_iteratorINS9_10device_ptrIfEEEENS9_16discard_iteratorINS9_11use_defaultEEEf11max_functorIfEfEEDaPvRmT3_T4_T5_mT6_P12ihipStream_tbENKUlT_T0_E_clISt17integral_constantIbLb1EESW_IbLb0EEEEDaSS_ST_EUlSS_E0_NS1_11comp_targetILNS1_3genE2ELNS1_11target_archE906ELNS1_3gpuE6ELNS1_3repE0EEENS1_30default_config_static_selectorELNS0_4arch9wavefront6targetE1EEEvT1_
	.globl	_ZN7rocprim17ROCPRIM_400000_NS6detail17trampoline_kernelINS0_14default_configENS1_20scan_config_selectorIfEEZZNS1_9scan_implILNS1_25lookback_scan_determinismE0ELb1ELb1ES3_N6thrust23THRUST_200600_302600_NS6detail15normal_iteratorINS9_10device_ptrIfEEEENS9_16discard_iteratorINS9_11use_defaultEEEf11max_functorIfEfEEDaPvRmT3_T4_T5_mT6_P12ihipStream_tbENKUlT_T0_E_clISt17integral_constantIbLb1EESW_IbLb0EEEEDaSS_ST_EUlSS_E0_NS1_11comp_targetILNS1_3genE2ELNS1_11target_archE906ELNS1_3gpuE6ELNS1_3repE0EEENS1_30default_config_static_selectorELNS0_4arch9wavefront6targetE1EEEvT1_
	.p2align	8
	.type	_ZN7rocprim17ROCPRIM_400000_NS6detail17trampoline_kernelINS0_14default_configENS1_20scan_config_selectorIfEEZZNS1_9scan_implILNS1_25lookback_scan_determinismE0ELb1ELb1ES3_N6thrust23THRUST_200600_302600_NS6detail15normal_iteratorINS9_10device_ptrIfEEEENS9_16discard_iteratorINS9_11use_defaultEEEf11max_functorIfEfEEDaPvRmT3_T4_T5_mT6_P12ihipStream_tbENKUlT_T0_E_clISt17integral_constantIbLb1EESW_IbLb0EEEEDaSS_ST_EUlSS_E0_NS1_11comp_targetILNS1_3genE2ELNS1_11target_archE906ELNS1_3gpuE6ELNS1_3repE0EEENS1_30default_config_static_selectorELNS0_4arch9wavefront6targetE1EEEvT1_,@function
_ZN7rocprim17ROCPRIM_400000_NS6detail17trampoline_kernelINS0_14default_configENS1_20scan_config_selectorIfEEZZNS1_9scan_implILNS1_25lookback_scan_determinismE0ELb1ELb1ES3_N6thrust23THRUST_200600_302600_NS6detail15normal_iteratorINS9_10device_ptrIfEEEENS9_16discard_iteratorINS9_11use_defaultEEEf11max_functorIfEfEEDaPvRmT3_T4_T5_mT6_P12ihipStream_tbENKUlT_T0_E_clISt17integral_constantIbLb1EESW_IbLb0EEEEDaSS_ST_EUlSS_E0_NS1_11comp_targetILNS1_3genE2ELNS1_11target_archE906ELNS1_3gpuE6ELNS1_3repE0EEENS1_30default_config_static_selectorELNS0_4arch9wavefront6targetE1EEEvT1_: ; @_ZN7rocprim17ROCPRIM_400000_NS6detail17trampoline_kernelINS0_14default_configENS1_20scan_config_selectorIfEEZZNS1_9scan_implILNS1_25lookback_scan_determinismE0ELb1ELb1ES3_N6thrust23THRUST_200600_302600_NS6detail15normal_iteratorINS9_10device_ptrIfEEEENS9_16discard_iteratorINS9_11use_defaultEEEf11max_functorIfEfEEDaPvRmT3_T4_T5_mT6_P12ihipStream_tbENKUlT_T0_E_clISt17integral_constantIbLb1EESW_IbLb0EEEEDaSS_ST_EUlSS_E0_NS1_11comp_targetILNS1_3genE2ELNS1_11target_archE906ELNS1_3gpuE6ELNS1_3repE0EEENS1_30default_config_static_selectorELNS0_4arch9wavefront6targetE1EEEvT1_
; %bb.0:
	.section	.rodata,"a",@progbits
	.p2align	6, 0x0
	.amdhsa_kernel _ZN7rocprim17ROCPRIM_400000_NS6detail17trampoline_kernelINS0_14default_configENS1_20scan_config_selectorIfEEZZNS1_9scan_implILNS1_25lookback_scan_determinismE0ELb1ELb1ES3_N6thrust23THRUST_200600_302600_NS6detail15normal_iteratorINS9_10device_ptrIfEEEENS9_16discard_iteratorINS9_11use_defaultEEEf11max_functorIfEfEEDaPvRmT3_T4_T5_mT6_P12ihipStream_tbENKUlT_T0_E_clISt17integral_constantIbLb1EESW_IbLb0EEEEDaSS_ST_EUlSS_E0_NS1_11comp_targetILNS1_3genE2ELNS1_11target_archE906ELNS1_3gpuE6ELNS1_3repE0EEENS1_30default_config_static_selectorELNS0_4arch9wavefront6targetE1EEEvT1_
		.amdhsa_group_segment_fixed_size 0
		.amdhsa_private_segment_fixed_size 0
		.amdhsa_kernarg_size 40
		.amdhsa_user_sgpr_count 6
		.amdhsa_user_sgpr_private_segment_buffer 1
		.amdhsa_user_sgpr_dispatch_ptr 0
		.amdhsa_user_sgpr_queue_ptr 0
		.amdhsa_user_sgpr_kernarg_segment_ptr 1
		.amdhsa_user_sgpr_dispatch_id 0
		.amdhsa_user_sgpr_flat_scratch_init 0
		.amdhsa_user_sgpr_kernarg_preload_length 0
		.amdhsa_user_sgpr_kernarg_preload_offset 0
		.amdhsa_user_sgpr_private_segment_size 0
		.amdhsa_uses_dynamic_stack 0
		.amdhsa_system_sgpr_private_segment_wavefront_offset 0
		.amdhsa_system_sgpr_workgroup_id_x 1
		.amdhsa_system_sgpr_workgroup_id_y 0
		.amdhsa_system_sgpr_workgroup_id_z 0
		.amdhsa_system_sgpr_workgroup_info 0
		.amdhsa_system_vgpr_workitem_id 0
		.amdhsa_next_free_vgpr 1
		.amdhsa_next_free_sgpr 0
		.amdhsa_accum_offset 4
		.amdhsa_reserve_vcc 0
		.amdhsa_reserve_flat_scratch 0
		.amdhsa_float_round_mode_32 0
		.amdhsa_float_round_mode_16_64 0
		.amdhsa_float_denorm_mode_32 3
		.amdhsa_float_denorm_mode_16_64 3
		.amdhsa_dx10_clamp 1
		.amdhsa_ieee_mode 1
		.amdhsa_fp16_overflow 0
		.amdhsa_tg_split 0
		.amdhsa_exception_fp_ieee_invalid_op 0
		.amdhsa_exception_fp_denorm_src 0
		.amdhsa_exception_fp_ieee_div_zero 0
		.amdhsa_exception_fp_ieee_overflow 0
		.amdhsa_exception_fp_ieee_underflow 0
		.amdhsa_exception_fp_ieee_inexact 0
		.amdhsa_exception_int_div_zero 0
	.end_amdhsa_kernel
	.section	.text._ZN7rocprim17ROCPRIM_400000_NS6detail17trampoline_kernelINS0_14default_configENS1_20scan_config_selectorIfEEZZNS1_9scan_implILNS1_25lookback_scan_determinismE0ELb1ELb1ES3_N6thrust23THRUST_200600_302600_NS6detail15normal_iteratorINS9_10device_ptrIfEEEENS9_16discard_iteratorINS9_11use_defaultEEEf11max_functorIfEfEEDaPvRmT3_T4_T5_mT6_P12ihipStream_tbENKUlT_T0_E_clISt17integral_constantIbLb1EESW_IbLb0EEEEDaSS_ST_EUlSS_E0_NS1_11comp_targetILNS1_3genE2ELNS1_11target_archE906ELNS1_3gpuE6ELNS1_3repE0EEENS1_30default_config_static_selectorELNS0_4arch9wavefront6targetE1EEEvT1_,"axG",@progbits,_ZN7rocprim17ROCPRIM_400000_NS6detail17trampoline_kernelINS0_14default_configENS1_20scan_config_selectorIfEEZZNS1_9scan_implILNS1_25lookback_scan_determinismE0ELb1ELb1ES3_N6thrust23THRUST_200600_302600_NS6detail15normal_iteratorINS9_10device_ptrIfEEEENS9_16discard_iteratorINS9_11use_defaultEEEf11max_functorIfEfEEDaPvRmT3_T4_T5_mT6_P12ihipStream_tbENKUlT_T0_E_clISt17integral_constantIbLb1EESW_IbLb0EEEEDaSS_ST_EUlSS_E0_NS1_11comp_targetILNS1_3genE2ELNS1_11target_archE906ELNS1_3gpuE6ELNS1_3repE0EEENS1_30default_config_static_selectorELNS0_4arch9wavefront6targetE1EEEvT1_,comdat
.Lfunc_end3255:
	.size	_ZN7rocprim17ROCPRIM_400000_NS6detail17trampoline_kernelINS0_14default_configENS1_20scan_config_selectorIfEEZZNS1_9scan_implILNS1_25lookback_scan_determinismE0ELb1ELb1ES3_N6thrust23THRUST_200600_302600_NS6detail15normal_iteratorINS9_10device_ptrIfEEEENS9_16discard_iteratorINS9_11use_defaultEEEf11max_functorIfEfEEDaPvRmT3_T4_T5_mT6_P12ihipStream_tbENKUlT_T0_E_clISt17integral_constantIbLb1EESW_IbLb0EEEEDaSS_ST_EUlSS_E0_NS1_11comp_targetILNS1_3genE2ELNS1_11target_archE906ELNS1_3gpuE6ELNS1_3repE0EEENS1_30default_config_static_selectorELNS0_4arch9wavefront6targetE1EEEvT1_, .Lfunc_end3255-_ZN7rocprim17ROCPRIM_400000_NS6detail17trampoline_kernelINS0_14default_configENS1_20scan_config_selectorIfEEZZNS1_9scan_implILNS1_25lookback_scan_determinismE0ELb1ELb1ES3_N6thrust23THRUST_200600_302600_NS6detail15normal_iteratorINS9_10device_ptrIfEEEENS9_16discard_iteratorINS9_11use_defaultEEEf11max_functorIfEfEEDaPvRmT3_T4_T5_mT6_P12ihipStream_tbENKUlT_T0_E_clISt17integral_constantIbLb1EESW_IbLb0EEEEDaSS_ST_EUlSS_E0_NS1_11comp_targetILNS1_3genE2ELNS1_11target_archE906ELNS1_3gpuE6ELNS1_3repE0EEENS1_30default_config_static_selectorELNS0_4arch9wavefront6targetE1EEEvT1_
                                        ; -- End function
	.section	.AMDGPU.csdata,"",@progbits
; Kernel info:
; codeLenInByte = 0
; NumSgprs: 4
; NumVgprs: 0
; NumAgprs: 0
; TotalNumVgprs: 0
; ScratchSize: 0
; MemoryBound: 0
; FloatMode: 240
; IeeeMode: 1
; LDSByteSize: 0 bytes/workgroup (compile time only)
; SGPRBlocks: 0
; VGPRBlocks: 0
; NumSGPRsForWavesPerEU: 4
; NumVGPRsForWavesPerEU: 1
; AccumOffset: 4
; Occupancy: 8
; WaveLimiterHint : 0
; COMPUTE_PGM_RSRC2:SCRATCH_EN: 0
; COMPUTE_PGM_RSRC2:USER_SGPR: 6
; COMPUTE_PGM_RSRC2:TRAP_HANDLER: 0
; COMPUTE_PGM_RSRC2:TGID_X_EN: 1
; COMPUTE_PGM_RSRC2:TGID_Y_EN: 0
; COMPUTE_PGM_RSRC2:TGID_Z_EN: 0
; COMPUTE_PGM_RSRC2:TIDIG_COMP_CNT: 0
; COMPUTE_PGM_RSRC3_GFX90A:ACCUM_OFFSET: 0
; COMPUTE_PGM_RSRC3_GFX90A:TG_SPLIT: 0
	.section	.text._ZN7rocprim17ROCPRIM_400000_NS6detail17trampoline_kernelINS0_14default_configENS1_20scan_config_selectorIfEEZZNS1_9scan_implILNS1_25lookback_scan_determinismE0ELb1ELb1ES3_N6thrust23THRUST_200600_302600_NS6detail15normal_iteratorINS9_10device_ptrIfEEEENS9_16discard_iteratorINS9_11use_defaultEEEf11max_functorIfEfEEDaPvRmT3_T4_T5_mT6_P12ihipStream_tbENKUlT_T0_E_clISt17integral_constantIbLb1EESW_IbLb0EEEEDaSS_ST_EUlSS_E0_NS1_11comp_targetILNS1_3genE10ELNS1_11target_archE1201ELNS1_3gpuE5ELNS1_3repE0EEENS1_30default_config_static_selectorELNS0_4arch9wavefront6targetE1EEEvT1_,"axG",@progbits,_ZN7rocprim17ROCPRIM_400000_NS6detail17trampoline_kernelINS0_14default_configENS1_20scan_config_selectorIfEEZZNS1_9scan_implILNS1_25lookback_scan_determinismE0ELb1ELb1ES3_N6thrust23THRUST_200600_302600_NS6detail15normal_iteratorINS9_10device_ptrIfEEEENS9_16discard_iteratorINS9_11use_defaultEEEf11max_functorIfEfEEDaPvRmT3_T4_T5_mT6_P12ihipStream_tbENKUlT_T0_E_clISt17integral_constantIbLb1EESW_IbLb0EEEEDaSS_ST_EUlSS_E0_NS1_11comp_targetILNS1_3genE10ELNS1_11target_archE1201ELNS1_3gpuE5ELNS1_3repE0EEENS1_30default_config_static_selectorELNS0_4arch9wavefront6targetE1EEEvT1_,comdat
	.protected	_ZN7rocprim17ROCPRIM_400000_NS6detail17trampoline_kernelINS0_14default_configENS1_20scan_config_selectorIfEEZZNS1_9scan_implILNS1_25lookback_scan_determinismE0ELb1ELb1ES3_N6thrust23THRUST_200600_302600_NS6detail15normal_iteratorINS9_10device_ptrIfEEEENS9_16discard_iteratorINS9_11use_defaultEEEf11max_functorIfEfEEDaPvRmT3_T4_T5_mT6_P12ihipStream_tbENKUlT_T0_E_clISt17integral_constantIbLb1EESW_IbLb0EEEEDaSS_ST_EUlSS_E0_NS1_11comp_targetILNS1_3genE10ELNS1_11target_archE1201ELNS1_3gpuE5ELNS1_3repE0EEENS1_30default_config_static_selectorELNS0_4arch9wavefront6targetE1EEEvT1_ ; -- Begin function _ZN7rocprim17ROCPRIM_400000_NS6detail17trampoline_kernelINS0_14default_configENS1_20scan_config_selectorIfEEZZNS1_9scan_implILNS1_25lookback_scan_determinismE0ELb1ELb1ES3_N6thrust23THRUST_200600_302600_NS6detail15normal_iteratorINS9_10device_ptrIfEEEENS9_16discard_iteratorINS9_11use_defaultEEEf11max_functorIfEfEEDaPvRmT3_T4_T5_mT6_P12ihipStream_tbENKUlT_T0_E_clISt17integral_constantIbLb1EESW_IbLb0EEEEDaSS_ST_EUlSS_E0_NS1_11comp_targetILNS1_3genE10ELNS1_11target_archE1201ELNS1_3gpuE5ELNS1_3repE0EEENS1_30default_config_static_selectorELNS0_4arch9wavefront6targetE1EEEvT1_
	.globl	_ZN7rocprim17ROCPRIM_400000_NS6detail17trampoline_kernelINS0_14default_configENS1_20scan_config_selectorIfEEZZNS1_9scan_implILNS1_25lookback_scan_determinismE0ELb1ELb1ES3_N6thrust23THRUST_200600_302600_NS6detail15normal_iteratorINS9_10device_ptrIfEEEENS9_16discard_iteratorINS9_11use_defaultEEEf11max_functorIfEfEEDaPvRmT3_T4_T5_mT6_P12ihipStream_tbENKUlT_T0_E_clISt17integral_constantIbLb1EESW_IbLb0EEEEDaSS_ST_EUlSS_E0_NS1_11comp_targetILNS1_3genE10ELNS1_11target_archE1201ELNS1_3gpuE5ELNS1_3repE0EEENS1_30default_config_static_selectorELNS0_4arch9wavefront6targetE1EEEvT1_
	.p2align	8
	.type	_ZN7rocprim17ROCPRIM_400000_NS6detail17trampoline_kernelINS0_14default_configENS1_20scan_config_selectorIfEEZZNS1_9scan_implILNS1_25lookback_scan_determinismE0ELb1ELb1ES3_N6thrust23THRUST_200600_302600_NS6detail15normal_iteratorINS9_10device_ptrIfEEEENS9_16discard_iteratorINS9_11use_defaultEEEf11max_functorIfEfEEDaPvRmT3_T4_T5_mT6_P12ihipStream_tbENKUlT_T0_E_clISt17integral_constantIbLb1EESW_IbLb0EEEEDaSS_ST_EUlSS_E0_NS1_11comp_targetILNS1_3genE10ELNS1_11target_archE1201ELNS1_3gpuE5ELNS1_3repE0EEENS1_30default_config_static_selectorELNS0_4arch9wavefront6targetE1EEEvT1_,@function
_ZN7rocprim17ROCPRIM_400000_NS6detail17trampoline_kernelINS0_14default_configENS1_20scan_config_selectorIfEEZZNS1_9scan_implILNS1_25lookback_scan_determinismE0ELb1ELb1ES3_N6thrust23THRUST_200600_302600_NS6detail15normal_iteratorINS9_10device_ptrIfEEEENS9_16discard_iteratorINS9_11use_defaultEEEf11max_functorIfEfEEDaPvRmT3_T4_T5_mT6_P12ihipStream_tbENKUlT_T0_E_clISt17integral_constantIbLb1EESW_IbLb0EEEEDaSS_ST_EUlSS_E0_NS1_11comp_targetILNS1_3genE10ELNS1_11target_archE1201ELNS1_3gpuE5ELNS1_3repE0EEENS1_30default_config_static_selectorELNS0_4arch9wavefront6targetE1EEEvT1_: ; @_ZN7rocprim17ROCPRIM_400000_NS6detail17trampoline_kernelINS0_14default_configENS1_20scan_config_selectorIfEEZZNS1_9scan_implILNS1_25lookback_scan_determinismE0ELb1ELb1ES3_N6thrust23THRUST_200600_302600_NS6detail15normal_iteratorINS9_10device_ptrIfEEEENS9_16discard_iteratorINS9_11use_defaultEEEf11max_functorIfEfEEDaPvRmT3_T4_T5_mT6_P12ihipStream_tbENKUlT_T0_E_clISt17integral_constantIbLb1EESW_IbLb0EEEEDaSS_ST_EUlSS_E0_NS1_11comp_targetILNS1_3genE10ELNS1_11target_archE1201ELNS1_3gpuE5ELNS1_3repE0EEENS1_30default_config_static_selectorELNS0_4arch9wavefront6targetE1EEEvT1_
; %bb.0:
	.section	.rodata,"a",@progbits
	.p2align	6, 0x0
	.amdhsa_kernel _ZN7rocprim17ROCPRIM_400000_NS6detail17trampoline_kernelINS0_14default_configENS1_20scan_config_selectorIfEEZZNS1_9scan_implILNS1_25lookback_scan_determinismE0ELb1ELb1ES3_N6thrust23THRUST_200600_302600_NS6detail15normal_iteratorINS9_10device_ptrIfEEEENS9_16discard_iteratorINS9_11use_defaultEEEf11max_functorIfEfEEDaPvRmT3_T4_T5_mT6_P12ihipStream_tbENKUlT_T0_E_clISt17integral_constantIbLb1EESW_IbLb0EEEEDaSS_ST_EUlSS_E0_NS1_11comp_targetILNS1_3genE10ELNS1_11target_archE1201ELNS1_3gpuE5ELNS1_3repE0EEENS1_30default_config_static_selectorELNS0_4arch9wavefront6targetE1EEEvT1_
		.amdhsa_group_segment_fixed_size 0
		.amdhsa_private_segment_fixed_size 0
		.amdhsa_kernarg_size 40
		.amdhsa_user_sgpr_count 6
		.amdhsa_user_sgpr_private_segment_buffer 1
		.amdhsa_user_sgpr_dispatch_ptr 0
		.amdhsa_user_sgpr_queue_ptr 0
		.amdhsa_user_sgpr_kernarg_segment_ptr 1
		.amdhsa_user_sgpr_dispatch_id 0
		.amdhsa_user_sgpr_flat_scratch_init 0
		.amdhsa_user_sgpr_kernarg_preload_length 0
		.amdhsa_user_sgpr_kernarg_preload_offset 0
		.amdhsa_user_sgpr_private_segment_size 0
		.amdhsa_uses_dynamic_stack 0
		.amdhsa_system_sgpr_private_segment_wavefront_offset 0
		.amdhsa_system_sgpr_workgroup_id_x 1
		.amdhsa_system_sgpr_workgroup_id_y 0
		.amdhsa_system_sgpr_workgroup_id_z 0
		.amdhsa_system_sgpr_workgroup_info 0
		.amdhsa_system_vgpr_workitem_id 0
		.amdhsa_next_free_vgpr 1
		.amdhsa_next_free_sgpr 0
		.amdhsa_accum_offset 4
		.amdhsa_reserve_vcc 0
		.amdhsa_reserve_flat_scratch 0
		.amdhsa_float_round_mode_32 0
		.amdhsa_float_round_mode_16_64 0
		.amdhsa_float_denorm_mode_32 3
		.amdhsa_float_denorm_mode_16_64 3
		.amdhsa_dx10_clamp 1
		.amdhsa_ieee_mode 1
		.amdhsa_fp16_overflow 0
		.amdhsa_tg_split 0
		.amdhsa_exception_fp_ieee_invalid_op 0
		.amdhsa_exception_fp_denorm_src 0
		.amdhsa_exception_fp_ieee_div_zero 0
		.amdhsa_exception_fp_ieee_overflow 0
		.amdhsa_exception_fp_ieee_underflow 0
		.amdhsa_exception_fp_ieee_inexact 0
		.amdhsa_exception_int_div_zero 0
	.end_amdhsa_kernel
	.section	.text._ZN7rocprim17ROCPRIM_400000_NS6detail17trampoline_kernelINS0_14default_configENS1_20scan_config_selectorIfEEZZNS1_9scan_implILNS1_25lookback_scan_determinismE0ELb1ELb1ES3_N6thrust23THRUST_200600_302600_NS6detail15normal_iteratorINS9_10device_ptrIfEEEENS9_16discard_iteratorINS9_11use_defaultEEEf11max_functorIfEfEEDaPvRmT3_T4_T5_mT6_P12ihipStream_tbENKUlT_T0_E_clISt17integral_constantIbLb1EESW_IbLb0EEEEDaSS_ST_EUlSS_E0_NS1_11comp_targetILNS1_3genE10ELNS1_11target_archE1201ELNS1_3gpuE5ELNS1_3repE0EEENS1_30default_config_static_selectorELNS0_4arch9wavefront6targetE1EEEvT1_,"axG",@progbits,_ZN7rocprim17ROCPRIM_400000_NS6detail17trampoline_kernelINS0_14default_configENS1_20scan_config_selectorIfEEZZNS1_9scan_implILNS1_25lookback_scan_determinismE0ELb1ELb1ES3_N6thrust23THRUST_200600_302600_NS6detail15normal_iteratorINS9_10device_ptrIfEEEENS9_16discard_iteratorINS9_11use_defaultEEEf11max_functorIfEfEEDaPvRmT3_T4_T5_mT6_P12ihipStream_tbENKUlT_T0_E_clISt17integral_constantIbLb1EESW_IbLb0EEEEDaSS_ST_EUlSS_E0_NS1_11comp_targetILNS1_3genE10ELNS1_11target_archE1201ELNS1_3gpuE5ELNS1_3repE0EEENS1_30default_config_static_selectorELNS0_4arch9wavefront6targetE1EEEvT1_,comdat
.Lfunc_end3256:
	.size	_ZN7rocprim17ROCPRIM_400000_NS6detail17trampoline_kernelINS0_14default_configENS1_20scan_config_selectorIfEEZZNS1_9scan_implILNS1_25lookback_scan_determinismE0ELb1ELb1ES3_N6thrust23THRUST_200600_302600_NS6detail15normal_iteratorINS9_10device_ptrIfEEEENS9_16discard_iteratorINS9_11use_defaultEEEf11max_functorIfEfEEDaPvRmT3_T4_T5_mT6_P12ihipStream_tbENKUlT_T0_E_clISt17integral_constantIbLb1EESW_IbLb0EEEEDaSS_ST_EUlSS_E0_NS1_11comp_targetILNS1_3genE10ELNS1_11target_archE1201ELNS1_3gpuE5ELNS1_3repE0EEENS1_30default_config_static_selectorELNS0_4arch9wavefront6targetE1EEEvT1_, .Lfunc_end3256-_ZN7rocprim17ROCPRIM_400000_NS6detail17trampoline_kernelINS0_14default_configENS1_20scan_config_selectorIfEEZZNS1_9scan_implILNS1_25lookback_scan_determinismE0ELb1ELb1ES3_N6thrust23THRUST_200600_302600_NS6detail15normal_iteratorINS9_10device_ptrIfEEEENS9_16discard_iteratorINS9_11use_defaultEEEf11max_functorIfEfEEDaPvRmT3_T4_T5_mT6_P12ihipStream_tbENKUlT_T0_E_clISt17integral_constantIbLb1EESW_IbLb0EEEEDaSS_ST_EUlSS_E0_NS1_11comp_targetILNS1_3genE10ELNS1_11target_archE1201ELNS1_3gpuE5ELNS1_3repE0EEENS1_30default_config_static_selectorELNS0_4arch9wavefront6targetE1EEEvT1_
                                        ; -- End function
	.section	.AMDGPU.csdata,"",@progbits
; Kernel info:
; codeLenInByte = 0
; NumSgprs: 4
; NumVgprs: 0
; NumAgprs: 0
; TotalNumVgprs: 0
; ScratchSize: 0
; MemoryBound: 0
; FloatMode: 240
; IeeeMode: 1
; LDSByteSize: 0 bytes/workgroup (compile time only)
; SGPRBlocks: 0
; VGPRBlocks: 0
; NumSGPRsForWavesPerEU: 4
; NumVGPRsForWavesPerEU: 1
; AccumOffset: 4
; Occupancy: 8
; WaveLimiterHint : 0
; COMPUTE_PGM_RSRC2:SCRATCH_EN: 0
; COMPUTE_PGM_RSRC2:USER_SGPR: 6
; COMPUTE_PGM_RSRC2:TRAP_HANDLER: 0
; COMPUTE_PGM_RSRC2:TGID_X_EN: 1
; COMPUTE_PGM_RSRC2:TGID_Y_EN: 0
; COMPUTE_PGM_RSRC2:TGID_Z_EN: 0
; COMPUTE_PGM_RSRC2:TIDIG_COMP_CNT: 0
; COMPUTE_PGM_RSRC3_GFX90A:ACCUM_OFFSET: 0
; COMPUTE_PGM_RSRC3_GFX90A:TG_SPLIT: 0
	.section	.text._ZN7rocprim17ROCPRIM_400000_NS6detail17trampoline_kernelINS0_14default_configENS1_20scan_config_selectorIfEEZZNS1_9scan_implILNS1_25lookback_scan_determinismE0ELb1ELb1ES3_N6thrust23THRUST_200600_302600_NS6detail15normal_iteratorINS9_10device_ptrIfEEEENS9_16discard_iteratorINS9_11use_defaultEEEf11max_functorIfEfEEDaPvRmT3_T4_T5_mT6_P12ihipStream_tbENKUlT_T0_E_clISt17integral_constantIbLb1EESW_IbLb0EEEEDaSS_ST_EUlSS_E0_NS1_11comp_targetILNS1_3genE10ELNS1_11target_archE1200ELNS1_3gpuE4ELNS1_3repE0EEENS1_30default_config_static_selectorELNS0_4arch9wavefront6targetE1EEEvT1_,"axG",@progbits,_ZN7rocprim17ROCPRIM_400000_NS6detail17trampoline_kernelINS0_14default_configENS1_20scan_config_selectorIfEEZZNS1_9scan_implILNS1_25lookback_scan_determinismE0ELb1ELb1ES3_N6thrust23THRUST_200600_302600_NS6detail15normal_iteratorINS9_10device_ptrIfEEEENS9_16discard_iteratorINS9_11use_defaultEEEf11max_functorIfEfEEDaPvRmT3_T4_T5_mT6_P12ihipStream_tbENKUlT_T0_E_clISt17integral_constantIbLb1EESW_IbLb0EEEEDaSS_ST_EUlSS_E0_NS1_11comp_targetILNS1_3genE10ELNS1_11target_archE1200ELNS1_3gpuE4ELNS1_3repE0EEENS1_30default_config_static_selectorELNS0_4arch9wavefront6targetE1EEEvT1_,comdat
	.protected	_ZN7rocprim17ROCPRIM_400000_NS6detail17trampoline_kernelINS0_14default_configENS1_20scan_config_selectorIfEEZZNS1_9scan_implILNS1_25lookback_scan_determinismE0ELb1ELb1ES3_N6thrust23THRUST_200600_302600_NS6detail15normal_iteratorINS9_10device_ptrIfEEEENS9_16discard_iteratorINS9_11use_defaultEEEf11max_functorIfEfEEDaPvRmT3_T4_T5_mT6_P12ihipStream_tbENKUlT_T0_E_clISt17integral_constantIbLb1EESW_IbLb0EEEEDaSS_ST_EUlSS_E0_NS1_11comp_targetILNS1_3genE10ELNS1_11target_archE1200ELNS1_3gpuE4ELNS1_3repE0EEENS1_30default_config_static_selectorELNS0_4arch9wavefront6targetE1EEEvT1_ ; -- Begin function _ZN7rocprim17ROCPRIM_400000_NS6detail17trampoline_kernelINS0_14default_configENS1_20scan_config_selectorIfEEZZNS1_9scan_implILNS1_25lookback_scan_determinismE0ELb1ELb1ES3_N6thrust23THRUST_200600_302600_NS6detail15normal_iteratorINS9_10device_ptrIfEEEENS9_16discard_iteratorINS9_11use_defaultEEEf11max_functorIfEfEEDaPvRmT3_T4_T5_mT6_P12ihipStream_tbENKUlT_T0_E_clISt17integral_constantIbLb1EESW_IbLb0EEEEDaSS_ST_EUlSS_E0_NS1_11comp_targetILNS1_3genE10ELNS1_11target_archE1200ELNS1_3gpuE4ELNS1_3repE0EEENS1_30default_config_static_selectorELNS0_4arch9wavefront6targetE1EEEvT1_
	.globl	_ZN7rocprim17ROCPRIM_400000_NS6detail17trampoline_kernelINS0_14default_configENS1_20scan_config_selectorIfEEZZNS1_9scan_implILNS1_25lookback_scan_determinismE0ELb1ELb1ES3_N6thrust23THRUST_200600_302600_NS6detail15normal_iteratorINS9_10device_ptrIfEEEENS9_16discard_iteratorINS9_11use_defaultEEEf11max_functorIfEfEEDaPvRmT3_T4_T5_mT6_P12ihipStream_tbENKUlT_T0_E_clISt17integral_constantIbLb1EESW_IbLb0EEEEDaSS_ST_EUlSS_E0_NS1_11comp_targetILNS1_3genE10ELNS1_11target_archE1200ELNS1_3gpuE4ELNS1_3repE0EEENS1_30default_config_static_selectorELNS0_4arch9wavefront6targetE1EEEvT1_
	.p2align	8
	.type	_ZN7rocprim17ROCPRIM_400000_NS6detail17trampoline_kernelINS0_14default_configENS1_20scan_config_selectorIfEEZZNS1_9scan_implILNS1_25lookback_scan_determinismE0ELb1ELb1ES3_N6thrust23THRUST_200600_302600_NS6detail15normal_iteratorINS9_10device_ptrIfEEEENS9_16discard_iteratorINS9_11use_defaultEEEf11max_functorIfEfEEDaPvRmT3_T4_T5_mT6_P12ihipStream_tbENKUlT_T0_E_clISt17integral_constantIbLb1EESW_IbLb0EEEEDaSS_ST_EUlSS_E0_NS1_11comp_targetILNS1_3genE10ELNS1_11target_archE1200ELNS1_3gpuE4ELNS1_3repE0EEENS1_30default_config_static_selectorELNS0_4arch9wavefront6targetE1EEEvT1_,@function
_ZN7rocprim17ROCPRIM_400000_NS6detail17trampoline_kernelINS0_14default_configENS1_20scan_config_selectorIfEEZZNS1_9scan_implILNS1_25lookback_scan_determinismE0ELb1ELb1ES3_N6thrust23THRUST_200600_302600_NS6detail15normal_iteratorINS9_10device_ptrIfEEEENS9_16discard_iteratorINS9_11use_defaultEEEf11max_functorIfEfEEDaPvRmT3_T4_T5_mT6_P12ihipStream_tbENKUlT_T0_E_clISt17integral_constantIbLb1EESW_IbLb0EEEEDaSS_ST_EUlSS_E0_NS1_11comp_targetILNS1_3genE10ELNS1_11target_archE1200ELNS1_3gpuE4ELNS1_3repE0EEENS1_30default_config_static_selectorELNS0_4arch9wavefront6targetE1EEEvT1_: ; @_ZN7rocprim17ROCPRIM_400000_NS6detail17trampoline_kernelINS0_14default_configENS1_20scan_config_selectorIfEEZZNS1_9scan_implILNS1_25lookback_scan_determinismE0ELb1ELb1ES3_N6thrust23THRUST_200600_302600_NS6detail15normal_iteratorINS9_10device_ptrIfEEEENS9_16discard_iteratorINS9_11use_defaultEEEf11max_functorIfEfEEDaPvRmT3_T4_T5_mT6_P12ihipStream_tbENKUlT_T0_E_clISt17integral_constantIbLb1EESW_IbLb0EEEEDaSS_ST_EUlSS_E0_NS1_11comp_targetILNS1_3genE10ELNS1_11target_archE1200ELNS1_3gpuE4ELNS1_3repE0EEENS1_30default_config_static_selectorELNS0_4arch9wavefront6targetE1EEEvT1_
; %bb.0:
	.section	.rodata,"a",@progbits
	.p2align	6, 0x0
	.amdhsa_kernel _ZN7rocprim17ROCPRIM_400000_NS6detail17trampoline_kernelINS0_14default_configENS1_20scan_config_selectorIfEEZZNS1_9scan_implILNS1_25lookback_scan_determinismE0ELb1ELb1ES3_N6thrust23THRUST_200600_302600_NS6detail15normal_iteratorINS9_10device_ptrIfEEEENS9_16discard_iteratorINS9_11use_defaultEEEf11max_functorIfEfEEDaPvRmT3_T4_T5_mT6_P12ihipStream_tbENKUlT_T0_E_clISt17integral_constantIbLb1EESW_IbLb0EEEEDaSS_ST_EUlSS_E0_NS1_11comp_targetILNS1_3genE10ELNS1_11target_archE1200ELNS1_3gpuE4ELNS1_3repE0EEENS1_30default_config_static_selectorELNS0_4arch9wavefront6targetE1EEEvT1_
		.amdhsa_group_segment_fixed_size 0
		.amdhsa_private_segment_fixed_size 0
		.amdhsa_kernarg_size 40
		.amdhsa_user_sgpr_count 6
		.amdhsa_user_sgpr_private_segment_buffer 1
		.amdhsa_user_sgpr_dispatch_ptr 0
		.amdhsa_user_sgpr_queue_ptr 0
		.amdhsa_user_sgpr_kernarg_segment_ptr 1
		.amdhsa_user_sgpr_dispatch_id 0
		.amdhsa_user_sgpr_flat_scratch_init 0
		.amdhsa_user_sgpr_kernarg_preload_length 0
		.amdhsa_user_sgpr_kernarg_preload_offset 0
		.amdhsa_user_sgpr_private_segment_size 0
		.amdhsa_uses_dynamic_stack 0
		.amdhsa_system_sgpr_private_segment_wavefront_offset 0
		.amdhsa_system_sgpr_workgroup_id_x 1
		.amdhsa_system_sgpr_workgroup_id_y 0
		.amdhsa_system_sgpr_workgroup_id_z 0
		.amdhsa_system_sgpr_workgroup_info 0
		.amdhsa_system_vgpr_workitem_id 0
		.amdhsa_next_free_vgpr 1
		.amdhsa_next_free_sgpr 0
		.amdhsa_accum_offset 4
		.amdhsa_reserve_vcc 0
		.amdhsa_reserve_flat_scratch 0
		.amdhsa_float_round_mode_32 0
		.amdhsa_float_round_mode_16_64 0
		.amdhsa_float_denorm_mode_32 3
		.amdhsa_float_denorm_mode_16_64 3
		.amdhsa_dx10_clamp 1
		.amdhsa_ieee_mode 1
		.amdhsa_fp16_overflow 0
		.amdhsa_tg_split 0
		.amdhsa_exception_fp_ieee_invalid_op 0
		.amdhsa_exception_fp_denorm_src 0
		.amdhsa_exception_fp_ieee_div_zero 0
		.amdhsa_exception_fp_ieee_overflow 0
		.amdhsa_exception_fp_ieee_underflow 0
		.amdhsa_exception_fp_ieee_inexact 0
		.amdhsa_exception_int_div_zero 0
	.end_amdhsa_kernel
	.section	.text._ZN7rocprim17ROCPRIM_400000_NS6detail17trampoline_kernelINS0_14default_configENS1_20scan_config_selectorIfEEZZNS1_9scan_implILNS1_25lookback_scan_determinismE0ELb1ELb1ES3_N6thrust23THRUST_200600_302600_NS6detail15normal_iteratorINS9_10device_ptrIfEEEENS9_16discard_iteratorINS9_11use_defaultEEEf11max_functorIfEfEEDaPvRmT3_T4_T5_mT6_P12ihipStream_tbENKUlT_T0_E_clISt17integral_constantIbLb1EESW_IbLb0EEEEDaSS_ST_EUlSS_E0_NS1_11comp_targetILNS1_3genE10ELNS1_11target_archE1200ELNS1_3gpuE4ELNS1_3repE0EEENS1_30default_config_static_selectorELNS0_4arch9wavefront6targetE1EEEvT1_,"axG",@progbits,_ZN7rocprim17ROCPRIM_400000_NS6detail17trampoline_kernelINS0_14default_configENS1_20scan_config_selectorIfEEZZNS1_9scan_implILNS1_25lookback_scan_determinismE0ELb1ELb1ES3_N6thrust23THRUST_200600_302600_NS6detail15normal_iteratorINS9_10device_ptrIfEEEENS9_16discard_iteratorINS9_11use_defaultEEEf11max_functorIfEfEEDaPvRmT3_T4_T5_mT6_P12ihipStream_tbENKUlT_T0_E_clISt17integral_constantIbLb1EESW_IbLb0EEEEDaSS_ST_EUlSS_E0_NS1_11comp_targetILNS1_3genE10ELNS1_11target_archE1200ELNS1_3gpuE4ELNS1_3repE0EEENS1_30default_config_static_selectorELNS0_4arch9wavefront6targetE1EEEvT1_,comdat
.Lfunc_end3257:
	.size	_ZN7rocprim17ROCPRIM_400000_NS6detail17trampoline_kernelINS0_14default_configENS1_20scan_config_selectorIfEEZZNS1_9scan_implILNS1_25lookback_scan_determinismE0ELb1ELb1ES3_N6thrust23THRUST_200600_302600_NS6detail15normal_iteratorINS9_10device_ptrIfEEEENS9_16discard_iteratorINS9_11use_defaultEEEf11max_functorIfEfEEDaPvRmT3_T4_T5_mT6_P12ihipStream_tbENKUlT_T0_E_clISt17integral_constantIbLb1EESW_IbLb0EEEEDaSS_ST_EUlSS_E0_NS1_11comp_targetILNS1_3genE10ELNS1_11target_archE1200ELNS1_3gpuE4ELNS1_3repE0EEENS1_30default_config_static_selectorELNS0_4arch9wavefront6targetE1EEEvT1_, .Lfunc_end3257-_ZN7rocprim17ROCPRIM_400000_NS6detail17trampoline_kernelINS0_14default_configENS1_20scan_config_selectorIfEEZZNS1_9scan_implILNS1_25lookback_scan_determinismE0ELb1ELb1ES3_N6thrust23THRUST_200600_302600_NS6detail15normal_iteratorINS9_10device_ptrIfEEEENS9_16discard_iteratorINS9_11use_defaultEEEf11max_functorIfEfEEDaPvRmT3_T4_T5_mT6_P12ihipStream_tbENKUlT_T0_E_clISt17integral_constantIbLb1EESW_IbLb0EEEEDaSS_ST_EUlSS_E0_NS1_11comp_targetILNS1_3genE10ELNS1_11target_archE1200ELNS1_3gpuE4ELNS1_3repE0EEENS1_30default_config_static_selectorELNS0_4arch9wavefront6targetE1EEEvT1_
                                        ; -- End function
	.section	.AMDGPU.csdata,"",@progbits
; Kernel info:
; codeLenInByte = 0
; NumSgprs: 4
; NumVgprs: 0
; NumAgprs: 0
; TotalNumVgprs: 0
; ScratchSize: 0
; MemoryBound: 0
; FloatMode: 240
; IeeeMode: 1
; LDSByteSize: 0 bytes/workgroup (compile time only)
; SGPRBlocks: 0
; VGPRBlocks: 0
; NumSGPRsForWavesPerEU: 4
; NumVGPRsForWavesPerEU: 1
; AccumOffset: 4
; Occupancy: 8
; WaveLimiterHint : 0
; COMPUTE_PGM_RSRC2:SCRATCH_EN: 0
; COMPUTE_PGM_RSRC2:USER_SGPR: 6
; COMPUTE_PGM_RSRC2:TRAP_HANDLER: 0
; COMPUTE_PGM_RSRC2:TGID_X_EN: 1
; COMPUTE_PGM_RSRC2:TGID_Y_EN: 0
; COMPUTE_PGM_RSRC2:TGID_Z_EN: 0
; COMPUTE_PGM_RSRC2:TIDIG_COMP_CNT: 0
; COMPUTE_PGM_RSRC3_GFX90A:ACCUM_OFFSET: 0
; COMPUTE_PGM_RSRC3_GFX90A:TG_SPLIT: 0
	.section	.text._ZN7rocprim17ROCPRIM_400000_NS6detail17trampoline_kernelINS0_14default_configENS1_20scan_config_selectorIfEEZZNS1_9scan_implILNS1_25lookback_scan_determinismE0ELb1ELb1ES3_N6thrust23THRUST_200600_302600_NS6detail15normal_iteratorINS9_10device_ptrIfEEEENS9_16discard_iteratorINS9_11use_defaultEEEf11max_functorIfEfEEDaPvRmT3_T4_T5_mT6_P12ihipStream_tbENKUlT_T0_E_clISt17integral_constantIbLb1EESW_IbLb0EEEEDaSS_ST_EUlSS_E0_NS1_11comp_targetILNS1_3genE9ELNS1_11target_archE1100ELNS1_3gpuE3ELNS1_3repE0EEENS1_30default_config_static_selectorELNS0_4arch9wavefront6targetE1EEEvT1_,"axG",@progbits,_ZN7rocprim17ROCPRIM_400000_NS6detail17trampoline_kernelINS0_14default_configENS1_20scan_config_selectorIfEEZZNS1_9scan_implILNS1_25lookback_scan_determinismE0ELb1ELb1ES3_N6thrust23THRUST_200600_302600_NS6detail15normal_iteratorINS9_10device_ptrIfEEEENS9_16discard_iteratorINS9_11use_defaultEEEf11max_functorIfEfEEDaPvRmT3_T4_T5_mT6_P12ihipStream_tbENKUlT_T0_E_clISt17integral_constantIbLb1EESW_IbLb0EEEEDaSS_ST_EUlSS_E0_NS1_11comp_targetILNS1_3genE9ELNS1_11target_archE1100ELNS1_3gpuE3ELNS1_3repE0EEENS1_30default_config_static_selectorELNS0_4arch9wavefront6targetE1EEEvT1_,comdat
	.protected	_ZN7rocprim17ROCPRIM_400000_NS6detail17trampoline_kernelINS0_14default_configENS1_20scan_config_selectorIfEEZZNS1_9scan_implILNS1_25lookback_scan_determinismE0ELb1ELb1ES3_N6thrust23THRUST_200600_302600_NS6detail15normal_iteratorINS9_10device_ptrIfEEEENS9_16discard_iteratorINS9_11use_defaultEEEf11max_functorIfEfEEDaPvRmT3_T4_T5_mT6_P12ihipStream_tbENKUlT_T0_E_clISt17integral_constantIbLb1EESW_IbLb0EEEEDaSS_ST_EUlSS_E0_NS1_11comp_targetILNS1_3genE9ELNS1_11target_archE1100ELNS1_3gpuE3ELNS1_3repE0EEENS1_30default_config_static_selectorELNS0_4arch9wavefront6targetE1EEEvT1_ ; -- Begin function _ZN7rocprim17ROCPRIM_400000_NS6detail17trampoline_kernelINS0_14default_configENS1_20scan_config_selectorIfEEZZNS1_9scan_implILNS1_25lookback_scan_determinismE0ELb1ELb1ES3_N6thrust23THRUST_200600_302600_NS6detail15normal_iteratorINS9_10device_ptrIfEEEENS9_16discard_iteratorINS9_11use_defaultEEEf11max_functorIfEfEEDaPvRmT3_T4_T5_mT6_P12ihipStream_tbENKUlT_T0_E_clISt17integral_constantIbLb1EESW_IbLb0EEEEDaSS_ST_EUlSS_E0_NS1_11comp_targetILNS1_3genE9ELNS1_11target_archE1100ELNS1_3gpuE3ELNS1_3repE0EEENS1_30default_config_static_selectorELNS0_4arch9wavefront6targetE1EEEvT1_
	.globl	_ZN7rocprim17ROCPRIM_400000_NS6detail17trampoline_kernelINS0_14default_configENS1_20scan_config_selectorIfEEZZNS1_9scan_implILNS1_25lookback_scan_determinismE0ELb1ELb1ES3_N6thrust23THRUST_200600_302600_NS6detail15normal_iteratorINS9_10device_ptrIfEEEENS9_16discard_iteratorINS9_11use_defaultEEEf11max_functorIfEfEEDaPvRmT3_T4_T5_mT6_P12ihipStream_tbENKUlT_T0_E_clISt17integral_constantIbLb1EESW_IbLb0EEEEDaSS_ST_EUlSS_E0_NS1_11comp_targetILNS1_3genE9ELNS1_11target_archE1100ELNS1_3gpuE3ELNS1_3repE0EEENS1_30default_config_static_selectorELNS0_4arch9wavefront6targetE1EEEvT1_
	.p2align	8
	.type	_ZN7rocprim17ROCPRIM_400000_NS6detail17trampoline_kernelINS0_14default_configENS1_20scan_config_selectorIfEEZZNS1_9scan_implILNS1_25lookback_scan_determinismE0ELb1ELb1ES3_N6thrust23THRUST_200600_302600_NS6detail15normal_iteratorINS9_10device_ptrIfEEEENS9_16discard_iteratorINS9_11use_defaultEEEf11max_functorIfEfEEDaPvRmT3_T4_T5_mT6_P12ihipStream_tbENKUlT_T0_E_clISt17integral_constantIbLb1EESW_IbLb0EEEEDaSS_ST_EUlSS_E0_NS1_11comp_targetILNS1_3genE9ELNS1_11target_archE1100ELNS1_3gpuE3ELNS1_3repE0EEENS1_30default_config_static_selectorELNS0_4arch9wavefront6targetE1EEEvT1_,@function
_ZN7rocprim17ROCPRIM_400000_NS6detail17trampoline_kernelINS0_14default_configENS1_20scan_config_selectorIfEEZZNS1_9scan_implILNS1_25lookback_scan_determinismE0ELb1ELb1ES3_N6thrust23THRUST_200600_302600_NS6detail15normal_iteratorINS9_10device_ptrIfEEEENS9_16discard_iteratorINS9_11use_defaultEEEf11max_functorIfEfEEDaPvRmT3_T4_T5_mT6_P12ihipStream_tbENKUlT_T0_E_clISt17integral_constantIbLb1EESW_IbLb0EEEEDaSS_ST_EUlSS_E0_NS1_11comp_targetILNS1_3genE9ELNS1_11target_archE1100ELNS1_3gpuE3ELNS1_3repE0EEENS1_30default_config_static_selectorELNS0_4arch9wavefront6targetE1EEEvT1_: ; @_ZN7rocprim17ROCPRIM_400000_NS6detail17trampoline_kernelINS0_14default_configENS1_20scan_config_selectorIfEEZZNS1_9scan_implILNS1_25lookback_scan_determinismE0ELb1ELb1ES3_N6thrust23THRUST_200600_302600_NS6detail15normal_iteratorINS9_10device_ptrIfEEEENS9_16discard_iteratorINS9_11use_defaultEEEf11max_functorIfEfEEDaPvRmT3_T4_T5_mT6_P12ihipStream_tbENKUlT_T0_E_clISt17integral_constantIbLb1EESW_IbLb0EEEEDaSS_ST_EUlSS_E0_NS1_11comp_targetILNS1_3genE9ELNS1_11target_archE1100ELNS1_3gpuE3ELNS1_3repE0EEENS1_30default_config_static_selectorELNS0_4arch9wavefront6targetE1EEEvT1_
; %bb.0:
	.section	.rodata,"a",@progbits
	.p2align	6, 0x0
	.amdhsa_kernel _ZN7rocprim17ROCPRIM_400000_NS6detail17trampoline_kernelINS0_14default_configENS1_20scan_config_selectorIfEEZZNS1_9scan_implILNS1_25lookback_scan_determinismE0ELb1ELb1ES3_N6thrust23THRUST_200600_302600_NS6detail15normal_iteratorINS9_10device_ptrIfEEEENS9_16discard_iteratorINS9_11use_defaultEEEf11max_functorIfEfEEDaPvRmT3_T4_T5_mT6_P12ihipStream_tbENKUlT_T0_E_clISt17integral_constantIbLb1EESW_IbLb0EEEEDaSS_ST_EUlSS_E0_NS1_11comp_targetILNS1_3genE9ELNS1_11target_archE1100ELNS1_3gpuE3ELNS1_3repE0EEENS1_30default_config_static_selectorELNS0_4arch9wavefront6targetE1EEEvT1_
		.amdhsa_group_segment_fixed_size 0
		.amdhsa_private_segment_fixed_size 0
		.amdhsa_kernarg_size 40
		.amdhsa_user_sgpr_count 6
		.amdhsa_user_sgpr_private_segment_buffer 1
		.amdhsa_user_sgpr_dispatch_ptr 0
		.amdhsa_user_sgpr_queue_ptr 0
		.amdhsa_user_sgpr_kernarg_segment_ptr 1
		.amdhsa_user_sgpr_dispatch_id 0
		.amdhsa_user_sgpr_flat_scratch_init 0
		.amdhsa_user_sgpr_kernarg_preload_length 0
		.amdhsa_user_sgpr_kernarg_preload_offset 0
		.amdhsa_user_sgpr_private_segment_size 0
		.amdhsa_uses_dynamic_stack 0
		.amdhsa_system_sgpr_private_segment_wavefront_offset 0
		.amdhsa_system_sgpr_workgroup_id_x 1
		.amdhsa_system_sgpr_workgroup_id_y 0
		.amdhsa_system_sgpr_workgroup_id_z 0
		.amdhsa_system_sgpr_workgroup_info 0
		.amdhsa_system_vgpr_workitem_id 0
		.amdhsa_next_free_vgpr 1
		.amdhsa_next_free_sgpr 0
		.amdhsa_accum_offset 4
		.amdhsa_reserve_vcc 0
		.amdhsa_reserve_flat_scratch 0
		.amdhsa_float_round_mode_32 0
		.amdhsa_float_round_mode_16_64 0
		.amdhsa_float_denorm_mode_32 3
		.amdhsa_float_denorm_mode_16_64 3
		.amdhsa_dx10_clamp 1
		.amdhsa_ieee_mode 1
		.amdhsa_fp16_overflow 0
		.amdhsa_tg_split 0
		.amdhsa_exception_fp_ieee_invalid_op 0
		.amdhsa_exception_fp_denorm_src 0
		.amdhsa_exception_fp_ieee_div_zero 0
		.amdhsa_exception_fp_ieee_overflow 0
		.amdhsa_exception_fp_ieee_underflow 0
		.amdhsa_exception_fp_ieee_inexact 0
		.amdhsa_exception_int_div_zero 0
	.end_amdhsa_kernel
	.section	.text._ZN7rocprim17ROCPRIM_400000_NS6detail17trampoline_kernelINS0_14default_configENS1_20scan_config_selectorIfEEZZNS1_9scan_implILNS1_25lookback_scan_determinismE0ELb1ELb1ES3_N6thrust23THRUST_200600_302600_NS6detail15normal_iteratorINS9_10device_ptrIfEEEENS9_16discard_iteratorINS9_11use_defaultEEEf11max_functorIfEfEEDaPvRmT3_T4_T5_mT6_P12ihipStream_tbENKUlT_T0_E_clISt17integral_constantIbLb1EESW_IbLb0EEEEDaSS_ST_EUlSS_E0_NS1_11comp_targetILNS1_3genE9ELNS1_11target_archE1100ELNS1_3gpuE3ELNS1_3repE0EEENS1_30default_config_static_selectorELNS0_4arch9wavefront6targetE1EEEvT1_,"axG",@progbits,_ZN7rocprim17ROCPRIM_400000_NS6detail17trampoline_kernelINS0_14default_configENS1_20scan_config_selectorIfEEZZNS1_9scan_implILNS1_25lookback_scan_determinismE0ELb1ELb1ES3_N6thrust23THRUST_200600_302600_NS6detail15normal_iteratorINS9_10device_ptrIfEEEENS9_16discard_iteratorINS9_11use_defaultEEEf11max_functorIfEfEEDaPvRmT3_T4_T5_mT6_P12ihipStream_tbENKUlT_T0_E_clISt17integral_constantIbLb1EESW_IbLb0EEEEDaSS_ST_EUlSS_E0_NS1_11comp_targetILNS1_3genE9ELNS1_11target_archE1100ELNS1_3gpuE3ELNS1_3repE0EEENS1_30default_config_static_selectorELNS0_4arch9wavefront6targetE1EEEvT1_,comdat
.Lfunc_end3258:
	.size	_ZN7rocprim17ROCPRIM_400000_NS6detail17trampoline_kernelINS0_14default_configENS1_20scan_config_selectorIfEEZZNS1_9scan_implILNS1_25lookback_scan_determinismE0ELb1ELb1ES3_N6thrust23THRUST_200600_302600_NS6detail15normal_iteratorINS9_10device_ptrIfEEEENS9_16discard_iteratorINS9_11use_defaultEEEf11max_functorIfEfEEDaPvRmT3_T4_T5_mT6_P12ihipStream_tbENKUlT_T0_E_clISt17integral_constantIbLb1EESW_IbLb0EEEEDaSS_ST_EUlSS_E0_NS1_11comp_targetILNS1_3genE9ELNS1_11target_archE1100ELNS1_3gpuE3ELNS1_3repE0EEENS1_30default_config_static_selectorELNS0_4arch9wavefront6targetE1EEEvT1_, .Lfunc_end3258-_ZN7rocprim17ROCPRIM_400000_NS6detail17trampoline_kernelINS0_14default_configENS1_20scan_config_selectorIfEEZZNS1_9scan_implILNS1_25lookback_scan_determinismE0ELb1ELb1ES3_N6thrust23THRUST_200600_302600_NS6detail15normal_iteratorINS9_10device_ptrIfEEEENS9_16discard_iteratorINS9_11use_defaultEEEf11max_functorIfEfEEDaPvRmT3_T4_T5_mT6_P12ihipStream_tbENKUlT_T0_E_clISt17integral_constantIbLb1EESW_IbLb0EEEEDaSS_ST_EUlSS_E0_NS1_11comp_targetILNS1_3genE9ELNS1_11target_archE1100ELNS1_3gpuE3ELNS1_3repE0EEENS1_30default_config_static_selectorELNS0_4arch9wavefront6targetE1EEEvT1_
                                        ; -- End function
	.section	.AMDGPU.csdata,"",@progbits
; Kernel info:
; codeLenInByte = 0
; NumSgprs: 4
; NumVgprs: 0
; NumAgprs: 0
; TotalNumVgprs: 0
; ScratchSize: 0
; MemoryBound: 0
; FloatMode: 240
; IeeeMode: 1
; LDSByteSize: 0 bytes/workgroup (compile time only)
; SGPRBlocks: 0
; VGPRBlocks: 0
; NumSGPRsForWavesPerEU: 4
; NumVGPRsForWavesPerEU: 1
; AccumOffset: 4
; Occupancy: 8
; WaveLimiterHint : 0
; COMPUTE_PGM_RSRC2:SCRATCH_EN: 0
; COMPUTE_PGM_RSRC2:USER_SGPR: 6
; COMPUTE_PGM_RSRC2:TRAP_HANDLER: 0
; COMPUTE_PGM_RSRC2:TGID_X_EN: 1
; COMPUTE_PGM_RSRC2:TGID_Y_EN: 0
; COMPUTE_PGM_RSRC2:TGID_Z_EN: 0
; COMPUTE_PGM_RSRC2:TIDIG_COMP_CNT: 0
; COMPUTE_PGM_RSRC3_GFX90A:ACCUM_OFFSET: 0
; COMPUTE_PGM_RSRC3_GFX90A:TG_SPLIT: 0
	.section	.text._ZN7rocprim17ROCPRIM_400000_NS6detail17trampoline_kernelINS0_14default_configENS1_20scan_config_selectorIfEEZZNS1_9scan_implILNS1_25lookback_scan_determinismE0ELb1ELb1ES3_N6thrust23THRUST_200600_302600_NS6detail15normal_iteratorINS9_10device_ptrIfEEEENS9_16discard_iteratorINS9_11use_defaultEEEf11max_functorIfEfEEDaPvRmT3_T4_T5_mT6_P12ihipStream_tbENKUlT_T0_E_clISt17integral_constantIbLb1EESW_IbLb0EEEEDaSS_ST_EUlSS_E0_NS1_11comp_targetILNS1_3genE8ELNS1_11target_archE1030ELNS1_3gpuE2ELNS1_3repE0EEENS1_30default_config_static_selectorELNS0_4arch9wavefront6targetE1EEEvT1_,"axG",@progbits,_ZN7rocprim17ROCPRIM_400000_NS6detail17trampoline_kernelINS0_14default_configENS1_20scan_config_selectorIfEEZZNS1_9scan_implILNS1_25lookback_scan_determinismE0ELb1ELb1ES3_N6thrust23THRUST_200600_302600_NS6detail15normal_iteratorINS9_10device_ptrIfEEEENS9_16discard_iteratorINS9_11use_defaultEEEf11max_functorIfEfEEDaPvRmT3_T4_T5_mT6_P12ihipStream_tbENKUlT_T0_E_clISt17integral_constantIbLb1EESW_IbLb0EEEEDaSS_ST_EUlSS_E0_NS1_11comp_targetILNS1_3genE8ELNS1_11target_archE1030ELNS1_3gpuE2ELNS1_3repE0EEENS1_30default_config_static_selectorELNS0_4arch9wavefront6targetE1EEEvT1_,comdat
	.protected	_ZN7rocprim17ROCPRIM_400000_NS6detail17trampoline_kernelINS0_14default_configENS1_20scan_config_selectorIfEEZZNS1_9scan_implILNS1_25lookback_scan_determinismE0ELb1ELb1ES3_N6thrust23THRUST_200600_302600_NS6detail15normal_iteratorINS9_10device_ptrIfEEEENS9_16discard_iteratorINS9_11use_defaultEEEf11max_functorIfEfEEDaPvRmT3_T4_T5_mT6_P12ihipStream_tbENKUlT_T0_E_clISt17integral_constantIbLb1EESW_IbLb0EEEEDaSS_ST_EUlSS_E0_NS1_11comp_targetILNS1_3genE8ELNS1_11target_archE1030ELNS1_3gpuE2ELNS1_3repE0EEENS1_30default_config_static_selectorELNS0_4arch9wavefront6targetE1EEEvT1_ ; -- Begin function _ZN7rocprim17ROCPRIM_400000_NS6detail17trampoline_kernelINS0_14default_configENS1_20scan_config_selectorIfEEZZNS1_9scan_implILNS1_25lookback_scan_determinismE0ELb1ELb1ES3_N6thrust23THRUST_200600_302600_NS6detail15normal_iteratorINS9_10device_ptrIfEEEENS9_16discard_iteratorINS9_11use_defaultEEEf11max_functorIfEfEEDaPvRmT3_T4_T5_mT6_P12ihipStream_tbENKUlT_T0_E_clISt17integral_constantIbLb1EESW_IbLb0EEEEDaSS_ST_EUlSS_E0_NS1_11comp_targetILNS1_3genE8ELNS1_11target_archE1030ELNS1_3gpuE2ELNS1_3repE0EEENS1_30default_config_static_selectorELNS0_4arch9wavefront6targetE1EEEvT1_
	.globl	_ZN7rocprim17ROCPRIM_400000_NS6detail17trampoline_kernelINS0_14default_configENS1_20scan_config_selectorIfEEZZNS1_9scan_implILNS1_25lookback_scan_determinismE0ELb1ELb1ES3_N6thrust23THRUST_200600_302600_NS6detail15normal_iteratorINS9_10device_ptrIfEEEENS9_16discard_iteratorINS9_11use_defaultEEEf11max_functorIfEfEEDaPvRmT3_T4_T5_mT6_P12ihipStream_tbENKUlT_T0_E_clISt17integral_constantIbLb1EESW_IbLb0EEEEDaSS_ST_EUlSS_E0_NS1_11comp_targetILNS1_3genE8ELNS1_11target_archE1030ELNS1_3gpuE2ELNS1_3repE0EEENS1_30default_config_static_selectorELNS0_4arch9wavefront6targetE1EEEvT1_
	.p2align	8
	.type	_ZN7rocprim17ROCPRIM_400000_NS6detail17trampoline_kernelINS0_14default_configENS1_20scan_config_selectorIfEEZZNS1_9scan_implILNS1_25lookback_scan_determinismE0ELb1ELb1ES3_N6thrust23THRUST_200600_302600_NS6detail15normal_iteratorINS9_10device_ptrIfEEEENS9_16discard_iteratorINS9_11use_defaultEEEf11max_functorIfEfEEDaPvRmT3_T4_T5_mT6_P12ihipStream_tbENKUlT_T0_E_clISt17integral_constantIbLb1EESW_IbLb0EEEEDaSS_ST_EUlSS_E0_NS1_11comp_targetILNS1_3genE8ELNS1_11target_archE1030ELNS1_3gpuE2ELNS1_3repE0EEENS1_30default_config_static_selectorELNS0_4arch9wavefront6targetE1EEEvT1_,@function
_ZN7rocprim17ROCPRIM_400000_NS6detail17trampoline_kernelINS0_14default_configENS1_20scan_config_selectorIfEEZZNS1_9scan_implILNS1_25lookback_scan_determinismE0ELb1ELb1ES3_N6thrust23THRUST_200600_302600_NS6detail15normal_iteratorINS9_10device_ptrIfEEEENS9_16discard_iteratorINS9_11use_defaultEEEf11max_functorIfEfEEDaPvRmT3_T4_T5_mT6_P12ihipStream_tbENKUlT_T0_E_clISt17integral_constantIbLb1EESW_IbLb0EEEEDaSS_ST_EUlSS_E0_NS1_11comp_targetILNS1_3genE8ELNS1_11target_archE1030ELNS1_3gpuE2ELNS1_3repE0EEENS1_30default_config_static_selectorELNS0_4arch9wavefront6targetE1EEEvT1_: ; @_ZN7rocprim17ROCPRIM_400000_NS6detail17trampoline_kernelINS0_14default_configENS1_20scan_config_selectorIfEEZZNS1_9scan_implILNS1_25lookback_scan_determinismE0ELb1ELb1ES3_N6thrust23THRUST_200600_302600_NS6detail15normal_iteratorINS9_10device_ptrIfEEEENS9_16discard_iteratorINS9_11use_defaultEEEf11max_functorIfEfEEDaPvRmT3_T4_T5_mT6_P12ihipStream_tbENKUlT_T0_E_clISt17integral_constantIbLb1EESW_IbLb0EEEEDaSS_ST_EUlSS_E0_NS1_11comp_targetILNS1_3genE8ELNS1_11target_archE1030ELNS1_3gpuE2ELNS1_3repE0EEENS1_30default_config_static_selectorELNS0_4arch9wavefront6targetE1EEEvT1_
; %bb.0:
	.section	.rodata,"a",@progbits
	.p2align	6, 0x0
	.amdhsa_kernel _ZN7rocprim17ROCPRIM_400000_NS6detail17trampoline_kernelINS0_14default_configENS1_20scan_config_selectorIfEEZZNS1_9scan_implILNS1_25lookback_scan_determinismE0ELb1ELb1ES3_N6thrust23THRUST_200600_302600_NS6detail15normal_iteratorINS9_10device_ptrIfEEEENS9_16discard_iteratorINS9_11use_defaultEEEf11max_functorIfEfEEDaPvRmT3_T4_T5_mT6_P12ihipStream_tbENKUlT_T0_E_clISt17integral_constantIbLb1EESW_IbLb0EEEEDaSS_ST_EUlSS_E0_NS1_11comp_targetILNS1_3genE8ELNS1_11target_archE1030ELNS1_3gpuE2ELNS1_3repE0EEENS1_30default_config_static_selectorELNS0_4arch9wavefront6targetE1EEEvT1_
		.amdhsa_group_segment_fixed_size 0
		.amdhsa_private_segment_fixed_size 0
		.amdhsa_kernarg_size 40
		.amdhsa_user_sgpr_count 6
		.amdhsa_user_sgpr_private_segment_buffer 1
		.amdhsa_user_sgpr_dispatch_ptr 0
		.amdhsa_user_sgpr_queue_ptr 0
		.amdhsa_user_sgpr_kernarg_segment_ptr 1
		.amdhsa_user_sgpr_dispatch_id 0
		.amdhsa_user_sgpr_flat_scratch_init 0
		.amdhsa_user_sgpr_kernarg_preload_length 0
		.amdhsa_user_sgpr_kernarg_preload_offset 0
		.amdhsa_user_sgpr_private_segment_size 0
		.amdhsa_uses_dynamic_stack 0
		.amdhsa_system_sgpr_private_segment_wavefront_offset 0
		.amdhsa_system_sgpr_workgroup_id_x 1
		.amdhsa_system_sgpr_workgroup_id_y 0
		.amdhsa_system_sgpr_workgroup_id_z 0
		.amdhsa_system_sgpr_workgroup_info 0
		.amdhsa_system_vgpr_workitem_id 0
		.amdhsa_next_free_vgpr 1
		.amdhsa_next_free_sgpr 0
		.amdhsa_accum_offset 4
		.amdhsa_reserve_vcc 0
		.amdhsa_reserve_flat_scratch 0
		.amdhsa_float_round_mode_32 0
		.amdhsa_float_round_mode_16_64 0
		.amdhsa_float_denorm_mode_32 3
		.amdhsa_float_denorm_mode_16_64 3
		.amdhsa_dx10_clamp 1
		.amdhsa_ieee_mode 1
		.amdhsa_fp16_overflow 0
		.amdhsa_tg_split 0
		.amdhsa_exception_fp_ieee_invalid_op 0
		.amdhsa_exception_fp_denorm_src 0
		.amdhsa_exception_fp_ieee_div_zero 0
		.amdhsa_exception_fp_ieee_overflow 0
		.amdhsa_exception_fp_ieee_underflow 0
		.amdhsa_exception_fp_ieee_inexact 0
		.amdhsa_exception_int_div_zero 0
	.end_amdhsa_kernel
	.section	.text._ZN7rocprim17ROCPRIM_400000_NS6detail17trampoline_kernelINS0_14default_configENS1_20scan_config_selectorIfEEZZNS1_9scan_implILNS1_25lookback_scan_determinismE0ELb1ELb1ES3_N6thrust23THRUST_200600_302600_NS6detail15normal_iteratorINS9_10device_ptrIfEEEENS9_16discard_iteratorINS9_11use_defaultEEEf11max_functorIfEfEEDaPvRmT3_T4_T5_mT6_P12ihipStream_tbENKUlT_T0_E_clISt17integral_constantIbLb1EESW_IbLb0EEEEDaSS_ST_EUlSS_E0_NS1_11comp_targetILNS1_3genE8ELNS1_11target_archE1030ELNS1_3gpuE2ELNS1_3repE0EEENS1_30default_config_static_selectorELNS0_4arch9wavefront6targetE1EEEvT1_,"axG",@progbits,_ZN7rocprim17ROCPRIM_400000_NS6detail17trampoline_kernelINS0_14default_configENS1_20scan_config_selectorIfEEZZNS1_9scan_implILNS1_25lookback_scan_determinismE0ELb1ELb1ES3_N6thrust23THRUST_200600_302600_NS6detail15normal_iteratorINS9_10device_ptrIfEEEENS9_16discard_iteratorINS9_11use_defaultEEEf11max_functorIfEfEEDaPvRmT3_T4_T5_mT6_P12ihipStream_tbENKUlT_T0_E_clISt17integral_constantIbLb1EESW_IbLb0EEEEDaSS_ST_EUlSS_E0_NS1_11comp_targetILNS1_3genE8ELNS1_11target_archE1030ELNS1_3gpuE2ELNS1_3repE0EEENS1_30default_config_static_selectorELNS0_4arch9wavefront6targetE1EEEvT1_,comdat
.Lfunc_end3259:
	.size	_ZN7rocprim17ROCPRIM_400000_NS6detail17trampoline_kernelINS0_14default_configENS1_20scan_config_selectorIfEEZZNS1_9scan_implILNS1_25lookback_scan_determinismE0ELb1ELb1ES3_N6thrust23THRUST_200600_302600_NS6detail15normal_iteratorINS9_10device_ptrIfEEEENS9_16discard_iteratorINS9_11use_defaultEEEf11max_functorIfEfEEDaPvRmT3_T4_T5_mT6_P12ihipStream_tbENKUlT_T0_E_clISt17integral_constantIbLb1EESW_IbLb0EEEEDaSS_ST_EUlSS_E0_NS1_11comp_targetILNS1_3genE8ELNS1_11target_archE1030ELNS1_3gpuE2ELNS1_3repE0EEENS1_30default_config_static_selectorELNS0_4arch9wavefront6targetE1EEEvT1_, .Lfunc_end3259-_ZN7rocprim17ROCPRIM_400000_NS6detail17trampoline_kernelINS0_14default_configENS1_20scan_config_selectorIfEEZZNS1_9scan_implILNS1_25lookback_scan_determinismE0ELb1ELb1ES3_N6thrust23THRUST_200600_302600_NS6detail15normal_iteratorINS9_10device_ptrIfEEEENS9_16discard_iteratorINS9_11use_defaultEEEf11max_functorIfEfEEDaPvRmT3_T4_T5_mT6_P12ihipStream_tbENKUlT_T0_E_clISt17integral_constantIbLb1EESW_IbLb0EEEEDaSS_ST_EUlSS_E0_NS1_11comp_targetILNS1_3genE8ELNS1_11target_archE1030ELNS1_3gpuE2ELNS1_3repE0EEENS1_30default_config_static_selectorELNS0_4arch9wavefront6targetE1EEEvT1_
                                        ; -- End function
	.section	.AMDGPU.csdata,"",@progbits
; Kernel info:
; codeLenInByte = 0
; NumSgprs: 4
; NumVgprs: 0
; NumAgprs: 0
; TotalNumVgprs: 0
; ScratchSize: 0
; MemoryBound: 0
; FloatMode: 240
; IeeeMode: 1
; LDSByteSize: 0 bytes/workgroup (compile time only)
; SGPRBlocks: 0
; VGPRBlocks: 0
; NumSGPRsForWavesPerEU: 4
; NumVGPRsForWavesPerEU: 1
; AccumOffset: 4
; Occupancy: 8
; WaveLimiterHint : 0
; COMPUTE_PGM_RSRC2:SCRATCH_EN: 0
; COMPUTE_PGM_RSRC2:USER_SGPR: 6
; COMPUTE_PGM_RSRC2:TRAP_HANDLER: 0
; COMPUTE_PGM_RSRC2:TGID_X_EN: 1
; COMPUTE_PGM_RSRC2:TGID_Y_EN: 0
; COMPUTE_PGM_RSRC2:TGID_Z_EN: 0
; COMPUTE_PGM_RSRC2:TIDIG_COMP_CNT: 0
; COMPUTE_PGM_RSRC3_GFX90A:ACCUM_OFFSET: 0
; COMPUTE_PGM_RSRC3_GFX90A:TG_SPLIT: 0
	.section	.text._ZN7rocprim17ROCPRIM_400000_NS6detail17trampoline_kernelINS0_14default_configENS1_20scan_config_selectorIfEEZZNS1_9scan_implILNS1_25lookback_scan_determinismE0ELb1ELb1ES3_N6thrust23THRUST_200600_302600_NS6detail15normal_iteratorINS9_10device_ptrIfEEEENS9_16discard_iteratorINS9_11use_defaultEEEf11max_functorIfEfEEDaPvRmT3_T4_T5_mT6_P12ihipStream_tbENKUlT_T0_E_clISt17integral_constantIbLb0EESW_IbLb1EEEEDaSS_ST_EUlSS_E_NS1_11comp_targetILNS1_3genE0ELNS1_11target_archE4294967295ELNS1_3gpuE0ELNS1_3repE0EEENS1_30default_config_static_selectorELNS0_4arch9wavefront6targetE1EEEvT1_,"axG",@progbits,_ZN7rocprim17ROCPRIM_400000_NS6detail17trampoline_kernelINS0_14default_configENS1_20scan_config_selectorIfEEZZNS1_9scan_implILNS1_25lookback_scan_determinismE0ELb1ELb1ES3_N6thrust23THRUST_200600_302600_NS6detail15normal_iteratorINS9_10device_ptrIfEEEENS9_16discard_iteratorINS9_11use_defaultEEEf11max_functorIfEfEEDaPvRmT3_T4_T5_mT6_P12ihipStream_tbENKUlT_T0_E_clISt17integral_constantIbLb0EESW_IbLb1EEEEDaSS_ST_EUlSS_E_NS1_11comp_targetILNS1_3genE0ELNS1_11target_archE4294967295ELNS1_3gpuE0ELNS1_3repE0EEENS1_30default_config_static_selectorELNS0_4arch9wavefront6targetE1EEEvT1_,comdat
	.protected	_ZN7rocprim17ROCPRIM_400000_NS6detail17trampoline_kernelINS0_14default_configENS1_20scan_config_selectorIfEEZZNS1_9scan_implILNS1_25lookback_scan_determinismE0ELb1ELb1ES3_N6thrust23THRUST_200600_302600_NS6detail15normal_iteratorINS9_10device_ptrIfEEEENS9_16discard_iteratorINS9_11use_defaultEEEf11max_functorIfEfEEDaPvRmT3_T4_T5_mT6_P12ihipStream_tbENKUlT_T0_E_clISt17integral_constantIbLb0EESW_IbLb1EEEEDaSS_ST_EUlSS_E_NS1_11comp_targetILNS1_3genE0ELNS1_11target_archE4294967295ELNS1_3gpuE0ELNS1_3repE0EEENS1_30default_config_static_selectorELNS0_4arch9wavefront6targetE1EEEvT1_ ; -- Begin function _ZN7rocprim17ROCPRIM_400000_NS6detail17trampoline_kernelINS0_14default_configENS1_20scan_config_selectorIfEEZZNS1_9scan_implILNS1_25lookback_scan_determinismE0ELb1ELb1ES3_N6thrust23THRUST_200600_302600_NS6detail15normal_iteratorINS9_10device_ptrIfEEEENS9_16discard_iteratorINS9_11use_defaultEEEf11max_functorIfEfEEDaPvRmT3_T4_T5_mT6_P12ihipStream_tbENKUlT_T0_E_clISt17integral_constantIbLb0EESW_IbLb1EEEEDaSS_ST_EUlSS_E_NS1_11comp_targetILNS1_3genE0ELNS1_11target_archE4294967295ELNS1_3gpuE0ELNS1_3repE0EEENS1_30default_config_static_selectorELNS0_4arch9wavefront6targetE1EEEvT1_
	.globl	_ZN7rocprim17ROCPRIM_400000_NS6detail17trampoline_kernelINS0_14default_configENS1_20scan_config_selectorIfEEZZNS1_9scan_implILNS1_25lookback_scan_determinismE0ELb1ELb1ES3_N6thrust23THRUST_200600_302600_NS6detail15normal_iteratorINS9_10device_ptrIfEEEENS9_16discard_iteratorINS9_11use_defaultEEEf11max_functorIfEfEEDaPvRmT3_T4_T5_mT6_P12ihipStream_tbENKUlT_T0_E_clISt17integral_constantIbLb0EESW_IbLb1EEEEDaSS_ST_EUlSS_E_NS1_11comp_targetILNS1_3genE0ELNS1_11target_archE4294967295ELNS1_3gpuE0ELNS1_3repE0EEENS1_30default_config_static_selectorELNS0_4arch9wavefront6targetE1EEEvT1_
	.p2align	8
	.type	_ZN7rocprim17ROCPRIM_400000_NS6detail17trampoline_kernelINS0_14default_configENS1_20scan_config_selectorIfEEZZNS1_9scan_implILNS1_25lookback_scan_determinismE0ELb1ELb1ES3_N6thrust23THRUST_200600_302600_NS6detail15normal_iteratorINS9_10device_ptrIfEEEENS9_16discard_iteratorINS9_11use_defaultEEEf11max_functorIfEfEEDaPvRmT3_T4_T5_mT6_P12ihipStream_tbENKUlT_T0_E_clISt17integral_constantIbLb0EESW_IbLb1EEEEDaSS_ST_EUlSS_E_NS1_11comp_targetILNS1_3genE0ELNS1_11target_archE4294967295ELNS1_3gpuE0ELNS1_3repE0EEENS1_30default_config_static_selectorELNS0_4arch9wavefront6targetE1EEEvT1_,@function
_ZN7rocprim17ROCPRIM_400000_NS6detail17trampoline_kernelINS0_14default_configENS1_20scan_config_selectorIfEEZZNS1_9scan_implILNS1_25lookback_scan_determinismE0ELb1ELb1ES3_N6thrust23THRUST_200600_302600_NS6detail15normal_iteratorINS9_10device_ptrIfEEEENS9_16discard_iteratorINS9_11use_defaultEEEf11max_functorIfEfEEDaPvRmT3_T4_T5_mT6_P12ihipStream_tbENKUlT_T0_E_clISt17integral_constantIbLb0EESW_IbLb1EEEEDaSS_ST_EUlSS_E_NS1_11comp_targetILNS1_3genE0ELNS1_11target_archE4294967295ELNS1_3gpuE0ELNS1_3repE0EEENS1_30default_config_static_selectorELNS0_4arch9wavefront6targetE1EEEvT1_: ; @_ZN7rocprim17ROCPRIM_400000_NS6detail17trampoline_kernelINS0_14default_configENS1_20scan_config_selectorIfEEZZNS1_9scan_implILNS1_25lookback_scan_determinismE0ELb1ELb1ES3_N6thrust23THRUST_200600_302600_NS6detail15normal_iteratorINS9_10device_ptrIfEEEENS9_16discard_iteratorINS9_11use_defaultEEEf11max_functorIfEfEEDaPvRmT3_T4_T5_mT6_P12ihipStream_tbENKUlT_T0_E_clISt17integral_constantIbLb0EESW_IbLb1EEEEDaSS_ST_EUlSS_E_NS1_11comp_targetILNS1_3genE0ELNS1_11target_archE4294967295ELNS1_3gpuE0ELNS1_3repE0EEENS1_30default_config_static_selectorELNS0_4arch9wavefront6targetE1EEEvT1_
; %bb.0:
	.section	.rodata,"a",@progbits
	.p2align	6, 0x0
	.amdhsa_kernel _ZN7rocprim17ROCPRIM_400000_NS6detail17trampoline_kernelINS0_14default_configENS1_20scan_config_selectorIfEEZZNS1_9scan_implILNS1_25lookback_scan_determinismE0ELb1ELb1ES3_N6thrust23THRUST_200600_302600_NS6detail15normal_iteratorINS9_10device_ptrIfEEEENS9_16discard_iteratorINS9_11use_defaultEEEf11max_functorIfEfEEDaPvRmT3_T4_T5_mT6_P12ihipStream_tbENKUlT_T0_E_clISt17integral_constantIbLb0EESW_IbLb1EEEEDaSS_ST_EUlSS_E_NS1_11comp_targetILNS1_3genE0ELNS1_11target_archE4294967295ELNS1_3gpuE0ELNS1_3repE0EEENS1_30default_config_static_selectorELNS0_4arch9wavefront6targetE1EEEvT1_
		.amdhsa_group_segment_fixed_size 0
		.amdhsa_private_segment_fixed_size 0
		.amdhsa_kernarg_size 104
		.amdhsa_user_sgpr_count 6
		.amdhsa_user_sgpr_private_segment_buffer 1
		.amdhsa_user_sgpr_dispatch_ptr 0
		.amdhsa_user_sgpr_queue_ptr 0
		.amdhsa_user_sgpr_kernarg_segment_ptr 1
		.amdhsa_user_sgpr_dispatch_id 0
		.amdhsa_user_sgpr_flat_scratch_init 0
		.amdhsa_user_sgpr_kernarg_preload_length 0
		.amdhsa_user_sgpr_kernarg_preload_offset 0
		.amdhsa_user_sgpr_private_segment_size 0
		.amdhsa_uses_dynamic_stack 0
		.amdhsa_system_sgpr_private_segment_wavefront_offset 0
		.amdhsa_system_sgpr_workgroup_id_x 1
		.amdhsa_system_sgpr_workgroup_id_y 0
		.amdhsa_system_sgpr_workgroup_id_z 0
		.amdhsa_system_sgpr_workgroup_info 0
		.amdhsa_system_vgpr_workitem_id 0
		.amdhsa_next_free_vgpr 1
		.amdhsa_next_free_sgpr 0
		.amdhsa_accum_offset 4
		.amdhsa_reserve_vcc 0
		.amdhsa_reserve_flat_scratch 0
		.amdhsa_float_round_mode_32 0
		.amdhsa_float_round_mode_16_64 0
		.amdhsa_float_denorm_mode_32 3
		.amdhsa_float_denorm_mode_16_64 3
		.amdhsa_dx10_clamp 1
		.amdhsa_ieee_mode 1
		.amdhsa_fp16_overflow 0
		.amdhsa_tg_split 0
		.amdhsa_exception_fp_ieee_invalid_op 0
		.amdhsa_exception_fp_denorm_src 0
		.amdhsa_exception_fp_ieee_div_zero 0
		.amdhsa_exception_fp_ieee_overflow 0
		.amdhsa_exception_fp_ieee_underflow 0
		.amdhsa_exception_fp_ieee_inexact 0
		.amdhsa_exception_int_div_zero 0
	.end_amdhsa_kernel
	.section	.text._ZN7rocprim17ROCPRIM_400000_NS6detail17trampoline_kernelINS0_14default_configENS1_20scan_config_selectorIfEEZZNS1_9scan_implILNS1_25lookback_scan_determinismE0ELb1ELb1ES3_N6thrust23THRUST_200600_302600_NS6detail15normal_iteratorINS9_10device_ptrIfEEEENS9_16discard_iteratorINS9_11use_defaultEEEf11max_functorIfEfEEDaPvRmT3_T4_T5_mT6_P12ihipStream_tbENKUlT_T0_E_clISt17integral_constantIbLb0EESW_IbLb1EEEEDaSS_ST_EUlSS_E_NS1_11comp_targetILNS1_3genE0ELNS1_11target_archE4294967295ELNS1_3gpuE0ELNS1_3repE0EEENS1_30default_config_static_selectorELNS0_4arch9wavefront6targetE1EEEvT1_,"axG",@progbits,_ZN7rocprim17ROCPRIM_400000_NS6detail17trampoline_kernelINS0_14default_configENS1_20scan_config_selectorIfEEZZNS1_9scan_implILNS1_25lookback_scan_determinismE0ELb1ELb1ES3_N6thrust23THRUST_200600_302600_NS6detail15normal_iteratorINS9_10device_ptrIfEEEENS9_16discard_iteratorINS9_11use_defaultEEEf11max_functorIfEfEEDaPvRmT3_T4_T5_mT6_P12ihipStream_tbENKUlT_T0_E_clISt17integral_constantIbLb0EESW_IbLb1EEEEDaSS_ST_EUlSS_E_NS1_11comp_targetILNS1_3genE0ELNS1_11target_archE4294967295ELNS1_3gpuE0ELNS1_3repE0EEENS1_30default_config_static_selectorELNS0_4arch9wavefront6targetE1EEEvT1_,comdat
.Lfunc_end3260:
	.size	_ZN7rocprim17ROCPRIM_400000_NS6detail17trampoline_kernelINS0_14default_configENS1_20scan_config_selectorIfEEZZNS1_9scan_implILNS1_25lookback_scan_determinismE0ELb1ELb1ES3_N6thrust23THRUST_200600_302600_NS6detail15normal_iteratorINS9_10device_ptrIfEEEENS9_16discard_iteratorINS9_11use_defaultEEEf11max_functorIfEfEEDaPvRmT3_T4_T5_mT6_P12ihipStream_tbENKUlT_T0_E_clISt17integral_constantIbLb0EESW_IbLb1EEEEDaSS_ST_EUlSS_E_NS1_11comp_targetILNS1_3genE0ELNS1_11target_archE4294967295ELNS1_3gpuE0ELNS1_3repE0EEENS1_30default_config_static_selectorELNS0_4arch9wavefront6targetE1EEEvT1_, .Lfunc_end3260-_ZN7rocprim17ROCPRIM_400000_NS6detail17trampoline_kernelINS0_14default_configENS1_20scan_config_selectorIfEEZZNS1_9scan_implILNS1_25lookback_scan_determinismE0ELb1ELb1ES3_N6thrust23THRUST_200600_302600_NS6detail15normal_iteratorINS9_10device_ptrIfEEEENS9_16discard_iteratorINS9_11use_defaultEEEf11max_functorIfEfEEDaPvRmT3_T4_T5_mT6_P12ihipStream_tbENKUlT_T0_E_clISt17integral_constantIbLb0EESW_IbLb1EEEEDaSS_ST_EUlSS_E_NS1_11comp_targetILNS1_3genE0ELNS1_11target_archE4294967295ELNS1_3gpuE0ELNS1_3repE0EEENS1_30default_config_static_selectorELNS0_4arch9wavefront6targetE1EEEvT1_
                                        ; -- End function
	.section	.AMDGPU.csdata,"",@progbits
; Kernel info:
; codeLenInByte = 0
; NumSgprs: 4
; NumVgprs: 0
; NumAgprs: 0
; TotalNumVgprs: 0
; ScratchSize: 0
; MemoryBound: 0
; FloatMode: 240
; IeeeMode: 1
; LDSByteSize: 0 bytes/workgroup (compile time only)
; SGPRBlocks: 0
; VGPRBlocks: 0
; NumSGPRsForWavesPerEU: 4
; NumVGPRsForWavesPerEU: 1
; AccumOffset: 4
; Occupancy: 8
; WaveLimiterHint : 0
; COMPUTE_PGM_RSRC2:SCRATCH_EN: 0
; COMPUTE_PGM_RSRC2:USER_SGPR: 6
; COMPUTE_PGM_RSRC2:TRAP_HANDLER: 0
; COMPUTE_PGM_RSRC2:TGID_X_EN: 1
; COMPUTE_PGM_RSRC2:TGID_Y_EN: 0
; COMPUTE_PGM_RSRC2:TGID_Z_EN: 0
; COMPUTE_PGM_RSRC2:TIDIG_COMP_CNT: 0
; COMPUTE_PGM_RSRC3_GFX90A:ACCUM_OFFSET: 0
; COMPUTE_PGM_RSRC3_GFX90A:TG_SPLIT: 0
	.section	.text._ZN7rocprim17ROCPRIM_400000_NS6detail17trampoline_kernelINS0_14default_configENS1_20scan_config_selectorIfEEZZNS1_9scan_implILNS1_25lookback_scan_determinismE0ELb1ELb1ES3_N6thrust23THRUST_200600_302600_NS6detail15normal_iteratorINS9_10device_ptrIfEEEENS9_16discard_iteratorINS9_11use_defaultEEEf11max_functorIfEfEEDaPvRmT3_T4_T5_mT6_P12ihipStream_tbENKUlT_T0_E_clISt17integral_constantIbLb0EESW_IbLb1EEEEDaSS_ST_EUlSS_E_NS1_11comp_targetILNS1_3genE5ELNS1_11target_archE942ELNS1_3gpuE9ELNS1_3repE0EEENS1_30default_config_static_selectorELNS0_4arch9wavefront6targetE1EEEvT1_,"axG",@progbits,_ZN7rocprim17ROCPRIM_400000_NS6detail17trampoline_kernelINS0_14default_configENS1_20scan_config_selectorIfEEZZNS1_9scan_implILNS1_25lookback_scan_determinismE0ELb1ELb1ES3_N6thrust23THRUST_200600_302600_NS6detail15normal_iteratorINS9_10device_ptrIfEEEENS9_16discard_iteratorINS9_11use_defaultEEEf11max_functorIfEfEEDaPvRmT3_T4_T5_mT6_P12ihipStream_tbENKUlT_T0_E_clISt17integral_constantIbLb0EESW_IbLb1EEEEDaSS_ST_EUlSS_E_NS1_11comp_targetILNS1_3genE5ELNS1_11target_archE942ELNS1_3gpuE9ELNS1_3repE0EEENS1_30default_config_static_selectorELNS0_4arch9wavefront6targetE1EEEvT1_,comdat
	.protected	_ZN7rocprim17ROCPRIM_400000_NS6detail17trampoline_kernelINS0_14default_configENS1_20scan_config_selectorIfEEZZNS1_9scan_implILNS1_25lookback_scan_determinismE0ELb1ELb1ES3_N6thrust23THRUST_200600_302600_NS6detail15normal_iteratorINS9_10device_ptrIfEEEENS9_16discard_iteratorINS9_11use_defaultEEEf11max_functorIfEfEEDaPvRmT3_T4_T5_mT6_P12ihipStream_tbENKUlT_T0_E_clISt17integral_constantIbLb0EESW_IbLb1EEEEDaSS_ST_EUlSS_E_NS1_11comp_targetILNS1_3genE5ELNS1_11target_archE942ELNS1_3gpuE9ELNS1_3repE0EEENS1_30default_config_static_selectorELNS0_4arch9wavefront6targetE1EEEvT1_ ; -- Begin function _ZN7rocprim17ROCPRIM_400000_NS6detail17trampoline_kernelINS0_14default_configENS1_20scan_config_selectorIfEEZZNS1_9scan_implILNS1_25lookback_scan_determinismE0ELb1ELb1ES3_N6thrust23THRUST_200600_302600_NS6detail15normal_iteratorINS9_10device_ptrIfEEEENS9_16discard_iteratorINS9_11use_defaultEEEf11max_functorIfEfEEDaPvRmT3_T4_T5_mT6_P12ihipStream_tbENKUlT_T0_E_clISt17integral_constantIbLb0EESW_IbLb1EEEEDaSS_ST_EUlSS_E_NS1_11comp_targetILNS1_3genE5ELNS1_11target_archE942ELNS1_3gpuE9ELNS1_3repE0EEENS1_30default_config_static_selectorELNS0_4arch9wavefront6targetE1EEEvT1_
	.globl	_ZN7rocprim17ROCPRIM_400000_NS6detail17trampoline_kernelINS0_14default_configENS1_20scan_config_selectorIfEEZZNS1_9scan_implILNS1_25lookback_scan_determinismE0ELb1ELb1ES3_N6thrust23THRUST_200600_302600_NS6detail15normal_iteratorINS9_10device_ptrIfEEEENS9_16discard_iteratorINS9_11use_defaultEEEf11max_functorIfEfEEDaPvRmT3_T4_T5_mT6_P12ihipStream_tbENKUlT_T0_E_clISt17integral_constantIbLb0EESW_IbLb1EEEEDaSS_ST_EUlSS_E_NS1_11comp_targetILNS1_3genE5ELNS1_11target_archE942ELNS1_3gpuE9ELNS1_3repE0EEENS1_30default_config_static_selectorELNS0_4arch9wavefront6targetE1EEEvT1_
	.p2align	8
	.type	_ZN7rocprim17ROCPRIM_400000_NS6detail17trampoline_kernelINS0_14default_configENS1_20scan_config_selectorIfEEZZNS1_9scan_implILNS1_25lookback_scan_determinismE0ELb1ELb1ES3_N6thrust23THRUST_200600_302600_NS6detail15normal_iteratorINS9_10device_ptrIfEEEENS9_16discard_iteratorINS9_11use_defaultEEEf11max_functorIfEfEEDaPvRmT3_T4_T5_mT6_P12ihipStream_tbENKUlT_T0_E_clISt17integral_constantIbLb0EESW_IbLb1EEEEDaSS_ST_EUlSS_E_NS1_11comp_targetILNS1_3genE5ELNS1_11target_archE942ELNS1_3gpuE9ELNS1_3repE0EEENS1_30default_config_static_selectorELNS0_4arch9wavefront6targetE1EEEvT1_,@function
_ZN7rocprim17ROCPRIM_400000_NS6detail17trampoline_kernelINS0_14default_configENS1_20scan_config_selectorIfEEZZNS1_9scan_implILNS1_25lookback_scan_determinismE0ELb1ELb1ES3_N6thrust23THRUST_200600_302600_NS6detail15normal_iteratorINS9_10device_ptrIfEEEENS9_16discard_iteratorINS9_11use_defaultEEEf11max_functorIfEfEEDaPvRmT3_T4_T5_mT6_P12ihipStream_tbENKUlT_T0_E_clISt17integral_constantIbLb0EESW_IbLb1EEEEDaSS_ST_EUlSS_E_NS1_11comp_targetILNS1_3genE5ELNS1_11target_archE942ELNS1_3gpuE9ELNS1_3repE0EEENS1_30default_config_static_selectorELNS0_4arch9wavefront6targetE1EEEvT1_: ; @_ZN7rocprim17ROCPRIM_400000_NS6detail17trampoline_kernelINS0_14default_configENS1_20scan_config_selectorIfEEZZNS1_9scan_implILNS1_25lookback_scan_determinismE0ELb1ELb1ES3_N6thrust23THRUST_200600_302600_NS6detail15normal_iteratorINS9_10device_ptrIfEEEENS9_16discard_iteratorINS9_11use_defaultEEEf11max_functorIfEfEEDaPvRmT3_T4_T5_mT6_P12ihipStream_tbENKUlT_T0_E_clISt17integral_constantIbLb0EESW_IbLb1EEEEDaSS_ST_EUlSS_E_NS1_11comp_targetILNS1_3genE5ELNS1_11target_archE942ELNS1_3gpuE9ELNS1_3repE0EEENS1_30default_config_static_selectorELNS0_4arch9wavefront6targetE1EEEvT1_
; %bb.0:
	.section	.rodata,"a",@progbits
	.p2align	6, 0x0
	.amdhsa_kernel _ZN7rocprim17ROCPRIM_400000_NS6detail17trampoline_kernelINS0_14default_configENS1_20scan_config_selectorIfEEZZNS1_9scan_implILNS1_25lookback_scan_determinismE0ELb1ELb1ES3_N6thrust23THRUST_200600_302600_NS6detail15normal_iteratorINS9_10device_ptrIfEEEENS9_16discard_iteratorINS9_11use_defaultEEEf11max_functorIfEfEEDaPvRmT3_T4_T5_mT6_P12ihipStream_tbENKUlT_T0_E_clISt17integral_constantIbLb0EESW_IbLb1EEEEDaSS_ST_EUlSS_E_NS1_11comp_targetILNS1_3genE5ELNS1_11target_archE942ELNS1_3gpuE9ELNS1_3repE0EEENS1_30default_config_static_selectorELNS0_4arch9wavefront6targetE1EEEvT1_
		.amdhsa_group_segment_fixed_size 0
		.amdhsa_private_segment_fixed_size 0
		.amdhsa_kernarg_size 104
		.amdhsa_user_sgpr_count 6
		.amdhsa_user_sgpr_private_segment_buffer 1
		.amdhsa_user_sgpr_dispatch_ptr 0
		.amdhsa_user_sgpr_queue_ptr 0
		.amdhsa_user_sgpr_kernarg_segment_ptr 1
		.amdhsa_user_sgpr_dispatch_id 0
		.amdhsa_user_sgpr_flat_scratch_init 0
		.amdhsa_user_sgpr_kernarg_preload_length 0
		.amdhsa_user_sgpr_kernarg_preload_offset 0
		.amdhsa_user_sgpr_private_segment_size 0
		.amdhsa_uses_dynamic_stack 0
		.amdhsa_system_sgpr_private_segment_wavefront_offset 0
		.amdhsa_system_sgpr_workgroup_id_x 1
		.amdhsa_system_sgpr_workgroup_id_y 0
		.amdhsa_system_sgpr_workgroup_id_z 0
		.amdhsa_system_sgpr_workgroup_info 0
		.amdhsa_system_vgpr_workitem_id 0
		.amdhsa_next_free_vgpr 1
		.amdhsa_next_free_sgpr 0
		.amdhsa_accum_offset 4
		.amdhsa_reserve_vcc 0
		.amdhsa_reserve_flat_scratch 0
		.amdhsa_float_round_mode_32 0
		.amdhsa_float_round_mode_16_64 0
		.amdhsa_float_denorm_mode_32 3
		.amdhsa_float_denorm_mode_16_64 3
		.amdhsa_dx10_clamp 1
		.amdhsa_ieee_mode 1
		.amdhsa_fp16_overflow 0
		.amdhsa_tg_split 0
		.amdhsa_exception_fp_ieee_invalid_op 0
		.amdhsa_exception_fp_denorm_src 0
		.amdhsa_exception_fp_ieee_div_zero 0
		.amdhsa_exception_fp_ieee_overflow 0
		.amdhsa_exception_fp_ieee_underflow 0
		.amdhsa_exception_fp_ieee_inexact 0
		.amdhsa_exception_int_div_zero 0
	.end_amdhsa_kernel
	.section	.text._ZN7rocprim17ROCPRIM_400000_NS6detail17trampoline_kernelINS0_14default_configENS1_20scan_config_selectorIfEEZZNS1_9scan_implILNS1_25lookback_scan_determinismE0ELb1ELb1ES3_N6thrust23THRUST_200600_302600_NS6detail15normal_iteratorINS9_10device_ptrIfEEEENS9_16discard_iteratorINS9_11use_defaultEEEf11max_functorIfEfEEDaPvRmT3_T4_T5_mT6_P12ihipStream_tbENKUlT_T0_E_clISt17integral_constantIbLb0EESW_IbLb1EEEEDaSS_ST_EUlSS_E_NS1_11comp_targetILNS1_3genE5ELNS1_11target_archE942ELNS1_3gpuE9ELNS1_3repE0EEENS1_30default_config_static_selectorELNS0_4arch9wavefront6targetE1EEEvT1_,"axG",@progbits,_ZN7rocprim17ROCPRIM_400000_NS6detail17trampoline_kernelINS0_14default_configENS1_20scan_config_selectorIfEEZZNS1_9scan_implILNS1_25lookback_scan_determinismE0ELb1ELb1ES3_N6thrust23THRUST_200600_302600_NS6detail15normal_iteratorINS9_10device_ptrIfEEEENS9_16discard_iteratorINS9_11use_defaultEEEf11max_functorIfEfEEDaPvRmT3_T4_T5_mT6_P12ihipStream_tbENKUlT_T0_E_clISt17integral_constantIbLb0EESW_IbLb1EEEEDaSS_ST_EUlSS_E_NS1_11comp_targetILNS1_3genE5ELNS1_11target_archE942ELNS1_3gpuE9ELNS1_3repE0EEENS1_30default_config_static_selectorELNS0_4arch9wavefront6targetE1EEEvT1_,comdat
.Lfunc_end3261:
	.size	_ZN7rocprim17ROCPRIM_400000_NS6detail17trampoline_kernelINS0_14default_configENS1_20scan_config_selectorIfEEZZNS1_9scan_implILNS1_25lookback_scan_determinismE0ELb1ELb1ES3_N6thrust23THRUST_200600_302600_NS6detail15normal_iteratorINS9_10device_ptrIfEEEENS9_16discard_iteratorINS9_11use_defaultEEEf11max_functorIfEfEEDaPvRmT3_T4_T5_mT6_P12ihipStream_tbENKUlT_T0_E_clISt17integral_constantIbLb0EESW_IbLb1EEEEDaSS_ST_EUlSS_E_NS1_11comp_targetILNS1_3genE5ELNS1_11target_archE942ELNS1_3gpuE9ELNS1_3repE0EEENS1_30default_config_static_selectorELNS0_4arch9wavefront6targetE1EEEvT1_, .Lfunc_end3261-_ZN7rocprim17ROCPRIM_400000_NS6detail17trampoline_kernelINS0_14default_configENS1_20scan_config_selectorIfEEZZNS1_9scan_implILNS1_25lookback_scan_determinismE0ELb1ELb1ES3_N6thrust23THRUST_200600_302600_NS6detail15normal_iteratorINS9_10device_ptrIfEEEENS9_16discard_iteratorINS9_11use_defaultEEEf11max_functorIfEfEEDaPvRmT3_T4_T5_mT6_P12ihipStream_tbENKUlT_T0_E_clISt17integral_constantIbLb0EESW_IbLb1EEEEDaSS_ST_EUlSS_E_NS1_11comp_targetILNS1_3genE5ELNS1_11target_archE942ELNS1_3gpuE9ELNS1_3repE0EEENS1_30default_config_static_selectorELNS0_4arch9wavefront6targetE1EEEvT1_
                                        ; -- End function
	.section	.AMDGPU.csdata,"",@progbits
; Kernel info:
; codeLenInByte = 0
; NumSgprs: 4
; NumVgprs: 0
; NumAgprs: 0
; TotalNumVgprs: 0
; ScratchSize: 0
; MemoryBound: 0
; FloatMode: 240
; IeeeMode: 1
; LDSByteSize: 0 bytes/workgroup (compile time only)
; SGPRBlocks: 0
; VGPRBlocks: 0
; NumSGPRsForWavesPerEU: 4
; NumVGPRsForWavesPerEU: 1
; AccumOffset: 4
; Occupancy: 8
; WaveLimiterHint : 0
; COMPUTE_PGM_RSRC2:SCRATCH_EN: 0
; COMPUTE_PGM_RSRC2:USER_SGPR: 6
; COMPUTE_PGM_RSRC2:TRAP_HANDLER: 0
; COMPUTE_PGM_RSRC2:TGID_X_EN: 1
; COMPUTE_PGM_RSRC2:TGID_Y_EN: 0
; COMPUTE_PGM_RSRC2:TGID_Z_EN: 0
; COMPUTE_PGM_RSRC2:TIDIG_COMP_CNT: 0
; COMPUTE_PGM_RSRC3_GFX90A:ACCUM_OFFSET: 0
; COMPUTE_PGM_RSRC3_GFX90A:TG_SPLIT: 0
	.section	.text._ZN7rocprim17ROCPRIM_400000_NS6detail17trampoline_kernelINS0_14default_configENS1_20scan_config_selectorIfEEZZNS1_9scan_implILNS1_25lookback_scan_determinismE0ELb1ELb1ES3_N6thrust23THRUST_200600_302600_NS6detail15normal_iteratorINS9_10device_ptrIfEEEENS9_16discard_iteratorINS9_11use_defaultEEEf11max_functorIfEfEEDaPvRmT3_T4_T5_mT6_P12ihipStream_tbENKUlT_T0_E_clISt17integral_constantIbLb0EESW_IbLb1EEEEDaSS_ST_EUlSS_E_NS1_11comp_targetILNS1_3genE4ELNS1_11target_archE910ELNS1_3gpuE8ELNS1_3repE0EEENS1_30default_config_static_selectorELNS0_4arch9wavefront6targetE1EEEvT1_,"axG",@progbits,_ZN7rocprim17ROCPRIM_400000_NS6detail17trampoline_kernelINS0_14default_configENS1_20scan_config_selectorIfEEZZNS1_9scan_implILNS1_25lookback_scan_determinismE0ELb1ELb1ES3_N6thrust23THRUST_200600_302600_NS6detail15normal_iteratorINS9_10device_ptrIfEEEENS9_16discard_iteratorINS9_11use_defaultEEEf11max_functorIfEfEEDaPvRmT3_T4_T5_mT6_P12ihipStream_tbENKUlT_T0_E_clISt17integral_constantIbLb0EESW_IbLb1EEEEDaSS_ST_EUlSS_E_NS1_11comp_targetILNS1_3genE4ELNS1_11target_archE910ELNS1_3gpuE8ELNS1_3repE0EEENS1_30default_config_static_selectorELNS0_4arch9wavefront6targetE1EEEvT1_,comdat
	.protected	_ZN7rocprim17ROCPRIM_400000_NS6detail17trampoline_kernelINS0_14default_configENS1_20scan_config_selectorIfEEZZNS1_9scan_implILNS1_25lookback_scan_determinismE0ELb1ELb1ES3_N6thrust23THRUST_200600_302600_NS6detail15normal_iteratorINS9_10device_ptrIfEEEENS9_16discard_iteratorINS9_11use_defaultEEEf11max_functorIfEfEEDaPvRmT3_T4_T5_mT6_P12ihipStream_tbENKUlT_T0_E_clISt17integral_constantIbLb0EESW_IbLb1EEEEDaSS_ST_EUlSS_E_NS1_11comp_targetILNS1_3genE4ELNS1_11target_archE910ELNS1_3gpuE8ELNS1_3repE0EEENS1_30default_config_static_selectorELNS0_4arch9wavefront6targetE1EEEvT1_ ; -- Begin function _ZN7rocprim17ROCPRIM_400000_NS6detail17trampoline_kernelINS0_14default_configENS1_20scan_config_selectorIfEEZZNS1_9scan_implILNS1_25lookback_scan_determinismE0ELb1ELb1ES3_N6thrust23THRUST_200600_302600_NS6detail15normal_iteratorINS9_10device_ptrIfEEEENS9_16discard_iteratorINS9_11use_defaultEEEf11max_functorIfEfEEDaPvRmT3_T4_T5_mT6_P12ihipStream_tbENKUlT_T0_E_clISt17integral_constantIbLb0EESW_IbLb1EEEEDaSS_ST_EUlSS_E_NS1_11comp_targetILNS1_3genE4ELNS1_11target_archE910ELNS1_3gpuE8ELNS1_3repE0EEENS1_30default_config_static_selectorELNS0_4arch9wavefront6targetE1EEEvT1_
	.globl	_ZN7rocprim17ROCPRIM_400000_NS6detail17trampoline_kernelINS0_14default_configENS1_20scan_config_selectorIfEEZZNS1_9scan_implILNS1_25lookback_scan_determinismE0ELb1ELb1ES3_N6thrust23THRUST_200600_302600_NS6detail15normal_iteratorINS9_10device_ptrIfEEEENS9_16discard_iteratorINS9_11use_defaultEEEf11max_functorIfEfEEDaPvRmT3_T4_T5_mT6_P12ihipStream_tbENKUlT_T0_E_clISt17integral_constantIbLb0EESW_IbLb1EEEEDaSS_ST_EUlSS_E_NS1_11comp_targetILNS1_3genE4ELNS1_11target_archE910ELNS1_3gpuE8ELNS1_3repE0EEENS1_30default_config_static_selectorELNS0_4arch9wavefront6targetE1EEEvT1_
	.p2align	8
	.type	_ZN7rocprim17ROCPRIM_400000_NS6detail17trampoline_kernelINS0_14default_configENS1_20scan_config_selectorIfEEZZNS1_9scan_implILNS1_25lookback_scan_determinismE0ELb1ELb1ES3_N6thrust23THRUST_200600_302600_NS6detail15normal_iteratorINS9_10device_ptrIfEEEENS9_16discard_iteratorINS9_11use_defaultEEEf11max_functorIfEfEEDaPvRmT3_T4_T5_mT6_P12ihipStream_tbENKUlT_T0_E_clISt17integral_constantIbLb0EESW_IbLb1EEEEDaSS_ST_EUlSS_E_NS1_11comp_targetILNS1_3genE4ELNS1_11target_archE910ELNS1_3gpuE8ELNS1_3repE0EEENS1_30default_config_static_selectorELNS0_4arch9wavefront6targetE1EEEvT1_,@function
_ZN7rocprim17ROCPRIM_400000_NS6detail17trampoline_kernelINS0_14default_configENS1_20scan_config_selectorIfEEZZNS1_9scan_implILNS1_25lookback_scan_determinismE0ELb1ELb1ES3_N6thrust23THRUST_200600_302600_NS6detail15normal_iteratorINS9_10device_ptrIfEEEENS9_16discard_iteratorINS9_11use_defaultEEEf11max_functorIfEfEEDaPvRmT3_T4_T5_mT6_P12ihipStream_tbENKUlT_T0_E_clISt17integral_constantIbLb0EESW_IbLb1EEEEDaSS_ST_EUlSS_E_NS1_11comp_targetILNS1_3genE4ELNS1_11target_archE910ELNS1_3gpuE8ELNS1_3repE0EEENS1_30default_config_static_selectorELNS0_4arch9wavefront6targetE1EEEvT1_: ; @_ZN7rocprim17ROCPRIM_400000_NS6detail17trampoline_kernelINS0_14default_configENS1_20scan_config_selectorIfEEZZNS1_9scan_implILNS1_25lookback_scan_determinismE0ELb1ELb1ES3_N6thrust23THRUST_200600_302600_NS6detail15normal_iteratorINS9_10device_ptrIfEEEENS9_16discard_iteratorINS9_11use_defaultEEEf11max_functorIfEfEEDaPvRmT3_T4_T5_mT6_P12ihipStream_tbENKUlT_T0_E_clISt17integral_constantIbLb0EESW_IbLb1EEEEDaSS_ST_EUlSS_E_NS1_11comp_targetILNS1_3genE4ELNS1_11target_archE910ELNS1_3gpuE8ELNS1_3repE0EEENS1_30default_config_static_selectorELNS0_4arch9wavefront6targetE1EEEvT1_
; %bb.0:
	s_load_dwordx2 s[6:7], s[4:5], 0x20
	s_load_dword s28, s[4:5], 0x28
	s_load_dwordx2 s[20:21], s[4:5], 0x30
	v_cmp_ne_u32_e64 s[2:3], 0, v0
	v_cmp_eq_u32_e64 s[0:1], 0, v0
	s_and_saveexec_b64 s[8:9], s[0:1]
	s_cbranch_execz .LBB3262_4
; %bb.1:
	s_mov_b64 s[12:13], exec
	v_mbcnt_lo_u32_b32 v1, s12, 0
	v_mbcnt_hi_u32_b32 v1, s13, v1
	v_cmp_eq_u32_e32 vcc, 0, v1
                                        ; implicit-def: $vgpr2
	s_and_saveexec_b64 s[10:11], vcc
	s_cbranch_execz .LBB3262_3
; %bb.2:
	s_load_dwordx2 s[14:15], s[4:5], 0x60
	s_bcnt1_i32_b64 s12, s[12:13]
	v_mov_b32_e32 v2, 0
	v_mov_b32_e32 v3, s12
	s_waitcnt lgkmcnt(0)
	global_atomic_add v2, v2, v3, s[14:15] glc
.LBB3262_3:
	s_or_b64 exec, exec, s[10:11]
	s_waitcnt vmcnt(0)
	v_readfirstlane_b32 s10, v2
	v_add_u32_e32 v1, s10, v1
	v_mov_b32_e32 v2, 0
	ds_write_b32 v2, v1
.LBB3262_4:
	s_or_b64 exec, exec, s[8:9]
	v_mov_b32_e32 v3, 0
	s_load_dwordx4 s[8:11], s[4:5], 0x0
	s_load_dword s22, s[4:5], 0x38
	s_load_dwordx8 s[12:19], s[4:5], 0x40
	s_waitcnt lgkmcnt(0)
	s_barrier
	ds_read_b32 v1, v3
	s_lshl_b64 s[4:5], s[10:11], 2
	s_add_u32 s29, s8, s4
	s_movk_i32 s4, 0x700
	s_addc_u32 s30, s9, s5
	s_waitcnt lgkmcnt(0)
	v_mul_lo_u32 v2, v1, s4
	s_add_i32 s4, s22, -1
	s_mul_i32 s5, s4, 0x700
	s_sub_u32 s26, s6, s5
	v_readfirstlane_b32 s31, v1
	s_subb_u32 s27, s7, 0
	v_lshlrev_b64 v[2:3], 2, v[2:3]
	s_cmp_lg_u32 s31, s4
	v_mov_b32_e32 v1, s30
	v_add_co_u32_e32 v18, vcc, s29, v2
	s_cselect_b64 s[22:23], -1, 0
	v_addc_co_u32_e32 v19, vcc, v1, v3, vcc
	s_mov_b64 s[4:5], -1
	s_and_b64 vcc, exec, s[22:23]
	v_lshlrev_b32_e32 v20, 2, v0
	s_barrier
	s_cbranch_vccz .LBB3262_6
; %bb.5:
	v_add_co_u32_e32 v2, vcc, v18, v20
	v_addc_co_u32_e32 v3, vcc, 0, v19, vcc
	flat_load_dword v1, v[2:3]
	flat_load_dword v4, v[2:3] offset:512
	flat_load_dword v5, v[2:3] offset:1024
	;; [unrolled: 1-line block ×7, first 2 shown]
	v_add_co_u32_e32 v2, vcc, 0x1000, v2
	v_addc_co_u32_e32 v3, vcc, 0, v3, vcc
	flat_load_dword v11, v[2:3]
	flat_load_dword v12, v[2:3] offset:512
	flat_load_dword v13, v[2:3] offset:1024
	;; [unrolled: 1-line block ×5, first 2 shown]
	s_mov_b64 s[4:5], 0
	s_waitcnt vmcnt(0) lgkmcnt(0)
	ds_write2st64_b32 v20, v1, v4 offset1:2
	ds_write2st64_b32 v20, v5, v6 offset0:4 offset1:6
	ds_write2st64_b32 v20, v7, v8 offset0:8 offset1:10
	;; [unrolled: 1-line block ×6, first 2 shown]
	s_waitcnt lgkmcnt(0)
	s_barrier
.LBB3262_6:
	s_andn2_b64 vcc, exec, s[4:5]
	s_cbranch_vccnz .LBB3262_36
; %bb.7:
	flat_load_dword v1, v[18:19]
	v_cmp_gt_u32_e32 vcc, s26, v0
	s_waitcnt vmcnt(0) lgkmcnt(0)
	v_mov_b32_e32 v2, v1
	v_mov_b32_e32 v3, v1
	;; [unrolled: 1-line block ×12, first 2 shown]
	v_pk_mov_b32 v[16:17], v[14:15], v[14:15] op_sel:[0,1]
	v_pk_mov_b32 v[14:15], v[12:13], v[12:13] op_sel:[0,1]
	;; [unrolled: 1-line block ×8, first 2 shown]
	s_and_saveexec_b64 s[4:5], vcc
	s_cbranch_execz .LBB3262_9
; %bb.8:
	v_add_co_u32_e32 v2, vcc, v18, v20
	v_addc_co_u32_e32 v3, vcc, 0, v19, vcc
	flat_load_dword v21, v[2:3]
	v_mov_b32_e32 v2, v1
	v_mov_b32_e32 v3, v1
	;; [unrolled: 1-line block ×12, first 2 shown]
	v_pk_mov_b32 v[16:17], v[14:15], v[14:15] op_sel:[0,1]
	v_pk_mov_b32 v[14:15], v[12:13], v[12:13] op_sel:[0,1]
	;; [unrolled: 1-line block ×8, first 2 shown]
	s_waitcnt vmcnt(0) lgkmcnt(0)
	v_mov_b32_e32 v1, v21
.LBB3262_9:
	s_or_b64 exec, exec, s[4:5]
	v_or_b32_e32 v2, 0x80, v0
	v_cmp_gt_u32_e32 vcc, s26, v2
	s_and_saveexec_b64 s[4:5], vcc
	s_cbranch_execz .LBB3262_11
; %bb.10:
	v_add_co_u32_e32 v2, vcc, v18, v20
	v_addc_co_u32_e32 v3, vcc, 0, v19, vcc
	flat_load_dword v3, v[2:3] offset:512
.LBB3262_11:
	s_or_b64 exec, exec, s[4:5]
	v_or_b32_e32 v2, 0x100, v0
	v_cmp_gt_u32_e32 vcc, s26, v2
	s_and_saveexec_b64 s[4:5], vcc
	s_cbranch_execz .LBB3262_13
; %bb.12:
	v_add_co_u32_e32 v16, vcc, v18, v20
	v_addc_co_u32_e32 v17, vcc, 0, v19, vcc
	flat_load_dword v4, v[16:17] offset:1024
.LBB3262_13:
	;; [unrolled: 10-line block ×7, first 2 shown]
	s_or_b64 exec, exec, s[4:5]
	v_or_b32_e32 v2, 0x400, v0
	v_cmp_gt_u32_e32 vcc, s26, v2
	s_and_saveexec_b64 s[4:5], vcc
	s_cbranch_execz .LBB3262_25
; %bb.24:
	v_lshlrev_b32_e32 v2, 2, v2
	v_add_co_u32_e32 v16, vcc, v18, v2
	v_addc_co_u32_e32 v17, vcc, 0, v19, vcc
	flat_load_dword v10, v[16:17]
.LBB3262_25:
	s_or_b64 exec, exec, s[4:5]
	v_or_b32_e32 v2, 0x480, v0
	v_cmp_gt_u32_e32 vcc, s26, v2
	s_and_saveexec_b64 s[4:5], vcc
	s_cbranch_execz .LBB3262_27
; %bb.26:
	v_lshlrev_b32_e32 v2, 2, v2
	v_add_co_u32_e32 v16, vcc, v18, v2
	v_addc_co_u32_e32 v17, vcc, 0, v19, vcc
	flat_load_dword v11, v[16:17]
.LBB3262_27:
	;; [unrolled: 11-line block ×6, first 2 shown]
	s_or_b64 exec, exec, s[4:5]
	s_waitcnt vmcnt(0) lgkmcnt(0)
	ds_write2st64_b32 v20, v1, v3 offset1:2
	ds_write2st64_b32 v20, v4, v5 offset0:4 offset1:6
	ds_write2st64_b32 v20, v6, v7 offset0:8 offset1:10
	;; [unrolled: 1-line block ×6, first 2 shown]
	s_waitcnt lgkmcnt(0)
	s_barrier
.LBB3262_36:
	v_mul_u32_u24_e32 v32, 14, v0
	v_lshlrev_b32_e32 v33, 2, v32
	ds_read2_b64 v[26:29], v33 offset1:1
	ds_read2_b64 v[22:25], v33 offset0:2 offset1:3
	ds_read2_b64 v[18:21], v33 offset0:4 offset1:5
	ds_read_b64 v[30:31], v33 offset:48
	s_cmp_lg_u32 s31, 0
	s_waitcnt lgkmcnt(3)
	v_cmp_lt_f32_e64 s[4:5], v26, v27
	v_lshrrev_b32_e32 v1, 5, v0
	v_cmp_gt_u32_e32 vcc, 64, v0
	s_waitcnt lgkmcnt(0)
	s_barrier
	s_cbranch_scc0 .LBB3262_61
; %bb.37:
	v_cndmask_b32_e64 v2, v26, v27, s[4:5]
	v_cmp_lt_f32_e64 s[4:5], v2, v28
	v_cndmask_b32_e64 v2, v2, v28, s[4:5]
	v_cmp_lt_f32_e64 s[4:5], v2, v29
	;; [unrolled: 2-line block ×12, first 2 shown]
	v_cndmask_b32_e64 v12, v2, v31, s[4:5]
	v_add_lshl_u32 v2, v1, v0, 2
	ds_write_b32 v2, v12
	s_waitcnt lgkmcnt(0)
	s_barrier
	s_and_saveexec_b64 s[24:25], vcc
	s_cbranch_execz .LBB3262_39
; %bb.38:
	v_lshlrev_b32_e32 v2, 1, v0
	v_lshrrev_b32_e32 v3, 4, v0
	v_add_lshl_u32 v4, v3, v2, 2
	ds_read2_b32 v[2:3], v4 offset1:1
	v_mbcnt_lo_u32_b32 v5, -1, 0
	v_mbcnt_hi_u32_b32 v5, -1, v5
	v_and_b32_e32 v6, 15, v5
	v_cmp_lt_u32_e64 s[10:11], 31, v5
	s_waitcnt lgkmcnt(0)
	v_cmp_lt_f32_e64 s[4:5], v2, v3
	v_cndmask_b32_e64 v3, v2, v3, s[4:5]
	v_cmp_gt_u32_e64 s[8:9], 32, v5
	s_nop 0
	v_mov_b32_dpp v7, v3 row_shr:1 row_mask:0xf bank_mask:0xf
	v_cmp_gt_f32_e64 s[4:5], v3, v7
	v_cndmask_b32_e64 v7, v7, v3, s[4:5]
	v_cmp_eq_u32_e64 s[4:5], 0, v6
	v_cndmask_b32_e64 v3, v7, v3, s[4:5]
	; wave barrier
	s_nop 1
	v_mov_b32_dpp v7, v3 row_shr:2 row_mask:0xf bank_mask:0xf
	v_cmp_gt_f32_e64 s[4:5], v3, v7
	v_cndmask_b32_e64 v7, v7, v3, s[4:5]
	v_cmp_lt_u32_e64 s[4:5], 1, v6
	v_cndmask_b32_e64 v7, v3, v7, s[4:5]
	s_nop 1
	v_mov_b32_dpp v8, v7 row_shr:4 row_mask:0xf bank_mask:0xf
	v_cmp_gt_f32_e64 s[6:7], v7, v8
	v_cndmask_b32_e64 v8, v8, v7, s[6:7]
	v_cmp_lt_u32_e64 s[6:7], 3, v6
	v_cndmask_b32_e64 v7, v7, v8, s[6:7]
	;; [unrolled: 6-line block ×3, first 2 shown]
	v_and_b32_e32 v8, 16, v5
	s_nop 0
	v_mov_b32_dpp v7, v6 row_bcast:15 row_mask:0xf bank_mask:0xf
	v_cmp_gt_f32_e64 s[6:7], v6, v7
	v_cndmask_b32_e64 v7, v7, v6, s[6:7]
	v_cmp_ne_u32_e64 s[6:7], 0, v8
	v_cndmask_b32_e64 v6, v6, v7, s[6:7]
	s_or_b64 s[10:11], s[6:7], s[10:11]
	s_or_b64 s[4:5], s[4:5], s[10:11]
	v_mov_b32_dpp v7, v6 row_bcast:31 row_mask:0xf bank_mask:0xf
	v_cmp_gt_f32_e64 s[6:7], v6, v7
	s_or_b64 s[6:7], s[8:9], s[6:7]
	v_cndmask_b32_e64 v6, v7, v6, s[6:7]
	v_cndmask_b32_e64 v3, v3, v6, s[4:5]
	v_add_u32_e32 v6, -1, v5
	v_and_b32_e32 v7, 64, v5
	v_cmp_lt_i32_e64 s[4:5], v6, v7
	v_cndmask_b32_e64 v5, v6, v5, s[4:5]
	v_lshlrev_b32_e32 v5, 2, v5
	ds_bpermute_b32 v3, v5, v3
	s_waitcnt lgkmcnt(0)
	v_cmp_gt_f32_e64 s[4:5], v2, v3
	v_cndmask_b32_e64 v2, v3, v2, s[4:5]
	v_cndmask_b32_e64 v2, v2, v12, s[0:1]
	ds_write_b32 v4, v2
	; wave barrier
	ds_read_b32 v3, v4 offset:4
	s_waitcnt lgkmcnt(0)
	v_cmp_lt_f32_e64 s[4:5], v2, v3
	v_cndmask_b32_e64 v2, v2, v3, s[4:5]
	ds_write_b32 v4, v2 offset:4
.LBB3262_39:
	s_or_b64 exec, exec, s[24:25]
	s_waitcnt lgkmcnt(0)
	s_barrier
	s_and_saveexec_b64 s[4:5], s[2:3]
	s_cbranch_execz .LBB3262_41
; %bb.40:
	v_add_u32_e32 v2, -1, v0
	v_lshrrev_b32_e32 v3, 5, v2
	v_add_lshl_u32 v2, v3, v2, 2
	ds_read_b32 v12, v2
.LBB3262_41:
	s_or_b64 exec, exec, s[4:5]
	s_and_saveexec_b64 s[10:11], vcc
	s_cbranch_execz .LBB3262_60
; %bb.42:
	v_mov_b32_e32 v9, 0
	ds_read_b32 v2, v9 offset:520
	v_mbcnt_lo_u32_b32 v3, -1, 0
	v_mbcnt_hi_u32_b32 v5, -1, v3
	s_mov_b32 s9, 0
	v_cmp_eq_u32_e64 s[4:5], 0, v5
	s_and_saveexec_b64 s[6:7], s[4:5]
	s_cbranch_execz .LBB3262_44
; %bb.43:
	s_add_i32 s8, s31, 64
	s_lshl_b64 s[8:9], s[8:9], 3
	s_add_u32 s8, s20, s8
	v_mov_b32_e32 v3, 1
	s_addc_u32 s9, s21, s9
	s_waitcnt lgkmcnt(0)
	global_store_dwordx2 v9, v[2:3], s[8:9]
.LBB3262_44:
	s_or_b64 exec, exec, s[6:7]
	v_xad_u32 v4, v5, -1, s31
	v_add_u32_e32 v8, 64, v4
	v_lshlrev_b64 v[6:7], 3, v[8:9]
	v_mov_b32_e32 v3, s21
	v_add_co_u32_e32 v10, vcc, s20, v6
	v_addc_co_u32_e32 v11, vcc, v3, v7, vcc
	global_load_dwordx2 v[6:7], v[10:11], off glc
	s_waitcnt vmcnt(0)
	v_cmp_eq_u16_sdwa s[8:9], v7, v9 src0_sel:BYTE_0 src1_sel:DWORD
	s_and_saveexec_b64 s[6:7], s[8:9]
	s_cbranch_execz .LBB3262_48
; %bb.45:
	s_mov_b64 s[8:9], 0
	v_mov_b32_e32 v3, 0
.LBB3262_46:                            ; =>This Inner Loop Header: Depth=1
	global_load_dwordx2 v[6:7], v[10:11], off glc
	s_waitcnt vmcnt(0)
	v_cmp_ne_u16_sdwa s[24:25], v7, v3 src0_sel:BYTE_0 src1_sel:DWORD
	s_or_b64 s[8:9], s[24:25], s[8:9]
	s_andn2_b64 exec, exec, s[8:9]
	s_cbranch_execnz .LBB3262_46
; %bb.47:
	s_or_b64 exec, exec, s[8:9]
.LBB3262_48:
	s_or_b64 exec, exec, s[6:7]
	v_and_b32_e32 v13, 63, v5
	v_cmp_ne_u32_e32 vcc, 63, v13
	v_addc_co_u32_e32 v14, vcc, 0, v5, vcc
	v_lshlrev_b32_e32 v14, 2, v14
	v_mov_b32_e32 v3, 2
	ds_bpermute_b32 v15, v14, v6
	v_cmp_eq_u16_sdwa s[6:7], v7, v3 src0_sel:BYTE_0 src1_sel:DWORD
	v_lshlrev_b64 v[8:9], v5, -1
	v_and_b32_e32 v10, s7, v9
	v_or_b32_e32 v10, 0x80000000, v10
	v_and_b32_e32 v11, s6, v8
	v_ffbl_b32_e32 v10, v10
	v_add_u32_e32 v10, 32, v10
	v_ffbl_b32_e32 v11, v11
	s_waitcnt lgkmcnt(0)
	v_cmp_lt_f32_e32 vcc, v15, v6
	v_cmp_gt_u32_e64 s[6:7], 62, v13
	v_min_u32_e32 v10, v11, v10
	v_cndmask_b32_e32 v11, v15, v6, vcc
	v_cndmask_b32_e64 v15, 0, 1, s[6:7]
	v_cmp_lt_u32_e32 vcc, v13, v10
	v_lshlrev_b32_e32 v15, 1, v15
	v_cndmask_b32_e32 v11, v6, v11, vcc
	v_add_lshl_u32 v15, v15, v5, 2
	ds_bpermute_b32 v17, v15, v11
	v_add_u32_e32 v16, 2, v13
	v_add_u32_e32 v34, 4, v13
	;; [unrolled: 1-line block ×4, first 2 shown]
	s_waitcnt lgkmcnt(0)
	v_cmp_gt_f32_e64 s[6:7], v11, v17
	v_cndmask_b32_e64 v17, v17, v11, s[6:7]
	v_cmp_gt_u32_e64 s[6:7], v16, v10
	v_cndmask_b32_e64 v11, v17, v11, s[6:7]
	v_cmp_gt_u32_e64 s[6:7], 60, v13
	v_cndmask_b32_e64 v17, 0, 1, s[6:7]
	v_lshlrev_b32_e32 v17, 2, v17
	v_add_lshl_u32 v17, v17, v5, 2
	ds_bpermute_b32 v35, v17, v11
	v_add_u32_e32 v41, 32, v13
	s_waitcnt lgkmcnt(0)
	v_cmp_gt_f32_e64 s[6:7], v11, v35
	v_cndmask_b32_e64 v35, v35, v11, s[6:7]
	v_cmp_gt_u32_e64 s[6:7], v34, v10
	v_cndmask_b32_e64 v11, v35, v11, s[6:7]
	v_cmp_gt_u32_e64 s[6:7], 56, v13
	v_cndmask_b32_e64 v35, 0, 1, s[6:7]
	v_lshlrev_b32_e32 v35, 3, v35
	v_add_lshl_u32 v35, v35, v5, 2
	ds_bpermute_b32 v37, v35, v11
	s_waitcnt lgkmcnt(0)
	v_cmp_gt_f32_e64 s[6:7], v11, v37
	v_cndmask_b32_e64 v37, v37, v11, s[6:7]
	v_cmp_gt_u32_e64 s[6:7], v36, v10
	v_cndmask_b32_e64 v11, v37, v11, s[6:7]
	v_cmp_gt_u32_e64 s[6:7], 48, v13
	v_cndmask_b32_e64 v37, 0, 1, s[6:7]
	v_lshlrev_b32_e32 v37, 4, v37
	v_add_lshl_u32 v37, v37, v5, 2
	ds_bpermute_b32 v38, v37, v11
	;; [unrolled: 10-line block ×3, first 2 shown]
	v_cmp_gt_u32_e64 s[6:7], v41, v10
	s_waitcnt lgkmcnt(0)
	v_cmp_gt_f32_e64 s[8:9], v11, v5
	s_or_b64 s[6:7], s[6:7], s[8:9]
	v_cndmask_b32_e64 v5, v5, v11, s[6:7]
	v_cndmask_b32_e32 v6, v6, v5, vcc
	v_mov_b32_e32 v5, 0
	s_branch .LBB3262_50
.LBB3262_49:                            ;   in Loop: Header=BB3262_50 Depth=1
	s_or_b64 exec, exec, s[6:7]
	v_cmp_eq_u16_sdwa s[6:7], v7, v3 src0_sel:BYTE_0 src1_sel:DWORD
	ds_bpermute_b32 v42, v14, v6
	v_and_b32_e32 v10, s7, v9
	v_or_b32_e32 v10, 0x80000000, v10
	v_and_b32_e32 v11, s6, v8
	v_ffbl_b32_e32 v10, v10
	v_add_u32_e32 v10, 32, v10
	v_ffbl_b32_e32 v11, v11
	v_min_u32_e32 v10, v11, v10
	s_waitcnt lgkmcnt(0)
	v_cmp_lt_f32_e32 vcc, v42, v6
	v_cndmask_b32_e32 v11, v42, v6, vcc
	v_cmp_lt_u32_e32 vcc, v13, v10
	v_cndmask_b32_e32 v11, v6, v11, vcc
	ds_bpermute_b32 v42, v15, v11
	v_subrev_u32_e32 v4, 64, v4
	s_waitcnt lgkmcnt(0)
	v_cmp_gt_f32_e64 s[6:7], v11, v42
	v_cndmask_b32_e64 v42, v42, v11, s[6:7]
	v_cmp_gt_u32_e64 s[6:7], v16, v10
	v_cndmask_b32_e64 v11, v42, v11, s[6:7]
	ds_bpermute_b32 v42, v17, v11
	s_waitcnt lgkmcnt(0)
	v_cmp_gt_f32_e64 s[6:7], v11, v42
	v_cndmask_b32_e64 v42, v42, v11, s[6:7]
	v_cmp_gt_u32_e64 s[6:7], v34, v10
	v_cndmask_b32_e64 v11, v42, v11, s[6:7]
	ds_bpermute_b32 v42, v35, v11
	;; [unrolled: 6-line block ×4, first 2 shown]
	v_cmp_gt_u32_e64 s[6:7], v41, v10
	s_waitcnt lgkmcnt(0)
	v_cmp_gt_f32_e64 s[8:9], v11, v42
	s_or_b64 s[6:7], s[6:7], s[8:9]
	v_cndmask_b32_e64 v10, v42, v11, s[6:7]
	v_cndmask_b32_e32 v6, v6, v10, vcc
	v_cmp_lt_f32_e32 vcc, v6, v38
	v_cndmask_b32_e32 v6, v6, v38, vcc
.LBB3262_50:                            ; =>This Loop Header: Depth=1
                                        ;     Child Loop BB3262_53 Depth 2
	v_cmp_ne_u16_sdwa s[6:7], v7, v3 src0_sel:BYTE_0 src1_sel:DWORD
	v_cndmask_b32_e64 v7, 0, 1, s[6:7]
	;;#ASMSTART
	;;#ASMEND
	v_cmp_ne_u32_e32 vcc, 0, v7
	s_cmp_lg_u64 vcc, exec
	v_mov_b32_e32 v38, v6
	s_cbranch_scc1 .LBB3262_55
; %bb.51:                               ;   in Loop: Header=BB3262_50 Depth=1
	v_lshlrev_b64 v[6:7], 3, v[4:5]
	v_mov_b32_e32 v11, s21
	v_add_co_u32_e32 v10, vcc, s20, v6
	v_addc_co_u32_e32 v11, vcc, v11, v7, vcc
	global_load_dwordx2 v[6:7], v[10:11], off glc
	s_waitcnt vmcnt(0)
	v_cmp_eq_u16_sdwa s[8:9], v7, v5 src0_sel:BYTE_0 src1_sel:DWORD
	s_and_saveexec_b64 s[6:7], s[8:9]
	s_cbranch_execz .LBB3262_49
; %bb.52:                               ;   in Loop: Header=BB3262_50 Depth=1
	s_mov_b64 s[8:9], 0
.LBB3262_53:                            ;   Parent Loop BB3262_50 Depth=1
                                        ; =>  This Inner Loop Header: Depth=2
	global_load_dwordx2 v[6:7], v[10:11], off glc
	s_waitcnt vmcnt(0)
	v_cmp_ne_u16_sdwa s[24:25], v7, v5 src0_sel:BYTE_0 src1_sel:DWORD
	s_or_b64 s[8:9], s[24:25], s[8:9]
	s_andn2_b64 exec, exec, s[8:9]
	s_cbranch_execnz .LBB3262_53
; %bb.54:                               ;   in Loop: Header=BB3262_50 Depth=1
	s_or_b64 exec, exec, s[8:9]
	s_branch .LBB3262_49
.LBB3262_55:                            ;   in Loop: Header=BB3262_50 Depth=1
                                        ; implicit-def: $vgpr6
                                        ; implicit-def: $vgpr7
	s_cbranch_execz .LBB3262_50
; %bb.56:
	s_and_saveexec_b64 s[6:7], s[4:5]
	s_cbranch_execz .LBB3262_58
; %bb.57:
	s_add_i32 s4, s31, 64
	s_mov_b32 s5, 0
	s_lshl_b64 s[4:5], s[4:5], 3
	v_cmp_lt_f32_e32 vcc, v38, v2
	s_add_u32 s4, s20, s4
	v_cndmask_b32_e32 v2, v38, v2, vcc
	v_mov_b32_e32 v3, 2
	s_addc_u32 s5, s21, s5
	v_mov_b32_e32 v4, 0
	global_store_dwordx2 v4, v[2:3], s[4:5]
.LBB3262_58:
	s_or_b64 exec, exec, s[6:7]
	s_and_b64 exec, exec, s[0:1]
	s_cbranch_execz .LBB3262_60
; %bb.59:
	v_mov_b32_e32 v2, 0
	ds_write_b32 v2, v38
.LBB3262_60:
	s_or_b64 exec, exec, s[10:11]
	v_mov_b32_e32 v2, 0
	s_waitcnt lgkmcnt(0)
	s_barrier
	ds_read_b32 v2, v2
	s_waitcnt lgkmcnt(0)
	v_cmp_lt_f32_e32 vcc, v2, v12
	v_cndmask_b32_e32 v3, v2, v12, vcc
	v_cndmask_b32_e64 v2, v3, v2, s[0:1]
	v_cmp_lt_f32_e32 vcc, v2, v26
	v_cndmask_b32_e32 v3, v2, v26, vcc
	v_cmp_lt_f32_e32 vcc, v3, v27
	v_cndmask_b32_e32 v4, v3, v27, vcc
	;; [unrolled: 2-line block ×13, first 2 shown]
	s_branch .LBB3262_71
.LBB3262_61:
                                        ; implicit-def: $vgpr2_vgpr3_vgpr4_vgpr5_vgpr6_vgpr7_vgpr8_vgpr9_vgpr10_vgpr11_vgpr12_vgpr13_vgpr14_vgpr15_vgpr16_vgpr17
	s_cbranch_execz .LBB3262_71
; %bb.62:
	s_cmp_eq_u64 s[16:17], 0
	v_mov_b32_e32 v16, s28
	s_cbranch_scc1 .LBB3262_64
; %bb.63:
	v_mov_b32_e32 v2, 0
	global_load_dword v4, v2, s[12:13]
	v_mov_b32_e32 v3, s30
	v_add_co_u32_e64 v2, vcc, -4, s29
	v_addc_co_u32_e32 v3, vcc, -1, v3, vcc
	flat_load_dword v2, v[2:3]
	s_waitcnt vmcnt(0) lgkmcnt(0)
	v_cmp_lt_f32_e32 vcc, v4, v2
	v_cndmask_b32_e32 v16, v4, v2, vcc
.LBB3262_64:
	v_cmp_lt_f32_e32 vcc, v26, v27
	v_cndmask_b32_e32 v2, v26, v27, vcc
	v_cmp_lt_f32_e32 vcc, v2, v28
	v_cndmask_b32_e32 v2, v2, v28, vcc
	;; [unrolled: 2-line block ×13, first 2 shown]
	v_add_lshl_u32 v1, v1, v0, 2
	v_cmp_gt_u32_e32 vcc, 64, v0
	ds_write_b32 v1, v2
	s_waitcnt lgkmcnt(0)
	s_barrier
	s_and_saveexec_b64 s[10:11], vcc
	s_cbranch_execz .LBB3262_66
; %bb.65:
	v_lshlrev_b32_e32 v1, 1, v0
	v_lshrrev_b32_e32 v3, 4, v0
	v_add_lshl_u32 v1, v3, v1, 2
	ds_read2_b32 v[4:5], v1 offset1:1
	v_mbcnt_lo_u32_b32 v3, -1, 0
	v_mbcnt_hi_u32_b32 v3, -1, v3
	v_and_b32_e32 v6, 15, v3
	v_cmp_lt_u32_e64 s[8:9], 31, v3
	s_waitcnt lgkmcnt(0)
	v_cmp_lt_f32_e32 vcc, v4, v5
	v_cndmask_b32_e32 v5, v4, v5, vcc
	v_cmp_gt_u32_e64 s[6:7], 32, v3
	s_nop 0
	v_mov_b32_dpp v7, v5 row_shr:1 row_mask:0xf bank_mask:0xf
	v_cmp_gt_f32_e32 vcc, v5, v7
	v_cndmask_b32_e32 v7, v7, v5, vcc
	v_cmp_eq_u32_e32 vcc, 0, v6
	v_cndmask_b32_e32 v5, v7, v5, vcc
	; wave barrier
	s_nop 1
	v_mov_b32_dpp v7, v5 row_shr:2 row_mask:0xf bank_mask:0xf
	v_cmp_gt_f32_e32 vcc, v5, v7
	v_cndmask_b32_e32 v7, v7, v5, vcc
	v_cmp_lt_u32_e32 vcc, 1, v6
	v_cndmask_b32_e32 v7, v5, v7, vcc
	s_nop 1
	v_mov_b32_dpp v8, v7 row_shr:4 row_mask:0xf bank_mask:0xf
	v_cmp_gt_f32_e64 s[4:5], v7, v8
	v_cndmask_b32_e64 v8, v8, v7, s[4:5]
	v_cmp_lt_u32_e64 s[4:5], 3, v6
	v_cndmask_b32_e64 v7, v7, v8, s[4:5]
	s_nop 1
	v_mov_b32_dpp v8, v7 row_shr:8 row_mask:0xf bank_mask:0xf
	v_cmp_gt_f32_e64 s[4:5], v7, v8
	v_cndmask_b32_e64 v8, v8, v7, s[4:5]
	v_cmp_lt_u32_e64 s[4:5], 7, v6
	v_cndmask_b32_e64 v6, v7, v8, s[4:5]
	v_and_b32_e32 v8, 16, v3
	s_nop 0
	v_mov_b32_dpp v7, v6 row_bcast:15 row_mask:0xf bank_mask:0xf
	v_cmp_gt_f32_e64 s[4:5], v6, v7
	v_cndmask_b32_e64 v7, v7, v6, s[4:5]
	v_cmp_ne_u32_e64 s[4:5], 0, v8
	v_cndmask_b32_e64 v6, v6, v7, s[4:5]
	s_or_b64 s[8:9], s[4:5], s[8:9]
	s_or_b64 vcc, vcc, s[8:9]
	v_mov_b32_dpp v7, v6 row_bcast:31 row_mask:0xf bank_mask:0xf
	v_cmp_gt_f32_e64 s[4:5], v6, v7
	s_or_b64 s[4:5], s[6:7], s[4:5]
	v_cndmask_b32_e64 v6, v7, v6, s[4:5]
	v_cndmask_b32_e32 v5, v5, v6, vcc
	v_add_u32_e32 v6, -1, v3
	v_and_b32_e32 v7, 64, v3
	v_cmp_lt_i32_e32 vcc, v6, v7
	v_cndmask_b32_e32 v3, v6, v3, vcc
	v_lshlrev_b32_e32 v3, 2, v3
	ds_bpermute_b32 v3, v3, v5
	s_waitcnt lgkmcnt(0)
	v_cmp_gt_f32_e32 vcc, v4, v3
	v_cndmask_b32_e32 v3, v3, v4, vcc
	v_cndmask_b32_e64 v2, v3, v2, s[0:1]
	ds_write_b32 v1, v2
	; wave barrier
	ds_read_b32 v3, v1 offset:4
	s_waitcnt lgkmcnt(0)
	v_cmp_lt_f32_e32 vcc, v2, v3
	v_cndmask_b32_e32 v2, v2, v3, vcc
	ds_write_b32 v1, v2 offset:4
.LBB3262_66:
	s_or_b64 exec, exec, s[10:11]
	v_mov_b32_e32 v2, v16
	s_waitcnt lgkmcnt(0)
	s_barrier
	s_and_saveexec_b64 s[4:5], s[2:3]
	s_cbranch_execz .LBB3262_68
; %bb.67:
	v_add_u32_e32 v1, -1, v0
	v_lshrrev_b32_e32 v2, 5, v1
	v_add_lshl_u32 v1, v2, v1, 2
	ds_read_b32 v1, v1
	s_waitcnt lgkmcnt(0)
	v_cmp_gt_f32_e32 vcc, v1, v16
	v_cndmask_b32_e32 v2, v16, v1, vcc
.LBB3262_68:
	s_or_b64 exec, exec, s[4:5]
	v_cmp_lt_f32_e32 vcc, v2, v26
	v_cndmask_b32_e32 v3, v2, v26, vcc
	v_cmp_lt_f32_e32 vcc, v3, v27
	v_cndmask_b32_e32 v4, v3, v27, vcc
	;; [unrolled: 2-line block ×13, first 2 shown]
	s_and_saveexec_b64 s[2:3], s[0:1]
	s_cbranch_execz .LBB3262_70
; %bb.69:
	v_mov_b32_e32 v1, 0
	ds_read_b32 v17, v1 offset:520
	s_waitcnt lgkmcnt(0)
	v_cmp_gt_f32_e32 vcc, v17, v16
	v_cndmask_b32_e32 v16, v16, v17, vcc
	v_mov_b32_e32 v17, 2
	global_store_dwordx2 v1, v[16:17], s[20:21] offset:512
.LBB3262_70:
	s_or_b64 exec, exec, s[2:3]
.LBB3262_71:
	s_mov_b64 s[0:1], -1
	s_and_b64 vcc, exec, s[22:23]
	s_barrier
	ds_write2_b64 v33, v[2:3], v[4:5] offset1:1
	ds_write2_b64 v33, v[6:7], v[8:9] offset0:2 offset1:3
	ds_write2_b64 v33, v[10:11], v[12:13] offset0:4 offset1:5
	ds_write_b64 v33, v[14:15] offset:48
	s_waitcnt lgkmcnt(0)
	s_cbranch_vccz .LBB3262_73
; %bb.72:
	s_barrier
	s_mov_b64 s[0:1], 0
.LBB3262_73:
	s_andn2_b64 vcc, exec, s[0:1]
	s_cbranch_vccnz .LBB3262_125
; %bb.74:
	v_cmp_lt_u64_e64 s[0:1], s[18:19], 2
	s_and_b64 vcc, exec, s[0:1]
	s_barrier
	s_cbranch_vccnz .LBB3262_125
; %bb.75:
	s_add_u32 s0, s26, -1
	s_addc_u32 s1, s27, -1
	s_add_u32 s2, 0, 0x49240800
	s_addc_u32 s3, 0, 50
	s_add_i32 s3, s3, 0x12492460
	s_mul_hi_u32 s7, s2, -14
	s_sub_i32 s7, s7, s2
	s_mul_i32 s8, s3, -14
	s_mul_i32 s4, s2, -14
	s_add_i32 s7, s7, s8
	s_mul_hi_u32 s5, s3, s4
	s_mul_i32 s6, s3, s4
	s_mul_i32 s9, s2, s7
	s_mul_hi_u32 s4, s2, s4
	s_mul_hi_u32 s8, s2, s7
	s_add_u32 s4, s4, s9
	s_addc_u32 s8, 0, s8
	s_add_u32 s4, s4, s6
	s_mul_hi_u32 s9, s3, s7
	s_addc_u32 s4, s8, s5
	s_addc_u32 s5, s9, 0
	s_mul_i32 s6, s3, s7
	s_add_u32 s4, s4, s6
	v_mov_b32_e32 v2, s4
	s_addc_u32 s5, 0, s5
	v_add_co_u32_e32 v2, vcc, s2, v2
	s_cmp_lg_u64 vcc, 0
	s_addc_u32 s2, s3, s5
	v_readfirstlane_b32 s5, v2
	s_mul_i32 s4, s0, s2
	s_mul_hi_u32 s6, s0, s5
	s_mul_hi_u32 s3, s0, s2
	s_add_u32 s4, s6, s4
	s_addc_u32 s3, 0, s3
	s_mul_hi_u32 s7, s1, s5
	s_mul_i32 s5, s1, s5
	s_add_u32 s4, s4, s5
	s_mul_hi_u32 s6, s1, s2
	s_addc_u32 s3, s3, s7
	s_addc_u32 s4, s6, 0
	s_mul_i32 s2, s1, s2
	s_add_u32 s2, s3, s2
	s_addc_u32 s3, 0, s4
	s_add_u32 s4, s2, 1
	s_addc_u32 s5, s3, 0
	s_add_u32 s6, s2, 2
	s_mul_i32 s8, s3, 14
	s_mul_hi_u32 s9, s2, 14
	s_addc_u32 s7, s3, 0
	s_add_i32 s9, s9, s8
	s_mul_i32 s8, s2, 14
	v_mov_b32_e32 v2, s8
	v_sub_co_u32_e32 v2, vcc, s0, v2
	s_cmp_lg_u64 vcc, 0
	s_subb_u32 s8, s1, s9
	v_subrev_co_u32_e32 v3, vcc, 14, v2
	s_cmp_lg_u64 vcc, 0
	s_subb_u32 s9, s8, 0
	v_readfirstlane_b32 s10, v3
	s_cmp_gt_u32 s10, 13
	s_cselect_b32 s10, -1, 0
	s_cmp_eq_u32 s9, 0
	s_cselect_b32 s9, s10, -1
	s_cmp_lg_u32 s9, 0
	s_cselect_b32 s4, s6, s4
	v_readfirstlane_b32 s6, v2
	s_cselect_b32 s5, s7, s5
	s_cmp_gt_u32 s6, 13
	s_cselect_b32 s6, -1, 0
	s_cmp_eq_u32 s8, 0
	s_cselect_b32 s6, s6, -1
	s_cmp_lg_u32 s6, 0
	v_mov_b32_e32 v1, 0
	s_cselect_b32 s3, s5, s3
	s_cselect_b32 s2, s4, s2
	v_cmp_eq_u64_e32 vcc, s[2:3], v[0:1]
	s_and_saveexec_b64 s[2:3], vcc
	s_cbranch_execz .LBB3262_125
; %bb.76:
	s_movk_i32 s2, 0xffcc
	v_mad_i32_i24 v2, v0, s2, v33
	v_mul_hi_u32_u24_e32 v1, 14, v0
	v_mov_b32_e32 v3, s1
	v_sub_co_u32_e32 v0, vcc, s0, v32
	v_subb_co_u32_e32 v1, vcc, v3, v1, vcc
	v_cmp_lt_i64_e32 vcc, 6, v[0:1]
	s_and_saveexec_b64 s[0:1], vcc
	s_xor_b64 s[0:1], exec, s[0:1]
	s_cbranch_execz .LBB3262_102
; %bb.77:
	v_cmp_lt_i64_e32 vcc, 9, v[0:1]
	s_and_saveexec_b64 s[2:3], vcc
	s_xor_b64 s[2:3], exec, s[2:3]
	s_cbranch_execz .LBB3262_91
; %bb.78:
	v_cmp_lt_i64_e32 vcc, 11, v[0:1]
	s_and_saveexec_b64 s[4:5], vcc
	s_xor_b64 s[4:5], exec, s[4:5]
	s_cbranch_execz .LBB3262_84
; %bb.79:
	v_cmp_lt_i64_e32 vcc, 12, v[0:1]
	s_and_saveexec_b64 s[6:7], vcc
	s_xor_b64 s[6:7], exec, s[6:7]
	s_cbranch_execz .LBB3262_81
; %bb.80:
	ds_read_b32 v0, v2 offset:6656
	v_mov_b32_e32 v1, 0
                                        ; implicit-def: $vgpr2
	s_waitcnt lgkmcnt(0)
	global_store_dword v1, v0, s[14:15]
.LBB3262_81:
	s_andn2_saveexec_b64 s[6:7], s[6:7]
	s_cbranch_execz .LBB3262_83
; %bb.82:
	ds_read_b32 v0, v2 offset:6144
	v_mov_b32_e32 v1, 0
	s_waitcnt lgkmcnt(0)
	global_store_dword v1, v0, s[14:15]
.LBB3262_83:
	s_or_b64 exec, exec, s[6:7]
                                        ; implicit-def: $vgpr2
                                        ; implicit-def: $vgpr0_vgpr1
.LBB3262_84:
	s_andn2_saveexec_b64 s[4:5], s[4:5]
	s_cbranch_execz .LBB3262_90
; %bb.85:
	v_cmp_lt_i64_e32 vcc, 10, v[0:1]
	s_and_saveexec_b64 s[6:7], vcc
	s_xor_b64 s[6:7], exec, s[6:7]
	s_cbranch_execz .LBB3262_87
; %bb.86:
	ds_read_b32 v0, v2 offset:5632
	v_mov_b32_e32 v1, 0
                                        ; implicit-def: $vgpr2
	s_waitcnt lgkmcnt(0)
	global_store_dword v1, v0, s[14:15]
.LBB3262_87:
	s_andn2_saveexec_b64 s[6:7], s[6:7]
	s_cbranch_execz .LBB3262_89
; %bb.88:
	ds_read_b32 v0, v2 offset:5120
	v_mov_b32_e32 v1, 0
	s_waitcnt lgkmcnt(0)
	global_store_dword v1, v0, s[14:15]
.LBB3262_89:
	s_or_b64 exec, exec, s[6:7]
.LBB3262_90:
	s_or_b64 exec, exec, s[4:5]
                                        ; implicit-def: $vgpr2
                                        ; implicit-def: $vgpr0_vgpr1
.LBB3262_91:
	s_andn2_saveexec_b64 s[2:3], s[2:3]
	s_cbranch_execz .LBB3262_101
; %bb.92:
	v_cmp_lt_i64_e32 vcc, 7, v[0:1]
	s_and_saveexec_b64 s[4:5], vcc
	s_xor_b64 s[4:5], exec, s[4:5]
	s_cbranch_execz .LBB3262_98
; %bb.93:
	v_cmp_lt_i64_e32 vcc, 8, v[0:1]
	s_and_saveexec_b64 s[6:7], vcc
	s_xor_b64 s[6:7], exec, s[6:7]
	s_cbranch_execz .LBB3262_95
; %bb.94:
	ds_read_b32 v0, v2 offset:4608
	v_mov_b32_e32 v1, 0
                                        ; implicit-def: $vgpr2
	s_waitcnt lgkmcnt(0)
	global_store_dword v1, v0, s[14:15]
.LBB3262_95:
	s_andn2_saveexec_b64 s[6:7], s[6:7]
	s_cbranch_execz .LBB3262_97
; %bb.96:
	ds_read_b32 v0, v2 offset:4096
	v_mov_b32_e32 v1, 0
	s_waitcnt lgkmcnt(0)
	global_store_dword v1, v0, s[14:15]
.LBB3262_97:
	s_or_b64 exec, exec, s[6:7]
                                        ; implicit-def: $vgpr2
.LBB3262_98:
	s_andn2_saveexec_b64 s[4:5], s[4:5]
	s_cbranch_execz .LBB3262_100
; %bb.99:
	ds_read_b32 v0, v2 offset:3584
	v_mov_b32_e32 v1, 0
	s_waitcnt lgkmcnt(0)
	global_store_dword v1, v0, s[14:15]
.LBB3262_100:
	s_or_b64 exec, exec, s[4:5]
.LBB3262_101:
	s_or_b64 exec, exec, s[2:3]
                                        ; implicit-def: $vgpr0_vgpr1
                                        ; implicit-def: $vgpr2
.LBB3262_102:
	s_andn2_saveexec_b64 s[0:1], s[0:1]
	s_cbranch_execz .LBB3262_125
; %bb.103:
	v_cmp_lt_i64_e32 vcc, 3, v[0:1]
	s_and_saveexec_b64 s[0:1], vcc
	s_xor_b64 s[0:1], exec, s[0:1]
	s_cbranch_execz .LBB3262_113
; %bb.104:
	v_cmp_lt_i64_e32 vcc, 4, v[0:1]
	s_and_saveexec_b64 s[2:3], vcc
	s_xor_b64 s[2:3], exec, s[2:3]
	;; [unrolled: 5-line block ×3, first 2 shown]
	s_cbranch_execz .LBB3262_107
; %bb.106:
	ds_read_b32 v0, v2 offset:3072
	v_mov_b32_e32 v1, 0
                                        ; implicit-def: $vgpr2
	s_waitcnt lgkmcnt(0)
	global_store_dword v1, v0, s[14:15]
.LBB3262_107:
	s_andn2_saveexec_b64 s[4:5], s[4:5]
	s_cbranch_execz .LBB3262_109
; %bb.108:
	ds_read_b32 v0, v2 offset:2560
	v_mov_b32_e32 v1, 0
	s_waitcnt lgkmcnt(0)
	global_store_dword v1, v0, s[14:15]
.LBB3262_109:
	s_or_b64 exec, exec, s[4:5]
                                        ; implicit-def: $vgpr2
.LBB3262_110:
	s_andn2_saveexec_b64 s[2:3], s[2:3]
	s_cbranch_execz .LBB3262_112
; %bb.111:
	ds_read_b32 v0, v2 offset:2048
	v_mov_b32_e32 v1, 0
	s_waitcnt lgkmcnt(0)
	global_store_dword v1, v0, s[14:15]
.LBB3262_112:
	s_or_b64 exec, exec, s[2:3]
                                        ; implicit-def: $vgpr0_vgpr1
                                        ; implicit-def: $vgpr2
.LBB3262_113:
	s_andn2_saveexec_b64 s[0:1], s[0:1]
	s_cbranch_execz .LBB3262_125
; %bb.114:
	v_cmp_lt_i64_e32 vcc, 1, v[0:1]
	s_and_saveexec_b64 s[0:1], vcc
	s_xor_b64 s[0:1], exec, s[0:1]
	s_cbranch_execz .LBB3262_120
; %bb.115:
	v_cmp_lt_i64_e32 vcc, 2, v[0:1]
	s_and_saveexec_b64 s[2:3], vcc
	s_xor_b64 s[2:3], exec, s[2:3]
	s_cbranch_execz .LBB3262_117
; %bb.116:
	ds_read_b32 v0, v2 offset:1536
	v_mov_b32_e32 v1, 0
                                        ; implicit-def: $vgpr2
	s_waitcnt lgkmcnt(0)
	global_store_dword v1, v0, s[14:15]
.LBB3262_117:
	s_andn2_saveexec_b64 s[2:3], s[2:3]
	s_cbranch_execz .LBB3262_119
; %bb.118:
	ds_read_b32 v0, v2 offset:1024
	v_mov_b32_e32 v1, 0
	s_waitcnt lgkmcnt(0)
	global_store_dword v1, v0, s[14:15]
.LBB3262_119:
	s_or_b64 exec, exec, s[2:3]
                                        ; implicit-def: $vgpr2
                                        ; implicit-def: $vgpr0_vgpr1
.LBB3262_120:
	s_andn2_saveexec_b64 s[0:1], s[0:1]
	s_cbranch_execz .LBB3262_125
; %bb.121:
	v_cmp_ne_u64_e32 vcc, 1, v[0:1]
	s_and_saveexec_b64 s[0:1], vcc
	s_xor_b64 s[0:1], exec, s[0:1]
	s_cbranch_execz .LBB3262_123
; %bb.122:
	ds_read_b32 v0, v2
	v_mov_b32_e32 v1, 0
                                        ; implicit-def: $vgpr2
	s_waitcnt lgkmcnt(0)
	global_store_dword v1, v0, s[14:15]
.LBB3262_123:
	s_andn2_saveexec_b64 s[0:1], s[0:1]
	s_cbranch_execz .LBB3262_125
; %bb.124:
	ds_read_b32 v0, v2 offset:512
	v_mov_b32_e32 v1, 0
	s_waitcnt lgkmcnt(0)
	global_store_dword v1, v0, s[14:15]
.LBB3262_125:
	s_endpgm
	.section	.rodata,"a",@progbits
	.p2align	6, 0x0
	.amdhsa_kernel _ZN7rocprim17ROCPRIM_400000_NS6detail17trampoline_kernelINS0_14default_configENS1_20scan_config_selectorIfEEZZNS1_9scan_implILNS1_25lookback_scan_determinismE0ELb1ELb1ES3_N6thrust23THRUST_200600_302600_NS6detail15normal_iteratorINS9_10device_ptrIfEEEENS9_16discard_iteratorINS9_11use_defaultEEEf11max_functorIfEfEEDaPvRmT3_T4_T5_mT6_P12ihipStream_tbENKUlT_T0_E_clISt17integral_constantIbLb0EESW_IbLb1EEEEDaSS_ST_EUlSS_E_NS1_11comp_targetILNS1_3genE4ELNS1_11target_archE910ELNS1_3gpuE8ELNS1_3repE0EEENS1_30default_config_static_selectorELNS0_4arch9wavefront6targetE1EEEvT1_
		.amdhsa_group_segment_fixed_size 7168
		.amdhsa_private_segment_fixed_size 0
		.amdhsa_kernarg_size 104
		.amdhsa_user_sgpr_count 6
		.amdhsa_user_sgpr_private_segment_buffer 1
		.amdhsa_user_sgpr_dispatch_ptr 0
		.amdhsa_user_sgpr_queue_ptr 0
		.amdhsa_user_sgpr_kernarg_segment_ptr 1
		.amdhsa_user_sgpr_dispatch_id 0
		.amdhsa_user_sgpr_flat_scratch_init 0
		.amdhsa_user_sgpr_kernarg_preload_length 0
		.amdhsa_user_sgpr_kernarg_preload_offset 0
		.amdhsa_user_sgpr_private_segment_size 0
		.amdhsa_uses_dynamic_stack 0
		.amdhsa_system_sgpr_private_segment_wavefront_offset 0
		.amdhsa_system_sgpr_workgroup_id_x 1
		.amdhsa_system_sgpr_workgroup_id_y 0
		.amdhsa_system_sgpr_workgroup_id_z 0
		.amdhsa_system_sgpr_workgroup_info 0
		.amdhsa_system_vgpr_workitem_id 0
		.amdhsa_next_free_vgpr 43
		.amdhsa_next_free_sgpr 32
		.amdhsa_accum_offset 44
		.amdhsa_reserve_vcc 1
		.amdhsa_reserve_flat_scratch 0
		.amdhsa_float_round_mode_32 0
		.amdhsa_float_round_mode_16_64 0
		.amdhsa_float_denorm_mode_32 3
		.amdhsa_float_denorm_mode_16_64 3
		.amdhsa_dx10_clamp 1
		.amdhsa_ieee_mode 1
		.amdhsa_fp16_overflow 0
		.amdhsa_tg_split 0
		.amdhsa_exception_fp_ieee_invalid_op 0
		.amdhsa_exception_fp_denorm_src 0
		.amdhsa_exception_fp_ieee_div_zero 0
		.amdhsa_exception_fp_ieee_overflow 0
		.amdhsa_exception_fp_ieee_underflow 0
		.amdhsa_exception_fp_ieee_inexact 0
		.amdhsa_exception_int_div_zero 0
	.end_amdhsa_kernel
	.section	.text._ZN7rocprim17ROCPRIM_400000_NS6detail17trampoline_kernelINS0_14default_configENS1_20scan_config_selectorIfEEZZNS1_9scan_implILNS1_25lookback_scan_determinismE0ELb1ELb1ES3_N6thrust23THRUST_200600_302600_NS6detail15normal_iteratorINS9_10device_ptrIfEEEENS9_16discard_iteratorINS9_11use_defaultEEEf11max_functorIfEfEEDaPvRmT3_T4_T5_mT6_P12ihipStream_tbENKUlT_T0_E_clISt17integral_constantIbLb0EESW_IbLb1EEEEDaSS_ST_EUlSS_E_NS1_11comp_targetILNS1_3genE4ELNS1_11target_archE910ELNS1_3gpuE8ELNS1_3repE0EEENS1_30default_config_static_selectorELNS0_4arch9wavefront6targetE1EEEvT1_,"axG",@progbits,_ZN7rocprim17ROCPRIM_400000_NS6detail17trampoline_kernelINS0_14default_configENS1_20scan_config_selectorIfEEZZNS1_9scan_implILNS1_25lookback_scan_determinismE0ELb1ELb1ES3_N6thrust23THRUST_200600_302600_NS6detail15normal_iteratorINS9_10device_ptrIfEEEENS9_16discard_iteratorINS9_11use_defaultEEEf11max_functorIfEfEEDaPvRmT3_T4_T5_mT6_P12ihipStream_tbENKUlT_T0_E_clISt17integral_constantIbLb0EESW_IbLb1EEEEDaSS_ST_EUlSS_E_NS1_11comp_targetILNS1_3genE4ELNS1_11target_archE910ELNS1_3gpuE8ELNS1_3repE0EEENS1_30default_config_static_selectorELNS0_4arch9wavefront6targetE1EEEvT1_,comdat
.Lfunc_end3262:
	.size	_ZN7rocprim17ROCPRIM_400000_NS6detail17trampoline_kernelINS0_14default_configENS1_20scan_config_selectorIfEEZZNS1_9scan_implILNS1_25lookback_scan_determinismE0ELb1ELb1ES3_N6thrust23THRUST_200600_302600_NS6detail15normal_iteratorINS9_10device_ptrIfEEEENS9_16discard_iteratorINS9_11use_defaultEEEf11max_functorIfEfEEDaPvRmT3_T4_T5_mT6_P12ihipStream_tbENKUlT_T0_E_clISt17integral_constantIbLb0EESW_IbLb1EEEEDaSS_ST_EUlSS_E_NS1_11comp_targetILNS1_3genE4ELNS1_11target_archE910ELNS1_3gpuE8ELNS1_3repE0EEENS1_30default_config_static_selectorELNS0_4arch9wavefront6targetE1EEEvT1_, .Lfunc_end3262-_ZN7rocprim17ROCPRIM_400000_NS6detail17trampoline_kernelINS0_14default_configENS1_20scan_config_selectorIfEEZZNS1_9scan_implILNS1_25lookback_scan_determinismE0ELb1ELb1ES3_N6thrust23THRUST_200600_302600_NS6detail15normal_iteratorINS9_10device_ptrIfEEEENS9_16discard_iteratorINS9_11use_defaultEEEf11max_functorIfEfEEDaPvRmT3_T4_T5_mT6_P12ihipStream_tbENKUlT_T0_E_clISt17integral_constantIbLb0EESW_IbLb1EEEEDaSS_ST_EUlSS_E_NS1_11comp_targetILNS1_3genE4ELNS1_11target_archE910ELNS1_3gpuE8ELNS1_3repE0EEENS1_30default_config_static_selectorELNS0_4arch9wavefront6targetE1EEEvT1_
                                        ; -- End function
	.section	.AMDGPU.csdata,"",@progbits
; Kernel info:
; codeLenInByte = 5476
; NumSgprs: 36
; NumVgprs: 43
; NumAgprs: 0
; TotalNumVgprs: 43
; ScratchSize: 0
; MemoryBound: 0
; FloatMode: 240
; IeeeMode: 1
; LDSByteSize: 7168 bytes/workgroup (compile time only)
; SGPRBlocks: 4
; VGPRBlocks: 5
; NumSGPRsForWavesPerEU: 36
; NumVGPRsForWavesPerEU: 43
; AccumOffset: 44
; Occupancy: 5
; WaveLimiterHint : 1
; COMPUTE_PGM_RSRC2:SCRATCH_EN: 0
; COMPUTE_PGM_RSRC2:USER_SGPR: 6
; COMPUTE_PGM_RSRC2:TRAP_HANDLER: 0
; COMPUTE_PGM_RSRC2:TGID_X_EN: 1
; COMPUTE_PGM_RSRC2:TGID_Y_EN: 0
; COMPUTE_PGM_RSRC2:TGID_Z_EN: 0
; COMPUTE_PGM_RSRC2:TIDIG_COMP_CNT: 0
; COMPUTE_PGM_RSRC3_GFX90A:ACCUM_OFFSET: 10
; COMPUTE_PGM_RSRC3_GFX90A:TG_SPLIT: 0
	.section	.text._ZN7rocprim17ROCPRIM_400000_NS6detail17trampoline_kernelINS0_14default_configENS1_20scan_config_selectorIfEEZZNS1_9scan_implILNS1_25lookback_scan_determinismE0ELb1ELb1ES3_N6thrust23THRUST_200600_302600_NS6detail15normal_iteratorINS9_10device_ptrIfEEEENS9_16discard_iteratorINS9_11use_defaultEEEf11max_functorIfEfEEDaPvRmT3_T4_T5_mT6_P12ihipStream_tbENKUlT_T0_E_clISt17integral_constantIbLb0EESW_IbLb1EEEEDaSS_ST_EUlSS_E_NS1_11comp_targetILNS1_3genE3ELNS1_11target_archE908ELNS1_3gpuE7ELNS1_3repE0EEENS1_30default_config_static_selectorELNS0_4arch9wavefront6targetE1EEEvT1_,"axG",@progbits,_ZN7rocprim17ROCPRIM_400000_NS6detail17trampoline_kernelINS0_14default_configENS1_20scan_config_selectorIfEEZZNS1_9scan_implILNS1_25lookback_scan_determinismE0ELb1ELb1ES3_N6thrust23THRUST_200600_302600_NS6detail15normal_iteratorINS9_10device_ptrIfEEEENS9_16discard_iteratorINS9_11use_defaultEEEf11max_functorIfEfEEDaPvRmT3_T4_T5_mT6_P12ihipStream_tbENKUlT_T0_E_clISt17integral_constantIbLb0EESW_IbLb1EEEEDaSS_ST_EUlSS_E_NS1_11comp_targetILNS1_3genE3ELNS1_11target_archE908ELNS1_3gpuE7ELNS1_3repE0EEENS1_30default_config_static_selectorELNS0_4arch9wavefront6targetE1EEEvT1_,comdat
	.protected	_ZN7rocprim17ROCPRIM_400000_NS6detail17trampoline_kernelINS0_14default_configENS1_20scan_config_selectorIfEEZZNS1_9scan_implILNS1_25lookback_scan_determinismE0ELb1ELb1ES3_N6thrust23THRUST_200600_302600_NS6detail15normal_iteratorINS9_10device_ptrIfEEEENS9_16discard_iteratorINS9_11use_defaultEEEf11max_functorIfEfEEDaPvRmT3_T4_T5_mT6_P12ihipStream_tbENKUlT_T0_E_clISt17integral_constantIbLb0EESW_IbLb1EEEEDaSS_ST_EUlSS_E_NS1_11comp_targetILNS1_3genE3ELNS1_11target_archE908ELNS1_3gpuE7ELNS1_3repE0EEENS1_30default_config_static_selectorELNS0_4arch9wavefront6targetE1EEEvT1_ ; -- Begin function _ZN7rocprim17ROCPRIM_400000_NS6detail17trampoline_kernelINS0_14default_configENS1_20scan_config_selectorIfEEZZNS1_9scan_implILNS1_25lookback_scan_determinismE0ELb1ELb1ES3_N6thrust23THRUST_200600_302600_NS6detail15normal_iteratorINS9_10device_ptrIfEEEENS9_16discard_iteratorINS9_11use_defaultEEEf11max_functorIfEfEEDaPvRmT3_T4_T5_mT6_P12ihipStream_tbENKUlT_T0_E_clISt17integral_constantIbLb0EESW_IbLb1EEEEDaSS_ST_EUlSS_E_NS1_11comp_targetILNS1_3genE3ELNS1_11target_archE908ELNS1_3gpuE7ELNS1_3repE0EEENS1_30default_config_static_selectorELNS0_4arch9wavefront6targetE1EEEvT1_
	.globl	_ZN7rocprim17ROCPRIM_400000_NS6detail17trampoline_kernelINS0_14default_configENS1_20scan_config_selectorIfEEZZNS1_9scan_implILNS1_25lookback_scan_determinismE0ELb1ELb1ES3_N6thrust23THRUST_200600_302600_NS6detail15normal_iteratorINS9_10device_ptrIfEEEENS9_16discard_iteratorINS9_11use_defaultEEEf11max_functorIfEfEEDaPvRmT3_T4_T5_mT6_P12ihipStream_tbENKUlT_T0_E_clISt17integral_constantIbLb0EESW_IbLb1EEEEDaSS_ST_EUlSS_E_NS1_11comp_targetILNS1_3genE3ELNS1_11target_archE908ELNS1_3gpuE7ELNS1_3repE0EEENS1_30default_config_static_selectorELNS0_4arch9wavefront6targetE1EEEvT1_
	.p2align	8
	.type	_ZN7rocprim17ROCPRIM_400000_NS6detail17trampoline_kernelINS0_14default_configENS1_20scan_config_selectorIfEEZZNS1_9scan_implILNS1_25lookback_scan_determinismE0ELb1ELb1ES3_N6thrust23THRUST_200600_302600_NS6detail15normal_iteratorINS9_10device_ptrIfEEEENS9_16discard_iteratorINS9_11use_defaultEEEf11max_functorIfEfEEDaPvRmT3_T4_T5_mT6_P12ihipStream_tbENKUlT_T0_E_clISt17integral_constantIbLb0EESW_IbLb1EEEEDaSS_ST_EUlSS_E_NS1_11comp_targetILNS1_3genE3ELNS1_11target_archE908ELNS1_3gpuE7ELNS1_3repE0EEENS1_30default_config_static_selectorELNS0_4arch9wavefront6targetE1EEEvT1_,@function
_ZN7rocprim17ROCPRIM_400000_NS6detail17trampoline_kernelINS0_14default_configENS1_20scan_config_selectorIfEEZZNS1_9scan_implILNS1_25lookback_scan_determinismE0ELb1ELb1ES3_N6thrust23THRUST_200600_302600_NS6detail15normal_iteratorINS9_10device_ptrIfEEEENS9_16discard_iteratorINS9_11use_defaultEEEf11max_functorIfEfEEDaPvRmT3_T4_T5_mT6_P12ihipStream_tbENKUlT_T0_E_clISt17integral_constantIbLb0EESW_IbLb1EEEEDaSS_ST_EUlSS_E_NS1_11comp_targetILNS1_3genE3ELNS1_11target_archE908ELNS1_3gpuE7ELNS1_3repE0EEENS1_30default_config_static_selectorELNS0_4arch9wavefront6targetE1EEEvT1_: ; @_ZN7rocprim17ROCPRIM_400000_NS6detail17trampoline_kernelINS0_14default_configENS1_20scan_config_selectorIfEEZZNS1_9scan_implILNS1_25lookback_scan_determinismE0ELb1ELb1ES3_N6thrust23THRUST_200600_302600_NS6detail15normal_iteratorINS9_10device_ptrIfEEEENS9_16discard_iteratorINS9_11use_defaultEEEf11max_functorIfEfEEDaPvRmT3_T4_T5_mT6_P12ihipStream_tbENKUlT_T0_E_clISt17integral_constantIbLb0EESW_IbLb1EEEEDaSS_ST_EUlSS_E_NS1_11comp_targetILNS1_3genE3ELNS1_11target_archE908ELNS1_3gpuE7ELNS1_3repE0EEENS1_30default_config_static_selectorELNS0_4arch9wavefront6targetE1EEEvT1_
; %bb.0:
	.section	.rodata,"a",@progbits
	.p2align	6, 0x0
	.amdhsa_kernel _ZN7rocprim17ROCPRIM_400000_NS6detail17trampoline_kernelINS0_14default_configENS1_20scan_config_selectorIfEEZZNS1_9scan_implILNS1_25lookback_scan_determinismE0ELb1ELb1ES3_N6thrust23THRUST_200600_302600_NS6detail15normal_iteratorINS9_10device_ptrIfEEEENS9_16discard_iteratorINS9_11use_defaultEEEf11max_functorIfEfEEDaPvRmT3_T4_T5_mT6_P12ihipStream_tbENKUlT_T0_E_clISt17integral_constantIbLb0EESW_IbLb1EEEEDaSS_ST_EUlSS_E_NS1_11comp_targetILNS1_3genE3ELNS1_11target_archE908ELNS1_3gpuE7ELNS1_3repE0EEENS1_30default_config_static_selectorELNS0_4arch9wavefront6targetE1EEEvT1_
		.amdhsa_group_segment_fixed_size 0
		.amdhsa_private_segment_fixed_size 0
		.amdhsa_kernarg_size 104
		.amdhsa_user_sgpr_count 6
		.amdhsa_user_sgpr_private_segment_buffer 1
		.amdhsa_user_sgpr_dispatch_ptr 0
		.amdhsa_user_sgpr_queue_ptr 0
		.amdhsa_user_sgpr_kernarg_segment_ptr 1
		.amdhsa_user_sgpr_dispatch_id 0
		.amdhsa_user_sgpr_flat_scratch_init 0
		.amdhsa_user_sgpr_kernarg_preload_length 0
		.amdhsa_user_sgpr_kernarg_preload_offset 0
		.amdhsa_user_sgpr_private_segment_size 0
		.amdhsa_uses_dynamic_stack 0
		.amdhsa_system_sgpr_private_segment_wavefront_offset 0
		.amdhsa_system_sgpr_workgroup_id_x 1
		.amdhsa_system_sgpr_workgroup_id_y 0
		.amdhsa_system_sgpr_workgroup_id_z 0
		.amdhsa_system_sgpr_workgroup_info 0
		.amdhsa_system_vgpr_workitem_id 0
		.amdhsa_next_free_vgpr 1
		.amdhsa_next_free_sgpr 0
		.amdhsa_accum_offset 4
		.amdhsa_reserve_vcc 0
		.amdhsa_reserve_flat_scratch 0
		.amdhsa_float_round_mode_32 0
		.amdhsa_float_round_mode_16_64 0
		.amdhsa_float_denorm_mode_32 3
		.amdhsa_float_denorm_mode_16_64 3
		.amdhsa_dx10_clamp 1
		.amdhsa_ieee_mode 1
		.amdhsa_fp16_overflow 0
		.amdhsa_tg_split 0
		.amdhsa_exception_fp_ieee_invalid_op 0
		.amdhsa_exception_fp_denorm_src 0
		.amdhsa_exception_fp_ieee_div_zero 0
		.amdhsa_exception_fp_ieee_overflow 0
		.amdhsa_exception_fp_ieee_underflow 0
		.amdhsa_exception_fp_ieee_inexact 0
		.amdhsa_exception_int_div_zero 0
	.end_amdhsa_kernel
	.section	.text._ZN7rocprim17ROCPRIM_400000_NS6detail17trampoline_kernelINS0_14default_configENS1_20scan_config_selectorIfEEZZNS1_9scan_implILNS1_25lookback_scan_determinismE0ELb1ELb1ES3_N6thrust23THRUST_200600_302600_NS6detail15normal_iteratorINS9_10device_ptrIfEEEENS9_16discard_iteratorINS9_11use_defaultEEEf11max_functorIfEfEEDaPvRmT3_T4_T5_mT6_P12ihipStream_tbENKUlT_T0_E_clISt17integral_constantIbLb0EESW_IbLb1EEEEDaSS_ST_EUlSS_E_NS1_11comp_targetILNS1_3genE3ELNS1_11target_archE908ELNS1_3gpuE7ELNS1_3repE0EEENS1_30default_config_static_selectorELNS0_4arch9wavefront6targetE1EEEvT1_,"axG",@progbits,_ZN7rocprim17ROCPRIM_400000_NS6detail17trampoline_kernelINS0_14default_configENS1_20scan_config_selectorIfEEZZNS1_9scan_implILNS1_25lookback_scan_determinismE0ELb1ELb1ES3_N6thrust23THRUST_200600_302600_NS6detail15normal_iteratorINS9_10device_ptrIfEEEENS9_16discard_iteratorINS9_11use_defaultEEEf11max_functorIfEfEEDaPvRmT3_T4_T5_mT6_P12ihipStream_tbENKUlT_T0_E_clISt17integral_constantIbLb0EESW_IbLb1EEEEDaSS_ST_EUlSS_E_NS1_11comp_targetILNS1_3genE3ELNS1_11target_archE908ELNS1_3gpuE7ELNS1_3repE0EEENS1_30default_config_static_selectorELNS0_4arch9wavefront6targetE1EEEvT1_,comdat
.Lfunc_end3263:
	.size	_ZN7rocprim17ROCPRIM_400000_NS6detail17trampoline_kernelINS0_14default_configENS1_20scan_config_selectorIfEEZZNS1_9scan_implILNS1_25lookback_scan_determinismE0ELb1ELb1ES3_N6thrust23THRUST_200600_302600_NS6detail15normal_iteratorINS9_10device_ptrIfEEEENS9_16discard_iteratorINS9_11use_defaultEEEf11max_functorIfEfEEDaPvRmT3_T4_T5_mT6_P12ihipStream_tbENKUlT_T0_E_clISt17integral_constantIbLb0EESW_IbLb1EEEEDaSS_ST_EUlSS_E_NS1_11comp_targetILNS1_3genE3ELNS1_11target_archE908ELNS1_3gpuE7ELNS1_3repE0EEENS1_30default_config_static_selectorELNS0_4arch9wavefront6targetE1EEEvT1_, .Lfunc_end3263-_ZN7rocprim17ROCPRIM_400000_NS6detail17trampoline_kernelINS0_14default_configENS1_20scan_config_selectorIfEEZZNS1_9scan_implILNS1_25lookback_scan_determinismE0ELb1ELb1ES3_N6thrust23THRUST_200600_302600_NS6detail15normal_iteratorINS9_10device_ptrIfEEEENS9_16discard_iteratorINS9_11use_defaultEEEf11max_functorIfEfEEDaPvRmT3_T4_T5_mT6_P12ihipStream_tbENKUlT_T0_E_clISt17integral_constantIbLb0EESW_IbLb1EEEEDaSS_ST_EUlSS_E_NS1_11comp_targetILNS1_3genE3ELNS1_11target_archE908ELNS1_3gpuE7ELNS1_3repE0EEENS1_30default_config_static_selectorELNS0_4arch9wavefront6targetE1EEEvT1_
                                        ; -- End function
	.section	.AMDGPU.csdata,"",@progbits
; Kernel info:
; codeLenInByte = 0
; NumSgprs: 4
; NumVgprs: 0
; NumAgprs: 0
; TotalNumVgprs: 0
; ScratchSize: 0
; MemoryBound: 0
; FloatMode: 240
; IeeeMode: 1
; LDSByteSize: 0 bytes/workgroup (compile time only)
; SGPRBlocks: 0
; VGPRBlocks: 0
; NumSGPRsForWavesPerEU: 4
; NumVGPRsForWavesPerEU: 1
; AccumOffset: 4
; Occupancy: 8
; WaveLimiterHint : 0
; COMPUTE_PGM_RSRC2:SCRATCH_EN: 0
; COMPUTE_PGM_RSRC2:USER_SGPR: 6
; COMPUTE_PGM_RSRC2:TRAP_HANDLER: 0
; COMPUTE_PGM_RSRC2:TGID_X_EN: 1
; COMPUTE_PGM_RSRC2:TGID_Y_EN: 0
; COMPUTE_PGM_RSRC2:TGID_Z_EN: 0
; COMPUTE_PGM_RSRC2:TIDIG_COMP_CNT: 0
; COMPUTE_PGM_RSRC3_GFX90A:ACCUM_OFFSET: 0
; COMPUTE_PGM_RSRC3_GFX90A:TG_SPLIT: 0
	.section	.text._ZN7rocprim17ROCPRIM_400000_NS6detail17trampoline_kernelINS0_14default_configENS1_20scan_config_selectorIfEEZZNS1_9scan_implILNS1_25lookback_scan_determinismE0ELb1ELb1ES3_N6thrust23THRUST_200600_302600_NS6detail15normal_iteratorINS9_10device_ptrIfEEEENS9_16discard_iteratorINS9_11use_defaultEEEf11max_functorIfEfEEDaPvRmT3_T4_T5_mT6_P12ihipStream_tbENKUlT_T0_E_clISt17integral_constantIbLb0EESW_IbLb1EEEEDaSS_ST_EUlSS_E_NS1_11comp_targetILNS1_3genE2ELNS1_11target_archE906ELNS1_3gpuE6ELNS1_3repE0EEENS1_30default_config_static_selectorELNS0_4arch9wavefront6targetE1EEEvT1_,"axG",@progbits,_ZN7rocprim17ROCPRIM_400000_NS6detail17trampoline_kernelINS0_14default_configENS1_20scan_config_selectorIfEEZZNS1_9scan_implILNS1_25lookback_scan_determinismE0ELb1ELb1ES3_N6thrust23THRUST_200600_302600_NS6detail15normal_iteratorINS9_10device_ptrIfEEEENS9_16discard_iteratorINS9_11use_defaultEEEf11max_functorIfEfEEDaPvRmT3_T4_T5_mT6_P12ihipStream_tbENKUlT_T0_E_clISt17integral_constantIbLb0EESW_IbLb1EEEEDaSS_ST_EUlSS_E_NS1_11comp_targetILNS1_3genE2ELNS1_11target_archE906ELNS1_3gpuE6ELNS1_3repE0EEENS1_30default_config_static_selectorELNS0_4arch9wavefront6targetE1EEEvT1_,comdat
	.protected	_ZN7rocprim17ROCPRIM_400000_NS6detail17trampoline_kernelINS0_14default_configENS1_20scan_config_selectorIfEEZZNS1_9scan_implILNS1_25lookback_scan_determinismE0ELb1ELb1ES3_N6thrust23THRUST_200600_302600_NS6detail15normal_iteratorINS9_10device_ptrIfEEEENS9_16discard_iteratorINS9_11use_defaultEEEf11max_functorIfEfEEDaPvRmT3_T4_T5_mT6_P12ihipStream_tbENKUlT_T0_E_clISt17integral_constantIbLb0EESW_IbLb1EEEEDaSS_ST_EUlSS_E_NS1_11comp_targetILNS1_3genE2ELNS1_11target_archE906ELNS1_3gpuE6ELNS1_3repE0EEENS1_30default_config_static_selectorELNS0_4arch9wavefront6targetE1EEEvT1_ ; -- Begin function _ZN7rocprim17ROCPRIM_400000_NS6detail17trampoline_kernelINS0_14default_configENS1_20scan_config_selectorIfEEZZNS1_9scan_implILNS1_25lookback_scan_determinismE0ELb1ELb1ES3_N6thrust23THRUST_200600_302600_NS6detail15normal_iteratorINS9_10device_ptrIfEEEENS9_16discard_iteratorINS9_11use_defaultEEEf11max_functorIfEfEEDaPvRmT3_T4_T5_mT6_P12ihipStream_tbENKUlT_T0_E_clISt17integral_constantIbLb0EESW_IbLb1EEEEDaSS_ST_EUlSS_E_NS1_11comp_targetILNS1_3genE2ELNS1_11target_archE906ELNS1_3gpuE6ELNS1_3repE0EEENS1_30default_config_static_selectorELNS0_4arch9wavefront6targetE1EEEvT1_
	.globl	_ZN7rocprim17ROCPRIM_400000_NS6detail17trampoline_kernelINS0_14default_configENS1_20scan_config_selectorIfEEZZNS1_9scan_implILNS1_25lookback_scan_determinismE0ELb1ELb1ES3_N6thrust23THRUST_200600_302600_NS6detail15normal_iteratorINS9_10device_ptrIfEEEENS9_16discard_iteratorINS9_11use_defaultEEEf11max_functorIfEfEEDaPvRmT3_T4_T5_mT6_P12ihipStream_tbENKUlT_T0_E_clISt17integral_constantIbLb0EESW_IbLb1EEEEDaSS_ST_EUlSS_E_NS1_11comp_targetILNS1_3genE2ELNS1_11target_archE906ELNS1_3gpuE6ELNS1_3repE0EEENS1_30default_config_static_selectorELNS0_4arch9wavefront6targetE1EEEvT1_
	.p2align	8
	.type	_ZN7rocprim17ROCPRIM_400000_NS6detail17trampoline_kernelINS0_14default_configENS1_20scan_config_selectorIfEEZZNS1_9scan_implILNS1_25lookback_scan_determinismE0ELb1ELb1ES3_N6thrust23THRUST_200600_302600_NS6detail15normal_iteratorINS9_10device_ptrIfEEEENS9_16discard_iteratorINS9_11use_defaultEEEf11max_functorIfEfEEDaPvRmT3_T4_T5_mT6_P12ihipStream_tbENKUlT_T0_E_clISt17integral_constantIbLb0EESW_IbLb1EEEEDaSS_ST_EUlSS_E_NS1_11comp_targetILNS1_3genE2ELNS1_11target_archE906ELNS1_3gpuE6ELNS1_3repE0EEENS1_30default_config_static_selectorELNS0_4arch9wavefront6targetE1EEEvT1_,@function
_ZN7rocprim17ROCPRIM_400000_NS6detail17trampoline_kernelINS0_14default_configENS1_20scan_config_selectorIfEEZZNS1_9scan_implILNS1_25lookback_scan_determinismE0ELb1ELb1ES3_N6thrust23THRUST_200600_302600_NS6detail15normal_iteratorINS9_10device_ptrIfEEEENS9_16discard_iteratorINS9_11use_defaultEEEf11max_functorIfEfEEDaPvRmT3_T4_T5_mT6_P12ihipStream_tbENKUlT_T0_E_clISt17integral_constantIbLb0EESW_IbLb1EEEEDaSS_ST_EUlSS_E_NS1_11comp_targetILNS1_3genE2ELNS1_11target_archE906ELNS1_3gpuE6ELNS1_3repE0EEENS1_30default_config_static_selectorELNS0_4arch9wavefront6targetE1EEEvT1_: ; @_ZN7rocprim17ROCPRIM_400000_NS6detail17trampoline_kernelINS0_14default_configENS1_20scan_config_selectorIfEEZZNS1_9scan_implILNS1_25lookback_scan_determinismE0ELb1ELb1ES3_N6thrust23THRUST_200600_302600_NS6detail15normal_iteratorINS9_10device_ptrIfEEEENS9_16discard_iteratorINS9_11use_defaultEEEf11max_functorIfEfEEDaPvRmT3_T4_T5_mT6_P12ihipStream_tbENKUlT_T0_E_clISt17integral_constantIbLb0EESW_IbLb1EEEEDaSS_ST_EUlSS_E_NS1_11comp_targetILNS1_3genE2ELNS1_11target_archE906ELNS1_3gpuE6ELNS1_3repE0EEENS1_30default_config_static_selectorELNS0_4arch9wavefront6targetE1EEEvT1_
; %bb.0:
	.section	.rodata,"a",@progbits
	.p2align	6, 0x0
	.amdhsa_kernel _ZN7rocprim17ROCPRIM_400000_NS6detail17trampoline_kernelINS0_14default_configENS1_20scan_config_selectorIfEEZZNS1_9scan_implILNS1_25lookback_scan_determinismE0ELb1ELb1ES3_N6thrust23THRUST_200600_302600_NS6detail15normal_iteratorINS9_10device_ptrIfEEEENS9_16discard_iteratorINS9_11use_defaultEEEf11max_functorIfEfEEDaPvRmT3_T4_T5_mT6_P12ihipStream_tbENKUlT_T0_E_clISt17integral_constantIbLb0EESW_IbLb1EEEEDaSS_ST_EUlSS_E_NS1_11comp_targetILNS1_3genE2ELNS1_11target_archE906ELNS1_3gpuE6ELNS1_3repE0EEENS1_30default_config_static_selectorELNS0_4arch9wavefront6targetE1EEEvT1_
		.amdhsa_group_segment_fixed_size 0
		.amdhsa_private_segment_fixed_size 0
		.amdhsa_kernarg_size 104
		.amdhsa_user_sgpr_count 6
		.amdhsa_user_sgpr_private_segment_buffer 1
		.amdhsa_user_sgpr_dispatch_ptr 0
		.amdhsa_user_sgpr_queue_ptr 0
		.amdhsa_user_sgpr_kernarg_segment_ptr 1
		.amdhsa_user_sgpr_dispatch_id 0
		.amdhsa_user_sgpr_flat_scratch_init 0
		.amdhsa_user_sgpr_kernarg_preload_length 0
		.amdhsa_user_sgpr_kernarg_preload_offset 0
		.amdhsa_user_sgpr_private_segment_size 0
		.amdhsa_uses_dynamic_stack 0
		.amdhsa_system_sgpr_private_segment_wavefront_offset 0
		.amdhsa_system_sgpr_workgroup_id_x 1
		.amdhsa_system_sgpr_workgroup_id_y 0
		.amdhsa_system_sgpr_workgroup_id_z 0
		.amdhsa_system_sgpr_workgroup_info 0
		.amdhsa_system_vgpr_workitem_id 0
		.amdhsa_next_free_vgpr 1
		.amdhsa_next_free_sgpr 0
		.amdhsa_accum_offset 4
		.amdhsa_reserve_vcc 0
		.amdhsa_reserve_flat_scratch 0
		.amdhsa_float_round_mode_32 0
		.amdhsa_float_round_mode_16_64 0
		.amdhsa_float_denorm_mode_32 3
		.amdhsa_float_denorm_mode_16_64 3
		.amdhsa_dx10_clamp 1
		.amdhsa_ieee_mode 1
		.amdhsa_fp16_overflow 0
		.amdhsa_tg_split 0
		.amdhsa_exception_fp_ieee_invalid_op 0
		.amdhsa_exception_fp_denorm_src 0
		.amdhsa_exception_fp_ieee_div_zero 0
		.amdhsa_exception_fp_ieee_overflow 0
		.amdhsa_exception_fp_ieee_underflow 0
		.amdhsa_exception_fp_ieee_inexact 0
		.amdhsa_exception_int_div_zero 0
	.end_amdhsa_kernel
	.section	.text._ZN7rocprim17ROCPRIM_400000_NS6detail17trampoline_kernelINS0_14default_configENS1_20scan_config_selectorIfEEZZNS1_9scan_implILNS1_25lookback_scan_determinismE0ELb1ELb1ES3_N6thrust23THRUST_200600_302600_NS6detail15normal_iteratorINS9_10device_ptrIfEEEENS9_16discard_iteratorINS9_11use_defaultEEEf11max_functorIfEfEEDaPvRmT3_T4_T5_mT6_P12ihipStream_tbENKUlT_T0_E_clISt17integral_constantIbLb0EESW_IbLb1EEEEDaSS_ST_EUlSS_E_NS1_11comp_targetILNS1_3genE2ELNS1_11target_archE906ELNS1_3gpuE6ELNS1_3repE0EEENS1_30default_config_static_selectorELNS0_4arch9wavefront6targetE1EEEvT1_,"axG",@progbits,_ZN7rocprim17ROCPRIM_400000_NS6detail17trampoline_kernelINS0_14default_configENS1_20scan_config_selectorIfEEZZNS1_9scan_implILNS1_25lookback_scan_determinismE0ELb1ELb1ES3_N6thrust23THRUST_200600_302600_NS6detail15normal_iteratorINS9_10device_ptrIfEEEENS9_16discard_iteratorINS9_11use_defaultEEEf11max_functorIfEfEEDaPvRmT3_T4_T5_mT6_P12ihipStream_tbENKUlT_T0_E_clISt17integral_constantIbLb0EESW_IbLb1EEEEDaSS_ST_EUlSS_E_NS1_11comp_targetILNS1_3genE2ELNS1_11target_archE906ELNS1_3gpuE6ELNS1_3repE0EEENS1_30default_config_static_selectorELNS0_4arch9wavefront6targetE1EEEvT1_,comdat
.Lfunc_end3264:
	.size	_ZN7rocprim17ROCPRIM_400000_NS6detail17trampoline_kernelINS0_14default_configENS1_20scan_config_selectorIfEEZZNS1_9scan_implILNS1_25lookback_scan_determinismE0ELb1ELb1ES3_N6thrust23THRUST_200600_302600_NS6detail15normal_iteratorINS9_10device_ptrIfEEEENS9_16discard_iteratorINS9_11use_defaultEEEf11max_functorIfEfEEDaPvRmT3_T4_T5_mT6_P12ihipStream_tbENKUlT_T0_E_clISt17integral_constantIbLb0EESW_IbLb1EEEEDaSS_ST_EUlSS_E_NS1_11comp_targetILNS1_3genE2ELNS1_11target_archE906ELNS1_3gpuE6ELNS1_3repE0EEENS1_30default_config_static_selectorELNS0_4arch9wavefront6targetE1EEEvT1_, .Lfunc_end3264-_ZN7rocprim17ROCPRIM_400000_NS6detail17trampoline_kernelINS0_14default_configENS1_20scan_config_selectorIfEEZZNS1_9scan_implILNS1_25lookback_scan_determinismE0ELb1ELb1ES3_N6thrust23THRUST_200600_302600_NS6detail15normal_iteratorINS9_10device_ptrIfEEEENS9_16discard_iteratorINS9_11use_defaultEEEf11max_functorIfEfEEDaPvRmT3_T4_T5_mT6_P12ihipStream_tbENKUlT_T0_E_clISt17integral_constantIbLb0EESW_IbLb1EEEEDaSS_ST_EUlSS_E_NS1_11comp_targetILNS1_3genE2ELNS1_11target_archE906ELNS1_3gpuE6ELNS1_3repE0EEENS1_30default_config_static_selectorELNS0_4arch9wavefront6targetE1EEEvT1_
                                        ; -- End function
	.section	.AMDGPU.csdata,"",@progbits
; Kernel info:
; codeLenInByte = 0
; NumSgprs: 4
; NumVgprs: 0
; NumAgprs: 0
; TotalNumVgprs: 0
; ScratchSize: 0
; MemoryBound: 0
; FloatMode: 240
; IeeeMode: 1
; LDSByteSize: 0 bytes/workgroup (compile time only)
; SGPRBlocks: 0
; VGPRBlocks: 0
; NumSGPRsForWavesPerEU: 4
; NumVGPRsForWavesPerEU: 1
; AccumOffset: 4
; Occupancy: 8
; WaveLimiterHint : 0
; COMPUTE_PGM_RSRC2:SCRATCH_EN: 0
; COMPUTE_PGM_RSRC2:USER_SGPR: 6
; COMPUTE_PGM_RSRC2:TRAP_HANDLER: 0
; COMPUTE_PGM_RSRC2:TGID_X_EN: 1
; COMPUTE_PGM_RSRC2:TGID_Y_EN: 0
; COMPUTE_PGM_RSRC2:TGID_Z_EN: 0
; COMPUTE_PGM_RSRC2:TIDIG_COMP_CNT: 0
; COMPUTE_PGM_RSRC3_GFX90A:ACCUM_OFFSET: 0
; COMPUTE_PGM_RSRC3_GFX90A:TG_SPLIT: 0
	.section	.text._ZN7rocprim17ROCPRIM_400000_NS6detail17trampoline_kernelINS0_14default_configENS1_20scan_config_selectorIfEEZZNS1_9scan_implILNS1_25lookback_scan_determinismE0ELb1ELb1ES3_N6thrust23THRUST_200600_302600_NS6detail15normal_iteratorINS9_10device_ptrIfEEEENS9_16discard_iteratorINS9_11use_defaultEEEf11max_functorIfEfEEDaPvRmT3_T4_T5_mT6_P12ihipStream_tbENKUlT_T0_E_clISt17integral_constantIbLb0EESW_IbLb1EEEEDaSS_ST_EUlSS_E_NS1_11comp_targetILNS1_3genE10ELNS1_11target_archE1201ELNS1_3gpuE5ELNS1_3repE0EEENS1_30default_config_static_selectorELNS0_4arch9wavefront6targetE1EEEvT1_,"axG",@progbits,_ZN7rocprim17ROCPRIM_400000_NS6detail17trampoline_kernelINS0_14default_configENS1_20scan_config_selectorIfEEZZNS1_9scan_implILNS1_25lookback_scan_determinismE0ELb1ELb1ES3_N6thrust23THRUST_200600_302600_NS6detail15normal_iteratorINS9_10device_ptrIfEEEENS9_16discard_iteratorINS9_11use_defaultEEEf11max_functorIfEfEEDaPvRmT3_T4_T5_mT6_P12ihipStream_tbENKUlT_T0_E_clISt17integral_constantIbLb0EESW_IbLb1EEEEDaSS_ST_EUlSS_E_NS1_11comp_targetILNS1_3genE10ELNS1_11target_archE1201ELNS1_3gpuE5ELNS1_3repE0EEENS1_30default_config_static_selectorELNS0_4arch9wavefront6targetE1EEEvT1_,comdat
	.protected	_ZN7rocprim17ROCPRIM_400000_NS6detail17trampoline_kernelINS0_14default_configENS1_20scan_config_selectorIfEEZZNS1_9scan_implILNS1_25lookback_scan_determinismE0ELb1ELb1ES3_N6thrust23THRUST_200600_302600_NS6detail15normal_iteratorINS9_10device_ptrIfEEEENS9_16discard_iteratorINS9_11use_defaultEEEf11max_functorIfEfEEDaPvRmT3_T4_T5_mT6_P12ihipStream_tbENKUlT_T0_E_clISt17integral_constantIbLb0EESW_IbLb1EEEEDaSS_ST_EUlSS_E_NS1_11comp_targetILNS1_3genE10ELNS1_11target_archE1201ELNS1_3gpuE5ELNS1_3repE0EEENS1_30default_config_static_selectorELNS0_4arch9wavefront6targetE1EEEvT1_ ; -- Begin function _ZN7rocprim17ROCPRIM_400000_NS6detail17trampoline_kernelINS0_14default_configENS1_20scan_config_selectorIfEEZZNS1_9scan_implILNS1_25lookback_scan_determinismE0ELb1ELb1ES3_N6thrust23THRUST_200600_302600_NS6detail15normal_iteratorINS9_10device_ptrIfEEEENS9_16discard_iteratorINS9_11use_defaultEEEf11max_functorIfEfEEDaPvRmT3_T4_T5_mT6_P12ihipStream_tbENKUlT_T0_E_clISt17integral_constantIbLb0EESW_IbLb1EEEEDaSS_ST_EUlSS_E_NS1_11comp_targetILNS1_3genE10ELNS1_11target_archE1201ELNS1_3gpuE5ELNS1_3repE0EEENS1_30default_config_static_selectorELNS0_4arch9wavefront6targetE1EEEvT1_
	.globl	_ZN7rocprim17ROCPRIM_400000_NS6detail17trampoline_kernelINS0_14default_configENS1_20scan_config_selectorIfEEZZNS1_9scan_implILNS1_25lookback_scan_determinismE0ELb1ELb1ES3_N6thrust23THRUST_200600_302600_NS6detail15normal_iteratorINS9_10device_ptrIfEEEENS9_16discard_iteratorINS9_11use_defaultEEEf11max_functorIfEfEEDaPvRmT3_T4_T5_mT6_P12ihipStream_tbENKUlT_T0_E_clISt17integral_constantIbLb0EESW_IbLb1EEEEDaSS_ST_EUlSS_E_NS1_11comp_targetILNS1_3genE10ELNS1_11target_archE1201ELNS1_3gpuE5ELNS1_3repE0EEENS1_30default_config_static_selectorELNS0_4arch9wavefront6targetE1EEEvT1_
	.p2align	8
	.type	_ZN7rocprim17ROCPRIM_400000_NS6detail17trampoline_kernelINS0_14default_configENS1_20scan_config_selectorIfEEZZNS1_9scan_implILNS1_25lookback_scan_determinismE0ELb1ELb1ES3_N6thrust23THRUST_200600_302600_NS6detail15normal_iteratorINS9_10device_ptrIfEEEENS9_16discard_iteratorINS9_11use_defaultEEEf11max_functorIfEfEEDaPvRmT3_T4_T5_mT6_P12ihipStream_tbENKUlT_T0_E_clISt17integral_constantIbLb0EESW_IbLb1EEEEDaSS_ST_EUlSS_E_NS1_11comp_targetILNS1_3genE10ELNS1_11target_archE1201ELNS1_3gpuE5ELNS1_3repE0EEENS1_30default_config_static_selectorELNS0_4arch9wavefront6targetE1EEEvT1_,@function
_ZN7rocprim17ROCPRIM_400000_NS6detail17trampoline_kernelINS0_14default_configENS1_20scan_config_selectorIfEEZZNS1_9scan_implILNS1_25lookback_scan_determinismE0ELb1ELb1ES3_N6thrust23THRUST_200600_302600_NS6detail15normal_iteratorINS9_10device_ptrIfEEEENS9_16discard_iteratorINS9_11use_defaultEEEf11max_functorIfEfEEDaPvRmT3_T4_T5_mT6_P12ihipStream_tbENKUlT_T0_E_clISt17integral_constantIbLb0EESW_IbLb1EEEEDaSS_ST_EUlSS_E_NS1_11comp_targetILNS1_3genE10ELNS1_11target_archE1201ELNS1_3gpuE5ELNS1_3repE0EEENS1_30default_config_static_selectorELNS0_4arch9wavefront6targetE1EEEvT1_: ; @_ZN7rocprim17ROCPRIM_400000_NS6detail17trampoline_kernelINS0_14default_configENS1_20scan_config_selectorIfEEZZNS1_9scan_implILNS1_25lookback_scan_determinismE0ELb1ELb1ES3_N6thrust23THRUST_200600_302600_NS6detail15normal_iteratorINS9_10device_ptrIfEEEENS9_16discard_iteratorINS9_11use_defaultEEEf11max_functorIfEfEEDaPvRmT3_T4_T5_mT6_P12ihipStream_tbENKUlT_T0_E_clISt17integral_constantIbLb0EESW_IbLb1EEEEDaSS_ST_EUlSS_E_NS1_11comp_targetILNS1_3genE10ELNS1_11target_archE1201ELNS1_3gpuE5ELNS1_3repE0EEENS1_30default_config_static_selectorELNS0_4arch9wavefront6targetE1EEEvT1_
; %bb.0:
	.section	.rodata,"a",@progbits
	.p2align	6, 0x0
	.amdhsa_kernel _ZN7rocprim17ROCPRIM_400000_NS6detail17trampoline_kernelINS0_14default_configENS1_20scan_config_selectorIfEEZZNS1_9scan_implILNS1_25lookback_scan_determinismE0ELb1ELb1ES3_N6thrust23THRUST_200600_302600_NS6detail15normal_iteratorINS9_10device_ptrIfEEEENS9_16discard_iteratorINS9_11use_defaultEEEf11max_functorIfEfEEDaPvRmT3_T4_T5_mT6_P12ihipStream_tbENKUlT_T0_E_clISt17integral_constantIbLb0EESW_IbLb1EEEEDaSS_ST_EUlSS_E_NS1_11comp_targetILNS1_3genE10ELNS1_11target_archE1201ELNS1_3gpuE5ELNS1_3repE0EEENS1_30default_config_static_selectorELNS0_4arch9wavefront6targetE1EEEvT1_
		.amdhsa_group_segment_fixed_size 0
		.amdhsa_private_segment_fixed_size 0
		.amdhsa_kernarg_size 104
		.amdhsa_user_sgpr_count 6
		.amdhsa_user_sgpr_private_segment_buffer 1
		.amdhsa_user_sgpr_dispatch_ptr 0
		.amdhsa_user_sgpr_queue_ptr 0
		.amdhsa_user_sgpr_kernarg_segment_ptr 1
		.amdhsa_user_sgpr_dispatch_id 0
		.amdhsa_user_sgpr_flat_scratch_init 0
		.amdhsa_user_sgpr_kernarg_preload_length 0
		.amdhsa_user_sgpr_kernarg_preload_offset 0
		.amdhsa_user_sgpr_private_segment_size 0
		.amdhsa_uses_dynamic_stack 0
		.amdhsa_system_sgpr_private_segment_wavefront_offset 0
		.amdhsa_system_sgpr_workgroup_id_x 1
		.amdhsa_system_sgpr_workgroup_id_y 0
		.amdhsa_system_sgpr_workgroup_id_z 0
		.amdhsa_system_sgpr_workgroup_info 0
		.amdhsa_system_vgpr_workitem_id 0
		.amdhsa_next_free_vgpr 1
		.amdhsa_next_free_sgpr 0
		.amdhsa_accum_offset 4
		.amdhsa_reserve_vcc 0
		.amdhsa_reserve_flat_scratch 0
		.amdhsa_float_round_mode_32 0
		.amdhsa_float_round_mode_16_64 0
		.amdhsa_float_denorm_mode_32 3
		.amdhsa_float_denorm_mode_16_64 3
		.amdhsa_dx10_clamp 1
		.amdhsa_ieee_mode 1
		.amdhsa_fp16_overflow 0
		.amdhsa_tg_split 0
		.amdhsa_exception_fp_ieee_invalid_op 0
		.amdhsa_exception_fp_denorm_src 0
		.amdhsa_exception_fp_ieee_div_zero 0
		.amdhsa_exception_fp_ieee_overflow 0
		.amdhsa_exception_fp_ieee_underflow 0
		.amdhsa_exception_fp_ieee_inexact 0
		.amdhsa_exception_int_div_zero 0
	.end_amdhsa_kernel
	.section	.text._ZN7rocprim17ROCPRIM_400000_NS6detail17trampoline_kernelINS0_14default_configENS1_20scan_config_selectorIfEEZZNS1_9scan_implILNS1_25lookback_scan_determinismE0ELb1ELb1ES3_N6thrust23THRUST_200600_302600_NS6detail15normal_iteratorINS9_10device_ptrIfEEEENS9_16discard_iteratorINS9_11use_defaultEEEf11max_functorIfEfEEDaPvRmT3_T4_T5_mT6_P12ihipStream_tbENKUlT_T0_E_clISt17integral_constantIbLb0EESW_IbLb1EEEEDaSS_ST_EUlSS_E_NS1_11comp_targetILNS1_3genE10ELNS1_11target_archE1201ELNS1_3gpuE5ELNS1_3repE0EEENS1_30default_config_static_selectorELNS0_4arch9wavefront6targetE1EEEvT1_,"axG",@progbits,_ZN7rocprim17ROCPRIM_400000_NS6detail17trampoline_kernelINS0_14default_configENS1_20scan_config_selectorIfEEZZNS1_9scan_implILNS1_25lookback_scan_determinismE0ELb1ELb1ES3_N6thrust23THRUST_200600_302600_NS6detail15normal_iteratorINS9_10device_ptrIfEEEENS9_16discard_iteratorINS9_11use_defaultEEEf11max_functorIfEfEEDaPvRmT3_T4_T5_mT6_P12ihipStream_tbENKUlT_T0_E_clISt17integral_constantIbLb0EESW_IbLb1EEEEDaSS_ST_EUlSS_E_NS1_11comp_targetILNS1_3genE10ELNS1_11target_archE1201ELNS1_3gpuE5ELNS1_3repE0EEENS1_30default_config_static_selectorELNS0_4arch9wavefront6targetE1EEEvT1_,comdat
.Lfunc_end3265:
	.size	_ZN7rocprim17ROCPRIM_400000_NS6detail17trampoline_kernelINS0_14default_configENS1_20scan_config_selectorIfEEZZNS1_9scan_implILNS1_25lookback_scan_determinismE0ELb1ELb1ES3_N6thrust23THRUST_200600_302600_NS6detail15normal_iteratorINS9_10device_ptrIfEEEENS9_16discard_iteratorINS9_11use_defaultEEEf11max_functorIfEfEEDaPvRmT3_T4_T5_mT6_P12ihipStream_tbENKUlT_T0_E_clISt17integral_constantIbLb0EESW_IbLb1EEEEDaSS_ST_EUlSS_E_NS1_11comp_targetILNS1_3genE10ELNS1_11target_archE1201ELNS1_3gpuE5ELNS1_3repE0EEENS1_30default_config_static_selectorELNS0_4arch9wavefront6targetE1EEEvT1_, .Lfunc_end3265-_ZN7rocprim17ROCPRIM_400000_NS6detail17trampoline_kernelINS0_14default_configENS1_20scan_config_selectorIfEEZZNS1_9scan_implILNS1_25lookback_scan_determinismE0ELb1ELb1ES3_N6thrust23THRUST_200600_302600_NS6detail15normal_iteratorINS9_10device_ptrIfEEEENS9_16discard_iteratorINS9_11use_defaultEEEf11max_functorIfEfEEDaPvRmT3_T4_T5_mT6_P12ihipStream_tbENKUlT_T0_E_clISt17integral_constantIbLb0EESW_IbLb1EEEEDaSS_ST_EUlSS_E_NS1_11comp_targetILNS1_3genE10ELNS1_11target_archE1201ELNS1_3gpuE5ELNS1_3repE0EEENS1_30default_config_static_selectorELNS0_4arch9wavefront6targetE1EEEvT1_
                                        ; -- End function
	.section	.AMDGPU.csdata,"",@progbits
; Kernel info:
; codeLenInByte = 0
; NumSgprs: 4
; NumVgprs: 0
; NumAgprs: 0
; TotalNumVgprs: 0
; ScratchSize: 0
; MemoryBound: 0
; FloatMode: 240
; IeeeMode: 1
; LDSByteSize: 0 bytes/workgroup (compile time only)
; SGPRBlocks: 0
; VGPRBlocks: 0
; NumSGPRsForWavesPerEU: 4
; NumVGPRsForWavesPerEU: 1
; AccumOffset: 4
; Occupancy: 8
; WaveLimiterHint : 0
; COMPUTE_PGM_RSRC2:SCRATCH_EN: 0
; COMPUTE_PGM_RSRC2:USER_SGPR: 6
; COMPUTE_PGM_RSRC2:TRAP_HANDLER: 0
; COMPUTE_PGM_RSRC2:TGID_X_EN: 1
; COMPUTE_PGM_RSRC2:TGID_Y_EN: 0
; COMPUTE_PGM_RSRC2:TGID_Z_EN: 0
; COMPUTE_PGM_RSRC2:TIDIG_COMP_CNT: 0
; COMPUTE_PGM_RSRC3_GFX90A:ACCUM_OFFSET: 0
; COMPUTE_PGM_RSRC3_GFX90A:TG_SPLIT: 0
	.section	.text._ZN7rocprim17ROCPRIM_400000_NS6detail17trampoline_kernelINS0_14default_configENS1_20scan_config_selectorIfEEZZNS1_9scan_implILNS1_25lookback_scan_determinismE0ELb1ELb1ES3_N6thrust23THRUST_200600_302600_NS6detail15normal_iteratorINS9_10device_ptrIfEEEENS9_16discard_iteratorINS9_11use_defaultEEEf11max_functorIfEfEEDaPvRmT3_T4_T5_mT6_P12ihipStream_tbENKUlT_T0_E_clISt17integral_constantIbLb0EESW_IbLb1EEEEDaSS_ST_EUlSS_E_NS1_11comp_targetILNS1_3genE10ELNS1_11target_archE1200ELNS1_3gpuE4ELNS1_3repE0EEENS1_30default_config_static_selectorELNS0_4arch9wavefront6targetE1EEEvT1_,"axG",@progbits,_ZN7rocprim17ROCPRIM_400000_NS6detail17trampoline_kernelINS0_14default_configENS1_20scan_config_selectorIfEEZZNS1_9scan_implILNS1_25lookback_scan_determinismE0ELb1ELb1ES3_N6thrust23THRUST_200600_302600_NS6detail15normal_iteratorINS9_10device_ptrIfEEEENS9_16discard_iteratorINS9_11use_defaultEEEf11max_functorIfEfEEDaPvRmT3_T4_T5_mT6_P12ihipStream_tbENKUlT_T0_E_clISt17integral_constantIbLb0EESW_IbLb1EEEEDaSS_ST_EUlSS_E_NS1_11comp_targetILNS1_3genE10ELNS1_11target_archE1200ELNS1_3gpuE4ELNS1_3repE0EEENS1_30default_config_static_selectorELNS0_4arch9wavefront6targetE1EEEvT1_,comdat
	.protected	_ZN7rocprim17ROCPRIM_400000_NS6detail17trampoline_kernelINS0_14default_configENS1_20scan_config_selectorIfEEZZNS1_9scan_implILNS1_25lookback_scan_determinismE0ELb1ELb1ES3_N6thrust23THRUST_200600_302600_NS6detail15normal_iteratorINS9_10device_ptrIfEEEENS9_16discard_iteratorINS9_11use_defaultEEEf11max_functorIfEfEEDaPvRmT3_T4_T5_mT6_P12ihipStream_tbENKUlT_T0_E_clISt17integral_constantIbLb0EESW_IbLb1EEEEDaSS_ST_EUlSS_E_NS1_11comp_targetILNS1_3genE10ELNS1_11target_archE1200ELNS1_3gpuE4ELNS1_3repE0EEENS1_30default_config_static_selectorELNS0_4arch9wavefront6targetE1EEEvT1_ ; -- Begin function _ZN7rocprim17ROCPRIM_400000_NS6detail17trampoline_kernelINS0_14default_configENS1_20scan_config_selectorIfEEZZNS1_9scan_implILNS1_25lookback_scan_determinismE0ELb1ELb1ES3_N6thrust23THRUST_200600_302600_NS6detail15normal_iteratorINS9_10device_ptrIfEEEENS9_16discard_iteratorINS9_11use_defaultEEEf11max_functorIfEfEEDaPvRmT3_T4_T5_mT6_P12ihipStream_tbENKUlT_T0_E_clISt17integral_constantIbLb0EESW_IbLb1EEEEDaSS_ST_EUlSS_E_NS1_11comp_targetILNS1_3genE10ELNS1_11target_archE1200ELNS1_3gpuE4ELNS1_3repE0EEENS1_30default_config_static_selectorELNS0_4arch9wavefront6targetE1EEEvT1_
	.globl	_ZN7rocprim17ROCPRIM_400000_NS6detail17trampoline_kernelINS0_14default_configENS1_20scan_config_selectorIfEEZZNS1_9scan_implILNS1_25lookback_scan_determinismE0ELb1ELb1ES3_N6thrust23THRUST_200600_302600_NS6detail15normal_iteratorINS9_10device_ptrIfEEEENS9_16discard_iteratorINS9_11use_defaultEEEf11max_functorIfEfEEDaPvRmT3_T4_T5_mT6_P12ihipStream_tbENKUlT_T0_E_clISt17integral_constantIbLb0EESW_IbLb1EEEEDaSS_ST_EUlSS_E_NS1_11comp_targetILNS1_3genE10ELNS1_11target_archE1200ELNS1_3gpuE4ELNS1_3repE0EEENS1_30default_config_static_selectorELNS0_4arch9wavefront6targetE1EEEvT1_
	.p2align	8
	.type	_ZN7rocprim17ROCPRIM_400000_NS6detail17trampoline_kernelINS0_14default_configENS1_20scan_config_selectorIfEEZZNS1_9scan_implILNS1_25lookback_scan_determinismE0ELb1ELb1ES3_N6thrust23THRUST_200600_302600_NS6detail15normal_iteratorINS9_10device_ptrIfEEEENS9_16discard_iteratorINS9_11use_defaultEEEf11max_functorIfEfEEDaPvRmT3_T4_T5_mT6_P12ihipStream_tbENKUlT_T0_E_clISt17integral_constantIbLb0EESW_IbLb1EEEEDaSS_ST_EUlSS_E_NS1_11comp_targetILNS1_3genE10ELNS1_11target_archE1200ELNS1_3gpuE4ELNS1_3repE0EEENS1_30default_config_static_selectorELNS0_4arch9wavefront6targetE1EEEvT1_,@function
_ZN7rocprim17ROCPRIM_400000_NS6detail17trampoline_kernelINS0_14default_configENS1_20scan_config_selectorIfEEZZNS1_9scan_implILNS1_25lookback_scan_determinismE0ELb1ELb1ES3_N6thrust23THRUST_200600_302600_NS6detail15normal_iteratorINS9_10device_ptrIfEEEENS9_16discard_iteratorINS9_11use_defaultEEEf11max_functorIfEfEEDaPvRmT3_T4_T5_mT6_P12ihipStream_tbENKUlT_T0_E_clISt17integral_constantIbLb0EESW_IbLb1EEEEDaSS_ST_EUlSS_E_NS1_11comp_targetILNS1_3genE10ELNS1_11target_archE1200ELNS1_3gpuE4ELNS1_3repE0EEENS1_30default_config_static_selectorELNS0_4arch9wavefront6targetE1EEEvT1_: ; @_ZN7rocprim17ROCPRIM_400000_NS6detail17trampoline_kernelINS0_14default_configENS1_20scan_config_selectorIfEEZZNS1_9scan_implILNS1_25lookback_scan_determinismE0ELb1ELb1ES3_N6thrust23THRUST_200600_302600_NS6detail15normal_iteratorINS9_10device_ptrIfEEEENS9_16discard_iteratorINS9_11use_defaultEEEf11max_functorIfEfEEDaPvRmT3_T4_T5_mT6_P12ihipStream_tbENKUlT_T0_E_clISt17integral_constantIbLb0EESW_IbLb1EEEEDaSS_ST_EUlSS_E_NS1_11comp_targetILNS1_3genE10ELNS1_11target_archE1200ELNS1_3gpuE4ELNS1_3repE0EEENS1_30default_config_static_selectorELNS0_4arch9wavefront6targetE1EEEvT1_
; %bb.0:
	.section	.rodata,"a",@progbits
	.p2align	6, 0x0
	.amdhsa_kernel _ZN7rocprim17ROCPRIM_400000_NS6detail17trampoline_kernelINS0_14default_configENS1_20scan_config_selectorIfEEZZNS1_9scan_implILNS1_25lookback_scan_determinismE0ELb1ELb1ES3_N6thrust23THRUST_200600_302600_NS6detail15normal_iteratorINS9_10device_ptrIfEEEENS9_16discard_iteratorINS9_11use_defaultEEEf11max_functorIfEfEEDaPvRmT3_T4_T5_mT6_P12ihipStream_tbENKUlT_T0_E_clISt17integral_constantIbLb0EESW_IbLb1EEEEDaSS_ST_EUlSS_E_NS1_11comp_targetILNS1_3genE10ELNS1_11target_archE1200ELNS1_3gpuE4ELNS1_3repE0EEENS1_30default_config_static_selectorELNS0_4arch9wavefront6targetE1EEEvT1_
		.amdhsa_group_segment_fixed_size 0
		.amdhsa_private_segment_fixed_size 0
		.amdhsa_kernarg_size 104
		.amdhsa_user_sgpr_count 6
		.amdhsa_user_sgpr_private_segment_buffer 1
		.amdhsa_user_sgpr_dispatch_ptr 0
		.amdhsa_user_sgpr_queue_ptr 0
		.amdhsa_user_sgpr_kernarg_segment_ptr 1
		.amdhsa_user_sgpr_dispatch_id 0
		.amdhsa_user_sgpr_flat_scratch_init 0
		.amdhsa_user_sgpr_kernarg_preload_length 0
		.amdhsa_user_sgpr_kernarg_preload_offset 0
		.amdhsa_user_sgpr_private_segment_size 0
		.amdhsa_uses_dynamic_stack 0
		.amdhsa_system_sgpr_private_segment_wavefront_offset 0
		.amdhsa_system_sgpr_workgroup_id_x 1
		.amdhsa_system_sgpr_workgroup_id_y 0
		.amdhsa_system_sgpr_workgroup_id_z 0
		.amdhsa_system_sgpr_workgroup_info 0
		.amdhsa_system_vgpr_workitem_id 0
		.amdhsa_next_free_vgpr 1
		.amdhsa_next_free_sgpr 0
		.amdhsa_accum_offset 4
		.amdhsa_reserve_vcc 0
		.amdhsa_reserve_flat_scratch 0
		.amdhsa_float_round_mode_32 0
		.amdhsa_float_round_mode_16_64 0
		.amdhsa_float_denorm_mode_32 3
		.amdhsa_float_denorm_mode_16_64 3
		.amdhsa_dx10_clamp 1
		.amdhsa_ieee_mode 1
		.amdhsa_fp16_overflow 0
		.amdhsa_tg_split 0
		.amdhsa_exception_fp_ieee_invalid_op 0
		.amdhsa_exception_fp_denorm_src 0
		.amdhsa_exception_fp_ieee_div_zero 0
		.amdhsa_exception_fp_ieee_overflow 0
		.amdhsa_exception_fp_ieee_underflow 0
		.amdhsa_exception_fp_ieee_inexact 0
		.amdhsa_exception_int_div_zero 0
	.end_amdhsa_kernel
	.section	.text._ZN7rocprim17ROCPRIM_400000_NS6detail17trampoline_kernelINS0_14default_configENS1_20scan_config_selectorIfEEZZNS1_9scan_implILNS1_25lookback_scan_determinismE0ELb1ELb1ES3_N6thrust23THRUST_200600_302600_NS6detail15normal_iteratorINS9_10device_ptrIfEEEENS9_16discard_iteratorINS9_11use_defaultEEEf11max_functorIfEfEEDaPvRmT3_T4_T5_mT6_P12ihipStream_tbENKUlT_T0_E_clISt17integral_constantIbLb0EESW_IbLb1EEEEDaSS_ST_EUlSS_E_NS1_11comp_targetILNS1_3genE10ELNS1_11target_archE1200ELNS1_3gpuE4ELNS1_3repE0EEENS1_30default_config_static_selectorELNS0_4arch9wavefront6targetE1EEEvT1_,"axG",@progbits,_ZN7rocprim17ROCPRIM_400000_NS6detail17trampoline_kernelINS0_14default_configENS1_20scan_config_selectorIfEEZZNS1_9scan_implILNS1_25lookback_scan_determinismE0ELb1ELb1ES3_N6thrust23THRUST_200600_302600_NS6detail15normal_iteratorINS9_10device_ptrIfEEEENS9_16discard_iteratorINS9_11use_defaultEEEf11max_functorIfEfEEDaPvRmT3_T4_T5_mT6_P12ihipStream_tbENKUlT_T0_E_clISt17integral_constantIbLb0EESW_IbLb1EEEEDaSS_ST_EUlSS_E_NS1_11comp_targetILNS1_3genE10ELNS1_11target_archE1200ELNS1_3gpuE4ELNS1_3repE0EEENS1_30default_config_static_selectorELNS0_4arch9wavefront6targetE1EEEvT1_,comdat
.Lfunc_end3266:
	.size	_ZN7rocprim17ROCPRIM_400000_NS6detail17trampoline_kernelINS0_14default_configENS1_20scan_config_selectorIfEEZZNS1_9scan_implILNS1_25lookback_scan_determinismE0ELb1ELb1ES3_N6thrust23THRUST_200600_302600_NS6detail15normal_iteratorINS9_10device_ptrIfEEEENS9_16discard_iteratorINS9_11use_defaultEEEf11max_functorIfEfEEDaPvRmT3_T4_T5_mT6_P12ihipStream_tbENKUlT_T0_E_clISt17integral_constantIbLb0EESW_IbLb1EEEEDaSS_ST_EUlSS_E_NS1_11comp_targetILNS1_3genE10ELNS1_11target_archE1200ELNS1_3gpuE4ELNS1_3repE0EEENS1_30default_config_static_selectorELNS0_4arch9wavefront6targetE1EEEvT1_, .Lfunc_end3266-_ZN7rocprim17ROCPRIM_400000_NS6detail17trampoline_kernelINS0_14default_configENS1_20scan_config_selectorIfEEZZNS1_9scan_implILNS1_25lookback_scan_determinismE0ELb1ELb1ES3_N6thrust23THRUST_200600_302600_NS6detail15normal_iteratorINS9_10device_ptrIfEEEENS9_16discard_iteratorINS9_11use_defaultEEEf11max_functorIfEfEEDaPvRmT3_T4_T5_mT6_P12ihipStream_tbENKUlT_T0_E_clISt17integral_constantIbLb0EESW_IbLb1EEEEDaSS_ST_EUlSS_E_NS1_11comp_targetILNS1_3genE10ELNS1_11target_archE1200ELNS1_3gpuE4ELNS1_3repE0EEENS1_30default_config_static_selectorELNS0_4arch9wavefront6targetE1EEEvT1_
                                        ; -- End function
	.section	.AMDGPU.csdata,"",@progbits
; Kernel info:
; codeLenInByte = 0
; NumSgprs: 4
; NumVgprs: 0
; NumAgprs: 0
; TotalNumVgprs: 0
; ScratchSize: 0
; MemoryBound: 0
; FloatMode: 240
; IeeeMode: 1
; LDSByteSize: 0 bytes/workgroup (compile time only)
; SGPRBlocks: 0
; VGPRBlocks: 0
; NumSGPRsForWavesPerEU: 4
; NumVGPRsForWavesPerEU: 1
; AccumOffset: 4
; Occupancy: 8
; WaveLimiterHint : 0
; COMPUTE_PGM_RSRC2:SCRATCH_EN: 0
; COMPUTE_PGM_RSRC2:USER_SGPR: 6
; COMPUTE_PGM_RSRC2:TRAP_HANDLER: 0
; COMPUTE_PGM_RSRC2:TGID_X_EN: 1
; COMPUTE_PGM_RSRC2:TGID_Y_EN: 0
; COMPUTE_PGM_RSRC2:TGID_Z_EN: 0
; COMPUTE_PGM_RSRC2:TIDIG_COMP_CNT: 0
; COMPUTE_PGM_RSRC3_GFX90A:ACCUM_OFFSET: 0
; COMPUTE_PGM_RSRC3_GFX90A:TG_SPLIT: 0
	.section	.text._ZN7rocprim17ROCPRIM_400000_NS6detail17trampoline_kernelINS0_14default_configENS1_20scan_config_selectorIfEEZZNS1_9scan_implILNS1_25lookback_scan_determinismE0ELb1ELb1ES3_N6thrust23THRUST_200600_302600_NS6detail15normal_iteratorINS9_10device_ptrIfEEEENS9_16discard_iteratorINS9_11use_defaultEEEf11max_functorIfEfEEDaPvRmT3_T4_T5_mT6_P12ihipStream_tbENKUlT_T0_E_clISt17integral_constantIbLb0EESW_IbLb1EEEEDaSS_ST_EUlSS_E_NS1_11comp_targetILNS1_3genE9ELNS1_11target_archE1100ELNS1_3gpuE3ELNS1_3repE0EEENS1_30default_config_static_selectorELNS0_4arch9wavefront6targetE1EEEvT1_,"axG",@progbits,_ZN7rocprim17ROCPRIM_400000_NS6detail17trampoline_kernelINS0_14default_configENS1_20scan_config_selectorIfEEZZNS1_9scan_implILNS1_25lookback_scan_determinismE0ELb1ELb1ES3_N6thrust23THRUST_200600_302600_NS6detail15normal_iteratorINS9_10device_ptrIfEEEENS9_16discard_iteratorINS9_11use_defaultEEEf11max_functorIfEfEEDaPvRmT3_T4_T5_mT6_P12ihipStream_tbENKUlT_T0_E_clISt17integral_constantIbLb0EESW_IbLb1EEEEDaSS_ST_EUlSS_E_NS1_11comp_targetILNS1_3genE9ELNS1_11target_archE1100ELNS1_3gpuE3ELNS1_3repE0EEENS1_30default_config_static_selectorELNS0_4arch9wavefront6targetE1EEEvT1_,comdat
	.protected	_ZN7rocprim17ROCPRIM_400000_NS6detail17trampoline_kernelINS0_14default_configENS1_20scan_config_selectorIfEEZZNS1_9scan_implILNS1_25lookback_scan_determinismE0ELb1ELb1ES3_N6thrust23THRUST_200600_302600_NS6detail15normal_iteratorINS9_10device_ptrIfEEEENS9_16discard_iteratorINS9_11use_defaultEEEf11max_functorIfEfEEDaPvRmT3_T4_T5_mT6_P12ihipStream_tbENKUlT_T0_E_clISt17integral_constantIbLb0EESW_IbLb1EEEEDaSS_ST_EUlSS_E_NS1_11comp_targetILNS1_3genE9ELNS1_11target_archE1100ELNS1_3gpuE3ELNS1_3repE0EEENS1_30default_config_static_selectorELNS0_4arch9wavefront6targetE1EEEvT1_ ; -- Begin function _ZN7rocprim17ROCPRIM_400000_NS6detail17trampoline_kernelINS0_14default_configENS1_20scan_config_selectorIfEEZZNS1_9scan_implILNS1_25lookback_scan_determinismE0ELb1ELb1ES3_N6thrust23THRUST_200600_302600_NS6detail15normal_iteratorINS9_10device_ptrIfEEEENS9_16discard_iteratorINS9_11use_defaultEEEf11max_functorIfEfEEDaPvRmT3_T4_T5_mT6_P12ihipStream_tbENKUlT_T0_E_clISt17integral_constantIbLb0EESW_IbLb1EEEEDaSS_ST_EUlSS_E_NS1_11comp_targetILNS1_3genE9ELNS1_11target_archE1100ELNS1_3gpuE3ELNS1_3repE0EEENS1_30default_config_static_selectorELNS0_4arch9wavefront6targetE1EEEvT1_
	.globl	_ZN7rocprim17ROCPRIM_400000_NS6detail17trampoline_kernelINS0_14default_configENS1_20scan_config_selectorIfEEZZNS1_9scan_implILNS1_25lookback_scan_determinismE0ELb1ELb1ES3_N6thrust23THRUST_200600_302600_NS6detail15normal_iteratorINS9_10device_ptrIfEEEENS9_16discard_iteratorINS9_11use_defaultEEEf11max_functorIfEfEEDaPvRmT3_T4_T5_mT6_P12ihipStream_tbENKUlT_T0_E_clISt17integral_constantIbLb0EESW_IbLb1EEEEDaSS_ST_EUlSS_E_NS1_11comp_targetILNS1_3genE9ELNS1_11target_archE1100ELNS1_3gpuE3ELNS1_3repE0EEENS1_30default_config_static_selectorELNS0_4arch9wavefront6targetE1EEEvT1_
	.p2align	8
	.type	_ZN7rocprim17ROCPRIM_400000_NS6detail17trampoline_kernelINS0_14default_configENS1_20scan_config_selectorIfEEZZNS1_9scan_implILNS1_25lookback_scan_determinismE0ELb1ELb1ES3_N6thrust23THRUST_200600_302600_NS6detail15normal_iteratorINS9_10device_ptrIfEEEENS9_16discard_iteratorINS9_11use_defaultEEEf11max_functorIfEfEEDaPvRmT3_T4_T5_mT6_P12ihipStream_tbENKUlT_T0_E_clISt17integral_constantIbLb0EESW_IbLb1EEEEDaSS_ST_EUlSS_E_NS1_11comp_targetILNS1_3genE9ELNS1_11target_archE1100ELNS1_3gpuE3ELNS1_3repE0EEENS1_30default_config_static_selectorELNS0_4arch9wavefront6targetE1EEEvT1_,@function
_ZN7rocprim17ROCPRIM_400000_NS6detail17trampoline_kernelINS0_14default_configENS1_20scan_config_selectorIfEEZZNS1_9scan_implILNS1_25lookback_scan_determinismE0ELb1ELb1ES3_N6thrust23THRUST_200600_302600_NS6detail15normal_iteratorINS9_10device_ptrIfEEEENS9_16discard_iteratorINS9_11use_defaultEEEf11max_functorIfEfEEDaPvRmT3_T4_T5_mT6_P12ihipStream_tbENKUlT_T0_E_clISt17integral_constantIbLb0EESW_IbLb1EEEEDaSS_ST_EUlSS_E_NS1_11comp_targetILNS1_3genE9ELNS1_11target_archE1100ELNS1_3gpuE3ELNS1_3repE0EEENS1_30default_config_static_selectorELNS0_4arch9wavefront6targetE1EEEvT1_: ; @_ZN7rocprim17ROCPRIM_400000_NS6detail17trampoline_kernelINS0_14default_configENS1_20scan_config_selectorIfEEZZNS1_9scan_implILNS1_25lookback_scan_determinismE0ELb1ELb1ES3_N6thrust23THRUST_200600_302600_NS6detail15normal_iteratorINS9_10device_ptrIfEEEENS9_16discard_iteratorINS9_11use_defaultEEEf11max_functorIfEfEEDaPvRmT3_T4_T5_mT6_P12ihipStream_tbENKUlT_T0_E_clISt17integral_constantIbLb0EESW_IbLb1EEEEDaSS_ST_EUlSS_E_NS1_11comp_targetILNS1_3genE9ELNS1_11target_archE1100ELNS1_3gpuE3ELNS1_3repE0EEENS1_30default_config_static_selectorELNS0_4arch9wavefront6targetE1EEEvT1_
; %bb.0:
	.section	.rodata,"a",@progbits
	.p2align	6, 0x0
	.amdhsa_kernel _ZN7rocprim17ROCPRIM_400000_NS6detail17trampoline_kernelINS0_14default_configENS1_20scan_config_selectorIfEEZZNS1_9scan_implILNS1_25lookback_scan_determinismE0ELb1ELb1ES3_N6thrust23THRUST_200600_302600_NS6detail15normal_iteratorINS9_10device_ptrIfEEEENS9_16discard_iteratorINS9_11use_defaultEEEf11max_functorIfEfEEDaPvRmT3_T4_T5_mT6_P12ihipStream_tbENKUlT_T0_E_clISt17integral_constantIbLb0EESW_IbLb1EEEEDaSS_ST_EUlSS_E_NS1_11comp_targetILNS1_3genE9ELNS1_11target_archE1100ELNS1_3gpuE3ELNS1_3repE0EEENS1_30default_config_static_selectorELNS0_4arch9wavefront6targetE1EEEvT1_
		.amdhsa_group_segment_fixed_size 0
		.amdhsa_private_segment_fixed_size 0
		.amdhsa_kernarg_size 104
		.amdhsa_user_sgpr_count 6
		.amdhsa_user_sgpr_private_segment_buffer 1
		.amdhsa_user_sgpr_dispatch_ptr 0
		.amdhsa_user_sgpr_queue_ptr 0
		.amdhsa_user_sgpr_kernarg_segment_ptr 1
		.amdhsa_user_sgpr_dispatch_id 0
		.amdhsa_user_sgpr_flat_scratch_init 0
		.amdhsa_user_sgpr_kernarg_preload_length 0
		.amdhsa_user_sgpr_kernarg_preload_offset 0
		.amdhsa_user_sgpr_private_segment_size 0
		.amdhsa_uses_dynamic_stack 0
		.amdhsa_system_sgpr_private_segment_wavefront_offset 0
		.amdhsa_system_sgpr_workgroup_id_x 1
		.amdhsa_system_sgpr_workgroup_id_y 0
		.amdhsa_system_sgpr_workgroup_id_z 0
		.amdhsa_system_sgpr_workgroup_info 0
		.amdhsa_system_vgpr_workitem_id 0
		.amdhsa_next_free_vgpr 1
		.amdhsa_next_free_sgpr 0
		.amdhsa_accum_offset 4
		.amdhsa_reserve_vcc 0
		.amdhsa_reserve_flat_scratch 0
		.amdhsa_float_round_mode_32 0
		.amdhsa_float_round_mode_16_64 0
		.amdhsa_float_denorm_mode_32 3
		.amdhsa_float_denorm_mode_16_64 3
		.amdhsa_dx10_clamp 1
		.amdhsa_ieee_mode 1
		.amdhsa_fp16_overflow 0
		.amdhsa_tg_split 0
		.amdhsa_exception_fp_ieee_invalid_op 0
		.amdhsa_exception_fp_denorm_src 0
		.amdhsa_exception_fp_ieee_div_zero 0
		.amdhsa_exception_fp_ieee_overflow 0
		.amdhsa_exception_fp_ieee_underflow 0
		.amdhsa_exception_fp_ieee_inexact 0
		.amdhsa_exception_int_div_zero 0
	.end_amdhsa_kernel
	.section	.text._ZN7rocprim17ROCPRIM_400000_NS6detail17trampoline_kernelINS0_14default_configENS1_20scan_config_selectorIfEEZZNS1_9scan_implILNS1_25lookback_scan_determinismE0ELb1ELb1ES3_N6thrust23THRUST_200600_302600_NS6detail15normal_iteratorINS9_10device_ptrIfEEEENS9_16discard_iteratorINS9_11use_defaultEEEf11max_functorIfEfEEDaPvRmT3_T4_T5_mT6_P12ihipStream_tbENKUlT_T0_E_clISt17integral_constantIbLb0EESW_IbLb1EEEEDaSS_ST_EUlSS_E_NS1_11comp_targetILNS1_3genE9ELNS1_11target_archE1100ELNS1_3gpuE3ELNS1_3repE0EEENS1_30default_config_static_selectorELNS0_4arch9wavefront6targetE1EEEvT1_,"axG",@progbits,_ZN7rocprim17ROCPRIM_400000_NS6detail17trampoline_kernelINS0_14default_configENS1_20scan_config_selectorIfEEZZNS1_9scan_implILNS1_25lookback_scan_determinismE0ELb1ELb1ES3_N6thrust23THRUST_200600_302600_NS6detail15normal_iteratorINS9_10device_ptrIfEEEENS9_16discard_iteratorINS9_11use_defaultEEEf11max_functorIfEfEEDaPvRmT3_T4_T5_mT6_P12ihipStream_tbENKUlT_T0_E_clISt17integral_constantIbLb0EESW_IbLb1EEEEDaSS_ST_EUlSS_E_NS1_11comp_targetILNS1_3genE9ELNS1_11target_archE1100ELNS1_3gpuE3ELNS1_3repE0EEENS1_30default_config_static_selectorELNS0_4arch9wavefront6targetE1EEEvT1_,comdat
.Lfunc_end3267:
	.size	_ZN7rocprim17ROCPRIM_400000_NS6detail17trampoline_kernelINS0_14default_configENS1_20scan_config_selectorIfEEZZNS1_9scan_implILNS1_25lookback_scan_determinismE0ELb1ELb1ES3_N6thrust23THRUST_200600_302600_NS6detail15normal_iteratorINS9_10device_ptrIfEEEENS9_16discard_iteratorINS9_11use_defaultEEEf11max_functorIfEfEEDaPvRmT3_T4_T5_mT6_P12ihipStream_tbENKUlT_T0_E_clISt17integral_constantIbLb0EESW_IbLb1EEEEDaSS_ST_EUlSS_E_NS1_11comp_targetILNS1_3genE9ELNS1_11target_archE1100ELNS1_3gpuE3ELNS1_3repE0EEENS1_30default_config_static_selectorELNS0_4arch9wavefront6targetE1EEEvT1_, .Lfunc_end3267-_ZN7rocprim17ROCPRIM_400000_NS6detail17trampoline_kernelINS0_14default_configENS1_20scan_config_selectorIfEEZZNS1_9scan_implILNS1_25lookback_scan_determinismE0ELb1ELb1ES3_N6thrust23THRUST_200600_302600_NS6detail15normal_iteratorINS9_10device_ptrIfEEEENS9_16discard_iteratorINS9_11use_defaultEEEf11max_functorIfEfEEDaPvRmT3_T4_T5_mT6_P12ihipStream_tbENKUlT_T0_E_clISt17integral_constantIbLb0EESW_IbLb1EEEEDaSS_ST_EUlSS_E_NS1_11comp_targetILNS1_3genE9ELNS1_11target_archE1100ELNS1_3gpuE3ELNS1_3repE0EEENS1_30default_config_static_selectorELNS0_4arch9wavefront6targetE1EEEvT1_
                                        ; -- End function
	.section	.AMDGPU.csdata,"",@progbits
; Kernel info:
; codeLenInByte = 0
; NumSgprs: 4
; NumVgprs: 0
; NumAgprs: 0
; TotalNumVgprs: 0
; ScratchSize: 0
; MemoryBound: 0
; FloatMode: 240
; IeeeMode: 1
; LDSByteSize: 0 bytes/workgroup (compile time only)
; SGPRBlocks: 0
; VGPRBlocks: 0
; NumSGPRsForWavesPerEU: 4
; NumVGPRsForWavesPerEU: 1
; AccumOffset: 4
; Occupancy: 8
; WaveLimiterHint : 0
; COMPUTE_PGM_RSRC2:SCRATCH_EN: 0
; COMPUTE_PGM_RSRC2:USER_SGPR: 6
; COMPUTE_PGM_RSRC2:TRAP_HANDLER: 0
; COMPUTE_PGM_RSRC2:TGID_X_EN: 1
; COMPUTE_PGM_RSRC2:TGID_Y_EN: 0
; COMPUTE_PGM_RSRC2:TGID_Z_EN: 0
; COMPUTE_PGM_RSRC2:TIDIG_COMP_CNT: 0
; COMPUTE_PGM_RSRC3_GFX90A:ACCUM_OFFSET: 0
; COMPUTE_PGM_RSRC3_GFX90A:TG_SPLIT: 0
	.section	.text._ZN7rocprim17ROCPRIM_400000_NS6detail17trampoline_kernelINS0_14default_configENS1_20scan_config_selectorIfEEZZNS1_9scan_implILNS1_25lookback_scan_determinismE0ELb1ELb1ES3_N6thrust23THRUST_200600_302600_NS6detail15normal_iteratorINS9_10device_ptrIfEEEENS9_16discard_iteratorINS9_11use_defaultEEEf11max_functorIfEfEEDaPvRmT3_T4_T5_mT6_P12ihipStream_tbENKUlT_T0_E_clISt17integral_constantIbLb0EESW_IbLb1EEEEDaSS_ST_EUlSS_E_NS1_11comp_targetILNS1_3genE8ELNS1_11target_archE1030ELNS1_3gpuE2ELNS1_3repE0EEENS1_30default_config_static_selectorELNS0_4arch9wavefront6targetE1EEEvT1_,"axG",@progbits,_ZN7rocprim17ROCPRIM_400000_NS6detail17trampoline_kernelINS0_14default_configENS1_20scan_config_selectorIfEEZZNS1_9scan_implILNS1_25lookback_scan_determinismE0ELb1ELb1ES3_N6thrust23THRUST_200600_302600_NS6detail15normal_iteratorINS9_10device_ptrIfEEEENS9_16discard_iteratorINS9_11use_defaultEEEf11max_functorIfEfEEDaPvRmT3_T4_T5_mT6_P12ihipStream_tbENKUlT_T0_E_clISt17integral_constantIbLb0EESW_IbLb1EEEEDaSS_ST_EUlSS_E_NS1_11comp_targetILNS1_3genE8ELNS1_11target_archE1030ELNS1_3gpuE2ELNS1_3repE0EEENS1_30default_config_static_selectorELNS0_4arch9wavefront6targetE1EEEvT1_,comdat
	.protected	_ZN7rocprim17ROCPRIM_400000_NS6detail17trampoline_kernelINS0_14default_configENS1_20scan_config_selectorIfEEZZNS1_9scan_implILNS1_25lookback_scan_determinismE0ELb1ELb1ES3_N6thrust23THRUST_200600_302600_NS6detail15normal_iteratorINS9_10device_ptrIfEEEENS9_16discard_iteratorINS9_11use_defaultEEEf11max_functorIfEfEEDaPvRmT3_T4_T5_mT6_P12ihipStream_tbENKUlT_T0_E_clISt17integral_constantIbLb0EESW_IbLb1EEEEDaSS_ST_EUlSS_E_NS1_11comp_targetILNS1_3genE8ELNS1_11target_archE1030ELNS1_3gpuE2ELNS1_3repE0EEENS1_30default_config_static_selectorELNS0_4arch9wavefront6targetE1EEEvT1_ ; -- Begin function _ZN7rocprim17ROCPRIM_400000_NS6detail17trampoline_kernelINS0_14default_configENS1_20scan_config_selectorIfEEZZNS1_9scan_implILNS1_25lookback_scan_determinismE0ELb1ELb1ES3_N6thrust23THRUST_200600_302600_NS6detail15normal_iteratorINS9_10device_ptrIfEEEENS9_16discard_iteratorINS9_11use_defaultEEEf11max_functorIfEfEEDaPvRmT3_T4_T5_mT6_P12ihipStream_tbENKUlT_T0_E_clISt17integral_constantIbLb0EESW_IbLb1EEEEDaSS_ST_EUlSS_E_NS1_11comp_targetILNS1_3genE8ELNS1_11target_archE1030ELNS1_3gpuE2ELNS1_3repE0EEENS1_30default_config_static_selectorELNS0_4arch9wavefront6targetE1EEEvT1_
	.globl	_ZN7rocprim17ROCPRIM_400000_NS6detail17trampoline_kernelINS0_14default_configENS1_20scan_config_selectorIfEEZZNS1_9scan_implILNS1_25lookback_scan_determinismE0ELb1ELb1ES3_N6thrust23THRUST_200600_302600_NS6detail15normal_iteratorINS9_10device_ptrIfEEEENS9_16discard_iteratorINS9_11use_defaultEEEf11max_functorIfEfEEDaPvRmT3_T4_T5_mT6_P12ihipStream_tbENKUlT_T0_E_clISt17integral_constantIbLb0EESW_IbLb1EEEEDaSS_ST_EUlSS_E_NS1_11comp_targetILNS1_3genE8ELNS1_11target_archE1030ELNS1_3gpuE2ELNS1_3repE0EEENS1_30default_config_static_selectorELNS0_4arch9wavefront6targetE1EEEvT1_
	.p2align	8
	.type	_ZN7rocprim17ROCPRIM_400000_NS6detail17trampoline_kernelINS0_14default_configENS1_20scan_config_selectorIfEEZZNS1_9scan_implILNS1_25lookback_scan_determinismE0ELb1ELb1ES3_N6thrust23THRUST_200600_302600_NS6detail15normal_iteratorINS9_10device_ptrIfEEEENS9_16discard_iteratorINS9_11use_defaultEEEf11max_functorIfEfEEDaPvRmT3_T4_T5_mT6_P12ihipStream_tbENKUlT_T0_E_clISt17integral_constantIbLb0EESW_IbLb1EEEEDaSS_ST_EUlSS_E_NS1_11comp_targetILNS1_3genE8ELNS1_11target_archE1030ELNS1_3gpuE2ELNS1_3repE0EEENS1_30default_config_static_selectorELNS0_4arch9wavefront6targetE1EEEvT1_,@function
_ZN7rocprim17ROCPRIM_400000_NS6detail17trampoline_kernelINS0_14default_configENS1_20scan_config_selectorIfEEZZNS1_9scan_implILNS1_25lookback_scan_determinismE0ELb1ELb1ES3_N6thrust23THRUST_200600_302600_NS6detail15normal_iteratorINS9_10device_ptrIfEEEENS9_16discard_iteratorINS9_11use_defaultEEEf11max_functorIfEfEEDaPvRmT3_T4_T5_mT6_P12ihipStream_tbENKUlT_T0_E_clISt17integral_constantIbLb0EESW_IbLb1EEEEDaSS_ST_EUlSS_E_NS1_11comp_targetILNS1_3genE8ELNS1_11target_archE1030ELNS1_3gpuE2ELNS1_3repE0EEENS1_30default_config_static_selectorELNS0_4arch9wavefront6targetE1EEEvT1_: ; @_ZN7rocprim17ROCPRIM_400000_NS6detail17trampoline_kernelINS0_14default_configENS1_20scan_config_selectorIfEEZZNS1_9scan_implILNS1_25lookback_scan_determinismE0ELb1ELb1ES3_N6thrust23THRUST_200600_302600_NS6detail15normal_iteratorINS9_10device_ptrIfEEEENS9_16discard_iteratorINS9_11use_defaultEEEf11max_functorIfEfEEDaPvRmT3_T4_T5_mT6_P12ihipStream_tbENKUlT_T0_E_clISt17integral_constantIbLb0EESW_IbLb1EEEEDaSS_ST_EUlSS_E_NS1_11comp_targetILNS1_3genE8ELNS1_11target_archE1030ELNS1_3gpuE2ELNS1_3repE0EEENS1_30default_config_static_selectorELNS0_4arch9wavefront6targetE1EEEvT1_
; %bb.0:
	.section	.rodata,"a",@progbits
	.p2align	6, 0x0
	.amdhsa_kernel _ZN7rocprim17ROCPRIM_400000_NS6detail17trampoline_kernelINS0_14default_configENS1_20scan_config_selectorIfEEZZNS1_9scan_implILNS1_25lookback_scan_determinismE0ELb1ELb1ES3_N6thrust23THRUST_200600_302600_NS6detail15normal_iteratorINS9_10device_ptrIfEEEENS9_16discard_iteratorINS9_11use_defaultEEEf11max_functorIfEfEEDaPvRmT3_T4_T5_mT6_P12ihipStream_tbENKUlT_T0_E_clISt17integral_constantIbLb0EESW_IbLb1EEEEDaSS_ST_EUlSS_E_NS1_11comp_targetILNS1_3genE8ELNS1_11target_archE1030ELNS1_3gpuE2ELNS1_3repE0EEENS1_30default_config_static_selectorELNS0_4arch9wavefront6targetE1EEEvT1_
		.amdhsa_group_segment_fixed_size 0
		.amdhsa_private_segment_fixed_size 0
		.amdhsa_kernarg_size 104
		.amdhsa_user_sgpr_count 6
		.amdhsa_user_sgpr_private_segment_buffer 1
		.amdhsa_user_sgpr_dispatch_ptr 0
		.amdhsa_user_sgpr_queue_ptr 0
		.amdhsa_user_sgpr_kernarg_segment_ptr 1
		.amdhsa_user_sgpr_dispatch_id 0
		.amdhsa_user_sgpr_flat_scratch_init 0
		.amdhsa_user_sgpr_kernarg_preload_length 0
		.amdhsa_user_sgpr_kernarg_preload_offset 0
		.amdhsa_user_sgpr_private_segment_size 0
		.amdhsa_uses_dynamic_stack 0
		.amdhsa_system_sgpr_private_segment_wavefront_offset 0
		.amdhsa_system_sgpr_workgroup_id_x 1
		.amdhsa_system_sgpr_workgroup_id_y 0
		.amdhsa_system_sgpr_workgroup_id_z 0
		.amdhsa_system_sgpr_workgroup_info 0
		.amdhsa_system_vgpr_workitem_id 0
		.amdhsa_next_free_vgpr 1
		.amdhsa_next_free_sgpr 0
		.amdhsa_accum_offset 4
		.amdhsa_reserve_vcc 0
		.amdhsa_reserve_flat_scratch 0
		.amdhsa_float_round_mode_32 0
		.amdhsa_float_round_mode_16_64 0
		.amdhsa_float_denorm_mode_32 3
		.amdhsa_float_denorm_mode_16_64 3
		.amdhsa_dx10_clamp 1
		.amdhsa_ieee_mode 1
		.amdhsa_fp16_overflow 0
		.amdhsa_tg_split 0
		.amdhsa_exception_fp_ieee_invalid_op 0
		.amdhsa_exception_fp_denorm_src 0
		.amdhsa_exception_fp_ieee_div_zero 0
		.amdhsa_exception_fp_ieee_overflow 0
		.amdhsa_exception_fp_ieee_underflow 0
		.amdhsa_exception_fp_ieee_inexact 0
		.amdhsa_exception_int_div_zero 0
	.end_amdhsa_kernel
	.section	.text._ZN7rocprim17ROCPRIM_400000_NS6detail17trampoline_kernelINS0_14default_configENS1_20scan_config_selectorIfEEZZNS1_9scan_implILNS1_25lookback_scan_determinismE0ELb1ELb1ES3_N6thrust23THRUST_200600_302600_NS6detail15normal_iteratorINS9_10device_ptrIfEEEENS9_16discard_iteratorINS9_11use_defaultEEEf11max_functorIfEfEEDaPvRmT3_T4_T5_mT6_P12ihipStream_tbENKUlT_T0_E_clISt17integral_constantIbLb0EESW_IbLb1EEEEDaSS_ST_EUlSS_E_NS1_11comp_targetILNS1_3genE8ELNS1_11target_archE1030ELNS1_3gpuE2ELNS1_3repE0EEENS1_30default_config_static_selectorELNS0_4arch9wavefront6targetE1EEEvT1_,"axG",@progbits,_ZN7rocprim17ROCPRIM_400000_NS6detail17trampoline_kernelINS0_14default_configENS1_20scan_config_selectorIfEEZZNS1_9scan_implILNS1_25lookback_scan_determinismE0ELb1ELb1ES3_N6thrust23THRUST_200600_302600_NS6detail15normal_iteratorINS9_10device_ptrIfEEEENS9_16discard_iteratorINS9_11use_defaultEEEf11max_functorIfEfEEDaPvRmT3_T4_T5_mT6_P12ihipStream_tbENKUlT_T0_E_clISt17integral_constantIbLb0EESW_IbLb1EEEEDaSS_ST_EUlSS_E_NS1_11comp_targetILNS1_3genE8ELNS1_11target_archE1030ELNS1_3gpuE2ELNS1_3repE0EEENS1_30default_config_static_selectorELNS0_4arch9wavefront6targetE1EEEvT1_,comdat
.Lfunc_end3268:
	.size	_ZN7rocprim17ROCPRIM_400000_NS6detail17trampoline_kernelINS0_14default_configENS1_20scan_config_selectorIfEEZZNS1_9scan_implILNS1_25lookback_scan_determinismE0ELb1ELb1ES3_N6thrust23THRUST_200600_302600_NS6detail15normal_iteratorINS9_10device_ptrIfEEEENS9_16discard_iteratorINS9_11use_defaultEEEf11max_functorIfEfEEDaPvRmT3_T4_T5_mT6_P12ihipStream_tbENKUlT_T0_E_clISt17integral_constantIbLb0EESW_IbLb1EEEEDaSS_ST_EUlSS_E_NS1_11comp_targetILNS1_3genE8ELNS1_11target_archE1030ELNS1_3gpuE2ELNS1_3repE0EEENS1_30default_config_static_selectorELNS0_4arch9wavefront6targetE1EEEvT1_, .Lfunc_end3268-_ZN7rocprim17ROCPRIM_400000_NS6detail17trampoline_kernelINS0_14default_configENS1_20scan_config_selectorIfEEZZNS1_9scan_implILNS1_25lookback_scan_determinismE0ELb1ELb1ES3_N6thrust23THRUST_200600_302600_NS6detail15normal_iteratorINS9_10device_ptrIfEEEENS9_16discard_iteratorINS9_11use_defaultEEEf11max_functorIfEfEEDaPvRmT3_T4_T5_mT6_P12ihipStream_tbENKUlT_T0_E_clISt17integral_constantIbLb0EESW_IbLb1EEEEDaSS_ST_EUlSS_E_NS1_11comp_targetILNS1_3genE8ELNS1_11target_archE1030ELNS1_3gpuE2ELNS1_3repE0EEENS1_30default_config_static_selectorELNS0_4arch9wavefront6targetE1EEEvT1_
                                        ; -- End function
	.section	.AMDGPU.csdata,"",@progbits
; Kernel info:
; codeLenInByte = 0
; NumSgprs: 4
; NumVgprs: 0
; NumAgprs: 0
; TotalNumVgprs: 0
; ScratchSize: 0
; MemoryBound: 0
; FloatMode: 240
; IeeeMode: 1
; LDSByteSize: 0 bytes/workgroup (compile time only)
; SGPRBlocks: 0
; VGPRBlocks: 0
; NumSGPRsForWavesPerEU: 4
; NumVGPRsForWavesPerEU: 1
; AccumOffset: 4
; Occupancy: 8
; WaveLimiterHint : 0
; COMPUTE_PGM_RSRC2:SCRATCH_EN: 0
; COMPUTE_PGM_RSRC2:USER_SGPR: 6
; COMPUTE_PGM_RSRC2:TRAP_HANDLER: 0
; COMPUTE_PGM_RSRC2:TGID_X_EN: 1
; COMPUTE_PGM_RSRC2:TGID_Y_EN: 0
; COMPUTE_PGM_RSRC2:TGID_Z_EN: 0
; COMPUTE_PGM_RSRC2:TIDIG_COMP_CNT: 0
; COMPUTE_PGM_RSRC3_GFX90A:ACCUM_OFFSET: 0
; COMPUTE_PGM_RSRC3_GFX90A:TG_SPLIT: 0
	.section	.text._ZN7rocprim17ROCPRIM_400000_NS6detail17trampoline_kernelINS0_14default_configENS1_20scan_config_selectorIfEEZZNS1_9scan_implILNS1_25lookback_scan_determinismE0ELb1ELb1ES3_N6thrust23THRUST_200600_302600_NS6detail15normal_iteratorINS9_10device_ptrIfEEEENS9_16discard_iteratorINS9_11use_defaultEEEf11max_functorIfEfEEDaPvRmT3_T4_T5_mT6_P12ihipStream_tbENKUlT_T0_E_clISt17integral_constantIbLb0EESW_IbLb1EEEEDaSS_ST_EUlSS_E0_NS1_11comp_targetILNS1_3genE0ELNS1_11target_archE4294967295ELNS1_3gpuE0ELNS1_3repE0EEENS1_30default_config_static_selectorELNS0_4arch9wavefront6targetE1EEEvT1_,"axG",@progbits,_ZN7rocprim17ROCPRIM_400000_NS6detail17trampoline_kernelINS0_14default_configENS1_20scan_config_selectorIfEEZZNS1_9scan_implILNS1_25lookback_scan_determinismE0ELb1ELb1ES3_N6thrust23THRUST_200600_302600_NS6detail15normal_iteratorINS9_10device_ptrIfEEEENS9_16discard_iteratorINS9_11use_defaultEEEf11max_functorIfEfEEDaPvRmT3_T4_T5_mT6_P12ihipStream_tbENKUlT_T0_E_clISt17integral_constantIbLb0EESW_IbLb1EEEEDaSS_ST_EUlSS_E0_NS1_11comp_targetILNS1_3genE0ELNS1_11target_archE4294967295ELNS1_3gpuE0ELNS1_3repE0EEENS1_30default_config_static_selectorELNS0_4arch9wavefront6targetE1EEEvT1_,comdat
	.protected	_ZN7rocprim17ROCPRIM_400000_NS6detail17trampoline_kernelINS0_14default_configENS1_20scan_config_selectorIfEEZZNS1_9scan_implILNS1_25lookback_scan_determinismE0ELb1ELb1ES3_N6thrust23THRUST_200600_302600_NS6detail15normal_iteratorINS9_10device_ptrIfEEEENS9_16discard_iteratorINS9_11use_defaultEEEf11max_functorIfEfEEDaPvRmT3_T4_T5_mT6_P12ihipStream_tbENKUlT_T0_E_clISt17integral_constantIbLb0EESW_IbLb1EEEEDaSS_ST_EUlSS_E0_NS1_11comp_targetILNS1_3genE0ELNS1_11target_archE4294967295ELNS1_3gpuE0ELNS1_3repE0EEENS1_30default_config_static_selectorELNS0_4arch9wavefront6targetE1EEEvT1_ ; -- Begin function _ZN7rocprim17ROCPRIM_400000_NS6detail17trampoline_kernelINS0_14default_configENS1_20scan_config_selectorIfEEZZNS1_9scan_implILNS1_25lookback_scan_determinismE0ELb1ELb1ES3_N6thrust23THRUST_200600_302600_NS6detail15normal_iteratorINS9_10device_ptrIfEEEENS9_16discard_iteratorINS9_11use_defaultEEEf11max_functorIfEfEEDaPvRmT3_T4_T5_mT6_P12ihipStream_tbENKUlT_T0_E_clISt17integral_constantIbLb0EESW_IbLb1EEEEDaSS_ST_EUlSS_E0_NS1_11comp_targetILNS1_3genE0ELNS1_11target_archE4294967295ELNS1_3gpuE0ELNS1_3repE0EEENS1_30default_config_static_selectorELNS0_4arch9wavefront6targetE1EEEvT1_
	.globl	_ZN7rocprim17ROCPRIM_400000_NS6detail17trampoline_kernelINS0_14default_configENS1_20scan_config_selectorIfEEZZNS1_9scan_implILNS1_25lookback_scan_determinismE0ELb1ELb1ES3_N6thrust23THRUST_200600_302600_NS6detail15normal_iteratorINS9_10device_ptrIfEEEENS9_16discard_iteratorINS9_11use_defaultEEEf11max_functorIfEfEEDaPvRmT3_T4_T5_mT6_P12ihipStream_tbENKUlT_T0_E_clISt17integral_constantIbLb0EESW_IbLb1EEEEDaSS_ST_EUlSS_E0_NS1_11comp_targetILNS1_3genE0ELNS1_11target_archE4294967295ELNS1_3gpuE0ELNS1_3repE0EEENS1_30default_config_static_selectorELNS0_4arch9wavefront6targetE1EEEvT1_
	.p2align	8
	.type	_ZN7rocprim17ROCPRIM_400000_NS6detail17trampoline_kernelINS0_14default_configENS1_20scan_config_selectorIfEEZZNS1_9scan_implILNS1_25lookback_scan_determinismE0ELb1ELb1ES3_N6thrust23THRUST_200600_302600_NS6detail15normal_iteratorINS9_10device_ptrIfEEEENS9_16discard_iteratorINS9_11use_defaultEEEf11max_functorIfEfEEDaPvRmT3_T4_T5_mT6_P12ihipStream_tbENKUlT_T0_E_clISt17integral_constantIbLb0EESW_IbLb1EEEEDaSS_ST_EUlSS_E0_NS1_11comp_targetILNS1_3genE0ELNS1_11target_archE4294967295ELNS1_3gpuE0ELNS1_3repE0EEENS1_30default_config_static_selectorELNS0_4arch9wavefront6targetE1EEEvT1_,@function
_ZN7rocprim17ROCPRIM_400000_NS6detail17trampoline_kernelINS0_14default_configENS1_20scan_config_selectorIfEEZZNS1_9scan_implILNS1_25lookback_scan_determinismE0ELb1ELb1ES3_N6thrust23THRUST_200600_302600_NS6detail15normal_iteratorINS9_10device_ptrIfEEEENS9_16discard_iteratorINS9_11use_defaultEEEf11max_functorIfEfEEDaPvRmT3_T4_T5_mT6_P12ihipStream_tbENKUlT_T0_E_clISt17integral_constantIbLb0EESW_IbLb1EEEEDaSS_ST_EUlSS_E0_NS1_11comp_targetILNS1_3genE0ELNS1_11target_archE4294967295ELNS1_3gpuE0ELNS1_3repE0EEENS1_30default_config_static_selectorELNS0_4arch9wavefront6targetE1EEEvT1_: ; @_ZN7rocprim17ROCPRIM_400000_NS6detail17trampoline_kernelINS0_14default_configENS1_20scan_config_selectorIfEEZZNS1_9scan_implILNS1_25lookback_scan_determinismE0ELb1ELb1ES3_N6thrust23THRUST_200600_302600_NS6detail15normal_iteratorINS9_10device_ptrIfEEEENS9_16discard_iteratorINS9_11use_defaultEEEf11max_functorIfEfEEDaPvRmT3_T4_T5_mT6_P12ihipStream_tbENKUlT_T0_E_clISt17integral_constantIbLb0EESW_IbLb1EEEEDaSS_ST_EUlSS_E0_NS1_11comp_targetILNS1_3genE0ELNS1_11target_archE4294967295ELNS1_3gpuE0ELNS1_3repE0EEENS1_30default_config_static_selectorELNS0_4arch9wavefront6targetE1EEEvT1_
; %bb.0:
	.section	.rodata,"a",@progbits
	.p2align	6, 0x0
	.amdhsa_kernel _ZN7rocprim17ROCPRIM_400000_NS6detail17trampoline_kernelINS0_14default_configENS1_20scan_config_selectorIfEEZZNS1_9scan_implILNS1_25lookback_scan_determinismE0ELb1ELb1ES3_N6thrust23THRUST_200600_302600_NS6detail15normal_iteratorINS9_10device_ptrIfEEEENS9_16discard_iteratorINS9_11use_defaultEEEf11max_functorIfEfEEDaPvRmT3_T4_T5_mT6_P12ihipStream_tbENKUlT_T0_E_clISt17integral_constantIbLb0EESW_IbLb1EEEEDaSS_ST_EUlSS_E0_NS1_11comp_targetILNS1_3genE0ELNS1_11target_archE4294967295ELNS1_3gpuE0ELNS1_3repE0EEENS1_30default_config_static_selectorELNS0_4arch9wavefront6targetE1EEEvT1_
		.amdhsa_group_segment_fixed_size 0
		.amdhsa_private_segment_fixed_size 0
		.amdhsa_kernarg_size 40
		.amdhsa_user_sgpr_count 6
		.amdhsa_user_sgpr_private_segment_buffer 1
		.amdhsa_user_sgpr_dispatch_ptr 0
		.amdhsa_user_sgpr_queue_ptr 0
		.amdhsa_user_sgpr_kernarg_segment_ptr 1
		.amdhsa_user_sgpr_dispatch_id 0
		.amdhsa_user_sgpr_flat_scratch_init 0
		.amdhsa_user_sgpr_kernarg_preload_length 0
		.amdhsa_user_sgpr_kernarg_preload_offset 0
		.amdhsa_user_sgpr_private_segment_size 0
		.amdhsa_uses_dynamic_stack 0
		.amdhsa_system_sgpr_private_segment_wavefront_offset 0
		.amdhsa_system_sgpr_workgroup_id_x 1
		.amdhsa_system_sgpr_workgroup_id_y 0
		.amdhsa_system_sgpr_workgroup_id_z 0
		.amdhsa_system_sgpr_workgroup_info 0
		.amdhsa_system_vgpr_workitem_id 0
		.amdhsa_next_free_vgpr 1
		.amdhsa_next_free_sgpr 0
		.amdhsa_accum_offset 4
		.amdhsa_reserve_vcc 0
		.amdhsa_reserve_flat_scratch 0
		.amdhsa_float_round_mode_32 0
		.amdhsa_float_round_mode_16_64 0
		.amdhsa_float_denorm_mode_32 3
		.amdhsa_float_denorm_mode_16_64 3
		.amdhsa_dx10_clamp 1
		.amdhsa_ieee_mode 1
		.amdhsa_fp16_overflow 0
		.amdhsa_tg_split 0
		.amdhsa_exception_fp_ieee_invalid_op 0
		.amdhsa_exception_fp_denorm_src 0
		.amdhsa_exception_fp_ieee_div_zero 0
		.amdhsa_exception_fp_ieee_overflow 0
		.amdhsa_exception_fp_ieee_underflow 0
		.amdhsa_exception_fp_ieee_inexact 0
		.amdhsa_exception_int_div_zero 0
	.end_amdhsa_kernel
	.section	.text._ZN7rocprim17ROCPRIM_400000_NS6detail17trampoline_kernelINS0_14default_configENS1_20scan_config_selectorIfEEZZNS1_9scan_implILNS1_25lookback_scan_determinismE0ELb1ELb1ES3_N6thrust23THRUST_200600_302600_NS6detail15normal_iteratorINS9_10device_ptrIfEEEENS9_16discard_iteratorINS9_11use_defaultEEEf11max_functorIfEfEEDaPvRmT3_T4_T5_mT6_P12ihipStream_tbENKUlT_T0_E_clISt17integral_constantIbLb0EESW_IbLb1EEEEDaSS_ST_EUlSS_E0_NS1_11comp_targetILNS1_3genE0ELNS1_11target_archE4294967295ELNS1_3gpuE0ELNS1_3repE0EEENS1_30default_config_static_selectorELNS0_4arch9wavefront6targetE1EEEvT1_,"axG",@progbits,_ZN7rocprim17ROCPRIM_400000_NS6detail17trampoline_kernelINS0_14default_configENS1_20scan_config_selectorIfEEZZNS1_9scan_implILNS1_25lookback_scan_determinismE0ELb1ELb1ES3_N6thrust23THRUST_200600_302600_NS6detail15normal_iteratorINS9_10device_ptrIfEEEENS9_16discard_iteratorINS9_11use_defaultEEEf11max_functorIfEfEEDaPvRmT3_T4_T5_mT6_P12ihipStream_tbENKUlT_T0_E_clISt17integral_constantIbLb0EESW_IbLb1EEEEDaSS_ST_EUlSS_E0_NS1_11comp_targetILNS1_3genE0ELNS1_11target_archE4294967295ELNS1_3gpuE0ELNS1_3repE0EEENS1_30default_config_static_selectorELNS0_4arch9wavefront6targetE1EEEvT1_,comdat
.Lfunc_end3269:
	.size	_ZN7rocprim17ROCPRIM_400000_NS6detail17trampoline_kernelINS0_14default_configENS1_20scan_config_selectorIfEEZZNS1_9scan_implILNS1_25lookback_scan_determinismE0ELb1ELb1ES3_N6thrust23THRUST_200600_302600_NS6detail15normal_iteratorINS9_10device_ptrIfEEEENS9_16discard_iteratorINS9_11use_defaultEEEf11max_functorIfEfEEDaPvRmT3_T4_T5_mT6_P12ihipStream_tbENKUlT_T0_E_clISt17integral_constantIbLb0EESW_IbLb1EEEEDaSS_ST_EUlSS_E0_NS1_11comp_targetILNS1_3genE0ELNS1_11target_archE4294967295ELNS1_3gpuE0ELNS1_3repE0EEENS1_30default_config_static_selectorELNS0_4arch9wavefront6targetE1EEEvT1_, .Lfunc_end3269-_ZN7rocprim17ROCPRIM_400000_NS6detail17trampoline_kernelINS0_14default_configENS1_20scan_config_selectorIfEEZZNS1_9scan_implILNS1_25lookback_scan_determinismE0ELb1ELb1ES3_N6thrust23THRUST_200600_302600_NS6detail15normal_iteratorINS9_10device_ptrIfEEEENS9_16discard_iteratorINS9_11use_defaultEEEf11max_functorIfEfEEDaPvRmT3_T4_T5_mT6_P12ihipStream_tbENKUlT_T0_E_clISt17integral_constantIbLb0EESW_IbLb1EEEEDaSS_ST_EUlSS_E0_NS1_11comp_targetILNS1_3genE0ELNS1_11target_archE4294967295ELNS1_3gpuE0ELNS1_3repE0EEENS1_30default_config_static_selectorELNS0_4arch9wavefront6targetE1EEEvT1_
                                        ; -- End function
	.section	.AMDGPU.csdata,"",@progbits
; Kernel info:
; codeLenInByte = 0
; NumSgprs: 4
; NumVgprs: 0
; NumAgprs: 0
; TotalNumVgprs: 0
; ScratchSize: 0
; MemoryBound: 0
; FloatMode: 240
; IeeeMode: 1
; LDSByteSize: 0 bytes/workgroup (compile time only)
; SGPRBlocks: 0
; VGPRBlocks: 0
; NumSGPRsForWavesPerEU: 4
; NumVGPRsForWavesPerEU: 1
; AccumOffset: 4
; Occupancy: 8
; WaveLimiterHint : 0
; COMPUTE_PGM_RSRC2:SCRATCH_EN: 0
; COMPUTE_PGM_RSRC2:USER_SGPR: 6
; COMPUTE_PGM_RSRC2:TRAP_HANDLER: 0
; COMPUTE_PGM_RSRC2:TGID_X_EN: 1
; COMPUTE_PGM_RSRC2:TGID_Y_EN: 0
; COMPUTE_PGM_RSRC2:TGID_Z_EN: 0
; COMPUTE_PGM_RSRC2:TIDIG_COMP_CNT: 0
; COMPUTE_PGM_RSRC3_GFX90A:ACCUM_OFFSET: 0
; COMPUTE_PGM_RSRC3_GFX90A:TG_SPLIT: 0
	.section	.text._ZN7rocprim17ROCPRIM_400000_NS6detail17trampoline_kernelINS0_14default_configENS1_20scan_config_selectorIfEEZZNS1_9scan_implILNS1_25lookback_scan_determinismE0ELb1ELb1ES3_N6thrust23THRUST_200600_302600_NS6detail15normal_iteratorINS9_10device_ptrIfEEEENS9_16discard_iteratorINS9_11use_defaultEEEf11max_functorIfEfEEDaPvRmT3_T4_T5_mT6_P12ihipStream_tbENKUlT_T0_E_clISt17integral_constantIbLb0EESW_IbLb1EEEEDaSS_ST_EUlSS_E0_NS1_11comp_targetILNS1_3genE5ELNS1_11target_archE942ELNS1_3gpuE9ELNS1_3repE0EEENS1_30default_config_static_selectorELNS0_4arch9wavefront6targetE1EEEvT1_,"axG",@progbits,_ZN7rocprim17ROCPRIM_400000_NS6detail17trampoline_kernelINS0_14default_configENS1_20scan_config_selectorIfEEZZNS1_9scan_implILNS1_25lookback_scan_determinismE0ELb1ELb1ES3_N6thrust23THRUST_200600_302600_NS6detail15normal_iteratorINS9_10device_ptrIfEEEENS9_16discard_iteratorINS9_11use_defaultEEEf11max_functorIfEfEEDaPvRmT3_T4_T5_mT6_P12ihipStream_tbENKUlT_T0_E_clISt17integral_constantIbLb0EESW_IbLb1EEEEDaSS_ST_EUlSS_E0_NS1_11comp_targetILNS1_3genE5ELNS1_11target_archE942ELNS1_3gpuE9ELNS1_3repE0EEENS1_30default_config_static_selectorELNS0_4arch9wavefront6targetE1EEEvT1_,comdat
	.protected	_ZN7rocprim17ROCPRIM_400000_NS6detail17trampoline_kernelINS0_14default_configENS1_20scan_config_selectorIfEEZZNS1_9scan_implILNS1_25lookback_scan_determinismE0ELb1ELb1ES3_N6thrust23THRUST_200600_302600_NS6detail15normal_iteratorINS9_10device_ptrIfEEEENS9_16discard_iteratorINS9_11use_defaultEEEf11max_functorIfEfEEDaPvRmT3_T4_T5_mT6_P12ihipStream_tbENKUlT_T0_E_clISt17integral_constantIbLb0EESW_IbLb1EEEEDaSS_ST_EUlSS_E0_NS1_11comp_targetILNS1_3genE5ELNS1_11target_archE942ELNS1_3gpuE9ELNS1_3repE0EEENS1_30default_config_static_selectorELNS0_4arch9wavefront6targetE1EEEvT1_ ; -- Begin function _ZN7rocprim17ROCPRIM_400000_NS6detail17trampoline_kernelINS0_14default_configENS1_20scan_config_selectorIfEEZZNS1_9scan_implILNS1_25lookback_scan_determinismE0ELb1ELb1ES3_N6thrust23THRUST_200600_302600_NS6detail15normal_iteratorINS9_10device_ptrIfEEEENS9_16discard_iteratorINS9_11use_defaultEEEf11max_functorIfEfEEDaPvRmT3_T4_T5_mT6_P12ihipStream_tbENKUlT_T0_E_clISt17integral_constantIbLb0EESW_IbLb1EEEEDaSS_ST_EUlSS_E0_NS1_11comp_targetILNS1_3genE5ELNS1_11target_archE942ELNS1_3gpuE9ELNS1_3repE0EEENS1_30default_config_static_selectorELNS0_4arch9wavefront6targetE1EEEvT1_
	.globl	_ZN7rocprim17ROCPRIM_400000_NS6detail17trampoline_kernelINS0_14default_configENS1_20scan_config_selectorIfEEZZNS1_9scan_implILNS1_25lookback_scan_determinismE0ELb1ELb1ES3_N6thrust23THRUST_200600_302600_NS6detail15normal_iteratorINS9_10device_ptrIfEEEENS9_16discard_iteratorINS9_11use_defaultEEEf11max_functorIfEfEEDaPvRmT3_T4_T5_mT6_P12ihipStream_tbENKUlT_T0_E_clISt17integral_constantIbLb0EESW_IbLb1EEEEDaSS_ST_EUlSS_E0_NS1_11comp_targetILNS1_3genE5ELNS1_11target_archE942ELNS1_3gpuE9ELNS1_3repE0EEENS1_30default_config_static_selectorELNS0_4arch9wavefront6targetE1EEEvT1_
	.p2align	8
	.type	_ZN7rocprim17ROCPRIM_400000_NS6detail17trampoline_kernelINS0_14default_configENS1_20scan_config_selectorIfEEZZNS1_9scan_implILNS1_25lookback_scan_determinismE0ELb1ELb1ES3_N6thrust23THRUST_200600_302600_NS6detail15normal_iteratorINS9_10device_ptrIfEEEENS9_16discard_iteratorINS9_11use_defaultEEEf11max_functorIfEfEEDaPvRmT3_T4_T5_mT6_P12ihipStream_tbENKUlT_T0_E_clISt17integral_constantIbLb0EESW_IbLb1EEEEDaSS_ST_EUlSS_E0_NS1_11comp_targetILNS1_3genE5ELNS1_11target_archE942ELNS1_3gpuE9ELNS1_3repE0EEENS1_30default_config_static_selectorELNS0_4arch9wavefront6targetE1EEEvT1_,@function
_ZN7rocprim17ROCPRIM_400000_NS6detail17trampoline_kernelINS0_14default_configENS1_20scan_config_selectorIfEEZZNS1_9scan_implILNS1_25lookback_scan_determinismE0ELb1ELb1ES3_N6thrust23THRUST_200600_302600_NS6detail15normal_iteratorINS9_10device_ptrIfEEEENS9_16discard_iteratorINS9_11use_defaultEEEf11max_functorIfEfEEDaPvRmT3_T4_T5_mT6_P12ihipStream_tbENKUlT_T0_E_clISt17integral_constantIbLb0EESW_IbLb1EEEEDaSS_ST_EUlSS_E0_NS1_11comp_targetILNS1_3genE5ELNS1_11target_archE942ELNS1_3gpuE9ELNS1_3repE0EEENS1_30default_config_static_selectorELNS0_4arch9wavefront6targetE1EEEvT1_: ; @_ZN7rocprim17ROCPRIM_400000_NS6detail17trampoline_kernelINS0_14default_configENS1_20scan_config_selectorIfEEZZNS1_9scan_implILNS1_25lookback_scan_determinismE0ELb1ELb1ES3_N6thrust23THRUST_200600_302600_NS6detail15normal_iteratorINS9_10device_ptrIfEEEENS9_16discard_iteratorINS9_11use_defaultEEEf11max_functorIfEfEEDaPvRmT3_T4_T5_mT6_P12ihipStream_tbENKUlT_T0_E_clISt17integral_constantIbLb0EESW_IbLb1EEEEDaSS_ST_EUlSS_E0_NS1_11comp_targetILNS1_3genE5ELNS1_11target_archE942ELNS1_3gpuE9ELNS1_3repE0EEENS1_30default_config_static_selectorELNS0_4arch9wavefront6targetE1EEEvT1_
; %bb.0:
	.section	.rodata,"a",@progbits
	.p2align	6, 0x0
	.amdhsa_kernel _ZN7rocprim17ROCPRIM_400000_NS6detail17trampoline_kernelINS0_14default_configENS1_20scan_config_selectorIfEEZZNS1_9scan_implILNS1_25lookback_scan_determinismE0ELb1ELb1ES3_N6thrust23THRUST_200600_302600_NS6detail15normal_iteratorINS9_10device_ptrIfEEEENS9_16discard_iteratorINS9_11use_defaultEEEf11max_functorIfEfEEDaPvRmT3_T4_T5_mT6_P12ihipStream_tbENKUlT_T0_E_clISt17integral_constantIbLb0EESW_IbLb1EEEEDaSS_ST_EUlSS_E0_NS1_11comp_targetILNS1_3genE5ELNS1_11target_archE942ELNS1_3gpuE9ELNS1_3repE0EEENS1_30default_config_static_selectorELNS0_4arch9wavefront6targetE1EEEvT1_
		.amdhsa_group_segment_fixed_size 0
		.amdhsa_private_segment_fixed_size 0
		.amdhsa_kernarg_size 40
		.amdhsa_user_sgpr_count 6
		.amdhsa_user_sgpr_private_segment_buffer 1
		.amdhsa_user_sgpr_dispatch_ptr 0
		.amdhsa_user_sgpr_queue_ptr 0
		.amdhsa_user_sgpr_kernarg_segment_ptr 1
		.amdhsa_user_sgpr_dispatch_id 0
		.amdhsa_user_sgpr_flat_scratch_init 0
		.amdhsa_user_sgpr_kernarg_preload_length 0
		.amdhsa_user_sgpr_kernarg_preload_offset 0
		.amdhsa_user_sgpr_private_segment_size 0
		.amdhsa_uses_dynamic_stack 0
		.amdhsa_system_sgpr_private_segment_wavefront_offset 0
		.amdhsa_system_sgpr_workgroup_id_x 1
		.amdhsa_system_sgpr_workgroup_id_y 0
		.amdhsa_system_sgpr_workgroup_id_z 0
		.amdhsa_system_sgpr_workgroup_info 0
		.amdhsa_system_vgpr_workitem_id 0
		.amdhsa_next_free_vgpr 1
		.amdhsa_next_free_sgpr 0
		.amdhsa_accum_offset 4
		.amdhsa_reserve_vcc 0
		.amdhsa_reserve_flat_scratch 0
		.amdhsa_float_round_mode_32 0
		.amdhsa_float_round_mode_16_64 0
		.amdhsa_float_denorm_mode_32 3
		.amdhsa_float_denorm_mode_16_64 3
		.amdhsa_dx10_clamp 1
		.amdhsa_ieee_mode 1
		.amdhsa_fp16_overflow 0
		.amdhsa_tg_split 0
		.amdhsa_exception_fp_ieee_invalid_op 0
		.amdhsa_exception_fp_denorm_src 0
		.amdhsa_exception_fp_ieee_div_zero 0
		.amdhsa_exception_fp_ieee_overflow 0
		.amdhsa_exception_fp_ieee_underflow 0
		.amdhsa_exception_fp_ieee_inexact 0
		.amdhsa_exception_int_div_zero 0
	.end_amdhsa_kernel
	.section	.text._ZN7rocprim17ROCPRIM_400000_NS6detail17trampoline_kernelINS0_14default_configENS1_20scan_config_selectorIfEEZZNS1_9scan_implILNS1_25lookback_scan_determinismE0ELb1ELb1ES3_N6thrust23THRUST_200600_302600_NS6detail15normal_iteratorINS9_10device_ptrIfEEEENS9_16discard_iteratorINS9_11use_defaultEEEf11max_functorIfEfEEDaPvRmT3_T4_T5_mT6_P12ihipStream_tbENKUlT_T0_E_clISt17integral_constantIbLb0EESW_IbLb1EEEEDaSS_ST_EUlSS_E0_NS1_11comp_targetILNS1_3genE5ELNS1_11target_archE942ELNS1_3gpuE9ELNS1_3repE0EEENS1_30default_config_static_selectorELNS0_4arch9wavefront6targetE1EEEvT1_,"axG",@progbits,_ZN7rocprim17ROCPRIM_400000_NS6detail17trampoline_kernelINS0_14default_configENS1_20scan_config_selectorIfEEZZNS1_9scan_implILNS1_25lookback_scan_determinismE0ELb1ELb1ES3_N6thrust23THRUST_200600_302600_NS6detail15normal_iteratorINS9_10device_ptrIfEEEENS9_16discard_iteratorINS9_11use_defaultEEEf11max_functorIfEfEEDaPvRmT3_T4_T5_mT6_P12ihipStream_tbENKUlT_T0_E_clISt17integral_constantIbLb0EESW_IbLb1EEEEDaSS_ST_EUlSS_E0_NS1_11comp_targetILNS1_3genE5ELNS1_11target_archE942ELNS1_3gpuE9ELNS1_3repE0EEENS1_30default_config_static_selectorELNS0_4arch9wavefront6targetE1EEEvT1_,comdat
.Lfunc_end3270:
	.size	_ZN7rocprim17ROCPRIM_400000_NS6detail17trampoline_kernelINS0_14default_configENS1_20scan_config_selectorIfEEZZNS1_9scan_implILNS1_25lookback_scan_determinismE0ELb1ELb1ES3_N6thrust23THRUST_200600_302600_NS6detail15normal_iteratorINS9_10device_ptrIfEEEENS9_16discard_iteratorINS9_11use_defaultEEEf11max_functorIfEfEEDaPvRmT3_T4_T5_mT6_P12ihipStream_tbENKUlT_T0_E_clISt17integral_constantIbLb0EESW_IbLb1EEEEDaSS_ST_EUlSS_E0_NS1_11comp_targetILNS1_3genE5ELNS1_11target_archE942ELNS1_3gpuE9ELNS1_3repE0EEENS1_30default_config_static_selectorELNS0_4arch9wavefront6targetE1EEEvT1_, .Lfunc_end3270-_ZN7rocprim17ROCPRIM_400000_NS6detail17trampoline_kernelINS0_14default_configENS1_20scan_config_selectorIfEEZZNS1_9scan_implILNS1_25lookback_scan_determinismE0ELb1ELb1ES3_N6thrust23THRUST_200600_302600_NS6detail15normal_iteratorINS9_10device_ptrIfEEEENS9_16discard_iteratorINS9_11use_defaultEEEf11max_functorIfEfEEDaPvRmT3_T4_T5_mT6_P12ihipStream_tbENKUlT_T0_E_clISt17integral_constantIbLb0EESW_IbLb1EEEEDaSS_ST_EUlSS_E0_NS1_11comp_targetILNS1_3genE5ELNS1_11target_archE942ELNS1_3gpuE9ELNS1_3repE0EEENS1_30default_config_static_selectorELNS0_4arch9wavefront6targetE1EEEvT1_
                                        ; -- End function
	.section	.AMDGPU.csdata,"",@progbits
; Kernel info:
; codeLenInByte = 0
; NumSgprs: 4
; NumVgprs: 0
; NumAgprs: 0
; TotalNumVgprs: 0
; ScratchSize: 0
; MemoryBound: 0
; FloatMode: 240
; IeeeMode: 1
; LDSByteSize: 0 bytes/workgroup (compile time only)
; SGPRBlocks: 0
; VGPRBlocks: 0
; NumSGPRsForWavesPerEU: 4
; NumVGPRsForWavesPerEU: 1
; AccumOffset: 4
; Occupancy: 8
; WaveLimiterHint : 0
; COMPUTE_PGM_RSRC2:SCRATCH_EN: 0
; COMPUTE_PGM_RSRC2:USER_SGPR: 6
; COMPUTE_PGM_RSRC2:TRAP_HANDLER: 0
; COMPUTE_PGM_RSRC2:TGID_X_EN: 1
; COMPUTE_PGM_RSRC2:TGID_Y_EN: 0
; COMPUTE_PGM_RSRC2:TGID_Z_EN: 0
; COMPUTE_PGM_RSRC2:TIDIG_COMP_CNT: 0
; COMPUTE_PGM_RSRC3_GFX90A:ACCUM_OFFSET: 0
; COMPUTE_PGM_RSRC3_GFX90A:TG_SPLIT: 0
	.section	.text._ZN7rocprim17ROCPRIM_400000_NS6detail17trampoline_kernelINS0_14default_configENS1_20scan_config_selectorIfEEZZNS1_9scan_implILNS1_25lookback_scan_determinismE0ELb1ELb1ES3_N6thrust23THRUST_200600_302600_NS6detail15normal_iteratorINS9_10device_ptrIfEEEENS9_16discard_iteratorINS9_11use_defaultEEEf11max_functorIfEfEEDaPvRmT3_T4_T5_mT6_P12ihipStream_tbENKUlT_T0_E_clISt17integral_constantIbLb0EESW_IbLb1EEEEDaSS_ST_EUlSS_E0_NS1_11comp_targetILNS1_3genE4ELNS1_11target_archE910ELNS1_3gpuE8ELNS1_3repE0EEENS1_30default_config_static_selectorELNS0_4arch9wavefront6targetE1EEEvT1_,"axG",@progbits,_ZN7rocprim17ROCPRIM_400000_NS6detail17trampoline_kernelINS0_14default_configENS1_20scan_config_selectorIfEEZZNS1_9scan_implILNS1_25lookback_scan_determinismE0ELb1ELb1ES3_N6thrust23THRUST_200600_302600_NS6detail15normal_iteratorINS9_10device_ptrIfEEEENS9_16discard_iteratorINS9_11use_defaultEEEf11max_functorIfEfEEDaPvRmT3_T4_T5_mT6_P12ihipStream_tbENKUlT_T0_E_clISt17integral_constantIbLb0EESW_IbLb1EEEEDaSS_ST_EUlSS_E0_NS1_11comp_targetILNS1_3genE4ELNS1_11target_archE910ELNS1_3gpuE8ELNS1_3repE0EEENS1_30default_config_static_selectorELNS0_4arch9wavefront6targetE1EEEvT1_,comdat
	.protected	_ZN7rocprim17ROCPRIM_400000_NS6detail17trampoline_kernelINS0_14default_configENS1_20scan_config_selectorIfEEZZNS1_9scan_implILNS1_25lookback_scan_determinismE0ELb1ELb1ES3_N6thrust23THRUST_200600_302600_NS6detail15normal_iteratorINS9_10device_ptrIfEEEENS9_16discard_iteratorINS9_11use_defaultEEEf11max_functorIfEfEEDaPvRmT3_T4_T5_mT6_P12ihipStream_tbENKUlT_T0_E_clISt17integral_constantIbLb0EESW_IbLb1EEEEDaSS_ST_EUlSS_E0_NS1_11comp_targetILNS1_3genE4ELNS1_11target_archE910ELNS1_3gpuE8ELNS1_3repE0EEENS1_30default_config_static_selectorELNS0_4arch9wavefront6targetE1EEEvT1_ ; -- Begin function _ZN7rocprim17ROCPRIM_400000_NS6detail17trampoline_kernelINS0_14default_configENS1_20scan_config_selectorIfEEZZNS1_9scan_implILNS1_25lookback_scan_determinismE0ELb1ELb1ES3_N6thrust23THRUST_200600_302600_NS6detail15normal_iteratorINS9_10device_ptrIfEEEENS9_16discard_iteratorINS9_11use_defaultEEEf11max_functorIfEfEEDaPvRmT3_T4_T5_mT6_P12ihipStream_tbENKUlT_T0_E_clISt17integral_constantIbLb0EESW_IbLb1EEEEDaSS_ST_EUlSS_E0_NS1_11comp_targetILNS1_3genE4ELNS1_11target_archE910ELNS1_3gpuE8ELNS1_3repE0EEENS1_30default_config_static_selectorELNS0_4arch9wavefront6targetE1EEEvT1_
	.globl	_ZN7rocprim17ROCPRIM_400000_NS6detail17trampoline_kernelINS0_14default_configENS1_20scan_config_selectorIfEEZZNS1_9scan_implILNS1_25lookback_scan_determinismE0ELb1ELb1ES3_N6thrust23THRUST_200600_302600_NS6detail15normal_iteratorINS9_10device_ptrIfEEEENS9_16discard_iteratorINS9_11use_defaultEEEf11max_functorIfEfEEDaPvRmT3_T4_T5_mT6_P12ihipStream_tbENKUlT_T0_E_clISt17integral_constantIbLb0EESW_IbLb1EEEEDaSS_ST_EUlSS_E0_NS1_11comp_targetILNS1_3genE4ELNS1_11target_archE910ELNS1_3gpuE8ELNS1_3repE0EEENS1_30default_config_static_selectorELNS0_4arch9wavefront6targetE1EEEvT1_
	.p2align	8
	.type	_ZN7rocprim17ROCPRIM_400000_NS6detail17trampoline_kernelINS0_14default_configENS1_20scan_config_selectorIfEEZZNS1_9scan_implILNS1_25lookback_scan_determinismE0ELb1ELb1ES3_N6thrust23THRUST_200600_302600_NS6detail15normal_iteratorINS9_10device_ptrIfEEEENS9_16discard_iteratorINS9_11use_defaultEEEf11max_functorIfEfEEDaPvRmT3_T4_T5_mT6_P12ihipStream_tbENKUlT_T0_E_clISt17integral_constantIbLb0EESW_IbLb1EEEEDaSS_ST_EUlSS_E0_NS1_11comp_targetILNS1_3genE4ELNS1_11target_archE910ELNS1_3gpuE8ELNS1_3repE0EEENS1_30default_config_static_selectorELNS0_4arch9wavefront6targetE1EEEvT1_,@function
_ZN7rocprim17ROCPRIM_400000_NS6detail17trampoline_kernelINS0_14default_configENS1_20scan_config_selectorIfEEZZNS1_9scan_implILNS1_25lookback_scan_determinismE0ELb1ELb1ES3_N6thrust23THRUST_200600_302600_NS6detail15normal_iteratorINS9_10device_ptrIfEEEENS9_16discard_iteratorINS9_11use_defaultEEEf11max_functorIfEfEEDaPvRmT3_T4_T5_mT6_P12ihipStream_tbENKUlT_T0_E_clISt17integral_constantIbLb0EESW_IbLb1EEEEDaSS_ST_EUlSS_E0_NS1_11comp_targetILNS1_3genE4ELNS1_11target_archE910ELNS1_3gpuE8ELNS1_3repE0EEENS1_30default_config_static_selectorELNS0_4arch9wavefront6targetE1EEEvT1_: ; @_ZN7rocprim17ROCPRIM_400000_NS6detail17trampoline_kernelINS0_14default_configENS1_20scan_config_selectorIfEEZZNS1_9scan_implILNS1_25lookback_scan_determinismE0ELb1ELb1ES3_N6thrust23THRUST_200600_302600_NS6detail15normal_iteratorINS9_10device_ptrIfEEEENS9_16discard_iteratorINS9_11use_defaultEEEf11max_functorIfEfEEDaPvRmT3_T4_T5_mT6_P12ihipStream_tbENKUlT_T0_E_clISt17integral_constantIbLb0EESW_IbLb1EEEEDaSS_ST_EUlSS_E0_NS1_11comp_targetILNS1_3genE4ELNS1_11target_archE910ELNS1_3gpuE8ELNS1_3repE0EEENS1_30default_config_static_selectorELNS0_4arch9wavefront6targetE1EEEvT1_
; %bb.0:
	s_load_dwordx4 s[0:3], s[4:5], 0x0
	v_lshlrev_b32_e32 v1, 2, v0
	s_waitcnt lgkmcnt(0)
	s_load_dword s3, s[0:1], 0x0
	v_cmp_gt_u32_e32 vcc, s2, v0
	s_waitcnt lgkmcnt(0)
	v_mov_b32_e32 v2, s3
	s_and_saveexec_b64 s[6:7], vcc
	s_cbranch_execz .LBB3271_2
; %bb.1:
	global_load_dword v2, v1, s[0:1]
.LBB3271_2:
	s_or_b64 exec, exec, s[6:7]
	v_or_b32_e32 v3, 0x80, v0
	v_cmp_gt_u32_e32 vcc, s2, v3
	v_mov_b32_e32 v3, s3
	s_and_saveexec_b64 s[6:7], vcc
	s_cbranch_execz .LBB3271_4
; %bb.3:
	global_load_dword v3, v1, s[0:1] offset:512
.LBB3271_4:
	s_or_b64 exec, exec, s[6:7]
	v_or_b32_e32 v4, 0x100, v0
	v_cmp_gt_u32_e32 vcc, s2, v4
	v_mov_b32_e32 v4, s3
	s_and_saveexec_b64 s[6:7], vcc
	s_cbranch_execz .LBB3271_6
; %bb.5:
	global_load_dword v4, v1, s[0:1] offset:1024
.LBB3271_6:
	;; [unrolled: 9-line block ×7, first 2 shown]
	s_or_b64 exec, exec, s[6:7]
	v_or_b32_e32 v11, 0x400, v0
	v_cmp_gt_u32_e32 vcc, s2, v11
	v_mov_b32_e32 v10, s3
	s_and_saveexec_b64 s[6:7], vcc
	s_cbranch_execz .LBB3271_18
; %bb.17:
	v_lshlrev_b32_e32 v10, 2, v11
	global_load_dword v10, v10, s[0:1]
.LBB3271_18:
	s_or_b64 exec, exec, s[6:7]
	v_or_b32_e32 v12, 0x480, v0
	v_cmp_gt_u32_e32 vcc, s2, v12
	v_mov_b32_e32 v11, s3
	s_and_saveexec_b64 s[6:7], vcc
	s_cbranch_execz .LBB3271_20
; %bb.19:
	v_lshlrev_b32_e32 v11, 2, v12
	global_load_dword v11, v11, s[0:1]
.LBB3271_20:
	;; [unrolled: 10-line block ×5, first 2 shown]
	s_or_b64 exec, exec, s[6:7]
	s_load_dword s8, s[4:5], 0x10
	v_or_b32_e32 v16, 0x680, v0
	v_cmp_gt_u32_e32 vcc, s2, v16
	v_mov_b32_e32 v15, s3
	s_and_saveexec_b64 s[2:3], vcc
	s_cbranch_execz .LBB3271_28
; %bb.27:
	v_lshlrev_b32_e32 v15, 2, v16
	global_load_dword v15, v15, s[0:1]
.LBB3271_28:
	s_or_b64 exec, exec, s[2:3]
	s_waitcnt vmcnt(0)
	ds_write2st64_b32 v1, v2, v3 offset1:2
	ds_write2st64_b32 v1, v4, v5 offset0:4 offset1:6
	ds_write2st64_b32 v1, v6, v7 offset0:8 offset1:10
	;; [unrolled: 1-line block ×6, first 2 shown]
	v_mad_u32_u24 v14, v0, 52, v1
	s_waitcnt lgkmcnt(0)
	s_barrier
	ds_read2_b64 v[10:13], v14 offset1:1
	ds_read2_b64 v[6:9], v14 offset0:2 offset1:3
	ds_read2_b64 v[2:5], v14 offset0:4 offset1:5
	ds_read_b64 v[14:15], v14 offset:48
	s_waitcnt lgkmcnt(0)
	v_cmp_lt_f32_e32 vcc, v10, v11
	v_cndmask_b32_e32 v16, v10, v11, vcc
	v_cmp_lt_f32_e32 vcc, v16, v12
	v_cndmask_b32_e32 v16, v16, v12, vcc
	;; [unrolled: 2-line block ×13, first 2 shown]
	v_lshrrev_b32_e32 v16, 3, v0
	v_and_b32_e32 v16, 12, v16
	v_add_u32_e32 v16, v1, v16
	v_cmp_gt_u32_e32 vcc, 64, v0
	s_barrier
	ds_write_b32 v16, v15
	s_waitcnt lgkmcnt(0)
	s_barrier
	s_and_saveexec_b64 s[6:7], vcc
	s_cbranch_execz .LBB3271_30
; %bb.29:
	v_lshlrev_b32_e32 v16, 1, v0
	v_lshrrev_b32_e32 v17, 4, v0
	v_add_lshl_u32 v18, v17, v16, 2
	ds_read2_b32 v[16:17], v18 offset1:1
	v_mbcnt_lo_u32_b32 v19, -1, 0
	v_mbcnt_hi_u32_b32 v19, -1, v19
	v_and_b32_e32 v20, 15, v19
	v_cmp_lt_u32_e64 s[4:5], 31, v19
	s_waitcnt lgkmcnt(0)
	v_cmp_lt_f32_e32 vcc, v16, v17
	v_cndmask_b32_e32 v17, v16, v17, vcc
	v_cmp_gt_u32_e64 s[2:3], 32, v19
	s_nop 0
	v_mov_b32_dpp v21, v17 row_shr:1 row_mask:0xf bank_mask:0xf
	v_cmp_gt_f32_e32 vcc, v17, v21
	v_cndmask_b32_e32 v21, v21, v17, vcc
	v_cmp_eq_u32_e32 vcc, 0, v20
	v_cndmask_b32_e32 v17, v21, v17, vcc
	; wave barrier
	s_nop 1
	v_mov_b32_dpp v21, v17 row_shr:2 row_mask:0xf bank_mask:0xf
	v_cmp_gt_f32_e32 vcc, v17, v21
	v_cndmask_b32_e32 v21, v21, v17, vcc
	v_cmp_lt_u32_e32 vcc, 1, v20
	v_cndmask_b32_e32 v21, v17, v21, vcc
	s_nop 1
	v_mov_b32_dpp v22, v21 row_shr:4 row_mask:0xf bank_mask:0xf
	v_cmp_gt_f32_e64 s[0:1], v21, v22
	v_cndmask_b32_e64 v22, v22, v21, s[0:1]
	v_cmp_lt_u32_e64 s[0:1], 3, v20
	v_cndmask_b32_e64 v21, v21, v22, s[0:1]
	s_nop 1
	v_mov_b32_dpp v22, v21 row_shr:8 row_mask:0xf bank_mask:0xf
	v_cmp_gt_f32_e64 s[0:1], v21, v22
	v_cndmask_b32_e64 v22, v22, v21, s[0:1]
	v_cmp_lt_u32_e64 s[0:1], 7, v20
	v_cndmask_b32_e64 v20, v21, v22, s[0:1]
	v_and_b32_e32 v22, 16, v19
	s_nop 0
	v_mov_b32_dpp v21, v20 row_bcast:15 row_mask:0xf bank_mask:0xf
	v_cmp_gt_f32_e64 s[0:1], v20, v21
	v_cndmask_b32_e64 v21, v21, v20, s[0:1]
	v_cmp_ne_u32_e64 s[0:1], 0, v22
	v_cndmask_b32_e64 v20, v20, v21, s[0:1]
	s_or_b64 s[4:5], s[0:1], s[4:5]
	s_or_b64 vcc, vcc, s[4:5]
	v_mov_b32_dpp v21, v20 row_bcast:31 row_mask:0xf bank_mask:0xf
	v_cmp_gt_f32_e64 s[0:1], v20, v21
	s_or_b64 s[0:1], s[2:3], s[0:1]
	v_cndmask_b32_e64 v20, v21, v20, s[0:1]
	v_cndmask_b32_e32 v17, v17, v20, vcc
	v_add_u32_e32 v20, -1, v19
	v_and_b32_e32 v21, 64, v19
	v_cmp_lt_i32_e32 vcc, v20, v21
	v_cndmask_b32_e32 v19, v20, v19, vcc
	v_lshlrev_b32_e32 v19, 2, v19
	ds_bpermute_b32 v17, v19, v17
	s_waitcnt lgkmcnt(0)
	v_cmp_gt_f32_e32 vcc, v16, v17
	v_cndmask_b32_e32 v16, v17, v16, vcc
	v_cmp_eq_u32_e32 vcc, 0, v0
	v_cndmask_b32_e32 v15, v16, v15, vcc
	ds_write_b32 v18, v15
	; wave barrier
	ds_read_b32 v16, v18 offset:4
	s_waitcnt lgkmcnt(0)
	v_cmp_lt_f32_e32 vcc, v15, v16
	v_cndmask_b32_e32 v15, v15, v16, vcc
	ds_write_b32 v18, v15 offset:4
.LBB3271_30:
	s_or_b64 exec, exec, s[6:7]
	v_mul_u32_u24_e32 v15, 52, v0
	v_cmp_ne_u32_e32 vcc, 0, v0
	v_mov_b32_e32 v16, s8
	s_waitcnt lgkmcnt(0)
	s_barrier
	s_and_saveexec_b64 s[0:1], vcc
	s_cbranch_execz .LBB3271_32
; %bb.31:
	v_add_u32_e32 v0, -1, v0
	v_lshrrev_b32_e32 v16, 5, v0
	v_add_lshl_u32 v0, v16, v0, 2
	ds_read_b32 v0, v0
	v_mov_b32_e32 v16, s8
	s_waitcnt lgkmcnt(0)
	v_cmp_lt_f32_e32 vcc, s8, v0
	v_cndmask_b32_e32 v16, v16, v0, vcc
.LBB3271_32:
	s_or_b64 exec, exec, s[0:1]
	v_cmp_lt_f32_e32 vcc, v16, v10
	v_cndmask_b32_e32 v17, v16, v10, vcc
	v_cmp_lt_f32_e32 vcc, v17, v11
	v_cndmask_b32_e32 v10, v17, v11, vcc
	v_cmp_lt_f32_e32 vcc, v10, v12
	v_cndmask_b32_e32 v11, v10, v12, vcc
	v_cmp_lt_f32_e32 vcc, v11, v13
	v_cndmask_b32_e32 v12, v11, v13, vcc
	v_cmp_lt_f32_e32 vcc, v12, v6
	v_cndmask_b32_e32 v13, v12, v6, vcc
	v_cmp_lt_f32_e32 vcc, v13, v7
	v_cndmask_b32_e32 v6, v13, v7, vcc
	v_cmp_lt_f32_e32 vcc, v6, v8
	v_cndmask_b32_e32 v7, v6, v8, vcc
	v_cmp_lt_f32_e32 vcc, v7, v9
	v_cndmask_b32_e32 v8, v7, v9, vcc
	v_cmp_lt_f32_e32 vcc, v8, v2
	v_cndmask_b32_e32 v9, v8, v2, vcc
	v_cmp_lt_f32_e32 vcc, v9, v3
	v_cndmask_b32_e32 v2, v9, v3, vcc
	v_cmp_lt_f32_e32 vcc, v2, v4
	v_cndmask_b32_e32 v3, v2, v4, vcc
	v_cmp_lt_f32_e32 vcc, v3, v5
	v_cndmask_b32_e32 v4, v3, v5, vcc
	v_cmp_lt_f32_e32 vcc, v4, v14
	v_add_u32_e32 v0, v1, v15
	v_cndmask_b32_e32 v5, v4, v14, vcc
	s_barrier
	ds_write2_b64 v0, v[16:17], v[10:11] offset1:1
	ds_write2_b64 v0, v[12:13], v[6:7] offset0:2 offset1:3
	ds_write2_b64 v0, v[8:9], v[2:3] offset0:4 offset1:5
	ds_write_b64 v0, v[4:5] offset:48
	s_waitcnt lgkmcnt(0)
	s_barrier
	s_endpgm
	.section	.rodata,"a",@progbits
	.p2align	6, 0x0
	.amdhsa_kernel _ZN7rocprim17ROCPRIM_400000_NS6detail17trampoline_kernelINS0_14default_configENS1_20scan_config_selectorIfEEZZNS1_9scan_implILNS1_25lookback_scan_determinismE0ELb1ELb1ES3_N6thrust23THRUST_200600_302600_NS6detail15normal_iteratorINS9_10device_ptrIfEEEENS9_16discard_iteratorINS9_11use_defaultEEEf11max_functorIfEfEEDaPvRmT3_T4_T5_mT6_P12ihipStream_tbENKUlT_T0_E_clISt17integral_constantIbLb0EESW_IbLb1EEEEDaSS_ST_EUlSS_E0_NS1_11comp_targetILNS1_3genE4ELNS1_11target_archE910ELNS1_3gpuE8ELNS1_3repE0EEENS1_30default_config_static_selectorELNS0_4arch9wavefront6targetE1EEEvT1_
		.amdhsa_group_segment_fixed_size 7168
		.amdhsa_private_segment_fixed_size 0
		.amdhsa_kernarg_size 40
		.amdhsa_user_sgpr_count 6
		.amdhsa_user_sgpr_private_segment_buffer 1
		.amdhsa_user_sgpr_dispatch_ptr 0
		.amdhsa_user_sgpr_queue_ptr 0
		.amdhsa_user_sgpr_kernarg_segment_ptr 1
		.amdhsa_user_sgpr_dispatch_id 0
		.amdhsa_user_sgpr_flat_scratch_init 0
		.amdhsa_user_sgpr_kernarg_preload_length 0
		.amdhsa_user_sgpr_kernarg_preload_offset 0
		.amdhsa_user_sgpr_private_segment_size 0
		.amdhsa_uses_dynamic_stack 0
		.amdhsa_system_sgpr_private_segment_wavefront_offset 0
		.amdhsa_system_sgpr_workgroup_id_x 1
		.amdhsa_system_sgpr_workgroup_id_y 0
		.amdhsa_system_sgpr_workgroup_id_z 0
		.amdhsa_system_sgpr_workgroup_info 0
		.amdhsa_system_vgpr_workitem_id 0
		.amdhsa_next_free_vgpr 23
		.amdhsa_next_free_sgpr 9
		.amdhsa_accum_offset 24
		.amdhsa_reserve_vcc 1
		.amdhsa_reserve_flat_scratch 0
		.amdhsa_float_round_mode_32 0
		.amdhsa_float_round_mode_16_64 0
		.amdhsa_float_denorm_mode_32 3
		.amdhsa_float_denorm_mode_16_64 3
		.amdhsa_dx10_clamp 1
		.amdhsa_ieee_mode 1
		.amdhsa_fp16_overflow 0
		.amdhsa_tg_split 0
		.amdhsa_exception_fp_ieee_invalid_op 0
		.amdhsa_exception_fp_denorm_src 0
		.amdhsa_exception_fp_ieee_div_zero 0
		.amdhsa_exception_fp_ieee_overflow 0
		.amdhsa_exception_fp_ieee_underflow 0
		.amdhsa_exception_fp_ieee_inexact 0
		.amdhsa_exception_int_div_zero 0
	.end_amdhsa_kernel
	.section	.text._ZN7rocprim17ROCPRIM_400000_NS6detail17trampoline_kernelINS0_14default_configENS1_20scan_config_selectorIfEEZZNS1_9scan_implILNS1_25lookback_scan_determinismE0ELb1ELb1ES3_N6thrust23THRUST_200600_302600_NS6detail15normal_iteratorINS9_10device_ptrIfEEEENS9_16discard_iteratorINS9_11use_defaultEEEf11max_functorIfEfEEDaPvRmT3_T4_T5_mT6_P12ihipStream_tbENKUlT_T0_E_clISt17integral_constantIbLb0EESW_IbLb1EEEEDaSS_ST_EUlSS_E0_NS1_11comp_targetILNS1_3genE4ELNS1_11target_archE910ELNS1_3gpuE8ELNS1_3repE0EEENS1_30default_config_static_selectorELNS0_4arch9wavefront6targetE1EEEvT1_,"axG",@progbits,_ZN7rocprim17ROCPRIM_400000_NS6detail17trampoline_kernelINS0_14default_configENS1_20scan_config_selectorIfEEZZNS1_9scan_implILNS1_25lookback_scan_determinismE0ELb1ELb1ES3_N6thrust23THRUST_200600_302600_NS6detail15normal_iteratorINS9_10device_ptrIfEEEENS9_16discard_iteratorINS9_11use_defaultEEEf11max_functorIfEfEEDaPvRmT3_T4_T5_mT6_P12ihipStream_tbENKUlT_T0_E_clISt17integral_constantIbLb0EESW_IbLb1EEEEDaSS_ST_EUlSS_E0_NS1_11comp_targetILNS1_3genE4ELNS1_11target_archE910ELNS1_3gpuE8ELNS1_3repE0EEENS1_30default_config_static_selectorELNS0_4arch9wavefront6targetE1EEEvT1_,comdat
.Lfunc_end3271:
	.size	_ZN7rocprim17ROCPRIM_400000_NS6detail17trampoline_kernelINS0_14default_configENS1_20scan_config_selectorIfEEZZNS1_9scan_implILNS1_25lookback_scan_determinismE0ELb1ELb1ES3_N6thrust23THRUST_200600_302600_NS6detail15normal_iteratorINS9_10device_ptrIfEEEENS9_16discard_iteratorINS9_11use_defaultEEEf11max_functorIfEfEEDaPvRmT3_T4_T5_mT6_P12ihipStream_tbENKUlT_T0_E_clISt17integral_constantIbLb0EESW_IbLb1EEEEDaSS_ST_EUlSS_E0_NS1_11comp_targetILNS1_3genE4ELNS1_11target_archE910ELNS1_3gpuE8ELNS1_3repE0EEENS1_30default_config_static_selectorELNS0_4arch9wavefront6targetE1EEEvT1_, .Lfunc_end3271-_ZN7rocprim17ROCPRIM_400000_NS6detail17trampoline_kernelINS0_14default_configENS1_20scan_config_selectorIfEEZZNS1_9scan_implILNS1_25lookback_scan_determinismE0ELb1ELb1ES3_N6thrust23THRUST_200600_302600_NS6detail15normal_iteratorINS9_10device_ptrIfEEEENS9_16discard_iteratorINS9_11use_defaultEEEf11max_functorIfEfEEDaPvRmT3_T4_T5_mT6_P12ihipStream_tbENKUlT_T0_E_clISt17integral_constantIbLb0EESW_IbLb1EEEEDaSS_ST_EUlSS_E0_NS1_11comp_targetILNS1_3genE4ELNS1_11target_archE910ELNS1_3gpuE8ELNS1_3repE0EEENS1_30default_config_static_selectorELNS0_4arch9wavefront6targetE1EEEvT1_
                                        ; -- End function
	.section	.AMDGPU.csdata,"",@progbits
; Kernel info:
; codeLenInByte = 1436
; NumSgprs: 13
; NumVgprs: 23
; NumAgprs: 0
; TotalNumVgprs: 23
; ScratchSize: 0
; MemoryBound: 0
; FloatMode: 240
; IeeeMode: 1
; LDSByteSize: 7168 bytes/workgroup (compile time only)
; SGPRBlocks: 1
; VGPRBlocks: 2
; NumSGPRsForWavesPerEU: 13
; NumVGPRsForWavesPerEU: 23
; AccumOffset: 24
; Occupancy: 5
; WaveLimiterHint : 0
; COMPUTE_PGM_RSRC2:SCRATCH_EN: 0
; COMPUTE_PGM_RSRC2:USER_SGPR: 6
; COMPUTE_PGM_RSRC2:TRAP_HANDLER: 0
; COMPUTE_PGM_RSRC2:TGID_X_EN: 1
; COMPUTE_PGM_RSRC2:TGID_Y_EN: 0
; COMPUTE_PGM_RSRC2:TGID_Z_EN: 0
; COMPUTE_PGM_RSRC2:TIDIG_COMP_CNT: 0
; COMPUTE_PGM_RSRC3_GFX90A:ACCUM_OFFSET: 5
; COMPUTE_PGM_RSRC3_GFX90A:TG_SPLIT: 0
	.section	.text._ZN7rocprim17ROCPRIM_400000_NS6detail17trampoline_kernelINS0_14default_configENS1_20scan_config_selectorIfEEZZNS1_9scan_implILNS1_25lookback_scan_determinismE0ELb1ELb1ES3_N6thrust23THRUST_200600_302600_NS6detail15normal_iteratorINS9_10device_ptrIfEEEENS9_16discard_iteratorINS9_11use_defaultEEEf11max_functorIfEfEEDaPvRmT3_T4_T5_mT6_P12ihipStream_tbENKUlT_T0_E_clISt17integral_constantIbLb0EESW_IbLb1EEEEDaSS_ST_EUlSS_E0_NS1_11comp_targetILNS1_3genE3ELNS1_11target_archE908ELNS1_3gpuE7ELNS1_3repE0EEENS1_30default_config_static_selectorELNS0_4arch9wavefront6targetE1EEEvT1_,"axG",@progbits,_ZN7rocprim17ROCPRIM_400000_NS6detail17trampoline_kernelINS0_14default_configENS1_20scan_config_selectorIfEEZZNS1_9scan_implILNS1_25lookback_scan_determinismE0ELb1ELb1ES3_N6thrust23THRUST_200600_302600_NS6detail15normal_iteratorINS9_10device_ptrIfEEEENS9_16discard_iteratorINS9_11use_defaultEEEf11max_functorIfEfEEDaPvRmT3_T4_T5_mT6_P12ihipStream_tbENKUlT_T0_E_clISt17integral_constantIbLb0EESW_IbLb1EEEEDaSS_ST_EUlSS_E0_NS1_11comp_targetILNS1_3genE3ELNS1_11target_archE908ELNS1_3gpuE7ELNS1_3repE0EEENS1_30default_config_static_selectorELNS0_4arch9wavefront6targetE1EEEvT1_,comdat
	.protected	_ZN7rocprim17ROCPRIM_400000_NS6detail17trampoline_kernelINS0_14default_configENS1_20scan_config_selectorIfEEZZNS1_9scan_implILNS1_25lookback_scan_determinismE0ELb1ELb1ES3_N6thrust23THRUST_200600_302600_NS6detail15normal_iteratorINS9_10device_ptrIfEEEENS9_16discard_iteratorINS9_11use_defaultEEEf11max_functorIfEfEEDaPvRmT3_T4_T5_mT6_P12ihipStream_tbENKUlT_T0_E_clISt17integral_constantIbLb0EESW_IbLb1EEEEDaSS_ST_EUlSS_E0_NS1_11comp_targetILNS1_3genE3ELNS1_11target_archE908ELNS1_3gpuE7ELNS1_3repE0EEENS1_30default_config_static_selectorELNS0_4arch9wavefront6targetE1EEEvT1_ ; -- Begin function _ZN7rocprim17ROCPRIM_400000_NS6detail17trampoline_kernelINS0_14default_configENS1_20scan_config_selectorIfEEZZNS1_9scan_implILNS1_25lookback_scan_determinismE0ELb1ELb1ES3_N6thrust23THRUST_200600_302600_NS6detail15normal_iteratorINS9_10device_ptrIfEEEENS9_16discard_iteratorINS9_11use_defaultEEEf11max_functorIfEfEEDaPvRmT3_T4_T5_mT6_P12ihipStream_tbENKUlT_T0_E_clISt17integral_constantIbLb0EESW_IbLb1EEEEDaSS_ST_EUlSS_E0_NS1_11comp_targetILNS1_3genE3ELNS1_11target_archE908ELNS1_3gpuE7ELNS1_3repE0EEENS1_30default_config_static_selectorELNS0_4arch9wavefront6targetE1EEEvT1_
	.globl	_ZN7rocprim17ROCPRIM_400000_NS6detail17trampoline_kernelINS0_14default_configENS1_20scan_config_selectorIfEEZZNS1_9scan_implILNS1_25lookback_scan_determinismE0ELb1ELb1ES3_N6thrust23THRUST_200600_302600_NS6detail15normal_iteratorINS9_10device_ptrIfEEEENS9_16discard_iteratorINS9_11use_defaultEEEf11max_functorIfEfEEDaPvRmT3_T4_T5_mT6_P12ihipStream_tbENKUlT_T0_E_clISt17integral_constantIbLb0EESW_IbLb1EEEEDaSS_ST_EUlSS_E0_NS1_11comp_targetILNS1_3genE3ELNS1_11target_archE908ELNS1_3gpuE7ELNS1_3repE0EEENS1_30default_config_static_selectorELNS0_4arch9wavefront6targetE1EEEvT1_
	.p2align	8
	.type	_ZN7rocprim17ROCPRIM_400000_NS6detail17trampoline_kernelINS0_14default_configENS1_20scan_config_selectorIfEEZZNS1_9scan_implILNS1_25lookback_scan_determinismE0ELb1ELb1ES3_N6thrust23THRUST_200600_302600_NS6detail15normal_iteratorINS9_10device_ptrIfEEEENS9_16discard_iteratorINS9_11use_defaultEEEf11max_functorIfEfEEDaPvRmT3_T4_T5_mT6_P12ihipStream_tbENKUlT_T0_E_clISt17integral_constantIbLb0EESW_IbLb1EEEEDaSS_ST_EUlSS_E0_NS1_11comp_targetILNS1_3genE3ELNS1_11target_archE908ELNS1_3gpuE7ELNS1_3repE0EEENS1_30default_config_static_selectorELNS0_4arch9wavefront6targetE1EEEvT1_,@function
_ZN7rocprim17ROCPRIM_400000_NS6detail17trampoline_kernelINS0_14default_configENS1_20scan_config_selectorIfEEZZNS1_9scan_implILNS1_25lookback_scan_determinismE0ELb1ELb1ES3_N6thrust23THRUST_200600_302600_NS6detail15normal_iteratorINS9_10device_ptrIfEEEENS9_16discard_iteratorINS9_11use_defaultEEEf11max_functorIfEfEEDaPvRmT3_T4_T5_mT6_P12ihipStream_tbENKUlT_T0_E_clISt17integral_constantIbLb0EESW_IbLb1EEEEDaSS_ST_EUlSS_E0_NS1_11comp_targetILNS1_3genE3ELNS1_11target_archE908ELNS1_3gpuE7ELNS1_3repE0EEENS1_30default_config_static_selectorELNS0_4arch9wavefront6targetE1EEEvT1_: ; @_ZN7rocprim17ROCPRIM_400000_NS6detail17trampoline_kernelINS0_14default_configENS1_20scan_config_selectorIfEEZZNS1_9scan_implILNS1_25lookback_scan_determinismE0ELb1ELb1ES3_N6thrust23THRUST_200600_302600_NS6detail15normal_iteratorINS9_10device_ptrIfEEEENS9_16discard_iteratorINS9_11use_defaultEEEf11max_functorIfEfEEDaPvRmT3_T4_T5_mT6_P12ihipStream_tbENKUlT_T0_E_clISt17integral_constantIbLb0EESW_IbLb1EEEEDaSS_ST_EUlSS_E0_NS1_11comp_targetILNS1_3genE3ELNS1_11target_archE908ELNS1_3gpuE7ELNS1_3repE0EEENS1_30default_config_static_selectorELNS0_4arch9wavefront6targetE1EEEvT1_
; %bb.0:
	.section	.rodata,"a",@progbits
	.p2align	6, 0x0
	.amdhsa_kernel _ZN7rocprim17ROCPRIM_400000_NS6detail17trampoline_kernelINS0_14default_configENS1_20scan_config_selectorIfEEZZNS1_9scan_implILNS1_25lookback_scan_determinismE0ELb1ELb1ES3_N6thrust23THRUST_200600_302600_NS6detail15normal_iteratorINS9_10device_ptrIfEEEENS9_16discard_iteratorINS9_11use_defaultEEEf11max_functorIfEfEEDaPvRmT3_T4_T5_mT6_P12ihipStream_tbENKUlT_T0_E_clISt17integral_constantIbLb0EESW_IbLb1EEEEDaSS_ST_EUlSS_E0_NS1_11comp_targetILNS1_3genE3ELNS1_11target_archE908ELNS1_3gpuE7ELNS1_3repE0EEENS1_30default_config_static_selectorELNS0_4arch9wavefront6targetE1EEEvT1_
		.amdhsa_group_segment_fixed_size 0
		.amdhsa_private_segment_fixed_size 0
		.amdhsa_kernarg_size 40
		.amdhsa_user_sgpr_count 6
		.amdhsa_user_sgpr_private_segment_buffer 1
		.amdhsa_user_sgpr_dispatch_ptr 0
		.amdhsa_user_sgpr_queue_ptr 0
		.amdhsa_user_sgpr_kernarg_segment_ptr 1
		.amdhsa_user_sgpr_dispatch_id 0
		.amdhsa_user_sgpr_flat_scratch_init 0
		.amdhsa_user_sgpr_kernarg_preload_length 0
		.amdhsa_user_sgpr_kernarg_preload_offset 0
		.amdhsa_user_sgpr_private_segment_size 0
		.amdhsa_uses_dynamic_stack 0
		.amdhsa_system_sgpr_private_segment_wavefront_offset 0
		.amdhsa_system_sgpr_workgroup_id_x 1
		.amdhsa_system_sgpr_workgroup_id_y 0
		.amdhsa_system_sgpr_workgroup_id_z 0
		.amdhsa_system_sgpr_workgroup_info 0
		.amdhsa_system_vgpr_workitem_id 0
		.amdhsa_next_free_vgpr 1
		.amdhsa_next_free_sgpr 0
		.amdhsa_accum_offset 4
		.amdhsa_reserve_vcc 0
		.amdhsa_reserve_flat_scratch 0
		.amdhsa_float_round_mode_32 0
		.amdhsa_float_round_mode_16_64 0
		.amdhsa_float_denorm_mode_32 3
		.amdhsa_float_denorm_mode_16_64 3
		.amdhsa_dx10_clamp 1
		.amdhsa_ieee_mode 1
		.amdhsa_fp16_overflow 0
		.amdhsa_tg_split 0
		.amdhsa_exception_fp_ieee_invalid_op 0
		.amdhsa_exception_fp_denorm_src 0
		.amdhsa_exception_fp_ieee_div_zero 0
		.amdhsa_exception_fp_ieee_overflow 0
		.amdhsa_exception_fp_ieee_underflow 0
		.amdhsa_exception_fp_ieee_inexact 0
		.amdhsa_exception_int_div_zero 0
	.end_amdhsa_kernel
	.section	.text._ZN7rocprim17ROCPRIM_400000_NS6detail17trampoline_kernelINS0_14default_configENS1_20scan_config_selectorIfEEZZNS1_9scan_implILNS1_25lookback_scan_determinismE0ELb1ELb1ES3_N6thrust23THRUST_200600_302600_NS6detail15normal_iteratorINS9_10device_ptrIfEEEENS9_16discard_iteratorINS9_11use_defaultEEEf11max_functorIfEfEEDaPvRmT3_T4_T5_mT6_P12ihipStream_tbENKUlT_T0_E_clISt17integral_constantIbLb0EESW_IbLb1EEEEDaSS_ST_EUlSS_E0_NS1_11comp_targetILNS1_3genE3ELNS1_11target_archE908ELNS1_3gpuE7ELNS1_3repE0EEENS1_30default_config_static_selectorELNS0_4arch9wavefront6targetE1EEEvT1_,"axG",@progbits,_ZN7rocprim17ROCPRIM_400000_NS6detail17trampoline_kernelINS0_14default_configENS1_20scan_config_selectorIfEEZZNS1_9scan_implILNS1_25lookback_scan_determinismE0ELb1ELb1ES3_N6thrust23THRUST_200600_302600_NS6detail15normal_iteratorINS9_10device_ptrIfEEEENS9_16discard_iteratorINS9_11use_defaultEEEf11max_functorIfEfEEDaPvRmT3_T4_T5_mT6_P12ihipStream_tbENKUlT_T0_E_clISt17integral_constantIbLb0EESW_IbLb1EEEEDaSS_ST_EUlSS_E0_NS1_11comp_targetILNS1_3genE3ELNS1_11target_archE908ELNS1_3gpuE7ELNS1_3repE0EEENS1_30default_config_static_selectorELNS0_4arch9wavefront6targetE1EEEvT1_,comdat
.Lfunc_end3272:
	.size	_ZN7rocprim17ROCPRIM_400000_NS6detail17trampoline_kernelINS0_14default_configENS1_20scan_config_selectorIfEEZZNS1_9scan_implILNS1_25lookback_scan_determinismE0ELb1ELb1ES3_N6thrust23THRUST_200600_302600_NS6detail15normal_iteratorINS9_10device_ptrIfEEEENS9_16discard_iteratorINS9_11use_defaultEEEf11max_functorIfEfEEDaPvRmT3_T4_T5_mT6_P12ihipStream_tbENKUlT_T0_E_clISt17integral_constantIbLb0EESW_IbLb1EEEEDaSS_ST_EUlSS_E0_NS1_11comp_targetILNS1_3genE3ELNS1_11target_archE908ELNS1_3gpuE7ELNS1_3repE0EEENS1_30default_config_static_selectorELNS0_4arch9wavefront6targetE1EEEvT1_, .Lfunc_end3272-_ZN7rocprim17ROCPRIM_400000_NS6detail17trampoline_kernelINS0_14default_configENS1_20scan_config_selectorIfEEZZNS1_9scan_implILNS1_25lookback_scan_determinismE0ELb1ELb1ES3_N6thrust23THRUST_200600_302600_NS6detail15normal_iteratorINS9_10device_ptrIfEEEENS9_16discard_iteratorINS9_11use_defaultEEEf11max_functorIfEfEEDaPvRmT3_T4_T5_mT6_P12ihipStream_tbENKUlT_T0_E_clISt17integral_constantIbLb0EESW_IbLb1EEEEDaSS_ST_EUlSS_E0_NS1_11comp_targetILNS1_3genE3ELNS1_11target_archE908ELNS1_3gpuE7ELNS1_3repE0EEENS1_30default_config_static_selectorELNS0_4arch9wavefront6targetE1EEEvT1_
                                        ; -- End function
	.section	.AMDGPU.csdata,"",@progbits
; Kernel info:
; codeLenInByte = 0
; NumSgprs: 4
; NumVgprs: 0
; NumAgprs: 0
; TotalNumVgprs: 0
; ScratchSize: 0
; MemoryBound: 0
; FloatMode: 240
; IeeeMode: 1
; LDSByteSize: 0 bytes/workgroup (compile time only)
; SGPRBlocks: 0
; VGPRBlocks: 0
; NumSGPRsForWavesPerEU: 4
; NumVGPRsForWavesPerEU: 1
; AccumOffset: 4
; Occupancy: 8
; WaveLimiterHint : 0
; COMPUTE_PGM_RSRC2:SCRATCH_EN: 0
; COMPUTE_PGM_RSRC2:USER_SGPR: 6
; COMPUTE_PGM_RSRC2:TRAP_HANDLER: 0
; COMPUTE_PGM_RSRC2:TGID_X_EN: 1
; COMPUTE_PGM_RSRC2:TGID_Y_EN: 0
; COMPUTE_PGM_RSRC2:TGID_Z_EN: 0
; COMPUTE_PGM_RSRC2:TIDIG_COMP_CNT: 0
; COMPUTE_PGM_RSRC3_GFX90A:ACCUM_OFFSET: 0
; COMPUTE_PGM_RSRC3_GFX90A:TG_SPLIT: 0
	.section	.text._ZN7rocprim17ROCPRIM_400000_NS6detail17trampoline_kernelINS0_14default_configENS1_20scan_config_selectorIfEEZZNS1_9scan_implILNS1_25lookback_scan_determinismE0ELb1ELb1ES3_N6thrust23THRUST_200600_302600_NS6detail15normal_iteratorINS9_10device_ptrIfEEEENS9_16discard_iteratorINS9_11use_defaultEEEf11max_functorIfEfEEDaPvRmT3_T4_T5_mT6_P12ihipStream_tbENKUlT_T0_E_clISt17integral_constantIbLb0EESW_IbLb1EEEEDaSS_ST_EUlSS_E0_NS1_11comp_targetILNS1_3genE2ELNS1_11target_archE906ELNS1_3gpuE6ELNS1_3repE0EEENS1_30default_config_static_selectorELNS0_4arch9wavefront6targetE1EEEvT1_,"axG",@progbits,_ZN7rocprim17ROCPRIM_400000_NS6detail17trampoline_kernelINS0_14default_configENS1_20scan_config_selectorIfEEZZNS1_9scan_implILNS1_25lookback_scan_determinismE0ELb1ELb1ES3_N6thrust23THRUST_200600_302600_NS6detail15normal_iteratorINS9_10device_ptrIfEEEENS9_16discard_iteratorINS9_11use_defaultEEEf11max_functorIfEfEEDaPvRmT3_T4_T5_mT6_P12ihipStream_tbENKUlT_T0_E_clISt17integral_constantIbLb0EESW_IbLb1EEEEDaSS_ST_EUlSS_E0_NS1_11comp_targetILNS1_3genE2ELNS1_11target_archE906ELNS1_3gpuE6ELNS1_3repE0EEENS1_30default_config_static_selectorELNS0_4arch9wavefront6targetE1EEEvT1_,comdat
	.protected	_ZN7rocprim17ROCPRIM_400000_NS6detail17trampoline_kernelINS0_14default_configENS1_20scan_config_selectorIfEEZZNS1_9scan_implILNS1_25lookback_scan_determinismE0ELb1ELb1ES3_N6thrust23THRUST_200600_302600_NS6detail15normal_iteratorINS9_10device_ptrIfEEEENS9_16discard_iteratorINS9_11use_defaultEEEf11max_functorIfEfEEDaPvRmT3_T4_T5_mT6_P12ihipStream_tbENKUlT_T0_E_clISt17integral_constantIbLb0EESW_IbLb1EEEEDaSS_ST_EUlSS_E0_NS1_11comp_targetILNS1_3genE2ELNS1_11target_archE906ELNS1_3gpuE6ELNS1_3repE0EEENS1_30default_config_static_selectorELNS0_4arch9wavefront6targetE1EEEvT1_ ; -- Begin function _ZN7rocprim17ROCPRIM_400000_NS6detail17trampoline_kernelINS0_14default_configENS1_20scan_config_selectorIfEEZZNS1_9scan_implILNS1_25lookback_scan_determinismE0ELb1ELb1ES3_N6thrust23THRUST_200600_302600_NS6detail15normal_iteratorINS9_10device_ptrIfEEEENS9_16discard_iteratorINS9_11use_defaultEEEf11max_functorIfEfEEDaPvRmT3_T4_T5_mT6_P12ihipStream_tbENKUlT_T0_E_clISt17integral_constantIbLb0EESW_IbLb1EEEEDaSS_ST_EUlSS_E0_NS1_11comp_targetILNS1_3genE2ELNS1_11target_archE906ELNS1_3gpuE6ELNS1_3repE0EEENS1_30default_config_static_selectorELNS0_4arch9wavefront6targetE1EEEvT1_
	.globl	_ZN7rocprim17ROCPRIM_400000_NS6detail17trampoline_kernelINS0_14default_configENS1_20scan_config_selectorIfEEZZNS1_9scan_implILNS1_25lookback_scan_determinismE0ELb1ELb1ES3_N6thrust23THRUST_200600_302600_NS6detail15normal_iteratorINS9_10device_ptrIfEEEENS9_16discard_iteratorINS9_11use_defaultEEEf11max_functorIfEfEEDaPvRmT3_T4_T5_mT6_P12ihipStream_tbENKUlT_T0_E_clISt17integral_constantIbLb0EESW_IbLb1EEEEDaSS_ST_EUlSS_E0_NS1_11comp_targetILNS1_3genE2ELNS1_11target_archE906ELNS1_3gpuE6ELNS1_3repE0EEENS1_30default_config_static_selectorELNS0_4arch9wavefront6targetE1EEEvT1_
	.p2align	8
	.type	_ZN7rocprim17ROCPRIM_400000_NS6detail17trampoline_kernelINS0_14default_configENS1_20scan_config_selectorIfEEZZNS1_9scan_implILNS1_25lookback_scan_determinismE0ELb1ELb1ES3_N6thrust23THRUST_200600_302600_NS6detail15normal_iteratorINS9_10device_ptrIfEEEENS9_16discard_iteratorINS9_11use_defaultEEEf11max_functorIfEfEEDaPvRmT3_T4_T5_mT6_P12ihipStream_tbENKUlT_T0_E_clISt17integral_constantIbLb0EESW_IbLb1EEEEDaSS_ST_EUlSS_E0_NS1_11comp_targetILNS1_3genE2ELNS1_11target_archE906ELNS1_3gpuE6ELNS1_3repE0EEENS1_30default_config_static_selectorELNS0_4arch9wavefront6targetE1EEEvT1_,@function
_ZN7rocprim17ROCPRIM_400000_NS6detail17trampoline_kernelINS0_14default_configENS1_20scan_config_selectorIfEEZZNS1_9scan_implILNS1_25lookback_scan_determinismE0ELb1ELb1ES3_N6thrust23THRUST_200600_302600_NS6detail15normal_iteratorINS9_10device_ptrIfEEEENS9_16discard_iteratorINS9_11use_defaultEEEf11max_functorIfEfEEDaPvRmT3_T4_T5_mT6_P12ihipStream_tbENKUlT_T0_E_clISt17integral_constantIbLb0EESW_IbLb1EEEEDaSS_ST_EUlSS_E0_NS1_11comp_targetILNS1_3genE2ELNS1_11target_archE906ELNS1_3gpuE6ELNS1_3repE0EEENS1_30default_config_static_selectorELNS0_4arch9wavefront6targetE1EEEvT1_: ; @_ZN7rocprim17ROCPRIM_400000_NS6detail17trampoline_kernelINS0_14default_configENS1_20scan_config_selectorIfEEZZNS1_9scan_implILNS1_25lookback_scan_determinismE0ELb1ELb1ES3_N6thrust23THRUST_200600_302600_NS6detail15normal_iteratorINS9_10device_ptrIfEEEENS9_16discard_iteratorINS9_11use_defaultEEEf11max_functorIfEfEEDaPvRmT3_T4_T5_mT6_P12ihipStream_tbENKUlT_T0_E_clISt17integral_constantIbLb0EESW_IbLb1EEEEDaSS_ST_EUlSS_E0_NS1_11comp_targetILNS1_3genE2ELNS1_11target_archE906ELNS1_3gpuE6ELNS1_3repE0EEENS1_30default_config_static_selectorELNS0_4arch9wavefront6targetE1EEEvT1_
; %bb.0:
	.section	.rodata,"a",@progbits
	.p2align	6, 0x0
	.amdhsa_kernel _ZN7rocprim17ROCPRIM_400000_NS6detail17trampoline_kernelINS0_14default_configENS1_20scan_config_selectorIfEEZZNS1_9scan_implILNS1_25lookback_scan_determinismE0ELb1ELb1ES3_N6thrust23THRUST_200600_302600_NS6detail15normal_iteratorINS9_10device_ptrIfEEEENS9_16discard_iteratorINS9_11use_defaultEEEf11max_functorIfEfEEDaPvRmT3_T4_T5_mT6_P12ihipStream_tbENKUlT_T0_E_clISt17integral_constantIbLb0EESW_IbLb1EEEEDaSS_ST_EUlSS_E0_NS1_11comp_targetILNS1_3genE2ELNS1_11target_archE906ELNS1_3gpuE6ELNS1_3repE0EEENS1_30default_config_static_selectorELNS0_4arch9wavefront6targetE1EEEvT1_
		.amdhsa_group_segment_fixed_size 0
		.amdhsa_private_segment_fixed_size 0
		.amdhsa_kernarg_size 40
		.amdhsa_user_sgpr_count 6
		.amdhsa_user_sgpr_private_segment_buffer 1
		.amdhsa_user_sgpr_dispatch_ptr 0
		.amdhsa_user_sgpr_queue_ptr 0
		.amdhsa_user_sgpr_kernarg_segment_ptr 1
		.amdhsa_user_sgpr_dispatch_id 0
		.amdhsa_user_sgpr_flat_scratch_init 0
		.amdhsa_user_sgpr_kernarg_preload_length 0
		.amdhsa_user_sgpr_kernarg_preload_offset 0
		.amdhsa_user_sgpr_private_segment_size 0
		.amdhsa_uses_dynamic_stack 0
		.amdhsa_system_sgpr_private_segment_wavefront_offset 0
		.amdhsa_system_sgpr_workgroup_id_x 1
		.amdhsa_system_sgpr_workgroup_id_y 0
		.amdhsa_system_sgpr_workgroup_id_z 0
		.amdhsa_system_sgpr_workgroup_info 0
		.amdhsa_system_vgpr_workitem_id 0
		.amdhsa_next_free_vgpr 1
		.amdhsa_next_free_sgpr 0
		.amdhsa_accum_offset 4
		.amdhsa_reserve_vcc 0
		.amdhsa_reserve_flat_scratch 0
		.amdhsa_float_round_mode_32 0
		.amdhsa_float_round_mode_16_64 0
		.amdhsa_float_denorm_mode_32 3
		.amdhsa_float_denorm_mode_16_64 3
		.amdhsa_dx10_clamp 1
		.amdhsa_ieee_mode 1
		.amdhsa_fp16_overflow 0
		.amdhsa_tg_split 0
		.amdhsa_exception_fp_ieee_invalid_op 0
		.amdhsa_exception_fp_denorm_src 0
		.amdhsa_exception_fp_ieee_div_zero 0
		.amdhsa_exception_fp_ieee_overflow 0
		.amdhsa_exception_fp_ieee_underflow 0
		.amdhsa_exception_fp_ieee_inexact 0
		.amdhsa_exception_int_div_zero 0
	.end_amdhsa_kernel
	.section	.text._ZN7rocprim17ROCPRIM_400000_NS6detail17trampoline_kernelINS0_14default_configENS1_20scan_config_selectorIfEEZZNS1_9scan_implILNS1_25lookback_scan_determinismE0ELb1ELb1ES3_N6thrust23THRUST_200600_302600_NS6detail15normal_iteratorINS9_10device_ptrIfEEEENS9_16discard_iteratorINS9_11use_defaultEEEf11max_functorIfEfEEDaPvRmT3_T4_T5_mT6_P12ihipStream_tbENKUlT_T0_E_clISt17integral_constantIbLb0EESW_IbLb1EEEEDaSS_ST_EUlSS_E0_NS1_11comp_targetILNS1_3genE2ELNS1_11target_archE906ELNS1_3gpuE6ELNS1_3repE0EEENS1_30default_config_static_selectorELNS0_4arch9wavefront6targetE1EEEvT1_,"axG",@progbits,_ZN7rocprim17ROCPRIM_400000_NS6detail17trampoline_kernelINS0_14default_configENS1_20scan_config_selectorIfEEZZNS1_9scan_implILNS1_25lookback_scan_determinismE0ELb1ELb1ES3_N6thrust23THRUST_200600_302600_NS6detail15normal_iteratorINS9_10device_ptrIfEEEENS9_16discard_iteratorINS9_11use_defaultEEEf11max_functorIfEfEEDaPvRmT3_T4_T5_mT6_P12ihipStream_tbENKUlT_T0_E_clISt17integral_constantIbLb0EESW_IbLb1EEEEDaSS_ST_EUlSS_E0_NS1_11comp_targetILNS1_3genE2ELNS1_11target_archE906ELNS1_3gpuE6ELNS1_3repE0EEENS1_30default_config_static_selectorELNS0_4arch9wavefront6targetE1EEEvT1_,comdat
.Lfunc_end3273:
	.size	_ZN7rocprim17ROCPRIM_400000_NS6detail17trampoline_kernelINS0_14default_configENS1_20scan_config_selectorIfEEZZNS1_9scan_implILNS1_25lookback_scan_determinismE0ELb1ELb1ES3_N6thrust23THRUST_200600_302600_NS6detail15normal_iteratorINS9_10device_ptrIfEEEENS9_16discard_iteratorINS9_11use_defaultEEEf11max_functorIfEfEEDaPvRmT3_T4_T5_mT6_P12ihipStream_tbENKUlT_T0_E_clISt17integral_constantIbLb0EESW_IbLb1EEEEDaSS_ST_EUlSS_E0_NS1_11comp_targetILNS1_3genE2ELNS1_11target_archE906ELNS1_3gpuE6ELNS1_3repE0EEENS1_30default_config_static_selectorELNS0_4arch9wavefront6targetE1EEEvT1_, .Lfunc_end3273-_ZN7rocprim17ROCPRIM_400000_NS6detail17trampoline_kernelINS0_14default_configENS1_20scan_config_selectorIfEEZZNS1_9scan_implILNS1_25lookback_scan_determinismE0ELb1ELb1ES3_N6thrust23THRUST_200600_302600_NS6detail15normal_iteratorINS9_10device_ptrIfEEEENS9_16discard_iteratorINS9_11use_defaultEEEf11max_functorIfEfEEDaPvRmT3_T4_T5_mT6_P12ihipStream_tbENKUlT_T0_E_clISt17integral_constantIbLb0EESW_IbLb1EEEEDaSS_ST_EUlSS_E0_NS1_11comp_targetILNS1_3genE2ELNS1_11target_archE906ELNS1_3gpuE6ELNS1_3repE0EEENS1_30default_config_static_selectorELNS0_4arch9wavefront6targetE1EEEvT1_
                                        ; -- End function
	.section	.AMDGPU.csdata,"",@progbits
; Kernel info:
; codeLenInByte = 0
; NumSgprs: 4
; NumVgprs: 0
; NumAgprs: 0
; TotalNumVgprs: 0
; ScratchSize: 0
; MemoryBound: 0
; FloatMode: 240
; IeeeMode: 1
; LDSByteSize: 0 bytes/workgroup (compile time only)
; SGPRBlocks: 0
; VGPRBlocks: 0
; NumSGPRsForWavesPerEU: 4
; NumVGPRsForWavesPerEU: 1
; AccumOffset: 4
; Occupancy: 8
; WaveLimiterHint : 0
; COMPUTE_PGM_RSRC2:SCRATCH_EN: 0
; COMPUTE_PGM_RSRC2:USER_SGPR: 6
; COMPUTE_PGM_RSRC2:TRAP_HANDLER: 0
; COMPUTE_PGM_RSRC2:TGID_X_EN: 1
; COMPUTE_PGM_RSRC2:TGID_Y_EN: 0
; COMPUTE_PGM_RSRC2:TGID_Z_EN: 0
; COMPUTE_PGM_RSRC2:TIDIG_COMP_CNT: 0
; COMPUTE_PGM_RSRC3_GFX90A:ACCUM_OFFSET: 0
; COMPUTE_PGM_RSRC3_GFX90A:TG_SPLIT: 0
	.section	.text._ZN7rocprim17ROCPRIM_400000_NS6detail17trampoline_kernelINS0_14default_configENS1_20scan_config_selectorIfEEZZNS1_9scan_implILNS1_25lookback_scan_determinismE0ELb1ELb1ES3_N6thrust23THRUST_200600_302600_NS6detail15normal_iteratorINS9_10device_ptrIfEEEENS9_16discard_iteratorINS9_11use_defaultEEEf11max_functorIfEfEEDaPvRmT3_T4_T5_mT6_P12ihipStream_tbENKUlT_T0_E_clISt17integral_constantIbLb0EESW_IbLb1EEEEDaSS_ST_EUlSS_E0_NS1_11comp_targetILNS1_3genE10ELNS1_11target_archE1201ELNS1_3gpuE5ELNS1_3repE0EEENS1_30default_config_static_selectorELNS0_4arch9wavefront6targetE1EEEvT1_,"axG",@progbits,_ZN7rocprim17ROCPRIM_400000_NS6detail17trampoline_kernelINS0_14default_configENS1_20scan_config_selectorIfEEZZNS1_9scan_implILNS1_25lookback_scan_determinismE0ELb1ELb1ES3_N6thrust23THRUST_200600_302600_NS6detail15normal_iteratorINS9_10device_ptrIfEEEENS9_16discard_iteratorINS9_11use_defaultEEEf11max_functorIfEfEEDaPvRmT3_T4_T5_mT6_P12ihipStream_tbENKUlT_T0_E_clISt17integral_constantIbLb0EESW_IbLb1EEEEDaSS_ST_EUlSS_E0_NS1_11comp_targetILNS1_3genE10ELNS1_11target_archE1201ELNS1_3gpuE5ELNS1_3repE0EEENS1_30default_config_static_selectorELNS0_4arch9wavefront6targetE1EEEvT1_,comdat
	.protected	_ZN7rocprim17ROCPRIM_400000_NS6detail17trampoline_kernelINS0_14default_configENS1_20scan_config_selectorIfEEZZNS1_9scan_implILNS1_25lookback_scan_determinismE0ELb1ELb1ES3_N6thrust23THRUST_200600_302600_NS6detail15normal_iteratorINS9_10device_ptrIfEEEENS9_16discard_iteratorINS9_11use_defaultEEEf11max_functorIfEfEEDaPvRmT3_T4_T5_mT6_P12ihipStream_tbENKUlT_T0_E_clISt17integral_constantIbLb0EESW_IbLb1EEEEDaSS_ST_EUlSS_E0_NS1_11comp_targetILNS1_3genE10ELNS1_11target_archE1201ELNS1_3gpuE5ELNS1_3repE0EEENS1_30default_config_static_selectorELNS0_4arch9wavefront6targetE1EEEvT1_ ; -- Begin function _ZN7rocprim17ROCPRIM_400000_NS6detail17trampoline_kernelINS0_14default_configENS1_20scan_config_selectorIfEEZZNS1_9scan_implILNS1_25lookback_scan_determinismE0ELb1ELb1ES3_N6thrust23THRUST_200600_302600_NS6detail15normal_iteratorINS9_10device_ptrIfEEEENS9_16discard_iteratorINS9_11use_defaultEEEf11max_functorIfEfEEDaPvRmT3_T4_T5_mT6_P12ihipStream_tbENKUlT_T0_E_clISt17integral_constantIbLb0EESW_IbLb1EEEEDaSS_ST_EUlSS_E0_NS1_11comp_targetILNS1_3genE10ELNS1_11target_archE1201ELNS1_3gpuE5ELNS1_3repE0EEENS1_30default_config_static_selectorELNS0_4arch9wavefront6targetE1EEEvT1_
	.globl	_ZN7rocprim17ROCPRIM_400000_NS6detail17trampoline_kernelINS0_14default_configENS1_20scan_config_selectorIfEEZZNS1_9scan_implILNS1_25lookback_scan_determinismE0ELb1ELb1ES3_N6thrust23THRUST_200600_302600_NS6detail15normal_iteratorINS9_10device_ptrIfEEEENS9_16discard_iteratorINS9_11use_defaultEEEf11max_functorIfEfEEDaPvRmT3_T4_T5_mT6_P12ihipStream_tbENKUlT_T0_E_clISt17integral_constantIbLb0EESW_IbLb1EEEEDaSS_ST_EUlSS_E0_NS1_11comp_targetILNS1_3genE10ELNS1_11target_archE1201ELNS1_3gpuE5ELNS1_3repE0EEENS1_30default_config_static_selectorELNS0_4arch9wavefront6targetE1EEEvT1_
	.p2align	8
	.type	_ZN7rocprim17ROCPRIM_400000_NS6detail17trampoline_kernelINS0_14default_configENS1_20scan_config_selectorIfEEZZNS1_9scan_implILNS1_25lookback_scan_determinismE0ELb1ELb1ES3_N6thrust23THRUST_200600_302600_NS6detail15normal_iteratorINS9_10device_ptrIfEEEENS9_16discard_iteratorINS9_11use_defaultEEEf11max_functorIfEfEEDaPvRmT3_T4_T5_mT6_P12ihipStream_tbENKUlT_T0_E_clISt17integral_constantIbLb0EESW_IbLb1EEEEDaSS_ST_EUlSS_E0_NS1_11comp_targetILNS1_3genE10ELNS1_11target_archE1201ELNS1_3gpuE5ELNS1_3repE0EEENS1_30default_config_static_selectorELNS0_4arch9wavefront6targetE1EEEvT1_,@function
_ZN7rocprim17ROCPRIM_400000_NS6detail17trampoline_kernelINS0_14default_configENS1_20scan_config_selectorIfEEZZNS1_9scan_implILNS1_25lookback_scan_determinismE0ELb1ELb1ES3_N6thrust23THRUST_200600_302600_NS6detail15normal_iteratorINS9_10device_ptrIfEEEENS9_16discard_iteratorINS9_11use_defaultEEEf11max_functorIfEfEEDaPvRmT3_T4_T5_mT6_P12ihipStream_tbENKUlT_T0_E_clISt17integral_constantIbLb0EESW_IbLb1EEEEDaSS_ST_EUlSS_E0_NS1_11comp_targetILNS1_3genE10ELNS1_11target_archE1201ELNS1_3gpuE5ELNS1_3repE0EEENS1_30default_config_static_selectorELNS0_4arch9wavefront6targetE1EEEvT1_: ; @_ZN7rocprim17ROCPRIM_400000_NS6detail17trampoline_kernelINS0_14default_configENS1_20scan_config_selectorIfEEZZNS1_9scan_implILNS1_25lookback_scan_determinismE0ELb1ELb1ES3_N6thrust23THRUST_200600_302600_NS6detail15normal_iteratorINS9_10device_ptrIfEEEENS9_16discard_iteratorINS9_11use_defaultEEEf11max_functorIfEfEEDaPvRmT3_T4_T5_mT6_P12ihipStream_tbENKUlT_T0_E_clISt17integral_constantIbLb0EESW_IbLb1EEEEDaSS_ST_EUlSS_E0_NS1_11comp_targetILNS1_3genE10ELNS1_11target_archE1201ELNS1_3gpuE5ELNS1_3repE0EEENS1_30default_config_static_selectorELNS0_4arch9wavefront6targetE1EEEvT1_
; %bb.0:
	.section	.rodata,"a",@progbits
	.p2align	6, 0x0
	.amdhsa_kernel _ZN7rocprim17ROCPRIM_400000_NS6detail17trampoline_kernelINS0_14default_configENS1_20scan_config_selectorIfEEZZNS1_9scan_implILNS1_25lookback_scan_determinismE0ELb1ELb1ES3_N6thrust23THRUST_200600_302600_NS6detail15normal_iteratorINS9_10device_ptrIfEEEENS9_16discard_iteratorINS9_11use_defaultEEEf11max_functorIfEfEEDaPvRmT3_T4_T5_mT6_P12ihipStream_tbENKUlT_T0_E_clISt17integral_constantIbLb0EESW_IbLb1EEEEDaSS_ST_EUlSS_E0_NS1_11comp_targetILNS1_3genE10ELNS1_11target_archE1201ELNS1_3gpuE5ELNS1_3repE0EEENS1_30default_config_static_selectorELNS0_4arch9wavefront6targetE1EEEvT1_
		.amdhsa_group_segment_fixed_size 0
		.amdhsa_private_segment_fixed_size 0
		.amdhsa_kernarg_size 40
		.amdhsa_user_sgpr_count 6
		.amdhsa_user_sgpr_private_segment_buffer 1
		.amdhsa_user_sgpr_dispatch_ptr 0
		.amdhsa_user_sgpr_queue_ptr 0
		.amdhsa_user_sgpr_kernarg_segment_ptr 1
		.amdhsa_user_sgpr_dispatch_id 0
		.amdhsa_user_sgpr_flat_scratch_init 0
		.amdhsa_user_sgpr_kernarg_preload_length 0
		.amdhsa_user_sgpr_kernarg_preload_offset 0
		.amdhsa_user_sgpr_private_segment_size 0
		.amdhsa_uses_dynamic_stack 0
		.amdhsa_system_sgpr_private_segment_wavefront_offset 0
		.amdhsa_system_sgpr_workgroup_id_x 1
		.amdhsa_system_sgpr_workgroup_id_y 0
		.amdhsa_system_sgpr_workgroup_id_z 0
		.amdhsa_system_sgpr_workgroup_info 0
		.amdhsa_system_vgpr_workitem_id 0
		.amdhsa_next_free_vgpr 1
		.amdhsa_next_free_sgpr 0
		.amdhsa_accum_offset 4
		.amdhsa_reserve_vcc 0
		.amdhsa_reserve_flat_scratch 0
		.amdhsa_float_round_mode_32 0
		.amdhsa_float_round_mode_16_64 0
		.amdhsa_float_denorm_mode_32 3
		.amdhsa_float_denorm_mode_16_64 3
		.amdhsa_dx10_clamp 1
		.amdhsa_ieee_mode 1
		.amdhsa_fp16_overflow 0
		.amdhsa_tg_split 0
		.amdhsa_exception_fp_ieee_invalid_op 0
		.amdhsa_exception_fp_denorm_src 0
		.amdhsa_exception_fp_ieee_div_zero 0
		.amdhsa_exception_fp_ieee_overflow 0
		.amdhsa_exception_fp_ieee_underflow 0
		.amdhsa_exception_fp_ieee_inexact 0
		.amdhsa_exception_int_div_zero 0
	.end_amdhsa_kernel
	.section	.text._ZN7rocprim17ROCPRIM_400000_NS6detail17trampoline_kernelINS0_14default_configENS1_20scan_config_selectorIfEEZZNS1_9scan_implILNS1_25lookback_scan_determinismE0ELb1ELb1ES3_N6thrust23THRUST_200600_302600_NS6detail15normal_iteratorINS9_10device_ptrIfEEEENS9_16discard_iteratorINS9_11use_defaultEEEf11max_functorIfEfEEDaPvRmT3_T4_T5_mT6_P12ihipStream_tbENKUlT_T0_E_clISt17integral_constantIbLb0EESW_IbLb1EEEEDaSS_ST_EUlSS_E0_NS1_11comp_targetILNS1_3genE10ELNS1_11target_archE1201ELNS1_3gpuE5ELNS1_3repE0EEENS1_30default_config_static_selectorELNS0_4arch9wavefront6targetE1EEEvT1_,"axG",@progbits,_ZN7rocprim17ROCPRIM_400000_NS6detail17trampoline_kernelINS0_14default_configENS1_20scan_config_selectorIfEEZZNS1_9scan_implILNS1_25lookback_scan_determinismE0ELb1ELb1ES3_N6thrust23THRUST_200600_302600_NS6detail15normal_iteratorINS9_10device_ptrIfEEEENS9_16discard_iteratorINS9_11use_defaultEEEf11max_functorIfEfEEDaPvRmT3_T4_T5_mT6_P12ihipStream_tbENKUlT_T0_E_clISt17integral_constantIbLb0EESW_IbLb1EEEEDaSS_ST_EUlSS_E0_NS1_11comp_targetILNS1_3genE10ELNS1_11target_archE1201ELNS1_3gpuE5ELNS1_3repE0EEENS1_30default_config_static_selectorELNS0_4arch9wavefront6targetE1EEEvT1_,comdat
.Lfunc_end3274:
	.size	_ZN7rocprim17ROCPRIM_400000_NS6detail17trampoline_kernelINS0_14default_configENS1_20scan_config_selectorIfEEZZNS1_9scan_implILNS1_25lookback_scan_determinismE0ELb1ELb1ES3_N6thrust23THRUST_200600_302600_NS6detail15normal_iteratorINS9_10device_ptrIfEEEENS9_16discard_iteratorINS9_11use_defaultEEEf11max_functorIfEfEEDaPvRmT3_T4_T5_mT6_P12ihipStream_tbENKUlT_T0_E_clISt17integral_constantIbLb0EESW_IbLb1EEEEDaSS_ST_EUlSS_E0_NS1_11comp_targetILNS1_3genE10ELNS1_11target_archE1201ELNS1_3gpuE5ELNS1_3repE0EEENS1_30default_config_static_selectorELNS0_4arch9wavefront6targetE1EEEvT1_, .Lfunc_end3274-_ZN7rocprim17ROCPRIM_400000_NS6detail17trampoline_kernelINS0_14default_configENS1_20scan_config_selectorIfEEZZNS1_9scan_implILNS1_25lookback_scan_determinismE0ELb1ELb1ES3_N6thrust23THRUST_200600_302600_NS6detail15normal_iteratorINS9_10device_ptrIfEEEENS9_16discard_iteratorINS9_11use_defaultEEEf11max_functorIfEfEEDaPvRmT3_T4_T5_mT6_P12ihipStream_tbENKUlT_T0_E_clISt17integral_constantIbLb0EESW_IbLb1EEEEDaSS_ST_EUlSS_E0_NS1_11comp_targetILNS1_3genE10ELNS1_11target_archE1201ELNS1_3gpuE5ELNS1_3repE0EEENS1_30default_config_static_selectorELNS0_4arch9wavefront6targetE1EEEvT1_
                                        ; -- End function
	.section	.AMDGPU.csdata,"",@progbits
; Kernel info:
; codeLenInByte = 0
; NumSgprs: 4
; NumVgprs: 0
; NumAgprs: 0
; TotalNumVgprs: 0
; ScratchSize: 0
; MemoryBound: 0
; FloatMode: 240
; IeeeMode: 1
; LDSByteSize: 0 bytes/workgroup (compile time only)
; SGPRBlocks: 0
; VGPRBlocks: 0
; NumSGPRsForWavesPerEU: 4
; NumVGPRsForWavesPerEU: 1
; AccumOffset: 4
; Occupancy: 8
; WaveLimiterHint : 0
; COMPUTE_PGM_RSRC2:SCRATCH_EN: 0
; COMPUTE_PGM_RSRC2:USER_SGPR: 6
; COMPUTE_PGM_RSRC2:TRAP_HANDLER: 0
; COMPUTE_PGM_RSRC2:TGID_X_EN: 1
; COMPUTE_PGM_RSRC2:TGID_Y_EN: 0
; COMPUTE_PGM_RSRC2:TGID_Z_EN: 0
; COMPUTE_PGM_RSRC2:TIDIG_COMP_CNT: 0
; COMPUTE_PGM_RSRC3_GFX90A:ACCUM_OFFSET: 0
; COMPUTE_PGM_RSRC3_GFX90A:TG_SPLIT: 0
	.section	.text._ZN7rocprim17ROCPRIM_400000_NS6detail17trampoline_kernelINS0_14default_configENS1_20scan_config_selectorIfEEZZNS1_9scan_implILNS1_25lookback_scan_determinismE0ELb1ELb1ES3_N6thrust23THRUST_200600_302600_NS6detail15normal_iteratorINS9_10device_ptrIfEEEENS9_16discard_iteratorINS9_11use_defaultEEEf11max_functorIfEfEEDaPvRmT3_T4_T5_mT6_P12ihipStream_tbENKUlT_T0_E_clISt17integral_constantIbLb0EESW_IbLb1EEEEDaSS_ST_EUlSS_E0_NS1_11comp_targetILNS1_3genE10ELNS1_11target_archE1200ELNS1_3gpuE4ELNS1_3repE0EEENS1_30default_config_static_selectorELNS0_4arch9wavefront6targetE1EEEvT1_,"axG",@progbits,_ZN7rocprim17ROCPRIM_400000_NS6detail17trampoline_kernelINS0_14default_configENS1_20scan_config_selectorIfEEZZNS1_9scan_implILNS1_25lookback_scan_determinismE0ELb1ELb1ES3_N6thrust23THRUST_200600_302600_NS6detail15normal_iteratorINS9_10device_ptrIfEEEENS9_16discard_iteratorINS9_11use_defaultEEEf11max_functorIfEfEEDaPvRmT3_T4_T5_mT6_P12ihipStream_tbENKUlT_T0_E_clISt17integral_constantIbLb0EESW_IbLb1EEEEDaSS_ST_EUlSS_E0_NS1_11comp_targetILNS1_3genE10ELNS1_11target_archE1200ELNS1_3gpuE4ELNS1_3repE0EEENS1_30default_config_static_selectorELNS0_4arch9wavefront6targetE1EEEvT1_,comdat
	.protected	_ZN7rocprim17ROCPRIM_400000_NS6detail17trampoline_kernelINS0_14default_configENS1_20scan_config_selectorIfEEZZNS1_9scan_implILNS1_25lookback_scan_determinismE0ELb1ELb1ES3_N6thrust23THRUST_200600_302600_NS6detail15normal_iteratorINS9_10device_ptrIfEEEENS9_16discard_iteratorINS9_11use_defaultEEEf11max_functorIfEfEEDaPvRmT3_T4_T5_mT6_P12ihipStream_tbENKUlT_T0_E_clISt17integral_constantIbLb0EESW_IbLb1EEEEDaSS_ST_EUlSS_E0_NS1_11comp_targetILNS1_3genE10ELNS1_11target_archE1200ELNS1_3gpuE4ELNS1_3repE0EEENS1_30default_config_static_selectorELNS0_4arch9wavefront6targetE1EEEvT1_ ; -- Begin function _ZN7rocprim17ROCPRIM_400000_NS6detail17trampoline_kernelINS0_14default_configENS1_20scan_config_selectorIfEEZZNS1_9scan_implILNS1_25lookback_scan_determinismE0ELb1ELb1ES3_N6thrust23THRUST_200600_302600_NS6detail15normal_iteratorINS9_10device_ptrIfEEEENS9_16discard_iteratorINS9_11use_defaultEEEf11max_functorIfEfEEDaPvRmT3_T4_T5_mT6_P12ihipStream_tbENKUlT_T0_E_clISt17integral_constantIbLb0EESW_IbLb1EEEEDaSS_ST_EUlSS_E0_NS1_11comp_targetILNS1_3genE10ELNS1_11target_archE1200ELNS1_3gpuE4ELNS1_3repE0EEENS1_30default_config_static_selectorELNS0_4arch9wavefront6targetE1EEEvT1_
	.globl	_ZN7rocprim17ROCPRIM_400000_NS6detail17trampoline_kernelINS0_14default_configENS1_20scan_config_selectorIfEEZZNS1_9scan_implILNS1_25lookback_scan_determinismE0ELb1ELb1ES3_N6thrust23THRUST_200600_302600_NS6detail15normal_iteratorINS9_10device_ptrIfEEEENS9_16discard_iteratorINS9_11use_defaultEEEf11max_functorIfEfEEDaPvRmT3_T4_T5_mT6_P12ihipStream_tbENKUlT_T0_E_clISt17integral_constantIbLb0EESW_IbLb1EEEEDaSS_ST_EUlSS_E0_NS1_11comp_targetILNS1_3genE10ELNS1_11target_archE1200ELNS1_3gpuE4ELNS1_3repE0EEENS1_30default_config_static_selectorELNS0_4arch9wavefront6targetE1EEEvT1_
	.p2align	8
	.type	_ZN7rocprim17ROCPRIM_400000_NS6detail17trampoline_kernelINS0_14default_configENS1_20scan_config_selectorIfEEZZNS1_9scan_implILNS1_25lookback_scan_determinismE0ELb1ELb1ES3_N6thrust23THRUST_200600_302600_NS6detail15normal_iteratorINS9_10device_ptrIfEEEENS9_16discard_iteratorINS9_11use_defaultEEEf11max_functorIfEfEEDaPvRmT3_T4_T5_mT6_P12ihipStream_tbENKUlT_T0_E_clISt17integral_constantIbLb0EESW_IbLb1EEEEDaSS_ST_EUlSS_E0_NS1_11comp_targetILNS1_3genE10ELNS1_11target_archE1200ELNS1_3gpuE4ELNS1_3repE0EEENS1_30default_config_static_selectorELNS0_4arch9wavefront6targetE1EEEvT1_,@function
_ZN7rocprim17ROCPRIM_400000_NS6detail17trampoline_kernelINS0_14default_configENS1_20scan_config_selectorIfEEZZNS1_9scan_implILNS1_25lookback_scan_determinismE0ELb1ELb1ES3_N6thrust23THRUST_200600_302600_NS6detail15normal_iteratorINS9_10device_ptrIfEEEENS9_16discard_iteratorINS9_11use_defaultEEEf11max_functorIfEfEEDaPvRmT3_T4_T5_mT6_P12ihipStream_tbENKUlT_T0_E_clISt17integral_constantIbLb0EESW_IbLb1EEEEDaSS_ST_EUlSS_E0_NS1_11comp_targetILNS1_3genE10ELNS1_11target_archE1200ELNS1_3gpuE4ELNS1_3repE0EEENS1_30default_config_static_selectorELNS0_4arch9wavefront6targetE1EEEvT1_: ; @_ZN7rocprim17ROCPRIM_400000_NS6detail17trampoline_kernelINS0_14default_configENS1_20scan_config_selectorIfEEZZNS1_9scan_implILNS1_25lookback_scan_determinismE0ELb1ELb1ES3_N6thrust23THRUST_200600_302600_NS6detail15normal_iteratorINS9_10device_ptrIfEEEENS9_16discard_iteratorINS9_11use_defaultEEEf11max_functorIfEfEEDaPvRmT3_T4_T5_mT6_P12ihipStream_tbENKUlT_T0_E_clISt17integral_constantIbLb0EESW_IbLb1EEEEDaSS_ST_EUlSS_E0_NS1_11comp_targetILNS1_3genE10ELNS1_11target_archE1200ELNS1_3gpuE4ELNS1_3repE0EEENS1_30default_config_static_selectorELNS0_4arch9wavefront6targetE1EEEvT1_
; %bb.0:
	.section	.rodata,"a",@progbits
	.p2align	6, 0x0
	.amdhsa_kernel _ZN7rocprim17ROCPRIM_400000_NS6detail17trampoline_kernelINS0_14default_configENS1_20scan_config_selectorIfEEZZNS1_9scan_implILNS1_25lookback_scan_determinismE0ELb1ELb1ES3_N6thrust23THRUST_200600_302600_NS6detail15normal_iteratorINS9_10device_ptrIfEEEENS9_16discard_iteratorINS9_11use_defaultEEEf11max_functorIfEfEEDaPvRmT3_T4_T5_mT6_P12ihipStream_tbENKUlT_T0_E_clISt17integral_constantIbLb0EESW_IbLb1EEEEDaSS_ST_EUlSS_E0_NS1_11comp_targetILNS1_3genE10ELNS1_11target_archE1200ELNS1_3gpuE4ELNS1_3repE0EEENS1_30default_config_static_selectorELNS0_4arch9wavefront6targetE1EEEvT1_
		.amdhsa_group_segment_fixed_size 0
		.amdhsa_private_segment_fixed_size 0
		.amdhsa_kernarg_size 40
		.amdhsa_user_sgpr_count 6
		.amdhsa_user_sgpr_private_segment_buffer 1
		.amdhsa_user_sgpr_dispatch_ptr 0
		.amdhsa_user_sgpr_queue_ptr 0
		.amdhsa_user_sgpr_kernarg_segment_ptr 1
		.amdhsa_user_sgpr_dispatch_id 0
		.amdhsa_user_sgpr_flat_scratch_init 0
		.amdhsa_user_sgpr_kernarg_preload_length 0
		.amdhsa_user_sgpr_kernarg_preload_offset 0
		.amdhsa_user_sgpr_private_segment_size 0
		.amdhsa_uses_dynamic_stack 0
		.amdhsa_system_sgpr_private_segment_wavefront_offset 0
		.amdhsa_system_sgpr_workgroup_id_x 1
		.amdhsa_system_sgpr_workgroup_id_y 0
		.amdhsa_system_sgpr_workgroup_id_z 0
		.amdhsa_system_sgpr_workgroup_info 0
		.amdhsa_system_vgpr_workitem_id 0
		.amdhsa_next_free_vgpr 1
		.amdhsa_next_free_sgpr 0
		.amdhsa_accum_offset 4
		.amdhsa_reserve_vcc 0
		.amdhsa_reserve_flat_scratch 0
		.amdhsa_float_round_mode_32 0
		.amdhsa_float_round_mode_16_64 0
		.amdhsa_float_denorm_mode_32 3
		.amdhsa_float_denorm_mode_16_64 3
		.amdhsa_dx10_clamp 1
		.amdhsa_ieee_mode 1
		.amdhsa_fp16_overflow 0
		.amdhsa_tg_split 0
		.amdhsa_exception_fp_ieee_invalid_op 0
		.amdhsa_exception_fp_denorm_src 0
		.amdhsa_exception_fp_ieee_div_zero 0
		.amdhsa_exception_fp_ieee_overflow 0
		.amdhsa_exception_fp_ieee_underflow 0
		.amdhsa_exception_fp_ieee_inexact 0
		.amdhsa_exception_int_div_zero 0
	.end_amdhsa_kernel
	.section	.text._ZN7rocprim17ROCPRIM_400000_NS6detail17trampoline_kernelINS0_14default_configENS1_20scan_config_selectorIfEEZZNS1_9scan_implILNS1_25lookback_scan_determinismE0ELb1ELb1ES3_N6thrust23THRUST_200600_302600_NS6detail15normal_iteratorINS9_10device_ptrIfEEEENS9_16discard_iteratorINS9_11use_defaultEEEf11max_functorIfEfEEDaPvRmT3_T4_T5_mT6_P12ihipStream_tbENKUlT_T0_E_clISt17integral_constantIbLb0EESW_IbLb1EEEEDaSS_ST_EUlSS_E0_NS1_11comp_targetILNS1_3genE10ELNS1_11target_archE1200ELNS1_3gpuE4ELNS1_3repE0EEENS1_30default_config_static_selectorELNS0_4arch9wavefront6targetE1EEEvT1_,"axG",@progbits,_ZN7rocprim17ROCPRIM_400000_NS6detail17trampoline_kernelINS0_14default_configENS1_20scan_config_selectorIfEEZZNS1_9scan_implILNS1_25lookback_scan_determinismE0ELb1ELb1ES3_N6thrust23THRUST_200600_302600_NS6detail15normal_iteratorINS9_10device_ptrIfEEEENS9_16discard_iteratorINS9_11use_defaultEEEf11max_functorIfEfEEDaPvRmT3_T4_T5_mT6_P12ihipStream_tbENKUlT_T0_E_clISt17integral_constantIbLb0EESW_IbLb1EEEEDaSS_ST_EUlSS_E0_NS1_11comp_targetILNS1_3genE10ELNS1_11target_archE1200ELNS1_3gpuE4ELNS1_3repE0EEENS1_30default_config_static_selectorELNS0_4arch9wavefront6targetE1EEEvT1_,comdat
.Lfunc_end3275:
	.size	_ZN7rocprim17ROCPRIM_400000_NS6detail17trampoline_kernelINS0_14default_configENS1_20scan_config_selectorIfEEZZNS1_9scan_implILNS1_25lookback_scan_determinismE0ELb1ELb1ES3_N6thrust23THRUST_200600_302600_NS6detail15normal_iteratorINS9_10device_ptrIfEEEENS9_16discard_iteratorINS9_11use_defaultEEEf11max_functorIfEfEEDaPvRmT3_T4_T5_mT6_P12ihipStream_tbENKUlT_T0_E_clISt17integral_constantIbLb0EESW_IbLb1EEEEDaSS_ST_EUlSS_E0_NS1_11comp_targetILNS1_3genE10ELNS1_11target_archE1200ELNS1_3gpuE4ELNS1_3repE0EEENS1_30default_config_static_selectorELNS0_4arch9wavefront6targetE1EEEvT1_, .Lfunc_end3275-_ZN7rocprim17ROCPRIM_400000_NS6detail17trampoline_kernelINS0_14default_configENS1_20scan_config_selectorIfEEZZNS1_9scan_implILNS1_25lookback_scan_determinismE0ELb1ELb1ES3_N6thrust23THRUST_200600_302600_NS6detail15normal_iteratorINS9_10device_ptrIfEEEENS9_16discard_iteratorINS9_11use_defaultEEEf11max_functorIfEfEEDaPvRmT3_T4_T5_mT6_P12ihipStream_tbENKUlT_T0_E_clISt17integral_constantIbLb0EESW_IbLb1EEEEDaSS_ST_EUlSS_E0_NS1_11comp_targetILNS1_3genE10ELNS1_11target_archE1200ELNS1_3gpuE4ELNS1_3repE0EEENS1_30default_config_static_selectorELNS0_4arch9wavefront6targetE1EEEvT1_
                                        ; -- End function
	.section	.AMDGPU.csdata,"",@progbits
; Kernel info:
; codeLenInByte = 0
; NumSgprs: 4
; NumVgprs: 0
; NumAgprs: 0
; TotalNumVgprs: 0
; ScratchSize: 0
; MemoryBound: 0
; FloatMode: 240
; IeeeMode: 1
; LDSByteSize: 0 bytes/workgroup (compile time only)
; SGPRBlocks: 0
; VGPRBlocks: 0
; NumSGPRsForWavesPerEU: 4
; NumVGPRsForWavesPerEU: 1
; AccumOffset: 4
; Occupancy: 8
; WaveLimiterHint : 0
; COMPUTE_PGM_RSRC2:SCRATCH_EN: 0
; COMPUTE_PGM_RSRC2:USER_SGPR: 6
; COMPUTE_PGM_RSRC2:TRAP_HANDLER: 0
; COMPUTE_PGM_RSRC2:TGID_X_EN: 1
; COMPUTE_PGM_RSRC2:TGID_Y_EN: 0
; COMPUTE_PGM_RSRC2:TGID_Z_EN: 0
; COMPUTE_PGM_RSRC2:TIDIG_COMP_CNT: 0
; COMPUTE_PGM_RSRC3_GFX90A:ACCUM_OFFSET: 0
; COMPUTE_PGM_RSRC3_GFX90A:TG_SPLIT: 0
	.section	.text._ZN7rocprim17ROCPRIM_400000_NS6detail17trampoline_kernelINS0_14default_configENS1_20scan_config_selectorIfEEZZNS1_9scan_implILNS1_25lookback_scan_determinismE0ELb1ELb1ES3_N6thrust23THRUST_200600_302600_NS6detail15normal_iteratorINS9_10device_ptrIfEEEENS9_16discard_iteratorINS9_11use_defaultEEEf11max_functorIfEfEEDaPvRmT3_T4_T5_mT6_P12ihipStream_tbENKUlT_T0_E_clISt17integral_constantIbLb0EESW_IbLb1EEEEDaSS_ST_EUlSS_E0_NS1_11comp_targetILNS1_3genE9ELNS1_11target_archE1100ELNS1_3gpuE3ELNS1_3repE0EEENS1_30default_config_static_selectorELNS0_4arch9wavefront6targetE1EEEvT1_,"axG",@progbits,_ZN7rocprim17ROCPRIM_400000_NS6detail17trampoline_kernelINS0_14default_configENS1_20scan_config_selectorIfEEZZNS1_9scan_implILNS1_25lookback_scan_determinismE0ELb1ELb1ES3_N6thrust23THRUST_200600_302600_NS6detail15normal_iteratorINS9_10device_ptrIfEEEENS9_16discard_iteratorINS9_11use_defaultEEEf11max_functorIfEfEEDaPvRmT3_T4_T5_mT6_P12ihipStream_tbENKUlT_T0_E_clISt17integral_constantIbLb0EESW_IbLb1EEEEDaSS_ST_EUlSS_E0_NS1_11comp_targetILNS1_3genE9ELNS1_11target_archE1100ELNS1_3gpuE3ELNS1_3repE0EEENS1_30default_config_static_selectorELNS0_4arch9wavefront6targetE1EEEvT1_,comdat
	.protected	_ZN7rocprim17ROCPRIM_400000_NS6detail17trampoline_kernelINS0_14default_configENS1_20scan_config_selectorIfEEZZNS1_9scan_implILNS1_25lookback_scan_determinismE0ELb1ELb1ES3_N6thrust23THRUST_200600_302600_NS6detail15normal_iteratorINS9_10device_ptrIfEEEENS9_16discard_iteratorINS9_11use_defaultEEEf11max_functorIfEfEEDaPvRmT3_T4_T5_mT6_P12ihipStream_tbENKUlT_T0_E_clISt17integral_constantIbLb0EESW_IbLb1EEEEDaSS_ST_EUlSS_E0_NS1_11comp_targetILNS1_3genE9ELNS1_11target_archE1100ELNS1_3gpuE3ELNS1_3repE0EEENS1_30default_config_static_selectorELNS0_4arch9wavefront6targetE1EEEvT1_ ; -- Begin function _ZN7rocprim17ROCPRIM_400000_NS6detail17trampoline_kernelINS0_14default_configENS1_20scan_config_selectorIfEEZZNS1_9scan_implILNS1_25lookback_scan_determinismE0ELb1ELb1ES3_N6thrust23THRUST_200600_302600_NS6detail15normal_iteratorINS9_10device_ptrIfEEEENS9_16discard_iteratorINS9_11use_defaultEEEf11max_functorIfEfEEDaPvRmT3_T4_T5_mT6_P12ihipStream_tbENKUlT_T0_E_clISt17integral_constantIbLb0EESW_IbLb1EEEEDaSS_ST_EUlSS_E0_NS1_11comp_targetILNS1_3genE9ELNS1_11target_archE1100ELNS1_3gpuE3ELNS1_3repE0EEENS1_30default_config_static_selectorELNS0_4arch9wavefront6targetE1EEEvT1_
	.globl	_ZN7rocprim17ROCPRIM_400000_NS6detail17trampoline_kernelINS0_14default_configENS1_20scan_config_selectorIfEEZZNS1_9scan_implILNS1_25lookback_scan_determinismE0ELb1ELb1ES3_N6thrust23THRUST_200600_302600_NS6detail15normal_iteratorINS9_10device_ptrIfEEEENS9_16discard_iteratorINS9_11use_defaultEEEf11max_functorIfEfEEDaPvRmT3_T4_T5_mT6_P12ihipStream_tbENKUlT_T0_E_clISt17integral_constantIbLb0EESW_IbLb1EEEEDaSS_ST_EUlSS_E0_NS1_11comp_targetILNS1_3genE9ELNS1_11target_archE1100ELNS1_3gpuE3ELNS1_3repE0EEENS1_30default_config_static_selectorELNS0_4arch9wavefront6targetE1EEEvT1_
	.p2align	8
	.type	_ZN7rocprim17ROCPRIM_400000_NS6detail17trampoline_kernelINS0_14default_configENS1_20scan_config_selectorIfEEZZNS1_9scan_implILNS1_25lookback_scan_determinismE0ELb1ELb1ES3_N6thrust23THRUST_200600_302600_NS6detail15normal_iteratorINS9_10device_ptrIfEEEENS9_16discard_iteratorINS9_11use_defaultEEEf11max_functorIfEfEEDaPvRmT3_T4_T5_mT6_P12ihipStream_tbENKUlT_T0_E_clISt17integral_constantIbLb0EESW_IbLb1EEEEDaSS_ST_EUlSS_E0_NS1_11comp_targetILNS1_3genE9ELNS1_11target_archE1100ELNS1_3gpuE3ELNS1_3repE0EEENS1_30default_config_static_selectorELNS0_4arch9wavefront6targetE1EEEvT1_,@function
_ZN7rocprim17ROCPRIM_400000_NS6detail17trampoline_kernelINS0_14default_configENS1_20scan_config_selectorIfEEZZNS1_9scan_implILNS1_25lookback_scan_determinismE0ELb1ELb1ES3_N6thrust23THRUST_200600_302600_NS6detail15normal_iteratorINS9_10device_ptrIfEEEENS9_16discard_iteratorINS9_11use_defaultEEEf11max_functorIfEfEEDaPvRmT3_T4_T5_mT6_P12ihipStream_tbENKUlT_T0_E_clISt17integral_constantIbLb0EESW_IbLb1EEEEDaSS_ST_EUlSS_E0_NS1_11comp_targetILNS1_3genE9ELNS1_11target_archE1100ELNS1_3gpuE3ELNS1_3repE0EEENS1_30default_config_static_selectorELNS0_4arch9wavefront6targetE1EEEvT1_: ; @_ZN7rocprim17ROCPRIM_400000_NS6detail17trampoline_kernelINS0_14default_configENS1_20scan_config_selectorIfEEZZNS1_9scan_implILNS1_25lookback_scan_determinismE0ELb1ELb1ES3_N6thrust23THRUST_200600_302600_NS6detail15normal_iteratorINS9_10device_ptrIfEEEENS9_16discard_iteratorINS9_11use_defaultEEEf11max_functorIfEfEEDaPvRmT3_T4_T5_mT6_P12ihipStream_tbENKUlT_T0_E_clISt17integral_constantIbLb0EESW_IbLb1EEEEDaSS_ST_EUlSS_E0_NS1_11comp_targetILNS1_3genE9ELNS1_11target_archE1100ELNS1_3gpuE3ELNS1_3repE0EEENS1_30default_config_static_selectorELNS0_4arch9wavefront6targetE1EEEvT1_
; %bb.0:
	.section	.rodata,"a",@progbits
	.p2align	6, 0x0
	.amdhsa_kernel _ZN7rocprim17ROCPRIM_400000_NS6detail17trampoline_kernelINS0_14default_configENS1_20scan_config_selectorIfEEZZNS1_9scan_implILNS1_25lookback_scan_determinismE0ELb1ELb1ES3_N6thrust23THRUST_200600_302600_NS6detail15normal_iteratorINS9_10device_ptrIfEEEENS9_16discard_iteratorINS9_11use_defaultEEEf11max_functorIfEfEEDaPvRmT3_T4_T5_mT6_P12ihipStream_tbENKUlT_T0_E_clISt17integral_constantIbLb0EESW_IbLb1EEEEDaSS_ST_EUlSS_E0_NS1_11comp_targetILNS1_3genE9ELNS1_11target_archE1100ELNS1_3gpuE3ELNS1_3repE0EEENS1_30default_config_static_selectorELNS0_4arch9wavefront6targetE1EEEvT1_
		.amdhsa_group_segment_fixed_size 0
		.amdhsa_private_segment_fixed_size 0
		.amdhsa_kernarg_size 40
		.amdhsa_user_sgpr_count 6
		.amdhsa_user_sgpr_private_segment_buffer 1
		.amdhsa_user_sgpr_dispatch_ptr 0
		.amdhsa_user_sgpr_queue_ptr 0
		.amdhsa_user_sgpr_kernarg_segment_ptr 1
		.amdhsa_user_sgpr_dispatch_id 0
		.amdhsa_user_sgpr_flat_scratch_init 0
		.amdhsa_user_sgpr_kernarg_preload_length 0
		.amdhsa_user_sgpr_kernarg_preload_offset 0
		.amdhsa_user_sgpr_private_segment_size 0
		.amdhsa_uses_dynamic_stack 0
		.amdhsa_system_sgpr_private_segment_wavefront_offset 0
		.amdhsa_system_sgpr_workgroup_id_x 1
		.amdhsa_system_sgpr_workgroup_id_y 0
		.amdhsa_system_sgpr_workgroup_id_z 0
		.amdhsa_system_sgpr_workgroup_info 0
		.amdhsa_system_vgpr_workitem_id 0
		.amdhsa_next_free_vgpr 1
		.amdhsa_next_free_sgpr 0
		.amdhsa_accum_offset 4
		.amdhsa_reserve_vcc 0
		.amdhsa_reserve_flat_scratch 0
		.amdhsa_float_round_mode_32 0
		.amdhsa_float_round_mode_16_64 0
		.amdhsa_float_denorm_mode_32 3
		.amdhsa_float_denorm_mode_16_64 3
		.amdhsa_dx10_clamp 1
		.amdhsa_ieee_mode 1
		.amdhsa_fp16_overflow 0
		.amdhsa_tg_split 0
		.amdhsa_exception_fp_ieee_invalid_op 0
		.amdhsa_exception_fp_denorm_src 0
		.amdhsa_exception_fp_ieee_div_zero 0
		.amdhsa_exception_fp_ieee_overflow 0
		.amdhsa_exception_fp_ieee_underflow 0
		.amdhsa_exception_fp_ieee_inexact 0
		.amdhsa_exception_int_div_zero 0
	.end_amdhsa_kernel
	.section	.text._ZN7rocprim17ROCPRIM_400000_NS6detail17trampoline_kernelINS0_14default_configENS1_20scan_config_selectorIfEEZZNS1_9scan_implILNS1_25lookback_scan_determinismE0ELb1ELb1ES3_N6thrust23THRUST_200600_302600_NS6detail15normal_iteratorINS9_10device_ptrIfEEEENS9_16discard_iteratorINS9_11use_defaultEEEf11max_functorIfEfEEDaPvRmT3_T4_T5_mT6_P12ihipStream_tbENKUlT_T0_E_clISt17integral_constantIbLb0EESW_IbLb1EEEEDaSS_ST_EUlSS_E0_NS1_11comp_targetILNS1_3genE9ELNS1_11target_archE1100ELNS1_3gpuE3ELNS1_3repE0EEENS1_30default_config_static_selectorELNS0_4arch9wavefront6targetE1EEEvT1_,"axG",@progbits,_ZN7rocprim17ROCPRIM_400000_NS6detail17trampoline_kernelINS0_14default_configENS1_20scan_config_selectorIfEEZZNS1_9scan_implILNS1_25lookback_scan_determinismE0ELb1ELb1ES3_N6thrust23THRUST_200600_302600_NS6detail15normal_iteratorINS9_10device_ptrIfEEEENS9_16discard_iteratorINS9_11use_defaultEEEf11max_functorIfEfEEDaPvRmT3_T4_T5_mT6_P12ihipStream_tbENKUlT_T0_E_clISt17integral_constantIbLb0EESW_IbLb1EEEEDaSS_ST_EUlSS_E0_NS1_11comp_targetILNS1_3genE9ELNS1_11target_archE1100ELNS1_3gpuE3ELNS1_3repE0EEENS1_30default_config_static_selectorELNS0_4arch9wavefront6targetE1EEEvT1_,comdat
.Lfunc_end3276:
	.size	_ZN7rocprim17ROCPRIM_400000_NS6detail17trampoline_kernelINS0_14default_configENS1_20scan_config_selectorIfEEZZNS1_9scan_implILNS1_25lookback_scan_determinismE0ELb1ELb1ES3_N6thrust23THRUST_200600_302600_NS6detail15normal_iteratorINS9_10device_ptrIfEEEENS9_16discard_iteratorINS9_11use_defaultEEEf11max_functorIfEfEEDaPvRmT3_T4_T5_mT6_P12ihipStream_tbENKUlT_T0_E_clISt17integral_constantIbLb0EESW_IbLb1EEEEDaSS_ST_EUlSS_E0_NS1_11comp_targetILNS1_3genE9ELNS1_11target_archE1100ELNS1_3gpuE3ELNS1_3repE0EEENS1_30default_config_static_selectorELNS0_4arch9wavefront6targetE1EEEvT1_, .Lfunc_end3276-_ZN7rocprim17ROCPRIM_400000_NS6detail17trampoline_kernelINS0_14default_configENS1_20scan_config_selectorIfEEZZNS1_9scan_implILNS1_25lookback_scan_determinismE0ELb1ELb1ES3_N6thrust23THRUST_200600_302600_NS6detail15normal_iteratorINS9_10device_ptrIfEEEENS9_16discard_iteratorINS9_11use_defaultEEEf11max_functorIfEfEEDaPvRmT3_T4_T5_mT6_P12ihipStream_tbENKUlT_T0_E_clISt17integral_constantIbLb0EESW_IbLb1EEEEDaSS_ST_EUlSS_E0_NS1_11comp_targetILNS1_3genE9ELNS1_11target_archE1100ELNS1_3gpuE3ELNS1_3repE0EEENS1_30default_config_static_selectorELNS0_4arch9wavefront6targetE1EEEvT1_
                                        ; -- End function
	.section	.AMDGPU.csdata,"",@progbits
; Kernel info:
; codeLenInByte = 0
; NumSgprs: 4
; NumVgprs: 0
; NumAgprs: 0
; TotalNumVgprs: 0
; ScratchSize: 0
; MemoryBound: 0
; FloatMode: 240
; IeeeMode: 1
; LDSByteSize: 0 bytes/workgroup (compile time only)
; SGPRBlocks: 0
; VGPRBlocks: 0
; NumSGPRsForWavesPerEU: 4
; NumVGPRsForWavesPerEU: 1
; AccumOffset: 4
; Occupancy: 8
; WaveLimiterHint : 0
; COMPUTE_PGM_RSRC2:SCRATCH_EN: 0
; COMPUTE_PGM_RSRC2:USER_SGPR: 6
; COMPUTE_PGM_RSRC2:TRAP_HANDLER: 0
; COMPUTE_PGM_RSRC2:TGID_X_EN: 1
; COMPUTE_PGM_RSRC2:TGID_Y_EN: 0
; COMPUTE_PGM_RSRC2:TGID_Z_EN: 0
; COMPUTE_PGM_RSRC2:TIDIG_COMP_CNT: 0
; COMPUTE_PGM_RSRC3_GFX90A:ACCUM_OFFSET: 0
; COMPUTE_PGM_RSRC3_GFX90A:TG_SPLIT: 0
	.section	.text._ZN7rocprim17ROCPRIM_400000_NS6detail17trampoline_kernelINS0_14default_configENS1_20scan_config_selectorIfEEZZNS1_9scan_implILNS1_25lookback_scan_determinismE0ELb1ELb1ES3_N6thrust23THRUST_200600_302600_NS6detail15normal_iteratorINS9_10device_ptrIfEEEENS9_16discard_iteratorINS9_11use_defaultEEEf11max_functorIfEfEEDaPvRmT3_T4_T5_mT6_P12ihipStream_tbENKUlT_T0_E_clISt17integral_constantIbLb0EESW_IbLb1EEEEDaSS_ST_EUlSS_E0_NS1_11comp_targetILNS1_3genE8ELNS1_11target_archE1030ELNS1_3gpuE2ELNS1_3repE0EEENS1_30default_config_static_selectorELNS0_4arch9wavefront6targetE1EEEvT1_,"axG",@progbits,_ZN7rocprim17ROCPRIM_400000_NS6detail17trampoline_kernelINS0_14default_configENS1_20scan_config_selectorIfEEZZNS1_9scan_implILNS1_25lookback_scan_determinismE0ELb1ELb1ES3_N6thrust23THRUST_200600_302600_NS6detail15normal_iteratorINS9_10device_ptrIfEEEENS9_16discard_iteratorINS9_11use_defaultEEEf11max_functorIfEfEEDaPvRmT3_T4_T5_mT6_P12ihipStream_tbENKUlT_T0_E_clISt17integral_constantIbLb0EESW_IbLb1EEEEDaSS_ST_EUlSS_E0_NS1_11comp_targetILNS1_3genE8ELNS1_11target_archE1030ELNS1_3gpuE2ELNS1_3repE0EEENS1_30default_config_static_selectorELNS0_4arch9wavefront6targetE1EEEvT1_,comdat
	.protected	_ZN7rocprim17ROCPRIM_400000_NS6detail17trampoline_kernelINS0_14default_configENS1_20scan_config_selectorIfEEZZNS1_9scan_implILNS1_25lookback_scan_determinismE0ELb1ELb1ES3_N6thrust23THRUST_200600_302600_NS6detail15normal_iteratorINS9_10device_ptrIfEEEENS9_16discard_iteratorINS9_11use_defaultEEEf11max_functorIfEfEEDaPvRmT3_T4_T5_mT6_P12ihipStream_tbENKUlT_T0_E_clISt17integral_constantIbLb0EESW_IbLb1EEEEDaSS_ST_EUlSS_E0_NS1_11comp_targetILNS1_3genE8ELNS1_11target_archE1030ELNS1_3gpuE2ELNS1_3repE0EEENS1_30default_config_static_selectorELNS0_4arch9wavefront6targetE1EEEvT1_ ; -- Begin function _ZN7rocprim17ROCPRIM_400000_NS6detail17trampoline_kernelINS0_14default_configENS1_20scan_config_selectorIfEEZZNS1_9scan_implILNS1_25lookback_scan_determinismE0ELb1ELb1ES3_N6thrust23THRUST_200600_302600_NS6detail15normal_iteratorINS9_10device_ptrIfEEEENS9_16discard_iteratorINS9_11use_defaultEEEf11max_functorIfEfEEDaPvRmT3_T4_T5_mT6_P12ihipStream_tbENKUlT_T0_E_clISt17integral_constantIbLb0EESW_IbLb1EEEEDaSS_ST_EUlSS_E0_NS1_11comp_targetILNS1_3genE8ELNS1_11target_archE1030ELNS1_3gpuE2ELNS1_3repE0EEENS1_30default_config_static_selectorELNS0_4arch9wavefront6targetE1EEEvT1_
	.globl	_ZN7rocprim17ROCPRIM_400000_NS6detail17trampoline_kernelINS0_14default_configENS1_20scan_config_selectorIfEEZZNS1_9scan_implILNS1_25lookback_scan_determinismE0ELb1ELb1ES3_N6thrust23THRUST_200600_302600_NS6detail15normal_iteratorINS9_10device_ptrIfEEEENS9_16discard_iteratorINS9_11use_defaultEEEf11max_functorIfEfEEDaPvRmT3_T4_T5_mT6_P12ihipStream_tbENKUlT_T0_E_clISt17integral_constantIbLb0EESW_IbLb1EEEEDaSS_ST_EUlSS_E0_NS1_11comp_targetILNS1_3genE8ELNS1_11target_archE1030ELNS1_3gpuE2ELNS1_3repE0EEENS1_30default_config_static_selectorELNS0_4arch9wavefront6targetE1EEEvT1_
	.p2align	8
	.type	_ZN7rocprim17ROCPRIM_400000_NS6detail17trampoline_kernelINS0_14default_configENS1_20scan_config_selectorIfEEZZNS1_9scan_implILNS1_25lookback_scan_determinismE0ELb1ELb1ES3_N6thrust23THRUST_200600_302600_NS6detail15normal_iteratorINS9_10device_ptrIfEEEENS9_16discard_iteratorINS9_11use_defaultEEEf11max_functorIfEfEEDaPvRmT3_T4_T5_mT6_P12ihipStream_tbENKUlT_T0_E_clISt17integral_constantIbLb0EESW_IbLb1EEEEDaSS_ST_EUlSS_E0_NS1_11comp_targetILNS1_3genE8ELNS1_11target_archE1030ELNS1_3gpuE2ELNS1_3repE0EEENS1_30default_config_static_selectorELNS0_4arch9wavefront6targetE1EEEvT1_,@function
_ZN7rocprim17ROCPRIM_400000_NS6detail17trampoline_kernelINS0_14default_configENS1_20scan_config_selectorIfEEZZNS1_9scan_implILNS1_25lookback_scan_determinismE0ELb1ELb1ES3_N6thrust23THRUST_200600_302600_NS6detail15normal_iteratorINS9_10device_ptrIfEEEENS9_16discard_iteratorINS9_11use_defaultEEEf11max_functorIfEfEEDaPvRmT3_T4_T5_mT6_P12ihipStream_tbENKUlT_T0_E_clISt17integral_constantIbLb0EESW_IbLb1EEEEDaSS_ST_EUlSS_E0_NS1_11comp_targetILNS1_3genE8ELNS1_11target_archE1030ELNS1_3gpuE2ELNS1_3repE0EEENS1_30default_config_static_selectorELNS0_4arch9wavefront6targetE1EEEvT1_: ; @_ZN7rocprim17ROCPRIM_400000_NS6detail17trampoline_kernelINS0_14default_configENS1_20scan_config_selectorIfEEZZNS1_9scan_implILNS1_25lookback_scan_determinismE0ELb1ELb1ES3_N6thrust23THRUST_200600_302600_NS6detail15normal_iteratorINS9_10device_ptrIfEEEENS9_16discard_iteratorINS9_11use_defaultEEEf11max_functorIfEfEEDaPvRmT3_T4_T5_mT6_P12ihipStream_tbENKUlT_T0_E_clISt17integral_constantIbLb0EESW_IbLb1EEEEDaSS_ST_EUlSS_E0_NS1_11comp_targetILNS1_3genE8ELNS1_11target_archE1030ELNS1_3gpuE2ELNS1_3repE0EEENS1_30default_config_static_selectorELNS0_4arch9wavefront6targetE1EEEvT1_
; %bb.0:
	.section	.rodata,"a",@progbits
	.p2align	6, 0x0
	.amdhsa_kernel _ZN7rocprim17ROCPRIM_400000_NS6detail17trampoline_kernelINS0_14default_configENS1_20scan_config_selectorIfEEZZNS1_9scan_implILNS1_25lookback_scan_determinismE0ELb1ELb1ES3_N6thrust23THRUST_200600_302600_NS6detail15normal_iteratorINS9_10device_ptrIfEEEENS9_16discard_iteratorINS9_11use_defaultEEEf11max_functorIfEfEEDaPvRmT3_T4_T5_mT6_P12ihipStream_tbENKUlT_T0_E_clISt17integral_constantIbLb0EESW_IbLb1EEEEDaSS_ST_EUlSS_E0_NS1_11comp_targetILNS1_3genE8ELNS1_11target_archE1030ELNS1_3gpuE2ELNS1_3repE0EEENS1_30default_config_static_selectorELNS0_4arch9wavefront6targetE1EEEvT1_
		.amdhsa_group_segment_fixed_size 0
		.amdhsa_private_segment_fixed_size 0
		.amdhsa_kernarg_size 40
		.amdhsa_user_sgpr_count 6
		.amdhsa_user_sgpr_private_segment_buffer 1
		.amdhsa_user_sgpr_dispatch_ptr 0
		.amdhsa_user_sgpr_queue_ptr 0
		.amdhsa_user_sgpr_kernarg_segment_ptr 1
		.amdhsa_user_sgpr_dispatch_id 0
		.amdhsa_user_sgpr_flat_scratch_init 0
		.amdhsa_user_sgpr_kernarg_preload_length 0
		.amdhsa_user_sgpr_kernarg_preload_offset 0
		.amdhsa_user_sgpr_private_segment_size 0
		.amdhsa_uses_dynamic_stack 0
		.amdhsa_system_sgpr_private_segment_wavefront_offset 0
		.amdhsa_system_sgpr_workgroup_id_x 1
		.amdhsa_system_sgpr_workgroup_id_y 0
		.amdhsa_system_sgpr_workgroup_id_z 0
		.amdhsa_system_sgpr_workgroup_info 0
		.amdhsa_system_vgpr_workitem_id 0
		.amdhsa_next_free_vgpr 1
		.amdhsa_next_free_sgpr 0
		.amdhsa_accum_offset 4
		.amdhsa_reserve_vcc 0
		.amdhsa_reserve_flat_scratch 0
		.amdhsa_float_round_mode_32 0
		.amdhsa_float_round_mode_16_64 0
		.amdhsa_float_denorm_mode_32 3
		.amdhsa_float_denorm_mode_16_64 3
		.amdhsa_dx10_clamp 1
		.amdhsa_ieee_mode 1
		.amdhsa_fp16_overflow 0
		.amdhsa_tg_split 0
		.amdhsa_exception_fp_ieee_invalid_op 0
		.amdhsa_exception_fp_denorm_src 0
		.amdhsa_exception_fp_ieee_div_zero 0
		.amdhsa_exception_fp_ieee_overflow 0
		.amdhsa_exception_fp_ieee_underflow 0
		.amdhsa_exception_fp_ieee_inexact 0
		.amdhsa_exception_int_div_zero 0
	.end_amdhsa_kernel
	.section	.text._ZN7rocprim17ROCPRIM_400000_NS6detail17trampoline_kernelINS0_14default_configENS1_20scan_config_selectorIfEEZZNS1_9scan_implILNS1_25lookback_scan_determinismE0ELb1ELb1ES3_N6thrust23THRUST_200600_302600_NS6detail15normal_iteratorINS9_10device_ptrIfEEEENS9_16discard_iteratorINS9_11use_defaultEEEf11max_functorIfEfEEDaPvRmT3_T4_T5_mT6_P12ihipStream_tbENKUlT_T0_E_clISt17integral_constantIbLb0EESW_IbLb1EEEEDaSS_ST_EUlSS_E0_NS1_11comp_targetILNS1_3genE8ELNS1_11target_archE1030ELNS1_3gpuE2ELNS1_3repE0EEENS1_30default_config_static_selectorELNS0_4arch9wavefront6targetE1EEEvT1_,"axG",@progbits,_ZN7rocprim17ROCPRIM_400000_NS6detail17trampoline_kernelINS0_14default_configENS1_20scan_config_selectorIfEEZZNS1_9scan_implILNS1_25lookback_scan_determinismE0ELb1ELb1ES3_N6thrust23THRUST_200600_302600_NS6detail15normal_iteratorINS9_10device_ptrIfEEEENS9_16discard_iteratorINS9_11use_defaultEEEf11max_functorIfEfEEDaPvRmT3_T4_T5_mT6_P12ihipStream_tbENKUlT_T0_E_clISt17integral_constantIbLb0EESW_IbLb1EEEEDaSS_ST_EUlSS_E0_NS1_11comp_targetILNS1_3genE8ELNS1_11target_archE1030ELNS1_3gpuE2ELNS1_3repE0EEENS1_30default_config_static_selectorELNS0_4arch9wavefront6targetE1EEEvT1_,comdat
.Lfunc_end3277:
	.size	_ZN7rocprim17ROCPRIM_400000_NS6detail17trampoline_kernelINS0_14default_configENS1_20scan_config_selectorIfEEZZNS1_9scan_implILNS1_25lookback_scan_determinismE0ELb1ELb1ES3_N6thrust23THRUST_200600_302600_NS6detail15normal_iteratorINS9_10device_ptrIfEEEENS9_16discard_iteratorINS9_11use_defaultEEEf11max_functorIfEfEEDaPvRmT3_T4_T5_mT6_P12ihipStream_tbENKUlT_T0_E_clISt17integral_constantIbLb0EESW_IbLb1EEEEDaSS_ST_EUlSS_E0_NS1_11comp_targetILNS1_3genE8ELNS1_11target_archE1030ELNS1_3gpuE2ELNS1_3repE0EEENS1_30default_config_static_selectorELNS0_4arch9wavefront6targetE1EEEvT1_, .Lfunc_end3277-_ZN7rocprim17ROCPRIM_400000_NS6detail17trampoline_kernelINS0_14default_configENS1_20scan_config_selectorIfEEZZNS1_9scan_implILNS1_25lookback_scan_determinismE0ELb1ELb1ES3_N6thrust23THRUST_200600_302600_NS6detail15normal_iteratorINS9_10device_ptrIfEEEENS9_16discard_iteratorINS9_11use_defaultEEEf11max_functorIfEfEEDaPvRmT3_T4_T5_mT6_P12ihipStream_tbENKUlT_T0_E_clISt17integral_constantIbLb0EESW_IbLb1EEEEDaSS_ST_EUlSS_E0_NS1_11comp_targetILNS1_3genE8ELNS1_11target_archE1030ELNS1_3gpuE2ELNS1_3repE0EEENS1_30default_config_static_selectorELNS0_4arch9wavefront6targetE1EEEvT1_
                                        ; -- End function
	.section	.AMDGPU.csdata,"",@progbits
; Kernel info:
; codeLenInByte = 0
; NumSgprs: 4
; NumVgprs: 0
; NumAgprs: 0
; TotalNumVgprs: 0
; ScratchSize: 0
; MemoryBound: 0
; FloatMode: 240
; IeeeMode: 1
; LDSByteSize: 0 bytes/workgroup (compile time only)
; SGPRBlocks: 0
; VGPRBlocks: 0
; NumSGPRsForWavesPerEU: 4
; NumVGPRsForWavesPerEU: 1
; AccumOffset: 4
; Occupancy: 8
; WaveLimiterHint : 0
; COMPUTE_PGM_RSRC2:SCRATCH_EN: 0
; COMPUTE_PGM_RSRC2:USER_SGPR: 6
; COMPUTE_PGM_RSRC2:TRAP_HANDLER: 0
; COMPUTE_PGM_RSRC2:TGID_X_EN: 1
; COMPUTE_PGM_RSRC2:TGID_Y_EN: 0
; COMPUTE_PGM_RSRC2:TGID_Z_EN: 0
; COMPUTE_PGM_RSRC2:TIDIG_COMP_CNT: 0
; COMPUTE_PGM_RSRC3_GFX90A:ACCUM_OFFSET: 0
; COMPUTE_PGM_RSRC3_GFX90A:TG_SPLIT: 0
	.section	.text._ZN7rocprim17ROCPRIM_400000_NS6detail17trampoline_kernelINS0_14default_configENS1_20scan_config_selectorIyEEZZNS1_9scan_implILNS1_25lookback_scan_determinismE0ELb0ELb0ES3_N6thrust23THRUST_200600_302600_NS6detail15normal_iteratorINS9_10device_ptrIyEEEENS9_16discard_iteratorINS9_11use_defaultEEEy11max_functorIyEyEEDaPvRmT3_T4_T5_mT6_P12ihipStream_tbENKUlT_T0_E_clISt17integral_constantIbLb0EESX_EEDaSS_ST_EUlSS_E_NS1_11comp_targetILNS1_3genE0ELNS1_11target_archE4294967295ELNS1_3gpuE0ELNS1_3repE0EEENS1_30default_config_static_selectorELNS0_4arch9wavefront6targetE1EEEvT1_,"axG",@progbits,_ZN7rocprim17ROCPRIM_400000_NS6detail17trampoline_kernelINS0_14default_configENS1_20scan_config_selectorIyEEZZNS1_9scan_implILNS1_25lookback_scan_determinismE0ELb0ELb0ES3_N6thrust23THRUST_200600_302600_NS6detail15normal_iteratorINS9_10device_ptrIyEEEENS9_16discard_iteratorINS9_11use_defaultEEEy11max_functorIyEyEEDaPvRmT3_T4_T5_mT6_P12ihipStream_tbENKUlT_T0_E_clISt17integral_constantIbLb0EESX_EEDaSS_ST_EUlSS_E_NS1_11comp_targetILNS1_3genE0ELNS1_11target_archE4294967295ELNS1_3gpuE0ELNS1_3repE0EEENS1_30default_config_static_selectorELNS0_4arch9wavefront6targetE1EEEvT1_,comdat
	.protected	_ZN7rocprim17ROCPRIM_400000_NS6detail17trampoline_kernelINS0_14default_configENS1_20scan_config_selectorIyEEZZNS1_9scan_implILNS1_25lookback_scan_determinismE0ELb0ELb0ES3_N6thrust23THRUST_200600_302600_NS6detail15normal_iteratorINS9_10device_ptrIyEEEENS9_16discard_iteratorINS9_11use_defaultEEEy11max_functorIyEyEEDaPvRmT3_T4_T5_mT6_P12ihipStream_tbENKUlT_T0_E_clISt17integral_constantIbLb0EESX_EEDaSS_ST_EUlSS_E_NS1_11comp_targetILNS1_3genE0ELNS1_11target_archE4294967295ELNS1_3gpuE0ELNS1_3repE0EEENS1_30default_config_static_selectorELNS0_4arch9wavefront6targetE1EEEvT1_ ; -- Begin function _ZN7rocprim17ROCPRIM_400000_NS6detail17trampoline_kernelINS0_14default_configENS1_20scan_config_selectorIyEEZZNS1_9scan_implILNS1_25lookback_scan_determinismE0ELb0ELb0ES3_N6thrust23THRUST_200600_302600_NS6detail15normal_iteratorINS9_10device_ptrIyEEEENS9_16discard_iteratorINS9_11use_defaultEEEy11max_functorIyEyEEDaPvRmT3_T4_T5_mT6_P12ihipStream_tbENKUlT_T0_E_clISt17integral_constantIbLb0EESX_EEDaSS_ST_EUlSS_E_NS1_11comp_targetILNS1_3genE0ELNS1_11target_archE4294967295ELNS1_3gpuE0ELNS1_3repE0EEENS1_30default_config_static_selectorELNS0_4arch9wavefront6targetE1EEEvT1_
	.globl	_ZN7rocprim17ROCPRIM_400000_NS6detail17trampoline_kernelINS0_14default_configENS1_20scan_config_selectorIyEEZZNS1_9scan_implILNS1_25lookback_scan_determinismE0ELb0ELb0ES3_N6thrust23THRUST_200600_302600_NS6detail15normal_iteratorINS9_10device_ptrIyEEEENS9_16discard_iteratorINS9_11use_defaultEEEy11max_functorIyEyEEDaPvRmT3_T4_T5_mT6_P12ihipStream_tbENKUlT_T0_E_clISt17integral_constantIbLb0EESX_EEDaSS_ST_EUlSS_E_NS1_11comp_targetILNS1_3genE0ELNS1_11target_archE4294967295ELNS1_3gpuE0ELNS1_3repE0EEENS1_30default_config_static_selectorELNS0_4arch9wavefront6targetE1EEEvT1_
	.p2align	8
	.type	_ZN7rocprim17ROCPRIM_400000_NS6detail17trampoline_kernelINS0_14default_configENS1_20scan_config_selectorIyEEZZNS1_9scan_implILNS1_25lookback_scan_determinismE0ELb0ELb0ES3_N6thrust23THRUST_200600_302600_NS6detail15normal_iteratorINS9_10device_ptrIyEEEENS9_16discard_iteratorINS9_11use_defaultEEEy11max_functorIyEyEEDaPvRmT3_T4_T5_mT6_P12ihipStream_tbENKUlT_T0_E_clISt17integral_constantIbLb0EESX_EEDaSS_ST_EUlSS_E_NS1_11comp_targetILNS1_3genE0ELNS1_11target_archE4294967295ELNS1_3gpuE0ELNS1_3repE0EEENS1_30default_config_static_selectorELNS0_4arch9wavefront6targetE1EEEvT1_,@function
_ZN7rocprim17ROCPRIM_400000_NS6detail17trampoline_kernelINS0_14default_configENS1_20scan_config_selectorIyEEZZNS1_9scan_implILNS1_25lookback_scan_determinismE0ELb0ELb0ES3_N6thrust23THRUST_200600_302600_NS6detail15normal_iteratorINS9_10device_ptrIyEEEENS9_16discard_iteratorINS9_11use_defaultEEEy11max_functorIyEyEEDaPvRmT3_T4_T5_mT6_P12ihipStream_tbENKUlT_T0_E_clISt17integral_constantIbLb0EESX_EEDaSS_ST_EUlSS_E_NS1_11comp_targetILNS1_3genE0ELNS1_11target_archE4294967295ELNS1_3gpuE0ELNS1_3repE0EEENS1_30default_config_static_selectorELNS0_4arch9wavefront6targetE1EEEvT1_: ; @_ZN7rocprim17ROCPRIM_400000_NS6detail17trampoline_kernelINS0_14default_configENS1_20scan_config_selectorIyEEZZNS1_9scan_implILNS1_25lookback_scan_determinismE0ELb0ELb0ES3_N6thrust23THRUST_200600_302600_NS6detail15normal_iteratorINS9_10device_ptrIyEEEENS9_16discard_iteratorINS9_11use_defaultEEEy11max_functorIyEyEEDaPvRmT3_T4_T5_mT6_P12ihipStream_tbENKUlT_T0_E_clISt17integral_constantIbLb0EESX_EEDaSS_ST_EUlSS_E_NS1_11comp_targetILNS1_3genE0ELNS1_11target_archE4294967295ELNS1_3gpuE0ELNS1_3repE0EEENS1_30default_config_static_selectorELNS0_4arch9wavefront6targetE1EEEvT1_
; %bb.0:
	.section	.rodata,"a",@progbits
	.p2align	6, 0x0
	.amdhsa_kernel _ZN7rocprim17ROCPRIM_400000_NS6detail17trampoline_kernelINS0_14default_configENS1_20scan_config_selectorIyEEZZNS1_9scan_implILNS1_25lookback_scan_determinismE0ELb0ELb0ES3_N6thrust23THRUST_200600_302600_NS6detail15normal_iteratorINS9_10device_ptrIyEEEENS9_16discard_iteratorINS9_11use_defaultEEEy11max_functorIyEyEEDaPvRmT3_T4_T5_mT6_P12ihipStream_tbENKUlT_T0_E_clISt17integral_constantIbLb0EESX_EEDaSS_ST_EUlSS_E_NS1_11comp_targetILNS1_3genE0ELNS1_11target_archE4294967295ELNS1_3gpuE0ELNS1_3repE0EEENS1_30default_config_static_selectorELNS0_4arch9wavefront6targetE1EEEvT1_
		.amdhsa_group_segment_fixed_size 0
		.amdhsa_private_segment_fixed_size 0
		.amdhsa_kernarg_size 112
		.amdhsa_user_sgpr_count 6
		.amdhsa_user_sgpr_private_segment_buffer 1
		.amdhsa_user_sgpr_dispatch_ptr 0
		.amdhsa_user_sgpr_queue_ptr 0
		.amdhsa_user_sgpr_kernarg_segment_ptr 1
		.amdhsa_user_sgpr_dispatch_id 0
		.amdhsa_user_sgpr_flat_scratch_init 0
		.amdhsa_user_sgpr_kernarg_preload_length 0
		.amdhsa_user_sgpr_kernarg_preload_offset 0
		.amdhsa_user_sgpr_private_segment_size 0
		.amdhsa_uses_dynamic_stack 0
		.amdhsa_system_sgpr_private_segment_wavefront_offset 0
		.amdhsa_system_sgpr_workgroup_id_x 1
		.amdhsa_system_sgpr_workgroup_id_y 0
		.amdhsa_system_sgpr_workgroup_id_z 0
		.amdhsa_system_sgpr_workgroup_info 0
		.amdhsa_system_vgpr_workitem_id 0
		.amdhsa_next_free_vgpr 1
		.amdhsa_next_free_sgpr 0
		.amdhsa_accum_offset 4
		.amdhsa_reserve_vcc 0
		.amdhsa_reserve_flat_scratch 0
		.amdhsa_float_round_mode_32 0
		.amdhsa_float_round_mode_16_64 0
		.amdhsa_float_denorm_mode_32 3
		.amdhsa_float_denorm_mode_16_64 3
		.amdhsa_dx10_clamp 1
		.amdhsa_ieee_mode 1
		.amdhsa_fp16_overflow 0
		.amdhsa_tg_split 0
		.amdhsa_exception_fp_ieee_invalid_op 0
		.amdhsa_exception_fp_denorm_src 0
		.amdhsa_exception_fp_ieee_div_zero 0
		.amdhsa_exception_fp_ieee_overflow 0
		.amdhsa_exception_fp_ieee_underflow 0
		.amdhsa_exception_fp_ieee_inexact 0
		.amdhsa_exception_int_div_zero 0
	.end_amdhsa_kernel
	.section	.text._ZN7rocprim17ROCPRIM_400000_NS6detail17trampoline_kernelINS0_14default_configENS1_20scan_config_selectorIyEEZZNS1_9scan_implILNS1_25lookback_scan_determinismE0ELb0ELb0ES3_N6thrust23THRUST_200600_302600_NS6detail15normal_iteratorINS9_10device_ptrIyEEEENS9_16discard_iteratorINS9_11use_defaultEEEy11max_functorIyEyEEDaPvRmT3_T4_T5_mT6_P12ihipStream_tbENKUlT_T0_E_clISt17integral_constantIbLb0EESX_EEDaSS_ST_EUlSS_E_NS1_11comp_targetILNS1_3genE0ELNS1_11target_archE4294967295ELNS1_3gpuE0ELNS1_3repE0EEENS1_30default_config_static_selectorELNS0_4arch9wavefront6targetE1EEEvT1_,"axG",@progbits,_ZN7rocprim17ROCPRIM_400000_NS6detail17trampoline_kernelINS0_14default_configENS1_20scan_config_selectorIyEEZZNS1_9scan_implILNS1_25lookback_scan_determinismE0ELb0ELb0ES3_N6thrust23THRUST_200600_302600_NS6detail15normal_iteratorINS9_10device_ptrIyEEEENS9_16discard_iteratorINS9_11use_defaultEEEy11max_functorIyEyEEDaPvRmT3_T4_T5_mT6_P12ihipStream_tbENKUlT_T0_E_clISt17integral_constantIbLb0EESX_EEDaSS_ST_EUlSS_E_NS1_11comp_targetILNS1_3genE0ELNS1_11target_archE4294967295ELNS1_3gpuE0ELNS1_3repE0EEENS1_30default_config_static_selectorELNS0_4arch9wavefront6targetE1EEEvT1_,comdat
.Lfunc_end3278:
	.size	_ZN7rocprim17ROCPRIM_400000_NS6detail17trampoline_kernelINS0_14default_configENS1_20scan_config_selectorIyEEZZNS1_9scan_implILNS1_25lookback_scan_determinismE0ELb0ELb0ES3_N6thrust23THRUST_200600_302600_NS6detail15normal_iteratorINS9_10device_ptrIyEEEENS9_16discard_iteratorINS9_11use_defaultEEEy11max_functorIyEyEEDaPvRmT3_T4_T5_mT6_P12ihipStream_tbENKUlT_T0_E_clISt17integral_constantIbLb0EESX_EEDaSS_ST_EUlSS_E_NS1_11comp_targetILNS1_3genE0ELNS1_11target_archE4294967295ELNS1_3gpuE0ELNS1_3repE0EEENS1_30default_config_static_selectorELNS0_4arch9wavefront6targetE1EEEvT1_, .Lfunc_end3278-_ZN7rocprim17ROCPRIM_400000_NS6detail17trampoline_kernelINS0_14default_configENS1_20scan_config_selectorIyEEZZNS1_9scan_implILNS1_25lookback_scan_determinismE0ELb0ELb0ES3_N6thrust23THRUST_200600_302600_NS6detail15normal_iteratorINS9_10device_ptrIyEEEENS9_16discard_iteratorINS9_11use_defaultEEEy11max_functorIyEyEEDaPvRmT3_T4_T5_mT6_P12ihipStream_tbENKUlT_T0_E_clISt17integral_constantIbLb0EESX_EEDaSS_ST_EUlSS_E_NS1_11comp_targetILNS1_3genE0ELNS1_11target_archE4294967295ELNS1_3gpuE0ELNS1_3repE0EEENS1_30default_config_static_selectorELNS0_4arch9wavefront6targetE1EEEvT1_
                                        ; -- End function
	.section	.AMDGPU.csdata,"",@progbits
; Kernel info:
; codeLenInByte = 0
; NumSgprs: 4
; NumVgprs: 0
; NumAgprs: 0
; TotalNumVgprs: 0
; ScratchSize: 0
; MemoryBound: 0
; FloatMode: 240
; IeeeMode: 1
; LDSByteSize: 0 bytes/workgroup (compile time only)
; SGPRBlocks: 0
; VGPRBlocks: 0
; NumSGPRsForWavesPerEU: 4
; NumVGPRsForWavesPerEU: 1
; AccumOffset: 4
; Occupancy: 8
; WaveLimiterHint : 0
; COMPUTE_PGM_RSRC2:SCRATCH_EN: 0
; COMPUTE_PGM_RSRC2:USER_SGPR: 6
; COMPUTE_PGM_RSRC2:TRAP_HANDLER: 0
; COMPUTE_PGM_RSRC2:TGID_X_EN: 1
; COMPUTE_PGM_RSRC2:TGID_Y_EN: 0
; COMPUTE_PGM_RSRC2:TGID_Z_EN: 0
; COMPUTE_PGM_RSRC2:TIDIG_COMP_CNT: 0
; COMPUTE_PGM_RSRC3_GFX90A:ACCUM_OFFSET: 0
; COMPUTE_PGM_RSRC3_GFX90A:TG_SPLIT: 0
	.section	.text._ZN7rocprim17ROCPRIM_400000_NS6detail17trampoline_kernelINS0_14default_configENS1_20scan_config_selectorIyEEZZNS1_9scan_implILNS1_25lookback_scan_determinismE0ELb0ELb0ES3_N6thrust23THRUST_200600_302600_NS6detail15normal_iteratorINS9_10device_ptrIyEEEENS9_16discard_iteratorINS9_11use_defaultEEEy11max_functorIyEyEEDaPvRmT3_T4_T5_mT6_P12ihipStream_tbENKUlT_T0_E_clISt17integral_constantIbLb0EESX_EEDaSS_ST_EUlSS_E_NS1_11comp_targetILNS1_3genE5ELNS1_11target_archE942ELNS1_3gpuE9ELNS1_3repE0EEENS1_30default_config_static_selectorELNS0_4arch9wavefront6targetE1EEEvT1_,"axG",@progbits,_ZN7rocprim17ROCPRIM_400000_NS6detail17trampoline_kernelINS0_14default_configENS1_20scan_config_selectorIyEEZZNS1_9scan_implILNS1_25lookback_scan_determinismE0ELb0ELb0ES3_N6thrust23THRUST_200600_302600_NS6detail15normal_iteratorINS9_10device_ptrIyEEEENS9_16discard_iteratorINS9_11use_defaultEEEy11max_functorIyEyEEDaPvRmT3_T4_T5_mT6_P12ihipStream_tbENKUlT_T0_E_clISt17integral_constantIbLb0EESX_EEDaSS_ST_EUlSS_E_NS1_11comp_targetILNS1_3genE5ELNS1_11target_archE942ELNS1_3gpuE9ELNS1_3repE0EEENS1_30default_config_static_selectorELNS0_4arch9wavefront6targetE1EEEvT1_,comdat
	.protected	_ZN7rocprim17ROCPRIM_400000_NS6detail17trampoline_kernelINS0_14default_configENS1_20scan_config_selectorIyEEZZNS1_9scan_implILNS1_25lookback_scan_determinismE0ELb0ELb0ES3_N6thrust23THRUST_200600_302600_NS6detail15normal_iteratorINS9_10device_ptrIyEEEENS9_16discard_iteratorINS9_11use_defaultEEEy11max_functorIyEyEEDaPvRmT3_T4_T5_mT6_P12ihipStream_tbENKUlT_T0_E_clISt17integral_constantIbLb0EESX_EEDaSS_ST_EUlSS_E_NS1_11comp_targetILNS1_3genE5ELNS1_11target_archE942ELNS1_3gpuE9ELNS1_3repE0EEENS1_30default_config_static_selectorELNS0_4arch9wavefront6targetE1EEEvT1_ ; -- Begin function _ZN7rocprim17ROCPRIM_400000_NS6detail17trampoline_kernelINS0_14default_configENS1_20scan_config_selectorIyEEZZNS1_9scan_implILNS1_25lookback_scan_determinismE0ELb0ELb0ES3_N6thrust23THRUST_200600_302600_NS6detail15normal_iteratorINS9_10device_ptrIyEEEENS9_16discard_iteratorINS9_11use_defaultEEEy11max_functorIyEyEEDaPvRmT3_T4_T5_mT6_P12ihipStream_tbENKUlT_T0_E_clISt17integral_constantIbLb0EESX_EEDaSS_ST_EUlSS_E_NS1_11comp_targetILNS1_3genE5ELNS1_11target_archE942ELNS1_3gpuE9ELNS1_3repE0EEENS1_30default_config_static_selectorELNS0_4arch9wavefront6targetE1EEEvT1_
	.globl	_ZN7rocprim17ROCPRIM_400000_NS6detail17trampoline_kernelINS0_14default_configENS1_20scan_config_selectorIyEEZZNS1_9scan_implILNS1_25lookback_scan_determinismE0ELb0ELb0ES3_N6thrust23THRUST_200600_302600_NS6detail15normal_iteratorINS9_10device_ptrIyEEEENS9_16discard_iteratorINS9_11use_defaultEEEy11max_functorIyEyEEDaPvRmT3_T4_T5_mT6_P12ihipStream_tbENKUlT_T0_E_clISt17integral_constantIbLb0EESX_EEDaSS_ST_EUlSS_E_NS1_11comp_targetILNS1_3genE5ELNS1_11target_archE942ELNS1_3gpuE9ELNS1_3repE0EEENS1_30default_config_static_selectorELNS0_4arch9wavefront6targetE1EEEvT1_
	.p2align	8
	.type	_ZN7rocprim17ROCPRIM_400000_NS6detail17trampoline_kernelINS0_14default_configENS1_20scan_config_selectorIyEEZZNS1_9scan_implILNS1_25lookback_scan_determinismE0ELb0ELb0ES3_N6thrust23THRUST_200600_302600_NS6detail15normal_iteratorINS9_10device_ptrIyEEEENS9_16discard_iteratorINS9_11use_defaultEEEy11max_functorIyEyEEDaPvRmT3_T4_T5_mT6_P12ihipStream_tbENKUlT_T0_E_clISt17integral_constantIbLb0EESX_EEDaSS_ST_EUlSS_E_NS1_11comp_targetILNS1_3genE5ELNS1_11target_archE942ELNS1_3gpuE9ELNS1_3repE0EEENS1_30default_config_static_selectorELNS0_4arch9wavefront6targetE1EEEvT1_,@function
_ZN7rocprim17ROCPRIM_400000_NS6detail17trampoline_kernelINS0_14default_configENS1_20scan_config_selectorIyEEZZNS1_9scan_implILNS1_25lookback_scan_determinismE0ELb0ELb0ES3_N6thrust23THRUST_200600_302600_NS6detail15normal_iteratorINS9_10device_ptrIyEEEENS9_16discard_iteratorINS9_11use_defaultEEEy11max_functorIyEyEEDaPvRmT3_T4_T5_mT6_P12ihipStream_tbENKUlT_T0_E_clISt17integral_constantIbLb0EESX_EEDaSS_ST_EUlSS_E_NS1_11comp_targetILNS1_3genE5ELNS1_11target_archE942ELNS1_3gpuE9ELNS1_3repE0EEENS1_30default_config_static_selectorELNS0_4arch9wavefront6targetE1EEEvT1_: ; @_ZN7rocprim17ROCPRIM_400000_NS6detail17trampoline_kernelINS0_14default_configENS1_20scan_config_selectorIyEEZZNS1_9scan_implILNS1_25lookback_scan_determinismE0ELb0ELb0ES3_N6thrust23THRUST_200600_302600_NS6detail15normal_iteratorINS9_10device_ptrIyEEEENS9_16discard_iteratorINS9_11use_defaultEEEy11max_functorIyEyEEDaPvRmT3_T4_T5_mT6_P12ihipStream_tbENKUlT_T0_E_clISt17integral_constantIbLb0EESX_EEDaSS_ST_EUlSS_E_NS1_11comp_targetILNS1_3genE5ELNS1_11target_archE942ELNS1_3gpuE9ELNS1_3repE0EEENS1_30default_config_static_selectorELNS0_4arch9wavefront6targetE1EEEvT1_
; %bb.0:
	.section	.rodata,"a",@progbits
	.p2align	6, 0x0
	.amdhsa_kernel _ZN7rocprim17ROCPRIM_400000_NS6detail17trampoline_kernelINS0_14default_configENS1_20scan_config_selectorIyEEZZNS1_9scan_implILNS1_25lookback_scan_determinismE0ELb0ELb0ES3_N6thrust23THRUST_200600_302600_NS6detail15normal_iteratorINS9_10device_ptrIyEEEENS9_16discard_iteratorINS9_11use_defaultEEEy11max_functorIyEyEEDaPvRmT3_T4_T5_mT6_P12ihipStream_tbENKUlT_T0_E_clISt17integral_constantIbLb0EESX_EEDaSS_ST_EUlSS_E_NS1_11comp_targetILNS1_3genE5ELNS1_11target_archE942ELNS1_3gpuE9ELNS1_3repE0EEENS1_30default_config_static_selectorELNS0_4arch9wavefront6targetE1EEEvT1_
		.amdhsa_group_segment_fixed_size 0
		.amdhsa_private_segment_fixed_size 0
		.amdhsa_kernarg_size 112
		.amdhsa_user_sgpr_count 6
		.amdhsa_user_sgpr_private_segment_buffer 1
		.amdhsa_user_sgpr_dispatch_ptr 0
		.amdhsa_user_sgpr_queue_ptr 0
		.amdhsa_user_sgpr_kernarg_segment_ptr 1
		.amdhsa_user_sgpr_dispatch_id 0
		.amdhsa_user_sgpr_flat_scratch_init 0
		.amdhsa_user_sgpr_kernarg_preload_length 0
		.amdhsa_user_sgpr_kernarg_preload_offset 0
		.amdhsa_user_sgpr_private_segment_size 0
		.amdhsa_uses_dynamic_stack 0
		.amdhsa_system_sgpr_private_segment_wavefront_offset 0
		.amdhsa_system_sgpr_workgroup_id_x 1
		.amdhsa_system_sgpr_workgroup_id_y 0
		.amdhsa_system_sgpr_workgroup_id_z 0
		.amdhsa_system_sgpr_workgroup_info 0
		.amdhsa_system_vgpr_workitem_id 0
		.amdhsa_next_free_vgpr 1
		.amdhsa_next_free_sgpr 0
		.amdhsa_accum_offset 4
		.amdhsa_reserve_vcc 0
		.amdhsa_reserve_flat_scratch 0
		.amdhsa_float_round_mode_32 0
		.amdhsa_float_round_mode_16_64 0
		.amdhsa_float_denorm_mode_32 3
		.amdhsa_float_denorm_mode_16_64 3
		.amdhsa_dx10_clamp 1
		.amdhsa_ieee_mode 1
		.amdhsa_fp16_overflow 0
		.amdhsa_tg_split 0
		.amdhsa_exception_fp_ieee_invalid_op 0
		.amdhsa_exception_fp_denorm_src 0
		.amdhsa_exception_fp_ieee_div_zero 0
		.amdhsa_exception_fp_ieee_overflow 0
		.amdhsa_exception_fp_ieee_underflow 0
		.amdhsa_exception_fp_ieee_inexact 0
		.amdhsa_exception_int_div_zero 0
	.end_amdhsa_kernel
	.section	.text._ZN7rocprim17ROCPRIM_400000_NS6detail17trampoline_kernelINS0_14default_configENS1_20scan_config_selectorIyEEZZNS1_9scan_implILNS1_25lookback_scan_determinismE0ELb0ELb0ES3_N6thrust23THRUST_200600_302600_NS6detail15normal_iteratorINS9_10device_ptrIyEEEENS9_16discard_iteratorINS9_11use_defaultEEEy11max_functorIyEyEEDaPvRmT3_T4_T5_mT6_P12ihipStream_tbENKUlT_T0_E_clISt17integral_constantIbLb0EESX_EEDaSS_ST_EUlSS_E_NS1_11comp_targetILNS1_3genE5ELNS1_11target_archE942ELNS1_3gpuE9ELNS1_3repE0EEENS1_30default_config_static_selectorELNS0_4arch9wavefront6targetE1EEEvT1_,"axG",@progbits,_ZN7rocprim17ROCPRIM_400000_NS6detail17trampoline_kernelINS0_14default_configENS1_20scan_config_selectorIyEEZZNS1_9scan_implILNS1_25lookback_scan_determinismE0ELb0ELb0ES3_N6thrust23THRUST_200600_302600_NS6detail15normal_iteratorINS9_10device_ptrIyEEEENS9_16discard_iteratorINS9_11use_defaultEEEy11max_functorIyEyEEDaPvRmT3_T4_T5_mT6_P12ihipStream_tbENKUlT_T0_E_clISt17integral_constantIbLb0EESX_EEDaSS_ST_EUlSS_E_NS1_11comp_targetILNS1_3genE5ELNS1_11target_archE942ELNS1_3gpuE9ELNS1_3repE0EEENS1_30default_config_static_selectorELNS0_4arch9wavefront6targetE1EEEvT1_,comdat
.Lfunc_end3279:
	.size	_ZN7rocprim17ROCPRIM_400000_NS6detail17trampoline_kernelINS0_14default_configENS1_20scan_config_selectorIyEEZZNS1_9scan_implILNS1_25lookback_scan_determinismE0ELb0ELb0ES3_N6thrust23THRUST_200600_302600_NS6detail15normal_iteratorINS9_10device_ptrIyEEEENS9_16discard_iteratorINS9_11use_defaultEEEy11max_functorIyEyEEDaPvRmT3_T4_T5_mT6_P12ihipStream_tbENKUlT_T0_E_clISt17integral_constantIbLb0EESX_EEDaSS_ST_EUlSS_E_NS1_11comp_targetILNS1_3genE5ELNS1_11target_archE942ELNS1_3gpuE9ELNS1_3repE0EEENS1_30default_config_static_selectorELNS0_4arch9wavefront6targetE1EEEvT1_, .Lfunc_end3279-_ZN7rocprim17ROCPRIM_400000_NS6detail17trampoline_kernelINS0_14default_configENS1_20scan_config_selectorIyEEZZNS1_9scan_implILNS1_25lookback_scan_determinismE0ELb0ELb0ES3_N6thrust23THRUST_200600_302600_NS6detail15normal_iteratorINS9_10device_ptrIyEEEENS9_16discard_iteratorINS9_11use_defaultEEEy11max_functorIyEyEEDaPvRmT3_T4_T5_mT6_P12ihipStream_tbENKUlT_T0_E_clISt17integral_constantIbLb0EESX_EEDaSS_ST_EUlSS_E_NS1_11comp_targetILNS1_3genE5ELNS1_11target_archE942ELNS1_3gpuE9ELNS1_3repE0EEENS1_30default_config_static_selectorELNS0_4arch9wavefront6targetE1EEEvT1_
                                        ; -- End function
	.section	.AMDGPU.csdata,"",@progbits
; Kernel info:
; codeLenInByte = 0
; NumSgprs: 4
; NumVgprs: 0
; NumAgprs: 0
; TotalNumVgprs: 0
; ScratchSize: 0
; MemoryBound: 0
; FloatMode: 240
; IeeeMode: 1
; LDSByteSize: 0 bytes/workgroup (compile time only)
; SGPRBlocks: 0
; VGPRBlocks: 0
; NumSGPRsForWavesPerEU: 4
; NumVGPRsForWavesPerEU: 1
; AccumOffset: 4
; Occupancy: 8
; WaveLimiterHint : 0
; COMPUTE_PGM_RSRC2:SCRATCH_EN: 0
; COMPUTE_PGM_RSRC2:USER_SGPR: 6
; COMPUTE_PGM_RSRC2:TRAP_HANDLER: 0
; COMPUTE_PGM_RSRC2:TGID_X_EN: 1
; COMPUTE_PGM_RSRC2:TGID_Y_EN: 0
; COMPUTE_PGM_RSRC2:TGID_Z_EN: 0
; COMPUTE_PGM_RSRC2:TIDIG_COMP_CNT: 0
; COMPUTE_PGM_RSRC3_GFX90A:ACCUM_OFFSET: 0
; COMPUTE_PGM_RSRC3_GFX90A:TG_SPLIT: 0
	.section	.text._ZN7rocprim17ROCPRIM_400000_NS6detail17trampoline_kernelINS0_14default_configENS1_20scan_config_selectorIyEEZZNS1_9scan_implILNS1_25lookback_scan_determinismE0ELb0ELb0ES3_N6thrust23THRUST_200600_302600_NS6detail15normal_iteratorINS9_10device_ptrIyEEEENS9_16discard_iteratorINS9_11use_defaultEEEy11max_functorIyEyEEDaPvRmT3_T4_T5_mT6_P12ihipStream_tbENKUlT_T0_E_clISt17integral_constantIbLb0EESX_EEDaSS_ST_EUlSS_E_NS1_11comp_targetILNS1_3genE4ELNS1_11target_archE910ELNS1_3gpuE8ELNS1_3repE0EEENS1_30default_config_static_selectorELNS0_4arch9wavefront6targetE1EEEvT1_,"axG",@progbits,_ZN7rocprim17ROCPRIM_400000_NS6detail17trampoline_kernelINS0_14default_configENS1_20scan_config_selectorIyEEZZNS1_9scan_implILNS1_25lookback_scan_determinismE0ELb0ELb0ES3_N6thrust23THRUST_200600_302600_NS6detail15normal_iteratorINS9_10device_ptrIyEEEENS9_16discard_iteratorINS9_11use_defaultEEEy11max_functorIyEyEEDaPvRmT3_T4_T5_mT6_P12ihipStream_tbENKUlT_T0_E_clISt17integral_constantIbLb0EESX_EEDaSS_ST_EUlSS_E_NS1_11comp_targetILNS1_3genE4ELNS1_11target_archE910ELNS1_3gpuE8ELNS1_3repE0EEENS1_30default_config_static_selectorELNS0_4arch9wavefront6targetE1EEEvT1_,comdat
	.protected	_ZN7rocprim17ROCPRIM_400000_NS6detail17trampoline_kernelINS0_14default_configENS1_20scan_config_selectorIyEEZZNS1_9scan_implILNS1_25lookback_scan_determinismE0ELb0ELb0ES3_N6thrust23THRUST_200600_302600_NS6detail15normal_iteratorINS9_10device_ptrIyEEEENS9_16discard_iteratorINS9_11use_defaultEEEy11max_functorIyEyEEDaPvRmT3_T4_T5_mT6_P12ihipStream_tbENKUlT_T0_E_clISt17integral_constantIbLb0EESX_EEDaSS_ST_EUlSS_E_NS1_11comp_targetILNS1_3genE4ELNS1_11target_archE910ELNS1_3gpuE8ELNS1_3repE0EEENS1_30default_config_static_selectorELNS0_4arch9wavefront6targetE1EEEvT1_ ; -- Begin function _ZN7rocprim17ROCPRIM_400000_NS6detail17trampoline_kernelINS0_14default_configENS1_20scan_config_selectorIyEEZZNS1_9scan_implILNS1_25lookback_scan_determinismE0ELb0ELb0ES3_N6thrust23THRUST_200600_302600_NS6detail15normal_iteratorINS9_10device_ptrIyEEEENS9_16discard_iteratorINS9_11use_defaultEEEy11max_functorIyEyEEDaPvRmT3_T4_T5_mT6_P12ihipStream_tbENKUlT_T0_E_clISt17integral_constantIbLb0EESX_EEDaSS_ST_EUlSS_E_NS1_11comp_targetILNS1_3genE4ELNS1_11target_archE910ELNS1_3gpuE8ELNS1_3repE0EEENS1_30default_config_static_selectorELNS0_4arch9wavefront6targetE1EEEvT1_
	.globl	_ZN7rocprim17ROCPRIM_400000_NS6detail17trampoline_kernelINS0_14default_configENS1_20scan_config_selectorIyEEZZNS1_9scan_implILNS1_25lookback_scan_determinismE0ELb0ELb0ES3_N6thrust23THRUST_200600_302600_NS6detail15normal_iteratorINS9_10device_ptrIyEEEENS9_16discard_iteratorINS9_11use_defaultEEEy11max_functorIyEyEEDaPvRmT3_T4_T5_mT6_P12ihipStream_tbENKUlT_T0_E_clISt17integral_constantIbLb0EESX_EEDaSS_ST_EUlSS_E_NS1_11comp_targetILNS1_3genE4ELNS1_11target_archE910ELNS1_3gpuE8ELNS1_3repE0EEENS1_30default_config_static_selectorELNS0_4arch9wavefront6targetE1EEEvT1_
	.p2align	8
	.type	_ZN7rocprim17ROCPRIM_400000_NS6detail17trampoline_kernelINS0_14default_configENS1_20scan_config_selectorIyEEZZNS1_9scan_implILNS1_25lookback_scan_determinismE0ELb0ELb0ES3_N6thrust23THRUST_200600_302600_NS6detail15normal_iteratorINS9_10device_ptrIyEEEENS9_16discard_iteratorINS9_11use_defaultEEEy11max_functorIyEyEEDaPvRmT3_T4_T5_mT6_P12ihipStream_tbENKUlT_T0_E_clISt17integral_constantIbLb0EESX_EEDaSS_ST_EUlSS_E_NS1_11comp_targetILNS1_3genE4ELNS1_11target_archE910ELNS1_3gpuE8ELNS1_3repE0EEENS1_30default_config_static_selectorELNS0_4arch9wavefront6targetE1EEEvT1_,@function
_ZN7rocprim17ROCPRIM_400000_NS6detail17trampoline_kernelINS0_14default_configENS1_20scan_config_selectorIyEEZZNS1_9scan_implILNS1_25lookback_scan_determinismE0ELb0ELb0ES3_N6thrust23THRUST_200600_302600_NS6detail15normal_iteratorINS9_10device_ptrIyEEEENS9_16discard_iteratorINS9_11use_defaultEEEy11max_functorIyEyEEDaPvRmT3_T4_T5_mT6_P12ihipStream_tbENKUlT_T0_E_clISt17integral_constantIbLb0EESX_EEDaSS_ST_EUlSS_E_NS1_11comp_targetILNS1_3genE4ELNS1_11target_archE910ELNS1_3gpuE8ELNS1_3repE0EEENS1_30default_config_static_selectorELNS0_4arch9wavefront6targetE1EEEvT1_: ; @_ZN7rocprim17ROCPRIM_400000_NS6detail17trampoline_kernelINS0_14default_configENS1_20scan_config_selectorIyEEZZNS1_9scan_implILNS1_25lookback_scan_determinismE0ELb0ELb0ES3_N6thrust23THRUST_200600_302600_NS6detail15normal_iteratorINS9_10device_ptrIyEEEENS9_16discard_iteratorINS9_11use_defaultEEEy11max_functorIyEyEEDaPvRmT3_T4_T5_mT6_P12ihipStream_tbENKUlT_T0_E_clISt17integral_constantIbLb0EESX_EEDaSS_ST_EUlSS_E_NS1_11comp_targetILNS1_3genE4ELNS1_11target_archE910ELNS1_3gpuE8ELNS1_3repE0EEENS1_30default_config_static_selectorELNS0_4arch9wavefront6targetE1EEEvT1_
; %bb.0:
	s_load_dwordx4 s[0:3], s[4:5], 0x0
	s_load_dwordx2 s[8:9], s[4:5], 0x20
	s_load_dword s7, s[4:5], 0x40
	v_lshlrev_b32_e32 v1, 3, v0
	s_waitcnt lgkmcnt(0)
	s_lshl_b64 s[2:3], s[2:3], 3
	s_add_u32 s2, s0, s2
	s_addc_u32 s3, s1, s3
	s_add_i32 s7, s7, -1
	s_mul_i32 s10, s7, 0x380
	s_sub_u32 s22, s8, s10
	s_subb_u32 s23, s9, 0
	s_mul_i32 s0, s6, 0x380
	s_mov_b32 s1, 0
	s_cmp_lg_u32 s6, s7
	s_cselect_b64 s[16:17], -1, 0
	s_lshl_b64 s[0:1], s[0:1], 3
	s_add_u32 s0, s2, s0
	s_addc_u32 s1, s3, s1
	s_mov_b64 s[2:3], -1
	s_and_b64 vcc, exec, s[16:17]
	s_cbranch_vccz .LBB3280_2
; %bb.1:
	v_mov_b32_e32 v3, s1
	v_add_co_u32_e32 v2, vcc, s0, v1
	v_addc_co_u32_e32 v3, vcc, 0, v3, vcc
	flat_load_dwordx2 v[4:5], v[2:3]
	flat_load_dwordx2 v[6:7], v[2:3] offset:1024
	flat_load_dwordx2 v[8:9], v[2:3] offset:2048
	;; [unrolled: 1-line block ×3, first 2 shown]
	v_add_co_u32_e32 v2, vcc, 0x1000, v2
	v_addc_co_u32_e32 v3, vcc, 0, v3, vcc
	flat_load_dwordx2 v[12:13], v[2:3]
	flat_load_dwordx2 v[14:15], v[2:3] offset:1024
	flat_load_dwordx2 v[16:17], v[2:3] offset:2048
	s_mov_b64 s[2:3], 0
	s_waitcnt vmcnt(0) lgkmcnt(0)
	ds_write2st64_b64 v1, v[4:5], v[6:7] offset1:2
	ds_write2st64_b64 v1, v[8:9], v[10:11] offset0:4 offset1:6
	ds_write2st64_b64 v1, v[12:13], v[14:15] offset0:8 offset1:10
	ds_write_b64 v1, v[16:17] offset:6144
	s_waitcnt lgkmcnt(0)
	s_barrier
.LBB3280_2:
	s_load_dwordx2 s[18:19], s[4:5], 0x38
	s_andn2_b64 vcc, exec, s[2:3]
	s_cbranch_vccnz .LBB3280_18
; %bb.3:
	v_pk_mov_b32 v[2:3], s[0:1], s[0:1] op_sel:[0,1]
	flat_load_dwordx2 v[2:3], v[2:3]
	v_cmp_gt_u32_e32 vcc, s22, v0
	s_waitcnt vmcnt(0) lgkmcnt(0)
	v_mov_b32_e32 v4, v2
	v_mov_b32_e32 v5, v3
	v_mov_b32_e32 v6, v2
	v_mov_b32_e32 v7, v3
	v_mov_b32_e32 v8, v2
	v_mov_b32_e32 v9, v3
	v_mov_b32_e32 v10, v2
	v_mov_b32_e32 v11, v3
	v_mov_b32_e32 v12, v2
	v_mov_b32_e32 v13, v3
	v_pk_mov_b32 v[18:19], v[14:15], v[14:15] op_sel:[0,1]
	v_pk_mov_b32 v[16:17], v[12:13], v[12:13] op_sel:[0,1]
	v_pk_mov_b32 v[14:15], v[10:11], v[10:11] op_sel:[0,1]
	v_pk_mov_b32 v[12:13], v[8:9], v[8:9] op_sel:[0,1]
	v_pk_mov_b32 v[10:11], v[6:7], v[6:7] op_sel:[0,1]
	v_pk_mov_b32 v[8:9], v[4:5], v[4:5] op_sel:[0,1]
	v_pk_mov_b32 v[6:7], v[2:3], v[2:3] op_sel:[0,1]
	v_pk_mov_b32 v[4:5], v[0:1], v[0:1] op_sel:[0,1]
	s_and_saveexec_b64 s[2:3], vcc
	s_cbranch_execz .LBB3280_5
; %bb.4:
	v_mov_b32_e32 v5, s1
	v_add_co_u32_e32 v4, vcc, s0, v1
	v_addc_co_u32_e32 v5, vcc, 0, v5, vcc
	flat_load_dwordx2 v[20:21], v[4:5]
	v_mov_b32_e32 v4, v2
	v_mov_b32_e32 v5, v3
	;; [unrolled: 1-line block ×10, first 2 shown]
	v_pk_mov_b32 v[18:19], v[14:15], v[14:15] op_sel:[0,1]
	v_pk_mov_b32 v[16:17], v[12:13], v[12:13] op_sel:[0,1]
	;; [unrolled: 1-line block ×8, first 2 shown]
	s_waitcnt vmcnt(0) lgkmcnt(0)
	v_pk_mov_b32 v[2:3], v[20:21], v[20:21] op_sel:[0,1]
.LBB3280_5:
	s_or_b64 exec, exec, s[2:3]
	v_or_b32_e32 v4, 0x80, v0
	v_cmp_gt_u32_e32 vcc, s22, v4
	s_and_saveexec_b64 s[2:3], vcc
	s_cbranch_execz .LBB3280_7
; %bb.6:
	v_mov_b32_e32 v5, s1
	v_add_co_u32_e32 v4, vcc, s0, v1
	v_addc_co_u32_e32 v5, vcc, 0, v5, vcc
	flat_load_dwordx2 v[6:7], v[4:5] offset:1024
.LBB3280_7:
	s_or_b64 exec, exec, s[2:3]
	v_or_b32_e32 v4, 0x100, v0
	v_cmp_gt_u32_e32 vcc, s22, v4
	s_and_saveexec_b64 s[2:3], vcc
	s_cbranch_execz .LBB3280_9
; %bb.8:
	v_mov_b32_e32 v5, s1
	v_add_co_u32_e32 v4, vcc, s0, v1
	v_addc_co_u32_e32 v5, vcc, 0, v5, vcc
	flat_load_dwordx2 v[8:9], v[4:5] offset:2048
.LBB3280_9:
	;; [unrolled: 11-line block ×3, first 2 shown]
	s_or_b64 exec, exec, s[2:3]
	v_or_b32_e32 v4, 0x200, v0
	v_cmp_gt_u32_e32 vcc, s22, v4
	s_and_saveexec_b64 s[2:3], vcc
	s_cbranch_execz .LBB3280_13
; %bb.12:
	v_lshlrev_b32_e32 v4, 3, v4
	v_mov_b32_e32 v5, s1
	v_add_co_u32_e32 v4, vcc, s0, v4
	v_addc_co_u32_e32 v5, vcc, 0, v5, vcc
	flat_load_dwordx2 v[12:13], v[4:5]
.LBB3280_13:
	s_or_b64 exec, exec, s[2:3]
	v_or_b32_e32 v4, 0x280, v0
	v_cmp_gt_u32_e32 vcc, s22, v4
	s_and_saveexec_b64 s[2:3], vcc
	s_cbranch_execz .LBB3280_15
; %bb.14:
	v_lshlrev_b32_e32 v4, 3, v4
	v_mov_b32_e32 v5, s1
	v_add_co_u32_e32 v4, vcc, s0, v4
	v_addc_co_u32_e32 v5, vcc, 0, v5, vcc
	flat_load_dwordx2 v[14:15], v[4:5]
.LBB3280_15:
	;; [unrolled: 12-line block ×3, first 2 shown]
	s_or_b64 exec, exec, s[2:3]
	s_waitcnt vmcnt(0) lgkmcnt(0)
	ds_write2st64_b64 v1, v[2:3], v[6:7] offset1:2
	ds_write2st64_b64 v1, v[8:9], v[10:11] offset0:4 offset1:6
	ds_write2st64_b64 v1, v[12:13], v[14:15] offset0:8 offset1:10
	ds_write_b64 v1, v[16:17] offset:6144
	s_waitcnt lgkmcnt(0)
	s_barrier
.LBB3280_18:
	v_mul_u32_u24_e32 v36, 7, v0
	v_lshlrev_b32_e32 v37, 3, v36
	s_waitcnt lgkmcnt(0)
	ds_read2_b64 v[2:5], v37 offset1:1
	ds_read2_b64 v[10:13], v37 offset0:2 offset1:3
	ds_read2_b64 v[6:9], v37 offset0:4 offset1:5
	ds_read_b64 v[28:29], v37 offset:48
	s_cmp_lg_u32 s6, 0
	v_lshrrev_b32_e32 v1, 5, v0
	v_cmp_gt_u32_e32 vcc, 64, v0
	s_waitcnt lgkmcnt(0)
	s_barrier
	s_cbranch_scc0 .LBB3280_45
; %bb.19:
	v_cmp_gt_u64_e64 s[0:1], v[2:3], v[4:5]
	v_cndmask_b32_e64 v15, v5, v3, s[0:1]
	v_cndmask_b32_e64 v14, v4, v2, s[0:1]
	v_cmp_gt_u64_e64 s[0:1], v[14:15], v[10:11]
	v_cndmask_b32_e64 v15, v11, v15, s[0:1]
	v_cndmask_b32_e64 v14, v10, v14, s[0:1]
	;; [unrolled: 3-line block ×6, first 2 shown]
	v_add_lshl_u32 v14, v1, v0, 3
	ds_write_b64 v14, v[22:23]
	s_waitcnt lgkmcnt(0)
	s_barrier
	s_and_saveexec_b64 s[8:9], vcc
	s_cbranch_execz .LBB3280_23
; %bb.20:
	v_lshlrev_b32_e32 v14, 1, v0
	v_lshrrev_b32_e32 v15, 4, v0
	v_add_lshl_u32 v24, v15, v14, 3
	ds_read2_b64 v[14:17], v24 offset1:1
	v_mbcnt_lo_u32_b32 v18, -1, 0
	v_mbcnt_hi_u32_b32 v25, -1, v18
	v_and_b32_e32 v26, 15, v25
	v_and_b32_e32 v30, 16, v25
	s_waitcnt lgkmcnt(0)
	v_cmp_gt_u64_e64 s[0:1], v[14:15], v[16:17]
	v_cndmask_b32_e64 v17, v17, v15, s[0:1]
	v_cndmask_b32_e64 v16, v16, v14, s[0:1]
	v_cmp_ne_u32_e64 s[2:3], 0, v25
	v_mov_b32_dpp v19, v17 row_shr:1 row_mask:0xf bank_mask:0xf
	v_mov_b32_dpp v18, v16 row_shr:1 row_mask:0xf bank_mask:0xf
	v_cmp_gt_u64_e64 s[0:1], v[18:19], v[16:17]
	v_cndmask_b32_e64 v18, v16, v18, s[0:1]
	v_cndmask_b32_e64 v19, v17, v19, s[0:1]
	v_cmp_eq_u32_e64 s[0:1], 0, v26
	v_cndmask_b32_e64 v19, v19, v17, s[0:1]
	v_cndmask_b32_e64 v18, v18, v16, s[0:1]
	s_nop 0
	v_mov_b32_dpp v21, v19 row_shr:2 row_mask:0xf bank_mask:0xf
	v_mov_b32_dpp v20, v18 row_shr:2 row_mask:0xf bank_mask:0xf
	v_cmp_gt_u64_e64 s[0:1], v[20:21], v[18:19]
	v_cndmask_b32_e64 v20, v18, v20, s[0:1]
	v_cndmask_b32_e64 v21, v19, v21, s[0:1]
	v_cmp_lt_u32_e64 s[0:1], 1, v26
	v_cndmask_b32_e64 v19, v19, v21, s[0:1]
	v_cndmask_b32_e64 v18, v18, v20, s[0:1]
	s_nop 0
	v_mov_b32_dpp v21, v19 row_shr:4 row_mask:0xf bank_mask:0xf
	v_mov_b32_dpp v20, v18 row_shr:4 row_mask:0xf bank_mask:0xf
	v_cmp_gt_u64_e64 s[0:1], v[20:21], v[18:19]
	v_cndmask_b32_e64 v20, v18, v20, s[0:1]
	v_cndmask_b32_e64 v21, v19, v21, s[0:1]
	v_cmp_lt_u32_e64 s[0:1], 3, v26
	;; [unrolled: 9-line block ×3, first 2 shown]
	v_cndmask_b32_e64 v19, v19, v21, s[0:1]
	v_cndmask_b32_e64 v18, v18, v20, s[0:1]
	s_nop 0
	v_mov_b32_dpp v21, v19 row_bcast:15 row_mask:0xf bank_mask:0xf
	v_mov_b32_dpp v20, v18 row_bcast:15 row_mask:0xf bank_mask:0xf
	v_cmp_gt_u64_e64 s[0:1], v[20:21], v[18:19]
	v_cndmask_b32_e64 v26, v19, v21, s[0:1]
	v_cndmask_b32_e64 v27, v18, v20, s[0:1]
	v_cmp_eq_u32_e64 s[0:1], 0, v30
	v_cndmask_b32_e64 v21, v26, v19, s[0:1]
	v_cndmask_b32_e64 v20, v27, v18, s[0:1]
	s_nop 0
	v_mov_b32_dpp v21, v21 row_bcast:31 row_mask:0xf bank_mask:0xf
	v_mov_b32_dpp v20, v20 row_bcast:31 row_mask:0xf bank_mask:0xf
	s_and_saveexec_b64 s[10:11], s[2:3]
; %bb.21:
	v_cndmask_b32_e64 v17, v26, v19, s[0:1]
	v_cndmask_b32_e64 v16, v27, v18, s[0:1]
	v_cmp_lt_u32_e64 s[2:3], 31, v25
	v_cmp_gt_u64_e64 s[0:1], v[20:21], v[16:17]
	s_and_b64 s[0:1], s[2:3], s[0:1]
	v_cndmask_b32_e64 v16, v16, v20, s[0:1]
	v_cndmask_b32_e64 v17, v17, v21, s[0:1]
; %bb.22:
	s_or_b64 exec, exec, s[10:11]
	v_add_u32_e32 v18, -1, v25
	v_and_b32_e32 v19, 64, v25
	v_cmp_lt_i32_e64 s[0:1], v18, v19
	v_cndmask_b32_e64 v18, v18, v25, s[0:1]
	v_lshlrev_b32_e32 v18, 2, v18
	ds_bpermute_b32 v16, v18, v16
	ds_bpermute_b32 v17, v18, v17
	; wave barrier
	s_waitcnt lgkmcnt(0)
	v_cmp_gt_u64_e64 s[0:1], v[16:17], v[14:15]
	v_cndmask_b32_e64 v14, v14, v16, s[0:1]
	v_cndmask_b32_e64 v15, v15, v17, s[0:1]
	v_cmp_eq_u32_e64 s[0:1], 0, v0
	v_cndmask_b32_e64 v15, v15, v23, s[0:1]
	v_cndmask_b32_e64 v14, v14, v22, s[0:1]
	ds_write_b64 v24, v[14:15]
	; wave barrier
	ds_read_b64 v[16:17], v24 offset:8
	s_waitcnt lgkmcnt(0)
	v_cmp_gt_u64_e64 s[0:1], v[14:15], v[16:17]
	v_cndmask_b32_e64 v15, v17, v15, s[0:1]
	v_cndmask_b32_e64 v14, v16, v14, s[0:1]
	ds_write_b64 v24, v[14:15] offset:8
.LBB3280_23:
	s_or_b64 exec, exec, s[8:9]
	v_cmp_eq_u32_e64 s[0:1], 0, v0
	v_cmp_ne_u32_e64 s[2:3], 0, v0
	s_waitcnt lgkmcnt(0)
	s_barrier
	s_and_saveexec_b64 s[8:9], s[2:3]
	s_cbranch_execz .LBB3280_25
; %bb.24:
	v_add_u32_e32 v14, -1, v0
	v_lshrrev_b32_e32 v15, 5, v14
	v_add_lshl_u32 v14, v15, v14, 3
	ds_read_b64 v[22:23], v14
.LBB3280_25:
	s_or_b64 exec, exec, s[8:9]
	s_and_saveexec_b64 s[20:21], vcc
	s_cbranch_execz .LBB3280_44
; %bb.26:
	v_mov_b32_e32 v17, 0
	ds_read_b64 v[14:15], v17 offset:1040
	v_mbcnt_lo_u32_b32 v16, -1, 0
	v_mbcnt_hi_u32_b32 v25, -1, v16
	s_mov_b32 s11, 0
	v_cmp_eq_u32_e64 s[2:3], 0, v25
	s_and_saveexec_b64 s[8:9], s[2:3]
	s_cbranch_execz .LBB3280_28
; %bb.27:
	s_add_i32 s10, s6, 64
	s_lshl_b64 s[10:11], s[10:11], 4
	s_add_u32 s10, s18, s10
	s_addc_u32 s11, s19, s11
	v_mov_b32_e32 v16, 1
	v_pk_mov_b32 v[18:19], s[10:11], s[10:11] op_sel:[0,1]
	s_waitcnt lgkmcnt(0)
	;;#ASMSTART
	global_store_dwordx4 v[18:19], v[14:17] off	
s_waitcnt vmcnt(0)
	;;#ASMEND
.LBB3280_28:
	s_or_b64 exec, exec, s[8:9]
	v_xad_u32 v24, v25, -1, s6
	v_add_u32_e32 v16, 64, v24
	v_lshlrev_b64 v[18:19], 4, v[16:17]
	v_mov_b32_e32 v16, s19
	v_add_co_u32_e32 v26, vcc, s18, v18
	v_addc_co_u32_e32 v27, vcc, v16, v19, vcc
	;;#ASMSTART
	global_load_dwordx4 v[18:21], v[26:27] off glc	
s_waitcnt vmcnt(0)
	;;#ASMEND
	v_and_b32_e32 v16, 0xff, v19
	v_and_b32_e32 v21, 0xff00, v19
	v_or3_b32 v16, 0, v16, v21
	v_or3_b32 v18, v18, 0, 0
	v_and_b32_e32 v21, 0xff000000, v19
	v_and_b32_e32 v19, 0xff0000, v19
	v_or3_b32 v19, v16, v19, v21
	v_or3_b32 v18, v18, 0, 0
	v_cmp_eq_u16_sdwa s[10:11], v20, v17 src0_sel:BYTE_0 src1_sel:DWORD
	s_and_saveexec_b64 s[8:9], s[10:11]
	s_cbranch_execz .LBB3280_32
; %bb.29:
	s_mov_b64 s[10:11], 0
	v_mov_b32_e32 v16, 0
.LBB3280_30:                            ; =>This Inner Loop Header: Depth=1
	;;#ASMSTART
	global_load_dwordx4 v[18:21], v[26:27] off glc	
s_waitcnt vmcnt(0)
	;;#ASMEND
	v_cmp_ne_u16_sdwa s[12:13], v20, v16 src0_sel:BYTE_0 src1_sel:DWORD
	s_or_b64 s[10:11], s[12:13], s[10:11]
	s_andn2_b64 exec, exec, s[10:11]
	s_cbranch_execnz .LBB3280_30
; %bb.31:
	s_or_b64 exec, exec, s[10:11]
.LBB3280_32:
	s_or_b64 exec, exec, s[8:9]
	v_and_b32_e32 v33, 63, v25
	v_cmp_ne_u32_e32 vcc, 63, v33
	v_mov_b32_e32 v32, 2
	v_addc_co_u32_e32 v26, vcc, 0, v25, vcc
	v_cmp_eq_u16_sdwa s[8:9], v20, v32 src0_sel:BYTE_0 src1_sel:DWORD
	v_lshlrev_b64 v[16:17], v25, -1
	v_lshlrev_b32_e32 v34, 2, v26
	v_and_b32_e32 v21, s9, v17
	ds_bpermute_b32 v26, v34, v18
	ds_bpermute_b32 v27, v34, v19
	v_or_b32_e32 v21, 0x80000000, v21
	v_and_b32_e32 v30, s8, v16
	v_ffbl_b32_e32 v21, v21
	v_add_u32_e32 v21, 32, v21
	v_ffbl_b32_e32 v30, v30
	v_min_u32_e32 v21, v30, v21
	s_waitcnt lgkmcnt(0)
	v_cmp_gt_u64_e64 s[8:9], v[26:27], v[18:19]
	v_cmp_lt_u32_e32 vcc, v33, v21
	v_cndmask_b32_e64 v26, v18, v26, s[8:9]
	s_and_b64 s[8:9], vcc, s[8:9]
	v_cndmask_b32_e64 v27, v19, v27, s[8:9]
	v_cmp_gt_u32_e64 s[8:9], 62, v33
	v_cndmask_b32_e64 v30, 0, 1, s[8:9]
	v_lshlrev_b32_e32 v30, 1, v30
	v_cndmask_b32_e32 v26, v18, v26, vcc
	v_add_lshl_u32 v35, v30, v25, 2
	ds_bpermute_b32 v30, v35, v26
	ds_bpermute_b32 v31, v35, v27
	v_add_u32_e32 v38, 2, v33
	v_cmp_gt_u32_e64 s[10:11], 56, v33
	v_add_u32_e32 v40, 4, v33
	v_cndmask_b32_e64 v41, 0, 1, s[10:11]
	s_waitcnt lgkmcnt(0)
	v_cmp_gt_u64_e64 s[8:9], v[30:31], v[26:27]
	v_cndmask_b32_e64 v31, v27, v31, s[8:9]
	v_cndmask_b32_e64 v30, v26, v30, s[8:9]
	v_cmp_gt_u32_e64 s[8:9], v38, v21
	v_cndmask_b32_e64 v26, v30, v26, s[8:9]
	v_cndmask_b32_e64 v27, v31, v27, s[8:9]
	v_cmp_gt_u32_e64 s[8:9], 60, v33
	v_cndmask_b32_e64 v30, 0, 1, s[8:9]
	v_lshlrev_b32_e32 v30, 2, v30
	v_add_lshl_u32 v39, v30, v25, 2
	ds_bpermute_b32 v30, v39, v26
	ds_bpermute_b32 v31, v39, v27
	v_lshlrev_b32_e32 v41, 3, v41
	v_add_lshl_u32 v41, v41, v25, 2
	v_cmp_gt_u32_e64 s[12:13], 48, v33
	v_add_u32_e32 v42, 8, v33
	s_waitcnt lgkmcnt(0)
	v_cmp_gt_u64_e64 s[8:9], v[30:31], v[26:27]
	v_cndmask_b32_e64 v50, v27, v31, s[8:9]
	v_cndmask_b32_e64 v51, v26, v30, s[8:9]
	v_cmp_gt_u32_e64 s[8:9], v40, v21
	v_cndmask_b32_e64 v30, v51, v26, s[8:9]
	v_cndmask_b32_e64 v31, v50, v27, s[8:9]
	ds_bpermute_b32 v44, v41, v30
	ds_bpermute_b32 v45, v41, v31
	v_cndmask_b32_e64 v43, 0, 1, s[12:13]
	v_lshlrev_b32_e32 v43, 4, v43
	v_add_lshl_u32 v43, v43, v25, 2
	v_cmp_gt_u32_e64 s[14:15], 32, v33
	s_waitcnt lgkmcnt(0)
	v_cmp_gt_u64_e64 s[10:11], v[44:45], v[30:31]
	v_cndmask_b32_e64 v52, v31, v45, s[10:11]
	v_cndmask_b32_e64 v53, v30, v44, s[10:11]
	v_cmp_gt_u32_e64 s[10:11], v42, v21
	v_cndmask_b32_e64 v30, v53, v30, s[10:11]
	v_cndmask_b32_e64 v31, v52, v31, s[10:11]
	ds_bpermute_b32 v46, v43, v30
	ds_bpermute_b32 v47, v43, v31
	v_add_u32_e32 v44, 16, v33
	v_cndmask_b32_e64 v45, 0, 1, s[14:15]
	v_lshlrev_b32_e32 v45, 5, v45
	v_add_lshl_u32 v45, v45, v25, 2
	s_waitcnt lgkmcnt(0)
	v_cmp_gt_u64_e64 s[12:13], v[46:47], v[30:31]
	v_cndmask_b32_e64 v47, v31, v47, s[12:13]
	v_cndmask_b32_e64 v54, v30, v46, s[12:13]
	v_cmp_gt_u32_e64 s[12:13], v44, v21
	v_cndmask_b32_e64 v30, v54, v30, s[12:13]
	v_cndmask_b32_e64 v31, v47, v31, s[12:13]
	ds_bpermute_b32 v48, v45, v30
	ds_bpermute_b32 v49, v45, v31
	v_cndmask_b32_e32 v19, v19, v27, vcc
	v_cndmask_b32_e32 v18, v18, v26, vcc
	v_cndmask_b32_e64 v18, v51, v18, s[8:9]
	v_cndmask_b32_e64 v19, v50, v19, s[8:9]
	v_add_u32_e32 v46, 32, v33
	s_waitcnt lgkmcnt(0)
	v_cmp_gt_u64_e64 s[14:15], v[48:49], v[30:31]
	v_cndmask_b32_e64 v19, v52, v19, s[10:11]
	v_cndmask_b32_e64 v18, v53, v18, s[10:11]
	;; [unrolled: 1-line block ×6, first 2 shown]
	v_cmp_gt_u32_e32 vcc, v46, v21
	v_cndmask_b32_e32 v19, v30, v19, vcc
	v_cndmask_b32_e32 v18, v25, v18, vcc
	v_mov_b32_e32 v25, 0
	s_branch .LBB3280_34
.LBB3280_33:                            ;   in Loop: Header=BB3280_34 Depth=1
	s_or_b64 exec, exec, s[8:9]
	v_cmp_eq_u16_sdwa s[8:9], v20, v32 src0_sel:BYTE_0 src1_sel:DWORD
	v_and_b32_e32 v21, s9, v17
	ds_bpermute_b32 v30, v34, v18
	ds_bpermute_b32 v31, v34, v19
	v_or_b32_e32 v21, 0x80000000, v21
	v_and_b32_e32 v47, s8, v16
	v_ffbl_b32_e32 v21, v21
	v_add_u32_e32 v21, 32, v21
	v_ffbl_b32_e32 v47, v47
	v_min_u32_e32 v21, v47, v21
	s_waitcnt lgkmcnt(0)
	v_cmp_gt_u64_e32 vcc, v[30:31], v[18:19]
	v_cmp_lt_u32_e64 s[8:9], v33, v21
	v_cndmask_b32_e32 v30, v18, v30, vcc
	s_and_b64 vcc, s[8:9], vcc
	v_cndmask_b32_e64 v30, v18, v30, s[8:9]
	v_cndmask_b32_e32 v31, v19, v31, vcc
	ds_bpermute_b32 v48, v35, v30
	ds_bpermute_b32 v49, v35, v31
	v_subrev_u32_e32 v24, 64, v24
	s_waitcnt lgkmcnt(0)
	v_cmp_gt_u64_e32 vcc, v[48:49], v[30:31]
	v_cndmask_b32_e32 v47, v31, v49, vcc
	v_cndmask_b32_e32 v48, v30, v48, vcc
	v_cmp_gt_u32_e32 vcc, v38, v21
	v_cndmask_b32_e32 v30, v48, v30, vcc
	v_cndmask_b32_e32 v31, v47, v31, vcc
	ds_bpermute_b32 v48, v39, v30
	ds_bpermute_b32 v49, v39, v31
	v_cndmask_b32_e64 v19, v19, v31, s[8:9]
	v_cndmask_b32_e64 v18, v18, v30, s[8:9]
	s_waitcnt lgkmcnt(0)
	v_cmp_gt_u64_e32 vcc, v[48:49], v[30:31]
	v_cndmask_b32_e32 v47, v31, v49, vcc
	v_cndmask_b32_e32 v52, v30, v48, vcc
	v_cmp_gt_u32_e32 vcc, v40, v21
	v_cndmask_b32_e32 v48, v52, v30, vcc
	v_cndmask_b32_e32 v49, v47, v31, vcc
	ds_bpermute_b32 v50, v41, v48
	ds_bpermute_b32 v51, v41, v49
	v_cndmask_b32_e32 v18, v52, v18, vcc
	v_cndmask_b32_e32 v19, v47, v19, vcc
	v_cmp_gt_u32_e32 vcc, v46, v21
	s_waitcnt lgkmcnt(0)
	v_cmp_gt_u64_e64 s[10:11], v[50:51], v[48:49]
	v_cndmask_b32_e64 v53, v49, v51, s[10:11]
	v_cndmask_b32_e64 v54, v48, v50, s[10:11]
	v_cmp_gt_u32_e64 s[10:11], v42, v21
	v_cndmask_b32_e64 v48, v54, v48, s[10:11]
	v_cndmask_b32_e64 v49, v53, v49, s[10:11]
	ds_bpermute_b32 v50, v43, v48
	ds_bpermute_b32 v51, v43, v49
	v_cndmask_b32_e64 v19, v53, v19, s[10:11]
	v_cndmask_b32_e64 v18, v54, v18, s[10:11]
	s_waitcnt lgkmcnt(0)
	v_cmp_gt_u64_e64 s[12:13], v[50:51], v[48:49]
	v_cndmask_b32_e64 v55, v49, v51, s[12:13]
	v_cndmask_b32_e64 v56, v48, v50, s[12:13]
	v_cmp_gt_u32_e64 s[12:13], v44, v21
	v_cndmask_b32_e64 v48, v56, v48, s[12:13]
	v_cndmask_b32_e64 v49, v55, v49, s[12:13]
	ds_bpermute_b32 v50, v45, v48
	ds_bpermute_b32 v51, v45, v49
	v_cndmask_b32_e64 v18, v56, v18, s[12:13]
	v_cndmask_b32_e64 v19, v55, v19, s[12:13]
	s_waitcnt lgkmcnt(0)
	v_cmp_gt_u64_e64 s[14:15], v[50:51], v[48:49]
	v_cndmask_b32_e64 v48, v48, v50, s[14:15]
	v_cndmask_b32_e64 v49, v49, v51, s[14:15]
	v_cndmask_b32_e32 v19, v49, v19, vcc
	v_cndmask_b32_e32 v18, v48, v18, vcc
	v_cmp_gt_u64_e32 vcc, v[18:19], v[26:27]
	v_cndmask_b32_e32 v19, v27, v19, vcc
	v_cndmask_b32_e32 v18, v26, v18, vcc
.LBB3280_34:                            ; =>This Loop Header: Depth=1
                                        ;     Child Loop BB3280_37 Depth 2
	v_cmp_ne_u16_sdwa s[8:9], v20, v32 src0_sel:BYTE_0 src1_sel:DWORD
	v_cndmask_b32_e64 v20, 0, 1, s[8:9]
	;;#ASMSTART
	;;#ASMEND
	v_cmp_ne_u32_e32 vcc, 0, v20
	s_cmp_lg_u64 vcc, exec
	v_pk_mov_b32 v[26:27], v[18:19], v[18:19] op_sel:[0,1]
	s_cbranch_scc1 .LBB3280_39
; %bb.35:                               ;   in Loop: Header=BB3280_34 Depth=1
	v_lshlrev_b64 v[18:19], 4, v[24:25]
	v_mov_b32_e32 v20, s19
	v_add_co_u32_e32 v30, vcc, s18, v18
	v_addc_co_u32_e32 v31, vcc, v20, v19, vcc
	;;#ASMSTART
	global_load_dwordx4 v[18:21], v[30:31] off glc	
s_waitcnt vmcnt(0)
	;;#ASMEND
	v_and_b32_e32 v21, 0xff, v19
	v_and_b32_e32 v47, 0xff00, v19
	v_or3_b32 v21, 0, v21, v47
	v_or3_b32 v18, v18, 0, 0
	v_and_b32_e32 v47, 0xff000000, v19
	v_and_b32_e32 v19, 0xff0000, v19
	v_or3_b32 v19, v21, v19, v47
	v_or3_b32 v18, v18, 0, 0
	v_cmp_eq_u16_sdwa s[10:11], v20, v25 src0_sel:BYTE_0 src1_sel:DWORD
	s_and_saveexec_b64 s[8:9], s[10:11]
	s_cbranch_execz .LBB3280_33
; %bb.36:                               ;   in Loop: Header=BB3280_34 Depth=1
	s_mov_b64 s[10:11], 0
.LBB3280_37:                            ;   Parent Loop BB3280_34 Depth=1
                                        ; =>  This Inner Loop Header: Depth=2
	;;#ASMSTART
	global_load_dwordx4 v[18:21], v[30:31] off glc	
s_waitcnt vmcnt(0)
	;;#ASMEND
	v_cmp_ne_u16_sdwa s[12:13], v20, v25 src0_sel:BYTE_0 src1_sel:DWORD
	s_or_b64 s[10:11], s[12:13], s[10:11]
	s_andn2_b64 exec, exec, s[10:11]
	s_cbranch_execnz .LBB3280_37
; %bb.38:                               ;   in Loop: Header=BB3280_34 Depth=1
	s_or_b64 exec, exec, s[10:11]
	s_branch .LBB3280_33
.LBB3280_39:                            ;   in Loop: Header=BB3280_34 Depth=1
                                        ; implicit-def: $vgpr18_vgpr19
                                        ; implicit-def: $vgpr20
	s_cbranch_execz .LBB3280_34
; %bb.40:
	s_and_saveexec_b64 s[8:9], s[2:3]
	s_cbranch_execz .LBB3280_42
; %bb.41:
	s_add_i32 s2, s6, 64
	s_mov_b32 s3, 0
	s_lshl_b64 s[2:3], s[2:3], 4
	s_add_u32 s2, s18, s2
	v_cmp_gt_u64_e32 vcc, v[26:27], v[14:15]
	s_addc_u32 s3, s19, s3
	v_cndmask_b32_e32 v15, v15, v27, vcc
	v_cndmask_b32_e32 v14, v14, v26, vcc
	v_mov_b32_e32 v16, 2
	v_mov_b32_e32 v17, 0
	v_pk_mov_b32 v[18:19], s[2:3], s[2:3] op_sel:[0,1]
	;;#ASMSTART
	global_store_dwordx4 v[18:19], v[14:17] off	
s_waitcnt vmcnt(0)
	;;#ASMEND
.LBB3280_42:
	s_or_b64 exec, exec, s[8:9]
	s_and_b64 exec, exec, s[0:1]
	s_cbranch_execz .LBB3280_44
; %bb.43:
	v_mov_b32_e32 v14, 0
	ds_write_b64 v14, v[26:27]
.LBB3280_44:
	s_or_b64 exec, exec, s[20:21]
	v_mov_b32_e32 v14, 0
	s_waitcnt lgkmcnt(0)
	s_barrier
	ds_read_b64 v[14:15], v14
	v_cmp_gt_u64_e32 vcc, v[22:23], v[2:3]
	v_cndmask_b32_e32 v16, v2, v22, vcc
	v_cndmask_b32_e32 v17, v3, v23, vcc
	v_cndmask_b32_e64 v17, v17, v3, s[0:1]
	v_cndmask_b32_e64 v16, v16, v2, s[0:1]
	s_waitcnt lgkmcnt(0)
	v_cmp_gt_u64_e32 vcc, v[14:15], v[16:17]
	v_cndmask_b32_e32 v25, v17, v15, vcc
	v_cndmask_b32_e32 v24, v16, v14, vcc
	v_cmp_gt_u64_e32 vcc, v[24:25], v[4:5]
	v_cndmask_b32_e32 v31, v5, v25, vcc
	v_cndmask_b32_e32 v30, v4, v24, vcc
	;; [unrolled: 3-line block ×7, first 2 shown]
	s_load_dwordx8 s[4:11], s[4:5], 0x48
	s_branch .LBB3280_59
.LBB3280_45:
                                        ; implicit-def: $vgpr22_vgpr23
                                        ; implicit-def: $vgpr34_vgpr35
                                        ; implicit-def: $vgpr32_vgpr33
                                        ; implicit-def: $vgpr30_vgpr31
                                        ; implicit-def: $vgpr18_vgpr19_vgpr20_vgpr21
                                        ; implicit-def: $vgpr14_vgpr15_vgpr16_vgpr17
                                        ; implicit-def: $vgpr24_vgpr25_vgpr26_vgpr27
	s_load_dwordx8 s[4:11], s[4:5], 0x48
	s_cbranch_execz .LBB3280_59
; %bb.46:
	s_waitcnt lgkmcnt(0)
	s_cmp_lg_u64 s[8:9], 0
	s_cselect_b64 s[2:3], -1, 0
	v_cmp_eq_u32_e64 s[0:1], 0, v0
	v_cmp_ne_u32_e32 vcc, 0, v0
	s_and_b64 s[2:3], s[0:1], s[2:3]
	s_and_saveexec_b64 s[8:9], s[2:3]
	s_cbranch_execz .LBB3280_48
; %bb.47:
	v_mov_b32_e32 v14, 0
	global_load_dwordx2 v[14:15], v14, s[4:5]
	s_waitcnt vmcnt(0)
	v_cmp_gt_u64_e64 s[2:3], v[14:15], v[2:3]
	v_cndmask_b32_e64 v3, v3, v15, s[2:3]
	v_cndmask_b32_e64 v2, v2, v14, s[2:3]
.LBB3280_48:
	s_or_b64 exec, exec, s[8:9]
	v_cmp_gt_u64_e64 s[2:3], v[2:3], v[4:5]
	v_cndmask_b32_e64 v31, v5, v3, s[2:3]
	v_cndmask_b32_e64 v30, v4, v2, s[2:3]
	v_cmp_gt_u64_e64 s[2:3], v[30:31], v[10:11]
	v_cndmask_b32_e64 v15, v11, v31, s[2:3]
	v_cndmask_b32_e64 v14, v10, v30, s[2:3]
	;; [unrolled: 3-line block ×6, first 2 shown]
	v_add_lshl_u32 v1, v1, v0, 3
	v_cmp_gt_u32_e64 s[2:3], 64, v0
	ds_write_b64 v1, v[22:23]
	s_waitcnt lgkmcnt(0)
	s_barrier
	s_and_saveexec_b64 s[8:9], s[2:3]
	s_cbranch_execz .LBB3280_52
; %bb.49:
	v_lshlrev_b32_e32 v1, 1, v0
	v_lshrrev_b32_e32 v16, 4, v0
	v_add_lshl_u32 v1, v16, v1, 3
	ds_read2_b64 v[24:27], v1 offset1:1
	v_mbcnt_lo_u32_b32 v16, -1, 0
	v_mbcnt_hi_u32_b32 v38, -1, v16
	v_and_b32_e32 v39, 15, v38
	v_and_b32_e32 v41, 16, v38
	s_waitcnt lgkmcnt(0)
	v_cmp_gt_u64_e64 s[2:3], v[24:25], v[26:27]
	v_cndmask_b32_e64 v17, v27, v25, s[2:3]
	v_cndmask_b32_e64 v16, v26, v24, s[2:3]
	v_cmp_ne_u32_e64 s[4:5], 0, v38
	v_mov_b32_dpp v21, v17 row_shr:1 row_mask:0xf bank_mask:0xf
	v_mov_b32_dpp v20, v16 row_shr:1 row_mask:0xf bank_mask:0xf
	v_cmp_gt_u64_e64 s[2:3], v[20:21], v[16:17]
	v_cndmask_b32_e64 v20, v16, v20, s[2:3]
	v_cndmask_b32_e64 v21, v17, v21, s[2:3]
	v_cmp_eq_u32_e64 s[2:3], 0, v39
	v_cndmask_b32_e64 v21, v21, v17, s[2:3]
	v_cndmask_b32_e64 v20, v20, v16, s[2:3]
	s_nop 0
	v_mov_b32_dpp v27, v21 row_shr:2 row_mask:0xf bank_mask:0xf
	v_mov_b32_dpp v26, v20 row_shr:2 row_mask:0xf bank_mask:0xf
	v_cmp_gt_u64_e64 s[2:3], v[26:27], v[20:21]
	v_cndmask_b32_e64 v26, v20, v26, s[2:3]
	v_cndmask_b32_e64 v27, v21, v27, s[2:3]
	v_cmp_lt_u32_e64 s[2:3], 1, v39
	v_cndmask_b32_e64 v21, v21, v27, s[2:3]
	v_cndmask_b32_e64 v20, v20, v26, s[2:3]
	s_nop 0
	v_mov_b32_dpp v27, v21 row_shr:4 row_mask:0xf bank_mask:0xf
	v_mov_b32_dpp v26, v20 row_shr:4 row_mask:0xf bank_mask:0xf
	v_cmp_gt_u64_e64 s[2:3], v[26:27], v[20:21]
	v_cndmask_b32_e64 v26, v20, v26, s[2:3]
	v_cndmask_b32_e64 v27, v21, v27, s[2:3]
	v_cmp_lt_u32_e64 s[2:3], 3, v39
	;; [unrolled: 9-line block ×3, first 2 shown]
	v_cndmask_b32_e64 v21, v21, v27, s[2:3]
	v_cndmask_b32_e64 v20, v20, v26, s[2:3]
	s_nop 0
	v_mov_b32_dpp v27, v21 row_bcast:15 row_mask:0xf bank_mask:0xf
	v_mov_b32_dpp v26, v20 row_bcast:15 row_mask:0xf bank_mask:0xf
	v_cmp_gt_u64_e64 s[2:3], v[26:27], v[20:21]
	v_cndmask_b32_e64 v39, v21, v27, s[2:3]
	v_cndmask_b32_e64 v40, v20, v26, s[2:3]
	v_cmp_eq_u32_e64 s[2:3], 0, v41
	v_cndmask_b32_e64 v27, v39, v21, s[2:3]
	v_cndmask_b32_e64 v26, v40, v20, s[2:3]
	s_nop 0
	v_mov_b32_dpp v27, v27 row_bcast:31 row_mask:0xf bank_mask:0xf
	v_mov_b32_dpp v26, v26 row_bcast:31 row_mask:0xf bank_mask:0xf
	s_and_saveexec_b64 s[12:13], s[4:5]
; %bb.50:
	v_cndmask_b32_e64 v17, v39, v21, s[2:3]
	v_cndmask_b32_e64 v16, v40, v20, s[2:3]
	v_cmp_lt_u32_e64 s[4:5], 31, v38
	v_cmp_gt_u64_e64 s[2:3], v[26:27], v[16:17]
	s_and_b64 s[2:3], s[4:5], s[2:3]
	v_cndmask_b32_e64 v16, v16, v26, s[2:3]
	v_cndmask_b32_e64 v17, v17, v27, s[2:3]
; %bb.51:
	s_or_b64 exec, exec, s[12:13]
	v_add_u32_e32 v20, -1, v38
	v_and_b32_e32 v21, 64, v38
	v_cmp_lt_i32_e64 s[2:3], v20, v21
	v_cndmask_b32_e64 v20, v20, v38, s[2:3]
	v_lshlrev_b32_e32 v20, 2, v20
	ds_bpermute_b32 v16, v20, v16
	ds_bpermute_b32 v17, v20, v17
	; wave barrier
	s_waitcnt lgkmcnt(0)
	v_cmp_gt_u64_e64 s[2:3], v[16:17], v[24:25]
	v_cndmask_b32_e64 v16, v24, v16, s[2:3]
	v_cndmask_b32_e64 v17, v25, v17, s[2:3]
	;; [unrolled: 1-line block ×4, first 2 shown]
	ds_write_b64 v1, v[16:17]
	; wave barrier
	ds_read_b64 v[20:21], v1 offset:8
	s_waitcnt lgkmcnt(0)
	v_cmp_gt_u64_e64 s[0:1], v[16:17], v[20:21]
	v_cndmask_b32_e64 v17, v21, v17, s[0:1]
	v_cndmask_b32_e64 v16, v20, v16, s[0:1]
	ds_write_b64 v1, v[16:17] offset:8
.LBB3280_52:
	s_or_b64 exec, exec, s[8:9]
	v_pk_mov_b32 v[16:17], v[22:23], v[22:23] op_sel:[0,1]
	s_waitcnt lgkmcnt(0)
	s_barrier
	s_and_saveexec_b64 s[0:1], vcc
	s_cbranch_execz .LBB3280_54
; %bb.53:
	v_add_u32_e32 v1, -1, v0
	v_lshrrev_b32_e32 v16, 5, v1
	v_add_lshl_u32 v1, v16, v1, 3
	ds_read_b64 v[16:17], v1
.LBB3280_54:
	s_or_b64 exec, exec, s[0:1]
	s_and_saveexec_b64 s[0:1], vcc
	s_cbranch_execz .LBB3280_56
; %bb.55:
	s_waitcnt lgkmcnt(0)
	v_cmp_gt_u64_e32 vcc, v[16:17], v[2:3]
	v_cndmask_b32_e32 v3, v3, v17, vcc
	v_cndmask_b32_e32 v2, v2, v16, vcc
	v_cmp_gt_u64_e32 vcc, v[2:3], v[4:5]
	v_cndmask_b32_e32 v31, v5, v3, vcc
	v_cndmask_b32_e32 v30, v4, v2, vcc
	;; [unrolled: 3-line block ×7, first 2 shown]
	;;#ASMSTART
	;;#ASMEND
.LBB3280_56:
	s_or_b64 exec, exec, s[0:1]
	s_movk_i32 s0, 0x7f
	v_cmp_eq_u32_e32 vcc, s0, v0
	s_and_saveexec_b64 s[0:1], vcc
	s_cbranch_execz .LBB3280_58
; %bb.57:
	s_add_u32 s2, s18, 0x400
	s_addc_u32 s3, s19, 0
	v_mov_b32_e32 v24, 2
	v_mov_b32_e32 v25, 0
	v_pk_mov_b32 v[4:5], s[2:3], s[2:3] op_sel:[0,1]
	;;#ASMSTART
	global_store_dwordx4 v[4:5], v[22:25] off	
s_waitcnt vmcnt(0)
	;;#ASMEND
.LBB3280_58:
	s_or_b64 exec, exec, s[0:1]
	v_pk_mov_b32 v[24:25], v[2:3], v[2:3] op_sel:[0,1]
.LBB3280_59:
	s_mov_b64 s[0:1], -1
	s_and_b64 vcc, exec, s[16:17]
	s_waitcnt lgkmcnt(0)
	s_barrier
	ds_write2_b64 v37, v[24:25], v[30:31] offset1:1
	ds_write2_b64 v37, v[14:15], v[32:33] offset0:2 offset1:3
	ds_write2_b64 v37, v[18:19], v[34:35] offset0:4 offset1:5
	ds_write_b64 v37, v[22:23] offset:48
	s_waitcnt lgkmcnt(0)
	s_cbranch_vccz .LBB3280_61
; %bb.60:
	s_barrier
	s_mov_b64 s[0:1], 0
.LBB3280_61:
	s_andn2_b64 vcc, exec, s[0:1]
	s_cbranch_vccnz .LBB3280_86
; %bb.62:
	v_cmp_lt_u64_e64 s[0:1], s[10:11], 2
	s_and_b64 vcc, exec, s[0:1]
	s_barrier
	s_cbranch_vccnz .LBB3280_86
; %bb.63:
	s_add_u32 s0, s22, -1
	s_addc_u32 s1, s23, -1
	s_add_u32 s2, 0, 0x92481000
	s_addc_u32 s3, 0, 0x64
	s_add_i32 s3, s3, 0x249248c0
	s_mul_hi_u32 s9, s2, -7
	s_sub_i32 s9, s9, s2
	s_mul_i32 s10, s3, -7
	s_mul_i32 s4, s2, -7
	s_add_i32 s9, s9, s10
	s_mul_hi_u32 s5, s3, s4
	s_mul_i32 s8, s3, s4
	s_mul_i32 s11, s2, s9
	s_mul_hi_u32 s4, s2, s4
	s_mul_hi_u32 s10, s2, s9
	s_add_u32 s4, s4, s11
	s_addc_u32 s10, 0, s10
	s_add_u32 s4, s4, s8
	s_mul_hi_u32 s11, s3, s9
	s_addc_u32 s4, s10, s5
	s_addc_u32 s5, s11, 0
	s_mul_i32 s8, s3, s9
	s_add_u32 s4, s4, s8
	v_mov_b32_e32 v2, s4
	s_addc_u32 s5, 0, s5
	v_add_co_u32_e32 v2, vcc, s2, v2
	s_cmp_lg_u64 vcc, 0
	s_addc_u32 s2, s3, s5
	v_readfirstlane_b32 s5, v2
	s_mul_i32 s4, s0, s2
	s_mul_hi_u32 s8, s0, s5
	s_mul_hi_u32 s3, s0, s2
	s_add_u32 s4, s8, s4
	s_addc_u32 s3, 0, s3
	s_mul_hi_u32 s9, s1, s5
	s_mul_i32 s5, s1, s5
	s_add_u32 s4, s4, s5
	s_mul_hi_u32 s8, s1, s2
	s_addc_u32 s3, s3, s9
	s_addc_u32 s4, s8, 0
	s_mul_i32 s2, s1, s2
	s_add_u32 s2, s3, s2
	s_addc_u32 s3, 0, s4
	s_add_u32 s4, s2, 1
	s_addc_u32 s5, s3, 0
	s_add_u32 s8, s2, 2
	s_mul_i32 s10, s3, 7
	s_mul_hi_u32 s11, s2, 7
	s_addc_u32 s9, s3, 0
	s_add_i32 s11, s11, s10
	s_mul_i32 s10, s2, 7
	v_mov_b32_e32 v2, s10
	v_sub_co_u32_e32 v2, vcc, s0, v2
	s_cmp_lg_u64 vcc, 0
	s_subb_u32 s10, s1, s11
	v_subrev_co_u32_e32 v3, vcc, 7, v2
	s_cmp_lg_u64 vcc, 0
	s_subb_u32 s11, s10, 0
	v_readfirstlane_b32 s12, v3
	s_cmp_gt_u32 s12, 6
	s_cselect_b32 s12, -1, 0
	s_cmp_eq_u32 s11, 0
	s_cselect_b32 s11, s12, -1
	s_cmp_lg_u32 s11, 0
	s_cselect_b32 s4, s8, s4
	v_readfirstlane_b32 s8, v2
	s_cselect_b32 s5, s9, s5
	s_cmp_gt_u32 s8, 6
	s_cselect_b32 s8, -1, 0
	s_cmp_eq_u32 s10, 0
	s_cselect_b32 s8, s8, -1
	s_cmp_lg_u32 s8, 0
	v_mov_b32_e32 v1, 0
	s_cselect_b32 s3, s5, s3
	s_cselect_b32 s2, s4, s2
	v_cmp_eq_u64_e32 vcc, s[2:3], v[0:1]
	s_and_saveexec_b64 s[2:3], vcc
	s_cbranch_execz .LBB3280_86
; %bb.64:
	s_movk_i32 s2, 0xffd0
	v_mad_i32_i24 v2, v0, s2, v37
	v_mul_hi_u32_u24_e32 v1, 7, v0
	v_mov_b32_e32 v3, s1
	v_sub_co_u32_e32 v0, vcc, s0, v36
	v_subb_co_u32_e32 v1, vcc, v3, v1, vcc
	v_cmp_lt_i64_e32 vcc, 3, v[0:1]
	s_and_saveexec_b64 s[0:1], vcc
	s_xor_b64 s[0:1], exec, s[0:1]
	s_cbranch_execz .LBB3280_74
; %bb.65:
	v_cmp_lt_i64_e32 vcc, 4, v[0:1]
	s_and_saveexec_b64 s[2:3], vcc
	s_xor_b64 s[2:3], exec, s[2:3]
	s_cbranch_execz .LBB3280_71
; %bb.66:
	v_cmp_lt_i64_e32 vcc, 5, v[0:1]
	s_and_saveexec_b64 s[4:5], vcc
	s_xor_b64 s[4:5], exec, s[4:5]
	s_cbranch_execz .LBB3280_68
; %bb.67:
	ds_read_b64 v[0:1], v2 offset:6144
	v_mov_b32_e32 v2, 0
	s_waitcnt lgkmcnt(0)
	global_store_dwordx2 v2, v[0:1], s[6:7]
                                        ; implicit-def: $vgpr2
.LBB3280_68:
	s_andn2_saveexec_b64 s[4:5], s[4:5]
	s_cbranch_execz .LBB3280_70
; %bb.69:
	ds_read_b64 v[0:1], v2 offset:5120
	v_mov_b32_e32 v2, 0
	s_waitcnt lgkmcnt(0)
	global_store_dwordx2 v2, v[0:1], s[6:7]
.LBB3280_70:
	s_or_b64 exec, exec, s[4:5]
                                        ; implicit-def: $vgpr2
.LBB3280_71:
	s_andn2_saveexec_b64 s[2:3], s[2:3]
	s_cbranch_execz .LBB3280_73
; %bb.72:
	ds_read_b64 v[0:1], v2 offset:4096
	v_mov_b32_e32 v2, 0
	s_waitcnt lgkmcnt(0)
	global_store_dwordx2 v2, v[0:1], s[6:7]
.LBB3280_73:
	s_or_b64 exec, exec, s[2:3]
                                        ; implicit-def: $vgpr0_vgpr1
                                        ; implicit-def: $vgpr2
.LBB3280_74:
	s_andn2_saveexec_b64 s[0:1], s[0:1]
	s_cbranch_execz .LBB3280_86
; %bb.75:
	v_cmp_lt_i64_e32 vcc, 1, v[0:1]
	s_and_saveexec_b64 s[0:1], vcc
	s_xor_b64 s[0:1], exec, s[0:1]
	s_cbranch_execz .LBB3280_81
; %bb.76:
	v_cmp_lt_i64_e32 vcc, 2, v[0:1]
	s_and_saveexec_b64 s[2:3], vcc
	s_xor_b64 s[2:3], exec, s[2:3]
	s_cbranch_execz .LBB3280_78
; %bb.77:
	ds_read_b64 v[0:1], v2 offset:3072
	v_mov_b32_e32 v2, 0
	s_waitcnt lgkmcnt(0)
	global_store_dwordx2 v2, v[0:1], s[6:7]
                                        ; implicit-def: $vgpr2
.LBB3280_78:
	s_andn2_saveexec_b64 s[2:3], s[2:3]
	s_cbranch_execz .LBB3280_80
; %bb.79:
	ds_read_b64 v[0:1], v2 offset:2048
	v_mov_b32_e32 v2, 0
	s_waitcnt lgkmcnt(0)
	global_store_dwordx2 v2, v[0:1], s[6:7]
.LBB3280_80:
	s_or_b64 exec, exec, s[2:3]
                                        ; implicit-def: $vgpr2
                                        ; implicit-def: $vgpr0_vgpr1
.LBB3280_81:
	s_andn2_saveexec_b64 s[0:1], s[0:1]
	s_cbranch_execz .LBB3280_86
; %bb.82:
	v_cmp_ne_u64_e32 vcc, 1, v[0:1]
	s_and_saveexec_b64 s[0:1], vcc
	s_xor_b64 s[0:1], exec, s[0:1]
	s_cbranch_execz .LBB3280_84
; %bb.83:
	ds_read_b64 v[0:1], v2
	v_mov_b32_e32 v2, 0
	s_waitcnt lgkmcnt(0)
	global_store_dwordx2 v2, v[0:1], s[6:7]
                                        ; implicit-def: $vgpr2
.LBB3280_84:
	s_andn2_saveexec_b64 s[0:1], s[0:1]
	s_cbranch_execz .LBB3280_86
; %bb.85:
	ds_read_b64 v[0:1], v2 offset:1024
	v_mov_b32_e32 v2, 0
	s_waitcnt lgkmcnt(0)
	global_store_dwordx2 v2, v[0:1], s[6:7]
.LBB3280_86:
	s_endpgm
	.section	.rodata,"a",@progbits
	.p2align	6, 0x0
	.amdhsa_kernel _ZN7rocprim17ROCPRIM_400000_NS6detail17trampoline_kernelINS0_14default_configENS1_20scan_config_selectorIyEEZZNS1_9scan_implILNS1_25lookback_scan_determinismE0ELb0ELb0ES3_N6thrust23THRUST_200600_302600_NS6detail15normal_iteratorINS9_10device_ptrIyEEEENS9_16discard_iteratorINS9_11use_defaultEEEy11max_functorIyEyEEDaPvRmT3_T4_T5_mT6_P12ihipStream_tbENKUlT_T0_E_clISt17integral_constantIbLb0EESX_EEDaSS_ST_EUlSS_E_NS1_11comp_targetILNS1_3genE4ELNS1_11target_archE910ELNS1_3gpuE8ELNS1_3repE0EEENS1_30default_config_static_selectorELNS0_4arch9wavefront6targetE1EEEvT1_
		.amdhsa_group_segment_fixed_size 7168
		.amdhsa_private_segment_fixed_size 0
		.amdhsa_kernarg_size 112
		.amdhsa_user_sgpr_count 6
		.amdhsa_user_sgpr_private_segment_buffer 1
		.amdhsa_user_sgpr_dispatch_ptr 0
		.amdhsa_user_sgpr_queue_ptr 0
		.amdhsa_user_sgpr_kernarg_segment_ptr 1
		.amdhsa_user_sgpr_dispatch_id 0
		.amdhsa_user_sgpr_flat_scratch_init 0
		.amdhsa_user_sgpr_kernarg_preload_length 0
		.amdhsa_user_sgpr_kernarg_preload_offset 0
		.amdhsa_user_sgpr_private_segment_size 0
		.amdhsa_uses_dynamic_stack 0
		.amdhsa_system_sgpr_private_segment_wavefront_offset 0
		.amdhsa_system_sgpr_workgroup_id_x 1
		.amdhsa_system_sgpr_workgroup_id_y 0
		.amdhsa_system_sgpr_workgroup_id_z 0
		.amdhsa_system_sgpr_workgroup_info 0
		.amdhsa_system_vgpr_workitem_id 0
		.amdhsa_next_free_vgpr 57
		.amdhsa_next_free_sgpr 24
		.amdhsa_accum_offset 60
		.amdhsa_reserve_vcc 1
		.amdhsa_reserve_flat_scratch 0
		.amdhsa_float_round_mode_32 0
		.amdhsa_float_round_mode_16_64 0
		.amdhsa_float_denorm_mode_32 3
		.amdhsa_float_denorm_mode_16_64 3
		.amdhsa_dx10_clamp 1
		.amdhsa_ieee_mode 1
		.amdhsa_fp16_overflow 0
		.amdhsa_tg_split 0
		.amdhsa_exception_fp_ieee_invalid_op 0
		.amdhsa_exception_fp_denorm_src 0
		.amdhsa_exception_fp_ieee_div_zero 0
		.amdhsa_exception_fp_ieee_overflow 0
		.amdhsa_exception_fp_ieee_underflow 0
		.amdhsa_exception_fp_ieee_inexact 0
		.amdhsa_exception_int_div_zero 0
	.end_amdhsa_kernel
	.section	.text._ZN7rocprim17ROCPRIM_400000_NS6detail17trampoline_kernelINS0_14default_configENS1_20scan_config_selectorIyEEZZNS1_9scan_implILNS1_25lookback_scan_determinismE0ELb0ELb0ES3_N6thrust23THRUST_200600_302600_NS6detail15normal_iteratorINS9_10device_ptrIyEEEENS9_16discard_iteratorINS9_11use_defaultEEEy11max_functorIyEyEEDaPvRmT3_T4_T5_mT6_P12ihipStream_tbENKUlT_T0_E_clISt17integral_constantIbLb0EESX_EEDaSS_ST_EUlSS_E_NS1_11comp_targetILNS1_3genE4ELNS1_11target_archE910ELNS1_3gpuE8ELNS1_3repE0EEENS1_30default_config_static_selectorELNS0_4arch9wavefront6targetE1EEEvT1_,"axG",@progbits,_ZN7rocprim17ROCPRIM_400000_NS6detail17trampoline_kernelINS0_14default_configENS1_20scan_config_selectorIyEEZZNS1_9scan_implILNS1_25lookback_scan_determinismE0ELb0ELb0ES3_N6thrust23THRUST_200600_302600_NS6detail15normal_iteratorINS9_10device_ptrIyEEEENS9_16discard_iteratorINS9_11use_defaultEEEy11max_functorIyEyEEDaPvRmT3_T4_T5_mT6_P12ihipStream_tbENKUlT_T0_E_clISt17integral_constantIbLb0EESX_EEDaSS_ST_EUlSS_E_NS1_11comp_targetILNS1_3genE4ELNS1_11target_archE910ELNS1_3gpuE8ELNS1_3repE0EEENS1_30default_config_static_selectorELNS0_4arch9wavefront6targetE1EEEvT1_,comdat
.Lfunc_end3280:
	.size	_ZN7rocprim17ROCPRIM_400000_NS6detail17trampoline_kernelINS0_14default_configENS1_20scan_config_selectorIyEEZZNS1_9scan_implILNS1_25lookback_scan_determinismE0ELb0ELb0ES3_N6thrust23THRUST_200600_302600_NS6detail15normal_iteratorINS9_10device_ptrIyEEEENS9_16discard_iteratorINS9_11use_defaultEEEy11max_functorIyEyEEDaPvRmT3_T4_T5_mT6_P12ihipStream_tbENKUlT_T0_E_clISt17integral_constantIbLb0EESX_EEDaSS_ST_EUlSS_E_NS1_11comp_targetILNS1_3genE4ELNS1_11target_archE910ELNS1_3gpuE8ELNS1_3repE0EEENS1_30default_config_static_selectorELNS0_4arch9wavefront6targetE1EEEvT1_, .Lfunc_end3280-_ZN7rocprim17ROCPRIM_400000_NS6detail17trampoline_kernelINS0_14default_configENS1_20scan_config_selectorIyEEZZNS1_9scan_implILNS1_25lookback_scan_determinismE0ELb0ELb0ES3_N6thrust23THRUST_200600_302600_NS6detail15normal_iteratorINS9_10device_ptrIyEEEENS9_16discard_iteratorINS9_11use_defaultEEEy11max_functorIyEyEEDaPvRmT3_T4_T5_mT6_P12ihipStream_tbENKUlT_T0_E_clISt17integral_constantIbLb0EESX_EEDaSS_ST_EUlSS_E_NS1_11comp_targetILNS1_3genE4ELNS1_11target_archE910ELNS1_3gpuE8ELNS1_3repE0EEENS1_30default_config_static_selectorELNS0_4arch9wavefront6targetE1EEEvT1_
                                        ; -- End function
	.section	.AMDGPU.csdata,"",@progbits
; Kernel info:
; codeLenInByte = 5584
; NumSgprs: 28
; NumVgprs: 57
; NumAgprs: 0
; TotalNumVgprs: 57
; ScratchSize: 0
; MemoryBound: 0
; FloatMode: 240
; IeeeMode: 1
; LDSByteSize: 7168 bytes/workgroup (compile time only)
; SGPRBlocks: 3
; VGPRBlocks: 7
; NumSGPRsForWavesPerEU: 28
; NumVGPRsForWavesPerEU: 57
; AccumOffset: 60
; Occupancy: 5
; WaveLimiterHint : 1
; COMPUTE_PGM_RSRC2:SCRATCH_EN: 0
; COMPUTE_PGM_RSRC2:USER_SGPR: 6
; COMPUTE_PGM_RSRC2:TRAP_HANDLER: 0
; COMPUTE_PGM_RSRC2:TGID_X_EN: 1
; COMPUTE_PGM_RSRC2:TGID_Y_EN: 0
; COMPUTE_PGM_RSRC2:TGID_Z_EN: 0
; COMPUTE_PGM_RSRC2:TIDIG_COMP_CNT: 0
; COMPUTE_PGM_RSRC3_GFX90A:ACCUM_OFFSET: 14
; COMPUTE_PGM_RSRC3_GFX90A:TG_SPLIT: 0
	.section	.text._ZN7rocprim17ROCPRIM_400000_NS6detail17trampoline_kernelINS0_14default_configENS1_20scan_config_selectorIyEEZZNS1_9scan_implILNS1_25lookback_scan_determinismE0ELb0ELb0ES3_N6thrust23THRUST_200600_302600_NS6detail15normal_iteratorINS9_10device_ptrIyEEEENS9_16discard_iteratorINS9_11use_defaultEEEy11max_functorIyEyEEDaPvRmT3_T4_T5_mT6_P12ihipStream_tbENKUlT_T0_E_clISt17integral_constantIbLb0EESX_EEDaSS_ST_EUlSS_E_NS1_11comp_targetILNS1_3genE3ELNS1_11target_archE908ELNS1_3gpuE7ELNS1_3repE0EEENS1_30default_config_static_selectorELNS0_4arch9wavefront6targetE1EEEvT1_,"axG",@progbits,_ZN7rocprim17ROCPRIM_400000_NS6detail17trampoline_kernelINS0_14default_configENS1_20scan_config_selectorIyEEZZNS1_9scan_implILNS1_25lookback_scan_determinismE0ELb0ELb0ES3_N6thrust23THRUST_200600_302600_NS6detail15normal_iteratorINS9_10device_ptrIyEEEENS9_16discard_iteratorINS9_11use_defaultEEEy11max_functorIyEyEEDaPvRmT3_T4_T5_mT6_P12ihipStream_tbENKUlT_T0_E_clISt17integral_constantIbLb0EESX_EEDaSS_ST_EUlSS_E_NS1_11comp_targetILNS1_3genE3ELNS1_11target_archE908ELNS1_3gpuE7ELNS1_3repE0EEENS1_30default_config_static_selectorELNS0_4arch9wavefront6targetE1EEEvT1_,comdat
	.protected	_ZN7rocprim17ROCPRIM_400000_NS6detail17trampoline_kernelINS0_14default_configENS1_20scan_config_selectorIyEEZZNS1_9scan_implILNS1_25lookback_scan_determinismE0ELb0ELb0ES3_N6thrust23THRUST_200600_302600_NS6detail15normal_iteratorINS9_10device_ptrIyEEEENS9_16discard_iteratorINS9_11use_defaultEEEy11max_functorIyEyEEDaPvRmT3_T4_T5_mT6_P12ihipStream_tbENKUlT_T0_E_clISt17integral_constantIbLb0EESX_EEDaSS_ST_EUlSS_E_NS1_11comp_targetILNS1_3genE3ELNS1_11target_archE908ELNS1_3gpuE7ELNS1_3repE0EEENS1_30default_config_static_selectorELNS0_4arch9wavefront6targetE1EEEvT1_ ; -- Begin function _ZN7rocprim17ROCPRIM_400000_NS6detail17trampoline_kernelINS0_14default_configENS1_20scan_config_selectorIyEEZZNS1_9scan_implILNS1_25lookback_scan_determinismE0ELb0ELb0ES3_N6thrust23THRUST_200600_302600_NS6detail15normal_iteratorINS9_10device_ptrIyEEEENS9_16discard_iteratorINS9_11use_defaultEEEy11max_functorIyEyEEDaPvRmT3_T4_T5_mT6_P12ihipStream_tbENKUlT_T0_E_clISt17integral_constantIbLb0EESX_EEDaSS_ST_EUlSS_E_NS1_11comp_targetILNS1_3genE3ELNS1_11target_archE908ELNS1_3gpuE7ELNS1_3repE0EEENS1_30default_config_static_selectorELNS0_4arch9wavefront6targetE1EEEvT1_
	.globl	_ZN7rocprim17ROCPRIM_400000_NS6detail17trampoline_kernelINS0_14default_configENS1_20scan_config_selectorIyEEZZNS1_9scan_implILNS1_25lookback_scan_determinismE0ELb0ELb0ES3_N6thrust23THRUST_200600_302600_NS6detail15normal_iteratorINS9_10device_ptrIyEEEENS9_16discard_iteratorINS9_11use_defaultEEEy11max_functorIyEyEEDaPvRmT3_T4_T5_mT6_P12ihipStream_tbENKUlT_T0_E_clISt17integral_constantIbLb0EESX_EEDaSS_ST_EUlSS_E_NS1_11comp_targetILNS1_3genE3ELNS1_11target_archE908ELNS1_3gpuE7ELNS1_3repE0EEENS1_30default_config_static_selectorELNS0_4arch9wavefront6targetE1EEEvT1_
	.p2align	8
	.type	_ZN7rocprim17ROCPRIM_400000_NS6detail17trampoline_kernelINS0_14default_configENS1_20scan_config_selectorIyEEZZNS1_9scan_implILNS1_25lookback_scan_determinismE0ELb0ELb0ES3_N6thrust23THRUST_200600_302600_NS6detail15normal_iteratorINS9_10device_ptrIyEEEENS9_16discard_iteratorINS9_11use_defaultEEEy11max_functorIyEyEEDaPvRmT3_T4_T5_mT6_P12ihipStream_tbENKUlT_T0_E_clISt17integral_constantIbLb0EESX_EEDaSS_ST_EUlSS_E_NS1_11comp_targetILNS1_3genE3ELNS1_11target_archE908ELNS1_3gpuE7ELNS1_3repE0EEENS1_30default_config_static_selectorELNS0_4arch9wavefront6targetE1EEEvT1_,@function
_ZN7rocprim17ROCPRIM_400000_NS6detail17trampoline_kernelINS0_14default_configENS1_20scan_config_selectorIyEEZZNS1_9scan_implILNS1_25lookback_scan_determinismE0ELb0ELb0ES3_N6thrust23THRUST_200600_302600_NS6detail15normal_iteratorINS9_10device_ptrIyEEEENS9_16discard_iteratorINS9_11use_defaultEEEy11max_functorIyEyEEDaPvRmT3_T4_T5_mT6_P12ihipStream_tbENKUlT_T0_E_clISt17integral_constantIbLb0EESX_EEDaSS_ST_EUlSS_E_NS1_11comp_targetILNS1_3genE3ELNS1_11target_archE908ELNS1_3gpuE7ELNS1_3repE0EEENS1_30default_config_static_selectorELNS0_4arch9wavefront6targetE1EEEvT1_: ; @_ZN7rocprim17ROCPRIM_400000_NS6detail17trampoline_kernelINS0_14default_configENS1_20scan_config_selectorIyEEZZNS1_9scan_implILNS1_25lookback_scan_determinismE0ELb0ELb0ES3_N6thrust23THRUST_200600_302600_NS6detail15normal_iteratorINS9_10device_ptrIyEEEENS9_16discard_iteratorINS9_11use_defaultEEEy11max_functorIyEyEEDaPvRmT3_T4_T5_mT6_P12ihipStream_tbENKUlT_T0_E_clISt17integral_constantIbLb0EESX_EEDaSS_ST_EUlSS_E_NS1_11comp_targetILNS1_3genE3ELNS1_11target_archE908ELNS1_3gpuE7ELNS1_3repE0EEENS1_30default_config_static_selectorELNS0_4arch9wavefront6targetE1EEEvT1_
; %bb.0:
	.section	.rodata,"a",@progbits
	.p2align	6, 0x0
	.amdhsa_kernel _ZN7rocprim17ROCPRIM_400000_NS6detail17trampoline_kernelINS0_14default_configENS1_20scan_config_selectorIyEEZZNS1_9scan_implILNS1_25lookback_scan_determinismE0ELb0ELb0ES3_N6thrust23THRUST_200600_302600_NS6detail15normal_iteratorINS9_10device_ptrIyEEEENS9_16discard_iteratorINS9_11use_defaultEEEy11max_functorIyEyEEDaPvRmT3_T4_T5_mT6_P12ihipStream_tbENKUlT_T0_E_clISt17integral_constantIbLb0EESX_EEDaSS_ST_EUlSS_E_NS1_11comp_targetILNS1_3genE3ELNS1_11target_archE908ELNS1_3gpuE7ELNS1_3repE0EEENS1_30default_config_static_selectorELNS0_4arch9wavefront6targetE1EEEvT1_
		.amdhsa_group_segment_fixed_size 0
		.amdhsa_private_segment_fixed_size 0
		.amdhsa_kernarg_size 112
		.amdhsa_user_sgpr_count 6
		.amdhsa_user_sgpr_private_segment_buffer 1
		.amdhsa_user_sgpr_dispatch_ptr 0
		.amdhsa_user_sgpr_queue_ptr 0
		.amdhsa_user_sgpr_kernarg_segment_ptr 1
		.amdhsa_user_sgpr_dispatch_id 0
		.amdhsa_user_sgpr_flat_scratch_init 0
		.amdhsa_user_sgpr_kernarg_preload_length 0
		.amdhsa_user_sgpr_kernarg_preload_offset 0
		.amdhsa_user_sgpr_private_segment_size 0
		.amdhsa_uses_dynamic_stack 0
		.amdhsa_system_sgpr_private_segment_wavefront_offset 0
		.amdhsa_system_sgpr_workgroup_id_x 1
		.amdhsa_system_sgpr_workgroup_id_y 0
		.amdhsa_system_sgpr_workgroup_id_z 0
		.amdhsa_system_sgpr_workgroup_info 0
		.amdhsa_system_vgpr_workitem_id 0
		.amdhsa_next_free_vgpr 1
		.amdhsa_next_free_sgpr 0
		.amdhsa_accum_offset 4
		.amdhsa_reserve_vcc 0
		.amdhsa_reserve_flat_scratch 0
		.amdhsa_float_round_mode_32 0
		.amdhsa_float_round_mode_16_64 0
		.amdhsa_float_denorm_mode_32 3
		.amdhsa_float_denorm_mode_16_64 3
		.amdhsa_dx10_clamp 1
		.amdhsa_ieee_mode 1
		.amdhsa_fp16_overflow 0
		.amdhsa_tg_split 0
		.amdhsa_exception_fp_ieee_invalid_op 0
		.amdhsa_exception_fp_denorm_src 0
		.amdhsa_exception_fp_ieee_div_zero 0
		.amdhsa_exception_fp_ieee_overflow 0
		.amdhsa_exception_fp_ieee_underflow 0
		.amdhsa_exception_fp_ieee_inexact 0
		.amdhsa_exception_int_div_zero 0
	.end_amdhsa_kernel
	.section	.text._ZN7rocprim17ROCPRIM_400000_NS6detail17trampoline_kernelINS0_14default_configENS1_20scan_config_selectorIyEEZZNS1_9scan_implILNS1_25lookback_scan_determinismE0ELb0ELb0ES3_N6thrust23THRUST_200600_302600_NS6detail15normal_iteratorINS9_10device_ptrIyEEEENS9_16discard_iteratorINS9_11use_defaultEEEy11max_functorIyEyEEDaPvRmT3_T4_T5_mT6_P12ihipStream_tbENKUlT_T0_E_clISt17integral_constantIbLb0EESX_EEDaSS_ST_EUlSS_E_NS1_11comp_targetILNS1_3genE3ELNS1_11target_archE908ELNS1_3gpuE7ELNS1_3repE0EEENS1_30default_config_static_selectorELNS0_4arch9wavefront6targetE1EEEvT1_,"axG",@progbits,_ZN7rocprim17ROCPRIM_400000_NS6detail17trampoline_kernelINS0_14default_configENS1_20scan_config_selectorIyEEZZNS1_9scan_implILNS1_25lookback_scan_determinismE0ELb0ELb0ES3_N6thrust23THRUST_200600_302600_NS6detail15normal_iteratorINS9_10device_ptrIyEEEENS9_16discard_iteratorINS9_11use_defaultEEEy11max_functorIyEyEEDaPvRmT3_T4_T5_mT6_P12ihipStream_tbENKUlT_T0_E_clISt17integral_constantIbLb0EESX_EEDaSS_ST_EUlSS_E_NS1_11comp_targetILNS1_3genE3ELNS1_11target_archE908ELNS1_3gpuE7ELNS1_3repE0EEENS1_30default_config_static_selectorELNS0_4arch9wavefront6targetE1EEEvT1_,comdat
.Lfunc_end3281:
	.size	_ZN7rocprim17ROCPRIM_400000_NS6detail17trampoline_kernelINS0_14default_configENS1_20scan_config_selectorIyEEZZNS1_9scan_implILNS1_25lookback_scan_determinismE0ELb0ELb0ES3_N6thrust23THRUST_200600_302600_NS6detail15normal_iteratorINS9_10device_ptrIyEEEENS9_16discard_iteratorINS9_11use_defaultEEEy11max_functorIyEyEEDaPvRmT3_T4_T5_mT6_P12ihipStream_tbENKUlT_T0_E_clISt17integral_constantIbLb0EESX_EEDaSS_ST_EUlSS_E_NS1_11comp_targetILNS1_3genE3ELNS1_11target_archE908ELNS1_3gpuE7ELNS1_3repE0EEENS1_30default_config_static_selectorELNS0_4arch9wavefront6targetE1EEEvT1_, .Lfunc_end3281-_ZN7rocprim17ROCPRIM_400000_NS6detail17trampoline_kernelINS0_14default_configENS1_20scan_config_selectorIyEEZZNS1_9scan_implILNS1_25lookback_scan_determinismE0ELb0ELb0ES3_N6thrust23THRUST_200600_302600_NS6detail15normal_iteratorINS9_10device_ptrIyEEEENS9_16discard_iteratorINS9_11use_defaultEEEy11max_functorIyEyEEDaPvRmT3_T4_T5_mT6_P12ihipStream_tbENKUlT_T0_E_clISt17integral_constantIbLb0EESX_EEDaSS_ST_EUlSS_E_NS1_11comp_targetILNS1_3genE3ELNS1_11target_archE908ELNS1_3gpuE7ELNS1_3repE0EEENS1_30default_config_static_selectorELNS0_4arch9wavefront6targetE1EEEvT1_
                                        ; -- End function
	.section	.AMDGPU.csdata,"",@progbits
; Kernel info:
; codeLenInByte = 0
; NumSgprs: 4
; NumVgprs: 0
; NumAgprs: 0
; TotalNumVgprs: 0
; ScratchSize: 0
; MemoryBound: 0
; FloatMode: 240
; IeeeMode: 1
; LDSByteSize: 0 bytes/workgroup (compile time only)
; SGPRBlocks: 0
; VGPRBlocks: 0
; NumSGPRsForWavesPerEU: 4
; NumVGPRsForWavesPerEU: 1
; AccumOffset: 4
; Occupancy: 8
; WaveLimiterHint : 0
; COMPUTE_PGM_RSRC2:SCRATCH_EN: 0
; COMPUTE_PGM_RSRC2:USER_SGPR: 6
; COMPUTE_PGM_RSRC2:TRAP_HANDLER: 0
; COMPUTE_PGM_RSRC2:TGID_X_EN: 1
; COMPUTE_PGM_RSRC2:TGID_Y_EN: 0
; COMPUTE_PGM_RSRC2:TGID_Z_EN: 0
; COMPUTE_PGM_RSRC2:TIDIG_COMP_CNT: 0
; COMPUTE_PGM_RSRC3_GFX90A:ACCUM_OFFSET: 0
; COMPUTE_PGM_RSRC3_GFX90A:TG_SPLIT: 0
	.section	.text._ZN7rocprim17ROCPRIM_400000_NS6detail17trampoline_kernelINS0_14default_configENS1_20scan_config_selectorIyEEZZNS1_9scan_implILNS1_25lookback_scan_determinismE0ELb0ELb0ES3_N6thrust23THRUST_200600_302600_NS6detail15normal_iteratorINS9_10device_ptrIyEEEENS9_16discard_iteratorINS9_11use_defaultEEEy11max_functorIyEyEEDaPvRmT3_T4_T5_mT6_P12ihipStream_tbENKUlT_T0_E_clISt17integral_constantIbLb0EESX_EEDaSS_ST_EUlSS_E_NS1_11comp_targetILNS1_3genE2ELNS1_11target_archE906ELNS1_3gpuE6ELNS1_3repE0EEENS1_30default_config_static_selectorELNS0_4arch9wavefront6targetE1EEEvT1_,"axG",@progbits,_ZN7rocprim17ROCPRIM_400000_NS6detail17trampoline_kernelINS0_14default_configENS1_20scan_config_selectorIyEEZZNS1_9scan_implILNS1_25lookback_scan_determinismE0ELb0ELb0ES3_N6thrust23THRUST_200600_302600_NS6detail15normal_iteratorINS9_10device_ptrIyEEEENS9_16discard_iteratorINS9_11use_defaultEEEy11max_functorIyEyEEDaPvRmT3_T4_T5_mT6_P12ihipStream_tbENKUlT_T0_E_clISt17integral_constantIbLb0EESX_EEDaSS_ST_EUlSS_E_NS1_11comp_targetILNS1_3genE2ELNS1_11target_archE906ELNS1_3gpuE6ELNS1_3repE0EEENS1_30default_config_static_selectorELNS0_4arch9wavefront6targetE1EEEvT1_,comdat
	.protected	_ZN7rocprim17ROCPRIM_400000_NS6detail17trampoline_kernelINS0_14default_configENS1_20scan_config_selectorIyEEZZNS1_9scan_implILNS1_25lookback_scan_determinismE0ELb0ELb0ES3_N6thrust23THRUST_200600_302600_NS6detail15normal_iteratorINS9_10device_ptrIyEEEENS9_16discard_iteratorINS9_11use_defaultEEEy11max_functorIyEyEEDaPvRmT3_T4_T5_mT6_P12ihipStream_tbENKUlT_T0_E_clISt17integral_constantIbLb0EESX_EEDaSS_ST_EUlSS_E_NS1_11comp_targetILNS1_3genE2ELNS1_11target_archE906ELNS1_3gpuE6ELNS1_3repE0EEENS1_30default_config_static_selectorELNS0_4arch9wavefront6targetE1EEEvT1_ ; -- Begin function _ZN7rocprim17ROCPRIM_400000_NS6detail17trampoline_kernelINS0_14default_configENS1_20scan_config_selectorIyEEZZNS1_9scan_implILNS1_25lookback_scan_determinismE0ELb0ELb0ES3_N6thrust23THRUST_200600_302600_NS6detail15normal_iteratorINS9_10device_ptrIyEEEENS9_16discard_iteratorINS9_11use_defaultEEEy11max_functorIyEyEEDaPvRmT3_T4_T5_mT6_P12ihipStream_tbENKUlT_T0_E_clISt17integral_constantIbLb0EESX_EEDaSS_ST_EUlSS_E_NS1_11comp_targetILNS1_3genE2ELNS1_11target_archE906ELNS1_3gpuE6ELNS1_3repE0EEENS1_30default_config_static_selectorELNS0_4arch9wavefront6targetE1EEEvT1_
	.globl	_ZN7rocprim17ROCPRIM_400000_NS6detail17trampoline_kernelINS0_14default_configENS1_20scan_config_selectorIyEEZZNS1_9scan_implILNS1_25lookback_scan_determinismE0ELb0ELb0ES3_N6thrust23THRUST_200600_302600_NS6detail15normal_iteratorINS9_10device_ptrIyEEEENS9_16discard_iteratorINS9_11use_defaultEEEy11max_functorIyEyEEDaPvRmT3_T4_T5_mT6_P12ihipStream_tbENKUlT_T0_E_clISt17integral_constantIbLb0EESX_EEDaSS_ST_EUlSS_E_NS1_11comp_targetILNS1_3genE2ELNS1_11target_archE906ELNS1_3gpuE6ELNS1_3repE0EEENS1_30default_config_static_selectorELNS0_4arch9wavefront6targetE1EEEvT1_
	.p2align	8
	.type	_ZN7rocprim17ROCPRIM_400000_NS6detail17trampoline_kernelINS0_14default_configENS1_20scan_config_selectorIyEEZZNS1_9scan_implILNS1_25lookback_scan_determinismE0ELb0ELb0ES3_N6thrust23THRUST_200600_302600_NS6detail15normal_iteratorINS9_10device_ptrIyEEEENS9_16discard_iteratorINS9_11use_defaultEEEy11max_functorIyEyEEDaPvRmT3_T4_T5_mT6_P12ihipStream_tbENKUlT_T0_E_clISt17integral_constantIbLb0EESX_EEDaSS_ST_EUlSS_E_NS1_11comp_targetILNS1_3genE2ELNS1_11target_archE906ELNS1_3gpuE6ELNS1_3repE0EEENS1_30default_config_static_selectorELNS0_4arch9wavefront6targetE1EEEvT1_,@function
_ZN7rocprim17ROCPRIM_400000_NS6detail17trampoline_kernelINS0_14default_configENS1_20scan_config_selectorIyEEZZNS1_9scan_implILNS1_25lookback_scan_determinismE0ELb0ELb0ES3_N6thrust23THRUST_200600_302600_NS6detail15normal_iteratorINS9_10device_ptrIyEEEENS9_16discard_iteratorINS9_11use_defaultEEEy11max_functorIyEyEEDaPvRmT3_T4_T5_mT6_P12ihipStream_tbENKUlT_T0_E_clISt17integral_constantIbLb0EESX_EEDaSS_ST_EUlSS_E_NS1_11comp_targetILNS1_3genE2ELNS1_11target_archE906ELNS1_3gpuE6ELNS1_3repE0EEENS1_30default_config_static_selectorELNS0_4arch9wavefront6targetE1EEEvT1_: ; @_ZN7rocprim17ROCPRIM_400000_NS6detail17trampoline_kernelINS0_14default_configENS1_20scan_config_selectorIyEEZZNS1_9scan_implILNS1_25lookback_scan_determinismE0ELb0ELb0ES3_N6thrust23THRUST_200600_302600_NS6detail15normal_iteratorINS9_10device_ptrIyEEEENS9_16discard_iteratorINS9_11use_defaultEEEy11max_functorIyEyEEDaPvRmT3_T4_T5_mT6_P12ihipStream_tbENKUlT_T0_E_clISt17integral_constantIbLb0EESX_EEDaSS_ST_EUlSS_E_NS1_11comp_targetILNS1_3genE2ELNS1_11target_archE906ELNS1_3gpuE6ELNS1_3repE0EEENS1_30default_config_static_selectorELNS0_4arch9wavefront6targetE1EEEvT1_
; %bb.0:
	.section	.rodata,"a",@progbits
	.p2align	6, 0x0
	.amdhsa_kernel _ZN7rocprim17ROCPRIM_400000_NS6detail17trampoline_kernelINS0_14default_configENS1_20scan_config_selectorIyEEZZNS1_9scan_implILNS1_25lookback_scan_determinismE0ELb0ELb0ES3_N6thrust23THRUST_200600_302600_NS6detail15normal_iteratorINS9_10device_ptrIyEEEENS9_16discard_iteratorINS9_11use_defaultEEEy11max_functorIyEyEEDaPvRmT3_T4_T5_mT6_P12ihipStream_tbENKUlT_T0_E_clISt17integral_constantIbLb0EESX_EEDaSS_ST_EUlSS_E_NS1_11comp_targetILNS1_3genE2ELNS1_11target_archE906ELNS1_3gpuE6ELNS1_3repE0EEENS1_30default_config_static_selectorELNS0_4arch9wavefront6targetE1EEEvT1_
		.amdhsa_group_segment_fixed_size 0
		.amdhsa_private_segment_fixed_size 0
		.amdhsa_kernarg_size 112
		.amdhsa_user_sgpr_count 6
		.amdhsa_user_sgpr_private_segment_buffer 1
		.amdhsa_user_sgpr_dispatch_ptr 0
		.amdhsa_user_sgpr_queue_ptr 0
		.amdhsa_user_sgpr_kernarg_segment_ptr 1
		.amdhsa_user_sgpr_dispatch_id 0
		.amdhsa_user_sgpr_flat_scratch_init 0
		.amdhsa_user_sgpr_kernarg_preload_length 0
		.amdhsa_user_sgpr_kernarg_preload_offset 0
		.amdhsa_user_sgpr_private_segment_size 0
		.amdhsa_uses_dynamic_stack 0
		.amdhsa_system_sgpr_private_segment_wavefront_offset 0
		.amdhsa_system_sgpr_workgroup_id_x 1
		.amdhsa_system_sgpr_workgroup_id_y 0
		.amdhsa_system_sgpr_workgroup_id_z 0
		.amdhsa_system_sgpr_workgroup_info 0
		.amdhsa_system_vgpr_workitem_id 0
		.amdhsa_next_free_vgpr 1
		.amdhsa_next_free_sgpr 0
		.amdhsa_accum_offset 4
		.amdhsa_reserve_vcc 0
		.amdhsa_reserve_flat_scratch 0
		.amdhsa_float_round_mode_32 0
		.amdhsa_float_round_mode_16_64 0
		.amdhsa_float_denorm_mode_32 3
		.amdhsa_float_denorm_mode_16_64 3
		.amdhsa_dx10_clamp 1
		.amdhsa_ieee_mode 1
		.amdhsa_fp16_overflow 0
		.amdhsa_tg_split 0
		.amdhsa_exception_fp_ieee_invalid_op 0
		.amdhsa_exception_fp_denorm_src 0
		.amdhsa_exception_fp_ieee_div_zero 0
		.amdhsa_exception_fp_ieee_overflow 0
		.amdhsa_exception_fp_ieee_underflow 0
		.amdhsa_exception_fp_ieee_inexact 0
		.amdhsa_exception_int_div_zero 0
	.end_amdhsa_kernel
	.section	.text._ZN7rocprim17ROCPRIM_400000_NS6detail17trampoline_kernelINS0_14default_configENS1_20scan_config_selectorIyEEZZNS1_9scan_implILNS1_25lookback_scan_determinismE0ELb0ELb0ES3_N6thrust23THRUST_200600_302600_NS6detail15normal_iteratorINS9_10device_ptrIyEEEENS9_16discard_iteratorINS9_11use_defaultEEEy11max_functorIyEyEEDaPvRmT3_T4_T5_mT6_P12ihipStream_tbENKUlT_T0_E_clISt17integral_constantIbLb0EESX_EEDaSS_ST_EUlSS_E_NS1_11comp_targetILNS1_3genE2ELNS1_11target_archE906ELNS1_3gpuE6ELNS1_3repE0EEENS1_30default_config_static_selectorELNS0_4arch9wavefront6targetE1EEEvT1_,"axG",@progbits,_ZN7rocprim17ROCPRIM_400000_NS6detail17trampoline_kernelINS0_14default_configENS1_20scan_config_selectorIyEEZZNS1_9scan_implILNS1_25lookback_scan_determinismE0ELb0ELb0ES3_N6thrust23THRUST_200600_302600_NS6detail15normal_iteratorINS9_10device_ptrIyEEEENS9_16discard_iteratorINS9_11use_defaultEEEy11max_functorIyEyEEDaPvRmT3_T4_T5_mT6_P12ihipStream_tbENKUlT_T0_E_clISt17integral_constantIbLb0EESX_EEDaSS_ST_EUlSS_E_NS1_11comp_targetILNS1_3genE2ELNS1_11target_archE906ELNS1_3gpuE6ELNS1_3repE0EEENS1_30default_config_static_selectorELNS0_4arch9wavefront6targetE1EEEvT1_,comdat
.Lfunc_end3282:
	.size	_ZN7rocprim17ROCPRIM_400000_NS6detail17trampoline_kernelINS0_14default_configENS1_20scan_config_selectorIyEEZZNS1_9scan_implILNS1_25lookback_scan_determinismE0ELb0ELb0ES3_N6thrust23THRUST_200600_302600_NS6detail15normal_iteratorINS9_10device_ptrIyEEEENS9_16discard_iteratorINS9_11use_defaultEEEy11max_functorIyEyEEDaPvRmT3_T4_T5_mT6_P12ihipStream_tbENKUlT_T0_E_clISt17integral_constantIbLb0EESX_EEDaSS_ST_EUlSS_E_NS1_11comp_targetILNS1_3genE2ELNS1_11target_archE906ELNS1_3gpuE6ELNS1_3repE0EEENS1_30default_config_static_selectorELNS0_4arch9wavefront6targetE1EEEvT1_, .Lfunc_end3282-_ZN7rocprim17ROCPRIM_400000_NS6detail17trampoline_kernelINS0_14default_configENS1_20scan_config_selectorIyEEZZNS1_9scan_implILNS1_25lookback_scan_determinismE0ELb0ELb0ES3_N6thrust23THRUST_200600_302600_NS6detail15normal_iteratorINS9_10device_ptrIyEEEENS9_16discard_iteratorINS9_11use_defaultEEEy11max_functorIyEyEEDaPvRmT3_T4_T5_mT6_P12ihipStream_tbENKUlT_T0_E_clISt17integral_constantIbLb0EESX_EEDaSS_ST_EUlSS_E_NS1_11comp_targetILNS1_3genE2ELNS1_11target_archE906ELNS1_3gpuE6ELNS1_3repE0EEENS1_30default_config_static_selectorELNS0_4arch9wavefront6targetE1EEEvT1_
                                        ; -- End function
	.section	.AMDGPU.csdata,"",@progbits
; Kernel info:
; codeLenInByte = 0
; NumSgprs: 4
; NumVgprs: 0
; NumAgprs: 0
; TotalNumVgprs: 0
; ScratchSize: 0
; MemoryBound: 0
; FloatMode: 240
; IeeeMode: 1
; LDSByteSize: 0 bytes/workgroup (compile time only)
; SGPRBlocks: 0
; VGPRBlocks: 0
; NumSGPRsForWavesPerEU: 4
; NumVGPRsForWavesPerEU: 1
; AccumOffset: 4
; Occupancy: 8
; WaveLimiterHint : 0
; COMPUTE_PGM_RSRC2:SCRATCH_EN: 0
; COMPUTE_PGM_RSRC2:USER_SGPR: 6
; COMPUTE_PGM_RSRC2:TRAP_HANDLER: 0
; COMPUTE_PGM_RSRC2:TGID_X_EN: 1
; COMPUTE_PGM_RSRC2:TGID_Y_EN: 0
; COMPUTE_PGM_RSRC2:TGID_Z_EN: 0
; COMPUTE_PGM_RSRC2:TIDIG_COMP_CNT: 0
; COMPUTE_PGM_RSRC3_GFX90A:ACCUM_OFFSET: 0
; COMPUTE_PGM_RSRC3_GFX90A:TG_SPLIT: 0
	.section	.text._ZN7rocprim17ROCPRIM_400000_NS6detail17trampoline_kernelINS0_14default_configENS1_20scan_config_selectorIyEEZZNS1_9scan_implILNS1_25lookback_scan_determinismE0ELb0ELb0ES3_N6thrust23THRUST_200600_302600_NS6detail15normal_iteratorINS9_10device_ptrIyEEEENS9_16discard_iteratorINS9_11use_defaultEEEy11max_functorIyEyEEDaPvRmT3_T4_T5_mT6_P12ihipStream_tbENKUlT_T0_E_clISt17integral_constantIbLb0EESX_EEDaSS_ST_EUlSS_E_NS1_11comp_targetILNS1_3genE10ELNS1_11target_archE1201ELNS1_3gpuE5ELNS1_3repE0EEENS1_30default_config_static_selectorELNS0_4arch9wavefront6targetE1EEEvT1_,"axG",@progbits,_ZN7rocprim17ROCPRIM_400000_NS6detail17trampoline_kernelINS0_14default_configENS1_20scan_config_selectorIyEEZZNS1_9scan_implILNS1_25lookback_scan_determinismE0ELb0ELb0ES3_N6thrust23THRUST_200600_302600_NS6detail15normal_iteratorINS9_10device_ptrIyEEEENS9_16discard_iteratorINS9_11use_defaultEEEy11max_functorIyEyEEDaPvRmT3_T4_T5_mT6_P12ihipStream_tbENKUlT_T0_E_clISt17integral_constantIbLb0EESX_EEDaSS_ST_EUlSS_E_NS1_11comp_targetILNS1_3genE10ELNS1_11target_archE1201ELNS1_3gpuE5ELNS1_3repE0EEENS1_30default_config_static_selectorELNS0_4arch9wavefront6targetE1EEEvT1_,comdat
	.protected	_ZN7rocprim17ROCPRIM_400000_NS6detail17trampoline_kernelINS0_14default_configENS1_20scan_config_selectorIyEEZZNS1_9scan_implILNS1_25lookback_scan_determinismE0ELb0ELb0ES3_N6thrust23THRUST_200600_302600_NS6detail15normal_iteratorINS9_10device_ptrIyEEEENS9_16discard_iteratorINS9_11use_defaultEEEy11max_functorIyEyEEDaPvRmT3_T4_T5_mT6_P12ihipStream_tbENKUlT_T0_E_clISt17integral_constantIbLb0EESX_EEDaSS_ST_EUlSS_E_NS1_11comp_targetILNS1_3genE10ELNS1_11target_archE1201ELNS1_3gpuE5ELNS1_3repE0EEENS1_30default_config_static_selectorELNS0_4arch9wavefront6targetE1EEEvT1_ ; -- Begin function _ZN7rocprim17ROCPRIM_400000_NS6detail17trampoline_kernelINS0_14default_configENS1_20scan_config_selectorIyEEZZNS1_9scan_implILNS1_25lookback_scan_determinismE0ELb0ELb0ES3_N6thrust23THRUST_200600_302600_NS6detail15normal_iteratorINS9_10device_ptrIyEEEENS9_16discard_iteratorINS9_11use_defaultEEEy11max_functorIyEyEEDaPvRmT3_T4_T5_mT6_P12ihipStream_tbENKUlT_T0_E_clISt17integral_constantIbLb0EESX_EEDaSS_ST_EUlSS_E_NS1_11comp_targetILNS1_3genE10ELNS1_11target_archE1201ELNS1_3gpuE5ELNS1_3repE0EEENS1_30default_config_static_selectorELNS0_4arch9wavefront6targetE1EEEvT1_
	.globl	_ZN7rocprim17ROCPRIM_400000_NS6detail17trampoline_kernelINS0_14default_configENS1_20scan_config_selectorIyEEZZNS1_9scan_implILNS1_25lookback_scan_determinismE0ELb0ELb0ES3_N6thrust23THRUST_200600_302600_NS6detail15normal_iteratorINS9_10device_ptrIyEEEENS9_16discard_iteratorINS9_11use_defaultEEEy11max_functorIyEyEEDaPvRmT3_T4_T5_mT6_P12ihipStream_tbENKUlT_T0_E_clISt17integral_constantIbLb0EESX_EEDaSS_ST_EUlSS_E_NS1_11comp_targetILNS1_3genE10ELNS1_11target_archE1201ELNS1_3gpuE5ELNS1_3repE0EEENS1_30default_config_static_selectorELNS0_4arch9wavefront6targetE1EEEvT1_
	.p2align	8
	.type	_ZN7rocprim17ROCPRIM_400000_NS6detail17trampoline_kernelINS0_14default_configENS1_20scan_config_selectorIyEEZZNS1_9scan_implILNS1_25lookback_scan_determinismE0ELb0ELb0ES3_N6thrust23THRUST_200600_302600_NS6detail15normal_iteratorINS9_10device_ptrIyEEEENS9_16discard_iteratorINS9_11use_defaultEEEy11max_functorIyEyEEDaPvRmT3_T4_T5_mT6_P12ihipStream_tbENKUlT_T0_E_clISt17integral_constantIbLb0EESX_EEDaSS_ST_EUlSS_E_NS1_11comp_targetILNS1_3genE10ELNS1_11target_archE1201ELNS1_3gpuE5ELNS1_3repE0EEENS1_30default_config_static_selectorELNS0_4arch9wavefront6targetE1EEEvT1_,@function
_ZN7rocprim17ROCPRIM_400000_NS6detail17trampoline_kernelINS0_14default_configENS1_20scan_config_selectorIyEEZZNS1_9scan_implILNS1_25lookback_scan_determinismE0ELb0ELb0ES3_N6thrust23THRUST_200600_302600_NS6detail15normal_iteratorINS9_10device_ptrIyEEEENS9_16discard_iteratorINS9_11use_defaultEEEy11max_functorIyEyEEDaPvRmT3_T4_T5_mT6_P12ihipStream_tbENKUlT_T0_E_clISt17integral_constantIbLb0EESX_EEDaSS_ST_EUlSS_E_NS1_11comp_targetILNS1_3genE10ELNS1_11target_archE1201ELNS1_3gpuE5ELNS1_3repE0EEENS1_30default_config_static_selectorELNS0_4arch9wavefront6targetE1EEEvT1_: ; @_ZN7rocprim17ROCPRIM_400000_NS6detail17trampoline_kernelINS0_14default_configENS1_20scan_config_selectorIyEEZZNS1_9scan_implILNS1_25lookback_scan_determinismE0ELb0ELb0ES3_N6thrust23THRUST_200600_302600_NS6detail15normal_iteratorINS9_10device_ptrIyEEEENS9_16discard_iteratorINS9_11use_defaultEEEy11max_functorIyEyEEDaPvRmT3_T4_T5_mT6_P12ihipStream_tbENKUlT_T0_E_clISt17integral_constantIbLb0EESX_EEDaSS_ST_EUlSS_E_NS1_11comp_targetILNS1_3genE10ELNS1_11target_archE1201ELNS1_3gpuE5ELNS1_3repE0EEENS1_30default_config_static_selectorELNS0_4arch9wavefront6targetE1EEEvT1_
; %bb.0:
	.section	.rodata,"a",@progbits
	.p2align	6, 0x0
	.amdhsa_kernel _ZN7rocprim17ROCPRIM_400000_NS6detail17trampoline_kernelINS0_14default_configENS1_20scan_config_selectorIyEEZZNS1_9scan_implILNS1_25lookback_scan_determinismE0ELb0ELb0ES3_N6thrust23THRUST_200600_302600_NS6detail15normal_iteratorINS9_10device_ptrIyEEEENS9_16discard_iteratorINS9_11use_defaultEEEy11max_functorIyEyEEDaPvRmT3_T4_T5_mT6_P12ihipStream_tbENKUlT_T0_E_clISt17integral_constantIbLb0EESX_EEDaSS_ST_EUlSS_E_NS1_11comp_targetILNS1_3genE10ELNS1_11target_archE1201ELNS1_3gpuE5ELNS1_3repE0EEENS1_30default_config_static_selectorELNS0_4arch9wavefront6targetE1EEEvT1_
		.amdhsa_group_segment_fixed_size 0
		.amdhsa_private_segment_fixed_size 0
		.amdhsa_kernarg_size 112
		.amdhsa_user_sgpr_count 6
		.amdhsa_user_sgpr_private_segment_buffer 1
		.amdhsa_user_sgpr_dispatch_ptr 0
		.amdhsa_user_sgpr_queue_ptr 0
		.amdhsa_user_sgpr_kernarg_segment_ptr 1
		.amdhsa_user_sgpr_dispatch_id 0
		.amdhsa_user_sgpr_flat_scratch_init 0
		.amdhsa_user_sgpr_kernarg_preload_length 0
		.amdhsa_user_sgpr_kernarg_preload_offset 0
		.amdhsa_user_sgpr_private_segment_size 0
		.amdhsa_uses_dynamic_stack 0
		.amdhsa_system_sgpr_private_segment_wavefront_offset 0
		.amdhsa_system_sgpr_workgroup_id_x 1
		.amdhsa_system_sgpr_workgroup_id_y 0
		.amdhsa_system_sgpr_workgroup_id_z 0
		.amdhsa_system_sgpr_workgroup_info 0
		.amdhsa_system_vgpr_workitem_id 0
		.amdhsa_next_free_vgpr 1
		.amdhsa_next_free_sgpr 0
		.amdhsa_accum_offset 4
		.amdhsa_reserve_vcc 0
		.amdhsa_reserve_flat_scratch 0
		.amdhsa_float_round_mode_32 0
		.amdhsa_float_round_mode_16_64 0
		.amdhsa_float_denorm_mode_32 3
		.amdhsa_float_denorm_mode_16_64 3
		.amdhsa_dx10_clamp 1
		.amdhsa_ieee_mode 1
		.amdhsa_fp16_overflow 0
		.amdhsa_tg_split 0
		.amdhsa_exception_fp_ieee_invalid_op 0
		.amdhsa_exception_fp_denorm_src 0
		.amdhsa_exception_fp_ieee_div_zero 0
		.amdhsa_exception_fp_ieee_overflow 0
		.amdhsa_exception_fp_ieee_underflow 0
		.amdhsa_exception_fp_ieee_inexact 0
		.amdhsa_exception_int_div_zero 0
	.end_amdhsa_kernel
	.section	.text._ZN7rocprim17ROCPRIM_400000_NS6detail17trampoline_kernelINS0_14default_configENS1_20scan_config_selectorIyEEZZNS1_9scan_implILNS1_25lookback_scan_determinismE0ELb0ELb0ES3_N6thrust23THRUST_200600_302600_NS6detail15normal_iteratorINS9_10device_ptrIyEEEENS9_16discard_iteratorINS9_11use_defaultEEEy11max_functorIyEyEEDaPvRmT3_T4_T5_mT6_P12ihipStream_tbENKUlT_T0_E_clISt17integral_constantIbLb0EESX_EEDaSS_ST_EUlSS_E_NS1_11comp_targetILNS1_3genE10ELNS1_11target_archE1201ELNS1_3gpuE5ELNS1_3repE0EEENS1_30default_config_static_selectorELNS0_4arch9wavefront6targetE1EEEvT1_,"axG",@progbits,_ZN7rocprim17ROCPRIM_400000_NS6detail17trampoline_kernelINS0_14default_configENS1_20scan_config_selectorIyEEZZNS1_9scan_implILNS1_25lookback_scan_determinismE0ELb0ELb0ES3_N6thrust23THRUST_200600_302600_NS6detail15normal_iteratorINS9_10device_ptrIyEEEENS9_16discard_iteratorINS9_11use_defaultEEEy11max_functorIyEyEEDaPvRmT3_T4_T5_mT6_P12ihipStream_tbENKUlT_T0_E_clISt17integral_constantIbLb0EESX_EEDaSS_ST_EUlSS_E_NS1_11comp_targetILNS1_3genE10ELNS1_11target_archE1201ELNS1_3gpuE5ELNS1_3repE0EEENS1_30default_config_static_selectorELNS0_4arch9wavefront6targetE1EEEvT1_,comdat
.Lfunc_end3283:
	.size	_ZN7rocprim17ROCPRIM_400000_NS6detail17trampoline_kernelINS0_14default_configENS1_20scan_config_selectorIyEEZZNS1_9scan_implILNS1_25lookback_scan_determinismE0ELb0ELb0ES3_N6thrust23THRUST_200600_302600_NS6detail15normal_iteratorINS9_10device_ptrIyEEEENS9_16discard_iteratorINS9_11use_defaultEEEy11max_functorIyEyEEDaPvRmT3_T4_T5_mT6_P12ihipStream_tbENKUlT_T0_E_clISt17integral_constantIbLb0EESX_EEDaSS_ST_EUlSS_E_NS1_11comp_targetILNS1_3genE10ELNS1_11target_archE1201ELNS1_3gpuE5ELNS1_3repE0EEENS1_30default_config_static_selectorELNS0_4arch9wavefront6targetE1EEEvT1_, .Lfunc_end3283-_ZN7rocprim17ROCPRIM_400000_NS6detail17trampoline_kernelINS0_14default_configENS1_20scan_config_selectorIyEEZZNS1_9scan_implILNS1_25lookback_scan_determinismE0ELb0ELb0ES3_N6thrust23THRUST_200600_302600_NS6detail15normal_iteratorINS9_10device_ptrIyEEEENS9_16discard_iteratorINS9_11use_defaultEEEy11max_functorIyEyEEDaPvRmT3_T4_T5_mT6_P12ihipStream_tbENKUlT_T0_E_clISt17integral_constantIbLb0EESX_EEDaSS_ST_EUlSS_E_NS1_11comp_targetILNS1_3genE10ELNS1_11target_archE1201ELNS1_3gpuE5ELNS1_3repE0EEENS1_30default_config_static_selectorELNS0_4arch9wavefront6targetE1EEEvT1_
                                        ; -- End function
	.section	.AMDGPU.csdata,"",@progbits
; Kernel info:
; codeLenInByte = 0
; NumSgprs: 4
; NumVgprs: 0
; NumAgprs: 0
; TotalNumVgprs: 0
; ScratchSize: 0
; MemoryBound: 0
; FloatMode: 240
; IeeeMode: 1
; LDSByteSize: 0 bytes/workgroup (compile time only)
; SGPRBlocks: 0
; VGPRBlocks: 0
; NumSGPRsForWavesPerEU: 4
; NumVGPRsForWavesPerEU: 1
; AccumOffset: 4
; Occupancy: 8
; WaveLimiterHint : 0
; COMPUTE_PGM_RSRC2:SCRATCH_EN: 0
; COMPUTE_PGM_RSRC2:USER_SGPR: 6
; COMPUTE_PGM_RSRC2:TRAP_HANDLER: 0
; COMPUTE_PGM_RSRC2:TGID_X_EN: 1
; COMPUTE_PGM_RSRC2:TGID_Y_EN: 0
; COMPUTE_PGM_RSRC2:TGID_Z_EN: 0
; COMPUTE_PGM_RSRC2:TIDIG_COMP_CNT: 0
; COMPUTE_PGM_RSRC3_GFX90A:ACCUM_OFFSET: 0
; COMPUTE_PGM_RSRC3_GFX90A:TG_SPLIT: 0
	.section	.text._ZN7rocprim17ROCPRIM_400000_NS6detail17trampoline_kernelINS0_14default_configENS1_20scan_config_selectorIyEEZZNS1_9scan_implILNS1_25lookback_scan_determinismE0ELb0ELb0ES3_N6thrust23THRUST_200600_302600_NS6detail15normal_iteratorINS9_10device_ptrIyEEEENS9_16discard_iteratorINS9_11use_defaultEEEy11max_functorIyEyEEDaPvRmT3_T4_T5_mT6_P12ihipStream_tbENKUlT_T0_E_clISt17integral_constantIbLb0EESX_EEDaSS_ST_EUlSS_E_NS1_11comp_targetILNS1_3genE10ELNS1_11target_archE1200ELNS1_3gpuE4ELNS1_3repE0EEENS1_30default_config_static_selectorELNS0_4arch9wavefront6targetE1EEEvT1_,"axG",@progbits,_ZN7rocprim17ROCPRIM_400000_NS6detail17trampoline_kernelINS0_14default_configENS1_20scan_config_selectorIyEEZZNS1_9scan_implILNS1_25lookback_scan_determinismE0ELb0ELb0ES3_N6thrust23THRUST_200600_302600_NS6detail15normal_iteratorINS9_10device_ptrIyEEEENS9_16discard_iteratorINS9_11use_defaultEEEy11max_functorIyEyEEDaPvRmT3_T4_T5_mT6_P12ihipStream_tbENKUlT_T0_E_clISt17integral_constantIbLb0EESX_EEDaSS_ST_EUlSS_E_NS1_11comp_targetILNS1_3genE10ELNS1_11target_archE1200ELNS1_3gpuE4ELNS1_3repE0EEENS1_30default_config_static_selectorELNS0_4arch9wavefront6targetE1EEEvT1_,comdat
	.protected	_ZN7rocprim17ROCPRIM_400000_NS6detail17trampoline_kernelINS0_14default_configENS1_20scan_config_selectorIyEEZZNS1_9scan_implILNS1_25lookback_scan_determinismE0ELb0ELb0ES3_N6thrust23THRUST_200600_302600_NS6detail15normal_iteratorINS9_10device_ptrIyEEEENS9_16discard_iteratorINS9_11use_defaultEEEy11max_functorIyEyEEDaPvRmT3_T4_T5_mT6_P12ihipStream_tbENKUlT_T0_E_clISt17integral_constantIbLb0EESX_EEDaSS_ST_EUlSS_E_NS1_11comp_targetILNS1_3genE10ELNS1_11target_archE1200ELNS1_3gpuE4ELNS1_3repE0EEENS1_30default_config_static_selectorELNS0_4arch9wavefront6targetE1EEEvT1_ ; -- Begin function _ZN7rocprim17ROCPRIM_400000_NS6detail17trampoline_kernelINS0_14default_configENS1_20scan_config_selectorIyEEZZNS1_9scan_implILNS1_25lookback_scan_determinismE0ELb0ELb0ES3_N6thrust23THRUST_200600_302600_NS6detail15normal_iteratorINS9_10device_ptrIyEEEENS9_16discard_iteratorINS9_11use_defaultEEEy11max_functorIyEyEEDaPvRmT3_T4_T5_mT6_P12ihipStream_tbENKUlT_T0_E_clISt17integral_constantIbLb0EESX_EEDaSS_ST_EUlSS_E_NS1_11comp_targetILNS1_3genE10ELNS1_11target_archE1200ELNS1_3gpuE4ELNS1_3repE0EEENS1_30default_config_static_selectorELNS0_4arch9wavefront6targetE1EEEvT1_
	.globl	_ZN7rocprim17ROCPRIM_400000_NS6detail17trampoline_kernelINS0_14default_configENS1_20scan_config_selectorIyEEZZNS1_9scan_implILNS1_25lookback_scan_determinismE0ELb0ELb0ES3_N6thrust23THRUST_200600_302600_NS6detail15normal_iteratorINS9_10device_ptrIyEEEENS9_16discard_iteratorINS9_11use_defaultEEEy11max_functorIyEyEEDaPvRmT3_T4_T5_mT6_P12ihipStream_tbENKUlT_T0_E_clISt17integral_constantIbLb0EESX_EEDaSS_ST_EUlSS_E_NS1_11comp_targetILNS1_3genE10ELNS1_11target_archE1200ELNS1_3gpuE4ELNS1_3repE0EEENS1_30default_config_static_selectorELNS0_4arch9wavefront6targetE1EEEvT1_
	.p2align	8
	.type	_ZN7rocprim17ROCPRIM_400000_NS6detail17trampoline_kernelINS0_14default_configENS1_20scan_config_selectorIyEEZZNS1_9scan_implILNS1_25lookback_scan_determinismE0ELb0ELb0ES3_N6thrust23THRUST_200600_302600_NS6detail15normal_iteratorINS9_10device_ptrIyEEEENS9_16discard_iteratorINS9_11use_defaultEEEy11max_functorIyEyEEDaPvRmT3_T4_T5_mT6_P12ihipStream_tbENKUlT_T0_E_clISt17integral_constantIbLb0EESX_EEDaSS_ST_EUlSS_E_NS1_11comp_targetILNS1_3genE10ELNS1_11target_archE1200ELNS1_3gpuE4ELNS1_3repE0EEENS1_30default_config_static_selectorELNS0_4arch9wavefront6targetE1EEEvT1_,@function
_ZN7rocprim17ROCPRIM_400000_NS6detail17trampoline_kernelINS0_14default_configENS1_20scan_config_selectorIyEEZZNS1_9scan_implILNS1_25lookback_scan_determinismE0ELb0ELb0ES3_N6thrust23THRUST_200600_302600_NS6detail15normal_iteratorINS9_10device_ptrIyEEEENS9_16discard_iteratorINS9_11use_defaultEEEy11max_functorIyEyEEDaPvRmT3_T4_T5_mT6_P12ihipStream_tbENKUlT_T0_E_clISt17integral_constantIbLb0EESX_EEDaSS_ST_EUlSS_E_NS1_11comp_targetILNS1_3genE10ELNS1_11target_archE1200ELNS1_3gpuE4ELNS1_3repE0EEENS1_30default_config_static_selectorELNS0_4arch9wavefront6targetE1EEEvT1_: ; @_ZN7rocprim17ROCPRIM_400000_NS6detail17trampoline_kernelINS0_14default_configENS1_20scan_config_selectorIyEEZZNS1_9scan_implILNS1_25lookback_scan_determinismE0ELb0ELb0ES3_N6thrust23THRUST_200600_302600_NS6detail15normal_iteratorINS9_10device_ptrIyEEEENS9_16discard_iteratorINS9_11use_defaultEEEy11max_functorIyEyEEDaPvRmT3_T4_T5_mT6_P12ihipStream_tbENKUlT_T0_E_clISt17integral_constantIbLb0EESX_EEDaSS_ST_EUlSS_E_NS1_11comp_targetILNS1_3genE10ELNS1_11target_archE1200ELNS1_3gpuE4ELNS1_3repE0EEENS1_30default_config_static_selectorELNS0_4arch9wavefront6targetE1EEEvT1_
; %bb.0:
	.section	.rodata,"a",@progbits
	.p2align	6, 0x0
	.amdhsa_kernel _ZN7rocprim17ROCPRIM_400000_NS6detail17trampoline_kernelINS0_14default_configENS1_20scan_config_selectorIyEEZZNS1_9scan_implILNS1_25lookback_scan_determinismE0ELb0ELb0ES3_N6thrust23THRUST_200600_302600_NS6detail15normal_iteratorINS9_10device_ptrIyEEEENS9_16discard_iteratorINS9_11use_defaultEEEy11max_functorIyEyEEDaPvRmT3_T4_T5_mT6_P12ihipStream_tbENKUlT_T0_E_clISt17integral_constantIbLb0EESX_EEDaSS_ST_EUlSS_E_NS1_11comp_targetILNS1_3genE10ELNS1_11target_archE1200ELNS1_3gpuE4ELNS1_3repE0EEENS1_30default_config_static_selectorELNS0_4arch9wavefront6targetE1EEEvT1_
		.amdhsa_group_segment_fixed_size 0
		.amdhsa_private_segment_fixed_size 0
		.amdhsa_kernarg_size 112
		.amdhsa_user_sgpr_count 6
		.amdhsa_user_sgpr_private_segment_buffer 1
		.amdhsa_user_sgpr_dispatch_ptr 0
		.amdhsa_user_sgpr_queue_ptr 0
		.amdhsa_user_sgpr_kernarg_segment_ptr 1
		.amdhsa_user_sgpr_dispatch_id 0
		.amdhsa_user_sgpr_flat_scratch_init 0
		.amdhsa_user_sgpr_kernarg_preload_length 0
		.amdhsa_user_sgpr_kernarg_preload_offset 0
		.amdhsa_user_sgpr_private_segment_size 0
		.amdhsa_uses_dynamic_stack 0
		.amdhsa_system_sgpr_private_segment_wavefront_offset 0
		.amdhsa_system_sgpr_workgroup_id_x 1
		.amdhsa_system_sgpr_workgroup_id_y 0
		.amdhsa_system_sgpr_workgroup_id_z 0
		.amdhsa_system_sgpr_workgroup_info 0
		.amdhsa_system_vgpr_workitem_id 0
		.amdhsa_next_free_vgpr 1
		.amdhsa_next_free_sgpr 0
		.amdhsa_accum_offset 4
		.amdhsa_reserve_vcc 0
		.amdhsa_reserve_flat_scratch 0
		.amdhsa_float_round_mode_32 0
		.amdhsa_float_round_mode_16_64 0
		.amdhsa_float_denorm_mode_32 3
		.amdhsa_float_denorm_mode_16_64 3
		.amdhsa_dx10_clamp 1
		.amdhsa_ieee_mode 1
		.amdhsa_fp16_overflow 0
		.amdhsa_tg_split 0
		.amdhsa_exception_fp_ieee_invalid_op 0
		.amdhsa_exception_fp_denorm_src 0
		.amdhsa_exception_fp_ieee_div_zero 0
		.amdhsa_exception_fp_ieee_overflow 0
		.amdhsa_exception_fp_ieee_underflow 0
		.amdhsa_exception_fp_ieee_inexact 0
		.amdhsa_exception_int_div_zero 0
	.end_amdhsa_kernel
	.section	.text._ZN7rocprim17ROCPRIM_400000_NS6detail17trampoline_kernelINS0_14default_configENS1_20scan_config_selectorIyEEZZNS1_9scan_implILNS1_25lookback_scan_determinismE0ELb0ELb0ES3_N6thrust23THRUST_200600_302600_NS6detail15normal_iteratorINS9_10device_ptrIyEEEENS9_16discard_iteratorINS9_11use_defaultEEEy11max_functorIyEyEEDaPvRmT3_T4_T5_mT6_P12ihipStream_tbENKUlT_T0_E_clISt17integral_constantIbLb0EESX_EEDaSS_ST_EUlSS_E_NS1_11comp_targetILNS1_3genE10ELNS1_11target_archE1200ELNS1_3gpuE4ELNS1_3repE0EEENS1_30default_config_static_selectorELNS0_4arch9wavefront6targetE1EEEvT1_,"axG",@progbits,_ZN7rocprim17ROCPRIM_400000_NS6detail17trampoline_kernelINS0_14default_configENS1_20scan_config_selectorIyEEZZNS1_9scan_implILNS1_25lookback_scan_determinismE0ELb0ELb0ES3_N6thrust23THRUST_200600_302600_NS6detail15normal_iteratorINS9_10device_ptrIyEEEENS9_16discard_iteratorINS9_11use_defaultEEEy11max_functorIyEyEEDaPvRmT3_T4_T5_mT6_P12ihipStream_tbENKUlT_T0_E_clISt17integral_constantIbLb0EESX_EEDaSS_ST_EUlSS_E_NS1_11comp_targetILNS1_3genE10ELNS1_11target_archE1200ELNS1_3gpuE4ELNS1_3repE0EEENS1_30default_config_static_selectorELNS0_4arch9wavefront6targetE1EEEvT1_,comdat
.Lfunc_end3284:
	.size	_ZN7rocprim17ROCPRIM_400000_NS6detail17trampoline_kernelINS0_14default_configENS1_20scan_config_selectorIyEEZZNS1_9scan_implILNS1_25lookback_scan_determinismE0ELb0ELb0ES3_N6thrust23THRUST_200600_302600_NS6detail15normal_iteratorINS9_10device_ptrIyEEEENS9_16discard_iteratorINS9_11use_defaultEEEy11max_functorIyEyEEDaPvRmT3_T4_T5_mT6_P12ihipStream_tbENKUlT_T0_E_clISt17integral_constantIbLb0EESX_EEDaSS_ST_EUlSS_E_NS1_11comp_targetILNS1_3genE10ELNS1_11target_archE1200ELNS1_3gpuE4ELNS1_3repE0EEENS1_30default_config_static_selectorELNS0_4arch9wavefront6targetE1EEEvT1_, .Lfunc_end3284-_ZN7rocprim17ROCPRIM_400000_NS6detail17trampoline_kernelINS0_14default_configENS1_20scan_config_selectorIyEEZZNS1_9scan_implILNS1_25lookback_scan_determinismE0ELb0ELb0ES3_N6thrust23THRUST_200600_302600_NS6detail15normal_iteratorINS9_10device_ptrIyEEEENS9_16discard_iteratorINS9_11use_defaultEEEy11max_functorIyEyEEDaPvRmT3_T4_T5_mT6_P12ihipStream_tbENKUlT_T0_E_clISt17integral_constantIbLb0EESX_EEDaSS_ST_EUlSS_E_NS1_11comp_targetILNS1_3genE10ELNS1_11target_archE1200ELNS1_3gpuE4ELNS1_3repE0EEENS1_30default_config_static_selectorELNS0_4arch9wavefront6targetE1EEEvT1_
                                        ; -- End function
	.section	.AMDGPU.csdata,"",@progbits
; Kernel info:
; codeLenInByte = 0
; NumSgprs: 4
; NumVgprs: 0
; NumAgprs: 0
; TotalNumVgprs: 0
; ScratchSize: 0
; MemoryBound: 0
; FloatMode: 240
; IeeeMode: 1
; LDSByteSize: 0 bytes/workgroup (compile time only)
; SGPRBlocks: 0
; VGPRBlocks: 0
; NumSGPRsForWavesPerEU: 4
; NumVGPRsForWavesPerEU: 1
; AccumOffset: 4
; Occupancy: 8
; WaveLimiterHint : 0
; COMPUTE_PGM_RSRC2:SCRATCH_EN: 0
; COMPUTE_PGM_RSRC2:USER_SGPR: 6
; COMPUTE_PGM_RSRC2:TRAP_HANDLER: 0
; COMPUTE_PGM_RSRC2:TGID_X_EN: 1
; COMPUTE_PGM_RSRC2:TGID_Y_EN: 0
; COMPUTE_PGM_RSRC2:TGID_Z_EN: 0
; COMPUTE_PGM_RSRC2:TIDIG_COMP_CNT: 0
; COMPUTE_PGM_RSRC3_GFX90A:ACCUM_OFFSET: 0
; COMPUTE_PGM_RSRC3_GFX90A:TG_SPLIT: 0
	.section	.text._ZN7rocprim17ROCPRIM_400000_NS6detail17trampoline_kernelINS0_14default_configENS1_20scan_config_selectorIyEEZZNS1_9scan_implILNS1_25lookback_scan_determinismE0ELb0ELb0ES3_N6thrust23THRUST_200600_302600_NS6detail15normal_iteratorINS9_10device_ptrIyEEEENS9_16discard_iteratorINS9_11use_defaultEEEy11max_functorIyEyEEDaPvRmT3_T4_T5_mT6_P12ihipStream_tbENKUlT_T0_E_clISt17integral_constantIbLb0EESX_EEDaSS_ST_EUlSS_E_NS1_11comp_targetILNS1_3genE9ELNS1_11target_archE1100ELNS1_3gpuE3ELNS1_3repE0EEENS1_30default_config_static_selectorELNS0_4arch9wavefront6targetE1EEEvT1_,"axG",@progbits,_ZN7rocprim17ROCPRIM_400000_NS6detail17trampoline_kernelINS0_14default_configENS1_20scan_config_selectorIyEEZZNS1_9scan_implILNS1_25lookback_scan_determinismE0ELb0ELb0ES3_N6thrust23THRUST_200600_302600_NS6detail15normal_iteratorINS9_10device_ptrIyEEEENS9_16discard_iteratorINS9_11use_defaultEEEy11max_functorIyEyEEDaPvRmT3_T4_T5_mT6_P12ihipStream_tbENKUlT_T0_E_clISt17integral_constantIbLb0EESX_EEDaSS_ST_EUlSS_E_NS1_11comp_targetILNS1_3genE9ELNS1_11target_archE1100ELNS1_3gpuE3ELNS1_3repE0EEENS1_30default_config_static_selectorELNS0_4arch9wavefront6targetE1EEEvT1_,comdat
	.protected	_ZN7rocprim17ROCPRIM_400000_NS6detail17trampoline_kernelINS0_14default_configENS1_20scan_config_selectorIyEEZZNS1_9scan_implILNS1_25lookback_scan_determinismE0ELb0ELb0ES3_N6thrust23THRUST_200600_302600_NS6detail15normal_iteratorINS9_10device_ptrIyEEEENS9_16discard_iteratorINS9_11use_defaultEEEy11max_functorIyEyEEDaPvRmT3_T4_T5_mT6_P12ihipStream_tbENKUlT_T0_E_clISt17integral_constantIbLb0EESX_EEDaSS_ST_EUlSS_E_NS1_11comp_targetILNS1_3genE9ELNS1_11target_archE1100ELNS1_3gpuE3ELNS1_3repE0EEENS1_30default_config_static_selectorELNS0_4arch9wavefront6targetE1EEEvT1_ ; -- Begin function _ZN7rocprim17ROCPRIM_400000_NS6detail17trampoline_kernelINS0_14default_configENS1_20scan_config_selectorIyEEZZNS1_9scan_implILNS1_25lookback_scan_determinismE0ELb0ELb0ES3_N6thrust23THRUST_200600_302600_NS6detail15normal_iteratorINS9_10device_ptrIyEEEENS9_16discard_iteratorINS9_11use_defaultEEEy11max_functorIyEyEEDaPvRmT3_T4_T5_mT6_P12ihipStream_tbENKUlT_T0_E_clISt17integral_constantIbLb0EESX_EEDaSS_ST_EUlSS_E_NS1_11comp_targetILNS1_3genE9ELNS1_11target_archE1100ELNS1_3gpuE3ELNS1_3repE0EEENS1_30default_config_static_selectorELNS0_4arch9wavefront6targetE1EEEvT1_
	.globl	_ZN7rocprim17ROCPRIM_400000_NS6detail17trampoline_kernelINS0_14default_configENS1_20scan_config_selectorIyEEZZNS1_9scan_implILNS1_25lookback_scan_determinismE0ELb0ELb0ES3_N6thrust23THRUST_200600_302600_NS6detail15normal_iteratorINS9_10device_ptrIyEEEENS9_16discard_iteratorINS9_11use_defaultEEEy11max_functorIyEyEEDaPvRmT3_T4_T5_mT6_P12ihipStream_tbENKUlT_T0_E_clISt17integral_constantIbLb0EESX_EEDaSS_ST_EUlSS_E_NS1_11comp_targetILNS1_3genE9ELNS1_11target_archE1100ELNS1_3gpuE3ELNS1_3repE0EEENS1_30default_config_static_selectorELNS0_4arch9wavefront6targetE1EEEvT1_
	.p2align	8
	.type	_ZN7rocprim17ROCPRIM_400000_NS6detail17trampoline_kernelINS0_14default_configENS1_20scan_config_selectorIyEEZZNS1_9scan_implILNS1_25lookback_scan_determinismE0ELb0ELb0ES3_N6thrust23THRUST_200600_302600_NS6detail15normal_iteratorINS9_10device_ptrIyEEEENS9_16discard_iteratorINS9_11use_defaultEEEy11max_functorIyEyEEDaPvRmT3_T4_T5_mT6_P12ihipStream_tbENKUlT_T0_E_clISt17integral_constantIbLb0EESX_EEDaSS_ST_EUlSS_E_NS1_11comp_targetILNS1_3genE9ELNS1_11target_archE1100ELNS1_3gpuE3ELNS1_3repE0EEENS1_30default_config_static_selectorELNS0_4arch9wavefront6targetE1EEEvT1_,@function
_ZN7rocprim17ROCPRIM_400000_NS6detail17trampoline_kernelINS0_14default_configENS1_20scan_config_selectorIyEEZZNS1_9scan_implILNS1_25lookback_scan_determinismE0ELb0ELb0ES3_N6thrust23THRUST_200600_302600_NS6detail15normal_iteratorINS9_10device_ptrIyEEEENS9_16discard_iteratorINS9_11use_defaultEEEy11max_functorIyEyEEDaPvRmT3_T4_T5_mT6_P12ihipStream_tbENKUlT_T0_E_clISt17integral_constantIbLb0EESX_EEDaSS_ST_EUlSS_E_NS1_11comp_targetILNS1_3genE9ELNS1_11target_archE1100ELNS1_3gpuE3ELNS1_3repE0EEENS1_30default_config_static_selectorELNS0_4arch9wavefront6targetE1EEEvT1_: ; @_ZN7rocprim17ROCPRIM_400000_NS6detail17trampoline_kernelINS0_14default_configENS1_20scan_config_selectorIyEEZZNS1_9scan_implILNS1_25lookback_scan_determinismE0ELb0ELb0ES3_N6thrust23THRUST_200600_302600_NS6detail15normal_iteratorINS9_10device_ptrIyEEEENS9_16discard_iteratorINS9_11use_defaultEEEy11max_functorIyEyEEDaPvRmT3_T4_T5_mT6_P12ihipStream_tbENKUlT_T0_E_clISt17integral_constantIbLb0EESX_EEDaSS_ST_EUlSS_E_NS1_11comp_targetILNS1_3genE9ELNS1_11target_archE1100ELNS1_3gpuE3ELNS1_3repE0EEENS1_30default_config_static_selectorELNS0_4arch9wavefront6targetE1EEEvT1_
; %bb.0:
	.section	.rodata,"a",@progbits
	.p2align	6, 0x0
	.amdhsa_kernel _ZN7rocprim17ROCPRIM_400000_NS6detail17trampoline_kernelINS0_14default_configENS1_20scan_config_selectorIyEEZZNS1_9scan_implILNS1_25lookback_scan_determinismE0ELb0ELb0ES3_N6thrust23THRUST_200600_302600_NS6detail15normal_iteratorINS9_10device_ptrIyEEEENS9_16discard_iteratorINS9_11use_defaultEEEy11max_functorIyEyEEDaPvRmT3_T4_T5_mT6_P12ihipStream_tbENKUlT_T0_E_clISt17integral_constantIbLb0EESX_EEDaSS_ST_EUlSS_E_NS1_11comp_targetILNS1_3genE9ELNS1_11target_archE1100ELNS1_3gpuE3ELNS1_3repE0EEENS1_30default_config_static_selectorELNS0_4arch9wavefront6targetE1EEEvT1_
		.amdhsa_group_segment_fixed_size 0
		.amdhsa_private_segment_fixed_size 0
		.amdhsa_kernarg_size 112
		.amdhsa_user_sgpr_count 6
		.amdhsa_user_sgpr_private_segment_buffer 1
		.amdhsa_user_sgpr_dispatch_ptr 0
		.amdhsa_user_sgpr_queue_ptr 0
		.amdhsa_user_sgpr_kernarg_segment_ptr 1
		.amdhsa_user_sgpr_dispatch_id 0
		.amdhsa_user_sgpr_flat_scratch_init 0
		.amdhsa_user_sgpr_kernarg_preload_length 0
		.amdhsa_user_sgpr_kernarg_preload_offset 0
		.amdhsa_user_sgpr_private_segment_size 0
		.amdhsa_uses_dynamic_stack 0
		.amdhsa_system_sgpr_private_segment_wavefront_offset 0
		.amdhsa_system_sgpr_workgroup_id_x 1
		.amdhsa_system_sgpr_workgroup_id_y 0
		.amdhsa_system_sgpr_workgroup_id_z 0
		.amdhsa_system_sgpr_workgroup_info 0
		.amdhsa_system_vgpr_workitem_id 0
		.amdhsa_next_free_vgpr 1
		.amdhsa_next_free_sgpr 0
		.amdhsa_accum_offset 4
		.amdhsa_reserve_vcc 0
		.amdhsa_reserve_flat_scratch 0
		.amdhsa_float_round_mode_32 0
		.amdhsa_float_round_mode_16_64 0
		.amdhsa_float_denorm_mode_32 3
		.amdhsa_float_denorm_mode_16_64 3
		.amdhsa_dx10_clamp 1
		.amdhsa_ieee_mode 1
		.amdhsa_fp16_overflow 0
		.amdhsa_tg_split 0
		.amdhsa_exception_fp_ieee_invalid_op 0
		.amdhsa_exception_fp_denorm_src 0
		.amdhsa_exception_fp_ieee_div_zero 0
		.amdhsa_exception_fp_ieee_overflow 0
		.amdhsa_exception_fp_ieee_underflow 0
		.amdhsa_exception_fp_ieee_inexact 0
		.amdhsa_exception_int_div_zero 0
	.end_amdhsa_kernel
	.section	.text._ZN7rocprim17ROCPRIM_400000_NS6detail17trampoline_kernelINS0_14default_configENS1_20scan_config_selectorIyEEZZNS1_9scan_implILNS1_25lookback_scan_determinismE0ELb0ELb0ES3_N6thrust23THRUST_200600_302600_NS6detail15normal_iteratorINS9_10device_ptrIyEEEENS9_16discard_iteratorINS9_11use_defaultEEEy11max_functorIyEyEEDaPvRmT3_T4_T5_mT6_P12ihipStream_tbENKUlT_T0_E_clISt17integral_constantIbLb0EESX_EEDaSS_ST_EUlSS_E_NS1_11comp_targetILNS1_3genE9ELNS1_11target_archE1100ELNS1_3gpuE3ELNS1_3repE0EEENS1_30default_config_static_selectorELNS0_4arch9wavefront6targetE1EEEvT1_,"axG",@progbits,_ZN7rocprim17ROCPRIM_400000_NS6detail17trampoline_kernelINS0_14default_configENS1_20scan_config_selectorIyEEZZNS1_9scan_implILNS1_25lookback_scan_determinismE0ELb0ELb0ES3_N6thrust23THRUST_200600_302600_NS6detail15normal_iteratorINS9_10device_ptrIyEEEENS9_16discard_iteratorINS9_11use_defaultEEEy11max_functorIyEyEEDaPvRmT3_T4_T5_mT6_P12ihipStream_tbENKUlT_T0_E_clISt17integral_constantIbLb0EESX_EEDaSS_ST_EUlSS_E_NS1_11comp_targetILNS1_3genE9ELNS1_11target_archE1100ELNS1_3gpuE3ELNS1_3repE0EEENS1_30default_config_static_selectorELNS0_4arch9wavefront6targetE1EEEvT1_,comdat
.Lfunc_end3285:
	.size	_ZN7rocprim17ROCPRIM_400000_NS6detail17trampoline_kernelINS0_14default_configENS1_20scan_config_selectorIyEEZZNS1_9scan_implILNS1_25lookback_scan_determinismE0ELb0ELb0ES3_N6thrust23THRUST_200600_302600_NS6detail15normal_iteratorINS9_10device_ptrIyEEEENS9_16discard_iteratorINS9_11use_defaultEEEy11max_functorIyEyEEDaPvRmT3_T4_T5_mT6_P12ihipStream_tbENKUlT_T0_E_clISt17integral_constantIbLb0EESX_EEDaSS_ST_EUlSS_E_NS1_11comp_targetILNS1_3genE9ELNS1_11target_archE1100ELNS1_3gpuE3ELNS1_3repE0EEENS1_30default_config_static_selectorELNS0_4arch9wavefront6targetE1EEEvT1_, .Lfunc_end3285-_ZN7rocprim17ROCPRIM_400000_NS6detail17trampoline_kernelINS0_14default_configENS1_20scan_config_selectorIyEEZZNS1_9scan_implILNS1_25lookback_scan_determinismE0ELb0ELb0ES3_N6thrust23THRUST_200600_302600_NS6detail15normal_iteratorINS9_10device_ptrIyEEEENS9_16discard_iteratorINS9_11use_defaultEEEy11max_functorIyEyEEDaPvRmT3_T4_T5_mT6_P12ihipStream_tbENKUlT_T0_E_clISt17integral_constantIbLb0EESX_EEDaSS_ST_EUlSS_E_NS1_11comp_targetILNS1_3genE9ELNS1_11target_archE1100ELNS1_3gpuE3ELNS1_3repE0EEENS1_30default_config_static_selectorELNS0_4arch9wavefront6targetE1EEEvT1_
                                        ; -- End function
	.section	.AMDGPU.csdata,"",@progbits
; Kernel info:
; codeLenInByte = 0
; NumSgprs: 4
; NumVgprs: 0
; NumAgprs: 0
; TotalNumVgprs: 0
; ScratchSize: 0
; MemoryBound: 0
; FloatMode: 240
; IeeeMode: 1
; LDSByteSize: 0 bytes/workgroup (compile time only)
; SGPRBlocks: 0
; VGPRBlocks: 0
; NumSGPRsForWavesPerEU: 4
; NumVGPRsForWavesPerEU: 1
; AccumOffset: 4
; Occupancy: 8
; WaveLimiterHint : 0
; COMPUTE_PGM_RSRC2:SCRATCH_EN: 0
; COMPUTE_PGM_RSRC2:USER_SGPR: 6
; COMPUTE_PGM_RSRC2:TRAP_HANDLER: 0
; COMPUTE_PGM_RSRC2:TGID_X_EN: 1
; COMPUTE_PGM_RSRC2:TGID_Y_EN: 0
; COMPUTE_PGM_RSRC2:TGID_Z_EN: 0
; COMPUTE_PGM_RSRC2:TIDIG_COMP_CNT: 0
; COMPUTE_PGM_RSRC3_GFX90A:ACCUM_OFFSET: 0
; COMPUTE_PGM_RSRC3_GFX90A:TG_SPLIT: 0
	.section	.text._ZN7rocprim17ROCPRIM_400000_NS6detail17trampoline_kernelINS0_14default_configENS1_20scan_config_selectorIyEEZZNS1_9scan_implILNS1_25lookback_scan_determinismE0ELb0ELb0ES3_N6thrust23THRUST_200600_302600_NS6detail15normal_iteratorINS9_10device_ptrIyEEEENS9_16discard_iteratorINS9_11use_defaultEEEy11max_functorIyEyEEDaPvRmT3_T4_T5_mT6_P12ihipStream_tbENKUlT_T0_E_clISt17integral_constantIbLb0EESX_EEDaSS_ST_EUlSS_E_NS1_11comp_targetILNS1_3genE8ELNS1_11target_archE1030ELNS1_3gpuE2ELNS1_3repE0EEENS1_30default_config_static_selectorELNS0_4arch9wavefront6targetE1EEEvT1_,"axG",@progbits,_ZN7rocprim17ROCPRIM_400000_NS6detail17trampoline_kernelINS0_14default_configENS1_20scan_config_selectorIyEEZZNS1_9scan_implILNS1_25lookback_scan_determinismE0ELb0ELb0ES3_N6thrust23THRUST_200600_302600_NS6detail15normal_iteratorINS9_10device_ptrIyEEEENS9_16discard_iteratorINS9_11use_defaultEEEy11max_functorIyEyEEDaPvRmT3_T4_T5_mT6_P12ihipStream_tbENKUlT_T0_E_clISt17integral_constantIbLb0EESX_EEDaSS_ST_EUlSS_E_NS1_11comp_targetILNS1_3genE8ELNS1_11target_archE1030ELNS1_3gpuE2ELNS1_3repE0EEENS1_30default_config_static_selectorELNS0_4arch9wavefront6targetE1EEEvT1_,comdat
	.protected	_ZN7rocprim17ROCPRIM_400000_NS6detail17trampoline_kernelINS0_14default_configENS1_20scan_config_selectorIyEEZZNS1_9scan_implILNS1_25lookback_scan_determinismE0ELb0ELb0ES3_N6thrust23THRUST_200600_302600_NS6detail15normal_iteratorINS9_10device_ptrIyEEEENS9_16discard_iteratorINS9_11use_defaultEEEy11max_functorIyEyEEDaPvRmT3_T4_T5_mT6_P12ihipStream_tbENKUlT_T0_E_clISt17integral_constantIbLb0EESX_EEDaSS_ST_EUlSS_E_NS1_11comp_targetILNS1_3genE8ELNS1_11target_archE1030ELNS1_3gpuE2ELNS1_3repE0EEENS1_30default_config_static_selectorELNS0_4arch9wavefront6targetE1EEEvT1_ ; -- Begin function _ZN7rocprim17ROCPRIM_400000_NS6detail17trampoline_kernelINS0_14default_configENS1_20scan_config_selectorIyEEZZNS1_9scan_implILNS1_25lookback_scan_determinismE0ELb0ELb0ES3_N6thrust23THRUST_200600_302600_NS6detail15normal_iteratorINS9_10device_ptrIyEEEENS9_16discard_iteratorINS9_11use_defaultEEEy11max_functorIyEyEEDaPvRmT3_T4_T5_mT6_P12ihipStream_tbENKUlT_T0_E_clISt17integral_constantIbLb0EESX_EEDaSS_ST_EUlSS_E_NS1_11comp_targetILNS1_3genE8ELNS1_11target_archE1030ELNS1_3gpuE2ELNS1_3repE0EEENS1_30default_config_static_selectorELNS0_4arch9wavefront6targetE1EEEvT1_
	.globl	_ZN7rocprim17ROCPRIM_400000_NS6detail17trampoline_kernelINS0_14default_configENS1_20scan_config_selectorIyEEZZNS1_9scan_implILNS1_25lookback_scan_determinismE0ELb0ELb0ES3_N6thrust23THRUST_200600_302600_NS6detail15normal_iteratorINS9_10device_ptrIyEEEENS9_16discard_iteratorINS9_11use_defaultEEEy11max_functorIyEyEEDaPvRmT3_T4_T5_mT6_P12ihipStream_tbENKUlT_T0_E_clISt17integral_constantIbLb0EESX_EEDaSS_ST_EUlSS_E_NS1_11comp_targetILNS1_3genE8ELNS1_11target_archE1030ELNS1_3gpuE2ELNS1_3repE0EEENS1_30default_config_static_selectorELNS0_4arch9wavefront6targetE1EEEvT1_
	.p2align	8
	.type	_ZN7rocprim17ROCPRIM_400000_NS6detail17trampoline_kernelINS0_14default_configENS1_20scan_config_selectorIyEEZZNS1_9scan_implILNS1_25lookback_scan_determinismE0ELb0ELb0ES3_N6thrust23THRUST_200600_302600_NS6detail15normal_iteratorINS9_10device_ptrIyEEEENS9_16discard_iteratorINS9_11use_defaultEEEy11max_functorIyEyEEDaPvRmT3_T4_T5_mT6_P12ihipStream_tbENKUlT_T0_E_clISt17integral_constantIbLb0EESX_EEDaSS_ST_EUlSS_E_NS1_11comp_targetILNS1_3genE8ELNS1_11target_archE1030ELNS1_3gpuE2ELNS1_3repE0EEENS1_30default_config_static_selectorELNS0_4arch9wavefront6targetE1EEEvT1_,@function
_ZN7rocprim17ROCPRIM_400000_NS6detail17trampoline_kernelINS0_14default_configENS1_20scan_config_selectorIyEEZZNS1_9scan_implILNS1_25lookback_scan_determinismE0ELb0ELb0ES3_N6thrust23THRUST_200600_302600_NS6detail15normal_iteratorINS9_10device_ptrIyEEEENS9_16discard_iteratorINS9_11use_defaultEEEy11max_functorIyEyEEDaPvRmT3_T4_T5_mT6_P12ihipStream_tbENKUlT_T0_E_clISt17integral_constantIbLb0EESX_EEDaSS_ST_EUlSS_E_NS1_11comp_targetILNS1_3genE8ELNS1_11target_archE1030ELNS1_3gpuE2ELNS1_3repE0EEENS1_30default_config_static_selectorELNS0_4arch9wavefront6targetE1EEEvT1_: ; @_ZN7rocprim17ROCPRIM_400000_NS6detail17trampoline_kernelINS0_14default_configENS1_20scan_config_selectorIyEEZZNS1_9scan_implILNS1_25lookback_scan_determinismE0ELb0ELb0ES3_N6thrust23THRUST_200600_302600_NS6detail15normal_iteratorINS9_10device_ptrIyEEEENS9_16discard_iteratorINS9_11use_defaultEEEy11max_functorIyEyEEDaPvRmT3_T4_T5_mT6_P12ihipStream_tbENKUlT_T0_E_clISt17integral_constantIbLb0EESX_EEDaSS_ST_EUlSS_E_NS1_11comp_targetILNS1_3genE8ELNS1_11target_archE1030ELNS1_3gpuE2ELNS1_3repE0EEENS1_30default_config_static_selectorELNS0_4arch9wavefront6targetE1EEEvT1_
; %bb.0:
	.section	.rodata,"a",@progbits
	.p2align	6, 0x0
	.amdhsa_kernel _ZN7rocprim17ROCPRIM_400000_NS6detail17trampoline_kernelINS0_14default_configENS1_20scan_config_selectorIyEEZZNS1_9scan_implILNS1_25lookback_scan_determinismE0ELb0ELb0ES3_N6thrust23THRUST_200600_302600_NS6detail15normal_iteratorINS9_10device_ptrIyEEEENS9_16discard_iteratorINS9_11use_defaultEEEy11max_functorIyEyEEDaPvRmT3_T4_T5_mT6_P12ihipStream_tbENKUlT_T0_E_clISt17integral_constantIbLb0EESX_EEDaSS_ST_EUlSS_E_NS1_11comp_targetILNS1_3genE8ELNS1_11target_archE1030ELNS1_3gpuE2ELNS1_3repE0EEENS1_30default_config_static_selectorELNS0_4arch9wavefront6targetE1EEEvT1_
		.amdhsa_group_segment_fixed_size 0
		.amdhsa_private_segment_fixed_size 0
		.amdhsa_kernarg_size 112
		.amdhsa_user_sgpr_count 6
		.amdhsa_user_sgpr_private_segment_buffer 1
		.amdhsa_user_sgpr_dispatch_ptr 0
		.amdhsa_user_sgpr_queue_ptr 0
		.amdhsa_user_sgpr_kernarg_segment_ptr 1
		.amdhsa_user_sgpr_dispatch_id 0
		.amdhsa_user_sgpr_flat_scratch_init 0
		.amdhsa_user_sgpr_kernarg_preload_length 0
		.amdhsa_user_sgpr_kernarg_preload_offset 0
		.amdhsa_user_sgpr_private_segment_size 0
		.amdhsa_uses_dynamic_stack 0
		.amdhsa_system_sgpr_private_segment_wavefront_offset 0
		.amdhsa_system_sgpr_workgroup_id_x 1
		.amdhsa_system_sgpr_workgroup_id_y 0
		.amdhsa_system_sgpr_workgroup_id_z 0
		.amdhsa_system_sgpr_workgroup_info 0
		.amdhsa_system_vgpr_workitem_id 0
		.amdhsa_next_free_vgpr 1
		.amdhsa_next_free_sgpr 0
		.amdhsa_accum_offset 4
		.amdhsa_reserve_vcc 0
		.amdhsa_reserve_flat_scratch 0
		.amdhsa_float_round_mode_32 0
		.amdhsa_float_round_mode_16_64 0
		.amdhsa_float_denorm_mode_32 3
		.amdhsa_float_denorm_mode_16_64 3
		.amdhsa_dx10_clamp 1
		.amdhsa_ieee_mode 1
		.amdhsa_fp16_overflow 0
		.amdhsa_tg_split 0
		.amdhsa_exception_fp_ieee_invalid_op 0
		.amdhsa_exception_fp_denorm_src 0
		.amdhsa_exception_fp_ieee_div_zero 0
		.amdhsa_exception_fp_ieee_overflow 0
		.amdhsa_exception_fp_ieee_underflow 0
		.amdhsa_exception_fp_ieee_inexact 0
		.amdhsa_exception_int_div_zero 0
	.end_amdhsa_kernel
	.section	.text._ZN7rocprim17ROCPRIM_400000_NS6detail17trampoline_kernelINS0_14default_configENS1_20scan_config_selectorIyEEZZNS1_9scan_implILNS1_25lookback_scan_determinismE0ELb0ELb0ES3_N6thrust23THRUST_200600_302600_NS6detail15normal_iteratorINS9_10device_ptrIyEEEENS9_16discard_iteratorINS9_11use_defaultEEEy11max_functorIyEyEEDaPvRmT3_T4_T5_mT6_P12ihipStream_tbENKUlT_T0_E_clISt17integral_constantIbLb0EESX_EEDaSS_ST_EUlSS_E_NS1_11comp_targetILNS1_3genE8ELNS1_11target_archE1030ELNS1_3gpuE2ELNS1_3repE0EEENS1_30default_config_static_selectorELNS0_4arch9wavefront6targetE1EEEvT1_,"axG",@progbits,_ZN7rocprim17ROCPRIM_400000_NS6detail17trampoline_kernelINS0_14default_configENS1_20scan_config_selectorIyEEZZNS1_9scan_implILNS1_25lookback_scan_determinismE0ELb0ELb0ES3_N6thrust23THRUST_200600_302600_NS6detail15normal_iteratorINS9_10device_ptrIyEEEENS9_16discard_iteratorINS9_11use_defaultEEEy11max_functorIyEyEEDaPvRmT3_T4_T5_mT6_P12ihipStream_tbENKUlT_T0_E_clISt17integral_constantIbLb0EESX_EEDaSS_ST_EUlSS_E_NS1_11comp_targetILNS1_3genE8ELNS1_11target_archE1030ELNS1_3gpuE2ELNS1_3repE0EEENS1_30default_config_static_selectorELNS0_4arch9wavefront6targetE1EEEvT1_,comdat
.Lfunc_end3286:
	.size	_ZN7rocprim17ROCPRIM_400000_NS6detail17trampoline_kernelINS0_14default_configENS1_20scan_config_selectorIyEEZZNS1_9scan_implILNS1_25lookback_scan_determinismE0ELb0ELb0ES3_N6thrust23THRUST_200600_302600_NS6detail15normal_iteratorINS9_10device_ptrIyEEEENS9_16discard_iteratorINS9_11use_defaultEEEy11max_functorIyEyEEDaPvRmT3_T4_T5_mT6_P12ihipStream_tbENKUlT_T0_E_clISt17integral_constantIbLb0EESX_EEDaSS_ST_EUlSS_E_NS1_11comp_targetILNS1_3genE8ELNS1_11target_archE1030ELNS1_3gpuE2ELNS1_3repE0EEENS1_30default_config_static_selectorELNS0_4arch9wavefront6targetE1EEEvT1_, .Lfunc_end3286-_ZN7rocprim17ROCPRIM_400000_NS6detail17trampoline_kernelINS0_14default_configENS1_20scan_config_selectorIyEEZZNS1_9scan_implILNS1_25lookback_scan_determinismE0ELb0ELb0ES3_N6thrust23THRUST_200600_302600_NS6detail15normal_iteratorINS9_10device_ptrIyEEEENS9_16discard_iteratorINS9_11use_defaultEEEy11max_functorIyEyEEDaPvRmT3_T4_T5_mT6_P12ihipStream_tbENKUlT_T0_E_clISt17integral_constantIbLb0EESX_EEDaSS_ST_EUlSS_E_NS1_11comp_targetILNS1_3genE8ELNS1_11target_archE1030ELNS1_3gpuE2ELNS1_3repE0EEENS1_30default_config_static_selectorELNS0_4arch9wavefront6targetE1EEEvT1_
                                        ; -- End function
	.section	.AMDGPU.csdata,"",@progbits
; Kernel info:
; codeLenInByte = 0
; NumSgprs: 4
; NumVgprs: 0
; NumAgprs: 0
; TotalNumVgprs: 0
; ScratchSize: 0
; MemoryBound: 0
; FloatMode: 240
; IeeeMode: 1
; LDSByteSize: 0 bytes/workgroup (compile time only)
; SGPRBlocks: 0
; VGPRBlocks: 0
; NumSGPRsForWavesPerEU: 4
; NumVGPRsForWavesPerEU: 1
; AccumOffset: 4
; Occupancy: 8
; WaveLimiterHint : 0
; COMPUTE_PGM_RSRC2:SCRATCH_EN: 0
; COMPUTE_PGM_RSRC2:USER_SGPR: 6
; COMPUTE_PGM_RSRC2:TRAP_HANDLER: 0
; COMPUTE_PGM_RSRC2:TGID_X_EN: 1
; COMPUTE_PGM_RSRC2:TGID_Y_EN: 0
; COMPUTE_PGM_RSRC2:TGID_Z_EN: 0
; COMPUTE_PGM_RSRC2:TIDIG_COMP_CNT: 0
; COMPUTE_PGM_RSRC3_GFX90A:ACCUM_OFFSET: 0
; COMPUTE_PGM_RSRC3_GFX90A:TG_SPLIT: 0
	.section	.text._ZN7rocprim17ROCPRIM_400000_NS6detail17trampoline_kernelINS0_14default_configENS1_20scan_config_selectorIyEEZZNS1_9scan_implILNS1_25lookback_scan_determinismE0ELb0ELb0ES3_N6thrust23THRUST_200600_302600_NS6detail15normal_iteratorINS9_10device_ptrIyEEEENS9_16discard_iteratorINS9_11use_defaultEEEy11max_functorIyEyEEDaPvRmT3_T4_T5_mT6_P12ihipStream_tbENKUlT_T0_E_clISt17integral_constantIbLb0EESX_EEDaSS_ST_EUlSS_E0_NS1_11comp_targetILNS1_3genE0ELNS1_11target_archE4294967295ELNS1_3gpuE0ELNS1_3repE0EEENS1_30default_config_static_selectorELNS0_4arch9wavefront6targetE1EEEvT1_,"axG",@progbits,_ZN7rocprim17ROCPRIM_400000_NS6detail17trampoline_kernelINS0_14default_configENS1_20scan_config_selectorIyEEZZNS1_9scan_implILNS1_25lookback_scan_determinismE0ELb0ELb0ES3_N6thrust23THRUST_200600_302600_NS6detail15normal_iteratorINS9_10device_ptrIyEEEENS9_16discard_iteratorINS9_11use_defaultEEEy11max_functorIyEyEEDaPvRmT3_T4_T5_mT6_P12ihipStream_tbENKUlT_T0_E_clISt17integral_constantIbLb0EESX_EEDaSS_ST_EUlSS_E0_NS1_11comp_targetILNS1_3genE0ELNS1_11target_archE4294967295ELNS1_3gpuE0ELNS1_3repE0EEENS1_30default_config_static_selectorELNS0_4arch9wavefront6targetE1EEEvT1_,comdat
	.protected	_ZN7rocprim17ROCPRIM_400000_NS6detail17trampoline_kernelINS0_14default_configENS1_20scan_config_selectorIyEEZZNS1_9scan_implILNS1_25lookback_scan_determinismE0ELb0ELb0ES3_N6thrust23THRUST_200600_302600_NS6detail15normal_iteratorINS9_10device_ptrIyEEEENS9_16discard_iteratorINS9_11use_defaultEEEy11max_functorIyEyEEDaPvRmT3_T4_T5_mT6_P12ihipStream_tbENKUlT_T0_E_clISt17integral_constantIbLb0EESX_EEDaSS_ST_EUlSS_E0_NS1_11comp_targetILNS1_3genE0ELNS1_11target_archE4294967295ELNS1_3gpuE0ELNS1_3repE0EEENS1_30default_config_static_selectorELNS0_4arch9wavefront6targetE1EEEvT1_ ; -- Begin function _ZN7rocprim17ROCPRIM_400000_NS6detail17trampoline_kernelINS0_14default_configENS1_20scan_config_selectorIyEEZZNS1_9scan_implILNS1_25lookback_scan_determinismE0ELb0ELb0ES3_N6thrust23THRUST_200600_302600_NS6detail15normal_iteratorINS9_10device_ptrIyEEEENS9_16discard_iteratorINS9_11use_defaultEEEy11max_functorIyEyEEDaPvRmT3_T4_T5_mT6_P12ihipStream_tbENKUlT_T0_E_clISt17integral_constantIbLb0EESX_EEDaSS_ST_EUlSS_E0_NS1_11comp_targetILNS1_3genE0ELNS1_11target_archE4294967295ELNS1_3gpuE0ELNS1_3repE0EEENS1_30default_config_static_selectorELNS0_4arch9wavefront6targetE1EEEvT1_
	.globl	_ZN7rocprim17ROCPRIM_400000_NS6detail17trampoline_kernelINS0_14default_configENS1_20scan_config_selectorIyEEZZNS1_9scan_implILNS1_25lookback_scan_determinismE0ELb0ELb0ES3_N6thrust23THRUST_200600_302600_NS6detail15normal_iteratorINS9_10device_ptrIyEEEENS9_16discard_iteratorINS9_11use_defaultEEEy11max_functorIyEyEEDaPvRmT3_T4_T5_mT6_P12ihipStream_tbENKUlT_T0_E_clISt17integral_constantIbLb0EESX_EEDaSS_ST_EUlSS_E0_NS1_11comp_targetILNS1_3genE0ELNS1_11target_archE4294967295ELNS1_3gpuE0ELNS1_3repE0EEENS1_30default_config_static_selectorELNS0_4arch9wavefront6targetE1EEEvT1_
	.p2align	8
	.type	_ZN7rocprim17ROCPRIM_400000_NS6detail17trampoline_kernelINS0_14default_configENS1_20scan_config_selectorIyEEZZNS1_9scan_implILNS1_25lookback_scan_determinismE0ELb0ELb0ES3_N6thrust23THRUST_200600_302600_NS6detail15normal_iteratorINS9_10device_ptrIyEEEENS9_16discard_iteratorINS9_11use_defaultEEEy11max_functorIyEyEEDaPvRmT3_T4_T5_mT6_P12ihipStream_tbENKUlT_T0_E_clISt17integral_constantIbLb0EESX_EEDaSS_ST_EUlSS_E0_NS1_11comp_targetILNS1_3genE0ELNS1_11target_archE4294967295ELNS1_3gpuE0ELNS1_3repE0EEENS1_30default_config_static_selectorELNS0_4arch9wavefront6targetE1EEEvT1_,@function
_ZN7rocprim17ROCPRIM_400000_NS6detail17trampoline_kernelINS0_14default_configENS1_20scan_config_selectorIyEEZZNS1_9scan_implILNS1_25lookback_scan_determinismE0ELb0ELb0ES3_N6thrust23THRUST_200600_302600_NS6detail15normal_iteratorINS9_10device_ptrIyEEEENS9_16discard_iteratorINS9_11use_defaultEEEy11max_functorIyEyEEDaPvRmT3_T4_T5_mT6_P12ihipStream_tbENKUlT_T0_E_clISt17integral_constantIbLb0EESX_EEDaSS_ST_EUlSS_E0_NS1_11comp_targetILNS1_3genE0ELNS1_11target_archE4294967295ELNS1_3gpuE0ELNS1_3repE0EEENS1_30default_config_static_selectorELNS0_4arch9wavefront6targetE1EEEvT1_: ; @_ZN7rocprim17ROCPRIM_400000_NS6detail17trampoline_kernelINS0_14default_configENS1_20scan_config_selectorIyEEZZNS1_9scan_implILNS1_25lookback_scan_determinismE0ELb0ELb0ES3_N6thrust23THRUST_200600_302600_NS6detail15normal_iteratorINS9_10device_ptrIyEEEENS9_16discard_iteratorINS9_11use_defaultEEEy11max_functorIyEyEEDaPvRmT3_T4_T5_mT6_P12ihipStream_tbENKUlT_T0_E_clISt17integral_constantIbLb0EESX_EEDaSS_ST_EUlSS_E0_NS1_11comp_targetILNS1_3genE0ELNS1_11target_archE4294967295ELNS1_3gpuE0ELNS1_3repE0EEENS1_30default_config_static_selectorELNS0_4arch9wavefront6targetE1EEEvT1_
; %bb.0:
	.section	.rodata,"a",@progbits
	.p2align	6, 0x0
	.amdhsa_kernel _ZN7rocprim17ROCPRIM_400000_NS6detail17trampoline_kernelINS0_14default_configENS1_20scan_config_selectorIyEEZZNS1_9scan_implILNS1_25lookback_scan_determinismE0ELb0ELb0ES3_N6thrust23THRUST_200600_302600_NS6detail15normal_iteratorINS9_10device_ptrIyEEEENS9_16discard_iteratorINS9_11use_defaultEEEy11max_functorIyEyEEDaPvRmT3_T4_T5_mT6_P12ihipStream_tbENKUlT_T0_E_clISt17integral_constantIbLb0EESX_EEDaSS_ST_EUlSS_E0_NS1_11comp_targetILNS1_3genE0ELNS1_11target_archE4294967295ELNS1_3gpuE0ELNS1_3repE0EEENS1_30default_config_static_selectorELNS0_4arch9wavefront6targetE1EEEvT1_
		.amdhsa_group_segment_fixed_size 0
		.amdhsa_private_segment_fixed_size 0
		.amdhsa_kernarg_size 48
		.amdhsa_user_sgpr_count 6
		.amdhsa_user_sgpr_private_segment_buffer 1
		.amdhsa_user_sgpr_dispatch_ptr 0
		.amdhsa_user_sgpr_queue_ptr 0
		.amdhsa_user_sgpr_kernarg_segment_ptr 1
		.amdhsa_user_sgpr_dispatch_id 0
		.amdhsa_user_sgpr_flat_scratch_init 0
		.amdhsa_user_sgpr_kernarg_preload_length 0
		.amdhsa_user_sgpr_kernarg_preload_offset 0
		.amdhsa_user_sgpr_private_segment_size 0
		.amdhsa_uses_dynamic_stack 0
		.amdhsa_system_sgpr_private_segment_wavefront_offset 0
		.amdhsa_system_sgpr_workgroup_id_x 1
		.amdhsa_system_sgpr_workgroup_id_y 0
		.amdhsa_system_sgpr_workgroup_id_z 0
		.amdhsa_system_sgpr_workgroup_info 0
		.amdhsa_system_vgpr_workitem_id 0
		.amdhsa_next_free_vgpr 1
		.amdhsa_next_free_sgpr 0
		.amdhsa_accum_offset 4
		.amdhsa_reserve_vcc 0
		.amdhsa_reserve_flat_scratch 0
		.amdhsa_float_round_mode_32 0
		.amdhsa_float_round_mode_16_64 0
		.amdhsa_float_denorm_mode_32 3
		.amdhsa_float_denorm_mode_16_64 3
		.amdhsa_dx10_clamp 1
		.amdhsa_ieee_mode 1
		.amdhsa_fp16_overflow 0
		.amdhsa_tg_split 0
		.amdhsa_exception_fp_ieee_invalid_op 0
		.amdhsa_exception_fp_denorm_src 0
		.amdhsa_exception_fp_ieee_div_zero 0
		.amdhsa_exception_fp_ieee_overflow 0
		.amdhsa_exception_fp_ieee_underflow 0
		.amdhsa_exception_fp_ieee_inexact 0
		.amdhsa_exception_int_div_zero 0
	.end_amdhsa_kernel
	.section	.text._ZN7rocprim17ROCPRIM_400000_NS6detail17trampoline_kernelINS0_14default_configENS1_20scan_config_selectorIyEEZZNS1_9scan_implILNS1_25lookback_scan_determinismE0ELb0ELb0ES3_N6thrust23THRUST_200600_302600_NS6detail15normal_iteratorINS9_10device_ptrIyEEEENS9_16discard_iteratorINS9_11use_defaultEEEy11max_functorIyEyEEDaPvRmT3_T4_T5_mT6_P12ihipStream_tbENKUlT_T0_E_clISt17integral_constantIbLb0EESX_EEDaSS_ST_EUlSS_E0_NS1_11comp_targetILNS1_3genE0ELNS1_11target_archE4294967295ELNS1_3gpuE0ELNS1_3repE0EEENS1_30default_config_static_selectorELNS0_4arch9wavefront6targetE1EEEvT1_,"axG",@progbits,_ZN7rocprim17ROCPRIM_400000_NS6detail17trampoline_kernelINS0_14default_configENS1_20scan_config_selectorIyEEZZNS1_9scan_implILNS1_25lookback_scan_determinismE0ELb0ELb0ES3_N6thrust23THRUST_200600_302600_NS6detail15normal_iteratorINS9_10device_ptrIyEEEENS9_16discard_iteratorINS9_11use_defaultEEEy11max_functorIyEyEEDaPvRmT3_T4_T5_mT6_P12ihipStream_tbENKUlT_T0_E_clISt17integral_constantIbLb0EESX_EEDaSS_ST_EUlSS_E0_NS1_11comp_targetILNS1_3genE0ELNS1_11target_archE4294967295ELNS1_3gpuE0ELNS1_3repE0EEENS1_30default_config_static_selectorELNS0_4arch9wavefront6targetE1EEEvT1_,comdat
.Lfunc_end3287:
	.size	_ZN7rocprim17ROCPRIM_400000_NS6detail17trampoline_kernelINS0_14default_configENS1_20scan_config_selectorIyEEZZNS1_9scan_implILNS1_25lookback_scan_determinismE0ELb0ELb0ES3_N6thrust23THRUST_200600_302600_NS6detail15normal_iteratorINS9_10device_ptrIyEEEENS9_16discard_iteratorINS9_11use_defaultEEEy11max_functorIyEyEEDaPvRmT3_T4_T5_mT6_P12ihipStream_tbENKUlT_T0_E_clISt17integral_constantIbLb0EESX_EEDaSS_ST_EUlSS_E0_NS1_11comp_targetILNS1_3genE0ELNS1_11target_archE4294967295ELNS1_3gpuE0ELNS1_3repE0EEENS1_30default_config_static_selectorELNS0_4arch9wavefront6targetE1EEEvT1_, .Lfunc_end3287-_ZN7rocprim17ROCPRIM_400000_NS6detail17trampoline_kernelINS0_14default_configENS1_20scan_config_selectorIyEEZZNS1_9scan_implILNS1_25lookback_scan_determinismE0ELb0ELb0ES3_N6thrust23THRUST_200600_302600_NS6detail15normal_iteratorINS9_10device_ptrIyEEEENS9_16discard_iteratorINS9_11use_defaultEEEy11max_functorIyEyEEDaPvRmT3_T4_T5_mT6_P12ihipStream_tbENKUlT_T0_E_clISt17integral_constantIbLb0EESX_EEDaSS_ST_EUlSS_E0_NS1_11comp_targetILNS1_3genE0ELNS1_11target_archE4294967295ELNS1_3gpuE0ELNS1_3repE0EEENS1_30default_config_static_selectorELNS0_4arch9wavefront6targetE1EEEvT1_
                                        ; -- End function
	.section	.AMDGPU.csdata,"",@progbits
; Kernel info:
; codeLenInByte = 0
; NumSgprs: 4
; NumVgprs: 0
; NumAgprs: 0
; TotalNumVgprs: 0
; ScratchSize: 0
; MemoryBound: 0
; FloatMode: 240
; IeeeMode: 1
; LDSByteSize: 0 bytes/workgroup (compile time only)
; SGPRBlocks: 0
; VGPRBlocks: 0
; NumSGPRsForWavesPerEU: 4
; NumVGPRsForWavesPerEU: 1
; AccumOffset: 4
; Occupancy: 8
; WaveLimiterHint : 0
; COMPUTE_PGM_RSRC2:SCRATCH_EN: 0
; COMPUTE_PGM_RSRC2:USER_SGPR: 6
; COMPUTE_PGM_RSRC2:TRAP_HANDLER: 0
; COMPUTE_PGM_RSRC2:TGID_X_EN: 1
; COMPUTE_PGM_RSRC2:TGID_Y_EN: 0
; COMPUTE_PGM_RSRC2:TGID_Z_EN: 0
; COMPUTE_PGM_RSRC2:TIDIG_COMP_CNT: 0
; COMPUTE_PGM_RSRC3_GFX90A:ACCUM_OFFSET: 0
; COMPUTE_PGM_RSRC3_GFX90A:TG_SPLIT: 0
	.section	.text._ZN7rocprim17ROCPRIM_400000_NS6detail17trampoline_kernelINS0_14default_configENS1_20scan_config_selectorIyEEZZNS1_9scan_implILNS1_25lookback_scan_determinismE0ELb0ELb0ES3_N6thrust23THRUST_200600_302600_NS6detail15normal_iteratorINS9_10device_ptrIyEEEENS9_16discard_iteratorINS9_11use_defaultEEEy11max_functorIyEyEEDaPvRmT3_T4_T5_mT6_P12ihipStream_tbENKUlT_T0_E_clISt17integral_constantIbLb0EESX_EEDaSS_ST_EUlSS_E0_NS1_11comp_targetILNS1_3genE5ELNS1_11target_archE942ELNS1_3gpuE9ELNS1_3repE0EEENS1_30default_config_static_selectorELNS0_4arch9wavefront6targetE1EEEvT1_,"axG",@progbits,_ZN7rocprim17ROCPRIM_400000_NS6detail17trampoline_kernelINS0_14default_configENS1_20scan_config_selectorIyEEZZNS1_9scan_implILNS1_25lookback_scan_determinismE0ELb0ELb0ES3_N6thrust23THRUST_200600_302600_NS6detail15normal_iteratorINS9_10device_ptrIyEEEENS9_16discard_iteratorINS9_11use_defaultEEEy11max_functorIyEyEEDaPvRmT3_T4_T5_mT6_P12ihipStream_tbENKUlT_T0_E_clISt17integral_constantIbLb0EESX_EEDaSS_ST_EUlSS_E0_NS1_11comp_targetILNS1_3genE5ELNS1_11target_archE942ELNS1_3gpuE9ELNS1_3repE0EEENS1_30default_config_static_selectorELNS0_4arch9wavefront6targetE1EEEvT1_,comdat
	.protected	_ZN7rocprim17ROCPRIM_400000_NS6detail17trampoline_kernelINS0_14default_configENS1_20scan_config_selectorIyEEZZNS1_9scan_implILNS1_25lookback_scan_determinismE0ELb0ELb0ES3_N6thrust23THRUST_200600_302600_NS6detail15normal_iteratorINS9_10device_ptrIyEEEENS9_16discard_iteratorINS9_11use_defaultEEEy11max_functorIyEyEEDaPvRmT3_T4_T5_mT6_P12ihipStream_tbENKUlT_T0_E_clISt17integral_constantIbLb0EESX_EEDaSS_ST_EUlSS_E0_NS1_11comp_targetILNS1_3genE5ELNS1_11target_archE942ELNS1_3gpuE9ELNS1_3repE0EEENS1_30default_config_static_selectorELNS0_4arch9wavefront6targetE1EEEvT1_ ; -- Begin function _ZN7rocprim17ROCPRIM_400000_NS6detail17trampoline_kernelINS0_14default_configENS1_20scan_config_selectorIyEEZZNS1_9scan_implILNS1_25lookback_scan_determinismE0ELb0ELb0ES3_N6thrust23THRUST_200600_302600_NS6detail15normal_iteratorINS9_10device_ptrIyEEEENS9_16discard_iteratorINS9_11use_defaultEEEy11max_functorIyEyEEDaPvRmT3_T4_T5_mT6_P12ihipStream_tbENKUlT_T0_E_clISt17integral_constantIbLb0EESX_EEDaSS_ST_EUlSS_E0_NS1_11comp_targetILNS1_3genE5ELNS1_11target_archE942ELNS1_3gpuE9ELNS1_3repE0EEENS1_30default_config_static_selectorELNS0_4arch9wavefront6targetE1EEEvT1_
	.globl	_ZN7rocprim17ROCPRIM_400000_NS6detail17trampoline_kernelINS0_14default_configENS1_20scan_config_selectorIyEEZZNS1_9scan_implILNS1_25lookback_scan_determinismE0ELb0ELb0ES3_N6thrust23THRUST_200600_302600_NS6detail15normal_iteratorINS9_10device_ptrIyEEEENS9_16discard_iteratorINS9_11use_defaultEEEy11max_functorIyEyEEDaPvRmT3_T4_T5_mT6_P12ihipStream_tbENKUlT_T0_E_clISt17integral_constantIbLb0EESX_EEDaSS_ST_EUlSS_E0_NS1_11comp_targetILNS1_3genE5ELNS1_11target_archE942ELNS1_3gpuE9ELNS1_3repE0EEENS1_30default_config_static_selectorELNS0_4arch9wavefront6targetE1EEEvT1_
	.p2align	8
	.type	_ZN7rocprim17ROCPRIM_400000_NS6detail17trampoline_kernelINS0_14default_configENS1_20scan_config_selectorIyEEZZNS1_9scan_implILNS1_25lookback_scan_determinismE0ELb0ELb0ES3_N6thrust23THRUST_200600_302600_NS6detail15normal_iteratorINS9_10device_ptrIyEEEENS9_16discard_iteratorINS9_11use_defaultEEEy11max_functorIyEyEEDaPvRmT3_T4_T5_mT6_P12ihipStream_tbENKUlT_T0_E_clISt17integral_constantIbLb0EESX_EEDaSS_ST_EUlSS_E0_NS1_11comp_targetILNS1_3genE5ELNS1_11target_archE942ELNS1_3gpuE9ELNS1_3repE0EEENS1_30default_config_static_selectorELNS0_4arch9wavefront6targetE1EEEvT1_,@function
_ZN7rocprim17ROCPRIM_400000_NS6detail17trampoline_kernelINS0_14default_configENS1_20scan_config_selectorIyEEZZNS1_9scan_implILNS1_25lookback_scan_determinismE0ELb0ELb0ES3_N6thrust23THRUST_200600_302600_NS6detail15normal_iteratorINS9_10device_ptrIyEEEENS9_16discard_iteratorINS9_11use_defaultEEEy11max_functorIyEyEEDaPvRmT3_T4_T5_mT6_P12ihipStream_tbENKUlT_T0_E_clISt17integral_constantIbLb0EESX_EEDaSS_ST_EUlSS_E0_NS1_11comp_targetILNS1_3genE5ELNS1_11target_archE942ELNS1_3gpuE9ELNS1_3repE0EEENS1_30default_config_static_selectorELNS0_4arch9wavefront6targetE1EEEvT1_: ; @_ZN7rocprim17ROCPRIM_400000_NS6detail17trampoline_kernelINS0_14default_configENS1_20scan_config_selectorIyEEZZNS1_9scan_implILNS1_25lookback_scan_determinismE0ELb0ELb0ES3_N6thrust23THRUST_200600_302600_NS6detail15normal_iteratorINS9_10device_ptrIyEEEENS9_16discard_iteratorINS9_11use_defaultEEEy11max_functorIyEyEEDaPvRmT3_T4_T5_mT6_P12ihipStream_tbENKUlT_T0_E_clISt17integral_constantIbLb0EESX_EEDaSS_ST_EUlSS_E0_NS1_11comp_targetILNS1_3genE5ELNS1_11target_archE942ELNS1_3gpuE9ELNS1_3repE0EEENS1_30default_config_static_selectorELNS0_4arch9wavefront6targetE1EEEvT1_
; %bb.0:
	.section	.rodata,"a",@progbits
	.p2align	6, 0x0
	.amdhsa_kernel _ZN7rocprim17ROCPRIM_400000_NS6detail17trampoline_kernelINS0_14default_configENS1_20scan_config_selectorIyEEZZNS1_9scan_implILNS1_25lookback_scan_determinismE0ELb0ELb0ES3_N6thrust23THRUST_200600_302600_NS6detail15normal_iteratorINS9_10device_ptrIyEEEENS9_16discard_iteratorINS9_11use_defaultEEEy11max_functorIyEyEEDaPvRmT3_T4_T5_mT6_P12ihipStream_tbENKUlT_T0_E_clISt17integral_constantIbLb0EESX_EEDaSS_ST_EUlSS_E0_NS1_11comp_targetILNS1_3genE5ELNS1_11target_archE942ELNS1_3gpuE9ELNS1_3repE0EEENS1_30default_config_static_selectorELNS0_4arch9wavefront6targetE1EEEvT1_
		.amdhsa_group_segment_fixed_size 0
		.amdhsa_private_segment_fixed_size 0
		.amdhsa_kernarg_size 48
		.amdhsa_user_sgpr_count 6
		.amdhsa_user_sgpr_private_segment_buffer 1
		.amdhsa_user_sgpr_dispatch_ptr 0
		.amdhsa_user_sgpr_queue_ptr 0
		.amdhsa_user_sgpr_kernarg_segment_ptr 1
		.amdhsa_user_sgpr_dispatch_id 0
		.amdhsa_user_sgpr_flat_scratch_init 0
		.amdhsa_user_sgpr_kernarg_preload_length 0
		.amdhsa_user_sgpr_kernarg_preload_offset 0
		.amdhsa_user_sgpr_private_segment_size 0
		.amdhsa_uses_dynamic_stack 0
		.amdhsa_system_sgpr_private_segment_wavefront_offset 0
		.amdhsa_system_sgpr_workgroup_id_x 1
		.amdhsa_system_sgpr_workgroup_id_y 0
		.amdhsa_system_sgpr_workgroup_id_z 0
		.amdhsa_system_sgpr_workgroup_info 0
		.amdhsa_system_vgpr_workitem_id 0
		.amdhsa_next_free_vgpr 1
		.amdhsa_next_free_sgpr 0
		.amdhsa_accum_offset 4
		.amdhsa_reserve_vcc 0
		.amdhsa_reserve_flat_scratch 0
		.amdhsa_float_round_mode_32 0
		.amdhsa_float_round_mode_16_64 0
		.amdhsa_float_denorm_mode_32 3
		.amdhsa_float_denorm_mode_16_64 3
		.amdhsa_dx10_clamp 1
		.amdhsa_ieee_mode 1
		.amdhsa_fp16_overflow 0
		.amdhsa_tg_split 0
		.amdhsa_exception_fp_ieee_invalid_op 0
		.amdhsa_exception_fp_denorm_src 0
		.amdhsa_exception_fp_ieee_div_zero 0
		.amdhsa_exception_fp_ieee_overflow 0
		.amdhsa_exception_fp_ieee_underflow 0
		.amdhsa_exception_fp_ieee_inexact 0
		.amdhsa_exception_int_div_zero 0
	.end_amdhsa_kernel
	.section	.text._ZN7rocprim17ROCPRIM_400000_NS6detail17trampoline_kernelINS0_14default_configENS1_20scan_config_selectorIyEEZZNS1_9scan_implILNS1_25lookback_scan_determinismE0ELb0ELb0ES3_N6thrust23THRUST_200600_302600_NS6detail15normal_iteratorINS9_10device_ptrIyEEEENS9_16discard_iteratorINS9_11use_defaultEEEy11max_functorIyEyEEDaPvRmT3_T4_T5_mT6_P12ihipStream_tbENKUlT_T0_E_clISt17integral_constantIbLb0EESX_EEDaSS_ST_EUlSS_E0_NS1_11comp_targetILNS1_3genE5ELNS1_11target_archE942ELNS1_3gpuE9ELNS1_3repE0EEENS1_30default_config_static_selectorELNS0_4arch9wavefront6targetE1EEEvT1_,"axG",@progbits,_ZN7rocprim17ROCPRIM_400000_NS6detail17trampoline_kernelINS0_14default_configENS1_20scan_config_selectorIyEEZZNS1_9scan_implILNS1_25lookback_scan_determinismE0ELb0ELb0ES3_N6thrust23THRUST_200600_302600_NS6detail15normal_iteratorINS9_10device_ptrIyEEEENS9_16discard_iteratorINS9_11use_defaultEEEy11max_functorIyEyEEDaPvRmT3_T4_T5_mT6_P12ihipStream_tbENKUlT_T0_E_clISt17integral_constantIbLb0EESX_EEDaSS_ST_EUlSS_E0_NS1_11comp_targetILNS1_3genE5ELNS1_11target_archE942ELNS1_3gpuE9ELNS1_3repE0EEENS1_30default_config_static_selectorELNS0_4arch9wavefront6targetE1EEEvT1_,comdat
.Lfunc_end3288:
	.size	_ZN7rocprim17ROCPRIM_400000_NS6detail17trampoline_kernelINS0_14default_configENS1_20scan_config_selectorIyEEZZNS1_9scan_implILNS1_25lookback_scan_determinismE0ELb0ELb0ES3_N6thrust23THRUST_200600_302600_NS6detail15normal_iteratorINS9_10device_ptrIyEEEENS9_16discard_iteratorINS9_11use_defaultEEEy11max_functorIyEyEEDaPvRmT3_T4_T5_mT6_P12ihipStream_tbENKUlT_T0_E_clISt17integral_constantIbLb0EESX_EEDaSS_ST_EUlSS_E0_NS1_11comp_targetILNS1_3genE5ELNS1_11target_archE942ELNS1_3gpuE9ELNS1_3repE0EEENS1_30default_config_static_selectorELNS0_4arch9wavefront6targetE1EEEvT1_, .Lfunc_end3288-_ZN7rocprim17ROCPRIM_400000_NS6detail17trampoline_kernelINS0_14default_configENS1_20scan_config_selectorIyEEZZNS1_9scan_implILNS1_25lookback_scan_determinismE0ELb0ELb0ES3_N6thrust23THRUST_200600_302600_NS6detail15normal_iteratorINS9_10device_ptrIyEEEENS9_16discard_iteratorINS9_11use_defaultEEEy11max_functorIyEyEEDaPvRmT3_T4_T5_mT6_P12ihipStream_tbENKUlT_T0_E_clISt17integral_constantIbLb0EESX_EEDaSS_ST_EUlSS_E0_NS1_11comp_targetILNS1_3genE5ELNS1_11target_archE942ELNS1_3gpuE9ELNS1_3repE0EEENS1_30default_config_static_selectorELNS0_4arch9wavefront6targetE1EEEvT1_
                                        ; -- End function
	.section	.AMDGPU.csdata,"",@progbits
; Kernel info:
; codeLenInByte = 0
; NumSgprs: 4
; NumVgprs: 0
; NumAgprs: 0
; TotalNumVgprs: 0
; ScratchSize: 0
; MemoryBound: 0
; FloatMode: 240
; IeeeMode: 1
; LDSByteSize: 0 bytes/workgroup (compile time only)
; SGPRBlocks: 0
; VGPRBlocks: 0
; NumSGPRsForWavesPerEU: 4
; NumVGPRsForWavesPerEU: 1
; AccumOffset: 4
; Occupancy: 8
; WaveLimiterHint : 0
; COMPUTE_PGM_RSRC2:SCRATCH_EN: 0
; COMPUTE_PGM_RSRC2:USER_SGPR: 6
; COMPUTE_PGM_RSRC2:TRAP_HANDLER: 0
; COMPUTE_PGM_RSRC2:TGID_X_EN: 1
; COMPUTE_PGM_RSRC2:TGID_Y_EN: 0
; COMPUTE_PGM_RSRC2:TGID_Z_EN: 0
; COMPUTE_PGM_RSRC2:TIDIG_COMP_CNT: 0
; COMPUTE_PGM_RSRC3_GFX90A:ACCUM_OFFSET: 0
; COMPUTE_PGM_RSRC3_GFX90A:TG_SPLIT: 0
	.section	.text._ZN7rocprim17ROCPRIM_400000_NS6detail17trampoline_kernelINS0_14default_configENS1_20scan_config_selectorIyEEZZNS1_9scan_implILNS1_25lookback_scan_determinismE0ELb0ELb0ES3_N6thrust23THRUST_200600_302600_NS6detail15normal_iteratorINS9_10device_ptrIyEEEENS9_16discard_iteratorINS9_11use_defaultEEEy11max_functorIyEyEEDaPvRmT3_T4_T5_mT6_P12ihipStream_tbENKUlT_T0_E_clISt17integral_constantIbLb0EESX_EEDaSS_ST_EUlSS_E0_NS1_11comp_targetILNS1_3genE4ELNS1_11target_archE910ELNS1_3gpuE8ELNS1_3repE0EEENS1_30default_config_static_selectorELNS0_4arch9wavefront6targetE1EEEvT1_,"axG",@progbits,_ZN7rocprim17ROCPRIM_400000_NS6detail17trampoline_kernelINS0_14default_configENS1_20scan_config_selectorIyEEZZNS1_9scan_implILNS1_25lookback_scan_determinismE0ELb0ELb0ES3_N6thrust23THRUST_200600_302600_NS6detail15normal_iteratorINS9_10device_ptrIyEEEENS9_16discard_iteratorINS9_11use_defaultEEEy11max_functorIyEyEEDaPvRmT3_T4_T5_mT6_P12ihipStream_tbENKUlT_T0_E_clISt17integral_constantIbLb0EESX_EEDaSS_ST_EUlSS_E0_NS1_11comp_targetILNS1_3genE4ELNS1_11target_archE910ELNS1_3gpuE8ELNS1_3repE0EEENS1_30default_config_static_selectorELNS0_4arch9wavefront6targetE1EEEvT1_,comdat
	.protected	_ZN7rocprim17ROCPRIM_400000_NS6detail17trampoline_kernelINS0_14default_configENS1_20scan_config_selectorIyEEZZNS1_9scan_implILNS1_25lookback_scan_determinismE0ELb0ELb0ES3_N6thrust23THRUST_200600_302600_NS6detail15normal_iteratorINS9_10device_ptrIyEEEENS9_16discard_iteratorINS9_11use_defaultEEEy11max_functorIyEyEEDaPvRmT3_T4_T5_mT6_P12ihipStream_tbENKUlT_T0_E_clISt17integral_constantIbLb0EESX_EEDaSS_ST_EUlSS_E0_NS1_11comp_targetILNS1_3genE4ELNS1_11target_archE910ELNS1_3gpuE8ELNS1_3repE0EEENS1_30default_config_static_selectorELNS0_4arch9wavefront6targetE1EEEvT1_ ; -- Begin function _ZN7rocprim17ROCPRIM_400000_NS6detail17trampoline_kernelINS0_14default_configENS1_20scan_config_selectorIyEEZZNS1_9scan_implILNS1_25lookback_scan_determinismE0ELb0ELb0ES3_N6thrust23THRUST_200600_302600_NS6detail15normal_iteratorINS9_10device_ptrIyEEEENS9_16discard_iteratorINS9_11use_defaultEEEy11max_functorIyEyEEDaPvRmT3_T4_T5_mT6_P12ihipStream_tbENKUlT_T0_E_clISt17integral_constantIbLb0EESX_EEDaSS_ST_EUlSS_E0_NS1_11comp_targetILNS1_3genE4ELNS1_11target_archE910ELNS1_3gpuE8ELNS1_3repE0EEENS1_30default_config_static_selectorELNS0_4arch9wavefront6targetE1EEEvT1_
	.globl	_ZN7rocprim17ROCPRIM_400000_NS6detail17trampoline_kernelINS0_14default_configENS1_20scan_config_selectorIyEEZZNS1_9scan_implILNS1_25lookback_scan_determinismE0ELb0ELb0ES3_N6thrust23THRUST_200600_302600_NS6detail15normal_iteratorINS9_10device_ptrIyEEEENS9_16discard_iteratorINS9_11use_defaultEEEy11max_functorIyEyEEDaPvRmT3_T4_T5_mT6_P12ihipStream_tbENKUlT_T0_E_clISt17integral_constantIbLb0EESX_EEDaSS_ST_EUlSS_E0_NS1_11comp_targetILNS1_3genE4ELNS1_11target_archE910ELNS1_3gpuE8ELNS1_3repE0EEENS1_30default_config_static_selectorELNS0_4arch9wavefront6targetE1EEEvT1_
	.p2align	8
	.type	_ZN7rocprim17ROCPRIM_400000_NS6detail17trampoline_kernelINS0_14default_configENS1_20scan_config_selectorIyEEZZNS1_9scan_implILNS1_25lookback_scan_determinismE0ELb0ELb0ES3_N6thrust23THRUST_200600_302600_NS6detail15normal_iteratorINS9_10device_ptrIyEEEENS9_16discard_iteratorINS9_11use_defaultEEEy11max_functorIyEyEEDaPvRmT3_T4_T5_mT6_P12ihipStream_tbENKUlT_T0_E_clISt17integral_constantIbLb0EESX_EEDaSS_ST_EUlSS_E0_NS1_11comp_targetILNS1_3genE4ELNS1_11target_archE910ELNS1_3gpuE8ELNS1_3repE0EEENS1_30default_config_static_selectorELNS0_4arch9wavefront6targetE1EEEvT1_,@function
_ZN7rocprim17ROCPRIM_400000_NS6detail17trampoline_kernelINS0_14default_configENS1_20scan_config_selectorIyEEZZNS1_9scan_implILNS1_25lookback_scan_determinismE0ELb0ELb0ES3_N6thrust23THRUST_200600_302600_NS6detail15normal_iteratorINS9_10device_ptrIyEEEENS9_16discard_iteratorINS9_11use_defaultEEEy11max_functorIyEyEEDaPvRmT3_T4_T5_mT6_P12ihipStream_tbENKUlT_T0_E_clISt17integral_constantIbLb0EESX_EEDaSS_ST_EUlSS_E0_NS1_11comp_targetILNS1_3genE4ELNS1_11target_archE910ELNS1_3gpuE8ELNS1_3repE0EEENS1_30default_config_static_selectorELNS0_4arch9wavefront6targetE1EEEvT1_: ; @_ZN7rocprim17ROCPRIM_400000_NS6detail17trampoline_kernelINS0_14default_configENS1_20scan_config_selectorIyEEZZNS1_9scan_implILNS1_25lookback_scan_determinismE0ELb0ELb0ES3_N6thrust23THRUST_200600_302600_NS6detail15normal_iteratorINS9_10device_ptrIyEEEENS9_16discard_iteratorINS9_11use_defaultEEEy11max_functorIyEyEEDaPvRmT3_T4_T5_mT6_P12ihipStream_tbENKUlT_T0_E_clISt17integral_constantIbLb0EESX_EEDaSS_ST_EUlSS_E0_NS1_11comp_targetILNS1_3genE4ELNS1_11target_archE910ELNS1_3gpuE8ELNS1_3repE0EEENS1_30default_config_static_selectorELNS0_4arch9wavefront6targetE1EEEvT1_
; %bb.0:
	s_load_dwordx4 s[0:3], s[4:5], 0x0
	v_lshlrev_b32_e32 v1, 3, v0
	s_waitcnt lgkmcnt(0)
	s_load_dwordx2 s[4:5], s[0:1], 0x0
	v_cmp_gt_u32_e32 vcc, s2, v0
	s_waitcnt lgkmcnt(0)
	v_pk_mov_b32 v[2:3], s[4:5], s[4:5] op_sel:[0,1]
	s_and_saveexec_b64 s[6:7], vcc
	s_cbranch_execz .LBB3289_2
; %bb.1:
	global_load_dwordx2 v[2:3], v1, s[0:1]
.LBB3289_2:
	s_or_b64 exec, exec, s[6:7]
	v_or_b32_e32 v4, 0x80, v0
	v_cmp_gt_u32_e32 vcc, s2, v4
	v_pk_mov_b32 v[4:5], s[4:5], s[4:5] op_sel:[0,1]
	s_and_saveexec_b64 s[6:7], vcc
	s_cbranch_execz .LBB3289_4
; %bb.3:
	global_load_dwordx2 v[4:5], v1, s[0:1] offset:1024
.LBB3289_4:
	s_or_b64 exec, exec, s[6:7]
	v_or_b32_e32 v6, 0x100, v0
	v_cmp_gt_u32_e32 vcc, s2, v6
	v_pk_mov_b32 v[6:7], s[4:5], s[4:5] op_sel:[0,1]
	s_and_saveexec_b64 s[6:7], vcc
	s_cbranch_execz .LBB3289_6
; %bb.5:
	global_load_dwordx2 v[6:7], v1, s[0:1] offset:2048
.LBB3289_6:
	;; [unrolled: 9-line block ×3, first 2 shown]
	s_or_b64 exec, exec, s[6:7]
	v_or_b32_e32 v12, 0x200, v0
	v_cmp_gt_u32_e32 vcc, s2, v12
	v_pk_mov_b32 v[10:11], s[4:5], s[4:5] op_sel:[0,1]
	s_and_saveexec_b64 s[6:7], vcc
	s_cbranch_execz .LBB3289_10
; %bb.9:
	v_lshlrev_b32_e32 v10, 3, v12
	global_load_dwordx2 v[10:11], v10, s[0:1]
.LBB3289_10:
	s_or_b64 exec, exec, s[6:7]
	v_or_b32_e32 v14, 0x280, v0
	v_cmp_gt_u32_e32 vcc, s2, v14
	v_pk_mov_b32 v[12:13], s[4:5], s[4:5] op_sel:[0,1]
	s_and_saveexec_b64 s[6:7], vcc
	s_cbranch_execz .LBB3289_12
; %bb.11:
	v_lshlrev_b32_e32 v12, 3, v14
	global_load_dwordx2 v[12:13], v12, s[0:1]
.LBB3289_12:
	;; [unrolled: 10-line block ×3, first 2 shown]
	s_or_b64 exec, exec, s[2:3]
	s_waitcnt vmcnt(0)
	ds_write2st64_b64 v1, v[2:3], v[4:5] offset1:2
	ds_write2st64_b64 v1, v[6:7], v[8:9] offset0:4 offset1:6
	ds_write2st64_b64 v1, v[10:11], v[12:13] offset0:8 offset1:10
	ds_write_b64 v1, v[14:15] offset:6144
	v_mad_u32_u24 v14, v0, 48, v1
	s_waitcnt lgkmcnt(0)
	s_barrier
	ds_read2_b64 v[2:5], v14 offset1:1
	ds_read2_b64 v[10:13], v14 offset0:2 offset1:3
	ds_read2_b64 v[6:9], v14 offset0:4 offset1:5
	ds_read_b64 v[26:27], v14 offset:48
	v_lshrrev_b32_e32 v14, 2, v0
	s_waitcnt lgkmcnt(3)
	v_cmp_gt_u64_e32 vcc, v[2:3], v[4:5]
	v_cndmask_b32_e32 v19, v5, v3, vcc
	v_cndmask_b32_e32 v18, v4, v2, vcc
	s_waitcnt lgkmcnt(2)
	v_cmp_gt_u64_e32 vcc, v[18:19], v[10:11]
	v_cndmask_b32_e32 v21, v11, v19, vcc
	v_cndmask_b32_e32 v20, v10, v18, vcc
	v_cmp_gt_u64_e32 vcc, v[20:21], v[12:13]
	v_cndmask_b32_e32 v23, v13, v21, vcc
	v_cndmask_b32_e32 v22, v12, v20, vcc
	s_waitcnt lgkmcnt(1)
	v_cmp_gt_u64_e32 vcc, v[22:23], v[6:7]
	v_cndmask_b32_e32 v25, v7, v23, vcc
	v_cndmask_b32_e32 v24, v6, v22, vcc
	v_cmp_gt_u64_e32 vcc, v[24:25], v[8:9]
	v_cndmask_b32_e32 v29, v9, v25, vcc
	v_cndmask_b32_e32 v28, v8, v24, vcc
	s_waitcnt lgkmcnt(0)
	v_cmp_gt_u64_e32 vcc, v[28:29], v[26:27]
	v_and_b32_e32 v14, 24, v14
	v_cndmask_b32_e32 v31, v27, v29, vcc
	v_cndmask_b32_e32 v30, v26, v28, vcc
	v_add_u32_e32 v14, v1, v14
	v_cmp_gt_u32_e32 vcc, 64, v0
	s_barrier
	ds_write_b64 v14, v[30:31]
	s_waitcnt lgkmcnt(0)
	s_barrier
	s_and_saveexec_b64 s[2:3], vcc
	s_cbranch_execz .LBB3289_18
; %bb.15:
	v_lshlrev_b32_e32 v14, 1, v0
	v_lshrrev_b32_e32 v15, 4, v0
	v_add_lshl_u32 v36, v15, v14, 3
	ds_read2_b64 v[14:17], v36 offset1:1
	v_mbcnt_lo_u32_b32 v32, -1, 0
	v_mbcnt_hi_u32_b32 v37, -1, v32
	v_and_b32_e32 v38, 15, v37
	v_and_b32_e32 v40, 16, v37
	s_waitcnt lgkmcnt(0)
	v_cmp_gt_u64_e32 vcc, v[14:15], v[16:17]
	v_cndmask_b32_e32 v17, v17, v15, vcc
	v_cndmask_b32_e32 v16, v16, v14, vcc
	v_cmp_ne_u32_e64 s[0:1], 0, v37
	v_mov_b32_dpp v33, v17 row_shr:1 row_mask:0xf bank_mask:0xf
	v_mov_b32_dpp v32, v16 row_shr:1 row_mask:0xf bank_mask:0xf
	v_cmp_gt_u64_e32 vcc, v[32:33], v[16:17]
	v_cndmask_b32_e32 v32, v16, v32, vcc
	v_cndmask_b32_e32 v33, v17, v33, vcc
	v_cmp_eq_u32_e32 vcc, 0, v38
	v_cndmask_b32_e32 v33, v33, v17, vcc
	v_cndmask_b32_e32 v32, v32, v16, vcc
	s_nop 0
	v_mov_b32_dpp v35, v33 row_shr:2 row_mask:0xf bank_mask:0xf
	v_mov_b32_dpp v34, v32 row_shr:2 row_mask:0xf bank_mask:0xf
	v_cmp_gt_u64_e32 vcc, v[34:35], v[32:33]
	v_cndmask_b32_e32 v34, v32, v34, vcc
	v_cndmask_b32_e32 v35, v33, v35, vcc
	v_cmp_lt_u32_e32 vcc, 1, v38
	v_cndmask_b32_e32 v33, v33, v35, vcc
	v_cndmask_b32_e32 v32, v32, v34, vcc
	s_nop 0
	v_mov_b32_dpp v35, v33 row_shr:4 row_mask:0xf bank_mask:0xf
	v_mov_b32_dpp v34, v32 row_shr:4 row_mask:0xf bank_mask:0xf
	v_cmp_gt_u64_e32 vcc, v[34:35], v[32:33]
	v_cndmask_b32_e32 v34, v32, v34, vcc
	v_cndmask_b32_e32 v35, v33, v35, vcc
	v_cmp_lt_u32_e32 vcc, 3, v38
	;; [unrolled: 9-line block ×3, first 2 shown]
	v_cndmask_b32_e32 v33, v33, v35, vcc
	v_cndmask_b32_e32 v32, v32, v34, vcc
	s_nop 0
	v_mov_b32_dpp v35, v33 row_bcast:15 row_mask:0xf bank_mask:0xf
	v_mov_b32_dpp v34, v32 row_bcast:15 row_mask:0xf bank_mask:0xf
	v_cmp_gt_u64_e32 vcc, v[34:35], v[32:33]
	v_cndmask_b32_e32 v38, v33, v35, vcc
	v_cndmask_b32_e32 v39, v32, v34, vcc
	v_cmp_eq_u32_e32 vcc, 0, v40
	v_cndmask_b32_e32 v35, v38, v33, vcc
	v_cndmask_b32_e32 v34, v39, v32, vcc
	s_nop 0
	v_mov_b32_dpp v35, v35 row_bcast:31 row_mask:0xf bank_mask:0xf
	v_mov_b32_dpp v34, v34 row_bcast:31 row_mask:0xf bank_mask:0xf
	s_and_saveexec_b64 s[4:5], s[0:1]
; %bb.16:
	v_cndmask_b32_e32 v17, v38, v33, vcc
	v_cndmask_b32_e32 v16, v39, v32, vcc
	v_cmp_lt_u32_e64 s[0:1], 31, v37
	v_cmp_gt_u64_e32 vcc, v[34:35], v[16:17]
	s_and_b64 vcc, s[0:1], vcc
	v_cndmask_b32_e32 v16, v16, v34, vcc
	v_cndmask_b32_e32 v17, v17, v35, vcc
; %bb.17:
	s_or_b64 exec, exec, s[4:5]
	v_add_u32_e32 v32, -1, v37
	v_and_b32_e32 v33, 64, v37
	v_cmp_lt_i32_e32 vcc, v32, v33
	v_cndmask_b32_e32 v32, v32, v37, vcc
	v_lshlrev_b32_e32 v32, 2, v32
	ds_bpermute_b32 v16, v32, v16
	ds_bpermute_b32 v17, v32, v17
	; wave barrier
	s_waitcnt lgkmcnt(0)
	v_cmp_gt_u64_e32 vcc, v[16:17], v[14:15]
	v_cndmask_b32_e32 v14, v14, v16, vcc
	v_cndmask_b32_e32 v15, v15, v17, vcc
	v_cmp_eq_u32_e32 vcc, 0, v0
	v_cndmask_b32_e32 v15, v15, v31, vcc
	v_cndmask_b32_e32 v14, v14, v30, vcc
	ds_write_b64 v36, v[14:15]
	; wave barrier
	ds_read_b64 v[16:17], v36 offset:8
	s_waitcnt lgkmcnt(0)
	v_cmp_gt_u64_e32 vcc, v[14:15], v[16:17]
	v_cndmask_b32_e32 v15, v17, v15, vcc
	v_cndmask_b32_e32 v14, v16, v14, vcc
	ds_write_b64 v36, v[14:15] offset:8
.LBB3289_18:
	s_or_b64 exec, exec, s[2:3]
	v_mul_u32_u24_e32 v16, 48, v0
	v_cmp_ne_u32_e32 vcc, 0, v0
	v_pk_mov_b32 v[14:15], v[30:31], v[30:31] op_sel:[0,1]
	s_waitcnt lgkmcnt(0)
	s_barrier
	s_and_saveexec_b64 s[0:1], vcc
	s_cbranch_execz .LBB3289_20
; %bb.19:
	v_add_u32_e32 v0, -1, v0
	v_lshrrev_b32_e32 v14, 5, v0
	v_add_lshl_u32 v0, v14, v0, 3
	ds_read_b64 v[14:15], v0
.LBB3289_20:
	s_or_b64 exec, exec, s[0:1]
	s_and_saveexec_b64 s[0:1], vcc
	s_cbranch_execz .LBB3289_22
; %bb.21:
	s_waitcnt lgkmcnt(0)
	v_cmp_gt_u64_e32 vcc, v[14:15], v[2:3]
	v_cndmask_b32_e32 v3, v3, v15, vcc
	v_cndmask_b32_e32 v2, v2, v14, vcc
	v_cmp_gt_u64_e32 vcc, v[2:3], v[4:5]
	v_cndmask_b32_e32 v19, v5, v3, vcc
	v_cndmask_b32_e32 v18, v4, v2, vcc
	;; [unrolled: 3-line block ×7, first 2 shown]
	;;#ASMSTART
	;;#ASMEND
.LBB3289_22:
	s_or_b64 exec, exec, s[0:1]
	v_add_u32_e32 v0, v1, v16
	s_waitcnt lgkmcnt(0)
	s_barrier
	ds_write2_b64 v0, v[2:3], v[18:19] offset1:1
	ds_write2_b64 v0, v[20:21], v[22:23] offset0:2 offset1:3
	ds_write2_b64 v0, v[24:25], v[28:29] offset0:4 offset1:5
	ds_write_b64 v0, v[30:31] offset:48
	s_waitcnt lgkmcnt(0)
	s_barrier
	s_endpgm
	.section	.rodata,"a",@progbits
	.p2align	6, 0x0
	.amdhsa_kernel _ZN7rocprim17ROCPRIM_400000_NS6detail17trampoline_kernelINS0_14default_configENS1_20scan_config_selectorIyEEZZNS1_9scan_implILNS1_25lookback_scan_determinismE0ELb0ELb0ES3_N6thrust23THRUST_200600_302600_NS6detail15normal_iteratorINS9_10device_ptrIyEEEENS9_16discard_iteratorINS9_11use_defaultEEEy11max_functorIyEyEEDaPvRmT3_T4_T5_mT6_P12ihipStream_tbENKUlT_T0_E_clISt17integral_constantIbLb0EESX_EEDaSS_ST_EUlSS_E0_NS1_11comp_targetILNS1_3genE4ELNS1_11target_archE910ELNS1_3gpuE8ELNS1_3repE0EEENS1_30default_config_static_selectorELNS0_4arch9wavefront6targetE1EEEvT1_
		.amdhsa_group_segment_fixed_size 7168
		.amdhsa_private_segment_fixed_size 0
		.amdhsa_kernarg_size 48
		.amdhsa_user_sgpr_count 6
		.amdhsa_user_sgpr_private_segment_buffer 1
		.amdhsa_user_sgpr_dispatch_ptr 0
		.amdhsa_user_sgpr_queue_ptr 0
		.amdhsa_user_sgpr_kernarg_segment_ptr 1
		.amdhsa_user_sgpr_dispatch_id 0
		.amdhsa_user_sgpr_flat_scratch_init 0
		.amdhsa_user_sgpr_kernarg_preload_length 0
		.amdhsa_user_sgpr_kernarg_preload_offset 0
		.amdhsa_user_sgpr_private_segment_size 0
		.amdhsa_uses_dynamic_stack 0
		.amdhsa_system_sgpr_private_segment_wavefront_offset 0
		.amdhsa_system_sgpr_workgroup_id_x 1
		.amdhsa_system_sgpr_workgroup_id_y 0
		.amdhsa_system_sgpr_workgroup_id_z 0
		.amdhsa_system_sgpr_workgroup_info 0
		.amdhsa_system_vgpr_workitem_id 0
		.amdhsa_next_free_vgpr 41
		.amdhsa_next_free_sgpr 8
		.amdhsa_accum_offset 44
		.amdhsa_reserve_vcc 1
		.amdhsa_reserve_flat_scratch 0
		.amdhsa_float_round_mode_32 0
		.amdhsa_float_round_mode_16_64 0
		.amdhsa_float_denorm_mode_32 3
		.amdhsa_float_denorm_mode_16_64 3
		.amdhsa_dx10_clamp 1
		.amdhsa_ieee_mode 1
		.amdhsa_fp16_overflow 0
		.amdhsa_tg_split 0
		.amdhsa_exception_fp_ieee_invalid_op 0
		.amdhsa_exception_fp_denorm_src 0
		.amdhsa_exception_fp_ieee_div_zero 0
		.amdhsa_exception_fp_ieee_overflow 0
		.amdhsa_exception_fp_ieee_underflow 0
		.amdhsa_exception_fp_ieee_inexact 0
		.amdhsa_exception_int_div_zero 0
	.end_amdhsa_kernel
	.section	.text._ZN7rocprim17ROCPRIM_400000_NS6detail17trampoline_kernelINS0_14default_configENS1_20scan_config_selectorIyEEZZNS1_9scan_implILNS1_25lookback_scan_determinismE0ELb0ELb0ES3_N6thrust23THRUST_200600_302600_NS6detail15normal_iteratorINS9_10device_ptrIyEEEENS9_16discard_iteratorINS9_11use_defaultEEEy11max_functorIyEyEEDaPvRmT3_T4_T5_mT6_P12ihipStream_tbENKUlT_T0_E_clISt17integral_constantIbLb0EESX_EEDaSS_ST_EUlSS_E0_NS1_11comp_targetILNS1_3genE4ELNS1_11target_archE910ELNS1_3gpuE8ELNS1_3repE0EEENS1_30default_config_static_selectorELNS0_4arch9wavefront6targetE1EEEvT1_,"axG",@progbits,_ZN7rocprim17ROCPRIM_400000_NS6detail17trampoline_kernelINS0_14default_configENS1_20scan_config_selectorIyEEZZNS1_9scan_implILNS1_25lookback_scan_determinismE0ELb0ELb0ES3_N6thrust23THRUST_200600_302600_NS6detail15normal_iteratorINS9_10device_ptrIyEEEENS9_16discard_iteratorINS9_11use_defaultEEEy11max_functorIyEyEEDaPvRmT3_T4_T5_mT6_P12ihipStream_tbENKUlT_T0_E_clISt17integral_constantIbLb0EESX_EEDaSS_ST_EUlSS_E0_NS1_11comp_targetILNS1_3genE4ELNS1_11target_archE910ELNS1_3gpuE8ELNS1_3repE0EEENS1_30default_config_static_selectorELNS0_4arch9wavefront6targetE1EEEvT1_,comdat
.Lfunc_end3289:
	.size	_ZN7rocprim17ROCPRIM_400000_NS6detail17trampoline_kernelINS0_14default_configENS1_20scan_config_selectorIyEEZZNS1_9scan_implILNS1_25lookback_scan_determinismE0ELb0ELb0ES3_N6thrust23THRUST_200600_302600_NS6detail15normal_iteratorINS9_10device_ptrIyEEEENS9_16discard_iteratorINS9_11use_defaultEEEy11max_functorIyEyEEDaPvRmT3_T4_T5_mT6_P12ihipStream_tbENKUlT_T0_E_clISt17integral_constantIbLb0EESX_EEDaSS_ST_EUlSS_E0_NS1_11comp_targetILNS1_3genE4ELNS1_11target_archE910ELNS1_3gpuE8ELNS1_3repE0EEENS1_30default_config_static_selectorELNS0_4arch9wavefront6targetE1EEEvT1_, .Lfunc_end3289-_ZN7rocprim17ROCPRIM_400000_NS6detail17trampoline_kernelINS0_14default_configENS1_20scan_config_selectorIyEEZZNS1_9scan_implILNS1_25lookback_scan_determinismE0ELb0ELb0ES3_N6thrust23THRUST_200600_302600_NS6detail15normal_iteratorINS9_10device_ptrIyEEEENS9_16discard_iteratorINS9_11use_defaultEEEy11max_functorIyEyEEDaPvRmT3_T4_T5_mT6_P12ihipStream_tbENKUlT_T0_E_clISt17integral_constantIbLb0EESX_EEDaSS_ST_EUlSS_E0_NS1_11comp_targetILNS1_3genE4ELNS1_11target_archE910ELNS1_3gpuE8ELNS1_3repE0EEENS1_30default_config_static_selectorELNS0_4arch9wavefront6targetE1EEEvT1_
                                        ; -- End function
	.section	.AMDGPU.csdata,"",@progbits
; Kernel info:
; codeLenInByte = 1200
; NumSgprs: 12
; NumVgprs: 41
; NumAgprs: 0
; TotalNumVgprs: 41
; ScratchSize: 0
; MemoryBound: 0
; FloatMode: 240
; IeeeMode: 1
; LDSByteSize: 7168 bytes/workgroup (compile time only)
; SGPRBlocks: 1
; VGPRBlocks: 5
; NumSGPRsForWavesPerEU: 12
; NumVGPRsForWavesPerEU: 41
; AccumOffset: 44
; Occupancy: 5
; WaveLimiterHint : 0
; COMPUTE_PGM_RSRC2:SCRATCH_EN: 0
; COMPUTE_PGM_RSRC2:USER_SGPR: 6
; COMPUTE_PGM_RSRC2:TRAP_HANDLER: 0
; COMPUTE_PGM_RSRC2:TGID_X_EN: 1
; COMPUTE_PGM_RSRC2:TGID_Y_EN: 0
; COMPUTE_PGM_RSRC2:TGID_Z_EN: 0
; COMPUTE_PGM_RSRC2:TIDIG_COMP_CNT: 0
; COMPUTE_PGM_RSRC3_GFX90A:ACCUM_OFFSET: 10
; COMPUTE_PGM_RSRC3_GFX90A:TG_SPLIT: 0
	.section	.text._ZN7rocprim17ROCPRIM_400000_NS6detail17trampoline_kernelINS0_14default_configENS1_20scan_config_selectorIyEEZZNS1_9scan_implILNS1_25lookback_scan_determinismE0ELb0ELb0ES3_N6thrust23THRUST_200600_302600_NS6detail15normal_iteratorINS9_10device_ptrIyEEEENS9_16discard_iteratorINS9_11use_defaultEEEy11max_functorIyEyEEDaPvRmT3_T4_T5_mT6_P12ihipStream_tbENKUlT_T0_E_clISt17integral_constantIbLb0EESX_EEDaSS_ST_EUlSS_E0_NS1_11comp_targetILNS1_3genE3ELNS1_11target_archE908ELNS1_3gpuE7ELNS1_3repE0EEENS1_30default_config_static_selectorELNS0_4arch9wavefront6targetE1EEEvT1_,"axG",@progbits,_ZN7rocprim17ROCPRIM_400000_NS6detail17trampoline_kernelINS0_14default_configENS1_20scan_config_selectorIyEEZZNS1_9scan_implILNS1_25lookback_scan_determinismE0ELb0ELb0ES3_N6thrust23THRUST_200600_302600_NS6detail15normal_iteratorINS9_10device_ptrIyEEEENS9_16discard_iteratorINS9_11use_defaultEEEy11max_functorIyEyEEDaPvRmT3_T4_T5_mT6_P12ihipStream_tbENKUlT_T0_E_clISt17integral_constantIbLb0EESX_EEDaSS_ST_EUlSS_E0_NS1_11comp_targetILNS1_3genE3ELNS1_11target_archE908ELNS1_3gpuE7ELNS1_3repE0EEENS1_30default_config_static_selectorELNS0_4arch9wavefront6targetE1EEEvT1_,comdat
	.protected	_ZN7rocprim17ROCPRIM_400000_NS6detail17trampoline_kernelINS0_14default_configENS1_20scan_config_selectorIyEEZZNS1_9scan_implILNS1_25lookback_scan_determinismE0ELb0ELb0ES3_N6thrust23THRUST_200600_302600_NS6detail15normal_iteratorINS9_10device_ptrIyEEEENS9_16discard_iteratorINS9_11use_defaultEEEy11max_functorIyEyEEDaPvRmT3_T4_T5_mT6_P12ihipStream_tbENKUlT_T0_E_clISt17integral_constantIbLb0EESX_EEDaSS_ST_EUlSS_E0_NS1_11comp_targetILNS1_3genE3ELNS1_11target_archE908ELNS1_3gpuE7ELNS1_3repE0EEENS1_30default_config_static_selectorELNS0_4arch9wavefront6targetE1EEEvT1_ ; -- Begin function _ZN7rocprim17ROCPRIM_400000_NS6detail17trampoline_kernelINS0_14default_configENS1_20scan_config_selectorIyEEZZNS1_9scan_implILNS1_25lookback_scan_determinismE0ELb0ELb0ES3_N6thrust23THRUST_200600_302600_NS6detail15normal_iteratorINS9_10device_ptrIyEEEENS9_16discard_iteratorINS9_11use_defaultEEEy11max_functorIyEyEEDaPvRmT3_T4_T5_mT6_P12ihipStream_tbENKUlT_T0_E_clISt17integral_constantIbLb0EESX_EEDaSS_ST_EUlSS_E0_NS1_11comp_targetILNS1_3genE3ELNS1_11target_archE908ELNS1_3gpuE7ELNS1_3repE0EEENS1_30default_config_static_selectorELNS0_4arch9wavefront6targetE1EEEvT1_
	.globl	_ZN7rocprim17ROCPRIM_400000_NS6detail17trampoline_kernelINS0_14default_configENS1_20scan_config_selectorIyEEZZNS1_9scan_implILNS1_25lookback_scan_determinismE0ELb0ELb0ES3_N6thrust23THRUST_200600_302600_NS6detail15normal_iteratorINS9_10device_ptrIyEEEENS9_16discard_iteratorINS9_11use_defaultEEEy11max_functorIyEyEEDaPvRmT3_T4_T5_mT6_P12ihipStream_tbENKUlT_T0_E_clISt17integral_constantIbLb0EESX_EEDaSS_ST_EUlSS_E0_NS1_11comp_targetILNS1_3genE3ELNS1_11target_archE908ELNS1_3gpuE7ELNS1_3repE0EEENS1_30default_config_static_selectorELNS0_4arch9wavefront6targetE1EEEvT1_
	.p2align	8
	.type	_ZN7rocprim17ROCPRIM_400000_NS6detail17trampoline_kernelINS0_14default_configENS1_20scan_config_selectorIyEEZZNS1_9scan_implILNS1_25lookback_scan_determinismE0ELb0ELb0ES3_N6thrust23THRUST_200600_302600_NS6detail15normal_iteratorINS9_10device_ptrIyEEEENS9_16discard_iteratorINS9_11use_defaultEEEy11max_functorIyEyEEDaPvRmT3_T4_T5_mT6_P12ihipStream_tbENKUlT_T0_E_clISt17integral_constantIbLb0EESX_EEDaSS_ST_EUlSS_E0_NS1_11comp_targetILNS1_3genE3ELNS1_11target_archE908ELNS1_3gpuE7ELNS1_3repE0EEENS1_30default_config_static_selectorELNS0_4arch9wavefront6targetE1EEEvT1_,@function
_ZN7rocprim17ROCPRIM_400000_NS6detail17trampoline_kernelINS0_14default_configENS1_20scan_config_selectorIyEEZZNS1_9scan_implILNS1_25lookback_scan_determinismE0ELb0ELb0ES3_N6thrust23THRUST_200600_302600_NS6detail15normal_iteratorINS9_10device_ptrIyEEEENS9_16discard_iteratorINS9_11use_defaultEEEy11max_functorIyEyEEDaPvRmT3_T4_T5_mT6_P12ihipStream_tbENKUlT_T0_E_clISt17integral_constantIbLb0EESX_EEDaSS_ST_EUlSS_E0_NS1_11comp_targetILNS1_3genE3ELNS1_11target_archE908ELNS1_3gpuE7ELNS1_3repE0EEENS1_30default_config_static_selectorELNS0_4arch9wavefront6targetE1EEEvT1_: ; @_ZN7rocprim17ROCPRIM_400000_NS6detail17trampoline_kernelINS0_14default_configENS1_20scan_config_selectorIyEEZZNS1_9scan_implILNS1_25lookback_scan_determinismE0ELb0ELb0ES3_N6thrust23THRUST_200600_302600_NS6detail15normal_iteratorINS9_10device_ptrIyEEEENS9_16discard_iteratorINS9_11use_defaultEEEy11max_functorIyEyEEDaPvRmT3_T4_T5_mT6_P12ihipStream_tbENKUlT_T0_E_clISt17integral_constantIbLb0EESX_EEDaSS_ST_EUlSS_E0_NS1_11comp_targetILNS1_3genE3ELNS1_11target_archE908ELNS1_3gpuE7ELNS1_3repE0EEENS1_30default_config_static_selectorELNS0_4arch9wavefront6targetE1EEEvT1_
; %bb.0:
	.section	.rodata,"a",@progbits
	.p2align	6, 0x0
	.amdhsa_kernel _ZN7rocprim17ROCPRIM_400000_NS6detail17trampoline_kernelINS0_14default_configENS1_20scan_config_selectorIyEEZZNS1_9scan_implILNS1_25lookback_scan_determinismE0ELb0ELb0ES3_N6thrust23THRUST_200600_302600_NS6detail15normal_iteratorINS9_10device_ptrIyEEEENS9_16discard_iteratorINS9_11use_defaultEEEy11max_functorIyEyEEDaPvRmT3_T4_T5_mT6_P12ihipStream_tbENKUlT_T0_E_clISt17integral_constantIbLb0EESX_EEDaSS_ST_EUlSS_E0_NS1_11comp_targetILNS1_3genE3ELNS1_11target_archE908ELNS1_3gpuE7ELNS1_3repE0EEENS1_30default_config_static_selectorELNS0_4arch9wavefront6targetE1EEEvT1_
		.amdhsa_group_segment_fixed_size 0
		.amdhsa_private_segment_fixed_size 0
		.amdhsa_kernarg_size 48
		.amdhsa_user_sgpr_count 6
		.amdhsa_user_sgpr_private_segment_buffer 1
		.amdhsa_user_sgpr_dispatch_ptr 0
		.amdhsa_user_sgpr_queue_ptr 0
		.amdhsa_user_sgpr_kernarg_segment_ptr 1
		.amdhsa_user_sgpr_dispatch_id 0
		.amdhsa_user_sgpr_flat_scratch_init 0
		.amdhsa_user_sgpr_kernarg_preload_length 0
		.amdhsa_user_sgpr_kernarg_preload_offset 0
		.amdhsa_user_sgpr_private_segment_size 0
		.amdhsa_uses_dynamic_stack 0
		.amdhsa_system_sgpr_private_segment_wavefront_offset 0
		.amdhsa_system_sgpr_workgroup_id_x 1
		.amdhsa_system_sgpr_workgroup_id_y 0
		.amdhsa_system_sgpr_workgroup_id_z 0
		.amdhsa_system_sgpr_workgroup_info 0
		.amdhsa_system_vgpr_workitem_id 0
		.amdhsa_next_free_vgpr 1
		.amdhsa_next_free_sgpr 0
		.amdhsa_accum_offset 4
		.amdhsa_reserve_vcc 0
		.amdhsa_reserve_flat_scratch 0
		.amdhsa_float_round_mode_32 0
		.amdhsa_float_round_mode_16_64 0
		.amdhsa_float_denorm_mode_32 3
		.amdhsa_float_denorm_mode_16_64 3
		.amdhsa_dx10_clamp 1
		.amdhsa_ieee_mode 1
		.amdhsa_fp16_overflow 0
		.amdhsa_tg_split 0
		.amdhsa_exception_fp_ieee_invalid_op 0
		.amdhsa_exception_fp_denorm_src 0
		.amdhsa_exception_fp_ieee_div_zero 0
		.amdhsa_exception_fp_ieee_overflow 0
		.amdhsa_exception_fp_ieee_underflow 0
		.amdhsa_exception_fp_ieee_inexact 0
		.amdhsa_exception_int_div_zero 0
	.end_amdhsa_kernel
	.section	.text._ZN7rocprim17ROCPRIM_400000_NS6detail17trampoline_kernelINS0_14default_configENS1_20scan_config_selectorIyEEZZNS1_9scan_implILNS1_25lookback_scan_determinismE0ELb0ELb0ES3_N6thrust23THRUST_200600_302600_NS6detail15normal_iteratorINS9_10device_ptrIyEEEENS9_16discard_iteratorINS9_11use_defaultEEEy11max_functorIyEyEEDaPvRmT3_T4_T5_mT6_P12ihipStream_tbENKUlT_T0_E_clISt17integral_constantIbLb0EESX_EEDaSS_ST_EUlSS_E0_NS1_11comp_targetILNS1_3genE3ELNS1_11target_archE908ELNS1_3gpuE7ELNS1_3repE0EEENS1_30default_config_static_selectorELNS0_4arch9wavefront6targetE1EEEvT1_,"axG",@progbits,_ZN7rocprim17ROCPRIM_400000_NS6detail17trampoline_kernelINS0_14default_configENS1_20scan_config_selectorIyEEZZNS1_9scan_implILNS1_25lookback_scan_determinismE0ELb0ELb0ES3_N6thrust23THRUST_200600_302600_NS6detail15normal_iteratorINS9_10device_ptrIyEEEENS9_16discard_iteratorINS9_11use_defaultEEEy11max_functorIyEyEEDaPvRmT3_T4_T5_mT6_P12ihipStream_tbENKUlT_T0_E_clISt17integral_constantIbLb0EESX_EEDaSS_ST_EUlSS_E0_NS1_11comp_targetILNS1_3genE3ELNS1_11target_archE908ELNS1_3gpuE7ELNS1_3repE0EEENS1_30default_config_static_selectorELNS0_4arch9wavefront6targetE1EEEvT1_,comdat
.Lfunc_end3290:
	.size	_ZN7rocprim17ROCPRIM_400000_NS6detail17trampoline_kernelINS0_14default_configENS1_20scan_config_selectorIyEEZZNS1_9scan_implILNS1_25lookback_scan_determinismE0ELb0ELb0ES3_N6thrust23THRUST_200600_302600_NS6detail15normal_iteratorINS9_10device_ptrIyEEEENS9_16discard_iteratorINS9_11use_defaultEEEy11max_functorIyEyEEDaPvRmT3_T4_T5_mT6_P12ihipStream_tbENKUlT_T0_E_clISt17integral_constantIbLb0EESX_EEDaSS_ST_EUlSS_E0_NS1_11comp_targetILNS1_3genE3ELNS1_11target_archE908ELNS1_3gpuE7ELNS1_3repE0EEENS1_30default_config_static_selectorELNS0_4arch9wavefront6targetE1EEEvT1_, .Lfunc_end3290-_ZN7rocprim17ROCPRIM_400000_NS6detail17trampoline_kernelINS0_14default_configENS1_20scan_config_selectorIyEEZZNS1_9scan_implILNS1_25lookback_scan_determinismE0ELb0ELb0ES3_N6thrust23THRUST_200600_302600_NS6detail15normal_iteratorINS9_10device_ptrIyEEEENS9_16discard_iteratorINS9_11use_defaultEEEy11max_functorIyEyEEDaPvRmT3_T4_T5_mT6_P12ihipStream_tbENKUlT_T0_E_clISt17integral_constantIbLb0EESX_EEDaSS_ST_EUlSS_E0_NS1_11comp_targetILNS1_3genE3ELNS1_11target_archE908ELNS1_3gpuE7ELNS1_3repE0EEENS1_30default_config_static_selectorELNS0_4arch9wavefront6targetE1EEEvT1_
                                        ; -- End function
	.section	.AMDGPU.csdata,"",@progbits
; Kernel info:
; codeLenInByte = 0
; NumSgprs: 4
; NumVgprs: 0
; NumAgprs: 0
; TotalNumVgprs: 0
; ScratchSize: 0
; MemoryBound: 0
; FloatMode: 240
; IeeeMode: 1
; LDSByteSize: 0 bytes/workgroup (compile time only)
; SGPRBlocks: 0
; VGPRBlocks: 0
; NumSGPRsForWavesPerEU: 4
; NumVGPRsForWavesPerEU: 1
; AccumOffset: 4
; Occupancy: 8
; WaveLimiterHint : 0
; COMPUTE_PGM_RSRC2:SCRATCH_EN: 0
; COMPUTE_PGM_RSRC2:USER_SGPR: 6
; COMPUTE_PGM_RSRC2:TRAP_HANDLER: 0
; COMPUTE_PGM_RSRC2:TGID_X_EN: 1
; COMPUTE_PGM_RSRC2:TGID_Y_EN: 0
; COMPUTE_PGM_RSRC2:TGID_Z_EN: 0
; COMPUTE_PGM_RSRC2:TIDIG_COMP_CNT: 0
; COMPUTE_PGM_RSRC3_GFX90A:ACCUM_OFFSET: 0
; COMPUTE_PGM_RSRC3_GFX90A:TG_SPLIT: 0
	.section	.text._ZN7rocprim17ROCPRIM_400000_NS6detail17trampoline_kernelINS0_14default_configENS1_20scan_config_selectorIyEEZZNS1_9scan_implILNS1_25lookback_scan_determinismE0ELb0ELb0ES3_N6thrust23THRUST_200600_302600_NS6detail15normal_iteratorINS9_10device_ptrIyEEEENS9_16discard_iteratorINS9_11use_defaultEEEy11max_functorIyEyEEDaPvRmT3_T4_T5_mT6_P12ihipStream_tbENKUlT_T0_E_clISt17integral_constantIbLb0EESX_EEDaSS_ST_EUlSS_E0_NS1_11comp_targetILNS1_3genE2ELNS1_11target_archE906ELNS1_3gpuE6ELNS1_3repE0EEENS1_30default_config_static_selectorELNS0_4arch9wavefront6targetE1EEEvT1_,"axG",@progbits,_ZN7rocprim17ROCPRIM_400000_NS6detail17trampoline_kernelINS0_14default_configENS1_20scan_config_selectorIyEEZZNS1_9scan_implILNS1_25lookback_scan_determinismE0ELb0ELb0ES3_N6thrust23THRUST_200600_302600_NS6detail15normal_iteratorINS9_10device_ptrIyEEEENS9_16discard_iteratorINS9_11use_defaultEEEy11max_functorIyEyEEDaPvRmT3_T4_T5_mT6_P12ihipStream_tbENKUlT_T0_E_clISt17integral_constantIbLb0EESX_EEDaSS_ST_EUlSS_E0_NS1_11comp_targetILNS1_3genE2ELNS1_11target_archE906ELNS1_3gpuE6ELNS1_3repE0EEENS1_30default_config_static_selectorELNS0_4arch9wavefront6targetE1EEEvT1_,comdat
	.protected	_ZN7rocprim17ROCPRIM_400000_NS6detail17trampoline_kernelINS0_14default_configENS1_20scan_config_selectorIyEEZZNS1_9scan_implILNS1_25lookback_scan_determinismE0ELb0ELb0ES3_N6thrust23THRUST_200600_302600_NS6detail15normal_iteratorINS9_10device_ptrIyEEEENS9_16discard_iteratorINS9_11use_defaultEEEy11max_functorIyEyEEDaPvRmT3_T4_T5_mT6_P12ihipStream_tbENKUlT_T0_E_clISt17integral_constantIbLb0EESX_EEDaSS_ST_EUlSS_E0_NS1_11comp_targetILNS1_3genE2ELNS1_11target_archE906ELNS1_3gpuE6ELNS1_3repE0EEENS1_30default_config_static_selectorELNS0_4arch9wavefront6targetE1EEEvT1_ ; -- Begin function _ZN7rocprim17ROCPRIM_400000_NS6detail17trampoline_kernelINS0_14default_configENS1_20scan_config_selectorIyEEZZNS1_9scan_implILNS1_25lookback_scan_determinismE0ELb0ELb0ES3_N6thrust23THRUST_200600_302600_NS6detail15normal_iteratorINS9_10device_ptrIyEEEENS9_16discard_iteratorINS9_11use_defaultEEEy11max_functorIyEyEEDaPvRmT3_T4_T5_mT6_P12ihipStream_tbENKUlT_T0_E_clISt17integral_constantIbLb0EESX_EEDaSS_ST_EUlSS_E0_NS1_11comp_targetILNS1_3genE2ELNS1_11target_archE906ELNS1_3gpuE6ELNS1_3repE0EEENS1_30default_config_static_selectorELNS0_4arch9wavefront6targetE1EEEvT1_
	.globl	_ZN7rocprim17ROCPRIM_400000_NS6detail17trampoline_kernelINS0_14default_configENS1_20scan_config_selectorIyEEZZNS1_9scan_implILNS1_25lookback_scan_determinismE0ELb0ELb0ES3_N6thrust23THRUST_200600_302600_NS6detail15normal_iteratorINS9_10device_ptrIyEEEENS9_16discard_iteratorINS9_11use_defaultEEEy11max_functorIyEyEEDaPvRmT3_T4_T5_mT6_P12ihipStream_tbENKUlT_T0_E_clISt17integral_constantIbLb0EESX_EEDaSS_ST_EUlSS_E0_NS1_11comp_targetILNS1_3genE2ELNS1_11target_archE906ELNS1_3gpuE6ELNS1_3repE0EEENS1_30default_config_static_selectorELNS0_4arch9wavefront6targetE1EEEvT1_
	.p2align	8
	.type	_ZN7rocprim17ROCPRIM_400000_NS6detail17trampoline_kernelINS0_14default_configENS1_20scan_config_selectorIyEEZZNS1_9scan_implILNS1_25lookback_scan_determinismE0ELb0ELb0ES3_N6thrust23THRUST_200600_302600_NS6detail15normal_iteratorINS9_10device_ptrIyEEEENS9_16discard_iteratorINS9_11use_defaultEEEy11max_functorIyEyEEDaPvRmT3_T4_T5_mT6_P12ihipStream_tbENKUlT_T0_E_clISt17integral_constantIbLb0EESX_EEDaSS_ST_EUlSS_E0_NS1_11comp_targetILNS1_3genE2ELNS1_11target_archE906ELNS1_3gpuE6ELNS1_3repE0EEENS1_30default_config_static_selectorELNS0_4arch9wavefront6targetE1EEEvT1_,@function
_ZN7rocprim17ROCPRIM_400000_NS6detail17trampoline_kernelINS0_14default_configENS1_20scan_config_selectorIyEEZZNS1_9scan_implILNS1_25lookback_scan_determinismE0ELb0ELb0ES3_N6thrust23THRUST_200600_302600_NS6detail15normal_iteratorINS9_10device_ptrIyEEEENS9_16discard_iteratorINS9_11use_defaultEEEy11max_functorIyEyEEDaPvRmT3_T4_T5_mT6_P12ihipStream_tbENKUlT_T0_E_clISt17integral_constantIbLb0EESX_EEDaSS_ST_EUlSS_E0_NS1_11comp_targetILNS1_3genE2ELNS1_11target_archE906ELNS1_3gpuE6ELNS1_3repE0EEENS1_30default_config_static_selectorELNS0_4arch9wavefront6targetE1EEEvT1_: ; @_ZN7rocprim17ROCPRIM_400000_NS6detail17trampoline_kernelINS0_14default_configENS1_20scan_config_selectorIyEEZZNS1_9scan_implILNS1_25lookback_scan_determinismE0ELb0ELb0ES3_N6thrust23THRUST_200600_302600_NS6detail15normal_iteratorINS9_10device_ptrIyEEEENS9_16discard_iteratorINS9_11use_defaultEEEy11max_functorIyEyEEDaPvRmT3_T4_T5_mT6_P12ihipStream_tbENKUlT_T0_E_clISt17integral_constantIbLb0EESX_EEDaSS_ST_EUlSS_E0_NS1_11comp_targetILNS1_3genE2ELNS1_11target_archE906ELNS1_3gpuE6ELNS1_3repE0EEENS1_30default_config_static_selectorELNS0_4arch9wavefront6targetE1EEEvT1_
; %bb.0:
	.section	.rodata,"a",@progbits
	.p2align	6, 0x0
	.amdhsa_kernel _ZN7rocprim17ROCPRIM_400000_NS6detail17trampoline_kernelINS0_14default_configENS1_20scan_config_selectorIyEEZZNS1_9scan_implILNS1_25lookback_scan_determinismE0ELb0ELb0ES3_N6thrust23THRUST_200600_302600_NS6detail15normal_iteratorINS9_10device_ptrIyEEEENS9_16discard_iteratorINS9_11use_defaultEEEy11max_functorIyEyEEDaPvRmT3_T4_T5_mT6_P12ihipStream_tbENKUlT_T0_E_clISt17integral_constantIbLb0EESX_EEDaSS_ST_EUlSS_E0_NS1_11comp_targetILNS1_3genE2ELNS1_11target_archE906ELNS1_3gpuE6ELNS1_3repE0EEENS1_30default_config_static_selectorELNS0_4arch9wavefront6targetE1EEEvT1_
		.amdhsa_group_segment_fixed_size 0
		.amdhsa_private_segment_fixed_size 0
		.amdhsa_kernarg_size 48
		.amdhsa_user_sgpr_count 6
		.amdhsa_user_sgpr_private_segment_buffer 1
		.amdhsa_user_sgpr_dispatch_ptr 0
		.amdhsa_user_sgpr_queue_ptr 0
		.amdhsa_user_sgpr_kernarg_segment_ptr 1
		.amdhsa_user_sgpr_dispatch_id 0
		.amdhsa_user_sgpr_flat_scratch_init 0
		.amdhsa_user_sgpr_kernarg_preload_length 0
		.amdhsa_user_sgpr_kernarg_preload_offset 0
		.amdhsa_user_sgpr_private_segment_size 0
		.amdhsa_uses_dynamic_stack 0
		.amdhsa_system_sgpr_private_segment_wavefront_offset 0
		.amdhsa_system_sgpr_workgroup_id_x 1
		.amdhsa_system_sgpr_workgroup_id_y 0
		.amdhsa_system_sgpr_workgroup_id_z 0
		.amdhsa_system_sgpr_workgroup_info 0
		.amdhsa_system_vgpr_workitem_id 0
		.amdhsa_next_free_vgpr 1
		.amdhsa_next_free_sgpr 0
		.amdhsa_accum_offset 4
		.amdhsa_reserve_vcc 0
		.amdhsa_reserve_flat_scratch 0
		.amdhsa_float_round_mode_32 0
		.amdhsa_float_round_mode_16_64 0
		.amdhsa_float_denorm_mode_32 3
		.amdhsa_float_denorm_mode_16_64 3
		.amdhsa_dx10_clamp 1
		.amdhsa_ieee_mode 1
		.amdhsa_fp16_overflow 0
		.amdhsa_tg_split 0
		.amdhsa_exception_fp_ieee_invalid_op 0
		.amdhsa_exception_fp_denorm_src 0
		.amdhsa_exception_fp_ieee_div_zero 0
		.amdhsa_exception_fp_ieee_overflow 0
		.amdhsa_exception_fp_ieee_underflow 0
		.amdhsa_exception_fp_ieee_inexact 0
		.amdhsa_exception_int_div_zero 0
	.end_amdhsa_kernel
	.section	.text._ZN7rocprim17ROCPRIM_400000_NS6detail17trampoline_kernelINS0_14default_configENS1_20scan_config_selectorIyEEZZNS1_9scan_implILNS1_25lookback_scan_determinismE0ELb0ELb0ES3_N6thrust23THRUST_200600_302600_NS6detail15normal_iteratorINS9_10device_ptrIyEEEENS9_16discard_iteratorINS9_11use_defaultEEEy11max_functorIyEyEEDaPvRmT3_T4_T5_mT6_P12ihipStream_tbENKUlT_T0_E_clISt17integral_constantIbLb0EESX_EEDaSS_ST_EUlSS_E0_NS1_11comp_targetILNS1_3genE2ELNS1_11target_archE906ELNS1_3gpuE6ELNS1_3repE0EEENS1_30default_config_static_selectorELNS0_4arch9wavefront6targetE1EEEvT1_,"axG",@progbits,_ZN7rocprim17ROCPRIM_400000_NS6detail17trampoline_kernelINS0_14default_configENS1_20scan_config_selectorIyEEZZNS1_9scan_implILNS1_25lookback_scan_determinismE0ELb0ELb0ES3_N6thrust23THRUST_200600_302600_NS6detail15normal_iteratorINS9_10device_ptrIyEEEENS9_16discard_iteratorINS9_11use_defaultEEEy11max_functorIyEyEEDaPvRmT3_T4_T5_mT6_P12ihipStream_tbENKUlT_T0_E_clISt17integral_constantIbLb0EESX_EEDaSS_ST_EUlSS_E0_NS1_11comp_targetILNS1_3genE2ELNS1_11target_archE906ELNS1_3gpuE6ELNS1_3repE0EEENS1_30default_config_static_selectorELNS0_4arch9wavefront6targetE1EEEvT1_,comdat
.Lfunc_end3291:
	.size	_ZN7rocprim17ROCPRIM_400000_NS6detail17trampoline_kernelINS0_14default_configENS1_20scan_config_selectorIyEEZZNS1_9scan_implILNS1_25lookback_scan_determinismE0ELb0ELb0ES3_N6thrust23THRUST_200600_302600_NS6detail15normal_iteratorINS9_10device_ptrIyEEEENS9_16discard_iteratorINS9_11use_defaultEEEy11max_functorIyEyEEDaPvRmT3_T4_T5_mT6_P12ihipStream_tbENKUlT_T0_E_clISt17integral_constantIbLb0EESX_EEDaSS_ST_EUlSS_E0_NS1_11comp_targetILNS1_3genE2ELNS1_11target_archE906ELNS1_3gpuE6ELNS1_3repE0EEENS1_30default_config_static_selectorELNS0_4arch9wavefront6targetE1EEEvT1_, .Lfunc_end3291-_ZN7rocprim17ROCPRIM_400000_NS6detail17trampoline_kernelINS0_14default_configENS1_20scan_config_selectorIyEEZZNS1_9scan_implILNS1_25lookback_scan_determinismE0ELb0ELb0ES3_N6thrust23THRUST_200600_302600_NS6detail15normal_iteratorINS9_10device_ptrIyEEEENS9_16discard_iteratorINS9_11use_defaultEEEy11max_functorIyEyEEDaPvRmT3_T4_T5_mT6_P12ihipStream_tbENKUlT_T0_E_clISt17integral_constantIbLb0EESX_EEDaSS_ST_EUlSS_E0_NS1_11comp_targetILNS1_3genE2ELNS1_11target_archE906ELNS1_3gpuE6ELNS1_3repE0EEENS1_30default_config_static_selectorELNS0_4arch9wavefront6targetE1EEEvT1_
                                        ; -- End function
	.section	.AMDGPU.csdata,"",@progbits
; Kernel info:
; codeLenInByte = 0
; NumSgprs: 4
; NumVgprs: 0
; NumAgprs: 0
; TotalNumVgprs: 0
; ScratchSize: 0
; MemoryBound: 0
; FloatMode: 240
; IeeeMode: 1
; LDSByteSize: 0 bytes/workgroup (compile time only)
; SGPRBlocks: 0
; VGPRBlocks: 0
; NumSGPRsForWavesPerEU: 4
; NumVGPRsForWavesPerEU: 1
; AccumOffset: 4
; Occupancy: 8
; WaveLimiterHint : 0
; COMPUTE_PGM_RSRC2:SCRATCH_EN: 0
; COMPUTE_PGM_RSRC2:USER_SGPR: 6
; COMPUTE_PGM_RSRC2:TRAP_HANDLER: 0
; COMPUTE_PGM_RSRC2:TGID_X_EN: 1
; COMPUTE_PGM_RSRC2:TGID_Y_EN: 0
; COMPUTE_PGM_RSRC2:TGID_Z_EN: 0
; COMPUTE_PGM_RSRC2:TIDIG_COMP_CNT: 0
; COMPUTE_PGM_RSRC3_GFX90A:ACCUM_OFFSET: 0
; COMPUTE_PGM_RSRC3_GFX90A:TG_SPLIT: 0
	.section	.text._ZN7rocprim17ROCPRIM_400000_NS6detail17trampoline_kernelINS0_14default_configENS1_20scan_config_selectorIyEEZZNS1_9scan_implILNS1_25lookback_scan_determinismE0ELb0ELb0ES3_N6thrust23THRUST_200600_302600_NS6detail15normal_iteratorINS9_10device_ptrIyEEEENS9_16discard_iteratorINS9_11use_defaultEEEy11max_functorIyEyEEDaPvRmT3_T4_T5_mT6_P12ihipStream_tbENKUlT_T0_E_clISt17integral_constantIbLb0EESX_EEDaSS_ST_EUlSS_E0_NS1_11comp_targetILNS1_3genE10ELNS1_11target_archE1201ELNS1_3gpuE5ELNS1_3repE0EEENS1_30default_config_static_selectorELNS0_4arch9wavefront6targetE1EEEvT1_,"axG",@progbits,_ZN7rocprim17ROCPRIM_400000_NS6detail17trampoline_kernelINS0_14default_configENS1_20scan_config_selectorIyEEZZNS1_9scan_implILNS1_25lookback_scan_determinismE0ELb0ELb0ES3_N6thrust23THRUST_200600_302600_NS6detail15normal_iteratorINS9_10device_ptrIyEEEENS9_16discard_iteratorINS9_11use_defaultEEEy11max_functorIyEyEEDaPvRmT3_T4_T5_mT6_P12ihipStream_tbENKUlT_T0_E_clISt17integral_constantIbLb0EESX_EEDaSS_ST_EUlSS_E0_NS1_11comp_targetILNS1_3genE10ELNS1_11target_archE1201ELNS1_3gpuE5ELNS1_3repE0EEENS1_30default_config_static_selectorELNS0_4arch9wavefront6targetE1EEEvT1_,comdat
	.protected	_ZN7rocprim17ROCPRIM_400000_NS6detail17trampoline_kernelINS0_14default_configENS1_20scan_config_selectorIyEEZZNS1_9scan_implILNS1_25lookback_scan_determinismE0ELb0ELb0ES3_N6thrust23THRUST_200600_302600_NS6detail15normal_iteratorINS9_10device_ptrIyEEEENS9_16discard_iteratorINS9_11use_defaultEEEy11max_functorIyEyEEDaPvRmT3_T4_T5_mT6_P12ihipStream_tbENKUlT_T0_E_clISt17integral_constantIbLb0EESX_EEDaSS_ST_EUlSS_E0_NS1_11comp_targetILNS1_3genE10ELNS1_11target_archE1201ELNS1_3gpuE5ELNS1_3repE0EEENS1_30default_config_static_selectorELNS0_4arch9wavefront6targetE1EEEvT1_ ; -- Begin function _ZN7rocprim17ROCPRIM_400000_NS6detail17trampoline_kernelINS0_14default_configENS1_20scan_config_selectorIyEEZZNS1_9scan_implILNS1_25lookback_scan_determinismE0ELb0ELb0ES3_N6thrust23THRUST_200600_302600_NS6detail15normal_iteratorINS9_10device_ptrIyEEEENS9_16discard_iteratorINS9_11use_defaultEEEy11max_functorIyEyEEDaPvRmT3_T4_T5_mT6_P12ihipStream_tbENKUlT_T0_E_clISt17integral_constantIbLb0EESX_EEDaSS_ST_EUlSS_E0_NS1_11comp_targetILNS1_3genE10ELNS1_11target_archE1201ELNS1_3gpuE5ELNS1_3repE0EEENS1_30default_config_static_selectorELNS0_4arch9wavefront6targetE1EEEvT1_
	.globl	_ZN7rocprim17ROCPRIM_400000_NS6detail17trampoline_kernelINS0_14default_configENS1_20scan_config_selectorIyEEZZNS1_9scan_implILNS1_25lookback_scan_determinismE0ELb0ELb0ES3_N6thrust23THRUST_200600_302600_NS6detail15normal_iteratorINS9_10device_ptrIyEEEENS9_16discard_iteratorINS9_11use_defaultEEEy11max_functorIyEyEEDaPvRmT3_T4_T5_mT6_P12ihipStream_tbENKUlT_T0_E_clISt17integral_constantIbLb0EESX_EEDaSS_ST_EUlSS_E0_NS1_11comp_targetILNS1_3genE10ELNS1_11target_archE1201ELNS1_3gpuE5ELNS1_3repE0EEENS1_30default_config_static_selectorELNS0_4arch9wavefront6targetE1EEEvT1_
	.p2align	8
	.type	_ZN7rocprim17ROCPRIM_400000_NS6detail17trampoline_kernelINS0_14default_configENS1_20scan_config_selectorIyEEZZNS1_9scan_implILNS1_25lookback_scan_determinismE0ELb0ELb0ES3_N6thrust23THRUST_200600_302600_NS6detail15normal_iteratorINS9_10device_ptrIyEEEENS9_16discard_iteratorINS9_11use_defaultEEEy11max_functorIyEyEEDaPvRmT3_T4_T5_mT6_P12ihipStream_tbENKUlT_T0_E_clISt17integral_constantIbLb0EESX_EEDaSS_ST_EUlSS_E0_NS1_11comp_targetILNS1_3genE10ELNS1_11target_archE1201ELNS1_3gpuE5ELNS1_3repE0EEENS1_30default_config_static_selectorELNS0_4arch9wavefront6targetE1EEEvT1_,@function
_ZN7rocprim17ROCPRIM_400000_NS6detail17trampoline_kernelINS0_14default_configENS1_20scan_config_selectorIyEEZZNS1_9scan_implILNS1_25lookback_scan_determinismE0ELb0ELb0ES3_N6thrust23THRUST_200600_302600_NS6detail15normal_iteratorINS9_10device_ptrIyEEEENS9_16discard_iteratorINS9_11use_defaultEEEy11max_functorIyEyEEDaPvRmT3_T4_T5_mT6_P12ihipStream_tbENKUlT_T0_E_clISt17integral_constantIbLb0EESX_EEDaSS_ST_EUlSS_E0_NS1_11comp_targetILNS1_3genE10ELNS1_11target_archE1201ELNS1_3gpuE5ELNS1_3repE0EEENS1_30default_config_static_selectorELNS0_4arch9wavefront6targetE1EEEvT1_: ; @_ZN7rocprim17ROCPRIM_400000_NS6detail17trampoline_kernelINS0_14default_configENS1_20scan_config_selectorIyEEZZNS1_9scan_implILNS1_25lookback_scan_determinismE0ELb0ELb0ES3_N6thrust23THRUST_200600_302600_NS6detail15normal_iteratorINS9_10device_ptrIyEEEENS9_16discard_iteratorINS9_11use_defaultEEEy11max_functorIyEyEEDaPvRmT3_T4_T5_mT6_P12ihipStream_tbENKUlT_T0_E_clISt17integral_constantIbLb0EESX_EEDaSS_ST_EUlSS_E0_NS1_11comp_targetILNS1_3genE10ELNS1_11target_archE1201ELNS1_3gpuE5ELNS1_3repE0EEENS1_30default_config_static_selectorELNS0_4arch9wavefront6targetE1EEEvT1_
; %bb.0:
	.section	.rodata,"a",@progbits
	.p2align	6, 0x0
	.amdhsa_kernel _ZN7rocprim17ROCPRIM_400000_NS6detail17trampoline_kernelINS0_14default_configENS1_20scan_config_selectorIyEEZZNS1_9scan_implILNS1_25lookback_scan_determinismE0ELb0ELb0ES3_N6thrust23THRUST_200600_302600_NS6detail15normal_iteratorINS9_10device_ptrIyEEEENS9_16discard_iteratorINS9_11use_defaultEEEy11max_functorIyEyEEDaPvRmT3_T4_T5_mT6_P12ihipStream_tbENKUlT_T0_E_clISt17integral_constantIbLb0EESX_EEDaSS_ST_EUlSS_E0_NS1_11comp_targetILNS1_3genE10ELNS1_11target_archE1201ELNS1_3gpuE5ELNS1_3repE0EEENS1_30default_config_static_selectorELNS0_4arch9wavefront6targetE1EEEvT1_
		.amdhsa_group_segment_fixed_size 0
		.amdhsa_private_segment_fixed_size 0
		.amdhsa_kernarg_size 48
		.amdhsa_user_sgpr_count 6
		.amdhsa_user_sgpr_private_segment_buffer 1
		.amdhsa_user_sgpr_dispatch_ptr 0
		.amdhsa_user_sgpr_queue_ptr 0
		.amdhsa_user_sgpr_kernarg_segment_ptr 1
		.amdhsa_user_sgpr_dispatch_id 0
		.amdhsa_user_sgpr_flat_scratch_init 0
		.amdhsa_user_sgpr_kernarg_preload_length 0
		.amdhsa_user_sgpr_kernarg_preload_offset 0
		.amdhsa_user_sgpr_private_segment_size 0
		.amdhsa_uses_dynamic_stack 0
		.amdhsa_system_sgpr_private_segment_wavefront_offset 0
		.amdhsa_system_sgpr_workgroup_id_x 1
		.amdhsa_system_sgpr_workgroup_id_y 0
		.amdhsa_system_sgpr_workgroup_id_z 0
		.amdhsa_system_sgpr_workgroup_info 0
		.amdhsa_system_vgpr_workitem_id 0
		.amdhsa_next_free_vgpr 1
		.amdhsa_next_free_sgpr 0
		.amdhsa_accum_offset 4
		.amdhsa_reserve_vcc 0
		.amdhsa_reserve_flat_scratch 0
		.amdhsa_float_round_mode_32 0
		.amdhsa_float_round_mode_16_64 0
		.amdhsa_float_denorm_mode_32 3
		.amdhsa_float_denorm_mode_16_64 3
		.amdhsa_dx10_clamp 1
		.amdhsa_ieee_mode 1
		.amdhsa_fp16_overflow 0
		.amdhsa_tg_split 0
		.amdhsa_exception_fp_ieee_invalid_op 0
		.amdhsa_exception_fp_denorm_src 0
		.amdhsa_exception_fp_ieee_div_zero 0
		.amdhsa_exception_fp_ieee_overflow 0
		.amdhsa_exception_fp_ieee_underflow 0
		.amdhsa_exception_fp_ieee_inexact 0
		.amdhsa_exception_int_div_zero 0
	.end_amdhsa_kernel
	.section	.text._ZN7rocprim17ROCPRIM_400000_NS6detail17trampoline_kernelINS0_14default_configENS1_20scan_config_selectorIyEEZZNS1_9scan_implILNS1_25lookback_scan_determinismE0ELb0ELb0ES3_N6thrust23THRUST_200600_302600_NS6detail15normal_iteratorINS9_10device_ptrIyEEEENS9_16discard_iteratorINS9_11use_defaultEEEy11max_functorIyEyEEDaPvRmT3_T4_T5_mT6_P12ihipStream_tbENKUlT_T0_E_clISt17integral_constantIbLb0EESX_EEDaSS_ST_EUlSS_E0_NS1_11comp_targetILNS1_3genE10ELNS1_11target_archE1201ELNS1_3gpuE5ELNS1_3repE0EEENS1_30default_config_static_selectorELNS0_4arch9wavefront6targetE1EEEvT1_,"axG",@progbits,_ZN7rocprim17ROCPRIM_400000_NS6detail17trampoline_kernelINS0_14default_configENS1_20scan_config_selectorIyEEZZNS1_9scan_implILNS1_25lookback_scan_determinismE0ELb0ELb0ES3_N6thrust23THRUST_200600_302600_NS6detail15normal_iteratorINS9_10device_ptrIyEEEENS9_16discard_iteratorINS9_11use_defaultEEEy11max_functorIyEyEEDaPvRmT3_T4_T5_mT6_P12ihipStream_tbENKUlT_T0_E_clISt17integral_constantIbLb0EESX_EEDaSS_ST_EUlSS_E0_NS1_11comp_targetILNS1_3genE10ELNS1_11target_archE1201ELNS1_3gpuE5ELNS1_3repE0EEENS1_30default_config_static_selectorELNS0_4arch9wavefront6targetE1EEEvT1_,comdat
.Lfunc_end3292:
	.size	_ZN7rocprim17ROCPRIM_400000_NS6detail17trampoline_kernelINS0_14default_configENS1_20scan_config_selectorIyEEZZNS1_9scan_implILNS1_25lookback_scan_determinismE0ELb0ELb0ES3_N6thrust23THRUST_200600_302600_NS6detail15normal_iteratorINS9_10device_ptrIyEEEENS9_16discard_iteratorINS9_11use_defaultEEEy11max_functorIyEyEEDaPvRmT3_T4_T5_mT6_P12ihipStream_tbENKUlT_T0_E_clISt17integral_constantIbLb0EESX_EEDaSS_ST_EUlSS_E0_NS1_11comp_targetILNS1_3genE10ELNS1_11target_archE1201ELNS1_3gpuE5ELNS1_3repE0EEENS1_30default_config_static_selectorELNS0_4arch9wavefront6targetE1EEEvT1_, .Lfunc_end3292-_ZN7rocprim17ROCPRIM_400000_NS6detail17trampoline_kernelINS0_14default_configENS1_20scan_config_selectorIyEEZZNS1_9scan_implILNS1_25lookback_scan_determinismE0ELb0ELb0ES3_N6thrust23THRUST_200600_302600_NS6detail15normal_iteratorINS9_10device_ptrIyEEEENS9_16discard_iteratorINS9_11use_defaultEEEy11max_functorIyEyEEDaPvRmT3_T4_T5_mT6_P12ihipStream_tbENKUlT_T0_E_clISt17integral_constantIbLb0EESX_EEDaSS_ST_EUlSS_E0_NS1_11comp_targetILNS1_3genE10ELNS1_11target_archE1201ELNS1_3gpuE5ELNS1_3repE0EEENS1_30default_config_static_selectorELNS0_4arch9wavefront6targetE1EEEvT1_
                                        ; -- End function
	.section	.AMDGPU.csdata,"",@progbits
; Kernel info:
; codeLenInByte = 0
; NumSgprs: 4
; NumVgprs: 0
; NumAgprs: 0
; TotalNumVgprs: 0
; ScratchSize: 0
; MemoryBound: 0
; FloatMode: 240
; IeeeMode: 1
; LDSByteSize: 0 bytes/workgroup (compile time only)
; SGPRBlocks: 0
; VGPRBlocks: 0
; NumSGPRsForWavesPerEU: 4
; NumVGPRsForWavesPerEU: 1
; AccumOffset: 4
; Occupancy: 8
; WaveLimiterHint : 0
; COMPUTE_PGM_RSRC2:SCRATCH_EN: 0
; COMPUTE_PGM_RSRC2:USER_SGPR: 6
; COMPUTE_PGM_RSRC2:TRAP_HANDLER: 0
; COMPUTE_PGM_RSRC2:TGID_X_EN: 1
; COMPUTE_PGM_RSRC2:TGID_Y_EN: 0
; COMPUTE_PGM_RSRC2:TGID_Z_EN: 0
; COMPUTE_PGM_RSRC2:TIDIG_COMP_CNT: 0
; COMPUTE_PGM_RSRC3_GFX90A:ACCUM_OFFSET: 0
; COMPUTE_PGM_RSRC3_GFX90A:TG_SPLIT: 0
	.section	.text._ZN7rocprim17ROCPRIM_400000_NS6detail17trampoline_kernelINS0_14default_configENS1_20scan_config_selectorIyEEZZNS1_9scan_implILNS1_25lookback_scan_determinismE0ELb0ELb0ES3_N6thrust23THRUST_200600_302600_NS6detail15normal_iteratorINS9_10device_ptrIyEEEENS9_16discard_iteratorINS9_11use_defaultEEEy11max_functorIyEyEEDaPvRmT3_T4_T5_mT6_P12ihipStream_tbENKUlT_T0_E_clISt17integral_constantIbLb0EESX_EEDaSS_ST_EUlSS_E0_NS1_11comp_targetILNS1_3genE10ELNS1_11target_archE1200ELNS1_3gpuE4ELNS1_3repE0EEENS1_30default_config_static_selectorELNS0_4arch9wavefront6targetE1EEEvT1_,"axG",@progbits,_ZN7rocprim17ROCPRIM_400000_NS6detail17trampoline_kernelINS0_14default_configENS1_20scan_config_selectorIyEEZZNS1_9scan_implILNS1_25lookback_scan_determinismE0ELb0ELb0ES3_N6thrust23THRUST_200600_302600_NS6detail15normal_iteratorINS9_10device_ptrIyEEEENS9_16discard_iteratorINS9_11use_defaultEEEy11max_functorIyEyEEDaPvRmT3_T4_T5_mT6_P12ihipStream_tbENKUlT_T0_E_clISt17integral_constantIbLb0EESX_EEDaSS_ST_EUlSS_E0_NS1_11comp_targetILNS1_3genE10ELNS1_11target_archE1200ELNS1_3gpuE4ELNS1_3repE0EEENS1_30default_config_static_selectorELNS0_4arch9wavefront6targetE1EEEvT1_,comdat
	.protected	_ZN7rocprim17ROCPRIM_400000_NS6detail17trampoline_kernelINS0_14default_configENS1_20scan_config_selectorIyEEZZNS1_9scan_implILNS1_25lookback_scan_determinismE0ELb0ELb0ES3_N6thrust23THRUST_200600_302600_NS6detail15normal_iteratorINS9_10device_ptrIyEEEENS9_16discard_iteratorINS9_11use_defaultEEEy11max_functorIyEyEEDaPvRmT3_T4_T5_mT6_P12ihipStream_tbENKUlT_T0_E_clISt17integral_constantIbLb0EESX_EEDaSS_ST_EUlSS_E0_NS1_11comp_targetILNS1_3genE10ELNS1_11target_archE1200ELNS1_3gpuE4ELNS1_3repE0EEENS1_30default_config_static_selectorELNS0_4arch9wavefront6targetE1EEEvT1_ ; -- Begin function _ZN7rocprim17ROCPRIM_400000_NS6detail17trampoline_kernelINS0_14default_configENS1_20scan_config_selectorIyEEZZNS1_9scan_implILNS1_25lookback_scan_determinismE0ELb0ELb0ES3_N6thrust23THRUST_200600_302600_NS6detail15normal_iteratorINS9_10device_ptrIyEEEENS9_16discard_iteratorINS9_11use_defaultEEEy11max_functorIyEyEEDaPvRmT3_T4_T5_mT6_P12ihipStream_tbENKUlT_T0_E_clISt17integral_constantIbLb0EESX_EEDaSS_ST_EUlSS_E0_NS1_11comp_targetILNS1_3genE10ELNS1_11target_archE1200ELNS1_3gpuE4ELNS1_3repE0EEENS1_30default_config_static_selectorELNS0_4arch9wavefront6targetE1EEEvT1_
	.globl	_ZN7rocprim17ROCPRIM_400000_NS6detail17trampoline_kernelINS0_14default_configENS1_20scan_config_selectorIyEEZZNS1_9scan_implILNS1_25lookback_scan_determinismE0ELb0ELb0ES3_N6thrust23THRUST_200600_302600_NS6detail15normal_iteratorINS9_10device_ptrIyEEEENS9_16discard_iteratorINS9_11use_defaultEEEy11max_functorIyEyEEDaPvRmT3_T4_T5_mT6_P12ihipStream_tbENKUlT_T0_E_clISt17integral_constantIbLb0EESX_EEDaSS_ST_EUlSS_E0_NS1_11comp_targetILNS1_3genE10ELNS1_11target_archE1200ELNS1_3gpuE4ELNS1_3repE0EEENS1_30default_config_static_selectorELNS0_4arch9wavefront6targetE1EEEvT1_
	.p2align	8
	.type	_ZN7rocprim17ROCPRIM_400000_NS6detail17trampoline_kernelINS0_14default_configENS1_20scan_config_selectorIyEEZZNS1_9scan_implILNS1_25lookback_scan_determinismE0ELb0ELb0ES3_N6thrust23THRUST_200600_302600_NS6detail15normal_iteratorINS9_10device_ptrIyEEEENS9_16discard_iteratorINS9_11use_defaultEEEy11max_functorIyEyEEDaPvRmT3_T4_T5_mT6_P12ihipStream_tbENKUlT_T0_E_clISt17integral_constantIbLb0EESX_EEDaSS_ST_EUlSS_E0_NS1_11comp_targetILNS1_3genE10ELNS1_11target_archE1200ELNS1_3gpuE4ELNS1_3repE0EEENS1_30default_config_static_selectorELNS0_4arch9wavefront6targetE1EEEvT1_,@function
_ZN7rocprim17ROCPRIM_400000_NS6detail17trampoline_kernelINS0_14default_configENS1_20scan_config_selectorIyEEZZNS1_9scan_implILNS1_25lookback_scan_determinismE0ELb0ELb0ES3_N6thrust23THRUST_200600_302600_NS6detail15normal_iteratorINS9_10device_ptrIyEEEENS9_16discard_iteratorINS9_11use_defaultEEEy11max_functorIyEyEEDaPvRmT3_T4_T5_mT6_P12ihipStream_tbENKUlT_T0_E_clISt17integral_constantIbLb0EESX_EEDaSS_ST_EUlSS_E0_NS1_11comp_targetILNS1_3genE10ELNS1_11target_archE1200ELNS1_3gpuE4ELNS1_3repE0EEENS1_30default_config_static_selectorELNS0_4arch9wavefront6targetE1EEEvT1_: ; @_ZN7rocprim17ROCPRIM_400000_NS6detail17trampoline_kernelINS0_14default_configENS1_20scan_config_selectorIyEEZZNS1_9scan_implILNS1_25lookback_scan_determinismE0ELb0ELb0ES3_N6thrust23THRUST_200600_302600_NS6detail15normal_iteratorINS9_10device_ptrIyEEEENS9_16discard_iteratorINS9_11use_defaultEEEy11max_functorIyEyEEDaPvRmT3_T4_T5_mT6_P12ihipStream_tbENKUlT_T0_E_clISt17integral_constantIbLb0EESX_EEDaSS_ST_EUlSS_E0_NS1_11comp_targetILNS1_3genE10ELNS1_11target_archE1200ELNS1_3gpuE4ELNS1_3repE0EEENS1_30default_config_static_selectorELNS0_4arch9wavefront6targetE1EEEvT1_
; %bb.0:
	.section	.rodata,"a",@progbits
	.p2align	6, 0x0
	.amdhsa_kernel _ZN7rocprim17ROCPRIM_400000_NS6detail17trampoline_kernelINS0_14default_configENS1_20scan_config_selectorIyEEZZNS1_9scan_implILNS1_25lookback_scan_determinismE0ELb0ELb0ES3_N6thrust23THRUST_200600_302600_NS6detail15normal_iteratorINS9_10device_ptrIyEEEENS9_16discard_iteratorINS9_11use_defaultEEEy11max_functorIyEyEEDaPvRmT3_T4_T5_mT6_P12ihipStream_tbENKUlT_T0_E_clISt17integral_constantIbLb0EESX_EEDaSS_ST_EUlSS_E0_NS1_11comp_targetILNS1_3genE10ELNS1_11target_archE1200ELNS1_3gpuE4ELNS1_3repE0EEENS1_30default_config_static_selectorELNS0_4arch9wavefront6targetE1EEEvT1_
		.amdhsa_group_segment_fixed_size 0
		.amdhsa_private_segment_fixed_size 0
		.amdhsa_kernarg_size 48
		.amdhsa_user_sgpr_count 6
		.amdhsa_user_sgpr_private_segment_buffer 1
		.amdhsa_user_sgpr_dispatch_ptr 0
		.amdhsa_user_sgpr_queue_ptr 0
		.amdhsa_user_sgpr_kernarg_segment_ptr 1
		.amdhsa_user_sgpr_dispatch_id 0
		.amdhsa_user_sgpr_flat_scratch_init 0
		.amdhsa_user_sgpr_kernarg_preload_length 0
		.amdhsa_user_sgpr_kernarg_preload_offset 0
		.amdhsa_user_sgpr_private_segment_size 0
		.amdhsa_uses_dynamic_stack 0
		.amdhsa_system_sgpr_private_segment_wavefront_offset 0
		.amdhsa_system_sgpr_workgroup_id_x 1
		.amdhsa_system_sgpr_workgroup_id_y 0
		.amdhsa_system_sgpr_workgroup_id_z 0
		.amdhsa_system_sgpr_workgroup_info 0
		.amdhsa_system_vgpr_workitem_id 0
		.amdhsa_next_free_vgpr 1
		.amdhsa_next_free_sgpr 0
		.amdhsa_accum_offset 4
		.amdhsa_reserve_vcc 0
		.amdhsa_reserve_flat_scratch 0
		.amdhsa_float_round_mode_32 0
		.amdhsa_float_round_mode_16_64 0
		.amdhsa_float_denorm_mode_32 3
		.amdhsa_float_denorm_mode_16_64 3
		.amdhsa_dx10_clamp 1
		.amdhsa_ieee_mode 1
		.amdhsa_fp16_overflow 0
		.amdhsa_tg_split 0
		.amdhsa_exception_fp_ieee_invalid_op 0
		.amdhsa_exception_fp_denorm_src 0
		.amdhsa_exception_fp_ieee_div_zero 0
		.amdhsa_exception_fp_ieee_overflow 0
		.amdhsa_exception_fp_ieee_underflow 0
		.amdhsa_exception_fp_ieee_inexact 0
		.amdhsa_exception_int_div_zero 0
	.end_amdhsa_kernel
	.section	.text._ZN7rocprim17ROCPRIM_400000_NS6detail17trampoline_kernelINS0_14default_configENS1_20scan_config_selectorIyEEZZNS1_9scan_implILNS1_25lookback_scan_determinismE0ELb0ELb0ES3_N6thrust23THRUST_200600_302600_NS6detail15normal_iteratorINS9_10device_ptrIyEEEENS9_16discard_iteratorINS9_11use_defaultEEEy11max_functorIyEyEEDaPvRmT3_T4_T5_mT6_P12ihipStream_tbENKUlT_T0_E_clISt17integral_constantIbLb0EESX_EEDaSS_ST_EUlSS_E0_NS1_11comp_targetILNS1_3genE10ELNS1_11target_archE1200ELNS1_3gpuE4ELNS1_3repE0EEENS1_30default_config_static_selectorELNS0_4arch9wavefront6targetE1EEEvT1_,"axG",@progbits,_ZN7rocprim17ROCPRIM_400000_NS6detail17trampoline_kernelINS0_14default_configENS1_20scan_config_selectorIyEEZZNS1_9scan_implILNS1_25lookback_scan_determinismE0ELb0ELb0ES3_N6thrust23THRUST_200600_302600_NS6detail15normal_iteratorINS9_10device_ptrIyEEEENS9_16discard_iteratorINS9_11use_defaultEEEy11max_functorIyEyEEDaPvRmT3_T4_T5_mT6_P12ihipStream_tbENKUlT_T0_E_clISt17integral_constantIbLb0EESX_EEDaSS_ST_EUlSS_E0_NS1_11comp_targetILNS1_3genE10ELNS1_11target_archE1200ELNS1_3gpuE4ELNS1_3repE0EEENS1_30default_config_static_selectorELNS0_4arch9wavefront6targetE1EEEvT1_,comdat
.Lfunc_end3293:
	.size	_ZN7rocprim17ROCPRIM_400000_NS6detail17trampoline_kernelINS0_14default_configENS1_20scan_config_selectorIyEEZZNS1_9scan_implILNS1_25lookback_scan_determinismE0ELb0ELb0ES3_N6thrust23THRUST_200600_302600_NS6detail15normal_iteratorINS9_10device_ptrIyEEEENS9_16discard_iteratorINS9_11use_defaultEEEy11max_functorIyEyEEDaPvRmT3_T4_T5_mT6_P12ihipStream_tbENKUlT_T0_E_clISt17integral_constantIbLb0EESX_EEDaSS_ST_EUlSS_E0_NS1_11comp_targetILNS1_3genE10ELNS1_11target_archE1200ELNS1_3gpuE4ELNS1_3repE0EEENS1_30default_config_static_selectorELNS0_4arch9wavefront6targetE1EEEvT1_, .Lfunc_end3293-_ZN7rocprim17ROCPRIM_400000_NS6detail17trampoline_kernelINS0_14default_configENS1_20scan_config_selectorIyEEZZNS1_9scan_implILNS1_25lookback_scan_determinismE0ELb0ELb0ES3_N6thrust23THRUST_200600_302600_NS6detail15normal_iteratorINS9_10device_ptrIyEEEENS9_16discard_iteratorINS9_11use_defaultEEEy11max_functorIyEyEEDaPvRmT3_T4_T5_mT6_P12ihipStream_tbENKUlT_T0_E_clISt17integral_constantIbLb0EESX_EEDaSS_ST_EUlSS_E0_NS1_11comp_targetILNS1_3genE10ELNS1_11target_archE1200ELNS1_3gpuE4ELNS1_3repE0EEENS1_30default_config_static_selectorELNS0_4arch9wavefront6targetE1EEEvT1_
                                        ; -- End function
	.section	.AMDGPU.csdata,"",@progbits
; Kernel info:
; codeLenInByte = 0
; NumSgprs: 4
; NumVgprs: 0
; NumAgprs: 0
; TotalNumVgprs: 0
; ScratchSize: 0
; MemoryBound: 0
; FloatMode: 240
; IeeeMode: 1
; LDSByteSize: 0 bytes/workgroup (compile time only)
; SGPRBlocks: 0
; VGPRBlocks: 0
; NumSGPRsForWavesPerEU: 4
; NumVGPRsForWavesPerEU: 1
; AccumOffset: 4
; Occupancy: 8
; WaveLimiterHint : 0
; COMPUTE_PGM_RSRC2:SCRATCH_EN: 0
; COMPUTE_PGM_RSRC2:USER_SGPR: 6
; COMPUTE_PGM_RSRC2:TRAP_HANDLER: 0
; COMPUTE_PGM_RSRC2:TGID_X_EN: 1
; COMPUTE_PGM_RSRC2:TGID_Y_EN: 0
; COMPUTE_PGM_RSRC2:TGID_Z_EN: 0
; COMPUTE_PGM_RSRC2:TIDIG_COMP_CNT: 0
; COMPUTE_PGM_RSRC3_GFX90A:ACCUM_OFFSET: 0
; COMPUTE_PGM_RSRC3_GFX90A:TG_SPLIT: 0
	.section	.text._ZN7rocprim17ROCPRIM_400000_NS6detail17trampoline_kernelINS0_14default_configENS1_20scan_config_selectorIyEEZZNS1_9scan_implILNS1_25lookback_scan_determinismE0ELb0ELb0ES3_N6thrust23THRUST_200600_302600_NS6detail15normal_iteratorINS9_10device_ptrIyEEEENS9_16discard_iteratorINS9_11use_defaultEEEy11max_functorIyEyEEDaPvRmT3_T4_T5_mT6_P12ihipStream_tbENKUlT_T0_E_clISt17integral_constantIbLb0EESX_EEDaSS_ST_EUlSS_E0_NS1_11comp_targetILNS1_3genE9ELNS1_11target_archE1100ELNS1_3gpuE3ELNS1_3repE0EEENS1_30default_config_static_selectorELNS0_4arch9wavefront6targetE1EEEvT1_,"axG",@progbits,_ZN7rocprim17ROCPRIM_400000_NS6detail17trampoline_kernelINS0_14default_configENS1_20scan_config_selectorIyEEZZNS1_9scan_implILNS1_25lookback_scan_determinismE0ELb0ELb0ES3_N6thrust23THRUST_200600_302600_NS6detail15normal_iteratorINS9_10device_ptrIyEEEENS9_16discard_iteratorINS9_11use_defaultEEEy11max_functorIyEyEEDaPvRmT3_T4_T5_mT6_P12ihipStream_tbENKUlT_T0_E_clISt17integral_constantIbLb0EESX_EEDaSS_ST_EUlSS_E0_NS1_11comp_targetILNS1_3genE9ELNS1_11target_archE1100ELNS1_3gpuE3ELNS1_3repE0EEENS1_30default_config_static_selectorELNS0_4arch9wavefront6targetE1EEEvT1_,comdat
	.protected	_ZN7rocprim17ROCPRIM_400000_NS6detail17trampoline_kernelINS0_14default_configENS1_20scan_config_selectorIyEEZZNS1_9scan_implILNS1_25lookback_scan_determinismE0ELb0ELb0ES3_N6thrust23THRUST_200600_302600_NS6detail15normal_iteratorINS9_10device_ptrIyEEEENS9_16discard_iteratorINS9_11use_defaultEEEy11max_functorIyEyEEDaPvRmT3_T4_T5_mT6_P12ihipStream_tbENKUlT_T0_E_clISt17integral_constantIbLb0EESX_EEDaSS_ST_EUlSS_E0_NS1_11comp_targetILNS1_3genE9ELNS1_11target_archE1100ELNS1_3gpuE3ELNS1_3repE0EEENS1_30default_config_static_selectorELNS0_4arch9wavefront6targetE1EEEvT1_ ; -- Begin function _ZN7rocprim17ROCPRIM_400000_NS6detail17trampoline_kernelINS0_14default_configENS1_20scan_config_selectorIyEEZZNS1_9scan_implILNS1_25lookback_scan_determinismE0ELb0ELb0ES3_N6thrust23THRUST_200600_302600_NS6detail15normal_iteratorINS9_10device_ptrIyEEEENS9_16discard_iteratorINS9_11use_defaultEEEy11max_functorIyEyEEDaPvRmT3_T4_T5_mT6_P12ihipStream_tbENKUlT_T0_E_clISt17integral_constantIbLb0EESX_EEDaSS_ST_EUlSS_E0_NS1_11comp_targetILNS1_3genE9ELNS1_11target_archE1100ELNS1_3gpuE3ELNS1_3repE0EEENS1_30default_config_static_selectorELNS0_4arch9wavefront6targetE1EEEvT1_
	.globl	_ZN7rocprim17ROCPRIM_400000_NS6detail17trampoline_kernelINS0_14default_configENS1_20scan_config_selectorIyEEZZNS1_9scan_implILNS1_25lookback_scan_determinismE0ELb0ELb0ES3_N6thrust23THRUST_200600_302600_NS6detail15normal_iteratorINS9_10device_ptrIyEEEENS9_16discard_iteratorINS9_11use_defaultEEEy11max_functorIyEyEEDaPvRmT3_T4_T5_mT6_P12ihipStream_tbENKUlT_T0_E_clISt17integral_constantIbLb0EESX_EEDaSS_ST_EUlSS_E0_NS1_11comp_targetILNS1_3genE9ELNS1_11target_archE1100ELNS1_3gpuE3ELNS1_3repE0EEENS1_30default_config_static_selectorELNS0_4arch9wavefront6targetE1EEEvT1_
	.p2align	8
	.type	_ZN7rocprim17ROCPRIM_400000_NS6detail17trampoline_kernelINS0_14default_configENS1_20scan_config_selectorIyEEZZNS1_9scan_implILNS1_25lookback_scan_determinismE0ELb0ELb0ES3_N6thrust23THRUST_200600_302600_NS6detail15normal_iteratorINS9_10device_ptrIyEEEENS9_16discard_iteratorINS9_11use_defaultEEEy11max_functorIyEyEEDaPvRmT3_T4_T5_mT6_P12ihipStream_tbENKUlT_T0_E_clISt17integral_constantIbLb0EESX_EEDaSS_ST_EUlSS_E0_NS1_11comp_targetILNS1_3genE9ELNS1_11target_archE1100ELNS1_3gpuE3ELNS1_3repE0EEENS1_30default_config_static_selectorELNS0_4arch9wavefront6targetE1EEEvT1_,@function
_ZN7rocprim17ROCPRIM_400000_NS6detail17trampoline_kernelINS0_14default_configENS1_20scan_config_selectorIyEEZZNS1_9scan_implILNS1_25lookback_scan_determinismE0ELb0ELb0ES3_N6thrust23THRUST_200600_302600_NS6detail15normal_iteratorINS9_10device_ptrIyEEEENS9_16discard_iteratorINS9_11use_defaultEEEy11max_functorIyEyEEDaPvRmT3_T4_T5_mT6_P12ihipStream_tbENKUlT_T0_E_clISt17integral_constantIbLb0EESX_EEDaSS_ST_EUlSS_E0_NS1_11comp_targetILNS1_3genE9ELNS1_11target_archE1100ELNS1_3gpuE3ELNS1_3repE0EEENS1_30default_config_static_selectorELNS0_4arch9wavefront6targetE1EEEvT1_: ; @_ZN7rocprim17ROCPRIM_400000_NS6detail17trampoline_kernelINS0_14default_configENS1_20scan_config_selectorIyEEZZNS1_9scan_implILNS1_25lookback_scan_determinismE0ELb0ELb0ES3_N6thrust23THRUST_200600_302600_NS6detail15normal_iteratorINS9_10device_ptrIyEEEENS9_16discard_iteratorINS9_11use_defaultEEEy11max_functorIyEyEEDaPvRmT3_T4_T5_mT6_P12ihipStream_tbENKUlT_T0_E_clISt17integral_constantIbLb0EESX_EEDaSS_ST_EUlSS_E0_NS1_11comp_targetILNS1_3genE9ELNS1_11target_archE1100ELNS1_3gpuE3ELNS1_3repE0EEENS1_30default_config_static_selectorELNS0_4arch9wavefront6targetE1EEEvT1_
; %bb.0:
	.section	.rodata,"a",@progbits
	.p2align	6, 0x0
	.amdhsa_kernel _ZN7rocprim17ROCPRIM_400000_NS6detail17trampoline_kernelINS0_14default_configENS1_20scan_config_selectorIyEEZZNS1_9scan_implILNS1_25lookback_scan_determinismE0ELb0ELb0ES3_N6thrust23THRUST_200600_302600_NS6detail15normal_iteratorINS9_10device_ptrIyEEEENS9_16discard_iteratorINS9_11use_defaultEEEy11max_functorIyEyEEDaPvRmT3_T4_T5_mT6_P12ihipStream_tbENKUlT_T0_E_clISt17integral_constantIbLb0EESX_EEDaSS_ST_EUlSS_E0_NS1_11comp_targetILNS1_3genE9ELNS1_11target_archE1100ELNS1_3gpuE3ELNS1_3repE0EEENS1_30default_config_static_selectorELNS0_4arch9wavefront6targetE1EEEvT1_
		.amdhsa_group_segment_fixed_size 0
		.amdhsa_private_segment_fixed_size 0
		.amdhsa_kernarg_size 48
		.amdhsa_user_sgpr_count 6
		.amdhsa_user_sgpr_private_segment_buffer 1
		.amdhsa_user_sgpr_dispatch_ptr 0
		.amdhsa_user_sgpr_queue_ptr 0
		.amdhsa_user_sgpr_kernarg_segment_ptr 1
		.amdhsa_user_sgpr_dispatch_id 0
		.amdhsa_user_sgpr_flat_scratch_init 0
		.amdhsa_user_sgpr_kernarg_preload_length 0
		.amdhsa_user_sgpr_kernarg_preload_offset 0
		.amdhsa_user_sgpr_private_segment_size 0
		.amdhsa_uses_dynamic_stack 0
		.amdhsa_system_sgpr_private_segment_wavefront_offset 0
		.amdhsa_system_sgpr_workgroup_id_x 1
		.amdhsa_system_sgpr_workgroup_id_y 0
		.amdhsa_system_sgpr_workgroup_id_z 0
		.amdhsa_system_sgpr_workgroup_info 0
		.amdhsa_system_vgpr_workitem_id 0
		.amdhsa_next_free_vgpr 1
		.amdhsa_next_free_sgpr 0
		.amdhsa_accum_offset 4
		.amdhsa_reserve_vcc 0
		.amdhsa_reserve_flat_scratch 0
		.amdhsa_float_round_mode_32 0
		.amdhsa_float_round_mode_16_64 0
		.amdhsa_float_denorm_mode_32 3
		.amdhsa_float_denorm_mode_16_64 3
		.amdhsa_dx10_clamp 1
		.amdhsa_ieee_mode 1
		.amdhsa_fp16_overflow 0
		.amdhsa_tg_split 0
		.amdhsa_exception_fp_ieee_invalid_op 0
		.amdhsa_exception_fp_denorm_src 0
		.amdhsa_exception_fp_ieee_div_zero 0
		.amdhsa_exception_fp_ieee_overflow 0
		.amdhsa_exception_fp_ieee_underflow 0
		.amdhsa_exception_fp_ieee_inexact 0
		.amdhsa_exception_int_div_zero 0
	.end_amdhsa_kernel
	.section	.text._ZN7rocprim17ROCPRIM_400000_NS6detail17trampoline_kernelINS0_14default_configENS1_20scan_config_selectorIyEEZZNS1_9scan_implILNS1_25lookback_scan_determinismE0ELb0ELb0ES3_N6thrust23THRUST_200600_302600_NS6detail15normal_iteratorINS9_10device_ptrIyEEEENS9_16discard_iteratorINS9_11use_defaultEEEy11max_functorIyEyEEDaPvRmT3_T4_T5_mT6_P12ihipStream_tbENKUlT_T0_E_clISt17integral_constantIbLb0EESX_EEDaSS_ST_EUlSS_E0_NS1_11comp_targetILNS1_3genE9ELNS1_11target_archE1100ELNS1_3gpuE3ELNS1_3repE0EEENS1_30default_config_static_selectorELNS0_4arch9wavefront6targetE1EEEvT1_,"axG",@progbits,_ZN7rocprim17ROCPRIM_400000_NS6detail17trampoline_kernelINS0_14default_configENS1_20scan_config_selectorIyEEZZNS1_9scan_implILNS1_25lookback_scan_determinismE0ELb0ELb0ES3_N6thrust23THRUST_200600_302600_NS6detail15normal_iteratorINS9_10device_ptrIyEEEENS9_16discard_iteratorINS9_11use_defaultEEEy11max_functorIyEyEEDaPvRmT3_T4_T5_mT6_P12ihipStream_tbENKUlT_T0_E_clISt17integral_constantIbLb0EESX_EEDaSS_ST_EUlSS_E0_NS1_11comp_targetILNS1_3genE9ELNS1_11target_archE1100ELNS1_3gpuE3ELNS1_3repE0EEENS1_30default_config_static_selectorELNS0_4arch9wavefront6targetE1EEEvT1_,comdat
.Lfunc_end3294:
	.size	_ZN7rocprim17ROCPRIM_400000_NS6detail17trampoline_kernelINS0_14default_configENS1_20scan_config_selectorIyEEZZNS1_9scan_implILNS1_25lookback_scan_determinismE0ELb0ELb0ES3_N6thrust23THRUST_200600_302600_NS6detail15normal_iteratorINS9_10device_ptrIyEEEENS9_16discard_iteratorINS9_11use_defaultEEEy11max_functorIyEyEEDaPvRmT3_T4_T5_mT6_P12ihipStream_tbENKUlT_T0_E_clISt17integral_constantIbLb0EESX_EEDaSS_ST_EUlSS_E0_NS1_11comp_targetILNS1_3genE9ELNS1_11target_archE1100ELNS1_3gpuE3ELNS1_3repE0EEENS1_30default_config_static_selectorELNS0_4arch9wavefront6targetE1EEEvT1_, .Lfunc_end3294-_ZN7rocprim17ROCPRIM_400000_NS6detail17trampoline_kernelINS0_14default_configENS1_20scan_config_selectorIyEEZZNS1_9scan_implILNS1_25lookback_scan_determinismE0ELb0ELb0ES3_N6thrust23THRUST_200600_302600_NS6detail15normal_iteratorINS9_10device_ptrIyEEEENS9_16discard_iteratorINS9_11use_defaultEEEy11max_functorIyEyEEDaPvRmT3_T4_T5_mT6_P12ihipStream_tbENKUlT_T0_E_clISt17integral_constantIbLb0EESX_EEDaSS_ST_EUlSS_E0_NS1_11comp_targetILNS1_3genE9ELNS1_11target_archE1100ELNS1_3gpuE3ELNS1_3repE0EEENS1_30default_config_static_selectorELNS0_4arch9wavefront6targetE1EEEvT1_
                                        ; -- End function
	.section	.AMDGPU.csdata,"",@progbits
; Kernel info:
; codeLenInByte = 0
; NumSgprs: 4
; NumVgprs: 0
; NumAgprs: 0
; TotalNumVgprs: 0
; ScratchSize: 0
; MemoryBound: 0
; FloatMode: 240
; IeeeMode: 1
; LDSByteSize: 0 bytes/workgroup (compile time only)
; SGPRBlocks: 0
; VGPRBlocks: 0
; NumSGPRsForWavesPerEU: 4
; NumVGPRsForWavesPerEU: 1
; AccumOffset: 4
; Occupancy: 8
; WaveLimiterHint : 0
; COMPUTE_PGM_RSRC2:SCRATCH_EN: 0
; COMPUTE_PGM_RSRC2:USER_SGPR: 6
; COMPUTE_PGM_RSRC2:TRAP_HANDLER: 0
; COMPUTE_PGM_RSRC2:TGID_X_EN: 1
; COMPUTE_PGM_RSRC2:TGID_Y_EN: 0
; COMPUTE_PGM_RSRC2:TGID_Z_EN: 0
; COMPUTE_PGM_RSRC2:TIDIG_COMP_CNT: 0
; COMPUTE_PGM_RSRC3_GFX90A:ACCUM_OFFSET: 0
; COMPUTE_PGM_RSRC3_GFX90A:TG_SPLIT: 0
	.section	.text._ZN7rocprim17ROCPRIM_400000_NS6detail17trampoline_kernelINS0_14default_configENS1_20scan_config_selectorIyEEZZNS1_9scan_implILNS1_25lookback_scan_determinismE0ELb0ELb0ES3_N6thrust23THRUST_200600_302600_NS6detail15normal_iteratorINS9_10device_ptrIyEEEENS9_16discard_iteratorINS9_11use_defaultEEEy11max_functorIyEyEEDaPvRmT3_T4_T5_mT6_P12ihipStream_tbENKUlT_T0_E_clISt17integral_constantIbLb0EESX_EEDaSS_ST_EUlSS_E0_NS1_11comp_targetILNS1_3genE8ELNS1_11target_archE1030ELNS1_3gpuE2ELNS1_3repE0EEENS1_30default_config_static_selectorELNS0_4arch9wavefront6targetE1EEEvT1_,"axG",@progbits,_ZN7rocprim17ROCPRIM_400000_NS6detail17trampoline_kernelINS0_14default_configENS1_20scan_config_selectorIyEEZZNS1_9scan_implILNS1_25lookback_scan_determinismE0ELb0ELb0ES3_N6thrust23THRUST_200600_302600_NS6detail15normal_iteratorINS9_10device_ptrIyEEEENS9_16discard_iteratorINS9_11use_defaultEEEy11max_functorIyEyEEDaPvRmT3_T4_T5_mT6_P12ihipStream_tbENKUlT_T0_E_clISt17integral_constantIbLb0EESX_EEDaSS_ST_EUlSS_E0_NS1_11comp_targetILNS1_3genE8ELNS1_11target_archE1030ELNS1_3gpuE2ELNS1_3repE0EEENS1_30default_config_static_selectorELNS0_4arch9wavefront6targetE1EEEvT1_,comdat
	.protected	_ZN7rocprim17ROCPRIM_400000_NS6detail17trampoline_kernelINS0_14default_configENS1_20scan_config_selectorIyEEZZNS1_9scan_implILNS1_25lookback_scan_determinismE0ELb0ELb0ES3_N6thrust23THRUST_200600_302600_NS6detail15normal_iteratorINS9_10device_ptrIyEEEENS9_16discard_iteratorINS9_11use_defaultEEEy11max_functorIyEyEEDaPvRmT3_T4_T5_mT6_P12ihipStream_tbENKUlT_T0_E_clISt17integral_constantIbLb0EESX_EEDaSS_ST_EUlSS_E0_NS1_11comp_targetILNS1_3genE8ELNS1_11target_archE1030ELNS1_3gpuE2ELNS1_3repE0EEENS1_30default_config_static_selectorELNS0_4arch9wavefront6targetE1EEEvT1_ ; -- Begin function _ZN7rocprim17ROCPRIM_400000_NS6detail17trampoline_kernelINS0_14default_configENS1_20scan_config_selectorIyEEZZNS1_9scan_implILNS1_25lookback_scan_determinismE0ELb0ELb0ES3_N6thrust23THRUST_200600_302600_NS6detail15normal_iteratorINS9_10device_ptrIyEEEENS9_16discard_iteratorINS9_11use_defaultEEEy11max_functorIyEyEEDaPvRmT3_T4_T5_mT6_P12ihipStream_tbENKUlT_T0_E_clISt17integral_constantIbLb0EESX_EEDaSS_ST_EUlSS_E0_NS1_11comp_targetILNS1_3genE8ELNS1_11target_archE1030ELNS1_3gpuE2ELNS1_3repE0EEENS1_30default_config_static_selectorELNS0_4arch9wavefront6targetE1EEEvT1_
	.globl	_ZN7rocprim17ROCPRIM_400000_NS6detail17trampoline_kernelINS0_14default_configENS1_20scan_config_selectorIyEEZZNS1_9scan_implILNS1_25lookback_scan_determinismE0ELb0ELb0ES3_N6thrust23THRUST_200600_302600_NS6detail15normal_iteratorINS9_10device_ptrIyEEEENS9_16discard_iteratorINS9_11use_defaultEEEy11max_functorIyEyEEDaPvRmT3_T4_T5_mT6_P12ihipStream_tbENKUlT_T0_E_clISt17integral_constantIbLb0EESX_EEDaSS_ST_EUlSS_E0_NS1_11comp_targetILNS1_3genE8ELNS1_11target_archE1030ELNS1_3gpuE2ELNS1_3repE0EEENS1_30default_config_static_selectorELNS0_4arch9wavefront6targetE1EEEvT1_
	.p2align	8
	.type	_ZN7rocprim17ROCPRIM_400000_NS6detail17trampoline_kernelINS0_14default_configENS1_20scan_config_selectorIyEEZZNS1_9scan_implILNS1_25lookback_scan_determinismE0ELb0ELb0ES3_N6thrust23THRUST_200600_302600_NS6detail15normal_iteratorINS9_10device_ptrIyEEEENS9_16discard_iteratorINS9_11use_defaultEEEy11max_functorIyEyEEDaPvRmT3_T4_T5_mT6_P12ihipStream_tbENKUlT_T0_E_clISt17integral_constantIbLb0EESX_EEDaSS_ST_EUlSS_E0_NS1_11comp_targetILNS1_3genE8ELNS1_11target_archE1030ELNS1_3gpuE2ELNS1_3repE0EEENS1_30default_config_static_selectorELNS0_4arch9wavefront6targetE1EEEvT1_,@function
_ZN7rocprim17ROCPRIM_400000_NS6detail17trampoline_kernelINS0_14default_configENS1_20scan_config_selectorIyEEZZNS1_9scan_implILNS1_25lookback_scan_determinismE0ELb0ELb0ES3_N6thrust23THRUST_200600_302600_NS6detail15normal_iteratorINS9_10device_ptrIyEEEENS9_16discard_iteratorINS9_11use_defaultEEEy11max_functorIyEyEEDaPvRmT3_T4_T5_mT6_P12ihipStream_tbENKUlT_T0_E_clISt17integral_constantIbLb0EESX_EEDaSS_ST_EUlSS_E0_NS1_11comp_targetILNS1_3genE8ELNS1_11target_archE1030ELNS1_3gpuE2ELNS1_3repE0EEENS1_30default_config_static_selectorELNS0_4arch9wavefront6targetE1EEEvT1_: ; @_ZN7rocprim17ROCPRIM_400000_NS6detail17trampoline_kernelINS0_14default_configENS1_20scan_config_selectorIyEEZZNS1_9scan_implILNS1_25lookback_scan_determinismE0ELb0ELb0ES3_N6thrust23THRUST_200600_302600_NS6detail15normal_iteratorINS9_10device_ptrIyEEEENS9_16discard_iteratorINS9_11use_defaultEEEy11max_functorIyEyEEDaPvRmT3_T4_T5_mT6_P12ihipStream_tbENKUlT_T0_E_clISt17integral_constantIbLb0EESX_EEDaSS_ST_EUlSS_E0_NS1_11comp_targetILNS1_3genE8ELNS1_11target_archE1030ELNS1_3gpuE2ELNS1_3repE0EEENS1_30default_config_static_selectorELNS0_4arch9wavefront6targetE1EEEvT1_
; %bb.0:
	.section	.rodata,"a",@progbits
	.p2align	6, 0x0
	.amdhsa_kernel _ZN7rocprim17ROCPRIM_400000_NS6detail17trampoline_kernelINS0_14default_configENS1_20scan_config_selectorIyEEZZNS1_9scan_implILNS1_25lookback_scan_determinismE0ELb0ELb0ES3_N6thrust23THRUST_200600_302600_NS6detail15normal_iteratorINS9_10device_ptrIyEEEENS9_16discard_iteratorINS9_11use_defaultEEEy11max_functorIyEyEEDaPvRmT3_T4_T5_mT6_P12ihipStream_tbENKUlT_T0_E_clISt17integral_constantIbLb0EESX_EEDaSS_ST_EUlSS_E0_NS1_11comp_targetILNS1_3genE8ELNS1_11target_archE1030ELNS1_3gpuE2ELNS1_3repE0EEENS1_30default_config_static_selectorELNS0_4arch9wavefront6targetE1EEEvT1_
		.amdhsa_group_segment_fixed_size 0
		.amdhsa_private_segment_fixed_size 0
		.amdhsa_kernarg_size 48
		.amdhsa_user_sgpr_count 6
		.amdhsa_user_sgpr_private_segment_buffer 1
		.amdhsa_user_sgpr_dispatch_ptr 0
		.amdhsa_user_sgpr_queue_ptr 0
		.amdhsa_user_sgpr_kernarg_segment_ptr 1
		.amdhsa_user_sgpr_dispatch_id 0
		.amdhsa_user_sgpr_flat_scratch_init 0
		.amdhsa_user_sgpr_kernarg_preload_length 0
		.amdhsa_user_sgpr_kernarg_preload_offset 0
		.amdhsa_user_sgpr_private_segment_size 0
		.amdhsa_uses_dynamic_stack 0
		.amdhsa_system_sgpr_private_segment_wavefront_offset 0
		.amdhsa_system_sgpr_workgroup_id_x 1
		.amdhsa_system_sgpr_workgroup_id_y 0
		.amdhsa_system_sgpr_workgroup_id_z 0
		.amdhsa_system_sgpr_workgroup_info 0
		.amdhsa_system_vgpr_workitem_id 0
		.amdhsa_next_free_vgpr 1
		.amdhsa_next_free_sgpr 0
		.amdhsa_accum_offset 4
		.amdhsa_reserve_vcc 0
		.amdhsa_reserve_flat_scratch 0
		.amdhsa_float_round_mode_32 0
		.amdhsa_float_round_mode_16_64 0
		.amdhsa_float_denorm_mode_32 3
		.amdhsa_float_denorm_mode_16_64 3
		.amdhsa_dx10_clamp 1
		.amdhsa_ieee_mode 1
		.amdhsa_fp16_overflow 0
		.amdhsa_tg_split 0
		.amdhsa_exception_fp_ieee_invalid_op 0
		.amdhsa_exception_fp_denorm_src 0
		.amdhsa_exception_fp_ieee_div_zero 0
		.amdhsa_exception_fp_ieee_overflow 0
		.amdhsa_exception_fp_ieee_underflow 0
		.amdhsa_exception_fp_ieee_inexact 0
		.amdhsa_exception_int_div_zero 0
	.end_amdhsa_kernel
	.section	.text._ZN7rocprim17ROCPRIM_400000_NS6detail17trampoline_kernelINS0_14default_configENS1_20scan_config_selectorIyEEZZNS1_9scan_implILNS1_25lookback_scan_determinismE0ELb0ELb0ES3_N6thrust23THRUST_200600_302600_NS6detail15normal_iteratorINS9_10device_ptrIyEEEENS9_16discard_iteratorINS9_11use_defaultEEEy11max_functorIyEyEEDaPvRmT3_T4_T5_mT6_P12ihipStream_tbENKUlT_T0_E_clISt17integral_constantIbLb0EESX_EEDaSS_ST_EUlSS_E0_NS1_11comp_targetILNS1_3genE8ELNS1_11target_archE1030ELNS1_3gpuE2ELNS1_3repE0EEENS1_30default_config_static_selectorELNS0_4arch9wavefront6targetE1EEEvT1_,"axG",@progbits,_ZN7rocprim17ROCPRIM_400000_NS6detail17trampoline_kernelINS0_14default_configENS1_20scan_config_selectorIyEEZZNS1_9scan_implILNS1_25lookback_scan_determinismE0ELb0ELb0ES3_N6thrust23THRUST_200600_302600_NS6detail15normal_iteratorINS9_10device_ptrIyEEEENS9_16discard_iteratorINS9_11use_defaultEEEy11max_functorIyEyEEDaPvRmT3_T4_T5_mT6_P12ihipStream_tbENKUlT_T0_E_clISt17integral_constantIbLb0EESX_EEDaSS_ST_EUlSS_E0_NS1_11comp_targetILNS1_3genE8ELNS1_11target_archE1030ELNS1_3gpuE2ELNS1_3repE0EEENS1_30default_config_static_selectorELNS0_4arch9wavefront6targetE1EEEvT1_,comdat
.Lfunc_end3295:
	.size	_ZN7rocprim17ROCPRIM_400000_NS6detail17trampoline_kernelINS0_14default_configENS1_20scan_config_selectorIyEEZZNS1_9scan_implILNS1_25lookback_scan_determinismE0ELb0ELb0ES3_N6thrust23THRUST_200600_302600_NS6detail15normal_iteratorINS9_10device_ptrIyEEEENS9_16discard_iteratorINS9_11use_defaultEEEy11max_functorIyEyEEDaPvRmT3_T4_T5_mT6_P12ihipStream_tbENKUlT_T0_E_clISt17integral_constantIbLb0EESX_EEDaSS_ST_EUlSS_E0_NS1_11comp_targetILNS1_3genE8ELNS1_11target_archE1030ELNS1_3gpuE2ELNS1_3repE0EEENS1_30default_config_static_selectorELNS0_4arch9wavefront6targetE1EEEvT1_, .Lfunc_end3295-_ZN7rocprim17ROCPRIM_400000_NS6detail17trampoline_kernelINS0_14default_configENS1_20scan_config_selectorIyEEZZNS1_9scan_implILNS1_25lookback_scan_determinismE0ELb0ELb0ES3_N6thrust23THRUST_200600_302600_NS6detail15normal_iteratorINS9_10device_ptrIyEEEENS9_16discard_iteratorINS9_11use_defaultEEEy11max_functorIyEyEEDaPvRmT3_T4_T5_mT6_P12ihipStream_tbENKUlT_T0_E_clISt17integral_constantIbLb0EESX_EEDaSS_ST_EUlSS_E0_NS1_11comp_targetILNS1_3genE8ELNS1_11target_archE1030ELNS1_3gpuE2ELNS1_3repE0EEENS1_30default_config_static_selectorELNS0_4arch9wavefront6targetE1EEEvT1_
                                        ; -- End function
	.section	.AMDGPU.csdata,"",@progbits
; Kernel info:
; codeLenInByte = 0
; NumSgprs: 4
; NumVgprs: 0
; NumAgprs: 0
; TotalNumVgprs: 0
; ScratchSize: 0
; MemoryBound: 0
; FloatMode: 240
; IeeeMode: 1
; LDSByteSize: 0 bytes/workgroup (compile time only)
; SGPRBlocks: 0
; VGPRBlocks: 0
; NumSGPRsForWavesPerEU: 4
; NumVGPRsForWavesPerEU: 1
; AccumOffset: 4
; Occupancy: 8
; WaveLimiterHint : 0
; COMPUTE_PGM_RSRC2:SCRATCH_EN: 0
; COMPUTE_PGM_RSRC2:USER_SGPR: 6
; COMPUTE_PGM_RSRC2:TRAP_HANDLER: 0
; COMPUTE_PGM_RSRC2:TGID_X_EN: 1
; COMPUTE_PGM_RSRC2:TGID_Y_EN: 0
; COMPUTE_PGM_RSRC2:TGID_Z_EN: 0
; COMPUTE_PGM_RSRC2:TIDIG_COMP_CNT: 0
; COMPUTE_PGM_RSRC3_GFX90A:ACCUM_OFFSET: 0
; COMPUTE_PGM_RSRC3_GFX90A:TG_SPLIT: 0
	.section	.text._ZN7rocprim17ROCPRIM_400000_NS6detail17trampoline_kernelINS0_14default_configENS1_20scan_config_selectorIyEEZZNS1_9scan_implILNS1_25lookback_scan_determinismE0ELb0ELb0ES3_N6thrust23THRUST_200600_302600_NS6detail15normal_iteratorINS9_10device_ptrIyEEEENS9_16discard_iteratorINS9_11use_defaultEEEy11max_functorIyEyEEDaPvRmT3_T4_T5_mT6_P12ihipStream_tbENKUlT_T0_E_clISt17integral_constantIbLb1EESX_EEDaSS_ST_EUlSS_E_NS1_11comp_targetILNS1_3genE0ELNS1_11target_archE4294967295ELNS1_3gpuE0ELNS1_3repE0EEENS1_30default_config_static_selectorELNS0_4arch9wavefront6targetE1EEEvT1_,"axG",@progbits,_ZN7rocprim17ROCPRIM_400000_NS6detail17trampoline_kernelINS0_14default_configENS1_20scan_config_selectorIyEEZZNS1_9scan_implILNS1_25lookback_scan_determinismE0ELb0ELb0ES3_N6thrust23THRUST_200600_302600_NS6detail15normal_iteratorINS9_10device_ptrIyEEEENS9_16discard_iteratorINS9_11use_defaultEEEy11max_functorIyEyEEDaPvRmT3_T4_T5_mT6_P12ihipStream_tbENKUlT_T0_E_clISt17integral_constantIbLb1EESX_EEDaSS_ST_EUlSS_E_NS1_11comp_targetILNS1_3genE0ELNS1_11target_archE4294967295ELNS1_3gpuE0ELNS1_3repE0EEENS1_30default_config_static_selectorELNS0_4arch9wavefront6targetE1EEEvT1_,comdat
	.protected	_ZN7rocprim17ROCPRIM_400000_NS6detail17trampoline_kernelINS0_14default_configENS1_20scan_config_selectorIyEEZZNS1_9scan_implILNS1_25lookback_scan_determinismE0ELb0ELb0ES3_N6thrust23THRUST_200600_302600_NS6detail15normal_iteratorINS9_10device_ptrIyEEEENS9_16discard_iteratorINS9_11use_defaultEEEy11max_functorIyEyEEDaPvRmT3_T4_T5_mT6_P12ihipStream_tbENKUlT_T0_E_clISt17integral_constantIbLb1EESX_EEDaSS_ST_EUlSS_E_NS1_11comp_targetILNS1_3genE0ELNS1_11target_archE4294967295ELNS1_3gpuE0ELNS1_3repE0EEENS1_30default_config_static_selectorELNS0_4arch9wavefront6targetE1EEEvT1_ ; -- Begin function _ZN7rocprim17ROCPRIM_400000_NS6detail17trampoline_kernelINS0_14default_configENS1_20scan_config_selectorIyEEZZNS1_9scan_implILNS1_25lookback_scan_determinismE0ELb0ELb0ES3_N6thrust23THRUST_200600_302600_NS6detail15normal_iteratorINS9_10device_ptrIyEEEENS9_16discard_iteratorINS9_11use_defaultEEEy11max_functorIyEyEEDaPvRmT3_T4_T5_mT6_P12ihipStream_tbENKUlT_T0_E_clISt17integral_constantIbLb1EESX_EEDaSS_ST_EUlSS_E_NS1_11comp_targetILNS1_3genE0ELNS1_11target_archE4294967295ELNS1_3gpuE0ELNS1_3repE0EEENS1_30default_config_static_selectorELNS0_4arch9wavefront6targetE1EEEvT1_
	.globl	_ZN7rocprim17ROCPRIM_400000_NS6detail17trampoline_kernelINS0_14default_configENS1_20scan_config_selectorIyEEZZNS1_9scan_implILNS1_25lookback_scan_determinismE0ELb0ELb0ES3_N6thrust23THRUST_200600_302600_NS6detail15normal_iteratorINS9_10device_ptrIyEEEENS9_16discard_iteratorINS9_11use_defaultEEEy11max_functorIyEyEEDaPvRmT3_T4_T5_mT6_P12ihipStream_tbENKUlT_T0_E_clISt17integral_constantIbLb1EESX_EEDaSS_ST_EUlSS_E_NS1_11comp_targetILNS1_3genE0ELNS1_11target_archE4294967295ELNS1_3gpuE0ELNS1_3repE0EEENS1_30default_config_static_selectorELNS0_4arch9wavefront6targetE1EEEvT1_
	.p2align	8
	.type	_ZN7rocprim17ROCPRIM_400000_NS6detail17trampoline_kernelINS0_14default_configENS1_20scan_config_selectorIyEEZZNS1_9scan_implILNS1_25lookback_scan_determinismE0ELb0ELb0ES3_N6thrust23THRUST_200600_302600_NS6detail15normal_iteratorINS9_10device_ptrIyEEEENS9_16discard_iteratorINS9_11use_defaultEEEy11max_functorIyEyEEDaPvRmT3_T4_T5_mT6_P12ihipStream_tbENKUlT_T0_E_clISt17integral_constantIbLb1EESX_EEDaSS_ST_EUlSS_E_NS1_11comp_targetILNS1_3genE0ELNS1_11target_archE4294967295ELNS1_3gpuE0ELNS1_3repE0EEENS1_30default_config_static_selectorELNS0_4arch9wavefront6targetE1EEEvT1_,@function
_ZN7rocprim17ROCPRIM_400000_NS6detail17trampoline_kernelINS0_14default_configENS1_20scan_config_selectorIyEEZZNS1_9scan_implILNS1_25lookback_scan_determinismE0ELb0ELb0ES3_N6thrust23THRUST_200600_302600_NS6detail15normal_iteratorINS9_10device_ptrIyEEEENS9_16discard_iteratorINS9_11use_defaultEEEy11max_functorIyEyEEDaPvRmT3_T4_T5_mT6_P12ihipStream_tbENKUlT_T0_E_clISt17integral_constantIbLb1EESX_EEDaSS_ST_EUlSS_E_NS1_11comp_targetILNS1_3genE0ELNS1_11target_archE4294967295ELNS1_3gpuE0ELNS1_3repE0EEENS1_30default_config_static_selectorELNS0_4arch9wavefront6targetE1EEEvT1_: ; @_ZN7rocprim17ROCPRIM_400000_NS6detail17trampoline_kernelINS0_14default_configENS1_20scan_config_selectorIyEEZZNS1_9scan_implILNS1_25lookback_scan_determinismE0ELb0ELb0ES3_N6thrust23THRUST_200600_302600_NS6detail15normal_iteratorINS9_10device_ptrIyEEEENS9_16discard_iteratorINS9_11use_defaultEEEy11max_functorIyEyEEDaPvRmT3_T4_T5_mT6_P12ihipStream_tbENKUlT_T0_E_clISt17integral_constantIbLb1EESX_EEDaSS_ST_EUlSS_E_NS1_11comp_targetILNS1_3genE0ELNS1_11target_archE4294967295ELNS1_3gpuE0ELNS1_3repE0EEENS1_30default_config_static_selectorELNS0_4arch9wavefront6targetE1EEEvT1_
; %bb.0:
	.section	.rodata,"a",@progbits
	.p2align	6, 0x0
	.amdhsa_kernel _ZN7rocprim17ROCPRIM_400000_NS6detail17trampoline_kernelINS0_14default_configENS1_20scan_config_selectorIyEEZZNS1_9scan_implILNS1_25lookback_scan_determinismE0ELb0ELb0ES3_N6thrust23THRUST_200600_302600_NS6detail15normal_iteratorINS9_10device_ptrIyEEEENS9_16discard_iteratorINS9_11use_defaultEEEy11max_functorIyEyEEDaPvRmT3_T4_T5_mT6_P12ihipStream_tbENKUlT_T0_E_clISt17integral_constantIbLb1EESX_EEDaSS_ST_EUlSS_E_NS1_11comp_targetILNS1_3genE0ELNS1_11target_archE4294967295ELNS1_3gpuE0ELNS1_3repE0EEENS1_30default_config_static_selectorELNS0_4arch9wavefront6targetE1EEEvT1_
		.amdhsa_group_segment_fixed_size 0
		.amdhsa_private_segment_fixed_size 0
		.amdhsa_kernarg_size 112
		.amdhsa_user_sgpr_count 6
		.amdhsa_user_sgpr_private_segment_buffer 1
		.amdhsa_user_sgpr_dispatch_ptr 0
		.amdhsa_user_sgpr_queue_ptr 0
		.amdhsa_user_sgpr_kernarg_segment_ptr 1
		.amdhsa_user_sgpr_dispatch_id 0
		.amdhsa_user_sgpr_flat_scratch_init 0
		.amdhsa_user_sgpr_kernarg_preload_length 0
		.amdhsa_user_sgpr_kernarg_preload_offset 0
		.amdhsa_user_sgpr_private_segment_size 0
		.amdhsa_uses_dynamic_stack 0
		.amdhsa_system_sgpr_private_segment_wavefront_offset 0
		.amdhsa_system_sgpr_workgroup_id_x 1
		.amdhsa_system_sgpr_workgroup_id_y 0
		.amdhsa_system_sgpr_workgroup_id_z 0
		.amdhsa_system_sgpr_workgroup_info 0
		.amdhsa_system_vgpr_workitem_id 0
		.amdhsa_next_free_vgpr 1
		.amdhsa_next_free_sgpr 0
		.amdhsa_accum_offset 4
		.amdhsa_reserve_vcc 0
		.amdhsa_reserve_flat_scratch 0
		.amdhsa_float_round_mode_32 0
		.amdhsa_float_round_mode_16_64 0
		.amdhsa_float_denorm_mode_32 3
		.amdhsa_float_denorm_mode_16_64 3
		.amdhsa_dx10_clamp 1
		.amdhsa_ieee_mode 1
		.amdhsa_fp16_overflow 0
		.amdhsa_tg_split 0
		.amdhsa_exception_fp_ieee_invalid_op 0
		.amdhsa_exception_fp_denorm_src 0
		.amdhsa_exception_fp_ieee_div_zero 0
		.amdhsa_exception_fp_ieee_overflow 0
		.amdhsa_exception_fp_ieee_underflow 0
		.amdhsa_exception_fp_ieee_inexact 0
		.amdhsa_exception_int_div_zero 0
	.end_amdhsa_kernel
	.section	.text._ZN7rocprim17ROCPRIM_400000_NS6detail17trampoline_kernelINS0_14default_configENS1_20scan_config_selectorIyEEZZNS1_9scan_implILNS1_25lookback_scan_determinismE0ELb0ELb0ES3_N6thrust23THRUST_200600_302600_NS6detail15normal_iteratorINS9_10device_ptrIyEEEENS9_16discard_iteratorINS9_11use_defaultEEEy11max_functorIyEyEEDaPvRmT3_T4_T5_mT6_P12ihipStream_tbENKUlT_T0_E_clISt17integral_constantIbLb1EESX_EEDaSS_ST_EUlSS_E_NS1_11comp_targetILNS1_3genE0ELNS1_11target_archE4294967295ELNS1_3gpuE0ELNS1_3repE0EEENS1_30default_config_static_selectorELNS0_4arch9wavefront6targetE1EEEvT1_,"axG",@progbits,_ZN7rocprim17ROCPRIM_400000_NS6detail17trampoline_kernelINS0_14default_configENS1_20scan_config_selectorIyEEZZNS1_9scan_implILNS1_25lookback_scan_determinismE0ELb0ELb0ES3_N6thrust23THRUST_200600_302600_NS6detail15normal_iteratorINS9_10device_ptrIyEEEENS9_16discard_iteratorINS9_11use_defaultEEEy11max_functorIyEyEEDaPvRmT3_T4_T5_mT6_P12ihipStream_tbENKUlT_T0_E_clISt17integral_constantIbLb1EESX_EEDaSS_ST_EUlSS_E_NS1_11comp_targetILNS1_3genE0ELNS1_11target_archE4294967295ELNS1_3gpuE0ELNS1_3repE0EEENS1_30default_config_static_selectorELNS0_4arch9wavefront6targetE1EEEvT1_,comdat
.Lfunc_end3296:
	.size	_ZN7rocprim17ROCPRIM_400000_NS6detail17trampoline_kernelINS0_14default_configENS1_20scan_config_selectorIyEEZZNS1_9scan_implILNS1_25lookback_scan_determinismE0ELb0ELb0ES3_N6thrust23THRUST_200600_302600_NS6detail15normal_iteratorINS9_10device_ptrIyEEEENS9_16discard_iteratorINS9_11use_defaultEEEy11max_functorIyEyEEDaPvRmT3_T4_T5_mT6_P12ihipStream_tbENKUlT_T0_E_clISt17integral_constantIbLb1EESX_EEDaSS_ST_EUlSS_E_NS1_11comp_targetILNS1_3genE0ELNS1_11target_archE4294967295ELNS1_3gpuE0ELNS1_3repE0EEENS1_30default_config_static_selectorELNS0_4arch9wavefront6targetE1EEEvT1_, .Lfunc_end3296-_ZN7rocprim17ROCPRIM_400000_NS6detail17trampoline_kernelINS0_14default_configENS1_20scan_config_selectorIyEEZZNS1_9scan_implILNS1_25lookback_scan_determinismE0ELb0ELb0ES3_N6thrust23THRUST_200600_302600_NS6detail15normal_iteratorINS9_10device_ptrIyEEEENS9_16discard_iteratorINS9_11use_defaultEEEy11max_functorIyEyEEDaPvRmT3_T4_T5_mT6_P12ihipStream_tbENKUlT_T0_E_clISt17integral_constantIbLb1EESX_EEDaSS_ST_EUlSS_E_NS1_11comp_targetILNS1_3genE0ELNS1_11target_archE4294967295ELNS1_3gpuE0ELNS1_3repE0EEENS1_30default_config_static_selectorELNS0_4arch9wavefront6targetE1EEEvT1_
                                        ; -- End function
	.section	.AMDGPU.csdata,"",@progbits
; Kernel info:
; codeLenInByte = 0
; NumSgprs: 4
; NumVgprs: 0
; NumAgprs: 0
; TotalNumVgprs: 0
; ScratchSize: 0
; MemoryBound: 0
; FloatMode: 240
; IeeeMode: 1
; LDSByteSize: 0 bytes/workgroup (compile time only)
; SGPRBlocks: 0
; VGPRBlocks: 0
; NumSGPRsForWavesPerEU: 4
; NumVGPRsForWavesPerEU: 1
; AccumOffset: 4
; Occupancy: 8
; WaveLimiterHint : 0
; COMPUTE_PGM_RSRC2:SCRATCH_EN: 0
; COMPUTE_PGM_RSRC2:USER_SGPR: 6
; COMPUTE_PGM_RSRC2:TRAP_HANDLER: 0
; COMPUTE_PGM_RSRC2:TGID_X_EN: 1
; COMPUTE_PGM_RSRC2:TGID_Y_EN: 0
; COMPUTE_PGM_RSRC2:TGID_Z_EN: 0
; COMPUTE_PGM_RSRC2:TIDIG_COMP_CNT: 0
; COMPUTE_PGM_RSRC3_GFX90A:ACCUM_OFFSET: 0
; COMPUTE_PGM_RSRC3_GFX90A:TG_SPLIT: 0
	.section	.text._ZN7rocprim17ROCPRIM_400000_NS6detail17trampoline_kernelINS0_14default_configENS1_20scan_config_selectorIyEEZZNS1_9scan_implILNS1_25lookback_scan_determinismE0ELb0ELb0ES3_N6thrust23THRUST_200600_302600_NS6detail15normal_iteratorINS9_10device_ptrIyEEEENS9_16discard_iteratorINS9_11use_defaultEEEy11max_functorIyEyEEDaPvRmT3_T4_T5_mT6_P12ihipStream_tbENKUlT_T0_E_clISt17integral_constantIbLb1EESX_EEDaSS_ST_EUlSS_E_NS1_11comp_targetILNS1_3genE5ELNS1_11target_archE942ELNS1_3gpuE9ELNS1_3repE0EEENS1_30default_config_static_selectorELNS0_4arch9wavefront6targetE1EEEvT1_,"axG",@progbits,_ZN7rocprim17ROCPRIM_400000_NS6detail17trampoline_kernelINS0_14default_configENS1_20scan_config_selectorIyEEZZNS1_9scan_implILNS1_25lookback_scan_determinismE0ELb0ELb0ES3_N6thrust23THRUST_200600_302600_NS6detail15normal_iteratorINS9_10device_ptrIyEEEENS9_16discard_iteratorINS9_11use_defaultEEEy11max_functorIyEyEEDaPvRmT3_T4_T5_mT6_P12ihipStream_tbENKUlT_T0_E_clISt17integral_constantIbLb1EESX_EEDaSS_ST_EUlSS_E_NS1_11comp_targetILNS1_3genE5ELNS1_11target_archE942ELNS1_3gpuE9ELNS1_3repE0EEENS1_30default_config_static_selectorELNS0_4arch9wavefront6targetE1EEEvT1_,comdat
	.protected	_ZN7rocprim17ROCPRIM_400000_NS6detail17trampoline_kernelINS0_14default_configENS1_20scan_config_selectorIyEEZZNS1_9scan_implILNS1_25lookback_scan_determinismE0ELb0ELb0ES3_N6thrust23THRUST_200600_302600_NS6detail15normal_iteratorINS9_10device_ptrIyEEEENS9_16discard_iteratorINS9_11use_defaultEEEy11max_functorIyEyEEDaPvRmT3_T4_T5_mT6_P12ihipStream_tbENKUlT_T0_E_clISt17integral_constantIbLb1EESX_EEDaSS_ST_EUlSS_E_NS1_11comp_targetILNS1_3genE5ELNS1_11target_archE942ELNS1_3gpuE9ELNS1_3repE0EEENS1_30default_config_static_selectorELNS0_4arch9wavefront6targetE1EEEvT1_ ; -- Begin function _ZN7rocprim17ROCPRIM_400000_NS6detail17trampoline_kernelINS0_14default_configENS1_20scan_config_selectorIyEEZZNS1_9scan_implILNS1_25lookback_scan_determinismE0ELb0ELb0ES3_N6thrust23THRUST_200600_302600_NS6detail15normal_iteratorINS9_10device_ptrIyEEEENS9_16discard_iteratorINS9_11use_defaultEEEy11max_functorIyEyEEDaPvRmT3_T4_T5_mT6_P12ihipStream_tbENKUlT_T0_E_clISt17integral_constantIbLb1EESX_EEDaSS_ST_EUlSS_E_NS1_11comp_targetILNS1_3genE5ELNS1_11target_archE942ELNS1_3gpuE9ELNS1_3repE0EEENS1_30default_config_static_selectorELNS0_4arch9wavefront6targetE1EEEvT1_
	.globl	_ZN7rocprim17ROCPRIM_400000_NS6detail17trampoline_kernelINS0_14default_configENS1_20scan_config_selectorIyEEZZNS1_9scan_implILNS1_25lookback_scan_determinismE0ELb0ELb0ES3_N6thrust23THRUST_200600_302600_NS6detail15normal_iteratorINS9_10device_ptrIyEEEENS9_16discard_iteratorINS9_11use_defaultEEEy11max_functorIyEyEEDaPvRmT3_T4_T5_mT6_P12ihipStream_tbENKUlT_T0_E_clISt17integral_constantIbLb1EESX_EEDaSS_ST_EUlSS_E_NS1_11comp_targetILNS1_3genE5ELNS1_11target_archE942ELNS1_3gpuE9ELNS1_3repE0EEENS1_30default_config_static_selectorELNS0_4arch9wavefront6targetE1EEEvT1_
	.p2align	8
	.type	_ZN7rocprim17ROCPRIM_400000_NS6detail17trampoline_kernelINS0_14default_configENS1_20scan_config_selectorIyEEZZNS1_9scan_implILNS1_25lookback_scan_determinismE0ELb0ELb0ES3_N6thrust23THRUST_200600_302600_NS6detail15normal_iteratorINS9_10device_ptrIyEEEENS9_16discard_iteratorINS9_11use_defaultEEEy11max_functorIyEyEEDaPvRmT3_T4_T5_mT6_P12ihipStream_tbENKUlT_T0_E_clISt17integral_constantIbLb1EESX_EEDaSS_ST_EUlSS_E_NS1_11comp_targetILNS1_3genE5ELNS1_11target_archE942ELNS1_3gpuE9ELNS1_3repE0EEENS1_30default_config_static_selectorELNS0_4arch9wavefront6targetE1EEEvT1_,@function
_ZN7rocprim17ROCPRIM_400000_NS6detail17trampoline_kernelINS0_14default_configENS1_20scan_config_selectorIyEEZZNS1_9scan_implILNS1_25lookback_scan_determinismE0ELb0ELb0ES3_N6thrust23THRUST_200600_302600_NS6detail15normal_iteratorINS9_10device_ptrIyEEEENS9_16discard_iteratorINS9_11use_defaultEEEy11max_functorIyEyEEDaPvRmT3_T4_T5_mT6_P12ihipStream_tbENKUlT_T0_E_clISt17integral_constantIbLb1EESX_EEDaSS_ST_EUlSS_E_NS1_11comp_targetILNS1_3genE5ELNS1_11target_archE942ELNS1_3gpuE9ELNS1_3repE0EEENS1_30default_config_static_selectorELNS0_4arch9wavefront6targetE1EEEvT1_: ; @_ZN7rocprim17ROCPRIM_400000_NS6detail17trampoline_kernelINS0_14default_configENS1_20scan_config_selectorIyEEZZNS1_9scan_implILNS1_25lookback_scan_determinismE0ELb0ELb0ES3_N6thrust23THRUST_200600_302600_NS6detail15normal_iteratorINS9_10device_ptrIyEEEENS9_16discard_iteratorINS9_11use_defaultEEEy11max_functorIyEyEEDaPvRmT3_T4_T5_mT6_P12ihipStream_tbENKUlT_T0_E_clISt17integral_constantIbLb1EESX_EEDaSS_ST_EUlSS_E_NS1_11comp_targetILNS1_3genE5ELNS1_11target_archE942ELNS1_3gpuE9ELNS1_3repE0EEENS1_30default_config_static_selectorELNS0_4arch9wavefront6targetE1EEEvT1_
; %bb.0:
	.section	.rodata,"a",@progbits
	.p2align	6, 0x0
	.amdhsa_kernel _ZN7rocprim17ROCPRIM_400000_NS6detail17trampoline_kernelINS0_14default_configENS1_20scan_config_selectorIyEEZZNS1_9scan_implILNS1_25lookback_scan_determinismE0ELb0ELb0ES3_N6thrust23THRUST_200600_302600_NS6detail15normal_iteratorINS9_10device_ptrIyEEEENS9_16discard_iteratorINS9_11use_defaultEEEy11max_functorIyEyEEDaPvRmT3_T4_T5_mT6_P12ihipStream_tbENKUlT_T0_E_clISt17integral_constantIbLb1EESX_EEDaSS_ST_EUlSS_E_NS1_11comp_targetILNS1_3genE5ELNS1_11target_archE942ELNS1_3gpuE9ELNS1_3repE0EEENS1_30default_config_static_selectorELNS0_4arch9wavefront6targetE1EEEvT1_
		.amdhsa_group_segment_fixed_size 0
		.amdhsa_private_segment_fixed_size 0
		.amdhsa_kernarg_size 112
		.amdhsa_user_sgpr_count 6
		.amdhsa_user_sgpr_private_segment_buffer 1
		.amdhsa_user_sgpr_dispatch_ptr 0
		.amdhsa_user_sgpr_queue_ptr 0
		.amdhsa_user_sgpr_kernarg_segment_ptr 1
		.amdhsa_user_sgpr_dispatch_id 0
		.amdhsa_user_sgpr_flat_scratch_init 0
		.amdhsa_user_sgpr_kernarg_preload_length 0
		.amdhsa_user_sgpr_kernarg_preload_offset 0
		.amdhsa_user_sgpr_private_segment_size 0
		.amdhsa_uses_dynamic_stack 0
		.amdhsa_system_sgpr_private_segment_wavefront_offset 0
		.amdhsa_system_sgpr_workgroup_id_x 1
		.amdhsa_system_sgpr_workgroup_id_y 0
		.amdhsa_system_sgpr_workgroup_id_z 0
		.amdhsa_system_sgpr_workgroup_info 0
		.amdhsa_system_vgpr_workitem_id 0
		.amdhsa_next_free_vgpr 1
		.amdhsa_next_free_sgpr 0
		.amdhsa_accum_offset 4
		.amdhsa_reserve_vcc 0
		.amdhsa_reserve_flat_scratch 0
		.amdhsa_float_round_mode_32 0
		.amdhsa_float_round_mode_16_64 0
		.amdhsa_float_denorm_mode_32 3
		.amdhsa_float_denorm_mode_16_64 3
		.amdhsa_dx10_clamp 1
		.amdhsa_ieee_mode 1
		.amdhsa_fp16_overflow 0
		.amdhsa_tg_split 0
		.amdhsa_exception_fp_ieee_invalid_op 0
		.amdhsa_exception_fp_denorm_src 0
		.amdhsa_exception_fp_ieee_div_zero 0
		.amdhsa_exception_fp_ieee_overflow 0
		.amdhsa_exception_fp_ieee_underflow 0
		.amdhsa_exception_fp_ieee_inexact 0
		.amdhsa_exception_int_div_zero 0
	.end_amdhsa_kernel
	.section	.text._ZN7rocprim17ROCPRIM_400000_NS6detail17trampoline_kernelINS0_14default_configENS1_20scan_config_selectorIyEEZZNS1_9scan_implILNS1_25lookback_scan_determinismE0ELb0ELb0ES3_N6thrust23THRUST_200600_302600_NS6detail15normal_iteratorINS9_10device_ptrIyEEEENS9_16discard_iteratorINS9_11use_defaultEEEy11max_functorIyEyEEDaPvRmT3_T4_T5_mT6_P12ihipStream_tbENKUlT_T0_E_clISt17integral_constantIbLb1EESX_EEDaSS_ST_EUlSS_E_NS1_11comp_targetILNS1_3genE5ELNS1_11target_archE942ELNS1_3gpuE9ELNS1_3repE0EEENS1_30default_config_static_selectorELNS0_4arch9wavefront6targetE1EEEvT1_,"axG",@progbits,_ZN7rocprim17ROCPRIM_400000_NS6detail17trampoline_kernelINS0_14default_configENS1_20scan_config_selectorIyEEZZNS1_9scan_implILNS1_25lookback_scan_determinismE0ELb0ELb0ES3_N6thrust23THRUST_200600_302600_NS6detail15normal_iteratorINS9_10device_ptrIyEEEENS9_16discard_iteratorINS9_11use_defaultEEEy11max_functorIyEyEEDaPvRmT3_T4_T5_mT6_P12ihipStream_tbENKUlT_T0_E_clISt17integral_constantIbLb1EESX_EEDaSS_ST_EUlSS_E_NS1_11comp_targetILNS1_3genE5ELNS1_11target_archE942ELNS1_3gpuE9ELNS1_3repE0EEENS1_30default_config_static_selectorELNS0_4arch9wavefront6targetE1EEEvT1_,comdat
.Lfunc_end3297:
	.size	_ZN7rocprim17ROCPRIM_400000_NS6detail17trampoline_kernelINS0_14default_configENS1_20scan_config_selectorIyEEZZNS1_9scan_implILNS1_25lookback_scan_determinismE0ELb0ELb0ES3_N6thrust23THRUST_200600_302600_NS6detail15normal_iteratorINS9_10device_ptrIyEEEENS9_16discard_iteratorINS9_11use_defaultEEEy11max_functorIyEyEEDaPvRmT3_T4_T5_mT6_P12ihipStream_tbENKUlT_T0_E_clISt17integral_constantIbLb1EESX_EEDaSS_ST_EUlSS_E_NS1_11comp_targetILNS1_3genE5ELNS1_11target_archE942ELNS1_3gpuE9ELNS1_3repE0EEENS1_30default_config_static_selectorELNS0_4arch9wavefront6targetE1EEEvT1_, .Lfunc_end3297-_ZN7rocprim17ROCPRIM_400000_NS6detail17trampoline_kernelINS0_14default_configENS1_20scan_config_selectorIyEEZZNS1_9scan_implILNS1_25lookback_scan_determinismE0ELb0ELb0ES3_N6thrust23THRUST_200600_302600_NS6detail15normal_iteratorINS9_10device_ptrIyEEEENS9_16discard_iteratorINS9_11use_defaultEEEy11max_functorIyEyEEDaPvRmT3_T4_T5_mT6_P12ihipStream_tbENKUlT_T0_E_clISt17integral_constantIbLb1EESX_EEDaSS_ST_EUlSS_E_NS1_11comp_targetILNS1_3genE5ELNS1_11target_archE942ELNS1_3gpuE9ELNS1_3repE0EEENS1_30default_config_static_selectorELNS0_4arch9wavefront6targetE1EEEvT1_
                                        ; -- End function
	.section	.AMDGPU.csdata,"",@progbits
; Kernel info:
; codeLenInByte = 0
; NumSgprs: 4
; NumVgprs: 0
; NumAgprs: 0
; TotalNumVgprs: 0
; ScratchSize: 0
; MemoryBound: 0
; FloatMode: 240
; IeeeMode: 1
; LDSByteSize: 0 bytes/workgroup (compile time only)
; SGPRBlocks: 0
; VGPRBlocks: 0
; NumSGPRsForWavesPerEU: 4
; NumVGPRsForWavesPerEU: 1
; AccumOffset: 4
; Occupancy: 8
; WaveLimiterHint : 0
; COMPUTE_PGM_RSRC2:SCRATCH_EN: 0
; COMPUTE_PGM_RSRC2:USER_SGPR: 6
; COMPUTE_PGM_RSRC2:TRAP_HANDLER: 0
; COMPUTE_PGM_RSRC2:TGID_X_EN: 1
; COMPUTE_PGM_RSRC2:TGID_Y_EN: 0
; COMPUTE_PGM_RSRC2:TGID_Z_EN: 0
; COMPUTE_PGM_RSRC2:TIDIG_COMP_CNT: 0
; COMPUTE_PGM_RSRC3_GFX90A:ACCUM_OFFSET: 0
; COMPUTE_PGM_RSRC3_GFX90A:TG_SPLIT: 0
	.section	.text._ZN7rocprim17ROCPRIM_400000_NS6detail17trampoline_kernelINS0_14default_configENS1_20scan_config_selectorIyEEZZNS1_9scan_implILNS1_25lookback_scan_determinismE0ELb0ELb0ES3_N6thrust23THRUST_200600_302600_NS6detail15normal_iteratorINS9_10device_ptrIyEEEENS9_16discard_iteratorINS9_11use_defaultEEEy11max_functorIyEyEEDaPvRmT3_T4_T5_mT6_P12ihipStream_tbENKUlT_T0_E_clISt17integral_constantIbLb1EESX_EEDaSS_ST_EUlSS_E_NS1_11comp_targetILNS1_3genE4ELNS1_11target_archE910ELNS1_3gpuE8ELNS1_3repE0EEENS1_30default_config_static_selectorELNS0_4arch9wavefront6targetE1EEEvT1_,"axG",@progbits,_ZN7rocprim17ROCPRIM_400000_NS6detail17trampoline_kernelINS0_14default_configENS1_20scan_config_selectorIyEEZZNS1_9scan_implILNS1_25lookback_scan_determinismE0ELb0ELb0ES3_N6thrust23THRUST_200600_302600_NS6detail15normal_iteratorINS9_10device_ptrIyEEEENS9_16discard_iteratorINS9_11use_defaultEEEy11max_functorIyEyEEDaPvRmT3_T4_T5_mT6_P12ihipStream_tbENKUlT_T0_E_clISt17integral_constantIbLb1EESX_EEDaSS_ST_EUlSS_E_NS1_11comp_targetILNS1_3genE4ELNS1_11target_archE910ELNS1_3gpuE8ELNS1_3repE0EEENS1_30default_config_static_selectorELNS0_4arch9wavefront6targetE1EEEvT1_,comdat
	.protected	_ZN7rocprim17ROCPRIM_400000_NS6detail17trampoline_kernelINS0_14default_configENS1_20scan_config_selectorIyEEZZNS1_9scan_implILNS1_25lookback_scan_determinismE0ELb0ELb0ES3_N6thrust23THRUST_200600_302600_NS6detail15normal_iteratorINS9_10device_ptrIyEEEENS9_16discard_iteratorINS9_11use_defaultEEEy11max_functorIyEyEEDaPvRmT3_T4_T5_mT6_P12ihipStream_tbENKUlT_T0_E_clISt17integral_constantIbLb1EESX_EEDaSS_ST_EUlSS_E_NS1_11comp_targetILNS1_3genE4ELNS1_11target_archE910ELNS1_3gpuE8ELNS1_3repE0EEENS1_30default_config_static_selectorELNS0_4arch9wavefront6targetE1EEEvT1_ ; -- Begin function _ZN7rocprim17ROCPRIM_400000_NS6detail17trampoline_kernelINS0_14default_configENS1_20scan_config_selectorIyEEZZNS1_9scan_implILNS1_25lookback_scan_determinismE0ELb0ELb0ES3_N6thrust23THRUST_200600_302600_NS6detail15normal_iteratorINS9_10device_ptrIyEEEENS9_16discard_iteratorINS9_11use_defaultEEEy11max_functorIyEyEEDaPvRmT3_T4_T5_mT6_P12ihipStream_tbENKUlT_T0_E_clISt17integral_constantIbLb1EESX_EEDaSS_ST_EUlSS_E_NS1_11comp_targetILNS1_3genE4ELNS1_11target_archE910ELNS1_3gpuE8ELNS1_3repE0EEENS1_30default_config_static_selectorELNS0_4arch9wavefront6targetE1EEEvT1_
	.globl	_ZN7rocprim17ROCPRIM_400000_NS6detail17trampoline_kernelINS0_14default_configENS1_20scan_config_selectorIyEEZZNS1_9scan_implILNS1_25lookback_scan_determinismE0ELb0ELb0ES3_N6thrust23THRUST_200600_302600_NS6detail15normal_iteratorINS9_10device_ptrIyEEEENS9_16discard_iteratorINS9_11use_defaultEEEy11max_functorIyEyEEDaPvRmT3_T4_T5_mT6_P12ihipStream_tbENKUlT_T0_E_clISt17integral_constantIbLb1EESX_EEDaSS_ST_EUlSS_E_NS1_11comp_targetILNS1_3genE4ELNS1_11target_archE910ELNS1_3gpuE8ELNS1_3repE0EEENS1_30default_config_static_selectorELNS0_4arch9wavefront6targetE1EEEvT1_
	.p2align	8
	.type	_ZN7rocprim17ROCPRIM_400000_NS6detail17trampoline_kernelINS0_14default_configENS1_20scan_config_selectorIyEEZZNS1_9scan_implILNS1_25lookback_scan_determinismE0ELb0ELb0ES3_N6thrust23THRUST_200600_302600_NS6detail15normal_iteratorINS9_10device_ptrIyEEEENS9_16discard_iteratorINS9_11use_defaultEEEy11max_functorIyEyEEDaPvRmT3_T4_T5_mT6_P12ihipStream_tbENKUlT_T0_E_clISt17integral_constantIbLb1EESX_EEDaSS_ST_EUlSS_E_NS1_11comp_targetILNS1_3genE4ELNS1_11target_archE910ELNS1_3gpuE8ELNS1_3repE0EEENS1_30default_config_static_selectorELNS0_4arch9wavefront6targetE1EEEvT1_,@function
_ZN7rocprim17ROCPRIM_400000_NS6detail17trampoline_kernelINS0_14default_configENS1_20scan_config_selectorIyEEZZNS1_9scan_implILNS1_25lookback_scan_determinismE0ELb0ELb0ES3_N6thrust23THRUST_200600_302600_NS6detail15normal_iteratorINS9_10device_ptrIyEEEENS9_16discard_iteratorINS9_11use_defaultEEEy11max_functorIyEyEEDaPvRmT3_T4_T5_mT6_P12ihipStream_tbENKUlT_T0_E_clISt17integral_constantIbLb1EESX_EEDaSS_ST_EUlSS_E_NS1_11comp_targetILNS1_3genE4ELNS1_11target_archE910ELNS1_3gpuE8ELNS1_3repE0EEENS1_30default_config_static_selectorELNS0_4arch9wavefront6targetE1EEEvT1_: ; @_ZN7rocprim17ROCPRIM_400000_NS6detail17trampoline_kernelINS0_14default_configENS1_20scan_config_selectorIyEEZZNS1_9scan_implILNS1_25lookback_scan_determinismE0ELb0ELb0ES3_N6thrust23THRUST_200600_302600_NS6detail15normal_iteratorINS9_10device_ptrIyEEEENS9_16discard_iteratorINS9_11use_defaultEEEy11max_functorIyEyEEDaPvRmT3_T4_T5_mT6_P12ihipStream_tbENKUlT_T0_E_clISt17integral_constantIbLb1EESX_EEDaSS_ST_EUlSS_E_NS1_11comp_targetILNS1_3genE4ELNS1_11target_archE910ELNS1_3gpuE8ELNS1_3repE0EEENS1_30default_config_static_selectorELNS0_4arch9wavefront6targetE1EEEvT1_
; %bb.0:
	s_load_dwordx2 s[6:7], s[4:5], 0x20
	s_load_dwordx2 s[14:15], s[4:5], 0x38
	v_cmp_ne_u32_e64 s[0:1], 0, v0
	v_cmp_eq_u32_e64 s[2:3], 0, v0
	s_and_saveexec_b64 s[8:9], s[2:3]
	s_cbranch_execz .LBB3298_4
; %bb.1:
	s_mov_b64 s[12:13], exec
	v_mbcnt_lo_u32_b32 v1, s12, 0
	v_mbcnt_hi_u32_b32 v1, s13, v1
	v_cmp_eq_u32_e32 vcc, 0, v1
                                        ; implicit-def: $vgpr2
	s_and_saveexec_b64 s[10:11], vcc
	s_cbranch_execz .LBB3298_3
; %bb.2:
	s_load_dwordx2 s[16:17], s[4:5], 0x68
	s_bcnt1_i32_b64 s12, s[12:13]
	v_mov_b32_e32 v2, 0
	v_mov_b32_e32 v3, s12
	s_waitcnt lgkmcnt(0)
	global_atomic_add v2, v2, v3, s[16:17] glc
.LBB3298_3:
	s_or_b64 exec, exec, s[10:11]
	s_waitcnt vmcnt(0)
	v_readfirstlane_b32 s10, v2
	v_add_u32_e32 v1, s10, v1
	v_mov_b32_e32 v2, 0
	ds_write_b32 v2, v1
.LBB3298_4:
	s_or_b64 exec, exec, s[8:9]
	v_mov_b32_e32 v3, 0
	s_load_dwordx4 s[8:11], s[4:5], 0x0
	s_load_dword s12, s[4:5], 0x40
	s_load_dwordx8 s[16:23], s[4:5], 0x48
	s_waitcnt lgkmcnt(0)
	s_barrier
	ds_read_b32 v1, v3
	s_lshl_b64 s[4:5], s[10:11], 3
	s_add_u32 s4, s8, s4
	s_movk_i32 s8, 0x380
	s_addc_u32 s5, s9, s5
	s_waitcnt lgkmcnt(0)
	v_mul_lo_u32 v2, v1, s8
	s_add_i32 s8, s12, -1
	s_mul_i32 s9, s8, 0x380
	s_sub_u32 s28, s6, s9
	v_readfirstlane_b32 s30, v1
	s_subb_u32 s29, s7, 0
	v_lshlrev_b64 v[2:3], 3, v[2:3]
	s_cmp_lg_u32 s30, s8
	v_mov_b32_e32 v1, s5
	v_add_co_u32_e32 v20, vcc, s4, v2
	s_cselect_b64 s[24:25], -1, 0
	v_addc_co_u32_e32 v21, vcc, v1, v3, vcc
	s_mov_b64 s[4:5], -1
	s_and_b64 vcc, exec, s[24:25]
	v_lshlrev_b32_e32 v1, 3, v0
	s_barrier
	s_cbranch_vccz .LBB3298_6
; %bb.5:
	v_add_co_u32_e32 v2, vcc, v20, v1
	v_addc_co_u32_e32 v3, vcc, 0, v21, vcc
	flat_load_dwordx2 v[4:5], v[2:3]
	flat_load_dwordx2 v[6:7], v[2:3] offset:1024
	flat_load_dwordx2 v[8:9], v[2:3] offset:2048
	;; [unrolled: 1-line block ×3, first 2 shown]
	v_add_co_u32_e32 v2, vcc, 0x1000, v2
	v_addc_co_u32_e32 v3, vcc, 0, v3, vcc
	flat_load_dwordx2 v[12:13], v[2:3]
	flat_load_dwordx2 v[14:15], v[2:3] offset:1024
	flat_load_dwordx2 v[16:17], v[2:3] offset:2048
	s_mov_b64 s[4:5], 0
	s_waitcnt vmcnt(0) lgkmcnt(0)
	ds_write2st64_b64 v1, v[4:5], v[6:7] offset1:2
	ds_write2st64_b64 v1, v[8:9], v[10:11] offset0:4 offset1:6
	ds_write2st64_b64 v1, v[12:13], v[14:15] offset0:8 offset1:10
	ds_write_b64 v1, v[16:17] offset:6144
	s_waitcnt lgkmcnt(0)
	s_barrier
.LBB3298_6:
	s_andn2_b64 vcc, exec, s[4:5]
	s_cbranch_vccnz .LBB3298_22
; %bb.7:
	flat_load_dwordx2 v[2:3], v[20:21]
	v_cmp_gt_u32_e32 vcc, s28, v0
	s_waitcnt vmcnt(0) lgkmcnt(0)
	v_mov_b32_e32 v4, v2
	v_mov_b32_e32 v5, v3
	;; [unrolled: 1-line block ×10, first 2 shown]
	v_pk_mov_b32 v[18:19], v[14:15], v[14:15] op_sel:[0,1]
	v_pk_mov_b32 v[16:17], v[12:13], v[12:13] op_sel:[0,1]
	;; [unrolled: 1-line block ×8, first 2 shown]
	s_and_saveexec_b64 s[4:5], vcc
	s_cbranch_execz .LBB3298_9
; %bb.8:
	v_add_co_u32_e32 v4, vcc, v20, v1
	v_addc_co_u32_e32 v5, vcc, 0, v21, vcc
	flat_load_dwordx2 v[22:23], v[4:5]
	v_mov_b32_e32 v4, v2
	v_mov_b32_e32 v5, v3
	;; [unrolled: 1-line block ×10, first 2 shown]
	v_pk_mov_b32 v[18:19], v[14:15], v[14:15] op_sel:[0,1]
	v_pk_mov_b32 v[16:17], v[12:13], v[12:13] op_sel:[0,1]
	;; [unrolled: 1-line block ×8, first 2 shown]
	s_waitcnt vmcnt(0) lgkmcnt(0)
	v_pk_mov_b32 v[2:3], v[22:23], v[22:23] op_sel:[0,1]
.LBB3298_9:
	s_or_b64 exec, exec, s[4:5]
	v_or_b32_e32 v4, 0x80, v0
	v_cmp_gt_u32_e32 vcc, s28, v4
	s_and_saveexec_b64 s[4:5], vcc
	s_cbranch_execz .LBB3298_11
; %bb.10:
	v_add_co_u32_e32 v4, vcc, v20, v1
	v_addc_co_u32_e32 v5, vcc, 0, v21, vcc
	flat_load_dwordx2 v[6:7], v[4:5] offset:1024
.LBB3298_11:
	s_or_b64 exec, exec, s[4:5]
	v_or_b32_e32 v4, 0x100, v0
	v_cmp_gt_u32_e32 vcc, s28, v4
	s_and_saveexec_b64 s[4:5], vcc
	s_cbranch_execz .LBB3298_13
; %bb.12:
	v_add_co_u32_e32 v4, vcc, v20, v1
	v_addc_co_u32_e32 v5, vcc, 0, v21, vcc
	flat_load_dwordx2 v[8:9], v[4:5] offset:2048
.LBB3298_13:
	;; [unrolled: 10-line block ×3, first 2 shown]
	s_or_b64 exec, exec, s[4:5]
	v_or_b32_e32 v4, 0x200, v0
	v_cmp_gt_u32_e32 vcc, s28, v4
	s_and_saveexec_b64 s[4:5], vcc
	s_cbranch_execz .LBB3298_17
; %bb.16:
	v_lshlrev_b32_e32 v4, 3, v4
	v_add_co_u32_e32 v4, vcc, v20, v4
	v_addc_co_u32_e32 v5, vcc, 0, v21, vcc
	flat_load_dwordx2 v[12:13], v[4:5]
.LBB3298_17:
	s_or_b64 exec, exec, s[4:5]
	v_or_b32_e32 v4, 0x280, v0
	v_cmp_gt_u32_e32 vcc, s28, v4
	s_and_saveexec_b64 s[4:5], vcc
	s_cbranch_execz .LBB3298_19
; %bb.18:
	v_lshlrev_b32_e32 v4, 3, v4
	v_add_co_u32_e32 v4, vcc, v20, v4
	v_addc_co_u32_e32 v5, vcc, 0, v21, vcc
	flat_load_dwordx2 v[14:15], v[4:5]
.LBB3298_19:
	;; [unrolled: 11-line block ×3, first 2 shown]
	s_or_b64 exec, exec, s[4:5]
	s_waitcnt vmcnt(0) lgkmcnt(0)
	ds_write2st64_b64 v1, v[2:3], v[6:7] offset1:2
	ds_write2st64_b64 v1, v[8:9], v[10:11] offset0:4 offset1:6
	ds_write2st64_b64 v1, v[12:13], v[14:15] offset0:8 offset1:10
	ds_write_b64 v1, v[16:17] offset:6144
	s_waitcnt lgkmcnt(0)
	s_barrier
.LBB3298_22:
	v_mul_u32_u24_e32 v36, 7, v0
	v_lshlrev_b32_e32 v37, 3, v36
	ds_read2_b64 v[2:5], v37 offset1:1
	ds_read2_b64 v[10:13], v37 offset0:2 offset1:3
	ds_read2_b64 v[6:9], v37 offset0:4 offset1:5
	ds_read_b64 v[28:29], v37 offset:48
	s_cmp_lg_u32 s30, 0
	v_lshrrev_b32_e32 v1, 5, v0
	v_cmp_gt_u32_e32 vcc, 64, v0
	s_waitcnt lgkmcnt(0)
	s_barrier
	s_cbranch_scc0 .LBB3298_53
; %bb.23:
	v_cmp_gt_u64_e64 s[4:5], v[2:3], v[4:5]
	v_cndmask_b32_e64 v15, v5, v3, s[4:5]
	v_cndmask_b32_e64 v14, v4, v2, s[4:5]
	v_cmp_gt_u64_e64 s[4:5], v[14:15], v[10:11]
	v_cndmask_b32_e64 v15, v11, v15, s[4:5]
	v_cndmask_b32_e64 v14, v10, v14, s[4:5]
	;; [unrolled: 3-line block ×6, first 2 shown]
	v_add_lshl_u32 v14, v1, v0, 3
	ds_write_b64 v14, v[22:23]
	s_waitcnt lgkmcnt(0)
	s_barrier
	s_and_saveexec_b64 s[8:9], vcc
	s_cbranch_execz .LBB3298_27
; %bb.24:
	v_lshlrev_b32_e32 v14, 1, v0
	v_lshrrev_b32_e32 v15, 4, v0
	v_add_lshl_u32 v24, v15, v14, 3
	ds_read2_b64 v[14:17], v24 offset1:1
	v_mbcnt_lo_u32_b32 v18, -1, 0
	v_mbcnt_hi_u32_b32 v25, -1, v18
	v_and_b32_e32 v26, 15, v25
	v_and_b32_e32 v30, 16, v25
	s_waitcnt lgkmcnt(0)
	v_cmp_gt_u64_e64 s[4:5], v[14:15], v[16:17]
	v_cndmask_b32_e64 v17, v17, v15, s[4:5]
	v_cndmask_b32_e64 v16, v16, v14, s[4:5]
	v_cmp_ne_u32_e64 s[6:7], 0, v25
	v_mov_b32_dpp v19, v17 row_shr:1 row_mask:0xf bank_mask:0xf
	v_mov_b32_dpp v18, v16 row_shr:1 row_mask:0xf bank_mask:0xf
	v_cmp_gt_u64_e64 s[4:5], v[18:19], v[16:17]
	v_cndmask_b32_e64 v18, v16, v18, s[4:5]
	v_cndmask_b32_e64 v19, v17, v19, s[4:5]
	v_cmp_eq_u32_e64 s[4:5], 0, v26
	v_cndmask_b32_e64 v19, v19, v17, s[4:5]
	v_cndmask_b32_e64 v18, v18, v16, s[4:5]
	s_nop 0
	v_mov_b32_dpp v21, v19 row_shr:2 row_mask:0xf bank_mask:0xf
	v_mov_b32_dpp v20, v18 row_shr:2 row_mask:0xf bank_mask:0xf
	v_cmp_gt_u64_e64 s[4:5], v[20:21], v[18:19]
	v_cndmask_b32_e64 v20, v18, v20, s[4:5]
	v_cndmask_b32_e64 v21, v19, v21, s[4:5]
	v_cmp_lt_u32_e64 s[4:5], 1, v26
	v_cndmask_b32_e64 v19, v19, v21, s[4:5]
	v_cndmask_b32_e64 v18, v18, v20, s[4:5]
	s_nop 0
	v_mov_b32_dpp v21, v19 row_shr:4 row_mask:0xf bank_mask:0xf
	v_mov_b32_dpp v20, v18 row_shr:4 row_mask:0xf bank_mask:0xf
	v_cmp_gt_u64_e64 s[4:5], v[20:21], v[18:19]
	v_cndmask_b32_e64 v20, v18, v20, s[4:5]
	v_cndmask_b32_e64 v21, v19, v21, s[4:5]
	v_cmp_lt_u32_e64 s[4:5], 3, v26
	;; [unrolled: 9-line block ×3, first 2 shown]
	v_cndmask_b32_e64 v19, v19, v21, s[4:5]
	v_cndmask_b32_e64 v18, v18, v20, s[4:5]
	s_nop 0
	v_mov_b32_dpp v21, v19 row_bcast:15 row_mask:0xf bank_mask:0xf
	v_mov_b32_dpp v20, v18 row_bcast:15 row_mask:0xf bank_mask:0xf
	v_cmp_gt_u64_e64 s[4:5], v[20:21], v[18:19]
	v_cndmask_b32_e64 v26, v19, v21, s[4:5]
	v_cndmask_b32_e64 v27, v18, v20, s[4:5]
	v_cmp_eq_u32_e64 s[4:5], 0, v30
	v_cndmask_b32_e64 v21, v26, v19, s[4:5]
	v_cndmask_b32_e64 v20, v27, v18, s[4:5]
	s_nop 0
	v_mov_b32_dpp v21, v21 row_bcast:31 row_mask:0xf bank_mask:0xf
	v_mov_b32_dpp v20, v20 row_bcast:31 row_mask:0xf bank_mask:0xf
	s_and_saveexec_b64 s[10:11], s[6:7]
; %bb.25:
	v_cndmask_b32_e64 v17, v26, v19, s[4:5]
	v_cndmask_b32_e64 v16, v27, v18, s[4:5]
	v_cmp_lt_u32_e64 s[6:7], 31, v25
	v_cmp_gt_u64_e64 s[4:5], v[20:21], v[16:17]
	s_and_b64 s[4:5], s[6:7], s[4:5]
	v_cndmask_b32_e64 v16, v16, v20, s[4:5]
	v_cndmask_b32_e64 v17, v17, v21, s[4:5]
; %bb.26:
	s_or_b64 exec, exec, s[10:11]
	v_add_u32_e32 v18, -1, v25
	v_and_b32_e32 v19, 64, v25
	v_cmp_lt_i32_e64 s[4:5], v18, v19
	v_cndmask_b32_e64 v18, v18, v25, s[4:5]
	v_lshlrev_b32_e32 v18, 2, v18
	ds_bpermute_b32 v16, v18, v16
	ds_bpermute_b32 v17, v18, v17
	; wave barrier
	s_waitcnt lgkmcnt(0)
	v_cmp_gt_u64_e64 s[4:5], v[16:17], v[14:15]
	v_cndmask_b32_e64 v14, v14, v16, s[4:5]
	v_cndmask_b32_e64 v15, v15, v17, s[4:5]
	v_cndmask_b32_e64 v15, v15, v23, s[2:3]
	v_cndmask_b32_e64 v14, v14, v22, s[2:3]
	ds_write_b64 v24, v[14:15]
	; wave barrier
	ds_read_b64 v[16:17], v24 offset:8
	s_waitcnt lgkmcnt(0)
	v_cmp_gt_u64_e64 s[4:5], v[14:15], v[16:17]
	v_cndmask_b32_e64 v15, v17, v15, s[4:5]
	v_cndmask_b32_e64 v14, v16, v14, s[4:5]
	ds_write_b64 v24, v[14:15] offset:8
.LBB3298_27:
	s_or_b64 exec, exec, s[8:9]
	s_waitcnt lgkmcnt(0)
	s_barrier
	s_and_saveexec_b64 s[4:5], s[0:1]
	s_cbranch_execz .LBB3298_29
; %bb.28:
	v_add_u32_e32 v14, -1, v0
	v_lshrrev_b32_e32 v15, 5, v14
	v_add_lshl_u32 v14, v15, v14, 3
	ds_read_b64 v[22:23], v14
.LBB3298_29:
	s_or_b64 exec, exec, s[4:5]
	s_and_saveexec_b64 s[26:27], vcc
	s_cbranch_execz .LBB3298_52
; %bb.30:
	v_mov_b32_e32 v17, 0
	ds_read_b64 v[14:15], v17 offset:1040
	v_mbcnt_lo_u32_b32 v16, -1, 0
	v_mbcnt_hi_u32_b32 v25, -1, v16
	s_mov_b32 s9, 0
	v_cmp_eq_u32_e64 s[4:5], 0, v25
	s_and_saveexec_b64 s[6:7], s[4:5]
	s_cbranch_execz .LBB3298_32
; %bb.31:
	s_add_i32 s8, s30, 64
	s_lshl_b64 s[8:9], s[8:9], 4
	s_add_u32 s8, s14, s8
	s_addc_u32 s9, s15, s9
	v_mov_b32_e32 v16, 1
	v_pk_mov_b32 v[18:19], s[8:9], s[8:9] op_sel:[0,1]
	s_waitcnt lgkmcnt(0)
	;;#ASMSTART
	global_store_dwordx4 v[18:19], v[14:17] off	
s_waitcnt vmcnt(0)
	;;#ASMEND
.LBB3298_32:
	s_or_b64 exec, exec, s[6:7]
	v_xad_u32 v24, v25, -1, s30
	v_add_u32_e32 v16, 64, v24
	v_lshlrev_b64 v[18:19], 4, v[16:17]
	v_mov_b32_e32 v16, s15
	v_add_co_u32_e32 v26, vcc, s14, v18
	v_addc_co_u32_e32 v27, vcc, v16, v19, vcc
	;;#ASMSTART
	global_load_dwordx4 v[18:21], v[26:27] off glc	
s_waitcnt vmcnt(0)
	;;#ASMEND
	v_and_b32_e32 v16, 0xff, v19
	v_and_b32_e32 v21, 0xff00, v19
	v_or3_b32 v16, 0, v16, v21
	v_or3_b32 v18, v18, 0, 0
	v_and_b32_e32 v21, 0xff000000, v19
	v_and_b32_e32 v19, 0xff0000, v19
	v_or3_b32 v19, v16, v19, v21
	v_or3_b32 v18, v18, 0, 0
	v_cmp_eq_u16_sdwa s[8:9], v20, v17 src0_sel:BYTE_0 src1_sel:DWORD
	s_and_saveexec_b64 s[6:7], s[8:9]
	s_cbranch_execz .LBB3298_38
; %bb.33:
	s_mov_b32 s10, 1
	s_mov_b64 s[8:9], 0
	v_mov_b32_e32 v16, 0
.LBB3298_34:                            ; =>This Loop Header: Depth=1
                                        ;     Child Loop BB3298_35 Depth 2
	s_max_u32 s11, s10, 1
.LBB3298_35:                            ;   Parent Loop BB3298_34 Depth=1
                                        ; =>  This Inner Loop Header: Depth=2
	s_add_i32 s11, s11, -1
	s_cmp_eq_u32 s11, 0
	s_sleep 1
	s_cbranch_scc0 .LBB3298_35
; %bb.36:                               ;   in Loop: Header=BB3298_34 Depth=1
	s_cmp_lt_u32 s10, 32
	s_cselect_b64 s[12:13], -1, 0
	s_cmp_lg_u64 s[12:13], 0
	s_addc_u32 s10, s10, 0
	;;#ASMSTART
	global_load_dwordx4 v[18:21], v[26:27] off glc	
s_waitcnt vmcnt(0)
	;;#ASMEND
	v_cmp_ne_u16_sdwa s[12:13], v20, v16 src0_sel:BYTE_0 src1_sel:DWORD
	s_or_b64 s[8:9], s[12:13], s[8:9]
	s_andn2_b64 exec, exec, s[8:9]
	s_cbranch_execnz .LBB3298_34
; %bb.37:
	s_or_b64 exec, exec, s[8:9]
.LBB3298_38:
	s_or_b64 exec, exec, s[6:7]
	v_and_b32_e32 v33, 63, v25
	v_cmp_ne_u32_e32 vcc, 63, v33
	v_mov_b32_e32 v32, 2
	v_addc_co_u32_e32 v26, vcc, 0, v25, vcc
	v_cmp_eq_u16_sdwa s[6:7], v20, v32 src0_sel:BYTE_0 src1_sel:DWORD
	v_lshlrev_b64 v[16:17], v25, -1
	v_lshlrev_b32_e32 v34, 2, v26
	v_and_b32_e32 v21, s7, v17
	ds_bpermute_b32 v26, v34, v18
	ds_bpermute_b32 v27, v34, v19
	v_or_b32_e32 v21, 0x80000000, v21
	v_and_b32_e32 v30, s6, v16
	v_ffbl_b32_e32 v21, v21
	v_add_u32_e32 v21, 32, v21
	v_ffbl_b32_e32 v30, v30
	v_min_u32_e32 v21, v30, v21
	s_waitcnt lgkmcnt(0)
	v_cmp_gt_u64_e64 s[6:7], v[26:27], v[18:19]
	v_cmp_lt_u32_e32 vcc, v33, v21
	v_cndmask_b32_e64 v26, v18, v26, s[6:7]
	s_and_b64 s[6:7], vcc, s[6:7]
	v_cndmask_b32_e64 v27, v19, v27, s[6:7]
	v_cmp_gt_u32_e64 s[6:7], 62, v33
	v_cndmask_b32_e64 v30, 0, 1, s[6:7]
	v_lshlrev_b32_e32 v30, 1, v30
	v_cndmask_b32_e32 v26, v18, v26, vcc
	v_add_lshl_u32 v35, v30, v25, 2
	ds_bpermute_b32 v30, v35, v26
	ds_bpermute_b32 v31, v35, v27
	v_add_u32_e32 v38, 2, v33
	v_cmp_gt_u32_e64 s[8:9], 56, v33
	v_add_u32_e32 v40, 4, v33
	v_cndmask_b32_e64 v41, 0, 1, s[8:9]
	s_waitcnt lgkmcnt(0)
	v_cmp_gt_u64_e64 s[6:7], v[30:31], v[26:27]
	v_cndmask_b32_e64 v31, v27, v31, s[6:7]
	v_cndmask_b32_e64 v30, v26, v30, s[6:7]
	v_cmp_gt_u32_e64 s[6:7], v38, v21
	v_cndmask_b32_e64 v26, v30, v26, s[6:7]
	v_cndmask_b32_e64 v27, v31, v27, s[6:7]
	v_cmp_gt_u32_e64 s[6:7], 60, v33
	v_cndmask_b32_e64 v30, 0, 1, s[6:7]
	v_lshlrev_b32_e32 v30, 2, v30
	v_add_lshl_u32 v39, v30, v25, 2
	ds_bpermute_b32 v30, v39, v26
	ds_bpermute_b32 v31, v39, v27
	v_lshlrev_b32_e32 v41, 3, v41
	v_add_lshl_u32 v41, v41, v25, 2
	v_cmp_gt_u32_e64 s[10:11], 48, v33
	v_add_u32_e32 v42, 8, v33
	s_waitcnt lgkmcnt(0)
	v_cmp_gt_u64_e64 s[6:7], v[30:31], v[26:27]
	v_cndmask_b32_e64 v50, v27, v31, s[6:7]
	v_cndmask_b32_e64 v51, v26, v30, s[6:7]
	v_cmp_gt_u32_e64 s[6:7], v40, v21
	v_cndmask_b32_e64 v30, v51, v26, s[6:7]
	v_cndmask_b32_e64 v31, v50, v27, s[6:7]
	ds_bpermute_b32 v44, v41, v30
	ds_bpermute_b32 v45, v41, v31
	v_cndmask_b32_e64 v43, 0, 1, s[10:11]
	v_lshlrev_b32_e32 v43, 4, v43
	v_add_lshl_u32 v43, v43, v25, 2
	v_cmp_gt_u32_e64 s[12:13], 32, v33
	s_waitcnt lgkmcnt(0)
	v_cmp_gt_u64_e64 s[8:9], v[44:45], v[30:31]
	v_cndmask_b32_e64 v52, v31, v45, s[8:9]
	v_cndmask_b32_e64 v53, v30, v44, s[8:9]
	v_cmp_gt_u32_e64 s[8:9], v42, v21
	v_cndmask_b32_e64 v30, v53, v30, s[8:9]
	v_cndmask_b32_e64 v31, v52, v31, s[8:9]
	ds_bpermute_b32 v46, v43, v30
	ds_bpermute_b32 v47, v43, v31
	v_add_u32_e32 v44, 16, v33
	v_cndmask_b32_e64 v45, 0, 1, s[12:13]
	v_lshlrev_b32_e32 v45, 5, v45
	v_add_lshl_u32 v45, v45, v25, 2
	s_waitcnt lgkmcnt(0)
	v_cmp_gt_u64_e64 s[10:11], v[46:47], v[30:31]
	v_cndmask_b32_e64 v47, v31, v47, s[10:11]
	v_cndmask_b32_e64 v54, v30, v46, s[10:11]
	v_cmp_gt_u32_e64 s[10:11], v44, v21
	v_cndmask_b32_e64 v30, v54, v30, s[10:11]
	v_cndmask_b32_e64 v31, v47, v31, s[10:11]
	ds_bpermute_b32 v48, v45, v30
	ds_bpermute_b32 v49, v45, v31
	v_cndmask_b32_e32 v19, v19, v27, vcc
	v_cndmask_b32_e32 v18, v18, v26, vcc
	v_cndmask_b32_e64 v18, v51, v18, s[6:7]
	v_cndmask_b32_e64 v19, v50, v19, s[6:7]
	v_add_u32_e32 v46, 32, v33
	s_waitcnt lgkmcnt(0)
	v_cmp_gt_u64_e64 s[12:13], v[48:49], v[30:31]
	v_cndmask_b32_e64 v19, v52, v19, s[8:9]
	v_cndmask_b32_e64 v18, v53, v18, s[8:9]
	;; [unrolled: 1-line block ×6, first 2 shown]
	v_cmp_gt_u32_e32 vcc, v46, v21
	v_cndmask_b32_e32 v19, v30, v19, vcc
	v_cndmask_b32_e32 v18, v25, v18, vcc
	v_mov_b32_e32 v25, 0
	s_branch .LBB3298_40
.LBB3298_39:                            ;   in Loop: Header=BB3298_40 Depth=1
	s_or_b64 exec, exec, s[6:7]
	v_cmp_eq_u16_sdwa s[6:7], v20, v32 src0_sel:BYTE_0 src1_sel:DWORD
	v_and_b32_e32 v21, s7, v17
	ds_bpermute_b32 v30, v34, v18
	ds_bpermute_b32 v31, v34, v19
	v_or_b32_e32 v21, 0x80000000, v21
	v_and_b32_e32 v47, s6, v16
	v_ffbl_b32_e32 v21, v21
	v_add_u32_e32 v21, 32, v21
	v_ffbl_b32_e32 v47, v47
	v_min_u32_e32 v21, v47, v21
	s_waitcnt lgkmcnt(0)
	v_cmp_gt_u64_e32 vcc, v[30:31], v[18:19]
	v_cmp_lt_u32_e64 s[6:7], v33, v21
	v_cndmask_b32_e32 v30, v18, v30, vcc
	s_and_b64 vcc, s[6:7], vcc
	v_cndmask_b32_e64 v30, v18, v30, s[6:7]
	v_cndmask_b32_e32 v31, v19, v31, vcc
	ds_bpermute_b32 v48, v35, v30
	ds_bpermute_b32 v49, v35, v31
	v_subrev_u32_e32 v24, 64, v24
	s_waitcnt lgkmcnt(0)
	v_cmp_gt_u64_e32 vcc, v[48:49], v[30:31]
	v_cndmask_b32_e32 v47, v31, v49, vcc
	v_cndmask_b32_e32 v48, v30, v48, vcc
	v_cmp_gt_u32_e32 vcc, v38, v21
	v_cndmask_b32_e32 v30, v48, v30, vcc
	v_cndmask_b32_e32 v31, v47, v31, vcc
	ds_bpermute_b32 v48, v39, v30
	ds_bpermute_b32 v49, v39, v31
	v_cndmask_b32_e64 v19, v19, v31, s[6:7]
	v_cndmask_b32_e64 v18, v18, v30, s[6:7]
	s_waitcnt lgkmcnt(0)
	v_cmp_gt_u64_e32 vcc, v[48:49], v[30:31]
	v_cndmask_b32_e32 v47, v31, v49, vcc
	v_cndmask_b32_e32 v52, v30, v48, vcc
	v_cmp_gt_u32_e32 vcc, v40, v21
	v_cndmask_b32_e32 v48, v52, v30, vcc
	v_cndmask_b32_e32 v49, v47, v31, vcc
	ds_bpermute_b32 v50, v41, v48
	ds_bpermute_b32 v51, v41, v49
	v_cndmask_b32_e32 v18, v52, v18, vcc
	v_cndmask_b32_e32 v19, v47, v19, vcc
	v_cmp_gt_u32_e32 vcc, v46, v21
	s_waitcnt lgkmcnt(0)
	v_cmp_gt_u64_e64 s[8:9], v[50:51], v[48:49]
	v_cndmask_b32_e64 v53, v49, v51, s[8:9]
	v_cndmask_b32_e64 v54, v48, v50, s[8:9]
	v_cmp_gt_u32_e64 s[8:9], v42, v21
	v_cndmask_b32_e64 v48, v54, v48, s[8:9]
	v_cndmask_b32_e64 v49, v53, v49, s[8:9]
	ds_bpermute_b32 v50, v43, v48
	ds_bpermute_b32 v51, v43, v49
	v_cndmask_b32_e64 v19, v53, v19, s[8:9]
	v_cndmask_b32_e64 v18, v54, v18, s[8:9]
	s_waitcnt lgkmcnt(0)
	v_cmp_gt_u64_e64 s[10:11], v[50:51], v[48:49]
	v_cndmask_b32_e64 v55, v49, v51, s[10:11]
	v_cndmask_b32_e64 v56, v48, v50, s[10:11]
	v_cmp_gt_u32_e64 s[10:11], v44, v21
	v_cndmask_b32_e64 v48, v56, v48, s[10:11]
	v_cndmask_b32_e64 v49, v55, v49, s[10:11]
	ds_bpermute_b32 v50, v45, v48
	ds_bpermute_b32 v51, v45, v49
	v_cndmask_b32_e64 v18, v56, v18, s[10:11]
	v_cndmask_b32_e64 v19, v55, v19, s[10:11]
	s_waitcnt lgkmcnt(0)
	v_cmp_gt_u64_e64 s[12:13], v[50:51], v[48:49]
	v_cndmask_b32_e64 v48, v48, v50, s[12:13]
	v_cndmask_b32_e64 v49, v49, v51, s[12:13]
	v_cndmask_b32_e32 v19, v49, v19, vcc
	v_cndmask_b32_e32 v18, v48, v18, vcc
	v_cmp_gt_u64_e32 vcc, v[18:19], v[26:27]
	v_cndmask_b32_e32 v19, v27, v19, vcc
	v_cndmask_b32_e32 v18, v26, v18, vcc
.LBB3298_40:                            ; =>This Loop Header: Depth=1
                                        ;     Child Loop BB3298_43 Depth 2
                                        ;       Child Loop BB3298_44 Depth 3
	v_cmp_ne_u16_sdwa s[6:7], v20, v32 src0_sel:BYTE_0 src1_sel:DWORD
	v_cndmask_b32_e64 v20, 0, 1, s[6:7]
	;;#ASMSTART
	;;#ASMEND
	v_cmp_ne_u32_e32 vcc, 0, v20
	s_cmp_lg_u64 vcc, exec
	v_pk_mov_b32 v[26:27], v[18:19], v[18:19] op_sel:[0,1]
	s_cbranch_scc1 .LBB3298_47
; %bb.41:                               ;   in Loop: Header=BB3298_40 Depth=1
	v_lshlrev_b64 v[18:19], 4, v[24:25]
	v_mov_b32_e32 v20, s15
	v_add_co_u32_e32 v30, vcc, s14, v18
	v_addc_co_u32_e32 v31, vcc, v20, v19, vcc
	;;#ASMSTART
	global_load_dwordx4 v[18:21], v[30:31] off glc	
s_waitcnt vmcnt(0)
	;;#ASMEND
	v_and_b32_e32 v21, 0xff, v19
	v_and_b32_e32 v47, 0xff00, v19
	v_or3_b32 v21, 0, v21, v47
	v_or3_b32 v18, v18, 0, 0
	v_and_b32_e32 v47, 0xff000000, v19
	v_and_b32_e32 v19, 0xff0000, v19
	v_or3_b32 v19, v21, v19, v47
	v_or3_b32 v18, v18, 0, 0
	v_cmp_eq_u16_sdwa s[8:9], v20, v25 src0_sel:BYTE_0 src1_sel:DWORD
	s_and_saveexec_b64 s[6:7], s[8:9]
	s_cbranch_execz .LBB3298_39
; %bb.42:                               ;   in Loop: Header=BB3298_40 Depth=1
	s_mov_b32 s10, 1
	s_mov_b64 s[8:9], 0
.LBB3298_43:                            ;   Parent Loop BB3298_40 Depth=1
                                        ; =>  This Loop Header: Depth=2
                                        ;       Child Loop BB3298_44 Depth 3
	s_max_u32 s11, s10, 1
.LBB3298_44:                            ;   Parent Loop BB3298_40 Depth=1
                                        ;     Parent Loop BB3298_43 Depth=2
                                        ; =>    This Inner Loop Header: Depth=3
	s_add_i32 s11, s11, -1
	s_cmp_eq_u32 s11, 0
	s_sleep 1
	s_cbranch_scc0 .LBB3298_44
; %bb.45:                               ;   in Loop: Header=BB3298_43 Depth=2
	s_cmp_lt_u32 s10, 32
	s_cselect_b64 s[12:13], -1, 0
	s_cmp_lg_u64 s[12:13], 0
	s_addc_u32 s10, s10, 0
	;;#ASMSTART
	global_load_dwordx4 v[18:21], v[30:31] off glc	
s_waitcnt vmcnt(0)
	;;#ASMEND
	v_cmp_ne_u16_sdwa s[12:13], v20, v25 src0_sel:BYTE_0 src1_sel:DWORD
	s_or_b64 s[8:9], s[12:13], s[8:9]
	s_andn2_b64 exec, exec, s[8:9]
	s_cbranch_execnz .LBB3298_43
; %bb.46:                               ;   in Loop: Header=BB3298_40 Depth=1
	s_or_b64 exec, exec, s[8:9]
	s_branch .LBB3298_39
.LBB3298_47:                            ;   in Loop: Header=BB3298_40 Depth=1
                                        ; implicit-def: $vgpr18_vgpr19
                                        ; implicit-def: $vgpr20
	s_cbranch_execz .LBB3298_40
; %bb.48:
	s_and_saveexec_b64 s[6:7], s[4:5]
	s_cbranch_execz .LBB3298_50
; %bb.49:
	s_add_i32 s4, s30, 64
	s_mov_b32 s5, 0
	s_lshl_b64 s[4:5], s[4:5], 4
	s_add_u32 s4, s14, s4
	v_cmp_gt_u64_e32 vcc, v[26:27], v[14:15]
	s_addc_u32 s5, s15, s5
	v_cndmask_b32_e32 v15, v15, v27, vcc
	v_cndmask_b32_e32 v14, v14, v26, vcc
	v_mov_b32_e32 v16, 2
	v_mov_b32_e32 v17, 0
	v_pk_mov_b32 v[18:19], s[4:5], s[4:5] op_sel:[0,1]
	;;#ASMSTART
	global_store_dwordx4 v[18:19], v[14:17] off	
s_waitcnt vmcnt(0)
	;;#ASMEND
.LBB3298_50:
	s_or_b64 exec, exec, s[6:7]
	s_and_b64 exec, exec, s[2:3]
	s_cbranch_execz .LBB3298_52
; %bb.51:
	v_mov_b32_e32 v14, 0
	ds_write_b64 v14, v[26:27]
.LBB3298_52:
	s_or_b64 exec, exec, s[26:27]
	v_mov_b32_e32 v14, 0
	s_waitcnt lgkmcnt(0)
	s_barrier
	ds_read_b64 v[14:15], v14
	v_cmp_gt_u64_e32 vcc, v[22:23], v[2:3]
	v_cndmask_b32_e32 v16, v2, v22, vcc
	v_cndmask_b32_e32 v17, v3, v23, vcc
	v_cndmask_b32_e64 v17, v17, v3, s[2:3]
	v_cndmask_b32_e64 v16, v16, v2, s[2:3]
	s_waitcnt lgkmcnt(0)
	v_cmp_gt_u64_e32 vcc, v[14:15], v[16:17]
	v_cndmask_b32_e32 v25, v17, v15, vcc
	v_cndmask_b32_e32 v24, v16, v14, vcc
	v_cmp_gt_u64_e32 vcc, v[24:25], v[4:5]
	v_cndmask_b32_e32 v31, v5, v25, vcc
	v_cndmask_b32_e32 v30, v4, v24, vcc
	;; [unrolled: 3-line block ×7, first 2 shown]
	s_branch .LBB3298_67
.LBB3298_53:
                                        ; implicit-def: $vgpr22_vgpr23
                                        ; implicit-def: $vgpr34_vgpr35
                                        ; implicit-def: $vgpr32_vgpr33
                                        ; implicit-def: $vgpr30_vgpr31
                                        ; implicit-def: $vgpr18_vgpr19_vgpr20_vgpr21
                                        ; implicit-def: $vgpr14_vgpr15_vgpr16_vgpr17
                                        ; implicit-def: $vgpr24_vgpr25_vgpr26_vgpr27
	s_cbranch_execz .LBB3298_67
; %bb.54:
	s_cmp_lg_u64 s[20:21], 0
	s_cselect_b64 s[4:5], -1, 0
	s_and_b64 s[6:7], s[2:3], s[4:5]
	s_and_saveexec_b64 s[4:5], s[6:7]
	s_cbranch_execz .LBB3298_56
; %bb.55:
	v_mov_b32_e32 v14, 0
	global_load_dwordx2 v[14:15], v14, s[16:17]
	s_waitcnt vmcnt(0)
	v_cmp_gt_u64_e32 vcc, v[14:15], v[2:3]
	v_cndmask_b32_e32 v3, v3, v15, vcc
	v_cndmask_b32_e32 v2, v2, v14, vcc
.LBB3298_56:
	s_or_b64 exec, exec, s[4:5]
	v_cmp_gt_u64_e32 vcc, v[2:3], v[4:5]
	v_cndmask_b32_e32 v31, v5, v3, vcc
	v_cndmask_b32_e32 v30, v4, v2, vcc
	v_cmp_gt_u64_e32 vcc, v[30:31], v[10:11]
	v_cndmask_b32_e32 v15, v11, v31, vcc
	v_cndmask_b32_e32 v14, v10, v30, vcc
	;; [unrolled: 3-line block ×6, first 2 shown]
	v_add_lshl_u32 v1, v1, v0, 3
	v_cmp_gt_u32_e32 vcc, 64, v0
	ds_write_b64 v1, v[22:23]
	s_waitcnt lgkmcnt(0)
	s_barrier
	s_and_saveexec_b64 s[6:7], vcc
	s_cbranch_execz .LBB3298_60
; %bb.57:
	v_lshlrev_b32_e32 v1, 1, v0
	v_lshrrev_b32_e32 v16, 4, v0
	v_add_lshl_u32 v1, v16, v1, 3
	ds_read2_b64 v[24:27], v1 offset1:1
	v_mbcnt_lo_u32_b32 v16, -1, 0
	v_mbcnt_hi_u32_b32 v38, -1, v16
	v_and_b32_e32 v39, 15, v38
	v_and_b32_e32 v41, 16, v38
	s_waitcnt lgkmcnt(0)
	v_cmp_gt_u64_e32 vcc, v[24:25], v[26:27]
	v_cndmask_b32_e32 v17, v27, v25, vcc
	v_cndmask_b32_e32 v16, v26, v24, vcc
	v_cmp_ne_u32_e64 s[4:5], 0, v38
	v_mov_b32_dpp v21, v17 row_shr:1 row_mask:0xf bank_mask:0xf
	v_mov_b32_dpp v20, v16 row_shr:1 row_mask:0xf bank_mask:0xf
	v_cmp_gt_u64_e32 vcc, v[20:21], v[16:17]
	v_cndmask_b32_e32 v20, v16, v20, vcc
	v_cndmask_b32_e32 v21, v17, v21, vcc
	v_cmp_eq_u32_e32 vcc, 0, v39
	v_cndmask_b32_e32 v21, v21, v17, vcc
	v_cndmask_b32_e32 v20, v20, v16, vcc
	s_nop 0
	v_mov_b32_dpp v27, v21 row_shr:2 row_mask:0xf bank_mask:0xf
	v_mov_b32_dpp v26, v20 row_shr:2 row_mask:0xf bank_mask:0xf
	v_cmp_gt_u64_e32 vcc, v[26:27], v[20:21]
	v_cndmask_b32_e32 v26, v20, v26, vcc
	v_cndmask_b32_e32 v27, v21, v27, vcc
	v_cmp_lt_u32_e32 vcc, 1, v39
	v_cndmask_b32_e32 v21, v21, v27, vcc
	v_cndmask_b32_e32 v20, v20, v26, vcc
	s_nop 0
	v_mov_b32_dpp v27, v21 row_shr:4 row_mask:0xf bank_mask:0xf
	v_mov_b32_dpp v26, v20 row_shr:4 row_mask:0xf bank_mask:0xf
	v_cmp_gt_u64_e32 vcc, v[26:27], v[20:21]
	v_cndmask_b32_e32 v26, v20, v26, vcc
	v_cndmask_b32_e32 v27, v21, v27, vcc
	v_cmp_lt_u32_e32 vcc, 3, v39
	;; [unrolled: 9-line block ×3, first 2 shown]
	v_cndmask_b32_e32 v21, v21, v27, vcc
	v_cndmask_b32_e32 v20, v20, v26, vcc
	s_nop 0
	v_mov_b32_dpp v27, v21 row_bcast:15 row_mask:0xf bank_mask:0xf
	v_mov_b32_dpp v26, v20 row_bcast:15 row_mask:0xf bank_mask:0xf
	v_cmp_gt_u64_e32 vcc, v[26:27], v[20:21]
	v_cndmask_b32_e32 v39, v21, v27, vcc
	v_cndmask_b32_e32 v40, v20, v26, vcc
	v_cmp_eq_u32_e32 vcc, 0, v41
	v_cndmask_b32_e32 v27, v39, v21, vcc
	v_cndmask_b32_e32 v26, v40, v20, vcc
	s_nop 0
	v_mov_b32_dpp v27, v27 row_bcast:31 row_mask:0xf bank_mask:0xf
	v_mov_b32_dpp v26, v26 row_bcast:31 row_mask:0xf bank_mask:0xf
	s_and_saveexec_b64 s[8:9], s[4:5]
; %bb.58:
	v_cndmask_b32_e32 v17, v39, v21, vcc
	v_cndmask_b32_e32 v16, v40, v20, vcc
	v_cmp_lt_u32_e64 s[4:5], 31, v38
	v_cmp_gt_u64_e32 vcc, v[26:27], v[16:17]
	s_and_b64 vcc, s[4:5], vcc
	v_cndmask_b32_e32 v16, v16, v26, vcc
	v_cndmask_b32_e32 v17, v17, v27, vcc
; %bb.59:
	s_or_b64 exec, exec, s[8:9]
	v_add_u32_e32 v20, -1, v38
	v_and_b32_e32 v21, 64, v38
	v_cmp_lt_i32_e32 vcc, v20, v21
	v_cndmask_b32_e32 v20, v20, v38, vcc
	v_lshlrev_b32_e32 v20, 2, v20
	ds_bpermute_b32 v16, v20, v16
	ds_bpermute_b32 v17, v20, v17
	; wave barrier
	s_waitcnt lgkmcnt(0)
	v_cmp_gt_u64_e32 vcc, v[16:17], v[24:25]
	v_cndmask_b32_e32 v16, v24, v16, vcc
	v_cndmask_b32_e32 v17, v25, v17, vcc
	v_cndmask_b32_e64 v17, v17, v23, s[2:3]
	v_cndmask_b32_e64 v16, v16, v22, s[2:3]
	ds_write_b64 v1, v[16:17]
	; wave barrier
	ds_read_b64 v[20:21], v1 offset:8
	s_waitcnt lgkmcnt(0)
	v_cmp_gt_u64_e32 vcc, v[16:17], v[20:21]
	v_cndmask_b32_e32 v17, v21, v17, vcc
	v_cndmask_b32_e32 v16, v20, v16, vcc
	ds_write_b64 v1, v[16:17] offset:8
.LBB3298_60:
	s_or_b64 exec, exec, s[6:7]
	v_pk_mov_b32 v[16:17], v[22:23], v[22:23] op_sel:[0,1]
	s_waitcnt lgkmcnt(0)
	s_barrier
	s_and_saveexec_b64 s[2:3], s[0:1]
	s_cbranch_execz .LBB3298_62
; %bb.61:
	v_add_u32_e32 v1, -1, v0
	v_lshrrev_b32_e32 v16, 5, v1
	v_add_lshl_u32 v1, v16, v1, 3
	ds_read_b64 v[16:17], v1
.LBB3298_62:
	s_or_b64 exec, exec, s[2:3]
	s_and_saveexec_b64 s[2:3], s[0:1]
	s_cbranch_execz .LBB3298_64
; %bb.63:
	s_waitcnt lgkmcnt(0)
	v_cmp_gt_u64_e32 vcc, v[16:17], v[2:3]
	v_cndmask_b32_e32 v3, v3, v17, vcc
	v_cndmask_b32_e32 v2, v2, v16, vcc
	v_cmp_gt_u64_e32 vcc, v[2:3], v[4:5]
	v_cndmask_b32_e32 v31, v5, v3, vcc
	v_cndmask_b32_e32 v30, v4, v2, vcc
	;; [unrolled: 3-line block ×7, first 2 shown]
	;;#ASMSTART
	;;#ASMEND
.LBB3298_64:
	s_or_b64 exec, exec, s[2:3]
	s_movk_i32 s0, 0x7f
	v_cmp_eq_u32_e32 vcc, s0, v0
	s_and_saveexec_b64 s[0:1], vcc
	s_cbranch_execz .LBB3298_66
; %bb.65:
	s_add_u32 s2, s14, 0x400
	s_addc_u32 s3, s15, 0
	v_mov_b32_e32 v24, 2
	v_mov_b32_e32 v25, 0
	v_pk_mov_b32 v[4:5], s[2:3], s[2:3] op_sel:[0,1]
	;;#ASMSTART
	global_store_dwordx4 v[4:5], v[22:25] off	
s_waitcnt vmcnt(0)
	;;#ASMEND
.LBB3298_66:
	s_or_b64 exec, exec, s[0:1]
	v_pk_mov_b32 v[24:25], v[2:3], v[2:3] op_sel:[0,1]
.LBB3298_67:
	s_mov_b64 s[0:1], -1
	s_and_b64 vcc, exec, s[24:25]
	s_waitcnt lgkmcnt(0)
	s_barrier
	ds_write2_b64 v37, v[24:25], v[30:31] offset1:1
	ds_write2_b64 v37, v[14:15], v[32:33] offset0:2 offset1:3
	ds_write2_b64 v37, v[18:19], v[34:35] offset0:4 offset1:5
	ds_write_b64 v37, v[22:23] offset:48
	s_waitcnt lgkmcnt(0)
	s_cbranch_vccz .LBB3298_69
; %bb.68:
	s_barrier
	s_mov_b64 s[0:1], 0
.LBB3298_69:
	s_andn2_b64 vcc, exec, s[0:1]
	s_cbranch_vccnz .LBB3298_94
; %bb.70:
	v_cmp_lt_u64_e64 s[0:1], s[22:23], 2
	s_and_b64 vcc, exec, s[0:1]
	s_barrier
	s_cbranch_vccnz .LBB3298_94
; %bb.71:
	s_add_u32 s0, s28, -1
	s_addc_u32 s1, s29, -1
	s_add_u32 s2, 0, 0x92481000
	s_addc_u32 s3, 0, 0x64
	s_add_i32 s3, s3, 0x249248c0
	s_mul_hi_u32 s7, s2, -7
	s_sub_i32 s7, s7, s2
	s_mul_i32 s8, s3, -7
	s_mul_i32 s4, s2, -7
	s_add_i32 s7, s7, s8
	s_mul_hi_u32 s5, s3, s4
	s_mul_i32 s6, s3, s4
	s_mul_i32 s9, s2, s7
	s_mul_hi_u32 s4, s2, s4
	s_mul_hi_u32 s8, s2, s7
	s_add_u32 s4, s4, s9
	s_addc_u32 s8, 0, s8
	s_add_u32 s4, s4, s6
	s_mul_hi_u32 s9, s3, s7
	s_addc_u32 s4, s8, s5
	s_addc_u32 s5, s9, 0
	s_mul_i32 s6, s3, s7
	s_add_u32 s4, s4, s6
	v_mov_b32_e32 v2, s4
	s_addc_u32 s5, 0, s5
	v_add_co_u32_e32 v2, vcc, s2, v2
	s_cmp_lg_u64 vcc, 0
	s_addc_u32 s2, s3, s5
	v_readfirstlane_b32 s5, v2
	s_mul_i32 s4, s0, s2
	s_mul_hi_u32 s6, s0, s5
	s_mul_hi_u32 s3, s0, s2
	s_add_u32 s4, s6, s4
	s_addc_u32 s3, 0, s3
	s_mul_hi_u32 s7, s1, s5
	s_mul_i32 s5, s1, s5
	s_add_u32 s4, s4, s5
	s_mul_hi_u32 s6, s1, s2
	s_addc_u32 s3, s3, s7
	s_addc_u32 s4, s6, 0
	s_mul_i32 s2, s1, s2
	s_add_u32 s2, s3, s2
	s_addc_u32 s3, 0, s4
	s_add_u32 s4, s2, 1
	s_addc_u32 s5, s3, 0
	s_add_u32 s6, s2, 2
	s_mul_i32 s8, s3, 7
	s_mul_hi_u32 s9, s2, 7
	s_addc_u32 s7, s3, 0
	s_add_i32 s9, s9, s8
	s_mul_i32 s8, s2, 7
	v_mov_b32_e32 v2, s8
	v_sub_co_u32_e32 v2, vcc, s0, v2
	s_cmp_lg_u64 vcc, 0
	s_subb_u32 s8, s1, s9
	v_subrev_co_u32_e32 v3, vcc, 7, v2
	s_cmp_lg_u64 vcc, 0
	s_subb_u32 s9, s8, 0
	v_readfirstlane_b32 s10, v3
	s_cmp_gt_u32 s10, 6
	s_cselect_b32 s10, -1, 0
	s_cmp_eq_u32 s9, 0
	s_cselect_b32 s9, s10, -1
	s_cmp_lg_u32 s9, 0
	s_cselect_b32 s4, s6, s4
	v_readfirstlane_b32 s6, v2
	s_cselect_b32 s5, s7, s5
	s_cmp_gt_u32 s6, 6
	s_cselect_b32 s6, -1, 0
	s_cmp_eq_u32 s8, 0
	s_cselect_b32 s6, s6, -1
	s_cmp_lg_u32 s6, 0
	v_mov_b32_e32 v1, 0
	s_cselect_b32 s3, s5, s3
	s_cselect_b32 s2, s4, s2
	v_cmp_eq_u64_e32 vcc, s[2:3], v[0:1]
	s_and_saveexec_b64 s[2:3], vcc
	s_cbranch_execz .LBB3298_94
; %bb.72:
	s_movk_i32 s2, 0xffd0
	v_mad_i32_i24 v2, v0, s2, v37
	v_mul_hi_u32_u24_e32 v1, 7, v0
	v_mov_b32_e32 v3, s1
	v_sub_co_u32_e32 v0, vcc, s0, v36
	v_subb_co_u32_e32 v1, vcc, v3, v1, vcc
	v_cmp_lt_i64_e32 vcc, 3, v[0:1]
	s_and_saveexec_b64 s[0:1], vcc
	s_xor_b64 s[0:1], exec, s[0:1]
	s_cbranch_execz .LBB3298_82
; %bb.73:
	v_cmp_lt_i64_e32 vcc, 4, v[0:1]
	s_and_saveexec_b64 s[2:3], vcc
	s_xor_b64 s[2:3], exec, s[2:3]
	s_cbranch_execz .LBB3298_79
; %bb.74:
	;; [unrolled: 5-line block ×3, first 2 shown]
	ds_read_b64 v[0:1], v2 offset:6144
	v_mov_b32_e32 v2, 0
	s_waitcnt lgkmcnt(0)
	global_store_dwordx2 v2, v[0:1], s[18:19]
                                        ; implicit-def: $vgpr2
.LBB3298_76:
	s_andn2_saveexec_b64 s[4:5], s[4:5]
	s_cbranch_execz .LBB3298_78
; %bb.77:
	ds_read_b64 v[0:1], v2 offset:5120
	v_mov_b32_e32 v2, 0
	s_waitcnt lgkmcnt(0)
	global_store_dwordx2 v2, v[0:1], s[18:19]
.LBB3298_78:
	s_or_b64 exec, exec, s[4:5]
                                        ; implicit-def: $vgpr2
.LBB3298_79:
	s_andn2_saveexec_b64 s[2:3], s[2:3]
	s_cbranch_execz .LBB3298_81
; %bb.80:
	ds_read_b64 v[0:1], v2 offset:4096
	v_mov_b32_e32 v2, 0
	s_waitcnt lgkmcnt(0)
	global_store_dwordx2 v2, v[0:1], s[18:19]
.LBB3298_81:
	s_or_b64 exec, exec, s[2:3]
                                        ; implicit-def: $vgpr0_vgpr1
                                        ; implicit-def: $vgpr2
.LBB3298_82:
	s_andn2_saveexec_b64 s[0:1], s[0:1]
	s_cbranch_execz .LBB3298_94
; %bb.83:
	v_cmp_lt_i64_e32 vcc, 1, v[0:1]
	s_and_saveexec_b64 s[0:1], vcc
	s_xor_b64 s[0:1], exec, s[0:1]
	s_cbranch_execz .LBB3298_89
; %bb.84:
	v_cmp_lt_i64_e32 vcc, 2, v[0:1]
	s_and_saveexec_b64 s[2:3], vcc
	s_xor_b64 s[2:3], exec, s[2:3]
	s_cbranch_execz .LBB3298_86
; %bb.85:
	ds_read_b64 v[0:1], v2 offset:3072
	v_mov_b32_e32 v2, 0
	s_waitcnt lgkmcnt(0)
	global_store_dwordx2 v2, v[0:1], s[18:19]
                                        ; implicit-def: $vgpr2
.LBB3298_86:
	s_andn2_saveexec_b64 s[2:3], s[2:3]
	s_cbranch_execz .LBB3298_88
; %bb.87:
	ds_read_b64 v[0:1], v2 offset:2048
	v_mov_b32_e32 v2, 0
	s_waitcnt lgkmcnt(0)
	global_store_dwordx2 v2, v[0:1], s[18:19]
.LBB3298_88:
	s_or_b64 exec, exec, s[2:3]
                                        ; implicit-def: $vgpr2
                                        ; implicit-def: $vgpr0_vgpr1
.LBB3298_89:
	s_andn2_saveexec_b64 s[0:1], s[0:1]
	s_cbranch_execz .LBB3298_94
; %bb.90:
	v_cmp_ne_u64_e32 vcc, 1, v[0:1]
	s_and_saveexec_b64 s[0:1], vcc
	s_xor_b64 s[0:1], exec, s[0:1]
	s_cbranch_execz .LBB3298_92
; %bb.91:
	ds_read_b64 v[0:1], v2
	v_mov_b32_e32 v2, 0
	s_waitcnt lgkmcnt(0)
	global_store_dwordx2 v2, v[0:1], s[18:19]
                                        ; implicit-def: $vgpr2
.LBB3298_92:
	s_andn2_saveexec_b64 s[0:1], s[0:1]
	s_cbranch_execz .LBB3298_94
; %bb.93:
	ds_read_b64 v[0:1], v2 offset:1024
	v_mov_b32_e32 v2, 0
	s_waitcnt lgkmcnt(0)
	global_store_dwordx2 v2, v[0:1], s[18:19]
.LBB3298_94:
	s_endpgm
	.section	.rodata,"a",@progbits
	.p2align	6, 0x0
	.amdhsa_kernel _ZN7rocprim17ROCPRIM_400000_NS6detail17trampoline_kernelINS0_14default_configENS1_20scan_config_selectorIyEEZZNS1_9scan_implILNS1_25lookback_scan_determinismE0ELb0ELb0ES3_N6thrust23THRUST_200600_302600_NS6detail15normal_iteratorINS9_10device_ptrIyEEEENS9_16discard_iteratorINS9_11use_defaultEEEy11max_functorIyEyEEDaPvRmT3_T4_T5_mT6_P12ihipStream_tbENKUlT_T0_E_clISt17integral_constantIbLb1EESX_EEDaSS_ST_EUlSS_E_NS1_11comp_targetILNS1_3genE4ELNS1_11target_archE910ELNS1_3gpuE8ELNS1_3repE0EEENS1_30default_config_static_selectorELNS0_4arch9wavefront6targetE1EEEvT1_
		.amdhsa_group_segment_fixed_size 7168
		.amdhsa_private_segment_fixed_size 0
		.amdhsa_kernarg_size 112
		.amdhsa_user_sgpr_count 6
		.amdhsa_user_sgpr_private_segment_buffer 1
		.amdhsa_user_sgpr_dispatch_ptr 0
		.amdhsa_user_sgpr_queue_ptr 0
		.amdhsa_user_sgpr_kernarg_segment_ptr 1
		.amdhsa_user_sgpr_dispatch_id 0
		.amdhsa_user_sgpr_flat_scratch_init 0
		.amdhsa_user_sgpr_kernarg_preload_length 0
		.amdhsa_user_sgpr_kernarg_preload_offset 0
		.amdhsa_user_sgpr_private_segment_size 0
		.amdhsa_uses_dynamic_stack 0
		.amdhsa_system_sgpr_private_segment_wavefront_offset 0
		.amdhsa_system_sgpr_workgroup_id_x 1
		.amdhsa_system_sgpr_workgroup_id_y 0
		.amdhsa_system_sgpr_workgroup_id_z 0
		.amdhsa_system_sgpr_workgroup_info 0
		.amdhsa_system_vgpr_workitem_id 0
		.amdhsa_next_free_vgpr 57
		.amdhsa_next_free_sgpr 31
		.amdhsa_accum_offset 60
		.amdhsa_reserve_vcc 1
		.amdhsa_reserve_flat_scratch 0
		.amdhsa_float_round_mode_32 0
		.amdhsa_float_round_mode_16_64 0
		.amdhsa_float_denorm_mode_32 3
		.amdhsa_float_denorm_mode_16_64 3
		.amdhsa_dx10_clamp 1
		.amdhsa_ieee_mode 1
		.amdhsa_fp16_overflow 0
		.amdhsa_tg_split 0
		.amdhsa_exception_fp_ieee_invalid_op 0
		.amdhsa_exception_fp_denorm_src 0
		.amdhsa_exception_fp_ieee_div_zero 0
		.amdhsa_exception_fp_ieee_overflow 0
		.amdhsa_exception_fp_ieee_underflow 0
		.amdhsa_exception_fp_ieee_inexact 0
		.amdhsa_exception_int_div_zero 0
	.end_amdhsa_kernel
	.section	.text._ZN7rocprim17ROCPRIM_400000_NS6detail17trampoline_kernelINS0_14default_configENS1_20scan_config_selectorIyEEZZNS1_9scan_implILNS1_25lookback_scan_determinismE0ELb0ELb0ES3_N6thrust23THRUST_200600_302600_NS6detail15normal_iteratorINS9_10device_ptrIyEEEENS9_16discard_iteratorINS9_11use_defaultEEEy11max_functorIyEyEEDaPvRmT3_T4_T5_mT6_P12ihipStream_tbENKUlT_T0_E_clISt17integral_constantIbLb1EESX_EEDaSS_ST_EUlSS_E_NS1_11comp_targetILNS1_3genE4ELNS1_11target_archE910ELNS1_3gpuE8ELNS1_3repE0EEENS1_30default_config_static_selectorELNS0_4arch9wavefront6targetE1EEEvT1_,"axG",@progbits,_ZN7rocprim17ROCPRIM_400000_NS6detail17trampoline_kernelINS0_14default_configENS1_20scan_config_selectorIyEEZZNS1_9scan_implILNS1_25lookback_scan_determinismE0ELb0ELb0ES3_N6thrust23THRUST_200600_302600_NS6detail15normal_iteratorINS9_10device_ptrIyEEEENS9_16discard_iteratorINS9_11use_defaultEEEy11max_functorIyEyEEDaPvRmT3_T4_T5_mT6_P12ihipStream_tbENKUlT_T0_E_clISt17integral_constantIbLb1EESX_EEDaSS_ST_EUlSS_E_NS1_11comp_targetILNS1_3genE4ELNS1_11target_archE910ELNS1_3gpuE8ELNS1_3repE0EEENS1_30default_config_static_selectorELNS0_4arch9wavefront6targetE1EEEvT1_,comdat
.Lfunc_end3298:
	.size	_ZN7rocprim17ROCPRIM_400000_NS6detail17trampoline_kernelINS0_14default_configENS1_20scan_config_selectorIyEEZZNS1_9scan_implILNS1_25lookback_scan_determinismE0ELb0ELb0ES3_N6thrust23THRUST_200600_302600_NS6detail15normal_iteratorINS9_10device_ptrIyEEEENS9_16discard_iteratorINS9_11use_defaultEEEy11max_functorIyEyEEDaPvRmT3_T4_T5_mT6_P12ihipStream_tbENKUlT_T0_E_clISt17integral_constantIbLb1EESX_EEDaSS_ST_EUlSS_E_NS1_11comp_targetILNS1_3genE4ELNS1_11target_archE910ELNS1_3gpuE8ELNS1_3repE0EEENS1_30default_config_static_selectorELNS0_4arch9wavefront6targetE1EEEvT1_, .Lfunc_end3298-_ZN7rocprim17ROCPRIM_400000_NS6detail17trampoline_kernelINS0_14default_configENS1_20scan_config_selectorIyEEZZNS1_9scan_implILNS1_25lookback_scan_determinismE0ELb0ELb0ES3_N6thrust23THRUST_200600_302600_NS6detail15normal_iteratorINS9_10device_ptrIyEEEENS9_16discard_iteratorINS9_11use_defaultEEEy11max_functorIyEyEEDaPvRmT3_T4_T5_mT6_P12ihipStream_tbENKUlT_T0_E_clISt17integral_constantIbLb1EESX_EEDaSS_ST_EUlSS_E_NS1_11comp_targetILNS1_3genE4ELNS1_11target_archE910ELNS1_3gpuE8ELNS1_3repE0EEENS1_30default_config_static_selectorELNS0_4arch9wavefront6targetE1EEEvT1_
                                        ; -- End function
	.section	.AMDGPU.csdata,"",@progbits
; Kernel info:
; codeLenInByte = 5456
; NumSgprs: 35
; NumVgprs: 57
; NumAgprs: 0
; TotalNumVgprs: 57
; ScratchSize: 0
; MemoryBound: 0
; FloatMode: 240
; IeeeMode: 1
; LDSByteSize: 7168 bytes/workgroup (compile time only)
; SGPRBlocks: 4
; VGPRBlocks: 7
; NumSGPRsForWavesPerEU: 35
; NumVGPRsForWavesPerEU: 57
; AccumOffset: 60
; Occupancy: 5
; WaveLimiterHint : 1
; COMPUTE_PGM_RSRC2:SCRATCH_EN: 0
; COMPUTE_PGM_RSRC2:USER_SGPR: 6
; COMPUTE_PGM_RSRC2:TRAP_HANDLER: 0
; COMPUTE_PGM_RSRC2:TGID_X_EN: 1
; COMPUTE_PGM_RSRC2:TGID_Y_EN: 0
; COMPUTE_PGM_RSRC2:TGID_Z_EN: 0
; COMPUTE_PGM_RSRC2:TIDIG_COMP_CNT: 0
; COMPUTE_PGM_RSRC3_GFX90A:ACCUM_OFFSET: 14
; COMPUTE_PGM_RSRC3_GFX90A:TG_SPLIT: 0
	.section	.text._ZN7rocprim17ROCPRIM_400000_NS6detail17trampoline_kernelINS0_14default_configENS1_20scan_config_selectorIyEEZZNS1_9scan_implILNS1_25lookback_scan_determinismE0ELb0ELb0ES3_N6thrust23THRUST_200600_302600_NS6detail15normal_iteratorINS9_10device_ptrIyEEEENS9_16discard_iteratorINS9_11use_defaultEEEy11max_functorIyEyEEDaPvRmT3_T4_T5_mT6_P12ihipStream_tbENKUlT_T0_E_clISt17integral_constantIbLb1EESX_EEDaSS_ST_EUlSS_E_NS1_11comp_targetILNS1_3genE3ELNS1_11target_archE908ELNS1_3gpuE7ELNS1_3repE0EEENS1_30default_config_static_selectorELNS0_4arch9wavefront6targetE1EEEvT1_,"axG",@progbits,_ZN7rocprim17ROCPRIM_400000_NS6detail17trampoline_kernelINS0_14default_configENS1_20scan_config_selectorIyEEZZNS1_9scan_implILNS1_25lookback_scan_determinismE0ELb0ELb0ES3_N6thrust23THRUST_200600_302600_NS6detail15normal_iteratorINS9_10device_ptrIyEEEENS9_16discard_iteratorINS9_11use_defaultEEEy11max_functorIyEyEEDaPvRmT3_T4_T5_mT6_P12ihipStream_tbENKUlT_T0_E_clISt17integral_constantIbLb1EESX_EEDaSS_ST_EUlSS_E_NS1_11comp_targetILNS1_3genE3ELNS1_11target_archE908ELNS1_3gpuE7ELNS1_3repE0EEENS1_30default_config_static_selectorELNS0_4arch9wavefront6targetE1EEEvT1_,comdat
	.protected	_ZN7rocprim17ROCPRIM_400000_NS6detail17trampoline_kernelINS0_14default_configENS1_20scan_config_selectorIyEEZZNS1_9scan_implILNS1_25lookback_scan_determinismE0ELb0ELb0ES3_N6thrust23THRUST_200600_302600_NS6detail15normal_iteratorINS9_10device_ptrIyEEEENS9_16discard_iteratorINS9_11use_defaultEEEy11max_functorIyEyEEDaPvRmT3_T4_T5_mT6_P12ihipStream_tbENKUlT_T0_E_clISt17integral_constantIbLb1EESX_EEDaSS_ST_EUlSS_E_NS1_11comp_targetILNS1_3genE3ELNS1_11target_archE908ELNS1_3gpuE7ELNS1_3repE0EEENS1_30default_config_static_selectorELNS0_4arch9wavefront6targetE1EEEvT1_ ; -- Begin function _ZN7rocprim17ROCPRIM_400000_NS6detail17trampoline_kernelINS0_14default_configENS1_20scan_config_selectorIyEEZZNS1_9scan_implILNS1_25lookback_scan_determinismE0ELb0ELb0ES3_N6thrust23THRUST_200600_302600_NS6detail15normal_iteratorINS9_10device_ptrIyEEEENS9_16discard_iteratorINS9_11use_defaultEEEy11max_functorIyEyEEDaPvRmT3_T4_T5_mT6_P12ihipStream_tbENKUlT_T0_E_clISt17integral_constantIbLb1EESX_EEDaSS_ST_EUlSS_E_NS1_11comp_targetILNS1_3genE3ELNS1_11target_archE908ELNS1_3gpuE7ELNS1_3repE0EEENS1_30default_config_static_selectorELNS0_4arch9wavefront6targetE1EEEvT1_
	.globl	_ZN7rocprim17ROCPRIM_400000_NS6detail17trampoline_kernelINS0_14default_configENS1_20scan_config_selectorIyEEZZNS1_9scan_implILNS1_25lookback_scan_determinismE0ELb0ELb0ES3_N6thrust23THRUST_200600_302600_NS6detail15normal_iteratorINS9_10device_ptrIyEEEENS9_16discard_iteratorINS9_11use_defaultEEEy11max_functorIyEyEEDaPvRmT3_T4_T5_mT6_P12ihipStream_tbENKUlT_T0_E_clISt17integral_constantIbLb1EESX_EEDaSS_ST_EUlSS_E_NS1_11comp_targetILNS1_3genE3ELNS1_11target_archE908ELNS1_3gpuE7ELNS1_3repE0EEENS1_30default_config_static_selectorELNS0_4arch9wavefront6targetE1EEEvT1_
	.p2align	8
	.type	_ZN7rocprim17ROCPRIM_400000_NS6detail17trampoline_kernelINS0_14default_configENS1_20scan_config_selectorIyEEZZNS1_9scan_implILNS1_25lookback_scan_determinismE0ELb0ELb0ES3_N6thrust23THRUST_200600_302600_NS6detail15normal_iteratorINS9_10device_ptrIyEEEENS9_16discard_iteratorINS9_11use_defaultEEEy11max_functorIyEyEEDaPvRmT3_T4_T5_mT6_P12ihipStream_tbENKUlT_T0_E_clISt17integral_constantIbLb1EESX_EEDaSS_ST_EUlSS_E_NS1_11comp_targetILNS1_3genE3ELNS1_11target_archE908ELNS1_3gpuE7ELNS1_3repE0EEENS1_30default_config_static_selectorELNS0_4arch9wavefront6targetE1EEEvT1_,@function
_ZN7rocprim17ROCPRIM_400000_NS6detail17trampoline_kernelINS0_14default_configENS1_20scan_config_selectorIyEEZZNS1_9scan_implILNS1_25lookback_scan_determinismE0ELb0ELb0ES3_N6thrust23THRUST_200600_302600_NS6detail15normal_iteratorINS9_10device_ptrIyEEEENS9_16discard_iteratorINS9_11use_defaultEEEy11max_functorIyEyEEDaPvRmT3_T4_T5_mT6_P12ihipStream_tbENKUlT_T0_E_clISt17integral_constantIbLb1EESX_EEDaSS_ST_EUlSS_E_NS1_11comp_targetILNS1_3genE3ELNS1_11target_archE908ELNS1_3gpuE7ELNS1_3repE0EEENS1_30default_config_static_selectorELNS0_4arch9wavefront6targetE1EEEvT1_: ; @_ZN7rocprim17ROCPRIM_400000_NS6detail17trampoline_kernelINS0_14default_configENS1_20scan_config_selectorIyEEZZNS1_9scan_implILNS1_25lookback_scan_determinismE0ELb0ELb0ES3_N6thrust23THRUST_200600_302600_NS6detail15normal_iteratorINS9_10device_ptrIyEEEENS9_16discard_iteratorINS9_11use_defaultEEEy11max_functorIyEyEEDaPvRmT3_T4_T5_mT6_P12ihipStream_tbENKUlT_T0_E_clISt17integral_constantIbLb1EESX_EEDaSS_ST_EUlSS_E_NS1_11comp_targetILNS1_3genE3ELNS1_11target_archE908ELNS1_3gpuE7ELNS1_3repE0EEENS1_30default_config_static_selectorELNS0_4arch9wavefront6targetE1EEEvT1_
; %bb.0:
	.section	.rodata,"a",@progbits
	.p2align	6, 0x0
	.amdhsa_kernel _ZN7rocprim17ROCPRIM_400000_NS6detail17trampoline_kernelINS0_14default_configENS1_20scan_config_selectorIyEEZZNS1_9scan_implILNS1_25lookback_scan_determinismE0ELb0ELb0ES3_N6thrust23THRUST_200600_302600_NS6detail15normal_iteratorINS9_10device_ptrIyEEEENS9_16discard_iteratorINS9_11use_defaultEEEy11max_functorIyEyEEDaPvRmT3_T4_T5_mT6_P12ihipStream_tbENKUlT_T0_E_clISt17integral_constantIbLb1EESX_EEDaSS_ST_EUlSS_E_NS1_11comp_targetILNS1_3genE3ELNS1_11target_archE908ELNS1_3gpuE7ELNS1_3repE0EEENS1_30default_config_static_selectorELNS0_4arch9wavefront6targetE1EEEvT1_
		.amdhsa_group_segment_fixed_size 0
		.amdhsa_private_segment_fixed_size 0
		.amdhsa_kernarg_size 112
		.amdhsa_user_sgpr_count 6
		.amdhsa_user_sgpr_private_segment_buffer 1
		.amdhsa_user_sgpr_dispatch_ptr 0
		.amdhsa_user_sgpr_queue_ptr 0
		.amdhsa_user_sgpr_kernarg_segment_ptr 1
		.amdhsa_user_sgpr_dispatch_id 0
		.amdhsa_user_sgpr_flat_scratch_init 0
		.amdhsa_user_sgpr_kernarg_preload_length 0
		.amdhsa_user_sgpr_kernarg_preload_offset 0
		.amdhsa_user_sgpr_private_segment_size 0
		.amdhsa_uses_dynamic_stack 0
		.amdhsa_system_sgpr_private_segment_wavefront_offset 0
		.amdhsa_system_sgpr_workgroup_id_x 1
		.amdhsa_system_sgpr_workgroup_id_y 0
		.amdhsa_system_sgpr_workgroup_id_z 0
		.amdhsa_system_sgpr_workgroup_info 0
		.amdhsa_system_vgpr_workitem_id 0
		.amdhsa_next_free_vgpr 1
		.amdhsa_next_free_sgpr 0
		.amdhsa_accum_offset 4
		.amdhsa_reserve_vcc 0
		.amdhsa_reserve_flat_scratch 0
		.amdhsa_float_round_mode_32 0
		.amdhsa_float_round_mode_16_64 0
		.amdhsa_float_denorm_mode_32 3
		.amdhsa_float_denorm_mode_16_64 3
		.amdhsa_dx10_clamp 1
		.amdhsa_ieee_mode 1
		.amdhsa_fp16_overflow 0
		.amdhsa_tg_split 0
		.amdhsa_exception_fp_ieee_invalid_op 0
		.amdhsa_exception_fp_denorm_src 0
		.amdhsa_exception_fp_ieee_div_zero 0
		.amdhsa_exception_fp_ieee_overflow 0
		.amdhsa_exception_fp_ieee_underflow 0
		.amdhsa_exception_fp_ieee_inexact 0
		.amdhsa_exception_int_div_zero 0
	.end_amdhsa_kernel
	.section	.text._ZN7rocprim17ROCPRIM_400000_NS6detail17trampoline_kernelINS0_14default_configENS1_20scan_config_selectorIyEEZZNS1_9scan_implILNS1_25lookback_scan_determinismE0ELb0ELb0ES3_N6thrust23THRUST_200600_302600_NS6detail15normal_iteratorINS9_10device_ptrIyEEEENS9_16discard_iteratorINS9_11use_defaultEEEy11max_functorIyEyEEDaPvRmT3_T4_T5_mT6_P12ihipStream_tbENKUlT_T0_E_clISt17integral_constantIbLb1EESX_EEDaSS_ST_EUlSS_E_NS1_11comp_targetILNS1_3genE3ELNS1_11target_archE908ELNS1_3gpuE7ELNS1_3repE0EEENS1_30default_config_static_selectorELNS0_4arch9wavefront6targetE1EEEvT1_,"axG",@progbits,_ZN7rocprim17ROCPRIM_400000_NS6detail17trampoline_kernelINS0_14default_configENS1_20scan_config_selectorIyEEZZNS1_9scan_implILNS1_25lookback_scan_determinismE0ELb0ELb0ES3_N6thrust23THRUST_200600_302600_NS6detail15normal_iteratorINS9_10device_ptrIyEEEENS9_16discard_iteratorINS9_11use_defaultEEEy11max_functorIyEyEEDaPvRmT3_T4_T5_mT6_P12ihipStream_tbENKUlT_T0_E_clISt17integral_constantIbLb1EESX_EEDaSS_ST_EUlSS_E_NS1_11comp_targetILNS1_3genE3ELNS1_11target_archE908ELNS1_3gpuE7ELNS1_3repE0EEENS1_30default_config_static_selectorELNS0_4arch9wavefront6targetE1EEEvT1_,comdat
.Lfunc_end3299:
	.size	_ZN7rocprim17ROCPRIM_400000_NS6detail17trampoline_kernelINS0_14default_configENS1_20scan_config_selectorIyEEZZNS1_9scan_implILNS1_25lookback_scan_determinismE0ELb0ELb0ES3_N6thrust23THRUST_200600_302600_NS6detail15normal_iteratorINS9_10device_ptrIyEEEENS9_16discard_iteratorINS9_11use_defaultEEEy11max_functorIyEyEEDaPvRmT3_T4_T5_mT6_P12ihipStream_tbENKUlT_T0_E_clISt17integral_constantIbLb1EESX_EEDaSS_ST_EUlSS_E_NS1_11comp_targetILNS1_3genE3ELNS1_11target_archE908ELNS1_3gpuE7ELNS1_3repE0EEENS1_30default_config_static_selectorELNS0_4arch9wavefront6targetE1EEEvT1_, .Lfunc_end3299-_ZN7rocprim17ROCPRIM_400000_NS6detail17trampoline_kernelINS0_14default_configENS1_20scan_config_selectorIyEEZZNS1_9scan_implILNS1_25lookback_scan_determinismE0ELb0ELb0ES3_N6thrust23THRUST_200600_302600_NS6detail15normal_iteratorINS9_10device_ptrIyEEEENS9_16discard_iteratorINS9_11use_defaultEEEy11max_functorIyEyEEDaPvRmT3_T4_T5_mT6_P12ihipStream_tbENKUlT_T0_E_clISt17integral_constantIbLb1EESX_EEDaSS_ST_EUlSS_E_NS1_11comp_targetILNS1_3genE3ELNS1_11target_archE908ELNS1_3gpuE7ELNS1_3repE0EEENS1_30default_config_static_selectorELNS0_4arch9wavefront6targetE1EEEvT1_
                                        ; -- End function
	.section	.AMDGPU.csdata,"",@progbits
; Kernel info:
; codeLenInByte = 0
; NumSgprs: 4
; NumVgprs: 0
; NumAgprs: 0
; TotalNumVgprs: 0
; ScratchSize: 0
; MemoryBound: 0
; FloatMode: 240
; IeeeMode: 1
; LDSByteSize: 0 bytes/workgroup (compile time only)
; SGPRBlocks: 0
; VGPRBlocks: 0
; NumSGPRsForWavesPerEU: 4
; NumVGPRsForWavesPerEU: 1
; AccumOffset: 4
; Occupancy: 8
; WaveLimiterHint : 0
; COMPUTE_PGM_RSRC2:SCRATCH_EN: 0
; COMPUTE_PGM_RSRC2:USER_SGPR: 6
; COMPUTE_PGM_RSRC2:TRAP_HANDLER: 0
; COMPUTE_PGM_RSRC2:TGID_X_EN: 1
; COMPUTE_PGM_RSRC2:TGID_Y_EN: 0
; COMPUTE_PGM_RSRC2:TGID_Z_EN: 0
; COMPUTE_PGM_RSRC2:TIDIG_COMP_CNT: 0
; COMPUTE_PGM_RSRC3_GFX90A:ACCUM_OFFSET: 0
; COMPUTE_PGM_RSRC3_GFX90A:TG_SPLIT: 0
	.section	.text._ZN7rocprim17ROCPRIM_400000_NS6detail17trampoline_kernelINS0_14default_configENS1_20scan_config_selectorIyEEZZNS1_9scan_implILNS1_25lookback_scan_determinismE0ELb0ELb0ES3_N6thrust23THRUST_200600_302600_NS6detail15normal_iteratorINS9_10device_ptrIyEEEENS9_16discard_iteratorINS9_11use_defaultEEEy11max_functorIyEyEEDaPvRmT3_T4_T5_mT6_P12ihipStream_tbENKUlT_T0_E_clISt17integral_constantIbLb1EESX_EEDaSS_ST_EUlSS_E_NS1_11comp_targetILNS1_3genE2ELNS1_11target_archE906ELNS1_3gpuE6ELNS1_3repE0EEENS1_30default_config_static_selectorELNS0_4arch9wavefront6targetE1EEEvT1_,"axG",@progbits,_ZN7rocprim17ROCPRIM_400000_NS6detail17trampoline_kernelINS0_14default_configENS1_20scan_config_selectorIyEEZZNS1_9scan_implILNS1_25lookback_scan_determinismE0ELb0ELb0ES3_N6thrust23THRUST_200600_302600_NS6detail15normal_iteratorINS9_10device_ptrIyEEEENS9_16discard_iteratorINS9_11use_defaultEEEy11max_functorIyEyEEDaPvRmT3_T4_T5_mT6_P12ihipStream_tbENKUlT_T0_E_clISt17integral_constantIbLb1EESX_EEDaSS_ST_EUlSS_E_NS1_11comp_targetILNS1_3genE2ELNS1_11target_archE906ELNS1_3gpuE6ELNS1_3repE0EEENS1_30default_config_static_selectorELNS0_4arch9wavefront6targetE1EEEvT1_,comdat
	.protected	_ZN7rocprim17ROCPRIM_400000_NS6detail17trampoline_kernelINS0_14default_configENS1_20scan_config_selectorIyEEZZNS1_9scan_implILNS1_25lookback_scan_determinismE0ELb0ELb0ES3_N6thrust23THRUST_200600_302600_NS6detail15normal_iteratorINS9_10device_ptrIyEEEENS9_16discard_iteratorINS9_11use_defaultEEEy11max_functorIyEyEEDaPvRmT3_T4_T5_mT6_P12ihipStream_tbENKUlT_T0_E_clISt17integral_constantIbLb1EESX_EEDaSS_ST_EUlSS_E_NS1_11comp_targetILNS1_3genE2ELNS1_11target_archE906ELNS1_3gpuE6ELNS1_3repE0EEENS1_30default_config_static_selectorELNS0_4arch9wavefront6targetE1EEEvT1_ ; -- Begin function _ZN7rocprim17ROCPRIM_400000_NS6detail17trampoline_kernelINS0_14default_configENS1_20scan_config_selectorIyEEZZNS1_9scan_implILNS1_25lookback_scan_determinismE0ELb0ELb0ES3_N6thrust23THRUST_200600_302600_NS6detail15normal_iteratorINS9_10device_ptrIyEEEENS9_16discard_iteratorINS9_11use_defaultEEEy11max_functorIyEyEEDaPvRmT3_T4_T5_mT6_P12ihipStream_tbENKUlT_T0_E_clISt17integral_constantIbLb1EESX_EEDaSS_ST_EUlSS_E_NS1_11comp_targetILNS1_3genE2ELNS1_11target_archE906ELNS1_3gpuE6ELNS1_3repE0EEENS1_30default_config_static_selectorELNS0_4arch9wavefront6targetE1EEEvT1_
	.globl	_ZN7rocprim17ROCPRIM_400000_NS6detail17trampoline_kernelINS0_14default_configENS1_20scan_config_selectorIyEEZZNS1_9scan_implILNS1_25lookback_scan_determinismE0ELb0ELb0ES3_N6thrust23THRUST_200600_302600_NS6detail15normal_iteratorINS9_10device_ptrIyEEEENS9_16discard_iteratorINS9_11use_defaultEEEy11max_functorIyEyEEDaPvRmT3_T4_T5_mT6_P12ihipStream_tbENKUlT_T0_E_clISt17integral_constantIbLb1EESX_EEDaSS_ST_EUlSS_E_NS1_11comp_targetILNS1_3genE2ELNS1_11target_archE906ELNS1_3gpuE6ELNS1_3repE0EEENS1_30default_config_static_selectorELNS0_4arch9wavefront6targetE1EEEvT1_
	.p2align	8
	.type	_ZN7rocprim17ROCPRIM_400000_NS6detail17trampoline_kernelINS0_14default_configENS1_20scan_config_selectorIyEEZZNS1_9scan_implILNS1_25lookback_scan_determinismE0ELb0ELb0ES3_N6thrust23THRUST_200600_302600_NS6detail15normal_iteratorINS9_10device_ptrIyEEEENS9_16discard_iteratorINS9_11use_defaultEEEy11max_functorIyEyEEDaPvRmT3_T4_T5_mT6_P12ihipStream_tbENKUlT_T0_E_clISt17integral_constantIbLb1EESX_EEDaSS_ST_EUlSS_E_NS1_11comp_targetILNS1_3genE2ELNS1_11target_archE906ELNS1_3gpuE6ELNS1_3repE0EEENS1_30default_config_static_selectorELNS0_4arch9wavefront6targetE1EEEvT1_,@function
_ZN7rocprim17ROCPRIM_400000_NS6detail17trampoline_kernelINS0_14default_configENS1_20scan_config_selectorIyEEZZNS1_9scan_implILNS1_25lookback_scan_determinismE0ELb0ELb0ES3_N6thrust23THRUST_200600_302600_NS6detail15normal_iteratorINS9_10device_ptrIyEEEENS9_16discard_iteratorINS9_11use_defaultEEEy11max_functorIyEyEEDaPvRmT3_T4_T5_mT6_P12ihipStream_tbENKUlT_T0_E_clISt17integral_constantIbLb1EESX_EEDaSS_ST_EUlSS_E_NS1_11comp_targetILNS1_3genE2ELNS1_11target_archE906ELNS1_3gpuE6ELNS1_3repE0EEENS1_30default_config_static_selectorELNS0_4arch9wavefront6targetE1EEEvT1_: ; @_ZN7rocprim17ROCPRIM_400000_NS6detail17trampoline_kernelINS0_14default_configENS1_20scan_config_selectorIyEEZZNS1_9scan_implILNS1_25lookback_scan_determinismE0ELb0ELb0ES3_N6thrust23THRUST_200600_302600_NS6detail15normal_iteratorINS9_10device_ptrIyEEEENS9_16discard_iteratorINS9_11use_defaultEEEy11max_functorIyEyEEDaPvRmT3_T4_T5_mT6_P12ihipStream_tbENKUlT_T0_E_clISt17integral_constantIbLb1EESX_EEDaSS_ST_EUlSS_E_NS1_11comp_targetILNS1_3genE2ELNS1_11target_archE906ELNS1_3gpuE6ELNS1_3repE0EEENS1_30default_config_static_selectorELNS0_4arch9wavefront6targetE1EEEvT1_
; %bb.0:
	.section	.rodata,"a",@progbits
	.p2align	6, 0x0
	.amdhsa_kernel _ZN7rocprim17ROCPRIM_400000_NS6detail17trampoline_kernelINS0_14default_configENS1_20scan_config_selectorIyEEZZNS1_9scan_implILNS1_25lookback_scan_determinismE0ELb0ELb0ES3_N6thrust23THRUST_200600_302600_NS6detail15normal_iteratorINS9_10device_ptrIyEEEENS9_16discard_iteratorINS9_11use_defaultEEEy11max_functorIyEyEEDaPvRmT3_T4_T5_mT6_P12ihipStream_tbENKUlT_T0_E_clISt17integral_constantIbLb1EESX_EEDaSS_ST_EUlSS_E_NS1_11comp_targetILNS1_3genE2ELNS1_11target_archE906ELNS1_3gpuE6ELNS1_3repE0EEENS1_30default_config_static_selectorELNS0_4arch9wavefront6targetE1EEEvT1_
		.amdhsa_group_segment_fixed_size 0
		.amdhsa_private_segment_fixed_size 0
		.amdhsa_kernarg_size 112
		.amdhsa_user_sgpr_count 6
		.amdhsa_user_sgpr_private_segment_buffer 1
		.amdhsa_user_sgpr_dispatch_ptr 0
		.amdhsa_user_sgpr_queue_ptr 0
		.amdhsa_user_sgpr_kernarg_segment_ptr 1
		.amdhsa_user_sgpr_dispatch_id 0
		.amdhsa_user_sgpr_flat_scratch_init 0
		.amdhsa_user_sgpr_kernarg_preload_length 0
		.amdhsa_user_sgpr_kernarg_preload_offset 0
		.amdhsa_user_sgpr_private_segment_size 0
		.amdhsa_uses_dynamic_stack 0
		.amdhsa_system_sgpr_private_segment_wavefront_offset 0
		.amdhsa_system_sgpr_workgroup_id_x 1
		.amdhsa_system_sgpr_workgroup_id_y 0
		.amdhsa_system_sgpr_workgroup_id_z 0
		.amdhsa_system_sgpr_workgroup_info 0
		.amdhsa_system_vgpr_workitem_id 0
		.amdhsa_next_free_vgpr 1
		.amdhsa_next_free_sgpr 0
		.amdhsa_accum_offset 4
		.amdhsa_reserve_vcc 0
		.amdhsa_reserve_flat_scratch 0
		.amdhsa_float_round_mode_32 0
		.amdhsa_float_round_mode_16_64 0
		.amdhsa_float_denorm_mode_32 3
		.amdhsa_float_denorm_mode_16_64 3
		.amdhsa_dx10_clamp 1
		.amdhsa_ieee_mode 1
		.amdhsa_fp16_overflow 0
		.amdhsa_tg_split 0
		.amdhsa_exception_fp_ieee_invalid_op 0
		.amdhsa_exception_fp_denorm_src 0
		.amdhsa_exception_fp_ieee_div_zero 0
		.amdhsa_exception_fp_ieee_overflow 0
		.amdhsa_exception_fp_ieee_underflow 0
		.amdhsa_exception_fp_ieee_inexact 0
		.amdhsa_exception_int_div_zero 0
	.end_amdhsa_kernel
	.section	.text._ZN7rocprim17ROCPRIM_400000_NS6detail17trampoline_kernelINS0_14default_configENS1_20scan_config_selectorIyEEZZNS1_9scan_implILNS1_25lookback_scan_determinismE0ELb0ELb0ES3_N6thrust23THRUST_200600_302600_NS6detail15normal_iteratorINS9_10device_ptrIyEEEENS9_16discard_iteratorINS9_11use_defaultEEEy11max_functorIyEyEEDaPvRmT3_T4_T5_mT6_P12ihipStream_tbENKUlT_T0_E_clISt17integral_constantIbLb1EESX_EEDaSS_ST_EUlSS_E_NS1_11comp_targetILNS1_3genE2ELNS1_11target_archE906ELNS1_3gpuE6ELNS1_3repE0EEENS1_30default_config_static_selectorELNS0_4arch9wavefront6targetE1EEEvT1_,"axG",@progbits,_ZN7rocprim17ROCPRIM_400000_NS6detail17trampoline_kernelINS0_14default_configENS1_20scan_config_selectorIyEEZZNS1_9scan_implILNS1_25lookback_scan_determinismE0ELb0ELb0ES3_N6thrust23THRUST_200600_302600_NS6detail15normal_iteratorINS9_10device_ptrIyEEEENS9_16discard_iteratorINS9_11use_defaultEEEy11max_functorIyEyEEDaPvRmT3_T4_T5_mT6_P12ihipStream_tbENKUlT_T0_E_clISt17integral_constantIbLb1EESX_EEDaSS_ST_EUlSS_E_NS1_11comp_targetILNS1_3genE2ELNS1_11target_archE906ELNS1_3gpuE6ELNS1_3repE0EEENS1_30default_config_static_selectorELNS0_4arch9wavefront6targetE1EEEvT1_,comdat
.Lfunc_end3300:
	.size	_ZN7rocprim17ROCPRIM_400000_NS6detail17trampoline_kernelINS0_14default_configENS1_20scan_config_selectorIyEEZZNS1_9scan_implILNS1_25lookback_scan_determinismE0ELb0ELb0ES3_N6thrust23THRUST_200600_302600_NS6detail15normal_iteratorINS9_10device_ptrIyEEEENS9_16discard_iteratorINS9_11use_defaultEEEy11max_functorIyEyEEDaPvRmT3_T4_T5_mT6_P12ihipStream_tbENKUlT_T0_E_clISt17integral_constantIbLb1EESX_EEDaSS_ST_EUlSS_E_NS1_11comp_targetILNS1_3genE2ELNS1_11target_archE906ELNS1_3gpuE6ELNS1_3repE0EEENS1_30default_config_static_selectorELNS0_4arch9wavefront6targetE1EEEvT1_, .Lfunc_end3300-_ZN7rocprim17ROCPRIM_400000_NS6detail17trampoline_kernelINS0_14default_configENS1_20scan_config_selectorIyEEZZNS1_9scan_implILNS1_25lookback_scan_determinismE0ELb0ELb0ES3_N6thrust23THRUST_200600_302600_NS6detail15normal_iteratorINS9_10device_ptrIyEEEENS9_16discard_iteratorINS9_11use_defaultEEEy11max_functorIyEyEEDaPvRmT3_T4_T5_mT6_P12ihipStream_tbENKUlT_T0_E_clISt17integral_constantIbLb1EESX_EEDaSS_ST_EUlSS_E_NS1_11comp_targetILNS1_3genE2ELNS1_11target_archE906ELNS1_3gpuE6ELNS1_3repE0EEENS1_30default_config_static_selectorELNS0_4arch9wavefront6targetE1EEEvT1_
                                        ; -- End function
	.section	.AMDGPU.csdata,"",@progbits
; Kernel info:
; codeLenInByte = 0
; NumSgprs: 4
; NumVgprs: 0
; NumAgprs: 0
; TotalNumVgprs: 0
; ScratchSize: 0
; MemoryBound: 0
; FloatMode: 240
; IeeeMode: 1
; LDSByteSize: 0 bytes/workgroup (compile time only)
; SGPRBlocks: 0
; VGPRBlocks: 0
; NumSGPRsForWavesPerEU: 4
; NumVGPRsForWavesPerEU: 1
; AccumOffset: 4
; Occupancy: 8
; WaveLimiterHint : 0
; COMPUTE_PGM_RSRC2:SCRATCH_EN: 0
; COMPUTE_PGM_RSRC2:USER_SGPR: 6
; COMPUTE_PGM_RSRC2:TRAP_HANDLER: 0
; COMPUTE_PGM_RSRC2:TGID_X_EN: 1
; COMPUTE_PGM_RSRC2:TGID_Y_EN: 0
; COMPUTE_PGM_RSRC2:TGID_Z_EN: 0
; COMPUTE_PGM_RSRC2:TIDIG_COMP_CNT: 0
; COMPUTE_PGM_RSRC3_GFX90A:ACCUM_OFFSET: 0
; COMPUTE_PGM_RSRC3_GFX90A:TG_SPLIT: 0
	.section	.text._ZN7rocprim17ROCPRIM_400000_NS6detail17trampoline_kernelINS0_14default_configENS1_20scan_config_selectorIyEEZZNS1_9scan_implILNS1_25lookback_scan_determinismE0ELb0ELb0ES3_N6thrust23THRUST_200600_302600_NS6detail15normal_iteratorINS9_10device_ptrIyEEEENS9_16discard_iteratorINS9_11use_defaultEEEy11max_functorIyEyEEDaPvRmT3_T4_T5_mT6_P12ihipStream_tbENKUlT_T0_E_clISt17integral_constantIbLb1EESX_EEDaSS_ST_EUlSS_E_NS1_11comp_targetILNS1_3genE10ELNS1_11target_archE1201ELNS1_3gpuE5ELNS1_3repE0EEENS1_30default_config_static_selectorELNS0_4arch9wavefront6targetE1EEEvT1_,"axG",@progbits,_ZN7rocprim17ROCPRIM_400000_NS6detail17trampoline_kernelINS0_14default_configENS1_20scan_config_selectorIyEEZZNS1_9scan_implILNS1_25lookback_scan_determinismE0ELb0ELb0ES3_N6thrust23THRUST_200600_302600_NS6detail15normal_iteratorINS9_10device_ptrIyEEEENS9_16discard_iteratorINS9_11use_defaultEEEy11max_functorIyEyEEDaPvRmT3_T4_T5_mT6_P12ihipStream_tbENKUlT_T0_E_clISt17integral_constantIbLb1EESX_EEDaSS_ST_EUlSS_E_NS1_11comp_targetILNS1_3genE10ELNS1_11target_archE1201ELNS1_3gpuE5ELNS1_3repE0EEENS1_30default_config_static_selectorELNS0_4arch9wavefront6targetE1EEEvT1_,comdat
	.protected	_ZN7rocprim17ROCPRIM_400000_NS6detail17trampoline_kernelINS0_14default_configENS1_20scan_config_selectorIyEEZZNS1_9scan_implILNS1_25lookback_scan_determinismE0ELb0ELb0ES3_N6thrust23THRUST_200600_302600_NS6detail15normal_iteratorINS9_10device_ptrIyEEEENS9_16discard_iteratorINS9_11use_defaultEEEy11max_functorIyEyEEDaPvRmT3_T4_T5_mT6_P12ihipStream_tbENKUlT_T0_E_clISt17integral_constantIbLb1EESX_EEDaSS_ST_EUlSS_E_NS1_11comp_targetILNS1_3genE10ELNS1_11target_archE1201ELNS1_3gpuE5ELNS1_3repE0EEENS1_30default_config_static_selectorELNS0_4arch9wavefront6targetE1EEEvT1_ ; -- Begin function _ZN7rocprim17ROCPRIM_400000_NS6detail17trampoline_kernelINS0_14default_configENS1_20scan_config_selectorIyEEZZNS1_9scan_implILNS1_25lookback_scan_determinismE0ELb0ELb0ES3_N6thrust23THRUST_200600_302600_NS6detail15normal_iteratorINS9_10device_ptrIyEEEENS9_16discard_iteratorINS9_11use_defaultEEEy11max_functorIyEyEEDaPvRmT3_T4_T5_mT6_P12ihipStream_tbENKUlT_T0_E_clISt17integral_constantIbLb1EESX_EEDaSS_ST_EUlSS_E_NS1_11comp_targetILNS1_3genE10ELNS1_11target_archE1201ELNS1_3gpuE5ELNS1_3repE0EEENS1_30default_config_static_selectorELNS0_4arch9wavefront6targetE1EEEvT1_
	.globl	_ZN7rocprim17ROCPRIM_400000_NS6detail17trampoline_kernelINS0_14default_configENS1_20scan_config_selectorIyEEZZNS1_9scan_implILNS1_25lookback_scan_determinismE0ELb0ELb0ES3_N6thrust23THRUST_200600_302600_NS6detail15normal_iteratorINS9_10device_ptrIyEEEENS9_16discard_iteratorINS9_11use_defaultEEEy11max_functorIyEyEEDaPvRmT3_T4_T5_mT6_P12ihipStream_tbENKUlT_T0_E_clISt17integral_constantIbLb1EESX_EEDaSS_ST_EUlSS_E_NS1_11comp_targetILNS1_3genE10ELNS1_11target_archE1201ELNS1_3gpuE5ELNS1_3repE0EEENS1_30default_config_static_selectorELNS0_4arch9wavefront6targetE1EEEvT1_
	.p2align	8
	.type	_ZN7rocprim17ROCPRIM_400000_NS6detail17trampoline_kernelINS0_14default_configENS1_20scan_config_selectorIyEEZZNS1_9scan_implILNS1_25lookback_scan_determinismE0ELb0ELb0ES3_N6thrust23THRUST_200600_302600_NS6detail15normal_iteratorINS9_10device_ptrIyEEEENS9_16discard_iteratorINS9_11use_defaultEEEy11max_functorIyEyEEDaPvRmT3_T4_T5_mT6_P12ihipStream_tbENKUlT_T0_E_clISt17integral_constantIbLb1EESX_EEDaSS_ST_EUlSS_E_NS1_11comp_targetILNS1_3genE10ELNS1_11target_archE1201ELNS1_3gpuE5ELNS1_3repE0EEENS1_30default_config_static_selectorELNS0_4arch9wavefront6targetE1EEEvT1_,@function
_ZN7rocprim17ROCPRIM_400000_NS6detail17trampoline_kernelINS0_14default_configENS1_20scan_config_selectorIyEEZZNS1_9scan_implILNS1_25lookback_scan_determinismE0ELb0ELb0ES3_N6thrust23THRUST_200600_302600_NS6detail15normal_iteratorINS9_10device_ptrIyEEEENS9_16discard_iteratorINS9_11use_defaultEEEy11max_functorIyEyEEDaPvRmT3_T4_T5_mT6_P12ihipStream_tbENKUlT_T0_E_clISt17integral_constantIbLb1EESX_EEDaSS_ST_EUlSS_E_NS1_11comp_targetILNS1_3genE10ELNS1_11target_archE1201ELNS1_3gpuE5ELNS1_3repE0EEENS1_30default_config_static_selectorELNS0_4arch9wavefront6targetE1EEEvT1_: ; @_ZN7rocprim17ROCPRIM_400000_NS6detail17trampoline_kernelINS0_14default_configENS1_20scan_config_selectorIyEEZZNS1_9scan_implILNS1_25lookback_scan_determinismE0ELb0ELb0ES3_N6thrust23THRUST_200600_302600_NS6detail15normal_iteratorINS9_10device_ptrIyEEEENS9_16discard_iteratorINS9_11use_defaultEEEy11max_functorIyEyEEDaPvRmT3_T4_T5_mT6_P12ihipStream_tbENKUlT_T0_E_clISt17integral_constantIbLb1EESX_EEDaSS_ST_EUlSS_E_NS1_11comp_targetILNS1_3genE10ELNS1_11target_archE1201ELNS1_3gpuE5ELNS1_3repE0EEENS1_30default_config_static_selectorELNS0_4arch9wavefront6targetE1EEEvT1_
; %bb.0:
	.section	.rodata,"a",@progbits
	.p2align	6, 0x0
	.amdhsa_kernel _ZN7rocprim17ROCPRIM_400000_NS6detail17trampoline_kernelINS0_14default_configENS1_20scan_config_selectorIyEEZZNS1_9scan_implILNS1_25lookback_scan_determinismE0ELb0ELb0ES3_N6thrust23THRUST_200600_302600_NS6detail15normal_iteratorINS9_10device_ptrIyEEEENS9_16discard_iteratorINS9_11use_defaultEEEy11max_functorIyEyEEDaPvRmT3_T4_T5_mT6_P12ihipStream_tbENKUlT_T0_E_clISt17integral_constantIbLb1EESX_EEDaSS_ST_EUlSS_E_NS1_11comp_targetILNS1_3genE10ELNS1_11target_archE1201ELNS1_3gpuE5ELNS1_3repE0EEENS1_30default_config_static_selectorELNS0_4arch9wavefront6targetE1EEEvT1_
		.amdhsa_group_segment_fixed_size 0
		.amdhsa_private_segment_fixed_size 0
		.amdhsa_kernarg_size 112
		.amdhsa_user_sgpr_count 6
		.amdhsa_user_sgpr_private_segment_buffer 1
		.amdhsa_user_sgpr_dispatch_ptr 0
		.amdhsa_user_sgpr_queue_ptr 0
		.amdhsa_user_sgpr_kernarg_segment_ptr 1
		.amdhsa_user_sgpr_dispatch_id 0
		.amdhsa_user_sgpr_flat_scratch_init 0
		.amdhsa_user_sgpr_kernarg_preload_length 0
		.amdhsa_user_sgpr_kernarg_preload_offset 0
		.amdhsa_user_sgpr_private_segment_size 0
		.amdhsa_uses_dynamic_stack 0
		.amdhsa_system_sgpr_private_segment_wavefront_offset 0
		.amdhsa_system_sgpr_workgroup_id_x 1
		.amdhsa_system_sgpr_workgroup_id_y 0
		.amdhsa_system_sgpr_workgroup_id_z 0
		.amdhsa_system_sgpr_workgroup_info 0
		.amdhsa_system_vgpr_workitem_id 0
		.amdhsa_next_free_vgpr 1
		.amdhsa_next_free_sgpr 0
		.amdhsa_accum_offset 4
		.amdhsa_reserve_vcc 0
		.amdhsa_reserve_flat_scratch 0
		.amdhsa_float_round_mode_32 0
		.amdhsa_float_round_mode_16_64 0
		.amdhsa_float_denorm_mode_32 3
		.amdhsa_float_denorm_mode_16_64 3
		.amdhsa_dx10_clamp 1
		.amdhsa_ieee_mode 1
		.amdhsa_fp16_overflow 0
		.amdhsa_tg_split 0
		.amdhsa_exception_fp_ieee_invalid_op 0
		.amdhsa_exception_fp_denorm_src 0
		.amdhsa_exception_fp_ieee_div_zero 0
		.amdhsa_exception_fp_ieee_overflow 0
		.amdhsa_exception_fp_ieee_underflow 0
		.amdhsa_exception_fp_ieee_inexact 0
		.amdhsa_exception_int_div_zero 0
	.end_amdhsa_kernel
	.section	.text._ZN7rocprim17ROCPRIM_400000_NS6detail17trampoline_kernelINS0_14default_configENS1_20scan_config_selectorIyEEZZNS1_9scan_implILNS1_25lookback_scan_determinismE0ELb0ELb0ES3_N6thrust23THRUST_200600_302600_NS6detail15normal_iteratorINS9_10device_ptrIyEEEENS9_16discard_iteratorINS9_11use_defaultEEEy11max_functorIyEyEEDaPvRmT3_T4_T5_mT6_P12ihipStream_tbENKUlT_T0_E_clISt17integral_constantIbLb1EESX_EEDaSS_ST_EUlSS_E_NS1_11comp_targetILNS1_3genE10ELNS1_11target_archE1201ELNS1_3gpuE5ELNS1_3repE0EEENS1_30default_config_static_selectorELNS0_4arch9wavefront6targetE1EEEvT1_,"axG",@progbits,_ZN7rocprim17ROCPRIM_400000_NS6detail17trampoline_kernelINS0_14default_configENS1_20scan_config_selectorIyEEZZNS1_9scan_implILNS1_25lookback_scan_determinismE0ELb0ELb0ES3_N6thrust23THRUST_200600_302600_NS6detail15normal_iteratorINS9_10device_ptrIyEEEENS9_16discard_iteratorINS9_11use_defaultEEEy11max_functorIyEyEEDaPvRmT3_T4_T5_mT6_P12ihipStream_tbENKUlT_T0_E_clISt17integral_constantIbLb1EESX_EEDaSS_ST_EUlSS_E_NS1_11comp_targetILNS1_3genE10ELNS1_11target_archE1201ELNS1_3gpuE5ELNS1_3repE0EEENS1_30default_config_static_selectorELNS0_4arch9wavefront6targetE1EEEvT1_,comdat
.Lfunc_end3301:
	.size	_ZN7rocprim17ROCPRIM_400000_NS6detail17trampoline_kernelINS0_14default_configENS1_20scan_config_selectorIyEEZZNS1_9scan_implILNS1_25lookback_scan_determinismE0ELb0ELb0ES3_N6thrust23THRUST_200600_302600_NS6detail15normal_iteratorINS9_10device_ptrIyEEEENS9_16discard_iteratorINS9_11use_defaultEEEy11max_functorIyEyEEDaPvRmT3_T4_T5_mT6_P12ihipStream_tbENKUlT_T0_E_clISt17integral_constantIbLb1EESX_EEDaSS_ST_EUlSS_E_NS1_11comp_targetILNS1_3genE10ELNS1_11target_archE1201ELNS1_3gpuE5ELNS1_3repE0EEENS1_30default_config_static_selectorELNS0_4arch9wavefront6targetE1EEEvT1_, .Lfunc_end3301-_ZN7rocprim17ROCPRIM_400000_NS6detail17trampoline_kernelINS0_14default_configENS1_20scan_config_selectorIyEEZZNS1_9scan_implILNS1_25lookback_scan_determinismE0ELb0ELb0ES3_N6thrust23THRUST_200600_302600_NS6detail15normal_iteratorINS9_10device_ptrIyEEEENS9_16discard_iteratorINS9_11use_defaultEEEy11max_functorIyEyEEDaPvRmT3_T4_T5_mT6_P12ihipStream_tbENKUlT_T0_E_clISt17integral_constantIbLb1EESX_EEDaSS_ST_EUlSS_E_NS1_11comp_targetILNS1_3genE10ELNS1_11target_archE1201ELNS1_3gpuE5ELNS1_3repE0EEENS1_30default_config_static_selectorELNS0_4arch9wavefront6targetE1EEEvT1_
                                        ; -- End function
	.section	.AMDGPU.csdata,"",@progbits
; Kernel info:
; codeLenInByte = 0
; NumSgprs: 4
; NumVgprs: 0
; NumAgprs: 0
; TotalNumVgprs: 0
; ScratchSize: 0
; MemoryBound: 0
; FloatMode: 240
; IeeeMode: 1
; LDSByteSize: 0 bytes/workgroup (compile time only)
; SGPRBlocks: 0
; VGPRBlocks: 0
; NumSGPRsForWavesPerEU: 4
; NumVGPRsForWavesPerEU: 1
; AccumOffset: 4
; Occupancy: 8
; WaveLimiterHint : 0
; COMPUTE_PGM_RSRC2:SCRATCH_EN: 0
; COMPUTE_PGM_RSRC2:USER_SGPR: 6
; COMPUTE_PGM_RSRC2:TRAP_HANDLER: 0
; COMPUTE_PGM_RSRC2:TGID_X_EN: 1
; COMPUTE_PGM_RSRC2:TGID_Y_EN: 0
; COMPUTE_PGM_RSRC2:TGID_Z_EN: 0
; COMPUTE_PGM_RSRC2:TIDIG_COMP_CNT: 0
; COMPUTE_PGM_RSRC3_GFX90A:ACCUM_OFFSET: 0
; COMPUTE_PGM_RSRC3_GFX90A:TG_SPLIT: 0
	.section	.text._ZN7rocprim17ROCPRIM_400000_NS6detail17trampoline_kernelINS0_14default_configENS1_20scan_config_selectorIyEEZZNS1_9scan_implILNS1_25lookback_scan_determinismE0ELb0ELb0ES3_N6thrust23THRUST_200600_302600_NS6detail15normal_iteratorINS9_10device_ptrIyEEEENS9_16discard_iteratorINS9_11use_defaultEEEy11max_functorIyEyEEDaPvRmT3_T4_T5_mT6_P12ihipStream_tbENKUlT_T0_E_clISt17integral_constantIbLb1EESX_EEDaSS_ST_EUlSS_E_NS1_11comp_targetILNS1_3genE10ELNS1_11target_archE1200ELNS1_3gpuE4ELNS1_3repE0EEENS1_30default_config_static_selectorELNS0_4arch9wavefront6targetE1EEEvT1_,"axG",@progbits,_ZN7rocprim17ROCPRIM_400000_NS6detail17trampoline_kernelINS0_14default_configENS1_20scan_config_selectorIyEEZZNS1_9scan_implILNS1_25lookback_scan_determinismE0ELb0ELb0ES3_N6thrust23THRUST_200600_302600_NS6detail15normal_iteratorINS9_10device_ptrIyEEEENS9_16discard_iteratorINS9_11use_defaultEEEy11max_functorIyEyEEDaPvRmT3_T4_T5_mT6_P12ihipStream_tbENKUlT_T0_E_clISt17integral_constantIbLb1EESX_EEDaSS_ST_EUlSS_E_NS1_11comp_targetILNS1_3genE10ELNS1_11target_archE1200ELNS1_3gpuE4ELNS1_3repE0EEENS1_30default_config_static_selectorELNS0_4arch9wavefront6targetE1EEEvT1_,comdat
	.protected	_ZN7rocprim17ROCPRIM_400000_NS6detail17trampoline_kernelINS0_14default_configENS1_20scan_config_selectorIyEEZZNS1_9scan_implILNS1_25lookback_scan_determinismE0ELb0ELb0ES3_N6thrust23THRUST_200600_302600_NS6detail15normal_iteratorINS9_10device_ptrIyEEEENS9_16discard_iteratorINS9_11use_defaultEEEy11max_functorIyEyEEDaPvRmT3_T4_T5_mT6_P12ihipStream_tbENKUlT_T0_E_clISt17integral_constantIbLb1EESX_EEDaSS_ST_EUlSS_E_NS1_11comp_targetILNS1_3genE10ELNS1_11target_archE1200ELNS1_3gpuE4ELNS1_3repE0EEENS1_30default_config_static_selectorELNS0_4arch9wavefront6targetE1EEEvT1_ ; -- Begin function _ZN7rocprim17ROCPRIM_400000_NS6detail17trampoline_kernelINS0_14default_configENS1_20scan_config_selectorIyEEZZNS1_9scan_implILNS1_25lookback_scan_determinismE0ELb0ELb0ES3_N6thrust23THRUST_200600_302600_NS6detail15normal_iteratorINS9_10device_ptrIyEEEENS9_16discard_iteratorINS9_11use_defaultEEEy11max_functorIyEyEEDaPvRmT3_T4_T5_mT6_P12ihipStream_tbENKUlT_T0_E_clISt17integral_constantIbLb1EESX_EEDaSS_ST_EUlSS_E_NS1_11comp_targetILNS1_3genE10ELNS1_11target_archE1200ELNS1_3gpuE4ELNS1_3repE0EEENS1_30default_config_static_selectorELNS0_4arch9wavefront6targetE1EEEvT1_
	.globl	_ZN7rocprim17ROCPRIM_400000_NS6detail17trampoline_kernelINS0_14default_configENS1_20scan_config_selectorIyEEZZNS1_9scan_implILNS1_25lookback_scan_determinismE0ELb0ELb0ES3_N6thrust23THRUST_200600_302600_NS6detail15normal_iteratorINS9_10device_ptrIyEEEENS9_16discard_iteratorINS9_11use_defaultEEEy11max_functorIyEyEEDaPvRmT3_T4_T5_mT6_P12ihipStream_tbENKUlT_T0_E_clISt17integral_constantIbLb1EESX_EEDaSS_ST_EUlSS_E_NS1_11comp_targetILNS1_3genE10ELNS1_11target_archE1200ELNS1_3gpuE4ELNS1_3repE0EEENS1_30default_config_static_selectorELNS0_4arch9wavefront6targetE1EEEvT1_
	.p2align	8
	.type	_ZN7rocprim17ROCPRIM_400000_NS6detail17trampoline_kernelINS0_14default_configENS1_20scan_config_selectorIyEEZZNS1_9scan_implILNS1_25lookback_scan_determinismE0ELb0ELb0ES3_N6thrust23THRUST_200600_302600_NS6detail15normal_iteratorINS9_10device_ptrIyEEEENS9_16discard_iteratorINS9_11use_defaultEEEy11max_functorIyEyEEDaPvRmT3_T4_T5_mT6_P12ihipStream_tbENKUlT_T0_E_clISt17integral_constantIbLb1EESX_EEDaSS_ST_EUlSS_E_NS1_11comp_targetILNS1_3genE10ELNS1_11target_archE1200ELNS1_3gpuE4ELNS1_3repE0EEENS1_30default_config_static_selectorELNS0_4arch9wavefront6targetE1EEEvT1_,@function
_ZN7rocprim17ROCPRIM_400000_NS6detail17trampoline_kernelINS0_14default_configENS1_20scan_config_selectorIyEEZZNS1_9scan_implILNS1_25lookback_scan_determinismE0ELb0ELb0ES3_N6thrust23THRUST_200600_302600_NS6detail15normal_iteratorINS9_10device_ptrIyEEEENS9_16discard_iteratorINS9_11use_defaultEEEy11max_functorIyEyEEDaPvRmT3_T4_T5_mT6_P12ihipStream_tbENKUlT_T0_E_clISt17integral_constantIbLb1EESX_EEDaSS_ST_EUlSS_E_NS1_11comp_targetILNS1_3genE10ELNS1_11target_archE1200ELNS1_3gpuE4ELNS1_3repE0EEENS1_30default_config_static_selectorELNS0_4arch9wavefront6targetE1EEEvT1_: ; @_ZN7rocprim17ROCPRIM_400000_NS6detail17trampoline_kernelINS0_14default_configENS1_20scan_config_selectorIyEEZZNS1_9scan_implILNS1_25lookback_scan_determinismE0ELb0ELb0ES3_N6thrust23THRUST_200600_302600_NS6detail15normal_iteratorINS9_10device_ptrIyEEEENS9_16discard_iteratorINS9_11use_defaultEEEy11max_functorIyEyEEDaPvRmT3_T4_T5_mT6_P12ihipStream_tbENKUlT_T0_E_clISt17integral_constantIbLb1EESX_EEDaSS_ST_EUlSS_E_NS1_11comp_targetILNS1_3genE10ELNS1_11target_archE1200ELNS1_3gpuE4ELNS1_3repE0EEENS1_30default_config_static_selectorELNS0_4arch9wavefront6targetE1EEEvT1_
; %bb.0:
	.section	.rodata,"a",@progbits
	.p2align	6, 0x0
	.amdhsa_kernel _ZN7rocprim17ROCPRIM_400000_NS6detail17trampoline_kernelINS0_14default_configENS1_20scan_config_selectorIyEEZZNS1_9scan_implILNS1_25lookback_scan_determinismE0ELb0ELb0ES3_N6thrust23THRUST_200600_302600_NS6detail15normal_iteratorINS9_10device_ptrIyEEEENS9_16discard_iteratorINS9_11use_defaultEEEy11max_functorIyEyEEDaPvRmT3_T4_T5_mT6_P12ihipStream_tbENKUlT_T0_E_clISt17integral_constantIbLb1EESX_EEDaSS_ST_EUlSS_E_NS1_11comp_targetILNS1_3genE10ELNS1_11target_archE1200ELNS1_3gpuE4ELNS1_3repE0EEENS1_30default_config_static_selectorELNS0_4arch9wavefront6targetE1EEEvT1_
		.amdhsa_group_segment_fixed_size 0
		.amdhsa_private_segment_fixed_size 0
		.amdhsa_kernarg_size 112
		.amdhsa_user_sgpr_count 6
		.amdhsa_user_sgpr_private_segment_buffer 1
		.amdhsa_user_sgpr_dispatch_ptr 0
		.amdhsa_user_sgpr_queue_ptr 0
		.amdhsa_user_sgpr_kernarg_segment_ptr 1
		.amdhsa_user_sgpr_dispatch_id 0
		.amdhsa_user_sgpr_flat_scratch_init 0
		.amdhsa_user_sgpr_kernarg_preload_length 0
		.amdhsa_user_sgpr_kernarg_preload_offset 0
		.amdhsa_user_sgpr_private_segment_size 0
		.amdhsa_uses_dynamic_stack 0
		.amdhsa_system_sgpr_private_segment_wavefront_offset 0
		.amdhsa_system_sgpr_workgroup_id_x 1
		.amdhsa_system_sgpr_workgroup_id_y 0
		.amdhsa_system_sgpr_workgroup_id_z 0
		.amdhsa_system_sgpr_workgroup_info 0
		.amdhsa_system_vgpr_workitem_id 0
		.amdhsa_next_free_vgpr 1
		.amdhsa_next_free_sgpr 0
		.amdhsa_accum_offset 4
		.amdhsa_reserve_vcc 0
		.amdhsa_reserve_flat_scratch 0
		.amdhsa_float_round_mode_32 0
		.amdhsa_float_round_mode_16_64 0
		.amdhsa_float_denorm_mode_32 3
		.amdhsa_float_denorm_mode_16_64 3
		.amdhsa_dx10_clamp 1
		.amdhsa_ieee_mode 1
		.amdhsa_fp16_overflow 0
		.amdhsa_tg_split 0
		.amdhsa_exception_fp_ieee_invalid_op 0
		.amdhsa_exception_fp_denorm_src 0
		.amdhsa_exception_fp_ieee_div_zero 0
		.amdhsa_exception_fp_ieee_overflow 0
		.amdhsa_exception_fp_ieee_underflow 0
		.amdhsa_exception_fp_ieee_inexact 0
		.amdhsa_exception_int_div_zero 0
	.end_amdhsa_kernel
	.section	.text._ZN7rocprim17ROCPRIM_400000_NS6detail17trampoline_kernelINS0_14default_configENS1_20scan_config_selectorIyEEZZNS1_9scan_implILNS1_25lookback_scan_determinismE0ELb0ELb0ES3_N6thrust23THRUST_200600_302600_NS6detail15normal_iteratorINS9_10device_ptrIyEEEENS9_16discard_iteratorINS9_11use_defaultEEEy11max_functorIyEyEEDaPvRmT3_T4_T5_mT6_P12ihipStream_tbENKUlT_T0_E_clISt17integral_constantIbLb1EESX_EEDaSS_ST_EUlSS_E_NS1_11comp_targetILNS1_3genE10ELNS1_11target_archE1200ELNS1_3gpuE4ELNS1_3repE0EEENS1_30default_config_static_selectorELNS0_4arch9wavefront6targetE1EEEvT1_,"axG",@progbits,_ZN7rocprim17ROCPRIM_400000_NS6detail17trampoline_kernelINS0_14default_configENS1_20scan_config_selectorIyEEZZNS1_9scan_implILNS1_25lookback_scan_determinismE0ELb0ELb0ES3_N6thrust23THRUST_200600_302600_NS6detail15normal_iteratorINS9_10device_ptrIyEEEENS9_16discard_iteratorINS9_11use_defaultEEEy11max_functorIyEyEEDaPvRmT3_T4_T5_mT6_P12ihipStream_tbENKUlT_T0_E_clISt17integral_constantIbLb1EESX_EEDaSS_ST_EUlSS_E_NS1_11comp_targetILNS1_3genE10ELNS1_11target_archE1200ELNS1_3gpuE4ELNS1_3repE0EEENS1_30default_config_static_selectorELNS0_4arch9wavefront6targetE1EEEvT1_,comdat
.Lfunc_end3302:
	.size	_ZN7rocprim17ROCPRIM_400000_NS6detail17trampoline_kernelINS0_14default_configENS1_20scan_config_selectorIyEEZZNS1_9scan_implILNS1_25lookback_scan_determinismE0ELb0ELb0ES3_N6thrust23THRUST_200600_302600_NS6detail15normal_iteratorINS9_10device_ptrIyEEEENS9_16discard_iteratorINS9_11use_defaultEEEy11max_functorIyEyEEDaPvRmT3_T4_T5_mT6_P12ihipStream_tbENKUlT_T0_E_clISt17integral_constantIbLb1EESX_EEDaSS_ST_EUlSS_E_NS1_11comp_targetILNS1_3genE10ELNS1_11target_archE1200ELNS1_3gpuE4ELNS1_3repE0EEENS1_30default_config_static_selectorELNS0_4arch9wavefront6targetE1EEEvT1_, .Lfunc_end3302-_ZN7rocprim17ROCPRIM_400000_NS6detail17trampoline_kernelINS0_14default_configENS1_20scan_config_selectorIyEEZZNS1_9scan_implILNS1_25lookback_scan_determinismE0ELb0ELb0ES3_N6thrust23THRUST_200600_302600_NS6detail15normal_iteratorINS9_10device_ptrIyEEEENS9_16discard_iteratorINS9_11use_defaultEEEy11max_functorIyEyEEDaPvRmT3_T4_T5_mT6_P12ihipStream_tbENKUlT_T0_E_clISt17integral_constantIbLb1EESX_EEDaSS_ST_EUlSS_E_NS1_11comp_targetILNS1_3genE10ELNS1_11target_archE1200ELNS1_3gpuE4ELNS1_3repE0EEENS1_30default_config_static_selectorELNS0_4arch9wavefront6targetE1EEEvT1_
                                        ; -- End function
	.section	.AMDGPU.csdata,"",@progbits
; Kernel info:
; codeLenInByte = 0
; NumSgprs: 4
; NumVgprs: 0
; NumAgprs: 0
; TotalNumVgprs: 0
; ScratchSize: 0
; MemoryBound: 0
; FloatMode: 240
; IeeeMode: 1
; LDSByteSize: 0 bytes/workgroup (compile time only)
; SGPRBlocks: 0
; VGPRBlocks: 0
; NumSGPRsForWavesPerEU: 4
; NumVGPRsForWavesPerEU: 1
; AccumOffset: 4
; Occupancy: 8
; WaveLimiterHint : 0
; COMPUTE_PGM_RSRC2:SCRATCH_EN: 0
; COMPUTE_PGM_RSRC2:USER_SGPR: 6
; COMPUTE_PGM_RSRC2:TRAP_HANDLER: 0
; COMPUTE_PGM_RSRC2:TGID_X_EN: 1
; COMPUTE_PGM_RSRC2:TGID_Y_EN: 0
; COMPUTE_PGM_RSRC2:TGID_Z_EN: 0
; COMPUTE_PGM_RSRC2:TIDIG_COMP_CNT: 0
; COMPUTE_PGM_RSRC3_GFX90A:ACCUM_OFFSET: 0
; COMPUTE_PGM_RSRC3_GFX90A:TG_SPLIT: 0
	.section	.text._ZN7rocprim17ROCPRIM_400000_NS6detail17trampoline_kernelINS0_14default_configENS1_20scan_config_selectorIyEEZZNS1_9scan_implILNS1_25lookback_scan_determinismE0ELb0ELb0ES3_N6thrust23THRUST_200600_302600_NS6detail15normal_iteratorINS9_10device_ptrIyEEEENS9_16discard_iteratorINS9_11use_defaultEEEy11max_functorIyEyEEDaPvRmT3_T4_T5_mT6_P12ihipStream_tbENKUlT_T0_E_clISt17integral_constantIbLb1EESX_EEDaSS_ST_EUlSS_E_NS1_11comp_targetILNS1_3genE9ELNS1_11target_archE1100ELNS1_3gpuE3ELNS1_3repE0EEENS1_30default_config_static_selectorELNS0_4arch9wavefront6targetE1EEEvT1_,"axG",@progbits,_ZN7rocprim17ROCPRIM_400000_NS6detail17trampoline_kernelINS0_14default_configENS1_20scan_config_selectorIyEEZZNS1_9scan_implILNS1_25lookback_scan_determinismE0ELb0ELb0ES3_N6thrust23THRUST_200600_302600_NS6detail15normal_iteratorINS9_10device_ptrIyEEEENS9_16discard_iteratorINS9_11use_defaultEEEy11max_functorIyEyEEDaPvRmT3_T4_T5_mT6_P12ihipStream_tbENKUlT_T0_E_clISt17integral_constantIbLb1EESX_EEDaSS_ST_EUlSS_E_NS1_11comp_targetILNS1_3genE9ELNS1_11target_archE1100ELNS1_3gpuE3ELNS1_3repE0EEENS1_30default_config_static_selectorELNS0_4arch9wavefront6targetE1EEEvT1_,comdat
	.protected	_ZN7rocprim17ROCPRIM_400000_NS6detail17trampoline_kernelINS0_14default_configENS1_20scan_config_selectorIyEEZZNS1_9scan_implILNS1_25lookback_scan_determinismE0ELb0ELb0ES3_N6thrust23THRUST_200600_302600_NS6detail15normal_iteratorINS9_10device_ptrIyEEEENS9_16discard_iteratorINS9_11use_defaultEEEy11max_functorIyEyEEDaPvRmT3_T4_T5_mT6_P12ihipStream_tbENKUlT_T0_E_clISt17integral_constantIbLb1EESX_EEDaSS_ST_EUlSS_E_NS1_11comp_targetILNS1_3genE9ELNS1_11target_archE1100ELNS1_3gpuE3ELNS1_3repE0EEENS1_30default_config_static_selectorELNS0_4arch9wavefront6targetE1EEEvT1_ ; -- Begin function _ZN7rocprim17ROCPRIM_400000_NS6detail17trampoline_kernelINS0_14default_configENS1_20scan_config_selectorIyEEZZNS1_9scan_implILNS1_25lookback_scan_determinismE0ELb0ELb0ES3_N6thrust23THRUST_200600_302600_NS6detail15normal_iteratorINS9_10device_ptrIyEEEENS9_16discard_iteratorINS9_11use_defaultEEEy11max_functorIyEyEEDaPvRmT3_T4_T5_mT6_P12ihipStream_tbENKUlT_T0_E_clISt17integral_constantIbLb1EESX_EEDaSS_ST_EUlSS_E_NS1_11comp_targetILNS1_3genE9ELNS1_11target_archE1100ELNS1_3gpuE3ELNS1_3repE0EEENS1_30default_config_static_selectorELNS0_4arch9wavefront6targetE1EEEvT1_
	.globl	_ZN7rocprim17ROCPRIM_400000_NS6detail17trampoline_kernelINS0_14default_configENS1_20scan_config_selectorIyEEZZNS1_9scan_implILNS1_25lookback_scan_determinismE0ELb0ELb0ES3_N6thrust23THRUST_200600_302600_NS6detail15normal_iteratorINS9_10device_ptrIyEEEENS9_16discard_iteratorINS9_11use_defaultEEEy11max_functorIyEyEEDaPvRmT3_T4_T5_mT6_P12ihipStream_tbENKUlT_T0_E_clISt17integral_constantIbLb1EESX_EEDaSS_ST_EUlSS_E_NS1_11comp_targetILNS1_3genE9ELNS1_11target_archE1100ELNS1_3gpuE3ELNS1_3repE0EEENS1_30default_config_static_selectorELNS0_4arch9wavefront6targetE1EEEvT1_
	.p2align	8
	.type	_ZN7rocprim17ROCPRIM_400000_NS6detail17trampoline_kernelINS0_14default_configENS1_20scan_config_selectorIyEEZZNS1_9scan_implILNS1_25lookback_scan_determinismE0ELb0ELb0ES3_N6thrust23THRUST_200600_302600_NS6detail15normal_iteratorINS9_10device_ptrIyEEEENS9_16discard_iteratorINS9_11use_defaultEEEy11max_functorIyEyEEDaPvRmT3_T4_T5_mT6_P12ihipStream_tbENKUlT_T0_E_clISt17integral_constantIbLb1EESX_EEDaSS_ST_EUlSS_E_NS1_11comp_targetILNS1_3genE9ELNS1_11target_archE1100ELNS1_3gpuE3ELNS1_3repE0EEENS1_30default_config_static_selectorELNS0_4arch9wavefront6targetE1EEEvT1_,@function
_ZN7rocprim17ROCPRIM_400000_NS6detail17trampoline_kernelINS0_14default_configENS1_20scan_config_selectorIyEEZZNS1_9scan_implILNS1_25lookback_scan_determinismE0ELb0ELb0ES3_N6thrust23THRUST_200600_302600_NS6detail15normal_iteratorINS9_10device_ptrIyEEEENS9_16discard_iteratorINS9_11use_defaultEEEy11max_functorIyEyEEDaPvRmT3_T4_T5_mT6_P12ihipStream_tbENKUlT_T0_E_clISt17integral_constantIbLb1EESX_EEDaSS_ST_EUlSS_E_NS1_11comp_targetILNS1_3genE9ELNS1_11target_archE1100ELNS1_3gpuE3ELNS1_3repE0EEENS1_30default_config_static_selectorELNS0_4arch9wavefront6targetE1EEEvT1_: ; @_ZN7rocprim17ROCPRIM_400000_NS6detail17trampoline_kernelINS0_14default_configENS1_20scan_config_selectorIyEEZZNS1_9scan_implILNS1_25lookback_scan_determinismE0ELb0ELb0ES3_N6thrust23THRUST_200600_302600_NS6detail15normal_iteratorINS9_10device_ptrIyEEEENS9_16discard_iteratorINS9_11use_defaultEEEy11max_functorIyEyEEDaPvRmT3_T4_T5_mT6_P12ihipStream_tbENKUlT_T0_E_clISt17integral_constantIbLb1EESX_EEDaSS_ST_EUlSS_E_NS1_11comp_targetILNS1_3genE9ELNS1_11target_archE1100ELNS1_3gpuE3ELNS1_3repE0EEENS1_30default_config_static_selectorELNS0_4arch9wavefront6targetE1EEEvT1_
; %bb.0:
	.section	.rodata,"a",@progbits
	.p2align	6, 0x0
	.amdhsa_kernel _ZN7rocprim17ROCPRIM_400000_NS6detail17trampoline_kernelINS0_14default_configENS1_20scan_config_selectorIyEEZZNS1_9scan_implILNS1_25lookback_scan_determinismE0ELb0ELb0ES3_N6thrust23THRUST_200600_302600_NS6detail15normal_iteratorINS9_10device_ptrIyEEEENS9_16discard_iteratorINS9_11use_defaultEEEy11max_functorIyEyEEDaPvRmT3_T4_T5_mT6_P12ihipStream_tbENKUlT_T0_E_clISt17integral_constantIbLb1EESX_EEDaSS_ST_EUlSS_E_NS1_11comp_targetILNS1_3genE9ELNS1_11target_archE1100ELNS1_3gpuE3ELNS1_3repE0EEENS1_30default_config_static_selectorELNS0_4arch9wavefront6targetE1EEEvT1_
		.amdhsa_group_segment_fixed_size 0
		.amdhsa_private_segment_fixed_size 0
		.amdhsa_kernarg_size 112
		.amdhsa_user_sgpr_count 6
		.amdhsa_user_sgpr_private_segment_buffer 1
		.amdhsa_user_sgpr_dispatch_ptr 0
		.amdhsa_user_sgpr_queue_ptr 0
		.amdhsa_user_sgpr_kernarg_segment_ptr 1
		.amdhsa_user_sgpr_dispatch_id 0
		.amdhsa_user_sgpr_flat_scratch_init 0
		.amdhsa_user_sgpr_kernarg_preload_length 0
		.amdhsa_user_sgpr_kernarg_preload_offset 0
		.amdhsa_user_sgpr_private_segment_size 0
		.amdhsa_uses_dynamic_stack 0
		.amdhsa_system_sgpr_private_segment_wavefront_offset 0
		.amdhsa_system_sgpr_workgroup_id_x 1
		.amdhsa_system_sgpr_workgroup_id_y 0
		.amdhsa_system_sgpr_workgroup_id_z 0
		.amdhsa_system_sgpr_workgroup_info 0
		.amdhsa_system_vgpr_workitem_id 0
		.amdhsa_next_free_vgpr 1
		.amdhsa_next_free_sgpr 0
		.amdhsa_accum_offset 4
		.amdhsa_reserve_vcc 0
		.amdhsa_reserve_flat_scratch 0
		.amdhsa_float_round_mode_32 0
		.amdhsa_float_round_mode_16_64 0
		.amdhsa_float_denorm_mode_32 3
		.amdhsa_float_denorm_mode_16_64 3
		.amdhsa_dx10_clamp 1
		.amdhsa_ieee_mode 1
		.amdhsa_fp16_overflow 0
		.amdhsa_tg_split 0
		.amdhsa_exception_fp_ieee_invalid_op 0
		.amdhsa_exception_fp_denorm_src 0
		.amdhsa_exception_fp_ieee_div_zero 0
		.amdhsa_exception_fp_ieee_overflow 0
		.amdhsa_exception_fp_ieee_underflow 0
		.amdhsa_exception_fp_ieee_inexact 0
		.amdhsa_exception_int_div_zero 0
	.end_amdhsa_kernel
	.section	.text._ZN7rocprim17ROCPRIM_400000_NS6detail17trampoline_kernelINS0_14default_configENS1_20scan_config_selectorIyEEZZNS1_9scan_implILNS1_25lookback_scan_determinismE0ELb0ELb0ES3_N6thrust23THRUST_200600_302600_NS6detail15normal_iteratorINS9_10device_ptrIyEEEENS9_16discard_iteratorINS9_11use_defaultEEEy11max_functorIyEyEEDaPvRmT3_T4_T5_mT6_P12ihipStream_tbENKUlT_T0_E_clISt17integral_constantIbLb1EESX_EEDaSS_ST_EUlSS_E_NS1_11comp_targetILNS1_3genE9ELNS1_11target_archE1100ELNS1_3gpuE3ELNS1_3repE0EEENS1_30default_config_static_selectorELNS0_4arch9wavefront6targetE1EEEvT1_,"axG",@progbits,_ZN7rocprim17ROCPRIM_400000_NS6detail17trampoline_kernelINS0_14default_configENS1_20scan_config_selectorIyEEZZNS1_9scan_implILNS1_25lookback_scan_determinismE0ELb0ELb0ES3_N6thrust23THRUST_200600_302600_NS6detail15normal_iteratorINS9_10device_ptrIyEEEENS9_16discard_iteratorINS9_11use_defaultEEEy11max_functorIyEyEEDaPvRmT3_T4_T5_mT6_P12ihipStream_tbENKUlT_T0_E_clISt17integral_constantIbLb1EESX_EEDaSS_ST_EUlSS_E_NS1_11comp_targetILNS1_3genE9ELNS1_11target_archE1100ELNS1_3gpuE3ELNS1_3repE0EEENS1_30default_config_static_selectorELNS0_4arch9wavefront6targetE1EEEvT1_,comdat
.Lfunc_end3303:
	.size	_ZN7rocprim17ROCPRIM_400000_NS6detail17trampoline_kernelINS0_14default_configENS1_20scan_config_selectorIyEEZZNS1_9scan_implILNS1_25lookback_scan_determinismE0ELb0ELb0ES3_N6thrust23THRUST_200600_302600_NS6detail15normal_iteratorINS9_10device_ptrIyEEEENS9_16discard_iteratorINS9_11use_defaultEEEy11max_functorIyEyEEDaPvRmT3_T4_T5_mT6_P12ihipStream_tbENKUlT_T0_E_clISt17integral_constantIbLb1EESX_EEDaSS_ST_EUlSS_E_NS1_11comp_targetILNS1_3genE9ELNS1_11target_archE1100ELNS1_3gpuE3ELNS1_3repE0EEENS1_30default_config_static_selectorELNS0_4arch9wavefront6targetE1EEEvT1_, .Lfunc_end3303-_ZN7rocprim17ROCPRIM_400000_NS6detail17trampoline_kernelINS0_14default_configENS1_20scan_config_selectorIyEEZZNS1_9scan_implILNS1_25lookback_scan_determinismE0ELb0ELb0ES3_N6thrust23THRUST_200600_302600_NS6detail15normal_iteratorINS9_10device_ptrIyEEEENS9_16discard_iteratorINS9_11use_defaultEEEy11max_functorIyEyEEDaPvRmT3_T4_T5_mT6_P12ihipStream_tbENKUlT_T0_E_clISt17integral_constantIbLb1EESX_EEDaSS_ST_EUlSS_E_NS1_11comp_targetILNS1_3genE9ELNS1_11target_archE1100ELNS1_3gpuE3ELNS1_3repE0EEENS1_30default_config_static_selectorELNS0_4arch9wavefront6targetE1EEEvT1_
                                        ; -- End function
	.section	.AMDGPU.csdata,"",@progbits
; Kernel info:
; codeLenInByte = 0
; NumSgprs: 4
; NumVgprs: 0
; NumAgprs: 0
; TotalNumVgprs: 0
; ScratchSize: 0
; MemoryBound: 0
; FloatMode: 240
; IeeeMode: 1
; LDSByteSize: 0 bytes/workgroup (compile time only)
; SGPRBlocks: 0
; VGPRBlocks: 0
; NumSGPRsForWavesPerEU: 4
; NumVGPRsForWavesPerEU: 1
; AccumOffset: 4
; Occupancy: 8
; WaveLimiterHint : 0
; COMPUTE_PGM_RSRC2:SCRATCH_EN: 0
; COMPUTE_PGM_RSRC2:USER_SGPR: 6
; COMPUTE_PGM_RSRC2:TRAP_HANDLER: 0
; COMPUTE_PGM_RSRC2:TGID_X_EN: 1
; COMPUTE_PGM_RSRC2:TGID_Y_EN: 0
; COMPUTE_PGM_RSRC2:TGID_Z_EN: 0
; COMPUTE_PGM_RSRC2:TIDIG_COMP_CNT: 0
; COMPUTE_PGM_RSRC3_GFX90A:ACCUM_OFFSET: 0
; COMPUTE_PGM_RSRC3_GFX90A:TG_SPLIT: 0
	.section	.text._ZN7rocprim17ROCPRIM_400000_NS6detail17trampoline_kernelINS0_14default_configENS1_20scan_config_selectorIyEEZZNS1_9scan_implILNS1_25lookback_scan_determinismE0ELb0ELb0ES3_N6thrust23THRUST_200600_302600_NS6detail15normal_iteratorINS9_10device_ptrIyEEEENS9_16discard_iteratorINS9_11use_defaultEEEy11max_functorIyEyEEDaPvRmT3_T4_T5_mT6_P12ihipStream_tbENKUlT_T0_E_clISt17integral_constantIbLb1EESX_EEDaSS_ST_EUlSS_E_NS1_11comp_targetILNS1_3genE8ELNS1_11target_archE1030ELNS1_3gpuE2ELNS1_3repE0EEENS1_30default_config_static_selectorELNS0_4arch9wavefront6targetE1EEEvT1_,"axG",@progbits,_ZN7rocprim17ROCPRIM_400000_NS6detail17trampoline_kernelINS0_14default_configENS1_20scan_config_selectorIyEEZZNS1_9scan_implILNS1_25lookback_scan_determinismE0ELb0ELb0ES3_N6thrust23THRUST_200600_302600_NS6detail15normal_iteratorINS9_10device_ptrIyEEEENS9_16discard_iteratorINS9_11use_defaultEEEy11max_functorIyEyEEDaPvRmT3_T4_T5_mT6_P12ihipStream_tbENKUlT_T0_E_clISt17integral_constantIbLb1EESX_EEDaSS_ST_EUlSS_E_NS1_11comp_targetILNS1_3genE8ELNS1_11target_archE1030ELNS1_3gpuE2ELNS1_3repE0EEENS1_30default_config_static_selectorELNS0_4arch9wavefront6targetE1EEEvT1_,comdat
	.protected	_ZN7rocprim17ROCPRIM_400000_NS6detail17trampoline_kernelINS0_14default_configENS1_20scan_config_selectorIyEEZZNS1_9scan_implILNS1_25lookback_scan_determinismE0ELb0ELb0ES3_N6thrust23THRUST_200600_302600_NS6detail15normal_iteratorINS9_10device_ptrIyEEEENS9_16discard_iteratorINS9_11use_defaultEEEy11max_functorIyEyEEDaPvRmT3_T4_T5_mT6_P12ihipStream_tbENKUlT_T0_E_clISt17integral_constantIbLb1EESX_EEDaSS_ST_EUlSS_E_NS1_11comp_targetILNS1_3genE8ELNS1_11target_archE1030ELNS1_3gpuE2ELNS1_3repE0EEENS1_30default_config_static_selectorELNS0_4arch9wavefront6targetE1EEEvT1_ ; -- Begin function _ZN7rocprim17ROCPRIM_400000_NS6detail17trampoline_kernelINS0_14default_configENS1_20scan_config_selectorIyEEZZNS1_9scan_implILNS1_25lookback_scan_determinismE0ELb0ELb0ES3_N6thrust23THRUST_200600_302600_NS6detail15normal_iteratorINS9_10device_ptrIyEEEENS9_16discard_iteratorINS9_11use_defaultEEEy11max_functorIyEyEEDaPvRmT3_T4_T5_mT6_P12ihipStream_tbENKUlT_T0_E_clISt17integral_constantIbLb1EESX_EEDaSS_ST_EUlSS_E_NS1_11comp_targetILNS1_3genE8ELNS1_11target_archE1030ELNS1_3gpuE2ELNS1_3repE0EEENS1_30default_config_static_selectorELNS0_4arch9wavefront6targetE1EEEvT1_
	.globl	_ZN7rocprim17ROCPRIM_400000_NS6detail17trampoline_kernelINS0_14default_configENS1_20scan_config_selectorIyEEZZNS1_9scan_implILNS1_25lookback_scan_determinismE0ELb0ELb0ES3_N6thrust23THRUST_200600_302600_NS6detail15normal_iteratorINS9_10device_ptrIyEEEENS9_16discard_iteratorINS9_11use_defaultEEEy11max_functorIyEyEEDaPvRmT3_T4_T5_mT6_P12ihipStream_tbENKUlT_T0_E_clISt17integral_constantIbLb1EESX_EEDaSS_ST_EUlSS_E_NS1_11comp_targetILNS1_3genE8ELNS1_11target_archE1030ELNS1_3gpuE2ELNS1_3repE0EEENS1_30default_config_static_selectorELNS0_4arch9wavefront6targetE1EEEvT1_
	.p2align	8
	.type	_ZN7rocprim17ROCPRIM_400000_NS6detail17trampoline_kernelINS0_14default_configENS1_20scan_config_selectorIyEEZZNS1_9scan_implILNS1_25lookback_scan_determinismE0ELb0ELb0ES3_N6thrust23THRUST_200600_302600_NS6detail15normal_iteratorINS9_10device_ptrIyEEEENS9_16discard_iteratorINS9_11use_defaultEEEy11max_functorIyEyEEDaPvRmT3_T4_T5_mT6_P12ihipStream_tbENKUlT_T0_E_clISt17integral_constantIbLb1EESX_EEDaSS_ST_EUlSS_E_NS1_11comp_targetILNS1_3genE8ELNS1_11target_archE1030ELNS1_3gpuE2ELNS1_3repE0EEENS1_30default_config_static_selectorELNS0_4arch9wavefront6targetE1EEEvT1_,@function
_ZN7rocprim17ROCPRIM_400000_NS6detail17trampoline_kernelINS0_14default_configENS1_20scan_config_selectorIyEEZZNS1_9scan_implILNS1_25lookback_scan_determinismE0ELb0ELb0ES3_N6thrust23THRUST_200600_302600_NS6detail15normal_iteratorINS9_10device_ptrIyEEEENS9_16discard_iteratorINS9_11use_defaultEEEy11max_functorIyEyEEDaPvRmT3_T4_T5_mT6_P12ihipStream_tbENKUlT_T0_E_clISt17integral_constantIbLb1EESX_EEDaSS_ST_EUlSS_E_NS1_11comp_targetILNS1_3genE8ELNS1_11target_archE1030ELNS1_3gpuE2ELNS1_3repE0EEENS1_30default_config_static_selectorELNS0_4arch9wavefront6targetE1EEEvT1_: ; @_ZN7rocprim17ROCPRIM_400000_NS6detail17trampoline_kernelINS0_14default_configENS1_20scan_config_selectorIyEEZZNS1_9scan_implILNS1_25lookback_scan_determinismE0ELb0ELb0ES3_N6thrust23THRUST_200600_302600_NS6detail15normal_iteratorINS9_10device_ptrIyEEEENS9_16discard_iteratorINS9_11use_defaultEEEy11max_functorIyEyEEDaPvRmT3_T4_T5_mT6_P12ihipStream_tbENKUlT_T0_E_clISt17integral_constantIbLb1EESX_EEDaSS_ST_EUlSS_E_NS1_11comp_targetILNS1_3genE8ELNS1_11target_archE1030ELNS1_3gpuE2ELNS1_3repE0EEENS1_30default_config_static_selectorELNS0_4arch9wavefront6targetE1EEEvT1_
; %bb.0:
	.section	.rodata,"a",@progbits
	.p2align	6, 0x0
	.amdhsa_kernel _ZN7rocprim17ROCPRIM_400000_NS6detail17trampoline_kernelINS0_14default_configENS1_20scan_config_selectorIyEEZZNS1_9scan_implILNS1_25lookback_scan_determinismE0ELb0ELb0ES3_N6thrust23THRUST_200600_302600_NS6detail15normal_iteratorINS9_10device_ptrIyEEEENS9_16discard_iteratorINS9_11use_defaultEEEy11max_functorIyEyEEDaPvRmT3_T4_T5_mT6_P12ihipStream_tbENKUlT_T0_E_clISt17integral_constantIbLb1EESX_EEDaSS_ST_EUlSS_E_NS1_11comp_targetILNS1_3genE8ELNS1_11target_archE1030ELNS1_3gpuE2ELNS1_3repE0EEENS1_30default_config_static_selectorELNS0_4arch9wavefront6targetE1EEEvT1_
		.amdhsa_group_segment_fixed_size 0
		.amdhsa_private_segment_fixed_size 0
		.amdhsa_kernarg_size 112
		.amdhsa_user_sgpr_count 6
		.amdhsa_user_sgpr_private_segment_buffer 1
		.amdhsa_user_sgpr_dispatch_ptr 0
		.amdhsa_user_sgpr_queue_ptr 0
		.amdhsa_user_sgpr_kernarg_segment_ptr 1
		.amdhsa_user_sgpr_dispatch_id 0
		.amdhsa_user_sgpr_flat_scratch_init 0
		.amdhsa_user_sgpr_kernarg_preload_length 0
		.amdhsa_user_sgpr_kernarg_preload_offset 0
		.amdhsa_user_sgpr_private_segment_size 0
		.amdhsa_uses_dynamic_stack 0
		.amdhsa_system_sgpr_private_segment_wavefront_offset 0
		.amdhsa_system_sgpr_workgroup_id_x 1
		.amdhsa_system_sgpr_workgroup_id_y 0
		.amdhsa_system_sgpr_workgroup_id_z 0
		.amdhsa_system_sgpr_workgroup_info 0
		.amdhsa_system_vgpr_workitem_id 0
		.amdhsa_next_free_vgpr 1
		.amdhsa_next_free_sgpr 0
		.amdhsa_accum_offset 4
		.amdhsa_reserve_vcc 0
		.amdhsa_reserve_flat_scratch 0
		.amdhsa_float_round_mode_32 0
		.amdhsa_float_round_mode_16_64 0
		.amdhsa_float_denorm_mode_32 3
		.amdhsa_float_denorm_mode_16_64 3
		.amdhsa_dx10_clamp 1
		.amdhsa_ieee_mode 1
		.amdhsa_fp16_overflow 0
		.amdhsa_tg_split 0
		.amdhsa_exception_fp_ieee_invalid_op 0
		.amdhsa_exception_fp_denorm_src 0
		.amdhsa_exception_fp_ieee_div_zero 0
		.amdhsa_exception_fp_ieee_overflow 0
		.amdhsa_exception_fp_ieee_underflow 0
		.amdhsa_exception_fp_ieee_inexact 0
		.amdhsa_exception_int_div_zero 0
	.end_amdhsa_kernel
	.section	.text._ZN7rocprim17ROCPRIM_400000_NS6detail17trampoline_kernelINS0_14default_configENS1_20scan_config_selectorIyEEZZNS1_9scan_implILNS1_25lookback_scan_determinismE0ELb0ELb0ES3_N6thrust23THRUST_200600_302600_NS6detail15normal_iteratorINS9_10device_ptrIyEEEENS9_16discard_iteratorINS9_11use_defaultEEEy11max_functorIyEyEEDaPvRmT3_T4_T5_mT6_P12ihipStream_tbENKUlT_T0_E_clISt17integral_constantIbLb1EESX_EEDaSS_ST_EUlSS_E_NS1_11comp_targetILNS1_3genE8ELNS1_11target_archE1030ELNS1_3gpuE2ELNS1_3repE0EEENS1_30default_config_static_selectorELNS0_4arch9wavefront6targetE1EEEvT1_,"axG",@progbits,_ZN7rocprim17ROCPRIM_400000_NS6detail17trampoline_kernelINS0_14default_configENS1_20scan_config_selectorIyEEZZNS1_9scan_implILNS1_25lookback_scan_determinismE0ELb0ELb0ES3_N6thrust23THRUST_200600_302600_NS6detail15normal_iteratorINS9_10device_ptrIyEEEENS9_16discard_iteratorINS9_11use_defaultEEEy11max_functorIyEyEEDaPvRmT3_T4_T5_mT6_P12ihipStream_tbENKUlT_T0_E_clISt17integral_constantIbLb1EESX_EEDaSS_ST_EUlSS_E_NS1_11comp_targetILNS1_3genE8ELNS1_11target_archE1030ELNS1_3gpuE2ELNS1_3repE0EEENS1_30default_config_static_selectorELNS0_4arch9wavefront6targetE1EEEvT1_,comdat
.Lfunc_end3304:
	.size	_ZN7rocprim17ROCPRIM_400000_NS6detail17trampoline_kernelINS0_14default_configENS1_20scan_config_selectorIyEEZZNS1_9scan_implILNS1_25lookback_scan_determinismE0ELb0ELb0ES3_N6thrust23THRUST_200600_302600_NS6detail15normal_iteratorINS9_10device_ptrIyEEEENS9_16discard_iteratorINS9_11use_defaultEEEy11max_functorIyEyEEDaPvRmT3_T4_T5_mT6_P12ihipStream_tbENKUlT_T0_E_clISt17integral_constantIbLb1EESX_EEDaSS_ST_EUlSS_E_NS1_11comp_targetILNS1_3genE8ELNS1_11target_archE1030ELNS1_3gpuE2ELNS1_3repE0EEENS1_30default_config_static_selectorELNS0_4arch9wavefront6targetE1EEEvT1_, .Lfunc_end3304-_ZN7rocprim17ROCPRIM_400000_NS6detail17trampoline_kernelINS0_14default_configENS1_20scan_config_selectorIyEEZZNS1_9scan_implILNS1_25lookback_scan_determinismE0ELb0ELb0ES3_N6thrust23THRUST_200600_302600_NS6detail15normal_iteratorINS9_10device_ptrIyEEEENS9_16discard_iteratorINS9_11use_defaultEEEy11max_functorIyEyEEDaPvRmT3_T4_T5_mT6_P12ihipStream_tbENKUlT_T0_E_clISt17integral_constantIbLb1EESX_EEDaSS_ST_EUlSS_E_NS1_11comp_targetILNS1_3genE8ELNS1_11target_archE1030ELNS1_3gpuE2ELNS1_3repE0EEENS1_30default_config_static_selectorELNS0_4arch9wavefront6targetE1EEEvT1_
                                        ; -- End function
	.section	.AMDGPU.csdata,"",@progbits
; Kernel info:
; codeLenInByte = 0
; NumSgprs: 4
; NumVgprs: 0
; NumAgprs: 0
; TotalNumVgprs: 0
; ScratchSize: 0
; MemoryBound: 0
; FloatMode: 240
; IeeeMode: 1
; LDSByteSize: 0 bytes/workgroup (compile time only)
; SGPRBlocks: 0
; VGPRBlocks: 0
; NumSGPRsForWavesPerEU: 4
; NumVGPRsForWavesPerEU: 1
; AccumOffset: 4
; Occupancy: 8
; WaveLimiterHint : 0
; COMPUTE_PGM_RSRC2:SCRATCH_EN: 0
; COMPUTE_PGM_RSRC2:USER_SGPR: 6
; COMPUTE_PGM_RSRC2:TRAP_HANDLER: 0
; COMPUTE_PGM_RSRC2:TGID_X_EN: 1
; COMPUTE_PGM_RSRC2:TGID_Y_EN: 0
; COMPUTE_PGM_RSRC2:TGID_Z_EN: 0
; COMPUTE_PGM_RSRC2:TIDIG_COMP_CNT: 0
; COMPUTE_PGM_RSRC3_GFX90A:ACCUM_OFFSET: 0
; COMPUTE_PGM_RSRC3_GFX90A:TG_SPLIT: 0
	.section	.text._ZN7rocprim17ROCPRIM_400000_NS6detail17trampoline_kernelINS0_14default_configENS1_20scan_config_selectorIyEEZZNS1_9scan_implILNS1_25lookback_scan_determinismE0ELb0ELb0ES3_N6thrust23THRUST_200600_302600_NS6detail15normal_iteratorINS9_10device_ptrIyEEEENS9_16discard_iteratorINS9_11use_defaultEEEy11max_functorIyEyEEDaPvRmT3_T4_T5_mT6_P12ihipStream_tbENKUlT_T0_E_clISt17integral_constantIbLb1EESX_EEDaSS_ST_EUlSS_E0_NS1_11comp_targetILNS1_3genE0ELNS1_11target_archE4294967295ELNS1_3gpuE0ELNS1_3repE0EEENS1_30default_config_static_selectorELNS0_4arch9wavefront6targetE1EEEvT1_,"axG",@progbits,_ZN7rocprim17ROCPRIM_400000_NS6detail17trampoline_kernelINS0_14default_configENS1_20scan_config_selectorIyEEZZNS1_9scan_implILNS1_25lookback_scan_determinismE0ELb0ELb0ES3_N6thrust23THRUST_200600_302600_NS6detail15normal_iteratorINS9_10device_ptrIyEEEENS9_16discard_iteratorINS9_11use_defaultEEEy11max_functorIyEyEEDaPvRmT3_T4_T5_mT6_P12ihipStream_tbENKUlT_T0_E_clISt17integral_constantIbLb1EESX_EEDaSS_ST_EUlSS_E0_NS1_11comp_targetILNS1_3genE0ELNS1_11target_archE4294967295ELNS1_3gpuE0ELNS1_3repE0EEENS1_30default_config_static_selectorELNS0_4arch9wavefront6targetE1EEEvT1_,comdat
	.protected	_ZN7rocprim17ROCPRIM_400000_NS6detail17trampoline_kernelINS0_14default_configENS1_20scan_config_selectorIyEEZZNS1_9scan_implILNS1_25lookback_scan_determinismE0ELb0ELb0ES3_N6thrust23THRUST_200600_302600_NS6detail15normal_iteratorINS9_10device_ptrIyEEEENS9_16discard_iteratorINS9_11use_defaultEEEy11max_functorIyEyEEDaPvRmT3_T4_T5_mT6_P12ihipStream_tbENKUlT_T0_E_clISt17integral_constantIbLb1EESX_EEDaSS_ST_EUlSS_E0_NS1_11comp_targetILNS1_3genE0ELNS1_11target_archE4294967295ELNS1_3gpuE0ELNS1_3repE0EEENS1_30default_config_static_selectorELNS0_4arch9wavefront6targetE1EEEvT1_ ; -- Begin function _ZN7rocprim17ROCPRIM_400000_NS6detail17trampoline_kernelINS0_14default_configENS1_20scan_config_selectorIyEEZZNS1_9scan_implILNS1_25lookback_scan_determinismE0ELb0ELb0ES3_N6thrust23THRUST_200600_302600_NS6detail15normal_iteratorINS9_10device_ptrIyEEEENS9_16discard_iteratorINS9_11use_defaultEEEy11max_functorIyEyEEDaPvRmT3_T4_T5_mT6_P12ihipStream_tbENKUlT_T0_E_clISt17integral_constantIbLb1EESX_EEDaSS_ST_EUlSS_E0_NS1_11comp_targetILNS1_3genE0ELNS1_11target_archE4294967295ELNS1_3gpuE0ELNS1_3repE0EEENS1_30default_config_static_selectorELNS0_4arch9wavefront6targetE1EEEvT1_
	.globl	_ZN7rocprim17ROCPRIM_400000_NS6detail17trampoline_kernelINS0_14default_configENS1_20scan_config_selectorIyEEZZNS1_9scan_implILNS1_25lookback_scan_determinismE0ELb0ELb0ES3_N6thrust23THRUST_200600_302600_NS6detail15normal_iteratorINS9_10device_ptrIyEEEENS9_16discard_iteratorINS9_11use_defaultEEEy11max_functorIyEyEEDaPvRmT3_T4_T5_mT6_P12ihipStream_tbENKUlT_T0_E_clISt17integral_constantIbLb1EESX_EEDaSS_ST_EUlSS_E0_NS1_11comp_targetILNS1_3genE0ELNS1_11target_archE4294967295ELNS1_3gpuE0ELNS1_3repE0EEENS1_30default_config_static_selectorELNS0_4arch9wavefront6targetE1EEEvT1_
	.p2align	8
	.type	_ZN7rocprim17ROCPRIM_400000_NS6detail17trampoline_kernelINS0_14default_configENS1_20scan_config_selectorIyEEZZNS1_9scan_implILNS1_25lookback_scan_determinismE0ELb0ELb0ES3_N6thrust23THRUST_200600_302600_NS6detail15normal_iteratorINS9_10device_ptrIyEEEENS9_16discard_iteratorINS9_11use_defaultEEEy11max_functorIyEyEEDaPvRmT3_T4_T5_mT6_P12ihipStream_tbENKUlT_T0_E_clISt17integral_constantIbLb1EESX_EEDaSS_ST_EUlSS_E0_NS1_11comp_targetILNS1_3genE0ELNS1_11target_archE4294967295ELNS1_3gpuE0ELNS1_3repE0EEENS1_30default_config_static_selectorELNS0_4arch9wavefront6targetE1EEEvT1_,@function
_ZN7rocprim17ROCPRIM_400000_NS6detail17trampoline_kernelINS0_14default_configENS1_20scan_config_selectorIyEEZZNS1_9scan_implILNS1_25lookback_scan_determinismE0ELb0ELb0ES3_N6thrust23THRUST_200600_302600_NS6detail15normal_iteratorINS9_10device_ptrIyEEEENS9_16discard_iteratorINS9_11use_defaultEEEy11max_functorIyEyEEDaPvRmT3_T4_T5_mT6_P12ihipStream_tbENKUlT_T0_E_clISt17integral_constantIbLb1EESX_EEDaSS_ST_EUlSS_E0_NS1_11comp_targetILNS1_3genE0ELNS1_11target_archE4294967295ELNS1_3gpuE0ELNS1_3repE0EEENS1_30default_config_static_selectorELNS0_4arch9wavefront6targetE1EEEvT1_: ; @_ZN7rocprim17ROCPRIM_400000_NS6detail17trampoline_kernelINS0_14default_configENS1_20scan_config_selectorIyEEZZNS1_9scan_implILNS1_25lookback_scan_determinismE0ELb0ELb0ES3_N6thrust23THRUST_200600_302600_NS6detail15normal_iteratorINS9_10device_ptrIyEEEENS9_16discard_iteratorINS9_11use_defaultEEEy11max_functorIyEyEEDaPvRmT3_T4_T5_mT6_P12ihipStream_tbENKUlT_T0_E_clISt17integral_constantIbLb1EESX_EEDaSS_ST_EUlSS_E0_NS1_11comp_targetILNS1_3genE0ELNS1_11target_archE4294967295ELNS1_3gpuE0ELNS1_3repE0EEENS1_30default_config_static_selectorELNS0_4arch9wavefront6targetE1EEEvT1_
; %bb.0:
	.section	.rodata,"a",@progbits
	.p2align	6, 0x0
	.amdhsa_kernel _ZN7rocprim17ROCPRIM_400000_NS6detail17trampoline_kernelINS0_14default_configENS1_20scan_config_selectorIyEEZZNS1_9scan_implILNS1_25lookback_scan_determinismE0ELb0ELb0ES3_N6thrust23THRUST_200600_302600_NS6detail15normal_iteratorINS9_10device_ptrIyEEEENS9_16discard_iteratorINS9_11use_defaultEEEy11max_functorIyEyEEDaPvRmT3_T4_T5_mT6_P12ihipStream_tbENKUlT_T0_E_clISt17integral_constantIbLb1EESX_EEDaSS_ST_EUlSS_E0_NS1_11comp_targetILNS1_3genE0ELNS1_11target_archE4294967295ELNS1_3gpuE0ELNS1_3repE0EEENS1_30default_config_static_selectorELNS0_4arch9wavefront6targetE1EEEvT1_
		.amdhsa_group_segment_fixed_size 0
		.amdhsa_private_segment_fixed_size 0
		.amdhsa_kernarg_size 48
		.amdhsa_user_sgpr_count 6
		.amdhsa_user_sgpr_private_segment_buffer 1
		.amdhsa_user_sgpr_dispatch_ptr 0
		.amdhsa_user_sgpr_queue_ptr 0
		.amdhsa_user_sgpr_kernarg_segment_ptr 1
		.amdhsa_user_sgpr_dispatch_id 0
		.amdhsa_user_sgpr_flat_scratch_init 0
		.amdhsa_user_sgpr_kernarg_preload_length 0
		.amdhsa_user_sgpr_kernarg_preload_offset 0
		.amdhsa_user_sgpr_private_segment_size 0
		.amdhsa_uses_dynamic_stack 0
		.amdhsa_system_sgpr_private_segment_wavefront_offset 0
		.amdhsa_system_sgpr_workgroup_id_x 1
		.amdhsa_system_sgpr_workgroup_id_y 0
		.amdhsa_system_sgpr_workgroup_id_z 0
		.amdhsa_system_sgpr_workgroup_info 0
		.amdhsa_system_vgpr_workitem_id 0
		.amdhsa_next_free_vgpr 1
		.amdhsa_next_free_sgpr 0
		.amdhsa_accum_offset 4
		.amdhsa_reserve_vcc 0
		.amdhsa_reserve_flat_scratch 0
		.amdhsa_float_round_mode_32 0
		.amdhsa_float_round_mode_16_64 0
		.amdhsa_float_denorm_mode_32 3
		.amdhsa_float_denorm_mode_16_64 3
		.amdhsa_dx10_clamp 1
		.amdhsa_ieee_mode 1
		.amdhsa_fp16_overflow 0
		.amdhsa_tg_split 0
		.amdhsa_exception_fp_ieee_invalid_op 0
		.amdhsa_exception_fp_denorm_src 0
		.amdhsa_exception_fp_ieee_div_zero 0
		.amdhsa_exception_fp_ieee_overflow 0
		.amdhsa_exception_fp_ieee_underflow 0
		.amdhsa_exception_fp_ieee_inexact 0
		.amdhsa_exception_int_div_zero 0
	.end_amdhsa_kernel
	.section	.text._ZN7rocprim17ROCPRIM_400000_NS6detail17trampoline_kernelINS0_14default_configENS1_20scan_config_selectorIyEEZZNS1_9scan_implILNS1_25lookback_scan_determinismE0ELb0ELb0ES3_N6thrust23THRUST_200600_302600_NS6detail15normal_iteratorINS9_10device_ptrIyEEEENS9_16discard_iteratorINS9_11use_defaultEEEy11max_functorIyEyEEDaPvRmT3_T4_T5_mT6_P12ihipStream_tbENKUlT_T0_E_clISt17integral_constantIbLb1EESX_EEDaSS_ST_EUlSS_E0_NS1_11comp_targetILNS1_3genE0ELNS1_11target_archE4294967295ELNS1_3gpuE0ELNS1_3repE0EEENS1_30default_config_static_selectorELNS0_4arch9wavefront6targetE1EEEvT1_,"axG",@progbits,_ZN7rocprim17ROCPRIM_400000_NS6detail17trampoline_kernelINS0_14default_configENS1_20scan_config_selectorIyEEZZNS1_9scan_implILNS1_25lookback_scan_determinismE0ELb0ELb0ES3_N6thrust23THRUST_200600_302600_NS6detail15normal_iteratorINS9_10device_ptrIyEEEENS9_16discard_iteratorINS9_11use_defaultEEEy11max_functorIyEyEEDaPvRmT3_T4_T5_mT6_P12ihipStream_tbENKUlT_T0_E_clISt17integral_constantIbLb1EESX_EEDaSS_ST_EUlSS_E0_NS1_11comp_targetILNS1_3genE0ELNS1_11target_archE4294967295ELNS1_3gpuE0ELNS1_3repE0EEENS1_30default_config_static_selectorELNS0_4arch9wavefront6targetE1EEEvT1_,comdat
.Lfunc_end3305:
	.size	_ZN7rocprim17ROCPRIM_400000_NS6detail17trampoline_kernelINS0_14default_configENS1_20scan_config_selectorIyEEZZNS1_9scan_implILNS1_25lookback_scan_determinismE0ELb0ELb0ES3_N6thrust23THRUST_200600_302600_NS6detail15normal_iteratorINS9_10device_ptrIyEEEENS9_16discard_iteratorINS9_11use_defaultEEEy11max_functorIyEyEEDaPvRmT3_T4_T5_mT6_P12ihipStream_tbENKUlT_T0_E_clISt17integral_constantIbLb1EESX_EEDaSS_ST_EUlSS_E0_NS1_11comp_targetILNS1_3genE0ELNS1_11target_archE4294967295ELNS1_3gpuE0ELNS1_3repE0EEENS1_30default_config_static_selectorELNS0_4arch9wavefront6targetE1EEEvT1_, .Lfunc_end3305-_ZN7rocprim17ROCPRIM_400000_NS6detail17trampoline_kernelINS0_14default_configENS1_20scan_config_selectorIyEEZZNS1_9scan_implILNS1_25lookback_scan_determinismE0ELb0ELb0ES3_N6thrust23THRUST_200600_302600_NS6detail15normal_iteratorINS9_10device_ptrIyEEEENS9_16discard_iteratorINS9_11use_defaultEEEy11max_functorIyEyEEDaPvRmT3_T4_T5_mT6_P12ihipStream_tbENKUlT_T0_E_clISt17integral_constantIbLb1EESX_EEDaSS_ST_EUlSS_E0_NS1_11comp_targetILNS1_3genE0ELNS1_11target_archE4294967295ELNS1_3gpuE0ELNS1_3repE0EEENS1_30default_config_static_selectorELNS0_4arch9wavefront6targetE1EEEvT1_
                                        ; -- End function
	.section	.AMDGPU.csdata,"",@progbits
; Kernel info:
; codeLenInByte = 0
; NumSgprs: 4
; NumVgprs: 0
; NumAgprs: 0
; TotalNumVgprs: 0
; ScratchSize: 0
; MemoryBound: 0
; FloatMode: 240
; IeeeMode: 1
; LDSByteSize: 0 bytes/workgroup (compile time only)
; SGPRBlocks: 0
; VGPRBlocks: 0
; NumSGPRsForWavesPerEU: 4
; NumVGPRsForWavesPerEU: 1
; AccumOffset: 4
; Occupancy: 8
; WaveLimiterHint : 0
; COMPUTE_PGM_RSRC2:SCRATCH_EN: 0
; COMPUTE_PGM_RSRC2:USER_SGPR: 6
; COMPUTE_PGM_RSRC2:TRAP_HANDLER: 0
; COMPUTE_PGM_RSRC2:TGID_X_EN: 1
; COMPUTE_PGM_RSRC2:TGID_Y_EN: 0
; COMPUTE_PGM_RSRC2:TGID_Z_EN: 0
; COMPUTE_PGM_RSRC2:TIDIG_COMP_CNT: 0
; COMPUTE_PGM_RSRC3_GFX90A:ACCUM_OFFSET: 0
; COMPUTE_PGM_RSRC3_GFX90A:TG_SPLIT: 0
	.section	.text._ZN7rocprim17ROCPRIM_400000_NS6detail17trampoline_kernelINS0_14default_configENS1_20scan_config_selectorIyEEZZNS1_9scan_implILNS1_25lookback_scan_determinismE0ELb0ELb0ES3_N6thrust23THRUST_200600_302600_NS6detail15normal_iteratorINS9_10device_ptrIyEEEENS9_16discard_iteratorINS9_11use_defaultEEEy11max_functorIyEyEEDaPvRmT3_T4_T5_mT6_P12ihipStream_tbENKUlT_T0_E_clISt17integral_constantIbLb1EESX_EEDaSS_ST_EUlSS_E0_NS1_11comp_targetILNS1_3genE5ELNS1_11target_archE942ELNS1_3gpuE9ELNS1_3repE0EEENS1_30default_config_static_selectorELNS0_4arch9wavefront6targetE1EEEvT1_,"axG",@progbits,_ZN7rocprim17ROCPRIM_400000_NS6detail17trampoline_kernelINS0_14default_configENS1_20scan_config_selectorIyEEZZNS1_9scan_implILNS1_25lookback_scan_determinismE0ELb0ELb0ES3_N6thrust23THRUST_200600_302600_NS6detail15normal_iteratorINS9_10device_ptrIyEEEENS9_16discard_iteratorINS9_11use_defaultEEEy11max_functorIyEyEEDaPvRmT3_T4_T5_mT6_P12ihipStream_tbENKUlT_T0_E_clISt17integral_constantIbLb1EESX_EEDaSS_ST_EUlSS_E0_NS1_11comp_targetILNS1_3genE5ELNS1_11target_archE942ELNS1_3gpuE9ELNS1_3repE0EEENS1_30default_config_static_selectorELNS0_4arch9wavefront6targetE1EEEvT1_,comdat
	.protected	_ZN7rocprim17ROCPRIM_400000_NS6detail17trampoline_kernelINS0_14default_configENS1_20scan_config_selectorIyEEZZNS1_9scan_implILNS1_25lookback_scan_determinismE0ELb0ELb0ES3_N6thrust23THRUST_200600_302600_NS6detail15normal_iteratorINS9_10device_ptrIyEEEENS9_16discard_iteratorINS9_11use_defaultEEEy11max_functorIyEyEEDaPvRmT3_T4_T5_mT6_P12ihipStream_tbENKUlT_T0_E_clISt17integral_constantIbLb1EESX_EEDaSS_ST_EUlSS_E0_NS1_11comp_targetILNS1_3genE5ELNS1_11target_archE942ELNS1_3gpuE9ELNS1_3repE0EEENS1_30default_config_static_selectorELNS0_4arch9wavefront6targetE1EEEvT1_ ; -- Begin function _ZN7rocprim17ROCPRIM_400000_NS6detail17trampoline_kernelINS0_14default_configENS1_20scan_config_selectorIyEEZZNS1_9scan_implILNS1_25lookback_scan_determinismE0ELb0ELb0ES3_N6thrust23THRUST_200600_302600_NS6detail15normal_iteratorINS9_10device_ptrIyEEEENS9_16discard_iteratorINS9_11use_defaultEEEy11max_functorIyEyEEDaPvRmT3_T4_T5_mT6_P12ihipStream_tbENKUlT_T0_E_clISt17integral_constantIbLb1EESX_EEDaSS_ST_EUlSS_E0_NS1_11comp_targetILNS1_3genE5ELNS1_11target_archE942ELNS1_3gpuE9ELNS1_3repE0EEENS1_30default_config_static_selectorELNS0_4arch9wavefront6targetE1EEEvT1_
	.globl	_ZN7rocprim17ROCPRIM_400000_NS6detail17trampoline_kernelINS0_14default_configENS1_20scan_config_selectorIyEEZZNS1_9scan_implILNS1_25lookback_scan_determinismE0ELb0ELb0ES3_N6thrust23THRUST_200600_302600_NS6detail15normal_iteratorINS9_10device_ptrIyEEEENS9_16discard_iteratorINS9_11use_defaultEEEy11max_functorIyEyEEDaPvRmT3_T4_T5_mT6_P12ihipStream_tbENKUlT_T0_E_clISt17integral_constantIbLb1EESX_EEDaSS_ST_EUlSS_E0_NS1_11comp_targetILNS1_3genE5ELNS1_11target_archE942ELNS1_3gpuE9ELNS1_3repE0EEENS1_30default_config_static_selectorELNS0_4arch9wavefront6targetE1EEEvT1_
	.p2align	8
	.type	_ZN7rocprim17ROCPRIM_400000_NS6detail17trampoline_kernelINS0_14default_configENS1_20scan_config_selectorIyEEZZNS1_9scan_implILNS1_25lookback_scan_determinismE0ELb0ELb0ES3_N6thrust23THRUST_200600_302600_NS6detail15normal_iteratorINS9_10device_ptrIyEEEENS9_16discard_iteratorINS9_11use_defaultEEEy11max_functorIyEyEEDaPvRmT3_T4_T5_mT6_P12ihipStream_tbENKUlT_T0_E_clISt17integral_constantIbLb1EESX_EEDaSS_ST_EUlSS_E0_NS1_11comp_targetILNS1_3genE5ELNS1_11target_archE942ELNS1_3gpuE9ELNS1_3repE0EEENS1_30default_config_static_selectorELNS0_4arch9wavefront6targetE1EEEvT1_,@function
_ZN7rocprim17ROCPRIM_400000_NS6detail17trampoline_kernelINS0_14default_configENS1_20scan_config_selectorIyEEZZNS1_9scan_implILNS1_25lookback_scan_determinismE0ELb0ELb0ES3_N6thrust23THRUST_200600_302600_NS6detail15normal_iteratorINS9_10device_ptrIyEEEENS9_16discard_iteratorINS9_11use_defaultEEEy11max_functorIyEyEEDaPvRmT3_T4_T5_mT6_P12ihipStream_tbENKUlT_T0_E_clISt17integral_constantIbLb1EESX_EEDaSS_ST_EUlSS_E0_NS1_11comp_targetILNS1_3genE5ELNS1_11target_archE942ELNS1_3gpuE9ELNS1_3repE0EEENS1_30default_config_static_selectorELNS0_4arch9wavefront6targetE1EEEvT1_: ; @_ZN7rocprim17ROCPRIM_400000_NS6detail17trampoline_kernelINS0_14default_configENS1_20scan_config_selectorIyEEZZNS1_9scan_implILNS1_25lookback_scan_determinismE0ELb0ELb0ES3_N6thrust23THRUST_200600_302600_NS6detail15normal_iteratorINS9_10device_ptrIyEEEENS9_16discard_iteratorINS9_11use_defaultEEEy11max_functorIyEyEEDaPvRmT3_T4_T5_mT6_P12ihipStream_tbENKUlT_T0_E_clISt17integral_constantIbLb1EESX_EEDaSS_ST_EUlSS_E0_NS1_11comp_targetILNS1_3genE5ELNS1_11target_archE942ELNS1_3gpuE9ELNS1_3repE0EEENS1_30default_config_static_selectorELNS0_4arch9wavefront6targetE1EEEvT1_
; %bb.0:
	.section	.rodata,"a",@progbits
	.p2align	6, 0x0
	.amdhsa_kernel _ZN7rocprim17ROCPRIM_400000_NS6detail17trampoline_kernelINS0_14default_configENS1_20scan_config_selectorIyEEZZNS1_9scan_implILNS1_25lookback_scan_determinismE0ELb0ELb0ES3_N6thrust23THRUST_200600_302600_NS6detail15normal_iteratorINS9_10device_ptrIyEEEENS9_16discard_iteratorINS9_11use_defaultEEEy11max_functorIyEyEEDaPvRmT3_T4_T5_mT6_P12ihipStream_tbENKUlT_T0_E_clISt17integral_constantIbLb1EESX_EEDaSS_ST_EUlSS_E0_NS1_11comp_targetILNS1_3genE5ELNS1_11target_archE942ELNS1_3gpuE9ELNS1_3repE0EEENS1_30default_config_static_selectorELNS0_4arch9wavefront6targetE1EEEvT1_
		.amdhsa_group_segment_fixed_size 0
		.amdhsa_private_segment_fixed_size 0
		.amdhsa_kernarg_size 48
		.amdhsa_user_sgpr_count 6
		.amdhsa_user_sgpr_private_segment_buffer 1
		.amdhsa_user_sgpr_dispatch_ptr 0
		.amdhsa_user_sgpr_queue_ptr 0
		.amdhsa_user_sgpr_kernarg_segment_ptr 1
		.amdhsa_user_sgpr_dispatch_id 0
		.amdhsa_user_sgpr_flat_scratch_init 0
		.amdhsa_user_sgpr_kernarg_preload_length 0
		.amdhsa_user_sgpr_kernarg_preload_offset 0
		.amdhsa_user_sgpr_private_segment_size 0
		.amdhsa_uses_dynamic_stack 0
		.amdhsa_system_sgpr_private_segment_wavefront_offset 0
		.amdhsa_system_sgpr_workgroup_id_x 1
		.amdhsa_system_sgpr_workgroup_id_y 0
		.amdhsa_system_sgpr_workgroup_id_z 0
		.amdhsa_system_sgpr_workgroup_info 0
		.amdhsa_system_vgpr_workitem_id 0
		.amdhsa_next_free_vgpr 1
		.amdhsa_next_free_sgpr 0
		.amdhsa_accum_offset 4
		.amdhsa_reserve_vcc 0
		.amdhsa_reserve_flat_scratch 0
		.amdhsa_float_round_mode_32 0
		.amdhsa_float_round_mode_16_64 0
		.amdhsa_float_denorm_mode_32 3
		.amdhsa_float_denorm_mode_16_64 3
		.amdhsa_dx10_clamp 1
		.amdhsa_ieee_mode 1
		.amdhsa_fp16_overflow 0
		.amdhsa_tg_split 0
		.amdhsa_exception_fp_ieee_invalid_op 0
		.amdhsa_exception_fp_denorm_src 0
		.amdhsa_exception_fp_ieee_div_zero 0
		.amdhsa_exception_fp_ieee_overflow 0
		.amdhsa_exception_fp_ieee_underflow 0
		.amdhsa_exception_fp_ieee_inexact 0
		.amdhsa_exception_int_div_zero 0
	.end_amdhsa_kernel
	.section	.text._ZN7rocprim17ROCPRIM_400000_NS6detail17trampoline_kernelINS0_14default_configENS1_20scan_config_selectorIyEEZZNS1_9scan_implILNS1_25lookback_scan_determinismE0ELb0ELb0ES3_N6thrust23THRUST_200600_302600_NS6detail15normal_iteratorINS9_10device_ptrIyEEEENS9_16discard_iteratorINS9_11use_defaultEEEy11max_functorIyEyEEDaPvRmT3_T4_T5_mT6_P12ihipStream_tbENKUlT_T0_E_clISt17integral_constantIbLb1EESX_EEDaSS_ST_EUlSS_E0_NS1_11comp_targetILNS1_3genE5ELNS1_11target_archE942ELNS1_3gpuE9ELNS1_3repE0EEENS1_30default_config_static_selectorELNS0_4arch9wavefront6targetE1EEEvT1_,"axG",@progbits,_ZN7rocprim17ROCPRIM_400000_NS6detail17trampoline_kernelINS0_14default_configENS1_20scan_config_selectorIyEEZZNS1_9scan_implILNS1_25lookback_scan_determinismE0ELb0ELb0ES3_N6thrust23THRUST_200600_302600_NS6detail15normal_iteratorINS9_10device_ptrIyEEEENS9_16discard_iteratorINS9_11use_defaultEEEy11max_functorIyEyEEDaPvRmT3_T4_T5_mT6_P12ihipStream_tbENKUlT_T0_E_clISt17integral_constantIbLb1EESX_EEDaSS_ST_EUlSS_E0_NS1_11comp_targetILNS1_3genE5ELNS1_11target_archE942ELNS1_3gpuE9ELNS1_3repE0EEENS1_30default_config_static_selectorELNS0_4arch9wavefront6targetE1EEEvT1_,comdat
.Lfunc_end3306:
	.size	_ZN7rocprim17ROCPRIM_400000_NS6detail17trampoline_kernelINS0_14default_configENS1_20scan_config_selectorIyEEZZNS1_9scan_implILNS1_25lookback_scan_determinismE0ELb0ELb0ES3_N6thrust23THRUST_200600_302600_NS6detail15normal_iteratorINS9_10device_ptrIyEEEENS9_16discard_iteratorINS9_11use_defaultEEEy11max_functorIyEyEEDaPvRmT3_T4_T5_mT6_P12ihipStream_tbENKUlT_T0_E_clISt17integral_constantIbLb1EESX_EEDaSS_ST_EUlSS_E0_NS1_11comp_targetILNS1_3genE5ELNS1_11target_archE942ELNS1_3gpuE9ELNS1_3repE0EEENS1_30default_config_static_selectorELNS0_4arch9wavefront6targetE1EEEvT1_, .Lfunc_end3306-_ZN7rocprim17ROCPRIM_400000_NS6detail17trampoline_kernelINS0_14default_configENS1_20scan_config_selectorIyEEZZNS1_9scan_implILNS1_25lookback_scan_determinismE0ELb0ELb0ES3_N6thrust23THRUST_200600_302600_NS6detail15normal_iteratorINS9_10device_ptrIyEEEENS9_16discard_iteratorINS9_11use_defaultEEEy11max_functorIyEyEEDaPvRmT3_T4_T5_mT6_P12ihipStream_tbENKUlT_T0_E_clISt17integral_constantIbLb1EESX_EEDaSS_ST_EUlSS_E0_NS1_11comp_targetILNS1_3genE5ELNS1_11target_archE942ELNS1_3gpuE9ELNS1_3repE0EEENS1_30default_config_static_selectorELNS0_4arch9wavefront6targetE1EEEvT1_
                                        ; -- End function
	.section	.AMDGPU.csdata,"",@progbits
; Kernel info:
; codeLenInByte = 0
; NumSgprs: 4
; NumVgprs: 0
; NumAgprs: 0
; TotalNumVgprs: 0
; ScratchSize: 0
; MemoryBound: 0
; FloatMode: 240
; IeeeMode: 1
; LDSByteSize: 0 bytes/workgroup (compile time only)
; SGPRBlocks: 0
; VGPRBlocks: 0
; NumSGPRsForWavesPerEU: 4
; NumVGPRsForWavesPerEU: 1
; AccumOffset: 4
; Occupancy: 8
; WaveLimiterHint : 0
; COMPUTE_PGM_RSRC2:SCRATCH_EN: 0
; COMPUTE_PGM_RSRC2:USER_SGPR: 6
; COMPUTE_PGM_RSRC2:TRAP_HANDLER: 0
; COMPUTE_PGM_RSRC2:TGID_X_EN: 1
; COMPUTE_PGM_RSRC2:TGID_Y_EN: 0
; COMPUTE_PGM_RSRC2:TGID_Z_EN: 0
; COMPUTE_PGM_RSRC2:TIDIG_COMP_CNT: 0
; COMPUTE_PGM_RSRC3_GFX90A:ACCUM_OFFSET: 0
; COMPUTE_PGM_RSRC3_GFX90A:TG_SPLIT: 0
	.section	.text._ZN7rocprim17ROCPRIM_400000_NS6detail17trampoline_kernelINS0_14default_configENS1_20scan_config_selectorIyEEZZNS1_9scan_implILNS1_25lookback_scan_determinismE0ELb0ELb0ES3_N6thrust23THRUST_200600_302600_NS6detail15normal_iteratorINS9_10device_ptrIyEEEENS9_16discard_iteratorINS9_11use_defaultEEEy11max_functorIyEyEEDaPvRmT3_T4_T5_mT6_P12ihipStream_tbENKUlT_T0_E_clISt17integral_constantIbLb1EESX_EEDaSS_ST_EUlSS_E0_NS1_11comp_targetILNS1_3genE4ELNS1_11target_archE910ELNS1_3gpuE8ELNS1_3repE0EEENS1_30default_config_static_selectorELNS0_4arch9wavefront6targetE1EEEvT1_,"axG",@progbits,_ZN7rocprim17ROCPRIM_400000_NS6detail17trampoline_kernelINS0_14default_configENS1_20scan_config_selectorIyEEZZNS1_9scan_implILNS1_25lookback_scan_determinismE0ELb0ELb0ES3_N6thrust23THRUST_200600_302600_NS6detail15normal_iteratorINS9_10device_ptrIyEEEENS9_16discard_iteratorINS9_11use_defaultEEEy11max_functorIyEyEEDaPvRmT3_T4_T5_mT6_P12ihipStream_tbENKUlT_T0_E_clISt17integral_constantIbLb1EESX_EEDaSS_ST_EUlSS_E0_NS1_11comp_targetILNS1_3genE4ELNS1_11target_archE910ELNS1_3gpuE8ELNS1_3repE0EEENS1_30default_config_static_selectorELNS0_4arch9wavefront6targetE1EEEvT1_,comdat
	.protected	_ZN7rocprim17ROCPRIM_400000_NS6detail17trampoline_kernelINS0_14default_configENS1_20scan_config_selectorIyEEZZNS1_9scan_implILNS1_25lookback_scan_determinismE0ELb0ELb0ES3_N6thrust23THRUST_200600_302600_NS6detail15normal_iteratorINS9_10device_ptrIyEEEENS9_16discard_iteratorINS9_11use_defaultEEEy11max_functorIyEyEEDaPvRmT3_T4_T5_mT6_P12ihipStream_tbENKUlT_T0_E_clISt17integral_constantIbLb1EESX_EEDaSS_ST_EUlSS_E0_NS1_11comp_targetILNS1_3genE4ELNS1_11target_archE910ELNS1_3gpuE8ELNS1_3repE0EEENS1_30default_config_static_selectorELNS0_4arch9wavefront6targetE1EEEvT1_ ; -- Begin function _ZN7rocprim17ROCPRIM_400000_NS6detail17trampoline_kernelINS0_14default_configENS1_20scan_config_selectorIyEEZZNS1_9scan_implILNS1_25lookback_scan_determinismE0ELb0ELb0ES3_N6thrust23THRUST_200600_302600_NS6detail15normal_iteratorINS9_10device_ptrIyEEEENS9_16discard_iteratorINS9_11use_defaultEEEy11max_functorIyEyEEDaPvRmT3_T4_T5_mT6_P12ihipStream_tbENKUlT_T0_E_clISt17integral_constantIbLb1EESX_EEDaSS_ST_EUlSS_E0_NS1_11comp_targetILNS1_3genE4ELNS1_11target_archE910ELNS1_3gpuE8ELNS1_3repE0EEENS1_30default_config_static_selectorELNS0_4arch9wavefront6targetE1EEEvT1_
	.globl	_ZN7rocprim17ROCPRIM_400000_NS6detail17trampoline_kernelINS0_14default_configENS1_20scan_config_selectorIyEEZZNS1_9scan_implILNS1_25lookback_scan_determinismE0ELb0ELb0ES3_N6thrust23THRUST_200600_302600_NS6detail15normal_iteratorINS9_10device_ptrIyEEEENS9_16discard_iteratorINS9_11use_defaultEEEy11max_functorIyEyEEDaPvRmT3_T4_T5_mT6_P12ihipStream_tbENKUlT_T0_E_clISt17integral_constantIbLb1EESX_EEDaSS_ST_EUlSS_E0_NS1_11comp_targetILNS1_3genE4ELNS1_11target_archE910ELNS1_3gpuE8ELNS1_3repE0EEENS1_30default_config_static_selectorELNS0_4arch9wavefront6targetE1EEEvT1_
	.p2align	8
	.type	_ZN7rocprim17ROCPRIM_400000_NS6detail17trampoline_kernelINS0_14default_configENS1_20scan_config_selectorIyEEZZNS1_9scan_implILNS1_25lookback_scan_determinismE0ELb0ELb0ES3_N6thrust23THRUST_200600_302600_NS6detail15normal_iteratorINS9_10device_ptrIyEEEENS9_16discard_iteratorINS9_11use_defaultEEEy11max_functorIyEyEEDaPvRmT3_T4_T5_mT6_P12ihipStream_tbENKUlT_T0_E_clISt17integral_constantIbLb1EESX_EEDaSS_ST_EUlSS_E0_NS1_11comp_targetILNS1_3genE4ELNS1_11target_archE910ELNS1_3gpuE8ELNS1_3repE0EEENS1_30default_config_static_selectorELNS0_4arch9wavefront6targetE1EEEvT1_,@function
_ZN7rocprim17ROCPRIM_400000_NS6detail17trampoline_kernelINS0_14default_configENS1_20scan_config_selectorIyEEZZNS1_9scan_implILNS1_25lookback_scan_determinismE0ELb0ELb0ES3_N6thrust23THRUST_200600_302600_NS6detail15normal_iteratorINS9_10device_ptrIyEEEENS9_16discard_iteratorINS9_11use_defaultEEEy11max_functorIyEyEEDaPvRmT3_T4_T5_mT6_P12ihipStream_tbENKUlT_T0_E_clISt17integral_constantIbLb1EESX_EEDaSS_ST_EUlSS_E0_NS1_11comp_targetILNS1_3genE4ELNS1_11target_archE910ELNS1_3gpuE8ELNS1_3repE0EEENS1_30default_config_static_selectorELNS0_4arch9wavefront6targetE1EEEvT1_: ; @_ZN7rocprim17ROCPRIM_400000_NS6detail17trampoline_kernelINS0_14default_configENS1_20scan_config_selectorIyEEZZNS1_9scan_implILNS1_25lookback_scan_determinismE0ELb0ELb0ES3_N6thrust23THRUST_200600_302600_NS6detail15normal_iteratorINS9_10device_ptrIyEEEENS9_16discard_iteratorINS9_11use_defaultEEEy11max_functorIyEyEEDaPvRmT3_T4_T5_mT6_P12ihipStream_tbENKUlT_T0_E_clISt17integral_constantIbLb1EESX_EEDaSS_ST_EUlSS_E0_NS1_11comp_targetILNS1_3genE4ELNS1_11target_archE910ELNS1_3gpuE8ELNS1_3repE0EEENS1_30default_config_static_selectorELNS0_4arch9wavefront6targetE1EEEvT1_
; %bb.0:
	s_load_dwordx4 s[0:3], s[4:5], 0x0
	v_lshlrev_b32_e32 v1, 3, v0
	s_waitcnt lgkmcnt(0)
	s_load_dwordx2 s[4:5], s[0:1], 0x0
	v_cmp_gt_u32_e32 vcc, s2, v0
	s_waitcnt lgkmcnt(0)
	v_pk_mov_b32 v[2:3], s[4:5], s[4:5] op_sel:[0,1]
	s_and_saveexec_b64 s[6:7], vcc
	s_cbranch_execz .LBB3307_2
; %bb.1:
	global_load_dwordx2 v[2:3], v1, s[0:1]
.LBB3307_2:
	s_or_b64 exec, exec, s[6:7]
	v_or_b32_e32 v4, 0x80, v0
	v_cmp_gt_u32_e32 vcc, s2, v4
	v_pk_mov_b32 v[4:5], s[4:5], s[4:5] op_sel:[0,1]
	s_and_saveexec_b64 s[6:7], vcc
	s_cbranch_execz .LBB3307_4
; %bb.3:
	global_load_dwordx2 v[4:5], v1, s[0:1] offset:1024
.LBB3307_4:
	s_or_b64 exec, exec, s[6:7]
	v_or_b32_e32 v6, 0x100, v0
	v_cmp_gt_u32_e32 vcc, s2, v6
	v_pk_mov_b32 v[6:7], s[4:5], s[4:5] op_sel:[0,1]
	s_and_saveexec_b64 s[6:7], vcc
	s_cbranch_execz .LBB3307_6
; %bb.5:
	global_load_dwordx2 v[6:7], v1, s[0:1] offset:2048
.LBB3307_6:
	;; [unrolled: 9-line block ×3, first 2 shown]
	s_or_b64 exec, exec, s[6:7]
	v_or_b32_e32 v12, 0x200, v0
	v_cmp_gt_u32_e32 vcc, s2, v12
	v_pk_mov_b32 v[10:11], s[4:5], s[4:5] op_sel:[0,1]
	s_and_saveexec_b64 s[6:7], vcc
	s_cbranch_execz .LBB3307_10
; %bb.9:
	v_lshlrev_b32_e32 v10, 3, v12
	global_load_dwordx2 v[10:11], v10, s[0:1]
.LBB3307_10:
	s_or_b64 exec, exec, s[6:7]
	v_or_b32_e32 v14, 0x280, v0
	v_cmp_gt_u32_e32 vcc, s2, v14
	v_pk_mov_b32 v[12:13], s[4:5], s[4:5] op_sel:[0,1]
	s_and_saveexec_b64 s[6:7], vcc
	s_cbranch_execz .LBB3307_12
; %bb.11:
	v_lshlrev_b32_e32 v12, 3, v14
	global_load_dwordx2 v[12:13], v12, s[0:1]
.LBB3307_12:
	;; [unrolled: 10-line block ×3, first 2 shown]
	s_or_b64 exec, exec, s[2:3]
	s_waitcnt vmcnt(0)
	ds_write2st64_b64 v1, v[2:3], v[4:5] offset1:2
	ds_write2st64_b64 v1, v[6:7], v[8:9] offset0:4 offset1:6
	ds_write2st64_b64 v1, v[10:11], v[12:13] offset0:8 offset1:10
	ds_write_b64 v1, v[14:15] offset:6144
	v_mad_u32_u24 v14, v0, 48, v1
	s_waitcnt lgkmcnt(0)
	s_barrier
	ds_read2_b64 v[2:5], v14 offset1:1
	ds_read2_b64 v[10:13], v14 offset0:2 offset1:3
	ds_read2_b64 v[6:9], v14 offset0:4 offset1:5
	ds_read_b64 v[26:27], v14 offset:48
	v_lshrrev_b32_e32 v14, 2, v0
	s_waitcnt lgkmcnt(3)
	v_cmp_gt_u64_e32 vcc, v[2:3], v[4:5]
	v_cndmask_b32_e32 v19, v5, v3, vcc
	v_cndmask_b32_e32 v18, v4, v2, vcc
	s_waitcnt lgkmcnt(2)
	v_cmp_gt_u64_e32 vcc, v[18:19], v[10:11]
	v_cndmask_b32_e32 v21, v11, v19, vcc
	v_cndmask_b32_e32 v20, v10, v18, vcc
	v_cmp_gt_u64_e32 vcc, v[20:21], v[12:13]
	v_cndmask_b32_e32 v23, v13, v21, vcc
	v_cndmask_b32_e32 v22, v12, v20, vcc
	s_waitcnt lgkmcnt(1)
	v_cmp_gt_u64_e32 vcc, v[22:23], v[6:7]
	v_cndmask_b32_e32 v25, v7, v23, vcc
	v_cndmask_b32_e32 v24, v6, v22, vcc
	v_cmp_gt_u64_e32 vcc, v[24:25], v[8:9]
	v_cndmask_b32_e32 v29, v9, v25, vcc
	v_cndmask_b32_e32 v28, v8, v24, vcc
	s_waitcnt lgkmcnt(0)
	v_cmp_gt_u64_e32 vcc, v[28:29], v[26:27]
	v_and_b32_e32 v14, 24, v14
	v_cndmask_b32_e32 v31, v27, v29, vcc
	v_cndmask_b32_e32 v30, v26, v28, vcc
	v_add_u32_e32 v14, v1, v14
	v_cmp_gt_u32_e32 vcc, 64, v0
	s_barrier
	ds_write_b64 v14, v[30:31]
	s_waitcnt lgkmcnt(0)
	s_barrier
	s_and_saveexec_b64 s[2:3], vcc
	s_cbranch_execz .LBB3307_18
; %bb.15:
	v_lshlrev_b32_e32 v14, 1, v0
	v_lshrrev_b32_e32 v15, 4, v0
	v_add_lshl_u32 v36, v15, v14, 3
	ds_read2_b64 v[14:17], v36 offset1:1
	v_mbcnt_lo_u32_b32 v32, -1, 0
	v_mbcnt_hi_u32_b32 v37, -1, v32
	v_and_b32_e32 v38, 15, v37
	v_and_b32_e32 v40, 16, v37
	s_waitcnt lgkmcnt(0)
	v_cmp_gt_u64_e32 vcc, v[14:15], v[16:17]
	v_cndmask_b32_e32 v17, v17, v15, vcc
	v_cndmask_b32_e32 v16, v16, v14, vcc
	v_cmp_ne_u32_e64 s[0:1], 0, v37
	v_mov_b32_dpp v33, v17 row_shr:1 row_mask:0xf bank_mask:0xf
	v_mov_b32_dpp v32, v16 row_shr:1 row_mask:0xf bank_mask:0xf
	v_cmp_gt_u64_e32 vcc, v[32:33], v[16:17]
	v_cndmask_b32_e32 v32, v16, v32, vcc
	v_cndmask_b32_e32 v33, v17, v33, vcc
	v_cmp_eq_u32_e32 vcc, 0, v38
	v_cndmask_b32_e32 v33, v33, v17, vcc
	v_cndmask_b32_e32 v32, v32, v16, vcc
	s_nop 0
	v_mov_b32_dpp v35, v33 row_shr:2 row_mask:0xf bank_mask:0xf
	v_mov_b32_dpp v34, v32 row_shr:2 row_mask:0xf bank_mask:0xf
	v_cmp_gt_u64_e32 vcc, v[34:35], v[32:33]
	v_cndmask_b32_e32 v34, v32, v34, vcc
	v_cndmask_b32_e32 v35, v33, v35, vcc
	v_cmp_lt_u32_e32 vcc, 1, v38
	v_cndmask_b32_e32 v33, v33, v35, vcc
	v_cndmask_b32_e32 v32, v32, v34, vcc
	s_nop 0
	v_mov_b32_dpp v35, v33 row_shr:4 row_mask:0xf bank_mask:0xf
	v_mov_b32_dpp v34, v32 row_shr:4 row_mask:0xf bank_mask:0xf
	v_cmp_gt_u64_e32 vcc, v[34:35], v[32:33]
	v_cndmask_b32_e32 v34, v32, v34, vcc
	v_cndmask_b32_e32 v35, v33, v35, vcc
	v_cmp_lt_u32_e32 vcc, 3, v38
	;; [unrolled: 9-line block ×3, first 2 shown]
	v_cndmask_b32_e32 v33, v33, v35, vcc
	v_cndmask_b32_e32 v32, v32, v34, vcc
	s_nop 0
	v_mov_b32_dpp v35, v33 row_bcast:15 row_mask:0xf bank_mask:0xf
	v_mov_b32_dpp v34, v32 row_bcast:15 row_mask:0xf bank_mask:0xf
	v_cmp_gt_u64_e32 vcc, v[34:35], v[32:33]
	v_cndmask_b32_e32 v38, v33, v35, vcc
	v_cndmask_b32_e32 v39, v32, v34, vcc
	v_cmp_eq_u32_e32 vcc, 0, v40
	v_cndmask_b32_e32 v35, v38, v33, vcc
	v_cndmask_b32_e32 v34, v39, v32, vcc
	s_nop 0
	v_mov_b32_dpp v35, v35 row_bcast:31 row_mask:0xf bank_mask:0xf
	v_mov_b32_dpp v34, v34 row_bcast:31 row_mask:0xf bank_mask:0xf
	s_and_saveexec_b64 s[4:5], s[0:1]
; %bb.16:
	v_cndmask_b32_e32 v17, v38, v33, vcc
	v_cndmask_b32_e32 v16, v39, v32, vcc
	v_cmp_lt_u32_e64 s[0:1], 31, v37
	v_cmp_gt_u64_e32 vcc, v[34:35], v[16:17]
	s_and_b64 vcc, s[0:1], vcc
	v_cndmask_b32_e32 v16, v16, v34, vcc
	v_cndmask_b32_e32 v17, v17, v35, vcc
; %bb.17:
	s_or_b64 exec, exec, s[4:5]
	v_add_u32_e32 v32, -1, v37
	v_and_b32_e32 v33, 64, v37
	v_cmp_lt_i32_e32 vcc, v32, v33
	v_cndmask_b32_e32 v32, v32, v37, vcc
	v_lshlrev_b32_e32 v32, 2, v32
	ds_bpermute_b32 v16, v32, v16
	ds_bpermute_b32 v17, v32, v17
	; wave barrier
	s_waitcnt lgkmcnt(0)
	v_cmp_gt_u64_e32 vcc, v[16:17], v[14:15]
	v_cndmask_b32_e32 v14, v14, v16, vcc
	v_cndmask_b32_e32 v15, v15, v17, vcc
	v_cmp_eq_u32_e32 vcc, 0, v0
	v_cndmask_b32_e32 v15, v15, v31, vcc
	v_cndmask_b32_e32 v14, v14, v30, vcc
	ds_write_b64 v36, v[14:15]
	; wave barrier
	ds_read_b64 v[16:17], v36 offset:8
	s_waitcnt lgkmcnt(0)
	v_cmp_gt_u64_e32 vcc, v[14:15], v[16:17]
	v_cndmask_b32_e32 v15, v17, v15, vcc
	v_cndmask_b32_e32 v14, v16, v14, vcc
	ds_write_b64 v36, v[14:15] offset:8
.LBB3307_18:
	s_or_b64 exec, exec, s[2:3]
	v_mul_u32_u24_e32 v16, 48, v0
	v_cmp_ne_u32_e32 vcc, 0, v0
	v_pk_mov_b32 v[14:15], v[30:31], v[30:31] op_sel:[0,1]
	s_waitcnt lgkmcnt(0)
	s_barrier
	s_and_saveexec_b64 s[0:1], vcc
	s_cbranch_execz .LBB3307_20
; %bb.19:
	v_add_u32_e32 v0, -1, v0
	v_lshrrev_b32_e32 v14, 5, v0
	v_add_lshl_u32 v0, v14, v0, 3
	ds_read_b64 v[14:15], v0
.LBB3307_20:
	s_or_b64 exec, exec, s[0:1]
	s_and_saveexec_b64 s[0:1], vcc
	s_cbranch_execz .LBB3307_22
; %bb.21:
	s_waitcnt lgkmcnt(0)
	v_cmp_gt_u64_e32 vcc, v[14:15], v[2:3]
	v_cndmask_b32_e32 v3, v3, v15, vcc
	v_cndmask_b32_e32 v2, v2, v14, vcc
	v_cmp_gt_u64_e32 vcc, v[2:3], v[4:5]
	v_cndmask_b32_e32 v19, v5, v3, vcc
	v_cndmask_b32_e32 v18, v4, v2, vcc
	;; [unrolled: 3-line block ×7, first 2 shown]
	;;#ASMSTART
	;;#ASMEND
.LBB3307_22:
	s_or_b64 exec, exec, s[0:1]
	v_add_u32_e32 v0, v1, v16
	s_waitcnt lgkmcnt(0)
	s_barrier
	ds_write2_b64 v0, v[2:3], v[18:19] offset1:1
	ds_write2_b64 v0, v[20:21], v[22:23] offset0:2 offset1:3
	ds_write2_b64 v0, v[24:25], v[28:29] offset0:4 offset1:5
	ds_write_b64 v0, v[30:31] offset:48
	s_waitcnt lgkmcnt(0)
	s_barrier
	s_endpgm
	.section	.rodata,"a",@progbits
	.p2align	6, 0x0
	.amdhsa_kernel _ZN7rocprim17ROCPRIM_400000_NS6detail17trampoline_kernelINS0_14default_configENS1_20scan_config_selectorIyEEZZNS1_9scan_implILNS1_25lookback_scan_determinismE0ELb0ELb0ES3_N6thrust23THRUST_200600_302600_NS6detail15normal_iteratorINS9_10device_ptrIyEEEENS9_16discard_iteratorINS9_11use_defaultEEEy11max_functorIyEyEEDaPvRmT3_T4_T5_mT6_P12ihipStream_tbENKUlT_T0_E_clISt17integral_constantIbLb1EESX_EEDaSS_ST_EUlSS_E0_NS1_11comp_targetILNS1_3genE4ELNS1_11target_archE910ELNS1_3gpuE8ELNS1_3repE0EEENS1_30default_config_static_selectorELNS0_4arch9wavefront6targetE1EEEvT1_
		.amdhsa_group_segment_fixed_size 7168
		.amdhsa_private_segment_fixed_size 0
		.amdhsa_kernarg_size 48
		.amdhsa_user_sgpr_count 6
		.amdhsa_user_sgpr_private_segment_buffer 1
		.amdhsa_user_sgpr_dispatch_ptr 0
		.amdhsa_user_sgpr_queue_ptr 0
		.amdhsa_user_sgpr_kernarg_segment_ptr 1
		.amdhsa_user_sgpr_dispatch_id 0
		.amdhsa_user_sgpr_flat_scratch_init 0
		.amdhsa_user_sgpr_kernarg_preload_length 0
		.amdhsa_user_sgpr_kernarg_preload_offset 0
		.amdhsa_user_sgpr_private_segment_size 0
		.amdhsa_uses_dynamic_stack 0
		.amdhsa_system_sgpr_private_segment_wavefront_offset 0
		.amdhsa_system_sgpr_workgroup_id_x 1
		.amdhsa_system_sgpr_workgroup_id_y 0
		.amdhsa_system_sgpr_workgroup_id_z 0
		.amdhsa_system_sgpr_workgroup_info 0
		.amdhsa_system_vgpr_workitem_id 0
		.amdhsa_next_free_vgpr 41
		.amdhsa_next_free_sgpr 8
		.amdhsa_accum_offset 44
		.amdhsa_reserve_vcc 1
		.amdhsa_reserve_flat_scratch 0
		.amdhsa_float_round_mode_32 0
		.amdhsa_float_round_mode_16_64 0
		.amdhsa_float_denorm_mode_32 3
		.amdhsa_float_denorm_mode_16_64 3
		.amdhsa_dx10_clamp 1
		.amdhsa_ieee_mode 1
		.amdhsa_fp16_overflow 0
		.amdhsa_tg_split 0
		.amdhsa_exception_fp_ieee_invalid_op 0
		.amdhsa_exception_fp_denorm_src 0
		.amdhsa_exception_fp_ieee_div_zero 0
		.amdhsa_exception_fp_ieee_overflow 0
		.amdhsa_exception_fp_ieee_underflow 0
		.amdhsa_exception_fp_ieee_inexact 0
		.amdhsa_exception_int_div_zero 0
	.end_amdhsa_kernel
	.section	.text._ZN7rocprim17ROCPRIM_400000_NS6detail17trampoline_kernelINS0_14default_configENS1_20scan_config_selectorIyEEZZNS1_9scan_implILNS1_25lookback_scan_determinismE0ELb0ELb0ES3_N6thrust23THRUST_200600_302600_NS6detail15normal_iteratorINS9_10device_ptrIyEEEENS9_16discard_iteratorINS9_11use_defaultEEEy11max_functorIyEyEEDaPvRmT3_T4_T5_mT6_P12ihipStream_tbENKUlT_T0_E_clISt17integral_constantIbLb1EESX_EEDaSS_ST_EUlSS_E0_NS1_11comp_targetILNS1_3genE4ELNS1_11target_archE910ELNS1_3gpuE8ELNS1_3repE0EEENS1_30default_config_static_selectorELNS0_4arch9wavefront6targetE1EEEvT1_,"axG",@progbits,_ZN7rocprim17ROCPRIM_400000_NS6detail17trampoline_kernelINS0_14default_configENS1_20scan_config_selectorIyEEZZNS1_9scan_implILNS1_25lookback_scan_determinismE0ELb0ELb0ES3_N6thrust23THRUST_200600_302600_NS6detail15normal_iteratorINS9_10device_ptrIyEEEENS9_16discard_iteratorINS9_11use_defaultEEEy11max_functorIyEyEEDaPvRmT3_T4_T5_mT6_P12ihipStream_tbENKUlT_T0_E_clISt17integral_constantIbLb1EESX_EEDaSS_ST_EUlSS_E0_NS1_11comp_targetILNS1_3genE4ELNS1_11target_archE910ELNS1_3gpuE8ELNS1_3repE0EEENS1_30default_config_static_selectorELNS0_4arch9wavefront6targetE1EEEvT1_,comdat
.Lfunc_end3307:
	.size	_ZN7rocprim17ROCPRIM_400000_NS6detail17trampoline_kernelINS0_14default_configENS1_20scan_config_selectorIyEEZZNS1_9scan_implILNS1_25lookback_scan_determinismE0ELb0ELb0ES3_N6thrust23THRUST_200600_302600_NS6detail15normal_iteratorINS9_10device_ptrIyEEEENS9_16discard_iteratorINS9_11use_defaultEEEy11max_functorIyEyEEDaPvRmT3_T4_T5_mT6_P12ihipStream_tbENKUlT_T0_E_clISt17integral_constantIbLb1EESX_EEDaSS_ST_EUlSS_E0_NS1_11comp_targetILNS1_3genE4ELNS1_11target_archE910ELNS1_3gpuE8ELNS1_3repE0EEENS1_30default_config_static_selectorELNS0_4arch9wavefront6targetE1EEEvT1_, .Lfunc_end3307-_ZN7rocprim17ROCPRIM_400000_NS6detail17trampoline_kernelINS0_14default_configENS1_20scan_config_selectorIyEEZZNS1_9scan_implILNS1_25lookback_scan_determinismE0ELb0ELb0ES3_N6thrust23THRUST_200600_302600_NS6detail15normal_iteratorINS9_10device_ptrIyEEEENS9_16discard_iteratorINS9_11use_defaultEEEy11max_functorIyEyEEDaPvRmT3_T4_T5_mT6_P12ihipStream_tbENKUlT_T0_E_clISt17integral_constantIbLb1EESX_EEDaSS_ST_EUlSS_E0_NS1_11comp_targetILNS1_3genE4ELNS1_11target_archE910ELNS1_3gpuE8ELNS1_3repE0EEENS1_30default_config_static_selectorELNS0_4arch9wavefront6targetE1EEEvT1_
                                        ; -- End function
	.section	.AMDGPU.csdata,"",@progbits
; Kernel info:
; codeLenInByte = 1200
; NumSgprs: 12
; NumVgprs: 41
; NumAgprs: 0
; TotalNumVgprs: 41
; ScratchSize: 0
; MemoryBound: 0
; FloatMode: 240
; IeeeMode: 1
; LDSByteSize: 7168 bytes/workgroup (compile time only)
; SGPRBlocks: 1
; VGPRBlocks: 5
; NumSGPRsForWavesPerEU: 12
; NumVGPRsForWavesPerEU: 41
; AccumOffset: 44
; Occupancy: 5
; WaveLimiterHint : 0
; COMPUTE_PGM_RSRC2:SCRATCH_EN: 0
; COMPUTE_PGM_RSRC2:USER_SGPR: 6
; COMPUTE_PGM_RSRC2:TRAP_HANDLER: 0
; COMPUTE_PGM_RSRC2:TGID_X_EN: 1
; COMPUTE_PGM_RSRC2:TGID_Y_EN: 0
; COMPUTE_PGM_RSRC2:TGID_Z_EN: 0
; COMPUTE_PGM_RSRC2:TIDIG_COMP_CNT: 0
; COMPUTE_PGM_RSRC3_GFX90A:ACCUM_OFFSET: 10
; COMPUTE_PGM_RSRC3_GFX90A:TG_SPLIT: 0
	.section	.text._ZN7rocprim17ROCPRIM_400000_NS6detail17trampoline_kernelINS0_14default_configENS1_20scan_config_selectorIyEEZZNS1_9scan_implILNS1_25lookback_scan_determinismE0ELb0ELb0ES3_N6thrust23THRUST_200600_302600_NS6detail15normal_iteratorINS9_10device_ptrIyEEEENS9_16discard_iteratorINS9_11use_defaultEEEy11max_functorIyEyEEDaPvRmT3_T4_T5_mT6_P12ihipStream_tbENKUlT_T0_E_clISt17integral_constantIbLb1EESX_EEDaSS_ST_EUlSS_E0_NS1_11comp_targetILNS1_3genE3ELNS1_11target_archE908ELNS1_3gpuE7ELNS1_3repE0EEENS1_30default_config_static_selectorELNS0_4arch9wavefront6targetE1EEEvT1_,"axG",@progbits,_ZN7rocprim17ROCPRIM_400000_NS6detail17trampoline_kernelINS0_14default_configENS1_20scan_config_selectorIyEEZZNS1_9scan_implILNS1_25lookback_scan_determinismE0ELb0ELb0ES3_N6thrust23THRUST_200600_302600_NS6detail15normal_iteratorINS9_10device_ptrIyEEEENS9_16discard_iteratorINS9_11use_defaultEEEy11max_functorIyEyEEDaPvRmT3_T4_T5_mT6_P12ihipStream_tbENKUlT_T0_E_clISt17integral_constantIbLb1EESX_EEDaSS_ST_EUlSS_E0_NS1_11comp_targetILNS1_3genE3ELNS1_11target_archE908ELNS1_3gpuE7ELNS1_3repE0EEENS1_30default_config_static_selectorELNS0_4arch9wavefront6targetE1EEEvT1_,comdat
	.protected	_ZN7rocprim17ROCPRIM_400000_NS6detail17trampoline_kernelINS0_14default_configENS1_20scan_config_selectorIyEEZZNS1_9scan_implILNS1_25lookback_scan_determinismE0ELb0ELb0ES3_N6thrust23THRUST_200600_302600_NS6detail15normal_iteratorINS9_10device_ptrIyEEEENS9_16discard_iteratorINS9_11use_defaultEEEy11max_functorIyEyEEDaPvRmT3_T4_T5_mT6_P12ihipStream_tbENKUlT_T0_E_clISt17integral_constantIbLb1EESX_EEDaSS_ST_EUlSS_E0_NS1_11comp_targetILNS1_3genE3ELNS1_11target_archE908ELNS1_3gpuE7ELNS1_3repE0EEENS1_30default_config_static_selectorELNS0_4arch9wavefront6targetE1EEEvT1_ ; -- Begin function _ZN7rocprim17ROCPRIM_400000_NS6detail17trampoline_kernelINS0_14default_configENS1_20scan_config_selectorIyEEZZNS1_9scan_implILNS1_25lookback_scan_determinismE0ELb0ELb0ES3_N6thrust23THRUST_200600_302600_NS6detail15normal_iteratorINS9_10device_ptrIyEEEENS9_16discard_iteratorINS9_11use_defaultEEEy11max_functorIyEyEEDaPvRmT3_T4_T5_mT6_P12ihipStream_tbENKUlT_T0_E_clISt17integral_constantIbLb1EESX_EEDaSS_ST_EUlSS_E0_NS1_11comp_targetILNS1_3genE3ELNS1_11target_archE908ELNS1_3gpuE7ELNS1_3repE0EEENS1_30default_config_static_selectorELNS0_4arch9wavefront6targetE1EEEvT1_
	.globl	_ZN7rocprim17ROCPRIM_400000_NS6detail17trampoline_kernelINS0_14default_configENS1_20scan_config_selectorIyEEZZNS1_9scan_implILNS1_25lookback_scan_determinismE0ELb0ELb0ES3_N6thrust23THRUST_200600_302600_NS6detail15normal_iteratorINS9_10device_ptrIyEEEENS9_16discard_iteratorINS9_11use_defaultEEEy11max_functorIyEyEEDaPvRmT3_T4_T5_mT6_P12ihipStream_tbENKUlT_T0_E_clISt17integral_constantIbLb1EESX_EEDaSS_ST_EUlSS_E0_NS1_11comp_targetILNS1_3genE3ELNS1_11target_archE908ELNS1_3gpuE7ELNS1_3repE0EEENS1_30default_config_static_selectorELNS0_4arch9wavefront6targetE1EEEvT1_
	.p2align	8
	.type	_ZN7rocprim17ROCPRIM_400000_NS6detail17trampoline_kernelINS0_14default_configENS1_20scan_config_selectorIyEEZZNS1_9scan_implILNS1_25lookback_scan_determinismE0ELb0ELb0ES3_N6thrust23THRUST_200600_302600_NS6detail15normal_iteratorINS9_10device_ptrIyEEEENS9_16discard_iteratorINS9_11use_defaultEEEy11max_functorIyEyEEDaPvRmT3_T4_T5_mT6_P12ihipStream_tbENKUlT_T0_E_clISt17integral_constantIbLb1EESX_EEDaSS_ST_EUlSS_E0_NS1_11comp_targetILNS1_3genE3ELNS1_11target_archE908ELNS1_3gpuE7ELNS1_3repE0EEENS1_30default_config_static_selectorELNS0_4arch9wavefront6targetE1EEEvT1_,@function
_ZN7rocprim17ROCPRIM_400000_NS6detail17trampoline_kernelINS0_14default_configENS1_20scan_config_selectorIyEEZZNS1_9scan_implILNS1_25lookback_scan_determinismE0ELb0ELb0ES3_N6thrust23THRUST_200600_302600_NS6detail15normal_iteratorINS9_10device_ptrIyEEEENS9_16discard_iteratorINS9_11use_defaultEEEy11max_functorIyEyEEDaPvRmT3_T4_T5_mT6_P12ihipStream_tbENKUlT_T0_E_clISt17integral_constantIbLb1EESX_EEDaSS_ST_EUlSS_E0_NS1_11comp_targetILNS1_3genE3ELNS1_11target_archE908ELNS1_3gpuE7ELNS1_3repE0EEENS1_30default_config_static_selectorELNS0_4arch9wavefront6targetE1EEEvT1_: ; @_ZN7rocprim17ROCPRIM_400000_NS6detail17trampoline_kernelINS0_14default_configENS1_20scan_config_selectorIyEEZZNS1_9scan_implILNS1_25lookback_scan_determinismE0ELb0ELb0ES3_N6thrust23THRUST_200600_302600_NS6detail15normal_iteratorINS9_10device_ptrIyEEEENS9_16discard_iteratorINS9_11use_defaultEEEy11max_functorIyEyEEDaPvRmT3_T4_T5_mT6_P12ihipStream_tbENKUlT_T0_E_clISt17integral_constantIbLb1EESX_EEDaSS_ST_EUlSS_E0_NS1_11comp_targetILNS1_3genE3ELNS1_11target_archE908ELNS1_3gpuE7ELNS1_3repE0EEENS1_30default_config_static_selectorELNS0_4arch9wavefront6targetE1EEEvT1_
; %bb.0:
	.section	.rodata,"a",@progbits
	.p2align	6, 0x0
	.amdhsa_kernel _ZN7rocprim17ROCPRIM_400000_NS6detail17trampoline_kernelINS0_14default_configENS1_20scan_config_selectorIyEEZZNS1_9scan_implILNS1_25lookback_scan_determinismE0ELb0ELb0ES3_N6thrust23THRUST_200600_302600_NS6detail15normal_iteratorINS9_10device_ptrIyEEEENS9_16discard_iteratorINS9_11use_defaultEEEy11max_functorIyEyEEDaPvRmT3_T4_T5_mT6_P12ihipStream_tbENKUlT_T0_E_clISt17integral_constantIbLb1EESX_EEDaSS_ST_EUlSS_E0_NS1_11comp_targetILNS1_3genE3ELNS1_11target_archE908ELNS1_3gpuE7ELNS1_3repE0EEENS1_30default_config_static_selectorELNS0_4arch9wavefront6targetE1EEEvT1_
		.amdhsa_group_segment_fixed_size 0
		.amdhsa_private_segment_fixed_size 0
		.amdhsa_kernarg_size 48
		.amdhsa_user_sgpr_count 6
		.amdhsa_user_sgpr_private_segment_buffer 1
		.amdhsa_user_sgpr_dispatch_ptr 0
		.amdhsa_user_sgpr_queue_ptr 0
		.amdhsa_user_sgpr_kernarg_segment_ptr 1
		.amdhsa_user_sgpr_dispatch_id 0
		.amdhsa_user_sgpr_flat_scratch_init 0
		.amdhsa_user_sgpr_kernarg_preload_length 0
		.amdhsa_user_sgpr_kernarg_preload_offset 0
		.amdhsa_user_sgpr_private_segment_size 0
		.amdhsa_uses_dynamic_stack 0
		.amdhsa_system_sgpr_private_segment_wavefront_offset 0
		.amdhsa_system_sgpr_workgroup_id_x 1
		.amdhsa_system_sgpr_workgroup_id_y 0
		.amdhsa_system_sgpr_workgroup_id_z 0
		.amdhsa_system_sgpr_workgroup_info 0
		.amdhsa_system_vgpr_workitem_id 0
		.amdhsa_next_free_vgpr 1
		.amdhsa_next_free_sgpr 0
		.amdhsa_accum_offset 4
		.amdhsa_reserve_vcc 0
		.amdhsa_reserve_flat_scratch 0
		.amdhsa_float_round_mode_32 0
		.amdhsa_float_round_mode_16_64 0
		.amdhsa_float_denorm_mode_32 3
		.amdhsa_float_denorm_mode_16_64 3
		.amdhsa_dx10_clamp 1
		.amdhsa_ieee_mode 1
		.amdhsa_fp16_overflow 0
		.amdhsa_tg_split 0
		.amdhsa_exception_fp_ieee_invalid_op 0
		.amdhsa_exception_fp_denorm_src 0
		.amdhsa_exception_fp_ieee_div_zero 0
		.amdhsa_exception_fp_ieee_overflow 0
		.amdhsa_exception_fp_ieee_underflow 0
		.amdhsa_exception_fp_ieee_inexact 0
		.amdhsa_exception_int_div_zero 0
	.end_amdhsa_kernel
	.section	.text._ZN7rocprim17ROCPRIM_400000_NS6detail17trampoline_kernelINS0_14default_configENS1_20scan_config_selectorIyEEZZNS1_9scan_implILNS1_25lookback_scan_determinismE0ELb0ELb0ES3_N6thrust23THRUST_200600_302600_NS6detail15normal_iteratorINS9_10device_ptrIyEEEENS9_16discard_iteratorINS9_11use_defaultEEEy11max_functorIyEyEEDaPvRmT3_T4_T5_mT6_P12ihipStream_tbENKUlT_T0_E_clISt17integral_constantIbLb1EESX_EEDaSS_ST_EUlSS_E0_NS1_11comp_targetILNS1_3genE3ELNS1_11target_archE908ELNS1_3gpuE7ELNS1_3repE0EEENS1_30default_config_static_selectorELNS0_4arch9wavefront6targetE1EEEvT1_,"axG",@progbits,_ZN7rocprim17ROCPRIM_400000_NS6detail17trampoline_kernelINS0_14default_configENS1_20scan_config_selectorIyEEZZNS1_9scan_implILNS1_25lookback_scan_determinismE0ELb0ELb0ES3_N6thrust23THRUST_200600_302600_NS6detail15normal_iteratorINS9_10device_ptrIyEEEENS9_16discard_iteratorINS9_11use_defaultEEEy11max_functorIyEyEEDaPvRmT3_T4_T5_mT6_P12ihipStream_tbENKUlT_T0_E_clISt17integral_constantIbLb1EESX_EEDaSS_ST_EUlSS_E0_NS1_11comp_targetILNS1_3genE3ELNS1_11target_archE908ELNS1_3gpuE7ELNS1_3repE0EEENS1_30default_config_static_selectorELNS0_4arch9wavefront6targetE1EEEvT1_,comdat
.Lfunc_end3308:
	.size	_ZN7rocprim17ROCPRIM_400000_NS6detail17trampoline_kernelINS0_14default_configENS1_20scan_config_selectorIyEEZZNS1_9scan_implILNS1_25lookback_scan_determinismE0ELb0ELb0ES3_N6thrust23THRUST_200600_302600_NS6detail15normal_iteratorINS9_10device_ptrIyEEEENS9_16discard_iteratorINS9_11use_defaultEEEy11max_functorIyEyEEDaPvRmT3_T4_T5_mT6_P12ihipStream_tbENKUlT_T0_E_clISt17integral_constantIbLb1EESX_EEDaSS_ST_EUlSS_E0_NS1_11comp_targetILNS1_3genE3ELNS1_11target_archE908ELNS1_3gpuE7ELNS1_3repE0EEENS1_30default_config_static_selectorELNS0_4arch9wavefront6targetE1EEEvT1_, .Lfunc_end3308-_ZN7rocprim17ROCPRIM_400000_NS6detail17trampoline_kernelINS0_14default_configENS1_20scan_config_selectorIyEEZZNS1_9scan_implILNS1_25lookback_scan_determinismE0ELb0ELb0ES3_N6thrust23THRUST_200600_302600_NS6detail15normal_iteratorINS9_10device_ptrIyEEEENS9_16discard_iteratorINS9_11use_defaultEEEy11max_functorIyEyEEDaPvRmT3_T4_T5_mT6_P12ihipStream_tbENKUlT_T0_E_clISt17integral_constantIbLb1EESX_EEDaSS_ST_EUlSS_E0_NS1_11comp_targetILNS1_3genE3ELNS1_11target_archE908ELNS1_3gpuE7ELNS1_3repE0EEENS1_30default_config_static_selectorELNS0_4arch9wavefront6targetE1EEEvT1_
                                        ; -- End function
	.section	.AMDGPU.csdata,"",@progbits
; Kernel info:
; codeLenInByte = 0
; NumSgprs: 4
; NumVgprs: 0
; NumAgprs: 0
; TotalNumVgprs: 0
; ScratchSize: 0
; MemoryBound: 0
; FloatMode: 240
; IeeeMode: 1
; LDSByteSize: 0 bytes/workgroup (compile time only)
; SGPRBlocks: 0
; VGPRBlocks: 0
; NumSGPRsForWavesPerEU: 4
; NumVGPRsForWavesPerEU: 1
; AccumOffset: 4
; Occupancy: 8
; WaveLimiterHint : 0
; COMPUTE_PGM_RSRC2:SCRATCH_EN: 0
; COMPUTE_PGM_RSRC2:USER_SGPR: 6
; COMPUTE_PGM_RSRC2:TRAP_HANDLER: 0
; COMPUTE_PGM_RSRC2:TGID_X_EN: 1
; COMPUTE_PGM_RSRC2:TGID_Y_EN: 0
; COMPUTE_PGM_RSRC2:TGID_Z_EN: 0
; COMPUTE_PGM_RSRC2:TIDIG_COMP_CNT: 0
; COMPUTE_PGM_RSRC3_GFX90A:ACCUM_OFFSET: 0
; COMPUTE_PGM_RSRC3_GFX90A:TG_SPLIT: 0
	.section	.text._ZN7rocprim17ROCPRIM_400000_NS6detail17trampoline_kernelINS0_14default_configENS1_20scan_config_selectorIyEEZZNS1_9scan_implILNS1_25lookback_scan_determinismE0ELb0ELb0ES3_N6thrust23THRUST_200600_302600_NS6detail15normal_iteratorINS9_10device_ptrIyEEEENS9_16discard_iteratorINS9_11use_defaultEEEy11max_functorIyEyEEDaPvRmT3_T4_T5_mT6_P12ihipStream_tbENKUlT_T0_E_clISt17integral_constantIbLb1EESX_EEDaSS_ST_EUlSS_E0_NS1_11comp_targetILNS1_3genE2ELNS1_11target_archE906ELNS1_3gpuE6ELNS1_3repE0EEENS1_30default_config_static_selectorELNS0_4arch9wavefront6targetE1EEEvT1_,"axG",@progbits,_ZN7rocprim17ROCPRIM_400000_NS6detail17trampoline_kernelINS0_14default_configENS1_20scan_config_selectorIyEEZZNS1_9scan_implILNS1_25lookback_scan_determinismE0ELb0ELb0ES3_N6thrust23THRUST_200600_302600_NS6detail15normal_iteratorINS9_10device_ptrIyEEEENS9_16discard_iteratorINS9_11use_defaultEEEy11max_functorIyEyEEDaPvRmT3_T4_T5_mT6_P12ihipStream_tbENKUlT_T0_E_clISt17integral_constantIbLb1EESX_EEDaSS_ST_EUlSS_E0_NS1_11comp_targetILNS1_3genE2ELNS1_11target_archE906ELNS1_3gpuE6ELNS1_3repE0EEENS1_30default_config_static_selectorELNS0_4arch9wavefront6targetE1EEEvT1_,comdat
	.protected	_ZN7rocprim17ROCPRIM_400000_NS6detail17trampoline_kernelINS0_14default_configENS1_20scan_config_selectorIyEEZZNS1_9scan_implILNS1_25lookback_scan_determinismE0ELb0ELb0ES3_N6thrust23THRUST_200600_302600_NS6detail15normal_iteratorINS9_10device_ptrIyEEEENS9_16discard_iteratorINS9_11use_defaultEEEy11max_functorIyEyEEDaPvRmT3_T4_T5_mT6_P12ihipStream_tbENKUlT_T0_E_clISt17integral_constantIbLb1EESX_EEDaSS_ST_EUlSS_E0_NS1_11comp_targetILNS1_3genE2ELNS1_11target_archE906ELNS1_3gpuE6ELNS1_3repE0EEENS1_30default_config_static_selectorELNS0_4arch9wavefront6targetE1EEEvT1_ ; -- Begin function _ZN7rocprim17ROCPRIM_400000_NS6detail17trampoline_kernelINS0_14default_configENS1_20scan_config_selectorIyEEZZNS1_9scan_implILNS1_25lookback_scan_determinismE0ELb0ELb0ES3_N6thrust23THRUST_200600_302600_NS6detail15normal_iteratorINS9_10device_ptrIyEEEENS9_16discard_iteratorINS9_11use_defaultEEEy11max_functorIyEyEEDaPvRmT3_T4_T5_mT6_P12ihipStream_tbENKUlT_T0_E_clISt17integral_constantIbLb1EESX_EEDaSS_ST_EUlSS_E0_NS1_11comp_targetILNS1_3genE2ELNS1_11target_archE906ELNS1_3gpuE6ELNS1_3repE0EEENS1_30default_config_static_selectorELNS0_4arch9wavefront6targetE1EEEvT1_
	.globl	_ZN7rocprim17ROCPRIM_400000_NS6detail17trampoline_kernelINS0_14default_configENS1_20scan_config_selectorIyEEZZNS1_9scan_implILNS1_25lookback_scan_determinismE0ELb0ELb0ES3_N6thrust23THRUST_200600_302600_NS6detail15normal_iteratorINS9_10device_ptrIyEEEENS9_16discard_iteratorINS9_11use_defaultEEEy11max_functorIyEyEEDaPvRmT3_T4_T5_mT6_P12ihipStream_tbENKUlT_T0_E_clISt17integral_constantIbLb1EESX_EEDaSS_ST_EUlSS_E0_NS1_11comp_targetILNS1_3genE2ELNS1_11target_archE906ELNS1_3gpuE6ELNS1_3repE0EEENS1_30default_config_static_selectorELNS0_4arch9wavefront6targetE1EEEvT1_
	.p2align	8
	.type	_ZN7rocprim17ROCPRIM_400000_NS6detail17trampoline_kernelINS0_14default_configENS1_20scan_config_selectorIyEEZZNS1_9scan_implILNS1_25lookback_scan_determinismE0ELb0ELb0ES3_N6thrust23THRUST_200600_302600_NS6detail15normal_iteratorINS9_10device_ptrIyEEEENS9_16discard_iteratorINS9_11use_defaultEEEy11max_functorIyEyEEDaPvRmT3_T4_T5_mT6_P12ihipStream_tbENKUlT_T0_E_clISt17integral_constantIbLb1EESX_EEDaSS_ST_EUlSS_E0_NS1_11comp_targetILNS1_3genE2ELNS1_11target_archE906ELNS1_3gpuE6ELNS1_3repE0EEENS1_30default_config_static_selectorELNS0_4arch9wavefront6targetE1EEEvT1_,@function
_ZN7rocprim17ROCPRIM_400000_NS6detail17trampoline_kernelINS0_14default_configENS1_20scan_config_selectorIyEEZZNS1_9scan_implILNS1_25lookback_scan_determinismE0ELb0ELb0ES3_N6thrust23THRUST_200600_302600_NS6detail15normal_iteratorINS9_10device_ptrIyEEEENS9_16discard_iteratorINS9_11use_defaultEEEy11max_functorIyEyEEDaPvRmT3_T4_T5_mT6_P12ihipStream_tbENKUlT_T0_E_clISt17integral_constantIbLb1EESX_EEDaSS_ST_EUlSS_E0_NS1_11comp_targetILNS1_3genE2ELNS1_11target_archE906ELNS1_3gpuE6ELNS1_3repE0EEENS1_30default_config_static_selectorELNS0_4arch9wavefront6targetE1EEEvT1_: ; @_ZN7rocprim17ROCPRIM_400000_NS6detail17trampoline_kernelINS0_14default_configENS1_20scan_config_selectorIyEEZZNS1_9scan_implILNS1_25lookback_scan_determinismE0ELb0ELb0ES3_N6thrust23THRUST_200600_302600_NS6detail15normal_iteratorINS9_10device_ptrIyEEEENS9_16discard_iteratorINS9_11use_defaultEEEy11max_functorIyEyEEDaPvRmT3_T4_T5_mT6_P12ihipStream_tbENKUlT_T0_E_clISt17integral_constantIbLb1EESX_EEDaSS_ST_EUlSS_E0_NS1_11comp_targetILNS1_3genE2ELNS1_11target_archE906ELNS1_3gpuE6ELNS1_3repE0EEENS1_30default_config_static_selectorELNS0_4arch9wavefront6targetE1EEEvT1_
; %bb.0:
	.section	.rodata,"a",@progbits
	.p2align	6, 0x0
	.amdhsa_kernel _ZN7rocprim17ROCPRIM_400000_NS6detail17trampoline_kernelINS0_14default_configENS1_20scan_config_selectorIyEEZZNS1_9scan_implILNS1_25lookback_scan_determinismE0ELb0ELb0ES3_N6thrust23THRUST_200600_302600_NS6detail15normal_iteratorINS9_10device_ptrIyEEEENS9_16discard_iteratorINS9_11use_defaultEEEy11max_functorIyEyEEDaPvRmT3_T4_T5_mT6_P12ihipStream_tbENKUlT_T0_E_clISt17integral_constantIbLb1EESX_EEDaSS_ST_EUlSS_E0_NS1_11comp_targetILNS1_3genE2ELNS1_11target_archE906ELNS1_3gpuE6ELNS1_3repE0EEENS1_30default_config_static_selectorELNS0_4arch9wavefront6targetE1EEEvT1_
		.amdhsa_group_segment_fixed_size 0
		.amdhsa_private_segment_fixed_size 0
		.amdhsa_kernarg_size 48
		.amdhsa_user_sgpr_count 6
		.amdhsa_user_sgpr_private_segment_buffer 1
		.amdhsa_user_sgpr_dispatch_ptr 0
		.amdhsa_user_sgpr_queue_ptr 0
		.amdhsa_user_sgpr_kernarg_segment_ptr 1
		.amdhsa_user_sgpr_dispatch_id 0
		.amdhsa_user_sgpr_flat_scratch_init 0
		.amdhsa_user_sgpr_kernarg_preload_length 0
		.amdhsa_user_sgpr_kernarg_preload_offset 0
		.amdhsa_user_sgpr_private_segment_size 0
		.amdhsa_uses_dynamic_stack 0
		.amdhsa_system_sgpr_private_segment_wavefront_offset 0
		.amdhsa_system_sgpr_workgroup_id_x 1
		.amdhsa_system_sgpr_workgroup_id_y 0
		.amdhsa_system_sgpr_workgroup_id_z 0
		.amdhsa_system_sgpr_workgroup_info 0
		.amdhsa_system_vgpr_workitem_id 0
		.amdhsa_next_free_vgpr 1
		.amdhsa_next_free_sgpr 0
		.amdhsa_accum_offset 4
		.amdhsa_reserve_vcc 0
		.amdhsa_reserve_flat_scratch 0
		.amdhsa_float_round_mode_32 0
		.amdhsa_float_round_mode_16_64 0
		.amdhsa_float_denorm_mode_32 3
		.amdhsa_float_denorm_mode_16_64 3
		.amdhsa_dx10_clamp 1
		.amdhsa_ieee_mode 1
		.amdhsa_fp16_overflow 0
		.amdhsa_tg_split 0
		.amdhsa_exception_fp_ieee_invalid_op 0
		.amdhsa_exception_fp_denorm_src 0
		.amdhsa_exception_fp_ieee_div_zero 0
		.amdhsa_exception_fp_ieee_overflow 0
		.amdhsa_exception_fp_ieee_underflow 0
		.amdhsa_exception_fp_ieee_inexact 0
		.amdhsa_exception_int_div_zero 0
	.end_amdhsa_kernel
	.section	.text._ZN7rocprim17ROCPRIM_400000_NS6detail17trampoline_kernelINS0_14default_configENS1_20scan_config_selectorIyEEZZNS1_9scan_implILNS1_25lookback_scan_determinismE0ELb0ELb0ES3_N6thrust23THRUST_200600_302600_NS6detail15normal_iteratorINS9_10device_ptrIyEEEENS9_16discard_iteratorINS9_11use_defaultEEEy11max_functorIyEyEEDaPvRmT3_T4_T5_mT6_P12ihipStream_tbENKUlT_T0_E_clISt17integral_constantIbLb1EESX_EEDaSS_ST_EUlSS_E0_NS1_11comp_targetILNS1_3genE2ELNS1_11target_archE906ELNS1_3gpuE6ELNS1_3repE0EEENS1_30default_config_static_selectorELNS0_4arch9wavefront6targetE1EEEvT1_,"axG",@progbits,_ZN7rocprim17ROCPRIM_400000_NS6detail17trampoline_kernelINS0_14default_configENS1_20scan_config_selectorIyEEZZNS1_9scan_implILNS1_25lookback_scan_determinismE0ELb0ELb0ES3_N6thrust23THRUST_200600_302600_NS6detail15normal_iteratorINS9_10device_ptrIyEEEENS9_16discard_iteratorINS9_11use_defaultEEEy11max_functorIyEyEEDaPvRmT3_T4_T5_mT6_P12ihipStream_tbENKUlT_T0_E_clISt17integral_constantIbLb1EESX_EEDaSS_ST_EUlSS_E0_NS1_11comp_targetILNS1_3genE2ELNS1_11target_archE906ELNS1_3gpuE6ELNS1_3repE0EEENS1_30default_config_static_selectorELNS0_4arch9wavefront6targetE1EEEvT1_,comdat
.Lfunc_end3309:
	.size	_ZN7rocprim17ROCPRIM_400000_NS6detail17trampoline_kernelINS0_14default_configENS1_20scan_config_selectorIyEEZZNS1_9scan_implILNS1_25lookback_scan_determinismE0ELb0ELb0ES3_N6thrust23THRUST_200600_302600_NS6detail15normal_iteratorINS9_10device_ptrIyEEEENS9_16discard_iteratorINS9_11use_defaultEEEy11max_functorIyEyEEDaPvRmT3_T4_T5_mT6_P12ihipStream_tbENKUlT_T0_E_clISt17integral_constantIbLb1EESX_EEDaSS_ST_EUlSS_E0_NS1_11comp_targetILNS1_3genE2ELNS1_11target_archE906ELNS1_3gpuE6ELNS1_3repE0EEENS1_30default_config_static_selectorELNS0_4arch9wavefront6targetE1EEEvT1_, .Lfunc_end3309-_ZN7rocprim17ROCPRIM_400000_NS6detail17trampoline_kernelINS0_14default_configENS1_20scan_config_selectorIyEEZZNS1_9scan_implILNS1_25lookback_scan_determinismE0ELb0ELb0ES3_N6thrust23THRUST_200600_302600_NS6detail15normal_iteratorINS9_10device_ptrIyEEEENS9_16discard_iteratorINS9_11use_defaultEEEy11max_functorIyEyEEDaPvRmT3_T4_T5_mT6_P12ihipStream_tbENKUlT_T0_E_clISt17integral_constantIbLb1EESX_EEDaSS_ST_EUlSS_E0_NS1_11comp_targetILNS1_3genE2ELNS1_11target_archE906ELNS1_3gpuE6ELNS1_3repE0EEENS1_30default_config_static_selectorELNS0_4arch9wavefront6targetE1EEEvT1_
                                        ; -- End function
	.section	.AMDGPU.csdata,"",@progbits
; Kernel info:
; codeLenInByte = 0
; NumSgprs: 4
; NumVgprs: 0
; NumAgprs: 0
; TotalNumVgprs: 0
; ScratchSize: 0
; MemoryBound: 0
; FloatMode: 240
; IeeeMode: 1
; LDSByteSize: 0 bytes/workgroup (compile time only)
; SGPRBlocks: 0
; VGPRBlocks: 0
; NumSGPRsForWavesPerEU: 4
; NumVGPRsForWavesPerEU: 1
; AccumOffset: 4
; Occupancy: 8
; WaveLimiterHint : 0
; COMPUTE_PGM_RSRC2:SCRATCH_EN: 0
; COMPUTE_PGM_RSRC2:USER_SGPR: 6
; COMPUTE_PGM_RSRC2:TRAP_HANDLER: 0
; COMPUTE_PGM_RSRC2:TGID_X_EN: 1
; COMPUTE_PGM_RSRC2:TGID_Y_EN: 0
; COMPUTE_PGM_RSRC2:TGID_Z_EN: 0
; COMPUTE_PGM_RSRC2:TIDIG_COMP_CNT: 0
; COMPUTE_PGM_RSRC3_GFX90A:ACCUM_OFFSET: 0
; COMPUTE_PGM_RSRC3_GFX90A:TG_SPLIT: 0
	.section	.text._ZN7rocprim17ROCPRIM_400000_NS6detail17trampoline_kernelINS0_14default_configENS1_20scan_config_selectorIyEEZZNS1_9scan_implILNS1_25lookback_scan_determinismE0ELb0ELb0ES3_N6thrust23THRUST_200600_302600_NS6detail15normal_iteratorINS9_10device_ptrIyEEEENS9_16discard_iteratorINS9_11use_defaultEEEy11max_functorIyEyEEDaPvRmT3_T4_T5_mT6_P12ihipStream_tbENKUlT_T0_E_clISt17integral_constantIbLb1EESX_EEDaSS_ST_EUlSS_E0_NS1_11comp_targetILNS1_3genE10ELNS1_11target_archE1201ELNS1_3gpuE5ELNS1_3repE0EEENS1_30default_config_static_selectorELNS0_4arch9wavefront6targetE1EEEvT1_,"axG",@progbits,_ZN7rocprim17ROCPRIM_400000_NS6detail17trampoline_kernelINS0_14default_configENS1_20scan_config_selectorIyEEZZNS1_9scan_implILNS1_25lookback_scan_determinismE0ELb0ELb0ES3_N6thrust23THRUST_200600_302600_NS6detail15normal_iteratorINS9_10device_ptrIyEEEENS9_16discard_iteratorINS9_11use_defaultEEEy11max_functorIyEyEEDaPvRmT3_T4_T5_mT6_P12ihipStream_tbENKUlT_T0_E_clISt17integral_constantIbLb1EESX_EEDaSS_ST_EUlSS_E0_NS1_11comp_targetILNS1_3genE10ELNS1_11target_archE1201ELNS1_3gpuE5ELNS1_3repE0EEENS1_30default_config_static_selectorELNS0_4arch9wavefront6targetE1EEEvT1_,comdat
	.protected	_ZN7rocprim17ROCPRIM_400000_NS6detail17trampoline_kernelINS0_14default_configENS1_20scan_config_selectorIyEEZZNS1_9scan_implILNS1_25lookback_scan_determinismE0ELb0ELb0ES3_N6thrust23THRUST_200600_302600_NS6detail15normal_iteratorINS9_10device_ptrIyEEEENS9_16discard_iteratorINS9_11use_defaultEEEy11max_functorIyEyEEDaPvRmT3_T4_T5_mT6_P12ihipStream_tbENKUlT_T0_E_clISt17integral_constantIbLb1EESX_EEDaSS_ST_EUlSS_E0_NS1_11comp_targetILNS1_3genE10ELNS1_11target_archE1201ELNS1_3gpuE5ELNS1_3repE0EEENS1_30default_config_static_selectorELNS0_4arch9wavefront6targetE1EEEvT1_ ; -- Begin function _ZN7rocprim17ROCPRIM_400000_NS6detail17trampoline_kernelINS0_14default_configENS1_20scan_config_selectorIyEEZZNS1_9scan_implILNS1_25lookback_scan_determinismE0ELb0ELb0ES3_N6thrust23THRUST_200600_302600_NS6detail15normal_iteratorINS9_10device_ptrIyEEEENS9_16discard_iteratorINS9_11use_defaultEEEy11max_functorIyEyEEDaPvRmT3_T4_T5_mT6_P12ihipStream_tbENKUlT_T0_E_clISt17integral_constantIbLb1EESX_EEDaSS_ST_EUlSS_E0_NS1_11comp_targetILNS1_3genE10ELNS1_11target_archE1201ELNS1_3gpuE5ELNS1_3repE0EEENS1_30default_config_static_selectorELNS0_4arch9wavefront6targetE1EEEvT1_
	.globl	_ZN7rocprim17ROCPRIM_400000_NS6detail17trampoline_kernelINS0_14default_configENS1_20scan_config_selectorIyEEZZNS1_9scan_implILNS1_25lookback_scan_determinismE0ELb0ELb0ES3_N6thrust23THRUST_200600_302600_NS6detail15normal_iteratorINS9_10device_ptrIyEEEENS9_16discard_iteratorINS9_11use_defaultEEEy11max_functorIyEyEEDaPvRmT3_T4_T5_mT6_P12ihipStream_tbENKUlT_T0_E_clISt17integral_constantIbLb1EESX_EEDaSS_ST_EUlSS_E0_NS1_11comp_targetILNS1_3genE10ELNS1_11target_archE1201ELNS1_3gpuE5ELNS1_3repE0EEENS1_30default_config_static_selectorELNS0_4arch9wavefront6targetE1EEEvT1_
	.p2align	8
	.type	_ZN7rocprim17ROCPRIM_400000_NS6detail17trampoline_kernelINS0_14default_configENS1_20scan_config_selectorIyEEZZNS1_9scan_implILNS1_25lookback_scan_determinismE0ELb0ELb0ES3_N6thrust23THRUST_200600_302600_NS6detail15normal_iteratorINS9_10device_ptrIyEEEENS9_16discard_iteratorINS9_11use_defaultEEEy11max_functorIyEyEEDaPvRmT3_T4_T5_mT6_P12ihipStream_tbENKUlT_T0_E_clISt17integral_constantIbLb1EESX_EEDaSS_ST_EUlSS_E0_NS1_11comp_targetILNS1_3genE10ELNS1_11target_archE1201ELNS1_3gpuE5ELNS1_3repE0EEENS1_30default_config_static_selectorELNS0_4arch9wavefront6targetE1EEEvT1_,@function
_ZN7rocprim17ROCPRIM_400000_NS6detail17trampoline_kernelINS0_14default_configENS1_20scan_config_selectorIyEEZZNS1_9scan_implILNS1_25lookback_scan_determinismE0ELb0ELb0ES3_N6thrust23THRUST_200600_302600_NS6detail15normal_iteratorINS9_10device_ptrIyEEEENS9_16discard_iteratorINS9_11use_defaultEEEy11max_functorIyEyEEDaPvRmT3_T4_T5_mT6_P12ihipStream_tbENKUlT_T0_E_clISt17integral_constantIbLb1EESX_EEDaSS_ST_EUlSS_E0_NS1_11comp_targetILNS1_3genE10ELNS1_11target_archE1201ELNS1_3gpuE5ELNS1_3repE0EEENS1_30default_config_static_selectorELNS0_4arch9wavefront6targetE1EEEvT1_: ; @_ZN7rocprim17ROCPRIM_400000_NS6detail17trampoline_kernelINS0_14default_configENS1_20scan_config_selectorIyEEZZNS1_9scan_implILNS1_25lookback_scan_determinismE0ELb0ELb0ES3_N6thrust23THRUST_200600_302600_NS6detail15normal_iteratorINS9_10device_ptrIyEEEENS9_16discard_iteratorINS9_11use_defaultEEEy11max_functorIyEyEEDaPvRmT3_T4_T5_mT6_P12ihipStream_tbENKUlT_T0_E_clISt17integral_constantIbLb1EESX_EEDaSS_ST_EUlSS_E0_NS1_11comp_targetILNS1_3genE10ELNS1_11target_archE1201ELNS1_3gpuE5ELNS1_3repE0EEENS1_30default_config_static_selectorELNS0_4arch9wavefront6targetE1EEEvT1_
; %bb.0:
	.section	.rodata,"a",@progbits
	.p2align	6, 0x0
	.amdhsa_kernel _ZN7rocprim17ROCPRIM_400000_NS6detail17trampoline_kernelINS0_14default_configENS1_20scan_config_selectorIyEEZZNS1_9scan_implILNS1_25lookback_scan_determinismE0ELb0ELb0ES3_N6thrust23THRUST_200600_302600_NS6detail15normal_iteratorINS9_10device_ptrIyEEEENS9_16discard_iteratorINS9_11use_defaultEEEy11max_functorIyEyEEDaPvRmT3_T4_T5_mT6_P12ihipStream_tbENKUlT_T0_E_clISt17integral_constantIbLb1EESX_EEDaSS_ST_EUlSS_E0_NS1_11comp_targetILNS1_3genE10ELNS1_11target_archE1201ELNS1_3gpuE5ELNS1_3repE0EEENS1_30default_config_static_selectorELNS0_4arch9wavefront6targetE1EEEvT1_
		.amdhsa_group_segment_fixed_size 0
		.amdhsa_private_segment_fixed_size 0
		.amdhsa_kernarg_size 48
		.amdhsa_user_sgpr_count 6
		.amdhsa_user_sgpr_private_segment_buffer 1
		.amdhsa_user_sgpr_dispatch_ptr 0
		.amdhsa_user_sgpr_queue_ptr 0
		.amdhsa_user_sgpr_kernarg_segment_ptr 1
		.amdhsa_user_sgpr_dispatch_id 0
		.amdhsa_user_sgpr_flat_scratch_init 0
		.amdhsa_user_sgpr_kernarg_preload_length 0
		.amdhsa_user_sgpr_kernarg_preload_offset 0
		.amdhsa_user_sgpr_private_segment_size 0
		.amdhsa_uses_dynamic_stack 0
		.amdhsa_system_sgpr_private_segment_wavefront_offset 0
		.amdhsa_system_sgpr_workgroup_id_x 1
		.amdhsa_system_sgpr_workgroup_id_y 0
		.amdhsa_system_sgpr_workgroup_id_z 0
		.amdhsa_system_sgpr_workgroup_info 0
		.amdhsa_system_vgpr_workitem_id 0
		.amdhsa_next_free_vgpr 1
		.amdhsa_next_free_sgpr 0
		.amdhsa_accum_offset 4
		.amdhsa_reserve_vcc 0
		.amdhsa_reserve_flat_scratch 0
		.amdhsa_float_round_mode_32 0
		.amdhsa_float_round_mode_16_64 0
		.amdhsa_float_denorm_mode_32 3
		.amdhsa_float_denorm_mode_16_64 3
		.amdhsa_dx10_clamp 1
		.amdhsa_ieee_mode 1
		.amdhsa_fp16_overflow 0
		.amdhsa_tg_split 0
		.amdhsa_exception_fp_ieee_invalid_op 0
		.amdhsa_exception_fp_denorm_src 0
		.amdhsa_exception_fp_ieee_div_zero 0
		.amdhsa_exception_fp_ieee_overflow 0
		.amdhsa_exception_fp_ieee_underflow 0
		.amdhsa_exception_fp_ieee_inexact 0
		.amdhsa_exception_int_div_zero 0
	.end_amdhsa_kernel
	.section	.text._ZN7rocprim17ROCPRIM_400000_NS6detail17trampoline_kernelINS0_14default_configENS1_20scan_config_selectorIyEEZZNS1_9scan_implILNS1_25lookback_scan_determinismE0ELb0ELb0ES3_N6thrust23THRUST_200600_302600_NS6detail15normal_iteratorINS9_10device_ptrIyEEEENS9_16discard_iteratorINS9_11use_defaultEEEy11max_functorIyEyEEDaPvRmT3_T4_T5_mT6_P12ihipStream_tbENKUlT_T0_E_clISt17integral_constantIbLb1EESX_EEDaSS_ST_EUlSS_E0_NS1_11comp_targetILNS1_3genE10ELNS1_11target_archE1201ELNS1_3gpuE5ELNS1_3repE0EEENS1_30default_config_static_selectorELNS0_4arch9wavefront6targetE1EEEvT1_,"axG",@progbits,_ZN7rocprim17ROCPRIM_400000_NS6detail17trampoline_kernelINS0_14default_configENS1_20scan_config_selectorIyEEZZNS1_9scan_implILNS1_25lookback_scan_determinismE0ELb0ELb0ES3_N6thrust23THRUST_200600_302600_NS6detail15normal_iteratorINS9_10device_ptrIyEEEENS9_16discard_iteratorINS9_11use_defaultEEEy11max_functorIyEyEEDaPvRmT3_T4_T5_mT6_P12ihipStream_tbENKUlT_T0_E_clISt17integral_constantIbLb1EESX_EEDaSS_ST_EUlSS_E0_NS1_11comp_targetILNS1_3genE10ELNS1_11target_archE1201ELNS1_3gpuE5ELNS1_3repE0EEENS1_30default_config_static_selectorELNS0_4arch9wavefront6targetE1EEEvT1_,comdat
.Lfunc_end3310:
	.size	_ZN7rocprim17ROCPRIM_400000_NS6detail17trampoline_kernelINS0_14default_configENS1_20scan_config_selectorIyEEZZNS1_9scan_implILNS1_25lookback_scan_determinismE0ELb0ELb0ES3_N6thrust23THRUST_200600_302600_NS6detail15normal_iteratorINS9_10device_ptrIyEEEENS9_16discard_iteratorINS9_11use_defaultEEEy11max_functorIyEyEEDaPvRmT3_T4_T5_mT6_P12ihipStream_tbENKUlT_T0_E_clISt17integral_constantIbLb1EESX_EEDaSS_ST_EUlSS_E0_NS1_11comp_targetILNS1_3genE10ELNS1_11target_archE1201ELNS1_3gpuE5ELNS1_3repE0EEENS1_30default_config_static_selectorELNS0_4arch9wavefront6targetE1EEEvT1_, .Lfunc_end3310-_ZN7rocprim17ROCPRIM_400000_NS6detail17trampoline_kernelINS0_14default_configENS1_20scan_config_selectorIyEEZZNS1_9scan_implILNS1_25lookback_scan_determinismE0ELb0ELb0ES3_N6thrust23THRUST_200600_302600_NS6detail15normal_iteratorINS9_10device_ptrIyEEEENS9_16discard_iteratorINS9_11use_defaultEEEy11max_functorIyEyEEDaPvRmT3_T4_T5_mT6_P12ihipStream_tbENKUlT_T0_E_clISt17integral_constantIbLb1EESX_EEDaSS_ST_EUlSS_E0_NS1_11comp_targetILNS1_3genE10ELNS1_11target_archE1201ELNS1_3gpuE5ELNS1_3repE0EEENS1_30default_config_static_selectorELNS0_4arch9wavefront6targetE1EEEvT1_
                                        ; -- End function
	.section	.AMDGPU.csdata,"",@progbits
; Kernel info:
; codeLenInByte = 0
; NumSgprs: 4
; NumVgprs: 0
; NumAgprs: 0
; TotalNumVgprs: 0
; ScratchSize: 0
; MemoryBound: 0
; FloatMode: 240
; IeeeMode: 1
; LDSByteSize: 0 bytes/workgroup (compile time only)
; SGPRBlocks: 0
; VGPRBlocks: 0
; NumSGPRsForWavesPerEU: 4
; NumVGPRsForWavesPerEU: 1
; AccumOffset: 4
; Occupancy: 8
; WaveLimiterHint : 0
; COMPUTE_PGM_RSRC2:SCRATCH_EN: 0
; COMPUTE_PGM_RSRC2:USER_SGPR: 6
; COMPUTE_PGM_RSRC2:TRAP_HANDLER: 0
; COMPUTE_PGM_RSRC2:TGID_X_EN: 1
; COMPUTE_PGM_RSRC2:TGID_Y_EN: 0
; COMPUTE_PGM_RSRC2:TGID_Z_EN: 0
; COMPUTE_PGM_RSRC2:TIDIG_COMP_CNT: 0
; COMPUTE_PGM_RSRC3_GFX90A:ACCUM_OFFSET: 0
; COMPUTE_PGM_RSRC3_GFX90A:TG_SPLIT: 0
	.section	.text._ZN7rocprim17ROCPRIM_400000_NS6detail17trampoline_kernelINS0_14default_configENS1_20scan_config_selectorIyEEZZNS1_9scan_implILNS1_25lookback_scan_determinismE0ELb0ELb0ES3_N6thrust23THRUST_200600_302600_NS6detail15normal_iteratorINS9_10device_ptrIyEEEENS9_16discard_iteratorINS9_11use_defaultEEEy11max_functorIyEyEEDaPvRmT3_T4_T5_mT6_P12ihipStream_tbENKUlT_T0_E_clISt17integral_constantIbLb1EESX_EEDaSS_ST_EUlSS_E0_NS1_11comp_targetILNS1_3genE10ELNS1_11target_archE1200ELNS1_3gpuE4ELNS1_3repE0EEENS1_30default_config_static_selectorELNS0_4arch9wavefront6targetE1EEEvT1_,"axG",@progbits,_ZN7rocprim17ROCPRIM_400000_NS6detail17trampoline_kernelINS0_14default_configENS1_20scan_config_selectorIyEEZZNS1_9scan_implILNS1_25lookback_scan_determinismE0ELb0ELb0ES3_N6thrust23THRUST_200600_302600_NS6detail15normal_iteratorINS9_10device_ptrIyEEEENS9_16discard_iteratorINS9_11use_defaultEEEy11max_functorIyEyEEDaPvRmT3_T4_T5_mT6_P12ihipStream_tbENKUlT_T0_E_clISt17integral_constantIbLb1EESX_EEDaSS_ST_EUlSS_E0_NS1_11comp_targetILNS1_3genE10ELNS1_11target_archE1200ELNS1_3gpuE4ELNS1_3repE0EEENS1_30default_config_static_selectorELNS0_4arch9wavefront6targetE1EEEvT1_,comdat
	.protected	_ZN7rocprim17ROCPRIM_400000_NS6detail17trampoline_kernelINS0_14default_configENS1_20scan_config_selectorIyEEZZNS1_9scan_implILNS1_25lookback_scan_determinismE0ELb0ELb0ES3_N6thrust23THRUST_200600_302600_NS6detail15normal_iteratorINS9_10device_ptrIyEEEENS9_16discard_iteratorINS9_11use_defaultEEEy11max_functorIyEyEEDaPvRmT3_T4_T5_mT6_P12ihipStream_tbENKUlT_T0_E_clISt17integral_constantIbLb1EESX_EEDaSS_ST_EUlSS_E0_NS1_11comp_targetILNS1_3genE10ELNS1_11target_archE1200ELNS1_3gpuE4ELNS1_3repE0EEENS1_30default_config_static_selectorELNS0_4arch9wavefront6targetE1EEEvT1_ ; -- Begin function _ZN7rocprim17ROCPRIM_400000_NS6detail17trampoline_kernelINS0_14default_configENS1_20scan_config_selectorIyEEZZNS1_9scan_implILNS1_25lookback_scan_determinismE0ELb0ELb0ES3_N6thrust23THRUST_200600_302600_NS6detail15normal_iteratorINS9_10device_ptrIyEEEENS9_16discard_iteratorINS9_11use_defaultEEEy11max_functorIyEyEEDaPvRmT3_T4_T5_mT6_P12ihipStream_tbENKUlT_T0_E_clISt17integral_constantIbLb1EESX_EEDaSS_ST_EUlSS_E0_NS1_11comp_targetILNS1_3genE10ELNS1_11target_archE1200ELNS1_3gpuE4ELNS1_3repE0EEENS1_30default_config_static_selectorELNS0_4arch9wavefront6targetE1EEEvT1_
	.globl	_ZN7rocprim17ROCPRIM_400000_NS6detail17trampoline_kernelINS0_14default_configENS1_20scan_config_selectorIyEEZZNS1_9scan_implILNS1_25lookback_scan_determinismE0ELb0ELb0ES3_N6thrust23THRUST_200600_302600_NS6detail15normal_iteratorINS9_10device_ptrIyEEEENS9_16discard_iteratorINS9_11use_defaultEEEy11max_functorIyEyEEDaPvRmT3_T4_T5_mT6_P12ihipStream_tbENKUlT_T0_E_clISt17integral_constantIbLb1EESX_EEDaSS_ST_EUlSS_E0_NS1_11comp_targetILNS1_3genE10ELNS1_11target_archE1200ELNS1_3gpuE4ELNS1_3repE0EEENS1_30default_config_static_selectorELNS0_4arch9wavefront6targetE1EEEvT1_
	.p2align	8
	.type	_ZN7rocprim17ROCPRIM_400000_NS6detail17trampoline_kernelINS0_14default_configENS1_20scan_config_selectorIyEEZZNS1_9scan_implILNS1_25lookback_scan_determinismE0ELb0ELb0ES3_N6thrust23THRUST_200600_302600_NS6detail15normal_iteratorINS9_10device_ptrIyEEEENS9_16discard_iteratorINS9_11use_defaultEEEy11max_functorIyEyEEDaPvRmT3_T4_T5_mT6_P12ihipStream_tbENKUlT_T0_E_clISt17integral_constantIbLb1EESX_EEDaSS_ST_EUlSS_E0_NS1_11comp_targetILNS1_3genE10ELNS1_11target_archE1200ELNS1_3gpuE4ELNS1_3repE0EEENS1_30default_config_static_selectorELNS0_4arch9wavefront6targetE1EEEvT1_,@function
_ZN7rocprim17ROCPRIM_400000_NS6detail17trampoline_kernelINS0_14default_configENS1_20scan_config_selectorIyEEZZNS1_9scan_implILNS1_25lookback_scan_determinismE0ELb0ELb0ES3_N6thrust23THRUST_200600_302600_NS6detail15normal_iteratorINS9_10device_ptrIyEEEENS9_16discard_iteratorINS9_11use_defaultEEEy11max_functorIyEyEEDaPvRmT3_T4_T5_mT6_P12ihipStream_tbENKUlT_T0_E_clISt17integral_constantIbLb1EESX_EEDaSS_ST_EUlSS_E0_NS1_11comp_targetILNS1_3genE10ELNS1_11target_archE1200ELNS1_3gpuE4ELNS1_3repE0EEENS1_30default_config_static_selectorELNS0_4arch9wavefront6targetE1EEEvT1_: ; @_ZN7rocprim17ROCPRIM_400000_NS6detail17trampoline_kernelINS0_14default_configENS1_20scan_config_selectorIyEEZZNS1_9scan_implILNS1_25lookback_scan_determinismE0ELb0ELb0ES3_N6thrust23THRUST_200600_302600_NS6detail15normal_iteratorINS9_10device_ptrIyEEEENS9_16discard_iteratorINS9_11use_defaultEEEy11max_functorIyEyEEDaPvRmT3_T4_T5_mT6_P12ihipStream_tbENKUlT_T0_E_clISt17integral_constantIbLb1EESX_EEDaSS_ST_EUlSS_E0_NS1_11comp_targetILNS1_3genE10ELNS1_11target_archE1200ELNS1_3gpuE4ELNS1_3repE0EEENS1_30default_config_static_selectorELNS0_4arch9wavefront6targetE1EEEvT1_
; %bb.0:
	.section	.rodata,"a",@progbits
	.p2align	6, 0x0
	.amdhsa_kernel _ZN7rocprim17ROCPRIM_400000_NS6detail17trampoline_kernelINS0_14default_configENS1_20scan_config_selectorIyEEZZNS1_9scan_implILNS1_25lookback_scan_determinismE0ELb0ELb0ES3_N6thrust23THRUST_200600_302600_NS6detail15normal_iteratorINS9_10device_ptrIyEEEENS9_16discard_iteratorINS9_11use_defaultEEEy11max_functorIyEyEEDaPvRmT3_T4_T5_mT6_P12ihipStream_tbENKUlT_T0_E_clISt17integral_constantIbLb1EESX_EEDaSS_ST_EUlSS_E0_NS1_11comp_targetILNS1_3genE10ELNS1_11target_archE1200ELNS1_3gpuE4ELNS1_3repE0EEENS1_30default_config_static_selectorELNS0_4arch9wavefront6targetE1EEEvT1_
		.amdhsa_group_segment_fixed_size 0
		.amdhsa_private_segment_fixed_size 0
		.amdhsa_kernarg_size 48
		.amdhsa_user_sgpr_count 6
		.amdhsa_user_sgpr_private_segment_buffer 1
		.amdhsa_user_sgpr_dispatch_ptr 0
		.amdhsa_user_sgpr_queue_ptr 0
		.amdhsa_user_sgpr_kernarg_segment_ptr 1
		.amdhsa_user_sgpr_dispatch_id 0
		.amdhsa_user_sgpr_flat_scratch_init 0
		.amdhsa_user_sgpr_kernarg_preload_length 0
		.amdhsa_user_sgpr_kernarg_preload_offset 0
		.amdhsa_user_sgpr_private_segment_size 0
		.amdhsa_uses_dynamic_stack 0
		.amdhsa_system_sgpr_private_segment_wavefront_offset 0
		.amdhsa_system_sgpr_workgroup_id_x 1
		.amdhsa_system_sgpr_workgroup_id_y 0
		.amdhsa_system_sgpr_workgroup_id_z 0
		.amdhsa_system_sgpr_workgroup_info 0
		.amdhsa_system_vgpr_workitem_id 0
		.amdhsa_next_free_vgpr 1
		.amdhsa_next_free_sgpr 0
		.amdhsa_accum_offset 4
		.amdhsa_reserve_vcc 0
		.amdhsa_reserve_flat_scratch 0
		.amdhsa_float_round_mode_32 0
		.amdhsa_float_round_mode_16_64 0
		.amdhsa_float_denorm_mode_32 3
		.amdhsa_float_denorm_mode_16_64 3
		.amdhsa_dx10_clamp 1
		.amdhsa_ieee_mode 1
		.amdhsa_fp16_overflow 0
		.amdhsa_tg_split 0
		.amdhsa_exception_fp_ieee_invalid_op 0
		.amdhsa_exception_fp_denorm_src 0
		.amdhsa_exception_fp_ieee_div_zero 0
		.amdhsa_exception_fp_ieee_overflow 0
		.amdhsa_exception_fp_ieee_underflow 0
		.amdhsa_exception_fp_ieee_inexact 0
		.amdhsa_exception_int_div_zero 0
	.end_amdhsa_kernel
	.section	.text._ZN7rocprim17ROCPRIM_400000_NS6detail17trampoline_kernelINS0_14default_configENS1_20scan_config_selectorIyEEZZNS1_9scan_implILNS1_25lookback_scan_determinismE0ELb0ELb0ES3_N6thrust23THRUST_200600_302600_NS6detail15normal_iteratorINS9_10device_ptrIyEEEENS9_16discard_iteratorINS9_11use_defaultEEEy11max_functorIyEyEEDaPvRmT3_T4_T5_mT6_P12ihipStream_tbENKUlT_T0_E_clISt17integral_constantIbLb1EESX_EEDaSS_ST_EUlSS_E0_NS1_11comp_targetILNS1_3genE10ELNS1_11target_archE1200ELNS1_3gpuE4ELNS1_3repE0EEENS1_30default_config_static_selectorELNS0_4arch9wavefront6targetE1EEEvT1_,"axG",@progbits,_ZN7rocprim17ROCPRIM_400000_NS6detail17trampoline_kernelINS0_14default_configENS1_20scan_config_selectorIyEEZZNS1_9scan_implILNS1_25lookback_scan_determinismE0ELb0ELb0ES3_N6thrust23THRUST_200600_302600_NS6detail15normal_iteratorINS9_10device_ptrIyEEEENS9_16discard_iteratorINS9_11use_defaultEEEy11max_functorIyEyEEDaPvRmT3_T4_T5_mT6_P12ihipStream_tbENKUlT_T0_E_clISt17integral_constantIbLb1EESX_EEDaSS_ST_EUlSS_E0_NS1_11comp_targetILNS1_3genE10ELNS1_11target_archE1200ELNS1_3gpuE4ELNS1_3repE0EEENS1_30default_config_static_selectorELNS0_4arch9wavefront6targetE1EEEvT1_,comdat
.Lfunc_end3311:
	.size	_ZN7rocprim17ROCPRIM_400000_NS6detail17trampoline_kernelINS0_14default_configENS1_20scan_config_selectorIyEEZZNS1_9scan_implILNS1_25lookback_scan_determinismE0ELb0ELb0ES3_N6thrust23THRUST_200600_302600_NS6detail15normal_iteratorINS9_10device_ptrIyEEEENS9_16discard_iteratorINS9_11use_defaultEEEy11max_functorIyEyEEDaPvRmT3_T4_T5_mT6_P12ihipStream_tbENKUlT_T0_E_clISt17integral_constantIbLb1EESX_EEDaSS_ST_EUlSS_E0_NS1_11comp_targetILNS1_3genE10ELNS1_11target_archE1200ELNS1_3gpuE4ELNS1_3repE0EEENS1_30default_config_static_selectorELNS0_4arch9wavefront6targetE1EEEvT1_, .Lfunc_end3311-_ZN7rocprim17ROCPRIM_400000_NS6detail17trampoline_kernelINS0_14default_configENS1_20scan_config_selectorIyEEZZNS1_9scan_implILNS1_25lookback_scan_determinismE0ELb0ELb0ES3_N6thrust23THRUST_200600_302600_NS6detail15normal_iteratorINS9_10device_ptrIyEEEENS9_16discard_iteratorINS9_11use_defaultEEEy11max_functorIyEyEEDaPvRmT3_T4_T5_mT6_P12ihipStream_tbENKUlT_T0_E_clISt17integral_constantIbLb1EESX_EEDaSS_ST_EUlSS_E0_NS1_11comp_targetILNS1_3genE10ELNS1_11target_archE1200ELNS1_3gpuE4ELNS1_3repE0EEENS1_30default_config_static_selectorELNS0_4arch9wavefront6targetE1EEEvT1_
                                        ; -- End function
	.section	.AMDGPU.csdata,"",@progbits
; Kernel info:
; codeLenInByte = 0
; NumSgprs: 4
; NumVgprs: 0
; NumAgprs: 0
; TotalNumVgprs: 0
; ScratchSize: 0
; MemoryBound: 0
; FloatMode: 240
; IeeeMode: 1
; LDSByteSize: 0 bytes/workgroup (compile time only)
; SGPRBlocks: 0
; VGPRBlocks: 0
; NumSGPRsForWavesPerEU: 4
; NumVGPRsForWavesPerEU: 1
; AccumOffset: 4
; Occupancy: 8
; WaveLimiterHint : 0
; COMPUTE_PGM_RSRC2:SCRATCH_EN: 0
; COMPUTE_PGM_RSRC2:USER_SGPR: 6
; COMPUTE_PGM_RSRC2:TRAP_HANDLER: 0
; COMPUTE_PGM_RSRC2:TGID_X_EN: 1
; COMPUTE_PGM_RSRC2:TGID_Y_EN: 0
; COMPUTE_PGM_RSRC2:TGID_Z_EN: 0
; COMPUTE_PGM_RSRC2:TIDIG_COMP_CNT: 0
; COMPUTE_PGM_RSRC3_GFX90A:ACCUM_OFFSET: 0
; COMPUTE_PGM_RSRC3_GFX90A:TG_SPLIT: 0
	.section	.text._ZN7rocprim17ROCPRIM_400000_NS6detail17trampoline_kernelINS0_14default_configENS1_20scan_config_selectorIyEEZZNS1_9scan_implILNS1_25lookback_scan_determinismE0ELb0ELb0ES3_N6thrust23THRUST_200600_302600_NS6detail15normal_iteratorINS9_10device_ptrIyEEEENS9_16discard_iteratorINS9_11use_defaultEEEy11max_functorIyEyEEDaPvRmT3_T4_T5_mT6_P12ihipStream_tbENKUlT_T0_E_clISt17integral_constantIbLb1EESX_EEDaSS_ST_EUlSS_E0_NS1_11comp_targetILNS1_3genE9ELNS1_11target_archE1100ELNS1_3gpuE3ELNS1_3repE0EEENS1_30default_config_static_selectorELNS0_4arch9wavefront6targetE1EEEvT1_,"axG",@progbits,_ZN7rocprim17ROCPRIM_400000_NS6detail17trampoline_kernelINS0_14default_configENS1_20scan_config_selectorIyEEZZNS1_9scan_implILNS1_25lookback_scan_determinismE0ELb0ELb0ES3_N6thrust23THRUST_200600_302600_NS6detail15normal_iteratorINS9_10device_ptrIyEEEENS9_16discard_iteratorINS9_11use_defaultEEEy11max_functorIyEyEEDaPvRmT3_T4_T5_mT6_P12ihipStream_tbENKUlT_T0_E_clISt17integral_constantIbLb1EESX_EEDaSS_ST_EUlSS_E0_NS1_11comp_targetILNS1_3genE9ELNS1_11target_archE1100ELNS1_3gpuE3ELNS1_3repE0EEENS1_30default_config_static_selectorELNS0_4arch9wavefront6targetE1EEEvT1_,comdat
	.protected	_ZN7rocprim17ROCPRIM_400000_NS6detail17trampoline_kernelINS0_14default_configENS1_20scan_config_selectorIyEEZZNS1_9scan_implILNS1_25lookback_scan_determinismE0ELb0ELb0ES3_N6thrust23THRUST_200600_302600_NS6detail15normal_iteratorINS9_10device_ptrIyEEEENS9_16discard_iteratorINS9_11use_defaultEEEy11max_functorIyEyEEDaPvRmT3_T4_T5_mT6_P12ihipStream_tbENKUlT_T0_E_clISt17integral_constantIbLb1EESX_EEDaSS_ST_EUlSS_E0_NS1_11comp_targetILNS1_3genE9ELNS1_11target_archE1100ELNS1_3gpuE3ELNS1_3repE0EEENS1_30default_config_static_selectorELNS0_4arch9wavefront6targetE1EEEvT1_ ; -- Begin function _ZN7rocprim17ROCPRIM_400000_NS6detail17trampoline_kernelINS0_14default_configENS1_20scan_config_selectorIyEEZZNS1_9scan_implILNS1_25lookback_scan_determinismE0ELb0ELb0ES3_N6thrust23THRUST_200600_302600_NS6detail15normal_iteratorINS9_10device_ptrIyEEEENS9_16discard_iteratorINS9_11use_defaultEEEy11max_functorIyEyEEDaPvRmT3_T4_T5_mT6_P12ihipStream_tbENKUlT_T0_E_clISt17integral_constantIbLb1EESX_EEDaSS_ST_EUlSS_E0_NS1_11comp_targetILNS1_3genE9ELNS1_11target_archE1100ELNS1_3gpuE3ELNS1_3repE0EEENS1_30default_config_static_selectorELNS0_4arch9wavefront6targetE1EEEvT1_
	.globl	_ZN7rocprim17ROCPRIM_400000_NS6detail17trampoline_kernelINS0_14default_configENS1_20scan_config_selectorIyEEZZNS1_9scan_implILNS1_25lookback_scan_determinismE0ELb0ELb0ES3_N6thrust23THRUST_200600_302600_NS6detail15normal_iteratorINS9_10device_ptrIyEEEENS9_16discard_iteratorINS9_11use_defaultEEEy11max_functorIyEyEEDaPvRmT3_T4_T5_mT6_P12ihipStream_tbENKUlT_T0_E_clISt17integral_constantIbLb1EESX_EEDaSS_ST_EUlSS_E0_NS1_11comp_targetILNS1_3genE9ELNS1_11target_archE1100ELNS1_3gpuE3ELNS1_3repE0EEENS1_30default_config_static_selectorELNS0_4arch9wavefront6targetE1EEEvT1_
	.p2align	8
	.type	_ZN7rocprim17ROCPRIM_400000_NS6detail17trampoline_kernelINS0_14default_configENS1_20scan_config_selectorIyEEZZNS1_9scan_implILNS1_25lookback_scan_determinismE0ELb0ELb0ES3_N6thrust23THRUST_200600_302600_NS6detail15normal_iteratorINS9_10device_ptrIyEEEENS9_16discard_iteratorINS9_11use_defaultEEEy11max_functorIyEyEEDaPvRmT3_T4_T5_mT6_P12ihipStream_tbENKUlT_T0_E_clISt17integral_constantIbLb1EESX_EEDaSS_ST_EUlSS_E0_NS1_11comp_targetILNS1_3genE9ELNS1_11target_archE1100ELNS1_3gpuE3ELNS1_3repE0EEENS1_30default_config_static_selectorELNS0_4arch9wavefront6targetE1EEEvT1_,@function
_ZN7rocprim17ROCPRIM_400000_NS6detail17trampoline_kernelINS0_14default_configENS1_20scan_config_selectorIyEEZZNS1_9scan_implILNS1_25lookback_scan_determinismE0ELb0ELb0ES3_N6thrust23THRUST_200600_302600_NS6detail15normal_iteratorINS9_10device_ptrIyEEEENS9_16discard_iteratorINS9_11use_defaultEEEy11max_functorIyEyEEDaPvRmT3_T4_T5_mT6_P12ihipStream_tbENKUlT_T0_E_clISt17integral_constantIbLb1EESX_EEDaSS_ST_EUlSS_E0_NS1_11comp_targetILNS1_3genE9ELNS1_11target_archE1100ELNS1_3gpuE3ELNS1_3repE0EEENS1_30default_config_static_selectorELNS0_4arch9wavefront6targetE1EEEvT1_: ; @_ZN7rocprim17ROCPRIM_400000_NS6detail17trampoline_kernelINS0_14default_configENS1_20scan_config_selectorIyEEZZNS1_9scan_implILNS1_25lookback_scan_determinismE0ELb0ELb0ES3_N6thrust23THRUST_200600_302600_NS6detail15normal_iteratorINS9_10device_ptrIyEEEENS9_16discard_iteratorINS9_11use_defaultEEEy11max_functorIyEyEEDaPvRmT3_T4_T5_mT6_P12ihipStream_tbENKUlT_T0_E_clISt17integral_constantIbLb1EESX_EEDaSS_ST_EUlSS_E0_NS1_11comp_targetILNS1_3genE9ELNS1_11target_archE1100ELNS1_3gpuE3ELNS1_3repE0EEENS1_30default_config_static_selectorELNS0_4arch9wavefront6targetE1EEEvT1_
; %bb.0:
	.section	.rodata,"a",@progbits
	.p2align	6, 0x0
	.amdhsa_kernel _ZN7rocprim17ROCPRIM_400000_NS6detail17trampoline_kernelINS0_14default_configENS1_20scan_config_selectorIyEEZZNS1_9scan_implILNS1_25lookback_scan_determinismE0ELb0ELb0ES3_N6thrust23THRUST_200600_302600_NS6detail15normal_iteratorINS9_10device_ptrIyEEEENS9_16discard_iteratorINS9_11use_defaultEEEy11max_functorIyEyEEDaPvRmT3_T4_T5_mT6_P12ihipStream_tbENKUlT_T0_E_clISt17integral_constantIbLb1EESX_EEDaSS_ST_EUlSS_E0_NS1_11comp_targetILNS1_3genE9ELNS1_11target_archE1100ELNS1_3gpuE3ELNS1_3repE0EEENS1_30default_config_static_selectorELNS0_4arch9wavefront6targetE1EEEvT1_
		.amdhsa_group_segment_fixed_size 0
		.amdhsa_private_segment_fixed_size 0
		.amdhsa_kernarg_size 48
		.amdhsa_user_sgpr_count 6
		.amdhsa_user_sgpr_private_segment_buffer 1
		.amdhsa_user_sgpr_dispatch_ptr 0
		.amdhsa_user_sgpr_queue_ptr 0
		.amdhsa_user_sgpr_kernarg_segment_ptr 1
		.amdhsa_user_sgpr_dispatch_id 0
		.amdhsa_user_sgpr_flat_scratch_init 0
		.amdhsa_user_sgpr_kernarg_preload_length 0
		.amdhsa_user_sgpr_kernarg_preload_offset 0
		.amdhsa_user_sgpr_private_segment_size 0
		.amdhsa_uses_dynamic_stack 0
		.amdhsa_system_sgpr_private_segment_wavefront_offset 0
		.amdhsa_system_sgpr_workgroup_id_x 1
		.amdhsa_system_sgpr_workgroup_id_y 0
		.amdhsa_system_sgpr_workgroup_id_z 0
		.amdhsa_system_sgpr_workgroup_info 0
		.amdhsa_system_vgpr_workitem_id 0
		.amdhsa_next_free_vgpr 1
		.amdhsa_next_free_sgpr 0
		.amdhsa_accum_offset 4
		.amdhsa_reserve_vcc 0
		.amdhsa_reserve_flat_scratch 0
		.amdhsa_float_round_mode_32 0
		.amdhsa_float_round_mode_16_64 0
		.amdhsa_float_denorm_mode_32 3
		.amdhsa_float_denorm_mode_16_64 3
		.amdhsa_dx10_clamp 1
		.amdhsa_ieee_mode 1
		.amdhsa_fp16_overflow 0
		.amdhsa_tg_split 0
		.amdhsa_exception_fp_ieee_invalid_op 0
		.amdhsa_exception_fp_denorm_src 0
		.amdhsa_exception_fp_ieee_div_zero 0
		.amdhsa_exception_fp_ieee_overflow 0
		.amdhsa_exception_fp_ieee_underflow 0
		.amdhsa_exception_fp_ieee_inexact 0
		.amdhsa_exception_int_div_zero 0
	.end_amdhsa_kernel
	.section	.text._ZN7rocprim17ROCPRIM_400000_NS6detail17trampoline_kernelINS0_14default_configENS1_20scan_config_selectorIyEEZZNS1_9scan_implILNS1_25lookback_scan_determinismE0ELb0ELb0ES3_N6thrust23THRUST_200600_302600_NS6detail15normal_iteratorINS9_10device_ptrIyEEEENS9_16discard_iteratorINS9_11use_defaultEEEy11max_functorIyEyEEDaPvRmT3_T4_T5_mT6_P12ihipStream_tbENKUlT_T0_E_clISt17integral_constantIbLb1EESX_EEDaSS_ST_EUlSS_E0_NS1_11comp_targetILNS1_3genE9ELNS1_11target_archE1100ELNS1_3gpuE3ELNS1_3repE0EEENS1_30default_config_static_selectorELNS0_4arch9wavefront6targetE1EEEvT1_,"axG",@progbits,_ZN7rocprim17ROCPRIM_400000_NS6detail17trampoline_kernelINS0_14default_configENS1_20scan_config_selectorIyEEZZNS1_9scan_implILNS1_25lookback_scan_determinismE0ELb0ELb0ES3_N6thrust23THRUST_200600_302600_NS6detail15normal_iteratorINS9_10device_ptrIyEEEENS9_16discard_iteratorINS9_11use_defaultEEEy11max_functorIyEyEEDaPvRmT3_T4_T5_mT6_P12ihipStream_tbENKUlT_T0_E_clISt17integral_constantIbLb1EESX_EEDaSS_ST_EUlSS_E0_NS1_11comp_targetILNS1_3genE9ELNS1_11target_archE1100ELNS1_3gpuE3ELNS1_3repE0EEENS1_30default_config_static_selectorELNS0_4arch9wavefront6targetE1EEEvT1_,comdat
.Lfunc_end3312:
	.size	_ZN7rocprim17ROCPRIM_400000_NS6detail17trampoline_kernelINS0_14default_configENS1_20scan_config_selectorIyEEZZNS1_9scan_implILNS1_25lookback_scan_determinismE0ELb0ELb0ES3_N6thrust23THRUST_200600_302600_NS6detail15normal_iteratorINS9_10device_ptrIyEEEENS9_16discard_iteratorINS9_11use_defaultEEEy11max_functorIyEyEEDaPvRmT3_T4_T5_mT6_P12ihipStream_tbENKUlT_T0_E_clISt17integral_constantIbLb1EESX_EEDaSS_ST_EUlSS_E0_NS1_11comp_targetILNS1_3genE9ELNS1_11target_archE1100ELNS1_3gpuE3ELNS1_3repE0EEENS1_30default_config_static_selectorELNS0_4arch9wavefront6targetE1EEEvT1_, .Lfunc_end3312-_ZN7rocprim17ROCPRIM_400000_NS6detail17trampoline_kernelINS0_14default_configENS1_20scan_config_selectorIyEEZZNS1_9scan_implILNS1_25lookback_scan_determinismE0ELb0ELb0ES3_N6thrust23THRUST_200600_302600_NS6detail15normal_iteratorINS9_10device_ptrIyEEEENS9_16discard_iteratorINS9_11use_defaultEEEy11max_functorIyEyEEDaPvRmT3_T4_T5_mT6_P12ihipStream_tbENKUlT_T0_E_clISt17integral_constantIbLb1EESX_EEDaSS_ST_EUlSS_E0_NS1_11comp_targetILNS1_3genE9ELNS1_11target_archE1100ELNS1_3gpuE3ELNS1_3repE0EEENS1_30default_config_static_selectorELNS0_4arch9wavefront6targetE1EEEvT1_
                                        ; -- End function
	.section	.AMDGPU.csdata,"",@progbits
; Kernel info:
; codeLenInByte = 0
; NumSgprs: 4
; NumVgprs: 0
; NumAgprs: 0
; TotalNumVgprs: 0
; ScratchSize: 0
; MemoryBound: 0
; FloatMode: 240
; IeeeMode: 1
; LDSByteSize: 0 bytes/workgroup (compile time only)
; SGPRBlocks: 0
; VGPRBlocks: 0
; NumSGPRsForWavesPerEU: 4
; NumVGPRsForWavesPerEU: 1
; AccumOffset: 4
; Occupancy: 8
; WaveLimiterHint : 0
; COMPUTE_PGM_RSRC2:SCRATCH_EN: 0
; COMPUTE_PGM_RSRC2:USER_SGPR: 6
; COMPUTE_PGM_RSRC2:TRAP_HANDLER: 0
; COMPUTE_PGM_RSRC2:TGID_X_EN: 1
; COMPUTE_PGM_RSRC2:TGID_Y_EN: 0
; COMPUTE_PGM_RSRC2:TGID_Z_EN: 0
; COMPUTE_PGM_RSRC2:TIDIG_COMP_CNT: 0
; COMPUTE_PGM_RSRC3_GFX90A:ACCUM_OFFSET: 0
; COMPUTE_PGM_RSRC3_GFX90A:TG_SPLIT: 0
	.section	.text._ZN7rocprim17ROCPRIM_400000_NS6detail17trampoline_kernelINS0_14default_configENS1_20scan_config_selectorIyEEZZNS1_9scan_implILNS1_25lookback_scan_determinismE0ELb0ELb0ES3_N6thrust23THRUST_200600_302600_NS6detail15normal_iteratorINS9_10device_ptrIyEEEENS9_16discard_iteratorINS9_11use_defaultEEEy11max_functorIyEyEEDaPvRmT3_T4_T5_mT6_P12ihipStream_tbENKUlT_T0_E_clISt17integral_constantIbLb1EESX_EEDaSS_ST_EUlSS_E0_NS1_11comp_targetILNS1_3genE8ELNS1_11target_archE1030ELNS1_3gpuE2ELNS1_3repE0EEENS1_30default_config_static_selectorELNS0_4arch9wavefront6targetE1EEEvT1_,"axG",@progbits,_ZN7rocprim17ROCPRIM_400000_NS6detail17trampoline_kernelINS0_14default_configENS1_20scan_config_selectorIyEEZZNS1_9scan_implILNS1_25lookback_scan_determinismE0ELb0ELb0ES3_N6thrust23THRUST_200600_302600_NS6detail15normal_iteratorINS9_10device_ptrIyEEEENS9_16discard_iteratorINS9_11use_defaultEEEy11max_functorIyEyEEDaPvRmT3_T4_T5_mT6_P12ihipStream_tbENKUlT_T0_E_clISt17integral_constantIbLb1EESX_EEDaSS_ST_EUlSS_E0_NS1_11comp_targetILNS1_3genE8ELNS1_11target_archE1030ELNS1_3gpuE2ELNS1_3repE0EEENS1_30default_config_static_selectorELNS0_4arch9wavefront6targetE1EEEvT1_,comdat
	.protected	_ZN7rocprim17ROCPRIM_400000_NS6detail17trampoline_kernelINS0_14default_configENS1_20scan_config_selectorIyEEZZNS1_9scan_implILNS1_25lookback_scan_determinismE0ELb0ELb0ES3_N6thrust23THRUST_200600_302600_NS6detail15normal_iteratorINS9_10device_ptrIyEEEENS9_16discard_iteratorINS9_11use_defaultEEEy11max_functorIyEyEEDaPvRmT3_T4_T5_mT6_P12ihipStream_tbENKUlT_T0_E_clISt17integral_constantIbLb1EESX_EEDaSS_ST_EUlSS_E0_NS1_11comp_targetILNS1_3genE8ELNS1_11target_archE1030ELNS1_3gpuE2ELNS1_3repE0EEENS1_30default_config_static_selectorELNS0_4arch9wavefront6targetE1EEEvT1_ ; -- Begin function _ZN7rocprim17ROCPRIM_400000_NS6detail17trampoline_kernelINS0_14default_configENS1_20scan_config_selectorIyEEZZNS1_9scan_implILNS1_25lookback_scan_determinismE0ELb0ELb0ES3_N6thrust23THRUST_200600_302600_NS6detail15normal_iteratorINS9_10device_ptrIyEEEENS9_16discard_iteratorINS9_11use_defaultEEEy11max_functorIyEyEEDaPvRmT3_T4_T5_mT6_P12ihipStream_tbENKUlT_T0_E_clISt17integral_constantIbLb1EESX_EEDaSS_ST_EUlSS_E0_NS1_11comp_targetILNS1_3genE8ELNS1_11target_archE1030ELNS1_3gpuE2ELNS1_3repE0EEENS1_30default_config_static_selectorELNS0_4arch9wavefront6targetE1EEEvT1_
	.globl	_ZN7rocprim17ROCPRIM_400000_NS6detail17trampoline_kernelINS0_14default_configENS1_20scan_config_selectorIyEEZZNS1_9scan_implILNS1_25lookback_scan_determinismE0ELb0ELb0ES3_N6thrust23THRUST_200600_302600_NS6detail15normal_iteratorINS9_10device_ptrIyEEEENS9_16discard_iteratorINS9_11use_defaultEEEy11max_functorIyEyEEDaPvRmT3_T4_T5_mT6_P12ihipStream_tbENKUlT_T0_E_clISt17integral_constantIbLb1EESX_EEDaSS_ST_EUlSS_E0_NS1_11comp_targetILNS1_3genE8ELNS1_11target_archE1030ELNS1_3gpuE2ELNS1_3repE0EEENS1_30default_config_static_selectorELNS0_4arch9wavefront6targetE1EEEvT1_
	.p2align	8
	.type	_ZN7rocprim17ROCPRIM_400000_NS6detail17trampoline_kernelINS0_14default_configENS1_20scan_config_selectorIyEEZZNS1_9scan_implILNS1_25lookback_scan_determinismE0ELb0ELb0ES3_N6thrust23THRUST_200600_302600_NS6detail15normal_iteratorINS9_10device_ptrIyEEEENS9_16discard_iteratorINS9_11use_defaultEEEy11max_functorIyEyEEDaPvRmT3_T4_T5_mT6_P12ihipStream_tbENKUlT_T0_E_clISt17integral_constantIbLb1EESX_EEDaSS_ST_EUlSS_E0_NS1_11comp_targetILNS1_3genE8ELNS1_11target_archE1030ELNS1_3gpuE2ELNS1_3repE0EEENS1_30default_config_static_selectorELNS0_4arch9wavefront6targetE1EEEvT1_,@function
_ZN7rocprim17ROCPRIM_400000_NS6detail17trampoline_kernelINS0_14default_configENS1_20scan_config_selectorIyEEZZNS1_9scan_implILNS1_25lookback_scan_determinismE0ELb0ELb0ES3_N6thrust23THRUST_200600_302600_NS6detail15normal_iteratorINS9_10device_ptrIyEEEENS9_16discard_iteratorINS9_11use_defaultEEEy11max_functorIyEyEEDaPvRmT3_T4_T5_mT6_P12ihipStream_tbENKUlT_T0_E_clISt17integral_constantIbLb1EESX_EEDaSS_ST_EUlSS_E0_NS1_11comp_targetILNS1_3genE8ELNS1_11target_archE1030ELNS1_3gpuE2ELNS1_3repE0EEENS1_30default_config_static_selectorELNS0_4arch9wavefront6targetE1EEEvT1_: ; @_ZN7rocprim17ROCPRIM_400000_NS6detail17trampoline_kernelINS0_14default_configENS1_20scan_config_selectorIyEEZZNS1_9scan_implILNS1_25lookback_scan_determinismE0ELb0ELb0ES3_N6thrust23THRUST_200600_302600_NS6detail15normal_iteratorINS9_10device_ptrIyEEEENS9_16discard_iteratorINS9_11use_defaultEEEy11max_functorIyEyEEDaPvRmT3_T4_T5_mT6_P12ihipStream_tbENKUlT_T0_E_clISt17integral_constantIbLb1EESX_EEDaSS_ST_EUlSS_E0_NS1_11comp_targetILNS1_3genE8ELNS1_11target_archE1030ELNS1_3gpuE2ELNS1_3repE0EEENS1_30default_config_static_selectorELNS0_4arch9wavefront6targetE1EEEvT1_
; %bb.0:
	.section	.rodata,"a",@progbits
	.p2align	6, 0x0
	.amdhsa_kernel _ZN7rocprim17ROCPRIM_400000_NS6detail17trampoline_kernelINS0_14default_configENS1_20scan_config_selectorIyEEZZNS1_9scan_implILNS1_25lookback_scan_determinismE0ELb0ELb0ES3_N6thrust23THRUST_200600_302600_NS6detail15normal_iteratorINS9_10device_ptrIyEEEENS9_16discard_iteratorINS9_11use_defaultEEEy11max_functorIyEyEEDaPvRmT3_T4_T5_mT6_P12ihipStream_tbENKUlT_T0_E_clISt17integral_constantIbLb1EESX_EEDaSS_ST_EUlSS_E0_NS1_11comp_targetILNS1_3genE8ELNS1_11target_archE1030ELNS1_3gpuE2ELNS1_3repE0EEENS1_30default_config_static_selectorELNS0_4arch9wavefront6targetE1EEEvT1_
		.amdhsa_group_segment_fixed_size 0
		.amdhsa_private_segment_fixed_size 0
		.amdhsa_kernarg_size 48
		.amdhsa_user_sgpr_count 6
		.amdhsa_user_sgpr_private_segment_buffer 1
		.amdhsa_user_sgpr_dispatch_ptr 0
		.amdhsa_user_sgpr_queue_ptr 0
		.amdhsa_user_sgpr_kernarg_segment_ptr 1
		.amdhsa_user_sgpr_dispatch_id 0
		.amdhsa_user_sgpr_flat_scratch_init 0
		.amdhsa_user_sgpr_kernarg_preload_length 0
		.amdhsa_user_sgpr_kernarg_preload_offset 0
		.amdhsa_user_sgpr_private_segment_size 0
		.amdhsa_uses_dynamic_stack 0
		.amdhsa_system_sgpr_private_segment_wavefront_offset 0
		.amdhsa_system_sgpr_workgroup_id_x 1
		.amdhsa_system_sgpr_workgroup_id_y 0
		.amdhsa_system_sgpr_workgroup_id_z 0
		.amdhsa_system_sgpr_workgroup_info 0
		.amdhsa_system_vgpr_workitem_id 0
		.amdhsa_next_free_vgpr 1
		.amdhsa_next_free_sgpr 0
		.amdhsa_accum_offset 4
		.amdhsa_reserve_vcc 0
		.amdhsa_reserve_flat_scratch 0
		.amdhsa_float_round_mode_32 0
		.amdhsa_float_round_mode_16_64 0
		.amdhsa_float_denorm_mode_32 3
		.amdhsa_float_denorm_mode_16_64 3
		.amdhsa_dx10_clamp 1
		.amdhsa_ieee_mode 1
		.amdhsa_fp16_overflow 0
		.amdhsa_tg_split 0
		.amdhsa_exception_fp_ieee_invalid_op 0
		.amdhsa_exception_fp_denorm_src 0
		.amdhsa_exception_fp_ieee_div_zero 0
		.amdhsa_exception_fp_ieee_overflow 0
		.amdhsa_exception_fp_ieee_underflow 0
		.amdhsa_exception_fp_ieee_inexact 0
		.amdhsa_exception_int_div_zero 0
	.end_amdhsa_kernel
	.section	.text._ZN7rocprim17ROCPRIM_400000_NS6detail17trampoline_kernelINS0_14default_configENS1_20scan_config_selectorIyEEZZNS1_9scan_implILNS1_25lookback_scan_determinismE0ELb0ELb0ES3_N6thrust23THRUST_200600_302600_NS6detail15normal_iteratorINS9_10device_ptrIyEEEENS9_16discard_iteratorINS9_11use_defaultEEEy11max_functorIyEyEEDaPvRmT3_T4_T5_mT6_P12ihipStream_tbENKUlT_T0_E_clISt17integral_constantIbLb1EESX_EEDaSS_ST_EUlSS_E0_NS1_11comp_targetILNS1_3genE8ELNS1_11target_archE1030ELNS1_3gpuE2ELNS1_3repE0EEENS1_30default_config_static_selectorELNS0_4arch9wavefront6targetE1EEEvT1_,"axG",@progbits,_ZN7rocprim17ROCPRIM_400000_NS6detail17trampoline_kernelINS0_14default_configENS1_20scan_config_selectorIyEEZZNS1_9scan_implILNS1_25lookback_scan_determinismE0ELb0ELb0ES3_N6thrust23THRUST_200600_302600_NS6detail15normal_iteratorINS9_10device_ptrIyEEEENS9_16discard_iteratorINS9_11use_defaultEEEy11max_functorIyEyEEDaPvRmT3_T4_T5_mT6_P12ihipStream_tbENKUlT_T0_E_clISt17integral_constantIbLb1EESX_EEDaSS_ST_EUlSS_E0_NS1_11comp_targetILNS1_3genE8ELNS1_11target_archE1030ELNS1_3gpuE2ELNS1_3repE0EEENS1_30default_config_static_selectorELNS0_4arch9wavefront6targetE1EEEvT1_,comdat
.Lfunc_end3313:
	.size	_ZN7rocprim17ROCPRIM_400000_NS6detail17trampoline_kernelINS0_14default_configENS1_20scan_config_selectorIyEEZZNS1_9scan_implILNS1_25lookback_scan_determinismE0ELb0ELb0ES3_N6thrust23THRUST_200600_302600_NS6detail15normal_iteratorINS9_10device_ptrIyEEEENS9_16discard_iteratorINS9_11use_defaultEEEy11max_functorIyEyEEDaPvRmT3_T4_T5_mT6_P12ihipStream_tbENKUlT_T0_E_clISt17integral_constantIbLb1EESX_EEDaSS_ST_EUlSS_E0_NS1_11comp_targetILNS1_3genE8ELNS1_11target_archE1030ELNS1_3gpuE2ELNS1_3repE0EEENS1_30default_config_static_selectorELNS0_4arch9wavefront6targetE1EEEvT1_, .Lfunc_end3313-_ZN7rocprim17ROCPRIM_400000_NS6detail17trampoline_kernelINS0_14default_configENS1_20scan_config_selectorIyEEZZNS1_9scan_implILNS1_25lookback_scan_determinismE0ELb0ELb0ES3_N6thrust23THRUST_200600_302600_NS6detail15normal_iteratorINS9_10device_ptrIyEEEENS9_16discard_iteratorINS9_11use_defaultEEEy11max_functorIyEyEEDaPvRmT3_T4_T5_mT6_P12ihipStream_tbENKUlT_T0_E_clISt17integral_constantIbLb1EESX_EEDaSS_ST_EUlSS_E0_NS1_11comp_targetILNS1_3genE8ELNS1_11target_archE1030ELNS1_3gpuE2ELNS1_3repE0EEENS1_30default_config_static_selectorELNS0_4arch9wavefront6targetE1EEEvT1_
                                        ; -- End function
	.section	.AMDGPU.csdata,"",@progbits
; Kernel info:
; codeLenInByte = 0
; NumSgprs: 4
; NumVgprs: 0
; NumAgprs: 0
; TotalNumVgprs: 0
; ScratchSize: 0
; MemoryBound: 0
; FloatMode: 240
; IeeeMode: 1
; LDSByteSize: 0 bytes/workgroup (compile time only)
; SGPRBlocks: 0
; VGPRBlocks: 0
; NumSGPRsForWavesPerEU: 4
; NumVGPRsForWavesPerEU: 1
; AccumOffset: 4
; Occupancy: 8
; WaveLimiterHint : 0
; COMPUTE_PGM_RSRC2:SCRATCH_EN: 0
; COMPUTE_PGM_RSRC2:USER_SGPR: 6
; COMPUTE_PGM_RSRC2:TRAP_HANDLER: 0
; COMPUTE_PGM_RSRC2:TGID_X_EN: 1
; COMPUTE_PGM_RSRC2:TGID_Y_EN: 0
; COMPUTE_PGM_RSRC2:TGID_Z_EN: 0
; COMPUTE_PGM_RSRC2:TIDIG_COMP_CNT: 0
; COMPUTE_PGM_RSRC3_GFX90A:ACCUM_OFFSET: 0
; COMPUTE_PGM_RSRC3_GFX90A:TG_SPLIT: 0
	.section	.text._ZN7rocprim17ROCPRIM_400000_NS6detail17trampoline_kernelINS0_14default_configENS1_20scan_config_selectorIyEEZZNS1_9scan_implILNS1_25lookback_scan_determinismE0ELb0ELb0ES3_N6thrust23THRUST_200600_302600_NS6detail15normal_iteratorINS9_10device_ptrIyEEEENS9_16discard_iteratorINS9_11use_defaultEEEy11max_functorIyEyEEDaPvRmT3_T4_T5_mT6_P12ihipStream_tbENKUlT_T0_E_clISt17integral_constantIbLb1EESW_IbLb0EEEEDaSS_ST_EUlSS_E_NS1_11comp_targetILNS1_3genE0ELNS1_11target_archE4294967295ELNS1_3gpuE0ELNS1_3repE0EEENS1_30default_config_static_selectorELNS0_4arch9wavefront6targetE1EEEvT1_,"axG",@progbits,_ZN7rocprim17ROCPRIM_400000_NS6detail17trampoline_kernelINS0_14default_configENS1_20scan_config_selectorIyEEZZNS1_9scan_implILNS1_25lookback_scan_determinismE0ELb0ELb0ES3_N6thrust23THRUST_200600_302600_NS6detail15normal_iteratorINS9_10device_ptrIyEEEENS9_16discard_iteratorINS9_11use_defaultEEEy11max_functorIyEyEEDaPvRmT3_T4_T5_mT6_P12ihipStream_tbENKUlT_T0_E_clISt17integral_constantIbLb1EESW_IbLb0EEEEDaSS_ST_EUlSS_E_NS1_11comp_targetILNS1_3genE0ELNS1_11target_archE4294967295ELNS1_3gpuE0ELNS1_3repE0EEENS1_30default_config_static_selectorELNS0_4arch9wavefront6targetE1EEEvT1_,comdat
	.protected	_ZN7rocprim17ROCPRIM_400000_NS6detail17trampoline_kernelINS0_14default_configENS1_20scan_config_selectorIyEEZZNS1_9scan_implILNS1_25lookback_scan_determinismE0ELb0ELb0ES3_N6thrust23THRUST_200600_302600_NS6detail15normal_iteratorINS9_10device_ptrIyEEEENS9_16discard_iteratorINS9_11use_defaultEEEy11max_functorIyEyEEDaPvRmT3_T4_T5_mT6_P12ihipStream_tbENKUlT_T0_E_clISt17integral_constantIbLb1EESW_IbLb0EEEEDaSS_ST_EUlSS_E_NS1_11comp_targetILNS1_3genE0ELNS1_11target_archE4294967295ELNS1_3gpuE0ELNS1_3repE0EEENS1_30default_config_static_selectorELNS0_4arch9wavefront6targetE1EEEvT1_ ; -- Begin function _ZN7rocprim17ROCPRIM_400000_NS6detail17trampoline_kernelINS0_14default_configENS1_20scan_config_selectorIyEEZZNS1_9scan_implILNS1_25lookback_scan_determinismE0ELb0ELb0ES3_N6thrust23THRUST_200600_302600_NS6detail15normal_iteratorINS9_10device_ptrIyEEEENS9_16discard_iteratorINS9_11use_defaultEEEy11max_functorIyEyEEDaPvRmT3_T4_T5_mT6_P12ihipStream_tbENKUlT_T0_E_clISt17integral_constantIbLb1EESW_IbLb0EEEEDaSS_ST_EUlSS_E_NS1_11comp_targetILNS1_3genE0ELNS1_11target_archE4294967295ELNS1_3gpuE0ELNS1_3repE0EEENS1_30default_config_static_selectorELNS0_4arch9wavefront6targetE1EEEvT1_
	.globl	_ZN7rocprim17ROCPRIM_400000_NS6detail17trampoline_kernelINS0_14default_configENS1_20scan_config_selectorIyEEZZNS1_9scan_implILNS1_25lookback_scan_determinismE0ELb0ELb0ES3_N6thrust23THRUST_200600_302600_NS6detail15normal_iteratorINS9_10device_ptrIyEEEENS9_16discard_iteratorINS9_11use_defaultEEEy11max_functorIyEyEEDaPvRmT3_T4_T5_mT6_P12ihipStream_tbENKUlT_T0_E_clISt17integral_constantIbLb1EESW_IbLb0EEEEDaSS_ST_EUlSS_E_NS1_11comp_targetILNS1_3genE0ELNS1_11target_archE4294967295ELNS1_3gpuE0ELNS1_3repE0EEENS1_30default_config_static_selectorELNS0_4arch9wavefront6targetE1EEEvT1_
	.p2align	8
	.type	_ZN7rocprim17ROCPRIM_400000_NS6detail17trampoline_kernelINS0_14default_configENS1_20scan_config_selectorIyEEZZNS1_9scan_implILNS1_25lookback_scan_determinismE0ELb0ELb0ES3_N6thrust23THRUST_200600_302600_NS6detail15normal_iteratorINS9_10device_ptrIyEEEENS9_16discard_iteratorINS9_11use_defaultEEEy11max_functorIyEyEEDaPvRmT3_T4_T5_mT6_P12ihipStream_tbENKUlT_T0_E_clISt17integral_constantIbLb1EESW_IbLb0EEEEDaSS_ST_EUlSS_E_NS1_11comp_targetILNS1_3genE0ELNS1_11target_archE4294967295ELNS1_3gpuE0ELNS1_3repE0EEENS1_30default_config_static_selectorELNS0_4arch9wavefront6targetE1EEEvT1_,@function
_ZN7rocprim17ROCPRIM_400000_NS6detail17trampoline_kernelINS0_14default_configENS1_20scan_config_selectorIyEEZZNS1_9scan_implILNS1_25lookback_scan_determinismE0ELb0ELb0ES3_N6thrust23THRUST_200600_302600_NS6detail15normal_iteratorINS9_10device_ptrIyEEEENS9_16discard_iteratorINS9_11use_defaultEEEy11max_functorIyEyEEDaPvRmT3_T4_T5_mT6_P12ihipStream_tbENKUlT_T0_E_clISt17integral_constantIbLb1EESW_IbLb0EEEEDaSS_ST_EUlSS_E_NS1_11comp_targetILNS1_3genE0ELNS1_11target_archE4294967295ELNS1_3gpuE0ELNS1_3repE0EEENS1_30default_config_static_selectorELNS0_4arch9wavefront6targetE1EEEvT1_: ; @_ZN7rocprim17ROCPRIM_400000_NS6detail17trampoline_kernelINS0_14default_configENS1_20scan_config_selectorIyEEZZNS1_9scan_implILNS1_25lookback_scan_determinismE0ELb0ELb0ES3_N6thrust23THRUST_200600_302600_NS6detail15normal_iteratorINS9_10device_ptrIyEEEENS9_16discard_iteratorINS9_11use_defaultEEEy11max_functorIyEyEEDaPvRmT3_T4_T5_mT6_P12ihipStream_tbENKUlT_T0_E_clISt17integral_constantIbLb1EESW_IbLb0EEEEDaSS_ST_EUlSS_E_NS1_11comp_targetILNS1_3genE0ELNS1_11target_archE4294967295ELNS1_3gpuE0ELNS1_3repE0EEENS1_30default_config_static_selectorELNS0_4arch9wavefront6targetE1EEEvT1_
; %bb.0:
	.section	.rodata,"a",@progbits
	.p2align	6, 0x0
	.amdhsa_kernel _ZN7rocprim17ROCPRIM_400000_NS6detail17trampoline_kernelINS0_14default_configENS1_20scan_config_selectorIyEEZZNS1_9scan_implILNS1_25lookback_scan_determinismE0ELb0ELb0ES3_N6thrust23THRUST_200600_302600_NS6detail15normal_iteratorINS9_10device_ptrIyEEEENS9_16discard_iteratorINS9_11use_defaultEEEy11max_functorIyEyEEDaPvRmT3_T4_T5_mT6_P12ihipStream_tbENKUlT_T0_E_clISt17integral_constantIbLb1EESW_IbLb0EEEEDaSS_ST_EUlSS_E_NS1_11comp_targetILNS1_3genE0ELNS1_11target_archE4294967295ELNS1_3gpuE0ELNS1_3repE0EEENS1_30default_config_static_selectorELNS0_4arch9wavefront6targetE1EEEvT1_
		.amdhsa_group_segment_fixed_size 0
		.amdhsa_private_segment_fixed_size 0
		.amdhsa_kernarg_size 112
		.amdhsa_user_sgpr_count 6
		.amdhsa_user_sgpr_private_segment_buffer 1
		.amdhsa_user_sgpr_dispatch_ptr 0
		.amdhsa_user_sgpr_queue_ptr 0
		.amdhsa_user_sgpr_kernarg_segment_ptr 1
		.amdhsa_user_sgpr_dispatch_id 0
		.amdhsa_user_sgpr_flat_scratch_init 0
		.amdhsa_user_sgpr_kernarg_preload_length 0
		.amdhsa_user_sgpr_kernarg_preload_offset 0
		.amdhsa_user_sgpr_private_segment_size 0
		.amdhsa_uses_dynamic_stack 0
		.amdhsa_system_sgpr_private_segment_wavefront_offset 0
		.amdhsa_system_sgpr_workgroup_id_x 1
		.amdhsa_system_sgpr_workgroup_id_y 0
		.amdhsa_system_sgpr_workgroup_id_z 0
		.amdhsa_system_sgpr_workgroup_info 0
		.amdhsa_system_vgpr_workitem_id 0
		.amdhsa_next_free_vgpr 1
		.amdhsa_next_free_sgpr 0
		.amdhsa_accum_offset 4
		.amdhsa_reserve_vcc 0
		.amdhsa_reserve_flat_scratch 0
		.amdhsa_float_round_mode_32 0
		.amdhsa_float_round_mode_16_64 0
		.amdhsa_float_denorm_mode_32 3
		.amdhsa_float_denorm_mode_16_64 3
		.amdhsa_dx10_clamp 1
		.amdhsa_ieee_mode 1
		.amdhsa_fp16_overflow 0
		.amdhsa_tg_split 0
		.amdhsa_exception_fp_ieee_invalid_op 0
		.amdhsa_exception_fp_denorm_src 0
		.amdhsa_exception_fp_ieee_div_zero 0
		.amdhsa_exception_fp_ieee_overflow 0
		.amdhsa_exception_fp_ieee_underflow 0
		.amdhsa_exception_fp_ieee_inexact 0
		.amdhsa_exception_int_div_zero 0
	.end_amdhsa_kernel
	.section	.text._ZN7rocprim17ROCPRIM_400000_NS6detail17trampoline_kernelINS0_14default_configENS1_20scan_config_selectorIyEEZZNS1_9scan_implILNS1_25lookback_scan_determinismE0ELb0ELb0ES3_N6thrust23THRUST_200600_302600_NS6detail15normal_iteratorINS9_10device_ptrIyEEEENS9_16discard_iteratorINS9_11use_defaultEEEy11max_functorIyEyEEDaPvRmT3_T4_T5_mT6_P12ihipStream_tbENKUlT_T0_E_clISt17integral_constantIbLb1EESW_IbLb0EEEEDaSS_ST_EUlSS_E_NS1_11comp_targetILNS1_3genE0ELNS1_11target_archE4294967295ELNS1_3gpuE0ELNS1_3repE0EEENS1_30default_config_static_selectorELNS0_4arch9wavefront6targetE1EEEvT1_,"axG",@progbits,_ZN7rocprim17ROCPRIM_400000_NS6detail17trampoline_kernelINS0_14default_configENS1_20scan_config_selectorIyEEZZNS1_9scan_implILNS1_25lookback_scan_determinismE0ELb0ELb0ES3_N6thrust23THRUST_200600_302600_NS6detail15normal_iteratorINS9_10device_ptrIyEEEENS9_16discard_iteratorINS9_11use_defaultEEEy11max_functorIyEyEEDaPvRmT3_T4_T5_mT6_P12ihipStream_tbENKUlT_T0_E_clISt17integral_constantIbLb1EESW_IbLb0EEEEDaSS_ST_EUlSS_E_NS1_11comp_targetILNS1_3genE0ELNS1_11target_archE4294967295ELNS1_3gpuE0ELNS1_3repE0EEENS1_30default_config_static_selectorELNS0_4arch9wavefront6targetE1EEEvT1_,comdat
.Lfunc_end3314:
	.size	_ZN7rocprim17ROCPRIM_400000_NS6detail17trampoline_kernelINS0_14default_configENS1_20scan_config_selectorIyEEZZNS1_9scan_implILNS1_25lookback_scan_determinismE0ELb0ELb0ES3_N6thrust23THRUST_200600_302600_NS6detail15normal_iteratorINS9_10device_ptrIyEEEENS9_16discard_iteratorINS9_11use_defaultEEEy11max_functorIyEyEEDaPvRmT3_T4_T5_mT6_P12ihipStream_tbENKUlT_T0_E_clISt17integral_constantIbLb1EESW_IbLb0EEEEDaSS_ST_EUlSS_E_NS1_11comp_targetILNS1_3genE0ELNS1_11target_archE4294967295ELNS1_3gpuE0ELNS1_3repE0EEENS1_30default_config_static_selectorELNS0_4arch9wavefront6targetE1EEEvT1_, .Lfunc_end3314-_ZN7rocprim17ROCPRIM_400000_NS6detail17trampoline_kernelINS0_14default_configENS1_20scan_config_selectorIyEEZZNS1_9scan_implILNS1_25lookback_scan_determinismE0ELb0ELb0ES3_N6thrust23THRUST_200600_302600_NS6detail15normal_iteratorINS9_10device_ptrIyEEEENS9_16discard_iteratorINS9_11use_defaultEEEy11max_functorIyEyEEDaPvRmT3_T4_T5_mT6_P12ihipStream_tbENKUlT_T0_E_clISt17integral_constantIbLb1EESW_IbLb0EEEEDaSS_ST_EUlSS_E_NS1_11comp_targetILNS1_3genE0ELNS1_11target_archE4294967295ELNS1_3gpuE0ELNS1_3repE0EEENS1_30default_config_static_selectorELNS0_4arch9wavefront6targetE1EEEvT1_
                                        ; -- End function
	.section	.AMDGPU.csdata,"",@progbits
; Kernel info:
; codeLenInByte = 0
; NumSgprs: 4
; NumVgprs: 0
; NumAgprs: 0
; TotalNumVgprs: 0
; ScratchSize: 0
; MemoryBound: 0
; FloatMode: 240
; IeeeMode: 1
; LDSByteSize: 0 bytes/workgroup (compile time only)
; SGPRBlocks: 0
; VGPRBlocks: 0
; NumSGPRsForWavesPerEU: 4
; NumVGPRsForWavesPerEU: 1
; AccumOffset: 4
; Occupancy: 8
; WaveLimiterHint : 0
; COMPUTE_PGM_RSRC2:SCRATCH_EN: 0
; COMPUTE_PGM_RSRC2:USER_SGPR: 6
; COMPUTE_PGM_RSRC2:TRAP_HANDLER: 0
; COMPUTE_PGM_RSRC2:TGID_X_EN: 1
; COMPUTE_PGM_RSRC2:TGID_Y_EN: 0
; COMPUTE_PGM_RSRC2:TGID_Z_EN: 0
; COMPUTE_PGM_RSRC2:TIDIG_COMP_CNT: 0
; COMPUTE_PGM_RSRC3_GFX90A:ACCUM_OFFSET: 0
; COMPUTE_PGM_RSRC3_GFX90A:TG_SPLIT: 0
	.section	.text._ZN7rocprim17ROCPRIM_400000_NS6detail17trampoline_kernelINS0_14default_configENS1_20scan_config_selectorIyEEZZNS1_9scan_implILNS1_25lookback_scan_determinismE0ELb0ELb0ES3_N6thrust23THRUST_200600_302600_NS6detail15normal_iteratorINS9_10device_ptrIyEEEENS9_16discard_iteratorINS9_11use_defaultEEEy11max_functorIyEyEEDaPvRmT3_T4_T5_mT6_P12ihipStream_tbENKUlT_T0_E_clISt17integral_constantIbLb1EESW_IbLb0EEEEDaSS_ST_EUlSS_E_NS1_11comp_targetILNS1_3genE5ELNS1_11target_archE942ELNS1_3gpuE9ELNS1_3repE0EEENS1_30default_config_static_selectorELNS0_4arch9wavefront6targetE1EEEvT1_,"axG",@progbits,_ZN7rocprim17ROCPRIM_400000_NS6detail17trampoline_kernelINS0_14default_configENS1_20scan_config_selectorIyEEZZNS1_9scan_implILNS1_25lookback_scan_determinismE0ELb0ELb0ES3_N6thrust23THRUST_200600_302600_NS6detail15normal_iteratorINS9_10device_ptrIyEEEENS9_16discard_iteratorINS9_11use_defaultEEEy11max_functorIyEyEEDaPvRmT3_T4_T5_mT6_P12ihipStream_tbENKUlT_T0_E_clISt17integral_constantIbLb1EESW_IbLb0EEEEDaSS_ST_EUlSS_E_NS1_11comp_targetILNS1_3genE5ELNS1_11target_archE942ELNS1_3gpuE9ELNS1_3repE0EEENS1_30default_config_static_selectorELNS0_4arch9wavefront6targetE1EEEvT1_,comdat
	.protected	_ZN7rocprim17ROCPRIM_400000_NS6detail17trampoline_kernelINS0_14default_configENS1_20scan_config_selectorIyEEZZNS1_9scan_implILNS1_25lookback_scan_determinismE0ELb0ELb0ES3_N6thrust23THRUST_200600_302600_NS6detail15normal_iteratorINS9_10device_ptrIyEEEENS9_16discard_iteratorINS9_11use_defaultEEEy11max_functorIyEyEEDaPvRmT3_T4_T5_mT6_P12ihipStream_tbENKUlT_T0_E_clISt17integral_constantIbLb1EESW_IbLb0EEEEDaSS_ST_EUlSS_E_NS1_11comp_targetILNS1_3genE5ELNS1_11target_archE942ELNS1_3gpuE9ELNS1_3repE0EEENS1_30default_config_static_selectorELNS0_4arch9wavefront6targetE1EEEvT1_ ; -- Begin function _ZN7rocprim17ROCPRIM_400000_NS6detail17trampoline_kernelINS0_14default_configENS1_20scan_config_selectorIyEEZZNS1_9scan_implILNS1_25lookback_scan_determinismE0ELb0ELb0ES3_N6thrust23THRUST_200600_302600_NS6detail15normal_iteratorINS9_10device_ptrIyEEEENS9_16discard_iteratorINS9_11use_defaultEEEy11max_functorIyEyEEDaPvRmT3_T4_T5_mT6_P12ihipStream_tbENKUlT_T0_E_clISt17integral_constantIbLb1EESW_IbLb0EEEEDaSS_ST_EUlSS_E_NS1_11comp_targetILNS1_3genE5ELNS1_11target_archE942ELNS1_3gpuE9ELNS1_3repE0EEENS1_30default_config_static_selectorELNS0_4arch9wavefront6targetE1EEEvT1_
	.globl	_ZN7rocprim17ROCPRIM_400000_NS6detail17trampoline_kernelINS0_14default_configENS1_20scan_config_selectorIyEEZZNS1_9scan_implILNS1_25lookback_scan_determinismE0ELb0ELb0ES3_N6thrust23THRUST_200600_302600_NS6detail15normal_iteratorINS9_10device_ptrIyEEEENS9_16discard_iteratorINS9_11use_defaultEEEy11max_functorIyEyEEDaPvRmT3_T4_T5_mT6_P12ihipStream_tbENKUlT_T0_E_clISt17integral_constantIbLb1EESW_IbLb0EEEEDaSS_ST_EUlSS_E_NS1_11comp_targetILNS1_3genE5ELNS1_11target_archE942ELNS1_3gpuE9ELNS1_3repE0EEENS1_30default_config_static_selectorELNS0_4arch9wavefront6targetE1EEEvT1_
	.p2align	8
	.type	_ZN7rocprim17ROCPRIM_400000_NS6detail17trampoline_kernelINS0_14default_configENS1_20scan_config_selectorIyEEZZNS1_9scan_implILNS1_25lookback_scan_determinismE0ELb0ELb0ES3_N6thrust23THRUST_200600_302600_NS6detail15normal_iteratorINS9_10device_ptrIyEEEENS9_16discard_iteratorINS9_11use_defaultEEEy11max_functorIyEyEEDaPvRmT3_T4_T5_mT6_P12ihipStream_tbENKUlT_T0_E_clISt17integral_constantIbLb1EESW_IbLb0EEEEDaSS_ST_EUlSS_E_NS1_11comp_targetILNS1_3genE5ELNS1_11target_archE942ELNS1_3gpuE9ELNS1_3repE0EEENS1_30default_config_static_selectorELNS0_4arch9wavefront6targetE1EEEvT1_,@function
_ZN7rocprim17ROCPRIM_400000_NS6detail17trampoline_kernelINS0_14default_configENS1_20scan_config_selectorIyEEZZNS1_9scan_implILNS1_25lookback_scan_determinismE0ELb0ELb0ES3_N6thrust23THRUST_200600_302600_NS6detail15normal_iteratorINS9_10device_ptrIyEEEENS9_16discard_iteratorINS9_11use_defaultEEEy11max_functorIyEyEEDaPvRmT3_T4_T5_mT6_P12ihipStream_tbENKUlT_T0_E_clISt17integral_constantIbLb1EESW_IbLb0EEEEDaSS_ST_EUlSS_E_NS1_11comp_targetILNS1_3genE5ELNS1_11target_archE942ELNS1_3gpuE9ELNS1_3repE0EEENS1_30default_config_static_selectorELNS0_4arch9wavefront6targetE1EEEvT1_: ; @_ZN7rocprim17ROCPRIM_400000_NS6detail17trampoline_kernelINS0_14default_configENS1_20scan_config_selectorIyEEZZNS1_9scan_implILNS1_25lookback_scan_determinismE0ELb0ELb0ES3_N6thrust23THRUST_200600_302600_NS6detail15normal_iteratorINS9_10device_ptrIyEEEENS9_16discard_iteratorINS9_11use_defaultEEEy11max_functorIyEyEEDaPvRmT3_T4_T5_mT6_P12ihipStream_tbENKUlT_T0_E_clISt17integral_constantIbLb1EESW_IbLb0EEEEDaSS_ST_EUlSS_E_NS1_11comp_targetILNS1_3genE5ELNS1_11target_archE942ELNS1_3gpuE9ELNS1_3repE0EEENS1_30default_config_static_selectorELNS0_4arch9wavefront6targetE1EEEvT1_
; %bb.0:
	.section	.rodata,"a",@progbits
	.p2align	6, 0x0
	.amdhsa_kernel _ZN7rocprim17ROCPRIM_400000_NS6detail17trampoline_kernelINS0_14default_configENS1_20scan_config_selectorIyEEZZNS1_9scan_implILNS1_25lookback_scan_determinismE0ELb0ELb0ES3_N6thrust23THRUST_200600_302600_NS6detail15normal_iteratorINS9_10device_ptrIyEEEENS9_16discard_iteratorINS9_11use_defaultEEEy11max_functorIyEyEEDaPvRmT3_T4_T5_mT6_P12ihipStream_tbENKUlT_T0_E_clISt17integral_constantIbLb1EESW_IbLb0EEEEDaSS_ST_EUlSS_E_NS1_11comp_targetILNS1_3genE5ELNS1_11target_archE942ELNS1_3gpuE9ELNS1_3repE0EEENS1_30default_config_static_selectorELNS0_4arch9wavefront6targetE1EEEvT1_
		.amdhsa_group_segment_fixed_size 0
		.amdhsa_private_segment_fixed_size 0
		.amdhsa_kernarg_size 112
		.amdhsa_user_sgpr_count 6
		.amdhsa_user_sgpr_private_segment_buffer 1
		.amdhsa_user_sgpr_dispatch_ptr 0
		.amdhsa_user_sgpr_queue_ptr 0
		.amdhsa_user_sgpr_kernarg_segment_ptr 1
		.amdhsa_user_sgpr_dispatch_id 0
		.amdhsa_user_sgpr_flat_scratch_init 0
		.amdhsa_user_sgpr_kernarg_preload_length 0
		.amdhsa_user_sgpr_kernarg_preload_offset 0
		.amdhsa_user_sgpr_private_segment_size 0
		.amdhsa_uses_dynamic_stack 0
		.amdhsa_system_sgpr_private_segment_wavefront_offset 0
		.amdhsa_system_sgpr_workgroup_id_x 1
		.amdhsa_system_sgpr_workgroup_id_y 0
		.amdhsa_system_sgpr_workgroup_id_z 0
		.amdhsa_system_sgpr_workgroup_info 0
		.amdhsa_system_vgpr_workitem_id 0
		.amdhsa_next_free_vgpr 1
		.amdhsa_next_free_sgpr 0
		.amdhsa_accum_offset 4
		.amdhsa_reserve_vcc 0
		.amdhsa_reserve_flat_scratch 0
		.amdhsa_float_round_mode_32 0
		.amdhsa_float_round_mode_16_64 0
		.amdhsa_float_denorm_mode_32 3
		.amdhsa_float_denorm_mode_16_64 3
		.amdhsa_dx10_clamp 1
		.amdhsa_ieee_mode 1
		.amdhsa_fp16_overflow 0
		.amdhsa_tg_split 0
		.amdhsa_exception_fp_ieee_invalid_op 0
		.amdhsa_exception_fp_denorm_src 0
		.amdhsa_exception_fp_ieee_div_zero 0
		.amdhsa_exception_fp_ieee_overflow 0
		.amdhsa_exception_fp_ieee_underflow 0
		.amdhsa_exception_fp_ieee_inexact 0
		.amdhsa_exception_int_div_zero 0
	.end_amdhsa_kernel
	.section	.text._ZN7rocprim17ROCPRIM_400000_NS6detail17trampoline_kernelINS0_14default_configENS1_20scan_config_selectorIyEEZZNS1_9scan_implILNS1_25lookback_scan_determinismE0ELb0ELb0ES3_N6thrust23THRUST_200600_302600_NS6detail15normal_iteratorINS9_10device_ptrIyEEEENS9_16discard_iteratorINS9_11use_defaultEEEy11max_functorIyEyEEDaPvRmT3_T4_T5_mT6_P12ihipStream_tbENKUlT_T0_E_clISt17integral_constantIbLb1EESW_IbLb0EEEEDaSS_ST_EUlSS_E_NS1_11comp_targetILNS1_3genE5ELNS1_11target_archE942ELNS1_3gpuE9ELNS1_3repE0EEENS1_30default_config_static_selectorELNS0_4arch9wavefront6targetE1EEEvT1_,"axG",@progbits,_ZN7rocprim17ROCPRIM_400000_NS6detail17trampoline_kernelINS0_14default_configENS1_20scan_config_selectorIyEEZZNS1_9scan_implILNS1_25lookback_scan_determinismE0ELb0ELb0ES3_N6thrust23THRUST_200600_302600_NS6detail15normal_iteratorINS9_10device_ptrIyEEEENS9_16discard_iteratorINS9_11use_defaultEEEy11max_functorIyEyEEDaPvRmT3_T4_T5_mT6_P12ihipStream_tbENKUlT_T0_E_clISt17integral_constantIbLb1EESW_IbLb0EEEEDaSS_ST_EUlSS_E_NS1_11comp_targetILNS1_3genE5ELNS1_11target_archE942ELNS1_3gpuE9ELNS1_3repE0EEENS1_30default_config_static_selectorELNS0_4arch9wavefront6targetE1EEEvT1_,comdat
.Lfunc_end3315:
	.size	_ZN7rocprim17ROCPRIM_400000_NS6detail17trampoline_kernelINS0_14default_configENS1_20scan_config_selectorIyEEZZNS1_9scan_implILNS1_25lookback_scan_determinismE0ELb0ELb0ES3_N6thrust23THRUST_200600_302600_NS6detail15normal_iteratorINS9_10device_ptrIyEEEENS9_16discard_iteratorINS9_11use_defaultEEEy11max_functorIyEyEEDaPvRmT3_T4_T5_mT6_P12ihipStream_tbENKUlT_T0_E_clISt17integral_constantIbLb1EESW_IbLb0EEEEDaSS_ST_EUlSS_E_NS1_11comp_targetILNS1_3genE5ELNS1_11target_archE942ELNS1_3gpuE9ELNS1_3repE0EEENS1_30default_config_static_selectorELNS0_4arch9wavefront6targetE1EEEvT1_, .Lfunc_end3315-_ZN7rocprim17ROCPRIM_400000_NS6detail17trampoline_kernelINS0_14default_configENS1_20scan_config_selectorIyEEZZNS1_9scan_implILNS1_25lookback_scan_determinismE0ELb0ELb0ES3_N6thrust23THRUST_200600_302600_NS6detail15normal_iteratorINS9_10device_ptrIyEEEENS9_16discard_iteratorINS9_11use_defaultEEEy11max_functorIyEyEEDaPvRmT3_T4_T5_mT6_P12ihipStream_tbENKUlT_T0_E_clISt17integral_constantIbLb1EESW_IbLb0EEEEDaSS_ST_EUlSS_E_NS1_11comp_targetILNS1_3genE5ELNS1_11target_archE942ELNS1_3gpuE9ELNS1_3repE0EEENS1_30default_config_static_selectorELNS0_4arch9wavefront6targetE1EEEvT1_
                                        ; -- End function
	.section	.AMDGPU.csdata,"",@progbits
; Kernel info:
; codeLenInByte = 0
; NumSgprs: 4
; NumVgprs: 0
; NumAgprs: 0
; TotalNumVgprs: 0
; ScratchSize: 0
; MemoryBound: 0
; FloatMode: 240
; IeeeMode: 1
; LDSByteSize: 0 bytes/workgroup (compile time only)
; SGPRBlocks: 0
; VGPRBlocks: 0
; NumSGPRsForWavesPerEU: 4
; NumVGPRsForWavesPerEU: 1
; AccumOffset: 4
; Occupancy: 8
; WaveLimiterHint : 0
; COMPUTE_PGM_RSRC2:SCRATCH_EN: 0
; COMPUTE_PGM_RSRC2:USER_SGPR: 6
; COMPUTE_PGM_RSRC2:TRAP_HANDLER: 0
; COMPUTE_PGM_RSRC2:TGID_X_EN: 1
; COMPUTE_PGM_RSRC2:TGID_Y_EN: 0
; COMPUTE_PGM_RSRC2:TGID_Z_EN: 0
; COMPUTE_PGM_RSRC2:TIDIG_COMP_CNT: 0
; COMPUTE_PGM_RSRC3_GFX90A:ACCUM_OFFSET: 0
; COMPUTE_PGM_RSRC3_GFX90A:TG_SPLIT: 0
	.section	.text._ZN7rocprim17ROCPRIM_400000_NS6detail17trampoline_kernelINS0_14default_configENS1_20scan_config_selectorIyEEZZNS1_9scan_implILNS1_25lookback_scan_determinismE0ELb0ELb0ES3_N6thrust23THRUST_200600_302600_NS6detail15normal_iteratorINS9_10device_ptrIyEEEENS9_16discard_iteratorINS9_11use_defaultEEEy11max_functorIyEyEEDaPvRmT3_T4_T5_mT6_P12ihipStream_tbENKUlT_T0_E_clISt17integral_constantIbLb1EESW_IbLb0EEEEDaSS_ST_EUlSS_E_NS1_11comp_targetILNS1_3genE4ELNS1_11target_archE910ELNS1_3gpuE8ELNS1_3repE0EEENS1_30default_config_static_selectorELNS0_4arch9wavefront6targetE1EEEvT1_,"axG",@progbits,_ZN7rocprim17ROCPRIM_400000_NS6detail17trampoline_kernelINS0_14default_configENS1_20scan_config_selectorIyEEZZNS1_9scan_implILNS1_25lookback_scan_determinismE0ELb0ELb0ES3_N6thrust23THRUST_200600_302600_NS6detail15normal_iteratorINS9_10device_ptrIyEEEENS9_16discard_iteratorINS9_11use_defaultEEEy11max_functorIyEyEEDaPvRmT3_T4_T5_mT6_P12ihipStream_tbENKUlT_T0_E_clISt17integral_constantIbLb1EESW_IbLb0EEEEDaSS_ST_EUlSS_E_NS1_11comp_targetILNS1_3genE4ELNS1_11target_archE910ELNS1_3gpuE8ELNS1_3repE0EEENS1_30default_config_static_selectorELNS0_4arch9wavefront6targetE1EEEvT1_,comdat
	.protected	_ZN7rocprim17ROCPRIM_400000_NS6detail17trampoline_kernelINS0_14default_configENS1_20scan_config_selectorIyEEZZNS1_9scan_implILNS1_25lookback_scan_determinismE0ELb0ELb0ES3_N6thrust23THRUST_200600_302600_NS6detail15normal_iteratorINS9_10device_ptrIyEEEENS9_16discard_iteratorINS9_11use_defaultEEEy11max_functorIyEyEEDaPvRmT3_T4_T5_mT6_P12ihipStream_tbENKUlT_T0_E_clISt17integral_constantIbLb1EESW_IbLb0EEEEDaSS_ST_EUlSS_E_NS1_11comp_targetILNS1_3genE4ELNS1_11target_archE910ELNS1_3gpuE8ELNS1_3repE0EEENS1_30default_config_static_selectorELNS0_4arch9wavefront6targetE1EEEvT1_ ; -- Begin function _ZN7rocprim17ROCPRIM_400000_NS6detail17trampoline_kernelINS0_14default_configENS1_20scan_config_selectorIyEEZZNS1_9scan_implILNS1_25lookback_scan_determinismE0ELb0ELb0ES3_N6thrust23THRUST_200600_302600_NS6detail15normal_iteratorINS9_10device_ptrIyEEEENS9_16discard_iteratorINS9_11use_defaultEEEy11max_functorIyEyEEDaPvRmT3_T4_T5_mT6_P12ihipStream_tbENKUlT_T0_E_clISt17integral_constantIbLb1EESW_IbLb0EEEEDaSS_ST_EUlSS_E_NS1_11comp_targetILNS1_3genE4ELNS1_11target_archE910ELNS1_3gpuE8ELNS1_3repE0EEENS1_30default_config_static_selectorELNS0_4arch9wavefront6targetE1EEEvT1_
	.globl	_ZN7rocprim17ROCPRIM_400000_NS6detail17trampoline_kernelINS0_14default_configENS1_20scan_config_selectorIyEEZZNS1_9scan_implILNS1_25lookback_scan_determinismE0ELb0ELb0ES3_N6thrust23THRUST_200600_302600_NS6detail15normal_iteratorINS9_10device_ptrIyEEEENS9_16discard_iteratorINS9_11use_defaultEEEy11max_functorIyEyEEDaPvRmT3_T4_T5_mT6_P12ihipStream_tbENKUlT_T0_E_clISt17integral_constantIbLb1EESW_IbLb0EEEEDaSS_ST_EUlSS_E_NS1_11comp_targetILNS1_3genE4ELNS1_11target_archE910ELNS1_3gpuE8ELNS1_3repE0EEENS1_30default_config_static_selectorELNS0_4arch9wavefront6targetE1EEEvT1_
	.p2align	8
	.type	_ZN7rocprim17ROCPRIM_400000_NS6detail17trampoline_kernelINS0_14default_configENS1_20scan_config_selectorIyEEZZNS1_9scan_implILNS1_25lookback_scan_determinismE0ELb0ELb0ES3_N6thrust23THRUST_200600_302600_NS6detail15normal_iteratorINS9_10device_ptrIyEEEENS9_16discard_iteratorINS9_11use_defaultEEEy11max_functorIyEyEEDaPvRmT3_T4_T5_mT6_P12ihipStream_tbENKUlT_T0_E_clISt17integral_constantIbLb1EESW_IbLb0EEEEDaSS_ST_EUlSS_E_NS1_11comp_targetILNS1_3genE4ELNS1_11target_archE910ELNS1_3gpuE8ELNS1_3repE0EEENS1_30default_config_static_selectorELNS0_4arch9wavefront6targetE1EEEvT1_,@function
_ZN7rocprim17ROCPRIM_400000_NS6detail17trampoline_kernelINS0_14default_configENS1_20scan_config_selectorIyEEZZNS1_9scan_implILNS1_25lookback_scan_determinismE0ELb0ELb0ES3_N6thrust23THRUST_200600_302600_NS6detail15normal_iteratorINS9_10device_ptrIyEEEENS9_16discard_iteratorINS9_11use_defaultEEEy11max_functorIyEyEEDaPvRmT3_T4_T5_mT6_P12ihipStream_tbENKUlT_T0_E_clISt17integral_constantIbLb1EESW_IbLb0EEEEDaSS_ST_EUlSS_E_NS1_11comp_targetILNS1_3genE4ELNS1_11target_archE910ELNS1_3gpuE8ELNS1_3repE0EEENS1_30default_config_static_selectorELNS0_4arch9wavefront6targetE1EEEvT1_: ; @_ZN7rocprim17ROCPRIM_400000_NS6detail17trampoline_kernelINS0_14default_configENS1_20scan_config_selectorIyEEZZNS1_9scan_implILNS1_25lookback_scan_determinismE0ELb0ELb0ES3_N6thrust23THRUST_200600_302600_NS6detail15normal_iteratorINS9_10device_ptrIyEEEENS9_16discard_iteratorINS9_11use_defaultEEEy11max_functorIyEyEEDaPvRmT3_T4_T5_mT6_P12ihipStream_tbENKUlT_T0_E_clISt17integral_constantIbLb1EESW_IbLb0EEEEDaSS_ST_EUlSS_E_NS1_11comp_targetILNS1_3genE4ELNS1_11target_archE910ELNS1_3gpuE8ELNS1_3repE0EEENS1_30default_config_static_selectorELNS0_4arch9wavefront6targetE1EEEvT1_
; %bb.0:
	s_load_dwordx4 s[0:3], s[4:5], 0x0
	s_load_dwordx2 s[8:9], s[4:5], 0x20
	s_load_dword s7, s[4:5], 0x40
	v_lshlrev_b32_e32 v1, 3, v0
	s_waitcnt lgkmcnt(0)
	s_lshl_b64 s[2:3], s[2:3], 3
	s_add_u32 s2, s0, s2
	s_addc_u32 s3, s1, s3
	s_add_i32 s7, s7, -1
	s_mul_i32 s10, s7, 0x380
	s_sub_u32 s22, s8, s10
	s_subb_u32 s23, s9, 0
	s_mul_i32 s0, s6, 0x380
	s_mov_b32 s1, 0
	s_cmp_lg_u32 s6, s7
	s_cselect_b64 s[16:17], -1, 0
	s_lshl_b64 s[0:1], s[0:1], 3
	s_add_u32 s0, s2, s0
	s_addc_u32 s1, s3, s1
	s_mov_b64 s[2:3], -1
	s_and_b64 vcc, exec, s[16:17]
	s_cbranch_vccz .LBB3316_2
; %bb.1:
	v_mov_b32_e32 v3, s1
	v_add_co_u32_e32 v2, vcc, s0, v1
	v_addc_co_u32_e32 v3, vcc, 0, v3, vcc
	flat_load_dwordx2 v[4:5], v[2:3]
	flat_load_dwordx2 v[6:7], v[2:3] offset:1024
	flat_load_dwordx2 v[8:9], v[2:3] offset:2048
	flat_load_dwordx2 v[10:11], v[2:3] offset:3072
	v_add_co_u32_e32 v2, vcc, 0x1000, v2
	v_addc_co_u32_e32 v3, vcc, 0, v3, vcc
	flat_load_dwordx2 v[12:13], v[2:3]
	flat_load_dwordx2 v[14:15], v[2:3] offset:1024
	flat_load_dwordx2 v[16:17], v[2:3] offset:2048
	s_mov_b64 s[2:3], 0
	s_waitcnt vmcnt(0) lgkmcnt(0)
	ds_write2st64_b64 v1, v[4:5], v[6:7] offset1:2
	ds_write2st64_b64 v1, v[8:9], v[10:11] offset0:4 offset1:6
	ds_write2st64_b64 v1, v[12:13], v[14:15] offset0:8 offset1:10
	ds_write_b64 v1, v[16:17] offset:6144
	s_waitcnt lgkmcnt(0)
	s_barrier
.LBB3316_2:
	s_load_dwordx2 s[18:19], s[4:5], 0x38
	s_andn2_b64 vcc, exec, s[2:3]
	s_cbranch_vccnz .LBB3316_18
; %bb.3:
	v_pk_mov_b32 v[2:3], s[0:1], s[0:1] op_sel:[0,1]
	flat_load_dwordx2 v[2:3], v[2:3]
	v_cmp_gt_u32_e32 vcc, s22, v0
	s_waitcnt vmcnt(0) lgkmcnt(0)
	v_mov_b32_e32 v4, v2
	v_mov_b32_e32 v5, v3
	;; [unrolled: 1-line block ×10, first 2 shown]
	v_pk_mov_b32 v[18:19], v[14:15], v[14:15] op_sel:[0,1]
	v_pk_mov_b32 v[16:17], v[12:13], v[12:13] op_sel:[0,1]
	;; [unrolled: 1-line block ×8, first 2 shown]
	s_and_saveexec_b64 s[2:3], vcc
	s_cbranch_execz .LBB3316_5
; %bb.4:
	v_mov_b32_e32 v5, s1
	v_add_co_u32_e32 v4, vcc, s0, v1
	v_addc_co_u32_e32 v5, vcc, 0, v5, vcc
	flat_load_dwordx2 v[20:21], v[4:5]
	v_mov_b32_e32 v4, v2
	v_mov_b32_e32 v5, v3
	;; [unrolled: 1-line block ×10, first 2 shown]
	v_pk_mov_b32 v[18:19], v[14:15], v[14:15] op_sel:[0,1]
	v_pk_mov_b32 v[16:17], v[12:13], v[12:13] op_sel:[0,1]
	;; [unrolled: 1-line block ×8, first 2 shown]
	s_waitcnt vmcnt(0) lgkmcnt(0)
	v_pk_mov_b32 v[2:3], v[20:21], v[20:21] op_sel:[0,1]
.LBB3316_5:
	s_or_b64 exec, exec, s[2:3]
	v_or_b32_e32 v4, 0x80, v0
	v_cmp_gt_u32_e32 vcc, s22, v4
	s_and_saveexec_b64 s[2:3], vcc
	s_cbranch_execz .LBB3316_7
; %bb.6:
	v_mov_b32_e32 v5, s1
	v_add_co_u32_e32 v4, vcc, s0, v1
	v_addc_co_u32_e32 v5, vcc, 0, v5, vcc
	flat_load_dwordx2 v[6:7], v[4:5] offset:1024
.LBB3316_7:
	s_or_b64 exec, exec, s[2:3]
	v_or_b32_e32 v4, 0x100, v0
	v_cmp_gt_u32_e32 vcc, s22, v4
	s_and_saveexec_b64 s[2:3], vcc
	s_cbranch_execz .LBB3316_9
; %bb.8:
	v_mov_b32_e32 v5, s1
	v_add_co_u32_e32 v4, vcc, s0, v1
	v_addc_co_u32_e32 v5, vcc, 0, v5, vcc
	flat_load_dwordx2 v[8:9], v[4:5] offset:2048
.LBB3316_9:
	;; [unrolled: 11-line block ×3, first 2 shown]
	s_or_b64 exec, exec, s[2:3]
	v_or_b32_e32 v4, 0x200, v0
	v_cmp_gt_u32_e32 vcc, s22, v4
	s_and_saveexec_b64 s[2:3], vcc
	s_cbranch_execz .LBB3316_13
; %bb.12:
	v_lshlrev_b32_e32 v4, 3, v4
	v_mov_b32_e32 v5, s1
	v_add_co_u32_e32 v4, vcc, s0, v4
	v_addc_co_u32_e32 v5, vcc, 0, v5, vcc
	flat_load_dwordx2 v[12:13], v[4:5]
.LBB3316_13:
	s_or_b64 exec, exec, s[2:3]
	v_or_b32_e32 v4, 0x280, v0
	v_cmp_gt_u32_e32 vcc, s22, v4
	s_and_saveexec_b64 s[2:3], vcc
	s_cbranch_execz .LBB3316_15
; %bb.14:
	v_lshlrev_b32_e32 v4, 3, v4
	v_mov_b32_e32 v5, s1
	v_add_co_u32_e32 v4, vcc, s0, v4
	v_addc_co_u32_e32 v5, vcc, 0, v5, vcc
	flat_load_dwordx2 v[14:15], v[4:5]
.LBB3316_15:
	;; [unrolled: 12-line block ×3, first 2 shown]
	s_or_b64 exec, exec, s[2:3]
	s_waitcnt vmcnt(0) lgkmcnt(0)
	ds_write2st64_b64 v1, v[2:3], v[6:7] offset1:2
	ds_write2st64_b64 v1, v[8:9], v[10:11] offset0:4 offset1:6
	ds_write2st64_b64 v1, v[12:13], v[14:15] offset0:8 offset1:10
	ds_write_b64 v1, v[16:17] offset:6144
	s_waitcnt lgkmcnt(0)
	s_barrier
.LBB3316_18:
	v_mul_u32_u24_e32 v36, 7, v0
	v_lshlrev_b32_e32 v37, 3, v36
	s_waitcnt lgkmcnt(0)
	ds_read2_b64 v[2:5], v37 offset1:1
	ds_read2_b64 v[10:13], v37 offset0:2 offset1:3
	ds_read2_b64 v[6:9], v37 offset0:4 offset1:5
	ds_read_b64 v[28:29], v37 offset:48
	s_cmp_lg_u32 s6, 0
	v_lshrrev_b32_e32 v1, 5, v0
	v_cmp_gt_u32_e32 vcc, 64, v0
	s_waitcnt lgkmcnt(0)
	s_barrier
	s_cbranch_scc0 .LBB3316_49
; %bb.19:
	v_cmp_gt_u64_e64 s[0:1], v[2:3], v[4:5]
	v_cndmask_b32_e64 v15, v5, v3, s[0:1]
	v_cndmask_b32_e64 v14, v4, v2, s[0:1]
	v_cmp_gt_u64_e64 s[0:1], v[14:15], v[10:11]
	v_cndmask_b32_e64 v15, v11, v15, s[0:1]
	v_cndmask_b32_e64 v14, v10, v14, s[0:1]
	;; [unrolled: 3-line block ×6, first 2 shown]
	v_add_lshl_u32 v14, v1, v0, 3
	ds_write_b64 v14, v[22:23]
	s_waitcnt lgkmcnt(0)
	s_barrier
	s_and_saveexec_b64 s[8:9], vcc
	s_cbranch_execz .LBB3316_23
; %bb.20:
	v_lshlrev_b32_e32 v14, 1, v0
	v_lshrrev_b32_e32 v15, 4, v0
	v_add_lshl_u32 v24, v15, v14, 3
	ds_read2_b64 v[14:17], v24 offset1:1
	v_mbcnt_lo_u32_b32 v18, -1, 0
	v_mbcnt_hi_u32_b32 v25, -1, v18
	v_and_b32_e32 v26, 15, v25
	v_and_b32_e32 v30, 16, v25
	s_waitcnt lgkmcnt(0)
	v_cmp_gt_u64_e64 s[0:1], v[14:15], v[16:17]
	v_cndmask_b32_e64 v17, v17, v15, s[0:1]
	v_cndmask_b32_e64 v16, v16, v14, s[0:1]
	v_cmp_ne_u32_e64 s[2:3], 0, v25
	v_mov_b32_dpp v19, v17 row_shr:1 row_mask:0xf bank_mask:0xf
	v_mov_b32_dpp v18, v16 row_shr:1 row_mask:0xf bank_mask:0xf
	v_cmp_gt_u64_e64 s[0:1], v[18:19], v[16:17]
	v_cndmask_b32_e64 v18, v16, v18, s[0:1]
	v_cndmask_b32_e64 v19, v17, v19, s[0:1]
	v_cmp_eq_u32_e64 s[0:1], 0, v26
	v_cndmask_b32_e64 v19, v19, v17, s[0:1]
	v_cndmask_b32_e64 v18, v18, v16, s[0:1]
	s_nop 0
	v_mov_b32_dpp v21, v19 row_shr:2 row_mask:0xf bank_mask:0xf
	v_mov_b32_dpp v20, v18 row_shr:2 row_mask:0xf bank_mask:0xf
	v_cmp_gt_u64_e64 s[0:1], v[20:21], v[18:19]
	v_cndmask_b32_e64 v20, v18, v20, s[0:1]
	v_cndmask_b32_e64 v21, v19, v21, s[0:1]
	v_cmp_lt_u32_e64 s[0:1], 1, v26
	v_cndmask_b32_e64 v19, v19, v21, s[0:1]
	v_cndmask_b32_e64 v18, v18, v20, s[0:1]
	s_nop 0
	v_mov_b32_dpp v21, v19 row_shr:4 row_mask:0xf bank_mask:0xf
	v_mov_b32_dpp v20, v18 row_shr:4 row_mask:0xf bank_mask:0xf
	v_cmp_gt_u64_e64 s[0:1], v[20:21], v[18:19]
	v_cndmask_b32_e64 v20, v18, v20, s[0:1]
	v_cndmask_b32_e64 v21, v19, v21, s[0:1]
	v_cmp_lt_u32_e64 s[0:1], 3, v26
	;; [unrolled: 9-line block ×3, first 2 shown]
	v_cndmask_b32_e64 v19, v19, v21, s[0:1]
	v_cndmask_b32_e64 v18, v18, v20, s[0:1]
	s_nop 0
	v_mov_b32_dpp v21, v19 row_bcast:15 row_mask:0xf bank_mask:0xf
	v_mov_b32_dpp v20, v18 row_bcast:15 row_mask:0xf bank_mask:0xf
	v_cmp_gt_u64_e64 s[0:1], v[20:21], v[18:19]
	v_cndmask_b32_e64 v26, v19, v21, s[0:1]
	v_cndmask_b32_e64 v27, v18, v20, s[0:1]
	v_cmp_eq_u32_e64 s[0:1], 0, v30
	v_cndmask_b32_e64 v21, v26, v19, s[0:1]
	v_cndmask_b32_e64 v20, v27, v18, s[0:1]
	s_nop 0
	v_mov_b32_dpp v21, v21 row_bcast:31 row_mask:0xf bank_mask:0xf
	v_mov_b32_dpp v20, v20 row_bcast:31 row_mask:0xf bank_mask:0xf
	s_and_saveexec_b64 s[10:11], s[2:3]
; %bb.21:
	v_cndmask_b32_e64 v17, v26, v19, s[0:1]
	v_cndmask_b32_e64 v16, v27, v18, s[0:1]
	v_cmp_lt_u32_e64 s[2:3], 31, v25
	v_cmp_gt_u64_e64 s[0:1], v[20:21], v[16:17]
	s_and_b64 s[0:1], s[2:3], s[0:1]
	v_cndmask_b32_e64 v16, v16, v20, s[0:1]
	v_cndmask_b32_e64 v17, v17, v21, s[0:1]
; %bb.22:
	s_or_b64 exec, exec, s[10:11]
	v_add_u32_e32 v18, -1, v25
	v_and_b32_e32 v19, 64, v25
	v_cmp_lt_i32_e64 s[0:1], v18, v19
	v_cndmask_b32_e64 v18, v18, v25, s[0:1]
	v_lshlrev_b32_e32 v18, 2, v18
	ds_bpermute_b32 v16, v18, v16
	ds_bpermute_b32 v17, v18, v17
	; wave barrier
	s_waitcnt lgkmcnt(0)
	v_cmp_gt_u64_e64 s[0:1], v[16:17], v[14:15]
	v_cndmask_b32_e64 v14, v14, v16, s[0:1]
	v_cndmask_b32_e64 v15, v15, v17, s[0:1]
	v_cmp_eq_u32_e64 s[0:1], 0, v0
	v_cndmask_b32_e64 v15, v15, v23, s[0:1]
	v_cndmask_b32_e64 v14, v14, v22, s[0:1]
	ds_write_b64 v24, v[14:15]
	; wave barrier
	ds_read_b64 v[16:17], v24 offset:8
	s_waitcnt lgkmcnt(0)
	v_cmp_gt_u64_e64 s[0:1], v[14:15], v[16:17]
	v_cndmask_b32_e64 v15, v17, v15, s[0:1]
	v_cndmask_b32_e64 v14, v16, v14, s[0:1]
	ds_write_b64 v24, v[14:15] offset:8
.LBB3316_23:
	s_or_b64 exec, exec, s[8:9]
	v_cmp_eq_u32_e64 s[0:1], 0, v0
	v_cmp_ne_u32_e64 s[2:3], 0, v0
	s_waitcnt lgkmcnt(0)
	s_barrier
	s_and_saveexec_b64 s[8:9], s[2:3]
	s_cbranch_execz .LBB3316_25
; %bb.24:
	v_add_u32_e32 v14, -1, v0
	v_lshrrev_b32_e32 v15, 5, v14
	v_add_lshl_u32 v14, v15, v14, 3
	ds_read_b64 v[22:23], v14
.LBB3316_25:
	s_or_b64 exec, exec, s[8:9]
	s_and_saveexec_b64 s[20:21], vcc
	s_cbranch_execz .LBB3316_48
; %bb.26:
	v_mov_b32_e32 v17, 0
	ds_read_b64 v[14:15], v17 offset:1040
	v_mbcnt_lo_u32_b32 v16, -1, 0
	v_mbcnt_hi_u32_b32 v25, -1, v16
	s_mov_b32 s11, 0
	v_cmp_eq_u32_e64 s[2:3], 0, v25
	s_and_saveexec_b64 s[8:9], s[2:3]
	s_cbranch_execz .LBB3316_28
; %bb.27:
	s_add_i32 s10, s6, 64
	s_lshl_b64 s[10:11], s[10:11], 4
	s_add_u32 s10, s18, s10
	s_addc_u32 s11, s19, s11
	v_mov_b32_e32 v16, 1
	v_pk_mov_b32 v[18:19], s[10:11], s[10:11] op_sel:[0,1]
	s_waitcnt lgkmcnt(0)
	;;#ASMSTART
	global_store_dwordx4 v[18:19], v[14:17] off	
s_waitcnt vmcnt(0)
	;;#ASMEND
.LBB3316_28:
	s_or_b64 exec, exec, s[8:9]
	v_xad_u32 v24, v25, -1, s6
	v_add_u32_e32 v16, 64, v24
	v_lshlrev_b64 v[18:19], 4, v[16:17]
	v_mov_b32_e32 v16, s19
	v_add_co_u32_e32 v26, vcc, s18, v18
	v_addc_co_u32_e32 v27, vcc, v16, v19, vcc
	;;#ASMSTART
	global_load_dwordx4 v[18:21], v[26:27] off glc	
s_waitcnt vmcnt(0)
	;;#ASMEND
	v_and_b32_e32 v16, 0xff, v19
	v_and_b32_e32 v21, 0xff00, v19
	v_or3_b32 v16, 0, v16, v21
	v_or3_b32 v18, v18, 0, 0
	v_and_b32_e32 v21, 0xff000000, v19
	v_and_b32_e32 v19, 0xff0000, v19
	v_or3_b32 v19, v16, v19, v21
	v_or3_b32 v18, v18, 0, 0
	v_cmp_eq_u16_sdwa s[10:11], v20, v17 src0_sel:BYTE_0 src1_sel:DWORD
	s_and_saveexec_b64 s[8:9], s[10:11]
	s_cbranch_execz .LBB3316_34
; %bb.29:
	s_mov_b32 s7, 1
	s_mov_b64 s[10:11], 0
	v_mov_b32_e32 v16, 0
.LBB3316_30:                            ; =>This Loop Header: Depth=1
                                        ;     Child Loop BB3316_31 Depth 2
	s_max_u32 s12, s7, 1
.LBB3316_31:                            ;   Parent Loop BB3316_30 Depth=1
                                        ; =>  This Inner Loop Header: Depth=2
	s_add_i32 s12, s12, -1
	s_cmp_eq_u32 s12, 0
	s_sleep 1
	s_cbranch_scc0 .LBB3316_31
; %bb.32:                               ;   in Loop: Header=BB3316_30 Depth=1
	s_cmp_lt_u32 s7, 32
	s_cselect_b64 s[12:13], -1, 0
	s_cmp_lg_u64 s[12:13], 0
	s_addc_u32 s7, s7, 0
	;;#ASMSTART
	global_load_dwordx4 v[18:21], v[26:27] off glc	
s_waitcnt vmcnt(0)
	;;#ASMEND
	v_cmp_ne_u16_sdwa s[12:13], v20, v16 src0_sel:BYTE_0 src1_sel:DWORD
	s_or_b64 s[10:11], s[12:13], s[10:11]
	s_andn2_b64 exec, exec, s[10:11]
	s_cbranch_execnz .LBB3316_30
; %bb.33:
	s_or_b64 exec, exec, s[10:11]
.LBB3316_34:
	s_or_b64 exec, exec, s[8:9]
	v_and_b32_e32 v33, 63, v25
	v_cmp_ne_u32_e32 vcc, 63, v33
	v_mov_b32_e32 v32, 2
	v_addc_co_u32_e32 v26, vcc, 0, v25, vcc
	v_cmp_eq_u16_sdwa s[8:9], v20, v32 src0_sel:BYTE_0 src1_sel:DWORD
	v_lshlrev_b64 v[16:17], v25, -1
	v_lshlrev_b32_e32 v34, 2, v26
	v_and_b32_e32 v21, s9, v17
	ds_bpermute_b32 v26, v34, v18
	ds_bpermute_b32 v27, v34, v19
	v_or_b32_e32 v21, 0x80000000, v21
	v_and_b32_e32 v30, s8, v16
	v_ffbl_b32_e32 v21, v21
	v_add_u32_e32 v21, 32, v21
	v_ffbl_b32_e32 v30, v30
	v_min_u32_e32 v21, v30, v21
	s_waitcnt lgkmcnt(0)
	v_cmp_gt_u64_e64 s[8:9], v[26:27], v[18:19]
	v_cmp_lt_u32_e32 vcc, v33, v21
	v_cndmask_b32_e64 v26, v18, v26, s[8:9]
	s_and_b64 s[8:9], vcc, s[8:9]
	v_cndmask_b32_e64 v27, v19, v27, s[8:9]
	v_cmp_gt_u32_e64 s[8:9], 62, v33
	v_cndmask_b32_e64 v30, 0, 1, s[8:9]
	v_lshlrev_b32_e32 v30, 1, v30
	v_cndmask_b32_e32 v26, v18, v26, vcc
	v_add_lshl_u32 v35, v30, v25, 2
	ds_bpermute_b32 v30, v35, v26
	ds_bpermute_b32 v31, v35, v27
	v_add_u32_e32 v38, 2, v33
	v_cmp_gt_u32_e64 s[10:11], 56, v33
	v_add_u32_e32 v40, 4, v33
	v_cndmask_b32_e64 v41, 0, 1, s[10:11]
	s_waitcnt lgkmcnt(0)
	v_cmp_gt_u64_e64 s[8:9], v[30:31], v[26:27]
	v_cndmask_b32_e64 v31, v27, v31, s[8:9]
	v_cndmask_b32_e64 v30, v26, v30, s[8:9]
	v_cmp_gt_u32_e64 s[8:9], v38, v21
	v_cndmask_b32_e64 v26, v30, v26, s[8:9]
	v_cndmask_b32_e64 v27, v31, v27, s[8:9]
	v_cmp_gt_u32_e64 s[8:9], 60, v33
	v_cndmask_b32_e64 v30, 0, 1, s[8:9]
	v_lshlrev_b32_e32 v30, 2, v30
	v_add_lshl_u32 v39, v30, v25, 2
	ds_bpermute_b32 v30, v39, v26
	ds_bpermute_b32 v31, v39, v27
	v_lshlrev_b32_e32 v41, 3, v41
	v_add_lshl_u32 v41, v41, v25, 2
	v_cmp_gt_u32_e64 s[12:13], 48, v33
	v_add_u32_e32 v42, 8, v33
	s_waitcnt lgkmcnt(0)
	v_cmp_gt_u64_e64 s[8:9], v[30:31], v[26:27]
	v_cndmask_b32_e64 v50, v27, v31, s[8:9]
	v_cndmask_b32_e64 v51, v26, v30, s[8:9]
	v_cmp_gt_u32_e64 s[8:9], v40, v21
	v_cndmask_b32_e64 v30, v51, v26, s[8:9]
	v_cndmask_b32_e64 v31, v50, v27, s[8:9]
	ds_bpermute_b32 v44, v41, v30
	ds_bpermute_b32 v45, v41, v31
	v_cndmask_b32_e64 v43, 0, 1, s[12:13]
	v_lshlrev_b32_e32 v43, 4, v43
	v_add_lshl_u32 v43, v43, v25, 2
	v_cmp_gt_u32_e64 s[14:15], 32, v33
	s_waitcnt lgkmcnt(0)
	v_cmp_gt_u64_e64 s[10:11], v[44:45], v[30:31]
	v_cndmask_b32_e64 v52, v31, v45, s[10:11]
	v_cndmask_b32_e64 v53, v30, v44, s[10:11]
	v_cmp_gt_u32_e64 s[10:11], v42, v21
	v_cndmask_b32_e64 v30, v53, v30, s[10:11]
	v_cndmask_b32_e64 v31, v52, v31, s[10:11]
	ds_bpermute_b32 v46, v43, v30
	ds_bpermute_b32 v47, v43, v31
	v_add_u32_e32 v44, 16, v33
	v_cndmask_b32_e64 v45, 0, 1, s[14:15]
	v_lshlrev_b32_e32 v45, 5, v45
	v_add_lshl_u32 v45, v45, v25, 2
	s_waitcnt lgkmcnt(0)
	v_cmp_gt_u64_e64 s[12:13], v[46:47], v[30:31]
	v_cndmask_b32_e64 v47, v31, v47, s[12:13]
	v_cndmask_b32_e64 v54, v30, v46, s[12:13]
	v_cmp_gt_u32_e64 s[12:13], v44, v21
	v_cndmask_b32_e64 v30, v54, v30, s[12:13]
	v_cndmask_b32_e64 v31, v47, v31, s[12:13]
	ds_bpermute_b32 v48, v45, v30
	ds_bpermute_b32 v49, v45, v31
	v_cndmask_b32_e32 v19, v19, v27, vcc
	v_cndmask_b32_e32 v18, v18, v26, vcc
	v_cndmask_b32_e64 v18, v51, v18, s[8:9]
	v_cndmask_b32_e64 v19, v50, v19, s[8:9]
	v_add_u32_e32 v46, 32, v33
	s_waitcnt lgkmcnt(0)
	v_cmp_gt_u64_e64 s[14:15], v[48:49], v[30:31]
	v_cndmask_b32_e64 v19, v52, v19, s[10:11]
	v_cndmask_b32_e64 v18, v53, v18, s[10:11]
	;; [unrolled: 1-line block ×6, first 2 shown]
	v_cmp_gt_u32_e32 vcc, v46, v21
	v_cndmask_b32_e32 v19, v30, v19, vcc
	v_cndmask_b32_e32 v18, v25, v18, vcc
	v_mov_b32_e32 v25, 0
	s_branch .LBB3316_36
.LBB3316_35:                            ;   in Loop: Header=BB3316_36 Depth=1
	s_or_b64 exec, exec, s[8:9]
	v_cmp_eq_u16_sdwa s[8:9], v20, v32 src0_sel:BYTE_0 src1_sel:DWORD
	v_and_b32_e32 v21, s9, v17
	ds_bpermute_b32 v30, v34, v18
	ds_bpermute_b32 v31, v34, v19
	v_or_b32_e32 v21, 0x80000000, v21
	v_and_b32_e32 v47, s8, v16
	v_ffbl_b32_e32 v21, v21
	v_add_u32_e32 v21, 32, v21
	v_ffbl_b32_e32 v47, v47
	v_min_u32_e32 v21, v47, v21
	s_waitcnt lgkmcnt(0)
	v_cmp_gt_u64_e32 vcc, v[30:31], v[18:19]
	v_cmp_lt_u32_e64 s[8:9], v33, v21
	v_cndmask_b32_e32 v30, v18, v30, vcc
	s_and_b64 vcc, s[8:9], vcc
	v_cndmask_b32_e64 v30, v18, v30, s[8:9]
	v_cndmask_b32_e32 v31, v19, v31, vcc
	ds_bpermute_b32 v48, v35, v30
	ds_bpermute_b32 v49, v35, v31
	v_subrev_u32_e32 v24, 64, v24
	s_waitcnt lgkmcnt(0)
	v_cmp_gt_u64_e32 vcc, v[48:49], v[30:31]
	v_cndmask_b32_e32 v47, v31, v49, vcc
	v_cndmask_b32_e32 v48, v30, v48, vcc
	v_cmp_gt_u32_e32 vcc, v38, v21
	v_cndmask_b32_e32 v30, v48, v30, vcc
	v_cndmask_b32_e32 v31, v47, v31, vcc
	ds_bpermute_b32 v48, v39, v30
	ds_bpermute_b32 v49, v39, v31
	v_cndmask_b32_e64 v19, v19, v31, s[8:9]
	v_cndmask_b32_e64 v18, v18, v30, s[8:9]
	s_waitcnt lgkmcnt(0)
	v_cmp_gt_u64_e32 vcc, v[48:49], v[30:31]
	v_cndmask_b32_e32 v47, v31, v49, vcc
	v_cndmask_b32_e32 v52, v30, v48, vcc
	v_cmp_gt_u32_e32 vcc, v40, v21
	v_cndmask_b32_e32 v48, v52, v30, vcc
	v_cndmask_b32_e32 v49, v47, v31, vcc
	ds_bpermute_b32 v50, v41, v48
	ds_bpermute_b32 v51, v41, v49
	v_cndmask_b32_e32 v18, v52, v18, vcc
	v_cndmask_b32_e32 v19, v47, v19, vcc
	v_cmp_gt_u32_e32 vcc, v46, v21
	s_waitcnt lgkmcnt(0)
	v_cmp_gt_u64_e64 s[10:11], v[50:51], v[48:49]
	v_cndmask_b32_e64 v53, v49, v51, s[10:11]
	v_cndmask_b32_e64 v54, v48, v50, s[10:11]
	v_cmp_gt_u32_e64 s[10:11], v42, v21
	v_cndmask_b32_e64 v48, v54, v48, s[10:11]
	v_cndmask_b32_e64 v49, v53, v49, s[10:11]
	ds_bpermute_b32 v50, v43, v48
	ds_bpermute_b32 v51, v43, v49
	v_cndmask_b32_e64 v19, v53, v19, s[10:11]
	v_cndmask_b32_e64 v18, v54, v18, s[10:11]
	s_waitcnt lgkmcnt(0)
	v_cmp_gt_u64_e64 s[12:13], v[50:51], v[48:49]
	v_cndmask_b32_e64 v55, v49, v51, s[12:13]
	v_cndmask_b32_e64 v56, v48, v50, s[12:13]
	v_cmp_gt_u32_e64 s[12:13], v44, v21
	v_cndmask_b32_e64 v48, v56, v48, s[12:13]
	v_cndmask_b32_e64 v49, v55, v49, s[12:13]
	ds_bpermute_b32 v50, v45, v48
	ds_bpermute_b32 v51, v45, v49
	v_cndmask_b32_e64 v18, v56, v18, s[12:13]
	v_cndmask_b32_e64 v19, v55, v19, s[12:13]
	s_waitcnt lgkmcnt(0)
	v_cmp_gt_u64_e64 s[14:15], v[50:51], v[48:49]
	v_cndmask_b32_e64 v48, v48, v50, s[14:15]
	v_cndmask_b32_e64 v49, v49, v51, s[14:15]
	v_cndmask_b32_e32 v19, v49, v19, vcc
	v_cndmask_b32_e32 v18, v48, v18, vcc
	v_cmp_gt_u64_e32 vcc, v[18:19], v[26:27]
	v_cndmask_b32_e32 v19, v27, v19, vcc
	v_cndmask_b32_e32 v18, v26, v18, vcc
.LBB3316_36:                            ; =>This Loop Header: Depth=1
                                        ;     Child Loop BB3316_39 Depth 2
                                        ;       Child Loop BB3316_40 Depth 3
	v_cmp_ne_u16_sdwa s[8:9], v20, v32 src0_sel:BYTE_0 src1_sel:DWORD
	v_cndmask_b32_e64 v20, 0, 1, s[8:9]
	;;#ASMSTART
	;;#ASMEND
	v_cmp_ne_u32_e32 vcc, 0, v20
	s_cmp_lg_u64 vcc, exec
	v_pk_mov_b32 v[26:27], v[18:19], v[18:19] op_sel:[0,1]
	s_cbranch_scc1 .LBB3316_43
; %bb.37:                               ;   in Loop: Header=BB3316_36 Depth=1
	v_lshlrev_b64 v[18:19], 4, v[24:25]
	v_mov_b32_e32 v20, s19
	v_add_co_u32_e32 v30, vcc, s18, v18
	v_addc_co_u32_e32 v31, vcc, v20, v19, vcc
	;;#ASMSTART
	global_load_dwordx4 v[18:21], v[30:31] off glc	
s_waitcnt vmcnt(0)
	;;#ASMEND
	v_and_b32_e32 v21, 0xff, v19
	v_and_b32_e32 v47, 0xff00, v19
	v_or3_b32 v21, 0, v21, v47
	v_or3_b32 v18, v18, 0, 0
	v_and_b32_e32 v47, 0xff000000, v19
	v_and_b32_e32 v19, 0xff0000, v19
	v_or3_b32 v19, v21, v19, v47
	v_or3_b32 v18, v18, 0, 0
	v_cmp_eq_u16_sdwa s[10:11], v20, v25 src0_sel:BYTE_0 src1_sel:DWORD
	s_and_saveexec_b64 s[8:9], s[10:11]
	s_cbranch_execz .LBB3316_35
; %bb.38:                               ;   in Loop: Header=BB3316_36 Depth=1
	s_mov_b32 s7, 1
	s_mov_b64 s[10:11], 0
.LBB3316_39:                            ;   Parent Loop BB3316_36 Depth=1
                                        ; =>  This Loop Header: Depth=2
                                        ;       Child Loop BB3316_40 Depth 3
	s_max_u32 s12, s7, 1
.LBB3316_40:                            ;   Parent Loop BB3316_36 Depth=1
                                        ;     Parent Loop BB3316_39 Depth=2
                                        ; =>    This Inner Loop Header: Depth=3
	s_add_i32 s12, s12, -1
	s_cmp_eq_u32 s12, 0
	s_sleep 1
	s_cbranch_scc0 .LBB3316_40
; %bb.41:                               ;   in Loop: Header=BB3316_39 Depth=2
	s_cmp_lt_u32 s7, 32
	s_cselect_b64 s[12:13], -1, 0
	s_cmp_lg_u64 s[12:13], 0
	s_addc_u32 s7, s7, 0
	;;#ASMSTART
	global_load_dwordx4 v[18:21], v[30:31] off glc	
s_waitcnt vmcnt(0)
	;;#ASMEND
	v_cmp_ne_u16_sdwa s[12:13], v20, v25 src0_sel:BYTE_0 src1_sel:DWORD
	s_or_b64 s[10:11], s[12:13], s[10:11]
	s_andn2_b64 exec, exec, s[10:11]
	s_cbranch_execnz .LBB3316_39
; %bb.42:                               ;   in Loop: Header=BB3316_36 Depth=1
	s_or_b64 exec, exec, s[10:11]
	s_branch .LBB3316_35
.LBB3316_43:                            ;   in Loop: Header=BB3316_36 Depth=1
                                        ; implicit-def: $vgpr18_vgpr19
                                        ; implicit-def: $vgpr20
	s_cbranch_execz .LBB3316_36
; %bb.44:
	s_and_saveexec_b64 s[8:9], s[2:3]
	s_cbranch_execz .LBB3316_46
; %bb.45:
	s_add_i32 s2, s6, 64
	s_mov_b32 s3, 0
	s_lshl_b64 s[2:3], s[2:3], 4
	s_add_u32 s2, s18, s2
	v_cmp_gt_u64_e32 vcc, v[26:27], v[14:15]
	s_addc_u32 s3, s19, s3
	v_cndmask_b32_e32 v15, v15, v27, vcc
	v_cndmask_b32_e32 v14, v14, v26, vcc
	v_mov_b32_e32 v16, 2
	v_mov_b32_e32 v17, 0
	v_pk_mov_b32 v[18:19], s[2:3], s[2:3] op_sel:[0,1]
	;;#ASMSTART
	global_store_dwordx4 v[18:19], v[14:17] off	
s_waitcnt vmcnt(0)
	;;#ASMEND
.LBB3316_46:
	s_or_b64 exec, exec, s[8:9]
	s_and_b64 exec, exec, s[0:1]
	s_cbranch_execz .LBB3316_48
; %bb.47:
	v_mov_b32_e32 v14, 0
	ds_write_b64 v14, v[26:27]
.LBB3316_48:
	s_or_b64 exec, exec, s[20:21]
	v_mov_b32_e32 v14, 0
	s_waitcnt lgkmcnt(0)
	s_barrier
	ds_read_b64 v[14:15], v14
	v_cmp_gt_u64_e32 vcc, v[22:23], v[2:3]
	v_cndmask_b32_e32 v16, v2, v22, vcc
	v_cndmask_b32_e32 v17, v3, v23, vcc
	v_cndmask_b32_e64 v17, v17, v3, s[0:1]
	v_cndmask_b32_e64 v16, v16, v2, s[0:1]
	s_waitcnt lgkmcnt(0)
	v_cmp_gt_u64_e32 vcc, v[14:15], v[16:17]
	v_cndmask_b32_e32 v25, v17, v15, vcc
	v_cndmask_b32_e32 v24, v16, v14, vcc
	v_cmp_gt_u64_e32 vcc, v[24:25], v[4:5]
	v_cndmask_b32_e32 v31, v5, v25, vcc
	v_cndmask_b32_e32 v30, v4, v24, vcc
	;; [unrolled: 3-line block ×7, first 2 shown]
	s_load_dwordx8 s[4:11], s[4:5], 0x48
	s_branch .LBB3316_63
.LBB3316_49:
                                        ; implicit-def: $vgpr22_vgpr23
                                        ; implicit-def: $vgpr34_vgpr35
                                        ; implicit-def: $vgpr32_vgpr33
                                        ; implicit-def: $vgpr30_vgpr31
                                        ; implicit-def: $vgpr18_vgpr19_vgpr20_vgpr21
                                        ; implicit-def: $vgpr14_vgpr15_vgpr16_vgpr17
                                        ; implicit-def: $vgpr24_vgpr25_vgpr26_vgpr27
	s_load_dwordx8 s[4:11], s[4:5], 0x48
	s_cbranch_execz .LBB3316_63
; %bb.50:
	s_waitcnt lgkmcnt(0)
	s_cmp_lg_u64 s[8:9], 0
	s_cselect_b64 s[2:3], -1, 0
	v_cmp_eq_u32_e64 s[0:1], 0, v0
	v_cmp_ne_u32_e32 vcc, 0, v0
	s_and_b64 s[2:3], s[0:1], s[2:3]
	s_and_saveexec_b64 s[8:9], s[2:3]
	s_cbranch_execz .LBB3316_52
; %bb.51:
	v_mov_b32_e32 v14, 0
	global_load_dwordx2 v[14:15], v14, s[4:5]
	s_waitcnt vmcnt(0)
	v_cmp_gt_u64_e64 s[2:3], v[14:15], v[2:3]
	v_cndmask_b32_e64 v3, v3, v15, s[2:3]
	v_cndmask_b32_e64 v2, v2, v14, s[2:3]
.LBB3316_52:
	s_or_b64 exec, exec, s[8:9]
	v_cmp_gt_u64_e64 s[2:3], v[2:3], v[4:5]
	v_cndmask_b32_e64 v31, v5, v3, s[2:3]
	v_cndmask_b32_e64 v30, v4, v2, s[2:3]
	v_cmp_gt_u64_e64 s[2:3], v[30:31], v[10:11]
	v_cndmask_b32_e64 v15, v11, v31, s[2:3]
	v_cndmask_b32_e64 v14, v10, v30, s[2:3]
	v_cmp_gt_u64_e64 s[2:3], v[14:15], v[12:13]
	v_cndmask_b32_e64 v33, v13, v15, s[2:3]
	v_cndmask_b32_e64 v32, v12, v14, s[2:3]
	v_cmp_gt_u64_e64 s[2:3], v[32:33], v[6:7]
	v_cndmask_b32_e64 v19, v7, v33, s[2:3]
	v_cndmask_b32_e64 v18, v6, v32, s[2:3]
	v_cmp_gt_u64_e64 s[2:3], v[18:19], v[8:9]
	v_cndmask_b32_e64 v35, v9, v19, s[2:3]
	v_cndmask_b32_e64 v34, v8, v18, s[2:3]
	v_cmp_gt_u64_e64 s[2:3], v[34:35], v[28:29]
	v_cndmask_b32_e64 v23, v29, v35, s[2:3]
	v_cndmask_b32_e64 v22, v28, v34, s[2:3]
	v_add_lshl_u32 v1, v1, v0, 3
	v_cmp_gt_u32_e64 s[2:3], 64, v0
	ds_write_b64 v1, v[22:23]
	s_waitcnt lgkmcnt(0)
	s_barrier
	s_and_saveexec_b64 s[8:9], s[2:3]
	s_cbranch_execz .LBB3316_56
; %bb.53:
	v_lshlrev_b32_e32 v1, 1, v0
	v_lshrrev_b32_e32 v16, 4, v0
	v_add_lshl_u32 v1, v16, v1, 3
	ds_read2_b64 v[24:27], v1 offset1:1
	v_mbcnt_lo_u32_b32 v16, -1, 0
	v_mbcnt_hi_u32_b32 v38, -1, v16
	v_and_b32_e32 v39, 15, v38
	v_and_b32_e32 v41, 16, v38
	s_waitcnt lgkmcnt(0)
	v_cmp_gt_u64_e64 s[2:3], v[24:25], v[26:27]
	v_cndmask_b32_e64 v17, v27, v25, s[2:3]
	v_cndmask_b32_e64 v16, v26, v24, s[2:3]
	v_cmp_ne_u32_e64 s[4:5], 0, v38
	v_mov_b32_dpp v21, v17 row_shr:1 row_mask:0xf bank_mask:0xf
	v_mov_b32_dpp v20, v16 row_shr:1 row_mask:0xf bank_mask:0xf
	v_cmp_gt_u64_e64 s[2:3], v[20:21], v[16:17]
	v_cndmask_b32_e64 v20, v16, v20, s[2:3]
	v_cndmask_b32_e64 v21, v17, v21, s[2:3]
	v_cmp_eq_u32_e64 s[2:3], 0, v39
	v_cndmask_b32_e64 v21, v21, v17, s[2:3]
	v_cndmask_b32_e64 v20, v20, v16, s[2:3]
	s_nop 0
	v_mov_b32_dpp v27, v21 row_shr:2 row_mask:0xf bank_mask:0xf
	v_mov_b32_dpp v26, v20 row_shr:2 row_mask:0xf bank_mask:0xf
	v_cmp_gt_u64_e64 s[2:3], v[26:27], v[20:21]
	v_cndmask_b32_e64 v26, v20, v26, s[2:3]
	v_cndmask_b32_e64 v27, v21, v27, s[2:3]
	v_cmp_lt_u32_e64 s[2:3], 1, v39
	v_cndmask_b32_e64 v21, v21, v27, s[2:3]
	v_cndmask_b32_e64 v20, v20, v26, s[2:3]
	s_nop 0
	v_mov_b32_dpp v27, v21 row_shr:4 row_mask:0xf bank_mask:0xf
	v_mov_b32_dpp v26, v20 row_shr:4 row_mask:0xf bank_mask:0xf
	v_cmp_gt_u64_e64 s[2:3], v[26:27], v[20:21]
	v_cndmask_b32_e64 v26, v20, v26, s[2:3]
	v_cndmask_b32_e64 v27, v21, v27, s[2:3]
	v_cmp_lt_u32_e64 s[2:3], 3, v39
	;; [unrolled: 9-line block ×3, first 2 shown]
	v_cndmask_b32_e64 v21, v21, v27, s[2:3]
	v_cndmask_b32_e64 v20, v20, v26, s[2:3]
	s_nop 0
	v_mov_b32_dpp v27, v21 row_bcast:15 row_mask:0xf bank_mask:0xf
	v_mov_b32_dpp v26, v20 row_bcast:15 row_mask:0xf bank_mask:0xf
	v_cmp_gt_u64_e64 s[2:3], v[26:27], v[20:21]
	v_cndmask_b32_e64 v39, v21, v27, s[2:3]
	v_cndmask_b32_e64 v40, v20, v26, s[2:3]
	v_cmp_eq_u32_e64 s[2:3], 0, v41
	v_cndmask_b32_e64 v27, v39, v21, s[2:3]
	v_cndmask_b32_e64 v26, v40, v20, s[2:3]
	s_nop 0
	v_mov_b32_dpp v27, v27 row_bcast:31 row_mask:0xf bank_mask:0xf
	v_mov_b32_dpp v26, v26 row_bcast:31 row_mask:0xf bank_mask:0xf
	s_and_saveexec_b64 s[12:13], s[4:5]
; %bb.54:
	v_cndmask_b32_e64 v17, v39, v21, s[2:3]
	v_cndmask_b32_e64 v16, v40, v20, s[2:3]
	v_cmp_lt_u32_e64 s[4:5], 31, v38
	v_cmp_gt_u64_e64 s[2:3], v[26:27], v[16:17]
	s_and_b64 s[2:3], s[4:5], s[2:3]
	v_cndmask_b32_e64 v16, v16, v26, s[2:3]
	v_cndmask_b32_e64 v17, v17, v27, s[2:3]
; %bb.55:
	s_or_b64 exec, exec, s[12:13]
	v_add_u32_e32 v20, -1, v38
	v_and_b32_e32 v21, 64, v38
	v_cmp_lt_i32_e64 s[2:3], v20, v21
	v_cndmask_b32_e64 v20, v20, v38, s[2:3]
	v_lshlrev_b32_e32 v20, 2, v20
	ds_bpermute_b32 v16, v20, v16
	ds_bpermute_b32 v17, v20, v17
	; wave barrier
	s_waitcnt lgkmcnt(0)
	v_cmp_gt_u64_e64 s[2:3], v[16:17], v[24:25]
	v_cndmask_b32_e64 v16, v24, v16, s[2:3]
	v_cndmask_b32_e64 v17, v25, v17, s[2:3]
	;; [unrolled: 1-line block ×4, first 2 shown]
	ds_write_b64 v1, v[16:17]
	; wave barrier
	ds_read_b64 v[20:21], v1 offset:8
	s_waitcnt lgkmcnt(0)
	v_cmp_gt_u64_e64 s[0:1], v[16:17], v[20:21]
	v_cndmask_b32_e64 v17, v21, v17, s[0:1]
	v_cndmask_b32_e64 v16, v20, v16, s[0:1]
	ds_write_b64 v1, v[16:17] offset:8
.LBB3316_56:
	s_or_b64 exec, exec, s[8:9]
	v_pk_mov_b32 v[16:17], v[22:23], v[22:23] op_sel:[0,1]
	s_waitcnt lgkmcnt(0)
	s_barrier
	s_and_saveexec_b64 s[0:1], vcc
	s_cbranch_execz .LBB3316_58
; %bb.57:
	v_add_u32_e32 v1, -1, v0
	v_lshrrev_b32_e32 v16, 5, v1
	v_add_lshl_u32 v1, v16, v1, 3
	ds_read_b64 v[16:17], v1
.LBB3316_58:
	s_or_b64 exec, exec, s[0:1]
	s_and_saveexec_b64 s[0:1], vcc
	s_cbranch_execz .LBB3316_60
; %bb.59:
	s_waitcnt lgkmcnt(0)
	v_cmp_gt_u64_e32 vcc, v[16:17], v[2:3]
	v_cndmask_b32_e32 v3, v3, v17, vcc
	v_cndmask_b32_e32 v2, v2, v16, vcc
	v_cmp_gt_u64_e32 vcc, v[2:3], v[4:5]
	v_cndmask_b32_e32 v31, v5, v3, vcc
	v_cndmask_b32_e32 v30, v4, v2, vcc
	;; [unrolled: 3-line block ×7, first 2 shown]
	;;#ASMSTART
	;;#ASMEND
.LBB3316_60:
	s_or_b64 exec, exec, s[0:1]
	s_movk_i32 s0, 0x7f
	v_cmp_eq_u32_e32 vcc, s0, v0
	s_and_saveexec_b64 s[0:1], vcc
	s_cbranch_execz .LBB3316_62
; %bb.61:
	s_add_u32 s2, s18, 0x400
	s_addc_u32 s3, s19, 0
	v_mov_b32_e32 v24, 2
	v_mov_b32_e32 v25, 0
	v_pk_mov_b32 v[4:5], s[2:3], s[2:3] op_sel:[0,1]
	;;#ASMSTART
	global_store_dwordx4 v[4:5], v[22:25] off	
s_waitcnt vmcnt(0)
	;;#ASMEND
.LBB3316_62:
	s_or_b64 exec, exec, s[0:1]
	v_pk_mov_b32 v[24:25], v[2:3], v[2:3] op_sel:[0,1]
.LBB3316_63:
	s_mov_b64 s[0:1], -1
	s_and_b64 vcc, exec, s[16:17]
	s_waitcnt lgkmcnt(0)
	s_barrier
	ds_write2_b64 v37, v[24:25], v[30:31] offset1:1
	ds_write2_b64 v37, v[14:15], v[32:33] offset0:2 offset1:3
	ds_write2_b64 v37, v[18:19], v[34:35] offset0:4 offset1:5
	ds_write_b64 v37, v[22:23] offset:48
	s_waitcnt lgkmcnt(0)
	s_cbranch_vccz .LBB3316_65
; %bb.64:
	s_barrier
	s_mov_b64 s[0:1], 0
.LBB3316_65:
	s_andn2_b64 vcc, exec, s[0:1]
	s_cbranch_vccnz .LBB3316_90
; %bb.66:
	v_cmp_lt_u64_e64 s[0:1], s[10:11], 2
	s_and_b64 vcc, exec, s[0:1]
	s_barrier
	s_cbranch_vccnz .LBB3316_90
; %bb.67:
	s_add_u32 s0, s22, -1
	s_addc_u32 s1, s23, -1
	s_add_u32 s2, 0, 0x92481000
	s_addc_u32 s3, 0, 0x64
	s_add_i32 s3, s3, 0x249248c0
	s_mul_hi_u32 s9, s2, -7
	s_sub_i32 s9, s9, s2
	s_mul_i32 s10, s3, -7
	s_mul_i32 s4, s2, -7
	s_add_i32 s9, s9, s10
	s_mul_hi_u32 s5, s3, s4
	s_mul_i32 s8, s3, s4
	s_mul_i32 s11, s2, s9
	s_mul_hi_u32 s4, s2, s4
	s_mul_hi_u32 s10, s2, s9
	s_add_u32 s4, s4, s11
	s_addc_u32 s10, 0, s10
	s_add_u32 s4, s4, s8
	s_mul_hi_u32 s11, s3, s9
	s_addc_u32 s4, s10, s5
	s_addc_u32 s5, s11, 0
	s_mul_i32 s8, s3, s9
	s_add_u32 s4, s4, s8
	v_mov_b32_e32 v2, s4
	s_addc_u32 s5, 0, s5
	v_add_co_u32_e32 v2, vcc, s2, v2
	s_cmp_lg_u64 vcc, 0
	s_addc_u32 s2, s3, s5
	v_readfirstlane_b32 s5, v2
	s_mul_i32 s4, s0, s2
	s_mul_hi_u32 s8, s0, s5
	s_mul_hi_u32 s3, s0, s2
	s_add_u32 s4, s8, s4
	s_addc_u32 s3, 0, s3
	s_mul_hi_u32 s9, s1, s5
	s_mul_i32 s5, s1, s5
	s_add_u32 s4, s4, s5
	s_mul_hi_u32 s8, s1, s2
	s_addc_u32 s3, s3, s9
	s_addc_u32 s4, s8, 0
	s_mul_i32 s2, s1, s2
	s_add_u32 s2, s3, s2
	s_addc_u32 s3, 0, s4
	s_add_u32 s4, s2, 1
	s_addc_u32 s5, s3, 0
	s_add_u32 s8, s2, 2
	s_mul_i32 s10, s3, 7
	s_mul_hi_u32 s11, s2, 7
	s_addc_u32 s9, s3, 0
	s_add_i32 s11, s11, s10
	s_mul_i32 s10, s2, 7
	v_mov_b32_e32 v2, s10
	v_sub_co_u32_e32 v2, vcc, s0, v2
	s_cmp_lg_u64 vcc, 0
	s_subb_u32 s10, s1, s11
	v_subrev_co_u32_e32 v3, vcc, 7, v2
	s_cmp_lg_u64 vcc, 0
	s_subb_u32 s11, s10, 0
	v_readfirstlane_b32 s12, v3
	s_cmp_gt_u32 s12, 6
	s_cselect_b32 s12, -1, 0
	s_cmp_eq_u32 s11, 0
	s_cselect_b32 s11, s12, -1
	s_cmp_lg_u32 s11, 0
	s_cselect_b32 s4, s8, s4
	v_readfirstlane_b32 s8, v2
	s_cselect_b32 s5, s9, s5
	s_cmp_gt_u32 s8, 6
	s_cselect_b32 s8, -1, 0
	s_cmp_eq_u32 s10, 0
	s_cselect_b32 s8, s8, -1
	s_cmp_lg_u32 s8, 0
	v_mov_b32_e32 v1, 0
	s_cselect_b32 s3, s5, s3
	s_cselect_b32 s2, s4, s2
	v_cmp_eq_u64_e32 vcc, s[2:3], v[0:1]
	s_and_saveexec_b64 s[2:3], vcc
	s_cbranch_execz .LBB3316_90
; %bb.68:
	s_movk_i32 s2, 0xffd0
	v_mad_i32_i24 v2, v0, s2, v37
	v_mul_hi_u32_u24_e32 v1, 7, v0
	v_mov_b32_e32 v3, s1
	v_sub_co_u32_e32 v0, vcc, s0, v36
	v_subb_co_u32_e32 v1, vcc, v3, v1, vcc
	v_cmp_lt_i64_e32 vcc, 3, v[0:1]
	s_and_saveexec_b64 s[0:1], vcc
	s_xor_b64 s[0:1], exec, s[0:1]
	s_cbranch_execz .LBB3316_78
; %bb.69:
	v_cmp_lt_i64_e32 vcc, 4, v[0:1]
	s_and_saveexec_b64 s[2:3], vcc
	s_xor_b64 s[2:3], exec, s[2:3]
	s_cbranch_execz .LBB3316_75
; %bb.70:
	;; [unrolled: 5-line block ×3, first 2 shown]
	ds_read_b64 v[0:1], v2 offset:6144
	v_mov_b32_e32 v2, 0
	s_waitcnt lgkmcnt(0)
	global_store_dwordx2 v2, v[0:1], s[6:7]
                                        ; implicit-def: $vgpr2
.LBB3316_72:
	s_andn2_saveexec_b64 s[4:5], s[4:5]
	s_cbranch_execz .LBB3316_74
; %bb.73:
	ds_read_b64 v[0:1], v2 offset:5120
	v_mov_b32_e32 v2, 0
	s_waitcnt lgkmcnt(0)
	global_store_dwordx2 v2, v[0:1], s[6:7]
.LBB3316_74:
	s_or_b64 exec, exec, s[4:5]
                                        ; implicit-def: $vgpr2
.LBB3316_75:
	s_andn2_saveexec_b64 s[2:3], s[2:3]
	s_cbranch_execz .LBB3316_77
; %bb.76:
	ds_read_b64 v[0:1], v2 offset:4096
	v_mov_b32_e32 v2, 0
	s_waitcnt lgkmcnt(0)
	global_store_dwordx2 v2, v[0:1], s[6:7]
.LBB3316_77:
	s_or_b64 exec, exec, s[2:3]
                                        ; implicit-def: $vgpr0_vgpr1
                                        ; implicit-def: $vgpr2
.LBB3316_78:
	s_andn2_saveexec_b64 s[0:1], s[0:1]
	s_cbranch_execz .LBB3316_90
; %bb.79:
	v_cmp_lt_i64_e32 vcc, 1, v[0:1]
	s_and_saveexec_b64 s[0:1], vcc
	s_xor_b64 s[0:1], exec, s[0:1]
	s_cbranch_execz .LBB3316_85
; %bb.80:
	v_cmp_lt_i64_e32 vcc, 2, v[0:1]
	s_and_saveexec_b64 s[2:3], vcc
	s_xor_b64 s[2:3], exec, s[2:3]
	s_cbranch_execz .LBB3316_82
; %bb.81:
	ds_read_b64 v[0:1], v2 offset:3072
	v_mov_b32_e32 v2, 0
	s_waitcnt lgkmcnt(0)
	global_store_dwordx2 v2, v[0:1], s[6:7]
                                        ; implicit-def: $vgpr2
.LBB3316_82:
	s_andn2_saveexec_b64 s[2:3], s[2:3]
	s_cbranch_execz .LBB3316_84
; %bb.83:
	ds_read_b64 v[0:1], v2 offset:2048
	v_mov_b32_e32 v2, 0
	s_waitcnt lgkmcnt(0)
	global_store_dwordx2 v2, v[0:1], s[6:7]
.LBB3316_84:
	s_or_b64 exec, exec, s[2:3]
                                        ; implicit-def: $vgpr2
                                        ; implicit-def: $vgpr0_vgpr1
.LBB3316_85:
	s_andn2_saveexec_b64 s[0:1], s[0:1]
	s_cbranch_execz .LBB3316_90
; %bb.86:
	v_cmp_ne_u64_e32 vcc, 1, v[0:1]
	s_and_saveexec_b64 s[0:1], vcc
	s_xor_b64 s[0:1], exec, s[0:1]
	s_cbranch_execz .LBB3316_88
; %bb.87:
	ds_read_b64 v[0:1], v2
	v_mov_b32_e32 v2, 0
	s_waitcnt lgkmcnt(0)
	global_store_dwordx2 v2, v[0:1], s[6:7]
                                        ; implicit-def: $vgpr2
.LBB3316_88:
	s_andn2_saveexec_b64 s[0:1], s[0:1]
	s_cbranch_execz .LBB3316_90
; %bb.89:
	ds_read_b64 v[0:1], v2 offset:1024
	v_mov_b32_e32 v2, 0
	s_waitcnt lgkmcnt(0)
	global_store_dwordx2 v2, v[0:1], s[6:7]
.LBB3316_90:
	s_endpgm
	.section	.rodata,"a",@progbits
	.p2align	6, 0x0
	.amdhsa_kernel _ZN7rocprim17ROCPRIM_400000_NS6detail17trampoline_kernelINS0_14default_configENS1_20scan_config_selectorIyEEZZNS1_9scan_implILNS1_25lookback_scan_determinismE0ELb0ELb0ES3_N6thrust23THRUST_200600_302600_NS6detail15normal_iteratorINS9_10device_ptrIyEEEENS9_16discard_iteratorINS9_11use_defaultEEEy11max_functorIyEyEEDaPvRmT3_T4_T5_mT6_P12ihipStream_tbENKUlT_T0_E_clISt17integral_constantIbLb1EESW_IbLb0EEEEDaSS_ST_EUlSS_E_NS1_11comp_targetILNS1_3genE4ELNS1_11target_archE910ELNS1_3gpuE8ELNS1_3repE0EEENS1_30default_config_static_selectorELNS0_4arch9wavefront6targetE1EEEvT1_
		.amdhsa_group_segment_fixed_size 7168
		.amdhsa_private_segment_fixed_size 0
		.amdhsa_kernarg_size 112
		.amdhsa_user_sgpr_count 6
		.amdhsa_user_sgpr_private_segment_buffer 1
		.amdhsa_user_sgpr_dispatch_ptr 0
		.amdhsa_user_sgpr_queue_ptr 0
		.amdhsa_user_sgpr_kernarg_segment_ptr 1
		.amdhsa_user_sgpr_dispatch_id 0
		.amdhsa_user_sgpr_flat_scratch_init 0
		.amdhsa_user_sgpr_kernarg_preload_length 0
		.amdhsa_user_sgpr_kernarg_preload_offset 0
		.amdhsa_user_sgpr_private_segment_size 0
		.amdhsa_uses_dynamic_stack 0
		.amdhsa_system_sgpr_private_segment_wavefront_offset 0
		.amdhsa_system_sgpr_workgroup_id_x 1
		.amdhsa_system_sgpr_workgroup_id_y 0
		.amdhsa_system_sgpr_workgroup_id_z 0
		.amdhsa_system_sgpr_workgroup_info 0
		.amdhsa_system_vgpr_workitem_id 0
		.amdhsa_next_free_vgpr 57
		.amdhsa_next_free_sgpr 24
		.amdhsa_accum_offset 60
		.amdhsa_reserve_vcc 1
		.amdhsa_reserve_flat_scratch 0
		.amdhsa_float_round_mode_32 0
		.amdhsa_float_round_mode_16_64 0
		.amdhsa_float_denorm_mode_32 3
		.amdhsa_float_denorm_mode_16_64 3
		.amdhsa_dx10_clamp 1
		.amdhsa_ieee_mode 1
		.amdhsa_fp16_overflow 0
		.amdhsa_tg_split 0
		.amdhsa_exception_fp_ieee_invalid_op 0
		.amdhsa_exception_fp_denorm_src 0
		.amdhsa_exception_fp_ieee_div_zero 0
		.amdhsa_exception_fp_ieee_overflow 0
		.amdhsa_exception_fp_ieee_underflow 0
		.amdhsa_exception_fp_ieee_inexact 0
		.amdhsa_exception_int_div_zero 0
	.end_amdhsa_kernel
	.section	.text._ZN7rocprim17ROCPRIM_400000_NS6detail17trampoline_kernelINS0_14default_configENS1_20scan_config_selectorIyEEZZNS1_9scan_implILNS1_25lookback_scan_determinismE0ELb0ELb0ES3_N6thrust23THRUST_200600_302600_NS6detail15normal_iteratorINS9_10device_ptrIyEEEENS9_16discard_iteratorINS9_11use_defaultEEEy11max_functorIyEyEEDaPvRmT3_T4_T5_mT6_P12ihipStream_tbENKUlT_T0_E_clISt17integral_constantIbLb1EESW_IbLb0EEEEDaSS_ST_EUlSS_E_NS1_11comp_targetILNS1_3genE4ELNS1_11target_archE910ELNS1_3gpuE8ELNS1_3repE0EEENS1_30default_config_static_selectorELNS0_4arch9wavefront6targetE1EEEvT1_,"axG",@progbits,_ZN7rocprim17ROCPRIM_400000_NS6detail17trampoline_kernelINS0_14default_configENS1_20scan_config_selectorIyEEZZNS1_9scan_implILNS1_25lookback_scan_determinismE0ELb0ELb0ES3_N6thrust23THRUST_200600_302600_NS6detail15normal_iteratorINS9_10device_ptrIyEEEENS9_16discard_iteratorINS9_11use_defaultEEEy11max_functorIyEyEEDaPvRmT3_T4_T5_mT6_P12ihipStream_tbENKUlT_T0_E_clISt17integral_constantIbLb1EESW_IbLb0EEEEDaSS_ST_EUlSS_E_NS1_11comp_targetILNS1_3genE4ELNS1_11target_archE910ELNS1_3gpuE8ELNS1_3repE0EEENS1_30default_config_static_selectorELNS0_4arch9wavefront6targetE1EEEvT1_,comdat
.Lfunc_end3316:
	.size	_ZN7rocprim17ROCPRIM_400000_NS6detail17trampoline_kernelINS0_14default_configENS1_20scan_config_selectorIyEEZZNS1_9scan_implILNS1_25lookback_scan_determinismE0ELb0ELb0ES3_N6thrust23THRUST_200600_302600_NS6detail15normal_iteratorINS9_10device_ptrIyEEEENS9_16discard_iteratorINS9_11use_defaultEEEy11max_functorIyEyEEDaPvRmT3_T4_T5_mT6_P12ihipStream_tbENKUlT_T0_E_clISt17integral_constantIbLb1EESW_IbLb0EEEEDaSS_ST_EUlSS_E_NS1_11comp_targetILNS1_3genE4ELNS1_11target_archE910ELNS1_3gpuE8ELNS1_3repE0EEENS1_30default_config_static_selectorELNS0_4arch9wavefront6targetE1EEEvT1_, .Lfunc_end3316-_ZN7rocprim17ROCPRIM_400000_NS6detail17trampoline_kernelINS0_14default_configENS1_20scan_config_selectorIyEEZZNS1_9scan_implILNS1_25lookback_scan_determinismE0ELb0ELb0ES3_N6thrust23THRUST_200600_302600_NS6detail15normal_iteratorINS9_10device_ptrIyEEEENS9_16discard_iteratorINS9_11use_defaultEEEy11max_functorIyEyEEDaPvRmT3_T4_T5_mT6_P12ihipStream_tbENKUlT_T0_E_clISt17integral_constantIbLb1EESW_IbLb0EEEEDaSS_ST_EUlSS_E_NS1_11comp_targetILNS1_3genE4ELNS1_11target_archE910ELNS1_3gpuE8ELNS1_3repE0EEENS1_30default_config_static_selectorELNS0_4arch9wavefront6targetE1EEEvT1_
                                        ; -- End function
	.section	.AMDGPU.csdata,"",@progbits
; Kernel info:
; codeLenInByte = 5664
; NumSgprs: 28
; NumVgprs: 57
; NumAgprs: 0
; TotalNumVgprs: 57
; ScratchSize: 0
; MemoryBound: 0
; FloatMode: 240
; IeeeMode: 1
; LDSByteSize: 7168 bytes/workgroup (compile time only)
; SGPRBlocks: 3
; VGPRBlocks: 7
; NumSGPRsForWavesPerEU: 28
; NumVGPRsForWavesPerEU: 57
; AccumOffset: 60
; Occupancy: 5
; WaveLimiterHint : 1
; COMPUTE_PGM_RSRC2:SCRATCH_EN: 0
; COMPUTE_PGM_RSRC2:USER_SGPR: 6
; COMPUTE_PGM_RSRC2:TRAP_HANDLER: 0
; COMPUTE_PGM_RSRC2:TGID_X_EN: 1
; COMPUTE_PGM_RSRC2:TGID_Y_EN: 0
; COMPUTE_PGM_RSRC2:TGID_Z_EN: 0
; COMPUTE_PGM_RSRC2:TIDIG_COMP_CNT: 0
; COMPUTE_PGM_RSRC3_GFX90A:ACCUM_OFFSET: 14
; COMPUTE_PGM_RSRC3_GFX90A:TG_SPLIT: 0
	.section	.text._ZN7rocprim17ROCPRIM_400000_NS6detail17trampoline_kernelINS0_14default_configENS1_20scan_config_selectorIyEEZZNS1_9scan_implILNS1_25lookback_scan_determinismE0ELb0ELb0ES3_N6thrust23THRUST_200600_302600_NS6detail15normal_iteratorINS9_10device_ptrIyEEEENS9_16discard_iteratorINS9_11use_defaultEEEy11max_functorIyEyEEDaPvRmT3_T4_T5_mT6_P12ihipStream_tbENKUlT_T0_E_clISt17integral_constantIbLb1EESW_IbLb0EEEEDaSS_ST_EUlSS_E_NS1_11comp_targetILNS1_3genE3ELNS1_11target_archE908ELNS1_3gpuE7ELNS1_3repE0EEENS1_30default_config_static_selectorELNS0_4arch9wavefront6targetE1EEEvT1_,"axG",@progbits,_ZN7rocprim17ROCPRIM_400000_NS6detail17trampoline_kernelINS0_14default_configENS1_20scan_config_selectorIyEEZZNS1_9scan_implILNS1_25lookback_scan_determinismE0ELb0ELb0ES3_N6thrust23THRUST_200600_302600_NS6detail15normal_iteratorINS9_10device_ptrIyEEEENS9_16discard_iteratorINS9_11use_defaultEEEy11max_functorIyEyEEDaPvRmT3_T4_T5_mT6_P12ihipStream_tbENKUlT_T0_E_clISt17integral_constantIbLb1EESW_IbLb0EEEEDaSS_ST_EUlSS_E_NS1_11comp_targetILNS1_3genE3ELNS1_11target_archE908ELNS1_3gpuE7ELNS1_3repE0EEENS1_30default_config_static_selectorELNS0_4arch9wavefront6targetE1EEEvT1_,comdat
	.protected	_ZN7rocprim17ROCPRIM_400000_NS6detail17trampoline_kernelINS0_14default_configENS1_20scan_config_selectorIyEEZZNS1_9scan_implILNS1_25lookback_scan_determinismE0ELb0ELb0ES3_N6thrust23THRUST_200600_302600_NS6detail15normal_iteratorINS9_10device_ptrIyEEEENS9_16discard_iteratorINS9_11use_defaultEEEy11max_functorIyEyEEDaPvRmT3_T4_T5_mT6_P12ihipStream_tbENKUlT_T0_E_clISt17integral_constantIbLb1EESW_IbLb0EEEEDaSS_ST_EUlSS_E_NS1_11comp_targetILNS1_3genE3ELNS1_11target_archE908ELNS1_3gpuE7ELNS1_3repE0EEENS1_30default_config_static_selectorELNS0_4arch9wavefront6targetE1EEEvT1_ ; -- Begin function _ZN7rocprim17ROCPRIM_400000_NS6detail17trampoline_kernelINS0_14default_configENS1_20scan_config_selectorIyEEZZNS1_9scan_implILNS1_25lookback_scan_determinismE0ELb0ELb0ES3_N6thrust23THRUST_200600_302600_NS6detail15normal_iteratorINS9_10device_ptrIyEEEENS9_16discard_iteratorINS9_11use_defaultEEEy11max_functorIyEyEEDaPvRmT3_T4_T5_mT6_P12ihipStream_tbENKUlT_T0_E_clISt17integral_constantIbLb1EESW_IbLb0EEEEDaSS_ST_EUlSS_E_NS1_11comp_targetILNS1_3genE3ELNS1_11target_archE908ELNS1_3gpuE7ELNS1_3repE0EEENS1_30default_config_static_selectorELNS0_4arch9wavefront6targetE1EEEvT1_
	.globl	_ZN7rocprim17ROCPRIM_400000_NS6detail17trampoline_kernelINS0_14default_configENS1_20scan_config_selectorIyEEZZNS1_9scan_implILNS1_25lookback_scan_determinismE0ELb0ELb0ES3_N6thrust23THRUST_200600_302600_NS6detail15normal_iteratorINS9_10device_ptrIyEEEENS9_16discard_iteratorINS9_11use_defaultEEEy11max_functorIyEyEEDaPvRmT3_T4_T5_mT6_P12ihipStream_tbENKUlT_T0_E_clISt17integral_constantIbLb1EESW_IbLb0EEEEDaSS_ST_EUlSS_E_NS1_11comp_targetILNS1_3genE3ELNS1_11target_archE908ELNS1_3gpuE7ELNS1_3repE0EEENS1_30default_config_static_selectorELNS0_4arch9wavefront6targetE1EEEvT1_
	.p2align	8
	.type	_ZN7rocprim17ROCPRIM_400000_NS6detail17trampoline_kernelINS0_14default_configENS1_20scan_config_selectorIyEEZZNS1_9scan_implILNS1_25lookback_scan_determinismE0ELb0ELb0ES3_N6thrust23THRUST_200600_302600_NS6detail15normal_iteratorINS9_10device_ptrIyEEEENS9_16discard_iteratorINS9_11use_defaultEEEy11max_functorIyEyEEDaPvRmT3_T4_T5_mT6_P12ihipStream_tbENKUlT_T0_E_clISt17integral_constantIbLb1EESW_IbLb0EEEEDaSS_ST_EUlSS_E_NS1_11comp_targetILNS1_3genE3ELNS1_11target_archE908ELNS1_3gpuE7ELNS1_3repE0EEENS1_30default_config_static_selectorELNS0_4arch9wavefront6targetE1EEEvT1_,@function
_ZN7rocprim17ROCPRIM_400000_NS6detail17trampoline_kernelINS0_14default_configENS1_20scan_config_selectorIyEEZZNS1_9scan_implILNS1_25lookback_scan_determinismE0ELb0ELb0ES3_N6thrust23THRUST_200600_302600_NS6detail15normal_iteratorINS9_10device_ptrIyEEEENS9_16discard_iteratorINS9_11use_defaultEEEy11max_functorIyEyEEDaPvRmT3_T4_T5_mT6_P12ihipStream_tbENKUlT_T0_E_clISt17integral_constantIbLb1EESW_IbLb0EEEEDaSS_ST_EUlSS_E_NS1_11comp_targetILNS1_3genE3ELNS1_11target_archE908ELNS1_3gpuE7ELNS1_3repE0EEENS1_30default_config_static_selectorELNS0_4arch9wavefront6targetE1EEEvT1_: ; @_ZN7rocprim17ROCPRIM_400000_NS6detail17trampoline_kernelINS0_14default_configENS1_20scan_config_selectorIyEEZZNS1_9scan_implILNS1_25lookback_scan_determinismE0ELb0ELb0ES3_N6thrust23THRUST_200600_302600_NS6detail15normal_iteratorINS9_10device_ptrIyEEEENS9_16discard_iteratorINS9_11use_defaultEEEy11max_functorIyEyEEDaPvRmT3_T4_T5_mT6_P12ihipStream_tbENKUlT_T0_E_clISt17integral_constantIbLb1EESW_IbLb0EEEEDaSS_ST_EUlSS_E_NS1_11comp_targetILNS1_3genE3ELNS1_11target_archE908ELNS1_3gpuE7ELNS1_3repE0EEENS1_30default_config_static_selectorELNS0_4arch9wavefront6targetE1EEEvT1_
; %bb.0:
	.section	.rodata,"a",@progbits
	.p2align	6, 0x0
	.amdhsa_kernel _ZN7rocprim17ROCPRIM_400000_NS6detail17trampoline_kernelINS0_14default_configENS1_20scan_config_selectorIyEEZZNS1_9scan_implILNS1_25lookback_scan_determinismE0ELb0ELb0ES3_N6thrust23THRUST_200600_302600_NS6detail15normal_iteratorINS9_10device_ptrIyEEEENS9_16discard_iteratorINS9_11use_defaultEEEy11max_functorIyEyEEDaPvRmT3_T4_T5_mT6_P12ihipStream_tbENKUlT_T0_E_clISt17integral_constantIbLb1EESW_IbLb0EEEEDaSS_ST_EUlSS_E_NS1_11comp_targetILNS1_3genE3ELNS1_11target_archE908ELNS1_3gpuE7ELNS1_3repE0EEENS1_30default_config_static_selectorELNS0_4arch9wavefront6targetE1EEEvT1_
		.amdhsa_group_segment_fixed_size 0
		.amdhsa_private_segment_fixed_size 0
		.amdhsa_kernarg_size 112
		.amdhsa_user_sgpr_count 6
		.amdhsa_user_sgpr_private_segment_buffer 1
		.amdhsa_user_sgpr_dispatch_ptr 0
		.amdhsa_user_sgpr_queue_ptr 0
		.amdhsa_user_sgpr_kernarg_segment_ptr 1
		.amdhsa_user_sgpr_dispatch_id 0
		.amdhsa_user_sgpr_flat_scratch_init 0
		.amdhsa_user_sgpr_kernarg_preload_length 0
		.amdhsa_user_sgpr_kernarg_preload_offset 0
		.amdhsa_user_sgpr_private_segment_size 0
		.amdhsa_uses_dynamic_stack 0
		.amdhsa_system_sgpr_private_segment_wavefront_offset 0
		.amdhsa_system_sgpr_workgroup_id_x 1
		.amdhsa_system_sgpr_workgroup_id_y 0
		.amdhsa_system_sgpr_workgroup_id_z 0
		.amdhsa_system_sgpr_workgroup_info 0
		.amdhsa_system_vgpr_workitem_id 0
		.amdhsa_next_free_vgpr 1
		.amdhsa_next_free_sgpr 0
		.amdhsa_accum_offset 4
		.amdhsa_reserve_vcc 0
		.amdhsa_reserve_flat_scratch 0
		.amdhsa_float_round_mode_32 0
		.amdhsa_float_round_mode_16_64 0
		.amdhsa_float_denorm_mode_32 3
		.amdhsa_float_denorm_mode_16_64 3
		.amdhsa_dx10_clamp 1
		.amdhsa_ieee_mode 1
		.amdhsa_fp16_overflow 0
		.amdhsa_tg_split 0
		.amdhsa_exception_fp_ieee_invalid_op 0
		.amdhsa_exception_fp_denorm_src 0
		.amdhsa_exception_fp_ieee_div_zero 0
		.amdhsa_exception_fp_ieee_overflow 0
		.amdhsa_exception_fp_ieee_underflow 0
		.amdhsa_exception_fp_ieee_inexact 0
		.amdhsa_exception_int_div_zero 0
	.end_amdhsa_kernel
	.section	.text._ZN7rocprim17ROCPRIM_400000_NS6detail17trampoline_kernelINS0_14default_configENS1_20scan_config_selectorIyEEZZNS1_9scan_implILNS1_25lookback_scan_determinismE0ELb0ELb0ES3_N6thrust23THRUST_200600_302600_NS6detail15normal_iteratorINS9_10device_ptrIyEEEENS9_16discard_iteratorINS9_11use_defaultEEEy11max_functorIyEyEEDaPvRmT3_T4_T5_mT6_P12ihipStream_tbENKUlT_T0_E_clISt17integral_constantIbLb1EESW_IbLb0EEEEDaSS_ST_EUlSS_E_NS1_11comp_targetILNS1_3genE3ELNS1_11target_archE908ELNS1_3gpuE7ELNS1_3repE0EEENS1_30default_config_static_selectorELNS0_4arch9wavefront6targetE1EEEvT1_,"axG",@progbits,_ZN7rocprim17ROCPRIM_400000_NS6detail17trampoline_kernelINS0_14default_configENS1_20scan_config_selectorIyEEZZNS1_9scan_implILNS1_25lookback_scan_determinismE0ELb0ELb0ES3_N6thrust23THRUST_200600_302600_NS6detail15normal_iteratorINS9_10device_ptrIyEEEENS9_16discard_iteratorINS9_11use_defaultEEEy11max_functorIyEyEEDaPvRmT3_T4_T5_mT6_P12ihipStream_tbENKUlT_T0_E_clISt17integral_constantIbLb1EESW_IbLb0EEEEDaSS_ST_EUlSS_E_NS1_11comp_targetILNS1_3genE3ELNS1_11target_archE908ELNS1_3gpuE7ELNS1_3repE0EEENS1_30default_config_static_selectorELNS0_4arch9wavefront6targetE1EEEvT1_,comdat
.Lfunc_end3317:
	.size	_ZN7rocprim17ROCPRIM_400000_NS6detail17trampoline_kernelINS0_14default_configENS1_20scan_config_selectorIyEEZZNS1_9scan_implILNS1_25lookback_scan_determinismE0ELb0ELb0ES3_N6thrust23THRUST_200600_302600_NS6detail15normal_iteratorINS9_10device_ptrIyEEEENS9_16discard_iteratorINS9_11use_defaultEEEy11max_functorIyEyEEDaPvRmT3_T4_T5_mT6_P12ihipStream_tbENKUlT_T0_E_clISt17integral_constantIbLb1EESW_IbLb0EEEEDaSS_ST_EUlSS_E_NS1_11comp_targetILNS1_3genE3ELNS1_11target_archE908ELNS1_3gpuE7ELNS1_3repE0EEENS1_30default_config_static_selectorELNS0_4arch9wavefront6targetE1EEEvT1_, .Lfunc_end3317-_ZN7rocprim17ROCPRIM_400000_NS6detail17trampoline_kernelINS0_14default_configENS1_20scan_config_selectorIyEEZZNS1_9scan_implILNS1_25lookback_scan_determinismE0ELb0ELb0ES3_N6thrust23THRUST_200600_302600_NS6detail15normal_iteratorINS9_10device_ptrIyEEEENS9_16discard_iteratorINS9_11use_defaultEEEy11max_functorIyEyEEDaPvRmT3_T4_T5_mT6_P12ihipStream_tbENKUlT_T0_E_clISt17integral_constantIbLb1EESW_IbLb0EEEEDaSS_ST_EUlSS_E_NS1_11comp_targetILNS1_3genE3ELNS1_11target_archE908ELNS1_3gpuE7ELNS1_3repE0EEENS1_30default_config_static_selectorELNS0_4arch9wavefront6targetE1EEEvT1_
                                        ; -- End function
	.section	.AMDGPU.csdata,"",@progbits
; Kernel info:
; codeLenInByte = 0
; NumSgprs: 4
; NumVgprs: 0
; NumAgprs: 0
; TotalNumVgprs: 0
; ScratchSize: 0
; MemoryBound: 0
; FloatMode: 240
; IeeeMode: 1
; LDSByteSize: 0 bytes/workgroup (compile time only)
; SGPRBlocks: 0
; VGPRBlocks: 0
; NumSGPRsForWavesPerEU: 4
; NumVGPRsForWavesPerEU: 1
; AccumOffset: 4
; Occupancy: 8
; WaveLimiterHint : 0
; COMPUTE_PGM_RSRC2:SCRATCH_EN: 0
; COMPUTE_PGM_RSRC2:USER_SGPR: 6
; COMPUTE_PGM_RSRC2:TRAP_HANDLER: 0
; COMPUTE_PGM_RSRC2:TGID_X_EN: 1
; COMPUTE_PGM_RSRC2:TGID_Y_EN: 0
; COMPUTE_PGM_RSRC2:TGID_Z_EN: 0
; COMPUTE_PGM_RSRC2:TIDIG_COMP_CNT: 0
; COMPUTE_PGM_RSRC3_GFX90A:ACCUM_OFFSET: 0
; COMPUTE_PGM_RSRC3_GFX90A:TG_SPLIT: 0
	.section	.text._ZN7rocprim17ROCPRIM_400000_NS6detail17trampoline_kernelINS0_14default_configENS1_20scan_config_selectorIyEEZZNS1_9scan_implILNS1_25lookback_scan_determinismE0ELb0ELb0ES3_N6thrust23THRUST_200600_302600_NS6detail15normal_iteratorINS9_10device_ptrIyEEEENS9_16discard_iteratorINS9_11use_defaultEEEy11max_functorIyEyEEDaPvRmT3_T4_T5_mT6_P12ihipStream_tbENKUlT_T0_E_clISt17integral_constantIbLb1EESW_IbLb0EEEEDaSS_ST_EUlSS_E_NS1_11comp_targetILNS1_3genE2ELNS1_11target_archE906ELNS1_3gpuE6ELNS1_3repE0EEENS1_30default_config_static_selectorELNS0_4arch9wavefront6targetE1EEEvT1_,"axG",@progbits,_ZN7rocprim17ROCPRIM_400000_NS6detail17trampoline_kernelINS0_14default_configENS1_20scan_config_selectorIyEEZZNS1_9scan_implILNS1_25lookback_scan_determinismE0ELb0ELb0ES3_N6thrust23THRUST_200600_302600_NS6detail15normal_iteratorINS9_10device_ptrIyEEEENS9_16discard_iteratorINS9_11use_defaultEEEy11max_functorIyEyEEDaPvRmT3_T4_T5_mT6_P12ihipStream_tbENKUlT_T0_E_clISt17integral_constantIbLb1EESW_IbLb0EEEEDaSS_ST_EUlSS_E_NS1_11comp_targetILNS1_3genE2ELNS1_11target_archE906ELNS1_3gpuE6ELNS1_3repE0EEENS1_30default_config_static_selectorELNS0_4arch9wavefront6targetE1EEEvT1_,comdat
	.protected	_ZN7rocprim17ROCPRIM_400000_NS6detail17trampoline_kernelINS0_14default_configENS1_20scan_config_selectorIyEEZZNS1_9scan_implILNS1_25lookback_scan_determinismE0ELb0ELb0ES3_N6thrust23THRUST_200600_302600_NS6detail15normal_iteratorINS9_10device_ptrIyEEEENS9_16discard_iteratorINS9_11use_defaultEEEy11max_functorIyEyEEDaPvRmT3_T4_T5_mT6_P12ihipStream_tbENKUlT_T0_E_clISt17integral_constantIbLb1EESW_IbLb0EEEEDaSS_ST_EUlSS_E_NS1_11comp_targetILNS1_3genE2ELNS1_11target_archE906ELNS1_3gpuE6ELNS1_3repE0EEENS1_30default_config_static_selectorELNS0_4arch9wavefront6targetE1EEEvT1_ ; -- Begin function _ZN7rocprim17ROCPRIM_400000_NS6detail17trampoline_kernelINS0_14default_configENS1_20scan_config_selectorIyEEZZNS1_9scan_implILNS1_25lookback_scan_determinismE0ELb0ELb0ES3_N6thrust23THRUST_200600_302600_NS6detail15normal_iteratorINS9_10device_ptrIyEEEENS9_16discard_iteratorINS9_11use_defaultEEEy11max_functorIyEyEEDaPvRmT3_T4_T5_mT6_P12ihipStream_tbENKUlT_T0_E_clISt17integral_constantIbLb1EESW_IbLb0EEEEDaSS_ST_EUlSS_E_NS1_11comp_targetILNS1_3genE2ELNS1_11target_archE906ELNS1_3gpuE6ELNS1_3repE0EEENS1_30default_config_static_selectorELNS0_4arch9wavefront6targetE1EEEvT1_
	.globl	_ZN7rocprim17ROCPRIM_400000_NS6detail17trampoline_kernelINS0_14default_configENS1_20scan_config_selectorIyEEZZNS1_9scan_implILNS1_25lookback_scan_determinismE0ELb0ELb0ES3_N6thrust23THRUST_200600_302600_NS6detail15normal_iteratorINS9_10device_ptrIyEEEENS9_16discard_iteratorINS9_11use_defaultEEEy11max_functorIyEyEEDaPvRmT3_T4_T5_mT6_P12ihipStream_tbENKUlT_T0_E_clISt17integral_constantIbLb1EESW_IbLb0EEEEDaSS_ST_EUlSS_E_NS1_11comp_targetILNS1_3genE2ELNS1_11target_archE906ELNS1_3gpuE6ELNS1_3repE0EEENS1_30default_config_static_selectorELNS0_4arch9wavefront6targetE1EEEvT1_
	.p2align	8
	.type	_ZN7rocprim17ROCPRIM_400000_NS6detail17trampoline_kernelINS0_14default_configENS1_20scan_config_selectorIyEEZZNS1_9scan_implILNS1_25lookback_scan_determinismE0ELb0ELb0ES3_N6thrust23THRUST_200600_302600_NS6detail15normal_iteratorINS9_10device_ptrIyEEEENS9_16discard_iteratorINS9_11use_defaultEEEy11max_functorIyEyEEDaPvRmT3_T4_T5_mT6_P12ihipStream_tbENKUlT_T0_E_clISt17integral_constantIbLb1EESW_IbLb0EEEEDaSS_ST_EUlSS_E_NS1_11comp_targetILNS1_3genE2ELNS1_11target_archE906ELNS1_3gpuE6ELNS1_3repE0EEENS1_30default_config_static_selectorELNS0_4arch9wavefront6targetE1EEEvT1_,@function
_ZN7rocprim17ROCPRIM_400000_NS6detail17trampoline_kernelINS0_14default_configENS1_20scan_config_selectorIyEEZZNS1_9scan_implILNS1_25lookback_scan_determinismE0ELb0ELb0ES3_N6thrust23THRUST_200600_302600_NS6detail15normal_iteratorINS9_10device_ptrIyEEEENS9_16discard_iteratorINS9_11use_defaultEEEy11max_functorIyEyEEDaPvRmT3_T4_T5_mT6_P12ihipStream_tbENKUlT_T0_E_clISt17integral_constantIbLb1EESW_IbLb0EEEEDaSS_ST_EUlSS_E_NS1_11comp_targetILNS1_3genE2ELNS1_11target_archE906ELNS1_3gpuE6ELNS1_3repE0EEENS1_30default_config_static_selectorELNS0_4arch9wavefront6targetE1EEEvT1_: ; @_ZN7rocprim17ROCPRIM_400000_NS6detail17trampoline_kernelINS0_14default_configENS1_20scan_config_selectorIyEEZZNS1_9scan_implILNS1_25lookback_scan_determinismE0ELb0ELb0ES3_N6thrust23THRUST_200600_302600_NS6detail15normal_iteratorINS9_10device_ptrIyEEEENS9_16discard_iteratorINS9_11use_defaultEEEy11max_functorIyEyEEDaPvRmT3_T4_T5_mT6_P12ihipStream_tbENKUlT_T0_E_clISt17integral_constantIbLb1EESW_IbLb0EEEEDaSS_ST_EUlSS_E_NS1_11comp_targetILNS1_3genE2ELNS1_11target_archE906ELNS1_3gpuE6ELNS1_3repE0EEENS1_30default_config_static_selectorELNS0_4arch9wavefront6targetE1EEEvT1_
; %bb.0:
	.section	.rodata,"a",@progbits
	.p2align	6, 0x0
	.amdhsa_kernel _ZN7rocprim17ROCPRIM_400000_NS6detail17trampoline_kernelINS0_14default_configENS1_20scan_config_selectorIyEEZZNS1_9scan_implILNS1_25lookback_scan_determinismE0ELb0ELb0ES3_N6thrust23THRUST_200600_302600_NS6detail15normal_iteratorINS9_10device_ptrIyEEEENS9_16discard_iteratorINS9_11use_defaultEEEy11max_functorIyEyEEDaPvRmT3_T4_T5_mT6_P12ihipStream_tbENKUlT_T0_E_clISt17integral_constantIbLb1EESW_IbLb0EEEEDaSS_ST_EUlSS_E_NS1_11comp_targetILNS1_3genE2ELNS1_11target_archE906ELNS1_3gpuE6ELNS1_3repE0EEENS1_30default_config_static_selectorELNS0_4arch9wavefront6targetE1EEEvT1_
		.amdhsa_group_segment_fixed_size 0
		.amdhsa_private_segment_fixed_size 0
		.amdhsa_kernarg_size 112
		.amdhsa_user_sgpr_count 6
		.amdhsa_user_sgpr_private_segment_buffer 1
		.amdhsa_user_sgpr_dispatch_ptr 0
		.amdhsa_user_sgpr_queue_ptr 0
		.amdhsa_user_sgpr_kernarg_segment_ptr 1
		.amdhsa_user_sgpr_dispatch_id 0
		.amdhsa_user_sgpr_flat_scratch_init 0
		.amdhsa_user_sgpr_kernarg_preload_length 0
		.amdhsa_user_sgpr_kernarg_preload_offset 0
		.amdhsa_user_sgpr_private_segment_size 0
		.amdhsa_uses_dynamic_stack 0
		.amdhsa_system_sgpr_private_segment_wavefront_offset 0
		.amdhsa_system_sgpr_workgroup_id_x 1
		.amdhsa_system_sgpr_workgroup_id_y 0
		.amdhsa_system_sgpr_workgroup_id_z 0
		.amdhsa_system_sgpr_workgroup_info 0
		.amdhsa_system_vgpr_workitem_id 0
		.amdhsa_next_free_vgpr 1
		.amdhsa_next_free_sgpr 0
		.amdhsa_accum_offset 4
		.amdhsa_reserve_vcc 0
		.amdhsa_reserve_flat_scratch 0
		.amdhsa_float_round_mode_32 0
		.amdhsa_float_round_mode_16_64 0
		.amdhsa_float_denorm_mode_32 3
		.amdhsa_float_denorm_mode_16_64 3
		.amdhsa_dx10_clamp 1
		.amdhsa_ieee_mode 1
		.amdhsa_fp16_overflow 0
		.amdhsa_tg_split 0
		.amdhsa_exception_fp_ieee_invalid_op 0
		.amdhsa_exception_fp_denorm_src 0
		.amdhsa_exception_fp_ieee_div_zero 0
		.amdhsa_exception_fp_ieee_overflow 0
		.amdhsa_exception_fp_ieee_underflow 0
		.amdhsa_exception_fp_ieee_inexact 0
		.amdhsa_exception_int_div_zero 0
	.end_amdhsa_kernel
	.section	.text._ZN7rocprim17ROCPRIM_400000_NS6detail17trampoline_kernelINS0_14default_configENS1_20scan_config_selectorIyEEZZNS1_9scan_implILNS1_25lookback_scan_determinismE0ELb0ELb0ES3_N6thrust23THRUST_200600_302600_NS6detail15normal_iteratorINS9_10device_ptrIyEEEENS9_16discard_iteratorINS9_11use_defaultEEEy11max_functorIyEyEEDaPvRmT3_T4_T5_mT6_P12ihipStream_tbENKUlT_T0_E_clISt17integral_constantIbLb1EESW_IbLb0EEEEDaSS_ST_EUlSS_E_NS1_11comp_targetILNS1_3genE2ELNS1_11target_archE906ELNS1_3gpuE6ELNS1_3repE0EEENS1_30default_config_static_selectorELNS0_4arch9wavefront6targetE1EEEvT1_,"axG",@progbits,_ZN7rocprim17ROCPRIM_400000_NS6detail17trampoline_kernelINS0_14default_configENS1_20scan_config_selectorIyEEZZNS1_9scan_implILNS1_25lookback_scan_determinismE0ELb0ELb0ES3_N6thrust23THRUST_200600_302600_NS6detail15normal_iteratorINS9_10device_ptrIyEEEENS9_16discard_iteratorINS9_11use_defaultEEEy11max_functorIyEyEEDaPvRmT3_T4_T5_mT6_P12ihipStream_tbENKUlT_T0_E_clISt17integral_constantIbLb1EESW_IbLb0EEEEDaSS_ST_EUlSS_E_NS1_11comp_targetILNS1_3genE2ELNS1_11target_archE906ELNS1_3gpuE6ELNS1_3repE0EEENS1_30default_config_static_selectorELNS0_4arch9wavefront6targetE1EEEvT1_,comdat
.Lfunc_end3318:
	.size	_ZN7rocprim17ROCPRIM_400000_NS6detail17trampoline_kernelINS0_14default_configENS1_20scan_config_selectorIyEEZZNS1_9scan_implILNS1_25lookback_scan_determinismE0ELb0ELb0ES3_N6thrust23THRUST_200600_302600_NS6detail15normal_iteratorINS9_10device_ptrIyEEEENS9_16discard_iteratorINS9_11use_defaultEEEy11max_functorIyEyEEDaPvRmT3_T4_T5_mT6_P12ihipStream_tbENKUlT_T0_E_clISt17integral_constantIbLb1EESW_IbLb0EEEEDaSS_ST_EUlSS_E_NS1_11comp_targetILNS1_3genE2ELNS1_11target_archE906ELNS1_3gpuE6ELNS1_3repE0EEENS1_30default_config_static_selectorELNS0_4arch9wavefront6targetE1EEEvT1_, .Lfunc_end3318-_ZN7rocprim17ROCPRIM_400000_NS6detail17trampoline_kernelINS0_14default_configENS1_20scan_config_selectorIyEEZZNS1_9scan_implILNS1_25lookback_scan_determinismE0ELb0ELb0ES3_N6thrust23THRUST_200600_302600_NS6detail15normal_iteratorINS9_10device_ptrIyEEEENS9_16discard_iteratorINS9_11use_defaultEEEy11max_functorIyEyEEDaPvRmT3_T4_T5_mT6_P12ihipStream_tbENKUlT_T0_E_clISt17integral_constantIbLb1EESW_IbLb0EEEEDaSS_ST_EUlSS_E_NS1_11comp_targetILNS1_3genE2ELNS1_11target_archE906ELNS1_3gpuE6ELNS1_3repE0EEENS1_30default_config_static_selectorELNS0_4arch9wavefront6targetE1EEEvT1_
                                        ; -- End function
	.section	.AMDGPU.csdata,"",@progbits
; Kernel info:
; codeLenInByte = 0
; NumSgprs: 4
; NumVgprs: 0
; NumAgprs: 0
; TotalNumVgprs: 0
; ScratchSize: 0
; MemoryBound: 0
; FloatMode: 240
; IeeeMode: 1
; LDSByteSize: 0 bytes/workgroup (compile time only)
; SGPRBlocks: 0
; VGPRBlocks: 0
; NumSGPRsForWavesPerEU: 4
; NumVGPRsForWavesPerEU: 1
; AccumOffset: 4
; Occupancy: 8
; WaveLimiterHint : 0
; COMPUTE_PGM_RSRC2:SCRATCH_EN: 0
; COMPUTE_PGM_RSRC2:USER_SGPR: 6
; COMPUTE_PGM_RSRC2:TRAP_HANDLER: 0
; COMPUTE_PGM_RSRC2:TGID_X_EN: 1
; COMPUTE_PGM_RSRC2:TGID_Y_EN: 0
; COMPUTE_PGM_RSRC2:TGID_Z_EN: 0
; COMPUTE_PGM_RSRC2:TIDIG_COMP_CNT: 0
; COMPUTE_PGM_RSRC3_GFX90A:ACCUM_OFFSET: 0
; COMPUTE_PGM_RSRC3_GFX90A:TG_SPLIT: 0
	.section	.text._ZN7rocprim17ROCPRIM_400000_NS6detail17trampoline_kernelINS0_14default_configENS1_20scan_config_selectorIyEEZZNS1_9scan_implILNS1_25lookback_scan_determinismE0ELb0ELb0ES3_N6thrust23THRUST_200600_302600_NS6detail15normal_iteratorINS9_10device_ptrIyEEEENS9_16discard_iteratorINS9_11use_defaultEEEy11max_functorIyEyEEDaPvRmT3_T4_T5_mT6_P12ihipStream_tbENKUlT_T0_E_clISt17integral_constantIbLb1EESW_IbLb0EEEEDaSS_ST_EUlSS_E_NS1_11comp_targetILNS1_3genE10ELNS1_11target_archE1201ELNS1_3gpuE5ELNS1_3repE0EEENS1_30default_config_static_selectorELNS0_4arch9wavefront6targetE1EEEvT1_,"axG",@progbits,_ZN7rocprim17ROCPRIM_400000_NS6detail17trampoline_kernelINS0_14default_configENS1_20scan_config_selectorIyEEZZNS1_9scan_implILNS1_25lookback_scan_determinismE0ELb0ELb0ES3_N6thrust23THRUST_200600_302600_NS6detail15normal_iteratorINS9_10device_ptrIyEEEENS9_16discard_iteratorINS9_11use_defaultEEEy11max_functorIyEyEEDaPvRmT3_T4_T5_mT6_P12ihipStream_tbENKUlT_T0_E_clISt17integral_constantIbLb1EESW_IbLb0EEEEDaSS_ST_EUlSS_E_NS1_11comp_targetILNS1_3genE10ELNS1_11target_archE1201ELNS1_3gpuE5ELNS1_3repE0EEENS1_30default_config_static_selectorELNS0_4arch9wavefront6targetE1EEEvT1_,comdat
	.protected	_ZN7rocprim17ROCPRIM_400000_NS6detail17trampoline_kernelINS0_14default_configENS1_20scan_config_selectorIyEEZZNS1_9scan_implILNS1_25lookback_scan_determinismE0ELb0ELb0ES3_N6thrust23THRUST_200600_302600_NS6detail15normal_iteratorINS9_10device_ptrIyEEEENS9_16discard_iteratorINS9_11use_defaultEEEy11max_functorIyEyEEDaPvRmT3_T4_T5_mT6_P12ihipStream_tbENKUlT_T0_E_clISt17integral_constantIbLb1EESW_IbLb0EEEEDaSS_ST_EUlSS_E_NS1_11comp_targetILNS1_3genE10ELNS1_11target_archE1201ELNS1_3gpuE5ELNS1_3repE0EEENS1_30default_config_static_selectorELNS0_4arch9wavefront6targetE1EEEvT1_ ; -- Begin function _ZN7rocprim17ROCPRIM_400000_NS6detail17trampoline_kernelINS0_14default_configENS1_20scan_config_selectorIyEEZZNS1_9scan_implILNS1_25lookback_scan_determinismE0ELb0ELb0ES3_N6thrust23THRUST_200600_302600_NS6detail15normal_iteratorINS9_10device_ptrIyEEEENS9_16discard_iteratorINS9_11use_defaultEEEy11max_functorIyEyEEDaPvRmT3_T4_T5_mT6_P12ihipStream_tbENKUlT_T0_E_clISt17integral_constantIbLb1EESW_IbLb0EEEEDaSS_ST_EUlSS_E_NS1_11comp_targetILNS1_3genE10ELNS1_11target_archE1201ELNS1_3gpuE5ELNS1_3repE0EEENS1_30default_config_static_selectorELNS0_4arch9wavefront6targetE1EEEvT1_
	.globl	_ZN7rocprim17ROCPRIM_400000_NS6detail17trampoline_kernelINS0_14default_configENS1_20scan_config_selectorIyEEZZNS1_9scan_implILNS1_25lookback_scan_determinismE0ELb0ELb0ES3_N6thrust23THRUST_200600_302600_NS6detail15normal_iteratorINS9_10device_ptrIyEEEENS9_16discard_iteratorINS9_11use_defaultEEEy11max_functorIyEyEEDaPvRmT3_T4_T5_mT6_P12ihipStream_tbENKUlT_T0_E_clISt17integral_constantIbLb1EESW_IbLb0EEEEDaSS_ST_EUlSS_E_NS1_11comp_targetILNS1_3genE10ELNS1_11target_archE1201ELNS1_3gpuE5ELNS1_3repE0EEENS1_30default_config_static_selectorELNS0_4arch9wavefront6targetE1EEEvT1_
	.p2align	8
	.type	_ZN7rocprim17ROCPRIM_400000_NS6detail17trampoline_kernelINS0_14default_configENS1_20scan_config_selectorIyEEZZNS1_9scan_implILNS1_25lookback_scan_determinismE0ELb0ELb0ES3_N6thrust23THRUST_200600_302600_NS6detail15normal_iteratorINS9_10device_ptrIyEEEENS9_16discard_iteratorINS9_11use_defaultEEEy11max_functorIyEyEEDaPvRmT3_T4_T5_mT6_P12ihipStream_tbENKUlT_T0_E_clISt17integral_constantIbLb1EESW_IbLb0EEEEDaSS_ST_EUlSS_E_NS1_11comp_targetILNS1_3genE10ELNS1_11target_archE1201ELNS1_3gpuE5ELNS1_3repE0EEENS1_30default_config_static_selectorELNS0_4arch9wavefront6targetE1EEEvT1_,@function
_ZN7rocprim17ROCPRIM_400000_NS6detail17trampoline_kernelINS0_14default_configENS1_20scan_config_selectorIyEEZZNS1_9scan_implILNS1_25lookback_scan_determinismE0ELb0ELb0ES3_N6thrust23THRUST_200600_302600_NS6detail15normal_iteratorINS9_10device_ptrIyEEEENS9_16discard_iteratorINS9_11use_defaultEEEy11max_functorIyEyEEDaPvRmT3_T4_T5_mT6_P12ihipStream_tbENKUlT_T0_E_clISt17integral_constantIbLb1EESW_IbLb0EEEEDaSS_ST_EUlSS_E_NS1_11comp_targetILNS1_3genE10ELNS1_11target_archE1201ELNS1_3gpuE5ELNS1_3repE0EEENS1_30default_config_static_selectorELNS0_4arch9wavefront6targetE1EEEvT1_: ; @_ZN7rocprim17ROCPRIM_400000_NS6detail17trampoline_kernelINS0_14default_configENS1_20scan_config_selectorIyEEZZNS1_9scan_implILNS1_25lookback_scan_determinismE0ELb0ELb0ES3_N6thrust23THRUST_200600_302600_NS6detail15normal_iteratorINS9_10device_ptrIyEEEENS9_16discard_iteratorINS9_11use_defaultEEEy11max_functorIyEyEEDaPvRmT3_T4_T5_mT6_P12ihipStream_tbENKUlT_T0_E_clISt17integral_constantIbLb1EESW_IbLb0EEEEDaSS_ST_EUlSS_E_NS1_11comp_targetILNS1_3genE10ELNS1_11target_archE1201ELNS1_3gpuE5ELNS1_3repE0EEENS1_30default_config_static_selectorELNS0_4arch9wavefront6targetE1EEEvT1_
; %bb.0:
	.section	.rodata,"a",@progbits
	.p2align	6, 0x0
	.amdhsa_kernel _ZN7rocprim17ROCPRIM_400000_NS6detail17trampoline_kernelINS0_14default_configENS1_20scan_config_selectorIyEEZZNS1_9scan_implILNS1_25lookback_scan_determinismE0ELb0ELb0ES3_N6thrust23THRUST_200600_302600_NS6detail15normal_iteratorINS9_10device_ptrIyEEEENS9_16discard_iteratorINS9_11use_defaultEEEy11max_functorIyEyEEDaPvRmT3_T4_T5_mT6_P12ihipStream_tbENKUlT_T0_E_clISt17integral_constantIbLb1EESW_IbLb0EEEEDaSS_ST_EUlSS_E_NS1_11comp_targetILNS1_3genE10ELNS1_11target_archE1201ELNS1_3gpuE5ELNS1_3repE0EEENS1_30default_config_static_selectorELNS0_4arch9wavefront6targetE1EEEvT1_
		.amdhsa_group_segment_fixed_size 0
		.amdhsa_private_segment_fixed_size 0
		.amdhsa_kernarg_size 112
		.amdhsa_user_sgpr_count 6
		.amdhsa_user_sgpr_private_segment_buffer 1
		.amdhsa_user_sgpr_dispatch_ptr 0
		.amdhsa_user_sgpr_queue_ptr 0
		.amdhsa_user_sgpr_kernarg_segment_ptr 1
		.amdhsa_user_sgpr_dispatch_id 0
		.amdhsa_user_sgpr_flat_scratch_init 0
		.amdhsa_user_sgpr_kernarg_preload_length 0
		.amdhsa_user_sgpr_kernarg_preload_offset 0
		.amdhsa_user_sgpr_private_segment_size 0
		.amdhsa_uses_dynamic_stack 0
		.amdhsa_system_sgpr_private_segment_wavefront_offset 0
		.amdhsa_system_sgpr_workgroup_id_x 1
		.amdhsa_system_sgpr_workgroup_id_y 0
		.amdhsa_system_sgpr_workgroup_id_z 0
		.amdhsa_system_sgpr_workgroup_info 0
		.amdhsa_system_vgpr_workitem_id 0
		.amdhsa_next_free_vgpr 1
		.amdhsa_next_free_sgpr 0
		.amdhsa_accum_offset 4
		.amdhsa_reserve_vcc 0
		.amdhsa_reserve_flat_scratch 0
		.amdhsa_float_round_mode_32 0
		.amdhsa_float_round_mode_16_64 0
		.amdhsa_float_denorm_mode_32 3
		.amdhsa_float_denorm_mode_16_64 3
		.amdhsa_dx10_clamp 1
		.amdhsa_ieee_mode 1
		.amdhsa_fp16_overflow 0
		.amdhsa_tg_split 0
		.amdhsa_exception_fp_ieee_invalid_op 0
		.amdhsa_exception_fp_denorm_src 0
		.amdhsa_exception_fp_ieee_div_zero 0
		.amdhsa_exception_fp_ieee_overflow 0
		.amdhsa_exception_fp_ieee_underflow 0
		.amdhsa_exception_fp_ieee_inexact 0
		.amdhsa_exception_int_div_zero 0
	.end_amdhsa_kernel
	.section	.text._ZN7rocprim17ROCPRIM_400000_NS6detail17trampoline_kernelINS0_14default_configENS1_20scan_config_selectorIyEEZZNS1_9scan_implILNS1_25lookback_scan_determinismE0ELb0ELb0ES3_N6thrust23THRUST_200600_302600_NS6detail15normal_iteratorINS9_10device_ptrIyEEEENS9_16discard_iteratorINS9_11use_defaultEEEy11max_functorIyEyEEDaPvRmT3_T4_T5_mT6_P12ihipStream_tbENKUlT_T0_E_clISt17integral_constantIbLb1EESW_IbLb0EEEEDaSS_ST_EUlSS_E_NS1_11comp_targetILNS1_3genE10ELNS1_11target_archE1201ELNS1_3gpuE5ELNS1_3repE0EEENS1_30default_config_static_selectorELNS0_4arch9wavefront6targetE1EEEvT1_,"axG",@progbits,_ZN7rocprim17ROCPRIM_400000_NS6detail17trampoline_kernelINS0_14default_configENS1_20scan_config_selectorIyEEZZNS1_9scan_implILNS1_25lookback_scan_determinismE0ELb0ELb0ES3_N6thrust23THRUST_200600_302600_NS6detail15normal_iteratorINS9_10device_ptrIyEEEENS9_16discard_iteratorINS9_11use_defaultEEEy11max_functorIyEyEEDaPvRmT3_T4_T5_mT6_P12ihipStream_tbENKUlT_T0_E_clISt17integral_constantIbLb1EESW_IbLb0EEEEDaSS_ST_EUlSS_E_NS1_11comp_targetILNS1_3genE10ELNS1_11target_archE1201ELNS1_3gpuE5ELNS1_3repE0EEENS1_30default_config_static_selectorELNS0_4arch9wavefront6targetE1EEEvT1_,comdat
.Lfunc_end3319:
	.size	_ZN7rocprim17ROCPRIM_400000_NS6detail17trampoline_kernelINS0_14default_configENS1_20scan_config_selectorIyEEZZNS1_9scan_implILNS1_25lookback_scan_determinismE0ELb0ELb0ES3_N6thrust23THRUST_200600_302600_NS6detail15normal_iteratorINS9_10device_ptrIyEEEENS9_16discard_iteratorINS9_11use_defaultEEEy11max_functorIyEyEEDaPvRmT3_T4_T5_mT6_P12ihipStream_tbENKUlT_T0_E_clISt17integral_constantIbLb1EESW_IbLb0EEEEDaSS_ST_EUlSS_E_NS1_11comp_targetILNS1_3genE10ELNS1_11target_archE1201ELNS1_3gpuE5ELNS1_3repE0EEENS1_30default_config_static_selectorELNS0_4arch9wavefront6targetE1EEEvT1_, .Lfunc_end3319-_ZN7rocprim17ROCPRIM_400000_NS6detail17trampoline_kernelINS0_14default_configENS1_20scan_config_selectorIyEEZZNS1_9scan_implILNS1_25lookback_scan_determinismE0ELb0ELb0ES3_N6thrust23THRUST_200600_302600_NS6detail15normal_iteratorINS9_10device_ptrIyEEEENS9_16discard_iteratorINS9_11use_defaultEEEy11max_functorIyEyEEDaPvRmT3_T4_T5_mT6_P12ihipStream_tbENKUlT_T0_E_clISt17integral_constantIbLb1EESW_IbLb0EEEEDaSS_ST_EUlSS_E_NS1_11comp_targetILNS1_3genE10ELNS1_11target_archE1201ELNS1_3gpuE5ELNS1_3repE0EEENS1_30default_config_static_selectorELNS0_4arch9wavefront6targetE1EEEvT1_
                                        ; -- End function
	.section	.AMDGPU.csdata,"",@progbits
; Kernel info:
; codeLenInByte = 0
; NumSgprs: 4
; NumVgprs: 0
; NumAgprs: 0
; TotalNumVgprs: 0
; ScratchSize: 0
; MemoryBound: 0
; FloatMode: 240
; IeeeMode: 1
; LDSByteSize: 0 bytes/workgroup (compile time only)
; SGPRBlocks: 0
; VGPRBlocks: 0
; NumSGPRsForWavesPerEU: 4
; NumVGPRsForWavesPerEU: 1
; AccumOffset: 4
; Occupancy: 8
; WaveLimiterHint : 0
; COMPUTE_PGM_RSRC2:SCRATCH_EN: 0
; COMPUTE_PGM_RSRC2:USER_SGPR: 6
; COMPUTE_PGM_RSRC2:TRAP_HANDLER: 0
; COMPUTE_PGM_RSRC2:TGID_X_EN: 1
; COMPUTE_PGM_RSRC2:TGID_Y_EN: 0
; COMPUTE_PGM_RSRC2:TGID_Z_EN: 0
; COMPUTE_PGM_RSRC2:TIDIG_COMP_CNT: 0
; COMPUTE_PGM_RSRC3_GFX90A:ACCUM_OFFSET: 0
; COMPUTE_PGM_RSRC3_GFX90A:TG_SPLIT: 0
	.section	.text._ZN7rocprim17ROCPRIM_400000_NS6detail17trampoline_kernelINS0_14default_configENS1_20scan_config_selectorIyEEZZNS1_9scan_implILNS1_25lookback_scan_determinismE0ELb0ELb0ES3_N6thrust23THRUST_200600_302600_NS6detail15normal_iteratorINS9_10device_ptrIyEEEENS9_16discard_iteratorINS9_11use_defaultEEEy11max_functorIyEyEEDaPvRmT3_T4_T5_mT6_P12ihipStream_tbENKUlT_T0_E_clISt17integral_constantIbLb1EESW_IbLb0EEEEDaSS_ST_EUlSS_E_NS1_11comp_targetILNS1_3genE10ELNS1_11target_archE1200ELNS1_3gpuE4ELNS1_3repE0EEENS1_30default_config_static_selectorELNS0_4arch9wavefront6targetE1EEEvT1_,"axG",@progbits,_ZN7rocprim17ROCPRIM_400000_NS6detail17trampoline_kernelINS0_14default_configENS1_20scan_config_selectorIyEEZZNS1_9scan_implILNS1_25lookback_scan_determinismE0ELb0ELb0ES3_N6thrust23THRUST_200600_302600_NS6detail15normal_iteratorINS9_10device_ptrIyEEEENS9_16discard_iteratorINS9_11use_defaultEEEy11max_functorIyEyEEDaPvRmT3_T4_T5_mT6_P12ihipStream_tbENKUlT_T0_E_clISt17integral_constantIbLb1EESW_IbLb0EEEEDaSS_ST_EUlSS_E_NS1_11comp_targetILNS1_3genE10ELNS1_11target_archE1200ELNS1_3gpuE4ELNS1_3repE0EEENS1_30default_config_static_selectorELNS0_4arch9wavefront6targetE1EEEvT1_,comdat
	.protected	_ZN7rocprim17ROCPRIM_400000_NS6detail17trampoline_kernelINS0_14default_configENS1_20scan_config_selectorIyEEZZNS1_9scan_implILNS1_25lookback_scan_determinismE0ELb0ELb0ES3_N6thrust23THRUST_200600_302600_NS6detail15normal_iteratorINS9_10device_ptrIyEEEENS9_16discard_iteratorINS9_11use_defaultEEEy11max_functorIyEyEEDaPvRmT3_T4_T5_mT6_P12ihipStream_tbENKUlT_T0_E_clISt17integral_constantIbLb1EESW_IbLb0EEEEDaSS_ST_EUlSS_E_NS1_11comp_targetILNS1_3genE10ELNS1_11target_archE1200ELNS1_3gpuE4ELNS1_3repE0EEENS1_30default_config_static_selectorELNS0_4arch9wavefront6targetE1EEEvT1_ ; -- Begin function _ZN7rocprim17ROCPRIM_400000_NS6detail17trampoline_kernelINS0_14default_configENS1_20scan_config_selectorIyEEZZNS1_9scan_implILNS1_25lookback_scan_determinismE0ELb0ELb0ES3_N6thrust23THRUST_200600_302600_NS6detail15normal_iteratorINS9_10device_ptrIyEEEENS9_16discard_iteratorINS9_11use_defaultEEEy11max_functorIyEyEEDaPvRmT3_T4_T5_mT6_P12ihipStream_tbENKUlT_T0_E_clISt17integral_constantIbLb1EESW_IbLb0EEEEDaSS_ST_EUlSS_E_NS1_11comp_targetILNS1_3genE10ELNS1_11target_archE1200ELNS1_3gpuE4ELNS1_3repE0EEENS1_30default_config_static_selectorELNS0_4arch9wavefront6targetE1EEEvT1_
	.globl	_ZN7rocprim17ROCPRIM_400000_NS6detail17trampoline_kernelINS0_14default_configENS1_20scan_config_selectorIyEEZZNS1_9scan_implILNS1_25lookback_scan_determinismE0ELb0ELb0ES3_N6thrust23THRUST_200600_302600_NS6detail15normal_iteratorINS9_10device_ptrIyEEEENS9_16discard_iteratorINS9_11use_defaultEEEy11max_functorIyEyEEDaPvRmT3_T4_T5_mT6_P12ihipStream_tbENKUlT_T0_E_clISt17integral_constantIbLb1EESW_IbLb0EEEEDaSS_ST_EUlSS_E_NS1_11comp_targetILNS1_3genE10ELNS1_11target_archE1200ELNS1_3gpuE4ELNS1_3repE0EEENS1_30default_config_static_selectorELNS0_4arch9wavefront6targetE1EEEvT1_
	.p2align	8
	.type	_ZN7rocprim17ROCPRIM_400000_NS6detail17trampoline_kernelINS0_14default_configENS1_20scan_config_selectorIyEEZZNS1_9scan_implILNS1_25lookback_scan_determinismE0ELb0ELb0ES3_N6thrust23THRUST_200600_302600_NS6detail15normal_iteratorINS9_10device_ptrIyEEEENS9_16discard_iteratorINS9_11use_defaultEEEy11max_functorIyEyEEDaPvRmT3_T4_T5_mT6_P12ihipStream_tbENKUlT_T0_E_clISt17integral_constantIbLb1EESW_IbLb0EEEEDaSS_ST_EUlSS_E_NS1_11comp_targetILNS1_3genE10ELNS1_11target_archE1200ELNS1_3gpuE4ELNS1_3repE0EEENS1_30default_config_static_selectorELNS0_4arch9wavefront6targetE1EEEvT1_,@function
_ZN7rocprim17ROCPRIM_400000_NS6detail17trampoline_kernelINS0_14default_configENS1_20scan_config_selectorIyEEZZNS1_9scan_implILNS1_25lookback_scan_determinismE0ELb0ELb0ES3_N6thrust23THRUST_200600_302600_NS6detail15normal_iteratorINS9_10device_ptrIyEEEENS9_16discard_iteratorINS9_11use_defaultEEEy11max_functorIyEyEEDaPvRmT3_T4_T5_mT6_P12ihipStream_tbENKUlT_T0_E_clISt17integral_constantIbLb1EESW_IbLb0EEEEDaSS_ST_EUlSS_E_NS1_11comp_targetILNS1_3genE10ELNS1_11target_archE1200ELNS1_3gpuE4ELNS1_3repE0EEENS1_30default_config_static_selectorELNS0_4arch9wavefront6targetE1EEEvT1_: ; @_ZN7rocprim17ROCPRIM_400000_NS6detail17trampoline_kernelINS0_14default_configENS1_20scan_config_selectorIyEEZZNS1_9scan_implILNS1_25lookback_scan_determinismE0ELb0ELb0ES3_N6thrust23THRUST_200600_302600_NS6detail15normal_iteratorINS9_10device_ptrIyEEEENS9_16discard_iteratorINS9_11use_defaultEEEy11max_functorIyEyEEDaPvRmT3_T4_T5_mT6_P12ihipStream_tbENKUlT_T0_E_clISt17integral_constantIbLb1EESW_IbLb0EEEEDaSS_ST_EUlSS_E_NS1_11comp_targetILNS1_3genE10ELNS1_11target_archE1200ELNS1_3gpuE4ELNS1_3repE0EEENS1_30default_config_static_selectorELNS0_4arch9wavefront6targetE1EEEvT1_
; %bb.0:
	.section	.rodata,"a",@progbits
	.p2align	6, 0x0
	.amdhsa_kernel _ZN7rocprim17ROCPRIM_400000_NS6detail17trampoline_kernelINS0_14default_configENS1_20scan_config_selectorIyEEZZNS1_9scan_implILNS1_25lookback_scan_determinismE0ELb0ELb0ES3_N6thrust23THRUST_200600_302600_NS6detail15normal_iteratorINS9_10device_ptrIyEEEENS9_16discard_iteratorINS9_11use_defaultEEEy11max_functorIyEyEEDaPvRmT3_T4_T5_mT6_P12ihipStream_tbENKUlT_T0_E_clISt17integral_constantIbLb1EESW_IbLb0EEEEDaSS_ST_EUlSS_E_NS1_11comp_targetILNS1_3genE10ELNS1_11target_archE1200ELNS1_3gpuE4ELNS1_3repE0EEENS1_30default_config_static_selectorELNS0_4arch9wavefront6targetE1EEEvT1_
		.amdhsa_group_segment_fixed_size 0
		.amdhsa_private_segment_fixed_size 0
		.amdhsa_kernarg_size 112
		.amdhsa_user_sgpr_count 6
		.amdhsa_user_sgpr_private_segment_buffer 1
		.amdhsa_user_sgpr_dispatch_ptr 0
		.amdhsa_user_sgpr_queue_ptr 0
		.amdhsa_user_sgpr_kernarg_segment_ptr 1
		.amdhsa_user_sgpr_dispatch_id 0
		.amdhsa_user_sgpr_flat_scratch_init 0
		.amdhsa_user_sgpr_kernarg_preload_length 0
		.amdhsa_user_sgpr_kernarg_preload_offset 0
		.amdhsa_user_sgpr_private_segment_size 0
		.amdhsa_uses_dynamic_stack 0
		.amdhsa_system_sgpr_private_segment_wavefront_offset 0
		.amdhsa_system_sgpr_workgroup_id_x 1
		.amdhsa_system_sgpr_workgroup_id_y 0
		.amdhsa_system_sgpr_workgroup_id_z 0
		.amdhsa_system_sgpr_workgroup_info 0
		.amdhsa_system_vgpr_workitem_id 0
		.amdhsa_next_free_vgpr 1
		.amdhsa_next_free_sgpr 0
		.amdhsa_accum_offset 4
		.amdhsa_reserve_vcc 0
		.amdhsa_reserve_flat_scratch 0
		.amdhsa_float_round_mode_32 0
		.amdhsa_float_round_mode_16_64 0
		.amdhsa_float_denorm_mode_32 3
		.amdhsa_float_denorm_mode_16_64 3
		.amdhsa_dx10_clamp 1
		.amdhsa_ieee_mode 1
		.amdhsa_fp16_overflow 0
		.amdhsa_tg_split 0
		.amdhsa_exception_fp_ieee_invalid_op 0
		.amdhsa_exception_fp_denorm_src 0
		.amdhsa_exception_fp_ieee_div_zero 0
		.amdhsa_exception_fp_ieee_overflow 0
		.amdhsa_exception_fp_ieee_underflow 0
		.amdhsa_exception_fp_ieee_inexact 0
		.amdhsa_exception_int_div_zero 0
	.end_amdhsa_kernel
	.section	.text._ZN7rocprim17ROCPRIM_400000_NS6detail17trampoline_kernelINS0_14default_configENS1_20scan_config_selectorIyEEZZNS1_9scan_implILNS1_25lookback_scan_determinismE0ELb0ELb0ES3_N6thrust23THRUST_200600_302600_NS6detail15normal_iteratorINS9_10device_ptrIyEEEENS9_16discard_iteratorINS9_11use_defaultEEEy11max_functorIyEyEEDaPvRmT3_T4_T5_mT6_P12ihipStream_tbENKUlT_T0_E_clISt17integral_constantIbLb1EESW_IbLb0EEEEDaSS_ST_EUlSS_E_NS1_11comp_targetILNS1_3genE10ELNS1_11target_archE1200ELNS1_3gpuE4ELNS1_3repE0EEENS1_30default_config_static_selectorELNS0_4arch9wavefront6targetE1EEEvT1_,"axG",@progbits,_ZN7rocprim17ROCPRIM_400000_NS6detail17trampoline_kernelINS0_14default_configENS1_20scan_config_selectorIyEEZZNS1_9scan_implILNS1_25lookback_scan_determinismE0ELb0ELb0ES3_N6thrust23THRUST_200600_302600_NS6detail15normal_iteratorINS9_10device_ptrIyEEEENS9_16discard_iteratorINS9_11use_defaultEEEy11max_functorIyEyEEDaPvRmT3_T4_T5_mT6_P12ihipStream_tbENKUlT_T0_E_clISt17integral_constantIbLb1EESW_IbLb0EEEEDaSS_ST_EUlSS_E_NS1_11comp_targetILNS1_3genE10ELNS1_11target_archE1200ELNS1_3gpuE4ELNS1_3repE0EEENS1_30default_config_static_selectorELNS0_4arch9wavefront6targetE1EEEvT1_,comdat
.Lfunc_end3320:
	.size	_ZN7rocprim17ROCPRIM_400000_NS6detail17trampoline_kernelINS0_14default_configENS1_20scan_config_selectorIyEEZZNS1_9scan_implILNS1_25lookback_scan_determinismE0ELb0ELb0ES3_N6thrust23THRUST_200600_302600_NS6detail15normal_iteratorINS9_10device_ptrIyEEEENS9_16discard_iteratorINS9_11use_defaultEEEy11max_functorIyEyEEDaPvRmT3_T4_T5_mT6_P12ihipStream_tbENKUlT_T0_E_clISt17integral_constantIbLb1EESW_IbLb0EEEEDaSS_ST_EUlSS_E_NS1_11comp_targetILNS1_3genE10ELNS1_11target_archE1200ELNS1_3gpuE4ELNS1_3repE0EEENS1_30default_config_static_selectorELNS0_4arch9wavefront6targetE1EEEvT1_, .Lfunc_end3320-_ZN7rocprim17ROCPRIM_400000_NS6detail17trampoline_kernelINS0_14default_configENS1_20scan_config_selectorIyEEZZNS1_9scan_implILNS1_25lookback_scan_determinismE0ELb0ELb0ES3_N6thrust23THRUST_200600_302600_NS6detail15normal_iteratorINS9_10device_ptrIyEEEENS9_16discard_iteratorINS9_11use_defaultEEEy11max_functorIyEyEEDaPvRmT3_T4_T5_mT6_P12ihipStream_tbENKUlT_T0_E_clISt17integral_constantIbLb1EESW_IbLb0EEEEDaSS_ST_EUlSS_E_NS1_11comp_targetILNS1_3genE10ELNS1_11target_archE1200ELNS1_3gpuE4ELNS1_3repE0EEENS1_30default_config_static_selectorELNS0_4arch9wavefront6targetE1EEEvT1_
                                        ; -- End function
	.section	.AMDGPU.csdata,"",@progbits
; Kernel info:
; codeLenInByte = 0
; NumSgprs: 4
; NumVgprs: 0
; NumAgprs: 0
; TotalNumVgprs: 0
; ScratchSize: 0
; MemoryBound: 0
; FloatMode: 240
; IeeeMode: 1
; LDSByteSize: 0 bytes/workgroup (compile time only)
; SGPRBlocks: 0
; VGPRBlocks: 0
; NumSGPRsForWavesPerEU: 4
; NumVGPRsForWavesPerEU: 1
; AccumOffset: 4
; Occupancy: 8
; WaveLimiterHint : 0
; COMPUTE_PGM_RSRC2:SCRATCH_EN: 0
; COMPUTE_PGM_RSRC2:USER_SGPR: 6
; COMPUTE_PGM_RSRC2:TRAP_HANDLER: 0
; COMPUTE_PGM_RSRC2:TGID_X_EN: 1
; COMPUTE_PGM_RSRC2:TGID_Y_EN: 0
; COMPUTE_PGM_RSRC2:TGID_Z_EN: 0
; COMPUTE_PGM_RSRC2:TIDIG_COMP_CNT: 0
; COMPUTE_PGM_RSRC3_GFX90A:ACCUM_OFFSET: 0
; COMPUTE_PGM_RSRC3_GFX90A:TG_SPLIT: 0
	.section	.text._ZN7rocprim17ROCPRIM_400000_NS6detail17trampoline_kernelINS0_14default_configENS1_20scan_config_selectorIyEEZZNS1_9scan_implILNS1_25lookback_scan_determinismE0ELb0ELb0ES3_N6thrust23THRUST_200600_302600_NS6detail15normal_iteratorINS9_10device_ptrIyEEEENS9_16discard_iteratorINS9_11use_defaultEEEy11max_functorIyEyEEDaPvRmT3_T4_T5_mT6_P12ihipStream_tbENKUlT_T0_E_clISt17integral_constantIbLb1EESW_IbLb0EEEEDaSS_ST_EUlSS_E_NS1_11comp_targetILNS1_3genE9ELNS1_11target_archE1100ELNS1_3gpuE3ELNS1_3repE0EEENS1_30default_config_static_selectorELNS0_4arch9wavefront6targetE1EEEvT1_,"axG",@progbits,_ZN7rocprim17ROCPRIM_400000_NS6detail17trampoline_kernelINS0_14default_configENS1_20scan_config_selectorIyEEZZNS1_9scan_implILNS1_25lookback_scan_determinismE0ELb0ELb0ES3_N6thrust23THRUST_200600_302600_NS6detail15normal_iteratorINS9_10device_ptrIyEEEENS9_16discard_iteratorINS9_11use_defaultEEEy11max_functorIyEyEEDaPvRmT3_T4_T5_mT6_P12ihipStream_tbENKUlT_T0_E_clISt17integral_constantIbLb1EESW_IbLb0EEEEDaSS_ST_EUlSS_E_NS1_11comp_targetILNS1_3genE9ELNS1_11target_archE1100ELNS1_3gpuE3ELNS1_3repE0EEENS1_30default_config_static_selectorELNS0_4arch9wavefront6targetE1EEEvT1_,comdat
	.protected	_ZN7rocprim17ROCPRIM_400000_NS6detail17trampoline_kernelINS0_14default_configENS1_20scan_config_selectorIyEEZZNS1_9scan_implILNS1_25lookback_scan_determinismE0ELb0ELb0ES3_N6thrust23THRUST_200600_302600_NS6detail15normal_iteratorINS9_10device_ptrIyEEEENS9_16discard_iteratorINS9_11use_defaultEEEy11max_functorIyEyEEDaPvRmT3_T4_T5_mT6_P12ihipStream_tbENKUlT_T0_E_clISt17integral_constantIbLb1EESW_IbLb0EEEEDaSS_ST_EUlSS_E_NS1_11comp_targetILNS1_3genE9ELNS1_11target_archE1100ELNS1_3gpuE3ELNS1_3repE0EEENS1_30default_config_static_selectorELNS0_4arch9wavefront6targetE1EEEvT1_ ; -- Begin function _ZN7rocprim17ROCPRIM_400000_NS6detail17trampoline_kernelINS0_14default_configENS1_20scan_config_selectorIyEEZZNS1_9scan_implILNS1_25lookback_scan_determinismE0ELb0ELb0ES3_N6thrust23THRUST_200600_302600_NS6detail15normal_iteratorINS9_10device_ptrIyEEEENS9_16discard_iteratorINS9_11use_defaultEEEy11max_functorIyEyEEDaPvRmT3_T4_T5_mT6_P12ihipStream_tbENKUlT_T0_E_clISt17integral_constantIbLb1EESW_IbLb0EEEEDaSS_ST_EUlSS_E_NS1_11comp_targetILNS1_3genE9ELNS1_11target_archE1100ELNS1_3gpuE3ELNS1_3repE0EEENS1_30default_config_static_selectorELNS0_4arch9wavefront6targetE1EEEvT1_
	.globl	_ZN7rocprim17ROCPRIM_400000_NS6detail17trampoline_kernelINS0_14default_configENS1_20scan_config_selectorIyEEZZNS1_9scan_implILNS1_25lookback_scan_determinismE0ELb0ELb0ES3_N6thrust23THRUST_200600_302600_NS6detail15normal_iteratorINS9_10device_ptrIyEEEENS9_16discard_iteratorINS9_11use_defaultEEEy11max_functorIyEyEEDaPvRmT3_T4_T5_mT6_P12ihipStream_tbENKUlT_T0_E_clISt17integral_constantIbLb1EESW_IbLb0EEEEDaSS_ST_EUlSS_E_NS1_11comp_targetILNS1_3genE9ELNS1_11target_archE1100ELNS1_3gpuE3ELNS1_3repE0EEENS1_30default_config_static_selectorELNS0_4arch9wavefront6targetE1EEEvT1_
	.p2align	8
	.type	_ZN7rocprim17ROCPRIM_400000_NS6detail17trampoline_kernelINS0_14default_configENS1_20scan_config_selectorIyEEZZNS1_9scan_implILNS1_25lookback_scan_determinismE0ELb0ELb0ES3_N6thrust23THRUST_200600_302600_NS6detail15normal_iteratorINS9_10device_ptrIyEEEENS9_16discard_iteratorINS9_11use_defaultEEEy11max_functorIyEyEEDaPvRmT3_T4_T5_mT6_P12ihipStream_tbENKUlT_T0_E_clISt17integral_constantIbLb1EESW_IbLb0EEEEDaSS_ST_EUlSS_E_NS1_11comp_targetILNS1_3genE9ELNS1_11target_archE1100ELNS1_3gpuE3ELNS1_3repE0EEENS1_30default_config_static_selectorELNS0_4arch9wavefront6targetE1EEEvT1_,@function
_ZN7rocprim17ROCPRIM_400000_NS6detail17trampoline_kernelINS0_14default_configENS1_20scan_config_selectorIyEEZZNS1_9scan_implILNS1_25lookback_scan_determinismE0ELb0ELb0ES3_N6thrust23THRUST_200600_302600_NS6detail15normal_iteratorINS9_10device_ptrIyEEEENS9_16discard_iteratorINS9_11use_defaultEEEy11max_functorIyEyEEDaPvRmT3_T4_T5_mT6_P12ihipStream_tbENKUlT_T0_E_clISt17integral_constantIbLb1EESW_IbLb0EEEEDaSS_ST_EUlSS_E_NS1_11comp_targetILNS1_3genE9ELNS1_11target_archE1100ELNS1_3gpuE3ELNS1_3repE0EEENS1_30default_config_static_selectorELNS0_4arch9wavefront6targetE1EEEvT1_: ; @_ZN7rocprim17ROCPRIM_400000_NS6detail17trampoline_kernelINS0_14default_configENS1_20scan_config_selectorIyEEZZNS1_9scan_implILNS1_25lookback_scan_determinismE0ELb0ELb0ES3_N6thrust23THRUST_200600_302600_NS6detail15normal_iteratorINS9_10device_ptrIyEEEENS9_16discard_iteratorINS9_11use_defaultEEEy11max_functorIyEyEEDaPvRmT3_T4_T5_mT6_P12ihipStream_tbENKUlT_T0_E_clISt17integral_constantIbLb1EESW_IbLb0EEEEDaSS_ST_EUlSS_E_NS1_11comp_targetILNS1_3genE9ELNS1_11target_archE1100ELNS1_3gpuE3ELNS1_3repE0EEENS1_30default_config_static_selectorELNS0_4arch9wavefront6targetE1EEEvT1_
; %bb.0:
	.section	.rodata,"a",@progbits
	.p2align	6, 0x0
	.amdhsa_kernel _ZN7rocprim17ROCPRIM_400000_NS6detail17trampoline_kernelINS0_14default_configENS1_20scan_config_selectorIyEEZZNS1_9scan_implILNS1_25lookback_scan_determinismE0ELb0ELb0ES3_N6thrust23THRUST_200600_302600_NS6detail15normal_iteratorINS9_10device_ptrIyEEEENS9_16discard_iteratorINS9_11use_defaultEEEy11max_functorIyEyEEDaPvRmT3_T4_T5_mT6_P12ihipStream_tbENKUlT_T0_E_clISt17integral_constantIbLb1EESW_IbLb0EEEEDaSS_ST_EUlSS_E_NS1_11comp_targetILNS1_3genE9ELNS1_11target_archE1100ELNS1_3gpuE3ELNS1_3repE0EEENS1_30default_config_static_selectorELNS0_4arch9wavefront6targetE1EEEvT1_
		.amdhsa_group_segment_fixed_size 0
		.amdhsa_private_segment_fixed_size 0
		.amdhsa_kernarg_size 112
		.amdhsa_user_sgpr_count 6
		.amdhsa_user_sgpr_private_segment_buffer 1
		.amdhsa_user_sgpr_dispatch_ptr 0
		.amdhsa_user_sgpr_queue_ptr 0
		.amdhsa_user_sgpr_kernarg_segment_ptr 1
		.amdhsa_user_sgpr_dispatch_id 0
		.amdhsa_user_sgpr_flat_scratch_init 0
		.amdhsa_user_sgpr_kernarg_preload_length 0
		.amdhsa_user_sgpr_kernarg_preload_offset 0
		.amdhsa_user_sgpr_private_segment_size 0
		.amdhsa_uses_dynamic_stack 0
		.amdhsa_system_sgpr_private_segment_wavefront_offset 0
		.amdhsa_system_sgpr_workgroup_id_x 1
		.amdhsa_system_sgpr_workgroup_id_y 0
		.amdhsa_system_sgpr_workgroup_id_z 0
		.amdhsa_system_sgpr_workgroup_info 0
		.amdhsa_system_vgpr_workitem_id 0
		.amdhsa_next_free_vgpr 1
		.amdhsa_next_free_sgpr 0
		.amdhsa_accum_offset 4
		.amdhsa_reserve_vcc 0
		.amdhsa_reserve_flat_scratch 0
		.amdhsa_float_round_mode_32 0
		.amdhsa_float_round_mode_16_64 0
		.amdhsa_float_denorm_mode_32 3
		.amdhsa_float_denorm_mode_16_64 3
		.amdhsa_dx10_clamp 1
		.amdhsa_ieee_mode 1
		.amdhsa_fp16_overflow 0
		.amdhsa_tg_split 0
		.amdhsa_exception_fp_ieee_invalid_op 0
		.amdhsa_exception_fp_denorm_src 0
		.amdhsa_exception_fp_ieee_div_zero 0
		.amdhsa_exception_fp_ieee_overflow 0
		.amdhsa_exception_fp_ieee_underflow 0
		.amdhsa_exception_fp_ieee_inexact 0
		.amdhsa_exception_int_div_zero 0
	.end_amdhsa_kernel
	.section	.text._ZN7rocprim17ROCPRIM_400000_NS6detail17trampoline_kernelINS0_14default_configENS1_20scan_config_selectorIyEEZZNS1_9scan_implILNS1_25lookback_scan_determinismE0ELb0ELb0ES3_N6thrust23THRUST_200600_302600_NS6detail15normal_iteratorINS9_10device_ptrIyEEEENS9_16discard_iteratorINS9_11use_defaultEEEy11max_functorIyEyEEDaPvRmT3_T4_T5_mT6_P12ihipStream_tbENKUlT_T0_E_clISt17integral_constantIbLb1EESW_IbLb0EEEEDaSS_ST_EUlSS_E_NS1_11comp_targetILNS1_3genE9ELNS1_11target_archE1100ELNS1_3gpuE3ELNS1_3repE0EEENS1_30default_config_static_selectorELNS0_4arch9wavefront6targetE1EEEvT1_,"axG",@progbits,_ZN7rocprim17ROCPRIM_400000_NS6detail17trampoline_kernelINS0_14default_configENS1_20scan_config_selectorIyEEZZNS1_9scan_implILNS1_25lookback_scan_determinismE0ELb0ELb0ES3_N6thrust23THRUST_200600_302600_NS6detail15normal_iteratorINS9_10device_ptrIyEEEENS9_16discard_iteratorINS9_11use_defaultEEEy11max_functorIyEyEEDaPvRmT3_T4_T5_mT6_P12ihipStream_tbENKUlT_T0_E_clISt17integral_constantIbLb1EESW_IbLb0EEEEDaSS_ST_EUlSS_E_NS1_11comp_targetILNS1_3genE9ELNS1_11target_archE1100ELNS1_3gpuE3ELNS1_3repE0EEENS1_30default_config_static_selectorELNS0_4arch9wavefront6targetE1EEEvT1_,comdat
.Lfunc_end3321:
	.size	_ZN7rocprim17ROCPRIM_400000_NS6detail17trampoline_kernelINS0_14default_configENS1_20scan_config_selectorIyEEZZNS1_9scan_implILNS1_25lookback_scan_determinismE0ELb0ELb0ES3_N6thrust23THRUST_200600_302600_NS6detail15normal_iteratorINS9_10device_ptrIyEEEENS9_16discard_iteratorINS9_11use_defaultEEEy11max_functorIyEyEEDaPvRmT3_T4_T5_mT6_P12ihipStream_tbENKUlT_T0_E_clISt17integral_constantIbLb1EESW_IbLb0EEEEDaSS_ST_EUlSS_E_NS1_11comp_targetILNS1_3genE9ELNS1_11target_archE1100ELNS1_3gpuE3ELNS1_3repE0EEENS1_30default_config_static_selectorELNS0_4arch9wavefront6targetE1EEEvT1_, .Lfunc_end3321-_ZN7rocprim17ROCPRIM_400000_NS6detail17trampoline_kernelINS0_14default_configENS1_20scan_config_selectorIyEEZZNS1_9scan_implILNS1_25lookback_scan_determinismE0ELb0ELb0ES3_N6thrust23THRUST_200600_302600_NS6detail15normal_iteratorINS9_10device_ptrIyEEEENS9_16discard_iteratorINS9_11use_defaultEEEy11max_functorIyEyEEDaPvRmT3_T4_T5_mT6_P12ihipStream_tbENKUlT_T0_E_clISt17integral_constantIbLb1EESW_IbLb0EEEEDaSS_ST_EUlSS_E_NS1_11comp_targetILNS1_3genE9ELNS1_11target_archE1100ELNS1_3gpuE3ELNS1_3repE0EEENS1_30default_config_static_selectorELNS0_4arch9wavefront6targetE1EEEvT1_
                                        ; -- End function
	.section	.AMDGPU.csdata,"",@progbits
; Kernel info:
; codeLenInByte = 0
; NumSgprs: 4
; NumVgprs: 0
; NumAgprs: 0
; TotalNumVgprs: 0
; ScratchSize: 0
; MemoryBound: 0
; FloatMode: 240
; IeeeMode: 1
; LDSByteSize: 0 bytes/workgroup (compile time only)
; SGPRBlocks: 0
; VGPRBlocks: 0
; NumSGPRsForWavesPerEU: 4
; NumVGPRsForWavesPerEU: 1
; AccumOffset: 4
; Occupancy: 8
; WaveLimiterHint : 0
; COMPUTE_PGM_RSRC2:SCRATCH_EN: 0
; COMPUTE_PGM_RSRC2:USER_SGPR: 6
; COMPUTE_PGM_RSRC2:TRAP_HANDLER: 0
; COMPUTE_PGM_RSRC2:TGID_X_EN: 1
; COMPUTE_PGM_RSRC2:TGID_Y_EN: 0
; COMPUTE_PGM_RSRC2:TGID_Z_EN: 0
; COMPUTE_PGM_RSRC2:TIDIG_COMP_CNT: 0
; COMPUTE_PGM_RSRC3_GFX90A:ACCUM_OFFSET: 0
; COMPUTE_PGM_RSRC3_GFX90A:TG_SPLIT: 0
	.section	.text._ZN7rocprim17ROCPRIM_400000_NS6detail17trampoline_kernelINS0_14default_configENS1_20scan_config_selectorIyEEZZNS1_9scan_implILNS1_25lookback_scan_determinismE0ELb0ELb0ES3_N6thrust23THRUST_200600_302600_NS6detail15normal_iteratorINS9_10device_ptrIyEEEENS9_16discard_iteratorINS9_11use_defaultEEEy11max_functorIyEyEEDaPvRmT3_T4_T5_mT6_P12ihipStream_tbENKUlT_T0_E_clISt17integral_constantIbLb1EESW_IbLb0EEEEDaSS_ST_EUlSS_E_NS1_11comp_targetILNS1_3genE8ELNS1_11target_archE1030ELNS1_3gpuE2ELNS1_3repE0EEENS1_30default_config_static_selectorELNS0_4arch9wavefront6targetE1EEEvT1_,"axG",@progbits,_ZN7rocprim17ROCPRIM_400000_NS6detail17trampoline_kernelINS0_14default_configENS1_20scan_config_selectorIyEEZZNS1_9scan_implILNS1_25lookback_scan_determinismE0ELb0ELb0ES3_N6thrust23THRUST_200600_302600_NS6detail15normal_iteratorINS9_10device_ptrIyEEEENS9_16discard_iteratorINS9_11use_defaultEEEy11max_functorIyEyEEDaPvRmT3_T4_T5_mT6_P12ihipStream_tbENKUlT_T0_E_clISt17integral_constantIbLb1EESW_IbLb0EEEEDaSS_ST_EUlSS_E_NS1_11comp_targetILNS1_3genE8ELNS1_11target_archE1030ELNS1_3gpuE2ELNS1_3repE0EEENS1_30default_config_static_selectorELNS0_4arch9wavefront6targetE1EEEvT1_,comdat
	.protected	_ZN7rocprim17ROCPRIM_400000_NS6detail17trampoline_kernelINS0_14default_configENS1_20scan_config_selectorIyEEZZNS1_9scan_implILNS1_25lookback_scan_determinismE0ELb0ELb0ES3_N6thrust23THRUST_200600_302600_NS6detail15normal_iteratorINS9_10device_ptrIyEEEENS9_16discard_iteratorINS9_11use_defaultEEEy11max_functorIyEyEEDaPvRmT3_T4_T5_mT6_P12ihipStream_tbENKUlT_T0_E_clISt17integral_constantIbLb1EESW_IbLb0EEEEDaSS_ST_EUlSS_E_NS1_11comp_targetILNS1_3genE8ELNS1_11target_archE1030ELNS1_3gpuE2ELNS1_3repE0EEENS1_30default_config_static_selectorELNS0_4arch9wavefront6targetE1EEEvT1_ ; -- Begin function _ZN7rocprim17ROCPRIM_400000_NS6detail17trampoline_kernelINS0_14default_configENS1_20scan_config_selectorIyEEZZNS1_9scan_implILNS1_25lookback_scan_determinismE0ELb0ELb0ES3_N6thrust23THRUST_200600_302600_NS6detail15normal_iteratorINS9_10device_ptrIyEEEENS9_16discard_iteratorINS9_11use_defaultEEEy11max_functorIyEyEEDaPvRmT3_T4_T5_mT6_P12ihipStream_tbENKUlT_T0_E_clISt17integral_constantIbLb1EESW_IbLb0EEEEDaSS_ST_EUlSS_E_NS1_11comp_targetILNS1_3genE8ELNS1_11target_archE1030ELNS1_3gpuE2ELNS1_3repE0EEENS1_30default_config_static_selectorELNS0_4arch9wavefront6targetE1EEEvT1_
	.globl	_ZN7rocprim17ROCPRIM_400000_NS6detail17trampoline_kernelINS0_14default_configENS1_20scan_config_selectorIyEEZZNS1_9scan_implILNS1_25lookback_scan_determinismE0ELb0ELb0ES3_N6thrust23THRUST_200600_302600_NS6detail15normal_iteratorINS9_10device_ptrIyEEEENS9_16discard_iteratorINS9_11use_defaultEEEy11max_functorIyEyEEDaPvRmT3_T4_T5_mT6_P12ihipStream_tbENKUlT_T0_E_clISt17integral_constantIbLb1EESW_IbLb0EEEEDaSS_ST_EUlSS_E_NS1_11comp_targetILNS1_3genE8ELNS1_11target_archE1030ELNS1_3gpuE2ELNS1_3repE0EEENS1_30default_config_static_selectorELNS0_4arch9wavefront6targetE1EEEvT1_
	.p2align	8
	.type	_ZN7rocprim17ROCPRIM_400000_NS6detail17trampoline_kernelINS0_14default_configENS1_20scan_config_selectorIyEEZZNS1_9scan_implILNS1_25lookback_scan_determinismE0ELb0ELb0ES3_N6thrust23THRUST_200600_302600_NS6detail15normal_iteratorINS9_10device_ptrIyEEEENS9_16discard_iteratorINS9_11use_defaultEEEy11max_functorIyEyEEDaPvRmT3_T4_T5_mT6_P12ihipStream_tbENKUlT_T0_E_clISt17integral_constantIbLb1EESW_IbLb0EEEEDaSS_ST_EUlSS_E_NS1_11comp_targetILNS1_3genE8ELNS1_11target_archE1030ELNS1_3gpuE2ELNS1_3repE0EEENS1_30default_config_static_selectorELNS0_4arch9wavefront6targetE1EEEvT1_,@function
_ZN7rocprim17ROCPRIM_400000_NS6detail17trampoline_kernelINS0_14default_configENS1_20scan_config_selectorIyEEZZNS1_9scan_implILNS1_25lookback_scan_determinismE0ELb0ELb0ES3_N6thrust23THRUST_200600_302600_NS6detail15normal_iteratorINS9_10device_ptrIyEEEENS9_16discard_iteratorINS9_11use_defaultEEEy11max_functorIyEyEEDaPvRmT3_T4_T5_mT6_P12ihipStream_tbENKUlT_T0_E_clISt17integral_constantIbLb1EESW_IbLb0EEEEDaSS_ST_EUlSS_E_NS1_11comp_targetILNS1_3genE8ELNS1_11target_archE1030ELNS1_3gpuE2ELNS1_3repE0EEENS1_30default_config_static_selectorELNS0_4arch9wavefront6targetE1EEEvT1_: ; @_ZN7rocprim17ROCPRIM_400000_NS6detail17trampoline_kernelINS0_14default_configENS1_20scan_config_selectorIyEEZZNS1_9scan_implILNS1_25lookback_scan_determinismE0ELb0ELb0ES3_N6thrust23THRUST_200600_302600_NS6detail15normal_iteratorINS9_10device_ptrIyEEEENS9_16discard_iteratorINS9_11use_defaultEEEy11max_functorIyEyEEDaPvRmT3_T4_T5_mT6_P12ihipStream_tbENKUlT_T0_E_clISt17integral_constantIbLb1EESW_IbLb0EEEEDaSS_ST_EUlSS_E_NS1_11comp_targetILNS1_3genE8ELNS1_11target_archE1030ELNS1_3gpuE2ELNS1_3repE0EEENS1_30default_config_static_selectorELNS0_4arch9wavefront6targetE1EEEvT1_
; %bb.0:
	.section	.rodata,"a",@progbits
	.p2align	6, 0x0
	.amdhsa_kernel _ZN7rocprim17ROCPRIM_400000_NS6detail17trampoline_kernelINS0_14default_configENS1_20scan_config_selectorIyEEZZNS1_9scan_implILNS1_25lookback_scan_determinismE0ELb0ELb0ES3_N6thrust23THRUST_200600_302600_NS6detail15normal_iteratorINS9_10device_ptrIyEEEENS9_16discard_iteratorINS9_11use_defaultEEEy11max_functorIyEyEEDaPvRmT3_T4_T5_mT6_P12ihipStream_tbENKUlT_T0_E_clISt17integral_constantIbLb1EESW_IbLb0EEEEDaSS_ST_EUlSS_E_NS1_11comp_targetILNS1_3genE8ELNS1_11target_archE1030ELNS1_3gpuE2ELNS1_3repE0EEENS1_30default_config_static_selectorELNS0_4arch9wavefront6targetE1EEEvT1_
		.amdhsa_group_segment_fixed_size 0
		.amdhsa_private_segment_fixed_size 0
		.amdhsa_kernarg_size 112
		.amdhsa_user_sgpr_count 6
		.amdhsa_user_sgpr_private_segment_buffer 1
		.amdhsa_user_sgpr_dispatch_ptr 0
		.amdhsa_user_sgpr_queue_ptr 0
		.amdhsa_user_sgpr_kernarg_segment_ptr 1
		.amdhsa_user_sgpr_dispatch_id 0
		.amdhsa_user_sgpr_flat_scratch_init 0
		.amdhsa_user_sgpr_kernarg_preload_length 0
		.amdhsa_user_sgpr_kernarg_preload_offset 0
		.amdhsa_user_sgpr_private_segment_size 0
		.amdhsa_uses_dynamic_stack 0
		.amdhsa_system_sgpr_private_segment_wavefront_offset 0
		.amdhsa_system_sgpr_workgroup_id_x 1
		.amdhsa_system_sgpr_workgroup_id_y 0
		.amdhsa_system_sgpr_workgroup_id_z 0
		.amdhsa_system_sgpr_workgroup_info 0
		.amdhsa_system_vgpr_workitem_id 0
		.amdhsa_next_free_vgpr 1
		.amdhsa_next_free_sgpr 0
		.amdhsa_accum_offset 4
		.amdhsa_reserve_vcc 0
		.amdhsa_reserve_flat_scratch 0
		.amdhsa_float_round_mode_32 0
		.amdhsa_float_round_mode_16_64 0
		.amdhsa_float_denorm_mode_32 3
		.amdhsa_float_denorm_mode_16_64 3
		.amdhsa_dx10_clamp 1
		.amdhsa_ieee_mode 1
		.amdhsa_fp16_overflow 0
		.amdhsa_tg_split 0
		.amdhsa_exception_fp_ieee_invalid_op 0
		.amdhsa_exception_fp_denorm_src 0
		.amdhsa_exception_fp_ieee_div_zero 0
		.amdhsa_exception_fp_ieee_overflow 0
		.amdhsa_exception_fp_ieee_underflow 0
		.amdhsa_exception_fp_ieee_inexact 0
		.amdhsa_exception_int_div_zero 0
	.end_amdhsa_kernel
	.section	.text._ZN7rocprim17ROCPRIM_400000_NS6detail17trampoline_kernelINS0_14default_configENS1_20scan_config_selectorIyEEZZNS1_9scan_implILNS1_25lookback_scan_determinismE0ELb0ELb0ES3_N6thrust23THRUST_200600_302600_NS6detail15normal_iteratorINS9_10device_ptrIyEEEENS9_16discard_iteratorINS9_11use_defaultEEEy11max_functorIyEyEEDaPvRmT3_T4_T5_mT6_P12ihipStream_tbENKUlT_T0_E_clISt17integral_constantIbLb1EESW_IbLb0EEEEDaSS_ST_EUlSS_E_NS1_11comp_targetILNS1_3genE8ELNS1_11target_archE1030ELNS1_3gpuE2ELNS1_3repE0EEENS1_30default_config_static_selectorELNS0_4arch9wavefront6targetE1EEEvT1_,"axG",@progbits,_ZN7rocprim17ROCPRIM_400000_NS6detail17trampoline_kernelINS0_14default_configENS1_20scan_config_selectorIyEEZZNS1_9scan_implILNS1_25lookback_scan_determinismE0ELb0ELb0ES3_N6thrust23THRUST_200600_302600_NS6detail15normal_iteratorINS9_10device_ptrIyEEEENS9_16discard_iteratorINS9_11use_defaultEEEy11max_functorIyEyEEDaPvRmT3_T4_T5_mT6_P12ihipStream_tbENKUlT_T0_E_clISt17integral_constantIbLb1EESW_IbLb0EEEEDaSS_ST_EUlSS_E_NS1_11comp_targetILNS1_3genE8ELNS1_11target_archE1030ELNS1_3gpuE2ELNS1_3repE0EEENS1_30default_config_static_selectorELNS0_4arch9wavefront6targetE1EEEvT1_,comdat
.Lfunc_end3322:
	.size	_ZN7rocprim17ROCPRIM_400000_NS6detail17trampoline_kernelINS0_14default_configENS1_20scan_config_selectorIyEEZZNS1_9scan_implILNS1_25lookback_scan_determinismE0ELb0ELb0ES3_N6thrust23THRUST_200600_302600_NS6detail15normal_iteratorINS9_10device_ptrIyEEEENS9_16discard_iteratorINS9_11use_defaultEEEy11max_functorIyEyEEDaPvRmT3_T4_T5_mT6_P12ihipStream_tbENKUlT_T0_E_clISt17integral_constantIbLb1EESW_IbLb0EEEEDaSS_ST_EUlSS_E_NS1_11comp_targetILNS1_3genE8ELNS1_11target_archE1030ELNS1_3gpuE2ELNS1_3repE0EEENS1_30default_config_static_selectorELNS0_4arch9wavefront6targetE1EEEvT1_, .Lfunc_end3322-_ZN7rocprim17ROCPRIM_400000_NS6detail17trampoline_kernelINS0_14default_configENS1_20scan_config_selectorIyEEZZNS1_9scan_implILNS1_25lookback_scan_determinismE0ELb0ELb0ES3_N6thrust23THRUST_200600_302600_NS6detail15normal_iteratorINS9_10device_ptrIyEEEENS9_16discard_iteratorINS9_11use_defaultEEEy11max_functorIyEyEEDaPvRmT3_T4_T5_mT6_P12ihipStream_tbENKUlT_T0_E_clISt17integral_constantIbLb1EESW_IbLb0EEEEDaSS_ST_EUlSS_E_NS1_11comp_targetILNS1_3genE8ELNS1_11target_archE1030ELNS1_3gpuE2ELNS1_3repE0EEENS1_30default_config_static_selectorELNS0_4arch9wavefront6targetE1EEEvT1_
                                        ; -- End function
	.section	.AMDGPU.csdata,"",@progbits
; Kernel info:
; codeLenInByte = 0
; NumSgprs: 4
; NumVgprs: 0
; NumAgprs: 0
; TotalNumVgprs: 0
; ScratchSize: 0
; MemoryBound: 0
; FloatMode: 240
; IeeeMode: 1
; LDSByteSize: 0 bytes/workgroup (compile time only)
; SGPRBlocks: 0
; VGPRBlocks: 0
; NumSGPRsForWavesPerEU: 4
; NumVGPRsForWavesPerEU: 1
; AccumOffset: 4
; Occupancy: 8
; WaveLimiterHint : 0
; COMPUTE_PGM_RSRC2:SCRATCH_EN: 0
; COMPUTE_PGM_RSRC2:USER_SGPR: 6
; COMPUTE_PGM_RSRC2:TRAP_HANDLER: 0
; COMPUTE_PGM_RSRC2:TGID_X_EN: 1
; COMPUTE_PGM_RSRC2:TGID_Y_EN: 0
; COMPUTE_PGM_RSRC2:TGID_Z_EN: 0
; COMPUTE_PGM_RSRC2:TIDIG_COMP_CNT: 0
; COMPUTE_PGM_RSRC3_GFX90A:ACCUM_OFFSET: 0
; COMPUTE_PGM_RSRC3_GFX90A:TG_SPLIT: 0
	.section	.text._ZN7rocprim17ROCPRIM_400000_NS6detail17trampoline_kernelINS0_14default_configENS1_20scan_config_selectorIyEEZZNS1_9scan_implILNS1_25lookback_scan_determinismE0ELb0ELb0ES3_N6thrust23THRUST_200600_302600_NS6detail15normal_iteratorINS9_10device_ptrIyEEEENS9_16discard_iteratorINS9_11use_defaultEEEy11max_functorIyEyEEDaPvRmT3_T4_T5_mT6_P12ihipStream_tbENKUlT_T0_E_clISt17integral_constantIbLb1EESW_IbLb0EEEEDaSS_ST_EUlSS_E0_NS1_11comp_targetILNS1_3genE0ELNS1_11target_archE4294967295ELNS1_3gpuE0ELNS1_3repE0EEENS1_30default_config_static_selectorELNS0_4arch9wavefront6targetE1EEEvT1_,"axG",@progbits,_ZN7rocprim17ROCPRIM_400000_NS6detail17trampoline_kernelINS0_14default_configENS1_20scan_config_selectorIyEEZZNS1_9scan_implILNS1_25lookback_scan_determinismE0ELb0ELb0ES3_N6thrust23THRUST_200600_302600_NS6detail15normal_iteratorINS9_10device_ptrIyEEEENS9_16discard_iteratorINS9_11use_defaultEEEy11max_functorIyEyEEDaPvRmT3_T4_T5_mT6_P12ihipStream_tbENKUlT_T0_E_clISt17integral_constantIbLb1EESW_IbLb0EEEEDaSS_ST_EUlSS_E0_NS1_11comp_targetILNS1_3genE0ELNS1_11target_archE4294967295ELNS1_3gpuE0ELNS1_3repE0EEENS1_30default_config_static_selectorELNS0_4arch9wavefront6targetE1EEEvT1_,comdat
	.protected	_ZN7rocprim17ROCPRIM_400000_NS6detail17trampoline_kernelINS0_14default_configENS1_20scan_config_selectorIyEEZZNS1_9scan_implILNS1_25lookback_scan_determinismE0ELb0ELb0ES3_N6thrust23THRUST_200600_302600_NS6detail15normal_iteratorINS9_10device_ptrIyEEEENS9_16discard_iteratorINS9_11use_defaultEEEy11max_functorIyEyEEDaPvRmT3_T4_T5_mT6_P12ihipStream_tbENKUlT_T0_E_clISt17integral_constantIbLb1EESW_IbLb0EEEEDaSS_ST_EUlSS_E0_NS1_11comp_targetILNS1_3genE0ELNS1_11target_archE4294967295ELNS1_3gpuE0ELNS1_3repE0EEENS1_30default_config_static_selectorELNS0_4arch9wavefront6targetE1EEEvT1_ ; -- Begin function _ZN7rocprim17ROCPRIM_400000_NS6detail17trampoline_kernelINS0_14default_configENS1_20scan_config_selectorIyEEZZNS1_9scan_implILNS1_25lookback_scan_determinismE0ELb0ELb0ES3_N6thrust23THRUST_200600_302600_NS6detail15normal_iteratorINS9_10device_ptrIyEEEENS9_16discard_iteratorINS9_11use_defaultEEEy11max_functorIyEyEEDaPvRmT3_T4_T5_mT6_P12ihipStream_tbENKUlT_T0_E_clISt17integral_constantIbLb1EESW_IbLb0EEEEDaSS_ST_EUlSS_E0_NS1_11comp_targetILNS1_3genE0ELNS1_11target_archE4294967295ELNS1_3gpuE0ELNS1_3repE0EEENS1_30default_config_static_selectorELNS0_4arch9wavefront6targetE1EEEvT1_
	.globl	_ZN7rocprim17ROCPRIM_400000_NS6detail17trampoline_kernelINS0_14default_configENS1_20scan_config_selectorIyEEZZNS1_9scan_implILNS1_25lookback_scan_determinismE0ELb0ELb0ES3_N6thrust23THRUST_200600_302600_NS6detail15normal_iteratorINS9_10device_ptrIyEEEENS9_16discard_iteratorINS9_11use_defaultEEEy11max_functorIyEyEEDaPvRmT3_T4_T5_mT6_P12ihipStream_tbENKUlT_T0_E_clISt17integral_constantIbLb1EESW_IbLb0EEEEDaSS_ST_EUlSS_E0_NS1_11comp_targetILNS1_3genE0ELNS1_11target_archE4294967295ELNS1_3gpuE0ELNS1_3repE0EEENS1_30default_config_static_selectorELNS0_4arch9wavefront6targetE1EEEvT1_
	.p2align	8
	.type	_ZN7rocprim17ROCPRIM_400000_NS6detail17trampoline_kernelINS0_14default_configENS1_20scan_config_selectorIyEEZZNS1_9scan_implILNS1_25lookback_scan_determinismE0ELb0ELb0ES3_N6thrust23THRUST_200600_302600_NS6detail15normal_iteratorINS9_10device_ptrIyEEEENS9_16discard_iteratorINS9_11use_defaultEEEy11max_functorIyEyEEDaPvRmT3_T4_T5_mT6_P12ihipStream_tbENKUlT_T0_E_clISt17integral_constantIbLb1EESW_IbLb0EEEEDaSS_ST_EUlSS_E0_NS1_11comp_targetILNS1_3genE0ELNS1_11target_archE4294967295ELNS1_3gpuE0ELNS1_3repE0EEENS1_30default_config_static_selectorELNS0_4arch9wavefront6targetE1EEEvT1_,@function
_ZN7rocprim17ROCPRIM_400000_NS6detail17trampoline_kernelINS0_14default_configENS1_20scan_config_selectorIyEEZZNS1_9scan_implILNS1_25lookback_scan_determinismE0ELb0ELb0ES3_N6thrust23THRUST_200600_302600_NS6detail15normal_iteratorINS9_10device_ptrIyEEEENS9_16discard_iteratorINS9_11use_defaultEEEy11max_functorIyEyEEDaPvRmT3_T4_T5_mT6_P12ihipStream_tbENKUlT_T0_E_clISt17integral_constantIbLb1EESW_IbLb0EEEEDaSS_ST_EUlSS_E0_NS1_11comp_targetILNS1_3genE0ELNS1_11target_archE4294967295ELNS1_3gpuE0ELNS1_3repE0EEENS1_30default_config_static_selectorELNS0_4arch9wavefront6targetE1EEEvT1_: ; @_ZN7rocprim17ROCPRIM_400000_NS6detail17trampoline_kernelINS0_14default_configENS1_20scan_config_selectorIyEEZZNS1_9scan_implILNS1_25lookback_scan_determinismE0ELb0ELb0ES3_N6thrust23THRUST_200600_302600_NS6detail15normal_iteratorINS9_10device_ptrIyEEEENS9_16discard_iteratorINS9_11use_defaultEEEy11max_functorIyEyEEDaPvRmT3_T4_T5_mT6_P12ihipStream_tbENKUlT_T0_E_clISt17integral_constantIbLb1EESW_IbLb0EEEEDaSS_ST_EUlSS_E0_NS1_11comp_targetILNS1_3genE0ELNS1_11target_archE4294967295ELNS1_3gpuE0ELNS1_3repE0EEENS1_30default_config_static_selectorELNS0_4arch9wavefront6targetE1EEEvT1_
; %bb.0:
	.section	.rodata,"a",@progbits
	.p2align	6, 0x0
	.amdhsa_kernel _ZN7rocprim17ROCPRIM_400000_NS6detail17trampoline_kernelINS0_14default_configENS1_20scan_config_selectorIyEEZZNS1_9scan_implILNS1_25lookback_scan_determinismE0ELb0ELb0ES3_N6thrust23THRUST_200600_302600_NS6detail15normal_iteratorINS9_10device_ptrIyEEEENS9_16discard_iteratorINS9_11use_defaultEEEy11max_functorIyEyEEDaPvRmT3_T4_T5_mT6_P12ihipStream_tbENKUlT_T0_E_clISt17integral_constantIbLb1EESW_IbLb0EEEEDaSS_ST_EUlSS_E0_NS1_11comp_targetILNS1_3genE0ELNS1_11target_archE4294967295ELNS1_3gpuE0ELNS1_3repE0EEENS1_30default_config_static_selectorELNS0_4arch9wavefront6targetE1EEEvT1_
		.amdhsa_group_segment_fixed_size 0
		.amdhsa_private_segment_fixed_size 0
		.amdhsa_kernarg_size 48
		.amdhsa_user_sgpr_count 6
		.amdhsa_user_sgpr_private_segment_buffer 1
		.amdhsa_user_sgpr_dispatch_ptr 0
		.amdhsa_user_sgpr_queue_ptr 0
		.amdhsa_user_sgpr_kernarg_segment_ptr 1
		.amdhsa_user_sgpr_dispatch_id 0
		.amdhsa_user_sgpr_flat_scratch_init 0
		.amdhsa_user_sgpr_kernarg_preload_length 0
		.amdhsa_user_sgpr_kernarg_preload_offset 0
		.amdhsa_user_sgpr_private_segment_size 0
		.amdhsa_uses_dynamic_stack 0
		.amdhsa_system_sgpr_private_segment_wavefront_offset 0
		.amdhsa_system_sgpr_workgroup_id_x 1
		.amdhsa_system_sgpr_workgroup_id_y 0
		.amdhsa_system_sgpr_workgroup_id_z 0
		.amdhsa_system_sgpr_workgroup_info 0
		.amdhsa_system_vgpr_workitem_id 0
		.amdhsa_next_free_vgpr 1
		.amdhsa_next_free_sgpr 0
		.amdhsa_accum_offset 4
		.amdhsa_reserve_vcc 0
		.amdhsa_reserve_flat_scratch 0
		.amdhsa_float_round_mode_32 0
		.amdhsa_float_round_mode_16_64 0
		.amdhsa_float_denorm_mode_32 3
		.amdhsa_float_denorm_mode_16_64 3
		.amdhsa_dx10_clamp 1
		.amdhsa_ieee_mode 1
		.amdhsa_fp16_overflow 0
		.amdhsa_tg_split 0
		.amdhsa_exception_fp_ieee_invalid_op 0
		.amdhsa_exception_fp_denorm_src 0
		.amdhsa_exception_fp_ieee_div_zero 0
		.amdhsa_exception_fp_ieee_overflow 0
		.amdhsa_exception_fp_ieee_underflow 0
		.amdhsa_exception_fp_ieee_inexact 0
		.amdhsa_exception_int_div_zero 0
	.end_amdhsa_kernel
	.section	.text._ZN7rocprim17ROCPRIM_400000_NS6detail17trampoline_kernelINS0_14default_configENS1_20scan_config_selectorIyEEZZNS1_9scan_implILNS1_25lookback_scan_determinismE0ELb0ELb0ES3_N6thrust23THRUST_200600_302600_NS6detail15normal_iteratorINS9_10device_ptrIyEEEENS9_16discard_iteratorINS9_11use_defaultEEEy11max_functorIyEyEEDaPvRmT3_T4_T5_mT6_P12ihipStream_tbENKUlT_T0_E_clISt17integral_constantIbLb1EESW_IbLb0EEEEDaSS_ST_EUlSS_E0_NS1_11comp_targetILNS1_3genE0ELNS1_11target_archE4294967295ELNS1_3gpuE0ELNS1_3repE0EEENS1_30default_config_static_selectorELNS0_4arch9wavefront6targetE1EEEvT1_,"axG",@progbits,_ZN7rocprim17ROCPRIM_400000_NS6detail17trampoline_kernelINS0_14default_configENS1_20scan_config_selectorIyEEZZNS1_9scan_implILNS1_25lookback_scan_determinismE0ELb0ELb0ES3_N6thrust23THRUST_200600_302600_NS6detail15normal_iteratorINS9_10device_ptrIyEEEENS9_16discard_iteratorINS9_11use_defaultEEEy11max_functorIyEyEEDaPvRmT3_T4_T5_mT6_P12ihipStream_tbENKUlT_T0_E_clISt17integral_constantIbLb1EESW_IbLb0EEEEDaSS_ST_EUlSS_E0_NS1_11comp_targetILNS1_3genE0ELNS1_11target_archE4294967295ELNS1_3gpuE0ELNS1_3repE0EEENS1_30default_config_static_selectorELNS0_4arch9wavefront6targetE1EEEvT1_,comdat
.Lfunc_end3323:
	.size	_ZN7rocprim17ROCPRIM_400000_NS6detail17trampoline_kernelINS0_14default_configENS1_20scan_config_selectorIyEEZZNS1_9scan_implILNS1_25lookback_scan_determinismE0ELb0ELb0ES3_N6thrust23THRUST_200600_302600_NS6detail15normal_iteratorINS9_10device_ptrIyEEEENS9_16discard_iteratorINS9_11use_defaultEEEy11max_functorIyEyEEDaPvRmT3_T4_T5_mT6_P12ihipStream_tbENKUlT_T0_E_clISt17integral_constantIbLb1EESW_IbLb0EEEEDaSS_ST_EUlSS_E0_NS1_11comp_targetILNS1_3genE0ELNS1_11target_archE4294967295ELNS1_3gpuE0ELNS1_3repE0EEENS1_30default_config_static_selectorELNS0_4arch9wavefront6targetE1EEEvT1_, .Lfunc_end3323-_ZN7rocprim17ROCPRIM_400000_NS6detail17trampoline_kernelINS0_14default_configENS1_20scan_config_selectorIyEEZZNS1_9scan_implILNS1_25lookback_scan_determinismE0ELb0ELb0ES3_N6thrust23THRUST_200600_302600_NS6detail15normal_iteratorINS9_10device_ptrIyEEEENS9_16discard_iteratorINS9_11use_defaultEEEy11max_functorIyEyEEDaPvRmT3_T4_T5_mT6_P12ihipStream_tbENKUlT_T0_E_clISt17integral_constantIbLb1EESW_IbLb0EEEEDaSS_ST_EUlSS_E0_NS1_11comp_targetILNS1_3genE0ELNS1_11target_archE4294967295ELNS1_3gpuE0ELNS1_3repE0EEENS1_30default_config_static_selectorELNS0_4arch9wavefront6targetE1EEEvT1_
                                        ; -- End function
	.section	.AMDGPU.csdata,"",@progbits
; Kernel info:
; codeLenInByte = 0
; NumSgprs: 4
; NumVgprs: 0
; NumAgprs: 0
; TotalNumVgprs: 0
; ScratchSize: 0
; MemoryBound: 0
; FloatMode: 240
; IeeeMode: 1
; LDSByteSize: 0 bytes/workgroup (compile time only)
; SGPRBlocks: 0
; VGPRBlocks: 0
; NumSGPRsForWavesPerEU: 4
; NumVGPRsForWavesPerEU: 1
; AccumOffset: 4
; Occupancy: 8
; WaveLimiterHint : 0
; COMPUTE_PGM_RSRC2:SCRATCH_EN: 0
; COMPUTE_PGM_RSRC2:USER_SGPR: 6
; COMPUTE_PGM_RSRC2:TRAP_HANDLER: 0
; COMPUTE_PGM_RSRC2:TGID_X_EN: 1
; COMPUTE_PGM_RSRC2:TGID_Y_EN: 0
; COMPUTE_PGM_RSRC2:TGID_Z_EN: 0
; COMPUTE_PGM_RSRC2:TIDIG_COMP_CNT: 0
; COMPUTE_PGM_RSRC3_GFX90A:ACCUM_OFFSET: 0
; COMPUTE_PGM_RSRC3_GFX90A:TG_SPLIT: 0
	.section	.text._ZN7rocprim17ROCPRIM_400000_NS6detail17trampoline_kernelINS0_14default_configENS1_20scan_config_selectorIyEEZZNS1_9scan_implILNS1_25lookback_scan_determinismE0ELb0ELb0ES3_N6thrust23THRUST_200600_302600_NS6detail15normal_iteratorINS9_10device_ptrIyEEEENS9_16discard_iteratorINS9_11use_defaultEEEy11max_functorIyEyEEDaPvRmT3_T4_T5_mT6_P12ihipStream_tbENKUlT_T0_E_clISt17integral_constantIbLb1EESW_IbLb0EEEEDaSS_ST_EUlSS_E0_NS1_11comp_targetILNS1_3genE5ELNS1_11target_archE942ELNS1_3gpuE9ELNS1_3repE0EEENS1_30default_config_static_selectorELNS0_4arch9wavefront6targetE1EEEvT1_,"axG",@progbits,_ZN7rocprim17ROCPRIM_400000_NS6detail17trampoline_kernelINS0_14default_configENS1_20scan_config_selectorIyEEZZNS1_9scan_implILNS1_25lookback_scan_determinismE0ELb0ELb0ES3_N6thrust23THRUST_200600_302600_NS6detail15normal_iteratorINS9_10device_ptrIyEEEENS9_16discard_iteratorINS9_11use_defaultEEEy11max_functorIyEyEEDaPvRmT3_T4_T5_mT6_P12ihipStream_tbENKUlT_T0_E_clISt17integral_constantIbLb1EESW_IbLb0EEEEDaSS_ST_EUlSS_E0_NS1_11comp_targetILNS1_3genE5ELNS1_11target_archE942ELNS1_3gpuE9ELNS1_3repE0EEENS1_30default_config_static_selectorELNS0_4arch9wavefront6targetE1EEEvT1_,comdat
	.protected	_ZN7rocprim17ROCPRIM_400000_NS6detail17trampoline_kernelINS0_14default_configENS1_20scan_config_selectorIyEEZZNS1_9scan_implILNS1_25lookback_scan_determinismE0ELb0ELb0ES3_N6thrust23THRUST_200600_302600_NS6detail15normal_iteratorINS9_10device_ptrIyEEEENS9_16discard_iteratorINS9_11use_defaultEEEy11max_functorIyEyEEDaPvRmT3_T4_T5_mT6_P12ihipStream_tbENKUlT_T0_E_clISt17integral_constantIbLb1EESW_IbLb0EEEEDaSS_ST_EUlSS_E0_NS1_11comp_targetILNS1_3genE5ELNS1_11target_archE942ELNS1_3gpuE9ELNS1_3repE0EEENS1_30default_config_static_selectorELNS0_4arch9wavefront6targetE1EEEvT1_ ; -- Begin function _ZN7rocprim17ROCPRIM_400000_NS6detail17trampoline_kernelINS0_14default_configENS1_20scan_config_selectorIyEEZZNS1_9scan_implILNS1_25lookback_scan_determinismE0ELb0ELb0ES3_N6thrust23THRUST_200600_302600_NS6detail15normal_iteratorINS9_10device_ptrIyEEEENS9_16discard_iteratorINS9_11use_defaultEEEy11max_functorIyEyEEDaPvRmT3_T4_T5_mT6_P12ihipStream_tbENKUlT_T0_E_clISt17integral_constantIbLb1EESW_IbLb0EEEEDaSS_ST_EUlSS_E0_NS1_11comp_targetILNS1_3genE5ELNS1_11target_archE942ELNS1_3gpuE9ELNS1_3repE0EEENS1_30default_config_static_selectorELNS0_4arch9wavefront6targetE1EEEvT1_
	.globl	_ZN7rocprim17ROCPRIM_400000_NS6detail17trampoline_kernelINS0_14default_configENS1_20scan_config_selectorIyEEZZNS1_9scan_implILNS1_25lookback_scan_determinismE0ELb0ELb0ES3_N6thrust23THRUST_200600_302600_NS6detail15normal_iteratorINS9_10device_ptrIyEEEENS9_16discard_iteratorINS9_11use_defaultEEEy11max_functorIyEyEEDaPvRmT3_T4_T5_mT6_P12ihipStream_tbENKUlT_T0_E_clISt17integral_constantIbLb1EESW_IbLb0EEEEDaSS_ST_EUlSS_E0_NS1_11comp_targetILNS1_3genE5ELNS1_11target_archE942ELNS1_3gpuE9ELNS1_3repE0EEENS1_30default_config_static_selectorELNS0_4arch9wavefront6targetE1EEEvT1_
	.p2align	8
	.type	_ZN7rocprim17ROCPRIM_400000_NS6detail17trampoline_kernelINS0_14default_configENS1_20scan_config_selectorIyEEZZNS1_9scan_implILNS1_25lookback_scan_determinismE0ELb0ELb0ES3_N6thrust23THRUST_200600_302600_NS6detail15normal_iteratorINS9_10device_ptrIyEEEENS9_16discard_iteratorINS9_11use_defaultEEEy11max_functorIyEyEEDaPvRmT3_T4_T5_mT6_P12ihipStream_tbENKUlT_T0_E_clISt17integral_constantIbLb1EESW_IbLb0EEEEDaSS_ST_EUlSS_E0_NS1_11comp_targetILNS1_3genE5ELNS1_11target_archE942ELNS1_3gpuE9ELNS1_3repE0EEENS1_30default_config_static_selectorELNS0_4arch9wavefront6targetE1EEEvT1_,@function
_ZN7rocprim17ROCPRIM_400000_NS6detail17trampoline_kernelINS0_14default_configENS1_20scan_config_selectorIyEEZZNS1_9scan_implILNS1_25lookback_scan_determinismE0ELb0ELb0ES3_N6thrust23THRUST_200600_302600_NS6detail15normal_iteratorINS9_10device_ptrIyEEEENS9_16discard_iteratorINS9_11use_defaultEEEy11max_functorIyEyEEDaPvRmT3_T4_T5_mT6_P12ihipStream_tbENKUlT_T0_E_clISt17integral_constantIbLb1EESW_IbLb0EEEEDaSS_ST_EUlSS_E0_NS1_11comp_targetILNS1_3genE5ELNS1_11target_archE942ELNS1_3gpuE9ELNS1_3repE0EEENS1_30default_config_static_selectorELNS0_4arch9wavefront6targetE1EEEvT1_: ; @_ZN7rocprim17ROCPRIM_400000_NS6detail17trampoline_kernelINS0_14default_configENS1_20scan_config_selectorIyEEZZNS1_9scan_implILNS1_25lookback_scan_determinismE0ELb0ELb0ES3_N6thrust23THRUST_200600_302600_NS6detail15normal_iteratorINS9_10device_ptrIyEEEENS9_16discard_iteratorINS9_11use_defaultEEEy11max_functorIyEyEEDaPvRmT3_T4_T5_mT6_P12ihipStream_tbENKUlT_T0_E_clISt17integral_constantIbLb1EESW_IbLb0EEEEDaSS_ST_EUlSS_E0_NS1_11comp_targetILNS1_3genE5ELNS1_11target_archE942ELNS1_3gpuE9ELNS1_3repE0EEENS1_30default_config_static_selectorELNS0_4arch9wavefront6targetE1EEEvT1_
; %bb.0:
	.section	.rodata,"a",@progbits
	.p2align	6, 0x0
	.amdhsa_kernel _ZN7rocprim17ROCPRIM_400000_NS6detail17trampoline_kernelINS0_14default_configENS1_20scan_config_selectorIyEEZZNS1_9scan_implILNS1_25lookback_scan_determinismE0ELb0ELb0ES3_N6thrust23THRUST_200600_302600_NS6detail15normal_iteratorINS9_10device_ptrIyEEEENS9_16discard_iteratorINS9_11use_defaultEEEy11max_functorIyEyEEDaPvRmT3_T4_T5_mT6_P12ihipStream_tbENKUlT_T0_E_clISt17integral_constantIbLb1EESW_IbLb0EEEEDaSS_ST_EUlSS_E0_NS1_11comp_targetILNS1_3genE5ELNS1_11target_archE942ELNS1_3gpuE9ELNS1_3repE0EEENS1_30default_config_static_selectorELNS0_4arch9wavefront6targetE1EEEvT1_
		.amdhsa_group_segment_fixed_size 0
		.amdhsa_private_segment_fixed_size 0
		.amdhsa_kernarg_size 48
		.amdhsa_user_sgpr_count 6
		.amdhsa_user_sgpr_private_segment_buffer 1
		.amdhsa_user_sgpr_dispatch_ptr 0
		.amdhsa_user_sgpr_queue_ptr 0
		.amdhsa_user_sgpr_kernarg_segment_ptr 1
		.amdhsa_user_sgpr_dispatch_id 0
		.amdhsa_user_sgpr_flat_scratch_init 0
		.amdhsa_user_sgpr_kernarg_preload_length 0
		.amdhsa_user_sgpr_kernarg_preload_offset 0
		.amdhsa_user_sgpr_private_segment_size 0
		.amdhsa_uses_dynamic_stack 0
		.amdhsa_system_sgpr_private_segment_wavefront_offset 0
		.amdhsa_system_sgpr_workgroup_id_x 1
		.amdhsa_system_sgpr_workgroup_id_y 0
		.amdhsa_system_sgpr_workgroup_id_z 0
		.amdhsa_system_sgpr_workgroup_info 0
		.amdhsa_system_vgpr_workitem_id 0
		.amdhsa_next_free_vgpr 1
		.amdhsa_next_free_sgpr 0
		.amdhsa_accum_offset 4
		.amdhsa_reserve_vcc 0
		.amdhsa_reserve_flat_scratch 0
		.amdhsa_float_round_mode_32 0
		.amdhsa_float_round_mode_16_64 0
		.amdhsa_float_denorm_mode_32 3
		.amdhsa_float_denorm_mode_16_64 3
		.amdhsa_dx10_clamp 1
		.amdhsa_ieee_mode 1
		.amdhsa_fp16_overflow 0
		.amdhsa_tg_split 0
		.amdhsa_exception_fp_ieee_invalid_op 0
		.amdhsa_exception_fp_denorm_src 0
		.amdhsa_exception_fp_ieee_div_zero 0
		.amdhsa_exception_fp_ieee_overflow 0
		.amdhsa_exception_fp_ieee_underflow 0
		.amdhsa_exception_fp_ieee_inexact 0
		.amdhsa_exception_int_div_zero 0
	.end_amdhsa_kernel
	.section	.text._ZN7rocprim17ROCPRIM_400000_NS6detail17trampoline_kernelINS0_14default_configENS1_20scan_config_selectorIyEEZZNS1_9scan_implILNS1_25lookback_scan_determinismE0ELb0ELb0ES3_N6thrust23THRUST_200600_302600_NS6detail15normal_iteratorINS9_10device_ptrIyEEEENS9_16discard_iteratorINS9_11use_defaultEEEy11max_functorIyEyEEDaPvRmT3_T4_T5_mT6_P12ihipStream_tbENKUlT_T0_E_clISt17integral_constantIbLb1EESW_IbLb0EEEEDaSS_ST_EUlSS_E0_NS1_11comp_targetILNS1_3genE5ELNS1_11target_archE942ELNS1_3gpuE9ELNS1_3repE0EEENS1_30default_config_static_selectorELNS0_4arch9wavefront6targetE1EEEvT1_,"axG",@progbits,_ZN7rocprim17ROCPRIM_400000_NS6detail17trampoline_kernelINS0_14default_configENS1_20scan_config_selectorIyEEZZNS1_9scan_implILNS1_25lookback_scan_determinismE0ELb0ELb0ES3_N6thrust23THRUST_200600_302600_NS6detail15normal_iteratorINS9_10device_ptrIyEEEENS9_16discard_iteratorINS9_11use_defaultEEEy11max_functorIyEyEEDaPvRmT3_T4_T5_mT6_P12ihipStream_tbENKUlT_T0_E_clISt17integral_constantIbLb1EESW_IbLb0EEEEDaSS_ST_EUlSS_E0_NS1_11comp_targetILNS1_3genE5ELNS1_11target_archE942ELNS1_3gpuE9ELNS1_3repE0EEENS1_30default_config_static_selectorELNS0_4arch9wavefront6targetE1EEEvT1_,comdat
.Lfunc_end3324:
	.size	_ZN7rocprim17ROCPRIM_400000_NS6detail17trampoline_kernelINS0_14default_configENS1_20scan_config_selectorIyEEZZNS1_9scan_implILNS1_25lookback_scan_determinismE0ELb0ELb0ES3_N6thrust23THRUST_200600_302600_NS6detail15normal_iteratorINS9_10device_ptrIyEEEENS9_16discard_iteratorINS9_11use_defaultEEEy11max_functorIyEyEEDaPvRmT3_T4_T5_mT6_P12ihipStream_tbENKUlT_T0_E_clISt17integral_constantIbLb1EESW_IbLb0EEEEDaSS_ST_EUlSS_E0_NS1_11comp_targetILNS1_3genE5ELNS1_11target_archE942ELNS1_3gpuE9ELNS1_3repE0EEENS1_30default_config_static_selectorELNS0_4arch9wavefront6targetE1EEEvT1_, .Lfunc_end3324-_ZN7rocprim17ROCPRIM_400000_NS6detail17trampoline_kernelINS0_14default_configENS1_20scan_config_selectorIyEEZZNS1_9scan_implILNS1_25lookback_scan_determinismE0ELb0ELb0ES3_N6thrust23THRUST_200600_302600_NS6detail15normal_iteratorINS9_10device_ptrIyEEEENS9_16discard_iteratorINS9_11use_defaultEEEy11max_functorIyEyEEDaPvRmT3_T4_T5_mT6_P12ihipStream_tbENKUlT_T0_E_clISt17integral_constantIbLb1EESW_IbLb0EEEEDaSS_ST_EUlSS_E0_NS1_11comp_targetILNS1_3genE5ELNS1_11target_archE942ELNS1_3gpuE9ELNS1_3repE0EEENS1_30default_config_static_selectorELNS0_4arch9wavefront6targetE1EEEvT1_
                                        ; -- End function
	.section	.AMDGPU.csdata,"",@progbits
; Kernel info:
; codeLenInByte = 0
; NumSgprs: 4
; NumVgprs: 0
; NumAgprs: 0
; TotalNumVgprs: 0
; ScratchSize: 0
; MemoryBound: 0
; FloatMode: 240
; IeeeMode: 1
; LDSByteSize: 0 bytes/workgroup (compile time only)
; SGPRBlocks: 0
; VGPRBlocks: 0
; NumSGPRsForWavesPerEU: 4
; NumVGPRsForWavesPerEU: 1
; AccumOffset: 4
; Occupancy: 8
; WaveLimiterHint : 0
; COMPUTE_PGM_RSRC2:SCRATCH_EN: 0
; COMPUTE_PGM_RSRC2:USER_SGPR: 6
; COMPUTE_PGM_RSRC2:TRAP_HANDLER: 0
; COMPUTE_PGM_RSRC2:TGID_X_EN: 1
; COMPUTE_PGM_RSRC2:TGID_Y_EN: 0
; COMPUTE_PGM_RSRC2:TGID_Z_EN: 0
; COMPUTE_PGM_RSRC2:TIDIG_COMP_CNT: 0
; COMPUTE_PGM_RSRC3_GFX90A:ACCUM_OFFSET: 0
; COMPUTE_PGM_RSRC3_GFX90A:TG_SPLIT: 0
	.section	.text._ZN7rocprim17ROCPRIM_400000_NS6detail17trampoline_kernelINS0_14default_configENS1_20scan_config_selectorIyEEZZNS1_9scan_implILNS1_25lookback_scan_determinismE0ELb0ELb0ES3_N6thrust23THRUST_200600_302600_NS6detail15normal_iteratorINS9_10device_ptrIyEEEENS9_16discard_iteratorINS9_11use_defaultEEEy11max_functorIyEyEEDaPvRmT3_T4_T5_mT6_P12ihipStream_tbENKUlT_T0_E_clISt17integral_constantIbLb1EESW_IbLb0EEEEDaSS_ST_EUlSS_E0_NS1_11comp_targetILNS1_3genE4ELNS1_11target_archE910ELNS1_3gpuE8ELNS1_3repE0EEENS1_30default_config_static_selectorELNS0_4arch9wavefront6targetE1EEEvT1_,"axG",@progbits,_ZN7rocprim17ROCPRIM_400000_NS6detail17trampoline_kernelINS0_14default_configENS1_20scan_config_selectorIyEEZZNS1_9scan_implILNS1_25lookback_scan_determinismE0ELb0ELb0ES3_N6thrust23THRUST_200600_302600_NS6detail15normal_iteratorINS9_10device_ptrIyEEEENS9_16discard_iteratorINS9_11use_defaultEEEy11max_functorIyEyEEDaPvRmT3_T4_T5_mT6_P12ihipStream_tbENKUlT_T0_E_clISt17integral_constantIbLb1EESW_IbLb0EEEEDaSS_ST_EUlSS_E0_NS1_11comp_targetILNS1_3genE4ELNS1_11target_archE910ELNS1_3gpuE8ELNS1_3repE0EEENS1_30default_config_static_selectorELNS0_4arch9wavefront6targetE1EEEvT1_,comdat
	.protected	_ZN7rocprim17ROCPRIM_400000_NS6detail17trampoline_kernelINS0_14default_configENS1_20scan_config_selectorIyEEZZNS1_9scan_implILNS1_25lookback_scan_determinismE0ELb0ELb0ES3_N6thrust23THRUST_200600_302600_NS6detail15normal_iteratorINS9_10device_ptrIyEEEENS9_16discard_iteratorINS9_11use_defaultEEEy11max_functorIyEyEEDaPvRmT3_T4_T5_mT6_P12ihipStream_tbENKUlT_T0_E_clISt17integral_constantIbLb1EESW_IbLb0EEEEDaSS_ST_EUlSS_E0_NS1_11comp_targetILNS1_3genE4ELNS1_11target_archE910ELNS1_3gpuE8ELNS1_3repE0EEENS1_30default_config_static_selectorELNS0_4arch9wavefront6targetE1EEEvT1_ ; -- Begin function _ZN7rocprim17ROCPRIM_400000_NS6detail17trampoline_kernelINS0_14default_configENS1_20scan_config_selectorIyEEZZNS1_9scan_implILNS1_25lookback_scan_determinismE0ELb0ELb0ES3_N6thrust23THRUST_200600_302600_NS6detail15normal_iteratorINS9_10device_ptrIyEEEENS9_16discard_iteratorINS9_11use_defaultEEEy11max_functorIyEyEEDaPvRmT3_T4_T5_mT6_P12ihipStream_tbENKUlT_T0_E_clISt17integral_constantIbLb1EESW_IbLb0EEEEDaSS_ST_EUlSS_E0_NS1_11comp_targetILNS1_3genE4ELNS1_11target_archE910ELNS1_3gpuE8ELNS1_3repE0EEENS1_30default_config_static_selectorELNS0_4arch9wavefront6targetE1EEEvT1_
	.globl	_ZN7rocprim17ROCPRIM_400000_NS6detail17trampoline_kernelINS0_14default_configENS1_20scan_config_selectorIyEEZZNS1_9scan_implILNS1_25lookback_scan_determinismE0ELb0ELb0ES3_N6thrust23THRUST_200600_302600_NS6detail15normal_iteratorINS9_10device_ptrIyEEEENS9_16discard_iteratorINS9_11use_defaultEEEy11max_functorIyEyEEDaPvRmT3_T4_T5_mT6_P12ihipStream_tbENKUlT_T0_E_clISt17integral_constantIbLb1EESW_IbLb0EEEEDaSS_ST_EUlSS_E0_NS1_11comp_targetILNS1_3genE4ELNS1_11target_archE910ELNS1_3gpuE8ELNS1_3repE0EEENS1_30default_config_static_selectorELNS0_4arch9wavefront6targetE1EEEvT1_
	.p2align	8
	.type	_ZN7rocprim17ROCPRIM_400000_NS6detail17trampoline_kernelINS0_14default_configENS1_20scan_config_selectorIyEEZZNS1_9scan_implILNS1_25lookback_scan_determinismE0ELb0ELb0ES3_N6thrust23THRUST_200600_302600_NS6detail15normal_iteratorINS9_10device_ptrIyEEEENS9_16discard_iteratorINS9_11use_defaultEEEy11max_functorIyEyEEDaPvRmT3_T4_T5_mT6_P12ihipStream_tbENKUlT_T0_E_clISt17integral_constantIbLb1EESW_IbLb0EEEEDaSS_ST_EUlSS_E0_NS1_11comp_targetILNS1_3genE4ELNS1_11target_archE910ELNS1_3gpuE8ELNS1_3repE0EEENS1_30default_config_static_selectorELNS0_4arch9wavefront6targetE1EEEvT1_,@function
_ZN7rocprim17ROCPRIM_400000_NS6detail17trampoline_kernelINS0_14default_configENS1_20scan_config_selectorIyEEZZNS1_9scan_implILNS1_25lookback_scan_determinismE0ELb0ELb0ES3_N6thrust23THRUST_200600_302600_NS6detail15normal_iteratorINS9_10device_ptrIyEEEENS9_16discard_iteratorINS9_11use_defaultEEEy11max_functorIyEyEEDaPvRmT3_T4_T5_mT6_P12ihipStream_tbENKUlT_T0_E_clISt17integral_constantIbLb1EESW_IbLb0EEEEDaSS_ST_EUlSS_E0_NS1_11comp_targetILNS1_3genE4ELNS1_11target_archE910ELNS1_3gpuE8ELNS1_3repE0EEENS1_30default_config_static_selectorELNS0_4arch9wavefront6targetE1EEEvT1_: ; @_ZN7rocprim17ROCPRIM_400000_NS6detail17trampoline_kernelINS0_14default_configENS1_20scan_config_selectorIyEEZZNS1_9scan_implILNS1_25lookback_scan_determinismE0ELb0ELb0ES3_N6thrust23THRUST_200600_302600_NS6detail15normal_iteratorINS9_10device_ptrIyEEEENS9_16discard_iteratorINS9_11use_defaultEEEy11max_functorIyEyEEDaPvRmT3_T4_T5_mT6_P12ihipStream_tbENKUlT_T0_E_clISt17integral_constantIbLb1EESW_IbLb0EEEEDaSS_ST_EUlSS_E0_NS1_11comp_targetILNS1_3genE4ELNS1_11target_archE910ELNS1_3gpuE8ELNS1_3repE0EEENS1_30default_config_static_selectorELNS0_4arch9wavefront6targetE1EEEvT1_
; %bb.0:
	s_load_dwordx4 s[0:3], s[4:5], 0x0
	v_lshlrev_b32_e32 v1, 3, v0
	s_waitcnt lgkmcnt(0)
	s_load_dwordx2 s[4:5], s[0:1], 0x0
	v_cmp_gt_u32_e32 vcc, s2, v0
	s_waitcnt lgkmcnt(0)
	v_pk_mov_b32 v[2:3], s[4:5], s[4:5] op_sel:[0,1]
	s_and_saveexec_b64 s[6:7], vcc
	s_cbranch_execz .LBB3325_2
; %bb.1:
	global_load_dwordx2 v[2:3], v1, s[0:1]
.LBB3325_2:
	s_or_b64 exec, exec, s[6:7]
	v_or_b32_e32 v4, 0x80, v0
	v_cmp_gt_u32_e32 vcc, s2, v4
	v_pk_mov_b32 v[4:5], s[4:5], s[4:5] op_sel:[0,1]
	s_and_saveexec_b64 s[6:7], vcc
	s_cbranch_execz .LBB3325_4
; %bb.3:
	global_load_dwordx2 v[4:5], v1, s[0:1] offset:1024
.LBB3325_4:
	s_or_b64 exec, exec, s[6:7]
	v_or_b32_e32 v6, 0x100, v0
	v_cmp_gt_u32_e32 vcc, s2, v6
	v_pk_mov_b32 v[6:7], s[4:5], s[4:5] op_sel:[0,1]
	s_and_saveexec_b64 s[6:7], vcc
	s_cbranch_execz .LBB3325_6
; %bb.5:
	global_load_dwordx2 v[6:7], v1, s[0:1] offset:2048
.LBB3325_6:
	;; [unrolled: 9-line block ×3, first 2 shown]
	s_or_b64 exec, exec, s[6:7]
	v_or_b32_e32 v12, 0x200, v0
	v_cmp_gt_u32_e32 vcc, s2, v12
	v_pk_mov_b32 v[10:11], s[4:5], s[4:5] op_sel:[0,1]
	s_and_saveexec_b64 s[6:7], vcc
	s_cbranch_execz .LBB3325_10
; %bb.9:
	v_lshlrev_b32_e32 v10, 3, v12
	global_load_dwordx2 v[10:11], v10, s[0:1]
.LBB3325_10:
	s_or_b64 exec, exec, s[6:7]
	v_or_b32_e32 v14, 0x280, v0
	v_cmp_gt_u32_e32 vcc, s2, v14
	v_pk_mov_b32 v[12:13], s[4:5], s[4:5] op_sel:[0,1]
	s_and_saveexec_b64 s[6:7], vcc
	s_cbranch_execz .LBB3325_12
; %bb.11:
	v_lshlrev_b32_e32 v12, 3, v14
	global_load_dwordx2 v[12:13], v12, s[0:1]
.LBB3325_12:
	;; [unrolled: 10-line block ×3, first 2 shown]
	s_or_b64 exec, exec, s[2:3]
	s_waitcnt vmcnt(0)
	ds_write2st64_b64 v1, v[2:3], v[4:5] offset1:2
	ds_write2st64_b64 v1, v[6:7], v[8:9] offset0:4 offset1:6
	ds_write2st64_b64 v1, v[10:11], v[12:13] offset0:8 offset1:10
	ds_write_b64 v1, v[14:15] offset:6144
	v_mad_u32_u24 v14, v0, 48, v1
	s_waitcnt lgkmcnt(0)
	s_barrier
	ds_read2_b64 v[2:5], v14 offset1:1
	ds_read2_b64 v[10:13], v14 offset0:2 offset1:3
	ds_read2_b64 v[6:9], v14 offset0:4 offset1:5
	ds_read_b64 v[26:27], v14 offset:48
	v_lshrrev_b32_e32 v14, 2, v0
	s_waitcnt lgkmcnt(3)
	v_cmp_gt_u64_e32 vcc, v[2:3], v[4:5]
	v_cndmask_b32_e32 v19, v5, v3, vcc
	v_cndmask_b32_e32 v18, v4, v2, vcc
	s_waitcnt lgkmcnt(2)
	v_cmp_gt_u64_e32 vcc, v[18:19], v[10:11]
	v_cndmask_b32_e32 v21, v11, v19, vcc
	v_cndmask_b32_e32 v20, v10, v18, vcc
	v_cmp_gt_u64_e32 vcc, v[20:21], v[12:13]
	v_cndmask_b32_e32 v23, v13, v21, vcc
	v_cndmask_b32_e32 v22, v12, v20, vcc
	s_waitcnt lgkmcnt(1)
	v_cmp_gt_u64_e32 vcc, v[22:23], v[6:7]
	v_cndmask_b32_e32 v25, v7, v23, vcc
	v_cndmask_b32_e32 v24, v6, v22, vcc
	v_cmp_gt_u64_e32 vcc, v[24:25], v[8:9]
	v_cndmask_b32_e32 v29, v9, v25, vcc
	v_cndmask_b32_e32 v28, v8, v24, vcc
	s_waitcnt lgkmcnt(0)
	v_cmp_gt_u64_e32 vcc, v[28:29], v[26:27]
	v_and_b32_e32 v14, 24, v14
	v_cndmask_b32_e32 v31, v27, v29, vcc
	v_cndmask_b32_e32 v30, v26, v28, vcc
	v_add_u32_e32 v14, v1, v14
	v_cmp_gt_u32_e32 vcc, 64, v0
	s_barrier
	ds_write_b64 v14, v[30:31]
	s_waitcnt lgkmcnt(0)
	s_barrier
	s_and_saveexec_b64 s[2:3], vcc
	s_cbranch_execz .LBB3325_18
; %bb.15:
	v_lshlrev_b32_e32 v14, 1, v0
	v_lshrrev_b32_e32 v15, 4, v0
	v_add_lshl_u32 v36, v15, v14, 3
	ds_read2_b64 v[14:17], v36 offset1:1
	v_mbcnt_lo_u32_b32 v32, -1, 0
	v_mbcnt_hi_u32_b32 v37, -1, v32
	v_and_b32_e32 v38, 15, v37
	v_and_b32_e32 v40, 16, v37
	s_waitcnt lgkmcnt(0)
	v_cmp_gt_u64_e32 vcc, v[14:15], v[16:17]
	v_cndmask_b32_e32 v17, v17, v15, vcc
	v_cndmask_b32_e32 v16, v16, v14, vcc
	v_cmp_ne_u32_e64 s[0:1], 0, v37
	v_mov_b32_dpp v33, v17 row_shr:1 row_mask:0xf bank_mask:0xf
	v_mov_b32_dpp v32, v16 row_shr:1 row_mask:0xf bank_mask:0xf
	v_cmp_gt_u64_e32 vcc, v[32:33], v[16:17]
	v_cndmask_b32_e32 v32, v16, v32, vcc
	v_cndmask_b32_e32 v33, v17, v33, vcc
	v_cmp_eq_u32_e32 vcc, 0, v38
	v_cndmask_b32_e32 v33, v33, v17, vcc
	v_cndmask_b32_e32 v32, v32, v16, vcc
	s_nop 0
	v_mov_b32_dpp v35, v33 row_shr:2 row_mask:0xf bank_mask:0xf
	v_mov_b32_dpp v34, v32 row_shr:2 row_mask:0xf bank_mask:0xf
	v_cmp_gt_u64_e32 vcc, v[34:35], v[32:33]
	v_cndmask_b32_e32 v34, v32, v34, vcc
	v_cndmask_b32_e32 v35, v33, v35, vcc
	v_cmp_lt_u32_e32 vcc, 1, v38
	v_cndmask_b32_e32 v33, v33, v35, vcc
	v_cndmask_b32_e32 v32, v32, v34, vcc
	s_nop 0
	v_mov_b32_dpp v35, v33 row_shr:4 row_mask:0xf bank_mask:0xf
	v_mov_b32_dpp v34, v32 row_shr:4 row_mask:0xf bank_mask:0xf
	v_cmp_gt_u64_e32 vcc, v[34:35], v[32:33]
	v_cndmask_b32_e32 v34, v32, v34, vcc
	v_cndmask_b32_e32 v35, v33, v35, vcc
	v_cmp_lt_u32_e32 vcc, 3, v38
	;; [unrolled: 9-line block ×3, first 2 shown]
	v_cndmask_b32_e32 v33, v33, v35, vcc
	v_cndmask_b32_e32 v32, v32, v34, vcc
	s_nop 0
	v_mov_b32_dpp v35, v33 row_bcast:15 row_mask:0xf bank_mask:0xf
	v_mov_b32_dpp v34, v32 row_bcast:15 row_mask:0xf bank_mask:0xf
	v_cmp_gt_u64_e32 vcc, v[34:35], v[32:33]
	v_cndmask_b32_e32 v38, v33, v35, vcc
	v_cndmask_b32_e32 v39, v32, v34, vcc
	v_cmp_eq_u32_e32 vcc, 0, v40
	v_cndmask_b32_e32 v35, v38, v33, vcc
	v_cndmask_b32_e32 v34, v39, v32, vcc
	s_nop 0
	v_mov_b32_dpp v35, v35 row_bcast:31 row_mask:0xf bank_mask:0xf
	v_mov_b32_dpp v34, v34 row_bcast:31 row_mask:0xf bank_mask:0xf
	s_and_saveexec_b64 s[4:5], s[0:1]
; %bb.16:
	v_cndmask_b32_e32 v17, v38, v33, vcc
	v_cndmask_b32_e32 v16, v39, v32, vcc
	v_cmp_lt_u32_e64 s[0:1], 31, v37
	v_cmp_gt_u64_e32 vcc, v[34:35], v[16:17]
	s_and_b64 vcc, s[0:1], vcc
	v_cndmask_b32_e32 v16, v16, v34, vcc
	v_cndmask_b32_e32 v17, v17, v35, vcc
; %bb.17:
	s_or_b64 exec, exec, s[4:5]
	v_add_u32_e32 v32, -1, v37
	v_and_b32_e32 v33, 64, v37
	v_cmp_lt_i32_e32 vcc, v32, v33
	v_cndmask_b32_e32 v32, v32, v37, vcc
	v_lshlrev_b32_e32 v32, 2, v32
	ds_bpermute_b32 v16, v32, v16
	ds_bpermute_b32 v17, v32, v17
	; wave barrier
	s_waitcnt lgkmcnt(0)
	v_cmp_gt_u64_e32 vcc, v[16:17], v[14:15]
	v_cndmask_b32_e32 v14, v14, v16, vcc
	v_cndmask_b32_e32 v15, v15, v17, vcc
	v_cmp_eq_u32_e32 vcc, 0, v0
	v_cndmask_b32_e32 v15, v15, v31, vcc
	v_cndmask_b32_e32 v14, v14, v30, vcc
	ds_write_b64 v36, v[14:15]
	; wave barrier
	ds_read_b64 v[16:17], v36 offset:8
	s_waitcnt lgkmcnt(0)
	v_cmp_gt_u64_e32 vcc, v[14:15], v[16:17]
	v_cndmask_b32_e32 v15, v17, v15, vcc
	v_cndmask_b32_e32 v14, v16, v14, vcc
	ds_write_b64 v36, v[14:15] offset:8
.LBB3325_18:
	s_or_b64 exec, exec, s[2:3]
	v_mul_u32_u24_e32 v16, 48, v0
	v_cmp_ne_u32_e32 vcc, 0, v0
	v_pk_mov_b32 v[14:15], v[30:31], v[30:31] op_sel:[0,1]
	s_waitcnt lgkmcnt(0)
	s_barrier
	s_and_saveexec_b64 s[0:1], vcc
	s_cbranch_execz .LBB3325_20
; %bb.19:
	v_add_u32_e32 v0, -1, v0
	v_lshrrev_b32_e32 v14, 5, v0
	v_add_lshl_u32 v0, v14, v0, 3
	ds_read_b64 v[14:15], v0
.LBB3325_20:
	s_or_b64 exec, exec, s[0:1]
	s_and_saveexec_b64 s[0:1], vcc
	s_cbranch_execz .LBB3325_22
; %bb.21:
	s_waitcnt lgkmcnt(0)
	v_cmp_gt_u64_e32 vcc, v[14:15], v[2:3]
	v_cndmask_b32_e32 v3, v3, v15, vcc
	v_cndmask_b32_e32 v2, v2, v14, vcc
	v_cmp_gt_u64_e32 vcc, v[2:3], v[4:5]
	v_cndmask_b32_e32 v19, v5, v3, vcc
	v_cndmask_b32_e32 v18, v4, v2, vcc
	;; [unrolled: 3-line block ×7, first 2 shown]
	;;#ASMSTART
	;;#ASMEND
.LBB3325_22:
	s_or_b64 exec, exec, s[0:1]
	v_add_u32_e32 v0, v1, v16
	s_waitcnt lgkmcnt(0)
	s_barrier
	ds_write2_b64 v0, v[2:3], v[18:19] offset1:1
	ds_write2_b64 v0, v[20:21], v[22:23] offset0:2 offset1:3
	ds_write2_b64 v0, v[24:25], v[28:29] offset0:4 offset1:5
	ds_write_b64 v0, v[30:31] offset:48
	s_waitcnt lgkmcnt(0)
	s_barrier
	s_endpgm
	.section	.rodata,"a",@progbits
	.p2align	6, 0x0
	.amdhsa_kernel _ZN7rocprim17ROCPRIM_400000_NS6detail17trampoline_kernelINS0_14default_configENS1_20scan_config_selectorIyEEZZNS1_9scan_implILNS1_25lookback_scan_determinismE0ELb0ELb0ES3_N6thrust23THRUST_200600_302600_NS6detail15normal_iteratorINS9_10device_ptrIyEEEENS9_16discard_iteratorINS9_11use_defaultEEEy11max_functorIyEyEEDaPvRmT3_T4_T5_mT6_P12ihipStream_tbENKUlT_T0_E_clISt17integral_constantIbLb1EESW_IbLb0EEEEDaSS_ST_EUlSS_E0_NS1_11comp_targetILNS1_3genE4ELNS1_11target_archE910ELNS1_3gpuE8ELNS1_3repE0EEENS1_30default_config_static_selectorELNS0_4arch9wavefront6targetE1EEEvT1_
		.amdhsa_group_segment_fixed_size 7168
		.amdhsa_private_segment_fixed_size 0
		.amdhsa_kernarg_size 48
		.amdhsa_user_sgpr_count 6
		.amdhsa_user_sgpr_private_segment_buffer 1
		.amdhsa_user_sgpr_dispatch_ptr 0
		.amdhsa_user_sgpr_queue_ptr 0
		.amdhsa_user_sgpr_kernarg_segment_ptr 1
		.amdhsa_user_sgpr_dispatch_id 0
		.amdhsa_user_sgpr_flat_scratch_init 0
		.amdhsa_user_sgpr_kernarg_preload_length 0
		.amdhsa_user_sgpr_kernarg_preload_offset 0
		.amdhsa_user_sgpr_private_segment_size 0
		.amdhsa_uses_dynamic_stack 0
		.amdhsa_system_sgpr_private_segment_wavefront_offset 0
		.amdhsa_system_sgpr_workgroup_id_x 1
		.amdhsa_system_sgpr_workgroup_id_y 0
		.amdhsa_system_sgpr_workgroup_id_z 0
		.amdhsa_system_sgpr_workgroup_info 0
		.amdhsa_system_vgpr_workitem_id 0
		.amdhsa_next_free_vgpr 41
		.amdhsa_next_free_sgpr 8
		.amdhsa_accum_offset 44
		.amdhsa_reserve_vcc 1
		.amdhsa_reserve_flat_scratch 0
		.amdhsa_float_round_mode_32 0
		.amdhsa_float_round_mode_16_64 0
		.amdhsa_float_denorm_mode_32 3
		.amdhsa_float_denorm_mode_16_64 3
		.amdhsa_dx10_clamp 1
		.amdhsa_ieee_mode 1
		.amdhsa_fp16_overflow 0
		.amdhsa_tg_split 0
		.amdhsa_exception_fp_ieee_invalid_op 0
		.amdhsa_exception_fp_denorm_src 0
		.amdhsa_exception_fp_ieee_div_zero 0
		.amdhsa_exception_fp_ieee_overflow 0
		.amdhsa_exception_fp_ieee_underflow 0
		.amdhsa_exception_fp_ieee_inexact 0
		.amdhsa_exception_int_div_zero 0
	.end_amdhsa_kernel
	.section	.text._ZN7rocprim17ROCPRIM_400000_NS6detail17trampoline_kernelINS0_14default_configENS1_20scan_config_selectorIyEEZZNS1_9scan_implILNS1_25lookback_scan_determinismE0ELb0ELb0ES3_N6thrust23THRUST_200600_302600_NS6detail15normal_iteratorINS9_10device_ptrIyEEEENS9_16discard_iteratorINS9_11use_defaultEEEy11max_functorIyEyEEDaPvRmT3_T4_T5_mT6_P12ihipStream_tbENKUlT_T0_E_clISt17integral_constantIbLb1EESW_IbLb0EEEEDaSS_ST_EUlSS_E0_NS1_11comp_targetILNS1_3genE4ELNS1_11target_archE910ELNS1_3gpuE8ELNS1_3repE0EEENS1_30default_config_static_selectorELNS0_4arch9wavefront6targetE1EEEvT1_,"axG",@progbits,_ZN7rocprim17ROCPRIM_400000_NS6detail17trampoline_kernelINS0_14default_configENS1_20scan_config_selectorIyEEZZNS1_9scan_implILNS1_25lookback_scan_determinismE0ELb0ELb0ES3_N6thrust23THRUST_200600_302600_NS6detail15normal_iteratorINS9_10device_ptrIyEEEENS9_16discard_iteratorINS9_11use_defaultEEEy11max_functorIyEyEEDaPvRmT3_T4_T5_mT6_P12ihipStream_tbENKUlT_T0_E_clISt17integral_constantIbLb1EESW_IbLb0EEEEDaSS_ST_EUlSS_E0_NS1_11comp_targetILNS1_3genE4ELNS1_11target_archE910ELNS1_3gpuE8ELNS1_3repE0EEENS1_30default_config_static_selectorELNS0_4arch9wavefront6targetE1EEEvT1_,comdat
.Lfunc_end3325:
	.size	_ZN7rocprim17ROCPRIM_400000_NS6detail17trampoline_kernelINS0_14default_configENS1_20scan_config_selectorIyEEZZNS1_9scan_implILNS1_25lookback_scan_determinismE0ELb0ELb0ES3_N6thrust23THRUST_200600_302600_NS6detail15normal_iteratorINS9_10device_ptrIyEEEENS9_16discard_iteratorINS9_11use_defaultEEEy11max_functorIyEyEEDaPvRmT3_T4_T5_mT6_P12ihipStream_tbENKUlT_T0_E_clISt17integral_constantIbLb1EESW_IbLb0EEEEDaSS_ST_EUlSS_E0_NS1_11comp_targetILNS1_3genE4ELNS1_11target_archE910ELNS1_3gpuE8ELNS1_3repE0EEENS1_30default_config_static_selectorELNS0_4arch9wavefront6targetE1EEEvT1_, .Lfunc_end3325-_ZN7rocprim17ROCPRIM_400000_NS6detail17trampoline_kernelINS0_14default_configENS1_20scan_config_selectorIyEEZZNS1_9scan_implILNS1_25lookback_scan_determinismE0ELb0ELb0ES3_N6thrust23THRUST_200600_302600_NS6detail15normal_iteratorINS9_10device_ptrIyEEEENS9_16discard_iteratorINS9_11use_defaultEEEy11max_functorIyEyEEDaPvRmT3_T4_T5_mT6_P12ihipStream_tbENKUlT_T0_E_clISt17integral_constantIbLb1EESW_IbLb0EEEEDaSS_ST_EUlSS_E0_NS1_11comp_targetILNS1_3genE4ELNS1_11target_archE910ELNS1_3gpuE8ELNS1_3repE0EEENS1_30default_config_static_selectorELNS0_4arch9wavefront6targetE1EEEvT1_
                                        ; -- End function
	.section	.AMDGPU.csdata,"",@progbits
; Kernel info:
; codeLenInByte = 1200
; NumSgprs: 12
; NumVgprs: 41
; NumAgprs: 0
; TotalNumVgprs: 41
; ScratchSize: 0
; MemoryBound: 0
; FloatMode: 240
; IeeeMode: 1
; LDSByteSize: 7168 bytes/workgroup (compile time only)
; SGPRBlocks: 1
; VGPRBlocks: 5
; NumSGPRsForWavesPerEU: 12
; NumVGPRsForWavesPerEU: 41
; AccumOffset: 44
; Occupancy: 5
; WaveLimiterHint : 0
; COMPUTE_PGM_RSRC2:SCRATCH_EN: 0
; COMPUTE_PGM_RSRC2:USER_SGPR: 6
; COMPUTE_PGM_RSRC2:TRAP_HANDLER: 0
; COMPUTE_PGM_RSRC2:TGID_X_EN: 1
; COMPUTE_PGM_RSRC2:TGID_Y_EN: 0
; COMPUTE_PGM_RSRC2:TGID_Z_EN: 0
; COMPUTE_PGM_RSRC2:TIDIG_COMP_CNT: 0
; COMPUTE_PGM_RSRC3_GFX90A:ACCUM_OFFSET: 10
; COMPUTE_PGM_RSRC3_GFX90A:TG_SPLIT: 0
	.section	.text._ZN7rocprim17ROCPRIM_400000_NS6detail17trampoline_kernelINS0_14default_configENS1_20scan_config_selectorIyEEZZNS1_9scan_implILNS1_25lookback_scan_determinismE0ELb0ELb0ES3_N6thrust23THRUST_200600_302600_NS6detail15normal_iteratorINS9_10device_ptrIyEEEENS9_16discard_iteratorINS9_11use_defaultEEEy11max_functorIyEyEEDaPvRmT3_T4_T5_mT6_P12ihipStream_tbENKUlT_T0_E_clISt17integral_constantIbLb1EESW_IbLb0EEEEDaSS_ST_EUlSS_E0_NS1_11comp_targetILNS1_3genE3ELNS1_11target_archE908ELNS1_3gpuE7ELNS1_3repE0EEENS1_30default_config_static_selectorELNS0_4arch9wavefront6targetE1EEEvT1_,"axG",@progbits,_ZN7rocprim17ROCPRIM_400000_NS6detail17trampoline_kernelINS0_14default_configENS1_20scan_config_selectorIyEEZZNS1_9scan_implILNS1_25lookback_scan_determinismE0ELb0ELb0ES3_N6thrust23THRUST_200600_302600_NS6detail15normal_iteratorINS9_10device_ptrIyEEEENS9_16discard_iteratorINS9_11use_defaultEEEy11max_functorIyEyEEDaPvRmT3_T4_T5_mT6_P12ihipStream_tbENKUlT_T0_E_clISt17integral_constantIbLb1EESW_IbLb0EEEEDaSS_ST_EUlSS_E0_NS1_11comp_targetILNS1_3genE3ELNS1_11target_archE908ELNS1_3gpuE7ELNS1_3repE0EEENS1_30default_config_static_selectorELNS0_4arch9wavefront6targetE1EEEvT1_,comdat
	.protected	_ZN7rocprim17ROCPRIM_400000_NS6detail17trampoline_kernelINS0_14default_configENS1_20scan_config_selectorIyEEZZNS1_9scan_implILNS1_25lookback_scan_determinismE0ELb0ELb0ES3_N6thrust23THRUST_200600_302600_NS6detail15normal_iteratorINS9_10device_ptrIyEEEENS9_16discard_iteratorINS9_11use_defaultEEEy11max_functorIyEyEEDaPvRmT3_T4_T5_mT6_P12ihipStream_tbENKUlT_T0_E_clISt17integral_constantIbLb1EESW_IbLb0EEEEDaSS_ST_EUlSS_E0_NS1_11comp_targetILNS1_3genE3ELNS1_11target_archE908ELNS1_3gpuE7ELNS1_3repE0EEENS1_30default_config_static_selectorELNS0_4arch9wavefront6targetE1EEEvT1_ ; -- Begin function _ZN7rocprim17ROCPRIM_400000_NS6detail17trampoline_kernelINS0_14default_configENS1_20scan_config_selectorIyEEZZNS1_9scan_implILNS1_25lookback_scan_determinismE0ELb0ELb0ES3_N6thrust23THRUST_200600_302600_NS6detail15normal_iteratorINS9_10device_ptrIyEEEENS9_16discard_iteratorINS9_11use_defaultEEEy11max_functorIyEyEEDaPvRmT3_T4_T5_mT6_P12ihipStream_tbENKUlT_T0_E_clISt17integral_constantIbLb1EESW_IbLb0EEEEDaSS_ST_EUlSS_E0_NS1_11comp_targetILNS1_3genE3ELNS1_11target_archE908ELNS1_3gpuE7ELNS1_3repE0EEENS1_30default_config_static_selectorELNS0_4arch9wavefront6targetE1EEEvT1_
	.globl	_ZN7rocprim17ROCPRIM_400000_NS6detail17trampoline_kernelINS0_14default_configENS1_20scan_config_selectorIyEEZZNS1_9scan_implILNS1_25lookback_scan_determinismE0ELb0ELb0ES3_N6thrust23THRUST_200600_302600_NS6detail15normal_iteratorINS9_10device_ptrIyEEEENS9_16discard_iteratorINS9_11use_defaultEEEy11max_functorIyEyEEDaPvRmT3_T4_T5_mT6_P12ihipStream_tbENKUlT_T0_E_clISt17integral_constantIbLb1EESW_IbLb0EEEEDaSS_ST_EUlSS_E0_NS1_11comp_targetILNS1_3genE3ELNS1_11target_archE908ELNS1_3gpuE7ELNS1_3repE0EEENS1_30default_config_static_selectorELNS0_4arch9wavefront6targetE1EEEvT1_
	.p2align	8
	.type	_ZN7rocprim17ROCPRIM_400000_NS6detail17trampoline_kernelINS0_14default_configENS1_20scan_config_selectorIyEEZZNS1_9scan_implILNS1_25lookback_scan_determinismE0ELb0ELb0ES3_N6thrust23THRUST_200600_302600_NS6detail15normal_iteratorINS9_10device_ptrIyEEEENS9_16discard_iteratorINS9_11use_defaultEEEy11max_functorIyEyEEDaPvRmT3_T4_T5_mT6_P12ihipStream_tbENKUlT_T0_E_clISt17integral_constantIbLb1EESW_IbLb0EEEEDaSS_ST_EUlSS_E0_NS1_11comp_targetILNS1_3genE3ELNS1_11target_archE908ELNS1_3gpuE7ELNS1_3repE0EEENS1_30default_config_static_selectorELNS0_4arch9wavefront6targetE1EEEvT1_,@function
_ZN7rocprim17ROCPRIM_400000_NS6detail17trampoline_kernelINS0_14default_configENS1_20scan_config_selectorIyEEZZNS1_9scan_implILNS1_25lookback_scan_determinismE0ELb0ELb0ES3_N6thrust23THRUST_200600_302600_NS6detail15normal_iteratorINS9_10device_ptrIyEEEENS9_16discard_iteratorINS9_11use_defaultEEEy11max_functorIyEyEEDaPvRmT3_T4_T5_mT6_P12ihipStream_tbENKUlT_T0_E_clISt17integral_constantIbLb1EESW_IbLb0EEEEDaSS_ST_EUlSS_E0_NS1_11comp_targetILNS1_3genE3ELNS1_11target_archE908ELNS1_3gpuE7ELNS1_3repE0EEENS1_30default_config_static_selectorELNS0_4arch9wavefront6targetE1EEEvT1_: ; @_ZN7rocprim17ROCPRIM_400000_NS6detail17trampoline_kernelINS0_14default_configENS1_20scan_config_selectorIyEEZZNS1_9scan_implILNS1_25lookback_scan_determinismE0ELb0ELb0ES3_N6thrust23THRUST_200600_302600_NS6detail15normal_iteratorINS9_10device_ptrIyEEEENS9_16discard_iteratorINS9_11use_defaultEEEy11max_functorIyEyEEDaPvRmT3_T4_T5_mT6_P12ihipStream_tbENKUlT_T0_E_clISt17integral_constantIbLb1EESW_IbLb0EEEEDaSS_ST_EUlSS_E0_NS1_11comp_targetILNS1_3genE3ELNS1_11target_archE908ELNS1_3gpuE7ELNS1_3repE0EEENS1_30default_config_static_selectorELNS0_4arch9wavefront6targetE1EEEvT1_
; %bb.0:
	.section	.rodata,"a",@progbits
	.p2align	6, 0x0
	.amdhsa_kernel _ZN7rocprim17ROCPRIM_400000_NS6detail17trampoline_kernelINS0_14default_configENS1_20scan_config_selectorIyEEZZNS1_9scan_implILNS1_25lookback_scan_determinismE0ELb0ELb0ES3_N6thrust23THRUST_200600_302600_NS6detail15normal_iteratorINS9_10device_ptrIyEEEENS9_16discard_iteratorINS9_11use_defaultEEEy11max_functorIyEyEEDaPvRmT3_T4_T5_mT6_P12ihipStream_tbENKUlT_T0_E_clISt17integral_constantIbLb1EESW_IbLb0EEEEDaSS_ST_EUlSS_E0_NS1_11comp_targetILNS1_3genE3ELNS1_11target_archE908ELNS1_3gpuE7ELNS1_3repE0EEENS1_30default_config_static_selectorELNS0_4arch9wavefront6targetE1EEEvT1_
		.amdhsa_group_segment_fixed_size 0
		.amdhsa_private_segment_fixed_size 0
		.amdhsa_kernarg_size 48
		.amdhsa_user_sgpr_count 6
		.amdhsa_user_sgpr_private_segment_buffer 1
		.amdhsa_user_sgpr_dispatch_ptr 0
		.amdhsa_user_sgpr_queue_ptr 0
		.amdhsa_user_sgpr_kernarg_segment_ptr 1
		.amdhsa_user_sgpr_dispatch_id 0
		.amdhsa_user_sgpr_flat_scratch_init 0
		.amdhsa_user_sgpr_kernarg_preload_length 0
		.amdhsa_user_sgpr_kernarg_preload_offset 0
		.amdhsa_user_sgpr_private_segment_size 0
		.amdhsa_uses_dynamic_stack 0
		.amdhsa_system_sgpr_private_segment_wavefront_offset 0
		.amdhsa_system_sgpr_workgroup_id_x 1
		.amdhsa_system_sgpr_workgroup_id_y 0
		.amdhsa_system_sgpr_workgroup_id_z 0
		.amdhsa_system_sgpr_workgroup_info 0
		.amdhsa_system_vgpr_workitem_id 0
		.amdhsa_next_free_vgpr 1
		.amdhsa_next_free_sgpr 0
		.amdhsa_accum_offset 4
		.amdhsa_reserve_vcc 0
		.amdhsa_reserve_flat_scratch 0
		.amdhsa_float_round_mode_32 0
		.amdhsa_float_round_mode_16_64 0
		.amdhsa_float_denorm_mode_32 3
		.amdhsa_float_denorm_mode_16_64 3
		.amdhsa_dx10_clamp 1
		.amdhsa_ieee_mode 1
		.amdhsa_fp16_overflow 0
		.amdhsa_tg_split 0
		.amdhsa_exception_fp_ieee_invalid_op 0
		.amdhsa_exception_fp_denorm_src 0
		.amdhsa_exception_fp_ieee_div_zero 0
		.amdhsa_exception_fp_ieee_overflow 0
		.amdhsa_exception_fp_ieee_underflow 0
		.amdhsa_exception_fp_ieee_inexact 0
		.amdhsa_exception_int_div_zero 0
	.end_amdhsa_kernel
	.section	.text._ZN7rocprim17ROCPRIM_400000_NS6detail17trampoline_kernelINS0_14default_configENS1_20scan_config_selectorIyEEZZNS1_9scan_implILNS1_25lookback_scan_determinismE0ELb0ELb0ES3_N6thrust23THRUST_200600_302600_NS6detail15normal_iteratorINS9_10device_ptrIyEEEENS9_16discard_iteratorINS9_11use_defaultEEEy11max_functorIyEyEEDaPvRmT3_T4_T5_mT6_P12ihipStream_tbENKUlT_T0_E_clISt17integral_constantIbLb1EESW_IbLb0EEEEDaSS_ST_EUlSS_E0_NS1_11comp_targetILNS1_3genE3ELNS1_11target_archE908ELNS1_3gpuE7ELNS1_3repE0EEENS1_30default_config_static_selectorELNS0_4arch9wavefront6targetE1EEEvT1_,"axG",@progbits,_ZN7rocprim17ROCPRIM_400000_NS6detail17trampoline_kernelINS0_14default_configENS1_20scan_config_selectorIyEEZZNS1_9scan_implILNS1_25lookback_scan_determinismE0ELb0ELb0ES3_N6thrust23THRUST_200600_302600_NS6detail15normal_iteratorINS9_10device_ptrIyEEEENS9_16discard_iteratorINS9_11use_defaultEEEy11max_functorIyEyEEDaPvRmT3_T4_T5_mT6_P12ihipStream_tbENKUlT_T0_E_clISt17integral_constantIbLb1EESW_IbLb0EEEEDaSS_ST_EUlSS_E0_NS1_11comp_targetILNS1_3genE3ELNS1_11target_archE908ELNS1_3gpuE7ELNS1_3repE0EEENS1_30default_config_static_selectorELNS0_4arch9wavefront6targetE1EEEvT1_,comdat
.Lfunc_end3326:
	.size	_ZN7rocprim17ROCPRIM_400000_NS6detail17trampoline_kernelINS0_14default_configENS1_20scan_config_selectorIyEEZZNS1_9scan_implILNS1_25lookback_scan_determinismE0ELb0ELb0ES3_N6thrust23THRUST_200600_302600_NS6detail15normal_iteratorINS9_10device_ptrIyEEEENS9_16discard_iteratorINS9_11use_defaultEEEy11max_functorIyEyEEDaPvRmT3_T4_T5_mT6_P12ihipStream_tbENKUlT_T0_E_clISt17integral_constantIbLb1EESW_IbLb0EEEEDaSS_ST_EUlSS_E0_NS1_11comp_targetILNS1_3genE3ELNS1_11target_archE908ELNS1_3gpuE7ELNS1_3repE0EEENS1_30default_config_static_selectorELNS0_4arch9wavefront6targetE1EEEvT1_, .Lfunc_end3326-_ZN7rocprim17ROCPRIM_400000_NS6detail17trampoline_kernelINS0_14default_configENS1_20scan_config_selectorIyEEZZNS1_9scan_implILNS1_25lookback_scan_determinismE0ELb0ELb0ES3_N6thrust23THRUST_200600_302600_NS6detail15normal_iteratorINS9_10device_ptrIyEEEENS9_16discard_iteratorINS9_11use_defaultEEEy11max_functorIyEyEEDaPvRmT3_T4_T5_mT6_P12ihipStream_tbENKUlT_T0_E_clISt17integral_constantIbLb1EESW_IbLb0EEEEDaSS_ST_EUlSS_E0_NS1_11comp_targetILNS1_3genE3ELNS1_11target_archE908ELNS1_3gpuE7ELNS1_3repE0EEENS1_30default_config_static_selectorELNS0_4arch9wavefront6targetE1EEEvT1_
                                        ; -- End function
	.section	.AMDGPU.csdata,"",@progbits
; Kernel info:
; codeLenInByte = 0
; NumSgprs: 4
; NumVgprs: 0
; NumAgprs: 0
; TotalNumVgprs: 0
; ScratchSize: 0
; MemoryBound: 0
; FloatMode: 240
; IeeeMode: 1
; LDSByteSize: 0 bytes/workgroup (compile time only)
; SGPRBlocks: 0
; VGPRBlocks: 0
; NumSGPRsForWavesPerEU: 4
; NumVGPRsForWavesPerEU: 1
; AccumOffset: 4
; Occupancy: 8
; WaveLimiterHint : 0
; COMPUTE_PGM_RSRC2:SCRATCH_EN: 0
; COMPUTE_PGM_RSRC2:USER_SGPR: 6
; COMPUTE_PGM_RSRC2:TRAP_HANDLER: 0
; COMPUTE_PGM_RSRC2:TGID_X_EN: 1
; COMPUTE_PGM_RSRC2:TGID_Y_EN: 0
; COMPUTE_PGM_RSRC2:TGID_Z_EN: 0
; COMPUTE_PGM_RSRC2:TIDIG_COMP_CNT: 0
; COMPUTE_PGM_RSRC3_GFX90A:ACCUM_OFFSET: 0
; COMPUTE_PGM_RSRC3_GFX90A:TG_SPLIT: 0
	.section	.text._ZN7rocprim17ROCPRIM_400000_NS6detail17trampoline_kernelINS0_14default_configENS1_20scan_config_selectorIyEEZZNS1_9scan_implILNS1_25lookback_scan_determinismE0ELb0ELb0ES3_N6thrust23THRUST_200600_302600_NS6detail15normal_iteratorINS9_10device_ptrIyEEEENS9_16discard_iteratorINS9_11use_defaultEEEy11max_functorIyEyEEDaPvRmT3_T4_T5_mT6_P12ihipStream_tbENKUlT_T0_E_clISt17integral_constantIbLb1EESW_IbLb0EEEEDaSS_ST_EUlSS_E0_NS1_11comp_targetILNS1_3genE2ELNS1_11target_archE906ELNS1_3gpuE6ELNS1_3repE0EEENS1_30default_config_static_selectorELNS0_4arch9wavefront6targetE1EEEvT1_,"axG",@progbits,_ZN7rocprim17ROCPRIM_400000_NS6detail17trampoline_kernelINS0_14default_configENS1_20scan_config_selectorIyEEZZNS1_9scan_implILNS1_25lookback_scan_determinismE0ELb0ELb0ES3_N6thrust23THRUST_200600_302600_NS6detail15normal_iteratorINS9_10device_ptrIyEEEENS9_16discard_iteratorINS9_11use_defaultEEEy11max_functorIyEyEEDaPvRmT3_T4_T5_mT6_P12ihipStream_tbENKUlT_T0_E_clISt17integral_constantIbLb1EESW_IbLb0EEEEDaSS_ST_EUlSS_E0_NS1_11comp_targetILNS1_3genE2ELNS1_11target_archE906ELNS1_3gpuE6ELNS1_3repE0EEENS1_30default_config_static_selectorELNS0_4arch9wavefront6targetE1EEEvT1_,comdat
	.protected	_ZN7rocprim17ROCPRIM_400000_NS6detail17trampoline_kernelINS0_14default_configENS1_20scan_config_selectorIyEEZZNS1_9scan_implILNS1_25lookback_scan_determinismE0ELb0ELb0ES3_N6thrust23THRUST_200600_302600_NS6detail15normal_iteratorINS9_10device_ptrIyEEEENS9_16discard_iteratorINS9_11use_defaultEEEy11max_functorIyEyEEDaPvRmT3_T4_T5_mT6_P12ihipStream_tbENKUlT_T0_E_clISt17integral_constantIbLb1EESW_IbLb0EEEEDaSS_ST_EUlSS_E0_NS1_11comp_targetILNS1_3genE2ELNS1_11target_archE906ELNS1_3gpuE6ELNS1_3repE0EEENS1_30default_config_static_selectorELNS0_4arch9wavefront6targetE1EEEvT1_ ; -- Begin function _ZN7rocprim17ROCPRIM_400000_NS6detail17trampoline_kernelINS0_14default_configENS1_20scan_config_selectorIyEEZZNS1_9scan_implILNS1_25lookback_scan_determinismE0ELb0ELb0ES3_N6thrust23THRUST_200600_302600_NS6detail15normal_iteratorINS9_10device_ptrIyEEEENS9_16discard_iteratorINS9_11use_defaultEEEy11max_functorIyEyEEDaPvRmT3_T4_T5_mT6_P12ihipStream_tbENKUlT_T0_E_clISt17integral_constantIbLb1EESW_IbLb0EEEEDaSS_ST_EUlSS_E0_NS1_11comp_targetILNS1_3genE2ELNS1_11target_archE906ELNS1_3gpuE6ELNS1_3repE0EEENS1_30default_config_static_selectorELNS0_4arch9wavefront6targetE1EEEvT1_
	.globl	_ZN7rocprim17ROCPRIM_400000_NS6detail17trampoline_kernelINS0_14default_configENS1_20scan_config_selectorIyEEZZNS1_9scan_implILNS1_25lookback_scan_determinismE0ELb0ELb0ES3_N6thrust23THRUST_200600_302600_NS6detail15normal_iteratorINS9_10device_ptrIyEEEENS9_16discard_iteratorINS9_11use_defaultEEEy11max_functorIyEyEEDaPvRmT3_T4_T5_mT6_P12ihipStream_tbENKUlT_T0_E_clISt17integral_constantIbLb1EESW_IbLb0EEEEDaSS_ST_EUlSS_E0_NS1_11comp_targetILNS1_3genE2ELNS1_11target_archE906ELNS1_3gpuE6ELNS1_3repE0EEENS1_30default_config_static_selectorELNS0_4arch9wavefront6targetE1EEEvT1_
	.p2align	8
	.type	_ZN7rocprim17ROCPRIM_400000_NS6detail17trampoline_kernelINS0_14default_configENS1_20scan_config_selectorIyEEZZNS1_9scan_implILNS1_25lookback_scan_determinismE0ELb0ELb0ES3_N6thrust23THRUST_200600_302600_NS6detail15normal_iteratorINS9_10device_ptrIyEEEENS9_16discard_iteratorINS9_11use_defaultEEEy11max_functorIyEyEEDaPvRmT3_T4_T5_mT6_P12ihipStream_tbENKUlT_T0_E_clISt17integral_constantIbLb1EESW_IbLb0EEEEDaSS_ST_EUlSS_E0_NS1_11comp_targetILNS1_3genE2ELNS1_11target_archE906ELNS1_3gpuE6ELNS1_3repE0EEENS1_30default_config_static_selectorELNS0_4arch9wavefront6targetE1EEEvT1_,@function
_ZN7rocprim17ROCPRIM_400000_NS6detail17trampoline_kernelINS0_14default_configENS1_20scan_config_selectorIyEEZZNS1_9scan_implILNS1_25lookback_scan_determinismE0ELb0ELb0ES3_N6thrust23THRUST_200600_302600_NS6detail15normal_iteratorINS9_10device_ptrIyEEEENS9_16discard_iteratorINS9_11use_defaultEEEy11max_functorIyEyEEDaPvRmT3_T4_T5_mT6_P12ihipStream_tbENKUlT_T0_E_clISt17integral_constantIbLb1EESW_IbLb0EEEEDaSS_ST_EUlSS_E0_NS1_11comp_targetILNS1_3genE2ELNS1_11target_archE906ELNS1_3gpuE6ELNS1_3repE0EEENS1_30default_config_static_selectorELNS0_4arch9wavefront6targetE1EEEvT1_: ; @_ZN7rocprim17ROCPRIM_400000_NS6detail17trampoline_kernelINS0_14default_configENS1_20scan_config_selectorIyEEZZNS1_9scan_implILNS1_25lookback_scan_determinismE0ELb0ELb0ES3_N6thrust23THRUST_200600_302600_NS6detail15normal_iteratorINS9_10device_ptrIyEEEENS9_16discard_iteratorINS9_11use_defaultEEEy11max_functorIyEyEEDaPvRmT3_T4_T5_mT6_P12ihipStream_tbENKUlT_T0_E_clISt17integral_constantIbLb1EESW_IbLb0EEEEDaSS_ST_EUlSS_E0_NS1_11comp_targetILNS1_3genE2ELNS1_11target_archE906ELNS1_3gpuE6ELNS1_3repE0EEENS1_30default_config_static_selectorELNS0_4arch9wavefront6targetE1EEEvT1_
; %bb.0:
	.section	.rodata,"a",@progbits
	.p2align	6, 0x0
	.amdhsa_kernel _ZN7rocprim17ROCPRIM_400000_NS6detail17trampoline_kernelINS0_14default_configENS1_20scan_config_selectorIyEEZZNS1_9scan_implILNS1_25lookback_scan_determinismE0ELb0ELb0ES3_N6thrust23THRUST_200600_302600_NS6detail15normal_iteratorINS9_10device_ptrIyEEEENS9_16discard_iteratorINS9_11use_defaultEEEy11max_functorIyEyEEDaPvRmT3_T4_T5_mT6_P12ihipStream_tbENKUlT_T0_E_clISt17integral_constantIbLb1EESW_IbLb0EEEEDaSS_ST_EUlSS_E0_NS1_11comp_targetILNS1_3genE2ELNS1_11target_archE906ELNS1_3gpuE6ELNS1_3repE0EEENS1_30default_config_static_selectorELNS0_4arch9wavefront6targetE1EEEvT1_
		.amdhsa_group_segment_fixed_size 0
		.amdhsa_private_segment_fixed_size 0
		.amdhsa_kernarg_size 48
		.amdhsa_user_sgpr_count 6
		.amdhsa_user_sgpr_private_segment_buffer 1
		.amdhsa_user_sgpr_dispatch_ptr 0
		.amdhsa_user_sgpr_queue_ptr 0
		.amdhsa_user_sgpr_kernarg_segment_ptr 1
		.amdhsa_user_sgpr_dispatch_id 0
		.amdhsa_user_sgpr_flat_scratch_init 0
		.amdhsa_user_sgpr_kernarg_preload_length 0
		.amdhsa_user_sgpr_kernarg_preload_offset 0
		.amdhsa_user_sgpr_private_segment_size 0
		.amdhsa_uses_dynamic_stack 0
		.amdhsa_system_sgpr_private_segment_wavefront_offset 0
		.amdhsa_system_sgpr_workgroup_id_x 1
		.amdhsa_system_sgpr_workgroup_id_y 0
		.amdhsa_system_sgpr_workgroup_id_z 0
		.amdhsa_system_sgpr_workgroup_info 0
		.amdhsa_system_vgpr_workitem_id 0
		.amdhsa_next_free_vgpr 1
		.amdhsa_next_free_sgpr 0
		.amdhsa_accum_offset 4
		.amdhsa_reserve_vcc 0
		.amdhsa_reserve_flat_scratch 0
		.amdhsa_float_round_mode_32 0
		.amdhsa_float_round_mode_16_64 0
		.amdhsa_float_denorm_mode_32 3
		.amdhsa_float_denorm_mode_16_64 3
		.amdhsa_dx10_clamp 1
		.amdhsa_ieee_mode 1
		.amdhsa_fp16_overflow 0
		.amdhsa_tg_split 0
		.amdhsa_exception_fp_ieee_invalid_op 0
		.amdhsa_exception_fp_denorm_src 0
		.amdhsa_exception_fp_ieee_div_zero 0
		.amdhsa_exception_fp_ieee_overflow 0
		.amdhsa_exception_fp_ieee_underflow 0
		.amdhsa_exception_fp_ieee_inexact 0
		.amdhsa_exception_int_div_zero 0
	.end_amdhsa_kernel
	.section	.text._ZN7rocprim17ROCPRIM_400000_NS6detail17trampoline_kernelINS0_14default_configENS1_20scan_config_selectorIyEEZZNS1_9scan_implILNS1_25lookback_scan_determinismE0ELb0ELb0ES3_N6thrust23THRUST_200600_302600_NS6detail15normal_iteratorINS9_10device_ptrIyEEEENS9_16discard_iteratorINS9_11use_defaultEEEy11max_functorIyEyEEDaPvRmT3_T4_T5_mT6_P12ihipStream_tbENKUlT_T0_E_clISt17integral_constantIbLb1EESW_IbLb0EEEEDaSS_ST_EUlSS_E0_NS1_11comp_targetILNS1_3genE2ELNS1_11target_archE906ELNS1_3gpuE6ELNS1_3repE0EEENS1_30default_config_static_selectorELNS0_4arch9wavefront6targetE1EEEvT1_,"axG",@progbits,_ZN7rocprim17ROCPRIM_400000_NS6detail17trampoline_kernelINS0_14default_configENS1_20scan_config_selectorIyEEZZNS1_9scan_implILNS1_25lookback_scan_determinismE0ELb0ELb0ES3_N6thrust23THRUST_200600_302600_NS6detail15normal_iteratorINS9_10device_ptrIyEEEENS9_16discard_iteratorINS9_11use_defaultEEEy11max_functorIyEyEEDaPvRmT3_T4_T5_mT6_P12ihipStream_tbENKUlT_T0_E_clISt17integral_constantIbLb1EESW_IbLb0EEEEDaSS_ST_EUlSS_E0_NS1_11comp_targetILNS1_3genE2ELNS1_11target_archE906ELNS1_3gpuE6ELNS1_3repE0EEENS1_30default_config_static_selectorELNS0_4arch9wavefront6targetE1EEEvT1_,comdat
.Lfunc_end3327:
	.size	_ZN7rocprim17ROCPRIM_400000_NS6detail17trampoline_kernelINS0_14default_configENS1_20scan_config_selectorIyEEZZNS1_9scan_implILNS1_25lookback_scan_determinismE0ELb0ELb0ES3_N6thrust23THRUST_200600_302600_NS6detail15normal_iteratorINS9_10device_ptrIyEEEENS9_16discard_iteratorINS9_11use_defaultEEEy11max_functorIyEyEEDaPvRmT3_T4_T5_mT6_P12ihipStream_tbENKUlT_T0_E_clISt17integral_constantIbLb1EESW_IbLb0EEEEDaSS_ST_EUlSS_E0_NS1_11comp_targetILNS1_3genE2ELNS1_11target_archE906ELNS1_3gpuE6ELNS1_3repE0EEENS1_30default_config_static_selectorELNS0_4arch9wavefront6targetE1EEEvT1_, .Lfunc_end3327-_ZN7rocprim17ROCPRIM_400000_NS6detail17trampoline_kernelINS0_14default_configENS1_20scan_config_selectorIyEEZZNS1_9scan_implILNS1_25lookback_scan_determinismE0ELb0ELb0ES3_N6thrust23THRUST_200600_302600_NS6detail15normal_iteratorINS9_10device_ptrIyEEEENS9_16discard_iteratorINS9_11use_defaultEEEy11max_functorIyEyEEDaPvRmT3_T4_T5_mT6_P12ihipStream_tbENKUlT_T0_E_clISt17integral_constantIbLb1EESW_IbLb0EEEEDaSS_ST_EUlSS_E0_NS1_11comp_targetILNS1_3genE2ELNS1_11target_archE906ELNS1_3gpuE6ELNS1_3repE0EEENS1_30default_config_static_selectorELNS0_4arch9wavefront6targetE1EEEvT1_
                                        ; -- End function
	.section	.AMDGPU.csdata,"",@progbits
; Kernel info:
; codeLenInByte = 0
; NumSgprs: 4
; NumVgprs: 0
; NumAgprs: 0
; TotalNumVgprs: 0
; ScratchSize: 0
; MemoryBound: 0
; FloatMode: 240
; IeeeMode: 1
; LDSByteSize: 0 bytes/workgroup (compile time only)
; SGPRBlocks: 0
; VGPRBlocks: 0
; NumSGPRsForWavesPerEU: 4
; NumVGPRsForWavesPerEU: 1
; AccumOffset: 4
; Occupancy: 8
; WaveLimiterHint : 0
; COMPUTE_PGM_RSRC2:SCRATCH_EN: 0
; COMPUTE_PGM_RSRC2:USER_SGPR: 6
; COMPUTE_PGM_RSRC2:TRAP_HANDLER: 0
; COMPUTE_PGM_RSRC2:TGID_X_EN: 1
; COMPUTE_PGM_RSRC2:TGID_Y_EN: 0
; COMPUTE_PGM_RSRC2:TGID_Z_EN: 0
; COMPUTE_PGM_RSRC2:TIDIG_COMP_CNT: 0
; COMPUTE_PGM_RSRC3_GFX90A:ACCUM_OFFSET: 0
; COMPUTE_PGM_RSRC3_GFX90A:TG_SPLIT: 0
	.section	.text._ZN7rocprim17ROCPRIM_400000_NS6detail17trampoline_kernelINS0_14default_configENS1_20scan_config_selectorIyEEZZNS1_9scan_implILNS1_25lookback_scan_determinismE0ELb0ELb0ES3_N6thrust23THRUST_200600_302600_NS6detail15normal_iteratorINS9_10device_ptrIyEEEENS9_16discard_iteratorINS9_11use_defaultEEEy11max_functorIyEyEEDaPvRmT3_T4_T5_mT6_P12ihipStream_tbENKUlT_T0_E_clISt17integral_constantIbLb1EESW_IbLb0EEEEDaSS_ST_EUlSS_E0_NS1_11comp_targetILNS1_3genE10ELNS1_11target_archE1201ELNS1_3gpuE5ELNS1_3repE0EEENS1_30default_config_static_selectorELNS0_4arch9wavefront6targetE1EEEvT1_,"axG",@progbits,_ZN7rocprim17ROCPRIM_400000_NS6detail17trampoline_kernelINS0_14default_configENS1_20scan_config_selectorIyEEZZNS1_9scan_implILNS1_25lookback_scan_determinismE0ELb0ELb0ES3_N6thrust23THRUST_200600_302600_NS6detail15normal_iteratorINS9_10device_ptrIyEEEENS9_16discard_iteratorINS9_11use_defaultEEEy11max_functorIyEyEEDaPvRmT3_T4_T5_mT6_P12ihipStream_tbENKUlT_T0_E_clISt17integral_constantIbLb1EESW_IbLb0EEEEDaSS_ST_EUlSS_E0_NS1_11comp_targetILNS1_3genE10ELNS1_11target_archE1201ELNS1_3gpuE5ELNS1_3repE0EEENS1_30default_config_static_selectorELNS0_4arch9wavefront6targetE1EEEvT1_,comdat
	.protected	_ZN7rocprim17ROCPRIM_400000_NS6detail17trampoline_kernelINS0_14default_configENS1_20scan_config_selectorIyEEZZNS1_9scan_implILNS1_25lookback_scan_determinismE0ELb0ELb0ES3_N6thrust23THRUST_200600_302600_NS6detail15normal_iteratorINS9_10device_ptrIyEEEENS9_16discard_iteratorINS9_11use_defaultEEEy11max_functorIyEyEEDaPvRmT3_T4_T5_mT6_P12ihipStream_tbENKUlT_T0_E_clISt17integral_constantIbLb1EESW_IbLb0EEEEDaSS_ST_EUlSS_E0_NS1_11comp_targetILNS1_3genE10ELNS1_11target_archE1201ELNS1_3gpuE5ELNS1_3repE0EEENS1_30default_config_static_selectorELNS0_4arch9wavefront6targetE1EEEvT1_ ; -- Begin function _ZN7rocprim17ROCPRIM_400000_NS6detail17trampoline_kernelINS0_14default_configENS1_20scan_config_selectorIyEEZZNS1_9scan_implILNS1_25lookback_scan_determinismE0ELb0ELb0ES3_N6thrust23THRUST_200600_302600_NS6detail15normal_iteratorINS9_10device_ptrIyEEEENS9_16discard_iteratorINS9_11use_defaultEEEy11max_functorIyEyEEDaPvRmT3_T4_T5_mT6_P12ihipStream_tbENKUlT_T0_E_clISt17integral_constantIbLb1EESW_IbLb0EEEEDaSS_ST_EUlSS_E0_NS1_11comp_targetILNS1_3genE10ELNS1_11target_archE1201ELNS1_3gpuE5ELNS1_3repE0EEENS1_30default_config_static_selectorELNS0_4arch9wavefront6targetE1EEEvT1_
	.globl	_ZN7rocprim17ROCPRIM_400000_NS6detail17trampoline_kernelINS0_14default_configENS1_20scan_config_selectorIyEEZZNS1_9scan_implILNS1_25lookback_scan_determinismE0ELb0ELb0ES3_N6thrust23THRUST_200600_302600_NS6detail15normal_iteratorINS9_10device_ptrIyEEEENS9_16discard_iteratorINS9_11use_defaultEEEy11max_functorIyEyEEDaPvRmT3_T4_T5_mT6_P12ihipStream_tbENKUlT_T0_E_clISt17integral_constantIbLb1EESW_IbLb0EEEEDaSS_ST_EUlSS_E0_NS1_11comp_targetILNS1_3genE10ELNS1_11target_archE1201ELNS1_3gpuE5ELNS1_3repE0EEENS1_30default_config_static_selectorELNS0_4arch9wavefront6targetE1EEEvT1_
	.p2align	8
	.type	_ZN7rocprim17ROCPRIM_400000_NS6detail17trampoline_kernelINS0_14default_configENS1_20scan_config_selectorIyEEZZNS1_9scan_implILNS1_25lookback_scan_determinismE0ELb0ELb0ES3_N6thrust23THRUST_200600_302600_NS6detail15normal_iteratorINS9_10device_ptrIyEEEENS9_16discard_iteratorINS9_11use_defaultEEEy11max_functorIyEyEEDaPvRmT3_T4_T5_mT6_P12ihipStream_tbENKUlT_T0_E_clISt17integral_constantIbLb1EESW_IbLb0EEEEDaSS_ST_EUlSS_E0_NS1_11comp_targetILNS1_3genE10ELNS1_11target_archE1201ELNS1_3gpuE5ELNS1_3repE0EEENS1_30default_config_static_selectorELNS0_4arch9wavefront6targetE1EEEvT1_,@function
_ZN7rocprim17ROCPRIM_400000_NS6detail17trampoline_kernelINS0_14default_configENS1_20scan_config_selectorIyEEZZNS1_9scan_implILNS1_25lookback_scan_determinismE0ELb0ELb0ES3_N6thrust23THRUST_200600_302600_NS6detail15normal_iteratorINS9_10device_ptrIyEEEENS9_16discard_iteratorINS9_11use_defaultEEEy11max_functorIyEyEEDaPvRmT3_T4_T5_mT6_P12ihipStream_tbENKUlT_T0_E_clISt17integral_constantIbLb1EESW_IbLb0EEEEDaSS_ST_EUlSS_E0_NS1_11comp_targetILNS1_3genE10ELNS1_11target_archE1201ELNS1_3gpuE5ELNS1_3repE0EEENS1_30default_config_static_selectorELNS0_4arch9wavefront6targetE1EEEvT1_: ; @_ZN7rocprim17ROCPRIM_400000_NS6detail17trampoline_kernelINS0_14default_configENS1_20scan_config_selectorIyEEZZNS1_9scan_implILNS1_25lookback_scan_determinismE0ELb0ELb0ES3_N6thrust23THRUST_200600_302600_NS6detail15normal_iteratorINS9_10device_ptrIyEEEENS9_16discard_iteratorINS9_11use_defaultEEEy11max_functorIyEyEEDaPvRmT3_T4_T5_mT6_P12ihipStream_tbENKUlT_T0_E_clISt17integral_constantIbLb1EESW_IbLb0EEEEDaSS_ST_EUlSS_E0_NS1_11comp_targetILNS1_3genE10ELNS1_11target_archE1201ELNS1_3gpuE5ELNS1_3repE0EEENS1_30default_config_static_selectorELNS0_4arch9wavefront6targetE1EEEvT1_
; %bb.0:
	.section	.rodata,"a",@progbits
	.p2align	6, 0x0
	.amdhsa_kernel _ZN7rocprim17ROCPRIM_400000_NS6detail17trampoline_kernelINS0_14default_configENS1_20scan_config_selectorIyEEZZNS1_9scan_implILNS1_25lookback_scan_determinismE0ELb0ELb0ES3_N6thrust23THRUST_200600_302600_NS6detail15normal_iteratorINS9_10device_ptrIyEEEENS9_16discard_iteratorINS9_11use_defaultEEEy11max_functorIyEyEEDaPvRmT3_T4_T5_mT6_P12ihipStream_tbENKUlT_T0_E_clISt17integral_constantIbLb1EESW_IbLb0EEEEDaSS_ST_EUlSS_E0_NS1_11comp_targetILNS1_3genE10ELNS1_11target_archE1201ELNS1_3gpuE5ELNS1_3repE0EEENS1_30default_config_static_selectorELNS0_4arch9wavefront6targetE1EEEvT1_
		.amdhsa_group_segment_fixed_size 0
		.amdhsa_private_segment_fixed_size 0
		.amdhsa_kernarg_size 48
		.amdhsa_user_sgpr_count 6
		.amdhsa_user_sgpr_private_segment_buffer 1
		.amdhsa_user_sgpr_dispatch_ptr 0
		.amdhsa_user_sgpr_queue_ptr 0
		.amdhsa_user_sgpr_kernarg_segment_ptr 1
		.amdhsa_user_sgpr_dispatch_id 0
		.amdhsa_user_sgpr_flat_scratch_init 0
		.amdhsa_user_sgpr_kernarg_preload_length 0
		.amdhsa_user_sgpr_kernarg_preload_offset 0
		.amdhsa_user_sgpr_private_segment_size 0
		.amdhsa_uses_dynamic_stack 0
		.amdhsa_system_sgpr_private_segment_wavefront_offset 0
		.amdhsa_system_sgpr_workgroup_id_x 1
		.amdhsa_system_sgpr_workgroup_id_y 0
		.amdhsa_system_sgpr_workgroup_id_z 0
		.amdhsa_system_sgpr_workgroup_info 0
		.amdhsa_system_vgpr_workitem_id 0
		.amdhsa_next_free_vgpr 1
		.amdhsa_next_free_sgpr 0
		.amdhsa_accum_offset 4
		.amdhsa_reserve_vcc 0
		.amdhsa_reserve_flat_scratch 0
		.amdhsa_float_round_mode_32 0
		.amdhsa_float_round_mode_16_64 0
		.amdhsa_float_denorm_mode_32 3
		.amdhsa_float_denorm_mode_16_64 3
		.amdhsa_dx10_clamp 1
		.amdhsa_ieee_mode 1
		.amdhsa_fp16_overflow 0
		.amdhsa_tg_split 0
		.amdhsa_exception_fp_ieee_invalid_op 0
		.amdhsa_exception_fp_denorm_src 0
		.amdhsa_exception_fp_ieee_div_zero 0
		.amdhsa_exception_fp_ieee_overflow 0
		.amdhsa_exception_fp_ieee_underflow 0
		.amdhsa_exception_fp_ieee_inexact 0
		.amdhsa_exception_int_div_zero 0
	.end_amdhsa_kernel
	.section	.text._ZN7rocprim17ROCPRIM_400000_NS6detail17trampoline_kernelINS0_14default_configENS1_20scan_config_selectorIyEEZZNS1_9scan_implILNS1_25lookback_scan_determinismE0ELb0ELb0ES3_N6thrust23THRUST_200600_302600_NS6detail15normal_iteratorINS9_10device_ptrIyEEEENS9_16discard_iteratorINS9_11use_defaultEEEy11max_functorIyEyEEDaPvRmT3_T4_T5_mT6_P12ihipStream_tbENKUlT_T0_E_clISt17integral_constantIbLb1EESW_IbLb0EEEEDaSS_ST_EUlSS_E0_NS1_11comp_targetILNS1_3genE10ELNS1_11target_archE1201ELNS1_3gpuE5ELNS1_3repE0EEENS1_30default_config_static_selectorELNS0_4arch9wavefront6targetE1EEEvT1_,"axG",@progbits,_ZN7rocprim17ROCPRIM_400000_NS6detail17trampoline_kernelINS0_14default_configENS1_20scan_config_selectorIyEEZZNS1_9scan_implILNS1_25lookback_scan_determinismE0ELb0ELb0ES3_N6thrust23THRUST_200600_302600_NS6detail15normal_iteratorINS9_10device_ptrIyEEEENS9_16discard_iteratorINS9_11use_defaultEEEy11max_functorIyEyEEDaPvRmT3_T4_T5_mT6_P12ihipStream_tbENKUlT_T0_E_clISt17integral_constantIbLb1EESW_IbLb0EEEEDaSS_ST_EUlSS_E0_NS1_11comp_targetILNS1_3genE10ELNS1_11target_archE1201ELNS1_3gpuE5ELNS1_3repE0EEENS1_30default_config_static_selectorELNS0_4arch9wavefront6targetE1EEEvT1_,comdat
.Lfunc_end3328:
	.size	_ZN7rocprim17ROCPRIM_400000_NS6detail17trampoline_kernelINS0_14default_configENS1_20scan_config_selectorIyEEZZNS1_9scan_implILNS1_25lookback_scan_determinismE0ELb0ELb0ES3_N6thrust23THRUST_200600_302600_NS6detail15normal_iteratorINS9_10device_ptrIyEEEENS9_16discard_iteratorINS9_11use_defaultEEEy11max_functorIyEyEEDaPvRmT3_T4_T5_mT6_P12ihipStream_tbENKUlT_T0_E_clISt17integral_constantIbLb1EESW_IbLb0EEEEDaSS_ST_EUlSS_E0_NS1_11comp_targetILNS1_3genE10ELNS1_11target_archE1201ELNS1_3gpuE5ELNS1_3repE0EEENS1_30default_config_static_selectorELNS0_4arch9wavefront6targetE1EEEvT1_, .Lfunc_end3328-_ZN7rocprim17ROCPRIM_400000_NS6detail17trampoline_kernelINS0_14default_configENS1_20scan_config_selectorIyEEZZNS1_9scan_implILNS1_25lookback_scan_determinismE0ELb0ELb0ES3_N6thrust23THRUST_200600_302600_NS6detail15normal_iteratorINS9_10device_ptrIyEEEENS9_16discard_iteratorINS9_11use_defaultEEEy11max_functorIyEyEEDaPvRmT3_T4_T5_mT6_P12ihipStream_tbENKUlT_T0_E_clISt17integral_constantIbLb1EESW_IbLb0EEEEDaSS_ST_EUlSS_E0_NS1_11comp_targetILNS1_3genE10ELNS1_11target_archE1201ELNS1_3gpuE5ELNS1_3repE0EEENS1_30default_config_static_selectorELNS0_4arch9wavefront6targetE1EEEvT1_
                                        ; -- End function
	.section	.AMDGPU.csdata,"",@progbits
; Kernel info:
; codeLenInByte = 0
; NumSgprs: 4
; NumVgprs: 0
; NumAgprs: 0
; TotalNumVgprs: 0
; ScratchSize: 0
; MemoryBound: 0
; FloatMode: 240
; IeeeMode: 1
; LDSByteSize: 0 bytes/workgroup (compile time only)
; SGPRBlocks: 0
; VGPRBlocks: 0
; NumSGPRsForWavesPerEU: 4
; NumVGPRsForWavesPerEU: 1
; AccumOffset: 4
; Occupancy: 8
; WaveLimiterHint : 0
; COMPUTE_PGM_RSRC2:SCRATCH_EN: 0
; COMPUTE_PGM_RSRC2:USER_SGPR: 6
; COMPUTE_PGM_RSRC2:TRAP_HANDLER: 0
; COMPUTE_PGM_RSRC2:TGID_X_EN: 1
; COMPUTE_PGM_RSRC2:TGID_Y_EN: 0
; COMPUTE_PGM_RSRC2:TGID_Z_EN: 0
; COMPUTE_PGM_RSRC2:TIDIG_COMP_CNT: 0
; COMPUTE_PGM_RSRC3_GFX90A:ACCUM_OFFSET: 0
; COMPUTE_PGM_RSRC3_GFX90A:TG_SPLIT: 0
	.section	.text._ZN7rocprim17ROCPRIM_400000_NS6detail17trampoline_kernelINS0_14default_configENS1_20scan_config_selectorIyEEZZNS1_9scan_implILNS1_25lookback_scan_determinismE0ELb0ELb0ES3_N6thrust23THRUST_200600_302600_NS6detail15normal_iteratorINS9_10device_ptrIyEEEENS9_16discard_iteratorINS9_11use_defaultEEEy11max_functorIyEyEEDaPvRmT3_T4_T5_mT6_P12ihipStream_tbENKUlT_T0_E_clISt17integral_constantIbLb1EESW_IbLb0EEEEDaSS_ST_EUlSS_E0_NS1_11comp_targetILNS1_3genE10ELNS1_11target_archE1200ELNS1_3gpuE4ELNS1_3repE0EEENS1_30default_config_static_selectorELNS0_4arch9wavefront6targetE1EEEvT1_,"axG",@progbits,_ZN7rocprim17ROCPRIM_400000_NS6detail17trampoline_kernelINS0_14default_configENS1_20scan_config_selectorIyEEZZNS1_9scan_implILNS1_25lookback_scan_determinismE0ELb0ELb0ES3_N6thrust23THRUST_200600_302600_NS6detail15normal_iteratorINS9_10device_ptrIyEEEENS9_16discard_iteratorINS9_11use_defaultEEEy11max_functorIyEyEEDaPvRmT3_T4_T5_mT6_P12ihipStream_tbENKUlT_T0_E_clISt17integral_constantIbLb1EESW_IbLb0EEEEDaSS_ST_EUlSS_E0_NS1_11comp_targetILNS1_3genE10ELNS1_11target_archE1200ELNS1_3gpuE4ELNS1_3repE0EEENS1_30default_config_static_selectorELNS0_4arch9wavefront6targetE1EEEvT1_,comdat
	.protected	_ZN7rocprim17ROCPRIM_400000_NS6detail17trampoline_kernelINS0_14default_configENS1_20scan_config_selectorIyEEZZNS1_9scan_implILNS1_25lookback_scan_determinismE0ELb0ELb0ES3_N6thrust23THRUST_200600_302600_NS6detail15normal_iteratorINS9_10device_ptrIyEEEENS9_16discard_iteratorINS9_11use_defaultEEEy11max_functorIyEyEEDaPvRmT3_T4_T5_mT6_P12ihipStream_tbENKUlT_T0_E_clISt17integral_constantIbLb1EESW_IbLb0EEEEDaSS_ST_EUlSS_E0_NS1_11comp_targetILNS1_3genE10ELNS1_11target_archE1200ELNS1_3gpuE4ELNS1_3repE0EEENS1_30default_config_static_selectorELNS0_4arch9wavefront6targetE1EEEvT1_ ; -- Begin function _ZN7rocprim17ROCPRIM_400000_NS6detail17trampoline_kernelINS0_14default_configENS1_20scan_config_selectorIyEEZZNS1_9scan_implILNS1_25lookback_scan_determinismE0ELb0ELb0ES3_N6thrust23THRUST_200600_302600_NS6detail15normal_iteratorINS9_10device_ptrIyEEEENS9_16discard_iteratorINS9_11use_defaultEEEy11max_functorIyEyEEDaPvRmT3_T4_T5_mT6_P12ihipStream_tbENKUlT_T0_E_clISt17integral_constantIbLb1EESW_IbLb0EEEEDaSS_ST_EUlSS_E0_NS1_11comp_targetILNS1_3genE10ELNS1_11target_archE1200ELNS1_3gpuE4ELNS1_3repE0EEENS1_30default_config_static_selectorELNS0_4arch9wavefront6targetE1EEEvT1_
	.globl	_ZN7rocprim17ROCPRIM_400000_NS6detail17trampoline_kernelINS0_14default_configENS1_20scan_config_selectorIyEEZZNS1_9scan_implILNS1_25lookback_scan_determinismE0ELb0ELb0ES3_N6thrust23THRUST_200600_302600_NS6detail15normal_iteratorINS9_10device_ptrIyEEEENS9_16discard_iteratorINS9_11use_defaultEEEy11max_functorIyEyEEDaPvRmT3_T4_T5_mT6_P12ihipStream_tbENKUlT_T0_E_clISt17integral_constantIbLb1EESW_IbLb0EEEEDaSS_ST_EUlSS_E0_NS1_11comp_targetILNS1_3genE10ELNS1_11target_archE1200ELNS1_3gpuE4ELNS1_3repE0EEENS1_30default_config_static_selectorELNS0_4arch9wavefront6targetE1EEEvT1_
	.p2align	8
	.type	_ZN7rocprim17ROCPRIM_400000_NS6detail17trampoline_kernelINS0_14default_configENS1_20scan_config_selectorIyEEZZNS1_9scan_implILNS1_25lookback_scan_determinismE0ELb0ELb0ES3_N6thrust23THRUST_200600_302600_NS6detail15normal_iteratorINS9_10device_ptrIyEEEENS9_16discard_iteratorINS9_11use_defaultEEEy11max_functorIyEyEEDaPvRmT3_T4_T5_mT6_P12ihipStream_tbENKUlT_T0_E_clISt17integral_constantIbLb1EESW_IbLb0EEEEDaSS_ST_EUlSS_E0_NS1_11comp_targetILNS1_3genE10ELNS1_11target_archE1200ELNS1_3gpuE4ELNS1_3repE0EEENS1_30default_config_static_selectorELNS0_4arch9wavefront6targetE1EEEvT1_,@function
_ZN7rocprim17ROCPRIM_400000_NS6detail17trampoline_kernelINS0_14default_configENS1_20scan_config_selectorIyEEZZNS1_9scan_implILNS1_25lookback_scan_determinismE0ELb0ELb0ES3_N6thrust23THRUST_200600_302600_NS6detail15normal_iteratorINS9_10device_ptrIyEEEENS9_16discard_iteratorINS9_11use_defaultEEEy11max_functorIyEyEEDaPvRmT3_T4_T5_mT6_P12ihipStream_tbENKUlT_T0_E_clISt17integral_constantIbLb1EESW_IbLb0EEEEDaSS_ST_EUlSS_E0_NS1_11comp_targetILNS1_3genE10ELNS1_11target_archE1200ELNS1_3gpuE4ELNS1_3repE0EEENS1_30default_config_static_selectorELNS0_4arch9wavefront6targetE1EEEvT1_: ; @_ZN7rocprim17ROCPRIM_400000_NS6detail17trampoline_kernelINS0_14default_configENS1_20scan_config_selectorIyEEZZNS1_9scan_implILNS1_25lookback_scan_determinismE0ELb0ELb0ES3_N6thrust23THRUST_200600_302600_NS6detail15normal_iteratorINS9_10device_ptrIyEEEENS9_16discard_iteratorINS9_11use_defaultEEEy11max_functorIyEyEEDaPvRmT3_T4_T5_mT6_P12ihipStream_tbENKUlT_T0_E_clISt17integral_constantIbLb1EESW_IbLb0EEEEDaSS_ST_EUlSS_E0_NS1_11comp_targetILNS1_3genE10ELNS1_11target_archE1200ELNS1_3gpuE4ELNS1_3repE0EEENS1_30default_config_static_selectorELNS0_4arch9wavefront6targetE1EEEvT1_
; %bb.0:
	.section	.rodata,"a",@progbits
	.p2align	6, 0x0
	.amdhsa_kernel _ZN7rocprim17ROCPRIM_400000_NS6detail17trampoline_kernelINS0_14default_configENS1_20scan_config_selectorIyEEZZNS1_9scan_implILNS1_25lookback_scan_determinismE0ELb0ELb0ES3_N6thrust23THRUST_200600_302600_NS6detail15normal_iteratorINS9_10device_ptrIyEEEENS9_16discard_iteratorINS9_11use_defaultEEEy11max_functorIyEyEEDaPvRmT3_T4_T5_mT6_P12ihipStream_tbENKUlT_T0_E_clISt17integral_constantIbLb1EESW_IbLb0EEEEDaSS_ST_EUlSS_E0_NS1_11comp_targetILNS1_3genE10ELNS1_11target_archE1200ELNS1_3gpuE4ELNS1_3repE0EEENS1_30default_config_static_selectorELNS0_4arch9wavefront6targetE1EEEvT1_
		.amdhsa_group_segment_fixed_size 0
		.amdhsa_private_segment_fixed_size 0
		.amdhsa_kernarg_size 48
		.amdhsa_user_sgpr_count 6
		.amdhsa_user_sgpr_private_segment_buffer 1
		.amdhsa_user_sgpr_dispatch_ptr 0
		.amdhsa_user_sgpr_queue_ptr 0
		.amdhsa_user_sgpr_kernarg_segment_ptr 1
		.amdhsa_user_sgpr_dispatch_id 0
		.amdhsa_user_sgpr_flat_scratch_init 0
		.amdhsa_user_sgpr_kernarg_preload_length 0
		.amdhsa_user_sgpr_kernarg_preload_offset 0
		.amdhsa_user_sgpr_private_segment_size 0
		.amdhsa_uses_dynamic_stack 0
		.amdhsa_system_sgpr_private_segment_wavefront_offset 0
		.amdhsa_system_sgpr_workgroup_id_x 1
		.amdhsa_system_sgpr_workgroup_id_y 0
		.amdhsa_system_sgpr_workgroup_id_z 0
		.amdhsa_system_sgpr_workgroup_info 0
		.amdhsa_system_vgpr_workitem_id 0
		.amdhsa_next_free_vgpr 1
		.amdhsa_next_free_sgpr 0
		.amdhsa_accum_offset 4
		.amdhsa_reserve_vcc 0
		.amdhsa_reserve_flat_scratch 0
		.amdhsa_float_round_mode_32 0
		.amdhsa_float_round_mode_16_64 0
		.amdhsa_float_denorm_mode_32 3
		.amdhsa_float_denorm_mode_16_64 3
		.amdhsa_dx10_clamp 1
		.amdhsa_ieee_mode 1
		.amdhsa_fp16_overflow 0
		.amdhsa_tg_split 0
		.amdhsa_exception_fp_ieee_invalid_op 0
		.amdhsa_exception_fp_denorm_src 0
		.amdhsa_exception_fp_ieee_div_zero 0
		.amdhsa_exception_fp_ieee_overflow 0
		.amdhsa_exception_fp_ieee_underflow 0
		.amdhsa_exception_fp_ieee_inexact 0
		.amdhsa_exception_int_div_zero 0
	.end_amdhsa_kernel
	.section	.text._ZN7rocprim17ROCPRIM_400000_NS6detail17trampoline_kernelINS0_14default_configENS1_20scan_config_selectorIyEEZZNS1_9scan_implILNS1_25lookback_scan_determinismE0ELb0ELb0ES3_N6thrust23THRUST_200600_302600_NS6detail15normal_iteratorINS9_10device_ptrIyEEEENS9_16discard_iteratorINS9_11use_defaultEEEy11max_functorIyEyEEDaPvRmT3_T4_T5_mT6_P12ihipStream_tbENKUlT_T0_E_clISt17integral_constantIbLb1EESW_IbLb0EEEEDaSS_ST_EUlSS_E0_NS1_11comp_targetILNS1_3genE10ELNS1_11target_archE1200ELNS1_3gpuE4ELNS1_3repE0EEENS1_30default_config_static_selectorELNS0_4arch9wavefront6targetE1EEEvT1_,"axG",@progbits,_ZN7rocprim17ROCPRIM_400000_NS6detail17trampoline_kernelINS0_14default_configENS1_20scan_config_selectorIyEEZZNS1_9scan_implILNS1_25lookback_scan_determinismE0ELb0ELb0ES3_N6thrust23THRUST_200600_302600_NS6detail15normal_iteratorINS9_10device_ptrIyEEEENS9_16discard_iteratorINS9_11use_defaultEEEy11max_functorIyEyEEDaPvRmT3_T4_T5_mT6_P12ihipStream_tbENKUlT_T0_E_clISt17integral_constantIbLb1EESW_IbLb0EEEEDaSS_ST_EUlSS_E0_NS1_11comp_targetILNS1_3genE10ELNS1_11target_archE1200ELNS1_3gpuE4ELNS1_3repE0EEENS1_30default_config_static_selectorELNS0_4arch9wavefront6targetE1EEEvT1_,comdat
.Lfunc_end3329:
	.size	_ZN7rocprim17ROCPRIM_400000_NS6detail17trampoline_kernelINS0_14default_configENS1_20scan_config_selectorIyEEZZNS1_9scan_implILNS1_25lookback_scan_determinismE0ELb0ELb0ES3_N6thrust23THRUST_200600_302600_NS6detail15normal_iteratorINS9_10device_ptrIyEEEENS9_16discard_iteratorINS9_11use_defaultEEEy11max_functorIyEyEEDaPvRmT3_T4_T5_mT6_P12ihipStream_tbENKUlT_T0_E_clISt17integral_constantIbLb1EESW_IbLb0EEEEDaSS_ST_EUlSS_E0_NS1_11comp_targetILNS1_3genE10ELNS1_11target_archE1200ELNS1_3gpuE4ELNS1_3repE0EEENS1_30default_config_static_selectorELNS0_4arch9wavefront6targetE1EEEvT1_, .Lfunc_end3329-_ZN7rocprim17ROCPRIM_400000_NS6detail17trampoline_kernelINS0_14default_configENS1_20scan_config_selectorIyEEZZNS1_9scan_implILNS1_25lookback_scan_determinismE0ELb0ELb0ES3_N6thrust23THRUST_200600_302600_NS6detail15normal_iteratorINS9_10device_ptrIyEEEENS9_16discard_iteratorINS9_11use_defaultEEEy11max_functorIyEyEEDaPvRmT3_T4_T5_mT6_P12ihipStream_tbENKUlT_T0_E_clISt17integral_constantIbLb1EESW_IbLb0EEEEDaSS_ST_EUlSS_E0_NS1_11comp_targetILNS1_3genE10ELNS1_11target_archE1200ELNS1_3gpuE4ELNS1_3repE0EEENS1_30default_config_static_selectorELNS0_4arch9wavefront6targetE1EEEvT1_
                                        ; -- End function
	.section	.AMDGPU.csdata,"",@progbits
; Kernel info:
; codeLenInByte = 0
; NumSgprs: 4
; NumVgprs: 0
; NumAgprs: 0
; TotalNumVgprs: 0
; ScratchSize: 0
; MemoryBound: 0
; FloatMode: 240
; IeeeMode: 1
; LDSByteSize: 0 bytes/workgroup (compile time only)
; SGPRBlocks: 0
; VGPRBlocks: 0
; NumSGPRsForWavesPerEU: 4
; NumVGPRsForWavesPerEU: 1
; AccumOffset: 4
; Occupancy: 8
; WaveLimiterHint : 0
; COMPUTE_PGM_RSRC2:SCRATCH_EN: 0
; COMPUTE_PGM_RSRC2:USER_SGPR: 6
; COMPUTE_PGM_RSRC2:TRAP_HANDLER: 0
; COMPUTE_PGM_RSRC2:TGID_X_EN: 1
; COMPUTE_PGM_RSRC2:TGID_Y_EN: 0
; COMPUTE_PGM_RSRC2:TGID_Z_EN: 0
; COMPUTE_PGM_RSRC2:TIDIG_COMP_CNT: 0
; COMPUTE_PGM_RSRC3_GFX90A:ACCUM_OFFSET: 0
; COMPUTE_PGM_RSRC3_GFX90A:TG_SPLIT: 0
	.section	.text._ZN7rocprim17ROCPRIM_400000_NS6detail17trampoline_kernelINS0_14default_configENS1_20scan_config_selectorIyEEZZNS1_9scan_implILNS1_25lookback_scan_determinismE0ELb0ELb0ES3_N6thrust23THRUST_200600_302600_NS6detail15normal_iteratorINS9_10device_ptrIyEEEENS9_16discard_iteratorINS9_11use_defaultEEEy11max_functorIyEyEEDaPvRmT3_T4_T5_mT6_P12ihipStream_tbENKUlT_T0_E_clISt17integral_constantIbLb1EESW_IbLb0EEEEDaSS_ST_EUlSS_E0_NS1_11comp_targetILNS1_3genE9ELNS1_11target_archE1100ELNS1_3gpuE3ELNS1_3repE0EEENS1_30default_config_static_selectorELNS0_4arch9wavefront6targetE1EEEvT1_,"axG",@progbits,_ZN7rocprim17ROCPRIM_400000_NS6detail17trampoline_kernelINS0_14default_configENS1_20scan_config_selectorIyEEZZNS1_9scan_implILNS1_25lookback_scan_determinismE0ELb0ELb0ES3_N6thrust23THRUST_200600_302600_NS6detail15normal_iteratorINS9_10device_ptrIyEEEENS9_16discard_iteratorINS9_11use_defaultEEEy11max_functorIyEyEEDaPvRmT3_T4_T5_mT6_P12ihipStream_tbENKUlT_T0_E_clISt17integral_constantIbLb1EESW_IbLb0EEEEDaSS_ST_EUlSS_E0_NS1_11comp_targetILNS1_3genE9ELNS1_11target_archE1100ELNS1_3gpuE3ELNS1_3repE0EEENS1_30default_config_static_selectorELNS0_4arch9wavefront6targetE1EEEvT1_,comdat
	.protected	_ZN7rocprim17ROCPRIM_400000_NS6detail17trampoline_kernelINS0_14default_configENS1_20scan_config_selectorIyEEZZNS1_9scan_implILNS1_25lookback_scan_determinismE0ELb0ELb0ES3_N6thrust23THRUST_200600_302600_NS6detail15normal_iteratorINS9_10device_ptrIyEEEENS9_16discard_iteratorINS9_11use_defaultEEEy11max_functorIyEyEEDaPvRmT3_T4_T5_mT6_P12ihipStream_tbENKUlT_T0_E_clISt17integral_constantIbLb1EESW_IbLb0EEEEDaSS_ST_EUlSS_E0_NS1_11comp_targetILNS1_3genE9ELNS1_11target_archE1100ELNS1_3gpuE3ELNS1_3repE0EEENS1_30default_config_static_selectorELNS0_4arch9wavefront6targetE1EEEvT1_ ; -- Begin function _ZN7rocprim17ROCPRIM_400000_NS6detail17trampoline_kernelINS0_14default_configENS1_20scan_config_selectorIyEEZZNS1_9scan_implILNS1_25lookback_scan_determinismE0ELb0ELb0ES3_N6thrust23THRUST_200600_302600_NS6detail15normal_iteratorINS9_10device_ptrIyEEEENS9_16discard_iteratorINS9_11use_defaultEEEy11max_functorIyEyEEDaPvRmT3_T4_T5_mT6_P12ihipStream_tbENKUlT_T0_E_clISt17integral_constantIbLb1EESW_IbLb0EEEEDaSS_ST_EUlSS_E0_NS1_11comp_targetILNS1_3genE9ELNS1_11target_archE1100ELNS1_3gpuE3ELNS1_3repE0EEENS1_30default_config_static_selectorELNS0_4arch9wavefront6targetE1EEEvT1_
	.globl	_ZN7rocprim17ROCPRIM_400000_NS6detail17trampoline_kernelINS0_14default_configENS1_20scan_config_selectorIyEEZZNS1_9scan_implILNS1_25lookback_scan_determinismE0ELb0ELb0ES3_N6thrust23THRUST_200600_302600_NS6detail15normal_iteratorINS9_10device_ptrIyEEEENS9_16discard_iteratorINS9_11use_defaultEEEy11max_functorIyEyEEDaPvRmT3_T4_T5_mT6_P12ihipStream_tbENKUlT_T0_E_clISt17integral_constantIbLb1EESW_IbLb0EEEEDaSS_ST_EUlSS_E0_NS1_11comp_targetILNS1_3genE9ELNS1_11target_archE1100ELNS1_3gpuE3ELNS1_3repE0EEENS1_30default_config_static_selectorELNS0_4arch9wavefront6targetE1EEEvT1_
	.p2align	8
	.type	_ZN7rocprim17ROCPRIM_400000_NS6detail17trampoline_kernelINS0_14default_configENS1_20scan_config_selectorIyEEZZNS1_9scan_implILNS1_25lookback_scan_determinismE0ELb0ELb0ES3_N6thrust23THRUST_200600_302600_NS6detail15normal_iteratorINS9_10device_ptrIyEEEENS9_16discard_iteratorINS9_11use_defaultEEEy11max_functorIyEyEEDaPvRmT3_T4_T5_mT6_P12ihipStream_tbENKUlT_T0_E_clISt17integral_constantIbLb1EESW_IbLb0EEEEDaSS_ST_EUlSS_E0_NS1_11comp_targetILNS1_3genE9ELNS1_11target_archE1100ELNS1_3gpuE3ELNS1_3repE0EEENS1_30default_config_static_selectorELNS0_4arch9wavefront6targetE1EEEvT1_,@function
_ZN7rocprim17ROCPRIM_400000_NS6detail17trampoline_kernelINS0_14default_configENS1_20scan_config_selectorIyEEZZNS1_9scan_implILNS1_25lookback_scan_determinismE0ELb0ELb0ES3_N6thrust23THRUST_200600_302600_NS6detail15normal_iteratorINS9_10device_ptrIyEEEENS9_16discard_iteratorINS9_11use_defaultEEEy11max_functorIyEyEEDaPvRmT3_T4_T5_mT6_P12ihipStream_tbENKUlT_T0_E_clISt17integral_constantIbLb1EESW_IbLb0EEEEDaSS_ST_EUlSS_E0_NS1_11comp_targetILNS1_3genE9ELNS1_11target_archE1100ELNS1_3gpuE3ELNS1_3repE0EEENS1_30default_config_static_selectorELNS0_4arch9wavefront6targetE1EEEvT1_: ; @_ZN7rocprim17ROCPRIM_400000_NS6detail17trampoline_kernelINS0_14default_configENS1_20scan_config_selectorIyEEZZNS1_9scan_implILNS1_25lookback_scan_determinismE0ELb0ELb0ES3_N6thrust23THRUST_200600_302600_NS6detail15normal_iteratorINS9_10device_ptrIyEEEENS9_16discard_iteratorINS9_11use_defaultEEEy11max_functorIyEyEEDaPvRmT3_T4_T5_mT6_P12ihipStream_tbENKUlT_T0_E_clISt17integral_constantIbLb1EESW_IbLb0EEEEDaSS_ST_EUlSS_E0_NS1_11comp_targetILNS1_3genE9ELNS1_11target_archE1100ELNS1_3gpuE3ELNS1_3repE0EEENS1_30default_config_static_selectorELNS0_4arch9wavefront6targetE1EEEvT1_
; %bb.0:
	.section	.rodata,"a",@progbits
	.p2align	6, 0x0
	.amdhsa_kernel _ZN7rocprim17ROCPRIM_400000_NS6detail17trampoline_kernelINS0_14default_configENS1_20scan_config_selectorIyEEZZNS1_9scan_implILNS1_25lookback_scan_determinismE0ELb0ELb0ES3_N6thrust23THRUST_200600_302600_NS6detail15normal_iteratorINS9_10device_ptrIyEEEENS9_16discard_iteratorINS9_11use_defaultEEEy11max_functorIyEyEEDaPvRmT3_T4_T5_mT6_P12ihipStream_tbENKUlT_T0_E_clISt17integral_constantIbLb1EESW_IbLb0EEEEDaSS_ST_EUlSS_E0_NS1_11comp_targetILNS1_3genE9ELNS1_11target_archE1100ELNS1_3gpuE3ELNS1_3repE0EEENS1_30default_config_static_selectorELNS0_4arch9wavefront6targetE1EEEvT1_
		.amdhsa_group_segment_fixed_size 0
		.amdhsa_private_segment_fixed_size 0
		.amdhsa_kernarg_size 48
		.amdhsa_user_sgpr_count 6
		.amdhsa_user_sgpr_private_segment_buffer 1
		.amdhsa_user_sgpr_dispatch_ptr 0
		.amdhsa_user_sgpr_queue_ptr 0
		.amdhsa_user_sgpr_kernarg_segment_ptr 1
		.amdhsa_user_sgpr_dispatch_id 0
		.amdhsa_user_sgpr_flat_scratch_init 0
		.amdhsa_user_sgpr_kernarg_preload_length 0
		.amdhsa_user_sgpr_kernarg_preload_offset 0
		.amdhsa_user_sgpr_private_segment_size 0
		.amdhsa_uses_dynamic_stack 0
		.amdhsa_system_sgpr_private_segment_wavefront_offset 0
		.amdhsa_system_sgpr_workgroup_id_x 1
		.amdhsa_system_sgpr_workgroup_id_y 0
		.amdhsa_system_sgpr_workgroup_id_z 0
		.amdhsa_system_sgpr_workgroup_info 0
		.amdhsa_system_vgpr_workitem_id 0
		.amdhsa_next_free_vgpr 1
		.amdhsa_next_free_sgpr 0
		.amdhsa_accum_offset 4
		.amdhsa_reserve_vcc 0
		.amdhsa_reserve_flat_scratch 0
		.amdhsa_float_round_mode_32 0
		.amdhsa_float_round_mode_16_64 0
		.amdhsa_float_denorm_mode_32 3
		.amdhsa_float_denorm_mode_16_64 3
		.amdhsa_dx10_clamp 1
		.amdhsa_ieee_mode 1
		.amdhsa_fp16_overflow 0
		.amdhsa_tg_split 0
		.amdhsa_exception_fp_ieee_invalid_op 0
		.amdhsa_exception_fp_denorm_src 0
		.amdhsa_exception_fp_ieee_div_zero 0
		.amdhsa_exception_fp_ieee_overflow 0
		.amdhsa_exception_fp_ieee_underflow 0
		.amdhsa_exception_fp_ieee_inexact 0
		.amdhsa_exception_int_div_zero 0
	.end_amdhsa_kernel
	.section	.text._ZN7rocprim17ROCPRIM_400000_NS6detail17trampoline_kernelINS0_14default_configENS1_20scan_config_selectorIyEEZZNS1_9scan_implILNS1_25lookback_scan_determinismE0ELb0ELb0ES3_N6thrust23THRUST_200600_302600_NS6detail15normal_iteratorINS9_10device_ptrIyEEEENS9_16discard_iteratorINS9_11use_defaultEEEy11max_functorIyEyEEDaPvRmT3_T4_T5_mT6_P12ihipStream_tbENKUlT_T0_E_clISt17integral_constantIbLb1EESW_IbLb0EEEEDaSS_ST_EUlSS_E0_NS1_11comp_targetILNS1_3genE9ELNS1_11target_archE1100ELNS1_3gpuE3ELNS1_3repE0EEENS1_30default_config_static_selectorELNS0_4arch9wavefront6targetE1EEEvT1_,"axG",@progbits,_ZN7rocprim17ROCPRIM_400000_NS6detail17trampoline_kernelINS0_14default_configENS1_20scan_config_selectorIyEEZZNS1_9scan_implILNS1_25lookback_scan_determinismE0ELb0ELb0ES3_N6thrust23THRUST_200600_302600_NS6detail15normal_iteratorINS9_10device_ptrIyEEEENS9_16discard_iteratorINS9_11use_defaultEEEy11max_functorIyEyEEDaPvRmT3_T4_T5_mT6_P12ihipStream_tbENKUlT_T0_E_clISt17integral_constantIbLb1EESW_IbLb0EEEEDaSS_ST_EUlSS_E0_NS1_11comp_targetILNS1_3genE9ELNS1_11target_archE1100ELNS1_3gpuE3ELNS1_3repE0EEENS1_30default_config_static_selectorELNS0_4arch9wavefront6targetE1EEEvT1_,comdat
.Lfunc_end3330:
	.size	_ZN7rocprim17ROCPRIM_400000_NS6detail17trampoline_kernelINS0_14default_configENS1_20scan_config_selectorIyEEZZNS1_9scan_implILNS1_25lookback_scan_determinismE0ELb0ELb0ES3_N6thrust23THRUST_200600_302600_NS6detail15normal_iteratorINS9_10device_ptrIyEEEENS9_16discard_iteratorINS9_11use_defaultEEEy11max_functorIyEyEEDaPvRmT3_T4_T5_mT6_P12ihipStream_tbENKUlT_T0_E_clISt17integral_constantIbLb1EESW_IbLb0EEEEDaSS_ST_EUlSS_E0_NS1_11comp_targetILNS1_3genE9ELNS1_11target_archE1100ELNS1_3gpuE3ELNS1_3repE0EEENS1_30default_config_static_selectorELNS0_4arch9wavefront6targetE1EEEvT1_, .Lfunc_end3330-_ZN7rocprim17ROCPRIM_400000_NS6detail17trampoline_kernelINS0_14default_configENS1_20scan_config_selectorIyEEZZNS1_9scan_implILNS1_25lookback_scan_determinismE0ELb0ELb0ES3_N6thrust23THRUST_200600_302600_NS6detail15normal_iteratorINS9_10device_ptrIyEEEENS9_16discard_iteratorINS9_11use_defaultEEEy11max_functorIyEyEEDaPvRmT3_T4_T5_mT6_P12ihipStream_tbENKUlT_T0_E_clISt17integral_constantIbLb1EESW_IbLb0EEEEDaSS_ST_EUlSS_E0_NS1_11comp_targetILNS1_3genE9ELNS1_11target_archE1100ELNS1_3gpuE3ELNS1_3repE0EEENS1_30default_config_static_selectorELNS0_4arch9wavefront6targetE1EEEvT1_
                                        ; -- End function
	.section	.AMDGPU.csdata,"",@progbits
; Kernel info:
; codeLenInByte = 0
; NumSgprs: 4
; NumVgprs: 0
; NumAgprs: 0
; TotalNumVgprs: 0
; ScratchSize: 0
; MemoryBound: 0
; FloatMode: 240
; IeeeMode: 1
; LDSByteSize: 0 bytes/workgroup (compile time only)
; SGPRBlocks: 0
; VGPRBlocks: 0
; NumSGPRsForWavesPerEU: 4
; NumVGPRsForWavesPerEU: 1
; AccumOffset: 4
; Occupancy: 8
; WaveLimiterHint : 0
; COMPUTE_PGM_RSRC2:SCRATCH_EN: 0
; COMPUTE_PGM_RSRC2:USER_SGPR: 6
; COMPUTE_PGM_RSRC2:TRAP_HANDLER: 0
; COMPUTE_PGM_RSRC2:TGID_X_EN: 1
; COMPUTE_PGM_RSRC2:TGID_Y_EN: 0
; COMPUTE_PGM_RSRC2:TGID_Z_EN: 0
; COMPUTE_PGM_RSRC2:TIDIG_COMP_CNT: 0
; COMPUTE_PGM_RSRC3_GFX90A:ACCUM_OFFSET: 0
; COMPUTE_PGM_RSRC3_GFX90A:TG_SPLIT: 0
	.section	.text._ZN7rocprim17ROCPRIM_400000_NS6detail17trampoline_kernelINS0_14default_configENS1_20scan_config_selectorIyEEZZNS1_9scan_implILNS1_25lookback_scan_determinismE0ELb0ELb0ES3_N6thrust23THRUST_200600_302600_NS6detail15normal_iteratorINS9_10device_ptrIyEEEENS9_16discard_iteratorINS9_11use_defaultEEEy11max_functorIyEyEEDaPvRmT3_T4_T5_mT6_P12ihipStream_tbENKUlT_T0_E_clISt17integral_constantIbLb1EESW_IbLb0EEEEDaSS_ST_EUlSS_E0_NS1_11comp_targetILNS1_3genE8ELNS1_11target_archE1030ELNS1_3gpuE2ELNS1_3repE0EEENS1_30default_config_static_selectorELNS0_4arch9wavefront6targetE1EEEvT1_,"axG",@progbits,_ZN7rocprim17ROCPRIM_400000_NS6detail17trampoline_kernelINS0_14default_configENS1_20scan_config_selectorIyEEZZNS1_9scan_implILNS1_25lookback_scan_determinismE0ELb0ELb0ES3_N6thrust23THRUST_200600_302600_NS6detail15normal_iteratorINS9_10device_ptrIyEEEENS9_16discard_iteratorINS9_11use_defaultEEEy11max_functorIyEyEEDaPvRmT3_T4_T5_mT6_P12ihipStream_tbENKUlT_T0_E_clISt17integral_constantIbLb1EESW_IbLb0EEEEDaSS_ST_EUlSS_E0_NS1_11comp_targetILNS1_3genE8ELNS1_11target_archE1030ELNS1_3gpuE2ELNS1_3repE0EEENS1_30default_config_static_selectorELNS0_4arch9wavefront6targetE1EEEvT1_,comdat
	.protected	_ZN7rocprim17ROCPRIM_400000_NS6detail17trampoline_kernelINS0_14default_configENS1_20scan_config_selectorIyEEZZNS1_9scan_implILNS1_25lookback_scan_determinismE0ELb0ELb0ES3_N6thrust23THRUST_200600_302600_NS6detail15normal_iteratorINS9_10device_ptrIyEEEENS9_16discard_iteratorINS9_11use_defaultEEEy11max_functorIyEyEEDaPvRmT3_T4_T5_mT6_P12ihipStream_tbENKUlT_T0_E_clISt17integral_constantIbLb1EESW_IbLb0EEEEDaSS_ST_EUlSS_E0_NS1_11comp_targetILNS1_3genE8ELNS1_11target_archE1030ELNS1_3gpuE2ELNS1_3repE0EEENS1_30default_config_static_selectorELNS0_4arch9wavefront6targetE1EEEvT1_ ; -- Begin function _ZN7rocprim17ROCPRIM_400000_NS6detail17trampoline_kernelINS0_14default_configENS1_20scan_config_selectorIyEEZZNS1_9scan_implILNS1_25lookback_scan_determinismE0ELb0ELb0ES3_N6thrust23THRUST_200600_302600_NS6detail15normal_iteratorINS9_10device_ptrIyEEEENS9_16discard_iteratorINS9_11use_defaultEEEy11max_functorIyEyEEDaPvRmT3_T4_T5_mT6_P12ihipStream_tbENKUlT_T0_E_clISt17integral_constantIbLb1EESW_IbLb0EEEEDaSS_ST_EUlSS_E0_NS1_11comp_targetILNS1_3genE8ELNS1_11target_archE1030ELNS1_3gpuE2ELNS1_3repE0EEENS1_30default_config_static_selectorELNS0_4arch9wavefront6targetE1EEEvT1_
	.globl	_ZN7rocprim17ROCPRIM_400000_NS6detail17trampoline_kernelINS0_14default_configENS1_20scan_config_selectorIyEEZZNS1_9scan_implILNS1_25lookback_scan_determinismE0ELb0ELb0ES3_N6thrust23THRUST_200600_302600_NS6detail15normal_iteratorINS9_10device_ptrIyEEEENS9_16discard_iteratorINS9_11use_defaultEEEy11max_functorIyEyEEDaPvRmT3_T4_T5_mT6_P12ihipStream_tbENKUlT_T0_E_clISt17integral_constantIbLb1EESW_IbLb0EEEEDaSS_ST_EUlSS_E0_NS1_11comp_targetILNS1_3genE8ELNS1_11target_archE1030ELNS1_3gpuE2ELNS1_3repE0EEENS1_30default_config_static_selectorELNS0_4arch9wavefront6targetE1EEEvT1_
	.p2align	8
	.type	_ZN7rocprim17ROCPRIM_400000_NS6detail17trampoline_kernelINS0_14default_configENS1_20scan_config_selectorIyEEZZNS1_9scan_implILNS1_25lookback_scan_determinismE0ELb0ELb0ES3_N6thrust23THRUST_200600_302600_NS6detail15normal_iteratorINS9_10device_ptrIyEEEENS9_16discard_iteratorINS9_11use_defaultEEEy11max_functorIyEyEEDaPvRmT3_T4_T5_mT6_P12ihipStream_tbENKUlT_T0_E_clISt17integral_constantIbLb1EESW_IbLb0EEEEDaSS_ST_EUlSS_E0_NS1_11comp_targetILNS1_3genE8ELNS1_11target_archE1030ELNS1_3gpuE2ELNS1_3repE0EEENS1_30default_config_static_selectorELNS0_4arch9wavefront6targetE1EEEvT1_,@function
_ZN7rocprim17ROCPRIM_400000_NS6detail17trampoline_kernelINS0_14default_configENS1_20scan_config_selectorIyEEZZNS1_9scan_implILNS1_25lookback_scan_determinismE0ELb0ELb0ES3_N6thrust23THRUST_200600_302600_NS6detail15normal_iteratorINS9_10device_ptrIyEEEENS9_16discard_iteratorINS9_11use_defaultEEEy11max_functorIyEyEEDaPvRmT3_T4_T5_mT6_P12ihipStream_tbENKUlT_T0_E_clISt17integral_constantIbLb1EESW_IbLb0EEEEDaSS_ST_EUlSS_E0_NS1_11comp_targetILNS1_3genE8ELNS1_11target_archE1030ELNS1_3gpuE2ELNS1_3repE0EEENS1_30default_config_static_selectorELNS0_4arch9wavefront6targetE1EEEvT1_: ; @_ZN7rocprim17ROCPRIM_400000_NS6detail17trampoline_kernelINS0_14default_configENS1_20scan_config_selectorIyEEZZNS1_9scan_implILNS1_25lookback_scan_determinismE0ELb0ELb0ES3_N6thrust23THRUST_200600_302600_NS6detail15normal_iteratorINS9_10device_ptrIyEEEENS9_16discard_iteratorINS9_11use_defaultEEEy11max_functorIyEyEEDaPvRmT3_T4_T5_mT6_P12ihipStream_tbENKUlT_T0_E_clISt17integral_constantIbLb1EESW_IbLb0EEEEDaSS_ST_EUlSS_E0_NS1_11comp_targetILNS1_3genE8ELNS1_11target_archE1030ELNS1_3gpuE2ELNS1_3repE0EEENS1_30default_config_static_selectorELNS0_4arch9wavefront6targetE1EEEvT1_
; %bb.0:
	.section	.rodata,"a",@progbits
	.p2align	6, 0x0
	.amdhsa_kernel _ZN7rocprim17ROCPRIM_400000_NS6detail17trampoline_kernelINS0_14default_configENS1_20scan_config_selectorIyEEZZNS1_9scan_implILNS1_25lookback_scan_determinismE0ELb0ELb0ES3_N6thrust23THRUST_200600_302600_NS6detail15normal_iteratorINS9_10device_ptrIyEEEENS9_16discard_iteratorINS9_11use_defaultEEEy11max_functorIyEyEEDaPvRmT3_T4_T5_mT6_P12ihipStream_tbENKUlT_T0_E_clISt17integral_constantIbLb1EESW_IbLb0EEEEDaSS_ST_EUlSS_E0_NS1_11comp_targetILNS1_3genE8ELNS1_11target_archE1030ELNS1_3gpuE2ELNS1_3repE0EEENS1_30default_config_static_selectorELNS0_4arch9wavefront6targetE1EEEvT1_
		.amdhsa_group_segment_fixed_size 0
		.amdhsa_private_segment_fixed_size 0
		.amdhsa_kernarg_size 48
		.amdhsa_user_sgpr_count 6
		.amdhsa_user_sgpr_private_segment_buffer 1
		.amdhsa_user_sgpr_dispatch_ptr 0
		.amdhsa_user_sgpr_queue_ptr 0
		.amdhsa_user_sgpr_kernarg_segment_ptr 1
		.amdhsa_user_sgpr_dispatch_id 0
		.amdhsa_user_sgpr_flat_scratch_init 0
		.amdhsa_user_sgpr_kernarg_preload_length 0
		.amdhsa_user_sgpr_kernarg_preload_offset 0
		.amdhsa_user_sgpr_private_segment_size 0
		.amdhsa_uses_dynamic_stack 0
		.amdhsa_system_sgpr_private_segment_wavefront_offset 0
		.amdhsa_system_sgpr_workgroup_id_x 1
		.amdhsa_system_sgpr_workgroup_id_y 0
		.amdhsa_system_sgpr_workgroup_id_z 0
		.amdhsa_system_sgpr_workgroup_info 0
		.amdhsa_system_vgpr_workitem_id 0
		.amdhsa_next_free_vgpr 1
		.amdhsa_next_free_sgpr 0
		.amdhsa_accum_offset 4
		.amdhsa_reserve_vcc 0
		.amdhsa_reserve_flat_scratch 0
		.amdhsa_float_round_mode_32 0
		.amdhsa_float_round_mode_16_64 0
		.amdhsa_float_denorm_mode_32 3
		.amdhsa_float_denorm_mode_16_64 3
		.amdhsa_dx10_clamp 1
		.amdhsa_ieee_mode 1
		.amdhsa_fp16_overflow 0
		.amdhsa_tg_split 0
		.amdhsa_exception_fp_ieee_invalid_op 0
		.amdhsa_exception_fp_denorm_src 0
		.amdhsa_exception_fp_ieee_div_zero 0
		.amdhsa_exception_fp_ieee_overflow 0
		.amdhsa_exception_fp_ieee_underflow 0
		.amdhsa_exception_fp_ieee_inexact 0
		.amdhsa_exception_int_div_zero 0
	.end_amdhsa_kernel
	.section	.text._ZN7rocprim17ROCPRIM_400000_NS6detail17trampoline_kernelINS0_14default_configENS1_20scan_config_selectorIyEEZZNS1_9scan_implILNS1_25lookback_scan_determinismE0ELb0ELb0ES3_N6thrust23THRUST_200600_302600_NS6detail15normal_iteratorINS9_10device_ptrIyEEEENS9_16discard_iteratorINS9_11use_defaultEEEy11max_functorIyEyEEDaPvRmT3_T4_T5_mT6_P12ihipStream_tbENKUlT_T0_E_clISt17integral_constantIbLb1EESW_IbLb0EEEEDaSS_ST_EUlSS_E0_NS1_11comp_targetILNS1_3genE8ELNS1_11target_archE1030ELNS1_3gpuE2ELNS1_3repE0EEENS1_30default_config_static_selectorELNS0_4arch9wavefront6targetE1EEEvT1_,"axG",@progbits,_ZN7rocprim17ROCPRIM_400000_NS6detail17trampoline_kernelINS0_14default_configENS1_20scan_config_selectorIyEEZZNS1_9scan_implILNS1_25lookback_scan_determinismE0ELb0ELb0ES3_N6thrust23THRUST_200600_302600_NS6detail15normal_iteratorINS9_10device_ptrIyEEEENS9_16discard_iteratorINS9_11use_defaultEEEy11max_functorIyEyEEDaPvRmT3_T4_T5_mT6_P12ihipStream_tbENKUlT_T0_E_clISt17integral_constantIbLb1EESW_IbLb0EEEEDaSS_ST_EUlSS_E0_NS1_11comp_targetILNS1_3genE8ELNS1_11target_archE1030ELNS1_3gpuE2ELNS1_3repE0EEENS1_30default_config_static_selectorELNS0_4arch9wavefront6targetE1EEEvT1_,comdat
.Lfunc_end3331:
	.size	_ZN7rocprim17ROCPRIM_400000_NS6detail17trampoline_kernelINS0_14default_configENS1_20scan_config_selectorIyEEZZNS1_9scan_implILNS1_25lookback_scan_determinismE0ELb0ELb0ES3_N6thrust23THRUST_200600_302600_NS6detail15normal_iteratorINS9_10device_ptrIyEEEENS9_16discard_iteratorINS9_11use_defaultEEEy11max_functorIyEyEEDaPvRmT3_T4_T5_mT6_P12ihipStream_tbENKUlT_T0_E_clISt17integral_constantIbLb1EESW_IbLb0EEEEDaSS_ST_EUlSS_E0_NS1_11comp_targetILNS1_3genE8ELNS1_11target_archE1030ELNS1_3gpuE2ELNS1_3repE0EEENS1_30default_config_static_selectorELNS0_4arch9wavefront6targetE1EEEvT1_, .Lfunc_end3331-_ZN7rocprim17ROCPRIM_400000_NS6detail17trampoline_kernelINS0_14default_configENS1_20scan_config_selectorIyEEZZNS1_9scan_implILNS1_25lookback_scan_determinismE0ELb0ELb0ES3_N6thrust23THRUST_200600_302600_NS6detail15normal_iteratorINS9_10device_ptrIyEEEENS9_16discard_iteratorINS9_11use_defaultEEEy11max_functorIyEyEEDaPvRmT3_T4_T5_mT6_P12ihipStream_tbENKUlT_T0_E_clISt17integral_constantIbLb1EESW_IbLb0EEEEDaSS_ST_EUlSS_E0_NS1_11comp_targetILNS1_3genE8ELNS1_11target_archE1030ELNS1_3gpuE2ELNS1_3repE0EEENS1_30default_config_static_selectorELNS0_4arch9wavefront6targetE1EEEvT1_
                                        ; -- End function
	.section	.AMDGPU.csdata,"",@progbits
; Kernel info:
; codeLenInByte = 0
; NumSgprs: 4
; NumVgprs: 0
; NumAgprs: 0
; TotalNumVgprs: 0
; ScratchSize: 0
; MemoryBound: 0
; FloatMode: 240
; IeeeMode: 1
; LDSByteSize: 0 bytes/workgroup (compile time only)
; SGPRBlocks: 0
; VGPRBlocks: 0
; NumSGPRsForWavesPerEU: 4
; NumVGPRsForWavesPerEU: 1
; AccumOffset: 4
; Occupancy: 8
; WaveLimiterHint : 0
; COMPUTE_PGM_RSRC2:SCRATCH_EN: 0
; COMPUTE_PGM_RSRC2:USER_SGPR: 6
; COMPUTE_PGM_RSRC2:TRAP_HANDLER: 0
; COMPUTE_PGM_RSRC2:TGID_X_EN: 1
; COMPUTE_PGM_RSRC2:TGID_Y_EN: 0
; COMPUTE_PGM_RSRC2:TGID_Z_EN: 0
; COMPUTE_PGM_RSRC2:TIDIG_COMP_CNT: 0
; COMPUTE_PGM_RSRC3_GFX90A:ACCUM_OFFSET: 0
; COMPUTE_PGM_RSRC3_GFX90A:TG_SPLIT: 0
	.section	.text._ZN7rocprim17ROCPRIM_400000_NS6detail17trampoline_kernelINS0_14default_configENS1_20scan_config_selectorIyEEZZNS1_9scan_implILNS1_25lookback_scan_determinismE0ELb0ELb0ES3_N6thrust23THRUST_200600_302600_NS6detail15normal_iteratorINS9_10device_ptrIyEEEENS9_16discard_iteratorINS9_11use_defaultEEEy11max_functorIyEyEEDaPvRmT3_T4_T5_mT6_P12ihipStream_tbENKUlT_T0_E_clISt17integral_constantIbLb0EESW_IbLb1EEEEDaSS_ST_EUlSS_E_NS1_11comp_targetILNS1_3genE0ELNS1_11target_archE4294967295ELNS1_3gpuE0ELNS1_3repE0EEENS1_30default_config_static_selectorELNS0_4arch9wavefront6targetE1EEEvT1_,"axG",@progbits,_ZN7rocprim17ROCPRIM_400000_NS6detail17trampoline_kernelINS0_14default_configENS1_20scan_config_selectorIyEEZZNS1_9scan_implILNS1_25lookback_scan_determinismE0ELb0ELb0ES3_N6thrust23THRUST_200600_302600_NS6detail15normal_iteratorINS9_10device_ptrIyEEEENS9_16discard_iteratorINS9_11use_defaultEEEy11max_functorIyEyEEDaPvRmT3_T4_T5_mT6_P12ihipStream_tbENKUlT_T0_E_clISt17integral_constantIbLb0EESW_IbLb1EEEEDaSS_ST_EUlSS_E_NS1_11comp_targetILNS1_3genE0ELNS1_11target_archE4294967295ELNS1_3gpuE0ELNS1_3repE0EEENS1_30default_config_static_selectorELNS0_4arch9wavefront6targetE1EEEvT1_,comdat
	.protected	_ZN7rocprim17ROCPRIM_400000_NS6detail17trampoline_kernelINS0_14default_configENS1_20scan_config_selectorIyEEZZNS1_9scan_implILNS1_25lookback_scan_determinismE0ELb0ELb0ES3_N6thrust23THRUST_200600_302600_NS6detail15normal_iteratorINS9_10device_ptrIyEEEENS9_16discard_iteratorINS9_11use_defaultEEEy11max_functorIyEyEEDaPvRmT3_T4_T5_mT6_P12ihipStream_tbENKUlT_T0_E_clISt17integral_constantIbLb0EESW_IbLb1EEEEDaSS_ST_EUlSS_E_NS1_11comp_targetILNS1_3genE0ELNS1_11target_archE4294967295ELNS1_3gpuE0ELNS1_3repE0EEENS1_30default_config_static_selectorELNS0_4arch9wavefront6targetE1EEEvT1_ ; -- Begin function _ZN7rocprim17ROCPRIM_400000_NS6detail17trampoline_kernelINS0_14default_configENS1_20scan_config_selectorIyEEZZNS1_9scan_implILNS1_25lookback_scan_determinismE0ELb0ELb0ES3_N6thrust23THRUST_200600_302600_NS6detail15normal_iteratorINS9_10device_ptrIyEEEENS9_16discard_iteratorINS9_11use_defaultEEEy11max_functorIyEyEEDaPvRmT3_T4_T5_mT6_P12ihipStream_tbENKUlT_T0_E_clISt17integral_constantIbLb0EESW_IbLb1EEEEDaSS_ST_EUlSS_E_NS1_11comp_targetILNS1_3genE0ELNS1_11target_archE4294967295ELNS1_3gpuE0ELNS1_3repE0EEENS1_30default_config_static_selectorELNS0_4arch9wavefront6targetE1EEEvT1_
	.globl	_ZN7rocprim17ROCPRIM_400000_NS6detail17trampoline_kernelINS0_14default_configENS1_20scan_config_selectorIyEEZZNS1_9scan_implILNS1_25lookback_scan_determinismE0ELb0ELb0ES3_N6thrust23THRUST_200600_302600_NS6detail15normal_iteratorINS9_10device_ptrIyEEEENS9_16discard_iteratorINS9_11use_defaultEEEy11max_functorIyEyEEDaPvRmT3_T4_T5_mT6_P12ihipStream_tbENKUlT_T0_E_clISt17integral_constantIbLb0EESW_IbLb1EEEEDaSS_ST_EUlSS_E_NS1_11comp_targetILNS1_3genE0ELNS1_11target_archE4294967295ELNS1_3gpuE0ELNS1_3repE0EEENS1_30default_config_static_selectorELNS0_4arch9wavefront6targetE1EEEvT1_
	.p2align	8
	.type	_ZN7rocprim17ROCPRIM_400000_NS6detail17trampoline_kernelINS0_14default_configENS1_20scan_config_selectorIyEEZZNS1_9scan_implILNS1_25lookback_scan_determinismE0ELb0ELb0ES3_N6thrust23THRUST_200600_302600_NS6detail15normal_iteratorINS9_10device_ptrIyEEEENS9_16discard_iteratorINS9_11use_defaultEEEy11max_functorIyEyEEDaPvRmT3_T4_T5_mT6_P12ihipStream_tbENKUlT_T0_E_clISt17integral_constantIbLb0EESW_IbLb1EEEEDaSS_ST_EUlSS_E_NS1_11comp_targetILNS1_3genE0ELNS1_11target_archE4294967295ELNS1_3gpuE0ELNS1_3repE0EEENS1_30default_config_static_selectorELNS0_4arch9wavefront6targetE1EEEvT1_,@function
_ZN7rocprim17ROCPRIM_400000_NS6detail17trampoline_kernelINS0_14default_configENS1_20scan_config_selectorIyEEZZNS1_9scan_implILNS1_25lookback_scan_determinismE0ELb0ELb0ES3_N6thrust23THRUST_200600_302600_NS6detail15normal_iteratorINS9_10device_ptrIyEEEENS9_16discard_iteratorINS9_11use_defaultEEEy11max_functorIyEyEEDaPvRmT3_T4_T5_mT6_P12ihipStream_tbENKUlT_T0_E_clISt17integral_constantIbLb0EESW_IbLb1EEEEDaSS_ST_EUlSS_E_NS1_11comp_targetILNS1_3genE0ELNS1_11target_archE4294967295ELNS1_3gpuE0ELNS1_3repE0EEENS1_30default_config_static_selectorELNS0_4arch9wavefront6targetE1EEEvT1_: ; @_ZN7rocprim17ROCPRIM_400000_NS6detail17trampoline_kernelINS0_14default_configENS1_20scan_config_selectorIyEEZZNS1_9scan_implILNS1_25lookback_scan_determinismE0ELb0ELb0ES3_N6thrust23THRUST_200600_302600_NS6detail15normal_iteratorINS9_10device_ptrIyEEEENS9_16discard_iteratorINS9_11use_defaultEEEy11max_functorIyEyEEDaPvRmT3_T4_T5_mT6_P12ihipStream_tbENKUlT_T0_E_clISt17integral_constantIbLb0EESW_IbLb1EEEEDaSS_ST_EUlSS_E_NS1_11comp_targetILNS1_3genE0ELNS1_11target_archE4294967295ELNS1_3gpuE0ELNS1_3repE0EEENS1_30default_config_static_selectorELNS0_4arch9wavefront6targetE1EEEvT1_
; %bb.0:
	.section	.rodata,"a",@progbits
	.p2align	6, 0x0
	.amdhsa_kernel _ZN7rocprim17ROCPRIM_400000_NS6detail17trampoline_kernelINS0_14default_configENS1_20scan_config_selectorIyEEZZNS1_9scan_implILNS1_25lookback_scan_determinismE0ELb0ELb0ES3_N6thrust23THRUST_200600_302600_NS6detail15normal_iteratorINS9_10device_ptrIyEEEENS9_16discard_iteratorINS9_11use_defaultEEEy11max_functorIyEyEEDaPvRmT3_T4_T5_mT6_P12ihipStream_tbENKUlT_T0_E_clISt17integral_constantIbLb0EESW_IbLb1EEEEDaSS_ST_EUlSS_E_NS1_11comp_targetILNS1_3genE0ELNS1_11target_archE4294967295ELNS1_3gpuE0ELNS1_3repE0EEENS1_30default_config_static_selectorELNS0_4arch9wavefront6targetE1EEEvT1_
		.amdhsa_group_segment_fixed_size 0
		.amdhsa_private_segment_fixed_size 0
		.amdhsa_kernarg_size 112
		.amdhsa_user_sgpr_count 6
		.amdhsa_user_sgpr_private_segment_buffer 1
		.amdhsa_user_sgpr_dispatch_ptr 0
		.amdhsa_user_sgpr_queue_ptr 0
		.amdhsa_user_sgpr_kernarg_segment_ptr 1
		.amdhsa_user_sgpr_dispatch_id 0
		.amdhsa_user_sgpr_flat_scratch_init 0
		.amdhsa_user_sgpr_kernarg_preload_length 0
		.amdhsa_user_sgpr_kernarg_preload_offset 0
		.amdhsa_user_sgpr_private_segment_size 0
		.amdhsa_uses_dynamic_stack 0
		.amdhsa_system_sgpr_private_segment_wavefront_offset 0
		.amdhsa_system_sgpr_workgroup_id_x 1
		.amdhsa_system_sgpr_workgroup_id_y 0
		.amdhsa_system_sgpr_workgroup_id_z 0
		.amdhsa_system_sgpr_workgroup_info 0
		.amdhsa_system_vgpr_workitem_id 0
		.amdhsa_next_free_vgpr 1
		.amdhsa_next_free_sgpr 0
		.amdhsa_accum_offset 4
		.amdhsa_reserve_vcc 0
		.amdhsa_reserve_flat_scratch 0
		.amdhsa_float_round_mode_32 0
		.amdhsa_float_round_mode_16_64 0
		.amdhsa_float_denorm_mode_32 3
		.amdhsa_float_denorm_mode_16_64 3
		.amdhsa_dx10_clamp 1
		.amdhsa_ieee_mode 1
		.amdhsa_fp16_overflow 0
		.amdhsa_tg_split 0
		.amdhsa_exception_fp_ieee_invalid_op 0
		.amdhsa_exception_fp_denorm_src 0
		.amdhsa_exception_fp_ieee_div_zero 0
		.amdhsa_exception_fp_ieee_overflow 0
		.amdhsa_exception_fp_ieee_underflow 0
		.amdhsa_exception_fp_ieee_inexact 0
		.amdhsa_exception_int_div_zero 0
	.end_amdhsa_kernel
	.section	.text._ZN7rocprim17ROCPRIM_400000_NS6detail17trampoline_kernelINS0_14default_configENS1_20scan_config_selectorIyEEZZNS1_9scan_implILNS1_25lookback_scan_determinismE0ELb0ELb0ES3_N6thrust23THRUST_200600_302600_NS6detail15normal_iteratorINS9_10device_ptrIyEEEENS9_16discard_iteratorINS9_11use_defaultEEEy11max_functorIyEyEEDaPvRmT3_T4_T5_mT6_P12ihipStream_tbENKUlT_T0_E_clISt17integral_constantIbLb0EESW_IbLb1EEEEDaSS_ST_EUlSS_E_NS1_11comp_targetILNS1_3genE0ELNS1_11target_archE4294967295ELNS1_3gpuE0ELNS1_3repE0EEENS1_30default_config_static_selectorELNS0_4arch9wavefront6targetE1EEEvT1_,"axG",@progbits,_ZN7rocprim17ROCPRIM_400000_NS6detail17trampoline_kernelINS0_14default_configENS1_20scan_config_selectorIyEEZZNS1_9scan_implILNS1_25lookback_scan_determinismE0ELb0ELb0ES3_N6thrust23THRUST_200600_302600_NS6detail15normal_iteratorINS9_10device_ptrIyEEEENS9_16discard_iteratorINS9_11use_defaultEEEy11max_functorIyEyEEDaPvRmT3_T4_T5_mT6_P12ihipStream_tbENKUlT_T0_E_clISt17integral_constantIbLb0EESW_IbLb1EEEEDaSS_ST_EUlSS_E_NS1_11comp_targetILNS1_3genE0ELNS1_11target_archE4294967295ELNS1_3gpuE0ELNS1_3repE0EEENS1_30default_config_static_selectorELNS0_4arch9wavefront6targetE1EEEvT1_,comdat
.Lfunc_end3332:
	.size	_ZN7rocprim17ROCPRIM_400000_NS6detail17trampoline_kernelINS0_14default_configENS1_20scan_config_selectorIyEEZZNS1_9scan_implILNS1_25lookback_scan_determinismE0ELb0ELb0ES3_N6thrust23THRUST_200600_302600_NS6detail15normal_iteratorINS9_10device_ptrIyEEEENS9_16discard_iteratorINS9_11use_defaultEEEy11max_functorIyEyEEDaPvRmT3_T4_T5_mT6_P12ihipStream_tbENKUlT_T0_E_clISt17integral_constantIbLb0EESW_IbLb1EEEEDaSS_ST_EUlSS_E_NS1_11comp_targetILNS1_3genE0ELNS1_11target_archE4294967295ELNS1_3gpuE0ELNS1_3repE0EEENS1_30default_config_static_selectorELNS0_4arch9wavefront6targetE1EEEvT1_, .Lfunc_end3332-_ZN7rocprim17ROCPRIM_400000_NS6detail17trampoline_kernelINS0_14default_configENS1_20scan_config_selectorIyEEZZNS1_9scan_implILNS1_25lookback_scan_determinismE0ELb0ELb0ES3_N6thrust23THRUST_200600_302600_NS6detail15normal_iteratorINS9_10device_ptrIyEEEENS9_16discard_iteratorINS9_11use_defaultEEEy11max_functorIyEyEEDaPvRmT3_T4_T5_mT6_P12ihipStream_tbENKUlT_T0_E_clISt17integral_constantIbLb0EESW_IbLb1EEEEDaSS_ST_EUlSS_E_NS1_11comp_targetILNS1_3genE0ELNS1_11target_archE4294967295ELNS1_3gpuE0ELNS1_3repE0EEENS1_30default_config_static_selectorELNS0_4arch9wavefront6targetE1EEEvT1_
                                        ; -- End function
	.section	.AMDGPU.csdata,"",@progbits
; Kernel info:
; codeLenInByte = 0
; NumSgprs: 4
; NumVgprs: 0
; NumAgprs: 0
; TotalNumVgprs: 0
; ScratchSize: 0
; MemoryBound: 0
; FloatMode: 240
; IeeeMode: 1
; LDSByteSize: 0 bytes/workgroup (compile time only)
; SGPRBlocks: 0
; VGPRBlocks: 0
; NumSGPRsForWavesPerEU: 4
; NumVGPRsForWavesPerEU: 1
; AccumOffset: 4
; Occupancy: 8
; WaveLimiterHint : 0
; COMPUTE_PGM_RSRC2:SCRATCH_EN: 0
; COMPUTE_PGM_RSRC2:USER_SGPR: 6
; COMPUTE_PGM_RSRC2:TRAP_HANDLER: 0
; COMPUTE_PGM_RSRC2:TGID_X_EN: 1
; COMPUTE_PGM_RSRC2:TGID_Y_EN: 0
; COMPUTE_PGM_RSRC2:TGID_Z_EN: 0
; COMPUTE_PGM_RSRC2:TIDIG_COMP_CNT: 0
; COMPUTE_PGM_RSRC3_GFX90A:ACCUM_OFFSET: 0
; COMPUTE_PGM_RSRC3_GFX90A:TG_SPLIT: 0
	.section	.text._ZN7rocprim17ROCPRIM_400000_NS6detail17trampoline_kernelINS0_14default_configENS1_20scan_config_selectorIyEEZZNS1_9scan_implILNS1_25lookback_scan_determinismE0ELb0ELb0ES3_N6thrust23THRUST_200600_302600_NS6detail15normal_iteratorINS9_10device_ptrIyEEEENS9_16discard_iteratorINS9_11use_defaultEEEy11max_functorIyEyEEDaPvRmT3_T4_T5_mT6_P12ihipStream_tbENKUlT_T0_E_clISt17integral_constantIbLb0EESW_IbLb1EEEEDaSS_ST_EUlSS_E_NS1_11comp_targetILNS1_3genE5ELNS1_11target_archE942ELNS1_3gpuE9ELNS1_3repE0EEENS1_30default_config_static_selectorELNS0_4arch9wavefront6targetE1EEEvT1_,"axG",@progbits,_ZN7rocprim17ROCPRIM_400000_NS6detail17trampoline_kernelINS0_14default_configENS1_20scan_config_selectorIyEEZZNS1_9scan_implILNS1_25lookback_scan_determinismE0ELb0ELb0ES3_N6thrust23THRUST_200600_302600_NS6detail15normal_iteratorINS9_10device_ptrIyEEEENS9_16discard_iteratorINS9_11use_defaultEEEy11max_functorIyEyEEDaPvRmT3_T4_T5_mT6_P12ihipStream_tbENKUlT_T0_E_clISt17integral_constantIbLb0EESW_IbLb1EEEEDaSS_ST_EUlSS_E_NS1_11comp_targetILNS1_3genE5ELNS1_11target_archE942ELNS1_3gpuE9ELNS1_3repE0EEENS1_30default_config_static_selectorELNS0_4arch9wavefront6targetE1EEEvT1_,comdat
	.protected	_ZN7rocprim17ROCPRIM_400000_NS6detail17trampoline_kernelINS0_14default_configENS1_20scan_config_selectorIyEEZZNS1_9scan_implILNS1_25lookback_scan_determinismE0ELb0ELb0ES3_N6thrust23THRUST_200600_302600_NS6detail15normal_iteratorINS9_10device_ptrIyEEEENS9_16discard_iteratorINS9_11use_defaultEEEy11max_functorIyEyEEDaPvRmT3_T4_T5_mT6_P12ihipStream_tbENKUlT_T0_E_clISt17integral_constantIbLb0EESW_IbLb1EEEEDaSS_ST_EUlSS_E_NS1_11comp_targetILNS1_3genE5ELNS1_11target_archE942ELNS1_3gpuE9ELNS1_3repE0EEENS1_30default_config_static_selectorELNS0_4arch9wavefront6targetE1EEEvT1_ ; -- Begin function _ZN7rocprim17ROCPRIM_400000_NS6detail17trampoline_kernelINS0_14default_configENS1_20scan_config_selectorIyEEZZNS1_9scan_implILNS1_25lookback_scan_determinismE0ELb0ELb0ES3_N6thrust23THRUST_200600_302600_NS6detail15normal_iteratorINS9_10device_ptrIyEEEENS9_16discard_iteratorINS9_11use_defaultEEEy11max_functorIyEyEEDaPvRmT3_T4_T5_mT6_P12ihipStream_tbENKUlT_T0_E_clISt17integral_constantIbLb0EESW_IbLb1EEEEDaSS_ST_EUlSS_E_NS1_11comp_targetILNS1_3genE5ELNS1_11target_archE942ELNS1_3gpuE9ELNS1_3repE0EEENS1_30default_config_static_selectorELNS0_4arch9wavefront6targetE1EEEvT1_
	.globl	_ZN7rocprim17ROCPRIM_400000_NS6detail17trampoline_kernelINS0_14default_configENS1_20scan_config_selectorIyEEZZNS1_9scan_implILNS1_25lookback_scan_determinismE0ELb0ELb0ES3_N6thrust23THRUST_200600_302600_NS6detail15normal_iteratorINS9_10device_ptrIyEEEENS9_16discard_iteratorINS9_11use_defaultEEEy11max_functorIyEyEEDaPvRmT3_T4_T5_mT6_P12ihipStream_tbENKUlT_T0_E_clISt17integral_constantIbLb0EESW_IbLb1EEEEDaSS_ST_EUlSS_E_NS1_11comp_targetILNS1_3genE5ELNS1_11target_archE942ELNS1_3gpuE9ELNS1_3repE0EEENS1_30default_config_static_selectorELNS0_4arch9wavefront6targetE1EEEvT1_
	.p2align	8
	.type	_ZN7rocprim17ROCPRIM_400000_NS6detail17trampoline_kernelINS0_14default_configENS1_20scan_config_selectorIyEEZZNS1_9scan_implILNS1_25lookback_scan_determinismE0ELb0ELb0ES3_N6thrust23THRUST_200600_302600_NS6detail15normal_iteratorINS9_10device_ptrIyEEEENS9_16discard_iteratorINS9_11use_defaultEEEy11max_functorIyEyEEDaPvRmT3_T4_T5_mT6_P12ihipStream_tbENKUlT_T0_E_clISt17integral_constantIbLb0EESW_IbLb1EEEEDaSS_ST_EUlSS_E_NS1_11comp_targetILNS1_3genE5ELNS1_11target_archE942ELNS1_3gpuE9ELNS1_3repE0EEENS1_30default_config_static_selectorELNS0_4arch9wavefront6targetE1EEEvT1_,@function
_ZN7rocprim17ROCPRIM_400000_NS6detail17trampoline_kernelINS0_14default_configENS1_20scan_config_selectorIyEEZZNS1_9scan_implILNS1_25lookback_scan_determinismE0ELb0ELb0ES3_N6thrust23THRUST_200600_302600_NS6detail15normal_iteratorINS9_10device_ptrIyEEEENS9_16discard_iteratorINS9_11use_defaultEEEy11max_functorIyEyEEDaPvRmT3_T4_T5_mT6_P12ihipStream_tbENKUlT_T0_E_clISt17integral_constantIbLb0EESW_IbLb1EEEEDaSS_ST_EUlSS_E_NS1_11comp_targetILNS1_3genE5ELNS1_11target_archE942ELNS1_3gpuE9ELNS1_3repE0EEENS1_30default_config_static_selectorELNS0_4arch9wavefront6targetE1EEEvT1_: ; @_ZN7rocprim17ROCPRIM_400000_NS6detail17trampoline_kernelINS0_14default_configENS1_20scan_config_selectorIyEEZZNS1_9scan_implILNS1_25lookback_scan_determinismE0ELb0ELb0ES3_N6thrust23THRUST_200600_302600_NS6detail15normal_iteratorINS9_10device_ptrIyEEEENS9_16discard_iteratorINS9_11use_defaultEEEy11max_functorIyEyEEDaPvRmT3_T4_T5_mT6_P12ihipStream_tbENKUlT_T0_E_clISt17integral_constantIbLb0EESW_IbLb1EEEEDaSS_ST_EUlSS_E_NS1_11comp_targetILNS1_3genE5ELNS1_11target_archE942ELNS1_3gpuE9ELNS1_3repE0EEENS1_30default_config_static_selectorELNS0_4arch9wavefront6targetE1EEEvT1_
; %bb.0:
	.section	.rodata,"a",@progbits
	.p2align	6, 0x0
	.amdhsa_kernel _ZN7rocprim17ROCPRIM_400000_NS6detail17trampoline_kernelINS0_14default_configENS1_20scan_config_selectorIyEEZZNS1_9scan_implILNS1_25lookback_scan_determinismE0ELb0ELb0ES3_N6thrust23THRUST_200600_302600_NS6detail15normal_iteratorINS9_10device_ptrIyEEEENS9_16discard_iteratorINS9_11use_defaultEEEy11max_functorIyEyEEDaPvRmT3_T4_T5_mT6_P12ihipStream_tbENKUlT_T0_E_clISt17integral_constantIbLb0EESW_IbLb1EEEEDaSS_ST_EUlSS_E_NS1_11comp_targetILNS1_3genE5ELNS1_11target_archE942ELNS1_3gpuE9ELNS1_3repE0EEENS1_30default_config_static_selectorELNS0_4arch9wavefront6targetE1EEEvT1_
		.amdhsa_group_segment_fixed_size 0
		.amdhsa_private_segment_fixed_size 0
		.amdhsa_kernarg_size 112
		.amdhsa_user_sgpr_count 6
		.amdhsa_user_sgpr_private_segment_buffer 1
		.amdhsa_user_sgpr_dispatch_ptr 0
		.amdhsa_user_sgpr_queue_ptr 0
		.amdhsa_user_sgpr_kernarg_segment_ptr 1
		.amdhsa_user_sgpr_dispatch_id 0
		.amdhsa_user_sgpr_flat_scratch_init 0
		.amdhsa_user_sgpr_kernarg_preload_length 0
		.amdhsa_user_sgpr_kernarg_preload_offset 0
		.amdhsa_user_sgpr_private_segment_size 0
		.amdhsa_uses_dynamic_stack 0
		.amdhsa_system_sgpr_private_segment_wavefront_offset 0
		.amdhsa_system_sgpr_workgroup_id_x 1
		.amdhsa_system_sgpr_workgroup_id_y 0
		.amdhsa_system_sgpr_workgroup_id_z 0
		.amdhsa_system_sgpr_workgroup_info 0
		.amdhsa_system_vgpr_workitem_id 0
		.amdhsa_next_free_vgpr 1
		.amdhsa_next_free_sgpr 0
		.amdhsa_accum_offset 4
		.amdhsa_reserve_vcc 0
		.amdhsa_reserve_flat_scratch 0
		.amdhsa_float_round_mode_32 0
		.amdhsa_float_round_mode_16_64 0
		.amdhsa_float_denorm_mode_32 3
		.amdhsa_float_denorm_mode_16_64 3
		.amdhsa_dx10_clamp 1
		.amdhsa_ieee_mode 1
		.amdhsa_fp16_overflow 0
		.amdhsa_tg_split 0
		.amdhsa_exception_fp_ieee_invalid_op 0
		.amdhsa_exception_fp_denorm_src 0
		.amdhsa_exception_fp_ieee_div_zero 0
		.amdhsa_exception_fp_ieee_overflow 0
		.amdhsa_exception_fp_ieee_underflow 0
		.amdhsa_exception_fp_ieee_inexact 0
		.amdhsa_exception_int_div_zero 0
	.end_amdhsa_kernel
	.section	.text._ZN7rocprim17ROCPRIM_400000_NS6detail17trampoline_kernelINS0_14default_configENS1_20scan_config_selectorIyEEZZNS1_9scan_implILNS1_25lookback_scan_determinismE0ELb0ELb0ES3_N6thrust23THRUST_200600_302600_NS6detail15normal_iteratorINS9_10device_ptrIyEEEENS9_16discard_iteratorINS9_11use_defaultEEEy11max_functorIyEyEEDaPvRmT3_T4_T5_mT6_P12ihipStream_tbENKUlT_T0_E_clISt17integral_constantIbLb0EESW_IbLb1EEEEDaSS_ST_EUlSS_E_NS1_11comp_targetILNS1_3genE5ELNS1_11target_archE942ELNS1_3gpuE9ELNS1_3repE0EEENS1_30default_config_static_selectorELNS0_4arch9wavefront6targetE1EEEvT1_,"axG",@progbits,_ZN7rocprim17ROCPRIM_400000_NS6detail17trampoline_kernelINS0_14default_configENS1_20scan_config_selectorIyEEZZNS1_9scan_implILNS1_25lookback_scan_determinismE0ELb0ELb0ES3_N6thrust23THRUST_200600_302600_NS6detail15normal_iteratorINS9_10device_ptrIyEEEENS9_16discard_iteratorINS9_11use_defaultEEEy11max_functorIyEyEEDaPvRmT3_T4_T5_mT6_P12ihipStream_tbENKUlT_T0_E_clISt17integral_constantIbLb0EESW_IbLb1EEEEDaSS_ST_EUlSS_E_NS1_11comp_targetILNS1_3genE5ELNS1_11target_archE942ELNS1_3gpuE9ELNS1_3repE0EEENS1_30default_config_static_selectorELNS0_4arch9wavefront6targetE1EEEvT1_,comdat
.Lfunc_end3333:
	.size	_ZN7rocprim17ROCPRIM_400000_NS6detail17trampoline_kernelINS0_14default_configENS1_20scan_config_selectorIyEEZZNS1_9scan_implILNS1_25lookback_scan_determinismE0ELb0ELb0ES3_N6thrust23THRUST_200600_302600_NS6detail15normal_iteratorINS9_10device_ptrIyEEEENS9_16discard_iteratorINS9_11use_defaultEEEy11max_functorIyEyEEDaPvRmT3_T4_T5_mT6_P12ihipStream_tbENKUlT_T0_E_clISt17integral_constantIbLb0EESW_IbLb1EEEEDaSS_ST_EUlSS_E_NS1_11comp_targetILNS1_3genE5ELNS1_11target_archE942ELNS1_3gpuE9ELNS1_3repE0EEENS1_30default_config_static_selectorELNS0_4arch9wavefront6targetE1EEEvT1_, .Lfunc_end3333-_ZN7rocprim17ROCPRIM_400000_NS6detail17trampoline_kernelINS0_14default_configENS1_20scan_config_selectorIyEEZZNS1_9scan_implILNS1_25lookback_scan_determinismE0ELb0ELb0ES3_N6thrust23THRUST_200600_302600_NS6detail15normal_iteratorINS9_10device_ptrIyEEEENS9_16discard_iteratorINS9_11use_defaultEEEy11max_functorIyEyEEDaPvRmT3_T4_T5_mT6_P12ihipStream_tbENKUlT_T0_E_clISt17integral_constantIbLb0EESW_IbLb1EEEEDaSS_ST_EUlSS_E_NS1_11comp_targetILNS1_3genE5ELNS1_11target_archE942ELNS1_3gpuE9ELNS1_3repE0EEENS1_30default_config_static_selectorELNS0_4arch9wavefront6targetE1EEEvT1_
                                        ; -- End function
	.section	.AMDGPU.csdata,"",@progbits
; Kernel info:
; codeLenInByte = 0
; NumSgprs: 4
; NumVgprs: 0
; NumAgprs: 0
; TotalNumVgprs: 0
; ScratchSize: 0
; MemoryBound: 0
; FloatMode: 240
; IeeeMode: 1
; LDSByteSize: 0 bytes/workgroup (compile time only)
; SGPRBlocks: 0
; VGPRBlocks: 0
; NumSGPRsForWavesPerEU: 4
; NumVGPRsForWavesPerEU: 1
; AccumOffset: 4
; Occupancy: 8
; WaveLimiterHint : 0
; COMPUTE_PGM_RSRC2:SCRATCH_EN: 0
; COMPUTE_PGM_RSRC2:USER_SGPR: 6
; COMPUTE_PGM_RSRC2:TRAP_HANDLER: 0
; COMPUTE_PGM_RSRC2:TGID_X_EN: 1
; COMPUTE_PGM_RSRC2:TGID_Y_EN: 0
; COMPUTE_PGM_RSRC2:TGID_Z_EN: 0
; COMPUTE_PGM_RSRC2:TIDIG_COMP_CNT: 0
; COMPUTE_PGM_RSRC3_GFX90A:ACCUM_OFFSET: 0
; COMPUTE_PGM_RSRC3_GFX90A:TG_SPLIT: 0
	.section	.text._ZN7rocprim17ROCPRIM_400000_NS6detail17trampoline_kernelINS0_14default_configENS1_20scan_config_selectorIyEEZZNS1_9scan_implILNS1_25lookback_scan_determinismE0ELb0ELb0ES3_N6thrust23THRUST_200600_302600_NS6detail15normal_iteratorINS9_10device_ptrIyEEEENS9_16discard_iteratorINS9_11use_defaultEEEy11max_functorIyEyEEDaPvRmT3_T4_T5_mT6_P12ihipStream_tbENKUlT_T0_E_clISt17integral_constantIbLb0EESW_IbLb1EEEEDaSS_ST_EUlSS_E_NS1_11comp_targetILNS1_3genE4ELNS1_11target_archE910ELNS1_3gpuE8ELNS1_3repE0EEENS1_30default_config_static_selectorELNS0_4arch9wavefront6targetE1EEEvT1_,"axG",@progbits,_ZN7rocprim17ROCPRIM_400000_NS6detail17trampoline_kernelINS0_14default_configENS1_20scan_config_selectorIyEEZZNS1_9scan_implILNS1_25lookback_scan_determinismE0ELb0ELb0ES3_N6thrust23THRUST_200600_302600_NS6detail15normal_iteratorINS9_10device_ptrIyEEEENS9_16discard_iteratorINS9_11use_defaultEEEy11max_functorIyEyEEDaPvRmT3_T4_T5_mT6_P12ihipStream_tbENKUlT_T0_E_clISt17integral_constantIbLb0EESW_IbLb1EEEEDaSS_ST_EUlSS_E_NS1_11comp_targetILNS1_3genE4ELNS1_11target_archE910ELNS1_3gpuE8ELNS1_3repE0EEENS1_30default_config_static_selectorELNS0_4arch9wavefront6targetE1EEEvT1_,comdat
	.protected	_ZN7rocprim17ROCPRIM_400000_NS6detail17trampoline_kernelINS0_14default_configENS1_20scan_config_selectorIyEEZZNS1_9scan_implILNS1_25lookback_scan_determinismE0ELb0ELb0ES3_N6thrust23THRUST_200600_302600_NS6detail15normal_iteratorINS9_10device_ptrIyEEEENS9_16discard_iteratorINS9_11use_defaultEEEy11max_functorIyEyEEDaPvRmT3_T4_T5_mT6_P12ihipStream_tbENKUlT_T0_E_clISt17integral_constantIbLb0EESW_IbLb1EEEEDaSS_ST_EUlSS_E_NS1_11comp_targetILNS1_3genE4ELNS1_11target_archE910ELNS1_3gpuE8ELNS1_3repE0EEENS1_30default_config_static_selectorELNS0_4arch9wavefront6targetE1EEEvT1_ ; -- Begin function _ZN7rocprim17ROCPRIM_400000_NS6detail17trampoline_kernelINS0_14default_configENS1_20scan_config_selectorIyEEZZNS1_9scan_implILNS1_25lookback_scan_determinismE0ELb0ELb0ES3_N6thrust23THRUST_200600_302600_NS6detail15normal_iteratorINS9_10device_ptrIyEEEENS9_16discard_iteratorINS9_11use_defaultEEEy11max_functorIyEyEEDaPvRmT3_T4_T5_mT6_P12ihipStream_tbENKUlT_T0_E_clISt17integral_constantIbLb0EESW_IbLb1EEEEDaSS_ST_EUlSS_E_NS1_11comp_targetILNS1_3genE4ELNS1_11target_archE910ELNS1_3gpuE8ELNS1_3repE0EEENS1_30default_config_static_selectorELNS0_4arch9wavefront6targetE1EEEvT1_
	.globl	_ZN7rocprim17ROCPRIM_400000_NS6detail17trampoline_kernelINS0_14default_configENS1_20scan_config_selectorIyEEZZNS1_9scan_implILNS1_25lookback_scan_determinismE0ELb0ELb0ES3_N6thrust23THRUST_200600_302600_NS6detail15normal_iteratorINS9_10device_ptrIyEEEENS9_16discard_iteratorINS9_11use_defaultEEEy11max_functorIyEyEEDaPvRmT3_T4_T5_mT6_P12ihipStream_tbENKUlT_T0_E_clISt17integral_constantIbLb0EESW_IbLb1EEEEDaSS_ST_EUlSS_E_NS1_11comp_targetILNS1_3genE4ELNS1_11target_archE910ELNS1_3gpuE8ELNS1_3repE0EEENS1_30default_config_static_selectorELNS0_4arch9wavefront6targetE1EEEvT1_
	.p2align	8
	.type	_ZN7rocprim17ROCPRIM_400000_NS6detail17trampoline_kernelINS0_14default_configENS1_20scan_config_selectorIyEEZZNS1_9scan_implILNS1_25lookback_scan_determinismE0ELb0ELb0ES3_N6thrust23THRUST_200600_302600_NS6detail15normal_iteratorINS9_10device_ptrIyEEEENS9_16discard_iteratorINS9_11use_defaultEEEy11max_functorIyEyEEDaPvRmT3_T4_T5_mT6_P12ihipStream_tbENKUlT_T0_E_clISt17integral_constantIbLb0EESW_IbLb1EEEEDaSS_ST_EUlSS_E_NS1_11comp_targetILNS1_3genE4ELNS1_11target_archE910ELNS1_3gpuE8ELNS1_3repE0EEENS1_30default_config_static_selectorELNS0_4arch9wavefront6targetE1EEEvT1_,@function
_ZN7rocprim17ROCPRIM_400000_NS6detail17trampoline_kernelINS0_14default_configENS1_20scan_config_selectorIyEEZZNS1_9scan_implILNS1_25lookback_scan_determinismE0ELb0ELb0ES3_N6thrust23THRUST_200600_302600_NS6detail15normal_iteratorINS9_10device_ptrIyEEEENS9_16discard_iteratorINS9_11use_defaultEEEy11max_functorIyEyEEDaPvRmT3_T4_T5_mT6_P12ihipStream_tbENKUlT_T0_E_clISt17integral_constantIbLb0EESW_IbLb1EEEEDaSS_ST_EUlSS_E_NS1_11comp_targetILNS1_3genE4ELNS1_11target_archE910ELNS1_3gpuE8ELNS1_3repE0EEENS1_30default_config_static_selectorELNS0_4arch9wavefront6targetE1EEEvT1_: ; @_ZN7rocprim17ROCPRIM_400000_NS6detail17trampoline_kernelINS0_14default_configENS1_20scan_config_selectorIyEEZZNS1_9scan_implILNS1_25lookback_scan_determinismE0ELb0ELb0ES3_N6thrust23THRUST_200600_302600_NS6detail15normal_iteratorINS9_10device_ptrIyEEEENS9_16discard_iteratorINS9_11use_defaultEEEy11max_functorIyEyEEDaPvRmT3_T4_T5_mT6_P12ihipStream_tbENKUlT_T0_E_clISt17integral_constantIbLb0EESW_IbLb1EEEEDaSS_ST_EUlSS_E_NS1_11comp_targetILNS1_3genE4ELNS1_11target_archE910ELNS1_3gpuE8ELNS1_3repE0EEENS1_30default_config_static_selectorELNS0_4arch9wavefront6targetE1EEEvT1_
; %bb.0:
	s_load_dwordx2 s[6:7], s[4:5], 0x20
	s_load_dwordx2 s[14:15], s[4:5], 0x38
	v_cmp_ne_u32_e64 s[0:1], 0, v0
	v_cmp_eq_u32_e64 s[2:3], 0, v0
	s_and_saveexec_b64 s[8:9], s[2:3]
	s_cbranch_execz .LBB3334_4
; %bb.1:
	s_mov_b64 s[12:13], exec
	v_mbcnt_lo_u32_b32 v1, s12, 0
	v_mbcnt_hi_u32_b32 v1, s13, v1
	v_cmp_eq_u32_e32 vcc, 0, v1
                                        ; implicit-def: $vgpr2
	s_and_saveexec_b64 s[10:11], vcc
	s_cbranch_execz .LBB3334_3
; %bb.2:
	s_load_dwordx2 s[16:17], s[4:5], 0x68
	s_bcnt1_i32_b64 s12, s[12:13]
	v_mov_b32_e32 v2, 0
	v_mov_b32_e32 v3, s12
	s_waitcnt lgkmcnt(0)
	global_atomic_add v2, v2, v3, s[16:17] glc
.LBB3334_3:
	s_or_b64 exec, exec, s[10:11]
	s_waitcnt vmcnt(0)
	v_readfirstlane_b32 s10, v2
	v_add_u32_e32 v1, s10, v1
	v_mov_b32_e32 v2, 0
	ds_write_b32 v2, v1
.LBB3334_4:
	s_or_b64 exec, exec, s[8:9]
	v_mov_b32_e32 v3, 0
	s_load_dwordx4 s[8:11], s[4:5], 0x0
	s_load_dword s12, s[4:5], 0x40
	s_load_dwordx8 s[16:23], s[4:5], 0x48
	s_waitcnt lgkmcnt(0)
	s_barrier
	ds_read_b32 v1, v3
	s_lshl_b64 s[4:5], s[10:11], 3
	s_add_u32 s4, s8, s4
	s_movk_i32 s8, 0x380
	s_addc_u32 s5, s9, s5
	s_waitcnt lgkmcnt(0)
	v_mul_lo_u32 v2, v1, s8
	s_add_i32 s8, s12, -1
	s_mul_i32 s9, s8, 0x380
	s_sub_u32 s28, s6, s9
	v_readfirstlane_b32 s30, v1
	s_subb_u32 s29, s7, 0
	v_lshlrev_b64 v[2:3], 3, v[2:3]
	s_cmp_lg_u32 s30, s8
	v_mov_b32_e32 v1, s5
	v_add_co_u32_e32 v20, vcc, s4, v2
	s_cselect_b64 s[24:25], -1, 0
	v_addc_co_u32_e32 v21, vcc, v1, v3, vcc
	s_mov_b64 s[4:5], -1
	s_and_b64 vcc, exec, s[24:25]
	v_lshlrev_b32_e32 v1, 3, v0
	s_barrier
	s_cbranch_vccz .LBB3334_6
; %bb.5:
	v_add_co_u32_e32 v2, vcc, v20, v1
	v_addc_co_u32_e32 v3, vcc, 0, v21, vcc
	flat_load_dwordx2 v[4:5], v[2:3]
	flat_load_dwordx2 v[6:7], v[2:3] offset:1024
	flat_load_dwordx2 v[8:9], v[2:3] offset:2048
	;; [unrolled: 1-line block ×3, first 2 shown]
	v_add_co_u32_e32 v2, vcc, 0x1000, v2
	v_addc_co_u32_e32 v3, vcc, 0, v3, vcc
	flat_load_dwordx2 v[12:13], v[2:3]
	flat_load_dwordx2 v[14:15], v[2:3] offset:1024
	flat_load_dwordx2 v[16:17], v[2:3] offset:2048
	s_mov_b64 s[4:5], 0
	s_waitcnt vmcnt(0) lgkmcnt(0)
	ds_write2st64_b64 v1, v[4:5], v[6:7] offset1:2
	ds_write2st64_b64 v1, v[8:9], v[10:11] offset0:4 offset1:6
	ds_write2st64_b64 v1, v[12:13], v[14:15] offset0:8 offset1:10
	ds_write_b64 v1, v[16:17] offset:6144
	s_waitcnt lgkmcnt(0)
	s_barrier
.LBB3334_6:
	s_andn2_b64 vcc, exec, s[4:5]
	s_cbranch_vccnz .LBB3334_22
; %bb.7:
	flat_load_dwordx2 v[2:3], v[20:21]
	v_cmp_gt_u32_e32 vcc, s28, v0
	s_waitcnt vmcnt(0) lgkmcnt(0)
	v_mov_b32_e32 v4, v2
	v_mov_b32_e32 v5, v3
	;; [unrolled: 1-line block ×10, first 2 shown]
	v_pk_mov_b32 v[18:19], v[14:15], v[14:15] op_sel:[0,1]
	v_pk_mov_b32 v[16:17], v[12:13], v[12:13] op_sel:[0,1]
	;; [unrolled: 1-line block ×8, first 2 shown]
	s_and_saveexec_b64 s[4:5], vcc
	s_cbranch_execz .LBB3334_9
; %bb.8:
	v_add_co_u32_e32 v4, vcc, v20, v1
	v_addc_co_u32_e32 v5, vcc, 0, v21, vcc
	flat_load_dwordx2 v[22:23], v[4:5]
	v_mov_b32_e32 v4, v2
	v_mov_b32_e32 v5, v3
	;; [unrolled: 1-line block ×10, first 2 shown]
	v_pk_mov_b32 v[18:19], v[14:15], v[14:15] op_sel:[0,1]
	v_pk_mov_b32 v[16:17], v[12:13], v[12:13] op_sel:[0,1]
	;; [unrolled: 1-line block ×8, first 2 shown]
	s_waitcnt vmcnt(0) lgkmcnt(0)
	v_pk_mov_b32 v[2:3], v[22:23], v[22:23] op_sel:[0,1]
.LBB3334_9:
	s_or_b64 exec, exec, s[4:5]
	v_or_b32_e32 v4, 0x80, v0
	v_cmp_gt_u32_e32 vcc, s28, v4
	s_and_saveexec_b64 s[4:5], vcc
	s_cbranch_execz .LBB3334_11
; %bb.10:
	v_add_co_u32_e32 v4, vcc, v20, v1
	v_addc_co_u32_e32 v5, vcc, 0, v21, vcc
	flat_load_dwordx2 v[6:7], v[4:5] offset:1024
.LBB3334_11:
	s_or_b64 exec, exec, s[4:5]
	v_or_b32_e32 v4, 0x100, v0
	v_cmp_gt_u32_e32 vcc, s28, v4
	s_and_saveexec_b64 s[4:5], vcc
	s_cbranch_execz .LBB3334_13
; %bb.12:
	v_add_co_u32_e32 v4, vcc, v20, v1
	v_addc_co_u32_e32 v5, vcc, 0, v21, vcc
	flat_load_dwordx2 v[8:9], v[4:5] offset:2048
.LBB3334_13:
	s_or_b64 exec, exec, s[4:5]
	v_or_b32_e32 v4, 0x180, v0
	v_cmp_gt_u32_e32 vcc, s28, v4
	s_and_saveexec_b64 s[4:5], vcc
	s_cbranch_execz .LBB3334_15
; %bb.14:
	v_add_co_u32_e32 v4, vcc, v20, v1
	v_addc_co_u32_e32 v5, vcc, 0, v21, vcc
	flat_load_dwordx2 v[10:11], v[4:5] offset:3072
.LBB3334_15:
	s_or_b64 exec, exec, s[4:5]
	v_or_b32_e32 v4, 0x200, v0
	v_cmp_gt_u32_e32 vcc, s28, v4
	s_and_saveexec_b64 s[4:5], vcc
	s_cbranch_execz .LBB3334_17
; %bb.16:
	v_lshlrev_b32_e32 v4, 3, v4
	v_add_co_u32_e32 v4, vcc, v20, v4
	v_addc_co_u32_e32 v5, vcc, 0, v21, vcc
	flat_load_dwordx2 v[12:13], v[4:5]
.LBB3334_17:
	s_or_b64 exec, exec, s[4:5]
	v_or_b32_e32 v4, 0x280, v0
	v_cmp_gt_u32_e32 vcc, s28, v4
	s_and_saveexec_b64 s[4:5], vcc
	s_cbranch_execz .LBB3334_19
; %bb.18:
	v_lshlrev_b32_e32 v4, 3, v4
	v_add_co_u32_e32 v4, vcc, v20, v4
	v_addc_co_u32_e32 v5, vcc, 0, v21, vcc
	flat_load_dwordx2 v[14:15], v[4:5]
.LBB3334_19:
	;; [unrolled: 11-line block ×3, first 2 shown]
	s_or_b64 exec, exec, s[4:5]
	s_waitcnt vmcnt(0) lgkmcnt(0)
	ds_write2st64_b64 v1, v[2:3], v[6:7] offset1:2
	ds_write2st64_b64 v1, v[8:9], v[10:11] offset0:4 offset1:6
	ds_write2st64_b64 v1, v[12:13], v[14:15] offset0:8 offset1:10
	ds_write_b64 v1, v[16:17] offset:6144
	s_waitcnt lgkmcnt(0)
	s_barrier
.LBB3334_22:
	v_mul_u32_u24_e32 v36, 7, v0
	v_lshlrev_b32_e32 v37, 3, v36
	ds_read2_b64 v[2:5], v37 offset1:1
	ds_read2_b64 v[10:13], v37 offset0:2 offset1:3
	ds_read2_b64 v[6:9], v37 offset0:4 offset1:5
	ds_read_b64 v[28:29], v37 offset:48
	s_cmp_lg_u32 s30, 0
	v_lshrrev_b32_e32 v1, 5, v0
	v_cmp_gt_u32_e32 vcc, 64, v0
	s_waitcnt lgkmcnt(0)
	s_barrier
	s_cbranch_scc0 .LBB3334_49
; %bb.23:
	v_cmp_gt_u64_e64 s[4:5], v[2:3], v[4:5]
	v_cndmask_b32_e64 v15, v5, v3, s[4:5]
	v_cndmask_b32_e64 v14, v4, v2, s[4:5]
	v_cmp_gt_u64_e64 s[4:5], v[14:15], v[10:11]
	v_cndmask_b32_e64 v15, v11, v15, s[4:5]
	v_cndmask_b32_e64 v14, v10, v14, s[4:5]
	;; [unrolled: 3-line block ×6, first 2 shown]
	v_add_lshl_u32 v14, v1, v0, 3
	ds_write_b64 v14, v[22:23]
	s_waitcnt lgkmcnt(0)
	s_barrier
	s_and_saveexec_b64 s[8:9], vcc
	s_cbranch_execz .LBB3334_27
; %bb.24:
	v_lshlrev_b32_e32 v14, 1, v0
	v_lshrrev_b32_e32 v15, 4, v0
	v_add_lshl_u32 v24, v15, v14, 3
	ds_read2_b64 v[14:17], v24 offset1:1
	v_mbcnt_lo_u32_b32 v18, -1, 0
	v_mbcnt_hi_u32_b32 v25, -1, v18
	v_and_b32_e32 v26, 15, v25
	v_and_b32_e32 v30, 16, v25
	s_waitcnt lgkmcnt(0)
	v_cmp_gt_u64_e64 s[4:5], v[14:15], v[16:17]
	v_cndmask_b32_e64 v17, v17, v15, s[4:5]
	v_cndmask_b32_e64 v16, v16, v14, s[4:5]
	v_cmp_ne_u32_e64 s[6:7], 0, v25
	v_mov_b32_dpp v19, v17 row_shr:1 row_mask:0xf bank_mask:0xf
	v_mov_b32_dpp v18, v16 row_shr:1 row_mask:0xf bank_mask:0xf
	v_cmp_gt_u64_e64 s[4:5], v[18:19], v[16:17]
	v_cndmask_b32_e64 v18, v16, v18, s[4:5]
	v_cndmask_b32_e64 v19, v17, v19, s[4:5]
	v_cmp_eq_u32_e64 s[4:5], 0, v26
	v_cndmask_b32_e64 v19, v19, v17, s[4:5]
	v_cndmask_b32_e64 v18, v18, v16, s[4:5]
	s_nop 0
	v_mov_b32_dpp v21, v19 row_shr:2 row_mask:0xf bank_mask:0xf
	v_mov_b32_dpp v20, v18 row_shr:2 row_mask:0xf bank_mask:0xf
	v_cmp_gt_u64_e64 s[4:5], v[20:21], v[18:19]
	v_cndmask_b32_e64 v20, v18, v20, s[4:5]
	v_cndmask_b32_e64 v21, v19, v21, s[4:5]
	v_cmp_lt_u32_e64 s[4:5], 1, v26
	v_cndmask_b32_e64 v19, v19, v21, s[4:5]
	v_cndmask_b32_e64 v18, v18, v20, s[4:5]
	s_nop 0
	v_mov_b32_dpp v21, v19 row_shr:4 row_mask:0xf bank_mask:0xf
	v_mov_b32_dpp v20, v18 row_shr:4 row_mask:0xf bank_mask:0xf
	v_cmp_gt_u64_e64 s[4:5], v[20:21], v[18:19]
	v_cndmask_b32_e64 v20, v18, v20, s[4:5]
	v_cndmask_b32_e64 v21, v19, v21, s[4:5]
	v_cmp_lt_u32_e64 s[4:5], 3, v26
	;; [unrolled: 9-line block ×3, first 2 shown]
	v_cndmask_b32_e64 v19, v19, v21, s[4:5]
	v_cndmask_b32_e64 v18, v18, v20, s[4:5]
	s_nop 0
	v_mov_b32_dpp v21, v19 row_bcast:15 row_mask:0xf bank_mask:0xf
	v_mov_b32_dpp v20, v18 row_bcast:15 row_mask:0xf bank_mask:0xf
	v_cmp_gt_u64_e64 s[4:5], v[20:21], v[18:19]
	v_cndmask_b32_e64 v26, v19, v21, s[4:5]
	v_cndmask_b32_e64 v27, v18, v20, s[4:5]
	v_cmp_eq_u32_e64 s[4:5], 0, v30
	v_cndmask_b32_e64 v21, v26, v19, s[4:5]
	v_cndmask_b32_e64 v20, v27, v18, s[4:5]
	s_nop 0
	v_mov_b32_dpp v21, v21 row_bcast:31 row_mask:0xf bank_mask:0xf
	v_mov_b32_dpp v20, v20 row_bcast:31 row_mask:0xf bank_mask:0xf
	s_and_saveexec_b64 s[10:11], s[6:7]
; %bb.25:
	v_cndmask_b32_e64 v17, v26, v19, s[4:5]
	v_cndmask_b32_e64 v16, v27, v18, s[4:5]
	v_cmp_lt_u32_e64 s[6:7], 31, v25
	v_cmp_gt_u64_e64 s[4:5], v[20:21], v[16:17]
	s_and_b64 s[4:5], s[6:7], s[4:5]
	v_cndmask_b32_e64 v16, v16, v20, s[4:5]
	v_cndmask_b32_e64 v17, v17, v21, s[4:5]
; %bb.26:
	s_or_b64 exec, exec, s[10:11]
	v_add_u32_e32 v18, -1, v25
	v_and_b32_e32 v19, 64, v25
	v_cmp_lt_i32_e64 s[4:5], v18, v19
	v_cndmask_b32_e64 v18, v18, v25, s[4:5]
	v_lshlrev_b32_e32 v18, 2, v18
	ds_bpermute_b32 v16, v18, v16
	ds_bpermute_b32 v17, v18, v17
	; wave barrier
	s_waitcnt lgkmcnt(0)
	v_cmp_gt_u64_e64 s[4:5], v[16:17], v[14:15]
	v_cndmask_b32_e64 v14, v14, v16, s[4:5]
	v_cndmask_b32_e64 v15, v15, v17, s[4:5]
	;; [unrolled: 1-line block ×4, first 2 shown]
	ds_write_b64 v24, v[14:15]
	; wave barrier
	ds_read_b64 v[16:17], v24 offset:8
	s_waitcnt lgkmcnt(0)
	v_cmp_gt_u64_e64 s[4:5], v[14:15], v[16:17]
	v_cndmask_b32_e64 v15, v17, v15, s[4:5]
	v_cndmask_b32_e64 v14, v16, v14, s[4:5]
	ds_write_b64 v24, v[14:15] offset:8
.LBB3334_27:
	s_or_b64 exec, exec, s[8:9]
	s_waitcnt lgkmcnt(0)
	s_barrier
	s_and_saveexec_b64 s[4:5], s[0:1]
	s_cbranch_execz .LBB3334_29
; %bb.28:
	v_add_u32_e32 v14, -1, v0
	v_lshrrev_b32_e32 v15, 5, v14
	v_add_lshl_u32 v14, v15, v14, 3
	ds_read_b64 v[22:23], v14
.LBB3334_29:
	s_or_b64 exec, exec, s[4:5]
	s_and_saveexec_b64 s[26:27], vcc
	s_cbranch_execz .LBB3334_48
; %bb.30:
	v_mov_b32_e32 v17, 0
	ds_read_b64 v[14:15], v17 offset:1040
	v_mbcnt_lo_u32_b32 v16, -1, 0
	v_mbcnt_hi_u32_b32 v25, -1, v16
	s_mov_b32 s9, 0
	v_cmp_eq_u32_e64 s[4:5], 0, v25
	s_and_saveexec_b64 s[6:7], s[4:5]
	s_cbranch_execz .LBB3334_32
; %bb.31:
	s_add_i32 s8, s30, 64
	s_lshl_b64 s[8:9], s[8:9], 4
	s_add_u32 s8, s14, s8
	s_addc_u32 s9, s15, s9
	v_mov_b32_e32 v16, 1
	v_pk_mov_b32 v[18:19], s[8:9], s[8:9] op_sel:[0,1]
	s_waitcnt lgkmcnt(0)
	;;#ASMSTART
	global_store_dwordx4 v[18:19], v[14:17] off	
s_waitcnt vmcnt(0)
	;;#ASMEND
.LBB3334_32:
	s_or_b64 exec, exec, s[6:7]
	v_xad_u32 v24, v25, -1, s30
	v_add_u32_e32 v16, 64, v24
	v_lshlrev_b64 v[18:19], 4, v[16:17]
	v_mov_b32_e32 v16, s15
	v_add_co_u32_e32 v26, vcc, s14, v18
	v_addc_co_u32_e32 v27, vcc, v16, v19, vcc
	;;#ASMSTART
	global_load_dwordx4 v[18:21], v[26:27] off glc	
s_waitcnt vmcnt(0)
	;;#ASMEND
	v_and_b32_e32 v16, 0xff, v19
	v_and_b32_e32 v21, 0xff00, v19
	v_or3_b32 v16, 0, v16, v21
	v_or3_b32 v18, v18, 0, 0
	v_and_b32_e32 v21, 0xff000000, v19
	v_and_b32_e32 v19, 0xff0000, v19
	v_or3_b32 v19, v16, v19, v21
	v_or3_b32 v18, v18, 0, 0
	v_cmp_eq_u16_sdwa s[8:9], v20, v17 src0_sel:BYTE_0 src1_sel:DWORD
	s_and_saveexec_b64 s[6:7], s[8:9]
	s_cbranch_execz .LBB3334_36
; %bb.33:
	s_mov_b64 s[8:9], 0
	v_mov_b32_e32 v16, 0
.LBB3334_34:                            ; =>This Inner Loop Header: Depth=1
	;;#ASMSTART
	global_load_dwordx4 v[18:21], v[26:27] off glc	
s_waitcnt vmcnt(0)
	;;#ASMEND
	v_cmp_ne_u16_sdwa s[10:11], v20, v16 src0_sel:BYTE_0 src1_sel:DWORD
	s_or_b64 s[8:9], s[10:11], s[8:9]
	s_andn2_b64 exec, exec, s[8:9]
	s_cbranch_execnz .LBB3334_34
; %bb.35:
	s_or_b64 exec, exec, s[8:9]
.LBB3334_36:
	s_or_b64 exec, exec, s[6:7]
	v_and_b32_e32 v33, 63, v25
	v_cmp_ne_u32_e32 vcc, 63, v33
	v_mov_b32_e32 v32, 2
	v_addc_co_u32_e32 v26, vcc, 0, v25, vcc
	v_cmp_eq_u16_sdwa s[6:7], v20, v32 src0_sel:BYTE_0 src1_sel:DWORD
	v_lshlrev_b64 v[16:17], v25, -1
	v_lshlrev_b32_e32 v34, 2, v26
	v_and_b32_e32 v21, s7, v17
	ds_bpermute_b32 v26, v34, v18
	ds_bpermute_b32 v27, v34, v19
	v_or_b32_e32 v21, 0x80000000, v21
	v_and_b32_e32 v30, s6, v16
	v_ffbl_b32_e32 v21, v21
	v_add_u32_e32 v21, 32, v21
	v_ffbl_b32_e32 v30, v30
	v_min_u32_e32 v21, v30, v21
	s_waitcnt lgkmcnt(0)
	v_cmp_gt_u64_e64 s[6:7], v[26:27], v[18:19]
	v_cmp_lt_u32_e32 vcc, v33, v21
	v_cndmask_b32_e64 v26, v18, v26, s[6:7]
	s_and_b64 s[6:7], vcc, s[6:7]
	v_cndmask_b32_e64 v27, v19, v27, s[6:7]
	v_cmp_gt_u32_e64 s[6:7], 62, v33
	v_cndmask_b32_e64 v30, 0, 1, s[6:7]
	v_lshlrev_b32_e32 v30, 1, v30
	v_cndmask_b32_e32 v26, v18, v26, vcc
	v_add_lshl_u32 v35, v30, v25, 2
	ds_bpermute_b32 v30, v35, v26
	ds_bpermute_b32 v31, v35, v27
	v_add_u32_e32 v38, 2, v33
	v_cmp_gt_u32_e64 s[8:9], 56, v33
	v_add_u32_e32 v40, 4, v33
	v_cndmask_b32_e64 v41, 0, 1, s[8:9]
	s_waitcnt lgkmcnt(0)
	v_cmp_gt_u64_e64 s[6:7], v[30:31], v[26:27]
	v_cndmask_b32_e64 v31, v27, v31, s[6:7]
	v_cndmask_b32_e64 v30, v26, v30, s[6:7]
	v_cmp_gt_u32_e64 s[6:7], v38, v21
	v_cndmask_b32_e64 v26, v30, v26, s[6:7]
	v_cndmask_b32_e64 v27, v31, v27, s[6:7]
	v_cmp_gt_u32_e64 s[6:7], 60, v33
	v_cndmask_b32_e64 v30, 0, 1, s[6:7]
	v_lshlrev_b32_e32 v30, 2, v30
	v_add_lshl_u32 v39, v30, v25, 2
	ds_bpermute_b32 v30, v39, v26
	ds_bpermute_b32 v31, v39, v27
	v_lshlrev_b32_e32 v41, 3, v41
	v_add_lshl_u32 v41, v41, v25, 2
	v_cmp_gt_u32_e64 s[10:11], 48, v33
	v_add_u32_e32 v42, 8, v33
	s_waitcnt lgkmcnt(0)
	v_cmp_gt_u64_e64 s[6:7], v[30:31], v[26:27]
	v_cndmask_b32_e64 v50, v27, v31, s[6:7]
	v_cndmask_b32_e64 v51, v26, v30, s[6:7]
	v_cmp_gt_u32_e64 s[6:7], v40, v21
	v_cndmask_b32_e64 v30, v51, v26, s[6:7]
	v_cndmask_b32_e64 v31, v50, v27, s[6:7]
	ds_bpermute_b32 v44, v41, v30
	ds_bpermute_b32 v45, v41, v31
	v_cndmask_b32_e64 v43, 0, 1, s[10:11]
	v_lshlrev_b32_e32 v43, 4, v43
	v_add_lshl_u32 v43, v43, v25, 2
	v_cmp_gt_u32_e64 s[12:13], 32, v33
	s_waitcnt lgkmcnt(0)
	v_cmp_gt_u64_e64 s[8:9], v[44:45], v[30:31]
	v_cndmask_b32_e64 v52, v31, v45, s[8:9]
	v_cndmask_b32_e64 v53, v30, v44, s[8:9]
	v_cmp_gt_u32_e64 s[8:9], v42, v21
	v_cndmask_b32_e64 v30, v53, v30, s[8:9]
	v_cndmask_b32_e64 v31, v52, v31, s[8:9]
	ds_bpermute_b32 v46, v43, v30
	ds_bpermute_b32 v47, v43, v31
	v_add_u32_e32 v44, 16, v33
	v_cndmask_b32_e64 v45, 0, 1, s[12:13]
	v_lshlrev_b32_e32 v45, 5, v45
	v_add_lshl_u32 v45, v45, v25, 2
	s_waitcnt lgkmcnt(0)
	v_cmp_gt_u64_e64 s[10:11], v[46:47], v[30:31]
	v_cndmask_b32_e64 v47, v31, v47, s[10:11]
	v_cndmask_b32_e64 v54, v30, v46, s[10:11]
	v_cmp_gt_u32_e64 s[10:11], v44, v21
	v_cndmask_b32_e64 v30, v54, v30, s[10:11]
	v_cndmask_b32_e64 v31, v47, v31, s[10:11]
	ds_bpermute_b32 v48, v45, v30
	ds_bpermute_b32 v49, v45, v31
	v_cndmask_b32_e32 v19, v19, v27, vcc
	v_cndmask_b32_e32 v18, v18, v26, vcc
	v_cndmask_b32_e64 v18, v51, v18, s[6:7]
	v_cndmask_b32_e64 v19, v50, v19, s[6:7]
	v_add_u32_e32 v46, 32, v33
	s_waitcnt lgkmcnt(0)
	v_cmp_gt_u64_e64 s[12:13], v[48:49], v[30:31]
	v_cndmask_b32_e64 v19, v52, v19, s[8:9]
	v_cndmask_b32_e64 v18, v53, v18, s[8:9]
	;; [unrolled: 1-line block ×6, first 2 shown]
	v_cmp_gt_u32_e32 vcc, v46, v21
	v_cndmask_b32_e32 v19, v30, v19, vcc
	v_cndmask_b32_e32 v18, v25, v18, vcc
	v_mov_b32_e32 v25, 0
	s_branch .LBB3334_38
.LBB3334_37:                            ;   in Loop: Header=BB3334_38 Depth=1
	s_or_b64 exec, exec, s[6:7]
	v_cmp_eq_u16_sdwa s[6:7], v20, v32 src0_sel:BYTE_0 src1_sel:DWORD
	v_and_b32_e32 v21, s7, v17
	ds_bpermute_b32 v30, v34, v18
	ds_bpermute_b32 v31, v34, v19
	v_or_b32_e32 v21, 0x80000000, v21
	v_and_b32_e32 v47, s6, v16
	v_ffbl_b32_e32 v21, v21
	v_add_u32_e32 v21, 32, v21
	v_ffbl_b32_e32 v47, v47
	v_min_u32_e32 v21, v47, v21
	s_waitcnt lgkmcnt(0)
	v_cmp_gt_u64_e32 vcc, v[30:31], v[18:19]
	v_cmp_lt_u32_e64 s[6:7], v33, v21
	v_cndmask_b32_e32 v30, v18, v30, vcc
	s_and_b64 vcc, s[6:7], vcc
	v_cndmask_b32_e64 v30, v18, v30, s[6:7]
	v_cndmask_b32_e32 v31, v19, v31, vcc
	ds_bpermute_b32 v48, v35, v30
	ds_bpermute_b32 v49, v35, v31
	v_subrev_u32_e32 v24, 64, v24
	s_waitcnt lgkmcnt(0)
	v_cmp_gt_u64_e32 vcc, v[48:49], v[30:31]
	v_cndmask_b32_e32 v47, v31, v49, vcc
	v_cndmask_b32_e32 v48, v30, v48, vcc
	v_cmp_gt_u32_e32 vcc, v38, v21
	v_cndmask_b32_e32 v30, v48, v30, vcc
	v_cndmask_b32_e32 v31, v47, v31, vcc
	ds_bpermute_b32 v48, v39, v30
	ds_bpermute_b32 v49, v39, v31
	v_cndmask_b32_e64 v19, v19, v31, s[6:7]
	v_cndmask_b32_e64 v18, v18, v30, s[6:7]
	s_waitcnt lgkmcnt(0)
	v_cmp_gt_u64_e32 vcc, v[48:49], v[30:31]
	v_cndmask_b32_e32 v47, v31, v49, vcc
	v_cndmask_b32_e32 v52, v30, v48, vcc
	v_cmp_gt_u32_e32 vcc, v40, v21
	v_cndmask_b32_e32 v48, v52, v30, vcc
	v_cndmask_b32_e32 v49, v47, v31, vcc
	ds_bpermute_b32 v50, v41, v48
	ds_bpermute_b32 v51, v41, v49
	v_cndmask_b32_e32 v18, v52, v18, vcc
	v_cndmask_b32_e32 v19, v47, v19, vcc
	v_cmp_gt_u32_e32 vcc, v46, v21
	s_waitcnt lgkmcnt(0)
	v_cmp_gt_u64_e64 s[8:9], v[50:51], v[48:49]
	v_cndmask_b32_e64 v53, v49, v51, s[8:9]
	v_cndmask_b32_e64 v54, v48, v50, s[8:9]
	v_cmp_gt_u32_e64 s[8:9], v42, v21
	v_cndmask_b32_e64 v48, v54, v48, s[8:9]
	v_cndmask_b32_e64 v49, v53, v49, s[8:9]
	ds_bpermute_b32 v50, v43, v48
	ds_bpermute_b32 v51, v43, v49
	v_cndmask_b32_e64 v19, v53, v19, s[8:9]
	v_cndmask_b32_e64 v18, v54, v18, s[8:9]
	s_waitcnt lgkmcnt(0)
	v_cmp_gt_u64_e64 s[10:11], v[50:51], v[48:49]
	v_cndmask_b32_e64 v55, v49, v51, s[10:11]
	v_cndmask_b32_e64 v56, v48, v50, s[10:11]
	v_cmp_gt_u32_e64 s[10:11], v44, v21
	v_cndmask_b32_e64 v48, v56, v48, s[10:11]
	v_cndmask_b32_e64 v49, v55, v49, s[10:11]
	ds_bpermute_b32 v50, v45, v48
	ds_bpermute_b32 v51, v45, v49
	v_cndmask_b32_e64 v18, v56, v18, s[10:11]
	v_cndmask_b32_e64 v19, v55, v19, s[10:11]
	s_waitcnt lgkmcnt(0)
	v_cmp_gt_u64_e64 s[12:13], v[50:51], v[48:49]
	v_cndmask_b32_e64 v48, v48, v50, s[12:13]
	v_cndmask_b32_e64 v49, v49, v51, s[12:13]
	v_cndmask_b32_e32 v19, v49, v19, vcc
	v_cndmask_b32_e32 v18, v48, v18, vcc
	v_cmp_gt_u64_e32 vcc, v[18:19], v[26:27]
	v_cndmask_b32_e32 v19, v27, v19, vcc
	v_cndmask_b32_e32 v18, v26, v18, vcc
.LBB3334_38:                            ; =>This Loop Header: Depth=1
                                        ;     Child Loop BB3334_41 Depth 2
	v_cmp_ne_u16_sdwa s[6:7], v20, v32 src0_sel:BYTE_0 src1_sel:DWORD
	v_cndmask_b32_e64 v20, 0, 1, s[6:7]
	;;#ASMSTART
	;;#ASMEND
	v_cmp_ne_u32_e32 vcc, 0, v20
	s_cmp_lg_u64 vcc, exec
	v_pk_mov_b32 v[26:27], v[18:19], v[18:19] op_sel:[0,1]
	s_cbranch_scc1 .LBB3334_43
; %bb.39:                               ;   in Loop: Header=BB3334_38 Depth=1
	v_lshlrev_b64 v[18:19], 4, v[24:25]
	v_mov_b32_e32 v20, s15
	v_add_co_u32_e32 v30, vcc, s14, v18
	v_addc_co_u32_e32 v31, vcc, v20, v19, vcc
	;;#ASMSTART
	global_load_dwordx4 v[18:21], v[30:31] off glc	
s_waitcnt vmcnt(0)
	;;#ASMEND
	v_and_b32_e32 v21, 0xff, v19
	v_and_b32_e32 v47, 0xff00, v19
	v_or3_b32 v21, 0, v21, v47
	v_or3_b32 v18, v18, 0, 0
	v_and_b32_e32 v47, 0xff000000, v19
	v_and_b32_e32 v19, 0xff0000, v19
	v_or3_b32 v19, v21, v19, v47
	v_or3_b32 v18, v18, 0, 0
	v_cmp_eq_u16_sdwa s[8:9], v20, v25 src0_sel:BYTE_0 src1_sel:DWORD
	s_and_saveexec_b64 s[6:7], s[8:9]
	s_cbranch_execz .LBB3334_37
; %bb.40:                               ;   in Loop: Header=BB3334_38 Depth=1
	s_mov_b64 s[8:9], 0
.LBB3334_41:                            ;   Parent Loop BB3334_38 Depth=1
                                        ; =>  This Inner Loop Header: Depth=2
	;;#ASMSTART
	global_load_dwordx4 v[18:21], v[30:31] off glc	
s_waitcnt vmcnt(0)
	;;#ASMEND
	v_cmp_ne_u16_sdwa s[10:11], v20, v25 src0_sel:BYTE_0 src1_sel:DWORD
	s_or_b64 s[8:9], s[10:11], s[8:9]
	s_andn2_b64 exec, exec, s[8:9]
	s_cbranch_execnz .LBB3334_41
; %bb.42:                               ;   in Loop: Header=BB3334_38 Depth=1
	s_or_b64 exec, exec, s[8:9]
	s_branch .LBB3334_37
.LBB3334_43:                            ;   in Loop: Header=BB3334_38 Depth=1
                                        ; implicit-def: $vgpr18_vgpr19
                                        ; implicit-def: $vgpr20
	s_cbranch_execz .LBB3334_38
; %bb.44:
	s_and_saveexec_b64 s[6:7], s[4:5]
	s_cbranch_execz .LBB3334_46
; %bb.45:
	s_add_i32 s4, s30, 64
	s_mov_b32 s5, 0
	s_lshl_b64 s[4:5], s[4:5], 4
	s_add_u32 s4, s14, s4
	v_cmp_gt_u64_e32 vcc, v[26:27], v[14:15]
	s_addc_u32 s5, s15, s5
	v_cndmask_b32_e32 v15, v15, v27, vcc
	v_cndmask_b32_e32 v14, v14, v26, vcc
	v_mov_b32_e32 v16, 2
	v_mov_b32_e32 v17, 0
	v_pk_mov_b32 v[18:19], s[4:5], s[4:5] op_sel:[0,1]
	;;#ASMSTART
	global_store_dwordx4 v[18:19], v[14:17] off	
s_waitcnt vmcnt(0)
	;;#ASMEND
.LBB3334_46:
	s_or_b64 exec, exec, s[6:7]
	s_and_b64 exec, exec, s[2:3]
	s_cbranch_execz .LBB3334_48
; %bb.47:
	v_mov_b32_e32 v14, 0
	ds_write_b64 v14, v[26:27]
.LBB3334_48:
	s_or_b64 exec, exec, s[26:27]
	v_mov_b32_e32 v14, 0
	s_waitcnt lgkmcnt(0)
	s_barrier
	ds_read_b64 v[14:15], v14
	v_cmp_gt_u64_e32 vcc, v[22:23], v[2:3]
	v_cndmask_b32_e32 v16, v2, v22, vcc
	v_cndmask_b32_e32 v17, v3, v23, vcc
	v_cndmask_b32_e64 v17, v17, v3, s[2:3]
	v_cndmask_b32_e64 v16, v16, v2, s[2:3]
	s_waitcnt lgkmcnt(0)
	v_cmp_gt_u64_e32 vcc, v[14:15], v[16:17]
	v_cndmask_b32_e32 v25, v17, v15, vcc
	v_cndmask_b32_e32 v24, v16, v14, vcc
	v_cmp_gt_u64_e32 vcc, v[24:25], v[4:5]
	v_cndmask_b32_e32 v31, v5, v25, vcc
	v_cndmask_b32_e32 v30, v4, v24, vcc
	;; [unrolled: 3-line block ×7, first 2 shown]
	s_branch .LBB3334_63
.LBB3334_49:
                                        ; implicit-def: $vgpr22_vgpr23
                                        ; implicit-def: $vgpr34_vgpr35
                                        ; implicit-def: $vgpr32_vgpr33
                                        ; implicit-def: $vgpr30_vgpr31
                                        ; implicit-def: $vgpr18_vgpr19_vgpr20_vgpr21
                                        ; implicit-def: $vgpr14_vgpr15_vgpr16_vgpr17
                                        ; implicit-def: $vgpr24_vgpr25_vgpr26_vgpr27
	s_cbranch_execz .LBB3334_63
; %bb.50:
	s_cmp_lg_u64 s[20:21], 0
	s_cselect_b64 s[4:5], -1, 0
	s_and_b64 s[6:7], s[2:3], s[4:5]
	s_and_saveexec_b64 s[4:5], s[6:7]
	s_cbranch_execz .LBB3334_52
; %bb.51:
	v_mov_b32_e32 v14, 0
	global_load_dwordx2 v[14:15], v14, s[16:17]
	s_waitcnt vmcnt(0)
	v_cmp_gt_u64_e32 vcc, v[14:15], v[2:3]
	v_cndmask_b32_e32 v3, v3, v15, vcc
	v_cndmask_b32_e32 v2, v2, v14, vcc
.LBB3334_52:
	s_or_b64 exec, exec, s[4:5]
	v_cmp_gt_u64_e32 vcc, v[2:3], v[4:5]
	v_cndmask_b32_e32 v31, v5, v3, vcc
	v_cndmask_b32_e32 v30, v4, v2, vcc
	v_cmp_gt_u64_e32 vcc, v[30:31], v[10:11]
	v_cndmask_b32_e32 v15, v11, v31, vcc
	v_cndmask_b32_e32 v14, v10, v30, vcc
	;; [unrolled: 3-line block ×6, first 2 shown]
	v_add_lshl_u32 v1, v1, v0, 3
	v_cmp_gt_u32_e32 vcc, 64, v0
	ds_write_b64 v1, v[22:23]
	s_waitcnt lgkmcnt(0)
	s_barrier
	s_and_saveexec_b64 s[6:7], vcc
	s_cbranch_execz .LBB3334_56
; %bb.53:
	v_lshlrev_b32_e32 v1, 1, v0
	v_lshrrev_b32_e32 v16, 4, v0
	v_add_lshl_u32 v1, v16, v1, 3
	ds_read2_b64 v[24:27], v1 offset1:1
	v_mbcnt_lo_u32_b32 v16, -1, 0
	v_mbcnt_hi_u32_b32 v38, -1, v16
	v_and_b32_e32 v39, 15, v38
	v_and_b32_e32 v41, 16, v38
	s_waitcnt lgkmcnt(0)
	v_cmp_gt_u64_e32 vcc, v[24:25], v[26:27]
	v_cndmask_b32_e32 v17, v27, v25, vcc
	v_cndmask_b32_e32 v16, v26, v24, vcc
	v_cmp_ne_u32_e64 s[4:5], 0, v38
	v_mov_b32_dpp v21, v17 row_shr:1 row_mask:0xf bank_mask:0xf
	v_mov_b32_dpp v20, v16 row_shr:1 row_mask:0xf bank_mask:0xf
	v_cmp_gt_u64_e32 vcc, v[20:21], v[16:17]
	v_cndmask_b32_e32 v20, v16, v20, vcc
	v_cndmask_b32_e32 v21, v17, v21, vcc
	v_cmp_eq_u32_e32 vcc, 0, v39
	v_cndmask_b32_e32 v21, v21, v17, vcc
	v_cndmask_b32_e32 v20, v20, v16, vcc
	s_nop 0
	v_mov_b32_dpp v27, v21 row_shr:2 row_mask:0xf bank_mask:0xf
	v_mov_b32_dpp v26, v20 row_shr:2 row_mask:0xf bank_mask:0xf
	v_cmp_gt_u64_e32 vcc, v[26:27], v[20:21]
	v_cndmask_b32_e32 v26, v20, v26, vcc
	v_cndmask_b32_e32 v27, v21, v27, vcc
	v_cmp_lt_u32_e32 vcc, 1, v39
	v_cndmask_b32_e32 v21, v21, v27, vcc
	v_cndmask_b32_e32 v20, v20, v26, vcc
	s_nop 0
	v_mov_b32_dpp v27, v21 row_shr:4 row_mask:0xf bank_mask:0xf
	v_mov_b32_dpp v26, v20 row_shr:4 row_mask:0xf bank_mask:0xf
	v_cmp_gt_u64_e32 vcc, v[26:27], v[20:21]
	v_cndmask_b32_e32 v26, v20, v26, vcc
	v_cndmask_b32_e32 v27, v21, v27, vcc
	v_cmp_lt_u32_e32 vcc, 3, v39
	;; [unrolled: 9-line block ×3, first 2 shown]
	v_cndmask_b32_e32 v21, v21, v27, vcc
	v_cndmask_b32_e32 v20, v20, v26, vcc
	s_nop 0
	v_mov_b32_dpp v27, v21 row_bcast:15 row_mask:0xf bank_mask:0xf
	v_mov_b32_dpp v26, v20 row_bcast:15 row_mask:0xf bank_mask:0xf
	v_cmp_gt_u64_e32 vcc, v[26:27], v[20:21]
	v_cndmask_b32_e32 v39, v21, v27, vcc
	v_cndmask_b32_e32 v40, v20, v26, vcc
	v_cmp_eq_u32_e32 vcc, 0, v41
	v_cndmask_b32_e32 v27, v39, v21, vcc
	v_cndmask_b32_e32 v26, v40, v20, vcc
	s_nop 0
	v_mov_b32_dpp v27, v27 row_bcast:31 row_mask:0xf bank_mask:0xf
	v_mov_b32_dpp v26, v26 row_bcast:31 row_mask:0xf bank_mask:0xf
	s_and_saveexec_b64 s[8:9], s[4:5]
; %bb.54:
	v_cndmask_b32_e32 v17, v39, v21, vcc
	v_cndmask_b32_e32 v16, v40, v20, vcc
	v_cmp_lt_u32_e64 s[4:5], 31, v38
	v_cmp_gt_u64_e32 vcc, v[26:27], v[16:17]
	s_and_b64 vcc, s[4:5], vcc
	v_cndmask_b32_e32 v16, v16, v26, vcc
	v_cndmask_b32_e32 v17, v17, v27, vcc
; %bb.55:
	s_or_b64 exec, exec, s[8:9]
	v_add_u32_e32 v20, -1, v38
	v_and_b32_e32 v21, 64, v38
	v_cmp_lt_i32_e32 vcc, v20, v21
	v_cndmask_b32_e32 v20, v20, v38, vcc
	v_lshlrev_b32_e32 v20, 2, v20
	ds_bpermute_b32 v16, v20, v16
	ds_bpermute_b32 v17, v20, v17
	; wave barrier
	s_waitcnt lgkmcnt(0)
	v_cmp_gt_u64_e32 vcc, v[16:17], v[24:25]
	v_cndmask_b32_e32 v16, v24, v16, vcc
	v_cndmask_b32_e32 v17, v25, v17, vcc
	v_cndmask_b32_e64 v17, v17, v23, s[2:3]
	v_cndmask_b32_e64 v16, v16, v22, s[2:3]
	ds_write_b64 v1, v[16:17]
	; wave barrier
	ds_read_b64 v[20:21], v1 offset:8
	s_waitcnt lgkmcnt(0)
	v_cmp_gt_u64_e32 vcc, v[16:17], v[20:21]
	v_cndmask_b32_e32 v17, v21, v17, vcc
	v_cndmask_b32_e32 v16, v20, v16, vcc
	ds_write_b64 v1, v[16:17] offset:8
.LBB3334_56:
	s_or_b64 exec, exec, s[6:7]
	v_pk_mov_b32 v[16:17], v[22:23], v[22:23] op_sel:[0,1]
	s_waitcnt lgkmcnt(0)
	s_barrier
	s_and_saveexec_b64 s[2:3], s[0:1]
	s_cbranch_execz .LBB3334_58
; %bb.57:
	v_add_u32_e32 v1, -1, v0
	v_lshrrev_b32_e32 v16, 5, v1
	v_add_lshl_u32 v1, v16, v1, 3
	ds_read_b64 v[16:17], v1
.LBB3334_58:
	s_or_b64 exec, exec, s[2:3]
	s_and_saveexec_b64 s[2:3], s[0:1]
	s_cbranch_execz .LBB3334_60
; %bb.59:
	s_waitcnt lgkmcnt(0)
	v_cmp_gt_u64_e32 vcc, v[16:17], v[2:3]
	v_cndmask_b32_e32 v3, v3, v17, vcc
	v_cndmask_b32_e32 v2, v2, v16, vcc
	v_cmp_gt_u64_e32 vcc, v[2:3], v[4:5]
	v_cndmask_b32_e32 v31, v5, v3, vcc
	v_cndmask_b32_e32 v30, v4, v2, vcc
	;; [unrolled: 3-line block ×7, first 2 shown]
	;;#ASMSTART
	;;#ASMEND
.LBB3334_60:
	s_or_b64 exec, exec, s[2:3]
	s_movk_i32 s0, 0x7f
	v_cmp_eq_u32_e32 vcc, s0, v0
	s_and_saveexec_b64 s[0:1], vcc
	s_cbranch_execz .LBB3334_62
; %bb.61:
	s_add_u32 s2, s14, 0x400
	s_addc_u32 s3, s15, 0
	v_mov_b32_e32 v24, 2
	v_mov_b32_e32 v25, 0
	v_pk_mov_b32 v[4:5], s[2:3], s[2:3] op_sel:[0,1]
	;;#ASMSTART
	global_store_dwordx4 v[4:5], v[22:25] off	
s_waitcnt vmcnt(0)
	;;#ASMEND
.LBB3334_62:
	s_or_b64 exec, exec, s[0:1]
	v_pk_mov_b32 v[24:25], v[2:3], v[2:3] op_sel:[0,1]
.LBB3334_63:
	s_mov_b64 s[0:1], -1
	s_and_b64 vcc, exec, s[24:25]
	s_waitcnt lgkmcnt(0)
	s_barrier
	ds_write2_b64 v37, v[24:25], v[30:31] offset1:1
	ds_write2_b64 v37, v[14:15], v[32:33] offset0:2 offset1:3
	ds_write2_b64 v37, v[18:19], v[34:35] offset0:4 offset1:5
	ds_write_b64 v37, v[22:23] offset:48
	s_waitcnt lgkmcnt(0)
	s_cbranch_vccz .LBB3334_65
; %bb.64:
	s_barrier
	s_mov_b64 s[0:1], 0
.LBB3334_65:
	s_andn2_b64 vcc, exec, s[0:1]
	s_cbranch_vccnz .LBB3334_90
; %bb.66:
	v_cmp_lt_u64_e64 s[0:1], s[22:23], 2
	s_and_b64 vcc, exec, s[0:1]
	s_barrier
	s_cbranch_vccnz .LBB3334_90
; %bb.67:
	s_add_u32 s0, s28, -1
	s_addc_u32 s1, s29, -1
	s_add_u32 s2, 0, 0x92481000
	s_addc_u32 s3, 0, 0x64
	s_add_i32 s3, s3, 0x249248c0
	s_mul_hi_u32 s7, s2, -7
	s_sub_i32 s7, s7, s2
	s_mul_i32 s8, s3, -7
	s_mul_i32 s4, s2, -7
	s_add_i32 s7, s7, s8
	s_mul_hi_u32 s5, s3, s4
	s_mul_i32 s6, s3, s4
	s_mul_i32 s9, s2, s7
	s_mul_hi_u32 s4, s2, s4
	s_mul_hi_u32 s8, s2, s7
	s_add_u32 s4, s4, s9
	s_addc_u32 s8, 0, s8
	s_add_u32 s4, s4, s6
	s_mul_hi_u32 s9, s3, s7
	s_addc_u32 s4, s8, s5
	s_addc_u32 s5, s9, 0
	s_mul_i32 s6, s3, s7
	s_add_u32 s4, s4, s6
	v_mov_b32_e32 v2, s4
	s_addc_u32 s5, 0, s5
	v_add_co_u32_e32 v2, vcc, s2, v2
	s_cmp_lg_u64 vcc, 0
	s_addc_u32 s2, s3, s5
	v_readfirstlane_b32 s5, v2
	s_mul_i32 s4, s0, s2
	s_mul_hi_u32 s6, s0, s5
	s_mul_hi_u32 s3, s0, s2
	s_add_u32 s4, s6, s4
	s_addc_u32 s3, 0, s3
	s_mul_hi_u32 s7, s1, s5
	s_mul_i32 s5, s1, s5
	s_add_u32 s4, s4, s5
	s_mul_hi_u32 s6, s1, s2
	s_addc_u32 s3, s3, s7
	s_addc_u32 s4, s6, 0
	s_mul_i32 s2, s1, s2
	s_add_u32 s2, s3, s2
	s_addc_u32 s3, 0, s4
	s_add_u32 s4, s2, 1
	s_addc_u32 s5, s3, 0
	s_add_u32 s6, s2, 2
	s_mul_i32 s8, s3, 7
	s_mul_hi_u32 s9, s2, 7
	s_addc_u32 s7, s3, 0
	s_add_i32 s9, s9, s8
	s_mul_i32 s8, s2, 7
	v_mov_b32_e32 v2, s8
	v_sub_co_u32_e32 v2, vcc, s0, v2
	s_cmp_lg_u64 vcc, 0
	s_subb_u32 s8, s1, s9
	v_subrev_co_u32_e32 v3, vcc, 7, v2
	s_cmp_lg_u64 vcc, 0
	s_subb_u32 s9, s8, 0
	v_readfirstlane_b32 s10, v3
	s_cmp_gt_u32 s10, 6
	s_cselect_b32 s10, -1, 0
	s_cmp_eq_u32 s9, 0
	s_cselect_b32 s9, s10, -1
	s_cmp_lg_u32 s9, 0
	s_cselect_b32 s4, s6, s4
	v_readfirstlane_b32 s6, v2
	s_cselect_b32 s5, s7, s5
	s_cmp_gt_u32 s6, 6
	s_cselect_b32 s6, -1, 0
	s_cmp_eq_u32 s8, 0
	s_cselect_b32 s6, s6, -1
	s_cmp_lg_u32 s6, 0
	v_mov_b32_e32 v1, 0
	s_cselect_b32 s3, s5, s3
	s_cselect_b32 s2, s4, s2
	v_cmp_eq_u64_e32 vcc, s[2:3], v[0:1]
	s_and_saveexec_b64 s[2:3], vcc
	s_cbranch_execz .LBB3334_90
; %bb.68:
	s_movk_i32 s2, 0xffd0
	v_mad_i32_i24 v2, v0, s2, v37
	v_mul_hi_u32_u24_e32 v1, 7, v0
	v_mov_b32_e32 v3, s1
	v_sub_co_u32_e32 v0, vcc, s0, v36
	v_subb_co_u32_e32 v1, vcc, v3, v1, vcc
	v_cmp_lt_i64_e32 vcc, 3, v[0:1]
	s_and_saveexec_b64 s[0:1], vcc
	s_xor_b64 s[0:1], exec, s[0:1]
	s_cbranch_execz .LBB3334_78
; %bb.69:
	v_cmp_lt_i64_e32 vcc, 4, v[0:1]
	s_and_saveexec_b64 s[2:3], vcc
	s_xor_b64 s[2:3], exec, s[2:3]
	s_cbranch_execz .LBB3334_75
; %bb.70:
	;; [unrolled: 5-line block ×3, first 2 shown]
	ds_read_b64 v[0:1], v2 offset:6144
	v_mov_b32_e32 v2, 0
	s_waitcnt lgkmcnt(0)
	global_store_dwordx2 v2, v[0:1], s[18:19]
                                        ; implicit-def: $vgpr2
.LBB3334_72:
	s_andn2_saveexec_b64 s[4:5], s[4:5]
	s_cbranch_execz .LBB3334_74
; %bb.73:
	ds_read_b64 v[0:1], v2 offset:5120
	v_mov_b32_e32 v2, 0
	s_waitcnt lgkmcnt(0)
	global_store_dwordx2 v2, v[0:1], s[18:19]
.LBB3334_74:
	s_or_b64 exec, exec, s[4:5]
                                        ; implicit-def: $vgpr2
.LBB3334_75:
	s_andn2_saveexec_b64 s[2:3], s[2:3]
	s_cbranch_execz .LBB3334_77
; %bb.76:
	ds_read_b64 v[0:1], v2 offset:4096
	v_mov_b32_e32 v2, 0
	s_waitcnt lgkmcnt(0)
	global_store_dwordx2 v2, v[0:1], s[18:19]
.LBB3334_77:
	s_or_b64 exec, exec, s[2:3]
                                        ; implicit-def: $vgpr0_vgpr1
                                        ; implicit-def: $vgpr2
.LBB3334_78:
	s_andn2_saveexec_b64 s[0:1], s[0:1]
	s_cbranch_execz .LBB3334_90
; %bb.79:
	v_cmp_lt_i64_e32 vcc, 1, v[0:1]
	s_and_saveexec_b64 s[0:1], vcc
	s_xor_b64 s[0:1], exec, s[0:1]
	s_cbranch_execz .LBB3334_85
; %bb.80:
	v_cmp_lt_i64_e32 vcc, 2, v[0:1]
	s_and_saveexec_b64 s[2:3], vcc
	s_xor_b64 s[2:3], exec, s[2:3]
	s_cbranch_execz .LBB3334_82
; %bb.81:
	ds_read_b64 v[0:1], v2 offset:3072
	v_mov_b32_e32 v2, 0
	s_waitcnt lgkmcnt(0)
	global_store_dwordx2 v2, v[0:1], s[18:19]
                                        ; implicit-def: $vgpr2
.LBB3334_82:
	s_andn2_saveexec_b64 s[2:3], s[2:3]
	s_cbranch_execz .LBB3334_84
; %bb.83:
	ds_read_b64 v[0:1], v2 offset:2048
	v_mov_b32_e32 v2, 0
	s_waitcnt lgkmcnt(0)
	global_store_dwordx2 v2, v[0:1], s[18:19]
.LBB3334_84:
	s_or_b64 exec, exec, s[2:3]
                                        ; implicit-def: $vgpr2
                                        ; implicit-def: $vgpr0_vgpr1
.LBB3334_85:
	s_andn2_saveexec_b64 s[0:1], s[0:1]
	s_cbranch_execz .LBB3334_90
; %bb.86:
	v_cmp_ne_u64_e32 vcc, 1, v[0:1]
	s_and_saveexec_b64 s[0:1], vcc
	s_xor_b64 s[0:1], exec, s[0:1]
	s_cbranch_execz .LBB3334_88
; %bb.87:
	ds_read_b64 v[0:1], v2
	v_mov_b32_e32 v2, 0
	s_waitcnt lgkmcnt(0)
	global_store_dwordx2 v2, v[0:1], s[18:19]
                                        ; implicit-def: $vgpr2
.LBB3334_88:
	s_andn2_saveexec_b64 s[0:1], s[0:1]
	s_cbranch_execz .LBB3334_90
; %bb.89:
	ds_read_b64 v[0:1], v2 offset:1024
	v_mov_b32_e32 v2, 0
	s_waitcnt lgkmcnt(0)
	global_store_dwordx2 v2, v[0:1], s[18:19]
.LBB3334_90:
	s_endpgm
	.section	.rodata,"a",@progbits
	.p2align	6, 0x0
	.amdhsa_kernel _ZN7rocprim17ROCPRIM_400000_NS6detail17trampoline_kernelINS0_14default_configENS1_20scan_config_selectorIyEEZZNS1_9scan_implILNS1_25lookback_scan_determinismE0ELb0ELb0ES3_N6thrust23THRUST_200600_302600_NS6detail15normal_iteratorINS9_10device_ptrIyEEEENS9_16discard_iteratorINS9_11use_defaultEEEy11max_functorIyEyEEDaPvRmT3_T4_T5_mT6_P12ihipStream_tbENKUlT_T0_E_clISt17integral_constantIbLb0EESW_IbLb1EEEEDaSS_ST_EUlSS_E_NS1_11comp_targetILNS1_3genE4ELNS1_11target_archE910ELNS1_3gpuE8ELNS1_3repE0EEENS1_30default_config_static_selectorELNS0_4arch9wavefront6targetE1EEEvT1_
		.amdhsa_group_segment_fixed_size 7168
		.amdhsa_private_segment_fixed_size 0
		.amdhsa_kernarg_size 112
		.amdhsa_user_sgpr_count 6
		.amdhsa_user_sgpr_private_segment_buffer 1
		.amdhsa_user_sgpr_dispatch_ptr 0
		.amdhsa_user_sgpr_queue_ptr 0
		.amdhsa_user_sgpr_kernarg_segment_ptr 1
		.amdhsa_user_sgpr_dispatch_id 0
		.amdhsa_user_sgpr_flat_scratch_init 0
		.amdhsa_user_sgpr_kernarg_preload_length 0
		.amdhsa_user_sgpr_kernarg_preload_offset 0
		.amdhsa_user_sgpr_private_segment_size 0
		.amdhsa_uses_dynamic_stack 0
		.amdhsa_system_sgpr_private_segment_wavefront_offset 0
		.amdhsa_system_sgpr_workgroup_id_x 1
		.amdhsa_system_sgpr_workgroup_id_y 0
		.amdhsa_system_sgpr_workgroup_id_z 0
		.amdhsa_system_sgpr_workgroup_info 0
		.amdhsa_system_vgpr_workitem_id 0
		.amdhsa_next_free_vgpr 57
		.amdhsa_next_free_sgpr 31
		.amdhsa_accum_offset 60
		.amdhsa_reserve_vcc 1
		.amdhsa_reserve_flat_scratch 0
		.amdhsa_float_round_mode_32 0
		.amdhsa_float_round_mode_16_64 0
		.amdhsa_float_denorm_mode_32 3
		.amdhsa_float_denorm_mode_16_64 3
		.amdhsa_dx10_clamp 1
		.amdhsa_ieee_mode 1
		.amdhsa_fp16_overflow 0
		.amdhsa_tg_split 0
		.amdhsa_exception_fp_ieee_invalid_op 0
		.amdhsa_exception_fp_denorm_src 0
		.amdhsa_exception_fp_ieee_div_zero 0
		.amdhsa_exception_fp_ieee_overflow 0
		.amdhsa_exception_fp_ieee_underflow 0
		.amdhsa_exception_fp_ieee_inexact 0
		.amdhsa_exception_int_div_zero 0
	.end_amdhsa_kernel
	.section	.text._ZN7rocprim17ROCPRIM_400000_NS6detail17trampoline_kernelINS0_14default_configENS1_20scan_config_selectorIyEEZZNS1_9scan_implILNS1_25lookback_scan_determinismE0ELb0ELb0ES3_N6thrust23THRUST_200600_302600_NS6detail15normal_iteratorINS9_10device_ptrIyEEEENS9_16discard_iteratorINS9_11use_defaultEEEy11max_functorIyEyEEDaPvRmT3_T4_T5_mT6_P12ihipStream_tbENKUlT_T0_E_clISt17integral_constantIbLb0EESW_IbLb1EEEEDaSS_ST_EUlSS_E_NS1_11comp_targetILNS1_3genE4ELNS1_11target_archE910ELNS1_3gpuE8ELNS1_3repE0EEENS1_30default_config_static_selectorELNS0_4arch9wavefront6targetE1EEEvT1_,"axG",@progbits,_ZN7rocprim17ROCPRIM_400000_NS6detail17trampoline_kernelINS0_14default_configENS1_20scan_config_selectorIyEEZZNS1_9scan_implILNS1_25lookback_scan_determinismE0ELb0ELb0ES3_N6thrust23THRUST_200600_302600_NS6detail15normal_iteratorINS9_10device_ptrIyEEEENS9_16discard_iteratorINS9_11use_defaultEEEy11max_functorIyEyEEDaPvRmT3_T4_T5_mT6_P12ihipStream_tbENKUlT_T0_E_clISt17integral_constantIbLb0EESW_IbLb1EEEEDaSS_ST_EUlSS_E_NS1_11comp_targetILNS1_3genE4ELNS1_11target_archE910ELNS1_3gpuE8ELNS1_3repE0EEENS1_30default_config_static_selectorELNS0_4arch9wavefront6targetE1EEEvT1_,comdat
.Lfunc_end3334:
	.size	_ZN7rocprim17ROCPRIM_400000_NS6detail17trampoline_kernelINS0_14default_configENS1_20scan_config_selectorIyEEZZNS1_9scan_implILNS1_25lookback_scan_determinismE0ELb0ELb0ES3_N6thrust23THRUST_200600_302600_NS6detail15normal_iteratorINS9_10device_ptrIyEEEENS9_16discard_iteratorINS9_11use_defaultEEEy11max_functorIyEyEEDaPvRmT3_T4_T5_mT6_P12ihipStream_tbENKUlT_T0_E_clISt17integral_constantIbLb0EESW_IbLb1EEEEDaSS_ST_EUlSS_E_NS1_11comp_targetILNS1_3genE4ELNS1_11target_archE910ELNS1_3gpuE8ELNS1_3repE0EEENS1_30default_config_static_selectorELNS0_4arch9wavefront6targetE1EEEvT1_, .Lfunc_end3334-_ZN7rocprim17ROCPRIM_400000_NS6detail17trampoline_kernelINS0_14default_configENS1_20scan_config_selectorIyEEZZNS1_9scan_implILNS1_25lookback_scan_determinismE0ELb0ELb0ES3_N6thrust23THRUST_200600_302600_NS6detail15normal_iteratorINS9_10device_ptrIyEEEENS9_16discard_iteratorINS9_11use_defaultEEEy11max_functorIyEyEEDaPvRmT3_T4_T5_mT6_P12ihipStream_tbENKUlT_T0_E_clISt17integral_constantIbLb0EESW_IbLb1EEEEDaSS_ST_EUlSS_E_NS1_11comp_targetILNS1_3genE4ELNS1_11target_archE910ELNS1_3gpuE8ELNS1_3repE0EEENS1_30default_config_static_selectorELNS0_4arch9wavefront6targetE1EEEvT1_
                                        ; -- End function
	.section	.AMDGPU.csdata,"",@progbits
; Kernel info:
; codeLenInByte = 5376
; NumSgprs: 35
; NumVgprs: 57
; NumAgprs: 0
; TotalNumVgprs: 57
; ScratchSize: 0
; MemoryBound: 0
; FloatMode: 240
; IeeeMode: 1
; LDSByteSize: 7168 bytes/workgroup (compile time only)
; SGPRBlocks: 4
; VGPRBlocks: 7
; NumSGPRsForWavesPerEU: 35
; NumVGPRsForWavesPerEU: 57
; AccumOffset: 60
; Occupancy: 5
; WaveLimiterHint : 1
; COMPUTE_PGM_RSRC2:SCRATCH_EN: 0
; COMPUTE_PGM_RSRC2:USER_SGPR: 6
; COMPUTE_PGM_RSRC2:TRAP_HANDLER: 0
; COMPUTE_PGM_RSRC2:TGID_X_EN: 1
; COMPUTE_PGM_RSRC2:TGID_Y_EN: 0
; COMPUTE_PGM_RSRC2:TGID_Z_EN: 0
; COMPUTE_PGM_RSRC2:TIDIG_COMP_CNT: 0
; COMPUTE_PGM_RSRC3_GFX90A:ACCUM_OFFSET: 14
; COMPUTE_PGM_RSRC3_GFX90A:TG_SPLIT: 0
	.section	.text._ZN7rocprim17ROCPRIM_400000_NS6detail17trampoline_kernelINS0_14default_configENS1_20scan_config_selectorIyEEZZNS1_9scan_implILNS1_25lookback_scan_determinismE0ELb0ELb0ES3_N6thrust23THRUST_200600_302600_NS6detail15normal_iteratorINS9_10device_ptrIyEEEENS9_16discard_iteratorINS9_11use_defaultEEEy11max_functorIyEyEEDaPvRmT3_T4_T5_mT6_P12ihipStream_tbENKUlT_T0_E_clISt17integral_constantIbLb0EESW_IbLb1EEEEDaSS_ST_EUlSS_E_NS1_11comp_targetILNS1_3genE3ELNS1_11target_archE908ELNS1_3gpuE7ELNS1_3repE0EEENS1_30default_config_static_selectorELNS0_4arch9wavefront6targetE1EEEvT1_,"axG",@progbits,_ZN7rocprim17ROCPRIM_400000_NS6detail17trampoline_kernelINS0_14default_configENS1_20scan_config_selectorIyEEZZNS1_9scan_implILNS1_25lookback_scan_determinismE0ELb0ELb0ES3_N6thrust23THRUST_200600_302600_NS6detail15normal_iteratorINS9_10device_ptrIyEEEENS9_16discard_iteratorINS9_11use_defaultEEEy11max_functorIyEyEEDaPvRmT3_T4_T5_mT6_P12ihipStream_tbENKUlT_T0_E_clISt17integral_constantIbLb0EESW_IbLb1EEEEDaSS_ST_EUlSS_E_NS1_11comp_targetILNS1_3genE3ELNS1_11target_archE908ELNS1_3gpuE7ELNS1_3repE0EEENS1_30default_config_static_selectorELNS0_4arch9wavefront6targetE1EEEvT1_,comdat
	.protected	_ZN7rocprim17ROCPRIM_400000_NS6detail17trampoline_kernelINS0_14default_configENS1_20scan_config_selectorIyEEZZNS1_9scan_implILNS1_25lookback_scan_determinismE0ELb0ELb0ES3_N6thrust23THRUST_200600_302600_NS6detail15normal_iteratorINS9_10device_ptrIyEEEENS9_16discard_iteratorINS9_11use_defaultEEEy11max_functorIyEyEEDaPvRmT3_T4_T5_mT6_P12ihipStream_tbENKUlT_T0_E_clISt17integral_constantIbLb0EESW_IbLb1EEEEDaSS_ST_EUlSS_E_NS1_11comp_targetILNS1_3genE3ELNS1_11target_archE908ELNS1_3gpuE7ELNS1_3repE0EEENS1_30default_config_static_selectorELNS0_4arch9wavefront6targetE1EEEvT1_ ; -- Begin function _ZN7rocprim17ROCPRIM_400000_NS6detail17trampoline_kernelINS0_14default_configENS1_20scan_config_selectorIyEEZZNS1_9scan_implILNS1_25lookback_scan_determinismE0ELb0ELb0ES3_N6thrust23THRUST_200600_302600_NS6detail15normal_iteratorINS9_10device_ptrIyEEEENS9_16discard_iteratorINS9_11use_defaultEEEy11max_functorIyEyEEDaPvRmT3_T4_T5_mT6_P12ihipStream_tbENKUlT_T0_E_clISt17integral_constantIbLb0EESW_IbLb1EEEEDaSS_ST_EUlSS_E_NS1_11comp_targetILNS1_3genE3ELNS1_11target_archE908ELNS1_3gpuE7ELNS1_3repE0EEENS1_30default_config_static_selectorELNS0_4arch9wavefront6targetE1EEEvT1_
	.globl	_ZN7rocprim17ROCPRIM_400000_NS6detail17trampoline_kernelINS0_14default_configENS1_20scan_config_selectorIyEEZZNS1_9scan_implILNS1_25lookback_scan_determinismE0ELb0ELb0ES3_N6thrust23THRUST_200600_302600_NS6detail15normal_iteratorINS9_10device_ptrIyEEEENS9_16discard_iteratorINS9_11use_defaultEEEy11max_functorIyEyEEDaPvRmT3_T4_T5_mT6_P12ihipStream_tbENKUlT_T0_E_clISt17integral_constantIbLb0EESW_IbLb1EEEEDaSS_ST_EUlSS_E_NS1_11comp_targetILNS1_3genE3ELNS1_11target_archE908ELNS1_3gpuE7ELNS1_3repE0EEENS1_30default_config_static_selectorELNS0_4arch9wavefront6targetE1EEEvT1_
	.p2align	8
	.type	_ZN7rocprim17ROCPRIM_400000_NS6detail17trampoline_kernelINS0_14default_configENS1_20scan_config_selectorIyEEZZNS1_9scan_implILNS1_25lookback_scan_determinismE0ELb0ELb0ES3_N6thrust23THRUST_200600_302600_NS6detail15normal_iteratorINS9_10device_ptrIyEEEENS9_16discard_iteratorINS9_11use_defaultEEEy11max_functorIyEyEEDaPvRmT3_T4_T5_mT6_P12ihipStream_tbENKUlT_T0_E_clISt17integral_constantIbLb0EESW_IbLb1EEEEDaSS_ST_EUlSS_E_NS1_11comp_targetILNS1_3genE3ELNS1_11target_archE908ELNS1_3gpuE7ELNS1_3repE0EEENS1_30default_config_static_selectorELNS0_4arch9wavefront6targetE1EEEvT1_,@function
_ZN7rocprim17ROCPRIM_400000_NS6detail17trampoline_kernelINS0_14default_configENS1_20scan_config_selectorIyEEZZNS1_9scan_implILNS1_25lookback_scan_determinismE0ELb0ELb0ES3_N6thrust23THRUST_200600_302600_NS6detail15normal_iteratorINS9_10device_ptrIyEEEENS9_16discard_iteratorINS9_11use_defaultEEEy11max_functorIyEyEEDaPvRmT3_T4_T5_mT6_P12ihipStream_tbENKUlT_T0_E_clISt17integral_constantIbLb0EESW_IbLb1EEEEDaSS_ST_EUlSS_E_NS1_11comp_targetILNS1_3genE3ELNS1_11target_archE908ELNS1_3gpuE7ELNS1_3repE0EEENS1_30default_config_static_selectorELNS0_4arch9wavefront6targetE1EEEvT1_: ; @_ZN7rocprim17ROCPRIM_400000_NS6detail17trampoline_kernelINS0_14default_configENS1_20scan_config_selectorIyEEZZNS1_9scan_implILNS1_25lookback_scan_determinismE0ELb0ELb0ES3_N6thrust23THRUST_200600_302600_NS6detail15normal_iteratorINS9_10device_ptrIyEEEENS9_16discard_iteratorINS9_11use_defaultEEEy11max_functorIyEyEEDaPvRmT3_T4_T5_mT6_P12ihipStream_tbENKUlT_T0_E_clISt17integral_constantIbLb0EESW_IbLb1EEEEDaSS_ST_EUlSS_E_NS1_11comp_targetILNS1_3genE3ELNS1_11target_archE908ELNS1_3gpuE7ELNS1_3repE0EEENS1_30default_config_static_selectorELNS0_4arch9wavefront6targetE1EEEvT1_
; %bb.0:
	.section	.rodata,"a",@progbits
	.p2align	6, 0x0
	.amdhsa_kernel _ZN7rocprim17ROCPRIM_400000_NS6detail17trampoline_kernelINS0_14default_configENS1_20scan_config_selectorIyEEZZNS1_9scan_implILNS1_25lookback_scan_determinismE0ELb0ELb0ES3_N6thrust23THRUST_200600_302600_NS6detail15normal_iteratorINS9_10device_ptrIyEEEENS9_16discard_iteratorINS9_11use_defaultEEEy11max_functorIyEyEEDaPvRmT3_T4_T5_mT6_P12ihipStream_tbENKUlT_T0_E_clISt17integral_constantIbLb0EESW_IbLb1EEEEDaSS_ST_EUlSS_E_NS1_11comp_targetILNS1_3genE3ELNS1_11target_archE908ELNS1_3gpuE7ELNS1_3repE0EEENS1_30default_config_static_selectorELNS0_4arch9wavefront6targetE1EEEvT1_
		.amdhsa_group_segment_fixed_size 0
		.amdhsa_private_segment_fixed_size 0
		.amdhsa_kernarg_size 112
		.amdhsa_user_sgpr_count 6
		.amdhsa_user_sgpr_private_segment_buffer 1
		.amdhsa_user_sgpr_dispatch_ptr 0
		.amdhsa_user_sgpr_queue_ptr 0
		.amdhsa_user_sgpr_kernarg_segment_ptr 1
		.amdhsa_user_sgpr_dispatch_id 0
		.amdhsa_user_sgpr_flat_scratch_init 0
		.amdhsa_user_sgpr_kernarg_preload_length 0
		.amdhsa_user_sgpr_kernarg_preload_offset 0
		.amdhsa_user_sgpr_private_segment_size 0
		.amdhsa_uses_dynamic_stack 0
		.amdhsa_system_sgpr_private_segment_wavefront_offset 0
		.amdhsa_system_sgpr_workgroup_id_x 1
		.amdhsa_system_sgpr_workgroup_id_y 0
		.amdhsa_system_sgpr_workgroup_id_z 0
		.amdhsa_system_sgpr_workgroup_info 0
		.amdhsa_system_vgpr_workitem_id 0
		.amdhsa_next_free_vgpr 1
		.amdhsa_next_free_sgpr 0
		.amdhsa_accum_offset 4
		.amdhsa_reserve_vcc 0
		.amdhsa_reserve_flat_scratch 0
		.amdhsa_float_round_mode_32 0
		.amdhsa_float_round_mode_16_64 0
		.amdhsa_float_denorm_mode_32 3
		.amdhsa_float_denorm_mode_16_64 3
		.amdhsa_dx10_clamp 1
		.amdhsa_ieee_mode 1
		.amdhsa_fp16_overflow 0
		.amdhsa_tg_split 0
		.amdhsa_exception_fp_ieee_invalid_op 0
		.amdhsa_exception_fp_denorm_src 0
		.amdhsa_exception_fp_ieee_div_zero 0
		.amdhsa_exception_fp_ieee_overflow 0
		.amdhsa_exception_fp_ieee_underflow 0
		.amdhsa_exception_fp_ieee_inexact 0
		.amdhsa_exception_int_div_zero 0
	.end_amdhsa_kernel
	.section	.text._ZN7rocprim17ROCPRIM_400000_NS6detail17trampoline_kernelINS0_14default_configENS1_20scan_config_selectorIyEEZZNS1_9scan_implILNS1_25lookback_scan_determinismE0ELb0ELb0ES3_N6thrust23THRUST_200600_302600_NS6detail15normal_iteratorINS9_10device_ptrIyEEEENS9_16discard_iteratorINS9_11use_defaultEEEy11max_functorIyEyEEDaPvRmT3_T4_T5_mT6_P12ihipStream_tbENKUlT_T0_E_clISt17integral_constantIbLb0EESW_IbLb1EEEEDaSS_ST_EUlSS_E_NS1_11comp_targetILNS1_3genE3ELNS1_11target_archE908ELNS1_3gpuE7ELNS1_3repE0EEENS1_30default_config_static_selectorELNS0_4arch9wavefront6targetE1EEEvT1_,"axG",@progbits,_ZN7rocprim17ROCPRIM_400000_NS6detail17trampoline_kernelINS0_14default_configENS1_20scan_config_selectorIyEEZZNS1_9scan_implILNS1_25lookback_scan_determinismE0ELb0ELb0ES3_N6thrust23THRUST_200600_302600_NS6detail15normal_iteratorINS9_10device_ptrIyEEEENS9_16discard_iteratorINS9_11use_defaultEEEy11max_functorIyEyEEDaPvRmT3_T4_T5_mT6_P12ihipStream_tbENKUlT_T0_E_clISt17integral_constantIbLb0EESW_IbLb1EEEEDaSS_ST_EUlSS_E_NS1_11comp_targetILNS1_3genE3ELNS1_11target_archE908ELNS1_3gpuE7ELNS1_3repE0EEENS1_30default_config_static_selectorELNS0_4arch9wavefront6targetE1EEEvT1_,comdat
.Lfunc_end3335:
	.size	_ZN7rocprim17ROCPRIM_400000_NS6detail17trampoline_kernelINS0_14default_configENS1_20scan_config_selectorIyEEZZNS1_9scan_implILNS1_25lookback_scan_determinismE0ELb0ELb0ES3_N6thrust23THRUST_200600_302600_NS6detail15normal_iteratorINS9_10device_ptrIyEEEENS9_16discard_iteratorINS9_11use_defaultEEEy11max_functorIyEyEEDaPvRmT3_T4_T5_mT6_P12ihipStream_tbENKUlT_T0_E_clISt17integral_constantIbLb0EESW_IbLb1EEEEDaSS_ST_EUlSS_E_NS1_11comp_targetILNS1_3genE3ELNS1_11target_archE908ELNS1_3gpuE7ELNS1_3repE0EEENS1_30default_config_static_selectorELNS0_4arch9wavefront6targetE1EEEvT1_, .Lfunc_end3335-_ZN7rocprim17ROCPRIM_400000_NS6detail17trampoline_kernelINS0_14default_configENS1_20scan_config_selectorIyEEZZNS1_9scan_implILNS1_25lookback_scan_determinismE0ELb0ELb0ES3_N6thrust23THRUST_200600_302600_NS6detail15normal_iteratorINS9_10device_ptrIyEEEENS9_16discard_iteratorINS9_11use_defaultEEEy11max_functorIyEyEEDaPvRmT3_T4_T5_mT6_P12ihipStream_tbENKUlT_T0_E_clISt17integral_constantIbLb0EESW_IbLb1EEEEDaSS_ST_EUlSS_E_NS1_11comp_targetILNS1_3genE3ELNS1_11target_archE908ELNS1_3gpuE7ELNS1_3repE0EEENS1_30default_config_static_selectorELNS0_4arch9wavefront6targetE1EEEvT1_
                                        ; -- End function
	.section	.AMDGPU.csdata,"",@progbits
; Kernel info:
; codeLenInByte = 0
; NumSgprs: 4
; NumVgprs: 0
; NumAgprs: 0
; TotalNumVgprs: 0
; ScratchSize: 0
; MemoryBound: 0
; FloatMode: 240
; IeeeMode: 1
; LDSByteSize: 0 bytes/workgroup (compile time only)
; SGPRBlocks: 0
; VGPRBlocks: 0
; NumSGPRsForWavesPerEU: 4
; NumVGPRsForWavesPerEU: 1
; AccumOffset: 4
; Occupancy: 8
; WaveLimiterHint : 0
; COMPUTE_PGM_RSRC2:SCRATCH_EN: 0
; COMPUTE_PGM_RSRC2:USER_SGPR: 6
; COMPUTE_PGM_RSRC2:TRAP_HANDLER: 0
; COMPUTE_PGM_RSRC2:TGID_X_EN: 1
; COMPUTE_PGM_RSRC2:TGID_Y_EN: 0
; COMPUTE_PGM_RSRC2:TGID_Z_EN: 0
; COMPUTE_PGM_RSRC2:TIDIG_COMP_CNT: 0
; COMPUTE_PGM_RSRC3_GFX90A:ACCUM_OFFSET: 0
; COMPUTE_PGM_RSRC3_GFX90A:TG_SPLIT: 0
	.section	.text._ZN7rocprim17ROCPRIM_400000_NS6detail17trampoline_kernelINS0_14default_configENS1_20scan_config_selectorIyEEZZNS1_9scan_implILNS1_25lookback_scan_determinismE0ELb0ELb0ES3_N6thrust23THRUST_200600_302600_NS6detail15normal_iteratorINS9_10device_ptrIyEEEENS9_16discard_iteratorINS9_11use_defaultEEEy11max_functorIyEyEEDaPvRmT3_T4_T5_mT6_P12ihipStream_tbENKUlT_T0_E_clISt17integral_constantIbLb0EESW_IbLb1EEEEDaSS_ST_EUlSS_E_NS1_11comp_targetILNS1_3genE2ELNS1_11target_archE906ELNS1_3gpuE6ELNS1_3repE0EEENS1_30default_config_static_selectorELNS0_4arch9wavefront6targetE1EEEvT1_,"axG",@progbits,_ZN7rocprim17ROCPRIM_400000_NS6detail17trampoline_kernelINS0_14default_configENS1_20scan_config_selectorIyEEZZNS1_9scan_implILNS1_25lookback_scan_determinismE0ELb0ELb0ES3_N6thrust23THRUST_200600_302600_NS6detail15normal_iteratorINS9_10device_ptrIyEEEENS9_16discard_iteratorINS9_11use_defaultEEEy11max_functorIyEyEEDaPvRmT3_T4_T5_mT6_P12ihipStream_tbENKUlT_T0_E_clISt17integral_constantIbLb0EESW_IbLb1EEEEDaSS_ST_EUlSS_E_NS1_11comp_targetILNS1_3genE2ELNS1_11target_archE906ELNS1_3gpuE6ELNS1_3repE0EEENS1_30default_config_static_selectorELNS0_4arch9wavefront6targetE1EEEvT1_,comdat
	.protected	_ZN7rocprim17ROCPRIM_400000_NS6detail17trampoline_kernelINS0_14default_configENS1_20scan_config_selectorIyEEZZNS1_9scan_implILNS1_25lookback_scan_determinismE0ELb0ELb0ES3_N6thrust23THRUST_200600_302600_NS6detail15normal_iteratorINS9_10device_ptrIyEEEENS9_16discard_iteratorINS9_11use_defaultEEEy11max_functorIyEyEEDaPvRmT3_T4_T5_mT6_P12ihipStream_tbENKUlT_T0_E_clISt17integral_constantIbLb0EESW_IbLb1EEEEDaSS_ST_EUlSS_E_NS1_11comp_targetILNS1_3genE2ELNS1_11target_archE906ELNS1_3gpuE6ELNS1_3repE0EEENS1_30default_config_static_selectorELNS0_4arch9wavefront6targetE1EEEvT1_ ; -- Begin function _ZN7rocprim17ROCPRIM_400000_NS6detail17trampoline_kernelINS0_14default_configENS1_20scan_config_selectorIyEEZZNS1_9scan_implILNS1_25lookback_scan_determinismE0ELb0ELb0ES3_N6thrust23THRUST_200600_302600_NS6detail15normal_iteratorINS9_10device_ptrIyEEEENS9_16discard_iteratorINS9_11use_defaultEEEy11max_functorIyEyEEDaPvRmT3_T4_T5_mT6_P12ihipStream_tbENKUlT_T0_E_clISt17integral_constantIbLb0EESW_IbLb1EEEEDaSS_ST_EUlSS_E_NS1_11comp_targetILNS1_3genE2ELNS1_11target_archE906ELNS1_3gpuE6ELNS1_3repE0EEENS1_30default_config_static_selectorELNS0_4arch9wavefront6targetE1EEEvT1_
	.globl	_ZN7rocprim17ROCPRIM_400000_NS6detail17trampoline_kernelINS0_14default_configENS1_20scan_config_selectorIyEEZZNS1_9scan_implILNS1_25lookback_scan_determinismE0ELb0ELb0ES3_N6thrust23THRUST_200600_302600_NS6detail15normal_iteratorINS9_10device_ptrIyEEEENS9_16discard_iteratorINS9_11use_defaultEEEy11max_functorIyEyEEDaPvRmT3_T4_T5_mT6_P12ihipStream_tbENKUlT_T0_E_clISt17integral_constantIbLb0EESW_IbLb1EEEEDaSS_ST_EUlSS_E_NS1_11comp_targetILNS1_3genE2ELNS1_11target_archE906ELNS1_3gpuE6ELNS1_3repE0EEENS1_30default_config_static_selectorELNS0_4arch9wavefront6targetE1EEEvT1_
	.p2align	8
	.type	_ZN7rocprim17ROCPRIM_400000_NS6detail17trampoline_kernelINS0_14default_configENS1_20scan_config_selectorIyEEZZNS1_9scan_implILNS1_25lookback_scan_determinismE0ELb0ELb0ES3_N6thrust23THRUST_200600_302600_NS6detail15normal_iteratorINS9_10device_ptrIyEEEENS9_16discard_iteratorINS9_11use_defaultEEEy11max_functorIyEyEEDaPvRmT3_T4_T5_mT6_P12ihipStream_tbENKUlT_T0_E_clISt17integral_constantIbLb0EESW_IbLb1EEEEDaSS_ST_EUlSS_E_NS1_11comp_targetILNS1_3genE2ELNS1_11target_archE906ELNS1_3gpuE6ELNS1_3repE0EEENS1_30default_config_static_selectorELNS0_4arch9wavefront6targetE1EEEvT1_,@function
_ZN7rocprim17ROCPRIM_400000_NS6detail17trampoline_kernelINS0_14default_configENS1_20scan_config_selectorIyEEZZNS1_9scan_implILNS1_25lookback_scan_determinismE0ELb0ELb0ES3_N6thrust23THRUST_200600_302600_NS6detail15normal_iteratorINS9_10device_ptrIyEEEENS9_16discard_iteratorINS9_11use_defaultEEEy11max_functorIyEyEEDaPvRmT3_T4_T5_mT6_P12ihipStream_tbENKUlT_T0_E_clISt17integral_constantIbLb0EESW_IbLb1EEEEDaSS_ST_EUlSS_E_NS1_11comp_targetILNS1_3genE2ELNS1_11target_archE906ELNS1_3gpuE6ELNS1_3repE0EEENS1_30default_config_static_selectorELNS0_4arch9wavefront6targetE1EEEvT1_: ; @_ZN7rocprim17ROCPRIM_400000_NS6detail17trampoline_kernelINS0_14default_configENS1_20scan_config_selectorIyEEZZNS1_9scan_implILNS1_25lookback_scan_determinismE0ELb0ELb0ES3_N6thrust23THRUST_200600_302600_NS6detail15normal_iteratorINS9_10device_ptrIyEEEENS9_16discard_iteratorINS9_11use_defaultEEEy11max_functorIyEyEEDaPvRmT3_T4_T5_mT6_P12ihipStream_tbENKUlT_T0_E_clISt17integral_constantIbLb0EESW_IbLb1EEEEDaSS_ST_EUlSS_E_NS1_11comp_targetILNS1_3genE2ELNS1_11target_archE906ELNS1_3gpuE6ELNS1_3repE0EEENS1_30default_config_static_selectorELNS0_4arch9wavefront6targetE1EEEvT1_
; %bb.0:
	.section	.rodata,"a",@progbits
	.p2align	6, 0x0
	.amdhsa_kernel _ZN7rocprim17ROCPRIM_400000_NS6detail17trampoline_kernelINS0_14default_configENS1_20scan_config_selectorIyEEZZNS1_9scan_implILNS1_25lookback_scan_determinismE0ELb0ELb0ES3_N6thrust23THRUST_200600_302600_NS6detail15normal_iteratorINS9_10device_ptrIyEEEENS9_16discard_iteratorINS9_11use_defaultEEEy11max_functorIyEyEEDaPvRmT3_T4_T5_mT6_P12ihipStream_tbENKUlT_T0_E_clISt17integral_constantIbLb0EESW_IbLb1EEEEDaSS_ST_EUlSS_E_NS1_11comp_targetILNS1_3genE2ELNS1_11target_archE906ELNS1_3gpuE6ELNS1_3repE0EEENS1_30default_config_static_selectorELNS0_4arch9wavefront6targetE1EEEvT1_
		.amdhsa_group_segment_fixed_size 0
		.amdhsa_private_segment_fixed_size 0
		.amdhsa_kernarg_size 112
		.amdhsa_user_sgpr_count 6
		.amdhsa_user_sgpr_private_segment_buffer 1
		.amdhsa_user_sgpr_dispatch_ptr 0
		.amdhsa_user_sgpr_queue_ptr 0
		.amdhsa_user_sgpr_kernarg_segment_ptr 1
		.amdhsa_user_sgpr_dispatch_id 0
		.amdhsa_user_sgpr_flat_scratch_init 0
		.amdhsa_user_sgpr_kernarg_preload_length 0
		.amdhsa_user_sgpr_kernarg_preload_offset 0
		.amdhsa_user_sgpr_private_segment_size 0
		.amdhsa_uses_dynamic_stack 0
		.amdhsa_system_sgpr_private_segment_wavefront_offset 0
		.amdhsa_system_sgpr_workgroup_id_x 1
		.amdhsa_system_sgpr_workgroup_id_y 0
		.amdhsa_system_sgpr_workgroup_id_z 0
		.amdhsa_system_sgpr_workgroup_info 0
		.amdhsa_system_vgpr_workitem_id 0
		.amdhsa_next_free_vgpr 1
		.amdhsa_next_free_sgpr 0
		.amdhsa_accum_offset 4
		.amdhsa_reserve_vcc 0
		.amdhsa_reserve_flat_scratch 0
		.amdhsa_float_round_mode_32 0
		.amdhsa_float_round_mode_16_64 0
		.amdhsa_float_denorm_mode_32 3
		.amdhsa_float_denorm_mode_16_64 3
		.amdhsa_dx10_clamp 1
		.amdhsa_ieee_mode 1
		.amdhsa_fp16_overflow 0
		.amdhsa_tg_split 0
		.amdhsa_exception_fp_ieee_invalid_op 0
		.amdhsa_exception_fp_denorm_src 0
		.amdhsa_exception_fp_ieee_div_zero 0
		.amdhsa_exception_fp_ieee_overflow 0
		.amdhsa_exception_fp_ieee_underflow 0
		.amdhsa_exception_fp_ieee_inexact 0
		.amdhsa_exception_int_div_zero 0
	.end_amdhsa_kernel
	.section	.text._ZN7rocprim17ROCPRIM_400000_NS6detail17trampoline_kernelINS0_14default_configENS1_20scan_config_selectorIyEEZZNS1_9scan_implILNS1_25lookback_scan_determinismE0ELb0ELb0ES3_N6thrust23THRUST_200600_302600_NS6detail15normal_iteratorINS9_10device_ptrIyEEEENS9_16discard_iteratorINS9_11use_defaultEEEy11max_functorIyEyEEDaPvRmT3_T4_T5_mT6_P12ihipStream_tbENKUlT_T0_E_clISt17integral_constantIbLb0EESW_IbLb1EEEEDaSS_ST_EUlSS_E_NS1_11comp_targetILNS1_3genE2ELNS1_11target_archE906ELNS1_3gpuE6ELNS1_3repE0EEENS1_30default_config_static_selectorELNS0_4arch9wavefront6targetE1EEEvT1_,"axG",@progbits,_ZN7rocprim17ROCPRIM_400000_NS6detail17trampoline_kernelINS0_14default_configENS1_20scan_config_selectorIyEEZZNS1_9scan_implILNS1_25lookback_scan_determinismE0ELb0ELb0ES3_N6thrust23THRUST_200600_302600_NS6detail15normal_iteratorINS9_10device_ptrIyEEEENS9_16discard_iteratorINS9_11use_defaultEEEy11max_functorIyEyEEDaPvRmT3_T4_T5_mT6_P12ihipStream_tbENKUlT_T0_E_clISt17integral_constantIbLb0EESW_IbLb1EEEEDaSS_ST_EUlSS_E_NS1_11comp_targetILNS1_3genE2ELNS1_11target_archE906ELNS1_3gpuE6ELNS1_3repE0EEENS1_30default_config_static_selectorELNS0_4arch9wavefront6targetE1EEEvT1_,comdat
.Lfunc_end3336:
	.size	_ZN7rocprim17ROCPRIM_400000_NS6detail17trampoline_kernelINS0_14default_configENS1_20scan_config_selectorIyEEZZNS1_9scan_implILNS1_25lookback_scan_determinismE0ELb0ELb0ES3_N6thrust23THRUST_200600_302600_NS6detail15normal_iteratorINS9_10device_ptrIyEEEENS9_16discard_iteratorINS9_11use_defaultEEEy11max_functorIyEyEEDaPvRmT3_T4_T5_mT6_P12ihipStream_tbENKUlT_T0_E_clISt17integral_constantIbLb0EESW_IbLb1EEEEDaSS_ST_EUlSS_E_NS1_11comp_targetILNS1_3genE2ELNS1_11target_archE906ELNS1_3gpuE6ELNS1_3repE0EEENS1_30default_config_static_selectorELNS0_4arch9wavefront6targetE1EEEvT1_, .Lfunc_end3336-_ZN7rocprim17ROCPRIM_400000_NS6detail17trampoline_kernelINS0_14default_configENS1_20scan_config_selectorIyEEZZNS1_9scan_implILNS1_25lookback_scan_determinismE0ELb0ELb0ES3_N6thrust23THRUST_200600_302600_NS6detail15normal_iteratorINS9_10device_ptrIyEEEENS9_16discard_iteratorINS9_11use_defaultEEEy11max_functorIyEyEEDaPvRmT3_T4_T5_mT6_P12ihipStream_tbENKUlT_T0_E_clISt17integral_constantIbLb0EESW_IbLb1EEEEDaSS_ST_EUlSS_E_NS1_11comp_targetILNS1_3genE2ELNS1_11target_archE906ELNS1_3gpuE6ELNS1_3repE0EEENS1_30default_config_static_selectorELNS0_4arch9wavefront6targetE1EEEvT1_
                                        ; -- End function
	.section	.AMDGPU.csdata,"",@progbits
; Kernel info:
; codeLenInByte = 0
; NumSgprs: 4
; NumVgprs: 0
; NumAgprs: 0
; TotalNumVgprs: 0
; ScratchSize: 0
; MemoryBound: 0
; FloatMode: 240
; IeeeMode: 1
; LDSByteSize: 0 bytes/workgroup (compile time only)
; SGPRBlocks: 0
; VGPRBlocks: 0
; NumSGPRsForWavesPerEU: 4
; NumVGPRsForWavesPerEU: 1
; AccumOffset: 4
; Occupancy: 8
; WaveLimiterHint : 0
; COMPUTE_PGM_RSRC2:SCRATCH_EN: 0
; COMPUTE_PGM_RSRC2:USER_SGPR: 6
; COMPUTE_PGM_RSRC2:TRAP_HANDLER: 0
; COMPUTE_PGM_RSRC2:TGID_X_EN: 1
; COMPUTE_PGM_RSRC2:TGID_Y_EN: 0
; COMPUTE_PGM_RSRC2:TGID_Z_EN: 0
; COMPUTE_PGM_RSRC2:TIDIG_COMP_CNT: 0
; COMPUTE_PGM_RSRC3_GFX90A:ACCUM_OFFSET: 0
; COMPUTE_PGM_RSRC3_GFX90A:TG_SPLIT: 0
	.section	.text._ZN7rocprim17ROCPRIM_400000_NS6detail17trampoline_kernelINS0_14default_configENS1_20scan_config_selectorIyEEZZNS1_9scan_implILNS1_25lookback_scan_determinismE0ELb0ELb0ES3_N6thrust23THRUST_200600_302600_NS6detail15normal_iteratorINS9_10device_ptrIyEEEENS9_16discard_iteratorINS9_11use_defaultEEEy11max_functorIyEyEEDaPvRmT3_T4_T5_mT6_P12ihipStream_tbENKUlT_T0_E_clISt17integral_constantIbLb0EESW_IbLb1EEEEDaSS_ST_EUlSS_E_NS1_11comp_targetILNS1_3genE10ELNS1_11target_archE1201ELNS1_3gpuE5ELNS1_3repE0EEENS1_30default_config_static_selectorELNS0_4arch9wavefront6targetE1EEEvT1_,"axG",@progbits,_ZN7rocprim17ROCPRIM_400000_NS6detail17trampoline_kernelINS0_14default_configENS1_20scan_config_selectorIyEEZZNS1_9scan_implILNS1_25lookback_scan_determinismE0ELb0ELb0ES3_N6thrust23THRUST_200600_302600_NS6detail15normal_iteratorINS9_10device_ptrIyEEEENS9_16discard_iteratorINS9_11use_defaultEEEy11max_functorIyEyEEDaPvRmT3_T4_T5_mT6_P12ihipStream_tbENKUlT_T0_E_clISt17integral_constantIbLb0EESW_IbLb1EEEEDaSS_ST_EUlSS_E_NS1_11comp_targetILNS1_3genE10ELNS1_11target_archE1201ELNS1_3gpuE5ELNS1_3repE0EEENS1_30default_config_static_selectorELNS0_4arch9wavefront6targetE1EEEvT1_,comdat
	.protected	_ZN7rocprim17ROCPRIM_400000_NS6detail17trampoline_kernelINS0_14default_configENS1_20scan_config_selectorIyEEZZNS1_9scan_implILNS1_25lookback_scan_determinismE0ELb0ELb0ES3_N6thrust23THRUST_200600_302600_NS6detail15normal_iteratorINS9_10device_ptrIyEEEENS9_16discard_iteratorINS9_11use_defaultEEEy11max_functorIyEyEEDaPvRmT3_T4_T5_mT6_P12ihipStream_tbENKUlT_T0_E_clISt17integral_constantIbLb0EESW_IbLb1EEEEDaSS_ST_EUlSS_E_NS1_11comp_targetILNS1_3genE10ELNS1_11target_archE1201ELNS1_3gpuE5ELNS1_3repE0EEENS1_30default_config_static_selectorELNS0_4arch9wavefront6targetE1EEEvT1_ ; -- Begin function _ZN7rocprim17ROCPRIM_400000_NS6detail17trampoline_kernelINS0_14default_configENS1_20scan_config_selectorIyEEZZNS1_9scan_implILNS1_25lookback_scan_determinismE0ELb0ELb0ES3_N6thrust23THRUST_200600_302600_NS6detail15normal_iteratorINS9_10device_ptrIyEEEENS9_16discard_iteratorINS9_11use_defaultEEEy11max_functorIyEyEEDaPvRmT3_T4_T5_mT6_P12ihipStream_tbENKUlT_T0_E_clISt17integral_constantIbLb0EESW_IbLb1EEEEDaSS_ST_EUlSS_E_NS1_11comp_targetILNS1_3genE10ELNS1_11target_archE1201ELNS1_3gpuE5ELNS1_3repE0EEENS1_30default_config_static_selectorELNS0_4arch9wavefront6targetE1EEEvT1_
	.globl	_ZN7rocprim17ROCPRIM_400000_NS6detail17trampoline_kernelINS0_14default_configENS1_20scan_config_selectorIyEEZZNS1_9scan_implILNS1_25lookback_scan_determinismE0ELb0ELb0ES3_N6thrust23THRUST_200600_302600_NS6detail15normal_iteratorINS9_10device_ptrIyEEEENS9_16discard_iteratorINS9_11use_defaultEEEy11max_functorIyEyEEDaPvRmT3_T4_T5_mT6_P12ihipStream_tbENKUlT_T0_E_clISt17integral_constantIbLb0EESW_IbLb1EEEEDaSS_ST_EUlSS_E_NS1_11comp_targetILNS1_3genE10ELNS1_11target_archE1201ELNS1_3gpuE5ELNS1_3repE0EEENS1_30default_config_static_selectorELNS0_4arch9wavefront6targetE1EEEvT1_
	.p2align	8
	.type	_ZN7rocprim17ROCPRIM_400000_NS6detail17trampoline_kernelINS0_14default_configENS1_20scan_config_selectorIyEEZZNS1_9scan_implILNS1_25lookback_scan_determinismE0ELb0ELb0ES3_N6thrust23THRUST_200600_302600_NS6detail15normal_iteratorINS9_10device_ptrIyEEEENS9_16discard_iteratorINS9_11use_defaultEEEy11max_functorIyEyEEDaPvRmT3_T4_T5_mT6_P12ihipStream_tbENKUlT_T0_E_clISt17integral_constantIbLb0EESW_IbLb1EEEEDaSS_ST_EUlSS_E_NS1_11comp_targetILNS1_3genE10ELNS1_11target_archE1201ELNS1_3gpuE5ELNS1_3repE0EEENS1_30default_config_static_selectorELNS0_4arch9wavefront6targetE1EEEvT1_,@function
_ZN7rocprim17ROCPRIM_400000_NS6detail17trampoline_kernelINS0_14default_configENS1_20scan_config_selectorIyEEZZNS1_9scan_implILNS1_25lookback_scan_determinismE0ELb0ELb0ES3_N6thrust23THRUST_200600_302600_NS6detail15normal_iteratorINS9_10device_ptrIyEEEENS9_16discard_iteratorINS9_11use_defaultEEEy11max_functorIyEyEEDaPvRmT3_T4_T5_mT6_P12ihipStream_tbENKUlT_T0_E_clISt17integral_constantIbLb0EESW_IbLb1EEEEDaSS_ST_EUlSS_E_NS1_11comp_targetILNS1_3genE10ELNS1_11target_archE1201ELNS1_3gpuE5ELNS1_3repE0EEENS1_30default_config_static_selectorELNS0_4arch9wavefront6targetE1EEEvT1_: ; @_ZN7rocprim17ROCPRIM_400000_NS6detail17trampoline_kernelINS0_14default_configENS1_20scan_config_selectorIyEEZZNS1_9scan_implILNS1_25lookback_scan_determinismE0ELb0ELb0ES3_N6thrust23THRUST_200600_302600_NS6detail15normal_iteratorINS9_10device_ptrIyEEEENS9_16discard_iteratorINS9_11use_defaultEEEy11max_functorIyEyEEDaPvRmT3_T4_T5_mT6_P12ihipStream_tbENKUlT_T0_E_clISt17integral_constantIbLb0EESW_IbLb1EEEEDaSS_ST_EUlSS_E_NS1_11comp_targetILNS1_3genE10ELNS1_11target_archE1201ELNS1_3gpuE5ELNS1_3repE0EEENS1_30default_config_static_selectorELNS0_4arch9wavefront6targetE1EEEvT1_
; %bb.0:
	.section	.rodata,"a",@progbits
	.p2align	6, 0x0
	.amdhsa_kernel _ZN7rocprim17ROCPRIM_400000_NS6detail17trampoline_kernelINS0_14default_configENS1_20scan_config_selectorIyEEZZNS1_9scan_implILNS1_25lookback_scan_determinismE0ELb0ELb0ES3_N6thrust23THRUST_200600_302600_NS6detail15normal_iteratorINS9_10device_ptrIyEEEENS9_16discard_iteratorINS9_11use_defaultEEEy11max_functorIyEyEEDaPvRmT3_T4_T5_mT6_P12ihipStream_tbENKUlT_T0_E_clISt17integral_constantIbLb0EESW_IbLb1EEEEDaSS_ST_EUlSS_E_NS1_11comp_targetILNS1_3genE10ELNS1_11target_archE1201ELNS1_3gpuE5ELNS1_3repE0EEENS1_30default_config_static_selectorELNS0_4arch9wavefront6targetE1EEEvT1_
		.amdhsa_group_segment_fixed_size 0
		.amdhsa_private_segment_fixed_size 0
		.amdhsa_kernarg_size 112
		.amdhsa_user_sgpr_count 6
		.amdhsa_user_sgpr_private_segment_buffer 1
		.amdhsa_user_sgpr_dispatch_ptr 0
		.amdhsa_user_sgpr_queue_ptr 0
		.amdhsa_user_sgpr_kernarg_segment_ptr 1
		.amdhsa_user_sgpr_dispatch_id 0
		.amdhsa_user_sgpr_flat_scratch_init 0
		.amdhsa_user_sgpr_kernarg_preload_length 0
		.amdhsa_user_sgpr_kernarg_preload_offset 0
		.amdhsa_user_sgpr_private_segment_size 0
		.amdhsa_uses_dynamic_stack 0
		.amdhsa_system_sgpr_private_segment_wavefront_offset 0
		.amdhsa_system_sgpr_workgroup_id_x 1
		.amdhsa_system_sgpr_workgroup_id_y 0
		.amdhsa_system_sgpr_workgroup_id_z 0
		.amdhsa_system_sgpr_workgroup_info 0
		.amdhsa_system_vgpr_workitem_id 0
		.amdhsa_next_free_vgpr 1
		.amdhsa_next_free_sgpr 0
		.amdhsa_accum_offset 4
		.amdhsa_reserve_vcc 0
		.amdhsa_reserve_flat_scratch 0
		.amdhsa_float_round_mode_32 0
		.amdhsa_float_round_mode_16_64 0
		.amdhsa_float_denorm_mode_32 3
		.amdhsa_float_denorm_mode_16_64 3
		.amdhsa_dx10_clamp 1
		.amdhsa_ieee_mode 1
		.amdhsa_fp16_overflow 0
		.amdhsa_tg_split 0
		.amdhsa_exception_fp_ieee_invalid_op 0
		.amdhsa_exception_fp_denorm_src 0
		.amdhsa_exception_fp_ieee_div_zero 0
		.amdhsa_exception_fp_ieee_overflow 0
		.amdhsa_exception_fp_ieee_underflow 0
		.amdhsa_exception_fp_ieee_inexact 0
		.amdhsa_exception_int_div_zero 0
	.end_amdhsa_kernel
	.section	.text._ZN7rocprim17ROCPRIM_400000_NS6detail17trampoline_kernelINS0_14default_configENS1_20scan_config_selectorIyEEZZNS1_9scan_implILNS1_25lookback_scan_determinismE0ELb0ELb0ES3_N6thrust23THRUST_200600_302600_NS6detail15normal_iteratorINS9_10device_ptrIyEEEENS9_16discard_iteratorINS9_11use_defaultEEEy11max_functorIyEyEEDaPvRmT3_T4_T5_mT6_P12ihipStream_tbENKUlT_T0_E_clISt17integral_constantIbLb0EESW_IbLb1EEEEDaSS_ST_EUlSS_E_NS1_11comp_targetILNS1_3genE10ELNS1_11target_archE1201ELNS1_3gpuE5ELNS1_3repE0EEENS1_30default_config_static_selectorELNS0_4arch9wavefront6targetE1EEEvT1_,"axG",@progbits,_ZN7rocprim17ROCPRIM_400000_NS6detail17trampoline_kernelINS0_14default_configENS1_20scan_config_selectorIyEEZZNS1_9scan_implILNS1_25lookback_scan_determinismE0ELb0ELb0ES3_N6thrust23THRUST_200600_302600_NS6detail15normal_iteratorINS9_10device_ptrIyEEEENS9_16discard_iteratorINS9_11use_defaultEEEy11max_functorIyEyEEDaPvRmT3_T4_T5_mT6_P12ihipStream_tbENKUlT_T0_E_clISt17integral_constantIbLb0EESW_IbLb1EEEEDaSS_ST_EUlSS_E_NS1_11comp_targetILNS1_3genE10ELNS1_11target_archE1201ELNS1_3gpuE5ELNS1_3repE0EEENS1_30default_config_static_selectorELNS0_4arch9wavefront6targetE1EEEvT1_,comdat
.Lfunc_end3337:
	.size	_ZN7rocprim17ROCPRIM_400000_NS6detail17trampoline_kernelINS0_14default_configENS1_20scan_config_selectorIyEEZZNS1_9scan_implILNS1_25lookback_scan_determinismE0ELb0ELb0ES3_N6thrust23THRUST_200600_302600_NS6detail15normal_iteratorINS9_10device_ptrIyEEEENS9_16discard_iteratorINS9_11use_defaultEEEy11max_functorIyEyEEDaPvRmT3_T4_T5_mT6_P12ihipStream_tbENKUlT_T0_E_clISt17integral_constantIbLb0EESW_IbLb1EEEEDaSS_ST_EUlSS_E_NS1_11comp_targetILNS1_3genE10ELNS1_11target_archE1201ELNS1_3gpuE5ELNS1_3repE0EEENS1_30default_config_static_selectorELNS0_4arch9wavefront6targetE1EEEvT1_, .Lfunc_end3337-_ZN7rocprim17ROCPRIM_400000_NS6detail17trampoline_kernelINS0_14default_configENS1_20scan_config_selectorIyEEZZNS1_9scan_implILNS1_25lookback_scan_determinismE0ELb0ELb0ES3_N6thrust23THRUST_200600_302600_NS6detail15normal_iteratorINS9_10device_ptrIyEEEENS9_16discard_iteratorINS9_11use_defaultEEEy11max_functorIyEyEEDaPvRmT3_T4_T5_mT6_P12ihipStream_tbENKUlT_T0_E_clISt17integral_constantIbLb0EESW_IbLb1EEEEDaSS_ST_EUlSS_E_NS1_11comp_targetILNS1_3genE10ELNS1_11target_archE1201ELNS1_3gpuE5ELNS1_3repE0EEENS1_30default_config_static_selectorELNS0_4arch9wavefront6targetE1EEEvT1_
                                        ; -- End function
	.section	.AMDGPU.csdata,"",@progbits
; Kernel info:
; codeLenInByte = 0
; NumSgprs: 4
; NumVgprs: 0
; NumAgprs: 0
; TotalNumVgprs: 0
; ScratchSize: 0
; MemoryBound: 0
; FloatMode: 240
; IeeeMode: 1
; LDSByteSize: 0 bytes/workgroup (compile time only)
; SGPRBlocks: 0
; VGPRBlocks: 0
; NumSGPRsForWavesPerEU: 4
; NumVGPRsForWavesPerEU: 1
; AccumOffset: 4
; Occupancy: 8
; WaveLimiterHint : 0
; COMPUTE_PGM_RSRC2:SCRATCH_EN: 0
; COMPUTE_PGM_RSRC2:USER_SGPR: 6
; COMPUTE_PGM_RSRC2:TRAP_HANDLER: 0
; COMPUTE_PGM_RSRC2:TGID_X_EN: 1
; COMPUTE_PGM_RSRC2:TGID_Y_EN: 0
; COMPUTE_PGM_RSRC2:TGID_Z_EN: 0
; COMPUTE_PGM_RSRC2:TIDIG_COMP_CNT: 0
; COMPUTE_PGM_RSRC3_GFX90A:ACCUM_OFFSET: 0
; COMPUTE_PGM_RSRC3_GFX90A:TG_SPLIT: 0
	.section	.text._ZN7rocprim17ROCPRIM_400000_NS6detail17trampoline_kernelINS0_14default_configENS1_20scan_config_selectorIyEEZZNS1_9scan_implILNS1_25lookback_scan_determinismE0ELb0ELb0ES3_N6thrust23THRUST_200600_302600_NS6detail15normal_iteratorINS9_10device_ptrIyEEEENS9_16discard_iteratorINS9_11use_defaultEEEy11max_functorIyEyEEDaPvRmT3_T4_T5_mT6_P12ihipStream_tbENKUlT_T0_E_clISt17integral_constantIbLb0EESW_IbLb1EEEEDaSS_ST_EUlSS_E_NS1_11comp_targetILNS1_3genE10ELNS1_11target_archE1200ELNS1_3gpuE4ELNS1_3repE0EEENS1_30default_config_static_selectorELNS0_4arch9wavefront6targetE1EEEvT1_,"axG",@progbits,_ZN7rocprim17ROCPRIM_400000_NS6detail17trampoline_kernelINS0_14default_configENS1_20scan_config_selectorIyEEZZNS1_9scan_implILNS1_25lookback_scan_determinismE0ELb0ELb0ES3_N6thrust23THRUST_200600_302600_NS6detail15normal_iteratorINS9_10device_ptrIyEEEENS9_16discard_iteratorINS9_11use_defaultEEEy11max_functorIyEyEEDaPvRmT3_T4_T5_mT6_P12ihipStream_tbENKUlT_T0_E_clISt17integral_constantIbLb0EESW_IbLb1EEEEDaSS_ST_EUlSS_E_NS1_11comp_targetILNS1_3genE10ELNS1_11target_archE1200ELNS1_3gpuE4ELNS1_3repE0EEENS1_30default_config_static_selectorELNS0_4arch9wavefront6targetE1EEEvT1_,comdat
	.protected	_ZN7rocprim17ROCPRIM_400000_NS6detail17trampoline_kernelINS0_14default_configENS1_20scan_config_selectorIyEEZZNS1_9scan_implILNS1_25lookback_scan_determinismE0ELb0ELb0ES3_N6thrust23THRUST_200600_302600_NS6detail15normal_iteratorINS9_10device_ptrIyEEEENS9_16discard_iteratorINS9_11use_defaultEEEy11max_functorIyEyEEDaPvRmT3_T4_T5_mT6_P12ihipStream_tbENKUlT_T0_E_clISt17integral_constantIbLb0EESW_IbLb1EEEEDaSS_ST_EUlSS_E_NS1_11comp_targetILNS1_3genE10ELNS1_11target_archE1200ELNS1_3gpuE4ELNS1_3repE0EEENS1_30default_config_static_selectorELNS0_4arch9wavefront6targetE1EEEvT1_ ; -- Begin function _ZN7rocprim17ROCPRIM_400000_NS6detail17trampoline_kernelINS0_14default_configENS1_20scan_config_selectorIyEEZZNS1_9scan_implILNS1_25lookback_scan_determinismE0ELb0ELb0ES3_N6thrust23THRUST_200600_302600_NS6detail15normal_iteratorINS9_10device_ptrIyEEEENS9_16discard_iteratorINS9_11use_defaultEEEy11max_functorIyEyEEDaPvRmT3_T4_T5_mT6_P12ihipStream_tbENKUlT_T0_E_clISt17integral_constantIbLb0EESW_IbLb1EEEEDaSS_ST_EUlSS_E_NS1_11comp_targetILNS1_3genE10ELNS1_11target_archE1200ELNS1_3gpuE4ELNS1_3repE0EEENS1_30default_config_static_selectorELNS0_4arch9wavefront6targetE1EEEvT1_
	.globl	_ZN7rocprim17ROCPRIM_400000_NS6detail17trampoline_kernelINS0_14default_configENS1_20scan_config_selectorIyEEZZNS1_9scan_implILNS1_25lookback_scan_determinismE0ELb0ELb0ES3_N6thrust23THRUST_200600_302600_NS6detail15normal_iteratorINS9_10device_ptrIyEEEENS9_16discard_iteratorINS9_11use_defaultEEEy11max_functorIyEyEEDaPvRmT3_T4_T5_mT6_P12ihipStream_tbENKUlT_T0_E_clISt17integral_constantIbLb0EESW_IbLb1EEEEDaSS_ST_EUlSS_E_NS1_11comp_targetILNS1_3genE10ELNS1_11target_archE1200ELNS1_3gpuE4ELNS1_3repE0EEENS1_30default_config_static_selectorELNS0_4arch9wavefront6targetE1EEEvT1_
	.p2align	8
	.type	_ZN7rocprim17ROCPRIM_400000_NS6detail17trampoline_kernelINS0_14default_configENS1_20scan_config_selectorIyEEZZNS1_9scan_implILNS1_25lookback_scan_determinismE0ELb0ELb0ES3_N6thrust23THRUST_200600_302600_NS6detail15normal_iteratorINS9_10device_ptrIyEEEENS9_16discard_iteratorINS9_11use_defaultEEEy11max_functorIyEyEEDaPvRmT3_T4_T5_mT6_P12ihipStream_tbENKUlT_T0_E_clISt17integral_constantIbLb0EESW_IbLb1EEEEDaSS_ST_EUlSS_E_NS1_11comp_targetILNS1_3genE10ELNS1_11target_archE1200ELNS1_3gpuE4ELNS1_3repE0EEENS1_30default_config_static_selectorELNS0_4arch9wavefront6targetE1EEEvT1_,@function
_ZN7rocprim17ROCPRIM_400000_NS6detail17trampoline_kernelINS0_14default_configENS1_20scan_config_selectorIyEEZZNS1_9scan_implILNS1_25lookback_scan_determinismE0ELb0ELb0ES3_N6thrust23THRUST_200600_302600_NS6detail15normal_iteratorINS9_10device_ptrIyEEEENS9_16discard_iteratorINS9_11use_defaultEEEy11max_functorIyEyEEDaPvRmT3_T4_T5_mT6_P12ihipStream_tbENKUlT_T0_E_clISt17integral_constantIbLb0EESW_IbLb1EEEEDaSS_ST_EUlSS_E_NS1_11comp_targetILNS1_3genE10ELNS1_11target_archE1200ELNS1_3gpuE4ELNS1_3repE0EEENS1_30default_config_static_selectorELNS0_4arch9wavefront6targetE1EEEvT1_: ; @_ZN7rocprim17ROCPRIM_400000_NS6detail17trampoline_kernelINS0_14default_configENS1_20scan_config_selectorIyEEZZNS1_9scan_implILNS1_25lookback_scan_determinismE0ELb0ELb0ES3_N6thrust23THRUST_200600_302600_NS6detail15normal_iteratorINS9_10device_ptrIyEEEENS9_16discard_iteratorINS9_11use_defaultEEEy11max_functorIyEyEEDaPvRmT3_T4_T5_mT6_P12ihipStream_tbENKUlT_T0_E_clISt17integral_constantIbLb0EESW_IbLb1EEEEDaSS_ST_EUlSS_E_NS1_11comp_targetILNS1_3genE10ELNS1_11target_archE1200ELNS1_3gpuE4ELNS1_3repE0EEENS1_30default_config_static_selectorELNS0_4arch9wavefront6targetE1EEEvT1_
; %bb.0:
	.section	.rodata,"a",@progbits
	.p2align	6, 0x0
	.amdhsa_kernel _ZN7rocprim17ROCPRIM_400000_NS6detail17trampoline_kernelINS0_14default_configENS1_20scan_config_selectorIyEEZZNS1_9scan_implILNS1_25lookback_scan_determinismE0ELb0ELb0ES3_N6thrust23THRUST_200600_302600_NS6detail15normal_iteratorINS9_10device_ptrIyEEEENS9_16discard_iteratorINS9_11use_defaultEEEy11max_functorIyEyEEDaPvRmT3_T4_T5_mT6_P12ihipStream_tbENKUlT_T0_E_clISt17integral_constantIbLb0EESW_IbLb1EEEEDaSS_ST_EUlSS_E_NS1_11comp_targetILNS1_3genE10ELNS1_11target_archE1200ELNS1_3gpuE4ELNS1_3repE0EEENS1_30default_config_static_selectorELNS0_4arch9wavefront6targetE1EEEvT1_
		.amdhsa_group_segment_fixed_size 0
		.amdhsa_private_segment_fixed_size 0
		.amdhsa_kernarg_size 112
		.amdhsa_user_sgpr_count 6
		.amdhsa_user_sgpr_private_segment_buffer 1
		.amdhsa_user_sgpr_dispatch_ptr 0
		.amdhsa_user_sgpr_queue_ptr 0
		.amdhsa_user_sgpr_kernarg_segment_ptr 1
		.amdhsa_user_sgpr_dispatch_id 0
		.amdhsa_user_sgpr_flat_scratch_init 0
		.amdhsa_user_sgpr_kernarg_preload_length 0
		.amdhsa_user_sgpr_kernarg_preload_offset 0
		.amdhsa_user_sgpr_private_segment_size 0
		.amdhsa_uses_dynamic_stack 0
		.amdhsa_system_sgpr_private_segment_wavefront_offset 0
		.amdhsa_system_sgpr_workgroup_id_x 1
		.amdhsa_system_sgpr_workgroup_id_y 0
		.amdhsa_system_sgpr_workgroup_id_z 0
		.amdhsa_system_sgpr_workgroup_info 0
		.amdhsa_system_vgpr_workitem_id 0
		.amdhsa_next_free_vgpr 1
		.amdhsa_next_free_sgpr 0
		.amdhsa_accum_offset 4
		.amdhsa_reserve_vcc 0
		.amdhsa_reserve_flat_scratch 0
		.amdhsa_float_round_mode_32 0
		.amdhsa_float_round_mode_16_64 0
		.amdhsa_float_denorm_mode_32 3
		.amdhsa_float_denorm_mode_16_64 3
		.amdhsa_dx10_clamp 1
		.amdhsa_ieee_mode 1
		.amdhsa_fp16_overflow 0
		.amdhsa_tg_split 0
		.amdhsa_exception_fp_ieee_invalid_op 0
		.amdhsa_exception_fp_denorm_src 0
		.amdhsa_exception_fp_ieee_div_zero 0
		.amdhsa_exception_fp_ieee_overflow 0
		.amdhsa_exception_fp_ieee_underflow 0
		.amdhsa_exception_fp_ieee_inexact 0
		.amdhsa_exception_int_div_zero 0
	.end_amdhsa_kernel
	.section	.text._ZN7rocprim17ROCPRIM_400000_NS6detail17trampoline_kernelINS0_14default_configENS1_20scan_config_selectorIyEEZZNS1_9scan_implILNS1_25lookback_scan_determinismE0ELb0ELb0ES3_N6thrust23THRUST_200600_302600_NS6detail15normal_iteratorINS9_10device_ptrIyEEEENS9_16discard_iteratorINS9_11use_defaultEEEy11max_functorIyEyEEDaPvRmT3_T4_T5_mT6_P12ihipStream_tbENKUlT_T0_E_clISt17integral_constantIbLb0EESW_IbLb1EEEEDaSS_ST_EUlSS_E_NS1_11comp_targetILNS1_3genE10ELNS1_11target_archE1200ELNS1_3gpuE4ELNS1_3repE0EEENS1_30default_config_static_selectorELNS0_4arch9wavefront6targetE1EEEvT1_,"axG",@progbits,_ZN7rocprim17ROCPRIM_400000_NS6detail17trampoline_kernelINS0_14default_configENS1_20scan_config_selectorIyEEZZNS1_9scan_implILNS1_25lookback_scan_determinismE0ELb0ELb0ES3_N6thrust23THRUST_200600_302600_NS6detail15normal_iteratorINS9_10device_ptrIyEEEENS9_16discard_iteratorINS9_11use_defaultEEEy11max_functorIyEyEEDaPvRmT3_T4_T5_mT6_P12ihipStream_tbENKUlT_T0_E_clISt17integral_constantIbLb0EESW_IbLb1EEEEDaSS_ST_EUlSS_E_NS1_11comp_targetILNS1_3genE10ELNS1_11target_archE1200ELNS1_3gpuE4ELNS1_3repE0EEENS1_30default_config_static_selectorELNS0_4arch9wavefront6targetE1EEEvT1_,comdat
.Lfunc_end3338:
	.size	_ZN7rocprim17ROCPRIM_400000_NS6detail17trampoline_kernelINS0_14default_configENS1_20scan_config_selectorIyEEZZNS1_9scan_implILNS1_25lookback_scan_determinismE0ELb0ELb0ES3_N6thrust23THRUST_200600_302600_NS6detail15normal_iteratorINS9_10device_ptrIyEEEENS9_16discard_iteratorINS9_11use_defaultEEEy11max_functorIyEyEEDaPvRmT3_T4_T5_mT6_P12ihipStream_tbENKUlT_T0_E_clISt17integral_constantIbLb0EESW_IbLb1EEEEDaSS_ST_EUlSS_E_NS1_11comp_targetILNS1_3genE10ELNS1_11target_archE1200ELNS1_3gpuE4ELNS1_3repE0EEENS1_30default_config_static_selectorELNS0_4arch9wavefront6targetE1EEEvT1_, .Lfunc_end3338-_ZN7rocprim17ROCPRIM_400000_NS6detail17trampoline_kernelINS0_14default_configENS1_20scan_config_selectorIyEEZZNS1_9scan_implILNS1_25lookback_scan_determinismE0ELb0ELb0ES3_N6thrust23THRUST_200600_302600_NS6detail15normal_iteratorINS9_10device_ptrIyEEEENS9_16discard_iteratorINS9_11use_defaultEEEy11max_functorIyEyEEDaPvRmT3_T4_T5_mT6_P12ihipStream_tbENKUlT_T0_E_clISt17integral_constantIbLb0EESW_IbLb1EEEEDaSS_ST_EUlSS_E_NS1_11comp_targetILNS1_3genE10ELNS1_11target_archE1200ELNS1_3gpuE4ELNS1_3repE0EEENS1_30default_config_static_selectorELNS0_4arch9wavefront6targetE1EEEvT1_
                                        ; -- End function
	.section	.AMDGPU.csdata,"",@progbits
; Kernel info:
; codeLenInByte = 0
; NumSgprs: 4
; NumVgprs: 0
; NumAgprs: 0
; TotalNumVgprs: 0
; ScratchSize: 0
; MemoryBound: 0
; FloatMode: 240
; IeeeMode: 1
; LDSByteSize: 0 bytes/workgroup (compile time only)
; SGPRBlocks: 0
; VGPRBlocks: 0
; NumSGPRsForWavesPerEU: 4
; NumVGPRsForWavesPerEU: 1
; AccumOffset: 4
; Occupancy: 8
; WaveLimiterHint : 0
; COMPUTE_PGM_RSRC2:SCRATCH_EN: 0
; COMPUTE_PGM_RSRC2:USER_SGPR: 6
; COMPUTE_PGM_RSRC2:TRAP_HANDLER: 0
; COMPUTE_PGM_RSRC2:TGID_X_EN: 1
; COMPUTE_PGM_RSRC2:TGID_Y_EN: 0
; COMPUTE_PGM_RSRC2:TGID_Z_EN: 0
; COMPUTE_PGM_RSRC2:TIDIG_COMP_CNT: 0
; COMPUTE_PGM_RSRC3_GFX90A:ACCUM_OFFSET: 0
; COMPUTE_PGM_RSRC3_GFX90A:TG_SPLIT: 0
	.section	.text._ZN7rocprim17ROCPRIM_400000_NS6detail17trampoline_kernelINS0_14default_configENS1_20scan_config_selectorIyEEZZNS1_9scan_implILNS1_25lookback_scan_determinismE0ELb0ELb0ES3_N6thrust23THRUST_200600_302600_NS6detail15normal_iteratorINS9_10device_ptrIyEEEENS9_16discard_iteratorINS9_11use_defaultEEEy11max_functorIyEyEEDaPvRmT3_T4_T5_mT6_P12ihipStream_tbENKUlT_T0_E_clISt17integral_constantIbLb0EESW_IbLb1EEEEDaSS_ST_EUlSS_E_NS1_11comp_targetILNS1_3genE9ELNS1_11target_archE1100ELNS1_3gpuE3ELNS1_3repE0EEENS1_30default_config_static_selectorELNS0_4arch9wavefront6targetE1EEEvT1_,"axG",@progbits,_ZN7rocprim17ROCPRIM_400000_NS6detail17trampoline_kernelINS0_14default_configENS1_20scan_config_selectorIyEEZZNS1_9scan_implILNS1_25lookback_scan_determinismE0ELb0ELb0ES3_N6thrust23THRUST_200600_302600_NS6detail15normal_iteratorINS9_10device_ptrIyEEEENS9_16discard_iteratorINS9_11use_defaultEEEy11max_functorIyEyEEDaPvRmT3_T4_T5_mT6_P12ihipStream_tbENKUlT_T0_E_clISt17integral_constantIbLb0EESW_IbLb1EEEEDaSS_ST_EUlSS_E_NS1_11comp_targetILNS1_3genE9ELNS1_11target_archE1100ELNS1_3gpuE3ELNS1_3repE0EEENS1_30default_config_static_selectorELNS0_4arch9wavefront6targetE1EEEvT1_,comdat
	.protected	_ZN7rocprim17ROCPRIM_400000_NS6detail17trampoline_kernelINS0_14default_configENS1_20scan_config_selectorIyEEZZNS1_9scan_implILNS1_25lookback_scan_determinismE0ELb0ELb0ES3_N6thrust23THRUST_200600_302600_NS6detail15normal_iteratorINS9_10device_ptrIyEEEENS9_16discard_iteratorINS9_11use_defaultEEEy11max_functorIyEyEEDaPvRmT3_T4_T5_mT6_P12ihipStream_tbENKUlT_T0_E_clISt17integral_constantIbLb0EESW_IbLb1EEEEDaSS_ST_EUlSS_E_NS1_11comp_targetILNS1_3genE9ELNS1_11target_archE1100ELNS1_3gpuE3ELNS1_3repE0EEENS1_30default_config_static_selectorELNS0_4arch9wavefront6targetE1EEEvT1_ ; -- Begin function _ZN7rocprim17ROCPRIM_400000_NS6detail17trampoline_kernelINS0_14default_configENS1_20scan_config_selectorIyEEZZNS1_9scan_implILNS1_25lookback_scan_determinismE0ELb0ELb0ES3_N6thrust23THRUST_200600_302600_NS6detail15normal_iteratorINS9_10device_ptrIyEEEENS9_16discard_iteratorINS9_11use_defaultEEEy11max_functorIyEyEEDaPvRmT3_T4_T5_mT6_P12ihipStream_tbENKUlT_T0_E_clISt17integral_constantIbLb0EESW_IbLb1EEEEDaSS_ST_EUlSS_E_NS1_11comp_targetILNS1_3genE9ELNS1_11target_archE1100ELNS1_3gpuE3ELNS1_3repE0EEENS1_30default_config_static_selectorELNS0_4arch9wavefront6targetE1EEEvT1_
	.globl	_ZN7rocprim17ROCPRIM_400000_NS6detail17trampoline_kernelINS0_14default_configENS1_20scan_config_selectorIyEEZZNS1_9scan_implILNS1_25lookback_scan_determinismE0ELb0ELb0ES3_N6thrust23THRUST_200600_302600_NS6detail15normal_iteratorINS9_10device_ptrIyEEEENS9_16discard_iteratorINS9_11use_defaultEEEy11max_functorIyEyEEDaPvRmT3_T4_T5_mT6_P12ihipStream_tbENKUlT_T0_E_clISt17integral_constantIbLb0EESW_IbLb1EEEEDaSS_ST_EUlSS_E_NS1_11comp_targetILNS1_3genE9ELNS1_11target_archE1100ELNS1_3gpuE3ELNS1_3repE0EEENS1_30default_config_static_selectorELNS0_4arch9wavefront6targetE1EEEvT1_
	.p2align	8
	.type	_ZN7rocprim17ROCPRIM_400000_NS6detail17trampoline_kernelINS0_14default_configENS1_20scan_config_selectorIyEEZZNS1_9scan_implILNS1_25lookback_scan_determinismE0ELb0ELb0ES3_N6thrust23THRUST_200600_302600_NS6detail15normal_iteratorINS9_10device_ptrIyEEEENS9_16discard_iteratorINS9_11use_defaultEEEy11max_functorIyEyEEDaPvRmT3_T4_T5_mT6_P12ihipStream_tbENKUlT_T0_E_clISt17integral_constantIbLb0EESW_IbLb1EEEEDaSS_ST_EUlSS_E_NS1_11comp_targetILNS1_3genE9ELNS1_11target_archE1100ELNS1_3gpuE3ELNS1_3repE0EEENS1_30default_config_static_selectorELNS0_4arch9wavefront6targetE1EEEvT1_,@function
_ZN7rocprim17ROCPRIM_400000_NS6detail17trampoline_kernelINS0_14default_configENS1_20scan_config_selectorIyEEZZNS1_9scan_implILNS1_25lookback_scan_determinismE0ELb0ELb0ES3_N6thrust23THRUST_200600_302600_NS6detail15normal_iteratorINS9_10device_ptrIyEEEENS9_16discard_iteratorINS9_11use_defaultEEEy11max_functorIyEyEEDaPvRmT3_T4_T5_mT6_P12ihipStream_tbENKUlT_T0_E_clISt17integral_constantIbLb0EESW_IbLb1EEEEDaSS_ST_EUlSS_E_NS1_11comp_targetILNS1_3genE9ELNS1_11target_archE1100ELNS1_3gpuE3ELNS1_3repE0EEENS1_30default_config_static_selectorELNS0_4arch9wavefront6targetE1EEEvT1_: ; @_ZN7rocprim17ROCPRIM_400000_NS6detail17trampoline_kernelINS0_14default_configENS1_20scan_config_selectorIyEEZZNS1_9scan_implILNS1_25lookback_scan_determinismE0ELb0ELb0ES3_N6thrust23THRUST_200600_302600_NS6detail15normal_iteratorINS9_10device_ptrIyEEEENS9_16discard_iteratorINS9_11use_defaultEEEy11max_functorIyEyEEDaPvRmT3_T4_T5_mT6_P12ihipStream_tbENKUlT_T0_E_clISt17integral_constantIbLb0EESW_IbLb1EEEEDaSS_ST_EUlSS_E_NS1_11comp_targetILNS1_3genE9ELNS1_11target_archE1100ELNS1_3gpuE3ELNS1_3repE0EEENS1_30default_config_static_selectorELNS0_4arch9wavefront6targetE1EEEvT1_
; %bb.0:
	.section	.rodata,"a",@progbits
	.p2align	6, 0x0
	.amdhsa_kernel _ZN7rocprim17ROCPRIM_400000_NS6detail17trampoline_kernelINS0_14default_configENS1_20scan_config_selectorIyEEZZNS1_9scan_implILNS1_25lookback_scan_determinismE0ELb0ELb0ES3_N6thrust23THRUST_200600_302600_NS6detail15normal_iteratorINS9_10device_ptrIyEEEENS9_16discard_iteratorINS9_11use_defaultEEEy11max_functorIyEyEEDaPvRmT3_T4_T5_mT6_P12ihipStream_tbENKUlT_T0_E_clISt17integral_constantIbLb0EESW_IbLb1EEEEDaSS_ST_EUlSS_E_NS1_11comp_targetILNS1_3genE9ELNS1_11target_archE1100ELNS1_3gpuE3ELNS1_3repE0EEENS1_30default_config_static_selectorELNS0_4arch9wavefront6targetE1EEEvT1_
		.amdhsa_group_segment_fixed_size 0
		.amdhsa_private_segment_fixed_size 0
		.amdhsa_kernarg_size 112
		.amdhsa_user_sgpr_count 6
		.amdhsa_user_sgpr_private_segment_buffer 1
		.amdhsa_user_sgpr_dispatch_ptr 0
		.amdhsa_user_sgpr_queue_ptr 0
		.amdhsa_user_sgpr_kernarg_segment_ptr 1
		.amdhsa_user_sgpr_dispatch_id 0
		.amdhsa_user_sgpr_flat_scratch_init 0
		.amdhsa_user_sgpr_kernarg_preload_length 0
		.amdhsa_user_sgpr_kernarg_preload_offset 0
		.amdhsa_user_sgpr_private_segment_size 0
		.amdhsa_uses_dynamic_stack 0
		.amdhsa_system_sgpr_private_segment_wavefront_offset 0
		.amdhsa_system_sgpr_workgroup_id_x 1
		.amdhsa_system_sgpr_workgroup_id_y 0
		.amdhsa_system_sgpr_workgroup_id_z 0
		.amdhsa_system_sgpr_workgroup_info 0
		.amdhsa_system_vgpr_workitem_id 0
		.amdhsa_next_free_vgpr 1
		.amdhsa_next_free_sgpr 0
		.amdhsa_accum_offset 4
		.amdhsa_reserve_vcc 0
		.amdhsa_reserve_flat_scratch 0
		.amdhsa_float_round_mode_32 0
		.amdhsa_float_round_mode_16_64 0
		.amdhsa_float_denorm_mode_32 3
		.amdhsa_float_denorm_mode_16_64 3
		.amdhsa_dx10_clamp 1
		.amdhsa_ieee_mode 1
		.amdhsa_fp16_overflow 0
		.amdhsa_tg_split 0
		.amdhsa_exception_fp_ieee_invalid_op 0
		.amdhsa_exception_fp_denorm_src 0
		.amdhsa_exception_fp_ieee_div_zero 0
		.amdhsa_exception_fp_ieee_overflow 0
		.amdhsa_exception_fp_ieee_underflow 0
		.amdhsa_exception_fp_ieee_inexact 0
		.amdhsa_exception_int_div_zero 0
	.end_amdhsa_kernel
	.section	.text._ZN7rocprim17ROCPRIM_400000_NS6detail17trampoline_kernelINS0_14default_configENS1_20scan_config_selectorIyEEZZNS1_9scan_implILNS1_25lookback_scan_determinismE0ELb0ELb0ES3_N6thrust23THRUST_200600_302600_NS6detail15normal_iteratorINS9_10device_ptrIyEEEENS9_16discard_iteratorINS9_11use_defaultEEEy11max_functorIyEyEEDaPvRmT3_T4_T5_mT6_P12ihipStream_tbENKUlT_T0_E_clISt17integral_constantIbLb0EESW_IbLb1EEEEDaSS_ST_EUlSS_E_NS1_11comp_targetILNS1_3genE9ELNS1_11target_archE1100ELNS1_3gpuE3ELNS1_3repE0EEENS1_30default_config_static_selectorELNS0_4arch9wavefront6targetE1EEEvT1_,"axG",@progbits,_ZN7rocprim17ROCPRIM_400000_NS6detail17trampoline_kernelINS0_14default_configENS1_20scan_config_selectorIyEEZZNS1_9scan_implILNS1_25lookback_scan_determinismE0ELb0ELb0ES3_N6thrust23THRUST_200600_302600_NS6detail15normal_iteratorINS9_10device_ptrIyEEEENS9_16discard_iteratorINS9_11use_defaultEEEy11max_functorIyEyEEDaPvRmT3_T4_T5_mT6_P12ihipStream_tbENKUlT_T0_E_clISt17integral_constantIbLb0EESW_IbLb1EEEEDaSS_ST_EUlSS_E_NS1_11comp_targetILNS1_3genE9ELNS1_11target_archE1100ELNS1_3gpuE3ELNS1_3repE0EEENS1_30default_config_static_selectorELNS0_4arch9wavefront6targetE1EEEvT1_,comdat
.Lfunc_end3339:
	.size	_ZN7rocprim17ROCPRIM_400000_NS6detail17trampoline_kernelINS0_14default_configENS1_20scan_config_selectorIyEEZZNS1_9scan_implILNS1_25lookback_scan_determinismE0ELb0ELb0ES3_N6thrust23THRUST_200600_302600_NS6detail15normal_iteratorINS9_10device_ptrIyEEEENS9_16discard_iteratorINS9_11use_defaultEEEy11max_functorIyEyEEDaPvRmT3_T4_T5_mT6_P12ihipStream_tbENKUlT_T0_E_clISt17integral_constantIbLb0EESW_IbLb1EEEEDaSS_ST_EUlSS_E_NS1_11comp_targetILNS1_3genE9ELNS1_11target_archE1100ELNS1_3gpuE3ELNS1_3repE0EEENS1_30default_config_static_selectorELNS0_4arch9wavefront6targetE1EEEvT1_, .Lfunc_end3339-_ZN7rocprim17ROCPRIM_400000_NS6detail17trampoline_kernelINS0_14default_configENS1_20scan_config_selectorIyEEZZNS1_9scan_implILNS1_25lookback_scan_determinismE0ELb0ELb0ES3_N6thrust23THRUST_200600_302600_NS6detail15normal_iteratorINS9_10device_ptrIyEEEENS9_16discard_iteratorINS9_11use_defaultEEEy11max_functorIyEyEEDaPvRmT3_T4_T5_mT6_P12ihipStream_tbENKUlT_T0_E_clISt17integral_constantIbLb0EESW_IbLb1EEEEDaSS_ST_EUlSS_E_NS1_11comp_targetILNS1_3genE9ELNS1_11target_archE1100ELNS1_3gpuE3ELNS1_3repE0EEENS1_30default_config_static_selectorELNS0_4arch9wavefront6targetE1EEEvT1_
                                        ; -- End function
	.section	.AMDGPU.csdata,"",@progbits
; Kernel info:
; codeLenInByte = 0
; NumSgprs: 4
; NumVgprs: 0
; NumAgprs: 0
; TotalNumVgprs: 0
; ScratchSize: 0
; MemoryBound: 0
; FloatMode: 240
; IeeeMode: 1
; LDSByteSize: 0 bytes/workgroup (compile time only)
; SGPRBlocks: 0
; VGPRBlocks: 0
; NumSGPRsForWavesPerEU: 4
; NumVGPRsForWavesPerEU: 1
; AccumOffset: 4
; Occupancy: 8
; WaveLimiterHint : 0
; COMPUTE_PGM_RSRC2:SCRATCH_EN: 0
; COMPUTE_PGM_RSRC2:USER_SGPR: 6
; COMPUTE_PGM_RSRC2:TRAP_HANDLER: 0
; COMPUTE_PGM_RSRC2:TGID_X_EN: 1
; COMPUTE_PGM_RSRC2:TGID_Y_EN: 0
; COMPUTE_PGM_RSRC2:TGID_Z_EN: 0
; COMPUTE_PGM_RSRC2:TIDIG_COMP_CNT: 0
; COMPUTE_PGM_RSRC3_GFX90A:ACCUM_OFFSET: 0
; COMPUTE_PGM_RSRC3_GFX90A:TG_SPLIT: 0
	.section	.text._ZN7rocprim17ROCPRIM_400000_NS6detail17trampoline_kernelINS0_14default_configENS1_20scan_config_selectorIyEEZZNS1_9scan_implILNS1_25lookback_scan_determinismE0ELb0ELb0ES3_N6thrust23THRUST_200600_302600_NS6detail15normal_iteratorINS9_10device_ptrIyEEEENS9_16discard_iteratorINS9_11use_defaultEEEy11max_functorIyEyEEDaPvRmT3_T4_T5_mT6_P12ihipStream_tbENKUlT_T0_E_clISt17integral_constantIbLb0EESW_IbLb1EEEEDaSS_ST_EUlSS_E_NS1_11comp_targetILNS1_3genE8ELNS1_11target_archE1030ELNS1_3gpuE2ELNS1_3repE0EEENS1_30default_config_static_selectorELNS0_4arch9wavefront6targetE1EEEvT1_,"axG",@progbits,_ZN7rocprim17ROCPRIM_400000_NS6detail17trampoline_kernelINS0_14default_configENS1_20scan_config_selectorIyEEZZNS1_9scan_implILNS1_25lookback_scan_determinismE0ELb0ELb0ES3_N6thrust23THRUST_200600_302600_NS6detail15normal_iteratorINS9_10device_ptrIyEEEENS9_16discard_iteratorINS9_11use_defaultEEEy11max_functorIyEyEEDaPvRmT3_T4_T5_mT6_P12ihipStream_tbENKUlT_T0_E_clISt17integral_constantIbLb0EESW_IbLb1EEEEDaSS_ST_EUlSS_E_NS1_11comp_targetILNS1_3genE8ELNS1_11target_archE1030ELNS1_3gpuE2ELNS1_3repE0EEENS1_30default_config_static_selectorELNS0_4arch9wavefront6targetE1EEEvT1_,comdat
	.protected	_ZN7rocprim17ROCPRIM_400000_NS6detail17trampoline_kernelINS0_14default_configENS1_20scan_config_selectorIyEEZZNS1_9scan_implILNS1_25lookback_scan_determinismE0ELb0ELb0ES3_N6thrust23THRUST_200600_302600_NS6detail15normal_iteratorINS9_10device_ptrIyEEEENS9_16discard_iteratorINS9_11use_defaultEEEy11max_functorIyEyEEDaPvRmT3_T4_T5_mT6_P12ihipStream_tbENKUlT_T0_E_clISt17integral_constantIbLb0EESW_IbLb1EEEEDaSS_ST_EUlSS_E_NS1_11comp_targetILNS1_3genE8ELNS1_11target_archE1030ELNS1_3gpuE2ELNS1_3repE0EEENS1_30default_config_static_selectorELNS0_4arch9wavefront6targetE1EEEvT1_ ; -- Begin function _ZN7rocprim17ROCPRIM_400000_NS6detail17trampoline_kernelINS0_14default_configENS1_20scan_config_selectorIyEEZZNS1_9scan_implILNS1_25lookback_scan_determinismE0ELb0ELb0ES3_N6thrust23THRUST_200600_302600_NS6detail15normal_iteratorINS9_10device_ptrIyEEEENS9_16discard_iteratorINS9_11use_defaultEEEy11max_functorIyEyEEDaPvRmT3_T4_T5_mT6_P12ihipStream_tbENKUlT_T0_E_clISt17integral_constantIbLb0EESW_IbLb1EEEEDaSS_ST_EUlSS_E_NS1_11comp_targetILNS1_3genE8ELNS1_11target_archE1030ELNS1_3gpuE2ELNS1_3repE0EEENS1_30default_config_static_selectorELNS0_4arch9wavefront6targetE1EEEvT1_
	.globl	_ZN7rocprim17ROCPRIM_400000_NS6detail17trampoline_kernelINS0_14default_configENS1_20scan_config_selectorIyEEZZNS1_9scan_implILNS1_25lookback_scan_determinismE0ELb0ELb0ES3_N6thrust23THRUST_200600_302600_NS6detail15normal_iteratorINS9_10device_ptrIyEEEENS9_16discard_iteratorINS9_11use_defaultEEEy11max_functorIyEyEEDaPvRmT3_T4_T5_mT6_P12ihipStream_tbENKUlT_T0_E_clISt17integral_constantIbLb0EESW_IbLb1EEEEDaSS_ST_EUlSS_E_NS1_11comp_targetILNS1_3genE8ELNS1_11target_archE1030ELNS1_3gpuE2ELNS1_3repE0EEENS1_30default_config_static_selectorELNS0_4arch9wavefront6targetE1EEEvT1_
	.p2align	8
	.type	_ZN7rocprim17ROCPRIM_400000_NS6detail17trampoline_kernelINS0_14default_configENS1_20scan_config_selectorIyEEZZNS1_9scan_implILNS1_25lookback_scan_determinismE0ELb0ELb0ES3_N6thrust23THRUST_200600_302600_NS6detail15normal_iteratorINS9_10device_ptrIyEEEENS9_16discard_iteratorINS9_11use_defaultEEEy11max_functorIyEyEEDaPvRmT3_T4_T5_mT6_P12ihipStream_tbENKUlT_T0_E_clISt17integral_constantIbLb0EESW_IbLb1EEEEDaSS_ST_EUlSS_E_NS1_11comp_targetILNS1_3genE8ELNS1_11target_archE1030ELNS1_3gpuE2ELNS1_3repE0EEENS1_30default_config_static_selectorELNS0_4arch9wavefront6targetE1EEEvT1_,@function
_ZN7rocprim17ROCPRIM_400000_NS6detail17trampoline_kernelINS0_14default_configENS1_20scan_config_selectorIyEEZZNS1_9scan_implILNS1_25lookback_scan_determinismE0ELb0ELb0ES3_N6thrust23THRUST_200600_302600_NS6detail15normal_iteratorINS9_10device_ptrIyEEEENS9_16discard_iteratorINS9_11use_defaultEEEy11max_functorIyEyEEDaPvRmT3_T4_T5_mT6_P12ihipStream_tbENKUlT_T0_E_clISt17integral_constantIbLb0EESW_IbLb1EEEEDaSS_ST_EUlSS_E_NS1_11comp_targetILNS1_3genE8ELNS1_11target_archE1030ELNS1_3gpuE2ELNS1_3repE0EEENS1_30default_config_static_selectorELNS0_4arch9wavefront6targetE1EEEvT1_: ; @_ZN7rocprim17ROCPRIM_400000_NS6detail17trampoline_kernelINS0_14default_configENS1_20scan_config_selectorIyEEZZNS1_9scan_implILNS1_25lookback_scan_determinismE0ELb0ELb0ES3_N6thrust23THRUST_200600_302600_NS6detail15normal_iteratorINS9_10device_ptrIyEEEENS9_16discard_iteratorINS9_11use_defaultEEEy11max_functorIyEyEEDaPvRmT3_T4_T5_mT6_P12ihipStream_tbENKUlT_T0_E_clISt17integral_constantIbLb0EESW_IbLb1EEEEDaSS_ST_EUlSS_E_NS1_11comp_targetILNS1_3genE8ELNS1_11target_archE1030ELNS1_3gpuE2ELNS1_3repE0EEENS1_30default_config_static_selectorELNS0_4arch9wavefront6targetE1EEEvT1_
; %bb.0:
	.section	.rodata,"a",@progbits
	.p2align	6, 0x0
	.amdhsa_kernel _ZN7rocprim17ROCPRIM_400000_NS6detail17trampoline_kernelINS0_14default_configENS1_20scan_config_selectorIyEEZZNS1_9scan_implILNS1_25lookback_scan_determinismE0ELb0ELb0ES3_N6thrust23THRUST_200600_302600_NS6detail15normal_iteratorINS9_10device_ptrIyEEEENS9_16discard_iteratorINS9_11use_defaultEEEy11max_functorIyEyEEDaPvRmT3_T4_T5_mT6_P12ihipStream_tbENKUlT_T0_E_clISt17integral_constantIbLb0EESW_IbLb1EEEEDaSS_ST_EUlSS_E_NS1_11comp_targetILNS1_3genE8ELNS1_11target_archE1030ELNS1_3gpuE2ELNS1_3repE0EEENS1_30default_config_static_selectorELNS0_4arch9wavefront6targetE1EEEvT1_
		.amdhsa_group_segment_fixed_size 0
		.amdhsa_private_segment_fixed_size 0
		.amdhsa_kernarg_size 112
		.amdhsa_user_sgpr_count 6
		.amdhsa_user_sgpr_private_segment_buffer 1
		.amdhsa_user_sgpr_dispatch_ptr 0
		.amdhsa_user_sgpr_queue_ptr 0
		.amdhsa_user_sgpr_kernarg_segment_ptr 1
		.amdhsa_user_sgpr_dispatch_id 0
		.amdhsa_user_sgpr_flat_scratch_init 0
		.amdhsa_user_sgpr_kernarg_preload_length 0
		.amdhsa_user_sgpr_kernarg_preload_offset 0
		.amdhsa_user_sgpr_private_segment_size 0
		.amdhsa_uses_dynamic_stack 0
		.amdhsa_system_sgpr_private_segment_wavefront_offset 0
		.amdhsa_system_sgpr_workgroup_id_x 1
		.amdhsa_system_sgpr_workgroup_id_y 0
		.amdhsa_system_sgpr_workgroup_id_z 0
		.amdhsa_system_sgpr_workgroup_info 0
		.amdhsa_system_vgpr_workitem_id 0
		.amdhsa_next_free_vgpr 1
		.amdhsa_next_free_sgpr 0
		.amdhsa_accum_offset 4
		.amdhsa_reserve_vcc 0
		.amdhsa_reserve_flat_scratch 0
		.amdhsa_float_round_mode_32 0
		.amdhsa_float_round_mode_16_64 0
		.amdhsa_float_denorm_mode_32 3
		.amdhsa_float_denorm_mode_16_64 3
		.amdhsa_dx10_clamp 1
		.amdhsa_ieee_mode 1
		.amdhsa_fp16_overflow 0
		.amdhsa_tg_split 0
		.amdhsa_exception_fp_ieee_invalid_op 0
		.amdhsa_exception_fp_denorm_src 0
		.amdhsa_exception_fp_ieee_div_zero 0
		.amdhsa_exception_fp_ieee_overflow 0
		.amdhsa_exception_fp_ieee_underflow 0
		.amdhsa_exception_fp_ieee_inexact 0
		.amdhsa_exception_int_div_zero 0
	.end_amdhsa_kernel
	.section	.text._ZN7rocprim17ROCPRIM_400000_NS6detail17trampoline_kernelINS0_14default_configENS1_20scan_config_selectorIyEEZZNS1_9scan_implILNS1_25lookback_scan_determinismE0ELb0ELb0ES3_N6thrust23THRUST_200600_302600_NS6detail15normal_iteratorINS9_10device_ptrIyEEEENS9_16discard_iteratorINS9_11use_defaultEEEy11max_functorIyEyEEDaPvRmT3_T4_T5_mT6_P12ihipStream_tbENKUlT_T0_E_clISt17integral_constantIbLb0EESW_IbLb1EEEEDaSS_ST_EUlSS_E_NS1_11comp_targetILNS1_3genE8ELNS1_11target_archE1030ELNS1_3gpuE2ELNS1_3repE0EEENS1_30default_config_static_selectorELNS0_4arch9wavefront6targetE1EEEvT1_,"axG",@progbits,_ZN7rocprim17ROCPRIM_400000_NS6detail17trampoline_kernelINS0_14default_configENS1_20scan_config_selectorIyEEZZNS1_9scan_implILNS1_25lookback_scan_determinismE0ELb0ELb0ES3_N6thrust23THRUST_200600_302600_NS6detail15normal_iteratorINS9_10device_ptrIyEEEENS9_16discard_iteratorINS9_11use_defaultEEEy11max_functorIyEyEEDaPvRmT3_T4_T5_mT6_P12ihipStream_tbENKUlT_T0_E_clISt17integral_constantIbLb0EESW_IbLb1EEEEDaSS_ST_EUlSS_E_NS1_11comp_targetILNS1_3genE8ELNS1_11target_archE1030ELNS1_3gpuE2ELNS1_3repE0EEENS1_30default_config_static_selectorELNS0_4arch9wavefront6targetE1EEEvT1_,comdat
.Lfunc_end3340:
	.size	_ZN7rocprim17ROCPRIM_400000_NS6detail17trampoline_kernelINS0_14default_configENS1_20scan_config_selectorIyEEZZNS1_9scan_implILNS1_25lookback_scan_determinismE0ELb0ELb0ES3_N6thrust23THRUST_200600_302600_NS6detail15normal_iteratorINS9_10device_ptrIyEEEENS9_16discard_iteratorINS9_11use_defaultEEEy11max_functorIyEyEEDaPvRmT3_T4_T5_mT6_P12ihipStream_tbENKUlT_T0_E_clISt17integral_constantIbLb0EESW_IbLb1EEEEDaSS_ST_EUlSS_E_NS1_11comp_targetILNS1_3genE8ELNS1_11target_archE1030ELNS1_3gpuE2ELNS1_3repE0EEENS1_30default_config_static_selectorELNS0_4arch9wavefront6targetE1EEEvT1_, .Lfunc_end3340-_ZN7rocprim17ROCPRIM_400000_NS6detail17trampoline_kernelINS0_14default_configENS1_20scan_config_selectorIyEEZZNS1_9scan_implILNS1_25lookback_scan_determinismE0ELb0ELb0ES3_N6thrust23THRUST_200600_302600_NS6detail15normal_iteratorINS9_10device_ptrIyEEEENS9_16discard_iteratorINS9_11use_defaultEEEy11max_functorIyEyEEDaPvRmT3_T4_T5_mT6_P12ihipStream_tbENKUlT_T0_E_clISt17integral_constantIbLb0EESW_IbLb1EEEEDaSS_ST_EUlSS_E_NS1_11comp_targetILNS1_3genE8ELNS1_11target_archE1030ELNS1_3gpuE2ELNS1_3repE0EEENS1_30default_config_static_selectorELNS0_4arch9wavefront6targetE1EEEvT1_
                                        ; -- End function
	.section	.AMDGPU.csdata,"",@progbits
; Kernel info:
; codeLenInByte = 0
; NumSgprs: 4
; NumVgprs: 0
; NumAgprs: 0
; TotalNumVgprs: 0
; ScratchSize: 0
; MemoryBound: 0
; FloatMode: 240
; IeeeMode: 1
; LDSByteSize: 0 bytes/workgroup (compile time only)
; SGPRBlocks: 0
; VGPRBlocks: 0
; NumSGPRsForWavesPerEU: 4
; NumVGPRsForWavesPerEU: 1
; AccumOffset: 4
; Occupancy: 8
; WaveLimiterHint : 0
; COMPUTE_PGM_RSRC2:SCRATCH_EN: 0
; COMPUTE_PGM_RSRC2:USER_SGPR: 6
; COMPUTE_PGM_RSRC2:TRAP_HANDLER: 0
; COMPUTE_PGM_RSRC2:TGID_X_EN: 1
; COMPUTE_PGM_RSRC2:TGID_Y_EN: 0
; COMPUTE_PGM_RSRC2:TGID_Z_EN: 0
; COMPUTE_PGM_RSRC2:TIDIG_COMP_CNT: 0
; COMPUTE_PGM_RSRC3_GFX90A:ACCUM_OFFSET: 0
; COMPUTE_PGM_RSRC3_GFX90A:TG_SPLIT: 0
	.section	.text._ZN7rocprim17ROCPRIM_400000_NS6detail17trampoline_kernelINS0_14default_configENS1_20scan_config_selectorIyEEZZNS1_9scan_implILNS1_25lookback_scan_determinismE0ELb0ELb0ES3_N6thrust23THRUST_200600_302600_NS6detail15normal_iteratorINS9_10device_ptrIyEEEENS9_16discard_iteratorINS9_11use_defaultEEEy11max_functorIyEyEEDaPvRmT3_T4_T5_mT6_P12ihipStream_tbENKUlT_T0_E_clISt17integral_constantIbLb0EESW_IbLb1EEEEDaSS_ST_EUlSS_E0_NS1_11comp_targetILNS1_3genE0ELNS1_11target_archE4294967295ELNS1_3gpuE0ELNS1_3repE0EEENS1_30default_config_static_selectorELNS0_4arch9wavefront6targetE1EEEvT1_,"axG",@progbits,_ZN7rocprim17ROCPRIM_400000_NS6detail17trampoline_kernelINS0_14default_configENS1_20scan_config_selectorIyEEZZNS1_9scan_implILNS1_25lookback_scan_determinismE0ELb0ELb0ES3_N6thrust23THRUST_200600_302600_NS6detail15normal_iteratorINS9_10device_ptrIyEEEENS9_16discard_iteratorINS9_11use_defaultEEEy11max_functorIyEyEEDaPvRmT3_T4_T5_mT6_P12ihipStream_tbENKUlT_T0_E_clISt17integral_constantIbLb0EESW_IbLb1EEEEDaSS_ST_EUlSS_E0_NS1_11comp_targetILNS1_3genE0ELNS1_11target_archE4294967295ELNS1_3gpuE0ELNS1_3repE0EEENS1_30default_config_static_selectorELNS0_4arch9wavefront6targetE1EEEvT1_,comdat
	.protected	_ZN7rocprim17ROCPRIM_400000_NS6detail17trampoline_kernelINS0_14default_configENS1_20scan_config_selectorIyEEZZNS1_9scan_implILNS1_25lookback_scan_determinismE0ELb0ELb0ES3_N6thrust23THRUST_200600_302600_NS6detail15normal_iteratorINS9_10device_ptrIyEEEENS9_16discard_iteratorINS9_11use_defaultEEEy11max_functorIyEyEEDaPvRmT3_T4_T5_mT6_P12ihipStream_tbENKUlT_T0_E_clISt17integral_constantIbLb0EESW_IbLb1EEEEDaSS_ST_EUlSS_E0_NS1_11comp_targetILNS1_3genE0ELNS1_11target_archE4294967295ELNS1_3gpuE0ELNS1_3repE0EEENS1_30default_config_static_selectorELNS0_4arch9wavefront6targetE1EEEvT1_ ; -- Begin function _ZN7rocprim17ROCPRIM_400000_NS6detail17trampoline_kernelINS0_14default_configENS1_20scan_config_selectorIyEEZZNS1_9scan_implILNS1_25lookback_scan_determinismE0ELb0ELb0ES3_N6thrust23THRUST_200600_302600_NS6detail15normal_iteratorINS9_10device_ptrIyEEEENS9_16discard_iteratorINS9_11use_defaultEEEy11max_functorIyEyEEDaPvRmT3_T4_T5_mT6_P12ihipStream_tbENKUlT_T0_E_clISt17integral_constantIbLb0EESW_IbLb1EEEEDaSS_ST_EUlSS_E0_NS1_11comp_targetILNS1_3genE0ELNS1_11target_archE4294967295ELNS1_3gpuE0ELNS1_3repE0EEENS1_30default_config_static_selectorELNS0_4arch9wavefront6targetE1EEEvT1_
	.globl	_ZN7rocprim17ROCPRIM_400000_NS6detail17trampoline_kernelINS0_14default_configENS1_20scan_config_selectorIyEEZZNS1_9scan_implILNS1_25lookback_scan_determinismE0ELb0ELb0ES3_N6thrust23THRUST_200600_302600_NS6detail15normal_iteratorINS9_10device_ptrIyEEEENS9_16discard_iteratorINS9_11use_defaultEEEy11max_functorIyEyEEDaPvRmT3_T4_T5_mT6_P12ihipStream_tbENKUlT_T0_E_clISt17integral_constantIbLb0EESW_IbLb1EEEEDaSS_ST_EUlSS_E0_NS1_11comp_targetILNS1_3genE0ELNS1_11target_archE4294967295ELNS1_3gpuE0ELNS1_3repE0EEENS1_30default_config_static_selectorELNS0_4arch9wavefront6targetE1EEEvT1_
	.p2align	8
	.type	_ZN7rocprim17ROCPRIM_400000_NS6detail17trampoline_kernelINS0_14default_configENS1_20scan_config_selectorIyEEZZNS1_9scan_implILNS1_25lookback_scan_determinismE0ELb0ELb0ES3_N6thrust23THRUST_200600_302600_NS6detail15normal_iteratorINS9_10device_ptrIyEEEENS9_16discard_iteratorINS9_11use_defaultEEEy11max_functorIyEyEEDaPvRmT3_T4_T5_mT6_P12ihipStream_tbENKUlT_T0_E_clISt17integral_constantIbLb0EESW_IbLb1EEEEDaSS_ST_EUlSS_E0_NS1_11comp_targetILNS1_3genE0ELNS1_11target_archE4294967295ELNS1_3gpuE0ELNS1_3repE0EEENS1_30default_config_static_selectorELNS0_4arch9wavefront6targetE1EEEvT1_,@function
_ZN7rocprim17ROCPRIM_400000_NS6detail17trampoline_kernelINS0_14default_configENS1_20scan_config_selectorIyEEZZNS1_9scan_implILNS1_25lookback_scan_determinismE0ELb0ELb0ES3_N6thrust23THRUST_200600_302600_NS6detail15normal_iteratorINS9_10device_ptrIyEEEENS9_16discard_iteratorINS9_11use_defaultEEEy11max_functorIyEyEEDaPvRmT3_T4_T5_mT6_P12ihipStream_tbENKUlT_T0_E_clISt17integral_constantIbLb0EESW_IbLb1EEEEDaSS_ST_EUlSS_E0_NS1_11comp_targetILNS1_3genE0ELNS1_11target_archE4294967295ELNS1_3gpuE0ELNS1_3repE0EEENS1_30default_config_static_selectorELNS0_4arch9wavefront6targetE1EEEvT1_: ; @_ZN7rocprim17ROCPRIM_400000_NS6detail17trampoline_kernelINS0_14default_configENS1_20scan_config_selectorIyEEZZNS1_9scan_implILNS1_25lookback_scan_determinismE0ELb0ELb0ES3_N6thrust23THRUST_200600_302600_NS6detail15normal_iteratorINS9_10device_ptrIyEEEENS9_16discard_iteratorINS9_11use_defaultEEEy11max_functorIyEyEEDaPvRmT3_T4_T5_mT6_P12ihipStream_tbENKUlT_T0_E_clISt17integral_constantIbLb0EESW_IbLb1EEEEDaSS_ST_EUlSS_E0_NS1_11comp_targetILNS1_3genE0ELNS1_11target_archE4294967295ELNS1_3gpuE0ELNS1_3repE0EEENS1_30default_config_static_selectorELNS0_4arch9wavefront6targetE1EEEvT1_
; %bb.0:
	.section	.rodata,"a",@progbits
	.p2align	6, 0x0
	.amdhsa_kernel _ZN7rocprim17ROCPRIM_400000_NS6detail17trampoline_kernelINS0_14default_configENS1_20scan_config_selectorIyEEZZNS1_9scan_implILNS1_25lookback_scan_determinismE0ELb0ELb0ES3_N6thrust23THRUST_200600_302600_NS6detail15normal_iteratorINS9_10device_ptrIyEEEENS9_16discard_iteratorINS9_11use_defaultEEEy11max_functorIyEyEEDaPvRmT3_T4_T5_mT6_P12ihipStream_tbENKUlT_T0_E_clISt17integral_constantIbLb0EESW_IbLb1EEEEDaSS_ST_EUlSS_E0_NS1_11comp_targetILNS1_3genE0ELNS1_11target_archE4294967295ELNS1_3gpuE0ELNS1_3repE0EEENS1_30default_config_static_selectorELNS0_4arch9wavefront6targetE1EEEvT1_
		.amdhsa_group_segment_fixed_size 0
		.amdhsa_private_segment_fixed_size 0
		.amdhsa_kernarg_size 48
		.amdhsa_user_sgpr_count 6
		.amdhsa_user_sgpr_private_segment_buffer 1
		.amdhsa_user_sgpr_dispatch_ptr 0
		.amdhsa_user_sgpr_queue_ptr 0
		.amdhsa_user_sgpr_kernarg_segment_ptr 1
		.amdhsa_user_sgpr_dispatch_id 0
		.amdhsa_user_sgpr_flat_scratch_init 0
		.amdhsa_user_sgpr_kernarg_preload_length 0
		.amdhsa_user_sgpr_kernarg_preload_offset 0
		.amdhsa_user_sgpr_private_segment_size 0
		.amdhsa_uses_dynamic_stack 0
		.amdhsa_system_sgpr_private_segment_wavefront_offset 0
		.amdhsa_system_sgpr_workgroup_id_x 1
		.amdhsa_system_sgpr_workgroup_id_y 0
		.amdhsa_system_sgpr_workgroup_id_z 0
		.amdhsa_system_sgpr_workgroup_info 0
		.amdhsa_system_vgpr_workitem_id 0
		.amdhsa_next_free_vgpr 1
		.amdhsa_next_free_sgpr 0
		.amdhsa_accum_offset 4
		.amdhsa_reserve_vcc 0
		.amdhsa_reserve_flat_scratch 0
		.amdhsa_float_round_mode_32 0
		.amdhsa_float_round_mode_16_64 0
		.amdhsa_float_denorm_mode_32 3
		.amdhsa_float_denorm_mode_16_64 3
		.amdhsa_dx10_clamp 1
		.amdhsa_ieee_mode 1
		.amdhsa_fp16_overflow 0
		.amdhsa_tg_split 0
		.amdhsa_exception_fp_ieee_invalid_op 0
		.amdhsa_exception_fp_denorm_src 0
		.amdhsa_exception_fp_ieee_div_zero 0
		.amdhsa_exception_fp_ieee_overflow 0
		.amdhsa_exception_fp_ieee_underflow 0
		.amdhsa_exception_fp_ieee_inexact 0
		.amdhsa_exception_int_div_zero 0
	.end_amdhsa_kernel
	.section	.text._ZN7rocprim17ROCPRIM_400000_NS6detail17trampoline_kernelINS0_14default_configENS1_20scan_config_selectorIyEEZZNS1_9scan_implILNS1_25lookback_scan_determinismE0ELb0ELb0ES3_N6thrust23THRUST_200600_302600_NS6detail15normal_iteratorINS9_10device_ptrIyEEEENS9_16discard_iteratorINS9_11use_defaultEEEy11max_functorIyEyEEDaPvRmT3_T4_T5_mT6_P12ihipStream_tbENKUlT_T0_E_clISt17integral_constantIbLb0EESW_IbLb1EEEEDaSS_ST_EUlSS_E0_NS1_11comp_targetILNS1_3genE0ELNS1_11target_archE4294967295ELNS1_3gpuE0ELNS1_3repE0EEENS1_30default_config_static_selectorELNS0_4arch9wavefront6targetE1EEEvT1_,"axG",@progbits,_ZN7rocprim17ROCPRIM_400000_NS6detail17trampoline_kernelINS0_14default_configENS1_20scan_config_selectorIyEEZZNS1_9scan_implILNS1_25lookback_scan_determinismE0ELb0ELb0ES3_N6thrust23THRUST_200600_302600_NS6detail15normal_iteratorINS9_10device_ptrIyEEEENS9_16discard_iteratorINS9_11use_defaultEEEy11max_functorIyEyEEDaPvRmT3_T4_T5_mT6_P12ihipStream_tbENKUlT_T0_E_clISt17integral_constantIbLb0EESW_IbLb1EEEEDaSS_ST_EUlSS_E0_NS1_11comp_targetILNS1_3genE0ELNS1_11target_archE4294967295ELNS1_3gpuE0ELNS1_3repE0EEENS1_30default_config_static_selectorELNS0_4arch9wavefront6targetE1EEEvT1_,comdat
.Lfunc_end3341:
	.size	_ZN7rocprim17ROCPRIM_400000_NS6detail17trampoline_kernelINS0_14default_configENS1_20scan_config_selectorIyEEZZNS1_9scan_implILNS1_25lookback_scan_determinismE0ELb0ELb0ES3_N6thrust23THRUST_200600_302600_NS6detail15normal_iteratorINS9_10device_ptrIyEEEENS9_16discard_iteratorINS9_11use_defaultEEEy11max_functorIyEyEEDaPvRmT3_T4_T5_mT6_P12ihipStream_tbENKUlT_T0_E_clISt17integral_constantIbLb0EESW_IbLb1EEEEDaSS_ST_EUlSS_E0_NS1_11comp_targetILNS1_3genE0ELNS1_11target_archE4294967295ELNS1_3gpuE0ELNS1_3repE0EEENS1_30default_config_static_selectorELNS0_4arch9wavefront6targetE1EEEvT1_, .Lfunc_end3341-_ZN7rocprim17ROCPRIM_400000_NS6detail17trampoline_kernelINS0_14default_configENS1_20scan_config_selectorIyEEZZNS1_9scan_implILNS1_25lookback_scan_determinismE0ELb0ELb0ES3_N6thrust23THRUST_200600_302600_NS6detail15normal_iteratorINS9_10device_ptrIyEEEENS9_16discard_iteratorINS9_11use_defaultEEEy11max_functorIyEyEEDaPvRmT3_T4_T5_mT6_P12ihipStream_tbENKUlT_T0_E_clISt17integral_constantIbLb0EESW_IbLb1EEEEDaSS_ST_EUlSS_E0_NS1_11comp_targetILNS1_3genE0ELNS1_11target_archE4294967295ELNS1_3gpuE0ELNS1_3repE0EEENS1_30default_config_static_selectorELNS0_4arch9wavefront6targetE1EEEvT1_
                                        ; -- End function
	.section	.AMDGPU.csdata,"",@progbits
; Kernel info:
; codeLenInByte = 0
; NumSgprs: 4
; NumVgprs: 0
; NumAgprs: 0
; TotalNumVgprs: 0
; ScratchSize: 0
; MemoryBound: 0
; FloatMode: 240
; IeeeMode: 1
; LDSByteSize: 0 bytes/workgroup (compile time only)
; SGPRBlocks: 0
; VGPRBlocks: 0
; NumSGPRsForWavesPerEU: 4
; NumVGPRsForWavesPerEU: 1
; AccumOffset: 4
; Occupancy: 8
; WaveLimiterHint : 0
; COMPUTE_PGM_RSRC2:SCRATCH_EN: 0
; COMPUTE_PGM_RSRC2:USER_SGPR: 6
; COMPUTE_PGM_RSRC2:TRAP_HANDLER: 0
; COMPUTE_PGM_RSRC2:TGID_X_EN: 1
; COMPUTE_PGM_RSRC2:TGID_Y_EN: 0
; COMPUTE_PGM_RSRC2:TGID_Z_EN: 0
; COMPUTE_PGM_RSRC2:TIDIG_COMP_CNT: 0
; COMPUTE_PGM_RSRC3_GFX90A:ACCUM_OFFSET: 0
; COMPUTE_PGM_RSRC3_GFX90A:TG_SPLIT: 0
	.section	.text._ZN7rocprim17ROCPRIM_400000_NS6detail17trampoline_kernelINS0_14default_configENS1_20scan_config_selectorIyEEZZNS1_9scan_implILNS1_25lookback_scan_determinismE0ELb0ELb0ES3_N6thrust23THRUST_200600_302600_NS6detail15normal_iteratorINS9_10device_ptrIyEEEENS9_16discard_iteratorINS9_11use_defaultEEEy11max_functorIyEyEEDaPvRmT3_T4_T5_mT6_P12ihipStream_tbENKUlT_T0_E_clISt17integral_constantIbLb0EESW_IbLb1EEEEDaSS_ST_EUlSS_E0_NS1_11comp_targetILNS1_3genE5ELNS1_11target_archE942ELNS1_3gpuE9ELNS1_3repE0EEENS1_30default_config_static_selectorELNS0_4arch9wavefront6targetE1EEEvT1_,"axG",@progbits,_ZN7rocprim17ROCPRIM_400000_NS6detail17trampoline_kernelINS0_14default_configENS1_20scan_config_selectorIyEEZZNS1_9scan_implILNS1_25lookback_scan_determinismE0ELb0ELb0ES3_N6thrust23THRUST_200600_302600_NS6detail15normal_iteratorINS9_10device_ptrIyEEEENS9_16discard_iteratorINS9_11use_defaultEEEy11max_functorIyEyEEDaPvRmT3_T4_T5_mT6_P12ihipStream_tbENKUlT_T0_E_clISt17integral_constantIbLb0EESW_IbLb1EEEEDaSS_ST_EUlSS_E0_NS1_11comp_targetILNS1_3genE5ELNS1_11target_archE942ELNS1_3gpuE9ELNS1_3repE0EEENS1_30default_config_static_selectorELNS0_4arch9wavefront6targetE1EEEvT1_,comdat
	.protected	_ZN7rocprim17ROCPRIM_400000_NS6detail17trampoline_kernelINS0_14default_configENS1_20scan_config_selectorIyEEZZNS1_9scan_implILNS1_25lookback_scan_determinismE0ELb0ELb0ES3_N6thrust23THRUST_200600_302600_NS6detail15normal_iteratorINS9_10device_ptrIyEEEENS9_16discard_iteratorINS9_11use_defaultEEEy11max_functorIyEyEEDaPvRmT3_T4_T5_mT6_P12ihipStream_tbENKUlT_T0_E_clISt17integral_constantIbLb0EESW_IbLb1EEEEDaSS_ST_EUlSS_E0_NS1_11comp_targetILNS1_3genE5ELNS1_11target_archE942ELNS1_3gpuE9ELNS1_3repE0EEENS1_30default_config_static_selectorELNS0_4arch9wavefront6targetE1EEEvT1_ ; -- Begin function _ZN7rocprim17ROCPRIM_400000_NS6detail17trampoline_kernelINS0_14default_configENS1_20scan_config_selectorIyEEZZNS1_9scan_implILNS1_25lookback_scan_determinismE0ELb0ELb0ES3_N6thrust23THRUST_200600_302600_NS6detail15normal_iteratorINS9_10device_ptrIyEEEENS9_16discard_iteratorINS9_11use_defaultEEEy11max_functorIyEyEEDaPvRmT3_T4_T5_mT6_P12ihipStream_tbENKUlT_T0_E_clISt17integral_constantIbLb0EESW_IbLb1EEEEDaSS_ST_EUlSS_E0_NS1_11comp_targetILNS1_3genE5ELNS1_11target_archE942ELNS1_3gpuE9ELNS1_3repE0EEENS1_30default_config_static_selectorELNS0_4arch9wavefront6targetE1EEEvT1_
	.globl	_ZN7rocprim17ROCPRIM_400000_NS6detail17trampoline_kernelINS0_14default_configENS1_20scan_config_selectorIyEEZZNS1_9scan_implILNS1_25lookback_scan_determinismE0ELb0ELb0ES3_N6thrust23THRUST_200600_302600_NS6detail15normal_iteratorINS9_10device_ptrIyEEEENS9_16discard_iteratorINS9_11use_defaultEEEy11max_functorIyEyEEDaPvRmT3_T4_T5_mT6_P12ihipStream_tbENKUlT_T0_E_clISt17integral_constantIbLb0EESW_IbLb1EEEEDaSS_ST_EUlSS_E0_NS1_11comp_targetILNS1_3genE5ELNS1_11target_archE942ELNS1_3gpuE9ELNS1_3repE0EEENS1_30default_config_static_selectorELNS0_4arch9wavefront6targetE1EEEvT1_
	.p2align	8
	.type	_ZN7rocprim17ROCPRIM_400000_NS6detail17trampoline_kernelINS0_14default_configENS1_20scan_config_selectorIyEEZZNS1_9scan_implILNS1_25lookback_scan_determinismE0ELb0ELb0ES3_N6thrust23THRUST_200600_302600_NS6detail15normal_iteratorINS9_10device_ptrIyEEEENS9_16discard_iteratorINS9_11use_defaultEEEy11max_functorIyEyEEDaPvRmT3_T4_T5_mT6_P12ihipStream_tbENKUlT_T0_E_clISt17integral_constantIbLb0EESW_IbLb1EEEEDaSS_ST_EUlSS_E0_NS1_11comp_targetILNS1_3genE5ELNS1_11target_archE942ELNS1_3gpuE9ELNS1_3repE0EEENS1_30default_config_static_selectorELNS0_4arch9wavefront6targetE1EEEvT1_,@function
_ZN7rocprim17ROCPRIM_400000_NS6detail17trampoline_kernelINS0_14default_configENS1_20scan_config_selectorIyEEZZNS1_9scan_implILNS1_25lookback_scan_determinismE0ELb0ELb0ES3_N6thrust23THRUST_200600_302600_NS6detail15normal_iteratorINS9_10device_ptrIyEEEENS9_16discard_iteratorINS9_11use_defaultEEEy11max_functorIyEyEEDaPvRmT3_T4_T5_mT6_P12ihipStream_tbENKUlT_T0_E_clISt17integral_constantIbLb0EESW_IbLb1EEEEDaSS_ST_EUlSS_E0_NS1_11comp_targetILNS1_3genE5ELNS1_11target_archE942ELNS1_3gpuE9ELNS1_3repE0EEENS1_30default_config_static_selectorELNS0_4arch9wavefront6targetE1EEEvT1_: ; @_ZN7rocprim17ROCPRIM_400000_NS6detail17trampoline_kernelINS0_14default_configENS1_20scan_config_selectorIyEEZZNS1_9scan_implILNS1_25lookback_scan_determinismE0ELb0ELb0ES3_N6thrust23THRUST_200600_302600_NS6detail15normal_iteratorINS9_10device_ptrIyEEEENS9_16discard_iteratorINS9_11use_defaultEEEy11max_functorIyEyEEDaPvRmT3_T4_T5_mT6_P12ihipStream_tbENKUlT_T0_E_clISt17integral_constantIbLb0EESW_IbLb1EEEEDaSS_ST_EUlSS_E0_NS1_11comp_targetILNS1_3genE5ELNS1_11target_archE942ELNS1_3gpuE9ELNS1_3repE0EEENS1_30default_config_static_selectorELNS0_4arch9wavefront6targetE1EEEvT1_
; %bb.0:
	.section	.rodata,"a",@progbits
	.p2align	6, 0x0
	.amdhsa_kernel _ZN7rocprim17ROCPRIM_400000_NS6detail17trampoline_kernelINS0_14default_configENS1_20scan_config_selectorIyEEZZNS1_9scan_implILNS1_25lookback_scan_determinismE0ELb0ELb0ES3_N6thrust23THRUST_200600_302600_NS6detail15normal_iteratorINS9_10device_ptrIyEEEENS9_16discard_iteratorINS9_11use_defaultEEEy11max_functorIyEyEEDaPvRmT3_T4_T5_mT6_P12ihipStream_tbENKUlT_T0_E_clISt17integral_constantIbLb0EESW_IbLb1EEEEDaSS_ST_EUlSS_E0_NS1_11comp_targetILNS1_3genE5ELNS1_11target_archE942ELNS1_3gpuE9ELNS1_3repE0EEENS1_30default_config_static_selectorELNS0_4arch9wavefront6targetE1EEEvT1_
		.amdhsa_group_segment_fixed_size 0
		.amdhsa_private_segment_fixed_size 0
		.amdhsa_kernarg_size 48
		.amdhsa_user_sgpr_count 6
		.amdhsa_user_sgpr_private_segment_buffer 1
		.amdhsa_user_sgpr_dispatch_ptr 0
		.amdhsa_user_sgpr_queue_ptr 0
		.amdhsa_user_sgpr_kernarg_segment_ptr 1
		.amdhsa_user_sgpr_dispatch_id 0
		.amdhsa_user_sgpr_flat_scratch_init 0
		.amdhsa_user_sgpr_kernarg_preload_length 0
		.amdhsa_user_sgpr_kernarg_preload_offset 0
		.amdhsa_user_sgpr_private_segment_size 0
		.amdhsa_uses_dynamic_stack 0
		.amdhsa_system_sgpr_private_segment_wavefront_offset 0
		.amdhsa_system_sgpr_workgroup_id_x 1
		.amdhsa_system_sgpr_workgroup_id_y 0
		.amdhsa_system_sgpr_workgroup_id_z 0
		.amdhsa_system_sgpr_workgroup_info 0
		.amdhsa_system_vgpr_workitem_id 0
		.amdhsa_next_free_vgpr 1
		.amdhsa_next_free_sgpr 0
		.amdhsa_accum_offset 4
		.amdhsa_reserve_vcc 0
		.amdhsa_reserve_flat_scratch 0
		.amdhsa_float_round_mode_32 0
		.amdhsa_float_round_mode_16_64 0
		.amdhsa_float_denorm_mode_32 3
		.amdhsa_float_denorm_mode_16_64 3
		.amdhsa_dx10_clamp 1
		.amdhsa_ieee_mode 1
		.amdhsa_fp16_overflow 0
		.amdhsa_tg_split 0
		.amdhsa_exception_fp_ieee_invalid_op 0
		.amdhsa_exception_fp_denorm_src 0
		.amdhsa_exception_fp_ieee_div_zero 0
		.amdhsa_exception_fp_ieee_overflow 0
		.amdhsa_exception_fp_ieee_underflow 0
		.amdhsa_exception_fp_ieee_inexact 0
		.amdhsa_exception_int_div_zero 0
	.end_amdhsa_kernel
	.section	.text._ZN7rocprim17ROCPRIM_400000_NS6detail17trampoline_kernelINS0_14default_configENS1_20scan_config_selectorIyEEZZNS1_9scan_implILNS1_25lookback_scan_determinismE0ELb0ELb0ES3_N6thrust23THRUST_200600_302600_NS6detail15normal_iteratorINS9_10device_ptrIyEEEENS9_16discard_iteratorINS9_11use_defaultEEEy11max_functorIyEyEEDaPvRmT3_T4_T5_mT6_P12ihipStream_tbENKUlT_T0_E_clISt17integral_constantIbLb0EESW_IbLb1EEEEDaSS_ST_EUlSS_E0_NS1_11comp_targetILNS1_3genE5ELNS1_11target_archE942ELNS1_3gpuE9ELNS1_3repE0EEENS1_30default_config_static_selectorELNS0_4arch9wavefront6targetE1EEEvT1_,"axG",@progbits,_ZN7rocprim17ROCPRIM_400000_NS6detail17trampoline_kernelINS0_14default_configENS1_20scan_config_selectorIyEEZZNS1_9scan_implILNS1_25lookback_scan_determinismE0ELb0ELb0ES3_N6thrust23THRUST_200600_302600_NS6detail15normal_iteratorINS9_10device_ptrIyEEEENS9_16discard_iteratorINS9_11use_defaultEEEy11max_functorIyEyEEDaPvRmT3_T4_T5_mT6_P12ihipStream_tbENKUlT_T0_E_clISt17integral_constantIbLb0EESW_IbLb1EEEEDaSS_ST_EUlSS_E0_NS1_11comp_targetILNS1_3genE5ELNS1_11target_archE942ELNS1_3gpuE9ELNS1_3repE0EEENS1_30default_config_static_selectorELNS0_4arch9wavefront6targetE1EEEvT1_,comdat
.Lfunc_end3342:
	.size	_ZN7rocprim17ROCPRIM_400000_NS6detail17trampoline_kernelINS0_14default_configENS1_20scan_config_selectorIyEEZZNS1_9scan_implILNS1_25lookback_scan_determinismE0ELb0ELb0ES3_N6thrust23THRUST_200600_302600_NS6detail15normal_iteratorINS9_10device_ptrIyEEEENS9_16discard_iteratorINS9_11use_defaultEEEy11max_functorIyEyEEDaPvRmT3_T4_T5_mT6_P12ihipStream_tbENKUlT_T0_E_clISt17integral_constantIbLb0EESW_IbLb1EEEEDaSS_ST_EUlSS_E0_NS1_11comp_targetILNS1_3genE5ELNS1_11target_archE942ELNS1_3gpuE9ELNS1_3repE0EEENS1_30default_config_static_selectorELNS0_4arch9wavefront6targetE1EEEvT1_, .Lfunc_end3342-_ZN7rocprim17ROCPRIM_400000_NS6detail17trampoline_kernelINS0_14default_configENS1_20scan_config_selectorIyEEZZNS1_9scan_implILNS1_25lookback_scan_determinismE0ELb0ELb0ES3_N6thrust23THRUST_200600_302600_NS6detail15normal_iteratorINS9_10device_ptrIyEEEENS9_16discard_iteratorINS9_11use_defaultEEEy11max_functorIyEyEEDaPvRmT3_T4_T5_mT6_P12ihipStream_tbENKUlT_T0_E_clISt17integral_constantIbLb0EESW_IbLb1EEEEDaSS_ST_EUlSS_E0_NS1_11comp_targetILNS1_3genE5ELNS1_11target_archE942ELNS1_3gpuE9ELNS1_3repE0EEENS1_30default_config_static_selectorELNS0_4arch9wavefront6targetE1EEEvT1_
                                        ; -- End function
	.section	.AMDGPU.csdata,"",@progbits
; Kernel info:
; codeLenInByte = 0
; NumSgprs: 4
; NumVgprs: 0
; NumAgprs: 0
; TotalNumVgprs: 0
; ScratchSize: 0
; MemoryBound: 0
; FloatMode: 240
; IeeeMode: 1
; LDSByteSize: 0 bytes/workgroup (compile time only)
; SGPRBlocks: 0
; VGPRBlocks: 0
; NumSGPRsForWavesPerEU: 4
; NumVGPRsForWavesPerEU: 1
; AccumOffset: 4
; Occupancy: 8
; WaveLimiterHint : 0
; COMPUTE_PGM_RSRC2:SCRATCH_EN: 0
; COMPUTE_PGM_RSRC2:USER_SGPR: 6
; COMPUTE_PGM_RSRC2:TRAP_HANDLER: 0
; COMPUTE_PGM_RSRC2:TGID_X_EN: 1
; COMPUTE_PGM_RSRC2:TGID_Y_EN: 0
; COMPUTE_PGM_RSRC2:TGID_Z_EN: 0
; COMPUTE_PGM_RSRC2:TIDIG_COMP_CNT: 0
; COMPUTE_PGM_RSRC3_GFX90A:ACCUM_OFFSET: 0
; COMPUTE_PGM_RSRC3_GFX90A:TG_SPLIT: 0
	.section	.text._ZN7rocprim17ROCPRIM_400000_NS6detail17trampoline_kernelINS0_14default_configENS1_20scan_config_selectorIyEEZZNS1_9scan_implILNS1_25lookback_scan_determinismE0ELb0ELb0ES3_N6thrust23THRUST_200600_302600_NS6detail15normal_iteratorINS9_10device_ptrIyEEEENS9_16discard_iteratorINS9_11use_defaultEEEy11max_functorIyEyEEDaPvRmT3_T4_T5_mT6_P12ihipStream_tbENKUlT_T0_E_clISt17integral_constantIbLb0EESW_IbLb1EEEEDaSS_ST_EUlSS_E0_NS1_11comp_targetILNS1_3genE4ELNS1_11target_archE910ELNS1_3gpuE8ELNS1_3repE0EEENS1_30default_config_static_selectorELNS0_4arch9wavefront6targetE1EEEvT1_,"axG",@progbits,_ZN7rocprim17ROCPRIM_400000_NS6detail17trampoline_kernelINS0_14default_configENS1_20scan_config_selectorIyEEZZNS1_9scan_implILNS1_25lookback_scan_determinismE0ELb0ELb0ES3_N6thrust23THRUST_200600_302600_NS6detail15normal_iteratorINS9_10device_ptrIyEEEENS9_16discard_iteratorINS9_11use_defaultEEEy11max_functorIyEyEEDaPvRmT3_T4_T5_mT6_P12ihipStream_tbENKUlT_T0_E_clISt17integral_constantIbLb0EESW_IbLb1EEEEDaSS_ST_EUlSS_E0_NS1_11comp_targetILNS1_3genE4ELNS1_11target_archE910ELNS1_3gpuE8ELNS1_3repE0EEENS1_30default_config_static_selectorELNS0_4arch9wavefront6targetE1EEEvT1_,comdat
	.protected	_ZN7rocprim17ROCPRIM_400000_NS6detail17trampoline_kernelINS0_14default_configENS1_20scan_config_selectorIyEEZZNS1_9scan_implILNS1_25lookback_scan_determinismE0ELb0ELb0ES3_N6thrust23THRUST_200600_302600_NS6detail15normal_iteratorINS9_10device_ptrIyEEEENS9_16discard_iteratorINS9_11use_defaultEEEy11max_functorIyEyEEDaPvRmT3_T4_T5_mT6_P12ihipStream_tbENKUlT_T0_E_clISt17integral_constantIbLb0EESW_IbLb1EEEEDaSS_ST_EUlSS_E0_NS1_11comp_targetILNS1_3genE4ELNS1_11target_archE910ELNS1_3gpuE8ELNS1_3repE0EEENS1_30default_config_static_selectorELNS0_4arch9wavefront6targetE1EEEvT1_ ; -- Begin function _ZN7rocprim17ROCPRIM_400000_NS6detail17trampoline_kernelINS0_14default_configENS1_20scan_config_selectorIyEEZZNS1_9scan_implILNS1_25lookback_scan_determinismE0ELb0ELb0ES3_N6thrust23THRUST_200600_302600_NS6detail15normal_iteratorINS9_10device_ptrIyEEEENS9_16discard_iteratorINS9_11use_defaultEEEy11max_functorIyEyEEDaPvRmT3_T4_T5_mT6_P12ihipStream_tbENKUlT_T0_E_clISt17integral_constantIbLb0EESW_IbLb1EEEEDaSS_ST_EUlSS_E0_NS1_11comp_targetILNS1_3genE4ELNS1_11target_archE910ELNS1_3gpuE8ELNS1_3repE0EEENS1_30default_config_static_selectorELNS0_4arch9wavefront6targetE1EEEvT1_
	.globl	_ZN7rocprim17ROCPRIM_400000_NS6detail17trampoline_kernelINS0_14default_configENS1_20scan_config_selectorIyEEZZNS1_9scan_implILNS1_25lookback_scan_determinismE0ELb0ELb0ES3_N6thrust23THRUST_200600_302600_NS6detail15normal_iteratorINS9_10device_ptrIyEEEENS9_16discard_iteratorINS9_11use_defaultEEEy11max_functorIyEyEEDaPvRmT3_T4_T5_mT6_P12ihipStream_tbENKUlT_T0_E_clISt17integral_constantIbLb0EESW_IbLb1EEEEDaSS_ST_EUlSS_E0_NS1_11comp_targetILNS1_3genE4ELNS1_11target_archE910ELNS1_3gpuE8ELNS1_3repE0EEENS1_30default_config_static_selectorELNS0_4arch9wavefront6targetE1EEEvT1_
	.p2align	8
	.type	_ZN7rocprim17ROCPRIM_400000_NS6detail17trampoline_kernelINS0_14default_configENS1_20scan_config_selectorIyEEZZNS1_9scan_implILNS1_25lookback_scan_determinismE0ELb0ELb0ES3_N6thrust23THRUST_200600_302600_NS6detail15normal_iteratorINS9_10device_ptrIyEEEENS9_16discard_iteratorINS9_11use_defaultEEEy11max_functorIyEyEEDaPvRmT3_T4_T5_mT6_P12ihipStream_tbENKUlT_T0_E_clISt17integral_constantIbLb0EESW_IbLb1EEEEDaSS_ST_EUlSS_E0_NS1_11comp_targetILNS1_3genE4ELNS1_11target_archE910ELNS1_3gpuE8ELNS1_3repE0EEENS1_30default_config_static_selectorELNS0_4arch9wavefront6targetE1EEEvT1_,@function
_ZN7rocprim17ROCPRIM_400000_NS6detail17trampoline_kernelINS0_14default_configENS1_20scan_config_selectorIyEEZZNS1_9scan_implILNS1_25lookback_scan_determinismE0ELb0ELb0ES3_N6thrust23THRUST_200600_302600_NS6detail15normal_iteratorINS9_10device_ptrIyEEEENS9_16discard_iteratorINS9_11use_defaultEEEy11max_functorIyEyEEDaPvRmT3_T4_T5_mT6_P12ihipStream_tbENKUlT_T0_E_clISt17integral_constantIbLb0EESW_IbLb1EEEEDaSS_ST_EUlSS_E0_NS1_11comp_targetILNS1_3genE4ELNS1_11target_archE910ELNS1_3gpuE8ELNS1_3repE0EEENS1_30default_config_static_selectorELNS0_4arch9wavefront6targetE1EEEvT1_: ; @_ZN7rocprim17ROCPRIM_400000_NS6detail17trampoline_kernelINS0_14default_configENS1_20scan_config_selectorIyEEZZNS1_9scan_implILNS1_25lookback_scan_determinismE0ELb0ELb0ES3_N6thrust23THRUST_200600_302600_NS6detail15normal_iteratorINS9_10device_ptrIyEEEENS9_16discard_iteratorINS9_11use_defaultEEEy11max_functorIyEyEEDaPvRmT3_T4_T5_mT6_P12ihipStream_tbENKUlT_T0_E_clISt17integral_constantIbLb0EESW_IbLb1EEEEDaSS_ST_EUlSS_E0_NS1_11comp_targetILNS1_3genE4ELNS1_11target_archE910ELNS1_3gpuE8ELNS1_3repE0EEENS1_30default_config_static_selectorELNS0_4arch9wavefront6targetE1EEEvT1_
; %bb.0:
	s_load_dwordx4 s[0:3], s[4:5], 0x0
	v_lshlrev_b32_e32 v1, 3, v0
	s_waitcnt lgkmcnt(0)
	s_load_dwordx2 s[4:5], s[0:1], 0x0
	v_cmp_gt_u32_e32 vcc, s2, v0
	s_waitcnt lgkmcnt(0)
	v_pk_mov_b32 v[2:3], s[4:5], s[4:5] op_sel:[0,1]
	s_and_saveexec_b64 s[6:7], vcc
	s_cbranch_execz .LBB3343_2
; %bb.1:
	global_load_dwordx2 v[2:3], v1, s[0:1]
.LBB3343_2:
	s_or_b64 exec, exec, s[6:7]
	v_or_b32_e32 v4, 0x80, v0
	v_cmp_gt_u32_e32 vcc, s2, v4
	v_pk_mov_b32 v[4:5], s[4:5], s[4:5] op_sel:[0,1]
	s_and_saveexec_b64 s[6:7], vcc
	s_cbranch_execz .LBB3343_4
; %bb.3:
	global_load_dwordx2 v[4:5], v1, s[0:1] offset:1024
.LBB3343_4:
	s_or_b64 exec, exec, s[6:7]
	v_or_b32_e32 v6, 0x100, v0
	v_cmp_gt_u32_e32 vcc, s2, v6
	v_pk_mov_b32 v[6:7], s[4:5], s[4:5] op_sel:[0,1]
	s_and_saveexec_b64 s[6:7], vcc
	s_cbranch_execz .LBB3343_6
; %bb.5:
	global_load_dwordx2 v[6:7], v1, s[0:1] offset:2048
.LBB3343_6:
	;; [unrolled: 9-line block ×3, first 2 shown]
	s_or_b64 exec, exec, s[6:7]
	v_or_b32_e32 v12, 0x200, v0
	v_cmp_gt_u32_e32 vcc, s2, v12
	v_pk_mov_b32 v[10:11], s[4:5], s[4:5] op_sel:[0,1]
	s_and_saveexec_b64 s[6:7], vcc
	s_cbranch_execz .LBB3343_10
; %bb.9:
	v_lshlrev_b32_e32 v10, 3, v12
	global_load_dwordx2 v[10:11], v10, s[0:1]
.LBB3343_10:
	s_or_b64 exec, exec, s[6:7]
	v_or_b32_e32 v14, 0x280, v0
	v_cmp_gt_u32_e32 vcc, s2, v14
	v_pk_mov_b32 v[12:13], s[4:5], s[4:5] op_sel:[0,1]
	s_and_saveexec_b64 s[6:7], vcc
	s_cbranch_execz .LBB3343_12
; %bb.11:
	v_lshlrev_b32_e32 v12, 3, v14
	global_load_dwordx2 v[12:13], v12, s[0:1]
.LBB3343_12:
	;; [unrolled: 10-line block ×3, first 2 shown]
	s_or_b64 exec, exec, s[2:3]
	s_waitcnt vmcnt(0)
	ds_write2st64_b64 v1, v[2:3], v[4:5] offset1:2
	ds_write2st64_b64 v1, v[6:7], v[8:9] offset0:4 offset1:6
	ds_write2st64_b64 v1, v[10:11], v[12:13] offset0:8 offset1:10
	ds_write_b64 v1, v[14:15] offset:6144
	v_mad_u32_u24 v14, v0, 48, v1
	s_waitcnt lgkmcnt(0)
	s_barrier
	ds_read2_b64 v[2:5], v14 offset1:1
	ds_read2_b64 v[10:13], v14 offset0:2 offset1:3
	ds_read2_b64 v[6:9], v14 offset0:4 offset1:5
	ds_read_b64 v[26:27], v14 offset:48
	v_lshrrev_b32_e32 v14, 2, v0
	s_waitcnt lgkmcnt(3)
	v_cmp_gt_u64_e32 vcc, v[2:3], v[4:5]
	v_cndmask_b32_e32 v19, v5, v3, vcc
	v_cndmask_b32_e32 v18, v4, v2, vcc
	s_waitcnt lgkmcnt(2)
	v_cmp_gt_u64_e32 vcc, v[18:19], v[10:11]
	v_cndmask_b32_e32 v21, v11, v19, vcc
	v_cndmask_b32_e32 v20, v10, v18, vcc
	v_cmp_gt_u64_e32 vcc, v[20:21], v[12:13]
	v_cndmask_b32_e32 v23, v13, v21, vcc
	v_cndmask_b32_e32 v22, v12, v20, vcc
	s_waitcnt lgkmcnt(1)
	v_cmp_gt_u64_e32 vcc, v[22:23], v[6:7]
	v_cndmask_b32_e32 v25, v7, v23, vcc
	v_cndmask_b32_e32 v24, v6, v22, vcc
	v_cmp_gt_u64_e32 vcc, v[24:25], v[8:9]
	v_cndmask_b32_e32 v29, v9, v25, vcc
	v_cndmask_b32_e32 v28, v8, v24, vcc
	s_waitcnt lgkmcnt(0)
	v_cmp_gt_u64_e32 vcc, v[28:29], v[26:27]
	v_and_b32_e32 v14, 24, v14
	v_cndmask_b32_e32 v31, v27, v29, vcc
	v_cndmask_b32_e32 v30, v26, v28, vcc
	v_add_u32_e32 v14, v1, v14
	v_cmp_gt_u32_e32 vcc, 64, v0
	s_barrier
	ds_write_b64 v14, v[30:31]
	s_waitcnt lgkmcnt(0)
	s_barrier
	s_and_saveexec_b64 s[2:3], vcc
	s_cbranch_execz .LBB3343_18
; %bb.15:
	v_lshlrev_b32_e32 v14, 1, v0
	v_lshrrev_b32_e32 v15, 4, v0
	v_add_lshl_u32 v36, v15, v14, 3
	ds_read2_b64 v[14:17], v36 offset1:1
	v_mbcnt_lo_u32_b32 v32, -1, 0
	v_mbcnt_hi_u32_b32 v37, -1, v32
	v_and_b32_e32 v38, 15, v37
	v_and_b32_e32 v40, 16, v37
	s_waitcnt lgkmcnt(0)
	v_cmp_gt_u64_e32 vcc, v[14:15], v[16:17]
	v_cndmask_b32_e32 v17, v17, v15, vcc
	v_cndmask_b32_e32 v16, v16, v14, vcc
	v_cmp_ne_u32_e64 s[0:1], 0, v37
	v_mov_b32_dpp v33, v17 row_shr:1 row_mask:0xf bank_mask:0xf
	v_mov_b32_dpp v32, v16 row_shr:1 row_mask:0xf bank_mask:0xf
	v_cmp_gt_u64_e32 vcc, v[32:33], v[16:17]
	v_cndmask_b32_e32 v32, v16, v32, vcc
	v_cndmask_b32_e32 v33, v17, v33, vcc
	v_cmp_eq_u32_e32 vcc, 0, v38
	v_cndmask_b32_e32 v33, v33, v17, vcc
	v_cndmask_b32_e32 v32, v32, v16, vcc
	s_nop 0
	v_mov_b32_dpp v35, v33 row_shr:2 row_mask:0xf bank_mask:0xf
	v_mov_b32_dpp v34, v32 row_shr:2 row_mask:0xf bank_mask:0xf
	v_cmp_gt_u64_e32 vcc, v[34:35], v[32:33]
	v_cndmask_b32_e32 v34, v32, v34, vcc
	v_cndmask_b32_e32 v35, v33, v35, vcc
	v_cmp_lt_u32_e32 vcc, 1, v38
	v_cndmask_b32_e32 v33, v33, v35, vcc
	v_cndmask_b32_e32 v32, v32, v34, vcc
	s_nop 0
	v_mov_b32_dpp v35, v33 row_shr:4 row_mask:0xf bank_mask:0xf
	v_mov_b32_dpp v34, v32 row_shr:4 row_mask:0xf bank_mask:0xf
	v_cmp_gt_u64_e32 vcc, v[34:35], v[32:33]
	v_cndmask_b32_e32 v34, v32, v34, vcc
	v_cndmask_b32_e32 v35, v33, v35, vcc
	v_cmp_lt_u32_e32 vcc, 3, v38
	;; [unrolled: 9-line block ×3, first 2 shown]
	v_cndmask_b32_e32 v33, v33, v35, vcc
	v_cndmask_b32_e32 v32, v32, v34, vcc
	s_nop 0
	v_mov_b32_dpp v35, v33 row_bcast:15 row_mask:0xf bank_mask:0xf
	v_mov_b32_dpp v34, v32 row_bcast:15 row_mask:0xf bank_mask:0xf
	v_cmp_gt_u64_e32 vcc, v[34:35], v[32:33]
	v_cndmask_b32_e32 v38, v33, v35, vcc
	v_cndmask_b32_e32 v39, v32, v34, vcc
	v_cmp_eq_u32_e32 vcc, 0, v40
	v_cndmask_b32_e32 v35, v38, v33, vcc
	v_cndmask_b32_e32 v34, v39, v32, vcc
	s_nop 0
	v_mov_b32_dpp v35, v35 row_bcast:31 row_mask:0xf bank_mask:0xf
	v_mov_b32_dpp v34, v34 row_bcast:31 row_mask:0xf bank_mask:0xf
	s_and_saveexec_b64 s[4:5], s[0:1]
; %bb.16:
	v_cndmask_b32_e32 v17, v38, v33, vcc
	v_cndmask_b32_e32 v16, v39, v32, vcc
	v_cmp_lt_u32_e64 s[0:1], 31, v37
	v_cmp_gt_u64_e32 vcc, v[34:35], v[16:17]
	s_and_b64 vcc, s[0:1], vcc
	v_cndmask_b32_e32 v16, v16, v34, vcc
	v_cndmask_b32_e32 v17, v17, v35, vcc
; %bb.17:
	s_or_b64 exec, exec, s[4:5]
	v_add_u32_e32 v32, -1, v37
	v_and_b32_e32 v33, 64, v37
	v_cmp_lt_i32_e32 vcc, v32, v33
	v_cndmask_b32_e32 v32, v32, v37, vcc
	v_lshlrev_b32_e32 v32, 2, v32
	ds_bpermute_b32 v16, v32, v16
	ds_bpermute_b32 v17, v32, v17
	; wave barrier
	s_waitcnt lgkmcnt(0)
	v_cmp_gt_u64_e32 vcc, v[16:17], v[14:15]
	v_cndmask_b32_e32 v14, v14, v16, vcc
	v_cndmask_b32_e32 v15, v15, v17, vcc
	v_cmp_eq_u32_e32 vcc, 0, v0
	v_cndmask_b32_e32 v15, v15, v31, vcc
	v_cndmask_b32_e32 v14, v14, v30, vcc
	ds_write_b64 v36, v[14:15]
	; wave barrier
	ds_read_b64 v[16:17], v36 offset:8
	s_waitcnt lgkmcnt(0)
	v_cmp_gt_u64_e32 vcc, v[14:15], v[16:17]
	v_cndmask_b32_e32 v15, v17, v15, vcc
	v_cndmask_b32_e32 v14, v16, v14, vcc
	ds_write_b64 v36, v[14:15] offset:8
.LBB3343_18:
	s_or_b64 exec, exec, s[2:3]
	v_mul_u32_u24_e32 v16, 48, v0
	v_cmp_ne_u32_e32 vcc, 0, v0
	v_pk_mov_b32 v[14:15], v[30:31], v[30:31] op_sel:[0,1]
	s_waitcnt lgkmcnt(0)
	s_barrier
	s_and_saveexec_b64 s[0:1], vcc
	s_cbranch_execz .LBB3343_20
; %bb.19:
	v_add_u32_e32 v0, -1, v0
	v_lshrrev_b32_e32 v14, 5, v0
	v_add_lshl_u32 v0, v14, v0, 3
	ds_read_b64 v[14:15], v0
.LBB3343_20:
	s_or_b64 exec, exec, s[0:1]
	s_and_saveexec_b64 s[0:1], vcc
	s_cbranch_execz .LBB3343_22
; %bb.21:
	s_waitcnt lgkmcnt(0)
	v_cmp_gt_u64_e32 vcc, v[14:15], v[2:3]
	v_cndmask_b32_e32 v3, v3, v15, vcc
	v_cndmask_b32_e32 v2, v2, v14, vcc
	v_cmp_gt_u64_e32 vcc, v[2:3], v[4:5]
	v_cndmask_b32_e32 v19, v5, v3, vcc
	v_cndmask_b32_e32 v18, v4, v2, vcc
	;; [unrolled: 3-line block ×7, first 2 shown]
	;;#ASMSTART
	;;#ASMEND
.LBB3343_22:
	s_or_b64 exec, exec, s[0:1]
	v_add_u32_e32 v0, v1, v16
	s_waitcnt lgkmcnt(0)
	s_barrier
	ds_write2_b64 v0, v[2:3], v[18:19] offset1:1
	ds_write2_b64 v0, v[20:21], v[22:23] offset0:2 offset1:3
	ds_write2_b64 v0, v[24:25], v[28:29] offset0:4 offset1:5
	ds_write_b64 v0, v[30:31] offset:48
	s_waitcnt lgkmcnt(0)
	s_barrier
	s_endpgm
	.section	.rodata,"a",@progbits
	.p2align	6, 0x0
	.amdhsa_kernel _ZN7rocprim17ROCPRIM_400000_NS6detail17trampoline_kernelINS0_14default_configENS1_20scan_config_selectorIyEEZZNS1_9scan_implILNS1_25lookback_scan_determinismE0ELb0ELb0ES3_N6thrust23THRUST_200600_302600_NS6detail15normal_iteratorINS9_10device_ptrIyEEEENS9_16discard_iteratorINS9_11use_defaultEEEy11max_functorIyEyEEDaPvRmT3_T4_T5_mT6_P12ihipStream_tbENKUlT_T0_E_clISt17integral_constantIbLb0EESW_IbLb1EEEEDaSS_ST_EUlSS_E0_NS1_11comp_targetILNS1_3genE4ELNS1_11target_archE910ELNS1_3gpuE8ELNS1_3repE0EEENS1_30default_config_static_selectorELNS0_4arch9wavefront6targetE1EEEvT1_
		.amdhsa_group_segment_fixed_size 7168
		.amdhsa_private_segment_fixed_size 0
		.amdhsa_kernarg_size 48
		.amdhsa_user_sgpr_count 6
		.amdhsa_user_sgpr_private_segment_buffer 1
		.amdhsa_user_sgpr_dispatch_ptr 0
		.amdhsa_user_sgpr_queue_ptr 0
		.amdhsa_user_sgpr_kernarg_segment_ptr 1
		.amdhsa_user_sgpr_dispatch_id 0
		.amdhsa_user_sgpr_flat_scratch_init 0
		.amdhsa_user_sgpr_kernarg_preload_length 0
		.amdhsa_user_sgpr_kernarg_preload_offset 0
		.amdhsa_user_sgpr_private_segment_size 0
		.amdhsa_uses_dynamic_stack 0
		.amdhsa_system_sgpr_private_segment_wavefront_offset 0
		.amdhsa_system_sgpr_workgroup_id_x 1
		.amdhsa_system_sgpr_workgroup_id_y 0
		.amdhsa_system_sgpr_workgroup_id_z 0
		.amdhsa_system_sgpr_workgroup_info 0
		.amdhsa_system_vgpr_workitem_id 0
		.amdhsa_next_free_vgpr 41
		.amdhsa_next_free_sgpr 8
		.amdhsa_accum_offset 44
		.amdhsa_reserve_vcc 1
		.amdhsa_reserve_flat_scratch 0
		.amdhsa_float_round_mode_32 0
		.amdhsa_float_round_mode_16_64 0
		.amdhsa_float_denorm_mode_32 3
		.amdhsa_float_denorm_mode_16_64 3
		.amdhsa_dx10_clamp 1
		.amdhsa_ieee_mode 1
		.amdhsa_fp16_overflow 0
		.amdhsa_tg_split 0
		.amdhsa_exception_fp_ieee_invalid_op 0
		.amdhsa_exception_fp_denorm_src 0
		.amdhsa_exception_fp_ieee_div_zero 0
		.amdhsa_exception_fp_ieee_overflow 0
		.amdhsa_exception_fp_ieee_underflow 0
		.amdhsa_exception_fp_ieee_inexact 0
		.amdhsa_exception_int_div_zero 0
	.end_amdhsa_kernel
	.section	.text._ZN7rocprim17ROCPRIM_400000_NS6detail17trampoline_kernelINS0_14default_configENS1_20scan_config_selectorIyEEZZNS1_9scan_implILNS1_25lookback_scan_determinismE0ELb0ELb0ES3_N6thrust23THRUST_200600_302600_NS6detail15normal_iteratorINS9_10device_ptrIyEEEENS9_16discard_iteratorINS9_11use_defaultEEEy11max_functorIyEyEEDaPvRmT3_T4_T5_mT6_P12ihipStream_tbENKUlT_T0_E_clISt17integral_constantIbLb0EESW_IbLb1EEEEDaSS_ST_EUlSS_E0_NS1_11comp_targetILNS1_3genE4ELNS1_11target_archE910ELNS1_3gpuE8ELNS1_3repE0EEENS1_30default_config_static_selectorELNS0_4arch9wavefront6targetE1EEEvT1_,"axG",@progbits,_ZN7rocprim17ROCPRIM_400000_NS6detail17trampoline_kernelINS0_14default_configENS1_20scan_config_selectorIyEEZZNS1_9scan_implILNS1_25lookback_scan_determinismE0ELb0ELb0ES3_N6thrust23THRUST_200600_302600_NS6detail15normal_iteratorINS9_10device_ptrIyEEEENS9_16discard_iteratorINS9_11use_defaultEEEy11max_functorIyEyEEDaPvRmT3_T4_T5_mT6_P12ihipStream_tbENKUlT_T0_E_clISt17integral_constantIbLb0EESW_IbLb1EEEEDaSS_ST_EUlSS_E0_NS1_11comp_targetILNS1_3genE4ELNS1_11target_archE910ELNS1_3gpuE8ELNS1_3repE0EEENS1_30default_config_static_selectorELNS0_4arch9wavefront6targetE1EEEvT1_,comdat
.Lfunc_end3343:
	.size	_ZN7rocprim17ROCPRIM_400000_NS6detail17trampoline_kernelINS0_14default_configENS1_20scan_config_selectorIyEEZZNS1_9scan_implILNS1_25lookback_scan_determinismE0ELb0ELb0ES3_N6thrust23THRUST_200600_302600_NS6detail15normal_iteratorINS9_10device_ptrIyEEEENS9_16discard_iteratorINS9_11use_defaultEEEy11max_functorIyEyEEDaPvRmT3_T4_T5_mT6_P12ihipStream_tbENKUlT_T0_E_clISt17integral_constantIbLb0EESW_IbLb1EEEEDaSS_ST_EUlSS_E0_NS1_11comp_targetILNS1_3genE4ELNS1_11target_archE910ELNS1_3gpuE8ELNS1_3repE0EEENS1_30default_config_static_selectorELNS0_4arch9wavefront6targetE1EEEvT1_, .Lfunc_end3343-_ZN7rocprim17ROCPRIM_400000_NS6detail17trampoline_kernelINS0_14default_configENS1_20scan_config_selectorIyEEZZNS1_9scan_implILNS1_25lookback_scan_determinismE0ELb0ELb0ES3_N6thrust23THRUST_200600_302600_NS6detail15normal_iteratorINS9_10device_ptrIyEEEENS9_16discard_iteratorINS9_11use_defaultEEEy11max_functorIyEyEEDaPvRmT3_T4_T5_mT6_P12ihipStream_tbENKUlT_T0_E_clISt17integral_constantIbLb0EESW_IbLb1EEEEDaSS_ST_EUlSS_E0_NS1_11comp_targetILNS1_3genE4ELNS1_11target_archE910ELNS1_3gpuE8ELNS1_3repE0EEENS1_30default_config_static_selectorELNS0_4arch9wavefront6targetE1EEEvT1_
                                        ; -- End function
	.section	.AMDGPU.csdata,"",@progbits
; Kernel info:
; codeLenInByte = 1200
; NumSgprs: 12
; NumVgprs: 41
; NumAgprs: 0
; TotalNumVgprs: 41
; ScratchSize: 0
; MemoryBound: 0
; FloatMode: 240
; IeeeMode: 1
; LDSByteSize: 7168 bytes/workgroup (compile time only)
; SGPRBlocks: 1
; VGPRBlocks: 5
; NumSGPRsForWavesPerEU: 12
; NumVGPRsForWavesPerEU: 41
; AccumOffset: 44
; Occupancy: 5
; WaveLimiterHint : 0
; COMPUTE_PGM_RSRC2:SCRATCH_EN: 0
; COMPUTE_PGM_RSRC2:USER_SGPR: 6
; COMPUTE_PGM_RSRC2:TRAP_HANDLER: 0
; COMPUTE_PGM_RSRC2:TGID_X_EN: 1
; COMPUTE_PGM_RSRC2:TGID_Y_EN: 0
; COMPUTE_PGM_RSRC2:TGID_Z_EN: 0
; COMPUTE_PGM_RSRC2:TIDIG_COMP_CNT: 0
; COMPUTE_PGM_RSRC3_GFX90A:ACCUM_OFFSET: 10
; COMPUTE_PGM_RSRC3_GFX90A:TG_SPLIT: 0
	.section	.text._ZN7rocprim17ROCPRIM_400000_NS6detail17trampoline_kernelINS0_14default_configENS1_20scan_config_selectorIyEEZZNS1_9scan_implILNS1_25lookback_scan_determinismE0ELb0ELb0ES3_N6thrust23THRUST_200600_302600_NS6detail15normal_iteratorINS9_10device_ptrIyEEEENS9_16discard_iteratorINS9_11use_defaultEEEy11max_functorIyEyEEDaPvRmT3_T4_T5_mT6_P12ihipStream_tbENKUlT_T0_E_clISt17integral_constantIbLb0EESW_IbLb1EEEEDaSS_ST_EUlSS_E0_NS1_11comp_targetILNS1_3genE3ELNS1_11target_archE908ELNS1_3gpuE7ELNS1_3repE0EEENS1_30default_config_static_selectorELNS0_4arch9wavefront6targetE1EEEvT1_,"axG",@progbits,_ZN7rocprim17ROCPRIM_400000_NS6detail17trampoline_kernelINS0_14default_configENS1_20scan_config_selectorIyEEZZNS1_9scan_implILNS1_25lookback_scan_determinismE0ELb0ELb0ES3_N6thrust23THRUST_200600_302600_NS6detail15normal_iteratorINS9_10device_ptrIyEEEENS9_16discard_iteratorINS9_11use_defaultEEEy11max_functorIyEyEEDaPvRmT3_T4_T5_mT6_P12ihipStream_tbENKUlT_T0_E_clISt17integral_constantIbLb0EESW_IbLb1EEEEDaSS_ST_EUlSS_E0_NS1_11comp_targetILNS1_3genE3ELNS1_11target_archE908ELNS1_3gpuE7ELNS1_3repE0EEENS1_30default_config_static_selectorELNS0_4arch9wavefront6targetE1EEEvT1_,comdat
	.protected	_ZN7rocprim17ROCPRIM_400000_NS6detail17trampoline_kernelINS0_14default_configENS1_20scan_config_selectorIyEEZZNS1_9scan_implILNS1_25lookback_scan_determinismE0ELb0ELb0ES3_N6thrust23THRUST_200600_302600_NS6detail15normal_iteratorINS9_10device_ptrIyEEEENS9_16discard_iteratorINS9_11use_defaultEEEy11max_functorIyEyEEDaPvRmT3_T4_T5_mT6_P12ihipStream_tbENKUlT_T0_E_clISt17integral_constantIbLb0EESW_IbLb1EEEEDaSS_ST_EUlSS_E0_NS1_11comp_targetILNS1_3genE3ELNS1_11target_archE908ELNS1_3gpuE7ELNS1_3repE0EEENS1_30default_config_static_selectorELNS0_4arch9wavefront6targetE1EEEvT1_ ; -- Begin function _ZN7rocprim17ROCPRIM_400000_NS6detail17trampoline_kernelINS0_14default_configENS1_20scan_config_selectorIyEEZZNS1_9scan_implILNS1_25lookback_scan_determinismE0ELb0ELb0ES3_N6thrust23THRUST_200600_302600_NS6detail15normal_iteratorINS9_10device_ptrIyEEEENS9_16discard_iteratorINS9_11use_defaultEEEy11max_functorIyEyEEDaPvRmT3_T4_T5_mT6_P12ihipStream_tbENKUlT_T0_E_clISt17integral_constantIbLb0EESW_IbLb1EEEEDaSS_ST_EUlSS_E0_NS1_11comp_targetILNS1_3genE3ELNS1_11target_archE908ELNS1_3gpuE7ELNS1_3repE0EEENS1_30default_config_static_selectorELNS0_4arch9wavefront6targetE1EEEvT1_
	.globl	_ZN7rocprim17ROCPRIM_400000_NS6detail17trampoline_kernelINS0_14default_configENS1_20scan_config_selectorIyEEZZNS1_9scan_implILNS1_25lookback_scan_determinismE0ELb0ELb0ES3_N6thrust23THRUST_200600_302600_NS6detail15normal_iteratorINS9_10device_ptrIyEEEENS9_16discard_iteratorINS9_11use_defaultEEEy11max_functorIyEyEEDaPvRmT3_T4_T5_mT6_P12ihipStream_tbENKUlT_T0_E_clISt17integral_constantIbLb0EESW_IbLb1EEEEDaSS_ST_EUlSS_E0_NS1_11comp_targetILNS1_3genE3ELNS1_11target_archE908ELNS1_3gpuE7ELNS1_3repE0EEENS1_30default_config_static_selectorELNS0_4arch9wavefront6targetE1EEEvT1_
	.p2align	8
	.type	_ZN7rocprim17ROCPRIM_400000_NS6detail17trampoline_kernelINS0_14default_configENS1_20scan_config_selectorIyEEZZNS1_9scan_implILNS1_25lookback_scan_determinismE0ELb0ELb0ES3_N6thrust23THRUST_200600_302600_NS6detail15normal_iteratorINS9_10device_ptrIyEEEENS9_16discard_iteratorINS9_11use_defaultEEEy11max_functorIyEyEEDaPvRmT3_T4_T5_mT6_P12ihipStream_tbENKUlT_T0_E_clISt17integral_constantIbLb0EESW_IbLb1EEEEDaSS_ST_EUlSS_E0_NS1_11comp_targetILNS1_3genE3ELNS1_11target_archE908ELNS1_3gpuE7ELNS1_3repE0EEENS1_30default_config_static_selectorELNS0_4arch9wavefront6targetE1EEEvT1_,@function
_ZN7rocprim17ROCPRIM_400000_NS6detail17trampoline_kernelINS0_14default_configENS1_20scan_config_selectorIyEEZZNS1_9scan_implILNS1_25lookback_scan_determinismE0ELb0ELb0ES3_N6thrust23THRUST_200600_302600_NS6detail15normal_iteratorINS9_10device_ptrIyEEEENS9_16discard_iteratorINS9_11use_defaultEEEy11max_functorIyEyEEDaPvRmT3_T4_T5_mT6_P12ihipStream_tbENKUlT_T0_E_clISt17integral_constantIbLb0EESW_IbLb1EEEEDaSS_ST_EUlSS_E0_NS1_11comp_targetILNS1_3genE3ELNS1_11target_archE908ELNS1_3gpuE7ELNS1_3repE0EEENS1_30default_config_static_selectorELNS0_4arch9wavefront6targetE1EEEvT1_: ; @_ZN7rocprim17ROCPRIM_400000_NS6detail17trampoline_kernelINS0_14default_configENS1_20scan_config_selectorIyEEZZNS1_9scan_implILNS1_25lookback_scan_determinismE0ELb0ELb0ES3_N6thrust23THRUST_200600_302600_NS6detail15normal_iteratorINS9_10device_ptrIyEEEENS9_16discard_iteratorINS9_11use_defaultEEEy11max_functorIyEyEEDaPvRmT3_T4_T5_mT6_P12ihipStream_tbENKUlT_T0_E_clISt17integral_constantIbLb0EESW_IbLb1EEEEDaSS_ST_EUlSS_E0_NS1_11comp_targetILNS1_3genE3ELNS1_11target_archE908ELNS1_3gpuE7ELNS1_3repE0EEENS1_30default_config_static_selectorELNS0_4arch9wavefront6targetE1EEEvT1_
; %bb.0:
	.section	.rodata,"a",@progbits
	.p2align	6, 0x0
	.amdhsa_kernel _ZN7rocprim17ROCPRIM_400000_NS6detail17trampoline_kernelINS0_14default_configENS1_20scan_config_selectorIyEEZZNS1_9scan_implILNS1_25lookback_scan_determinismE0ELb0ELb0ES3_N6thrust23THRUST_200600_302600_NS6detail15normal_iteratorINS9_10device_ptrIyEEEENS9_16discard_iteratorINS9_11use_defaultEEEy11max_functorIyEyEEDaPvRmT3_T4_T5_mT6_P12ihipStream_tbENKUlT_T0_E_clISt17integral_constantIbLb0EESW_IbLb1EEEEDaSS_ST_EUlSS_E0_NS1_11comp_targetILNS1_3genE3ELNS1_11target_archE908ELNS1_3gpuE7ELNS1_3repE0EEENS1_30default_config_static_selectorELNS0_4arch9wavefront6targetE1EEEvT1_
		.amdhsa_group_segment_fixed_size 0
		.amdhsa_private_segment_fixed_size 0
		.amdhsa_kernarg_size 48
		.amdhsa_user_sgpr_count 6
		.amdhsa_user_sgpr_private_segment_buffer 1
		.amdhsa_user_sgpr_dispatch_ptr 0
		.amdhsa_user_sgpr_queue_ptr 0
		.amdhsa_user_sgpr_kernarg_segment_ptr 1
		.amdhsa_user_sgpr_dispatch_id 0
		.amdhsa_user_sgpr_flat_scratch_init 0
		.amdhsa_user_sgpr_kernarg_preload_length 0
		.amdhsa_user_sgpr_kernarg_preload_offset 0
		.amdhsa_user_sgpr_private_segment_size 0
		.amdhsa_uses_dynamic_stack 0
		.amdhsa_system_sgpr_private_segment_wavefront_offset 0
		.amdhsa_system_sgpr_workgroup_id_x 1
		.amdhsa_system_sgpr_workgroup_id_y 0
		.amdhsa_system_sgpr_workgroup_id_z 0
		.amdhsa_system_sgpr_workgroup_info 0
		.amdhsa_system_vgpr_workitem_id 0
		.amdhsa_next_free_vgpr 1
		.amdhsa_next_free_sgpr 0
		.amdhsa_accum_offset 4
		.amdhsa_reserve_vcc 0
		.amdhsa_reserve_flat_scratch 0
		.amdhsa_float_round_mode_32 0
		.amdhsa_float_round_mode_16_64 0
		.amdhsa_float_denorm_mode_32 3
		.amdhsa_float_denorm_mode_16_64 3
		.amdhsa_dx10_clamp 1
		.amdhsa_ieee_mode 1
		.amdhsa_fp16_overflow 0
		.amdhsa_tg_split 0
		.amdhsa_exception_fp_ieee_invalid_op 0
		.amdhsa_exception_fp_denorm_src 0
		.amdhsa_exception_fp_ieee_div_zero 0
		.amdhsa_exception_fp_ieee_overflow 0
		.amdhsa_exception_fp_ieee_underflow 0
		.amdhsa_exception_fp_ieee_inexact 0
		.amdhsa_exception_int_div_zero 0
	.end_amdhsa_kernel
	.section	.text._ZN7rocprim17ROCPRIM_400000_NS6detail17trampoline_kernelINS0_14default_configENS1_20scan_config_selectorIyEEZZNS1_9scan_implILNS1_25lookback_scan_determinismE0ELb0ELb0ES3_N6thrust23THRUST_200600_302600_NS6detail15normal_iteratorINS9_10device_ptrIyEEEENS9_16discard_iteratorINS9_11use_defaultEEEy11max_functorIyEyEEDaPvRmT3_T4_T5_mT6_P12ihipStream_tbENKUlT_T0_E_clISt17integral_constantIbLb0EESW_IbLb1EEEEDaSS_ST_EUlSS_E0_NS1_11comp_targetILNS1_3genE3ELNS1_11target_archE908ELNS1_3gpuE7ELNS1_3repE0EEENS1_30default_config_static_selectorELNS0_4arch9wavefront6targetE1EEEvT1_,"axG",@progbits,_ZN7rocprim17ROCPRIM_400000_NS6detail17trampoline_kernelINS0_14default_configENS1_20scan_config_selectorIyEEZZNS1_9scan_implILNS1_25lookback_scan_determinismE0ELb0ELb0ES3_N6thrust23THRUST_200600_302600_NS6detail15normal_iteratorINS9_10device_ptrIyEEEENS9_16discard_iteratorINS9_11use_defaultEEEy11max_functorIyEyEEDaPvRmT3_T4_T5_mT6_P12ihipStream_tbENKUlT_T0_E_clISt17integral_constantIbLb0EESW_IbLb1EEEEDaSS_ST_EUlSS_E0_NS1_11comp_targetILNS1_3genE3ELNS1_11target_archE908ELNS1_3gpuE7ELNS1_3repE0EEENS1_30default_config_static_selectorELNS0_4arch9wavefront6targetE1EEEvT1_,comdat
.Lfunc_end3344:
	.size	_ZN7rocprim17ROCPRIM_400000_NS6detail17trampoline_kernelINS0_14default_configENS1_20scan_config_selectorIyEEZZNS1_9scan_implILNS1_25lookback_scan_determinismE0ELb0ELb0ES3_N6thrust23THRUST_200600_302600_NS6detail15normal_iteratorINS9_10device_ptrIyEEEENS9_16discard_iteratorINS9_11use_defaultEEEy11max_functorIyEyEEDaPvRmT3_T4_T5_mT6_P12ihipStream_tbENKUlT_T0_E_clISt17integral_constantIbLb0EESW_IbLb1EEEEDaSS_ST_EUlSS_E0_NS1_11comp_targetILNS1_3genE3ELNS1_11target_archE908ELNS1_3gpuE7ELNS1_3repE0EEENS1_30default_config_static_selectorELNS0_4arch9wavefront6targetE1EEEvT1_, .Lfunc_end3344-_ZN7rocprim17ROCPRIM_400000_NS6detail17trampoline_kernelINS0_14default_configENS1_20scan_config_selectorIyEEZZNS1_9scan_implILNS1_25lookback_scan_determinismE0ELb0ELb0ES3_N6thrust23THRUST_200600_302600_NS6detail15normal_iteratorINS9_10device_ptrIyEEEENS9_16discard_iteratorINS9_11use_defaultEEEy11max_functorIyEyEEDaPvRmT3_T4_T5_mT6_P12ihipStream_tbENKUlT_T0_E_clISt17integral_constantIbLb0EESW_IbLb1EEEEDaSS_ST_EUlSS_E0_NS1_11comp_targetILNS1_3genE3ELNS1_11target_archE908ELNS1_3gpuE7ELNS1_3repE0EEENS1_30default_config_static_selectorELNS0_4arch9wavefront6targetE1EEEvT1_
                                        ; -- End function
	.section	.AMDGPU.csdata,"",@progbits
; Kernel info:
; codeLenInByte = 0
; NumSgprs: 4
; NumVgprs: 0
; NumAgprs: 0
; TotalNumVgprs: 0
; ScratchSize: 0
; MemoryBound: 0
; FloatMode: 240
; IeeeMode: 1
; LDSByteSize: 0 bytes/workgroup (compile time only)
; SGPRBlocks: 0
; VGPRBlocks: 0
; NumSGPRsForWavesPerEU: 4
; NumVGPRsForWavesPerEU: 1
; AccumOffset: 4
; Occupancy: 8
; WaveLimiterHint : 0
; COMPUTE_PGM_RSRC2:SCRATCH_EN: 0
; COMPUTE_PGM_RSRC2:USER_SGPR: 6
; COMPUTE_PGM_RSRC2:TRAP_HANDLER: 0
; COMPUTE_PGM_RSRC2:TGID_X_EN: 1
; COMPUTE_PGM_RSRC2:TGID_Y_EN: 0
; COMPUTE_PGM_RSRC2:TGID_Z_EN: 0
; COMPUTE_PGM_RSRC2:TIDIG_COMP_CNT: 0
; COMPUTE_PGM_RSRC3_GFX90A:ACCUM_OFFSET: 0
; COMPUTE_PGM_RSRC3_GFX90A:TG_SPLIT: 0
	.section	.text._ZN7rocprim17ROCPRIM_400000_NS6detail17trampoline_kernelINS0_14default_configENS1_20scan_config_selectorIyEEZZNS1_9scan_implILNS1_25lookback_scan_determinismE0ELb0ELb0ES3_N6thrust23THRUST_200600_302600_NS6detail15normal_iteratorINS9_10device_ptrIyEEEENS9_16discard_iteratorINS9_11use_defaultEEEy11max_functorIyEyEEDaPvRmT3_T4_T5_mT6_P12ihipStream_tbENKUlT_T0_E_clISt17integral_constantIbLb0EESW_IbLb1EEEEDaSS_ST_EUlSS_E0_NS1_11comp_targetILNS1_3genE2ELNS1_11target_archE906ELNS1_3gpuE6ELNS1_3repE0EEENS1_30default_config_static_selectorELNS0_4arch9wavefront6targetE1EEEvT1_,"axG",@progbits,_ZN7rocprim17ROCPRIM_400000_NS6detail17trampoline_kernelINS0_14default_configENS1_20scan_config_selectorIyEEZZNS1_9scan_implILNS1_25lookback_scan_determinismE0ELb0ELb0ES3_N6thrust23THRUST_200600_302600_NS6detail15normal_iteratorINS9_10device_ptrIyEEEENS9_16discard_iteratorINS9_11use_defaultEEEy11max_functorIyEyEEDaPvRmT3_T4_T5_mT6_P12ihipStream_tbENKUlT_T0_E_clISt17integral_constantIbLb0EESW_IbLb1EEEEDaSS_ST_EUlSS_E0_NS1_11comp_targetILNS1_3genE2ELNS1_11target_archE906ELNS1_3gpuE6ELNS1_3repE0EEENS1_30default_config_static_selectorELNS0_4arch9wavefront6targetE1EEEvT1_,comdat
	.protected	_ZN7rocprim17ROCPRIM_400000_NS6detail17trampoline_kernelINS0_14default_configENS1_20scan_config_selectorIyEEZZNS1_9scan_implILNS1_25lookback_scan_determinismE0ELb0ELb0ES3_N6thrust23THRUST_200600_302600_NS6detail15normal_iteratorINS9_10device_ptrIyEEEENS9_16discard_iteratorINS9_11use_defaultEEEy11max_functorIyEyEEDaPvRmT3_T4_T5_mT6_P12ihipStream_tbENKUlT_T0_E_clISt17integral_constantIbLb0EESW_IbLb1EEEEDaSS_ST_EUlSS_E0_NS1_11comp_targetILNS1_3genE2ELNS1_11target_archE906ELNS1_3gpuE6ELNS1_3repE0EEENS1_30default_config_static_selectorELNS0_4arch9wavefront6targetE1EEEvT1_ ; -- Begin function _ZN7rocprim17ROCPRIM_400000_NS6detail17trampoline_kernelINS0_14default_configENS1_20scan_config_selectorIyEEZZNS1_9scan_implILNS1_25lookback_scan_determinismE0ELb0ELb0ES3_N6thrust23THRUST_200600_302600_NS6detail15normal_iteratorINS9_10device_ptrIyEEEENS9_16discard_iteratorINS9_11use_defaultEEEy11max_functorIyEyEEDaPvRmT3_T4_T5_mT6_P12ihipStream_tbENKUlT_T0_E_clISt17integral_constantIbLb0EESW_IbLb1EEEEDaSS_ST_EUlSS_E0_NS1_11comp_targetILNS1_3genE2ELNS1_11target_archE906ELNS1_3gpuE6ELNS1_3repE0EEENS1_30default_config_static_selectorELNS0_4arch9wavefront6targetE1EEEvT1_
	.globl	_ZN7rocprim17ROCPRIM_400000_NS6detail17trampoline_kernelINS0_14default_configENS1_20scan_config_selectorIyEEZZNS1_9scan_implILNS1_25lookback_scan_determinismE0ELb0ELb0ES3_N6thrust23THRUST_200600_302600_NS6detail15normal_iteratorINS9_10device_ptrIyEEEENS9_16discard_iteratorINS9_11use_defaultEEEy11max_functorIyEyEEDaPvRmT3_T4_T5_mT6_P12ihipStream_tbENKUlT_T0_E_clISt17integral_constantIbLb0EESW_IbLb1EEEEDaSS_ST_EUlSS_E0_NS1_11comp_targetILNS1_3genE2ELNS1_11target_archE906ELNS1_3gpuE6ELNS1_3repE0EEENS1_30default_config_static_selectorELNS0_4arch9wavefront6targetE1EEEvT1_
	.p2align	8
	.type	_ZN7rocprim17ROCPRIM_400000_NS6detail17trampoline_kernelINS0_14default_configENS1_20scan_config_selectorIyEEZZNS1_9scan_implILNS1_25lookback_scan_determinismE0ELb0ELb0ES3_N6thrust23THRUST_200600_302600_NS6detail15normal_iteratorINS9_10device_ptrIyEEEENS9_16discard_iteratorINS9_11use_defaultEEEy11max_functorIyEyEEDaPvRmT3_T4_T5_mT6_P12ihipStream_tbENKUlT_T0_E_clISt17integral_constantIbLb0EESW_IbLb1EEEEDaSS_ST_EUlSS_E0_NS1_11comp_targetILNS1_3genE2ELNS1_11target_archE906ELNS1_3gpuE6ELNS1_3repE0EEENS1_30default_config_static_selectorELNS0_4arch9wavefront6targetE1EEEvT1_,@function
_ZN7rocprim17ROCPRIM_400000_NS6detail17trampoline_kernelINS0_14default_configENS1_20scan_config_selectorIyEEZZNS1_9scan_implILNS1_25lookback_scan_determinismE0ELb0ELb0ES3_N6thrust23THRUST_200600_302600_NS6detail15normal_iteratorINS9_10device_ptrIyEEEENS9_16discard_iteratorINS9_11use_defaultEEEy11max_functorIyEyEEDaPvRmT3_T4_T5_mT6_P12ihipStream_tbENKUlT_T0_E_clISt17integral_constantIbLb0EESW_IbLb1EEEEDaSS_ST_EUlSS_E0_NS1_11comp_targetILNS1_3genE2ELNS1_11target_archE906ELNS1_3gpuE6ELNS1_3repE0EEENS1_30default_config_static_selectorELNS0_4arch9wavefront6targetE1EEEvT1_: ; @_ZN7rocprim17ROCPRIM_400000_NS6detail17trampoline_kernelINS0_14default_configENS1_20scan_config_selectorIyEEZZNS1_9scan_implILNS1_25lookback_scan_determinismE0ELb0ELb0ES3_N6thrust23THRUST_200600_302600_NS6detail15normal_iteratorINS9_10device_ptrIyEEEENS9_16discard_iteratorINS9_11use_defaultEEEy11max_functorIyEyEEDaPvRmT3_T4_T5_mT6_P12ihipStream_tbENKUlT_T0_E_clISt17integral_constantIbLb0EESW_IbLb1EEEEDaSS_ST_EUlSS_E0_NS1_11comp_targetILNS1_3genE2ELNS1_11target_archE906ELNS1_3gpuE6ELNS1_3repE0EEENS1_30default_config_static_selectorELNS0_4arch9wavefront6targetE1EEEvT1_
; %bb.0:
	.section	.rodata,"a",@progbits
	.p2align	6, 0x0
	.amdhsa_kernel _ZN7rocprim17ROCPRIM_400000_NS6detail17trampoline_kernelINS0_14default_configENS1_20scan_config_selectorIyEEZZNS1_9scan_implILNS1_25lookback_scan_determinismE0ELb0ELb0ES3_N6thrust23THRUST_200600_302600_NS6detail15normal_iteratorINS9_10device_ptrIyEEEENS9_16discard_iteratorINS9_11use_defaultEEEy11max_functorIyEyEEDaPvRmT3_T4_T5_mT6_P12ihipStream_tbENKUlT_T0_E_clISt17integral_constantIbLb0EESW_IbLb1EEEEDaSS_ST_EUlSS_E0_NS1_11comp_targetILNS1_3genE2ELNS1_11target_archE906ELNS1_3gpuE6ELNS1_3repE0EEENS1_30default_config_static_selectorELNS0_4arch9wavefront6targetE1EEEvT1_
		.amdhsa_group_segment_fixed_size 0
		.amdhsa_private_segment_fixed_size 0
		.amdhsa_kernarg_size 48
		.amdhsa_user_sgpr_count 6
		.amdhsa_user_sgpr_private_segment_buffer 1
		.amdhsa_user_sgpr_dispatch_ptr 0
		.amdhsa_user_sgpr_queue_ptr 0
		.amdhsa_user_sgpr_kernarg_segment_ptr 1
		.amdhsa_user_sgpr_dispatch_id 0
		.amdhsa_user_sgpr_flat_scratch_init 0
		.amdhsa_user_sgpr_kernarg_preload_length 0
		.amdhsa_user_sgpr_kernarg_preload_offset 0
		.amdhsa_user_sgpr_private_segment_size 0
		.amdhsa_uses_dynamic_stack 0
		.amdhsa_system_sgpr_private_segment_wavefront_offset 0
		.amdhsa_system_sgpr_workgroup_id_x 1
		.amdhsa_system_sgpr_workgroup_id_y 0
		.amdhsa_system_sgpr_workgroup_id_z 0
		.amdhsa_system_sgpr_workgroup_info 0
		.amdhsa_system_vgpr_workitem_id 0
		.amdhsa_next_free_vgpr 1
		.amdhsa_next_free_sgpr 0
		.amdhsa_accum_offset 4
		.amdhsa_reserve_vcc 0
		.amdhsa_reserve_flat_scratch 0
		.amdhsa_float_round_mode_32 0
		.amdhsa_float_round_mode_16_64 0
		.amdhsa_float_denorm_mode_32 3
		.amdhsa_float_denorm_mode_16_64 3
		.amdhsa_dx10_clamp 1
		.amdhsa_ieee_mode 1
		.amdhsa_fp16_overflow 0
		.amdhsa_tg_split 0
		.amdhsa_exception_fp_ieee_invalid_op 0
		.amdhsa_exception_fp_denorm_src 0
		.amdhsa_exception_fp_ieee_div_zero 0
		.amdhsa_exception_fp_ieee_overflow 0
		.amdhsa_exception_fp_ieee_underflow 0
		.amdhsa_exception_fp_ieee_inexact 0
		.amdhsa_exception_int_div_zero 0
	.end_amdhsa_kernel
	.section	.text._ZN7rocprim17ROCPRIM_400000_NS6detail17trampoline_kernelINS0_14default_configENS1_20scan_config_selectorIyEEZZNS1_9scan_implILNS1_25lookback_scan_determinismE0ELb0ELb0ES3_N6thrust23THRUST_200600_302600_NS6detail15normal_iteratorINS9_10device_ptrIyEEEENS9_16discard_iteratorINS9_11use_defaultEEEy11max_functorIyEyEEDaPvRmT3_T4_T5_mT6_P12ihipStream_tbENKUlT_T0_E_clISt17integral_constantIbLb0EESW_IbLb1EEEEDaSS_ST_EUlSS_E0_NS1_11comp_targetILNS1_3genE2ELNS1_11target_archE906ELNS1_3gpuE6ELNS1_3repE0EEENS1_30default_config_static_selectorELNS0_4arch9wavefront6targetE1EEEvT1_,"axG",@progbits,_ZN7rocprim17ROCPRIM_400000_NS6detail17trampoline_kernelINS0_14default_configENS1_20scan_config_selectorIyEEZZNS1_9scan_implILNS1_25lookback_scan_determinismE0ELb0ELb0ES3_N6thrust23THRUST_200600_302600_NS6detail15normal_iteratorINS9_10device_ptrIyEEEENS9_16discard_iteratorINS9_11use_defaultEEEy11max_functorIyEyEEDaPvRmT3_T4_T5_mT6_P12ihipStream_tbENKUlT_T0_E_clISt17integral_constantIbLb0EESW_IbLb1EEEEDaSS_ST_EUlSS_E0_NS1_11comp_targetILNS1_3genE2ELNS1_11target_archE906ELNS1_3gpuE6ELNS1_3repE0EEENS1_30default_config_static_selectorELNS0_4arch9wavefront6targetE1EEEvT1_,comdat
.Lfunc_end3345:
	.size	_ZN7rocprim17ROCPRIM_400000_NS6detail17trampoline_kernelINS0_14default_configENS1_20scan_config_selectorIyEEZZNS1_9scan_implILNS1_25lookback_scan_determinismE0ELb0ELb0ES3_N6thrust23THRUST_200600_302600_NS6detail15normal_iteratorINS9_10device_ptrIyEEEENS9_16discard_iteratorINS9_11use_defaultEEEy11max_functorIyEyEEDaPvRmT3_T4_T5_mT6_P12ihipStream_tbENKUlT_T0_E_clISt17integral_constantIbLb0EESW_IbLb1EEEEDaSS_ST_EUlSS_E0_NS1_11comp_targetILNS1_3genE2ELNS1_11target_archE906ELNS1_3gpuE6ELNS1_3repE0EEENS1_30default_config_static_selectorELNS0_4arch9wavefront6targetE1EEEvT1_, .Lfunc_end3345-_ZN7rocprim17ROCPRIM_400000_NS6detail17trampoline_kernelINS0_14default_configENS1_20scan_config_selectorIyEEZZNS1_9scan_implILNS1_25lookback_scan_determinismE0ELb0ELb0ES3_N6thrust23THRUST_200600_302600_NS6detail15normal_iteratorINS9_10device_ptrIyEEEENS9_16discard_iteratorINS9_11use_defaultEEEy11max_functorIyEyEEDaPvRmT3_T4_T5_mT6_P12ihipStream_tbENKUlT_T0_E_clISt17integral_constantIbLb0EESW_IbLb1EEEEDaSS_ST_EUlSS_E0_NS1_11comp_targetILNS1_3genE2ELNS1_11target_archE906ELNS1_3gpuE6ELNS1_3repE0EEENS1_30default_config_static_selectorELNS0_4arch9wavefront6targetE1EEEvT1_
                                        ; -- End function
	.section	.AMDGPU.csdata,"",@progbits
; Kernel info:
; codeLenInByte = 0
; NumSgprs: 4
; NumVgprs: 0
; NumAgprs: 0
; TotalNumVgprs: 0
; ScratchSize: 0
; MemoryBound: 0
; FloatMode: 240
; IeeeMode: 1
; LDSByteSize: 0 bytes/workgroup (compile time only)
; SGPRBlocks: 0
; VGPRBlocks: 0
; NumSGPRsForWavesPerEU: 4
; NumVGPRsForWavesPerEU: 1
; AccumOffset: 4
; Occupancy: 8
; WaveLimiterHint : 0
; COMPUTE_PGM_RSRC2:SCRATCH_EN: 0
; COMPUTE_PGM_RSRC2:USER_SGPR: 6
; COMPUTE_PGM_RSRC2:TRAP_HANDLER: 0
; COMPUTE_PGM_RSRC2:TGID_X_EN: 1
; COMPUTE_PGM_RSRC2:TGID_Y_EN: 0
; COMPUTE_PGM_RSRC2:TGID_Z_EN: 0
; COMPUTE_PGM_RSRC2:TIDIG_COMP_CNT: 0
; COMPUTE_PGM_RSRC3_GFX90A:ACCUM_OFFSET: 0
; COMPUTE_PGM_RSRC3_GFX90A:TG_SPLIT: 0
	.section	.text._ZN7rocprim17ROCPRIM_400000_NS6detail17trampoline_kernelINS0_14default_configENS1_20scan_config_selectorIyEEZZNS1_9scan_implILNS1_25lookback_scan_determinismE0ELb0ELb0ES3_N6thrust23THRUST_200600_302600_NS6detail15normal_iteratorINS9_10device_ptrIyEEEENS9_16discard_iteratorINS9_11use_defaultEEEy11max_functorIyEyEEDaPvRmT3_T4_T5_mT6_P12ihipStream_tbENKUlT_T0_E_clISt17integral_constantIbLb0EESW_IbLb1EEEEDaSS_ST_EUlSS_E0_NS1_11comp_targetILNS1_3genE10ELNS1_11target_archE1201ELNS1_3gpuE5ELNS1_3repE0EEENS1_30default_config_static_selectorELNS0_4arch9wavefront6targetE1EEEvT1_,"axG",@progbits,_ZN7rocprim17ROCPRIM_400000_NS6detail17trampoline_kernelINS0_14default_configENS1_20scan_config_selectorIyEEZZNS1_9scan_implILNS1_25lookback_scan_determinismE0ELb0ELb0ES3_N6thrust23THRUST_200600_302600_NS6detail15normal_iteratorINS9_10device_ptrIyEEEENS9_16discard_iteratorINS9_11use_defaultEEEy11max_functorIyEyEEDaPvRmT3_T4_T5_mT6_P12ihipStream_tbENKUlT_T0_E_clISt17integral_constantIbLb0EESW_IbLb1EEEEDaSS_ST_EUlSS_E0_NS1_11comp_targetILNS1_3genE10ELNS1_11target_archE1201ELNS1_3gpuE5ELNS1_3repE0EEENS1_30default_config_static_selectorELNS0_4arch9wavefront6targetE1EEEvT1_,comdat
	.protected	_ZN7rocprim17ROCPRIM_400000_NS6detail17trampoline_kernelINS0_14default_configENS1_20scan_config_selectorIyEEZZNS1_9scan_implILNS1_25lookback_scan_determinismE0ELb0ELb0ES3_N6thrust23THRUST_200600_302600_NS6detail15normal_iteratorINS9_10device_ptrIyEEEENS9_16discard_iteratorINS9_11use_defaultEEEy11max_functorIyEyEEDaPvRmT3_T4_T5_mT6_P12ihipStream_tbENKUlT_T0_E_clISt17integral_constantIbLb0EESW_IbLb1EEEEDaSS_ST_EUlSS_E0_NS1_11comp_targetILNS1_3genE10ELNS1_11target_archE1201ELNS1_3gpuE5ELNS1_3repE0EEENS1_30default_config_static_selectorELNS0_4arch9wavefront6targetE1EEEvT1_ ; -- Begin function _ZN7rocprim17ROCPRIM_400000_NS6detail17trampoline_kernelINS0_14default_configENS1_20scan_config_selectorIyEEZZNS1_9scan_implILNS1_25lookback_scan_determinismE0ELb0ELb0ES3_N6thrust23THRUST_200600_302600_NS6detail15normal_iteratorINS9_10device_ptrIyEEEENS9_16discard_iteratorINS9_11use_defaultEEEy11max_functorIyEyEEDaPvRmT3_T4_T5_mT6_P12ihipStream_tbENKUlT_T0_E_clISt17integral_constantIbLb0EESW_IbLb1EEEEDaSS_ST_EUlSS_E0_NS1_11comp_targetILNS1_3genE10ELNS1_11target_archE1201ELNS1_3gpuE5ELNS1_3repE0EEENS1_30default_config_static_selectorELNS0_4arch9wavefront6targetE1EEEvT1_
	.globl	_ZN7rocprim17ROCPRIM_400000_NS6detail17trampoline_kernelINS0_14default_configENS1_20scan_config_selectorIyEEZZNS1_9scan_implILNS1_25lookback_scan_determinismE0ELb0ELb0ES3_N6thrust23THRUST_200600_302600_NS6detail15normal_iteratorINS9_10device_ptrIyEEEENS9_16discard_iteratorINS9_11use_defaultEEEy11max_functorIyEyEEDaPvRmT3_T4_T5_mT6_P12ihipStream_tbENKUlT_T0_E_clISt17integral_constantIbLb0EESW_IbLb1EEEEDaSS_ST_EUlSS_E0_NS1_11comp_targetILNS1_3genE10ELNS1_11target_archE1201ELNS1_3gpuE5ELNS1_3repE0EEENS1_30default_config_static_selectorELNS0_4arch9wavefront6targetE1EEEvT1_
	.p2align	8
	.type	_ZN7rocprim17ROCPRIM_400000_NS6detail17trampoline_kernelINS0_14default_configENS1_20scan_config_selectorIyEEZZNS1_9scan_implILNS1_25lookback_scan_determinismE0ELb0ELb0ES3_N6thrust23THRUST_200600_302600_NS6detail15normal_iteratorINS9_10device_ptrIyEEEENS9_16discard_iteratorINS9_11use_defaultEEEy11max_functorIyEyEEDaPvRmT3_T4_T5_mT6_P12ihipStream_tbENKUlT_T0_E_clISt17integral_constantIbLb0EESW_IbLb1EEEEDaSS_ST_EUlSS_E0_NS1_11comp_targetILNS1_3genE10ELNS1_11target_archE1201ELNS1_3gpuE5ELNS1_3repE0EEENS1_30default_config_static_selectorELNS0_4arch9wavefront6targetE1EEEvT1_,@function
_ZN7rocprim17ROCPRIM_400000_NS6detail17trampoline_kernelINS0_14default_configENS1_20scan_config_selectorIyEEZZNS1_9scan_implILNS1_25lookback_scan_determinismE0ELb0ELb0ES3_N6thrust23THRUST_200600_302600_NS6detail15normal_iteratorINS9_10device_ptrIyEEEENS9_16discard_iteratorINS9_11use_defaultEEEy11max_functorIyEyEEDaPvRmT3_T4_T5_mT6_P12ihipStream_tbENKUlT_T0_E_clISt17integral_constantIbLb0EESW_IbLb1EEEEDaSS_ST_EUlSS_E0_NS1_11comp_targetILNS1_3genE10ELNS1_11target_archE1201ELNS1_3gpuE5ELNS1_3repE0EEENS1_30default_config_static_selectorELNS0_4arch9wavefront6targetE1EEEvT1_: ; @_ZN7rocprim17ROCPRIM_400000_NS6detail17trampoline_kernelINS0_14default_configENS1_20scan_config_selectorIyEEZZNS1_9scan_implILNS1_25lookback_scan_determinismE0ELb0ELb0ES3_N6thrust23THRUST_200600_302600_NS6detail15normal_iteratorINS9_10device_ptrIyEEEENS9_16discard_iteratorINS9_11use_defaultEEEy11max_functorIyEyEEDaPvRmT3_T4_T5_mT6_P12ihipStream_tbENKUlT_T0_E_clISt17integral_constantIbLb0EESW_IbLb1EEEEDaSS_ST_EUlSS_E0_NS1_11comp_targetILNS1_3genE10ELNS1_11target_archE1201ELNS1_3gpuE5ELNS1_3repE0EEENS1_30default_config_static_selectorELNS0_4arch9wavefront6targetE1EEEvT1_
; %bb.0:
	.section	.rodata,"a",@progbits
	.p2align	6, 0x0
	.amdhsa_kernel _ZN7rocprim17ROCPRIM_400000_NS6detail17trampoline_kernelINS0_14default_configENS1_20scan_config_selectorIyEEZZNS1_9scan_implILNS1_25lookback_scan_determinismE0ELb0ELb0ES3_N6thrust23THRUST_200600_302600_NS6detail15normal_iteratorINS9_10device_ptrIyEEEENS9_16discard_iteratorINS9_11use_defaultEEEy11max_functorIyEyEEDaPvRmT3_T4_T5_mT6_P12ihipStream_tbENKUlT_T0_E_clISt17integral_constantIbLb0EESW_IbLb1EEEEDaSS_ST_EUlSS_E0_NS1_11comp_targetILNS1_3genE10ELNS1_11target_archE1201ELNS1_3gpuE5ELNS1_3repE0EEENS1_30default_config_static_selectorELNS0_4arch9wavefront6targetE1EEEvT1_
		.amdhsa_group_segment_fixed_size 0
		.amdhsa_private_segment_fixed_size 0
		.amdhsa_kernarg_size 48
		.amdhsa_user_sgpr_count 6
		.amdhsa_user_sgpr_private_segment_buffer 1
		.amdhsa_user_sgpr_dispatch_ptr 0
		.amdhsa_user_sgpr_queue_ptr 0
		.amdhsa_user_sgpr_kernarg_segment_ptr 1
		.amdhsa_user_sgpr_dispatch_id 0
		.amdhsa_user_sgpr_flat_scratch_init 0
		.amdhsa_user_sgpr_kernarg_preload_length 0
		.amdhsa_user_sgpr_kernarg_preload_offset 0
		.amdhsa_user_sgpr_private_segment_size 0
		.amdhsa_uses_dynamic_stack 0
		.amdhsa_system_sgpr_private_segment_wavefront_offset 0
		.amdhsa_system_sgpr_workgroup_id_x 1
		.amdhsa_system_sgpr_workgroup_id_y 0
		.amdhsa_system_sgpr_workgroup_id_z 0
		.amdhsa_system_sgpr_workgroup_info 0
		.amdhsa_system_vgpr_workitem_id 0
		.amdhsa_next_free_vgpr 1
		.amdhsa_next_free_sgpr 0
		.amdhsa_accum_offset 4
		.amdhsa_reserve_vcc 0
		.amdhsa_reserve_flat_scratch 0
		.amdhsa_float_round_mode_32 0
		.amdhsa_float_round_mode_16_64 0
		.amdhsa_float_denorm_mode_32 3
		.amdhsa_float_denorm_mode_16_64 3
		.amdhsa_dx10_clamp 1
		.amdhsa_ieee_mode 1
		.amdhsa_fp16_overflow 0
		.amdhsa_tg_split 0
		.amdhsa_exception_fp_ieee_invalid_op 0
		.amdhsa_exception_fp_denorm_src 0
		.amdhsa_exception_fp_ieee_div_zero 0
		.amdhsa_exception_fp_ieee_overflow 0
		.amdhsa_exception_fp_ieee_underflow 0
		.amdhsa_exception_fp_ieee_inexact 0
		.amdhsa_exception_int_div_zero 0
	.end_amdhsa_kernel
	.section	.text._ZN7rocprim17ROCPRIM_400000_NS6detail17trampoline_kernelINS0_14default_configENS1_20scan_config_selectorIyEEZZNS1_9scan_implILNS1_25lookback_scan_determinismE0ELb0ELb0ES3_N6thrust23THRUST_200600_302600_NS6detail15normal_iteratorINS9_10device_ptrIyEEEENS9_16discard_iteratorINS9_11use_defaultEEEy11max_functorIyEyEEDaPvRmT3_T4_T5_mT6_P12ihipStream_tbENKUlT_T0_E_clISt17integral_constantIbLb0EESW_IbLb1EEEEDaSS_ST_EUlSS_E0_NS1_11comp_targetILNS1_3genE10ELNS1_11target_archE1201ELNS1_3gpuE5ELNS1_3repE0EEENS1_30default_config_static_selectorELNS0_4arch9wavefront6targetE1EEEvT1_,"axG",@progbits,_ZN7rocprim17ROCPRIM_400000_NS6detail17trampoline_kernelINS0_14default_configENS1_20scan_config_selectorIyEEZZNS1_9scan_implILNS1_25lookback_scan_determinismE0ELb0ELb0ES3_N6thrust23THRUST_200600_302600_NS6detail15normal_iteratorINS9_10device_ptrIyEEEENS9_16discard_iteratorINS9_11use_defaultEEEy11max_functorIyEyEEDaPvRmT3_T4_T5_mT6_P12ihipStream_tbENKUlT_T0_E_clISt17integral_constantIbLb0EESW_IbLb1EEEEDaSS_ST_EUlSS_E0_NS1_11comp_targetILNS1_3genE10ELNS1_11target_archE1201ELNS1_3gpuE5ELNS1_3repE0EEENS1_30default_config_static_selectorELNS0_4arch9wavefront6targetE1EEEvT1_,comdat
.Lfunc_end3346:
	.size	_ZN7rocprim17ROCPRIM_400000_NS6detail17trampoline_kernelINS0_14default_configENS1_20scan_config_selectorIyEEZZNS1_9scan_implILNS1_25lookback_scan_determinismE0ELb0ELb0ES3_N6thrust23THRUST_200600_302600_NS6detail15normal_iteratorINS9_10device_ptrIyEEEENS9_16discard_iteratorINS9_11use_defaultEEEy11max_functorIyEyEEDaPvRmT3_T4_T5_mT6_P12ihipStream_tbENKUlT_T0_E_clISt17integral_constantIbLb0EESW_IbLb1EEEEDaSS_ST_EUlSS_E0_NS1_11comp_targetILNS1_3genE10ELNS1_11target_archE1201ELNS1_3gpuE5ELNS1_3repE0EEENS1_30default_config_static_selectorELNS0_4arch9wavefront6targetE1EEEvT1_, .Lfunc_end3346-_ZN7rocprim17ROCPRIM_400000_NS6detail17trampoline_kernelINS0_14default_configENS1_20scan_config_selectorIyEEZZNS1_9scan_implILNS1_25lookback_scan_determinismE0ELb0ELb0ES3_N6thrust23THRUST_200600_302600_NS6detail15normal_iteratorINS9_10device_ptrIyEEEENS9_16discard_iteratorINS9_11use_defaultEEEy11max_functorIyEyEEDaPvRmT3_T4_T5_mT6_P12ihipStream_tbENKUlT_T0_E_clISt17integral_constantIbLb0EESW_IbLb1EEEEDaSS_ST_EUlSS_E0_NS1_11comp_targetILNS1_3genE10ELNS1_11target_archE1201ELNS1_3gpuE5ELNS1_3repE0EEENS1_30default_config_static_selectorELNS0_4arch9wavefront6targetE1EEEvT1_
                                        ; -- End function
	.section	.AMDGPU.csdata,"",@progbits
; Kernel info:
; codeLenInByte = 0
; NumSgprs: 4
; NumVgprs: 0
; NumAgprs: 0
; TotalNumVgprs: 0
; ScratchSize: 0
; MemoryBound: 0
; FloatMode: 240
; IeeeMode: 1
; LDSByteSize: 0 bytes/workgroup (compile time only)
; SGPRBlocks: 0
; VGPRBlocks: 0
; NumSGPRsForWavesPerEU: 4
; NumVGPRsForWavesPerEU: 1
; AccumOffset: 4
; Occupancy: 8
; WaveLimiterHint : 0
; COMPUTE_PGM_RSRC2:SCRATCH_EN: 0
; COMPUTE_PGM_RSRC2:USER_SGPR: 6
; COMPUTE_PGM_RSRC2:TRAP_HANDLER: 0
; COMPUTE_PGM_RSRC2:TGID_X_EN: 1
; COMPUTE_PGM_RSRC2:TGID_Y_EN: 0
; COMPUTE_PGM_RSRC2:TGID_Z_EN: 0
; COMPUTE_PGM_RSRC2:TIDIG_COMP_CNT: 0
; COMPUTE_PGM_RSRC3_GFX90A:ACCUM_OFFSET: 0
; COMPUTE_PGM_RSRC3_GFX90A:TG_SPLIT: 0
	.section	.text._ZN7rocprim17ROCPRIM_400000_NS6detail17trampoline_kernelINS0_14default_configENS1_20scan_config_selectorIyEEZZNS1_9scan_implILNS1_25lookback_scan_determinismE0ELb0ELb0ES3_N6thrust23THRUST_200600_302600_NS6detail15normal_iteratorINS9_10device_ptrIyEEEENS9_16discard_iteratorINS9_11use_defaultEEEy11max_functorIyEyEEDaPvRmT3_T4_T5_mT6_P12ihipStream_tbENKUlT_T0_E_clISt17integral_constantIbLb0EESW_IbLb1EEEEDaSS_ST_EUlSS_E0_NS1_11comp_targetILNS1_3genE10ELNS1_11target_archE1200ELNS1_3gpuE4ELNS1_3repE0EEENS1_30default_config_static_selectorELNS0_4arch9wavefront6targetE1EEEvT1_,"axG",@progbits,_ZN7rocprim17ROCPRIM_400000_NS6detail17trampoline_kernelINS0_14default_configENS1_20scan_config_selectorIyEEZZNS1_9scan_implILNS1_25lookback_scan_determinismE0ELb0ELb0ES3_N6thrust23THRUST_200600_302600_NS6detail15normal_iteratorINS9_10device_ptrIyEEEENS9_16discard_iteratorINS9_11use_defaultEEEy11max_functorIyEyEEDaPvRmT3_T4_T5_mT6_P12ihipStream_tbENKUlT_T0_E_clISt17integral_constantIbLb0EESW_IbLb1EEEEDaSS_ST_EUlSS_E0_NS1_11comp_targetILNS1_3genE10ELNS1_11target_archE1200ELNS1_3gpuE4ELNS1_3repE0EEENS1_30default_config_static_selectorELNS0_4arch9wavefront6targetE1EEEvT1_,comdat
	.protected	_ZN7rocprim17ROCPRIM_400000_NS6detail17trampoline_kernelINS0_14default_configENS1_20scan_config_selectorIyEEZZNS1_9scan_implILNS1_25lookback_scan_determinismE0ELb0ELb0ES3_N6thrust23THRUST_200600_302600_NS6detail15normal_iteratorINS9_10device_ptrIyEEEENS9_16discard_iteratorINS9_11use_defaultEEEy11max_functorIyEyEEDaPvRmT3_T4_T5_mT6_P12ihipStream_tbENKUlT_T0_E_clISt17integral_constantIbLb0EESW_IbLb1EEEEDaSS_ST_EUlSS_E0_NS1_11comp_targetILNS1_3genE10ELNS1_11target_archE1200ELNS1_3gpuE4ELNS1_3repE0EEENS1_30default_config_static_selectorELNS0_4arch9wavefront6targetE1EEEvT1_ ; -- Begin function _ZN7rocprim17ROCPRIM_400000_NS6detail17trampoline_kernelINS0_14default_configENS1_20scan_config_selectorIyEEZZNS1_9scan_implILNS1_25lookback_scan_determinismE0ELb0ELb0ES3_N6thrust23THRUST_200600_302600_NS6detail15normal_iteratorINS9_10device_ptrIyEEEENS9_16discard_iteratorINS9_11use_defaultEEEy11max_functorIyEyEEDaPvRmT3_T4_T5_mT6_P12ihipStream_tbENKUlT_T0_E_clISt17integral_constantIbLb0EESW_IbLb1EEEEDaSS_ST_EUlSS_E0_NS1_11comp_targetILNS1_3genE10ELNS1_11target_archE1200ELNS1_3gpuE4ELNS1_3repE0EEENS1_30default_config_static_selectorELNS0_4arch9wavefront6targetE1EEEvT1_
	.globl	_ZN7rocprim17ROCPRIM_400000_NS6detail17trampoline_kernelINS0_14default_configENS1_20scan_config_selectorIyEEZZNS1_9scan_implILNS1_25lookback_scan_determinismE0ELb0ELb0ES3_N6thrust23THRUST_200600_302600_NS6detail15normal_iteratorINS9_10device_ptrIyEEEENS9_16discard_iteratorINS9_11use_defaultEEEy11max_functorIyEyEEDaPvRmT3_T4_T5_mT6_P12ihipStream_tbENKUlT_T0_E_clISt17integral_constantIbLb0EESW_IbLb1EEEEDaSS_ST_EUlSS_E0_NS1_11comp_targetILNS1_3genE10ELNS1_11target_archE1200ELNS1_3gpuE4ELNS1_3repE0EEENS1_30default_config_static_selectorELNS0_4arch9wavefront6targetE1EEEvT1_
	.p2align	8
	.type	_ZN7rocprim17ROCPRIM_400000_NS6detail17trampoline_kernelINS0_14default_configENS1_20scan_config_selectorIyEEZZNS1_9scan_implILNS1_25lookback_scan_determinismE0ELb0ELb0ES3_N6thrust23THRUST_200600_302600_NS6detail15normal_iteratorINS9_10device_ptrIyEEEENS9_16discard_iteratorINS9_11use_defaultEEEy11max_functorIyEyEEDaPvRmT3_T4_T5_mT6_P12ihipStream_tbENKUlT_T0_E_clISt17integral_constantIbLb0EESW_IbLb1EEEEDaSS_ST_EUlSS_E0_NS1_11comp_targetILNS1_3genE10ELNS1_11target_archE1200ELNS1_3gpuE4ELNS1_3repE0EEENS1_30default_config_static_selectorELNS0_4arch9wavefront6targetE1EEEvT1_,@function
_ZN7rocprim17ROCPRIM_400000_NS6detail17trampoline_kernelINS0_14default_configENS1_20scan_config_selectorIyEEZZNS1_9scan_implILNS1_25lookback_scan_determinismE0ELb0ELb0ES3_N6thrust23THRUST_200600_302600_NS6detail15normal_iteratorINS9_10device_ptrIyEEEENS9_16discard_iteratorINS9_11use_defaultEEEy11max_functorIyEyEEDaPvRmT3_T4_T5_mT6_P12ihipStream_tbENKUlT_T0_E_clISt17integral_constantIbLb0EESW_IbLb1EEEEDaSS_ST_EUlSS_E0_NS1_11comp_targetILNS1_3genE10ELNS1_11target_archE1200ELNS1_3gpuE4ELNS1_3repE0EEENS1_30default_config_static_selectorELNS0_4arch9wavefront6targetE1EEEvT1_: ; @_ZN7rocprim17ROCPRIM_400000_NS6detail17trampoline_kernelINS0_14default_configENS1_20scan_config_selectorIyEEZZNS1_9scan_implILNS1_25lookback_scan_determinismE0ELb0ELb0ES3_N6thrust23THRUST_200600_302600_NS6detail15normal_iteratorINS9_10device_ptrIyEEEENS9_16discard_iteratorINS9_11use_defaultEEEy11max_functorIyEyEEDaPvRmT3_T4_T5_mT6_P12ihipStream_tbENKUlT_T0_E_clISt17integral_constantIbLb0EESW_IbLb1EEEEDaSS_ST_EUlSS_E0_NS1_11comp_targetILNS1_3genE10ELNS1_11target_archE1200ELNS1_3gpuE4ELNS1_3repE0EEENS1_30default_config_static_selectorELNS0_4arch9wavefront6targetE1EEEvT1_
; %bb.0:
	.section	.rodata,"a",@progbits
	.p2align	6, 0x0
	.amdhsa_kernel _ZN7rocprim17ROCPRIM_400000_NS6detail17trampoline_kernelINS0_14default_configENS1_20scan_config_selectorIyEEZZNS1_9scan_implILNS1_25lookback_scan_determinismE0ELb0ELb0ES3_N6thrust23THRUST_200600_302600_NS6detail15normal_iteratorINS9_10device_ptrIyEEEENS9_16discard_iteratorINS9_11use_defaultEEEy11max_functorIyEyEEDaPvRmT3_T4_T5_mT6_P12ihipStream_tbENKUlT_T0_E_clISt17integral_constantIbLb0EESW_IbLb1EEEEDaSS_ST_EUlSS_E0_NS1_11comp_targetILNS1_3genE10ELNS1_11target_archE1200ELNS1_3gpuE4ELNS1_3repE0EEENS1_30default_config_static_selectorELNS0_4arch9wavefront6targetE1EEEvT1_
		.amdhsa_group_segment_fixed_size 0
		.amdhsa_private_segment_fixed_size 0
		.amdhsa_kernarg_size 48
		.amdhsa_user_sgpr_count 6
		.amdhsa_user_sgpr_private_segment_buffer 1
		.amdhsa_user_sgpr_dispatch_ptr 0
		.amdhsa_user_sgpr_queue_ptr 0
		.amdhsa_user_sgpr_kernarg_segment_ptr 1
		.amdhsa_user_sgpr_dispatch_id 0
		.amdhsa_user_sgpr_flat_scratch_init 0
		.amdhsa_user_sgpr_kernarg_preload_length 0
		.amdhsa_user_sgpr_kernarg_preload_offset 0
		.amdhsa_user_sgpr_private_segment_size 0
		.amdhsa_uses_dynamic_stack 0
		.amdhsa_system_sgpr_private_segment_wavefront_offset 0
		.amdhsa_system_sgpr_workgroup_id_x 1
		.amdhsa_system_sgpr_workgroup_id_y 0
		.amdhsa_system_sgpr_workgroup_id_z 0
		.amdhsa_system_sgpr_workgroup_info 0
		.amdhsa_system_vgpr_workitem_id 0
		.amdhsa_next_free_vgpr 1
		.amdhsa_next_free_sgpr 0
		.amdhsa_accum_offset 4
		.amdhsa_reserve_vcc 0
		.amdhsa_reserve_flat_scratch 0
		.amdhsa_float_round_mode_32 0
		.amdhsa_float_round_mode_16_64 0
		.amdhsa_float_denorm_mode_32 3
		.amdhsa_float_denorm_mode_16_64 3
		.amdhsa_dx10_clamp 1
		.amdhsa_ieee_mode 1
		.amdhsa_fp16_overflow 0
		.amdhsa_tg_split 0
		.amdhsa_exception_fp_ieee_invalid_op 0
		.amdhsa_exception_fp_denorm_src 0
		.amdhsa_exception_fp_ieee_div_zero 0
		.amdhsa_exception_fp_ieee_overflow 0
		.amdhsa_exception_fp_ieee_underflow 0
		.amdhsa_exception_fp_ieee_inexact 0
		.amdhsa_exception_int_div_zero 0
	.end_amdhsa_kernel
	.section	.text._ZN7rocprim17ROCPRIM_400000_NS6detail17trampoline_kernelINS0_14default_configENS1_20scan_config_selectorIyEEZZNS1_9scan_implILNS1_25lookback_scan_determinismE0ELb0ELb0ES3_N6thrust23THRUST_200600_302600_NS6detail15normal_iteratorINS9_10device_ptrIyEEEENS9_16discard_iteratorINS9_11use_defaultEEEy11max_functorIyEyEEDaPvRmT3_T4_T5_mT6_P12ihipStream_tbENKUlT_T0_E_clISt17integral_constantIbLb0EESW_IbLb1EEEEDaSS_ST_EUlSS_E0_NS1_11comp_targetILNS1_3genE10ELNS1_11target_archE1200ELNS1_3gpuE4ELNS1_3repE0EEENS1_30default_config_static_selectorELNS0_4arch9wavefront6targetE1EEEvT1_,"axG",@progbits,_ZN7rocprim17ROCPRIM_400000_NS6detail17trampoline_kernelINS0_14default_configENS1_20scan_config_selectorIyEEZZNS1_9scan_implILNS1_25lookback_scan_determinismE0ELb0ELb0ES3_N6thrust23THRUST_200600_302600_NS6detail15normal_iteratorINS9_10device_ptrIyEEEENS9_16discard_iteratorINS9_11use_defaultEEEy11max_functorIyEyEEDaPvRmT3_T4_T5_mT6_P12ihipStream_tbENKUlT_T0_E_clISt17integral_constantIbLb0EESW_IbLb1EEEEDaSS_ST_EUlSS_E0_NS1_11comp_targetILNS1_3genE10ELNS1_11target_archE1200ELNS1_3gpuE4ELNS1_3repE0EEENS1_30default_config_static_selectorELNS0_4arch9wavefront6targetE1EEEvT1_,comdat
.Lfunc_end3347:
	.size	_ZN7rocprim17ROCPRIM_400000_NS6detail17trampoline_kernelINS0_14default_configENS1_20scan_config_selectorIyEEZZNS1_9scan_implILNS1_25lookback_scan_determinismE0ELb0ELb0ES3_N6thrust23THRUST_200600_302600_NS6detail15normal_iteratorINS9_10device_ptrIyEEEENS9_16discard_iteratorINS9_11use_defaultEEEy11max_functorIyEyEEDaPvRmT3_T4_T5_mT6_P12ihipStream_tbENKUlT_T0_E_clISt17integral_constantIbLb0EESW_IbLb1EEEEDaSS_ST_EUlSS_E0_NS1_11comp_targetILNS1_3genE10ELNS1_11target_archE1200ELNS1_3gpuE4ELNS1_3repE0EEENS1_30default_config_static_selectorELNS0_4arch9wavefront6targetE1EEEvT1_, .Lfunc_end3347-_ZN7rocprim17ROCPRIM_400000_NS6detail17trampoline_kernelINS0_14default_configENS1_20scan_config_selectorIyEEZZNS1_9scan_implILNS1_25lookback_scan_determinismE0ELb0ELb0ES3_N6thrust23THRUST_200600_302600_NS6detail15normal_iteratorINS9_10device_ptrIyEEEENS9_16discard_iteratorINS9_11use_defaultEEEy11max_functorIyEyEEDaPvRmT3_T4_T5_mT6_P12ihipStream_tbENKUlT_T0_E_clISt17integral_constantIbLb0EESW_IbLb1EEEEDaSS_ST_EUlSS_E0_NS1_11comp_targetILNS1_3genE10ELNS1_11target_archE1200ELNS1_3gpuE4ELNS1_3repE0EEENS1_30default_config_static_selectorELNS0_4arch9wavefront6targetE1EEEvT1_
                                        ; -- End function
	.section	.AMDGPU.csdata,"",@progbits
; Kernel info:
; codeLenInByte = 0
; NumSgprs: 4
; NumVgprs: 0
; NumAgprs: 0
; TotalNumVgprs: 0
; ScratchSize: 0
; MemoryBound: 0
; FloatMode: 240
; IeeeMode: 1
; LDSByteSize: 0 bytes/workgroup (compile time only)
; SGPRBlocks: 0
; VGPRBlocks: 0
; NumSGPRsForWavesPerEU: 4
; NumVGPRsForWavesPerEU: 1
; AccumOffset: 4
; Occupancy: 8
; WaveLimiterHint : 0
; COMPUTE_PGM_RSRC2:SCRATCH_EN: 0
; COMPUTE_PGM_RSRC2:USER_SGPR: 6
; COMPUTE_PGM_RSRC2:TRAP_HANDLER: 0
; COMPUTE_PGM_RSRC2:TGID_X_EN: 1
; COMPUTE_PGM_RSRC2:TGID_Y_EN: 0
; COMPUTE_PGM_RSRC2:TGID_Z_EN: 0
; COMPUTE_PGM_RSRC2:TIDIG_COMP_CNT: 0
; COMPUTE_PGM_RSRC3_GFX90A:ACCUM_OFFSET: 0
; COMPUTE_PGM_RSRC3_GFX90A:TG_SPLIT: 0
	.section	.text._ZN7rocprim17ROCPRIM_400000_NS6detail17trampoline_kernelINS0_14default_configENS1_20scan_config_selectorIyEEZZNS1_9scan_implILNS1_25lookback_scan_determinismE0ELb0ELb0ES3_N6thrust23THRUST_200600_302600_NS6detail15normal_iteratorINS9_10device_ptrIyEEEENS9_16discard_iteratorINS9_11use_defaultEEEy11max_functorIyEyEEDaPvRmT3_T4_T5_mT6_P12ihipStream_tbENKUlT_T0_E_clISt17integral_constantIbLb0EESW_IbLb1EEEEDaSS_ST_EUlSS_E0_NS1_11comp_targetILNS1_3genE9ELNS1_11target_archE1100ELNS1_3gpuE3ELNS1_3repE0EEENS1_30default_config_static_selectorELNS0_4arch9wavefront6targetE1EEEvT1_,"axG",@progbits,_ZN7rocprim17ROCPRIM_400000_NS6detail17trampoline_kernelINS0_14default_configENS1_20scan_config_selectorIyEEZZNS1_9scan_implILNS1_25lookback_scan_determinismE0ELb0ELb0ES3_N6thrust23THRUST_200600_302600_NS6detail15normal_iteratorINS9_10device_ptrIyEEEENS9_16discard_iteratorINS9_11use_defaultEEEy11max_functorIyEyEEDaPvRmT3_T4_T5_mT6_P12ihipStream_tbENKUlT_T0_E_clISt17integral_constantIbLb0EESW_IbLb1EEEEDaSS_ST_EUlSS_E0_NS1_11comp_targetILNS1_3genE9ELNS1_11target_archE1100ELNS1_3gpuE3ELNS1_3repE0EEENS1_30default_config_static_selectorELNS0_4arch9wavefront6targetE1EEEvT1_,comdat
	.protected	_ZN7rocprim17ROCPRIM_400000_NS6detail17trampoline_kernelINS0_14default_configENS1_20scan_config_selectorIyEEZZNS1_9scan_implILNS1_25lookback_scan_determinismE0ELb0ELb0ES3_N6thrust23THRUST_200600_302600_NS6detail15normal_iteratorINS9_10device_ptrIyEEEENS9_16discard_iteratorINS9_11use_defaultEEEy11max_functorIyEyEEDaPvRmT3_T4_T5_mT6_P12ihipStream_tbENKUlT_T0_E_clISt17integral_constantIbLb0EESW_IbLb1EEEEDaSS_ST_EUlSS_E0_NS1_11comp_targetILNS1_3genE9ELNS1_11target_archE1100ELNS1_3gpuE3ELNS1_3repE0EEENS1_30default_config_static_selectorELNS0_4arch9wavefront6targetE1EEEvT1_ ; -- Begin function _ZN7rocprim17ROCPRIM_400000_NS6detail17trampoline_kernelINS0_14default_configENS1_20scan_config_selectorIyEEZZNS1_9scan_implILNS1_25lookback_scan_determinismE0ELb0ELb0ES3_N6thrust23THRUST_200600_302600_NS6detail15normal_iteratorINS9_10device_ptrIyEEEENS9_16discard_iteratorINS9_11use_defaultEEEy11max_functorIyEyEEDaPvRmT3_T4_T5_mT6_P12ihipStream_tbENKUlT_T0_E_clISt17integral_constantIbLb0EESW_IbLb1EEEEDaSS_ST_EUlSS_E0_NS1_11comp_targetILNS1_3genE9ELNS1_11target_archE1100ELNS1_3gpuE3ELNS1_3repE0EEENS1_30default_config_static_selectorELNS0_4arch9wavefront6targetE1EEEvT1_
	.globl	_ZN7rocprim17ROCPRIM_400000_NS6detail17trampoline_kernelINS0_14default_configENS1_20scan_config_selectorIyEEZZNS1_9scan_implILNS1_25lookback_scan_determinismE0ELb0ELb0ES3_N6thrust23THRUST_200600_302600_NS6detail15normal_iteratorINS9_10device_ptrIyEEEENS9_16discard_iteratorINS9_11use_defaultEEEy11max_functorIyEyEEDaPvRmT3_T4_T5_mT6_P12ihipStream_tbENKUlT_T0_E_clISt17integral_constantIbLb0EESW_IbLb1EEEEDaSS_ST_EUlSS_E0_NS1_11comp_targetILNS1_3genE9ELNS1_11target_archE1100ELNS1_3gpuE3ELNS1_3repE0EEENS1_30default_config_static_selectorELNS0_4arch9wavefront6targetE1EEEvT1_
	.p2align	8
	.type	_ZN7rocprim17ROCPRIM_400000_NS6detail17trampoline_kernelINS0_14default_configENS1_20scan_config_selectorIyEEZZNS1_9scan_implILNS1_25lookback_scan_determinismE0ELb0ELb0ES3_N6thrust23THRUST_200600_302600_NS6detail15normal_iteratorINS9_10device_ptrIyEEEENS9_16discard_iteratorINS9_11use_defaultEEEy11max_functorIyEyEEDaPvRmT3_T4_T5_mT6_P12ihipStream_tbENKUlT_T0_E_clISt17integral_constantIbLb0EESW_IbLb1EEEEDaSS_ST_EUlSS_E0_NS1_11comp_targetILNS1_3genE9ELNS1_11target_archE1100ELNS1_3gpuE3ELNS1_3repE0EEENS1_30default_config_static_selectorELNS0_4arch9wavefront6targetE1EEEvT1_,@function
_ZN7rocprim17ROCPRIM_400000_NS6detail17trampoline_kernelINS0_14default_configENS1_20scan_config_selectorIyEEZZNS1_9scan_implILNS1_25lookback_scan_determinismE0ELb0ELb0ES3_N6thrust23THRUST_200600_302600_NS6detail15normal_iteratorINS9_10device_ptrIyEEEENS9_16discard_iteratorINS9_11use_defaultEEEy11max_functorIyEyEEDaPvRmT3_T4_T5_mT6_P12ihipStream_tbENKUlT_T0_E_clISt17integral_constantIbLb0EESW_IbLb1EEEEDaSS_ST_EUlSS_E0_NS1_11comp_targetILNS1_3genE9ELNS1_11target_archE1100ELNS1_3gpuE3ELNS1_3repE0EEENS1_30default_config_static_selectorELNS0_4arch9wavefront6targetE1EEEvT1_: ; @_ZN7rocprim17ROCPRIM_400000_NS6detail17trampoline_kernelINS0_14default_configENS1_20scan_config_selectorIyEEZZNS1_9scan_implILNS1_25lookback_scan_determinismE0ELb0ELb0ES3_N6thrust23THRUST_200600_302600_NS6detail15normal_iteratorINS9_10device_ptrIyEEEENS9_16discard_iteratorINS9_11use_defaultEEEy11max_functorIyEyEEDaPvRmT3_T4_T5_mT6_P12ihipStream_tbENKUlT_T0_E_clISt17integral_constantIbLb0EESW_IbLb1EEEEDaSS_ST_EUlSS_E0_NS1_11comp_targetILNS1_3genE9ELNS1_11target_archE1100ELNS1_3gpuE3ELNS1_3repE0EEENS1_30default_config_static_selectorELNS0_4arch9wavefront6targetE1EEEvT1_
; %bb.0:
	.section	.rodata,"a",@progbits
	.p2align	6, 0x0
	.amdhsa_kernel _ZN7rocprim17ROCPRIM_400000_NS6detail17trampoline_kernelINS0_14default_configENS1_20scan_config_selectorIyEEZZNS1_9scan_implILNS1_25lookback_scan_determinismE0ELb0ELb0ES3_N6thrust23THRUST_200600_302600_NS6detail15normal_iteratorINS9_10device_ptrIyEEEENS9_16discard_iteratorINS9_11use_defaultEEEy11max_functorIyEyEEDaPvRmT3_T4_T5_mT6_P12ihipStream_tbENKUlT_T0_E_clISt17integral_constantIbLb0EESW_IbLb1EEEEDaSS_ST_EUlSS_E0_NS1_11comp_targetILNS1_3genE9ELNS1_11target_archE1100ELNS1_3gpuE3ELNS1_3repE0EEENS1_30default_config_static_selectorELNS0_4arch9wavefront6targetE1EEEvT1_
		.amdhsa_group_segment_fixed_size 0
		.amdhsa_private_segment_fixed_size 0
		.amdhsa_kernarg_size 48
		.amdhsa_user_sgpr_count 6
		.amdhsa_user_sgpr_private_segment_buffer 1
		.amdhsa_user_sgpr_dispatch_ptr 0
		.amdhsa_user_sgpr_queue_ptr 0
		.amdhsa_user_sgpr_kernarg_segment_ptr 1
		.amdhsa_user_sgpr_dispatch_id 0
		.amdhsa_user_sgpr_flat_scratch_init 0
		.amdhsa_user_sgpr_kernarg_preload_length 0
		.amdhsa_user_sgpr_kernarg_preload_offset 0
		.amdhsa_user_sgpr_private_segment_size 0
		.amdhsa_uses_dynamic_stack 0
		.amdhsa_system_sgpr_private_segment_wavefront_offset 0
		.amdhsa_system_sgpr_workgroup_id_x 1
		.amdhsa_system_sgpr_workgroup_id_y 0
		.amdhsa_system_sgpr_workgroup_id_z 0
		.amdhsa_system_sgpr_workgroup_info 0
		.amdhsa_system_vgpr_workitem_id 0
		.amdhsa_next_free_vgpr 1
		.amdhsa_next_free_sgpr 0
		.amdhsa_accum_offset 4
		.amdhsa_reserve_vcc 0
		.amdhsa_reserve_flat_scratch 0
		.amdhsa_float_round_mode_32 0
		.amdhsa_float_round_mode_16_64 0
		.amdhsa_float_denorm_mode_32 3
		.amdhsa_float_denorm_mode_16_64 3
		.amdhsa_dx10_clamp 1
		.amdhsa_ieee_mode 1
		.amdhsa_fp16_overflow 0
		.amdhsa_tg_split 0
		.amdhsa_exception_fp_ieee_invalid_op 0
		.amdhsa_exception_fp_denorm_src 0
		.amdhsa_exception_fp_ieee_div_zero 0
		.amdhsa_exception_fp_ieee_overflow 0
		.amdhsa_exception_fp_ieee_underflow 0
		.amdhsa_exception_fp_ieee_inexact 0
		.amdhsa_exception_int_div_zero 0
	.end_amdhsa_kernel
	.section	.text._ZN7rocprim17ROCPRIM_400000_NS6detail17trampoline_kernelINS0_14default_configENS1_20scan_config_selectorIyEEZZNS1_9scan_implILNS1_25lookback_scan_determinismE0ELb0ELb0ES3_N6thrust23THRUST_200600_302600_NS6detail15normal_iteratorINS9_10device_ptrIyEEEENS9_16discard_iteratorINS9_11use_defaultEEEy11max_functorIyEyEEDaPvRmT3_T4_T5_mT6_P12ihipStream_tbENKUlT_T0_E_clISt17integral_constantIbLb0EESW_IbLb1EEEEDaSS_ST_EUlSS_E0_NS1_11comp_targetILNS1_3genE9ELNS1_11target_archE1100ELNS1_3gpuE3ELNS1_3repE0EEENS1_30default_config_static_selectorELNS0_4arch9wavefront6targetE1EEEvT1_,"axG",@progbits,_ZN7rocprim17ROCPRIM_400000_NS6detail17trampoline_kernelINS0_14default_configENS1_20scan_config_selectorIyEEZZNS1_9scan_implILNS1_25lookback_scan_determinismE0ELb0ELb0ES3_N6thrust23THRUST_200600_302600_NS6detail15normal_iteratorINS9_10device_ptrIyEEEENS9_16discard_iteratorINS9_11use_defaultEEEy11max_functorIyEyEEDaPvRmT3_T4_T5_mT6_P12ihipStream_tbENKUlT_T0_E_clISt17integral_constantIbLb0EESW_IbLb1EEEEDaSS_ST_EUlSS_E0_NS1_11comp_targetILNS1_3genE9ELNS1_11target_archE1100ELNS1_3gpuE3ELNS1_3repE0EEENS1_30default_config_static_selectorELNS0_4arch9wavefront6targetE1EEEvT1_,comdat
.Lfunc_end3348:
	.size	_ZN7rocprim17ROCPRIM_400000_NS6detail17trampoline_kernelINS0_14default_configENS1_20scan_config_selectorIyEEZZNS1_9scan_implILNS1_25lookback_scan_determinismE0ELb0ELb0ES3_N6thrust23THRUST_200600_302600_NS6detail15normal_iteratorINS9_10device_ptrIyEEEENS9_16discard_iteratorINS9_11use_defaultEEEy11max_functorIyEyEEDaPvRmT3_T4_T5_mT6_P12ihipStream_tbENKUlT_T0_E_clISt17integral_constantIbLb0EESW_IbLb1EEEEDaSS_ST_EUlSS_E0_NS1_11comp_targetILNS1_3genE9ELNS1_11target_archE1100ELNS1_3gpuE3ELNS1_3repE0EEENS1_30default_config_static_selectorELNS0_4arch9wavefront6targetE1EEEvT1_, .Lfunc_end3348-_ZN7rocprim17ROCPRIM_400000_NS6detail17trampoline_kernelINS0_14default_configENS1_20scan_config_selectorIyEEZZNS1_9scan_implILNS1_25lookback_scan_determinismE0ELb0ELb0ES3_N6thrust23THRUST_200600_302600_NS6detail15normal_iteratorINS9_10device_ptrIyEEEENS9_16discard_iteratorINS9_11use_defaultEEEy11max_functorIyEyEEDaPvRmT3_T4_T5_mT6_P12ihipStream_tbENKUlT_T0_E_clISt17integral_constantIbLb0EESW_IbLb1EEEEDaSS_ST_EUlSS_E0_NS1_11comp_targetILNS1_3genE9ELNS1_11target_archE1100ELNS1_3gpuE3ELNS1_3repE0EEENS1_30default_config_static_selectorELNS0_4arch9wavefront6targetE1EEEvT1_
                                        ; -- End function
	.section	.AMDGPU.csdata,"",@progbits
; Kernel info:
; codeLenInByte = 0
; NumSgprs: 4
; NumVgprs: 0
; NumAgprs: 0
; TotalNumVgprs: 0
; ScratchSize: 0
; MemoryBound: 0
; FloatMode: 240
; IeeeMode: 1
; LDSByteSize: 0 bytes/workgroup (compile time only)
; SGPRBlocks: 0
; VGPRBlocks: 0
; NumSGPRsForWavesPerEU: 4
; NumVGPRsForWavesPerEU: 1
; AccumOffset: 4
; Occupancy: 8
; WaveLimiterHint : 0
; COMPUTE_PGM_RSRC2:SCRATCH_EN: 0
; COMPUTE_PGM_RSRC2:USER_SGPR: 6
; COMPUTE_PGM_RSRC2:TRAP_HANDLER: 0
; COMPUTE_PGM_RSRC2:TGID_X_EN: 1
; COMPUTE_PGM_RSRC2:TGID_Y_EN: 0
; COMPUTE_PGM_RSRC2:TGID_Z_EN: 0
; COMPUTE_PGM_RSRC2:TIDIG_COMP_CNT: 0
; COMPUTE_PGM_RSRC3_GFX90A:ACCUM_OFFSET: 0
; COMPUTE_PGM_RSRC3_GFX90A:TG_SPLIT: 0
	.section	.text._ZN7rocprim17ROCPRIM_400000_NS6detail17trampoline_kernelINS0_14default_configENS1_20scan_config_selectorIyEEZZNS1_9scan_implILNS1_25lookback_scan_determinismE0ELb0ELb0ES3_N6thrust23THRUST_200600_302600_NS6detail15normal_iteratorINS9_10device_ptrIyEEEENS9_16discard_iteratorINS9_11use_defaultEEEy11max_functorIyEyEEDaPvRmT3_T4_T5_mT6_P12ihipStream_tbENKUlT_T0_E_clISt17integral_constantIbLb0EESW_IbLb1EEEEDaSS_ST_EUlSS_E0_NS1_11comp_targetILNS1_3genE8ELNS1_11target_archE1030ELNS1_3gpuE2ELNS1_3repE0EEENS1_30default_config_static_selectorELNS0_4arch9wavefront6targetE1EEEvT1_,"axG",@progbits,_ZN7rocprim17ROCPRIM_400000_NS6detail17trampoline_kernelINS0_14default_configENS1_20scan_config_selectorIyEEZZNS1_9scan_implILNS1_25lookback_scan_determinismE0ELb0ELb0ES3_N6thrust23THRUST_200600_302600_NS6detail15normal_iteratorINS9_10device_ptrIyEEEENS9_16discard_iteratorINS9_11use_defaultEEEy11max_functorIyEyEEDaPvRmT3_T4_T5_mT6_P12ihipStream_tbENKUlT_T0_E_clISt17integral_constantIbLb0EESW_IbLb1EEEEDaSS_ST_EUlSS_E0_NS1_11comp_targetILNS1_3genE8ELNS1_11target_archE1030ELNS1_3gpuE2ELNS1_3repE0EEENS1_30default_config_static_selectorELNS0_4arch9wavefront6targetE1EEEvT1_,comdat
	.protected	_ZN7rocprim17ROCPRIM_400000_NS6detail17trampoline_kernelINS0_14default_configENS1_20scan_config_selectorIyEEZZNS1_9scan_implILNS1_25lookback_scan_determinismE0ELb0ELb0ES3_N6thrust23THRUST_200600_302600_NS6detail15normal_iteratorINS9_10device_ptrIyEEEENS9_16discard_iteratorINS9_11use_defaultEEEy11max_functorIyEyEEDaPvRmT3_T4_T5_mT6_P12ihipStream_tbENKUlT_T0_E_clISt17integral_constantIbLb0EESW_IbLb1EEEEDaSS_ST_EUlSS_E0_NS1_11comp_targetILNS1_3genE8ELNS1_11target_archE1030ELNS1_3gpuE2ELNS1_3repE0EEENS1_30default_config_static_selectorELNS0_4arch9wavefront6targetE1EEEvT1_ ; -- Begin function _ZN7rocprim17ROCPRIM_400000_NS6detail17trampoline_kernelINS0_14default_configENS1_20scan_config_selectorIyEEZZNS1_9scan_implILNS1_25lookback_scan_determinismE0ELb0ELb0ES3_N6thrust23THRUST_200600_302600_NS6detail15normal_iteratorINS9_10device_ptrIyEEEENS9_16discard_iteratorINS9_11use_defaultEEEy11max_functorIyEyEEDaPvRmT3_T4_T5_mT6_P12ihipStream_tbENKUlT_T0_E_clISt17integral_constantIbLb0EESW_IbLb1EEEEDaSS_ST_EUlSS_E0_NS1_11comp_targetILNS1_3genE8ELNS1_11target_archE1030ELNS1_3gpuE2ELNS1_3repE0EEENS1_30default_config_static_selectorELNS0_4arch9wavefront6targetE1EEEvT1_
	.globl	_ZN7rocprim17ROCPRIM_400000_NS6detail17trampoline_kernelINS0_14default_configENS1_20scan_config_selectorIyEEZZNS1_9scan_implILNS1_25lookback_scan_determinismE0ELb0ELb0ES3_N6thrust23THRUST_200600_302600_NS6detail15normal_iteratorINS9_10device_ptrIyEEEENS9_16discard_iteratorINS9_11use_defaultEEEy11max_functorIyEyEEDaPvRmT3_T4_T5_mT6_P12ihipStream_tbENKUlT_T0_E_clISt17integral_constantIbLb0EESW_IbLb1EEEEDaSS_ST_EUlSS_E0_NS1_11comp_targetILNS1_3genE8ELNS1_11target_archE1030ELNS1_3gpuE2ELNS1_3repE0EEENS1_30default_config_static_selectorELNS0_4arch9wavefront6targetE1EEEvT1_
	.p2align	8
	.type	_ZN7rocprim17ROCPRIM_400000_NS6detail17trampoline_kernelINS0_14default_configENS1_20scan_config_selectorIyEEZZNS1_9scan_implILNS1_25lookback_scan_determinismE0ELb0ELb0ES3_N6thrust23THRUST_200600_302600_NS6detail15normal_iteratorINS9_10device_ptrIyEEEENS9_16discard_iteratorINS9_11use_defaultEEEy11max_functorIyEyEEDaPvRmT3_T4_T5_mT6_P12ihipStream_tbENKUlT_T0_E_clISt17integral_constantIbLb0EESW_IbLb1EEEEDaSS_ST_EUlSS_E0_NS1_11comp_targetILNS1_3genE8ELNS1_11target_archE1030ELNS1_3gpuE2ELNS1_3repE0EEENS1_30default_config_static_selectorELNS0_4arch9wavefront6targetE1EEEvT1_,@function
_ZN7rocprim17ROCPRIM_400000_NS6detail17trampoline_kernelINS0_14default_configENS1_20scan_config_selectorIyEEZZNS1_9scan_implILNS1_25lookback_scan_determinismE0ELb0ELb0ES3_N6thrust23THRUST_200600_302600_NS6detail15normal_iteratorINS9_10device_ptrIyEEEENS9_16discard_iteratorINS9_11use_defaultEEEy11max_functorIyEyEEDaPvRmT3_T4_T5_mT6_P12ihipStream_tbENKUlT_T0_E_clISt17integral_constantIbLb0EESW_IbLb1EEEEDaSS_ST_EUlSS_E0_NS1_11comp_targetILNS1_3genE8ELNS1_11target_archE1030ELNS1_3gpuE2ELNS1_3repE0EEENS1_30default_config_static_selectorELNS0_4arch9wavefront6targetE1EEEvT1_: ; @_ZN7rocprim17ROCPRIM_400000_NS6detail17trampoline_kernelINS0_14default_configENS1_20scan_config_selectorIyEEZZNS1_9scan_implILNS1_25lookback_scan_determinismE0ELb0ELb0ES3_N6thrust23THRUST_200600_302600_NS6detail15normal_iteratorINS9_10device_ptrIyEEEENS9_16discard_iteratorINS9_11use_defaultEEEy11max_functorIyEyEEDaPvRmT3_T4_T5_mT6_P12ihipStream_tbENKUlT_T0_E_clISt17integral_constantIbLb0EESW_IbLb1EEEEDaSS_ST_EUlSS_E0_NS1_11comp_targetILNS1_3genE8ELNS1_11target_archE1030ELNS1_3gpuE2ELNS1_3repE0EEENS1_30default_config_static_selectorELNS0_4arch9wavefront6targetE1EEEvT1_
; %bb.0:
	.section	.rodata,"a",@progbits
	.p2align	6, 0x0
	.amdhsa_kernel _ZN7rocprim17ROCPRIM_400000_NS6detail17trampoline_kernelINS0_14default_configENS1_20scan_config_selectorIyEEZZNS1_9scan_implILNS1_25lookback_scan_determinismE0ELb0ELb0ES3_N6thrust23THRUST_200600_302600_NS6detail15normal_iteratorINS9_10device_ptrIyEEEENS9_16discard_iteratorINS9_11use_defaultEEEy11max_functorIyEyEEDaPvRmT3_T4_T5_mT6_P12ihipStream_tbENKUlT_T0_E_clISt17integral_constantIbLb0EESW_IbLb1EEEEDaSS_ST_EUlSS_E0_NS1_11comp_targetILNS1_3genE8ELNS1_11target_archE1030ELNS1_3gpuE2ELNS1_3repE0EEENS1_30default_config_static_selectorELNS0_4arch9wavefront6targetE1EEEvT1_
		.amdhsa_group_segment_fixed_size 0
		.amdhsa_private_segment_fixed_size 0
		.amdhsa_kernarg_size 48
		.amdhsa_user_sgpr_count 6
		.amdhsa_user_sgpr_private_segment_buffer 1
		.amdhsa_user_sgpr_dispatch_ptr 0
		.amdhsa_user_sgpr_queue_ptr 0
		.amdhsa_user_sgpr_kernarg_segment_ptr 1
		.amdhsa_user_sgpr_dispatch_id 0
		.amdhsa_user_sgpr_flat_scratch_init 0
		.amdhsa_user_sgpr_kernarg_preload_length 0
		.amdhsa_user_sgpr_kernarg_preload_offset 0
		.amdhsa_user_sgpr_private_segment_size 0
		.amdhsa_uses_dynamic_stack 0
		.amdhsa_system_sgpr_private_segment_wavefront_offset 0
		.amdhsa_system_sgpr_workgroup_id_x 1
		.amdhsa_system_sgpr_workgroup_id_y 0
		.amdhsa_system_sgpr_workgroup_id_z 0
		.amdhsa_system_sgpr_workgroup_info 0
		.amdhsa_system_vgpr_workitem_id 0
		.amdhsa_next_free_vgpr 1
		.amdhsa_next_free_sgpr 0
		.amdhsa_accum_offset 4
		.amdhsa_reserve_vcc 0
		.amdhsa_reserve_flat_scratch 0
		.amdhsa_float_round_mode_32 0
		.amdhsa_float_round_mode_16_64 0
		.amdhsa_float_denorm_mode_32 3
		.amdhsa_float_denorm_mode_16_64 3
		.amdhsa_dx10_clamp 1
		.amdhsa_ieee_mode 1
		.amdhsa_fp16_overflow 0
		.amdhsa_tg_split 0
		.amdhsa_exception_fp_ieee_invalid_op 0
		.amdhsa_exception_fp_denorm_src 0
		.amdhsa_exception_fp_ieee_div_zero 0
		.amdhsa_exception_fp_ieee_overflow 0
		.amdhsa_exception_fp_ieee_underflow 0
		.amdhsa_exception_fp_ieee_inexact 0
		.amdhsa_exception_int_div_zero 0
	.end_amdhsa_kernel
	.section	.text._ZN7rocprim17ROCPRIM_400000_NS6detail17trampoline_kernelINS0_14default_configENS1_20scan_config_selectorIyEEZZNS1_9scan_implILNS1_25lookback_scan_determinismE0ELb0ELb0ES3_N6thrust23THRUST_200600_302600_NS6detail15normal_iteratorINS9_10device_ptrIyEEEENS9_16discard_iteratorINS9_11use_defaultEEEy11max_functorIyEyEEDaPvRmT3_T4_T5_mT6_P12ihipStream_tbENKUlT_T0_E_clISt17integral_constantIbLb0EESW_IbLb1EEEEDaSS_ST_EUlSS_E0_NS1_11comp_targetILNS1_3genE8ELNS1_11target_archE1030ELNS1_3gpuE2ELNS1_3repE0EEENS1_30default_config_static_selectorELNS0_4arch9wavefront6targetE1EEEvT1_,"axG",@progbits,_ZN7rocprim17ROCPRIM_400000_NS6detail17trampoline_kernelINS0_14default_configENS1_20scan_config_selectorIyEEZZNS1_9scan_implILNS1_25lookback_scan_determinismE0ELb0ELb0ES3_N6thrust23THRUST_200600_302600_NS6detail15normal_iteratorINS9_10device_ptrIyEEEENS9_16discard_iteratorINS9_11use_defaultEEEy11max_functorIyEyEEDaPvRmT3_T4_T5_mT6_P12ihipStream_tbENKUlT_T0_E_clISt17integral_constantIbLb0EESW_IbLb1EEEEDaSS_ST_EUlSS_E0_NS1_11comp_targetILNS1_3genE8ELNS1_11target_archE1030ELNS1_3gpuE2ELNS1_3repE0EEENS1_30default_config_static_selectorELNS0_4arch9wavefront6targetE1EEEvT1_,comdat
.Lfunc_end3349:
	.size	_ZN7rocprim17ROCPRIM_400000_NS6detail17trampoline_kernelINS0_14default_configENS1_20scan_config_selectorIyEEZZNS1_9scan_implILNS1_25lookback_scan_determinismE0ELb0ELb0ES3_N6thrust23THRUST_200600_302600_NS6detail15normal_iteratorINS9_10device_ptrIyEEEENS9_16discard_iteratorINS9_11use_defaultEEEy11max_functorIyEyEEDaPvRmT3_T4_T5_mT6_P12ihipStream_tbENKUlT_T0_E_clISt17integral_constantIbLb0EESW_IbLb1EEEEDaSS_ST_EUlSS_E0_NS1_11comp_targetILNS1_3genE8ELNS1_11target_archE1030ELNS1_3gpuE2ELNS1_3repE0EEENS1_30default_config_static_selectorELNS0_4arch9wavefront6targetE1EEEvT1_, .Lfunc_end3349-_ZN7rocprim17ROCPRIM_400000_NS6detail17trampoline_kernelINS0_14default_configENS1_20scan_config_selectorIyEEZZNS1_9scan_implILNS1_25lookback_scan_determinismE0ELb0ELb0ES3_N6thrust23THRUST_200600_302600_NS6detail15normal_iteratorINS9_10device_ptrIyEEEENS9_16discard_iteratorINS9_11use_defaultEEEy11max_functorIyEyEEDaPvRmT3_T4_T5_mT6_P12ihipStream_tbENKUlT_T0_E_clISt17integral_constantIbLb0EESW_IbLb1EEEEDaSS_ST_EUlSS_E0_NS1_11comp_targetILNS1_3genE8ELNS1_11target_archE1030ELNS1_3gpuE2ELNS1_3repE0EEENS1_30default_config_static_selectorELNS0_4arch9wavefront6targetE1EEEvT1_
                                        ; -- End function
	.section	.AMDGPU.csdata,"",@progbits
; Kernel info:
; codeLenInByte = 0
; NumSgprs: 4
; NumVgprs: 0
; NumAgprs: 0
; TotalNumVgprs: 0
; ScratchSize: 0
; MemoryBound: 0
; FloatMode: 240
; IeeeMode: 1
; LDSByteSize: 0 bytes/workgroup (compile time only)
; SGPRBlocks: 0
; VGPRBlocks: 0
; NumSGPRsForWavesPerEU: 4
; NumVGPRsForWavesPerEU: 1
; AccumOffset: 4
; Occupancy: 8
; WaveLimiterHint : 0
; COMPUTE_PGM_RSRC2:SCRATCH_EN: 0
; COMPUTE_PGM_RSRC2:USER_SGPR: 6
; COMPUTE_PGM_RSRC2:TRAP_HANDLER: 0
; COMPUTE_PGM_RSRC2:TGID_X_EN: 1
; COMPUTE_PGM_RSRC2:TGID_Y_EN: 0
; COMPUTE_PGM_RSRC2:TGID_Z_EN: 0
; COMPUTE_PGM_RSRC2:TIDIG_COMP_CNT: 0
; COMPUTE_PGM_RSRC3_GFX90A:ACCUM_OFFSET: 0
; COMPUTE_PGM_RSRC3_GFX90A:TG_SPLIT: 0
	.section	.text._ZN7rocprim17ROCPRIM_400000_NS6detail17trampoline_kernelINS0_14default_configENS1_20scan_config_selectorIyEEZZNS1_9scan_implILNS1_25lookback_scan_determinismE0ELb1ELb1ES3_N6thrust23THRUST_200600_302600_NS6detail15normal_iteratorINS9_10device_ptrIyEEEENS9_16discard_iteratorINS9_11use_defaultEEEy11max_functorIyEyEEDaPvRmT3_T4_T5_mT6_P12ihipStream_tbENKUlT_T0_E_clISt17integral_constantIbLb0EESX_EEDaSS_ST_EUlSS_E_NS1_11comp_targetILNS1_3genE0ELNS1_11target_archE4294967295ELNS1_3gpuE0ELNS1_3repE0EEENS1_30default_config_static_selectorELNS0_4arch9wavefront6targetE1EEEvT1_,"axG",@progbits,_ZN7rocprim17ROCPRIM_400000_NS6detail17trampoline_kernelINS0_14default_configENS1_20scan_config_selectorIyEEZZNS1_9scan_implILNS1_25lookback_scan_determinismE0ELb1ELb1ES3_N6thrust23THRUST_200600_302600_NS6detail15normal_iteratorINS9_10device_ptrIyEEEENS9_16discard_iteratorINS9_11use_defaultEEEy11max_functorIyEyEEDaPvRmT3_T4_T5_mT6_P12ihipStream_tbENKUlT_T0_E_clISt17integral_constantIbLb0EESX_EEDaSS_ST_EUlSS_E_NS1_11comp_targetILNS1_3genE0ELNS1_11target_archE4294967295ELNS1_3gpuE0ELNS1_3repE0EEENS1_30default_config_static_selectorELNS0_4arch9wavefront6targetE1EEEvT1_,comdat
	.protected	_ZN7rocprim17ROCPRIM_400000_NS6detail17trampoline_kernelINS0_14default_configENS1_20scan_config_selectorIyEEZZNS1_9scan_implILNS1_25lookback_scan_determinismE0ELb1ELb1ES3_N6thrust23THRUST_200600_302600_NS6detail15normal_iteratorINS9_10device_ptrIyEEEENS9_16discard_iteratorINS9_11use_defaultEEEy11max_functorIyEyEEDaPvRmT3_T4_T5_mT6_P12ihipStream_tbENKUlT_T0_E_clISt17integral_constantIbLb0EESX_EEDaSS_ST_EUlSS_E_NS1_11comp_targetILNS1_3genE0ELNS1_11target_archE4294967295ELNS1_3gpuE0ELNS1_3repE0EEENS1_30default_config_static_selectorELNS0_4arch9wavefront6targetE1EEEvT1_ ; -- Begin function _ZN7rocprim17ROCPRIM_400000_NS6detail17trampoline_kernelINS0_14default_configENS1_20scan_config_selectorIyEEZZNS1_9scan_implILNS1_25lookback_scan_determinismE0ELb1ELb1ES3_N6thrust23THRUST_200600_302600_NS6detail15normal_iteratorINS9_10device_ptrIyEEEENS9_16discard_iteratorINS9_11use_defaultEEEy11max_functorIyEyEEDaPvRmT3_T4_T5_mT6_P12ihipStream_tbENKUlT_T0_E_clISt17integral_constantIbLb0EESX_EEDaSS_ST_EUlSS_E_NS1_11comp_targetILNS1_3genE0ELNS1_11target_archE4294967295ELNS1_3gpuE0ELNS1_3repE0EEENS1_30default_config_static_selectorELNS0_4arch9wavefront6targetE1EEEvT1_
	.globl	_ZN7rocprim17ROCPRIM_400000_NS6detail17trampoline_kernelINS0_14default_configENS1_20scan_config_selectorIyEEZZNS1_9scan_implILNS1_25lookback_scan_determinismE0ELb1ELb1ES3_N6thrust23THRUST_200600_302600_NS6detail15normal_iteratorINS9_10device_ptrIyEEEENS9_16discard_iteratorINS9_11use_defaultEEEy11max_functorIyEyEEDaPvRmT3_T4_T5_mT6_P12ihipStream_tbENKUlT_T0_E_clISt17integral_constantIbLb0EESX_EEDaSS_ST_EUlSS_E_NS1_11comp_targetILNS1_3genE0ELNS1_11target_archE4294967295ELNS1_3gpuE0ELNS1_3repE0EEENS1_30default_config_static_selectorELNS0_4arch9wavefront6targetE1EEEvT1_
	.p2align	8
	.type	_ZN7rocprim17ROCPRIM_400000_NS6detail17trampoline_kernelINS0_14default_configENS1_20scan_config_selectorIyEEZZNS1_9scan_implILNS1_25lookback_scan_determinismE0ELb1ELb1ES3_N6thrust23THRUST_200600_302600_NS6detail15normal_iteratorINS9_10device_ptrIyEEEENS9_16discard_iteratorINS9_11use_defaultEEEy11max_functorIyEyEEDaPvRmT3_T4_T5_mT6_P12ihipStream_tbENKUlT_T0_E_clISt17integral_constantIbLb0EESX_EEDaSS_ST_EUlSS_E_NS1_11comp_targetILNS1_3genE0ELNS1_11target_archE4294967295ELNS1_3gpuE0ELNS1_3repE0EEENS1_30default_config_static_selectorELNS0_4arch9wavefront6targetE1EEEvT1_,@function
_ZN7rocprim17ROCPRIM_400000_NS6detail17trampoline_kernelINS0_14default_configENS1_20scan_config_selectorIyEEZZNS1_9scan_implILNS1_25lookback_scan_determinismE0ELb1ELb1ES3_N6thrust23THRUST_200600_302600_NS6detail15normal_iteratorINS9_10device_ptrIyEEEENS9_16discard_iteratorINS9_11use_defaultEEEy11max_functorIyEyEEDaPvRmT3_T4_T5_mT6_P12ihipStream_tbENKUlT_T0_E_clISt17integral_constantIbLb0EESX_EEDaSS_ST_EUlSS_E_NS1_11comp_targetILNS1_3genE0ELNS1_11target_archE4294967295ELNS1_3gpuE0ELNS1_3repE0EEENS1_30default_config_static_selectorELNS0_4arch9wavefront6targetE1EEEvT1_: ; @_ZN7rocprim17ROCPRIM_400000_NS6detail17trampoline_kernelINS0_14default_configENS1_20scan_config_selectorIyEEZZNS1_9scan_implILNS1_25lookback_scan_determinismE0ELb1ELb1ES3_N6thrust23THRUST_200600_302600_NS6detail15normal_iteratorINS9_10device_ptrIyEEEENS9_16discard_iteratorINS9_11use_defaultEEEy11max_functorIyEyEEDaPvRmT3_T4_T5_mT6_P12ihipStream_tbENKUlT_T0_E_clISt17integral_constantIbLb0EESX_EEDaSS_ST_EUlSS_E_NS1_11comp_targetILNS1_3genE0ELNS1_11target_archE4294967295ELNS1_3gpuE0ELNS1_3repE0EEENS1_30default_config_static_selectorELNS0_4arch9wavefront6targetE1EEEvT1_
; %bb.0:
	.section	.rodata,"a",@progbits
	.p2align	6, 0x0
	.amdhsa_kernel _ZN7rocprim17ROCPRIM_400000_NS6detail17trampoline_kernelINS0_14default_configENS1_20scan_config_selectorIyEEZZNS1_9scan_implILNS1_25lookback_scan_determinismE0ELb1ELb1ES3_N6thrust23THRUST_200600_302600_NS6detail15normal_iteratorINS9_10device_ptrIyEEEENS9_16discard_iteratorINS9_11use_defaultEEEy11max_functorIyEyEEDaPvRmT3_T4_T5_mT6_P12ihipStream_tbENKUlT_T0_E_clISt17integral_constantIbLb0EESX_EEDaSS_ST_EUlSS_E_NS1_11comp_targetILNS1_3genE0ELNS1_11target_archE4294967295ELNS1_3gpuE0ELNS1_3repE0EEENS1_30default_config_static_selectorELNS0_4arch9wavefront6targetE1EEEvT1_
		.amdhsa_group_segment_fixed_size 0
		.amdhsa_private_segment_fixed_size 0
		.amdhsa_kernarg_size 112
		.amdhsa_user_sgpr_count 6
		.amdhsa_user_sgpr_private_segment_buffer 1
		.amdhsa_user_sgpr_dispatch_ptr 0
		.amdhsa_user_sgpr_queue_ptr 0
		.amdhsa_user_sgpr_kernarg_segment_ptr 1
		.amdhsa_user_sgpr_dispatch_id 0
		.amdhsa_user_sgpr_flat_scratch_init 0
		.amdhsa_user_sgpr_kernarg_preload_length 0
		.amdhsa_user_sgpr_kernarg_preload_offset 0
		.amdhsa_user_sgpr_private_segment_size 0
		.amdhsa_uses_dynamic_stack 0
		.amdhsa_system_sgpr_private_segment_wavefront_offset 0
		.amdhsa_system_sgpr_workgroup_id_x 1
		.amdhsa_system_sgpr_workgroup_id_y 0
		.amdhsa_system_sgpr_workgroup_id_z 0
		.amdhsa_system_sgpr_workgroup_info 0
		.amdhsa_system_vgpr_workitem_id 0
		.amdhsa_next_free_vgpr 1
		.amdhsa_next_free_sgpr 0
		.amdhsa_accum_offset 4
		.amdhsa_reserve_vcc 0
		.amdhsa_reserve_flat_scratch 0
		.amdhsa_float_round_mode_32 0
		.amdhsa_float_round_mode_16_64 0
		.amdhsa_float_denorm_mode_32 3
		.amdhsa_float_denorm_mode_16_64 3
		.amdhsa_dx10_clamp 1
		.amdhsa_ieee_mode 1
		.amdhsa_fp16_overflow 0
		.amdhsa_tg_split 0
		.amdhsa_exception_fp_ieee_invalid_op 0
		.amdhsa_exception_fp_denorm_src 0
		.amdhsa_exception_fp_ieee_div_zero 0
		.amdhsa_exception_fp_ieee_overflow 0
		.amdhsa_exception_fp_ieee_underflow 0
		.amdhsa_exception_fp_ieee_inexact 0
		.amdhsa_exception_int_div_zero 0
	.end_amdhsa_kernel
	.section	.text._ZN7rocprim17ROCPRIM_400000_NS6detail17trampoline_kernelINS0_14default_configENS1_20scan_config_selectorIyEEZZNS1_9scan_implILNS1_25lookback_scan_determinismE0ELb1ELb1ES3_N6thrust23THRUST_200600_302600_NS6detail15normal_iteratorINS9_10device_ptrIyEEEENS9_16discard_iteratorINS9_11use_defaultEEEy11max_functorIyEyEEDaPvRmT3_T4_T5_mT6_P12ihipStream_tbENKUlT_T0_E_clISt17integral_constantIbLb0EESX_EEDaSS_ST_EUlSS_E_NS1_11comp_targetILNS1_3genE0ELNS1_11target_archE4294967295ELNS1_3gpuE0ELNS1_3repE0EEENS1_30default_config_static_selectorELNS0_4arch9wavefront6targetE1EEEvT1_,"axG",@progbits,_ZN7rocprim17ROCPRIM_400000_NS6detail17trampoline_kernelINS0_14default_configENS1_20scan_config_selectorIyEEZZNS1_9scan_implILNS1_25lookback_scan_determinismE0ELb1ELb1ES3_N6thrust23THRUST_200600_302600_NS6detail15normal_iteratorINS9_10device_ptrIyEEEENS9_16discard_iteratorINS9_11use_defaultEEEy11max_functorIyEyEEDaPvRmT3_T4_T5_mT6_P12ihipStream_tbENKUlT_T0_E_clISt17integral_constantIbLb0EESX_EEDaSS_ST_EUlSS_E_NS1_11comp_targetILNS1_3genE0ELNS1_11target_archE4294967295ELNS1_3gpuE0ELNS1_3repE0EEENS1_30default_config_static_selectorELNS0_4arch9wavefront6targetE1EEEvT1_,comdat
.Lfunc_end3350:
	.size	_ZN7rocprim17ROCPRIM_400000_NS6detail17trampoline_kernelINS0_14default_configENS1_20scan_config_selectorIyEEZZNS1_9scan_implILNS1_25lookback_scan_determinismE0ELb1ELb1ES3_N6thrust23THRUST_200600_302600_NS6detail15normal_iteratorINS9_10device_ptrIyEEEENS9_16discard_iteratorINS9_11use_defaultEEEy11max_functorIyEyEEDaPvRmT3_T4_T5_mT6_P12ihipStream_tbENKUlT_T0_E_clISt17integral_constantIbLb0EESX_EEDaSS_ST_EUlSS_E_NS1_11comp_targetILNS1_3genE0ELNS1_11target_archE4294967295ELNS1_3gpuE0ELNS1_3repE0EEENS1_30default_config_static_selectorELNS0_4arch9wavefront6targetE1EEEvT1_, .Lfunc_end3350-_ZN7rocprim17ROCPRIM_400000_NS6detail17trampoline_kernelINS0_14default_configENS1_20scan_config_selectorIyEEZZNS1_9scan_implILNS1_25lookback_scan_determinismE0ELb1ELb1ES3_N6thrust23THRUST_200600_302600_NS6detail15normal_iteratorINS9_10device_ptrIyEEEENS9_16discard_iteratorINS9_11use_defaultEEEy11max_functorIyEyEEDaPvRmT3_T4_T5_mT6_P12ihipStream_tbENKUlT_T0_E_clISt17integral_constantIbLb0EESX_EEDaSS_ST_EUlSS_E_NS1_11comp_targetILNS1_3genE0ELNS1_11target_archE4294967295ELNS1_3gpuE0ELNS1_3repE0EEENS1_30default_config_static_selectorELNS0_4arch9wavefront6targetE1EEEvT1_
                                        ; -- End function
	.section	.AMDGPU.csdata,"",@progbits
; Kernel info:
; codeLenInByte = 0
; NumSgprs: 4
; NumVgprs: 0
; NumAgprs: 0
; TotalNumVgprs: 0
; ScratchSize: 0
; MemoryBound: 0
; FloatMode: 240
; IeeeMode: 1
; LDSByteSize: 0 bytes/workgroup (compile time only)
; SGPRBlocks: 0
; VGPRBlocks: 0
; NumSGPRsForWavesPerEU: 4
; NumVGPRsForWavesPerEU: 1
; AccumOffset: 4
; Occupancy: 8
; WaveLimiterHint : 0
; COMPUTE_PGM_RSRC2:SCRATCH_EN: 0
; COMPUTE_PGM_RSRC2:USER_SGPR: 6
; COMPUTE_PGM_RSRC2:TRAP_HANDLER: 0
; COMPUTE_PGM_RSRC2:TGID_X_EN: 1
; COMPUTE_PGM_RSRC2:TGID_Y_EN: 0
; COMPUTE_PGM_RSRC2:TGID_Z_EN: 0
; COMPUTE_PGM_RSRC2:TIDIG_COMP_CNT: 0
; COMPUTE_PGM_RSRC3_GFX90A:ACCUM_OFFSET: 0
; COMPUTE_PGM_RSRC3_GFX90A:TG_SPLIT: 0
	.section	.text._ZN7rocprim17ROCPRIM_400000_NS6detail17trampoline_kernelINS0_14default_configENS1_20scan_config_selectorIyEEZZNS1_9scan_implILNS1_25lookback_scan_determinismE0ELb1ELb1ES3_N6thrust23THRUST_200600_302600_NS6detail15normal_iteratorINS9_10device_ptrIyEEEENS9_16discard_iteratorINS9_11use_defaultEEEy11max_functorIyEyEEDaPvRmT3_T4_T5_mT6_P12ihipStream_tbENKUlT_T0_E_clISt17integral_constantIbLb0EESX_EEDaSS_ST_EUlSS_E_NS1_11comp_targetILNS1_3genE5ELNS1_11target_archE942ELNS1_3gpuE9ELNS1_3repE0EEENS1_30default_config_static_selectorELNS0_4arch9wavefront6targetE1EEEvT1_,"axG",@progbits,_ZN7rocprim17ROCPRIM_400000_NS6detail17trampoline_kernelINS0_14default_configENS1_20scan_config_selectorIyEEZZNS1_9scan_implILNS1_25lookback_scan_determinismE0ELb1ELb1ES3_N6thrust23THRUST_200600_302600_NS6detail15normal_iteratorINS9_10device_ptrIyEEEENS9_16discard_iteratorINS9_11use_defaultEEEy11max_functorIyEyEEDaPvRmT3_T4_T5_mT6_P12ihipStream_tbENKUlT_T0_E_clISt17integral_constantIbLb0EESX_EEDaSS_ST_EUlSS_E_NS1_11comp_targetILNS1_3genE5ELNS1_11target_archE942ELNS1_3gpuE9ELNS1_3repE0EEENS1_30default_config_static_selectorELNS0_4arch9wavefront6targetE1EEEvT1_,comdat
	.protected	_ZN7rocprim17ROCPRIM_400000_NS6detail17trampoline_kernelINS0_14default_configENS1_20scan_config_selectorIyEEZZNS1_9scan_implILNS1_25lookback_scan_determinismE0ELb1ELb1ES3_N6thrust23THRUST_200600_302600_NS6detail15normal_iteratorINS9_10device_ptrIyEEEENS9_16discard_iteratorINS9_11use_defaultEEEy11max_functorIyEyEEDaPvRmT3_T4_T5_mT6_P12ihipStream_tbENKUlT_T0_E_clISt17integral_constantIbLb0EESX_EEDaSS_ST_EUlSS_E_NS1_11comp_targetILNS1_3genE5ELNS1_11target_archE942ELNS1_3gpuE9ELNS1_3repE0EEENS1_30default_config_static_selectorELNS0_4arch9wavefront6targetE1EEEvT1_ ; -- Begin function _ZN7rocprim17ROCPRIM_400000_NS6detail17trampoline_kernelINS0_14default_configENS1_20scan_config_selectorIyEEZZNS1_9scan_implILNS1_25lookback_scan_determinismE0ELb1ELb1ES3_N6thrust23THRUST_200600_302600_NS6detail15normal_iteratorINS9_10device_ptrIyEEEENS9_16discard_iteratorINS9_11use_defaultEEEy11max_functorIyEyEEDaPvRmT3_T4_T5_mT6_P12ihipStream_tbENKUlT_T0_E_clISt17integral_constantIbLb0EESX_EEDaSS_ST_EUlSS_E_NS1_11comp_targetILNS1_3genE5ELNS1_11target_archE942ELNS1_3gpuE9ELNS1_3repE0EEENS1_30default_config_static_selectorELNS0_4arch9wavefront6targetE1EEEvT1_
	.globl	_ZN7rocprim17ROCPRIM_400000_NS6detail17trampoline_kernelINS0_14default_configENS1_20scan_config_selectorIyEEZZNS1_9scan_implILNS1_25lookback_scan_determinismE0ELb1ELb1ES3_N6thrust23THRUST_200600_302600_NS6detail15normal_iteratorINS9_10device_ptrIyEEEENS9_16discard_iteratorINS9_11use_defaultEEEy11max_functorIyEyEEDaPvRmT3_T4_T5_mT6_P12ihipStream_tbENKUlT_T0_E_clISt17integral_constantIbLb0EESX_EEDaSS_ST_EUlSS_E_NS1_11comp_targetILNS1_3genE5ELNS1_11target_archE942ELNS1_3gpuE9ELNS1_3repE0EEENS1_30default_config_static_selectorELNS0_4arch9wavefront6targetE1EEEvT1_
	.p2align	8
	.type	_ZN7rocprim17ROCPRIM_400000_NS6detail17trampoline_kernelINS0_14default_configENS1_20scan_config_selectorIyEEZZNS1_9scan_implILNS1_25lookback_scan_determinismE0ELb1ELb1ES3_N6thrust23THRUST_200600_302600_NS6detail15normal_iteratorINS9_10device_ptrIyEEEENS9_16discard_iteratorINS9_11use_defaultEEEy11max_functorIyEyEEDaPvRmT3_T4_T5_mT6_P12ihipStream_tbENKUlT_T0_E_clISt17integral_constantIbLb0EESX_EEDaSS_ST_EUlSS_E_NS1_11comp_targetILNS1_3genE5ELNS1_11target_archE942ELNS1_3gpuE9ELNS1_3repE0EEENS1_30default_config_static_selectorELNS0_4arch9wavefront6targetE1EEEvT1_,@function
_ZN7rocprim17ROCPRIM_400000_NS6detail17trampoline_kernelINS0_14default_configENS1_20scan_config_selectorIyEEZZNS1_9scan_implILNS1_25lookback_scan_determinismE0ELb1ELb1ES3_N6thrust23THRUST_200600_302600_NS6detail15normal_iteratorINS9_10device_ptrIyEEEENS9_16discard_iteratorINS9_11use_defaultEEEy11max_functorIyEyEEDaPvRmT3_T4_T5_mT6_P12ihipStream_tbENKUlT_T0_E_clISt17integral_constantIbLb0EESX_EEDaSS_ST_EUlSS_E_NS1_11comp_targetILNS1_3genE5ELNS1_11target_archE942ELNS1_3gpuE9ELNS1_3repE0EEENS1_30default_config_static_selectorELNS0_4arch9wavefront6targetE1EEEvT1_: ; @_ZN7rocprim17ROCPRIM_400000_NS6detail17trampoline_kernelINS0_14default_configENS1_20scan_config_selectorIyEEZZNS1_9scan_implILNS1_25lookback_scan_determinismE0ELb1ELb1ES3_N6thrust23THRUST_200600_302600_NS6detail15normal_iteratorINS9_10device_ptrIyEEEENS9_16discard_iteratorINS9_11use_defaultEEEy11max_functorIyEyEEDaPvRmT3_T4_T5_mT6_P12ihipStream_tbENKUlT_T0_E_clISt17integral_constantIbLb0EESX_EEDaSS_ST_EUlSS_E_NS1_11comp_targetILNS1_3genE5ELNS1_11target_archE942ELNS1_3gpuE9ELNS1_3repE0EEENS1_30default_config_static_selectorELNS0_4arch9wavefront6targetE1EEEvT1_
; %bb.0:
	.section	.rodata,"a",@progbits
	.p2align	6, 0x0
	.amdhsa_kernel _ZN7rocprim17ROCPRIM_400000_NS6detail17trampoline_kernelINS0_14default_configENS1_20scan_config_selectorIyEEZZNS1_9scan_implILNS1_25lookback_scan_determinismE0ELb1ELb1ES3_N6thrust23THRUST_200600_302600_NS6detail15normal_iteratorINS9_10device_ptrIyEEEENS9_16discard_iteratorINS9_11use_defaultEEEy11max_functorIyEyEEDaPvRmT3_T4_T5_mT6_P12ihipStream_tbENKUlT_T0_E_clISt17integral_constantIbLb0EESX_EEDaSS_ST_EUlSS_E_NS1_11comp_targetILNS1_3genE5ELNS1_11target_archE942ELNS1_3gpuE9ELNS1_3repE0EEENS1_30default_config_static_selectorELNS0_4arch9wavefront6targetE1EEEvT1_
		.amdhsa_group_segment_fixed_size 0
		.amdhsa_private_segment_fixed_size 0
		.amdhsa_kernarg_size 112
		.amdhsa_user_sgpr_count 6
		.amdhsa_user_sgpr_private_segment_buffer 1
		.amdhsa_user_sgpr_dispatch_ptr 0
		.amdhsa_user_sgpr_queue_ptr 0
		.amdhsa_user_sgpr_kernarg_segment_ptr 1
		.amdhsa_user_sgpr_dispatch_id 0
		.amdhsa_user_sgpr_flat_scratch_init 0
		.amdhsa_user_sgpr_kernarg_preload_length 0
		.amdhsa_user_sgpr_kernarg_preload_offset 0
		.amdhsa_user_sgpr_private_segment_size 0
		.amdhsa_uses_dynamic_stack 0
		.amdhsa_system_sgpr_private_segment_wavefront_offset 0
		.amdhsa_system_sgpr_workgroup_id_x 1
		.amdhsa_system_sgpr_workgroup_id_y 0
		.amdhsa_system_sgpr_workgroup_id_z 0
		.amdhsa_system_sgpr_workgroup_info 0
		.amdhsa_system_vgpr_workitem_id 0
		.amdhsa_next_free_vgpr 1
		.amdhsa_next_free_sgpr 0
		.amdhsa_accum_offset 4
		.amdhsa_reserve_vcc 0
		.amdhsa_reserve_flat_scratch 0
		.amdhsa_float_round_mode_32 0
		.amdhsa_float_round_mode_16_64 0
		.amdhsa_float_denorm_mode_32 3
		.amdhsa_float_denorm_mode_16_64 3
		.amdhsa_dx10_clamp 1
		.amdhsa_ieee_mode 1
		.amdhsa_fp16_overflow 0
		.amdhsa_tg_split 0
		.amdhsa_exception_fp_ieee_invalid_op 0
		.amdhsa_exception_fp_denorm_src 0
		.amdhsa_exception_fp_ieee_div_zero 0
		.amdhsa_exception_fp_ieee_overflow 0
		.amdhsa_exception_fp_ieee_underflow 0
		.amdhsa_exception_fp_ieee_inexact 0
		.amdhsa_exception_int_div_zero 0
	.end_amdhsa_kernel
	.section	.text._ZN7rocprim17ROCPRIM_400000_NS6detail17trampoline_kernelINS0_14default_configENS1_20scan_config_selectorIyEEZZNS1_9scan_implILNS1_25lookback_scan_determinismE0ELb1ELb1ES3_N6thrust23THRUST_200600_302600_NS6detail15normal_iteratorINS9_10device_ptrIyEEEENS9_16discard_iteratorINS9_11use_defaultEEEy11max_functorIyEyEEDaPvRmT3_T4_T5_mT6_P12ihipStream_tbENKUlT_T0_E_clISt17integral_constantIbLb0EESX_EEDaSS_ST_EUlSS_E_NS1_11comp_targetILNS1_3genE5ELNS1_11target_archE942ELNS1_3gpuE9ELNS1_3repE0EEENS1_30default_config_static_selectorELNS0_4arch9wavefront6targetE1EEEvT1_,"axG",@progbits,_ZN7rocprim17ROCPRIM_400000_NS6detail17trampoline_kernelINS0_14default_configENS1_20scan_config_selectorIyEEZZNS1_9scan_implILNS1_25lookback_scan_determinismE0ELb1ELb1ES3_N6thrust23THRUST_200600_302600_NS6detail15normal_iteratorINS9_10device_ptrIyEEEENS9_16discard_iteratorINS9_11use_defaultEEEy11max_functorIyEyEEDaPvRmT3_T4_T5_mT6_P12ihipStream_tbENKUlT_T0_E_clISt17integral_constantIbLb0EESX_EEDaSS_ST_EUlSS_E_NS1_11comp_targetILNS1_3genE5ELNS1_11target_archE942ELNS1_3gpuE9ELNS1_3repE0EEENS1_30default_config_static_selectorELNS0_4arch9wavefront6targetE1EEEvT1_,comdat
.Lfunc_end3351:
	.size	_ZN7rocprim17ROCPRIM_400000_NS6detail17trampoline_kernelINS0_14default_configENS1_20scan_config_selectorIyEEZZNS1_9scan_implILNS1_25lookback_scan_determinismE0ELb1ELb1ES3_N6thrust23THRUST_200600_302600_NS6detail15normal_iteratorINS9_10device_ptrIyEEEENS9_16discard_iteratorINS9_11use_defaultEEEy11max_functorIyEyEEDaPvRmT3_T4_T5_mT6_P12ihipStream_tbENKUlT_T0_E_clISt17integral_constantIbLb0EESX_EEDaSS_ST_EUlSS_E_NS1_11comp_targetILNS1_3genE5ELNS1_11target_archE942ELNS1_3gpuE9ELNS1_3repE0EEENS1_30default_config_static_selectorELNS0_4arch9wavefront6targetE1EEEvT1_, .Lfunc_end3351-_ZN7rocprim17ROCPRIM_400000_NS6detail17trampoline_kernelINS0_14default_configENS1_20scan_config_selectorIyEEZZNS1_9scan_implILNS1_25lookback_scan_determinismE0ELb1ELb1ES3_N6thrust23THRUST_200600_302600_NS6detail15normal_iteratorINS9_10device_ptrIyEEEENS9_16discard_iteratorINS9_11use_defaultEEEy11max_functorIyEyEEDaPvRmT3_T4_T5_mT6_P12ihipStream_tbENKUlT_T0_E_clISt17integral_constantIbLb0EESX_EEDaSS_ST_EUlSS_E_NS1_11comp_targetILNS1_3genE5ELNS1_11target_archE942ELNS1_3gpuE9ELNS1_3repE0EEENS1_30default_config_static_selectorELNS0_4arch9wavefront6targetE1EEEvT1_
                                        ; -- End function
	.section	.AMDGPU.csdata,"",@progbits
; Kernel info:
; codeLenInByte = 0
; NumSgprs: 4
; NumVgprs: 0
; NumAgprs: 0
; TotalNumVgprs: 0
; ScratchSize: 0
; MemoryBound: 0
; FloatMode: 240
; IeeeMode: 1
; LDSByteSize: 0 bytes/workgroup (compile time only)
; SGPRBlocks: 0
; VGPRBlocks: 0
; NumSGPRsForWavesPerEU: 4
; NumVGPRsForWavesPerEU: 1
; AccumOffset: 4
; Occupancy: 8
; WaveLimiterHint : 0
; COMPUTE_PGM_RSRC2:SCRATCH_EN: 0
; COMPUTE_PGM_RSRC2:USER_SGPR: 6
; COMPUTE_PGM_RSRC2:TRAP_HANDLER: 0
; COMPUTE_PGM_RSRC2:TGID_X_EN: 1
; COMPUTE_PGM_RSRC2:TGID_Y_EN: 0
; COMPUTE_PGM_RSRC2:TGID_Z_EN: 0
; COMPUTE_PGM_RSRC2:TIDIG_COMP_CNT: 0
; COMPUTE_PGM_RSRC3_GFX90A:ACCUM_OFFSET: 0
; COMPUTE_PGM_RSRC3_GFX90A:TG_SPLIT: 0
	.section	.text._ZN7rocprim17ROCPRIM_400000_NS6detail17trampoline_kernelINS0_14default_configENS1_20scan_config_selectorIyEEZZNS1_9scan_implILNS1_25lookback_scan_determinismE0ELb1ELb1ES3_N6thrust23THRUST_200600_302600_NS6detail15normal_iteratorINS9_10device_ptrIyEEEENS9_16discard_iteratorINS9_11use_defaultEEEy11max_functorIyEyEEDaPvRmT3_T4_T5_mT6_P12ihipStream_tbENKUlT_T0_E_clISt17integral_constantIbLb0EESX_EEDaSS_ST_EUlSS_E_NS1_11comp_targetILNS1_3genE4ELNS1_11target_archE910ELNS1_3gpuE8ELNS1_3repE0EEENS1_30default_config_static_selectorELNS0_4arch9wavefront6targetE1EEEvT1_,"axG",@progbits,_ZN7rocprim17ROCPRIM_400000_NS6detail17trampoline_kernelINS0_14default_configENS1_20scan_config_selectorIyEEZZNS1_9scan_implILNS1_25lookback_scan_determinismE0ELb1ELb1ES3_N6thrust23THRUST_200600_302600_NS6detail15normal_iteratorINS9_10device_ptrIyEEEENS9_16discard_iteratorINS9_11use_defaultEEEy11max_functorIyEyEEDaPvRmT3_T4_T5_mT6_P12ihipStream_tbENKUlT_T0_E_clISt17integral_constantIbLb0EESX_EEDaSS_ST_EUlSS_E_NS1_11comp_targetILNS1_3genE4ELNS1_11target_archE910ELNS1_3gpuE8ELNS1_3repE0EEENS1_30default_config_static_selectorELNS0_4arch9wavefront6targetE1EEEvT1_,comdat
	.protected	_ZN7rocprim17ROCPRIM_400000_NS6detail17trampoline_kernelINS0_14default_configENS1_20scan_config_selectorIyEEZZNS1_9scan_implILNS1_25lookback_scan_determinismE0ELb1ELb1ES3_N6thrust23THRUST_200600_302600_NS6detail15normal_iteratorINS9_10device_ptrIyEEEENS9_16discard_iteratorINS9_11use_defaultEEEy11max_functorIyEyEEDaPvRmT3_T4_T5_mT6_P12ihipStream_tbENKUlT_T0_E_clISt17integral_constantIbLb0EESX_EEDaSS_ST_EUlSS_E_NS1_11comp_targetILNS1_3genE4ELNS1_11target_archE910ELNS1_3gpuE8ELNS1_3repE0EEENS1_30default_config_static_selectorELNS0_4arch9wavefront6targetE1EEEvT1_ ; -- Begin function _ZN7rocprim17ROCPRIM_400000_NS6detail17trampoline_kernelINS0_14default_configENS1_20scan_config_selectorIyEEZZNS1_9scan_implILNS1_25lookback_scan_determinismE0ELb1ELb1ES3_N6thrust23THRUST_200600_302600_NS6detail15normal_iteratorINS9_10device_ptrIyEEEENS9_16discard_iteratorINS9_11use_defaultEEEy11max_functorIyEyEEDaPvRmT3_T4_T5_mT6_P12ihipStream_tbENKUlT_T0_E_clISt17integral_constantIbLb0EESX_EEDaSS_ST_EUlSS_E_NS1_11comp_targetILNS1_3genE4ELNS1_11target_archE910ELNS1_3gpuE8ELNS1_3repE0EEENS1_30default_config_static_selectorELNS0_4arch9wavefront6targetE1EEEvT1_
	.globl	_ZN7rocprim17ROCPRIM_400000_NS6detail17trampoline_kernelINS0_14default_configENS1_20scan_config_selectorIyEEZZNS1_9scan_implILNS1_25lookback_scan_determinismE0ELb1ELb1ES3_N6thrust23THRUST_200600_302600_NS6detail15normal_iteratorINS9_10device_ptrIyEEEENS9_16discard_iteratorINS9_11use_defaultEEEy11max_functorIyEyEEDaPvRmT3_T4_T5_mT6_P12ihipStream_tbENKUlT_T0_E_clISt17integral_constantIbLb0EESX_EEDaSS_ST_EUlSS_E_NS1_11comp_targetILNS1_3genE4ELNS1_11target_archE910ELNS1_3gpuE8ELNS1_3repE0EEENS1_30default_config_static_selectorELNS0_4arch9wavefront6targetE1EEEvT1_
	.p2align	8
	.type	_ZN7rocprim17ROCPRIM_400000_NS6detail17trampoline_kernelINS0_14default_configENS1_20scan_config_selectorIyEEZZNS1_9scan_implILNS1_25lookback_scan_determinismE0ELb1ELb1ES3_N6thrust23THRUST_200600_302600_NS6detail15normal_iteratorINS9_10device_ptrIyEEEENS9_16discard_iteratorINS9_11use_defaultEEEy11max_functorIyEyEEDaPvRmT3_T4_T5_mT6_P12ihipStream_tbENKUlT_T0_E_clISt17integral_constantIbLb0EESX_EEDaSS_ST_EUlSS_E_NS1_11comp_targetILNS1_3genE4ELNS1_11target_archE910ELNS1_3gpuE8ELNS1_3repE0EEENS1_30default_config_static_selectorELNS0_4arch9wavefront6targetE1EEEvT1_,@function
_ZN7rocprim17ROCPRIM_400000_NS6detail17trampoline_kernelINS0_14default_configENS1_20scan_config_selectorIyEEZZNS1_9scan_implILNS1_25lookback_scan_determinismE0ELb1ELb1ES3_N6thrust23THRUST_200600_302600_NS6detail15normal_iteratorINS9_10device_ptrIyEEEENS9_16discard_iteratorINS9_11use_defaultEEEy11max_functorIyEyEEDaPvRmT3_T4_T5_mT6_P12ihipStream_tbENKUlT_T0_E_clISt17integral_constantIbLb0EESX_EEDaSS_ST_EUlSS_E_NS1_11comp_targetILNS1_3genE4ELNS1_11target_archE910ELNS1_3gpuE8ELNS1_3repE0EEENS1_30default_config_static_selectorELNS0_4arch9wavefront6targetE1EEEvT1_: ; @_ZN7rocprim17ROCPRIM_400000_NS6detail17trampoline_kernelINS0_14default_configENS1_20scan_config_selectorIyEEZZNS1_9scan_implILNS1_25lookback_scan_determinismE0ELb1ELb1ES3_N6thrust23THRUST_200600_302600_NS6detail15normal_iteratorINS9_10device_ptrIyEEEENS9_16discard_iteratorINS9_11use_defaultEEEy11max_functorIyEyEEDaPvRmT3_T4_T5_mT6_P12ihipStream_tbENKUlT_T0_E_clISt17integral_constantIbLb0EESX_EEDaSS_ST_EUlSS_E_NS1_11comp_targetILNS1_3genE4ELNS1_11target_archE910ELNS1_3gpuE8ELNS1_3repE0EEENS1_30default_config_static_selectorELNS0_4arch9wavefront6targetE1EEEvT1_
; %bb.0:
	s_load_dwordx4 s[0:3], s[4:5], 0x0
	s_load_dwordx4 s[16:19], s[4:5], 0x20
	s_load_dword s7, s[4:5], 0x40
	v_lshlrev_b32_e32 v1, 3, v0
	s_waitcnt lgkmcnt(0)
	s_lshl_b64 s[2:3], s[2:3], 3
	s_add_u32 s26, s0, s2
	s_addc_u32 s27, s1, s3
	s_add_i32 s2, s7, -1
	s_mul_i32 s3, s2, 0x380
	s_sub_u32 s24, s16, s3
	s_subb_u32 s25, s17, 0
	s_mul_i32 s0, s6, 0x380
	s_mov_b32 s1, 0
	s_cmp_lg_u32 s6, s2
	s_cselect_b64 s[16:17], -1, 0
	s_lshl_b64 s[0:1], s[0:1], 3
	s_add_u32 s0, s26, s0
	s_addc_u32 s1, s27, s1
	s_mov_b64 s[2:3], -1
	s_and_b64 vcc, exec, s[16:17]
	s_cbranch_vccz .LBB3352_2
; %bb.1:
	v_mov_b32_e32 v3, s1
	v_add_co_u32_e32 v2, vcc, s0, v1
	v_addc_co_u32_e32 v3, vcc, 0, v3, vcc
	flat_load_dwordx2 v[4:5], v[2:3]
	flat_load_dwordx2 v[6:7], v[2:3] offset:1024
	flat_load_dwordx2 v[8:9], v[2:3] offset:2048
	;; [unrolled: 1-line block ×3, first 2 shown]
	v_add_co_u32_e32 v2, vcc, 0x1000, v2
	v_addc_co_u32_e32 v3, vcc, 0, v3, vcc
	flat_load_dwordx2 v[12:13], v[2:3]
	flat_load_dwordx2 v[14:15], v[2:3] offset:1024
	flat_load_dwordx2 v[16:17], v[2:3] offset:2048
	s_mov_b64 s[2:3], 0
	s_waitcnt vmcnt(0) lgkmcnt(0)
	ds_write2st64_b64 v1, v[4:5], v[6:7] offset1:2
	ds_write2st64_b64 v1, v[8:9], v[10:11] offset0:4 offset1:6
	ds_write2st64_b64 v1, v[12:13], v[14:15] offset0:8 offset1:10
	ds_write_b64 v1, v[16:17] offset:6144
	s_waitcnt lgkmcnt(0)
	s_barrier
.LBB3352_2:
	s_load_dwordx2 s[20:21], s[4:5], 0x38
	s_andn2_b64 vcc, exec, s[2:3]
	s_cbranch_vccnz .LBB3352_18
; %bb.3:
	v_pk_mov_b32 v[2:3], s[0:1], s[0:1] op_sel:[0,1]
	flat_load_dwordx2 v[2:3], v[2:3]
	v_cmp_gt_u32_e32 vcc, s24, v0
	s_waitcnt vmcnt(0) lgkmcnt(0)
	v_mov_b32_e32 v4, v2
	v_mov_b32_e32 v5, v3
	;; [unrolled: 1-line block ×10, first 2 shown]
	v_pk_mov_b32 v[18:19], v[14:15], v[14:15] op_sel:[0,1]
	v_pk_mov_b32 v[16:17], v[12:13], v[12:13] op_sel:[0,1]
	;; [unrolled: 1-line block ×8, first 2 shown]
	s_and_saveexec_b64 s[2:3], vcc
	s_cbranch_execz .LBB3352_5
; %bb.4:
	v_mov_b32_e32 v5, s1
	v_add_co_u32_e32 v4, vcc, s0, v1
	v_addc_co_u32_e32 v5, vcc, 0, v5, vcc
	flat_load_dwordx2 v[20:21], v[4:5]
	v_mov_b32_e32 v4, v2
	v_mov_b32_e32 v5, v3
	;; [unrolled: 1-line block ×10, first 2 shown]
	v_pk_mov_b32 v[18:19], v[14:15], v[14:15] op_sel:[0,1]
	v_pk_mov_b32 v[16:17], v[12:13], v[12:13] op_sel:[0,1]
	;; [unrolled: 1-line block ×8, first 2 shown]
	s_waitcnt vmcnt(0) lgkmcnt(0)
	v_pk_mov_b32 v[2:3], v[20:21], v[20:21] op_sel:[0,1]
.LBB3352_5:
	s_or_b64 exec, exec, s[2:3]
	v_or_b32_e32 v4, 0x80, v0
	v_cmp_gt_u32_e32 vcc, s24, v4
	s_and_saveexec_b64 s[2:3], vcc
	s_cbranch_execz .LBB3352_7
; %bb.6:
	v_mov_b32_e32 v5, s1
	v_add_co_u32_e32 v4, vcc, s0, v1
	v_addc_co_u32_e32 v5, vcc, 0, v5, vcc
	flat_load_dwordx2 v[6:7], v[4:5] offset:1024
.LBB3352_7:
	s_or_b64 exec, exec, s[2:3]
	v_or_b32_e32 v4, 0x100, v0
	v_cmp_gt_u32_e32 vcc, s24, v4
	s_and_saveexec_b64 s[2:3], vcc
	s_cbranch_execz .LBB3352_9
; %bb.8:
	v_mov_b32_e32 v5, s1
	v_add_co_u32_e32 v4, vcc, s0, v1
	v_addc_co_u32_e32 v5, vcc, 0, v5, vcc
	flat_load_dwordx2 v[8:9], v[4:5] offset:2048
.LBB3352_9:
	;; [unrolled: 11-line block ×3, first 2 shown]
	s_or_b64 exec, exec, s[2:3]
	v_or_b32_e32 v4, 0x200, v0
	v_cmp_gt_u32_e32 vcc, s24, v4
	s_and_saveexec_b64 s[2:3], vcc
	s_cbranch_execz .LBB3352_13
; %bb.12:
	v_lshlrev_b32_e32 v4, 3, v4
	v_mov_b32_e32 v5, s1
	v_add_co_u32_e32 v4, vcc, s0, v4
	v_addc_co_u32_e32 v5, vcc, 0, v5, vcc
	flat_load_dwordx2 v[12:13], v[4:5]
.LBB3352_13:
	s_or_b64 exec, exec, s[2:3]
	v_or_b32_e32 v4, 0x280, v0
	v_cmp_gt_u32_e32 vcc, s24, v4
	s_and_saveexec_b64 s[2:3], vcc
	s_cbranch_execz .LBB3352_15
; %bb.14:
	v_lshlrev_b32_e32 v4, 3, v4
	v_mov_b32_e32 v5, s1
	v_add_co_u32_e32 v4, vcc, s0, v4
	v_addc_co_u32_e32 v5, vcc, 0, v5, vcc
	flat_load_dwordx2 v[14:15], v[4:5]
.LBB3352_15:
	;; [unrolled: 12-line block ×3, first 2 shown]
	s_or_b64 exec, exec, s[2:3]
	s_waitcnt vmcnt(0) lgkmcnt(0)
	ds_write2st64_b64 v1, v[2:3], v[6:7] offset1:2
	ds_write2st64_b64 v1, v[8:9], v[10:11] offset0:4 offset1:6
	ds_write2st64_b64 v1, v[12:13], v[14:15] offset0:8 offset1:10
	ds_write_b64 v1, v[16:17] offset:6144
	s_waitcnt lgkmcnt(0)
	s_barrier
.LBB3352_18:
	v_mul_u32_u24_e32 v36, 7, v0
	v_lshlrev_b32_e32 v37, 3, v36
	s_waitcnt lgkmcnt(0)
	ds_read2_b64 v[10:13], v37 offset1:1
	ds_read2_b64 v[6:9], v37 offset0:2 offset1:3
	ds_read2_b64 v[2:5], v37 offset0:4 offset1:5
	ds_read_b64 v[26:27], v37 offset:48
	s_cmp_lg_u32 s6, 0
	s_waitcnt lgkmcnt(3)
	v_cmp_gt_u64_e64 s[0:1], v[10:11], v[12:13]
	v_lshrrev_b32_e32 v1, 5, v0
	v_cmp_gt_u32_e32 vcc, 64, v0
	s_waitcnt lgkmcnt(0)
	s_barrier
	s_cbranch_scc0 .LBB3352_45
; %bb.19:
	v_cndmask_b32_e64 v15, v13, v11, s[0:1]
	v_cndmask_b32_e64 v14, v12, v10, s[0:1]
	v_cmp_gt_u64_e64 s[0:1], v[14:15], v[6:7]
	v_cndmask_b32_e64 v15, v7, v15, s[0:1]
	v_cndmask_b32_e64 v14, v6, v14, s[0:1]
	v_cmp_gt_u64_e64 s[0:1], v[14:15], v[8:9]
	;; [unrolled: 3-line block ×5, first 2 shown]
	v_cndmask_b32_e64 v23, v27, v15, s[0:1]
	v_cndmask_b32_e64 v22, v26, v14, s[0:1]
	v_add_lshl_u32 v14, v1, v0, 3
	ds_write_b64 v14, v[22:23]
	s_waitcnt lgkmcnt(0)
	s_barrier
	s_and_saveexec_b64 s[8:9], vcc
	s_cbranch_execz .LBB3352_23
; %bb.20:
	v_lshlrev_b32_e32 v14, 1, v0
	v_lshrrev_b32_e32 v15, 4, v0
	v_add_lshl_u32 v24, v15, v14, 3
	ds_read2_b64 v[14:17], v24 offset1:1
	v_mbcnt_lo_u32_b32 v18, -1, 0
	v_mbcnt_hi_u32_b32 v25, -1, v18
	v_and_b32_e32 v28, 15, v25
	v_and_b32_e32 v30, 16, v25
	s_waitcnt lgkmcnt(0)
	v_cmp_gt_u64_e64 s[0:1], v[14:15], v[16:17]
	v_cndmask_b32_e64 v17, v17, v15, s[0:1]
	v_cndmask_b32_e64 v16, v16, v14, s[0:1]
	v_cmp_ne_u32_e64 s[2:3], 0, v25
	v_mov_b32_dpp v19, v17 row_shr:1 row_mask:0xf bank_mask:0xf
	v_mov_b32_dpp v18, v16 row_shr:1 row_mask:0xf bank_mask:0xf
	v_cmp_gt_u64_e64 s[0:1], v[18:19], v[16:17]
	v_cndmask_b32_e64 v18, v16, v18, s[0:1]
	v_cndmask_b32_e64 v19, v17, v19, s[0:1]
	v_cmp_eq_u32_e64 s[0:1], 0, v28
	v_cndmask_b32_e64 v19, v19, v17, s[0:1]
	v_cndmask_b32_e64 v18, v18, v16, s[0:1]
	s_nop 0
	v_mov_b32_dpp v21, v19 row_shr:2 row_mask:0xf bank_mask:0xf
	v_mov_b32_dpp v20, v18 row_shr:2 row_mask:0xf bank_mask:0xf
	v_cmp_gt_u64_e64 s[0:1], v[20:21], v[18:19]
	v_cndmask_b32_e64 v20, v18, v20, s[0:1]
	v_cndmask_b32_e64 v21, v19, v21, s[0:1]
	v_cmp_lt_u32_e64 s[0:1], 1, v28
	v_cndmask_b32_e64 v19, v19, v21, s[0:1]
	v_cndmask_b32_e64 v18, v18, v20, s[0:1]
	s_nop 0
	v_mov_b32_dpp v21, v19 row_shr:4 row_mask:0xf bank_mask:0xf
	v_mov_b32_dpp v20, v18 row_shr:4 row_mask:0xf bank_mask:0xf
	v_cmp_gt_u64_e64 s[0:1], v[20:21], v[18:19]
	v_cndmask_b32_e64 v20, v18, v20, s[0:1]
	v_cndmask_b32_e64 v21, v19, v21, s[0:1]
	v_cmp_lt_u32_e64 s[0:1], 3, v28
	;; [unrolled: 9-line block ×3, first 2 shown]
	v_cndmask_b32_e64 v19, v19, v21, s[0:1]
	v_cndmask_b32_e64 v18, v18, v20, s[0:1]
	s_nop 0
	v_mov_b32_dpp v21, v19 row_bcast:15 row_mask:0xf bank_mask:0xf
	v_mov_b32_dpp v20, v18 row_bcast:15 row_mask:0xf bank_mask:0xf
	v_cmp_gt_u64_e64 s[0:1], v[20:21], v[18:19]
	v_cndmask_b32_e64 v28, v19, v21, s[0:1]
	v_cndmask_b32_e64 v29, v18, v20, s[0:1]
	v_cmp_eq_u32_e64 s[0:1], 0, v30
	v_cndmask_b32_e64 v21, v28, v19, s[0:1]
	v_cndmask_b32_e64 v20, v29, v18, s[0:1]
	s_nop 0
	v_mov_b32_dpp v21, v21 row_bcast:31 row_mask:0xf bank_mask:0xf
	v_mov_b32_dpp v20, v20 row_bcast:31 row_mask:0xf bank_mask:0xf
	s_and_saveexec_b64 s[10:11], s[2:3]
; %bb.21:
	v_cndmask_b32_e64 v17, v28, v19, s[0:1]
	v_cndmask_b32_e64 v16, v29, v18, s[0:1]
	v_cmp_lt_u32_e64 s[2:3], 31, v25
	v_cmp_gt_u64_e64 s[0:1], v[20:21], v[16:17]
	s_and_b64 s[0:1], s[2:3], s[0:1]
	v_cndmask_b32_e64 v16, v16, v20, s[0:1]
	v_cndmask_b32_e64 v17, v17, v21, s[0:1]
; %bb.22:
	s_or_b64 exec, exec, s[10:11]
	v_add_u32_e32 v18, -1, v25
	v_and_b32_e32 v19, 64, v25
	v_cmp_lt_i32_e64 s[0:1], v18, v19
	v_cndmask_b32_e64 v18, v18, v25, s[0:1]
	v_lshlrev_b32_e32 v18, 2, v18
	ds_bpermute_b32 v16, v18, v16
	ds_bpermute_b32 v17, v18, v17
	; wave barrier
	s_waitcnt lgkmcnt(0)
	v_cmp_gt_u64_e64 s[0:1], v[16:17], v[14:15]
	v_cndmask_b32_e64 v14, v14, v16, s[0:1]
	v_cndmask_b32_e64 v15, v15, v17, s[0:1]
	v_cmp_eq_u32_e64 s[0:1], 0, v0
	v_cndmask_b32_e64 v15, v15, v23, s[0:1]
	v_cndmask_b32_e64 v14, v14, v22, s[0:1]
	ds_write_b64 v24, v[14:15]
	; wave barrier
	ds_read_b64 v[16:17], v24 offset:8
	s_waitcnt lgkmcnt(0)
	v_cmp_gt_u64_e64 s[0:1], v[14:15], v[16:17]
	v_cndmask_b32_e64 v15, v17, v15, s[0:1]
	v_cndmask_b32_e64 v14, v16, v14, s[0:1]
	ds_write_b64 v24, v[14:15] offset:8
.LBB3352_23:
	s_or_b64 exec, exec, s[8:9]
	v_cmp_eq_u32_e64 s[0:1], 0, v0
	v_cmp_ne_u32_e64 s[2:3], 0, v0
	s_waitcnt lgkmcnt(0)
	s_barrier
	s_and_saveexec_b64 s[8:9], s[2:3]
	s_cbranch_execz .LBB3352_25
; %bb.24:
	v_add_u32_e32 v14, -1, v0
	v_lshrrev_b32_e32 v15, 5, v14
	v_add_lshl_u32 v14, v15, v14, 3
	ds_read_b64 v[22:23], v14
.LBB3352_25:
	s_or_b64 exec, exec, s[8:9]
	s_and_saveexec_b64 s[22:23], vcc
	s_cbranch_execz .LBB3352_44
; %bb.26:
	v_mov_b32_e32 v17, 0
	ds_read_b64 v[14:15], v17 offset:1040
	v_mbcnt_lo_u32_b32 v16, -1, 0
	v_mbcnt_hi_u32_b32 v25, -1, v16
	s_mov_b32 s11, 0
	v_cmp_eq_u32_e64 s[2:3], 0, v25
	s_and_saveexec_b64 s[8:9], s[2:3]
	s_cbranch_execz .LBB3352_28
; %bb.27:
	s_add_i32 s10, s6, 64
	s_lshl_b64 s[10:11], s[10:11], 4
	s_add_u32 s10, s20, s10
	s_addc_u32 s11, s21, s11
	v_mov_b32_e32 v16, 1
	v_pk_mov_b32 v[18:19], s[10:11], s[10:11] op_sel:[0,1]
	s_waitcnt lgkmcnt(0)
	;;#ASMSTART
	global_store_dwordx4 v[18:19], v[14:17] off	
s_waitcnt vmcnt(0)
	;;#ASMEND
.LBB3352_28:
	s_or_b64 exec, exec, s[8:9]
	v_xad_u32 v24, v25, -1, s6
	v_add_u32_e32 v16, 64, v24
	v_lshlrev_b64 v[18:19], 4, v[16:17]
	v_mov_b32_e32 v16, s21
	v_add_co_u32_e32 v28, vcc, s20, v18
	v_addc_co_u32_e32 v29, vcc, v16, v19, vcc
	;;#ASMSTART
	global_load_dwordx4 v[18:21], v[28:29] off glc	
s_waitcnt vmcnt(0)
	;;#ASMEND
	v_and_b32_e32 v16, 0xff, v19
	v_and_b32_e32 v21, 0xff00, v19
	v_or3_b32 v16, 0, v16, v21
	v_or3_b32 v18, v18, 0, 0
	v_and_b32_e32 v21, 0xff000000, v19
	v_and_b32_e32 v19, 0xff0000, v19
	v_or3_b32 v19, v16, v19, v21
	v_or3_b32 v18, v18, 0, 0
	v_cmp_eq_u16_sdwa s[10:11], v20, v17 src0_sel:BYTE_0 src1_sel:DWORD
	s_and_saveexec_b64 s[8:9], s[10:11]
	s_cbranch_execz .LBB3352_32
; %bb.29:
	s_mov_b64 s[10:11], 0
	v_mov_b32_e32 v16, 0
.LBB3352_30:                            ; =>This Inner Loop Header: Depth=1
	;;#ASMSTART
	global_load_dwordx4 v[18:21], v[28:29] off glc	
s_waitcnt vmcnt(0)
	;;#ASMEND
	v_cmp_ne_u16_sdwa s[12:13], v20, v16 src0_sel:BYTE_0 src1_sel:DWORD
	s_or_b64 s[10:11], s[12:13], s[10:11]
	s_andn2_b64 exec, exec, s[10:11]
	s_cbranch_execnz .LBB3352_30
; %bb.31:
	s_or_b64 exec, exec, s[10:11]
.LBB3352_32:
	s_or_b64 exec, exec, s[8:9]
	v_and_b32_e32 v33, 63, v25
	v_cmp_ne_u32_e32 vcc, 63, v33
	v_mov_b32_e32 v32, 2
	v_addc_co_u32_e32 v28, vcc, 0, v25, vcc
	v_cmp_eq_u16_sdwa s[8:9], v20, v32 src0_sel:BYTE_0 src1_sel:DWORD
	v_lshlrev_b64 v[16:17], v25, -1
	v_lshlrev_b32_e32 v34, 2, v28
	v_and_b32_e32 v21, s9, v17
	ds_bpermute_b32 v28, v34, v18
	ds_bpermute_b32 v29, v34, v19
	v_or_b32_e32 v21, 0x80000000, v21
	v_and_b32_e32 v30, s8, v16
	v_ffbl_b32_e32 v21, v21
	v_add_u32_e32 v21, 32, v21
	v_ffbl_b32_e32 v30, v30
	v_min_u32_e32 v21, v30, v21
	s_waitcnt lgkmcnt(0)
	v_cmp_gt_u64_e64 s[8:9], v[28:29], v[18:19]
	v_cmp_lt_u32_e32 vcc, v33, v21
	v_cndmask_b32_e64 v28, v18, v28, s[8:9]
	s_and_b64 s[8:9], vcc, s[8:9]
	v_cndmask_b32_e64 v29, v19, v29, s[8:9]
	v_cmp_gt_u32_e64 s[8:9], 62, v33
	v_cndmask_b32_e64 v30, 0, 1, s[8:9]
	v_lshlrev_b32_e32 v30, 1, v30
	v_cndmask_b32_e32 v28, v18, v28, vcc
	v_add_lshl_u32 v35, v30, v25, 2
	ds_bpermute_b32 v30, v35, v28
	ds_bpermute_b32 v31, v35, v29
	v_add_u32_e32 v38, 2, v33
	v_cmp_gt_u32_e64 s[10:11], 56, v33
	v_add_u32_e32 v40, 4, v33
	v_cndmask_b32_e64 v41, 0, 1, s[10:11]
	s_waitcnt lgkmcnt(0)
	v_cmp_gt_u64_e64 s[8:9], v[30:31], v[28:29]
	v_cndmask_b32_e64 v31, v29, v31, s[8:9]
	v_cndmask_b32_e64 v30, v28, v30, s[8:9]
	v_cmp_gt_u32_e64 s[8:9], v38, v21
	v_cndmask_b32_e64 v28, v30, v28, s[8:9]
	v_cndmask_b32_e64 v29, v31, v29, s[8:9]
	v_cmp_gt_u32_e64 s[8:9], 60, v33
	v_cndmask_b32_e64 v30, 0, 1, s[8:9]
	v_lshlrev_b32_e32 v30, 2, v30
	v_add_lshl_u32 v39, v30, v25, 2
	ds_bpermute_b32 v30, v39, v28
	ds_bpermute_b32 v31, v39, v29
	v_lshlrev_b32_e32 v41, 3, v41
	v_add_lshl_u32 v41, v41, v25, 2
	v_cmp_gt_u32_e64 s[12:13], 48, v33
	v_add_u32_e32 v42, 8, v33
	s_waitcnt lgkmcnt(0)
	v_cmp_gt_u64_e64 s[8:9], v[30:31], v[28:29]
	v_cndmask_b32_e64 v50, v29, v31, s[8:9]
	v_cndmask_b32_e64 v51, v28, v30, s[8:9]
	v_cmp_gt_u32_e64 s[8:9], v40, v21
	v_cndmask_b32_e64 v30, v51, v28, s[8:9]
	v_cndmask_b32_e64 v31, v50, v29, s[8:9]
	ds_bpermute_b32 v44, v41, v30
	ds_bpermute_b32 v45, v41, v31
	v_cndmask_b32_e64 v43, 0, 1, s[12:13]
	v_lshlrev_b32_e32 v43, 4, v43
	v_add_lshl_u32 v43, v43, v25, 2
	v_cmp_gt_u32_e64 s[14:15], 32, v33
	s_waitcnt lgkmcnt(0)
	v_cmp_gt_u64_e64 s[10:11], v[44:45], v[30:31]
	v_cndmask_b32_e64 v52, v31, v45, s[10:11]
	v_cndmask_b32_e64 v53, v30, v44, s[10:11]
	v_cmp_gt_u32_e64 s[10:11], v42, v21
	v_cndmask_b32_e64 v30, v53, v30, s[10:11]
	v_cndmask_b32_e64 v31, v52, v31, s[10:11]
	ds_bpermute_b32 v46, v43, v30
	ds_bpermute_b32 v47, v43, v31
	v_add_u32_e32 v44, 16, v33
	v_cndmask_b32_e64 v45, 0, 1, s[14:15]
	v_lshlrev_b32_e32 v45, 5, v45
	v_add_lshl_u32 v45, v45, v25, 2
	s_waitcnt lgkmcnt(0)
	v_cmp_gt_u64_e64 s[12:13], v[46:47], v[30:31]
	v_cndmask_b32_e64 v47, v31, v47, s[12:13]
	v_cndmask_b32_e64 v54, v30, v46, s[12:13]
	v_cmp_gt_u32_e64 s[12:13], v44, v21
	v_cndmask_b32_e64 v30, v54, v30, s[12:13]
	v_cndmask_b32_e64 v31, v47, v31, s[12:13]
	ds_bpermute_b32 v48, v45, v30
	ds_bpermute_b32 v49, v45, v31
	v_cndmask_b32_e32 v19, v19, v29, vcc
	v_cndmask_b32_e32 v18, v18, v28, vcc
	v_cndmask_b32_e64 v18, v51, v18, s[8:9]
	v_cndmask_b32_e64 v19, v50, v19, s[8:9]
	v_add_u32_e32 v46, 32, v33
	s_waitcnt lgkmcnt(0)
	v_cmp_gt_u64_e64 s[14:15], v[48:49], v[30:31]
	v_cndmask_b32_e64 v19, v52, v19, s[10:11]
	v_cndmask_b32_e64 v18, v53, v18, s[10:11]
	;; [unrolled: 1-line block ×6, first 2 shown]
	v_cmp_gt_u32_e32 vcc, v46, v21
	v_cndmask_b32_e32 v19, v30, v19, vcc
	v_cndmask_b32_e32 v18, v25, v18, vcc
	v_mov_b32_e32 v25, 0
	s_branch .LBB3352_34
.LBB3352_33:                            ;   in Loop: Header=BB3352_34 Depth=1
	s_or_b64 exec, exec, s[8:9]
	v_cmp_eq_u16_sdwa s[8:9], v20, v32 src0_sel:BYTE_0 src1_sel:DWORD
	v_and_b32_e32 v21, s9, v17
	ds_bpermute_b32 v30, v34, v18
	ds_bpermute_b32 v31, v34, v19
	v_or_b32_e32 v21, 0x80000000, v21
	v_and_b32_e32 v47, s8, v16
	v_ffbl_b32_e32 v21, v21
	v_add_u32_e32 v21, 32, v21
	v_ffbl_b32_e32 v47, v47
	v_min_u32_e32 v21, v47, v21
	s_waitcnt lgkmcnt(0)
	v_cmp_gt_u64_e32 vcc, v[30:31], v[18:19]
	v_cmp_lt_u32_e64 s[8:9], v33, v21
	v_cndmask_b32_e32 v30, v18, v30, vcc
	s_and_b64 vcc, s[8:9], vcc
	v_cndmask_b32_e64 v30, v18, v30, s[8:9]
	v_cndmask_b32_e32 v31, v19, v31, vcc
	ds_bpermute_b32 v48, v35, v30
	ds_bpermute_b32 v49, v35, v31
	v_subrev_u32_e32 v24, 64, v24
	s_waitcnt lgkmcnt(0)
	v_cmp_gt_u64_e32 vcc, v[48:49], v[30:31]
	v_cndmask_b32_e32 v47, v31, v49, vcc
	v_cndmask_b32_e32 v48, v30, v48, vcc
	v_cmp_gt_u32_e32 vcc, v38, v21
	v_cndmask_b32_e32 v30, v48, v30, vcc
	v_cndmask_b32_e32 v31, v47, v31, vcc
	ds_bpermute_b32 v48, v39, v30
	ds_bpermute_b32 v49, v39, v31
	v_cndmask_b32_e64 v19, v19, v31, s[8:9]
	v_cndmask_b32_e64 v18, v18, v30, s[8:9]
	s_waitcnt lgkmcnt(0)
	v_cmp_gt_u64_e32 vcc, v[48:49], v[30:31]
	v_cndmask_b32_e32 v47, v31, v49, vcc
	v_cndmask_b32_e32 v52, v30, v48, vcc
	v_cmp_gt_u32_e32 vcc, v40, v21
	v_cndmask_b32_e32 v48, v52, v30, vcc
	v_cndmask_b32_e32 v49, v47, v31, vcc
	ds_bpermute_b32 v50, v41, v48
	ds_bpermute_b32 v51, v41, v49
	v_cndmask_b32_e32 v18, v52, v18, vcc
	v_cndmask_b32_e32 v19, v47, v19, vcc
	v_cmp_gt_u32_e32 vcc, v46, v21
	s_waitcnt lgkmcnt(0)
	v_cmp_gt_u64_e64 s[10:11], v[50:51], v[48:49]
	v_cndmask_b32_e64 v53, v49, v51, s[10:11]
	v_cndmask_b32_e64 v54, v48, v50, s[10:11]
	v_cmp_gt_u32_e64 s[10:11], v42, v21
	v_cndmask_b32_e64 v48, v54, v48, s[10:11]
	v_cndmask_b32_e64 v49, v53, v49, s[10:11]
	ds_bpermute_b32 v50, v43, v48
	ds_bpermute_b32 v51, v43, v49
	v_cndmask_b32_e64 v19, v53, v19, s[10:11]
	v_cndmask_b32_e64 v18, v54, v18, s[10:11]
	s_waitcnt lgkmcnt(0)
	v_cmp_gt_u64_e64 s[12:13], v[50:51], v[48:49]
	v_cndmask_b32_e64 v55, v49, v51, s[12:13]
	v_cndmask_b32_e64 v56, v48, v50, s[12:13]
	v_cmp_gt_u32_e64 s[12:13], v44, v21
	v_cndmask_b32_e64 v48, v56, v48, s[12:13]
	v_cndmask_b32_e64 v49, v55, v49, s[12:13]
	ds_bpermute_b32 v50, v45, v48
	ds_bpermute_b32 v51, v45, v49
	v_cndmask_b32_e64 v18, v56, v18, s[12:13]
	v_cndmask_b32_e64 v19, v55, v19, s[12:13]
	s_waitcnt lgkmcnt(0)
	v_cmp_gt_u64_e64 s[14:15], v[50:51], v[48:49]
	v_cndmask_b32_e64 v48, v48, v50, s[14:15]
	v_cndmask_b32_e64 v49, v49, v51, s[14:15]
	v_cndmask_b32_e32 v19, v49, v19, vcc
	v_cndmask_b32_e32 v18, v48, v18, vcc
	v_cmp_gt_u64_e32 vcc, v[18:19], v[28:29]
	v_cndmask_b32_e32 v19, v29, v19, vcc
	v_cndmask_b32_e32 v18, v28, v18, vcc
.LBB3352_34:                            ; =>This Loop Header: Depth=1
                                        ;     Child Loop BB3352_37 Depth 2
	v_cmp_ne_u16_sdwa s[8:9], v20, v32 src0_sel:BYTE_0 src1_sel:DWORD
	v_cndmask_b32_e64 v20, 0, 1, s[8:9]
	;;#ASMSTART
	;;#ASMEND
	v_cmp_ne_u32_e32 vcc, 0, v20
	s_cmp_lg_u64 vcc, exec
	v_pk_mov_b32 v[28:29], v[18:19], v[18:19] op_sel:[0,1]
	s_cbranch_scc1 .LBB3352_39
; %bb.35:                               ;   in Loop: Header=BB3352_34 Depth=1
	v_lshlrev_b64 v[18:19], 4, v[24:25]
	v_mov_b32_e32 v20, s21
	v_add_co_u32_e32 v30, vcc, s20, v18
	v_addc_co_u32_e32 v31, vcc, v20, v19, vcc
	;;#ASMSTART
	global_load_dwordx4 v[18:21], v[30:31] off glc	
s_waitcnt vmcnt(0)
	;;#ASMEND
	v_and_b32_e32 v21, 0xff, v19
	v_and_b32_e32 v47, 0xff00, v19
	v_or3_b32 v21, 0, v21, v47
	v_or3_b32 v18, v18, 0, 0
	v_and_b32_e32 v47, 0xff000000, v19
	v_and_b32_e32 v19, 0xff0000, v19
	v_or3_b32 v19, v21, v19, v47
	v_or3_b32 v18, v18, 0, 0
	v_cmp_eq_u16_sdwa s[10:11], v20, v25 src0_sel:BYTE_0 src1_sel:DWORD
	s_and_saveexec_b64 s[8:9], s[10:11]
	s_cbranch_execz .LBB3352_33
; %bb.36:                               ;   in Loop: Header=BB3352_34 Depth=1
	s_mov_b64 s[10:11], 0
.LBB3352_37:                            ;   Parent Loop BB3352_34 Depth=1
                                        ; =>  This Inner Loop Header: Depth=2
	;;#ASMSTART
	global_load_dwordx4 v[18:21], v[30:31] off glc	
s_waitcnt vmcnt(0)
	;;#ASMEND
	v_cmp_ne_u16_sdwa s[12:13], v20, v25 src0_sel:BYTE_0 src1_sel:DWORD
	s_or_b64 s[10:11], s[12:13], s[10:11]
	s_andn2_b64 exec, exec, s[10:11]
	s_cbranch_execnz .LBB3352_37
; %bb.38:                               ;   in Loop: Header=BB3352_34 Depth=1
	s_or_b64 exec, exec, s[10:11]
	s_branch .LBB3352_33
.LBB3352_39:                            ;   in Loop: Header=BB3352_34 Depth=1
                                        ; implicit-def: $vgpr18_vgpr19
                                        ; implicit-def: $vgpr20
	s_cbranch_execz .LBB3352_34
; %bb.40:
	s_and_saveexec_b64 s[8:9], s[2:3]
	s_cbranch_execz .LBB3352_42
; %bb.41:
	s_add_i32 s2, s6, 64
	s_mov_b32 s3, 0
	s_lshl_b64 s[2:3], s[2:3], 4
	s_add_u32 s2, s20, s2
	v_cmp_gt_u64_e32 vcc, v[28:29], v[14:15]
	s_addc_u32 s3, s21, s3
	v_cndmask_b32_e32 v15, v15, v29, vcc
	v_cndmask_b32_e32 v14, v14, v28, vcc
	v_mov_b32_e32 v16, 2
	v_mov_b32_e32 v17, 0
	v_pk_mov_b32 v[18:19], s[2:3], s[2:3] op_sel:[0,1]
	;;#ASMSTART
	global_store_dwordx4 v[18:19], v[14:17] off	
s_waitcnt vmcnt(0)
	;;#ASMEND
.LBB3352_42:
	s_or_b64 exec, exec, s[8:9]
	s_and_b64 exec, exec, s[0:1]
	s_cbranch_execz .LBB3352_44
; %bb.43:
	v_mov_b32_e32 v14, 0
	ds_write_b64 v14, v[28:29]
.LBB3352_44:
	s_or_b64 exec, exec, s[22:23]
	v_mov_b32_e32 v14, 0
	s_waitcnt lgkmcnt(0)
	s_barrier
	ds_read_b64 v[14:15], v14
	s_waitcnt lgkmcnt(0)
	v_cmp_gt_u64_e32 vcc, v[14:15], v[22:23]
	v_cndmask_b32_e32 v16, v22, v14, vcc
	v_cndmask_b32_e32 v17, v23, v15, vcc
	v_cndmask_b32_e64 v15, v17, v15, s[0:1]
	v_cndmask_b32_e64 v14, v16, v14, s[0:1]
	v_cmp_gt_u64_e32 vcc, v[14:15], v[10:11]
	v_cndmask_b32_e32 v29, v11, v15, vcc
	v_cndmask_b32_e32 v28, v10, v14, vcc
	v_cmp_gt_u64_e32 vcc, v[28:29], v[12:13]
	v_cndmask_b32_e32 v19, v13, v29, vcc
	v_cndmask_b32_e32 v18, v12, v28, vcc
	;; [unrolled: 3-line block ×6, first 2 shown]
	s_load_dwordx8 s[0:7], s[4:5], 0x48
	s_branch .LBB3352_57
.LBB3352_45:
                                        ; implicit-def: $vgpr34_vgpr35
                                        ; implicit-def: $vgpr32_vgpr33
                                        ; implicit-def: $vgpr30_vgpr31
                                        ; implicit-def: $vgpr28_vgpr29
                                        ; implicit-def: $vgpr22_vgpr23_vgpr24_vgpr25
                                        ; implicit-def: $vgpr18_vgpr19_vgpr20_vgpr21
                                        ; implicit-def: $vgpr14_vgpr15_vgpr16_vgpr17
	s_load_dwordx8 s[0:7], s[4:5], 0x48
	s_cbranch_execz .LBB3352_57
; %bb.46:
	s_waitcnt lgkmcnt(0)
	s_cmp_eq_u64 s[4:5], 0
	v_pk_mov_b32 v[20:21], s[18:19], s[18:19] op_sel:[0,1]
	s_cbranch_scc1 .LBB3352_48
; %bb.47:
	v_mov_b32_e32 v17, s27
	v_add_co_u32_e64 v16, vcc, -8, s26
	v_mov_b32_e32 v14, 0
	v_addc_co_u32_e32 v17, vcc, -1, v17, vcc
	global_load_dwordx2 v[14:15], v14, s[0:1]
	s_nop 0
	flat_load_dwordx2 v[16:17], v[16:17]
	s_waitcnt vmcnt(0) lgkmcnt(0)
	v_cmp_gt_u64_e32 vcc, v[14:15], v[16:17]
	v_cndmask_b32_e32 v21, v17, v15, vcc
	v_cndmask_b32_e32 v20, v16, v14, vcc
.LBB3352_48:
	v_cmp_gt_u64_e32 vcc, v[10:11], v[12:13]
	v_cndmask_b32_e32 v15, v13, v11, vcc
	v_cndmask_b32_e32 v14, v12, v10, vcc
	v_cmp_gt_u64_e32 vcc, v[14:15], v[6:7]
	v_cndmask_b32_e32 v15, v7, v15, vcc
	v_cndmask_b32_e32 v14, v6, v14, vcc
	;; [unrolled: 3-line block ×6, first 2 shown]
	v_add_lshl_u32 v1, v1, v0, 3
	v_cmp_gt_u32_e32 vcc, 64, v0
	ds_write_b64 v1, v[18:19]
	s_waitcnt lgkmcnt(0)
	s_barrier
	s_and_saveexec_b64 s[4:5], vcc
	s_cbranch_execz .LBB3352_52
; %bb.49:
	v_lshlrev_b32_e32 v1, 1, v0
	v_lshrrev_b32_e32 v14, 4, v0
	v_add_lshl_u32 v1, v14, v1, 3
	ds_read2_b64 v[14:17], v1 offset1:1
	v_mbcnt_lo_u32_b32 v22, -1, 0
	v_mbcnt_hi_u32_b32 v26, -1, v22
	v_and_b32_e32 v27, 15, v26
	v_and_b32_e32 v29, 16, v26
	s_waitcnt lgkmcnt(0)
	v_cmp_gt_u64_e32 vcc, v[14:15], v[16:17]
	v_cndmask_b32_e32 v17, v17, v15, vcc
	v_cndmask_b32_e32 v16, v16, v14, vcc
	v_cmp_ne_u32_e64 s[0:1], 0, v26
	v_mov_b32_dpp v23, v17 row_shr:1 row_mask:0xf bank_mask:0xf
	v_mov_b32_dpp v22, v16 row_shr:1 row_mask:0xf bank_mask:0xf
	v_cmp_gt_u64_e32 vcc, v[22:23], v[16:17]
	v_cndmask_b32_e32 v22, v16, v22, vcc
	v_cndmask_b32_e32 v23, v17, v23, vcc
	v_cmp_eq_u32_e32 vcc, 0, v27
	v_cndmask_b32_e32 v23, v23, v17, vcc
	v_cndmask_b32_e32 v22, v22, v16, vcc
	s_nop 0
	v_mov_b32_dpp v25, v23 row_shr:2 row_mask:0xf bank_mask:0xf
	v_mov_b32_dpp v24, v22 row_shr:2 row_mask:0xf bank_mask:0xf
	v_cmp_gt_u64_e32 vcc, v[24:25], v[22:23]
	v_cndmask_b32_e32 v24, v22, v24, vcc
	v_cndmask_b32_e32 v25, v23, v25, vcc
	v_cmp_lt_u32_e32 vcc, 1, v27
	v_cndmask_b32_e32 v23, v23, v25, vcc
	v_cndmask_b32_e32 v22, v22, v24, vcc
	s_nop 0
	v_mov_b32_dpp v25, v23 row_shr:4 row_mask:0xf bank_mask:0xf
	v_mov_b32_dpp v24, v22 row_shr:4 row_mask:0xf bank_mask:0xf
	v_cmp_gt_u64_e32 vcc, v[24:25], v[22:23]
	v_cndmask_b32_e32 v24, v22, v24, vcc
	v_cndmask_b32_e32 v25, v23, v25, vcc
	v_cmp_lt_u32_e32 vcc, 3, v27
	;; [unrolled: 9-line block ×3, first 2 shown]
	v_cndmask_b32_e32 v23, v23, v25, vcc
	v_cndmask_b32_e32 v22, v22, v24, vcc
	s_nop 0
	v_mov_b32_dpp v25, v23 row_bcast:15 row_mask:0xf bank_mask:0xf
	v_mov_b32_dpp v24, v22 row_bcast:15 row_mask:0xf bank_mask:0xf
	v_cmp_gt_u64_e32 vcc, v[24:25], v[22:23]
	v_cndmask_b32_e32 v27, v23, v25, vcc
	v_cndmask_b32_e32 v28, v22, v24, vcc
	v_cmp_eq_u32_e32 vcc, 0, v29
	v_cndmask_b32_e32 v25, v27, v23, vcc
	v_cndmask_b32_e32 v24, v28, v22, vcc
	s_nop 0
	v_mov_b32_dpp v25, v25 row_bcast:31 row_mask:0xf bank_mask:0xf
	v_mov_b32_dpp v24, v24 row_bcast:31 row_mask:0xf bank_mask:0xf
	s_and_saveexec_b64 s[8:9], s[0:1]
; %bb.50:
	v_cndmask_b32_e32 v17, v27, v23, vcc
	v_cndmask_b32_e32 v16, v28, v22, vcc
	v_cmp_lt_u32_e64 s[0:1], 31, v26
	v_cmp_gt_u64_e32 vcc, v[24:25], v[16:17]
	s_and_b64 vcc, s[0:1], vcc
	v_cndmask_b32_e32 v16, v16, v24, vcc
	v_cndmask_b32_e32 v17, v17, v25, vcc
; %bb.51:
	s_or_b64 exec, exec, s[8:9]
	v_add_u32_e32 v22, -1, v26
	v_and_b32_e32 v23, 64, v26
	v_cmp_lt_i32_e32 vcc, v22, v23
	v_cndmask_b32_e32 v22, v22, v26, vcc
	v_lshlrev_b32_e32 v22, 2, v22
	ds_bpermute_b32 v16, v22, v16
	ds_bpermute_b32 v17, v22, v17
	; wave barrier
	s_waitcnt lgkmcnt(0)
	v_cmp_gt_u64_e32 vcc, v[16:17], v[14:15]
	v_cndmask_b32_e32 v14, v14, v16, vcc
	v_cndmask_b32_e32 v15, v15, v17, vcc
	v_cmp_eq_u32_e32 vcc, 0, v0
	v_cndmask_b32_e32 v15, v15, v19, vcc
	v_cndmask_b32_e32 v14, v14, v18, vcc
	ds_write_b64 v1, v[14:15]
	; wave barrier
	ds_read_b64 v[16:17], v1 offset:8
	s_waitcnt lgkmcnt(0)
	v_cmp_gt_u64_e32 vcc, v[14:15], v[16:17]
	v_cndmask_b32_e32 v15, v17, v15, vcc
	v_cndmask_b32_e32 v14, v16, v14, vcc
	ds_write_b64 v1, v[14:15] offset:8
.LBB3352_52:
	s_or_b64 exec, exec, s[4:5]
	v_cmp_eq_u32_e32 vcc, 0, v0
	v_cmp_ne_u32_e64 s[0:1], 0, v0
	v_pk_mov_b32 v[14:15], v[20:21], v[20:21] op_sel:[0,1]
	s_waitcnt lgkmcnt(0)
	s_barrier
	s_and_saveexec_b64 s[4:5], s[0:1]
	s_cbranch_execz .LBB3352_54
; %bb.53:
	v_add_u32_e32 v1, -1, v0
	v_lshrrev_b32_e32 v14, 5, v1
	v_add_lshl_u32 v1, v14, v1, 3
	ds_read_b64 v[14:15], v1
	s_waitcnt lgkmcnt(0)
	v_cmp_gt_u64_e64 s[0:1], v[20:21], v[14:15]
	v_cndmask_b32_e64 v15, v15, v21, s[0:1]
	v_cndmask_b32_e64 v14, v14, v20, s[0:1]
.LBB3352_54:
	s_or_b64 exec, exec, s[4:5]
	v_cmp_gt_u64_e64 s[0:1], v[14:15], v[10:11]
	v_cndmask_b32_e64 v29, v11, v15, s[0:1]
	v_cndmask_b32_e64 v28, v10, v14, s[0:1]
	v_cmp_gt_u64_e64 s[0:1], v[28:29], v[12:13]
	v_cndmask_b32_e64 v19, v13, v29, s[0:1]
	v_cndmask_b32_e64 v18, v12, v28, s[0:1]
	v_cmp_gt_u64_e64 s[0:1], v[18:19], v[6:7]
	v_cndmask_b32_e64 v31, v7, v19, s[0:1]
	v_cndmask_b32_e64 v30, v6, v18, s[0:1]
	v_cmp_gt_u64_e64 s[0:1], v[30:31], v[8:9]
	v_cndmask_b32_e64 v23, v9, v31, s[0:1]
	v_cndmask_b32_e64 v22, v8, v30, s[0:1]
	v_cmp_gt_u64_e64 s[0:1], v[22:23], v[2:3]
	v_cndmask_b32_e64 v33, v3, v23, s[0:1]
	v_cndmask_b32_e64 v32, v2, v22, s[0:1]
	v_cmp_gt_u64_e64 s[0:1], v[32:33], v[4:5]
	v_cndmask_b32_e64 v35, v5, v33, s[0:1]
	v_cndmask_b32_e64 v34, v4, v32, s[0:1]
	s_and_saveexec_b64 s[0:1], vcc
	s_cbranch_execz .LBB3352_56
; %bb.55:
	v_mov_b32_e32 v5, 0
	ds_read_b64 v[2:3], v5 offset:1040
	s_add_u32 s4, s20, 0x400
	s_addc_u32 s5, s21, 0
	v_mov_b32_e32 v4, 2
	v_pk_mov_b32 v[6:7], s[4:5], s[4:5] op_sel:[0,1]
	s_waitcnt lgkmcnt(0)
	v_cmp_gt_u64_e32 vcc, v[20:21], v[2:3]
	v_cndmask_b32_e32 v3, v3, v21, vcc
	v_cndmask_b32_e32 v2, v2, v20, vcc
	;;#ASMSTART
	global_store_dwordx4 v[6:7], v[2:5] off	
s_waitcnt vmcnt(0)
	;;#ASMEND
.LBB3352_56:
	s_or_b64 exec, exec, s[0:1]
.LBB3352_57:
	s_waitcnt lgkmcnt(0)
	s_mov_b64 s[0:1], -1
	s_and_b64 vcc, exec, s[16:17]
	s_barrier
	ds_write2_b64 v37, v[14:15], v[28:29] offset1:1
	ds_write2_b64 v37, v[18:19], v[30:31] offset0:2 offset1:3
	ds_write2_b64 v37, v[22:23], v[32:33] offset0:4 offset1:5
	ds_write_b64 v37, v[34:35] offset:48
	s_waitcnt lgkmcnt(0)
	s_cbranch_vccz .LBB3352_59
; %bb.58:
	s_barrier
	s_mov_b64 s[0:1], 0
.LBB3352_59:
	s_andn2_b64 vcc, exec, s[0:1]
	s_cbranch_vccnz .LBB3352_84
; %bb.60:
	v_cmp_lt_u64_e64 s[0:1], s[6:7], 2
	s_and_b64 vcc, exec, s[0:1]
	s_barrier
	s_cbranch_vccnz .LBB3352_84
; %bb.61:
	s_add_u32 s0, s24, -1
	s_addc_u32 s1, s25, -1
	s_add_u32 s4, 0, 0x92481000
	s_addc_u32 s5, 0, 0x64
	s_add_i32 s5, s5, 0x249248c0
	s_mul_hi_u32 s9, s4, -7
	s_sub_i32 s9, s9, s4
	s_mul_i32 s10, s5, -7
	s_mul_i32 s6, s4, -7
	s_add_i32 s9, s9, s10
	s_mul_hi_u32 s7, s5, s6
	s_mul_i32 s8, s5, s6
	s_mul_i32 s11, s4, s9
	s_mul_hi_u32 s6, s4, s6
	s_mul_hi_u32 s10, s4, s9
	s_add_u32 s6, s6, s11
	s_addc_u32 s10, 0, s10
	s_add_u32 s6, s6, s8
	s_mul_hi_u32 s11, s5, s9
	s_addc_u32 s6, s10, s7
	s_addc_u32 s7, s11, 0
	s_mul_i32 s8, s5, s9
	s_add_u32 s6, s6, s8
	v_mov_b32_e32 v2, s6
	s_addc_u32 s7, 0, s7
	v_add_co_u32_e32 v2, vcc, s4, v2
	s_cmp_lg_u64 vcc, 0
	s_addc_u32 s4, s5, s7
	v_readfirstlane_b32 s7, v2
	s_mul_i32 s6, s0, s4
	s_mul_hi_u32 s8, s0, s7
	s_mul_hi_u32 s5, s0, s4
	s_add_u32 s6, s8, s6
	s_addc_u32 s5, 0, s5
	s_mul_hi_u32 s9, s1, s7
	s_mul_i32 s7, s1, s7
	s_add_u32 s6, s6, s7
	s_mul_hi_u32 s8, s1, s4
	s_addc_u32 s5, s5, s9
	s_addc_u32 s6, s8, 0
	s_mul_i32 s4, s1, s4
	s_add_u32 s4, s5, s4
	s_addc_u32 s5, 0, s6
	s_add_u32 s6, s4, 1
	s_addc_u32 s7, s5, 0
	s_add_u32 s8, s4, 2
	s_mul_i32 s10, s5, 7
	s_mul_hi_u32 s11, s4, 7
	s_addc_u32 s9, s5, 0
	s_add_i32 s11, s11, s10
	s_mul_i32 s10, s4, 7
	v_mov_b32_e32 v2, s10
	v_sub_co_u32_e32 v2, vcc, s0, v2
	s_cmp_lg_u64 vcc, 0
	s_subb_u32 s10, s1, s11
	v_subrev_co_u32_e32 v3, vcc, 7, v2
	s_cmp_lg_u64 vcc, 0
	s_subb_u32 s11, s10, 0
	v_readfirstlane_b32 s12, v3
	s_cmp_gt_u32 s12, 6
	s_cselect_b32 s12, -1, 0
	s_cmp_eq_u32 s11, 0
	s_cselect_b32 s11, s12, -1
	s_cmp_lg_u32 s11, 0
	s_cselect_b32 s6, s8, s6
	v_readfirstlane_b32 s8, v2
	s_cselect_b32 s7, s9, s7
	s_cmp_gt_u32 s8, 6
	s_cselect_b32 s8, -1, 0
	s_cmp_eq_u32 s10, 0
	s_cselect_b32 s8, s8, -1
	s_cmp_lg_u32 s8, 0
	v_mov_b32_e32 v1, 0
	s_cselect_b32 s5, s7, s5
	s_cselect_b32 s4, s6, s4
	v_cmp_eq_u64_e32 vcc, s[4:5], v[0:1]
	s_and_saveexec_b64 s[4:5], vcc
	s_cbranch_execz .LBB3352_84
; %bb.62:
	s_movk_i32 s4, 0xffd0
	v_mad_i32_i24 v2, v0, s4, v37
	v_mul_hi_u32_u24_e32 v1, 7, v0
	v_mov_b32_e32 v3, s1
	v_sub_co_u32_e32 v0, vcc, s0, v36
	v_subb_co_u32_e32 v1, vcc, v3, v1, vcc
	v_cmp_lt_i64_e32 vcc, 3, v[0:1]
	s_and_saveexec_b64 s[0:1], vcc
	s_xor_b64 s[0:1], exec, s[0:1]
	s_cbranch_execz .LBB3352_72
; %bb.63:
	v_cmp_lt_i64_e32 vcc, 4, v[0:1]
	s_and_saveexec_b64 s[4:5], vcc
	s_xor_b64 s[4:5], exec, s[4:5]
	s_cbranch_execz .LBB3352_69
; %bb.64:
	;; [unrolled: 5-line block ×3, first 2 shown]
	ds_read_b64 v[0:1], v2 offset:6144
	v_mov_b32_e32 v2, 0
	s_waitcnt lgkmcnt(0)
	global_store_dwordx2 v2, v[0:1], s[2:3]
                                        ; implicit-def: $vgpr2
.LBB3352_66:
	s_andn2_saveexec_b64 s[6:7], s[6:7]
	s_cbranch_execz .LBB3352_68
; %bb.67:
	ds_read_b64 v[0:1], v2 offset:5120
	v_mov_b32_e32 v2, 0
	s_waitcnt lgkmcnt(0)
	global_store_dwordx2 v2, v[0:1], s[2:3]
.LBB3352_68:
	s_or_b64 exec, exec, s[6:7]
                                        ; implicit-def: $vgpr2
.LBB3352_69:
	s_andn2_saveexec_b64 s[4:5], s[4:5]
	s_cbranch_execz .LBB3352_71
; %bb.70:
	ds_read_b64 v[0:1], v2 offset:4096
	v_mov_b32_e32 v2, 0
	s_waitcnt lgkmcnt(0)
	global_store_dwordx2 v2, v[0:1], s[2:3]
.LBB3352_71:
	s_or_b64 exec, exec, s[4:5]
                                        ; implicit-def: $vgpr0_vgpr1
                                        ; implicit-def: $vgpr2
.LBB3352_72:
	s_andn2_saveexec_b64 s[0:1], s[0:1]
	s_cbranch_execz .LBB3352_84
; %bb.73:
	v_cmp_lt_i64_e32 vcc, 1, v[0:1]
	s_and_saveexec_b64 s[0:1], vcc
	s_xor_b64 s[0:1], exec, s[0:1]
	s_cbranch_execz .LBB3352_79
; %bb.74:
	v_cmp_lt_i64_e32 vcc, 2, v[0:1]
	s_and_saveexec_b64 s[4:5], vcc
	s_xor_b64 s[4:5], exec, s[4:5]
	s_cbranch_execz .LBB3352_76
; %bb.75:
	ds_read_b64 v[0:1], v2 offset:3072
	v_mov_b32_e32 v2, 0
	s_waitcnt lgkmcnt(0)
	global_store_dwordx2 v2, v[0:1], s[2:3]
                                        ; implicit-def: $vgpr2
.LBB3352_76:
	s_andn2_saveexec_b64 s[4:5], s[4:5]
	s_cbranch_execz .LBB3352_78
; %bb.77:
	ds_read_b64 v[0:1], v2 offset:2048
	v_mov_b32_e32 v2, 0
	s_waitcnt lgkmcnt(0)
	global_store_dwordx2 v2, v[0:1], s[2:3]
.LBB3352_78:
	s_or_b64 exec, exec, s[4:5]
                                        ; implicit-def: $vgpr2
                                        ; implicit-def: $vgpr0_vgpr1
.LBB3352_79:
	s_andn2_saveexec_b64 s[0:1], s[0:1]
	s_cbranch_execz .LBB3352_84
; %bb.80:
	v_cmp_ne_u64_e32 vcc, 1, v[0:1]
	s_and_saveexec_b64 s[0:1], vcc
	s_xor_b64 s[0:1], exec, s[0:1]
	s_cbranch_execz .LBB3352_82
; %bb.81:
	ds_read_b64 v[0:1], v2
	v_mov_b32_e32 v2, 0
	s_waitcnt lgkmcnt(0)
	global_store_dwordx2 v2, v[0:1], s[2:3]
                                        ; implicit-def: $vgpr2
.LBB3352_82:
	s_andn2_saveexec_b64 s[0:1], s[0:1]
	s_cbranch_execz .LBB3352_84
; %bb.83:
	ds_read_b64 v[0:1], v2 offset:1024
	v_mov_b32_e32 v2, 0
	s_waitcnt lgkmcnt(0)
	global_store_dwordx2 v2, v[0:1], s[2:3]
.LBB3352_84:
	s_endpgm
	.section	.rodata,"a",@progbits
	.p2align	6, 0x0
	.amdhsa_kernel _ZN7rocprim17ROCPRIM_400000_NS6detail17trampoline_kernelINS0_14default_configENS1_20scan_config_selectorIyEEZZNS1_9scan_implILNS1_25lookback_scan_determinismE0ELb1ELb1ES3_N6thrust23THRUST_200600_302600_NS6detail15normal_iteratorINS9_10device_ptrIyEEEENS9_16discard_iteratorINS9_11use_defaultEEEy11max_functorIyEyEEDaPvRmT3_T4_T5_mT6_P12ihipStream_tbENKUlT_T0_E_clISt17integral_constantIbLb0EESX_EEDaSS_ST_EUlSS_E_NS1_11comp_targetILNS1_3genE4ELNS1_11target_archE910ELNS1_3gpuE8ELNS1_3repE0EEENS1_30default_config_static_selectorELNS0_4arch9wavefront6targetE1EEEvT1_
		.amdhsa_group_segment_fixed_size 7168
		.amdhsa_private_segment_fixed_size 0
		.amdhsa_kernarg_size 112
		.amdhsa_user_sgpr_count 6
		.amdhsa_user_sgpr_private_segment_buffer 1
		.amdhsa_user_sgpr_dispatch_ptr 0
		.amdhsa_user_sgpr_queue_ptr 0
		.amdhsa_user_sgpr_kernarg_segment_ptr 1
		.amdhsa_user_sgpr_dispatch_id 0
		.amdhsa_user_sgpr_flat_scratch_init 0
		.amdhsa_user_sgpr_kernarg_preload_length 0
		.amdhsa_user_sgpr_kernarg_preload_offset 0
		.amdhsa_user_sgpr_private_segment_size 0
		.amdhsa_uses_dynamic_stack 0
		.amdhsa_system_sgpr_private_segment_wavefront_offset 0
		.amdhsa_system_sgpr_workgroup_id_x 1
		.amdhsa_system_sgpr_workgroup_id_y 0
		.amdhsa_system_sgpr_workgroup_id_z 0
		.amdhsa_system_sgpr_workgroup_info 0
		.amdhsa_system_vgpr_workitem_id 0
		.amdhsa_next_free_vgpr 57
		.amdhsa_next_free_sgpr 28
		.amdhsa_accum_offset 60
		.amdhsa_reserve_vcc 1
		.amdhsa_reserve_flat_scratch 0
		.amdhsa_float_round_mode_32 0
		.amdhsa_float_round_mode_16_64 0
		.amdhsa_float_denorm_mode_32 3
		.amdhsa_float_denorm_mode_16_64 3
		.amdhsa_dx10_clamp 1
		.amdhsa_ieee_mode 1
		.amdhsa_fp16_overflow 0
		.amdhsa_tg_split 0
		.amdhsa_exception_fp_ieee_invalid_op 0
		.amdhsa_exception_fp_denorm_src 0
		.amdhsa_exception_fp_ieee_div_zero 0
		.amdhsa_exception_fp_ieee_overflow 0
		.amdhsa_exception_fp_ieee_underflow 0
		.amdhsa_exception_fp_ieee_inexact 0
		.amdhsa_exception_int_div_zero 0
	.end_amdhsa_kernel
	.section	.text._ZN7rocprim17ROCPRIM_400000_NS6detail17trampoline_kernelINS0_14default_configENS1_20scan_config_selectorIyEEZZNS1_9scan_implILNS1_25lookback_scan_determinismE0ELb1ELb1ES3_N6thrust23THRUST_200600_302600_NS6detail15normal_iteratorINS9_10device_ptrIyEEEENS9_16discard_iteratorINS9_11use_defaultEEEy11max_functorIyEyEEDaPvRmT3_T4_T5_mT6_P12ihipStream_tbENKUlT_T0_E_clISt17integral_constantIbLb0EESX_EEDaSS_ST_EUlSS_E_NS1_11comp_targetILNS1_3genE4ELNS1_11target_archE910ELNS1_3gpuE8ELNS1_3repE0EEENS1_30default_config_static_selectorELNS0_4arch9wavefront6targetE1EEEvT1_,"axG",@progbits,_ZN7rocprim17ROCPRIM_400000_NS6detail17trampoline_kernelINS0_14default_configENS1_20scan_config_selectorIyEEZZNS1_9scan_implILNS1_25lookback_scan_determinismE0ELb1ELb1ES3_N6thrust23THRUST_200600_302600_NS6detail15normal_iteratorINS9_10device_ptrIyEEEENS9_16discard_iteratorINS9_11use_defaultEEEy11max_functorIyEyEEDaPvRmT3_T4_T5_mT6_P12ihipStream_tbENKUlT_T0_E_clISt17integral_constantIbLb0EESX_EEDaSS_ST_EUlSS_E_NS1_11comp_targetILNS1_3genE4ELNS1_11target_archE910ELNS1_3gpuE8ELNS1_3repE0EEENS1_30default_config_static_selectorELNS0_4arch9wavefront6targetE1EEEvT1_,comdat
.Lfunc_end3352:
	.size	_ZN7rocprim17ROCPRIM_400000_NS6detail17trampoline_kernelINS0_14default_configENS1_20scan_config_selectorIyEEZZNS1_9scan_implILNS1_25lookback_scan_determinismE0ELb1ELb1ES3_N6thrust23THRUST_200600_302600_NS6detail15normal_iteratorINS9_10device_ptrIyEEEENS9_16discard_iteratorINS9_11use_defaultEEEy11max_functorIyEyEEDaPvRmT3_T4_T5_mT6_P12ihipStream_tbENKUlT_T0_E_clISt17integral_constantIbLb0EESX_EEDaSS_ST_EUlSS_E_NS1_11comp_targetILNS1_3genE4ELNS1_11target_archE910ELNS1_3gpuE8ELNS1_3repE0EEENS1_30default_config_static_selectorELNS0_4arch9wavefront6targetE1EEEvT1_, .Lfunc_end3352-_ZN7rocprim17ROCPRIM_400000_NS6detail17trampoline_kernelINS0_14default_configENS1_20scan_config_selectorIyEEZZNS1_9scan_implILNS1_25lookback_scan_determinismE0ELb1ELb1ES3_N6thrust23THRUST_200600_302600_NS6detail15normal_iteratorINS9_10device_ptrIyEEEENS9_16discard_iteratorINS9_11use_defaultEEEy11max_functorIyEyEEDaPvRmT3_T4_T5_mT6_P12ihipStream_tbENKUlT_T0_E_clISt17integral_constantIbLb0EESX_EEDaSS_ST_EUlSS_E_NS1_11comp_targetILNS1_3genE4ELNS1_11target_archE910ELNS1_3gpuE8ELNS1_3repE0EEENS1_30default_config_static_selectorELNS0_4arch9wavefront6targetE1EEEvT1_
                                        ; -- End function
	.section	.AMDGPU.csdata,"",@progbits
; Kernel info:
; codeLenInByte = 5400
; NumSgprs: 32
; NumVgprs: 57
; NumAgprs: 0
; TotalNumVgprs: 57
; ScratchSize: 0
; MemoryBound: 0
; FloatMode: 240
; IeeeMode: 1
; LDSByteSize: 7168 bytes/workgroup (compile time only)
; SGPRBlocks: 3
; VGPRBlocks: 7
; NumSGPRsForWavesPerEU: 32
; NumVGPRsForWavesPerEU: 57
; AccumOffset: 60
; Occupancy: 5
; WaveLimiterHint : 1
; COMPUTE_PGM_RSRC2:SCRATCH_EN: 0
; COMPUTE_PGM_RSRC2:USER_SGPR: 6
; COMPUTE_PGM_RSRC2:TRAP_HANDLER: 0
; COMPUTE_PGM_RSRC2:TGID_X_EN: 1
; COMPUTE_PGM_RSRC2:TGID_Y_EN: 0
; COMPUTE_PGM_RSRC2:TGID_Z_EN: 0
; COMPUTE_PGM_RSRC2:TIDIG_COMP_CNT: 0
; COMPUTE_PGM_RSRC3_GFX90A:ACCUM_OFFSET: 14
; COMPUTE_PGM_RSRC3_GFX90A:TG_SPLIT: 0
	.section	.text._ZN7rocprim17ROCPRIM_400000_NS6detail17trampoline_kernelINS0_14default_configENS1_20scan_config_selectorIyEEZZNS1_9scan_implILNS1_25lookback_scan_determinismE0ELb1ELb1ES3_N6thrust23THRUST_200600_302600_NS6detail15normal_iteratorINS9_10device_ptrIyEEEENS9_16discard_iteratorINS9_11use_defaultEEEy11max_functorIyEyEEDaPvRmT3_T4_T5_mT6_P12ihipStream_tbENKUlT_T0_E_clISt17integral_constantIbLb0EESX_EEDaSS_ST_EUlSS_E_NS1_11comp_targetILNS1_3genE3ELNS1_11target_archE908ELNS1_3gpuE7ELNS1_3repE0EEENS1_30default_config_static_selectorELNS0_4arch9wavefront6targetE1EEEvT1_,"axG",@progbits,_ZN7rocprim17ROCPRIM_400000_NS6detail17trampoline_kernelINS0_14default_configENS1_20scan_config_selectorIyEEZZNS1_9scan_implILNS1_25lookback_scan_determinismE0ELb1ELb1ES3_N6thrust23THRUST_200600_302600_NS6detail15normal_iteratorINS9_10device_ptrIyEEEENS9_16discard_iteratorINS9_11use_defaultEEEy11max_functorIyEyEEDaPvRmT3_T4_T5_mT6_P12ihipStream_tbENKUlT_T0_E_clISt17integral_constantIbLb0EESX_EEDaSS_ST_EUlSS_E_NS1_11comp_targetILNS1_3genE3ELNS1_11target_archE908ELNS1_3gpuE7ELNS1_3repE0EEENS1_30default_config_static_selectorELNS0_4arch9wavefront6targetE1EEEvT1_,comdat
	.protected	_ZN7rocprim17ROCPRIM_400000_NS6detail17trampoline_kernelINS0_14default_configENS1_20scan_config_selectorIyEEZZNS1_9scan_implILNS1_25lookback_scan_determinismE0ELb1ELb1ES3_N6thrust23THRUST_200600_302600_NS6detail15normal_iteratorINS9_10device_ptrIyEEEENS9_16discard_iteratorINS9_11use_defaultEEEy11max_functorIyEyEEDaPvRmT3_T4_T5_mT6_P12ihipStream_tbENKUlT_T0_E_clISt17integral_constantIbLb0EESX_EEDaSS_ST_EUlSS_E_NS1_11comp_targetILNS1_3genE3ELNS1_11target_archE908ELNS1_3gpuE7ELNS1_3repE0EEENS1_30default_config_static_selectorELNS0_4arch9wavefront6targetE1EEEvT1_ ; -- Begin function _ZN7rocprim17ROCPRIM_400000_NS6detail17trampoline_kernelINS0_14default_configENS1_20scan_config_selectorIyEEZZNS1_9scan_implILNS1_25lookback_scan_determinismE0ELb1ELb1ES3_N6thrust23THRUST_200600_302600_NS6detail15normal_iteratorINS9_10device_ptrIyEEEENS9_16discard_iteratorINS9_11use_defaultEEEy11max_functorIyEyEEDaPvRmT3_T4_T5_mT6_P12ihipStream_tbENKUlT_T0_E_clISt17integral_constantIbLb0EESX_EEDaSS_ST_EUlSS_E_NS1_11comp_targetILNS1_3genE3ELNS1_11target_archE908ELNS1_3gpuE7ELNS1_3repE0EEENS1_30default_config_static_selectorELNS0_4arch9wavefront6targetE1EEEvT1_
	.globl	_ZN7rocprim17ROCPRIM_400000_NS6detail17trampoline_kernelINS0_14default_configENS1_20scan_config_selectorIyEEZZNS1_9scan_implILNS1_25lookback_scan_determinismE0ELb1ELb1ES3_N6thrust23THRUST_200600_302600_NS6detail15normal_iteratorINS9_10device_ptrIyEEEENS9_16discard_iteratorINS9_11use_defaultEEEy11max_functorIyEyEEDaPvRmT3_T4_T5_mT6_P12ihipStream_tbENKUlT_T0_E_clISt17integral_constantIbLb0EESX_EEDaSS_ST_EUlSS_E_NS1_11comp_targetILNS1_3genE3ELNS1_11target_archE908ELNS1_3gpuE7ELNS1_3repE0EEENS1_30default_config_static_selectorELNS0_4arch9wavefront6targetE1EEEvT1_
	.p2align	8
	.type	_ZN7rocprim17ROCPRIM_400000_NS6detail17trampoline_kernelINS0_14default_configENS1_20scan_config_selectorIyEEZZNS1_9scan_implILNS1_25lookback_scan_determinismE0ELb1ELb1ES3_N6thrust23THRUST_200600_302600_NS6detail15normal_iteratorINS9_10device_ptrIyEEEENS9_16discard_iteratorINS9_11use_defaultEEEy11max_functorIyEyEEDaPvRmT3_T4_T5_mT6_P12ihipStream_tbENKUlT_T0_E_clISt17integral_constantIbLb0EESX_EEDaSS_ST_EUlSS_E_NS1_11comp_targetILNS1_3genE3ELNS1_11target_archE908ELNS1_3gpuE7ELNS1_3repE0EEENS1_30default_config_static_selectorELNS0_4arch9wavefront6targetE1EEEvT1_,@function
_ZN7rocprim17ROCPRIM_400000_NS6detail17trampoline_kernelINS0_14default_configENS1_20scan_config_selectorIyEEZZNS1_9scan_implILNS1_25lookback_scan_determinismE0ELb1ELb1ES3_N6thrust23THRUST_200600_302600_NS6detail15normal_iteratorINS9_10device_ptrIyEEEENS9_16discard_iteratorINS9_11use_defaultEEEy11max_functorIyEyEEDaPvRmT3_T4_T5_mT6_P12ihipStream_tbENKUlT_T0_E_clISt17integral_constantIbLb0EESX_EEDaSS_ST_EUlSS_E_NS1_11comp_targetILNS1_3genE3ELNS1_11target_archE908ELNS1_3gpuE7ELNS1_3repE0EEENS1_30default_config_static_selectorELNS0_4arch9wavefront6targetE1EEEvT1_: ; @_ZN7rocprim17ROCPRIM_400000_NS6detail17trampoline_kernelINS0_14default_configENS1_20scan_config_selectorIyEEZZNS1_9scan_implILNS1_25lookback_scan_determinismE0ELb1ELb1ES3_N6thrust23THRUST_200600_302600_NS6detail15normal_iteratorINS9_10device_ptrIyEEEENS9_16discard_iteratorINS9_11use_defaultEEEy11max_functorIyEyEEDaPvRmT3_T4_T5_mT6_P12ihipStream_tbENKUlT_T0_E_clISt17integral_constantIbLb0EESX_EEDaSS_ST_EUlSS_E_NS1_11comp_targetILNS1_3genE3ELNS1_11target_archE908ELNS1_3gpuE7ELNS1_3repE0EEENS1_30default_config_static_selectorELNS0_4arch9wavefront6targetE1EEEvT1_
; %bb.0:
	.section	.rodata,"a",@progbits
	.p2align	6, 0x0
	.amdhsa_kernel _ZN7rocprim17ROCPRIM_400000_NS6detail17trampoline_kernelINS0_14default_configENS1_20scan_config_selectorIyEEZZNS1_9scan_implILNS1_25lookback_scan_determinismE0ELb1ELb1ES3_N6thrust23THRUST_200600_302600_NS6detail15normal_iteratorINS9_10device_ptrIyEEEENS9_16discard_iteratorINS9_11use_defaultEEEy11max_functorIyEyEEDaPvRmT3_T4_T5_mT6_P12ihipStream_tbENKUlT_T0_E_clISt17integral_constantIbLb0EESX_EEDaSS_ST_EUlSS_E_NS1_11comp_targetILNS1_3genE3ELNS1_11target_archE908ELNS1_3gpuE7ELNS1_3repE0EEENS1_30default_config_static_selectorELNS0_4arch9wavefront6targetE1EEEvT1_
		.amdhsa_group_segment_fixed_size 0
		.amdhsa_private_segment_fixed_size 0
		.amdhsa_kernarg_size 112
		.amdhsa_user_sgpr_count 6
		.amdhsa_user_sgpr_private_segment_buffer 1
		.amdhsa_user_sgpr_dispatch_ptr 0
		.amdhsa_user_sgpr_queue_ptr 0
		.amdhsa_user_sgpr_kernarg_segment_ptr 1
		.amdhsa_user_sgpr_dispatch_id 0
		.amdhsa_user_sgpr_flat_scratch_init 0
		.amdhsa_user_sgpr_kernarg_preload_length 0
		.amdhsa_user_sgpr_kernarg_preload_offset 0
		.amdhsa_user_sgpr_private_segment_size 0
		.amdhsa_uses_dynamic_stack 0
		.amdhsa_system_sgpr_private_segment_wavefront_offset 0
		.amdhsa_system_sgpr_workgroup_id_x 1
		.amdhsa_system_sgpr_workgroup_id_y 0
		.amdhsa_system_sgpr_workgroup_id_z 0
		.amdhsa_system_sgpr_workgroup_info 0
		.amdhsa_system_vgpr_workitem_id 0
		.amdhsa_next_free_vgpr 1
		.amdhsa_next_free_sgpr 0
		.amdhsa_accum_offset 4
		.amdhsa_reserve_vcc 0
		.amdhsa_reserve_flat_scratch 0
		.amdhsa_float_round_mode_32 0
		.amdhsa_float_round_mode_16_64 0
		.amdhsa_float_denorm_mode_32 3
		.amdhsa_float_denorm_mode_16_64 3
		.amdhsa_dx10_clamp 1
		.amdhsa_ieee_mode 1
		.amdhsa_fp16_overflow 0
		.amdhsa_tg_split 0
		.amdhsa_exception_fp_ieee_invalid_op 0
		.amdhsa_exception_fp_denorm_src 0
		.amdhsa_exception_fp_ieee_div_zero 0
		.amdhsa_exception_fp_ieee_overflow 0
		.amdhsa_exception_fp_ieee_underflow 0
		.amdhsa_exception_fp_ieee_inexact 0
		.amdhsa_exception_int_div_zero 0
	.end_amdhsa_kernel
	.section	.text._ZN7rocprim17ROCPRIM_400000_NS6detail17trampoline_kernelINS0_14default_configENS1_20scan_config_selectorIyEEZZNS1_9scan_implILNS1_25lookback_scan_determinismE0ELb1ELb1ES3_N6thrust23THRUST_200600_302600_NS6detail15normal_iteratorINS9_10device_ptrIyEEEENS9_16discard_iteratorINS9_11use_defaultEEEy11max_functorIyEyEEDaPvRmT3_T4_T5_mT6_P12ihipStream_tbENKUlT_T0_E_clISt17integral_constantIbLb0EESX_EEDaSS_ST_EUlSS_E_NS1_11comp_targetILNS1_3genE3ELNS1_11target_archE908ELNS1_3gpuE7ELNS1_3repE0EEENS1_30default_config_static_selectorELNS0_4arch9wavefront6targetE1EEEvT1_,"axG",@progbits,_ZN7rocprim17ROCPRIM_400000_NS6detail17trampoline_kernelINS0_14default_configENS1_20scan_config_selectorIyEEZZNS1_9scan_implILNS1_25lookback_scan_determinismE0ELb1ELb1ES3_N6thrust23THRUST_200600_302600_NS6detail15normal_iteratorINS9_10device_ptrIyEEEENS9_16discard_iteratorINS9_11use_defaultEEEy11max_functorIyEyEEDaPvRmT3_T4_T5_mT6_P12ihipStream_tbENKUlT_T0_E_clISt17integral_constantIbLb0EESX_EEDaSS_ST_EUlSS_E_NS1_11comp_targetILNS1_3genE3ELNS1_11target_archE908ELNS1_3gpuE7ELNS1_3repE0EEENS1_30default_config_static_selectorELNS0_4arch9wavefront6targetE1EEEvT1_,comdat
.Lfunc_end3353:
	.size	_ZN7rocprim17ROCPRIM_400000_NS6detail17trampoline_kernelINS0_14default_configENS1_20scan_config_selectorIyEEZZNS1_9scan_implILNS1_25lookback_scan_determinismE0ELb1ELb1ES3_N6thrust23THRUST_200600_302600_NS6detail15normal_iteratorINS9_10device_ptrIyEEEENS9_16discard_iteratorINS9_11use_defaultEEEy11max_functorIyEyEEDaPvRmT3_T4_T5_mT6_P12ihipStream_tbENKUlT_T0_E_clISt17integral_constantIbLb0EESX_EEDaSS_ST_EUlSS_E_NS1_11comp_targetILNS1_3genE3ELNS1_11target_archE908ELNS1_3gpuE7ELNS1_3repE0EEENS1_30default_config_static_selectorELNS0_4arch9wavefront6targetE1EEEvT1_, .Lfunc_end3353-_ZN7rocprim17ROCPRIM_400000_NS6detail17trampoline_kernelINS0_14default_configENS1_20scan_config_selectorIyEEZZNS1_9scan_implILNS1_25lookback_scan_determinismE0ELb1ELb1ES3_N6thrust23THRUST_200600_302600_NS6detail15normal_iteratorINS9_10device_ptrIyEEEENS9_16discard_iteratorINS9_11use_defaultEEEy11max_functorIyEyEEDaPvRmT3_T4_T5_mT6_P12ihipStream_tbENKUlT_T0_E_clISt17integral_constantIbLb0EESX_EEDaSS_ST_EUlSS_E_NS1_11comp_targetILNS1_3genE3ELNS1_11target_archE908ELNS1_3gpuE7ELNS1_3repE0EEENS1_30default_config_static_selectorELNS0_4arch9wavefront6targetE1EEEvT1_
                                        ; -- End function
	.section	.AMDGPU.csdata,"",@progbits
; Kernel info:
; codeLenInByte = 0
; NumSgprs: 4
; NumVgprs: 0
; NumAgprs: 0
; TotalNumVgprs: 0
; ScratchSize: 0
; MemoryBound: 0
; FloatMode: 240
; IeeeMode: 1
; LDSByteSize: 0 bytes/workgroup (compile time only)
; SGPRBlocks: 0
; VGPRBlocks: 0
; NumSGPRsForWavesPerEU: 4
; NumVGPRsForWavesPerEU: 1
; AccumOffset: 4
; Occupancy: 8
; WaveLimiterHint : 0
; COMPUTE_PGM_RSRC2:SCRATCH_EN: 0
; COMPUTE_PGM_RSRC2:USER_SGPR: 6
; COMPUTE_PGM_RSRC2:TRAP_HANDLER: 0
; COMPUTE_PGM_RSRC2:TGID_X_EN: 1
; COMPUTE_PGM_RSRC2:TGID_Y_EN: 0
; COMPUTE_PGM_RSRC2:TGID_Z_EN: 0
; COMPUTE_PGM_RSRC2:TIDIG_COMP_CNT: 0
; COMPUTE_PGM_RSRC3_GFX90A:ACCUM_OFFSET: 0
; COMPUTE_PGM_RSRC3_GFX90A:TG_SPLIT: 0
	.section	.text._ZN7rocprim17ROCPRIM_400000_NS6detail17trampoline_kernelINS0_14default_configENS1_20scan_config_selectorIyEEZZNS1_9scan_implILNS1_25lookback_scan_determinismE0ELb1ELb1ES3_N6thrust23THRUST_200600_302600_NS6detail15normal_iteratorINS9_10device_ptrIyEEEENS9_16discard_iteratorINS9_11use_defaultEEEy11max_functorIyEyEEDaPvRmT3_T4_T5_mT6_P12ihipStream_tbENKUlT_T0_E_clISt17integral_constantIbLb0EESX_EEDaSS_ST_EUlSS_E_NS1_11comp_targetILNS1_3genE2ELNS1_11target_archE906ELNS1_3gpuE6ELNS1_3repE0EEENS1_30default_config_static_selectorELNS0_4arch9wavefront6targetE1EEEvT1_,"axG",@progbits,_ZN7rocprim17ROCPRIM_400000_NS6detail17trampoline_kernelINS0_14default_configENS1_20scan_config_selectorIyEEZZNS1_9scan_implILNS1_25lookback_scan_determinismE0ELb1ELb1ES3_N6thrust23THRUST_200600_302600_NS6detail15normal_iteratorINS9_10device_ptrIyEEEENS9_16discard_iteratorINS9_11use_defaultEEEy11max_functorIyEyEEDaPvRmT3_T4_T5_mT6_P12ihipStream_tbENKUlT_T0_E_clISt17integral_constantIbLb0EESX_EEDaSS_ST_EUlSS_E_NS1_11comp_targetILNS1_3genE2ELNS1_11target_archE906ELNS1_3gpuE6ELNS1_3repE0EEENS1_30default_config_static_selectorELNS0_4arch9wavefront6targetE1EEEvT1_,comdat
	.protected	_ZN7rocprim17ROCPRIM_400000_NS6detail17trampoline_kernelINS0_14default_configENS1_20scan_config_selectorIyEEZZNS1_9scan_implILNS1_25lookback_scan_determinismE0ELb1ELb1ES3_N6thrust23THRUST_200600_302600_NS6detail15normal_iteratorINS9_10device_ptrIyEEEENS9_16discard_iteratorINS9_11use_defaultEEEy11max_functorIyEyEEDaPvRmT3_T4_T5_mT6_P12ihipStream_tbENKUlT_T0_E_clISt17integral_constantIbLb0EESX_EEDaSS_ST_EUlSS_E_NS1_11comp_targetILNS1_3genE2ELNS1_11target_archE906ELNS1_3gpuE6ELNS1_3repE0EEENS1_30default_config_static_selectorELNS0_4arch9wavefront6targetE1EEEvT1_ ; -- Begin function _ZN7rocprim17ROCPRIM_400000_NS6detail17trampoline_kernelINS0_14default_configENS1_20scan_config_selectorIyEEZZNS1_9scan_implILNS1_25lookback_scan_determinismE0ELb1ELb1ES3_N6thrust23THRUST_200600_302600_NS6detail15normal_iteratorINS9_10device_ptrIyEEEENS9_16discard_iteratorINS9_11use_defaultEEEy11max_functorIyEyEEDaPvRmT3_T4_T5_mT6_P12ihipStream_tbENKUlT_T0_E_clISt17integral_constantIbLb0EESX_EEDaSS_ST_EUlSS_E_NS1_11comp_targetILNS1_3genE2ELNS1_11target_archE906ELNS1_3gpuE6ELNS1_3repE0EEENS1_30default_config_static_selectorELNS0_4arch9wavefront6targetE1EEEvT1_
	.globl	_ZN7rocprim17ROCPRIM_400000_NS6detail17trampoline_kernelINS0_14default_configENS1_20scan_config_selectorIyEEZZNS1_9scan_implILNS1_25lookback_scan_determinismE0ELb1ELb1ES3_N6thrust23THRUST_200600_302600_NS6detail15normal_iteratorINS9_10device_ptrIyEEEENS9_16discard_iteratorINS9_11use_defaultEEEy11max_functorIyEyEEDaPvRmT3_T4_T5_mT6_P12ihipStream_tbENKUlT_T0_E_clISt17integral_constantIbLb0EESX_EEDaSS_ST_EUlSS_E_NS1_11comp_targetILNS1_3genE2ELNS1_11target_archE906ELNS1_3gpuE6ELNS1_3repE0EEENS1_30default_config_static_selectorELNS0_4arch9wavefront6targetE1EEEvT1_
	.p2align	8
	.type	_ZN7rocprim17ROCPRIM_400000_NS6detail17trampoline_kernelINS0_14default_configENS1_20scan_config_selectorIyEEZZNS1_9scan_implILNS1_25lookback_scan_determinismE0ELb1ELb1ES3_N6thrust23THRUST_200600_302600_NS6detail15normal_iteratorINS9_10device_ptrIyEEEENS9_16discard_iteratorINS9_11use_defaultEEEy11max_functorIyEyEEDaPvRmT3_T4_T5_mT6_P12ihipStream_tbENKUlT_T0_E_clISt17integral_constantIbLb0EESX_EEDaSS_ST_EUlSS_E_NS1_11comp_targetILNS1_3genE2ELNS1_11target_archE906ELNS1_3gpuE6ELNS1_3repE0EEENS1_30default_config_static_selectorELNS0_4arch9wavefront6targetE1EEEvT1_,@function
_ZN7rocprim17ROCPRIM_400000_NS6detail17trampoline_kernelINS0_14default_configENS1_20scan_config_selectorIyEEZZNS1_9scan_implILNS1_25lookback_scan_determinismE0ELb1ELb1ES3_N6thrust23THRUST_200600_302600_NS6detail15normal_iteratorINS9_10device_ptrIyEEEENS9_16discard_iteratorINS9_11use_defaultEEEy11max_functorIyEyEEDaPvRmT3_T4_T5_mT6_P12ihipStream_tbENKUlT_T0_E_clISt17integral_constantIbLb0EESX_EEDaSS_ST_EUlSS_E_NS1_11comp_targetILNS1_3genE2ELNS1_11target_archE906ELNS1_3gpuE6ELNS1_3repE0EEENS1_30default_config_static_selectorELNS0_4arch9wavefront6targetE1EEEvT1_: ; @_ZN7rocprim17ROCPRIM_400000_NS6detail17trampoline_kernelINS0_14default_configENS1_20scan_config_selectorIyEEZZNS1_9scan_implILNS1_25lookback_scan_determinismE0ELb1ELb1ES3_N6thrust23THRUST_200600_302600_NS6detail15normal_iteratorINS9_10device_ptrIyEEEENS9_16discard_iteratorINS9_11use_defaultEEEy11max_functorIyEyEEDaPvRmT3_T4_T5_mT6_P12ihipStream_tbENKUlT_T0_E_clISt17integral_constantIbLb0EESX_EEDaSS_ST_EUlSS_E_NS1_11comp_targetILNS1_3genE2ELNS1_11target_archE906ELNS1_3gpuE6ELNS1_3repE0EEENS1_30default_config_static_selectorELNS0_4arch9wavefront6targetE1EEEvT1_
; %bb.0:
	.section	.rodata,"a",@progbits
	.p2align	6, 0x0
	.amdhsa_kernel _ZN7rocprim17ROCPRIM_400000_NS6detail17trampoline_kernelINS0_14default_configENS1_20scan_config_selectorIyEEZZNS1_9scan_implILNS1_25lookback_scan_determinismE0ELb1ELb1ES3_N6thrust23THRUST_200600_302600_NS6detail15normal_iteratorINS9_10device_ptrIyEEEENS9_16discard_iteratorINS9_11use_defaultEEEy11max_functorIyEyEEDaPvRmT3_T4_T5_mT6_P12ihipStream_tbENKUlT_T0_E_clISt17integral_constantIbLb0EESX_EEDaSS_ST_EUlSS_E_NS1_11comp_targetILNS1_3genE2ELNS1_11target_archE906ELNS1_3gpuE6ELNS1_3repE0EEENS1_30default_config_static_selectorELNS0_4arch9wavefront6targetE1EEEvT1_
		.amdhsa_group_segment_fixed_size 0
		.amdhsa_private_segment_fixed_size 0
		.amdhsa_kernarg_size 112
		.amdhsa_user_sgpr_count 6
		.amdhsa_user_sgpr_private_segment_buffer 1
		.amdhsa_user_sgpr_dispatch_ptr 0
		.amdhsa_user_sgpr_queue_ptr 0
		.amdhsa_user_sgpr_kernarg_segment_ptr 1
		.amdhsa_user_sgpr_dispatch_id 0
		.amdhsa_user_sgpr_flat_scratch_init 0
		.amdhsa_user_sgpr_kernarg_preload_length 0
		.amdhsa_user_sgpr_kernarg_preload_offset 0
		.amdhsa_user_sgpr_private_segment_size 0
		.amdhsa_uses_dynamic_stack 0
		.amdhsa_system_sgpr_private_segment_wavefront_offset 0
		.amdhsa_system_sgpr_workgroup_id_x 1
		.amdhsa_system_sgpr_workgroup_id_y 0
		.amdhsa_system_sgpr_workgroup_id_z 0
		.amdhsa_system_sgpr_workgroup_info 0
		.amdhsa_system_vgpr_workitem_id 0
		.amdhsa_next_free_vgpr 1
		.amdhsa_next_free_sgpr 0
		.amdhsa_accum_offset 4
		.amdhsa_reserve_vcc 0
		.amdhsa_reserve_flat_scratch 0
		.amdhsa_float_round_mode_32 0
		.amdhsa_float_round_mode_16_64 0
		.amdhsa_float_denorm_mode_32 3
		.amdhsa_float_denorm_mode_16_64 3
		.amdhsa_dx10_clamp 1
		.amdhsa_ieee_mode 1
		.amdhsa_fp16_overflow 0
		.amdhsa_tg_split 0
		.amdhsa_exception_fp_ieee_invalid_op 0
		.amdhsa_exception_fp_denorm_src 0
		.amdhsa_exception_fp_ieee_div_zero 0
		.amdhsa_exception_fp_ieee_overflow 0
		.amdhsa_exception_fp_ieee_underflow 0
		.amdhsa_exception_fp_ieee_inexact 0
		.amdhsa_exception_int_div_zero 0
	.end_amdhsa_kernel
	.section	.text._ZN7rocprim17ROCPRIM_400000_NS6detail17trampoline_kernelINS0_14default_configENS1_20scan_config_selectorIyEEZZNS1_9scan_implILNS1_25lookback_scan_determinismE0ELb1ELb1ES3_N6thrust23THRUST_200600_302600_NS6detail15normal_iteratorINS9_10device_ptrIyEEEENS9_16discard_iteratorINS9_11use_defaultEEEy11max_functorIyEyEEDaPvRmT3_T4_T5_mT6_P12ihipStream_tbENKUlT_T0_E_clISt17integral_constantIbLb0EESX_EEDaSS_ST_EUlSS_E_NS1_11comp_targetILNS1_3genE2ELNS1_11target_archE906ELNS1_3gpuE6ELNS1_3repE0EEENS1_30default_config_static_selectorELNS0_4arch9wavefront6targetE1EEEvT1_,"axG",@progbits,_ZN7rocprim17ROCPRIM_400000_NS6detail17trampoline_kernelINS0_14default_configENS1_20scan_config_selectorIyEEZZNS1_9scan_implILNS1_25lookback_scan_determinismE0ELb1ELb1ES3_N6thrust23THRUST_200600_302600_NS6detail15normal_iteratorINS9_10device_ptrIyEEEENS9_16discard_iteratorINS9_11use_defaultEEEy11max_functorIyEyEEDaPvRmT3_T4_T5_mT6_P12ihipStream_tbENKUlT_T0_E_clISt17integral_constantIbLb0EESX_EEDaSS_ST_EUlSS_E_NS1_11comp_targetILNS1_3genE2ELNS1_11target_archE906ELNS1_3gpuE6ELNS1_3repE0EEENS1_30default_config_static_selectorELNS0_4arch9wavefront6targetE1EEEvT1_,comdat
.Lfunc_end3354:
	.size	_ZN7rocprim17ROCPRIM_400000_NS6detail17trampoline_kernelINS0_14default_configENS1_20scan_config_selectorIyEEZZNS1_9scan_implILNS1_25lookback_scan_determinismE0ELb1ELb1ES3_N6thrust23THRUST_200600_302600_NS6detail15normal_iteratorINS9_10device_ptrIyEEEENS9_16discard_iteratorINS9_11use_defaultEEEy11max_functorIyEyEEDaPvRmT3_T4_T5_mT6_P12ihipStream_tbENKUlT_T0_E_clISt17integral_constantIbLb0EESX_EEDaSS_ST_EUlSS_E_NS1_11comp_targetILNS1_3genE2ELNS1_11target_archE906ELNS1_3gpuE6ELNS1_3repE0EEENS1_30default_config_static_selectorELNS0_4arch9wavefront6targetE1EEEvT1_, .Lfunc_end3354-_ZN7rocprim17ROCPRIM_400000_NS6detail17trampoline_kernelINS0_14default_configENS1_20scan_config_selectorIyEEZZNS1_9scan_implILNS1_25lookback_scan_determinismE0ELb1ELb1ES3_N6thrust23THRUST_200600_302600_NS6detail15normal_iteratorINS9_10device_ptrIyEEEENS9_16discard_iteratorINS9_11use_defaultEEEy11max_functorIyEyEEDaPvRmT3_T4_T5_mT6_P12ihipStream_tbENKUlT_T0_E_clISt17integral_constantIbLb0EESX_EEDaSS_ST_EUlSS_E_NS1_11comp_targetILNS1_3genE2ELNS1_11target_archE906ELNS1_3gpuE6ELNS1_3repE0EEENS1_30default_config_static_selectorELNS0_4arch9wavefront6targetE1EEEvT1_
                                        ; -- End function
	.section	.AMDGPU.csdata,"",@progbits
; Kernel info:
; codeLenInByte = 0
; NumSgprs: 4
; NumVgprs: 0
; NumAgprs: 0
; TotalNumVgprs: 0
; ScratchSize: 0
; MemoryBound: 0
; FloatMode: 240
; IeeeMode: 1
; LDSByteSize: 0 bytes/workgroup (compile time only)
; SGPRBlocks: 0
; VGPRBlocks: 0
; NumSGPRsForWavesPerEU: 4
; NumVGPRsForWavesPerEU: 1
; AccumOffset: 4
; Occupancy: 8
; WaveLimiterHint : 0
; COMPUTE_PGM_RSRC2:SCRATCH_EN: 0
; COMPUTE_PGM_RSRC2:USER_SGPR: 6
; COMPUTE_PGM_RSRC2:TRAP_HANDLER: 0
; COMPUTE_PGM_RSRC2:TGID_X_EN: 1
; COMPUTE_PGM_RSRC2:TGID_Y_EN: 0
; COMPUTE_PGM_RSRC2:TGID_Z_EN: 0
; COMPUTE_PGM_RSRC2:TIDIG_COMP_CNT: 0
; COMPUTE_PGM_RSRC3_GFX90A:ACCUM_OFFSET: 0
; COMPUTE_PGM_RSRC3_GFX90A:TG_SPLIT: 0
	.section	.text._ZN7rocprim17ROCPRIM_400000_NS6detail17trampoline_kernelINS0_14default_configENS1_20scan_config_selectorIyEEZZNS1_9scan_implILNS1_25lookback_scan_determinismE0ELb1ELb1ES3_N6thrust23THRUST_200600_302600_NS6detail15normal_iteratorINS9_10device_ptrIyEEEENS9_16discard_iteratorINS9_11use_defaultEEEy11max_functorIyEyEEDaPvRmT3_T4_T5_mT6_P12ihipStream_tbENKUlT_T0_E_clISt17integral_constantIbLb0EESX_EEDaSS_ST_EUlSS_E_NS1_11comp_targetILNS1_3genE10ELNS1_11target_archE1201ELNS1_3gpuE5ELNS1_3repE0EEENS1_30default_config_static_selectorELNS0_4arch9wavefront6targetE1EEEvT1_,"axG",@progbits,_ZN7rocprim17ROCPRIM_400000_NS6detail17trampoline_kernelINS0_14default_configENS1_20scan_config_selectorIyEEZZNS1_9scan_implILNS1_25lookback_scan_determinismE0ELb1ELb1ES3_N6thrust23THRUST_200600_302600_NS6detail15normal_iteratorINS9_10device_ptrIyEEEENS9_16discard_iteratorINS9_11use_defaultEEEy11max_functorIyEyEEDaPvRmT3_T4_T5_mT6_P12ihipStream_tbENKUlT_T0_E_clISt17integral_constantIbLb0EESX_EEDaSS_ST_EUlSS_E_NS1_11comp_targetILNS1_3genE10ELNS1_11target_archE1201ELNS1_3gpuE5ELNS1_3repE0EEENS1_30default_config_static_selectorELNS0_4arch9wavefront6targetE1EEEvT1_,comdat
	.protected	_ZN7rocprim17ROCPRIM_400000_NS6detail17trampoline_kernelINS0_14default_configENS1_20scan_config_selectorIyEEZZNS1_9scan_implILNS1_25lookback_scan_determinismE0ELb1ELb1ES3_N6thrust23THRUST_200600_302600_NS6detail15normal_iteratorINS9_10device_ptrIyEEEENS9_16discard_iteratorINS9_11use_defaultEEEy11max_functorIyEyEEDaPvRmT3_T4_T5_mT6_P12ihipStream_tbENKUlT_T0_E_clISt17integral_constantIbLb0EESX_EEDaSS_ST_EUlSS_E_NS1_11comp_targetILNS1_3genE10ELNS1_11target_archE1201ELNS1_3gpuE5ELNS1_3repE0EEENS1_30default_config_static_selectorELNS0_4arch9wavefront6targetE1EEEvT1_ ; -- Begin function _ZN7rocprim17ROCPRIM_400000_NS6detail17trampoline_kernelINS0_14default_configENS1_20scan_config_selectorIyEEZZNS1_9scan_implILNS1_25lookback_scan_determinismE0ELb1ELb1ES3_N6thrust23THRUST_200600_302600_NS6detail15normal_iteratorINS9_10device_ptrIyEEEENS9_16discard_iteratorINS9_11use_defaultEEEy11max_functorIyEyEEDaPvRmT3_T4_T5_mT6_P12ihipStream_tbENKUlT_T0_E_clISt17integral_constantIbLb0EESX_EEDaSS_ST_EUlSS_E_NS1_11comp_targetILNS1_3genE10ELNS1_11target_archE1201ELNS1_3gpuE5ELNS1_3repE0EEENS1_30default_config_static_selectorELNS0_4arch9wavefront6targetE1EEEvT1_
	.globl	_ZN7rocprim17ROCPRIM_400000_NS6detail17trampoline_kernelINS0_14default_configENS1_20scan_config_selectorIyEEZZNS1_9scan_implILNS1_25lookback_scan_determinismE0ELb1ELb1ES3_N6thrust23THRUST_200600_302600_NS6detail15normal_iteratorINS9_10device_ptrIyEEEENS9_16discard_iteratorINS9_11use_defaultEEEy11max_functorIyEyEEDaPvRmT3_T4_T5_mT6_P12ihipStream_tbENKUlT_T0_E_clISt17integral_constantIbLb0EESX_EEDaSS_ST_EUlSS_E_NS1_11comp_targetILNS1_3genE10ELNS1_11target_archE1201ELNS1_3gpuE5ELNS1_3repE0EEENS1_30default_config_static_selectorELNS0_4arch9wavefront6targetE1EEEvT1_
	.p2align	8
	.type	_ZN7rocprim17ROCPRIM_400000_NS6detail17trampoline_kernelINS0_14default_configENS1_20scan_config_selectorIyEEZZNS1_9scan_implILNS1_25lookback_scan_determinismE0ELb1ELb1ES3_N6thrust23THRUST_200600_302600_NS6detail15normal_iteratorINS9_10device_ptrIyEEEENS9_16discard_iteratorINS9_11use_defaultEEEy11max_functorIyEyEEDaPvRmT3_T4_T5_mT6_P12ihipStream_tbENKUlT_T0_E_clISt17integral_constantIbLb0EESX_EEDaSS_ST_EUlSS_E_NS1_11comp_targetILNS1_3genE10ELNS1_11target_archE1201ELNS1_3gpuE5ELNS1_3repE0EEENS1_30default_config_static_selectorELNS0_4arch9wavefront6targetE1EEEvT1_,@function
_ZN7rocprim17ROCPRIM_400000_NS6detail17trampoline_kernelINS0_14default_configENS1_20scan_config_selectorIyEEZZNS1_9scan_implILNS1_25lookback_scan_determinismE0ELb1ELb1ES3_N6thrust23THRUST_200600_302600_NS6detail15normal_iteratorINS9_10device_ptrIyEEEENS9_16discard_iteratorINS9_11use_defaultEEEy11max_functorIyEyEEDaPvRmT3_T4_T5_mT6_P12ihipStream_tbENKUlT_T0_E_clISt17integral_constantIbLb0EESX_EEDaSS_ST_EUlSS_E_NS1_11comp_targetILNS1_3genE10ELNS1_11target_archE1201ELNS1_3gpuE5ELNS1_3repE0EEENS1_30default_config_static_selectorELNS0_4arch9wavefront6targetE1EEEvT1_: ; @_ZN7rocprim17ROCPRIM_400000_NS6detail17trampoline_kernelINS0_14default_configENS1_20scan_config_selectorIyEEZZNS1_9scan_implILNS1_25lookback_scan_determinismE0ELb1ELb1ES3_N6thrust23THRUST_200600_302600_NS6detail15normal_iteratorINS9_10device_ptrIyEEEENS9_16discard_iteratorINS9_11use_defaultEEEy11max_functorIyEyEEDaPvRmT3_T4_T5_mT6_P12ihipStream_tbENKUlT_T0_E_clISt17integral_constantIbLb0EESX_EEDaSS_ST_EUlSS_E_NS1_11comp_targetILNS1_3genE10ELNS1_11target_archE1201ELNS1_3gpuE5ELNS1_3repE0EEENS1_30default_config_static_selectorELNS0_4arch9wavefront6targetE1EEEvT1_
; %bb.0:
	.section	.rodata,"a",@progbits
	.p2align	6, 0x0
	.amdhsa_kernel _ZN7rocprim17ROCPRIM_400000_NS6detail17trampoline_kernelINS0_14default_configENS1_20scan_config_selectorIyEEZZNS1_9scan_implILNS1_25lookback_scan_determinismE0ELb1ELb1ES3_N6thrust23THRUST_200600_302600_NS6detail15normal_iteratorINS9_10device_ptrIyEEEENS9_16discard_iteratorINS9_11use_defaultEEEy11max_functorIyEyEEDaPvRmT3_T4_T5_mT6_P12ihipStream_tbENKUlT_T0_E_clISt17integral_constantIbLb0EESX_EEDaSS_ST_EUlSS_E_NS1_11comp_targetILNS1_3genE10ELNS1_11target_archE1201ELNS1_3gpuE5ELNS1_3repE0EEENS1_30default_config_static_selectorELNS0_4arch9wavefront6targetE1EEEvT1_
		.amdhsa_group_segment_fixed_size 0
		.amdhsa_private_segment_fixed_size 0
		.amdhsa_kernarg_size 112
		.amdhsa_user_sgpr_count 6
		.amdhsa_user_sgpr_private_segment_buffer 1
		.amdhsa_user_sgpr_dispatch_ptr 0
		.amdhsa_user_sgpr_queue_ptr 0
		.amdhsa_user_sgpr_kernarg_segment_ptr 1
		.amdhsa_user_sgpr_dispatch_id 0
		.amdhsa_user_sgpr_flat_scratch_init 0
		.amdhsa_user_sgpr_kernarg_preload_length 0
		.amdhsa_user_sgpr_kernarg_preload_offset 0
		.amdhsa_user_sgpr_private_segment_size 0
		.amdhsa_uses_dynamic_stack 0
		.amdhsa_system_sgpr_private_segment_wavefront_offset 0
		.amdhsa_system_sgpr_workgroup_id_x 1
		.amdhsa_system_sgpr_workgroup_id_y 0
		.amdhsa_system_sgpr_workgroup_id_z 0
		.amdhsa_system_sgpr_workgroup_info 0
		.amdhsa_system_vgpr_workitem_id 0
		.amdhsa_next_free_vgpr 1
		.amdhsa_next_free_sgpr 0
		.amdhsa_accum_offset 4
		.amdhsa_reserve_vcc 0
		.amdhsa_reserve_flat_scratch 0
		.amdhsa_float_round_mode_32 0
		.amdhsa_float_round_mode_16_64 0
		.amdhsa_float_denorm_mode_32 3
		.amdhsa_float_denorm_mode_16_64 3
		.amdhsa_dx10_clamp 1
		.amdhsa_ieee_mode 1
		.amdhsa_fp16_overflow 0
		.amdhsa_tg_split 0
		.amdhsa_exception_fp_ieee_invalid_op 0
		.amdhsa_exception_fp_denorm_src 0
		.amdhsa_exception_fp_ieee_div_zero 0
		.amdhsa_exception_fp_ieee_overflow 0
		.amdhsa_exception_fp_ieee_underflow 0
		.amdhsa_exception_fp_ieee_inexact 0
		.amdhsa_exception_int_div_zero 0
	.end_amdhsa_kernel
	.section	.text._ZN7rocprim17ROCPRIM_400000_NS6detail17trampoline_kernelINS0_14default_configENS1_20scan_config_selectorIyEEZZNS1_9scan_implILNS1_25lookback_scan_determinismE0ELb1ELb1ES3_N6thrust23THRUST_200600_302600_NS6detail15normal_iteratorINS9_10device_ptrIyEEEENS9_16discard_iteratorINS9_11use_defaultEEEy11max_functorIyEyEEDaPvRmT3_T4_T5_mT6_P12ihipStream_tbENKUlT_T0_E_clISt17integral_constantIbLb0EESX_EEDaSS_ST_EUlSS_E_NS1_11comp_targetILNS1_3genE10ELNS1_11target_archE1201ELNS1_3gpuE5ELNS1_3repE0EEENS1_30default_config_static_selectorELNS0_4arch9wavefront6targetE1EEEvT1_,"axG",@progbits,_ZN7rocprim17ROCPRIM_400000_NS6detail17trampoline_kernelINS0_14default_configENS1_20scan_config_selectorIyEEZZNS1_9scan_implILNS1_25lookback_scan_determinismE0ELb1ELb1ES3_N6thrust23THRUST_200600_302600_NS6detail15normal_iteratorINS9_10device_ptrIyEEEENS9_16discard_iteratorINS9_11use_defaultEEEy11max_functorIyEyEEDaPvRmT3_T4_T5_mT6_P12ihipStream_tbENKUlT_T0_E_clISt17integral_constantIbLb0EESX_EEDaSS_ST_EUlSS_E_NS1_11comp_targetILNS1_3genE10ELNS1_11target_archE1201ELNS1_3gpuE5ELNS1_3repE0EEENS1_30default_config_static_selectorELNS0_4arch9wavefront6targetE1EEEvT1_,comdat
.Lfunc_end3355:
	.size	_ZN7rocprim17ROCPRIM_400000_NS6detail17trampoline_kernelINS0_14default_configENS1_20scan_config_selectorIyEEZZNS1_9scan_implILNS1_25lookback_scan_determinismE0ELb1ELb1ES3_N6thrust23THRUST_200600_302600_NS6detail15normal_iteratorINS9_10device_ptrIyEEEENS9_16discard_iteratorINS9_11use_defaultEEEy11max_functorIyEyEEDaPvRmT3_T4_T5_mT6_P12ihipStream_tbENKUlT_T0_E_clISt17integral_constantIbLb0EESX_EEDaSS_ST_EUlSS_E_NS1_11comp_targetILNS1_3genE10ELNS1_11target_archE1201ELNS1_3gpuE5ELNS1_3repE0EEENS1_30default_config_static_selectorELNS0_4arch9wavefront6targetE1EEEvT1_, .Lfunc_end3355-_ZN7rocprim17ROCPRIM_400000_NS6detail17trampoline_kernelINS0_14default_configENS1_20scan_config_selectorIyEEZZNS1_9scan_implILNS1_25lookback_scan_determinismE0ELb1ELb1ES3_N6thrust23THRUST_200600_302600_NS6detail15normal_iteratorINS9_10device_ptrIyEEEENS9_16discard_iteratorINS9_11use_defaultEEEy11max_functorIyEyEEDaPvRmT3_T4_T5_mT6_P12ihipStream_tbENKUlT_T0_E_clISt17integral_constantIbLb0EESX_EEDaSS_ST_EUlSS_E_NS1_11comp_targetILNS1_3genE10ELNS1_11target_archE1201ELNS1_3gpuE5ELNS1_3repE0EEENS1_30default_config_static_selectorELNS0_4arch9wavefront6targetE1EEEvT1_
                                        ; -- End function
	.section	.AMDGPU.csdata,"",@progbits
; Kernel info:
; codeLenInByte = 0
; NumSgprs: 4
; NumVgprs: 0
; NumAgprs: 0
; TotalNumVgprs: 0
; ScratchSize: 0
; MemoryBound: 0
; FloatMode: 240
; IeeeMode: 1
; LDSByteSize: 0 bytes/workgroup (compile time only)
; SGPRBlocks: 0
; VGPRBlocks: 0
; NumSGPRsForWavesPerEU: 4
; NumVGPRsForWavesPerEU: 1
; AccumOffset: 4
; Occupancy: 8
; WaveLimiterHint : 0
; COMPUTE_PGM_RSRC2:SCRATCH_EN: 0
; COMPUTE_PGM_RSRC2:USER_SGPR: 6
; COMPUTE_PGM_RSRC2:TRAP_HANDLER: 0
; COMPUTE_PGM_RSRC2:TGID_X_EN: 1
; COMPUTE_PGM_RSRC2:TGID_Y_EN: 0
; COMPUTE_PGM_RSRC2:TGID_Z_EN: 0
; COMPUTE_PGM_RSRC2:TIDIG_COMP_CNT: 0
; COMPUTE_PGM_RSRC3_GFX90A:ACCUM_OFFSET: 0
; COMPUTE_PGM_RSRC3_GFX90A:TG_SPLIT: 0
	.section	.text._ZN7rocprim17ROCPRIM_400000_NS6detail17trampoline_kernelINS0_14default_configENS1_20scan_config_selectorIyEEZZNS1_9scan_implILNS1_25lookback_scan_determinismE0ELb1ELb1ES3_N6thrust23THRUST_200600_302600_NS6detail15normal_iteratorINS9_10device_ptrIyEEEENS9_16discard_iteratorINS9_11use_defaultEEEy11max_functorIyEyEEDaPvRmT3_T4_T5_mT6_P12ihipStream_tbENKUlT_T0_E_clISt17integral_constantIbLb0EESX_EEDaSS_ST_EUlSS_E_NS1_11comp_targetILNS1_3genE10ELNS1_11target_archE1200ELNS1_3gpuE4ELNS1_3repE0EEENS1_30default_config_static_selectorELNS0_4arch9wavefront6targetE1EEEvT1_,"axG",@progbits,_ZN7rocprim17ROCPRIM_400000_NS6detail17trampoline_kernelINS0_14default_configENS1_20scan_config_selectorIyEEZZNS1_9scan_implILNS1_25lookback_scan_determinismE0ELb1ELb1ES3_N6thrust23THRUST_200600_302600_NS6detail15normal_iteratorINS9_10device_ptrIyEEEENS9_16discard_iteratorINS9_11use_defaultEEEy11max_functorIyEyEEDaPvRmT3_T4_T5_mT6_P12ihipStream_tbENKUlT_T0_E_clISt17integral_constantIbLb0EESX_EEDaSS_ST_EUlSS_E_NS1_11comp_targetILNS1_3genE10ELNS1_11target_archE1200ELNS1_3gpuE4ELNS1_3repE0EEENS1_30default_config_static_selectorELNS0_4arch9wavefront6targetE1EEEvT1_,comdat
	.protected	_ZN7rocprim17ROCPRIM_400000_NS6detail17trampoline_kernelINS0_14default_configENS1_20scan_config_selectorIyEEZZNS1_9scan_implILNS1_25lookback_scan_determinismE0ELb1ELb1ES3_N6thrust23THRUST_200600_302600_NS6detail15normal_iteratorINS9_10device_ptrIyEEEENS9_16discard_iteratorINS9_11use_defaultEEEy11max_functorIyEyEEDaPvRmT3_T4_T5_mT6_P12ihipStream_tbENKUlT_T0_E_clISt17integral_constantIbLb0EESX_EEDaSS_ST_EUlSS_E_NS1_11comp_targetILNS1_3genE10ELNS1_11target_archE1200ELNS1_3gpuE4ELNS1_3repE0EEENS1_30default_config_static_selectorELNS0_4arch9wavefront6targetE1EEEvT1_ ; -- Begin function _ZN7rocprim17ROCPRIM_400000_NS6detail17trampoline_kernelINS0_14default_configENS1_20scan_config_selectorIyEEZZNS1_9scan_implILNS1_25lookback_scan_determinismE0ELb1ELb1ES3_N6thrust23THRUST_200600_302600_NS6detail15normal_iteratorINS9_10device_ptrIyEEEENS9_16discard_iteratorINS9_11use_defaultEEEy11max_functorIyEyEEDaPvRmT3_T4_T5_mT6_P12ihipStream_tbENKUlT_T0_E_clISt17integral_constantIbLb0EESX_EEDaSS_ST_EUlSS_E_NS1_11comp_targetILNS1_3genE10ELNS1_11target_archE1200ELNS1_3gpuE4ELNS1_3repE0EEENS1_30default_config_static_selectorELNS0_4arch9wavefront6targetE1EEEvT1_
	.globl	_ZN7rocprim17ROCPRIM_400000_NS6detail17trampoline_kernelINS0_14default_configENS1_20scan_config_selectorIyEEZZNS1_9scan_implILNS1_25lookback_scan_determinismE0ELb1ELb1ES3_N6thrust23THRUST_200600_302600_NS6detail15normal_iteratorINS9_10device_ptrIyEEEENS9_16discard_iteratorINS9_11use_defaultEEEy11max_functorIyEyEEDaPvRmT3_T4_T5_mT6_P12ihipStream_tbENKUlT_T0_E_clISt17integral_constantIbLb0EESX_EEDaSS_ST_EUlSS_E_NS1_11comp_targetILNS1_3genE10ELNS1_11target_archE1200ELNS1_3gpuE4ELNS1_3repE0EEENS1_30default_config_static_selectorELNS0_4arch9wavefront6targetE1EEEvT1_
	.p2align	8
	.type	_ZN7rocprim17ROCPRIM_400000_NS6detail17trampoline_kernelINS0_14default_configENS1_20scan_config_selectorIyEEZZNS1_9scan_implILNS1_25lookback_scan_determinismE0ELb1ELb1ES3_N6thrust23THRUST_200600_302600_NS6detail15normal_iteratorINS9_10device_ptrIyEEEENS9_16discard_iteratorINS9_11use_defaultEEEy11max_functorIyEyEEDaPvRmT3_T4_T5_mT6_P12ihipStream_tbENKUlT_T0_E_clISt17integral_constantIbLb0EESX_EEDaSS_ST_EUlSS_E_NS1_11comp_targetILNS1_3genE10ELNS1_11target_archE1200ELNS1_3gpuE4ELNS1_3repE0EEENS1_30default_config_static_selectorELNS0_4arch9wavefront6targetE1EEEvT1_,@function
_ZN7rocprim17ROCPRIM_400000_NS6detail17trampoline_kernelINS0_14default_configENS1_20scan_config_selectorIyEEZZNS1_9scan_implILNS1_25lookback_scan_determinismE0ELb1ELb1ES3_N6thrust23THRUST_200600_302600_NS6detail15normal_iteratorINS9_10device_ptrIyEEEENS9_16discard_iteratorINS9_11use_defaultEEEy11max_functorIyEyEEDaPvRmT3_T4_T5_mT6_P12ihipStream_tbENKUlT_T0_E_clISt17integral_constantIbLb0EESX_EEDaSS_ST_EUlSS_E_NS1_11comp_targetILNS1_3genE10ELNS1_11target_archE1200ELNS1_3gpuE4ELNS1_3repE0EEENS1_30default_config_static_selectorELNS0_4arch9wavefront6targetE1EEEvT1_: ; @_ZN7rocprim17ROCPRIM_400000_NS6detail17trampoline_kernelINS0_14default_configENS1_20scan_config_selectorIyEEZZNS1_9scan_implILNS1_25lookback_scan_determinismE0ELb1ELb1ES3_N6thrust23THRUST_200600_302600_NS6detail15normal_iteratorINS9_10device_ptrIyEEEENS9_16discard_iteratorINS9_11use_defaultEEEy11max_functorIyEyEEDaPvRmT3_T4_T5_mT6_P12ihipStream_tbENKUlT_T0_E_clISt17integral_constantIbLb0EESX_EEDaSS_ST_EUlSS_E_NS1_11comp_targetILNS1_3genE10ELNS1_11target_archE1200ELNS1_3gpuE4ELNS1_3repE0EEENS1_30default_config_static_selectorELNS0_4arch9wavefront6targetE1EEEvT1_
; %bb.0:
	.section	.rodata,"a",@progbits
	.p2align	6, 0x0
	.amdhsa_kernel _ZN7rocprim17ROCPRIM_400000_NS6detail17trampoline_kernelINS0_14default_configENS1_20scan_config_selectorIyEEZZNS1_9scan_implILNS1_25lookback_scan_determinismE0ELb1ELb1ES3_N6thrust23THRUST_200600_302600_NS6detail15normal_iteratorINS9_10device_ptrIyEEEENS9_16discard_iteratorINS9_11use_defaultEEEy11max_functorIyEyEEDaPvRmT3_T4_T5_mT6_P12ihipStream_tbENKUlT_T0_E_clISt17integral_constantIbLb0EESX_EEDaSS_ST_EUlSS_E_NS1_11comp_targetILNS1_3genE10ELNS1_11target_archE1200ELNS1_3gpuE4ELNS1_3repE0EEENS1_30default_config_static_selectorELNS0_4arch9wavefront6targetE1EEEvT1_
		.amdhsa_group_segment_fixed_size 0
		.amdhsa_private_segment_fixed_size 0
		.amdhsa_kernarg_size 112
		.amdhsa_user_sgpr_count 6
		.amdhsa_user_sgpr_private_segment_buffer 1
		.amdhsa_user_sgpr_dispatch_ptr 0
		.amdhsa_user_sgpr_queue_ptr 0
		.amdhsa_user_sgpr_kernarg_segment_ptr 1
		.amdhsa_user_sgpr_dispatch_id 0
		.amdhsa_user_sgpr_flat_scratch_init 0
		.amdhsa_user_sgpr_kernarg_preload_length 0
		.amdhsa_user_sgpr_kernarg_preload_offset 0
		.amdhsa_user_sgpr_private_segment_size 0
		.amdhsa_uses_dynamic_stack 0
		.amdhsa_system_sgpr_private_segment_wavefront_offset 0
		.amdhsa_system_sgpr_workgroup_id_x 1
		.amdhsa_system_sgpr_workgroup_id_y 0
		.amdhsa_system_sgpr_workgroup_id_z 0
		.amdhsa_system_sgpr_workgroup_info 0
		.amdhsa_system_vgpr_workitem_id 0
		.amdhsa_next_free_vgpr 1
		.amdhsa_next_free_sgpr 0
		.amdhsa_accum_offset 4
		.amdhsa_reserve_vcc 0
		.amdhsa_reserve_flat_scratch 0
		.amdhsa_float_round_mode_32 0
		.amdhsa_float_round_mode_16_64 0
		.amdhsa_float_denorm_mode_32 3
		.amdhsa_float_denorm_mode_16_64 3
		.amdhsa_dx10_clamp 1
		.amdhsa_ieee_mode 1
		.amdhsa_fp16_overflow 0
		.amdhsa_tg_split 0
		.amdhsa_exception_fp_ieee_invalid_op 0
		.amdhsa_exception_fp_denorm_src 0
		.amdhsa_exception_fp_ieee_div_zero 0
		.amdhsa_exception_fp_ieee_overflow 0
		.amdhsa_exception_fp_ieee_underflow 0
		.amdhsa_exception_fp_ieee_inexact 0
		.amdhsa_exception_int_div_zero 0
	.end_amdhsa_kernel
	.section	.text._ZN7rocprim17ROCPRIM_400000_NS6detail17trampoline_kernelINS0_14default_configENS1_20scan_config_selectorIyEEZZNS1_9scan_implILNS1_25lookback_scan_determinismE0ELb1ELb1ES3_N6thrust23THRUST_200600_302600_NS6detail15normal_iteratorINS9_10device_ptrIyEEEENS9_16discard_iteratorINS9_11use_defaultEEEy11max_functorIyEyEEDaPvRmT3_T4_T5_mT6_P12ihipStream_tbENKUlT_T0_E_clISt17integral_constantIbLb0EESX_EEDaSS_ST_EUlSS_E_NS1_11comp_targetILNS1_3genE10ELNS1_11target_archE1200ELNS1_3gpuE4ELNS1_3repE0EEENS1_30default_config_static_selectorELNS0_4arch9wavefront6targetE1EEEvT1_,"axG",@progbits,_ZN7rocprim17ROCPRIM_400000_NS6detail17trampoline_kernelINS0_14default_configENS1_20scan_config_selectorIyEEZZNS1_9scan_implILNS1_25lookback_scan_determinismE0ELb1ELb1ES3_N6thrust23THRUST_200600_302600_NS6detail15normal_iteratorINS9_10device_ptrIyEEEENS9_16discard_iteratorINS9_11use_defaultEEEy11max_functorIyEyEEDaPvRmT3_T4_T5_mT6_P12ihipStream_tbENKUlT_T0_E_clISt17integral_constantIbLb0EESX_EEDaSS_ST_EUlSS_E_NS1_11comp_targetILNS1_3genE10ELNS1_11target_archE1200ELNS1_3gpuE4ELNS1_3repE0EEENS1_30default_config_static_selectorELNS0_4arch9wavefront6targetE1EEEvT1_,comdat
.Lfunc_end3356:
	.size	_ZN7rocprim17ROCPRIM_400000_NS6detail17trampoline_kernelINS0_14default_configENS1_20scan_config_selectorIyEEZZNS1_9scan_implILNS1_25lookback_scan_determinismE0ELb1ELb1ES3_N6thrust23THRUST_200600_302600_NS6detail15normal_iteratorINS9_10device_ptrIyEEEENS9_16discard_iteratorINS9_11use_defaultEEEy11max_functorIyEyEEDaPvRmT3_T4_T5_mT6_P12ihipStream_tbENKUlT_T0_E_clISt17integral_constantIbLb0EESX_EEDaSS_ST_EUlSS_E_NS1_11comp_targetILNS1_3genE10ELNS1_11target_archE1200ELNS1_3gpuE4ELNS1_3repE0EEENS1_30default_config_static_selectorELNS0_4arch9wavefront6targetE1EEEvT1_, .Lfunc_end3356-_ZN7rocprim17ROCPRIM_400000_NS6detail17trampoline_kernelINS0_14default_configENS1_20scan_config_selectorIyEEZZNS1_9scan_implILNS1_25lookback_scan_determinismE0ELb1ELb1ES3_N6thrust23THRUST_200600_302600_NS6detail15normal_iteratorINS9_10device_ptrIyEEEENS9_16discard_iteratorINS9_11use_defaultEEEy11max_functorIyEyEEDaPvRmT3_T4_T5_mT6_P12ihipStream_tbENKUlT_T0_E_clISt17integral_constantIbLb0EESX_EEDaSS_ST_EUlSS_E_NS1_11comp_targetILNS1_3genE10ELNS1_11target_archE1200ELNS1_3gpuE4ELNS1_3repE0EEENS1_30default_config_static_selectorELNS0_4arch9wavefront6targetE1EEEvT1_
                                        ; -- End function
	.section	.AMDGPU.csdata,"",@progbits
; Kernel info:
; codeLenInByte = 0
; NumSgprs: 4
; NumVgprs: 0
; NumAgprs: 0
; TotalNumVgprs: 0
; ScratchSize: 0
; MemoryBound: 0
; FloatMode: 240
; IeeeMode: 1
; LDSByteSize: 0 bytes/workgroup (compile time only)
; SGPRBlocks: 0
; VGPRBlocks: 0
; NumSGPRsForWavesPerEU: 4
; NumVGPRsForWavesPerEU: 1
; AccumOffset: 4
; Occupancy: 8
; WaveLimiterHint : 0
; COMPUTE_PGM_RSRC2:SCRATCH_EN: 0
; COMPUTE_PGM_RSRC2:USER_SGPR: 6
; COMPUTE_PGM_RSRC2:TRAP_HANDLER: 0
; COMPUTE_PGM_RSRC2:TGID_X_EN: 1
; COMPUTE_PGM_RSRC2:TGID_Y_EN: 0
; COMPUTE_PGM_RSRC2:TGID_Z_EN: 0
; COMPUTE_PGM_RSRC2:TIDIG_COMP_CNT: 0
; COMPUTE_PGM_RSRC3_GFX90A:ACCUM_OFFSET: 0
; COMPUTE_PGM_RSRC3_GFX90A:TG_SPLIT: 0
	.section	.text._ZN7rocprim17ROCPRIM_400000_NS6detail17trampoline_kernelINS0_14default_configENS1_20scan_config_selectorIyEEZZNS1_9scan_implILNS1_25lookback_scan_determinismE0ELb1ELb1ES3_N6thrust23THRUST_200600_302600_NS6detail15normal_iteratorINS9_10device_ptrIyEEEENS9_16discard_iteratorINS9_11use_defaultEEEy11max_functorIyEyEEDaPvRmT3_T4_T5_mT6_P12ihipStream_tbENKUlT_T0_E_clISt17integral_constantIbLb0EESX_EEDaSS_ST_EUlSS_E_NS1_11comp_targetILNS1_3genE9ELNS1_11target_archE1100ELNS1_3gpuE3ELNS1_3repE0EEENS1_30default_config_static_selectorELNS0_4arch9wavefront6targetE1EEEvT1_,"axG",@progbits,_ZN7rocprim17ROCPRIM_400000_NS6detail17trampoline_kernelINS0_14default_configENS1_20scan_config_selectorIyEEZZNS1_9scan_implILNS1_25lookback_scan_determinismE0ELb1ELb1ES3_N6thrust23THRUST_200600_302600_NS6detail15normal_iteratorINS9_10device_ptrIyEEEENS9_16discard_iteratorINS9_11use_defaultEEEy11max_functorIyEyEEDaPvRmT3_T4_T5_mT6_P12ihipStream_tbENKUlT_T0_E_clISt17integral_constantIbLb0EESX_EEDaSS_ST_EUlSS_E_NS1_11comp_targetILNS1_3genE9ELNS1_11target_archE1100ELNS1_3gpuE3ELNS1_3repE0EEENS1_30default_config_static_selectorELNS0_4arch9wavefront6targetE1EEEvT1_,comdat
	.protected	_ZN7rocprim17ROCPRIM_400000_NS6detail17trampoline_kernelINS0_14default_configENS1_20scan_config_selectorIyEEZZNS1_9scan_implILNS1_25lookback_scan_determinismE0ELb1ELb1ES3_N6thrust23THRUST_200600_302600_NS6detail15normal_iteratorINS9_10device_ptrIyEEEENS9_16discard_iteratorINS9_11use_defaultEEEy11max_functorIyEyEEDaPvRmT3_T4_T5_mT6_P12ihipStream_tbENKUlT_T0_E_clISt17integral_constantIbLb0EESX_EEDaSS_ST_EUlSS_E_NS1_11comp_targetILNS1_3genE9ELNS1_11target_archE1100ELNS1_3gpuE3ELNS1_3repE0EEENS1_30default_config_static_selectorELNS0_4arch9wavefront6targetE1EEEvT1_ ; -- Begin function _ZN7rocprim17ROCPRIM_400000_NS6detail17trampoline_kernelINS0_14default_configENS1_20scan_config_selectorIyEEZZNS1_9scan_implILNS1_25lookback_scan_determinismE0ELb1ELb1ES3_N6thrust23THRUST_200600_302600_NS6detail15normal_iteratorINS9_10device_ptrIyEEEENS9_16discard_iteratorINS9_11use_defaultEEEy11max_functorIyEyEEDaPvRmT3_T4_T5_mT6_P12ihipStream_tbENKUlT_T0_E_clISt17integral_constantIbLb0EESX_EEDaSS_ST_EUlSS_E_NS1_11comp_targetILNS1_3genE9ELNS1_11target_archE1100ELNS1_3gpuE3ELNS1_3repE0EEENS1_30default_config_static_selectorELNS0_4arch9wavefront6targetE1EEEvT1_
	.globl	_ZN7rocprim17ROCPRIM_400000_NS6detail17trampoline_kernelINS0_14default_configENS1_20scan_config_selectorIyEEZZNS1_9scan_implILNS1_25lookback_scan_determinismE0ELb1ELb1ES3_N6thrust23THRUST_200600_302600_NS6detail15normal_iteratorINS9_10device_ptrIyEEEENS9_16discard_iteratorINS9_11use_defaultEEEy11max_functorIyEyEEDaPvRmT3_T4_T5_mT6_P12ihipStream_tbENKUlT_T0_E_clISt17integral_constantIbLb0EESX_EEDaSS_ST_EUlSS_E_NS1_11comp_targetILNS1_3genE9ELNS1_11target_archE1100ELNS1_3gpuE3ELNS1_3repE0EEENS1_30default_config_static_selectorELNS0_4arch9wavefront6targetE1EEEvT1_
	.p2align	8
	.type	_ZN7rocprim17ROCPRIM_400000_NS6detail17trampoline_kernelINS0_14default_configENS1_20scan_config_selectorIyEEZZNS1_9scan_implILNS1_25lookback_scan_determinismE0ELb1ELb1ES3_N6thrust23THRUST_200600_302600_NS6detail15normal_iteratorINS9_10device_ptrIyEEEENS9_16discard_iteratorINS9_11use_defaultEEEy11max_functorIyEyEEDaPvRmT3_T4_T5_mT6_P12ihipStream_tbENKUlT_T0_E_clISt17integral_constantIbLb0EESX_EEDaSS_ST_EUlSS_E_NS1_11comp_targetILNS1_3genE9ELNS1_11target_archE1100ELNS1_3gpuE3ELNS1_3repE0EEENS1_30default_config_static_selectorELNS0_4arch9wavefront6targetE1EEEvT1_,@function
_ZN7rocprim17ROCPRIM_400000_NS6detail17trampoline_kernelINS0_14default_configENS1_20scan_config_selectorIyEEZZNS1_9scan_implILNS1_25lookback_scan_determinismE0ELb1ELb1ES3_N6thrust23THRUST_200600_302600_NS6detail15normal_iteratorINS9_10device_ptrIyEEEENS9_16discard_iteratorINS9_11use_defaultEEEy11max_functorIyEyEEDaPvRmT3_T4_T5_mT6_P12ihipStream_tbENKUlT_T0_E_clISt17integral_constantIbLb0EESX_EEDaSS_ST_EUlSS_E_NS1_11comp_targetILNS1_3genE9ELNS1_11target_archE1100ELNS1_3gpuE3ELNS1_3repE0EEENS1_30default_config_static_selectorELNS0_4arch9wavefront6targetE1EEEvT1_: ; @_ZN7rocprim17ROCPRIM_400000_NS6detail17trampoline_kernelINS0_14default_configENS1_20scan_config_selectorIyEEZZNS1_9scan_implILNS1_25lookback_scan_determinismE0ELb1ELb1ES3_N6thrust23THRUST_200600_302600_NS6detail15normal_iteratorINS9_10device_ptrIyEEEENS9_16discard_iteratorINS9_11use_defaultEEEy11max_functorIyEyEEDaPvRmT3_T4_T5_mT6_P12ihipStream_tbENKUlT_T0_E_clISt17integral_constantIbLb0EESX_EEDaSS_ST_EUlSS_E_NS1_11comp_targetILNS1_3genE9ELNS1_11target_archE1100ELNS1_3gpuE3ELNS1_3repE0EEENS1_30default_config_static_selectorELNS0_4arch9wavefront6targetE1EEEvT1_
; %bb.0:
	.section	.rodata,"a",@progbits
	.p2align	6, 0x0
	.amdhsa_kernel _ZN7rocprim17ROCPRIM_400000_NS6detail17trampoline_kernelINS0_14default_configENS1_20scan_config_selectorIyEEZZNS1_9scan_implILNS1_25lookback_scan_determinismE0ELb1ELb1ES3_N6thrust23THRUST_200600_302600_NS6detail15normal_iteratorINS9_10device_ptrIyEEEENS9_16discard_iteratorINS9_11use_defaultEEEy11max_functorIyEyEEDaPvRmT3_T4_T5_mT6_P12ihipStream_tbENKUlT_T0_E_clISt17integral_constantIbLb0EESX_EEDaSS_ST_EUlSS_E_NS1_11comp_targetILNS1_3genE9ELNS1_11target_archE1100ELNS1_3gpuE3ELNS1_3repE0EEENS1_30default_config_static_selectorELNS0_4arch9wavefront6targetE1EEEvT1_
		.amdhsa_group_segment_fixed_size 0
		.amdhsa_private_segment_fixed_size 0
		.amdhsa_kernarg_size 112
		.amdhsa_user_sgpr_count 6
		.amdhsa_user_sgpr_private_segment_buffer 1
		.amdhsa_user_sgpr_dispatch_ptr 0
		.amdhsa_user_sgpr_queue_ptr 0
		.amdhsa_user_sgpr_kernarg_segment_ptr 1
		.amdhsa_user_sgpr_dispatch_id 0
		.amdhsa_user_sgpr_flat_scratch_init 0
		.amdhsa_user_sgpr_kernarg_preload_length 0
		.amdhsa_user_sgpr_kernarg_preload_offset 0
		.amdhsa_user_sgpr_private_segment_size 0
		.amdhsa_uses_dynamic_stack 0
		.amdhsa_system_sgpr_private_segment_wavefront_offset 0
		.amdhsa_system_sgpr_workgroup_id_x 1
		.amdhsa_system_sgpr_workgroup_id_y 0
		.amdhsa_system_sgpr_workgroup_id_z 0
		.amdhsa_system_sgpr_workgroup_info 0
		.amdhsa_system_vgpr_workitem_id 0
		.amdhsa_next_free_vgpr 1
		.amdhsa_next_free_sgpr 0
		.amdhsa_accum_offset 4
		.amdhsa_reserve_vcc 0
		.amdhsa_reserve_flat_scratch 0
		.amdhsa_float_round_mode_32 0
		.amdhsa_float_round_mode_16_64 0
		.amdhsa_float_denorm_mode_32 3
		.amdhsa_float_denorm_mode_16_64 3
		.amdhsa_dx10_clamp 1
		.amdhsa_ieee_mode 1
		.amdhsa_fp16_overflow 0
		.amdhsa_tg_split 0
		.amdhsa_exception_fp_ieee_invalid_op 0
		.amdhsa_exception_fp_denorm_src 0
		.amdhsa_exception_fp_ieee_div_zero 0
		.amdhsa_exception_fp_ieee_overflow 0
		.amdhsa_exception_fp_ieee_underflow 0
		.amdhsa_exception_fp_ieee_inexact 0
		.amdhsa_exception_int_div_zero 0
	.end_amdhsa_kernel
	.section	.text._ZN7rocprim17ROCPRIM_400000_NS6detail17trampoline_kernelINS0_14default_configENS1_20scan_config_selectorIyEEZZNS1_9scan_implILNS1_25lookback_scan_determinismE0ELb1ELb1ES3_N6thrust23THRUST_200600_302600_NS6detail15normal_iteratorINS9_10device_ptrIyEEEENS9_16discard_iteratorINS9_11use_defaultEEEy11max_functorIyEyEEDaPvRmT3_T4_T5_mT6_P12ihipStream_tbENKUlT_T0_E_clISt17integral_constantIbLb0EESX_EEDaSS_ST_EUlSS_E_NS1_11comp_targetILNS1_3genE9ELNS1_11target_archE1100ELNS1_3gpuE3ELNS1_3repE0EEENS1_30default_config_static_selectorELNS0_4arch9wavefront6targetE1EEEvT1_,"axG",@progbits,_ZN7rocprim17ROCPRIM_400000_NS6detail17trampoline_kernelINS0_14default_configENS1_20scan_config_selectorIyEEZZNS1_9scan_implILNS1_25lookback_scan_determinismE0ELb1ELb1ES3_N6thrust23THRUST_200600_302600_NS6detail15normal_iteratorINS9_10device_ptrIyEEEENS9_16discard_iteratorINS9_11use_defaultEEEy11max_functorIyEyEEDaPvRmT3_T4_T5_mT6_P12ihipStream_tbENKUlT_T0_E_clISt17integral_constantIbLb0EESX_EEDaSS_ST_EUlSS_E_NS1_11comp_targetILNS1_3genE9ELNS1_11target_archE1100ELNS1_3gpuE3ELNS1_3repE0EEENS1_30default_config_static_selectorELNS0_4arch9wavefront6targetE1EEEvT1_,comdat
.Lfunc_end3357:
	.size	_ZN7rocprim17ROCPRIM_400000_NS6detail17trampoline_kernelINS0_14default_configENS1_20scan_config_selectorIyEEZZNS1_9scan_implILNS1_25lookback_scan_determinismE0ELb1ELb1ES3_N6thrust23THRUST_200600_302600_NS6detail15normal_iteratorINS9_10device_ptrIyEEEENS9_16discard_iteratorINS9_11use_defaultEEEy11max_functorIyEyEEDaPvRmT3_T4_T5_mT6_P12ihipStream_tbENKUlT_T0_E_clISt17integral_constantIbLb0EESX_EEDaSS_ST_EUlSS_E_NS1_11comp_targetILNS1_3genE9ELNS1_11target_archE1100ELNS1_3gpuE3ELNS1_3repE0EEENS1_30default_config_static_selectorELNS0_4arch9wavefront6targetE1EEEvT1_, .Lfunc_end3357-_ZN7rocprim17ROCPRIM_400000_NS6detail17trampoline_kernelINS0_14default_configENS1_20scan_config_selectorIyEEZZNS1_9scan_implILNS1_25lookback_scan_determinismE0ELb1ELb1ES3_N6thrust23THRUST_200600_302600_NS6detail15normal_iteratorINS9_10device_ptrIyEEEENS9_16discard_iteratorINS9_11use_defaultEEEy11max_functorIyEyEEDaPvRmT3_T4_T5_mT6_P12ihipStream_tbENKUlT_T0_E_clISt17integral_constantIbLb0EESX_EEDaSS_ST_EUlSS_E_NS1_11comp_targetILNS1_3genE9ELNS1_11target_archE1100ELNS1_3gpuE3ELNS1_3repE0EEENS1_30default_config_static_selectorELNS0_4arch9wavefront6targetE1EEEvT1_
                                        ; -- End function
	.section	.AMDGPU.csdata,"",@progbits
; Kernel info:
; codeLenInByte = 0
; NumSgprs: 4
; NumVgprs: 0
; NumAgprs: 0
; TotalNumVgprs: 0
; ScratchSize: 0
; MemoryBound: 0
; FloatMode: 240
; IeeeMode: 1
; LDSByteSize: 0 bytes/workgroup (compile time only)
; SGPRBlocks: 0
; VGPRBlocks: 0
; NumSGPRsForWavesPerEU: 4
; NumVGPRsForWavesPerEU: 1
; AccumOffset: 4
; Occupancy: 8
; WaveLimiterHint : 0
; COMPUTE_PGM_RSRC2:SCRATCH_EN: 0
; COMPUTE_PGM_RSRC2:USER_SGPR: 6
; COMPUTE_PGM_RSRC2:TRAP_HANDLER: 0
; COMPUTE_PGM_RSRC2:TGID_X_EN: 1
; COMPUTE_PGM_RSRC2:TGID_Y_EN: 0
; COMPUTE_PGM_RSRC2:TGID_Z_EN: 0
; COMPUTE_PGM_RSRC2:TIDIG_COMP_CNT: 0
; COMPUTE_PGM_RSRC3_GFX90A:ACCUM_OFFSET: 0
; COMPUTE_PGM_RSRC3_GFX90A:TG_SPLIT: 0
	.section	.text._ZN7rocprim17ROCPRIM_400000_NS6detail17trampoline_kernelINS0_14default_configENS1_20scan_config_selectorIyEEZZNS1_9scan_implILNS1_25lookback_scan_determinismE0ELb1ELb1ES3_N6thrust23THRUST_200600_302600_NS6detail15normal_iteratorINS9_10device_ptrIyEEEENS9_16discard_iteratorINS9_11use_defaultEEEy11max_functorIyEyEEDaPvRmT3_T4_T5_mT6_P12ihipStream_tbENKUlT_T0_E_clISt17integral_constantIbLb0EESX_EEDaSS_ST_EUlSS_E_NS1_11comp_targetILNS1_3genE8ELNS1_11target_archE1030ELNS1_3gpuE2ELNS1_3repE0EEENS1_30default_config_static_selectorELNS0_4arch9wavefront6targetE1EEEvT1_,"axG",@progbits,_ZN7rocprim17ROCPRIM_400000_NS6detail17trampoline_kernelINS0_14default_configENS1_20scan_config_selectorIyEEZZNS1_9scan_implILNS1_25lookback_scan_determinismE0ELb1ELb1ES3_N6thrust23THRUST_200600_302600_NS6detail15normal_iteratorINS9_10device_ptrIyEEEENS9_16discard_iteratorINS9_11use_defaultEEEy11max_functorIyEyEEDaPvRmT3_T4_T5_mT6_P12ihipStream_tbENKUlT_T0_E_clISt17integral_constantIbLb0EESX_EEDaSS_ST_EUlSS_E_NS1_11comp_targetILNS1_3genE8ELNS1_11target_archE1030ELNS1_3gpuE2ELNS1_3repE0EEENS1_30default_config_static_selectorELNS0_4arch9wavefront6targetE1EEEvT1_,comdat
	.protected	_ZN7rocprim17ROCPRIM_400000_NS6detail17trampoline_kernelINS0_14default_configENS1_20scan_config_selectorIyEEZZNS1_9scan_implILNS1_25lookback_scan_determinismE0ELb1ELb1ES3_N6thrust23THRUST_200600_302600_NS6detail15normal_iteratorINS9_10device_ptrIyEEEENS9_16discard_iteratorINS9_11use_defaultEEEy11max_functorIyEyEEDaPvRmT3_T4_T5_mT6_P12ihipStream_tbENKUlT_T0_E_clISt17integral_constantIbLb0EESX_EEDaSS_ST_EUlSS_E_NS1_11comp_targetILNS1_3genE8ELNS1_11target_archE1030ELNS1_3gpuE2ELNS1_3repE0EEENS1_30default_config_static_selectorELNS0_4arch9wavefront6targetE1EEEvT1_ ; -- Begin function _ZN7rocprim17ROCPRIM_400000_NS6detail17trampoline_kernelINS0_14default_configENS1_20scan_config_selectorIyEEZZNS1_9scan_implILNS1_25lookback_scan_determinismE0ELb1ELb1ES3_N6thrust23THRUST_200600_302600_NS6detail15normal_iteratorINS9_10device_ptrIyEEEENS9_16discard_iteratorINS9_11use_defaultEEEy11max_functorIyEyEEDaPvRmT3_T4_T5_mT6_P12ihipStream_tbENKUlT_T0_E_clISt17integral_constantIbLb0EESX_EEDaSS_ST_EUlSS_E_NS1_11comp_targetILNS1_3genE8ELNS1_11target_archE1030ELNS1_3gpuE2ELNS1_3repE0EEENS1_30default_config_static_selectorELNS0_4arch9wavefront6targetE1EEEvT1_
	.globl	_ZN7rocprim17ROCPRIM_400000_NS6detail17trampoline_kernelINS0_14default_configENS1_20scan_config_selectorIyEEZZNS1_9scan_implILNS1_25lookback_scan_determinismE0ELb1ELb1ES3_N6thrust23THRUST_200600_302600_NS6detail15normal_iteratorINS9_10device_ptrIyEEEENS9_16discard_iteratorINS9_11use_defaultEEEy11max_functorIyEyEEDaPvRmT3_T4_T5_mT6_P12ihipStream_tbENKUlT_T0_E_clISt17integral_constantIbLb0EESX_EEDaSS_ST_EUlSS_E_NS1_11comp_targetILNS1_3genE8ELNS1_11target_archE1030ELNS1_3gpuE2ELNS1_3repE0EEENS1_30default_config_static_selectorELNS0_4arch9wavefront6targetE1EEEvT1_
	.p2align	8
	.type	_ZN7rocprim17ROCPRIM_400000_NS6detail17trampoline_kernelINS0_14default_configENS1_20scan_config_selectorIyEEZZNS1_9scan_implILNS1_25lookback_scan_determinismE0ELb1ELb1ES3_N6thrust23THRUST_200600_302600_NS6detail15normal_iteratorINS9_10device_ptrIyEEEENS9_16discard_iteratorINS9_11use_defaultEEEy11max_functorIyEyEEDaPvRmT3_T4_T5_mT6_P12ihipStream_tbENKUlT_T0_E_clISt17integral_constantIbLb0EESX_EEDaSS_ST_EUlSS_E_NS1_11comp_targetILNS1_3genE8ELNS1_11target_archE1030ELNS1_3gpuE2ELNS1_3repE0EEENS1_30default_config_static_selectorELNS0_4arch9wavefront6targetE1EEEvT1_,@function
_ZN7rocprim17ROCPRIM_400000_NS6detail17trampoline_kernelINS0_14default_configENS1_20scan_config_selectorIyEEZZNS1_9scan_implILNS1_25lookback_scan_determinismE0ELb1ELb1ES3_N6thrust23THRUST_200600_302600_NS6detail15normal_iteratorINS9_10device_ptrIyEEEENS9_16discard_iteratorINS9_11use_defaultEEEy11max_functorIyEyEEDaPvRmT3_T4_T5_mT6_P12ihipStream_tbENKUlT_T0_E_clISt17integral_constantIbLb0EESX_EEDaSS_ST_EUlSS_E_NS1_11comp_targetILNS1_3genE8ELNS1_11target_archE1030ELNS1_3gpuE2ELNS1_3repE0EEENS1_30default_config_static_selectorELNS0_4arch9wavefront6targetE1EEEvT1_: ; @_ZN7rocprim17ROCPRIM_400000_NS6detail17trampoline_kernelINS0_14default_configENS1_20scan_config_selectorIyEEZZNS1_9scan_implILNS1_25lookback_scan_determinismE0ELb1ELb1ES3_N6thrust23THRUST_200600_302600_NS6detail15normal_iteratorINS9_10device_ptrIyEEEENS9_16discard_iteratorINS9_11use_defaultEEEy11max_functorIyEyEEDaPvRmT3_T4_T5_mT6_P12ihipStream_tbENKUlT_T0_E_clISt17integral_constantIbLb0EESX_EEDaSS_ST_EUlSS_E_NS1_11comp_targetILNS1_3genE8ELNS1_11target_archE1030ELNS1_3gpuE2ELNS1_3repE0EEENS1_30default_config_static_selectorELNS0_4arch9wavefront6targetE1EEEvT1_
; %bb.0:
	.section	.rodata,"a",@progbits
	.p2align	6, 0x0
	.amdhsa_kernel _ZN7rocprim17ROCPRIM_400000_NS6detail17trampoline_kernelINS0_14default_configENS1_20scan_config_selectorIyEEZZNS1_9scan_implILNS1_25lookback_scan_determinismE0ELb1ELb1ES3_N6thrust23THRUST_200600_302600_NS6detail15normal_iteratorINS9_10device_ptrIyEEEENS9_16discard_iteratorINS9_11use_defaultEEEy11max_functorIyEyEEDaPvRmT3_T4_T5_mT6_P12ihipStream_tbENKUlT_T0_E_clISt17integral_constantIbLb0EESX_EEDaSS_ST_EUlSS_E_NS1_11comp_targetILNS1_3genE8ELNS1_11target_archE1030ELNS1_3gpuE2ELNS1_3repE0EEENS1_30default_config_static_selectorELNS0_4arch9wavefront6targetE1EEEvT1_
		.amdhsa_group_segment_fixed_size 0
		.amdhsa_private_segment_fixed_size 0
		.amdhsa_kernarg_size 112
		.amdhsa_user_sgpr_count 6
		.amdhsa_user_sgpr_private_segment_buffer 1
		.amdhsa_user_sgpr_dispatch_ptr 0
		.amdhsa_user_sgpr_queue_ptr 0
		.amdhsa_user_sgpr_kernarg_segment_ptr 1
		.amdhsa_user_sgpr_dispatch_id 0
		.amdhsa_user_sgpr_flat_scratch_init 0
		.amdhsa_user_sgpr_kernarg_preload_length 0
		.amdhsa_user_sgpr_kernarg_preload_offset 0
		.amdhsa_user_sgpr_private_segment_size 0
		.amdhsa_uses_dynamic_stack 0
		.amdhsa_system_sgpr_private_segment_wavefront_offset 0
		.amdhsa_system_sgpr_workgroup_id_x 1
		.amdhsa_system_sgpr_workgroup_id_y 0
		.amdhsa_system_sgpr_workgroup_id_z 0
		.amdhsa_system_sgpr_workgroup_info 0
		.amdhsa_system_vgpr_workitem_id 0
		.amdhsa_next_free_vgpr 1
		.amdhsa_next_free_sgpr 0
		.amdhsa_accum_offset 4
		.amdhsa_reserve_vcc 0
		.amdhsa_reserve_flat_scratch 0
		.amdhsa_float_round_mode_32 0
		.amdhsa_float_round_mode_16_64 0
		.amdhsa_float_denorm_mode_32 3
		.amdhsa_float_denorm_mode_16_64 3
		.amdhsa_dx10_clamp 1
		.amdhsa_ieee_mode 1
		.amdhsa_fp16_overflow 0
		.amdhsa_tg_split 0
		.amdhsa_exception_fp_ieee_invalid_op 0
		.amdhsa_exception_fp_denorm_src 0
		.amdhsa_exception_fp_ieee_div_zero 0
		.amdhsa_exception_fp_ieee_overflow 0
		.amdhsa_exception_fp_ieee_underflow 0
		.amdhsa_exception_fp_ieee_inexact 0
		.amdhsa_exception_int_div_zero 0
	.end_amdhsa_kernel
	.section	.text._ZN7rocprim17ROCPRIM_400000_NS6detail17trampoline_kernelINS0_14default_configENS1_20scan_config_selectorIyEEZZNS1_9scan_implILNS1_25lookback_scan_determinismE0ELb1ELb1ES3_N6thrust23THRUST_200600_302600_NS6detail15normal_iteratorINS9_10device_ptrIyEEEENS9_16discard_iteratorINS9_11use_defaultEEEy11max_functorIyEyEEDaPvRmT3_T4_T5_mT6_P12ihipStream_tbENKUlT_T0_E_clISt17integral_constantIbLb0EESX_EEDaSS_ST_EUlSS_E_NS1_11comp_targetILNS1_3genE8ELNS1_11target_archE1030ELNS1_3gpuE2ELNS1_3repE0EEENS1_30default_config_static_selectorELNS0_4arch9wavefront6targetE1EEEvT1_,"axG",@progbits,_ZN7rocprim17ROCPRIM_400000_NS6detail17trampoline_kernelINS0_14default_configENS1_20scan_config_selectorIyEEZZNS1_9scan_implILNS1_25lookback_scan_determinismE0ELb1ELb1ES3_N6thrust23THRUST_200600_302600_NS6detail15normal_iteratorINS9_10device_ptrIyEEEENS9_16discard_iteratorINS9_11use_defaultEEEy11max_functorIyEyEEDaPvRmT3_T4_T5_mT6_P12ihipStream_tbENKUlT_T0_E_clISt17integral_constantIbLb0EESX_EEDaSS_ST_EUlSS_E_NS1_11comp_targetILNS1_3genE8ELNS1_11target_archE1030ELNS1_3gpuE2ELNS1_3repE0EEENS1_30default_config_static_selectorELNS0_4arch9wavefront6targetE1EEEvT1_,comdat
.Lfunc_end3358:
	.size	_ZN7rocprim17ROCPRIM_400000_NS6detail17trampoline_kernelINS0_14default_configENS1_20scan_config_selectorIyEEZZNS1_9scan_implILNS1_25lookback_scan_determinismE0ELb1ELb1ES3_N6thrust23THRUST_200600_302600_NS6detail15normal_iteratorINS9_10device_ptrIyEEEENS9_16discard_iteratorINS9_11use_defaultEEEy11max_functorIyEyEEDaPvRmT3_T4_T5_mT6_P12ihipStream_tbENKUlT_T0_E_clISt17integral_constantIbLb0EESX_EEDaSS_ST_EUlSS_E_NS1_11comp_targetILNS1_3genE8ELNS1_11target_archE1030ELNS1_3gpuE2ELNS1_3repE0EEENS1_30default_config_static_selectorELNS0_4arch9wavefront6targetE1EEEvT1_, .Lfunc_end3358-_ZN7rocprim17ROCPRIM_400000_NS6detail17trampoline_kernelINS0_14default_configENS1_20scan_config_selectorIyEEZZNS1_9scan_implILNS1_25lookback_scan_determinismE0ELb1ELb1ES3_N6thrust23THRUST_200600_302600_NS6detail15normal_iteratorINS9_10device_ptrIyEEEENS9_16discard_iteratorINS9_11use_defaultEEEy11max_functorIyEyEEDaPvRmT3_T4_T5_mT6_P12ihipStream_tbENKUlT_T0_E_clISt17integral_constantIbLb0EESX_EEDaSS_ST_EUlSS_E_NS1_11comp_targetILNS1_3genE8ELNS1_11target_archE1030ELNS1_3gpuE2ELNS1_3repE0EEENS1_30default_config_static_selectorELNS0_4arch9wavefront6targetE1EEEvT1_
                                        ; -- End function
	.section	.AMDGPU.csdata,"",@progbits
; Kernel info:
; codeLenInByte = 0
; NumSgprs: 4
; NumVgprs: 0
; NumAgprs: 0
; TotalNumVgprs: 0
; ScratchSize: 0
; MemoryBound: 0
; FloatMode: 240
; IeeeMode: 1
; LDSByteSize: 0 bytes/workgroup (compile time only)
; SGPRBlocks: 0
; VGPRBlocks: 0
; NumSGPRsForWavesPerEU: 4
; NumVGPRsForWavesPerEU: 1
; AccumOffset: 4
; Occupancy: 8
; WaveLimiterHint : 0
; COMPUTE_PGM_RSRC2:SCRATCH_EN: 0
; COMPUTE_PGM_RSRC2:USER_SGPR: 6
; COMPUTE_PGM_RSRC2:TRAP_HANDLER: 0
; COMPUTE_PGM_RSRC2:TGID_X_EN: 1
; COMPUTE_PGM_RSRC2:TGID_Y_EN: 0
; COMPUTE_PGM_RSRC2:TGID_Z_EN: 0
; COMPUTE_PGM_RSRC2:TIDIG_COMP_CNT: 0
; COMPUTE_PGM_RSRC3_GFX90A:ACCUM_OFFSET: 0
; COMPUTE_PGM_RSRC3_GFX90A:TG_SPLIT: 0
	.section	.text._ZN7rocprim17ROCPRIM_400000_NS6detail17trampoline_kernelINS0_14default_configENS1_20scan_config_selectorIyEEZZNS1_9scan_implILNS1_25lookback_scan_determinismE0ELb1ELb1ES3_N6thrust23THRUST_200600_302600_NS6detail15normal_iteratorINS9_10device_ptrIyEEEENS9_16discard_iteratorINS9_11use_defaultEEEy11max_functorIyEyEEDaPvRmT3_T4_T5_mT6_P12ihipStream_tbENKUlT_T0_E_clISt17integral_constantIbLb0EESX_EEDaSS_ST_EUlSS_E0_NS1_11comp_targetILNS1_3genE0ELNS1_11target_archE4294967295ELNS1_3gpuE0ELNS1_3repE0EEENS1_30default_config_static_selectorELNS0_4arch9wavefront6targetE1EEEvT1_,"axG",@progbits,_ZN7rocprim17ROCPRIM_400000_NS6detail17trampoline_kernelINS0_14default_configENS1_20scan_config_selectorIyEEZZNS1_9scan_implILNS1_25lookback_scan_determinismE0ELb1ELb1ES3_N6thrust23THRUST_200600_302600_NS6detail15normal_iteratorINS9_10device_ptrIyEEEENS9_16discard_iteratorINS9_11use_defaultEEEy11max_functorIyEyEEDaPvRmT3_T4_T5_mT6_P12ihipStream_tbENKUlT_T0_E_clISt17integral_constantIbLb0EESX_EEDaSS_ST_EUlSS_E0_NS1_11comp_targetILNS1_3genE0ELNS1_11target_archE4294967295ELNS1_3gpuE0ELNS1_3repE0EEENS1_30default_config_static_selectorELNS0_4arch9wavefront6targetE1EEEvT1_,comdat
	.protected	_ZN7rocprim17ROCPRIM_400000_NS6detail17trampoline_kernelINS0_14default_configENS1_20scan_config_selectorIyEEZZNS1_9scan_implILNS1_25lookback_scan_determinismE0ELb1ELb1ES3_N6thrust23THRUST_200600_302600_NS6detail15normal_iteratorINS9_10device_ptrIyEEEENS9_16discard_iteratorINS9_11use_defaultEEEy11max_functorIyEyEEDaPvRmT3_T4_T5_mT6_P12ihipStream_tbENKUlT_T0_E_clISt17integral_constantIbLb0EESX_EEDaSS_ST_EUlSS_E0_NS1_11comp_targetILNS1_3genE0ELNS1_11target_archE4294967295ELNS1_3gpuE0ELNS1_3repE0EEENS1_30default_config_static_selectorELNS0_4arch9wavefront6targetE1EEEvT1_ ; -- Begin function _ZN7rocprim17ROCPRIM_400000_NS6detail17trampoline_kernelINS0_14default_configENS1_20scan_config_selectorIyEEZZNS1_9scan_implILNS1_25lookback_scan_determinismE0ELb1ELb1ES3_N6thrust23THRUST_200600_302600_NS6detail15normal_iteratorINS9_10device_ptrIyEEEENS9_16discard_iteratorINS9_11use_defaultEEEy11max_functorIyEyEEDaPvRmT3_T4_T5_mT6_P12ihipStream_tbENKUlT_T0_E_clISt17integral_constantIbLb0EESX_EEDaSS_ST_EUlSS_E0_NS1_11comp_targetILNS1_3genE0ELNS1_11target_archE4294967295ELNS1_3gpuE0ELNS1_3repE0EEENS1_30default_config_static_selectorELNS0_4arch9wavefront6targetE1EEEvT1_
	.globl	_ZN7rocprim17ROCPRIM_400000_NS6detail17trampoline_kernelINS0_14default_configENS1_20scan_config_selectorIyEEZZNS1_9scan_implILNS1_25lookback_scan_determinismE0ELb1ELb1ES3_N6thrust23THRUST_200600_302600_NS6detail15normal_iteratorINS9_10device_ptrIyEEEENS9_16discard_iteratorINS9_11use_defaultEEEy11max_functorIyEyEEDaPvRmT3_T4_T5_mT6_P12ihipStream_tbENKUlT_T0_E_clISt17integral_constantIbLb0EESX_EEDaSS_ST_EUlSS_E0_NS1_11comp_targetILNS1_3genE0ELNS1_11target_archE4294967295ELNS1_3gpuE0ELNS1_3repE0EEENS1_30default_config_static_selectorELNS0_4arch9wavefront6targetE1EEEvT1_
	.p2align	8
	.type	_ZN7rocprim17ROCPRIM_400000_NS6detail17trampoline_kernelINS0_14default_configENS1_20scan_config_selectorIyEEZZNS1_9scan_implILNS1_25lookback_scan_determinismE0ELb1ELb1ES3_N6thrust23THRUST_200600_302600_NS6detail15normal_iteratorINS9_10device_ptrIyEEEENS9_16discard_iteratorINS9_11use_defaultEEEy11max_functorIyEyEEDaPvRmT3_T4_T5_mT6_P12ihipStream_tbENKUlT_T0_E_clISt17integral_constantIbLb0EESX_EEDaSS_ST_EUlSS_E0_NS1_11comp_targetILNS1_3genE0ELNS1_11target_archE4294967295ELNS1_3gpuE0ELNS1_3repE0EEENS1_30default_config_static_selectorELNS0_4arch9wavefront6targetE1EEEvT1_,@function
_ZN7rocprim17ROCPRIM_400000_NS6detail17trampoline_kernelINS0_14default_configENS1_20scan_config_selectorIyEEZZNS1_9scan_implILNS1_25lookback_scan_determinismE0ELb1ELb1ES3_N6thrust23THRUST_200600_302600_NS6detail15normal_iteratorINS9_10device_ptrIyEEEENS9_16discard_iteratorINS9_11use_defaultEEEy11max_functorIyEyEEDaPvRmT3_T4_T5_mT6_P12ihipStream_tbENKUlT_T0_E_clISt17integral_constantIbLb0EESX_EEDaSS_ST_EUlSS_E0_NS1_11comp_targetILNS1_3genE0ELNS1_11target_archE4294967295ELNS1_3gpuE0ELNS1_3repE0EEENS1_30default_config_static_selectorELNS0_4arch9wavefront6targetE1EEEvT1_: ; @_ZN7rocprim17ROCPRIM_400000_NS6detail17trampoline_kernelINS0_14default_configENS1_20scan_config_selectorIyEEZZNS1_9scan_implILNS1_25lookback_scan_determinismE0ELb1ELb1ES3_N6thrust23THRUST_200600_302600_NS6detail15normal_iteratorINS9_10device_ptrIyEEEENS9_16discard_iteratorINS9_11use_defaultEEEy11max_functorIyEyEEDaPvRmT3_T4_T5_mT6_P12ihipStream_tbENKUlT_T0_E_clISt17integral_constantIbLb0EESX_EEDaSS_ST_EUlSS_E0_NS1_11comp_targetILNS1_3genE0ELNS1_11target_archE4294967295ELNS1_3gpuE0ELNS1_3repE0EEENS1_30default_config_static_selectorELNS0_4arch9wavefront6targetE1EEEvT1_
; %bb.0:
	.section	.rodata,"a",@progbits
	.p2align	6, 0x0
	.amdhsa_kernel _ZN7rocprim17ROCPRIM_400000_NS6detail17trampoline_kernelINS0_14default_configENS1_20scan_config_selectorIyEEZZNS1_9scan_implILNS1_25lookback_scan_determinismE0ELb1ELb1ES3_N6thrust23THRUST_200600_302600_NS6detail15normal_iteratorINS9_10device_ptrIyEEEENS9_16discard_iteratorINS9_11use_defaultEEEy11max_functorIyEyEEDaPvRmT3_T4_T5_mT6_P12ihipStream_tbENKUlT_T0_E_clISt17integral_constantIbLb0EESX_EEDaSS_ST_EUlSS_E0_NS1_11comp_targetILNS1_3genE0ELNS1_11target_archE4294967295ELNS1_3gpuE0ELNS1_3repE0EEENS1_30default_config_static_selectorELNS0_4arch9wavefront6targetE1EEEvT1_
		.amdhsa_group_segment_fixed_size 0
		.amdhsa_private_segment_fixed_size 0
		.amdhsa_kernarg_size 48
		.amdhsa_user_sgpr_count 6
		.amdhsa_user_sgpr_private_segment_buffer 1
		.amdhsa_user_sgpr_dispatch_ptr 0
		.amdhsa_user_sgpr_queue_ptr 0
		.amdhsa_user_sgpr_kernarg_segment_ptr 1
		.amdhsa_user_sgpr_dispatch_id 0
		.amdhsa_user_sgpr_flat_scratch_init 0
		.amdhsa_user_sgpr_kernarg_preload_length 0
		.amdhsa_user_sgpr_kernarg_preload_offset 0
		.amdhsa_user_sgpr_private_segment_size 0
		.amdhsa_uses_dynamic_stack 0
		.amdhsa_system_sgpr_private_segment_wavefront_offset 0
		.amdhsa_system_sgpr_workgroup_id_x 1
		.amdhsa_system_sgpr_workgroup_id_y 0
		.amdhsa_system_sgpr_workgroup_id_z 0
		.amdhsa_system_sgpr_workgroup_info 0
		.amdhsa_system_vgpr_workitem_id 0
		.amdhsa_next_free_vgpr 1
		.amdhsa_next_free_sgpr 0
		.amdhsa_accum_offset 4
		.amdhsa_reserve_vcc 0
		.amdhsa_reserve_flat_scratch 0
		.amdhsa_float_round_mode_32 0
		.amdhsa_float_round_mode_16_64 0
		.amdhsa_float_denorm_mode_32 3
		.amdhsa_float_denorm_mode_16_64 3
		.amdhsa_dx10_clamp 1
		.amdhsa_ieee_mode 1
		.amdhsa_fp16_overflow 0
		.amdhsa_tg_split 0
		.amdhsa_exception_fp_ieee_invalid_op 0
		.amdhsa_exception_fp_denorm_src 0
		.amdhsa_exception_fp_ieee_div_zero 0
		.amdhsa_exception_fp_ieee_overflow 0
		.amdhsa_exception_fp_ieee_underflow 0
		.amdhsa_exception_fp_ieee_inexact 0
		.amdhsa_exception_int_div_zero 0
	.end_amdhsa_kernel
	.section	.text._ZN7rocprim17ROCPRIM_400000_NS6detail17trampoline_kernelINS0_14default_configENS1_20scan_config_selectorIyEEZZNS1_9scan_implILNS1_25lookback_scan_determinismE0ELb1ELb1ES3_N6thrust23THRUST_200600_302600_NS6detail15normal_iteratorINS9_10device_ptrIyEEEENS9_16discard_iteratorINS9_11use_defaultEEEy11max_functorIyEyEEDaPvRmT3_T4_T5_mT6_P12ihipStream_tbENKUlT_T0_E_clISt17integral_constantIbLb0EESX_EEDaSS_ST_EUlSS_E0_NS1_11comp_targetILNS1_3genE0ELNS1_11target_archE4294967295ELNS1_3gpuE0ELNS1_3repE0EEENS1_30default_config_static_selectorELNS0_4arch9wavefront6targetE1EEEvT1_,"axG",@progbits,_ZN7rocprim17ROCPRIM_400000_NS6detail17trampoline_kernelINS0_14default_configENS1_20scan_config_selectorIyEEZZNS1_9scan_implILNS1_25lookback_scan_determinismE0ELb1ELb1ES3_N6thrust23THRUST_200600_302600_NS6detail15normal_iteratorINS9_10device_ptrIyEEEENS9_16discard_iteratorINS9_11use_defaultEEEy11max_functorIyEyEEDaPvRmT3_T4_T5_mT6_P12ihipStream_tbENKUlT_T0_E_clISt17integral_constantIbLb0EESX_EEDaSS_ST_EUlSS_E0_NS1_11comp_targetILNS1_3genE0ELNS1_11target_archE4294967295ELNS1_3gpuE0ELNS1_3repE0EEENS1_30default_config_static_selectorELNS0_4arch9wavefront6targetE1EEEvT1_,comdat
.Lfunc_end3359:
	.size	_ZN7rocprim17ROCPRIM_400000_NS6detail17trampoline_kernelINS0_14default_configENS1_20scan_config_selectorIyEEZZNS1_9scan_implILNS1_25lookback_scan_determinismE0ELb1ELb1ES3_N6thrust23THRUST_200600_302600_NS6detail15normal_iteratorINS9_10device_ptrIyEEEENS9_16discard_iteratorINS9_11use_defaultEEEy11max_functorIyEyEEDaPvRmT3_T4_T5_mT6_P12ihipStream_tbENKUlT_T0_E_clISt17integral_constantIbLb0EESX_EEDaSS_ST_EUlSS_E0_NS1_11comp_targetILNS1_3genE0ELNS1_11target_archE4294967295ELNS1_3gpuE0ELNS1_3repE0EEENS1_30default_config_static_selectorELNS0_4arch9wavefront6targetE1EEEvT1_, .Lfunc_end3359-_ZN7rocprim17ROCPRIM_400000_NS6detail17trampoline_kernelINS0_14default_configENS1_20scan_config_selectorIyEEZZNS1_9scan_implILNS1_25lookback_scan_determinismE0ELb1ELb1ES3_N6thrust23THRUST_200600_302600_NS6detail15normal_iteratorINS9_10device_ptrIyEEEENS9_16discard_iteratorINS9_11use_defaultEEEy11max_functorIyEyEEDaPvRmT3_T4_T5_mT6_P12ihipStream_tbENKUlT_T0_E_clISt17integral_constantIbLb0EESX_EEDaSS_ST_EUlSS_E0_NS1_11comp_targetILNS1_3genE0ELNS1_11target_archE4294967295ELNS1_3gpuE0ELNS1_3repE0EEENS1_30default_config_static_selectorELNS0_4arch9wavefront6targetE1EEEvT1_
                                        ; -- End function
	.section	.AMDGPU.csdata,"",@progbits
; Kernel info:
; codeLenInByte = 0
; NumSgprs: 4
; NumVgprs: 0
; NumAgprs: 0
; TotalNumVgprs: 0
; ScratchSize: 0
; MemoryBound: 0
; FloatMode: 240
; IeeeMode: 1
; LDSByteSize: 0 bytes/workgroup (compile time only)
; SGPRBlocks: 0
; VGPRBlocks: 0
; NumSGPRsForWavesPerEU: 4
; NumVGPRsForWavesPerEU: 1
; AccumOffset: 4
; Occupancy: 8
; WaveLimiterHint : 0
; COMPUTE_PGM_RSRC2:SCRATCH_EN: 0
; COMPUTE_PGM_RSRC2:USER_SGPR: 6
; COMPUTE_PGM_RSRC2:TRAP_HANDLER: 0
; COMPUTE_PGM_RSRC2:TGID_X_EN: 1
; COMPUTE_PGM_RSRC2:TGID_Y_EN: 0
; COMPUTE_PGM_RSRC2:TGID_Z_EN: 0
; COMPUTE_PGM_RSRC2:TIDIG_COMP_CNT: 0
; COMPUTE_PGM_RSRC3_GFX90A:ACCUM_OFFSET: 0
; COMPUTE_PGM_RSRC3_GFX90A:TG_SPLIT: 0
	.section	.text._ZN7rocprim17ROCPRIM_400000_NS6detail17trampoline_kernelINS0_14default_configENS1_20scan_config_selectorIyEEZZNS1_9scan_implILNS1_25lookback_scan_determinismE0ELb1ELb1ES3_N6thrust23THRUST_200600_302600_NS6detail15normal_iteratorINS9_10device_ptrIyEEEENS9_16discard_iteratorINS9_11use_defaultEEEy11max_functorIyEyEEDaPvRmT3_T4_T5_mT6_P12ihipStream_tbENKUlT_T0_E_clISt17integral_constantIbLb0EESX_EEDaSS_ST_EUlSS_E0_NS1_11comp_targetILNS1_3genE5ELNS1_11target_archE942ELNS1_3gpuE9ELNS1_3repE0EEENS1_30default_config_static_selectorELNS0_4arch9wavefront6targetE1EEEvT1_,"axG",@progbits,_ZN7rocprim17ROCPRIM_400000_NS6detail17trampoline_kernelINS0_14default_configENS1_20scan_config_selectorIyEEZZNS1_9scan_implILNS1_25lookback_scan_determinismE0ELb1ELb1ES3_N6thrust23THRUST_200600_302600_NS6detail15normal_iteratorINS9_10device_ptrIyEEEENS9_16discard_iteratorINS9_11use_defaultEEEy11max_functorIyEyEEDaPvRmT3_T4_T5_mT6_P12ihipStream_tbENKUlT_T0_E_clISt17integral_constantIbLb0EESX_EEDaSS_ST_EUlSS_E0_NS1_11comp_targetILNS1_3genE5ELNS1_11target_archE942ELNS1_3gpuE9ELNS1_3repE0EEENS1_30default_config_static_selectorELNS0_4arch9wavefront6targetE1EEEvT1_,comdat
	.protected	_ZN7rocprim17ROCPRIM_400000_NS6detail17trampoline_kernelINS0_14default_configENS1_20scan_config_selectorIyEEZZNS1_9scan_implILNS1_25lookback_scan_determinismE0ELb1ELb1ES3_N6thrust23THRUST_200600_302600_NS6detail15normal_iteratorINS9_10device_ptrIyEEEENS9_16discard_iteratorINS9_11use_defaultEEEy11max_functorIyEyEEDaPvRmT3_T4_T5_mT6_P12ihipStream_tbENKUlT_T0_E_clISt17integral_constantIbLb0EESX_EEDaSS_ST_EUlSS_E0_NS1_11comp_targetILNS1_3genE5ELNS1_11target_archE942ELNS1_3gpuE9ELNS1_3repE0EEENS1_30default_config_static_selectorELNS0_4arch9wavefront6targetE1EEEvT1_ ; -- Begin function _ZN7rocprim17ROCPRIM_400000_NS6detail17trampoline_kernelINS0_14default_configENS1_20scan_config_selectorIyEEZZNS1_9scan_implILNS1_25lookback_scan_determinismE0ELb1ELb1ES3_N6thrust23THRUST_200600_302600_NS6detail15normal_iteratorINS9_10device_ptrIyEEEENS9_16discard_iteratorINS9_11use_defaultEEEy11max_functorIyEyEEDaPvRmT3_T4_T5_mT6_P12ihipStream_tbENKUlT_T0_E_clISt17integral_constantIbLb0EESX_EEDaSS_ST_EUlSS_E0_NS1_11comp_targetILNS1_3genE5ELNS1_11target_archE942ELNS1_3gpuE9ELNS1_3repE0EEENS1_30default_config_static_selectorELNS0_4arch9wavefront6targetE1EEEvT1_
	.globl	_ZN7rocprim17ROCPRIM_400000_NS6detail17trampoline_kernelINS0_14default_configENS1_20scan_config_selectorIyEEZZNS1_9scan_implILNS1_25lookback_scan_determinismE0ELb1ELb1ES3_N6thrust23THRUST_200600_302600_NS6detail15normal_iteratorINS9_10device_ptrIyEEEENS9_16discard_iteratorINS9_11use_defaultEEEy11max_functorIyEyEEDaPvRmT3_T4_T5_mT6_P12ihipStream_tbENKUlT_T0_E_clISt17integral_constantIbLb0EESX_EEDaSS_ST_EUlSS_E0_NS1_11comp_targetILNS1_3genE5ELNS1_11target_archE942ELNS1_3gpuE9ELNS1_3repE0EEENS1_30default_config_static_selectorELNS0_4arch9wavefront6targetE1EEEvT1_
	.p2align	8
	.type	_ZN7rocprim17ROCPRIM_400000_NS6detail17trampoline_kernelINS0_14default_configENS1_20scan_config_selectorIyEEZZNS1_9scan_implILNS1_25lookback_scan_determinismE0ELb1ELb1ES3_N6thrust23THRUST_200600_302600_NS6detail15normal_iteratorINS9_10device_ptrIyEEEENS9_16discard_iteratorINS9_11use_defaultEEEy11max_functorIyEyEEDaPvRmT3_T4_T5_mT6_P12ihipStream_tbENKUlT_T0_E_clISt17integral_constantIbLb0EESX_EEDaSS_ST_EUlSS_E0_NS1_11comp_targetILNS1_3genE5ELNS1_11target_archE942ELNS1_3gpuE9ELNS1_3repE0EEENS1_30default_config_static_selectorELNS0_4arch9wavefront6targetE1EEEvT1_,@function
_ZN7rocprim17ROCPRIM_400000_NS6detail17trampoline_kernelINS0_14default_configENS1_20scan_config_selectorIyEEZZNS1_9scan_implILNS1_25lookback_scan_determinismE0ELb1ELb1ES3_N6thrust23THRUST_200600_302600_NS6detail15normal_iteratorINS9_10device_ptrIyEEEENS9_16discard_iteratorINS9_11use_defaultEEEy11max_functorIyEyEEDaPvRmT3_T4_T5_mT6_P12ihipStream_tbENKUlT_T0_E_clISt17integral_constantIbLb0EESX_EEDaSS_ST_EUlSS_E0_NS1_11comp_targetILNS1_3genE5ELNS1_11target_archE942ELNS1_3gpuE9ELNS1_3repE0EEENS1_30default_config_static_selectorELNS0_4arch9wavefront6targetE1EEEvT1_: ; @_ZN7rocprim17ROCPRIM_400000_NS6detail17trampoline_kernelINS0_14default_configENS1_20scan_config_selectorIyEEZZNS1_9scan_implILNS1_25lookback_scan_determinismE0ELb1ELb1ES3_N6thrust23THRUST_200600_302600_NS6detail15normal_iteratorINS9_10device_ptrIyEEEENS9_16discard_iteratorINS9_11use_defaultEEEy11max_functorIyEyEEDaPvRmT3_T4_T5_mT6_P12ihipStream_tbENKUlT_T0_E_clISt17integral_constantIbLb0EESX_EEDaSS_ST_EUlSS_E0_NS1_11comp_targetILNS1_3genE5ELNS1_11target_archE942ELNS1_3gpuE9ELNS1_3repE0EEENS1_30default_config_static_selectorELNS0_4arch9wavefront6targetE1EEEvT1_
; %bb.0:
	.section	.rodata,"a",@progbits
	.p2align	6, 0x0
	.amdhsa_kernel _ZN7rocprim17ROCPRIM_400000_NS6detail17trampoline_kernelINS0_14default_configENS1_20scan_config_selectorIyEEZZNS1_9scan_implILNS1_25lookback_scan_determinismE0ELb1ELb1ES3_N6thrust23THRUST_200600_302600_NS6detail15normal_iteratorINS9_10device_ptrIyEEEENS9_16discard_iteratorINS9_11use_defaultEEEy11max_functorIyEyEEDaPvRmT3_T4_T5_mT6_P12ihipStream_tbENKUlT_T0_E_clISt17integral_constantIbLb0EESX_EEDaSS_ST_EUlSS_E0_NS1_11comp_targetILNS1_3genE5ELNS1_11target_archE942ELNS1_3gpuE9ELNS1_3repE0EEENS1_30default_config_static_selectorELNS0_4arch9wavefront6targetE1EEEvT1_
		.amdhsa_group_segment_fixed_size 0
		.amdhsa_private_segment_fixed_size 0
		.amdhsa_kernarg_size 48
		.amdhsa_user_sgpr_count 6
		.amdhsa_user_sgpr_private_segment_buffer 1
		.amdhsa_user_sgpr_dispatch_ptr 0
		.amdhsa_user_sgpr_queue_ptr 0
		.amdhsa_user_sgpr_kernarg_segment_ptr 1
		.amdhsa_user_sgpr_dispatch_id 0
		.amdhsa_user_sgpr_flat_scratch_init 0
		.amdhsa_user_sgpr_kernarg_preload_length 0
		.amdhsa_user_sgpr_kernarg_preload_offset 0
		.amdhsa_user_sgpr_private_segment_size 0
		.amdhsa_uses_dynamic_stack 0
		.amdhsa_system_sgpr_private_segment_wavefront_offset 0
		.amdhsa_system_sgpr_workgroup_id_x 1
		.amdhsa_system_sgpr_workgroup_id_y 0
		.amdhsa_system_sgpr_workgroup_id_z 0
		.amdhsa_system_sgpr_workgroup_info 0
		.amdhsa_system_vgpr_workitem_id 0
		.amdhsa_next_free_vgpr 1
		.amdhsa_next_free_sgpr 0
		.amdhsa_accum_offset 4
		.amdhsa_reserve_vcc 0
		.amdhsa_reserve_flat_scratch 0
		.amdhsa_float_round_mode_32 0
		.amdhsa_float_round_mode_16_64 0
		.amdhsa_float_denorm_mode_32 3
		.amdhsa_float_denorm_mode_16_64 3
		.amdhsa_dx10_clamp 1
		.amdhsa_ieee_mode 1
		.amdhsa_fp16_overflow 0
		.amdhsa_tg_split 0
		.amdhsa_exception_fp_ieee_invalid_op 0
		.amdhsa_exception_fp_denorm_src 0
		.amdhsa_exception_fp_ieee_div_zero 0
		.amdhsa_exception_fp_ieee_overflow 0
		.amdhsa_exception_fp_ieee_underflow 0
		.amdhsa_exception_fp_ieee_inexact 0
		.amdhsa_exception_int_div_zero 0
	.end_amdhsa_kernel
	.section	.text._ZN7rocprim17ROCPRIM_400000_NS6detail17trampoline_kernelINS0_14default_configENS1_20scan_config_selectorIyEEZZNS1_9scan_implILNS1_25lookback_scan_determinismE0ELb1ELb1ES3_N6thrust23THRUST_200600_302600_NS6detail15normal_iteratorINS9_10device_ptrIyEEEENS9_16discard_iteratorINS9_11use_defaultEEEy11max_functorIyEyEEDaPvRmT3_T4_T5_mT6_P12ihipStream_tbENKUlT_T0_E_clISt17integral_constantIbLb0EESX_EEDaSS_ST_EUlSS_E0_NS1_11comp_targetILNS1_3genE5ELNS1_11target_archE942ELNS1_3gpuE9ELNS1_3repE0EEENS1_30default_config_static_selectorELNS0_4arch9wavefront6targetE1EEEvT1_,"axG",@progbits,_ZN7rocprim17ROCPRIM_400000_NS6detail17trampoline_kernelINS0_14default_configENS1_20scan_config_selectorIyEEZZNS1_9scan_implILNS1_25lookback_scan_determinismE0ELb1ELb1ES3_N6thrust23THRUST_200600_302600_NS6detail15normal_iteratorINS9_10device_ptrIyEEEENS9_16discard_iteratorINS9_11use_defaultEEEy11max_functorIyEyEEDaPvRmT3_T4_T5_mT6_P12ihipStream_tbENKUlT_T0_E_clISt17integral_constantIbLb0EESX_EEDaSS_ST_EUlSS_E0_NS1_11comp_targetILNS1_3genE5ELNS1_11target_archE942ELNS1_3gpuE9ELNS1_3repE0EEENS1_30default_config_static_selectorELNS0_4arch9wavefront6targetE1EEEvT1_,comdat
.Lfunc_end3360:
	.size	_ZN7rocprim17ROCPRIM_400000_NS6detail17trampoline_kernelINS0_14default_configENS1_20scan_config_selectorIyEEZZNS1_9scan_implILNS1_25lookback_scan_determinismE0ELb1ELb1ES3_N6thrust23THRUST_200600_302600_NS6detail15normal_iteratorINS9_10device_ptrIyEEEENS9_16discard_iteratorINS9_11use_defaultEEEy11max_functorIyEyEEDaPvRmT3_T4_T5_mT6_P12ihipStream_tbENKUlT_T0_E_clISt17integral_constantIbLb0EESX_EEDaSS_ST_EUlSS_E0_NS1_11comp_targetILNS1_3genE5ELNS1_11target_archE942ELNS1_3gpuE9ELNS1_3repE0EEENS1_30default_config_static_selectorELNS0_4arch9wavefront6targetE1EEEvT1_, .Lfunc_end3360-_ZN7rocprim17ROCPRIM_400000_NS6detail17trampoline_kernelINS0_14default_configENS1_20scan_config_selectorIyEEZZNS1_9scan_implILNS1_25lookback_scan_determinismE0ELb1ELb1ES3_N6thrust23THRUST_200600_302600_NS6detail15normal_iteratorINS9_10device_ptrIyEEEENS9_16discard_iteratorINS9_11use_defaultEEEy11max_functorIyEyEEDaPvRmT3_T4_T5_mT6_P12ihipStream_tbENKUlT_T0_E_clISt17integral_constantIbLb0EESX_EEDaSS_ST_EUlSS_E0_NS1_11comp_targetILNS1_3genE5ELNS1_11target_archE942ELNS1_3gpuE9ELNS1_3repE0EEENS1_30default_config_static_selectorELNS0_4arch9wavefront6targetE1EEEvT1_
                                        ; -- End function
	.section	.AMDGPU.csdata,"",@progbits
; Kernel info:
; codeLenInByte = 0
; NumSgprs: 4
; NumVgprs: 0
; NumAgprs: 0
; TotalNumVgprs: 0
; ScratchSize: 0
; MemoryBound: 0
; FloatMode: 240
; IeeeMode: 1
; LDSByteSize: 0 bytes/workgroup (compile time only)
; SGPRBlocks: 0
; VGPRBlocks: 0
; NumSGPRsForWavesPerEU: 4
; NumVGPRsForWavesPerEU: 1
; AccumOffset: 4
; Occupancy: 8
; WaveLimiterHint : 0
; COMPUTE_PGM_RSRC2:SCRATCH_EN: 0
; COMPUTE_PGM_RSRC2:USER_SGPR: 6
; COMPUTE_PGM_RSRC2:TRAP_HANDLER: 0
; COMPUTE_PGM_RSRC2:TGID_X_EN: 1
; COMPUTE_PGM_RSRC2:TGID_Y_EN: 0
; COMPUTE_PGM_RSRC2:TGID_Z_EN: 0
; COMPUTE_PGM_RSRC2:TIDIG_COMP_CNT: 0
; COMPUTE_PGM_RSRC3_GFX90A:ACCUM_OFFSET: 0
; COMPUTE_PGM_RSRC3_GFX90A:TG_SPLIT: 0
	.section	.text._ZN7rocprim17ROCPRIM_400000_NS6detail17trampoline_kernelINS0_14default_configENS1_20scan_config_selectorIyEEZZNS1_9scan_implILNS1_25lookback_scan_determinismE0ELb1ELb1ES3_N6thrust23THRUST_200600_302600_NS6detail15normal_iteratorINS9_10device_ptrIyEEEENS9_16discard_iteratorINS9_11use_defaultEEEy11max_functorIyEyEEDaPvRmT3_T4_T5_mT6_P12ihipStream_tbENKUlT_T0_E_clISt17integral_constantIbLb0EESX_EEDaSS_ST_EUlSS_E0_NS1_11comp_targetILNS1_3genE4ELNS1_11target_archE910ELNS1_3gpuE8ELNS1_3repE0EEENS1_30default_config_static_selectorELNS0_4arch9wavefront6targetE1EEEvT1_,"axG",@progbits,_ZN7rocprim17ROCPRIM_400000_NS6detail17trampoline_kernelINS0_14default_configENS1_20scan_config_selectorIyEEZZNS1_9scan_implILNS1_25lookback_scan_determinismE0ELb1ELb1ES3_N6thrust23THRUST_200600_302600_NS6detail15normal_iteratorINS9_10device_ptrIyEEEENS9_16discard_iteratorINS9_11use_defaultEEEy11max_functorIyEyEEDaPvRmT3_T4_T5_mT6_P12ihipStream_tbENKUlT_T0_E_clISt17integral_constantIbLb0EESX_EEDaSS_ST_EUlSS_E0_NS1_11comp_targetILNS1_3genE4ELNS1_11target_archE910ELNS1_3gpuE8ELNS1_3repE0EEENS1_30default_config_static_selectorELNS0_4arch9wavefront6targetE1EEEvT1_,comdat
	.protected	_ZN7rocprim17ROCPRIM_400000_NS6detail17trampoline_kernelINS0_14default_configENS1_20scan_config_selectorIyEEZZNS1_9scan_implILNS1_25lookback_scan_determinismE0ELb1ELb1ES3_N6thrust23THRUST_200600_302600_NS6detail15normal_iteratorINS9_10device_ptrIyEEEENS9_16discard_iteratorINS9_11use_defaultEEEy11max_functorIyEyEEDaPvRmT3_T4_T5_mT6_P12ihipStream_tbENKUlT_T0_E_clISt17integral_constantIbLb0EESX_EEDaSS_ST_EUlSS_E0_NS1_11comp_targetILNS1_3genE4ELNS1_11target_archE910ELNS1_3gpuE8ELNS1_3repE0EEENS1_30default_config_static_selectorELNS0_4arch9wavefront6targetE1EEEvT1_ ; -- Begin function _ZN7rocprim17ROCPRIM_400000_NS6detail17trampoline_kernelINS0_14default_configENS1_20scan_config_selectorIyEEZZNS1_9scan_implILNS1_25lookback_scan_determinismE0ELb1ELb1ES3_N6thrust23THRUST_200600_302600_NS6detail15normal_iteratorINS9_10device_ptrIyEEEENS9_16discard_iteratorINS9_11use_defaultEEEy11max_functorIyEyEEDaPvRmT3_T4_T5_mT6_P12ihipStream_tbENKUlT_T0_E_clISt17integral_constantIbLb0EESX_EEDaSS_ST_EUlSS_E0_NS1_11comp_targetILNS1_3genE4ELNS1_11target_archE910ELNS1_3gpuE8ELNS1_3repE0EEENS1_30default_config_static_selectorELNS0_4arch9wavefront6targetE1EEEvT1_
	.globl	_ZN7rocprim17ROCPRIM_400000_NS6detail17trampoline_kernelINS0_14default_configENS1_20scan_config_selectorIyEEZZNS1_9scan_implILNS1_25lookback_scan_determinismE0ELb1ELb1ES3_N6thrust23THRUST_200600_302600_NS6detail15normal_iteratorINS9_10device_ptrIyEEEENS9_16discard_iteratorINS9_11use_defaultEEEy11max_functorIyEyEEDaPvRmT3_T4_T5_mT6_P12ihipStream_tbENKUlT_T0_E_clISt17integral_constantIbLb0EESX_EEDaSS_ST_EUlSS_E0_NS1_11comp_targetILNS1_3genE4ELNS1_11target_archE910ELNS1_3gpuE8ELNS1_3repE0EEENS1_30default_config_static_selectorELNS0_4arch9wavefront6targetE1EEEvT1_
	.p2align	8
	.type	_ZN7rocprim17ROCPRIM_400000_NS6detail17trampoline_kernelINS0_14default_configENS1_20scan_config_selectorIyEEZZNS1_9scan_implILNS1_25lookback_scan_determinismE0ELb1ELb1ES3_N6thrust23THRUST_200600_302600_NS6detail15normal_iteratorINS9_10device_ptrIyEEEENS9_16discard_iteratorINS9_11use_defaultEEEy11max_functorIyEyEEDaPvRmT3_T4_T5_mT6_P12ihipStream_tbENKUlT_T0_E_clISt17integral_constantIbLb0EESX_EEDaSS_ST_EUlSS_E0_NS1_11comp_targetILNS1_3genE4ELNS1_11target_archE910ELNS1_3gpuE8ELNS1_3repE0EEENS1_30default_config_static_selectorELNS0_4arch9wavefront6targetE1EEEvT1_,@function
_ZN7rocprim17ROCPRIM_400000_NS6detail17trampoline_kernelINS0_14default_configENS1_20scan_config_selectorIyEEZZNS1_9scan_implILNS1_25lookback_scan_determinismE0ELb1ELb1ES3_N6thrust23THRUST_200600_302600_NS6detail15normal_iteratorINS9_10device_ptrIyEEEENS9_16discard_iteratorINS9_11use_defaultEEEy11max_functorIyEyEEDaPvRmT3_T4_T5_mT6_P12ihipStream_tbENKUlT_T0_E_clISt17integral_constantIbLb0EESX_EEDaSS_ST_EUlSS_E0_NS1_11comp_targetILNS1_3genE4ELNS1_11target_archE910ELNS1_3gpuE8ELNS1_3repE0EEENS1_30default_config_static_selectorELNS0_4arch9wavefront6targetE1EEEvT1_: ; @_ZN7rocprim17ROCPRIM_400000_NS6detail17trampoline_kernelINS0_14default_configENS1_20scan_config_selectorIyEEZZNS1_9scan_implILNS1_25lookback_scan_determinismE0ELb1ELb1ES3_N6thrust23THRUST_200600_302600_NS6detail15normal_iteratorINS9_10device_ptrIyEEEENS9_16discard_iteratorINS9_11use_defaultEEEy11max_functorIyEyEEDaPvRmT3_T4_T5_mT6_P12ihipStream_tbENKUlT_T0_E_clISt17integral_constantIbLb0EESX_EEDaSS_ST_EUlSS_E0_NS1_11comp_targetILNS1_3genE4ELNS1_11target_archE910ELNS1_3gpuE8ELNS1_3repE0EEENS1_30default_config_static_selectorELNS0_4arch9wavefront6targetE1EEEvT1_
; %bb.0:
	s_load_dwordx4 s[0:3], s[4:5], 0x0
	v_lshlrev_b32_e32 v1, 3, v0
	s_waitcnt lgkmcnt(0)
	s_load_dwordx2 s[6:7], s[0:1], 0x0
	v_cmp_gt_u32_e32 vcc, s2, v0
	s_waitcnt lgkmcnt(0)
	v_pk_mov_b32 v[2:3], s[6:7], s[6:7] op_sel:[0,1]
	s_and_saveexec_b64 s[8:9], vcc
	s_cbranch_execz .LBB3361_2
; %bb.1:
	global_load_dwordx2 v[2:3], v1, s[0:1]
.LBB3361_2:
	s_or_b64 exec, exec, s[8:9]
	v_or_b32_e32 v4, 0x80, v0
	v_cmp_gt_u32_e32 vcc, s2, v4
	v_pk_mov_b32 v[4:5], s[6:7], s[6:7] op_sel:[0,1]
	s_and_saveexec_b64 s[8:9], vcc
	s_cbranch_execz .LBB3361_4
; %bb.3:
	global_load_dwordx2 v[4:5], v1, s[0:1] offset:1024
.LBB3361_4:
	s_or_b64 exec, exec, s[8:9]
	v_or_b32_e32 v6, 0x100, v0
	v_cmp_gt_u32_e32 vcc, s2, v6
	v_pk_mov_b32 v[6:7], s[6:7], s[6:7] op_sel:[0,1]
	s_and_saveexec_b64 s[8:9], vcc
	s_cbranch_execz .LBB3361_6
; %bb.5:
	global_load_dwordx2 v[6:7], v1, s[0:1] offset:2048
.LBB3361_6:
	;; [unrolled: 9-line block ×3, first 2 shown]
	s_or_b64 exec, exec, s[8:9]
	v_or_b32_e32 v12, 0x200, v0
	v_cmp_gt_u32_e32 vcc, s2, v12
	v_pk_mov_b32 v[10:11], s[6:7], s[6:7] op_sel:[0,1]
	s_and_saveexec_b64 s[8:9], vcc
	s_cbranch_execz .LBB3361_10
; %bb.9:
	v_lshlrev_b32_e32 v10, 3, v12
	global_load_dwordx2 v[10:11], v10, s[0:1]
.LBB3361_10:
	s_or_b64 exec, exec, s[8:9]
	v_or_b32_e32 v14, 0x280, v0
	v_cmp_gt_u32_e32 vcc, s2, v14
	v_pk_mov_b32 v[12:13], s[6:7], s[6:7] op_sel:[0,1]
	s_and_saveexec_b64 s[8:9], vcc
	s_cbranch_execz .LBB3361_12
; %bb.11:
	v_lshlrev_b32_e32 v12, 3, v14
	global_load_dwordx2 v[12:13], v12, s[0:1]
.LBB3361_12:
	s_or_b64 exec, exec, s[8:9]
	s_load_dwordx2 s[4:5], s[4:5], 0x10
	v_or_b32_e32 v16, 0x300, v0
	v_cmp_gt_u32_e32 vcc, s2, v16
	v_pk_mov_b32 v[14:15], s[6:7], s[6:7] op_sel:[0,1]
	s_and_saveexec_b64 s[2:3], vcc
	s_cbranch_execz .LBB3361_14
; %bb.13:
	v_lshlrev_b32_e32 v14, 3, v16
	global_load_dwordx2 v[14:15], v14, s[0:1]
.LBB3361_14:
	s_or_b64 exec, exec, s[2:3]
	s_waitcnt vmcnt(0)
	ds_write2st64_b64 v1, v[2:3], v[4:5] offset1:2
	ds_write2st64_b64 v1, v[6:7], v[8:9] offset0:4 offset1:6
	ds_write2st64_b64 v1, v[10:11], v[12:13] offset0:8 offset1:10
	ds_write_b64 v1, v[14:15] offset:6144
	v_mad_u32_u24 v14, v0, 48, v1
	s_waitcnt lgkmcnt(0)
	s_barrier
	ds_read2_b64 v[10:13], v14 offset1:1
	ds_read2_b64 v[6:9], v14 offset0:2 offset1:3
	ds_read2_b64 v[2:5], v14 offset0:4 offset1:5
	ds_read_b64 v[14:15], v14 offset:48
	s_waitcnt lgkmcnt(0)
	v_cmp_gt_u64_e32 vcc, v[10:11], v[12:13]
	v_cndmask_b32_e32 v17, v13, v11, vcc
	v_cndmask_b32_e32 v16, v12, v10, vcc
	v_cmp_gt_u64_e32 vcc, v[16:17], v[6:7]
	v_cndmask_b32_e32 v17, v7, v17, vcc
	v_cndmask_b32_e32 v16, v6, v16, vcc
	;; [unrolled: 3-line block ×5, first 2 shown]
	v_cmp_gt_u64_e32 vcc, v[16:17], v[14:15]
	v_cndmask_b32_e32 v18, v14, v16, vcc
	v_lshrrev_b32_e32 v14, 2, v0
	v_and_b32_e32 v14, 24, v14
	v_cndmask_b32_e32 v19, v15, v17, vcc
	v_add_u32_e32 v14, v1, v14
	v_cmp_gt_u32_e32 vcc, 64, v0
	s_barrier
	ds_write_b64 v14, v[18:19]
	s_waitcnt lgkmcnt(0)
	s_barrier
	s_and_saveexec_b64 s[2:3], vcc
	s_cbranch_execz .LBB3361_18
; %bb.15:
	v_lshlrev_b32_e32 v14, 1, v0
	v_lshrrev_b32_e32 v15, 4, v0
	v_add_lshl_u32 v24, v15, v14, 3
	ds_read2_b64 v[14:17], v24 offset1:1
	v_mbcnt_lo_u32_b32 v20, -1, 0
	v_mbcnt_hi_u32_b32 v25, -1, v20
	v_and_b32_e32 v26, 15, v25
	v_and_b32_e32 v28, 16, v25
	s_waitcnt lgkmcnt(0)
	v_cmp_gt_u64_e32 vcc, v[14:15], v[16:17]
	v_cndmask_b32_e32 v17, v17, v15, vcc
	v_cndmask_b32_e32 v16, v16, v14, vcc
	v_cmp_ne_u32_e64 s[0:1], 0, v25
	v_mov_b32_dpp v21, v17 row_shr:1 row_mask:0xf bank_mask:0xf
	v_mov_b32_dpp v20, v16 row_shr:1 row_mask:0xf bank_mask:0xf
	v_cmp_gt_u64_e32 vcc, v[20:21], v[16:17]
	v_cndmask_b32_e32 v20, v16, v20, vcc
	v_cndmask_b32_e32 v21, v17, v21, vcc
	v_cmp_eq_u32_e32 vcc, 0, v26
	v_cndmask_b32_e32 v21, v21, v17, vcc
	v_cndmask_b32_e32 v20, v20, v16, vcc
	s_nop 0
	v_mov_b32_dpp v23, v21 row_shr:2 row_mask:0xf bank_mask:0xf
	v_mov_b32_dpp v22, v20 row_shr:2 row_mask:0xf bank_mask:0xf
	v_cmp_gt_u64_e32 vcc, v[22:23], v[20:21]
	v_cndmask_b32_e32 v22, v20, v22, vcc
	v_cndmask_b32_e32 v23, v21, v23, vcc
	v_cmp_lt_u32_e32 vcc, 1, v26
	v_cndmask_b32_e32 v21, v21, v23, vcc
	v_cndmask_b32_e32 v20, v20, v22, vcc
	s_nop 0
	v_mov_b32_dpp v23, v21 row_shr:4 row_mask:0xf bank_mask:0xf
	v_mov_b32_dpp v22, v20 row_shr:4 row_mask:0xf bank_mask:0xf
	v_cmp_gt_u64_e32 vcc, v[22:23], v[20:21]
	v_cndmask_b32_e32 v22, v20, v22, vcc
	v_cndmask_b32_e32 v23, v21, v23, vcc
	v_cmp_lt_u32_e32 vcc, 3, v26
	;; [unrolled: 9-line block ×3, first 2 shown]
	v_cndmask_b32_e32 v21, v21, v23, vcc
	v_cndmask_b32_e32 v20, v20, v22, vcc
	s_nop 0
	v_mov_b32_dpp v23, v21 row_bcast:15 row_mask:0xf bank_mask:0xf
	v_mov_b32_dpp v22, v20 row_bcast:15 row_mask:0xf bank_mask:0xf
	v_cmp_gt_u64_e32 vcc, v[22:23], v[20:21]
	v_cndmask_b32_e32 v26, v21, v23, vcc
	v_cndmask_b32_e32 v27, v20, v22, vcc
	v_cmp_eq_u32_e32 vcc, 0, v28
	v_cndmask_b32_e32 v23, v26, v21, vcc
	v_cndmask_b32_e32 v22, v27, v20, vcc
	s_nop 0
	v_mov_b32_dpp v23, v23 row_bcast:31 row_mask:0xf bank_mask:0xf
	v_mov_b32_dpp v22, v22 row_bcast:31 row_mask:0xf bank_mask:0xf
	s_and_saveexec_b64 s[6:7], s[0:1]
; %bb.16:
	v_cndmask_b32_e32 v17, v26, v21, vcc
	v_cndmask_b32_e32 v16, v27, v20, vcc
	v_cmp_lt_u32_e64 s[0:1], 31, v25
	v_cmp_gt_u64_e32 vcc, v[22:23], v[16:17]
	s_and_b64 vcc, s[0:1], vcc
	v_cndmask_b32_e32 v16, v16, v22, vcc
	v_cndmask_b32_e32 v17, v17, v23, vcc
; %bb.17:
	s_or_b64 exec, exec, s[6:7]
	v_add_u32_e32 v20, -1, v25
	v_and_b32_e32 v21, 64, v25
	v_cmp_lt_i32_e32 vcc, v20, v21
	v_cndmask_b32_e32 v20, v20, v25, vcc
	v_lshlrev_b32_e32 v20, 2, v20
	ds_bpermute_b32 v16, v20, v16
	ds_bpermute_b32 v17, v20, v17
	; wave barrier
	s_waitcnt lgkmcnt(0)
	v_cmp_gt_u64_e32 vcc, v[16:17], v[14:15]
	v_cndmask_b32_e32 v14, v14, v16, vcc
	v_cndmask_b32_e32 v15, v15, v17, vcc
	v_cmp_eq_u32_e32 vcc, 0, v0
	v_cndmask_b32_e32 v15, v15, v19, vcc
	v_cndmask_b32_e32 v14, v14, v18, vcc
	ds_write_b64 v24, v[14:15]
	; wave barrier
	ds_read_b64 v[16:17], v24 offset:8
	s_waitcnt lgkmcnt(0)
	v_cmp_gt_u64_e32 vcc, v[14:15], v[16:17]
	v_cndmask_b32_e32 v15, v17, v15, vcc
	v_cndmask_b32_e32 v14, v16, v14, vcc
	ds_write_b64 v24, v[14:15] offset:8
.LBB3361_18:
	s_or_b64 exec, exec, s[2:3]
	v_mul_u32_u24_e32 v16, 48, v0
	v_cmp_ne_u32_e32 vcc, 0, v0
	v_pk_mov_b32 v[14:15], s[4:5], s[4:5] op_sel:[0,1]
	s_waitcnt lgkmcnt(0)
	s_barrier
	s_and_saveexec_b64 s[0:1], vcc
	s_cbranch_execz .LBB3361_20
; %bb.19:
	v_add_u32_e32 v0, -1, v0
	v_lshrrev_b32_e32 v14, 5, v0
	v_add_lshl_u32 v0, v14, v0, 3
	ds_read_b64 v[14:15], v0
	v_mov_b32_e32 v0, s5
	s_waitcnt lgkmcnt(0)
	v_cmp_gt_u64_e32 vcc, s[4:5], v[14:15]
	v_cndmask_b32_e32 v15, v15, v0, vcc
	v_mov_b32_e32 v0, s4
	v_cndmask_b32_e32 v14, v14, v0, vcc
.LBB3361_20:
	s_or_b64 exec, exec, s[0:1]
	v_cmp_gt_u64_e32 vcc, v[14:15], v[10:11]
	v_cndmask_b32_e32 v11, v11, v15, vcc
	v_cndmask_b32_e32 v10, v10, v14, vcc
	v_cmp_gt_u64_e32 vcc, v[10:11], v[12:13]
	v_cndmask_b32_e32 v13, v13, v11, vcc
	v_cndmask_b32_e32 v12, v12, v10, vcc
	;; [unrolled: 3-line block ×5, first 2 shown]
	v_cmp_gt_u64_e32 vcc, v[2:3], v[4:5]
	v_add_u32_e32 v0, v1, v16
	v_cndmask_b32_e32 v5, v5, v3, vcc
	v_cndmask_b32_e32 v4, v4, v2, vcc
	s_barrier
	ds_write2_b64 v0, v[14:15], v[10:11] offset1:1
	ds_write2_b64 v0, v[12:13], v[6:7] offset0:2 offset1:3
	ds_write2_b64 v0, v[8:9], v[2:3] offset0:4 offset1:5
	ds_write_b64 v0, v[4:5] offset:48
	s_waitcnt lgkmcnt(0)
	s_barrier
	s_endpgm
	.section	.rodata,"a",@progbits
	.p2align	6, 0x0
	.amdhsa_kernel _ZN7rocprim17ROCPRIM_400000_NS6detail17trampoline_kernelINS0_14default_configENS1_20scan_config_selectorIyEEZZNS1_9scan_implILNS1_25lookback_scan_determinismE0ELb1ELb1ES3_N6thrust23THRUST_200600_302600_NS6detail15normal_iteratorINS9_10device_ptrIyEEEENS9_16discard_iteratorINS9_11use_defaultEEEy11max_functorIyEyEEDaPvRmT3_T4_T5_mT6_P12ihipStream_tbENKUlT_T0_E_clISt17integral_constantIbLb0EESX_EEDaSS_ST_EUlSS_E0_NS1_11comp_targetILNS1_3genE4ELNS1_11target_archE910ELNS1_3gpuE8ELNS1_3repE0EEENS1_30default_config_static_selectorELNS0_4arch9wavefront6targetE1EEEvT1_
		.amdhsa_group_segment_fixed_size 7168
		.amdhsa_private_segment_fixed_size 0
		.amdhsa_kernarg_size 48
		.amdhsa_user_sgpr_count 6
		.amdhsa_user_sgpr_private_segment_buffer 1
		.amdhsa_user_sgpr_dispatch_ptr 0
		.amdhsa_user_sgpr_queue_ptr 0
		.amdhsa_user_sgpr_kernarg_segment_ptr 1
		.amdhsa_user_sgpr_dispatch_id 0
		.amdhsa_user_sgpr_flat_scratch_init 0
		.amdhsa_user_sgpr_kernarg_preload_length 0
		.amdhsa_user_sgpr_kernarg_preload_offset 0
		.amdhsa_user_sgpr_private_segment_size 0
		.amdhsa_uses_dynamic_stack 0
		.amdhsa_system_sgpr_private_segment_wavefront_offset 0
		.amdhsa_system_sgpr_workgroup_id_x 1
		.amdhsa_system_sgpr_workgroup_id_y 0
		.amdhsa_system_sgpr_workgroup_id_z 0
		.amdhsa_system_sgpr_workgroup_info 0
		.amdhsa_system_vgpr_workitem_id 0
		.amdhsa_next_free_vgpr 29
		.amdhsa_next_free_sgpr 10
		.amdhsa_accum_offset 32
		.amdhsa_reserve_vcc 1
		.amdhsa_reserve_flat_scratch 0
		.amdhsa_float_round_mode_32 0
		.amdhsa_float_round_mode_16_64 0
		.amdhsa_float_denorm_mode_32 3
		.amdhsa_float_denorm_mode_16_64 3
		.amdhsa_dx10_clamp 1
		.amdhsa_ieee_mode 1
		.amdhsa_fp16_overflow 0
		.amdhsa_tg_split 0
		.amdhsa_exception_fp_ieee_invalid_op 0
		.amdhsa_exception_fp_denorm_src 0
		.amdhsa_exception_fp_ieee_div_zero 0
		.amdhsa_exception_fp_ieee_overflow 0
		.amdhsa_exception_fp_ieee_underflow 0
		.amdhsa_exception_fp_ieee_inexact 0
		.amdhsa_exception_int_div_zero 0
	.end_amdhsa_kernel
	.section	.text._ZN7rocprim17ROCPRIM_400000_NS6detail17trampoline_kernelINS0_14default_configENS1_20scan_config_selectorIyEEZZNS1_9scan_implILNS1_25lookback_scan_determinismE0ELb1ELb1ES3_N6thrust23THRUST_200600_302600_NS6detail15normal_iteratorINS9_10device_ptrIyEEEENS9_16discard_iteratorINS9_11use_defaultEEEy11max_functorIyEyEEDaPvRmT3_T4_T5_mT6_P12ihipStream_tbENKUlT_T0_E_clISt17integral_constantIbLb0EESX_EEDaSS_ST_EUlSS_E0_NS1_11comp_targetILNS1_3genE4ELNS1_11target_archE910ELNS1_3gpuE8ELNS1_3repE0EEENS1_30default_config_static_selectorELNS0_4arch9wavefront6targetE1EEEvT1_,"axG",@progbits,_ZN7rocprim17ROCPRIM_400000_NS6detail17trampoline_kernelINS0_14default_configENS1_20scan_config_selectorIyEEZZNS1_9scan_implILNS1_25lookback_scan_determinismE0ELb1ELb1ES3_N6thrust23THRUST_200600_302600_NS6detail15normal_iteratorINS9_10device_ptrIyEEEENS9_16discard_iteratorINS9_11use_defaultEEEy11max_functorIyEyEEDaPvRmT3_T4_T5_mT6_P12ihipStream_tbENKUlT_T0_E_clISt17integral_constantIbLb0EESX_EEDaSS_ST_EUlSS_E0_NS1_11comp_targetILNS1_3genE4ELNS1_11target_archE910ELNS1_3gpuE8ELNS1_3repE0EEENS1_30default_config_static_selectorELNS0_4arch9wavefront6targetE1EEEvT1_,comdat
.Lfunc_end3361:
	.size	_ZN7rocprim17ROCPRIM_400000_NS6detail17trampoline_kernelINS0_14default_configENS1_20scan_config_selectorIyEEZZNS1_9scan_implILNS1_25lookback_scan_determinismE0ELb1ELb1ES3_N6thrust23THRUST_200600_302600_NS6detail15normal_iteratorINS9_10device_ptrIyEEEENS9_16discard_iteratorINS9_11use_defaultEEEy11max_functorIyEyEEDaPvRmT3_T4_T5_mT6_P12ihipStream_tbENKUlT_T0_E_clISt17integral_constantIbLb0EESX_EEDaSS_ST_EUlSS_E0_NS1_11comp_targetILNS1_3genE4ELNS1_11target_archE910ELNS1_3gpuE8ELNS1_3repE0EEENS1_30default_config_static_selectorELNS0_4arch9wavefront6targetE1EEEvT1_, .Lfunc_end3361-_ZN7rocprim17ROCPRIM_400000_NS6detail17trampoline_kernelINS0_14default_configENS1_20scan_config_selectorIyEEZZNS1_9scan_implILNS1_25lookback_scan_determinismE0ELb1ELb1ES3_N6thrust23THRUST_200600_302600_NS6detail15normal_iteratorINS9_10device_ptrIyEEEENS9_16discard_iteratorINS9_11use_defaultEEEy11max_functorIyEyEEDaPvRmT3_T4_T5_mT6_P12ihipStream_tbENKUlT_T0_E_clISt17integral_constantIbLb0EESX_EEDaSS_ST_EUlSS_E0_NS1_11comp_targetILNS1_3genE4ELNS1_11target_archE910ELNS1_3gpuE8ELNS1_3repE0EEENS1_30default_config_static_selectorELNS0_4arch9wavefront6targetE1EEEvT1_
                                        ; -- End function
	.section	.AMDGPU.csdata,"",@progbits
; Kernel info:
; codeLenInByte = 1188
; NumSgprs: 14
; NumVgprs: 29
; NumAgprs: 0
; TotalNumVgprs: 29
; ScratchSize: 0
; MemoryBound: 0
; FloatMode: 240
; IeeeMode: 1
; LDSByteSize: 7168 bytes/workgroup (compile time only)
; SGPRBlocks: 1
; VGPRBlocks: 3
; NumSGPRsForWavesPerEU: 14
; NumVGPRsForWavesPerEU: 29
; AccumOffset: 32
; Occupancy: 5
; WaveLimiterHint : 0
; COMPUTE_PGM_RSRC2:SCRATCH_EN: 0
; COMPUTE_PGM_RSRC2:USER_SGPR: 6
; COMPUTE_PGM_RSRC2:TRAP_HANDLER: 0
; COMPUTE_PGM_RSRC2:TGID_X_EN: 1
; COMPUTE_PGM_RSRC2:TGID_Y_EN: 0
; COMPUTE_PGM_RSRC2:TGID_Z_EN: 0
; COMPUTE_PGM_RSRC2:TIDIG_COMP_CNT: 0
; COMPUTE_PGM_RSRC3_GFX90A:ACCUM_OFFSET: 7
; COMPUTE_PGM_RSRC3_GFX90A:TG_SPLIT: 0
	.section	.text._ZN7rocprim17ROCPRIM_400000_NS6detail17trampoline_kernelINS0_14default_configENS1_20scan_config_selectorIyEEZZNS1_9scan_implILNS1_25lookback_scan_determinismE0ELb1ELb1ES3_N6thrust23THRUST_200600_302600_NS6detail15normal_iteratorINS9_10device_ptrIyEEEENS9_16discard_iteratorINS9_11use_defaultEEEy11max_functorIyEyEEDaPvRmT3_T4_T5_mT6_P12ihipStream_tbENKUlT_T0_E_clISt17integral_constantIbLb0EESX_EEDaSS_ST_EUlSS_E0_NS1_11comp_targetILNS1_3genE3ELNS1_11target_archE908ELNS1_3gpuE7ELNS1_3repE0EEENS1_30default_config_static_selectorELNS0_4arch9wavefront6targetE1EEEvT1_,"axG",@progbits,_ZN7rocprim17ROCPRIM_400000_NS6detail17trampoline_kernelINS0_14default_configENS1_20scan_config_selectorIyEEZZNS1_9scan_implILNS1_25lookback_scan_determinismE0ELb1ELb1ES3_N6thrust23THRUST_200600_302600_NS6detail15normal_iteratorINS9_10device_ptrIyEEEENS9_16discard_iteratorINS9_11use_defaultEEEy11max_functorIyEyEEDaPvRmT3_T4_T5_mT6_P12ihipStream_tbENKUlT_T0_E_clISt17integral_constantIbLb0EESX_EEDaSS_ST_EUlSS_E0_NS1_11comp_targetILNS1_3genE3ELNS1_11target_archE908ELNS1_3gpuE7ELNS1_3repE0EEENS1_30default_config_static_selectorELNS0_4arch9wavefront6targetE1EEEvT1_,comdat
	.protected	_ZN7rocprim17ROCPRIM_400000_NS6detail17trampoline_kernelINS0_14default_configENS1_20scan_config_selectorIyEEZZNS1_9scan_implILNS1_25lookback_scan_determinismE0ELb1ELb1ES3_N6thrust23THRUST_200600_302600_NS6detail15normal_iteratorINS9_10device_ptrIyEEEENS9_16discard_iteratorINS9_11use_defaultEEEy11max_functorIyEyEEDaPvRmT3_T4_T5_mT6_P12ihipStream_tbENKUlT_T0_E_clISt17integral_constantIbLb0EESX_EEDaSS_ST_EUlSS_E0_NS1_11comp_targetILNS1_3genE3ELNS1_11target_archE908ELNS1_3gpuE7ELNS1_3repE0EEENS1_30default_config_static_selectorELNS0_4arch9wavefront6targetE1EEEvT1_ ; -- Begin function _ZN7rocprim17ROCPRIM_400000_NS6detail17trampoline_kernelINS0_14default_configENS1_20scan_config_selectorIyEEZZNS1_9scan_implILNS1_25lookback_scan_determinismE0ELb1ELb1ES3_N6thrust23THRUST_200600_302600_NS6detail15normal_iteratorINS9_10device_ptrIyEEEENS9_16discard_iteratorINS9_11use_defaultEEEy11max_functorIyEyEEDaPvRmT3_T4_T5_mT6_P12ihipStream_tbENKUlT_T0_E_clISt17integral_constantIbLb0EESX_EEDaSS_ST_EUlSS_E0_NS1_11comp_targetILNS1_3genE3ELNS1_11target_archE908ELNS1_3gpuE7ELNS1_3repE0EEENS1_30default_config_static_selectorELNS0_4arch9wavefront6targetE1EEEvT1_
	.globl	_ZN7rocprim17ROCPRIM_400000_NS6detail17trampoline_kernelINS0_14default_configENS1_20scan_config_selectorIyEEZZNS1_9scan_implILNS1_25lookback_scan_determinismE0ELb1ELb1ES3_N6thrust23THRUST_200600_302600_NS6detail15normal_iteratorINS9_10device_ptrIyEEEENS9_16discard_iteratorINS9_11use_defaultEEEy11max_functorIyEyEEDaPvRmT3_T4_T5_mT6_P12ihipStream_tbENKUlT_T0_E_clISt17integral_constantIbLb0EESX_EEDaSS_ST_EUlSS_E0_NS1_11comp_targetILNS1_3genE3ELNS1_11target_archE908ELNS1_3gpuE7ELNS1_3repE0EEENS1_30default_config_static_selectorELNS0_4arch9wavefront6targetE1EEEvT1_
	.p2align	8
	.type	_ZN7rocprim17ROCPRIM_400000_NS6detail17trampoline_kernelINS0_14default_configENS1_20scan_config_selectorIyEEZZNS1_9scan_implILNS1_25lookback_scan_determinismE0ELb1ELb1ES3_N6thrust23THRUST_200600_302600_NS6detail15normal_iteratorINS9_10device_ptrIyEEEENS9_16discard_iteratorINS9_11use_defaultEEEy11max_functorIyEyEEDaPvRmT3_T4_T5_mT6_P12ihipStream_tbENKUlT_T0_E_clISt17integral_constantIbLb0EESX_EEDaSS_ST_EUlSS_E0_NS1_11comp_targetILNS1_3genE3ELNS1_11target_archE908ELNS1_3gpuE7ELNS1_3repE0EEENS1_30default_config_static_selectorELNS0_4arch9wavefront6targetE1EEEvT1_,@function
_ZN7rocprim17ROCPRIM_400000_NS6detail17trampoline_kernelINS0_14default_configENS1_20scan_config_selectorIyEEZZNS1_9scan_implILNS1_25lookback_scan_determinismE0ELb1ELb1ES3_N6thrust23THRUST_200600_302600_NS6detail15normal_iteratorINS9_10device_ptrIyEEEENS9_16discard_iteratorINS9_11use_defaultEEEy11max_functorIyEyEEDaPvRmT3_T4_T5_mT6_P12ihipStream_tbENKUlT_T0_E_clISt17integral_constantIbLb0EESX_EEDaSS_ST_EUlSS_E0_NS1_11comp_targetILNS1_3genE3ELNS1_11target_archE908ELNS1_3gpuE7ELNS1_3repE0EEENS1_30default_config_static_selectorELNS0_4arch9wavefront6targetE1EEEvT1_: ; @_ZN7rocprim17ROCPRIM_400000_NS6detail17trampoline_kernelINS0_14default_configENS1_20scan_config_selectorIyEEZZNS1_9scan_implILNS1_25lookback_scan_determinismE0ELb1ELb1ES3_N6thrust23THRUST_200600_302600_NS6detail15normal_iteratorINS9_10device_ptrIyEEEENS9_16discard_iteratorINS9_11use_defaultEEEy11max_functorIyEyEEDaPvRmT3_T4_T5_mT6_P12ihipStream_tbENKUlT_T0_E_clISt17integral_constantIbLb0EESX_EEDaSS_ST_EUlSS_E0_NS1_11comp_targetILNS1_3genE3ELNS1_11target_archE908ELNS1_3gpuE7ELNS1_3repE0EEENS1_30default_config_static_selectorELNS0_4arch9wavefront6targetE1EEEvT1_
; %bb.0:
	.section	.rodata,"a",@progbits
	.p2align	6, 0x0
	.amdhsa_kernel _ZN7rocprim17ROCPRIM_400000_NS6detail17trampoline_kernelINS0_14default_configENS1_20scan_config_selectorIyEEZZNS1_9scan_implILNS1_25lookback_scan_determinismE0ELb1ELb1ES3_N6thrust23THRUST_200600_302600_NS6detail15normal_iteratorINS9_10device_ptrIyEEEENS9_16discard_iteratorINS9_11use_defaultEEEy11max_functorIyEyEEDaPvRmT3_T4_T5_mT6_P12ihipStream_tbENKUlT_T0_E_clISt17integral_constantIbLb0EESX_EEDaSS_ST_EUlSS_E0_NS1_11comp_targetILNS1_3genE3ELNS1_11target_archE908ELNS1_3gpuE7ELNS1_3repE0EEENS1_30default_config_static_selectorELNS0_4arch9wavefront6targetE1EEEvT1_
		.amdhsa_group_segment_fixed_size 0
		.amdhsa_private_segment_fixed_size 0
		.amdhsa_kernarg_size 48
		.amdhsa_user_sgpr_count 6
		.amdhsa_user_sgpr_private_segment_buffer 1
		.amdhsa_user_sgpr_dispatch_ptr 0
		.amdhsa_user_sgpr_queue_ptr 0
		.amdhsa_user_sgpr_kernarg_segment_ptr 1
		.amdhsa_user_sgpr_dispatch_id 0
		.amdhsa_user_sgpr_flat_scratch_init 0
		.amdhsa_user_sgpr_kernarg_preload_length 0
		.amdhsa_user_sgpr_kernarg_preload_offset 0
		.amdhsa_user_sgpr_private_segment_size 0
		.amdhsa_uses_dynamic_stack 0
		.amdhsa_system_sgpr_private_segment_wavefront_offset 0
		.amdhsa_system_sgpr_workgroup_id_x 1
		.amdhsa_system_sgpr_workgroup_id_y 0
		.amdhsa_system_sgpr_workgroup_id_z 0
		.amdhsa_system_sgpr_workgroup_info 0
		.amdhsa_system_vgpr_workitem_id 0
		.amdhsa_next_free_vgpr 1
		.amdhsa_next_free_sgpr 0
		.amdhsa_accum_offset 4
		.amdhsa_reserve_vcc 0
		.amdhsa_reserve_flat_scratch 0
		.amdhsa_float_round_mode_32 0
		.amdhsa_float_round_mode_16_64 0
		.amdhsa_float_denorm_mode_32 3
		.amdhsa_float_denorm_mode_16_64 3
		.amdhsa_dx10_clamp 1
		.amdhsa_ieee_mode 1
		.amdhsa_fp16_overflow 0
		.amdhsa_tg_split 0
		.amdhsa_exception_fp_ieee_invalid_op 0
		.amdhsa_exception_fp_denorm_src 0
		.amdhsa_exception_fp_ieee_div_zero 0
		.amdhsa_exception_fp_ieee_overflow 0
		.amdhsa_exception_fp_ieee_underflow 0
		.amdhsa_exception_fp_ieee_inexact 0
		.amdhsa_exception_int_div_zero 0
	.end_amdhsa_kernel
	.section	.text._ZN7rocprim17ROCPRIM_400000_NS6detail17trampoline_kernelINS0_14default_configENS1_20scan_config_selectorIyEEZZNS1_9scan_implILNS1_25lookback_scan_determinismE0ELb1ELb1ES3_N6thrust23THRUST_200600_302600_NS6detail15normal_iteratorINS9_10device_ptrIyEEEENS9_16discard_iteratorINS9_11use_defaultEEEy11max_functorIyEyEEDaPvRmT3_T4_T5_mT6_P12ihipStream_tbENKUlT_T0_E_clISt17integral_constantIbLb0EESX_EEDaSS_ST_EUlSS_E0_NS1_11comp_targetILNS1_3genE3ELNS1_11target_archE908ELNS1_3gpuE7ELNS1_3repE0EEENS1_30default_config_static_selectorELNS0_4arch9wavefront6targetE1EEEvT1_,"axG",@progbits,_ZN7rocprim17ROCPRIM_400000_NS6detail17trampoline_kernelINS0_14default_configENS1_20scan_config_selectorIyEEZZNS1_9scan_implILNS1_25lookback_scan_determinismE0ELb1ELb1ES3_N6thrust23THRUST_200600_302600_NS6detail15normal_iteratorINS9_10device_ptrIyEEEENS9_16discard_iteratorINS9_11use_defaultEEEy11max_functorIyEyEEDaPvRmT3_T4_T5_mT6_P12ihipStream_tbENKUlT_T0_E_clISt17integral_constantIbLb0EESX_EEDaSS_ST_EUlSS_E0_NS1_11comp_targetILNS1_3genE3ELNS1_11target_archE908ELNS1_3gpuE7ELNS1_3repE0EEENS1_30default_config_static_selectorELNS0_4arch9wavefront6targetE1EEEvT1_,comdat
.Lfunc_end3362:
	.size	_ZN7rocprim17ROCPRIM_400000_NS6detail17trampoline_kernelINS0_14default_configENS1_20scan_config_selectorIyEEZZNS1_9scan_implILNS1_25lookback_scan_determinismE0ELb1ELb1ES3_N6thrust23THRUST_200600_302600_NS6detail15normal_iteratorINS9_10device_ptrIyEEEENS9_16discard_iteratorINS9_11use_defaultEEEy11max_functorIyEyEEDaPvRmT3_T4_T5_mT6_P12ihipStream_tbENKUlT_T0_E_clISt17integral_constantIbLb0EESX_EEDaSS_ST_EUlSS_E0_NS1_11comp_targetILNS1_3genE3ELNS1_11target_archE908ELNS1_3gpuE7ELNS1_3repE0EEENS1_30default_config_static_selectorELNS0_4arch9wavefront6targetE1EEEvT1_, .Lfunc_end3362-_ZN7rocprim17ROCPRIM_400000_NS6detail17trampoline_kernelINS0_14default_configENS1_20scan_config_selectorIyEEZZNS1_9scan_implILNS1_25lookback_scan_determinismE0ELb1ELb1ES3_N6thrust23THRUST_200600_302600_NS6detail15normal_iteratorINS9_10device_ptrIyEEEENS9_16discard_iteratorINS9_11use_defaultEEEy11max_functorIyEyEEDaPvRmT3_T4_T5_mT6_P12ihipStream_tbENKUlT_T0_E_clISt17integral_constantIbLb0EESX_EEDaSS_ST_EUlSS_E0_NS1_11comp_targetILNS1_3genE3ELNS1_11target_archE908ELNS1_3gpuE7ELNS1_3repE0EEENS1_30default_config_static_selectorELNS0_4arch9wavefront6targetE1EEEvT1_
                                        ; -- End function
	.section	.AMDGPU.csdata,"",@progbits
; Kernel info:
; codeLenInByte = 0
; NumSgprs: 4
; NumVgprs: 0
; NumAgprs: 0
; TotalNumVgprs: 0
; ScratchSize: 0
; MemoryBound: 0
; FloatMode: 240
; IeeeMode: 1
; LDSByteSize: 0 bytes/workgroup (compile time only)
; SGPRBlocks: 0
; VGPRBlocks: 0
; NumSGPRsForWavesPerEU: 4
; NumVGPRsForWavesPerEU: 1
; AccumOffset: 4
; Occupancy: 8
; WaveLimiterHint : 0
; COMPUTE_PGM_RSRC2:SCRATCH_EN: 0
; COMPUTE_PGM_RSRC2:USER_SGPR: 6
; COMPUTE_PGM_RSRC2:TRAP_HANDLER: 0
; COMPUTE_PGM_RSRC2:TGID_X_EN: 1
; COMPUTE_PGM_RSRC2:TGID_Y_EN: 0
; COMPUTE_PGM_RSRC2:TGID_Z_EN: 0
; COMPUTE_PGM_RSRC2:TIDIG_COMP_CNT: 0
; COMPUTE_PGM_RSRC3_GFX90A:ACCUM_OFFSET: 0
; COMPUTE_PGM_RSRC3_GFX90A:TG_SPLIT: 0
	.section	.text._ZN7rocprim17ROCPRIM_400000_NS6detail17trampoline_kernelINS0_14default_configENS1_20scan_config_selectorIyEEZZNS1_9scan_implILNS1_25lookback_scan_determinismE0ELb1ELb1ES3_N6thrust23THRUST_200600_302600_NS6detail15normal_iteratorINS9_10device_ptrIyEEEENS9_16discard_iteratorINS9_11use_defaultEEEy11max_functorIyEyEEDaPvRmT3_T4_T5_mT6_P12ihipStream_tbENKUlT_T0_E_clISt17integral_constantIbLb0EESX_EEDaSS_ST_EUlSS_E0_NS1_11comp_targetILNS1_3genE2ELNS1_11target_archE906ELNS1_3gpuE6ELNS1_3repE0EEENS1_30default_config_static_selectorELNS0_4arch9wavefront6targetE1EEEvT1_,"axG",@progbits,_ZN7rocprim17ROCPRIM_400000_NS6detail17trampoline_kernelINS0_14default_configENS1_20scan_config_selectorIyEEZZNS1_9scan_implILNS1_25lookback_scan_determinismE0ELb1ELb1ES3_N6thrust23THRUST_200600_302600_NS6detail15normal_iteratorINS9_10device_ptrIyEEEENS9_16discard_iteratorINS9_11use_defaultEEEy11max_functorIyEyEEDaPvRmT3_T4_T5_mT6_P12ihipStream_tbENKUlT_T0_E_clISt17integral_constantIbLb0EESX_EEDaSS_ST_EUlSS_E0_NS1_11comp_targetILNS1_3genE2ELNS1_11target_archE906ELNS1_3gpuE6ELNS1_3repE0EEENS1_30default_config_static_selectorELNS0_4arch9wavefront6targetE1EEEvT1_,comdat
	.protected	_ZN7rocprim17ROCPRIM_400000_NS6detail17trampoline_kernelINS0_14default_configENS1_20scan_config_selectorIyEEZZNS1_9scan_implILNS1_25lookback_scan_determinismE0ELb1ELb1ES3_N6thrust23THRUST_200600_302600_NS6detail15normal_iteratorINS9_10device_ptrIyEEEENS9_16discard_iteratorINS9_11use_defaultEEEy11max_functorIyEyEEDaPvRmT3_T4_T5_mT6_P12ihipStream_tbENKUlT_T0_E_clISt17integral_constantIbLb0EESX_EEDaSS_ST_EUlSS_E0_NS1_11comp_targetILNS1_3genE2ELNS1_11target_archE906ELNS1_3gpuE6ELNS1_3repE0EEENS1_30default_config_static_selectorELNS0_4arch9wavefront6targetE1EEEvT1_ ; -- Begin function _ZN7rocprim17ROCPRIM_400000_NS6detail17trampoline_kernelINS0_14default_configENS1_20scan_config_selectorIyEEZZNS1_9scan_implILNS1_25lookback_scan_determinismE0ELb1ELb1ES3_N6thrust23THRUST_200600_302600_NS6detail15normal_iteratorINS9_10device_ptrIyEEEENS9_16discard_iteratorINS9_11use_defaultEEEy11max_functorIyEyEEDaPvRmT3_T4_T5_mT6_P12ihipStream_tbENKUlT_T0_E_clISt17integral_constantIbLb0EESX_EEDaSS_ST_EUlSS_E0_NS1_11comp_targetILNS1_3genE2ELNS1_11target_archE906ELNS1_3gpuE6ELNS1_3repE0EEENS1_30default_config_static_selectorELNS0_4arch9wavefront6targetE1EEEvT1_
	.globl	_ZN7rocprim17ROCPRIM_400000_NS6detail17trampoline_kernelINS0_14default_configENS1_20scan_config_selectorIyEEZZNS1_9scan_implILNS1_25lookback_scan_determinismE0ELb1ELb1ES3_N6thrust23THRUST_200600_302600_NS6detail15normal_iteratorINS9_10device_ptrIyEEEENS9_16discard_iteratorINS9_11use_defaultEEEy11max_functorIyEyEEDaPvRmT3_T4_T5_mT6_P12ihipStream_tbENKUlT_T0_E_clISt17integral_constantIbLb0EESX_EEDaSS_ST_EUlSS_E0_NS1_11comp_targetILNS1_3genE2ELNS1_11target_archE906ELNS1_3gpuE6ELNS1_3repE0EEENS1_30default_config_static_selectorELNS0_4arch9wavefront6targetE1EEEvT1_
	.p2align	8
	.type	_ZN7rocprim17ROCPRIM_400000_NS6detail17trampoline_kernelINS0_14default_configENS1_20scan_config_selectorIyEEZZNS1_9scan_implILNS1_25lookback_scan_determinismE0ELb1ELb1ES3_N6thrust23THRUST_200600_302600_NS6detail15normal_iteratorINS9_10device_ptrIyEEEENS9_16discard_iteratorINS9_11use_defaultEEEy11max_functorIyEyEEDaPvRmT3_T4_T5_mT6_P12ihipStream_tbENKUlT_T0_E_clISt17integral_constantIbLb0EESX_EEDaSS_ST_EUlSS_E0_NS1_11comp_targetILNS1_3genE2ELNS1_11target_archE906ELNS1_3gpuE6ELNS1_3repE0EEENS1_30default_config_static_selectorELNS0_4arch9wavefront6targetE1EEEvT1_,@function
_ZN7rocprim17ROCPRIM_400000_NS6detail17trampoline_kernelINS0_14default_configENS1_20scan_config_selectorIyEEZZNS1_9scan_implILNS1_25lookback_scan_determinismE0ELb1ELb1ES3_N6thrust23THRUST_200600_302600_NS6detail15normal_iteratorINS9_10device_ptrIyEEEENS9_16discard_iteratorINS9_11use_defaultEEEy11max_functorIyEyEEDaPvRmT3_T4_T5_mT6_P12ihipStream_tbENKUlT_T0_E_clISt17integral_constantIbLb0EESX_EEDaSS_ST_EUlSS_E0_NS1_11comp_targetILNS1_3genE2ELNS1_11target_archE906ELNS1_3gpuE6ELNS1_3repE0EEENS1_30default_config_static_selectorELNS0_4arch9wavefront6targetE1EEEvT1_: ; @_ZN7rocprim17ROCPRIM_400000_NS6detail17trampoline_kernelINS0_14default_configENS1_20scan_config_selectorIyEEZZNS1_9scan_implILNS1_25lookback_scan_determinismE0ELb1ELb1ES3_N6thrust23THRUST_200600_302600_NS6detail15normal_iteratorINS9_10device_ptrIyEEEENS9_16discard_iteratorINS9_11use_defaultEEEy11max_functorIyEyEEDaPvRmT3_T4_T5_mT6_P12ihipStream_tbENKUlT_T0_E_clISt17integral_constantIbLb0EESX_EEDaSS_ST_EUlSS_E0_NS1_11comp_targetILNS1_3genE2ELNS1_11target_archE906ELNS1_3gpuE6ELNS1_3repE0EEENS1_30default_config_static_selectorELNS0_4arch9wavefront6targetE1EEEvT1_
; %bb.0:
	.section	.rodata,"a",@progbits
	.p2align	6, 0x0
	.amdhsa_kernel _ZN7rocprim17ROCPRIM_400000_NS6detail17trampoline_kernelINS0_14default_configENS1_20scan_config_selectorIyEEZZNS1_9scan_implILNS1_25lookback_scan_determinismE0ELb1ELb1ES3_N6thrust23THRUST_200600_302600_NS6detail15normal_iteratorINS9_10device_ptrIyEEEENS9_16discard_iteratorINS9_11use_defaultEEEy11max_functorIyEyEEDaPvRmT3_T4_T5_mT6_P12ihipStream_tbENKUlT_T0_E_clISt17integral_constantIbLb0EESX_EEDaSS_ST_EUlSS_E0_NS1_11comp_targetILNS1_3genE2ELNS1_11target_archE906ELNS1_3gpuE6ELNS1_3repE0EEENS1_30default_config_static_selectorELNS0_4arch9wavefront6targetE1EEEvT1_
		.amdhsa_group_segment_fixed_size 0
		.amdhsa_private_segment_fixed_size 0
		.amdhsa_kernarg_size 48
		.amdhsa_user_sgpr_count 6
		.amdhsa_user_sgpr_private_segment_buffer 1
		.amdhsa_user_sgpr_dispatch_ptr 0
		.amdhsa_user_sgpr_queue_ptr 0
		.amdhsa_user_sgpr_kernarg_segment_ptr 1
		.amdhsa_user_sgpr_dispatch_id 0
		.amdhsa_user_sgpr_flat_scratch_init 0
		.amdhsa_user_sgpr_kernarg_preload_length 0
		.amdhsa_user_sgpr_kernarg_preload_offset 0
		.amdhsa_user_sgpr_private_segment_size 0
		.amdhsa_uses_dynamic_stack 0
		.amdhsa_system_sgpr_private_segment_wavefront_offset 0
		.amdhsa_system_sgpr_workgroup_id_x 1
		.amdhsa_system_sgpr_workgroup_id_y 0
		.amdhsa_system_sgpr_workgroup_id_z 0
		.amdhsa_system_sgpr_workgroup_info 0
		.amdhsa_system_vgpr_workitem_id 0
		.amdhsa_next_free_vgpr 1
		.amdhsa_next_free_sgpr 0
		.amdhsa_accum_offset 4
		.amdhsa_reserve_vcc 0
		.amdhsa_reserve_flat_scratch 0
		.amdhsa_float_round_mode_32 0
		.amdhsa_float_round_mode_16_64 0
		.amdhsa_float_denorm_mode_32 3
		.amdhsa_float_denorm_mode_16_64 3
		.amdhsa_dx10_clamp 1
		.amdhsa_ieee_mode 1
		.amdhsa_fp16_overflow 0
		.amdhsa_tg_split 0
		.amdhsa_exception_fp_ieee_invalid_op 0
		.amdhsa_exception_fp_denorm_src 0
		.amdhsa_exception_fp_ieee_div_zero 0
		.amdhsa_exception_fp_ieee_overflow 0
		.amdhsa_exception_fp_ieee_underflow 0
		.amdhsa_exception_fp_ieee_inexact 0
		.amdhsa_exception_int_div_zero 0
	.end_amdhsa_kernel
	.section	.text._ZN7rocprim17ROCPRIM_400000_NS6detail17trampoline_kernelINS0_14default_configENS1_20scan_config_selectorIyEEZZNS1_9scan_implILNS1_25lookback_scan_determinismE0ELb1ELb1ES3_N6thrust23THRUST_200600_302600_NS6detail15normal_iteratorINS9_10device_ptrIyEEEENS9_16discard_iteratorINS9_11use_defaultEEEy11max_functorIyEyEEDaPvRmT3_T4_T5_mT6_P12ihipStream_tbENKUlT_T0_E_clISt17integral_constantIbLb0EESX_EEDaSS_ST_EUlSS_E0_NS1_11comp_targetILNS1_3genE2ELNS1_11target_archE906ELNS1_3gpuE6ELNS1_3repE0EEENS1_30default_config_static_selectorELNS0_4arch9wavefront6targetE1EEEvT1_,"axG",@progbits,_ZN7rocprim17ROCPRIM_400000_NS6detail17trampoline_kernelINS0_14default_configENS1_20scan_config_selectorIyEEZZNS1_9scan_implILNS1_25lookback_scan_determinismE0ELb1ELb1ES3_N6thrust23THRUST_200600_302600_NS6detail15normal_iteratorINS9_10device_ptrIyEEEENS9_16discard_iteratorINS9_11use_defaultEEEy11max_functorIyEyEEDaPvRmT3_T4_T5_mT6_P12ihipStream_tbENKUlT_T0_E_clISt17integral_constantIbLb0EESX_EEDaSS_ST_EUlSS_E0_NS1_11comp_targetILNS1_3genE2ELNS1_11target_archE906ELNS1_3gpuE6ELNS1_3repE0EEENS1_30default_config_static_selectorELNS0_4arch9wavefront6targetE1EEEvT1_,comdat
.Lfunc_end3363:
	.size	_ZN7rocprim17ROCPRIM_400000_NS6detail17trampoline_kernelINS0_14default_configENS1_20scan_config_selectorIyEEZZNS1_9scan_implILNS1_25lookback_scan_determinismE0ELb1ELb1ES3_N6thrust23THRUST_200600_302600_NS6detail15normal_iteratorINS9_10device_ptrIyEEEENS9_16discard_iteratorINS9_11use_defaultEEEy11max_functorIyEyEEDaPvRmT3_T4_T5_mT6_P12ihipStream_tbENKUlT_T0_E_clISt17integral_constantIbLb0EESX_EEDaSS_ST_EUlSS_E0_NS1_11comp_targetILNS1_3genE2ELNS1_11target_archE906ELNS1_3gpuE6ELNS1_3repE0EEENS1_30default_config_static_selectorELNS0_4arch9wavefront6targetE1EEEvT1_, .Lfunc_end3363-_ZN7rocprim17ROCPRIM_400000_NS6detail17trampoline_kernelINS0_14default_configENS1_20scan_config_selectorIyEEZZNS1_9scan_implILNS1_25lookback_scan_determinismE0ELb1ELb1ES3_N6thrust23THRUST_200600_302600_NS6detail15normal_iteratorINS9_10device_ptrIyEEEENS9_16discard_iteratorINS9_11use_defaultEEEy11max_functorIyEyEEDaPvRmT3_T4_T5_mT6_P12ihipStream_tbENKUlT_T0_E_clISt17integral_constantIbLb0EESX_EEDaSS_ST_EUlSS_E0_NS1_11comp_targetILNS1_3genE2ELNS1_11target_archE906ELNS1_3gpuE6ELNS1_3repE0EEENS1_30default_config_static_selectorELNS0_4arch9wavefront6targetE1EEEvT1_
                                        ; -- End function
	.section	.AMDGPU.csdata,"",@progbits
; Kernel info:
; codeLenInByte = 0
; NumSgprs: 4
; NumVgprs: 0
; NumAgprs: 0
; TotalNumVgprs: 0
; ScratchSize: 0
; MemoryBound: 0
; FloatMode: 240
; IeeeMode: 1
; LDSByteSize: 0 bytes/workgroup (compile time only)
; SGPRBlocks: 0
; VGPRBlocks: 0
; NumSGPRsForWavesPerEU: 4
; NumVGPRsForWavesPerEU: 1
; AccumOffset: 4
; Occupancy: 8
; WaveLimiterHint : 0
; COMPUTE_PGM_RSRC2:SCRATCH_EN: 0
; COMPUTE_PGM_RSRC2:USER_SGPR: 6
; COMPUTE_PGM_RSRC2:TRAP_HANDLER: 0
; COMPUTE_PGM_RSRC2:TGID_X_EN: 1
; COMPUTE_PGM_RSRC2:TGID_Y_EN: 0
; COMPUTE_PGM_RSRC2:TGID_Z_EN: 0
; COMPUTE_PGM_RSRC2:TIDIG_COMP_CNT: 0
; COMPUTE_PGM_RSRC3_GFX90A:ACCUM_OFFSET: 0
; COMPUTE_PGM_RSRC3_GFX90A:TG_SPLIT: 0
	.section	.text._ZN7rocprim17ROCPRIM_400000_NS6detail17trampoline_kernelINS0_14default_configENS1_20scan_config_selectorIyEEZZNS1_9scan_implILNS1_25lookback_scan_determinismE0ELb1ELb1ES3_N6thrust23THRUST_200600_302600_NS6detail15normal_iteratorINS9_10device_ptrIyEEEENS9_16discard_iteratorINS9_11use_defaultEEEy11max_functorIyEyEEDaPvRmT3_T4_T5_mT6_P12ihipStream_tbENKUlT_T0_E_clISt17integral_constantIbLb0EESX_EEDaSS_ST_EUlSS_E0_NS1_11comp_targetILNS1_3genE10ELNS1_11target_archE1201ELNS1_3gpuE5ELNS1_3repE0EEENS1_30default_config_static_selectorELNS0_4arch9wavefront6targetE1EEEvT1_,"axG",@progbits,_ZN7rocprim17ROCPRIM_400000_NS6detail17trampoline_kernelINS0_14default_configENS1_20scan_config_selectorIyEEZZNS1_9scan_implILNS1_25lookback_scan_determinismE0ELb1ELb1ES3_N6thrust23THRUST_200600_302600_NS6detail15normal_iteratorINS9_10device_ptrIyEEEENS9_16discard_iteratorINS9_11use_defaultEEEy11max_functorIyEyEEDaPvRmT3_T4_T5_mT6_P12ihipStream_tbENKUlT_T0_E_clISt17integral_constantIbLb0EESX_EEDaSS_ST_EUlSS_E0_NS1_11comp_targetILNS1_3genE10ELNS1_11target_archE1201ELNS1_3gpuE5ELNS1_3repE0EEENS1_30default_config_static_selectorELNS0_4arch9wavefront6targetE1EEEvT1_,comdat
	.protected	_ZN7rocprim17ROCPRIM_400000_NS6detail17trampoline_kernelINS0_14default_configENS1_20scan_config_selectorIyEEZZNS1_9scan_implILNS1_25lookback_scan_determinismE0ELb1ELb1ES3_N6thrust23THRUST_200600_302600_NS6detail15normal_iteratorINS9_10device_ptrIyEEEENS9_16discard_iteratorINS9_11use_defaultEEEy11max_functorIyEyEEDaPvRmT3_T4_T5_mT6_P12ihipStream_tbENKUlT_T0_E_clISt17integral_constantIbLb0EESX_EEDaSS_ST_EUlSS_E0_NS1_11comp_targetILNS1_3genE10ELNS1_11target_archE1201ELNS1_3gpuE5ELNS1_3repE0EEENS1_30default_config_static_selectorELNS0_4arch9wavefront6targetE1EEEvT1_ ; -- Begin function _ZN7rocprim17ROCPRIM_400000_NS6detail17trampoline_kernelINS0_14default_configENS1_20scan_config_selectorIyEEZZNS1_9scan_implILNS1_25lookback_scan_determinismE0ELb1ELb1ES3_N6thrust23THRUST_200600_302600_NS6detail15normal_iteratorINS9_10device_ptrIyEEEENS9_16discard_iteratorINS9_11use_defaultEEEy11max_functorIyEyEEDaPvRmT3_T4_T5_mT6_P12ihipStream_tbENKUlT_T0_E_clISt17integral_constantIbLb0EESX_EEDaSS_ST_EUlSS_E0_NS1_11comp_targetILNS1_3genE10ELNS1_11target_archE1201ELNS1_3gpuE5ELNS1_3repE0EEENS1_30default_config_static_selectorELNS0_4arch9wavefront6targetE1EEEvT1_
	.globl	_ZN7rocprim17ROCPRIM_400000_NS6detail17trampoline_kernelINS0_14default_configENS1_20scan_config_selectorIyEEZZNS1_9scan_implILNS1_25lookback_scan_determinismE0ELb1ELb1ES3_N6thrust23THRUST_200600_302600_NS6detail15normal_iteratorINS9_10device_ptrIyEEEENS9_16discard_iteratorINS9_11use_defaultEEEy11max_functorIyEyEEDaPvRmT3_T4_T5_mT6_P12ihipStream_tbENKUlT_T0_E_clISt17integral_constantIbLb0EESX_EEDaSS_ST_EUlSS_E0_NS1_11comp_targetILNS1_3genE10ELNS1_11target_archE1201ELNS1_3gpuE5ELNS1_3repE0EEENS1_30default_config_static_selectorELNS0_4arch9wavefront6targetE1EEEvT1_
	.p2align	8
	.type	_ZN7rocprim17ROCPRIM_400000_NS6detail17trampoline_kernelINS0_14default_configENS1_20scan_config_selectorIyEEZZNS1_9scan_implILNS1_25lookback_scan_determinismE0ELb1ELb1ES3_N6thrust23THRUST_200600_302600_NS6detail15normal_iteratorINS9_10device_ptrIyEEEENS9_16discard_iteratorINS9_11use_defaultEEEy11max_functorIyEyEEDaPvRmT3_T4_T5_mT6_P12ihipStream_tbENKUlT_T0_E_clISt17integral_constantIbLb0EESX_EEDaSS_ST_EUlSS_E0_NS1_11comp_targetILNS1_3genE10ELNS1_11target_archE1201ELNS1_3gpuE5ELNS1_3repE0EEENS1_30default_config_static_selectorELNS0_4arch9wavefront6targetE1EEEvT1_,@function
_ZN7rocprim17ROCPRIM_400000_NS6detail17trampoline_kernelINS0_14default_configENS1_20scan_config_selectorIyEEZZNS1_9scan_implILNS1_25lookback_scan_determinismE0ELb1ELb1ES3_N6thrust23THRUST_200600_302600_NS6detail15normal_iteratorINS9_10device_ptrIyEEEENS9_16discard_iteratorINS9_11use_defaultEEEy11max_functorIyEyEEDaPvRmT3_T4_T5_mT6_P12ihipStream_tbENKUlT_T0_E_clISt17integral_constantIbLb0EESX_EEDaSS_ST_EUlSS_E0_NS1_11comp_targetILNS1_3genE10ELNS1_11target_archE1201ELNS1_3gpuE5ELNS1_3repE0EEENS1_30default_config_static_selectorELNS0_4arch9wavefront6targetE1EEEvT1_: ; @_ZN7rocprim17ROCPRIM_400000_NS6detail17trampoline_kernelINS0_14default_configENS1_20scan_config_selectorIyEEZZNS1_9scan_implILNS1_25lookback_scan_determinismE0ELb1ELb1ES3_N6thrust23THRUST_200600_302600_NS6detail15normal_iteratorINS9_10device_ptrIyEEEENS9_16discard_iteratorINS9_11use_defaultEEEy11max_functorIyEyEEDaPvRmT3_T4_T5_mT6_P12ihipStream_tbENKUlT_T0_E_clISt17integral_constantIbLb0EESX_EEDaSS_ST_EUlSS_E0_NS1_11comp_targetILNS1_3genE10ELNS1_11target_archE1201ELNS1_3gpuE5ELNS1_3repE0EEENS1_30default_config_static_selectorELNS0_4arch9wavefront6targetE1EEEvT1_
; %bb.0:
	.section	.rodata,"a",@progbits
	.p2align	6, 0x0
	.amdhsa_kernel _ZN7rocprim17ROCPRIM_400000_NS6detail17trampoline_kernelINS0_14default_configENS1_20scan_config_selectorIyEEZZNS1_9scan_implILNS1_25lookback_scan_determinismE0ELb1ELb1ES3_N6thrust23THRUST_200600_302600_NS6detail15normal_iteratorINS9_10device_ptrIyEEEENS9_16discard_iteratorINS9_11use_defaultEEEy11max_functorIyEyEEDaPvRmT3_T4_T5_mT6_P12ihipStream_tbENKUlT_T0_E_clISt17integral_constantIbLb0EESX_EEDaSS_ST_EUlSS_E0_NS1_11comp_targetILNS1_3genE10ELNS1_11target_archE1201ELNS1_3gpuE5ELNS1_3repE0EEENS1_30default_config_static_selectorELNS0_4arch9wavefront6targetE1EEEvT1_
		.amdhsa_group_segment_fixed_size 0
		.amdhsa_private_segment_fixed_size 0
		.amdhsa_kernarg_size 48
		.amdhsa_user_sgpr_count 6
		.amdhsa_user_sgpr_private_segment_buffer 1
		.amdhsa_user_sgpr_dispatch_ptr 0
		.amdhsa_user_sgpr_queue_ptr 0
		.amdhsa_user_sgpr_kernarg_segment_ptr 1
		.amdhsa_user_sgpr_dispatch_id 0
		.amdhsa_user_sgpr_flat_scratch_init 0
		.amdhsa_user_sgpr_kernarg_preload_length 0
		.amdhsa_user_sgpr_kernarg_preload_offset 0
		.amdhsa_user_sgpr_private_segment_size 0
		.amdhsa_uses_dynamic_stack 0
		.amdhsa_system_sgpr_private_segment_wavefront_offset 0
		.amdhsa_system_sgpr_workgroup_id_x 1
		.amdhsa_system_sgpr_workgroup_id_y 0
		.amdhsa_system_sgpr_workgroup_id_z 0
		.amdhsa_system_sgpr_workgroup_info 0
		.amdhsa_system_vgpr_workitem_id 0
		.amdhsa_next_free_vgpr 1
		.amdhsa_next_free_sgpr 0
		.amdhsa_accum_offset 4
		.amdhsa_reserve_vcc 0
		.amdhsa_reserve_flat_scratch 0
		.amdhsa_float_round_mode_32 0
		.amdhsa_float_round_mode_16_64 0
		.amdhsa_float_denorm_mode_32 3
		.amdhsa_float_denorm_mode_16_64 3
		.amdhsa_dx10_clamp 1
		.amdhsa_ieee_mode 1
		.amdhsa_fp16_overflow 0
		.amdhsa_tg_split 0
		.amdhsa_exception_fp_ieee_invalid_op 0
		.amdhsa_exception_fp_denorm_src 0
		.amdhsa_exception_fp_ieee_div_zero 0
		.amdhsa_exception_fp_ieee_overflow 0
		.amdhsa_exception_fp_ieee_underflow 0
		.amdhsa_exception_fp_ieee_inexact 0
		.amdhsa_exception_int_div_zero 0
	.end_amdhsa_kernel
	.section	.text._ZN7rocprim17ROCPRIM_400000_NS6detail17trampoline_kernelINS0_14default_configENS1_20scan_config_selectorIyEEZZNS1_9scan_implILNS1_25lookback_scan_determinismE0ELb1ELb1ES3_N6thrust23THRUST_200600_302600_NS6detail15normal_iteratorINS9_10device_ptrIyEEEENS9_16discard_iteratorINS9_11use_defaultEEEy11max_functorIyEyEEDaPvRmT3_T4_T5_mT6_P12ihipStream_tbENKUlT_T0_E_clISt17integral_constantIbLb0EESX_EEDaSS_ST_EUlSS_E0_NS1_11comp_targetILNS1_3genE10ELNS1_11target_archE1201ELNS1_3gpuE5ELNS1_3repE0EEENS1_30default_config_static_selectorELNS0_4arch9wavefront6targetE1EEEvT1_,"axG",@progbits,_ZN7rocprim17ROCPRIM_400000_NS6detail17trampoline_kernelINS0_14default_configENS1_20scan_config_selectorIyEEZZNS1_9scan_implILNS1_25lookback_scan_determinismE0ELb1ELb1ES3_N6thrust23THRUST_200600_302600_NS6detail15normal_iteratorINS9_10device_ptrIyEEEENS9_16discard_iteratorINS9_11use_defaultEEEy11max_functorIyEyEEDaPvRmT3_T4_T5_mT6_P12ihipStream_tbENKUlT_T0_E_clISt17integral_constantIbLb0EESX_EEDaSS_ST_EUlSS_E0_NS1_11comp_targetILNS1_3genE10ELNS1_11target_archE1201ELNS1_3gpuE5ELNS1_3repE0EEENS1_30default_config_static_selectorELNS0_4arch9wavefront6targetE1EEEvT1_,comdat
.Lfunc_end3364:
	.size	_ZN7rocprim17ROCPRIM_400000_NS6detail17trampoline_kernelINS0_14default_configENS1_20scan_config_selectorIyEEZZNS1_9scan_implILNS1_25lookback_scan_determinismE0ELb1ELb1ES3_N6thrust23THRUST_200600_302600_NS6detail15normal_iteratorINS9_10device_ptrIyEEEENS9_16discard_iteratorINS9_11use_defaultEEEy11max_functorIyEyEEDaPvRmT3_T4_T5_mT6_P12ihipStream_tbENKUlT_T0_E_clISt17integral_constantIbLb0EESX_EEDaSS_ST_EUlSS_E0_NS1_11comp_targetILNS1_3genE10ELNS1_11target_archE1201ELNS1_3gpuE5ELNS1_3repE0EEENS1_30default_config_static_selectorELNS0_4arch9wavefront6targetE1EEEvT1_, .Lfunc_end3364-_ZN7rocprim17ROCPRIM_400000_NS6detail17trampoline_kernelINS0_14default_configENS1_20scan_config_selectorIyEEZZNS1_9scan_implILNS1_25lookback_scan_determinismE0ELb1ELb1ES3_N6thrust23THRUST_200600_302600_NS6detail15normal_iteratorINS9_10device_ptrIyEEEENS9_16discard_iteratorINS9_11use_defaultEEEy11max_functorIyEyEEDaPvRmT3_T4_T5_mT6_P12ihipStream_tbENKUlT_T0_E_clISt17integral_constantIbLb0EESX_EEDaSS_ST_EUlSS_E0_NS1_11comp_targetILNS1_3genE10ELNS1_11target_archE1201ELNS1_3gpuE5ELNS1_3repE0EEENS1_30default_config_static_selectorELNS0_4arch9wavefront6targetE1EEEvT1_
                                        ; -- End function
	.section	.AMDGPU.csdata,"",@progbits
; Kernel info:
; codeLenInByte = 0
; NumSgprs: 4
; NumVgprs: 0
; NumAgprs: 0
; TotalNumVgprs: 0
; ScratchSize: 0
; MemoryBound: 0
; FloatMode: 240
; IeeeMode: 1
; LDSByteSize: 0 bytes/workgroup (compile time only)
; SGPRBlocks: 0
; VGPRBlocks: 0
; NumSGPRsForWavesPerEU: 4
; NumVGPRsForWavesPerEU: 1
; AccumOffset: 4
; Occupancy: 8
; WaveLimiterHint : 0
; COMPUTE_PGM_RSRC2:SCRATCH_EN: 0
; COMPUTE_PGM_RSRC2:USER_SGPR: 6
; COMPUTE_PGM_RSRC2:TRAP_HANDLER: 0
; COMPUTE_PGM_RSRC2:TGID_X_EN: 1
; COMPUTE_PGM_RSRC2:TGID_Y_EN: 0
; COMPUTE_PGM_RSRC2:TGID_Z_EN: 0
; COMPUTE_PGM_RSRC2:TIDIG_COMP_CNT: 0
; COMPUTE_PGM_RSRC3_GFX90A:ACCUM_OFFSET: 0
; COMPUTE_PGM_RSRC3_GFX90A:TG_SPLIT: 0
	.section	.text._ZN7rocprim17ROCPRIM_400000_NS6detail17trampoline_kernelINS0_14default_configENS1_20scan_config_selectorIyEEZZNS1_9scan_implILNS1_25lookback_scan_determinismE0ELb1ELb1ES3_N6thrust23THRUST_200600_302600_NS6detail15normal_iteratorINS9_10device_ptrIyEEEENS9_16discard_iteratorINS9_11use_defaultEEEy11max_functorIyEyEEDaPvRmT3_T4_T5_mT6_P12ihipStream_tbENKUlT_T0_E_clISt17integral_constantIbLb0EESX_EEDaSS_ST_EUlSS_E0_NS1_11comp_targetILNS1_3genE10ELNS1_11target_archE1200ELNS1_3gpuE4ELNS1_3repE0EEENS1_30default_config_static_selectorELNS0_4arch9wavefront6targetE1EEEvT1_,"axG",@progbits,_ZN7rocprim17ROCPRIM_400000_NS6detail17trampoline_kernelINS0_14default_configENS1_20scan_config_selectorIyEEZZNS1_9scan_implILNS1_25lookback_scan_determinismE0ELb1ELb1ES3_N6thrust23THRUST_200600_302600_NS6detail15normal_iteratorINS9_10device_ptrIyEEEENS9_16discard_iteratorINS9_11use_defaultEEEy11max_functorIyEyEEDaPvRmT3_T4_T5_mT6_P12ihipStream_tbENKUlT_T0_E_clISt17integral_constantIbLb0EESX_EEDaSS_ST_EUlSS_E0_NS1_11comp_targetILNS1_3genE10ELNS1_11target_archE1200ELNS1_3gpuE4ELNS1_3repE0EEENS1_30default_config_static_selectorELNS0_4arch9wavefront6targetE1EEEvT1_,comdat
	.protected	_ZN7rocprim17ROCPRIM_400000_NS6detail17trampoline_kernelINS0_14default_configENS1_20scan_config_selectorIyEEZZNS1_9scan_implILNS1_25lookback_scan_determinismE0ELb1ELb1ES3_N6thrust23THRUST_200600_302600_NS6detail15normal_iteratorINS9_10device_ptrIyEEEENS9_16discard_iteratorINS9_11use_defaultEEEy11max_functorIyEyEEDaPvRmT3_T4_T5_mT6_P12ihipStream_tbENKUlT_T0_E_clISt17integral_constantIbLb0EESX_EEDaSS_ST_EUlSS_E0_NS1_11comp_targetILNS1_3genE10ELNS1_11target_archE1200ELNS1_3gpuE4ELNS1_3repE0EEENS1_30default_config_static_selectorELNS0_4arch9wavefront6targetE1EEEvT1_ ; -- Begin function _ZN7rocprim17ROCPRIM_400000_NS6detail17trampoline_kernelINS0_14default_configENS1_20scan_config_selectorIyEEZZNS1_9scan_implILNS1_25lookback_scan_determinismE0ELb1ELb1ES3_N6thrust23THRUST_200600_302600_NS6detail15normal_iteratorINS9_10device_ptrIyEEEENS9_16discard_iteratorINS9_11use_defaultEEEy11max_functorIyEyEEDaPvRmT3_T4_T5_mT6_P12ihipStream_tbENKUlT_T0_E_clISt17integral_constantIbLb0EESX_EEDaSS_ST_EUlSS_E0_NS1_11comp_targetILNS1_3genE10ELNS1_11target_archE1200ELNS1_3gpuE4ELNS1_3repE0EEENS1_30default_config_static_selectorELNS0_4arch9wavefront6targetE1EEEvT1_
	.globl	_ZN7rocprim17ROCPRIM_400000_NS6detail17trampoline_kernelINS0_14default_configENS1_20scan_config_selectorIyEEZZNS1_9scan_implILNS1_25lookback_scan_determinismE0ELb1ELb1ES3_N6thrust23THRUST_200600_302600_NS6detail15normal_iteratorINS9_10device_ptrIyEEEENS9_16discard_iteratorINS9_11use_defaultEEEy11max_functorIyEyEEDaPvRmT3_T4_T5_mT6_P12ihipStream_tbENKUlT_T0_E_clISt17integral_constantIbLb0EESX_EEDaSS_ST_EUlSS_E0_NS1_11comp_targetILNS1_3genE10ELNS1_11target_archE1200ELNS1_3gpuE4ELNS1_3repE0EEENS1_30default_config_static_selectorELNS0_4arch9wavefront6targetE1EEEvT1_
	.p2align	8
	.type	_ZN7rocprim17ROCPRIM_400000_NS6detail17trampoline_kernelINS0_14default_configENS1_20scan_config_selectorIyEEZZNS1_9scan_implILNS1_25lookback_scan_determinismE0ELb1ELb1ES3_N6thrust23THRUST_200600_302600_NS6detail15normal_iteratorINS9_10device_ptrIyEEEENS9_16discard_iteratorINS9_11use_defaultEEEy11max_functorIyEyEEDaPvRmT3_T4_T5_mT6_P12ihipStream_tbENKUlT_T0_E_clISt17integral_constantIbLb0EESX_EEDaSS_ST_EUlSS_E0_NS1_11comp_targetILNS1_3genE10ELNS1_11target_archE1200ELNS1_3gpuE4ELNS1_3repE0EEENS1_30default_config_static_selectorELNS0_4arch9wavefront6targetE1EEEvT1_,@function
_ZN7rocprim17ROCPRIM_400000_NS6detail17trampoline_kernelINS0_14default_configENS1_20scan_config_selectorIyEEZZNS1_9scan_implILNS1_25lookback_scan_determinismE0ELb1ELb1ES3_N6thrust23THRUST_200600_302600_NS6detail15normal_iteratorINS9_10device_ptrIyEEEENS9_16discard_iteratorINS9_11use_defaultEEEy11max_functorIyEyEEDaPvRmT3_T4_T5_mT6_P12ihipStream_tbENKUlT_T0_E_clISt17integral_constantIbLb0EESX_EEDaSS_ST_EUlSS_E0_NS1_11comp_targetILNS1_3genE10ELNS1_11target_archE1200ELNS1_3gpuE4ELNS1_3repE0EEENS1_30default_config_static_selectorELNS0_4arch9wavefront6targetE1EEEvT1_: ; @_ZN7rocprim17ROCPRIM_400000_NS6detail17trampoline_kernelINS0_14default_configENS1_20scan_config_selectorIyEEZZNS1_9scan_implILNS1_25lookback_scan_determinismE0ELb1ELb1ES3_N6thrust23THRUST_200600_302600_NS6detail15normal_iteratorINS9_10device_ptrIyEEEENS9_16discard_iteratorINS9_11use_defaultEEEy11max_functorIyEyEEDaPvRmT3_T4_T5_mT6_P12ihipStream_tbENKUlT_T0_E_clISt17integral_constantIbLb0EESX_EEDaSS_ST_EUlSS_E0_NS1_11comp_targetILNS1_3genE10ELNS1_11target_archE1200ELNS1_3gpuE4ELNS1_3repE0EEENS1_30default_config_static_selectorELNS0_4arch9wavefront6targetE1EEEvT1_
; %bb.0:
	.section	.rodata,"a",@progbits
	.p2align	6, 0x0
	.amdhsa_kernel _ZN7rocprim17ROCPRIM_400000_NS6detail17trampoline_kernelINS0_14default_configENS1_20scan_config_selectorIyEEZZNS1_9scan_implILNS1_25lookback_scan_determinismE0ELb1ELb1ES3_N6thrust23THRUST_200600_302600_NS6detail15normal_iteratorINS9_10device_ptrIyEEEENS9_16discard_iteratorINS9_11use_defaultEEEy11max_functorIyEyEEDaPvRmT3_T4_T5_mT6_P12ihipStream_tbENKUlT_T0_E_clISt17integral_constantIbLb0EESX_EEDaSS_ST_EUlSS_E0_NS1_11comp_targetILNS1_3genE10ELNS1_11target_archE1200ELNS1_3gpuE4ELNS1_3repE0EEENS1_30default_config_static_selectorELNS0_4arch9wavefront6targetE1EEEvT1_
		.amdhsa_group_segment_fixed_size 0
		.amdhsa_private_segment_fixed_size 0
		.amdhsa_kernarg_size 48
		.amdhsa_user_sgpr_count 6
		.amdhsa_user_sgpr_private_segment_buffer 1
		.amdhsa_user_sgpr_dispatch_ptr 0
		.amdhsa_user_sgpr_queue_ptr 0
		.amdhsa_user_sgpr_kernarg_segment_ptr 1
		.amdhsa_user_sgpr_dispatch_id 0
		.amdhsa_user_sgpr_flat_scratch_init 0
		.amdhsa_user_sgpr_kernarg_preload_length 0
		.amdhsa_user_sgpr_kernarg_preload_offset 0
		.amdhsa_user_sgpr_private_segment_size 0
		.amdhsa_uses_dynamic_stack 0
		.amdhsa_system_sgpr_private_segment_wavefront_offset 0
		.amdhsa_system_sgpr_workgroup_id_x 1
		.amdhsa_system_sgpr_workgroup_id_y 0
		.amdhsa_system_sgpr_workgroup_id_z 0
		.amdhsa_system_sgpr_workgroup_info 0
		.amdhsa_system_vgpr_workitem_id 0
		.amdhsa_next_free_vgpr 1
		.amdhsa_next_free_sgpr 0
		.amdhsa_accum_offset 4
		.amdhsa_reserve_vcc 0
		.amdhsa_reserve_flat_scratch 0
		.amdhsa_float_round_mode_32 0
		.amdhsa_float_round_mode_16_64 0
		.amdhsa_float_denorm_mode_32 3
		.amdhsa_float_denorm_mode_16_64 3
		.amdhsa_dx10_clamp 1
		.amdhsa_ieee_mode 1
		.amdhsa_fp16_overflow 0
		.amdhsa_tg_split 0
		.amdhsa_exception_fp_ieee_invalid_op 0
		.amdhsa_exception_fp_denorm_src 0
		.amdhsa_exception_fp_ieee_div_zero 0
		.amdhsa_exception_fp_ieee_overflow 0
		.amdhsa_exception_fp_ieee_underflow 0
		.amdhsa_exception_fp_ieee_inexact 0
		.amdhsa_exception_int_div_zero 0
	.end_amdhsa_kernel
	.section	.text._ZN7rocprim17ROCPRIM_400000_NS6detail17trampoline_kernelINS0_14default_configENS1_20scan_config_selectorIyEEZZNS1_9scan_implILNS1_25lookback_scan_determinismE0ELb1ELb1ES3_N6thrust23THRUST_200600_302600_NS6detail15normal_iteratorINS9_10device_ptrIyEEEENS9_16discard_iteratorINS9_11use_defaultEEEy11max_functorIyEyEEDaPvRmT3_T4_T5_mT6_P12ihipStream_tbENKUlT_T0_E_clISt17integral_constantIbLb0EESX_EEDaSS_ST_EUlSS_E0_NS1_11comp_targetILNS1_3genE10ELNS1_11target_archE1200ELNS1_3gpuE4ELNS1_3repE0EEENS1_30default_config_static_selectorELNS0_4arch9wavefront6targetE1EEEvT1_,"axG",@progbits,_ZN7rocprim17ROCPRIM_400000_NS6detail17trampoline_kernelINS0_14default_configENS1_20scan_config_selectorIyEEZZNS1_9scan_implILNS1_25lookback_scan_determinismE0ELb1ELb1ES3_N6thrust23THRUST_200600_302600_NS6detail15normal_iteratorINS9_10device_ptrIyEEEENS9_16discard_iteratorINS9_11use_defaultEEEy11max_functorIyEyEEDaPvRmT3_T4_T5_mT6_P12ihipStream_tbENKUlT_T0_E_clISt17integral_constantIbLb0EESX_EEDaSS_ST_EUlSS_E0_NS1_11comp_targetILNS1_3genE10ELNS1_11target_archE1200ELNS1_3gpuE4ELNS1_3repE0EEENS1_30default_config_static_selectorELNS0_4arch9wavefront6targetE1EEEvT1_,comdat
.Lfunc_end3365:
	.size	_ZN7rocprim17ROCPRIM_400000_NS6detail17trampoline_kernelINS0_14default_configENS1_20scan_config_selectorIyEEZZNS1_9scan_implILNS1_25lookback_scan_determinismE0ELb1ELb1ES3_N6thrust23THRUST_200600_302600_NS6detail15normal_iteratorINS9_10device_ptrIyEEEENS9_16discard_iteratorINS9_11use_defaultEEEy11max_functorIyEyEEDaPvRmT3_T4_T5_mT6_P12ihipStream_tbENKUlT_T0_E_clISt17integral_constantIbLb0EESX_EEDaSS_ST_EUlSS_E0_NS1_11comp_targetILNS1_3genE10ELNS1_11target_archE1200ELNS1_3gpuE4ELNS1_3repE0EEENS1_30default_config_static_selectorELNS0_4arch9wavefront6targetE1EEEvT1_, .Lfunc_end3365-_ZN7rocprim17ROCPRIM_400000_NS6detail17trampoline_kernelINS0_14default_configENS1_20scan_config_selectorIyEEZZNS1_9scan_implILNS1_25lookback_scan_determinismE0ELb1ELb1ES3_N6thrust23THRUST_200600_302600_NS6detail15normal_iteratorINS9_10device_ptrIyEEEENS9_16discard_iteratorINS9_11use_defaultEEEy11max_functorIyEyEEDaPvRmT3_T4_T5_mT6_P12ihipStream_tbENKUlT_T0_E_clISt17integral_constantIbLb0EESX_EEDaSS_ST_EUlSS_E0_NS1_11comp_targetILNS1_3genE10ELNS1_11target_archE1200ELNS1_3gpuE4ELNS1_3repE0EEENS1_30default_config_static_selectorELNS0_4arch9wavefront6targetE1EEEvT1_
                                        ; -- End function
	.section	.AMDGPU.csdata,"",@progbits
; Kernel info:
; codeLenInByte = 0
; NumSgprs: 4
; NumVgprs: 0
; NumAgprs: 0
; TotalNumVgprs: 0
; ScratchSize: 0
; MemoryBound: 0
; FloatMode: 240
; IeeeMode: 1
; LDSByteSize: 0 bytes/workgroup (compile time only)
; SGPRBlocks: 0
; VGPRBlocks: 0
; NumSGPRsForWavesPerEU: 4
; NumVGPRsForWavesPerEU: 1
; AccumOffset: 4
; Occupancy: 8
; WaveLimiterHint : 0
; COMPUTE_PGM_RSRC2:SCRATCH_EN: 0
; COMPUTE_PGM_RSRC2:USER_SGPR: 6
; COMPUTE_PGM_RSRC2:TRAP_HANDLER: 0
; COMPUTE_PGM_RSRC2:TGID_X_EN: 1
; COMPUTE_PGM_RSRC2:TGID_Y_EN: 0
; COMPUTE_PGM_RSRC2:TGID_Z_EN: 0
; COMPUTE_PGM_RSRC2:TIDIG_COMP_CNT: 0
; COMPUTE_PGM_RSRC3_GFX90A:ACCUM_OFFSET: 0
; COMPUTE_PGM_RSRC3_GFX90A:TG_SPLIT: 0
	.section	.text._ZN7rocprim17ROCPRIM_400000_NS6detail17trampoline_kernelINS0_14default_configENS1_20scan_config_selectorIyEEZZNS1_9scan_implILNS1_25lookback_scan_determinismE0ELb1ELb1ES3_N6thrust23THRUST_200600_302600_NS6detail15normal_iteratorINS9_10device_ptrIyEEEENS9_16discard_iteratorINS9_11use_defaultEEEy11max_functorIyEyEEDaPvRmT3_T4_T5_mT6_P12ihipStream_tbENKUlT_T0_E_clISt17integral_constantIbLb0EESX_EEDaSS_ST_EUlSS_E0_NS1_11comp_targetILNS1_3genE9ELNS1_11target_archE1100ELNS1_3gpuE3ELNS1_3repE0EEENS1_30default_config_static_selectorELNS0_4arch9wavefront6targetE1EEEvT1_,"axG",@progbits,_ZN7rocprim17ROCPRIM_400000_NS6detail17trampoline_kernelINS0_14default_configENS1_20scan_config_selectorIyEEZZNS1_9scan_implILNS1_25lookback_scan_determinismE0ELb1ELb1ES3_N6thrust23THRUST_200600_302600_NS6detail15normal_iteratorINS9_10device_ptrIyEEEENS9_16discard_iteratorINS9_11use_defaultEEEy11max_functorIyEyEEDaPvRmT3_T4_T5_mT6_P12ihipStream_tbENKUlT_T0_E_clISt17integral_constantIbLb0EESX_EEDaSS_ST_EUlSS_E0_NS1_11comp_targetILNS1_3genE9ELNS1_11target_archE1100ELNS1_3gpuE3ELNS1_3repE0EEENS1_30default_config_static_selectorELNS0_4arch9wavefront6targetE1EEEvT1_,comdat
	.protected	_ZN7rocprim17ROCPRIM_400000_NS6detail17trampoline_kernelINS0_14default_configENS1_20scan_config_selectorIyEEZZNS1_9scan_implILNS1_25lookback_scan_determinismE0ELb1ELb1ES3_N6thrust23THRUST_200600_302600_NS6detail15normal_iteratorINS9_10device_ptrIyEEEENS9_16discard_iteratorINS9_11use_defaultEEEy11max_functorIyEyEEDaPvRmT3_T4_T5_mT6_P12ihipStream_tbENKUlT_T0_E_clISt17integral_constantIbLb0EESX_EEDaSS_ST_EUlSS_E0_NS1_11comp_targetILNS1_3genE9ELNS1_11target_archE1100ELNS1_3gpuE3ELNS1_3repE0EEENS1_30default_config_static_selectorELNS0_4arch9wavefront6targetE1EEEvT1_ ; -- Begin function _ZN7rocprim17ROCPRIM_400000_NS6detail17trampoline_kernelINS0_14default_configENS1_20scan_config_selectorIyEEZZNS1_9scan_implILNS1_25lookback_scan_determinismE0ELb1ELb1ES3_N6thrust23THRUST_200600_302600_NS6detail15normal_iteratorINS9_10device_ptrIyEEEENS9_16discard_iteratorINS9_11use_defaultEEEy11max_functorIyEyEEDaPvRmT3_T4_T5_mT6_P12ihipStream_tbENKUlT_T0_E_clISt17integral_constantIbLb0EESX_EEDaSS_ST_EUlSS_E0_NS1_11comp_targetILNS1_3genE9ELNS1_11target_archE1100ELNS1_3gpuE3ELNS1_3repE0EEENS1_30default_config_static_selectorELNS0_4arch9wavefront6targetE1EEEvT1_
	.globl	_ZN7rocprim17ROCPRIM_400000_NS6detail17trampoline_kernelINS0_14default_configENS1_20scan_config_selectorIyEEZZNS1_9scan_implILNS1_25lookback_scan_determinismE0ELb1ELb1ES3_N6thrust23THRUST_200600_302600_NS6detail15normal_iteratorINS9_10device_ptrIyEEEENS9_16discard_iteratorINS9_11use_defaultEEEy11max_functorIyEyEEDaPvRmT3_T4_T5_mT6_P12ihipStream_tbENKUlT_T0_E_clISt17integral_constantIbLb0EESX_EEDaSS_ST_EUlSS_E0_NS1_11comp_targetILNS1_3genE9ELNS1_11target_archE1100ELNS1_3gpuE3ELNS1_3repE0EEENS1_30default_config_static_selectorELNS0_4arch9wavefront6targetE1EEEvT1_
	.p2align	8
	.type	_ZN7rocprim17ROCPRIM_400000_NS6detail17trampoline_kernelINS0_14default_configENS1_20scan_config_selectorIyEEZZNS1_9scan_implILNS1_25lookback_scan_determinismE0ELb1ELb1ES3_N6thrust23THRUST_200600_302600_NS6detail15normal_iteratorINS9_10device_ptrIyEEEENS9_16discard_iteratorINS9_11use_defaultEEEy11max_functorIyEyEEDaPvRmT3_T4_T5_mT6_P12ihipStream_tbENKUlT_T0_E_clISt17integral_constantIbLb0EESX_EEDaSS_ST_EUlSS_E0_NS1_11comp_targetILNS1_3genE9ELNS1_11target_archE1100ELNS1_3gpuE3ELNS1_3repE0EEENS1_30default_config_static_selectorELNS0_4arch9wavefront6targetE1EEEvT1_,@function
_ZN7rocprim17ROCPRIM_400000_NS6detail17trampoline_kernelINS0_14default_configENS1_20scan_config_selectorIyEEZZNS1_9scan_implILNS1_25lookback_scan_determinismE0ELb1ELb1ES3_N6thrust23THRUST_200600_302600_NS6detail15normal_iteratorINS9_10device_ptrIyEEEENS9_16discard_iteratorINS9_11use_defaultEEEy11max_functorIyEyEEDaPvRmT3_T4_T5_mT6_P12ihipStream_tbENKUlT_T0_E_clISt17integral_constantIbLb0EESX_EEDaSS_ST_EUlSS_E0_NS1_11comp_targetILNS1_3genE9ELNS1_11target_archE1100ELNS1_3gpuE3ELNS1_3repE0EEENS1_30default_config_static_selectorELNS0_4arch9wavefront6targetE1EEEvT1_: ; @_ZN7rocprim17ROCPRIM_400000_NS6detail17trampoline_kernelINS0_14default_configENS1_20scan_config_selectorIyEEZZNS1_9scan_implILNS1_25lookback_scan_determinismE0ELb1ELb1ES3_N6thrust23THRUST_200600_302600_NS6detail15normal_iteratorINS9_10device_ptrIyEEEENS9_16discard_iteratorINS9_11use_defaultEEEy11max_functorIyEyEEDaPvRmT3_T4_T5_mT6_P12ihipStream_tbENKUlT_T0_E_clISt17integral_constantIbLb0EESX_EEDaSS_ST_EUlSS_E0_NS1_11comp_targetILNS1_3genE9ELNS1_11target_archE1100ELNS1_3gpuE3ELNS1_3repE0EEENS1_30default_config_static_selectorELNS0_4arch9wavefront6targetE1EEEvT1_
; %bb.0:
	.section	.rodata,"a",@progbits
	.p2align	6, 0x0
	.amdhsa_kernel _ZN7rocprim17ROCPRIM_400000_NS6detail17trampoline_kernelINS0_14default_configENS1_20scan_config_selectorIyEEZZNS1_9scan_implILNS1_25lookback_scan_determinismE0ELb1ELb1ES3_N6thrust23THRUST_200600_302600_NS6detail15normal_iteratorINS9_10device_ptrIyEEEENS9_16discard_iteratorINS9_11use_defaultEEEy11max_functorIyEyEEDaPvRmT3_T4_T5_mT6_P12ihipStream_tbENKUlT_T0_E_clISt17integral_constantIbLb0EESX_EEDaSS_ST_EUlSS_E0_NS1_11comp_targetILNS1_3genE9ELNS1_11target_archE1100ELNS1_3gpuE3ELNS1_3repE0EEENS1_30default_config_static_selectorELNS0_4arch9wavefront6targetE1EEEvT1_
		.amdhsa_group_segment_fixed_size 0
		.amdhsa_private_segment_fixed_size 0
		.amdhsa_kernarg_size 48
		.amdhsa_user_sgpr_count 6
		.amdhsa_user_sgpr_private_segment_buffer 1
		.amdhsa_user_sgpr_dispatch_ptr 0
		.amdhsa_user_sgpr_queue_ptr 0
		.amdhsa_user_sgpr_kernarg_segment_ptr 1
		.amdhsa_user_sgpr_dispatch_id 0
		.amdhsa_user_sgpr_flat_scratch_init 0
		.amdhsa_user_sgpr_kernarg_preload_length 0
		.amdhsa_user_sgpr_kernarg_preload_offset 0
		.amdhsa_user_sgpr_private_segment_size 0
		.amdhsa_uses_dynamic_stack 0
		.amdhsa_system_sgpr_private_segment_wavefront_offset 0
		.amdhsa_system_sgpr_workgroup_id_x 1
		.amdhsa_system_sgpr_workgroup_id_y 0
		.amdhsa_system_sgpr_workgroup_id_z 0
		.amdhsa_system_sgpr_workgroup_info 0
		.amdhsa_system_vgpr_workitem_id 0
		.amdhsa_next_free_vgpr 1
		.amdhsa_next_free_sgpr 0
		.amdhsa_accum_offset 4
		.amdhsa_reserve_vcc 0
		.amdhsa_reserve_flat_scratch 0
		.amdhsa_float_round_mode_32 0
		.amdhsa_float_round_mode_16_64 0
		.amdhsa_float_denorm_mode_32 3
		.amdhsa_float_denorm_mode_16_64 3
		.amdhsa_dx10_clamp 1
		.amdhsa_ieee_mode 1
		.amdhsa_fp16_overflow 0
		.amdhsa_tg_split 0
		.amdhsa_exception_fp_ieee_invalid_op 0
		.amdhsa_exception_fp_denorm_src 0
		.amdhsa_exception_fp_ieee_div_zero 0
		.amdhsa_exception_fp_ieee_overflow 0
		.amdhsa_exception_fp_ieee_underflow 0
		.amdhsa_exception_fp_ieee_inexact 0
		.amdhsa_exception_int_div_zero 0
	.end_amdhsa_kernel
	.section	.text._ZN7rocprim17ROCPRIM_400000_NS6detail17trampoline_kernelINS0_14default_configENS1_20scan_config_selectorIyEEZZNS1_9scan_implILNS1_25lookback_scan_determinismE0ELb1ELb1ES3_N6thrust23THRUST_200600_302600_NS6detail15normal_iteratorINS9_10device_ptrIyEEEENS9_16discard_iteratorINS9_11use_defaultEEEy11max_functorIyEyEEDaPvRmT3_T4_T5_mT6_P12ihipStream_tbENKUlT_T0_E_clISt17integral_constantIbLb0EESX_EEDaSS_ST_EUlSS_E0_NS1_11comp_targetILNS1_3genE9ELNS1_11target_archE1100ELNS1_3gpuE3ELNS1_3repE0EEENS1_30default_config_static_selectorELNS0_4arch9wavefront6targetE1EEEvT1_,"axG",@progbits,_ZN7rocprim17ROCPRIM_400000_NS6detail17trampoline_kernelINS0_14default_configENS1_20scan_config_selectorIyEEZZNS1_9scan_implILNS1_25lookback_scan_determinismE0ELb1ELb1ES3_N6thrust23THRUST_200600_302600_NS6detail15normal_iteratorINS9_10device_ptrIyEEEENS9_16discard_iteratorINS9_11use_defaultEEEy11max_functorIyEyEEDaPvRmT3_T4_T5_mT6_P12ihipStream_tbENKUlT_T0_E_clISt17integral_constantIbLb0EESX_EEDaSS_ST_EUlSS_E0_NS1_11comp_targetILNS1_3genE9ELNS1_11target_archE1100ELNS1_3gpuE3ELNS1_3repE0EEENS1_30default_config_static_selectorELNS0_4arch9wavefront6targetE1EEEvT1_,comdat
.Lfunc_end3366:
	.size	_ZN7rocprim17ROCPRIM_400000_NS6detail17trampoline_kernelINS0_14default_configENS1_20scan_config_selectorIyEEZZNS1_9scan_implILNS1_25lookback_scan_determinismE0ELb1ELb1ES3_N6thrust23THRUST_200600_302600_NS6detail15normal_iteratorINS9_10device_ptrIyEEEENS9_16discard_iteratorINS9_11use_defaultEEEy11max_functorIyEyEEDaPvRmT3_T4_T5_mT6_P12ihipStream_tbENKUlT_T0_E_clISt17integral_constantIbLb0EESX_EEDaSS_ST_EUlSS_E0_NS1_11comp_targetILNS1_3genE9ELNS1_11target_archE1100ELNS1_3gpuE3ELNS1_3repE0EEENS1_30default_config_static_selectorELNS0_4arch9wavefront6targetE1EEEvT1_, .Lfunc_end3366-_ZN7rocprim17ROCPRIM_400000_NS6detail17trampoline_kernelINS0_14default_configENS1_20scan_config_selectorIyEEZZNS1_9scan_implILNS1_25lookback_scan_determinismE0ELb1ELb1ES3_N6thrust23THRUST_200600_302600_NS6detail15normal_iteratorINS9_10device_ptrIyEEEENS9_16discard_iteratorINS9_11use_defaultEEEy11max_functorIyEyEEDaPvRmT3_T4_T5_mT6_P12ihipStream_tbENKUlT_T0_E_clISt17integral_constantIbLb0EESX_EEDaSS_ST_EUlSS_E0_NS1_11comp_targetILNS1_3genE9ELNS1_11target_archE1100ELNS1_3gpuE3ELNS1_3repE0EEENS1_30default_config_static_selectorELNS0_4arch9wavefront6targetE1EEEvT1_
                                        ; -- End function
	.section	.AMDGPU.csdata,"",@progbits
; Kernel info:
; codeLenInByte = 0
; NumSgprs: 4
; NumVgprs: 0
; NumAgprs: 0
; TotalNumVgprs: 0
; ScratchSize: 0
; MemoryBound: 0
; FloatMode: 240
; IeeeMode: 1
; LDSByteSize: 0 bytes/workgroup (compile time only)
; SGPRBlocks: 0
; VGPRBlocks: 0
; NumSGPRsForWavesPerEU: 4
; NumVGPRsForWavesPerEU: 1
; AccumOffset: 4
; Occupancy: 8
; WaveLimiterHint : 0
; COMPUTE_PGM_RSRC2:SCRATCH_EN: 0
; COMPUTE_PGM_RSRC2:USER_SGPR: 6
; COMPUTE_PGM_RSRC2:TRAP_HANDLER: 0
; COMPUTE_PGM_RSRC2:TGID_X_EN: 1
; COMPUTE_PGM_RSRC2:TGID_Y_EN: 0
; COMPUTE_PGM_RSRC2:TGID_Z_EN: 0
; COMPUTE_PGM_RSRC2:TIDIG_COMP_CNT: 0
; COMPUTE_PGM_RSRC3_GFX90A:ACCUM_OFFSET: 0
; COMPUTE_PGM_RSRC3_GFX90A:TG_SPLIT: 0
	.section	.text._ZN7rocprim17ROCPRIM_400000_NS6detail17trampoline_kernelINS0_14default_configENS1_20scan_config_selectorIyEEZZNS1_9scan_implILNS1_25lookback_scan_determinismE0ELb1ELb1ES3_N6thrust23THRUST_200600_302600_NS6detail15normal_iteratorINS9_10device_ptrIyEEEENS9_16discard_iteratorINS9_11use_defaultEEEy11max_functorIyEyEEDaPvRmT3_T4_T5_mT6_P12ihipStream_tbENKUlT_T0_E_clISt17integral_constantIbLb0EESX_EEDaSS_ST_EUlSS_E0_NS1_11comp_targetILNS1_3genE8ELNS1_11target_archE1030ELNS1_3gpuE2ELNS1_3repE0EEENS1_30default_config_static_selectorELNS0_4arch9wavefront6targetE1EEEvT1_,"axG",@progbits,_ZN7rocprim17ROCPRIM_400000_NS6detail17trampoline_kernelINS0_14default_configENS1_20scan_config_selectorIyEEZZNS1_9scan_implILNS1_25lookback_scan_determinismE0ELb1ELb1ES3_N6thrust23THRUST_200600_302600_NS6detail15normal_iteratorINS9_10device_ptrIyEEEENS9_16discard_iteratorINS9_11use_defaultEEEy11max_functorIyEyEEDaPvRmT3_T4_T5_mT6_P12ihipStream_tbENKUlT_T0_E_clISt17integral_constantIbLb0EESX_EEDaSS_ST_EUlSS_E0_NS1_11comp_targetILNS1_3genE8ELNS1_11target_archE1030ELNS1_3gpuE2ELNS1_3repE0EEENS1_30default_config_static_selectorELNS0_4arch9wavefront6targetE1EEEvT1_,comdat
	.protected	_ZN7rocprim17ROCPRIM_400000_NS6detail17trampoline_kernelINS0_14default_configENS1_20scan_config_selectorIyEEZZNS1_9scan_implILNS1_25lookback_scan_determinismE0ELb1ELb1ES3_N6thrust23THRUST_200600_302600_NS6detail15normal_iteratorINS9_10device_ptrIyEEEENS9_16discard_iteratorINS9_11use_defaultEEEy11max_functorIyEyEEDaPvRmT3_T4_T5_mT6_P12ihipStream_tbENKUlT_T0_E_clISt17integral_constantIbLb0EESX_EEDaSS_ST_EUlSS_E0_NS1_11comp_targetILNS1_3genE8ELNS1_11target_archE1030ELNS1_3gpuE2ELNS1_3repE0EEENS1_30default_config_static_selectorELNS0_4arch9wavefront6targetE1EEEvT1_ ; -- Begin function _ZN7rocprim17ROCPRIM_400000_NS6detail17trampoline_kernelINS0_14default_configENS1_20scan_config_selectorIyEEZZNS1_9scan_implILNS1_25lookback_scan_determinismE0ELb1ELb1ES3_N6thrust23THRUST_200600_302600_NS6detail15normal_iteratorINS9_10device_ptrIyEEEENS9_16discard_iteratorINS9_11use_defaultEEEy11max_functorIyEyEEDaPvRmT3_T4_T5_mT6_P12ihipStream_tbENKUlT_T0_E_clISt17integral_constantIbLb0EESX_EEDaSS_ST_EUlSS_E0_NS1_11comp_targetILNS1_3genE8ELNS1_11target_archE1030ELNS1_3gpuE2ELNS1_3repE0EEENS1_30default_config_static_selectorELNS0_4arch9wavefront6targetE1EEEvT1_
	.globl	_ZN7rocprim17ROCPRIM_400000_NS6detail17trampoline_kernelINS0_14default_configENS1_20scan_config_selectorIyEEZZNS1_9scan_implILNS1_25lookback_scan_determinismE0ELb1ELb1ES3_N6thrust23THRUST_200600_302600_NS6detail15normal_iteratorINS9_10device_ptrIyEEEENS9_16discard_iteratorINS9_11use_defaultEEEy11max_functorIyEyEEDaPvRmT3_T4_T5_mT6_P12ihipStream_tbENKUlT_T0_E_clISt17integral_constantIbLb0EESX_EEDaSS_ST_EUlSS_E0_NS1_11comp_targetILNS1_3genE8ELNS1_11target_archE1030ELNS1_3gpuE2ELNS1_3repE0EEENS1_30default_config_static_selectorELNS0_4arch9wavefront6targetE1EEEvT1_
	.p2align	8
	.type	_ZN7rocprim17ROCPRIM_400000_NS6detail17trampoline_kernelINS0_14default_configENS1_20scan_config_selectorIyEEZZNS1_9scan_implILNS1_25lookback_scan_determinismE0ELb1ELb1ES3_N6thrust23THRUST_200600_302600_NS6detail15normal_iteratorINS9_10device_ptrIyEEEENS9_16discard_iteratorINS9_11use_defaultEEEy11max_functorIyEyEEDaPvRmT3_T4_T5_mT6_P12ihipStream_tbENKUlT_T0_E_clISt17integral_constantIbLb0EESX_EEDaSS_ST_EUlSS_E0_NS1_11comp_targetILNS1_3genE8ELNS1_11target_archE1030ELNS1_3gpuE2ELNS1_3repE0EEENS1_30default_config_static_selectorELNS0_4arch9wavefront6targetE1EEEvT1_,@function
_ZN7rocprim17ROCPRIM_400000_NS6detail17trampoline_kernelINS0_14default_configENS1_20scan_config_selectorIyEEZZNS1_9scan_implILNS1_25lookback_scan_determinismE0ELb1ELb1ES3_N6thrust23THRUST_200600_302600_NS6detail15normal_iteratorINS9_10device_ptrIyEEEENS9_16discard_iteratorINS9_11use_defaultEEEy11max_functorIyEyEEDaPvRmT3_T4_T5_mT6_P12ihipStream_tbENKUlT_T0_E_clISt17integral_constantIbLb0EESX_EEDaSS_ST_EUlSS_E0_NS1_11comp_targetILNS1_3genE8ELNS1_11target_archE1030ELNS1_3gpuE2ELNS1_3repE0EEENS1_30default_config_static_selectorELNS0_4arch9wavefront6targetE1EEEvT1_: ; @_ZN7rocprim17ROCPRIM_400000_NS6detail17trampoline_kernelINS0_14default_configENS1_20scan_config_selectorIyEEZZNS1_9scan_implILNS1_25lookback_scan_determinismE0ELb1ELb1ES3_N6thrust23THRUST_200600_302600_NS6detail15normal_iteratorINS9_10device_ptrIyEEEENS9_16discard_iteratorINS9_11use_defaultEEEy11max_functorIyEyEEDaPvRmT3_T4_T5_mT6_P12ihipStream_tbENKUlT_T0_E_clISt17integral_constantIbLb0EESX_EEDaSS_ST_EUlSS_E0_NS1_11comp_targetILNS1_3genE8ELNS1_11target_archE1030ELNS1_3gpuE2ELNS1_3repE0EEENS1_30default_config_static_selectorELNS0_4arch9wavefront6targetE1EEEvT1_
; %bb.0:
	.section	.rodata,"a",@progbits
	.p2align	6, 0x0
	.amdhsa_kernel _ZN7rocprim17ROCPRIM_400000_NS6detail17trampoline_kernelINS0_14default_configENS1_20scan_config_selectorIyEEZZNS1_9scan_implILNS1_25lookback_scan_determinismE0ELb1ELb1ES3_N6thrust23THRUST_200600_302600_NS6detail15normal_iteratorINS9_10device_ptrIyEEEENS9_16discard_iteratorINS9_11use_defaultEEEy11max_functorIyEyEEDaPvRmT3_T4_T5_mT6_P12ihipStream_tbENKUlT_T0_E_clISt17integral_constantIbLb0EESX_EEDaSS_ST_EUlSS_E0_NS1_11comp_targetILNS1_3genE8ELNS1_11target_archE1030ELNS1_3gpuE2ELNS1_3repE0EEENS1_30default_config_static_selectorELNS0_4arch9wavefront6targetE1EEEvT1_
		.amdhsa_group_segment_fixed_size 0
		.amdhsa_private_segment_fixed_size 0
		.amdhsa_kernarg_size 48
		.amdhsa_user_sgpr_count 6
		.amdhsa_user_sgpr_private_segment_buffer 1
		.amdhsa_user_sgpr_dispatch_ptr 0
		.amdhsa_user_sgpr_queue_ptr 0
		.amdhsa_user_sgpr_kernarg_segment_ptr 1
		.amdhsa_user_sgpr_dispatch_id 0
		.amdhsa_user_sgpr_flat_scratch_init 0
		.amdhsa_user_sgpr_kernarg_preload_length 0
		.amdhsa_user_sgpr_kernarg_preload_offset 0
		.amdhsa_user_sgpr_private_segment_size 0
		.amdhsa_uses_dynamic_stack 0
		.amdhsa_system_sgpr_private_segment_wavefront_offset 0
		.amdhsa_system_sgpr_workgroup_id_x 1
		.amdhsa_system_sgpr_workgroup_id_y 0
		.amdhsa_system_sgpr_workgroup_id_z 0
		.amdhsa_system_sgpr_workgroup_info 0
		.amdhsa_system_vgpr_workitem_id 0
		.amdhsa_next_free_vgpr 1
		.amdhsa_next_free_sgpr 0
		.amdhsa_accum_offset 4
		.amdhsa_reserve_vcc 0
		.amdhsa_reserve_flat_scratch 0
		.amdhsa_float_round_mode_32 0
		.amdhsa_float_round_mode_16_64 0
		.amdhsa_float_denorm_mode_32 3
		.amdhsa_float_denorm_mode_16_64 3
		.amdhsa_dx10_clamp 1
		.amdhsa_ieee_mode 1
		.amdhsa_fp16_overflow 0
		.amdhsa_tg_split 0
		.amdhsa_exception_fp_ieee_invalid_op 0
		.amdhsa_exception_fp_denorm_src 0
		.amdhsa_exception_fp_ieee_div_zero 0
		.amdhsa_exception_fp_ieee_overflow 0
		.amdhsa_exception_fp_ieee_underflow 0
		.amdhsa_exception_fp_ieee_inexact 0
		.amdhsa_exception_int_div_zero 0
	.end_amdhsa_kernel
	.section	.text._ZN7rocprim17ROCPRIM_400000_NS6detail17trampoline_kernelINS0_14default_configENS1_20scan_config_selectorIyEEZZNS1_9scan_implILNS1_25lookback_scan_determinismE0ELb1ELb1ES3_N6thrust23THRUST_200600_302600_NS6detail15normal_iteratorINS9_10device_ptrIyEEEENS9_16discard_iteratorINS9_11use_defaultEEEy11max_functorIyEyEEDaPvRmT3_T4_T5_mT6_P12ihipStream_tbENKUlT_T0_E_clISt17integral_constantIbLb0EESX_EEDaSS_ST_EUlSS_E0_NS1_11comp_targetILNS1_3genE8ELNS1_11target_archE1030ELNS1_3gpuE2ELNS1_3repE0EEENS1_30default_config_static_selectorELNS0_4arch9wavefront6targetE1EEEvT1_,"axG",@progbits,_ZN7rocprim17ROCPRIM_400000_NS6detail17trampoline_kernelINS0_14default_configENS1_20scan_config_selectorIyEEZZNS1_9scan_implILNS1_25lookback_scan_determinismE0ELb1ELb1ES3_N6thrust23THRUST_200600_302600_NS6detail15normal_iteratorINS9_10device_ptrIyEEEENS9_16discard_iteratorINS9_11use_defaultEEEy11max_functorIyEyEEDaPvRmT3_T4_T5_mT6_P12ihipStream_tbENKUlT_T0_E_clISt17integral_constantIbLb0EESX_EEDaSS_ST_EUlSS_E0_NS1_11comp_targetILNS1_3genE8ELNS1_11target_archE1030ELNS1_3gpuE2ELNS1_3repE0EEENS1_30default_config_static_selectorELNS0_4arch9wavefront6targetE1EEEvT1_,comdat
.Lfunc_end3367:
	.size	_ZN7rocprim17ROCPRIM_400000_NS6detail17trampoline_kernelINS0_14default_configENS1_20scan_config_selectorIyEEZZNS1_9scan_implILNS1_25lookback_scan_determinismE0ELb1ELb1ES3_N6thrust23THRUST_200600_302600_NS6detail15normal_iteratorINS9_10device_ptrIyEEEENS9_16discard_iteratorINS9_11use_defaultEEEy11max_functorIyEyEEDaPvRmT3_T4_T5_mT6_P12ihipStream_tbENKUlT_T0_E_clISt17integral_constantIbLb0EESX_EEDaSS_ST_EUlSS_E0_NS1_11comp_targetILNS1_3genE8ELNS1_11target_archE1030ELNS1_3gpuE2ELNS1_3repE0EEENS1_30default_config_static_selectorELNS0_4arch9wavefront6targetE1EEEvT1_, .Lfunc_end3367-_ZN7rocprim17ROCPRIM_400000_NS6detail17trampoline_kernelINS0_14default_configENS1_20scan_config_selectorIyEEZZNS1_9scan_implILNS1_25lookback_scan_determinismE0ELb1ELb1ES3_N6thrust23THRUST_200600_302600_NS6detail15normal_iteratorINS9_10device_ptrIyEEEENS9_16discard_iteratorINS9_11use_defaultEEEy11max_functorIyEyEEDaPvRmT3_T4_T5_mT6_P12ihipStream_tbENKUlT_T0_E_clISt17integral_constantIbLb0EESX_EEDaSS_ST_EUlSS_E0_NS1_11comp_targetILNS1_3genE8ELNS1_11target_archE1030ELNS1_3gpuE2ELNS1_3repE0EEENS1_30default_config_static_selectorELNS0_4arch9wavefront6targetE1EEEvT1_
                                        ; -- End function
	.section	.AMDGPU.csdata,"",@progbits
; Kernel info:
; codeLenInByte = 0
; NumSgprs: 4
; NumVgprs: 0
; NumAgprs: 0
; TotalNumVgprs: 0
; ScratchSize: 0
; MemoryBound: 0
; FloatMode: 240
; IeeeMode: 1
; LDSByteSize: 0 bytes/workgroup (compile time only)
; SGPRBlocks: 0
; VGPRBlocks: 0
; NumSGPRsForWavesPerEU: 4
; NumVGPRsForWavesPerEU: 1
; AccumOffset: 4
; Occupancy: 8
; WaveLimiterHint : 0
; COMPUTE_PGM_RSRC2:SCRATCH_EN: 0
; COMPUTE_PGM_RSRC2:USER_SGPR: 6
; COMPUTE_PGM_RSRC2:TRAP_HANDLER: 0
; COMPUTE_PGM_RSRC2:TGID_X_EN: 1
; COMPUTE_PGM_RSRC2:TGID_Y_EN: 0
; COMPUTE_PGM_RSRC2:TGID_Z_EN: 0
; COMPUTE_PGM_RSRC2:TIDIG_COMP_CNT: 0
; COMPUTE_PGM_RSRC3_GFX90A:ACCUM_OFFSET: 0
; COMPUTE_PGM_RSRC3_GFX90A:TG_SPLIT: 0
	.section	.text._ZN7rocprim17ROCPRIM_400000_NS6detail17trampoline_kernelINS0_14default_configENS1_20scan_config_selectorIyEEZZNS1_9scan_implILNS1_25lookback_scan_determinismE0ELb1ELb1ES3_N6thrust23THRUST_200600_302600_NS6detail15normal_iteratorINS9_10device_ptrIyEEEENS9_16discard_iteratorINS9_11use_defaultEEEy11max_functorIyEyEEDaPvRmT3_T4_T5_mT6_P12ihipStream_tbENKUlT_T0_E_clISt17integral_constantIbLb1EESX_EEDaSS_ST_EUlSS_E_NS1_11comp_targetILNS1_3genE0ELNS1_11target_archE4294967295ELNS1_3gpuE0ELNS1_3repE0EEENS1_30default_config_static_selectorELNS0_4arch9wavefront6targetE1EEEvT1_,"axG",@progbits,_ZN7rocprim17ROCPRIM_400000_NS6detail17trampoline_kernelINS0_14default_configENS1_20scan_config_selectorIyEEZZNS1_9scan_implILNS1_25lookback_scan_determinismE0ELb1ELb1ES3_N6thrust23THRUST_200600_302600_NS6detail15normal_iteratorINS9_10device_ptrIyEEEENS9_16discard_iteratorINS9_11use_defaultEEEy11max_functorIyEyEEDaPvRmT3_T4_T5_mT6_P12ihipStream_tbENKUlT_T0_E_clISt17integral_constantIbLb1EESX_EEDaSS_ST_EUlSS_E_NS1_11comp_targetILNS1_3genE0ELNS1_11target_archE4294967295ELNS1_3gpuE0ELNS1_3repE0EEENS1_30default_config_static_selectorELNS0_4arch9wavefront6targetE1EEEvT1_,comdat
	.protected	_ZN7rocprim17ROCPRIM_400000_NS6detail17trampoline_kernelINS0_14default_configENS1_20scan_config_selectorIyEEZZNS1_9scan_implILNS1_25lookback_scan_determinismE0ELb1ELb1ES3_N6thrust23THRUST_200600_302600_NS6detail15normal_iteratorINS9_10device_ptrIyEEEENS9_16discard_iteratorINS9_11use_defaultEEEy11max_functorIyEyEEDaPvRmT3_T4_T5_mT6_P12ihipStream_tbENKUlT_T0_E_clISt17integral_constantIbLb1EESX_EEDaSS_ST_EUlSS_E_NS1_11comp_targetILNS1_3genE0ELNS1_11target_archE4294967295ELNS1_3gpuE0ELNS1_3repE0EEENS1_30default_config_static_selectorELNS0_4arch9wavefront6targetE1EEEvT1_ ; -- Begin function _ZN7rocprim17ROCPRIM_400000_NS6detail17trampoline_kernelINS0_14default_configENS1_20scan_config_selectorIyEEZZNS1_9scan_implILNS1_25lookback_scan_determinismE0ELb1ELb1ES3_N6thrust23THRUST_200600_302600_NS6detail15normal_iteratorINS9_10device_ptrIyEEEENS9_16discard_iteratorINS9_11use_defaultEEEy11max_functorIyEyEEDaPvRmT3_T4_T5_mT6_P12ihipStream_tbENKUlT_T0_E_clISt17integral_constantIbLb1EESX_EEDaSS_ST_EUlSS_E_NS1_11comp_targetILNS1_3genE0ELNS1_11target_archE4294967295ELNS1_3gpuE0ELNS1_3repE0EEENS1_30default_config_static_selectorELNS0_4arch9wavefront6targetE1EEEvT1_
	.globl	_ZN7rocprim17ROCPRIM_400000_NS6detail17trampoline_kernelINS0_14default_configENS1_20scan_config_selectorIyEEZZNS1_9scan_implILNS1_25lookback_scan_determinismE0ELb1ELb1ES3_N6thrust23THRUST_200600_302600_NS6detail15normal_iteratorINS9_10device_ptrIyEEEENS9_16discard_iteratorINS9_11use_defaultEEEy11max_functorIyEyEEDaPvRmT3_T4_T5_mT6_P12ihipStream_tbENKUlT_T0_E_clISt17integral_constantIbLb1EESX_EEDaSS_ST_EUlSS_E_NS1_11comp_targetILNS1_3genE0ELNS1_11target_archE4294967295ELNS1_3gpuE0ELNS1_3repE0EEENS1_30default_config_static_selectorELNS0_4arch9wavefront6targetE1EEEvT1_
	.p2align	8
	.type	_ZN7rocprim17ROCPRIM_400000_NS6detail17trampoline_kernelINS0_14default_configENS1_20scan_config_selectorIyEEZZNS1_9scan_implILNS1_25lookback_scan_determinismE0ELb1ELb1ES3_N6thrust23THRUST_200600_302600_NS6detail15normal_iteratorINS9_10device_ptrIyEEEENS9_16discard_iteratorINS9_11use_defaultEEEy11max_functorIyEyEEDaPvRmT3_T4_T5_mT6_P12ihipStream_tbENKUlT_T0_E_clISt17integral_constantIbLb1EESX_EEDaSS_ST_EUlSS_E_NS1_11comp_targetILNS1_3genE0ELNS1_11target_archE4294967295ELNS1_3gpuE0ELNS1_3repE0EEENS1_30default_config_static_selectorELNS0_4arch9wavefront6targetE1EEEvT1_,@function
_ZN7rocprim17ROCPRIM_400000_NS6detail17trampoline_kernelINS0_14default_configENS1_20scan_config_selectorIyEEZZNS1_9scan_implILNS1_25lookback_scan_determinismE0ELb1ELb1ES3_N6thrust23THRUST_200600_302600_NS6detail15normal_iteratorINS9_10device_ptrIyEEEENS9_16discard_iteratorINS9_11use_defaultEEEy11max_functorIyEyEEDaPvRmT3_T4_T5_mT6_P12ihipStream_tbENKUlT_T0_E_clISt17integral_constantIbLb1EESX_EEDaSS_ST_EUlSS_E_NS1_11comp_targetILNS1_3genE0ELNS1_11target_archE4294967295ELNS1_3gpuE0ELNS1_3repE0EEENS1_30default_config_static_selectorELNS0_4arch9wavefront6targetE1EEEvT1_: ; @_ZN7rocprim17ROCPRIM_400000_NS6detail17trampoline_kernelINS0_14default_configENS1_20scan_config_selectorIyEEZZNS1_9scan_implILNS1_25lookback_scan_determinismE0ELb1ELb1ES3_N6thrust23THRUST_200600_302600_NS6detail15normal_iteratorINS9_10device_ptrIyEEEENS9_16discard_iteratorINS9_11use_defaultEEEy11max_functorIyEyEEDaPvRmT3_T4_T5_mT6_P12ihipStream_tbENKUlT_T0_E_clISt17integral_constantIbLb1EESX_EEDaSS_ST_EUlSS_E_NS1_11comp_targetILNS1_3genE0ELNS1_11target_archE4294967295ELNS1_3gpuE0ELNS1_3repE0EEENS1_30default_config_static_selectorELNS0_4arch9wavefront6targetE1EEEvT1_
; %bb.0:
	.section	.rodata,"a",@progbits
	.p2align	6, 0x0
	.amdhsa_kernel _ZN7rocprim17ROCPRIM_400000_NS6detail17trampoline_kernelINS0_14default_configENS1_20scan_config_selectorIyEEZZNS1_9scan_implILNS1_25lookback_scan_determinismE0ELb1ELb1ES3_N6thrust23THRUST_200600_302600_NS6detail15normal_iteratorINS9_10device_ptrIyEEEENS9_16discard_iteratorINS9_11use_defaultEEEy11max_functorIyEyEEDaPvRmT3_T4_T5_mT6_P12ihipStream_tbENKUlT_T0_E_clISt17integral_constantIbLb1EESX_EEDaSS_ST_EUlSS_E_NS1_11comp_targetILNS1_3genE0ELNS1_11target_archE4294967295ELNS1_3gpuE0ELNS1_3repE0EEENS1_30default_config_static_selectorELNS0_4arch9wavefront6targetE1EEEvT1_
		.amdhsa_group_segment_fixed_size 0
		.amdhsa_private_segment_fixed_size 0
		.amdhsa_kernarg_size 112
		.amdhsa_user_sgpr_count 6
		.amdhsa_user_sgpr_private_segment_buffer 1
		.amdhsa_user_sgpr_dispatch_ptr 0
		.amdhsa_user_sgpr_queue_ptr 0
		.amdhsa_user_sgpr_kernarg_segment_ptr 1
		.amdhsa_user_sgpr_dispatch_id 0
		.amdhsa_user_sgpr_flat_scratch_init 0
		.amdhsa_user_sgpr_kernarg_preload_length 0
		.amdhsa_user_sgpr_kernarg_preload_offset 0
		.amdhsa_user_sgpr_private_segment_size 0
		.amdhsa_uses_dynamic_stack 0
		.amdhsa_system_sgpr_private_segment_wavefront_offset 0
		.amdhsa_system_sgpr_workgroup_id_x 1
		.amdhsa_system_sgpr_workgroup_id_y 0
		.amdhsa_system_sgpr_workgroup_id_z 0
		.amdhsa_system_sgpr_workgroup_info 0
		.amdhsa_system_vgpr_workitem_id 0
		.amdhsa_next_free_vgpr 1
		.amdhsa_next_free_sgpr 0
		.amdhsa_accum_offset 4
		.amdhsa_reserve_vcc 0
		.amdhsa_reserve_flat_scratch 0
		.amdhsa_float_round_mode_32 0
		.amdhsa_float_round_mode_16_64 0
		.amdhsa_float_denorm_mode_32 3
		.amdhsa_float_denorm_mode_16_64 3
		.amdhsa_dx10_clamp 1
		.amdhsa_ieee_mode 1
		.amdhsa_fp16_overflow 0
		.amdhsa_tg_split 0
		.amdhsa_exception_fp_ieee_invalid_op 0
		.amdhsa_exception_fp_denorm_src 0
		.amdhsa_exception_fp_ieee_div_zero 0
		.amdhsa_exception_fp_ieee_overflow 0
		.amdhsa_exception_fp_ieee_underflow 0
		.amdhsa_exception_fp_ieee_inexact 0
		.amdhsa_exception_int_div_zero 0
	.end_amdhsa_kernel
	.section	.text._ZN7rocprim17ROCPRIM_400000_NS6detail17trampoline_kernelINS0_14default_configENS1_20scan_config_selectorIyEEZZNS1_9scan_implILNS1_25lookback_scan_determinismE0ELb1ELb1ES3_N6thrust23THRUST_200600_302600_NS6detail15normal_iteratorINS9_10device_ptrIyEEEENS9_16discard_iteratorINS9_11use_defaultEEEy11max_functorIyEyEEDaPvRmT3_T4_T5_mT6_P12ihipStream_tbENKUlT_T0_E_clISt17integral_constantIbLb1EESX_EEDaSS_ST_EUlSS_E_NS1_11comp_targetILNS1_3genE0ELNS1_11target_archE4294967295ELNS1_3gpuE0ELNS1_3repE0EEENS1_30default_config_static_selectorELNS0_4arch9wavefront6targetE1EEEvT1_,"axG",@progbits,_ZN7rocprim17ROCPRIM_400000_NS6detail17trampoline_kernelINS0_14default_configENS1_20scan_config_selectorIyEEZZNS1_9scan_implILNS1_25lookback_scan_determinismE0ELb1ELb1ES3_N6thrust23THRUST_200600_302600_NS6detail15normal_iteratorINS9_10device_ptrIyEEEENS9_16discard_iteratorINS9_11use_defaultEEEy11max_functorIyEyEEDaPvRmT3_T4_T5_mT6_P12ihipStream_tbENKUlT_T0_E_clISt17integral_constantIbLb1EESX_EEDaSS_ST_EUlSS_E_NS1_11comp_targetILNS1_3genE0ELNS1_11target_archE4294967295ELNS1_3gpuE0ELNS1_3repE0EEENS1_30default_config_static_selectorELNS0_4arch9wavefront6targetE1EEEvT1_,comdat
.Lfunc_end3368:
	.size	_ZN7rocprim17ROCPRIM_400000_NS6detail17trampoline_kernelINS0_14default_configENS1_20scan_config_selectorIyEEZZNS1_9scan_implILNS1_25lookback_scan_determinismE0ELb1ELb1ES3_N6thrust23THRUST_200600_302600_NS6detail15normal_iteratorINS9_10device_ptrIyEEEENS9_16discard_iteratorINS9_11use_defaultEEEy11max_functorIyEyEEDaPvRmT3_T4_T5_mT6_P12ihipStream_tbENKUlT_T0_E_clISt17integral_constantIbLb1EESX_EEDaSS_ST_EUlSS_E_NS1_11comp_targetILNS1_3genE0ELNS1_11target_archE4294967295ELNS1_3gpuE0ELNS1_3repE0EEENS1_30default_config_static_selectorELNS0_4arch9wavefront6targetE1EEEvT1_, .Lfunc_end3368-_ZN7rocprim17ROCPRIM_400000_NS6detail17trampoline_kernelINS0_14default_configENS1_20scan_config_selectorIyEEZZNS1_9scan_implILNS1_25lookback_scan_determinismE0ELb1ELb1ES3_N6thrust23THRUST_200600_302600_NS6detail15normal_iteratorINS9_10device_ptrIyEEEENS9_16discard_iteratorINS9_11use_defaultEEEy11max_functorIyEyEEDaPvRmT3_T4_T5_mT6_P12ihipStream_tbENKUlT_T0_E_clISt17integral_constantIbLb1EESX_EEDaSS_ST_EUlSS_E_NS1_11comp_targetILNS1_3genE0ELNS1_11target_archE4294967295ELNS1_3gpuE0ELNS1_3repE0EEENS1_30default_config_static_selectorELNS0_4arch9wavefront6targetE1EEEvT1_
                                        ; -- End function
	.section	.AMDGPU.csdata,"",@progbits
; Kernel info:
; codeLenInByte = 0
; NumSgprs: 4
; NumVgprs: 0
; NumAgprs: 0
; TotalNumVgprs: 0
; ScratchSize: 0
; MemoryBound: 0
; FloatMode: 240
; IeeeMode: 1
; LDSByteSize: 0 bytes/workgroup (compile time only)
; SGPRBlocks: 0
; VGPRBlocks: 0
; NumSGPRsForWavesPerEU: 4
; NumVGPRsForWavesPerEU: 1
; AccumOffset: 4
; Occupancy: 8
; WaveLimiterHint : 0
; COMPUTE_PGM_RSRC2:SCRATCH_EN: 0
; COMPUTE_PGM_RSRC2:USER_SGPR: 6
; COMPUTE_PGM_RSRC2:TRAP_HANDLER: 0
; COMPUTE_PGM_RSRC2:TGID_X_EN: 1
; COMPUTE_PGM_RSRC2:TGID_Y_EN: 0
; COMPUTE_PGM_RSRC2:TGID_Z_EN: 0
; COMPUTE_PGM_RSRC2:TIDIG_COMP_CNT: 0
; COMPUTE_PGM_RSRC3_GFX90A:ACCUM_OFFSET: 0
; COMPUTE_PGM_RSRC3_GFX90A:TG_SPLIT: 0
	.section	.text._ZN7rocprim17ROCPRIM_400000_NS6detail17trampoline_kernelINS0_14default_configENS1_20scan_config_selectorIyEEZZNS1_9scan_implILNS1_25lookback_scan_determinismE0ELb1ELb1ES3_N6thrust23THRUST_200600_302600_NS6detail15normal_iteratorINS9_10device_ptrIyEEEENS9_16discard_iteratorINS9_11use_defaultEEEy11max_functorIyEyEEDaPvRmT3_T4_T5_mT6_P12ihipStream_tbENKUlT_T0_E_clISt17integral_constantIbLb1EESX_EEDaSS_ST_EUlSS_E_NS1_11comp_targetILNS1_3genE5ELNS1_11target_archE942ELNS1_3gpuE9ELNS1_3repE0EEENS1_30default_config_static_selectorELNS0_4arch9wavefront6targetE1EEEvT1_,"axG",@progbits,_ZN7rocprim17ROCPRIM_400000_NS6detail17trampoline_kernelINS0_14default_configENS1_20scan_config_selectorIyEEZZNS1_9scan_implILNS1_25lookback_scan_determinismE0ELb1ELb1ES3_N6thrust23THRUST_200600_302600_NS6detail15normal_iteratorINS9_10device_ptrIyEEEENS9_16discard_iteratorINS9_11use_defaultEEEy11max_functorIyEyEEDaPvRmT3_T4_T5_mT6_P12ihipStream_tbENKUlT_T0_E_clISt17integral_constantIbLb1EESX_EEDaSS_ST_EUlSS_E_NS1_11comp_targetILNS1_3genE5ELNS1_11target_archE942ELNS1_3gpuE9ELNS1_3repE0EEENS1_30default_config_static_selectorELNS0_4arch9wavefront6targetE1EEEvT1_,comdat
	.protected	_ZN7rocprim17ROCPRIM_400000_NS6detail17trampoline_kernelINS0_14default_configENS1_20scan_config_selectorIyEEZZNS1_9scan_implILNS1_25lookback_scan_determinismE0ELb1ELb1ES3_N6thrust23THRUST_200600_302600_NS6detail15normal_iteratorINS9_10device_ptrIyEEEENS9_16discard_iteratorINS9_11use_defaultEEEy11max_functorIyEyEEDaPvRmT3_T4_T5_mT6_P12ihipStream_tbENKUlT_T0_E_clISt17integral_constantIbLb1EESX_EEDaSS_ST_EUlSS_E_NS1_11comp_targetILNS1_3genE5ELNS1_11target_archE942ELNS1_3gpuE9ELNS1_3repE0EEENS1_30default_config_static_selectorELNS0_4arch9wavefront6targetE1EEEvT1_ ; -- Begin function _ZN7rocprim17ROCPRIM_400000_NS6detail17trampoline_kernelINS0_14default_configENS1_20scan_config_selectorIyEEZZNS1_9scan_implILNS1_25lookback_scan_determinismE0ELb1ELb1ES3_N6thrust23THRUST_200600_302600_NS6detail15normal_iteratorINS9_10device_ptrIyEEEENS9_16discard_iteratorINS9_11use_defaultEEEy11max_functorIyEyEEDaPvRmT3_T4_T5_mT6_P12ihipStream_tbENKUlT_T0_E_clISt17integral_constantIbLb1EESX_EEDaSS_ST_EUlSS_E_NS1_11comp_targetILNS1_3genE5ELNS1_11target_archE942ELNS1_3gpuE9ELNS1_3repE0EEENS1_30default_config_static_selectorELNS0_4arch9wavefront6targetE1EEEvT1_
	.globl	_ZN7rocprim17ROCPRIM_400000_NS6detail17trampoline_kernelINS0_14default_configENS1_20scan_config_selectorIyEEZZNS1_9scan_implILNS1_25lookback_scan_determinismE0ELb1ELb1ES3_N6thrust23THRUST_200600_302600_NS6detail15normal_iteratorINS9_10device_ptrIyEEEENS9_16discard_iteratorINS9_11use_defaultEEEy11max_functorIyEyEEDaPvRmT3_T4_T5_mT6_P12ihipStream_tbENKUlT_T0_E_clISt17integral_constantIbLb1EESX_EEDaSS_ST_EUlSS_E_NS1_11comp_targetILNS1_3genE5ELNS1_11target_archE942ELNS1_3gpuE9ELNS1_3repE0EEENS1_30default_config_static_selectorELNS0_4arch9wavefront6targetE1EEEvT1_
	.p2align	8
	.type	_ZN7rocprim17ROCPRIM_400000_NS6detail17trampoline_kernelINS0_14default_configENS1_20scan_config_selectorIyEEZZNS1_9scan_implILNS1_25lookback_scan_determinismE0ELb1ELb1ES3_N6thrust23THRUST_200600_302600_NS6detail15normal_iteratorINS9_10device_ptrIyEEEENS9_16discard_iteratorINS9_11use_defaultEEEy11max_functorIyEyEEDaPvRmT3_T4_T5_mT6_P12ihipStream_tbENKUlT_T0_E_clISt17integral_constantIbLb1EESX_EEDaSS_ST_EUlSS_E_NS1_11comp_targetILNS1_3genE5ELNS1_11target_archE942ELNS1_3gpuE9ELNS1_3repE0EEENS1_30default_config_static_selectorELNS0_4arch9wavefront6targetE1EEEvT1_,@function
_ZN7rocprim17ROCPRIM_400000_NS6detail17trampoline_kernelINS0_14default_configENS1_20scan_config_selectorIyEEZZNS1_9scan_implILNS1_25lookback_scan_determinismE0ELb1ELb1ES3_N6thrust23THRUST_200600_302600_NS6detail15normal_iteratorINS9_10device_ptrIyEEEENS9_16discard_iteratorINS9_11use_defaultEEEy11max_functorIyEyEEDaPvRmT3_T4_T5_mT6_P12ihipStream_tbENKUlT_T0_E_clISt17integral_constantIbLb1EESX_EEDaSS_ST_EUlSS_E_NS1_11comp_targetILNS1_3genE5ELNS1_11target_archE942ELNS1_3gpuE9ELNS1_3repE0EEENS1_30default_config_static_selectorELNS0_4arch9wavefront6targetE1EEEvT1_: ; @_ZN7rocprim17ROCPRIM_400000_NS6detail17trampoline_kernelINS0_14default_configENS1_20scan_config_selectorIyEEZZNS1_9scan_implILNS1_25lookback_scan_determinismE0ELb1ELb1ES3_N6thrust23THRUST_200600_302600_NS6detail15normal_iteratorINS9_10device_ptrIyEEEENS9_16discard_iteratorINS9_11use_defaultEEEy11max_functorIyEyEEDaPvRmT3_T4_T5_mT6_P12ihipStream_tbENKUlT_T0_E_clISt17integral_constantIbLb1EESX_EEDaSS_ST_EUlSS_E_NS1_11comp_targetILNS1_3genE5ELNS1_11target_archE942ELNS1_3gpuE9ELNS1_3repE0EEENS1_30default_config_static_selectorELNS0_4arch9wavefront6targetE1EEEvT1_
; %bb.0:
	.section	.rodata,"a",@progbits
	.p2align	6, 0x0
	.amdhsa_kernel _ZN7rocprim17ROCPRIM_400000_NS6detail17trampoline_kernelINS0_14default_configENS1_20scan_config_selectorIyEEZZNS1_9scan_implILNS1_25lookback_scan_determinismE0ELb1ELb1ES3_N6thrust23THRUST_200600_302600_NS6detail15normal_iteratorINS9_10device_ptrIyEEEENS9_16discard_iteratorINS9_11use_defaultEEEy11max_functorIyEyEEDaPvRmT3_T4_T5_mT6_P12ihipStream_tbENKUlT_T0_E_clISt17integral_constantIbLb1EESX_EEDaSS_ST_EUlSS_E_NS1_11comp_targetILNS1_3genE5ELNS1_11target_archE942ELNS1_3gpuE9ELNS1_3repE0EEENS1_30default_config_static_selectorELNS0_4arch9wavefront6targetE1EEEvT1_
		.amdhsa_group_segment_fixed_size 0
		.amdhsa_private_segment_fixed_size 0
		.amdhsa_kernarg_size 112
		.amdhsa_user_sgpr_count 6
		.amdhsa_user_sgpr_private_segment_buffer 1
		.amdhsa_user_sgpr_dispatch_ptr 0
		.amdhsa_user_sgpr_queue_ptr 0
		.amdhsa_user_sgpr_kernarg_segment_ptr 1
		.amdhsa_user_sgpr_dispatch_id 0
		.amdhsa_user_sgpr_flat_scratch_init 0
		.amdhsa_user_sgpr_kernarg_preload_length 0
		.amdhsa_user_sgpr_kernarg_preload_offset 0
		.amdhsa_user_sgpr_private_segment_size 0
		.amdhsa_uses_dynamic_stack 0
		.amdhsa_system_sgpr_private_segment_wavefront_offset 0
		.amdhsa_system_sgpr_workgroup_id_x 1
		.amdhsa_system_sgpr_workgroup_id_y 0
		.amdhsa_system_sgpr_workgroup_id_z 0
		.amdhsa_system_sgpr_workgroup_info 0
		.amdhsa_system_vgpr_workitem_id 0
		.amdhsa_next_free_vgpr 1
		.amdhsa_next_free_sgpr 0
		.amdhsa_accum_offset 4
		.amdhsa_reserve_vcc 0
		.amdhsa_reserve_flat_scratch 0
		.amdhsa_float_round_mode_32 0
		.amdhsa_float_round_mode_16_64 0
		.amdhsa_float_denorm_mode_32 3
		.amdhsa_float_denorm_mode_16_64 3
		.amdhsa_dx10_clamp 1
		.amdhsa_ieee_mode 1
		.amdhsa_fp16_overflow 0
		.amdhsa_tg_split 0
		.amdhsa_exception_fp_ieee_invalid_op 0
		.amdhsa_exception_fp_denorm_src 0
		.amdhsa_exception_fp_ieee_div_zero 0
		.amdhsa_exception_fp_ieee_overflow 0
		.amdhsa_exception_fp_ieee_underflow 0
		.amdhsa_exception_fp_ieee_inexact 0
		.amdhsa_exception_int_div_zero 0
	.end_amdhsa_kernel
	.section	.text._ZN7rocprim17ROCPRIM_400000_NS6detail17trampoline_kernelINS0_14default_configENS1_20scan_config_selectorIyEEZZNS1_9scan_implILNS1_25lookback_scan_determinismE0ELb1ELb1ES3_N6thrust23THRUST_200600_302600_NS6detail15normal_iteratorINS9_10device_ptrIyEEEENS9_16discard_iteratorINS9_11use_defaultEEEy11max_functorIyEyEEDaPvRmT3_T4_T5_mT6_P12ihipStream_tbENKUlT_T0_E_clISt17integral_constantIbLb1EESX_EEDaSS_ST_EUlSS_E_NS1_11comp_targetILNS1_3genE5ELNS1_11target_archE942ELNS1_3gpuE9ELNS1_3repE0EEENS1_30default_config_static_selectorELNS0_4arch9wavefront6targetE1EEEvT1_,"axG",@progbits,_ZN7rocprim17ROCPRIM_400000_NS6detail17trampoline_kernelINS0_14default_configENS1_20scan_config_selectorIyEEZZNS1_9scan_implILNS1_25lookback_scan_determinismE0ELb1ELb1ES3_N6thrust23THRUST_200600_302600_NS6detail15normal_iteratorINS9_10device_ptrIyEEEENS9_16discard_iteratorINS9_11use_defaultEEEy11max_functorIyEyEEDaPvRmT3_T4_T5_mT6_P12ihipStream_tbENKUlT_T0_E_clISt17integral_constantIbLb1EESX_EEDaSS_ST_EUlSS_E_NS1_11comp_targetILNS1_3genE5ELNS1_11target_archE942ELNS1_3gpuE9ELNS1_3repE0EEENS1_30default_config_static_selectorELNS0_4arch9wavefront6targetE1EEEvT1_,comdat
.Lfunc_end3369:
	.size	_ZN7rocprim17ROCPRIM_400000_NS6detail17trampoline_kernelINS0_14default_configENS1_20scan_config_selectorIyEEZZNS1_9scan_implILNS1_25lookback_scan_determinismE0ELb1ELb1ES3_N6thrust23THRUST_200600_302600_NS6detail15normal_iteratorINS9_10device_ptrIyEEEENS9_16discard_iteratorINS9_11use_defaultEEEy11max_functorIyEyEEDaPvRmT3_T4_T5_mT6_P12ihipStream_tbENKUlT_T0_E_clISt17integral_constantIbLb1EESX_EEDaSS_ST_EUlSS_E_NS1_11comp_targetILNS1_3genE5ELNS1_11target_archE942ELNS1_3gpuE9ELNS1_3repE0EEENS1_30default_config_static_selectorELNS0_4arch9wavefront6targetE1EEEvT1_, .Lfunc_end3369-_ZN7rocprim17ROCPRIM_400000_NS6detail17trampoline_kernelINS0_14default_configENS1_20scan_config_selectorIyEEZZNS1_9scan_implILNS1_25lookback_scan_determinismE0ELb1ELb1ES3_N6thrust23THRUST_200600_302600_NS6detail15normal_iteratorINS9_10device_ptrIyEEEENS9_16discard_iteratorINS9_11use_defaultEEEy11max_functorIyEyEEDaPvRmT3_T4_T5_mT6_P12ihipStream_tbENKUlT_T0_E_clISt17integral_constantIbLb1EESX_EEDaSS_ST_EUlSS_E_NS1_11comp_targetILNS1_3genE5ELNS1_11target_archE942ELNS1_3gpuE9ELNS1_3repE0EEENS1_30default_config_static_selectorELNS0_4arch9wavefront6targetE1EEEvT1_
                                        ; -- End function
	.section	.AMDGPU.csdata,"",@progbits
; Kernel info:
; codeLenInByte = 0
; NumSgprs: 4
; NumVgprs: 0
; NumAgprs: 0
; TotalNumVgprs: 0
; ScratchSize: 0
; MemoryBound: 0
; FloatMode: 240
; IeeeMode: 1
; LDSByteSize: 0 bytes/workgroup (compile time only)
; SGPRBlocks: 0
; VGPRBlocks: 0
; NumSGPRsForWavesPerEU: 4
; NumVGPRsForWavesPerEU: 1
; AccumOffset: 4
; Occupancy: 8
; WaveLimiterHint : 0
; COMPUTE_PGM_RSRC2:SCRATCH_EN: 0
; COMPUTE_PGM_RSRC2:USER_SGPR: 6
; COMPUTE_PGM_RSRC2:TRAP_HANDLER: 0
; COMPUTE_PGM_RSRC2:TGID_X_EN: 1
; COMPUTE_PGM_RSRC2:TGID_Y_EN: 0
; COMPUTE_PGM_RSRC2:TGID_Z_EN: 0
; COMPUTE_PGM_RSRC2:TIDIG_COMP_CNT: 0
; COMPUTE_PGM_RSRC3_GFX90A:ACCUM_OFFSET: 0
; COMPUTE_PGM_RSRC3_GFX90A:TG_SPLIT: 0
	.section	.text._ZN7rocprim17ROCPRIM_400000_NS6detail17trampoline_kernelINS0_14default_configENS1_20scan_config_selectorIyEEZZNS1_9scan_implILNS1_25lookback_scan_determinismE0ELb1ELb1ES3_N6thrust23THRUST_200600_302600_NS6detail15normal_iteratorINS9_10device_ptrIyEEEENS9_16discard_iteratorINS9_11use_defaultEEEy11max_functorIyEyEEDaPvRmT3_T4_T5_mT6_P12ihipStream_tbENKUlT_T0_E_clISt17integral_constantIbLb1EESX_EEDaSS_ST_EUlSS_E_NS1_11comp_targetILNS1_3genE4ELNS1_11target_archE910ELNS1_3gpuE8ELNS1_3repE0EEENS1_30default_config_static_selectorELNS0_4arch9wavefront6targetE1EEEvT1_,"axG",@progbits,_ZN7rocprim17ROCPRIM_400000_NS6detail17trampoline_kernelINS0_14default_configENS1_20scan_config_selectorIyEEZZNS1_9scan_implILNS1_25lookback_scan_determinismE0ELb1ELb1ES3_N6thrust23THRUST_200600_302600_NS6detail15normal_iteratorINS9_10device_ptrIyEEEENS9_16discard_iteratorINS9_11use_defaultEEEy11max_functorIyEyEEDaPvRmT3_T4_T5_mT6_P12ihipStream_tbENKUlT_T0_E_clISt17integral_constantIbLb1EESX_EEDaSS_ST_EUlSS_E_NS1_11comp_targetILNS1_3genE4ELNS1_11target_archE910ELNS1_3gpuE8ELNS1_3repE0EEENS1_30default_config_static_selectorELNS0_4arch9wavefront6targetE1EEEvT1_,comdat
	.protected	_ZN7rocprim17ROCPRIM_400000_NS6detail17trampoline_kernelINS0_14default_configENS1_20scan_config_selectorIyEEZZNS1_9scan_implILNS1_25lookback_scan_determinismE0ELb1ELb1ES3_N6thrust23THRUST_200600_302600_NS6detail15normal_iteratorINS9_10device_ptrIyEEEENS9_16discard_iteratorINS9_11use_defaultEEEy11max_functorIyEyEEDaPvRmT3_T4_T5_mT6_P12ihipStream_tbENKUlT_T0_E_clISt17integral_constantIbLb1EESX_EEDaSS_ST_EUlSS_E_NS1_11comp_targetILNS1_3genE4ELNS1_11target_archE910ELNS1_3gpuE8ELNS1_3repE0EEENS1_30default_config_static_selectorELNS0_4arch9wavefront6targetE1EEEvT1_ ; -- Begin function _ZN7rocprim17ROCPRIM_400000_NS6detail17trampoline_kernelINS0_14default_configENS1_20scan_config_selectorIyEEZZNS1_9scan_implILNS1_25lookback_scan_determinismE0ELb1ELb1ES3_N6thrust23THRUST_200600_302600_NS6detail15normal_iteratorINS9_10device_ptrIyEEEENS9_16discard_iteratorINS9_11use_defaultEEEy11max_functorIyEyEEDaPvRmT3_T4_T5_mT6_P12ihipStream_tbENKUlT_T0_E_clISt17integral_constantIbLb1EESX_EEDaSS_ST_EUlSS_E_NS1_11comp_targetILNS1_3genE4ELNS1_11target_archE910ELNS1_3gpuE8ELNS1_3repE0EEENS1_30default_config_static_selectorELNS0_4arch9wavefront6targetE1EEEvT1_
	.globl	_ZN7rocprim17ROCPRIM_400000_NS6detail17trampoline_kernelINS0_14default_configENS1_20scan_config_selectorIyEEZZNS1_9scan_implILNS1_25lookback_scan_determinismE0ELb1ELb1ES3_N6thrust23THRUST_200600_302600_NS6detail15normal_iteratorINS9_10device_ptrIyEEEENS9_16discard_iteratorINS9_11use_defaultEEEy11max_functorIyEyEEDaPvRmT3_T4_T5_mT6_P12ihipStream_tbENKUlT_T0_E_clISt17integral_constantIbLb1EESX_EEDaSS_ST_EUlSS_E_NS1_11comp_targetILNS1_3genE4ELNS1_11target_archE910ELNS1_3gpuE8ELNS1_3repE0EEENS1_30default_config_static_selectorELNS0_4arch9wavefront6targetE1EEEvT1_
	.p2align	8
	.type	_ZN7rocprim17ROCPRIM_400000_NS6detail17trampoline_kernelINS0_14default_configENS1_20scan_config_selectorIyEEZZNS1_9scan_implILNS1_25lookback_scan_determinismE0ELb1ELb1ES3_N6thrust23THRUST_200600_302600_NS6detail15normal_iteratorINS9_10device_ptrIyEEEENS9_16discard_iteratorINS9_11use_defaultEEEy11max_functorIyEyEEDaPvRmT3_T4_T5_mT6_P12ihipStream_tbENKUlT_T0_E_clISt17integral_constantIbLb1EESX_EEDaSS_ST_EUlSS_E_NS1_11comp_targetILNS1_3genE4ELNS1_11target_archE910ELNS1_3gpuE8ELNS1_3repE0EEENS1_30default_config_static_selectorELNS0_4arch9wavefront6targetE1EEEvT1_,@function
_ZN7rocprim17ROCPRIM_400000_NS6detail17trampoline_kernelINS0_14default_configENS1_20scan_config_selectorIyEEZZNS1_9scan_implILNS1_25lookback_scan_determinismE0ELb1ELb1ES3_N6thrust23THRUST_200600_302600_NS6detail15normal_iteratorINS9_10device_ptrIyEEEENS9_16discard_iteratorINS9_11use_defaultEEEy11max_functorIyEyEEDaPvRmT3_T4_T5_mT6_P12ihipStream_tbENKUlT_T0_E_clISt17integral_constantIbLb1EESX_EEDaSS_ST_EUlSS_E_NS1_11comp_targetILNS1_3genE4ELNS1_11target_archE910ELNS1_3gpuE8ELNS1_3repE0EEENS1_30default_config_static_selectorELNS0_4arch9wavefront6targetE1EEEvT1_: ; @_ZN7rocprim17ROCPRIM_400000_NS6detail17trampoline_kernelINS0_14default_configENS1_20scan_config_selectorIyEEZZNS1_9scan_implILNS1_25lookback_scan_determinismE0ELb1ELb1ES3_N6thrust23THRUST_200600_302600_NS6detail15normal_iteratorINS9_10device_ptrIyEEEENS9_16discard_iteratorINS9_11use_defaultEEEy11max_functorIyEyEEDaPvRmT3_T4_T5_mT6_P12ihipStream_tbENKUlT_T0_E_clISt17integral_constantIbLb1EESX_EEDaSS_ST_EUlSS_E_NS1_11comp_targetILNS1_3genE4ELNS1_11target_archE910ELNS1_3gpuE8ELNS1_3repE0EEENS1_30default_config_static_selectorELNS0_4arch9wavefront6targetE1EEEvT1_
; %bb.0:
	s_load_dwordx2 s[26:27], s[4:5], 0x38
	v_cmp_ne_u32_e64 s[2:3], 0, v0
	v_cmp_eq_u32_e64 s[0:1], 0, v0
	s_and_saveexec_b64 s[6:7], s[0:1]
	s_cbranch_execz .LBB3370_4
; %bb.1:
	s_mov_b64 s[10:11], exec
	v_mbcnt_lo_u32_b32 v1, s10, 0
	v_mbcnt_hi_u32_b32 v1, s11, v1
	v_cmp_eq_u32_e32 vcc, 0, v1
                                        ; implicit-def: $vgpr2
	s_and_saveexec_b64 s[8:9], vcc
	s_cbranch_execz .LBB3370_3
; %bb.2:
	s_load_dwordx2 s[12:13], s[4:5], 0x68
	s_bcnt1_i32_b64 s10, s[10:11]
	v_mov_b32_e32 v2, 0
	v_mov_b32_e32 v3, s10
	s_waitcnt lgkmcnt(0)
	global_atomic_add v2, v2, v3, s[12:13] glc
.LBB3370_3:
	s_or_b64 exec, exec, s[8:9]
	s_waitcnt vmcnt(0)
	v_readfirstlane_b32 s8, v2
	v_add_u32_e32 v1, s8, v1
	v_mov_b32_e32 v2, 0
	ds_write_b32 v2, v1
.LBB3370_4:
	s_or_b64 exec, exec, s[6:7]
	v_mov_b32_e32 v3, 0
	s_load_dwordx4 s[8:11], s[4:5], 0x0
	s_load_dwordx4 s[12:15], s[4:5], 0x20
	s_load_dword s6, s[4:5], 0x40
	s_load_dwordx8 s[16:23], s[4:5], 0x48
	s_waitcnt lgkmcnt(0)
	s_barrier
	ds_read_b32 v1, v3
	s_lshl_b64 s[4:5], s[10:11], 3
	s_add_u32 s33, s8, s4
	s_movk_i32 s4, 0x380
	s_addc_u32 s34, s9, s5
	s_waitcnt lgkmcnt(0)
	v_mul_lo_u32 v2, v1, s4
	s_add_i32 s4, s6, -1
	s_mul_i32 s5, s4, 0x380
	s_sub_u32 s30, s12, s5
	v_readfirstlane_b32 s35, v1
	s_subb_u32 s31, s13, 0
	v_lshlrev_b64 v[2:3], 3, v[2:3]
	s_cmp_lg_u32 s35, s4
	v_mov_b32_e32 v1, s34
	v_add_co_u32_e32 v20, vcc, s33, v2
	s_cselect_b64 s[24:25], -1, 0
	v_addc_co_u32_e32 v21, vcc, v1, v3, vcc
	s_mov_b64 s[4:5], -1
	s_and_b64 vcc, exec, s[24:25]
	v_lshlrev_b32_e32 v1, 3, v0
	s_barrier
	s_cbranch_vccz .LBB3370_6
; %bb.5:
	v_add_co_u32_e32 v2, vcc, v20, v1
	v_addc_co_u32_e32 v3, vcc, 0, v21, vcc
	flat_load_dwordx2 v[4:5], v[2:3]
	flat_load_dwordx2 v[6:7], v[2:3] offset:1024
	flat_load_dwordx2 v[8:9], v[2:3] offset:2048
	;; [unrolled: 1-line block ×3, first 2 shown]
	v_add_co_u32_e32 v2, vcc, 0x1000, v2
	v_addc_co_u32_e32 v3, vcc, 0, v3, vcc
	flat_load_dwordx2 v[12:13], v[2:3]
	flat_load_dwordx2 v[14:15], v[2:3] offset:1024
	flat_load_dwordx2 v[16:17], v[2:3] offset:2048
	s_mov_b64 s[4:5], 0
	s_waitcnt vmcnt(0) lgkmcnt(0)
	ds_write2st64_b64 v1, v[4:5], v[6:7] offset1:2
	ds_write2st64_b64 v1, v[8:9], v[10:11] offset0:4 offset1:6
	ds_write2st64_b64 v1, v[12:13], v[14:15] offset0:8 offset1:10
	ds_write_b64 v1, v[16:17] offset:6144
	s_waitcnt lgkmcnt(0)
	s_barrier
.LBB3370_6:
	s_andn2_b64 vcc, exec, s[4:5]
	s_cbranch_vccnz .LBB3370_22
; %bb.7:
	flat_load_dwordx2 v[2:3], v[20:21]
	v_cmp_gt_u32_e32 vcc, s30, v0
	s_waitcnt vmcnt(0) lgkmcnt(0)
	v_mov_b32_e32 v4, v2
	v_mov_b32_e32 v5, v3
	;; [unrolled: 1-line block ×10, first 2 shown]
	v_pk_mov_b32 v[18:19], v[14:15], v[14:15] op_sel:[0,1]
	v_pk_mov_b32 v[16:17], v[12:13], v[12:13] op_sel:[0,1]
	v_pk_mov_b32 v[14:15], v[10:11], v[10:11] op_sel:[0,1]
	v_pk_mov_b32 v[12:13], v[8:9], v[8:9] op_sel:[0,1]
	v_pk_mov_b32 v[10:11], v[6:7], v[6:7] op_sel:[0,1]
	v_pk_mov_b32 v[8:9], v[4:5], v[4:5] op_sel:[0,1]
	v_pk_mov_b32 v[6:7], v[2:3], v[2:3] op_sel:[0,1]
	v_pk_mov_b32 v[4:5], v[0:1], v[0:1] op_sel:[0,1]
	s_and_saveexec_b64 s[4:5], vcc
	s_cbranch_execz .LBB3370_9
; %bb.8:
	v_add_co_u32_e32 v4, vcc, v20, v1
	v_addc_co_u32_e32 v5, vcc, 0, v21, vcc
	flat_load_dwordx2 v[22:23], v[4:5]
	v_mov_b32_e32 v4, v2
	v_mov_b32_e32 v5, v3
	;; [unrolled: 1-line block ×10, first 2 shown]
	v_pk_mov_b32 v[18:19], v[14:15], v[14:15] op_sel:[0,1]
	v_pk_mov_b32 v[16:17], v[12:13], v[12:13] op_sel:[0,1]
	;; [unrolled: 1-line block ×8, first 2 shown]
	s_waitcnt vmcnt(0) lgkmcnt(0)
	v_pk_mov_b32 v[2:3], v[22:23], v[22:23] op_sel:[0,1]
.LBB3370_9:
	s_or_b64 exec, exec, s[4:5]
	v_or_b32_e32 v4, 0x80, v0
	v_cmp_gt_u32_e32 vcc, s30, v4
	s_and_saveexec_b64 s[4:5], vcc
	s_cbranch_execz .LBB3370_11
; %bb.10:
	v_add_co_u32_e32 v4, vcc, v20, v1
	v_addc_co_u32_e32 v5, vcc, 0, v21, vcc
	flat_load_dwordx2 v[6:7], v[4:5] offset:1024
.LBB3370_11:
	s_or_b64 exec, exec, s[4:5]
	v_or_b32_e32 v4, 0x100, v0
	v_cmp_gt_u32_e32 vcc, s30, v4
	s_and_saveexec_b64 s[4:5], vcc
	s_cbranch_execz .LBB3370_13
; %bb.12:
	v_add_co_u32_e32 v4, vcc, v20, v1
	v_addc_co_u32_e32 v5, vcc, 0, v21, vcc
	flat_load_dwordx2 v[8:9], v[4:5] offset:2048
.LBB3370_13:
	;; [unrolled: 10-line block ×3, first 2 shown]
	s_or_b64 exec, exec, s[4:5]
	v_or_b32_e32 v4, 0x200, v0
	v_cmp_gt_u32_e32 vcc, s30, v4
	s_and_saveexec_b64 s[4:5], vcc
	s_cbranch_execz .LBB3370_17
; %bb.16:
	v_lshlrev_b32_e32 v4, 3, v4
	v_add_co_u32_e32 v4, vcc, v20, v4
	v_addc_co_u32_e32 v5, vcc, 0, v21, vcc
	flat_load_dwordx2 v[12:13], v[4:5]
.LBB3370_17:
	s_or_b64 exec, exec, s[4:5]
	v_or_b32_e32 v4, 0x280, v0
	v_cmp_gt_u32_e32 vcc, s30, v4
	s_and_saveexec_b64 s[4:5], vcc
	s_cbranch_execz .LBB3370_19
; %bb.18:
	v_lshlrev_b32_e32 v4, 3, v4
	v_add_co_u32_e32 v4, vcc, v20, v4
	v_addc_co_u32_e32 v5, vcc, 0, v21, vcc
	flat_load_dwordx2 v[14:15], v[4:5]
.LBB3370_19:
	s_or_b64 exec, exec, s[4:5]
	v_or_b32_e32 v4, 0x300, v0
	v_cmp_gt_u32_e32 vcc, s30, v4
	s_and_saveexec_b64 s[4:5], vcc
	s_cbranch_execz .LBB3370_21
; %bb.20:
	v_lshlrev_b32_e32 v4, 3, v4
	v_add_co_u32_e32 v4, vcc, v20, v4
	v_addc_co_u32_e32 v5, vcc, 0, v21, vcc
	flat_load_dwordx2 v[16:17], v[4:5]
.LBB3370_21:
	s_or_b64 exec, exec, s[4:5]
	s_waitcnt vmcnt(0) lgkmcnt(0)
	ds_write2st64_b64 v1, v[2:3], v[6:7] offset1:2
	ds_write2st64_b64 v1, v[8:9], v[10:11] offset0:4 offset1:6
	ds_write2st64_b64 v1, v[12:13], v[14:15] offset0:8 offset1:10
	ds_write_b64 v1, v[16:17] offset:6144
	s_waitcnt lgkmcnt(0)
	s_barrier
.LBB3370_22:
	v_mul_u32_u24_e32 v36, 7, v0
	v_lshlrev_b32_e32 v37, 3, v36
	ds_read2_b64 v[10:13], v37 offset1:1
	ds_read2_b64 v[6:9], v37 offset0:2 offset1:3
	ds_read2_b64 v[2:5], v37 offset0:4 offset1:5
	ds_read_b64 v[26:27], v37 offset:48
	s_cmp_lg_u32 s35, 0
	s_waitcnt lgkmcnt(3)
	v_cmp_gt_u64_e64 s[4:5], v[10:11], v[12:13]
	v_lshrrev_b32_e32 v1, 5, v0
	v_cmp_gt_u32_e32 vcc, 64, v0
	s_waitcnt lgkmcnt(0)
	s_barrier
	s_cbranch_scc0 .LBB3370_53
; %bb.23:
	v_cndmask_b32_e64 v15, v13, v11, s[4:5]
	v_cndmask_b32_e64 v14, v12, v10, s[4:5]
	v_cmp_gt_u64_e64 s[4:5], v[14:15], v[6:7]
	v_cndmask_b32_e64 v15, v7, v15, s[4:5]
	v_cndmask_b32_e64 v14, v6, v14, s[4:5]
	v_cmp_gt_u64_e64 s[4:5], v[14:15], v[8:9]
	;; [unrolled: 3-line block ×5, first 2 shown]
	v_cndmask_b32_e64 v23, v27, v15, s[4:5]
	v_cndmask_b32_e64 v22, v26, v14, s[4:5]
	v_add_lshl_u32 v14, v1, v0, 3
	ds_write_b64 v14, v[22:23]
	s_waitcnt lgkmcnt(0)
	s_barrier
	s_and_saveexec_b64 s[8:9], vcc
	s_cbranch_execz .LBB3370_27
; %bb.24:
	v_lshlrev_b32_e32 v14, 1, v0
	v_lshrrev_b32_e32 v15, 4, v0
	v_add_lshl_u32 v24, v15, v14, 3
	ds_read2_b64 v[14:17], v24 offset1:1
	v_mbcnt_lo_u32_b32 v18, -1, 0
	v_mbcnt_hi_u32_b32 v25, -1, v18
	v_and_b32_e32 v28, 15, v25
	v_and_b32_e32 v30, 16, v25
	s_waitcnt lgkmcnt(0)
	v_cmp_gt_u64_e64 s[4:5], v[14:15], v[16:17]
	v_cndmask_b32_e64 v17, v17, v15, s[4:5]
	v_cndmask_b32_e64 v16, v16, v14, s[4:5]
	v_cmp_ne_u32_e64 s[6:7], 0, v25
	v_mov_b32_dpp v19, v17 row_shr:1 row_mask:0xf bank_mask:0xf
	v_mov_b32_dpp v18, v16 row_shr:1 row_mask:0xf bank_mask:0xf
	v_cmp_gt_u64_e64 s[4:5], v[18:19], v[16:17]
	v_cndmask_b32_e64 v18, v16, v18, s[4:5]
	v_cndmask_b32_e64 v19, v17, v19, s[4:5]
	v_cmp_eq_u32_e64 s[4:5], 0, v28
	v_cndmask_b32_e64 v19, v19, v17, s[4:5]
	v_cndmask_b32_e64 v18, v18, v16, s[4:5]
	s_nop 0
	v_mov_b32_dpp v21, v19 row_shr:2 row_mask:0xf bank_mask:0xf
	v_mov_b32_dpp v20, v18 row_shr:2 row_mask:0xf bank_mask:0xf
	v_cmp_gt_u64_e64 s[4:5], v[20:21], v[18:19]
	v_cndmask_b32_e64 v20, v18, v20, s[4:5]
	v_cndmask_b32_e64 v21, v19, v21, s[4:5]
	v_cmp_lt_u32_e64 s[4:5], 1, v28
	v_cndmask_b32_e64 v19, v19, v21, s[4:5]
	v_cndmask_b32_e64 v18, v18, v20, s[4:5]
	s_nop 0
	v_mov_b32_dpp v21, v19 row_shr:4 row_mask:0xf bank_mask:0xf
	v_mov_b32_dpp v20, v18 row_shr:4 row_mask:0xf bank_mask:0xf
	v_cmp_gt_u64_e64 s[4:5], v[20:21], v[18:19]
	v_cndmask_b32_e64 v20, v18, v20, s[4:5]
	v_cndmask_b32_e64 v21, v19, v21, s[4:5]
	v_cmp_lt_u32_e64 s[4:5], 3, v28
	;; [unrolled: 9-line block ×3, first 2 shown]
	v_cndmask_b32_e64 v19, v19, v21, s[4:5]
	v_cndmask_b32_e64 v18, v18, v20, s[4:5]
	s_nop 0
	v_mov_b32_dpp v21, v19 row_bcast:15 row_mask:0xf bank_mask:0xf
	v_mov_b32_dpp v20, v18 row_bcast:15 row_mask:0xf bank_mask:0xf
	v_cmp_gt_u64_e64 s[4:5], v[20:21], v[18:19]
	v_cndmask_b32_e64 v28, v19, v21, s[4:5]
	v_cndmask_b32_e64 v29, v18, v20, s[4:5]
	v_cmp_eq_u32_e64 s[4:5], 0, v30
	v_cndmask_b32_e64 v21, v28, v19, s[4:5]
	v_cndmask_b32_e64 v20, v29, v18, s[4:5]
	s_nop 0
	v_mov_b32_dpp v21, v21 row_bcast:31 row_mask:0xf bank_mask:0xf
	v_mov_b32_dpp v20, v20 row_bcast:31 row_mask:0xf bank_mask:0xf
	s_and_saveexec_b64 s[10:11], s[6:7]
; %bb.25:
	v_cndmask_b32_e64 v17, v28, v19, s[4:5]
	v_cndmask_b32_e64 v16, v29, v18, s[4:5]
	v_cmp_lt_u32_e64 s[6:7], 31, v25
	v_cmp_gt_u64_e64 s[4:5], v[20:21], v[16:17]
	s_and_b64 s[4:5], s[6:7], s[4:5]
	v_cndmask_b32_e64 v16, v16, v20, s[4:5]
	v_cndmask_b32_e64 v17, v17, v21, s[4:5]
; %bb.26:
	s_or_b64 exec, exec, s[10:11]
	v_add_u32_e32 v18, -1, v25
	v_and_b32_e32 v19, 64, v25
	v_cmp_lt_i32_e64 s[4:5], v18, v19
	v_cndmask_b32_e64 v18, v18, v25, s[4:5]
	v_lshlrev_b32_e32 v18, 2, v18
	ds_bpermute_b32 v16, v18, v16
	ds_bpermute_b32 v17, v18, v17
	; wave barrier
	s_waitcnt lgkmcnt(0)
	v_cmp_gt_u64_e64 s[4:5], v[16:17], v[14:15]
	v_cndmask_b32_e64 v14, v14, v16, s[4:5]
	v_cndmask_b32_e64 v15, v15, v17, s[4:5]
	;; [unrolled: 1-line block ×4, first 2 shown]
	ds_write_b64 v24, v[14:15]
	; wave barrier
	ds_read_b64 v[16:17], v24 offset:8
	s_waitcnt lgkmcnt(0)
	v_cmp_gt_u64_e64 s[4:5], v[14:15], v[16:17]
	v_cndmask_b32_e64 v15, v17, v15, s[4:5]
	v_cndmask_b32_e64 v14, v16, v14, s[4:5]
	ds_write_b64 v24, v[14:15] offset:8
.LBB3370_27:
	s_or_b64 exec, exec, s[8:9]
	s_waitcnt lgkmcnt(0)
	s_barrier
	s_and_saveexec_b64 s[4:5], s[2:3]
	s_cbranch_execz .LBB3370_29
; %bb.28:
	v_add_u32_e32 v14, -1, v0
	v_lshrrev_b32_e32 v15, 5, v14
	v_add_lshl_u32 v14, v15, v14, 3
	ds_read_b64 v[22:23], v14
.LBB3370_29:
	s_or_b64 exec, exec, s[4:5]
	s_and_saveexec_b64 s[28:29], vcc
	s_cbranch_execz .LBB3370_52
; %bb.30:
	v_mov_b32_e32 v17, 0
	ds_read_b64 v[14:15], v17 offset:1040
	v_mbcnt_lo_u32_b32 v16, -1, 0
	v_mbcnt_hi_u32_b32 v25, -1, v16
	s_mov_b32 s9, 0
	v_cmp_eq_u32_e64 s[4:5], 0, v25
	s_and_saveexec_b64 s[6:7], s[4:5]
	s_cbranch_execz .LBB3370_32
; %bb.31:
	s_add_i32 s8, s35, 64
	s_lshl_b64 s[8:9], s[8:9], 4
	s_add_u32 s8, s26, s8
	s_addc_u32 s9, s27, s9
	v_mov_b32_e32 v16, 1
	v_pk_mov_b32 v[18:19], s[8:9], s[8:9] op_sel:[0,1]
	s_waitcnt lgkmcnt(0)
	;;#ASMSTART
	global_store_dwordx4 v[18:19], v[14:17] off	
s_waitcnt vmcnt(0)
	;;#ASMEND
.LBB3370_32:
	s_or_b64 exec, exec, s[6:7]
	v_xad_u32 v24, v25, -1, s35
	v_add_u32_e32 v16, 64, v24
	v_lshlrev_b64 v[18:19], 4, v[16:17]
	v_mov_b32_e32 v16, s27
	v_add_co_u32_e32 v28, vcc, s26, v18
	v_addc_co_u32_e32 v29, vcc, v16, v19, vcc
	;;#ASMSTART
	global_load_dwordx4 v[18:21], v[28:29] off glc	
s_waitcnt vmcnt(0)
	;;#ASMEND
	v_and_b32_e32 v16, 0xff, v19
	v_and_b32_e32 v21, 0xff00, v19
	v_or3_b32 v16, 0, v16, v21
	v_or3_b32 v18, v18, 0, 0
	v_and_b32_e32 v21, 0xff000000, v19
	v_and_b32_e32 v19, 0xff0000, v19
	v_or3_b32 v19, v16, v19, v21
	v_or3_b32 v18, v18, 0, 0
	v_cmp_eq_u16_sdwa s[8:9], v20, v17 src0_sel:BYTE_0 src1_sel:DWORD
	s_and_saveexec_b64 s[6:7], s[8:9]
	s_cbranch_execz .LBB3370_38
; %bb.33:
	s_mov_b32 s10, 1
	s_mov_b64 s[8:9], 0
	v_mov_b32_e32 v16, 0
.LBB3370_34:                            ; =>This Loop Header: Depth=1
                                        ;     Child Loop BB3370_35 Depth 2
	s_max_u32 s11, s10, 1
.LBB3370_35:                            ;   Parent Loop BB3370_34 Depth=1
                                        ; =>  This Inner Loop Header: Depth=2
	s_add_i32 s11, s11, -1
	s_cmp_eq_u32 s11, 0
	s_sleep 1
	s_cbranch_scc0 .LBB3370_35
; %bb.36:                               ;   in Loop: Header=BB3370_34 Depth=1
	s_cmp_lt_u32 s10, 32
	s_cselect_b64 s[12:13], -1, 0
	s_cmp_lg_u64 s[12:13], 0
	s_addc_u32 s10, s10, 0
	;;#ASMSTART
	global_load_dwordx4 v[18:21], v[28:29] off glc	
s_waitcnt vmcnt(0)
	;;#ASMEND
	v_cmp_ne_u16_sdwa s[12:13], v20, v16 src0_sel:BYTE_0 src1_sel:DWORD
	s_or_b64 s[8:9], s[12:13], s[8:9]
	s_andn2_b64 exec, exec, s[8:9]
	s_cbranch_execnz .LBB3370_34
; %bb.37:
	s_or_b64 exec, exec, s[8:9]
.LBB3370_38:
	s_or_b64 exec, exec, s[6:7]
	v_and_b32_e32 v33, 63, v25
	v_cmp_ne_u32_e32 vcc, 63, v33
	v_mov_b32_e32 v32, 2
	v_addc_co_u32_e32 v28, vcc, 0, v25, vcc
	v_cmp_eq_u16_sdwa s[6:7], v20, v32 src0_sel:BYTE_0 src1_sel:DWORD
	v_lshlrev_b64 v[16:17], v25, -1
	v_lshlrev_b32_e32 v34, 2, v28
	v_and_b32_e32 v21, s7, v17
	ds_bpermute_b32 v28, v34, v18
	ds_bpermute_b32 v29, v34, v19
	v_or_b32_e32 v21, 0x80000000, v21
	v_and_b32_e32 v30, s6, v16
	v_ffbl_b32_e32 v21, v21
	v_add_u32_e32 v21, 32, v21
	v_ffbl_b32_e32 v30, v30
	v_min_u32_e32 v21, v30, v21
	s_waitcnt lgkmcnt(0)
	v_cmp_gt_u64_e64 s[6:7], v[28:29], v[18:19]
	v_cmp_lt_u32_e32 vcc, v33, v21
	v_cndmask_b32_e64 v28, v18, v28, s[6:7]
	s_and_b64 s[6:7], vcc, s[6:7]
	v_cndmask_b32_e64 v29, v19, v29, s[6:7]
	v_cmp_gt_u32_e64 s[6:7], 62, v33
	v_cndmask_b32_e64 v30, 0, 1, s[6:7]
	v_lshlrev_b32_e32 v30, 1, v30
	v_cndmask_b32_e32 v28, v18, v28, vcc
	v_add_lshl_u32 v35, v30, v25, 2
	ds_bpermute_b32 v30, v35, v28
	ds_bpermute_b32 v31, v35, v29
	v_add_u32_e32 v38, 2, v33
	v_cmp_gt_u32_e64 s[8:9], 56, v33
	v_add_u32_e32 v40, 4, v33
	v_cndmask_b32_e64 v41, 0, 1, s[8:9]
	s_waitcnt lgkmcnt(0)
	v_cmp_gt_u64_e64 s[6:7], v[30:31], v[28:29]
	v_cndmask_b32_e64 v31, v29, v31, s[6:7]
	v_cndmask_b32_e64 v30, v28, v30, s[6:7]
	v_cmp_gt_u32_e64 s[6:7], v38, v21
	v_cndmask_b32_e64 v28, v30, v28, s[6:7]
	v_cndmask_b32_e64 v29, v31, v29, s[6:7]
	v_cmp_gt_u32_e64 s[6:7], 60, v33
	v_cndmask_b32_e64 v30, 0, 1, s[6:7]
	v_lshlrev_b32_e32 v30, 2, v30
	v_add_lshl_u32 v39, v30, v25, 2
	ds_bpermute_b32 v30, v39, v28
	ds_bpermute_b32 v31, v39, v29
	v_lshlrev_b32_e32 v41, 3, v41
	v_add_lshl_u32 v41, v41, v25, 2
	v_cmp_gt_u32_e64 s[10:11], 48, v33
	v_add_u32_e32 v42, 8, v33
	s_waitcnt lgkmcnt(0)
	v_cmp_gt_u64_e64 s[6:7], v[30:31], v[28:29]
	v_cndmask_b32_e64 v50, v29, v31, s[6:7]
	v_cndmask_b32_e64 v51, v28, v30, s[6:7]
	v_cmp_gt_u32_e64 s[6:7], v40, v21
	v_cndmask_b32_e64 v30, v51, v28, s[6:7]
	v_cndmask_b32_e64 v31, v50, v29, s[6:7]
	ds_bpermute_b32 v44, v41, v30
	ds_bpermute_b32 v45, v41, v31
	v_cndmask_b32_e64 v43, 0, 1, s[10:11]
	v_lshlrev_b32_e32 v43, 4, v43
	v_add_lshl_u32 v43, v43, v25, 2
	v_cmp_gt_u32_e64 s[12:13], 32, v33
	s_waitcnt lgkmcnt(0)
	v_cmp_gt_u64_e64 s[8:9], v[44:45], v[30:31]
	v_cndmask_b32_e64 v52, v31, v45, s[8:9]
	v_cndmask_b32_e64 v53, v30, v44, s[8:9]
	v_cmp_gt_u32_e64 s[8:9], v42, v21
	v_cndmask_b32_e64 v30, v53, v30, s[8:9]
	v_cndmask_b32_e64 v31, v52, v31, s[8:9]
	ds_bpermute_b32 v46, v43, v30
	ds_bpermute_b32 v47, v43, v31
	v_add_u32_e32 v44, 16, v33
	v_cndmask_b32_e64 v45, 0, 1, s[12:13]
	v_lshlrev_b32_e32 v45, 5, v45
	v_add_lshl_u32 v45, v45, v25, 2
	s_waitcnt lgkmcnt(0)
	v_cmp_gt_u64_e64 s[10:11], v[46:47], v[30:31]
	v_cndmask_b32_e64 v47, v31, v47, s[10:11]
	v_cndmask_b32_e64 v54, v30, v46, s[10:11]
	v_cmp_gt_u32_e64 s[10:11], v44, v21
	v_cndmask_b32_e64 v30, v54, v30, s[10:11]
	v_cndmask_b32_e64 v31, v47, v31, s[10:11]
	ds_bpermute_b32 v48, v45, v30
	ds_bpermute_b32 v49, v45, v31
	v_cndmask_b32_e32 v19, v19, v29, vcc
	v_cndmask_b32_e32 v18, v18, v28, vcc
	v_cndmask_b32_e64 v18, v51, v18, s[6:7]
	v_cndmask_b32_e64 v19, v50, v19, s[6:7]
	v_add_u32_e32 v46, 32, v33
	s_waitcnt lgkmcnt(0)
	v_cmp_gt_u64_e64 s[12:13], v[48:49], v[30:31]
	v_cndmask_b32_e64 v19, v52, v19, s[8:9]
	v_cndmask_b32_e64 v18, v53, v18, s[8:9]
	v_cndmask_b32_e64 v25, v30, v48, s[12:13]
	v_cndmask_b32_e64 v30, v31, v49, s[12:13]
	v_cndmask_b32_e64 v18, v54, v18, s[10:11]
	v_cndmask_b32_e64 v19, v47, v19, s[10:11]
	v_cmp_gt_u32_e32 vcc, v46, v21
	v_cndmask_b32_e32 v19, v30, v19, vcc
	v_cndmask_b32_e32 v18, v25, v18, vcc
	v_mov_b32_e32 v25, 0
	s_branch .LBB3370_40
.LBB3370_39:                            ;   in Loop: Header=BB3370_40 Depth=1
	s_or_b64 exec, exec, s[6:7]
	v_cmp_eq_u16_sdwa s[6:7], v20, v32 src0_sel:BYTE_0 src1_sel:DWORD
	v_and_b32_e32 v21, s7, v17
	ds_bpermute_b32 v30, v34, v18
	ds_bpermute_b32 v31, v34, v19
	v_or_b32_e32 v21, 0x80000000, v21
	v_and_b32_e32 v47, s6, v16
	v_ffbl_b32_e32 v21, v21
	v_add_u32_e32 v21, 32, v21
	v_ffbl_b32_e32 v47, v47
	v_min_u32_e32 v21, v47, v21
	s_waitcnt lgkmcnt(0)
	v_cmp_gt_u64_e32 vcc, v[30:31], v[18:19]
	v_cmp_lt_u32_e64 s[6:7], v33, v21
	v_cndmask_b32_e32 v30, v18, v30, vcc
	s_and_b64 vcc, s[6:7], vcc
	v_cndmask_b32_e64 v30, v18, v30, s[6:7]
	v_cndmask_b32_e32 v31, v19, v31, vcc
	ds_bpermute_b32 v48, v35, v30
	ds_bpermute_b32 v49, v35, v31
	v_subrev_u32_e32 v24, 64, v24
	s_waitcnt lgkmcnt(0)
	v_cmp_gt_u64_e32 vcc, v[48:49], v[30:31]
	v_cndmask_b32_e32 v47, v31, v49, vcc
	v_cndmask_b32_e32 v48, v30, v48, vcc
	v_cmp_gt_u32_e32 vcc, v38, v21
	v_cndmask_b32_e32 v30, v48, v30, vcc
	v_cndmask_b32_e32 v31, v47, v31, vcc
	ds_bpermute_b32 v48, v39, v30
	ds_bpermute_b32 v49, v39, v31
	v_cndmask_b32_e64 v19, v19, v31, s[6:7]
	v_cndmask_b32_e64 v18, v18, v30, s[6:7]
	s_waitcnt lgkmcnt(0)
	v_cmp_gt_u64_e32 vcc, v[48:49], v[30:31]
	v_cndmask_b32_e32 v47, v31, v49, vcc
	v_cndmask_b32_e32 v52, v30, v48, vcc
	v_cmp_gt_u32_e32 vcc, v40, v21
	v_cndmask_b32_e32 v48, v52, v30, vcc
	v_cndmask_b32_e32 v49, v47, v31, vcc
	ds_bpermute_b32 v50, v41, v48
	ds_bpermute_b32 v51, v41, v49
	v_cndmask_b32_e32 v18, v52, v18, vcc
	v_cndmask_b32_e32 v19, v47, v19, vcc
	v_cmp_gt_u32_e32 vcc, v46, v21
	s_waitcnt lgkmcnt(0)
	v_cmp_gt_u64_e64 s[8:9], v[50:51], v[48:49]
	v_cndmask_b32_e64 v53, v49, v51, s[8:9]
	v_cndmask_b32_e64 v54, v48, v50, s[8:9]
	v_cmp_gt_u32_e64 s[8:9], v42, v21
	v_cndmask_b32_e64 v48, v54, v48, s[8:9]
	v_cndmask_b32_e64 v49, v53, v49, s[8:9]
	ds_bpermute_b32 v50, v43, v48
	ds_bpermute_b32 v51, v43, v49
	v_cndmask_b32_e64 v19, v53, v19, s[8:9]
	v_cndmask_b32_e64 v18, v54, v18, s[8:9]
	s_waitcnt lgkmcnt(0)
	v_cmp_gt_u64_e64 s[10:11], v[50:51], v[48:49]
	v_cndmask_b32_e64 v55, v49, v51, s[10:11]
	v_cndmask_b32_e64 v56, v48, v50, s[10:11]
	v_cmp_gt_u32_e64 s[10:11], v44, v21
	v_cndmask_b32_e64 v48, v56, v48, s[10:11]
	v_cndmask_b32_e64 v49, v55, v49, s[10:11]
	ds_bpermute_b32 v50, v45, v48
	ds_bpermute_b32 v51, v45, v49
	v_cndmask_b32_e64 v18, v56, v18, s[10:11]
	v_cndmask_b32_e64 v19, v55, v19, s[10:11]
	s_waitcnt lgkmcnt(0)
	v_cmp_gt_u64_e64 s[12:13], v[50:51], v[48:49]
	v_cndmask_b32_e64 v48, v48, v50, s[12:13]
	v_cndmask_b32_e64 v49, v49, v51, s[12:13]
	v_cndmask_b32_e32 v19, v49, v19, vcc
	v_cndmask_b32_e32 v18, v48, v18, vcc
	v_cmp_gt_u64_e32 vcc, v[18:19], v[28:29]
	v_cndmask_b32_e32 v19, v29, v19, vcc
	v_cndmask_b32_e32 v18, v28, v18, vcc
.LBB3370_40:                            ; =>This Loop Header: Depth=1
                                        ;     Child Loop BB3370_43 Depth 2
                                        ;       Child Loop BB3370_44 Depth 3
	v_cmp_ne_u16_sdwa s[6:7], v20, v32 src0_sel:BYTE_0 src1_sel:DWORD
	v_cndmask_b32_e64 v20, 0, 1, s[6:7]
	;;#ASMSTART
	;;#ASMEND
	v_cmp_ne_u32_e32 vcc, 0, v20
	s_cmp_lg_u64 vcc, exec
	v_pk_mov_b32 v[28:29], v[18:19], v[18:19] op_sel:[0,1]
	s_cbranch_scc1 .LBB3370_47
; %bb.41:                               ;   in Loop: Header=BB3370_40 Depth=1
	v_lshlrev_b64 v[18:19], 4, v[24:25]
	v_mov_b32_e32 v20, s27
	v_add_co_u32_e32 v30, vcc, s26, v18
	v_addc_co_u32_e32 v31, vcc, v20, v19, vcc
	;;#ASMSTART
	global_load_dwordx4 v[18:21], v[30:31] off glc	
s_waitcnt vmcnt(0)
	;;#ASMEND
	v_and_b32_e32 v21, 0xff, v19
	v_and_b32_e32 v47, 0xff00, v19
	v_or3_b32 v21, 0, v21, v47
	v_or3_b32 v18, v18, 0, 0
	v_and_b32_e32 v47, 0xff000000, v19
	v_and_b32_e32 v19, 0xff0000, v19
	v_or3_b32 v19, v21, v19, v47
	v_or3_b32 v18, v18, 0, 0
	v_cmp_eq_u16_sdwa s[8:9], v20, v25 src0_sel:BYTE_0 src1_sel:DWORD
	s_and_saveexec_b64 s[6:7], s[8:9]
	s_cbranch_execz .LBB3370_39
; %bb.42:                               ;   in Loop: Header=BB3370_40 Depth=1
	s_mov_b32 s10, 1
	s_mov_b64 s[8:9], 0
.LBB3370_43:                            ;   Parent Loop BB3370_40 Depth=1
                                        ; =>  This Loop Header: Depth=2
                                        ;       Child Loop BB3370_44 Depth 3
	s_max_u32 s11, s10, 1
.LBB3370_44:                            ;   Parent Loop BB3370_40 Depth=1
                                        ;     Parent Loop BB3370_43 Depth=2
                                        ; =>    This Inner Loop Header: Depth=3
	s_add_i32 s11, s11, -1
	s_cmp_eq_u32 s11, 0
	s_sleep 1
	s_cbranch_scc0 .LBB3370_44
; %bb.45:                               ;   in Loop: Header=BB3370_43 Depth=2
	s_cmp_lt_u32 s10, 32
	s_cselect_b64 s[12:13], -1, 0
	s_cmp_lg_u64 s[12:13], 0
	s_addc_u32 s10, s10, 0
	;;#ASMSTART
	global_load_dwordx4 v[18:21], v[30:31] off glc	
s_waitcnt vmcnt(0)
	;;#ASMEND
	v_cmp_ne_u16_sdwa s[12:13], v20, v25 src0_sel:BYTE_0 src1_sel:DWORD
	s_or_b64 s[8:9], s[12:13], s[8:9]
	s_andn2_b64 exec, exec, s[8:9]
	s_cbranch_execnz .LBB3370_43
; %bb.46:                               ;   in Loop: Header=BB3370_40 Depth=1
	s_or_b64 exec, exec, s[8:9]
	s_branch .LBB3370_39
.LBB3370_47:                            ;   in Loop: Header=BB3370_40 Depth=1
                                        ; implicit-def: $vgpr18_vgpr19
                                        ; implicit-def: $vgpr20
	s_cbranch_execz .LBB3370_40
; %bb.48:
	s_and_saveexec_b64 s[6:7], s[4:5]
	s_cbranch_execz .LBB3370_50
; %bb.49:
	s_add_i32 s4, s35, 64
	s_mov_b32 s5, 0
	s_lshl_b64 s[4:5], s[4:5], 4
	s_add_u32 s4, s26, s4
	v_cmp_gt_u64_e32 vcc, v[28:29], v[14:15]
	s_addc_u32 s5, s27, s5
	v_cndmask_b32_e32 v15, v15, v29, vcc
	v_cndmask_b32_e32 v14, v14, v28, vcc
	v_mov_b32_e32 v16, 2
	v_mov_b32_e32 v17, 0
	v_pk_mov_b32 v[18:19], s[4:5], s[4:5] op_sel:[0,1]
	;;#ASMSTART
	global_store_dwordx4 v[18:19], v[14:17] off	
s_waitcnt vmcnt(0)
	;;#ASMEND
.LBB3370_50:
	s_or_b64 exec, exec, s[6:7]
	s_and_b64 exec, exec, s[0:1]
	s_cbranch_execz .LBB3370_52
; %bb.51:
	v_mov_b32_e32 v14, 0
	ds_write_b64 v14, v[28:29]
.LBB3370_52:
	s_or_b64 exec, exec, s[28:29]
	v_mov_b32_e32 v14, 0
	s_waitcnt lgkmcnt(0)
	s_barrier
	ds_read_b64 v[14:15], v14
	s_waitcnt lgkmcnt(0)
	v_cmp_gt_u64_e32 vcc, v[14:15], v[22:23]
	v_cndmask_b32_e32 v16, v22, v14, vcc
	v_cndmask_b32_e32 v17, v23, v15, vcc
	v_cndmask_b32_e64 v15, v17, v15, s[0:1]
	v_cndmask_b32_e64 v14, v16, v14, s[0:1]
	v_cmp_gt_u64_e32 vcc, v[14:15], v[10:11]
	v_cndmask_b32_e32 v29, v11, v15, vcc
	v_cndmask_b32_e32 v28, v10, v14, vcc
	v_cmp_gt_u64_e32 vcc, v[28:29], v[12:13]
	v_cndmask_b32_e32 v19, v13, v29, vcc
	v_cndmask_b32_e32 v18, v12, v28, vcc
	v_cmp_gt_u64_e32 vcc, v[18:19], v[6:7]
	v_cndmask_b32_e32 v31, v7, v19, vcc
	v_cndmask_b32_e32 v30, v6, v18, vcc
	v_cmp_gt_u64_e32 vcc, v[30:31], v[8:9]
	v_cndmask_b32_e32 v23, v9, v31, vcc
	v_cndmask_b32_e32 v22, v8, v30, vcc
	v_cmp_gt_u64_e32 vcc, v[22:23], v[2:3]
	v_cndmask_b32_e32 v33, v3, v23, vcc
	v_cndmask_b32_e32 v32, v2, v22, vcc
	v_cmp_gt_u64_e32 vcc, v[32:33], v[4:5]
	v_cndmask_b32_e32 v35, v5, v33, vcc
	v_cndmask_b32_e32 v34, v4, v32, vcc
	s_branch .LBB3370_65
.LBB3370_53:
                                        ; implicit-def: $vgpr34_vgpr35
                                        ; implicit-def: $vgpr32_vgpr33
                                        ; implicit-def: $vgpr30_vgpr31
                                        ; implicit-def: $vgpr28_vgpr29
                                        ; implicit-def: $vgpr22_vgpr23_vgpr24_vgpr25
                                        ; implicit-def: $vgpr18_vgpr19_vgpr20_vgpr21
                                        ; implicit-def: $vgpr14_vgpr15_vgpr16_vgpr17
	s_cbranch_execz .LBB3370_65
; %bb.54:
	s_cmp_eq_u64 s[20:21], 0
	v_pk_mov_b32 v[20:21], s[14:15], s[14:15] op_sel:[0,1]
	s_cbranch_scc1 .LBB3370_56
; %bb.55:
	v_mov_b32_e32 v17, s34
	v_add_co_u32_e64 v16, vcc, -8, s33
	v_mov_b32_e32 v14, 0
	v_addc_co_u32_e32 v17, vcc, -1, v17, vcc
	global_load_dwordx2 v[14:15], v14, s[16:17]
	s_nop 0
	flat_load_dwordx2 v[16:17], v[16:17]
	s_waitcnt vmcnt(0) lgkmcnt(0)
	v_cmp_gt_u64_e32 vcc, v[14:15], v[16:17]
	v_cndmask_b32_e32 v21, v17, v15, vcc
	v_cndmask_b32_e32 v20, v16, v14, vcc
.LBB3370_56:
	v_cmp_gt_u64_e32 vcc, v[10:11], v[12:13]
	v_cndmask_b32_e32 v15, v13, v11, vcc
	v_cndmask_b32_e32 v14, v12, v10, vcc
	v_cmp_gt_u64_e32 vcc, v[14:15], v[6:7]
	v_cndmask_b32_e32 v15, v7, v15, vcc
	v_cndmask_b32_e32 v14, v6, v14, vcc
	;; [unrolled: 3-line block ×6, first 2 shown]
	v_add_lshl_u32 v1, v1, v0, 3
	v_cmp_gt_u32_e32 vcc, 64, v0
	ds_write_b64 v1, v[18:19]
	s_waitcnt lgkmcnt(0)
	s_barrier
	s_and_saveexec_b64 s[6:7], vcc
	s_cbranch_execz .LBB3370_60
; %bb.57:
	v_lshlrev_b32_e32 v1, 1, v0
	v_lshrrev_b32_e32 v14, 4, v0
	v_add_lshl_u32 v1, v14, v1, 3
	ds_read2_b64 v[14:17], v1 offset1:1
	v_mbcnt_lo_u32_b32 v22, -1, 0
	v_mbcnt_hi_u32_b32 v26, -1, v22
	v_and_b32_e32 v27, 15, v26
	v_and_b32_e32 v29, 16, v26
	s_waitcnt lgkmcnt(0)
	v_cmp_gt_u64_e32 vcc, v[14:15], v[16:17]
	v_cndmask_b32_e32 v17, v17, v15, vcc
	v_cndmask_b32_e32 v16, v16, v14, vcc
	v_cmp_ne_u32_e64 s[4:5], 0, v26
	v_mov_b32_dpp v23, v17 row_shr:1 row_mask:0xf bank_mask:0xf
	v_mov_b32_dpp v22, v16 row_shr:1 row_mask:0xf bank_mask:0xf
	v_cmp_gt_u64_e32 vcc, v[22:23], v[16:17]
	v_cndmask_b32_e32 v22, v16, v22, vcc
	v_cndmask_b32_e32 v23, v17, v23, vcc
	v_cmp_eq_u32_e32 vcc, 0, v27
	v_cndmask_b32_e32 v23, v23, v17, vcc
	v_cndmask_b32_e32 v22, v22, v16, vcc
	s_nop 0
	v_mov_b32_dpp v25, v23 row_shr:2 row_mask:0xf bank_mask:0xf
	v_mov_b32_dpp v24, v22 row_shr:2 row_mask:0xf bank_mask:0xf
	v_cmp_gt_u64_e32 vcc, v[24:25], v[22:23]
	v_cndmask_b32_e32 v24, v22, v24, vcc
	v_cndmask_b32_e32 v25, v23, v25, vcc
	v_cmp_lt_u32_e32 vcc, 1, v27
	v_cndmask_b32_e32 v23, v23, v25, vcc
	v_cndmask_b32_e32 v22, v22, v24, vcc
	s_nop 0
	v_mov_b32_dpp v25, v23 row_shr:4 row_mask:0xf bank_mask:0xf
	v_mov_b32_dpp v24, v22 row_shr:4 row_mask:0xf bank_mask:0xf
	v_cmp_gt_u64_e32 vcc, v[24:25], v[22:23]
	v_cndmask_b32_e32 v24, v22, v24, vcc
	v_cndmask_b32_e32 v25, v23, v25, vcc
	v_cmp_lt_u32_e32 vcc, 3, v27
	;; [unrolled: 9-line block ×3, first 2 shown]
	v_cndmask_b32_e32 v23, v23, v25, vcc
	v_cndmask_b32_e32 v22, v22, v24, vcc
	s_nop 0
	v_mov_b32_dpp v25, v23 row_bcast:15 row_mask:0xf bank_mask:0xf
	v_mov_b32_dpp v24, v22 row_bcast:15 row_mask:0xf bank_mask:0xf
	v_cmp_gt_u64_e32 vcc, v[24:25], v[22:23]
	v_cndmask_b32_e32 v27, v23, v25, vcc
	v_cndmask_b32_e32 v28, v22, v24, vcc
	v_cmp_eq_u32_e32 vcc, 0, v29
	v_cndmask_b32_e32 v25, v27, v23, vcc
	v_cndmask_b32_e32 v24, v28, v22, vcc
	s_nop 0
	v_mov_b32_dpp v25, v25 row_bcast:31 row_mask:0xf bank_mask:0xf
	v_mov_b32_dpp v24, v24 row_bcast:31 row_mask:0xf bank_mask:0xf
	s_and_saveexec_b64 s[8:9], s[4:5]
; %bb.58:
	v_cndmask_b32_e32 v17, v27, v23, vcc
	v_cndmask_b32_e32 v16, v28, v22, vcc
	v_cmp_lt_u32_e64 s[4:5], 31, v26
	v_cmp_gt_u64_e32 vcc, v[24:25], v[16:17]
	s_and_b64 vcc, s[4:5], vcc
	v_cndmask_b32_e32 v16, v16, v24, vcc
	v_cndmask_b32_e32 v17, v17, v25, vcc
; %bb.59:
	s_or_b64 exec, exec, s[8:9]
	v_add_u32_e32 v22, -1, v26
	v_and_b32_e32 v23, 64, v26
	v_cmp_lt_i32_e32 vcc, v22, v23
	v_cndmask_b32_e32 v22, v22, v26, vcc
	v_lshlrev_b32_e32 v22, 2, v22
	ds_bpermute_b32 v16, v22, v16
	ds_bpermute_b32 v17, v22, v17
	; wave barrier
	s_waitcnt lgkmcnt(0)
	v_cmp_gt_u64_e32 vcc, v[16:17], v[14:15]
	v_cndmask_b32_e32 v14, v14, v16, vcc
	v_cndmask_b32_e32 v15, v15, v17, vcc
	v_cndmask_b32_e64 v15, v15, v19, s[0:1]
	v_cndmask_b32_e64 v14, v14, v18, s[0:1]
	ds_write_b64 v1, v[14:15]
	; wave barrier
	ds_read_b64 v[16:17], v1 offset:8
	s_waitcnt lgkmcnt(0)
	v_cmp_gt_u64_e32 vcc, v[14:15], v[16:17]
	v_cndmask_b32_e32 v15, v17, v15, vcc
	v_cndmask_b32_e32 v14, v16, v14, vcc
	ds_write_b64 v1, v[14:15] offset:8
.LBB3370_60:
	s_or_b64 exec, exec, s[6:7]
	v_pk_mov_b32 v[14:15], v[20:21], v[20:21] op_sel:[0,1]
	s_waitcnt lgkmcnt(0)
	s_barrier
	s_and_saveexec_b64 s[4:5], s[2:3]
	s_cbranch_execz .LBB3370_62
; %bb.61:
	v_add_u32_e32 v1, -1, v0
	v_lshrrev_b32_e32 v14, 5, v1
	v_add_lshl_u32 v1, v14, v1, 3
	ds_read_b64 v[14:15], v1
	s_waitcnt lgkmcnt(0)
	v_cmp_gt_u64_e32 vcc, v[20:21], v[14:15]
	v_cndmask_b32_e32 v15, v15, v21, vcc
	v_cndmask_b32_e32 v14, v14, v20, vcc
.LBB3370_62:
	s_or_b64 exec, exec, s[4:5]
	v_cmp_gt_u64_e32 vcc, v[14:15], v[10:11]
	v_cndmask_b32_e32 v29, v11, v15, vcc
	v_cndmask_b32_e32 v28, v10, v14, vcc
	v_cmp_gt_u64_e32 vcc, v[28:29], v[12:13]
	v_cndmask_b32_e32 v19, v13, v29, vcc
	v_cndmask_b32_e32 v18, v12, v28, vcc
	;; [unrolled: 3-line block ×6, first 2 shown]
	s_and_saveexec_b64 s[2:3], s[0:1]
	s_cbranch_execz .LBB3370_64
; %bb.63:
	v_mov_b32_e32 v5, 0
	ds_read_b64 v[2:3], v5 offset:1040
	s_add_u32 s0, s26, 0x400
	s_addc_u32 s1, s27, 0
	v_mov_b32_e32 v4, 2
	v_pk_mov_b32 v[6:7], s[0:1], s[0:1] op_sel:[0,1]
	s_waitcnt lgkmcnt(0)
	v_cmp_gt_u64_e32 vcc, v[20:21], v[2:3]
	v_cndmask_b32_e32 v3, v3, v21, vcc
	v_cndmask_b32_e32 v2, v2, v20, vcc
	;;#ASMSTART
	global_store_dwordx4 v[6:7], v[2:5] off	
s_waitcnt vmcnt(0)
	;;#ASMEND
.LBB3370_64:
	s_or_b64 exec, exec, s[2:3]
.LBB3370_65:
	s_mov_b64 s[0:1], -1
	s_and_b64 vcc, exec, s[24:25]
	s_barrier
	ds_write2_b64 v37, v[14:15], v[28:29] offset1:1
	ds_write2_b64 v37, v[18:19], v[30:31] offset0:2 offset1:3
	ds_write2_b64 v37, v[22:23], v[32:33] offset0:4 offset1:5
	ds_write_b64 v37, v[34:35] offset:48
	s_waitcnt lgkmcnt(0)
	s_cbranch_vccz .LBB3370_67
; %bb.66:
	s_barrier
	s_mov_b64 s[0:1], 0
.LBB3370_67:
	s_andn2_b64 vcc, exec, s[0:1]
	s_cbranch_vccnz .LBB3370_92
; %bb.68:
	v_cmp_lt_u64_e64 s[0:1], s[22:23], 2
	s_and_b64 vcc, exec, s[0:1]
	s_barrier
	s_cbranch_vccnz .LBB3370_92
; %bb.69:
	s_add_u32 s0, s30, -1
	s_addc_u32 s1, s31, -1
	s_add_u32 s2, 0, 0x92481000
	s_addc_u32 s3, 0, 0x64
	s_add_i32 s3, s3, 0x249248c0
	s_mul_hi_u32 s7, s2, -7
	s_sub_i32 s7, s7, s2
	s_mul_i32 s8, s3, -7
	s_mul_i32 s4, s2, -7
	s_add_i32 s7, s7, s8
	s_mul_hi_u32 s5, s3, s4
	s_mul_i32 s6, s3, s4
	s_mul_i32 s9, s2, s7
	s_mul_hi_u32 s4, s2, s4
	s_mul_hi_u32 s8, s2, s7
	s_add_u32 s4, s4, s9
	s_addc_u32 s8, 0, s8
	s_add_u32 s4, s4, s6
	s_mul_hi_u32 s9, s3, s7
	s_addc_u32 s4, s8, s5
	s_addc_u32 s5, s9, 0
	s_mul_i32 s6, s3, s7
	s_add_u32 s4, s4, s6
	v_mov_b32_e32 v2, s4
	s_addc_u32 s5, 0, s5
	v_add_co_u32_e32 v2, vcc, s2, v2
	s_cmp_lg_u64 vcc, 0
	s_addc_u32 s2, s3, s5
	v_readfirstlane_b32 s5, v2
	s_mul_i32 s4, s0, s2
	s_mul_hi_u32 s6, s0, s5
	s_mul_hi_u32 s3, s0, s2
	s_add_u32 s4, s6, s4
	s_addc_u32 s3, 0, s3
	s_mul_hi_u32 s7, s1, s5
	s_mul_i32 s5, s1, s5
	s_add_u32 s4, s4, s5
	s_mul_hi_u32 s6, s1, s2
	s_addc_u32 s3, s3, s7
	s_addc_u32 s4, s6, 0
	s_mul_i32 s2, s1, s2
	s_add_u32 s2, s3, s2
	s_addc_u32 s3, 0, s4
	s_add_u32 s4, s2, 1
	s_addc_u32 s5, s3, 0
	s_add_u32 s6, s2, 2
	s_mul_i32 s8, s3, 7
	s_mul_hi_u32 s9, s2, 7
	s_addc_u32 s7, s3, 0
	s_add_i32 s9, s9, s8
	s_mul_i32 s8, s2, 7
	v_mov_b32_e32 v2, s8
	v_sub_co_u32_e32 v2, vcc, s0, v2
	s_cmp_lg_u64 vcc, 0
	s_subb_u32 s8, s1, s9
	v_subrev_co_u32_e32 v3, vcc, 7, v2
	s_cmp_lg_u64 vcc, 0
	s_subb_u32 s9, s8, 0
	v_readfirstlane_b32 s10, v3
	s_cmp_gt_u32 s10, 6
	s_cselect_b32 s10, -1, 0
	s_cmp_eq_u32 s9, 0
	s_cselect_b32 s9, s10, -1
	s_cmp_lg_u32 s9, 0
	s_cselect_b32 s4, s6, s4
	v_readfirstlane_b32 s6, v2
	s_cselect_b32 s5, s7, s5
	s_cmp_gt_u32 s6, 6
	s_cselect_b32 s6, -1, 0
	s_cmp_eq_u32 s8, 0
	s_cselect_b32 s6, s6, -1
	s_cmp_lg_u32 s6, 0
	v_mov_b32_e32 v1, 0
	s_cselect_b32 s3, s5, s3
	s_cselect_b32 s2, s4, s2
	v_cmp_eq_u64_e32 vcc, s[2:3], v[0:1]
	s_and_saveexec_b64 s[2:3], vcc
	s_cbranch_execz .LBB3370_92
; %bb.70:
	s_movk_i32 s2, 0xffd0
	v_mad_i32_i24 v2, v0, s2, v37
	v_mul_hi_u32_u24_e32 v1, 7, v0
	v_mov_b32_e32 v3, s1
	v_sub_co_u32_e32 v0, vcc, s0, v36
	v_subb_co_u32_e32 v1, vcc, v3, v1, vcc
	v_cmp_lt_i64_e32 vcc, 3, v[0:1]
	s_and_saveexec_b64 s[0:1], vcc
	s_xor_b64 s[0:1], exec, s[0:1]
	s_cbranch_execz .LBB3370_80
; %bb.71:
	v_cmp_lt_i64_e32 vcc, 4, v[0:1]
	s_and_saveexec_b64 s[2:3], vcc
	s_xor_b64 s[2:3], exec, s[2:3]
	s_cbranch_execz .LBB3370_77
; %bb.72:
	v_cmp_lt_i64_e32 vcc, 5, v[0:1]
	s_and_saveexec_b64 s[4:5], vcc
	s_xor_b64 s[4:5], exec, s[4:5]
	s_cbranch_execz .LBB3370_74
; %bb.73:
	ds_read_b64 v[0:1], v2 offset:6144
	v_mov_b32_e32 v2, 0
	s_waitcnt lgkmcnt(0)
	global_store_dwordx2 v2, v[0:1], s[18:19]
                                        ; implicit-def: $vgpr2
.LBB3370_74:
	s_andn2_saveexec_b64 s[4:5], s[4:5]
	s_cbranch_execz .LBB3370_76
; %bb.75:
	ds_read_b64 v[0:1], v2 offset:5120
	v_mov_b32_e32 v2, 0
	s_waitcnt lgkmcnt(0)
	global_store_dwordx2 v2, v[0:1], s[18:19]
.LBB3370_76:
	s_or_b64 exec, exec, s[4:5]
                                        ; implicit-def: $vgpr2
.LBB3370_77:
	s_andn2_saveexec_b64 s[2:3], s[2:3]
	s_cbranch_execz .LBB3370_79
; %bb.78:
	ds_read_b64 v[0:1], v2 offset:4096
	v_mov_b32_e32 v2, 0
	s_waitcnt lgkmcnt(0)
	global_store_dwordx2 v2, v[0:1], s[18:19]
.LBB3370_79:
	s_or_b64 exec, exec, s[2:3]
                                        ; implicit-def: $vgpr0_vgpr1
                                        ; implicit-def: $vgpr2
.LBB3370_80:
	s_andn2_saveexec_b64 s[0:1], s[0:1]
	s_cbranch_execz .LBB3370_92
; %bb.81:
	v_cmp_lt_i64_e32 vcc, 1, v[0:1]
	s_and_saveexec_b64 s[0:1], vcc
	s_xor_b64 s[0:1], exec, s[0:1]
	s_cbranch_execz .LBB3370_87
; %bb.82:
	v_cmp_lt_i64_e32 vcc, 2, v[0:1]
	s_and_saveexec_b64 s[2:3], vcc
	s_xor_b64 s[2:3], exec, s[2:3]
	s_cbranch_execz .LBB3370_84
; %bb.83:
	ds_read_b64 v[0:1], v2 offset:3072
	v_mov_b32_e32 v2, 0
	s_waitcnt lgkmcnt(0)
	global_store_dwordx2 v2, v[0:1], s[18:19]
                                        ; implicit-def: $vgpr2
.LBB3370_84:
	s_andn2_saveexec_b64 s[2:3], s[2:3]
	s_cbranch_execz .LBB3370_86
; %bb.85:
	ds_read_b64 v[0:1], v2 offset:2048
	v_mov_b32_e32 v2, 0
	s_waitcnt lgkmcnt(0)
	global_store_dwordx2 v2, v[0:1], s[18:19]
.LBB3370_86:
	s_or_b64 exec, exec, s[2:3]
                                        ; implicit-def: $vgpr2
                                        ; implicit-def: $vgpr0_vgpr1
.LBB3370_87:
	s_andn2_saveexec_b64 s[0:1], s[0:1]
	s_cbranch_execz .LBB3370_92
; %bb.88:
	v_cmp_ne_u64_e32 vcc, 1, v[0:1]
	s_and_saveexec_b64 s[0:1], vcc
	s_xor_b64 s[0:1], exec, s[0:1]
	s_cbranch_execz .LBB3370_90
; %bb.89:
	ds_read_b64 v[0:1], v2
	v_mov_b32_e32 v2, 0
	s_waitcnt lgkmcnt(0)
	global_store_dwordx2 v2, v[0:1], s[18:19]
                                        ; implicit-def: $vgpr2
.LBB3370_90:
	s_andn2_saveexec_b64 s[0:1], s[0:1]
	s_cbranch_execz .LBB3370_92
; %bb.91:
	ds_read_b64 v[0:1], v2 offset:1024
	v_mov_b32_e32 v2, 0
	s_waitcnt lgkmcnt(0)
	global_store_dwordx2 v2, v[0:1], s[18:19]
.LBB3370_92:
	s_endpgm
	.section	.rodata,"a",@progbits
	.p2align	6, 0x0
	.amdhsa_kernel _ZN7rocprim17ROCPRIM_400000_NS6detail17trampoline_kernelINS0_14default_configENS1_20scan_config_selectorIyEEZZNS1_9scan_implILNS1_25lookback_scan_determinismE0ELb1ELb1ES3_N6thrust23THRUST_200600_302600_NS6detail15normal_iteratorINS9_10device_ptrIyEEEENS9_16discard_iteratorINS9_11use_defaultEEEy11max_functorIyEyEEDaPvRmT3_T4_T5_mT6_P12ihipStream_tbENKUlT_T0_E_clISt17integral_constantIbLb1EESX_EEDaSS_ST_EUlSS_E_NS1_11comp_targetILNS1_3genE4ELNS1_11target_archE910ELNS1_3gpuE8ELNS1_3repE0EEENS1_30default_config_static_selectorELNS0_4arch9wavefront6targetE1EEEvT1_
		.amdhsa_group_segment_fixed_size 7168
		.amdhsa_private_segment_fixed_size 0
		.amdhsa_kernarg_size 112
		.amdhsa_user_sgpr_count 6
		.amdhsa_user_sgpr_private_segment_buffer 1
		.amdhsa_user_sgpr_dispatch_ptr 0
		.amdhsa_user_sgpr_queue_ptr 0
		.amdhsa_user_sgpr_kernarg_segment_ptr 1
		.amdhsa_user_sgpr_dispatch_id 0
		.amdhsa_user_sgpr_flat_scratch_init 0
		.amdhsa_user_sgpr_kernarg_preload_length 0
		.amdhsa_user_sgpr_kernarg_preload_offset 0
		.amdhsa_user_sgpr_private_segment_size 0
		.amdhsa_uses_dynamic_stack 0
		.amdhsa_system_sgpr_private_segment_wavefront_offset 0
		.amdhsa_system_sgpr_workgroup_id_x 1
		.amdhsa_system_sgpr_workgroup_id_y 0
		.amdhsa_system_sgpr_workgroup_id_z 0
		.amdhsa_system_sgpr_workgroup_info 0
		.amdhsa_system_vgpr_workitem_id 0
		.amdhsa_next_free_vgpr 57
		.amdhsa_next_free_sgpr 36
		.amdhsa_accum_offset 60
		.amdhsa_reserve_vcc 1
		.amdhsa_reserve_flat_scratch 0
		.amdhsa_float_round_mode_32 0
		.amdhsa_float_round_mode_16_64 0
		.amdhsa_float_denorm_mode_32 3
		.amdhsa_float_denorm_mode_16_64 3
		.amdhsa_dx10_clamp 1
		.amdhsa_ieee_mode 1
		.amdhsa_fp16_overflow 0
		.amdhsa_tg_split 0
		.amdhsa_exception_fp_ieee_invalid_op 0
		.amdhsa_exception_fp_denorm_src 0
		.amdhsa_exception_fp_ieee_div_zero 0
		.amdhsa_exception_fp_ieee_overflow 0
		.amdhsa_exception_fp_ieee_underflow 0
		.amdhsa_exception_fp_ieee_inexact 0
		.amdhsa_exception_int_div_zero 0
	.end_amdhsa_kernel
	.section	.text._ZN7rocprim17ROCPRIM_400000_NS6detail17trampoline_kernelINS0_14default_configENS1_20scan_config_selectorIyEEZZNS1_9scan_implILNS1_25lookback_scan_determinismE0ELb1ELb1ES3_N6thrust23THRUST_200600_302600_NS6detail15normal_iteratorINS9_10device_ptrIyEEEENS9_16discard_iteratorINS9_11use_defaultEEEy11max_functorIyEyEEDaPvRmT3_T4_T5_mT6_P12ihipStream_tbENKUlT_T0_E_clISt17integral_constantIbLb1EESX_EEDaSS_ST_EUlSS_E_NS1_11comp_targetILNS1_3genE4ELNS1_11target_archE910ELNS1_3gpuE8ELNS1_3repE0EEENS1_30default_config_static_selectorELNS0_4arch9wavefront6targetE1EEEvT1_,"axG",@progbits,_ZN7rocprim17ROCPRIM_400000_NS6detail17trampoline_kernelINS0_14default_configENS1_20scan_config_selectorIyEEZZNS1_9scan_implILNS1_25lookback_scan_determinismE0ELb1ELb1ES3_N6thrust23THRUST_200600_302600_NS6detail15normal_iteratorINS9_10device_ptrIyEEEENS9_16discard_iteratorINS9_11use_defaultEEEy11max_functorIyEyEEDaPvRmT3_T4_T5_mT6_P12ihipStream_tbENKUlT_T0_E_clISt17integral_constantIbLb1EESX_EEDaSS_ST_EUlSS_E_NS1_11comp_targetILNS1_3genE4ELNS1_11target_archE910ELNS1_3gpuE8ELNS1_3repE0EEENS1_30default_config_static_selectorELNS0_4arch9wavefront6targetE1EEEvT1_,comdat
.Lfunc_end3370:
	.size	_ZN7rocprim17ROCPRIM_400000_NS6detail17trampoline_kernelINS0_14default_configENS1_20scan_config_selectorIyEEZZNS1_9scan_implILNS1_25lookback_scan_determinismE0ELb1ELb1ES3_N6thrust23THRUST_200600_302600_NS6detail15normal_iteratorINS9_10device_ptrIyEEEENS9_16discard_iteratorINS9_11use_defaultEEEy11max_functorIyEyEEDaPvRmT3_T4_T5_mT6_P12ihipStream_tbENKUlT_T0_E_clISt17integral_constantIbLb1EESX_EEDaSS_ST_EUlSS_E_NS1_11comp_targetILNS1_3genE4ELNS1_11target_archE910ELNS1_3gpuE8ELNS1_3repE0EEENS1_30default_config_static_selectorELNS0_4arch9wavefront6targetE1EEEvT1_, .Lfunc_end3370-_ZN7rocprim17ROCPRIM_400000_NS6detail17trampoline_kernelINS0_14default_configENS1_20scan_config_selectorIyEEZZNS1_9scan_implILNS1_25lookback_scan_determinismE0ELb1ELb1ES3_N6thrust23THRUST_200600_302600_NS6detail15normal_iteratorINS9_10device_ptrIyEEEENS9_16discard_iteratorINS9_11use_defaultEEEy11max_functorIyEyEEDaPvRmT3_T4_T5_mT6_P12ihipStream_tbENKUlT_T0_E_clISt17integral_constantIbLb1EESX_EEDaSS_ST_EUlSS_E_NS1_11comp_targetILNS1_3genE4ELNS1_11target_archE910ELNS1_3gpuE8ELNS1_3repE0EEENS1_30default_config_static_selectorELNS0_4arch9wavefront6targetE1EEEvT1_
                                        ; -- End function
	.section	.AMDGPU.csdata,"",@progbits
; Kernel info:
; codeLenInByte = 5460
; NumSgprs: 40
; NumVgprs: 57
; NumAgprs: 0
; TotalNumVgprs: 57
; ScratchSize: 0
; MemoryBound: 0
; FloatMode: 240
; IeeeMode: 1
; LDSByteSize: 7168 bytes/workgroup (compile time only)
; SGPRBlocks: 4
; VGPRBlocks: 7
; NumSGPRsForWavesPerEU: 40
; NumVGPRsForWavesPerEU: 57
; AccumOffset: 60
; Occupancy: 5
; WaveLimiterHint : 1
; COMPUTE_PGM_RSRC2:SCRATCH_EN: 0
; COMPUTE_PGM_RSRC2:USER_SGPR: 6
; COMPUTE_PGM_RSRC2:TRAP_HANDLER: 0
; COMPUTE_PGM_RSRC2:TGID_X_EN: 1
; COMPUTE_PGM_RSRC2:TGID_Y_EN: 0
; COMPUTE_PGM_RSRC2:TGID_Z_EN: 0
; COMPUTE_PGM_RSRC2:TIDIG_COMP_CNT: 0
; COMPUTE_PGM_RSRC3_GFX90A:ACCUM_OFFSET: 14
; COMPUTE_PGM_RSRC3_GFX90A:TG_SPLIT: 0
	.section	.text._ZN7rocprim17ROCPRIM_400000_NS6detail17trampoline_kernelINS0_14default_configENS1_20scan_config_selectorIyEEZZNS1_9scan_implILNS1_25lookback_scan_determinismE0ELb1ELb1ES3_N6thrust23THRUST_200600_302600_NS6detail15normal_iteratorINS9_10device_ptrIyEEEENS9_16discard_iteratorINS9_11use_defaultEEEy11max_functorIyEyEEDaPvRmT3_T4_T5_mT6_P12ihipStream_tbENKUlT_T0_E_clISt17integral_constantIbLb1EESX_EEDaSS_ST_EUlSS_E_NS1_11comp_targetILNS1_3genE3ELNS1_11target_archE908ELNS1_3gpuE7ELNS1_3repE0EEENS1_30default_config_static_selectorELNS0_4arch9wavefront6targetE1EEEvT1_,"axG",@progbits,_ZN7rocprim17ROCPRIM_400000_NS6detail17trampoline_kernelINS0_14default_configENS1_20scan_config_selectorIyEEZZNS1_9scan_implILNS1_25lookback_scan_determinismE0ELb1ELb1ES3_N6thrust23THRUST_200600_302600_NS6detail15normal_iteratorINS9_10device_ptrIyEEEENS9_16discard_iteratorINS9_11use_defaultEEEy11max_functorIyEyEEDaPvRmT3_T4_T5_mT6_P12ihipStream_tbENKUlT_T0_E_clISt17integral_constantIbLb1EESX_EEDaSS_ST_EUlSS_E_NS1_11comp_targetILNS1_3genE3ELNS1_11target_archE908ELNS1_3gpuE7ELNS1_3repE0EEENS1_30default_config_static_selectorELNS0_4arch9wavefront6targetE1EEEvT1_,comdat
	.protected	_ZN7rocprim17ROCPRIM_400000_NS6detail17trampoline_kernelINS0_14default_configENS1_20scan_config_selectorIyEEZZNS1_9scan_implILNS1_25lookback_scan_determinismE0ELb1ELb1ES3_N6thrust23THRUST_200600_302600_NS6detail15normal_iteratorINS9_10device_ptrIyEEEENS9_16discard_iteratorINS9_11use_defaultEEEy11max_functorIyEyEEDaPvRmT3_T4_T5_mT6_P12ihipStream_tbENKUlT_T0_E_clISt17integral_constantIbLb1EESX_EEDaSS_ST_EUlSS_E_NS1_11comp_targetILNS1_3genE3ELNS1_11target_archE908ELNS1_3gpuE7ELNS1_3repE0EEENS1_30default_config_static_selectorELNS0_4arch9wavefront6targetE1EEEvT1_ ; -- Begin function _ZN7rocprim17ROCPRIM_400000_NS6detail17trampoline_kernelINS0_14default_configENS1_20scan_config_selectorIyEEZZNS1_9scan_implILNS1_25lookback_scan_determinismE0ELb1ELb1ES3_N6thrust23THRUST_200600_302600_NS6detail15normal_iteratorINS9_10device_ptrIyEEEENS9_16discard_iteratorINS9_11use_defaultEEEy11max_functorIyEyEEDaPvRmT3_T4_T5_mT6_P12ihipStream_tbENKUlT_T0_E_clISt17integral_constantIbLb1EESX_EEDaSS_ST_EUlSS_E_NS1_11comp_targetILNS1_3genE3ELNS1_11target_archE908ELNS1_3gpuE7ELNS1_3repE0EEENS1_30default_config_static_selectorELNS0_4arch9wavefront6targetE1EEEvT1_
	.globl	_ZN7rocprim17ROCPRIM_400000_NS6detail17trampoline_kernelINS0_14default_configENS1_20scan_config_selectorIyEEZZNS1_9scan_implILNS1_25lookback_scan_determinismE0ELb1ELb1ES3_N6thrust23THRUST_200600_302600_NS6detail15normal_iteratorINS9_10device_ptrIyEEEENS9_16discard_iteratorINS9_11use_defaultEEEy11max_functorIyEyEEDaPvRmT3_T4_T5_mT6_P12ihipStream_tbENKUlT_T0_E_clISt17integral_constantIbLb1EESX_EEDaSS_ST_EUlSS_E_NS1_11comp_targetILNS1_3genE3ELNS1_11target_archE908ELNS1_3gpuE7ELNS1_3repE0EEENS1_30default_config_static_selectorELNS0_4arch9wavefront6targetE1EEEvT1_
	.p2align	8
	.type	_ZN7rocprim17ROCPRIM_400000_NS6detail17trampoline_kernelINS0_14default_configENS1_20scan_config_selectorIyEEZZNS1_9scan_implILNS1_25lookback_scan_determinismE0ELb1ELb1ES3_N6thrust23THRUST_200600_302600_NS6detail15normal_iteratorINS9_10device_ptrIyEEEENS9_16discard_iteratorINS9_11use_defaultEEEy11max_functorIyEyEEDaPvRmT3_T4_T5_mT6_P12ihipStream_tbENKUlT_T0_E_clISt17integral_constantIbLb1EESX_EEDaSS_ST_EUlSS_E_NS1_11comp_targetILNS1_3genE3ELNS1_11target_archE908ELNS1_3gpuE7ELNS1_3repE0EEENS1_30default_config_static_selectorELNS0_4arch9wavefront6targetE1EEEvT1_,@function
_ZN7rocprim17ROCPRIM_400000_NS6detail17trampoline_kernelINS0_14default_configENS1_20scan_config_selectorIyEEZZNS1_9scan_implILNS1_25lookback_scan_determinismE0ELb1ELb1ES3_N6thrust23THRUST_200600_302600_NS6detail15normal_iteratorINS9_10device_ptrIyEEEENS9_16discard_iteratorINS9_11use_defaultEEEy11max_functorIyEyEEDaPvRmT3_T4_T5_mT6_P12ihipStream_tbENKUlT_T0_E_clISt17integral_constantIbLb1EESX_EEDaSS_ST_EUlSS_E_NS1_11comp_targetILNS1_3genE3ELNS1_11target_archE908ELNS1_3gpuE7ELNS1_3repE0EEENS1_30default_config_static_selectorELNS0_4arch9wavefront6targetE1EEEvT1_: ; @_ZN7rocprim17ROCPRIM_400000_NS6detail17trampoline_kernelINS0_14default_configENS1_20scan_config_selectorIyEEZZNS1_9scan_implILNS1_25lookback_scan_determinismE0ELb1ELb1ES3_N6thrust23THRUST_200600_302600_NS6detail15normal_iteratorINS9_10device_ptrIyEEEENS9_16discard_iteratorINS9_11use_defaultEEEy11max_functorIyEyEEDaPvRmT3_T4_T5_mT6_P12ihipStream_tbENKUlT_T0_E_clISt17integral_constantIbLb1EESX_EEDaSS_ST_EUlSS_E_NS1_11comp_targetILNS1_3genE3ELNS1_11target_archE908ELNS1_3gpuE7ELNS1_3repE0EEENS1_30default_config_static_selectorELNS0_4arch9wavefront6targetE1EEEvT1_
; %bb.0:
	.section	.rodata,"a",@progbits
	.p2align	6, 0x0
	.amdhsa_kernel _ZN7rocprim17ROCPRIM_400000_NS6detail17trampoline_kernelINS0_14default_configENS1_20scan_config_selectorIyEEZZNS1_9scan_implILNS1_25lookback_scan_determinismE0ELb1ELb1ES3_N6thrust23THRUST_200600_302600_NS6detail15normal_iteratorINS9_10device_ptrIyEEEENS9_16discard_iteratorINS9_11use_defaultEEEy11max_functorIyEyEEDaPvRmT3_T4_T5_mT6_P12ihipStream_tbENKUlT_T0_E_clISt17integral_constantIbLb1EESX_EEDaSS_ST_EUlSS_E_NS1_11comp_targetILNS1_3genE3ELNS1_11target_archE908ELNS1_3gpuE7ELNS1_3repE0EEENS1_30default_config_static_selectorELNS0_4arch9wavefront6targetE1EEEvT1_
		.amdhsa_group_segment_fixed_size 0
		.amdhsa_private_segment_fixed_size 0
		.amdhsa_kernarg_size 112
		.amdhsa_user_sgpr_count 6
		.amdhsa_user_sgpr_private_segment_buffer 1
		.amdhsa_user_sgpr_dispatch_ptr 0
		.amdhsa_user_sgpr_queue_ptr 0
		.amdhsa_user_sgpr_kernarg_segment_ptr 1
		.amdhsa_user_sgpr_dispatch_id 0
		.amdhsa_user_sgpr_flat_scratch_init 0
		.amdhsa_user_sgpr_kernarg_preload_length 0
		.amdhsa_user_sgpr_kernarg_preload_offset 0
		.amdhsa_user_sgpr_private_segment_size 0
		.amdhsa_uses_dynamic_stack 0
		.amdhsa_system_sgpr_private_segment_wavefront_offset 0
		.amdhsa_system_sgpr_workgroup_id_x 1
		.amdhsa_system_sgpr_workgroup_id_y 0
		.amdhsa_system_sgpr_workgroup_id_z 0
		.amdhsa_system_sgpr_workgroup_info 0
		.amdhsa_system_vgpr_workitem_id 0
		.amdhsa_next_free_vgpr 1
		.amdhsa_next_free_sgpr 0
		.amdhsa_accum_offset 4
		.amdhsa_reserve_vcc 0
		.amdhsa_reserve_flat_scratch 0
		.amdhsa_float_round_mode_32 0
		.amdhsa_float_round_mode_16_64 0
		.amdhsa_float_denorm_mode_32 3
		.amdhsa_float_denorm_mode_16_64 3
		.amdhsa_dx10_clamp 1
		.amdhsa_ieee_mode 1
		.amdhsa_fp16_overflow 0
		.amdhsa_tg_split 0
		.amdhsa_exception_fp_ieee_invalid_op 0
		.amdhsa_exception_fp_denorm_src 0
		.amdhsa_exception_fp_ieee_div_zero 0
		.amdhsa_exception_fp_ieee_overflow 0
		.amdhsa_exception_fp_ieee_underflow 0
		.amdhsa_exception_fp_ieee_inexact 0
		.amdhsa_exception_int_div_zero 0
	.end_amdhsa_kernel
	.section	.text._ZN7rocprim17ROCPRIM_400000_NS6detail17trampoline_kernelINS0_14default_configENS1_20scan_config_selectorIyEEZZNS1_9scan_implILNS1_25lookback_scan_determinismE0ELb1ELb1ES3_N6thrust23THRUST_200600_302600_NS6detail15normal_iteratorINS9_10device_ptrIyEEEENS9_16discard_iteratorINS9_11use_defaultEEEy11max_functorIyEyEEDaPvRmT3_T4_T5_mT6_P12ihipStream_tbENKUlT_T0_E_clISt17integral_constantIbLb1EESX_EEDaSS_ST_EUlSS_E_NS1_11comp_targetILNS1_3genE3ELNS1_11target_archE908ELNS1_3gpuE7ELNS1_3repE0EEENS1_30default_config_static_selectorELNS0_4arch9wavefront6targetE1EEEvT1_,"axG",@progbits,_ZN7rocprim17ROCPRIM_400000_NS6detail17trampoline_kernelINS0_14default_configENS1_20scan_config_selectorIyEEZZNS1_9scan_implILNS1_25lookback_scan_determinismE0ELb1ELb1ES3_N6thrust23THRUST_200600_302600_NS6detail15normal_iteratorINS9_10device_ptrIyEEEENS9_16discard_iteratorINS9_11use_defaultEEEy11max_functorIyEyEEDaPvRmT3_T4_T5_mT6_P12ihipStream_tbENKUlT_T0_E_clISt17integral_constantIbLb1EESX_EEDaSS_ST_EUlSS_E_NS1_11comp_targetILNS1_3genE3ELNS1_11target_archE908ELNS1_3gpuE7ELNS1_3repE0EEENS1_30default_config_static_selectorELNS0_4arch9wavefront6targetE1EEEvT1_,comdat
.Lfunc_end3371:
	.size	_ZN7rocprim17ROCPRIM_400000_NS6detail17trampoline_kernelINS0_14default_configENS1_20scan_config_selectorIyEEZZNS1_9scan_implILNS1_25lookback_scan_determinismE0ELb1ELb1ES3_N6thrust23THRUST_200600_302600_NS6detail15normal_iteratorINS9_10device_ptrIyEEEENS9_16discard_iteratorINS9_11use_defaultEEEy11max_functorIyEyEEDaPvRmT3_T4_T5_mT6_P12ihipStream_tbENKUlT_T0_E_clISt17integral_constantIbLb1EESX_EEDaSS_ST_EUlSS_E_NS1_11comp_targetILNS1_3genE3ELNS1_11target_archE908ELNS1_3gpuE7ELNS1_3repE0EEENS1_30default_config_static_selectorELNS0_4arch9wavefront6targetE1EEEvT1_, .Lfunc_end3371-_ZN7rocprim17ROCPRIM_400000_NS6detail17trampoline_kernelINS0_14default_configENS1_20scan_config_selectorIyEEZZNS1_9scan_implILNS1_25lookback_scan_determinismE0ELb1ELb1ES3_N6thrust23THRUST_200600_302600_NS6detail15normal_iteratorINS9_10device_ptrIyEEEENS9_16discard_iteratorINS9_11use_defaultEEEy11max_functorIyEyEEDaPvRmT3_T4_T5_mT6_P12ihipStream_tbENKUlT_T0_E_clISt17integral_constantIbLb1EESX_EEDaSS_ST_EUlSS_E_NS1_11comp_targetILNS1_3genE3ELNS1_11target_archE908ELNS1_3gpuE7ELNS1_3repE0EEENS1_30default_config_static_selectorELNS0_4arch9wavefront6targetE1EEEvT1_
                                        ; -- End function
	.section	.AMDGPU.csdata,"",@progbits
; Kernel info:
; codeLenInByte = 0
; NumSgprs: 4
; NumVgprs: 0
; NumAgprs: 0
; TotalNumVgprs: 0
; ScratchSize: 0
; MemoryBound: 0
; FloatMode: 240
; IeeeMode: 1
; LDSByteSize: 0 bytes/workgroup (compile time only)
; SGPRBlocks: 0
; VGPRBlocks: 0
; NumSGPRsForWavesPerEU: 4
; NumVGPRsForWavesPerEU: 1
; AccumOffset: 4
; Occupancy: 8
; WaveLimiterHint : 0
; COMPUTE_PGM_RSRC2:SCRATCH_EN: 0
; COMPUTE_PGM_RSRC2:USER_SGPR: 6
; COMPUTE_PGM_RSRC2:TRAP_HANDLER: 0
; COMPUTE_PGM_RSRC2:TGID_X_EN: 1
; COMPUTE_PGM_RSRC2:TGID_Y_EN: 0
; COMPUTE_PGM_RSRC2:TGID_Z_EN: 0
; COMPUTE_PGM_RSRC2:TIDIG_COMP_CNT: 0
; COMPUTE_PGM_RSRC3_GFX90A:ACCUM_OFFSET: 0
; COMPUTE_PGM_RSRC3_GFX90A:TG_SPLIT: 0
	.section	.text._ZN7rocprim17ROCPRIM_400000_NS6detail17trampoline_kernelINS0_14default_configENS1_20scan_config_selectorIyEEZZNS1_9scan_implILNS1_25lookback_scan_determinismE0ELb1ELb1ES3_N6thrust23THRUST_200600_302600_NS6detail15normal_iteratorINS9_10device_ptrIyEEEENS9_16discard_iteratorINS9_11use_defaultEEEy11max_functorIyEyEEDaPvRmT3_T4_T5_mT6_P12ihipStream_tbENKUlT_T0_E_clISt17integral_constantIbLb1EESX_EEDaSS_ST_EUlSS_E_NS1_11comp_targetILNS1_3genE2ELNS1_11target_archE906ELNS1_3gpuE6ELNS1_3repE0EEENS1_30default_config_static_selectorELNS0_4arch9wavefront6targetE1EEEvT1_,"axG",@progbits,_ZN7rocprim17ROCPRIM_400000_NS6detail17trampoline_kernelINS0_14default_configENS1_20scan_config_selectorIyEEZZNS1_9scan_implILNS1_25lookback_scan_determinismE0ELb1ELb1ES3_N6thrust23THRUST_200600_302600_NS6detail15normal_iteratorINS9_10device_ptrIyEEEENS9_16discard_iteratorINS9_11use_defaultEEEy11max_functorIyEyEEDaPvRmT3_T4_T5_mT6_P12ihipStream_tbENKUlT_T0_E_clISt17integral_constantIbLb1EESX_EEDaSS_ST_EUlSS_E_NS1_11comp_targetILNS1_3genE2ELNS1_11target_archE906ELNS1_3gpuE6ELNS1_3repE0EEENS1_30default_config_static_selectorELNS0_4arch9wavefront6targetE1EEEvT1_,comdat
	.protected	_ZN7rocprim17ROCPRIM_400000_NS6detail17trampoline_kernelINS0_14default_configENS1_20scan_config_selectorIyEEZZNS1_9scan_implILNS1_25lookback_scan_determinismE0ELb1ELb1ES3_N6thrust23THRUST_200600_302600_NS6detail15normal_iteratorINS9_10device_ptrIyEEEENS9_16discard_iteratorINS9_11use_defaultEEEy11max_functorIyEyEEDaPvRmT3_T4_T5_mT6_P12ihipStream_tbENKUlT_T0_E_clISt17integral_constantIbLb1EESX_EEDaSS_ST_EUlSS_E_NS1_11comp_targetILNS1_3genE2ELNS1_11target_archE906ELNS1_3gpuE6ELNS1_3repE0EEENS1_30default_config_static_selectorELNS0_4arch9wavefront6targetE1EEEvT1_ ; -- Begin function _ZN7rocprim17ROCPRIM_400000_NS6detail17trampoline_kernelINS0_14default_configENS1_20scan_config_selectorIyEEZZNS1_9scan_implILNS1_25lookback_scan_determinismE0ELb1ELb1ES3_N6thrust23THRUST_200600_302600_NS6detail15normal_iteratorINS9_10device_ptrIyEEEENS9_16discard_iteratorINS9_11use_defaultEEEy11max_functorIyEyEEDaPvRmT3_T4_T5_mT6_P12ihipStream_tbENKUlT_T0_E_clISt17integral_constantIbLb1EESX_EEDaSS_ST_EUlSS_E_NS1_11comp_targetILNS1_3genE2ELNS1_11target_archE906ELNS1_3gpuE6ELNS1_3repE0EEENS1_30default_config_static_selectorELNS0_4arch9wavefront6targetE1EEEvT1_
	.globl	_ZN7rocprim17ROCPRIM_400000_NS6detail17trampoline_kernelINS0_14default_configENS1_20scan_config_selectorIyEEZZNS1_9scan_implILNS1_25lookback_scan_determinismE0ELb1ELb1ES3_N6thrust23THRUST_200600_302600_NS6detail15normal_iteratorINS9_10device_ptrIyEEEENS9_16discard_iteratorINS9_11use_defaultEEEy11max_functorIyEyEEDaPvRmT3_T4_T5_mT6_P12ihipStream_tbENKUlT_T0_E_clISt17integral_constantIbLb1EESX_EEDaSS_ST_EUlSS_E_NS1_11comp_targetILNS1_3genE2ELNS1_11target_archE906ELNS1_3gpuE6ELNS1_3repE0EEENS1_30default_config_static_selectorELNS0_4arch9wavefront6targetE1EEEvT1_
	.p2align	8
	.type	_ZN7rocprim17ROCPRIM_400000_NS6detail17trampoline_kernelINS0_14default_configENS1_20scan_config_selectorIyEEZZNS1_9scan_implILNS1_25lookback_scan_determinismE0ELb1ELb1ES3_N6thrust23THRUST_200600_302600_NS6detail15normal_iteratorINS9_10device_ptrIyEEEENS9_16discard_iteratorINS9_11use_defaultEEEy11max_functorIyEyEEDaPvRmT3_T4_T5_mT6_P12ihipStream_tbENKUlT_T0_E_clISt17integral_constantIbLb1EESX_EEDaSS_ST_EUlSS_E_NS1_11comp_targetILNS1_3genE2ELNS1_11target_archE906ELNS1_3gpuE6ELNS1_3repE0EEENS1_30default_config_static_selectorELNS0_4arch9wavefront6targetE1EEEvT1_,@function
_ZN7rocprim17ROCPRIM_400000_NS6detail17trampoline_kernelINS0_14default_configENS1_20scan_config_selectorIyEEZZNS1_9scan_implILNS1_25lookback_scan_determinismE0ELb1ELb1ES3_N6thrust23THRUST_200600_302600_NS6detail15normal_iteratorINS9_10device_ptrIyEEEENS9_16discard_iteratorINS9_11use_defaultEEEy11max_functorIyEyEEDaPvRmT3_T4_T5_mT6_P12ihipStream_tbENKUlT_T0_E_clISt17integral_constantIbLb1EESX_EEDaSS_ST_EUlSS_E_NS1_11comp_targetILNS1_3genE2ELNS1_11target_archE906ELNS1_3gpuE6ELNS1_3repE0EEENS1_30default_config_static_selectorELNS0_4arch9wavefront6targetE1EEEvT1_: ; @_ZN7rocprim17ROCPRIM_400000_NS6detail17trampoline_kernelINS0_14default_configENS1_20scan_config_selectorIyEEZZNS1_9scan_implILNS1_25lookback_scan_determinismE0ELb1ELb1ES3_N6thrust23THRUST_200600_302600_NS6detail15normal_iteratorINS9_10device_ptrIyEEEENS9_16discard_iteratorINS9_11use_defaultEEEy11max_functorIyEyEEDaPvRmT3_T4_T5_mT6_P12ihipStream_tbENKUlT_T0_E_clISt17integral_constantIbLb1EESX_EEDaSS_ST_EUlSS_E_NS1_11comp_targetILNS1_3genE2ELNS1_11target_archE906ELNS1_3gpuE6ELNS1_3repE0EEENS1_30default_config_static_selectorELNS0_4arch9wavefront6targetE1EEEvT1_
; %bb.0:
	.section	.rodata,"a",@progbits
	.p2align	6, 0x0
	.amdhsa_kernel _ZN7rocprim17ROCPRIM_400000_NS6detail17trampoline_kernelINS0_14default_configENS1_20scan_config_selectorIyEEZZNS1_9scan_implILNS1_25lookback_scan_determinismE0ELb1ELb1ES3_N6thrust23THRUST_200600_302600_NS6detail15normal_iteratorINS9_10device_ptrIyEEEENS9_16discard_iteratorINS9_11use_defaultEEEy11max_functorIyEyEEDaPvRmT3_T4_T5_mT6_P12ihipStream_tbENKUlT_T0_E_clISt17integral_constantIbLb1EESX_EEDaSS_ST_EUlSS_E_NS1_11comp_targetILNS1_3genE2ELNS1_11target_archE906ELNS1_3gpuE6ELNS1_3repE0EEENS1_30default_config_static_selectorELNS0_4arch9wavefront6targetE1EEEvT1_
		.amdhsa_group_segment_fixed_size 0
		.amdhsa_private_segment_fixed_size 0
		.amdhsa_kernarg_size 112
		.amdhsa_user_sgpr_count 6
		.amdhsa_user_sgpr_private_segment_buffer 1
		.amdhsa_user_sgpr_dispatch_ptr 0
		.amdhsa_user_sgpr_queue_ptr 0
		.amdhsa_user_sgpr_kernarg_segment_ptr 1
		.amdhsa_user_sgpr_dispatch_id 0
		.amdhsa_user_sgpr_flat_scratch_init 0
		.amdhsa_user_sgpr_kernarg_preload_length 0
		.amdhsa_user_sgpr_kernarg_preload_offset 0
		.amdhsa_user_sgpr_private_segment_size 0
		.amdhsa_uses_dynamic_stack 0
		.amdhsa_system_sgpr_private_segment_wavefront_offset 0
		.amdhsa_system_sgpr_workgroup_id_x 1
		.amdhsa_system_sgpr_workgroup_id_y 0
		.amdhsa_system_sgpr_workgroup_id_z 0
		.amdhsa_system_sgpr_workgroup_info 0
		.amdhsa_system_vgpr_workitem_id 0
		.amdhsa_next_free_vgpr 1
		.amdhsa_next_free_sgpr 0
		.amdhsa_accum_offset 4
		.amdhsa_reserve_vcc 0
		.amdhsa_reserve_flat_scratch 0
		.amdhsa_float_round_mode_32 0
		.amdhsa_float_round_mode_16_64 0
		.amdhsa_float_denorm_mode_32 3
		.amdhsa_float_denorm_mode_16_64 3
		.amdhsa_dx10_clamp 1
		.amdhsa_ieee_mode 1
		.amdhsa_fp16_overflow 0
		.amdhsa_tg_split 0
		.amdhsa_exception_fp_ieee_invalid_op 0
		.amdhsa_exception_fp_denorm_src 0
		.amdhsa_exception_fp_ieee_div_zero 0
		.amdhsa_exception_fp_ieee_overflow 0
		.amdhsa_exception_fp_ieee_underflow 0
		.amdhsa_exception_fp_ieee_inexact 0
		.amdhsa_exception_int_div_zero 0
	.end_amdhsa_kernel
	.section	.text._ZN7rocprim17ROCPRIM_400000_NS6detail17trampoline_kernelINS0_14default_configENS1_20scan_config_selectorIyEEZZNS1_9scan_implILNS1_25lookback_scan_determinismE0ELb1ELb1ES3_N6thrust23THRUST_200600_302600_NS6detail15normal_iteratorINS9_10device_ptrIyEEEENS9_16discard_iteratorINS9_11use_defaultEEEy11max_functorIyEyEEDaPvRmT3_T4_T5_mT6_P12ihipStream_tbENKUlT_T0_E_clISt17integral_constantIbLb1EESX_EEDaSS_ST_EUlSS_E_NS1_11comp_targetILNS1_3genE2ELNS1_11target_archE906ELNS1_3gpuE6ELNS1_3repE0EEENS1_30default_config_static_selectorELNS0_4arch9wavefront6targetE1EEEvT1_,"axG",@progbits,_ZN7rocprim17ROCPRIM_400000_NS6detail17trampoline_kernelINS0_14default_configENS1_20scan_config_selectorIyEEZZNS1_9scan_implILNS1_25lookback_scan_determinismE0ELb1ELb1ES3_N6thrust23THRUST_200600_302600_NS6detail15normal_iteratorINS9_10device_ptrIyEEEENS9_16discard_iteratorINS9_11use_defaultEEEy11max_functorIyEyEEDaPvRmT3_T4_T5_mT6_P12ihipStream_tbENKUlT_T0_E_clISt17integral_constantIbLb1EESX_EEDaSS_ST_EUlSS_E_NS1_11comp_targetILNS1_3genE2ELNS1_11target_archE906ELNS1_3gpuE6ELNS1_3repE0EEENS1_30default_config_static_selectorELNS0_4arch9wavefront6targetE1EEEvT1_,comdat
.Lfunc_end3372:
	.size	_ZN7rocprim17ROCPRIM_400000_NS6detail17trampoline_kernelINS0_14default_configENS1_20scan_config_selectorIyEEZZNS1_9scan_implILNS1_25lookback_scan_determinismE0ELb1ELb1ES3_N6thrust23THRUST_200600_302600_NS6detail15normal_iteratorINS9_10device_ptrIyEEEENS9_16discard_iteratorINS9_11use_defaultEEEy11max_functorIyEyEEDaPvRmT3_T4_T5_mT6_P12ihipStream_tbENKUlT_T0_E_clISt17integral_constantIbLb1EESX_EEDaSS_ST_EUlSS_E_NS1_11comp_targetILNS1_3genE2ELNS1_11target_archE906ELNS1_3gpuE6ELNS1_3repE0EEENS1_30default_config_static_selectorELNS0_4arch9wavefront6targetE1EEEvT1_, .Lfunc_end3372-_ZN7rocprim17ROCPRIM_400000_NS6detail17trampoline_kernelINS0_14default_configENS1_20scan_config_selectorIyEEZZNS1_9scan_implILNS1_25lookback_scan_determinismE0ELb1ELb1ES3_N6thrust23THRUST_200600_302600_NS6detail15normal_iteratorINS9_10device_ptrIyEEEENS9_16discard_iteratorINS9_11use_defaultEEEy11max_functorIyEyEEDaPvRmT3_T4_T5_mT6_P12ihipStream_tbENKUlT_T0_E_clISt17integral_constantIbLb1EESX_EEDaSS_ST_EUlSS_E_NS1_11comp_targetILNS1_3genE2ELNS1_11target_archE906ELNS1_3gpuE6ELNS1_3repE0EEENS1_30default_config_static_selectorELNS0_4arch9wavefront6targetE1EEEvT1_
                                        ; -- End function
	.section	.AMDGPU.csdata,"",@progbits
; Kernel info:
; codeLenInByte = 0
; NumSgprs: 4
; NumVgprs: 0
; NumAgprs: 0
; TotalNumVgprs: 0
; ScratchSize: 0
; MemoryBound: 0
; FloatMode: 240
; IeeeMode: 1
; LDSByteSize: 0 bytes/workgroup (compile time only)
; SGPRBlocks: 0
; VGPRBlocks: 0
; NumSGPRsForWavesPerEU: 4
; NumVGPRsForWavesPerEU: 1
; AccumOffset: 4
; Occupancy: 8
; WaveLimiterHint : 0
; COMPUTE_PGM_RSRC2:SCRATCH_EN: 0
; COMPUTE_PGM_RSRC2:USER_SGPR: 6
; COMPUTE_PGM_RSRC2:TRAP_HANDLER: 0
; COMPUTE_PGM_RSRC2:TGID_X_EN: 1
; COMPUTE_PGM_RSRC2:TGID_Y_EN: 0
; COMPUTE_PGM_RSRC2:TGID_Z_EN: 0
; COMPUTE_PGM_RSRC2:TIDIG_COMP_CNT: 0
; COMPUTE_PGM_RSRC3_GFX90A:ACCUM_OFFSET: 0
; COMPUTE_PGM_RSRC3_GFX90A:TG_SPLIT: 0
	.section	.text._ZN7rocprim17ROCPRIM_400000_NS6detail17trampoline_kernelINS0_14default_configENS1_20scan_config_selectorIyEEZZNS1_9scan_implILNS1_25lookback_scan_determinismE0ELb1ELb1ES3_N6thrust23THRUST_200600_302600_NS6detail15normal_iteratorINS9_10device_ptrIyEEEENS9_16discard_iteratorINS9_11use_defaultEEEy11max_functorIyEyEEDaPvRmT3_T4_T5_mT6_P12ihipStream_tbENKUlT_T0_E_clISt17integral_constantIbLb1EESX_EEDaSS_ST_EUlSS_E_NS1_11comp_targetILNS1_3genE10ELNS1_11target_archE1201ELNS1_3gpuE5ELNS1_3repE0EEENS1_30default_config_static_selectorELNS0_4arch9wavefront6targetE1EEEvT1_,"axG",@progbits,_ZN7rocprim17ROCPRIM_400000_NS6detail17trampoline_kernelINS0_14default_configENS1_20scan_config_selectorIyEEZZNS1_9scan_implILNS1_25lookback_scan_determinismE0ELb1ELb1ES3_N6thrust23THRUST_200600_302600_NS6detail15normal_iteratorINS9_10device_ptrIyEEEENS9_16discard_iteratorINS9_11use_defaultEEEy11max_functorIyEyEEDaPvRmT3_T4_T5_mT6_P12ihipStream_tbENKUlT_T0_E_clISt17integral_constantIbLb1EESX_EEDaSS_ST_EUlSS_E_NS1_11comp_targetILNS1_3genE10ELNS1_11target_archE1201ELNS1_3gpuE5ELNS1_3repE0EEENS1_30default_config_static_selectorELNS0_4arch9wavefront6targetE1EEEvT1_,comdat
	.protected	_ZN7rocprim17ROCPRIM_400000_NS6detail17trampoline_kernelINS0_14default_configENS1_20scan_config_selectorIyEEZZNS1_9scan_implILNS1_25lookback_scan_determinismE0ELb1ELb1ES3_N6thrust23THRUST_200600_302600_NS6detail15normal_iteratorINS9_10device_ptrIyEEEENS9_16discard_iteratorINS9_11use_defaultEEEy11max_functorIyEyEEDaPvRmT3_T4_T5_mT6_P12ihipStream_tbENKUlT_T0_E_clISt17integral_constantIbLb1EESX_EEDaSS_ST_EUlSS_E_NS1_11comp_targetILNS1_3genE10ELNS1_11target_archE1201ELNS1_3gpuE5ELNS1_3repE0EEENS1_30default_config_static_selectorELNS0_4arch9wavefront6targetE1EEEvT1_ ; -- Begin function _ZN7rocprim17ROCPRIM_400000_NS6detail17trampoline_kernelINS0_14default_configENS1_20scan_config_selectorIyEEZZNS1_9scan_implILNS1_25lookback_scan_determinismE0ELb1ELb1ES3_N6thrust23THRUST_200600_302600_NS6detail15normal_iteratorINS9_10device_ptrIyEEEENS9_16discard_iteratorINS9_11use_defaultEEEy11max_functorIyEyEEDaPvRmT3_T4_T5_mT6_P12ihipStream_tbENKUlT_T0_E_clISt17integral_constantIbLb1EESX_EEDaSS_ST_EUlSS_E_NS1_11comp_targetILNS1_3genE10ELNS1_11target_archE1201ELNS1_3gpuE5ELNS1_3repE0EEENS1_30default_config_static_selectorELNS0_4arch9wavefront6targetE1EEEvT1_
	.globl	_ZN7rocprim17ROCPRIM_400000_NS6detail17trampoline_kernelINS0_14default_configENS1_20scan_config_selectorIyEEZZNS1_9scan_implILNS1_25lookback_scan_determinismE0ELb1ELb1ES3_N6thrust23THRUST_200600_302600_NS6detail15normal_iteratorINS9_10device_ptrIyEEEENS9_16discard_iteratorINS9_11use_defaultEEEy11max_functorIyEyEEDaPvRmT3_T4_T5_mT6_P12ihipStream_tbENKUlT_T0_E_clISt17integral_constantIbLb1EESX_EEDaSS_ST_EUlSS_E_NS1_11comp_targetILNS1_3genE10ELNS1_11target_archE1201ELNS1_3gpuE5ELNS1_3repE0EEENS1_30default_config_static_selectorELNS0_4arch9wavefront6targetE1EEEvT1_
	.p2align	8
	.type	_ZN7rocprim17ROCPRIM_400000_NS6detail17trampoline_kernelINS0_14default_configENS1_20scan_config_selectorIyEEZZNS1_9scan_implILNS1_25lookback_scan_determinismE0ELb1ELb1ES3_N6thrust23THRUST_200600_302600_NS6detail15normal_iteratorINS9_10device_ptrIyEEEENS9_16discard_iteratorINS9_11use_defaultEEEy11max_functorIyEyEEDaPvRmT3_T4_T5_mT6_P12ihipStream_tbENKUlT_T0_E_clISt17integral_constantIbLb1EESX_EEDaSS_ST_EUlSS_E_NS1_11comp_targetILNS1_3genE10ELNS1_11target_archE1201ELNS1_3gpuE5ELNS1_3repE0EEENS1_30default_config_static_selectorELNS0_4arch9wavefront6targetE1EEEvT1_,@function
_ZN7rocprim17ROCPRIM_400000_NS6detail17trampoline_kernelINS0_14default_configENS1_20scan_config_selectorIyEEZZNS1_9scan_implILNS1_25lookback_scan_determinismE0ELb1ELb1ES3_N6thrust23THRUST_200600_302600_NS6detail15normal_iteratorINS9_10device_ptrIyEEEENS9_16discard_iteratorINS9_11use_defaultEEEy11max_functorIyEyEEDaPvRmT3_T4_T5_mT6_P12ihipStream_tbENKUlT_T0_E_clISt17integral_constantIbLb1EESX_EEDaSS_ST_EUlSS_E_NS1_11comp_targetILNS1_3genE10ELNS1_11target_archE1201ELNS1_3gpuE5ELNS1_3repE0EEENS1_30default_config_static_selectorELNS0_4arch9wavefront6targetE1EEEvT1_: ; @_ZN7rocprim17ROCPRIM_400000_NS6detail17trampoline_kernelINS0_14default_configENS1_20scan_config_selectorIyEEZZNS1_9scan_implILNS1_25lookback_scan_determinismE0ELb1ELb1ES3_N6thrust23THRUST_200600_302600_NS6detail15normal_iteratorINS9_10device_ptrIyEEEENS9_16discard_iteratorINS9_11use_defaultEEEy11max_functorIyEyEEDaPvRmT3_T4_T5_mT6_P12ihipStream_tbENKUlT_T0_E_clISt17integral_constantIbLb1EESX_EEDaSS_ST_EUlSS_E_NS1_11comp_targetILNS1_3genE10ELNS1_11target_archE1201ELNS1_3gpuE5ELNS1_3repE0EEENS1_30default_config_static_selectorELNS0_4arch9wavefront6targetE1EEEvT1_
; %bb.0:
	.section	.rodata,"a",@progbits
	.p2align	6, 0x0
	.amdhsa_kernel _ZN7rocprim17ROCPRIM_400000_NS6detail17trampoline_kernelINS0_14default_configENS1_20scan_config_selectorIyEEZZNS1_9scan_implILNS1_25lookback_scan_determinismE0ELb1ELb1ES3_N6thrust23THRUST_200600_302600_NS6detail15normal_iteratorINS9_10device_ptrIyEEEENS9_16discard_iteratorINS9_11use_defaultEEEy11max_functorIyEyEEDaPvRmT3_T4_T5_mT6_P12ihipStream_tbENKUlT_T0_E_clISt17integral_constantIbLb1EESX_EEDaSS_ST_EUlSS_E_NS1_11comp_targetILNS1_3genE10ELNS1_11target_archE1201ELNS1_3gpuE5ELNS1_3repE0EEENS1_30default_config_static_selectorELNS0_4arch9wavefront6targetE1EEEvT1_
		.amdhsa_group_segment_fixed_size 0
		.amdhsa_private_segment_fixed_size 0
		.amdhsa_kernarg_size 112
		.amdhsa_user_sgpr_count 6
		.amdhsa_user_sgpr_private_segment_buffer 1
		.amdhsa_user_sgpr_dispatch_ptr 0
		.amdhsa_user_sgpr_queue_ptr 0
		.amdhsa_user_sgpr_kernarg_segment_ptr 1
		.amdhsa_user_sgpr_dispatch_id 0
		.amdhsa_user_sgpr_flat_scratch_init 0
		.amdhsa_user_sgpr_kernarg_preload_length 0
		.amdhsa_user_sgpr_kernarg_preload_offset 0
		.amdhsa_user_sgpr_private_segment_size 0
		.amdhsa_uses_dynamic_stack 0
		.amdhsa_system_sgpr_private_segment_wavefront_offset 0
		.amdhsa_system_sgpr_workgroup_id_x 1
		.amdhsa_system_sgpr_workgroup_id_y 0
		.amdhsa_system_sgpr_workgroup_id_z 0
		.amdhsa_system_sgpr_workgroup_info 0
		.amdhsa_system_vgpr_workitem_id 0
		.amdhsa_next_free_vgpr 1
		.amdhsa_next_free_sgpr 0
		.amdhsa_accum_offset 4
		.amdhsa_reserve_vcc 0
		.amdhsa_reserve_flat_scratch 0
		.amdhsa_float_round_mode_32 0
		.amdhsa_float_round_mode_16_64 0
		.amdhsa_float_denorm_mode_32 3
		.amdhsa_float_denorm_mode_16_64 3
		.amdhsa_dx10_clamp 1
		.amdhsa_ieee_mode 1
		.amdhsa_fp16_overflow 0
		.amdhsa_tg_split 0
		.amdhsa_exception_fp_ieee_invalid_op 0
		.amdhsa_exception_fp_denorm_src 0
		.amdhsa_exception_fp_ieee_div_zero 0
		.amdhsa_exception_fp_ieee_overflow 0
		.amdhsa_exception_fp_ieee_underflow 0
		.amdhsa_exception_fp_ieee_inexact 0
		.amdhsa_exception_int_div_zero 0
	.end_amdhsa_kernel
	.section	.text._ZN7rocprim17ROCPRIM_400000_NS6detail17trampoline_kernelINS0_14default_configENS1_20scan_config_selectorIyEEZZNS1_9scan_implILNS1_25lookback_scan_determinismE0ELb1ELb1ES3_N6thrust23THRUST_200600_302600_NS6detail15normal_iteratorINS9_10device_ptrIyEEEENS9_16discard_iteratorINS9_11use_defaultEEEy11max_functorIyEyEEDaPvRmT3_T4_T5_mT6_P12ihipStream_tbENKUlT_T0_E_clISt17integral_constantIbLb1EESX_EEDaSS_ST_EUlSS_E_NS1_11comp_targetILNS1_3genE10ELNS1_11target_archE1201ELNS1_3gpuE5ELNS1_3repE0EEENS1_30default_config_static_selectorELNS0_4arch9wavefront6targetE1EEEvT1_,"axG",@progbits,_ZN7rocprim17ROCPRIM_400000_NS6detail17trampoline_kernelINS0_14default_configENS1_20scan_config_selectorIyEEZZNS1_9scan_implILNS1_25lookback_scan_determinismE0ELb1ELb1ES3_N6thrust23THRUST_200600_302600_NS6detail15normal_iteratorINS9_10device_ptrIyEEEENS9_16discard_iteratorINS9_11use_defaultEEEy11max_functorIyEyEEDaPvRmT3_T4_T5_mT6_P12ihipStream_tbENKUlT_T0_E_clISt17integral_constantIbLb1EESX_EEDaSS_ST_EUlSS_E_NS1_11comp_targetILNS1_3genE10ELNS1_11target_archE1201ELNS1_3gpuE5ELNS1_3repE0EEENS1_30default_config_static_selectorELNS0_4arch9wavefront6targetE1EEEvT1_,comdat
.Lfunc_end3373:
	.size	_ZN7rocprim17ROCPRIM_400000_NS6detail17trampoline_kernelINS0_14default_configENS1_20scan_config_selectorIyEEZZNS1_9scan_implILNS1_25lookback_scan_determinismE0ELb1ELb1ES3_N6thrust23THRUST_200600_302600_NS6detail15normal_iteratorINS9_10device_ptrIyEEEENS9_16discard_iteratorINS9_11use_defaultEEEy11max_functorIyEyEEDaPvRmT3_T4_T5_mT6_P12ihipStream_tbENKUlT_T0_E_clISt17integral_constantIbLb1EESX_EEDaSS_ST_EUlSS_E_NS1_11comp_targetILNS1_3genE10ELNS1_11target_archE1201ELNS1_3gpuE5ELNS1_3repE0EEENS1_30default_config_static_selectorELNS0_4arch9wavefront6targetE1EEEvT1_, .Lfunc_end3373-_ZN7rocprim17ROCPRIM_400000_NS6detail17trampoline_kernelINS0_14default_configENS1_20scan_config_selectorIyEEZZNS1_9scan_implILNS1_25lookback_scan_determinismE0ELb1ELb1ES3_N6thrust23THRUST_200600_302600_NS6detail15normal_iteratorINS9_10device_ptrIyEEEENS9_16discard_iteratorINS9_11use_defaultEEEy11max_functorIyEyEEDaPvRmT3_T4_T5_mT6_P12ihipStream_tbENKUlT_T0_E_clISt17integral_constantIbLb1EESX_EEDaSS_ST_EUlSS_E_NS1_11comp_targetILNS1_3genE10ELNS1_11target_archE1201ELNS1_3gpuE5ELNS1_3repE0EEENS1_30default_config_static_selectorELNS0_4arch9wavefront6targetE1EEEvT1_
                                        ; -- End function
	.section	.AMDGPU.csdata,"",@progbits
; Kernel info:
; codeLenInByte = 0
; NumSgprs: 4
; NumVgprs: 0
; NumAgprs: 0
; TotalNumVgprs: 0
; ScratchSize: 0
; MemoryBound: 0
; FloatMode: 240
; IeeeMode: 1
; LDSByteSize: 0 bytes/workgroup (compile time only)
; SGPRBlocks: 0
; VGPRBlocks: 0
; NumSGPRsForWavesPerEU: 4
; NumVGPRsForWavesPerEU: 1
; AccumOffset: 4
; Occupancy: 8
; WaveLimiterHint : 0
; COMPUTE_PGM_RSRC2:SCRATCH_EN: 0
; COMPUTE_PGM_RSRC2:USER_SGPR: 6
; COMPUTE_PGM_RSRC2:TRAP_HANDLER: 0
; COMPUTE_PGM_RSRC2:TGID_X_EN: 1
; COMPUTE_PGM_RSRC2:TGID_Y_EN: 0
; COMPUTE_PGM_RSRC2:TGID_Z_EN: 0
; COMPUTE_PGM_RSRC2:TIDIG_COMP_CNT: 0
; COMPUTE_PGM_RSRC3_GFX90A:ACCUM_OFFSET: 0
; COMPUTE_PGM_RSRC3_GFX90A:TG_SPLIT: 0
	.section	.text._ZN7rocprim17ROCPRIM_400000_NS6detail17trampoline_kernelINS0_14default_configENS1_20scan_config_selectorIyEEZZNS1_9scan_implILNS1_25lookback_scan_determinismE0ELb1ELb1ES3_N6thrust23THRUST_200600_302600_NS6detail15normal_iteratorINS9_10device_ptrIyEEEENS9_16discard_iteratorINS9_11use_defaultEEEy11max_functorIyEyEEDaPvRmT3_T4_T5_mT6_P12ihipStream_tbENKUlT_T0_E_clISt17integral_constantIbLb1EESX_EEDaSS_ST_EUlSS_E_NS1_11comp_targetILNS1_3genE10ELNS1_11target_archE1200ELNS1_3gpuE4ELNS1_3repE0EEENS1_30default_config_static_selectorELNS0_4arch9wavefront6targetE1EEEvT1_,"axG",@progbits,_ZN7rocprim17ROCPRIM_400000_NS6detail17trampoline_kernelINS0_14default_configENS1_20scan_config_selectorIyEEZZNS1_9scan_implILNS1_25lookback_scan_determinismE0ELb1ELb1ES3_N6thrust23THRUST_200600_302600_NS6detail15normal_iteratorINS9_10device_ptrIyEEEENS9_16discard_iteratorINS9_11use_defaultEEEy11max_functorIyEyEEDaPvRmT3_T4_T5_mT6_P12ihipStream_tbENKUlT_T0_E_clISt17integral_constantIbLb1EESX_EEDaSS_ST_EUlSS_E_NS1_11comp_targetILNS1_3genE10ELNS1_11target_archE1200ELNS1_3gpuE4ELNS1_3repE0EEENS1_30default_config_static_selectorELNS0_4arch9wavefront6targetE1EEEvT1_,comdat
	.protected	_ZN7rocprim17ROCPRIM_400000_NS6detail17trampoline_kernelINS0_14default_configENS1_20scan_config_selectorIyEEZZNS1_9scan_implILNS1_25lookback_scan_determinismE0ELb1ELb1ES3_N6thrust23THRUST_200600_302600_NS6detail15normal_iteratorINS9_10device_ptrIyEEEENS9_16discard_iteratorINS9_11use_defaultEEEy11max_functorIyEyEEDaPvRmT3_T4_T5_mT6_P12ihipStream_tbENKUlT_T0_E_clISt17integral_constantIbLb1EESX_EEDaSS_ST_EUlSS_E_NS1_11comp_targetILNS1_3genE10ELNS1_11target_archE1200ELNS1_3gpuE4ELNS1_3repE0EEENS1_30default_config_static_selectorELNS0_4arch9wavefront6targetE1EEEvT1_ ; -- Begin function _ZN7rocprim17ROCPRIM_400000_NS6detail17trampoline_kernelINS0_14default_configENS1_20scan_config_selectorIyEEZZNS1_9scan_implILNS1_25lookback_scan_determinismE0ELb1ELb1ES3_N6thrust23THRUST_200600_302600_NS6detail15normal_iteratorINS9_10device_ptrIyEEEENS9_16discard_iteratorINS9_11use_defaultEEEy11max_functorIyEyEEDaPvRmT3_T4_T5_mT6_P12ihipStream_tbENKUlT_T0_E_clISt17integral_constantIbLb1EESX_EEDaSS_ST_EUlSS_E_NS1_11comp_targetILNS1_3genE10ELNS1_11target_archE1200ELNS1_3gpuE4ELNS1_3repE0EEENS1_30default_config_static_selectorELNS0_4arch9wavefront6targetE1EEEvT1_
	.globl	_ZN7rocprim17ROCPRIM_400000_NS6detail17trampoline_kernelINS0_14default_configENS1_20scan_config_selectorIyEEZZNS1_9scan_implILNS1_25lookback_scan_determinismE0ELb1ELb1ES3_N6thrust23THRUST_200600_302600_NS6detail15normal_iteratorINS9_10device_ptrIyEEEENS9_16discard_iteratorINS9_11use_defaultEEEy11max_functorIyEyEEDaPvRmT3_T4_T5_mT6_P12ihipStream_tbENKUlT_T0_E_clISt17integral_constantIbLb1EESX_EEDaSS_ST_EUlSS_E_NS1_11comp_targetILNS1_3genE10ELNS1_11target_archE1200ELNS1_3gpuE4ELNS1_3repE0EEENS1_30default_config_static_selectorELNS0_4arch9wavefront6targetE1EEEvT1_
	.p2align	8
	.type	_ZN7rocprim17ROCPRIM_400000_NS6detail17trampoline_kernelINS0_14default_configENS1_20scan_config_selectorIyEEZZNS1_9scan_implILNS1_25lookback_scan_determinismE0ELb1ELb1ES3_N6thrust23THRUST_200600_302600_NS6detail15normal_iteratorINS9_10device_ptrIyEEEENS9_16discard_iteratorINS9_11use_defaultEEEy11max_functorIyEyEEDaPvRmT3_T4_T5_mT6_P12ihipStream_tbENKUlT_T0_E_clISt17integral_constantIbLb1EESX_EEDaSS_ST_EUlSS_E_NS1_11comp_targetILNS1_3genE10ELNS1_11target_archE1200ELNS1_3gpuE4ELNS1_3repE0EEENS1_30default_config_static_selectorELNS0_4arch9wavefront6targetE1EEEvT1_,@function
_ZN7rocprim17ROCPRIM_400000_NS6detail17trampoline_kernelINS0_14default_configENS1_20scan_config_selectorIyEEZZNS1_9scan_implILNS1_25lookback_scan_determinismE0ELb1ELb1ES3_N6thrust23THRUST_200600_302600_NS6detail15normal_iteratorINS9_10device_ptrIyEEEENS9_16discard_iteratorINS9_11use_defaultEEEy11max_functorIyEyEEDaPvRmT3_T4_T5_mT6_P12ihipStream_tbENKUlT_T0_E_clISt17integral_constantIbLb1EESX_EEDaSS_ST_EUlSS_E_NS1_11comp_targetILNS1_3genE10ELNS1_11target_archE1200ELNS1_3gpuE4ELNS1_3repE0EEENS1_30default_config_static_selectorELNS0_4arch9wavefront6targetE1EEEvT1_: ; @_ZN7rocprim17ROCPRIM_400000_NS6detail17trampoline_kernelINS0_14default_configENS1_20scan_config_selectorIyEEZZNS1_9scan_implILNS1_25lookback_scan_determinismE0ELb1ELb1ES3_N6thrust23THRUST_200600_302600_NS6detail15normal_iteratorINS9_10device_ptrIyEEEENS9_16discard_iteratorINS9_11use_defaultEEEy11max_functorIyEyEEDaPvRmT3_T4_T5_mT6_P12ihipStream_tbENKUlT_T0_E_clISt17integral_constantIbLb1EESX_EEDaSS_ST_EUlSS_E_NS1_11comp_targetILNS1_3genE10ELNS1_11target_archE1200ELNS1_3gpuE4ELNS1_3repE0EEENS1_30default_config_static_selectorELNS0_4arch9wavefront6targetE1EEEvT1_
; %bb.0:
	.section	.rodata,"a",@progbits
	.p2align	6, 0x0
	.amdhsa_kernel _ZN7rocprim17ROCPRIM_400000_NS6detail17trampoline_kernelINS0_14default_configENS1_20scan_config_selectorIyEEZZNS1_9scan_implILNS1_25lookback_scan_determinismE0ELb1ELb1ES3_N6thrust23THRUST_200600_302600_NS6detail15normal_iteratorINS9_10device_ptrIyEEEENS9_16discard_iteratorINS9_11use_defaultEEEy11max_functorIyEyEEDaPvRmT3_T4_T5_mT6_P12ihipStream_tbENKUlT_T0_E_clISt17integral_constantIbLb1EESX_EEDaSS_ST_EUlSS_E_NS1_11comp_targetILNS1_3genE10ELNS1_11target_archE1200ELNS1_3gpuE4ELNS1_3repE0EEENS1_30default_config_static_selectorELNS0_4arch9wavefront6targetE1EEEvT1_
		.amdhsa_group_segment_fixed_size 0
		.amdhsa_private_segment_fixed_size 0
		.amdhsa_kernarg_size 112
		.amdhsa_user_sgpr_count 6
		.amdhsa_user_sgpr_private_segment_buffer 1
		.amdhsa_user_sgpr_dispatch_ptr 0
		.amdhsa_user_sgpr_queue_ptr 0
		.amdhsa_user_sgpr_kernarg_segment_ptr 1
		.amdhsa_user_sgpr_dispatch_id 0
		.amdhsa_user_sgpr_flat_scratch_init 0
		.amdhsa_user_sgpr_kernarg_preload_length 0
		.amdhsa_user_sgpr_kernarg_preload_offset 0
		.amdhsa_user_sgpr_private_segment_size 0
		.amdhsa_uses_dynamic_stack 0
		.amdhsa_system_sgpr_private_segment_wavefront_offset 0
		.amdhsa_system_sgpr_workgroup_id_x 1
		.amdhsa_system_sgpr_workgroup_id_y 0
		.amdhsa_system_sgpr_workgroup_id_z 0
		.amdhsa_system_sgpr_workgroup_info 0
		.amdhsa_system_vgpr_workitem_id 0
		.amdhsa_next_free_vgpr 1
		.amdhsa_next_free_sgpr 0
		.amdhsa_accum_offset 4
		.amdhsa_reserve_vcc 0
		.amdhsa_reserve_flat_scratch 0
		.amdhsa_float_round_mode_32 0
		.amdhsa_float_round_mode_16_64 0
		.amdhsa_float_denorm_mode_32 3
		.amdhsa_float_denorm_mode_16_64 3
		.amdhsa_dx10_clamp 1
		.amdhsa_ieee_mode 1
		.amdhsa_fp16_overflow 0
		.amdhsa_tg_split 0
		.amdhsa_exception_fp_ieee_invalid_op 0
		.amdhsa_exception_fp_denorm_src 0
		.amdhsa_exception_fp_ieee_div_zero 0
		.amdhsa_exception_fp_ieee_overflow 0
		.amdhsa_exception_fp_ieee_underflow 0
		.amdhsa_exception_fp_ieee_inexact 0
		.amdhsa_exception_int_div_zero 0
	.end_amdhsa_kernel
	.section	.text._ZN7rocprim17ROCPRIM_400000_NS6detail17trampoline_kernelINS0_14default_configENS1_20scan_config_selectorIyEEZZNS1_9scan_implILNS1_25lookback_scan_determinismE0ELb1ELb1ES3_N6thrust23THRUST_200600_302600_NS6detail15normal_iteratorINS9_10device_ptrIyEEEENS9_16discard_iteratorINS9_11use_defaultEEEy11max_functorIyEyEEDaPvRmT3_T4_T5_mT6_P12ihipStream_tbENKUlT_T0_E_clISt17integral_constantIbLb1EESX_EEDaSS_ST_EUlSS_E_NS1_11comp_targetILNS1_3genE10ELNS1_11target_archE1200ELNS1_3gpuE4ELNS1_3repE0EEENS1_30default_config_static_selectorELNS0_4arch9wavefront6targetE1EEEvT1_,"axG",@progbits,_ZN7rocprim17ROCPRIM_400000_NS6detail17trampoline_kernelINS0_14default_configENS1_20scan_config_selectorIyEEZZNS1_9scan_implILNS1_25lookback_scan_determinismE0ELb1ELb1ES3_N6thrust23THRUST_200600_302600_NS6detail15normal_iteratorINS9_10device_ptrIyEEEENS9_16discard_iteratorINS9_11use_defaultEEEy11max_functorIyEyEEDaPvRmT3_T4_T5_mT6_P12ihipStream_tbENKUlT_T0_E_clISt17integral_constantIbLb1EESX_EEDaSS_ST_EUlSS_E_NS1_11comp_targetILNS1_3genE10ELNS1_11target_archE1200ELNS1_3gpuE4ELNS1_3repE0EEENS1_30default_config_static_selectorELNS0_4arch9wavefront6targetE1EEEvT1_,comdat
.Lfunc_end3374:
	.size	_ZN7rocprim17ROCPRIM_400000_NS6detail17trampoline_kernelINS0_14default_configENS1_20scan_config_selectorIyEEZZNS1_9scan_implILNS1_25lookback_scan_determinismE0ELb1ELb1ES3_N6thrust23THRUST_200600_302600_NS6detail15normal_iteratorINS9_10device_ptrIyEEEENS9_16discard_iteratorINS9_11use_defaultEEEy11max_functorIyEyEEDaPvRmT3_T4_T5_mT6_P12ihipStream_tbENKUlT_T0_E_clISt17integral_constantIbLb1EESX_EEDaSS_ST_EUlSS_E_NS1_11comp_targetILNS1_3genE10ELNS1_11target_archE1200ELNS1_3gpuE4ELNS1_3repE0EEENS1_30default_config_static_selectorELNS0_4arch9wavefront6targetE1EEEvT1_, .Lfunc_end3374-_ZN7rocprim17ROCPRIM_400000_NS6detail17trampoline_kernelINS0_14default_configENS1_20scan_config_selectorIyEEZZNS1_9scan_implILNS1_25lookback_scan_determinismE0ELb1ELb1ES3_N6thrust23THRUST_200600_302600_NS6detail15normal_iteratorINS9_10device_ptrIyEEEENS9_16discard_iteratorINS9_11use_defaultEEEy11max_functorIyEyEEDaPvRmT3_T4_T5_mT6_P12ihipStream_tbENKUlT_T0_E_clISt17integral_constantIbLb1EESX_EEDaSS_ST_EUlSS_E_NS1_11comp_targetILNS1_3genE10ELNS1_11target_archE1200ELNS1_3gpuE4ELNS1_3repE0EEENS1_30default_config_static_selectorELNS0_4arch9wavefront6targetE1EEEvT1_
                                        ; -- End function
	.section	.AMDGPU.csdata,"",@progbits
; Kernel info:
; codeLenInByte = 0
; NumSgprs: 4
; NumVgprs: 0
; NumAgprs: 0
; TotalNumVgprs: 0
; ScratchSize: 0
; MemoryBound: 0
; FloatMode: 240
; IeeeMode: 1
; LDSByteSize: 0 bytes/workgroup (compile time only)
; SGPRBlocks: 0
; VGPRBlocks: 0
; NumSGPRsForWavesPerEU: 4
; NumVGPRsForWavesPerEU: 1
; AccumOffset: 4
; Occupancy: 8
; WaveLimiterHint : 0
; COMPUTE_PGM_RSRC2:SCRATCH_EN: 0
; COMPUTE_PGM_RSRC2:USER_SGPR: 6
; COMPUTE_PGM_RSRC2:TRAP_HANDLER: 0
; COMPUTE_PGM_RSRC2:TGID_X_EN: 1
; COMPUTE_PGM_RSRC2:TGID_Y_EN: 0
; COMPUTE_PGM_RSRC2:TGID_Z_EN: 0
; COMPUTE_PGM_RSRC2:TIDIG_COMP_CNT: 0
; COMPUTE_PGM_RSRC3_GFX90A:ACCUM_OFFSET: 0
; COMPUTE_PGM_RSRC3_GFX90A:TG_SPLIT: 0
	.section	.text._ZN7rocprim17ROCPRIM_400000_NS6detail17trampoline_kernelINS0_14default_configENS1_20scan_config_selectorIyEEZZNS1_9scan_implILNS1_25lookback_scan_determinismE0ELb1ELb1ES3_N6thrust23THRUST_200600_302600_NS6detail15normal_iteratorINS9_10device_ptrIyEEEENS9_16discard_iteratorINS9_11use_defaultEEEy11max_functorIyEyEEDaPvRmT3_T4_T5_mT6_P12ihipStream_tbENKUlT_T0_E_clISt17integral_constantIbLb1EESX_EEDaSS_ST_EUlSS_E_NS1_11comp_targetILNS1_3genE9ELNS1_11target_archE1100ELNS1_3gpuE3ELNS1_3repE0EEENS1_30default_config_static_selectorELNS0_4arch9wavefront6targetE1EEEvT1_,"axG",@progbits,_ZN7rocprim17ROCPRIM_400000_NS6detail17trampoline_kernelINS0_14default_configENS1_20scan_config_selectorIyEEZZNS1_9scan_implILNS1_25lookback_scan_determinismE0ELb1ELb1ES3_N6thrust23THRUST_200600_302600_NS6detail15normal_iteratorINS9_10device_ptrIyEEEENS9_16discard_iteratorINS9_11use_defaultEEEy11max_functorIyEyEEDaPvRmT3_T4_T5_mT6_P12ihipStream_tbENKUlT_T0_E_clISt17integral_constantIbLb1EESX_EEDaSS_ST_EUlSS_E_NS1_11comp_targetILNS1_3genE9ELNS1_11target_archE1100ELNS1_3gpuE3ELNS1_3repE0EEENS1_30default_config_static_selectorELNS0_4arch9wavefront6targetE1EEEvT1_,comdat
	.protected	_ZN7rocprim17ROCPRIM_400000_NS6detail17trampoline_kernelINS0_14default_configENS1_20scan_config_selectorIyEEZZNS1_9scan_implILNS1_25lookback_scan_determinismE0ELb1ELb1ES3_N6thrust23THRUST_200600_302600_NS6detail15normal_iteratorINS9_10device_ptrIyEEEENS9_16discard_iteratorINS9_11use_defaultEEEy11max_functorIyEyEEDaPvRmT3_T4_T5_mT6_P12ihipStream_tbENKUlT_T0_E_clISt17integral_constantIbLb1EESX_EEDaSS_ST_EUlSS_E_NS1_11comp_targetILNS1_3genE9ELNS1_11target_archE1100ELNS1_3gpuE3ELNS1_3repE0EEENS1_30default_config_static_selectorELNS0_4arch9wavefront6targetE1EEEvT1_ ; -- Begin function _ZN7rocprim17ROCPRIM_400000_NS6detail17trampoline_kernelINS0_14default_configENS1_20scan_config_selectorIyEEZZNS1_9scan_implILNS1_25lookback_scan_determinismE0ELb1ELb1ES3_N6thrust23THRUST_200600_302600_NS6detail15normal_iteratorINS9_10device_ptrIyEEEENS9_16discard_iteratorINS9_11use_defaultEEEy11max_functorIyEyEEDaPvRmT3_T4_T5_mT6_P12ihipStream_tbENKUlT_T0_E_clISt17integral_constantIbLb1EESX_EEDaSS_ST_EUlSS_E_NS1_11comp_targetILNS1_3genE9ELNS1_11target_archE1100ELNS1_3gpuE3ELNS1_3repE0EEENS1_30default_config_static_selectorELNS0_4arch9wavefront6targetE1EEEvT1_
	.globl	_ZN7rocprim17ROCPRIM_400000_NS6detail17trampoline_kernelINS0_14default_configENS1_20scan_config_selectorIyEEZZNS1_9scan_implILNS1_25lookback_scan_determinismE0ELb1ELb1ES3_N6thrust23THRUST_200600_302600_NS6detail15normal_iteratorINS9_10device_ptrIyEEEENS9_16discard_iteratorINS9_11use_defaultEEEy11max_functorIyEyEEDaPvRmT3_T4_T5_mT6_P12ihipStream_tbENKUlT_T0_E_clISt17integral_constantIbLb1EESX_EEDaSS_ST_EUlSS_E_NS1_11comp_targetILNS1_3genE9ELNS1_11target_archE1100ELNS1_3gpuE3ELNS1_3repE0EEENS1_30default_config_static_selectorELNS0_4arch9wavefront6targetE1EEEvT1_
	.p2align	8
	.type	_ZN7rocprim17ROCPRIM_400000_NS6detail17trampoline_kernelINS0_14default_configENS1_20scan_config_selectorIyEEZZNS1_9scan_implILNS1_25lookback_scan_determinismE0ELb1ELb1ES3_N6thrust23THRUST_200600_302600_NS6detail15normal_iteratorINS9_10device_ptrIyEEEENS9_16discard_iteratorINS9_11use_defaultEEEy11max_functorIyEyEEDaPvRmT3_T4_T5_mT6_P12ihipStream_tbENKUlT_T0_E_clISt17integral_constantIbLb1EESX_EEDaSS_ST_EUlSS_E_NS1_11comp_targetILNS1_3genE9ELNS1_11target_archE1100ELNS1_3gpuE3ELNS1_3repE0EEENS1_30default_config_static_selectorELNS0_4arch9wavefront6targetE1EEEvT1_,@function
_ZN7rocprim17ROCPRIM_400000_NS6detail17trampoline_kernelINS0_14default_configENS1_20scan_config_selectorIyEEZZNS1_9scan_implILNS1_25lookback_scan_determinismE0ELb1ELb1ES3_N6thrust23THRUST_200600_302600_NS6detail15normal_iteratorINS9_10device_ptrIyEEEENS9_16discard_iteratorINS9_11use_defaultEEEy11max_functorIyEyEEDaPvRmT3_T4_T5_mT6_P12ihipStream_tbENKUlT_T0_E_clISt17integral_constantIbLb1EESX_EEDaSS_ST_EUlSS_E_NS1_11comp_targetILNS1_3genE9ELNS1_11target_archE1100ELNS1_3gpuE3ELNS1_3repE0EEENS1_30default_config_static_selectorELNS0_4arch9wavefront6targetE1EEEvT1_: ; @_ZN7rocprim17ROCPRIM_400000_NS6detail17trampoline_kernelINS0_14default_configENS1_20scan_config_selectorIyEEZZNS1_9scan_implILNS1_25lookback_scan_determinismE0ELb1ELb1ES3_N6thrust23THRUST_200600_302600_NS6detail15normal_iteratorINS9_10device_ptrIyEEEENS9_16discard_iteratorINS9_11use_defaultEEEy11max_functorIyEyEEDaPvRmT3_T4_T5_mT6_P12ihipStream_tbENKUlT_T0_E_clISt17integral_constantIbLb1EESX_EEDaSS_ST_EUlSS_E_NS1_11comp_targetILNS1_3genE9ELNS1_11target_archE1100ELNS1_3gpuE3ELNS1_3repE0EEENS1_30default_config_static_selectorELNS0_4arch9wavefront6targetE1EEEvT1_
; %bb.0:
	.section	.rodata,"a",@progbits
	.p2align	6, 0x0
	.amdhsa_kernel _ZN7rocprim17ROCPRIM_400000_NS6detail17trampoline_kernelINS0_14default_configENS1_20scan_config_selectorIyEEZZNS1_9scan_implILNS1_25lookback_scan_determinismE0ELb1ELb1ES3_N6thrust23THRUST_200600_302600_NS6detail15normal_iteratorINS9_10device_ptrIyEEEENS9_16discard_iteratorINS9_11use_defaultEEEy11max_functorIyEyEEDaPvRmT3_T4_T5_mT6_P12ihipStream_tbENKUlT_T0_E_clISt17integral_constantIbLb1EESX_EEDaSS_ST_EUlSS_E_NS1_11comp_targetILNS1_3genE9ELNS1_11target_archE1100ELNS1_3gpuE3ELNS1_3repE0EEENS1_30default_config_static_selectorELNS0_4arch9wavefront6targetE1EEEvT1_
		.amdhsa_group_segment_fixed_size 0
		.amdhsa_private_segment_fixed_size 0
		.amdhsa_kernarg_size 112
		.amdhsa_user_sgpr_count 6
		.amdhsa_user_sgpr_private_segment_buffer 1
		.amdhsa_user_sgpr_dispatch_ptr 0
		.amdhsa_user_sgpr_queue_ptr 0
		.amdhsa_user_sgpr_kernarg_segment_ptr 1
		.amdhsa_user_sgpr_dispatch_id 0
		.amdhsa_user_sgpr_flat_scratch_init 0
		.amdhsa_user_sgpr_kernarg_preload_length 0
		.amdhsa_user_sgpr_kernarg_preload_offset 0
		.amdhsa_user_sgpr_private_segment_size 0
		.amdhsa_uses_dynamic_stack 0
		.amdhsa_system_sgpr_private_segment_wavefront_offset 0
		.amdhsa_system_sgpr_workgroup_id_x 1
		.amdhsa_system_sgpr_workgroup_id_y 0
		.amdhsa_system_sgpr_workgroup_id_z 0
		.amdhsa_system_sgpr_workgroup_info 0
		.amdhsa_system_vgpr_workitem_id 0
		.amdhsa_next_free_vgpr 1
		.amdhsa_next_free_sgpr 0
		.amdhsa_accum_offset 4
		.amdhsa_reserve_vcc 0
		.amdhsa_reserve_flat_scratch 0
		.amdhsa_float_round_mode_32 0
		.amdhsa_float_round_mode_16_64 0
		.amdhsa_float_denorm_mode_32 3
		.amdhsa_float_denorm_mode_16_64 3
		.amdhsa_dx10_clamp 1
		.amdhsa_ieee_mode 1
		.amdhsa_fp16_overflow 0
		.amdhsa_tg_split 0
		.amdhsa_exception_fp_ieee_invalid_op 0
		.amdhsa_exception_fp_denorm_src 0
		.amdhsa_exception_fp_ieee_div_zero 0
		.amdhsa_exception_fp_ieee_overflow 0
		.amdhsa_exception_fp_ieee_underflow 0
		.amdhsa_exception_fp_ieee_inexact 0
		.amdhsa_exception_int_div_zero 0
	.end_amdhsa_kernel
	.section	.text._ZN7rocprim17ROCPRIM_400000_NS6detail17trampoline_kernelINS0_14default_configENS1_20scan_config_selectorIyEEZZNS1_9scan_implILNS1_25lookback_scan_determinismE0ELb1ELb1ES3_N6thrust23THRUST_200600_302600_NS6detail15normal_iteratorINS9_10device_ptrIyEEEENS9_16discard_iteratorINS9_11use_defaultEEEy11max_functorIyEyEEDaPvRmT3_T4_T5_mT6_P12ihipStream_tbENKUlT_T0_E_clISt17integral_constantIbLb1EESX_EEDaSS_ST_EUlSS_E_NS1_11comp_targetILNS1_3genE9ELNS1_11target_archE1100ELNS1_3gpuE3ELNS1_3repE0EEENS1_30default_config_static_selectorELNS0_4arch9wavefront6targetE1EEEvT1_,"axG",@progbits,_ZN7rocprim17ROCPRIM_400000_NS6detail17trampoline_kernelINS0_14default_configENS1_20scan_config_selectorIyEEZZNS1_9scan_implILNS1_25lookback_scan_determinismE0ELb1ELb1ES3_N6thrust23THRUST_200600_302600_NS6detail15normal_iteratorINS9_10device_ptrIyEEEENS9_16discard_iteratorINS9_11use_defaultEEEy11max_functorIyEyEEDaPvRmT3_T4_T5_mT6_P12ihipStream_tbENKUlT_T0_E_clISt17integral_constantIbLb1EESX_EEDaSS_ST_EUlSS_E_NS1_11comp_targetILNS1_3genE9ELNS1_11target_archE1100ELNS1_3gpuE3ELNS1_3repE0EEENS1_30default_config_static_selectorELNS0_4arch9wavefront6targetE1EEEvT1_,comdat
.Lfunc_end3375:
	.size	_ZN7rocprim17ROCPRIM_400000_NS6detail17trampoline_kernelINS0_14default_configENS1_20scan_config_selectorIyEEZZNS1_9scan_implILNS1_25lookback_scan_determinismE0ELb1ELb1ES3_N6thrust23THRUST_200600_302600_NS6detail15normal_iteratorINS9_10device_ptrIyEEEENS9_16discard_iteratorINS9_11use_defaultEEEy11max_functorIyEyEEDaPvRmT3_T4_T5_mT6_P12ihipStream_tbENKUlT_T0_E_clISt17integral_constantIbLb1EESX_EEDaSS_ST_EUlSS_E_NS1_11comp_targetILNS1_3genE9ELNS1_11target_archE1100ELNS1_3gpuE3ELNS1_3repE0EEENS1_30default_config_static_selectorELNS0_4arch9wavefront6targetE1EEEvT1_, .Lfunc_end3375-_ZN7rocprim17ROCPRIM_400000_NS6detail17trampoline_kernelINS0_14default_configENS1_20scan_config_selectorIyEEZZNS1_9scan_implILNS1_25lookback_scan_determinismE0ELb1ELb1ES3_N6thrust23THRUST_200600_302600_NS6detail15normal_iteratorINS9_10device_ptrIyEEEENS9_16discard_iteratorINS9_11use_defaultEEEy11max_functorIyEyEEDaPvRmT3_T4_T5_mT6_P12ihipStream_tbENKUlT_T0_E_clISt17integral_constantIbLb1EESX_EEDaSS_ST_EUlSS_E_NS1_11comp_targetILNS1_3genE9ELNS1_11target_archE1100ELNS1_3gpuE3ELNS1_3repE0EEENS1_30default_config_static_selectorELNS0_4arch9wavefront6targetE1EEEvT1_
                                        ; -- End function
	.section	.AMDGPU.csdata,"",@progbits
; Kernel info:
; codeLenInByte = 0
; NumSgprs: 4
; NumVgprs: 0
; NumAgprs: 0
; TotalNumVgprs: 0
; ScratchSize: 0
; MemoryBound: 0
; FloatMode: 240
; IeeeMode: 1
; LDSByteSize: 0 bytes/workgroup (compile time only)
; SGPRBlocks: 0
; VGPRBlocks: 0
; NumSGPRsForWavesPerEU: 4
; NumVGPRsForWavesPerEU: 1
; AccumOffset: 4
; Occupancy: 8
; WaveLimiterHint : 0
; COMPUTE_PGM_RSRC2:SCRATCH_EN: 0
; COMPUTE_PGM_RSRC2:USER_SGPR: 6
; COMPUTE_PGM_RSRC2:TRAP_HANDLER: 0
; COMPUTE_PGM_RSRC2:TGID_X_EN: 1
; COMPUTE_PGM_RSRC2:TGID_Y_EN: 0
; COMPUTE_PGM_RSRC2:TGID_Z_EN: 0
; COMPUTE_PGM_RSRC2:TIDIG_COMP_CNT: 0
; COMPUTE_PGM_RSRC3_GFX90A:ACCUM_OFFSET: 0
; COMPUTE_PGM_RSRC3_GFX90A:TG_SPLIT: 0
	.section	.text._ZN7rocprim17ROCPRIM_400000_NS6detail17trampoline_kernelINS0_14default_configENS1_20scan_config_selectorIyEEZZNS1_9scan_implILNS1_25lookback_scan_determinismE0ELb1ELb1ES3_N6thrust23THRUST_200600_302600_NS6detail15normal_iteratorINS9_10device_ptrIyEEEENS9_16discard_iteratorINS9_11use_defaultEEEy11max_functorIyEyEEDaPvRmT3_T4_T5_mT6_P12ihipStream_tbENKUlT_T0_E_clISt17integral_constantIbLb1EESX_EEDaSS_ST_EUlSS_E_NS1_11comp_targetILNS1_3genE8ELNS1_11target_archE1030ELNS1_3gpuE2ELNS1_3repE0EEENS1_30default_config_static_selectorELNS0_4arch9wavefront6targetE1EEEvT1_,"axG",@progbits,_ZN7rocprim17ROCPRIM_400000_NS6detail17trampoline_kernelINS0_14default_configENS1_20scan_config_selectorIyEEZZNS1_9scan_implILNS1_25lookback_scan_determinismE0ELb1ELb1ES3_N6thrust23THRUST_200600_302600_NS6detail15normal_iteratorINS9_10device_ptrIyEEEENS9_16discard_iteratorINS9_11use_defaultEEEy11max_functorIyEyEEDaPvRmT3_T4_T5_mT6_P12ihipStream_tbENKUlT_T0_E_clISt17integral_constantIbLb1EESX_EEDaSS_ST_EUlSS_E_NS1_11comp_targetILNS1_3genE8ELNS1_11target_archE1030ELNS1_3gpuE2ELNS1_3repE0EEENS1_30default_config_static_selectorELNS0_4arch9wavefront6targetE1EEEvT1_,comdat
	.protected	_ZN7rocprim17ROCPRIM_400000_NS6detail17trampoline_kernelINS0_14default_configENS1_20scan_config_selectorIyEEZZNS1_9scan_implILNS1_25lookback_scan_determinismE0ELb1ELb1ES3_N6thrust23THRUST_200600_302600_NS6detail15normal_iteratorINS9_10device_ptrIyEEEENS9_16discard_iteratorINS9_11use_defaultEEEy11max_functorIyEyEEDaPvRmT3_T4_T5_mT6_P12ihipStream_tbENKUlT_T0_E_clISt17integral_constantIbLb1EESX_EEDaSS_ST_EUlSS_E_NS1_11comp_targetILNS1_3genE8ELNS1_11target_archE1030ELNS1_3gpuE2ELNS1_3repE0EEENS1_30default_config_static_selectorELNS0_4arch9wavefront6targetE1EEEvT1_ ; -- Begin function _ZN7rocprim17ROCPRIM_400000_NS6detail17trampoline_kernelINS0_14default_configENS1_20scan_config_selectorIyEEZZNS1_9scan_implILNS1_25lookback_scan_determinismE0ELb1ELb1ES3_N6thrust23THRUST_200600_302600_NS6detail15normal_iteratorINS9_10device_ptrIyEEEENS9_16discard_iteratorINS9_11use_defaultEEEy11max_functorIyEyEEDaPvRmT3_T4_T5_mT6_P12ihipStream_tbENKUlT_T0_E_clISt17integral_constantIbLb1EESX_EEDaSS_ST_EUlSS_E_NS1_11comp_targetILNS1_3genE8ELNS1_11target_archE1030ELNS1_3gpuE2ELNS1_3repE0EEENS1_30default_config_static_selectorELNS0_4arch9wavefront6targetE1EEEvT1_
	.globl	_ZN7rocprim17ROCPRIM_400000_NS6detail17trampoline_kernelINS0_14default_configENS1_20scan_config_selectorIyEEZZNS1_9scan_implILNS1_25lookback_scan_determinismE0ELb1ELb1ES3_N6thrust23THRUST_200600_302600_NS6detail15normal_iteratorINS9_10device_ptrIyEEEENS9_16discard_iteratorINS9_11use_defaultEEEy11max_functorIyEyEEDaPvRmT3_T4_T5_mT6_P12ihipStream_tbENKUlT_T0_E_clISt17integral_constantIbLb1EESX_EEDaSS_ST_EUlSS_E_NS1_11comp_targetILNS1_3genE8ELNS1_11target_archE1030ELNS1_3gpuE2ELNS1_3repE0EEENS1_30default_config_static_selectorELNS0_4arch9wavefront6targetE1EEEvT1_
	.p2align	8
	.type	_ZN7rocprim17ROCPRIM_400000_NS6detail17trampoline_kernelINS0_14default_configENS1_20scan_config_selectorIyEEZZNS1_9scan_implILNS1_25lookback_scan_determinismE0ELb1ELb1ES3_N6thrust23THRUST_200600_302600_NS6detail15normal_iteratorINS9_10device_ptrIyEEEENS9_16discard_iteratorINS9_11use_defaultEEEy11max_functorIyEyEEDaPvRmT3_T4_T5_mT6_P12ihipStream_tbENKUlT_T0_E_clISt17integral_constantIbLb1EESX_EEDaSS_ST_EUlSS_E_NS1_11comp_targetILNS1_3genE8ELNS1_11target_archE1030ELNS1_3gpuE2ELNS1_3repE0EEENS1_30default_config_static_selectorELNS0_4arch9wavefront6targetE1EEEvT1_,@function
_ZN7rocprim17ROCPRIM_400000_NS6detail17trampoline_kernelINS0_14default_configENS1_20scan_config_selectorIyEEZZNS1_9scan_implILNS1_25lookback_scan_determinismE0ELb1ELb1ES3_N6thrust23THRUST_200600_302600_NS6detail15normal_iteratorINS9_10device_ptrIyEEEENS9_16discard_iteratorINS9_11use_defaultEEEy11max_functorIyEyEEDaPvRmT3_T4_T5_mT6_P12ihipStream_tbENKUlT_T0_E_clISt17integral_constantIbLb1EESX_EEDaSS_ST_EUlSS_E_NS1_11comp_targetILNS1_3genE8ELNS1_11target_archE1030ELNS1_3gpuE2ELNS1_3repE0EEENS1_30default_config_static_selectorELNS0_4arch9wavefront6targetE1EEEvT1_: ; @_ZN7rocprim17ROCPRIM_400000_NS6detail17trampoline_kernelINS0_14default_configENS1_20scan_config_selectorIyEEZZNS1_9scan_implILNS1_25lookback_scan_determinismE0ELb1ELb1ES3_N6thrust23THRUST_200600_302600_NS6detail15normal_iteratorINS9_10device_ptrIyEEEENS9_16discard_iteratorINS9_11use_defaultEEEy11max_functorIyEyEEDaPvRmT3_T4_T5_mT6_P12ihipStream_tbENKUlT_T0_E_clISt17integral_constantIbLb1EESX_EEDaSS_ST_EUlSS_E_NS1_11comp_targetILNS1_3genE8ELNS1_11target_archE1030ELNS1_3gpuE2ELNS1_3repE0EEENS1_30default_config_static_selectorELNS0_4arch9wavefront6targetE1EEEvT1_
; %bb.0:
	.section	.rodata,"a",@progbits
	.p2align	6, 0x0
	.amdhsa_kernel _ZN7rocprim17ROCPRIM_400000_NS6detail17trampoline_kernelINS0_14default_configENS1_20scan_config_selectorIyEEZZNS1_9scan_implILNS1_25lookback_scan_determinismE0ELb1ELb1ES3_N6thrust23THRUST_200600_302600_NS6detail15normal_iteratorINS9_10device_ptrIyEEEENS9_16discard_iteratorINS9_11use_defaultEEEy11max_functorIyEyEEDaPvRmT3_T4_T5_mT6_P12ihipStream_tbENKUlT_T0_E_clISt17integral_constantIbLb1EESX_EEDaSS_ST_EUlSS_E_NS1_11comp_targetILNS1_3genE8ELNS1_11target_archE1030ELNS1_3gpuE2ELNS1_3repE0EEENS1_30default_config_static_selectorELNS0_4arch9wavefront6targetE1EEEvT1_
		.amdhsa_group_segment_fixed_size 0
		.amdhsa_private_segment_fixed_size 0
		.amdhsa_kernarg_size 112
		.amdhsa_user_sgpr_count 6
		.amdhsa_user_sgpr_private_segment_buffer 1
		.amdhsa_user_sgpr_dispatch_ptr 0
		.amdhsa_user_sgpr_queue_ptr 0
		.amdhsa_user_sgpr_kernarg_segment_ptr 1
		.amdhsa_user_sgpr_dispatch_id 0
		.amdhsa_user_sgpr_flat_scratch_init 0
		.amdhsa_user_sgpr_kernarg_preload_length 0
		.amdhsa_user_sgpr_kernarg_preload_offset 0
		.amdhsa_user_sgpr_private_segment_size 0
		.amdhsa_uses_dynamic_stack 0
		.amdhsa_system_sgpr_private_segment_wavefront_offset 0
		.amdhsa_system_sgpr_workgroup_id_x 1
		.amdhsa_system_sgpr_workgroup_id_y 0
		.amdhsa_system_sgpr_workgroup_id_z 0
		.amdhsa_system_sgpr_workgroup_info 0
		.amdhsa_system_vgpr_workitem_id 0
		.amdhsa_next_free_vgpr 1
		.amdhsa_next_free_sgpr 0
		.amdhsa_accum_offset 4
		.amdhsa_reserve_vcc 0
		.amdhsa_reserve_flat_scratch 0
		.amdhsa_float_round_mode_32 0
		.amdhsa_float_round_mode_16_64 0
		.amdhsa_float_denorm_mode_32 3
		.amdhsa_float_denorm_mode_16_64 3
		.amdhsa_dx10_clamp 1
		.amdhsa_ieee_mode 1
		.amdhsa_fp16_overflow 0
		.amdhsa_tg_split 0
		.amdhsa_exception_fp_ieee_invalid_op 0
		.amdhsa_exception_fp_denorm_src 0
		.amdhsa_exception_fp_ieee_div_zero 0
		.amdhsa_exception_fp_ieee_overflow 0
		.amdhsa_exception_fp_ieee_underflow 0
		.amdhsa_exception_fp_ieee_inexact 0
		.amdhsa_exception_int_div_zero 0
	.end_amdhsa_kernel
	.section	.text._ZN7rocprim17ROCPRIM_400000_NS6detail17trampoline_kernelINS0_14default_configENS1_20scan_config_selectorIyEEZZNS1_9scan_implILNS1_25lookback_scan_determinismE0ELb1ELb1ES3_N6thrust23THRUST_200600_302600_NS6detail15normal_iteratorINS9_10device_ptrIyEEEENS9_16discard_iteratorINS9_11use_defaultEEEy11max_functorIyEyEEDaPvRmT3_T4_T5_mT6_P12ihipStream_tbENKUlT_T0_E_clISt17integral_constantIbLb1EESX_EEDaSS_ST_EUlSS_E_NS1_11comp_targetILNS1_3genE8ELNS1_11target_archE1030ELNS1_3gpuE2ELNS1_3repE0EEENS1_30default_config_static_selectorELNS0_4arch9wavefront6targetE1EEEvT1_,"axG",@progbits,_ZN7rocprim17ROCPRIM_400000_NS6detail17trampoline_kernelINS0_14default_configENS1_20scan_config_selectorIyEEZZNS1_9scan_implILNS1_25lookback_scan_determinismE0ELb1ELb1ES3_N6thrust23THRUST_200600_302600_NS6detail15normal_iteratorINS9_10device_ptrIyEEEENS9_16discard_iteratorINS9_11use_defaultEEEy11max_functorIyEyEEDaPvRmT3_T4_T5_mT6_P12ihipStream_tbENKUlT_T0_E_clISt17integral_constantIbLb1EESX_EEDaSS_ST_EUlSS_E_NS1_11comp_targetILNS1_3genE8ELNS1_11target_archE1030ELNS1_3gpuE2ELNS1_3repE0EEENS1_30default_config_static_selectorELNS0_4arch9wavefront6targetE1EEEvT1_,comdat
.Lfunc_end3376:
	.size	_ZN7rocprim17ROCPRIM_400000_NS6detail17trampoline_kernelINS0_14default_configENS1_20scan_config_selectorIyEEZZNS1_9scan_implILNS1_25lookback_scan_determinismE0ELb1ELb1ES3_N6thrust23THRUST_200600_302600_NS6detail15normal_iteratorINS9_10device_ptrIyEEEENS9_16discard_iteratorINS9_11use_defaultEEEy11max_functorIyEyEEDaPvRmT3_T4_T5_mT6_P12ihipStream_tbENKUlT_T0_E_clISt17integral_constantIbLb1EESX_EEDaSS_ST_EUlSS_E_NS1_11comp_targetILNS1_3genE8ELNS1_11target_archE1030ELNS1_3gpuE2ELNS1_3repE0EEENS1_30default_config_static_selectorELNS0_4arch9wavefront6targetE1EEEvT1_, .Lfunc_end3376-_ZN7rocprim17ROCPRIM_400000_NS6detail17trampoline_kernelINS0_14default_configENS1_20scan_config_selectorIyEEZZNS1_9scan_implILNS1_25lookback_scan_determinismE0ELb1ELb1ES3_N6thrust23THRUST_200600_302600_NS6detail15normal_iteratorINS9_10device_ptrIyEEEENS9_16discard_iteratorINS9_11use_defaultEEEy11max_functorIyEyEEDaPvRmT3_T4_T5_mT6_P12ihipStream_tbENKUlT_T0_E_clISt17integral_constantIbLb1EESX_EEDaSS_ST_EUlSS_E_NS1_11comp_targetILNS1_3genE8ELNS1_11target_archE1030ELNS1_3gpuE2ELNS1_3repE0EEENS1_30default_config_static_selectorELNS0_4arch9wavefront6targetE1EEEvT1_
                                        ; -- End function
	.section	.AMDGPU.csdata,"",@progbits
; Kernel info:
; codeLenInByte = 0
; NumSgprs: 4
; NumVgprs: 0
; NumAgprs: 0
; TotalNumVgprs: 0
; ScratchSize: 0
; MemoryBound: 0
; FloatMode: 240
; IeeeMode: 1
; LDSByteSize: 0 bytes/workgroup (compile time only)
; SGPRBlocks: 0
; VGPRBlocks: 0
; NumSGPRsForWavesPerEU: 4
; NumVGPRsForWavesPerEU: 1
; AccumOffset: 4
; Occupancy: 8
; WaveLimiterHint : 0
; COMPUTE_PGM_RSRC2:SCRATCH_EN: 0
; COMPUTE_PGM_RSRC2:USER_SGPR: 6
; COMPUTE_PGM_RSRC2:TRAP_HANDLER: 0
; COMPUTE_PGM_RSRC2:TGID_X_EN: 1
; COMPUTE_PGM_RSRC2:TGID_Y_EN: 0
; COMPUTE_PGM_RSRC2:TGID_Z_EN: 0
; COMPUTE_PGM_RSRC2:TIDIG_COMP_CNT: 0
; COMPUTE_PGM_RSRC3_GFX90A:ACCUM_OFFSET: 0
; COMPUTE_PGM_RSRC3_GFX90A:TG_SPLIT: 0
	.section	.text._ZN7rocprim17ROCPRIM_400000_NS6detail17trampoline_kernelINS0_14default_configENS1_20scan_config_selectorIyEEZZNS1_9scan_implILNS1_25lookback_scan_determinismE0ELb1ELb1ES3_N6thrust23THRUST_200600_302600_NS6detail15normal_iteratorINS9_10device_ptrIyEEEENS9_16discard_iteratorINS9_11use_defaultEEEy11max_functorIyEyEEDaPvRmT3_T4_T5_mT6_P12ihipStream_tbENKUlT_T0_E_clISt17integral_constantIbLb1EESX_EEDaSS_ST_EUlSS_E0_NS1_11comp_targetILNS1_3genE0ELNS1_11target_archE4294967295ELNS1_3gpuE0ELNS1_3repE0EEENS1_30default_config_static_selectorELNS0_4arch9wavefront6targetE1EEEvT1_,"axG",@progbits,_ZN7rocprim17ROCPRIM_400000_NS6detail17trampoline_kernelINS0_14default_configENS1_20scan_config_selectorIyEEZZNS1_9scan_implILNS1_25lookback_scan_determinismE0ELb1ELb1ES3_N6thrust23THRUST_200600_302600_NS6detail15normal_iteratorINS9_10device_ptrIyEEEENS9_16discard_iteratorINS9_11use_defaultEEEy11max_functorIyEyEEDaPvRmT3_T4_T5_mT6_P12ihipStream_tbENKUlT_T0_E_clISt17integral_constantIbLb1EESX_EEDaSS_ST_EUlSS_E0_NS1_11comp_targetILNS1_3genE0ELNS1_11target_archE4294967295ELNS1_3gpuE0ELNS1_3repE0EEENS1_30default_config_static_selectorELNS0_4arch9wavefront6targetE1EEEvT1_,comdat
	.protected	_ZN7rocprim17ROCPRIM_400000_NS6detail17trampoline_kernelINS0_14default_configENS1_20scan_config_selectorIyEEZZNS1_9scan_implILNS1_25lookback_scan_determinismE0ELb1ELb1ES3_N6thrust23THRUST_200600_302600_NS6detail15normal_iteratorINS9_10device_ptrIyEEEENS9_16discard_iteratorINS9_11use_defaultEEEy11max_functorIyEyEEDaPvRmT3_T4_T5_mT6_P12ihipStream_tbENKUlT_T0_E_clISt17integral_constantIbLb1EESX_EEDaSS_ST_EUlSS_E0_NS1_11comp_targetILNS1_3genE0ELNS1_11target_archE4294967295ELNS1_3gpuE0ELNS1_3repE0EEENS1_30default_config_static_selectorELNS0_4arch9wavefront6targetE1EEEvT1_ ; -- Begin function _ZN7rocprim17ROCPRIM_400000_NS6detail17trampoline_kernelINS0_14default_configENS1_20scan_config_selectorIyEEZZNS1_9scan_implILNS1_25lookback_scan_determinismE0ELb1ELb1ES3_N6thrust23THRUST_200600_302600_NS6detail15normal_iteratorINS9_10device_ptrIyEEEENS9_16discard_iteratorINS9_11use_defaultEEEy11max_functorIyEyEEDaPvRmT3_T4_T5_mT6_P12ihipStream_tbENKUlT_T0_E_clISt17integral_constantIbLb1EESX_EEDaSS_ST_EUlSS_E0_NS1_11comp_targetILNS1_3genE0ELNS1_11target_archE4294967295ELNS1_3gpuE0ELNS1_3repE0EEENS1_30default_config_static_selectorELNS0_4arch9wavefront6targetE1EEEvT1_
	.globl	_ZN7rocprim17ROCPRIM_400000_NS6detail17trampoline_kernelINS0_14default_configENS1_20scan_config_selectorIyEEZZNS1_9scan_implILNS1_25lookback_scan_determinismE0ELb1ELb1ES3_N6thrust23THRUST_200600_302600_NS6detail15normal_iteratorINS9_10device_ptrIyEEEENS9_16discard_iteratorINS9_11use_defaultEEEy11max_functorIyEyEEDaPvRmT3_T4_T5_mT6_P12ihipStream_tbENKUlT_T0_E_clISt17integral_constantIbLb1EESX_EEDaSS_ST_EUlSS_E0_NS1_11comp_targetILNS1_3genE0ELNS1_11target_archE4294967295ELNS1_3gpuE0ELNS1_3repE0EEENS1_30default_config_static_selectorELNS0_4arch9wavefront6targetE1EEEvT1_
	.p2align	8
	.type	_ZN7rocprim17ROCPRIM_400000_NS6detail17trampoline_kernelINS0_14default_configENS1_20scan_config_selectorIyEEZZNS1_9scan_implILNS1_25lookback_scan_determinismE0ELb1ELb1ES3_N6thrust23THRUST_200600_302600_NS6detail15normal_iteratorINS9_10device_ptrIyEEEENS9_16discard_iteratorINS9_11use_defaultEEEy11max_functorIyEyEEDaPvRmT3_T4_T5_mT6_P12ihipStream_tbENKUlT_T0_E_clISt17integral_constantIbLb1EESX_EEDaSS_ST_EUlSS_E0_NS1_11comp_targetILNS1_3genE0ELNS1_11target_archE4294967295ELNS1_3gpuE0ELNS1_3repE0EEENS1_30default_config_static_selectorELNS0_4arch9wavefront6targetE1EEEvT1_,@function
_ZN7rocprim17ROCPRIM_400000_NS6detail17trampoline_kernelINS0_14default_configENS1_20scan_config_selectorIyEEZZNS1_9scan_implILNS1_25lookback_scan_determinismE0ELb1ELb1ES3_N6thrust23THRUST_200600_302600_NS6detail15normal_iteratorINS9_10device_ptrIyEEEENS9_16discard_iteratorINS9_11use_defaultEEEy11max_functorIyEyEEDaPvRmT3_T4_T5_mT6_P12ihipStream_tbENKUlT_T0_E_clISt17integral_constantIbLb1EESX_EEDaSS_ST_EUlSS_E0_NS1_11comp_targetILNS1_3genE0ELNS1_11target_archE4294967295ELNS1_3gpuE0ELNS1_3repE0EEENS1_30default_config_static_selectorELNS0_4arch9wavefront6targetE1EEEvT1_: ; @_ZN7rocprim17ROCPRIM_400000_NS6detail17trampoline_kernelINS0_14default_configENS1_20scan_config_selectorIyEEZZNS1_9scan_implILNS1_25lookback_scan_determinismE0ELb1ELb1ES3_N6thrust23THRUST_200600_302600_NS6detail15normal_iteratorINS9_10device_ptrIyEEEENS9_16discard_iteratorINS9_11use_defaultEEEy11max_functorIyEyEEDaPvRmT3_T4_T5_mT6_P12ihipStream_tbENKUlT_T0_E_clISt17integral_constantIbLb1EESX_EEDaSS_ST_EUlSS_E0_NS1_11comp_targetILNS1_3genE0ELNS1_11target_archE4294967295ELNS1_3gpuE0ELNS1_3repE0EEENS1_30default_config_static_selectorELNS0_4arch9wavefront6targetE1EEEvT1_
; %bb.0:
	.section	.rodata,"a",@progbits
	.p2align	6, 0x0
	.amdhsa_kernel _ZN7rocprim17ROCPRIM_400000_NS6detail17trampoline_kernelINS0_14default_configENS1_20scan_config_selectorIyEEZZNS1_9scan_implILNS1_25lookback_scan_determinismE0ELb1ELb1ES3_N6thrust23THRUST_200600_302600_NS6detail15normal_iteratorINS9_10device_ptrIyEEEENS9_16discard_iteratorINS9_11use_defaultEEEy11max_functorIyEyEEDaPvRmT3_T4_T5_mT6_P12ihipStream_tbENKUlT_T0_E_clISt17integral_constantIbLb1EESX_EEDaSS_ST_EUlSS_E0_NS1_11comp_targetILNS1_3genE0ELNS1_11target_archE4294967295ELNS1_3gpuE0ELNS1_3repE0EEENS1_30default_config_static_selectorELNS0_4arch9wavefront6targetE1EEEvT1_
		.amdhsa_group_segment_fixed_size 0
		.amdhsa_private_segment_fixed_size 0
		.amdhsa_kernarg_size 48
		.amdhsa_user_sgpr_count 6
		.amdhsa_user_sgpr_private_segment_buffer 1
		.amdhsa_user_sgpr_dispatch_ptr 0
		.amdhsa_user_sgpr_queue_ptr 0
		.amdhsa_user_sgpr_kernarg_segment_ptr 1
		.amdhsa_user_sgpr_dispatch_id 0
		.amdhsa_user_sgpr_flat_scratch_init 0
		.amdhsa_user_sgpr_kernarg_preload_length 0
		.amdhsa_user_sgpr_kernarg_preload_offset 0
		.amdhsa_user_sgpr_private_segment_size 0
		.amdhsa_uses_dynamic_stack 0
		.amdhsa_system_sgpr_private_segment_wavefront_offset 0
		.amdhsa_system_sgpr_workgroup_id_x 1
		.amdhsa_system_sgpr_workgroup_id_y 0
		.amdhsa_system_sgpr_workgroup_id_z 0
		.amdhsa_system_sgpr_workgroup_info 0
		.amdhsa_system_vgpr_workitem_id 0
		.amdhsa_next_free_vgpr 1
		.amdhsa_next_free_sgpr 0
		.amdhsa_accum_offset 4
		.amdhsa_reserve_vcc 0
		.amdhsa_reserve_flat_scratch 0
		.amdhsa_float_round_mode_32 0
		.amdhsa_float_round_mode_16_64 0
		.amdhsa_float_denorm_mode_32 3
		.amdhsa_float_denorm_mode_16_64 3
		.amdhsa_dx10_clamp 1
		.amdhsa_ieee_mode 1
		.amdhsa_fp16_overflow 0
		.amdhsa_tg_split 0
		.amdhsa_exception_fp_ieee_invalid_op 0
		.amdhsa_exception_fp_denorm_src 0
		.amdhsa_exception_fp_ieee_div_zero 0
		.amdhsa_exception_fp_ieee_overflow 0
		.amdhsa_exception_fp_ieee_underflow 0
		.amdhsa_exception_fp_ieee_inexact 0
		.amdhsa_exception_int_div_zero 0
	.end_amdhsa_kernel
	.section	.text._ZN7rocprim17ROCPRIM_400000_NS6detail17trampoline_kernelINS0_14default_configENS1_20scan_config_selectorIyEEZZNS1_9scan_implILNS1_25lookback_scan_determinismE0ELb1ELb1ES3_N6thrust23THRUST_200600_302600_NS6detail15normal_iteratorINS9_10device_ptrIyEEEENS9_16discard_iteratorINS9_11use_defaultEEEy11max_functorIyEyEEDaPvRmT3_T4_T5_mT6_P12ihipStream_tbENKUlT_T0_E_clISt17integral_constantIbLb1EESX_EEDaSS_ST_EUlSS_E0_NS1_11comp_targetILNS1_3genE0ELNS1_11target_archE4294967295ELNS1_3gpuE0ELNS1_3repE0EEENS1_30default_config_static_selectorELNS0_4arch9wavefront6targetE1EEEvT1_,"axG",@progbits,_ZN7rocprim17ROCPRIM_400000_NS6detail17trampoline_kernelINS0_14default_configENS1_20scan_config_selectorIyEEZZNS1_9scan_implILNS1_25lookback_scan_determinismE0ELb1ELb1ES3_N6thrust23THRUST_200600_302600_NS6detail15normal_iteratorINS9_10device_ptrIyEEEENS9_16discard_iteratorINS9_11use_defaultEEEy11max_functorIyEyEEDaPvRmT3_T4_T5_mT6_P12ihipStream_tbENKUlT_T0_E_clISt17integral_constantIbLb1EESX_EEDaSS_ST_EUlSS_E0_NS1_11comp_targetILNS1_3genE0ELNS1_11target_archE4294967295ELNS1_3gpuE0ELNS1_3repE0EEENS1_30default_config_static_selectorELNS0_4arch9wavefront6targetE1EEEvT1_,comdat
.Lfunc_end3377:
	.size	_ZN7rocprim17ROCPRIM_400000_NS6detail17trampoline_kernelINS0_14default_configENS1_20scan_config_selectorIyEEZZNS1_9scan_implILNS1_25lookback_scan_determinismE0ELb1ELb1ES3_N6thrust23THRUST_200600_302600_NS6detail15normal_iteratorINS9_10device_ptrIyEEEENS9_16discard_iteratorINS9_11use_defaultEEEy11max_functorIyEyEEDaPvRmT3_T4_T5_mT6_P12ihipStream_tbENKUlT_T0_E_clISt17integral_constantIbLb1EESX_EEDaSS_ST_EUlSS_E0_NS1_11comp_targetILNS1_3genE0ELNS1_11target_archE4294967295ELNS1_3gpuE0ELNS1_3repE0EEENS1_30default_config_static_selectorELNS0_4arch9wavefront6targetE1EEEvT1_, .Lfunc_end3377-_ZN7rocprim17ROCPRIM_400000_NS6detail17trampoline_kernelINS0_14default_configENS1_20scan_config_selectorIyEEZZNS1_9scan_implILNS1_25lookback_scan_determinismE0ELb1ELb1ES3_N6thrust23THRUST_200600_302600_NS6detail15normal_iteratorINS9_10device_ptrIyEEEENS9_16discard_iteratorINS9_11use_defaultEEEy11max_functorIyEyEEDaPvRmT3_T4_T5_mT6_P12ihipStream_tbENKUlT_T0_E_clISt17integral_constantIbLb1EESX_EEDaSS_ST_EUlSS_E0_NS1_11comp_targetILNS1_3genE0ELNS1_11target_archE4294967295ELNS1_3gpuE0ELNS1_3repE0EEENS1_30default_config_static_selectorELNS0_4arch9wavefront6targetE1EEEvT1_
                                        ; -- End function
	.section	.AMDGPU.csdata,"",@progbits
; Kernel info:
; codeLenInByte = 0
; NumSgprs: 4
; NumVgprs: 0
; NumAgprs: 0
; TotalNumVgprs: 0
; ScratchSize: 0
; MemoryBound: 0
; FloatMode: 240
; IeeeMode: 1
; LDSByteSize: 0 bytes/workgroup (compile time only)
; SGPRBlocks: 0
; VGPRBlocks: 0
; NumSGPRsForWavesPerEU: 4
; NumVGPRsForWavesPerEU: 1
; AccumOffset: 4
; Occupancy: 8
; WaveLimiterHint : 0
; COMPUTE_PGM_RSRC2:SCRATCH_EN: 0
; COMPUTE_PGM_RSRC2:USER_SGPR: 6
; COMPUTE_PGM_RSRC2:TRAP_HANDLER: 0
; COMPUTE_PGM_RSRC2:TGID_X_EN: 1
; COMPUTE_PGM_RSRC2:TGID_Y_EN: 0
; COMPUTE_PGM_RSRC2:TGID_Z_EN: 0
; COMPUTE_PGM_RSRC2:TIDIG_COMP_CNT: 0
; COMPUTE_PGM_RSRC3_GFX90A:ACCUM_OFFSET: 0
; COMPUTE_PGM_RSRC3_GFX90A:TG_SPLIT: 0
	.section	.text._ZN7rocprim17ROCPRIM_400000_NS6detail17trampoline_kernelINS0_14default_configENS1_20scan_config_selectorIyEEZZNS1_9scan_implILNS1_25lookback_scan_determinismE0ELb1ELb1ES3_N6thrust23THRUST_200600_302600_NS6detail15normal_iteratorINS9_10device_ptrIyEEEENS9_16discard_iteratorINS9_11use_defaultEEEy11max_functorIyEyEEDaPvRmT3_T4_T5_mT6_P12ihipStream_tbENKUlT_T0_E_clISt17integral_constantIbLb1EESX_EEDaSS_ST_EUlSS_E0_NS1_11comp_targetILNS1_3genE5ELNS1_11target_archE942ELNS1_3gpuE9ELNS1_3repE0EEENS1_30default_config_static_selectorELNS0_4arch9wavefront6targetE1EEEvT1_,"axG",@progbits,_ZN7rocprim17ROCPRIM_400000_NS6detail17trampoline_kernelINS0_14default_configENS1_20scan_config_selectorIyEEZZNS1_9scan_implILNS1_25lookback_scan_determinismE0ELb1ELb1ES3_N6thrust23THRUST_200600_302600_NS6detail15normal_iteratorINS9_10device_ptrIyEEEENS9_16discard_iteratorINS9_11use_defaultEEEy11max_functorIyEyEEDaPvRmT3_T4_T5_mT6_P12ihipStream_tbENKUlT_T0_E_clISt17integral_constantIbLb1EESX_EEDaSS_ST_EUlSS_E0_NS1_11comp_targetILNS1_3genE5ELNS1_11target_archE942ELNS1_3gpuE9ELNS1_3repE0EEENS1_30default_config_static_selectorELNS0_4arch9wavefront6targetE1EEEvT1_,comdat
	.protected	_ZN7rocprim17ROCPRIM_400000_NS6detail17trampoline_kernelINS0_14default_configENS1_20scan_config_selectorIyEEZZNS1_9scan_implILNS1_25lookback_scan_determinismE0ELb1ELb1ES3_N6thrust23THRUST_200600_302600_NS6detail15normal_iteratorINS9_10device_ptrIyEEEENS9_16discard_iteratorINS9_11use_defaultEEEy11max_functorIyEyEEDaPvRmT3_T4_T5_mT6_P12ihipStream_tbENKUlT_T0_E_clISt17integral_constantIbLb1EESX_EEDaSS_ST_EUlSS_E0_NS1_11comp_targetILNS1_3genE5ELNS1_11target_archE942ELNS1_3gpuE9ELNS1_3repE0EEENS1_30default_config_static_selectorELNS0_4arch9wavefront6targetE1EEEvT1_ ; -- Begin function _ZN7rocprim17ROCPRIM_400000_NS6detail17trampoline_kernelINS0_14default_configENS1_20scan_config_selectorIyEEZZNS1_9scan_implILNS1_25lookback_scan_determinismE0ELb1ELb1ES3_N6thrust23THRUST_200600_302600_NS6detail15normal_iteratorINS9_10device_ptrIyEEEENS9_16discard_iteratorINS9_11use_defaultEEEy11max_functorIyEyEEDaPvRmT3_T4_T5_mT6_P12ihipStream_tbENKUlT_T0_E_clISt17integral_constantIbLb1EESX_EEDaSS_ST_EUlSS_E0_NS1_11comp_targetILNS1_3genE5ELNS1_11target_archE942ELNS1_3gpuE9ELNS1_3repE0EEENS1_30default_config_static_selectorELNS0_4arch9wavefront6targetE1EEEvT1_
	.globl	_ZN7rocprim17ROCPRIM_400000_NS6detail17trampoline_kernelINS0_14default_configENS1_20scan_config_selectorIyEEZZNS1_9scan_implILNS1_25lookback_scan_determinismE0ELb1ELb1ES3_N6thrust23THRUST_200600_302600_NS6detail15normal_iteratorINS9_10device_ptrIyEEEENS9_16discard_iteratorINS9_11use_defaultEEEy11max_functorIyEyEEDaPvRmT3_T4_T5_mT6_P12ihipStream_tbENKUlT_T0_E_clISt17integral_constantIbLb1EESX_EEDaSS_ST_EUlSS_E0_NS1_11comp_targetILNS1_3genE5ELNS1_11target_archE942ELNS1_3gpuE9ELNS1_3repE0EEENS1_30default_config_static_selectorELNS0_4arch9wavefront6targetE1EEEvT1_
	.p2align	8
	.type	_ZN7rocprim17ROCPRIM_400000_NS6detail17trampoline_kernelINS0_14default_configENS1_20scan_config_selectorIyEEZZNS1_9scan_implILNS1_25lookback_scan_determinismE0ELb1ELb1ES3_N6thrust23THRUST_200600_302600_NS6detail15normal_iteratorINS9_10device_ptrIyEEEENS9_16discard_iteratorINS9_11use_defaultEEEy11max_functorIyEyEEDaPvRmT3_T4_T5_mT6_P12ihipStream_tbENKUlT_T0_E_clISt17integral_constantIbLb1EESX_EEDaSS_ST_EUlSS_E0_NS1_11comp_targetILNS1_3genE5ELNS1_11target_archE942ELNS1_3gpuE9ELNS1_3repE0EEENS1_30default_config_static_selectorELNS0_4arch9wavefront6targetE1EEEvT1_,@function
_ZN7rocprim17ROCPRIM_400000_NS6detail17trampoline_kernelINS0_14default_configENS1_20scan_config_selectorIyEEZZNS1_9scan_implILNS1_25lookback_scan_determinismE0ELb1ELb1ES3_N6thrust23THRUST_200600_302600_NS6detail15normal_iteratorINS9_10device_ptrIyEEEENS9_16discard_iteratorINS9_11use_defaultEEEy11max_functorIyEyEEDaPvRmT3_T4_T5_mT6_P12ihipStream_tbENKUlT_T0_E_clISt17integral_constantIbLb1EESX_EEDaSS_ST_EUlSS_E0_NS1_11comp_targetILNS1_3genE5ELNS1_11target_archE942ELNS1_3gpuE9ELNS1_3repE0EEENS1_30default_config_static_selectorELNS0_4arch9wavefront6targetE1EEEvT1_: ; @_ZN7rocprim17ROCPRIM_400000_NS6detail17trampoline_kernelINS0_14default_configENS1_20scan_config_selectorIyEEZZNS1_9scan_implILNS1_25lookback_scan_determinismE0ELb1ELb1ES3_N6thrust23THRUST_200600_302600_NS6detail15normal_iteratorINS9_10device_ptrIyEEEENS9_16discard_iteratorINS9_11use_defaultEEEy11max_functorIyEyEEDaPvRmT3_T4_T5_mT6_P12ihipStream_tbENKUlT_T0_E_clISt17integral_constantIbLb1EESX_EEDaSS_ST_EUlSS_E0_NS1_11comp_targetILNS1_3genE5ELNS1_11target_archE942ELNS1_3gpuE9ELNS1_3repE0EEENS1_30default_config_static_selectorELNS0_4arch9wavefront6targetE1EEEvT1_
; %bb.0:
	.section	.rodata,"a",@progbits
	.p2align	6, 0x0
	.amdhsa_kernel _ZN7rocprim17ROCPRIM_400000_NS6detail17trampoline_kernelINS0_14default_configENS1_20scan_config_selectorIyEEZZNS1_9scan_implILNS1_25lookback_scan_determinismE0ELb1ELb1ES3_N6thrust23THRUST_200600_302600_NS6detail15normal_iteratorINS9_10device_ptrIyEEEENS9_16discard_iteratorINS9_11use_defaultEEEy11max_functorIyEyEEDaPvRmT3_T4_T5_mT6_P12ihipStream_tbENKUlT_T0_E_clISt17integral_constantIbLb1EESX_EEDaSS_ST_EUlSS_E0_NS1_11comp_targetILNS1_3genE5ELNS1_11target_archE942ELNS1_3gpuE9ELNS1_3repE0EEENS1_30default_config_static_selectorELNS0_4arch9wavefront6targetE1EEEvT1_
		.amdhsa_group_segment_fixed_size 0
		.amdhsa_private_segment_fixed_size 0
		.amdhsa_kernarg_size 48
		.amdhsa_user_sgpr_count 6
		.amdhsa_user_sgpr_private_segment_buffer 1
		.amdhsa_user_sgpr_dispatch_ptr 0
		.amdhsa_user_sgpr_queue_ptr 0
		.amdhsa_user_sgpr_kernarg_segment_ptr 1
		.amdhsa_user_sgpr_dispatch_id 0
		.amdhsa_user_sgpr_flat_scratch_init 0
		.amdhsa_user_sgpr_kernarg_preload_length 0
		.amdhsa_user_sgpr_kernarg_preload_offset 0
		.amdhsa_user_sgpr_private_segment_size 0
		.amdhsa_uses_dynamic_stack 0
		.amdhsa_system_sgpr_private_segment_wavefront_offset 0
		.amdhsa_system_sgpr_workgroup_id_x 1
		.amdhsa_system_sgpr_workgroup_id_y 0
		.amdhsa_system_sgpr_workgroup_id_z 0
		.amdhsa_system_sgpr_workgroup_info 0
		.amdhsa_system_vgpr_workitem_id 0
		.amdhsa_next_free_vgpr 1
		.amdhsa_next_free_sgpr 0
		.amdhsa_accum_offset 4
		.amdhsa_reserve_vcc 0
		.amdhsa_reserve_flat_scratch 0
		.amdhsa_float_round_mode_32 0
		.amdhsa_float_round_mode_16_64 0
		.amdhsa_float_denorm_mode_32 3
		.amdhsa_float_denorm_mode_16_64 3
		.amdhsa_dx10_clamp 1
		.amdhsa_ieee_mode 1
		.amdhsa_fp16_overflow 0
		.amdhsa_tg_split 0
		.amdhsa_exception_fp_ieee_invalid_op 0
		.amdhsa_exception_fp_denorm_src 0
		.amdhsa_exception_fp_ieee_div_zero 0
		.amdhsa_exception_fp_ieee_overflow 0
		.amdhsa_exception_fp_ieee_underflow 0
		.amdhsa_exception_fp_ieee_inexact 0
		.amdhsa_exception_int_div_zero 0
	.end_amdhsa_kernel
	.section	.text._ZN7rocprim17ROCPRIM_400000_NS6detail17trampoline_kernelINS0_14default_configENS1_20scan_config_selectorIyEEZZNS1_9scan_implILNS1_25lookback_scan_determinismE0ELb1ELb1ES3_N6thrust23THRUST_200600_302600_NS6detail15normal_iteratorINS9_10device_ptrIyEEEENS9_16discard_iteratorINS9_11use_defaultEEEy11max_functorIyEyEEDaPvRmT3_T4_T5_mT6_P12ihipStream_tbENKUlT_T0_E_clISt17integral_constantIbLb1EESX_EEDaSS_ST_EUlSS_E0_NS1_11comp_targetILNS1_3genE5ELNS1_11target_archE942ELNS1_3gpuE9ELNS1_3repE0EEENS1_30default_config_static_selectorELNS0_4arch9wavefront6targetE1EEEvT1_,"axG",@progbits,_ZN7rocprim17ROCPRIM_400000_NS6detail17trampoline_kernelINS0_14default_configENS1_20scan_config_selectorIyEEZZNS1_9scan_implILNS1_25lookback_scan_determinismE0ELb1ELb1ES3_N6thrust23THRUST_200600_302600_NS6detail15normal_iteratorINS9_10device_ptrIyEEEENS9_16discard_iteratorINS9_11use_defaultEEEy11max_functorIyEyEEDaPvRmT3_T4_T5_mT6_P12ihipStream_tbENKUlT_T0_E_clISt17integral_constantIbLb1EESX_EEDaSS_ST_EUlSS_E0_NS1_11comp_targetILNS1_3genE5ELNS1_11target_archE942ELNS1_3gpuE9ELNS1_3repE0EEENS1_30default_config_static_selectorELNS0_4arch9wavefront6targetE1EEEvT1_,comdat
.Lfunc_end3378:
	.size	_ZN7rocprim17ROCPRIM_400000_NS6detail17trampoline_kernelINS0_14default_configENS1_20scan_config_selectorIyEEZZNS1_9scan_implILNS1_25lookback_scan_determinismE0ELb1ELb1ES3_N6thrust23THRUST_200600_302600_NS6detail15normal_iteratorINS9_10device_ptrIyEEEENS9_16discard_iteratorINS9_11use_defaultEEEy11max_functorIyEyEEDaPvRmT3_T4_T5_mT6_P12ihipStream_tbENKUlT_T0_E_clISt17integral_constantIbLb1EESX_EEDaSS_ST_EUlSS_E0_NS1_11comp_targetILNS1_3genE5ELNS1_11target_archE942ELNS1_3gpuE9ELNS1_3repE0EEENS1_30default_config_static_selectorELNS0_4arch9wavefront6targetE1EEEvT1_, .Lfunc_end3378-_ZN7rocprim17ROCPRIM_400000_NS6detail17trampoline_kernelINS0_14default_configENS1_20scan_config_selectorIyEEZZNS1_9scan_implILNS1_25lookback_scan_determinismE0ELb1ELb1ES3_N6thrust23THRUST_200600_302600_NS6detail15normal_iteratorINS9_10device_ptrIyEEEENS9_16discard_iteratorINS9_11use_defaultEEEy11max_functorIyEyEEDaPvRmT3_T4_T5_mT6_P12ihipStream_tbENKUlT_T0_E_clISt17integral_constantIbLb1EESX_EEDaSS_ST_EUlSS_E0_NS1_11comp_targetILNS1_3genE5ELNS1_11target_archE942ELNS1_3gpuE9ELNS1_3repE0EEENS1_30default_config_static_selectorELNS0_4arch9wavefront6targetE1EEEvT1_
                                        ; -- End function
	.section	.AMDGPU.csdata,"",@progbits
; Kernel info:
; codeLenInByte = 0
; NumSgprs: 4
; NumVgprs: 0
; NumAgprs: 0
; TotalNumVgprs: 0
; ScratchSize: 0
; MemoryBound: 0
; FloatMode: 240
; IeeeMode: 1
; LDSByteSize: 0 bytes/workgroup (compile time only)
; SGPRBlocks: 0
; VGPRBlocks: 0
; NumSGPRsForWavesPerEU: 4
; NumVGPRsForWavesPerEU: 1
; AccumOffset: 4
; Occupancy: 8
; WaveLimiterHint : 0
; COMPUTE_PGM_RSRC2:SCRATCH_EN: 0
; COMPUTE_PGM_RSRC2:USER_SGPR: 6
; COMPUTE_PGM_RSRC2:TRAP_HANDLER: 0
; COMPUTE_PGM_RSRC2:TGID_X_EN: 1
; COMPUTE_PGM_RSRC2:TGID_Y_EN: 0
; COMPUTE_PGM_RSRC2:TGID_Z_EN: 0
; COMPUTE_PGM_RSRC2:TIDIG_COMP_CNT: 0
; COMPUTE_PGM_RSRC3_GFX90A:ACCUM_OFFSET: 0
; COMPUTE_PGM_RSRC3_GFX90A:TG_SPLIT: 0
	.section	.text._ZN7rocprim17ROCPRIM_400000_NS6detail17trampoline_kernelINS0_14default_configENS1_20scan_config_selectorIyEEZZNS1_9scan_implILNS1_25lookback_scan_determinismE0ELb1ELb1ES3_N6thrust23THRUST_200600_302600_NS6detail15normal_iteratorINS9_10device_ptrIyEEEENS9_16discard_iteratorINS9_11use_defaultEEEy11max_functorIyEyEEDaPvRmT3_T4_T5_mT6_P12ihipStream_tbENKUlT_T0_E_clISt17integral_constantIbLb1EESX_EEDaSS_ST_EUlSS_E0_NS1_11comp_targetILNS1_3genE4ELNS1_11target_archE910ELNS1_3gpuE8ELNS1_3repE0EEENS1_30default_config_static_selectorELNS0_4arch9wavefront6targetE1EEEvT1_,"axG",@progbits,_ZN7rocprim17ROCPRIM_400000_NS6detail17trampoline_kernelINS0_14default_configENS1_20scan_config_selectorIyEEZZNS1_9scan_implILNS1_25lookback_scan_determinismE0ELb1ELb1ES3_N6thrust23THRUST_200600_302600_NS6detail15normal_iteratorINS9_10device_ptrIyEEEENS9_16discard_iteratorINS9_11use_defaultEEEy11max_functorIyEyEEDaPvRmT3_T4_T5_mT6_P12ihipStream_tbENKUlT_T0_E_clISt17integral_constantIbLb1EESX_EEDaSS_ST_EUlSS_E0_NS1_11comp_targetILNS1_3genE4ELNS1_11target_archE910ELNS1_3gpuE8ELNS1_3repE0EEENS1_30default_config_static_selectorELNS0_4arch9wavefront6targetE1EEEvT1_,comdat
	.protected	_ZN7rocprim17ROCPRIM_400000_NS6detail17trampoline_kernelINS0_14default_configENS1_20scan_config_selectorIyEEZZNS1_9scan_implILNS1_25lookback_scan_determinismE0ELb1ELb1ES3_N6thrust23THRUST_200600_302600_NS6detail15normal_iteratorINS9_10device_ptrIyEEEENS9_16discard_iteratorINS9_11use_defaultEEEy11max_functorIyEyEEDaPvRmT3_T4_T5_mT6_P12ihipStream_tbENKUlT_T0_E_clISt17integral_constantIbLb1EESX_EEDaSS_ST_EUlSS_E0_NS1_11comp_targetILNS1_3genE4ELNS1_11target_archE910ELNS1_3gpuE8ELNS1_3repE0EEENS1_30default_config_static_selectorELNS0_4arch9wavefront6targetE1EEEvT1_ ; -- Begin function _ZN7rocprim17ROCPRIM_400000_NS6detail17trampoline_kernelINS0_14default_configENS1_20scan_config_selectorIyEEZZNS1_9scan_implILNS1_25lookback_scan_determinismE0ELb1ELb1ES3_N6thrust23THRUST_200600_302600_NS6detail15normal_iteratorINS9_10device_ptrIyEEEENS9_16discard_iteratorINS9_11use_defaultEEEy11max_functorIyEyEEDaPvRmT3_T4_T5_mT6_P12ihipStream_tbENKUlT_T0_E_clISt17integral_constantIbLb1EESX_EEDaSS_ST_EUlSS_E0_NS1_11comp_targetILNS1_3genE4ELNS1_11target_archE910ELNS1_3gpuE8ELNS1_3repE0EEENS1_30default_config_static_selectorELNS0_4arch9wavefront6targetE1EEEvT1_
	.globl	_ZN7rocprim17ROCPRIM_400000_NS6detail17trampoline_kernelINS0_14default_configENS1_20scan_config_selectorIyEEZZNS1_9scan_implILNS1_25lookback_scan_determinismE0ELb1ELb1ES3_N6thrust23THRUST_200600_302600_NS6detail15normal_iteratorINS9_10device_ptrIyEEEENS9_16discard_iteratorINS9_11use_defaultEEEy11max_functorIyEyEEDaPvRmT3_T4_T5_mT6_P12ihipStream_tbENKUlT_T0_E_clISt17integral_constantIbLb1EESX_EEDaSS_ST_EUlSS_E0_NS1_11comp_targetILNS1_3genE4ELNS1_11target_archE910ELNS1_3gpuE8ELNS1_3repE0EEENS1_30default_config_static_selectorELNS0_4arch9wavefront6targetE1EEEvT1_
	.p2align	8
	.type	_ZN7rocprim17ROCPRIM_400000_NS6detail17trampoline_kernelINS0_14default_configENS1_20scan_config_selectorIyEEZZNS1_9scan_implILNS1_25lookback_scan_determinismE0ELb1ELb1ES3_N6thrust23THRUST_200600_302600_NS6detail15normal_iteratorINS9_10device_ptrIyEEEENS9_16discard_iteratorINS9_11use_defaultEEEy11max_functorIyEyEEDaPvRmT3_T4_T5_mT6_P12ihipStream_tbENKUlT_T0_E_clISt17integral_constantIbLb1EESX_EEDaSS_ST_EUlSS_E0_NS1_11comp_targetILNS1_3genE4ELNS1_11target_archE910ELNS1_3gpuE8ELNS1_3repE0EEENS1_30default_config_static_selectorELNS0_4arch9wavefront6targetE1EEEvT1_,@function
_ZN7rocprim17ROCPRIM_400000_NS6detail17trampoline_kernelINS0_14default_configENS1_20scan_config_selectorIyEEZZNS1_9scan_implILNS1_25lookback_scan_determinismE0ELb1ELb1ES3_N6thrust23THRUST_200600_302600_NS6detail15normal_iteratorINS9_10device_ptrIyEEEENS9_16discard_iteratorINS9_11use_defaultEEEy11max_functorIyEyEEDaPvRmT3_T4_T5_mT6_P12ihipStream_tbENKUlT_T0_E_clISt17integral_constantIbLb1EESX_EEDaSS_ST_EUlSS_E0_NS1_11comp_targetILNS1_3genE4ELNS1_11target_archE910ELNS1_3gpuE8ELNS1_3repE0EEENS1_30default_config_static_selectorELNS0_4arch9wavefront6targetE1EEEvT1_: ; @_ZN7rocprim17ROCPRIM_400000_NS6detail17trampoline_kernelINS0_14default_configENS1_20scan_config_selectorIyEEZZNS1_9scan_implILNS1_25lookback_scan_determinismE0ELb1ELb1ES3_N6thrust23THRUST_200600_302600_NS6detail15normal_iteratorINS9_10device_ptrIyEEEENS9_16discard_iteratorINS9_11use_defaultEEEy11max_functorIyEyEEDaPvRmT3_T4_T5_mT6_P12ihipStream_tbENKUlT_T0_E_clISt17integral_constantIbLb1EESX_EEDaSS_ST_EUlSS_E0_NS1_11comp_targetILNS1_3genE4ELNS1_11target_archE910ELNS1_3gpuE8ELNS1_3repE0EEENS1_30default_config_static_selectorELNS0_4arch9wavefront6targetE1EEEvT1_
; %bb.0:
	s_load_dwordx4 s[0:3], s[4:5], 0x0
	v_lshlrev_b32_e32 v1, 3, v0
	s_waitcnt lgkmcnt(0)
	s_load_dwordx2 s[6:7], s[0:1], 0x0
	v_cmp_gt_u32_e32 vcc, s2, v0
	s_waitcnt lgkmcnt(0)
	v_pk_mov_b32 v[2:3], s[6:7], s[6:7] op_sel:[0,1]
	s_and_saveexec_b64 s[8:9], vcc
	s_cbranch_execz .LBB3379_2
; %bb.1:
	global_load_dwordx2 v[2:3], v1, s[0:1]
.LBB3379_2:
	s_or_b64 exec, exec, s[8:9]
	v_or_b32_e32 v4, 0x80, v0
	v_cmp_gt_u32_e32 vcc, s2, v4
	v_pk_mov_b32 v[4:5], s[6:7], s[6:7] op_sel:[0,1]
	s_and_saveexec_b64 s[8:9], vcc
	s_cbranch_execz .LBB3379_4
; %bb.3:
	global_load_dwordx2 v[4:5], v1, s[0:1] offset:1024
.LBB3379_4:
	s_or_b64 exec, exec, s[8:9]
	v_or_b32_e32 v6, 0x100, v0
	v_cmp_gt_u32_e32 vcc, s2, v6
	v_pk_mov_b32 v[6:7], s[6:7], s[6:7] op_sel:[0,1]
	s_and_saveexec_b64 s[8:9], vcc
	s_cbranch_execz .LBB3379_6
; %bb.5:
	global_load_dwordx2 v[6:7], v1, s[0:1] offset:2048
.LBB3379_6:
	;; [unrolled: 9-line block ×3, first 2 shown]
	s_or_b64 exec, exec, s[8:9]
	v_or_b32_e32 v12, 0x200, v0
	v_cmp_gt_u32_e32 vcc, s2, v12
	v_pk_mov_b32 v[10:11], s[6:7], s[6:7] op_sel:[0,1]
	s_and_saveexec_b64 s[8:9], vcc
	s_cbranch_execz .LBB3379_10
; %bb.9:
	v_lshlrev_b32_e32 v10, 3, v12
	global_load_dwordx2 v[10:11], v10, s[0:1]
.LBB3379_10:
	s_or_b64 exec, exec, s[8:9]
	v_or_b32_e32 v14, 0x280, v0
	v_cmp_gt_u32_e32 vcc, s2, v14
	v_pk_mov_b32 v[12:13], s[6:7], s[6:7] op_sel:[0,1]
	s_and_saveexec_b64 s[8:9], vcc
	s_cbranch_execz .LBB3379_12
; %bb.11:
	v_lshlrev_b32_e32 v12, 3, v14
	global_load_dwordx2 v[12:13], v12, s[0:1]
.LBB3379_12:
	s_or_b64 exec, exec, s[8:9]
	s_load_dwordx2 s[4:5], s[4:5], 0x10
	v_or_b32_e32 v16, 0x300, v0
	v_cmp_gt_u32_e32 vcc, s2, v16
	v_pk_mov_b32 v[14:15], s[6:7], s[6:7] op_sel:[0,1]
	s_and_saveexec_b64 s[2:3], vcc
	s_cbranch_execz .LBB3379_14
; %bb.13:
	v_lshlrev_b32_e32 v14, 3, v16
	global_load_dwordx2 v[14:15], v14, s[0:1]
.LBB3379_14:
	s_or_b64 exec, exec, s[2:3]
	s_waitcnt vmcnt(0)
	ds_write2st64_b64 v1, v[2:3], v[4:5] offset1:2
	ds_write2st64_b64 v1, v[6:7], v[8:9] offset0:4 offset1:6
	ds_write2st64_b64 v1, v[10:11], v[12:13] offset0:8 offset1:10
	ds_write_b64 v1, v[14:15] offset:6144
	v_mad_u32_u24 v14, v0, 48, v1
	s_waitcnt lgkmcnt(0)
	s_barrier
	ds_read2_b64 v[10:13], v14 offset1:1
	ds_read2_b64 v[6:9], v14 offset0:2 offset1:3
	ds_read2_b64 v[2:5], v14 offset0:4 offset1:5
	ds_read_b64 v[14:15], v14 offset:48
	s_waitcnt lgkmcnt(0)
	v_cmp_gt_u64_e32 vcc, v[10:11], v[12:13]
	v_cndmask_b32_e32 v17, v13, v11, vcc
	v_cndmask_b32_e32 v16, v12, v10, vcc
	v_cmp_gt_u64_e32 vcc, v[16:17], v[6:7]
	v_cndmask_b32_e32 v17, v7, v17, vcc
	v_cndmask_b32_e32 v16, v6, v16, vcc
	;; [unrolled: 3-line block ×5, first 2 shown]
	v_cmp_gt_u64_e32 vcc, v[16:17], v[14:15]
	v_cndmask_b32_e32 v18, v14, v16, vcc
	v_lshrrev_b32_e32 v14, 2, v0
	v_and_b32_e32 v14, 24, v14
	v_cndmask_b32_e32 v19, v15, v17, vcc
	v_add_u32_e32 v14, v1, v14
	v_cmp_gt_u32_e32 vcc, 64, v0
	s_barrier
	ds_write_b64 v14, v[18:19]
	s_waitcnt lgkmcnt(0)
	s_barrier
	s_and_saveexec_b64 s[2:3], vcc
	s_cbranch_execz .LBB3379_18
; %bb.15:
	v_lshlrev_b32_e32 v14, 1, v0
	v_lshrrev_b32_e32 v15, 4, v0
	v_add_lshl_u32 v24, v15, v14, 3
	ds_read2_b64 v[14:17], v24 offset1:1
	v_mbcnt_lo_u32_b32 v20, -1, 0
	v_mbcnt_hi_u32_b32 v25, -1, v20
	v_and_b32_e32 v26, 15, v25
	v_and_b32_e32 v28, 16, v25
	s_waitcnt lgkmcnt(0)
	v_cmp_gt_u64_e32 vcc, v[14:15], v[16:17]
	v_cndmask_b32_e32 v17, v17, v15, vcc
	v_cndmask_b32_e32 v16, v16, v14, vcc
	v_cmp_ne_u32_e64 s[0:1], 0, v25
	v_mov_b32_dpp v21, v17 row_shr:1 row_mask:0xf bank_mask:0xf
	v_mov_b32_dpp v20, v16 row_shr:1 row_mask:0xf bank_mask:0xf
	v_cmp_gt_u64_e32 vcc, v[20:21], v[16:17]
	v_cndmask_b32_e32 v20, v16, v20, vcc
	v_cndmask_b32_e32 v21, v17, v21, vcc
	v_cmp_eq_u32_e32 vcc, 0, v26
	v_cndmask_b32_e32 v21, v21, v17, vcc
	v_cndmask_b32_e32 v20, v20, v16, vcc
	s_nop 0
	v_mov_b32_dpp v23, v21 row_shr:2 row_mask:0xf bank_mask:0xf
	v_mov_b32_dpp v22, v20 row_shr:2 row_mask:0xf bank_mask:0xf
	v_cmp_gt_u64_e32 vcc, v[22:23], v[20:21]
	v_cndmask_b32_e32 v22, v20, v22, vcc
	v_cndmask_b32_e32 v23, v21, v23, vcc
	v_cmp_lt_u32_e32 vcc, 1, v26
	v_cndmask_b32_e32 v21, v21, v23, vcc
	v_cndmask_b32_e32 v20, v20, v22, vcc
	s_nop 0
	v_mov_b32_dpp v23, v21 row_shr:4 row_mask:0xf bank_mask:0xf
	v_mov_b32_dpp v22, v20 row_shr:4 row_mask:0xf bank_mask:0xf
	v_cmp_gt_u64_e32 vcc, v[22:23], v[20:21]
	v_cndmask_b32_e32 v22, v20, v22, vcc
	v_cndmask_b32_e32 v23, v21, v23, vcc
	v_cmp_lt_u32_e32 vcc, 3, v26
	;; [unrolled: 9-line block ×3, first 2 shown]
	v_cndmask_b32_e32 v21, v21, v23, vcc
	v_cndmask_b32_e32 v20, v20, v22, vcc
	s_nop 0
	v_mov_b32_dpp v23, v21 row_bcast:15 row_mask:0xf bank_mask:0xf
	v_mov_b32_dpp v22, v20 row_bcast:15 row_mask:0xf bank_mask:0xf
	v_cmp_gt_u64_e32 vcc, v[22:23], v[20:21]
	v_cndmask_b32_e32 v26, v21, v23, vcc
	v_cndmask_b32_e32 v27, v20, v22, vcc
	v_cmp_eq_u32_e32 vcc, 0, v28
	v_cndmask_b32_e32 v23, v26, v21, vcc
	v_cndmask_b32_e32 v22, v27, v20, vcc
	s_nop 0
	v_mov_b32_dpp v23, v23 row_bcast:31 row_mask:0xf bank_mask:0xf
	v_mov_b32_dpp v22, v22 row_bcast:31 row_mask:0xf bank_mask:0xf
	s_and_saveexec_b64 s[6:7], s[0:1]
; %bb.16:
	v_cndmask_b32_e32 v17, v26, v21, vcc
	v_cndmask_b32_e32 v16, v27, v20, vcc
	v_cmp_lt_u32_e64 s[0:1], 31, v25
	v_cmp_gt_u64_e32 vcc, v[22:23], v[16:17]
	s_and_b64 vcc, s[0:1], vcc
	v_cndmask_b32_e32 v16, v16, v22, vcc
	v_cndmask_b32_e32 v17, v17, v23, vcc
; %bb.17:
	s_or_b64 exec, exec, s[6:7]
	v_add_u32_e32 v20, -1, v25
	v_and_b32_e32 v21, 64, v25
	v_cmp_lt_i32_e32 vcc, v20, v21
	v_cndmask_b32_e32 v20, v20, v25, vcc
	v_lshlrev_b32_e32 v20, 2, v20
	ds_bpermute_b32 v16, v20, v16
	ds_bpermute_b32 v17, v20, v17
	; wave barrier
	s_waitcnt lgkmcnt(0)
	v_cmp_gt_u64_e32 vcc, v[16:17], v[14:15]
	v_cndmask_b32_e32 v14, v14, v16, vcc
	v_cndmask_b32_e32 v15, v15, v17, vcc
	v_cmp_eq_u32_e32 vcc, 0, v0
	v_cndmask_b32_e32 v15, v15, v19, vcc
	v_cndmask_b32_e32 v14, v14, v18, vcc
	ds_write_b64 v24, v[14:15]
	; wave barrier
	ds_read_b64 v[16:17], v24 offset:8
	s_waitcnt lgkmcnt(0)
	v_cmp_gt_u64_e32 vcc, v[14:15], v[16:17]
	v_cndmask_b32_e32 v15, v17, v15, vcc
	v_cndmask_b32_e32 v14, v16, v14, vcc
	ds_write_b64 v24, v[14:15] offset:8
.LBB3379_18:
	s_or_b64 exec, exec, s[2:3]
	v_mul_u32_u24_e32 v16, 48, v0
	v_cmp_ne_u32_e32 vcc, 0, v0
	v_pk_mov_b32 v[14:15], s[4:5], s[4:5] op_sel:[0,1]
	s_waitcnt lgkmcnt(0)
	s_barrier
	s_and_saveexec_b64 s[0:1], vcc
	s_cbranch_execz .LBB3379_20
; %bb.19:
	v_add_u32_e32 v0, -1, v0
	v_lshrrev_b32_e32 v14, 5, v0
	v_add_lshl_u32 v0, v14, v0, 3
	ds_read_b64 v[14:15], v0
	v_mov_b32_e32 v0, s5
	s_waitcnt lgkmcnt(0)
	v_cmp_gt_u64_e32 vcc, s[4:5], v[14:15]
	v_cndmask_b32_e32 v15, v15, v0, vcc
	v_mov_b32_e32 v0, s4
	v_cndmask_b32_e32 v14, v14, v0, vcc
.LBB3379_20:
	s_or_b64 exec, exec, s[0:1]
	v_cmp_gt_u64_e32 vcc, v[14:15], v[10:11]
	v_cndmask_b32_e32 v11, v11, v15, vcc
	v_cndmask_b32_e32 v10, v10, v14, vcc
	v_cmp_gt_u64_e32 vcc, v[10:11], v[12:13]
	v_cndmask_b32_e32 v13, v13, v11, vcc
	v_cndmask_b32_e32 v12, v12, v10, vcc
	;; [unrolled: 3-line block ×5, first 2 shown]
	v_cmp_gt_u64_e32 vcc, v[2:3], v[4:5]
	v_add_u32_e32 v0, v1, v16
	v_cndmask_b32_e32 v5, v5, v3, vcc
	v_cndmask_b32_e32 v4, v4, v2, vcc
	s_barrier
	ds_write2_b64 v0, v[14:15], v[10:11] offset1:1
	ds_write2_b64 v0, v[12:13], v[6:7] offset0:2 offset1:3
	ds_write2_b64 v0, v[8:9], v[2:3] offset0:4 offset1:5
	ds_write_b64 v0, v[4:5] offset:48
	s_waitcnt lgkmcnt(0)
	s_barrier
	s_endpgm
	.section	.rodata,"a",@progbits
	.p2align	6, 0x0
	.amdhsa_kernel _ZN7rocprim17ROCPRIM_400000_NS6detail17trampoline_kernelINS0_14default_configENS1_20scan_config_selectorIyEEZZNS1_9scan_implILNS1_25lookback_scan_determinismE0ELb1ELb1ES3_N6thrust23THRUST_200600_302600_NS6detail15normal_iteratorINS9_10device_ptrIyEEEENS9_16discard_iteratorINS9_11use_defaultEEEy11max_functorIyEyEEDaPvRmT3_T4_T5_mT6_P12ihipStream_tbENKUlT_T0_E_clISt17integral_constantIbLb1EESX_EEDaSS_ST_EUlSS_E0_NS1_11comp_targetILNS1_3genE4ELNS1_11target_archE910ELNS1_3gpuE8ELNS1_3repE0EEENS1_30default_config_static_selectorELNS0_4arch9wavefront6targetE1EEEvT1_
		.amdhsa_group_segment_fixed_size 7168
		.amdhsa_private_segment_fixed_size 0
		.amdhsa_kernarg_size 48
		.amdhsa_user_sgpr_count 6
		.amdhsa_user_sgpr_private_segment_buffer 1
		.amdhsa_user_sgpr_dispatch_ptr 0
		.amdhsa_user_sgpr_queue_ptr 0
		.amdhsa_user_sgpr_kernarg_segment_ptr 1
		.amdhsa_user_sgpr_dispatch_id 0
		.amdhsa_user_sgpr_flat_scratch_init 0
		.amdhsa_user_sgpr_kernarg_preload_length 0
		.amdhsa_user_sgpr_kernarg_preload_offset 0
		.amdhsa_user_sgpr_private_segment_size 0
		.amdhsa_uses_dynamic_stack 0
		.amdhsa_system_sgpr_private_segment_wavefront_offset 0
		.amdhsa_system_sgpr_workgroup_id_x 1
		.amdhsa_system_sgpr_workgroup_id_y 0
		.amdhsa_system_sgpr_workgroup_id_z 0
		.amdhsa_system_sgpr_workgroup_info 0
		.amdhsa_system_vgpr_workitem_id 0
		.amdhsa_next_free_vgpr 29
		.amdhsa_next_free_sgpr 10
		.amdhsa_accum_offset 32
		.amdhsa_reserve_vcc 1
		.amdhsa_reserve_flat_scratch 0
		.amdhsa_float_round_mode_32 0
		.amdhsa_float_round_mode_16_64 0
		.amdhsa_float_denorm_mode_32 3
		.amdhsa_float_denorm_mode_16_64 3
		.amdhsa_dx10_clamp 1
		.amdhsa_ieee_mode 1
		.amdhsa_fp16_overflow 0
		.amdhsa_tg_split 0
		.amdhsa_exception_fp_ieee_invalid_op 0
		.amdhsa_exception_fp_denorm_src 0
		.amdhsa_exception_fp_ieee_div_zero 0
		.amdhsa_exception_fp_ieee_overflow 0
		.amdhsa_exception_fp_ieee_underflow 0
		.amdhsa_exception_fp_ieee_inexact 0
		.amdhsa_exception_int_div_zero 0
	.end_amdhsa_kernel
	.section	.text._ZN7rocprim17ROCPRIM_400000_NS6detail17trampoline_kernelINS0_14default_configENS1_20scan_config_selectorIyEEZZNS1_9scan_implILNS1_25lookback_scan_determinismE0ELb1ELb1ES3_N6thrust23THRUST_200600_302600_NS6detail15normal_iteratorINS9_10device_ptrIyEEEENS9_16discard_iteratorINS9_11use_defaultEEEy11max_functorIyEyEEDaPvRmT3_T4_T5_mT6_P12ihipStream_tbENKUlT_T0_E_clISt17integral_constantIbLb1EESX_EEDaSS_ST_EUlSS_E0_NS1_11comp_targetILNS1_3genE4ELNS1_11target_archE910ELNS1_3gpuE8ELNS1_3repE0EEENS1_30default_config_static_selectorELNS0_4arch9wavefront6targetE1EEEvT1_,"axG",@progbits,_ZN7rocprim17ROCPRIM_400000_NS6detail17trampoline_kernelINS0_14default_configENS1_20scan_config_selectorIyEEZZNS1_9scan_implILNS1_25lookback_scan_determinismE0ELb1ELb1ES3_N6thrust23THRUST_200600_302600_NS6detail15normal_iteratorINS9_10device_ptrIyEEEENS9_16discard_iteratorINS9_11use_defaultEEEy11max_functorIyEyEEDaPvRmT3_T4_T5_mT6_P12ihipStream_tbENKUlT_T0_E_clISt17integral_constantIbLb1EESX_EEDaSS_ST_EUlSS_E0_NS1_11comp_targetILNS1_3genE4ELNS1_11target_archE910ELNS1_3gpuE8ELNS1_3repE0EEENS1_30default_config_static_selectorELNS0_4arch9wavefront6targetE1EEEvT1_,comdat
.Lfunc_end3379:
	.size	_ZN7rocprim17ROCPRIM_400000_NS6detail17trampoline_kernelINS0_14default_configENS1_20scan_config_selectorIyEEZZNS1_9scan_implILNS1_25lookback_scan_determinismE0ELb1ELb1ES3_N6thrust23THRUST_200600_302600_NS6detail15normal_iteratorINS9_10device_ptrIyEEEENS9_16discard_iteratorINS9_11use_defaultEEEy11max_functorIyEyEEDaPvRmT3_T4_T5_mT6_P12ihipStream_tbENKUlT_T0_E_clISt17integral_constantIbLb1EESX_EEDaSS_ST_EUlSS_E0_NS1_11comp_targetILNS1_3genE4ELNS1_11target_archE910ELNS1_3gpuE8ELNS1_3repE0EEENS1_30default_config_static_selectorELNS0_4arch9wavefront6targetE1EEEvT1_, .Lfunc_end3379-_ZN7rocprim17ROCPRIM_400000_NS6detail17trampoline_kernelINS0_14default_configENS1_20scan_config_selectorIyEEZZNS1_9scan_implILNS1_25lookback_scan_determinismE0ELb1ELb1ES3_N6thrust23THRUST_200600_302600_NS6detail15normal_iteratorINS9_10device_ptrIyEEEENS9_16discard_iteratorINS9_11use_defaultEEEy11max_functorIyEyEEDaPvRmT3_T4_T5_mT6_P12ihipStream_tbENKUlT_T0_E_clISt17integral_constantIbLb1EESX_EEDaSS_ST_EUlSS_E0_NS1_11comp_targetILNS1_3genE4ELNS1_11target_archE910ELNS1_3gpuE8ELNS1_3repE0EEENS1_30default_config_static_selectorELNS0_4arch9wavefront6targetE1EEEvT1_
                                        ; -- End function
	.section	.AMDGPU.csdata,"",@progbits
; Kernel info:
; codeLenInByte = 1188
; NumSgprs: 14
; NumVgprs: 29
; NumAgprs: 0
; TotalNumVgprs: 29
; ScratchSize: 0
; MemoryBound: 0
; FloatMode: 240
; IeeeMode: 1
; LDSByteSize: 7168 bytes/workgroup (compile time only)
; SGPRBlocks: 1
; VGPRBlocks: 3
; NumSGPRsForWavesPerEU: 14
; NumVGPRsForWavesPerEU: 29
; AccumOffset: 32
; Occupancy: 5
; WaveLimiterHint : 0
; COMPUTE_PGM_RSRC2:SCRATCH_EN: 0
; COMPUTE_PGM_RSRC2:USER_SGPR: 6
; COMPUTE_PGM_RSRC2:TRAP_HANDLER: 0
; COMPUTE_PGM_RSRC2:TGID_X_EN: 1
; COMPUTE_PGM_RSRC2:TGID_Y_EN: 0
; COMPUTE_PGM_RSRC2:TGID_Z_EN: 0
; COMPUTE_PGM_RSRC2:TIDIG_COMP_CNT: 0
; COMPUTE_PGM_RSRC3_GFX90A:ACCUM_OFFSET: 7
; COMPUTE_PGM_RSRC3_GFX90A:TG_SPLIT: 0
	.section	.text._ZN7rocprim17ROCPRIM_400000_NS6detail17trampoline_kernelINS0_14default_configENS1_20scan_config_selectorIyEEZZNS1_9scan_implILNS1_25lookback_scan_determinismE0ELb1ELb1ES3_N6thrust23THRUST_200600_302600_NS6detail15normal_iteratorINS9_10device_ptrIyEEEENS9_16discard_iteratorINS9_11use_defaultEEEy11max_functorIyEyEEDaPvRmT3_T4_T5_mT6_P12ihipStream_tbENKUlT_T0_E_clISt17integral_constantIbLb1EESX_EEDaSS_ST_EUlSS_E0_NS1_11comp_targetILNS1_3genE3ELNS1_11target_archE908ELNS1_3gpuE7ELNS1_3repE0EEENS1_30default_config_static_selectorELNS0_4arch9wavefront6targetE1EEEvT1_,"axG",@progbits,_ZN7rocprim17ROCPRIM_400000_NS6detail17trampoline_kernelINS0_14default_configENS1_20scan_config_selectorIyEEZZNS1_9scan_implILNS1_25lookback_scan_determinismE0ELb1ELb1ES3_N6thrust23THRUST_200600_302600_NS6detail15normal_iteratorINS9_10device_ptrIyEEEENS9_16discard_iteratorINS9_11use_defaultEEEy11max_functorIyEyEEDaPvRmT3_T4_T5_mT6_P12ihipStream_tbENKUlT_T0_E_clISt17integral_constantIbLb1EESX_EEDaSS_ST_EUlSS_E0_NS1_11comp_targetILNS1_3genE3ELNS1_11target_archE908ELNS1_3gpuE7ELNS1_3repE0EEENS1_30default_config_static_selectorELNS0_4arch9wavefront6targetE1EEEvT1_,comdat
	.protected	_ZN7rocprim17ROCPRIM_400000_NS6detail17trampoline_kernelINS0_14default_configENS1_20scan_config_selectorIyEEZZNS1_9scan_implILNS1_25lookback_scan_determinismE0ELb1ELb1ES3_N6thrust23THRUST_200600_302600_NS6detail15normal_iteratorINS9_10device_ptrIyEEEENS9_16discard_iteratorINS9_11use_defaultEEEy11max_functorIyEyEEDaPvRmT3_T4_T5_mT6_P12ihipStream_tbENKUlT_T0_E_clISt17integral_constantIbLb1EESX_EEDaSS_ST_EUlSS_E0_NS1_11comp_targetILNS1_3genE3ELNS1_11target_archE908ELNS1_3gpuE7ELNS1_3repE0EEENS1_30default_config_static_selectorELNS0_4arch9wavefront6targetE1EEEvT1_ ; -- Begin function _ZN7rocprim17ROCPRIM_400000_NS6detail17trampoline_kernelINS0_14default_configENS1_20scan_config_selectorIyEEZZNS1_9scan_implILNS1_25lookback_scan_determinismE0ELb1ELb1ES3_N6thrust23THRUST_200600_302600_NS6detail15normal_iteratorINS9_10device_ptrIyEEEENS9_16discard_iteratorINS9_11use_defaultEEEy11max_functorIyEyEEDaPvRmT3_T4_T5_mT6_P12ihipStream_tbENKUlT_T0_E_clISt17integral_constantIbLb1EESX_EEDaSS_ST_EUlSS_E0_NS1_11comp_targetILNS1_3genE3ELNS1_11target_archE908ELNS1_3gpuE7ELNS1_3repE0EEENS1_30default_config_static_selectorELNS0_4arch9wavefront6targetE1EEEvT1_
	.globl	_ZN7rocprim17ROCPRIM_400000_NS6detail17trampoline_kernelINS0_14default_configENS1_20scan_config_selectorIyEEZZNS1_9scan_implILNS1_25lookback_scan_determinismE0ELb1ELb1ES3_N6thrust23THRUST_200600_302600_NS6detail15normal_iteratorINS9_10device_ptrIyEEEENS9_16discard_iteratorINS9_11use_defaultEEEy11max_functorIyEyEEDaPvRmT3_T4_T5_mT6_P12ihipStream_tbENKUlT_T0_E_clISt17integral_constantIbLb1EESX_EEDaSS_ST_EUlSS_E0_NS1_11comp_targetILNS1_3genE3ELNS1_11target_archE908ELNS1_3gpuE7ELNS1_3repE0EEENS1_30default_config_static_selectorELNS0_4arch9wavefront6targetE1EEEvT1_
	.p2align	8
	.type	_ZN7rocprim17ROCPRIM_400000_NS6detail17trampoline_kernelINS0_14default_configENS1_20scan_config_selectorIyEEZZNS1_9scan_implILNS1_25lookback_scan_determinismE0ELb1ELb1ES3_N6thrust23THRUST_200600_302600_NS6detail15normal_iteratorINS9_10device_ptrIyEEEENS9_16discard_iteratorINS9_11use_defaultEEEy11max_functorIyEyEEDaPvRmT3_T4_T5_mT6_P12ihipStream_tbENKUlT_T0_E_clISt17integral_constantIbLb1EESX_EEDaSS_ST_EUlSS_E0_NS1_11comp_targetILNS1_3genE3ELNS1_11target_archE908ELNS1_3gpuE7ELNS1_3repE0EEENS1_30default_config_static_selectorELNS0_4arch9wavefront6targetE1EEEvT1_,@function
_ZN7rocprim17ROCPRIM_400000_NS6detail17trampoline_kernelINS0_14default_configENS1_20scan_config_selectorIyEEZZNS1_9scan_implILNS1_25lookback_scan_determinismE0ELb1ELb1ES3_N6thrust23THRUST_200600_302600_NS6detail15normal_iteratorINS9_10device_ptrIyEEEENS9_16discard_iteratorINS9_11use_defaultEEEy11max_functorIyEyEEDaPvRmT3_T4_T5_mT6_P12ihipStream_tbENKUlT_T0_E_clISt17integral_constantIbLb1EESX_EEDaSS_ST_EUlSS_E0_NS1_11comp_targetILNS1_3genE3ELNS1_11target_archE908ELNS1_3gpuE7ELNS1_3repE0EEENS1_30default_config_static_selectorELNS0_4arch9wavefront6targetE1EEEvT1_: ; @_ZN7rocprim17ROCPRIM_400000_NS6detail17trampoline_kernelINS0_14default_configENS1_20scan_config_selectorIyEEZZNS1_9scan_implILNS1_25lookback_scan_determinismE0ELb1ELb1ES3_N6thrust23THRUST_200600_302600_NS6detail15normal_iteratorINS9_10device_ptrIyEEEENS9_16discard_iteratorINS9_11use_defaultEEEy11max_functorIyEyEEDaPvRmT3_T4_T5_mT6_P12ihipStream_tbENKUlT_T0_E_clISt17integral_constantIbLb1EESX_EEDaSS_ST_EUlSS_E0_NS1_11comp_targetILNS1_3genE3ELNS1_11target_archE908ELNS1_3gpuE7ELNS1_3repE0EEENS1_30default_config_static_selectorELNS0_4arch9wavefront6targetE1EEEvT1_
; %bb.0:
	.section	.rodata,"a",@progbits
	.p2align	6, 0x0
	.amdhsa_kernel _ZN7rocprim17ROCPRIM_400000_NS6detail17trampoline_kernelINS0_14default_configENS1_20scan_config_selectorIyEEZZNS1_9scan_implILNS1_25lookback_scan_determinismE0ELb1ELb1ES3_N6thrust23THRUST_200600_302600_NS6detail15normal_iteratorINS9_10device_ptrIyEEEENS9_16discard_iteratorINS9_11use_defaultEEEy11max_functorIyEyEEDaPvRmT3_T4_T5_mT6_P12ihipStream_tbENKUlT_T0_E_clISt17integral_constantIbLb1EESX_EEDaSS_ST_EUlSS_E0_NS1_11comp_targetILNS1_3genE3ELNS1_11target_archE908ELNS1_3gpuE7ELNS1_3repE0EEENS1_30default_config_static_selectorELNS0_4arch9wavefront6targetE1EEEvT1_
		.amdhsa_group_segment_fixed_size 0
		.amdhsa_private_segment_fixed_size 0
		.amdhsa_kernarg_size 48
		.amdhsa_user_sgpr_count 6
		.amdhsa_user_sgpr_private_segment_buffer 1
		.amdhsa_user_sgpr_dispatch_ptr 0
		.amdhsa_user_sgpr_queue_ptr 0
		.amdhsa_user_sgpr_kernarg_segment_ptr 1
		.amdhsa_user_sgpr_dispatch_id 0
		.amdhsa_user_sgpr_flat_scratch_init 0
		.amdhsa_user_sgpr_kernarg_preload_length 0
		.amdhsa_user_sgpr_kernarg_preload_offset 0
		.amdhsa_user_sgpr_private_segment_size 0
		.amdhsa_uses_dynamic_stack 0
		.amdhsa_system_sgpr_private_segment_wavefront_offset 0
		.amdhsa_system_sgpr_workgroup_id_x 1
		.amdhsa_system_sgpr_workgroup_id_y 0
		.amdhsa_system_sgpr_workgroup_id_z 0
		.amdhsa_system_sgpr_workgroup_info 0
		.amdhsa_system_vgpr_workitem_id 0
		.amdhsa_next_free_vgpr 1
		.amdhsa_next_free_sgpr 0
		.amdhsa_accum_offset 4
		.amdhsa_reserve_vcc 0
		.amdhsa_reserve_flat_scratch 0
		.amdhsa_float_round_mode_32 0
		.amdhsa_float_round_mode_16_64 0
		.amdhsa_float_denorm_mode_32 3
		.amdhsa_float_denorm_mode_16_64 3
		.amdhsa_dx10_clamp 1
		.amdhsa_ieee_mode 1
		.amdhsa_fp16_overflow 0
		.amdhsa_tg_split 0
		.amdhsa_exception_fp_ieee_invalid_op 0
		.amdhsa_exception_fp_denorm_src 0
		.amdhsa_exception_fp_ieee_div_zero 0
		.amdhsa_exception_fp_ieee_overflow 0
		.amdhsa_exception_fp_ieee_underflow 0
		.amdhsa_exception_fp_ieee_inexact 0
		.amdhsa_exception_int_div_zero 0
	.end_amdhsa_kernel
	.section	.text._ZN7rocprim17ROCPRIM_400000_NS6detail17trampoline_kernelINS0_14default_configENS1_20scan_config_selectorIyEEZZNS1_9scan_implILNS1_25lookback_scan_determinismE0ELb1ELb1ES3_N6thrust23THRUST_200600_302600_NS6detail15normal_iteratorINS9_10device_ptrIyEEEENS9_16discard_iteratorINS9_11use_defaultEEEy11max_functorIyEyEEDaPvRmT3_T4_T5_mT6_P12ihipStream_tbENKUlT_T0_E_clISt17integral_constantIbLb1EESX_EEDaSS_ST_EUlSS_E0_NS1_11comp_targetILNS1_3genE3ELNS1_11target_archE908ELNS1_3gpuE7ELNS1_3repE0EEENS1_30default_config_static_selectorELNS0_4arch9wavefront6targetE1EEEvT1_,"axG",@progbits,_ZN7rocprim17ROCPRIM_400000_NS6detail17trampoline_kernelINS0_14default_configENS1_20scan_config_selectorIyEEZZNS1_9scan_implILNS1_25lookback_scan_determinismE0ELb1ELb1ES3_N6thrust23THRUST_200600_302600_NS6detail15normal_iteratorINS9_10device_ptrIyEEEENS9_16discard_iteratorINS9_11use_defaultEEEy11max_functorIyEyEEDaPvRmT3_T4_T5_mT6_P12ihipStream_tbENKUlT_T0_E_clISt17integral_constantIbLb1EESX_EEDaSS_ST_EUlSS_E0_NS1_11comp_targetILNS1_3genE3ELNS1_11target_archE908ELNS1_3gpuE7ELNS1_3repE0EEENS1_30default_config_static_selectorELNS0_4arch9wavefront6targetE1EEEvT1_,comdat
.Lfunc_end3380:
	.size	_ZN7rocprim17ROCPRIM_400000_NS6detail17trampoline_kernelINS0_14default_configENS1_20scan_config_selectorIyEEZZNS1_9scan_implILNS1_25lookback_scan_determinismE0ELb1ELb1ES3_N6thrust23THRUST_200600_302600_NS6detail15normal_iteratorINS9_10device_ptrIyEEEENS9_16discard_iteratorINS9_11use_defaultEEEy11max_functorIyEyEEDaPvRmT3_T4_T5_mT6_P12ihipStream_tbENKUlT_T0_E_clISt17integral_constantIbLb1EESX_EEDaSS_ST_EUlSS_E0_NS1_11comp_targetILNS1_3genE3ELNS1_11target_archE908ELNS1_3gpuE7ELNS1_3repE0EEENS1_30default_config_static_selectorELNS0_4arch9wavefront6targetE1EEEvT1_, .Lfunc_end3380-_ZN7rocprim17ROCPRIM_400000_NS6detail17trampoline_kernelINS0_14default_configENS1_20scan_config_selectorIyEEZZNS1_9scan_implILNS1_25lookback_scan_determinismE0ELb1ELb1ES3_N6thrust23THRUST_200600_302600_NS6detail15normal_iteratorINS9_10device_ptrIyEEEENS9_16discard_iteratorINS9_11use_defaultEEEy11max_functorIyEyEEDaPvRmT3_T4_T5_mT6_P12ihipStream_tbENKUlT_T0_E_clISt17integral_constantIbLb1EESX_EEDaSS_ST_EUlSS_E0_NS1_11comp_targetILNS1_3genE3ELNS1_11target_archE908ELNS1_3gpuE7ELNS1_3repE0EEENS1_30default_config_static_selectorELNS0_4arch9wavefront6targetE1EEEvT1_
                                        ; -- End function
	.section	.AMDGPU.csdata,"",@progbits
; Kernel info:
; codeLenInByte = 0
; NumSgprs: 4
; NumVgprs: 0
; NumAgprs: 0
; TotalNumVgprs: 0
; ScratchSize: 0
; MemoryBound: 0
; FloatMode: 240
; IeeeMode: 1
; LDSByteSize: 0 bytes/workgroup (compile time only)
; SGPRBlocks: 0
; VGPRBlocks: 0
; NumSGPRsForWavesPerEU: 4
; NumVGPRsForWavesPerEU: 1
; AccumOffset: 4
; Occupancy: 8
; WaveLimiterHint : 0
; COMPUTE_PGM_RSRC2:SCRATCH_EN: 0
; COMPUTE_PGM_RSRC2:USER_SGPR: 6
; COMPUTE_PGM_RSRC2:TRAP_HANDLER: 0
; COMPUTE_PGM_RSRC2:TGID_X_EN: 1
; COMPUTE_PGM_RSRC2:TGID_Y_EN: 0
; COMPUTE_PGM_RSRC2:TGID_Z_EN: 0
; COMPUTE_PGM_RSRC2:TIDIG_COMP_CNT: 0
; COMPUTE_PGM_RSRC3_GFX90A:ACCUM_OFFSET: 0
; COMPUTE_PGM_RSRC3_GFX90A:TG_SPLIT: 0
	.section	.text._ZN7rocprim17ROCPRIM_400000_NS6detail17trampoline_kernelINS0_14default_configENS1_20scan_config_selectorIyEEZZNS1_9scan_implILNS1_25lookback_scan_determinismE0ELb1ELb1ES3_N6thrust23THRUST_200600_302600_NS6detail15normal_iteratorINS9_10device_ptrIyEEEENS9_16discard_iteratorINS9_11use_defaultEEEy11max_functorIyEyEEDaPvRmT3_T4_T5_mT6_P12ihipStream_tbENKUlT_T0_E_clISt17integral_constantIbLb1EESX_EEDaSS_ST_EUlSS_E0_NS1_11comp_targetILNS1_3genE2ELNS1_11target_archE906ELNS1_3gpuE6ELNS1_3repE0EEENS1_30default_config_static_selectorELNS0_4arch9wavefront6targetE1EEEvT1_,"axG",@progbits,_ZN7rocprim17ROCPRIM_400000_NS6detail17trampoline_kernelINS0_14default_configENS1_20scan_config_selectorIyEEZZNS1_9scan_implILNS1_25lookback_scan_determinismE0ELb1ELb1ES3_N6thrust23THRUST_200600_302600_NS6detail15normal_iteratorINS9_10device_ptrIyEEEENS9_16discard_iteratorINS9_11use_defaultEEEy11max_functorIyEyEEDaPvRmT3_T4_T5_mT6_P12ihipStream_tbENKUlT_T0_E_clISt17integral_constantIbLb1EESX_EEDaSS_ST_EUlSS_E0_NS1_11comp_targetILNS1_3genE2ELNS1_11target_archE906ELNS1_3gpuE6ELNS1_3repE0EEENS1_30default_config_static_selectorELNS0_4arch9wavefront6targetE1EEEvT1_,comdat
	.protected	_ZN7rocprim17ROCPRIM_400000_NS6detail17trampoline_kernelINS0_14default_configENS1_20scan_config_selectorIyEEZZNS1_9scan_implILNS1_25lookback_scan_determinismE0ELb1ELb1ES3_N6thrust23THRUST_200600_302600_NS6detail15normal_iteratorINS9_10device_ptrIyEEEENS9_16discard_iteratorINS9_11use_defaultEEEy11max_functorIyEyEEDaPvRmT3_T4_T5_mT6_P12ihipStream_tbENKUlT_T0_E_clISt17integral_constantIbLb1EESX_EEDaSS_ST_EUlSS_E0_NS1_11comp_targetILNS1_3genE2ELNS1_11target_archE906ELNS1_3gpuE6ELNS1_3repE0EEENS1_30default_config_static_selectorELNS0_4arch9wavefront6targetE1EEEvT1_ ; -- Begin function _ZN7rocprim17ROCPRIM_400000_NS6detail17trampoline_kernelINS0_14default_configENS1_20scan_config_selectorIyEEZZNS1_9scan_implILNS1_25lookback_scan_determinismE0ELb1ELb1ES3_N6thrust23THRUST_200600_302600_NS6detail15normal_iteratorINS9_10device_ptrIyEEEENS9_16discard_iteratorINS9_11use_defaultEEEy11max_functorIyEyEEDaPvRmT3_T4_T5_mT6_P12ihipStream_tbENKUlT_T0_E_clISt17integral_constantIbLb1EESX_EEDaSS_ST_EUlSS_E0_NS1_11comp_targetILNS1_3genE2ELNS1_11target_archE906ELNS1_3gpuE6ELNS1_3repE0EEENS1_30default_config_static_selectorELNS0_4arch9wavefront6targetE1EEEvT1_
	.globl	_ZN7rocprim17ROCPRIM_400000_NS6detail17trampoline_kernelINS0_14default_configENS1_20scan_config_selectorIyEEZZNS1_9scan_implILNS1_25lookback_scan_determinismE0ELb1ELb1ES3_N6thrust23THRUST_200600_302600_NS6detail15normal_iteratorINS9_10device_ptrIyEEEENS9_16discard_iteratorINS9_11use_defaultEEEy11max_functorIyEyEEDaPvRmT3_T4_T5_mT6_P12ihipStream_tbENKUlT_T0_E_clISt17integral_constantIbLb1EESX_EEDaSS_ST_EUlSS_E0_NS1_11comp_targetILNS1_3genE2ELNS1_11target_archE906ELNS1_3gpuE6ELNS1_3repE0EEENS1_30default_config_static_selectorELNS0_4arch9wavefront6targetE1EEEvT1_
	.p2align	8
	.type	_ZN7rocprim17ROCPRIM_400000_NS6detail17trampoline_kernelINS0_14default_configENS1_20scan_config_selectorIyEEZZNS1_9scan_implILNS1_25lookback_scan_determinismE0ELb1ELb1ES3_N6thrust23THRUST_200600_302600_NS6detail15normal_iteratorINS9_10device_ptrIyEEEENS9_16discard_iteratorINS9_11use_defaultEEEy11max_functorIyEyEEDaPvRmT3_T4_T5_mT6_P12ihipStream_tbENKUlT_T0_E_clISt17integral_constantIbLb1EESX_EEDaSS_ST_EUlSS_E0_NS1_11comp_targetILNS1_3genE2ELNS1_11target_archE906ELNS1_3gpuE6ELNS1_3repE0EEENS1_30default_config_static_selectorELNS0_4arch9wavefront6targetE1EEEvT1_,@function
_ZN7rocprim17ROCPRIM_400000_NS6detail17trampoline_kernelINS0_14default_configENS1_20scan_config_selectorIyEEZZNS1_9scan_implILNS1_25lookback_scan_determinismE0ELb1ELb1ES3_N6thrust23THRUST_200600_302600_NS6detail15normal_iteratorINS9_10device_ptrIyEEEENS9_16discard_iteratorINS9_11use_defaultEEEy11max_functorIyEyEEDaPvRmT3_T4_T5_mT6_P12ihipStream_tbENKUlT_T0_E_clISt17integral_constantIbLb1EESX_EEDaSS_ST_EUlSS_E0_NS1_11comp_targetILNS1_3genE2ELNS1_11target_archE906ELNS1_3gpuE6ELNS1_3repE0EEENS1_30default_config_static_selectorELNS0_4arch9wavefront6targetE1EEEvT1_: ; @_ZN7rocprim17ROCPRIM_400000_NS6detail17trampoline_kernelINS0_14default_configENS1_20scan_config_selectorIyEEZZNS1_9scan_implILNS1_25lookback_scan_determinismE0ELb1ELb1ES3_N6thrust23THRUST_200600_302600_NS6detail15normal_iteratorINS9_10device_ptrIyEEEENS9_16discard_iteratorINS9_11use_defaultEEEy11max_functorIyEyEEDaPvRmT3_T4_T5_mT6_P12ihipStream_tbENKUlT_T0_E_clISt17integral_constantIbLb1EESX_EEDaSS_ST_EUlSS_E0_NS1_11comp_targetILNS1_3genE2ELNS1_11target_archE906ELNS1_3gpuE6ELNS1_3repE0EEENS1_30default_config_static_selectorELNS0_4arch9wavefront6targetE1EEEvT1_
; %bb.0:
	.section	.rodata,"a",@progbits
	.p2align	6, 0x0
	.amdhsa_kernel _ZN7rocprim17ROCPRIM_400000_NS6detail17trampoline_kernelINS0_14default_configENS1_20scan_config_selectorIyEEZZNS1_9scan_implILNS1_25lookback_scan_determinismE0ELb1ELb1ES3_N6thrust23THRUST_200600_302600_NS6detail15normal_iteratorINS9_10device_ptrIyEEEENS9_16discard_iteratorINS9_11use_defaultEEEy11max_functorIyEyEEDaPvRmT3_T4_T5_mT6_P12ihipStream_tbENKUlT_T0_E_clISt17integral_constantIbLb1EESX_EEDaSS_ST_EUlSS_E0_NS1_11comp_targetILNS1_3genE2ELNS1_11target_archE906ELNS1_3gpuE6ELNS1_3repE0EEENS1_30default_config_static_selectorELNS0_4arch9wavefront6targetE1EEEvT1_
		.amdhsa_group_segment_fixed_size 0
		.amdhsa_private_segment_fixed_size 0
		.amdhsa_kernarg_size 48
		.amdhsa_user_sgpr_count 6
		.amdhsa_user_sgpr_private_segment_buffer 1
		.amdhsa_user_sgpr_dispatch_ptr 0
		.amdhsa_user_sgpr_queue_ptr 0
		.amdhsa_user_sgpr_kernarg_segment_ptr 1
		.amdhsa_user_sgpr_dispatch_id 0
		.amdhsa_user_sgpr_flat_scratch_init 0
		.amdhsa_user_sgpr_kernarg_preload_length 0
		.amdhsa_user_sgpr_kernarg_preload_offset 0
		.amdhsa_user_sgpr_private_segment_size 0
		.amdhsa_uses_dynamic_stack 0
		.amdhsa_system_sgpr_private_segment_wavefront_offset 0
		.amdhsa_system_sgpr_workgroup_id_x 1
		.amdhsa_system_sgpr_workgroup_id_y 0
		.amdhsa_system_sgpr_workgroup_id_z 0
		.amdhsa_system_sgpr_workgroup_info 0
		.amdhsa_system_vgpr_workitem_id 0
		.amdhsa_next_free_vgpr 1
		.amdhsa_next_free_sgpr 0
		.amdhsa_accum_offset 4
		.amdhsa_reserve_vcc 0
		.amdhsa_reserve_flat_scratch 0
		.amdhsa_float_round_mode_32 0
		.amdhsa_float_round_mode_16_64 0
		.amdhsa_float_denorm_mode_32 3
		.amdhsa_float_denorm_mode_16_64 3
		.amdhsa_dx10_clamp 1
		.amdhsa_ieee_mode 1
		.amdhsa_fp16_overflow 0
		.amdhsa_tg_split 0
		.amdhsa_exception_fp_ieee_invalid_op 0
		.amdhsa_exception_fp_denorm_src 0
		.amdhsa_exception_fp_ieee_div_zero 0
		.amdhsa_exception_fp_ieee_overflow 0
		.amdhsa_exception_fp_ieee_underflow 0
		.amdhsa_exception_fp_ieee_inexact 0
		.amdhsa_exception_int_div_zero 0
	.end_amdhsa_kernel
	.section	.text._ZN7rocprim17ROCPRIM_400000_NS6detail17trampoline_kernelINS0_14default_configENS1_20scan_config_selectorIyEEZZNS1_9scan_implILNS1_25lookback_scan_determinismE0ELb1ELb1ES3_N6thrust23THRUST_200600_302600_NS6detail15normal_iteratorINS9_10device_ptrIyEEEENS9_16discard_iteratorINS9_11use_defaultEEEy11max_functorIyEyEEDaPvRmT3_T4_T5_mT6_P12ihipStream_tbENKUlT_T0_E_clISt17integral_constantIbLb1EESX_EEDaSS_ST_EUlSS_E0_NS1_11comp_targetILNS1_3genE2ELNS1_11target_archE906ELNS1_3gpuE6ELNS1_3repE0EEENS1_30default_config_static_selectorELNS0_4arch9wavefront6targetE1EEEvT1_,"axG",@progbits,_ZN7rocprim17ROCPRIM_400000_NS6detail17trampoline_kernelINS0_14default_configENS1_20scan_config_selectorIyEEZZNS1_9scan_implILNS1_25lookback_scan_determinismE0ELb1ELb1ES3_N6thrust23THRUST_200600_302600_NS6detail15normal_iteratorINS9_10device_ptrIyEEEENS9_16discard_iteratorINS9_11use_defaultEEEy11max_functorIyEyEEDaPvRmT3_T4_T5_mT6_P12ihipStream_tbENKUlT_T0_E_clISt17integral_constantIbLb1EESX_EEDaSS_ST_EUlSS_E0_NS1_11comp_targetILNS1_3genE2ELNS1_11target_archE906ELNS1_3gpuE6ELNS1_3repE0EEENS1_30default_config_static_selectorELNS0_4arch9wavefront6targetE1EEEvT1_,comdat
.Lfunc_end3381:
	.size	_ZN7rocprim17ROCPRIM_400000_NS6detail17trampoline_kernelINS0_14default_configENS1_20scan_config_selectorIyEEZZNS1_9scan_implILNS1_25lookback_scan_determinismE0ELb1ELb1ES3_N6thrust23THRUST_200600_302600_NS6detail15normal_iteratorINS9_10device_ptrIyEEEENS9_16discard_iteratorINS9_11use_defaultEEEy11max_functorIyEyEEDaPvRmT3_T4_T5_mT6_P12ihipStream_tbENKUlT_T0_E_clISt17integral_constantIbLb1EESX_EEDaSS_ST_EUlSS_E0_NS1_11comp_targetILNS1_3genE2ELNS1_11target_archE906ELNS1_3gpuE6ELNS1_3repE0EEENS1_30default_config_static_selectorELNS0_4arch9wavefront6targetE1EEEvT1_, .Lfunc_end3381-_ZN7rocprim17ROCPRIM_400000_NS6detail17trampoline_kernelINS0_14default_configENS1_20scan_config_selectorIyEEZZNS1_9scan_implILNS1_25lookback_scan_determinismE0ELb1ELb1ES3_N6thrust23THRUST_200600_302600_NS6detail15normal_iteratorINS9_10device_ptrIyEEEENS9_16discard_iteratorINS9_11use_defaultEEEy11max_functorIyEyEEDaPvRmT3_T4_T5_mT6_P12ihipStream_tbENKUlT_T0_E_clISt17integral_constantIbLb1EESX_EEDaSS_ST_EUlSS_E0_NS1_11comp_targetILNS1_3genE2ELNS1_11target_archE906ELNS1_3gpuE6ELNS1_3repE0EEENS1_30default_config_static_selectorELNS0_4arch9wavefront6targetE1EEEvT1_
                                        ; -- End function
	.section	.AMDGPU.csdata,"",@progbits
; Kernel info:
; codeLenInByte = 0
; NumSgprs: 4
; NumVgprs: 0
; NumAgprs: 0
; TotalNumVgprs: 0
; ScratchSize: 0
; MemoryBound: 0
; FloatMode: 240
; IeeeMode: 1
; LDSByteSize: 0 bytes/workgroup (compile time only)
; SGPRBlocks: 0
; VGPRBlocks: 0
; NumSGPRsForWavesPerEU: 4
; NumVGPRsForWavesPerEU: 1
; AccumOffset: 4
; Occupancy: 8
; WaveLimiterHint : 0
; COMPUTE_PGM_RSRC2:SCRATCH_EN: 0
; COMPUTE_PGM_RSRC2:USER_SGPR: 6
; COMPUTE_PGM_RSRC2:TRAP_HANDLER: 0
; COMPUTE_PGM_RSRC2:TGID_X_EN: 1
; COMPUTE_PGM_RSRC2:TGID_Y_EN: 0
; COMPUTE_PGM_RSRC2:TGID_Z_EN: 0
; COMPUTE_PGM_RSRC2:TIDIG_COMP_CNT: 0
; COMPUTE_PGM_RSRC3_GFX90A:ACCUM_OFFSET: 0
; COMPUTE_PGM_RSRC3_GFX90A:TG_SPLIT: 0
	.section	.text._ZN7rocprim17ROCPRIM_400000_NS6detail17trampoline_kernelINS0_14default_configENS1_20scan_config_selectorIyEEZZNS1_9scan_implILNS1_25lookback_scan_determinismE0ELb1ELb1ES3_N6thrust23THRUST_200600_302600_NS6detail15normal_iteratorINS9_10device_ptrIyEEEENS9_16discard_iteratorINS9_11use_defaultEEEy11max_functorIyEyEEDaPvRmT3_T4_T5_mT6_P12ihipStream_tbENKUlT_T0_E_clISt17integral_constantIbLb1EESX_EEDaSS_ST_EUlSS_E0_NS1_11comp_targetILNS1_3genE10ELNS1_11target_archE1201ELNS1_3gpuE5ELNS1_3repE0EEENS1_30default_config_static_selectorELNS0_4arch9wavefront6targetE1EEEvT1_,"axG",@progbits,_ZN7rocprim17ROCPRIM_400000_NS6detail17trampoline_kernelINS0_14default_configENS1_20scan_config_selectorIyEEZZNS1_9scan_implILNS1_25lookback_scan_determinismE0ELb1ELb1ES3_N6thrust23THRUST_200600_302600_NS6detail15normal_iteratorINS9_10device_ptrIyEEEENS9_16discard_iteratorINS9_11use_defaultEEEy11max_functorIyEyEEDaPvRmT3_T4_T5_mT6_P12ihipStream_tbENKUlT_T0_E_clISt17integral_constantIbLb1EESX_EEDaSS_ST_EUlSS_E0_NS1_11comp_targetILNS1_3genE10ELNS1_11target_archE1201ELNS1_3gpuE5ELNS1_3repE0EEENS1_30default_config_static_selectorELNS0_4arch9wavefront6targetE1EEEvT1_,comdat
	.protected	_ZN7rocprim17ROCPRIM_400000_NS6detail17trampoline_kernelINS0_14default_configENS1_20scan_config_selectorIyEEZZNS1_9scan_implILNS1_25lookback_scan_determinismE0ELb1ELb1ES3_N6thrust23THRUST_200600_302600_NS6detail15normal_iteratorINS9_10device_ptrIyEEEENS9_16discard_iteratorINS9_11use_defaultEEEy11max_functorIyEyEEDaPvRmT3_T4_T5_mT6_P12ihipStream_tbENKUlT_T0_E_clISt17integral_constantIbLb1EESX_EEDaSS_ST_EUlSS_E0_NS1_11comp_targetILNS1_3genE10ELNS1_11target_archE1201ELNS1_3gpuE5ELNS1_3repE0EEENS1_30default_config_static_selectorELNS0_4arch9wavefront6targetE1EEEvT1_ ; -- Begin function _ZN7rocprim17ROCPRIM_400000_NS6detail17trampoline_kernelINS0_14default_configENS1_20scan_config_selectorIyEEZZNS1_9scan_implILNS1_25lookback_scan_determinismE0ELb1ELb1ES3_N6thrust23THRUST_200600_302600_NS6detail15normal_iteratorINS9_10device_ptrIyEEEENS9_16discard_iteratorINS9_11use_defaultEEEy11max_functorIyEyEEDaPvRmT3_T4_T5_mT6_P12ihipStream_tbENKUlT_T0_E_clISt17integral_constantIbLb1EESX_EEDaSS_ST_EUlSS_E0_NS1_11comp_targetILNS1_3genE10ELNS1_11target_archE1201ELNS1_3gpuE5ELNS1_3repE0EEENS1_30default_config_static_selectorELNS0_4arch9wavefront6targetE1EEEvT1_
	.globl	_ZN7rocprim17ROCPRIM_400000_NS6detail17trampoline_kernelINS0_14default_configENS1_20scan_config_selectorIyEEZZNS1_9scan_implILNS1_25lookback_scan_determinismE0ELb1ELb1ES3_N6thrust23THRUST_200600_302600_NS6detail15normal_iteratorINS9_10device_ptrIyEEEENS9_16discard_iteratorINS9_11use_defaultEEEy11max_functorIyEyEEDaPvRmT3_T4_T5_mT6_P12ihipStream_tbENKUlT_T0_E_clISt17integral_constantIbLb1EESX_EEDaSS_ST_EUlSS_E0_NS1_11comp_targetILNS1_3genE10ELNS1_11target_archE1201ELNS1_3gpuE5ELNS1_3repE0EEENS1_30default_config_static_selectorELNS0_4arch9wavefront6targetE1EEEvT1_
	.p2align	8
	.type	_ZN7rocprim17ROCPRIM_400000_NS6detail17trampoline_kernelINS0_14default_configENS1_20scan_config_selectorIyEEZZNS1_9scan_implILNS1_25lookback_scan_determinismE0ELb1ELb1ES3_N6thrust23THRUST_200600_302600_NS6detail15normal_iteratorINS9_10device_ptrIyEEEENS9_16discard_iteratorINS9_11use_defaultEEEy11max_functorIyEyEEDaPvRmT3_T4_T5_mT6_P12ihipStream_tbENKUlT_T0_E_clISt17integral_constantIbLb1EESX_EEDaSS_ST_EUlSS_E0_NS1_11comp_targetILNS1_3genE10ELNS1_11target_archE1201ELNS1_3gpuE5ELNS1_3repE0EEENS1_30default_config_static_selectorELNS0_4arch9wavefront6targetE1EEEvT1_,@function
_ZN7rocprim17ROCPRIM_400000_NS6detail17trampoline_kernelINS0_14default_configENS1_20scan_config_selectorIyEEZZNS1_9scan_implILNS1_25lookback_scan_determinismE0ELb1ELb1ES3_N6thrust23THRUST_200600_302600_NS6detail15normal_iteratorINS9_10device_ptrIyEEEENS9_16discard_iteratorINS9_11use_defaultEEEy11max_functorIyEyEEDaPvRmT3_T4_T5_mT6_P12ihipStream_tbENKUlT_T0_E_clISt17integral_constantIbLb1EESX_EEDaSS_ST_EUlSS_E0_NS1_11comp_targetILNS1_3genE10ELNS1_11target_archE1201ELNS1_3gpuE5ELNS1_3repE0EEENS1_30default_config_static_selectorELNS0_4arch9wavefront6targetE1EEEvT1_: ; @_ZN7rocprim17ROCPRIM_400000_NS6detail17trampoline_kernelINS0_14default_configENS1_20scan_config_selectorIyEEZZNS1_9scan_implILNS1_25lookback_scan_determinismE0ELb1ELb1ES3_N6thrust23THRUST_200600_302600_NS6detail15normal_iteratorINS9_10device_ptrIyEEEENS9_16discard_iteratorINS9_11use_defaultEEEy11max_functorIyEyEEDaPvRmT3_T4_T5_mT6_P12ihipStream_tbENKUlT_T0_E_clISt17integral_constantIbLb1EESX_EEDaSS_ST_EUlSS_E0_NS1_11comp_targetILNS1_3genE10ELNS1_11target_archE1201ELNS1_3gpuE5ELNS1_3repE0EEENS1_30default_config_static_selectorELNS0_4arch9wavefront6targetE1EEEvT1_
; %bb.0:
	.section	.rodata,"a",@progbits
	.p2align	6, 0x0
	.amdhsa_kernel _ZN7rocprim17ROCPRIM_400000_NS6detail17trampoline_kernelINS0_14default_configENS1_20scan_config_selectorIyEEZZNS1_9scan_implILNS1_25lookback_scan_determinismE0ELb1ELb1ES3_N6thrust23THRUST_200600_302600_NS6detail15normal_iteratorINS9_10device_ptrIyEEEENS9_16discard_iteratorINS9_11use_defaultEEEy11max_functorIyEyEEDaPvRmT3_T4_T5_mT6_P12ihipStream_tbENKUlT_T0_E_clISt17integral_constantIbLb1EESX_EEDaSS_ST_EUlSS_E0_NS1_11comp_targetILNS1_3genE10ELNS1_11target_archE1201ELNS1_3gpuE5ELNS1_3repE0EEENS1_30default_config_static_selectorELNS0_4arch9wavefront6targetE1EEEvT1_
		.amdhsa_group_segment_fixed_size 0
		.amdhsa_private_segment_fixed_size 0
		.amdhsa_kernarg_size 48
		.amdhsa_user_sgpr_count 6
		.amdhsa_user_sgpr_private_segment_buffer 1
		.amdhsa_user_sgpr_dispatch_ptr 0
		.amdhsa_user_sgpr_queue_ptr 0
		.amdhsa_user_sgpr_kernarg_segment_ptr 1
		.amdhsa_user_sgpr_dispatch_id 0
		.amdhsa_user_sgpr_flat_scratch_init 0
		.amdhsa_user_sgpr_kernarg_preload_length 0
		.amdhsa_user_sgpr_kernarg_preload_offset 0
		.amdhsa_user_sgpr_private_segment_size 0
		.amdhsa_uses_dynamic_stack 0
		.amdhsa_system_sgpr_private_segment_wavefront_offset 0
		.amdhsa_system_sgpr_workgroup_id_x 1
		.amdhsa_system_sgpr_workgroup_id_y 0
		.amdhsa_system_sgpr_workgroup_id_z 0
		.amdhsa_system_sgpr_workgroup_info 0
		.amdhsa_system_vgpr_workitem_id 0
		.amdhsa_next_free_vgpr 1
		.amdhsa_next_free_sgpr 0
		.amdhsa_accum_offset 4
		.amdhsa_reserve_vcc 0
		.amdhsa_reserve_flat_scratch 0
		.amdhsa_float_round_mode_32 0
		.amdhsa_float_round_mode_16_64 0
		.amdhsa_float_denorm_mode_32 3
		.amdhsa_float_denorm_mode_16_64 3
		.amdhsa_dx10_clamp 1
		.amdhsa_ieee_mode 1
		.amdhsa_fp16_overflow 0
		.amdhsa_tg_split 0
		.amdhsa_exception_fp_ieee_invalid_op 0
		.amdhsa_exception_fp_denorm_src 0
		.amdhsa_exception_fp_ieee_div_zero 0
		.amdhsa_exception_fp_ieee_overflow 0
		.amdhsa_exception_fp_ieee_underflow 0
		.amdhsa_exception_fp_ieee_inexact 0
		.amdhsa_exception_int_div_zero 0
	.end_amdhsa_kernel
	.section	.text._ZN7rocprim17ROCPRIM_400000_NS6detail17trampoline_kernelINS0_14default_configENS1_20scan_config_selectorIyEEZZNS1_9scan_implILNS1_25lookback_scan_determinismE0ELb1ELb1ES3_N6thrust23THRUST_200600_302600_NS6detail15normal_iteratorINS9_10device_ptrIyEEEENS9_16discard_iteratorINS9_11use_defaultEEEy11max_functorIyEyEEDaPvRmT3_T4_T5_mT6_P12ihipStream_tbENKUlT_T0_E_clISt17integral_constantIbLb1EESX_EEDaSS_ST_EUlSS_E0_NS1_11comp_targetILNS1_3genE10ELNS1_11target_archE1201ELNS1_3gpuE5ELNS1_3repE0EEENS1_30default_config_static_selectorELNS0_4arch9wavefront6targetE1EEEvT1_,"axG",@progbits,_ZN7rocprim17ROCPRIM_400000_NS6detail17trampoline_kernelINS0_14default_configENS1_20scan_config_selectorIyEEZZNS1_9scan_implILNS1_25lookback_scan_determinismE0ELb1ELb1ES3_N6thrust23THRUST_200600_302600_NS6detail15normal_iteratorINS9_10device_ptrIyEEEENS9_16discard_iteratorINS9_11use_defaultEEEy11max_functorIyEyEEDaPvRmT3_T4_T5_mT6_P12ihipStream_tbENKUlT_T0_E_clISt17integral_constantIbLb1EESX_EEDaSS_ST_EUlSS_E0_NS1_11comp_targetILNS1_3genE10ELNS1_11target_archE1201ELNS1_3gpuE5ELNS1_3repE0EEENS1_30default_config_static_selectorELNS0_4arch9wavefront6targetE1EEEvT1_,comdat
.Lfunc_end3382:
	.size	_ZN7rocprim17ROCPRIM_400000_NS6detail17trampoline_kernelINS0_14default_configENS1_20scan_config_selectorIyEEZZNS1_9scan_implILNS1_25lookback_scan_determinismE0ELb1ELb1ES3_N6thrust23THRUST_200600_302600_NS6detail15normal_iteratorINS9_10device_ptrIyEEEENS9_16discard_iteratorINS9_11use_defaultEEEy11max_functorIyEyEEDaPvRmT3_T4_T5_mT6_P12ihipStream_tbENKUlT_T0_E_clISt17integral_constantIbLb1EESX_EEDaSS_ST_EUlSS_E0_NS1_11comp_targetILNS1_3genE10ELNS1_11target_archE1201ELNS1_3gpuE5ELNS1_3repE0EEENS1_30default_config_static_selectorELNS0_4arch9wavefront6targetE1EEEvT1_, .Lfunc_end3382-_ZN7rocprim17ROCPRIM_400000_NS6detail17trampoline_kernelINS0_14default_configENS1_20scan_config_selectorIyEEZZNS1_9scan_implILNS1_25lookback_scan_determinismE0ELb1ELb1ES3_N6thrust23THRUST_200600_302600_NS6detail15normal_iteratorINS9_10device_ptrIyEEEENS9_16discard_iteratorINS9_11use_defaultEEEy11max_functorIyEyEEDaPvRmT3_T4_T5_mT6_P12ihipStream_tbENKUlT_T0_E_clISt17integral_constantIbLb1EESX_EEDaSS_ST_EUlSS_E0_NS1_11comp_targetILNS1_3genE10ELNS1_11target_archE1201ELNS1_3gpuE5ELNS1_3repE0EEENS1_30default_config_static_selectorELNS0_4arch9wavefront6targetE1EEEvT1_
                                        ; -- End function
	.section	.AMDGPU.csdata,"",@progbits
; Kernel info:
; codeLenInByte = 0
; NumSgprs: 4
; NumVgprs: 0
; NumAgprs: 0
; TotalNumVgprs: 0
; ScratchSize: 0
; MemoryBound: 0
; FloatMode: 240
; IeeeMode: 1
; LDSByteSize: 0 bytes/workgroup (compile time only)
; SGPRBlocks: 0
; VGPRBlocks: 0
; NumSGPRsForWavesPerEU: 4
; NumVGPRsForWavesPerEU: 1
; AccumOffset: 4
; Occupancy: 8
; WaveLimiterHint : 0
; COMPUTE_PGM_RSRC2:SCRATCH_EN: 0
; COMPUTE_PGM_RSRC2:USER_SGPR: 6
; COMPUTE_PGM_RSRC2:TRAP_HANDLER: 0
; COMPUTE_PGM_RSRC2:TGID_X_EN: 1
; COMPUTE_PGM_RSRC2:TGID_Y_EN: 0
; COMPUTE_PGM_RSRC2:TGID_Z_EN: 0
; COMPUTE_PGM_RSRC2:TIDIG_COMP_CNT: 0
; COMPUTE_PGM_RSRC3_GFX90A:ACCUM_OFFSET: 0
; COMPUTE_PGM_RSRC3_GFX90A:TG_SPLIT: 0
	.section	.text._ZN7rocprim17ROCPRIM_400000_NS6detail17trampoline_kernelINS0_14default_configENS1_20scan_config_selectorIyEEZZNS1_9scan_implILNS1_25lookback_scan_determinismE0ELb1ELb1ES3_N6thrust23THRUST_200600_302600_NS6detail15normal_iteratorINS9_10device_ptrIyEEEENS9_16discard_iteratorINS9_11use_defaultEEEy11max_functorIyEyEEDaPvRmT3_T4_T5_mT6_P12ihipStream_tbENKUlT_T0_E_clISt17integral_constantIbLb1EESX_EEDaSS_ST_EUlSS_E0_NS1_11comp_targetILNS1_3genE10ELNS1_11target_archE1200ELNS1_3gpuE4ELNS1_3repE0EEENS1_30default_config_static_selectorELNS0_4arch9wavefront6targetE1EEEvT1_,"axG",@progbits,_ZN7rocprim17ROCPRIM_400000_NS6detail17trampoline_kernelINS0_14default_configENS1_20scan_config_selectorIyEEZZNS1_9scan_implILNS1_25lookback_scan_determinismE0ELb1ELb1ES3_N6thrust23THRUST_200600_302600_NS6detail15normal_iteratorINS9_10device_ptrIyEEEENS9_16discard_iteratorINS9_11use_defaultEEEy11max_functorIyEyEEDaPvRmT3_T4_T5_mT6_P12ihipStream_tbENKUlT_T0_E_clISt17integral_constantIbLb1EESX_EEDaSS_ST_EUlSS_E0_NS1_11comp_targetILNS1_3genE10ELNS1_11target_archE1200ELNS1_3gpuE4ELNS1_3repE0EEENS1_30default_config_static_selectorELNS0_4arch9wavefront6targetE1EEEvT1_,comdat
	.protected	_ZN7rocprim17ROCPRIM_400000_NS6detail17trampoline_kernelINS0_14default_configENS1_20scan_config_selectorIyEEZZNS1_9scan_implILNS1_25lookback_scan_determinismE0ELb1ELb1ES3_N6thrust23THRUST_200600_302600_NS6detail15normal_iteratorINS9_10device_ptrIyEEEENS9_16discard_iteratorINS9_11use_defaultEEEy11max_functorIyEyEEDaPvRmT3_T4_T5_mT6_P12ihipStream_tbENKUlT_T0_E_clISt17integral_constantIbLb1EESX_EEDaSS_ST_EUlSS_E0_NS1_11comp_targetILNS1_3genE10ELNS1_11target_archE1200ELNS1_3gpuE4ELNS1_3repE0EEENS1_30default_config_static_selectorELNS0_4arch9wavefront6targetE1EEEvT1_ ; -- Begin function _ZN7rocprim17ROCPRIM_400000_NS6detail17trampoline_kernelINS0_14default_configENS1_20scan_config_selectorIyEEZZNS1_9scan_implILNS1_25lookback_scan_determinismE0ELb1ELb1ES3_N6thrust23THRUST_200600_302600_NS6detail15normal_iteratorINS9_10device_ptrIyEEEENS9_16discard_iteratorINS9_11use_defaultEEEy11max_functorIyEyEEDaPvRmT3_T4_T5_mT6_P12ihipStream_tbENKUlT_T0_E_clISt17integral_constantIbLb1EESX_EEDaSS_ST_EUlSS_E0_NS1_11comp_targetILNS1_3genE10ELNS1_11target_archE1200ELNS1_3gpuE4ELNS1_3repE0EEENS1_30default_config_static_selectorELNS0_4arch9wavefront6targetE1EEEvT1_
	.globl	_ZN7rocprim17ROCPRIM_400000_NS6detail17trampoline_kernelINS0_14default_configENS1_20scan_config_selectorIyEEZZNS1_9scan_implILNS1_25lookback_scan_determinismE0ELb1ELb1ES3_N6thrust23THRUST_200600_302600_NS6detail15normal_iteratorINS9_10device_ptrIyEEEENS9_16discard_iteratorINS9_11use_defaultEEEy11max_functorIyEyEEDaPvRmT3_T4_T5_mT6_P12ihipStream_tbENKUlT_T0_E_clISt17integral_constantIbLb1EESX_EEDaSS_ST_EUlSS_E0_NS1_11comp_targetILNS1_3genE10ELNS1_11target_archE1200ELNS1_3gpuE4ELNS1_3repE0EEENS1_30default_config_static_selectorELNS0_4arch9wavefront6targetE1EEEvT1_
	.p2align	8
	.type	_ZN7rocprim17ROCPRIM_400000_NS6detail17trampoline_kernelINS0_14default_configENS1_20scan_config_selectorIyEEZZNS1_9scan_implILNS1_25lookback_scan_determinismE0ELb1ELb1ES3_N6thrust23THRUST_200600_302600_NS6detail15normal_iteratorINS9_10device_ptrIyEEEENS9_16discard_iteratorINS9_11use_defaultEEEy11max_functorIyEyEEDaPvRmT3_T4_T5_mT6_P12ihipStream_tbENKUlT_T0_E_clISt17integral_constantIbLb1EESX_EEDaSS_ST_EUlSS_E0_NS1_11comp_targetILNS1_3genE10ELNS1_11target_archE1200ELNS1_3gpuE4ELNS1_3repE0EEENS1_30default_config_static_selectorELNS0_4arch9wavefront6targetE1EEEvT1_,@function
_ZN7rocprim17ROCPRIM_400000_NS6detail17trampoline_kernelINS0_14default_configENS1_20scan_config_selectorIyEEZZNS1_9scan_implILNS1_25lookback_scan_determinismE0ELb1ELb1ES3_N6thrust23THRUST_200600_302600_NS6detail15normal_iteratorINS9_10device_ptrIyEEEENS9_16discard_iteratorINS9_11use_defaultEEEy11max_functorIyEyEEDaPvRmT3_T4_T5_mT6_P12ihipStream_tbENKUlT_T0_E_clISt17integral_constantIbLb1EESX_EEDaSS_ST_EUlSS_E0_NS1_11comp_targetILNS1_3genE10ELNS1_11target_archE1200ELNS1_3gpuE4ELNS1_3repE0EEENS1_30default_config_static_selectorELNS0_4arch9wavefront6targetE1EEEvT1_: ; @_ZN7rocprim17ROCPRIM_400000_NS6detail17trampoline_kernelINS0_14default_configENS1_20scan_config_selectorIyEEZZNS1_9scan_implILNS1_25lookback_scan_determinismE0ELb1ELb1ES3_N6thrust23THRUST_200600_302600_NS6detail15normal_iteratorINS9_10device_ptrIyEEEENS9_16discard_iteratorINS9_11use_defaultEEEy11max_functorIyEyEEDaPvRmT3_T4_T5_mT6_P12ihipStream_tbENKUlT_T0_E_clISt17integral_constantIbLb1EESX_EEDaSS_ST_EUlSS_E0_NS1_11comp_targetILNS1_3genE10ELNS1_11target_archE1200ELNS1_3gpuE4ELNS1_3repE0EEENS1_30default_config_static_selectorELNS0_4arch9wavefront6targetE1EEEvT1_
; %bb.0:
	.section	.rodata,"a",@progbits
	.p2align	6, 0x0
	.amdhsa_kernel _ZN7rocprim17ROCPRIM_400000_NS6detail17trampoline_kernelINS0_14default_configENS1_20scan_config_selectorIyEEZZNS1_9scan_implILNS1_25lookback_scan_determinismE0ELb1ELb1ES3_N6thrust23THRUST_200600_302600_NS6detail15normal_iteratorINS9_10device_ptrIyEEEENS9_16discard_iteratorINS9_11use_defaultEEEy11max_functorIyEyEEDaPvRmT3_T4_T5_mT6_P12ihipStream_tbENKUlT_T0_E_clISt17integral_constantIbLb1EESX_EEDaSS_ST_EUlSS_E0_NS1_11comp_targetILNS1_3genE10ELNS1_11target_archE1200ELNS1_3gpuE4ELNS1_3repE0EEENS1_30default_config_static_selectorELNS0_4arch9wavefront6targetE1EEEvT1_
		.amdhsa_group_segment_fixed_size 0
		.amdhsa_private_segment_fixed_size 0
		.amdhsa_kernarg_size 48
		.amdhsa_user_sgpr_count 6
		.amdhsa_user_sgpr_private_segment_buffer 1
		.amdhsa_user_sgpr_dispatch_ptr 0
		.amdhsa_user_sgpr_queue_ptr 0
		.amdhsa_user_sgpr_kernarg_segment_ptr 1
		.amdhsa_user_sgpr_dispatch_id 0
		.amdhsa_user_sgpr_flat_scratch_init 0
		.amdhsa_user_sgpr_kernarg_preload_length 0
		.amdhsa_user_sgpr_kernarg_preload_offset 0
		.amdhsa_user_sgpr_private_segment_size 0
		.amdhsa_uses_dynamic_stack 0
		.amdhsa_system_sgpr_private_segment_wavefront_offset 0
		.amdhsa_system_sgpr_workgroup_id_x 1
		.amdhsa_system_sgpr_workgroup_id_y 0
		.amdhsa_system_sgpr_workgroup_id_z 0
		.amdhsa_system_sgpr_workgroup_info 0
		.amdhsa_system_vgpr_workitem_id 0
		.amdhsa_next_free_vgpr 1
		.amdhsa_next_free_sgpr 0
		.amdhsa_accum_offset 4
		.amdhsa_reserve_vcc 0
		.amdhsa_reserve_flat_scratch 0
		.amdhsa_float_round_mode_32 0
		.amdhsa_float_round_mode_16_64 0
		.amdhsa_float_denorm_mode_32 3
		.amdhsa_float_denorm_mode_16_64 3
		.amdhsa_dx10_clamp 1
		.amdhsa_ieee_mode 1
		.amdhsa_fp16_overflow 0
		.amdhsa_tg_split 0
		.amdhsa_exception_fp_ieee_invalid_op 0
		.amdhsa_exception_fp_denorm_src 0
		.amdhsa_exception_fp_ieee_div_zero 0
		.amdhsa_exception_fp_ieee_overflow 0
		.amdhsa_exception_fp_ieee_underflow 0
		.amdhsa_exception_fp_ieee_inexact 0
		.amdhsa_exception_int_div_zero 0
	.end_amdhsa_kernel
	.section	.text._ZN7rocprim17ROCPRIM_400000_NS6detail17trampoline_kernelINS0_14default_configENS1_20scan_config_selectorIyEEZZNS1_9scan_implILNS1_25lookback_scan_determinismE0ELb1ELb1ES3_N6thrust23THRUST_200600_302600_NS6detail15normal_iteratorINS9_10device_ptrIyEEEENS9_16discard_iteratorINS9_11use_defaultEEEy11max_functorIyEyEEDaPvRmT3_T4_T5_mT6_P12ihipStream_tbENKUlT_T0_E_clISt17integral_constantIbLb1EESX_EEDaSS_ST_EUlSS_E0_NS1_11comp_targetILNS1_3genE10ELNS1_11target_archE1200ELNS1_3gpuE4ELNS1_3repE0EEENS1_30default_config_static_selectorELNS0_4arch9wavefront6targetE1EEEvT1_,"axG",@progbits,_ZN7rocprim17ROCPRIM_400000_NS6detail17trampoline_kernelINS0_14default_configENS1_20scan_config_selectorIyEEZZNS1_9scan_implILNS1_25lookback_scan_determinismE0ELb1ELb1ES3_N6thrust23THRUST_200600_302600_NS6detail15normal_iteratorINS9_10device_ptrIyEEEENS9_16discard_iteratorINS9_11use_defaultEEEy11max_functorIyEyEEDaPvRmT3_T4_T5_mT6_P12ihipStream_tbENKUlT_T0_E_clISt17integral_constantIbLb1EESX_EEDaSS_ST_EUlSS_E0_NS1_11comp_targetILNS1_3genE10ELNS1_11target_archE1200ELNS1_3gpuE4ELNS1_3repE0EEENS1_30default_config_static_selectorELNS0_4arch9wavefront6targetE1EEEvT1_,comdat
.Lfunc_end3383:
	.size	_ZN7rocprim17ROCPRIM_400000_NS6detail17trampoline_kernelINS0_14default_configENS1_20scan_config_selectorIyEEZZNS1_9scan_implILNS1_25lookback_scan_determinismE0ELb1ELb1ES3_N6thrust23THRUST_200600_302600_NS6detail15normal_iteratorINS9_10device_ptrIyEEEENS9_16discard_iteratorINS9_11use_defaultEEEy11max_functorIyEyEEDaPvRmT3_T4_T5_mT6_P12ihipStream_tbENKUlT_T0_E_clISt17integral_constantIbLb1EESX_EEDaSS_ST_EUlSS_E0_NS1_11comp_targetILNS1_3genE10ELNS1_11target_archE1200ELNS1_3gpuE4ELNS1_3repE0EEENS1_30default_config_static_selectorELNS0_4arch9wavefront6targetE1EEEvT1_, .Lfunc_end3383-_ZN7rocprim17ROCPRIM_400000_NS6detail17trampoline_kernelINS0_14default_configENS1_20scan_config_selectorIyEEZZNS1_9scan_implILNS1_25lookback_scan_determinismE0ELb1ELb1ES3_N6thrust23THRUST_200600_302600_NS6detail15normal_iteratorINS9_10device_ptrIyEEEENS9_16discard_iteratorINS9_11use_defaultEEEy11max_functorIyEyEEDaPvRmT3_T4_T5_mT6_P12ihipStream_tbENKUlT_T0_E_clISt17integral_constantIbLb1EESX_EEDaSS_ST_EUlSS_E0_NS1_11comp_targetILNS1_3genE10ELNS1_11target_archE1200ELNS1_3gpuE4ELNS1_3repE0EEENS1_30default_config_static_selectorELNS0_4arch9wavefront6targetE1EEEvT1_
                                        ; -- End function
	.section	.AMDGPU.csdata,"",@progbits
; Kernel info:
; codeLenInByte = 0
; NumSgprs: 4
; NumVgprs: 0
; NumAgprs: 0
; TotalNumVgprs: 0
; ScratchSize: 0
; MemoryBound: 0
; FloatMode: 240
; IeeeMode: 1
; LDSByteSize: 0 bytes/workgroup (compile time only)
; SGPRBlocks: 0
; VGPRBlocks: 0
; NumSGPRsForWavesPerEU: 4
; NumVGPRsForWavesPerEU: 1
; AccumOffset: 4
; Occupancy: 8
; WaveLimiterHint : 0
; COMPUTE_PGM_RSRC2:SCRATCH_EN: 0
; COMPUTE_PGM_RSRC2:USER_SGPR: 6
; COMPUTE_PGM_RSRC2:TRAP_HANDLER: 0
; COMPUTE_PGM_RSRC2:TGID_X_EN: 1
; COMPUTE_PGM_RSRC2:TGID_Y_EN: 0
; COMPUTE_PGM_RSRC2:TGID_Z_EN: 0
; COMPUTE_PGM_RSRC2:TIDIG_COMP_CNT: 0
; COMPUTE_PGM_RSRC3_GFX90A:ACCUM_OFFSET: 0
; COMPUTE_PGM_RSRC3_GFX90A:TG_SPLIT: 0
	.section	.text._ZN7rocprim17ROCPRIM_400000_NS6detail17trampoline_kernelINS0_14default_configENS1_20scan_config_selectorIyEEZZNS1_9scan_implILNS1_25lookback_scan_determinismE0ELb1ELb1ES3_N6thrust23THRUST_200600_302600_NS6detail15normal_iteratorINS9_10device_ptrIyEEEENS9_16discard_iteratorINS9_11use_defaultEEEy11max_functorIyEyEEDaPvRmT3_T4_T5_mT6_P12ihipStream_tbENKUlT_T0_E_clISt17integral_constantIbLb1EESX_EEDaSS_ST_EUlSS_E0_NS1_11comp_targetILNS1_3genE9ELNS1_11target_archE1100ELNS1_3gpuE3ELNS1_3repE0EEENS1_30default_config_static_selectorELNS0_4arch9wavefront6targetE1EEEvT1_,"axG",@progbits,_ZN7rocprim17ROCPRIM_400000_NS6detail17trampoline_kernelINS0_14default_configENS1_20scan_config_selectorIyEEZZNS1_9scan_implILNS1_25lookback_scan_determinismE0ELb1ELb1ES3_N6thrust23THRUST_200600_302600_NS6detail15normal_iteratorINS9_10device_ptrIyEEEENS9_16discard_iteratorINS9_11use_defaultEEEy11max_functorIyEyEEDaPvRmT3_T4_T5_mT6_P12ihipStream_tbENKUlT_T0_E_clISt17integral_constantIbLb1EESX_EEDaSS_ST_EUlSS_E0_NS1_11comp_targetILNS1_3genE9ELNS1_11target_archE1100ELNS1_3gpuE3ELNS1_3repE0EEENS1_30default_config_static_selectorELNS0_4arch9wavefront6targetE1EEEvT1_,comdat
	.protected	_ZN7rocprim17ROCPRIM_400000_NS6detail17trampoline_kernelINS0_14default_configENS1_20scan_config_selectorIyEEZZNS1_9scan_implILNS1_25lookback_scan_determinismE0ELb1ELb1ES3_N6thrust23THRUST_200600_302600_NS6detail15normal_iteratorINS9_10device_ptrIyEEEENS9_16discard_iteratorINS9_11use_defaultEEEy11max_functorIyEyEEDaPvRmT3_T4_T5_mT6_P12ihipStream_tbENKUlT_T0_E_clISt17integral_constantIbLb1EESX_EEDaSS_ST_EUlSS_E0_NS1_11comp_targetILNS1_3genE9ELNS1_11target_archE1100ELNS1_3gpuE3ELNS1_3repE0EEENS1_30default_config_static_selectorELNS0_4arch9wavefront6targetE1EEEvT1_ ; -- Begin function _ZN7rocprim17ROCPRIM_400000_NS6detail17trampoline_kernelINS0_14default_configENS1_20scan_config_selectorIyEEZZNS1_9scan_implILNS1_25lookback_scan_determinismE0ELb1ELb1ES3_N6thrust23THRUST_200600_302600_NS6detail15normal_iteratorINS9_10device_ptrIyEEEENS9_16discard_iteratorINS9_11use_defaultEEEy11max_functorIyEyEEDaPvRmT3_T4_T5_mT6_P12ihipStream_tbENKUlT_T0_E_clISt17integral_constantIbLb1EESX_EEDaSS_ST_EUlSS_E0_NS1_11comp_targetILNS1_3genE9ELNS1_11target_archE1100ELNS1_3gpuE3ELNS1_3repE0EEENS1_30default_config_static_selectorELNS0_4arch9wavefront6targetE1EEEvT1_
	.globl	_ZN7rocprim17ROCPRIM_400000_NS6detail17trampoline_kernelINS0_14default_configENS1_20scan_config_selectorIyEEZZNS1_9scan_implILNS1_25lookback_scan_determinismE0ELb1ELb1ES3_N6thrust23THRUST_200600_302600_NS6detail15normal_iteratorINS9_10device_ptrIyEEEENS9_16discard_iteratorINS9_11use_defaultEEEy11max_functorIyEyEEDaPvRmT3_T4_T5_mT6_P12ihipStream_tbENKUlT_T0_E_clISt17integral_constantIbLb1EESX_EEDaSS_ST_EUlSS_E0_NS1_11comp_targetILNS1_3genE9ELNS1_11target_archE1100ELNS1_3gpuE3ELNS1_3repE0EEENS1_30default_config_static_selectorELNS0_4arch9wavefront6targetE1EEEvT1_
	.p2align	8
	.type	_ZN7rocprim17ROCPRIM_400000_NS6detail17trampoline_kernelINS0_14default_configENS1_20scan_config_selectorIyEEZZNS1_9scan_implILNS1_25lookback_scan_determinismE0ELb1ELb1ES3_N6thrust23THRUST_200600_302600_NS6detail15normal_iteratorINS9_10device_ptrIyEEEENS9_16discard_iteratorINS9_11use_defaultEEEy11max_functorIyEyEEDaPvRmT3_T4_T5_mT6_P12ihipStream_tbENKUlT_T0_E_clISt17integral_constantIbLb1EESX_EEDaSS_ST_EUlSS_E0_NS1_11comp_targetILNS1_3genE9ELNS1_11target_archE1100ELNS1_3gpuE3ELNS1_3repE0EEENS1_30default_config_static_selectorELNS0_4arch9wavefront6targetE1EEEvT1_,@function
_ZN7rocprim17ROCPRIM_400000_NS6detail17trampoline_kernelINS0_14default_configENS1_20scan_config_selectorIyEEZZNS1_9scan_implILNS1_25lookback_scan_determinismE0ELb1ELb1ES3_N6thrust23THRUST_200600_302600_NS6detail15normal_iteratorINS9_10device_ptrIyEEEENS9_16discard_iteratorINS9_11use_defaultEEEy11max_functorIyEyEEDaPvRmT3_T4_T5_mT6_P12ihipStream_tbENKUlT_T0_E_clISt17integral_constantIbLb1EESX_EEDaSS_ST_EUlSS_E0_NS1_11comp_targetILNS1_3genE9ELNS1_11target_archE1100ELNS1_3gpuE3ELNS1_3repE0EEENS1_30default_config_static_selectorELNS0_4arch9wavefront6targetE1EEEvT1_: ; @_ZN7rocprim17ROCPRIM_400000_NS6detail17trampoline_kernelINS0_14default_configENS1_20scan_config_selectorIyEEZZNS1_9scan_implILNS1_25lookback_scan_determinismE0ELb1ELb1ES3_N6thrust23THRUST_200600_302600_NS6detail15normal_iteratorINS9_10device_ptrIyEEEENS9_16discard_iteratorINS9_11use_defaultEEEy11max_functorIyEyEEDaPvRmT3_T4_T5_mT6_P12ihipStream_tbENKUlT_T0_E_clISt17integral_constantIbLb1EESX_EEDaSS_ST_EUlSS_E0_NS1_11comp_targetILNS1_3genE9ELNS1_11target_archE1100ELNS1_3gpuE3ELNS1_3repE0EEENS1_30default_config_static_selectorELNS0_4arch9wavefront6targetE1EEEvT1_
; %bb.0:
	.section	.rodata,"a",@progbits
	.p2align	6, 0x0
	.amdhsa_kernel _ZN7rocprim17ROCPRIM_400000_NS6detail17trampoline_kernelINS0_14default_configENS1_20scan_config_selectorIyEEZZNS1_9scan_implILNS1_25lookback_scan_determinismE0ELb1ELb1ES3_N6thrust23THRUST_200600_302600_NS6detail15normal_iteratorINS9_10device_ptrIyEEEENS9_16discard_iteratorINS9_11use_defaultEEEy11max_functorIyEyEEDaPvRmT3_T4_T5_mT6_P12ihipStream_tbENKUlT_T0_E_clISt17integral_constantIbLb1EESX_EEDaSS_ST_EUlSS_E0_NS1_11comp_targetILNS1_3genE9ELNS1_11target_archE1100ELNS1_3gpuE3ELNS1_3repE0EEENS1_30default_config_static_selectorELNS0_4arch9wavefront6targetE1EEEvT1_
		.amdhsa_group_segment_fixed_size 0
		.amdhsa_private_segment_fixed_size 0
		.amdhsa_kernarg_size 48
		.amdhsa_user_sgpr_count 6
		.amdhsa_user_sgpr_private_segment_buffer 1
		.amdhsa_user_sgpr_dispatch_ptr 0
		.amdhsa_user_sgpr_queue_ptr 0
		.amdhsa_user_sgpr_kernarg_segment_ptr 1
		.amdhsa_user_sgpr_dispatch_id 0
		.amdhsa_user_sgpr_flat_scratch_init 0
		.amdhsa_user_sgpr_kernarg_preload_length 0
		.amdhsa_user_sgpr_kernarg_preload_offset 0
		.amdhsa_user_sgpr_private_segment_size 0
		.amdhsa_uses_dynamic_stack 0
		.amdhsa_system_sgpr_private_segment_wavefront_offset 0
		.amdhsa_system_sgpr_workgroup_id_x 1
		.amdhsa_system_sgpr_workgroup_id_y 0
		.amdhsa_system_sgpr_workgroup_id_z 0
		.amdhsa_system_sgpr_workgroup_info 0
		.amdhsa_system_vgpr_workitem_id 0
		.amdhsa_next_free_vgpr 1
		.amdhsa_next_free_sgpr 0
		.amdhsa_accum_offset 4
		.amdhsa_reserve_vcc 0
		.amdhsa_reserve_flat_scratch 0
		.amdhsa_float_round_mode_32 0
		.amdhsa_float_round_mode_16_64 0
		.amdhsa_float_denorm_mode_32 3
		.amdhsa_float_denorm_mode_16_64 3
		.amdhsa_dx10_clamp 1
		.amdhsa_ieee_mode 1
		.amdhsa_fp16_overflow 0
		.amdhsa_tg_split 0
		.amdhsa_exception_fp_ieee_invalid_op 0
		.amdhsa_exception_fp_denorm_src 0
		.amdhsa_exception_fp_ieee_div_zero 0
		.amdhsa_exception_fp_ieee_overflow 0
		.amdhsa_exception_fp_ieee_underflow 0
		.amdhsa_exception_fp_ieee_inexact 0
		.amdhsa_exception_int_div_zero 0
	.end_amdhsa_kernel
	.section	.text._ZN7rocprim17ROCPRIM_400000_NS6detail17trampoline_kernelINS0_14default_configENS1_20scan_config_selectorIyEEZZNS1_9scan_implILNS1_25lookback_scan_determinismE0ELb1ELb1ES3_N6thrust23THRUST_200600_302600_NS6detail15normal_iteratorINS9_10device_ptrIyEEEENS9_16discard_iteratorINS9_11use_defaultEEEy11max_functorIyEyEEDaPvRmT3_T4_T5_mT6_P12ihipStream_tbENKUlT_T0_E_clISt17integral_constantIbLb1EESX_EEDaSS_ST_EUlSS_E0_NS1_11comp_targetILNS1_3genE9ELNS1_11target_archE1100ELNS1_3gpuE3ELNS1_3repE0EEENS1_30default_config_static_selectorELNS0_4arch9wavefront6targetE1EEEvT1_,"axG",@progbits,_ZN7rocprim17ROCPRIM_400000_NS6detail17trampoline_kernelINS0_14default_configENS1_20scan_config_selectorIyEEZZNS1_9scan_implILNS1_25lookback_scan_determinismE0ELb1ELb1ES3_N6thrust23THRUST_200600_302600_NS6detail15normal_iteratorINS9_10device_ptrIyEEEENS9_16discard_iteratorINS9_11use_defaultEEEy11max_functorIyEyEEDaPvRmT3_T4_T5_mT6_P12ihipStream_tbENKUlT_T0_E_clISt17integral_constantIbLb1EESX_EEDaSS_ST_EUlSS_E0_NS1_11comp_targetILNS1_3genE9ELNS1_11target_archE1100ELNS1_3gpuE3ELNS1_3repE0EEENS1_30default_config_static_selectorELNS0_4arch9wavefront6targetE1EEEvT1_,comdat
.Lfunc_end3384:
	.size	_ZN7rocprim17ROCPRIM_400000_NS6detail17trampoline_kernelINS0_14default_configENS1_20scan_config_selectorIyEEZZNS1_9scan_implILNS1_25lookback_scan_determinismE0ELb1ELb1ES3_N6thrust23THRUST_200600_302600_NS6detail15normal_iteratorINS9_10device_ptrIyEEEENS9_16discard_iteratorINS9_11use_defaultEEEy11max_functorIyEyEEDaPvRmT3_T4_T5_mT6_P12ihipStream_tbENKUlT_T0_E_clISt17integral_constantIbLb1EESX_EEDaSS_ST_EUlSS_E0_NS1_11comp_targetILNS1_3genE9ELNS1_11target_archE1100ELNS1_3gpuE3ELNS1_3repE0EEENS1_30default_config_static_selectorELNS0_4arch9wavefront6targetE1EEEvT1_, .Lfunc_end3384-_ZN7rocprim17ROCPRIM_400000_NS6detail17trampoline_kernelINS0_14default_configENS1_20scan_config_selectorIyEEZZNS1_9scan_implILNS1_25lookback_scan_determinismE0ELb1ELb1ES3_N6thrust23THRUST_200600_302600_NS6detail15normal_iteratorINS9_10device_ptrIyEEEENS9_16discard_iteratorINS9_11use_defaultEEEy11max_functorIyEyEEDaPvRmT3_T4_T5_mT6_P12ihipStream_tbENKUlT_T0_E_clISt17integral_constantIbLb1EESX_EEDaSS_ST_EUlSS_E0_NS1_11comp_targetILNS1_3genE9ELNS1_11target_archE1100ELNS1_3gpuE3ELNS1_3repE0EEENS1_30default_config_static_selectorELNS0_4arch9wavefront6targetE1EEEvT1_
                                        ; -- End function
	.section	.AMDGPU.csdata,"",@progbits
; Kernel info:
; codeLenInByte = 0
; NumSgprs: 4
; NumVgprs: 0
; NumAgprs: 0
; TotalNumVgprs: 0
; ScratchSize: 0
; MemoryBound: 0
; FloatMode: 240
; IeeeMode: 1
; LDSByteSize: 0 bytes/workgroup (compile time only)
; SGPRBlocks: 0
; VGPRBlocks: 0
; NumSGPRsForWavesPerEU: 4
; NumVGPRsForWavesPerEU: 1
; AccumOffset: 4
; Occupancy: 8
; WaveLimiterHint : 0
; COMPUTE_PGM_RSRC2:SCRATCH_EN: 0
; COMPUTE_PGM_RSRC2:USER_SGPR: 6
; COMPUTE_PGM_RSRC2:TRAP_HANDLER: 0
; COMPUTE_PGM_RSRC2:TGID_X_EN: 1
; COMPUTE_PGM_RSRC2:TGID_Y_EN: 0
; COMPUTE_PGM_RSRC2:TGID_Z_EN: 0
; COMPUTE_PGM_RSRC2:TIDIG_COMP_CNT: 0
; COMPUTE_PGM_RSRC3_GFX90A:ACCUM_OFFSET: 0
; COMPUTE_PGM_RSRC3_GFX90A:TG_SPLIT: 0
	.section	.text._ZN7rocprim17ROCPRIM_400000_NS6detail17trampoline_kernelINS0_14default_configENS1_20scan_config_selectorIyEEZZNS1_9scan_implILNS1_25lookback_scan_determinismE0ELb1ELb1ES3_N6thrust23THRUST_200600_302600_NS6detail15normal_iteratorINS9_10device_ptrIyEEEENS9_16discard_iteratorINS9_11use_defaultEEEy11max_functorIyEyEEDaPvRmT3_T4_T5_mT6_P12ihipStream_tbENKUlT_T0_E_clISt17integral_constantIbLb1EESX_EEDaSS_ST_EUlSS_E0_NS1_11comp_targetILNS1_3genE8ELNS1_11target_archE1030ELNS1_3gpuE2ELNS1_3repE0EEENS1_30default_config_static_selectorELNS0_4arch9wavefront6targetE1EEEvT1_,"axG",@progbits,_ZN7rocprim17ROCPRIM_400000_NS6detail17trampoline_kernelINS0_14default_configENS1_20scan_config_selectorIyEEZZNS1_9scan_implILNS1_25lookback_scan_determinismE0ELb1ELb1ES3_N6thrust23THRUST_200600_302600_NS6detail15normal_iteratorINS9_10device_ptrIyEEEENS9_16discard_iteratorINS9_11use_defaultEEEy11max_functorIyEyEEDaPvRmT3_T4_T5_mT6_P12ihipStream_tbENKUlT_T0_E_clISt17integral_constantIbLb1EESX_EEDaSS_ST_EUlSS_E0_NS1_11comp_targetILNS1_3genE8ELNS1_11target_archE1030ELNS1_3gpuE2ELNS1_3repE0EEENS1_30default_config_static_selectorELNS0_4arch9wavefront6targetE1EEEvT1_,comdat
	.protected	_ZN7rocprim17ROCPRIM_400000_NS6detail17trampoline_kernelINS0_14default_configENS1_20scan_config_selectorIyEEZZNS1_9scan_implILNS1_25lookback_scan_determinismE0ELb1ELb1ES3_N6thrust23THRUST_200600_302600_NS6detail15normal_iteratorINS9_10device_ptrIyEEEENS9_16discard_iteratorINS9_11use_defaultEEEy11max_functorIyEyEEDaPvRmT3_T4_T5_mT6_P12ihipStream_tbENKUlT_T0_E_clISt17integral_constantIbLb1EESX_EEDaSS_ST_EUlSS_E0_NS1_11comp_targetILNS1_3genE8ELNS1_11target_archE1030ELNS1_3gpuE2ELNS1_3repE0EEENS1_30default_config_static_selectorELNS0_4arch9wavefront6targetE1EEEvT1_ ; -- Begin function _ZN7rocprim17ROCPRIM_400000_NS6detail17trampoline_kernelINS0_14default_configENS1_20scan_config_selectorIyEEZZNS1_9scan_implILNS1_25lookback_scan_determinismE0ELb1ELb1ES3_N6thrust23THRUST_200600_302600_NS6detail15normal_iteratorINS9_10device_ptrIyEEEENS9_16discard_iteratorINS9_11use_defaultEEEy11max_functorIyEyEEDaPvRmT3_T4_T5_mT6_P12ihipStream_tbENKUlT_T0_E_clISt17integral_constantIbLb1EESX_EEDaSS_ST_EUlSS_E0_NS1_11comp_targetILNS1_3genE8ELNS1_11target_archE1030ELNS1_3gpuE2ELNS1_3repE0EEENS1_30default_config_static_selectorELNS0_4arch9wavefront6targetE1EEEvT1_
	.globl	_ZN7rocprim17ROCPRIM_400000_NS6detail17trampoline_kernelINS0_14default_configENS1_20scan_config_selectorIyEEZZNS1_9scan_implILNS1_25lookback_scan_determinismE0ELb1ELb1ES3_N6thrust23THRUST_200600_302600_NS6detail15normal_iteratorINS9_10device_ptrIyEEEENS9_16discard_iteratorINS9_11use_defaultEEEy11max_functorIyEyEEDaPvRmT3_T4_T5_mT6_P12ihipStream_tbENKUlT_T0_E_clISt17integral_constantIbLb1EESX_EEDaSS_ST_EUlSS_E0_NS1_11comp_targetILNS1_3genE8ELNS1_11target_archE1030ELNS1_3gpuE2ELNS1_3repE0EEENS1_30default_config_static_selectorELNS0_4arch9wavefront6targetE1EEEvT1_
	.p2align	8
	.type	_ZN7rocprim17ROCPRIM_400000_NS6detail17trampoline_kernelINS0_14default_configENS1_20scan_config_selectorIyEEZZNS1_9scan_implILNS1_25lookback_scan_determinismE0ELb1ELb1ES3_N6thrust23THRUST_200600_302600_NS6detail15normal_iteratorINS9_10device_ptrIyEEEENS9_16discard_iteratorINS9_11use_defaultEEEy11max_functorIyEyEEDaPvRmT3_T4_T5_mT6_P12ihipStream_tbENKUlT_T0_E_clISt17integral_constantIbLb1EESX_EEDaSS_ST_EUlSS_E0_NS1_11comp_targetILNS1_3genE8ELNS1_11target_archE1030ELNS1_3gpuE2ELNS1_3repE0EEENS1_30default_config_static_selectorELNS0_4arch9wavefront6targetE1EEEvT1_,@function
_ZN7rocprim17ROCPRIM_400000_NS6detail17trampoline_kernelINS0_14default_configENS1_20scan_config_selectorIyEEZZNS1_9scan_implILNS1_25lookback_scan_determinismE0ELb1ELb1ES3_N6thrust23THRUST_200600_302600_NS6detail15normal_iteratorINS9_10device_ptrIyEEEENS9_16discard_iteratorINS9_11use_defaultEEEy11max_functorIyEyEEDaPvRmT3_T4_T5_mT6_P12ihipStream_tbENKUlT_T0_E_clISt17integral_constantIbLb1EESX_EEDaSS_ST_EUlSS_E0_NS1_11comp_targetILNS1_3genE8ELNS1_11target_archE1030ELNS1_3gpuE2ELNS1_3repE0EEENS1_30default_config_static_selectorELNS0_4arch9wavefront6targetE1EEEvT1_: ; @_ZN7rocprim17ROCPRIM_400000_NS6detail17trampoline_kernelINS0_14default_configENS1_20scan_config_selectorIyEEZZNS1_9scan_implILNS1_25lookback_scan_determinismE0ELb1ELb1ES3_N6thrust23THRUST_200600_302600_NS6detail15normal_iteratorINS9_10device_ptrIyEEEENS9_16discard_iteratorINS9_11use_defaultEEEy11max_functorIyEyEEDaPvRmT3_T4_T5_mT6_P12ihipStream_tbENKUlT_T0_E_clISt17integral_constantIbLb1EESX_EEDaSS_ST_EUlSS_E0_NS1_11comp_targetILNS1_3genE8ELNS1_11target_archE1030ELNS1_3gpuE2ELNS1_3repE0EEENS1_30default_config_static_selectorELNS0_4arch9wavefront6targetE1EEEvT1_
; %bb.0:
	.section	.rodata,"a",@progbits
	.p2align	6, 0x0
	.amdhsa_kernel _ZN7rocprim17ROCPRIM_400000_NS6detail17trampoline_kernelINS0_14default_configENS1_20scan_config_selectorIyEEZZNS1_9scan_implILNS1_25lookback_scan_determinismE0ELb1ELb1ES3_N6thrust23THRUST_200600_302600_NS6detail15normal_iteratorINS9_10device_ptrIyEEEENS9_16discard_iteratorINS9_11use_defaultEEEy11max_functorIyEyEEDaPvRmT3_T4_T5_mT6_P12ihipStream_tbENKUlT_T0_E_clISt17integral_constantIbLb1EESX_EEDaSS_ST_EUlSS_E0_NS1_11comp_targetILNS1_3genE8ELNS1_11target_archE1030ELNS1_3gpuE2ELNS1_3repE0EEENS1_30default_config_static_selectorELNS0_4arch9wavefront6targetE1EEEvT1_
		.amdhsa_group_segment_fixed_size 0
		.amdhsa_private_segment_fixed_size 0
		.amdhsa_kernarg_size 48
		.amdhsa_user_sgpr_count 6
		.amdhsa_user_sgpr_private_segment_buffer 1
		.amdhsa_user_sgpr_dispatch_ptr 0
		.amdhsa_user_sgpr_queue_ptr 0
		.amdhsa_user_sgpr_kernarg_segment_ptr 1
		.amdhsa_user_sgpr_dispatch_id 0
		.amdhsa_user_sgpr_flat_scratch_init 0
		.amdhsa_user_sgpr_kernarg_preload_length 0
		.amdhsa_user_sgpr_kernarg_preload_offset 0
		.amdhsa_user_sgpr_private_segment_size 0
		.amdhsa_uses_dynamic_stack 0
		.amdhsa_system_sgpr_private_segment_wavefront_offset 0
		.amdhsa_system_sgpr_workgroup_id_x 1
		.amdhsa_system_sgpr_workgroup_id_y 0
		.amdhsa_system_sgpr_workgroup_id_z 0
		.amdhsa_system_sgpr_workgroup_info 0
		.amdhsa_system_vgpr_workitem_id 0
		.amdhsa_next_free_vgpr 1
		.amdhsa_next_free_sgpr 0
		.amdhsa_accum_offset 4
		.amdhsa_reserve_vcc 0
		.amdhsa_reserve_flat_scratch 0
		.amdhsa_float_round_mode_32 0
		.amdhsa_float_round_mode_16_64 0
		.amdhsa_float_denorm_mode_32 3
		.amdhsa_float_denorm_mode_16_64 3
		.amdhsa_dx10_clamp 1
		.amdhsa_ieee_mode 1
		.amdhsa_fp16_overflow 0
		.amdhsa_tg_split 0
		.amdhsa_exception_fp_ieee_invalid_op 0
		.amdhsa_exception_fp_denorm_src 0
		.amdhsa_exception_fp_ieee_div_zero 0
		.amdhsa_exception_fp_ieee_overflow 0
		.amdhsa_exception_fp_ieee_underflow 0
		.amdhsa_exception_fp_ieee_inexact 0
		.amdhsa_exception_int_div_zero 0
	.end_amdhsa_kernel
	.section	.text._ZN7rocprim17ROCPRIM_400000_NS6detail17trampoline_kernelINS0_14default_configENS1_20scan_config_selectorIyEEZZNS1_9scan_implILNS1_25lookback_scan_determinismE0ELb1ELb1ES3_N6thrust23THRUST_200600_302600_NS6detail15normal_iteratorINS9_10device_ptrIyEEEENS9_16discard_iteratorINS9_11use_defaultEEEy11max_functorIyEyEEDaPvRmT3_T4_T5_mT6_P12ihipStream_tbENKUlT_T0_E_clISt17integral_constantIbLb1EESX_EEDaSS_ST_EUlSS_E0_NS1_11comp_targetILNS1_3genE8ELNS1_11target_archE1030ELNS1_3gpuE2ELNS1_3repE0EEENS1_30default_config_static_selectorELNS0_4arch9wavefront6targetE1EEEvT1_,"axG",@progbits,_ZN7rocprim17ROCPRIM_400000_NS6detail17trampoline_kernelINS0_14default_configENS1_20scan_config_selectorIyEEZZNS1_9scan_implILNS1_25lookback_scan_determinismE0ELb1ELb1ES3_N6thrust23THRUST_200600_302600_NS6detail15normal_iteratorINS9_10device_ptrIyEEEENS9_16discard_iteratorINS9_11use_defaultEEEy11max_functorIyEyEEDaPvRmT3_T4_T5_mT6_P12ihipStream_tbENKUlT_T0_E_clISt17integral_constantIbLb1EESX_EEDaSS_ST_EUlSS_E0_NS1_11comp_targetILNS1_3genE8ELNS1_11target_archE1030ELNS1_3gpuE2ELNS1_3repE0EEENS1_30default_config_static_selectorELNS0_4arch9wavefront6targetE1EEEvT1_,comdat
.Lfunc_end3385:
	.size	_ZN7rocprim17ROCPRIM_400000_NS6detail17trampoline_kernelINS0_14default_configENS1_20scan_config_selectorIyEEZZNS1_9scan_implILNS1_25lookback_scan_determinismE0ELb1ELb1ES3_N6thrust23THRUST_200600_302600_NS6detail15normal_iteratorINS9_10device_ptrIyEEEENS9_16discard_iteratorINS9_11use_defaultEEEy11max_functorIyEyEEDaPvRmT3_T4_T5_mT6_P12ihipStream_tbENKUlT_T0_E_clISt17integral_constantIbLb1EESX_EEDaSS_ST_EUlSS_E0_NS1_11comp_targetILNS1_3genE8ELNS1_11target_archE1030ELNS1_3gpuE2ELNS1_3repE0EEENS1_30default_config_static_selectorELNS0_4arch9wavefront6targetE1EEEvT1_, .Lfunc_end3385-_ZN7rocprim17ROCPRIM_400000_NS6detail17trampoline_kernelINS0_14default_configENS1_20scan_config_selectorIyEEZZNS1_9scan_implILNS1_25lookback_scan_determinismE0ELb1ELb1ES3_N6thrust23THRUST_200600_302600_NS6detail15normal_iteratorINS9_10device_ptrIyEEEENS9_16discard_iteratorINS9_11use_defaultEEEy11max_functorIyEyEEDaPvRmT3_T4_T5_mT6_P12ihipStream_tbENKUlT_T0_E_clISt17integral_constantIbLb1EESX_EEDaSS_ST_EUlSS_E0_NS1_11comp_targetILNS1_3genE8ELNS1_11target_archE1030ELNS1_3gpuE2ELNS1_3repE0EEENS1_30default_config_static_selectorELNS0_4arch9wavefront6targetE1EEEvT1_
                                        ; -- End function
	.section	.AMDGPU.csdata,"",@progbits
; Kernel info:
; codeLenInByte = 0
; NumSgprs: 4
; NumVgprs: 0
; NumAgprs: 0
; TotalNumVgprs: 0
; ScratchSize: 0
; MemoryBound: 0
; FloatMode: 240
; IeeeMode: 1
; LDSByteSize: 0 bytes/workgroup (compile time only)
; SGPRBlocks: 0
; VGPRBlocks: 0
; NumSGPRsForWavesPerEU: 4
; NumVGPRsForWavesPerEU: 1
; AccumOffset: 4
; Occupancy: 8
; WaveLimiterHint : 0
; COMPUTE_PGM_RSRC2:SCRATCH_EN: 0
; COMPUTE_PGM_RSRC2:USER_SGPR: 6
; COMPUTE_PGM_RSRC2:TRAP_HANDLER: 0
; COMPUTE_PGM_RSRC2:TGID_X_EN: 1
; COMPUTE_PGM_RSRC2:TGID_Y_EN: 0
; COMPUTE_PGM_RSRC2:TGID_Z_EN: 0
; COMPUTE_PGM_RSRC2:TIDIG_COMP_CNT: 0
; COMPUTE_PGM_RSRC3_GFX90A:ACCUM_OFFSET: 0
; COMPUTE_PGM_RSRC3_GFX90A:TG_SPLIT: 0
	.section	.text._ZN7rocprim17ROCPRIM_400000_NS6detail17trampoline_kernelINS0_14default_configENS1_20scan_config_selectorIyEEZZNS1_9scan_implILNS1_25lookback_scan_determinismE0ELb1ELb1ES3_N6thrust23THRUST_200600_302600_NS6detail15normal_iteratorINS9_10device_ptrIyEEEENS9_16discard_iteratorINS9_11use_defaultEEEy11max_functorIyEyEEDaPvRmT3_T4_T5_mT6_P12ihipStream_tbENKUlT_T0_E_clISt17integral_constantIbLb1EESW_IbLb0EEEEDaSS_ST_EUlSS_E_NS1_11comp_targetILNS1_3genE0ELNS1_11target_archE4294967295ELNS1_3gpuE0ELNS1_3repE0EEENS1_30default_config_static_selectorELNS0_4arch9wavefront6targetE1EEEvT1_,"axG",@progbits,_ZN7rocprim17ROCPRIM_400000_NS6detail17trampoline_kernelINS0_14default_configENS1_20scan_config_selectorIyEEZZNS1_9scan_implILNS1_25lookback_scan_determinismE0ELb1ELb1ES3_N6thrust23THRUST_200600_302600_NS6detail15normal_iteratorINS9_10device_ptrIyEEEENS9_16discard_iteratorINS9_11use_defaultEEEy11max_functorIyEyEEDaPvRmT3_T4_T5_mT6_P12ihipStream_tbENKUlT_T0_E_clISt17integral_constantIbLb1EESW_IbLb0EEEEDaSS_ST_EUlSS_E_NS1_11comp_targetILNS1_3genE0ELNS1_11target_archE4294967295ELNS1_3gpuE0ELNS1_3repE0EEENS1_30default_config_static_selectorELNS0_4arch9wavefront6targetE1EEEvT1_,comdat
	.protected	_ZN7rocprim17ROCPRIM_400000_NS6detail17trampoline_kernelINS0_14default_configENS1_20scan_config_selectorIyEEZZNS1_9scan_implILNS1_25lookback_scan_determinismE0ELb1ELb1ES3_N6thrust23THRUST_200600_302600_NS6detail15normal_iteratorINS9_10device_ptrIyEEEENS9_16discard_iteratorINS9_11use_defaultEEEy11max_functorIyEyEEDaPvRmT3_T4_T5_mT6_P12ihipStream_tbENKUlT_T0_E_clISt17integral_constantIbLb1EESW_IbLb0EEEEDaSS_ST_EUlSS_E_NS1_11comp_targetILNS1_3genE0ELNS1_11target_archE4294967295ELNS1_3gpuE0ELNS1_3repE0EEENS1_30default_config_static_selectorELNS0_4arch9wavefront6targetE1EEEvT1_ ; -- Begin function _ZN7rocprim17ROCPRIM_400000_NS6detail17trampoline_kernelINS0_14default_configENS1_20scan_config_selectorIyEEZZNS1_9scan_implILNS1_25lookback_scan_determinismE0ELb1ELb1ES3_N6thrust23THRUST_200600_302600_NS6detail15normal_iteratorINS9_10device_ptrIyEEEENS9_16discard_iteratorINS9_11use_defaultEEEy11max_functorIyEyEEDaPvRmT3_T4_T5_mT6_P12ihipStream_tbENKUlT_T0_E_clISt17integral_constantIbLb1EESW_IbLb0EEEEDaSS_ST_EUlSS_E_NS1_11comp_targetILNS1_3genE0ELNS1_11target_archE4294967295ELNS1_3gpuE0ELNS1_3repE0EEENS1_30default_config_static_selectorELNS0_4arch9wavefront6targetE1EEEvT1_
	.globl	_ZN7rocprim17ROCPRIM_400000_NS6detail17trampoline_kernelINS0_14default_configENS1_20scan_config_selectorIyEEZZNS1_9scan_implILNS1_25lookback_scan_determinismE0ELb1ELb1ES3_N6thrust23THRUST_200600_302600_NS6detail15normal_iteratorINS9_10device_ptrIyEEEENS9_16discard_iteratorINS9_11use_defaultEEEy11max_functorIyEyEEDaPvRmT3_T4_T5_mT6_P12ihipStream_tbENKUlT_T0_E_clISt17integral_constantIbLb1EESW_IbLb0EEEEDaSS_ST_EUlSS_E_NS1_11comp_targetILNS1_3genE0ELNS1_11target_archE4294967295ELNS1_3gpuE0ELNS1_3repE0EEENS1_30default_config_static_selectorELNS0_4arch9wavefront6targetE1EEEvT1_
	.p2align	8
	.type	_ZN7rocprim17ROCPRIM_400000_NS6detail17trampoline_kernelINS0_14default_configENS1_20scan_config_selectorIyEEZZNS1_9scan_implILNS1_25lookback_scan_determinismE0ELb1ELb1ES3_N6thrust23THRUST_200600_302600_NS6detail15normal_iteratorINS9_10device_ptrIyEEEENS9_16discard_iteratorINS9_11use_defaultEEEy11max_functorIyEyEEDaPvRmT3_T4_T5_mT6_P12ihipStream_tbENKUlT_T0_E_clISt17integral_constantIbLb1EESW_IbLb0EEEEDaSS_ST_EUlSS_E_NS1_11comp_targetILNS1_3genE0ELNS1_11target_archE4294967295ELNS1_3gpuE0ELNS1_3repE0EEENS1_30default_config_static_selectorELNS0_4arch9wavefront6targetE1EEEvT1_,@function
_ZN7rocprim17ROCPRIM_400000_NS6detail17trampoline_kernelINS0_14default_configENS1_20scan_config_selectorIyEEZZNS1_9scan_implILNS1_25lookback_scan_determinismE0ELb1ELb1ES3_N6thrust23THRUST_200600_302600_NS6detail15normal_iteratorINS9_10device_ptrIyEEEENS9_16discard_iteratorINS9_11use_defaultEEEy11max_functorIyEyEEDaPvRmT3_T4_T5_mT6_P12ihipStream_tbENKUlT_T0_E_clISt17integral_constantIbLb1EESW_IbLb0EEEEDaSS_ST_EUlSS_E_NS1_11comp_targetILNS1_3genE0ELNS1_11target_archE4294967295ELNS1_3gpuE0ELNS1_3repE0EEENS1_30default_config_static_selectorELNS0_4arch9wavefront6targetE1EEEvT1_: ; @_ZN7rocprim17ROCPRIM_400000_NS6detail17trampoline_kernelINS0_14default_configENS1_20scan_config_selectorIyEEZZNS1_9scan_implILNS1_25lookback_scan_determinismE0ELb1ELb1ES3_N6thrust23THRUST_200600_302600_NS6detail15normal_iteratorINS9_10device_ptrIyEEEENS9_16discard_iteratorINS9_11use_defaultEEEy11max_functorIyEyEEDaPvRmT3_T4_T5_mT6_P12ihipStream_tbENKUlT_T0_E_clISt17integral_constantIbLb1EESW_IbLb0EEEEDaSS_ST_EUlSS_E_NS1_11comp_targetILNS1_3genE0ELNS1_11target_archE4294967295ELNS1_3gpuE0ELNS1_3repE0EEENS1_30default_config_static_selectorELNS0_4arch9wavefront6targetE1EEEvT1_
; %bb.0:
	.section	.rodata,"a",@progbits
	.p2align	6, 0x0
	.amdhsa_kernel _ZN7rocprim17ROCPRIM_400000_NS6detail17trampoline_kernelINS0_14default_configENS1_20scan_config_selectorIyEEZZNS1_9scan_implILNS1_25lookback_scan_determinismE0ELb1ELb1ES3_N6thrust23THRUST_200600_302600_NS6detail15normal_iteratorINS9_10device_ptrIyEEEENS9_16discard_iteratorINS9_11use_defaultEEEy11max_functorIyEyEEDaPvRmT3_T4_T5_mT6_P12ihipStream_tbENKUlT_T0_E_clISt17integral_constantIbLb1EESW_IbLb0EEEEDaSS_ST_EUlSS_E_NS1_11comp_targetILNS1_3genE0ELNS1_11target_archE4294967295ELNS1_3gpuE0ELNS1_3repE0EEENS1_30default_config_static_selectorELNS0_4arch9wavefront6targetE1EEEvT1_
		.amdhsa_group_segment_fixed_size 0
		.amdhsa_private_segment_fixed_size 0
		.amdhsa_kernarg_size 112
		.amdhsa_user_sgpr_count 6
		.amdhsa_user_sgpr_private_segment_buffer 1
		.amdhsa_user_sgpr_dispatch_ptr 0
		.amdhsa_user_sgpr_queue_ptr 0
		.amdhsa_user_sgpr_kernarg_segment_ptr 1
		.amdhsa_user_sgpr_dispatch_id 0
		.amdhsa_user_sgpr_flat_scratch_init 0
		.amdhsa_user_sgpr_kernarg_preload_length 0
		.amdhsa_user_sgpr_kernarg_preload_offset 0
		.amdhsa_user_sgpr_private_segment_size 0
		.amdhsa_uses_dynamic_stack 0
		.amdhsa_system_sgpr_private_segment_wavefront_offset 0
		.amdhsa_system_sgpr_workgroup_id_x 1
		.amdhsa_system_sgpr_workgroup_id_y 0
		.amdhsa_system_sgpr_workgroup_id_z 0
		.amdhsa_system_sgpr_workgroup_info 0
		.amdhsa_system_vgpr_workitem_id 0
		.amdhsa_next_free_vgpr 1
		.amdhsa_next_free_sgpr 0
		.amdhsa_accum_offset 4
		.amdhsa_reserve_vcc 0
		.amdhsa_reserve_flat_scratch 0
		.amdhsa_float_round_mode_32 0
		.amdhsa_float_round_mode_16_64 0
		.amdhsa_float_denorm_mode_32 3
		.amdhsa_float_denorm_mode_16_64 3
		.amdhsa_dx10_clamp 1
		.amdhsa_ieee_mode 1
		.amdhsa_fp16_overflow 0
		.amdhsa_tg_split 0
		.amdhsa_exception_fp_ieee_invalid_op 0
		.amdhsa_exception_fp_denorm_src 0
		.amdhsa_exception_fp_ieee_div_zero 0
		.amdhsa_exception_fp_ieee_overflow 0
		.amdhsa_exception_fp_ieee_underflow 0
		.amdhsa_exception_fp_ieee_inexact 0
		.amdhsa_exception_int_div_zero 0
	.end_amdhsa_kernel
	.section	.text._ZN7rocprim17ROCPRIM_400000_NS6detail17trampoline_kernelINS0_14default_configENS1_20scan_config_selectorIyEEZZNS1_9scan_implILNS1_25lookback_scan_determinismE0ELb1ELb1ES3_N6thrust23THRUST_200600_302600_NS6detail15normal_iteratorINS9_10device_ptrIyEEEENS9_16discard_iteratorINS9_11use_defaultEEEy11max_functorIyEyEEDaPvRmT3_T4_T5_mT6_P12ihipStream_tbENKUlT_T0_E_clISt17integral_constantIbLb1EESW_IbLb0EEEEDaSS_ST_EUlSS_E_NS1_11comp_targetILNS1_3genE0ELNS1_11target_archE4294967295ELNS1_3gpuE0ELNS1_3repE0EEENS1_30default_config_static_selectorELNS0_4arch9wavefront6targetE1EEEvT1_,"axG",@progbits,_ZN7rocprim17ROCPRIM_400000_NS6detail17trampoline_kernelINS0_14default_configENS1_20scan_config_selectorIyEEZZNS1_9scan_implILNS1_25lookback_scan_determinismE0ELb1ELb1ES3_N6thrust23THRUST_200600_302600_NS6detail15normal_iteratorINS9_10device_ptrIyEEEENS9_16discard_iteratorINS9_11use_defaultEEEy11max_functorIyEyEEDaPvRmT3_T4_T5_mT6_P12ihipStream_tbENKUlT_T0_E_clISt17integral_constantIbLb1EESW_IbLb0EEEEDaSS_ST_EUlSS_E_NS1_11comp_targetILNS1_3genE0ELNS1_11target_archE4294967295ELNS1_3gpuE0ELNS1_3repE0EEENS1_30default_config_static_selectorELNS0_4arch9wavefront6targetE1EEEvT1_,comdat
.Lfunc_end3386:
	.size	_ZN7rocprim17ROCPRIM_400000_NS6detail17trampoline_kernelINS0_14default_configENS1_20scan_config_selectorIyEEZZNS1_9scan_implILNS1_25lookback_scan_determinismE0ELb1ELb1ES3_N6thrust23THRUST_200600_302600_NS6detail15normal_iteratorINS9_10device_ptrIyEEEENS9_16discard_iteratorINS9_11use_defaultEEEy11max_functorIyEyEEDaPvRmT3_T4_T5_mT6_P12ihipStream_tbENKUlT_T0_E_clISt17integral_constantIbLb1EESW_IbLb0EEEEDaSS_ST_EUlSS_E_NS1_11comp_targetILNS1_3genE0ELNS1_11target_archE4294967295ELNS1_3gpuE0ELNS1_3repE0EEENS1_30default_config_static_selectorELNS0_4arch9wavefront6targetE1EEEvT1_, .Lfunc_end3386-_ZN7rocprim17ROCPRIM_400000_NS6detail17trampoline_kernelINS0_14default_configENS1_20scan_config_selectorIyEEZZNS1_9scan_implILNS1_25lookback_scan_determinismE0ELb1ELb1ES3_N6thrust23THRUST_200600_302600_NS6detail15normal_iteratorINS9_10device_ptrIyEEEENS9_16discard_iteratorINS9_11use_defaultEEEy11max_functorIyEyEEDaPvRmT3_T4_T5_mT6_P12ihipStream_tbENKUlT_T0_E_clISt17integral_constantIbLb1EESW_IbLb0EEEEDaSS_ST_EUlSS_E_NS1_11comp_targetILNS1_3genE0ELNS1_11target_archE4294967295ELNS1_3gpuE0ELNS1_3repE0EEENS1_30default_config_static_selectorELNS0_4arch9wavefront6targetE1EEEvT1_
                                        ; -- End function
	.section	.AMDGPU.csdata,"",@progbits
; Kernel info:
; codeLenInByte = 0
; NumSgprs: 4
; NumVgprs: 0
; NumAgprs: 0
; TotalNumVgprs: 0
; ScratchSize: 0
; MemoryBound: 0
; FloatMode: 240
; IeeeMode: 1
; LDSByteSize: 0 bytes/workgroup (compile time only)
; SGPRBlocks: 0
; VGPRBlocks: 0
; NumSGPRsForWavesPerEU: 4
; NumVGPRsForWavesPerEU: 1
; AccumOffset: 4
; Occupancy: 8
; WaveLimiterHint : 0
; COMPUTE_PGM_RSRC2:SCRATCH_EN: 0
; COMPUTE_PGM_RSRC2:USER_SGPR: 6
; COMPUTE_PGM_RSRC2:TRAP_HANDLER: 0
; COMPUTE_PGM_RSRC2:TGID_X_EN: 1
; COMPUTE_PGM_RSRC2:TGID_Y_EN: 0
; COMPUTE_PGM_RSRC2:TGID_Z_EN: 0
; COMPUTE_PGM_RSRC2:TIDIG_COMP_CNT: 0
; COMPUTE_PGM_RSRC3_GFX90A:ACCUM_OFFSET: 0
; COMPUTE_PGM_RSRC3_GFX90A:TG_SPLIT: 0
	.section	.text._ZN7rocprim17ROCPRIM_400000_NS6detail17trampoline_kernelINS0_14default_configENS1_20scan_config_selectorIyEEZZNS1_9scan_implILNS1_25lookback_scan_determinismE0ELb1ELb1ES3_N6thrust23THRUST_200600_302600_NS6detail15normal_iteratorINS9_10device_ptrIyEEEENS9_16discard_iteratorINS9_11use_defaultEEEy11max_functorIyEyEEDaPvRmT3_T4_T5_mT6_P12ihipStream_tbENKUlT_T0_E_clISt17integral_constantIbLb1EESW_IbLb0EEEEDaSS_ST_EUlSS_E_NS1_11comp_targetILNS1_3genE5ELNS1_11target_archE942ELNS1_3gpuE9ELNS1_3repE0EEENS1_30default_config_static_selectorELNS0_4arch9wavefront6targetE1EEEvT1_,"axG",@progbits,_ZN7rocprim17ROCPRIM_400000_NS6detail17trampoline_kernelINS0_14default_configENS1_20scan_config_selectorIyEEZZNS1_9scan_implILNS1_25lookback_scan_determinismE0ELb1ELb1ES3_N6thrust23THRUST_200600_302600_NS6detail15normal_iteratorINS9_10device_ptrIyEEEENS9_16discard_iteratorINS9_11use_defaultEEEy11max_functorIyEyEEDaPvRmT3_T4_T5_mT6_P12ihipStream_tbENKUlT_T0_E_clISt17integral_constantIbLb1EESW_IbLb0EEEEDaSS_ST_EUlSS_E_NS1_11comp_targetILNS1_3genE5ELNS1_11target_archE942ELNS1_3gpuE9ELNS1_3repE0EEENS1_30default_config_static_selectorELNS0_4arch9wavefront6targetE1EEEvT1_,comdat
	.protected	_ZN7rocprim17ROCPRIM_400000_NS6detail17trampoline_kernelINS0_14default_configENS1_20scan_config_selectorIyEEZZNS1_9scan_implILNS1_25lookback_scan_determinismE0ELb1ELb1ES3_N6thrust23THRUST_200600_302600_NS6detail15normal_iteratorINS9_10device_ptrIyEEEENS9_16discard_iteratorINS9_11use_defaultEEEy11max_functorIyEyEEDaPvRmT3_T4_T5_mT6_P12ihipStream_tbENKUlT_T0_E_clISt17integral_constantIbLb1EESW_IbLb0EEEEDaSS_ST_EUlSS_E_NS1_11comp_targetILNS1_3genE5ELNS1_11target_archE942ELNS1_3gpuE9ELNS1_3repE0EEENS1_30default_config_static_selectorELNS0_4arch9wavefront6targetE1EEEvT1_ ; -- Begin function _ZN7rocprim17ROCPRIM_400000_NS6detail17trampoline_kernelINS0_14default_configENS1_20scan_config_selectorIyEEZZNS1_9scan_implILNS1_25lookback_scan_determinismE0ELb1ELb1ES3_N6thrust23THRUST_200600_302600_NS6detail15normal_iteratorINS9_10device_ptrIyEEEENS9_16discard_iteratorINS9_11use_defaultEEEy11max_functorIyEyEEDaPvRmT3_T4_T5_mT6_P12ihipStream_tbENKUlT_T0_E_clISt17integral_constantIbLb1EESW_IbLb0EEEEDaSS_ST_EUlSS_E_NS1_11comp_targetILNS1_3genE5ELNS1_11target_archE942ELNS1_3gpuE9ELNS1_3repE0EEENS1_30default_config_static_selectorELNS0_4arch9wavefront6targetE1EEEvT1_
	.globl	_ZN7rocprim17ROCPRIM_400000_NS6detail17trampoline_kernelINS0_14default_configENS1_20scan_config_selectorIyEEZZNS1_9scan_implILNS1_25lookback_scan_determinismE0ELb1ELb1ES3_N6thrust23THRUST_200600_302600_NS6detail15normal_iteratorINS9_10device_ptrIyEEEENS9_16discard_iteratorINS9_11use_defaultEEEy11max_functorIyEyEEDaPvRmT3_T4_T5_mT6_P12ihipStream_tbENKUlT_T0_E_clISt17integral_constantIbLb1EESW_IbLb0EEEEDaSS_ST_EUlSS_E_NS1_11comp_targetILNS1_3genE5ELNS1_11target_archE942ELNS1_3gpuE9ELNS1_3repE0EEENS1_30default_config_static_selectorELNS0_4arch9wavefront6targetE1EEEvT1_
	.p2align	8
	.type	_ZN7rocprim17ROCPRIM_400000_NS6detail17trampoline_kernelINS0_14default_configENS1_20scan_config_selectorIyEEZZNS1_9scan_implILNS1_25lookback_scan_determinismE0ELb1ELb1ES3_N6thrust23THRUST_200600_302600_NS6detail15normal_iteratorINS9_10device_ptrIyEEEENS9_16discard_iteratorINS9_11use_defaultEEEy11max_functorIyEyEEDaPvRmT3_T4_T5_mT6_P12ihipStream_tbENKUlT_T0_E_clISt17integral_constantIbLb1EESW_IbLb0EEEEDaSS_ST_EUlSS_E_NS1_11comp_targetILNS1_3genE5ELNS1_11target_archE942ELNS1_3gpuE9ELNS1_3repE0EEENS1_30default_config_static_selectorELNS0_4arch9wavefront6targetE1EEEvT1_,@function
_ZN7rocprim17ROCPRIM_400000_NS6detail17trampoline_kernelINS0_14default_configENS1_20scan_config_selectorIyEEZZNS1_9scan_implILNS1_25lookback_scan_determinismE0ELb1ELb1ES3_N6thrust23THRUST_200600_302600_NS6detail15normal_iteratorINS9_10device_ptrIyEEEENS9_16discard_iteratorINS9_11use_defaultEEEy11max_functorIyEyEEDaPvRmT3_T4_T5_mT6_P12ihipStream_tbENKUlT_T0_E_clISt17integral_constantIbLb1EESW_IbLb0EEEEDaSS_ST_EUlSS_E_NS1_11comp_targetILNS1_3genE5ELNS1_11target_archE942ELNS1_3gpuE9ELNS1_3repE0EEENS1_30default_config_static_selectorELNS0_4arch9wavefront6targetE1EEEvT1_: ; @_ZN7rocprim17ROCPRIM_400000_NS6detail17trampoline_kernelINS0_14default_configENS1_20scan_config_selectorIyEEZZNS1_9scan_implILNS1_25lookback_scan_determinismE0ELb1ELb1ES3_N6thrust23THRUST_200600_302600_NS6detail15normal_iteratorINS9_10device_ptrIyEEEENS9_16discard_iteratorINS9_11use_defaultEEEy11max_functorIyEyEEDaPvRmT3_T4_T5_mT6_P12ihipStream_tbENKUlT_T0_E_clISt17integral_constantIbLb1EESW_IbLb0EEEEDaSS_ST_EUlSS_E_NS1_11comp_targetILNS1_3genE5ELNS1_11target_archE942ELNS1_3gpuE9ELNS1_3repE0EEENS1_30default_config_static_selectorELNS0_4arch9wavefront6targetE1EEEvT1_
; %bb.0:
	.section	.rodata,"a",@progbits
	.p2align	6, 0x0
	.amdhsa_kernel _ZN7rocprim17ROCPRIM_400000_NS6detail17trampoline_kernelINS0_14default_configENS1_20scan_config_selectorIyEEZZNS1_9scan_implILNS1_25lookback_scan_determinismE0ELb1ELb1ES3_N6thrust23THRUST_200600_302600_NS6detail15normal_iteratorINS9_10device_ptrIyEEEENS9_16discard_iteratorINS9_11use_defaultEEEy11max_functorIyEyEEDaPvRmT3_T4_T5_mT6_P12ihipStream_tbENKUlT_T0_E_clISt17integral_constantIbLb1EESW_IbLb0EEEEDaSS_ST_EUlSS_E_NS1_11comp_targetILNS1_3genE5ELNS1_11target_archE942ELNS1_3gpuE9ELNS1_3repE0EEENS1_30default_config_static_selectorELNS0_4arch9wavefront6targetE1EEEvT1_
		.amdhsa_group_segment_fixed_size 0
		.amdhsa_private_segment_fixed_size 0
		.amdhsa_kernarg_size 112
		.amdhsa_user_sgpr_count 6
		.amdhsa_user_sgpr_private_segment_buffer 1
		.amdhsa_user_sgpr_dispatch_ptr 0
		.amdhsa_user_sgpr_queue_ptr 0
		.amdhsa_user_sgpr_kernarg_segment_ptr 1
		.amdhsa_user_sgpr_dispatch_id 0
		.amdhsa_user_sgpr_flat_scratch_init 0
		.amdhsa_user_sgpr_kernarg_preload_length 0
		.amdhsa_user_sgpr_kernarg_preload_offset 0
		.amdhsa_user_sgpr_private_segment_size 0
		.amdhsa_uses_dynamic_stack 0
		.amdhsa_system_sgpr_private_segment_wavefront_offset 0
		.amdhsa_system_sgpr_workgroup_id_x 1
		.amdhsa_system_sgpr_workgroup_id_y 0
		.amdhsa_system_sgpr_workgroup_id_z 0
		.amdhsa_system_sgpr_workgroup_info 0
		.amdhsa_system_vgpr_workitem_id 0
		.amdhsa_next_free_vgpr 1
		.amdhsa_next_free_sgpr 0
		.amdhsa_accum_offset 4
		.amdhsa_reserve_vcc 0
		.amdhsa_reserve_flat_scratch 0
		.amdhsa_float_round_mode_32 0
		.amdhsa_float_round_mode_16_64 0
		.amdhsa_float_denorm_mode_32 3
		.amdhsa_float_denorm_mode_16_64 3
		.amdhsa_dx10_clamp 1
		.amdhsa_ieee_mode 1
		.amdhsa_fp16_overflow 0
		.amdhsa_tg_split 0
		.amdhsa_exception_fp_ieee_invalid_op 0
		.amdhsa_exception_fp_denorm_src 0
		.amdhsa_exception_fp_ieee_div_zero 0
		.amdhsa_exception_fp_ieee_overflow 0
		.amdhsa_exception_fp_ieee_underflow 0
		.amdhsa_exception_fp_ieee_inexact 0
		.amdhsa_exception_int_div_zero 0
	.end_amdhsa_kernel
	.section	.text._ZN7rocprim17ROCPRIM_400000_NS6detail17trampoline_kernelINS0_14default_configENS1_20scan_config_selectorIyEEZZNS1_9scan_implILNS1_25lookback_scan_determinismE0ELb1ELb1ES3_N6thrust23THRUST_200600_302600_NS6detail15normal_iteratorINS9_10device_ptrIyEEEENS9_16discard_iteratorINS9_11use_defaultEEEy11max_functorIyEyEEDaPvRmT3_T4_T5_mT6_P12ihipStream_tbENKUlT_T0_E_clISt17integral_constantIbLb1EESW_IbLb0EEEEDaSS_ST_EUlSS_E_NS1_11comp_targetILNS1_3genE5ELNS1_11target_archE942ELNS1_3gpuE9ELNS1_3repE0EEENS1_30default_config_static_selectorELNS0_4arch9wavefront6targetE1EEEvT1_,"axG",@progbits,_ZN7rocprim17ROCPRIM_400000_NS6detail17trampoline_kernelINS0_14default_configENS1_20scan_config_selectorIyEEZZNS1_9scan_implILNS1_25lookback_scan_determinismE0ELb1ELb1ES3_N6thrust23THRUST_200600_302600_NS6detail15normal_iteratorINS9_10device_ptrIyEEEENS9_16discard_iteratorINS9_11use_defaultEEEy11max_functorIyEyEEDaPvRmT3_T4_T5_mT6_P12ihipStream_tbENKUlT_T0_E_clISt17integral_constantIbLb1EESW_IbLb0EEEEDaSS_ST_EUlSS_E_NS1_11comp_targetILNS1_3genE5ELNS1_11target_archE942ELNS1_3gpuE9ELNS1_3repE0EEENS1_30default_config_static_selectorELNS0_4arch9wavefront6targetE1EEEvT1_,comdat
.Lfunc_end3387:
	.size	_ZN7rocprim17ROCPRIM_400000_NS6detail17trampoline_kernelINS0_14default_configENS1_20scan_config_selectorIyEEZZNS1_9scan_implILNS1_25lookback_scan_determinismE0ELb1ELb1ES3_N6thrust23THRUST_200600_302600_NS6detail15normal_iteratorINS9_10device_ptrIyEEEENS9_16discard_iteratorINS9_11use_defaultEEEy11max_functorIyEyEEDaPvRmT3_T4_T5_mT6_P12ihipStream_tbENKUlT_T0_E_clISt17integral_constantIbLb1EESW_IbLb0EEEEDaSS_ST_EUlSS_E_NS1_11comp_targetILNS1_3genE5ELNS1_11target_archE942ELNS1_3gpuE9ELNS1_3repE0EEENS1_30default_config_static_selectorELNS0_4arch9wavefront6targetE1EEEvT1_, .Lfunc_end3387-_ZN7rocprim17ROCPRIM_400000_NS6detail17trampoline_kernelINS0_14default_configENS1_20scan_config_selectorIyEEZZNS1_9scan_implILNS1_25lookback_scan_determinismE0ELb1ELb1ES3_N6thrust23THRUST_200600_302600_NS6detail15normal_iteratorINS9_10device_ptrIyEEEENS9_16discard_iteratorINS9_11use_defaultEEEy11max_functorIyEyEEDaPvRmT3_T4_T5_mT6_P12ihipStream_tbENKUlT_T0_E_clISt17integral_constantIbLb1EESW_IbLb0EEEEDaSS_ST_EUlSS_E_NS1_11comp_targetILNS1_3genE5ELNS1_11target_archE942ELNS1_3gpuE9ELNS1_3repE0EEENS1_30default_config_static_selectorELNS0_4arch9wavefront6targetE1EEEvT1_
                                        ; -- End function
	.section	.AMDGPU.csdata,"",@progbits
; Kernel info:
; codeLenInByte = 0
; NumSgprs: 4
; NumVgprs: 0
; NumAgprs: 0
; TotalNumVgprs: 0
; ScratchSize: 0
; MemoryBound: 0
; FloatMode: 240
; IeeeMode: 1
; LDSByteSize: 0 bytes/workgroup (compile time only)
; SGPRBlocks: 0
; VGPRBlocks: 0
; NumSGPRsForWavesPerEU: 4
; NumVGPRsForWavesPerEU: 1
; AccumOffset: 4
; Occupancy: 8
; WaveLimiterHint : 0
; COMPUTE_PGM_RSRC2:SCRATCH_EN: 0
; COMPUTE_PGM_RSRC2:USER_SGPR: 6
; COMPUTE_PGM_RSRC2:TRAP_HANDLER: 0
; COMPUTE_PGM_RSRC2:TGID_X_EN: 1
; COMPUTE_PGM_RSRC2:TGID_Y_EN: 0
; COMPUTE_PGM_RSRC2:TGID_Z_EN: 0
; COMPUTE_PGM_RSRC2:TIDIG_COMP_CNT: 0
; COMPUTE_PGM_RSRC3_GFX90A:ACCUM_OFFSET: 0
; COMPUTE_PGM_RSRC3_GFX90A:TG_SPLIT: 0
	.section	.text._ZN7rocprim17ROCPRIM_400000_NS6detail17trampoline_kernelINS0_14default_configENS1_20scan_config_selectorIyEEZZNS1_9scan_implILNS1_25lookback_scan_determinismE0ELb1ELb1ES3_N6thrust23THRUST_200600_302600_NS6detail15normal_iteratorINS9_10device_ptrIyEEEENS9_16discard_iteratorINS9_11use_defaultEEEy11max_functorIyEyEEDaPvRmT3_T4_T5_mT6_P12ihipStream_tbENKUlT_T0_E_clISt17integral_constantIbLb1EESW_IbLb0EEEEDaSS_ST_EUlSS_E_NS1_11comp_targetILNS1_3genE4ELNS1_11target_archE910ELNS1_3gpuE8ELNS1_3repE0EEENS1_30default_config_static_selectorELNS0_4arch9wavefront6targetE1EEEvT1_,"axG",@progbits,_ZN7rocprim17ROCPRIM_400000_NS6detail17trampoline_kernelINS0_14default_configENS1_20scan_config_selectorIyEEZZNS1_9scan_implILNS1_25lookback_scan_determinismE0ELb1ELb1ES3_N6thrust23THRUST_200600_302600_NS6detail15normal_iteratorINS9_10device_ptrIyEEEENS9_16discard_iteratorINS9_11use_defaultEEEy11max_functorIyEyEEDaPvRmT3_T4_T5_mT6_P12ihipStream_tbENKUlT_T0_E_clISt17integral_constantIbLb1EESW_IbLb0EEEEDaSS_ST_EUlSS_E_NS1_11comp_targetILNS1_3genE4ELNS1_11target_archE910ELNS1_3gpuE8ELNS1_3repE0EEENS1_30default_config_static_selectorELNS0_4arch9wavefront6targetE1EEEvT1_,comdat
	.protected	_ZN7rocprim17ROCPRIM_400000_NS6detail17trampoline_kernelINS0_14default_configENS1_20scan_config_selectorIyEEZZNS1_9scan_implILNS1_25lookback_scan_determinismE0ELb1ELb1ES3_N6thrust23THRUST_200600_302600_NS6detail15normal_iteratorINS9_10device_ptrIyEEEENS9_16discard_iteratorINS9_11use_defaultEEEy11max_functorIyEyEEDaPvRmT3_T4_T5_mT6_P12ihipStream_tbENKUlT_T0_E_clISt17integral_constantIbLb1EESW_IbLb0EEEEDaSS_ST_EUlSS_E_NS1_11comp_targetILNS1_3genE4ELNS1_11target_archE910ELNS1_3gpuE8ELNS1_3repE0EEENS1_30default_config_static_selectorELNS0_4arch9wavefront6targetE1EEEvT1_ ; -- Begin function _ZN7rocprim17ROCPRIM_400000_NS6detail17trampoline_kernelINS0_14default_configENS1_20scan_config_selectorIyEEZZNS1_9scan_implILNS1_25lookback_scan_determinismE0ELb1ELb1ES3_N6thrust23THRUST_200600_302600_NS6detail15normal_iteratorINS9_10device_ptrIyEEEENS9_16discard_iteratorINS9_11use_defaultEEEy11max_functorIyEyEEDaPvRmT3_T4_T5_mT6_P12ihipStream_tbENKUlT_T0_E_clISt17integral_constantIbLb1EESW_IbLb0EEEEDaSS_ST_EUlSS_E_NS1_11comp_targetILNS1_3genE4ELNS1_11target_archE910ELNS1_3gpuE8ELNS1_3repE0EEENS1_30default_config_static_selectorELNS0_4arch9wavefront6targetE1EEEvT1_
	.globl	_ZN7rocprim17ROCPRIM_400000_NS6detail17trampoline_kernelINS0_14default_configENS1_20scan_config_selectorIyEEZZNS1_9scan_implILNS1_25lookback_scan_determinismE0ELb1ELb1ES3_N6thrust23THRUST_200600_302600_NS6detail15normal_iteratorINS9_10device_ptrIyEEEENS9_16discard_iteratorINS9_11use_defaultEEEy11max_functorIyEyEEDaPvRmT3_T4_T5_mT6_P12ihipStream_tbENKUlT_T0_E_clISt17integral_constantIbLb1EESW_IbLb0EEEEDaSS_ST_EUlSS_E_NS1_11comp_targetILNS1_3genE4ELNS1_11target_archE910ELNS1_3gpuE8ELNS1_3repE0EEENS1_30default_config_static_selectorELNS0_4arch9wavefront6targetE1EEEvT1_
	.p2align	8
	.type	_ZN7rocprim17ROCPRIM_400000_NS6detail17trampoline_kernelINS0_14default_configENS1_20scan_config_selectorIyEEZZNS1_9scan_implILNS1_25lookback_scan_determinismE0ELb1ELb1ES3_N6thrust23THRUST_200600_302600_NS6detail15normal_iteratorINS9_10device_ptrIyEEEENS9_16discard_iteratorINS9_11use_defaultEEEy11max_functorIyEyEEDaPvRmT3_T4_T5_mT6_P12ihipStream_tbENKUlT_T0_E_clISt17integral_constantIbLb1EESW_IbLb0EEEEDaSS_ST_EUlSS_E_NS1_11comp_targetILNS1_3genE4ELNS1_11target_archE910ELNS1_3gpuE8ELNS1_3repE0EEENS1_30default_config_static_selectorELNS0_4arch9wavefront6targetE1EEEvT1_,@function
_ZN7rocprim17ROCPRIM_400000_NS6detail17trampoline_kernelINS0_14default_configENS1_20scan_config_selectorIyEEZZNS1_9scan_implILNS1_25lookback_scan_determinismE0ELb1ELb1ES3_N6thrust23THRUST_200600_302600_NS6detail15normal_iteratorINS9_10device_ptrIyEEEENS9_16discard_iteratorINS9_11use_defaultEEEy11max_functorIyEyEEDaPvRmT3_T4_T5_mT6_P12ihipStream_tbENKUlT_T0_E_clISt17integral_constantIbLb1EESW_IbLb0EEEEDaSS_ST_EUlSS_E_NS1_11comp_targetILNS1_3genE4ELNS1_11target_archE910ELNS1_3gpuE8ELNS1_3repE0EEENS1_30default_config_static_selectorELNS0_4arch9wavefront6targetE1EEEvT1_: ; @_ZN7rocprim17ROCPRIM_400000_NS6detail17trampoline_kernelINS0_14default_configENS1_20scan_config_selectorIyEEZZNS1_9scan_implILNS1_25lookback_scan_determinismE0ELb1ELb1ES3_N6thrust23THRUST_200600_302600_NS6detail15normal_iteratorINS9_10device_ptrIyEEEENS9_16discard_iteratorINS9_11use_defaultEEEy11max_functorIyEyEEDaPvRmT3_T4_T5_mT6_P12ihipStream_tbENKUlT_T0_E_clISt17integral_constantIbLb1EESW_IbLb0EEEEDaSS_ST_EUlSS_E_NS1_11comp_targetILNS1_3genE4ELNS1_11target_archE910ELNS1_3gpuE8ELNS1_3repE0EEENS1_30default_config_static_selectorELNS0_4arch9wavefront6targetE1EEEvT1_
; %bb.0:
	s_load_dwordx4 s[0:3], s[4:5], 0x0
	s_load_dwordx4 s[16:19], s[4:5], 0x20
	s_load_dword s7, s[4:5], 0x40
	v_lshlrev_b32_e32 v1, 3, v0
	s_waitcnt lgkmcnt(0)
	s_lshl_b64 s[2:3], s[2:3], 3
	s_add_u32 s26, s0, s2
	s_addc_u32 s27, s1, s3
	s_add_i32 s2, s7, -1
	s_mul_i32 s3, s2, 0x380
	s_sub_u32 s24, s16, s3
	s_subb_u32 s25, s17, 0
	s_mul_i32 s0, s6, 0x380
	s_mov_b32 s1, 0
	s_cmp_lg_u32 s6, s2
	s_cselect_b64 s[16:17], -1, 0
	s_lshl_b64 s[0:1], s[0:1], 3
	s_add_u32 s0, s26, s0
	s_addc_u32 s1, s27, s1
	s_mov_b64 s[2:3], -1
	s_and_b64 vcc, exec, s[16:17]
	s_cbranch_vccz .LBB3388_2
; %bb.1:
	v_mov_b32_e32 v3, s1
	v_add_co_u32_e32 v2, vcc, s0, v1
	v_addc_co_u32_e32 v3, vcc, 0, v3, vcc
	flat_load_dwordx2 v[4:5], v[2:3]
	flat_load_dwordx2 v[6:7], v[2:3] offset:1024
	flat_load_dwordx2 v[8:9], v[2:3] offset:2048
	;; [unrolled: 1-line block ×3, first 2 shown]
	v_add_co_u32_e32 v2, vcc, 0x1000, v2
	v_addc_co_u32_e32 v3, vcc, 0, v3, vcc
	flat_load_dwordx2 v[12:13], v[2:3]
	flat_load_dwordx2 v[14:15], v[2:3] offset:1024
	flat_load_dwordx2 v[16:17], v[2:3] offset:2048
	s_mov_b64 s[2:3], 0
	s_waitcnt vmcnt(0) lgkmcnt(0)
	ds_write2st64_b64 v1, v[4:5], v[6:7] offset1:2
	ds_write2st64_b64 v1, v[8:9], v[10:11] offset0:4 offset1:6
	ds_write2st64_b64 v1, v[12:13], v[14:15] offset0:8 offset1:10
	ds_write_b64 v1, v[16:17] offset:6144
	s_waitcnt lgkmcnt(0)
	s_barrier
.LBB3388_2:
	s_load_dwordx2 s[20:21], s[4:5], 0x38
	s_andn2_b64 vcc, exec, s[2:3]
	s_cbranch_vccnz .LBB3388_18
; %bb.3:
	v_pk_mov_b32 v[2:3], s[0:1], s[0:1] op_sel:[0,1]
	flat_load_dwordx2 v[2:3], v[2:3]
	v_cmp_gt_u32_e32 vcc, s24, v0
	s_waitcnt vmcnt(0) lgkmcnt(0)
	v_mov_b32_e32 v4, v2
	v_mov_b32_e32 v5, v3
	;; [unrolled: 1-line block ×10, first 2 shown]
	v_pk_mov_b32 v[18:19], v[14:15], v[14:15] op_sel:[0,1]
	v_pk_mov_b32 v[16:17], v[12:13], v[12:13] op_sel:[0,1]
	v_pk_mov_b32 v[14:15], v[10:11], v[10:11] op_sel:[0,1]
	v_pk_mov_b32 v[12:13], v[8:9], v[8:9] op_sel:[0,1]
	v_pk_mov_b32 v[10:11], v[6:7], v[6:7] op_sel:[0,1]
	v_pk_mov_b32 v[8:9], v[4:5], v[4:5] op_sel:[0,1]
	v_pk_mov_b32 v[6:7], v[2:3], v[2:3] op_sel:[0,1]
	v_pk_mov_b32 v[4:5], v[0:1], v[0:1] op_sel:[0,1]
	s_and_saveexec_b64 s[2:3], vcc
	s_cbranch_execz .LBB3388_5
; %bb.4:
	v_mov_b32_e32 v5, s1
	v_add_co_u32_e32 v4, vcc, s0, v1
	v_addc_co_u32_e32 v5, vcc, 0, v5, vcc
	flat_load_dwordx2 v[20:21], v[4:5]
	v_mov_b32_e32 v4, v2
	v_mov_b32_e32 v5, v3
	;; [unrolled: 1-line block ×10, first 2 shown]
	v_pk_mov_b32 v[18:19], v[14:15], v[14:15] op_sel:[0,1]
	v_pk_mov_b32 v[16:17], v[12:13], v[12:13] op_sel:[0,1]
	;; [unrolled: 1-line block ×8, first 2 shown]
	s_waitcnt vmcnt(0) lgkmcnt(0)
	v_pk_mov_b32 v[2:3], v[20:21], v[20:21] op_sel:[0,1]
.LBB3388_5:
	s_or_b64 exec, exec, s[2:3]
	v_or_b32_e32 v4, 0x80, v0
	v_cmp_gt_u32_e32 vcc, s24, v4
	s_and_saveexec_b64 s[2:3], vcc
	s_cbranch_execz .LBB3388_7
; %bb.6:
	v_mov_b32_e32 v5, s1
	v_add_co_u32_e32 v4, vcc, s0, v1
	v_addc_co_u32_e32 v5, vcc, 0, v5, vcc
	flat_load_dwordx2 v[6:7], v[4:5] offset:1024
.LBB3388_7:
	s_or_b64 exec, exec, s[2:3]
	v_or_b32_e32 v4, 0x100, v0
	v_cmp_gt_u32_e32 vcc, s24, v4
	s_and_saveexec_b64 s[2:3], vcc
	s_cbranch_execz .LBB3388_9
; %bb.8:
	v_mov_b32_e32 v5, s1
	v_add_co_u32_e32 v4, vcc, s0, v1
	v_addc_co_u32_e32 v5, vcc, 0, v5, vcc
	flat_load_dwordx2 v[8:9], v[4:5] offset:2048
.LBB3388_9:
	;; [unrolled: 11-line block ×3, first 2 shown]
	s_or_b64 exec, exec, s[2:3]
	v_or_b32_e32 v4, 0x200, v0
	v_cmp_gt_u32_e32 vcc, s24, v4
	s_and_saveexec_b64 s[2:3], vcc
	s_cbranch_execz .LBB3388_13
; %bb.12:
	v_lshlrev_b32_e32 v4, 3, v4
	v_mov_b32_e32 v5, s1
	v_add_co_u32_e32 v4, vcc, s0, v4
	v_addc_co_u32_e32 v5, vcc, 0, v5, vcc
	flat_load_dwordx2 v[12:13], v[4:5]
.LBB3388_13:
	s_or_b64 exec, exec, s[2:3]
	v_or_b32_e32 v4, 0x280, v0
	v_cmp_gt_u32_e32 vcc, s24, v4
	s_and_saveexec_b64 s[2:3], vcc
	s_cbranch_execz .LBB3388_15
; %bb.14:
	v_lshlrev_b32_e32 v4, 3, v4
	v_mov_b32_e32 v5, s1
	v_add_co_u32_e32 v4, vcc, s0, v4
	v_addc_co_u32_e32 v5, vcc, 0, v5, vcc
	flat_load_dwordx2 v[14:15], v[4:5]
.LBB3388_15:
	;; [unrolled: 12-line block ×3, first 2 shown]
	s_or_b64 exec, exec, s[2:3]
	s_waitcnt vmcnt(0) lgkmcnt(0)
	ds_write2st64_b64 v1, v[2:3], v[6:7] offset1:2
	ds_write2st64_b64 v1, v[8:9], v[10:11] offset0:4 offset1:6
	ds_write2st64_b64 v1, v[12:13], v[14:15] offset0:8 offset1:10
	ds_write_b64 v1, v[16:17] offset:6144
	s_waitcnt lgkmcnt(0)
	s_barrier
.LBB3388_18:
	v_mul_u32_u24_e32 v36, 7, v0
	v_lshlrev_b32_e32 v37, 3, v36
	s_waitcnt lgkmcnt(0)
	ds_read2_b64 v[10:13], v37 offset1:1
	ds_read2_b64 v[6:9], v37 offset0:2 offset1:3
	ds_read2_b64 v[2:5], v37 offset0:4 offset1:5
	ds_read_b64 v[26:27], v37 offset:48
	s_cmp_lg_u32 s6, 0
	s_waitcnt lgkmcnt(3)
	v_cmp_gt_u64_e64 s[0:1], v[10:11], v[12:13]
	v_lshrrev_b32_e32 v1, 5, v0
	v_cmp_gt_u32_e32 vcc, 64, v0
	s_waitcnt lgkmcnt(0)
	s_barrier
	s_cbranch_scc0 .LBB3388_49
; %bb.19:
	v_cndmask_b32_e64 v15, v13, v11, s[0:1]
	v_cndmask_b32_e64 v14, v12, v10, s[0:1]
	v_cmp_gt_u64_e64 s[0:1], v[14:15], v[6:7]
	v_cndmask_b32_e64 v15, v7, v15, s[0:1]
	v_cndmask_b32_e64 v14, v6, v14, s[0:1]
	v_cmp_gt_u64_e64 s[0:1], v[14:15], v[8:9]
	;; [unrolled: 3-line block ×5, first 2 shown]
	v_cndmask_b32_e64 v23, v27, v15, s[0:1]
	v_cndmask_b32_e64 v22, v26, v14, s[0:1]
	v_add_lshl_u32 v14, v1, v0, 3
	ds_write_b64 v14, v[22:23]
	s_waitcnt lgkmcnt(0)
	s_barrier
	s_and_saveexec_b64 s[8:9], vcc
	s_cbranch_execz .LBB3388_23
; %bb.20:
	v_lshlrev_b32_e32 v14, 1, v0
	v_lshrrev_b32_e32 v15, 4, v0
	v_add_lshl_u32 v24, v15, v14, 3
	ds_read2_b64 v[14:17], v24 offset1:1
	v_mbcnt_lo_u32_b32 v18, -1, 0
	v_mbcnt_hi_u32_b32 v25, -1, v18
	v_and_b32_e32 v28, 15, v25
	v_and_b32_e32 v30, 16, v25
	s_waitcnt lgkmcnt(0)
	v_cmp_gt_u64_e64 s[0:1], v[14:15], v[16:17]
	v_cndmask_b32_e64 v17, v17, v15, s[0:1]
	v_cndmask_b32_e64 v16, v16, v14, s[0:1]
	v_cmp_ne_u32_e64 s[2:3], 0, v25
	v_mov_b32_dpp v19, v17 row_shr:1 row_mask:0xf bank_mask:0xf
	v_mov_b32_dpp v18, v16 row_shr:1 row_mask:0xf bank_mask:0xf
	v_cmp_gt_u64_e64 s[0:1], v[18:19], v[16:17]
	v_cndmask_b32_e64 v18, v16, v18, s[0:1]
	v_cndmask_b32_e64 v19, v17, v19, s[0:1]
	v_cmp_eq_u32_e64 s[0:1], 0, v28
	v_cndmask_b32_e64 v19, v19, v17, s[0:1]
	v_cndmask_b32_e64 v18, v18, v16, s[0:1]
	s_nop 0
	v_mov_b32_dpp v21, v19 row_shr:2 row_mask:0xf bank_mask:0xf
	v_mov_b32_dpp v20, v18 row_shr:2 row_mask:0xf bank_mask:0xf
	v_cmp_gt_u64_e64 s[0:1], v[20:21], v[18:19]
	v_cndmask_b32_e64 v20, v18, v20, s[0:1]
	v_cndmask_b32_e64 v21, v19, v21, s[0:1]
	v_cmp_lt_u32_e64 s[0:1], 1, v28
	v_cndmask_b32_e64 v19, v19, v21, s[0:1]
	v_cndmask_b32_e64 v18, v18, v20, s[0:1]
	s_nop 0
	v_mov_b32_dpp v21, v19 row_shr:4 row_mask:0xf bank_mask:0xf
	v_mov_b32_dpp v20, v18 row_shr:4 row_mask:0xf bank_mask:0xf
	v_cmp_gt_u64_e64 s[0:1], v[20:21], v[18:19]
	v_cndmask_b32_e64 v20, v18, v20, s[0:1]
	v_cndmask_b32_e64 v21, v19, v21, s[0:1]
	v_cmp_lt_u32_e64 s[0:1], 3, v28
	;; [unrolled: 9-line block ×3, first 2 shown]
	v_cndmask_b32_e64 v19, v19, v21, s[0:1]
	v_cndmask_b32_e64 v18, v18, v20, s[0:1]
	s_nop 0
	v_mov_b32_dpp v21, v19 row_bcast:15 row_mask:0xf bank_mask:0xf
	v_mov_b32_dpp v20, v18 row_bcast:15 row_mask:0xf bank_mask:0xf
	v_cmp_gt_u64_e64 s[0:1], v[20:21], v[18:19]
	v_cndmask_b32_e64 v28, v19, v21, s[0:1]
	v_cndmask_b32_e64 v29, v18, v20, s[0:1]
	v_cmp_eq_u32_e64 s[0:1], 0, v30
	v_cndmask_b32_e64 v21, v28, v19, s[0:1]
	v_cndmask_b32_e64 v20, v29, v18, s[0:1]
	s_nop 0
	v_mov_b32_dpp v21, v21 row_bcast:31 row_mask:0xf bank_mask:0xf
	v_mov_b32_dpp v20, v20 row_bcast:31 row_mask:0xf bank_mask:0xf
	s_and_saveexec_b64 s[10:11], s[2:3]
; %bb.21:
	v_cndmask_b32_e64 v17, v28, v19, s[0:1]
	v_cndmask_b32_e64 v16, v29, v18, s[0:1]
	v_cmp_lt_u32_e64 s[2:3], 31, v25
	v_cmp_gt_u64_e64 s[0:1], v[20:21], v[16:17]
	s_and_b64 s[0:1], s[2:3], s[0:1]
	v_cndmask_b32_e64 v16, v16, v20, s[0:1]
	v_cndmask_b32_e64 v17, v17, v21, s[0:1]
; %bb.22:
	s_or_b64 exec, exec, s[10:11]
	v_add_u32_e32 v18, -1, v25
	v_and_b32_e32 v19, 64, v25
	v_cmp_lt_i32_e64 s[0:1], v18, v19
	v_cndmask_b32_e64 v18, v18, v25, s[0:1]
	v_lshlrev_b32_e32 v18, 2, v18
	ds_bpermute_b32 v16, v18, v16
	ds_bpermute_b32 v17, v18, v17
	; wave barrier
	s_waitcnt lgkmcnt(0)
	v_cmp_gt_u64_e64 s[0:1], v[16:17], v[14:15]
	v_cndmask_b32_e64 v14, v14, v16, s[0:1]
	v_cndmask_b32_e64 v15, v15, v17, s[0:1]
	v_cmp_eq_u32_e64 s[0:1], 0, v0
	v_cndmask_b32_e64 v15, v15, v23, s[0:1]
	v_cndmask_b32_e64 v14, v14, v22, s[0:1]
	ds_write_b64 v24, v[14:15]
	; wave barrier
	ds_read_b64 v[16:17], v24 offset:8
	s_waitcnt lgkmcnt(0)
	v_cmp_gt_u64_e64 s[0:1], v[14:15], v[16:17]
	v_cndmask_b32_e64 v15, v17, v15, s[0:1]
	v_cndmask_b32_e64 v14, v16, v14, s[0:1]
	ds_write_b64 v24, v[14:15] offset:8
.LBB3388_23:
	s_or_b64 exec, exec, s[8:9]
	v_cmp_eq_u32_e64 s[0:1], 0, v0
	v_cmp_ne_u32_e64 s[2:3], 0, v0
	s_waitcnt lgkmcnt(0)
	s_barrier
	s_and_saveexec_b64 s[8:9], s[2:3]
	s_cbranch_execz .LBB3388_25
; %bb.24:
	v_add_u32_e32 v14, -1, v0
	v_lshrrev_b32_e32 v15, 5, v14
	v_add_lshl_u32 v14, v15, v14, 3
	ds_read_b64 v[22:23], v14
.LBB3388_25:
	s_or_b64 exec, exec, s[8:9]
	s_and_saveexec_b64 s[22:23], vcc
	s_cbranch_execz .LBB3388_48
; %bb.26:
	v_mov_b32_e32 v17, 0
	ds_read_b64 v[14:15], v17 offset:1040
	v_mbcnt_lo_u32_b32 v16, -1, 0
	v_mbcnt_hi_u32_b32 v25, -1, v16
	s_mov_b32 s11, 0
	v_cmp_eq_u32_e64 s[2:3], 0, v25
	s_and_saveexec_b64 s[8:9], s[2:3]
	s_cbranch_execz .LBB3388_28
; %bb.27:
	s_add_i32 s10, s6, 64
	s_lshl_b64 s[10:11], s[10:11], 4
	s_add_u32 s10, s20, s10
	s_addc_u32 s11, s21, s11
	v_mov_b32_e32 v16, 1
	v_pk_mov_b32 v[18:19], s[10:11], s[10:11] op_sel:[0,1]
	s_waitcnt lgkmcnt(0)
	;;#ASMSTART
	global_store_dwordx4 v[18:19], v[14:17] off	
s_waitcnt vmcnt(0)
	;;#ASMEND
.LBB3388_28:
	s_or_b64 exec, exec, s[8:9]
	v_xad_u32 v24, v25, -1, s6
	v_add_u32_e32 v16, 64, v24
	v_lshlrev_b64 v[18:19], 4, v[16:17]
	v_mov_b32_e32 v16, s21
	v_add_co_u32_e32 v28, vcc, s20, v18
	v_addc_co_u32_e32 v29, vcc, v16, v19, vcc
	;;#ASMSTART
	global_load_dwordx4 v[18:21], v[28:29] off glc	
s_waitcnt vmcnt(0)
	;;#ASMEND
	v_and_b32_e32 v16, 0xff, v19
	v_and_b32_e32 v21, 0xff00, v19
	v_or3_b32 v16, 0, v16, v21
	v_or3_b32 v18, v18, 0, 0
	v_and_b32_e32 v21, 0xff000000, v19
	v_and_b32_e32 v19, 0xff0000, v19
	v_or3_b32 v19, v16, v19, v21
	v_or3_b32 v18, v18, 0, 0
	v_cmp_eq_u16_sdwa s[10:11], v20, v17 src0_sel:BYTE_0 src1_sel:DWORD
	s_and_saveexec_b64 s[8:9], s[10:11]
	s_cbranch_execz .LBB3388_34
; %bb.29:
	s_mov_b32 s7, 1
	s_mov_b64 s[10:11], 0
	v_mov_b32_e32 v16, 0
.LBB3388_30:                            ; =>This Loop Header: Depth=1
                                        ;     Child Loop BB3388_31 Depth 2
	s_max_u32 s12, s7, 1
.LBB3388_31:                            ;   Parent Loop BB3388_30 Depth=1
                                        ; =>  This Inner Loop Header: Depth=2
	s_add_i32 s12, s12, -1
	s_cmp_eq_u32 s12, 0
	s_sleep 1
	s_cbranch_scc0 .LBB3388_31
; %bb.32:                               ;   in Loop: Header=BB3388_30 Depth=1
	s_cmp_lt_u32 s7, 32
	s_cselect_b64 s[12:13], -1, 0
	s_cmp_lg_u64 s[12:13], 0
	s_addc_u32 s7, s7, 0
	;;#ASMSTART
	global_load_dwordx4 v[18:21], v[28:29] off glc	
s_waitcnt vmcnt(0)
	;;#ASMEND
	v_cmp_ne_u16_sdwa s[12:13], v20, v16 src0_sel:BYTE_0 src1_sel:DWORD
	s_or_b64 s[10:11], s[12:13], s[10:11]
	s_andn2_b64 exec, exec, s[10:11]
	s_cbranch_execnz .LBB3388_30
; %bb.33:
	s_or_b64 exec, exec, s[10:11]
.LBB3388_34:
	s_or_b64 exec, exec, s[8:9]
	v_and_b32_e32 v33, 63, v25
	v_cmp_ne_u32_e32 vcc, 63, v33
	v_mov_b32_e32 v32, 2
	v_addc_co_u32_e32 v28, vcc, 0, v25, vcc
	v_cmp_eq_u16_sdwa s[8:9], v20, v32 src0_sel:BYTE_0 src1_sel:DWORD
	v_lshlrev_b64 v[16:17], v25, -1
	v_lshlrev_b32_e32 v34, 2, v28
	v_and_b32_e32 v21, s9, v17
	ds_bpermute_b32 v28, v34, v18
	ds_bpermute_b32 v29, v34, v19
	v_or_b32_e32 v21, 0x80000000, v21
	v_and_b32_e32 v30, s8, v16
	v_ffbl_b32_e32 v21, v21
	v_add_u32_e32 v21, 32, v21
	v_ffbl_b32_e32 v30, v30
	v_min_u32_e32 v21, v30, v21
	s_waitcnt lgkmcnt(0)
	v_cmp_gt_u64_e64 s[8:9], v[28:29], v[18:19]
	v_cmp_lt_u32_e32 vcc, v33, v21
	v_cndmask_b32_e64 v28, v18, v28, s[8:9]
	s_and_b64 s[8:9], vcc, s[8:9]
	v_cndmask_b32_e64 v29, v19, v29, s[8:9]
	v_cmp_gt_u32_e64 s[8:9], 62, v33
	v_cndmask_b32_e64 v30, 0, 1, s[8:9]
	v_lshlrev_b32_e32 v30, 1, v30
	v_cndmask_b32_e32 v28, v18, v28, vcc
	v_add_lshl_u32 v35, v30, v25, 2
	ds_bpermute_b32 v30, v35, v28
	ds_bpermute_b32 v31, v35, v29
	v_add_u32_e32 v38, 2, v33
	v_cmp_gt_u32_e64 s[10:11], 56, v33
	v_add_u32_e32 v40, 4, v33
	v_cndmask_b32_e64 v41, 0, 1, s[10:11]
	s_waitcnt lgkmcnt(0)
	v_cmp_gt_u64_e64 s[8:9], v[30:31], v[28:29]
	v_cndmask_b32_e64 v31, v29, v31, s[8:9]
	v_cndmask_b32_e64 v30, v28, v30, s[8:9]
	v_cmp_gt_u32_e64 s[8:9], v38, v21
	v_cndmask_b32_e64 v28, v30, v28, s[8:9]
	v_cndmask_b32_e64 v29, v31, v29, s[8:9]
	v_cmp_gt_u32_e64 s[8:9], 60, v33
	v_cndmask_b32_e64 v30, 0, 1, s[8:9]
	v_lshlrev_b32_e32 v30, 2, v30
	v_add_lshl_u32 v39, v30, v25, 2
	ds_bpermute_b32 v30, v39, v28
	ds_bpermute_b32 v31, v39, v29
	v_lshlrev_b32_e32 v41, 3, v41
	v_add_lshl_u32 v41, v41, v25, 2
	v_cmp_gt_u32_e64 s[12:13], 48, v33
	v_add_u32_e32 v42, 8, v33
	s_waitcnt lgkmcnt(0)
	v_cmp_gt_u64_e64 s[8:9], v[30:31], v[28:29]
	v_cndmask_b32_e64 v50, v29, v31, s[8:9]
	v_cndmask_b32_e64 v51, v28, v30, s[8:9]
	v_cmp_gt_u32_e64 s[8:9], v40, v21
	v_cndmask_b32_e64 v30, v51, v28, s[8:9]
	v_cndmask_b32_e64 v31, v50, v29, s[8:9]
	ds_bpermute_b32 v44, v41, v30
	ds_bpermute_b32 v45, v41, v31
	v_cndmask_b32_e64 v43, 0, 1, s[12:13]
	v_lshlrev_b32_e32 v43, 4, v43
	v_add_lshl_u32 v43, v43, v25, 2
	v_cmp_gt_u32_e64 s[14:15], 32, v33
	s_waitcnt lgkmcnt(0)
	v_cmp_gt_u64_e64 s[10:11], v[44:45], v[30:31]
	v_cndmask_b32_e64 v52, v31, v45, s[10:11]
	v_cndmask_b32_e64 v53, v30, v44, s[10:11]
	v_cmp_gt_u32_e64 s[10:11], v42, v21
	v_cndmask_b32_e64 v30, v53, v30, s[10:11]
	v_cndmask_b32_e64 v31, v52, v31, s[10:11]
	ds_bpermute_b32 v46, v43, v30
	ds_bpermute_b32 v47, v43, v31
	v_add_u32_e32 v44, 16, v33
	v_cndmask_b32_e64 v45, 0, 1, s[14:15]
	v_lshlrev_b32_e32 v45, 5, v45
	v_add_lshl_u32 v45, v45, v25, 2
	s_waitcnt lgkmcnt(0)
	v_cmp_gt_u64_e64 s[12:13], v[46:47], v[30:31]
	v_cndmask_b32_e64 v47, v31, v47, s[12:13]
	v_cndmask_b32_e64 v54, v30, v46, s[12:13]
	v_cmp_gt_u32_e64 s[12:13], v44, v21
	v_cndmask_b32_e64 v30, v54, v30, s[12:13]
	v_cndmask_b32_e64 v31, v47, v31, s[12:13]
	ds_bpermute_b32 v48, v45, v30
	ds_bpermute_b32 v49, v45, v31
	v_cndmask_b32_e32 v19, v19, v29, vcc
	v_cndmask_b32_e32 v18, v18, v28, vcc
	v_cndmask_b32_e64 v18, v51, v18, s[8:9]
	v_cndmask_b32_e64 v19, v50, v19, s[8:9]
	v_add_u32_e32 v46, 32, v33
	s_waitcnt lgkmcnt(0)
	v_cmp_gt_u64_e64 s[14:15], v[48:49], v[30:31]
	v_cndmask_b32_e64 v19, v52, v19, s[10:11]
	v_cndmask_b32_e64 v18, v53, v18, s[10:11]
	;; [unrolled: 1-line block ×6, first 2 shown]
	v_cmp_gt_u32_e32 vcc, v46, v21
	v_cndmask_b32_e32 v19, v30, v19, vcc
	v_cndmask_b32_e32 v18, v25, v18, vcc
	v_mov_b32_e32 v25, 0
	s_branch .LBB3388_36
.LBB3388_35:                            ;   in Loop: Header=BB3388_36 Depth=1
	s_or_b64 exec, exec, s[8:9]
	v_cmp_eq_u16_sdwa s[8:9], v20, v32 src0_sel:BYTE_0 src1_sel:DWORD
	v_and_b32_e32 v21, s9, v17
	ds_bpermute_b32 v30, v34, v18
	ds_bpermute_b32 v31, v34, v19
	v_or_b32_e32 v21, 0x80000000, v21
	v_and_b32_e32 v47, s8, v16
	v_ffbl_b32_e32 v21, v21
	v_add_u32_e32 v21, 32, v21
	v_ffbl_b32_e32 v47, v47
	v_min_u32_e32 v21, v47, v21
	s_waitcnt lgkmcnt(0)
	v_cmp_gt_u64_e32 vcc, v[30:31], v[18:19]
	v_cmp_lt_u32_e64 s[8:9], v33, v21
	v_cndmask_b32_e32 v30, v18, v30, vcc
	s_and_b64 vcc, s[8:9], vcc
	v_cndmask_b32_e64 v30, v18, v30, s[8:9]
	v_cndmask_b32_e32 v31, v19, v31, vcc
	ds_bpermute_b32 v48, v35, v30
	ds_bpermute_b32 v49, v35, v31
	v_subrev_u32_e32 v24, 64, v24
	s_waitcnt lgkmcnt(0)
	v_cmp_gt_u64_e32 vcc, v[48:49], v[30:31]
	v_cndmask_b32_e32 v47, v31, v49, vcc
	v_cndmask_b32_e32 v48, v30, v48, vcc
	v_cmp_gt_u32_e32 vcc, v38, v21
	v_cndmask_b32_e32 v30, v48, v30, vcc
	v_cndmask_b32_e32 v31, v47, v31, vcc
	ds_bpermute_b32 v48, v39, v30
	ds_bpermute_b32 v49, v39, v31
	v_cndmask_b32_e64 v19, v19, v31, s[8:9]
	v_cndmask_b32_e64 v18, v18, v30, s[8:9]
	s_waitcnt lgkmcnt(0)
	v_cmp_gt_u64_e32 vcc, v[48:49], v[30:31]
	v_cndmask_b32_e32 v47, v31, v49, vcc
	v_cndmask_b32_e32 v52, v30, v48, vcc
	v_cmp_gt_u32_e32 vcc, v40, v21
	v_cndmask_b32_e32 v48, v52, v30, vcc
	v_cndmask_b32_e32 v49, v47, v31, vcc
	ds_bpermute_b32 v50, v41, v48
	ds_bpermute_b32 v51, v41, v49
	v_cndmask_b32_e32 v18, v52, v18, vcc
	v_cndmask_b32_e32 v19, v47, v19, vcc
	v_cmp_gt_u32_e32 vcc, v46, v21
	s_waitcnt lgkmcnt(0)
	v_cmp_gt_u64_e64 s[10:11], v[50:51], v[48:49]
	v_cndmask_b32_e64 v53, v49, v51, s[10:11]
	v_cndmask_b32_e64 v54, v48, v50, s[10:11]
	v_cmp_gt_u32_e64 s[10:11], v42, v21
	v_cndmask_b32_e64 v48, v54, v48, s[10:11]
	v_cndmask_b32_e64 v49, v53, v49, s[10:11]
	ds_bpermute_b32 v50, v43, v48
	ds_bpermute_b32 v51, v43, v49
	v_cndmask_b32_e64 v19, v53, v19, s[10:11]
	v_cndmask_b32_e64 v18, v54, v18, s[10:11]
	s_waitcnt lgkmcnt(0)
	v_cmp_gt_u64_e64 s[12:13], v[50:51], v[48:49]
	v_cndmask_b32_e64 v55, v49, v51, s[12:13]
	v_cndmask_b32_e64 v56, v48, v50, s[12:13]
	v_cmp_gt_u32_e64 s[12:13], v44, v21
	v_cndmask_b32_e64 v48, v56, v48, s[12:13]
	v_cndmask_b32_e64 v49, v55, v49, s[12:13]
	ds_bpermute_b32 v50, v45, v48
	ds_bpermute_b32 v51, v45, v49
	v_cndmask_b32_e64 v18, v56, v18, s[12:13]
	v_cndmask_b32_e64 v19, v55, v19, s[12:13]
	s_waitcnt lgkmcnt(0)
	v_cmp_gt_u64_e64 s[14:15], v[50:51], v[48:49]
	v_cndmask_b32_e64 v48, v48, v50, s[14:15]
	v_cndmask_b32_e64 v49, v49, v51, s[14:15]
	v_cndmask_b32_e32 v19, v49, v19, vcc
	v_cndmask_b32_e32 v18, v48, v18, vcc
	v_cmp_gt_u64_e32 vcc, v[18:19], v[28:29]
	v_cndmask_b32_e32 v19, v29, v19, vcc
	v_cndmask_b32_e32 v18, v28, v18, vcc
.LBB3388_36:                            ; =>This Loop Header: Depth=1
                                        ;     Child Loop BB3388_39 Depth 2
                                        ;       Child Loop BB3388_40 Depth 3
	v_cmp_ne_u16_sdwa s[8:9], v20, v32 src0_sel:BYTE_0 src1_sel:DWORD
	v_cndmask_b32_e64 v20, 0, 1, s[8:9]
	;;#ASMSTART
	;;#ASMEND
	v_cmp_ne_u32_e32 vcc, 0, v20
	s_cmp_lg_u64 vcc, exec
	v_pk_mov_b32 v[28:29], v[18:19], v[18:19] op_sel:[0,1]
	s_cbranch_scc1 .LBB3388_43
; %bb.37:                               ;   in Loop: Header=BB3388_36 Depth=1
	v_lshlrev_b64 v[18:19], 4, v[24:25]
	v_mov_b32_e32 v20, s21
	v_add_co_u32_e32 v30, vcc, s20, v18
	v_addc_co_u32_e32 v31, vcc, v20, v19, vcc
	;;#ASMSTART
	global_load_dwordx4 v[18:21], v[30:31] off glc	
s_waitcnt vmcnt(0)
	;;#ASMEND
	v_and_b32_e32 v21, 0xff, v19
	v_and_b32_e32 v47, 0xff00, v19
	v_or3_b32 v21, 0, v21, v47
	v_or3_b32 v18, v18, 0, 0
	v_and_b32_e32 v47, 0xff000000, v19
	v_and_b32_e32 v19, 0xff0000, v19
	v_or3_b32 v19, v21, v19, v47
	v_or3_b32 v18, v18, 0, 0
	v_cmp_eq_u16_sdwa s[10:11], v20, v25 src0_sel:BYTE_0 src1_sel:DWORD
	s_and_saveexec_b64 s[8:9], s[10:11]
	s_cbranch_execz .LBB3388_35
; %bb.38:                               ;   in Loop: Header=BB3388_36 Depth=1
	s_mov_b32 s7, 1
	s_mov_b64 s[10:11], 0
.LBB3388_39:                            ;   Parent Loop BB3388_36 Depth=1
                                        ; =>  This Loop Header: Depth=2
                                        ;       Child Loop BB3388_40 Depth 3
	s_max_u32 s12, s7, 1
.LBB3388_40:                            ;   Parent Loop BB3388_36 Depth=1
                                        ;     Parent Loop BB3388_39 Depth=2
                                        ; =>    This Inner Loop Header: Depth=3
	s_add_i32 s12, s12, -1
	s_cmp_eq_u32 s12, 0
	s_sleep 1
	s_cbranch_scc0 .LBB3388_40
; %bb.41:                               ;   in Loop: Header=BB3388_39 Depth=2
	s_cmp_lt_u32 s7, 32
	s_cselect_b64 s[12:13], -1, 0
	s_cmp_lg_u64 s[12:13], 0
	s_addc_u32 s7, s7, 0
	;;#ASMSTART
	global_load_dwordx4 v[18:21], v[30:31] off glc	
s_waitcnt vmcnt(0)
	;;#ASMEND
	v_cmp_ne_u16_sdwa s[12:13], v20, v25 src0_sel:BYTE_0 src1_sel:DWORD
	s_or_b64 s[10:11], s[12:13], s[10:11]
	s_andn2_b64 exec, exec, s[10:11]
	s_cbranch_execnz .LBB3388_39
; %bb.42:                               ;   in Loop: Header=BB3388_36 Depth=1
	s_or_b64 exec, exec, s[10:11]
	s_branch .LBB3388_35
.LBB3388_43:                            ;   in Loop: Header=BB3388_36 Depth=1
                                        ; implicit-def: $vgpr18_vgpr19
                                        ; implicit-def: $vgpr20
	s_cbranch_execz .LBB3388_36
; %bb.44:
	s_and_saveexec_b64 s[8:9], s[2:3]
	s_cbranch_execz .LBB3388_46
; %bb.45:
	s_add_i32 s2, s6, 64
	s_mov_b32 s3, 0
	s_lshl_b64 s[2:3], s[2:3], 4
	s_add_u32 s2, s20, s2
	v_cmp_gt_u64_e32 vcc, v[28:29], v[14:15]
	s_addc_u32 s3, s21, s3
	v_cndmask_b32_e32 v15, v15, v29, vcc
	v_cndmask_b32_e32 v14, v14, v28, vcc
	v_mov_b32_e32 v16, 2
	v_mov_b32_e32 v17, 0
	v_pk_mov_b32 v[18:19], s[2:3], s[2:3] op_sel:[0,1]
	;;#ASMSTART
	global_store_dwordx4 v[18:19], v[14:17] off	
s_waitcnt vmcnt(0)
	;;#ASMEND
.LBB3388_46:
	s_or_b64 exec, exec, s[8:9]
	s_and_b64 exec, exec, s[0:1]
	s_cbranch_execz .LBB3388_48
; %bb.47:
	v_mov_b32_e32 v14, 0
	ds_write_b64 v14, v[28:29]
.LBB3388_48:
	s_or_b64 exec, exec, s[22:23]
	v_mov_b32_e32 v14, 0
	s_waitcnt lgkmcnt(0)
	s_barrier
	ds_read_b64 v[14:15], v14
	s_waitcnt lgkmcnt(0)
	v_cmp_gt_u64_e32 vcc, v[14:15], v[22:23]
	v_cndmask_b32_e32 v16, v22, v14, vcc
	v_cndmask_b32_e32 v17, v23, v15, vcc
	v_cndmask_b32_e64 v15, v17, v15, s[0:1]
	v_cndmask_b32_e64 v14, v16, v14, s[0:1]
	v_cmp_gt_u64_e32 vcc, v[14:15], v[10:11]
	v_cndmask_b32_e32 v29, v11, v15, vcc
	v_cndmask_b32_e32 v28, v10, v14, vcc
	v_cmp_gt_u64_e32 vcc, v[28:29], v[12:13]
	v_cndmask_b32_e32 v19, v13, v29, vcc
	v_cndmask_b32_e32 v18, v12, v28, vcc
	;; [unrolled: 3-line block ×6, first 2 shown]
	s_load_dwordx8 s[0:7], s[4:5], 0x48
	s_branch .LBB3388_61
.LBB3388_49:
                                        ; implicit-def: $vgpr34_vgpr35
                                        ; implicit-def: $vgpr32_vgpr33
                                        ; implicit-def: $vgpr30_vgpr31
                                        ; implicit-def: $vgpr28_vgpr29
                                        ; implicit-def: $vgpr22_vgpr23_vgpr24_vgpr25
                                        ; implicit-def: $vgpr18_vgpr19_vgpr20_vgpr21
                                        ; implicit-def: $vgpr14_vgpr15_vgpr16_vgpr17
	s_load_dwordx8 s[0:7], s[4:5], 0x48
	s_cbranch_execz .LBB3388_61
; %bb.50:
	s_waitcnt lgkmcnt(0)
	s_cmp_eq_u64 s[4:5], 0
	v_pk_mov_b32 v[20:21], s[18:19], s[18:19] op_sel:[0,1]
	s_cbranch_scc1 .LBB3388_52
; %bb.51:
	v_mov_b32_e32 v17, s27
	v_add_co_u32_e64 v16, vcc, -8, s26
	v_mov_b32_e32 v14, 0
	v_addc_co_u32_e32 v17, vcc, -1, v17, vcc
	global_load_dwordx2 v[14:15], v14, s[0:1]
	s_nop 0
	flat_load_dwordx2 v[16:17], v[16:17]
	s_waitcnt vmcnt(0) lgkmcnt(0)
	v_cmp_gt_u64_e32 vcc, v[14:15], v[16:17]
	v_cndmask_b32_e32 v21, v17, v15, vcc
	v_cndmask_b32_e32 v20, v16, v14, vcc
.LBB3388_52:
	v_cmp_gt_u64_e32 vcc, v[10:11], v[12:13]
	v_cndmask_b32_e32 v15, v13, v11, vcc
	v_cndmask_b32_e32 v14, v12, v10, vcc
	v_cmp_gt_u64_e32 vcc, v[14:15], v[6:7]
	v_cndmask_b32_e32 v15, v7, v15, vcc
	v_cndmask_b32_e32 v14, v6, v14, vcc
	;; [unrolled: 3-line block ×6, first 2 shown]
	v_add_lshl_u32 v1, v1, v0, 3
	v_cmp_gt_u32_e32 vcc, 64, v0
	ds_write_b64 v1, v[18:19]
	s_waitcnt lgkmcnt(0)
	s_barrier
	s_and_saveexec_b64 s[4:5], vcc
	s_cbranch_execz .LBB3388_56
; %bb.53:
	v_lshlrev_b32_e32 v1, 1, v0
	v_lshrrev_b32_e32 v14, 4, v0
	v_add_lshl_u32 v1, v14, v1, 3
	ds_read2_b64 v[14:17], v1 offset1:1
	v_mbcnt_lo_u32_b32 v22, -1, 0
	v_mbcnt_hi_u32_b32 v26, -1, v22
	v_and_b32_e32 v27, 15, v26
	v_and_b32_e32 v29, 16, v26
	s_waitcnt lgkmcnt(0)
	v_cmp_gt_u64_e32 vcc, v[14:15], v[16:17]
	v_cndmask_b32_e32 v17, v17, v15, vcc
	v_cndmask_b32_e32 v16, v16, v14, vcc
	v_cmp_ne_u32_e64 s[0:1], 0, v26
	v_mov_b32_dpp v23, v17 row_shr:1 row_mask:0xf bank_mask:0xf
	v_mov_b32_dpp v22, v16 row_shr:1 row_mask:0xf bank_mask:0xf
	v_cmp_gt_u64_e32 vcc, v[22:23], v[16:17]
	v_cndmask_b32_e32 v22, v16, v22, vcc
	v_cndmask_b32_e32 v23, v17, v23, vcc
	v_cmp_eq_u32_e32 vcc, 0, v27
	v_cndmask_b32_e32 v23, v23, v17, vcc
	v_cndmask_b32_e32 v22, v22, v16, vcc
	s_nop 0
	v_mov_b32_dpp v25, v23 row_shr:2 row_mask:0xf bank_mask:0xf
	v_mov_b32_dpp v24, v22 row_shr:2 row_mask:0xf bank_mask:0xf
	v_cmp_gt_u64_e32 vcc, v[24:25], v[22:23]
	v_cndmask_b32_e32 v24, v22, v24, vcc
	v_cndmask_b32_e32 v25, v23, v25, vcc
	v_cmp_lt_u32_e32 vcc, 1, v27
	v_cndmask_b32_e32 v23, v23, v25, vcc
	v_cndmask_b32_e32 v22, v22, v24, vcc
	s_nop 0
	v_mov_b32_dpp v25, v23 row_shr:4 row_mask:0xf bank_mask:0xf
	v_mov_b32_dpp v24, v22 row_shr:4 row_mask:0xf bank_mask:0xf
	v_cmp_gt_u64_e32 vcc, v[24:25], v[22:23]
	v_cndmask_b32_e32 v24, v22, v24, vcc
	v_cndmask_b32_e32 v25, v23, v25, vcc
	v_cmp_lt_u32_e32 vcc, 3, v27
	;; [unrolled: 9-line block ×3, first 2 shown]
	v_cndmask_b32_e32 v23, v23, v25, vcc
	v_cndmask_b32_e32 v22, v22, v24, vcc
	s_nop 0
	v_mov_b32_dpp v25, v23 row_bcast:15 row_mask:0xf bank_mask:0xf
	v_mov_b32_dpp v24, v22 row_bcast:15 row_mask:0xf bank_mask:0xf
	v_cmp_gt_u64_e32 vcc, v[24:25], v[22:23]
	v_cndmask_b32_e32 v27, v23, v25, vcc
	v_cndmask_b32_e32 v28, v22, v24, vcc
	v_cmp_eq_u32_e32 vcc, 0, v29
	v_cndmask_b32_e32 v25, v27, v23, vcc
	v_cndmask_b32_e32 v24, v28, v22, vcc
	s_nop 0
	v_mov_b32_dpp v25, v25 row_bcast:31 row_mask:0xf bank_mask:0xf
	v_mov_b32_dpp v24, v24 row_bcast:31 row_mask:0xf bank_mask:0xf
	s_and_saveexec_b64 s[8:9], s[0:1]
; %bb.54:
	v_cndmask_b32_e32 v17, v27, v23, vcc
	v_cndmask_b32_e32 v16, v28, v22, vcc
	v_cmp_lt_u32_e64 s[0:1], 31, v26
	v_cmp_gt_u64_e32 vcc, v[24:25], v[16:17]
	s_and_b64 vcc, s[0:1], vcc
	v_cndmask_b32_e32 v16, v16, v24, vcc
	v_cndmask_b32_e32 v17, v17, v25, vcc
; %bb.55:
	s_or_b64 exec, exec, s[8:9]
	v_add_u32_e32 v22, -1, v26
	v_and_b32_e32 v23, 64, v26
	v_cmp_lt_i32_e32 vcc, v22, v23
	v_cndmask_b32_e32 v22, v22, v26, vcc
	v_lshlrev_b32_e32 v22, 2, v22
	ds_bpermute_b32 v16, v22, v16
	ds_bpermute_b32 v17, v22, v17
	; wave barrier
	s_waitcnt lgkmcnt(0)
	v_cmp_gt_u64_e32 vcc, v[16:17], v[14:15]
	v_cndmask_b32_e32 v14, v14, v16, vcc
	v_cndmask_b32_e32 v15, v15, v17, vcc
	v_cmp_eq_u32_e32 vcc, 0, v0
	v_cndmask_b32_e32 v15, v15, v19, vcc
	v_cndmask_b32_e32 v14, v14, v18, vcc
	ds_write_b64 v1, v[14:15]
	; wave barrier
	ds_read_b64 v[16:17], v1 offset:8
	s_waitcnt lgkmcnt(0)
	v_cmp_gt_u64_e32 vcc, v[14:15], v[16:17]
	v_cndmask_b32_e32 v15, v17, v15, vcc
	v_cndmask_b32_e32 v14, v16, v14, vcc
	ds_write_b64 v1, v[14:15] offset:8
.LBB3388_56:
	s_or_b64 exec, exec, s[4:5]
	v_cmp_eq_u32_e32 vcc, 0, v0
	v_cmp_ne_u32_e64 s[0:1], 0, v0
	v_pk_mov_b32 v[14:15], v[20:21], v[20:21] op_sel:[0,1]
	s_waitcnt lgkmcnt(0)
	s_barrier
	s_and_saveexec_b64 s[4:5], s[0:1]
	s_cbranch_execz .LBB3388_58
; %bb.57:
	v_add_u32_e32 v1, -1, v0
	v_lshrrev_b32_e32 v14, 5, v1
	v_add_lshl_u32 v1, v14, v1, 3
	ds_read_b64 v[14:15], v1
	s_waitcnt lgkmcnt(0)
	v_cmp_gt_u64_e64 s[0:1], v[20:21], v[14:15]
	v_cndmask_b32_e64 v15, v15, v21, s[0:1]
	v_cndmask_b32_e64 v14, v14, v20, s[0:1]
.LBB3388_58:
	s_or_b64 exec, exec, s[4:5]
	v_cmp_gt_u64_e64 s[0:1], v[14:15], v[10:11]
	v_cndmask_b32_e64 v29, v11, v15, s[0:1]
	v_cndmask_b32_e64 v28, v10, v14, s[0:1]
	v_cmp_gt_u64_e64 s[0:1], v[28:29], v[12:13]
	v_cndmask_b32_e64 v19, v13, v29, s[0:1]
	v_cndmask_b32_e64 v18, v12, v28, s[0:1]
	;; [unrolled: 3-line block ×6, first 2 shown]
	s_and_saveexec_b64 s[0:1], vcc
	s_cbranch_execz .LBB3388_60
; %bb.59:
	v_mov_b32_e32 v5, 0
	ds_read_b64 v[2:3], v5 offset:1040
	s_add_u32 s4, s20, 0x400
	s_addc_u32 s5, s21, 0
	v_mov_b32_e32 v4, 2
	v_pk_mov_b32 v[6:7], s[4:5], s[4:5] op_sel:[0,1]
	s_waitcnt lgkmcnt(0)
	v_cmp_gt_u64_e32 vcc, v[20:21], v[2:3]
	v_cndmask_b32_e32 v3, v3, v21, vcc
	v_cndmask_b32_e32 v2, v2, v20, vcc
	;;#ASMSTART
	global_store_dwordx4 v[6:7], v[2:5] off	
s_waitcnt vmcnt(0)
	;;#ASMEND
.LBB3388_60:
	s_or_b64 exec, exec, s[0:1]
.LBB3388_61:
	s_waitcnt lgkmcnt(0)
	s_mov_b64 s[0:1], -1
	s_and_b64 vcc, exec, s[16:17]
	s_barrier
	ds_write2_b64 v37, v[14:15], v[28:29] offset1:1
	ds_write2_b64 v37, v[18:19], v[30:31] offset0:2 offset1:3
	ds_write2_b64 v37, v[22:23], v[32:33] offset0:4 offset1:5
	ds_write_b64 v37, v[34:35] offset:48
	s_waitcnt lgkmcnt(0)
	s_cbranch_vccz .LBB3388_63
; %bb.62:
	s_barrier
	s_mov_b64 s[0:1], 0
.LBB3388_63:
	s_andn2_b64 vcc, exec, s[0:1]
	s_cbranch_vccnz .LBB3388_88
; %bb.64:
	v_cmp_lt_u64_e64 s[0:1], s[6:7], 2
	s_and_b64 vcc, exec, s[0:1]
	s_barrier
	s_cbranch_vccnz .LBB3388_88
; %bb.65:
	s_add_u32 s0, s24, -1
	s_addc_u32 s1, s25, -1
	s_add_u32 s4, 0, 0x92481000
	s_addc_u32 s5, 0, 0x64
	s_add_i32 s5, s5, 0x249248c0
	s_mul_hi_u32 s9, s4, -7
	s_sub_i32 s9, s9, s4
	s_mul_i32 s10, s5, -7
	s_mul_i32 s6, s4, -7
	s_add_i32 s9, s9, s10
	s_mul_hi_u32 s7, s5, s6
	s_mul_i32 s8, s5, s6
	s_mul_i32 s11, s4, s9
	s_mul_hi_u32 s6, s4, s6
	s_mul_hi_u32 s10, s4, s9
	s_add_u32 s6, s6, s11
	s_addc_u32 s10, 0, s10
	s_add_u32 s6, s6, s8
	s_mul_hi_u32 s11, s5, s9
	s_addc_u32 s6, s10, s7
	s_addc_u32 s7, s11, 0
	s_mul_i32 s8, s5, s9
	s_add_u32 s6, s6, s8
	v_mov_b32_e32 v2, s6
	s_addc_u32 s7, 0, s7
	v_add_co_u32_e32 v2, vcc, s4, v2
	s_cmp_lg_u64 vcc, 0
	s_addc_u32 s4, s5, s7
	v_readfirstlane_b32 s7, v2
	s_mul_i32 s6, s0, s4
	s_mul_hi_u32 s8, s0, s7
	s_mul_hi_u32 s5, s0, s4
	s_add_u32 s6, s8, s6
	s_addc_u32 s5, 0, s5
	s_mul_hi_u32 s9, s1, s7
	s_mul_i32 s7, s1, s7
	s_add_u32 s6, s6, s7
	s_mul_hi_u32 s8, s1, s4
	s_addc_u32 s5, s5, s9
	s_addc_u32 s6, s8, 0
	s_mul_i32 s4, s1, s4
	s_add_u32 s4, s5, s4
	s_addc_u32 s5, 0, s6
	s_add_u32 s6, s4, 1
	s_addc_u32 s7, s5, 0
	s_add_u32 s8, s4, 2
	s_mul_i32 s10, s5, 7
	s_mul_hi_u32 s11, s4, 7
	s_addc_u32 s9, s5, 0
	s_add_i32 s11, s11, s10
	s_mul_i32 s10, s4, 7
	v_mov_b32_e32 v2, s10
	v_sub_co_u32_e32 v2, vcc, s0, v2
	s_cmp_lg_u64 vcc, 0
	s_subb_u32 s10, s1, s11
	v_subrev_co_u32_e32 v3, vcc, 7, v2
	s_cmp_lg_u64 vcc, 0
	s_subb_u32 s11, s10, 0
	v_readfirstlane_b32 s12, v3
	s_cmp_gt_u32 s12, 6
	s_cselect_b32 s12, -1, 0
	s_cmp_eq_u32 s11, 0
	s_cselect_b32 s11, s12, -1
	s_cmp_lg_u32 s11, 0
	s_cselect_b32 s6, s8, s6
	v_readfirstlane_b32 s8, v2
	s_cselect_b32 s7, s9, s7
	s_cmp_gt_u32 s8, 6
	s_cselect_b32 s8, -1, 0
	s_cmp_eq_u32 s10, 0
	s_cselect_b32 s8, s8, -1
	s_cmp_lg_u32 s8, 0
	v_mov_b32_e32 v1, 0
	s_cselect_b32 s5, s7, s5
	s_cselect_b32 s4, s6, s4
	v_cmp_eq_u64_e32 vcc, s[4:5], v[0:1]
	s_and_saveexec_b64 s[4:5], vcc
	s_cbranch_execz .LBB3388_88
; %bb.66:
	s_movk_i32 s4, 0xffd0
	v_mad_i32_i24 v2, v0, s4, v37
	v_mul_hi_u32_u24_e32 v1, 7, v0
	v_mov_b32_e32 v3, s1
	v_sub_co_u32_e32 v0, vcc, s0, v36
	v_subb_co_u32_e32 v1, vcc, v3, v1, vcc
	v_cmp_lt_i64_e32 vcc, 3, v[0:1]
	s_and_saveexec_b64 s[0:1], vcc
	s_xor_b64 s[0:1], exec, s[0:1]
	s_cbranch_execz .LBB3388_76
; %bb.67:
	v_cmp_lt_i64_e32 vcc, 4, v[0:1]
	s_and_saveexec_b64 s[4:5], vcc
	s_xor_b64 s[4:5], exec, s[4:5]
	s_cbranch_execz .LBB3388_73
; %bb.68:
	v_cmp_lt_i64_e32 vcc, 5, v[0:1]
	s_and_saveexec_b64 s[6:7], vcc
	s_xor_b64 s[6:7], exec, s[6:7]
	s_cbranch_execz .LBB3388_70
; %bb.69:
	ds_read_b64 v[0:1], v2 offset:6144
	v_mov_b32_e32 v2, 0
	s_waitcnt lgkmcnt(0)
	global_store_dwordx2 v2, v[0:1], s[2:3]
                                        ; implicit-def: $vgpr2
.LBB3388_70:
	s_andn2_saveexec_b64 s[6:7], s[6:7]
	s_cbranch_execz .LBB3388_72
; %bb.71:
	ds_read_b64 v[0:1], v2 offset:5120
	v_mov_b32_e32 v2, 0
	s_waitcnt lgkmcnt(0)
	global_store_dwordx2 v2, v[0:1], s[2:3]
.LBB3388_72:
	s_or_b64 exec, exec, s[6:7]
                                        ; implicit-def: $vgpr2
.LBB3388_73:
	s_andn2_saveexec_b64 s[4:5], s[4:5]
	s_cbranch_execz .LBB3388_75
; %bb.74:
	ds_read_b64 v[0:1], v2 offset:4096
	v_mov_b32_e32 v2, 0
	s_waitcnt lgkmcnt(0)
	global_store_dwordx2 v2, v[0:1], s[2:3]
.LBB3388_75:
	s_or_b64 exec, exec, s[4:5]
                                        ; implicit-def: $vgpr0_vgpr1
                                        ; implicit-def: $vgpr2
.LBB3388_76:
	s_andn2_saveexec_b64 s[0:1], s[0:1]
	s_cbranch_execz .LBB3388_88
; %bb.77:
	v_cmp_lt_i64_e32 vcc, 1, v[0:1]
	s_and_saveexec_b64 s[0:1], vcc
	s_xor_b64 s[0:1], exec, s[0:1]
	s_cbranch_execz .LBB3388_83
; %bb.78:
	v_cmp_lt_i64_e32 vcc, 2, v[0:1]
	s_and_saveexec_b64 s[4:5], vcc
	s_xor_b64 s[4:5], exec, s[4:5]
	s_cbranch_execz .LBB3388_80
; %bb.79:
	ds_read_b64 v[0:1], v2 offset:3072
	v_mov_b32_e32 v2, 0
	s_waitcnt lgkmcnt(0)
	global_store_dwordx2 v2, v[0:1], s[2:3]
                                        ; implicit-def: $vgpr2
.LBB3388_80:
	s_andn2_saveexec_b64 s[4:5], s[4:5]
	s_cbranch_execz .LBB3388_82
; %bb.81:
	ds_read_b64 v[0:1], v2 offset:2048
	v_mov_b32_e32 v2, 0
	s_waitcnt lgkmcnt(0)
	global_store_dwordx2 v2, v[0:1], s[2:3]
.LBB3388_82:
	s_or_b64 exec, exec, s[4:5]
                                        ; implicit-def: $vgpr2
                                        ; implicit-def: $vgpr0_vgpr1
.LBB3388_83:
	s_andn2_saveexec_b64 s[0:1], s[0:1]
	s_cbranch_execz .LBB3388_88
; %bb.84:
	v_cmp_ne_u64_e32 vcc, 1, v[0:1]
	s_and_saveexec_b64 s[0:1], vcc
	s_xor_b64 s[0:1], exec, s[0:1]
	s_cbranch_execz .LBB3388_86
; %bb.85:
	ds_read_b64 v[0:1], v2
	v_mov_b32_e32 v2, 0
	s_waitcnt lgkmcnt(0)
	global_store_dwordx2 v2, v[0:1], s[2:3]
                                        ; implicit-def: $vgpr2
.LBB3388_86:
	s_andn2_saveexec_b64 s[0:1], s[0:1]
	s_cbranch_execz .LBB3388_88
; %bb.87:
	ds_read_b64 v[0:1], v2 offset:1024
	v_mov_b32_e32 v2, 0
	s_waitcnt lgkmcnt(0)
	global_store_dwordx2 v2, v[0:1], s[2:3]
.LBB3388_88:
	s_endpgm
	.section	.rodata,"a",@progbits
	.p2align	6, 0x0
	.amdhsa_kernel _ZN7rocprim17ROCPRIM_400000_NS6detail17trampoline_kernelINS0_14default_configENS1_20scan_config_selectorIyEEZZNS1_9scan_implILNS1_25lookback_scan_determinismE0ELb1ELb1ES3_N6thrust23THRUST_200600_302600_NS6detail15normal_iteratorINS9_10device_ptrIyEEEENS9_16discard_iteratorINS9_11use_defaultEEEy11max_functorIyEyEEDaPvRmT3_T4_T5_mT6_P12ihipStream_tbENKUlT_T0_E_clISt17integral_constantIbLb1EESW_IbLb0EEEEDaSS_ST_EUlSS_E_NS1_11comp_targetILNS1_3genE4ELNS1_11target_archE910ELNS1_3gpuE8ELNS1_3repE0EEENS1_30default_config_static_selectorELNS0_4arch9wavefront6targetE1EEEvT1_
		.amdhsa_group_segment_fixed_size 7168
		.amdhsa_private_segment_fixed_size 0
		.amdhsa_kernarg_size 112
		.amdhsa_user_sgpr_count 6
		.amdhsa_user_sgpr_private_segment_buffer 1
		.amdhsa_user_sgpr_dispatch_ptr 0
		.amdhsa_user_sgpr_queue_ptr 0
		.amdhsa_user_sgpr_kernarg_segment_ptr 1
		.amdhsa_user_sgpr_dispatch_id 0
		.amdhsa_user_sgpr_flat_scratch_init 0
		.amdhsa_user_sgpr_kernarg_preload_length 0
		.amdhsa_user_sgpr_kernarg_preload_offset 0
		.amdhsa_user_sgpr_private_segment_size 0
		.amdhsa_uses_dynamic_stack 0
		.amdhsa_system_sgpr_private_segment_wavefront_offset 0
		.amdhsa_system_sgpr_workgroup_id_x 1
		.amdhsa_system_sgpr_workgroup_id_y 0
		.amdhsa_system_sgpr_workgroup_id_z 0
		.amdhsa_system_sgpr_workgroup_info 0
		.amdhsa_system_vgpr_workitem_id 0
		.amdhsa_next_free_vgpr 57
		.amdhsa_next_free_sgpr 28
		.amdhsa_accum_offset 60
		.amdhsa_reserve_vcc 1
		.amdhsa_reserve_flat_scratch 0
		.amdhsa_float_round_mode_32 0
		.amdhsa_float_round_mode_16_64 0
		.amdhsa_float_denorm_mode_32 3
		.amdhsa_float_denorm_mode_16_64 3
		.amdhsa_dx10_clamp 1
		.amdhsa_ieee_mode 1
		.amdhsa_fp16_overflow 0
		.amdhsa_tg_split 0
		.amdhsa_exception_fp_ieee_invalid_op 0
		.amdhsa_exception_fp_denorm_src 0
		.amdhsa_exception_fp_ieee_div_zero 0
		.amdhsa_exception_fp_ieee_overflow 0
		.amdhsa_exception_fp_ieee_underflow 0
		.amdhsa_exception_fp_ieee_inexact 0
		.amdhsa_exception_int_div_zero 0
	.end_amdhsa_kernel
	.section	.text._ZN7rocprim17ROCPRIM_400000_NS6detail17trampoline_kernelINS0_14default_configENS1_20scan_config_selectorIyEEZZNS1_9scan_implILNS1_25lookback_scan_determinismE0ELb1ELb1ES3_N6thrust23THRUST_200600_302600_NS6detail15normal_iteratorINS9_10device_ptrIyEEEENS9_16discard_iteratorINS9_11use_defaultEEEy11max_functorIyEyEEDaPvRmT3_T4_T5_mT6_P12ihipStream_tbENKUlT_T0_E_clISt17integral_constantIbLb1EESW_IbLb0EEEEDaSS_ST_EUlSS_E_NS1_11comp_targetILNS1_3genE4ELNS1_11target_archE910ELNS1_3gpuE8ELNS1_3repE0EEENS1_30default_config_static_selectorELNS0_4arch9wavefront6targetE1EEEvT1_,"axG",@progbits,_ZN7rocprim17ROCPRIM_400000_NS6detail17trampoline_kernelINS0_14default_configENS1_20scan_config_selectorIyEEZZNS1_9scan_implILNS1_25lookback_scan_determinismE0ELb1ELb1ES3_N6thrust23THRUST_200600_302600_NS6detail15normal_iteratorINS9_10device_ptrIyEEEENS9_16discard_iteratorINS9_11use_defaultEEEy11max_functorIyEyEEDaPvRmT3_T4_T5_mT6_P12ihipStream_tbENKUlT_T0_E_clISt17integral_constantIbLb1EESW_IbLb0EEEEDaSS_ST_EUlSS_E_NS1_11comp_targetILNS1_3genE4ELNS1_11target_archE910ELNS1_3gpuE8ELNS1_3repE0EEENS1_30default_config_static_selectorELNS0_4arch9wavefront6targetE1EEEvT1_,comdat
.Lfunc_end3388:
	.size	_ZN7rocprim17ROCPRIM_400000_NS6detail17trampoline_kernelINS0_14default_configENS1_20scan_config_selectorIyEEZZNS1_9scan_implILNS1_25lookback_scan_determinismE0ELb1ELb1ES3_N6thrust23THRUST_200600_302600_NS6detail15normal_iteratorINS9_10device_ptrIyEEEENS9_16discard_iteratorINS9_11use_defaultEEEy11max_functorIyEyEEDaPvRmT3_T4_T5_mT6_P12ihipStream_tbENKUlT_T0_E_clISt17integral_constantIbLb1EESW_IbLb0EEEEDaSS_ST_EUlSS_E_NS1_11comp_targetILNS1_3genE4ELNS1_11target_archE910ELNS1_3gpuE8ELNS1_3repE0EEENS1_30default_config_static_selectorELNS0_4arch9wavefront6targetE1EEEvT1_, .Lfunc_end3388-_ZN7rocprim17ROCPRIM_400000_NS6detail17trampoline_kernelINS0_14default_configENS1_20scan_config_selectorIyEEZZNS1_9scan_implILNS1_25lookback_scan_determinismE0ELb1ELb1ES3_N6thrust23THRUST_200600_302600_NS6detail15normal_iteratorINS9_10device_ptrIyEEEENS9_16discard_iteratorINS9_11use_defaultEEEy11max_functorIyEyEEDaPvRmT3_T4_T5_mT6_P12ihipStream_tbENKUlT_T0_E_clISt17integral_constantIbLb1EESW_IbLb0EEEEDaSS_ST_EUlSS_E_NS1_11comp_targetILNS1_3genE4ELNS1_11target_archE910ELNS1_3gpuE8ELNS1_3repE0EEENS1_30default_config_static_selectorELNS0_4arch9wavefront6targetE1EEEvT1_
                                        ; -- End function
	.section	.AMDGPU.csdata,"",@progbits
; Kernel info:
; codeLenInByte = 5480
; NumSgprs: 32
; NumVgprs: 57
; NumAgprs: 0
; TotalNumVgprs: 57
; ScratchSize: 0
; MemoryBound: 0
; FloatMode: 240
; IeeeMode: 1
; LDSByteSize: 7168 bytes/workgroup (compile time only)
; SGPRBlocks: 3
; VGPRBlocks: 7
; NumSGPRsForWavesPerEU: 32
; NumVGPRsForWavesPerEU: 57
; AccumOffset: 60
; Occupancy: 5
; WaveLimiterHint : 1
; COMPUTE_PGM_RSRC2:SCRATCH_EN: 0
; COMPUTE_PGM_RSRC2:USER_SGPR: 6
; COMPUTE_PGM_RSRC2:TRAP_HANDLER: 0
; COMPUTE_PGM_RSRC2:TGID_X_EN: 1
; COMPUTE_PGM_RSRC2:TGID_Y_EN: 0
; COMPUTE_PGM_RSRC2:TGID_Z_EN: 0
; COMPUTE_PGM_RSRC2:TIDIG_COMP_CNT: 0
; COMPUTE_PGM_RSRC3_GFX90A:ACCUM_OFFSET: 14
; COMPUTE_PGM_RSRC3_GFX90A:TG_SPLIT: 0
	.section	.text._ZN7rocprim17ROCPRIM_400000_NS6detail17trampoline_kernelINS0_14default_configENS1_20scan_config_selectorIyEEZZNS1_9scan_implILNS1_25lookback_scan_determinismE0ELb1ELb1ES3_N6thrust23THRUST_200600_302600_NS6detail15normal_iteratorINS9_10device_ptrIyEEEENS9_16discard_iteratorINS9_11use_defaultEEEy11max_functorIyEyEEDaPvRmT3_T4_T5_mT6_P12ihipStream_tbENKUlT_T0_E_clISt17integral_constantIbLb1EESW_IbLb0EEEEDaSS_ST_EUlSS_E_NS1_11comp_targetILNS1_3genE3ELNS1_11target_archE908ELNS1_3gpuE7ELNS1_3repE0EEENS1_30default_config_static_selectorELNS0_4arch9wavefront6targetE1EEEvT1_,"axG",@progbits,_ZN7rocprim17ROCPRIM_400000_NS6detail17trampoline_kernelINS0_14default_configENS1_20scan_config_selectorIyEEZZNS1_9scan_implILNS1_25lookback_scan_determinismE0ELb1ELb1ES3_N6thrust23THRUST_200600_302600_NS6detail15normal_iteratorINS9_10device_ptrIyEEEENS9_16discard_iteratorINS9_11use_defaultEEEy11max_functorIyEyEEDaPvRmT3_T4_T5_mT6_P12ihipStream_tbENKUlT_T0_E_clISt17integral_constantIbLb1EESW_IbLb0EEEEDaSS_ST_EUlSS_E_NS1_11comp_targetILNS1_3genE3ELNS1_11target_archE908ELNS1_3gpuE7ELNS1_3repE0EEENS1_30default_config_static_selectorELNS0_4arch9wavefront6targetE1EEEvT1_,comdat
	.protected	_ZN7rocprim17ROCPRIM_400000_NS6detail17trampoline_kernelINS0_14default_configENS1_20scan_config_selectorIyEEZZNS1_9scan_implILNS1_25lookback_scan_determinismE0ELb1ELb1ES3_N6thrust23THRUST_200600_302600_NS6detail15normal_iteratorINS9_10device_ptrIyEEEENS9_16discard_iteratorINS9_11use_defaultEEEy11max_functorIyEyEEDaPvRmT3_T4_T5_mT6_P12ihipStream_tbENKUlT_T0_E_clISt17integral_constantIbLb1EESW_IbLb0EEEEDaSS_ST_EUlSS_E_NS1_11comp_targetILNS1_3genE3ELNS1_11target_archE908ELNS1_3gpuE7ELNS1_3repE0EEENS1_30default_config_static_selectorELNS0_4arch9wavefront6targetE1EEEvT1_ ; -- Begin function _ZN7rocprim17ROCPRIM_400000_NS6detail17trampoline_kernelINS0_14default_configENS1_20scan_config_selectorIyEEZZNS1_9scan_implILNS1_25lookback_scan_determinismE0ELb1ELb1ES3_N6thrust23THRUST_200600_302600_NS6detail15normal_iteratorINS9_10device_ptrIyEEEENS9_16discard_iteratorINS9_11use_defaultEEEy11max_functorIyEyEEDaPvRmT3_T4_T5_mT6_P12ihipStream_tbENKUlT_T0_E_clISt17integral_constantIbLb1EESW_IbLb0EEEEDaSS_ST_EUlSS_E_NS1_11comp_targetILNS1_3genE3ELNS1_11target_archE908ELNS1_3gpuE7ELNS1_3repE0EEENS1_30default_config_static_selectorELNS0_4arch9wavefront6targetE1EEEvT1_
	.globl	_ZN7rocprim17ROCPRIM_400000_NS6detail17trampoline_kernelINS0_14default_configENS1_20scan_config_selectorIyEEZZNS1_9scan_implILNS1_25lookback_scan_determinismE0ELb1ELb1ES3_N6thrust23THRUST_200600_302600_NS6detail15normal_iteratorINS9_10device_ptrIyEEEENS9_16discard_iteratorINS9_11use_defaultEEEy11max_functorIyEyEEDaPvRmT3_T4_T5_mT6_P12ihipStream_tbENKUlT_T0_E_clISt17integral_constantIbLb1EESW_IbLb0EEEEDaSS_ST_EUlSS_E_NS1_11comp_targetILNS1_3genE3ELNS1_11target_archE908ELNS1_3gpuE7ELNS1_3repE0EEENS1_30default_config_static_selectorELNS0_4arch9wavefront6targetE1EEEvT1_
	.p2align	8
	.type	_ZN7rocprim17ROCPRIM_400000_NS6detail17trampoline_kernelINS0_14default_configENS1_20scan_config_selectorIyEEZZNS1_9scan_implILNS1_25lookback_scan_determinismE0ELb1ELb1ES3_N6thrust23THRUST_200600_302600_NS6detail15normal_iteratorINS9_10device_ptrIyEEEENS9_16discard_iteratorINS9_11use_defaultEEEy11max_functorIyEyEEDaPvRmT3_T4_T5_mT6_P12ihipStream_tbENKUlT_T0_E_clISt17integral_constantIbLb1EESW_IbLb0EEEEDaSS_ST_EUlSS_E_NS1_11comp_targetILNS1_3genE3ELNS1_11target_archE908ELNS1_3gpuE7ELNS1_3repE0EEENS1_30default_config_static_selectorELNS0_4arch9wavefront6targetE1EEEvT1_,@function
_ZN7rocprim17ROCPRIM_400000_NS6detail17trampoline_kernelINS0_14default_configENS1_20scan_config_selectorIyEEZZNS1_9scan_implILNS1_25lookback_scan_determinismE0ELb1ELb1ES3_N6thrust23THRUST_200600_302600_NS6detail15normal_iteratorINS9_10device_ptrIyEEEENS9_16discard_iteratorINS9_11use_defaultEEEy11max_functorIyEyEEDaPvRmT3_T4_T5_mT6_P12ihipStream_tbENKUlT_T0_E_clISt17integral_constantIbLb1EESW_IbLb0EEEEDaSS_ST_EUlSS_E_NS1_11comp_targetILNS1_3genE3ELNS1_11target_archE908ELNS1_3gpuE7ELNS1_3repE0EEENS1_30default_config_static_selectorELNS0_4arch9wavefront6targetE1EEEvT1_: ; @_ZN7rocprim17ROCPRIM_400000_NS6detail17trampoline_kernelINS0_14default_configENS1_20scan_config_selectorIyEEZZNS1_9scan_implILNS1_25lookback_scan_determinismE0ELb1ELb1ES3_N6thrust23THRUST_200600_302600_NS6detail15normal_iteratorINS9_10device_ptrIyEEEENS9_16discard_iteratorINS9_11use_defaultEEEy11max_functorIyEyEEDaPvRmT3_T4_T5_mT6_P12ihipStream_tbENKUlT_T0_E_clISt17integral_constantIbLb1EESW_IbLb0EEEEDaSS_ST_EUlSS_E_NS1_11comp_targetILNS1_3genE3ELNS1_11target_archE908ELNS1_3gpuE7ELNS1_3repE0EEENS1_30default_config_static_selectorELNS0_4arch9wavefront6targetE1EEEvT1_
; %bb.0:
	.section	.rodata,"a",@progbits
	.p2align	6, 0x0
	.amdhsa_kernel _ZN7rocprim17ROCPRIM_400000_NS6detail17trampoline_kernelINS0_14default_configENS1_20scan_config_selectorIyEEZZNS1_9scan_implILNS1_25lookback_scan_determinismE0ELb1ELb1ES3_N6thrust23THRUST_200600_302600_NS6detail15normal_iteratorINS9_10device_ptrIyEEEENS9_16discard_iteratorINS9_11use_defaultEEEy11max_functorIyEyEEDaPvRmT3_T4_T5_mT6_P12ihipStream_tbENKUlT_T0_E_clISt17integral_constantIbLb1EESW_IbLb0EEEEDaSS_ST_EUlSS_E_NS1_11comp_targetILNS1_3genE3ELNS1_11target_archE908ELNS1_3gpuE7ELNS1_3repE0EEENS1_30default_config_static_selectorELNS0_4arch9wavefront6targetE1EEEvT1_
		.amdhsa_group_segment_fixed_size 0
		.amdhsa_private_segment_fixed_size 0
		.amdhsa_kernarg_size 112
		.amdhsa_user_sgpr_count 6
		.amdhsa_user_sgpr_private_segment_buffer 1
		.amdhsa_user_sgpr_dispatch_ptr 0
		.amdhsa_user_sgpr_queue_ptr 0
		.amdhsa_user_sgpr_kernarg_segment_ptr 1
		.amdhsa_user_sgpr_dispatch_id 0
		.amdhsa_user_sgpr_flat_scratch_init 0
		.amdhsa_user_sgpr_kernarg_preload_length 0
		.amdhsa_user_sgpr_kernarg_preload_offset 0
		.amdhsa_user_sgpr_private_segment_size 0
		.amdhsa_uses_dynamic_stack 0
		.amdhsa_system_sgpr_private_segment_wavefront_offset 0
		.amdhsa_system_sgpr_workgroup_id_x 1
		.amdhsa_system_sgpr_workgroup_id_y 0
		.amdhsa_system_sgpr_workgroup_id_z 0
		.amdhsa_system_sgpr_workgroup_info 0
		.amdhsa_system_vgpr_workitem_id 0
		.amdhsa_next_free_vgpr 1
		.amdhsa_next_free_sgpr 0
		.amdhsa_accum_offset 4
		.amdhsa_reserve_vcc 0
		.amdhsa_reserve_flat_scratch 0
		.amdhsa_float_round_mode_32 0
		.amdhsa_float_round_mode_16_64 0
		.amdhsa_float_denorm_mode_32 3
		.amdhsa_float_denorm_mode_16_64 3
		.amdhsa_dx10_clamp 1
		.amdhsa_ieee_mode 1
		.amdhsa_fp16_overflow 0
		.amdhsa_tg_split 0
		.amdhsa_exception_fp_ieee_invalid_op 0
		.amdhsa_exception_fp_denorm_src 0
		.amdhsa_exception_fp_ieee_div_zero 0
		.amdhsa_exception_fp_ieee_overflow 0
		.amdhsa_exception_fp_ieee_underflow 0
		.amdhsa_exception_fp_ieee_inexact 0
		.amdhsa_exception_int_div_zero 0
	.end_amdhsa_kernel
	.section	.text._ZN7rocprim17ROCPRIM_400000_NS6detail17trampoline_kernelINS0_14default_configENS1_20scan_config_selectorIyEEZZNS1_9scan_implILNS1_25lookback_scan_determinismE0ELb1ELb1ES3_N6thrust23THRUST_200600_302600_NS6detail15normal_iteratorINS9_10device_ptrIyEEEENS9_16discard_iteratorINS9_11use_defaultEEEy11max_functorIyEyEEDaPvRmT3_T4_T5_mT6_P12ihipStream_tbENKUlT_T0_E_clISt17integral_constantIbLb1EESW_IbLb0EEEEDaSS_ST_EUlSS_E_NS1_11comp_targetILNS1_3genE3ELNS1_11target_archE908ELNS1_3gpuE7ELNS1_3repE0EEENS1_30default_config_static_selectorELNS0_4arch9wavefront6targetE1EEEvT1_,"axG",@progbits,_ZN7rocprim17ROCPRIM_400000_NS6detail17trampoline_kernelINS0_14default_configENS1_20scan_config_selectorIyEEZZNS1_9scan_implILNS1_25lookback_scan_determinismE0ELb1ELb1ES3_N6thrust23THRUST_200600_302600_NS6detail15normal_iteratorINS9_10device_ptrIyEEEENS9_16discard_iteratorINS9_11use_defaultEEEy11max_functorIyEyEEDaPvRmT3_T4_T5_mT6_P12ihipStream_tbENKUlT_T0_E_clISt17integral_constantIbLb1EESW_IbLb0EEEEDaSS_ST_EUlSS_E_NS1_11comp_targetILNS1_3genE3ELNS1_11target_archE908ELNS1_3gpuE7ELNS1_3repE0EEENS1_30default_config_static_selectorELNS0_4arch9wavefront6targetE1EEEvT1_,comdat
.Lfunc_end3389:
	.size	_ZN7rocprim17ROCPRIM_400000_NS6detail17trampoline_kernelINS0_14default_configENS1_20scan_config_selectorIyEEZZNS1_9scan_implILNS1_25lookback_scan_determinismE0ELb1ELb1ES3_N6thrust23THRUST_200600_302600_NS6detail15normal_iteratorINS9_10device_ptrIyEEEENS9_16discard_iteratorINS9_11use_defaultEEEy11max_functorIyEyEEDaPvRmT3_T4_T5_mT6_P12ihipStream_tbENKUlT_T0_E_clISt17integral_constantIbLb1EESW_IbLb0EEEEDaSS_ST_EUlSS_E_NS1_11comp_targetILNS1_3genE3ELNS1_11target_archE908ELNS1_3gpuE7ELNS1_3repE0EEENS1_30default_config_static_selectorELNS0_4arch9wavefront6targetE1EEEvT1_, .Lfunc_end3389-_ZN7rocprim17ROCPRIM_400000_NS6detail17trampoline_kernelINS0_14default_configENS1_20scan_config_selectorIyEEZZNS1_9scan_implILNS1_25lookback_scan_determinismE0ELb1ELb1ES3_N6thrust23THRUST_200600_302600_NS6detail15normal_iteratorINS9_10device_ptrIyEEEENS9_16discard_iteratorINS9_11use_defaultEEEy11max_functorIyEyEEDaPvRmT3_T4_T5_mT6_P12ihipStream_tbENKUlT_T0_E_clISt17integral_constantIbLb1EESW_IbLb0EEEEDaSS_ST_EUlSS_E_NS1_11comp_targetILNS1_3genE3ELNS1_11target_archE908ELNS1_3gpuE7ELNS1_3repE0EEENS1_30default_config_static_selectorELNS0_4arch9wavefront6targetE1EEEvT1_
                                        ; -- End function
	.section	.AMDGPU.csdata,"",@progbits
; Kernel info:
; codeLenInByte = 0
; NumSgprs: 4
; NumVgprs: 0
; NumAgprs: 0
; TotalNumVgprs: 0
; ScratchSize: 0
; MemoryBound: 0
; FloatMode: 240
; IeeeMode: 1
; LDSByteSize: 0 bytes/workgroup (compile time only)
; SGPRBlocks: 0
; VGPRBlocks: 0
; NumSGPRsForWavesPerEU: 4
; NumVGPRsForWavesPerEU: 1
; AccumOffset: 4
; Occupancy: 8
; WaveLimiterHint : 0
; COMPUTE_PGM_RSRC2:SCRATCH_EN: 0
; COMPUTE_PGM_RSRC2:USER_SGPR: 6
; COMPUTE_PGM_RSRC2:TRAP_HANDLER: 0
; COMPUTE_PGM_RSRC2:TGID_X_EN: 1
; COMPUTE_PGM_RSRC2:TGID_Y_EN: 0
; COMPUTE_PGM_RSRC2:TGID_Z_EN: 0
; COMPUTE_PGM_RSRC2:TIDIG_COMP_CNT: 0
; COMPUTE_PGM_RSRC3_GFX90A:ACCUM_OFFSET: 0
; COMPUTE_PGM_RSRC3_GFX90A:TG_SPLIT: 0
	.section	.text._ZN7rocprim17ROCPRIM_400000_NS6detail17trampoline_kernelINS0_14default_configENS1_20scan_config_selectorIyEEZZNS1_9scan_implILNS1_25lookback_scan_determinismE0ELb1ELb1ES3_N6thrust23THRUST_200600_302600_NS6detail15normal_iteratorINS9_10device_ptrIyEEEENS9_16discard_iteratorINS9_11use_defaultEEEy11max_functorIyEyEEDaPvRmT3_T4_T5_mT6_P12ihipStream_tbENKUlT_T0_E_clISt17integral_constantIbLb1EESW_IbLb0EEEEDaSS_ST_EUlSS_E_NS1_11comp_targetILNS1_3genE2ELNS1_11target_archE906ELNS1_3gpuE6ELNS1_3repE0EEENS1_30default_config_static_selectorELNS0_4arch9wavefront6targetE1EEEvT1_,"axG",@progbits,_ZN7rocprim17ROCPRIM_400000_NS6detail17trampoline_kernelINS0_14default_configENS1_20scan_config_selectorIyEEZZNS1_9scan_implILNS1_25lookback_scan_determinismE0ELb1ELb1ES3_N6thrust23THRUST_200600_302600_NS6detail15normal_iteratorINS9_10device_ptrIyEEEENS9_16discard_iteratorINS9_11use_defaultEEEy11max_functorIyEyEEDaPvRmT3_T4_T5_mT6_P12ihipStream_tbENKUlT_T0_E_clISt17integral_constantIbLb1EESW_IbLb0EEEEDaSS_ST_EUlSS_E_NS1_11comp_targetILNS1_3genE2ELNS1_11target_archE906ELNS1_3gpuE6ELNS1_3repE0EEENS1_30default_config_static_selectorELNS0_4arch9wavefront6targetE1EEEvT1_,comdat
	.protected	_ZN7rocprim17ROCPRIM_400000_NS6detail17trampoline_kernelINS0_14default_configENS1_20scan_config_selectorIyEEZZNS1_9scan_implILNS1_25lookback_scan_determinismE0ELb1ELb1ES3_N6thrust23THRUST_200600_302600_NS6detail15normal_iteratorINS9_10device_ptrIyEEEENS9_16discard_iteratorINS9_11use_defaultEEEy11max_functorIyEyEEDaPvRmT3_T4_T5_mT6_P12ihipStream_tbENKUlT_T0_E_clISt17integral_constantIbLb1EESW_IbLb0EEEEDaSS_ST_EUlSS_E_NS1_11comp_targetILNS1_3genE2ELNS1_11target_archE906ELNS1_3gpuE6ELNS1_3repE0EEENS1_30default_config_static_selectorELNS0_4arch9wavefront6targetE1EEEvT1_ ; -- Begin function _ZN7rocprim17ROCPRIM_400000_NS6detail17trampoline_kernelINS0_14default_configENS1_20scan_config_selectorIyEEZZNS1_9scan_implILNS1_25lookback_scan_determinismE0ELb1ELb1ES3_N6thrust23THRUST_200600_302600_NS6detail15normal_iteratorINS9_10device_ptrIyEEEENS9_16discard_iteratorINS9_11use_defaultEEEy11max_functorIyEyEEDaPvRmT3_T4_T5_mT6_P12ihipStream_tbENKUlT_T0_E_clISt17integral_constantIbLb1EESW_IbLb0EEEEDaSS_ST_EUlSS_E_NS1_11comp_targetILNS1_3genE2ELNS1_11target_archE906ELNS1_3gpuE6ELNS1_3repE0EEENS1_30default_config_static_selectorELNS0_4arch9wavefront6targetE1EEEvT1_
	.globl	_ZN7rocprim17ROCPRIM_400000_NS6detail17trampoline_kernelINS0_14default_configENS1_20scan_config_selectorIyEEZZNS1_9scan_implILNS1_25lookback_scan_determinismE0ELb1ELb1ES3_N6thrust23THRUST_200600_302600_NS6detail15normal_iteratorINS9_10device_ptrIyEEEENS9_16discard_iteratorINS9_11use_defaultEEEy11max_functorIyEyEEDaPvRmT3_T4_T5_mT6_P12ihipStream_tbENKUlT_T0_E_clISt17integral_constantIbLb1EESW_IbLb0EEEEDaSS_ST_EUlSS_E_NS1_11comp_targetILNS1_3genE2ELNS1_11target_archE906ELNS1_3gpuE6ELNS1_3repE0EEENS1_30default_config_static_selectorELNS0_4arch9wavefront6targetE1EEEvT1_
	.p2align	8
	.type	_ZN7rocprim17ROCPRIM_400000_NS6detail17trampoline_kernelINS0_14default_configENS1_20scan_config_selectorIyEEZZNS1_9scan_implILNS1_25lookback_scan_determinismE0ELb1ELb1ES3_N6thrust23THRUST_200600_302600_NS6detail15normal_iteratorINS9_10device_ptrIyEEEENS9_16discard_iteratorINS9_11use_defaultEEEy11max_functorIyEyEEDaPvRmT3_T4_T5_mT6_P12ihipStream_tbENKUlT_T0_E_clISt17integral_constantIbLb1EESW_IbLb0EEEEDaSS_ST_EUlSS_E_NS1_11comp_targetILNS1_3genE2ELNS1_11target_archE906ELNS1_3gpuE6ELNS1_3repE0EEENS1_30default_config_static_selectorELNS0_4arch9wavefront6targetE1EEEvT1_,@function
_ZN7rocprim17ROCPRIM_400000_NS6detail17trampoline_kernelINS0_14default_configENS1_20scan_config_selectorIyEEZZNS1_9scan_implILNS1_25lookback_scan_determinismE0ELb1ELb1ES3_N6thrust23THRUST_200600_302600_NS6detail15normal_iteratorINS9_10device_ptrIyEEEENS9_16discard_iteratorINS9_11use_defaultEEEy11max_functorIyEyEEDaPvRmT3_T4_T5_mT6_P12ihipStream_tbENKUlT_T0_E_clISt17integral_constantIbLb1EESW_IbLb0EEEEDaSS_ST_EUlSS_E_NS1_11comp_targetILNS1_3genE2ELNS1_11target_archE906ELNS1_3gpuE6ELNS1_3repE0EEENS1_30default_config_static_selectorELNS0_4arch9wavefront6targetE1EEEvT1_: ; @_ZN7rocprim17ROCPRIM_400000_NS6detail17trampoline_kernelINS0_14default_configENS1_20scan_config_selectorIyEEZZNS1_9scan_implILNS1_25lookback_scan_determinismE0ELb1ELb1ES3_N6thrust23THRUST_200600_302600_NS6detail15normal_iteratorINS9_10device_ptrIyEEEENS9_16discard_iteratorINS9_11use_defaultEEEy11max_functorIyEyEEDaPvRmT3_T4_T5_mT6_P12ihipStream_tbENKUlT_T0_E_clISt17integral_constantIbLb1EESW_IbLb0EEEEDaSS_ST_EUlSS_E_NS1_11comp_targetILNS1_3genE2ELNS1_11target_archE906ELNS1_3gpuE6ELNS1_3repE0EEENS1_30default_config_static_selectorELNS0_4arch9wavefront6targetE1EEEvT1_
; %bb.0:
	.section	.rodata,"a",@progbits
	.p2align	6, 0x0
	.amdhsa_kernel _ZN7rocprim17ROCPRIM_400000_NS6detail17trampoline_kernelINS0_14default_configENS1_20scan_config_selectorIyEEZZNS1_9scan_implILNS1_25lookback_scan_determinismE0ELb1ELb1ES3_N6thrust23THRUST_200600_302600_NS6detail15normal_iteratorINS9_10device_ptrIyEEEENS9_16discard_iteratorINS9_11use_defaultEEEy11max_functorIyEyEEDaPvRmT3_T4_T5_mT6_P12ihipStream_tbENKUlT_T0_E_clISt17integral_constantIbLb1EESW_IbLb0EEEEDaSS_ST_EUlSS_E_NS1_11comp_targetILNS1_3genE2ELNS1_11target_archE906ELNS1_3gpuE6ELNS1_3repE0EEENS1_30default_config_static_selectorELNS0_4arch9wavefront6targetE1EEEvT1_
		.amdhsa_group_segment_fixed_size 0
		.amdhsa_private_segment_fixed_size 0
		.amdhsa_kernarg_size 112
		.amdhsa_user_sgpr_count 6
		.amdhsa_user_sgpr_private_segment_buffer 1
		.amdhsa_user_sgpr_dispatch_ptr 0
		.amdhsa_user_sgpr_queue_ptr 0
		.amdhsa_user_sgpr_kernarg_segment_ptr 1
		.amdhsa_user_sgpr_dispatch_id 0
		.amdhsa_user_sgpr_flat_scratch_init 0
		.amdhsa_user_sgpr_kernarg_preload_length 0
		.amdhsa_user_sgpr_kernarg_preload_offset 0
		.amdhsa_user_sgpr_private_segment_size 0
		.amdhsa_uses_dynamic_stack 0
		.amdhsa_system_sgpr_private_segment_wavefront_offset 0
		.amdhsa_system_sgpr_workgroup_id_x 1
		.amdhsa_system_sgpr_workgroup_id_y 0
		.amdhsa_system_sgpr_workgroup_id_z 0
		.amdhsa_system_sgpr_workgroup_info 0
		.amdhsa_system_vgpr_workitem_id 0
		.amdhsa_next_free_vgpr 1
		.amdhsa_next_free_sgpr 0
		.amdhsa_accum_offset 4
		.amdhsa_reserve_vcc 0
		.amdhsa_reserve_flat_scratch 0
		.amdhsa_float_round_mode_32 0
		.amdhsa_float_round_mode_16_64 0
		.amdhsa_float_denorm_mode_32 3
		.amdhsa_float_denorm_mode_16_64 3
		.amdhsa_dx10_clamp 1
		.amdhsa_ieee_mode 1
		.amdhsa_fp16_overflow 0
		.amdhsa_tg_split 0
		.amdhsa_exception_fp_ieee_invalid_op 0
		.amdhsa_exception_fp_denorm_src 0
		.amdhsa_exception_fp_ieee_div_zero 0
		.amdhsa_exception_fp_ieee_overflow 0
		.amdhsa_exception_fp_ieee_underflow 0
		.amdhsa_exception_fp_ieee_inexact 0
		.amdhsa_exception_int_div_zero 0
	.end_amdhsa_kernel
	.section	.text._ZN7rocprim17ROCPRIM_400000_NS6detail17trampoline_kernelINS0_14default_configENS1_20scan_config_selectorIyEEZZNS1_9scan_implILNS1_25lookback_scan_determinismE0ELb1ELb1ES3_N6thrust23THRUST_200600_302600_NS6detail15normal_iteratorINS9_10device_ptrIyEEEENS9_16discard_iteratorINS9_11use_defaultEEEy11max_functorIyEyEEDaPvRmT3_T4_T5_mT6_P12ihipStream_tbENKUlT_T0_E_clISt17integral_constantIbLb1EESW_IbLb0EEEEDaSS_ST_EUlSS_E_NS1_11comp_targetILNS1_3genE2ELNS1_11target_archE906ELNS1_3gpuE6ELNS1_3repE0EEENS1_30default_config_static_selectorELNS0_4arch9wavefront6targetE1EEEvT1_,"axG",@progbits,_ZN7rocprim17ROCPRIM_400000_NS6detail17trampoline_kernelINS0_14default_configENS1_20scan_config_selectorIyEEZZNS1_9scan_implILNS1_25lookback_scan_determinismE0ELb1ELb1ES3_N6thrust23THRUST_200600_302600_NS6detail15normal_iteratorINS9_10device_ptrIyEEEENS9_16discard_iteratorINS9_11use_defaultEEEy11max_functorIyEyEEDaPvRmT3_T4_T5_mT6_P12ihipStream_tbENKUlT_T0_E_clISt17integral_constantIbLb1EESW_IbLb0EEEEDaSS_ST_EUlSS_E_NS1_11comp_targetILNS1_3genE2ELNS1_11target_archE906ELNS1_3gpuE6ELNS1_3repE0EEENS1_30default_config_static_selectorELNS0_4arch9wavefront6targetE1EEEvT1_,comdat
.Lfunc_end3390:
	.size	_ZN7rocprim17ROCPRIM_400000_NS6detail17trampoline_kernelINS0_14default_configENS1_20scan_config_selectorIyEEZZNS1_9scan_implILNS1_25lookback_scan_determinismE0ELb1ELb1ES3_N6thrust23THRUST_200600_302600_NS6detail15normal_iteratorINS9_10device_ptrIyEEEENS9_16discard_iteratorINS9_11use_defaultEEEy11max_functorIyEyEEDaPvRmT3_T4_T5_mT6_P12ihipStream_tbENKUlT_T0_E_clISt17integral_constantIbLb1EESW_IbLb0EEEEDaSS_ST_EUlSS_E_NS1_11comp_targetILNS1_3genE2ELNS1_11target_archE906ELNS1_3gpuE6ELNS1_3repE0EEENS1_30default_config_static_selectorELNS0_4arch9wavefront6targetE1EEEvT1_, .Lfunc_end3390-_ZN7rocprim17ROCPRIM_400000_NS6detail17trampoline_kernelINS0_14default_configENS1_20scan_config_selectorIyEEZZNS1_9scan_implILNS1_25lookback_scan_determinismE0ELb1ELb1ES3_N6thrust23THRUST_200600_302600_NS6detail15normal_iteratorINS9_10device_ptrIyEEEENS9_16discard_iteratorINS9_11use_defaultEEEy11max_functorIyEyEEDaPvRmT3_T4_T5_mT6_P12ihipStream_tbENKUlT_T0_E_clISt17integral_constantIbLb1EESW_IbLb0EEEEDaSS_ST_EUlSS_E_NS1_11comp_targetILNS1_3genE2ELNS1_11target_archE906ELNS1_3gpuE6ELNS1_3repE0EEENS1_30default_config_static_selectorELNS0_4arch9wavefront6targetE1EEEvT1_
                                        ; -- End function
	.section	.AMDGPU.csdata,"",@progbits
; Kernel info:
; codeLenInByte = 0
; NumSgprs: 4
; NumVgprs: 0
; NumAgprs: 0
; TotalNumVgprs: 0
; ScratchSize: 0
; MemoryBound: 0
; FloatMode: 240
; IeeeMode: 1
; LDSByteSize: 0 bytes/workgroup (compile time only)
; SGPRBlocks: 0
; VGPRBlocks: 0
; NumSGPRsForWavesPerEU: 4
; NumVGPRsForWavesPerEU: 1
; AccumOffset: 4
; Occupancy: 8
; WaveLimiterHint : 0
; COMPUTE_PGM_RSRC2:SCRATCH_EN: 0
; COMPUTE_PGM_RSRC2:USER_SGPR: 6
; COMPUTE_PGM_RSRC2:TRAP_HANDLER: 0
; COMPUTE_PGM_RSRC2:TGID_X_EN: 1
; COMPUTE_PGM_RSRC2:TGID_Y_EN: 0
; COMPUTE_PGM_RSRC2:TGID_Z_EN: 0
; COMPUTE_PGM_RSRC2:TIDIG_COMP_CNT: 0
; COMPUTE_PGM_RSRC3_GFX90A:ACCUM_OFFSET: 0
; COMPUTE_PGM_RSRC3_GFX90A:TG_SPLIT: 0
	.section	.text._ZN7rocprim17ROCPRIM_400000_NS6detail17trampoline_kernelINS0_14default_configENS1_20scan_config_selectorIyEEZZNS1_9scan_implILNS1_25lookback_scan_determinismE0ELb1ELb1ES3_N6thrust23THRUST_200600_302600_NS6detail15normal_iteratorINS9_10device_ptrIyEEEENS9_16discard_iteratorINS9_11use_defaultEEEy11max_functorIyEyEEDaPvRmT3_T4_T5_mT6_P12ihipStream_tbENKUlT_T0_E_clISt17integral_constantIbLb1EESW_IbLb0EEEEDaSS_ST_EUlSS_E_NS1_11comp_targetILNS1_3genE10ELNS1_11target_archE1201ELNS1_3gpuE5ELNS1_3repE0EEENS1_30default_config_static_selectorELNS0_4arch9wavefront6targetE1EEEvT1_,"axG",@progbits,_ZN7rocprim17ROCPRIM_400000_NS6detail17trampoline_kernelINS0_14default_configENS1_20scan_config_selectorIyEEZZNS1_9scan_implILNS1_25lookback_scan_determinismE0ELb1ELb1ES3_N6thrust23THRUST_200600_302600_NS6detail15normal_iteratorINS9_10device_ptrIyEEEENS9_16discard_iteratorINS9_11use_defaultEEEy11max_functorIyEyEEDaPvRmT3_T4_T5_mT6_P12ihipStream_tbENKUlT_T0_E_clISt17integral_constantIbLb1EESW_IbLb0EEEEDaSS_ST_EUlSS_E_NS1_11comp_targetILNS1_3genE10ELNS1_11target_archE1201ELNS1_3gpuE5ELNS1_3repE0EEENS1_30default_config_static_selectorELNS0_4arch9wavefront6targetE1EEEvT1_,comdat
	.protected	_ZN7rocprim17ROCPRIM_400000_NS6detail17trampoline_kernelINS0_14default_configENS1_20scan_config_selectorIyEEZZNS1_9scan_implILNS1_25lookback_scan_determinismE0ELb1ELb1ES3_N6thrust23THRUST_200600_302600_NS6detail15normal_iteratorINS9_10device_ptrIyEEEENS9_16discard_iteratorINS9_11use_defaultEEEy11max_functorIyEyEEDaPvRmT3_T4_T5_mT6_P12ihipStream_tbENKUlT_T0_E_clISt17integral_constantIbLb1EESW_IbLb0EEEEDaSS_ST_EUlSS_E_NS1_11comp_targetILNS1_3genE10ELNS1_11target_archE1201ELNS1_3gpuE5ELNS1_3repE0EEENS1_30default_config_static_selectorELNS0_4arch9wavefront6targetE1EEEvT1_ ; -- Begin function _ZN7rocprim17ROCPRIM_400000_NS6detail17trampoline_kernelINS0_14default_configENS1_20scan_config_selectorIyEEZZNS1_9scan_implILNS1_25lookback_scan_determinismE0ELb1ELb1ES3_N6thrust23THRUST_200600_302600_NS6detail15normal_iteratorINS9_10device_ptrIyEEEENS9_16discard_iteratorINS9_11use_defaultEEEy11max_functorIyEyEEDaPvRmT3_T4_T5_mT6_P12ihipStream_tbENKUlT_T0_E_clISt17integral_constantIbLb1EESW_IbLb0EEEEDaSS_ST_EUlSS_E_NS1_11comp_targetILNS1_3genE10ELNS1_11target_archE1201ELNS1_3gpuE5ELNS1_3repE0EEENS1_30default_config_static_selectorELNS0_4arch9wavefront6targetE1EEEvT1_
	.globl	_ZN7rocprim17ROCPRIM_400000_NS6detail17trampoline_kernelINS0_14default_configENS1_20scan_config_selectorIyEEZZNS1_9scan_implILNS1_25lookback_scan_determinismE0ELb1ELb1ES3_N6thrust23THRUST_200600_302600_NS6detail15normal_iteratorINS9_10device_ptrIyEEEENS9_16discard_iteratorINS9_11use_defaultEEEy11max_functorIyEyEEDaPvRmT3_T4_T5_mT6_P12ihipStream_tbENKUlT_T0_E_clISt17integral_constantIbLb1EESW_IbLb0EEEEDaSS_ST_EUlSS_E_NS1_11comp_targetILNS1_3genE10ELNS1_11target_archE1201ELNS1_3gpuE5ELNS1_3repE0EEENS1_30default_config_static_selectorELNS0_4arch9wavefront6targetE1EEEvT1_
	.p2align	8
	.type	_ZN7rocprim17ROCPRIM_400000_NS6detail17trampoline_kernelINS0_14default_configENS1_20scan_config_selectorIyEEZZNS1_9scan_implILNS1_25lookback_scan_determinismE0ELb1ELb1ES3_N6thrust23THRUST_200600_302600_NS6detail15normal_iteratorINS9_10device_ptrIyEEEENS9_16discard_iteratorINS9_11use_defaultEEEy11max_functorIyEyEEDaPvRmT3_T4_T5_mT6_P12ihipStream_tbENKUlT_T0_E_clISt17integral_constantIbLb1EESW_IbLb0EEEEDaSS_ST_EUlSS_E_NS1_11comp_targetILNS1_3genE10ELNS1_11target_archE1201ELNS1_3gpuE5ELNS1_3repE0EEENS1_30default_config_static_selectorELNS0_4arch9wavefront6targetE1EEEvT1_,@function
_ZN7rocprim17ROCPRIM_400000_NS6detail17trampoline_kernelINS0_14default_configENS1_20scan_config_selectorIyEEZZNS1_9scan_implILNS1_25lookback_scan_determinismE0ELb1ELb1ES3_N6thrust23THRUST_200600_302600_NS6detail15normal_iteratorINS9_10device_ptrIyEEEENS9_16discard_iteratorINS9_11use_defaultEEEy11max_functorIyEyEEDaPvRmT3_T4_T5_mT6_P12ihipStream_tbENKUlT_T0_E_clISt17integral_constantIbLb1EESW_IbLb0EEEEDaSS_ST_EUlSS_E_NS1_11comp_targetILNS1_3genE10ELNS1_11target_archE1201ELNS1_3gpuE5ELNS1_3repE0EEENS1_30default_config_static_selectorELNS0_4arch9wavefront6targetE1EEEvT1_: ; @_ZN7rocprim17ROCPRIM_400000_NS6detail17trampoline_kernelINS0_14default_configENS1_20scan_config_selectorIyEEZZNS1_9scan_implILNS1_25lookback_scan_determinismE0ELb1ELb1ES3_N6thrust23THRUST_200600_302600_NS6detail15normal_iteratorINS9_10device_ptrIyEEEENS9_16discard_iteratorINS9_11use_defaultEEEy11max_functorIyEyEEDaPvRmT3_T4_T5_mT6_P12ihipStream_tbENKUlT_T0_E_clISt17integral_constantIbLb1EESW_IbLb0EEEEDaSS_ST_EUlSS_E_NS1_11comp_targetILNS1_3genE10ELNS1_11target_archE1201ELNS1_3gpuE5ELNS1_3repE0EEENS1_30default_config_static_selectorELNS0_4arch9wavefront6targetE1EEEvT1_
; %bb.0:
	.section	.rodata,"a",@progbits
	.p2align	6, 0x0
	.amdhsa_kernel _ZN7rocprim17ROCPRIM_400000_NS6detail17trampoline_kernelINS0_14default_configENS1_20scan_config_selectorIyEEZZNS1_9scan_implILNS1_25lookback_scan_determinismE0ELb1ELb1ES3_N6thrust23THRUST_200600_302600_NS6detail15normal_iteratorINS9_10device_ptrIyEEEENS9_16discard_iteratorINS9_11use_defaultEEEy11max_functorIyEyEEDaPvRmT3_T4_T5_mT6_P12ihipStream_tbENKUlT_T0_E_clISt17integral_constantIbLb1EESW_IbLb0EEEEDaSS_ST_EUlSS_E_NS1_11comp_targetILNS1_3genE10ELNS1_11target_archE1201ELNS1_3gpuE5ELNS1_3repE0EEENS1_30default_config_static_selectorELNS0_4arch9wavefront6targetE1EEEvT1_
		.amdhsa_group_segment_fixed_size 0
		.amdhsa_private_segment_fixed_size 0
		.amdhsa_kernarg_size 112
		.amdhsa_user_sgpr_count 6
		.amdhsa_user_sgpr_private_segment_buffer 1
		.amdhsa_user_sgpr_dispatch_ptr 0
		.amdhsa_user_sgpr_queue_ptr 0
		.amdhsa_user_sgpr_kernarg_segment_ptr 1
		.amdhsa_user_sgpr_dispatch_id 0
		.amdhsa_user_sgpr_flat_scratch_init 0
		.amdhsa_user_sgpr_kernarg_preload_length 0
		.amdhsa_user_sgpr_kernarg_preload_offset 0
		.amdhsa_user_sgpr_private_segment_size 0
		.amdhsa_uses_dynamic_stack 0
		.amdhsa_system_sgpr_private_segment_wavefront_offset 0
		.amdhsa_system_sgpr_workgroup_id_x 1
		.amdhsa_system_sgpr_workgroup_id_y 0
		.amdhsa_system_sgpr_workgroup_id_z 0
		.amdhsa_system_sgpr_workgroup_info 0
		.amdhsa_system_vgpr_workitem_id 0
		.amdhsa_next_free_vgpr 1
		.amdhsa_next_free_sgpr 0
		.amdhsa_accum_offset 4
		.amdhsa_reserve_vcc 0
		.amdhsa_reserve_flat_scratch 0
		.amdhsa_float_round_mode_32 0
		.amdhsa_float_round_mode_16_64 0
		.amdhsa_float_denorm_mode_32 3
		.amdhsa_float_denorm_mode_16_64 3
		.amdhsa_dx10_clamp 1
		.amdhsa_ieee_mode 1
		.amdhsa_fp16_overflow 0
		.amdhsa_tg_split 0
		.amdhsa_exception_fp_ieee_invalid_op 0
		.amdhsa_exception_fp_denorm_src 0
		.amdhsa_exception_fp_ieee_div_zero 0
		.amdhsa_exception_fp_ieee_overflow 0
		.amdhsa_exception_fp_ieee_underflow 0
		.amdhsa_exception_fp_ieee_inexact 0
		.amdhsa_exception_int_div_zero 0
	.end_amdhsa_kernel
	.section	.text._ZN7rocprim17ROCPRIM_400000_NS6detail17trampoline_kernelINS0_14default_configENS1_20scan_config_selectorIyEEZZNS1_9scan_implILNS1_25lookback_scan_determinismE0ELb1ELb1ES3_N6thrust23THRUST_200600_302600_NS6detail15normal_iteratorINS9_10device_ptrIyEEEENS9_16discard_iteratorINS9_11use_defaultEEEy11max_functorIyEyEEDaPvRmT3_T4_T5_mT6_P12ihipStream_tbENKUlT_T0_E_clISt17integral_constantIbLb1EESW_IbLb0EEEEDaSS_ST_EUlSS_E_NS1_11comp_targetILNS1_3genE10ELNS1_11target_archE1201ELNS1_3gpuE5ELNS1_3repE0EEENS1_30default_config_static_selectorELNS0_4arch9wavefront6targetE1EEEvT1_,"axG",@progbits,_ZN7rocprim17ROCPRIM_400000_NS6detail17trampoline_kernelINS0_14default_configENS1_20scan_config_selectorIyEEZZNS1_9scan_implILNS1_25lookback_scan_determinismE0ELb1ELb1ES3_N6thrust23THRUST_200600_302600_NS6detail15normal_iteratorINS9_10device_ptrIyEEEENS9_16discard_iteratorINS9_11use_defaultEEEy11max_functorIyEyEEDaPvRmT3_T4_T5_mT6_P12ihipStream_tbENKUlT_T0_E_clISt17integral_constantIbLb1EESW_IbLb0EEEEDaSS_ST_EUlSS_E_NS1_11comp_targetILNS1_3genE10ELNS1_11target_archE1201ELNS1_3gpuE5ELNS1_3repE0EEENS1_30default_config_static_selectorELNS0_4arch9wavefront6targetE1EEEvT1_,comdat
.Lfunc_end3391:
	.size	_ZN7rocprim17ROCPRIM_400000_NS6detail17trampoline_kernelINS0_14default_configENS1_20scan_config_selectorIyEEZZNS1_9scan_implILNS1_25lookback_scan_determinismE0ELb1ELb1ES3_N6thrust23THRUST_200600_302600_NS6detail15normal_iteratorINS9_10device_ptrIyEEEENS9_16discard_iteratorINS9_11use_defaultEEEy11max_functorIyEyEEDaPvRmT3_T4_T5_mT6_P12ihipStream_tbENKUlT_T0_E_clISt17integral_constantIbLb1EESW_IbLb0EEEEDaSS_ST_EUlSS_E_NS1_11comp_targetILNS1_3genE10ELNS1_11target_archE1201ELNS1_3gpuE5ELNS1_3repE0EEENS1_30default_config_static_selectorELNS0_4arch9wavefront6targetE1EEEvT1_, .Lfunc_end3391-_ZN7rocprim17ROCPRIM_400000_NS6detail17trampoline_kernelINS0_14default_configENS1_20scan_config_selectorIyEEZZNS1_9scan_implILNS1_25lookback_scan_determinismE0ELb1ELb1ES3_N6thrust23THRUST_200600_302600_NS6detail15normal_iteratorINS9_10device_ptrIyEEEENS9_16discard_iteratorINS9_11use_defaultEEEy11max_functorIyEyEEDaPvRmT3_T4_T5_mT6_P12ihipStream_tbENKUlT_T0_E_clISt17integral_constantIbLb1EESW_IbLb0EEEEDaSS_ST_EUlSS_E_NS1_11comp_targetILNS1_3genE10ELNS1_11target_archE1201ELNS1_3gpuE5ELNS1_3repE0EEENS1_30default_config_static_selectorELNS0_4arch9wavefront6targetE1EEEvT1_
                                        ; -- End function
	.section	.AMDGPU.csdata,"",@progbits
; Kernel info:
; codeLenInByte = 0
; NumSgprs: 4
; NumVgprs: 0
; NumAgprs: 0
; TotalNumVgprs: 0
; ScratchSize: 0
; MemoryBound: 0
; FloatMode: 240
; IeeeMode: 1
; LDSByteSize: 0 bytes/workgroup (compile time only)
; SGPRBlocks: 0
; VGPRBlocks: 0
; NumSGPRsForWavesPerEU: 4
; NumVGPRsForWavesPerEU: 1
; AccumOffset: 4
; Occupancy: 8
; WaveLimiterHint : 0
; COMPUTE_PGM_RSRC2:SCRATCH_EN: 0
; COMPUTE_PGM_RSRC2:USER_SGPR: 6
; COMPUTE_PGM_RSRC2:TRAP_HANDLER: 0
; COMPUTE_PGM_RSRC2:TGID_X_EN: 1
; COMPUTE_PGM_RSRC2:TGID_Y_EN: 0
; COMPUTE_PGM_RSRC2:TGID_Z_EN: 0
; COMPUTE_PGM_RSRC2:TIDIG_COMP_CNT: 0
; COMPUTE_PGM_RSRC3_GFX90A:ACCUM_OFFSET: 0
; COMPUTE_PGM_RSRC3_GFX90A:TG_SPLIT: 0
	.section	.text._ZN7rocprim17ROCPRIM_400000_NS6detail17trampoline_kernelINS0_14default_configENS1_20scan_config_selectorIyEEZZNS1_9scan_implILNS1_25lookback_scan_determinismE0ELb1ELb1ES3_N6thrust23THRUST_200600_302600_NS6detail15normal_iteratorINS9_10device_ptrIyEEEENS9_16discard_iteratorINS9_11use_defaultEEEy11max_functorIyEyEEDaPvRmT3_T4_T5_mT6_P12ihipStream_tbENKUlT_T0_E_clISt17integral_constantIbLb1EESW_IbLb0EEEEDaSS_ST_EUlSS_E_NS1_11comp_targetILNS1_3genE10ELNS1_11target_archE1200ELNS1_3gpuE4ELNS1_3repE0EEENS1_30default_config_static_selectorELNS0_4arch9wavefront6targetE1EEEvT1_,"axG",@progbits,_ZN7rocprim17ROCPRIM_400000_NS6detail17trampoline_kernelINS0_14default_configENS1_20scan_config_selectorIyEEZZNS1_9scan_implILNS1_25lookback_scan_determinismE0ELb1ELb1ES3_N6thrust23THRUST_200600_302600_NS6detail15normal_iteratorINS9_10device_ptrIyEEEENS9_16discard_iteratorINS9_11use_defaultEEEy11max_functorIyEyEEDaPvRmT3_T4_T5_mT6_P12ihipStream_tbENKUlT_T0_E_clISt17integral_constantIbLb1EESW_IbLb0EEEEDaSS_ST_EUlSS_E_NS1_11comp_targetILNS1_3genE10ELNS1_11target_archE1200ELNS1_3gpuE4ELNS1_3repE0EEENS1_30default_config_static_selectorELNS0_4arch9wavefront6targetE1EEEvT1_,comdat
	.protected	_ZN7rocprim17ROCPRIM_400000_NS6detail17trampoline_kernelINS0_14default_configENS1_20scan_config_selectorIyEEZZNS1_9scan_implILNS1_25lookback_scan_determinismE0ELb1ELb1ES3_N6thrust23THRUST_200600_302600_NS6detail15normal_iteratorINS9_10device_ptrIyEEEENS9_16discard_iteratorINS9_11use_defaultEEEy11max_functorIyEyEEDaPvRmT3_T4_T5_mT6_P12ihipStream_tbENKUlT_T0_E_clISt17integral_constantIbLb1EESW_IbLb0EEEEDaSS_ST_EUlSS_E_NS1_11comp_targetILNS1_3genE10ELNS1_11target_archE1200ELNS1_3gpuE4ELNS1_3repE0EEENS1_30default_config_static_selectorELNS0_4arch9wavefront6targetE1EEEvT1_ ; -- Begin function _ZN7rocprim17ROCPRIM_400000_NS6detail17trampoline_kernelINS0_14default_configENS1_20scan_config_selectorIyEEZZNS1_9scan_implILNS1_25lookback_scan_determinismE0ELb1ELb1ES3_N6thrust23THRUST_200600_302600_NS6detail15normal_iteratorINS9_10device_ptrIyEEEENS9_16discard_iteratorINS9_11use_defaultEEEy11max_functorIyEyEEDaPvRmT3_T4_T5_mT6_P12ihipStream_tbENKUlT_T0_E_clISt17integral_constantIbLb1EESW_IbLb0EEEEDaSS_ST_EUlSS_E_NS1_11comp_targetILNS1_3genE10ELNS1_11target_archE1200ELNS1_3gpuE4ELNS1_3repE0EEENS1_30default_config_static_selectorELNS0_4arch9wavefront6targetE1EEEvT1_
	.globl	_ZN7rocprim17ROCPRIM_400000_NS6detail17trampoline_kernelINS0_14default_configENS1_20scan_config_selectorIyEEZZNS1_9scan_implILNS1_25lookback_scan_determinismE0ELb1ELb1ES3_N6thrust23THRUST_200600_302600_NS6detail15normal_iteratorINS9_10device_ptrIyEEEENS9_16discard_iteratorINS9_11use_defaultEEEy11max_functorIyEyEEDaPvRmT3_T4_T5_mT6_P12ihipStream_tbENKUlT_T0_E_clISt17integral_constantIbLb1EESW_IbLb0EEEEDaSS_ST_EUlSS_E_NS1_11comp_targetILNS1_3genE10ELNS1_11target_archE1200ELNS1_3gpuE4ELNS1_3repE0EEENS1_30default_config_static_selectorELNS0_4arch9wavefront6targetE1EEEvT1_
	.p2align	8
	.type	_ZN7rocprim17ROCPRIM_400000_NS6detail17trampoline_kernelINS0_14default_configENS1_20scan_config_selectorIyEEZZNS1_9scan_implILNS1_25lookback_scan_determinismE0ELb1ELb1ES3_N6thrust23THRUST_200600_302600_NS6detail15normal_iteratorINS9_10device_ptrIyEEEENS9_16discard_iteratorINS9_11use_defaultEEEy11max_functorIyEyEEDaPvRmT3_T4_T5_mT6_P12ihipStream_tbENKUlT_T0_E_clISt17integral_constantIbLb1EESW_IbLb0EEEEDaSS_ST_EUlSS_E_NS1_11comp_targetILNS1_3genE10ELNS1_11target_archE1200ELNS1_3gpuE4ELNS1_3repE0EEENS1_30default_config_static_selectorELNS0_4arch9wavefront6targetE1EEEvT1_,@function
_ZN7rocprim17ROCPRIM_400000_NS6detail17trampoline_kernelINS0_14default_configENS1_20scan_config_selectorIyEEZZNS1_9scan_implILNS1_25lookback_scan_determinismE0ELb1ELb1ES3_N6thrust23THRUST_200600_302600_NS6detail15normal_iteratorINS9_10device_ptrIyEEEENS9_16discard_iteratorINS9_11use_defaultEEEy11max_functorIyEyEEDaPvRmT3_T4_T5_mT6_P12ihipStream_tbENKUlT_T0_E_clISt17integral_constantIbLb1EESW_IbLb0EEEEDaSS_ST_EUlSS_E_NS1_11comp_targetILNS1_3genE10ELNS1_11target_archE1200ELNS1_3gpuE4ELNS1_3repE0EEENS1_30default_config_static_selectorELNS0_4arch9wavefront6targetE1EEEvT1_: ; @_ZN7rocprim17ROCPRIM_400000_NS6detail17trampoline_kernelINS0_14default_configENS1_20scan_config_selectorIyEEZZNS1_9scan_implILNS1_25lookback_scan_determinismE0ELb1ELb1ES3_N6thrust23THRUST_200600_302600_NS6detail15normal_iteratorINS9_10device_ptrIyEEEENS9_16discard_iteratorINS9_11use_defaultEEEy11max_functorIyEyEEDaPvRmT3_T4_T5_mT6_P12ihipStream_tbENKUlT_T0_E_clISt17integral_constantIbLb1EESW_IbLb0EEEEDaSS_ST_EUlSS_E_NS1_11comp_targetILNS1_3genE10ELNS1_11target_archE1200ELNS1_3gpuE4ELNS1_3repE0EEENS1_30default_config_static_selectorELNS0_4arch9wavefront6targetE1EEEvT1_
; %bb.0:
	.section	.rodata,"a",@progbits
	.p2align	6, 0x0
	.amdhsa_kernel _ZN7rocprim17ROCPRIM_400000_NS6detail17trampoline_kernelINS0_14default_configENS1_20scan_config_selectorIyEEZZNS1_9scan_implILNS1_25lookback_scan_determinismE0ELb1ELb1ES3_N6thrust23THRUST_200600_302600_NS6detail15normal_iteratorINS9_10device_ptrIyEEEENS9_16discard_iteratorINS9_11use_defaultEEEy11max_functorIyEyEEDaPvRmT3_T4_T5_mT6_P12ihipStream_tbENKUlT_T0_E_clISt17integral_constantIbLb1EESW_IbLb0EEEEDaSS_ST_EUlSS_E_NS1_11comp_targetILNS1_3genE10ELNS1_11target_archE1200ELNS1_3gpuE4ELNS1_3repE0EEENS1_30default_config_static_selectorELNS0_4arch9wavefront6targetE1EEEvT1_
		.amdhsa_group_segment_fixed_size 0
		.amdhsa_private_segment_fixed_size 0
		.amdhsa_kernarg_size 112
		.amdhsa_user_sgpr_count 6
		.amdhsa_user_sgpr_private_segment_buffer 1
		.amdhsa_user_sgpr_dispatch_ptr 0
		.amdhsa_user_sgpr_queue_ptr 0
		.amdhsa_user_sgpr_kernarg_segment_ptr 1
		.amdhsa_user_sgpr_dispatch_id 0
		.amdhsa_user_sgpr_flat_scratch_init 0
		.amdhsa_user_sgpr_kernarg_preload_length 0
		.amdhsa_user_sgpr_kernarg_preload_offset 0
		.amdhsa_user_sgpr_private_segment_size 0
		.amdhsa_uses_dynamic_stack 0
		.amdhsa_system_sgpr_private_segment_wavefront_offset 0
		.amdhsa_system_sgpr_workgroup_id_x 1
		.amdhsa_system_sgpr_workgroup_id_y 0
		.amdhsa_system_sgpr_workgroup_id_z 0
		.amdhsa_system_sgpr_workgroup_info 0
		.amdhsa_system_vgpr_workitem_id 0
		.amdhsa_next_free_vgpr 1
		.amdhsa_next_free_sgpr 0
		.amdhsa_accum_offset 4
		.amdhsa_reserve_vcc 0
		.amdhsa_reserve_flat_scratch 0
		.amdhsa_float_round_mode_32 0
		.amdhsa_float_round_mode_16_64 0
		.amdhsa_float_denorm_mode_32 3
		.amdhsa_float_denorm_mode_16_64 3
		.amdhsa_dx10_clamp 1
		.amdhsa_ieee_mode 1
		.amdhsa_fp16_overflow 0
		.amdhsa_tg_split 0
		.amdhsa_exception_fp_ieee_invalid_op 0
		.amdhsa_exception_fp_denorm_src 0
		.amdhsa_exception_fp_ieee_div_zero 0
		.amdhsa_exception_fp_ieee_overflow 0
		.amdhsa_exception_fp_ieee_underflow 0
		.amdhsa_exception_fp_ieee_inexact 0
		.amdhsa_exception_int_div_zero 0
	.end_amdhsa_kernel
	.section	.text._ZN7rocprim17ROCPRIM_400000_NS6detail17trampoline_kernelINS0_14default_configENS1_20scan_config_selectorIyEEZZNS1_9scan_implILNS1_25lookback_scan_determinismE0ELb1ELb1ES3_N6thrust23THRUST_200600_302600_NS6detail15normal_iteratorINS9_10device_ptrIyEEEENS9_16discard_iteratorINS9_11use_defaultEEEy11max_functorIyEyEEDaPvRmT3_T4_T5_mT6_P12ihipStream_tbENKUlT_T0_E_clISt17integral_constantIbLb1EESW_IbLb0EEEEDaSS_ST_EUlSS_E_NS1_11comp_targetILNS1_3genE10ELNS1_11target_archE1200ELNS1_3gpuE4ELNS1_3repE0EEENS1_30default_config_static_selectorELNS0_4arch9wavefront6targetE1EEEvT1_,"axG",@progbits,_ZN7rocprim17ROCPRIM_400000_NS6detail17trampoline_kernelINS0_14default_configENS1_20scan_config_selectorIyEEZZNS1_9scan_implILNS1_25lookback_scan_determinismE0ELb1ELb1ES3_N6thrust23THRUST_200600_302600_NS6detail15normal_iteratorINS9_10device_ptrIyEEEENS9_16discard_iteratorINS9_11use_defaultEEEy11max_functorIyEyEEDaPvRmT3_T4_T5_mT6_P12ihipStream_tbENKUlT_T0_E_clISt17integral_constantIbLb1EESW_IbLb0EEEEDaSS_ST_EUlSS_E_NS1_11comp_targetILNS1_3genE10ELNS1_11target_archE1200ELNS1_3gpuE4ELNS1_3repE0EEENS1_30default_config_static_selectorELNS0_4arch9wavefront6targetE1EEEvT1_,comdat
.Lfunc_end3392:
	.size	_ZN7rocprim17ROCPRIM_400000_NS6detail17trampoline_kernelINS0_14default_configENS1_20scan_config_selectorIyEEZZNS1_9scan_implILNS1_25lookback_scan_determinismE0ELb1ELb1ES3_N6thrust23THRUST_200600_302600_NS6detail15normal_iteratorINS9_10device_ptrIyEEEENS9_16discard_iteratorINS9_11use_defaultEEEy11max_functorIyEyEEDaPvRmT3_T4_T5_mT6_P12ihipStream_tbENKUlT_T0_E_clISt17integral_constantIbLb1EESW_IbLb0EEEEDaSS_ST_EUlSS_E_NS1_11comp_targetILNS1_3genE10ELNS1_11target_archE1200ELNS1_3gpuE4ELNS1_3repE0EEENS1_30default_config_static_selectorELNS0_4arch9wavefront6targetE1EEEvT1_, .Lfunc_end3392-_ZN7rocprim17ROCPRIM_400000_NS6detail17trampoline_kernelINS0_14default_configENS1_20scan_config_selectorIyEEZZNS1_9scan_implILNS1_25lookback_scan_determinismE0ELb1ELb1ES3_N6thrust23THRUST_200600_302600_NS6detail15normal_iteratorINS9_10device_ptrIyEEEENS9_16discard_iteratorINS9_11use_defaultEEEy11max_functorIyEyEEDaPvRmT3_T4_T5_mT6_P12ihipStream_tbENKUlT_T0_E_clISt17integral_constantIbLb1EESW_IbLb0EEEEDaSS_ST_EUlSS_E_NS1_11comp_targetILNS1_3genE10ELNS1_11target_archE1200ELNS1_3gpuE4ELNS1_3repE0EEENS1_30default_config_static_selectorELNS0_4arch9wavefront6targetE1EEEvT1_
                                        ; -- End function
	.section	.AMDGPU.csdata,"",@progbits
; Kernel info:
; codeLenInByte = 0
; NumSgprs: 4
; NumVgprs: 0
; NumAgprs: 0
; TotalNumVgprs: 0
; ScratchSize: 0
; MemoryBound: 0
; FloatMode: 240
; IeeeMode: 1
; LDSByteSize: 0 bytes/workgroup (compile time only)
; SGPRBlocks: 0
; VGPRBlocks: 0
; NumSGPRsForWavesPerEU: 4
; NumVGPRsForWavesPerEU: 1
; AccumOffset: 4
; Occupancy: 8
; WaveLimiterHint : 0
; COMPUTE_PGM_RSRC2:SCRATCH_EN: 0
; COMPUTE_PGM_RSRC2:USER_SGPR: 6
; COMPUTE_PGM_RSRC2:TRAP_HANDLER: 0
; COMPUTE_PGM_RSRC2:TGID_X_EN: 1
; COMPUTE_PGM_RSRC2:TGID_Y_EN: 0
; COMPUTE_PGM_RSRC2:TGID_Z_EN: 0
; COMPUTE_PGM_RSRC2:TIDIG_COMP_CNT: 0
; COMPUTE_PGM_RSRC3_GFX90A:ACCUM_OFFSET: 0
; COMPUTE_PGM_RSRC3_GFX90A:TG_SPLIT: 0
	.section	.text._ZN7rocprim17ROCPRIM_400000_NS6detail17trampoline_kernelINS0_14default_configENS1_20scan_config_selectorIyEEZZNS1_9scan_implILNS1_25lookback_scan_determinismE0ELb1ELb1ES3_N6thrust23THRUST_200600_302600_NS6detail15normal_iteratorINS9_10device_ptrIyEEEENS9_16discard_iteratorINS9_11use_defaultEEEy11max_functorIyEyEEDaPvRmT3_T4_T5_mT6_P12ihipStream_tbENKUlT_T0_E_clISt17integral_constantIbLb1EESW_IbLb0EEEEDaSS_ST_EUlSS_E_NS1_11comp_targetILNS1_3genE9ELNS1_11target_archE1100ELNS1_3gpuE3ELNS1_3repE0EEENS1_30default_config_static_selectorELNS0_4arch9wavefront6targetE1EEEvT1_,"axG",@progbits,_ZN7rocprim17ROCPRIM_400000_NS6detail17trampoline_kernelINS0_14default_configENS1_20scan_config_selectorIyEEZZNS1_9scan_implILNS1_25lookback_scan_determinismE0ELb1ELb1ES3_N6thrust23THRUST_200600_302600_NS6detail15normal_iteratorINS9_10device_ptrIyEEEENS9_16discard_iteratorINS9_11use_defaultEEEy11max_functorIyEyEEDaPvRmT3_T4_T5_mT6_P12ihipStream_tbENKUlT_T0_E_clISt17integral_constantIbLb1EESW_IbLb0EEEEDaSS_ST_EUlSS_E_NS1_11comp_targetILNS1_3genE9ELNS1_11target_archE1100ELNS1_3gpuE3ELNS1_3repE0EEENS1_30default_config_static_selectorELNS0_4arch9wavefront6targetE1EEEvT1_,comdat
	.protected	_ZN7rocprim17ROCPRIM_400000_NS6detail17trampoline_kernelINS0_14default_configENS1_20scan_config_selectorIyEEZZNS1_9scan_implILNS1_25lookback_scan_determinismE0ELb1ELb1ES3_N6thrust23THRUST_200600_302600_NS6detail15normal_iteratorINS9_10device_ptrIyEEEENS9_16discard_iteratorINS9_11use_defaultEEEy11max_functorIyEyEEDaPvRmT3_T4_T5_mT6_P12ihipStream_tbENKUlT_T0_E_clISt17integral_constantIbLb1EESW_IbLb0EEEEDaSS_ST_EUlSS_E_NS1_11comp_targetILNS1_3genE9ELNS1_11target_archE1100ELNS1_3gpuE3ELNS1_3repE0EEENS1_30default_config_static_selectorELNS0_4arch9wavefront6targetE1EEEvT1_ ; -- Begin function _ZN7rocprim17ROCPRIM_400000_NS6detail17trampoline_kernelINS0_14default_configENS1_20scan_config_selectorIyEEZZNS1_9scan_implILNS1_25lookback_scan_determinismE0ELb1ELb1ES3_N6thrust23THRUST_200600_302600_NS6detail15normal_iteratorINS9_10device_ptrIyEEEENS9_16discard_iteratorINS9_11use_defaultEEEy11max_functorIyEyEEDaPvRmT3_T4_T5_mT6_P12ihipStream_tbENKUlT_T0_E_clISt17integral_constantIbLb1EESW_IbLb0EEEEDaSS_ST_EUlSS_E_NS1_11comp_targetILNS1_3genE9ELNS1_11target_archE1100ELNS1_3gpuE3ELNS1_3repE0EEENS1_30default_config_static_selectorELNS0_4arch9wavefront6targetE1EEEvT1_
	.globl	_ZN7rocprim17ROCPRIM_400000_NS6detail17trampoline_kernelINS0_14default_configENS1_20scan_config_selectorIyEEZZNS1_9scan_implILNS1_25lookback_scan_determinismE0ELb1ELb1ES3_N6thrust23THRUST_200600_302600_NS6detail15normal_iteratorINS9_10device_ptrIyEEEENS9_16discard_iteratorINS9_11use_defaultEEEy11max_functorIyEyEEDaPvRmT3_T4_T5_mT6_P12ihipStream_tbENKUlT_T0_E_clISt17integral_constantIbLb1EESW_IbLb0EEEEDaSS_ST_EUlSS_E_NS1_11comp_targetILNS1_3genE9ELNS1_11target_archE1100ELNS1_3gpuE3ELNS1_3repE0EEENS1_30default_config_static_selectorELNS0_4arch9wavefront6targetE1EEEvT1_
	.p2align	8
	.type	_ZN7rocprim17ROCPRIM_400000_NS6detail17trampoline_kernelINS0_14default_configENS1_20scan_config_selectorIyEEZZNS1_9scan_implILNS1_25lookback_scan_determinismE0ELb1ELb1ES3_N6thrust23THRUST_200600_302600_NS6detail15normal_iteratorINS9_10device_ptrIyEEEENS9_16discard_iteratorINS9_11use_defaultEEEy11max_functorIyEyEEDaPvRmT3_T4_T5_mT6_P12ihipStream_tbENKUlT_T0_E_clISt17integral_constantIbLb1EESW_IbLb0EEEEDaSS_ST_EUlSS_E_NS1_11comp_targetILNS1_3genE9ELNS1_11target_archE1100ELNS1_3gpuE3ELNS1_3repE0EEENS1_30default_config_static_selectorELNS0_4arch9wavefront6targetE1EEEvT1_,@function
_ZN7rocprim17ROCPRIM_400000_NS6detail17trampoline_kernelINS0_14default_configENS1_20scan_config_selectorIyEEZZNS1_9scan_implILNS1_25lookback_scan_determinismE0ELb1ELb1ES3_N6thrust23THRUST_200600_302600_NS6detail15normal_iteratorINS9_10device_ptrIyEEEENS9_16discard_iteratorINS9_11use_defaultEEEy11max_functorIyEyEEDaPvRmT3_T4_T5_mT6_P12ihipStream_tbENKUlT_T0_E_clISt17integral_constantIbLb1EESW_IbLb0EEEEDaSS_ST_EUlSS_E_NS1_11comp_targetILNS1_3genE9ELNS1_11target_archE1100ELNS1_3gpuE3ELNS1_3repE0EEENS1_30default_config_static_selectorELNS0_4arch9wavefront6targetE1EEEvT1_: ; @_ZN7rocprim17ROCPRIM_400000_NS6detail17trampoline_kernelINS0_14default_configENS1_20scan_config_selectorIyEEZZNS1_9scan_implILNS1_25lookback_scan_determinismE0ELb1ELb1ES3_N6thrust23THRUST_200600_302600_NS6detail15normal_iteratorINS9_10device_ptrIyEEEENS9_16discard_iteratorINS9_11use_defaultEEEy11max_functorIyEyEEDaPvRmT3_T4_T5_mT6_P12ihipStream_tbENKUlT_T0_E_clISt17integral_constantIbLb1EESW_IbLb0EEEEDaSS_ST_EUlSS_E_NS1_11comp_targetILNS1_3genE9ELNS1_11target_archE1100ELNS1_3gpuE3ELNS1_3repE0EEENS1_30default_config_static_selectorELNS0_4arch9wavefront6targetE1EEEvT1_
; %bb.0:
	.section	.rodata,"a",@progbits
	.p2align	6, 0x0
	.amdhsa_kernel _ZN7rocprim17ROCPRIM_400000_NS6detail17trampoline_kernelINS0_14default_configENS1_20scan_config_selectorIyEEZZNS1_9scan_implILNS1_25lookback_scan_determinismE0ELb1ELb1ES3_N6thrust23THRUST_200600_302600_NS6detail15normal_iteratorINS9_10device_ptrIyEEEENS9_16discard_iteratorINS9_11use_defaultEEEy11max_functorIyEyEEDaPvRmT3_T4_T5_mT6_P12ihipStream_tbENKUlT_T0_E_clISt17integral_constantIbLb1EESW_IbLb0EEEEDaSS_ST_EUlSS_E_NS1_11comp_targetILNS1_3genE9ELNS1_11target_archE1100ELNS1_3gpuE3ELNS1_3repE0EEENS1_30default_config_static_selectorELNS0_4arch9wavefront6targetE1EEEvT1_
		.amdhsa_group_segment_fixed_size 0
		.amdhsa_private_segment_fixed_size 0
		.amdhsa_kernarg_size 112
		.amdhsa_user_sgpr_count 6
		.amdhsa_user_sgpr_private_segment_buffer 1
		.amdhsa_user_sgpr_dispatch_ptr 0
		.amdhsa_user_sgpr_queue_ptr 0
		.amdhsa_user_sgpr_kernarg_segment_ptr 1
		.amdhsa_user_sgpr_dispatch_id 0
		.amdhsa_user_sgpr_flat_scratch_init 0
		.amdhsa_user_sgpr_kernarg_preload_length 0
		.amdhsa_user_sgpr_kernarg_preload_offset 0
		.amdhsa_user_sgpr_private_segment_size 0
		.amdhsa_uses_dynamic_stack 0
		.amdhsa_system_sgpr_private_segment_wavefront_offset 0
		.amdhsa_system_sgpr_workgroup_id_x 1
		.amdhsa_system_sgpr_workgroup_id_y 0
		.amdhsa_system_sgpr_workgroup_id_z 0
		.amdhsa_system_sgpr_workgroup_info 0
		.amdhsa_system_vgpr_workitem_id 0
		.amdhsa_next_free_vgpr 1
		.amdhsa_next_free_sgpr 0
		.amdhsa_accum_offset 4
		.amdhsa_reserve_vcc 0
		.amdhsa_reserve_flat_scratch 0
		.amdhsa_float_round_mode_32 0
		.amdhsa_float_round_mode_16_64 0
		.amdhsa_float_denorm_mode_32 3
		.amdhsa_float_denorm_mode_16_64 3
		.amdhsa_dx10_clamp 1
		.amdhsa_ieee_mode 1
		.amdhsa_fp16_overflow 0
		.amdhsa_tg_split 0
		.amdhsa_exception_fp_ieee_invalid_op 0
		.amdhsa_exception_fp_denorm_src 0
		.amdhsa_exception_fp_ieee_div_zero 0
		.amdhsa_exception_fp_ieee_overflow 0
		.amdhsa_exception_fp_ieee_underflow 0
		.amdhsa_exception_fp_ieee_inexact 0
		.amdhsa_exception_int_div_zero 0
	.end_amdhsa_kernel
	.section	.text._ZN7rocprim17ROCPRIM_400000_NS6detail17trampoline_kernelINS0_14default_configENS1_20scan_config_selectorIyEEZZNS1_9scan_implILNS1_25lookback_scan_determinismE0ELb1ELb1ES3_N6thrust23THRUST_200600_302600_NS6detail15normal_iteratorINS9_10device_ptrIyEEEENS9_16discard_iteratorINS9_11use_defaultEEEy11max_functorIyEyEEDaPvRmT3_T4_T5_mT6_P12ihipStream_tbENKUlT_T0_E_clISt17integral_constantIbLb1EESW_IbLb0EEEEDaSS_ST_EUlSS_E_NS1_11comp_targetILNS1_3genE9ELNS1_11target_archE1100ELNS1_3gpuE3ELNS1_3repE0EEENS1_30default_config_static_selectorELNS0_4arch9wavefront6targetE1EEEvT1_,"axG",@progbits,_ZN7rocprim17ROCPRIM_400000_NS6detail17trampoline_kernelINS0_14default_configENS1_20scan_config_selectorIyEEZZNS1_9scan_implILNS1_25lookback_scan_determinismE0ELb1ELb1ES3_N6thrust23THRUST_200600_302600_NS6detail15normal_iteratorINS9_10device_ptrIyEEEENS9_16discard_iteratorINS9_11use_defaultEEEy11max_functorIyEyEEDaPvRmT3_T4_T5_mT6_P12ihipStream_tbENKUlT_T0_E_clISt17integral_constantIbLb1EESW_IbLb0EEEEDaSS_ST_EUlSS_E_NS1_11comp_targetILNS1_3genE9ELNS1_11target_archE1100ELNS1_3gpuE3ELNS1_3repE0EEENS1_30default_config_static_selectorELNS0_4arch9wavefront6targetE1EEEvT1_,comdat
.Lfunc_end3393:
	.size	_ZN7rocprim17ROCPRIM_400000_NS6detail17trampoline_kernelINS0_14default_configENS1_20scan_config_selectorIyEEZZNS1_9scan_implILNS1_25lookback_scan_determinismE0ELb1ELb1ES3_N6thrust23THRUST_200600_302600_NS6detail15normal_iteratorINS9_10device_ptrIyEEEENS9_16discard_iteratorINS9_11use_defaultEEEy11max_functorIyEyEEDaPvRmT3_T4_T5_mT6_P12ihipStream_tbENKUlT_T0_E_clISt17integral_constantIbLb1EESW_IbLb0EEEEDaSS_ST_EUlSS_E_NS1_11comp_targetILNS1_3genE9ELNS1_11target_archE1100ELNS1_3gpuE3ELNS1_3repE0EEENS1_30default_config_static_selectorELNS0_4arch9wavefront6targetE1EEEvT1_, .Lfunc_end3393-_ZN7rocprim17ROCPRIM_400000_NS6detail17trampoline_kernelINS0_14default_configENS1_20scan_config_selectorIyEEZZNS1_9scan_implILNS1_25lookback_scan_determinismE0ELb1ELb1ES3_N6thrust23THRUST_200600_302600_NS6detail15normal_iteratorINS9_10device_ptrIyEEEENS9_16discard_iteratorINS9_11use_defaultEEEy11max_functorIyEyEEDaPvRmT3_T4_T5_mT6_P12ihipStream_tbENKUlT_T0_E_clISt17integral_constantIbLb1EESW_IbLb0EEEEDaSS_ST_EUlSS_E_NS1_11comp_targetILNS1_3genE9ELNS1_11target_archE1100ELNS1_3gpuE3ELNS1_3repE0EEENS1_30default_config_static_selectorELNS0_4arch9wavefront6targetE1EEEvT1_
                                        ; -- End function
	.section	.AMDGPU.csdata,"",@progbits
; Kernel info:
; codeLenInByte = 0
; NumSgprs: 4
; NumVgprs: 0
; NumAgprs: 0
; TotalNumVgprs: 0
; ScratchSize: 0
; MemoryBound: 0
; FloatMode: 240
; IeeeMode: 1
; LDSByteSize: 0 bytes/workgroup (compile time only)
; SGPRBlocks: 0
; VGPRBlocks: 0
; NumSGPRsForWavesPerEU: 4
; NumVGPRsForWavesPerEU: 1
; AccumOffset: 4
; Occupancy: 8
; WaveLimiterHint : 0
; COMPUTE_PGM_RSRC2:SCRATCH_EN: 0
; COMPUTE_PGM_RSRC2:USER_SGPR: 6
; COMPUTE_PGM_RSRC2:TRAP_HANDLER: 0
; COMPUTE_PGM_RSRC2:TGID_X_EN: 1
; COMPUTE_PGM_RSRC2:TGID_Y_EN: 0
; COMPUTE_PGM_RSRC2:TGID_Z_EN: 0
; COMPUTE_PGM_RSRC2:TIDIG_COMP_CNT: 0
; COMPUTE_PGM_RSRC3_GFX90A:ACCUM_OFFSET: 0
; COMPUTE_PGM_RSRC3_GFX90A:TG_SPLIT: 0
	.section	.text._ZN7rocprim17ROCPRIM_400000_NS6detail17trampoline_kernelINS0_14default_configENS1_20scan_config_selectorIyEEZZNS1_9scan_implILNS1_25lookback_scan_determinismE0ELb1ELb1ES3_N6thrust23THRUST_200600_302600_NS6detail15normal_iteratorINS9_10device_ptrIyEEEENS9_16discard_iteratorINS9_11use_defaultEEEy11max_functorIyEyEEDaPvRmT3_T4_T5_mT6_P12ihipStream_tbENKUlT_T0_E_clISt17integral_constantIbLb1EESW_IbLb0EEEEDaSS_ST_EUlSS_E_NS1_11comp_targetILNS1_3genE8ELNS1_11target_archE1030ELNS1_3gpuE2ELNS1_3repE0EEENS1_30default_config_static_selectorELNS0_4arch9wavefront6targetE1EEEvT1_,"axG",@progbits,_ZN7rocprim17ROCPRIM_400000_NS6detail17trampoline_kernelINS0_14default_configENS1_20scan_config_selectorIyEEZZNS1_9scan_implILNS1_25lookback_scan_determinismE0ELb1ELb1ES3_N6thrust23THRUST_200600_302600_NS6detail15normal_iteratorINS9_10device_ptrIyEEEENS9_16discard_iteratorINS9_11use_defaultEEEy11max_functorIyEyEEDaPvRmT3_T4_T5_mT6_P12ihipStream_tbENKUlT_T0_E_clISt17integral_constantIbLb1EESW_IbLb0EEEEDaSS_ST_EUlSS_E_NS1_11comp_targetILNS1_3genE8ELNS1_11target_archE1030ELNS1_3gpuE2ELNS1_3repE0EEENS1_30default_config_static_selectorELNS0_4arch9wavefront6targetE1EEEvT1_,comdat
	.protected	_ZN7rocprim17ROCPRIM_400000_NS6detail17trampoline_kernelINS0_14default_configENS1_20scan_config_selectorIyEEZZNS1_9scan_implILNS1_25lookback_scan_determinismE0ELb1ELb1ES3_N6thrust23THRUST_200600_302600_NS6detail15normal_iteratorINS9_10device_ptrIyEEEENS9_16discard_iteratorINS9_11use_defaultEEEy11max_functorIyEyEEDaPvRmT3_T4_T5_mT6_P12ihipStream_tbENKUlT_T0_E_clISt17integral_constantIbLb1EESW_IbLb0EEEEDaSS_ST_EUlSS_E_NS1_11comp_targetILNS1_3genE8ELNS1_11target_archE1030ELNS1_3gpuE2ELNS1_3repE0EEENS1_30default_config_static_selectorELNS0_4arch9wavefront6targetE1EEEvT1_ ; -- Begin function _ZN7rocprim17ROCPRIM_400000_NS6detail17trampoline_kernelINS0_14default_configENS1_20scan_config_selectorIyEEZZNS1_9scan_implILNS1_25lookback_scan_determinismE0ELb1ELb1ES3_N6thrust23THRUST_200600_302600_NS6detail15normal_iteratorINS9_10device_ptrIyEEEENS9_16discard_iteratorINS9_11use_defaultEEEy11max_functorIyEyEEDaPvRmT3_T4_T5_mT6_P12ihipStream_tbENKUlT_T0_E_clISt17integral_constantIbLb1EESW_IbLb0EEEEDaSS_ST_EUlSS_E_NS1_11comp_targetILNS1_3genE8ELNS1_11target_archE1030ELNS1_3gpuE2ELNS1_3repE0EEENS1_30default_config_static_selectorELNS0_4arch9wavefront6targetE1EEEvT1_
	.globl	_ZN7rocprim17ROCPRIM_400000_NS6detail17trampoline_kernelINS0_14default_configENS1_20scan_config_selectorIyEEZZNS1_9scan_implILNS1_25lookback_scan_determinismE0ELb1ELb1ES3_N6thrust23THRUST_200600_302600_NS6detail15normal_iteratorINS9_10device_ptrIyEEEENS9_16discard_iteratorINS9_11use_defaultEEEy11max_functorIyEyEEDaPvRmT3_T4_T5_mT6_P12ihipStream_tbENKUlT_T0_E_clISt17integral_constantIbLb1EESW_IbLb0EEEEDaSS_ST_EUlSS_E_NS1_11comp_targetILNS1_3genE8ELNS1_11target_archE1030ELNS1_3gpuE2ELNS1_3repE0EEENS1_30default_config_static_selectorELNS0_4arch9wavefront6targetE1EEEvT1_
	.p2align	8
	.type	_ZN7rocprim17ROCPRIM_400000_NS6detail17trampoline_kernelINS0_14default_configENS1_20scan_config_selectorIyEEZZNS1_9scan_implILNS1_25lookback_scan_determinismE0ELb1ELb1ES3_N6thrust23THRUST_200600_302600_NS6detail15normal_iteratorINS9_10device_ptrIyEEEENS9_16discard_iteratorINS9_11use_defaultEEEy11max_functorIyEyEEDaPvRmT3_T4_T5_mT6_P12ihipStream_tbENKUlT_T0_E_clISt17integral_constantIbLb1EESW_IbLb0EEEEDaSS_ST_EUlSS_E_NS1_11comp_targetILNS1_3genE8ELNS1_11target_archE1030ELNS1_3gpuE2ELNS1_3repE0EEENS1_30default_config_static_selectorELNS0_4arch9wavefront6targetE1EEEvT1_,@function
_ZN7rocprim17ROCPRIM_400000_NS6detail17trampoline_kernelINS0_14default_configENS1_20scan_config_selectorIyEEZZNS1_9scan_implILNS1_25lookback_scan_determinismE0ELb1ELb1ES3_N6thrust23THRUST_200600_302600_NS6detail15normal_iteratorINS9_10device_ptrIyEEEENS9_16discard_iteratorINS9_11use_defaultEEEy11max_functorIyEyEEDaPvRmT3_T4_T5_mT6_P12ihipStream_tbENKUlT_T0_E_clISt17integral_constantIbLb1EESW_IbLb0EEEEDaSS_ST_EUlSS_E_NS1_11comp_targetILNS1_3genE8ELNS1_11target_archE1030ELNS1_3gpuE2ELNS1_3repE0EEENS1_30default_config_static_selectorELNS0_4arch9wavefront6targetE1EEEvT1_: ; @_ZN7rocprim17ROCPRIM_400000_NS6detail17trampoline_kernelINS0_14default_configENS1_20scan_config_selectorIyEEZZNS1_9scan_implILNS1_25lookback_scan_determinismE0ELb1ELb1ES3_N6thrust23THRUST_200600_302600_NS6detail15normal_iteratorINS9_10device_ptrIyEEEENS9_16discard_iteratorINS9_11use_defaultEEEy11max_functorIyEyEEDaPvRmT3_T4_T5_mT6_P12ihipStream_tbENKUlT_T0_E_clISt17integral_constantIbLb1EESW_IbLb0EEEEDaSS_ST_EUlSS_E_NS1_11comp_targetILNS1_3genE8ELNS1_11target_archE1030ELNS1_3gpuE2ELNS1_3repE0EEENS1_30default_config_static_selectorELNS0_4arch9wavefront6targetE1EEEvT1_
; %bb.0:
	.section	.rodata,"a",@progbits
	.p2align	6, 0x0
	.amdhsa_kernel _ZN7rocprim17ROCPRIM_400000_NS6detail17trampoline_kernelINS0_14default_configENS1_20scan_config_selectorIyEEZZNS1_9scan_implILNS1_25lookback_scan_determinismE0ELb1ELb1ES3_N6thrust23THRUST_200600_302600_NS6detail15normal_iteratorINS9_10device_ptrIyEEEENS9_16discard_iteratorINS9_11use_defaultEEEy11max_functorIyEyEEDaPvRmT3_T4_T5_mT6_P12ihipStream_tbENKUlT_T0_E_clISt17integral_constantIbLb1EESW_IbLb0EEEEDaSS_ST_EUlSS_E_NS1_11comp_targetILNS1_3genE8ELNS1_11target_archE1030ELNS1_3gpuE2ELNS1_3repE0EEENS1_30default_config_static_selectorELNS0_4arch9wavefront6targetE1EEEvT1_
		.amdhsa_group_segment_fixed_size 0
		.amdhsa_private_segment_fixed_size 0
		.amdhsa_kernarg_size 112
		.amdhsa_user_sgpr_count 6
		.amdhsa_user_sgpr_private_segment_buffer 1
		.amdhsa_user_sgpr_dispatch_ptr 0
		.amdhsa_user_sgpr_queue_ptr 0
		.amdhsa_user_sgpr_kernarg_segment_ptr 1
		.amdhsa_user_sgpr_dispatch_id 0
		.amdhsa_user_sgpr_flat_scratch_init 0
		.amdhsa_user_sgpr_kernarg_preload_length 0
		.amdhsa_user_sgpr_kernarg_preload_offset 0
		.amdhsa_user_sgpr_private_segment_size 0
		.amdhsa_uses_dynamic_stack 0
		.amdhsa_system_sgpr_private_segment_wavefront_offset 0
		.amdhsa_system_sgpr_workgroup_id_x 1
		.amdhsa_system_sgpr_workgroup_id_y 0
		.amdhsa_system_sgpr_workgroup_id_z 0
		.amdhsa_system_sgpr_workgroup_info 0
		.amdhsa_system_vgpr_workitem_id 0
		.amdhsa_next_free_vgpr 1
		.amdhsa_next_free_sgpr 0
		.amdhsa_accum_offset 4
		.amdhsa_reserve_vcc 0
		.amdhsa_reserve_flat_scratch 0
		.amdhsa_float_round_mode_32 0
		.amdhsa_float_round_mode_16_64 0
		.amdhsa_float_denorm_mode_32 3
		.amdhsa_float_denorm_mode_16_64 3
		.amdhsa_dx10_clamp 1
		.amdhsa_ieee_mode 1
		.amdhsa_fp16_overflow 0
		.amdhsa_tg_split 0
		.amdhsa_exception_fp_ieee_invalid_op 0
		.amdhsa_exception_fp_denorm_src 0
		.amdhsa_exception_fp_ieee_div_zero 0
		.amdhsa_exception_fp_ieee_overflow 0
		.amdhsa_exception_fp_ieee_underflow 0
		.amdhsa_exception_fp_ieee_inexact 0
		.amdhsa_exception_int_div_zero 0
	.end_amdhsa_kernel
	.section	.text._ZN7rocprim17ROCPRIM_400000_NS6detail17trampoline_kernelINS0_14default_configENS1_20scan_config_selectorIyEEZZNS1_9scan_implILNS1_25lookback_scan_determinismE0ELb1ELb1ES3_N6thrust23THRUST_200600_302600_NS6detail15normal_iteratorINS9_10device_ptrIyEEEENS9_16discard_iteratorINS9_11use_defaultEEEy11max_functorIyEyEEDaPvRmT3_T4_T5_mT6_P12ihipStream_tbENKUlT_T0_E_clISt17integral_constantIbLb1EESW_IbLb0EEEEDaSS_ST_EUlSS_E_NS1_11comp_targetILNS1_3genE8ELNS1_11target_archE1030ELNS1_3gpuE2ELNS1_3repE0EEENS1_30default_config_static_selectorELNS0_4arch9wavefront6targetE1EEEvT1_,"axG",@progbits,_ZN7rocprim17ROCPRIM_400000_NS6detail17trampoline_kernelINS0_14default_configENS1_20scan_config_selectorIyEEZZNS1_9scan_implILNS1_25lookback_scan_determinismE0ELb1ELb1ES3_N6thrust23THRUST_200600_302600_NS6detail15normal_iteratorINS9_10device_ptrIyEEEENS9_16discard_iteratorINS9_11use_defaultEEEy11max_functorIyEyEEDaPvRmT3_T4_T5_mT6_P12ihipStream_tbENKUlT_T0_E_clISt17integral_constantIbLb1EESW_IbLb0EEEEDaSS_ST_EUlSS_E_NS1_11comp_targetILNS1_3genE8ELNS1_11target_archE1030ELNS1_3gpuE2ELNS1_3repE0EEENS1_30default_config_static_selectorELNS0_4arch9wavefront6targetE1EEEvT1_,comdat
.Lfunc_end3394:
	.size	_ZN7rocprim17ROCPRIM_400000_NS6detail17trampoline_kernelINS0_14default_configENS1_20scan_config_selectorIyEEZZNS1_9scan_implILNS1_25lookback_scan_determinismE0ELb1ELb1ES3_N6thrust23THRUST_200600_302600_NS6detail15normal_iteratorINS9_10device_ptrIyEEEENS9_16discard_iteratorINS9_11use_defaultEEEy11max_functorIyEyEEDaPvRmT3_T4_T5_mT6_P12ihipStream_tbENKUlT_T0_E_clISt17integral_constantIbLb1EESW_IbLb0EEEEDaSS_ST_EUlSS_E_NS1_11comp_targetILNS1_3genE8ELNS1_11target_archE1030ELNS1_3gpuE2ELNS1_3repE0EEENS1_30default_config_static_selectorELNS0_4arch9wavefront6targetE1EEEvT1_, .Lfunc_end3394-_ZN7rocprim17ROCPRIM_400000_NS6detail17trampoline_kernelINS0_14default_configENS1_20scan_config_selectorIyEEZZNS1_9scan_implILNS1_25lookback_scan_determinismE0ELb1ELb1ES3_N6thrust23THRUST_200600_302600_NS6detail15normal_iteratorINS9_10device_ptrIyEEEENS9_16discard_iteratorINS9_11use_defaultEEEy11max_functorIyEyEEDaPvRmT3_T4_T5_mT6_P12ihipStream_tbENKUlT_T0_E_clISt17integral_constantIbLb1EESW_IbLb0EEEEDaSS_ST_EUlSS_E_NS1_11comp_targetILNS1_3genE8ELNS1_11target_archE1030ELNS1_3gpuE2ELNS1_3repE0EEENS1_30default_config_static_selectorELNS0_4arch9wavefront6targetE1EEEvT1_
                                        ; -- End function
	.section	.AMDGPU.csdata,"",@progbits
; Kernel info:
; codeLenInByte = 0
; NumSgprs: 4
; NumVgprs: 0
; NumAgprs: 0
; TotalNumVgprs: 0
; ScratchSize: 0
; MemoryBound: 0
; FloatMode: 240
; IeeeMode: 1
; LDSByteSize: 0 bytes/workgroup (compile time only)
; SGPRBlocks: 0
; VGPRBlocks: 0
; NumSGPRsForWavesPerEU: 4
; NumVGPRsForWavesPerEU: 1
; AccumOffset: 4
; Occupancy: 8
; WaveLimiterHint : 0
; COMPUTE_PGM_RSRC2:SCRATCH_EN: 0
; COMPUTE_PGM_RSRC2:USER_SGPR: 6
; COMPUTE_PGM_RSRC2:TRAP_HANDLER: 0
; COMPUTE_PGM_RSRC2:TGID_X_EN: 1
; COMPUTE_PGM_RSRC2:TGID_Y_EN: 0
; COMPUTE_PGM_RSRC2:TGID_Z_EN: 0
; COMPUTE_PGM_RSRC2:TIDIG_COMP_CNT: 0
; COMPUTE_PGM_RSRC3_GFX90A:ACCUM_OFFSET: 0
; COMPUTE_PGM_RSRC3_GFX90A:TG_SPLIT: 0
	.section	.text._ZN7rocprim17ROCPRIM_400000_NS6detail17trampoline_kernelINS0_14default_configENS1_20scan_config_selectorIyEEZZNS1_9scan_implILNS1_25lookback_scan_determinismE0ELb1ELb1ES3_N6thrust23THRUST_200600_302600_NS6detail15normal_iteratorINS9_10device_ptrIyEEEENS9_16discard_iteratorINS9_11use_defaultEEEy11max_functorIyEyEEDaPvRmT3_T4_T5_mT6_P12ihipStream_tbENKUlT_T0_E_clISt17integral_constantIbLb1EESW_IbLb0EEEEDaSS_ST_EUlSS_E0_NS1_11comp_targetILNS1_3genE0ELNS1_11target_archE4294967295ELNS1_3gpuE0ELNS1_3repE0EEENS1_30default_config_static_selectorELNS0_4arch9wavefront6targetE1EEEvT1_,"axG",@progbits,_ZN7rocprim17ROCPRIM_400000_NS6detail17trampoline_kernelINS0_14default_configENS1_20scan_config_selectorIyEEZZNS1_9scan_implILNS1_25lookback_scan_determinismE0ELb1ELb1ES3_N6thrust23THRUST_200600_302600_NS6detail15normal_iteratorINS9_10device_ptrIyEEEENS9_16discard_iteratorINS9_11use_defaultEEEy11max_functorIyEyEEDaPvRmT3_T4_T5_mT6_P12ihipStream_tbENKUlT_T0_E_clISt17integral_constantIbLb1EESW_IbLb0EEEEDaSS_ST_EUlSS_E0_NS1_11comp_targetILNS1_3genE0ELNS1_11target_archE4294967295ELNS1_3gpuE0ELNS1_3repE0EEENS1_30default_config_static_selectorELNS0_4arch9wavefront6targetE1EEEvT1_,comdat
	.protected	_ZN7rocprim17ROCPRIM_400000_NS6detail17trampoline_kernelINS0_14default_configENS1_20scan_config_selectorIyEEZZNS1_9scan_implILNS1_25lookback_scan_determinismE0ELb1ELb1ES3_N6thrust23THRUST_200600_302600_NS6detail15normal_iteratorINS9_10device_ptrIyEEEENS9_16discard_iteratorINS9_11use_defaultEEEy11max_functorIyEyEEDaPvRmT3_T4_T5_mT6_P12ihipStream_tbENKUlT_T0_E_clISt17integral_constantIbLb1EESW_IbLb0EEEEDaSS_ST_EUlSS_E0_NS1_11comp_targetILNS1_3genE0ELNS1_11target_archE4294967295ELNS1_3gpuE0ELNS1_3repE0EEENS1_30default_config_static_selectorELNS0_4arch9wavefront6targetE1EEEvT1_ ; -- Begin function _ZN7rocprim17ROCPRIM_400000_NS6detail17trampoline_kernelINS0_14default_configENS1_20scan_config_selectorIyEEZZNS1_9scan_implILNS1_25lookback_scan_determinismE0ELb1ELb1ES3_N6thrust23THRUST_200600_302600_NS6detail15normal_iteratorINS9_10device_ptrIyEEEENS9_16discard_iteratorINS9_11use_defaultEEEy11max_functorIyEyEEDaPvRmT3_T4_T5_mT6_P12ihipStream_tbENKUlT_T0_E_clISt17integral_constantIbLb1EESW_IbLb0EEEEDaSS_ST_EUlSS_E0_NS1_11comp_targetILNS1_3genE0ELNS1_11target_archE4294967295ELNS1_3gpuE0ELNS1_3repE0EEENS1_30default_config_static_selectorELNS0_4arch9wavefront6targetE1EEEvT1_
	.globl	_ZN7rocprim17ROCPRIM_400000_NS6detail17trampoline_kernelINS0_14default_configENS1_20scan_config_selectorIyEEZZNS1_9scan_implILNS1_25lookback_scan_determinismE0ELb1ELb1ES3_N6thrust23THRUST_200600_302600_NS6detail15normal_iteratorINS9_10device_ptrIyEEEENS9_16discard_iteratorINS9_11use_defaultEEEy11max_functorIyEyEEDaPvRmT3_T4_T5_mT6_P12ihipStream_tbENKUlT_T0_E_clISt17integral_constantIbLb1EESW_IbLb0EEEEDaSS_ST_EUlSS_E0_NS1_11comp_targetILNS1_3genE0ELNS1_11target_archE4294967295ELNS1_3gpuE0ELNS1_3repE0EEENS1_30default_config_static_selectorELNS0_4arch9wavefront6targetE1EEEvT1_
	.p2align	8
	.type	_ZN7rocprim17ROCPRIM_400000_NS6detail17trampoline_kernelINS0_14default_configENS1_20scan_config_selectorIyEEZZNS1_9scan_implILNS1_25lookback_scan_determinismE0ELb1ELb1ES3_N6thrust23THRUST_200600_302600_NS6detail15normal_iteratorINS9_10device_ptrIyEEEENS9_16discard_iteratorINS9_11use_defaultEEEy11max_functorIyEyEEDaPvRmT3_T4_T5_mT6_P12ihipStream_tbENKUlT_T0_E_clISt17integral_constantIbLb1EESW_IbLb0EEEEDaSS_ST_EUlSS_E0_NS1_11comp_targetILNS1_3genE0ELNS1_11target_archE4294967295ELNS1_3gpuE0ELNS1_3repE0EEENS1_30default_config_static_selectorELNS0_4arch9wavefront6targetE1EEEvT1_,@function
_ZN7rocprim17ROCPRIM_400000_NS6detail17trampoline_kernelINS0_14default_configENS1_20scan_config_selectorIyEEZZNS1_9scan_implILNS1_25lookback_scan_determinismE0ELb1ELb1ES3_N6thrust23THRUST_200600_302600_NS6detail15normal_iteratorINS9_10device_ptrIyEEEENS9_16discard_iteratorINS9_11use_defaultEEEy11max_functorIyEyEEDaPvRmT3_T4_T5_mT6_P12ihipStream_tbENKUlT_T0_E_clISt17integral_constantIbLb1EESW_IbLb0EEEEDaSS_ST_EUlSS_E0_NS1_11comp_targetILNS1_3genE0ELNS1_11target_archE4294967295ELNS1_3gpuE0ELNS1_3repE0EEENS1_30default_config_static_selectorELNS0_4arch9wavefront6targetE1EEEvT1_: ; @_ZN7rocprim17ROCPRIM_400000_NS6detail17trampoline_kernelINS0_14default_configENS1_20scan_config_selectorIyEEZZNS1_9scan_implILNS1_25lookback_scan_determinismE0ELb1ELb1ES3_N6thrust23THRUST_200600_302600_NS6detail15normal_iteratorINS9_10device_ptrIyEEEENS9_16discard_iteratorINS9_11use_defaultEEEy11max_functorIyEyEEDaPvRmT3_T4_T5_mT6_P12ihipStream_tbENKUlT_T0_E_clISt17integral_constantIbLb1EESW_IbLb0EEEEDaSS_ST_EUlSS_E0_NS1_11comp_targetILNS1_3genE0ELNS1_11target_archE4294967295ELNS1_3gpuE0ELNS1_3repE0EEENS1_30default_config_static_selectorELNS0_4arch9wavefront6targetE1EEEvT1_
; %bb.0:
	.section	.rodata,"a",@progbits
	.p2align	6, 0x0
	.amdhsa_kernel _ZN7rocprim17ROCPRIM_400000_NS6detail17trampoline_kernelINS0_14default_configENS1_20scan_config_selectorIyEEZZNS1_9scan_implILNS1_25lookback_scan_determinismE0ELb1ELb1ES3_N6thrust23THRUST_200600_302600_NS6detail15normal_iteratorINS9_10device_ptrIyEEEENS9_16discard_iteratorINS9_11use_defaultEEEy11max_functorIyEyEEDaPvRmT3_T4_T5_mT6_P12ihipStream_tbENKUlT_T0_E_clISt17integral_constantIbLb1EESW_IbLb0EEEEDaSS_ST_EUlSS_E0_NS1_11comp_targetILNS1_3genE0ELNS1_11target_archE4294967295ELNS1_3gpuE0ELNS1_3repE0EEENS1_30default_config_static_selectorELNS0_4arch9wavefront6targetE1EEEvT1_
		.amdhsa_group_segment_fixed_size 0
		.amdhsa_private_segment_fixed_size 0
		.amdhsa_kernarg_size 48
		.amdhsa_user_sgpr_count 6
		.amdhsa_user_sgpr_private_segment_buffer 1
		.amdhsa_user_sgpr_dispatch_ptr 0
		.amdhsa_user_sgpr_queue_ptr 0
		.amdhsa_user_sgpr_kernarg_segment_ptr 1
		.amdhsa_user_sgpr_dispatch_id 0
		.amdhsa_user_sgpr_flat_scratch_init 0
		.amdhsa_user_sgpr_kernarg_preload_length 0
		.amdhsa_user_sgpr_kernarg_preload_offset 0
		.amdhsa_user_sgpr_private_segment_size 0
		.amdhsa_uses_dynamic_stack 0
		.amdhsa_system_sgpr_private_segment_wavefront_offset 0
		.amdhsa_system_sgpr_workgroup_id_x 1
		.amdhsa_system_sgpr_workgroup_id_y 0
		.amdhsa_system_sgpr_workgroup_id_z 0
		.amdhsa_system_sgpr_workgroup_info 0
		.amdhsa_system_vgpr_workitem_id 0
		.amdhsa_next_free_vgpr 1
		.amdhsa_next_free_sgpr 0
		.amdhsa_accum_offset 4
		.amdhsa_reserve_vcc 0
		.amdhsa_reserve_flat_scratch 0
		.amdhsa_float_round_mode_32 0
		.amdhsa_float_round_mode_16_64 0
		.amdhsa_float_denorm_mode_32 3
		.amdhsa_float_denorm_mode_16_64 3
		.amdhsa_dx10_clamp 1
		.amdhsa_ieee_mode 1
		.amdhsa_fp16_overflow 0
		.amdhsa_tg_split 0
		.amdhsa_exception_fp_ieee_invalid_op 0
		.amdhsa_exception_fp_denorm_src 0
		.amdhsa_exception_fp_ieee_div_zero 0
		.amdhsa_exception_fp_ieee_overflow 0
		.amdhsa_exception_fp_ieee_underflow 0
		.amdhsa_exception_fp_ieee_inexact 0
		.amdhsa_exception_int_div_zero 0
	.end_amdhsa_kernel
	.section	.text._ZN7rocprim17ROCPRIM_400000_NS6detail17trampoline_kernelINS0_14default_configENS1_20scan_config_selectorIyEEZZNS1_9scan_implILNS1_25lookback_scan_determinismE0ELb1ELb1ES3_N6thrust23THRUST_200600_302600_NS6detail15normal_iteratorINS9_10device_ptrIyEEEENS9_16discard_iteratorINS9_11use_defaultEEEy11max_functorIyEyEEDaPvRmT3_T4_T5_mT6_P12ihipStream_tbENKUlT_T0_E_clISt17integral_constantIbLb1EESW_IbLb0EEEEDaSS_ST_EUlSS_E0_NS1_11comp_targetILNS1_3genE0ELNS1_11target_archE4294967295ELNS1_3gpuE0ELNS1_3repE0EEENS1_30default_config_static_selectorELNS0_4arch9wavefront6targetE1EEEvT1_,"axG",@progbits,_ZN7rocprim17ROCPRIM_400000_NS6detail17trampoline_kernelINS0_14default_configENS1_20scan_config_selectorIyEEZZNS1_9scan_implILNS1_25lookback_scan_determinismE0ELb1ELb1ES3_N6thrust23THRUST_200600_302600_NS6detail15normal_iteratorINS9_10device_ptrIyEEEENS9_16discard_iteratorINS9_11use_defaultEEEy11max_functorIyEyEEDaPvRmT3_T4_T5_mT6_P12ihipStream_tbENKUlT_T0_E_clISt17integral_constantIbLb1EESW_IbLb0EEEEDaSS_ST_EUlSS_E0_NS1_11comp_targetILNS1_3genE0ELNS1_11target_archE4294967295ELNS1_3gpuE0ELNS1_3repE0EEENS1_30default_config_static_selectorELNS0_4arch9wavefront6targetE1EEEvT1_,comdat
.Lfunc_end3395:
	.size	_ZN7rocprim17ROCPRIM_400000_NS6detail17trampoline_kernelINS0_14default_configENS1_20scan_config_selectorIyEEZZNS1_9scan_implILNS1_25lookback_scan_determinismE0ELb1ELb1ES3_N6thrust23THRUST_200600_302600_NS6detail15normal_iteratorINS9_10device_ptrIyEEEENS9_16discard_iteratorINS9_11use_defaultEEEy11max_functorIyEyEEDaPvRmT3_T4_T5_mT6_P12ihipStream_tbENKUlT_T0_E_clISt17integral_constantIbLb1EESW_IbLb0EEEEDaSS_ST_EUlSS_E0_NS1_11comp_targetILNS1_3genE0ELNS1_11target_archE4294967295ELNS1_3gpuE0ELNS1_3repE0EEENS1_30default_config_static_selectorELNS0_4arch9wavefront6targetE1EEEvT1_, .Lfunc_end3395-_ZN7rocprim17ROCPRIM_400000_NS6detail17trampoline_kernelINS0_14default_configENS1_20scan_config_selectorIyEEZZNS1_9scan_implILNS1_25lookback_scan_determinismE0ELb1ELb1ES3_N6thrust23THRUST_200600_302600_NS6detail15normal_iteratorINS9_10device_ptrIyEEEENS9_16discard_iteratorINS9_11use_defaultEEEy11max_functorIyEyEEDaPvRmT3_T4_T5_mT6_P12ihipStream_tbENKUlT_T0_E_clISt17integral_constantIbLb1EESW_IbLb0EEEEDaSS_ST_EUlSS_E0_NS1_11comp_targetILNS1_3genE0ELNS1_11target_archE4294967295ELNS1_3gpuE0ELNS1_3repE0EEENS1_30default_config_static_selectorELNS0_4arch9wavefront6targetE1EEEvT1_
                                        ; -- End function
	.section	.AMDGPU.csdata,"",@progbits
; Kernel info:
; codeLenInByte = 0
; NumSgprs: 4
; NumVgprs: 0
; NumAgprs: 0
; TotalNumVgprs: 0
; ScratchSize: 0
; MemoryBound: 0
; FloatMode: 240
; IeeeMode: 1
; LDSByteSize: 0 bytes/workgroup (compile time only)
; SGPRBlocks: 0
; VGPRBlocks: 0
; NumSGPRsForWavesPerEU: 4
; NumVGPRsForWavesPerEU: 1
; AccumOffset: 4
; Occupancy: 8
; WaveLimiterHint : 0
; COMPUTE_PGM_RSRC2:SCRATCH_EN: 0
; COMPUTE_PGM_RSRC2:USER_SGPR: 6
; COMPUTE_PGM_RSRC2:TRAP_HANDLER: 0
; COMPUTE_PGM_RSRC2:TGID_X_EN: 1
; COMPUTE_PGM_RSRC2:TGID_Y_EN: 0
; COMPUTE_PGM_RSRC2:TGID_Z_EN: 0
; COMPUTE_PGM_RSRC2:TIDIG_COMP_CNT: 0
; COMPUTE_PGM_RSRC3_GFX90A:ACCUM_OFFSET: 0
; COMPUTE_PGM_RSRC3_GFX90A:TG_SPLIT: 0
	.section	.text._ZN7rocprim17ROCPRIM_400000_NS6detail17trampoline_kernelINS0_14default_configENS1_20scan_config_selectorIyEEZZNS1_9scan_implILNS1_25lookback_scan_determinismE0ELb1ELb1ES3_N6thrust23THRUST_200600_302600_NS6detail15normal_iteratorINS9_10device_ptrIyEEEENS9_16discard_iteratorINS9_11use_defaultEEEy11max_functorIyEyEEDaPvRmT3_T4_T5_mT6_P12ihipStream_tbENKUlT_T0_E_clISt17integral_constantIbLb1EESW_IbLb0EEEEDaSS_ST_EUlSS_E0_NS1_11comp_targetILNS1_3genE5ELNS1_11target_archE942ELNS1_3gpuE9ELNS1_3repE0EEENS1_30default_config_static_selectorELNS0_4arch9wavefront6targetE1EEEvT1_,"axG",@progbits,_ZN7rocprim17ROCPRIM_400000_NS6detail17trampoline_kernelINS0_14default_configENS1_20scan_config_selectorIyEEZZNS1_9scan_implILNS1_25lookback_scan_determinismE0ELb1ELb1ES3_N6thrust23THRUST_200600_302600_NS6detail15normal_iteratorINS9_10device_ptrIyEEEENS9_16discard_iteratorINS9_11use_defaultEEEy11max_functorIyEyEEDaPvRmT3_T4_T5_mT6_P12ihipStream_tbENKUlT_T0_E_clISt17integral_constantIbLb1EESW_IbLb0EEEEDaSS_ST_EUlSS_E0_NS1_11comp_targetILNS1_3genE5ELNS1_11target_archE942ELNS1_3gpuE9ELNS1_3repE0EEENS1_30default_config_static_selectorELNS0_4arch9wavefront6targetE1EEEvT1_,comdat
	.protected	_ZN7rocprim17ROCPRIM_400000_NS6detail17trampoline_kernelINS0_14default_configENS1_20scan_config_selectorIyEEZZNS1_9scan_implILNS1_25lookback_scan_determinismE0ELb1ELb1ES3_N6thrust23THRUST_200600_302600_NS6detail15normal_iteratorINS9_10device_ptrIyEEEENS9_16discard_iteratorINS9_11use_defaultEEEy11max_functorIyEyEEDaPvRmT3_T4_T5_mT6_P12ihipStream_tbENKUlT_T0_E_clISt17integral_constantIbLb1EESW_IbLb0EEEEDaSS_ST_EUlSS_E0_NS1_11comp_targetILNS1_3genE5ELNS1_11target_archE942ELNS1_3gpuE9ELNS1_3repE0EEENS1_30default_config_static_selectorELNS0_4arch9wavefront6targetE1EEEvT1_ ; -- Begin function _ZN7rocprim17ROCPRIM_400000_NS6detail17trampoline_kernelINS0_14default_configENS1_20scan_config_selectorIyEEZZNS1_9scan_implILNS1_25lookback_scan_determinismE0ELb1ELb1ES3_N6thrust23THRUST_200600_302600_NS6detail15normal_iteratorINS9_10device_ptrIyEEEENS9_16discard_iteratorINS9_11use_defaultEEEy11max_functorIyEyEEDaPvRmT3_T4_T5_mT6_P12ihipStream_tbENKUlT_T0_E_clISt17integral_constantIbLb1EESW_IbLb0EEEEDaSS_ST_EUlSS_E0_NS1_11comp_targetILNS1_3genE5ELNS1_11target_archE942ELNS1_3gpuE9ELNS1_3repE0EEENS1_30default_config_static_selectorELNS0_4arch9wavefront6targetE1EEEvT1_
	.globl	_ZN7rocprim17ROCPRIM_400000_NS6detail17trampoline_kernelINS0_14default_configENS1_20scan_config_selectorIyEEZZNS1_9scan_implILNS1_25lookback_scan_determinismE0ELb1ELb1ES3_N6thrust23THRUST_200600_302600_NS6detail15normal_iteratorINS9_10device_ptrIyEEEENS9_16discard_iteratorINS9_11use_defaultEEEy11max_functorIyEyEEDaPvRmT3_T4_T5_mT6_P12ihipStream_tbENKUlT_T0_E_clISt17integral_constantIbLb1EESW_IbLb0EEEEDaSS_ST_EUlSS_E0_NS1_11comp_targetILNS1_3genE5ELNS1_11target_archE942ELNS1_3gpuE9ELNS1_3repE0EEENS1_30default_config_static_selectorELNS0_4arch9wavefront6targetE1EEEvT1_
	.p2align	8
	.type	_ZN7rocprim17ROCPRIM_400000_NS6detail17trampoline_kernelINS0_14default_configENS1_20scan_config_selectorIyEEZZNS1_9scan_implILNS1_25lookback_scan_determinismE0ELb1ELb1ES3_N6thrust23THRUST_200600_302600_NS6detail15normal_iteratorINS9_10device_ptrIyEEEENS9_16discard_iteratorINS9_11use_defaultEEEy11max_functorIyEyEEDaPvRmT3_T4_T5_mT6_P12ihipStream_tbENKUlT_T0_E_clISt17integral_constantIbLb1EESW_IbLb0EEEEDaSS_ST_EUlSS_E0_NS1_11comp_targetILNS1_3genE5ELNS1_11target_archE942ELNS1_3gpuE9ELNS1_3repE0EEENS1_30default_config_static_selectorELNS0_4arch9wavefront6targetE1EEEvT1_,@function
_ZN7rocprim17ROCPRIM_400000_NS6detail17trampoline_kernelINS0_14default_configENS1_20scan_config_selectorIyEEZZNS1_9scan_implILNS1_25lookback_scan_determinismE0ELb1ELb1ES3_N6thrust23THRUST_200600_302600_NS6detail15normal_iteratorINS9_10device_ptrIyEEEENS9_16discard_iteratorINS9_11use_defaultEEEy11max_functorIyEyEEDaPvRmT3_T4_T5_mT6_P12ihipStream_tbENKUlT_T0_E_clISt17integral_constantIbLb1EESW_IbLb0EEEEDaSS_ST_EUlSS_E0_NS1_11comp_targetILNS1_3genE5ELNS1_11target_archE942ELNS1_3gpuE9ELNS1_3repE0EEENS1_30default_config_static_selectorELNS0_4arch9wavefront6targetE1EEEvT1_: ; @_ZN7rocprim17ROCPRIM_400000_NS6detail17trampoline_kernelINS0_14default_configENS1_20scan_config_selectorIyEEZZNS1_9scan_implILNS1_25lookback_scan_determinismE0ELb1ELb1ES3_N6thrust23THRUST_200600_302600_NS6detail15normal_iteratorINS9_10device_ptrIyEEEENS9_16discard_iteratorINS9_11use_defaultEEEy11max_functorIyEyEEDaPvRmT3_T4_T5_mT6_P12ihipStream_tbENKUlT_T0_E_clISt17integral_constantIbLb1EESW_IbLb0EEEEDaSS_ST_EUlSS_E0_NS1_11comp_targetILNS1_3genE5ELNS1_11target_archE942ELNS1_3gpuE9ELNS1_3repE0EEENS1_30default_config_static_selectorELNS0_4arch9wavefront6targetE1EEEvT1_
; %bb.0:
	.section	.rodata,"a",@progbits
	.p2align	6, 0x0
	.amdhsa_kernel _ZN7rocprim17ROCPRIM_400000_NS6detail17trampoline_kernelINS0_14default_configENS1_20scan_config_selectorIyEEZZNS1_9scan_implILNS1_25lookback_scan_determinismE0ELb1ELb1ES3_N6thrust23THRUST_200600_302600_NS6detail15normal_iteratorINS9_10device_ptrIyEEEENS9_16discard_iteratorINS9_11use_defaultEEEy11max_functorIyEyEEDaPvRmT3_T4_T5_mT6_P12ihipStream_tbENKUlT_T0_E_clISt17integral_constantIbLb1EESW_IbLb0EEEEDaSS_ST_EUlSS_E0_NS1_11comp_targetILNS1_3genE5ELNS1_11target_archE942ELNS1_3gpuE9ELNS1_3repE0EEENS1_30default_config_static_selectorELNS0_4arch9wavefront6targetE1EEEvT1_
		.amdhsa_group_segment_fixed_size 0
		.amdhsa_private_segment_fixed_size 0
		.amdhsa_kernarg_size 48
		.amdhsa_user_sgpr_count 6
		.amdhsa_user_sgpr_private_segment_buffer 1
		.amdhsa_user_sgpr_dispatch_ptr 0
		.amdhsa_user_sgpr_queue_ptr 0
		.amdhsa_user_sgpr_kernarg_segment_ptr 1
		.amdhsa_user_sgpr_dispatch_id 0
		.amdhsa_user_sgpr_flat_scratch_init 0
		.amdhsa_user_sgpr_kernarg_preload_length 0
		.amdhsa_user_sgpr_kernarg_preload_offset 0
		.amdhsa_user_sgpr_private_segment_size 0
		.amdhsa_uses_dynamic_stack 0
		.amdhsa_system_sgpr_private_segment_wavefront_offset 0
		.amdhsa_system_sgpr_workgroup_id_x 1
		.amdhsa_system_sgpr_workgroup_id_y 0
		.amdhsa_system_sgpr_workgroup_id_z 0
		.amdhsa_system_sgpr_workgroup_info 0
		.amdhsa_system_vgpr_workitem_id 0
		.amdhsa_next_free_vgpr 1
		.amdhsa_next_free_sgpr 0
		.amdhsa_accum_offset 4
		.amdhsa_reserve_vcc 0
		.amdhsa_reserve_flat_scratch 0
		.amdhsa_float_round_mode_32 0
		.amdhsa_float_round_mode_16_64 0
		.amdhsa_float_denorm_mode_32 3
		.amdhsa_float_denorm_mode_16_64 3
		.amdhsa_dx10_clamp 1
		.amdhsa_ieee_mode 1
		.amdhsa_fp16_overflow 0
		.amdhsa_tg_split 0
		.amdhsa_exception_fp_ieee_invalid_op 0
		.amdhsa_exception_fp_denorm_src 0
		.amdhsa_exception_fp_ieee_div_zero 0
		.amdhsa_exception_fp_ieee_overflow 0
		.amdhsa_exception_fp_ieee_underflow 0
		.amdhsa_exception_fp_ieee_inexact 0
		.amdhsa_exception_int_div_zero 0
	.end_amdhsa_kernel
	.section	.text._ZN7rocprim17ROCPRIM_400000_NS6detail17trampoline_kernelINS0_14default_configENS1_20scan_config_selectorIyEEZZNS1_9scan_implILNS1_25lookback_scan_determinismE0ELb1ELb1ES3_N6thrust23THRUST_200600_302600_NS6detail15normal_iteratorINS9_10device_ptrIyEEEENS9_16discard_iteratorINS9_11use_defaultEEEy11max_functorIyEyEEDaPvRmT3_T4_T5_mT6_P12ihipStream_tbENKUlT_T0_E_clISt17integral_constantIbLb1EESW_IbLb0EEEEDaSS_ST_EUlSS_E0_NS1_11comp_targetILNS1_3genE5ELNS1_11target_archE942ELNS1_3gpuE9ELNS1_3repE0EEENS1_30default_config_static_selectorELNS0_4arch9wavefront6targetE1EEEvT1_,"axG",@progbits,_ZN7rocprim17ROCPRIM_400000_NS6detail17trampoline_kernelINS0_14default_configENS1_20scan_config_selectorIyEEZZNS1_9scan_implILNS1_25lookback_scan_determinismE0ELb1ELb1ES3_N6thrust23THRUST_200600_302600_NS6detail15normal_iteratorINS9_10device_ptrIyEEEENS9_16discard_iteratorINS9_11use_defaultEEEy11max_functorIyEyEEDaPvRmT3_T4_T5_mT6_P12ihipStream_tbENKUlT_T0_E_clISt17integral_constantIbLb1EESW_IbLb0EEEEDaSS_ST_EUlSS_E0_NS1_11comp_targetILNS1_3genE5ELNS1_11target_archE942ELNS1_3gpuE9ELNS1_3repE0EEENS1_30default_config_static_selectorELNS0_4arch9wavefront6targetE1EEEvT1_,comdat
.Lfunc_end3396:
	.size	_ZN7rocprim17ROCPRIM_400000_NS6detail17trampoline_kernelINS0_14default_configENS1_20scan_config_selectorIyEEZZNS1_9scan_implILNS1_25lookback_scan_determinismE0ELb1ELb1ES3_N6thrust23THRUST_200600_302600_NS6detail15normal_iteratorINS9_10device_ptrIyEEEENS9_16discard_iteratorINS9_11use_defaultEEEy11max_functorIyEyEEDaPvRmT3_T4_T5_mT6_P12ihipStream_tbENKUlT_T0_E_clISt17integral_constantIbLb1EESW_IbLb0EEEEDaSS_ST_EUlSS_E0_NS1_11comp_targetILNS1_3genE5ELNS1_11target_archE942ELNS1_3gpuE9ELNS1_3repE0EEENS1_30default_config_static_selectorELNS0_4arch9wavefront6targetE1EEEvT1_, .Lfunc_end3396-_ZN7rocprim17ROCPRIM_400000_NS6detail17trampoline_kernelINS0_14default_configENS1_20scan_config_selectorIyEEZZNS1_9scan_implILNS1_25lookback_scan_determinismE0ELb1ELb1ES3_N6thrust23THRUST_200600_302600_NS6detail15normal_iteratorINS9_10device_ptrIyEEEENS9_16discard_iteratorINS9_11use_defaultEEEy11max_functorIyEyEEDaPvRmT3_T4_T5_mT6_P12ihipStream_tbENKUlT_T0_E_clISt17integral_constantIbLb1EESW_IbLb0EEEEDaSS_ST_EUlSS_E0_NS1_11comp_targetILNS1_3genE5ELNS1_11target_archE942ELNS1_3gpuE9ELNS1_3repE0EEENS1_30default_config_static_selectorELNS0_4arch9wavefront6targetE1EEEvT1_
                                        ; -- End function
	.section	.AMDGPU.csdata,"",@progbits
; Kernel info:
; codeLenInByte = 0
; NumSgprs: 4
; NumVgprs: 0
; NumAgprs: 0
; TotalNumVgprs: 0
; ScratchSize: 0
; MemoryBound: 0
; FloatMode: 240
; IeeeMode: 1
; LDSByteSize: 0 bytes/workgroup (compile time only)
; SGPRBlocks: 0
; VGPRBlocks: 0
; NumSGPRsForWavesPerEU: 4
; NumVGPRsForWavesPerEU: 1
; AccumOffset: 4
; Occupancy: 8
; WaveLimiterHint : 0
; COMPUTE_PGM_RSRC2:SCRATCH_EN: 0
; COMPUTE_PGM_RSRC2:USER_SGPR: 6
; COMPUTE_PGM_RSRC2:TRAP_HANDLER: 0
; COMPUTE_PGM_RSRC2:TGID_X_EN: 1
; COMPUTE_PGM_RSRC2:TGID_Y_EN: 0
; COMPUTE_PGM_RSRC2:TGID_Z_EN: 0
; COMPUTE_PGM_RSRC2:TIDIG_COMP_CNT: 0
; COMPUTE_PGM_RSRC3_GFX90A:ACCUM_OFFSET: 0
; COMPUTE_PGM_RSRC3_GFX90A:TG_SPLIT: 0
	.section	.text._ZN7rocprim17ROCPRIM_400000_NS6detail17trampoline_kernelINS0_14default_configENS1_20scan_config_selectorIyEEZZNS1_9scan_implILNS1_25lookback_scan_determinismE0ELb1ELb1ES3_N6thrust23THRUST_200600_302600_NS6detail15normal_iteratorINS9_10device_ptrIyEEEENS9_16discard_iteratorINS9_11use_defaultEEEy11max_functorIyEyEEDaPvRmT3_T4_T5_mT6_P12ihipStream_tbENKUlT_T0_E_clISt17integral_constantIbLb1EESW_IbLb0EEEEDaSS_ST_EUlSS_E0_NS1_11comp_targetILNS1_3genE4ELNS1_11target_archE910ELNS1_3gpuE8ELNS1_3repE0EEENS1_30default_config_static_selectorELNS0_4arch9wavefront6targetE1EEEvT1_,"axG",@progbits,_ZN7rocprim17ROCPRIM_400000_NS6detail17trampoline_kernelINS0_14default_configENS1_20scan_config_selectorIyEEZZNS1_9scan_implILNS1_25lookback_scan_determinismE0ELb1ELb1ES3_N6thrust23THRUST_200600_302600_NS6detail15normal_iteratorINS9_10device_ptrIyEEEENS9_16discard_iteratorINS9_11use_defaultEEEy11max_functorIyEyEEDaPvRmT3_T4_T5_mT6_P12ihipStream_tbENKUlT_T0_E_clISt17integral_constantIbLb1EESW_IbLb0EEEEDaSS_ST_EUlSS_E0_NS1_11comp_targetILNS1_3genE4ELNS1_11target_archE910ELNS1_3gpuE8ELNS1_3repE0EEENS1_30default_config_static_selectorELNS0_4arch9wavefront6targetE1EEEvT1_,comdat
	.protected	_ZN7rocprim17ROCPRIM_400000_NS6detail17trampoline_kernelINS0_14default_configENS1_20scan_config_selectorIyEEZZNS1_9scan_implILNS1_25lookback_scan_determinismE0ELb1ELb1ES3_N6thrust23THRUST_200600_302600_NS6detail15normal_iteratorINS9_10device_ptrIyEEEENS9_16discard_iteratorINS9_11use_defaultEEEy11max_functorIyEyEEDaPvRmT3_T4_T5_mT6_P12ihipStream_tbENKUlT_T0_E_clISt17integral_constantIbLb1EESW_IbLb0EEEEDaSS_ST_EUlSS_E0_NS1_11comp_targetILNS1_3genE4ELNS1_11target_archE910ELNS1_3gpuE8ELNS1_3repE0EEENS1_30default_config_static_selectorELNS0_4arch9wavefront6targetE1EEEvT1_ ; -- Begin function _ZN7rocprim17ROCPRIM_400000_NS6detail17trampoline_kernelINS0_14default_configENS1_20scan_config_selectorIyEEZZNS1_9scan_implILNS1_25lookback_scan_determinismE0ELb1ELb1ES3_N6thrust23THRUST_200600_302600_NS6detail15normal_iteratorINS9_10device_ptrIyEEEENS9_16discard_iteratorINS9_11use_defaultEEEy11max_functorIyEyEEDaPvRmT3_T4_T5_mT6_P12ihipStream_tbENKUlT_T0_E_clISt17integral_constantIbLb1EESW_IbLb0EEEEDaSS_ST_EUlSS_E0_NS1_11comp_targetILNS1_3genE4ELNS1_11target_archE910ELNS1_3gpuE8ELNS1_3repE0EEENS1_30default_config_static_selectorELNS0_4arch9wavefront6targetE1EEEvT1_
	.globl	_ZN7rocprim17ROCPRIM_400000_NS6detail17trampoline_kernelINS0_14default_configENS1_20scan_config_selectorIyEEZZNS1_9scan_implILNS1_25lookback_scan_determinismE0ELb1ELb1ES3_N6thrust23THRUST_200600_302600_NS6detail15normal_iteratorINS9_10device_ptrIyEEEENS9_16discard_iteratorINS9_11use_defaultEEEy11max_functorIyEyEEDaPvRmT3_T4_T5_mT6_P12ihipStream_tbENKUlT_T0_E_clISt17integral_constantIbLb1EESW_IbLb0EEEEDaSS_ST_EUlSS_E0_NS1_11comp_targetILNS1_3genE4ELNS1_11target_archE910ELNS1_3gpuE8ELNS1_3repE0EEENS1_30default_config_static_selectorELNS0_4arch9wavefront6targetE1EEEvT1_
	.p2align	8
	.type	_ZN7rocprim17ROCPRIM_400000_NS6detail17trampoline_kernelINS0_14default_configENS1_20scan_config_selectorIyEEZZNS1_9scan_implILNS1_25lookback_scan_determinismE0ELb1ELb1ES3_N6thrust23THRUST_200600_302600_NS6detail15normal_iteratorINS9_10device_ptrIyEEEENS9_16discard_iteratorINS9_11use_defaultEEEy11max_functorIyEyEEDaPvRmT3_T4_T5_mT6_P12ihipStream_tbENKUlT_T0_E_clISt17integral_constantIbLb1EESW_IbLb0EEEEDaSS_ST_EUlSS_E0_NS1_11comp_targetILNS1_3genE4ELNS1_11target_archE910ELNS1_3gpuE8ELNS1_3repE0EEENS1_30default_config_static_selectorELNS0_4arch9wavefront6targetE1EEEvT1_,@function
_ZN7rocprim17ROCPRIM_400000_NS6detail17trampoline_kernelINS0_14default_configENS1_20scan_config_selectorIyEEZZNS1_9scan_implILNS1_25lookback_scan_determinismE0ELb1ELb1ES3_N6thrust23THRUST_200600_302600_NS6detail15normal_iteratorINS9_10device_ptrIyEEEENS9_16discard_iteratorINS9_11use_defaultEEEy11max_functorIyEyEEDaPvRmT3_T4_T5_mT6_P12ihipStream_tbENKUlT_T0_E_clISt17integral_constantIbLb1EESW_IbLb0EEEEDaSS_ST_EUlSS_E0_NS1_11comp_targetILNS1_3genE4ELNS1_11target_archE910ELNS1_3gpuE8ELNS1_3repE0EEENS1_30default_config_static_selectorELNS0_4arch9wavefront6targetE1EEEvT1_: ; @_ZN7rocprim17ROCPRIM_400000_NS6detail17trampoline_kernelINS0_14default_configENS1_20scan_config_selectorIyEEZZNS1_9scan_implILNS1_25lookback_scan_determinismE0ELb1ELb1ES3_N6thrust23THRUST_200600_302600_NS6detail15normal_iteratorINS9_10device_ptrIyEEEENS9_16discard_iteratorINS9_11use_defaultEEEy11max_functorIyEyEEDaPvRmT3_T4_T5_mT6_P12ihipStream_tbENKUlT_T0_E_clISt17integral_constantIbLb1EESW_IbLb0EEEEDaSS_ST_EUlSS_E0_NS1_11comp_targetILNS1_3genE4ELNS1_11target_archE910ELNS1_3gpuE8ELNS1_3repE0EEENS1_30default_config_static_selectorELNS0_4arch9wavefront6targetE1EEEvT1_
; %bb.0:
	s_load_dwordx4 s[0:3], s[4:5], 0x0
	v_lshlrev_b32_e32 v1, 3, v0
	s_waitcnt lgkmcnt(0)
	s_load_dwordx2 s[6:7], s[0:1], 0x0
	v_cmp_gt_u32_e32 vcc, s2, v0
	s_waitcnt lgkmcnt(0)
	v_pk_mov_b32 v[2:3], s[6:7], s[6:7] op_sel:[0,1]
	s_and_saveexec_b64 s[8:9], vcc
	s_cbranch_execz .LBB3397_2
; %bb.1:
	global_load_dwordx2 v[2:3], v1, s[0:1]
.LBB3397_2:
	s_or_b64 exec, exec, s[8:9]
	v_or_b32_e32 v4, 0x80, v0
	v_cmp_gt_u32_e32 vcc, s2, v4
	v_pk_mov_b32 v[4:5], s[6:7], s[6:7] op_sel:[0,1]
	s_and_saveexec_b64 s[8:9], vcc
	s_cbranch_execz .LBB3397_4
; %bb.3:
	global_load_dwordx2 v[4:5], v1, s[0:1] offset:1024
.LBB3397_4:
	s_or_b64 exec, exec, s[8:9]
	v_or_b32_e32 v6, 0x100, v0
	v_cmp_gt_u32_e32 vcc, s2, v6
	v_pk_mov_b32 v[6:7], s[6:7], s[6:7] op_sel:[0,1]
	s_and_saveexec_b64 s[8:9], vcc
	s_cbranch_execz .LBB3397_6
; %bb.5:
	global_load_dwordx2 v[6:7], v1, s[0:1] offset:2048
.LBB3397_6:
	;; [unrolled: 9-line block ×3, first 2 shown]
	s_or_b64 exec, exec, s[8:9]
	v_or_b32_e32 v12, 0x200, v0
	v_cmp_gt_u32_e32 vcc, s2, v12
	v_pk_mov_b32 v[10:11], s[6:7], s[6:7] op_sel:[0,1]
	s_and_saveexec_b64 s[8:9], vcc
	s_cbranch_execz .LBB3397_10
; %bb.9:
	v_lshlrev_b32_e32 v10, 3, v12
	global_load_dwordx2 v[10:11], v10, s[0:1]
.LBB3397_10:
	s_or_b64 exec, exec, s[8:9]
	v_or_b32_e32 v14, 0x280, v0
	v_cmp_gt_u32_e32 vcc, s2, v14
	v_pk_mov_b32 v[12:13], s[6:7], s[6:7] op_sel:[0,1]
	s_and_saveexec_b64 s[8:9], vcc
	s_cbranch_execz .LBB3397_12
; %bb.11:
	v_lshlrev_b32_e32 v12, 3, v14
	global_load_dwordx2 v[12:13], v12, s[0:1]
.LBB3397_12:
	s_or_b64 exec, exec, s[8:9]
	s_load_dwordx2 s[4:5], s[4:5], 0x10
	v_or_b32_e32 v16, 0x300, v0
	v_cmp_gt_u32_e32 vcc, s2, v16
	v_pk_mov_b32 v[14:15], s[6:7], s[6:7] op_sel:[0,1]
	s_and_saveexec_b64 s[2:3], vcc
	s_cbranch_execz .LBB3397_14
; %bb.13:
	v_lshlrev_b32_e32 v14, 3, v16
	global_load_dwordx2 v[14:15], v14, s[0:1]
.LBB3397_14:
	s_or_b64 exec, exec, s[2:3]
	s_waitcnt vmcnt(0)
	ds_write2st64_b64 v1, v[2:3], v[4:5] offset1:2
	ds_write2st64_b64 v1, v[6:7], v[8:9] offset0:4 offset1:6
	ds_write2st64_b64 v1, v[10:11], v[12:13] offset0:8 offset1:10
	ds_write_b64 v1, v[14:15] offset:6144
	v_mad_u32_u24 v14, v0, 48, v1
	s_waitcnt lgkmcnt(0)
	s_barrier
	ds_read2_b64 v[10:13], v14 offset1:1
	ds_read2_b64 v[6:9], v14 offset0:2 offset1:3
	ds_read2_b64 v[2:5], v14 offset0:4 offset1:5
	ds_read_b64 v[14:15], v14 offset:48
	s_waitcnt lgkmcnt(0)
	v_cmp_gt_u64_e32 vcc, v[10:11], v[12:13]
	v_cndmask_b32_e32 v17, v13, v11, vcc
	v_cndmask_b32_e32 v16, v12, v10, vcc
	v_cmp_gt_u64_e32 vcc, v[16:17], v[6:7]
	v_cndmask_b32_e32 v17, v7, v17, vcc
	v_cndmask_b32_e32 v16, v6, v16, vcc
	;; [unrolled: 3-line block ×5, first 2 shown]
	v_cmp_gt_u64_e32 vcc, v[16:17], v[14:15]
	v_cndmask_b32_e32 v18, v14, v16, vcc
	v_lshrrev_b32_e32 v14, 2, v0
	v_and_b32_e32 v14, 24, v14
	v_cndmask_b32_e32 v19, v15, v17, vcc
	v_add_u32_e32 v14, v1, v14
	v_cmp_gt_u32_e32 vcc, 64, v0
	s_barrier
	ds_write_b64 v14, v[18:19]
	s_waitcnt lgkmcnt(0)
	s_barrier
	s_and_saveexec_b64 s[2:3], vcc
	s_cbranch_execz .LBB3397_18
; %bb.15:
	v_lshlrev_b32_e32 v14, 1, v0
	v_lshrrev_b32_e32 v15, 4, v0
	v_add_lshl_u32 v24, v15, v14, 3
	ds_read2_b64 v[14:17], v24 offset1:1
	v_mbcnt_lo_u32_b32 v20, -1, 0
	v_mbcnt_hi_u32_b32 v25, -1, v20
	v_and_b32_e32 v26, 15, v25
	v_and_b32_e32 v28, 16, v25
	s_waitcnt lgkmcnt(0)
	v_cmp_gt_u64_e32 vcc, v[14:15], v[16:17]
	v_cndmask_b32_e32 v17, v17, v15, vcc
	v_cndmask_b32_e32 v16, v16, v14, vcc
	v_cmp_ne_u32_e64 s[0:1], 0, v25
	v_mov_b32_dpp v21, v17 row_shr:1 row_mask:0xf bank_mask:0xf
	v_mov_b32_dpp v20, v16 row_shr:1 row_mask:0xf bank_mask:0xf
	v_cmp_gt_u64_e32 vcc, v[20:21], v[16:17]
	v_cndmask_b32_e32 v20, v16, v20, vcc
	v_cndmask_b32_e32 v21, v17, v21, vcc
	v_cmp_eq_u32_e32 vcc, 0, v26
	v_cndmask_b32_e32 v21, v21, v17, vcc
	v_cndmask_b32_e32 v20, v20, v16, vcc
	s_nop 0
	v_mov_b32_dpp v23, v21 row_shr:2 row_mask:0xf bank_mask:0xf
	v_mov_b32_dpp v22, v20 row_shr:2 row_mask:0xf bank_mask:0xf
	v_cmp_gt_u64_e32 vcc, v[22:23], v[20:21]
	v_cndmask_b32_e32 v22, v20, v22, vcc
	v_cndmask_b32_e32 v23, v21, v23, vcc
	v_cmp_lt_u32_e32 vcc, 1, v26
	v_cndmask_b32_e32 v21, v21, v23, vcc
	v_cndmask_b32_e32 v20, v20, v22, vcc
	s_nop 0
	v_mov_b32_dpp v23, v21 row_shr:4 row_mask:0xf bank_mask:0xf
	v_mov_b32_dpp v22, v20 row_shr:4 row_mask:0xf bank_mask:0xf
	v_cmp_gt_u64_e32 vcc, v[22:23], v[20:21]
	v_cndmask_b32_e32 v22, v20, v22, vcc
	v_cndmask_b32_e32 v23, v21, v23, vcc
	v_cmp_lt_u32_e32 vcc, 3, v26
	;; [unrolled: 9-line block ×3, first 2 shown]
	v_cndmask_b32_e32 v21, v21, v23, vcc
	v_cndmask_b32_e32 v20, v20, v22, vcc
	s_nop 0
	v_mov_b32_dpp v23, v21 row_bcast:15 row_mask:0xf bank_mask:0xf
	v_mov_b32_dpp v22, v20 row_bcast:15 row_mask:0xf bank_mask:0xf
	v_cmp_gt_u64_e32 vcc, v[22:23], v[20:21]
	v_cndmask_b32_e32 v26, v21, v23, vcc
	v_cndmask_b32_e32 v27, v20, v22, vcc
	v_cmp_eq_u32_e32 vcc, 0, v28
	v_cndmask_b32_e32 v23, v26, v21, vcc
	v_cndmask_b32_e32 v22, v27, v20, vcc
	s_nop 0
	v_mov_b32_dpp v23, v23 row_bcast:31 row_mask:0xf bank_mask:0xf
	v_mov_b32_dpp v22, v22 row_bcast:31 row_mask:0xf bank_mask:0xf
	s_and_saveexec_b64 s[6:7], s[0:1]
; %bb.16:
	v_cndmask_b32_e32 v17, v26, v21, vcc
	v_cndmask_b32_e32 v16, v27, v20, vcc
	v_cmp_lt_u32_e64 s[0:1], 31, v25
	v_cmp_gt_u64_e32 vcc, v[22:23], v[16:17]
	s_and_b64 vcc, s[0:1], vcc
	v_cndmask_b32_e32 v16, v16, v22, vcc
	v_cndmask_b32_e32 v17, v17, v23, vcc
; %bb.17:
	s_or_b64 exec, exec, s[6:7]
	v_add_u32_e32 v20, -1, v25
	v_and_b32_e32 v21, 64, v25
	v_cmp_lt_i32_e32 vcc, v20, v21
	v_cndmask_b32_e32 v20, v20, v25, vcc
	v_lshlrev_b32_e32 v20, 2, v20
	ds_bpermute_b32 v16, v20, v16
	ds_bpermute_b32 v17, v20, v17
	; wave barrier
	s_waitcnt lgkmcnt(0)
	v_cmp_gt_u64_e32 vcc, v[16:17], v[14:15]
	v_cndmask_b32_e32 v14, v14, v16, vcc
	v_cndmask_b32_e32 v15, v15, v17, vcc
	v_cmp_eq_u32_e32 vcc, 0, v0
	v_cndmask_b32_e32 v15, v15, v19, vcc
	v_cndmask_b32_e32 v14, v14, v18, vcc
	ds_write_b64 v24, v[14:15]
	; wave barrier
	ds_read_b64 v[16:17], v24 offset:8
	s_waitcnt lgkmcnt(0)
	v_cmp_gt_u64_e32 vcc, v[14:15], v[16:17]
	v_cndmask_b32_e32 v15, v17, v15, vcc
	v_cndmask_b32_e32 v14, v16, v14, vcc
	ds_write_b64 v24, v[14:15] offset:8
.LBB3397_18:
	s_or_b64 exec, exec, s[2:3]
	v_mul_u32_u24_e32 v16, 48, v0
	v_cmp_ne_u32_e32 vcc, 0, v0
	v_pk_mov_b32 v[14:15], s[4:5], s[4:5] op_sel:[0,1]
	s_waitcnt lgkmcnt(0)
	s_barrier
	s_and_saveexec_b64 s[0:1], vcc
	s_cbranch_execz .LBB3397_20
; %bb.19:
	v_add_u32_e32 v0, -1, v0
	v_lshrrev_b32_e32 v14, 5, v0
	v_add_lshl_u32 v0, v14, v0, 3
	ds_read_b64 v[14:15], v0
	v_mov_b32_e32 v0, s5
	s_waitcnt lgkmcnt(0)
	v_cmp_gt_u64_e32 vcc, s[4:5], v[14:15]
	v_cndmask_b32_e32 v15, v15, v0, vcc
	v_mov_b32_e32 v0, s4
	v_cndmask_b32_e32 v14, v14, v0, vcc
.LBB3397_20:
	s_or_b64 exec, exec, s[0:1]
	v_cmp_gt_u64_e32 vcc, v[14:15], v[10:11]
	v_cndmask_b32_e32 v11, v11, v15, vcc
	v_cndmask_b32_e32 v10, v10, v14, vcc
	v_cmp_gt_u64_e32 vcc, v[10:11], v[12:13]
	v_cndmask_b32_e32 v13, v13, v11, vcc
	v_cndmask_b32_e32 v12, v12, v10, vcc
	v_cmp_gt_u64_e32 vcc, v[12:13], v[6:7]
	v_cndmask_b32_e32 v7, v7, v13, vcc
	v_cndmask_b32_e32 v6, v6, v12, vcc
	v_cmp_gt_u64_e32 vcc, v[6:7], v[8:9]
	v_cndmask_b32_e32 v9, v9, v7, vcc
	v_cndmask_b32_e32 v8, v8, v6, vcc
	v_cmp_gt_u64_e32 vcc, v[8:9], v[2:3]
	v_cndmask_b32_e32 v3, v3, v9, vcc
	v_cndmask_b32_e32 v2, v2, v8, vcc
	v_cmp_gt_u64_e32 vcc, v[2:3], v[4:5]
	v_add_u32_e32 v0, v1, v16
	v_cndmask_b32_e32 v5, v5, v3, vcc
	v_cndmask_b32_e32 v4, v4, v2, vcc
	s_barrier
	ds_write2_b64 v0, v[14:15], v[10:11] offset1:1
	ds_write2_b64 v0, v[12:13], v[6:7] offset0:2 offset1:3
	ds_write2_b64 v0, v[8:9], v[2:3] offset0:4 offset1:5
	ds_write_b64 v0, v[4:5] offset:48
	s_waitcnt lgkmcnt(0)
	s_barrier
	s_endpgm
	.section	.rodata,"a",@progbits
	.p2align	6, 0x0
	.amdhsa_kernel _ZN7rocprim17ROCPRIM_400000_NS6detail17trampoline_kernelINS0_14default_configENS1_20scan_config_selectorIyEEZZNS1_9scan_implILNS1_25lookback_scan_determinismE0ELb1ELb1ES3_N6thrust23THRUST_200600_302600_NS6detail15normal_iteratorINS9_10device_ptrIyEEEENS9_16discard_iteratorINS9_11use_defaultEEEy11max_functorIyEyEEDaPvRmT3_T4_T5_mT6_P12ihipStream_tbENKUlT_T0_E_clISt17integral_constantIbLb1EESW_IbLb0EEEEDaSS_ST_EUlSS_E0_NS1_11comp_targetILNS1_3genE4ELNS1_11target_archE910ELNS1_3gpuE8ELNS1_3repE0EEENS1_30default_config_static_selectorELNS0_4arch9wavefront6targetE1EEEvT1_
		.amdhsa_group_segment_fixed_size 7168
		.amdhsa_private_segment_fixed_size 0
		.amdhsa_kernarg_size 48
		.amdhsa_user_sgpr_count 6
		.amdhsa_user_sgpr_private_segment_buffer 1
		.amdhsa_user_sgpr_dispatch_ptr 0
		.amdhsa_user_sgpr_queue_ptr 0
		.amdhsa_user_sgpr_kernarg_segment_ptr 1
		.amdhsa_user_sgpr_dispatch_id 0
		.amdhsa_user_sgpr_flat_scratch_init 0
		.amdhsa_user_sgpr_kernarg_preload_length 0
		.amdhsa_user_sgpr_kernarg_preload_offset 0
		.amdhsa_user_sgpr_private_segment_size 0
		.amdhsa_uses_dynamic_stack 0
		.amdhsa_system_sgpr_private_segment_wavefront_offset 0
		.amdhsa_system_sgpr_workgroup_id_x 1
		.amdhsa_system_sgpr_workgroup_id_y 0
		.amdhsa_system_sgpr_workgroup_id_z 0
		.amdhsa_system_sgpr_workgroup_info 0
		.amdhsa_system_vgpr_workitem_id 0
		.amdhsa_next_free_vgpr 29
		.amdhsa_next_free_sgpr 10
		.amdhsa_accum_offset 32
		.amdhsa_reserve_vcc 1
		.amdhsa_reserve_flat_scratch 0
		.amdhsa_float_round_mode_32 0
		.amdhsa_float_round_mode_16_64 0
		.amdhsa_float_denorm_mode_32 3
		.amdhsa_float_denorm_mode_16_64 3
		.amdhsa_dx10_clamp 1
		.amdhsa_ieee_mode 1
		.amdhsa_fp16_overflow 0
		.amdhsa_tg_split 0
		.amdhsa_exception_fp_ieee_invalid_op 0
		.amdhsa_exception_fp_denorm_src 0
		.amdhsa_exception_fp_ieee_div_zero 0
		.amdhsa_exception_fp_ieee_overflow 0
		.amdhsa_exception_fp_ieee_underflow 0
		.amdhsa_exception_fp_ieee_inexact 0
		.amdhsa_exception_int_div_zero 0
	.end_amdhsa_kernel
	.section	.text._ZN7rocprim17ROCPRIM_400000_NS6detail17trampoline_kernelINS0_14default_configENS1_20scan_config_selectorIyEEZZNS1_9scan_implILNS1_25lookback_scan_determinismE0ELb1ELb1ES3_N6thrust23THRUST_200600_302600_NS6detail15normal_iteratorINS9_10device_ptrIyEEEENS9_16discard_iteratorINS9_11use_defaultEEEy11max_functorIyEyEEDaPvRmT3_T4_T5_mT6_P12ihipStream_tbENKUlT_T0_E_clISt17integral_constantIbLb1EESW_IbLb0EEEEDaSS_ST_EUlSS_E0_NS1_11comp_targetILNS1_3genE4ELNS1_11target_archE910ELNS1_3gpuE8ELNS1_3repE0EEENS1_30default_config_static_selectorELNS0_4arch9wavefront6targetE1EEEvT1_,"axG",@progbits,_ZN7rocprim17ROCPRIM_400000_NS6detail17trampoline_kernelINS0_14default_configENS1_20scan_config_selectorIyEEZZNS1_9scan_implILNS1_25lookback_scan_determinismE0ELb1ELb1ES3_N6thrust23THRUST_200600_302600_NS6detail15normal_iteratorINS9_10device_ptrIyEEEENS9_16discard_iteratorINS9_11use_defaultEEEy11max_functorIyEyEEDaPvRmT3_T4_T5_mT6_P12ihipStream_tbENKUlT_T0_E_clISt17integral_constantIbLb1EESW_IbLb0EEEEDaSS_ST_EUlSS_E0_NS1_11comp_targetILNS1_3genE4ELNS1_11target_archE910ELNS1_3gpuE8ELNS1_3repE0EEENS1_30default_config_static_selectorELNS0_4arch9wavefront6targetE1EEEvT1_,comdat
.Lfunc_end3397:
	.size	_ZN7rocprim17ROCPRIM_400000_NS6detail17trampoline_kernelINS0_14default_configENS1_20scan_config_selectorIyEEZZNS1_9scan_implILNS1_25lookback_scan_determinismE0ELb1ELb1ES3_N6thrust23THRUST_200600_302600_NS6detail15normal_iteratorINS9_10device_ptrIyEEEENS9_16discard_iteratorINS9_11use_defaultEEEy11max_functorIyEyEEDaPvRmT3_T4_T5_mT6_P12ihipStream_tbENKUlT_T0_E_clISt17integral_constantIbLb1EESW_IbLb0EEEEDaSS_ST_EUlSS_E0_NS1_11comp_targetILNS1_3genE4ELNS1_11target_archE910ELNS1_3gpuE8ELNS1_3repE0EEENS1_30default_config_static_selectorELNS0_4arch9wavefront6targetE1EEEvT1_, .Lfunc_end3397-_ZN7rocprim17ROCPRIM_400000_NS6detail17trampoline_kernelINS0_14default_configENS1_20scan_config_selectorIyEEZZNS1_9scan_implILNS1_25lookback_scan_determinismE0ELb1ELb1ES3_N6thrust23THRUST_200600_302600_NS6detail15normal_iteratorINS9_10device_ptrIyEEEENS9_16discard_iteratorINS9_11use_defaultEEEy11max_functorIyEyEEDaPvRmT3_T4_T5_mT6_P12ihipStream_tbENKUlT_T0_E_clISt17integral_constantIbLb1EESW_IbLb0EEEEDaSS_ST_EUlSS_E0_NS1_11comp_targetILNS1_3genE4ELNS1_11target_archE910ELNS1_3gpuE8ELNS1_3repE0EEENS1_30default_config_static_selectorELNS0_4arch9wavefront6targetE1EEEvT1_
                                        ; -- End function
	.section	.AMDGPU.csdata,"",@progbits
; Kernel info:
; codeLenInByte = 1188
; NumSgprs: 14
; NumVgprs: 29
; NumAgprs: 0
; TotalNumVgprs: 29
; ScratchSize: 0
; MemoryBound: 0
; FloatMode: 240
; IeeeMode: 1
; LDSByteSize: 7168 bytes/workgroup (compile time only)
; SGPRBlocks: 1
; VGPRBlocks: 3
; NumSGPRsForWavesPerEU: 14
; NumVGPRsForWavesPerEU: 29
; AccumOffset: 32
; Occupancy: 5
; WaveLimiterHint : 0
; COMPUTE_PGM_RSRC2:SCRATCH_EN: 0
; COMPUTE_PGM_RSRC2:USER_SGPR: 6
; COMPUTE_PGM_RSRC2:TRAP_HANDLER: 0
; COMPUTE_PGM_RSRC2:TGID_X_EN: 1
; COMPUTE_PGM_RSRC2:TGID_Y_EN: 0
; COMPUTE_PGM_RSRC2:TGID_Z_EN: 0
; COMPUTE_PGM_RSRC2:TIDIG_COMP_CNT: 0
; COMPUTE_PGM_RSRC3_GFX90A:ACCUM_OFFSET: 7
; COMPUTE_PGM_RSRC3_GFX90A:TG_SPLIT: 0
	.section	.text._ZN7rocprim17ROCPRIM_400000_NS6detail17trampoline_kernelINS0_14default_configENS1_20scan_config_selectorIyEEZZNS1_9scan_implILNS1_25lookback_scan_determinismE0ELb1ELb1ES3_N6thrust23THRUST_200600_302600_NS6detail15normal_iteratorINS9_10device_ptrIyEEEENS9_16discard_iteratorINS9_11use_defaultEEEy11max_functorIyEyEEDaPvRmT3_T4_T5_mT6_P12ihipStream_tbENKUlT_T0_E_clISt17integral_constantIbLb1EESW_IbLb0EEEEDaSS_ST_EUlSS_E0_NS1_11comp_targetILNS1_3genE3ELNS1_11target_archE908ELNS1_3gpuE7ELNS1_3repE0EEENS1_30default_config_static_selectorELNS0_4arch9wavefront6targetE1EEEvT1_,"axG",@progbits,_ZN7rocprim17ROCPRIM_400000_NS6detail17trampoline_kernelINS0_14default_configENS1_20scan_config_selectorIyEEZZNS1_9scan_implILNS1_25lookback_scan_determinismE0ELb1ELb1ES3_N6thrust23THRUST_200600_302600_NS6detail15normal_iteratorINS9_10device_ptrIyEEEENS9_16discard_iteratorINS9_11use_defaultEEEy11max_functorIyEyEEDaPvRmT3_T4_T5_mT6_P12ihipStream_tbENKUlT_T0_E_clISt17integral_constantIbLb1EESW_IbLb0EEEEDaSS_ST_EUlSS_E0_NS1_11comp_targetILNS1_3genE3ELNS1_11target_archE908ELNS1_3gpuE7ELNS1_3repE0EEENS1_30default_config_static_selectorELNS0_4arch9wavefront6targetE1EEEvT1_,comdat
	.protected	_ZN7rocprim17ROCPRIM_400000_NS6detail17trampoline_kernelINS0_14default_configENS1_20scan_config_selectorIyEEZZNS1_9scan_implILNS1_25lookback_scan_determinismE0ELb1ELb1ES3_N6thrust23THRUST_200600_302600_NS6detail15normal_iteratorINS9_10device_ptrIyEEEENS9_16discard_iteratorINS9_11use_defaultEEEy11max_functorIyEyEEDaPvRmT3_T4_T5_mT6_P12ihipStream_tbENKUlT_T0_E_clISt17integral_constantIbLb1EESW_IbLb0EEEEDaSS_ST_EUlSS_E0_NS1_11comp_targetILNS1_3genE3ELNS1_11target_archE908ELNS1_3gpuE7ELNS1_3repE0EEENS1_30default_config_static_selectorELNS0_4arch9wavefront6targetE1EEEvT1_ ; -- Begin function _ZN7rocprim17ROCPRIM_400000_NS6detail17trampoline_kernelINS0_14default_configENS1_20scan_config_selectorIyEEZZNS1_9scan_implILNS1_25lookback_scan_determinismE0ELb1ELb1ES3_N6thrust23THRUST_200600_302600_NS6detail15normal_iteratorINS9_10device_ptrIyEEEENS9_16discard_iteratorINS9_11use_defaultEEEy11max_functorIyEyEEDaPvRmT3_T4_T5_mT6_P12ihipStream_tbENKUlT_T0_E_clISt17integral_constantIbLb1EESW_IbLb0EEEEDaSS_ST_EUlSS_E0_NS1_11comp_targetILNS1_3genE3ELNS1_11target_archE908ELNS1_3gpuE7ELNS1_3repE0EEENS1_30default_config_static_selectorELNS0_4arch9wavefront6targetE1EEEvT1_
	.globl	_ZN7rocprim17ROCPRIM_400000_NS6detail17trampoline_kernelINS0_14default_configENS1_20scan_config_selectorIyEEZZNS1_9scan_implILNS1_25lookback_scan_determinismE0ELb1ELb1ES3_N6thrust23THRUST_200600_302600_NS6detail15normal_iteratorINS9_10device_ptrIyEEEENS9_16discard_iteratorINS9_11use_defaultEEEy11max_functorIyEyEEDaPvRmT3_T4_T5_mT6_P12ihipStream_tbENKUlT_T0_E_clISt17integral_constantIbLb1EESW_IbLb0EEEEDaSS_ST_EUlSS_E0_NS1_11comp_targetILNS1_3genE3ELNS1_11target_archE908ELNS1_3gpuE7ELNS1_3repE0EEENS1_30default_config_static_selectorELNS0_4arch9wavefront6targetE1EEEvT1_
	.p2align	8
	.type	_ZN7rocprim17ROCPRIM_400000_NS6detail17trampoline_kernelINS0_14default_configENS1_20scan_config_selectorIyEEZZNS1_9scan_implILNS1_25lookback_scan_determinismE0ELb1ELb1ES3_N6thrust23THRUST_200600_302600_NS6detail15normal_iteratorINS9_10device_ptrIyEEEENS9_16discard_iteratorINS9_11use_defaultEEEy11max_functorIyEyEEDaPvRmT3_T4_T5_mT6_P12ihipStream_tbENKUlT_T0_E_clISt17integral_constantIbLb1EESW_IbLb0EEEEDaSS_ST_EUlSS_E0_NS1_11comp_targetILNS1_3genE3ELNS1_11target_archE908ELNS1_3gpuE7ELNS1_3repE0EEENS1_30default_config_static_selectorELNS0_4arch9wavefront6targetE1EEEvT1_,@function
_ZN7rocprim17ROCPRIM_400000_NS6detail17trampoline_kernelINS0_14default_configENS1_20scan_config_selectorIyEEZZNS1_9scan_implILNS1_25lookback_scan_determinismE0ELb1ELb1ES3_N6thrust23THRUST_200600_302600_NS6detail15normal_iteratorINS9_10device_ptrIyEEEENS9_16discard_iteratorINS9_11use_defaultEEEy11max_functorIyEyEEDaPvRmT3_T4_T5_mT6_P12ihipStream_tbENKUlT_T0_E_clISt17integral_constantIbLb1EESW_IbLb0EEEEDaSS_ST_EUlSS_E0_NS1_11comp_targetILNS1_3genE3ELNS1_11target_archE908ELNS1_3gpuE7ELNS1_3repE0EEENS1_30default_config_static_selectorELNS0_4arch9wavefront6targetE1EEEvT1_: ; @_ZN7rocprim17ROCPRIM_400000_NS6detail17trampoline_kernelINS0_14default_configENS1_20scan_config_selectorIyEEZZNS1_9scan_implILNS1_25lookback_scan_determinismE0ELb1ELb1ES3_N6thrust23THRUST_200600_302600_NS6detail15normal_iteratorINS9_10device_ptrIyEEEENS9_16discard_iteratorINS9_11use_defaultEEEy11max_functorIyEyEEDaPvRmT3_T4_T5_mT6_P12ihipStream_tbENKUlT_T0_E_clISt17integral_constantIbLb1EESW_IbLb0EEEEDaSS_ST_EUlSS_E0_NS1_11comp_targetILNS1_3genE3ELNS1_11target_archE908ELNS1_3gpuE7ELNS1_3repE0EEENS1_30default_config_static_selectorELNS0_4arch9wavefront6targetE1EEEvT1_
; %bb.0:
	.section	.rodata,"a",@progbits
	.p2align	6, 0x0
	.amdhsa_kernel _ZN7rocprim17ROCPRIM_400000_NS6detail17trampoline_kernelINS0_14default_configENS1_20scan_config_selectorIyEEZZNS1_9scan_implILNS1_25lookback_scan_determinismE0ELb1ELb1ES3_N6thrust23THRUST_200600_302600_NS6detail15normal_iteratorINS9_10device_ptrIyEEEENS9_16discard_iteratorINS9_11use_defaultEEEy11max_functorIyEyEEDaPvRmT3_T4_T5_mT6_P12ihipStream_tbENKUlT_T0_E_clISt17integral_constantIbLb1EESW_IbLb0EEEEDaSS_ST_EUlSS_E0_NS1_11comp_targetILNS1_3genE3ELNS1_11target_archE908ELNS1_3gpuE7ELNS1_3repE0EEENS1_30default_config_static_selectorELNS0_4arch9wavefront6targetE1EEEvT1_
		.amdhsa_group_segment_fixed_size 0
		.amdhsa_private_segment_fixed_size 0
		.amdhsa_kernarg_size 48
		.amdhsa_user_sgpr_count 6
		.amdhsa_user_sgpr_private_segment_buffer 1
		.amdhsa_user_sgpr_dispatch_ptr 0
		.amdhsa_user_sgpr_queue_ptr 0
		.amdhsa_user_sgpr_kernarg_segment_ptr 1
		.amdhsa_user_sgpr_dispatch_id 0
		.amdhsa_user_sgpr_flat_scratch_init 0
		.amdhsa_user_sgpr_kernarg_preload_length 0
		.amdhsa_user_sgpr_kernarg_preload_offset 0
		.amdhsa_user_sgpr_private_segment_size 0
		.amdhsa_uses_dynamic_stack 0
		.amdhsa_system_sgpr_private_segment_wavefront_offset 0
		.amdhsa_system_sgpr_workgroup_id_x 1
		.amdhsa_system_sgpr_workgroup_id_y 0
		.amdhsa_system_sgpr_workgroup_id_z 0
		.amdhsa_system_sgpr_workgroup_info 0
		.amdhsa_system_vgpr_workitem_id 0
		.amdhsa_next_free_vgpr 1
		.amdhsa_next_free_sgpr 0
		.amdhsa_accum_offset 4
		.amdhsa_reserve_vcc 0
		.amdhsa_reserve_flat_scratch 0
		.amdhsa_float_round_mode_32 0
		.amdhsa_float_round_mode_16_64 0
		.amdhsa_float_denorm_mode_32 3
		.amdhsa_float_denorm_mode_16_64 3
		.amdhsa_dx10_clamp 1
		.amdhsa_ieee_mode 1
		.amdhsa_fp16_overflow 0
		.amdhsa_tg_split 0
		.amdhsa_exception_fp_ieee_invalid_op 0
		.amdhsa_exception_fp_denorm_src 0
		.amdhsa_exception_fp_ieee_div_zero 0
		.amdhsa_exception_fp_ieee_overflow 0
		.amdhsa_exception_fp_ieee_underflow 0
		.amdhsa_exception_fp_ieee_inexact 0
		.amdhsa_exception_int_div_zero 0
	.end_amdhsa_kernel
	.section	.text._ZN7rocprim17ROCPRIM_400000_NS6detail17trampoline_kernelINS0_14default_configENS1_20scan_config_selectorIyEEZZNS1_9scan_implILNS1_25lookback_scan_determinismE0ELb1ELb1ES3_N6thrust23THRUST_200600_302600_NS6detail15normal_iteratorINS9_10device_ptrIyEEEENS9_16discard_iteratorINS9_11use_defaultEEEy11max_functorIyEyEEDaPvRmT3_T4_T5_mT6_P12ihipStream_tbENKUlT_T0_E_clISt17integral_constantIbLb1EESW_IbLb0EEEEDaSS_ST_EUlSS_E0_NS1_11comp_targetILNS1_3genE3ELNS1_11target_archE908ELNS1_3gpuE7ELNS1_3repE0EEENS1_30default_config_static_selectorELNS0_4arch9wavefront6targetE1EEEvT1_,"axG",@progbits,_ZN7rocprim17ROCPRIM_400000_NS6detail17trampoline_kernelINS0_14default_configENS1_20scan_config_selectorIyEEZZNS1_9scan_implILNS1_25lookback_scan_determinismE0ELb1ELb1ES3_N6thrust23THRUST_200600_302600_NS6detail15normal_iteratorINS9_10device_ptrIyEEEENS9_16discard_iteratorINS9_11use_defaultEEEy11max_functorIyEyEEDaPvRmT3_T4_T5_mT6_P12ihipStream_tbENKUlT_T0_E_clISt17integral_constantIbLb1EESW_IbLb0EEEEDaSS_ST_EUlSS_E0_NS1_11comp_targetILNS1_3genE3ELNS1_11target_archE908ELNS1_3gpuE7ELNS1_3repE0EEENS1_30default_config_static_selectorELNS0_4arch9wavefront6targetE1EEEvT1_,comdat
.Lfunc_end3398:
	.size	_ZN7rocprim17ROCPRIM_400000_NS6detail17trampoline_kernelINS0_14default_configENS1_20scan_config_selectorIyEEZZNS1_9scan_implILNS1_25lookback_scan_determinismE0ELb1ELb1ES3_N6thrust23THRUST_200600_302600_NS6detail15normal_iteratorINS9_10device_ptrIyEEEENS9_16discard_iteratorINS9_11use_defaultEEEy11max_functorIyEyEEDaPvRmT3_T4_T5_mT6_P12ihipStream_tbENKUlT_T0_E_clISt17integral_constantIbLb1EESW_IbLb0EEEEDaSS_ST_EUlSS_E0_NS1_11comp_targetILNS1_3genE3ELNS1_11target_archE908ELNS1_3gpuE7ELNS1_3repE0EEENS1_30default_config_static_selectorELNS0_4arch9wavefront6targetE1EEEvT1_, .Lfunc_end3398-_ZN7rocprim17ROCPRIM_400000_NS6detail17trampoline_kernelINS0_14default_configENS1_20scan_config_selectorIyEEZZNS1_9scan_implILNS1_25lookback_scan_determinismE0ELb1ELb1ES3_N6thrust23THRUST_200600_302600_NS6detail15normal_iteratorINS9_10device_ptrIyEEEENS9_16discard_iteratorINS9_11use_defaultEEEy11max_functorIyEyEEDaPvRmT3_T4_T5_mT6_P12ihipStream_tbENKUlT_T0_E_clISt17integral_constantIbLb1EESW_IbLb0EEEEDaSS_ST_EUlSS_E0_NS1_11comp_targetILNS1_3genE3ELNS1_11target_archE908ELNS1_3gpuE7ELNS1_3repE0EEENS1_30default_config_static_selectorELNS0_4arch9wavefront6targetE1EEEvT1_
                                        ; -- End function
	.section	.AMDGPU.csdata,"",@progbits
; Kernel info:
; codeLenInByte = 0
; NumSgprs: 4
; NumVgprs: 0
; NumAgprs: 0
; TotalNumVgprs: 0
; ScratchSize: 0
; MemoryBound: 0
; FloatMode: 240
; IeeeMode: 1
; LDSByteSize: 0 bytes/workgroup (compile time only)
; SGPRBlocks: 0
; VGPRBlocks: 0
; NumSGPRsForWavesPerEU: 4
; NumVGPRsForWavesPerEU: 1
; AccumOffset: 4
; Occupancy: 8
; WaveLimiterHint : 0
; COMPUTE_PGM_RSRC2:SCRATCH_EN: 0
; COMPUTE_PGM_RSRC2:USER_SGPR: 6
; COMPUTE_PGM_RSRC2:TRAP_HANDLER: 0
; COMPUTE_PGM_RSRC2:TGID_X_EN: 1
; COMPUTE_PGM_RSRC2:TGID_Y_EN: 0
; COMPUTE_PGM_RSRC2:TGID_Z_EN: 0
; COMPUTE_PGM_RSRC2:TIDIG_COMP_CNT: 0
; COMPUTE_PGM_RSRC3_GFX90A:ACCUM_OFFSET: 0
; COMPUTE_PGM_RSRC3_GFX90A:TG_SPLIT: 0
	.section	.text._ZN7rocprim17ROCPRIM_400000_NS6detail17trampoline_kernelINS0_14default_configENS1_20scan_config_selectorIyEEZZNS1_9scan_implILNS1_25lookback_scan_determinismE0ELb1ELb1ES3_N6thrust23THRUST_200600_302600_NS6detail15normal_iteratorINS9_10device_ptrIyEEEENS9_16discard_iteratorINS9_11use_defaultEEEy11max_functorIyEyEEDaPvRmT3_T4_T5_mT6_P12ihipStream_tbENKUlT_T0_E_clISt17integral_constantIbLb1EESW_IbLb0EEEEDaSS_ST_EUlSS_E0_NS1_11comp_targetILNS1_3genE2ELNS1_11target_archE906ELNS1_3gpuE6ELNS1_3repE0EEENS1_30default_config_static_selectorELNS0_4arch9wavefront6targetE1EEEvT1_,"axG",@progbits,_ZN7rocprim17ROCPRIM_400000_NS6detail17trampoline_kernelINS0_14default_configENS1_20scan_config_selectorIyEEZZNS1_9scan_implILNS1_25lookback_scan_determinismE0ELb1ELb1ES3_N6thrust23THRUST_200600_302600_NS6detail15normal_iteratorINS9_10device_ptrIyEEEENS9_16discard_iteratorINS9_11use_defaultEEEy11max_functorIyEyEEDaPvRmT3_T4_T5_mT6_P12ihipStream_tbENKUlT_T0_E_clISt17integral_constantIbLb1EESW_IbLb0EEEEDaSS_ST_EUlSS_E0_NS1_11comp_targetILNS1_3genE2ELNS1_11target_archE906ELNS1_3gpuE6ELNS1_3repE0EEENS1_30default_config_static_selectorELNS0_4arch9wavefront6targetE1EEEvT1_,comdat
	.protected	_ZN7rocprim17ROCPRIM_400000_NS6detail17trampoline_kernelINS0_14default_configENS1_20scan_config_selectorIyEEZZNS1_9scan_implILNS1_25lookback_scan_determinismE0ELb1ELb1ES3_N6thrust23THRUST_200600_302600_NS6detail15normal_iteratorINS9_10device_ptrIyEEEENS9_16discard_iteratorINS9_11use_defaultEEEy11max_functorIyEyEEDaPvRmT3_T4_T5_mT6_P12ihipStream_tbENKUlT_T0_E_clISt17integral_constantIbLb1EESW_IbLb0EEEEDaSS_ST_EUlSS_E0_NS1_11comp_targetILNS1_3genE2ELNS1_11target_archE906ELNS1_3gpuE6ELNS1_3repE0EEENS1_30default_config_static_selectorELNS0_4arch9wavefront6targetE1EEEvT1_ ; -- Begin function _ZN7rocprim17ROCPRIM_400000_NS6detail17trampoline_kernelINS0_14default_configENS1_20scan_config_selectorIyEEZZNS1_9scan_implILNS1_25lookback_scan_determinismE0ELb1ELb1ES3_N6thrust23THRUST_200600_302600_NS6detail15normal_iteratorINS9_10device_ptrIyEEEENS9_16discard_iteratorINS9_11use_defaultEEEy11max_functorIyEyEEDaPvRmT3_T4_T5_mT6_P12ihipStream_tbENKUlT_T0_E_clISt17integral_constantIbLb1EESW_IbLb0EEEEDaSS_ST_EUlSS_E0_NS1_11comp_targetILNS1_3genE2ELNS1_11target_archE906ELNS1_3gpuE6ELNS1_3repE0EEENS1_30default_config_static_selectorELNS0_4arch9wavefront6targetE1EEEvT1_
	.globl	_ZN7rocprim17ROCPRIM_400000_NS6detail17trampoline_kernelINS0_14default_configENS1_20scan_config_selectorIyEEZZNS1_9scan_implILNS1_25lookback_scan_determinismE0ELb1ELb1ES3_N6thrust23THRUST_200600_302600_NS6detail15normal_iteratorINS9_10device_ptrIyEEEENS9_16discard_iteratorINS9_11use_defaultEEEy11max_functorIyEyEEDaPvRmT3_T4_T5_mT6_P12ihipStream_tbENKUlT_T0_E_clISt17integral_constantIbLb1EESW_IbLb0EEEEDaSS_ST_EUlSS_E0_NS1_11comp_targetILNS1_3genE2ELNS1_11target_archE906ELNS1_3gpuE6ELNS1_3repE0EEENS1_30default_config_static_selectorELNS0_4arch9wavefront6targetE1EEEvT1_
	.p2align	8
	.type	_ZN7rocprim17ROCPRIM_400000_NS6detail17trampoline_kernelINS0_14default_configENS1_20scan_config_selectorIyEEZZNS1_9scan_implILNS1_25lookback_scan_determinismE0ELb1ELb1ES3_N6thrust23THRUST_200600_302600_NS6detail15normal_iteratorINS9_10device_ptrIyEEEENS9_16discard_iteratorINS9_11use_defaultEEEy11max_functorIyEyEEDaPvRmT3_T4_T5_mT6_P12ihipStream_tbENKUlT_T0_E_clISt17integral_constantIbLb1EESW_IbLb0EEEEDaSS_ST_EUlSS_E0_NS1_11comp_targetILNS1_3genE2ELNS1_11target_archE906ELNS1_3gpuE6ELNS1_3repE0EEENS1_30default_config_static_selectorELNS0_4arch9wavefront6targetE1EEEvT1_,@function
_ZN7rocprim17ROCPRIM_400000_NS6detail17trampoline_kernelINS0_14default_configENS1_20scan_config_selectorIyEEZZNS1_9scan_implILNS1_25lookback_scan_determinismE0ELb1ELb1ES3_N6thrust23THRUST_200600_302600_NS6detail15normal_iteratorINS9_10device_ptrIyEEEENS9_16discard_iteratorINS9_11use_defaultEEEy11max_functorIyEyEEDaPvRmT3_T4_T5_mT6_P12ihipStream_tbENKUlT_T0_E_clISt17integral_constantIbLb1EESW_IbLb0EEEEDaSS_ST_EUlSS_E0_NS1_11comp_targetILNS1_3genE2ELNS1_11target_archE906ELNS1_3gpuE6ELNS1_3repE0EEENS1_30default_config_static_selectorELNS0_4arch9wavefront6targetE1EEEvT1_: ; @_ZN7rocprim17ROCPRIM_400000_NS6detail17trampoline_kernelINS0_14default_configENS1_20scan_config_selectorIyEEZZNS1_9scan_implILNS1_25lookback_scan_determinismE0ELb1ELb1ES3_N6thrust23THRUST_200600_302600_NS6detail15normal_iteratorINS9_10device_ptrIyEEEENS9_16discard_iteratorINS9_11use_defaultEEEy11max_functorIyEyEEDaPvRmT3_T4_T5_mT6_P12ihipStream_tbENKUlT_T0_E_clISt17integral_constantIbLb1EESW_IbLb0EEEEDaSS_ST_EUlSS_E0_NS1_11comp_targetILNS1_3genE2ELNS1_11target_archE906ELNS1_3gpuE6ELNS1_3repE0EEENS1_30default_config_static_selectorELNS0_4arch9wavefront6targetE1EEEvT1_
; %bb.0:
	.section	.rodata,"a",@progbits
	.p2align	6, 0x0
	.amdhsa_kernel _ZN7rocprim17ROCPRIM_400000_NS6detail17trampoline_kernelINS0_14default_configENS1_20scan_config_selectorIyEEZZNS1_9scan_implILNS1_25lookback_scan_determinismE0ELb1ELb1ES3_N6thrust23THRUST_200600_302600_NS6detail15normal_iteratorINS9_10device_ptrIyEEEENS9_16discard_iteratorINS9_11use_defaultEEEy11max_functorIyEyEEDaPvRmT3_T4_T5_mT6_P12ihipStream_tbENKUlT_T0_E_clISt17integral_constantIbLb1EESW_IbLb0EEEEDaSS_ST_EUlSS_E0_NS1_11comp_targetILNS1_3genE2ELNS1_11target_archE906ELNS1_3gpuE6ELNS1_3repE0EEENS1_30default_config_static_selectorELNS0_4arch9wavefront6targetE1EEEvT1_
		.amdhsa_group_segment_fixed_size 0
		.amdhsa_private_segment_fixed_size 0
		.amdhsa_kernarg_size 48
		.amdhsa_user_sgpr_count 6
		.amdhsa_user_sgpr_private_segment_buffer 1
		.amdhsa_user_sgpr_dispatch_ptr 0
		.amdhsa_user_sgpr_queue_ptr 0
		.amdhsa_user_sgpr_kernarg_segment_ptr 1
		.amdhsa_user_sgpr_dispatch_id 0
		.amdhsa_user_sgpr_flat_scratch_init 0
		.amdhsa_user_sgpr_kernarg_preload_length 0
		.amdhsa_user_sgpr_kernarg_preload_offset 0
		.amdhsa_user_sgpr_private_segment_size 0
		.amdhsa_uses_dynamic_stack 0
		.amdhsa_system_sgpr_private_segment_wavefront_offset 0
		.amdhsa_system_sgpr_workgroup_id_x 1
		.amdhsa_system_sgpr_workgroup_id_y 0
		.amdhsa_system_sgpr_workgroup_id_z 0
		.amdhsa_system_sgpr_workgroup_info 0
		.amdhsa_system_vgpr_workitem_id 0
		.amdhsa_next_free_vgpr 1
		.amdhsa_next_free_sgpr 0
		.amdhsa_accum_offset 4
		.amdhsa_reserve_vcc 0
		.amdhsa_reserve_flat_scratch 0
		.amdhsa_float_round_mode_32 0
		.amdhsa_float_round_mode_16_64 0
		.amdhsa_float_denorm_mode_32 3
		.amdhsa_float_denorm_mode_16_64 3
		.amdhsa_dx10_clamp 1
		.amdhsa_ieee_mode 1
		.amdhsa_fp16_overflow 0
		.amdhsa_tg_split 0
		.amdhsa_exception_fp_ieee_invalid_op 0
		.amdhsa_exception_fp_denorm_src 0
		.amdhsa_exception_fp_ieee_div_zero 0
		.amdhsa_exception_fp_ieee_overflow 0
		.amdhsa_exception_fp_ieee_underflow 0
		.amdhsa_exception_fp_ieee_inexact 0
		.amdhsa_exception_int_div_zero 0
	.end_amdhsa_kernel
	.section	.text._ZN7rocprim17ROCPRIM_400000_NS6detail17trampoline_kernelINS0_14default_configENS1_20scan_config_selectorIyEEZZNS1_9scan_implILNS1_25lookback_scan_determinismE0ELb1ELb1ES3_N6thrust23THRUST_200600_302600_NS6detail15normal_iteratorINS9_10device_ptrIyEEEENS9_16discard_iteratorINS9_11use_defaultEEEy11max_functorIyEyEEDaPvRmT3_T4_T5_mT6_P12ihipStream_tbENKUlT_T0_E_clISt17integral_constantIbLb1EESW_IbLb0EEEEDaSS_ST_EUlSS_E0_NS1_11comp_targetILNS1_3genE2ELNS1_11target_archE906ELNS1_3gpuE6ELNS1_3repE0EEENS1_30default_config_static_selectorELNS0_4arch9wavefront6targetE1EEEvT1_,"axG",@progbits,_ZN7rocprim17ROCPRIM_400000_NS6detail17trampoline_kernelINS0_14default_configENS1_20scan_config_selectorIyEEZZNS1_9scan_implILNS1_25lookback_scan_determinismE0ELb1ELb1ES3_N6thrust23THRUST_200600_302600_NS6detail15normal_iteratorINS9_10device_ptrIyEEEENS9_16discard_iteratorINS9_11use_defaultEEEy11max_functorIyEyEEDaPvRmT3_T4_T5_mT6_P12ihipStream_tbENKUlT_T0_E_clISt17integral_constantIbLb1EESW_IbLb0EEEEDaSS_ST_EUlSS_E0_NS1_11comp_targetILNS1_3genE2ELNS1_11target_archE906ELNS1_3gpuE6ELNS1_3repE0EEENS1_30default_config_static_selectorELNS0_4arch9wavefront6targetE1EEEvT1_,comdat
.Lfunc_end3399:
	.size	_ZN7rocprim17ROCPRIM_400000_NS6detail17trampoline_kernelINS0_14default_configENS1_20scan_config_selectorIyEEZZNS1_9scan_implILNS1_25lookback_scan_determinismE0ELb1ELb1ES3_N6thrust23THRUST_200600_302600_NS6detail15normal_iteratorINS9_10device_ptrIyEEEENS9_16discard_iteratorINS9_11use_defaultEEEy11max_functorIyEyEEDaPvRmT3_T4_T5_mT6_P12ihipStream_tbENKUlT_T0_E_clISt17integral_constantIbLb1EESW_IbLb0EEEEDaSS_ST_EUlSS_E0_NS1_11comp_targetILNS1_3genE2ELNS1_11target_archE906ELNS1_3gpuE6ELNS1_3repE0EEENS1_30default_config_static_selectorELNS0_4arch9wavefront6targetE1EEEvT1_, .Lfunc_end3399-_ZN7rocprim17ROCPRIM_400000_NS6detail17trampoline_kernelINS0_14default_configENS1_20scan_config_selectorIyEEZZNS1_9scan_implILNS1_25lookback_scan_determinismE0ELb1ELb1ES3_N6thrust23THRUST_200600_302600_NS6detail15normal_iteratorINS9_10device_ptrIyEEEENS9_16discard_iteratorINS9_11use_defaultEEEy11max_functorIyEyEEDaPvRmT3_T4_T5_mT6_P12ihipStream_tbENKUlT_T0_E_clISt17integral_constantIbLb1EESW_IbLb0EEEEDaSS_ST_EUlSS_E0_NS1_11comp_targetILNS1_3genE2ELNS1_11target_archE906ELNS1_3gpuE6ELNS1_3repE0EEENS1_30default_config_static_selectorELNS0_4arch9wavefront6targetE1EEEvT1_
                                        ; -- End function
	.section	.AMDGPU.csdata,"",@progbits
; Kernel info:
; codeLenInByte = 0
; NumSgprs: 4
; NumVgprs: 0
; NumAgprs: 0
; TotalNumVgprs: 0
; ScratchSize: 0
; MemoryBound: 0
; FloatMode: 240
; IeeeMode: 1
; LDSByteSize: 0 bytes/workgroup (compile time only)
; SGPRBlocks: 0
; VGPRBlocks: 0
; NumSGPRsForWavesPerEU: 4
; NumVGPRsForWavesPerEU: 1
; AccumOffset: 4
; Occupancy: 8
; WaveLimiterHint : 0
; COMPUTE_PGM_RSRC2:SCRATCH_EN: 0
; COMPUTE_PGM_RSRC2:USER_SGPR: 6
; COMPUTE_PGM_RSRC2:TRAP_HANDLER: 0
; COMPUTE_PGM_RSRC2:TGID_X_EN: 1
; COMPUTE_PGM_RSRC2:TGID_Y_EN: 0
; COMPUTE_PGM_RSRC2:TGID_Z_EN: 0
; COMPUTE_PGM_RSRC2:TIDIG_COMP_CNT: 0
; COMPUTE_PGM_RSRC3_GFX90A:ACCUM_OFFSET: 0
; COMPUTE_PGM_RSRC3_GFX90A:TG_SPLIT: 0
	.section	.text._ZN7rocprim17ROCPRIM_400000_NS6detail17trampoline_kernelINS0_14default_configENS1_20scan_config_selectorIyEEZZNS1_9scan_implILNS1_25lookback_scan_determinismE0ELb1ELb1ES3_N6thrust23THRUST_200600_302600_NS6detail15normal_iteratorINS9_10device_ptrIyEEEENS9_16discard_iteratorINS9_11use_defaultEEEy11max_functorIyEyEEDaPvRmT3_T4_T5_mT6_P12ihipStream_tbENKUlT_T0_E_clISt17integral_constantIbLb1EESW_IbLb0EEEEDaSS_ST_EUlSS_E0_NS1_11comp_targetILNS1_3genE10ELNS1_11target_archE1201ELNS1_3gpuE5ELNS1_3repE0EEENS1_30default_config_static_selectorELNS0_4arch9wavefront6targetE1EEEvT1_,"axG",@progbits,_ZN7rocprim17ROCPRIM_400000_NS6detail17trampoline_kernelINS0_14default_configENS1_20scan_config_selectorIyEEZZNS1_9scan_implILNS1_25lookback_scan_determinismE0ELb1ELb1ES3_N6thrust23THRUST_200600_302600_NS6detail15normal_iteratorINS9_10device_ptrIyEEEENS9_16discard_iteratorINS9_11use_defaultEEEy11max_functorIyEyEEDaPvRmT3_T4_T5_mT6_P12ihipStream_tbENKUlT_T0_E_clISt17integral_constantIbLb1EESW_IbLb0EEEEDaSS_ST_EUlSS_E0_NS1_11comp_targetILNS1_3genE10ELNS1_11target_archE1201ELNS1_3gpuE5ELNS1_3repE0EEENS1_30default_config_static_selectorELNS0_4arch9wavefront6targetE1EEEvT1_,comdat
	.protected	_ZN7rocprim17ROCPRIM_400000_NS6detail17trampoline_kernelINS0_14default_configENS1_20scan_config_selectorIyEEZZNS1_9scan_implILNS1_25lookback_scan_determinismE0ELb1ELb1ES3_N6thrust23THRUST_200600_302600_NS6detail15normal_iteratorINS9_10device_ptrIyEEEENS9_16discard_iteratorINS9_11use_defaultEEEy11max_functorIyEyEEDaPvRmT3_T4_T5_mT6_P12ihipStream_tbENKUlT_T0_E_clISt17integral_constantIbLb1EESW_IbLb0EEEEDaSS_ST_EUlSS_E0_NS1_11comp_targetILNS1_3genE10ELNS1_11target_archE1201ELNS1_3gpuE5ELNS1_3repE0EEENS1_30default_config_static_selectorELNS0_4arch9wavefront6targetE1EEEvT1_ ; -- Begin function _ZN7rocprim17ROCPRIM_400000_NS6detail17trampoline_kernelINS0_14default_configENS1_20scan_config_selectorIyEEZZNS1_9scan_implILNS1_25lookback_scan_determinismE0ELb1ELb1ES3_N6thrust23THRUST_200600_302600_NS6detail15normal_iteratorINS9_10device_ptrIyEEEENS9_16discard_iteratorINS9_11use_defaultEEEy11max_functorIyEyEEDaPvRmT3_T4_T5_mT6_P12ihipStream_tbENKUlT_T0_E_clISt17integral_constantIbLb1EESW_IbLb0EEEEDaSS_ST_EUlSS_E0_NS1_11comp_targetILNS1_3genE10ELNS1_11target_archE1201ELNS1_3gpuE5ELNS1_3repE0EEENS1_30default_config_static_selectorELNS0_4arch9wavefront6targetE1EEEvT1_
	.globl	_ZN7rocprim17ROCPRIM_400000_NS6detail17trampoline_kernelINS0_14default_configENS1_20scan_config_selectorIyEEZZNS1_9scan_implILNS1_25lookback_scan_determinismE0ELb1ELb1ES3_N6thrust23THRUST_200600_302600_NS6detail15normal_iteratorINS9_10device_ptrIyEEEENS9_16discard_iteratorINS9_11use_defaultEEEy11max_functorIyEyEEDaPvRmT3_T4_T5_mT6_P12ihipStream_tbENKUlT_T0_E_clISt17integral_constantIbLb1EESW_IbLb0EEEEDaSS_ST_EUlSS_E0_NS1_11comp_targetILNS1_3genE10ELNS1_11target_archE1201ELNS1_3gpuE5ELNS1_3repE0EEENS1_30default_config_static_selectorELNS0_4arch9wavefront6targetE1EEEvT1_
	.p2align	8
	.type	_ZN7rocprim17ROCPRIM_400000_NS6detail17trampoline_kernelINS0_14default_configENS1_20scan_config_selectorIyEEZZNS1_9scan_implILNS1_25lookback_scan_determinismE0ELb1ELb1ES3_N6thrust23THRUST_200600_302600_NS6detail15normal_iteratorINS9_10device_ptrIyEEEENS9_16discard_iteratorINS9_11use_defaultEEEy11max_functorIyEyEEDaPvRmT3_T4_T5_mT6_P12ihipStream_tbENKUlT_T0_E_clISt17integral_constantIbLb1EESW_IbLb0EEEEDaSS_ST_EUlSS_E0_NS1_11comp_targetILNS1_3genE10ELNS1_11target_archE1201ELNS1_3gpuE5ELNS1_3repE0EEENS1_30default_config_static_selectorELNS0_4arch9wavefront6targetE1EEEvT1_,@function
_ZN7rocprim17ROCPRIM_400000_NS6detail17trampoline_kernelINS0_14default_configENS1_20scan_config_selectorIyEEZZNS1_9scan_implILNS1_25lookback_scan_determinismE0ELb1ELb1ES3_N6thrust23THRUST_200600_302600_NS6detail15normal_iteratorINS9_10device_ptrIyEEEENS9_16discard_iteratorINS9_11use_defaultEEEy11max_functorIyEyEEDaPvRmT3_T4_T5_mT6_P12ihipStream_tbENKUlT_T0_E_clISt17integral_constantIbLb1EESW_IbLb0EEEEDaSS_ST_EUlSS_E0_NS1_11comp_targetILNS1_3genE10ELNS1_11target_archE1201ELNS1_3gpuE5ELNS1_3repE0EEENS1_30default_config_static_selectorELNS0_4arch9wavefront6targetE1EEEvT1_: ; @_ZN7rocprim17ROCPRIM_400000_NS6detail17trampoline_kernelINS0_14default_configENS1_20scan_config_selectorIyEEZZNS1_9scan_implILNS1_25lookback_scan_determinismE0ELb1ELb1ES3_N6thrust23THRUST_200600_302600_NS6detail15normal_iteratorINS9_10device_ptrIyEEEENS9_16discard_iteratorINS9_11use_defaultEEEy11max_functorIyEyEEDaPvRmT3_T4_T5_mT6_P12ihipStream_tbENKUlT_T0_E_clISt17integral_constantIbLb1EESW_IbLb0EEEEDaSS_ST_EUlSS_E0_NS1_11comp_targetILNS1_3genE10ELNS1_11target_archE1201ELNS1_3gpuE5ELNS1_3repE0EEENS1_30default_config_static_selectorELNS0_4arch9wavefront6targetE1EEEvT1_
; %bb.0:
	.section	.rodata,"a",@progbits
	.p2align	6, 0x0
	.amdhsa_kernel _ZN7rocprim17ROCPRIM_400000_NS6detail17trampoline_kernelINS0_14default_configENS1_20scan_config_selectorIyEEZZNS1_9scan_implILNS1_25lookback_scan_determinismE0ELb1ELb1ES3_N6thrust23THRUST_200600_302600_NS6detail15normal_iteratorINS9_10device_ptrIyEEEENS9_16discard_iteratorINS9_11use_defaultEEEy11max_functorIyEyEEDaPvRmT3_T4_T5_mT6_P12ihipStream_tbENKUlT_T0_E_clISt17integral_constantIbLb1EESW_IbLb0EEEEDaSS_ST_EUlSS_E0_NS1_11comp_targetILNS1_3genE10ELNS1_11target_archE1201ELNS1_3gpuE5ELNS1_3repE0EEENS1_30default_config_static_selectorELNS0_4arch9wavefront6targetE1EEEvT1_
		.amdhsa_group_segment_fixed_size 0
		.amdhsa_private_segment_fixed_size 0
		.amdhsa_kernarg_size 48
		.amdhsa_user_sgpr_count 6
		.amdhsa_user_sgpr_private_segment_buffer 1
		.amdhsa_user_sgpr_dispatch_ptr 0
		.amdhsa_user_sgpr_queue_ptr 0
		.amdhsa_user_sgpr_kernarg_segment_ptr 1
		.amdhsa_user_sgpr_dispatch_id 0
		.amdhsa_user_sgpr_flat_scratch_init 0
		.amdhsa_user_sgpr_kernarg_preload_length 0
		.amdhsa_user_sgpr_kernarg_preload_offset 0
		.amdhsa_user_sgpr_private_segment_size 0
		.amdhsa_uses_dynamic_stack 0
		.amdhsa_system_sgpr_private_segment_wavefront_offset 0
		.amdhsa_system_sgpr_workgroup_id_x 1
		.amdhsa_system_sgpr_workgroup_id_y 0
		.amdhsa_system_sgpr_workgroup_id_z 0
		.amdhsa_system_sgpr_workgroup_info 0
		.amdhsa_system_vgpr_workitem_id 0
		.amdhsa_next_free_vgpr 1
		.amdhsa_next_free_sgpr 0
		.amdhsa_accum_offset 4
		.amdhsa_reserve_vcc 0
		.amdhsa_reserve_flat_scratch 0
		.amdhsa_float_round_mode_32 0
		.amdhsa_float_round_mode_16_64 0
		.amdhsa_float_denorm_mode_32 3
		.amdhsa_float_denorm_mode_16_64 3
		.amdhsa_dx10_clamp 1
		.amdhsa_ieee_mode 1
		.amdhsa_fp16_overflow 0
		.amdhsa_tg_split 0
		.amdhsa_exception_fp_ieee_invalid_op 0
		.amdhsa_exception_fp_denorm_src 0
		.amdhsa_exception_fp_ieee_div_zero 0
		.amdhsa_exception_fp_ieee_overflow 0
		.amdhsa_exception_fp_ieee_underflow 0
		.amdhsa_exception_fp_ieee_inexact 0
		.amdhsa_exception_int_div_zero 0
	.end_amdhsa_kernel
	.section	.text._ZN7rocprim17ROCPRIM_400000_NS6detail17trampoline_kernelINS0_14default_configENS1_20scan_config_selectorIyEEZZNS1_9scan_implILNS1_25lookback_scan_determinismE0ELb1ELb1ES3_N6thrust23THRUST_200600_302600_NS6detail15normal_iteratorINS9_10device_ptrIyEEEENS9_16discard_iteratorINS9_11use_defaultEEEy11max_functorIyEyEEDaPvRmT3_T4_T5_mT6_P12ihipStream_tbENKUlT_T0_E_clISt17integral_constantIbLb1EESW_IbLb0EEEEDaSS_ST_EUlSS_E0_NS1_11comp_targetILNS1_3genE10ELNS1_11target_archE1201ELNS1_3gpuE5ELNS1_3repE0EEENS1_30default_config_static_selectorELNS0_4arch9wavefront6targetE1EEEvT1_,"axG",@progbits,_ZN7rocprim17ROCPRIM_400000_NS6detail17trampoline_kernelINS0_14default_configENS1_20scan_config_selectorIyEEZZNS1_9scan_implILNS1_25lookback_scan_determinismE0ELb1ELb1ES3_N6thrust23THRUST_200600_302600_NS6detail15normal_iteratorINS9_10device_ptrIyEEEENS9_16discard_iteratorINS9_11use_defaultEEEy11max_functorIyEyEEDaPvRmT3_T4_T5_mT6_P12ihipStream_tbENKUlT_T0_E_clISt17integral_constantIbLb1EESW_IbLb0EEEEDaSS_ST_EUlSS_E0_NS1_11comp_targetILNS1_3genE10ELNS1_11target_archE1201ELNS1_3gpuE5ELNS1_3repE0EEENS1_30default_config_static_selectorELNS0_4arch9wavefront6targetE1EEEvT1_,comdat
.Lfunc_end3400:
	.size	_ZN7rocprim17ROCPRIM_400000_NS6detail17trampoline_kernelINS0_14default_configENS1_20scan_config_selectorIyEEZZNS1_9scan_implILNS1_25lookback_scan_determinismE0ELb1ELb1ES3_N6thrust23THRUST_200600_302600_NS6detail15normal_iteratorINS9_10device_ptrIyEEEENS9_16discard_iteratorINS9_11use_defaultEEEy11max_functorIyEyEEDaPvRmT3_T4_T5_mT6_P12ihipStream_tbENKUlT_T0_E_clISt17integral_constantIbLb1EESW_IbLb0EEEEDaSS_ST_EUlSS_E0_NS1_11comp_targetILNS1_3genE10ELNS1_11target_archE1201ELNS1_3gpuE5ELNS1_3repE0EEENS1_30default_config_static_selectorELNS0_4arch9wavefront6targetE1EEEvT1_, .Lfunc_end3400-_ZN7rocprim17ROCPRIM_400000_NS6detail17trampoline_kernelINS0_14default_configENS1_20scan_config_selectorIyEEZZNS1_9scan_implILNS1_25lookback_scan_determinismE0ELb1ELb1ES3_N6thrust23THRUST_200600_302600_NS6detail15normal_iteratorINS9_10device_ptrIyEEEENS9_16discard_iteratorINS9_11use_defaultEEEy11max_functorIyEyEEDaPvRmT3_T4_T5_mT6_P12ihipStream_tbENKUlT_T0_E_clISt17integral_constantIbLb1EESW_IbLb0EEEEDaSS_ST_EUlSS_E0_NS1_11comp_targetILNS1_3genE10ELNS1_11target_archE1201ELNS1_3gpuE5ELNS1_3repE0EEENS1_30default_config_static_selectorELNS0_4arch9wavefront6targetE1EEEvT1_
                                        ; -- End function
	.section	.AMDGPU.csdata,"",@progbits
; Kernel info:
; codeLenInByte = 0
; NumSgprs: 4
; NumVgprs: 0
; NumAgprs: 0
; TotalNumVgprs: 0
; ScratchSize: 0
; MemoryBound: 0
; FloatMode: 240
; IeeeMode: 1
; LDSByteSize: 0 bytes/workgroup (compile time only)
; SGPRBlocks: 0
; VGPRBlocks: 0
; NumSGPRsForWavesPerEU: 4
; NumVGPRsForWavesPerEU: 1
; AccumOffset: 4
; Occupancy: 8
; WaveLimiterHint : 0
; COMPUTE_PGM_RSRC2:SCRATCH_EN: 0
; COMPUTE_PGM_RSRC2:USER_SGPR: 6
; COMPUTE_PGM_RSRC2:TRAP_HANDLER: 0
; COMPUTE_PGM_RSRC2:TGID_X_EN: 1
; COMPUTE_PGM_RSRC2:TGID_Y_EN: 0
; COMPUTE_PGM_RSRC2:TGID_Z_EN: 0
; COMPUTE_PGM_RSRC2:TIDIG_COMP_CNT: 0
; COMPUTE_PGM_RSRC3_GFX90A:ACCUM_OFFSET: 0
; COMPUTE_PGM_RSRC3_GFX90A:TG_SPLIT: 0
	.section	.text._ZN7rocprim17ROCPRIM_400000_NS6detail17trampoline_kernelINS0_14default_configENS1_20scan_config_selectorIyEEZZNS1_9scan_implILNS1_25lookback_scan_determinismE0ELb1ELb1ES3_N6thrust23THRUST_200600_302600_NS6detail15normal_iteratorINS9_10device_ptrIyEEEENS9_16discard_iteratorINS9_11use_defaultEEEy11max_functorIyEyEEDaPvRmT3_T4_T5_mT6_P12ihipStream_tbENKUlT_T0_E_clISt17integral_constantIbLb1EESW_IbLb0EEEEDaSS_ST_EUlSS_E0_NS1_11comp_targetILNS1_3genE10ELNS1_11target_archE1200ELNS1_3gpuE4ELNS1_3repE0EEENS1_30default_config_static_selectorELNS0_4arch9wavefront6targetE1EEEvT1_,"axG",@progbits,_ZN7rocprim17ROCPRIM_400000_NS6detail17trampoline_kernelINS0_14default_configENS1_20scan_config_selectorIyEEZZNS1_9scan_implILNS1_25lookback_scan_determinismE0ELb1ELb1ES3_N6thrust23THRUST_200600_302600_NS6detail15normal_iteratorINS9_10device_ptrIyEEEENS9_16discard_iteratorINS9_11use_defaultEEEy11max_functorIyEyEEDaPvRmT3_T4_T5_mT6_P12ihipStream_tbENKUlT_T0_E_clISt17integral_constantIbLb1EESW_IbLb0EEEEDaSS_ST_EUlSS_E0_NS1_11comp_targetILNS1_3genE10ELNS1_11target_archE1200ELNS1_3gpuE4ELNS1_3repE0EEENS1_30default_config_static_selectorELNS0_4arch9wavefront6targetE1EEEvT1_,comdat
	.protected	_ZN7rocprim17ROCPRIM_400000_NS6detail17trampoline_kernelINS0_14default_configENS1_20scan_config_selectorIyEEZZNS1_9scan_implILNS1_25lookback_scan_determinismE0ELb1ELb1ES3_N6thrust23THRUST_200600_302600_NS6detail15normal_iteratorINS9_10device_ptrIyEEEENS9_16discard_iteratorINS9_11use_defaultEEEy11max_functorIyEyEEDaPvRmT3_T4_T5_mT6_P12ihipStream_tbENKUlT_T0_E_clISt17integral_constantIbLb1EESW_IbLb0EEEEDaSS_ST_EUlSS_E0_NS1_11comp_targetILNS1_3genE10ELNS1_11target_archE1200ELNS1_3gpuE4ELNS1_3repE0EEENS1_30default_config_static_selectorELNS0_4arch9wavefront6targetE1EEEvT1_ ; -- Begin function _ZN7rocprim17ROCPRIM_400000_NS6detail17trampoline_kernelINS0_14default_configENS1_20scan_config_selectorIyEEZZNS1_9scan_implILNS1_25lookback_scan_determinismE0ELb1ELb1ES3_N6thrust23THRUST_200600_302600_NS6detail15normal_iteratorINS9_10device_ptrIyEEEENS9_16discard_iteratorINS9_11use_defaultEEEy11max_functorIyEyEEDaPvRmT3_T4_T5_mT6_P12ihipStream_tbENKUlT_T0_E_clISt17integral_constantIbLb1EESW_IbLb0EEEEDaSS_ST_EUlSS_E0_NS1_11comp_targetILNS1_3genE10ELNS1_11target_archE1200ELNS1_3gpuE4ELNS1_3repE0EEENS1_30default_config_static_selectorELNS0_4arch9wavefront6targetE1EEEvT1_
	.globl	_ZN7rocprim17ROCPRIM_400000_NS6detail17trampoline_kernelINS0_14default_configENS1_20scan_config_selectorIyEEZZNS1_9scan_implILNS1_25lookback_scan_determinismE0ELb1ELb1ES3_N6thrust23THRUST_200600_302600_NS6detail15normal_iteratorINS9_10device_ptrIyEEEENS9_16discard_iteratorINS9_11use_defaultEEEy11max_functorIyEyEEDaPvRmT3_T4_T5_mT6_P12ihipStream_tbENKUlT_T0_E_clISt17integral_constantIbLb1EESW_IbLb0EEEEDaSS_ST_EUlSS_E0_NS1_11comp_targetILNS1_3genE10ELNS1_11target_archE1200ELNS1_3gpuE4ELNS1_3repE0EEENS1_30default_config_static_selectorELNS0_4arch9wavefront6targetE1EEEvT1_
	.p2align	8
	.type	_ZN7rocprim17ROCPRIM_400000_NS6detail17trampoline_kernelINS0_14default_configENS1_20scan_config_selectorIyEEZZNS1_9scan_implILNS1_25lookback_scan_determinismE0ELb1ELb1ES3_N6thrust23THRUST_200600_302600_NS6detail15normal_iteratorINS9_10device_ptrIyEEEENS9_16discard_iteratorINS9_11use_defaultEEEy11max_functorIyEyEEDaPvRmT3_T4_T5_mT6_P12ihipStream_tbENKUlT_T0_E_clISt17integral_constantIbLb1EESW_IbLb0EEEEDaSS_ST_EUlSS_E0_NS1_11comp_targetILNS1_3genE10ELNS1_11target_archE1200ELNS1_3gpuE4ELNS1_3repE0EEENS1_30default_config_static_selectorELNS0_4arch9wavefront6targetE1EEEvT1_,@function
_ZN7rocprim17ROCPRIM_400000_NS6detail17trampoline_kernelINS0_14default_configENS1_20scan_config_selectorIyEEZZNS1_9scan_implILNS1_25lookback_scan_determinismE0ELb1ELb1ES3_N6thrust23THRUST_200600_302600_NS6detail15normal_iteratorINS9_10device_ptrIyEEEENS9_16discard_iteratorINS9_11use_defaultEEEy11max_functorIyEyEEDaPvRmT3_T4_T5_mT6_P12ihipStream_tbENKUlT_T0_E_clISt17integral_constantIbLb1EESW_IbLb0EEEEDaSS_ST_EUlSS_E0_NS1_11comp_targetILNS1_3genE10ELNS1_11target_archE1200ELNS1_3gpuE4ELNS1_3repE0EEENS1_30default_config_static_selectorELNS0_4arch9wavefront6targetE1EEEvT1_: ; @_ZN7rocprim17ROCPRIM_400000_NS6detail17trampoline_kernelINS0_14default_configENS1_20scan_config_selectorIyEEZZNS1_9scan_implILNS1_25lookback_scan_determinismE0ELb1ELb1ES3_N6thrust23THRUST_200600_302600_NS6detail15normal_iteratorINS9_10device_ptrIyEEEENS9_16discard_iteratorINS9_11use_defaultEEEy11max_functorIyEyEEDaPvRmT3_T4_T5_mT6_P12ihipStream_tbENKUlT_T0_E_clISt17integral_constantIbLb1EESW_IbLb0EEEEDaSS_ST_EUlSS_E0_NS1_11comp_targetILNS1_3genE10ELNS1_11target_archE1200ELNS1_3gpuE4ELNS1_3repE0EEENS1_30default_config_static_selectorELNS0_4arch9wavefront6targetE1EEEvT1_
; %bb.0:
	.section	.rodata,"a",@progbits
	.p2align	6, 0x0
	.amdhsa_kernel _ZN7rocprim17ROCPRIM_400000_NS6detail17trampoline_kernelINS0_14default_configENS1_20scan_config_selectorIyEEZZNS1_9scan_implILNS1_25lookback_scan_determinismE0ELb1ELb1ES3_N6thrust23THRUST_200600_302600_NS6detail15normal_iteratorINS9_10device_ptrIyEEEENS9_16discard_iteratorINS9_11use_defaultEEEy11max_functorIyEyEEDaPvRmT3_T4_T5_mT6_P12ihipStream_tbENKUlT_T0_E_clISt17integral_constantIbLb1EESW_IbLb0EEEEDaSS_ST_EUlSS_E0_NS1_11comp_targetILNS1_3genE10ELNS1_11target_archE1200ELNS1_3gpuE4ELNS1_3repE0EEENS1_30default_config_static_selectorELNS0_4arch9wavefront6targetE1EEEvT1_
		.amdhsa_group_segment_fixed_size 0
		.amdhsa_private_segment_fixed_size 0
		.amdhsa_kernarg_size 48
		.amdhsa_user_sgpr_count 6
		.amdhsa_user_sgpr_private_segment_buffer 1
		.amdhsa_user_sgpr_dispatch_ptr 0
		.amdhsa_user_sgpr_queue_ptr 0
		.amdhsa_user_sgpr_kernarg_segment_ptr 1
		.amdhsa_user_sgpr_dispatch_id 0
		.amdhsa_user_sgpr_flat_scratch_init 0
		.amdhsa_user_sgpr_kernarg_preload_length 0
		.amdhsa_user_sgpr_kernarg_preload_offset 0
		.amdhsa_user_sgpr_private_segment_size 0
		.amdhsa_uses_dynamic_stack 0
		.amdhsa_system_sgpr_private_segment_wavefront_offset 0
		.amdhsa_system_sgpr_workgroup_id_x 1
		.amdhsa_system_sgpr_workgroup_id_y 0
		.amdhsa_system_sgpr_workgroup_id_z 0
		.amdhsa_system_sgpr_workgroup_info 0
		.amdhsa_system_vgpr_workitem_id 0
		.amdhsa_next_free_vgpr 1
		.amdhsa_next_free_sgpr 0
		.amdhsa_accum_offset 4
		.amdhsa_reserve_vcc 0
		.amdhsa_reserve_flat_scratch 0
		.amdhsa_float_round_mode_32 0
		.amdhsa_float_round_mode_16_64 0
		.amdhsa_float_denorm_mode_32 3
		.amdhsa_float_denorm_mode_16_64 3
		.amdhsa_dx10_clamp 1
		.amdhsa_ieee_mode 1
		.amdhsa_fp16_overflow 0
		.amdhsa_tg_split 0
		.amdhsa_exception_fp_ieee_invalid_op 0
		.amdhsa_exception_fp_denorm_src 0
		.amdhsa_exception_fp_ieee_div_zero 0
		.amdhsa_exception_fp_ieee_overflow 0
		.amdhsa_exception_fp_ieee_underflow 0
		.amdhsa_exception_fp_ieee_inexact 0
		.amdhsa_exception_int_div_zero 0
	.end_amdhsa_kernel
	.section	.text._ZN7rocprim17ROCPRIM_400000_NS6detail17trampoline_kernelINS0_14default_configENS1_20scan_config_selectorIyEEZZNS1_9scan_implILNS1_25lookback_scan_determinismE0ELb1ELb1ES3_N6thrust23THRUST_200600_302600_NS6detail15normal_iteratorINS9_10device_ptrIyEEEENS9_16discard_iteratorINS9_11use_defaultEEEy11max_functorIyEyEEDaPvRmT3_T4_T5_mT6_P12ihipStream_tbENKUlT_T0_E_clISt17integral_constantIbLb1EESW_IbLb0EEEEDaSS_ST_EUlSS_E0_NS1_11comp_targetILNS1_3genE10ELNS1_11target_archE1200ELNS1_3gpuE4ELNS1_3repE0EEENS1_30default_config_static_selectorELNS0_4arch9wavefront6targetE1EEEvT1_,"axG",@progbits,_ZN7rocprim17ROCPRIM_400000_NS6detail17trampoline_kernelINS0_14default_configENS1_20scan_config_selectorIyEEZZNS1_9scan_implILNS1_25lookback_scan_determinismE0ELb1ELb1ES3_N6thrust23THRUST_200600_302600_NS6detail15normal_iteratorINS9_10device_ptrIyEEEENS9_16discard_iteratorINS9_11use_defaultEEEy11max_functorIyEyEEDaPvRmT3_T4_T5_mT6_P12ihipStream_tbENKUlT_T0_E_clISt17integral_constantIbLb1EESW_IbLb0EEEEDaSS_ST_EUlSS_E0_NS1_11comp_targetILNS1_3genE10ELNS1_11target_archE1200ELNS1_3gpuE4ELNS1_3repE0EEENS1_30default_config_static_selectorELNS0_4arch9wavefront6targetE1EEEvT1_,comdat
.Lfunc_end3401:
	.size	_ZN7rocprim17ROCPRIM_400000_NS6detail17trampoline_kernelINS0_14default_configENS1_20scan_config_selectorIyEEZZNS1_9scan_implILNS1_25lookback_scan_determinismE0ELb1ELb1ES3_N6thrust23THRUST_200600_302600_NS6detail15normal_iteratorINS9_10device_ptrIyEEEENS9_16discard_iteratorINS9_11use_defaultEEEy11max_functorIyEyEEDaPvRmT3_T4_T5_mT6_P12ihipStream_tbENKUlT_T0_E_clISt17integral_constantIbLb1EESW_IbLb0EEEEDaSS_ST_EUlSS_E0_NS1_11comp_targetILNS1_3genE10ELNS1_11target_archE1200ELNS1_3gpuE4ELNS1_3repE0EEENS1_30default_config_static_selectorELNS0_4arch9wavefront6targetE1EEEvT1_, .Lfunc_end3401-_ZN7rocprim17ROCPRIM_400000_NS6detail17trampoline_kernelINS0_14default_configENS1_20scan_config_selectorIyEEZZNS1_9scan_implILNS1_25lookback_scan_determinismE0ELb1ELb1ES3_N6thrust23THRUST_200600_302600_NS6detail15normal_iteratorINS9_10device_ptrIyEEEENS9_16discard_iteratorINS9_11use_defaultEEEy11max_functorIyEyEEDaPvRmT3_T4_T5_mT6_P12ihipStream_tbENKUlT_T0_E_clISt17integral_constantIbLb1EESW_IbLb0EEEEDaSS_ST_EUlSS_E0_NS1_11comp_targetILNS1_3genE10ELNS1_11target_archE1200ELNS1_3gpuE4ELNS1_3repE0EEENS1_30default_config_static_selectorELNS0_4arch9wavefront6targetE1EEEvT1_
                                        ; -- End function
	.section	.AMDGPU.csdata,"",@progbits
; Kernel info:
; codeLenInByte = 0
; NumSgprs: 4
; NumVgprs: 0
; NumAgprs: 0
; TotalNumVgprs: 0
; ScratchSize: 0
; MemoryBound: 0
; FloatMode: 240
; IeeeMode: 1
; LDSByteSize: 0 bytes/workgroup (compile time only)
; SGPRBlocks: 0
; VGPRBlocks: 0
; NumSGPRsForWavesPerEU: 4
; NumVGPRsForWavesPerEU: 1
; AccumOffset: 4
; Occupancy: 8
; WaveLimiterHint : 0
; COMPUTE_PGM_RSRC2:SCRATCH_EN: 0
; COMPUTE_PGM_RSRC2:USER_SGPR: 6
; COMPUTE_PGM_RSRC2:TRAP_HANDLER: 0
; COMPUTE_PGM_RSRC2:TGID_X_EN: 1
; COMPUTE_PGM_RSRC2:TGID_Y_EN: 0
; COMPUTE_PGM_RSRC2:TGID_Z_EN: 0
; COMPUTE_PGM_RSRC2:TIDIG_COMP_CNT: 0
; COMPUTE_PGM_RSRC3_GFX90A:ACCUM_OFFSET: 0
; COMPUTE_PGM_RSRC3_GFX90A:TG_SPLIT: 0
	.section	.text._ZN7rocprim17ROCPRIM_400000_NS6detail17trampoline_kernelINS0_14default_configENS1_20scan_config_selectorIyEEZZNS1_9scan_implILNS1_25lookback_scan_determinismE0ELb1ELb1ES3_N6thrust23THRUST_200600_302600_NS6detail15normal_iteratorINS9_10device_ptrIyEEEENS9_16discard_iteratorINS9_11use_defaultEEEy11max_functorIyEyEEDaPvRmT3_T4_T5_mT6_P12ihipStream_tbENKUlT_T0_E_clISt17integral_constantIbLb1EESW_IbLb0EEEEDaSS_ST_EUlSS_E0_NS1_11comp_targetILNS1_3genE9ELNS1_11target_archE1100ELNS1_3gpuE3ELNS1_3repE0EEENS1_30default_config_static_selectorELNS0_4arch9wavefront6targetE1EEEvT1_,"axG",@progbits,_ZN7rocprim17ROCPRIM_400000_NS6detail17trampoline_kernelINS0_14default_configENS1_20scan_config_selectorIyEEZZNS1_9scan_implILNS1_25lookback_scan_determinismE0ELb1ELb1ES3_N6thrust23THRUST_200600_302600_NS6detail15normal_iteratorINS9_10device_ptrIyEEEENS9_16discard_iteratorINS9_11use_defaultEEEy11max_functorIyEyEEDaPvRmT3_T4_T5_mT6_P12ihipStream_tbENKUlT_T0_E_clISt17integral_constantIbLb1EESW_IbLb0EEEEDaSS_ST_EUlSS_E0_NS1_11comp_targetILNS1_3genE9ELNS1_11target_archE1100ELNS1_3gpuE3ELNS1_3repE0EEENS1_30default_config_static_selectorELNS0_4arch9wavefront6targetE1EEEvT1_,comdat
	.protected	_ZN7rocprim17ROCPRIM_400000_NS6detail17trampoline_kernelINS0_14default_configENS1_20scan_config_selectorIyEEZZNS1_9scan_implILNS1_25lookback_scan_determinismE0ELb1ELb1ES3_N6thrust23THRUST_200600_302600_NS6detail15normal_iteratorINS9_10device_ptrIyEEEENS9_16discard_iteratorINS9_11use_defaultEEEy11max_functorIyEyEEDaPvRmT3_T4_T5_mT6_P12ihipStream_tbENKUlT_T0_E_clISt17integral_constantIbLb1EESW_IbLb0EEEEDaSS_ST_EUlSS_E0_NS1_11comp_targetILNS1_3genE9ELNS1_11target_archE1100ELNS1_3gpuE3ELNS1_3repE0EEENS1_30default_config_static_selectorELNS0_4arch9wavefront6targetE1EEEvT1_ ; -- Begin function _ZN7rocprim17ROCPRIM_400000_NS6detail17trampoline_kernelINS0_14default_configENS1_20scan_config_selectorIyEEZZNS1_9scan_implILNS1_25lookback_scan_determinismE0ELb1ELb1ES3_N6thrust23THRUST_200600_302600_NS6detail15normal_iteratorINS9_10device_ptrIyEEEENS9_16discard_iteratorINS9_11use_defaultEEEy11max_functorIyEyEEDaPvRmT3_T4_T5_mT6_P12ihipStream_tbENKUlT_T0_E_clISt17integral_constantIbLb1EESW_IbLb0EEEEDaSS_ST_EUlSS_E0_NS1_11comp_targetILNS1_3genE9ELNS1_11target_archE1100ELNS1_3gpuE3ELNS1_3repE0EEENS1_30default_config_static_selectorELNS0_4arch9wavefront6targetE1EEEvT1_
	.globl	_ZN7rocprim17ROCPRIM_400000_NS6detail17trampoline_kernelINS0_14default_configENS1_20scan_config_selectorIyEEZZNS1_9scan_implILNS1_25lookback_scan_determinismE0ELb1ELb1ES3_N6thrust23THRUST_200600_302600_NS6detail15normal_iteratorINS9_10device_ptrIyEEEENS9_16discard_iteratorINS9_11use_defaultEEEy11max_functorIyEyEEDaPvRmT3_T4_T5_mT6_P12ihipStream_tbENKUlT_T0_E_clISt17integral_constantIbLb1EESW_IbLb0EEEEDaSS_ST_EUlSS_E0_NS1_11comp_targetILNS1_3genE9ELNS1_11target_archE1100ELNS1_3gpuE3ELNS1_3repE0EEENS1_30default_config_static_selectorELNS0_4arch9wavefront6targetE1EEEvT1_
	.p2align	8
	.type	_ZN7rocprim17ROCPRIM_400000_NS6detail17trampoline_kernelINS0_14default_configENS1_20scan_config_selectorIyEEZZNS1_9scan_implILNS1_25lookback_scan_determinismE0ELb1ELb1ES3_N6thrust23THRUST_200600_302600_NS6detail15normal_iteratorINS9_10device_ptrIyEEEENS9_16discard_iteratorINS9_11use_defaultEEEy11max_functorIyEyEEDaPvRmT3_T4_T5_mT6_P12ihipStream_tbENKUlT_T0_E_clISt17integral_constantIbLb1EESW_IbLb0EEEEDaSS_ST_EUlSS_E0_NS1_11comp_targetILNS1_3genE9ELNS1_11target_archE1100ELNS1_3gpuE3ELNS1_3repE0EEENS1_30default_config_static_selectorELNS0_4arch9wavefront6targetE1EEEvT1_,@function
_ZN7rocprim17ROCPRIM_400000_NS6detail17trampoline_kernelINS0_14default_configENS1_20scan_config_selectorIyEEZZNS1_9scan_implILNS1_25lookback_scan_determinismE0ELb1ELb1ES3_N6thrust23THRUST_200600_302600_NS6detail15normal_iteratorINS9_10device_ptrIyEEEENS9_16discard_iteratorINS9_11use_defaultEEEy11max_functorIyEyEEDaPvRmT3_T4_T5_mT6_P12ihipStream_tbENKUlT_T0_E_clISt17integral_constantIbLb1EESW_IbLb0EEEEDaSS_ST_EUlSS_E0_NS1_11comp_targetILNS1_3genE9ELNS1_11target_archE1100ELNS1_3gpuE3ELNS1_3repE0EEENS1_30default_config_static_selectorELNS0_4arch9wavefront6targetE1EEEvT1_: ; @_ZN7rocprim17ROCPRIM_400000_NS6detail17trampoline_kernelINS0_14default_configENS1_20scan_config_selectorIyEEZZNS1_9scan_implILNS1_25lookback_scan_determinismE0ELb1ELb1ES3_N6thrust23THRUST_200600_302600_NS6detail15normal_iteratorINS9_10device_ptrIyEEEENS9_16discard_iteratorINS9_11use_defaultEEEy11max_functorIyEyEEDaPvRmT3_T4_T5_mT6_P12ihipStream_tbENKUlT_T0_E_clISt17integral_constantIbLb1EESW_IbLb0EEEEDaSS_ST_EUlSS_E0_NS1_11comp_targetILNS1_3genE9ELNS1_11target_archE1100ELNS1_3gpuE3ELNS1_3repE0EEENS1_30default_config_static_selectorELNS0_4arch9wavefront6targetE1EEEvT1_
; %bb.0:
	.section	.rodata,"a",@progbits
	.p2align	6, 0x0
	.amdhsa_kernel _ZN7rocprim17ROCPRIM_400000_NS6detail17trampoline_kernelINS0_14default_configENS1_20scan_config_selectorIyEEZZNS1_9scan_implILNS1_25lookback_scan_determinismE0ELb1ELb1ES3_N6thrust23THRUST_200600_302600_NS6detail15normal_iteratorINS9_10device_ptrIyEEEENS9_16discard_iteratorINS9_11use_defaultEEEy11max_functorIyEyEEDaPvRmT3_T4_T5_mT6_P12ihipStream_tbENKUlT_T0_E_clISt17integral_constantIbLb1EESW_IbLb0EEEEDaSS_ST_EUlSS_E0_NS1_11comp_targetILNS1_3genE9ELNS1_11target_archE1100ELNS1_3gpuE3ELNS1_3repE0EEENS1_30default_config_static_selectorELNS0_4arch9wavefront6targetE1EEEvT1_
		.amdhsa_group_segment_fixed_size 0
		.amdhsa_private_segment_fixed_size 0
		.amdhsa_kernarg_size 48
		.amdhsa_user_sgpr_count 6
		.amdhsa_user_sgpr_private_segment_buffer 1
		.amdhsa_user_sgpr_dispatch_ptr 0
		.amdhsa_user_sgpr_queue_ptr 0
		.amdhsa_user_sgpr_kernarg_segment_ptr 1
		.amdhsa_user_sgpr_dispatch_id 0
		.amdhsa_user_sgpr_flat_scratch_init 0
		.amdhsa_user_sgpr_kernarg_preload_length 0
		.amdhsa_user_sgpr_kernarg_preload_offset 0
		.amdhsa_user_sgpr_private_segment_size 0
		.amdhsa_uses_dynamic_stack 0
		.amdhsa_system_sgpr_private_segment_wavefront_offset 0
		.amdhsa_system_sgpr_workgroup_id_x 1
		.amdhsa_system_sgpr_workgroup_id_y 0
		.amdhsa_system_sgpr_workgroup_id_z 0
		.amdhsa_system_sgpr_workgroup_info 0
		.amdhsa_system_vgpr_workitem_id 0
		.amdhsa_next_free_vgpr 1
		.amdhsa_next_free_sgpr 0
		.amdhsa_accum_offset 4
		.amdhsa_reserve_vcc 0
		.amdhsa_reserve_flat_scratch 0
		.amdhsa_float_round_mode_32 0
		.amdhsa_float_round_mode_16_64 0
		.amdhsa_float_denorm_mode_32 3
		.amdhsa_float_denorm_mode_16_64 3
		.amdhsa_dx10_clamp 1
		.amdhsa_ieee_mode 1
		.amdhsa_fp16_overflow 0
		.amdhsa_tg_split 0
		.amdhsa_exception_fp_ieee_invalid_op 0
		.amdhsa_exception_fp_denorm_src 0
		.amdhsa_exception_fp_ieee_div_zero 0
		.amdhsa_exception_fp_ieee_overflow 0
		.amdhsa_exception_fp_ieee_underflow 0
		.amdhsa_exception_fp_ieee_inexact 0
		.amdhsa_exception_int_div_zero 0
	.end_amdhsa_kernel
	.section	.text._ZN7rocprim17ROCPRIM_400000_NS6detail17trampoline_kernelINS0_14default_configENS1_20scan_config_selectorIyEEZZNS1_9scan_implILNS1_25lookback_scan_determinismE0ELb1ELb1ES3_N6thrust23THRUST_200600_302600_NS6detail15normal_iteratorINS9_10device_ptrIyEEEENS9_16discard_iteratorINS9_11use_defaultEEEy11max_functorIyEyEEDaPvRmT3_T4_T5_mT6_P12ihipStream_tbENKUlT_T0_E_clISt17integral_constantIbLb1EESW_IbLb0EEEEDaSS_ST_EUlSS_E0_NS1_11comp_targetILNS1_3genE9ELNS1_11target_archE1100ELNS1_3gpuE3ELNS1_3repE0EEENS1_30default_config_static_selectorELNS0_4arch9wavefront6targetE1EEEvT1_,"axG",@progbits,_ZN7rocprim17ROCPRIM_400000_NS6detail17trampoline_kernelINS0_14default_configENS1_20scan_config_selectorIyEEZZNS1_9scan_implILNS1_25lookback_scan_determinismE0ELb1ELb1ES3_N6thrust23THRUST_200600_302600_NS6detail15normal_iteratorINS9_10device_ptrIyEEEENS9_16discard_iteratorINS9_11use_defaultEEEy11max_functorIyEyEEDaPvRmT3_T4_T5_mT6_P12ihipStream_tbENKUlT_T0_E_clISt17integral_constantIbLb1EESW_IbLb0EEEEDaSS_ST_EUlSS_E0_NS1_11comp_targetILNS1_3genE9ELNS1_11target_archE1100ELNS1_3gpuE3ELNS1_3repE0EEENS1_30default_config_static_selectorELNS0_4arch9wavefront6targetE1EEEvT1_,comdat
.Lfunc_end3402:
	.size	_ZN7rocprim17ROCPRIM_400000_NS6detail17trampoline_kernelINS0_14default_configENS1_20scan_config_selectorIyEEZZNS1_9scan_implILNS1_25lookback_scan_determinismE0ELb1ELb1ES3_N6thrust23THRUST_200600_302600_NS6detail15normal_iteratorINS9_10device_ptrIyEEEENS9_16discard_iteratorINS9_11use_defaultEEEy11max_functorIyEyEEDaPvRmT3_T4_T5_mT6_P12ihipStream_tbENKUlT_T0_E_clISt17integral_constantIbLb1EESW_IbLb0EEEEDaSS_ST_EUlSS_E0_NS1_11comp_targetILNS1_3genE9ELNS1_11target_archE1100ELNS1_3gpuE3ELNS1_3repE0EEENS1_30default_config_static_selectorELNS0_4arch9wavefront6targetE1EEEvT1_, .Lfunc_end3402-_ZN7rocprim17ROCPRIM_400000_NS6detail17trampoline_kernelINS0_14default_configENS1_20scan_config_selectorIyEEZZNS1_9scan_implILNS1_25lookback_scan_determinismE0ELb1ELb1ES3_N6thrust23THRUST_200600_302600_NS6detail15normal_iteratorINS9_10device_ptrIyEEEENS9_16discard_iteratorINS9_11use_defaultEEEy11max_functorIyEyEEDaPvRmT3_T4_T5_mT6_P12ihipStream_tbENKUlT_T0_E_clISt17integral_constantIbLb1EESW_IbLb0EEEEDaSS_ST_EUlSS_E0_NS1_11comp_targetILNS1_3genE9ELNS1_11target_archE1100ELNS1_3gpuE3ELNS1_3repE0EEENS1_30default_config_static_selectorELNS0_4arch9wavefront6targetE1EEEvT1_
                                        ; -- End function
	.section	.AMDGPU.csdata,"",@progbits
; Kernel info:
; codeLenInByte = 0
; NumSgprs: 4
; NumVgprs: 0
; NumAgprs: 0
; TotalNumVgprs: 0
; ScratchSize: 0
; MemoryBound: 0
; FloatMode: 240
; IeeeMode: 1
; LDSByteSize: 0 bytes/workgroup (compile time only)
; SGPRBlocks: 0
; VGPRBlocks: 0
; NumSGPRsForWavesPerEU: 4
; NumVGPRsForWavesPerEU: 1
; AccumOffset: 4
; Occupancy: 8
; WaveLimiterHint : 0
; COMPUTE_PGM_RSRC2:SCRATCH_EN: 0
; COMPUTE_PGM_RSRC2:USER_SGPR: 6
; COMPUTE_PGM_RSRC2:TRAP_HANDLER: 0
; COMPUTE_PGM_RSRC2:TGID_X_EN: 1
; COMPUTE_PGM_RSRC2:TGID_Y_EN: 0
; COMPUTE_PGM_RSRC2:TGID_Z_EN: 0
; COMPUTE_PGM_RSRC2:TIDIG_COMP_CNT: 0
; COMPUTE_PGM_RSRC3_GFX90A:ACCUM_OFFSET: 0
; COMPUTE_PGM_RSRC3_GFX90A:TG_SPLIT: 0
	.section	.text._ZN7rocprim17ROCPRIM_400000_NS6detail17trampoline_kernelINS0_14default_configENS1_20scan_config_selectorIyEEZZNS1_9scan_implILNS1_25lookback_scan_determinismE0ELb1ELb1ES3_N6thrust23THRUST_200600_302600_NS6detail15normal_iteratorINS9_10device_ptrIyEEEENS9_16discard_iteratorINS9_11use_defaultEEEy11max_functorIyEyEEDaPvRmT3_T4_T5_mT6_P12ihipStream_tbENKUlT_T0_E_clISt17integral_constantIbLb1EESW_IbLb0EEEEDaSS_ST_EUlSS_E0_NS1_11comp_targetILNS1_3genE8ELNS1_11target_archE1030ELNS1_3gpuE2ELNS1_3repE0EEENS1_30default_config_static_selectorELNS0_4arch9wavefront6targetE1EEEvT1_,"axG",@progbits,_ZN7rocprim17ROCPRIM_400000_NS6detail17trampoline_kernelINS0_14default_configENS1_20scan_config_selectorIyEEZZNS1_9scan_implILNS1_25lookback_scan_determinismE0ELb1ELb1ES3_N6thrust23THRUST_200600_302600_NS6detail15normal_iteratorINS9_10device_ptrIyEEEENS9_16discard_iteratorINS9_11use_defaultEEEy11max_functorIyEyEEDaPvRmT3_T4_T5_mT6_P12ihipStream_tbENKUlT_T0_E_clISt17integral_constantIbLb1EESW_IbLb0EEEEDaSS_ST_EUlSS_E0_NS1_11comp_targetILNS1_3genE8ELNS1_11target_archE1030ELNS1_3gpuE2ELNS1_3repE0EEENS1_30default_config_static_selectorELNS0_4arch9wavefront6targetE1EEEvT1_,comdat
	.protected	_ZN7rocprim17ROCPRIM_400000_NS6detail17trampoline_kernelINS0_14default_configENS1_20scan_config_selectorIyEEZZNS1_9scan_implILNS1_25lookback_scan_determinismE0ELb1ELb1ES3_N6thrust23THRUST_200600_302600_NS6detail15normal_iteratorINS9_10device_ptrIyEEEENS9_16discard_iteratorINS9_11use_defaultEEEy11max_functorIyEyEEDaPvRmT3_T4_T5_mT6_P12ihipStream_tbENKUlT_T0_E_clISt17integral_constantIbLb1EESW_IbLb0EEEEDaSS_ST_EUlSS_E0_NS1_11comp_targetILNS1_3genE8ELNS1_11target_archE1030ELNS1_3gpuE2ELNS1_3repE0EEENS1_30default_config_static_selectorELNS0_4arch9wavefront6targetE1EEEvT1_ ; -- Begin function _ZN7rocprim17ROCPRIM_400000_NS6detail17trampoline_kernelINS0_14default_configENS1_20scan_config_selectorIyEEZZNS1_9scan_implILNS1_25lookback_scan_determinismE0ELb1ELb1ES3_N6thrust23THRUST_200600_302600_NS6detail15normal_iteratorINS9_10device_ptrIyEEEENS9_16discard_iteratorINS9_11use_defaultEEEy11max_functorIyEyEEDaPvRmT3_T4_T5_mT6_P12ihipStream_tbENKUlT_T0_E_clISt17integral_constantIbLb1EESW_IbLb0EEEEDaSS_ST_EUlSS_E0_NS1_11comp_targetILNS1_3genE8ELNS1_11target_archE1030ELNS1_3gpuE2ELNS1_3repE0EEENS1_30default_config_static_selectorELNS0_4arch9wavefront6targetE1EEEvT1_
	.globl	_ZN7rocprim17ROCPRIM_400000_NS6detail17trampoline_kernelINS0_14default_configENS1_20scan_config_selectorIyEEZZNS1_9scan_implILNS1_25lookback_scan_determinismE0ELb1ELb1ES3_N6thrust23THRUST_200600_302600_NS6detail15normal_iteratorINS9_10device_ptrIyEEEENS9_16discard_iteratorINS9_11use_defaultEEEy11max_functorIyEyEEDaPvRmT3_T4_T5_mT6_P12ihipStream_tbENKUlT_T0_E_clISt17integral_constantIbLb1EESW_IbLb0EEEEDaSS_ST_EUlSS_E0_NS1_11comp_targetILNS1_3genE8ELNS1_11target_archE1030ELNS1_3gpuE2ELNS1_3repE0EEENS1_30default_config_static_selectorELNS0_4arch9wavefront6targetE1EEEvT1_
	.p2align	8
	.type	_ZN7rocprim17ROCPRIM_400000_NS6detail17trampoline_kernelINS0_14default_configENS1_20scan_config_selectorIyEEZZNS1_9scan_implILNS1_25lookback_scan_determinismE0ELb1ELb1ES3_N6thrust23THRUST_200600_302600_NS6detail15normal_iteratorINS9_10device_ptrIyEEEENS9_16discard_iteratorINS9_11use_defaultEEEy11max_functorIyEyEEDaPvRmT3_T4_T5_mT6_P12ihipStream_tbENKUlT_T0_E_clISt17integral_constantIbLb1EESW_IbLb0EEEEDaSS_ST_EUlSS_E0_NS1_11comp_targetILNS1_3genE8ELNS1_11target_archE1030ELNS1_3gpuE2ELNS1_3repE0EEENS1_30default_config_static_selectorELNS0_4arch9wavefront6targetE1EEEvT1_,@function
_ZN7rocprim17ROCPRIM_400000_NS6detail17trampoline_kernelINS0_14default_configENS1_20scan_config_selectorIyEEZZNS1_9scan_implILNS1_25lookback_scan_determinismE0ELb1ELb1ES3_N6thrust23THRUST_200600_302600_NS6detail15normal_iteratorINS9_10device_ptrIyEEEENS9_16discard_iteratorINS9_11use_defaultEEEy11max_functorIyEyEEDaPvRmT3_T4_T5_mT6_P12ihipStream_tbENKUlT_T0_E_clISt17integral_constantIbLb1EESW_IbLb0EEEEDaSS_ST_EUlSS_E0_NS1_11comp_targetILNS1_3genE8ELNS1_11target_archE1030ELNS1_3gpuE2ELNS1_3repE0EEENS1_30default_config_static_selectorELNS0_4arch9wavefront6targetE1EEEvT1_: ; @_ZN7rocprim17ROCPRIM_400000_NS6detail17trampoline_kernelINS0_14default_configENS1_20scan_config_selectorIyEEZZNS1_9scan_implILNS1_25lookback_scan_determinismE0ELb1ELb1ES3_N6thrust23THRUST_200600_302600_NS6detail15normal_iteratorINS9_10device_ptrIyEEEENS9_16discard_iteratorINS9_11use_defaultEEEy11max_functorIyEyEEDaPvRmT3_T4_T5_mT6_P12ihipStream_tbENKUlT_T0_E_clISt17integral_constantIbLb1EESW_IbLb0EEEEDaSS_ST_EUlSS_E0_NS1_11comp_targetILNS1_3genE8ELNS1_11target_archE1030ELNS1_3gpuE2ELNS1_3repE0EEENS1_30default_config_static_selectorELNS0_4arch9wavefront6targetE1EEEvT1_
; %bb.0:
	.section	.rodata,"a",@progbits
	.p2align	6, 0x0
	.amdhsa_kernel _ZN7rocprim17ROCPRIM_400000_NS6detail17trampoline_kernelINS0_14default_configENS1_20scan_config_selectorIyEEZZNS1_9scan_implILNS1_25lookback_scan_determinismE0ELb1ELb1ES3_N6thrust23THRUST_200600_302600_NS6detail15normal_iteratorINS9_10device_ptrIyEEEENS9_16discard_iteratorINS9_11use_defaultEEEy11max_functorIyEyEEDaPvRmT3_T4_T5_mT6_P12ihipStream_tbENKUlT_T0_E_clISt17integral_constantIbLb1EESW_IbLb0EEEEDaSS_ST_EUlSS_E0_NS1_11comp_targetILNS1_3genE8ELNS1_11target_archE1030ELNS1_3gpuE2ELNS1_3repE0EEENS1_30default_config_static_selectorELNS0_4arch9wavefront6targetE1EEEvT1_
		.amdhsa_group_segment_fixed_size 0
		.amdhsa_private_segment_fixed_size 0
		.amdhsa_kernarg_size 48
		.amdhsa_user_sgpr_count 6
		.amdhsa_user_sgpr_private_segment_buffer 1
		.amdhsa_user_sgpr_dispatch_ptr 0
		.amdhsa_user_sgpr_queue_ptr 0
		.amdhsa_user_sgpr_kernarg_segment_ptr 1
		.amdhsa_user_sgpr_dispatch_id 0
		.amdhsa_user_sgpr_flat_scratch_init 0
		.amdhsa_user_sgpr_kernarg_preload_length 0
		.amdhsa_user_sgpr_kernarg_preload_offset 0
		.amdhsa_user_sgpr_private_segment_size 0
		.amdhsa_uses_dynamic_stack 0
		.amdhsa_system_sgpr_private_segment_wavefront_offset 0
		.amdhsa_system_sgpr_workgroup_id_x 1
		.amdhsa_system_sgpr_workgroup_id_y 0
		.amdhsa_system_sgpr_workgroup_id_z 0
		.amdhsa_system_sgpr_workgroup_info 0
		.amdhsa_system_vgpr_workitem_id 0
		.amdhsa_next_free_vgpr 1
		.amdhsa_next_free_sgpr 0
		.amdhsa_accum_offset 4
		.amdhsa_reserve_vcc 0
		.amdhsa_reserve_flat_scratch 0
		.amdhsa_float_round_mode_32 0
		.amdhsa_float_round_mode_16_64 0
		.amdhsa_float_denorm_mode_32 3
		.amdhsa_float_denorm_mode_16_64 3
		.amdhsa_dx10_clamp 1
		.amdhsa_ieee_mode 1
		.amdhsa_fp16_overflow 0
		.amdhsa_tg_split 0
		.amdhsa_exception_fp_ieee_invalid_op 0
		.amdhsa_exception_fp_denorm_src 0
		.amdhsa_exception_fp_ieee_div_zero 0
		.amdhsa_exception_fp_ieee_overflow 0
		.amdhsa_exception_fp_ieee_underflow 0
		.amdhsa_exception_fp_ieee_inexact 0
		.amdhsa_exception_int_div_zero 0
	.end_amdhsa_kernel
	.section	.text._ZN7rocprim17ROCPRIM_400000_NS6detail17trampoline_kernelINS0_14default_configENS1_20scan_config_selectorIyEEZZNS1_9scan_implILNS1_25lookback_scan_determinismE0ELb1ELb1ES3_N6thrust23THRUST_200600_302600_NS6detail15normal_iteratorINS9_10device_ptrIyEEEENS9_16discard_iteratorINS9_11use_defaultEEEy11max_functorIyEyEEDaPvRmT3_T4_T5_mT6_P12ihipStream_tbENKUlT_T0_E_clISt17integral_constantIbLb1EESW_IbLb0EEEEDaSS_ST_EUlSS_E0_NS1_11comp_targetILNS1_3genE8ELNS1_11target_archE1030ELNS1_3gpuE2ELNS1_3repE0EEENS1_30default_config_static_selectorELNS0_4arch9wavefront6targetE1EEEvT1_,"axG",@progbits,_ZN7rocprim17ROCPRIM_400000_NS6detail17trampoline_kernelINS0_14default_configENS1_20scan_config_selectorIyEEZZNS1_9scan_implILNS1_25lookback_scan_determinismE0ELb1ELb1ES3_N6thrust23THRUST_200600_302600_NS6detail15normal_iteratorINS9_10device_ptrIyEEEENS9_16discard_iteratorINS9_11use_defaultEEEy11max_functorIyEyEEDaPvRmT3_T4_T5_mT6_P12ihipStream_tbENKUlT_T0_E_clISt17integral_constantIbLb1EESW_IbLb0EEEEDaSS_ST_EUlSS_E0_NS1_11comp_targetILNS1_3genE8ELNS1_11target_archE1030ELNS1_3gpuE2ELNS1_3repE0EEENS1_30default_config_static_selectorELNS0_4arch9wavefront6targetE1EEEvT1_,comdat
.Lfunc_end3403:
	.size	_ZN7rocprim17ROCPRIM_400000_NS6detail17trampoline_kernelINS0_14default_configENS1_20scan_config_selectorIyEEZZNS1_9scan_implILNS1_25lookback_scan_determinismE0ELb1ELb1ES3_N6thrust23THRUST_200600_302600_NS6detail15normal_iteratorINS9_10device_ptrIyEEEENS9_16discard_iteratorINS9_11use_defaultEEEy11max_functorIyEyEEDaPvRmT3_T4_T5_mT6_P12ihipStream_tbENKUlT_T0_E_clISt17integral_constantIbLb1EESW_IbLb0EEEEDaSS_ST_EUlSS_E0_NS1_11comp_targetILNS1_3genE8ELNS1_11target_archE1030ELNS1_3gpuE2ELNS1_3repE0EEENS1_30default_config_static_selectorELNS0_4arch9wavefront6targetE1EEEvT1_, .Lfunc_end3403-_ZN7rocprim17ROCPRIM_400000_NS6detail17trampoline_kernelINS0_14default_configENS1_20scan_config_selectorIyEEZZNS1_9scan_implILNS1_25lookback_scan_determinismE0ELb1ELb1ES3_N6thrust23THRUST_200600_302600_NS6detail15normal_iteratorINS9_10device_ptrIyEEEENS9_16discard_iteratorINS9_11use_defaultEEEy11max_functorIyEyEEDaPvRmT3_T4_T5_mT6_P12ihipStream_tbENKUlT_T0_E_clISt17integral_constantIbLb1EESW_IbLb0EEEEDaSS_ST_EUlSS_E0_NS1_11comp_targetILNS1_3genE8ELNS1_11target_archE1030ELNS1_3gpuE2ELNS1_3repE0EEENS1_30default_config_static_selectorELNS0_4arch9wavefront6targetE1EEEvT1_
                                        ; -- End function
	.section	.AMDGPU.csdata,"",@progbits
; Kernel info:
; codeLenInByte = 0
; NumSgprs: 4
; NumVgprs: 0
; NumAgprs: 0
; TotalNumVgprs: 0
; ScratchSize: 0
; MemoryBound: 0
; FloatMode: 240
; IeeeMode: 1
; LDSByteSize: 0 bytes/workgroup (compile time only)
; SGPRBlocks: 0
; VGPRBlocks: 0
; NumSGPRsForWavesPerEU: 4
; NumVGPRsForWavesPerEU: 1
; AccumOffset: 4
; Occupancy: 8
; WaveLimiterHint : 0
; COMPUTE_PGM_RSRC2:SCRATCH_EN: 0
; COMPUTE_PGM_RSRC2:USER_SGPR: 6
; COMPUTE_PGM_RSRC2:TRAP_HANDLER: 0
; COMPUTE_PGM_RSRC2:TGID_X_EN: 1
; COMPUTE_PGM_RSRC2:TGID_Y_EN: 0
; COMPUTE_PGM_RSRC2:TGID_Z_EN: 0
; COMPUTE_PGM_RSRC2:TIDIG_COMP_CNT: 0
; COMPUTE_PGM_RSRC3_GFX90A:ACCUM_OFFSET: 0
; COMPUTE_PGM_RSRC3_GFX90A:TG_SPLIT: 0
	.section	.text._ZN7rocprim17ROCPRIM_400000_NS6detail17trampoline_kernelINS0_14default_configENS1_20scan_config_selectorIyEEZZNS1_9scan_implILNS1_25lookback_scan_determinismE0ELb1ELb1ES3_N6thrust23THRUST_200600_302600_NS6detail15normal_iteratorINS9_10device_ptrIyEEEENS9_16discard_iteratorINS9_11use_defaultEEEy11max_functorIyEyEEDaPvRmT3_T4_T5_mT6_P12ihipStream_tbENKUlT_T0_E_clISt17integral_constantIbLb0EESW_IbLb1EEEEDaSS_ST_EUlSS_E_NS1_11comp_targetILNS1_3genE0ELNS1_11target_archE4294967295ELNS1_3gpuE0ELNS1_3repE0EEENS1_30default_config_static_selectorELNS0_4arch9wavefront6targetE1EEEvT1_,"axG",@progbits,_ZN7rocprim17ROCPRIM_400000_NS6detail17trampoline_kernelINS0_14default_configENS1_20scan_config_selectorIyEEZZNS1_9scan_implILNS1_25lookback_scan_determinismE0ELb1ELb1ES3_N6thrust23THRUST_200600_302600_NS6detail15normal_iteratorINS9_10device_ptrIyEEEENS9_16discard_iteratorINS9_11use_defaultEEEy11max_functorIyEyEEDaPvRmT3_T4_T5_mT6_P12ihipStream_tbENKUlT_T0_E_clISt17integral_constantIbLb0EESW_IbLb1EEEEDaSS_ST_EUlSS_E_NS1_11comp_targetILNS1_3genE0ELNS1_11target_archE4294967295ELNS1_3gpuE0ELNS1_3repE0EEENS1_30default_config_static_selectorELNS0_4arch9wavefront6targetE1EEEvT1_,comdat
	.protected	_ZN7rocprim17ROCPRIM_400000_NS6detail17trampoline_kernelINS0_14default_configENS1_20scan_config_selectorIyEEZZNS1_9scan_implILNS1_25lookback_scan_determinismE0ELb1ELb1ES3_N6thrust23THRUST_200600_302600_NS6detail15normal_iteratorINS9_10device_ptrIyEEEENS9_16discard_iteratorINS9_11use_defaultEEEy11max_functorIyEyEEDaPvRmT3_T4_T5_mT6_P12ihipStream_tbENKUlT_T0_E_clISt17integral_constantIbLb0EESW_IbLb1EEEEDaSS_ST_EUlSS_E_NS1_11comp_targetILNS1_3genE0ELNS1_11target_archE4294967295ELNS1_3gpuE0ELNS1_3repE0EEENS1_30default_config_static_selectorELNS0_4arch9wavefront6targetE1EEEvT1_ ; -- Begin function _ZN7rocprim17ROCPRIM_400000_NS6detail17trampoline_kernelINS0_14default_configENS1_20scan_config_selectorIyEEZZNS1_9scan_implILNS1_25lookback_scan_determinismE0ELb1ELb1ES3_N6thrust23THRUST_200600_302600_NS6detail15normal_iteratorINS9_10device_ptrIyEEEENS9_16discard_iteratorINS9_11use_defaultEEEy11max_functorIyEyEEDaPvRmT3_T4_T5_mT6_P12ihipStream_tbENKUlT_T0_E_clISt17integral_constantIbLb0EESW_IbLb1EEEEDaSS_ST_EUlSS_E_NS1_11comp_targetILNS1_3genE0ELNS1_11target_archE4294967295ELNS1_3gpuE0ELNS1_3repE0EEENS1_30default_config_static_selectorELNS0_4arch9wavefront6targetE1EEEvT1_
	.globl	_ZN7rocprim17ROCPRIM_400000_NS6detail17trampoline_kernelINS0_14default_configENS1_20scan_config_selectorIyEEZZNS1_9scan_implILNS1_25lookback_scan_determinismE0ELb1ELb1ES3_N6thrust23THRUST_200600_302600_NS6detail15normal_iteratorINS9_10device_ptrIyEEEENS9_16discard_iteratorINS9_11use_defaultEEEy11max_functorIyEyEEDaPvRmT3_T4_T5_mT6_P12ihipStream_tbENKUlT_T0_E_clISt17integral_constantIbLb0EESW_IbLb1EEEEDaSS_ST_EUlSS_E_NS1_11comp_targetILNS1_3genE0ELNS1_11target_archE4294967295ELNS1_3gpuE0ELNS1_3repE0EEENS1_30default_config_static_selectorELNS0_4arch9wavefront6targetE1EEEvT1_
	.p2align	8
	.type	_ZN7rocprim17ROCPRIM_400000_NS6detail17trampoline_kernelINS0_14default_configENS1_20scan_config_selectorIyEEZZNS1_9scan_implILNS1_25lookback_scan_determinismE0ELb1ELb1ES3_N6thrust23THRUST_200600_302600_NS6detail15normal_iteratorINS9_10device_ptrIyEEEENS9_16discard_iteratorINS9_11use_defaultEEEy11max_functorIyEyEEDaPvRmT3_T4_T5_mT6_P12ihipStream_tbENKUlT_T0_E_clISt17integral_constantIbLb0EESW_IbLb1EEEEDaSS_ST_EUlSS_E_NS1_11comp_targetILNS1_3genE0ELNS1_11target_archE4294967295ELNS1_3gpuE0ELNS1_3repE0EEENS1_30default_config_static_selectorELNS0_4arch9wavefront6targetE1EEEvT1_,@function
_ZN7rocprim17ROCPRIM_400000_NS6detail17trampoline_kernelINS0_14default_configENS1_20scan_config_selectorIyEEZZNS1_9scan_implILNS1_25lookback_scan_determinismE0ELb1ELb1ES3_N6thrust23THRUST_200600_302600_NS6detail15normal_iteratorINS9_10device_ptrIyEEEENS9_16discard_iteratorINS9_11use_defaultEEEy11max_functorIyEyEEDaPvRmT3_T4_T5_mT6_P12ihipStream_tbENKUlT_T0_E_clISt17integral_constantIbLb0EESW_IbLb1EEEEDaSS_ST_EUlSS_E_NS1_11comp_targetILNS1_3genE0ELNS1_11target_archE4294967295ELNS1_3gpuE0ELNS1_3repE0EEENS1_30default_config_static_selectorELNS0_4arch9wavefront6targetE1EEEvT1_: ; @_ZN7rocprim17ROCPRIM_400000_NS6detail17trampoline_kernelINS0_14default_configENS1_20scan_config_selectorIyEEZZNS1_9scan_implILNS1_25lookback_scan_determinismE0ELb1ELb1ES3_N6thrust23THRUST_200600_302600_NS6detail15normal_iteratorINS9_10device_ptrIyEEEENS9_16discard_iteratorINS9_11use_defaultEEEy11max_functorIyEyEEDaPvRmT3_T4_T5_mT6_P12ihipStream_tbENKUlT_T0_E_clISt17integral_constantIbLb0EESW_IbLb1EEEEDaSS_ST_EUlSS_E_NS1_11comp_targetILNS1_3genE0ELNS1_11target_archE4294967295ELNS1_3gpuE0ELNS1_3repE0EEENS1_30default_config_static_selectorELNS0_4arch9wavefront6targetE1EEEvT1_
; %bb.0:
	.section	.rodata,"a",@progbits
	.p2align	6, 0x0
	.amdhsa_kernel _ZN7rocprim17ROCPRIM_400000_NS6detail17trampoline_kernelINS0_14default_configENS1_20scan_config_selectorIyEEZZNS1_9scan_implILNS1_25lookback_scan_determinismE0ELb1ELb1ES3_N6thrust23THRUST_200600_302600_NS6detail15normal_iteratorINS9_10device_ptrIyEEEENS9_16discard_iteratorINS9_11use_defaultEEEy11max_functorIyEyEEDaPvRmT3_T4_T5_mT6_P12ihipStream_tbENKUlT_T0_E_clISt17integral_constantIbLb0EESW_IbLb1EEEEDaSS_ST_EUlSS_E_NS1_11comp_targetILNS1_3genE0ELNS1_11target_archE4294967295ELNS1_3gpuE0ELNS1_3repE0EEENS1_30default_config_static_selectorELNS0_4arch9wavefront6targetE1EEEvT1_
		.amdhsa_group_segment_fixed_size 0
		.amdhsa_private_segment_fixed_size 0
		.amdhsa_kernarg_size 112
		.amdhsa_user_sgpr_count 6
		.amdhsa_user_sgpr_private_segment_buffer 1
		.amdhsa_user_sgpr_dispatch_ptr 0
		.amdhsa_user_sgpr_queue_ptr 0
		.amdhsa_user_sgpr_kernarg_segment_ptr 1
		.amdhsa_user_sgpr_dispatch_id 0
		.amdhsa_user_sgpr_flat_scratch_init 0
		.amdhsa_user_sgpr_kernarg_preload_length 0
		.amdhsa_user_sgpr_kernarg_preload_offset 0
		.amdhsa_user_sgpr_private_segment_size 0
		.amdhsa_uses_dynamic_stack 0
		.amdhsa_system_sgpr_private_segment_wavefront_offset 0
		.amdhsa_system_sgpr_workgroup_id_x 1
		.amdhsa_system_sgpr_workgroup_id_y 0
		.amdhsa_system_sgpr_workgroup_id_z 0
		.amdhsa_system_sgpr_workgroup_info 0
		.amdhsa_system_vgpr_workitem_id 0
		.amdhsa_next_free_vgpr 1
		.amdhsa_next_free_sgpr 0
		.amdhsa_accum_offset 4
		.amdhsa_reserve_vcc 0
		.amdhsa_reserve_flat_scratch 0
		.amdhsa_float_round_mode_32 0
		.amdhsa_float_round_mode_16_64 0
		.amdhsa_float_denorm_mode_32 3
		.amdhsa_float_denorm_mode_16_64 3
		.amdhsa_dx10_clamp 1
		.amdhsa_ieee_mode 1
		.amdhsa_fp16_overflow 0
		.amdhsa_tg_split 0
		.amdhsa_exception_fp_ieee_invalid_op 0
		.amdhsa_exception_fp_denorm_src 0
		.amdhsa_exception_fp_ieee_div_zero 0
		.amdhsa_exception_fp_ieee_overflow 0
		.amdhsa_exception_fp_ieee_underflow 0
		.amdhsa_exception_fp_ieee_inexact 0
		.amdhsa_exception_int_div_zero 0
	.end_amdhsa_kernel
	.section	.text._ZN7rocprim17ROCPRIM_400000_NS6detail17trampoline_kernelINS0_14default_configENS1_20scan_config_selectorIyEEZZNS1_9scan_implILNS1_25lookback_scan_determinismE0ELb1ELb1ES3_N6thrust23THRUST_200600_302600_NS6detail15normal_iteratorINS9_10device_ptrIyEEEENS9_16discard_iteratorINS9_11use_defaultEEEy11max_functorIyEyEEDaPvRmT3_T4_T5_mT6_P12ihipStream_tbENKUlT_T0_E_clISt17integral_constantIbLb0EESW_IbLb1EEEEDaSS_ST_EUlSS_E_NS1_11comp_targetILNS1_3genE0ELNS1_11target_archE4294967295ELNS1_3gpuE0ELNS1_3repE0EEENS1_30default_config_static_selectorELNS0_4arch9wavefront6targetE1EEEvT1_,"axG",@progbits,_ZN7rocprim17ROCPRIM_400000_NS6detail17trampoline_kernelINS0_14default_configENS1_20scan_config_selectorIyEEZZNS1_9scan_implILNS1_25lookback_scan_determinismE0ELb1ELb1ES3_N6thrust23THRUST_200600_302600_NS6detail15normal_iteratorINS9_10device_ptrIyEEEENS9_16discard_iteratorINS9_11use_defaultEEEy11max_functorIyEyEEDaPvRmT3_T4_T5_mT6_P12ihipStream_tbENKUlT_T0_E_clISt17integral_constantIbLb0EESW_IbLb1EEEEDaSS_ST_EUlSS_E_NS1_11comp_targetILNS1_3genE0ELNS1_11target_archE4294967295ELNS1_3gpuE0ELNS1_3repE0EEENS1_30default_config_static_selectorELNS0_4arch9wavefront6targetE1EEEvT1_,comdat
.Lfunc_end3404:
	.size	_ZN7rocprim17ROCPRIM_400000_NS6detail17trampoline_kernelINS0_14default_configENS1_20scan_config_selectorIyEEZZNS1_9scan_implILNS1_25lookback_scan_determinismE0ELb1ELb1ES3_N6thrust23THRUST_200600_302600_NS6detail15normal_iteratorINS9_10device_ptrIyEEEENS9_16discard_iteratorINS9_11use_defaultEEEy11max_functorIyEyEEDaPvRmT3_T4_T5_mT6_P12ihipStream_tbENKUlT_T0_E_clISt17integral_constantIbLb0EESW_IbLb1EEEEDaSS_ST_EUlSS_E_NS1_11comp_targetILNS1_3genE0ELNS1_11target_archE4294967295ELNS1_3gpuE0ELNS1_3repE0EEENS1_30default_config_static_selectorELNS0_4arch9wavefront6targetE1EEEvT1_, .Lfunc_end3404-_ZN7rocprim17ROCPRIM_400000_NS6detail17trampoline_kernelINS0_14default_configENS1_20scan_config_selectorIyEEZZNS1_9scan_implILNS1_25lookback_scan_determinismE0ELb1ELb1ES3_N6thrust23THRUST_200600_302600_NS6detail15normal_iteratorINS9_10device_ptrIyEEEENS9_16discard_iteratorINS9_11use_defaultEEEy11max_functorIyEyEEDaPvRmT3_T4_T5_mT6_P12ihipStream_tbENKUlT_T0_E_clISt17integral_constantIbLb0EESW_IbLb1EEEEDaSS_ST_EUlSS_E_NS1_11comp_targetILNS1_3genE0ELNS1_11target_archE4294967295ELNS1_3gpuE0ELNS1_3repE0EEENS1_30default_config_static_selectorELNS0_4arch9wavefront6targetE1EEEvT1_
                                        ; -- End function
	.section	.AMDGPU.csdata,"",@progbits
; Kernel info:
; codeLenInByte = 0
; NumSgprs: 4
; NumVgprs: 0
; NumAgprs: 0
; TotalNumVgprs: 0
; ScratchSize: 0
; MemoryBound: 0
; FloatMode: 240
; IeeeMode: 1
; LDSByteSize: 0 bytes/workgroup (compile time only)
; SGPRBlocks: 0
; VGPRBlocks: 0
; NumSGPRsForWavesPerEU: 4
; NumVGPRsForWavesPerEU: 1
; AccumOffset: 4
; Occupancy: 8
; WaveLimiterHint : 0
; COMPUTE_PGM_RSRC2:SCRATCH_EN: 0
; COMPUTE_PGM_RSRC2:USER_SGPR: 6
; COMPUTE_PGM_RSRC2:TRAP_HANDLER: 0
; COMPUTE_PGM_RSRC2:TGID_X_EN: 1
; COMPUTE_PGM_RSRC2:TGID_Y_EN: 0
; COMPUTE_PGM_RSRC2:TGID_Z_EN: 0
; COMPUTE_PGM_RSRC2:TIDIG_COMP_CNT: 0
; COMPUTE_PGM_RSRC3_GFX90A:ACCUM_OFFSET: 0
; COMPUTE_PGM_RSRC3_GFX90A:TG_SPLIT: 0
	.section	.text._ZN7rocprim17ROCPRIM_400000_NS6detail17trampoline_kernelINS0_14default_configENS1_20scan_config_selectorIyEEZZNS1_9scan_implILNS1_25lookback_scan_determinismE0ELb1ELb1ES3_N6thrust23THRUST_200600_302600_NS6detail15normal_iteratorINS9_10device_ptrIyEEEENS9_16discard_iteratorINS9_11use_defaultEEEy11max_functorIyEyEEDaPvRmT3_T4_T5_mT6_P12ihipStream_tbENKUlT_T0_E_clISt17integral_constantIbLb0EESW_IbLb1EEEEDaSS_ST_EUlSS_E_NS1_11comp_targetILNS1_3genE5ELNS1_11target_archE942ELNS1_3gpuE9ELNS1_3repE0EEENS1_30default_config_static_selectorELNS0_4arch9wavefront6targetE1EEEvT1_,"axG",@progbits,_ZN7rocprim17ROCPRIM_400000_NS6detail17trampoline_kernelINS0_14default_configENS1_20scan_config_selectorIyEEZZNS1_9scan_implILNS1_25lookback_scan_determinismE0ELb1ELb1ES3_N6thrust23THRUST_200600_302600_NS6detail15normal_iteratorINS9_10device_ptrIyEEEENS9_16discard_iteratorINS9_11use_defaultEEEy11max_functorIyEyEEDaPvRmT3_T4_T5_mT6_P12ihipStream_tbENKUlT_T0_E_clISt17integral_constantIbLb0EESW_IbLb1EEEEDaSS_ST_EUlSS_E_NS1_11comp_targetILNS1_3genE5ELNS1_11target_archE942ELNS1_3gpuE9ELNS1_3repE0EEENS1_30default_config_static_selectorELNS0_4arch9wavefront6targetE1EEEvT1_,comdat
	.protected	_ZN7rocprim17ROCPRIM_400000_NS6detail17trampoline_kernelINS0_14default_configENS1_20scan_config_selectorIyEEZZNS1_9scan_implILNS1_25lookback_scan_determinismE0ELb1ELb1ES3_N6thrust23THRUST_200600_302600_NS6detail15normal_iteratorINS9_10device_ptrIyEEEENS9_16discard_iteratorINS9_11use_defaultEEEy11max_functorIyEyEEDaPvRmT3_T4_T5_mT6_P12ihipStream_tbENKUlT_T0_E_clISt17integral_constantIbLb0EESW_IbLb1EEEEDaSS_ST_EUlSS_E_NS1_11comp_targetILNS1_3genE5ELNS1_11target_archE942ELNS1_3gpuE9ELNS1_3repE0EEENS1_30default_config_static_selectorELNS0_4arch9wavefront6targetE1EEEvT1_ ; -- Begin function _ZN7rocprim17ROCPRIM_400000_NS6detail17trampoline_kernelINS0_14default_configENS1_20scan_config_selectorIyEEZZNS1_9scan_implILNS1_25lookback_scan_determinismE0ELb1ELb1ES3_N6thrust23THRUST_200600_302600_NS6detail15normal_iteratorINS9_10device_ptrIyEEEENS9_16discard_iteratorINS9_11use_defaultEEEy11max_functorIyEyEEDaPvRmT3_T4_T5_mT6_P12ihipStream_tbENKUlT_T0_E_clISt17integral_constantIbLb0EESW_IbLb1EEEEDaSS_ST_EUlSS_E_NS1_11comp_targetILNS1_3genE5ELNS1_11target_archE942ELNS1_3gpuE9ELNS1_3repE0EEENS1_30default_config_static_selectorELNS0_4arch9wavefront6targetE1EEEvT1_
	.globl	_ZN7rocprim17ROCPRIM_400000_NS6detail17trampoline_kernelINS0_14default_configENS1_20scan_config_selectorIyEEZZNS1_9scan_implILNS1_25lookback_scan_determinismE0ELb1ELb1ES3_N6thrust23THRUST_200600_302600_NS6detail15normal_iteratorINS9_10device_ptrIyEEEENS9_16discard_iteratorINS9_11use_defaultEEEy11max_functorIyEyEEDaPvRmT3_T4_T5_mT6_P12ihipStream_tbENKUlT_T0_E_clISt17integral_constantIbLb0EESW_IbLb1EEEEDaSS_ST_EUlSS_E_NS1_11comp_targetILNS1_3genE5ELNS1_11target_archE942ELNS1_3gpuE9ELNS1_3repE0EEENS1_30default_config_static_selectorELNS0_4arch9wavefront6targetE1EEEvT1_
	.p2align	8
	.type	_ZN7rocprim17ROCPRIM_400000_NS6detail17trampoline_kernelINS0_14default_configENS1_20scan_config_selectorIyEEZZNS1_9scan_implILNS1_25lookback_scan_determinismE0ELb1ELb1ES3_N6thrust23THRUST_200600_302600_NS6detail15normal_iteratorINS9_10device_ptrIyEEEENS9_16discard_iteratorINS9_11use_defaultEEEy11max_functorIyEyEEDaPvRmT3_T4_T5_mT6_P12ihipStream_tbENKUlT_T0_E_clISt17integral_constantIbLb0EESW_IbLb1EEEEDaSS_ST_EUlSS_E_NS1_11comp_targetILNS1_3genE5ELNS1_11target_archE942ELNS1_3gpuE9ELNS1_3repE0EEENS1_30default_config_static_selectorELNS0_4arch9wavefront6targetE1EEEvT1_,@function
_ZN7rocprim17ROCPRIM_400000_NS6detail17trampoline_kernelINS0_14default_configENS1_20scan_config_selectorIyEEZZNS1_9scan_implILNS1_25lookback_scan_determinismE0ELb1ELb1ES3_N6thrust23THRUST_200600_302600_NS6detail15normal_iteratorINS9_10device_ptrIyEEEENS9_16discard_iteratorINS9_11use_defaultEEEy11max_functorIyEyEEDaPvRmT3_T4_T5_mT6_P12ihipStream_tbENKUlT_T0_E_clISt17integral_constantIbLb0EESW_IbLb1EEEEDaSS_ST_EUlSS_E_NS1_11comp_targetILNS1_3genE5ELNS1_11target_archE942ELNS1_3gpuE9ELNS1_3repE0EEENS1_30default_config_static_selectorELNS0_4arch9wavefront6targetE1EEEvT1_: ; @_ZN7rocprim17ROCPRIM_400000_NS6detail17trampoline_kernelINS0_14default_configENS1_20scan_config_selectorIyEEZZNS1_9scan_implILNS1_25lookback_scan_determinismE0ELb1ELb1ES3_N6thrust23THRUST_200600_302600_NS6detail15normal_iteratorINS9_10device_ptrIyEEEENS9_16discard_iteratorINS9_11use_defaultEEEy11max_functorIyEyEEDaPvRmT3_T4_T5_mT6_P12ihipStream_tbENKUlT_T0_E_clISt17integral_constantIbLb0EESW_IbLb1EEEEDaSS_ST_EUlSS_E_NS1_11comp_targetILNS1_3genE5ELNS1_11target_archE942ELNS1_3gpuE9ELNS1_3repE0EEENS1_30default_config_static_selectorELNS0_4arch9wavefront6targetE1EEEvT1_
; %bb.0:
	.section	.rodata,"a",@progbits
	.p2align	6, 0x0
	.amdhsa_kernel _ZN7rocprim17ROCPRIM_400000_NS6detail17trampoline_kernelINS0_14default_configENS1_20scan_config_selectorIyEEZZNS1_9scan_implILNS1_25lookback_scan_determinismE0ELb1ELb1ES3_N6thrust23THRUST_200600_302600_NS6detail15normal_iteratorINS9_10device_ptrIyEEEENS9_16discard_iteratorINS9_11use_defaultEEEy11max_functorIyEyEEDaPvRmT3_T4_T5_mT6_P12ihipStream_tbENKUlT_T0_E_clISt17integral_constantIbLb0EESW_IbLb1EEEEDaSS_ST_EUlSS_E_NS1_11comp_targetILNS1_3genE5ELNS1_11target_archE942ELNS1_3gpuE9ELNS1_3repE0EEENS1_30default_config_static_selectorELNS0_4arch9wavefront6targetE1EEEvT1_
		.amdhsa_group_segment_fixed_size 0
		.amdhsa_private_segment_fixed_size 0
		.amdhsa_kernarg_size 112
		.amdhsa_user_sgpr_count 6
		.amdhsa_user_sgpr_private_segment_buffer 1
		.amdhsa_user_sgpr_dispatch_ptr 0
		.amdhsa_user_sgpr_queue_ptr 0
		.amdhsa_user_sgpr_kernarg_segment_ptr 1
		.amdhsa_user_sgpr_dispatch_id 0
		.amdhsa_user_sgpr_flat_scratch_init 0
		.amdhsa_user_sgpr_kernarg_preload_length 0
		.amdhsa_user_sgpr_kernarg_preload_offset 0
		.amdhsa_user_sgpr_private_segment_size 0
		.amdhsa_uses_dynamic_stack 0
		.amdhsa_system_sgpr_private_segment_wavefront_offset 0
		.amdhsa_system_sgpr_workgroup_id_x 1
		.amdhsa_system_sgpr_workgroup_id_y 0
		.amdhsa_system_sgpr_workgroup_id_z 0
		.amdhsa_system_sgpr_workgroup_info 0
		.amdhsa_system_vgpr_workitem_id 0
		.amdhsa_next_free_vgpr 1
		.amdhsa_next_free_sgpr 0
		.amdhsa_accum_offset 4
		.amdhsa_reserve_vcc 0
		.amdhsa_reserve_flat_scratch 0
		.amdhsa_float_round_mode_32 0
		.amdhsa_float_round_mode_16_64 0
		.amdhsa_float_denorm_mode_32 3
		.amdhsa_float_denorm_mode_16_64 3
		.amdhsa_dx10_clamp 1
		.amdhsa_ieee_mode 1
		.amdhsa_fp16_overflow 0
		.amdhsa_tg_split 0
		.amdhsa_exception_fp_ieee_invalid_op 0
		.amdhsa_exception_fp_denorm_src 0
		.amdhsa_exception_fp_ieee_div_zero 0
		.amdhsa_exception_fp_ieee_overflow 0
		.amdhsa_exception_fp_ieee_underflow 0
		.amdhsa_exception_fp_ieee_inexact 0
		.amdhsa_exception_int_div_zero 0
	.end_amdhsa_kernel
	.section	.text._ZN7rocprim17ROCPRIM_400000_NS6detail17trampoline_kernelINS0_14default_configENS1_20scan_config_selectorIyEEZZNS1_9scan_implILNS1_25lookback_scan_determinismE0ELb1ELb1ES3_N6thrust23THRUST_200600_302600_NS6detail15normal_iteratorINS9_10device_ptrIyEEEENS9_16discard_iteratorINS9_11use_defaultEEEy11max_functorIyEyEEDaPvRmT3_T4_T5_mT6_P12ihipStream_tbENKUlT_T0_E_clISt17integral_constantIbLb0EESW_IbLb1EEEEDaSS_ST_EUlSS_E_NS1_11comp_targetILNS1_3genE5ELNS1_11target_archE942ELNS1_3gpuE9ELNS1_3repE0EEENS1_30default_config_static_selectorELNS0_4arch9wavefront6targetE1EEEvT1_,"axG",@progbits,_ZN7rocprim17ROCPRIM_400000_NS6detail17trampoline_kernelINS0_14default_configENS1_20scan_config_selectorIyEEZZNS1_9scan_implILNS1_25lookback_scan_determinismE0ELb1ELb1ES3_N6thrust23THRUST_200600_302600_NS6detail15normal_iteratorINS9_10device_ptrIyEEEENS9_16discard_iteratorINS9_11use_defaultEEEy11max_functorIyEyEEDaPvRmT3_T4_T5_mT6_P12ihipStream_tbENKUlT_T0_E_clISt17integral_constantIbLb0EESW_IbLb1EEEEDaSS_ST_EUlSS_E_NS1_11comp_targetILNS1_3genE5ELNS1_11target_archE942ELNS1_3gpuE9ELNS1_3repE0EEENS1_30default_config_static_selectorELNS0_4arch9wavefront6targetE1EEEvT1_,comdat
.Lfunc_end3405:
	.size	_ZN7rocprim17ROCPRIM_400000_NS6detail17trampoline_kernelINS0_14default_configENS1_20scan_config_selectorIyEEZZNS1_9scan_implILNS1_25lookback_scan_determinismE0ELb1ELb1ES3_N6thrust23THRUST_200600_302600_NS6detail15normal_iteratorINS9_10device_ptrIyEEEENS9_16discard_iteratorINS9_11use_defaultEEEy11max_functorIyEyEEDaPvRmT3_T4_T5_mT6_P12ihipStream_tbENKUlT_T0_E_clISt17integral_constantIbLb0EESW_IbLb1EEEEDaSS_ST_EUlSS_E_NS1_11comp_targetILNS1_3genE5ELNS1_11target_archE942ELNS1_3gpuE9ELNS1_3repE0EEENS1_30default_config_static_selectorELNS0_4arch9wavefront6targetE1EEEvT1_, .Lfunc_end3405-_ZN7rocprim17ROCPRIM_400000_NS6detail17trampoline_kernelINS0_14default_configENS1_20scan_config_selectorIyEEZZNS1_9scan_implILNS1_25lookback_scan_determinismE0ELb1ELb1ES3_N6thrust23THRUST_200600_302600_NS6detail15normal_iteratorINS9_10device_ptrIyEEEENS9_16discard_iteratorINS9_11use_defaultEEEy11max_functorIyEyEEDaPvRmT3_T4_T5_mT6_P12ihipStream_tbENKUlT_T0_E_clISt17integral_constantIbLb0EESW_IbLb1EEEEDaSS_ST_EUlSS_E_NS1_11comp_targetILNS1_3genE5ELNS1_11target_archE942ELNS1_3gpuE9ELNS1_3repE0EEENS1_30default_config_static_selectorELNS0_4arch9wavefront6targetE1EEEvT1_
                                        ; -- End function
	.section	.AMDGPU.csdata,"",@progbits
; Kernel info:
; codeLenInByte = 0
; NumSgprs: 4
; NumVgprs: 0
; NumAgprs: 0
; TotalNumVgprs: 0
; ScratchSize: 0
; MemoryBound: 0
; FloatMode: 240
; IeeeMode: 1
; LDSByteSize: 0 bytes/workgroup (compile time only)
; SGPRBlocks: 0
; VGPRBlocks: 0
; NumSGPRsForWavesPerEU: 4
; NumVGPRsForWavesPerEU: 1
; AccumOffset: 4
; Occupancy: 8
; WaveLimiterHint : 0
; COMPUTE_PGM_RSRC2:SCRATCH_EN: 0
; COMPUTE_PGM_RSRC2:USER_SGPR: 6
; COMPUTE_PGM_RSRC2:TRAP_HANDLER: 0
; COMPUTE_PGM_RSRC2:TGID_X_EN: 1
; COMPUTE_PGM_RSRC2:TGID_Y_EN: 0
; COMPUTE_PGM_RSRC2:TGID_Z_EN: 0
; COMPUTE_PGM_RSRC2:TIDIG_COMP_CNT: 0
; COMPUTE_PGM_RSRC3_GFX90A:ACCUM_OFFSET: 0
; COMPUTE_PGM_RSRC3_GFX90A:TG_SPLIT: 0
	.section	.text._ZN7rocprim17ROCPRIM_400000_NS6detail17trampoline_kernelINS0_14default_configENS1_20scan_config_selectorIyEEZZNS1_9scan_implILNS1_25lookback_scan_determinismE0ELb1ELb1ES3_N6thrust23THRUST_200600_302600_NS6detail15normal_iteratorINS9_10device_ptrIyEEEENS9_16discard_iteratorINS9_11use_defaultEEEy11max_functorIyEyEEDaPvRmT3_T4_T5_mT6_P12ihipStream_tbENKUlT_T0_E_clISt17integral_constantIbLb0EESW_IbLb1EEEEDaSS_ST_EUlSS_E_NS1_11comp_targetILNS1_3genE4ELNS1_11target_archE910ELNS1_3gpuE8ELNS1_3repE0EEENS1_30default_config_static_selectorELNS0_4arch9wavefront6targetE1EEEvT1_,"axG",@progbits,_ZN7rocprim17ROCPRIM_400000_NS6detail17trampoline_kernelINS0_14default_configENS1_20scan_config_selectorIyEEZZNS1_9scan_implILNS1_25lookback_scan_determinismE0ELb1ELb1ES3_N6thrust23THRUST_200600_302600_NS6detail15normal_iteratorINS9_10device_ptrIyEEEENS9_16discard_iteratorINS9_11use_defaultEEEy11max_functorIyEyEEDaPvRmT3_T4_T5_mT6_P12ihipStream_tbENKUlT_T0_E_clISt17integral_constantIbLb0EESW_IbLb1EEEEDaSS_ST_EUlSS_E_NS1_11comp_targetILNS1_3genE4ELNS1_11target_archE910ELNS1_3gpuE8ELNS1_3repE0EEENS1_30default_config_static_selectorELNS0_4arch9wavefront6targetE1EEEvT1_,comdat
	.protected	_ZN7rocprim17ROCPRIM_400000_NS6detail17trampoline_kernelINS0_14default_configENS1_20scan_config_selectorIyEEZZNS1_9scan_implILNS1_25lookback_scan_determinismE0ELb1ELb1ES3_N6thrust23THRUST_200600_302600_NS6detail15normal_iteratorINS9_10device_ptrIyEEEENS9_16discard_iteratorINS9_11use_defaultEEEy11max_functorIyEyEEDaPvRmT3_T4_T5_mT6_P12ihipStream_tbENKUlT_T0_E_clISt17integral_constantIbLb0EESW_IbLb1EEEEDaSS_ST_EUlSS_E_NS1_11comp_targetILNS1_3genE4ELNS1_11target_archE910ELNS1_3gpuE8ELNS1_3repE0EEENS1_30default_config_static_selectorELNS0_4arch9wavefront6targetE1EEEvT1_ ; -- Begin function _ZN7rocprim17ROCPRIM_400000_NS6detail17trampoline_kernelINS0_14default_configENS1_20scan_config_selectorIyEEZZNS1_9scan_implILNS1_25lookback_scan_determinismE0ELb1ELb1ES3_N6thrust23THRUST_200600_302600_NS6detail15normal_iteratorINS9_10device_ptrIyEEEENS9_16discard_iteratorINS9_11use_defaultEEEy11max_functorIyEyEEDaPvRmT3_T4_T5_mT6_P12ihipStream_tbENKUlT_T0_E_clISt17integral_constantIbLb0EESW_IbLb1EEEEDaSS_ST_EUlSS_E_NS1_11comp_targetILNS1_3genE4ELNS1_11target_archE910ELNS1_3gpuE8ELNS1_3repE0EEENS1_30default_config_static_selectorELNS0_4arch9wavefront6targetE1EEEvT1_
	.globl	_ZN7rocprim17ROCPRIM_400000_NS6detail17trampoline_kernelINS0_14default_configENS1_20scan_config_selectorIyEEZZNS1_9scan_implILNS1_25lookback_scan_determinismE0ELb1ELb1ES3_N6thrust23THRUST_200600_302600_NS6detail15normal_iteratorINS9_10device_ptrIyEEEENS9_16discard_iteratorINS9_11use_defaultEEEy11max_functorIyEyEEDaPvRmT3_T4_T5_mT6_P12ihipStream_tbENKUlT_T0_E_clISt17integral_constantIbLb0EESW_IbLb1EEEEDaSS_ST_EUlSS_E_NS1_11comp_targetILNS1_3genE4ELNS1_11target_archE910ELNS1_3gpuE8ELNS1_3repE0EEENS1_30default_config_static_selectorELNS0_4arch9wavefront6targetE1EEEvT1_
	.p2align	8
	.type	_ZN7rocprim17ROCPRIM_400000_NS6detail17trampoline_kernelINS0_14default_configENS1_20scan_config_selectorIyEEZZNS1_9scan_implILNS1_25lookback_scan_determinismE0ELb1ELb1ES3_N6thrust23THRUST_200600_302600_NS6detail15normal_iteratorINS9_10device_ptrIyEEEENS9_16discard_iteratorINS9_11use_defaultEEEy11max_functorIyEyEEDaPvRmT3_T4_T5_mT6_P12ihipStream_tbENKUlT_T0_E_clISt17integral_constantIbLb0EESW_IbLb1EEEEDaSS_ST_EUlSS_E_NS1_11comp_targetILNS1_3genE4ELNS1_11target_archE910ELNS1_3gpuE8ELNS1_3repE0EEENS1_30default_config_static_selectorELNS0_4arch9wavefront6targetE1EEEvT1_,@function
_ZN7rocprim17ROCPRIM_400000_NS6detail17trampoline_kernelINS0_14default_configENS1_20scan_config_selectorIyEEZZNS1_9scan_implILNS1_25lookback_scan_determinismE0ELb1ELb1ES3_N6thrust23THRUST_200600_302600_NS6detail15normal_iteratorINS9_10device_ptrIyEEEENS9_16discard_iteratorINS9_11use_defaultEEEy11max_functorIyEyEEDaPvRmT3_T4_T5_mT6_P12ihipStream_tbENKUlT_T0_E_clISt17integral_constantIbLb0EESW_IbLb1EEEEDaSS_ST_EUlSS_E_NS1_11comp_targetILNS1_3genE4ELNS1_11target_archE910ELNS1_3gpuE8ELNS1_3repE0EEENS1_30default_config_static_selectorELNS0_4arch9wavefront6targetE1EEEvT1_: ; @_ZN7rocprim17ROCPRIM_400000_NS6detail17trampoline_kernelINS0_14default_configENS1_20scan_config_selectorIyEEZZNS1_9scan_implILNS1_25lookback_scan_determinismE0ELb1ELb1ES3_N6thrust23THRUST_200600_302600_NS6detail15normal_iteratorINS9_10device_ptrIyEEEENS9_16discard_iteratorINS9_11use_defaultEEEy11max_functorIyEyEEDaPvRmT3_T4_T5_mT6_P12ihipStream_tbENKUlT_T0_E_clISt17integral_constantIbLb0EESW_IbLb1EEEEDaSS_ST_EUlSS_E_NS1_11comp_targetILNS1_3genE4ELNS1_11target_archE910ELNS1_3gpuE8ELNS1_3repE0EEENS1_30default_config_static_selectorELNS0_4arch9wavefront6targetE1EEEvT1_
; %bb.0:
	s_load_dwordx2 s[26:27], s[4:5], 0x38
	v_cmp_ne_u32_e64 s[2:3], 0, v0
	v_cmp_eq_u32_e64 s[0:1], 0, v0
	s_and_saveexec_b64 s[6:7], s[0:1]
	s_cbranch_execz .LBB3406_4
; %bb.1:
	s_mov_b64 s[10:11], exec
	v_mbcnt_lo_u32_b32 v1, s10, 0
	v_mbcnt_hi_u32_b32 v1, s11, v1
	v_cmp_eq_u32_e32 vcc, 0, v1
                                        ; implicit-def: $vgpr2
	s_and_saveexec_b64 s[8:9], vcc
	s_cbranch_execz .LBB3406_3
; %bb.2:
	s_load_dwordx2 s[12:13], s[4:5], 0x68
	s_bcnt1_i32_b64 s10, s[10:11]
	v_mov_b32_e32 v2, 0
	v_mov_b32_e32 v3, s10
	s_waitcnt lgkmcnt(0)
	global_atomic_add v2, v2, v3, s[12:13] glc
.LBB3406_3:
	s_or_b64 exec, exec, s[8:9]
	s_waitcnt vmcnt(0)
	v_readfirstlane_b32 s8, v2
	v_add_u32_e32 v1, s8, v1
	v_mov_b32_e32 v2, 0
	ds_write_b32 v2, v1
.LBB3406_4:
	s_or_b64 exec, exec, s[6:7]
	v_mov_b32_e32 v3, 0
	s_load_dwordx4 s[8:11], s[4:5], 0x0
	s_load_dwordx4 s[12:15], s[4:5], 0x20
	s_load_dword s6, s[4:5], 0x40
	s_load_dwordx8 s[16:23], s[4:5], 0x48
	s_waitcnt lgkmcnt(0)
	s_barrier
	ds_read_b32 v1, v3
	s_lshl_b64 s[4:5], s[10:11], 3
	s_add_u32 s33, s8, s4
	s_movk_i32 s4, 0x380
	s_addc_u32 s34, s9, s5
	s_waitcnt lgkmcnt(0)
	v_mul_lo_u32 v2, v1, s4
	s_add_i32 s4, s6, -1
	s_mul_i32 s5, s4, 0x380
	s_sub_u32 s30, s12, s5
	v_readfirstlane_b32 s35, v1
	s_subb_u32 s31, s13, 0
	v_lshlrev_b64 v[2:3], 3, v[2:3]
	s_cmp_lg_u32 s35, s4
	v_mov_b32_e32 v1, s34
	v_add_co_u32_e32 v20, vcc, s33, v2
	s_cselect_b64 s[24:25], -1, 0
	v_addc_co_u32_e32 v21, vcc, v1, v3, vcc
	s_mov_b64 s[4:5], -1
	s_and_b64 vcc, exec, s[24:25]
	v_lshlrev_b32_e32 v1, 3, v0
	s_barrier
	s_cbranch_vccz .LBB3406_6
; %bb.5:
	v_add_co_u32_e32 v2, vcc, v20, v1
	v_addc_co_u32_e32 v3, vcc, 0, v21, vcc
	flat_load_dwordx2 v[4:5], v[2:3]
	flat_load_dwordx2 v[6:7], v[2:3] offset:1024
	flat_load_dwordx2 v[8:9], v[2:3] offset:2048
	;; [unrolled: 1-line block ×3, first 2 shown]
	v_add_co_u32_e32 v2, vcc, 0x1000, v2
	v_addc_co_u32_e32 v3, vcc, 0, v3, vcc
	flat_load_dwordx2 v[12:13], v[2:3]
	flat_load_dwordx2 v[14:15], v[2:3] offset:1024
	flat_load_dwordx2 v[16:17], v[2:3] offset:2048
	s_mov_b64 s[4:5], 0
	s_waitcnt vmcnt(0) lgkmcnt(0)
	ds_write2st64_b64 v1, v[4:5], v[6:7] offset1:2
	ds_write2st64_b64 v1, v[8:9], v[10:11] offset0:4 offset1:6
	ds_write2st64_b64 v1, v[12:13], v[14:15] offset0:8 offset1:10
	ds_write_b64 v1, v[16:17] offset:6144
	s_waitcnt lgkmcnt(0)
	s_barrier
.LBB3406_6:
	s_andn2_b64 vcc, exec, s[4:5]
	s_cbranch_vccnz .LBB3406_22
; %bb.7:
	flat_load_dwordx2 v[2:3], v[20:21]
	v_cmp_gt_u32_e32 vcc, s30, v0
	s_waitcnt vmcnt(0) lgkmcnt(0)
	v_mov_b32_e32 v4, v2
	v_mov_b32_e32 v5, v3
	;; [unrolled: 1-line block ×10, first 2 shown]
	v_pk_mov_b32 v[18:19], v[14:15], v[14:15] op_sel:[0,1]
	v_pk_mov_b32 v[16:17], v[12:13], v[12:13] op_sel:[0,1]
	v_pk_mov_b32 v[14:15], v[10:11], v[10:11] op_sel:[0,1]
	v_pk_mov_b32 v[12:13], v[8:9], v[8:9] op_sel:[0,1]
	v_pk_mov_b32 v[10:11], v[6:7], v[6:7] op_sel:[0,1]
	v_pk_mov_b32 v[8:9], v[4:5], v[4:5] op_sel:[0,1]
	v_pk_mov_b32 v[6:7], v[2:3], v[2:3] op_sel:[0,1]
	v_pk_mov_b32 v[4:5], v[0:1], v[0:1] op_sel:[0,1]
	s_and_saveexec_b64 s[4:5], vcc
	s_cbranch_execz .LBB3406_9
; %bb.8:
	v_add_co_u32_e32 v4, vcc, v20, v1
	v_addc_co_u32_e32 v5, vcc, 0, v21, vcc
	flat_load_dwordx2 v[22:23], v[4:5]
	v_mov_b32_e32 v4, v2
	v_mov_b32_e32 v5, v3
	;; [unrolled: 1-line block ×10, first 2 shown]
	v_pk_mov_b32 v[18:19], v[14:15], v[14:15] op_sel:[0,1]
	v_pk_mov_b32 v[16:17], v[12:13], v[12:13] op_sel:[0,1]
	v_pk_mov_b32 v[14:15], v[10:11], v[10:11] op_sel:[0,1]
	v_pk_mov_b32 v[12:13], v[8:9], v[8:9] op_sel:[0,1]
	v_pk_mov_b32 v[10:11], v[6:7], v[6:7] op_sel:[0,1]
	v_pk_mov_b32 v[8:9], v[4:5], v[4:5] op_sel:[0,1]
	v_pk_mov_b32 v[6:7], v[2:3], v[2:3] op_sel:[0,1]
	v_pk_mov_b32 v[4:5], v[0:1], v[0:1] op_sel:[0,1]
	s_waitcnt vmcnt(0) lgkmcnt(0)
	v_pk_mov_b32 v[2:3], v[22:23], v[22:23] op_sel:[0,1]
.LBB3406_9:
	s_or_b64 exec, exec, s[4:5]
	v_or_b32_e32 v4, 0x80, v0
	v_cmp_gt_u32_e32 vcc, s30, v4
	s_and_saveexec_b64 s[4:5], vcc
	s_cbranch_execz .LBB3406_11
; %bb.10:
	v_add_co_u32_e32 v4, vcc, v20, v1
	v_addc_co_u32_e32 v5, vcc, 0, v21, vcc
	flat_load_dwordx2 v[6:7], v[4:5] offset:1024
.LBB3406_11:
	s_or_b64 exec, exec, s[4:5]
	v_or_b32_e32 v4, 0x100, v0
	v_cmp_gt_u32_e32 vcc, s30, v4
	s_and_saveexec_b64 s[4:5], vcc
	s_cbranch_execz .LBB3406_13
; %bb.12:
	v_add_co_u32_e32 v4, vcc, v20, v1
	v_addc_co_u32_e32 v5, vcc, 0, v21, vcc
	flat_load_dwordx2 v[8:9], v[4:5] offset:2048
.LBB3406_13:
	;; [unrolled: 10-line block ×3, first 2 shown]
	s_or_b64 exec, exec, s[4:5]
	v_or_b32_e32 v4, 0x200, v0
	v_cmp_gt_u32_e32 vcc, s30, v4
	s_and_saveexec_b64 s[4:5], vcc
	s_cbranch_execz .LBB3406_17
; %bb.16:
	v_lshlrev_b32_e32 v4, 3, v4
	v_add_co_u32_e32 v4, vcc, v20, v4
	v_addc_co_u32_e32 v5, vcc, 0, v21, vcc
	flat_load_dwordx2 v[12:13], v[4:5]
.LBB3406_17:
	s_or_b64 exec, exec, s[4:5]
	v_or_b32_e32 v4, 0x280, v0
	v_cmp_gt_u32_e32 vcc, s30, v4
	s_and_saveexec_b64 s[4:5], vcc
	s_cbranch_execz .LBB3406_19
; %bb.18:
	v_lshlrev_b32_e32 v4, 3, v4
	v_add_co_u32_e32 v4, vcc, v20, v4
	v_addc_co_u32_e32 v5, vcc, 0, v21, vcc
	flat_load_dwordx2 v[14:15], v[4:5]
.LBB3406_19:
	;; [unrolled: 11-line block ×3, first 2 shown]
	s_or_b64 exec, exec, s[4:5]
	s_waitcnt vmcnt(0) lgkmcnt(0)
	ds_write2st64_b64 v1, v[2:3], v[6:7] offset1:2
	ds_write2st64_b64 v1, v[8:9], v[10:11] offset0:4 offset1:6
	ds_write2st64_b64 v1, v[12:13], v[14:15] offset0:8 offset1:10
	ds_write_b64 v1, v[16:17] offset:6144
	s_waitcnt lgkmcnt(0)
	s_barrier
.LBB3406_22:
	v_mul_u32_u24_e32 v36, 7, v0
	v_lshlrev_b32_e32 v37, 3, v36
	ds_read2_b64 v[10:13], v37 offset1:1
	ds_read2_b64 v[6:9], v37 offset0:2 offset1:3
	ds_read2_b64 v[2:5], v37 offset0:4 offset1:5
	ds_read_b64 v[26:27], v37 offset:48
	s_cmp_lg_u32 s35, 0
	s_waitcnt lgkmcnt(3)
	v_cmp_gt_u64_e64 s[4:5], v[10:11], v[12:13]
	v_lshrrev_b32_e32 v1, 5, v0
	v_cmp_gt_u32_e32 vcc, 64, v0
	s_waitcnt lgkmcnt(0)
	s_barrier
	s_cbranch_scc0 .LBB3406_49
; %bb.23:
	v_cndmask_b32_e64 v15, v13, v11, s[4:5]
	v_cndmask_b32_e64 v14, v12, v10, s[4:5]
	v_cmp_gt_u64_e64 s[4:5], v[14:15], v[6:7]
	v_cndmask_b32_e64 v15, v7, v15, s[4:5]
	v_cndmask_b32_e64 v14, v6, v14, s[4:5]
	v_cmp_gt_u64_e64 s[4:5], v[14:15], v[8:9]
	;; [unrolled: 3-line block ×5, first 2 shown]
	v_cndmask_b32_e64 v23, v27, v15, s[4:5]
	v_cndmask_b32_e64 v22, v26, v14, s[4:5]
	v_add_lshl_u32 v14, v1, v0, 3
	ds_write_b64 v14, v[22:23]
	s_waitcnt lgkmcnt(0)
	s_barrier
	s_and_saveexec_b64 s[8:9], vcc
	s_cbranch_execz .LBB3406_27
; %bb.24:
	v_lshlrev_b32_e32 v14, 1, v0
	v_lshrrev_b32_e32 v15, 4, v0
	v_add_lshl_u32 v24, v15, v14, 3
	ds_read2_b64 v[14:17], v24 offset1:1
	v_mbcnt_lo_u32_b32 v18, -1, 0
	v_mbcnt_hi_u32_b32 v25, -1, v18
	v_and_b32_e32 v28, 15, v25
	v_and_b32_e32 v30, 16, v25
	s_waitcnt lgkmcnt(0)
	v_cmp_gt_u64_e64 s[4:5], v[14:15], v[16:17]
	v_cndmask_b32_e64 v17, v17, v15, s[4:5]
	v_cndmask_b32_e64 v16, v16, v14, s[4:5]
	v_cmp_ne_u32_e64 s[6:7], 0, v25
	v_mov_b32_dpp v19, v17 row_shr:1 row_mask:0xf bank_mask:0xf
	v_mov_b32_dpp v18, v16 row_shr:1 row_mask:0xf bank_mask:0xf
	v_cmp_gt_u64_e64 s[4:5], v[18:19], v[16:17]
	v_cndmask_b32_e64 v18, v16, v18, s[4:5]
	v_cndmask_b32_e64 v19, v17, v19, s[4:5]
	v_cmp_eq_u32_e64 s[4:5], 0, v28
	v_cndmask_b32_e64 v19, v19, v17, s[4:5]
	v_cndmask_b32_e64 v18, v18, v16, s[4:5]
	s_nop 0
	v_mov_b32_dpp v21, v19 row_shr:2 row_mask:0xf bank_mask:0xf
	v_mov_b32_dpp v20, v18 row_shr:2 row_mask:0xf bank_mask:0xf
	v_cmp_gt_u64_e64 s[4:5], v[20:21], v[18:19]
	v_cndmask_b32_e64 v20, v18, v20, s[4:5]
	v_cndmask_b32_e64 v21, v19, v21, s[4:5]
	v_cmp_lt_u32_e64 s[4:5], 1, v28
	v_cndmask_b32_e64 v19, v19, v21, s[4:5]
	v_cndmask_b32_e64 v18, v18, v20, s[4:5]
	s_nop 0
	v_mov_b32_dpp v21, v19 row_shr:4 row_mask:0xf bank_mask:0xf
	v_mov_b32_dpp v20, v18 row_shr:4 row_mask:0xf bank_mask:0xf
	v_cmp_gt_u64_e64 s[4:5], v[20:21], v[18:19]
	v_cndmask_b32_e64 v20, v18, v20, s[4:5]
	v_cndmask_b32_e64 v21, v19, v21, s[4:5]
	v_cmp_lt_u32_e64 s[4:5], 3, v28
	;; [unrolled: 9-line block ×3, first 2 shown]
	v_cndmask_b32_e64 v19, v19, v21, s[4:5]
	v_cndmask_b32_e64 v18, v18, v20, s[4:5]
	s_nop 0
	v_mov_b32_dpp v21, v19 row_bcast:15 row_mask:0xf bank_mask:0xf
	v_mov_b32_dpp v20, v18 row_bcast:15 row_mask:0xf bank_mask:0xf
	v_cmp_gt_u64_e64 s[4:5], v[20:21], v[18:19]
	v_cndmask_b32_e64 v28, v19, v21, s[4:5]
	v_cndmask_b32_e64 v29, v18, v20, s[4:5]
	v_cmp_eq_u32_e64 s[4:5], 0, v30
	v_cndmask_b32_e64 v21, v28, v19, s[4:5]
	v_cndmask_b32_e64 v20, v29, v18, s[4:5]
	s_nop 0
	v_mov_b32_dpp v21, v21 row_bcast:31 row_mask:0xf bank_mask:0xf
	v_mov_b32_dpp v20, v20 row_bcast:31 row_mask:0xf bank_mask:0xf
	s_and_saveexec_b64 s[10:11], s[6:7]
; %bb.25:
	v_cndmask_b32_e64 v17, v28, v19, s[4:5]
	v_cndmask_b32_e64 v16, v29, v18, s[4:5]
	v_cmp_lt_u32_e64 s[6:7], 31, v25
	v_cmp_gt_u64_e64 s[4:5], v[20:21], v[16:17]
	s_and_b64 s[4:5], s[6:7], s[4:5]
	v_cndmask_b32_e64 v16, v16, v20, s[4:5]
	v_cndmask_b32_e64 v17, v17, v21, s[4:5]
; %bb.26:
	s_or_b64 exec, exec, s[10:11]
	v_add_u32_e32 v18, -1, v25
	v_and_b32_e32 v19, 64, v25
	v_cmp_lt_i32_e64 s[4:5], v18, v19
	v_cndmask_b32_e64 v18, v18, v25, s[4:5]
	v_lshlrev_b32_e32 v18, 2, v18
	ds_bpermute_b32 v16, v18, v16
	ds_bpermute_b32 v17, v18, v17
	; wave barrier
	s_waitcnt lgkmcnt(0)
	v_cmp_gt_u64_e64 s[4:5], v[16:17], v[14:15]
	v_cndmask_b32_e64 v14, v14, v16, s[4:5]
	v_cndmask_b32_e64 v15, v15, v17, s[4:5]
	;; [unrolled: 1-line block ×4, first 2 shown]
	ds_write_b64 v24, v[14:15]
	; wave barrier
	ds_read_b64 v[16:17], v24 offset:8
	s_waitcnt lgkmcnt(0)
	v_cmp_gt_u64_e64 s[4:5], v[14:15], v[16:17]
	v_cndmask_b32_e64 v15, v17, v15, s[4:5]
	v_cndmask_b32_e64 v14, v16, v14, s[4:5]
	ds_write_b64 v24, v[14:15] offset:8
.LBB3406_27:
	s_or_b64 exec, exec, s[8:9]
	s_waitcnt lgkmcnt(0)
	s_barrier
	s_and_saveexec_b64 s[4:5], s[2:3]
	s_cbranch_execz .LBB3406_29
; %bb.28:
	v_add_u32_e32 v14, -1, v0
	v_lshrrev_b32_e32 v15, 5, v14
	v_add_lshl_u32 v14, v15, v14, 3
	ds_read_b64 v[22:23], v14
.LBB3406_29:
	s_or_b64 exec, exec, s[4:5]
	s_and_saveexec_b64 s[28:29], vcc
	s_cbranch_execz .LBB3406_48
; %bb.30:
	v_mov_b32_e32 v17, 0
	ds_read_b64 v[14:15], v17 offset:1040
	v_mbcnt_lo_u32_b32 v16, -1, 0
	v_mbcnt_hi_u32_b32 v25, -1, v16
	s_mov_b32 s9, 0
	v_cmp_eq_u32_e64 s[4:5], 0, v25
	s_and_saveexec_b64 s[6:7], s[4:5]
	s_cbranch_execz .LBB3406_32
; %bb.31:
	s_add_i32 s8, s35, 64
	s_lshl_b64 s[8:9], s[8:9], 4
	s_add_u32 s8, s26, s8
	s_addc_u32 s9, s27, s9
	v_mov_b32_e32 v16, 1
	v_pk_mov_b32 v[18:19], s[8:9], s[8:9] op_sel:[0,1]
	s_waitcnt lgkmcnt(0)
	;;#ASMSTART
	global_store_dwordx4 v[18:19], v[14:17] off	
s_waitcnt vmcnt(0)
	;;#ASMEND
.LBB3406_32:
	s_or_b64 exec, exec, s[6:7]
	v_xad_u32 v24, v25, -1, s35
	v_add_u32_e32 v16, 64, v24
	v_lshlrev_b64 v[18:19], 4, v[16:17]
	v_mov_b32_e32 v16, s27
	v_add_co_u32_e32 v28, vcc, s26, v18
	v_addc_co_u32_e32 v29, vcc, v16, v19, vcc
	;;#ASMSTART
	global_load_dwordx4 v[18:21], v[28:29] off glc	
s_waitcnt vmcnt(0)
	;;#ASMEND
	v_and_b32_e32 v16, 0xff, v19
	v_and_b32_e32 v21, 0xff00, v19
	v_or3_b32 v16, 0, v16, v21
	v_or3_b32 v18, v18, 0, 0
	v_and_b32_e32 v21, 0xff000000, v19
	v_and_b32_e32 v19, 0xff0000, v19
	v_or3_b32 v19, v16, v19, v21
	v_or3_b32 v18, v18, 0, 0
	v_cmp_eq_u16_sdwa s[8:9], v20, v17 src0_sel:BYTE_0 src1_sel:DWORD
	s_and_saveexec_b64 s[6:7], s[8:9]
	s_cbranch_execz .LBB3406_36
; %bb.33:
	s_mov_b64 s[8:9], 0
	v_mov_b32_e32 v16, 0
.LBB3406_34:                            ; =>This Inner Loop Header: Depth=1
	;;#ASMSTART
	global_load_dwordx4 v[18:21], v[28:29] off glc	
s_waitcnt vmcnt(0)
	;;#ASMEND
	v_cmp_ne_u16_sdwa s[10:11], v20, v16 src0_sel:BYTE_0 src1_sel:DWORD
	s_or_b64 s[8:9], s[10:11], s[8:9]
	s_andn2_b64 exec, exec, s[8:9]
	s_cbranch_execnz .LBB3406_34
; %bb.35:
	s_or_b64 exec, exec, s[8:9]
.LBB3406_36:
	s_or_b64 exec, exec, s[6:7]
	v_and_b32_e32 v33, 63, v25
	v_cmp_ne_u32_e32 vcc, 63, v33
	v_mov_b32_e32 v32, 2
	v_addc_co_u32_e32 v28, vcc, 0, v25, vcc
	v_cmp_eq_u16_sdwa s[6:7], v20, v32 src0_sel:BYTE_0 src1_sel:DWORD
	v_lshlrev_b64 v[16:17], v25, -1
	v_lshlrev_b32_e32 v34, 2, v28
	v_and_b32_e32 v21, s7, v17
	ds_bpermute_b32 v28, v34, v18
	ds_bpermute_b32 v29, v34, v19
	v_or_b32_e32 v21, 0x80000000, v21
	v_and_b32_e32 v30, s6, v16
	v_ffbl_b32_e32 v21, v21
	v_add_u32_e32 v21, 32, v21
	v_ffbl_b32_e32 v30, v30
	v_min_u32_e32 v21, v30, v21
	s_waitcnt lgkmcnt(0)
	v_cmp_gt_u64_e64 s[6:7], v[28:29], v[18:19]
	v_cmp_lt_u32_e32 vcc, v33, v21
	v_cndmask_b32_e64 v28, v18, v28, s[6:7]
	s_and_b64 s[6:7], vcc, s[6:7]
	v_cndmask_b32_e64 v29, v19, v29, s[6:7]
	v_cmp_gt_u32_e64 s[6:7], 62, v33
	v_cndmask_b32_e64 v30, 0, 1, s[6:7]
	v_lshlrev_b32_e32 v30, 1, v30
	v_cndmask_b32_e32 v28, v18, v28, vcc
	v_add_lshl_u32 v35, v30, v25, 2
	ds_bpermute_b32 v30, v35, v28
	ds_bpermute_b32 v31, v35, v29
	v_add_u32_e32 v38, 2, v33
	v_cmp_gt_u32_e64 s[8:9], 56, v33
	v_add_u32_e32 v40, 4, v33
	v_cndmask_b32_e64 v41, 0, 1, s[8:9]
	s_waitcnt lgkmcnt(0)
	v_cmp_gt_u64_e64 s[6:7], v[30:31], v[28:29]
	v_cndmask_b32_e64 v31, v29, v31, s[6:7]
	v_cndmask_b32_e64 v30, v28, v30, s[6:7]
	v_cmp_gt_u32_e64 s[6:7], v38, v21
	v_cndmask_b32_e64 v28, v30, v28, s[6:7]
	v_cndmask_b32_e64 v29, v31, v29, s[6:7]
	v_cmp_gt_u32_e64 s[6:7], 60, v33
	v_cndmask_b32_e64 v30, 0, 1, s[6:7]
	v_lshlrev_b32_e32 v30, 2, v30
	v_add_lshl_u32 v39, v30, v25, 2
	ds_bpermute_b32 v30, v39, v28
	ds_bpermute_b32 v31, v39, v29
	v_lshlrev_b32_e32 v41, 3, v41
	v_add_lshl_u32 v41, v41, v25, 2
	v_cmp_gt_u32_e64 s[10:11], 48, v33
	v_add_u32_e32 v42, 8, v33
	s_waitcnt lgkmcnt(0)
	v_cmp_gt_u64_e64 s[6:7], v[30:31], v[28:29]
	v_cndmask_b32_e64 v50, v29, v31, s[6:7]
	v_cndmask_b32_e64 v51, v28, v30, s[6:7]
	v_cmp_gt_u32_e64 s[6:7], v40, v21
	v_cndmask_b32_e64 v30, v51, v28, s[6:7]
	v_cndmask_b32_e64 v31, v50, v29, s[6:7]
	ds_bpermute_b32 v44, v41, v30
	ds_bpermute_b32 v45, v41, v31
	v_cndmask_b32_e64 v43, 0, 1, s[10:11]
	v_lshlrev_b32_e32 v43, 4, v43
	v_add_lshl_u32 v43, v43, v25, 2
	v_cmp_gt_u32_e64 s[12:13], 32, v33
	s_waitcnt lgkmcnt(0)
	v_cmp_gt_u64_e64 s[8:9], v[44:45], v[30:31]
	v_cndmask_b32_e64 v52, v31, v45, s[8:9]
	v_cndmask_b32_e64 v53, v30, v44, s[8:9]
	v_cmp_gt_u32_e64 s[8:9], v42, v21
	v_cndmask_b32_e64 v30, v53, v30, s[8:9]
	v_cndmask_b32_e64 v31, v52, v31, s[8:9]
	ds_bpermute_b32 v46, v43, v30
	ds_bpermute_b32 v47, v43, v31
	v_add_u32_e32 v44, 16, v33
	v_cndmask_b32_e64 v45, 0, 1, s[12:13]
	v_lshlrev_b32_e32 v45, 5, v45
	v_add_lshl_u32 v45, v45, v25, 2
	s_waitcnt lgkmcnt(0)
	v_cmp_gt_u64_e64 s[10:11], v[46:47], v[30:31]
	v_cndmask_b32_e64 v47, v31, v47, s[10:11]
	v_cndmask_b32_e64 v54, v30, v46, s[10:11]
	v_cmp_gt_u32_e64 s[10:11], v44, v21
	v_cndmask_b32_e64 v30, v54, v30, s[10:11]
	v_cndmask_b32_e64 v31, v47, v31, s[10:11]
	ds_bpermute_b32 v48, v45, v30
	ds_bpermute_b32 v49, v45, v31
	v_cndmask_b32_e32 v19, v19, v29, vcc
	v_cndmask_b32_e32 v18, v18, v28, vcc
	v_cndmask_b32_e64 v18, v51, v18, s[6:7]
	v_cndmask_b32_e64 v19, v50, v19, s[6:7]
	v_add_u32_e32 v46, 32, v33
	s_waitcnt lgkmcnt(0)
	v_cmp_gt_u64_e64 s[12:13], v[48:49], v[30:31]
	v_cndmask_b32_e64 v19, v52, v19, s[8:9]
	v_cndmask_b32_e64 v18, v53, v18, s[8:9]
	;; [unrolled: 1-line block ×6, first 2 shown]
	v_cmp_gt_u32_e32 vcc, v46, v21
	v_cndmask_b32_e32 v19, v30, v19, vcc
	v_cndmask_b32_e32 v18, v25, v18, vcc
	v_mov_b32_e32 v25, 0
	s_branch .LBB3406_38
.LBB3406_37:                            ;   in Loop: Header=BB3406_38 Depth=1
	s_or_b64 exec, exec, s[6:7]
	v_cmp_eq_u16_sdwa s[6:7], v20, v32 src0_sel:BYTE_0 src1_sel:DWORD
	v_and_b32_e32 v21, s7, v17
	ds_bpermute_b32 v30, v34, v18
	ds_bpermute_b32 v31, v34, v19
	v_or_b32_e32 v21, 0x80000000, v21
	v_and_b32_e32 v47, s6, v16
	v_ffbl_b32_e32 v21, v21
	v_add_u32_e32 v21, 32, v21
	v_ffbl_b32_e32 v47, v47
	v_min_u32_e32 v21, v47, v21
	s_waitcnt lgkmcnt(0)
	v_cmp_gt_u64_e32 vcc, v[30:31], v[18:19]
	v_cmp_lt_u32_e64 s[6:7], v33, v21
	v_cndmask_b32_e32 v30, v18, v30, vcc
	s_and_b64 vcc, s[6:7], vcc
	v_cndmask_b32_e64 v30, v18, v30, s[6:7]
	v_cndmask_b32_e32 v31, v19, v31, vcc
	ds_bpermute_b32 v48, v35, v30
	ds_bpermute_b32 v49, v35, v31
	v_subrev_u32_e32 v24, 64, v24
	s_waitcnt lgkmcnt(0)
	v_cmp_gt_u64_e32 vcc, v[48:49], v[30:31]
	v_cndmask_b32_e32 v47, v31, v49, vcc
	v_cndmask_b32_e32 v48, v30, v48, vcc
	v_cmp_gt_u32_e32 vcc, v38, v21
	v_cndmask_b32_e32 v30, v48, v30, vcc
	v_cndmask_b32_e32 v31, v47, v31, vcc
	ds_bpermute_b32 v48, v39, v30
	ds_bpermute_b32 v49, v39, v31
	v_cndmask_b32_e64 v19, v19, v31, s[6:7]
	v_cndmask_b32_e64 v18, v18, v30, s[6:7]
	s_waitcnt lgkmcnt(0)
	v_cmp_gt_u64_e32 vcc, v[48:49], v[30:31]
	v_cndmask_b32_e32 v47, v31, v49, vcc
	v_cndmask_b32_e32 v52, v30, v48, vcc
	v_cmp_gt_u32_e32 vcc, v40, v21
	v_cndmask_b32_e32 v48, v52, v30, vcc
	v_cndmask_b32_e32 v49, v47, v31, vcc
	ds_bpermute_b32 v50, v41, v48
	ds_bpermute_b32 v51, v41, v49
	v_cndmask_b32_e32 v18, v52, v18, vcc
	v_cndmask_b32_e32 v19, v47, v19, vcc
	v_cmp_gt_u32_e32 vcc, v46, v21
	s_waitcnt lgkmcnt(0)
	v_cmp_gt_u64_e64 s[8:9], v[50:51], v[48:49]
	v_cndmask_b32_e64 v53, v49, v51, s[8:9]
	v_cndmask_b32_e64 v54, v48, v50, s[8:9]
	v_cmp_gt_u32_e64 s[8:9], v42, v21
	v_cndmask_b32_e64 v48, v54, v48, s[8:9]
	v_cndmask_b32_e64 v49, v53, v49, s[8:9]
	ds_bpermute_b32 v50, v43, v48
	ds_bpermute_b32 v51, v43, v49
	v_cndmask_b32_e64 v19, v53, v19, s[8:9]
	v_cndmask_b32_e64 v18, v54, v18, s[8:9]
	s_waitcnt lgkmcnt(0)
	v_cmp_gt_u64_e64 s[10:11], v[50:51], v[48:49]
	v_cndmask_b32_e64 v55, v49, v51, s[10:11]
	v_cndmask_b32_e64 v56, v48, v50, s[10:11]
	v_cmp_gt_u32_e64 s[10:11], v44, v21
	v_cndmask_b32_e64 v48, v56, v48, s[10:11]
	v_cndmask_b32_e64 v49, v55, v49, s[10:11]
	ds_bpermute_b32 v50, v45, v48
	ds_bpermute_b32 v51, v45, v49
	v_cndmask_b32_e64 v18, v56, v18, s[10:11]
	v_cndmask_b32_e64 v19, v55, v19, s[10:11]
	s_waitcnt lgkmcnt(0)
	v_cmp_gt_u64_e64 s[12:13], v[50:51], v[48:49]
	v_cndmask_b32_e64 v48, v48, v50, s[12:13]
	v_cndmask_b32_e64 v49, v49, v51, s[12:13]
	v_cndmask_b32_e32 v19, v49, v19, vcc
	v_cndmask_b32_e32 v18, v48, v18, vcc
	v_cmp_gt_u64_e32 vcc, v[18:19], v[28:29]
	v_cndmask_b32_e32 v19, v29, v19, vcc
	v_cndmask_b32_e32 v18, v28, v18, vcc
.LBB3406_38:                            ; =>This Loop Header: Depth=1
                                        ;     Child Loop BB3406_41 Depth 2
	v_cmp_ne_u16_sdwa s[6:7], v20, v32 src0_sel:BYTE_0 src1_sel:DWORD
	v_cndmask_b32_e64 v20, 0, 1, s[6:7]
	;;#ASMSTART
	;;#ASMEND
	v_cmp_ne_u32_e32 vcc, 0, v20
	s_cmp_lg_u64 vcc, exec
	v_pk_mov_b32 v[28:29], v[18:19], v[18:19] op_sel:[0,1]
	s_cbranch_scc1 .LBB3406_43
; %bb.39:                               ;   in Loop: Header=BB3406_38 Depth=1
	v_lshlrev_b64 v[18:19], 4, v[24:25]
	v_mov_b32_e32 v20, s27
	v_add_co_u32_e32 v30, vcc, s26, v18
	v_addc_co_u32_e32 v31, vcc, v20, v19, vcc
	;;#ASMSTART
	global_load_dwordx4 v[18:21], v[30:31] off glc	
s_waitcnt vmcnt(0)
	;;#ASMEND
	v_and_b32_e32 v21, 0xff, v19
	v_and_b32_e32 v47, 0xff00, v19
	v_or3_b32 v21, 0, v21, v47
	v_or3_b32 v18, v18, 0, 0
	v_and_b32_e32 v47, 0xff000000, v19
	v_and_b32_e32 v19, 0xff0000, v19
	v_or3_b32 v19, v21, v19, v47
	v_or3_b32 v18, v18, 0, 0
	v_cmp_eq_u16_sdwa s[8:9], v20, v25 src0_sel:BYTE_0 src1_sel:DWORD
	s_and_saveexec_b64 s[6:7], s[8:9]
	s_cbranch_execz .LBB3406_37
; %bb.40:                               ;   in Loop: Header=BB3406_38 Depth=1
	s_mov_b64 s[8:9], 0
.LBB3406_41:                            ;   Parent Loop BB3406_38 Depth=1
                                        ; =>  This Inner Loop Header: Depth=2
	;;#ASMSTART
	global_load_dwordx4 v[18:21], v[30:31] off glc	
s_waitcnt vmcnt(0)
	;;#ASMEND
	v_cmp_ne_u16_sdwa s[10:11], v20, v25 src0_sel:BYTE_0 src1_sel:DWORD
	s_or_b64 s[8:9], s[10:11], s[8:9]
	s_andn2_b64 exec, exec, s[8:9]
	s_cbranch_execnz .LBB3406_41
; %bb.42:                               ;   in Loop: Header=BB3406_38 Depth=1
	s_or_b64 exec, exec, s[8:9]
	s_branch .LBB3406_37
.LBB3406_43:                            ;   in Loop: Header=BB3406_38 Depth=1
                                        ; implicit-def: $vgpr18_vgpr19
                                        ; implicit-def: $vgpr20
	s_cbranch_execz .LBB3406_38
; %bb.44:
	s_and_saveexec_b64 s[6:7], s[4:5]
	s_cbranch_execz .LBB3406_46
; %bb.45:
	s_add_i32 s4, s35, 64
	s_mov_b32 s5, 0
	s_lshl_b64 s[4:5], s[4:5], 4
	s_add_u32 s4, s26, s4
	v_cmp_gt_u64_e32 vcc, v[28:29], v[14:15]
	s_addc_u32 s5, s27, s5
	v_cndmask_b32_e32 v15, v15, v29, vcc
	v_cndmask_b32_e32 v14, v14, v28, vcc
	v_mov_b32_e32 v16, 2
	v_mov_b32_e32 v17, 0
	v_pk_mov_b32 v[18:19], s[4:5], s[4:5] op_sel:[0,1]
	;;#ASMSTART
	global_store_dwordx4 v[18:19], v[14:17] off	
s_waitcnt vmcnt(0)
	;;#ASMEND
.LBB3406_46:
	s_or_b64 exec, exec, s[6:7]
	s_and_b64 exec, exec, s[0:1]
	s_cbranch_execz .LBB3406_48
; %bb.47:
	v_mov_b32_e32 v14, 0
	ds_write_b64 v14, v[28:29]
.LBB3406_48:
	s_or_b64 exec, exec, s[28:29]
	v_mov_b32_e32 v14, 0
	s_waitcnt lgkmcnt(0)
	s_barrier
	ds_read_b64 v[14:15], v14
	s_waitcnt lgkmcnt(0)
	v_cmp_gt_u64_e32 vcc, v[14:15], v[22:23]
	v_cndmask_b32_e32 v16, v22, v14, vcc
	v_cndmask_b32_e32 v17, v23, v15, vcc
	v_cndmask_b32_e64 v15, v17, v15, s[0:1]
	v_cndmask_b32_e64 v14, v16, v14, s[0:1]
	v_cmp_gt_u64_e32 vcc, v[14:15], v[10:11]
	v_cndmask_b32_e32 v29, v11, v15, vcc
	v_cndmask_b32_e32 v28, v10, v14, vcc
	v_cmp_gt_u64_e32 vcc, v[28:29], v[12:13]
	v_cndmask_b32_e32 v19, v13, v29, vcc
	v_cndmask_b32_e32 v18, v12, v28, vcc
	;; [unrolled: 3-line block ×6, first 2 shown]
	s_branch .LBB3406_61
.LBB3406_49:
                                        ; implicit-def: $vgpr34_vgpr35
                                        ; implicit-def: $vgpr32_vgpr33
                                        ; implicit-def: $vgpr30_vgpr31
                                        ; implicit-def: $vgpr28_vgpr29
                                        ; implicit-def: $vgpr22_vgpr23_vgpr24_vgpr25
                                        ; implicit-def: $vgpr18_vgpr19_vgpr20_vgpr21
                                        ; implicit-def: $vgpr14_vgpr15_vgpr16_vgpr17
	s_cbranch_execz .LBB3406_61
; %bb.50:
	s_cmp_eq_u64 s[20:21], 0
	v_pk_mov_b32 v[20:21], s[14:15], s[14:15] op_sel:[0,1]
	s_cbranch_scc1 .LBB3406_52
; %bb.51:
	v_mov_b32_e32 v17, s34
	v_add_co_u32_e64 v16, vcc, -8, s33
	v_mov_b32_e32 v14, 0
	v_addc_co_u32_e32 v17, vcc, -1, v17, vcc
	global_load_dwordx2 v[14:15], v14, s[16:17]
	s_nop 0
	flat_load_dwordx2 v[16:17], v[16:17]
	s_waitcnt vmcnt(0) lgkmcnt(0)
	v_cmp_gt_u64_e32 vcc, v[14:15], v[16:17]
	v_cndmask_b32_e32 v21, v17, v15, vcc
	v_cndmask_b32_e32 v20, v16, v14, vcc
.LBB3406_52:
	v_cmp_gt_u64_e32 vcc, v[10:11], v[12:13]
	v_cndmask_b32_e32 v15, v13, v11, vcc
	v_cndmask_b32_e32 v14, v12, v10, vcc
	v_cmp_gt_u64_e32 vcc, v[14:15], v[6:7]
	v_cndmask_b32_e32 v15, v7, v15, vcc
	v_cndmask_b32_e32 v14, v6, v14, vcc
	v_cmp_gt_u64_e32 vcc, v[14:15], v[8:9]
	v_cndmask_b32_e32 v15, v9, v15, vcc
	v_cndmask_b32_e32 v14, v8, v14, vcc
	v_cmp_gt_u64_e32 vcc, v[14:15], v[2:3]
	v_cndmask_b32_e32 v15, v3, v15, vcc
	v_cndmask_b32_e32 v14, v2, v14, vcc
	v_cmp_gt_u64_e32 vcc, v[14:15], v[4:5]
	v_cndmask_b32_e32 v15, v5, v15, vcc
	v_cndmask_b32_e32 v14, v4, v14, vcc
	v_cmp_gt_u64_e32 vcc, v[14:15], v[26:27]
	v_cndmask_b32_e32 v19, v27, v15, vcc
	v_cndmask_b32_e32 v18, v26, v14, vcc
	v_add_lshl_u32 v1, v1, v0, 3
	v_cmp_gt_u32_e32 vcc, 64, v0
	ds_write_b64 v1, v[18:19]
	s_waitcnt lgkmcnt(0)
	s_barrier
	s_and_saveexec_b64 s[6:7], vcc
	s_cbranch_execz .LBB3406_56
; %bb.53:
	v_lshlrev_b32_e32 v1, 1, v0
	v_lshrrev_b32_e32 v14, 4, v0
	v_add_lshl_u32 v1, v14, v1, 3
	ds_read2_b64 v[14:17], v1 offset1:1
	v_mbcnt_lo_u32_b32 v22, -1, 0
	v_mbcnt_hi_u32_b32 v26, -1, v22
	v_and_b32_e32 v27, 15, v26
	v_and_b32_e32 v29, 16, v26
	s_waitcnt lgkmcnt(0)
	v_cmp_gt_u64_e32 vcc, v[14:15], v[16:17]
	v_cndmask_b32_e32 v17, v17, v15, vcc
	v_cndmask_b32_e32 v16, v16, v14, vcc
	v_cmp_ne_u32_e64 s[4:5], 0, v26
	v_mov_b32_dpp v23, v17 row_shr:1 row_mask:0xf bank_mask:0xf
	v_mov_b32_dpp v22, v16 row_shr:1 row_mask:0xf bank_mask:0xf
	v_cmp_gt_u64_e32 vcc, v[22:23], v[16:17]
	v_cndmask_b32_e32 v22, v16, v22, vcc
	v_cndmask_b32_e32 v23, v17, v23, vcc
	v_cmp_eq_u32_e32 vcc, 0, v27
	v_cndmask_b32_e32 v23, v23, v17, vcc
	v_cndmask_b32_e32 v22, v22, v16, vcc
	s_nop 0
	v_mov_b32_dpp v25, v23 row_shr:2 row_mask:0xf bank_mask:0xf
	v_mov_b32_dpp v24, v22 row_shr:2 row_mask:0xf bank_mask:0xf
	v_cmp_gt_u64_e32 vcc, v[24:25], v[22:23]
	v_cndmask_b32_e32 v24, v22, v24, vcc
	v_cndmask_b32_e32 v25, v23, v25, vcc
	v_cmp_lt_u32_e32 vcc, 1, v27
	v_cndmask_b32_e32 v23, v23, v25, vcc
	v_cndmask_b32_e32 v22, v22, v24, vcc
	s_nop 0
	v_mov_b32_dpp v25, v23 row_shr:4 row_mask:0xf bank_mask:0xf
	v_mov_b32_dpp v24, v22 row_shr:4 row_mask:0xf bank_mask:0xf
	v_cmp_gt_u64_e32 vcc, v[24:25], v[22:23]
	v_cndmask_b32_e32 v24, v22, v24, vcc
	v_cndmask_b32_e32 v25, v23, v25, vcc
	v_cmp_lt_u32_e32 vcc, 3, v27
	;; [unrolled: 9-line block ×3, first 2 shown]
	v_cndmask_b32_e32 v23, v23, v25, vcc
	v_cndmask_b32_e32 v22, v22, v24, vcc
	s_nop 0
	v_mov_b32_dpp v25, v23 row_bcast:15 row_mask:0xf bank_mask:0xf
	v_mov_b32_dpp v24, v22 row_bcast:15 row_mask:0xf bank_mask:0xf
	v_cmp_gt_u64_e32 vcc, v[24:25], v[22:23]
	v_cndmask_b32_e32 v27, v23, v25, vcc
	v_cndmask_b32_e32 v28, v22, v24, vcc
	v_cmp_eq_u32_e32 vcc, 0, v29
	v_cndmask_b32_e32 v25, v27, v23, vcc
	v_cndmask_b32_e32 v24, v28, v22, vcc
	s_nop 0
	v_mov_b32_dpp v25, v25 row_bcast:31 row_mask:0xf bank_mask:0xf
	v_mov_b32_dpp v24, v24 row_bcast:31 row_mask:0xf bank_mask:0xf
	s_and_saveexec_b64 s[8:9], s[4:5]
; %bb.54:
	v_cndmask_b32_e32 v17, v27, v23, vcc
	v_cndmask_b32_e32 v16, v28, v22, vcc
	v_cmp_lt_u32_e64 s[4:5], 31, v26
	v_cmp_gt_u64_e32 vcc, v[24:25], v[16:17]
	s_and_b64 vcc, s[4:5], vcc
	v_cndmask_b32_e32 v16, v16, v24, vcc
	v_cndmask_b32_e32 v17, v17, v25, vcc
; %bb.55:
	s_or_b64 exec, exec, s[8:9]
	v_add_u32_e32 v22, -1, v26
	v_and_b32_e32 v23, 64, v26
	v_cmp_lt_i32_e32 vcc, v22, v23
	v_cndmask_b32_e32 v22, v22, v26, vcc
	v_lshlrev_b32_e32 v22, 2, v22
	ds_bpermute_b32 v16, v22, v16
	ds_bpermute_b32 v17, v22, v17
	; wave barrier
	s_waitcnt lgkmcnt(0)
	v_cmp_gt_u64_e32 vcc, v[16:17], v[14:15]
	v_cndmask_b32_e32 v14, v14, v16, vcc
	v_cndmask_b32_e32 v15, v15, v17, vcc
	v_cndmask_b32_e64 v15, v15, v19, s[0:1]
	v_cndmask_b32_e64 v14, v14, v18, s[0:1]
	ds_write_b64 v1, v[14:15]
	; wave barrier
	ds_read_b64 v[16:17], v1 offset:8
	s_waitcnt lgkmcnt(0)
	v_cmp_gt_u64_e32 vcc, v[14:15], v[16:17]
	v_cndmask_b32_e32 v15, v17, v15, vcc
	v_cndmask_b32_e32 v14, v16, v14, vcc
	ds_write_b64 v1, v[14:15] offset:8
.LBB3406_56:
	s_or_b64 exec, exec, s[6:7]
	v_pk_mov_b32 v[14:15], v[20:21], v[20:21] op_sel:[0,1]
	s_waitcnt lgkmcnt(0)
	s_barrier
	s_and_saveexec_b64 s[4:5], s[2:3]
	s_cbranch_execz .LBB3406_58
; %bb.57:
	v_add_u32_e32 v1, -1, v0
	v_lshrrev_b32_e32 v14, 5, v1
	v_add_lshl_u32 v1, v14, v1, 3
	ds_read_b64 v[14:15], v1
	s_waitcnt lgkmcnt(0)
	v_cmp_gt_u64_e32 vcc, v[20:21], v[14:15]
	v_cndmask_b32_e32 v15, v15, v21, vcc
	v_cndmask_b32_e32 v14, v14, v20, vcc
.LBB3406_58:
	s_or_b64 exec, exec, s[4:5]
	v_cmp_gt_u64_e32 vcc, v[14:15], v[10:11]
	v_cndmask_b32_e32 v29, v11, v15, vcc
	v_cndmask_b32_e32 v28, v10, v14, vcc
	v_cmp_gt_u64_e32 vcc, v[28:29], v[12:13]
	v_cndmask_b32_e32 v19, v13, v29, vcc
	v_cndmask_b32_e32 v18, v12, v28, vcc
	;; [unrolled: 3-line block ×6, first 2 shown]
	s_and_saveexec_b64 s[2:3], s[0:1]
	s_cbranch_execz .LBB3406_60
; %bb.59:
	v_mov_b32_e32 v5, 0
	ds_read_b64 v[2:3], v5 offset:1040
	s_add_u32 s0, s26, 0x400
	s_addc_u32 s1, s27, 0
	v_mov_b32_e32 v4, 2
	v_pk_mov_b32 v[6:7], s[0:1], s[0:1] op_sel:[0,1]
	s_waitcnt lgkmcnt(0)
	v_cmp_gt_u64_e32 vcc, v[20:21], v[2:3]
	v_cndmask_b32_e32 v3, v3, v21, vcc
	v_cndmask_b32_e32 v2, v2, v20, vcc
	;;#ASMSTART
	global_store_dwordx4 v[6:7], v[2:5] off	
s_waitcnt vmcnt(0)
	;;#ASMEND
.LBB3406_60:
	s_or_b64 exec, exec, s[2:3]
.LBB3406_61:
	s_mov_b64 s[0:1], -1
	s_and_b64 vcc, exec, s[24:25]
	s_barrier
	ds_write2_b64 v37, v[14:15], v[28:29] offset1:1
	ds_write2_b64 v37, v[18:19], v[30:31] offset0:2 offset1:3
	ds_write2_b64 v37, v[22:23], v[32:33] offset0:4 offset1:5
	ds_write_b64 v37, v[34:35] offset:48
	s_waitcnt lgkmcnt(0)
	s_cbranch_vccz .LBB3406_63
; %bb.62:
	s_barrier
	s_mov_b64 s[0:1], 0
.LBB3406_63:
	s_andn2_b64 vcc, exec, s[0:1]
	s_cbranch_vccnz .LBB3406_88
; %bb.64:
	v_cmp_lt_u64_e64 s[0:1], s[22:23], 2
	s_and_b64 vcc, exec, s[0:1]
	s_barrier
	s_cbranch_vccnz .LBB3406_88
; %bb.65:
	s_add_u32 s0, s30, -1
	s_addc_u32 s1, s31, -1
	s_add_u32 s2, 0, 0x92481000
	s_addc_u32 s3, 0, 0x64
	s_add_i32 s3, s3, 0x249248c0
	s_mul_hi_u32 s7, s2, -7
	s_sub_i32 s7, s7, s2
	s_mul_i32 s8, s3, -7
	s_mul_i32 s4, s2, -7
	s_add_i32 s7, s7, s8
	s_mul_hi_u32 s5, s3, s4
	s_mul_i32 s6, s3, s4
	s_mul_i32 s9, s2, s7
	s_mul_hi_u32 s4, s2, s4
	s_mul_hi_u32 s8, s2, s7
	s_add_u32 s4, s4, s9
	s_addc_u32 s8, 0, s8
	s_add_u32 s4, s4, s6
	s_mul_hi_u32 s9, s3, s7
	s_addc_u32 s4, s8, s5
	s_addc_u32 s5, s9, 0
	s_mul_i32 s6, s3, s7
	s_add_u32 s4, s4, s6
	v_mov_b32_e32 v2, s4
	s_addc_u32 s5, 0, s5
	v_add_co_u32_e32 v2, vcc, s2, v2
	s_cmp_lg_u64 vcc, 0
	s_addc_u32 s2, s3, s5
	v_readfirstlane_b32 s5, v2
	s_mul_i32 s4, s0, s2
	s_mul_hi_u32 s6, s0, s5
	s_mul_hi_u32 s3, s0, s2
	s_add_u32 s4, s6, s4
	s_addc_u32 s3, 0, s3
	s_mul_hi_u32 s7, s1, s5
	s_mul_i32 s5, s1, s5
	s_add_u32 s4, s4, s5
	s_mul_hi_u32 s6, s1, s2
	s_addc_u32 s3, s3, s7
	s_addc_u32 s4, s6, 0
	s_mul_i32 s2, s1, s2
	s_add_u32 s2, s3, s2
	s_addc_u32 s3, 0, s4
	s_add_u32 s4, s2, 1
	s_addc_u32 s5, s3, 0
	s_add_u32 s6, s2, 2
	s_mul_i32 s8, s3, 7
	s_mul_hi_u32 s9, s2, 7
	s_addc_u32 s7, s3, 0
	s_add_i32 s9, s9, s8
	s_mul_i32 s8, s2, 7
	v_mov_b32_e32 v2, s8
	v_sub_co_u32_e32 v2, vcc, s0, v2
	s_cmp_lg_u64 vcc, 0
	s_subb_u32 s8, s1, s9
	v_subrev_co_u32_e32 v3, vcc, 7, v2
	s_cmp_lg_u64 vcc, 0
	s_subb_u32 s9, s8, 0
	v_readfirstlane_b32 s10, v3
	s_cmp_gt_u32 s10, 6
	s_cselect_b32 s10, -1, 0
	s_cmp_eq_u32 s9, 0
	s_cselect_b32 s9, s10, -1
	s_cmp_lg_u32 s9, 0
	s_cselect_b32 s4, s6, s4
	v_readfirstlane_b32 s6, v2
	s_cselect_b32 s5, s7, s5
	s_cmp_gt_u32 s6, 6
	s_cselect_b32 s6, -1, 0
	s_cmp_eq_u32 s8, 0
	s_cselect_b32 s6, s6, -1
	s_cmp_lg_u32 s6, 0
	v_mov_b32_e32 v1, 0
	s_cselect_b32 s3, s5, s3
	s_cselect_b32 s2, s4, s2
	v_cmp_eq_u64_e32 vcc, s[2:3], v[0:1]
	s_and_saveexec_b64 s[2:3], vcc
	s_cbranch_execz .LBB3406_88
; %bb.66:
	s_movk_i32 s2, 0xffd0
	v_mad_i32_i24 v2, v0, s2, v37
	v_mul_hi_u32_u24_e32 v1, 7, v0
	v_mov_b32_e32 v3, s1
	v_sub_co_u32_e32 v0, vcc, s0, v36
	v_subb_co_u32_e32 v1, vcc, v3, v1, vcc
	v_cmp_lt_i64_e32 vcc, 3, v[0:1]
	s_and_saveexec_b64 s[0:1], vcc
	s_xor_b64 s[0:1], exec, s[0:1]
	s_cbranch_execz .LBB3406_76
; %bb.67:
	v_cmp_lt_i64_e32 vcc, 4, v[0:1]
	s_and_saveexec_b64 s[2:3], vcc
	s_xor_b64 s[2:3], exec, s[2:3]
	s_cbranch_execz .LBB3406_73
; %bb.68:
	;; [unrolled: 5-line block ×3, first 2 shown]
	ds_read_b64 v[0:1], v2 offset:6144
	v_mov_b32_e32 v2, 0
	s_waitcnt lgkmcnt(0)
	global_store_dwordx2 v2, v[0:1], s[18:19]
                                        ; implicit-def: $vgpr2
.LBB3406_70:
	s_andn2_saveexec_b64 s[4:5], s[4:5]
	s_cbranch_execz .LBB3406_72
; %bb.71:
	ds_read_b64 v[0:1], v2 offset:5120
	v_mov_b32_e32 v2, 0
	s_waitcnt lgkmcnt(0)
	global_store_dwordx2 v2, v[0:1], s[18:19]
.LBB3406_72:
	s_or_b64 exec, exec, s[4:5]
                                        ; implicit-def: $vgpr2
.LBB3406_73:
	s_andn2_saveexec_b64 s[2:3], s[2:3]
	s_cbranch_execz .LBB3406_75
; %bb.74:
	ds_read_b64 v[0:1], v2 offset:4096
	v_mov_b32_e32 v2, 0
	s_waitcnt lgkmcnt(0)
	global_store_dwordx2 v2, v[0:1], s[18:19]
.LBB3406_75:
	s_or_b64 exec, exec, s[2:3]
                                        ; implicit-def: $vgpr0_vgpr1
                                        ; implicit-def: $vgpr2
.LBB3406_76:
	s_andn2_saveexec_b64 s[0:1], s[0:1]
	s_cbranch_execz .LBB3406_88
; %bb.77:
	v_cmp_lt_i64_e32 vcc, 1, v[0:1]
	s_and_saveexec_b64 s[0:1], vcc
	s_xor_b64 s[0:1], exec, s[0:1]
	s_cbranch_execz .LBB3406_83
; %bb.78:
	v_cmp_lt_i64_e32 vcc, 2, v[0:1]
	s_and_saveexec_b64 s[2:3], vcc
	s_xor_b64 s[2:3], exec, s[2:3]
	s_cbranch_execz .LBB3406_80
; %bb.79:
	ds_read_b64 v[0:1], v2 offset:3072
	v_mov_b32_e32 v2, 0
	s_waitcnt lgkmcnt(0)
	global_store_dwordx2 v2, v[0:1], s[18:19]
                                        ; implicit-def: $vgpr2
.LBB3406_80:
	s_andn2_saveexec_b64 s[2:3], s[2:3]
	s_cbranch_execz .LBB3406_82
; %bb.81:
	ds_read_b64 v[0:1], v2 offset:2048
	v_mov_b32_e32 v2, 0
	s_waitcnt lgkmcnt(0)
	global_store_dwordx2 v2, v[0:1], s[18:19]
.LBB3406_82:
	s_or_b64 exec, exec, s[2:3]
                                        ; implicit-def: $vgpr2
                                        ; implicit-def: $vgpr0_vgpr1
.LBB3406_83:
	s_andn2_saveexec_b64 s[0:1], s[0:1]
	s_cbranch_execz .LBB3406_88
; %bb.84:
	v_cmp_ne_u64_e32 vcc, 1, v[0:1]
	s_and_saveexec_b64 s[0:1], vcc
	s_xor_b64 s[0:1], exec, s[0:1]
	s_cbranch_execz .LBB3406_86
; %bb.85:
	ds_read_b64 v[0:1], v2
	v_mov_b32_e32 v2, 0
	s_waitcnt lgkmcnt(0)
	global_store_dwordx2 v2, v[0:1], s[18:19]
                                        ; implicit-def: $vgpr2
.LBB3406_86:
	s_andn2_saveexec_b64 s[0:1], s[0:1]
	s_cbranch_execz .LBB3406_88
; %bb.87:
	ds_read_b64 v[0:1], v2 offset:1024
	v_mov_b32_e32 v2, 0
	s_waitcnt lgkmcnt(0)
	global_store_dwordx2 v2, v[0:1], s[18:19]
.LBB3406_88:
	s_endpgm
	.section	.rodata,"a",@progbits
	.p2align	6, 0x0
	.amdhsa_kernel _ZN7rocprim17ROCPRIM_400000_NS6detail17trampoline_kernelINS0_14default_configENS1_20scan_config_selectorIyEEZZNS1_9scan_implILNS1_25lookback_scan_determinismE0ELb1ELb1ES3_N6thrust23THRUST_200600_302600_NS6detail15normal_iteratorINS9_10device_ptrIyEEEENS9_16discard_iteratorINS9_11use_defaultEEEy11max_functorIyEyEEDaPvRmT3_T4_T5_mT6_P12ihipStream_tbENKUlT_T0_E_clISt17integral_constantIbLb0EESW_IbLb1EEEEDaSS_ST_EUlSS_E_NS1_11comp_targetILNS1_3genE4ELNS1_11target_archE910ELNS1_3gpuE8ELNS1_3repE0EEENS1_30default_config_static_selectorELNS0_4arch9wavefront6targetE1EEEvT1_
		.amdhsa_group_segment_fixed_size 7168
		.amdhsa_private_segment_fixed_size 0
		.amdhsa_kernarg_size 112
		.amdhsa_user_sgpr_count 6
		.amdhsa_user_sgpr_private_segment_buffer 1
		.amdhsa_user_sgpr_dispatch_ptr 0
		.amdhsa_user_sgpr_queue_ptr 0
		.amdhsa_user_sgpr_kernarg_segment_ptr 1
		.amdhsa_user_sgpr_dispatch_id 0
		.amdhsa_user_sgpr_flat_scratch_init 0
		.amdhsa_user_sgpr_kernarg_preload_length 0
		.amdhsa_user_sgpr_kernarg_preload_offset 0
		.amdhsa_user_sgpr_private_segment_size 0
		.amdhsa_uses_dynamic_stack 0
		.amdhsa_system_sgpr_private_segment_wavefront_offset 0
		.amdhsa_system_sgpr_workgroup_id_x 1
		.amdhsa_system_sgpr_workgroup_id_y 0
		.amdhsa_system_sgpr_workgroup_id_z 0
		.amdhsa_system_sgpr_workgroup_info 0
		.amdhsa_system_vgpr_workitem_id 0
		.amdhsa_next_free_vgpr 57
		.amdhsa_next_free_sgpr 36
		.amdhsa_accum_offset 60
		.amdhsa_reserve_vcc 1
		.amdhsa_reserve_flat_scratch 0
		.amdhsa_float_round_mode_32 0
		.amdhsa_float_round_mode_16_64 0
		.amdhsa_float_denorm_mode_32 3
		.amdhsa_float_denorm_mode_16_64 3
		.amdhsa_dx10_clamp 1
		.amdhsa_ieee_mode 1
		.amdhsa_fp16_overflow 0
		.amdhsa_tg_split 0
		.amdhsa_exception_fp_ieee_invalid_op 0
		.amdhsa_exception_fp_denorm_src 0
		.amdhsa_exception_fp_ieee_div_zero 0
		.amdhsa_exception_fp_ieee_overflow 0
		.amdhsa_exception_fp_ieee_underflow 0
		.amdhsa_exception_fp_ieee_inexact 0
		.amdhsa_exception_int_div_zero 0
	.end_amdhsa_kernel
	.section	.text._ZN7rocprim17ROCPRIM_400000_NS6detail17trampoline_kernelINS0_14default_configENS1_20scan_config_selectorIyEEZZNS1_9scan_implILNS1_25lookback_scan_determinismE0ELb1ELb1ES3_N6thrust23THRUST_200600_302600_NS6detail15normal_iteratorINS9_10device_ptrIyEEEENS9_16discard_iteratorINS9_11use_defaultEEEy11max_functorIyEyEEDaPvRmT3_T4_T5_mT6_P12ihipStream_tbENKUlT_T0_E_clISt17integral_constantIbLb0EESW_IbLb1EEEEDaSS_ST_EUlSS_E_NS1_11comp_targetILNS1_3genE4ELNS1_11target_archE910ELNS1_3gpuE8ELNS1_3repE0EEENS1_30default_config_static_selectorELNS0_4arch9wavefront6targetE1EEEvT1_,"axG",@progbits,_ZN7rocprim17ROCPRIM_400000_NS6detail17trampoline_kernelINS0_14default_configENS1_20scan_config_selectorIyEEZZNS1_9scan_implILNS1_25lookback_scan_determinismE0ELb1ELb1ES3_N6thrust23THRUST_200600_302600_NS6detail15normal_iteratorINS9_10device_ptrIyEEEENS9_16discard_iteratorINS9_11use_defaultEEEy11max_functorIyEyEEDaPvRmT3_T4_T5_mT6_P12ihipStream_tbENKUlT_T0_E_clISt17integral_constantIbLb0EESW_IbLb1EEEEDaSS_ST_EUlSS_E_NS1_11comp_targetILNS1_3genE4ELNS1_11target_archE910ELNS1_3gpuE8ELNS1_3repE0EEENS1_30default_config_static_selectorELNS0_4arch9wavefront6targetE1EEEvT1_,comdat
.Lfunc_end3406:
	.size	_ZN7rocprim17ROCPRIM_400000_NS6detail17trampoline_kernelINS0_14default_configENS1_20scan_config_selectorIyEEZZNS1_9scan_implILNS1_25lookback_scan_determinismE0ELb1ELb1ES3_N6thrust23THRUST_200600_302600_NS6detail15normal_iteratorINS9_10device_ptrIyEEEENS9_16discard_iteratorINS9_11use_defaultEEEy11max_functorIyEyEEDaPvRmT3_T4_T5_mT6_P12ihipStream_tbENKUlT_T0_E_clISt17integral_constantIbLb0EESW_IbLb1EEEEDaSS_ST_EUlSS_E_NS1_11comp_targetILNS1_3genE4ELNS1_11target_archE910ELNS1_3gpuE8ELNS1_3repE0EEENS1_30default_config_static_selectorELNS0_4arch9wavefront6targetE1EEEvT1_, .Lfunc_end3406-_ZN7rocprim17ROCPRIM_400000_NS6detail17trampoline_kernelINS0_14default_configENS1_20scan_config_selectorIyEEZZNS1_9scan_implILNS1_25lookback_scan_determinismE0ELb1ELb1ES3_N6thrust23THRUST_200600_302600_NS6detail15normal_iteratorINS9_10device_ptrIyEEEENS9_16discard_iteratorINS9_11use_defaultEEEy11max_functorIyEyEEDaPvRmT3_T4_T5_mT6_P12ihipStream_tbENKUlT_T0_E_clISt17integral_constantIbLb0EESW_IbLb1EEEEDaSS_ST_EUlSS_E_NS1_11comp_targetILNS1_3genE4ELNS1_11target_archE910ELNS1_3gpuE8ELNS1_3repE0EEENS1_30default_config_static_selectorELNS0_4arch9wavefront6targetE1EEEvT1_
                                        ; -- End function
	.section	.AMDGPU.csdata,"",@progbits
; Kernel info:
; codeLenInByte = 5380
; NumSgprs: 40
; NumVgprs: 57
; NumAgprs: 0
; TotalNumVgprs: 57
; ScratchSize: 0
; MemoryBound: 0
; FloatMode: 240
; IeeeMode: 1
; LDSByteSize: 7168 bytes/workgroup (compile time only)
; SGPRBlocks: 4
; VGPRBlocks: 7
; NumSGPRsForWavesPerEU: 40
; NumVGPRsForWavesPerEU: 57
; AccumOffset: 60
; Occupancy: 5
; WaveLimiterHint : 1
; COMPUTE_PGM_RSRC2:SCRATCH_EN: 0
; COMPUTE_PGM_RSRC2:USER_SGPR: 6
; COMPUTE_PGM_RSRC2:TRAP_HANDLER: 0
; COMPUTE_PGM_RSRC2:TGID_X_EN: 1
; COMPUTE_PGM_RSRC2:TGID_Y_EN: 0
; COMPUTE_PGM_RSRC2:TGID_Z_EN: 0
; COMPUTE_PGM_RSRC2:TIDIG_COMP_CNT: 0
; COMPUTE_PGM_RSRC3_GFX90A:ACCUM_OFFSET: 14
; COMPUTE_PGM_RSRC3_GFX90A:TG_SPLIT: 0
	.section	.text._ZN7rocprim17ROCPRIM_400000_NS6detail17trampoline_kernelINS0_14default_configENS1_20scan_config_selectorIyEEZZNS1_9scan_implILNS1_25lookback_scan_determinismE0ELb1ELb1ES3_N6thrust23THRUST_200600_302600_NS6detail15normal_iteratorINS9_10device_ptrIyEEEENS9_16discard_iteratorINS9_11use_defaultEEEy11max_functorIyEyEEDaPvRmT3_T4_T5_mT6_P12ihipStream_tbENKUlT_T0_E_clISt17integral_constantIbLb0EESW_IbLb1EEEEDaSS_ST_EUlSS_E_NS1_11comp_targetILNS1_3genE3ELNS1_11target_archE908ELNS1_3gpuE7ELNS1_3repE0EEENS1_30default_config_static_selectorELNS0_4arch9wavefront6targetE1EEEvT1_,"axG",@progbits,_ZN7rocprim17ROCPRIM_400000_NS6detail17trampoline_kernelINS0_14default_configENS1_20scan_config_selectorIyEEZZNS1_9scan_implILNS1_25lookback_scan_determinismE0ELb1ELb1ES3_N6thrust23THRUST_200600_302600_NS6detail15normal_iteratorINS9_10device_ptrIyEEEENS9_16discard_iteratorINS9_11use_defaultEEEy11max_functorIyEyEEDaPvRmT3_T4_T5_mT6_P12ihipStream_tbENKUlT_T0_E_clISt17integral_constantIbLb0EESW_IbLb1EEEEDaSS_ST_EUlSS_E_NS1_11comp_targetILNS1_3genE3ELNS1_11target_archE908ELNS1_3gpuE7ELNS1_3repE0EEENS1_30default_config_static_selectorELNS0_4arch9wavefront6targetE1EEEvT1_,comdat
	.protected	_ZN7rocprim17ROCPRIM_400000_NS6detail17trampoline_kernelINS0_14default_configENS1_20scan_config_selectorIyEEZZNS1_9scan_implILNS1_25lookback_scan_determinismE0ELb1ELb1ES3_N6thrust23THRUST_200600_302600_NS6detail15normal_iteratorINS9_10device_ptrIyEEEENS9_16discard_iteratorINS9_11use_defaultEEEy11max_functorIyEyEEDaPvRmT3_T4_T5_mT6_P12ihipStream_tbENKUlT_T0_E_clISt17integral_constantIbLb0EESW_IbLb1EEEEDaSS_ST_EUlSS_E_NS1_11comp_targetILNS1_3genE3ELNS1_11target_archE908ELNS1_3gpuE7ELNS1_3repE0EEENS1_30default_config_static_selectorELNS0_4arch9wavefront6targetE1EEEvT1_ ; -- Begin function _ZN7rocprim17ROCPRIM_400000_NS6detail17trampoline_kernelINS0_14default_configENS1_20scan_config_selectorIyEEZZNS1_9scan_implILNS1_25lookback_scan_determinismE0ELb1ELb1ES3_N6thrust23THRUST_200600_302600_NS6detail15normal_iteratorINS9_10device_ptrIyEEEENS9_16discard_iteratorINS9_11use_defaultEEEy11max_functorIyEyEEDaPvRmT3_T4_T5_mT6_P12ihipStream_tbENKUlT_T0_E_clISt17integral_constantIbLb0EESW_IbLb1EEEEDaSS_ST_EUlSS_E_NS1_11comp_targetILNS1_3genE3ELNS1_11target_archE908ELNS1_3gpuE7ELNS1_3repE0EEENS1_30default_config_static_selectorELNS0_4arch9wavefront6targetE1EEEvT1_
	.globl	_ZN7rocprim17ROCPRIM_400000_NS6detail17trampoline_kernelINS0_14default_configENS1_20scan_config_selectorIyEEZZNS1_9scan_implILNS1_25lookback_scan_determinismE0ELb1ELb1ES3_N6thrust23THRUST_200600_302600_NS6detail15normal_iteratorINS9_10device_ptrIyEEEENS9_16discard_iteratorINS9_11use_defaultEEEy11max_functorIyEyEEDaPvRmT3_T4_T5_mT6_P12ihipStream_tbENKUlT_T0_E_clISt17integral_constantIbLb0EESW_IbLb1EEEEDaSS_ST_EUlSS_E_NS1_11comp_targetILNS1_3genE3ELNS1_11target_archE908ELNS1_3gpuE7ELNS1_3repE0EEENS1_30default_config_static_selectorELNS0_4arch9wavefront6targetE1EEEvT1_
	.p2align	8
	.type	_ZN7rocprim17ROCPRIM_400000_NS6detail17trampoline_kernelINS0_14default_configENS1_20scan_config_selectorIyEEZZNS1_9scan_implILNS1_25lookback_scan_determinismE0ELb1ELb1ES3_N6thrust23THRUST_200600_302600_NS6detail15normal_iteratorINS9_10device_ptrIyEEEENS9_16discard_iteratorINS9_11use_defaultEEEy11max_functorIyEyEEDaPvRmT3_T4_T5_mT6_P12ihipStream_tbENKUlT_T0_E_clISt17integral_constantIbLb0EESW_IbLb1EEEEDaSS_ST_EUlSS_E_NS1_11comp_targetILNS1_3genE3ELNS1_11target_archE908ELNS1_3gpuE7ELNS1_3repE0EEENS1_30default_config_static_selectorELNS0_4arch9wavefront6targetE1EEEvT1_,@function
_ZN7rocprim17ROCPRIM_400000_NS6detail17trampoline_kernelINS0_14default_configENS1_20scan_config_selectorIyEEZZNS1_9scan_implILNS1_25lookback_scan_determinismE0ELb1ELb1ES3_N6thrust23THRUST_200600_302600_NS6detail15normal_iteratorINS9_10device_ptrIyEEEENS9_16discard_iteratorINS9_11use_defaultEEEy11max_functorIyEyEEDaPvRmT3_T4_T5_mT6_P12ihipStream_tbENKUlT_T0_E_clISt17integral_constantIbLb0EESW_IbLb1EEEEDaSS_ST_EUlSS_E_NS1_11comp_targetILNS1_3genE3ELNS1_11target_archE908ELNS1_3gpuE7ELNS1_3repE0EEENS1_30default_config_static_selectorELNS0_4arch9wavefront6targetE1EEEvT1_: ; @_ZN7rocprim17ROCPRIM_400000_NS6detail17trampoline_kernelINS0_14default_configENS1_20scan_config_selectorIyEEZZNS1_9scan_implILNS1_25lookback_scan_determinismE0ELb1ELb1ES3_N6thrust23THRUST_200600_302600_NS6detail15normal_iteratorINS9_10device_ptrIyEEEENS9_16discard_iteratorINS9_11use_defaultEEEy11max_functorIyEyEEDaPvRmT3_T4_T5_mT6_P12ihipStream_tbENKUlT_T0_E_clISt17integral_constantIbLb0EESW_IbLb1EEEEDaSS_ST_EUlSS_E_NS1_11comp_targetILNS1_3genE3ELNS1_11target_archE908ELNS1_3gpuE7ELNS1_3repE0EEENS1_30default_config_static_selectorELNS0_4arch9wavefront6targetE1EEEvT1_
; %bb.0:
	.section	.rodata,"a",@progbits
	.p2align	6, 0x0
	.amdhsa_kernel _ZN7rocprim17ROCPRIM_400000_NS6detail17trampoline_kernelINS0_14default_configENS1_20scan_config_selectorIyEEZZNS1_9scan_implILNS1_25lookback_scan_determinismE0ELb1ELb1ES3_N6thrust23THRUST_200600_302600_NS6detail15normal_iteratorINS9_10device_ptrIyEEEENS9_16discard_iteratorINS9_11use_defaultEEEy11max_functorIyEyEEDaPvRmT3_T4_T5_mT6_P12ihipStream_tbENKUlT_T0_E_clISt17integral_constantIbLb0EESW_IbLb1EEEEDaSS_ST_EUlSS_E_NS1_11comp_targetILNS1_3genE3ELNS1_11target_archE908ELNS1_3gpuE7ELNS1_3repE0EEENS1_30default_config_static_selectorELNS0_4arch9wavefront6targetE1EEEvT1_
		.amdhsa_group_segment_fixed_size 0
		.amdhsa_private_segment_fixed_size 0
		.amdhsa_kernarg_size 112
		.amdhsa_user_sgpr_count 6
		.amdhsa_user_sgpr_private_segment_buffer 1
		.amdhsa_user_sgpr_dispatch_ptr 0
		.amdhsa_user_sgpr_queue_ptr 0
		.amdhsa_user_sgpr_kernarg_segment_ptr 1
		.amdhsa_user_sgpr_dispatch_id 0
		.amdhsa_user_sgpr_flat_scratch_init 0
		.amdhsa_user_sgpr_kernarg_preload_length 0
		.amdhsa_user_sgpr_kernarg_preload_offset 0
		.amdhsa_user_sgpr_private_segment_size 0
		.amdhsa_uses_dynamic_stack 0
		.amdhsa_system_sgpr_private_segment_wavefront_offset 0
		.amdhsa_system_sgpr_workgroup_id_x 1
		.amdhsa_system_sgpr_workgroup_id_y 0
		.amdhsa_system_sgpr_workgroup_id_z 0
		.amdhsa_system_sgpr_workgroup_info 0
		.amdhsa_system_vgpr_workitem_id 0
		.amdhsa_next_free_vgpr 1
		.amdhsa_next_free_sgpr 0
		.amdhsa_accum_offset 4
		.amdhsa_reserve_vcc 0
		.amdhsa_reserve_flat_scratch 0
		.amdhsa_float_round_mode_32 0
		.amdhsa_float_round_mode_16_64 0
		.amdhsa_float_denorm_mode_32 3
		.amdhsa_float_denorm_mode_16_64 3
		.amdhsa_dx10_clamp 1
		.amdhsa_ieee_mode 1
		.amdhsa_fp16_overflow 0
		.amdhsa_tg_split 0
		.amdhsa_exception_fp_ieee_invalid_op 0
		.amdhsa_exception_fp_denorm_src 0
		.amdhsa_exception_fp_ieee_div_zero 0
		.amdhsa_exception_fp_ieee_overflow 0
		.amdhsa_exception_fp_ieee_underflow 0
		.amdhsa_exception_fp_ieee_inexact 0
		.amdhsa_exception_int_div_zero 0
	.end_amdhsa_kernel
	.section	.text._ZN7rocprim17ROCPRIM_400000_NS6detail17trampoline_kernelINS0_14default_configENS1_20scan_config_selectorIyEEZZNS1_9scan_implILNS1_25lookback_scan_determinismE0ELb1ELb1ES3_N6thrust23THRUST_200600_302600_NS6detail15normal_iteratorINS9_10device_ptrIyEEEENS9_16discard_iteratorINS9_11use_defaultEEEy11max_functorIyEyEEDaPvRmT3_T4_T5_mT6_P12ihipStream_tbENKUlT_T0_E_clISt17integral_constantIbLb0EESW_IbLb1EEEEDaSS_ST_EUlSS_E_NS1_11comp_targetILNS1_3genE3ELNS1_11target_archE908ELNS1_3gpuE7ELNS1_3repE0EEENS1_30default_config_static_selectorELNS0_4arch9wavefront6targetE1EEEvT1_,"axG",@progbits,_ZN7rocprim17ROCPRIM_400000_NS6detail17trampoline_kernelINS0_14default_configENS1_20scan_config_selectorIyEEZZNS1_9scan_implILNS1_25lookback_scan_determinismE0ELb1ELb1ES3_N6thrust23THRUST_200600_302600_NS6detail15normal_iteratorINS9_10device_ptrIyEEEENS9_16discard_iteratorINS9_11use_defaultEEEy11max_functorIyEyEEDaPvRmT3_T4_T5_mT6_P12ihipStream_tbENKUlT_T0_E_clISt17integral_constantIbLb0EESW_IbLb1EEEEDaSS_ST_EUlSS_E_NS1_11comp_targetILNS1_3genE3ELNS1_11target_archE908ELNS1_3gpuE7ELNS1_3repE0EEENS1_30default_config_static_selectorELNS0_4arch9wavefront6targetE1EEEvT1_,comdat
.Lfunc_end3407:
	.size	_ZN7rocprim17ROCPRIM_400000_NS6detail17trampoline_kernelINS0_14default_configENS1_20scan_config_selectorIyEEZZNS1_9scan_implILNS1_25lookback_scan_determinismE0ELb1ELb1ES3_N6thrust23THRUST_200600_302600_NS6detail15normal_iteratorINS9_10device_ptrIyEEEENS9_16discard_iteratorINS9_11use_defaultEEEy11max_functorIyEyEEDaPvRmT3_T4_T5_mT6_P12ihipStream_tbENKUlT_T0_E_clISt17integral_constantIbLb0EESW_IbLb1EEEEDaSS_ST_EUlSS_E_NS1_11comp_targetILNS1_3genE3ELNS1_11target_archE908ELNS1_3gpuE7ELNS1_3repE0EEENS1_30default_config_static_selectorELNS0_4arch9wavefront6targetE1EEEvT1_, .Lfunc_end3407-_ZN7rocprim17ROCPRIM_400000_NS6detail17trampoline_kernelINS0_14default_configENS1_20scan_config_selectorIyEEZZNS1_9scan_implILNS1_25lookback_scan_determinismE0ELb1ELb1ES3_N6thrust23THRUST_200600_302600_NS6detail15normal_iteratorINS9_10device_ptrIyEEEENS9_16discard_iteratorINS9_11use_defaultEEEy11max_functorIyEyEEDaPvRmT3_T4_T5_mT6_P12ihipStream_tbENKUlT_T0_E_clISt17integral_constantIbLb0EESW_IbLb1EEEEDaSS_ST_EUlSS_E_NS1_11comp_targetILNS1_3genE3ELNS1_11target_archE908ELNS1_3gpuE7ELNS1_3repE0EEENS1_30default_config_static_selectorELNS0_4arch9wavefront6targetE1EEEvT1_
                                        ; -- End function
	.section	.AMDGPU.csdata,"",@progbits
; Kernel info:
; codeLenInByte = 0
; NumSgprs: 4
; NumVgprs: 0
; NumAgprs: 0
; TotalNumVgprs: 0
; ScratchSize: 0
; MemoryBound: 0
; FloatMode: 240
; IeeeMode: 1
; LDSByteSize: 0 bytes/workgroup (compile time only)
; SGPRBlocks: 0
; VGPRBlocks: 0
; NumSGPRsForWavesPerEU: 4
; NumVGPRsForWavesPerEU: 1
; AccumOffset: 4
; Occupancy: 8
; WaveLimiterHint : 0
; COMPUTE_PGM_RSRC2:SCRATCH_EN: 0
; COMPUTE_PGM_RSRC2:USER_SGPR: 6
; COMPUTE_PGM_RSRC2:TRAP_HANDLER: 0
; COMPUTE_PGM_RSRC2:TGID_X_EN: 1
; COMPUTE_PGM_RSRC2:TGID_Y_EN: 0
; COMPUTE_PGM_RSRC2:TGID_Z_EN: 0
; COMPUTE_PGM_RSRC2:TIDIG_COMP_CNT: 0
; COMPUTE_PGM_RSRC3_GFX90A:ACCUM_OFFSET: 0
; COMPUTE_PGM_RSRC3_GFX90A:TG_SPLIT: 0
	.section	.text._ZN7rocprim17ROCPRIM_400000_NS6detail17trampoline_kernelINS0_14default_configENS1_20scan_config_selectorIyEEZZNS1_9scan_implILNS1_25lookback_scan_determinismE0ELb1ELb1ES3_N6thrust23THRUST_200600_302600_NS6detail15normal_iteratorINS9_10device_ptrIyEEEENS9_16discard_iteratorINS9_11use_defaultEEEy11max_functorIyEyEEDaPvRmT3_T4_T5_mT6_P12ihipStream_tbENKUlT_T0_E_clISt17integral_constantIbLb0EESW_IbLb1EEEEDaSS_ST_EUlSS_E_NS1_11comp_targetILNS1_3genE2ELNS1_11target_archE906ELNS1_3gpuE6ELNS1_3repE0EEENS1_30default_config_static_selectorELNS0_4arch9wavefront6targetE1EEEvT1_,"axG",@progbits,_ZN7rocprim17ROCPRIM_400000_NS6detail17trampoline_kernelINS0_14default_configENS1_20scan_config_selectorIyEEZZNS1_9scan_implILNS1_25lookback_scan_determinismE0ELb1ELb1ES3_N6thrust23THRUST_200600_302600_NS6detail15normal_iteratorINS9_10device_ptrIyEEEENS9_16discard_iteratorINS9_11use_defaultEEEy11max_functorIyEyEEDaPvRmT3_T4_T5_mT6_P12ihipStream_tbENKUlT_T0_E_clISt17integral_constantIbLb0EESW_IbLb1EEEEDaSS_ST_EUlSS_E_NS1_11comp_targetILNS1_3genE2ELNS1_11target_archE906ELNS1_3gpuE6ELNS1_3repE0EEENS1_30default_config_static_selectorELNS0_4arch9wavefront6targetE1EEEvT1_,comdat
	.protected	_ZN7rocprim17ROCPRIM_400000_NS6detail17trampoline_kernelINS0_14default_configENS1_20scan_config_selectorIyEEZZNS1_9scan_implILNS1_25lookback_scan_determinismE0ELb1ELb1ES3_N6thrust23THRUST_200600_302600_NS6detail15normal_iteratorINS9_10device_ptrIyEEEENS9_16discard_iteratorINS9_11use_defaultEEEy11max_functorIyEyEEDaPvRmT3_T4_T5_mT6_P12ihipStream_tbENKUlT_T0_E_clISt17integral_constantIbLb0EESW_IbLb1EEEEDaSS_ST_EUlSS_E_NS1_11comp_targetILNS1_3genE2ELNS1_11target_archE906ELNS1_3gpuE6ELNS1_3repE0EEENS1_30default_config_static_selectorELNS0_4arch9wavefront6targetE1EEEvT1_ ; -- Begin function _ZN7rocprim17ROCPRIM_400000_NS6detail17trampoline_kernelINS0_14default_configENS1_20scan_config_selectorIyEEZZNS1_9scan_implILNS1_25lookback_scan_determinismE0ELb1ELb1ES3_N6thrust23THRUST_200600_302600_NS6detail15normal_iteratorINS9_10device_ptrIyEEEENS9_16discard_iteratorINS9_11use_defaultEEEy11max_functorIyEyEEDaPvRmT3_T4_T5_mT6_P12ihipStream_tbENKUlT_T0_E_clISt17integral_constantIbLb0EESW_IbLb1EEEEDaSS_ST_EUlSS_E_NS1_11comp_targetILNS1_3genE2ELNS1_11target_archE906ELNS1_3gpuE6ELNS1_3repE0EEENS1_30default_config_static_selectorELNS0_4arch9wavefront6targetE1EEEvT1_
	.globl	_ZN7rocprim17ROCPRIM_400000_NS6detail17trampoline_kernelINS0_14default_configENS1_20scan_config_selectorIyEEZZNS1_9scan_implILNS1_25lookback_scan_determinismE0ELb1ELb1ES3_N6thrust23THRUST_200600_302600_NS6detail15normal_iteratorINS9_10device_ptrIyEEEENS9_16discard_iteratorINS9_11use_defaultEEEy11max_functorIyEyEEDaPvRmT3_T4_T5_mT6_P12ihipStream_tbENKUlT_T0_E_clISt17integral_constantIbLb0EESW_IbLb1EEEEDaSS_ST_EUlSS_E_NS1_11comp_targetILNS1_3genE2ELNS1_11target_archE906ELNS1_3gpuE6ELNS1_3repE0EEENS1_30default_config_static_selectorELNS0_4arch9wavefront6targetE1EEEvT1_
	.p2align	8
	.type	_ZN7rocprim17ROCPRIM_400000_NS6detail17trampoline_kernelINS0_14default_configENS1_20scan_config_selectorIyEEZZNS1_9scan_implILNS1_25lookback_scan_determinismE0ELb1ELb1ES3_N6thrust23THRUST_200600_302600_NS6detail15normal_iteratorINS9_10device_ptrIyEEEENS9_16discard_iteratorINS9_11use_defaultEEEy11max_functorIyEyEEDaPvRmT3_T4_T5_mT6_P12ihipStream_tbENKUlT_T0_E_clISt17integral_constantIbLb0EESW_IbLb1EEEEDaSS_ST_EUlSS_E_NS1_11comp_targetILNS1_3genE2ELNS1_11target_archE906ELNS1_3gpuE6ELNS1_3repE0EEENS1_30default_config_static_selectorELNS0_4arch9wavefront6targetE1EEEvT1_,@function
_ZN7rocprim17ROCPRIM_400000_NS6detail17trampoline_kernelINS0_14default_configENS1_20scan_config_selectorIyEEZZNS1_9scan_implILNS1_25lookback_scan_determinismE0ELb1ELb1ES3_N6thrust23THRUST_200600_302600_NS6detail15normal_iteratorINS9_10device_ptrIyEEEENS9_16discard_iteratorINS9_11use_defaultEEEy11max_functorIyEyEEDaPvRmT3_T4_T5_mT6_P12ihipStream_tbENKUlT_T0_E_clISt17integral_constantIbLb0EESW_IbLb1EEEEDaSS_ST_EUlSS_E_NS1_11comp_targetILNS1_3genE2ELNS1_11target_archE906ELNS1_3gpuE6ELNS1_3repE0EEENS1_30default_config_static_selectorELNS0_4arch9wavefront6targetE1EEEvT1_: ; @_ZN7rocprim17ROCPRIM_400000_NS6detail17trampoline_kernelINS0_14default_configENS1_20scan_config_selectorIyEEZZNS1_9scan_implILNS1_25lookback_scan_determinismE0ELb1ELb1ES3_N6thrust23THRUST_200600_302600_NS6detail15normal_iteratorINS9_10device_ptrIyEEEENS9_16discard_iteratorINS9_11use_defaultEEEy11max_functorIyEyEEDaPvRmT3_T4_T5_mT6_P12ihipStream_tbENKUlT_T0_E_clISt17integral_constantIbLb0EESW_IbLb1EEEEDaSS_ST_EUlSS_E_NS1_11comp_targetILNS1_3genE2ELNS1_11target_archE906ELNS1_3gpuE6ELNS1_3repE0EEENS1_30default_config_static_selectorELNS0_4arch9wavefront6targetE1EEEvT1_
; %bb.0:
	.section	.rodata,"a",@progbits
	.p2align	6, 0x0
	.amdhsa_kernel _ZN7rocprim17ROCPRIM_400000_NS6detail17trampoline_kernelINS0_14default_configENS1_20scan_config_selectorIyEEZZNS1_9scan_implILNS1_25lookback_scan_determinismE0ELb1ELb1ES3_N6thrust23THRUST_200600_302600_NS6detail15normal_iteratorINS9_10device_ptrIyEEEENS9_16discard_iteratorINS9_11use_defaultEEEy11max_functorIyEyEEDaPvRmT3_T4_T5_mT6_P12ihipStream_tbENKUlT_T0_E_clISt17integral_constantIbLb0EESW_IbLb1EEEEDaSS_ST_EUlSS_E_NS1_11comp_targetILNS1_3genE2ELNS1_11target_archE906ELNS1_3gpuE6ELNS1_3repE0EEENS1_30default_config_static_selectorELNS0_4arch9wavefront6targetE1EEEvT1_
		.amdhsa_group_segment_fixed_size 0
		.amdhsa_private_segment_fixed_size 0
		.amdhsa_kernarg_size 112
		.amdhsa_user_sgpr_count 6
		.amdhsa_user_sgpr_private_segment_buffer 1
		.amdhsa_user_sgpr_dispatch_ptr 0
		.amdhsa_user_sgpr_queue_ptr 0
		.amdhsa_user_sgpr_kernarg_segment_ptr 1
		.amdhsa_user_sgpr_dispatch_id 0
		.amdhsa_user_sgpr_flat_scratch_init 0
		.amdhsa_user_sgpr_kernarg_preload_length 0
		.amdhsa_user_sgpr_kernarg_preload_offset 0
		.amdhsa_user_sgpr_private_segment_size 0
		.amdhsa_uses_dynamic_stack 0
		.amdhsa_system_sgpr_private_segment_wavefront_offset 0
		.amdhsa_system_sgpr_workgroup_id_x 1
		.amdhsa_system_sgpr_workgroup_id_y 0
		.amdhsa_system_sgpr_workgroup_id_z 0
		.amdhsa_system_sgpr_workgroup_info 0
		.amdhsa_system_vgpr_workitem_id 0
		.amdhsa_next_free_vgpr 1
		.amdhsa_next_free_sgpr 0
		.amdhsa_accum_offset 4
		.amdhsa_reserve_vcc 0
		.amdhsa_reserve_flat_scratch 0
		.amdhsa_float_round_mode_32 0
		.amdhsa_float_round_mode_16_64 0
		.amdhsa_float_denorm_mode_32 3
		.amdhsa_float_denorm_mode_16_64 3
		.amdhsa_dx10_clamp 1
		.amdhsa_ieee_mode 1
		.amdhsa_fp16_overflow 0
		.amdhsa_tg_split 0
		.amdhsa_exception_fp_ieee_invalid_op 0
		.amdhsa_exception_fp_denorm_src 0
		.amdhsa_exception_fp_ieee_div_zero 0
		.amdhsa_exception_fp_ieee_overflow 0
		.amdhsa_exception_fp_ieee_underflow 0
		.amdhsa_exception_fp_ieee_inexact 0
		.amdhsa_exception_int_div_zero 0
	.end_amdhsa_kernel
	.section	.text._ZN7rocprim17ROCPRIM_400000_NS6detail17trampoline_kernelINS0_14default_configENS1_20scan_config_selectorIyEEZZNS1_9scan_implILNS1_25lookback_scan_determinismE0ELb1ELb1ES3_N6thrust23THRUST_200600_302600_NS6detail15normal_iteratorINS9_10device_ptrIyEEEENS9_16discard_iteratorINS9_11use_defaultEEEy11max_functorIyEyEEDaPvRmT3_T4_T5_mT6_P12ihipStream_tbENKUlT_T0_E_clISt17integral_constantIbLb0EESW_IbLb1EEEEDaSS_ST_EUlSS_E_NS1_11comp_targetILNS1_3genE2ELNS1_11target_archE906ELNS1_3gpuE6ELNS1_3repE0EEENS1_30default_config_static_selectorELNS0_4arch9wavefront6targetE1EEEvT1_,"axG",@progbits,_ZN7rocprim17ROCPRIM_400000_NS6detail17trampoline_kernelINS0_14default_configENS1_20scan_config_selectorIyEEZZNS1_9scan_implILNS1_25lookback_scan_determinismE0ELb1ELb1ES3_N6thrust23THRUST_200600_302600_NS6detail15normal_iteratorINS9_10device_ptrIyEEEENS9_16discard_iteratorINS9_11use_defaultEEEy11max_functorIyEyEEDaPvRmT3_T4_T5_mT6_P12ihipStream_tbENKUlT_T0_E_clISt17integral_constantIbLb0EESW_IbLb1EEEEDaSS_ST_EUlSS_E_NS1_11comp_targetILNS1_3genE2ELNS1_11target_archE906ELNS1_3gpuE6ELNS1_3repE0EEENS1_30default_config_static_selectorELNS0_4arch9wavefront6targetE1EEEvT1_,comdat
.Lfunc_end3408:
	.size	_ZN7rocprim17ROCPRIM_400000_NS6detail17trampoline_kernelINS0_14default_configENS1_20scan_config_selectorIyEEZZNS1_9scan_implILNS1_25lookback_scan_determinismE0ELb1ELb1ES3_N6thrust23THRUST_200600_302600_NS6detail15normal_iteratorINS9_10device_ptrIyEEEENS9_16discard_iteratorINS9_11use_defaultEEEy11max_functorIyEyEEDaPvRmT3_T4_T5_mT6_P12ihipStream_tbENKUlT_T0_E_clISt17integral_constantIbLb0EESW_IbLb1EEEEDaSS_ST_EUlSS_E_NS1_11comp_targetILNS1_3genE2ELNS1_11target_archE906ELNS1_3gpuE6ELNS1_3repE0EEENS1_30default_config_static_selectorELNS0_4arch9wavefront6targetE1EEEvT1_, .Lfunc_end3408-_ZN7rocprim17ROCPRIM_400000_NS6detail17trampoline_kernelINS0_14default_configENS1_20scan_config_selectorIyEEZZNS1_9scan_implILNS1_25lookback_scan_determinismE0ELb1ELb1ES3_N6thrust23THRUST_200600_302600_NS6detail15normal_iteratorINS9_10device_ptrIyEEEENS9_16discard_iteratorINS9_11use_defaultEEEy11max_functorIyEyEEDaPvRmT3_T4_T5_mT6_P12ihipStream_tbENKUlT_T0_E_clISt17integral_constantIbLb0EESW_IbLb1EEEEDaSS_ST_EUlSS_E_NS1_11comp_targetILNS1_3genE2ELNS1_11target_archE906ELNS1_3gpuE6ELNS1_3repE0EEENS1_30default_config_static_selectorELNS0_4arch9wavefront6targetE1EEEvT1_
                                        ; -- End function
	.section	.AMDGPU.csdata,"",@progbits
; Kernel info:
; codeLenInByte = 0
; NumSgprs: 4
; NumVgprs: 0
; NumAgprs: 0
; TotalNumVgprs: 0
; ScratchSize: 0
; MemoryBound: 0
; FloatMode: 240
; IeeeMode: 1
; LDSByteSize: 0 bytes/workgroup (compile time only)
; SGPRBlocks: 0
; VGPRBlocks: 0
; NumSGPRsForWavesPerEU: 4
; NumVGPRsForWavesPerEU: 1
; AccumOffset: 4
; Occupancy: 8
; WaveLimiterHint : 0
; COMPUTE_PGM_RSRC2:SCRATCH_EN: 0
; COMPUTE_PGM_RSRC2:USER_SGPR: 6
; COMPUTE_PGM_RSRC2:TRAP_HANDLER: 0
; COMPUTE_PGM_RSRC2:TGID_X_EN: 1
; COMPUTE_PGM_RSRC2:TGID_Y_EN: 0
; COMPUTE_PGM_RSRC2:TGID_Z_EN: 0
; COMPUTE_PGM_RSRC2:TIDIG_COMP_CNT: 0
; COMPUTE_PGM_RSRC3_GFX90A:ACCUM_OFFSET: 0
; COMPUTE_PGM_RSRC3_GFX90A:TG_SPLIT: 0
	.section	.text._ZN7rocprim17ROCPRIM_400000_NS6detail17trampoline_kernelINS0_14default_configENS1_20scan_config_selectorIyEEZZNS1_9scan_implILNS1_25lookback_scan_determinismE0ELb1ELb1ES3_N6thrust23THRUST_200600_302600_NS6detail15normal_iteratorINS9_10device_ptrIyEEEENS9_16discard_iteratorINS9_11use_defaultEEEy11max_functorIyEyEEDaPvRmT3_T4_T5_mT6_P12ihipStream_tbENKUlT_T0_E_clISt17integral_constantIbLb0EESW_IbLb1EEEEDaSS_ST_EUlSS_E_NS1_11comp_targetILNS1_3genE10ELNS1_11target_archE1201ELNS1_3gpuE5ELNS1_3repE0EEENS1_30default_config_static_selectorELNS0_4arch9wavefront6targetE1EEEvT1_,"axG",@progbits,_ZN7rocprim17ROCPRIM_400000_NS6detail17trampoline_kernelINS0_14default_configENS1_20scan_config_selectorIyEEZZNS1_9scan_implILNS1_25lookback_scan_determinismE0ELb1ELb1ES3_N6thrust23THRUST_200600_302600_NS6detail15normal_iteratorINS9_10device_ptrIyEEEENS9_16discard_iteratorINS9_11use_defaultEEEy11max_functorIyEyEEDaPvRmT3_T4_T5_mT6_P12ihipStream_tbENKUlT_T0_E_clISt17integral_constantIbLb0EESW_IbLb1EEEEDaSS_ST_EUlSS_E_NS1_11comp_targetILNS1_3genE10ELNS1_11target_archE1201ELNS1_3gpuE5ELNS1_3repE0EEENS1_30default_config_static_selectorELNS0_4arch9wavefront6targetE1EEEvT1_,comdat
	.protected	_ZN7rocprim17ROCPRIM_400000_NS6detail17trampoline_kernelINS0_14default_configENS1_20scan_config_selectorIyEEZZNS1_9scan_implILNS1_25lookback_scan_determinismE0ELb1ELb1ES3_N6thrust23THRUST_200600_302600_NS6detail15normal_iteratorINS9_10device_ptrIyEEEENS9_16discard_iteratorINS9_11use_defaultEEEy11max_functorIyEyEEDaPvRmT3_T4_T5_mT6_P12ihipStream_tbENKUlT_T0_E_clISt17integral_constantIbLb0EESW_IbLb1EEEEDaSS_ST_EUlSS_E_NS1_11comp_targetILNS1_3genE10ELNS1_11target_archE1201ELNS1_3gpuE5ELNS1_3repE0EEENS1_30default_config_static_selectorELNS0_4arch9wavefront6targetE1EEEvT1_ ; -- Begin function _ZN7rocprim17ROCPRIM_400000_NS6detail17trampoline_kernelINS0_14default_configENS1_20scan_config_selectorIyEEZZNS1_9scan_implILNS1_25lookback_scan_determinismE0ELb1ELb1ES3_N6thrust23THRUST_200600_302600_NS6detail15normal_iteratorINS9_10device_ptrIyEEEENS9_16discard_iteratorINS9_11use_defaultEEEy11max_functorIyEyEEDaPvRmT3_T4_T5_mT6_P12ihipStream_tbENKUlT_T0_E_clISt17integral_constantIbLb0EESW_IbLb1EEEEDaSS_ST_EUlSS_E_NS1_11comp_targetILNS1_3genE10ELNS1_11target_archE1201ELNS1_3gpuE5ELNS1_3repE0EEENS1_30default_config_static_selectorELNS0_4arch9wavefront6targetE1EEEvT1_
	.globl	_ZN7rocprim17ROCPRIM_400000_NS6detail17trampoline_kernelINS0_14default_configENS1_20scan_config_selectorIyEEZZNS1_9scan_implILNS1_25lookback_scan_determinismE0ELb1ELb1ES3_N6thrust23THRUST_200600_302600_NS6detail15normal_iteratorINS9_10device_ptrIyEEEENS9_16discard_iteratorINS9_11use_defaultEEEy11max_functorIyEyEEDaPvRmT3_T4_T5_mT6_P12ihipStream_tbENKUlT_T0_E_clISt17integral_constantIbLb0EESW_IbLb1EEEEDaSS_ST_EUlSS_E_NS1_11comp_targetILNS1_3genE10ELNS1_11target_archE1201ELNS1_3gpuE5ELNS1_3repE0EEENS1_30default_config_static_selectorELNS0_4arch9wavefront6targetE1EEEvT1_
	.p2align	8
	.type	_ZN7rocprim17ROCPRIM_400000_NS6detail17trampoline_kernelINS0_14default_configENS1_20scan_config_selectorIyEEZZNS1_9scan_implILNS1_25lookback_scan_determinismE0ELb1ELb1ES3_N6thrust23THRUST_200600_302600_NS6detail15normal_iteratorINS9_10device_ptrIyEEEENS9_16discard_iteratorINS9_11use_defaultEEEy11max_functorIyEyEEDaPvRmT3_T4_T5_mT6_P12ihipStream_tbENKUlT_T0_E_clISt17integral_constantIbLb0EESW_IbLb1EEEEDaSS_ST_EUlSS_E_NS1_11comp_targetILNS1_3genE10ELNS1_11target_archE1201ELNS1_3gpuE5ELNS1_3repE0EEENS1_30default_config_static_selectorELNS0_4arch9wavefront6targetE1EEEvT1_,@function
_ZN7rocprim17ROCPRIM_400000_NS6detail17trampoline_kernelINS0_14default_configENS1_20scan_config_selectorIyEEZZNS1_9scan_implILNS1_25lookback_scan_determinismE0ELb1ELb1ES3_N6thrust23THRUST_200600_302600_NS6detail15normal_iteratorINS9_10device_ptrIyEEEENS9_16discard_iteratorINS9_11use_defaultEEEy11max_functorIyEyEEDaPvRmT3_T4_T5_mT6_P12ihipStream_tbENKUlT_T0_E_clISt17integral_constantIbLb0EESW_IbLb1EEEEDaSS_ST_EUlSS_E_NS1_11comp_targetILNS1_3genE10ELNS1_11target_archE1201ELNS1_3gpuE5ELNS1_3repE0EEENS1_30default_config_static_selectorELNS0_4arch9wavefront6targetE1EEEvT1_: ; @_ZN7rocprim17ROCPRIM_400000_NS6detail17trampoline_kernelINS0_14default_configENS1_20scan_config_selectorIyEEZZNS1_9scan_implILNS1_25lookback_scan_determinismE0ELb1ELb1ES3_N6thrust23THRUST_200600_302600_NS6detail15normal_iteratorINS9_10device_ptrIyEEEENS9_16discard_iteratorINS9_11use_defaultEEEy11max_functorIyEyEEDaPvRmT3_T4_T5_mT6_P12ihipStream_tbENKUlT_T0_E_clISt17integral_constantIbLb0EESW_IbLb1EEEEDaSS_ST_EUlSS_E_NS1_11comp_targetILNS1_3genE10ELNS1_11target_archE1201ELNS1_3gpuE5ELNS1_3repE0EEENS1_30default_config_static_selectorELNS0_4arch9wavefront6targetE1EEEvT1_
; %bb.0:
	.section	.rodata,"a",@progbits
	.p2align	6, 0x0
	.amdhsa_kernel _ZN7rocprim17ROCPRIM_400000_NS6detail17trampoline_kernelINS0_14default_configENS1_20scan_config_selectorIyEEZZNS1_9scan_implILNS1_25lookback_scan_determinismE0ELb1ELb1ES3_N6thrust23THRUST_200600_302600_NS6detail15normal_iteratorINS9_10device_ptrIyEEEENS9_16discard_iteratorINS9_11use_defaultEEEy11max_functorIyEyEEDaPvRmT3_T4_T5_mT6_P12ihipStream_tbENKUlT_T0_E_clISt17integral_constantIbLb0EESW_IbLb1EEEEDaSS_ST_EUlSS_E_NS1_11comp_targetILNS1_3genE10ELNS1_11target_archE1201ELNS1_3gpuE5ELNS1_3repE0EEENS1_30default_config_static_selectorELNS0_4arch9wavefront6targetE1EEEvT1_
		.amdhsa_group_segment_fixed_size 0
		.amdhsa_private_segment_fixed_size 0
		.amdhsa_kernarg_size 112
		.amdhsa_user_sgpr_count 6
		.amdhsa_user_sgpr_private_segment_buffer 1
		.amdhsa_user_sgpr_dispatch_ptr 0
		.amdhsa_user_sgpr_queue_ptr 0
		.amdhsa_user_sgpr_kernarg_segment_ptr 1
		.amdhsa_user_sgpr_dispatch_id 0
		.amdhsa_user_sgpr_flat_scratch_init 0
		.amdhsa_user_sgpr_kernarg_preload_length 0
		.amdhsa_user_sgpr_kernarg_preload_offset 0
		.amdhsa_user_sgpr_private_segment_size 0
		.amdhsa_uses_dynamic_stack 0
		.amdhsa_system_sgpr_private_segment_wavefront_offset 0
		.amdhsa_system_sgpr_workgroup_id_x 1
		.amdhsa_system_sgpr_workgroup_id_y 0
		.amdhsa_system_sgpr_workgroup_id_z 0
		.amdhsa_system_sgpr_workgroup_info 0
		.amdhsa_system_vgpr_workitem_id 0
		.amdhsa_next_free_vgpr 1
		.amdhsa_next_free_sgpr 0
		.amdhsa_accum_offset 4
		.amdhsa_reserve_vcc 0
		.amdhsa_reserve_flat_scratch 0
		.amdhsa_float_round_mode_32 0
		.amdhsa_float_round_mode_16_64 0
		.amdhsa_float_denorm_mode_32 3
		.amdhsa_float_denorm_mode_16_64 3
		.amdhsa_dx10_clamp 1
		.amdhsa_ieee_mode 1
		.amdhsa_fp16_overflow 0
		.amdhsa_tg_split 0
		.amdhsa_exception_fp_ieee_invalid_op 0
		.amdhsa_exception_fp_denorm_src 0
		.amdhsa_exception_fp_ieee_div_zero 0
		.amdhsa_exception_fp_ieee_overflow 0
		.amdhsa_exception_fp_ieee_underflow 0
		.amdhsa_exception_fp_ieee_inexact 0
		.amdhsa_exception_int_div_zero 0
	.end_amdhsa_kernel
	.section	.text._ZN7rocprim17ROCPRIM_400000_NS6detail17trampoline_kernelINS0_14default_configENS1_20scan_config_selectorIyEEZZNS1_9scan_implILNS1_25lookback_scan_determinismE0ELb1ELb1ES3_N6thrust23THRUST_200600_302600_NS6detail15normal_iteratorINS9_10device_ptrIyEEEENS9_16discard_iteratorINS9_11use_defaultEEEy11max_functorIyEyEEDaPvRmT3_T4_T5_mT6_P12ihipStream_tbENKUlT_T0_E_clISt17integral_constantIbLb0EESW_IbLb1EEEEDaSS_ST_EUlSS_E_NS1_11comp_targetILNS1_3genE10ELNS1_11target_archE1201ELNS1_3gpuE5ELNS1_3repE0EEENS1_30default_config_static_selectorELNS0_4arch9wavefront6targetE1EEEvT1_,"axG",@progbits,_ZN7rocprim17ROCPRIM_400000_NS6detail17trampoline_kernelINS0_14default_configENS1_20scan_config_selectorIyEEZZNS1_9scan_implILNS1_25lookback_scan_determinismE0ELb1ELb1ES3_N6thrust23THRUST_200600_302600_NS6detail15normal_iteratorINS9_10device_ptrIyEEEENS9_16discard_iteratorINS9_11use_defaultEEEy11max_functorIyEyEEDaPvRmT3_T4_T5_mT6_P12ihipStream_tbENKUlT_T0_E_clISt17integral_constantIbLb0EESW_IbLb1EEEEDaSS_ST_EUlSS_E_NS1_11comp_targetILNS1_3genE10ELNS1_11target_archE1201ELNS1_3gpuE5ELNS1_3repE0EEENS1_30default_config_static_selectorELNS0_4arch9wavefront6targetE1EEEvT1_,comdat
.Lfunc_end3409:
	.size	_ZN7rocprim17ROCPRIM_400000_NS6detail17trampoline_kernelINS0_14default_configENS1_20scan_config_selectorIyEEZZNS1_9scan_implILNS1_25lookback_scan_determinismE0ELb1ELb1ES3_N6thrust23THRUST_200600_302600_NS6detail15normal_iteratorINS9_10device_ptrIyEEEENS9_16discard_iteratorINS9_11use_defaultEEEy11max_functorIyEyEEDaPvRmT3_T4_T5_mT6_P12ihipStream_tbENKUlT_T0_E_clISt17integral_constantIbLb0EESW_IbLb1EEEEDaSS_ST_EUlSS_E_NS1_11comp_targetILNS1_3genE10ELNS1_11target_archE1201ELNS1_3gpuE5ELNS1_3repE0EEENS1_30default_config_static_selectorELNS0_4arch9wavefront6targetE1EEEvT1_, .Lfunc_end3409-_ZN7rocprim17ROCPRIM_400000_NS6detail17trampoline_kernelINS0_14default_configENS1_20scan_config_selectorIyEEZZNS1_9scan_implILNS1_25lookback_scan_determinismE0ELb1ELb1ES3_N6thrust23THRUST_200600_302600_NS6detail15normal_iteratorINS9_10device_ptrIyEEEENS9_16discard_iteratorINS9_11use_defaultEEEy11max_functorIyEyEEDaPvRmT3_T4_T5_mT6_P12ihipStream_tbENKUlT_T0_E_clISt17integral_constantIbLb0EESW_IbLb1EEEEDaSS_ST_EUlSS_E_NS1_11comp_targetILNS1_3genE10ELNS1_11target_archE1201ELNS1_3gpuE5ELNS1_3repE0EEENS1_30default_config_static_selectorELNS0_4arch9wavefront6targetE1EEEvT1_
                                        ; -- End function
	.section	.AMDGPU.csdata,"",@progbits
; Kernel info:
; codeLenInByte = 0
; NumSgprs: 4
; NumVgprs: 0
; NumAgprs: 0
; TotalNumVgprs: 0
; ScratchSize: 0
; MemoryBound: 0
; FloatMode: 240
; IeeeMode: 1
; LDSByteSize: 0 bytes/workgroup (compile time only)
; SGPRBlocks: 0
; VGPRBlocks: 0
; NumSGPRsForWavesPerEU: 4
; NumVGPRsForWavesPerEU: 1
; AccumOffset: 4
; Occupancy: 8
; WaveLimiterHint : 0
; COMPUTE_PGM_RSRC2:SCRATCH_EN: 0
; COMPUTE_PGM_RSRC2:USER_SGPR: 6
; COMPUTE_PGM_RSRC2:TRAP_HANDLER: 0
; COMPUTE_PGM_RSRC2:TGID_X_EN: 1
; COMPUTE_PGM_RSRC2:TGID_Y_EN: 0
; COMPUTE_PGM_RSRC2:TGID_Z_EN: 0
; COMPUTE_PGM_RSRC2:TIDIG_COMP_CNT: 0
; COMPUTE_PGM_RSRC3_GFX90A:ACCUM_OFFSET: 0
; COMPUTE_PGM_RSRC3_GFX90A:TG_SPLIT: 0
	.section	.text._ZN7rocprim17ROCPRIM_400000_NS6detail17trampoline_kernelINS0_14default_configENS1_20scan_config_selectorIyEEZZNS1_9scan_implILNS1_25lookback_scan_determinismE0ELb1ELb1ES3_N6thrust23THRUST_200600_302600_NS6detail15normal_iteratorINS9_10device_ptrIyEEEENS9_16discard_iteratorINS9_11use_defaultEEEy11max_functorIyEyEEDaPvRmT3_T4_T5_mT6_P12ihipStream_tbENKUlT_T0_E_clISt17integral_constantIbLb0EESW_IbLb1EEEEDaSS_ST_EUlSS_E_NS1_11comp_targetILNS1_3genE10ELNS1_11target_archE1200ELNS1_3gpuE4ELNS1_3repE0EEENS1_30default_config_static_selectorELNS0_4arch9wavefront6targetE1EEEvT1_,"axG",@progbits,_ZN7rocprim17ROCPRIM_400000_NS6detail17trampoline_kernelINS0_14default_configENS1_20scan_config_selectorIyEEZZNS1_9scan_implILNS1_25lookback_scan_determinismE0ELb1ELb1ES3_N6thrust23THRUST_200600_302600_NS6detail15normal_iteratorINS9_10device_ptrIyEEEENS9_16discard_iteratorINS9_11use_defaultEEEy11max_functorIyEyEEDaPvRmT3_T4_T5_mT6_P12ihipStream_tbENKUlT_T0_E_clISt17integral_constantIbLb0EESW_IbLb1EEEEDaSS_ST_EUlSS_E_NS1_11comp_targetILNS1_3genE10ELNS1_11target_archE1200ELNS1_3gpuE4ELNS1_3repE0EEENS1_30default_config_static_selectorELNS0_4arch9wavefront6targetE1EEEvT1_,comdat
	.protected	_ZN7rocprim17ROCPRIM_400000_NS6detail17trampoline_kernelINS0_14default_configENS1_20scan_config_selectorIyEEZZNS1_9scan_implILNS1_25lookback_scan_determinismE0ELb1ELb1ES3_N6thrust23THRUST_200600_302600_NS6detail15normal_iteratorINS9_10device_ptrIyEEEENS9_16discard_iteratorINS9_11use_defaultEEEy11max_functorIyEyEEDaPvRmT3_T4_T5_mT6_P12ihipStream_tbENKUlT_T0_E_clISt17integral_constantIbLb0EESW_IbLb1EEEEDaSS_ST_EUlSS_E_NS1_11comp_targetILNS1_3genE10ELNS1_11target_archE1200ELNS1_3gpuE4ELNS1_3repE0EEENS1_30default_config_static_selectorELNS0_4arch9wavefront6targetE1EEEvT1_ ; -- Begin function _ZN7rocprim17ROCPRIM_400000_NS6detail17trampoline_kernelINS0_14default_configENS1_20scan_config_selectorIyEEZZNS1_9scan_implILNS1_25lookback_scan_determinismE0ELb1ELb1ES3_N6thrust23THRUST_200600_302600_NS6detail15normal_iteratorINS9_10device_ptrIyEEEENS9_16discard_iteratorINS9_11use_defaultEEEy11max_functorIyEyEEDaPvRmT3_T4_T5_mT6_P12ihipStream_tbENKUlT_T0_E_clISt17integral_constantIbLb0EESW_IbLb1EEEEDaSS_ST_EUlSS_E_NS1_11comp_targetILNS1_3genE10ELNS1_11target_archE1200ELNS1_3gpuE4ELNS1_3repE0EEENS1_30default_config_static_selectorELNS0_4arch9wavefront6targetE1EEEvT1_
	.globl	_ZN7rocprim17ROCPRIM_400000_NS6detail17trampoline_kernelINS0_14default_configENS1_20scan_config_selectorIyEEZZNS1_9scan_implILNS1_25lookback_scan_determinismE0ELb1ELb1ES3_N6thrust23THRUST_200600_302600_NS6detail15normal_iteratorINS9_10device_ptrIyEEEENS9_16discard_iteratorINS9_11use_defaultEEEy11max_functorIyEyEEDaPvRmT3_T4_T5_mT6_P12ihipStream_tbENKUlT_T0_E_clISt17integral_constantIbLb0EESW_IbLb1EEEEDaSS_ST_EUlSS_E_NS1_11comp_targetILNS1_3genE10ELNS1_11target_archE1200ELNS1_3gpuE4ELNS1_3repE0EEENS1_30default_config_static_selectorELNS0_4arch9wavefront6targetE1EEEvT1_
	.p2align	8
	.type	_ZN7rocprim17ROCPRIM_400000_NS6detail17trampoline_kernelINS0_14default_configENS1_20scan_config_selectorIyEEZZNS1_9scan_implILNS1_25lookback_scan_determinismE0ELb1ELb1ES3_N6thrust23THRUST_200600_302600_NS6detail15normal_iteratorINS9_10device_ptrIyEEEENS9_16discard_iteratorINS9_11use_defaultEEEy11max_functorIyEyEEDaPvRmT3_T4_T5_mT6_P12ihipStream_tbENKUlT_T0_E_clISt17integral_constantIbLb0EESW_IbLb1EEEEDaSS_ST_EUlSS_E_NS1_11comp_targetILNS1_3genE10ELNS1_11target_archE1200ELNS1_3gpuE4ELNS1_3repE0EEENS1_30default_config_static_selectorELNS0_4arch9wavefront6targetE1EEEvT1_,@function
_ZN7rocprim17ROCPRIM_400000_NS6detail17trampoline_kernelINS0_14default_configENS1_20scan_config_selectorIyEEZZNS1_9scan_implILNS1_25lookback_scan_determinismE0ELb1ELb1ES3_N6thrust23THRUST_200600_302600_NS6detail15normal_iteratorINS9_10device_ptrIyEEEENS9_16discard_iteratorINS9_11use_defaultEEEy11max_functorIyEyEEDaPvRmT3_T4_T5_mT6_P12ihipStream_tbENKUlT_T0_E_clISt17integral_constantIbLb0EESW_IbLb1EEEEDaSS_ST_EUlSS_E_NS1_11comp_targetILNS1_3genE10ELNS1_11target_archE1200ELNS1_3gpuE4ELNS1_3repE0EEENS1_30default_config_static_selectorELNS0_4arch9wavefront6targetE1EEEvT1_: ; @_ZN7rocprim17ROCPRIM_400000_NS6detail17trampoline_kernelINS0_14default_configENS1_20scan_config_selectorIyEEZZNS1_9scan_implILNS1_25lookback_scan_determinismE0ELb1ELb1ES3_N6thrust23THRUST_200600_302600_NS6detail15normal_iteratorINS9_10device_ptrIyEEEENS9_16discard_iteratorINS9_11use_defaultEEEy11max_functorIyEyEEDaPvRmT3_T4_T5_mT6_P12ihipStream_tbENKUlT_T0_E_clISt17integral_constantIbLb0EESW_IbLb1EEEEDaSS_ST_EUlSS_E_NS1_11comp_targetILNS1_3genE10ELNS1_11target_archE1200ELNS1_3gpuE4ELNS1_3repE0EEENS1_30default_config_static_selectorELNS0_4arch9wavefront6targetE1EEEvT1_
; %bb.0:
	.section	.rodata,"a",@progbits
	.p2align	6, 0x0
	.amdhsa_kernel _ZN7rocprim17ROCPRIM_400000_NS6detail17trampoline_kernelINS0_14default_configENS1_20scan_config_selectorIyEEZZNS1_9scan_implILNS1_25lookback_scan_determinismE0ELb1ELb1ES3_N6thrust23THRUST_200600_302600_NS6detail15normal_iteratorINS9_10device_ptrIyEEEENS9_16discard_iteratorINS9_11use_defaultEEEy11max_functorIyEyEEDaPvRmT3_T4_T5_mT6_P12ihipStream_tbENKUlT_T0_E_clISt17integral_constantIbLb0EESW_IbLb1EEEEDaSS_ST_EUlSS_E_NS1_11comp_targetILNS1_3genE10ELNS1_11target_archE1200ELNS1_3gpuE4ELNS1_3repE0EEENS1_30default_config_static_selectorELNS0_4arch9wavefront6targetE1EEEvT1_
		.amdhsa_group_segment_fixed_size 0
		.amdhsa_private_segment_fixed_size 0
		.amdhsa_kernarg_size 112
		.amdhsa_user_sgpr_count 6
		.amdhsa_user_sgpr_private_segment_buffer 1
		.amdhsa_user_sgpr_dispatch_ptr 0
		.amdhsa_user_sgpr_queue_ptr 0
		.amdhsa_user_sgpr_kernarg_segment_ptr 1
		.amdhsa_user_sgpr_dispatch_id 0
		.amdhsa_user_sgpr_flat_scratch_init 0
		.amdhsa_user_sgpr_kernarg_preload_length 0
		.amdhsa_user_sgpr_kernarg_preload_offset 0
		.amdhsa_user_sgpr_private_segment_size 0
		.amdhsa_uses_dynamic_stack 0
		.amdhsa_system_sgpr_private_segment_wavefront_offset 0
		.amdhsa_system_sgpr_workgroup_id_x 1
		.amdhsa_system_sgpr_workgroup_id_y 0
		.amdhsa_system_sgpr_workgroup_id_z 0
		.amdhsa_system_sgpr_workgroup_info 0
		.amdhsa_system_vgpr_workitem_id 0
		.amdhsa_next_free_vgpr 1
		.amdhsa_next_free_sgpr 0
		.amdhsa_accum_offset 4
		.amdhsa_reserve_vcc 0
		.amdhsa_reserve_flat_scratch 0
		.amdhsa_float_round_mode_32 0
		.amdhsa_float_round_mode_16_64 0
		.amdhsa_float_denorm_mode_32 3
		.amdhsa_float_denorm_mode_16_64 3
		.amdhsa_dx10_clamp 1
		.amdhsa_ieee_mode 1
		.amdhsa_fp16_overflow 0
		.amdhsa_tg_split 0
		.amdhsa_exception_fp_ieee_invalid_op 0
		.amdhsa_exception_fp_denorm_src 0
		.amdhsa_exception_fp_ieee_div_zero 0
		.amdhsa_exception_fp_ieee_overflow 0
		.amdhsa_exception_fp_ieee_underflow 0
		.amdhsa_exception_fp_ieee_inexact 0
		.amdhsa_exception_int_div_zero 0
	.end_amdhsa_kernel
	.section	.text._ZN7rocprim17ROCPRIM_400000_NS6detail17trampoline_kernelINS0_14default_configENS1_20scan_config_selectorIyEEZZNS1_9scan_implILNS1_25lookback_scan_determinismE0ELb1ELb1ES3_N6thrust23THRUST_200600_302600_NS6detail15normal_iteratorINS9_10device_ptrIyEEEENS9_16discard_iteratorINS9_11use_defaultEEEy11max_functorIyEyEEDaPvRmT3_T4_T5_mT6_P12ihipStream_tbENKUlT_T0_E_clISt17integral_constantIbLb0EESW_IbLb1EEEEDaSS_ST_EUlSS_E_NS1_11comp_targetILNS1_3genE10ELNS1_11target_archE1200ELNS1_3gpuE4ELNS1_3repE0EEENS1_30default_config_static_selectorELNS0_4arch9wavefront6targetE1EEEvT1_,"axG",@progbits,_ZN7rocprim17ROCPRIM_400000_NS6detail17trampoline_kernelINS0_14default_configENS1_20scan_config_selectorIyEEZZNS1_9scan_implILNS1_25lookback_scan_determinismE0ELb1ELb1ES3_N6thrust23THRUST_200600_302600_NS6detail15normal_iteratorINS9_10device_ptrIyEEEENS9_16discard_iteratorINS9_11use_defaultEEEy11max_functorIyEyEEDaPvRmT3_T4_T5_mT6_P12ihipStream_tbENKUlT_T0_E_clISt17integral_constantIbLb0EESW_IbLb1EEEEDaSS_ST_EUlSS_E_NS1_11comp_targetILNS1_3genE10ELNS1_11target_archE1200ELNS1_3gpuE4ELNS1_3repE0EEENS1_30default_config_static_selectorELNS0_4arch9wavefront6targetE1EEEvT1_,comdat
.Lfunc_end3410:
	.size	_ZN7rocprim17ROCPRIM_400000_NS6detail17trampoline_kernelINS0_14default_configENS1_20scan_config_selectorIyEEZZNS1_9scan_implILNS1_25lookback_scan_determinismE0ELb1ELb1ES3_N6thrust23THRUST_200600_302600_NS6detail15normal_iteratorINS9_10device_ptrIyEEEENS9_16discard_iteratorINS9_11use_defaultEEEy11max_functorIyEyEEDaPvRmT3_T4_T5_mT6_P12ihipStream_tbENKUlT_T0_E_clISt17integral_constantIbLb0EESW_IbLb1EEEEDaSS_ST_EUlSS_E_NS1_11comp_targetILNS1_3genE10ELNS1_11target_archE1200ELNS1_3gpuE4ELNS1_3repE0EEENS1_30default_config_static_selectorELNS0_4arch9wavefront6targetE1EEEvT1_, .Lfunc_end3410-_ZN7rocprim17ROCPRIM_400000_NS6detail17trampoline_kernelINS0_14default_configENS1_20scan_config_selectorIyEEZZNS1_9scan_implILNS1_25lookback_scan_determinismE0ELb1ELb1ES3_N6thrust23THRUST_200600_302600_NS6detail15normal_iteratorINS9_10device_ptrIyEEEENS9_16discard_iteratorINS9_11use_defaultEEEy11max_functorIyEyEEDaPvRmT3_T4_T5_mT6_P12ihipStream_tbENKUlT_T0_E_clISt17integral_constantIbLb0EESW_IbLb1EEEEDaSS_ST_EUlSS_E_NS1_11comp_targetILNS1_3genE10ELNS1_11target_archE1200ELNS1_3gpuE4ELNS1_3repE0EEENS1_30default_config_static_selectorELNS0_4arch9wavefront6targetE1EEEvT1_
                                        ; -- End function
	.section	.AMDGPU.csdata,"",@progbits
; Kernel info:
; codeLenInByte = 0
; NumSgprs: 4
; NumVgprs: 0
; NumAgprs: 0
; TotalNumVgprs: 0
; ScratchSize: 0
; MemoryBound: 0
; FloatMode: 240
; IeeeMode: 1
; LDSByteSize: 0 bytes/workgroup (compile time only)
; SGPRBlocks: 0
; VGPRBlocks: 0
; NumSGPRsForWavesPerEU: 4
; NumVGPRsForWavesPerEU: 1
; AccumOffset: 4
; Occupancy: 8
; WaveLimiterHint : 0
; COMPUTE_PGM_RSRC2:SCRATCH_EN: 0
; COMPUTE_PGM_RSRC2:USER_SGPR: 6
; COMPUTE_PGM_RSRC2:TRAP_HANDLER: 0
; COMPUTE_PGM_RSRC2:TGID_X_EN: 1
; COMPUTE_PGM_RSRC2:TGID_Y_EN: 0
; COMPUTE_PGM_RSRC2:TGID_Z_EN: 0
; COMPUTE_PGM_RSRC2:TIDIG_COMP_CNT: 0
; COMPUTE_PGM_RSRC3_GFX90A:ACCUM_OFFSET: 0
; COMPUTE_PGM_RSRC3_GFX90A:TG_SPLIT: 0
	.section	.text._ZN7rocprim17ROCPRIM_400000_NS6detail17trampoline_kernelINS0_14default_configENS1_20scan_config_selectorIyEEZZNS1_9scan_implILNS1_25lookback_scan_determinismE0ELb1ELb1ES3_N6thrust23THRUST_200600_302600_NS6detail15normal_iteratorINS9_10device_ptrIyEEEENS9_16discard_iteratorINS9_11use_defaultEEEy11max_functorIyEyEEDaPvRmT3_T4_T5_mT6_P12ihipStream_tbENKUlT_T0_E_clISt17integral_constantIbLb0EESW_IbLb1EEEEDaSS_ST_EUlSS_E_NS1_11comp_targetILNS1_3genE9ELNS1_11target_archE1100ELNS1_3gpuE3ELNS1_3repE0EEENS1_30default_config_static_selectorELNS0_4arch9wavefront6targetE1EEEvT1_,"axG",@progbits,_ZN7rocprim17ROCPRIM_400000_NS6detail17trampoline_kernelINS0_14default_configENS1_20scan_config_selectorIyEEZZNS1_9scan_implILNS1_25lookback_scan_determinismE0ELb1ELb1ES3_N6thrust23THRUST_200600_302600_NS6detail15normal_iteratorINS9_10device_ptrIyEEEENS9_16discard_iteratorINS9_11use_defaultEEEy11max_functorIyEyEEDaPvRmT3_T4_T5_mT6_P12ihipStream_tbENKUlT_T0_E_clISt17integral_constantIbLb0EESW_IbLb1EEEEDaSS_ST_EUlSS_E_NS1_11comp_targetILNS1_3genE9ELNS1_11target_archE1100ELNS1_3gpuE3ELNS1_3repE0EEENS1_30default_config_static_selectorELNS0_4arch9wavefront6targetE1EEEvT1_,comdat
	.protected	_ZN7rocprim17ROCPRIM_400000_NS6detail17trampoline_kernelINS0_14default_configENS1_20scan_config_selectorIyEEZZNS1_9scan_implILNS1_25lookback_scan_determinismE0ELb1ELb1ES3_N6thrust23THRUST_200600_302600_NS6detail15normal_iteratorINS9_10device_ptrIyEEEENS9_16discard_iteratorINS9_11use_defaultEEEy11max_functorIyEyEEDaPvRmT3_T4_T5_mT6_P12ihipStream_tbENKUlT_T0_E_clISt17integral_constantIbLb0EESW_IbLb1EEEEDaSS_ST_EUlSS_E_NS1_11comp_targetILNS1_3genE9ELNS1_11target_archE1100ELNS1_3gpuE3ELNS1_3repE0EEENS1_30default_config_static_selectorELNS0_4arch9wavefront6targetE1EEEvT1_ ; -- Begin function _ZN7rocprim17ROCPRIM_400000_NS6detail17trampoline_kernelINS0_14default_configENS1_20scan_config_selectorIyEEZZNS1_9scan_implILNS1_25lookback_scan_determinismE0ELb1ELb1ES3_N6thrust23THRUST_200600_302600_NS6detail15normal_iteratorINS9_10device_ptrIyEEEENS9_16discard_iteratorINS9_11use_defaultEEEy11max_functorIyEyEEDaPvRmT3_T4_T5_mT6_P12ihipStream_tbENKUlT_T0_E_clISt17integral_constantIbLb0EESW_IbLb1EEEEDaSS_ST_EUlSS_E_NS1_11comp_targetILNS1_3genE9ELNS1_11target_archE1100ELNS1_3gpuE3ELNS1_3repE0EEENS1_30default_config_static_selectorELNS0_4arch9wavefront6targetE1EEEvT1_
	.globl	_ZN7rocprim17ROCPRIM_400000_NS6detail17trampoline_kernelINS0_14default_configENS1_20scan_config_selectorIyEEZZNS1_9scan_implILNS1_25lookback_scan_determinismE0ELb1ELb1ES3_N6thrust23THRUST_200600_302600_NS6detail15normal_iteratorINS9_10device_ptrIyEEEENS9_16discard_iteratorINS9_11use_defaultEEEy11max_functorIyEyEEDaPvRmT3_T4_T5_mT6_P12ihipStream_tbENKUlT_T0_E_clISt17integral_constantIbLb0EESW_IbLb1EEEEDaSS_ST_EUlSS_E_NS1_11comp_targetILNS1_3genE9ELNS1_11target_archE1100ELNS1_3gpuE3ELNS1_3repE0EEENS1_30default_config_static_selectorELNS0_4arch9wavefront6targetE1EEEvT1_
	.p2align	8
	.type	_ZN7rocprim17ROCPRIM_400000_NS6detail17trampoline_kernelINS0_14default_configENS1_20scan_config_selectorIyEEZZNS1_9scan_implILNS1_25lookback_scan_determinismE0ELb1ELb1ES3_N6thrust23THRUST_200600_302600_NS6detail15normal_iteratorINS9_10device_ptrIyEEEENS9_16discard_iteratorINS9_11use_defaultEEEy11max_functorIyEyEEDaPvRmT3_T4_T5_mT6_P12ihipStream_tbENKUlT_T0_E_clISt17integral_constantIbLb0EESW_IbLb1EEEEDaSS_ST_EUlSS_E_NS1_11comp_targetILNS1_3genE9ELNS1_11target_archE1100ELNS1_3gpuE3ELNS1_3repE0EEENS1_30default_config_static_selectorELNS0_4arch9wavefront6targetE1EEEvT1_,@function
_ZN7rocprim17ROCPRIM_400000_NS6detail17trampoline_kernelINS0_14default_configENS1_20scan_config_selectorIyEEZZNS1_9scan_implILNS1_25lookback_scan_determinismE0ELb1ELb1ES3_N6thrust23THRUST_200600_302600_NS6detail15normal_iteratorINS9_10device_ptrIyEEEENS9_16discard_iteratorINS9_11use_defaultEEEy11max_functorIyEyEEDaPvRmT3_T4_T5_mT6_P12ihipStream_tbENKUlT_T0_E_clISt17integral_constantIbLb0EESW_IbLb1EEEEDaSS_ST_EUlSS_E_NS1_11comp_targetILNS1_3genE9ELNS1_11target_archE1100ELNS1_3gpuE3ELNS1_3repE0EEENS1_30default_config_static_selectorELNS0_4arch9wavefront6targetE1EEEvT1_: ; @_ZN7rocprim17ROCPRIM_400000_NS6detail17trampoline_kernelINS0_14default_configENS1_20scan_config_selectorIyEEZZNS1_9scan_implILNS1_25lookback_scan_determinismE0ELb1ELb1ES3_N6thrust23THRUST_200600_302600_NS6detail15normal_iteratorINS9_10device_ptrIyEEEENS9_16discard_iteratorINS9_11use_defaultEEEy11max_functorIyEyEEDaPvRmT3_T4_T5_mT6_P12ihipStream_tbENKUlT_T0_E_clISt17integral_constantIbLb0EESW_IbLb1EEEEDaSS_ST_EUlSS_E_NS1_11comp_targetILNS1_3genE9ELNS1_11target_archE1100ELNS1_3gpuE3ELNS1_3repE0EEENS1_30default_config_static_selectorELNS0_4arch9wavefront6targetE1EEEvT1_
; %bb.0:
	.section	.rodata,"a",@progbits
	.p2align	6, 0x0
	.amdhsa_kernel _ZN7rocprim17ROCPRIM_400000_NS6detail17trampoline_kernelINS0_14default_configENS1_20scan_config_selectorIyEEZZNS1_9scan_implILNS1_25lookback_scan_determinismE0ELb1ELb1ES3_N6thrust23THRUST_200600_302600_NS6detail15normal_iteratorINS9_10device_ptrIyEEEENS9_16discard_iteratorINS9_11use_defaultEEEy11max_functorIyEyEEDaPvRmT3_T4_T5_mT6_P12ihipStream_tbENKUlT_T0_E_clISt17integral_constantIbLb0EESW_IbLb1EEEEDaSS_ST_EUlSS_E_NS1_11comp_targetILNS1_3genE9ELNS1_11target_archE1100ELNS1_3gpuE3ELNS1_3repE0EEENS1_30default_config_static_selectorELNS0_4arch9wavefront6targetE1EEEvT1_
		.amdhsa_group_segment_fixed_size 0
		.amdhsa_private_segment_fixed_size 0
		.amdhsa_kernarg_size 112
		.amdhsa_user_sgpr_count 6
		.amdhsa_user_sgpr_private_segment_buffer 1
		.amdhsa_user_sgpr_dispatch_ptr 0
		.amdhsa_user_sgpr_queue_ptr 0
		.amdhsa_user_sgpr_kernarg_segment_ptr 1
		.amdhsa_user_sgpr_dispatch_id 0
		.amdhsa_user_sgpr_flat_scratch_init 0
		.amdhsa_user_sgpr_kernarg_preload_length 0
		.amdhsa_user_sgpr_kernarg_preload_offset 0
		.amdhsa_user_sgpr_private_segment_size 0
		.amdhsa_uses_dynamic_stack 0
		.amdhsa_system_sgpr_private_segment_wavefront_offset 0
		.amdhsa_system_sgpr_workgroup_id_x 1
		.amdhsa_system_sgpr_workgroup_id_y 0
		.amdhsa_system_sgpr_workgroup_id_z 0
		.amdhsa_system_sgpr_workgroup_info 0
		.amdhsa_system_vgpr_workitem_id 0
		.amdhsa_next_free_vgpr 1
		.amdhsa_next_free_sgpr 0
		.amdhsa_accum_offset 4
		.amdhsa_reserve_vcc 0
		.amdhsa_reserve_flat_scratch 0
		.amdhsa_float_round_mode_32 0
		.amdhsa_float_round_mode_16_64 0
		.amdhsa_float_denorm_mode_32 3
		.amdhsa_float_denorm_mode_16_64 3
		.amdhsa_dx10_clamp 1
		.amdhsa_ieee_mode 1
		.amdhsa_fp16_overflow 0
		.amdhsa_tg_split 0
		.amdhsa_exception_fp_ieee_invalid_op 0
		.amdhsa_exception_fp_denorm_src 0
		.amdhsa_exception_fp_ieee_div_zero 0
		.amdhsa_exception_fp_ieee_overflow 0
		.amdhsa_exception_fp_ieee_underflow 0
		.amdhsa_exception_fp_ieee_inexact 0
		.amdhsa_exception_int_div_zero 0
	.end_amdhsa_kernel
	.section	.text._ZN7rocprim17ROCPRIM_400000_NS6detail17trampoline_kernelINS0_14default_configENS1_20scan_config_selectorIyEEZZNS1_9scan_implILNS1_25lookback_scan_determinismE0ELb1ELb1ES3_N6thrust23THRUST_200600_302600_NS6detail15normal_iteratorINS9_10device_ptrIyEEEENS9_16discard_iteratorINS9_11use_defaultEEEy11max_functorIyEyEEDaPvRmT3_T4_T5_mT6_P12ihipStream_tbENKUlT_T0_E_clISt17integral_constantIbLb0EESW_IbLb1EEEEDaSS_ST_EUlSS_E_NS1_11comp_targetILNS1_3genE9ELNS1_11target_archE1100ELNS1_3gpuE3ELNS1_3repE0EEENS1_30default_config_static_selectorELNS0_4arch9wavefront6targetE1EEEvT1_,"axG",@progbits,_ZN7rocprim17ROCPRIM_400000_NS6detail17trampoline_kernelINS0_14default_configENS1_20scan_config_selectorIyEEZZNS1_9scan_implILNS1_25lookback_scan_determinismE0ELb1ELb1ES3_N6thrust23THRUST_200600_302600_NS6detail15normal_iteratorINS9_10device_ptrIyEEEENS9_16discard_iteratorINS9_11use_defaultEEEy11max_functorIyEyEEDaPvRmT3_T4_T5_mT6_P12ihipStream_tbENKUlT_T0_E_clISt17integral_constantIbLb0EESW_IbLb1EEEEDaSS_ST_EUlSS_E_NS1_11comp_targetILNS1_3genE9ELNS1_11target_archE1100ELNS1_3gpuE3ELNS1_3repE0EEENS1_30default_config_static_selectorELNS0_4arch9wavefront6targetE1EEEvT1_,comdat
.Lfunc_end3411:
	.size	_ZN7rocprim17ROCPRIM_400000_NS6detail17trampoline_kernelINS0_14default_configENS1_20scan_config_selectorIyEEZZNS1_9scan_implILNS1_25lookback_scan_determinismE0ELb1ELb1ES3_N6thrust23THRUST_200600_302600_NS6detail15normal_iteratorINS9_10device_ptrIyEEEENS9_16discard_iteratorINS9_11use_defaultEEEy11max_functorIyEyEEDaPvRmT3_T4_T5_mT6_P12ihipStream_tbENKUlT_T0_E_clISt17integral_constantIbLb0EESW_IbLb1EEEEDaSS_ST_EUlSS_E_NS1_11comp_targetILNS1_3genE9ELNS1_11target_archE1100ELNS1_3gpuE3ELNS1_3repE0EEENS1_30default_config_static_selectorELNS0_4arch9wavefront6targetE1EEEvT1_, .Lfunc_end3411-_ZN7rocprim17ROCPRIM_400000_NS6detail17trampoline_kernelINS0_14default_configENS1_20scan_config_selectorIyEEZZNS1_9scan_implILNS1_25lookback_scan_determinismE0ELb1ELb1ES3_N6thrust23THRUST_200600_302600_NS6detail15normal_iteratorINS9_10device_ptrIyEEEENS9_16discard_iteratorINS9_11use_defaultEEEy11max_functorIyEyEEDaPvRmT3_T4_T5_mT6_P12ihipStream_tbENKUlT_T0_E_clISt17integral_constantIbLb0EESW_IbLb1EEEEDaSS_ST_EUlSS_E_NS1_11comp_targetILNS1_3genE9ELNS1_11target_archE1100ELNS1_3gpuE3ELNS1_3repE0EEENS1_30default_config_static_selectorELNS0_4arch9wavefront6targetE1EEEvT1_
                                        ; -- End function
	.section	.AMDGPU.csdata,"",@progbits
; Kernel info:
; codeLenInByte = 0
; NumSgprs: 4
; NumVgprs: 0
; NumAgprs: 0
; TotalNumVgprs: 0
; ScratchSize: 0
; MemoryBound: 0
; FloatMode: 240
; IeeeMode: 1
; LDSByteSize: 0 bytes/workgroup (compile time only)
; SGPRBlocks: 0
; VGPRBlocks: 0
; NumSGPRsForWavesPerEU: 4
; NumVGPRsForWavesPerEU: 1
; AccumOffset: 4
; Occupancy: 8
; WaveLimiterHint : 0
; COMPUTE_PGM_RSRC2:SCRATCH_EN: 0
; COMPUTE_PGM_RSRC2:USER_SGPR: 6
; COMPUTE_PGM_RSRC2:TRAP_HANDLER: 0
; COMPUTE_PGM_RSRC2:TGID_X_EN: 1
; COMPUTE_PGM_RSRC2:TGID_Y_EN: 0
; COMPUTE_PGM_RSRC2:TGID_Z_EN: 0
; COMPUTE_PGM_RSRC2:TIDIG_COMP_CNT: 0
; COMPUTE_PGM_RSRC3_GFX90A:ACCUM_OFFSET: 0
; COMPUTE_PGM_RSRC3_GFX90A:TG_SPLIT: 0
	.section	.text._ZN7rocprim17ROCPRIM_400000_NS6detail17trampoline_kernelINS0_14default_configENS1_20scan_config_selectorIyEEZZNS1_9scan_implILNS1_25lookback_scan_determinismE0ELb1ELb1ES3_N6thrust23THRUST_200600_302600_NS6detail15normal_iteratorINS9_10device_ptrIyEEEENS9_16discard_iteratorINS9_11use_defaultEEEy11max_functorIyEyEEDaPvRmT3_T4_T5_mT6_P12ihipStream_tbENKUlT_T0_E_clISt17integral_constantIbLb0EESW_IbLb1EEEEDaSS_ST_EUlSS_E_NS1_11comp_targetILNS1_3genE8ELNS1_11target_archE1030ELNS1_3gpuE2ELNS1_3repE0EEENS1_30default_config_static_selectorELNS0_4arch9wavefront6targetE1EEEvT1_,"axG",@progbits,_ZN7rocprim17ROCPRIM_400000_NS6detail17trampoline_kernelINS0_14default_configENS1_20scan_config_selectorIyEEZZNS1_9scan_implILNS1_25lookback_scan_determinismE0ELb1ELb1ES3_N6thrust23THRUST_200600_302600_NS6detail15normal_iteratorINS9_10device_ptrIyEEEENS9_16discard_iteratorINS9_11use_defaultEEEy11max_functorIyEyEEDaPvRmT3_T4_T5_mT6_P12ihipStream_tbENKUlT_T0_E_clISt17integral_constantIbLb0EESW_IbLb1EEEEDaSS_ST_EUlSS_E_NS1_11comp_targetILNS1_3genE8ELNS1_11target_archE1030ELNS1_3gpuE2ELNS1_3repE0EEENS1_30default_config_static_selectorELNS0_4arch9wavefront6targetE1EEEvT1_,comdat
	.protected	_ZN7rocprim17ROCPRIM_400000_NS6detail17trampoline_kernelINS0_14default_configENS1_20scan_config_selectorIyEEZZNS1_9scan_implILNS1_25lookback_scan_determinismE0ELb1ELb1ES3_N6thrust23THRUST_200600_302600_NS6detail15normal_iteratorINS9_10device_ptrIyEEEENS9_16discard_iteratorINS9_11use_defaultEEEy11max_functorIyEyEEDaPvRmT3_T4_T5_mT6_P12ihipStream_tbENKUlT_T0_E_clISt17integral_constantIbLb0EESW_IbLb1EEEEDaSS_ST_EUlSS_E_NS1_11comp_targetILNS1_3genE8ELNS1_11target_archE1030ELNS1_3gpuE2ELNS1_3repE0EEENS1_30default_config_static_selectorELNS0_4arch9wavefront6targetE1EEEvT1_ ; -- Begin function _ZN7rocprim17ROCPRIM_400000_NS6detail17trampoline_kernelINS0_14default_configENS1_20scan_config_selectorIyEEZZNS1_9scan_implILNS1_25lookback_scan_determinismE0ELb1ELb1ES3_N6thrust23THRUST_200600_302600_NS6detail15normal_iteratorINS9_10device_ptrIyEEEENS9_16discard_iteratorINS9_11use_defaultEEEy11max_functorIyEyEEDaPvRmT3_T4_T5_mT6_P12ihipStream_tbENKUlT_T0_E_clISt17integral_constantIbLb0EESW_IbLb1EEEEDaSS_ST_EUlSS_E_NS1_11comp_targetILNS1_3genE8ELNS1_11target_archE1030ELNS1_3gpuE2ELNS1_3repE0EEENS1_30default_config_static_selectorELNS0_4arch9wavefront6targetE1EEEvT1_
	.globl	_ZN7rocprim17ROCPRIM_400000_NS6detail17trampoline_kernelINS0_14default_configENS1_20scan_config_selectorIyEEZZNS1_9scan_implILNS1_25lookback_scan_determinismE0ELb1ELb1ES3_N6thrust23THRUST_200600_302600_NS6detail15normal_iteratorINS9_10device_ptrIyEEEENS9_16discard_iteratorINS9_11use_defaultEEEy11max_functorIyEyEEDaPvRmT3_T4_T5_mT6_P12ihipStream_tbENKUlT_T0_E_clISt17integral_constantIbLb0EESW_IbLb1EEEEDaSS_ST_EUlSS_E_NS1_11comp_targetILNS1_3genE8ELNS1_11target_archE1030ELNS1_3gpuE2ELNS1_3repE0EEENS1_30default_config_static_selectorELNS0_4arch9wavefront6targetE1EEEvT1_
	.p2align	8
	.type	_ZN7rocprim17ROCPRIM_400000_NS6detail17trampoline_kernelINS0_14default_configENS1_20scan_config_selectorIyEEZZNS1_9scan_implILNS1_25lookback_scan_determinismE0ELb1ELb1ES3_N6thrust23THRUST_200600_302600_NS6detail15normal_iteratorINS9_10device_ptrIyEEEENS9_16discard_iteratorINS9_11use_defaultEEEy11max_functorIyEyEEDaPvRmT3_T4_T5_mT6_P12ihipStream_tbENKUlT_T0_E_clISt17integral_constantIbLb0EESW_IbLb1EEEEDaSS_ST_EUlSS_E_NS1_11comp_targetILNS1_3genE8ELNS1_11target_archE1030ELNS1_3gpuE2ELNS1_3repE0EEENS1_30default_config_static_selectorELNS0_4arch9wavefront6targetE1EEEvT1_,@function
_ZN7rocprim17ROCPRIM_400000_NS6detail17trampoline_kernelINS0_14default_configENS1_20scan_config_selectorIyEEZZNS1_9scan_implILNS1_25lookback_scan_determinismE0ELb1ELb1ES3_N6thrust23THRUST_200600_302600_NS6detail15normal_iteratorINS9_10device_ptrIyEEEENS9_16discard_iteratorINS9_11use_defaultEEEy11max_functorIyEyEEDaPvRmT3_T4_T5_mT6_P12ihipStream_tbENKUlT_T0_E_clISt17integral_constantIbLb0EESW_IbLb1EEEEDaSS_ST_EUlSS_E_NS1_11comp_targetILNS1_3genE8ELNS1_11target_archE1030ELNS1_3gpuE2ELNS1_3repE0EEENS1_30default_config_static_selectorELNS0_4arch9wavefront6targetE1EEEvT1_: ; @_ZN7rocprim17ROCPRIM_400000_NS6detail17trampoline_kernelINS0_14default_configENS1_20scan_config_selectorIyEEZZNS1_9scan_implILNS1_25lookback_scan_determinismE0ELb1ELb1ES3_N6thrust23THRUST_200600_302600_NS6detail15normal_iteratorINS9_10device_ptrIyEEEENS9_16discard_iteratorINS9_11use_defaultEEEy11max_functorIyEyEEDaPvRmT3_T4_T5_mT6_P12ihipStream_tbENKUlT_T0_E_clISt17integral_constantIbLb0EESW_IbLb1EEEEDaSS_ST_EUlSS_E_NS1_11comp_targetILNS1_3genE8ELNS1_11target_archE1030ELNS1_3gpuE2ELNS1_3repE0EEENS1_30default_config_static_selectorELNS0_4arch9wavefront6targetE1EEEvT1_
; %bb.0:
	.section	.rodata,"a",@progbits
	.p2align	6, 0x0
	.amdhsa_kernel _ZN7rocprim17ROCPRIM_400000_NS6detail17trampoline_kernelINS0_14default_configENS1_20scan_config_selectorIyEEZZNS1_9scan_implILNS1_25lookback_scan_determinismE0ELb1ELb1ES3_N6thrust23THRUST_200600_302600_NS6detail15normal_iteratorINS9_10device_ptrIyEEEENS9_16discard_iteratorINS9_11use_defaultEEEy11max_functorIyEyEEDaPvRmT3_T4_T5_mT6_P12ihipStream_tbENKUlT_T0_E_clISt17integral_constantIbLb0EESW_IbLb1EEEEDaSS_ST_EUlSS_E_NS1_11comp_targetILNS1_3genE8ELNS1_11target_archE1030ELNS1_3gpuE2ELNS1_3repE0EEENS1_30default_config_static_selectorELNS0_4arch9wavefront6targetE1EEEvT1_
		.amdhsa_group_segment_fixed_size 0
		.amdhsa_private_segment_fixed_size 0
		.amdhsa_kernarg_size 112
		.amdhsa_user_sgpr_count 6
		.amdhsa_user_sgpr_private_segment_buffer 1
		.amdhsa_user_sgpr_dispatch_ptr 0
		.amdhsa_user_sgpr_queue_ptr 0
		.amdhsa_user_sgpr_kernarg_segment_ptr 1
		.amdhsa_user_sgpr_dispatch_id 0
		.amdhsa_user_sgpr_flat_scratch_init 0
		.amdhsa_user_sgpr_kernarg_preload_length 0
		.amdhsa_user_sgpr_kernarg_preload_offset 0
		.amdhsa_user_sgpr_private_segment_size 0
		.amdhsa_uses_dynamic_stack 0
		.amdhsa_system_sgpr_private_segment_wavefront_offset 0
		.amdhsa_system_sgpr_workgroup_id_x 1
		.amdhsa_system_sgpr_workgroup_id_y 0
		.amdhsa_system_sgpr_workgroup_id_z 0
		.amdhsa_system_sgpr_workgroup_info 0
		.amdhsa_system_vgpr_workitem_id 0
		.amdhsa_next_free_vgpr 1
		.amdhsa_next_free_sgpr 0
		.amdhsa_accum_offset 4
		.amdhsa_reserve_vcc 0
		.amdhsa_reserve_flat_scratch 0
		.amdhsa_float_round_mode_32 0
		.amdhsa_float_round_mode_16_64 0
		.amdhsa_float_denorm_mode_32 3
		.amdhsa_float_denorm_mode_16_64 3
		.amdhsa_dx10_clamp 1
		.amdhsa_ieee_mode 1
		.amdhsa_fp16_overflow 0
		.amdhsa_tg_split 0
		.amdhsa_exception_fp_ieee_invalid_op 0
		.amdhsa_exception_fp_denorm_src 0
		.amdhsa_exception_fp_ieee_div_zero 0
		.amdhsa_exception_fp_ieee_overflow 0
		.amdhsa_exception_fp_ieee_underflow 0
		.amdhsa_exception_fp_ieee_inexact 0
		.amdhsa_exception_int_div_zero 0
	.end_amdhsa_kernel
	.section	.text._ZN7rocprim17ROCPRIM_400000_NS6detail17trampoline_kernelINS0_14default_configENS1_20scan_config_selectorIyEEZZNS1_9scan_implILNS1_25lookback_scan_determinismE0ELb1ELb1ES3_N6thrust23THRUST_200600_302600_NS6detail15normal_iteratorINS9_10device_ptrIyEEEENS9_16discard_iteratorINS9_11use_defaultEEEy11max_functorIyEyEEDaPvRmT3_T4_T5_mT6_P12ihipStream_tbENKUlT_T0_E_clISt17integral_constantIbLb0EESW_IbLb1EEEEDaSS_ST_EUlSS_E_NS1_11comp_targetILNS1_3genE8ELNS1_11target_archE1030ELNS1_3gpuE2ELNS1_3repE0EEENS1_30default_config_static_selectorELNS0_4arch9wavefront6targetE1EEEvT1_,"axG",@progbits,_ZN7rocprim17ROCPRIM_400000_NS6detail17trampoline_kernelINS0_14default_configENS1_20scan_config_selectorIyEEZZNS1_9scan_implILNS1_25lookback_scan_determinismE0ELb1ELb1ES3_N6thrust23THRUST_200600_302600_NS6detail15normal_iteratorINS9_10device_ptrIyEEEENS9_16discard_iteratorINS9_11use_defaultEEEy11max_functorIyEyEEDaPvRmT3_T4_T5_mT6_P12ihipStream_tbENKUlT_T0_E_clISt17integral_constantIbLb0EESW_IbLb1EEEEDaSS_ST_EUlSS_E_NS1_11comp_targetILNS1_3genE8ELNS1_11target_archE1030ELNS1_3gpuE2ELNS1_3repE0EEENS1_30default_config_static_selectorELNS0_4arch9wavefront6targetE1EEEvT1_,comdat
.Lfunc_end3412:
	.size	_ZN7rocprim17ROCPRIM_400000_NS6detail17trampoline_kernelINS0_14default_configENS1_20scan_config_selectorIyEEZZNS1_9scan_implILNS1_25lookback_scan_determinismE0ELb1ELb1ES3_N6thrust23THRUST_200600_302600_NS6detail15normal_iteratorINS9_10device_ptrIyEEEENS9_16discard_iteratorINS9_11use_defaultEEEy11max_functorIyEyEEDaPvRmT3_T4_T5_mT6_P12ihipStream_tbENKUlT_T0_E_clISt17integral_constantIbLb0EESW_IbLb1EEEEDaSS_ST_EUlSS_E_NS1_11comp_targetILNS1_3genE8ELNS1_11target_archE1030ELNS1_3gpuE2ELNS1_3repE0EEENS1_30default_config_static_selectorELNS0_4arch9wavefront6targetE1EEEvT1_, .Lfunc_end3412-_ZN7rocprim17ROCPRIM_400000_NS6detail17trampoline_kernelINS0_14default_configENS1_20scan_config_selectorIyEEZZNS1_9scan_implILNS1_25lookback_scan_determinismE0ELb1ELb1ES3_N6thrust23THRUST_200600_302600_NS6detail15normal_iteratorINS9_10device_ptrIyEEEENS9_16discard_iteratorINS9_11use_defaultEEEy11max_functorIyEyEEDaPvRmT3_T4_T5_mT6_P12ihipStream_tbENKUlT_T0_E_clISt17integral_constantIbLb0EESW_IbLb1EEEEDaSS_ST_EUlSS_E_NS1_11comp_targetILNS1_3genE8ELNS1_11target_archE1030ELNS1_3gpuE2ELNS1_3repE0EEENS1_30default_config_static_selectorELNS0_4arch9wavefront6targetE1EEEvT1_
                                        ; -- End function
	.section	.AMDGPU.csdata,"",@progbits
; Kernel info:
; codeLenInByte = 0
; NumSgprs: 4
; NumVgprs: 0
; NumAgprs: 0
; TotalNumVgprs: 0
; ScratchSize: 0
; MemoryBound: 0
; FloatMode: 240
; IeeeMode: 1
; LDSByteSize: 0 bytes/workgroup (compile time only)
; SGPRBlocks: 0
; VGPRBlocks: 0
; NumSGPRsForWavesPerEU: 4
; NumVGPRsForWavesPerEU: 1
; AccumOffset: 4
; Occupancy: 8
; WaveLimiterHint : 0
; COMPUTE_PGM_RSRC2:SCRATCH_EN: 0
; COMPUTE_PGM_RSRC2:USER_SGPR: 6
; COMPUTE_PGM_RSRC2:TRAP_HANDLER: 0
; COMPUTE_PGM_RSRC2:TGID_X_EN: 1
; COMPUTE_PGM_RSRC2:TGID_Y_EN: 0
; COMPUTE_PGM_RSRC2:TGID_Z_EN: 0
; COMPUTE_PGM_RSRC2:TIDIG_COMP_CNT: 0
; COMPUTE_PGM_RSRC3_GFX90A:ACCUM_OFFSET: 0
; COMPUTE_PGM_RSRC3_GFX90A:TG_SPLIT: 0
	.section	.text._ZN7rocprim17ROCPRIM_400000_NS6detail17trampoline_kernelINS0_14default_configENS1_20scan_config_selectorIyEEZZNS1_9scan_implILNS1_25lookback_scan_determinismE0ELb1ELb1ES3_N6thrust23THRUST_200600_302600_NS6detail15normal_iteratorINS9_10device_ptrIyEEEENS9_16discard_iteratorINS9_11use_defaultEEEy11max_functorIyEyEEDaPvRmT3_T4_T5_mT6_P12ihipStream_tbENKUlT_T0_E_clISt17integral_constantIbLb0EESW_IbLb1EEEEDaSS_ST_EUlSS_E0_NS1_11comp_targetILNS1_3genE0ELNS1_11target_archE4294967295ELNS1_3gpuE0ELNS1_3repE0EEENS1_30default_config_static_selectorELNS0_4arch9wavefront6targetE1EEEvT1_,"axG",@progbits,_ZN7rocprim17ROCPRIM_400000_NS6detail17trampoline_kernelINS0_14default_configENS1_20scan_config_selectorIyEEZZNS1_9scan_implILNS1_25lookback_scan_determinismE0ELb1ELb1ES3_N6thrust23THRUST_200600_302600_NS6detail15normal_iteratorINS9_10device_ptrIyEEEENS9_16discard_iteratorINS9_11use_defaultEEEy11max_functorIyEyEEDaPvRmT3_T4_T5_mT6_P12ihipStream_tbENKUlT_T0_E_clISt17integral_constantIbLb0EESW_IbLb1EEEEDaSS_ST_EUlSS_E0_NS1_11comp_targetILNS1_3genE0ELNS1_11target_archE4294967295ELNS1_3gpuE0ELNS1_3repE0EEENS1_30default_config_static_selectorELNS0_4arch9wavefront6targetE1EEEvT1_,comdat
	.protected	_ZN7rocprim17ROCPRIM_400000_NS6detail17trampoline_kernelINS0_14default_configENS1_20scan_config_selectorIyEEZZNS1_9scan_implILNS1_25lookback_scan_determinismE0ELb1ELb1ES3_N6thrust23THRUST_200600_302600_NS6detail15normal_iteratorINS9_10device_ptrIyEEEENS9_16discard_iteratorINS9_11use_defaultEEEy11max_functorIyEyEEDaPvRmT3_T4_T5_mT6_P12ihipStream_tbENKUlT_T0_E_clISt17integral_constantIbLb0EESW_IbLb1EEEEDaSS_ST_EUlSS_E0_NS1_11comp_targetILNS1_3genE0ELNS1_11target_archE4294967295ELNS1_3gpuE0ELNS1_3repE0EEENS1_30default_config_static_selectorELNS0_4arch9wavefront6targetE1EEEvT1_ ; -- Begin function _ZN7rocprim17ROCPRIM_400000_NS6detail17trampoline_kernelINS0_14default_configENS1_20scan_config_selectorIyEEZZNS1_9scan_implILNS1_25lookback_scan_determinismE0ELb1ELb1ES3_N6thrust23THRUST_200600_302600_NS6detail15normal_iteratorINS9_10device_ptrIyEEEENS9_16discard_iteratorINS9_11use_defaultEEEy11max_functorIyEyEEDaPvRmT3_T4_T5_mT6_P12ihipStream_tbENKUlT_T0_E_clISt17integral_constantIbLb0EESW_IbLb1EEEEDaSS_ST_EUlSS_E0_NS1_11comp_targetILNS1_3genE0ELNS1_11target_archE4294967295ELNS1_3gpuE0ELNS1_3repE0EEENS1_30default_config_static_selectorELNS0_4arch9wavefront6targetE1EEEvT1_
	.globl	_ZN7rocprim17ROCPRIM_400000_NS6detail17trampoline_kernelINS0_14default_configENS1_20scan_config_selectorIyEEZZNS1_9scan_implILNS1_25lookback_scan_determinismE0ELb1ELb1ES3_N6thrust23THRUST_200600_302600_NS6detail15normal_iteratorINS9_10device_ptrIyEEEENS9_16discard_iteratorINS9_11use_defaultEEEy11max_functorIyEyEEDaPvRmT3_T4_T5_mT6_P12ihipStream_tbENKUlT_T0_E_clISt17integral_constantIbLb0EESW_IbLb1EEEEDaSS_ST_EUlSS_E0_NS1_11comp_targetILNS1_3genE0ELNS1_11target_archE4294967295ELNS1_3gpuE0ELNS1_3repE0EEENS1_30default_config_static_selectorELNS0_4arch9wavefront6targetE1EEEvT1_
	.p2align	8
	.type	_ZN7rocprim17ROCPRIM_400000_NS6detail17trampoline_kernelINS0_14default_configENS1_20scan_config_selectorIyEEZZNS1_9scan_implILNS1_25lookback_scan_determinismE0ELb1ELb1ES3_N6thrust23THRUST_200600_302600_NS6detail15normal_iteratorINS9_10device_ptrIyEEEENS9_16discard_iteratorINS9_11use_defaultEEEy11max_functorIyEyEEDaPvRmT3_T4_T5_mT6_P12ihipStream_tbENKUlT_T0_E_clISt17integral_constantIbLb0EESW_IbLb1EEEEDaSS_ST_EUlSS_E0_NS1_11comp_targetILNS1_3genE0ELNS1_11target_archE4294967295ELNS1_3gpuE0ELNS1_3repE0EEENS1_30default_config_static_selectorELNS0_4arch9wavefront6targetE1EEEvT1_,@function
_ZN7rocprim17ROCPRIM_400000_NS6detail17trampoline_kernelINS0_14default_configENS1_20scan_config_selectorIyEEZZNS1_9scan_implILNS1_25lookback_scan_determinismE0ELb1ELb1ES3_N6thrust23THRUST_200600_302600_NS6detail15normal_iteratorINS9_10device_ptrIyEEEENS9_16discard_iteratorINS9_11use_defaultEEEy11max_functorIyEyEEDaPvRmT3_T4_T5_mT6_P12ihipStream_tbENKUlT_T0_E_clISt17integral_constantIbLb0EESW_IbLb1EEEEDaSS_ST_EUlSS_E0_NS1_11comp_targetILNS1_3genE0ELNS1_11target_archE4294967295ELNS1_3gpuE0ELNS1_3repE0EEENS1_30default_config_static_selectorELNS0_4arch9wavefront6targetE1EEEvT1_: ; @_ZN7rocprim17ROCPRIM_400000_NS6detail17trampoline_kernelINS0_14default_configENS1_20scan_config_selectorIyEEZZNS1_9scan_implILNS1_25lookback_scan_determinismE0ELb1ELb1ES3_N6thrust23THRUST_200600_302600_NS6detail15normal_iteratorINS9_10device_ptrIyEEEENS9_16discard_iteratorINS9_11use_defaultEEEy11max_functorIyEyEEDaPvRmT3_T4_T5_mT6_P12ihipStream_tbENKUlT_T0_E_clISt17integral_constantIbLb0EESW_IbLb1EEEEDaSS_ST_EUlSS_E0_NS1_11comp_targetILNS1_3genE0ELNS1_11target_archE4294967295ELNS1_3gpuE0ELNS1_3repE0EEENS1_30default_config_static_selectorELNS0_4arch9wavefront6targetE1EEEvT1_
; %bb.0:
	.section	.rodata,"a",@progbits
	.p2align	6, 0x0
	.amdhsa_kernel _ZN7rocprim17ROCPRIM_400000_NS6detail17trampoline_kernelINS0_14default_configENS1_20scan_config_selectorIyEEZZNS1_9scan_implILNS1_25lookback_scan_determinismE0ELb1ELb1ES3_N6thrust23THRUST_200600_302600_NS6detail15normal_iteratorINS9_10device_ptrIyEEEENS9_16discard_iteratorINS9_11use_defaultEEEy11max_functorIyEyEEDaPvRmT3_T4_T5_mT6_P12ihipStream_tbENKUlT_T0_E_clISt17integral_constantIbLb0EESW_IbLb1EEEEDaSS_ST_EUlSS_E0_NS1_11comp_targetILNS1_3genE0ELNS1_11target_archE4294967295ELNS1_3gpuE0ELNS1_3repE0EEENS1_30default_config_static_selectorELNS0_4arch9wavefront6targetE1EEEvT1_
		.amdhsa_group_segment_fixed_size 0
		.amdhsa_private_segment_fixed_size 0
		.amdhsa_kernarg_size 48
		.amdhsa_user_sgpr_count 6
		.amdhsa_user_sgpr_private_segment_buffer 1
		.amdhsa_user_sgpr_dispatch_ptr 0
		.amdhsa_user_sgpr_queue_ptr 0
		.amdhsa_user_sgpr_kernarg_segment_ptr 1
		.amdhsa_user_sgpr_dispatch_id 0
		.amdhsa_user_sgpr_flat_scratch_init 0
		.amdhsa_user_sgpr_kernarg_preload_length 0
		.amdhsa_user_sgpr_kernarg_preload_offset 0
		.amdhsa_user_sgpr_private_segment_size 0
		.amdhsa_uses_dynamic_stack 0
		.amdhsa_system_sgpr_private_segment_wavefront_offset 0
		.amdhsa_system_sgpr_workgroup_id_x 1
		.amdhsa_system_sgpr_workgroup_id_y 0
		.amdhsa_system_sgpr_workgroup_id_z 0
		.amdhsa_system_sgpr_workgroup_info 0
		.amdhsa_system_vgpr_workitem_id 0
		.amdhsa_next_free_vgpr 1
		.amdhsa_next_free_sgpr 0
		.amdhsa_accum_offset 4
		.amdhsa_reserve_vcc 0
		.amdhsa_reserve_flat_scratch 0
		.amdhsa_float_round_mode_32 0
		.amdhsa_float_round_mode_16_64 0
		.amdhsa_float_denorm_mode_32 3
		.amdhsa_float_denorm_mode_16_64 3
		.amdhsa_dx10_clamp 1
		.amdhsa_ieee_mode 1
		.amdhsa_fp16_overflow 0
		.amdhsa_tg_split 0
		.amdhsa_exception_fp_ieee_invalid_op 0
		.amdhsa_exception_fp_denorm_src 0
		.amdhsa_exception_fp_ieee_div_zero 0
		.amdhsa_exception_fp_ieee_overflow 0
		.amdhsa_exception_fp_ieee_underflow 0
		.amdhsa_exception_fp_ieee_inexact 0
		.amdhsa_exception_int_div_zero 0
	.end_amdhsa_kernel
	.section	.text._ZN7rocprim17ROCPRIM_400000_NS6detail17trampoline_kernelINS0_14default_configENS1_20scan_config_selectorIyEEZZNS1_9scan_implILNS1_25lookback_scan_determinismE0ELb1ELb1ES3_N6thrust23THRUST_200600_302600_NS6detail15normal_iteratorINS9_10device_ptrIyEEEENS9_16discard_iteratorINS9_11use_defaultEEEy11max_functorIyEyEEDaPvRmT3_T4_T5_mT6_P12ihipStream_tbENKUlT_T0_E_clISt17integral_constantIbLb0EESW_IbLb1EEEEDaSS_ST_EUlSS_E0_NS1_11comp_targetILNS1_3genE0ELNS1_11target_archE4294967295ELNS1_3gpuE0ELNS1_3repE0EEENS1_30default_config_static_selectorELNS0_4arch9wavefront6targetE1EEEvT1_,"axG",@progbits,_ZN7rocprim17ROCPRIM_400000_NS6detail17trampoline_kernelINS0_14default_configENS1_20scan_config_selectorIyEEZZNS1_9scan_implILNS1_25lookback_scan_determinismE0ELb1ELb1ES3_N6thrust23THRUST_200600_302600_NS6detail15normal_iteratorINS9_10device_ptrIyEEEENS9_16discard_iteratorINS9_11use_defaultEEEy11max_functorIyEyEEDaPvRmT3_T4_T5_mT6_P12ihipStream_tbENKUlT_T0_E_clISt17integral_constantIbLb0EESW_IbLb1EEEEDaSS_ST_EUlSS_E0_NS1_11comp_targetILNS1_3genE0ELNS1_11target_archE4294967295ELNS1_3gpuE0ELNS1_3repE0EEENS1_30default_config_static_selectorELNS0_4arch9wavefront6targetE1EEEvT1_,comdat
.Lfunc_end3413:
	.size	_ZN7rocprim17ROCPRIM_400000_NS6detail17trampoline_kernelINS0_14default_configENS1_20scan_config_selectorIyEEZZNS1_9scan_implILNS1_25lookback_scan_determinismE0ELb1ELb1ES3_N6thrust23THRUST_200600_302600_NS6detail15normal_iteratorINS9_10device_ptrIyEEEENS9_16discard_iteratorINS9_11use_defaultEEEy11max_functorIyEyEEDaPvRmT3_T4_T5_mT6_P12ihipStream_tbENKUlT_T0_E_clISt17integral_constantIbLb0EESW_IbLb1EEEEDaSS_ST_EUlSS_E0_NS1_11comp_targetILNS1_3genE0ELNS1_11target_archE4294967295ELNS1_3gpuE0ELNS1_3repE0EEENS1_30default_config_static_selectorELNS0_4arch9wavefront6targetE1EEEvT1_, .Lfunc_end3413-_ZN7rocprim17ROCPRIM_400000_NS6detail17trampoline_kernelINS0_14default_configENS1_20scan_config_selectorIyEEZZNS1_9scan_implILNS1_25lookback_scan_determinismE0ELb1ELb1ES3_N6thrust23THRUST_200600_302600_NS6detail15normal_iteratorINS9_10device_ptrIyEEEENS9_16discard_iteratorINS9_11use_defaultEEEy11max_functorIyEyEEDaPvRmT3_T4_T5_mT6_P12ihipStream_tbENKUlT_T0_E_clISt17integral_constantIbLb0EESW_IbLb1EEEEDaSS_ST_EUlSS_E0_NS1_11comp_targetILNS1_3genE0ELNS1_11target_archE4294967295ELNS1_3gpuE0ELNS1_3repE0EEENS1_30default_config_static_selectorELNS0_4arch9wavefront6targetE1EEEvT1_
                                        ; -- End function
	.section	.AMDGPU.csdata,"",@progbits
; Kernel info:
; codeLenInByte = 0
; NumSgprs: 4
; NumVgprs: 0
; NumAgprs: 0
; TotalNumVgprs: 0
; ScratchSize: 0
; MemoryBound: 0
; FloatMode: 240
; IeeeMode: 1
; LDSByteSize: 0 bytes/workgroup (compile time only)
; SGPRBlocks: 0
; VGPRBlocks: 0
; NumSGPRsForWavesPerEU: 4
; NumVGPRsForWavesPerEU: 1
; AccumOffset: 4
; Occupancy: 8
; WaveLimiterHint : 0
; COMPUTE_PGM_RSRC2:SCRATCH_EN: 0
; COMPUTE_PGM_RSRC2:USER_SGPR: 6
; COMPUTE_PGM_RSRC2:TRAP_HANDLER: 0
; COMPUTE_PGM_RSRC2:TGID_X_EN: 1
; COMPUTE_PGM_RSRC2:TGID_Y_EN: 0
; COMPUTE_PGM_RSRC2:TGID_Z_EN: 0
; COMPUTE_PGM_RSRC2:TIDIG_COMP_CNT: 0
; COMPUTE_PGM_RSRC3_GFX90A:ACCUM_OFFSET: 0
; COMPUTE_PGM_RSRC3_GFX90A:TG_SPLIT: 0
	.section	.text._ZN7rocprim17ROCPRIM_400000_NS6detail17trampoline_kernelINS0_14default_configENS1_20scan_config_selectorIyEEZZNS1_9scan_implILNS1_25lookback_scan_determinismE0ELb1ELb1ES3_N6thrust23THRUST_200600_302600_NS6detail15normal_iteratorINS9_10device_ptrIyEEEENS9_16discard_iteratorINS9_11use_defaultEEEy11max_functorIyEyEEDaPvRmT3_T4_T5_mT6_P12ihipStream_tbENKUlT_T0_E_clISt17integral_constantIbLb0EESW_IbLb1EEEEDaSS_ST_EUlSS_E0_NS1_11comp_targetILNS1_3genE5ELNS1_11target_archE942ELNS1_3gpuE9ELNS1_3repE0EEENS1_30default_config_static_selectorELNS0_4arch9wavefront6targetE1EEEvT1_,"axG",@progbits,_ZN7rocprim17ROCPRIM_400000_NS6detail17trampoline_kernelINS0_14default_configENS1_20scan_config_selectorIyEEZZNS1_9scan_implILNS1_25lookback_scan_determinismE0ELb1ELb1ES3_N6thrust23THRUST_200600_302600_NS6detail15normal_iteratorINS9_10device_ptrIyEEEENS9_16discard_iteratorINS9_11use_defaultEEEy11max_functorIyEyEEDaPvRmT3_T4_T5_mT6_P12ihipStream_tbENKUlT_T0_E_clISt17integral_constantIbLb0EESW_IbLb1EEEEDaSS_ST_EUlSS_E0_NS1_11comp_targetILNS1_3genE5ELNS1_11target_archE942ELNS1_3gpuE9ELNS1_3repE0EEENS1_30default_config_static_selectorELNS0_4arch9wavefront6targetE1EEEvT1_,comdat
	.protected	_ZN7rocprim17ROCPRIM_400000_NS6detail17trampoline_kernelINS0_14default_configENS1_20scan_config_selectorIyEEZZNS1_9scan_implILNS1_25lookback_scan_determinismE0ELb1ELb1ES3_N6thrust23THRUST_200600_302600_NS6detail15normal_iteratorINS9_10device_ptrIyEEEENS9_16discard_iteratorINS9_11use_defaultEEEy11max_functorIyEyEEDaPvRmT3_T4_T5_mT6_P12ihipStream_tbENKUlT_T0_E_clISt17integral_constantIbLb0EESW_IbLb1EEEEDaSS_ST_EUlSS_E0_NS1_11comp_targetILNS1_3genE5ELNS1_11target_archE942ELNS1_3gpuE9ELNS1_3repE0EEENS1_30default_config_static_selectorELNS0_4arch9wavefront6targetE1EEEvT1_ ; -- Begin function _ZN7rocprim17ROCPRIM_400000_NS6detail17trampoline_kernelINS0_14default_configENS1_20scan_config_selectorIyEEZZNS1_9scan_implILNS1_25lookback_scan_determinismE0ELb1ELb1ES3_N6thrust23THRUST_200600_302600_NS6detail15normal_iteratorINS9_10device_ptrIyEEEENS9_16discard_iteratorINS9_11use_defaultEEEy11max_functorIyEyEEDaPvRmT3_T4_T5_mT6_P12ihipStream_tbENKUlT_T0_E_clISt17integral_constantIbLb0EESW_IbLb1EEEEDaSS_ST_EUlSS_E0_NS1_11comp_targetILNS1_3genE5ELNS1_11target_archE942ELNS1_3gpuE9ELNS1_3repE0EEENS1_30default_config_static_selectorELNS0_4arch9wavefront6targetE1EEEvT1_
	.globl	_ZN7rocprim17ROCPRIM_400000_NS6detail17trampoline_kernelINS0_14default_configENS1_20scan_config_selectorIyEEZZNS1_9scan_implILNS1_25lookback_scan_determinismE0ELb1ELb1ES3_N6thrust23THRUST_200600_302600_NS6detail15normal_iteratorINS9_10device_ptrIyEEEENS9_16discard_iteratorINS9_11use_defaultEEEy11max_functorIyEyEEDaPvRmT3_T4_T5_mT6_P12ihipStream_tbENKUlT_T0_E_clISt17integral_constantIbLb0EESW_IbLb1EEEEDaSS_ST_EUlSS_E0_NS1_11comp_targetILNS1_3genE5ELNS1_11target_archE942ELNS1_3gpuE9ELNS1_3repE0EEENS1_30default_config_static_selectorELNS0_4arch9wavefront6targetE1EEEvT1_
	.p2align	8
	.type	_ZN7rocprim17ROCPRIM_400000_NS6detail17trampoline_kernelINS0_14default_configENS1_20scan_config_selectorIyEEZZNS1_9scan_implILNS1_25lookback_scan_determinismE0ELb1ELb1ES3_N6thrust23THRUST_200600_302600_NS6detail15normal_iteratorINS9_10device_ptrIyEEEENS9_16discard_iteratorINS9_11use_defaultEEEy11max_functorIyEyEEDaPvRmT3_T4_T5_mT6_P12ihipStream_tbENKUlT_T0_E_clISt17integral_constantIbLb0EESW_IbLb1EEEEDaSS_ST_EUlSS_E0_NS1_11comp_targetILNS1_3genE5ELNS1_11target_archE942ELNS1_3gpuE9ELNS1_3repE0EEENS1_30default_config_static_selectorELNS0_4arch9wavefront6targetE1EEEvT1_,@function
_ZN7rocprim17ROCPRIM_400000_NS6detail17trampoline_kernelINS0_14default_configENS1_20scan_config_selectorIyEEZZNS1_9scan_implILNS1_25lookback_scan_determinismE0ELb1ELb1ES3_N6thrust23THRUST_200600_302600_NS6detail15normal_iteratorINS9_10device_ptrIyEEEENS9_16discard_iteratorINS9_11use_defaultEEEy11max_functorIyEyEEDaPvRmT3_T4_T5_mT6_P12ihipStream_tbENKUlT_T0_E_clISt17integral_constantIbLb0EESW_IbLb1EEEEDaSS_ST_EUlSS_E0_NS1_11comp_targetILNS1_3genE5ELNS1_11target_archE942ELNS1_3gpuE9ELNS1_3repE0EEENS1_30default_config_static_selectorELNS0_4arch9wavefront6targetE1EEEvT1_: ; @_ZN7rocprim17ROCPRIM_400000_NS6detail17trampoline_kernelINS0_14default_configENS1_20scan_config_selectorIyEEZZNS1_9scan_implILNS1_25lookback_scan_determinismE0ELb1ELb1ES3_N6thrust23THRUST_200600_302600_NS6detail15normal_iteratorINS9_10device_ptrIyEEEENS9_16discard_iteratorINS9_11use_defaultEEEy11max_functorIyEyEEDaPvRmT3_T4_T5_mT6_P12ihipStream_tbENKUlT_T0_E_clISt17integral_constantIbLb0EESW_IbLb1EEEEDaSS_ST_EUlSS_E0_NS1_11comp_targetILNS1_3genE5ELNS1_11target_archE942ELNS1_3gpuE9ELNS1_3repE0EEENS1_30default_config_static_selectorELNS0_4arch9wavefront6targetE1EEEvT1_
; %bb.0:
	.section	.rodata,"a",@progbits
	.p2align	6, 0x0
	.amdhsa_kernel _ZN7rocprim17ROCPRIM_400000_NS6detail17trampoline_kernelINS0_14default_configENS1_20scan_config_selectorIyEEZZNS1_9scan_implILNS1_25lookback_scan_determinismE0ELb1ELb1ES3_N6thrust23THRUST_200600_302600_NS6detail15normal_iteratorINS9_10device_ptrIyEEEENS9_16discard_iteratorINS9_11use_defaultEEEy11max_functorIyEyEEDaPvRmT3_T4_T5_mT6_P12ihipStream_tbENKUlT_T0_E_clISt17integral_constantIbLb0EESW_IbLb1EEEEDaSS_ST_EUlSS_E0_NS1_11comp_targetILNS1_3genE5ELNS1_11target_archE942ELNS1_3gpuE9ELNS1_3repE0EEENS1_30default_config_static_selectorELNS0_4arch9wavefront6targetE1EEEvT1_
		.amdhsa_group_segment_fixed_size 0
		.amdhsa_private_segment_fixed_size 0
		.amdhsa_kernarg_size 48
		.amdhsa_user_sgpr_count 6
		.amdhsa_user_sgpr_private_segment_buffer 1
		.amdhsa_user_sgpr_dispatch_ptr 0
		.amdhsa_user_sgpr_queue_ptr 0
		.amdhsa_user_sgpr_kernarg_segment_ptr 1
		.amdhsa_user_sgpr_dispatch_id 0
		.amdhsa_user_sgpr_flat_scratch_init 0
		.amdhsa_user_sgpr_kernarg_preload_length 0
		.amdhsa_user_sgpr_kernarg_preload_offset 0
		.amdhsa_user_sgpr_private_segment_size 0
		.amdhsa_uses_dynamic_stack 0
		.amdhsa_system_sgpr_private_segment_wavefront_offset 0
		.amdhsa_system_sgpr_workgroup_id_x 1
		.amdhsa_system_sgpr_workgroup_id_y 0
		.amdhsa_system_sgpr_workgroup_id_z 0
		.amdhsa_system_sgpr_workgroup_info 0
		.amdhsa_system_vgpr_workitem_id 0
		.amdhsa_next_free_vgpr 1
		.amdhsa_next_free_sgpr 0
		.amdhsa_accum_offset 4
		.amdhsa_reserve_vcc 0
		.amdhsa_reserve_flat_scratch 0
		.amdhsa_float_round_mode_32 0
		.amdhsa_float_round_mode_16_64 0
		.amdhsa_float_denorm_mode_32 3
		.amdhsa_float_denorm_mode_16_64 3
		.amdhsa_dx10_clamp 1
		.amdhsa_ieee_mode 1
		.amdhsa_fp16_overflow 0
		.amdhsa_tg_split 0
		.amdhsa_exception_fp_ieee_invalid_op 0
		.amdhsa_exception_fp_denorm_src 0
		.amdhsa_exception_fp_ieee_div_zero 0
		.amdhsa_exception_fp_ieee_overflow 0
		.amdhsa_exception_fp_ieee_underflow 0
		.amdhsa_exception_fp_ieee_inexact 0
		.amdhsa_exception_int_div_zero 0
	.end_amdhsa_kernel
	.section	.text._ZN7rocprim17ROCPRIM_400000_NS6detail17trampoline_kernelINS0_14default_configENS1_20scan_config_selectorIyEEZZNS1_9scan_implILNS1_25lookback_scan_determinismE0ELb1ELb1ES3_N6thrust23THRUST_200600_302600_NS6detail15normal_iteratorINS9_10device_ptrIyEEEENS9_16discard_iteratorINS9_11use_defaultEEEy11max_functorIyEyEEDaPvRmT3_T4_T5_mT6_P12ihipStream_tbENKUlT_T0_E_clISt17integral_constantIbLb0EESW_IbLb1EEEEDaSS_ST_EUlSS_E0_NS1_11comp_targetILNS1_3genE5ELNS1_11target_archE942ELNS1_3gpuE9ELNS1_3repE0EEENS1_30default_config_static_selectorELNS0_4arch9wavefront6targetE1EEEvT1_,"axG",@progbits,_ZN7rocprim17ROCPRIM_400000_NS6detail17trampoline_kernelINS0_14default_configENS1_20scan_config_selectorIyEEZZNS1_9scan_implILNS1_25lookback_scan_determinismE0ELb1ELb1ES3_N6thrust23THRUST_200600_302600_NS6detail15normal_iteratorINS9_10device_ptrIyEEEENS9_16discard_iteratorINS9_11use_defaultEEEy11max_functorIyEyEEDaPvRmT3_T4_T5_mT6_P12ihipStream_tbENKUlT_T0_E_clISt17integral_constantIbLb0EESW_IbLb1EEEEDaSS_ST_EUlSS_E0_NS1_11comp_targetILNS1_3genE5ELNS1_11target_archE942ELNS1_3gpuE9ELNS1_3repE0EEENS1_30default_config_static_selectorELNS0_4arch9wavefront6targetE1EEEvT1_,comdat
.Lfunc_end3414:
	.size	_ZN7rocprim17ROCPRIM_400000_NS6detail17trampoline_kernelINS0_14default_configENS1_20scan_config_selectorIyEEZZNS1_9scan_implILNS1_25lookback_scan_determinismE0ELb1ELb1ES3_N6thrust23THRUST_200600_302600_NS6detail15normal_iteratorINS9_10device_ptrIyEEEENS9_16discard_iteratorINS9_11use_defaultEEEy11max_functorIyEyEEDaPvRmT3_T4_T5_mT6_P12ihipStream_tbENKUlT_T0_E_clISt17integral_constantIbLb0EESW_IbLb1EEEEDaSS_ST_EUlSS_E0_NS1_11comp_targetILNS1_3genE5ELNS1_11target_archE942ELNS1_3gpuE9ELNS1_3repE0EEENS1_30default_config_static_selectorELNS0_4arch9wavefront6targetE1EEEvT1_, .Lfunc_end3414-_ZN7rocprim17ROCPRIM_400000_NS6detail17trampoline_kernelINS0_14default_configENS1_20scan_config_selectorIyEEZZNS1_9scan_implILNS1_25lookback_scan_determinismE0ELb1ELb1ES3_N6thrust23THRUST_200600_302600_NS6detail15normal_iteratorINS9_10device_ptrIyEEEENS9_16discard_iteratorINS9_11use_defaultEEEy11max_functorIyEyEEDaPvRmT3_T4_T5_mT6_P12ihipStream_tbENKUlT_T0_E_clISt17integral_constantIbLb0EESW_IbLb1EEEEDaSS_ST_EUlSS_E0_NS1_11comp_targetILNS1_3genE5ELNS1_11target_archE942ELNS1_3gpuE9ELNS1_3repE0EEENS1_30default_config_static_selectorELNS0_4arch9wavefront6targetE1EEEvT1_
                                        ; -- End function
	.section	.AMDGPU.csdata,"",@progbits
; Kernel info:
; codeLenInByte = 0
; NumSgprs: 4
; NumVgprs: 0
; NumAgprs: 0
; TotalNumVgprs: 0
; ScratchSize: 0
; MemoryBound: 0
; FloatMode: 240
; IeeeMode: 1
; LDSByteSize: 0 bytes/workgroup (compile time only)
; SGPRBlocks: 0
; VGPRBlocks: 0
; NumSGPRsForWavesPerEU: 4
; NumVGPRsForWavesPerEU: 1
; AccumOffset: 4
; Occupancy: 8
; WaveLimiterHint : 0
; COMPUTE_PGM_RSRC2:SCRATCH_EN: 0
; COMPUTE_PGM_RSRC2:USER_SGPR: 6
; COMPUTE_PGM_RSRC2:TRAP_HANDLER: 0
; COMPUTE_PGM_RSRC2:TGID_X_EN: 1
; COMPUTE_PGM_RSRC2:TGID_Y_EN: 0
; COMPUTE_PGM_RSRC2:TGID_Z_EN: 0
; COMPUTE_PGM_RSRC2:TIDIG_COMP_CNT: 0
; COMPUTE_PGM_RSRC3_GFX90A:ACCUM_OFFSET: 0
; COMPUTE_PGM_RSRC3_GFX90A:TG_SPLIT: 0
	.section	.text._ZN7rocprim17ROCPRIM_400000_NS6detail17trampoline_kernelINS0_14default_configENS1_20scan_config_selectorIyEEZZNS1_9scan_implILNS1_25lookback_scan_determinismE0ELb1ELb1ES3_N6thrust23THRUST_200600_302600_NS6detail15normal_iteratorINS9_10device_ptrIyEEEENS9_16discard_iteratorINS9_11use_defaultEEEy11max_functorIyEyEEDaPvRmT3_T4_T5_mT6_P12ihipStream_tbENKUlT_T0_E_clISt17integral_constantIbLb0EESW_IbLb1EEEEDaSS_ST_EUlSS_E0_NS1_11comp_targetILNS1_3genE4ELNS1_11target_archE910ELNS1_3gpuE8ELNS1_3repE0EEENS1_30default_config_static_selectorELNS0_4arch9wavefront6targetE1EEEvT1_,"axG",@progbits,_ZN7rocprim17ROCPRIM_400000_NS6detail17trampoline_kernelINS0_14default_configENS1_20scan_config_selectorIyEEZZNS1_9scan_implILNS1_25lookback_scan_determinismE0ELb1ELb1ES3_N6thrust23THRUST_200600_302600_NS6detail15normal_iteratorINS9_10device_ptrIyEEEENS9_16discard_iteratorINS9_11use_defaultEEEy11max_functorIyEyEEDaPvRmT3_T4_T5_mT6_P12ihipStream_tbENKUlT_T0_E_clISt17integral_constantIbLb0EESW_IbLb1EEEEDaSS_ST_EUlSS_E0_NS1_11comp_targetILNS1_3genE4ELNS1_11target_archE910ELNS1_3gpuE8ELNS1_3repE0EEENS1_30default_config_static_selectorELNS0_4arch9wavefront6targetE1EEEvT1_,comdat
	.protected	_ZN7rocprim17ROCPRIM_400000_NS6detail17trampoline_kernelINS0_14default_configENS1_20scan_config_selectorIyEEZZNS1_9scan_implILNS1_25lookback_scan_determinismE0ELb1ELb1ES3_N6thrust23THRUST_200600_302600_NS6detail15normal_iteratorINS9_10device_ptrIyEEEENS9_16discard_iteratorINS9_11use_defaultEEEy11max_functorIyEyEEDaPvRmT3_T4_T5_mT6_P12ihipStream_tbENKUlT_T0_E_clISt17integral_constantIbLb0EESW_IbLb1EEEEDaSS_ST_EUlSS_E0_NS1_11comp_targetILNS1_3genE4ELNS1_11target_archE910ELNS1_3gpuE8ELNS1_3repE0EEENS1_30default_config_static_selectorELNS0_4arch9wavefront6targetE1EEEvT1_ ; -- Begin function _ZN7rocprim17ROCPRIM_400000_NS6detail17trampoline_kernelINS0_14default_configENS1_20scan_config_selectorIyEEZZNS1_9scan_implILNS1_25lookback_scan_determinismE0ELb1ELb1ES3_N6thrust23THRUST_200600_302600_NS6detail15normal_iteratorINS9_10device_ptrIyEEEENS9_16discard_iteratorINS9_11use_defaultEEEy11max_functorIyEyEEDaPvRmT3_T4_T5_mT6_P12ihipStream_tbENKUlT_T0_E_clISt17integral_constantIbLb0EESW_IbLb1EEEEDaSS_ST_EUlSS_E0_NS1_11comp_targetILNS1_3genE4ELNS1_11target_archE910ELNS1_3gpuE8ELNS1_3repE0EEENS1_30default_config_static_selectorELNS0_4arch9wavefront6targetE1EEEvT1_
	.globl	_ZN7rocprim17ROCPRIM_400000_NS6detail17trampoline_kernelINS0_14default_configENS1_20scan_config_selectorIyEEZZNS1_9scan_implILNS1_25lookback_scan_determinismE0ELb1ELb1ES3_N6thrust23THRUST_200600_302600_NS6detail15normal_iteratorINS9_10device_ptrIyEEEENS9_16discard_iteratorINS9_11use_defaultEEEy11max_functorIyEyEEDaPvRmT3_T4_T5_mT6_P12ihipStream_tbENKUlT_T0_E_clISt17integral_constantIbLb0EESW_IbLb1EEEEDaSS_ST_EUlSS_E0_NS1_11comp_targetILNS1_3genE4ELNS1_11target_archE910ELNS1_3gpuE8ELNS1_3repE0EEENS1_30default_config_static_selectorELNS0_4arch9wavefront6targetE1EEEvT1_
	.p2align	8
	.type	_ZN7rocprim17ROCPRIM_400000_NS6detail17trampoline_kernelINS0_14default_configENS1_20scan_config_selectorIyEEZZNS1_9scan_implILNS1_25lookback_scan_determinismE0ELb1ELb1ES3_N6thrust23THRUST_200600_302600_NS6detail15normal_iteratorINS9_10device_ptrIyEEEENS9_16discard_iteratorINS9_11use_defaultEEEy11max_functorIyEyEEDaPvRmT3_T4_T5_mT6_P12ihipStream_tbENKUlT_T0_E_clISt17integral_constantIbLb0EESW_IbLb1EEEEDaSS_ST_EUlSS_E0_NS1_11comp_targetILNS1_3genE4ELNS1_11target_archE910ELNS1_3gpuE8ELNS1_3repE0EEENS1_30default_config_static_selectorELNS0_4arch9wavefront6targetE1EEEvT1_,@function
_ZN7rocprim17ROCPRIM_400000_NS6detail17trampoline_kernelINS0_14default_configENS1_20scan_config_selectorIyEEZZNS1_9scan_implILNS1_25lookback_scan_determinismE0ELb1ELb1ES3_N6thrust23THRUST_200600_302600_NS6detail15normal_iteratorINS9_10device_ptrIyEEEENS9_16discard_iteratorINS9_11use_defaultEEEy11max_functorIyEyEEDaPvRmT3_T4_T5_mT6_P12ihipStream_tbENKUlT_T0_E_clISt17integral_constantIbLb0EESW_IbLb1EEEEDaSS_ST_EUlSS_E0_NS1_11comp_targetILNS1_3genE4ELNS1_11target_archE910ELNS1_3gpuE8ELNS1_3repE0EEENS1_30default_config_static_selectorELNS0_4arch9wavefront6targetE1EEEvT1_: ; @_ZN7rocprim17ROCPRIM_400000_NS6detail17trampoline_kernelINS0_14default_configENS1_20scan_config_selectorIyEEZZNS1_9scan_implILNS1_25lookback_scan_determinismE0ELb1ELb1ES3_N6thrust23THRUST_200600_302600_NS6detail15normal_iteratorINS9_10device_ptrIyEEEENS9_16discard_iteratorINS9_11use_defaultEEEy11max_functorIyEyEEDaPvRmT3_T4_T5_mT6_P12ihipStream_tbENKUlT_T0_E_clISt17integral_constantIbLb0EESW_IbLb1EEEEDaSS_ST_EUlSS_E0_NS1_11comp_targetILNS1_3genE4ELNS1_11target_archE910ELNS1_3gpuE8ELNS1_3repE0EEENS1_30default_config_static_selectorELNS0_4arch9wavefront6targetE1EEEvT1_
; %bb.0:
	s_load_dwordx4 s[0:3], s[4:5], 0x0
	v_lshlrev_b32_e32 v1, 3, v0
	s_waitcnt lgkmcnt(0)
	s_load_dwordx2 s[6:7], s[0:1], 0x0
	v_cmp_gt_u32_e32 vcc, s2, v0
	s_waitcnt lgkmcnt(0)
	v_pk_mov_b32 v[2:3], s[6:7], s[6:7] op_sel:[0,1]
	s_and_saveexec_b64 s[8:9], vcc
	s_cbranch_execz .LBB3415_2
; %bb.1:
	global_load_dwordx2 v[2:3], v1, s[0:1]
.LBB3415_2:
	s_or_b64 exec, exec, s[8:9]
	v_or_b32_e32 v4, 0x80, v0
	v_cmp_gt_u32_e32 vcc, s2, v4
	v_pk_mov_b32 v[4:5], s[6:7], s[6:7] op_sel:[0,1]
	s_and_saveexec_b64 s[8:9], vcc
	s_cbranch_execz .LBB3415_4
; %bb.3:
	global_load_dwordx2 v[4:5], v1, s[0:1] offset:1024
.LBB3415_4:
	s_or_b64 exec, exec, s[8:9]
	v_or_b32_e32 v6, 0x100, v0
	v_cmp_gt_u32_e32 vcc, s2, v6
	v_pk_mov_b32 v[6:7], s[6:7], s[6:7] op_sel:[0,1]
	s_and_saveexec_b64 s[8:9], vcc
	s_cbranch_execz .LBB3415_6
; %bb.5:
	global_load_dwordx2 v[6:7], v1, s[0:1] offset:2048
.LBB3415_6:
	;; [unrolled: 9-line block ×3, first 2 shown]
	s_or_b64 exec, exec, s[8:9]
	v_or_b32_e32 v12, 0x200, v0
	v_cmp_gt_u32_e32 vcc, s2, v12
	v_pk_mov_b32 v[10:11], s[6:7], s[6:7] op_sel:[0,1]
	s_and_saveexec_b64 s[8:9], vcc
	s_cbranch_execz .LBB3415_10
; %bb.9:
	v_lshlrev_b32_e32 v10, 3, v12
	global_load_dwordx2 v[10:11], v10, s[0:1]
.LBB3415_10:
	s_or_b64 exec, exec, s[8:9]
	v_or_b32_e32 v14, 0x280, v0
	v_cmp_gt_u32_e32 vcc, s2, v14
	v_pk_mov_b32 v[12:13], s[6:7], s[6:7] op_sel:[0,1]
	s_and_saveexec_b64 s[8:9], vcc
	s_cbranch_execz .LBB3415_12
; %bb.11:
	v_lshlrev_b32_e32 v12, 3, v14
	global_load_dwordx2 v[12:13], v12, s[0:1]
.LBB3415_12:
	s_or_b64 exec, exec, s[8:9]
	s_load_dwordx2 s[4:5], s[4:5], 0x10
	v_or_b32_e32 v16, 0x300, v0
	v_cmp_gt_u32_e32 vcc, s2, v16
	v_pk_mov_b32 v[14:15], s[6:7], s[6:7] op_sel:[0,1]
	s_and_saveexec_b64 s[2:3], vcc
	s_cbranch_execz .LBB3415_14
; %bb.13:
	v_lshlrev_b32_e32 v14, 3, v16
	global_load_dwordx2 v[14:15], v14, s[0:1]
.LBB3415_14:
	s_or_b64 exec, exec, s[2:3]
	s_waitcnt vmcnt(0)
	ds_write2st64_b64 v1, v[2:3], v[4:5] offset1:2
	ds_write2st64_b64 v1, v[6:7], v[8:9] offset0:4 offset1:6
	ds_write2st64_b64 v1, v[10:11], v[12:13] offset0:8 offset1:10
	ds_write_b64 v1, v[14:15] offset:6144
	v_mad_u32_u24 v14, v0, 48, v1
	s_waitcnt lgkmcnt(0)
	s_barrier
	ds_read2_b64 v[10:13], v14 offset1:1
	ds_read2_b64 v[6:9], v14 offset0:2 offset1:3
	ds_read2_b64 v[2:5], v14 offset0:4 offset1:5
	ds_read_b64 v[14:15], v14 offset:48
	s_waitcnt lgkmcnt(0)
	v_cmp_gt_u64_e32 vcc, v[10:11], v[12:13]
	v_cndmask_b32_e32 v17, v13, v11, vcc
	v_cndmask_b32_e32 v16, v12, v10, vcc
	v_cmp_gt_u64_e32 vcc, v[16:17], v[6:7]
	v_cndmask_b32_e32 v17, v7, v17, vcc
	v_cndmask_b32_e32 v16, v6, v16, vcc
	;; [unrolled: 3-line block ×5, first 2 shown]
	v_cmp_gt_u64_e32 vcc, v[16:17], v[14:15]
	v_cndmask_b32_e32 v18, v14, v16, vcc
	v_lshrrev_b32_e32 v14, 2, v0
	v_and_b32_e32 v14, 24, v14
	v_cndmask_b32_e32 v19, v15, v17, vcc
	v_add_u32_e32 v14, v1, v14
	v_cmp_gt_u32_e32 vcc, 64, v0
	s_barrier
	ds_write_b64 v14, v[18:19]
	s_waitcnt lgkmcnt(0)
	s_barrier
	s_and_saveexec_b64 s[2:3], vcc
	s_cbranch_execz .LBB3415_18
; %bb.15:
	v_lshlrev_b32_e32 v14, 1, v0
	v_lshrrev_b32_e32 v15, 4, v0
	v_add_lshl_u32 v24, v15, v14, 3
	ds_read2_b64 v[14:17], v24 offset1:1
	v_mbcnt_lo_u32_b32 v20, -1, 0
	v_mbcnt_hi_u32_b32 v25, -1, v20
	v_and_b32_e32 v26, 15, v25
	v_and_b32_e32 v28, 16, v25
	s_waitcnt lgkmcnt(0)
	v_cmp_gt_u64_e32 vcc, v[14:15], v[16:17]
	v_cndmask_b32_e32 v17, v17, v15, vcc
	v_cndmask_b32_e32 v16, v16, v14, vcc
	v_cmp_ne_u32_e64 s[0:1], 0, v25
	v_mov_b32_dpp v21, v17 row_shr:1 row_mask:0xf bank_mask:0xf
	v_mov_b32_dpp v20, v16 row_shr:1 row_mask:0xf bank_mask:0xf
	v_cmp_gt_u64_e32 vcc, v[20:21], v[16:17]
	v_cndmask_b32_e32 v20, v16, v20, vcc
	v_cndmask_b32_e32 v21, v17, v21, vcc
	v_cmp_eq_u32_e32 vcc, 0, v26
	v_cndmask_b32_e32 v21, v21, v17, vcc
	v_cndmask_b32_e32 v20, v20, v16, vcc
	s_nop 0
	v_mov_b32_dpp v23, v21 row_shr:2 row_mask:0xf bank_mask:0xf
	v_mov_b32_dpp v22, v20 row_shr:2 row_mask:0xf bank_mask:0xf
	v_cmp_gt_u64_e32 vcc, v[22:23], v[20:21]
	v_cndmask_b32_e32 v22, v20, v22, vcc
	v_cndmask_b32_e32 v23, v21, v23, vcc
	v_cmp_lt_u32_e32 vcc, 1, v26
	v_cndmask_b32_e32 v21, v21, v23, vcc
	v_cndmask_b32_e32 v20, v20, v22, vcc
	s_nop 0
	v_mov_b32_dpp v23, v21 row_shr:4 row_mask:0xf bank_mask:0xf
	v_mov_b32_dpp v22, v20 row_shr:4 row_mask:0xf bank_mask:0xf
	v_cmp_gt_u64_e32 vcc, v[22:23], v[20:21]
	v_cndmask_b32_e32 v22, v20, v22, vcc
	v_cndmask_b32_e32 v23, v21, v23, vcc
	v_cmp_lt_u32_e32 vcc, 3, v26
	;; [unrolled: 9-line block ×3, first 2 shown]
	v_cndmask_b32_e32 v21, v21, v23, vcc
	v_cndmask_b32_e32 v20, v20, v22, vcc
	s_nop 0
	v_mov_b32_dpp v23, v21 row_bcast:15 row_mask:0xf bank_mask:0xf
	v_mov_b32_dpp v22, v20 row_bcast:15 row_mask:0xf bank_mask:0xf
	v_cmp_gt_u64_e32 vcc, v[22:23], v[20:21]
	v_cndmask_b32_e32 v26, v21, v23, vcc
	v_cndmask_b32_e32 v27, v20, v22, vcc
	v_cmp_eq_u32_e32 vcc, 0, v28
	v_cndmask_b32_e32 v23, v26, v21, vcc
	v_cndmask_b32_e32 v22, v27, v20, vcc
	s_nop 0
	v_mov_b32_dpp v23, v23 row_bcast:31 row_mask:0xf bank_mask:0xf
	v_mov_b32_dpp v22, v22 row_bcast:31 row_mask:0xf bank_mask:0xf
	s_and_saveexec_b64 s[6:7], s[0:1]
; %bb.16:
	v_cndmask_b32_e32 v17, v26, v21, vcc
	v_cndmask_b32_e32 v16, v27, v20, vcc
	v_cmp_lt_u32_e64 s[0:1], 31, v25
	v_cmp_gt_u64_e32 vcc, v[22:23], v[16:17]
	s_and_b64 vcc, s[0:1], vcc
	v_cndmask_b32_e32 v16, v16, v22, vcc
	v_cndmask_b32_e32 v17, v17, v23, vcc
; %bb.17:
	s_or_b64 exec, exec, s[6:7]
	v_add_u32_e32 v20, -1, v25
	v_and_b32_e32 v21, 64, v25
	v_cmp_lt_i32_e32 vcc, v20, v21
	v_cndmask_b32_e32 v20, v20, v25, vcc
	v_lshlrev_b32_e32 v20, 2, v20
	ds_bpermute_b32 v16, v20, v16
	ds_bpermute_b32 v17, v20, v17
	; wave barrier
	s_waitcnt lgkmcnt(0)
	v_cmp_gt_u64_e32 vcc, v[16:17], v[14:15]
	v_cndmask_b32_e32 v14, v14, v16, vcc
	v_cndmask_b32_e32 v15, v15, v17, vcc
	v_cmp_eq_u32_e32 vcc, 0, v0
	v_cndmask_b32_e32 v15, v15, v19, vcc
	v_cndmask_b32_e32 v14, v14, v18, vcc
	ds_write_b64 v24, v[14:15]
	; wave barrier
	ds_read_b64 v[16:17], v24 offset:8
	s_waitcnt lgkmcnt(0)
	v_cmp_gt_u64_e32 vcc, v[14:15], v[16:17]
	v_cndmask_b32_e32 v15, v17, v15, vcc
	v_cndmask_b32_e32 v14, v16, v14, vcc
	ds_write_b64 v24, v[14:15] offset:8
.LBB3415_18:
	s_or_b64 exec, exec, s[2:3]
	v_mul_u32_u24_e32 v16, 48, v0
	v_cmp_ne_u32_e32 vcc, 0, v0
	v_pk_mov_b32 v[14:15], s[4:5], s[4:5] op_sel:[0,1]
	s_waitcnt lgkmcnt(0)
	s_barrier
	s_and_saveexec_b64 s[0:1], vcc
	s_cbranch_execz .LBB3415_20
; %bb.19:
	v_add_u32_e32 v0, -1, v0
	v_lshrrev_b32_e32 v14, 5, v0
	v_add_lshl_u32 v0, v14, v0, 3
	ds_read_b64 v[14:15], v0
	v_mov_b32_e32 v0, s5
	s_waitcnt lgkmcnt(0)
	v_cmp_gt_u64_e32 vcc, s[4:5], v[14:15]
	v_cndmask_b32_e32 v15, v15, v0, vcc
	v_mov_b32_e32 v0, s4
	v_cndmask_b32_e32 v14, v14, v0, vcc
.LBB3415_20:
	s_or_b64 exec, exec, s[0:1]
	v_cmp_gt_u64_e32 vcc, v[14:15], v[10:11]
	v_cndmask_b32_e32 v11, v11, v15, vcc
	v_cndmask_b32_e32 v10, v10, v14, vcc
	v_cmp_gt_u64_e32 vcc, v[10:11], v[12:13]
	v_cndmask_b32_e32 v13, v13, v11, vcc
	v_cndmask_b32_e32 v12, v12, v10, vcc
	;; [unrolled: 3-line block ×5, first 2 shown]
	v_cmp_gt_u64_e32 vcc, v[2:3], v[4:5]
	v_add_u32_e32 v0, v1, v16
	v_cndmask_b32_e32 v5, v5, v3, vcc
	v_cndmask_b32_e32 v4, v4, v2, vcc
	s_barrier
	ds_write2_b64 v0, v[14:15], v[10:11] offset1:1
	ds_write2_b64 v0, v[12:13], v[6:7] offset0:2 offset1:3
	ds_write2_b64 v0, v[8:9], v[2:3] offset0:4 offset1:5
	ds_write_b64 v0, v[4:5] offset:48
	s_waitcnt lgkmcnt(0)
	s_barrier
	s_endpgm
	.section	.rodata,"a",@progbits
	.p2align	6, 0x0
	.amdhsa_kernel _ZN7rocprim17ROCPRIM_400000_NS6detail17trampoline_kernelINS0_14default_configENS1_20scan_config_selectorIyEEZZNS1_9scan_implILNS1_25lookback_scan_determinismE0ELb1ELb1ES3_N6thrust23THRUST_200600_302600_NS6detail15normal_iteratorINS9_10device_ptrIyEEEENS9_16discard_iteratorINS9_11use_defaultEEEy11max_functorIyEyEEDaPvRmT3_T4_T5_mT6_P12ihipStream_tbENKUlT_T0_E_clISt17integral_constantIbLb0EESW_IbLb1EEEEDaSS_ST_EUlSS_E0_NS1_11comp_targetILNS1_3genE4ELNS1_11target_archE910ELNS1_3gpuE8ELNS1_3repE0EEENS1_30default_config_static_selectorELNS0_4arch9wavefront6targetE1EEEvT1_
		.amdhsa_group_segment_fixed_size 7168
		.amdhsa_private_segment_fixed_size 0
		.amdhsa_kernarg_size 48
		.amdhsa_user_sgpr_count 6
		.amdhsa_user_sgpr_private_segment_buffer 1
		.amdhsa_user_sgpr_dispatch_ptr 0
		.amdhsa_user_sgpr_queue_ptr 0
		.amdhsa_user_sgpr_kernarg_segment_ptr 1
		.amdhsa_user_sgpr_dispatch_id 0
		.amdhsa_user_sgpr_flat_scratch_init 0
		.amdhsa_user_sgpr_kernarg_preload_length 0
		.amdhsa_user_sgpr_kernarg_preload_offset 0
		.amdhsa_user_sgpr_private_segment_size 0
		.amdhsa_uses_dynamic_stack 0
		.amdhsa_system_sgpr_private_segment_wavefront_offset 0
		.amdhsa_system_sgpr_workgroup_id_x 1
		.amdhsa_system_sgpr_workgroup_id_y 0
		.amdhsa_system_sgpr_workgroup_id_z 0
		.amdhsa_system_sgpr_workgroup_info 0
		.amdhsa_system_vgpr_workitem_id 0
		.amdhsa_next_free_vgpr 29
		.amdhsa_next_free_sgpr 10
		.amdhsa_accum_offset 32
		.amdhsa_reserve_vcc 1
		.amdhsa_reserve_flat_scratch 0
		.amdhsa_float_round_mode_32 0
		.amdhsa_float_round_mode_16_64 0
		.amdhsa_float_denorm_mode_32 3
		.amdhsa_float_denorm_mode_16_64 3
		.amdhsa_dx10_clamp 1
		.amdhsa_ieee_mode 1
		.amdhsa_fp16_overflow 0
		.amdhsa_tg_split 0
		.amdhsa_exception_fp_ieee_invalid_op 0
		.amdhsa_exception_fp_denorm_src 0
		.amdhsa_exception_fp_ieee_div_zero 0
		.amdhsa_exception_fp_ieee_overflow 0
		.amdhsa_exception_fp_ieee_underflow 0
		.amdhsa_exception_fp_ieee_inexact 0
		.amdhsa_exception_int_div_zero 0
	.end_amdhsa_kernel
	.section	.text._ZN7rocprim17ROCPRIM_400000_NS6detail17trampoline_kernelINS0_14default_configENS1_20scan_config_selectorIyEEZZNS1_9scan_implILNS1_25lookback_scan_determinismE0ELb1ELb1ES3_N6thrust23THRUST_200600_302600_NS6detail15normal_iteratorINS9_10device_ptrIyEEEENS9_16discard_iteratorINS9_11use_defaultEEEy11max_functorIyEyEEDaPvRmT3_T4_T5_mT6_P12ihipStream_tbENKUlT_T0_E_clISt17integral_constantIbLb0EESW_IbLb1EEEEDaSS_ST_EUlSS_E0_NS1_11comp_targetILNS1_3genE4ELNS1_11target_archE910ELNS1_3gpuE8ELNS1_3repE0EEENS1_30default_config_static_selectorELNS0_4arch9wavefront6targetE1EEEvT1_,"axG",@progbits,_ZN7rocprim17ROCPRIM_400000_NS6detail17trampoline_kernelINS0_14default_configENS1_20scan_config_selectorIyEEZZNS1_9scan_implILNS1_25lookback_scan_determinismE0ELb1ELb1ES3_N6thrust23THRUST_200600_302600_NS6detail15normal_iteratorINS9_10device_ptrIyEEEENS9_16discard_iteratorINS9_11use_defaultEEEy11max_functorIyEyEEDaPvRmT3_T4_T5_mT6_P12ihipStream_tbENKUlT_T0_E_clISt17integral_constantIbLb0EESW_IbLb1EEEEDaSS_ST_EUlSS_E0_NS1_11comp_targetILNS1_3genE4ELNS1_11target_archE910ELNS1_3gpuE8ELNS1_3repE0EEENS1_30default_config_static_selectorELNS0_4arch9wavefront6targetE1EEEvT1_,comdat
.Lfunc_end3415:
	.size	_ZN7rocprim17ROCPRIM_400000_NS6detail17trampoline_kernelINS0_14default_configENS1_20scan_config_selectorIyEEZZNS1_9scan_implILNS1_25lookback_scan_determinismE0ELb1ELb1ES3_N6thrust23THRUST_200600_302600_NS6detail15normal_iteratorINS9_10device_ptrIyEEEENS9_16discard_iteratorINS9_11use_defaultEEEy11max_functorIyEyEEDaPvRmT3_T4_T5_mT6_P12ihipStream_tbENKUlT_T0_E_clISt17integral_constantIbLb0EESW_IbLb1EEEEDaSS_ST_EUlSS_E0_NS1_11comp_targetILNS1_3genE4ELNS1_11target_archE910ELNS1_3gpuE8ELNS1_3repE0EEENS1_30default_config_static_selectorELNS0_4arch9wavefront6targetE1EEEvT1_, .Lfunc_end3415-_ZN7rocprim17ROCPRIM_400000_NS6detail17trampoline_kernelINS0_14default_configENS1_20scan_config_selectorIyEEZZNS1_9scan_implILNS1_25lookback_scan_determinismE0ELb1ELb1ES3_N6thrust23THRUST_200600_302600_NS6detail15normal_iteratorINS9_10device_ptrIyEEEENS9_16discard_iteratorINS9_11use_defaultEEEy11max_functorIyEyEEDaPvRmT3_T4_T5_mT6_P12ihipStream_tbENKUlT_T0_E_clISt17integral_constantIbLb0EESW_IbLb1EEEEDaSS_ST_EUlSS_E0_NS1_11comp_targetILNS1_3genE4ELNS1_11target_archE910ELNS1_3gpuE8ELNS1_3repE0EEENS1_30default_config_static_selectorELNS0_4arch9wavefront6targetE1EEEvT1_
                                        ; -- End function
	.section	.AMDGPU.csdata,"",@progbits
; Kernel info:
; codeLenInByte = 1188
; NumSgprs: 14
; NumVgprs: 29
; NumAgprs: 0
; TotalNumVgprs: 29
; ScratchSize: 0
; MemoryBound: 0
; FloatMode: 240
; IeeeMode: 1
; LDSByteSize: 7168 bytes/workgroup (compile time only)
; SGPRBlocks: 1
; VGPRBlocks: 3
; NumSGPRsForWavesPerEU: 14
; NumVGPRsForWavesPerEU: 29
; AccumOffset: 32
; Occupancy: 5
; WaveLimiterHint : 0
; COMPUTE_PGM_RSRC2:SCRATCH_EN: 0
; COMPUTE_PGM_RSRC2:USER_SGPR: 6
; COMPUTE_PGM_RSRC2:TRAP_HANDLER: 0
; COMPUTE_PGM_RSRC2:TGID_X_EN: 1
; COMPUTE_PGM_RSRC2:TGID_Y_EN: 0
; COMPUTE_PGM_RSRC2:TGID_Z_EN: 0
; COMPUTE_PGM_RSRC2:TIDIG_COMP_CNT: 0
; COMPUTE_PGM_RSRC3_GFX90A:ACCUM_OFFSET: 7
; COMPUTE_PGM_RSRC3_GFX90A:TG_SPLIT: 0
	.section	.text._ZN7rocprim17ROCPRIM_400000_NS6detail17trampoline_kernelINS0_14default_configENS1_20scan_config_selectorIyEEZZNS1_9scan_implILNS1_25lookback_scan_determinismE0ELb1ELb1ES3_N6thrust23THRUST_200600_302600_NS6detail15normal_iteratorINS9_10device_ptrIyEEEENS9_16discard_iteratorINS9_11use_defaultEEEy11max_functorIyEyEEDaPvRmT3_T4_T5_mT6_P12ihipStream_tbENKUlT_T0_E_clISt17integral_constantIbLb0EESW_IbLb1EEEEDaSS_ST_EUlSS_E0_NS1_11comp_targetILNS1_3genE3ELNS1_11target_archE908ELNS1_3gpuE7ELNS1_3repE0EEENS1_30default_config_static_selectorELNS0_4arch9wavefront6targetE1EEEvT1_,"axG",@progbits,_ZN7rocprim17ROCPRIM_400000_NS6detail17trampoline_kernelINS0_14default_configENS1_20scan_config_selectorIyEEZZNS1_9scan_implILNS1_25lookback_scan_determinismE0ELb1ELb1ES3_N6thrust23THRUST_200600_302600_NS6detail15normal_iteratorINS9_10device_ptrIyEEEENS9_16discard_iteratorINS9_11use_defaultEEEy11max_functorIyEyEEDaPvRmT3_T4_T5_mT6_P12ihipStream_tbENKUlT_T0_E_clISt17integral_constantIbLb0EESW_IbLb1EEEEDaSS_ST_EUlSS_E0_NS1_11comp_targetILNS1_3genE3ELNS1_11target_archE908ELNS1_3gpuE7ELNS1_3repE0EEENS1_30default_config_static_selectorELNS0_4arch9wavefront6targetE1EEEvT1_,comdat
	.protected	_ZN7rocprim17ROCPRIM_400000_NS6detail17trampoline_kernelINS0_14default_configENS1_20scan_config_selectorIyEEZZNS1_9scan_implILNS1_25lookback_scan_determinismE0ELb1ELb1ES3_N6thrust23THRUST_200600_302600_NS6detail15normal_iteratorINS9_10device_ptrIyEEEENS9_16discard_iteratorINS9_11use_defaultEEEy11max_functorIyEyEEDaPvRmT3_T4_T5_mT6_P12ihipStream_tbENKUlT_T0_E_clISt17integral_constantIbLb0EESW_IbLb1EEEEDaSS_ST_EUlSS_E0_NS1_11comp_targetILNS1_3genE3ELNS1_11target_archE908ELNS1_3gpuE7ELNS1_3repE0EEENS1_30default_config_static_selectorELNS0_4arch9wavefront6targetE1EEEvT1_ ; -- Begin function _ZN7rocprim17ROCPRIM_400000_NS6detail17trampoline_kernelINS0_14default_configENS1_20scan_config_selectorIyEEZZNS1_9scan_implILNS1_25lookback_scan_determinismE0ELb1ELb1ES3_N6thrust23THRUST_200600_302600_NS6detail15normal_iteratorINS9_10device_ptrIyEEEENS9_16discard_iteratorINS9_11use_defaultEEEy11max_functorIyEyEEDaPvRmT3_T4_T5_mT6_P12ihipStream_tbENKUlT_T0_E_clISt17integral_constantIbLb0EESW_IbLb1EEEEDaSS_ST_EUlSS_E0_NS1_11comp_targetILNS1_3genE3ELNS1_11target_archE908ELNS1_3gpuE7ELNS1_3repE0EEENS1_30default_config_static_selectorELNS0_4arch9wavefront6targetE1EEEvT1_
	.globl	_ZN7rocprim17ROCPRIM_400000_NS6detail17trampoline_kernelINS0_14default_configENS1_20scan_config_selectorIyEEZZNS1_9scan_implILNS1_25lookback_scan_determinismE0ELb1ELb1ES3_N6thrust23THRUST_200600_302600_NS6detail15normal_iteratorINS9_10device_ptrIyEEEENS9_16discard_iteratorINS9_11use_defaultEEEy11max_functorIyEyEEDaPvRmT3_T4_T5_mT6_P12ihipStream_tbENKUlT_T0_E_clISt17integral_constantIbLb0EESW_IbLb1EEEEDaSS_ST_EUlSS_E0_NS1_11comp_targetILNS1_3genE3ELNS1_11target_archE908ELNS1_3gpuE7ELNS1_3repE0EEENS1_30default_config_static_selectorELNS0_4arch9wavefront6targetE1EEEvT1_
	.p2align	8
	.type	_ZN7rocprim17ROCPRIM_400000_NS6detail17trampoline_kernelINS0_14default_configENS1_20scan_config_selectorIyEEZZNS1_9scan_implILNS1_25lookback_scan_determinismE0ELb1ELb1ES3_N6thrust23THRUST_200600_302600_NS6detail15normal_iteratorINS9_10device_ptrIyEEEENS9_16discard_iteratorINS9_11use_defaultEEEy11max_functorIyEyEEDaPvRmT3_T4_T5_mT6_P12ihipStream_tbENKUlT_T0_E_clISt17integral_constantIbLb0EESW_IbLb1EEEEDaSS_ST_EUlSS_E0_NS1_11comp_targetILNS1_3genE3ELNS1_11target_archE908ELNS1_3gpuE7ELNS1_3repE0EEENS1_30default_config_static_selectorELNS0_4arch9wavefront6targetE1EEEvT1_,@function
_ZN7rocprim17ROCPRIM_400000_NS6detail17trampoline_kernelINS0_14default_configENS1_20scan_config_selectorIyEEZZNS1_9scan_implILNS1_25lookback_scan_determinismE0ELb1ELb1ES3_N6thrust23THRUST_200600_302600_NS6detail15normal_iteratorINS9_10device_ptrIyEEEENS9_16discard_iteratorINS9_11use_defaultEEEy11max_functorIyEyEEDaPvRmT3_T4_T5_mT6_P12ihipStream_tbENKUlT_T0_E_clISt17integral_constantIbLb0EESW_IbLb1EEEEDaSS_ST_EUlSS_E0_NS1_11comp_targetILNS1_3genE3ELNS1_11target_archE908ELNS1_3gpuE7ELNS1_3repE0EEENS1_30default_config_static_selectorELNS0_4arch9wavefront6targetE1EEEvT1_: ; @_ZN7rocprim17ROCPRIM_400000_NS6detail17trampoline_kernelINS0_14default_configENS1_20scan_config_selectorIyEEZZNS1_9scan_implILNS1_25lookback_scan_determinismE0ELb1ELb1ES3_N6thrust23THRUST_200600_302600_NS6detail15normal_iteratorINS9_10device_ptrIyEEEENS9_16discard_iteratorINS9_11use_defaultEEEy11max_functorIyEyEEDaPvRmT3_T4_T5_mT6_P12ihipStream_tbENKUlT_T0_E_clISt17integral_constantIbLb0EESW_IbLb1EEEEDaSS_ST_EUlSS_E0_NS1_11comp_targetILNS1_3genE3ELNS1_11target_archE908ELNS1_3gpuE7ELNS1_3repE0EEENS1_30default_config_static_selectorELNS0_4arch9wavefront6targetE1EEEvT1_
; %bb.0:
	.section	.rodata,"a",@progbits
	.p2align	6, 0x0
	.amdhsa_kernel _ZN7rocprim17ROCPRIM_400000_NS6detail17trampoline_kernelINS0_14default_configENS1_20scan_config_selectorIyEEZZNS1_9scan_implILNS1_25lookback_scan_determinismE0ELb1ELb1ES3_N6thrust23THRUST_200600_302600_NS6detail15normal_iteratorINS9_10device_ptrIyEEEENS9_16discard_iteratorINS9_11use_defaultEEEy11max_functorIyEyEEDaPvRmT3_T4_T5_mT6_P12ihipStream_tbENKUlT_T0_E_clISt17integral_constantIbLb0EESW_IbLb1EEEEDaSS_ST_EUlSS_E0_NS1_11comp_targetILNS1_3genE3ELNS1_11target_archE908ELNS1_3gpuE7ELNS1_3repE0EEENS1_30default_config_static_selectorELNS0_4arch9wavefront6targetE1EEEvT1_
		.amdhsa_group_segment_fixed_size 0
		.amdhsa_private_segment_fixed_size 0
		.amdhsa_kernarg_size 48
		.amdhsa_user_sgpr_count 6
		.amdhsa_user_sgpr_private_segment_buffer 1
		.amdhsa_user_sgpr_dispatch_ptr 0
		.amdhsa_user_sgpr_queue_ptr 0
		.amdhsa_user_sgpr_kernarg_segment_ptr 1
		.amdhsa_user_sgpr_dispatch_id 0
		.amdhsa_user_sgpr_flat_scratch_init 0
		.amdhsa_user_sgpr_kernarg_preload_length 0
		.amdhsa_user_sgpr_kernarg_preload_offset 0
		.amdhsa_user_sgpr_private_segment_size 0
		.amdhsa_uses_dynamic_stack 0
		.amdhsa_system_sgpr_private_segment_wavefront_offset 0
		.amdhsa_system_sgpr_workgroup_id_x 1
		.amdhsa_system_sgpr_workgroup_id_y 0
		.amdhsa_system_sgpr_workgroup_id_z 0
		.amdhsa_system_sgpr_workgroup_info 0
		.amdhsa_system_vgpr_workitem_id 0
		.amdhsa_next_free_vgpr 1
		.amdhsa_next_free_sgpr 0
		.amdhsa_accum_offset 4
		.amdhsa_reserve_vcc 0
		.amdhsa_reserve_flat_scratch 0
		.amdhsa_float_round_mode_32 0
		.amdhsa_float_round_mode_16_64 0
		.amdhsa_float_denorm_mode_32 3
		.amdhsa_float_denorm_mode_16_64 3
		.amdhsa_dx10_clamp 1
		.amdhsa_ieee_mode 1
		.amdhsa_fp16_overflow 0
		.amdhsa_tg_split 0
		.amdhsa_exception_fp_ieee_invalid_op 0
		.amdhsa_exception_fp_denorm_src 0
		.amdhsa_exception_fp_ieee_div_zero 0
		.amdhsa_exception_fp_ieee_overflow 0
		.amdhsa_exception_fp_ieee_underflow 0
		.amdhsa_exception_fp_ieee_inexact 0
		.amdhsa_exception_int_div_zero 0
	.end_amdhsa_kernel
	.section	.text._ZN7rocprim17ROCPRIM_400000_NS6detail17trampoline_kernelINS0_14default_configENS1_20scan_config_selectorIyEEZZNS1_9scan_implILNS1_25lookback_scan_determinismE0ELb1ELb1ES3_N6thrust23THRUST_200600_302600_NS6detail15normal_iteratorINS9_10device_ptrIyEEEENS9_16discard_iteratorINS9_11use_defaultEEEy11max_functorIyEyEEDaPvRmT3_T4_T5_mT6_P12ihipStream_tbENKUlT_T0_E_clISt17integral_constantIbLb0EESW_IbLb1EEEEDaSS_ST_EUlSS_E0_NS1_11comp_targetILNS1_3genE3ELNS1_11target_archE908ELNS1_3gpuE7ELNS1_3repE0EEENS1_30default_config_static_selectorELNS0_4arch9wavefront6targetE1EEEvT1_,"axG",@progbits,_ZN7rocprim17ROCPRIM_400000_NS6detail17trampoline_kernelINS0_14default_configENS1_20scan_config_selectorIyEEZZNS1_9scan_implILNS1_25lookback_scan_determinismE0ELb1ELb1ES3_N6thrust23THRUST_200600_302600_NS6detail15normal_iteratorINS9_10device_ptrIyEEEENS9_16discard_iteratorINS9_11use_defaultEEEy11max_functorIyEyEEDaPvRmT3_T4_T5_mT6_P12ihipStream_tbENKUlT_T0_E_clISt17integral_constantIbLb0EESW_IbLb1EEEEDaSS_ST_EUlSS_E0_NS1_11comp_targetILNS1_3genE3ELNS1_11target_archE908ELNS1_3gpuE7ELNS1_3repE0EEENS1_30default_config_static_selectorELNS0_4arch9wavefront6targetE1EEEvT1_,comdat
.Lfunc_end3416:
	.size	_ZN7rocprim17ROCPRIM_400000_NS6detail17trampoline_kernelINS0_14default_configENS1_20scan_config_selectorIyEEZZNS1_9scan_implILNS1_25lookback_scan_determinismE0ELb1ELb1ES3_N6thrust23THRUST_200600_302600_NS6detail15normal_iteratorINS9_10device_ptrIyEEEENS9_16discard_iteratorINS9_11use_defaultEEEy11max_functorIyEyEEDaPvRmT3_T4_T5_mT6_P12ihipStream_tbENKUlT_T0_E_clISt17integral_constantIbLb0EESW_IbLb1EEEEDaSS_ST_EUlSS_E0_NS1_11comp_targetILNS1_3genE3ELNS1_11target_archE908ELNS1_3gpuE7ELNS1_3repE0EEENS1_30default_config_static_selectorELNS0_4arch9wavefront6targetE1EEEvT1_, .Lfunc_end3416-_ZN7rocprim17ROCPRIM_400000_NS6detail17trampoline_kernelINS0_14default_configENS1_20scan_config_selectorIyEEZZNS1_9scan_implILNS1_25lookback_scan_determinismE0ELb1ELb1ES3_N6thrust23THRUST_200600_302600_NS6detail15normal_iteratorINS9_10device_ptrIyEEEENS9_16discard_iteratorINS9_11use_defaultEEEy11max_functorIyEyEEDaPvRmT3_T4_T5_mT6_P12ihipStream_tbENKUlT_T0_E_clISt17integral_constantIbLb0EESW_IbLb1EEEEDaSS_ST_EUlSS_E0_NS1_11comp_targetILNS1_3genE3ELNS1_11target_archE908ELNS1_3gpuE7ELNS1_3repE0EEENS1_30default_config_static_selectorELNS0_4arch9wavefront6targetE1EEEvT1_
                                        ; -- End function
	.section	.AMDGPU.csdata,"",@progbits
; Kernel info:
; codeLenInByte = 0
; NumSgprs: 4
; NumVgprs: 0
; NumAgprs: 0
; TotalNumVgprs: 0
; ScratchSize: 0
; MemoryBound: 0
; FloatMode: 240
; IeeeMode: 1
; LDSByteSize: 0 bytes/workgroup (compile time only)
; SGPRBlocks: 0
; VGPRBlocks: 0
; NumSGPRsForWavesPerEU: 4
; NumVGPRsForWavesPerEU: 1
; AccumOffset: 4
; Occupancy: 8
; WaveLimiterHint : 0
; COMPUTE_PGM_RSRC2:SCRATCH_EN: 0
; COMPUTE_PGM_RSRC2:USER_SGPR: 6
; COMPUTE_PGM_RSRC2:TRAP_HANDLER: 0
; COMPUTE_PGM_RSRC2:TGID_X_EN: 1
; COMPUTE_PGM_RSRC2:TGID_Y_EN: 0
; COMPUTE_PGM_RSRC2:TGID_Z_EN: 0
; COMPUTE_PGM_RSRC2:TIDIG_COMP_CNT: 0
; COMPUTE_PGM_RSRC3_GFX90A:ACCUM_OFFSET: 0
; COMPUTE_PGM_RSRC3_GFX90A:TG_SPLIT: 0
	.section	.text._ZN7rocprim17ROCPRIM_400000_NS6detail17trampoline_kernelINS0_14default_configENS1_20scan_config_selectorIyEEZZNS1_9scan_implILNS1_25lookback_scan_determinismE0ELb1ELb1ES3_N6thrust23THRUST_200600_302600_NS6detail15normal_iteratorINS9_10device_ptrIyEEEENS9_16discard_iteratorINS9_11use_defaultEEEy11max_functorIyEyEEDaPvRmT3_T4_T5_mT6_P12ihipStream_tbENKUlT_T0_E_clISt17integral_constantIbLb0EESW_IbLb1EEEEDaSS_ST_EUlSS_E0_NS1_11comp_targetILNS1_3genE2ELNS1_11target_archE906ELNS1_3gpuE6ELNS1_3repE0EEENS1_30default_config_static_selectorELNS0_4arch9wavefront6targetE1EEEvT1_,"axG",@progbits,_ZN7rocprim17ROCPRIM_400000_NS6detail17trampoline_kernelINS0_14default_configENS1_20scan_config_selectorIyEEZZNS1_9scan_implILNS1_25lookback_scan_determinismE0ELb1ELb1ES3_N6thrust23THRUST_200600_302600_NS6detail15normal_iteratorINS9_10device_ptrIyEEEENS9_16discard_iteratorINS9_11use_defaultEEEy11max_functorIyEyEEDaPvRmT3_T4_T5_mT6_P12ihipStream_tbENKUlT_T0_E_clISt17integral_constantIbLb0EESW_IbLb1EEEEDaSS_ST_EUlSS_E0_NS1_11comp_targetILNS1_3genE2ELNS1_11target_archE906ELNS1_3gpuE6ELNS1_3repE0EEENS1_30default_config_static_selectorELNS0_4arch9wavefront6targetE1EEEvT1_,comdat
	.protected	_ZN7rocprim17ROCPRIM_400000_NS6detail17trampoline_kernelINS0_14default_configENS1_20scan_config_selectorIyEEZZNS1_9scan_implILNS1_25lookback_scan_determinismE0ELb1ELb1ES3_N6thrust23THRUST_200600_302600_NS6detail15normal_iteratorINS9_10device_ptrIyEEEENS9_16discard_iteratorINS9_11use_defaultEEEy11max_functorIyEyEEDaPvRmT3_T4_T5_mT6_P12ihipStream_tbENKUlT_T0_E_clISt17integral_constantIbLb0EESW_IbLb1EEEEDaSS_ST_EUlSS_E0_NS1_11comp_targetILNS1_3genE2ELNS1_11target_archE906ELNS1_3gpuE6ELNS1_3repE0EEENS1_30default_config_static_selectorELNS0_4arch9wavefront6targetE1EEEvT1_ ; -- Begin function _ZN7rocprim17ROCPRIM_400000_NS6detail17trampoline_kernelINS0_14default_configENS1_20scan_config_selectorIyEEZZNS1_9scan_implILNS1_25lookback_scan_determinismE0ELb1ELb1ES3_N6thrust23THRUST_200600_302600_NS6detail15normal_iteratorINS9_10device_ptrIyEEEENS9_16discard_iteratorINS9_11use_defaultEEEy11max_functorIyEyEEDaPvRmT3_T4_T5_mT6_P12ihipStream_tbENKUlT_T0_E_clISt17integral_constantIbLb0EESW_IbLb1EEEEDaSS_ST_EUlSS_E0_NS1_11comp_targetILNS1_3genE2ELNS1_11target_archE906ELNS1_3gpuE6ELNS1_3repE0EEENS1_30default_config_static_selectorELNS0_4arch9wavefront6targetE1EEEvT1_
	.globl	_ZN7rocprim17ROCPRIM_400000_NS6detail17trampoline_kernelINS0_14default_configENS1_20scan_config_selectorIyEEZZNS1_9scan_implILNS1_25lookback_scan_determinismE0ELb1ELb1ES3_N6thrust23THRUST_200600_302600_NS6detail15normal_iteratorINS9_10device_ptrIyEEEENS9_16discard_iteratorINS9_11use_defaultEEEy11max_functorIyEyEEDaPvRmT3_T4_T5_mT6_P12ihipStream_tbENKUlT_T0_E_clISt17integral_constantIbLb0EESW_IbLb1EEEEDaSS_ST_EUlSS_E0_NS1_11comp_targetILNS1_3genE2ELNS1_11target_archE906ELNS1_3gpuE6ELNS1_3repE0EEENS1_30default_config_static_selectorELNS0_4arch9wavefront6targetE1EEEvT1_
	.p2align	8
	.type	_ZN7rocprim17ROCPRIM_400000_NS6detail17trampoline_kernelINS0_14default_configENS1_20scan_config_selectorIyEEZZNS1_9scan_implILNS1_25lookback_scan_determinismE0ELb1ELb1ES3_N6thrust23THRUST_200600_302600_NS6detail15normal_iteratorINS9_10device_ptrIyEEEENS9_16discard_iteratorINS9_11use_defaultEEEy11max_functorIyEyEEDaPvRmT3_T4_T5_mT6_P12ihipStream_tbENKUlT_T0_E_clISt17integral_constantIbLb0EESW_IbLb1EEEEDaSS_ST_EUlSS_E0_NS1_11comp_targetILNS1_3genE2ELNS1_11target_archE906ELNS1_3gpuE6ELNS1_3repE0EEENS1_30default_config_static_selectorELNS0_4arch9wavefront6targetE1EEEvT1_,@function
_ZN7rocprim17ROCPRIM_400000_NS6detail17trampoline_kernelINS0_14default_configENS1_20scan_config_selectorIyEEZZNS1_9scan_implILNS1_25lookback_scan_determinismE0ELb1ELb1ES3_N6thrust23THRUST_200600_302600_NS6detail15normal_iteratorINS9_10device_ptrIyEEEENS9_16discard_iteratorINS9_11use_defaultEEEy11max_functorIyEyEEDaPvRmT3_T4_T5_mT6_P12ihipStream_tbENKUlT_T0_E_clISt17integral_constantIbLb0EESW_IbLb1EEEEDaSS_ST_EUlSS_E0_NS1_11comp_targetILNS1_3genE2ELNS1_11target_archE906ELNS1_3gpuE6ELNS1_3repE0EEENS1_30default_config_static_selectorELNS0_4arch9wavefront6targetE1EEEvT1_: ; @_ZN7rocprim17ROCPRIM_400000_NS6detail17trampoline_kernelINS0_14default_configENS1_20scan_config_selectorIyEEZZNS1_9scan_implILNS1_25lookback_scan_determinismE0ELb1ELb1ES3_N6thrust23THRUST_200600_302600_NS6detail15normal_iteratorINS9_10device_ptrIyEEEENS9_16discard_iteratorINS9_11use_defaultEEEy11max_functorIyEyEEDaPvRmT3_T4_T5_mT6_P12ihipStream_tbENKUlT_T0_E_clISt17integral_constantIbLb0EESW_IbLb1EEEEDaSS_ST_EUlSS_E0_NS1_11comp_targetILNS1_3genE2ELNS1_11target_archE906ELNS1_3gpuE6ELNS1_3repE0EEENS1_30default_config_static_selectorELNS0_4arch9wavefront6targetE1EEEvT1_
; %bb.0:
	.section	.rodata,"a",@progbits
	.p2align	6, 0x0
	.amdhsa_kernel _ZN7rocprim17ROCPRIM_400000_NS6detail17trampoline_kernelINS0_14default_configENS1_20scan_config_selectorIyEEZZNS1_9scan_implILNS1_25lookback_scan_determinismE0ELb1ELb1ES3_N6thrust23THRUST_200600_302600_NS6detail15normal_iteratorINS9_10device_ptrIyEEEENS9_16discard_iteratorINS9_11use_defaultEEEy11max_functorIyEyEEDaPvRmT3_T4_T5_mT6_P12ihipStream_tbENKUlT_T0_E_clISt17integral_constantIbLb0EESW_IbLb1EEEEDaSS_ST_EUlSS_E0_NS1_11comp_targetILNS1_3genE2ELNS1_11target_archE906ELNS1_3gpuE6ELNS1_3repE0EEENS1_30default_config_static_selectorELNS0_4arch9wavefront6targetE1EEEvT1_
		.amdhsa_group_segment_fixed_size 0
		.amdhsa_private_segment_fixed_size 0
		.amdhsa_kernarg_size 48
		.amdhsa_user_sgpr_count 6
		.amdhsa_user_sgpr_private_segment_buffer 1
		.amdhsa_user_sgpr_dispatch_ptr 0
		.amdhsa_user_sgpr_queue_ptr 0
		.amdhsa_user_sgpr_kernarg_segment_ptr 1
		.amdhsa_user_sgpr_dispatch_id 0
		.amdhsa_user_sgpr_flat_scratch_init 0
		.amdhsa_user_sgpr_kernarg_preload_length 0
		.amdhsa_user_sgpr_kernarg_preload_offset 0
		.amdhsa_user_sgpr_private_segment_size 0
		.amdhsa_uses_dynamic_stack 0
		.amdhsa_system_sgpr_private_segment_wavefront_offset 0
		.amdhsa_system_sgpr_workgroup_id_x 1
		.amdhsa_system_sgpr_workgroup_id_y 0
		.amdhsa_system_sgpr_workgroup_id_z 0
		.amdhsa_system_sgpr_workgroup_info 0
		.amdhsa_system_vgpr_workitem_id 0
		.amdhsa_next_free_vgpr 1
		.amdhsa_next_free_sgpr 0
		.amdhsa_accum_offset 4
		.amdhsa_reserve_vcc 0
		.amdhsa_reserve_flat_scratch 0
		.amdhsa_float_round_mode_32 0
		.amdhsa_float_round_mode_16_64 0
		.amdhsa_float_denorm_mode_32 3
		.amdhsa_float_denorm_mode_16_64 3
		.amdhsa_dx10_clamp 1
		.amdhsa_ieee_mode 1
		.amdhsa_fp16_overflow 0
		.amdhsa_tg_split 0
		.amdhsa_exception_fp_ieee_invalid_op 0
		.amdhsa_exception_fp_denorm_src 0
		.amdhsa_exception_fp_ieee_div_zero 0
		.amdhsa_exception_fp_ieee_overflow 0
		.amdhsa_exception_fp_ieee_underflow 0
		.amdhsa_exception_fp_ieee_inexact 0
		.amdhsa_exception_int_div_zero 0
	.end_amdhsa_kernel
	.section	.text._ZN7rocprim17ROCPRIM_400000_NS6detail17trampoline_kernelINS0_14default_configENS1_20scan_config_selectorIyEEZZNS1_9scan_implILNS1_25lookback_scan_determinismE0ELb1ELb1ES3_N6thrust23THRUST_200600_302600_NS6detail15normal_iteratorINS9_10device_ptrIyEEEENS9_16discard_iteratorINS9_11use_defaultEEEy11max_functorIyEyEEDaPvRmT3_T4_T5_mT6_P12ihipStream_tbENKUlT_T0_E_clISt17integral_constantIbLb0EESW_IbLb1EEEEDaSS_ST_EUlSS_E0_NS1_11comp_targetILNS1_3genE2ELNS1_11target_archE906ELNS1_3gpuE6ELNS1_3repE0EEENS1_30default_config_static_selectorELNS0_4arch9wavefront6targetE1EEEvT1_,"axG",@progbits,_ZN7rocprim17ROCPRIM_400000_NS6detail17trampoline_kernelINS0_14default_configENS1_20scan_config_selectorIyEEZZNS1_9scan_implILNS1_25lookback_scan_determinismE0ELb1ELb1ES3_N6thrust23THRUST_200600_302600_NS6detail15normal_iteratorINS9_10device_ptrIyEEEENS9_16discard_iteratorINS9_11use_defaultEEEy11max_functorIyEyEEDaPvRmT3_T4_T5_mT6_P12ihipStream_tbENKUlT_T0_E_clISt17integral_constantIbLb0EESW_IbLb1EEEEDaSS_ST_EUlSS_E0_NS1_11comp_targetILNS1_3genE2ELNS1_11target_archE906ELNS1_3gpuE6ELNS1_3repE0EEENS1_30default_config_static_selectorELNS0_4arch9wavefront6targetE1EEEvT1_,comdat
.Lfunc_end3417:
	.size	_ZN7rocprim17ROCPRIM_400000_NS6detail17trampoline_kernelINS0_14default_configENS1_20scan_config_selectorIyEEZZNS1_9scan_implILNS1_25lookback_scan_determinismE0ELb1ELb1ES3_N6thrust23THRUST_200600_302600_NS6detail15normal_iteratorINS9_10device_ptrIyEEEENS9_16discard_iteratorINS9_11use_defaultEEEy11max_functorIyEyEEDaPvRmT3_T4_T5_mT6_P12ihipStream_tbENKUlT_T0_E_clISt17integral_constantIbLb0EESW_IbLb1EEEEDaSS_ST_EUlSS_E0_NS1_11comp_targetILNS1_3genE2ELNS1_11target_archE906ELNS1_3gpuE6ELNS1_3repE0EEENS1_30default_config_static_selectorELNS0_4arch9wavefront6targetE1EEEvT1_, .Lfunc_end3417-_ZN7rocprim17ROCPRIM_400000_NS6detail17trampoline_kernelINS0_14default_configENS1_20scan_config_selectorIyEEZZNS1_9scan_implILNS1_25lookback_scan_determinismE0ELb1ELb1ES3_N6thrust23THRUST_200600_302600_NS6detail15normal_iteratorINS9_10device_ptrIyEEEENS9_16discard_iteratorINS9_11use_defaultEEEy11max_functorIyEyEEDaPvRmT3_T4_T5_mT6_P12ihipStream_tbENKUlT_T0_E_clISt17integral_constantIbLb0EESW_IbLb1EEEEDaSS_ST_EUlSS_E0_NS1_11comp_targetILNS1_3genE2ELNS1_11target_archE906ELNS1_3gpuE6ELNS1_3repE0EEENS1_30default_config_static_selectorELNS0_4arch9wavefront6targetE1EEEvT1_
                                        ; -- End function
	.section	.AMDGPU.csdata,"",@progbits
; Kernel info:
; codeLenInByte = 0
; NumSgprs: 4
; NumVgprs: 0
; NumAgprs: 0
; TotalNumVgprs: 0
; ScratchSize: 0
; MemoryBound: 0
; FloatMode: 240
; IeeeMode: 1
; LDSByteSize: 0 bytes/workgroup (compile time only)
; SGPRBlocks: 0
; VGPRBlocks: 0
; NumSGPRsForWavesPerEU: 4
; NumVGPRsForWavesPerEU: 1
; AccumOffset: 4
; Occupancy: 8
; WaveLimiterHint : 0
; COMPUTE_PGM_RSRC2:SCRATCH_EN: 0
; COMPUTE_PGM_RSRC2:USER_SGPR: 6
; COMPUTE_PGM_RSRC2:TRAP_HANDLER: 0
; COMPUTE_PGM_RSRC2:TGID_X_EN: 1
; COMPUTE_PGM_RSRC2:TGID_Y_EN: 0
; COMPUTE_PGM_RSRC2:TGID_Z_EN: 0
; COMPUTE_PGM_RSRC2:TIDIG_COMP_CNT: 0
; COMPUTE_PGM_RSRC3_GFX90A:ACCUM_OFFSET: 0
; COMPUTE_PGM_RSRC3_GFX90A:TG_SPLIT: 0
	.section	.text._ZN7rocprim17ROCPRIM_400000_NS6detail17trampoline_kernelINS0_14default_configENS1_20scan_config_selectorIyEEZZNS1_9scan_implILNS1_25lookback_scan_determinismE0ELb1ELb1ES3_N6thrust23THRUST_200600_302600_NS6detail15normal_iteratorINS9_10device_ptrIyEEEENS9_16discard_iteratorINS9_11use_defaultEEEy11max_functorIyEyEEDaPvRmT3_T4_T5_mT6_P12ihipStream_tbENKUlT_T0_E_clISt17integral_constantIbLb0EESW_IbLb1EEEEDaSS_ST_EUlSS_E0_NS1_11comp_targetILNS1_3genE10ELNS1_11target_archE1201ELNS1_3gpuE5ELNS1_3repE0EEENS1_30default_config_static_selectorELNS0_4arch9wavefront6targetE1EEEvT1_,"axG",@progbits,_ZN7rocprim17ROCPRIM_400000_NS6detail17trampoline_kernelINS0_14default_configENS1_20scan_config_selectorIyEEZZNS1_9scan_implILNS1_25lookback_scan_determinismE0ELb1ELb1ES3_N6thrust23THRUST_200600_302600_NS6detail15normal_iteratorINS9_10device_ptrIyEEEENS9_16discard_iteratorINS9_11use_defaultEEEy11max_functorIyEyEEDaPvRmT3_T4_T5_mT6_P12ihipStream_tbENKUlT_T0_E_clISt17integral_constantIbLb0EESW_IbLb1EEEEDaSS_ST_EUlSS_E0_NS1_11comp_targetILNS1_3genE10ELNS1_11target_archE1201ELNS1_3gpuE5ELNS1_3repE0EEENS1_30default_config_static_selectorELNS0_4arch9wavefront6targetE1EEEvT1_,comdat
	.protected	_ZN7rocprim17ROCPRIM_400000_NS6detail17trampoline_kernelINS0_14default_configENS1_20scan_config_selectorIyEEZZNS1_9scan_implILNS1_25lookback_scan_determinismE0ELb1ELb1ES3_N6thrust23THRUST_200600_302600_NS6detail15normal_iteratorINS9_10device_ptrIyEEEENS9_16discard_iteratorINS9_11use_defaultEEEy11max_functorIyEyEEDaPvRmT3_T4_T5_mT6_P12ihipStream_tbENKUlT_T0_E_clISt17integral_constantIbLb0EESW_IbLb1EEEEDaSS_ST_EUlSS_E0_NS1_11comp_targetILNS1_3genE10ELNS1_11target_archE1201ELNS1_3gpuE5ELNS1_3repE0EEENS1_30default_config_static_selectorELNS0_4arch9wavefront6targetE1EEEvT1_ ; -- Begin function _ZN7rocprim17ROCPRIM_400000_NS6detail17trampoline_kernelINS0_14default_configENS1_20scan_config_selectorIyEEZZNS1_9scan_implILNS1_25lookback_scan_determinismE0ELb1ELb1ES3_N6thrust23THRUST_200600_302600_NS6detail15normal_iteratorINS9_10device_ptrIyEEEENS9_16discard_iteratorINS9_11use_defaultEEEy11max_functorIyEyEEDaPvRmT3_T4_T5_mT6_P12ihipStream_tbENKUlT_T0_E_clISt17integral_constantIbLb0EESW_IbLb1EEEEDaSS_ST_EUlSS_E0_NS1_11comp_targetILNS1_3genE10ELNS1_11target_archE1201ELNS1_3gpuE5ELNS1_3repE0EEENS1_30default_config_static_selectorELNS0_4arch9wavefront6targetE1EEEvT1_
	.globl	_ZN7rocprim17ROCPRIM_400000_NS6detail17trampoline_kernelINS0_14default_configENS1_20scan_config_selectorIyEEZZNS1_9scan_implILNS1_25lookback_scan_determinismE0ELb1ELb1ES3_N6thrust23THRUST_200600_302600_NS6detail15normal_iteratorINS9_10device_ptrIyEEEENS9_16discard_iteratorINS9_11use_defaultEEEy11max_functorIyEyEEDaPvRmT3_T4_T5_mT6_P12ihipStream_tbENKUlT_T0_E_clISt17integral_constantIbLb0EESW_IbLb1EEEEDaSS_ST_EUlSS_E0_NS1_11comp_targetILNS1_3genE10ELNS1_11target_archE1201ELNS1_3gpuE5ELNS1_3repE0EEENS1_30default_config_static_selectorELNS0_4arch9wavefront6targetE1EEEvT1_
	.p2align	8
	.type	_ZN7rocprim17ROCPRIM_400000_NS6detail17trampoline_kernelINS0_14default_configENS1_20scan_config_selectorIyEEZZNS1_9scan_implILNS1_25lookback_scan_determinismE0ELb1ELb1ES3_N6thrust23THRUST_200600_302600_NS6detail15normal_iteratorINS9_10device_ptrIyEEEENS9_16discard_iteratorINS9_11use_defaultEEEy11max_functorIyEyEEDaPvRmT3_T4_T5_mT6_P12ihipStream_tbENKUlT_T0_E_clISt17integral_constantIbLb0EESW_IbLb1EEEEDaSS_ST_EUlSS_E0_NS1_11comp_targetILNS1_3genE10ELNS1_11target_archE1201ELNS1_3gpuE5ELNS1_3repE0EEENS1_30default_config_static_selectorELNS0_4arch9wavefront6targetE1EEEvT1_,@function
_ZN7rocprim17ROCPRIM_400000_NS6detail17trampoline_kernelINS0_14default_configENS1_20scan_config_selectorIyEEZZNS1_9scan_implILNS1_25lookback_scan_determinismE0ELb1ELb1ES3_N6thrust23THRUST_200600_302600_NS6detail15normal_iteratorINS9_10device_ptrIyEEEENS9_16discard_iteratorINS9_11use_defaultEEEy11max_functorIyEyEEDaPvRmT3_T4_T5_mT6_P12ihipStream_tbENKUlT_T0_E_clISt17integral_constantIbLb0EESW_IbLb1EEEEDaSS_ST_EUlSS_E0_NS1_11comp_targetILNS1_3genE10ELNS1_11target_archE1201ELNS1_3gpuE5ELNS1_3repE0EEENS1_30default_config_static_selectorELNS0_4arch9wavefront6targetE1EEEvT1_: ; @_ZN7rocprim17ROCPRIM_400000_NS6detail17trampoline_kernelINS0_14default_configENS1_20scan_config_selectorIyEEZZNS1_9scan_implILNS1_25lookback_scan_determinismE0ELb1ELb1ES3_N6thrust23THRUST_200600_302600_NS6detail15normal_iteratorINS9_10device_ptrIyEEEENS9_16discard_iteratorINS9_11use_defaultEEEy11max_functorIyEyEEDaPvRmT3_T4_T5_mT6_P12ihipStream_tbENKUlT_T0_E_clISt17integral_constantIbLb0EESW_IbLb1EEEEDaSS_ST_EUlSS_E0_NS1_11comp_targetILNS1_3genE10ELNS1_11target_archE1201ELNS1_3gpuE5ELNS1_3repE0EEENS1_30default_config_static_selectorELNS0_4arch9wavefront6targetE1EEEvT1_
; %bb.0:
	.section	.rodata,"a",@progbits
	.p2align	6, 0x0
	.amdhsa_kernel _ZN7rocprim17ROCPRIM_400000_NS6detail17trampoline_kernelINS0_14default_configENS1_20scan_config_selectorIyEEZZNS1_9scan_implILNS1_25lookback_scan_determinismE0ELb1ELb1ES3_N6thrust23THRUST_200600_302600_NS6detail15normal_iteratorINS9_10device_ptrIyEEEENS9_16discard_iteratorINS9_11use_defaultEEEy11max_functorIyEyEEDaPvRmT3_T4_T5_mT6_P12ihipStream_tbENKUlT_T0_E_clISt17integral_constantIbLb0EESW_IbLb1EEEEDaSS_ST_EUlSS_E0_NS1_11comp_targetILNS1_3genE10ELNS1_11target_archE1201ELNS1_3gpuE5ELNS1_3repE0EEENS1_30default_config_static_selectorELNS0_4arch9wavefront6targetE1EEEvT1_
		.amdhsa_group_segment_fixed_size 0
		.amdhsa_private_segment_fixed_size 0
		.amdhsa_kernarg_size 48
		.amdhsa_user_sgpr_count 6
		.amdhsa_user_sgpr_private_segment_buffer 1
		.amdhsa_user_sgpr_dispatch_ptr 0
		.amdhsa_user_sgpr_queue_ptr 0
		.amdhsa_user_sgpr_kernarg_segment_ptr 1
		.amdhsa_user_sgpr_dispatch_id 0
		.amdhsa_user_sgpr_flat_scratch_init 0
		.amdhsa_user_sgpr_kernarg_preload_length 0
		.amdhsa_user_sgpr_kernarg_preload_offset 0
		.amdhsa_user_sgpr_private_segment_size 0
		.amdhsa_uses_dynamic_stack 0
		.amdhsa_system_sgpr_private_segment_wavefront_offset 0
		.amdhsa_system_sgpr_workgroup_id_x 1
		.amdhsa_system_sgpr_workgroup_id_y 0
		.amdhsa_system_sgpr_workgroup_id_z 0
		.amdhsa_system_sgpr_workgroup_info 0
		.amdhsa_system_vgpr_workitem_id 0
		.amdhsa_next_free_vgpr 1
		.amdhsa_next_free_sgpr 0
		.amdhsa_accum_offset 4
		.amdhsa_reserve_vcc 0
		.amdhsa_reserve_flat_scratch 0
		.amdhsa_float_round_mode_32 0
		.amdhsa_float_round_mode_16_64 0
		.amdhsa_float_denorm_mode_32 3
		.amdhsa_float_denorm_mode_16_64 3
		.amdhsa_dx10_clamp 1
		.amdhsa_ieee_mode 1
		.amdhsa_fp16_overflow 0
		.amdhsa_tg_split 0
		.amdhsa_exception_fp_ieee_invalid_op 0
		.amdhsa_exception_fp_denorm_src 0
		.amdhsa_exception_fp_ieee_div_zero 0
		.amdhsa_exception_fp_ieee_overflow 0
		.amdhsa_exception_fp_ieee_underflow 0
		.amdhsa_exception_fp_ieee_inexact 0
		.amdhsa_exception_int_div_zero 0
	.end_amdhsa_kernel
	.section	.text._ZN7rocprim17ROCPRIM_400000_NS6detail17trampoline_kernelINS0_14default_configENS1_20scan_config_selectorIyEEZZNS1_9scan_implILNS1_25lookback_scan_determinismE0ELb1ELb1ES3_N6thrust23THRUST_200600_302600_NS6detail15normal_iteratorINS9_10device_ptrIyEEEENS9_16discard_iteratorINS9_11use_defaultEEEy11max_functorIyEyEEDaPvRmT3_T4_T5_mT6_P12ihipStream_tbENKUlT_T0_E_clISt17integral_constantIbLb0EESW_IbLb1EEEEDaSS_ST_EUlSS_E0_NS1_11comp_targetILNS1_3genE10ELNS1_11target_archE1201ELNS1_3gpuE5ELNS1_3repE0EEENS1_30default_config_static_selectorELNS0_4arch9wavefront6targetE1EEEvT1_,"axG",@progbits,_ZN7rocprim17ROCPRIM_400000_NS6detail17trampoline_kernelINS0_14default_configENS1_20scan_config_selectorIyEEZZNS1_9scan_implILNS1_25lookback_scan_determinismE0ELb1ELb1ES3_N6thrust23THRUST_200600_302600_NS6detail15normal_iteratorINS9_10device_ptrIyEEEENS9_16discard_iteratorINS9_11use_defaultEEEy11max_functorIyEyEEDaPvRmT3_T4_T5_mT6_P12ihipStream_tbENKUlT_T0_E_clISt17integral_constantIbLb0EESW_IbLb1EEEEDaSS_ST_EUlSS_E0_NS1_11comp_targetILNS1_3genE10ELNS1_11target_archE1201ELNS1_3gpuE5ELNS1_3repE0EEENS1_30default_config_static_selectorELNS0_4arch9wavefront6targetE1EEEvT1_,comdat
.Lfunc_end3418:
	.size	_ZN7rocprim17ROCPRIM_400000_NS6detail17trampoline_kernelINS0_14default_configENS1_20scan_config_selectorIyEEZZNS1_9scan_implILNS1_25lookback_scan_determinismE0ELb1ELb1ES3_N6thrust23THRUST_200600_302600_NS6detail15normal_iteratorINS9_10device_ptrIyEEEENS9_16discard_iteratorINS9_11use_defaultEEEy11max_functorIyEyEEDaPvRmT3_T4_T5_mT6_P12ihipStream_tbENKUlT_T0_E_clISt17integral_constantIbLb0EESW_IbLb1EEEEDaSS_ST_EUlSS_E0_NS1_11comp_targetILNS1_3genE10ELNS1_11target_archE1201ELNS1_3gpuE5ELNS1_3repE0EEENS1_30default_config_static_selectorELNS0_4arch9wavefront6targetE1EEEvT1_, .Lfunc_end3418-_ZN7rocprim17ROCPRIM_400000_NS6detail17trampoline_kernelINS0_14default_configENS1_20scan_config_selectorIyEEZZNS1_9scan_implILNS1_25lookback_scan_determinismE0ELb1ELb1ES3_N6thrust23THRUST_200600_302600_NS6detail15normal_iteratorINS9_10device_ptrIyEEEENS9_16discard_iteratorINS9_11use_defaultEEEy11max_functorIyEyEEDaPvRmT3_T4_T5_mT6_P12ihipStream_tbENKUlT_T0_E_clISt17integral_constantIbLb0EESW_IbLb1EEEEDaSS_ST_EUlSS_E0_NS1_11comp_targetILNS1_3genE10ELNS1_11target_archE1201ELNS1_3gpuE5ELNS1_3repE0EEENS1_30default_config_static_selectorELNS0_4arch9wavefront6targetE1EEEvT1_
                                        ; -- End function
	.section	.AMDGPU.csdata,"",@progbits
; Kernel info:
; codeLenInByte = 0
; NumSgprs: 4
; NumVgprs: 0
; NumAgprs: 0
; TotalNumVgprs: 0
; ScratchSize: 0
; MemoryBound: 0
; FloatMode: 240
; IeeeMode: 1
; LDSByteSize: 0 bytes/workgroup (compile time only)
; SGPRBlocks: 0
; VGPRBlocks: 0
; NumSGPRsForWavesPerEU: 4
; NumVGPRsForWavesPerEU: 1
; AccumOffset: 4
; Occupancy: 8
; WaveLimiterHint : 0
; COMPUTE_PGM_RSRC2:SCRATCH_EN: 0
; COMPUTE_PGM_RSRC2:USER_SGPR: 6
; COMPUTE_PGM_RSRC2:TRAP_HANDLER: 0
; COMPUTE_PGM_RSRC2:TGID_X_EN: 1
; COMPUTE_PGM_RSRC2:TGID_Y_EN: 0
; COMPUTE_PGM_RSRC2:TGID_Z_EN: 0
; COMPUTE_PGM_RSRC2:TIDIG_COMP_CNT: 0
; COMPUTE_PGM_RSRC3_GFX90A:ACCUM_OFFSET: 0
; COMPUTE_PGM_RSRC3_GFX90A:TG_SPLIT: 0
	.section	.text._ZN7rocprim17ROCPRIM_400000_NS6detail17trampoline_kernelINS0_14default_configENS1_20scan_config_selectorIyEEZZNS1_9scan_implILNS1_25lookback_scan_determinismE0ELb1ELb1ES3_N6thrust23THRUST_200600_302600_NS6detail15normal_iteratorINS9_10device_ptrIyEEEENS9_16discard_iteratorINS9_11use_defaultEEEy11max_functorIyEyEEDaPvRmT3_T4_T5_mT6_P12ihipStream_tbENKUlT_T0_E_clISt17integral_constantIbLb0EESW_IbLb1EEEEDaSS_ST_EUlSS_E0_NS1_11comp_targetILNS1_3genE10ELNS1_11target_archE1200ELNS1_3gpuE4ELNS1_3repE0EEENS1_30default_config_static_selectorELNS0_4arch9wavefront6targetE1EEEvT1_,"axG",@progbits,_ZN7rocprim17ROCPRIM_400000_NS6detail17trampoline_kernelINS0_14default_configENS1_20scan_config_selectorIyEEZZNS1_9scan_implILNS1_25lookback_scan_determinismE0ELb1ELb1ES3_N6thrust23THRUST_200600_302600_NS6detail15normal_iteratorINS9_10device_ptrIyEEEENS9_16discard_iteratorINS9_11use_defaultEEEy11max_functorIyEyEEDaPvRmT3_T4_T5_mT6_P12ihipStream_tbENKUlT_T0_E_clISt17integral_constantIbLb0EESW_IbLb1EEEEDaSS_ST_EUlSS_E0_NS1_11comp_targetILNS1_3genE10ELNS1_11target_archE1200ELNS1_3gpuE4ELNS1_3repE0EEENS1_30default_config_static_selectorELNS0_4arch9wavefront6targetE1EEEvT1_,comdat
	.protected	_ZN7rocprim17ROCPRIM_400000_NS6detail17trampoline_kernelINS0_14default_configENS1_20scan_config_selectorIyEEZZNS1_9scan_implILNS1_25lookback_scan_determinismE0ELb1ELb1ES3_N6thrust23THRUST_200600_302600_NS6detail15normal_iteratorINS9_10device_ptrIyEEEENS9_16discard_iteratorINS9_11use_defaultEEEy11max_functorIyEyEEDaPvRmT3_T4_T5_mT6_P12ihipStream_tbENKUlT_T0_E_clISt17integral_constantIbLb0EESW_IbLb1EEEEDaSS_ST_EUlSS_E0_NS1_11comp_targetILNS1_3genE10ELNS1_11target_archE1200ELNS1_3gpuE4ELNS1_3repE0EEENS1_30default_config_static_selectorELNS0_4arch9wavefront6targetE1EEEvT1_ ; -- Begin function _ZN7rocprim17ROCPRIM_400000_NS6detail17trampoline_kernelINS0_14default_configENS1_20scan_config_selectorIyEEZZNS1_9scan_implILNS1_25lookback_scan_determinismE0ELb1ELb1ES3_N6thrust23THRUST_200600_302600_NS6detail15normal_iteratorINS9_10device_ptrIyEEEENS9_16discard_iteratorINS9_11use_defaultEEEy11max_functorIyEyEEDaPvRmT3_T4_T5_mT6_P12ihipStream_tbENKUlT_T0_E_clISt17integral_constantIbLb0EESW_IbLb1EEEEDaSS_ST_EUlSS_E0_NS1_11comp_targetILNS1_3genE10ELNS1_11target_archE1200ELNS1_3gpuE4ELNS1_3repE0EEENS1_30default_config_static_selectorELNS0_4arch9wavefront6targetE1EEEvT1_
	.globl	_ZN7rocprim17ROCPRIM_400000_NS6detail17trampoline_kernelINS0_14default_configENS1_20scan_config_selectorIyEEZZNS1_9scan_implILNS1_25lookback_scan_determinismE0ELb1ELb1ES3_N6thrust23THRUST_200600_302600_NS6detail15normal_iteratorINS9_10device_ptrIyEEEENS9_16discard_iteratorINS9_11use_defaultEEEy11max_functorIyEyEEDaPvRmT3_T4_T5_mT6_P12ihipStream_tbENKUlT_T0_E_clISt17integral_constantIbLb0EESW_IbLb1EEEEDaSS_ST_EUlSS_E0_NS1_11comp_targetILNS1_3genE10ELNS1_11target_archE1200ELNS1_3gpuE4ELNS1_3repE0EEENS1_30default_config_static_selectorELNS0_4arch9wavefront6targetE1EEEvT1_
	.p2align	8
	.type	_ZN7rocprim17ROCPRIM_400000_NS6detail17trampoline_kernelINS0_14default_configENS1_20scan_config_selectorIyEEZZNS1_9scan_implILNS1_25lookback_scan_determinismE0ELb1ELb1ES3_N6thrust23THRUST_200600_302600_NS6detail15normal_iteratorINS9_10device_ptrIyEEEENS9_16discard_iteratorINS9_11use_defaultEEEy11max_functorIyEyEEDaPvRmT3_T4_T5_mT6_P12ihipStream_tbENKUlT_T0_E_clISt17integral_constantIbLb0EESW_IbLb1EEEEDaSS_ST_EUlSS_E0_NS1_11comp_targetILNS1_3genE10ELNS1_11target_archE1200ELNS1_3gpuE4ELNS1_3repE0EEENS1_30default_config_static_selectorELNS0_4arch9wavefront6targetE1EEEvT1_,@function
_ZN7rocprim17ROCPRIM_400000_NS6detail17trampoline_kernelINS0_14default_configENS1_20scan_config_selectorIyEEZZNS1_9scan_implILNS1_25lookback_scan_determinismE0ELb1ELb1ES3_N6thrust23THRUST_200600_302600_NS6detail15normal_iteratorINS9_10device_ptrIyEEEENS9_16discard_iteratorINS9_11use_defaultEEEy11max_functorIyEyEEDaPvRmT3_T4_T5_mT6_P12ihipStream_tbENKUlT_T0_E_clISt17integral_constantIbLb0EESW_IbLb1EEEEDaSS_ST_EUlSS_E0_NS1_11comp_targetILNS1_3genE10ELNS1_11target_archE1200ELNS1_3gpuE4ELNS1_3repE0EEENS1_30default_config_static_selectorELNS0_4arch9wavefront6targetE1EEEvT1_: ; @_ZN7rocprim17ROCPRIM_400000_NS6detail17trampoline_kernelINS0_14default_configENS1_20scan_config_selectorIyEEZZNS1_9scan_implILNS1_25lookback_scan_determinismE0ELb1ELb1ES3_N6thrust23THRUST_200600_302600_NS6detail15normal_iteratorINS9_10device_ptrIyEEEENS9_16discard_iteratorINS9_11use_defaultEEEy11max_functorIyEyEEDaPvRmT3_T4_T5_mT6_P12ihipStream_tbENKUlT_T0_E_clISt17integral_constantIbLb0EESW_IbLb1EEEEDaSS_ST_EUlSS_E0_NS1_11comp_targetILNS1_3genE10ELNS1_11target_archE1200ELNS1_3gpuE4ELNS1_3repE0EEENS1_30default_config_static_selectorELNS0_4arch9wavefront6targetE1EEEvT1_
; %bb.0:
	.section	.rodata,"a",@progbits
	.p2align	6, 0x0
	.amdhsa_kernel _ZN7rocprim17ROCPRIM_400000_NS6detail17trampoline_kernelINS0_14default_configENS1_20scan_config_selectorIyEEZZNS1_9scan_implILNS1_25lookback_scan_determinismE0ELb1ELb1ES3_N6thrust23THRUST_200600_302600_NS6detail15normal_iteratorINS9_10device_ptrIyEEEENS9_16discard_iteratorINS9_11use_defaultEEEy11max_functorIyEyEEDaPvRmT3_T4_T5_mT6_P12ihipStream_tbENKUlT_T0_E_clISt17integral_constantIbLb0EESW_IbLb1EEEEDaSS_ST_EUlSS_E0_NS1_11comp_targetILNS1_3genE10ELNS1_11target_archE1200ELNS1_3gpuE4ELNS1_3repE0EEENS1_30default_config_static_selectorELNS0_4arch9wavefront6targetE1EEEvT1_
		.amdhsa_group_segment_fixed_size 0
		.amdhsa_private_segment_fixed_size 0
		.amdhsa_kernarg_size 48
		.amdhsa_user_sgpr_count 6
		.amdhsa_user_sgpr_private_segment_buffer 1
		.amdhsa_user_sgpr_dispatch_ptr 0
		.amdhsa_user_sgpr_queue_ptr 0
		.amdhsa_user_sgpr_kernarg_segment_ptr 1
		.amdhsa_user_sgpr_dispatch_id 0
		.amdhsa_user_sgpr_flat_scratch_init 0
		.amdhsa_user_sgpr_kernarg_preload_length 0
		.amdhsa_user_sgpr_kernarg_preload_offset 0
		.amdhsa_user_sgpr_private_segment_size 0
		.amdhsa_uses_dynamic_stack 0
		.amdhsa_system_sgpr_private_segment_wavefront_offset 0
		.amdhsa_system_sgpr_workgroup_id_x 1
		.amdhsa_system_sgpr_workgroup_id_y 0
		.amdhsa_system_sgpr_workgroup_id_z 0
		.amdhsa_system_sgpr_workgroup_info 0
		.amdhsa_system_vgpr_workitem_id 0
		.amdhsa_next_free_vgpr 1
		.amdhsa_next_free_sgpr 0
		.amdhsa_accum_offset 4
		.amdhsa_reserve_vcc 0
		.amdhsa_reserve_flat_scratch 0
		.amdhsa_float_round_mode_32 0
		.amdhsa_float_round_mode_16_64 0
		.amdhsa_float_denorm_mode_32 3
		.amdhsa_float_denorm_mode_16_64 3
		.amdhsa_dx10_clamp 1
		.amdhsa_ieee_mode 1
		.amdhsa_fp16_overflow 0
		.amdhsa_tg_split 0
		.amdhsa_exception_fp_ieee_invalid_op 0
		.amdhsa_exception_fp_denorm_src 0
		.amdhsa_exception_fp_ieee_div_zero 0
		.amdhsa_exception_fp_ieee_overflow 0
		.amdhsa_exception_fp_ieee_underflow 0
		.amdhsa_exception_fp_ieee_inexact 0
		.amdhsa_exception_int_div_zero 0
	.end_amdhsa_kernel
	.section	.text._ZN7rocprim17ROCPRIM_400000_NS6detail17trampoline_kernelINS0_14default_configENS1_20scan_config_selectorIyEEZZNS1_9scan_implILNS1_25lookback_scan_determinismE0ELb1ELb1ES3_N6thrust23THRUST_200600_302600_NS6detail15normal_iteratorINS9_10device_ptrIyEEEENS9_16discard_iteratorINS9_11use_defaultEEEy11max_functorIyEyEEDaPvRmT3_T4_T5_mT6_P12ihipStream_tbENKUlT_T0_E_clISt17integral_constantIbLb0EESW_IbLb1EEEEDaSS_ST_EUlSS_E0_NS1_11comp_targetILNS1_3genE10ELNS1_11target_archE1200ELNS1_3gpuE4ELNS1_3repE0EEENS1_30default_config_static_selectorELNS0_4arch9wavefront6targetE1EEEvT1_,"axG",@progbits,_ZN7rocprim17ROCPRIM_400000_NS6detail17trampoline_kernelINS0_14default_configENS1_20scan_config_selectorIyEEZZNS1_9scan_implILNS1_25lookback_scan_determinismE0ELb1ELb1ES3_N6thrust23THRUST_200600_302600_NS6detail15normal_iteratorINS9_10device_ptrIyEEEENS9_16discard_iteratorINS9_11use_defaultEEEy11max_functorIyEyEEDaPvRmT3_T4_T5_mT6_P12ihipStream_tbENKUlT_T0_E_clISt17integral_constantIbLb0EESW_IbLb1EEEEDaSS_ST_EUlSS_E0_NS1_11comp_targetILNS1_3genE10ELNS1_11target_archE1200ELNS1_3gpuE4ELNS1_3repE0EEENS1_30default_config_static_selectorELNS0_4arch9wavefront6targetE1EEEvT1_,comdat
.Lfunc_end3419:
	.size	_ZN7rocprim17ROCPRIM_400000_NS6detail17trampoline_kernelINS0_14default_configENS1_20scan_config_selectorIyEEZZNS1_9scan_implILNS1_25lookback_scan_determinismE0ELb1ELb1ES3_N6thrust23THRUST_200600_302600_NS6detail15normal_iteratorINS9_10device_ptrIyEEEENS9_16discard_iteratorINS9_11use_defaultEEEy11max_functorIyEyEEDaPvRmT3_T4_T5_mT6_P12ihipStream_tbENKUlT_T0_E_clISt17integral_constantIbLb0EESW_IbLb1EEEEDaSS_ST_EUlSS_E0_NS1_11comp_targetILNS1_3genE10ELNS1_11target_archE1200ELNS1_3gpuE4ELNS1_3repE0EEENS1_30default_config_static_selectorELNS0_4arch9wavefront6targetE1EEEvT1_, .Lfunc_end3419-_ZN7rocprim17ROCPRIM_400000_NS6detail17trampoline_kernelINS0_14default_configENS1_20scan_config_selectorIyEEZZNS1_9scan_implILNS1_25lookback_scan_determinismE0ELb1ELb1ES3_N6thrust23THRUST_200600_302600_NS6detail15normal_iteratorINS9_10device_ptrIyEEEENS9_16discard_iteratorINS9_11use_defaultEEEy11max_functorIyEyEEDaPvRmT3_T4_T5_mT6_P12ihipStream_tbENKUlT_T0_E_clISt17integral_constantIbLb0EESW_IbLb1EEEEDaSS_ST_EUlSS_E0_NS1_11comp_targetILNS1_3genE10ELNS1_11target_archE1200ELNS1_3gpuE4ELNS1_3repE0EEENS1_30default_config_static_selectorELNS0_4arch9wavefront6targetE1EEEvT1_
                                        ; -- End function
	.section	.AMDGPU.csdata,"",@progbits
; Kernel info:
; codeLenInByte = 0
; NumSgprs: 4
; NumVgprs: 0
; NumAgprs: 0
; TotalNumVgprs: 0
; ScratchSize: 0
; MemoryBound: 0
; FloatMode: 240
; IeeeMode: 1
; LDSByteSize: 0 bytes/workgroup (compile time only)
; SGPRBlocks: 0
; VGPRBlocks: 0
; NumSGPRsForWavesPerEU: 4
; NumVGPRsForWavesPerEU: 1
; AccumOffset: 4
; Occupancy: 8
; WaveLimiterHint : 0
; COMPUTE_PGM_RSRC2:SCRATCH_EN: 0
; COMPUTE_PGM_RSRC2:USER_SGPR: 6
; COMPUTE_PGM_RSRC2:TRAP_HANDLER: 0
; COMPUTE_PGM_RSRC2:TGID_X_EN: 1
; COMPUTE_PGM_RSRC2:TGID_Y_EN: 0
; COMPUTE_PGM_RSRC2:TGID_Z_EN: 0
; COMPUTE_PGM_RSRC2:TIDIG_COMP_CNT: 0
; COMPUTE_PGM_RSRC3_GFX90A:ACCUM_OFFSET: 0
; COMPUTE_PGM_RSRC3_GFX90A:TG_SPLIT: 0
	.section	.text._ZN7rocprim17ROCPRIM_400000_NS6detail17trampoline_kernelINS0_14default_configENS1_20scan_config_selectorIyEEZZNS1_9scan_implILNS1_25lookback_scan_determinismE0ELb1ELb1ES3_N6thrust23THRUST_200600_302600_NS6detail15normal_iteratorINS9_10device_ptrIyEEEENS9_16discard_iteratorINS9_11use_defaultEEEy11max_functorIyEyEEDaPvRmT3_T4_T5_mT6_P12ihipStream_tbENKUlT_T0_E_clISt17integral_constantIbLb0EESW_IbLb1EEEEDaSS_ST_EUlSS_E0_NS1_11comp_targetILNS1_3genE9ELNS1_11target_archE1100ELNS1_3gpuE3ELNS1_3repE0EEENS1_30default_config_static_selectorELNS0_4arch9wavefront6targetE1EEEvT1_,"axG",@progbits,_ZN7rocprim17ROCPRIM_400000_NS6detail17trampoline_kernelINS0_14default_configENS1_20scan_config_selectorIyEEZZNS1_9scan_implILNS1_25lookback_scan_determinismE0ELb1ELb1ES3_N6thrust23THRUST_200600_302600_NS6detail15normal_iteratorINS9_10device_ptrIyEEEENS9_16discard_iteratorINS9_11use_defaultEEEy11max_functorIyEyEEDaPvRmT3_T4_T5_mT6_P12ihipStream_tbENKUlT_T0_E_clISt17integral_constantIbLb0EESW_IbLb1EEEEDaSS_ST_EUlSS_E0_NS1_11comp_targetILNS1_3genE9ELNS1_11target_archE1100ELNS1_3gpuE3ELNS1_3repE0EEENS1_30default_config_static_selectorELNS0_4arch9wavefront6targetE1EEEvT1_,comdat
	.protected	_ZN7rocprim17ROCPRIM_400000_NS6detail17trampoline_kernelINS0_14default_configENS1_20scan_config_selectorIyEEZZNS1_9scan_implILNS1_25lookback_scan_determinismE0ELb1ELb1ES3_N6thrust23THRUST_200600_302600_NS6detail15normal_iteratorINS9_10device_ptrIyEEEENS9_16discard_iteratorINS9_11use_defaultEEEy11max_functorIyEyEEDaPvRmT3_T4_T5_mT6_P12ihipStream_tbENKUlT_T0_E_clISt17integral_constantIbLb0EESW_IbLb1EEEEDaSS_ST_EUlSS_E0_NS1_11comp_targetILNS1_3genE9ELNS1_11target_archE1100ELNS1_3gpuE3ELNS1_3repE0EEENS1_30default_config_static_selectorELNS0_4arch9wavefront6targetE1EEEvT1_ ; -- Begin function _ZN7rocprim17ROCPRIM_400000_NS6detail17trampoline_kernelINS0_14default_configENS1_20scan_config_selectorIyEEZZNS1_9scan_implILNS1_25lookback_scan_determinismE0ELb1ELb1ES3_N6thrust23THRUST_200600_302600_NS6detail15normal_iteratorINS9_10device_ptrIyEEEENS9_16discard_iteratorINS9_11use_defaultEEEy11max_functorIyEyEEDaPvRmT3_T4_T5_mT6_P12ihipStream_tbENKUlT_T0_E_clISt17integral_constantIbLb0EESW_IbLb1EEEEDaSS_ST_EUlSS_E0_NS1_11comp_targetILNS1_3genE9ELNS1_11target_archE1100ELNS1_3gpuE3ELNS1_3repE0EEENS1_30default_config_static_selectorELNS0_4arch9wavefront6targetE1EEEvT1_
	.globl	_ZN7rocprim17ROCPRIM_400000_NS6detail17trampoline_kernelINS0_14default_configENS1_20scan_config_selectorIyEEZZNS1_9scan_implILNS1_25lookback_scan_determinismE0ELb1ELb1ES3_N6thrust23THRUST_200600_302600_NS6detail15normal_iteratorINS9_10device_ptrIyEEEENS9_16discard_iteratorINS9_11use_defaultEEEy11max_functorIyEyEEDaPvRmT3_T4_T5_mT6_P12ihipStream_tbENKUlT_T0_E_clISt17integral_constantIbLb0EESW_IbLb1EEEEDaSS_ST_EUlSS_E0_NS1_11comp_targetILNS1_3genE9ELNS1_11target_archE1100ELNS1_3gpuE3ELNS1_3repE0EEENS1_30default_config_static_selectorELNS0_4arch9wavefront6targetE1EEEvT1_
	.p2align	8
	.type	_ZN7rocprim17ROCPRIM_400000_NS6detail17trampoline_kernelINS0_14default_configENS1_20scan_config_selectorIyEEZZNS1_9scan_implILNS1_25lookback_scan_determinismE0ELb1ELb1ES3_N6thrust23THRUST_200600_302600_NS6detail15normal_iteratorINS9_10device_ptrIyEEEENS9_16discard_iteratorINS9_11use_defaultEEEy11max_functorIyEyEEDaPvRmT3_T4_T5_mT6_P12ihipStream_tbENKUlT_T0_E_clISt17integral_constantIbLb0EESW_IbLb1EEEEDaSS_ST_EUlSS_E0_NS1_11comp_targetILNS1_3genE9ELNS1_11target_archE1100ELNS1_3gpuE3ELNS1_3repE0EEENS1_30default_config_static_selectorELNS0_4arch9wavefront6targetE1EEEvT1_,@function
_ZN7rocprim17ROCPRIM_400000_NS6detail17trampoline_kernelINS0_14default_configENS1_20scan_config_selectorIyEEZZNS1_9scan_implILNS1_25lookback_scan_determinismE0ELb1ELb1ES3_N6thrust23THRUST_200600_302600_NS6detail15normal_iteratorINS9_10device_ptrIyEEEENS9_16discard_iteratorINS9_11use_defaultEEEy11max_functorIyEyEEDaPvRmT3_T4_T5_mT6_P12ihipStream_tbENKUlT_T0_E_clISt17integral_constantIbLb0EESW_IbLb1EEEEDaSS_ST_EUlSS_E0_NS1_11comp_targetILNS1_3genE9ELNS1_11target_archE1100ELNS1_3gpuE3ELNS1_3repE0EEENS1_30default_config_static_selectorELNS0_4arch9wavefront6targetE1EEEvT1_: ; @_ZN7rocprim17ROCPRIM_400000_NS6detail17trampoline_kernelINS0_14default_configENS1_20scan_config_selectorIyEEZZNS1_9scan_implILNS1_25lookback_scan_determinismE0ELb1ELb1ES3_N6thrust23THRUST_200600_302600_NS6detail15normal_iteratorINS9_10device_ptrIyEEEENS9_16discard_iteratorINS9_11use_defaultEEEy11max_functorIyEyEEDaPvRmT3_T4_T5_mT6_P12ihipStream_tbENKUlT_T0_E_clISt17integral_constantIbLb0EESW_IbLb1EEEEDaSS_ST_EUlSS_E0_NS1_11comp_targetILNS1_3genE9ELNS1_11target_archE1100ELNS1_3gpuE3ELNS1_3repE0EEENS1_30default_config_static_selectorELNS0_4arch9wavefront6targetE1EEEvT1_
; %bb.0:
	.section	.rodata,"a",@progbits
	.p2align	6, 0x0
	.amdhsa_kernel _ZN7rocprim17ROCPRIM_400000_NS6detail17trampoline_kernelINS0_14default_configENS1_20scan_config_selectorIyEEZZNS1_9scan_implILNS1_25lookback_scan_determinismE0ELb1ELb1ES3_N6thrust23THRUST_200600_302600_NS6detail15normal_iteratorINS9_10device_ptrIyEEEENS9_16discard_iteratorINS9_11use_defaultEEEy11max_functorIyEyEEDaPvRmT3_T4_T5_mT6_P12ihipStream_tbENKUlT_T0_E_clISt17integral_constantIbLb0EESW_IbLb1EEEEDaSS_ST_EUlSS_E0_NS1_11comp_targetILNS1_3genE9ELNS1_11target_archE1100ELNS1_3gpuE3ELNS1_3repE0EEENS1_30default_config_static_selectorELNS0_4arch9wavefront6targetE1EEEvT1_
		.amdhsa_group_segment_fixed_size 0
		.amdhsa_private_segment_fixed_size 0
		.amdhsa_kernarg_size 48
		.amdhsa_user_sgpr_count 6
		.amdhsa_user_sgpr_private_segment_buffer 1
		.amdhsa_user_sgpr_dispatch_ptr 0
		.amdhsa_user_sgpr_queue_ptr 0
		.amdhsa_user_sgpr_kernarg_segment_ptr 1
		.amdhsa_user_sgpr_dispatch_id 0
		.amdhsa_user_sgpr_flat_scratch_init 0
		.amdhsa_user_sgpr_kernarg_preload_length 0
		.amdhsa_user_sgpr_kernarg_preload_offset 0
		.amdhsa_user_sgpr_private_segment_size 0
		.amdhsa_uses_dynamic_stack 0
		.amdhsa_system_sgpr_private_segment_wavefront_offset 0
		.amdhsa_system_sgpr_workgroup_id_x 1
		.amdhsa_system_sgpr_workgroup_id_y 0
		.amdhsa_system_sgpr_workgroup_id_z 0
		.amdhsa_system_sgpr_workgroup_info 0
		.amdhsa_system_vgpr_workitem_id 0
		.amdhsa_next_free_vgpr 1
		.amdhsa_next_free_sgpr 0
		.amdhsa_accum_offset 4
		.amdhsa_reserve_vcc 0
		.amdhsa_reserve_flat_scratch 0
		.amdhsa_float_round_mode_32 0
		.amdhsa_float_round_mode_16_64 0
		.amdhsa_float_denorm_mode_32 3
		.amdhsa_float_denorm_mode_16_64 3
		.amdhsa_dx10_clamp 1
		.amdhsa_ieee_mode 1
		.amdhsa_fp16_overflow 0
		.amdhsa_tg_split 0
		.amdhsa_exception_fp_ieee_invalid_op 0
		.amdhsa_exception_fp_denorm_src 0
		.amdhsa_exception_fp_ieee_div_zero 0
		.amdhsa_exception_fp_ieee_overflow 0
		.amdhsa_exception_fp_ieee_underflow 0
		.amdhsa_exception_fp_ieee_inexact 0
		.amdhsa_exception_int_div_zero 0
	.end_amdhsa_kernel
	.section	.text._ZN7rocprim17ROCPRIM_400000_NS6detail17trampoline_kernelINS0_14default_configENS1_20scan_config_selectorIyEEZZNS1_9scan_implILNS1_25lookback_scan_determinismE0ELb1ELb1ES3_N6thrust23THRUST_200600_302600_NS6detail15normal_iteratorINS9_10device_ptrIyEEEENS9_16discard_iteratorINS9_11use_defaultEEEy11max_functorIyEyEEDaPvRmT3_T4_T5_mT6_P12ihipStream_tbENKUlT_T0_E_clISt17integral_constantIbLb0EESW_IbLb1EEEEDaSS_ST_EUlSS_E0_NS1_11comp_targetILNS1_3genE9ELNS1_11target_archE1100ELNS1_3gpuE3ELNS1_3repE0EEENS1_30default_config_static_selectorELNS0_4arch9wavefront6targetE1EEEvT1_,"axG",@progbits,_ZN7rocprim17ROCPRIM_400000_NS6detail17trampoline_kernelINS0_14default_configENS1_20scan_config_selectorIyEEZZNS1_9scan_implILNS1_25lookback_scan_determinismE0ELb1ELb1ES3_N6thrust23THRUST_200600_302600_NS6detail15normal_iteratorINS9_10device_ptrIyEEEENS9_16discard_iteratorINS9_11use_defaultEEEy11max_functorIyEyEEDaPvRmT3_T4_T5_mT6_P12ihipStream_tbENKUlT_T0_E_clISt17integral_constantIbLb0EESW_IbLb1EEEEDaSS_ST_EUlSS_E0_NS1_11comp_targetILNS1_3genE9ELNS1_11target_archE1100ELNS1_3gpuE3ELNS1_3repE0EEENS1_30default_config_static_selectorELNS0_4arch9wavefront6targetE1EEEvT1_,comdat
.Lfunc_end3420:
	.size	_ZN7rocprim17ROCPRIM_400000_NS6detail17trampoline_kernelINS0_14default_configENS1_20scan_config_selectorIyEEZZNS1_9scan_implILNS1_25lookback_scan_determinismE0ELb1ELb1ES3_N6thrust23THRUST_200600_302600_NS6detail15normal_iteratorINS9_10device_ptrIyEEEENS9_16discard_iteratorINS9_11use_defaultEEEy11max_functorIyEyEEDaPvRmT3_T4_T5_mT6_P12ihipStream_tbENKUlT_T0_E_clISt17integral_constantIbLb0EESW_IbLb1EEEEDaSS_ST_EUlSS_E0_NS1_11comp_targetILNS1_3genE9ELNS1_11target_archE1100ELNS1_3gpuE3ELNS1_3repE0EEENS1_30default_config_static_selectorELNS0_4arch9wavefront6targetE1EEEvT1_, .Lfunc_end3420-_ZN7rocprim17ROCPRIM_400000_NS6detail17trampoline_kernelINS0_14default_configENS1_20scan_config_selectorIyEEZZNS1_9scan_implILNS1_25lookback_scan_determinismE0ELb1ELb1ES3_N6thrust23THRUST_200600_302600_NS6detail15normal_iteratorINS9_10device_ptrIyEEEENS9_16discard_iteratorINS9_11use_defaultEEEy11max_functorIyEyEEDaPvRmT3_T4_T5_mT6_P12ihipStream_tbENKUlT_T0_E_clISt17integral_constantIbLb0EESW_IbLb1EEEEDaSS_ST_EUlSS_E0_NS1_11comp_targetILNS1_3genE9ELNS1_11target_archE1100ELNS1_3gpuE3ELNS1_3repE0EEENS1_30default_config_static_selectorELNS0_4arch9wavefront6targetE1EEEvT1_
                                        ; -- End function
	.section	.AMDGPU.csdata,"",@progbits
; Kernel info:
; codeLenInByte = 0
; NumSgprs: 4
; NumVgprs: 0
; NumAgprs: 0
; TotalNumVgprs: 0
; ScratchSize: 0
; MemoryBound: 0
; FloatMode: 240
; IeeeMode: 1
; LDSByteSize: 0 bytes/workgroup (compile time only)
; SGPRBlocks: 0
; VGPRBlocks: 0
; NumSGPRsForWavesPerEU: 4
; NumVGPRsForWavesPerEU: 1
; AccumOffset: 4
; Occupancy: 8
; WaveLimiterHint : 0
; COMPUTE_PGM_RSRC2:SCRATCH_EN: 0
; COMPUTE_PGM_RSRC2:USER_SGPR: 6
; COMPUTE_PGM_RSRC2:TRAP_HANDLER: 0
; COMPUTE_PGM_RSRC2:TGID_X_EN: 1
; COMPUTE_PGM_RSRC2:TGID_Y_EN: 0
; COMPUTE_PGM_RSRC2:TGID_Z_EN: 0
; COMPUTE_PGM_RSRC2:TIDIG_COMP_CNT: 0
; COMPUTE_PGM_RSRC3_GFX90A:ACCUM_OFFSET: 0
; COMPUTE_PGM_RSRC3_GFX90A:TG_SPLIT: 0
	.section	.text._ZN7rocprim17ROCPRIM_400000_NS6detail17trampoline_kernelINS0_14default_configENS1_20scan_config_selectorIyEEZZNS1_9scan_implILNS1_25lookback_scan_determinismE0ELb1ELb1ES3_N6thrust23THRUST_200600_302600_NS6detail15normal_iteratorINS9_10device_ptrIyEEEENS9_16discard_iteratorINS9_11use_defaultEEEy11max_functorIyEyEEDaPvRmT3_T4_T5_mT6_P12ihipStream_tbENKUlT_T0_E_clISt17integral_constantIbLb0EESW_IbLb1EEEEDaSS_ST_EUlSS_E0_NS1_11comp_targetILNS1_3genE8ELNS1_11target_archE1030ELNS1_3gpuE2ELNS1_3repE0EEENS1_30default_config_static_selectorELNS0_4arch9wavefront6targetE1EEEvT1_,"axG",@progbits,_ZN7rocprim17ROCPRIM_400000_NS6detail17trampoline_kernelINS0_14default_configENS1_20scan_config_selectorIyEEZZNS1_9scan_implILNS1_25lookback_scan_determinismE0ELb1ELb1ES3_N6thrust23THRUST_200600_302600_NS6detail15normal_iteratorINS9_10device_ptrIyEEEENS9_16discard_iteratorINS9_11use_defaultEEEy11max_functorIyEyEEDaPvRmT3_T4_T5_mT6_P12ihipStream_tbENKUlT_T0_E_clISt17integral_constantIbLb0EESW_IbLb1EEEEDaSS_ST_EUlSS_E0_NS1_11comp_targetILNS1_3genE8ELNS1_11target_archE1030ELNS1_3gpuE2ELNS1_3repE0EEENS1_30default_config_static_selectorELNS0_4arch9wavefront6targetE1EEEvT1_,comdat
	.protected	_ZN7rocprim17ROCPRIM_400000_NS6detail17trampoline_kernelINS0_14default_configENS1_20scan_config_selectorIyEEZZNS1_9scan_implILNS1_25lookback_scan_determinismE0ELb1ELb1ES3_N6thrust23THRUST_200600_302600_NS6detail15normal_iteratorINS9_10device_ptrIyEEEENS9_16discard_iteratorINS9_11use_defaultEEEy11max_functorIyEyEEDaPvRmT3_T4_T5_mT6_P12ihipStream_tbENKUlT_T0_E_clISt17integral_constantIbLb0EESW_IbLb1EEEEDaSS_ST_EUlSS_E0_NS1_11comp_targetILNS1_3genE8ELNS1_11target_archE1030ELNS1_3gpuE2ELNS1_3repE0EEENS1_30default_config_static_selectorELNS0_4arch9wavefront6targetE1EEEvT1_ ; -- Begin function _ZN7rocprim17ROCPRIM_400000_NS6detail17trampoline_kernelINS0_14default_configENS1_20scan_config_selectorIyEEZZNS1_9scan_implILNS1_25lookback_scan_determinismE0ELb1ELb1ES3_N6thrust23THRUST_200600_302600_NS6detail15normal_iteratorINS9_10device_ptrIyEEEENS9_16discard_iteratorINS9_11use_defaultEEEy11max_functorIyEyEEDaPvRmT3_T4_T5_mT6_P12ihipStream_tbENKUlT_T0_E_clISt17integral_constantIbLb0EESW_IbLb1EEEEDaSS_ST_EUlSS_E0_NS1_11comp_targetILNS1_3genE8ELNS1_11target_archE1030ELNS1_3gpuE2ELNS1_3repE0EEENS1_30default_config_static_selectorELNS0_4arch9wavefront6targetE1EEEvT1_
	.globl	_ZN7rocprim17ROCPRIM_400000_NS6detail17trampoline_kernelINS0_14default_configENS1_20scan_config_selectorIyEEZZNS1_9scan_implILNS1_25lookback_scan_determinismE0ELb1ELb1ES3_N6thrust23THRUST_200600_302600_NS6detail15normal_iteratorINS9_10device_ptrIyEEEENS9_16discard_iteratorINS9_11use_defaultEEEy11max_functorIyEyEEDaPvRmT3_T4_T5_mT6_P12ihipStream_tbENKUlT_T0_E_clISt17integral_constantIbLb0EESW_IbLb1EEEEDaSS_ST_EUlSS_E0_NS1_11comp_targetILNS1_3genE8ELNS1_11target_archE1030ELNS1_3gpuE2ELNS1_3repE0EEENS1_30default_config_static_selectorELNS0_4arch9wavefront6targetE1EEEvT1_
	.p2align	8
	.type	_ZN7rocprim17ROCPRIM_400000_NS6detail17trampoline_kernelINS0_14default_configENS1_20scan_config_selectorIyEEZZNS1_9scan_implILNS1_25lookback_scan_determinismE0ELb1ELb1ES3_N6thrust23THRUST_200600_302600_NS6detail15normal_iteratorINS9_10device_ptrIyEEEENS9_16discard_iteratorINS9_11use_defaultEEEy11max_functorIyEyEEDaPvRmT3_T4_T5_mT6_P12ihipStream_tbENKUlT_T0_E_clISt17integral_constantIbLb0EESW_IbLb1EEEEDaSS_ST_EUlSS_E0_NS1_11comp_targetILNS1_3genE8ELNS1_11target_archE1030ELNS1_3gpuE2ELNS1_3repE0EEENS1_30default_config_static_selectorELNS0_4arch9wavefront6targetE1EEEvT1_,@function
_ZN7rocprim17ROCPRIM_400000_NS6detail17trampoline_kernelINS0_14default_configENS1_20scan_config_selectorIyEEZZNS1_9scan_implILNS1_25lookback_scan_determinismE0ELb1ELb1ES3_N6thrust23THRUST_200600_302600_NS6detail15normal_iteratorINS9_10device_ptrIyEEEENS9_16discard_iteratorINS9_11use_defaultEEEy11max_functorIyEyEEDaPvRmT3_T4_T5_mT6_P12ihipStream_tbENKUlT_T0_E_clISt17integral_constantIbLb0EESW_IbLb1EEEEDaSS_ST_EUlSS_E0_NS1_11comp_targetILNS1_3genE8ELNS1_11target_archE1030ELNS1_3gpuE2ELNS1_3repE0EEENS1_30default_config_static_selectorELNS0_4arch9wavefront6targetE1EEEvT1_: ; @_ZN7rocprim17ROCPRIM_400000_NS6detail17trampoline_kernelINS0_14default_configENS1_20scan_config_selectorIyEEZZNS1_9scan_implILNS1_25lookback_scan_determinismE0ELb1ELb1ES3_N6thrust23THRUST_200600_302600_NS6detail15normal_iteratorINS9_10device_ptrIyEEEENS9_16discard_iteratorINS9_11use_defaultEEEy11max_functorIyEyEEDaPvRmT3_T4_T5_mT6_P12ihipStream_tbENKUlT_T0_E_clISt17integral_constantIbLb0EESW_IbLb1EEEEDaSS_ST_EUlSS_E0_NS1_11comp_targetILNS1_3genE8ELNS1_11target_archE1030ELNS1_3gpuE2ELNS1_3repE0EEENS1_30default_config_static_selectorELNS0_4arch9wavefront6targetE1EEEvT1_
; %bb.0:
	.section	.rodata,"a",@progbits
	.p2align	6, 0x0
	.amdhsa_kernel _ZN7rocprim17ROCPRIM_400000_NS6detail17trampoline_kernelINS0_14default_configENS1_20scan_config_selectorIyEEZZNS1_9scan_implILNS1_25lookback_scan_determinismE0ELb1ELb1ES3_N6thrust23THRUST_200600_302600_NS6detail15normal_iteratorINS9_10device_ptrIyEEEENS9_16discard_iteratorINS9_11use_defaultEEEy11max_functorIyEyEEDaPvRmT3_T4_T5_mT6_P12ihipStream_tbENKUlT_T0_E_clISt17integral_constantIbLb0EESW_IbLb1EEEEDaSS_ST_EUlSS_E0_NS1_11comp_targetILNS1_3genE8ELNS1_11target_archE1030ELNS1_3gpuE2ELNS1_3repE0EEENS1_30default_config_static_selectorELNS0_4arch9wavefront6targetE1EEEvT1_
		.amdhsa_group_segment_fixed_size 0
		.amdhsa_private_segment_fixed_size 0
		.amdhsa_kernarg_size 48
		.amdhsa_user_sgpr_count 6
		.amdhsa_user_sgpr_private_segment_buffer 1
		.amdhsa_user_sgpr_dispatch_ptr 0
		.amdhsa_user_sgpr_queue_ptr 0
		.amdhsa_user_sgpr_kernarg_segment_ptr 1
		.amdhsa_user_sgpr_dispatch_id 0
		.amdhsa_user_sgpr_flat_scratch_init 0
		.amdhsa_user_sgpr_kernarg_preload_length 0
		.amdhsa_user_sgpr_kernarg_preload_offset 0
		.amdhsa_user_sgpr_private_segment_size 0
		.amdhsa_uses_dynamic_stack 0
		.amdhsa_system_sgpr_private_segment_wavefront_offset 0
		.amdhsa_system_sgpr_workgroup_id_x 1
		.amdhsa_system_sgpr_workgroup_id_y 0
		.amdhsa_system_sgpr_workgroup_id_z 0
		.amdhsa_system_sgpr_workgroup_info 0
		.amdhsa_system_vgpr_workitem_id 0
		.amdhsa_next_free_vgpr 1
		.amdhsa_next_free_sgpr 0
		.amdhsa_accum_offset 4
		.amdhsa_reserve_vcc 0
		.amdhsa_reserve_flat_scratch 0
		.amdhsa_float_round_mode_32 0
		.amdhsa_float_round_mode_16_64 0
		.amdhsa_float_denorm_mode_32 3
		.amdhsa_float_denorm_mode_16_64 3
		.amdhsa_dx10_clamp 1
		.amdhsa_ieee_mode 1
		.amdhsa_fp16_overflow 0
		.amdhsa_tg_split 0
		.amdhsa_exception_fp_ieee_invalid_op 0
		.amdhsa_exception_fp_denorm_src 0
		.amdhsa_exception_fp_ieee_div_zero 0
		.amdhsa_exception_fp_ieee_overflow 0
		.amdhsa_exception_fp_ieee_underflow 0
		.amdhsa_exception_fp_ieee_inexact 0
		.amdhsa_exception_int_div_zero 0
	.end_amdhsa_kernel
	.section	.text._ZN7rocprim17ROCPRIM_400000_NS6detail17trampoline_kernelINS0_14default_configENS1_20scan_config_selectorIyEEZZNS1_9scan_implILNS1_25lookback_scan_determinismE0ELb1ELb1ES3_N6thrust23THRUST_200600_302600_NS6detail15normal_iteratorINS9_10device_ptrIyEEEENS9_16discard_iteratorINS9_11use_defaultEEEy11max_functorIyEyEEDaPvRmT3_T4_T5_mT6_P12ihipStream_tbENKUlT_T0_E_clISt17integral_constantIbLb0EESW_IbLb1EEEEDaSS_ST_EUlSS_E0_NS1_11comp_targetILNS1_3genE8ELNS1_11target_archE1030ELNS1_3gpuE2ELNS1_3repE0EEENS1_30default_config_static_selectorELNS0_4arch9wavefront6targetE1EEEvT1_,"axG",@progbits,_ZN7rocprim17ROCPRIM_400000_NS6detail17trampoline_kernelINS0_14default_configENS1_20scan_config_selectorIyEEZZNS1_9scan_implILNS1_25lookback_scan_determinismE0ELb1ELb1ES3_N6thrust23THRUST_200600_302600_NS6detail15normal_iteratorINS9_10device_ptrIyEEEENS9_16discard_iteratorINS9_11use_defaultEEEy11max_functorIyEyEEDaPvRmT3_T4_T5_mT6_P12ihipStream_tbENKUlT_T0_E_clISt17integral_constantIbLb0EESW_IbLb1EEEEDaSS_ST_EUlSS_E0_NS1_11comp_targetILNS1_3genE8ELNS1_11target_archE1030ELNS1_3gpuE2ELNS1_3repE0EEENS1_30default_config_static_selectorELNS0_4arch9wavefront6targetE1EEEvT1_,comdat
.Lfunc_end3421:
	.size	_ZN7rocprim17ROCPRIM_400000_NS6detail17trampoline_kernelINS0_14default_configENS1_20scan_config_selectorIyEEZZNS1_9scan_implILNS1_25lookback_scan_determinismE0ELb1ELb1ES3_N6thrust23THRUST_200600_302600_NS6detail15normal_iteratorINS9_10device_ptrIyEEEENS9_16discard_iteratorINS9_11use_defaultEEEy11max_functorIyEyEEDaPvRmT3_T4_T5_mT6_P12ihipStream_tbENKUlT_T0_E_clISt17integral_constantIbLb0EESW_IbLb1EEEEDaSS_ST_EUlSS_E0_NS1_11comp_targetILNS1_3genE8ELNS1_11target_archE1030ELNS1_3gpuE2ELNS1_3repE0EEENS1_30default_config_static_selectorELNS0_4arch9wavefront6targetE1EEEvT1_, .Lfunc_end3421-_ZN7rocprim17ROCPRIM_400000_NS6detail17trampoline_kernelINS0_14default_configENS1_20scan_config_selectorIyEEZZNS1_9scan_implILNS1_25lookback_scan_determinismE0ELb1ELb1ES3_N6thrust23THRUST_200600_302600_NS6detail15normal_iteratorINS9_10device_ptrIyEEEENS9_16discard_iteratorINS9_11use_defaultEEEy11max_functorIyEyEEDaPvRmT3_T4_T5_mT6_P12ihipStream_tbENKUlT_T0_E_clISt17integral_constantIbLb0EESW_IbLb1EEEEDaSS_ST_EUlSS_E0_NS1_11comp_targetILNS1_3genE8ELNS1_11target_archE1030ELNS1_3gpuE2ELNS1_3repE0EEENS1_30default_config_static_selectorELNS0_4arch9wavefront6targetE1EEEvT1_
                                        ; -- End function
	.section	.AMDGPU.csdata,"",@progbits
; Kernel info:
; codeLenInByte = 0
; NumSgprs: 4
; NumVgprs: 0
; NumAgprs: 0
; TotalNumVgprs: 0
; ScratchSize: 0
; MemoryBound: 0
; FloatMode: 240
; IeeeMode: 1
; LDSByteSize: 0 bytes/workgroup (compile time only)
; SGPRBlocks: 0
; VGPRBlocks: 0
; NumSGPRsForWavesPerEU: 4
; NumVGPRsForWavesPerEU: 1
; AccumOffset: 4
; Occupancy: 8
; WaveLimiterHint : 0
; COMPUTE_PGM_RSRC2:SCRATCH_EN: 0
; COMPUTE_PGM_RSRC2:USER_SGPR: 6
; COMPUTE_PGM_RSRC2:TRAP_HANDLER: 0
; COMPUTE_PGM_RSRC2:TGID_X_EN: 1
; COMPUTE_PGM_RSRC2:TGID_Y_EN: 0
; COMPUTE_PGM_RSRC2:TGID_Z_EN: 0
; COMPUTE_PGM_RSRC2:TIDIG_COMP_CNT: 0
; COMPUTE_PGM_RSRC3_GFX90A:ACCUM_OFFSET: 0
; COMPUTE_PGM_RSRC3_GFX90A:TG_SPLIT: 0
	.section	.text._ZN7rocprim17ROCPRIM_400000_NS6detail17trampoline_kernelINS0_14default_configENS1_20scan_config_selectorIjEEZZNS1_9scan_implILNS1_25lookback_scan_determinismE0ELb0ELb0ES3_N6thrust23THRUST_200600_302600_NS6detail15normal_iteratorINS9_10device_ptrIjEEEENS9_16discard_iteratorINS9_11use_defaultEEEj11max_functorIjEjEEDaPvRmT3_T4_T5_mT6_P12ihipStream_tbENKUlT_T0_E_clISt17integral_constantIbLb0EESX_EEDaSS_ST_EUlSS_E_NS1_11comp_targetILNS1_3genE0ELNS1_11target_archE4294967295ELNS1_3gpuE0ELNS1_3repE0EEENS1_30default_config_static_selectorELNS0_4arch9wavefront6targetE1EEEvT1_,"axG",@progbits,_ZN7rocprim17ROCPRIM_400000_NS6detail17trampoline_kernelINS0_14default_configENS1_20scan_config_selectorIjEEZZNS1_9scan_implILNS1_25lookback_scan_determinismE0ELb0ELb0ES3_N6thrust23THRUST_200600_302600_NS6detail15normal_iteratorINS9_10device_ptrIjEEEENS9_16discard_iteratorINS9_11use_defaultEEEj11max_functorIjEjEEDaPvRmT3_T4_T5_mT6_P12ihipStream_tbENKUlT_T0_E_clISt17integral_constantIbLb0EESX_EEDaSS_ST_EUlSS_E_NS1_11comp_targetILNS1_3genE0ELNS1_11target_archE4294967295ELNS1_3gpuE0ELNS1_3repE0EEENS1_30default_config_static_selectorELNS0_4arch9wavefront6targetE1EEEvT1_,comdat
	.protected	_ZN7rocprim17ROCPRIM_400000_NS6detail17trampoline_kernelINS0_14default_configENS1_20scan_config_selectorIjEEZZNS1_9scan_implILNS1_25lookback_scan_determinismE0ELb0ELb0ES3_N6thrust23THRUST_200600_302600_NS6detail15normal_iteratorINS9_10device_ptrIjEEEENS9_16discard_iteratorINS9_11use_defaultEEEj11max_functorIjEjEEDaPvRmT3_T4_T5_mT6_P12ihipStream_tbENKUlT_T0_E_clISt17integral_constantIbLb0EESX_EEDaSS_ST_EUlSS_E_NS1_11comp_targetILNS1_3genE0ELNS1_11target_archE4294967295ELNS1_3gpuE0ELNS1_3repE0EEENS1_30default_config_static_selectorELNS0_4arch9wavefront6targetE1EEEvT1_ ; -- Begin function _ZN7rocprim17ROCPRIM_400000_NS6detail17trampoline_kernelINS0_14default_configENS1_20scan_config_selectorIjEEZZNS1_9scan_implILNS1_25lookback_scan_determinismE0ELb0ELb0ES3_N6thrust23THRUST_200600_302600_NS6detail15normal_iteratorINS9_10device_ptrIjEEEENS9_16discard_iteratorINS9_11use_defaultEEEj11max_functorIjEjEEDaPvRmT3_T4_T5_mT6_P12ihipStream_tbENKUlT_T0_E_clISt17integral_constantIbLb0EESX_EEDaSS_ST_EUlSS_E_NS1_11comp_targetILNS1_3genE0ELNS1_11target_archE4294967295ELNS1_3gpuE0ELNS1_3repE0EEENS1_30default_config_static_selectorELNS0_4arch9wavefront6targetE1EEEvT1_
	.globl	_ZN7rocprim17ROCPRIM_400000_NS6detail17trampoline_kernelINS0_14default_configENS1_20scan_config_selectorIjEEZZNS1_9scan_implILNS1_25lookback_scan_determinismE0ELb0ELb0ES3_N6thrust23THRUST_200600_302600_NS6detail15normal_iteratorINS9_10device_ptrIjEEEENS9_16discard_iteratorINS9_11use_defaultEEEj11max_functorIjEjEEDaPvRmT3_T4_T5_mT6_P12ihipStream_tbENKUlT_T0_E_clISt17integral_constantIbLb0EESX_EEDaSS_ST_EUlSS_E_NS1_11comp_targetILNS1_3genE0ELNS1_11target_archE4294967295ELNS1_3gpuE0ELNS1_3repE0EEENS1_30default_config_static_selectorELNS0_4arch9wavefront6targetE1EEEvT1_
	.p2align	8
	.type	_ZN7rocprim17ROCPRIM_400000_NS6detail17trampoline_kernelINS0_14default_configENS1_20scan_config_selectorIjEEZZNS1_9scan_implILNS1_25lookback_scan_determinismE0ELb0ELb0ES3_N6thrust23THRUST_200600_302600_NS6detail15normal_iteratorINS9_10device_ptrIjEEEENS9_16discard_iteratorINS9_11use_defaultEEEj11max_functorIjEjEEDaPvRmT3_T4_T5_mT6_P12ihipStream_tbENKUlT_T0_E_clISt17integral_constantIbLb0EESX_EEDaSS_ST_EUlSS_E_NS1_11comp_targetILNS1_3genE0ELNS1_11target_archE4294967295ELNS1_3gpuE0ELNS1_3repE0EEENS1_30default_config_static_selectorELNS0_4arch9wavefront6targetE1EEEvT1_,@function
_ZN7rocprim17ROCPRIM_400000_NS6detail17trampoline_kernelINS0_14default_configENS1_20scan_config_selectorIjEEZZNS1_9scan_implILNS1_25lookback_scan_determinismE0ELb0ELb0ES3_N6thrust23THRUST_200600_302600_NS6detail15normal_iteratorINS9_10device_ptrIjEEEENS9_16discard_iteratorINS9_11use_defaultEEEj11max_functorIjEjEEDaPvRmT3_T4_T5_mT6_P12ihipStream_tbENKUlT_T0_E_clISt17integral_constantIbLb0EESX_EEDaSS_ST_EUlSS_E_NS1_11comp_targetILNS1_3genE0ELNS1_11target_archE4294967295ELNS1_3gpuE0ELNS1_3repE0EEENS1_30default_config_static_selectorELNS0_4arch9wavefront6targetE1EEEvT1_: ; @_ZN7rocprim17ROCPRIM_400000_NS6detail17trampoline_kernelINS0_14default_configENS1_20scan_config_selectorIjEEZZNS1_9scan_implILNS1_25lookback_scan_determinismE0ELb0ELb0ES3_N6thrust23THRUST_200600_302600_NS6detail15normal_iteratorINS9_10device_ptrIjEEEENS9_16discard_iteratorINS9_11use_defaultEEEj11max_functorIjEjEEDaPvRmT3_T4_T5_mT6_P12ihipStream_tbENKUlT_T0_E_clISt17integral_constantIbLb0EESX_EEDaSS_ST_EUlSS_E_NS1_11comp_targetILNS1_3genE0ELNS1_11target_archE4294967295ELNS1_3gpuE0ELNS1_3repE0EEENS1_30default_config_static_selectorELNS0_4arch9wavefront6targetE1EEEvT1_
; %bb.0:
	.section	.rodata,"a",@progbits
	.p2align	6, 0x0
	.amdhsa_kernel _ZN7rocprim17ROCPRIM_400000_NS6detail17trampoline_kernelINS0_14default_configENS1_20scan_config_selectorIjEEZZNS1_9scan_implILNS1_25lookback_scan_determinismE0ELb0ELb0ES3_N6thrust23THRUST_200600_302600_NS6detail15normal_iteratorINS9_10device_ptrIjEEEENS9_16discard_iteratorINS9_11use_defaultEEEj11max_functorIjEjEEDaPvRmT3_T4_T5_mT6_P12ihipStream_tbENKUlT_T0_E_clISt17integral_constantIbLb0EESX_EEDaSS_ST_EUlSS_E_NS1_11comp_targetILNS1_3genE0ELNS1_11target_archE4294967295ELNS1_3gpuE0ELNS1_3repE0EEENS1_30default_config_static_selectorELNS0_4arch9wavefront6targetE1EEEvT1_
		.amdhsa_group_segment_fixed_size 0
		.amdhsa_private_segment_fixed_size 0
		.amdhsa_kernarg_size 104
		.amdhsa_user_sgpr_count 6
		.amdhsa_user_sgpr_private_segment_buffer 1
		.amdhsa_user_sgpr_dispatch_ptr 0
		.amdhsa_user_sgpr_queue_ptr 0
		.amdhsa_user_sgpr_kernarg_segment_ptr 1
		.amdhsa_user_sgpr_dispatch_id 0
		.amdhsa_user_sgpr_flat_scratch_init 0
		.amdhsa_user_sgpr_kernarg_preload_length 0
		.amdhsa_user_sgpr_kernarg_preload_offset 0
		.amdhsa_user_sgpr_private_segment_size 0
		.amdhsa_uses_dynamic_stack 0
		.amdhsa_system_sgpr_private_segment_wavefront_offset 0
		.amdhsa_system_sgpr_workgroup_id_x 1
		.amdhsa_system_sgpr_workgroup_id_y 0
		.amdhsa_system_sgpr_workgroup_id_z 0
		.amdhsa_system_sgpr_workgroup_info 0
		.amdhsa_system_vgpr_workitem_id 0
		.amdhsa_next_free_vgpr 1
		.amdhsa_next_free_sgpr 0
		.amdhsa_accum_offset 4
		.amdhsa_reserve_vcc 0
		.amdhsa_reserve_flat_scratch 0
		.amdhsa_float_round_mode_32 0
		.amdhsa_float_round_mode_16_64 0
		.amdhsa_float_denorm_mode_32 3
		.amdhsa_float_denorm_mode_16_64 3
		.amdhsa_dx10_clamp 1
		.amdhsa_ieee_mode 1
		.amdhsa_fp16_overflow 0
		.amdhsa_tg_split 0
		.amdhsa_exception_fp_ieee_invalid_op 0
		.amdhsa_exception_fp_denorm_src 0
		.amdhsa_exception_fp_ieee_div_zero 0
		.amdhsa_exception_fp_ieee_overflow 0
		.amdhsa_exception_fp_ieee_underflow 0
		.amdhsa_exception_fp_ieee_inexact 0
		.amdhsa_exception_int_div_zero 0
	.end_amdhsa_kernel
	.section	.text._ZN7rocprim17ROCPRIM_400000_NS6detail17trampoline_kernelINS0_14default_configENS1_20scan_config_selectorIjEEZZNS1_9scan_implILNS1_25lookback_scan_determinismE0ELb0ELb0ES3_N6thrust23THRUST_200600_302600_NS6detail15normal_iteratorINS9_10device_ptrIjEEEENS9_16discard_iteratorINS9_11use_defaultEEEj11max_functorIjEjEEDaPvRmT3_T4_T5_mT6_P12ihipStream_tbENKUlT_T0_E_clISt17integral_constantIbLb0EESX_EEDaSS_ST_EUlSS_E_NS1_11comp_targetILNS1_3genE0ELNS1_11target_archE4294967295ELNS1_3gpuE0ELNS1_3repE0EEENS1_30default_config_static_selectorELNS0_4arch9wavefront6targetE1EEEvT1_,"axG",@progbits,_ZN7rocprim17ROCPRIM_400000_NS6detail17trampoline_kernelINS0_14default_configENS1_20scan_config_selectorIjEEZZNS1_9scan_implILNS1_25lookback_scan_determinismE0ELb0ELb0ES3_N6thrust23THRUST_200600_302600_NS6detail15normal_iteratorINS9_10device_ptrIjEEEENS9_16discard_iteratorINS9_11use_defaultEEEj11max_functorIjEjEEDaPvRmT3_T4_T5_mT6_P12ihipStream_tbENKUlT_T0_E_clISt17integral_constantIbLb0EESX_EEDaSS_ST_EUlSS_E_NS1_11comp_targetILNS1_3genE0ELNS1_11target_archE4294967295ELNS1_3gpuE0ELNS1_3repE0EEENS1_30default_config_static_selectorELNS0_4arch9wavefront6targetE1EEEvT1_,comdat
.Lfunc_end3422:
	.size	_ZN7rocprim17ROCPRIM_400000_NS6detail17trampoline_kernelINS0_14default_configENS1_20scan_config_selectorIjEEZZNS1_9scan_implILNS1_25lookback_scan_determinismE0ELb0ELb0ES3_N6thrust23THRUST_200600_302600_NS6detail15normal_iteratorINS9_10device_ptrIjEEEENS9_16discard_iteratorINS9_11use_defaultEEEj11max_functorIjEjEEDaPvRmT3_T4_T5_mT6_P12ihipStream_tbENKUlT_T0_E_clISt17integral_constantIbLb0EESX_EEDaSS_ST_EUlSS_E_NS1_11comp_targetILNS1_3genE0ELNS1_11target_archE4294967295ELNS1_3gpuE0ELNS1_3repE0EEENS1_30default_config_static_selectorELNS0_4arch9wavefront6targetE1EEEvT1_, .Lfunc_end3422-_ZN7rocprim17ROCPRIM_400000_NS6detail17trampoline_kernelINS0_14default_configENS1_20scan_config_selectorIjEEZZNS1_9scan_implILNS1_25lookback_scan_determinismE0ELb0ELb0ES3_N6thrust23THRUST_200600_302600_NS6detail15normal_iteratorINS9_10device_ptrIjEEEENS9_16discard_iteratorINS9_11use_defaultEEEj11max_functorIjEjEEDaPvRmT3_T4_T5_mT6_P12ihipStream_tbENKUlT_T0_E_clISt17integral_constantIbLb0EESX_EEDaSS_ST_EUlSS_E_NS1_11comp_targetILNS1_3genE0ELNS1_11target_archE4294967295ELNS1_3gpuE0ELNS1_3repE0EEENS1_30default_config_static_selectorELNS0_4arch9wavefront6targetE1EEEvT1_
                                        ; -- End function
	.section	.AMDGPU.csdata,"",@progbits
; Kernel info:
; codeLenInByte = 0
; NumSgprs: 4
; NumVgprs: 0
; NumAgprs: 0
; TotalNumVgprs: 0
; ScratchSize: 0
; MemoryBound: 0
; FloatMode: 240
; IeeeMode: 1
; LDSByteSize: 0 bytes/workgroup (compile time only)
; SGPRBlocks: 0
; VGPRBlocks: 0
; NumSGPRsForWavesPerEU: 4
; NumVGPRsForWavesPerEU: 1
; AccumOffset: 4
; Occupancy: 8
; WaveLimiterHint : 0
; COMPUTE_PGM_RSRC2:SCRATCH_EN: 0
; COMPUTE_PGM_RSRC2:USER_SGPR: 6
; COMPUTE_PGM_RSRC2:TRAP_HANDLER: 0
; COMPUTE_PGM_RSRC2:TGID_X_EN: 1
; COMPUTE_PGM_RSRC2:TGID_Y_EN: 0
; COMPUTE_PGM_RSRC2:TGID_Z_EN: 0
; COMPUTE_PGM_RSRC2:TIDIG_COMP_CNT: 0
; COMPUTE_PGM_RSRC3_GFX90A:ACCUM_OFFSET: 0
; COMPUTE_PGM_RSRC3_GFX90A:TG_SPLIT: 0
	.section	.text._ZN7rocprim17ROCPRIM_400000_NS6detail17trampoline_kernelINS0_14default_configENS1_20scan_config_selectorIjEEZZNS1_9scan_implILNS1_25lookback_scan_determinismE0ELb0ELb0ES3_N6thrust23THRUST_200600_302600_NS6detail15normal_iteratorINS9_10device_ptrIjEEEENS9_16discard_iteratorINS9_11use_defaultEEEj11max_functorIjEjEEDaPvRmT3_T4_T5_mT6_P12ihipStream_tbENKUlT_T0_E_clISt17integral_constantIbLb0EESX_EEDaSS_ST_EUlSS_E_NS1_11comp_targetILNS1_3genE5ELNS1_11target_archE942ELNS1_3gpuE9ELNS1_3repE0EEENS1_30default_config_static_selectorELNS0_4arch9wavefront6targetE1EEEvT1_,"axG",@progbits,_ZN7rocprim17ROCPRIM_400000_NS6detail17trampoline_kernelINS0_14default_configENS1_20scan_config_selectorIjEEZZNS1_9scan_implILNS1_25lookback_scan_determinismE0ELb0ELb0ES3_N6thrust23THRUST_200600_302600_NS6detail15normal_iteratorINS9_10device_ptrIjEEEENS9_16discard_iteratorINS9_11use_defaultEEEj11max_functorIjEjEEDaPvRmT3_T4_T5_mT6_P12ihipStream_tbENKUlT_T0_E_clISt17integral_constantIbLb0EESX_EEDaSS_ST_EUlSS_E_NS1_11comp_targetILNS1_3genE5ELNS1_11target_archE942ELNS1_3gpuE9ELNS1_3repE0EEENS1_30default_config_static_selectorELNS0_4arch9wavefront6targetE1EEEvT1_,comdat
	.protected	_ZN7rocprim17ROCPRIM_400000_NS6detail17trampoline_kernelINS0_14default_configENS1_20scan_config_selectorIjEEZZNS1_9scan_implILNS1_25lookback_scan_determinismE0ELb0ELb0ES3_N6thrust23THRUST_200600_302600_NS6detail15normal_iteratorINS9_10device_ptrIjEEEENS9_16discard_iteratorINS9_11use_defaultEEEj11max_functorIjEjEEDaPvRmT3_T4_T5_mT6_P12ihipStream_tbENKUlT_T0_E_clISt17integral_constantIbLb0EESX_EEDaSS_ST_EUlSS_E_NS1_11comp_targetILNS1_3genE5ELNS1_11target_archE942ELNS1_3gpuE9ELNS1_3repE0EEENS1_30default_config_static_selectorELNS0_4arch9wavefront6targetE1EEEvT1_ ; -- Begin function _ZN7rocprim17ROCPRIM_400000_NS6detail17trampoline_kernelINS0_14default_configENS1_20scan_config_selectorIjEEZZNS1_9scan_implILNS1_25lookback_scan_determinismE0ELb0ELb0ES3_N6thrust23THRUST_200600_302600_NS6detail15normal_iteratorINS9_10device_ptrIjEEEENS9_16discard_iteratorINS9_11use_defaultEEEj11max_functorIjEjEEDaPvRmT3_T4_T5_mT6_P12ihipStream_tbENKUlT_T0_E_clISt17integral_constantIbLb0EESX_EEDaSS_ST_EUlSS_E_NS1_11comp_targetILNS1_3genE5ELNS1_11target_archE942ELNS1_3gpuE9ELNS1_3repE0EEENS1_30default_config_static_selectorELNS0_4arch9wavefront6targetE1EEEvT1_
	.globl	_ZN7rocprim17ROCPRIM_400000_NS6detail17trampoline_kernelINS0_14default_configENS1_20scan_config_selectorIjEEZZNS1_9scan_implILNS1_25lookback_scan_determinismE0ELb0ELb0ES3_N6thrust23THRUST_200600_302600_NS6detail15normal_iteratorINS9_10device_ptrIjEEEENS9_16discard_iteratorINS9_11use_defaultEEEj11max_functorIjEjEEDaPvRmT3_T4_T5_mT6_P12ihipStream_tbENKUlT_T0_E_clISt17integral_constantIbLb0EESX_EEDaSS_ST_EUlSS_E_NS1_11comp_targetILNS1_3genE5ELNS1_11target_archE942ELNS1_3gpuE9ELNS1_3repE0EEENS1_30default_config_static_selectorELNS0_4arch9wavefront6targetE1EEEvT1_
	.p2align	8
	.type	_ZN7rocprim17ROCPRIM_400000_NS6detail17trampoline_kernelINS0_14default_configENS1_20scan_config_selectorIjEEZZNS1_9scan_implILNS1_25lookback_scan_determinismE0ELb0ELb0ES3_N6thrust23THRUST_200600_302600_NS6detail15normal_iteratorINS9_10device_ptrIjEEEENS9_16discard_iteratorINS9_11use_defaultEEEj11max_functorIjEjEEDaPvRmT3_T4_T5_mT6_P12ihipStream_tbENKUlT_T0_E_clISt17integral_constantIbLb0EESX_EEDaSS_ST_EUlSS_E_NS1_11comp_targetILNS1_3genE5ELNS1_11target_archE942ELNS1_3gpuE9ELNS1_3repE0EEENS1_30default_config_static_selectorELNS0_4arch9wavefront6targetE1EEEvT1_,@function
_ZN7rocprim17ROCPRIM_400000_NS6detail17trampoline_kernelINS0_14default_configENS1_20scan_config_selectorIjEEZZNS1_9scan_implILNS1_25lookback_scan_determinismE0ELb0ELb0ES3_N6thrust23THRUST_200600_302600_NS6detail15normal_iteratorINS9_10device_ptrIjEEEENS9_16discard_iteratorINS9_11use_defaultEEEj11max_functorIjEjEEDaPvRmT3_T4_T5_mT6_P12ihipStream_tbENKUlT_T0_E_clISt17integral_constantIbLb0EESX_EEDaSS_ST_EUlSS_E_NS1_11comp_targetILNS1_3genE5ELNS1_11target_archE942ELNS1_3gpuE9ELNS1_3repE0EEENS1_30default_config_static_selectorELNS0_4arch9wavefront6targetE1EEEvT1_: ; @_ZN7rocprim17ROCPRIM_400000_NS6detail17trampoline_kernelINS0_14default_configENS1_20scan_config_selectorIjEEZZNS1_9scan_implILNS1_25lookback_scan_determinismE0ELb0ELb0ES3_N6thrust23THRUST_200600_302600_NS6detail15normal_iteratorINS9_10device_ptrIjEEEENS9_16discard_iteratorINS9_11use_defaultEEEj11max_functorIjEjEEDaPvRmT3_T4_T5_mT6_P12ihipStream_tbENKUlT_T0_E_clISt17integral_constantIbLb0EESX_EEDaSS_ST_EUlSS_E_NS1_11comp_targetILNS1_3genE5ELNS1_11target_archE942ELNS1_3gpuE9ELNS1_3repE0EEENS1_30default_config_static_selectorELNS0_4arch9wavefront6targetE1EEEvT1_
; %bb.0:
	.section	.rodata,"a",@progbits
	.p2align	6, 0x0
	.amdhsa_kernel _ZN7rocprim17ROCPRIM_400000_NS6detail17trampoline_kernelINS0_14default_configENS1_20scan_config_selectorIjEEZZNS1_9scan_implILNS1_25lookback_scan_determinismE0ELb0ELb0ES3_N6thrust23THRUST_200600_302600_NS6detail15normal_iteratorINS9_10device_ptrIjEEEENS9_16discard_iteratorINS9_11use_defaultEEEj11max_functorIjEjEEDaPvRmT3_T4_T5_mT6_P12ihipStream_tbENKUlT_T0_E_clISt17integral_constantIbLb0EESX_EEDaSS_ST_EUlSS_E_NS1_11comp_targetILNS1_3genE5ELNS1_11target_archE942ELNS1_3gpuE9ELNS1_3repE0EEENS1_30default_config_static_selectorELNS0_4arch9wavefront6targetE1EEEvT1_
		.amdhsa_group_segment_fixed_size 0
		.amdhsa_private_segment_fixed_size 0
		.amdhsa_kernarg_size 104
		.amdhsa_user_sgpr_count 6
		.amdhsa_user_sgpr_private_segment_buffer 1
		.amdhsa_user_sgpr_dispatch_ptr 0
		.amdhsa_user_sgpr_queue_ptr 0
		.amdhsa_user_sgpr_kernarg_segment_ptr 1
		.amdhsa_user_sgpr_dispatch_id 0
		.amdhsa_user_sgpr_flat_scratch_init 0
		.amdhsa_user_sgpr_kernarg_preload_length 0
		.amdhsa_user_sgpr_kernarg_preload_offset 0
		.amdhsa_user_sgpr_private_segment_size 0
		.amdhsa_uses_dynamic_stack 0
		.amdhsa_system_sgpr_private_segment_wavefront_offset 0
		.amdhsa_system_sgpr_workgroup_id_x 1
		.amdhsa_system_sgpr_workgroup_id_y 0
		.amdhsa_system_sgpr_workgroup_id_z 0
		.amdhsa_system_sgpr_workgroup_info 0
		.amdhsa_system_vgpr_workitem_id 0
		.amdhsa_next_free_vgpr 1
		.amdhsa_next_free_sgpr 0
		.amdhsa_accum_offset 4
		.amdhsa_reserve_vcc 0
		.amdhsa_reserve_flat_scratch 0
		.amdhsa_float_round_mode_32 0
		.amdhsa_float_round_mode_16_64 0
		.amdhsa_float_denorm_mode_32 3
		.amdhsa_float_denorm_mode_16_64 3
		.amdhsa_dx10_clamp 1
		.amdhsa_ieee_mode 1
		.amdhsa_fp16_overflow 0
		.amdhsa_tg_split 0
		.amdhsa_exception_fp_ieee_invalid_op 0
		.amdhsa_exception_fp_denorm_src 0
		.amdhsa_exception_fp_ieee_div_zero 0
		.amdhsa_exception_fp_ieee_overflow 0
		.amdhsa_exception_fp_ieee_underflow 0
		.amdhsa_exception_fp_ieee_inexact 0
		.amdhsa_exception_int_div_zero 0
	.end_amdhsa_kernel
	.section	.text._ZN7rocprim17ROCPRIM_400000_NS6detail17trampoline_kernelINS0_14default_configENS1_20scan_config_selectorIjEEZZNS1_9scan_implILNS1_25lookback_scan_determinismE0ELb0ELb0ES3_N6thrust23THRUST_200600_302600_NS6detail15normal_iteratorINS9_10device_ptrIjEEEENS9_16discard_iteratorINS9_11use_defaultEEEj11max_functorIjEjEEDaPvRmT3_T4_T5_mT6_P12ihipStream_tbENKUlT_T0_E_clISt17integral_constantIbLb0EESX_EEDaSS_ST_EUlSS_E_NS1_11comp_targetILNS1_3genE5ELNS1_11target_archE942ELNS1_3gpuE9ELNS1_3repE0EEENS1_30default_config_static_selectorELNS0_4arch9wavefront6targetE1EEEvT1_,"axG",@progbits,_ZN7rocprim17ROCPRIM_400000_NS6detail17trampoline_kernelINS0_14default_configENS1_20scan_config_selectorIjEEZZNS1_9scan_implILNS1_25lookback_scan_determinismE0ELb0ELb0ES3_N6thrust23THRUST_200600_302600_NS6detail15normal_iteratorINS9_10device_ptrIjEEEENS9_16discard_iteratorINS9_11use_defaultEEEj11max_functorIjEjEEDaPvRmT3_T4_T5_mT6_P12ihipStream_tbENKUlT_T0_E_clISt17integral_constantIbLb0EESX_EEDaSS_ST_EUlSS_E_NS1_11comp_targetILNS1_3genE5ELNS1_11target_archE942ELNS1_3gpuE9ELNS1_3repE0EEENS1_30default_config_static_selectorELNS0_4arch9wavefront6targetE1EEEvT1_,comdat
.Lfunc_end3423:
	.size	_ZN7rocprim17ROCPRIM_400000_NS6detail17trampoline_kernelINS0_14default_configENS1_20scan_config_selectorIjEEZZNS1_9scan_implILNS1_25lookback_scan_determinismE0ELb0ELb0ES3_N6thrust23THRUST_200600_302600_NS6detail15normal_iteratorINS9_10device_ptrIjEEEENS9_16discard_iteratorINS9_11use_defaultEEEj11max_functorIjEjEEDaPvRmT3_T4_T5_mT6_P12ihipStream_tbENKUlT_T0_E_clISt17integral_constantIbLb0EESX_EEDaSS_ST_EUlSS_E_NS1_11comp_targetILNS1_3genE5ELNS1_11target_archE942ELNS1_3gpuE9ELNS1_3repE0EEENS1_30default_config_static_selectorELNS0_4arch9wavefront6targetE1EEEvT1_, .Lfunc_end3423-_ZN7rocprim17ROCPRIM_400000_NS6detail17trampoline_kernelINS0_14default_configENS1_20scan_config_selectorIjEEZZNS1_9scan_implILNS1_25lookback_scan_determinismE0ELb0ELb0ES3_N6thrust23THRUST_200600_302600_NS6detail15normal_iteratorINS9_10device_ptrIjEEEENS9_16discard_iteratorINS9_11use_defaultEEEj11max_functorIjEjEEDaPvRmT3_T4_T5_mT6_P12ihipStream_tbENKUlT_T0_E_clISt17integral_constantIbLb0EESX_EEDaSS_ST_EUlSS_E_NS1_11comp_targetILNS1_3genE5ELNS1_11target_archE942ELNS1_3gpuE9ELNS1_3repE0EEENS1_30default_config_static_selectorELNS0_4arch9wavefront6targetE1EEEvT1_
                                        ; -- End function
	.section	.AMDGPU.csdata,"",@progbits
; Kernel info:
; codeLenInByte = 0
; NumSgprs: 4
; NumVgprs: 0
; NumAgprs: 0
; TotalNumVgprs: 0
; ScratchSize: 0
; MemoryBound: 0
; FloatMode: 240
; IeeeMode: 1
; LDSByteSize: 0 bytes/workgroup (compile time only)
; SGPRBlocks: 0
; VGPRBlocks: 0
; NumSGPRsForWavesPerEU: 4
; NumVGPRsForWavesPerEU: 1
; AccumOffset: 4
; Occupancy: 8
; WaveLimiterHint : 0
; COMPUTE_PGM_RSRC2:SCRATCH_EN: 0
; COMPUTE_PGM_RSRC2:USER_SGPR: 6
; COMPUTE_PGM_RSRC2:TRAP_HANDLER: 0
; COMPUTE_PGM_RSRC2:TGID_X_EN: 1
; COMPUTE_PGM_RSRC2:TGID_Y_EN: 0
; COMPUTE_PGM_RSRC2:TGID_Z_EN: 0
; COMPUTE_PGM_RSRC2:TIDIG_COMP_CNT: 0
; COMPUTE_PGM_RSRC3_GFX90A:ACCUM_OFFSET: 0
; COMPUTE_PGM_RSRC3_GFX90A:TG_SPLIT: 0
	.section	.text._ZN7rocprim17ROCPRIM_400000_NS6detail17trampoline_kernelINS0_14default_configENS1_20scan_config_selectorIjEEZZNS1_9scan_implILNS1_25lookback_scan_determinismE0ELb0ELb0ES3_N6thrust23THRUST_200600_302600_NS6detail15normal_iteratorINS9_10device_ptrIjEEEENS9_16discard_iteratorINS9_11use_defaultEEEj11max_functorIjEjEEDaPvRmT3_T4_T5_mT6_P12ihipStream_tbENKUlT_T0_E_clISt17integral_constantIbLb0EESX_EEDaSS_ST_EUlSS_E_NS1_11comp_targetILNS1_3genE4ELNS1_11target_archE910ELNS1_3gpuE8ELNS1_3repE0EEENS1_30default_config_static_selectorELNS0_4arch9wavefront6targetE1EEEvT1_,"axG",@progbits,_ZN7rocprim17ROCPRIM_400000_NS6detail17trampoline_kernelINS0_14default_configENS1_20scan_config_selectorIjEEZZNS1_9scan_implILNS1_25lookback_scan_determinismE0ELb0ELb0ES3_N6thrust23THRUST_200600_302600_NS6detail15normal_iteratorINS9_10device_ptrIjEEEENS9_16discard_iteratorINS9_11use_defaultEEEj11max_functorIjEjEEDaPvRmT3_T4_T5_mT6_P12ihipStream_tbENKUlT_T0_E_clISt17integral_constantIbLb0EESX_EEDaSS_ST_EUlSS_E_NS1_11comp_targetILNS1_3genE4ELNS1_11target_archE910ELNS1_3gpuE8ELNS1_3repE0EEENS1_30default_config_static_selectorELNS0_4arch9wavefront6targetE1EEEvT1_,comdat
	.protected	_ZN7rocprim17ROCPRIM_400000_NS6detail17trampoline_kernelINS0_14default_configENS1_20scan_config_selectorIjEEZZNS1_9scan_implILNS1_25lookback_scan_determinismE0ELb0ELb0ES3_N6thrust23THRUST_200600_302600_NS6detail15normal_iteratorINS9_10device_ptrIjEEEENS9_16discard_iteratorINS9_11use_defaultEEEj11max_functorIjEjEEDaPvRmT3_T4_T5_mT6_P12ihipStream_tbENKUlT_T0_E_clISt17integral_constantIbLb0EESX_EEDaSS_ST_EUlSS_E_NS1_11comp_targetILNS1_3genE4ELNS1_11target_archE910ELNS1_3gpuE8ELNS1_3repE0EEENS1_30default_config_static_selectorELNS0_4arch9wavefront6targetE1EEEvT1_ ; -- Begin function _ZN7rocprim17ROCPRIM_400000_NS6detail17trampoline_kernelINS0_14default_configENS1_20scan_config_selectorIjEEZZNS1_9scan_implILNS1_25lookback_scan_determinismE0ELb0ELb0ES3_N6thrust23THRUST_200600_302600_NS6detail15normal_iteratorINS9_10device_ptrIjEEEENS9_16discard_iteratorINS9_11use_defaultEEEj11max_functorIjEjEEDaPvRmT3_T4_T5_mT6_P12ihipStream_tbENKUlT_T0_E_clISt17integral_constantIbLb0EESX_EEDaSS_ST_EUlSS_E_NS1_11comp_targetILNS1_3genE4ELNS1_11target_archE910ELNS1_3gpuE8ELNS1_3repE0EEENS1_30default_config_static_selectorELNS0_4arch9wavefront6targetE1EEEvT1_
	.globl	_ZN7rocprim17ROCPRIM_400000_NS6detail17trampoline_kernelINS0_14default_configENS1_20scan_config_selectorIjEEZZNS1_9scan_implILNS1_25lookback_scan_determinismE0ELb0ELb0ES3_N6thrust23THRUST_200600_302600_NS6detail15normal_iteratorINS9_10device_ptrIjEEEENS9_16discard_iteratorINS9_11use_defaultEEEj11max_functorIjEjEEDaPvRmT3_T4_T5_mT6_P12ihipStream_tbENKUlT_T0_E_clISt17integral_constantIbLb0EESX_EEDaSS_ST_EUlSS_E_NS1_11comp_targetILNS1_3genE4ELNS1_11target_archE910ELNS1_3gpuE8ELNS1_3repE0EEENS1_30default_config_static_selectorELNS0_4arch9wavefront6targetE1EEEvT1_
	.p2align	8
	.type	_ZN7rocprim17ROCPRIM_400000_NS6detail17trampoline_kernelINS0_14default_configENS1_20scan_config_selectorIjEEZZNS1_9scan_implILNS1_25lookback_scan_determinismE0ELb0ELb0ES3_N6thrust23THRUST_200600_302600_NS6detail15normal_iteratorINS9_10device_ptrIjEEEENS9_16discard_iteratorINS9_11use_defaultEEEj11max_functorIjEjEEDaPvRmT3_T4_T5_mT6_P12ihipStream_tbENKUlT_T0_E_clISt17integral_constantIbLb0EESX_EEDaSS_ST_EUlSS_E_NS1_11comp_targetILNS1_3genE4ELNS1_11target_archE910ELNS1_3gpuE8ELNS1_3repE0EEENS1_30default_config_static_selectorELNS0_4arch9wavefront6targetE1EEEvT1_,@function
_ZN7rocprim17ROCPRIM_400000_NS6detail17trampoline_kernelINS0_14default_configENS1_20scan_config_selectorIjEEZZNS1_9scan_implILNS1_25lookback_scan_determinismE0ELb0ELb0ES3_N6thrust23THRUST_200600_302600_NS6detail15normal_iteratorINS9_10device_ptrIjEEEENS9_16discard_iteratorINS9_11use_defaultEEEj11max_functorIjEjEEDaPvRmT3_T4_T5_mT6_P12ihipStream_tbENKUlT_T0_E_clISt17integral_constantIbLb0EESX_EEDaSS_ST_EUlSS_E_NS1_11comp_targetILNS1_3genE4ELNS1_11target_archE910ELNS1_3gpuE8ELNS1_3repE0EEENS1_30default_config_static_selectorELNS0_4arch9wavefront6targetE1EEEvT1_: ; @_ZN7rocprim17ROCPRIM_400000_NS6detail17trampoline_kernelINS0_14default_configENS1_20scan_config_selectorIjEEZZNS1_9scan_implILNS1_25lookback_scan_determinismE0ELb0ELb0ES3_N6thrust23THRUST_200600_302600_NS6detail15normal_iteratorINS9_10device_ptrIjEEEENS9_16discard_iteratorINS9_11use_defaultEEEj11max_functorIjEjEEDaPvRmT3_T4_T5_mT6_P12ihipStream_tbENKUlT_T0_E_clISt17integral_constantIbLb0EESX_EEDaSS_ST_EUlSS_E_NS1_11comp_targetILNS1_3genE4ELNS1_11target_archE910ELNS1_3gpuE8ELNS1_3repE0EEENS1_30default_config_static_selectorELNS0_4arch9wavefront6targetE1EEEvT1_
; %bb.0:
	s_load_dwordx4 s[0:3], s[4:5], 0x0
	s_load_dwordx2 s[8:9], s[4:5], 0x20
	s_load_dword s7, s[4:5], 0x38
	v_lshlrev_b32_e32 v11, 2, v0
	s_waitcnt lgkmcnt(0)
	s_lshl_b64 s[2:3], s[2:3], 2
	s_add_u32 s2, s0, s2
	s_addc_u32 s3, s1, s3
	s_add_i32 s7, s7, -1
	s_mul_i32 s10, s7, 0x500
	s_sub_u32 s18, s8, s10
	s_subb_u32 s19, s9, 0
	s_mul_i32 s0, s6, 0x500
	s_mov_b32 s1, 0
	s_cmp_lg_u32 s6, s7
	s_cselect_b64 s[12:13], -1, 0
	s_lshl_b64 s[0:1], s[0:1], 2
	s_add_u32 s0, s2, s0
	s_addc_u32 s1, s3, s1
	s_mov_b64 s[2:3], -1
	s_and_b64 vcc, exec, s[12:13]
	s_cbranch_vccz .LBB3424_2
; %bb.1:
	v_mov_b32_e32 v1, s1
	v_add_co_u32_e32 v2, vcc, s0, v11
	v_addc_co_u32_e32 v3, vcc, 0, v1, vcc
	flat_load_dword v1, v[2:3]
	flat_load_dword v4, v[2:3] offset:512
	flat_load_dword v5, v[2:3] offset:1024
	flat_load_dword v6, v[2:3] offset:1536
	flat_load_dword v7, v[2:3] offset:2048
	flat_load_dword v8, v[2:3] offset:2560
	flat_load_dword v9, v[2:3] offset:3072
	flat_load_dword v10, v[2:3] offset:3584
	v_add_co_u32_e32 v2, vcc, 0x1000, v2
	v_addc_co_u32_e32 v3, vcc, 0, v3, vcc
	flat_load_dword v12, v[2:3]
	flat_load_dword v13, v[2:3] offset:512
	s_mov_b64 s[2:3], 0
	s_waitcnt vmcnt(0) lgkmcnt(0)
	ds_write2st64_b32 v11, v1, v4 offset1:2
	ds_write2st64_b32 v11, v5, v6 offset0:4 offset1:6
	ds_write2st64_b32 v11, v7, v8 offset0:8 offset1:10
	;; [unrolled: 1-line block ×4, first 2 shown]
	s_waitcnt lgkmcnt(0)
	s_barrier
.LBB3424_2:
	s_load_dwordx2 s[14:15], s[4:5], 0x30
	s_andn2_b64 vcc, exec, s[2:3]
	s_cbranch_vccnz .LBB3424_24
; %bb.3:
	v_pk_mov_b32 v[2:3], s[0:1], s[0:1] op_sel:[0,1]
	flat_load_dword v1, v[2:3]
	v_cmp_gt_u32_e32 vcc, s18, v0
	s_waitcnt vmcnt(0) lgkmcnt(0)
	v_mov_b32_e32 v2, v1
	v_mov_b32_e32 v3, v1
	;; [unrolled: 1-line block ×9, first 2 shown]
	s_and_saveexec_b64 s[2:3], vcc
	s_cbranch_execz .LBB3424_5
; %bb.4:
	v_mov_b32_e32 v10, s1
	v_add_co_u32_e32 v12, vcc, s0, v11
	v_addc_co_u32_e32 v13, vcc, 0, v10, vcc
	flat_load_dword v10, v[12:13]
.LBB3424_5:
	s_or_b64 exec, exec, s[2:3]
	v_or_b32_e32 v12, 0x80, v0
	v_cmp_gt_u32_e32 vcc, s18, v12
	s_and_saveexec_b64 s[2:3], vcc
	s_cbranch_execz .LBB3424_7
; %bb.6:
	v_mov_b32_e32 v1, s1
	v_add_co_u32_e32 v12, vcc, s0, v11
	v_addc_co_u32_e32 v13, vcc, 0, v1, vcc
	flat_load_dword v1, v[12:13] offset:512
.LBB3424_7:
	s_or_b64 exec, exec, s[2:3]
	v_or_b32_e32 v12, 0x100, v0
	v_cmp_gt_u32_e32 vcc, s18, v12
	s_and_saveexec_b64 s[2:3], vcc
	s_cbranch_execz .LBB3424_9
; %bb.8:
	v_mov_b32_e32 v2, s1
	v_add_co_u32_e32 v12, vcc, s0, v11
	v_addc_co_u32_e32 v13, vcc, 0, v2, vcc
	flat_load_dword v2, v[12:13] offset:1024
.LBB3424_9:
	;; [unrolled: 11-line block ×7, first 2 shown]
	s_or_b64 exec, exec, s[2:3]
	v_or_b32_e32 v12, 0x400, v0
	v_cmp_gt_u32_e32 vcc, s18, v12
	s_and_saveexec_b64 s[2:3], vcc
	s_cbranch_execz .LBB3424_21
; %bb.20:
	v_lshlrev_b32_e32 v8, 2, v12
	v_mov_b32_e32 v13, s1
	v_add_co_u32_e32 v12, vcc, s0, v8
	v_addc_co_u32_e32 v13, vcc, 0, v13, vcc
	flat_load_dword v8, v[12:13]
.LBB3424_21:
	s_or_b64 exec, exec, s[2:3]
	v_or_b32_e32 v12, 0x480, v0
	v_cmp_gt_u32_e32 vcc, s18, v12
	s_and_saveexec_b64 s[2:3], vcc
	s_cbranch_execz .LBB3424_23
; %bb.22:
	v_lshlrev_b32_e32 v9, 2, v12
	v_mov_b32_e32 v13, s1
	v_add_co_u32_e32 v12, vcc, s0, v9
	v_addc_co_u32_e32 v13, vcc, 0, v13, vcc
	flat_load_dword v9, v[12:13]
.LBB3424_23:
	s_or_b64 exec, exec, s[2:3]
	s_waitcnt vmcnt(0) lgkmcnt(0)
	ds_write2st64_b32 v11, v10, v1 offset1:2
	ds_write2st64_b32 v11, v2, v3 offset0:4 offset1:6
	ds_write2st64_b32 v11, v4, v5 offset0:8 offset1:10
	;; [unrolled: 1-line block ×4, first 2 shown]
	s_waitcnt lgkmcnt(0)
	s_barrier
.LBB3424_24:
	v_mul_u32_u24_e32 v22, 10, v0
	v_lshlrev_b32_e32 v23, 2, v22
	s_waitcnt lgkmcnt(0)
	ds_read2_b64 v[2:5], v23 offset1:1
	ds_read2_b64 v[16:19], v23 offset0:2 offset1:3
	ds_read_b64 v[20:21], v23 offset:32
	s_cmp_lg_u32 s6, 0
	v_lshrrev_b32_e32 v1, 5, v0
	v_cmp_gt_u32_e32 vcc, 64, v0
	s_waitcnt lgkmcnt(0)
	s_barrier
	s_cbranch_scc0 .LBB3424_49
; %bb.25:
	v_max_u32_e32 v6, v2, v3
	v_max3_u32 v6, v6, v4, v5
	v_max3_u32 v6, v6, v16, v17
	;; [unrolled: 1-line block ×4, first 2 shown]
	v_add_lshl_u32 v6, v1, v0, 2
	ds_write_b32 v6, v24
	s_waitcnt lgkmcnt(0)
	s_barrier
	s_and_saveexec_b64 s[2:3], vcc
	s_cbranch_execz .LBB3424_27
; %bb.26:
	v_lshlrev_b32_e32 v6, 1, v0
	v_lshrrev_b32_e32 v7, 4, v0
	v_add_lshl_u32 v8, v7, v6, 2
	ds_read2_b32 v[6:7], v8 offset1:1
	v_mbcnt_lo_u32_b32 v9, -1, 0
	v_mbcnt_hi_u32_b32 v9, -1, v9
	v_and_b32_e32 v10, 15, v9
	v_cmp_eq_u32_e64 s[0:1], 0, v10
	s_waitcnt lgkmcnt(0)
	v_max_u32_e32 v7, v6, v7
	; wave barrier
	s_nop 1
	v_mov_b32_dpp v11, v7 row_shr:1 row_mask:0xf bank_mask:0xf
	v_max_u32_e32 v11, v11, v7
	v_cndmask_b32_e64 v7, v11, v7, s[0:1]
	v_cmp_lt_u32_e64 s[0:1], 1, v10
	s_nop 0
	v_mov_b32_dpp v11, v7 row_shr:2 row_mask:0xf bank_mask:0xf
	v_max_u32_e32 v11, v11, v7
	v_cndmask_b32_e64 v7, v7, v11, s[0:1]
	v_cmp_lt_u32_e64 s[0:1], 3, v10
	;; [unrolled: 5-line block ×3, first 2 shown]
	s_nop 0
	v_mov_b32_dpp v11, v7 row_shr:8 row_mask:0xf bank_mask:0xf
	v_max_u32_e32 v11, v11, v7
	v_cndmask_b32_e64 v7, v7, v11, s[0:1]
	v_and_b32_e32 v11, 16, v9
	v_cmp_eq_u32_e64 s[0:1], 0, v11
	v_mov_b32_dpp v10, v7 row_bcast:15 row_mask:0xf bank_mask:0xf
	v_max_u32_e32 v10, v10, v7
	v_cndmask_b32_e64 v7, v10, v7, s[0:1]
	v_cmp_lt_u32_e64 s[0:1], 31, v9
	v_and_b32_e32 v11, 64, v9
	v_mov_b32_dpp v10, v7 row_bcast:31 row_mask:0xf bank_mask:0xf
	v_max_u32_e32 v10, v10, v7
	v_cndmask_b32_e64 v7, v7, v10, s[0:1]
	v_add_u32_e32 v10, -1, v9
	v_cmp_lt_i32_e64 s[0:1], v10, v11
	v_cndmask_b32_e64 v9, v10, v9, s[0:1]
	v_lshlrev_b32_e32 v9, 2, v9
	ds_bpermute_b32 v7, v9, v7
	v_cmp_eq_u32_e64 s[0:1], 0, v0
	s_waitcnt lgkmcnt(0)
	v_max_u32_e32 v6, v7, v6
	v_cndmask_b32_e64 v6, v6, v24, s[0:1]
	ds_write_b32 v8, v6
	; wave barrier
	ds_read_b32 v7, v8 offset:4
	s_waitcnt lgkmcnt(0)
	v_max_u32_e32 v6, v6, v7
	ds_write_b32 v8, v6 offset:4
.LBB3424_27:
	s_or_b64 exec, exec, s[2:3]
	v_cmp_eq_u32_e64 s[0:1], 0, v0
	v_cmp_ne_u32_e64 s[2:3], 0, v0
	s_waitcnt lgkmcnt(0)
	s_barrier
	s_and_saveexec_b64 s[8:9], s[2:3]
	s_cbranch_execz .LBB3424_29
; %bb.28:
	v_add_u32_e32 v6, -1, v0
	v_lshrrev_b32_e32 v7, 5, v6
	v_add_lshl_u32 v6, v7, v6, 2
	ds_read_b32 v24, v6
.LBB3424_29:
	s_or_b64 exec, exec, s[8:9]
	s_and_saveexec_b64 s[8:9], vcc
	s_cbranch_execz .LBB3424_48
; %bb.30:
	v_mov_b32_e32 v13, 0
	ds_read_b32 v6, v13 offset:520
	v_mbcnt_lo_u32_b32 v7, -1, 0
	v_mbcnt_hi_u32_b32 v9, -1, v7
	s_mov_b32 s17, 0
	v_cmp_eq_u32_e64 s[2:3], 0, v9
	s_and_saveexec_b64 s[10:11], s[2:3]
	s_cbranch_execz .LBB3424_32
; %bb.31:
	s_add_i32 s16, s6, 64
	s_lshl_b64 s[16:17], s[16:17], 3
	s_add_u32 s16, s14, s16
	v_mov_b32_e32 v7, 1
	s_addc_u32 s17, s15, s17
	s_waitcnt lgkmcnt(0)
	global_store_dwordx2 v13, v[6:7], s[16:17]
.LBB3424_32:
	s_or_b64 exec, exec, s[10:11]
	v_xad_u32 v8, v9, -1, s6
	v_add_u32_e32 v12, 64, v8
	v_lshlrev_b64 v[10:11], 3, v[12:13]
	v_mov_b32_e32 v7, s15
	v_add_co_u32_e32 v14, vcc, s14, v10
	v_addc_co_u32_e32 v15, vcc, v7, v11, vcc
	global_load_dwordx2 v[10:11], v[14:15], off glc
	s_waitcnt vmcnt(0)
	v_cmp_eq_u16_sdwa s[16:17], v11, v13 src0_sel:BYTE_0 src1_sel:DWORD
	s_and_saveexec_b64 s[10:11], s[16:17]
	s_cbranch_execz .LBB3424_36
; %bb.33:
	s_mov_b64 s[16:17], 0
	v_mov_b32_e32 v7, 0
.LBB3424_34:                            ; =>This Inner Loop Header: Depth=1
	global_load_dwordx2 v[10:11], v[14:15], off glc
	s_waitcnt vmcnt(0)
	v_cmp_ne_u16_sdwa s[20:21], v11, v7 src0_sel:BYTE_0 src1_sel:DWORD
	s_or_b64 s[16:17], s[20:21], s[16:17]
	s_andn2_b64 exec, exec, s[16:17]
	s_cbranch_execnz .LBB3424_34
; %bb.35:
	s_or_b64 exec, exec, s[16:17]
.LBB3424_36:
	s_or_b64 exec, exec, s[10:11]
	v_and_b32_e32 v25, 63, v9
	v_cmp_ne_u32_e32 vcc, 63, v25
	v_mov_b32_e32 v7, 2
	v_addc_co_u32_e32 v26, vcc, 0, v9, vcc
	v_cmp_eq_u16_sdwa s[10:11], v11, v7 src0_sel:BYTE_0 src1_sel:DWORD
	v_lshlrev_b64 v[12:13], v9, -1
	v_lshlrev_b32_e32 v26, 2, v26
	v_and_b32_e32 v14, s11, v13
	ds_bpermute_b32 v27, v26, v10
	v_or_b32_e32 v14, 0x80000000, v14
	v_and_b32_e32 v15, s10, v12
	v_ffbl_b32_e32 v14, v14
	v_add_u32_e32 v14, 32, v14
	v_ffbl_b32_e32 v15, v15
	v_min_u32_e32 v14, v15, v14
	s_waitcnt lgkmcnt(0)
	v_max_u32_e32 v15, v27, v10
	v_cmp_lt_u32_e32 vcc, v25, v14
	v_cndmask_b32_e32 v10, v10, v15, vcc
	v_cmp_gt_u32_e32 vcc, 62, v25
	v_cndmask_b32_e64 v15, 0, 1, vcc
	v_lshlrev_b32_e32 v15, 1, v15
	v_add_lshl_u32 v27, v15, v9, 2
	ds_bpermute_b32 v15, v27, v10
	v_add_u32_e32 v28, 2, v25
	v_cmp_gt_u32_e32 vcc, v28, v14
	v_add_u32_e32 v30, 4, v25
	v_add_u32_e32 v32, 8, v25
	s_waitcnt lgkmcnt(0)
	v_max_u32_e32 v15, v15, v10
	v_cndmask_b32_e32 v10, v15, v10, vcc
	v_cmp_gt_u32_e32 vcc, 60, v25
	v_cndmask_b32_e64 v15, 0, 1, vcc
	v_lshlrev_b32_e32 v15, 2, v15
	v_add_lshl_u32 v29, v15, v9, 2
	ds_bpermute_b32 v15, v29, v10
	v_cmp_gt_u32_e32 vcc, v30, v14
	v_add_u32_e32 v35, 16, v25
	v_add_u32_e32 v37, 32, v25
	s_waitcnt lgkmcnt(0)
	v_max_u32_e32 v15, v15, v10
	v_cndmask_b32_e32 v10, v15, v10, vcc
	v_cmp_gt_u32_e32 vcc, 56, v25
	v_cndmask_b32_e64 v15, 0, 1, vcc
	v_lshlrev_b32_e32 v15, 3, v15
	v_add_lshl_u32 v31, v15, v9, 2
	ds_bpermute_b32 v15, v31, v10
	v_cmp_gt_u32_e32 vcc, v32, v14
	s_waitcnt lgkmcnt(0)
	v_max_u32_e32 v15, v15, v10
	v_cndmask_b32_e32 v10, v15, v10, vcc
	v_cmp_gt_u32_e32 vcc, 48, v25
	v_cndmask_b32_e64 v15, 0, 1, vcc
	v_lshlrev_b32_e32 v15, 4, v15
	v_add_lshl_u32 v33, v15, v9, 2
	ds_bpermute_b32 v15, v33, v10
	v_cmp_gt_u32_e32 vcc, v35, v14
	;; [unrolled: 9-line block ×3, first 2 shown]
	s_waitcnt lgkmcnt(0)
	v_max_u32_e32 v9, v9, v10
	v_cndmask_b32_e32 v10, v9, v10, vcc
	v_mov_b32_e32 v9, 0
	s_branch .LBB3424_38
.LBB3424_37:                            ;   in Loop: Header=BB3424_38 Depth=1
	s_or_b64 exec, exec, s[10:11]
	v_cmp_eq_u16_sdwa s[10:11], v11, v7 src0_sel:BYTE_0 src1_sel:DWORD
	v_and_b32_e32 v14, s11, v13
	ds_bpermute_b32 v38, v26, v10
	v_or_b32_e32 v14, 0x80000000, v14
	v_and_b32_e32 v15, s10, v12
	v_ffbl_b32_e32 v14, v14
	v_add_u32_e32 v14, 32, v14
	v_ffbl_b32_e32 v15, v15
	v_min_u32_e32 v14, v15, v14
	s_waitcnt lgkmcnt(0)
	v_max_u32_e32 v15, v38, v10
	v_cmp_lt_u32_e32 vcc, v25, v14
	v_cndmask_b32_e32 v10, v10, v15, vcc
	ds_bpermute_b32 v15, v27, v10
	v_cmp_gt_u32_e32 vcc, v28, v14
	v_subrev_u32_e32 v8, 64, v8
	s_waitcnt lgkmcnt(0)
	v_max_u32_e32 v15, v15, v10
	v_cndmask_b32_e32 v10, v15, v10, vcc
	ds_bpermute_b32 v15, v29, v10
	v_cmp_gt_u32_e32 vcc, v30, v14
	s_waitcnt lgkmcnt(0)
	v_max_u32_e32 v15, v15, v10
	v_cndmask_b32_e32 v10, v15, v10, vcc
	ds_bpermute_b32 v15, v31, v10
	v_cmp_gt_u32_e32 vcc, v32, v14
	s_waitcnt lgkmcnt(0)
	v_max_u32_e32 v15, v15, v10
	v_cndmask_b32_e32 v10, v15, v10, vcc
	ds_bpermute_b32 v15, v33, v10
	v_cmp_gt_u32_e32 vcc, v35, v14
	s_waitcnt lgkmcnt(0)
	v_max_u32_e32 v15, v15, v10
	v_cndmask_b32_e32 v10, v15, v10, vcc
	ds_bpermute_b32 v15, v36, v10
	v_cmp_gt_u32_e32 vcc, v37, v14
	s_waitcnt lgkmcnt(0)
	v_max_u32_e32 v15, v15, v10
	v_cndmask_b32_e32 v10, v15, v10, vcc
	v_max_u32_e32 v10, v10, v34
.LBB3424_38:                            ; =>This Loop Header: Depth=1
                                        ;     Child Loop BB3424_41 Depth 2
	v_cmp_ne_u16_sdwa s[10:11], v11, v7 src0_sel:BYTE_0 src1_sel:DWORD
	v_cndmask_b32_e64 v11, 0, 1, s[10:11]
	;;#ASMSTART
	;;#ASMEND
	v_cmp_ne_u32_e32 vcc, 0, v11
	s_cmp_lg_u64 vcc, exec
	v_mov_b32_e32 v34, v10
	s_cbranch_scc1 .LBB3424_43
; %bb.39:                               ;   in Loop: Header=BB3424_38 Depth=1
	v_lshlrev_b64 v[10:11], 3, v[8:9]
	v_mov_b32_e32 v15, s15
	v_add_co_u32_e32 v14, vcc, s14, v10
	v_addc_co_u32_e32 v15, vcc, v15, v11, vcc
	global_load_dwordx2 v[10:11], v[14:15], off glc
	s_waitcnt vmcnt(0)
	v_cmp_eq_u16_sdwa s[16:17], v11, v9 src0_sel:BYTE_0 src1_sel:DWORD
	s_and_saveexec_b64 s[10:11], s[16:17]
	s_cbranch_execz .LBB3424_37
; %bb.40:                               ;   in Loop: Header=BB3424_38 Depth=1
	s_mov_b64 s[16:17], 0
.LBB3424_41:                            ;   Parent Loop BB3424_38 Depth=1
                                        ; =>  This Inner Loop Header: Depth=2
	global_load_dwordx2 v[10:11], v[14:15], off glc
	s_waitcnt vmcnt(0)
	v_cmp_ne_u16_sdwa s[20:21], v11, v9 src0_sel:BYTE_0 src1_sel:DWORD
	s_or_b64 s[16:17], s[20:21], s[16:17]
	s_andn2_b64 exec, exec, s[16:17]
	s_cbranch_execnz .LBB3424_41
; %bb.42:                               ;   in Loop: Header=BB3424_38 Depth=1
	s_or_b64 exec, exec, s[16:17]
	s_branch .LBB3424_37
.LBB3424_43:                            ;   in Loop: Header=BB3424_38 Depth=1
                                        ; implicit-def: $vgpr10
                                        ; implicit-def: $vgpr11
	s_cbranch_execz .LBB3424_38
; %bb.44:
	s_and_saveexec_b64 s[10:11], s[2:3]
	s_cbranch_execz .LBB3424_46
; %bb.45:
	s_add_i32 s2, s6, 64
	s_mov_b32 s3, 0
	s_lshl_b64 s[2:3], s[2:3], 3
	s_add_u32 s2, s14, s2
	v_max_u32_e32 v6, v34, v6
	v_mov_b32_e32 v7, 2
	s_addc_u32 s3, s15, s3
	v_mov_b32_e32 v8, 0
	global_store_dwordx2 v8, v[6:7], s[2:3]
.LBB3424_46:
	s_or_b64 exec, exec, s[10:11]
	s_and_b64 exec, exec, s[0:1]
	s_cbranch_execz .LBB3424_48
; %bb.47:
	v_mov_b32_e32 v6, 0
	ds_write_b32 v6, v34
.LBB3424_48:
	s_or_b64 exec, exec, s[8:9]
	v_mov_b32_e32 v6, 0
	s_waitcnt lgkmcnt(0)
	s_barrier
	ds_read_b32 v6, v6
	v_max_u32_e32 v7, v24, v2
	v_cndmask_b32_e64 v7, v7, v2, s[0:1]
	s_waitcnt lgkmcnt(0)
	v_max_u32_e32 v6, v6, v7
	v_max_u32_e32 v7, v6, v3
	;; [unrolled: 1-line block ×10, first 2 shown]
	s_load_dwordx8 s[4:11], s[4:5], 0x40
	s_branch .LBB3424_61
.LBB3424_49:
                                        ; implicit-def: $vgpr6_vgpr7_vgpr8_vgpr9_vgpr10_vgpr11_vgpr12_vgpr13_vgpr14_vgpr15
	s_load_dwordx8 s[4:11], s[4:5], 0x40
	s_cbranch_execz .LBB3424_61
; %bb.50:
	s_waitcnt lgkmcnt(0)
	s_cmp_lg_u64 s[8:9], 0
	s_cselect_b64 s[2:3], -1, 0
	v_cmp_eq_u32_e64 s[0:1], 0, v0
	v_cmp_ne_u32_e32 vcc, 0, v0
	s_and_b64 s[8:9], s[0:1], s[2:3]
	v_mov_b32_e32 v12, v3
	v_mov_b32_e32 v13, v4
	;; [unrolled: 1-line block ×3, first 2 shown]
	s_and_saveexec_b64 s[2:3], s[8:9]
	s_cbranch_execz .LBB3424_52
; %bb.51:
	v_mov_b32_e32 v6, 0
	global_load_dword v6, v6, s[4:5]
	v_mov_b32_e32 v12, v3
	v_mov_b32_e32 v13, v4
	;; [unrolled: 1-line block ×3, first 2 shown]
	s_waitcnt vmcnt(0)
	v_max_u32_e32 v2, v6, v2
.LBB3424_52:
	s_or_b64 exec, exec, s[2:3]
	v_max_u32_e32 v3, v2, v12
	v_max_u32_e32 v4, v3, v13
	;; [unrolled: 1-line block ×9, first 2 shown]
	v_add_lshl_u32 v1, v1, v0, 2
	v_cmp_gt_u32_e64 s[2:3], 64, v0
	ds_write_b32 v1, v11
	s_waitcnt lgkmcnt(0)
	s_barrier
	s_and_saveexec_b64 s[4:5], s[2:3]
	s_cbranch_execz .LBB3424_54
; %bb.53:
	v_lshlrev_b32_e32 v1, 1, v0
	v_lshrrev_b32_e32 v15, 4, v0
	v_add_lshl_u32 v1, v15, v1, 2
	ds_read2_b32 v[24:25], v1 offset1:1
	v_mbcnt_lo_u32_b32 v15, -1, 0
	v_mbcnt_hi_u32_b32 v15, -1, v15
	v_and_b32_e32 v26, 15, v15
	v_cmp_eq_u32_e64 s[2:3], 0, v26
	s_waitcnt lgkmcnt(0)
	v_max_u32_e32 v25, v24, v25
	; wave barrier
	s_nop 1
	v_mov_b32_dpp v27, v25 row_shr:1 row_mask:0xf bank_mask:0xf
	v_max_u32_e32 v27, v27, v25
	v_cndmask_b32_e64 v25, v27, v25, s[2:3]
	v_cmp_lt_u32_e64 s[2:3], 1, v26
	s_nop 0
	v_mov_b32_dpp v27, v25 row_shr:2 row_mask:0xf bank_mask:0xf
	v_max_u32_e32 v27, v27, v25
	v_cndmask_b32_e64 v25, v25, v27, s[2:3]
	v_cmp_lt_u32_e64 s[2:3], 3, v26
	;; [unrolled: 5-line block ×3, first 2 shown]
	s_nop 0
	v_mov_b32_dpp v27, v25 row_shr:8 row_mask:0xf bank_mask:0xf
	v_max_u32_e32 v27, v27, v25
	v_cndmask_b32_e64 v25, v25, v27, s[2:3]
	v_and_b32_e32 v27, 16, v15
	v_cmp_eq_u32_e64 s[2:3], 0, v27
	v_mov_b32_dpp v26, v25 row_bcast:15 row_mask:0xf bank_mask:0xf
	v_max_u32_e32 v26, v26, v25
	v_cndmask_b32_e64 v25, v26, v25, s[2:3]
	v_cmp_lt_u32_e64 s[2:3], 31, v15
	v_and_b32_e32 v27, 64, v15
	v_mov_b32_dpp v26, v25 row_bcast:31 row_mask:0xf bank_mask:0xf
	v_max_u32_e32 v26, v26, v25
	v_cndmask_b32_e64 v25, v25, v26, s[2:3]
	v_add_u32_e32 v26, -1, v15
	v_cmp_lt_i32_e64 s[2:3], v26, v27
	v_cndmask_b32_e64 v15, v26, v15, s[2:3]
	v_lshlrev_b32_e32 v15, 2, v15
	ds_bpermute_b32 v15, v15, v25
	s_waitcnt lgkmcnt(0)
	v_max_u32_e32 v15, v15, v24
	v_cndmask_b32_e64 v15, v15, v11, s[0:1]
	ds_write_b32 v1, v15
	; wave barrier
	ds_read_b32 v24, v1 offset:4
	s_waitcnt lgkmcnt(0)
	v_max_u32_e32 v15, v15, v24
	ds_write_b32 v1, v15 offset:4
.LBB3424_54:
	s_or_b64 exec, exec, s[4:5]
	v_mov_b32_e32 v1, v11
	s_waitcnt lgkmcnt(0)
	s_barrier
	s_and_saveexec_b64 s[0:1], vcc
	s_cbranch_execz .LBB3424_56
; %bb.55:
	v_add_u32_e32 v1, -1, v0
	v_lshrrev_b32_e32 v15, 5, v1
	v_add_lshl_u32 v1, v15, v1, 2
	ds_read_b32 v1, v1
.LBB3424_56:
	s_or_b64 exec, exec, s[0:1]
	s_and_saveexec_b64 s[0:1], vcc
	s_cbranch_execz .LBB3424_58
; %bb.57:
	s_waitcnt lgkmcnt(0)
	v_max_u32_e32 v2, v1, v2
	v_max_u32_e32 v3, v2, v12
	;; [unrolled: 1-line block ×10, first 2 shown]
	;;#ASMSTART
	;;#ASMEND
.LBB3424_58:
	s_or_b64 exec, exec, s[0:1]
	s_movk_i32 s0, 0x7f
	v_cmp_eq_u32_e32 vcc, s0, v0
	s_and_saveexec_b64 s[0:1], vcc
	s_cbranch_execz .LBB3424_60
; %bb.59:
	s_waitcnt lgkmcnt(0)
	v_mov_b32_e32 v1, 0
	v_mov_b32_e32 v13, 2
	v_mov_b32_e32 v12, v11
	global_store_dwordx2 v1, v[12:13], s[14:15] offset:512
.LBB3424_60:
	s_or_b64 exec, exec, s[0:1]
	v_pk_mov_b32 v[14:15], v[10:11], v[10:11] op_sel:[0,1]
	v_pk_mov_b32 v[12:13], v[8:9], v[8:9] op_sel:[0,1]
	;; [unrolled: 1-line block ×5, first 2 shown]
.LBB3424_61:
	s_mov_b64 s[0:1], -1
	s_and_b64 vcc, exec, s[12:13]
	s_waitcnt lgkmcnt(0)
	s_barrier
	ds_write2_b64 v23, v[6:7], v[8:9] offset1:1
	ds_write2_b64 v23, v[10:11], v[12:13] offset0:2 offset1:3
	ds_write_b64 v23, v[14:15] offset:32
	s_waitcnt lgkmcnt(0)
	s_cbranch_vccz .LBB3424_63
; %bb.62:
	s_barrier
	s_mov_b64 s[0:1], 0
.LBB3424_63:
	s_andn2_b64 vcc, exec, s[0:1]
	s_cbranch_vccnz .LBB3424_99
; %bb.64:
	v_cmp_lt_u64_e64 s[0:1], s[10:11], 2
	s_and_b64 vcc, exec, s[0:1]
	s_barrier
	s_cbranch_vccnz .LBB3424_99
; %bb.65:
	s_add_u32 s0, s18, -1
	s_addc_u32 s1, s19, -1
	s_add_u32 s2, 0, 0x99986000
	s_addc_u32 s3, 0, 0x59
	s_add_i32 s3, s3, 0x19999940
	s_mul_hi_u32 s9, s2, -10
	s_sub_i32 s9, s9, s2
	s_mul_i32 s10, s3, -10
	s_mul_i32 s4, s2, -10
	s_add_i32 s9, s9, s10
	s_mul_hi_u32 s5, s3, s4
	s_mul_i32 s8, s3, s4
	s_mul_i32 s11, s2, s9
	s_mul_hi_u32 s4, s2, s4
	s_mul_hi_u32 s10, s2, s9
	s_add_u32 s4, s4, s11
	s_addc_u32 s10, 0, s10
	s_add_u32 s4, s4, s8
	s_mul_hi_u32 s11, s3, s9
	s_addc_u32 s4, s10, s5
	s_addc_u32 s5, s11, 0
	s_mul_i32 s8, s3, s9
	s_add_u32 s4, s4, s8
	v_mov_b32_e32 v2, s4
	s_addc_u32 s5, 0, s5
	v_add_co_u32_e32 v2, vcc, s2, v2
	s_cmp_lg_u64 vcc, 0
	s_addc_u32 s2, s3, s5
	v_readfirstlane_b32 s5, v2
	s_mul_i32 s4, s0, s2
	s_mul_hi_u32 s8, s0, s5
	s_mul_hi_u32 s3, s0, s2
	s_add_u32 s4, s8, s4
	s_addc_u32 s3, 0, s3
	s_mul_hi_u32 s9, s1, s5
	s_mul_i32 s5, s1, s5
	s_add_u32 s4, s4, s5
	s_mul_hi_u32 s8, s1, s2
	s_addc_u32 s3, s3, s9
	s_addc_u32 s4, s8, 0
	s_mul_i32 s2, s1, s2
	s_add_u32 s2, s3, s2
	s_addc_u32 s3, 0, s4
	s_add_u32 s4, s2, 1
	s_addc_u32 s5, s3, 0
	s_add_u32 s8, s2, 2
	s_mul_i32 s10, s3, 10
	s_mul_hi_u32 s11, s2, 10
	s_addc_u32 s9, s3, 0
	s_add_i32 s11, s11, s10
	s_mul_i32 s10, s2, 10
	v_mov_b32_e32 v2, s10
	v_sub_co_u32_e32 v2, vcc, s0, v2
	s_cmp_lg_u64 vcc, 0
	s_subb_u32 s10, s1, s11
	v_subrev_co_u32_e32 v3, vcc, 10, v2
	s_cmp_lg_u64 vcc, 0
	s_subb_u32 s11, s10, 0
	v_readfirstlane_b32 s12, v3
	s_cmp_gt_u32 s12, 9
	s_cselect_b32 s12, -1, 0
	s_cmp_eq_u32 s11, 0
	s_cselect_b32 s11, s12, -1
	s_cmp_lg_u32 s11, 0
	s_cselect_b32 s4, s8, s4
	v_readfirstlane_b32 s8, v2
	s_cselect_b32 s5, s9, s5
	s_cmp_gt_u32 s8, 9
	s_cselect_b32 s8, -1, 0
	s_cmp_eq_u32 s10, 0
	s_cselect_b32 s8, s8, -1
	s_cmp_lg_u32 s8, 0
	v_mov_b32_e32 v1, 0
	s_cselect_b32 s3, s5, s3
	s_cselect_b32 s2, s4, s2
	v_cmp_eq_u64_e32 vcc, s[2:3], v[0:1]
	s_and_saveexec_b64 s[2:3], vcc
	s_cbranch_execz .LBB3424_99
; %bb.66:
	s_movk_i32 s2, 0xffdc
	v_mad_i32_i24 v2, v0, s2, v23
	v_mul_hi_u32_u24_e32 v1, 10, v0
	v_mov_b32_e32 v3, s1
	v_sub_co_u32_e32 v0, vcc, s0, v22
	v_subb_co_u32_e32 v1, vcc, v3, v1, vcc
	v_cmp_lt_i64_e32 vcc, 4, v[0:1]
	s_and_saveexec_b64 s[0:1], vcc
	s_xor_b64 s[0:1], exec, s[0:1]
	s_cbranch_execz .LBB3424_84
; %bb.67:
	v_cmp_lt_i64_e32 vcc, 6, v[0:1]
	s_and_saveexec_b64 s[2:3], vcc
	s_xor_b64 s[2:3], exec, s[2:3]
	s_cbranch_execz .LBB3424_77
; %bb.68:
	;; [unrolled: 5-line block ×4, first 2 shown]
	ds_read_b32 v0, v2 offset:4608
	v_mov_b32_e32 v1, 0
                                        ; implicit-def: $vgpr2
	s_waitcnt lgkmcnt(0)
	global_store_dword v1, v0, s[6:7]
.LBB3424_71:
	s_andn2_saveexec_b64 s[8:9], s[8:9]
	s_cbranch_execz .LBB3424_73
; %bb.72:
	ds_read_b32 v0, v2 offset:4096
	v_mov_b32_e32 v1, 0
	s_waitcnt lgkmcnt(0)
	global_store_dword v1, v0, s[6:7]
.LBB3424_73:
	s_or_b64 exec, exec, s[8:9]
                                        ; implicit-def: $vgpr2
.LBB3424_74:
	s_andn2_saveexec_b64 s[4:5], s[4:5]
	s_cbranch_execz .LBB3424_76
; %bb.75:
	ds_read_b32 v0, v2 offset:3584
	v_mov_b32_e32 v1, 0
	s_waitcnt lgkmcnt(0)
	global_store_dword v1, v0, s[6:7]
.LBB3424_76:
	s_or_b64 exec, exec, s[4:5]
                                        ; implicit-def: $vgpr2
                                        ; implicit-def: $vgpr0_vgpr1
.LBB3424_77:
	s_andn2_saveexec_b64 s[2:3], s[2:3]
	s_cbranch_execz .LBB3424_83
; %bb.78:
	v_cmp_lt_i64_e32 vcc, 5, v[0:1]
	s_and_saveexec_b64 s[4:5], vcc
	s_xor_b64 s[4:5], exec, s[4:5]
	s_cbranch_execz .LBB3424_80
; %bb.79:
	ds_read_b32 v0, v2 offset:3072
	v_mov_b32_e32 v1, 0
                                        ; implicit-def: $vgpr2
	s_waitcnt lgkmcnt(0)
	global_store_dword v1, v0, s[6:7]
.LBB3424_80:
	s_andn2_saveexec_b64 s[4:5], s[4:5]
	s_cbranch_execz .LBB3424_82
; %bb.81:
	ds_read_b32 v0, v2 offset:2560
	v_mov_b32_e32 v1, 0
	s_waitcnt lgkmcnt(0)
	global_store_dword v1, v0, s[6:7]
.LBB3424_82:
	s_or_b64 exec, exec, s[4:5]
.LBB3424_83:
	s_or_b64 exec, exec, s[2:3]
                                        ; implicit-def: $vgpr0_vgpr1
                                        ; implicit-def: $vgpr2
.LBB3424_84:
	s_andn2_saveexec_b64 s[0:1], s[0:1]
	s_cbranch_execz .LBB3424_99
; %bb.85:
	v_cmp_lt_i64_e32 vcc, 2, v[0:1]
	s_and_saveexec_b64 s[0:1], vcc
	s_xor_b64 s[0:1], exec, s[0:1]
	s_cbranch_execz .LBB3424_91
; %bb.86:
	v_cmp_lt_i64_e32 vcc, 3, v[0:1]
	s_and_saveexec_b64 s[2:3], vcc
	s_xor_b64 s[2:3], exec, s[2:3]
	s_cbranch_execz .LBB3424_88
; %bb.87:
	ds_read_b32 v0, v2 offset:2048
	v_mov_b32_e32 v1, 0
                                        ; implicit-def: $vgpr2
	s_waitcnt lgkmcnt(0)
	global_store_dword v1, v0, s[6:7]
.LBB3424_88:
	s_andn2_saveexec_b64 s[2:3], s[2:3]
	s_cbranch_execz .LBB3424_90
; %bb.89:
	ds_read_b32 v0, v2 offset:1536
	v_mov_b32_e32 v1, 0
	s_waitcnt lgkmcnt(0)
	global_store_dword v1, v0, s[6:7]
.LBB3424_90:
	s_or_b64 exec, exec, s[2:3]
                                        ; implicit-def: $vgpr0_vgpr1
                                        ; implicit-def: $vgpr2
.LBB3424_91:
	s_andn2_saveexec_b64 s[0:1], s[0:1]
	s_cbranch_execz .LBB3424_99
; %bb.92:
	v_cmp_lt_i64_e32 vcc, 1, v[0:1]
	s_and_saveexec_b64 s[0:1], vcc
	s_xor_b64 s[0:1], exec, s[0:1]
	s_cbranch_execz .LBB3424_94
; %bb.93:
	ds_read_b32 v0, v2 offset:1024
	v_mov_b32_e32 v1, 0
                                        ; implicit-def: $vgpr2
	s_waitcnt lgkmcnt(0)
	global_store_dword v1, v0, s[6:7]
                                        ; implicit-def: $vgpr0_vgpr1
.LBB3424_94:
	s_andn2_saveexec_b64 s[0:1], s[0:1]
	s_cbranch_execz .LBB3424_99
; %bb.95:
	v_cmp_ne_u64_e32 vcc, 1, v[0:1]
	s_and_saveexec_b64 s[0:1], vcc
	s_xor_b64 s[0:1], exec, s[0:1]
	s_cbranch_execz .LBB3424_97
; %bb.96:
	ds_read_b32 v0, v2
	v_mov_b32_e32 v1, 0
                                        ; implicit-def: $vgpr2
	s_waitcnt lgkmcnt(0)
	global_store_dword v1, v0, s[6:7]
.LBB3424_97:
	s_andn2_saveexec_b64 s[0:1], s[0:1]
	s_cbranch_execz .LBB3424_99
; %bb.98:
	ds_read_b32 v0, v2 offset:512
	v_mov_b32_e32 v1, 0
	s_waitcnt lgkmcnt(0)
	global_store_dword v1, v0, s[6:7]
.LBB3424_99:
	s_endpgm
	.section	.rodata,"a",@progbits
	.p2align	6, 0x0
	.amdhsa_kernel _ZN7rocprim17ROCPRIM_400000_NS6detail17trampoline_kernelINS0_14default_configENS1_20scan_config_selectorIjEEZZNS1_9scan_implILNS1_25lookback_scan_determinismE0ELb0ELb0ES3_N6thrust23THRUST_200600_302600_NS6detail15normal_iteratorINS9_10device_ptrIjEEEENS9_16discard_iteratorINS9_11use_defaultEEEj11max_functorIjEjEEDaPvRmT3_T4_T5_mT6_P12ihipStream_tbENKUlT_T0_E_clISt17integral_constantIbLb0EESX_EEDaSS_ST_EUlSS_E_NS1_11comp_targetILNS1_3genE4ELNS1_11target_archE910ELNS1_3gpuE8ELNS1_3repE0EEENS1_30default_config_static_selectorELNS0_4arch9wavefront6targetE1EEEvT1_
		.amdhsa_group_segment_fixed_size 5120
		.amdhsa_private_segment_fixed_size 0
		.amdhsa_kernarg_size 104
		.amdhsa_user_sgpr_count 6
		.amdhsa_user_sgpr_private_segment_buffer 1
		.amdhsa_user_sgpr_dispatch_ptr 0
		.amdhsa_user_sgpr_queue_ptr 0
		.amdhsa_user_sgpr_kernarg_segment_ptr 1
		.amdhsa_user_sgpr_dispatch_id 0
		.amdhsa_user_sgpr_flat_scratch_init 0
		.amdhsa_user_sgpr_kernarg_preload_length 0
		.amdhsa_user_sgpr_kernarg_preload_offset 0
		.amdhsa_user_sgpr_private_segment_size 0
		.amdhsa_uses_dynamic_stack 0
		.amdhsa_system_sgpr_private_segment_wavefront_offset 0
		.amdhsa_system_sgpr_workgroup_id_x 1
		.amdhsa_system_sgpr_workgroup_id_y 0
		.amdhsa_system_sgpr_workgroup_id_z 0
		.amdhsa_system_sgpr_workgroup_info 0
		.amdhsa_system_vgpr_workitem_id 0
		.amdhsa_next_free_vgpr 39
		.amdhsa_next_free_sgpr 22
		.amdhsa_accum_offset 40
		.amdhsa_reserve_vcc 1
		.amdhsa_reserve_flat_scratch 0
		.amdhsa_float_round_mode_32 0
		.amdhsa_float_round_mode_16_64 0
		.amdhsa_float_denorm_mode_32 3
		.amdhsa_float_denorm_mode_16_64 3
		.amdhsa_dx10_clamp 1
		.amdhsa_ieee_mode 1
		.amdhsa_fp16_overflow 0
		.amdhsa_tg_split 0
		.amdhsa_exception_fp_ieee_invalid_op 0
		.amdhsa_exception_fp_denorm_src 0
		.amdhsa_exception_fp_ieee_div_zero 0
		.amdhsa_exception_fp_ieee_overflow 0
		.amdhsa_exception_fp_ieee_underflow 0
		.amdhsa_exception_fp_ieee_inexact 0
		.amdhsa_exception_int_div_zero 0
	.end_amdhsa_kernel
	.section	.text._ZN7rocprim17ROCPRIM_400000_NS6detail17trampoline_kernelINS0_14default_configENS1_20scan_config_selectorIjEEZZNS1_9scan_implILNS1_25lookback_scan_determinismE0ELb0ELb0ES3_N6thrust23THRUST_200600_302600_NS6detail15normal_iteratorINS9_10device_ptrIjEEEENS9_16discard_iteratorINS9_11use_defaultEEEj11max_functorIjEjEEDaPvRmT3_T4_T5_mT6_P12ihipStream_tbENKUlT_T0_E_clISt17integral_constantIbLb0EESX_EEDaSS_ST_EUlSS_E_NS1_11comp_targetILNS1_3genE4ELNS1_11target_archE910ELNS1_3gpuE8ELNS1_3repE0EEENS1_30default_config_static_selectorELNS0_4arch9wavefront6targetE1EEEvT1_,"axG",@progbits,_ZN7rocprim17ROCPRIM_400000_NS6detail17trampoline_kernelINS0_14default_configENS1_20scan_config_selectorIjEEZZNS1_9scan_implILNS1_25lookback_scan_determinismE0ELb0ELb0ES3_N6thrust23THRUST_200600_302600_NS6detail15normal_iteratorINS9_10device_ptrIjEEEENS9_16discard_iteratorINS9_11use_defaultEEEj11max_functorIjEjEEDaPvRmT3_T4_T5_mT6_P12ihipStream_tbENKUlT_T0_E_clISt17integral_constantIbLb0EESX_EEDaSS_ST_EUlSS_E_NS1_11comp_targetILNS1_3genE4ELNS1_11target_archE910ELNS1_3gpuE8ELNS1_3repE0EEENS1_30default_config_static_selectorELNS0_4arch9wavefront6targetE1EEEvT1_,comdat
.Lfunc_end3424:
	.size	_ZN7rocprim17ROCPRIM_400000_NS6detail17trampoline_kernelINS0_14default_configENS1_20scan_config_selectorIjEEZZNS1_9scan_implILNS1_25lookback_scan_determinismE0ELb0ELb0ES3_N6thrust23THRUST_200600_302600_NS6detail15normal_iteratorINS9_10device_ptrIjEEEENS9_16discard_iteratorINS9_11use_defaultEEEj11max_functorIjEjEEDaPvRmT3_T4_T5_mT6_P12ihipStream_tbENKUlT_T0_E_clISt17integral_constantIbLb0EESX_EEDaSS_ST_EUlSS_E_NS1_11comp_targetILNS1_3genE4ELNS1_11target_archE910ELNS1_3gpuE8ELNS1_3repE0EEENS1_30default_config_static_selectorELNS0_4arch9wavefront6targetE1EEEvT1_, .Lfunc_end3424-_ZN7rocprim17ROCPRIM_400000_NS6detail17trampoline_kernelINS0_14default_configENS1_20scan_config_selectorIjEEZZNS1_9scan_implILNS1_25lookback_scan_determinismE0ELb0ELb0ES3_N6thrust23THRUST_200600_302600_NS6detail15normal_iteratorINS9_10device_ptrIjEEEENS9_16discard_iteratorINS9_11use_defaultEEEj11max_functorIjEjEEDaPvRmT3_T4_T5_mT6_P12ihipStream_tbENKUlT_T0_E_clISt17integral_constantIbLb0EESX_EEDaSS_ST_EUlSS_E_NS1_11comp_targetILNS1_3genE4ELNS1_11target_archE910ELNS1_3gpuE8ELNS1_3repE0EEENS1_30default_config_static_selectorELNS0_4arch9wavefront6targetE1EEEvT1_
                                        ; -- End function
	.section	.AMDGPU.csdata,"",@progbits
; Kernel info:
; codeLenInByte = 4008
; NumSgprs: 26
; NumVgprs: 39
; NumAgprs: 0
; TotalNumVgprs: 39
; ScratchSize: 0
; MemoryBound: 0
; FloatMode: 240
; IeeeMode: 1
; LDSByteSize: 5120 bytes/workgroup (compile time only)
; SGPRBlocks: 3
; VGPRBlocks: 4
; NumSGPRsForWavesPerEU: 26
; NumVGPRsForWavesPerEU: 39
; AccumOffset: 40
; Occupancy: 6
; WaveLimiterHint : 1
; COMPUTE_PGM_RSRC2:SCRATCH_EN: 0
; COMPUTE_PGM_RSRC2:USER_SGPR: 6
; COMPUTE_PGM_RSRC2:TRAP_HANDLER: 0
; COMPUTE_PGM_RSRC2:TGID_X_EN: 1
; COMPUTE_PGM_RSRC2:TGID_Y_EN: 0
; COMPUTE_PGM_RSRC2:TGID_Z_EN: 0
; COMPUTE_PGM_RSRC2:TIDIG_COMP_CNT: 0
; COMPUTE_PGM_RSRC3_GFX90A:ACCUM_OFFSET: 9
; COMPUTE_PGM_RSRC3_GFX90A:TG_SPLIT: 0
	.section	.text._ZN7rocprim17ROCPRIM_400000_NS6detail17trampoline_kernelINS0_14default_configENS1_20scan_config_selectorIjEEZZNS1_9scan_implILNS1_25lookback_scan_determinismE0ELb0ELb0ES3_N6thrust23THRUST_200600_302600_NS6detail15normal_iteratorINS9_10device_ptrIjEEEENS9_16discard_iteratorINS9_11use_defaultEEEj11max_functorIjEjEEDaPvRmT3_T4_T5_mT6_P12ihipStream_tbENKUlT_T0_E_clISt17integral_constantIbLb0EESX_EEDaSS_ST_EUlSS_E_NS1_11comp_targetILNS1_3genE3ELNS1_11target_archE908ELNS1_3gpuE7ELNS1_3repE0EEENS1_30default_config_static_selectorELNS0_4arch9wavefront6targetE1EEEvT1_,"axG",@progbits,_ZN7rocprim17ROCPRIM_400000_NS6detail17trampoline_kernelINS0_14default_configENS1_20scan_config_selectorIjEEZZNS1_9scan_implILNS1_25lookback_scan_determinismE0ELb0ELb0ES3_N6thrust23THRUST_200600_302600_NS6detail15normal_iteratorINS9_10device_ptrIjEEEENS9_16discard_iteratorINS9_11use_defaultEEEj11max_functorIjEjEEDaPvRmT3_T4_T5_mT6_P12ihipStream_tbENKUlT_T0_E_clISt17integral_constantIbLb0EESX_EEDaSS_ST_EUlSS_E_NS1_11comp_targetILNS1_3genE3ELNS1_11target_archE908ELNS1_3gpuE7ELNS1_3repE0EEENS1_30default_config_static_selectorELNS0_4arch9wavefront6targetE1EEEvT1_,comdat
	.protected	_ZN7rocprim17ROCPRIM_400000_NS6detail17trampoline_kernelINS0_14default_configENS1_20scan_config_selectorIjEEZZNS1_9scan_implILNS1_25lookback_scan_determinismE0ELb0ELb0ES3_N6thrust23THRUST_200600_302600_NS6detail15normal_iteratorINS9_10device_ptrIjEEEENS9_16discard_iteratorINS9_11use_defaultEEEj11max_functorIjEjEEDaPvRmT3_T4_T5_mT6_P12ihipStream_tbENKUlT_T0_E_clISt17integral_constantIbLb0EESX_EEDaSS_ST_EUlSS_E_NS1_11comp_targetILNS1_3genE3ELNS1_11target_archE908ELNS1_3gpuE7ELNS1_3repE0EEENS1_30default_config_static_selectorELNS0_4arch9wavefront6targetE1EEEvT1_ ; -- Begin function _ZN7rocprim17ROCPRIM_400000_NS6detail17trampoline_kernelINS0_14default_configENS1_20scan_config_selectorIjEEZZNS1_9scan_implILNS1_25lookback_scan_determinismE0ELb0ELb0ES3_N6thrust23THRUST_200600_302600_NS6detail15normal_iteratorINS9_10device_ptrIjEEEENS9_16discard_iteratorINS9_11use_defaultEEEj11max_functorIjEjEEDaPvRmT3_T4_T5_mT6_P12ihipStream_tbENKUlT_T0_E_clISt17integral_constantIbLb0EESX_EEDaSS_ST_EUlSS_E_NS1_11comp_targetILNS1_3genE3ELNS1_11target_archE908ELNS1_3gpuE7ELNS1_3repE0EEENS1_30default_config_static_selectorELNS0_4arch9wavefront6targetE1EEEvT1_
	.globl	_ZN7rocprim17ROCPRIM_400000_NS6detail17trampoline_kernelINS0_14default_configENS1_20scan_config_selectorIjEEZZNS1_9scan_implILNS1_25lookback_scan_determinismE0ELb0ELb0ES3_N6thrust23THRUST_200600_302600_NS6detail15normal_iteratorINS9_10device_ptrIjEEEENS9_16discard_iteratorINS9_11use_defaultEEEj11max_functorIjEjEEDaPvRmT3_T4_T5_mT6_P12ihipStream_tbENKUlT_T0_E_clISt17integral_constantIbLb0EESX_EEDaSS_ST_EUlSS_E_NS1_11comp_targetILNS1_3genE3ELNS1_11target_archE908ELNS1_3gpuE7ELNS1_3repE0EEENS1_30default_config_static_selectorELNS0_4arch9wavefront6targetE1EEEvT1_
	.p2align	8
	.type	_ZN7rocprim17ROCPRIM_400000_NS6detail17trampoline_kernelINS0_14default_configENS1_20scan_config_selectorIjEEZZNS1_9scan_implILNS1_25lookback_scan_determinismE0ELb0ELb0ES3_N6thrust23THRUST_200600_302600_NS6detail15normal_iteratorINS9_10device_ptrIjEEEENS9_16discard_iteratorINS9_11use_defaultEEEj11max_functorIjEjEEDaPvRmT3_T4_T5_mT6_P12ihipStream_tbENKUlT_T0_E_clISt17integral_constantIbLb0EESX_EEDaSS_ST_EUlSS_E_NS1_11comp_targetILNS1_3genE3ELNS1_11target_archE908ELNS1_3gpuE7ELNS1_3repE0EEENS1_30default_config_static_selectorELNS0_4arch9wavefront6targetE1EEEvT1_,@function
_ZN7rocprim17ROCPRIM_400000_NS6detail17trampoline_kernelINS0_14default_configENS1_20scan_config_selectorIjEEZZNS1_9scan_implILNS1_25lookback_scan_determinismE0ELb0ELb0ES3_N6thrust23THRUST_200600_302600_NS6detail15normal_iteratorINS9_10device_ptrIjEEEENS9_16discard_iteratorINS9_11use_defaultEEEj11max_functorIjEjEEDaPvRmT3_T4_T5_mT6_P12ihipStream_tbENKUlT_T0_E_clISt17integral_constantIbLb0EESX_EEDaSS_ST_EUlSS_E_NS1_11comp_targetILNS1_3genE3ELNS1_11target_archE908ELNS1_3gpuE7ELNS1_3repE0EEENS1_30default_config_static_selectorELNS0_4arch9wavefront6targetE1EEEvT1_: ; @_ZN7rocprim17ROCPRIM_400000_NS6detail17trampoline_kernelINS0_14default_configENS1_20scan_config_selectorIjEEZZNS1_9scan_implILNS1_25lookback_scan_determinismE0ELb0ELb0ES3_N6thrust23THRUST_200600_302600_NS6detail15normal_iteratorINS9_10device_ptrIjEEEENS9_16discard_iteratorINS9_11use_defaultEEEj11max_functorIjEjEEDaPvRmT3_T4_T5_mT6_P12ihipStream_tbENKUlT_T0_E_clISt17integral_constantIbLb0EESX_EEDaSS_ST_EUlSS_E_NS1_11comp_targetILNS1_3genE3ELNS1_11target_archE908ELNS1_3gpuE7ELNS1_3repE0EEENS1_30default_config_static_selectorELNS0_4arch9wavefront6targetE1EEEvT1_
; %bb.0:
	.section	.rodata,"a",@progbits
	.p2align	6, 0x0
	.amdhsa_kernel _ZN7rocprim17ROCPRIM_400000_NS6detail17trampoline_kernelINS0_14default_configENS1_20scan_config_selectorIjEEZZNS1_9scan_implILNS1_25lookback_scan_determinismE0ELb0ELb0ES3_N6thrust23THRUST_200600_302600_NS6detail15normal_iteratorINS9_10device_ptrIjEEEENS9_16discard_iteratorINS9_11use_defaultEEEj11max_functorIjEjEEDaPvRmT3_T4_T5_mT6_P12ihipStream_tbENKUlT_T0_E_clISt17integral_constantIbLb0EESX_EEDaSS_ST_EUlSS_E_NS1_11comp_targetILNS1_3genE3ELNS1_11target_archE908ELNS1_3gpuE7ELNS1_3repE0EEENS1_30default_config_static_selectorELNS0_4arch9wavefront6targetE1EEEvT1_
		.amdhsa_group_segment_fixed_size 0
		.amdhsa_private_segment_fixed_size 0
		.amdhsa_kernarg_size 104
		.amdhsa_user_sgpr_count 6
		.amdhsa_user_sgpr_private_segment_buffer 1
		.amdhsa_user_sgpr_dispatch_ptr 0
		.amdhsa_user_sgpr_queue_ptr 0
		.amdhsa_user_sgpr_kernarg_segment_ptr 1
		.amdhsa_user_sgpr_dispatch_id 0
		.amdhsa_user_sgpr_flat_scratch_init 0
		.amdhsa_user_sgpr_kernarg_preload_length 0
		.amdhsa_user_sgpr_kernarg_preload_offset 0
		.amdhsa_user_sgpr_private_segment_size 0
		.amdhsa_uses_dynamic_stack 0
		.amdhsa_system_sgpr_private_segment_wavefront_offset 0
		.amdhsa_system_sgpr_workgroup_id_x 1
		.amdhsa_system_sgpr_workgroup_id_y 0
		.amdhsa_system_sgpr_workgroup_id_z 0
		.amdhsa_system_sgpr_workgroup_info 0
		.amdhsa_system_vgpr_workitem_id 0
		.amdhsa_next_free_vgpr 1
		.amdhsa_next_free_sgpr 0
		.amdhsa_accum_offset 4
		.amdhsa_reserve_vcc 0
		.amdhsa_reserve_flat_scratch 0
		.amdhsa_float_round_mode_32 0
		.amdhsa_float_round_mode_16_64 0
		.amdhsa_float_denorm_mode_32 3
		.amdhsa_float_denorm_mode_16_64 3
		.amdhsa_dx10_clamp 1
		.amdhsa_ieee_mode 1
		.amdhsa_fp16_overflow 0
		.amdhsa_tg_split 0
		.amdhsa_exception_fp_ieee_invalid_op 0
		.amdhsa_exception_fp_denorm_src 0
		.amdhsa_exception_fp_ieee_div_zero 0
		.amdhsa_exception_fp_ieee_overflow 0
		.amdhsa_exception_fp_ieee_underflow 0
		.amdhsa_exception_fp_ieee_inexact 0
		.amdhsa_exception_int_div_zero 0
	.end_amdhsa_kernel
	.section	.text._ZN7rocprim17ROCPRIM_400000_NS6detail17trampoline_kernelINS0_14default_configENS1_20scan_config_selectorIjEEZZNS1_9scan_implILNS1_25lookback_scan_determinismE0ELb0ELb0ES3_N6thrust23THRUST_200600_302600_NS6detail15normal_iteratorINS9_10device_ptrIjEEEENS9_16discard_iteratorINS9_11use_defaultEEEj11max_functorIjEjEEDaPvRmT3_T4_T5_mT6_P12ihipStream_tbENKUlT_T0_E_clISt17integral_constantIbLb0EESX_EEDaSS_ST_EUlSS_E_NS1_11comp_targetILNS1_3genE3ELNS1_11target_archE908ELNS1_3gpuE7ELNS1_3repE0EEENS1_30default_config_static_selectorELNS0_4arch9wavefront6targetE1EEEvT1_,"axG",@progbits,_ZN7rocprim17ROCPRIM_400000_NS6detail17trampoline_kernelINS0_14default_configENS1_20scan_config_selectorIjEEZZNS1_9scan_implILNS1_25lookback_scan_determinismE0ELb0ELb0ES3_N6thrust23THRUST_200600_302600_NS6detail15normal_iteratorINS9_10device_ptrIjEEEENS9_16discard_iteratorINS9_11use_defaultEEEj11max_functorIjEjEEDaPvRmT3_T4_T5_mT6_P12ihipStream_tbENKUlT_T0_E_clISt17integral_constantIbLb0EESX_EEDaSS_ST_EUlSS_E_NS1_11comp_targetILNS1_3genE3ELNS1_11target_archE908ELNS1_3gpuE7ELNS1_3repE0EEENS1_30default_config_static_selectorELNS0_4arch9wavefront6targetE1EEEvT1_,comdat
.Lfunc_end3425:
	.size	_ZN7rocprim17ROCPRIM_400000_NS6detail17trampoline_kernelINS0_14default_configENS1_20scan_config_selectorIjEEZZNS1_9scan_implILNS1_25lookback_scan_determinismE0ELb0ELb0ES3_N6thrust23THRUST_200600_302600_NS6detail15normal_iteratorINS9_10device_ptrIjEEEENS9_16discard_iteratorINS9_11use_defaultEEEj11max_functorIjEjEEDaPvRmT3_T4_T5_mT6_P12ihipStream_tbENKUlT_T0_E_clISt17integral_constantIbLb0EESX_EEDaSS_ST_EUlSS_E_NS1_11comp_targetILNS1_3genE3ELNS1_11target_archE908ELNS1_3gpuE7ELNS1_3repE0EEENS1_30default_config_static_selectorELNS0_4arch9wavefront6targetE1EEEvT1_, .Lfunc_end3425-_ZN7rocprim17ROCPRIM_400000_NS6detail17trampoline_kernelINS0_14default_configENS1_20scan_config_selectorIjEEZZNS1_9scan_implILNS1_25lookback_scan_determinismE0ELb0ELb0ES3_N6thrust23THRUST_200600_302600_NS6detail15normal_iteratorINS9_10device_ptrIjEEEENS9_16discard_iteratorINS9_11use_defaultEEEj11max_functorIjEjEEDaPvRmT3_T4_T5_mT6_P12ihipStream_tbENKUlT_T0_E_clISt17integral_constantIbLb0EESX_EEDaSS_ST_EUlSS_E_NS1_11comp_targetILNS1_3genE3ELNS1_11target_archE908ELNS1_3gpuE7ELNS1_3repE0EEENS1_30default_config_static_selectorELNS0_4arch9wavefront6targetE1EEEvT1_
                                        ; -- End function
	.section	.AMDGPU.csdata,"",@progbits
; Kernel info:
; codeLenInByte = 0
; NumSgprs: 4
; NumVgprs: 0
; NumAgprs: 0
; TotalNumVgprs: 0
; ScratchSize: 0
; MemoryBound: 0
; FloatMode: 240
; IeeeMode: 1
; LDSByteSize: 0 bytes/workgroup (compile time only)
; SGPRBlocks: 0
; VGPRBlocks: 0
; NumSGPRsForWavesPerEU: 4
; NumVGPRsForWavesPerEU: 1
; AccumOffset: 4
; Occupancy: 8
; WaveLimiterHint : 0
; COMPUTE_PGM_RSRC2:SCRATCH_EN: 0
; COMPUTE_PGM_RSRC2:USER_SGPR: 6
; COMPUTE_PGM_RSRC2:TRAP_HANDLER: 0
; COMPUTE_PGM_RSRC2:TGID_X_EN: 1
; COMPUTE_PGM_RSRC2:TGID_Y_EN: 0
; COMPUTE_PGM_RSRC2:TGID_Z_EN: 0
; COMPUTE_PGM_RSRC2:TIDIG_COMP_CNT: 0
; COMPUTE_PGM_RSRC3_GFX90A:ACCUM_OFFSET: 0
; COMPUTE_PGM_RSRC3_GFX90A:TG_SPLIT: 0
	.section	.text._ZN7rocprim17ROCPRIM_400000_NS6detail17trampoline_kernelINS0_14default_configENS1_20scan_config_selectorIjEEZZNS1_9scan_implILNS1_25lookback_scan_determinismE0ELb0ELb0ES3_N6thrust23THRUST_200600_302600_NS6detail15normal_iteratorINS9_10device_ptrIjEEEENS9_16discard_iteratorINS9_11use_defaultEEEj11max_functorIjEjEEDaPvRmT3_T4_T5_mT6_P12ihipStream_tbENKUlT_T0_E_clISt17integral_constantIbLb0EESX_EEDaSS_ST_EUlSS_E_NS1_11comp_targetILNS1_3genE2ELNS1_11target_archE906ELNS1_3gpuE6ELNS1_3repE0EEENS1_30default_config_static_selectorELNS0_4arch9wavefront6targetE1EEEvT1_,"axG",@progbits,_ZN7rocprim17ROCPRIM_400000_NS6detail17trampoline_kernelINS0_14default_configENS1_20scan_config_selectorIjEEZZNS1_9scan_implILNS1_25lookback_scan_determinismE0ELb0ELb0ES3_N6thrust23THRUST_200600_302600_NS6detail15normal_iteratorINS9_10device_ptrIjEEEENS9_16discard_iteratorINS9_11use_defaultEEEj11max_functorIjEjEEDaPvRmT3_T4_T5_mT6_P12ihipStream_tbENKUlT_T0_E_clISt17integral_constantIbLb0EESX_EEDaSS_ST_EUlSS_E_NS1_11comp_targetILNS1_3genE2ELNS1_11target_archE906ELNS1_3gpuE6ELNS1_3repE0EEENS1_30default_config_static_selectorELNS0_4arch9wavefront6targetE1EEEvT1_,comdat
	.protected	_ZN7rocprim17ROCPRIM_400000_NS6detail17trampoline_kernelINS0_14default_configENS1_20scan_config_selectorIjEEZZNS1_9scan_implILNS1_25lookback_scan_determinismE0ELb0ELb0ES3_N6thrust23THRUST_200600_302600_NS6detail15normal_iteratorINS9_10device_ptrIjEEEENS9_16discard_iteratorINS9_11use_defaultEEEj11max_functorIjEjEEDaPvRmT3_T4_T5_mT6_P12ihipStream_tbENKUlT_T0_E_clISt17integral_constantIbLb0EESX_EEDaSS_ST_EUlSS_E_NS1_11comp_targetILNS1_3genE2ELNS1_11target_archE906ELNS1_3gpuE6ELNS1_3repE0EEENS1_30default_config_static_selectorELNS0_4arch9wavefront6targetE1EEEvT1_ ; -- Begin function _ZN7rocprim17ROCPRIM_400000_NS6detail17trampoline_kernelINS0_14default_configENS1_20scan_config_selectorIjEEZZNS1_9scan_implILNS1_25lookback_scan_determinismE0ELb0ELb0ES3_N6thrust23THRUST_200600_302600_NS6detail15normal_iteratorINS9_10device_ptrIjEEEENS9_16discard_iteratorINS9_11use_defaultEEEj11max_functorIjEjEEDaPvRmT3_T4_T5_mT6_P12ihipStream_tbENKUlT_T0_E_clISt17integral_constantIbLb0EESX_EEDaSS_ST_EUlSS_E_NS1_11comp_targetILNS1_3genE2ELNS1_11target_archE906ELNS1_3gpuE6ELNS1_3repE0EEENS1_30default_config_static_selectorELNS0_4arch9wavefront6targetE1EEEvT1_
	.globl	_ZN7rocprim17ROCPRIM_400000_NS6detail17trampoline_kernelINS0_14default_configENS1_20scan_config_selectorIjEEZZNS1_9scan_implILNS1_25lookback_scan_determinismE0ELb0ELb0ES3_N6thrust23THRUST_200600_302600_NS6detail15normal_iteratorINS9_10device_ptrIjEEEENS9_16discard_iteratorINS9_11use_defaultEEEj11max_functorIjEjEEDaPvRmT3_T4_T5_mT6_P12ihipStream_tbENKUlT_T0_E_clISt17integral_constantIbLb0EESX_EEDaSS_ST_EUlSS_E_NS1_11comp_targetILNS1_3genE2ELNS1_11target_archE906ELNS1_3gpuE6ELNS1_3repE0EEENS1_30default_config_static_selectorELNS0_4arch9wavefront6targetE1EEEvT1_
	.p2align	8
	.type	_ZN7rocprim17ROCPRIM_400000_NS6detail17trampoline_kernelINS0_14default_configENS1_20scan_config_selectorIjEEZZNS1_9scan_implILNS1_25lookback_scan_determinismE0ELb0ELb0ES3_N6thrust23THRUST_200600_302600_NS6detail15normal_iteratorINS9_10device_ptrIjEEEENS9_16discard_iteratorINS9_11use_defaultEEEj11max_functorIjEjEEDaPvRmT3_T4_T5_mT6_P12ihipStream_tbENKUlT_T0_E_clISt17integral_constantIbLb0EESX_EEDaSS_ST_EUlSS_E_NS1_11comp_targetILNS1_3genE2ELNS1_11target_archE906ELNS1_3gpuE6ELNS1_3repE0EEENS1_30default_config_static_selectorELNS0_4arch9wavefront6targetE1EEEvT1_,@function
_ZN7rocprim17ROCPRIM_400000_NS6detail17trampoline_kernelINS0_14default_configENS1_20scan_config_selectorIjEEZZNS1_9scan_implILNS1_25lookback_scan_determinismE0ELb0ELb0ES3_N6thrust23THRUST_200600_302600_NS6detail15normal_iteratorINS9_10device_ptrIjEEEENS9_16discard_iteratorINS9_11use_defaultEEEj11max_functorIjEjEEDaPvRmT3_T4_T5_mT6_P12ihipStream_tbENKUlT_T0_E_clISt17integral_constantIbLb0EESX_EEDaSS_ST_EUlSS_E_NS1_11comp_targetILNS1_3genE2ELNS1_11target_archE906ELNS1_3gpuE6ELNS1_3repE0EEENS1_30default_config_static_selectorELNS0_4arch9wavefront6targetE1EEEvT1_: ; @_ZN7rocprim17ROCPRIM_400000_NS6detail17trampoline_kernelINS0_14default_configENS1_20scan_config_selectorIjEEZZNS1_9scan_implILNS1_25lookback_scan_determinismE0ELb0ELb0ES3_N6thrust23THRUST_200600_302600_NS6detail15normal_iteratorINS9_10device_ptrIjEEEENS9_16discard_iteratorINS9_11use_defaultEEEj11max_functorIjEjEEDaPvRmT3_T4_T5_mT6_P12ihipStream_tbENKUlT_T0_E_clISt17integral_constantIbLb0EESX_EEDaSS_ST_EUlSS_E_NS1_11comp_targetILNS1_3genE2ELNS1_11target_archE906ELNS1_3gpuE6ELNS1_3repE0EEENS1_30default_config_static_selectorELNS0_4arch9wavefront6targetE1EEEvT1_
; %bb.0:
	.section	.rodata,"a",@progbits
	.p2align	6, 0x0
	.amdhsa_kernel _ZN7rocprim17ROCPRIM_400000_NS6detail17trampoline_kernelINS0_14default_configENS1_20scan_config_selectorIjEEZZNS1_9scan_implILNS1_25lookback_scan_determinismE0ELb0ELb0ES3_N6thrust23THRUST_200600_302600_NS6detail15normal_iteratorINS9_10device_ptrIjEEEENS9_16discard_iteratorINS9_11use_defaultEEEj11max_functorIjEjEEDaPvRmT3_T4_T5_mT6_P12ihipStream_tbENKUlT_T0_E_clISt17integral_constantIbLb0EESX_EEDaSS_ST_EUlSS_E_NS1_11comp_targetILNS1_3genE2ELNS1_11target_archE906ELNS1_3gpuE6ELNS1_3repE0EEENS1_30default_config_static_selectorELNS0_4arch9wavefront6targetE1EEEvT1_
		.amdhsa_group_segment_fixed_size 0
		.amdhsa_private_segment_fixed_size 0
		.amdhsa_kernarg_size 104
		.amdhsa_user_sgpr_count 6
		.amdhsa_user_sgpr_private_segment_buffer 1
		.amdhsa_user_sgpr_dispatch_ptr 0
		.amdhsa_user_sgpr_queue_ptr 0
		.amdhsa_user_sgpr_kernarg_segment_ptr 1
		.amdhsa_user_sgpr_dispatch_id 0
		.amdhsa_user_sgpr_flat_scratch_init 0
		.amdhsa_user_sgpr_kernarg_preload_length 0
		.amdhsa_user_sgpr_kernarg_preload_offset 0
		.amdhsa_user_sgpr_private_segment_size 0
		.amdhsa_uses_dynamic_stack 0
		.amdhsa_system_sgpr_private_segment_wavefront_offset 0
		.amdhsa_system_sgpr_workgroup_id_x 1
		.amdhsa_system_sgpr_workgroup_id_y 0
		.amdhsa_system_sgpr_workgroup_id_z 0
		.amdhsa_system_sgpr_workgroup_info 0
		.amdhsa_system_vgpr_workitem_id 0
		.amdhsa_next_free_vgpr 1
		.amdhsa_next_free_sgpr 0
		.amdhsa_accum_offset 4
		.amdhsa_reserve_vcc 0
		.amdhsa_reserve_flat_scratch 0
		.amdhsa_float_round_mode_32 0
		.amdhsa_float_round_mode_16_64 0
		.amdhsa_float_denorm_mode_32 3
		.amdhsa_float_denorm_mode_16_64 3
		.amdhsa_dx10_clamp 1
		.amdhsa_ieee_mode 1
		.amdhsa_fp16_overflow 0
		.amdhsa_tg_split 0
		.amdhsa_exception_fp_ieee_invalid_op 0
		.amdhsa_exception_fp_denorm_src 0
		.amdhsa_exception_fp_ieee_div_zero 0
		.amdhsa_exception_fp_ieee_overflow 0
		.amdhsa_exception_fp_ieee_underflow 0
		.amdhsa_exception_fp_ieee_inexact 0
		.amdhsa_exception_int_div_zero 0
	.end_amdhsa_kernel
	.section	.text._ZN7rocprim17ROCPRIM_400000_NS6detail17trampoline_kernelINS0_14default_configENS1_20scan_config_selectorIjEEZZNS1_9scan_implILNS1_25lookback_scan_determinismE0ELb0ELb0ES3_N6thrust23THRUST_200600_302600_NS6detail15normal_iteratorINS9_10device_ptrIjEEEENS9_16discard_iteratorINS9_11use_defaultEEEj11max_functorIjEjEEDaPvRmT3_T4_T5_mT6_P12ihipStream_tbENKUlT_T0_E_clISt17integral_constantIbLb0EESX_EEDaSS_ST_EUlSS_E_NS1_11comp_targetILNS1_3genE2ELNS1_11target_archE906ELNS1_3gpuE6ELNS1_3repE0EEENS1_30default_config_static_selectorELNS0_4arch9wavefront6targetE1EEEvT1_,"axG",@progbits,_ZN7rocprim17ROCPRIM_400000_NS6detail17trampoline_kernelINS0_14default_configENS1_20scan_config_selectorIjEEZZNS1_9scan_implILNS1_25lookback_scan_determinismE0ELb0ELb0ES3_N6thrust23THRUST_200600_302600_NS6detail15normal_iteratorINS9_10device_ptrIjEEEENS9_16discard_iteratorINS9_11use_defaultEEEj11max_functorIjEjEEDaPvRmT3_T4_T5_mT6_P12ihipStream_tbENKUlT_T0_E_clISt17integral_constantIbLb0EESX_EEDaSS_ST_EUlSS_E_NS1_11comp_targetILNS1_3genE2ELNS1_11target_archE906ELNS1_3gpuE6ELNS1_3repE0EEENS1_30default_config_static_selectorELNS0_4arch9wavefront6targetE1EEEvT1_,comdat
.Lfunc_end3426:
	.size	_ZN7rocprim17ROCPRIM_400000_NS6detail17trampoline_kernelINS0_14default_configENS1_20scan_config_selectorIjEEZZNS1_9scan_implILNS1_25lookback_scan_determinismE0ELb0ELb0ES3_N6thrust23THRUST_200600_302600_NS6detail15normal_iteratorINS9_10device_ptrIjEEEENS9_16discard_iteratorINS9_11use_defaultEEEj11max_functorIjEjEEDaPvRmT3_T4_T5_mT6_P12ihipStream_tbENKUlT_T0_E_clISt17integral_constantIbLb0EESX_EEDaSS_ST_EUlSS_E_NS1_11comp_targetILNS1_3genE2ELNS1_11target_archE906ELNS1_3gpuE6ELNS1_3repE0EEENS1_30default_config_static_selectorELNS0_4arch9wavefront6targetE1EEEvT1_, .Lfunc_end3426-_ZN7rocprim17ROCPRIM_400000_NS6detail17trampoline_kernelINS0_14default_configENS1_20scan_config_selectorIjEEZZNS1_9scan_implILNS1_25lookback_scan_determinismE0ELb0ELb0ES3_N6thrust23THRUST_200600_302600_NS6detail15normal_iteratorINS9_10device_ptrIjEEEENS9_16discard_iteratorINS9_11use_defaultEEEj11max_functorIjEjEEDaPvRmT3_T4_T5_mT6_P12ihipStream_tbENKUlT_T0_E_clISt17integral_constantIbLb0EESX_EEDaSS_ST_EUlSS_E_NS1_11comp_targetILNS1_3genE2ELNS1_11target_archE906ELNS1_3gpuE6ELNS1_3repE0EEENS1_30default_config_static_selectorELNS0_4arch9wavefront6targetE1EEEvT1_
                                        ; -- End function
	.section	.AMDGPU.csdata,"",@progbits
; Kernel info:
; codeLenInByte = 0
; NumSgprs: 4
; NumVgprs: 0
; NumAgprs: 0
; TotalNumVgprs: 0
; ScratchSize: 0
; MemoryBound: 0
; FloatMode: 240
; IeeeMode: 1
; LDSByteSize: 0 bytes/workgroup (compile time only)
; SGPRBlocks: 0
; VGPRBlocks: 0
; NumSGPRsForWavesPerEU: 4
; NumVGPRsForWavesPerEU: 1
; AccumOffset: 4
; Occupancy: 8
; WaveLimiterHint : 0
; COMPUTE_PGM_RSRC2:SCRATCH_EN: 0
; COMPUTE_PGM_RSRC2:USER_SGPR: 6
; COMPUTE_PGM_RSRC2:TRAP_HANDLER: 0
; COMPUTE_PGM_RSRC2:TGID_X_EN: 1
; COMPUTE_PGM_RSRC2:TGID_Y_EN: 0
; COMPUTE_PGM_RSRC2:TGID_Z_EN: 0
; COMPUTE_PGM_RSRC2:TIDIG_COMP_CNT: 0
; COMPUTE_PGM_RSRC3_GFX90A:ACCUM_OFFSET: 0
; COMPUTE_PGM_RSRC3_GFX90A:TG_SPLIT: 0
	.section	.text._ZN7rocprim17ROCPRIM_400000_NS6detail17trampoline_kernelINS0_14default_configENS1_20scan_config_selectorIjEEZZNS1_9scan_implILNS1_25lookback_scan_determinismE0ELb0ELb0ES3_N6thrust23THRUST_200600_302600_NS6detail15normal_iteratorINS9_10device_ptrIjEEEENS9_16discard_iteratorINS9_11use_defaultEEEj11max_functorIjEjEEDaPvRmT3_T4_T5_mT6_P12ihipStream_tbENKUlT_T0_E_clISt17integral_constantIbLb0EESX_EEDaSS_ST_EUlSS_E_NS1_11comp_targetILNS1_3genE10ELNS1_11target_archE1201ELNS1_3gpuE5ELNS1_3repE0EEENS1_30default_config_static_selectorELNS0_4arch9wavefront6targetE1EEEvT1_,"axG",@progbits,_ZN7rocprim17ROCPRIM_400000_NS6detail17trampoline_kernelINS0_14default_configENS1_20scan_config_selectorIjEEZZNS1_9scan_implILNS1_25lookback_scan_determinismE0ELb0ELb0ES3_N6thrust23THRUST_200600_302600_NS6detail15normal_iteratorINS9_10device_ptrIjEEEENS9_16discard_iteratorINS9_11use_defaultEEEj11max_functorIjEjEEDaPvRmT3_T4_T5_mT6_P12ihipStream_tbENKUlT_T0_E_clISt17integral_constantIbLb0EESX_EEDaSS_ST_EUlSS_E_NS1_11comp_targetILNS1_3genE10ELNS1_11target_archE1201ELNS1_3gpuE5ELNS1_3repE0EEENS1_30default_config_static_selectorELNS0_4arch9wavefront6targetE1EEEvT1_,comdat
	.protected	_ZN7rocprim17ROCPRIM_400000_NS6detail17trampoline_kernelINS0_14default_configENS1_20scan_config_selectorIjEEZZNS1_9scan_implILNS1_25lookback_scan_determinismE0ELb0ELb0ES3_N6thrust23THRUST_200600_302600_NS6detail15normal_iteratorINS9_10device_ptrIjEEEENS9_16discard_iteratorINS9_11use_defaultEEEj11max_functorIjEjEEDaPvRmT3_T4_T5_mT6_P12ihipStream_tbENKUlT_T0_E_clISt17integral_constantIbLb0EESX_EEDaSS_ST_EUlSS_E_NS1_11comp_targetILNS1_3genE10ELNS1_11target_archE1201ELNS1_3gpuE5ELNS1_3repE0EEENS1_30default_config_static_selectorELNS0_4arch9wavefront6targetE1EEEvT1_ ; -- Begin function _ZN7rocprim17ROCPRIM_400000_NS6detail17trampoline_kernelINS0_14default_configENS1_20scan_config_selectorIjEEZZNS1_9scan_implILNS1_25lookback_scan_determinismE0ELb0ELb0ES3_N6thrust23THRUST_200600_302600_NS6detail15normal_iteratorINS9_10device_ptrIjEEEENS9_16discard_iteratorINS9_11use_defaultEEEj11max_functorIjEjEEDaPvRmT3_T4_T5_mT6_P12ihipStream_tbENKUlT_T0_E_clISt17integral_constantIbLb0EESX_EEDaSS_ST_EUlSS_E_NS1_11comp_targetILNS1_3genE10ELNS1_11target_archE1201ELNS1_3gpuE5ELNS1_3repE0EEENS1_30default_config_static_selectorELNS0_4arch9wavefront6targetE1EEEvT1_
	.globl	_ZN7rocprim17ROCPRIM_400000_NS6detail17trampoline_kernelINS0_14default_configENS1_20scan_config_selectorIjEEZZNS1_9scan_implILNS1_25lookback_scan_determinismE0ELb0ELb0ES3_N6thrust23THRUST_200600_302600_NS6detail15normal_iteratorINS9_10device_ptrIjEEEENS9_16discard_iteratorINS9_11use_defaultEEEj11max_functorIjEjEEDaPvRmT3_T4_T5_mT6_P12ihipStream_tbENKUlT_T0_E_clISt17integral_constantIbLb0EESX_EEDaSS_ST_EUlSS_E_NS1_11comp_targetILNS1_3genE10ELNS1_11target_archE1201ELNS1_3gpuE5ELNS1_3repE0EEENS1_30default_config_static_selectorELNS0_4arch9wavefront6targetE1EEEvT1_
	.p2align	8
	.type	_ZN7rocprim17ROCPRIM_400000_NS6detail17trampoline_kernelINS0_14default_configENS1_20scan_config_selectorIjEEZZNS1_9scan_implILNS1_25lookback_scan_determinismE0ELb0ELb0ES3_N6thrust23THRUST_200600_302600_NS6detail15normal_iteratorINS9_10device_ptrIjEEEENS9_16discard_iteratorINS9_11use_defaultEEEj11max_functorIjEjEEDaPvRmT3_T4_T5_mT6_P12ihipStream_tbENKUlT_T0_E_clISt17integral_constantIbLb0EESX_EEDaSS_ST_EUlSS_E_NS1_11comp_targetILNS1_3genE10ELNS1_11target_archE1201ELNS1_3gpuE5ELNS1_3repE0EEENS1_30default_config_static_selectorELNS0_4arch9wavefront6targetE1EEEvT1_,@function
_ZN7rocprim17ROCPRIM_400000_NS6detail17trampoline_kernelINS0_14default_configENS1_20scan_config_selectorIjEEZZNS1_9scan_implILNS1_25lookback_scan_determinismE0ELb0ELb0ES3_N6thrust23THRUST_200600_302600_NS6detail15normal_iteratorINS9_10device_ptrIjEEEENS9_16discard_iteratorINS9_11use_defaultEEEj11max_functorIjEjEEDaPvRmT3_T4_T5_mT6_P12ihipStream_tbENKUlT_T0_E_clISt17integral_constantIbLb0EESX_EEDaSS_ST_EUlSS_E_NS1_11comp_targetILNS1_3genE10ELNS1_11target_archE1201ELNS1_3gpuE5ELNS1_3repE0EEENS1_30default_config_static_selectorELNS0_4arch9wavefront6targetE1EEEvT1_: ; @_ZN7rocprim17ROCPRIM_400000_NS6detail17trampoline_kernelINS0_14default_configENS1_20scan_config_selectorIjEEZZNS1_9scan_implILNS1_25lookback_scan_determinismE0ELb0ELb0ES3_N6thrust23THRUST_200600_302600_NS6detail15normal_iteratorINS9_10device_ptrIjEEEENS9_16discard_iteratorINS9_11use_defaultEEEj11max_functorIjEjEEDaPvRmT3_T4_T5_mT6_P12ihipStream_tbENKUlT_T0_E_clISt17integral_constantIbLb0EESX_EEDaSS_ST_EUlSS_E_NS1_11comp_targetILNS1_3genE10ELNS1_11target_archE1201ELNS1_3gpuE5ELNS1_3repE0EEENS1_30default_config_static_selectorELNS0_4arch9wavefront6targetE1EEEvT1_
; %bb.0:
	.section	.rodata,"a",@progbits
	.p2align	6, 0x0
	.amdhsa_kernel _ZN7rocprim17ROCPRIM_400000_NS6detail17trampoline_kernelINS0_14default_configENS1_20scan_config_selectorIjEEZZNS1_9scan_implILNS1_25lookback_scan_determinismE0ELb0ELb0ES3_N6thrust23THRUST_200600_302600_NS6detail15normal_iteratorINS9_10device_ptrIjEEEENS9_16discard_iteratorINS9_11use_defaultEEEj11max_functorIjEjEEDaPvRmT3_T4_T5_mT6_P12ihipStream_tbENKUlT_T0_E_clISt17integral_constantIbLb0EESX_EEDaSS_ST_EUlSS_E_NS1_11comp_targetILNS1_3genE10ELNS1_11target_archE1201ELNS1_3gpuE5ELNS1_3repE0EEENS1_30default_config_static_selectorELNS0_4arch9wavefront6targetE1EEEvT1_
		.amdhsa_group_segment_fixed_size 0
		.amdhsa_private_segment_fixed_size 0
		.amdhsa_kernarg_size 104
		.amdhsa_user_sgpr_count 6
		.amdhsa_user_sgpr_private_segment_buffer 1
		.amdhsa_user_sgpr_dispatch_ptr 0
		.amdhsa_user_sgpr_queue_ptr 0
		.amdhsa_user_sgpr_kernarg_segment_ptr 1
		.amdhsa_user_sgpr_dispatch_id 0
		.amdhsa_user_sgpr_flat_scratch_init 0
		.amdhsa_user_sgpr_kernarg_preload_length 0
		.amdhsa_user_sgpr_kernarg_preload_offset 0
		.amdhsa_user_sgpr_private_segment_size 0
		.amdhsa_uses_dynamic_stack 0
		.amdhsa_system_sgpr_private_segment_wavefront_offset 0
		.amdhsa_system_sgpr_workgroup_id_x 1
		.amdhsa_system_sgpr_workgroup_id_y 0
		.amdhsa_system_sgpr_workgroup_id_z 0
		.amdhsa_system_sgpr_workgroup_info 0
		.amdhsa_system_vgpr_workitem_id 0
		.amdhsa_next_free_vgpr 1
		.amdhsa_next_free_sgpr 0
		.amdhsa_accum_offset 4
		.amdhsa_reserve_vcc 0
		.amdhsa_reserve_flat_scratch 0
		.amdhsa_float_round_mode_32 0
		.amdhsa_float_round_mode_16_64 0
		.amdhsa_float_denorm_mode_32 3
		.amdhsa_float_denorm_mode_16_64 3
		.amdhsa_dx10_clamp 1
		.amdhsa_ieee_mode 1
		.amdhsa_fp16_overflow 0
		.amdhsa_tg_split 0
		.amdhsa_exception_fp_ieee_invalid_op 0
		.amdhsa_exception_fp_denorm_src 0
		.amdhsa_exception_fp_ieee_div_zero 0
		.amdhsa_exception_fp_ieee_overflow 0
		.amdhsa_exception_fp_ieee_underflow 0
		.amdhsa_exception_fp_ieee_inexact 0
		.amdhsa_exception_int_div_zero 0
	.end_amdhsa_kernel
	.section	.text._ZN7rocprim17ROCPRIM_400000_NS6detail17trampoline_kernelINS0_14default_configENS1_20scan_config_selectorIjEEZZNS1_9scan_implILNS1_25lookback_scan_determinismE0ELb0ELb0ES3_N6thrust23THRUST_200600_302600_NS6detail15normal_iteratorINS9_10device_ptrIjEEEENS9_16discard_iteratorINS9_11use_defaultEEEj11max_functorIjEjEEDaPvRmT3_T4_T5_mT6_P12ihipStream_tbENKUlT_T0_E_clISt17integral_constantIbLb0EESX_EEDaSS_ST_EUlSS_E_NS1_11comp_targetILNS1_3genE10ELNS1_11target_archE1201ELNS1_3gpuE5ELNS1_3repE0EEENS1_30default_config_static_selectorELNS0_4arch9wavefront6targetE1EEEvT1_,"axG",@progbits,_ZN7rocprim17ROCPRIM_400000_NS6detail17trampoline_kernelINS0_14default_configENS1_20scan_config_selectorIjEEZZNS1_9scan_implILNS1_25lookback_scan_determinismE0ELb0ELb0ES3_N6thrust23THRUST_200600_302600_NS6detail15normal_iteratorINS9_10device_ptrIjEEEENS9_16discard_iteratorINS9_11use_defaultEEEj11max_functorIjEjEEDaPvRmT3_T4_T5_mT6_P12ihipStream_tbENKUlT_T0_E_clISt17integral_constantIbLb0EESX_EEDaSS_ST_EUlSS_E_NS1_11comp_targetILNS1_3genE10ELNS1_11target_archE1201ELNS1_3gpuE5ELNS1_3repE0EEENS1_30default_config_static_selectorELNS0_4arch9wavefront6targetE1EEEvT1_,comdat
.Lfunc_end3427:
	.size	_ZN7rocprim17ROCPRIM_400000_NS6detail17trampoline_kernelINS0_14default_configENS1_20scan_config_selectorIjEEZZNS1_9scan_implILNS1_25lookback_scan_determinismE0ELb0ELb0ES3_N6thrust23THRUST_200600_302600_NS6detail15normal_iteratorINS9_10device_ptrIjEEEENS9_16discard_iteratorINS9_11use_defaultEEEj11max_functorIjEjEEDaPvRmT3_T4_T5_mT6_P12ihipStream_tbENKUlT_T0_E_clISt17integral_constantIbLb0EESX_EEDaSS_ST_EUlSS_E_NS1_11comp_targetILNS1_3genE10ELNS1_11target_archE1201ELNS1_3gpuE5ELNS1_3repE0EEENS1_30default_config_static_selectorELNS0_4arch9wavefront6targetE1EEEvT1_, .Lfunc_end3427-_ZN7rocprim17ROCPRIM_400000_NS6detail17trampoline_kernelINS0_14default_configENS1_20scan_config_selectorIjEEZZNS1_9scan_implILNS1_25lookback_scan_determinismE0ELb0ELb0ES3_N6thrust23THRUST_200600_302600_NS6detail15normal_iteratorINS9_10device_ptrIjEEEENS9_16discard_iteratorINS9_11use_defaultEEEj11max_functorIjEjEEDaPvRmT3_T4_T5_mT6_P12ihipStream_tbENKUlT_T0_E_clISt17integral_constantIbLb0EESX_EEDaSS_ST_EUlSS_E_NS1_11comp_targetILNS1_3genE10ELNS1_11target_archE1201ELNS1_3gpuE5ELNS1_3repE0EEENS1_30default_config_static_selectorELNS0_4arch9wavefront6targetE1EEEvT1_
                                        ; -- End function
	.section	.AMDGPU.csdata,"",@progbits
; Kernel info:
; codeLenInByte = 0
; NumSgprs: 4
; NumVgprs: 0
; NumAgprs: 0
; TotalNumVgprs: 0
; ScratchSize: 0
; MemoryBound: 0
; FloatMode: 240
; IeeeMode: 1
; LDSByteSize: 0 bytes/workgroup (compile time only)
; SGPRBlocks: 0
; VGPRBlocks: 0
; NumSGPRsForWavesPerEU: 4
; NumVGPRsForWavesPerEU: 1
; AccumOffset: 4
; Occupancy: 8
; WaveLimiterHint : 0
; COMPUTE_PGM_RSRC2:SCRATCH_EN: 0
; COMPUTE_PGM_RSRC2:USER_SGPR: 6
; COMPUTE_PGM_RSRC2:TRAP_HANDLER: 0
; COMPUTE_PGM_RSRC2:TGID_X_EN: 1
; COMPUTE_PGM_RSRC2:TGID_Y_EN: 0
; COMPUTE_PGM_RSRC2:TGID_Z_EN: 0
; COMPUTE_PGM_RSRC2:TIDIG_COMP_CNT: 0
; COMPUTE_PGM_RSRC3_GFX90A:ACCUM_OFFSET: 0
; COMPUTE_PGM_RSRC3_GFX90A:TG_SPLIT: 0
	.section	.text._ZN7rocprim17ROCPRIM_400000_NS6detail17trampoline_kernelINS0_14default_configENS1_20scan_config_selectorIjEEZZNS1_9scan_implILNS1_25lookback_scan_determinismE0ELb0ELb0ES3_N6thrust23THRUST_200600_302600_NS6detail15normal_iteratorINS9_10device_ptrIjEEEENS9_16discard_iteratorINS9_11use_defaultEEEj11max_functorIjEjEEDaPvRmT3_T4_T5_mT6_P12ihipStream_tbENKUlT_T0_E_clISt17integral_constantIbLb0EESX_EEDaSS_ST_EUlSS_E_NS1_11comp_targetILNS1_3genE10ELNS1_11target_archE1200ELNS1_3gpuE4ELNS1_3repE0EEENS1_30default_config_static_selectorELNS0_4arch9wavefront6targetE1EEEvT1_,"axG",@progbits,_ZN7rocprim17ROCPRIM_400000_NS6detail17trampoline_kernelINS0_14default_configENS1_20scan_config_selectorIjEEZZNS1_9scan_implILNS1_25lookback_scan_determinismE0ELb0ELb0ES3_N6thrust23THRUST_200600_302600_NS6detail15normal_iteratorINS9_10device_ptrIjEEEENS9_16discard_iteratorINS9_11use_defaultEEEj11max_functorIjEjEEDaPvRmT3_T4_T5_mT6_P12ihipStream_tbENKUlT_T0_E_clISt17integral_constantIbLb0EESX_EEDaSS_ST_EUlSS_E_NS1_11comp_targetILNS1_3genE10ELNS1_11target_archE1200ELNS1_3gpuE4ELNS1_3repE0EEENS1_30default_config_static_selectorELNS0_4arch9wavefront6targetE1EEEvT1_,comdat
	.protected	_ZN7rocprim17ROCPRIM_400000_NS6detail17trampoline_kernelINS0_14default_configENS1_20scan_config_selectorIjEEZZNS1_9scan_implILNS1_25lookback_scan_determinismE0ELb0ELb0ES3_N6thrust23THRUST_200600_302600_NS6detail15normal_iteratorINS9_10device_ptrIjEEEENS9_16discard_iteratorINS9_11use_defaultEEEj11max_functorIjEjEEDaPvRmT3_T4_T5_mT6_P12ihipStream_tbENKUlT_T0_E_clISt17integral_constantIbLb0EESX_EEDaSS_ST_EUlSS_E_NS1_11comp_targetILNS1_3genE10ELNS1_11target_archE1200ELNS1_3gpuE4ELNS1_3repE0EEENS1_30default_config_static_selectorELNS0_4arch9wavefront6targetE1EEEvT1_ ; -- Begin function _ZN7rocprim17ROCPRIM_400000_NS6detail17trampoline_kernelINS0_14default_configENS1_20scan_config_selectorIjEEZZNS1_9scan_implILNS1_25lookback_scan_determinismE0ELb0ELb0ES3_N6thrust23THRUST_200600_302600_NS6detail15normal_iteratorINS9_10device_ptrIjEEEENS9_16discard_iteratorINS9_11use_defaultEEEj11max_functorIjEjEEDaPvRmT3_T4_T5_mT6_P12ihipStream_tbENKUlT_T0_E_clISt17integral_constantIbLb0EESX_EEDaSS_ST_EUlSS_E_NS1_11comp_targetILNS1_3genE10ELNS1_11target_archE1200ELNS1_3gpuE4ELNS1_3repE0EEENS1_30default_config_static_selectorELNS0_4arch9wavefront6targetE1EEEvT1_
	.globl	_ZN7rocprim17ROCPRIM_400000_NS6detail17trampoline_kernelINS0_14default_configENS1_20scan_config_selectorIjEEZZNS1_9scan_implILNS1_25lookback_scan_determinismE0ELb0ELb0ES3_N6thrust23THRUST_200600_302600_NS6detail15normal_iteratorINS9_10device_ptrIjEEEENS9_16discard_iteratorINS9_11use_defaultEEEj11max_functorIjEjEEDaPvRmT3_T4_T5_mT6_P12ihipStream_tbENKUlT_T0_E_clISt17integral_constantIbLb0EESX_EEDaSS_ST_EUlSS_E_NS1_11comp_targetILNS1_3genE10ELNS1_11target_archE1200ELNS1_3gpuE4ELNS1_3repE0EEENS1_30default_config_static_selectorELNS0_4arch9wavefront6targetE1EEEvT1_
	.p2align	8
	.type	_ZN7rocprim17ROCPRIM_400000_NS6detail17trampoline_kernelINS0_14default_configENS1_20scan_config_selectorIjEEZZNS1_9scan_implILNS1_25lookback_scan_determinismE0ELb0ELb0ES3_N6thrust23THRUST_200600_302600_NS6detail15normal_iteratorINS9_10device_ptrIjEEEENS9_16discard_iteratorINS9_11use_defaultEEEj11max_functorIjEjEEDaPvRmT3_T4_T5_mT6_P12ihipStream_tbENKUlT_T0_E_clISt17integral_constantIbLb0EESX_EEDaSS_ST_EUlSS_E_NS1_11comp_targetILNS1_3genE10ELNS1_11target_archE1200ELNS1_3gpuE4ELNS1_3repE0EEENS1_30default_config_static_selectorELNS0_4arch9wavefront6targetE1EEEvT1_,@function
_ZN7rocprim17ROCPRIM_400000_NS6detail17trampoline_kernelINS0_14default_configENS1_20scan_config_selectorIjEEZZNS1_9scan_implILNS1_25lookback_scan_determinismE0ELb0ELb0ES3_N6thrust23THRUST_200600_302600_NS6detail15normal_iteratorINS9_10device_ptrIjEEEENS9_16discard_iteratorINS9_11use_defaultEEEj11max_functorIjEjEEDaPvRmT3_T4_T5_mT6_P12ihipStream_tbENKUlT_T0_E_clISt17integral_constantIbLb0EESX_EEDaSS_ST_EUlSS_E_NS1_11comp_targetILNS1_3genE10ELNS1_11target_archE1200ELNS1_3gpuE4ELNS1_3repE0EEENS1_30default_config_static_selectorELNS0_4arch9wavefront6targetE1EEEvT1_: ; @_ZN7rocprim17ROCPRIM_400000_NS6detail17trampoline_kernelINS0_14default_configENS1_20scan_config_selectorIjEEZZNS1_9scan_implILNS1_25lookback_scan_determinismE0ELb0ELb0ES3_N6thrust23THRUST_200600_302600_NS6detail15normal_iteratorINS9_10device_ptrIjEEEENS9_16discard_iteratorINS9_11use_defaultEEEj11max_functorIjEjEEDaPvRmT3_T4_T5_mT6_P12ihipStream_tbENKUlT_T0_E_clISt17integral_constantIbLb0EESX_EEDaSS_ST_EUlSS_E_NS1_11comp_targetILNS1_3genE10ELNS1_11target_archE1200ELNS1_3gpuE4ELNS1_3repE0EEENS1_30default_config_static_selectorELNS0_4arch9wavefront6targetE1EEEvT1_
; %bb.0:
	.section	.rodata,"a",@progbits
	.p2align	6, 0x0
	.amdhsa_kernel _ZN7rocprim17ROCPRIM_400000_NS6detail17trampoline_kernelINS0_14default_configENS1_20scan_config_selectorIjEEZZNS1_9scan_implILNS1_25lookback_scan_determinismE0ELb0ELb0ES3_N6thrust23THRUST_200600_302600_NS6detail15normal_iteratorINS9_10device_ptrIjEEEENS9_16discard_iteratorINS9_11use_defaultEEEj11max_functorIjEjEEDaPvRmT3_T4_T5_mT6_P12ihipStream_tbENKUlT_T0_E_clISt17integral_constantIbLb0EESX_EEDaSS_ST_EUlSS_E_NS1_11comp_targetILNS1_3genE10ELNS1_11target_archE1200ELNS1_3gpuE4ELNS1_3repE0EEENS1_30default_config_static_selectorELNS0_4arch9wavefront6targetE1EEEvT1_
		.amdhsa_group_segment_fixed_size 0
		.amdhsa_private_segment_fixed_size 0
		.amdhsa_kernarg_size 104
		.amdhsa_user_sgpr_count 6
		.amdhsa_user_sgpr_private_segment_buffer 1
		.amdhsa_user_sgpr_dispatch_ptr 0
		.amdhsa_user_sgpr_queue_ptr 0
		.amdhsa_user_sgpr_kernarg_segment_ptr 1
		.amdhsa_user_sgpr_dispatch_id 0
		.amdhsa_user_sgpr_flat_scratch_init 0
		.amdhsa_user_sgpr_kernarg_preload_length 0
		.amdhsa_user_sgpr_kernarg_preload_offset 0
		.amdhsa_user_sgpr_private_segment_size 0
		.amdhsa_uses_dynamic_stack 0
		.amdhsa_system_sgpr_private_segment_wavefront_offset 0
		.amdhsa_system_sgpr_workgroup_id_x 1
		.amdhsa_system_sgpr_workgroup_id_y 0
		.amdhsa_system_sgpr_workgroup_id_z 0
		.amdhsa_system_sgpr_workgroup_info 0
		.amdhsa_system_vgpr_workitem_id 0
		.amdhsa_next_free_vgpr 1
		.amdhsa_next_free_sgpr 0
		.amdhsa_accum_offset 4
		.amdhsa_reserve_vcc 0
		.amdhsa_reserve_flat_scratch 0
		.amdhsa_float_round_mode_32 0
		.amdhsa_float_round_mode_16_64 0
		.amdhsa_float_denorm_mode_32 3
		.amdhsa_float_denorm_mode_16_64 3
		.amdhsa_dx10_clamp 1
		.amdhsa_ieee_mode 1
		.amdhsa_fp16_overflow 0
		.amdhsa_tg_split 0
		.amdhsa_exception_fp_ieee_invalid_op 0
		.amdhsa_exception_fp_denorm_src 0
		.amdhsa_exception_fp_ieee_div_zero 0
		.amdhsa_exception_fp_ieee_overflow 0
		.amdhsa_exception_fp_ieee_underflow 0
		.amdhsa_exception_fp_ieee_inexact 0
		.amdhsa_exception_int_div_zero 0
	.end_amdhsa_kernel
	.section	.text._ZN7rocprim17ROCPRIM_400000_NS6detail17trampoline_kernelINS0_14default_configENS1_20scan_config_selectorIjEEZZNS1_9scan_implILNS1_25lookback_scan_determinismE0ELb0ELb0ES3_N6thrust23THRUST_200600_302600_NS6detail15normal_iteratorINS9_10device_ptrIjEEEENS9_16discard_iteratorINS9_11use_defaultEEEj11max_functorIjEjEEDaPvRmT3_T4_T5_mT6_P12ihipStream_tbENKUlT_T0_E_clISt17integral_constantIbLb0EESX_EEDaSS_ST_EUlSS_E_NS1_11comp_targetILNS1_3genE10ELNS1_11target_archE1200ELNS1_3gpuE4ELNS1_3repE0EEENS1_30default_config_static_selectorELNS0_4arch9wavefront6targetE1EEEvT1_,"axG",@progbits,_ZN7rocprim17ROCPRIM_400000_NS6detail17trampoline_kernelINS0_14default_configENS1_20scan_config_selectorIjEEZZNS1_9scan_implILNS1_25lookback_scan_determinismE0ELb0ELb0ES3_N6thrust23THRUST_200600_302600_NS6detail15normal_iteratorINS9_10device_ptrIjEEEENS9_16discard_iteratorINS9_11use_defaultEEEj11max_functorIjEjEEDaPvRmT3_T4_T5_mT6_P12ihipStream_tbENKUlT_T0_E_clISt17integral_constantIbLb0EESX_EEDaSS_ST_EUlSS_E_NS1_11comp_targetILNS1_3genE10ELNS1_11target_archE1200ELNS1_3gpuE4ELNS1_3repE0EEENS1_30default_config_static_selectorELNS0_4arch9wavefront6targetE1EEEvT1_,comdat
.Lfunc_end3428:
	.size	_ZN7rocprim17ROCPRIM_400000_NS6detail17trampoline_kernelINS0_14default_configENS1_20scan_config_selectorIjEEZZNS1_9scan_implILNS1_25lookback_scan_determinismE0ELb0ELb0ES3_N6thrust23THRUST_200600_302600_NS6detail15normal_iteratorINS9_10device_ptrIjEEEENS9_16discard_iteratorINS9_11use_defaultEEEj11max_functorIjEjEEDaPvRmT3_T4_T5_mT6_P12ihipStream_tbENKUlT_T0_E_clISt17integral_constantIbLb0EESX_EEDaSS_ST_EUlSS_E_NS1_11comp_targetILNS1_3genE10ELNS1_11target_archE1200ELNS1_3gpuE4ELNS1_3repE0EEENS1_30default_config_static_selectorELNS0_4arch9wavefront6targetE1EEEvT1_, .Lfunc_end3428-_ZN7rocprim17ROCPRIM_400000_NS6detail17trampoline_kernelINS0_14default_configENS1_20scan_config_selectorIjEEZZNS1_9scan_implILNS1_25lookback_scan_determinismE0ELb0ELb0ES3_N6thrust23THRUST_200600_302600_NS6detail15normal_iteratorINS9_10device_ptrIjEEEENS9_16discard_iteratorINS9_11use_defaultEEEj11max_functorIjEjEEDaPvRmT3_T4_T5_mT6_P12ihipStream_tbENKUlT_T0_E_clISt17integral_constantIbLb0EESX_EEDaSS_ST_EUlSS_E_NS1_11comp_targetILNS1_3genE10ELNS1_11target_archE1200ELNS1_3gpuE4ELNS1_3repE0EEENS1_30default_config_static_selectorELNS0_4arch9wavefront6targetE1EEEvT1_
                                        ; -- End function
	.section	.AMDGPU.csdata,"",@progbits
; Kernel info:
; codeLenInByte = 0
; NumSgprs: 4
; NumVgprs: 0
; NumAgprs: 0
; TotalNumVgprs: 0
; ScratchSize: 0
; MemoryBound: 0
; FloatMode: 240
; IeeeMode: 1
; LDSByteSize: 0 bytes/workgroup (compile time only)
; SGPRBlocks: 0
; VGPRBlocks: 0
; NumSGPRsForWavesPerEU: 4
; NumVGPRsForWavesPerEU: 1
; AccumOffset: 4
; Occupancy: 8
; WaveLimiterHint : 0
; COMPUTE_PGM_RSRC2:SCRATCH_EN: 0
; COMPUTE_PGM_RSRC2:USER_SGPR: 6
; COMPUTE_PGM_RSRC2:TRAP_HANDLER: 0
; COMPUTE_PGM_RSRC2:TGID_X_EN: 1
; COMPUTE_PGM_RSRC2:TGID_Y_EN: 0
; COMPUTE_PGM_RSRC2:TGID_Z_EN: 0
; COMPUTE_PGM_RSRC2:TIDIG_COMP_CNT: 0
; COMPUTE_PGM_RSRC3_GFX90A:ACCUM_OFFSET: 0
; COMPUTE_PGM_RSRC3_GFX90A:TG_SPLIT: 0
	.section	.text._ZN7rocprim17ROCPRIM_400000_NS6detail17trampoline_kernelINS0_14default_configENS1_20scan_config_selectorIjEEZZNS1_9scan_implILNS1_25lookback_scan_determinismE0ELb0ELb0ES3_N6thrust23THRUST_200600_302600_NS6detail15normal_iteratorINS9_10device_ptrIjEEEENS9_16discard_iteratorINS9_11use_defaultEEEj11max_functorIjEjEEDaPvRmT3_T4_T5_mT6_P12ihipStream_tbENKUlT_T0_E_clISt17integral_constantIbLb0EESX_EEDaSS_ST_EUlSS_E_NS1_11comp_targetILNS1_3genE9ELNS1_11target_archE1100ELNS1_3gpuE3ELNS1_3repE0EEENS1_30default_config_static_selectorELNS0_4arch9wavefront6targetE1EEEvT1_,"axG",@progbits,_ZN7rocprim17ROCPRIM_400000_NS6detail17trampoline_kernelINS0_14default_configENS1_20scan_config_selectorIjEEZZNS1_9scan_implILNS1_25lookback_scan_determinismE0ELb0ELb0ES3_N6thrust23THRUST_200600_302600_NS6detail15normal_iteratorINS9_10device_ptrIjEEEENS9_16discard_iteratorINS9_11use_defaultEEEj11max_functorIjEjEEDaPvRmT3_T4_T5_mT6_P12ihipStream_tbENKUlT_T0_E_clISt17integral_constantIbLb0EESX_EEDaSS_ST_EUlSS_E_NS1_11comp_targetILNS1_3genE9ELNS1_11target_archE1100ELNS1_3gpuE3ELNS1_3repE0EEENS1_30default_config_static_selectorELNS0_4arch9wavefront6targetE1EEEvT1_,comdat
	.protected	_ZN7rocprim17ROCPRIM_400000_NS6detail17trampoline_kernelINS0_14default_configENS1_20scan_config_selectorIjEEZZNS1_9scan_implILNS1_25lookback_scan_determinismE0ELb0ELb0ES3_N6thrust23THRUST_200600_302600_NS6detail15normal_iteratorINS9_10device_ptrIjEEEENS9_16discard_iteratorINS9_11use_defaultEEEj11max_functorIjEjEEDaPvRmT3_T4_T5_mT6_P12ihipStream_tbENKUlT_T0_E_clISt17integral_constantIbLb0EESX_EEDaSS_ST_EUlSS_E_NS1_11comp_targetILNS1_3genE9ELNS1_11target_archE1100ELNS1_3gpuE3ELNS1_3repE0EEENS1_30default_config_static_selectorELNS0_4arch9wavefront6targetE1EEEvT1_ ; -- Begin function _ZN7rocprim17ROCPRIM_400000_NS6detail17trampoline_kernelINS0_14default_configENS1_20scan_config_selectorIjEEZZNS1_9scan_implILNS1_25lookback_scan_determinismE0ELb0ELb0ES3_N6thrust23THRUST_200600_302600_NS6detail15normal_iteratorINS9_10device_ptrIjEEEENS9_16discard_iteratorINS9_11use_defaultEEEj11max_functorIjEjEEDaPvRmT3_T4_T5_mT6_P12ihipStream_tbENKUlT_T0_E_clISt17integral_constantIbLb0EESX_EEDaSS_ST_EUlSS_E_NS1_11comp_targetILNS1_3genE9ELNS1_11target_archE1100ELNS1_3gpuE3ELNS1_3repE0EEENS1_30default_config_static_selectorELNS0_4arch9wavefront6targetE1EEEvT1_
	.globl	_ZN7rocprim17ROCPRIM_400000_NS6detail17trampoline_kernelINS0_14default_configENS1_20scan_config_selectorIjEEZZNS1_9scan_implILNS1_25lookback_scan_determinismE0ELb0ELb0ES3_N6thrust23THRUST_200600_302600_NS6detail15normal_iteratorINS9_10device_ptrIjEEEENS9_16discard_iteratorINS9_11use_defaultEEEj11max_functorIjEjEEDaPvRmT3_T4_T5_mT6_P12ihipStream_tbENKUlT_T0_E_clISt17integral_constantIbLb0EESX_EEDaSS_ST_EUlSS_E_NS1_11comp_targetILNS1_3genE9ELNS1_11target_archE1100ELNS1_3gpuE3ELNS1_3repE0EEENS1_30default_config_static_selectorELNS0_4arch9wavefront6targetE1EEEvT1_
	.p2align	8
	.type	_ZN7rocprim17ROCPRIM_400000_NS6detail17trampoline_kernelINS0_14default_configENS1_20scan_config_selectorIjEEZZNS1_9scan_implILNS1_25lookback_scan_determinismE0ELb0ELb0ES3_N6thrust23THRUST_200600_302600_NS6detail15normal_iteratorINS9_10device_ptrIjEEEENS9_16discard_iteratorINS9_11use_defaultEEEj11max_functorIjEjEEDaPvRmT3_T4_T5_mT6_P12ihipStream_tbENKUlT_T0_E_clISt17integral_constantIbLb0EESX_EEDaSS_ST_EUlSS_E_NS1_11comp_targetILNS1_3genE9ELNS1_11target_archE1100ELNS1_3gpuE3ELNS1_3repE0EEENS1_30default_config_static_selectorELNS0_4arch9wavefront6targetE1EEEvT1_,@function
_ZN7rocprim17ROCPRIM_400000_NS6detail17trampoline_kernelINS0_14default_configENS1_20scan_config_selectorIjEEZZNS1_9scan_implILNS1_25lookback_scan_determinismE0ELb0ELb0ES3_N6thrust23THRUST_200600_302600_NS6detail15normal_iteratorINS9_10device_ptrIjEEEENS9_16discard_iteratorINS9_11use_defaultEEEj11max_functorIjEjEEDaPvRmT3_T4_T5_mT6_P12ihipStream_tbENKUlT_T0_E_clISt17integral_constantIbLb0EESX_EEDaSS_ST_EUlSS_E_NS1_11comp_targetILNS1_3genE9ELNS1_11target_archE1100ELNS1_3gpuE3ELNS1_3repE0EEENS1_30default_config_static_selectorELNS0_4arch9wavefront6targetE1EEEvT1_: ; @_ZN7rocprim17ROCPRIM_400000_NS6detail17trampoline_kernelINS0_14default_configENS1_20scan_config_selectorIjEEZZNS1_9scan_implILNS1_25lookback_scan_determinismE0ELb0ELb0ES3_N6thrust23THRUST_200600_302600_NS6detail15normal_iteratorINS9_10device_ptrIjEEEENS9_16discard_iteratorINS9_11use_defaultEEEj11max_functorIjEjEEDaPvRmT3_T4_T5_mT6_P12ihipStream_tbENKUlT_T0_E_clISt17integral_constantIbLb0EESX_EEDaSS_ST_EUlSS_E_NS1_11comp_targetILNS1_3genE9ELNS1_11target_archE1100ELNS1_3gpuE3ELNS1_3repE0EEENS1_30default_config_static_selectorELNS0_4arch9wavefront6targetE1EEEvT1_
; %bb.0:
	.section	.rodata,"a",@progbits
	.p2align	6, 0x0
	.amdhsa_kernel _ZN7rocprim17ROCPRIM_400000_NS6detail17trampoline_kernelINS0_14default_configENS1_20scan_config_selectorIjEEZZNS1_9scan_implILNS1_25lookback_scan_determinismE0ELb0ELb0ES3_N6thrust23THRUST_200600_302600_NS6detail15normal_iteratorINS9_10device_ptrIjEEEENS9_16discard_iteratorINS9_11use_defaultEEEj11max_functorIjEjEEDaPvRmT3_T4_T5_mT6_P12ihipStream_tbENKUlT_T0_E_clISt17integral_constantIbLb0EESX_EEDaSS_ST_EUlSS_E_NS1_11comp_targetILNS1_3genE9ELNS1_11target_archE1100ELNS1_3gpuE3ELNS1_3repE0EEENS1_30default_config_static_selectorELNS0_4arch9wavefront6targetE1EEEvT1_
		.amdhsa_group_segment_fixed_size 0
		.amdhsa_private_segment_fixed_size 0
		.amdhsa_kernarg_size 104
		.amdhsa_user_sgpr_count 6
		.amdhsa_user_sgpr_private_segment_buffer 1
		.amdhsa_user_sgpr_dispatch_ptr 0
		.amdhsa_user_sgpr_queue_ptr 0
		.amdhsa_user_sgpr_kernarg_segment_ptr 1
		.amdhsa_user_sgpr_dispatch_id 0
		.amdhsa_user_sgpr_flat_scratch_init 0
		.amdhsa_user_sgpr_kernarg_preload_length 0
		.amdhsa_user_sgpr_kernarg_preload_offset 0
		.amdhsa_user_sgpr_private_segment_size 0
		.amdhsa_uses_dynamic_stack 0
		.amdhsa_system_sgpr_private_segment_wavefront_offset 0
		.amdhsa_system_sgpr_workgroup_id_x 1
		.amdhsa_system_sgpr_workgroup_id_y 0
		.amdhsa_system_sgpr_workgroup_id_z 0
		.amdhsa_system_sgpr_workgroup_info 0
		.amdhsa_system_vgpr_workitem_id 0
		.amdhsa_next_free_vgpr 1
		.amdhsa_next_free_sgpr 0
		.amdhsa_accum_offset 4
		.amdhsa_reserve_vcc 0
		.amdhsa_reserve_flat_scratch 0
		.amdhsa_float_round_mode_32 0
		.amdhsa_float_round_mode_16_64 0
		.amdhsa_float_denorm_mode_32 3
		.amdhsa_float_denorm_mode_16_64 3
		.amdhsa_dx10_clamp 1
		.amdhsa_ieee_mode 1
		.amdhsa_fp16_overflow 0
		.amdhsa_tg_split 0
		.amdhsa_exception_fp_ieee_invalid_op 0
		.amdhsa_exception_fp_denorm_src 0
		.amdhsa_exception_fp_ieee_div_zero 0
		.amdhsa_exception_fp_ieee_overflow 0
		.amdhsa_exception_fp_ieee_underflow 0
		.amdhsa_exception_fp_ieee_inexact 0
		.amdhsa_exception_int_div_zero 0
	.end_amdhsa_kernel
	.section	.text._ZN7rocprim17ROCPRIM_400000_NS6detail17trampoline_kernelINS0_14default_configENS1_20scan_config_selectorIjEEZZNS1_9scan_implILNS1_25lookback_scan_determinismE0ELb0ELb0ES3_N6thrust23THRUST_200600_302600_NS6detail15normal_iteratorINS9_10device_ptrIjEEEENS9_16discard_iteratorINS9_11use_defaultEEEj11max_functorIjEjEEDaPvRmT3_T4_T5_mT6_P12ihipStream_tbENKUlT_T0_E_clISt17integral_constantIbLb0EESX_EEDaSS_ST_EUlSS_E_NS1_11comp_targetILNS1_3genE9ELNS1_11target_archE1100ELNS1_3gpuE3ELNS1_3repE0EEENS1_30default_config_static_selectorELNS0_4arch9wavefront6targetE1EEEvT1_,"axG",@progbits,_ZN7rocprim17ROCPRIM_400000_NS6detail17trampoline_kernelINS0_14default_configENS1_20scan_config_selectorIjEEZZNS1_9scan_implILNS1_25lookback_scan_determinismE0ELb0ELb0ES3_N6thrust23THRUST_200600_302600_NS6detail15normal_iteratorINS9_10device_ptrIjEEEENS9_16discard_iteratorINS9_11use_defaultEEEj11max_functorIjEjEEDaPvRmT3_T4_T5_mT6_P12ihipStream_tbENKUlT_T0_E_clISt17integral_constantIbLb0EESX_EEDaSS_ST_EUlSS_E_NS1_11comp_targetILNS1_3genE9ELNS1_11target_archE1100ELNS1_3gpuE3ELNS1_3repE0EEENS1_30default_config_static_selectorELNS0_4arch9wavefront6targetE1EEEvT1_,comdat
.Lfunc_end3429:
	.size	_ZN7rocprim17ROCPRIM_400000_NS6detail17trampoline_kernelINS0_14default_configENS1_20scan_config_selectorIjEEZZNS1_9scan_implILNS1_25lookback_scan_determinismE0ELb0ELb0ES3_N6thrust23THRUST_200600_302600_NS6detail15normal_iteratorINS9_10device_ptrIjEEEENS9_16discard_iteratorINS9_11use_defaultEEEj11max_functorIjEjEEDaPvRmT3_T4_T5_mT6_P12ihipStream_tbENKUlT_T0_E_clISt17integral_constantIbLb0EESX_EEDaSS_ST_EUlSS_E_NS1_11comp_targetILNS1_3genE9ELNS1_11target_archE1100ELNS1_3gpuE3ELNS1_3repE0EEENS1_30default_config_static_selectorELNS0_4arch9wavefront6targetE1EEEvT1_, .Lfunc_end3429-_ZN7rocprim17ROCPRIM_400000_NS6detail17trampoline_kernelINS0_14default_configENS1_20scan_config_selectorIjEEZZNS1_9scan_implILNS1_25lookback_scan_determinismE0ELb0ELb0ES3_N6thrust23THRUST_200600_302600_NS6detail15normal_iteratorINS9_10device_ptrIjEEEENS9_16discard_iteratorINS9_11use_defaultEEEj11max_functorIjEjEEDaPvRmT3_T4_T5_mT6_P12ihipStream_tbENKUlT_T0_E_clISt17integral_constantIbLb0EESX_EEDaSS_ST_EUlSS_E_NS1_11comp_targetILNS1_3genE9ELNS1_11target_archE1100ELNS1_3gpuE3ELNS1_3repE0EEENS1_30default_config_static_selectorELNS0_4arch9wavefront6targetE1EEEvT1_
                                        ; -- End function
	.section	.AMDGPU.csdata,"",@progbits
; Kernel info:
; codeLenInByte = 0
; NumSgprs: 4
; NumVgprs: 0
; NumAgprs: 0
; TotalNumVgprs: 0
; ScratchSize: 0
; MemoryBound: 0
; FloatMode: 240
; IeeeMode: 1
; LDSByteSize: 0 bytes/workgroup (compile time only)
; SGPRBlocks: 0
; VGPRBlocks: 0
; NumSGPRsForWavesPerEU: 4
; NumVGPRsForWavesPerEU: 1
; AccumOffset: 4
; Occupancy: 8
; WaveLimiterHint : 0
; COMPUTE_PGM_RSRC2:SCRATCH_EN: 0
; COMPUTE_PGM_RSRC2:USER_SGPR: 6
; COMPUTE_PGM_RSRC2:TRAP_HANDLER: 0
; COMPUTE_PGM_RSRC2:TGID_X_EN: 1
; COMPUTE_PGM_RSRC2:TGID_Y_EN: 0
; COMPUTE_PGM_RSRC2:TGID_Z_EN: 0
; COMPUTE_PGM_RSRC2:TIDIG_COMP_CNT: 0
; COMPUTE_PGM_RSRC3_GFX90A:ACCUM_OFFSET: 0
; COMPUTE_PGM_RSRC3_GFX90A:TG_SPLIT: 0
	.section	.text._ZN7rocprim17ROCPRIM_400000_NS6detail17trampoline_kernelINS0_14default_configENS1_20scan_config_selectorIjEEZZNS1_9scan_implILNS1_25lookback_scan_determinismE0ELb0ELb0ES3_N6thrust23THRUST_200600_302600_NS6detail15normal_iteratorINS9_10device_ptrIjEEEENS9_16discard_iteratorINS9_11use_defaultEEEj11max_functorIjEjEEDaPvRmT3_T4_T5_mT6_P12ihipStream_tbENKUlT_T0_E_clISt17integral_constantIbLb0EESX_EEDaSS_ST_EUlSS_E_NS1_11comp_targetILNS1_3genE8ELNS1_11target_archE1030ELNS1_3gpuE2ELNS1_3repE0EEENS1_30default_config_static_selectorELNS0_4arch9wavefront6targetE1EEEvT1_,"axG",@progbits,_ZN7rocprim17ROCPRIM_400000_NS6detail17trampoline_kernelINS0_14default_configENS1_20scan_config_selectorIjEEZZNS1_9scan_implILNS1_25lookback_scan_determinismE0ELb0ELb0ES3_N6thrust23THRUST_200600_302600_NS6detail15normal_iteratorINS9_10device_ptrIjEEEENS9_16discard_iteratorINS9_11use_defaultEEEj11max_functorIjEjEEDaPvRmT3_T4_T5_mT6_P12ihipStream_tbENKUlT_T0_E_clISt17integral_constantIbLb0EESX_EEDaSS_ST_EUlSS_E_NS1_11comp_targetILNS1_3genE8ELNS1_11target_archE1030ELNS1_3gpuE2ELNS1_3repE0EEENS1_30default_config_static_selectorELNS0_4arch9wavefront6targetE1EEEvT1_,comdat
	.protected	_ZN7rocprim17ROCPRIM_400000_NS6detail17trampoline_kernelINS0_14default_configENS1_20scan_config_selectorIjEEZZNS1_9scan_implILNS1_25lookback_scan_determinismE0ELb0ELb0ES3_N6thrust23THRUST_200600_302600_NS6detail15normal_iteratorINS9_10device_ptrIjEEEENS9_16discard_iteratorINS9_11use_defaultEEEj11max_functorIjEjEEDaPvRmT3_T4_T5_mT6_P12ihipStream_tbENKUlT_T0_E_clISt17integral_constantIbLb0EESX_EEDaSS_ST_EUlSS_E_NS1_11comp_targetILNS1_3genE8ELNS1_11target_archE1030ELNS1_3gpuE2ELNS1_3repE0EEENS1_30default_config_static_selectorELNS0_4arch9wavefront6targetE1EEEvT1_ ; -- Begin function _ZN7rocprim17ROCPRIM_400000_NS6detail17trampoline_kernelINS0_14default_configENS1_20scan_config_selectorIjEEZZNS1_9scan_implILNS1_25lookback_scan_determinismE0ELb0ELb0ES3_N6thrust23THRUST_200600_302600_NS6detail15normal_iteratorINS9_10device_ptrIjEEEENS9_16discard_iteratorINS9_11use_defaultEEEj11max_functorIjEjEEDaPvRmT3_T4_T5_mT6_P12ihipStream_tbENKUlT_T0_E_clISt17integral_constantIbLb0EESX_EEDaSS_ST_EUlSS_E_NS1_11comp_targetILNS1_3genE8ELNS1_11target_archE1030ELNS1_3gpuE2ELNS1_3repE0EEENS1_30default_config_static_selectorELNS0_4arch9wavefront6targetE1EEEvT1_
	.globl	_ZN7rocprim17ROCPRIM_400000_NS6detail17trampoline_kernelINS0_14default_configENS1_20scan_config_selectorIjEEZZNS1_9scan_implILNS1_25lookback_scan_determinismE0ELb0ELb0ES3_N6thrust23THRUST_200600_302600_NS6detail15normal_iteratorINS9_10device_ptrIjEEEENS9_16discard_iteratorINS9_11use_defaultEEEj11max_functorIjEjEEDaPvRmT3_T4_T5_mT6_P12ihipStream_tbENKUlT_T0_E_clISt17integral_constantIbLb0EESX_EEDaSS_ST_EUlSS_E_NS1_11comp_targetILNS1_3genE8ELNS1_11target_archE1030ELNS1_3gpuE2ELNS1_3repE0EEENS1_30default_config_static_selectorELNS0_4arch9wavefront6targetE1EEEvT1_
	.p2align	8
	.type	_ZN7rocprim17ROCPRIM_400000_NS6detail17trampoline_kernelINS0_14default_configENS1_20scan_config_selectorIjEEZZNS1_9scan_implILNS1_25lookback_scan_determinismE0ELb0ELb0ES3_N6thrust23THRUST_200600_302600_NS6detail15normal_iteratorINS9_10device_ptrIjEEEENS9_16discard_iteratorINS9_11use_defaultEEEj11max_functorIjEjEEDaPvRmT3_T4_T5_mT6_P12ihipStream_tbENKUlT_T0_E_clISt17integral_constantIbLb0EESX_EEDaSS_ST_EUlSS_E_NS1_11comp_targetILNS1_3genE8ELNS1_11target_archE1030ELNS1_3gpuE2ELNS1_3repE0EEENS1_30default_config_static_selectorELNS0_4arch9wavefront6targetE1EEEvT1_,@function
_ZN7rocprim17ROCPRIM_400000_NS6detail17trampoline_kernelINS0_14default_configENS1_20scan_config_selectorIjEEZZNS1_9scan_implILNS1_25lookback_scan_determinismE0ELb0ELb0ES3_N6thrust23THRUST_200600_302600_NS6detail15normal_iteratorINS9_10device_ptrIjEEEENS9_16discard_iteratorINS9_11use_defaultEEEj11max_functorIjEjEEDaPvRmT3_T4_T5_mT6_P12ihipStream_tbENKUlT_T0_E_clISt17integral_constantIbLb0EESX_EEDaSS_ST_EUlSS_E_NS1_11comp_targetILNS1_3genE8ELNS1_11target_archE1030ELNS1_3gpuE2ELNS1_3repE0EEENS1_30default_config_static_selectorELNS0_4arch9wavefront6targetE1EEEvT1_: ; @_ZN7rocprim17ROCPRIM_400000_NS6detail17trampoline_kernelINS0_14default_configENS1_20scan_config_selectorIjEEZZNS1_9scan_implILNS1_25lookback_scan_determinismE0ELb0ELb0ES3_N6thrust23THRUST_200600_302600_NS6detail15normal_iteratorINS9_10device_ptrIjEEEENS9_16discard_iteratorINS9_11use_defaultEEEj11max_functorIjEjEEDaPvRmT3_T4_T5_mT6_P12ihipStream_tbENKUlT_T0_E_clISt17integral_constantIbLb0EESX_EEDaSS_ST_EUlSS_E_NS1_11comp_targetILNS1_3genE8ELNS1_11target_archE1030ELNS1_3gpuE2ELNS1_3repE0EEENS1_30default_config_static_selectorELNS0_4arch9wavefront6targetE1EEEvT1_
; %bb.0:
	.section	.rodata,"a",@progbits
	.p2align	6, 0x0
	.amdhsa_kernel _ZN7rocprim17ROCPRIM_400000_NS6detail17trampoline_kernelINS0_14default_configENS1_20scan_config_selectorIjEEZZNS1_9scan_implILNS1_25lookback_scan_determinismE0ELb0ELb0ES3_N6thrust23THRUST_200600_302600_NS6detail15normal_iteratorINS9_10device_ptrIjEEEENS9_16discard_iteratorINS9_11use_defaultEEEj11max_functorIjEjEEDaPvRmT3_T4_T5_mT6_P12ihipStream_tbENKUlT_T0_E_clISt17integral_constantIbLb0EESX_EEDaSS_ST_EUlSS_E_NS1_11comp_targetILNS1_3genE8ELNS1_11target_archE1030ELNS1_3gpuE2ELNS1_3repE0EEENS1_30default_config_static_selectorELNS0_4arch9wavefront6targetE1EEEvT1_
		.amdhsa_group_segment_fixed_size 0
		.amdhsa_private_segment_fixed_size 0
		.amdhsa_kernarg_size 104
		.amdhsa_user_sgpr_count 6
		.amdhsa_user_sgpr_private_segment_buffer 1
		.amdhsa_user_sgpr_dispatch_ptr 0
		.amdhsa_user_sgpr_queue_ptr 0
		.amdhsa_user_sgpr_kernarg_segment_ptr 1
		.amdhsa_user_sgpr_dispatch_id 0
		.amdhsa_user_sgpr_flat_scratch_init 0
		.amdhsa_user_sgpr_kernarg_preload_length 0
		.amdhsa_user_sgpr_kernarg_preload_offset 0
		.amdhsa_user_sgpr_private_segment_size 0
		.amdhsa_uses_dynamic_stack 0
		.amdhsa_system_sgpr_private_segment_wavefront_offset 0
		.amdhsa_system_sgpr_workgroup_id_x 1
		.amdhsa_system_sgpr_workgroup_id_y 0
		.amdhsa_system_sgpr_workgroup_id_z 0
		.amdhsa_system_sgpr_workgroup_info 0
		.amdhsa_system_vgpr_workitem_id 0
		.amdhsa_next_free_vgpr 1
		.amdhsa_next_free_sgpr 0
		.amdhsa_accum_offset 4
		.amdhsa_reserve_vcc 0
		.amdhsa_reserve_flat_scratch 0
		.amdhsa_float_round_mode_32 0
		.amdhsa_float_round_mode_16_64 0
		.amdhsa_float_denorm_mode_32 3
		.amdhsa_float_denorm_mode_16_64 3
		.amdhsa_dx10_clamp 1
		.amdhsa_ieee_mode 1
		.amdhsa_fp16_overflow 0
		.amdhsa_tg_split 0
		.amdhsa_exception_fp_ieee_invalid_op 0
		.amdhsa_exception_fp_denorm_src 0
		.amdhsa_exception_fp_ieee_div_zero 0
		.amdhsa_exception_fp_ieee_overflow 0
		.amdhsa_exception_fp_ieee_underflow 0
		.amdhsa_exception_fp_ieee_inexact 0
		.amdhsa_exception_int_div_zero 0
	.end_amdhsa_kernel
	.section	.text._ZN7rocprim17ROCPRIM_400000_NS6detail17trampoline_kernelINS0_14default_configENS1_20scan_config_selectorIjEEZZNS1_9scan_implILNS1_25lookback_scan_determinismE0ELb0ELb0ES3_N6thrust23THRUST_200600_302600_NS6detail15normal_iteratorINS9_10device_ptrIjEEEENS9_16discard_iteratorINS9_11use_defaultEEEj11max_functorIjEjEEDaPvRmT3_T4_T5_mT6_P12ihipStream_tbENKUlT_T0_E_clISt17integral_constantIbLb0EESX_EEDaSS_ST_EUlSS_E_NS1_11comp_targetILNS1_3genE8ELNS1_11target_archE1030ELNS1_3gpuE2ELNS1_3repE0EEENS1_30default_config_static_selectorELNS0_4arch9wavefront6targetE1EEEvT1_,"axG",@progbits,_ZN7rocprim17ROCPRIM_400000_NS6detail17trampoline_kernelINS0_14default_configENS1_20scan_config_selectorIjEEZZNS1_9scan_implILNS1_25lookback_scan_determinismE0ELb0ELb0ES3_N6thrust23THRUST_200600_302600_NS6detail15normal_iteratorINS9_10device_ptrIjEEEENS9_16discard_iteratorINS9_11use_defaultEEEj11max_functorIjEjEEDaPvRmT3_T4_T5_mT6_P12ihipStream_tbENKUlT_T0_E_clISt17integral_constantIbLb0EESX_EEDaSS_ST_EUlSS_E_NS1_11comp_targetILNS1_3genE8ELNS1_11target_archE1030ELNS1_3gpuE2ELNS1_3repE0EEENS1_30default_config_static_selectorELNS0_4arch9wavefront6targetE1EEEvT1_,comdat
.Lfunc_end3430:
	.size	_ZN7rocprim17ROCPRIM_400000_NS6detail17trampoline_kernelINS0_14default_configENS1_20scan_config_selectorIjEEZZNS1_9scan_implILNS1_25lookback_scan_determinismE0ELb0ELb0ES3_N6thrust23THRUST_200600_302600_NS6detail15normal_iteratorINS9_10device_ptrIjEEEENS9_16discard_iteratorINS9_11use_defaultEEEj11max_functorIjEjEEDaPvRmT3_T4_T5_mT6_P12ihipStream_tbENKUlT_T0_E_clISt17integral_constantIbLb0EESX_EEDaSS_ST_EUlSS_E_NS1_11comp_targetILNS1_3genE8ELNS1_11target_archE1030ELNS1_3gpuE2ELNS1_3repE0EEENS1_30default_config_static_selectorELNS0_4arch9wavefront6targetE1EEEvT1_, .Lfunc_end3430-_ZN7rocprim17ROCPRIM_400000_NS6detail17trampoline_kernelINS0_14default_configENS1_20scan_config_selectorIjEEZZNS1_9scan_implILNS1_25lookback_scan_determinismE0ELb0ELb0ES3_N6thrust23THRUST_200600_302600_NS6detail15normal_iteratorINS9_10device_ptrIjEEEENS9_16discard_iteratorINS9_11use_defaultEEEj11max_functorIjEjEEDaPvRmT3_T4_T5_mT6_P12ihipStream_tbENKUlT_T0_E_clISt17integral_constantIbLb0EESX_EEDaSS_ST_EUlSS_E_NS1_11comp_targetILNS1_3genE8ELNS1_11target_archE1030ELNS1_3gpuE2ELNS1_3repE0EEENS1_30default_config_static_selectorELNS0_4arch9wavefront6targetE1EEEvT1_
                                        ; -- End function
	.section	.AMDGPU.csdata,"",@progbits
; Kernel info:
; codeLenInByte = 0
; NumSgprs: 4
; NumVgprs: 0
; NumAgprs: 0
; TotalNumVgprs: 0
; ScratchSize: 0
; MemoryBound: 0
; FloatMode: 240
; IeeeMode: 1
; LDSByteSize: 0 bytes/workgroup (compile time only)
; SGPRBlocks: 0
; VGPRBlocks: 0
; NumSGPRsForWavesPerEU: 4
; NumVGPRsForWavesPerEU: 1
; AccumOffset: 4
; Occupancy: 8
; WaveLimiterHint : 0
; COMPUTE_PGM_RSRC2:SCRATCH_EN: 0
; COMPUTE_PGM_RSRC2:USER_SGPR: 6
; COMPUTE_PGM_RSRC2:TRAP_HANDLER: 0
; COMPUTE_PGM_RSRC2:TGID_X_EN: 1
; COMPUTE_PGM_RSRC2:TGID_Y_EN: 0
; COMPUTE_PGM_RSRC2:TGID_Z_EN: 0
; COMPUTE_PGM_RSRC2:TIDIG_COMP_CNT: 0
; COMPUTE_PGM_RSRC3_GFX90A:ACCUM_OFFSET: 0
; COMPUTE_PGM_RSRC3_GFX90A:TG_SPLIT: 0
	.section	.text._ZN7rocprim17ROCPRIM_400000_NS6detail17trampoline_kernelINS0_14default_configENS1_20scan_config_selectorIjEEZZNS1_9scan_implILNS1_25lookback_scan_determinismE0ELb0ELb0ES3_N6thrust23THRUST_200600_302600_NS6detail15normal_iteratorINS9_10device_ptrIjEEEENS9_16discard_iteratorINS9_11use_defaultEEEj11max_functorIjEjEEDaPvRmT3_T4_T5_mT6_P12ihipStream_tbENKUlT_T0_E_clISt17integral_constantIbLb0EESX_EEDaSS_ST_EUlSS_E0_NS1_11comp_targetILNS1_3genE0ELNS1_11target_archE4294967295ELNS1_3gpuE0ELNS1_3repE0EEENS1_30default_config_static_selectorELNS0_4arch9wavefront6targetE1EEEvT1_,"axG",@progbits,_ZN7rocprim17ROCPRIM_400000_NS6detail17trampoline_kernelINS0_14default_configENS1_20scan_config_selectorIjEEZZNS1_9scan_implILNS1_25lookback_scan_determinismE0ELb0ELb0ES3_N6thrust23THRUST_200600_302600_NS6detail15normal_iteratorINS9_10device_ptrIjEEEENS9_16discard_iteratorINS9_11use_defaultEEEj11max_functorIjEjEEDaPvRmT3_T4_T5_mT6_P12ihipStream_tbENKUlT_T0_E_clISt17integral_constantIbLb0EESX_EEDaSS_ST_EUlSS_E0_NS1_11comp_targetILNS1_3genE0ELNS1_11target_archE4294967295ELNS1_3gpuE0ELNS1_3repE0EEENS1_30default_config_static_selectorELNS0_4arch9wavefront6targetE1EEEvT1_,comdat
	.protected	_ZN7rocprim17ROCPRIM_400000_NS6detail17trampoline_kernelINS0_14default_configENS1_20scan_config_selectorIjEEZZNS1_9scan_implILNS1_25lookback_scan_determinismE0ELb0ELb0ES3_N6thrust23THRUST_200600_302600_NS6detail15normal_iteratorINS9_10device_ptrIjEEEENS9_16discard_iteratorINS9_11use_defaultEEEj11max_functorIjEjEEDaPvRmT3_T4_T5_mT6_P12ihipStream_tbENKUlT_T0_E_clISt17integral_constantIbLb0EESX_EEDaSS_ST_EUlSS_E0_NS1_11comp_targetILNS1_3genE0ELNS1_11target_archE4294967295ELNS1_3gpuE0ELNS1_3repE0EEENS1_30default_config_static_selectorELNS0_4arch9wavefront6targetE1EEEvT1_ ; -- Begin function _ZN7rocprim17ROCPRIM_400000_NS6detail17trampoline_kernelINS0_14default_configENS1_20scan_config_selectorIjEEZZNS1_9scan_implILNS1_25lookback_scan_determinismE0ELb0ELb0ES3_N6thrust23THRUST_200600_302600_NS6detail15normal_iteratorINS9_10device_ptrIjEEEENS9_16discard_iteratorINS9_11use_defaultEEEj11max_functorIjEjEEDaPvRmT3_T4_T5_mT6_P12ihipStream_tbENKUlT_T0_E_clISt17integral_constantIbLb0EESX_EEDaSS_ST_EUlSS_E0_NS1_11comp_targetILNS1_3genE0ELNS1_11target_archE4294967295ELNS1_3gpuE0ELNS1_3repE0EEENS1_30default_config_static_selectorELNS0_4arch9wavefront6targetE1EEEvT1_
	.globl	_ZN7rocprim17ROCPRIM_400000_NS6detail17trampoline_kernelINS0_14default_configENS1_20scan_config_selectorIjEEZZNS1_9scan_implILNS1_25lookback_scan_determinismE0ELb0ELb0ES3_N6thrust23THRUST_200600_302600_NS6detail15normal_iteratorINS9_10device_ptrIjEEEENS9_16discard_iteratorINS9_11use_defaultEEEj11max_functorIjEjEEDaPvRmT3_T4_T5_mT6_P12ihipStream_tbENKUlT_T0_E_clISt17integral_constantIbLb0EESX_EEDaSS_ST_EUlSS_E0_NS1_11comp_targetILNS1_3genE0ELNS1_11target_archE4294967295ELNS1_3gpuE0ELNS1_3repE0EEENS1_30default_config_static_selectorELNS0_4arch9wavefront6targetE1EEEvT1_
	.p2align	8
	.type	_ZN7rocprim17ROCPRIM_400000_NS6detail17trampoline_kernelINS0_14default_configENS1_20scan_config_selectorIjEEZZNS1_9scan_implILNS1_25lookback_scan_determinismE0ELb0ELb0ES3_N6thrust23THRUST_200600_302600_NS6detail15normal_iteratorINS9_10device_ptrIjEEEENS9_16discard_iteratorINS9_11use_defaultEEEj11max_functorIjEjEEDaPvRmT3_T4_T5_mT6_P12ihipStream_tbENKUlT_T0_E_clISt17integral_constantIbLb0EESX_EEDaSS_ST_EUlSS_E0_NS1_11comp_targetILNS1_3genE0ELNS1_11target_archE4294967295ELNS1_3gpuE0ELNS1_3repE0EEENS1_30default_config_static_selectorELNS0_4arch9wavefront6targetE1EEEvT1_,@function
_ZN7rocprim17ROCPRIM_400000_NS6detail17trampoline_kernelINS0_14default_configENS1_20scan_config_selectorIjEEZZNS1_9scan_implILNS1_25lookback_scan_determinismE0ELb0ELb0ES3_N6thrust23THRUST_200600_302600_NS6detail15normal_iteratorINS9_10device_ptrIjEEEENS9_16discard_iteratorINS9_11use_defaultEEEj11max_functorIjEjEEDaPvRmT3_T4_T5_mT6_P12ihipStream_tbENKUlT_T0_E_clISt17integral_constantIbLb0EESX_EEDaSS_ST_EUlSS_E0_NS1_11comp_targetILNS1_3genE0ELNS1_11target_archE4294967295ELNS1_3gpuE0ELNS1_3repE0EEENS1_30default_config_static_selectorELNS0_4arch9wavefront6targetE1EEEvT1_: ; @_ZN7rocprim17ROCPRIM_400000_NS6detail17trampoline_kernelINS0_14default_configENS1_20scan_config_selectorIjEEZZNS1_9scan_implILNS1_25lookback_scan_determinismE0ELb0ELb0ES3_N6thrust23THRUST_200600_302600_NS6detail15normal_iteratorINS9_10device_ptrIjEEEENS9_16discard_iteratorINS9_11use_defaultEEEj11max_functorIjEjEEDaPvRmT3_T4_T5_mT6_P12ihipStream_tbENKUlT_T0_E_clISt17integral_constantIbLb0EESX_EEDaSS_ST_EUlSS_E0_NS1_11comp_targetILNS1_3genE0ELNS1_11target_archE4294967295ELNS1_3gpuE0ELNS1_3repE0EEENS1_30default_config_static_selectorELNS0_4arch9wavefront6targetE1EEEvT1_
; %bb.0:
	.section	.rodata,"a",@progbits
	.p2align	6, 0x0
	.amdhsa_kernel _ZN7rocprim17ROCPRIM_400000_NS6detail17trampoline_kernelINS0_14default_configENS1_20scan_config_selectorIjEEZZNS1_9scan_implILNS1_25lookback_scan_determinismE0ELb0ELb0ES3_N6thrust23THRUST_200600_302600_NS6detail15normal_iteratorINS9_10device_ptrIjEEEENS9_16discard_iteratorINS9_11use_defaultEEEj11max_functorIjEjEEDaPvRmT3_T4_T5_mT6_P12ihipStream_tbENKUlT_T0_E_clISt17integral_constantIbLb0EESX_EEDaSS_ST_EUlSS_E0_NS1_11comp_targetILNS1_3genE0ELNS1_11target_archE4294967295ELNS1_3gpuE0ELNS1_3repE0EEENS1_30default_config_static_selectorELNS0_4arch9wavefront6targetE1EEEvT1_
		.amdhsa_group_segment_fixed_size 0
		.amdhsa_private_segment_fixed_size 0
		.amdhsa_kernarg_size 40
		.amdhsa_user_sgpr_count 6
		.amdhsa_user_sgpr_private_segment_buffer 1
		.amdhsa_user_sgpr_dispatch_ptr 0
		.amdhsa_user_sgpr_queue_ptr 0
		.amdhsa_user_sgpr_kernarg_segment_ptr 1
		.amdhsa_user_sgpr_dispatch_id 0
		.amdhsa_user_sgpr_flat_scratch_init 0
		.amdhsa_user_sgpr_kernarg_preload_length 0
		.amdhsa_user_sgpr_kernarg_preload_offset 0
		.amdhsa_user_sgpr_private_segment_size 0
		.amdhsa_uses_dynamic_stack 0
		.amdhsa_system_sgpr_private_segment_wavefront_offset 0
		.amdhsa_system_sgpr_workgroup_id_x 1
		.amdhsa_system_sgpr_workgroup_id_y 0
		.amdhsa_system_sgpr_workgroup_id_z 0
		.amdhsa_system_sgpr_workgroup_info 0
		.amdhsa_system_vgpr_workitem_id 0
		.amdhsa_next_free_vgpr 1
		.amdhsa_next_free_sgpr 0
		.amdhsa_accum_offset 4
		.amdhsa_reserve_vcc 0
		.amdhsa_reserve_flat_scratch 0
		.amdhsa_float_round_mode_32 0
		.amdhsa_float_round_mode_16_64 0
		.amdhsa_float_denorm_mode_32 3
		.amdhsa_float_denorm_mode_16_64 3
		.amdhsa_dx10_clamp 1
		.amdhsa_ieee_mode 1
		.amdhsa_fp16_overflow 0
		.amdhsa_tg_split 0
		.amdhsa_exception_fp_ieee_invalid_op 0
		.amdhsa_exception_fp_denorm_src 0
		.amdhsa_exception_fp_ieee_div_zero 0
		.amdhsa_exception_fp_ieee_overflow 0
		.amdhsa_exception_fp_ieee_underflow 0
		.amdhsa_exception_fp_ieee_inexact 0
		.amdhsa_exception_int_div_zero 0
	.end_amdhsa_kernel
	.section	.text._ZN7rocprim17ROCPRIM_400000_NS6detail17trampoline_kernelINS0_14default_configENS1_20scan_config_selectorIjEEZZNS1_9scan_implILNS1_25lookback_scan_determinismE0ELb0ELb0ES3_N6thrust23THRUST_200600_302600_NS6detail15normal_iteratorINS9_10device_ptrIjEEEENS9_16discard_iteratorINS9_11use_defaultEEEj11max_functorIjEjEEDaPvRmT3_T4_T5_mT6_P12ihipStream_tbENKUlT_T0_E_clISt17integral_constantIbLb0EESX_EEDaSS_ST_EUlSS_E0_NS1_11comp_targetILNS1_3genE0ELNS1_11target_archE4294967295ELNS1_3gpuE0ELNS1_3repE0EEENS1_30default_config_static_selectorELNS0_4arch9wavefront6targetE1EEEvT1_,"axG",@progbits,_ZN7rocprim17ROCPRIM_400000_NS6detail17trampoline_kernelINS0_14default_configENS1_20scan_config_selectorIjEEZZNS1_9scan_implILNS1_25lookback_scan_determinismE0ELb0ELb0ES3_N6thrust23THRUST_200600_302600_NS6detail15normal_iteratorINS9_10device_ptrIjEEEENS9_16discard_iteratorINS9_11use_defaultEEEj11max_functorIjEjEEDaPvRmT3_T4_T5_mT6_P12ihipStream_tbENKUlT_T0_E_clISt17integral_constantIbLb0EESX_EEDaSS_ST_EUlSS_E0_NS1_11comp_targetILNS1_3genE0ELNS1_11target_archE4294967295ELNS1_3gpuE0ELNS1_3repE0EEENS1_30default_config_static_selectorELNS0_4arch9wavefront6targetE1EEEvT1_,comdat
.Lfunc_end3431:
	.size	_ZN7rocprim17ROCPRIM_400000_NS6detail17trampoline_kernelINS0_14default_configENS1_20scan_config_selectorIjEEZZNS1_9scan_implILNS1_25lookback_scan_determinismE0ELb0ELb0ES3_N6thrust23THRUST_200600_302600_NS6detail15normal_iteratorINS9_10device_ptrIjEEEENS9_16discard_iteratorINS9_11use_defaultEEEj11max_functorIjEjEEDaPvRmT3_T4_T5_mT6_P12ihipStream_tbENKUlT_T0_E_clISt17integral_constantIbLb0EESX_EEDaSS_ST_EUlSS_E0_NS1_11comp_targetILNS1_3genE0ELNS1_11target_archE4294967295ELNS1_3gpuE0ELNS1_3repE0EEENS1_30default_config_static_selectorELNS0_4arch9wavefront6targetE1EEEvT1_, .Lfunc_end3431-_ZN7rocprim17ROCPRIM_400000_NS6detail17trampoline_kernelINS0_14default_configENS1_20scan_config_selectorIjEEZZNS1_9scan_implILNS1_25lookback_scan_determinismE0ELb0ELb0ES3_N6thrust23THRUST_200600_302600_NS6detail15normal_iteratorINS9_10device_ptrIjEEEENS9_16discard_iteratorINS9_11use_defaultEEEj11max_functorIjEjEEDaPvRmT3_T4_T5_mT6_P12ihipStream_tbENKUlT_T0_E_clISt17integral_constantIbLb0EESX_EEDaSS_ST_EUlSS_E0_NS1_11comp_targetILNS1_3genE0ELNS1_11target_archE4294967295ELNS1_3gpuE0ELNS1_3repE0EEENS1_30default_config_static_selectorELNS0_4arch9wavefront6targetE1EEEvT1_
                                        ; -- End function
	.section	.AMDGPU.csdata,"",@progbits
; Kernel info:
; codeLenInByte = 0
; NumSgprs: 4
; NumVgprs: 0
; NumAgprs: 0
; TotalNumVgprs: 0
; ScratchSize: 0
; MemoryBound: 0
; FloatMode: 240
; IeeeMode: 1
; LDSByteSize: 0 bytes/workgroup (compile time only)
; SGPRBlocks: 0
; VGPRBlocks: 0
; NumSGPRsForWavesPerEU: 4
; NumVGPRsForWavesPerEU: 1
; AccumOffset: 4
; Occupancy: 8
; WaveLimiterHint : 0
; COMPUTE_PGM_RSRC2:SCRATCH_EN: 0
; COMPUTE_PGM_RSRC2:USER_SGPR: 6
; COMPUTE_PGM_RSRC2:TRAP_HANDLER: 0
; COMPUTE_PGM_RSRC2:TGID_X_EN: 1
; COMPUTE_PGM_RSRC2:TGID_Y_EN: 0
; COMPUTE_PGM_RSRC2:TGID_Z_EN: 0
; COMPUTE_PGM_RSRC2:TIDIG_COMP_CNT: 0
; COMPUTE_PGM_RSRC3_GFX90A:ACCUM_OFFSET: 0
; COMPUTE_PGM_RSRC3_GFX90A:TG_SPLIT: 0
	.section	.text._ZN7rocprim17ROCPRIM_400000_NS6detail17trampoline_kernelINS0_14default_configENS1_20scan_config_selectorIjEEZZNS1_9scan_implILNS1_25lookback_scan_determinismE0ELb0ELb0ES3_N6thrust23THRUST_200600_302600_NS6detail15normal_iteratorINS9_10device_ptrIjEEEENS9_16discard_iteratorINS9_11use_defaultEEEj11max_functorIjEjEEDaPvRmT3_T4_T5_mT6_P12ihipStream_tbENKUlT_T0_E_clISt17integral_constantIbLb0EESX_EEDaSS_ST_EUlSS_E0_NS1_11comp_targetILNS1_3genE5ELNS1_11target_archE942ELNS1_3gpuE9ELNS1_3repE0EEENS1_30default_config_static_selectorELNS0_4arch9wavefront6targetE1EEEvT1_,"axG",@progbits,_ZN7rocprim17ROCPRIM_400000_NS6detail17trampoline_kernelINS0_14default_configENS1_20scan_config_selectorIjEEZZNS1_9scan_implILNS1_25lookback_scan_determinismE0ELb0ELb0ES3_N6thrust23THRUST_200600_302600_NS6detail15normal_iteratorINS9_10device_ptrIjEEEENS9_16discard_iteratorINS9_11use_defaultEEEj11max_functorIjEjEEDaPvRmT3_T4_T5_mT6_P12ihipStream_tbENKUlT_T0_E_clISt17integral_constantIbLb0EESX_EEDaSS_ST_EUlSS_E0_NS1_11comp_targetILNS1_3genE5ELNS1_11target_archE942ELNS1_3gpuE9ELNS1_3repE0EEENS1_30default_config_static_selectorELNS0_4arch9wavefront6targetE1EEEvT1_,comdat
	.protected	_ZN7rocprim17ROCPRIM_400000_NS6detail17trampoline_kernelINS0_14default_configENS1_20scan_config_selectorIjEEZZNS1_9scan_implILNS1_25lookback_scan_determinismE0ELb0ELb0ES3_N6thrust23THRUST_200600_302600_NS6detail15normal_iteratorINS9_10device_ptrIjEEEENS9_16discard_iteratorINS9_11use_defaultEEEj11max_functorIjEjEEDaPvRmT3_T4_T5_mT6_P12ihipStream_tbENKUlT_T0_E_clISt17integral_constantIbLb0EESX_EEDaSS_ST_EUlSS_E0_NS1_11comp_targetILNS1_3genE5ELNS1_11target_archE942ELNS1_3gpuE9ELNS1_3repE0EEENS1_30default_config_static_selectorELNS0_4arch9wavefront6targetE1EEEvT1_ ; -- Begin function _ZN7rocprim17ROCPRIM_400000_NS6detail17trampoline_kernelINS0_14default_configENS1_20scan_config_selectorIjEEZZNS1_9scan_implILNS1_25lookback_scan_determinismE0ELb0ELb0ES3_N6thrust23THRUST_200600_302600_NS6detail15normal_iteratorINS9_10device_ptrIjEEEENS9_16discard_iteratorINS9_11use_defaultEEEj11max_functorIjEjEEDaPvRmT3_T4_T5_mT6_P12ihipStream_tbENKUlT_T0_E_clISt17integral_constantIbLb0EESX_EEDaSS_ST_EUlSS_E0_NS1_11comp_targetILNS1_3genE5ELNS1_11target_archE942ELNS1_3gpuE9ELNS1_3repE0EEENS1_30default_config_static_selectorELNS0_4arch9wavefront6targetE1EEEvT1_
	.globl	_ZN7rocprim17ROCPRIM_400000_NS6detail17trampoline_kernelINS0_14default_configENS1_20scan_config_selectorIjEEZZNS1_9scan_implILNS1_25lookback_scan_determinismE0ELb0ELb0ES3_N6thrust23THRUST_200600_302600_NS6detail15normal_iteratorINS9_10device_ptrIjEEEENS9_16discard_iteratorINS9_11use_defaultEEEj11max_functorIjEjEEDaPvRmT3_T4_T5_mT6_P12ihipStream_tbENKUlT_T0_E_clISt17integral_constantIbLb0EESX_EEDaSS_ST_EUlSS_E0_NS1_11comp_targetILNS1_3genE5ELNS1_11target_archE942ELNS1_3gpuE9ELNS1_3repE0EEENS1_30default_config_static_selectorELNS0_4arch9wavefront6targetE1EEEvT1_
	.p2align	8
	.type	_ZN7rocprim17ROCPRIM_400000_NS6detail17trampoline_kernelINS0_14default_configENS1_20scan_config_selectorIjEEZZNS1_9scan_implILNS1_25lookback_scan_determinismE0ELb0ELb0ES3_N6thrust23THRUST_200600_302600_NS6detail15normal_iteratorINS9_10device_ptrIjEEEENS9_16discard_iteratorINS9_11use_defaultEEEj11max_functorIjEjEEDaPvRmT3_T4_T5_mT6_P12ihipStream_tbENKUlT_T0_E_clISt17integral_constantIbLb0EESX_EEDaSS_ST_EUlSS_E0_NS1_11comp_targetILNS1_3genE5ELNS1_11target_archE942ELNS1_3gpuE9ELNS1_3repE0EEENS1_30default_config_static_selectorELNS0_4arch9wavefront6targetE1EEEvT1_,@function
_ZN7rocprim17ROCPRIM_400000_NS6detail17trampoline_kernelINS0_14default_configENS1_20scan_config_selectorIjEEZZNS1_9scan_implILNS1_25lookback_scan_determinismE0ELb0ELb0ES3_N6thrust23THRUST_200600_302600_NS6detail15normal_iteratorINS9_10device_ptrIjEEEENS9_16discard_iteratorINS9_11use_defaultEEEj11max_functorIjEjEEDaPvRmT3_T4_T5_mT6_P12ihipStream_tbENKUlT_T0_E_clISt17integral_constantIbLb0EESX_EEDaSS_ST_EUlSS_E0_NS1_11comp_targetILNS1_3genE5ELNS1_11target_archE942ELNS1_3gpuE9ELNS1_3repE0EEENS1_30default_config_static_selectorELNS0_4arch9wavefront6targetE1EEEvT1_: ; @_ZN7rocprim17ROCPRIM_400000_NS6detail17trampoline_kernelINS0_14default_configENS1_20scan_config_selectorIjEEZZNS1_9scan_implILNS1_25lookback_scan_determinismE0ELb0ELb0ES3_N6thrust23THRUST_200600_302600_NS6detail15normal_iteratorINS9_10device_ptrIjEEEENS9_16discard_iteratorINS9_11use_defaultEEEj11max_functorIjEjEEDaPvRmT3_T4_T5_mT6_P12ihipStream_tbENKUlT_T0_E_clISt17integral_constantIbLb0EESX_EEDaSS_ST_EUlSS_E0_NS1_11comp_targetILNS1_3genE5ELNS1_11target_archE942ELNS1_3gpuE9ELNS1_3repE0EEENS1_30default_config_static_selectorELNS0_4arch9wavefront6targetE1EEEvT1_
; %bb.0:
	.section	.rodata,"a",@progbits
	.p2align	6, 0x0
	.amdhsa_kernel _ZN7rocprim17ROCPRIM_400000_NS6detail17trampoline_kernelINS0_14default_configENS1_20scan_config_selectorIjEEZZNS1_9scan_implILNS1_25lookback_scan_determinismE0ELb0ELb0ES3_N6thrust23THRUST_200600_302600_NS6detail15normal_iteratorINS9_10device_ptrIjEEEENS9_16discard_iteratorINS9_11use_defaultEEEj11max_functorIjEjEEDaPvRmT3_T4_T5_mT6_P12ihipStream_tbENKUlT_T0_E_clISt17integral_constantIbLb0EESX_EEDaSS_ST_EUlSS_E0_NS1_11comp_targetILNS1_3genE5ELNS1_11target_archE942ELNS1_3gpuE9ELNS1_3repE0EEENS1_30default_config_static_selectorELNS0_4arch9wavefront6targetE1EEEvT1_
		.amdhsa_group_segment_fixed_size 0
		.amdhsa_private_segment_fixed_size 0
		.amdhsa_kernarg_size 40
		.amdhsa_user_sgpr_count 6
		.amdhsa_user_sgpr_private_segment_buffer 1
		.amdhsa_user_sgpr_dispatch_ptr 0
		.amdhsa_user_sgpr_queue_ptr 0
		.amdhsa_user_sgpr_kernarg_segment_ptr 1
		.amdhsa_user_sgpr_dispatch_id 0
		.amdhsa_user_sgpr_flat_scratch_init 0
		.amdhsa_user_sgpr_kernarg_preload_length 0
		.amdhsa_user_sgpr_kernarg_preload_offset 0
		.amdhsa_user_sgpr_private_segment_size 0
		.amdhsa_uses_dynamic_stack 0
		.amdhsa_system_sgpr_private_segment_wavefront_offset 0
		.amdhsa_system_sgpr_workgroup_id_x 1
		.amdhsa_system_sgpr_workgroup_id_y 0
		.amdhsa_system_sgpr_workgroup_id_z 0
		.amdhsa_system_sgpr_workgroup_info 0
		.amdhsa_system_vgpr_workitem_id 0
		.amdhsa_next_free_vgpr 1
		.amdhsa_next_free_sgpr 0
		.amdhsa_accum_offset 4
		.amdhsa_reserve_vcc 0
		.amdhsa_reserve_flat_scratch 0
		.amdhsa_float_round_mode_32 0
		.amdhsa_float_round_mode_16_64 0
		.amdhsa_float_denorm_mode_32 3
		.amdhsa_float_denorm_mode_16_64 3
		.amdhsa_dx10_clamp 1
		.amdhsa_ieee_mode 1
		.amdhsa_fp16_overflow 0
		.amdhsa_tg_split 0
		.amdhsa_exception_fp_ieee_invalid_op 0
		.amdhsa_exception_fp_denorm_src 0
		.amdhsa_exception_fp_ieee_div_zero 0
		.amdhsa_exception_fp_ieee_overflow 0
		.amdhsa_exception_fp_ieee_underflow 0
		.amdhsa_exception_fp_ieee_inexact 0
		.amdhsa_exception_int_div_zero 0
	.end_amdhsa_kernel
	.section	.text._ZN7rocprim17ROCPRIM_400000_NS6detail17trampoline_kernelINS0_14default_configENS1_20scan_config_selectorIjEEZZNS1_9scan_implILNS1_25lookback_scan_determinismE0ELb0ELb0ES3_N6thrust23THRUST_200600_302600_NS6detail15normal_iteratorINS9_10device_ptrIjEEEENS9_16discard_iteratorINS9_11use_defaultEEEj11max_functorIjEjEEDaPvRmT3_T4_T5_mT6_P12ihipStream_tbENKUlT_T0_E_clISt17integral_constantIbLb0EESX_EEDaSS_ST_EUlSS_E0_NS1_11comp_targetILNS1_3genE5ELNS1_11target_archE942ELNS1_3gpuE9ELNS1_3repE0EEENS1_30default_config_static_selectorELNS0_4arch9wavefront6targetE1EEEvT1_,"axG",@progbits,_ZN7rocprim17ROCPRIM_400000_NS6detail17trampoline_kernelINS0_14default_configENS1_20scan_config_selectorIjEEZZNS1_9scan_implILNS1_25lookback_scan_determinismE0ELb0ELb0ES3_N6thrust23THRUST_200600_302600_NS6detail15normal_iteratorINS9_10device_ptrIjEEEENS9_16discard_iteratorINS9_11use_defaultEEEj11max_functorIjEjEEDaPvRmT3_T4_T5_mT6_P12ihipStream_tbENKUlT_T0_E_clISt17integral_constantIbLb0EESX_EEDaSS_ST_EUlSS_E0_NS1_11comp_targetILNS1_3genE5ELNS1_11target_archE942ELNS1_3gpuE9ELNS1_3repE0EEENS1_30default_config_static_selectorELNS0_4arch9wavefront6targetE1EEEvT1_,comdat
.Lfunc_end3432:
	.size	_ZN7rocprim17ROCPRIM_400000_NS6detail17trampoline_kernelINS0_14default_configENS1_20scan_config_selectorIjEEZZNS1_9scan_implILNS1_25lookback_scan_determinismE0ELb0ELb0ES3_N6thrust23THRUST_200600_302600_NS6detail15normal_iteratorINS9_10device_ptrIjEEEENS9_16discard_iteratorINS9_11use_defaultEEEj11max_functorIjEjEEDaPvRmT3_T4_T5_mT6_P12ihipStream_tbENKUlT_T0_E_clISt17integral_constantIbLb0EESX_EEDaSS_ST_EUlSS_E0_NS1_11comp_targetILNS1_3genE5ELNS1_11target_archE942ELNS1_3gpuE9ELNS1_3repE0EEENS1_30default_config_static_selectorELNS0_4arch9wavefront6targetE1EEEvT1_, .Lfunc_end3432-_ZN7rocprim17ROCPRIM_400000_NS6detail17trampoline_kernelINS0_14default_configENS1_20scan_config_selectorIjEEZZNS1_9scan_implILNS1_25lookback_scan_determinismE0ELb0ELb0ES3_N6thrust23THRUST_200600_302600_NS6detail15normal_iteratorINS9_10device_ptrIjEEEENS9_16discard_iteratorINS9_11use_defaultEEEj11max_functorIjEjEEDaPvRmT3_T4_T5_mT6_P12ihipStream_tbENKUlT_T0_E_clISt17integral_constantIbLb0EESX_EEDaSS_ST_EUlSS_E0_NS1_11comp_targetILNS1_3genE5ELNS1_11target_archE942ELNS1_3gpuE9ELNS1_3repE0EEENS1_30default_config_static_selectorELNS0_4arch9wavefront6targetE1EEEvT1_
                                        ; -- End function
	.section	.AMDGPU.csdata,"",@progbits
; Kernel info:
; codeLenInByte = 0
; NumSgprs: 4
; NumVgprs: 0
; NumAgprs: 0
; TotalNumVgprs: 0
; ScratchSize: 0
; MemoryBound: 0
; FloatMode: 240
; IeeeMode: 1
; LDSByteSize: 0 bytes/workgroup (compile time only)
; SGPRBlocks: 0
; VGPRBlocks: 0
; NumSGPRsForWavesPerEU: 4
; NumVGPRsForWavesPerEU: 1
; AccumOffset: 4
; Occupancy: 8
; WaveLimiterHint : 0
; COMPUTE_PGM_RSRC2:SCRATCH_EN: 0
; COMPUTE_PGM_RSRC2:USER_SGPR: 6
; COMPUTE_PGM_RSRC2:TRAP_HANDLER: 0
; COMPUTE_PGM_RSRC2:TGID_X_EN: 1
; COMPUTE_PGM_RSRC2:TGID_Y_EN: 0
; COMPUTE_PGM_RSRC2:TGID_Z_EN: 0
; COMPUTE_PGM_RSRC2:TIDIG_COMP_CNT: 0
; COMPUTE_PGM_RSRC3_GFX90A:ACCUM_OFFSET: 0
; COMPUTE_PGM_RSRC3_GFX90A:TG_SPLIT: 0
	.section	.text._ZN7rocprim17ROCPRIM_400000_NS6detail17trampoline_kernelINS0_14default_configENS1_20scan_config_selectorIjEEZZNS1_9scan_implILNS1_25lookback_scan_determinismE0ELb0ELb0ES3_N6thrust23THRUST_200600_302600_NS6detail15normal_iteratorINS9_10device_ptrIjEEEENS9_16discard_iteratorINS9_11use_defaultEEEj11max_functorIjEjEEDaPvRmT3_T4_T5_mT6_P12ihipStream_tbENKUlT_T0_E_clISt17integral_constantIbLb0EESX_EEDaSS_ST_EUlSS_E0_NS1_11comp_targetILNS1_3genE4ELNS1_11target_archE910ELNS1_3gpuE8ELNS1_3repE0EEENS1_30default_config_static_selectorELNS0_4arch9wavefront6targetE1EEEvT1_,"axG",@progbits,_ZN7rocprim17ROCPRIM_400000_NS6detail17trampoline_kernelINS0_14default_configENS1_20scan_config_selectorIjEEZZNS1_9scan_implILNS1_25lookback_scan_determinismE0ELb0ELb0ES3_N6thrust23THRUST_200600_302600_NS6detail15normal_iteratorINS9_10device_ptrIjEEEENS9_16discard_iteratorINS9_11use_defaultEEEj11max_functorIjEjEEDaPvRmT3_T4_T5_mT6_P12ihipStream_tbENKUlT_T0_E_clISt17integral_constantIbLb0EESX_EEDaSS_ST_EUlSS_E0_NS1_11comp_targetILNS1_3genE4ELNS1_11target_archE910ELNS1_3gpuE8ELNS1_3repE0EEENS1_30default_config_static_selectorELNS0_4arch9wavefront6targetE1EEEvT1_,comdat
	.protected	_ZN7rocprim17ROCPRIM_400000_NS6detail17trampoline_kernelINS0_14default_configENS1_20scan_config_selectorIjEEZZNS1_9scan_implILNS1_25lookback_scan_determinismE0ELb0ELb0ES3_N6thrust23THRUST_200600_302600_NS6detail15normal_iteratorINS9_10device_ptrIjEEEENS9_16discard_iteratorINS9_11use_defaultEEEj11max_functorIjEjEEDaPvRmT3_T4_T5_mT6_P12ihipStream_tbENKUlT_T0_E_clISt17integral_constantIbLb0EESX_EEDaSS_ST_EUlSS_E0_NS1_11comp_targetILNS1_3genE4ELNS1_11target_archE910ELNS1_3gpuE8ELNS1_3repE0EEENS1_30default_config_static_selectorELNS0_4arch9wavefront6targetE1EEEvT1_ ; -- Begin function _ZN7rocprim17ROCPRIM_400000_NS6detail17trampoline_kernelINS0_14default_configENS1_20scan_config_selectorIjEEZZNS1_9scan_implILNS1_25lookback_scan_determinismE0ELb0ELb0ES3_N6thrust23THRUST_200600_302600_NS6detail15normal_iteratorINS9_10device_ptrIjEEEENS9_16discard_iteratorINS9_11use_defaultEEEj11max_functorIjEjEEDaPvRmT3_T4_T5_mT6_P12ihipStream_tbENKUlT_T0_E_clISt17integral_constantIbLb0EESX_EEDaSS_ST_EUlSS_E0_NS1_11comp_targetILNS1_3genE4ELNS1_11target_archE910ELNS1_3gpuE8ELNS1_3repE0EEENS1_30default_config_static_selectorELNS0_4arch9wavefront6targetE1EEEvT1_
	.globl	_ZN7rocprim17ROCPRIM_400000_NS6detail17trampoline_kernelINS0_14default_configENS1_20scan_config_selectorIjEEZZNS1_9scan_implILNS1_25lookback_scan_determinismE0ELb0ELb0ES3_N6thrust23THRUST_200600_302600_NS6detail15normal_iteratorINS9_10device_ptrIjEEEENS9_16discard_iteratorINS9_11use_defaultEEEj11max_functorIjEjEEDaPvRmT3_T4_T5_mT6_P12ihipStream_tbENKUlT_T0_E_clISt17integral_constantIbLb0EESX_EEDaSS_ST_EUlSS_E0_NS1_11comp_targetILNS1_3genE4ELNS1_11target_archE910ELNS1_3gpuE8ELNS1_3repE0EEENS1_30default_config_static_selectorELNS0_4arch9wavefront6targetE1EEEvT1_
	.p2align	8
	.type	_ZN7rocprim17ROCPRIM_400000_NS6detail17trampoline_kernelINS0_14default_configENS1_20scan_config_selectorIjEEZZNS1_9scan_implILNS1_25lookback_scan_determinismE0ELb0ELb0ES3_N6thrust23THRUST_200600_302600_NS6detail15normal_iteratorINS9_10device_ptrIjEEEENS9_16discard_iteratorINS9_11use_defaultEEEj11max_functorIjEjEEDaPvRmT3_T4_T5_mT6_P12ihipStream_tbENKUlT_T0_E_clISt17integral_constantIbLb0EESX_EEDaSS_ST_EUlSS_E0_NS1_11comp_targetILNS1_3genE4ELNS1_11target_archE910ELNS1_3gpuE8ELNS1_3repE0EEENS1_30default_config_static_selectorELNS0_4arch9wavefront6targetE1EEEvT1_,@function
_ZN7rocprim17ROCPRIM_400000_NS6detail17trampoline_kernelINS0_14default_configENS1_20scan_config_selectorIjEEZZNS1_9scan_implILNS1_25lookback_scan_determinismE0ELb0ELb0ES3_N6thrust23THRUST_200600_302600_NS6detail15normal_iteratorINS9_10device_ptrIjEEEENS9_16discard_iteratorINS9_11use_defaultEEEj11max_functorIjEjEEDaPvRmT3_T4_T5_mT6_P12ihipStream_tbENKUlT_T0_E_clISt17integral_constantIbLb0EESX_EEDaSS_ST_EUlSS_E0_NS1_11comp_targetILNS1_3genE4ELNS1_11target_archE910ELNS1_3gpuE8ELNS1_3repE0EEENS1_30default_config_static_selectorELNS0_4arch9wavefront6targetE1EEEvT1_: ; @_ZN7rocprim17ROCPRIM_400000_NS6detail17trampoline_kernelINS0_14default_configENS1_20scan_config_selectorIjEEZZNS1_9scan_implILNS1_25lookback_scan_determinismE0ELb0ELb0ES3_N6thrust23THRUST_200600_302600_NS6detail15normal_iteratorINS9_10device_ptrIjEEEENS9_16discard_iteratorINS9_11use_defaultEEEj11max_functorIjEjEEDaPvRmT3_T4_T5_mT6_P12ihipStream_tbENKUlT_T0_E_clISt17integral_constantIbLb0EESX_EEDaSS_ST_EUlSS_E0_NS1_11comp_targetILNS1_3genE4ELNS1_11target_archE910ELNS1_3gpuE8ELNS1_3repE0EEENS1_30default_config_static_selectorELNS0_4arch9wavefront6targetE1EEEvT1_
; %bb.0:
	s_load_dwordx4 s[0:3], s[4:5], 0x0
	v_lshlrev_b32_e32 v20, 2, v0
	s_waitcnt lgkmcnt(0)
	s_load_dword s3, s[0:1], 0x0
	v_cmp_gt_u32_e32 vcc, s2, v0
	s_waitcnt lgkmcnt(0)
	v_mov_b32_e32 v1, s3
	s_and_saveexec_b64 s[4:5], vcc
	s_cbranch_execz .LBB3433_2
; %bb.1:
	global_load_dword v1, v20, s[0:1]
.LBB3433_2:
	s_or_b64 exec, exec, s[4:5]
	v_or_b32_e32 v2, 0x80, v0
	v_cmp_gt_u32_e32 vcc, s2, v2
	v_mov_b32_e32 v2, s3
	s_and_saveexec_b64 s[4:5], vcc
	s_cbranch_execz .LBB3433_4
; %bb.3:
	global_load_dword v2, v20, s[0:1] offset:512
.LBB3433_4:
	s_or_b64 exec, exec, s[4:5]
	v_or_b32_e32 v3, 0x100, v0
	v_cmp_gt_u32_e32 vcc, s2, v3
	v_mov_b32_e32 v3, s3
	s_and_saveexec_b64 s[4:5], vcc
	s_cbranch_execz .LBB3433_6
; %bb.5:
	global_load_dword v3, v20, s[0:1] offset:1024
.LBB3433_6:
	;; [unrolled: 9-line block ×7, first 2 shown]
	s_or_b64 exec, exec, s[4:5]
	v_or_b32_e32 v10, 0x400, v0
	v_cmp_gt_u32_e32 vcc, s2, v10
	v_mov_b32_e32 v9, s3
	s_and_saveexec_b64 s[4:5], vcc
	s_cbranch_execz .LBB3433_18
; %bb.17:
	v_lshlrev_b32_e32 v9, 2, v10
	global_load_dword v9, v9, s[0:1]
.LBB3433_18:
	s_or_b64 exec, exec, s[4:5]
	v_or_b32_e32 v11, 0x480, v0
	v_cmp_gt_u32_e32 vcc, s2, v11
	v_mov_b32_e32 v10, s3
	s_and_saveexec_b64 s[2:3], vcc
	s_cbranch_execz .LBB3433_20
; %bb.19:
	v_lshlrev_b32_e32 v10, 2, v11
	global_load_dword v10, v10, s[0:1]
.LBB3433_20:
	s_or_b64 exec, exec, s[2:3]
	s_waitcnt vmcnt(0)
	ds_write2st64_b32 v20, v1, v2 offset1:2
	ds_write2st64_b32 v20, v3, v4 offset0:4 offset1:6
	ds_write2st64_b32 v20, v5, v6 offset0:8 offset1:10
	;; [unrolled: 1-line block ×4, first 2 shown]
	v_mad_u32_u24 v1, v0, 36, v20
	s_waitcnt lgkmcnt(0)
	s_barrier
	ds_read2_b64 v[6:9], v1 offset1:1
	ds_read2_b64 v[2:5], v1 offset0:2 offset1:3
	ds_read_b64 v[18:19], v1 offset:32
	v_lshrrev_b32_e32 v21, 3, v0
	v_and_b32_e32 v21, 12, v21
	s_waitcnt lgkmcnt(2)
	v_max_u32_e32 v1, v6, v7
	v_max_u32_e32 v14, v1, v8
	;; [unrolled: 1-line block ×3, first 2 shown]
	s_waitcnt lgkmcnt(1)
	v_max_u32_e32 v10, v15, v2
	v_max_u32_e32 v11, v10, v3
	;; [unrolled: 1-line block ×4, first 2 shown]
	s_waitcnt lgkmcnt(0)
	v_max_u32_e32 v16, v13, v18
	v_max_u32_e32 v17, v16, v19
	v_add_u32_e32 v21, v20, v21
	v_cmp_gt_u32_e32 vcc, 64, v0
	s_barrier
	ds_write_b32 v21, v17
	s_waitcnt lgkmcnt(0)
	s_barrier
	s_and_saveexec_b64 s[0:1], vcc
	s_cbranch_execz .LBB3433_22
; %bb.21:
	v_lshlrev_b32_e32 v21, 1, v0
	v_lshrrev_b32_e32 v22, 4, v0
	v_add_lshl_u32 v21, v22, v21, 2
	ds_read2_b32 v[22:23], v21 offset1:1
	v_mbcnt_lo_u32_b32 v24, -1, 0
	v_mbcnt_hi_u32_b32 v24, -1, v24
	v_and_b32_e32 v25, 15, v24
	v_cmp_eq_u32_e32 vcc, 0, v25
	s_waitcnt lgkmcnt(0)
	v_max_u32_e32 v23, v22, v23
	; wave barrier
	s_nop 1
	v_mov_b32_dpp v26, v23 row_shr:1 row_mask:0xf bank_mask:0xf
	v_max_u32_e32 v26, v26, v23
	v_cndmask_b32_e32 v23, v26, v23, vcc
	v_cmp_lt_u32_e32 vcc, 1, v25
	s_nop 0
	v_mov_b32_dpp v26, v23 row_shr:2 row_mask:0xf bank_mask:0xf
	v_max_u32_e32 v26, v26, v23
	v_cndmask_b32_e32 v23, v23, v26, vcc
	v_cmp_lt_u32_e32 vcc, 3, v25
	;; [unrolled: 5-line block ×3, first 2 shown]
	s_nop 0
	v_mov_b32_dpp v26, v23 row_shr:8 row_mask:0xf bank_mask:0xf
	v_max_u32_e32 v26, v26, v23
	v_cndmask_b32_e32 v23, v23, v26, vcc
	v_and_b32_e32 v26, 16, v24
	v_cmp_eq_u32_e32 vcc, 0, v26
	v_mov_b32_dpp v25, v23 row_bcast:15 row_mask:0xf bank_mask:0xf
	v_max_u32_e32 v25, v25, v23
	v_cndmask_b32_e32 v23, v25, v23, vcc
	v_cmp_lt_u32_e32 vcc, 31, v24
	v_and_b32_e32 v26, 64, v24
	v_mov_b32_dpp v25, v23 row_bcast:31 row_mask:0xf bank_mask:0xf
	v_max_u32_e32 v25, v25, v23
	v_cndmask_b32_e32 v23, v23, v25, vcc
	v_add_u32_e32 v25, -1, v24
	v_cmp_lt_i32_e32 vcc, v25, v26
	v_cndmask_b32_e32 v24, v25, v24, vcc
	v_lshlrev_b32_e32 v24, 2, v24
	ds_bpermute_b32 v23, v24, v23
	v_cmp_eq_u32_e32 vcc, 0, v0
	s_waitcnt lgkmcnt(0)
	v_max_u32_e32 v22, v23, v22
	v_cndmask_b32_e32 v22, v22, v17, vcc
	ds_write_b32 v21, v22
	; wave barrier
	ds_read_b32 v23, v21 offset:4
	s_waitcnt lgkmcnt(0)
	v_max_u32_e32 v22, v22, v23
	ds_write_b32 v21, v22 offset:4
.LBB3433_22:
	s_or_b64 exec, exec, s[0:1]
	v_cmp_ne_u32_e32 vcc, 0, v0
	v_mov_b32_e32 v22, v17
	s_waitcnt lgkmcnt(0)
	s_barrier
	s_and_saveexec_b64 s[0:1], vcc
	s_cbranch_execz .LBB3433_24
; %bb.23:
	v_add_u32_e32 v21, -1, v0
	v_lshrrev_b32_e32 v22, 5, v21
	v_add_lshl_u32 v21, v22, v21, 2
	ds_read_b32 v22, v21
.LBB3433_24:
	s_or_b64 exec, exec, s[0:1]
	v_mul_u32_u24_e32 v21, 36, v0
	v_mov_b32_e32 v0, v6
	s_and_saveexec_b64 s[0:1], vcc
	s_cbranch_execz .LBB3433_26
; %bb.25:
	s_waitcnt lgkmcnt(0)
	v_max_u32_e32 v0, v22, v6
	v_max_u32_e32 v1, v0, v7
	;; [unrolled: 1-line block ×10, first 2 shown]
	;;#ASMSTART
	;;#ASMEND
.LBB3433_26:
	s_or_b64 exec, exec, s[0:1]
	v_add_u32_e32 v2, v20, v21
	s_waitcnt lgkmcnt(0)
	s_barrier
	ds_write2_b64 v2, v[0:1], v[14:15] offset1:1
	ds_write2_b64 v2, v[10:11], v[12:13] offset0:2 offset1:3
	ds_write_b64 v2, v[16:17] offset:32
	s_waitcnt lgkmcnt(0)
	s_barrier
	s_endpgm
	.section	.rodata,"a",@progbits
	.p2align	6, 0x0
	.amdhsa_kernel _ZN7rocprim17ROCPRIM_400000_NS6detail17trampoline_kernelINS0_14default_configENS1_20scan_config_selectorIjEEZZNS1_9scan_implILNS1_25lookback_scan_determinismE0ELb0ELb0ES3_N6thrust23THRUST_200600_302600_NS6detail15normal_iteratorINS9_10device_ptrIjEEEENS9_16discard_iteratorINS9_11use_defaultEEEj11max_functorIjEjEEDaPvRmT3_T4_T5_mT6_P12ihipStream_tbENKUlT_T0_E_clISt17integral_constantIbLb0EESX_EEDaSS_ST_EUlSS_E0_NS1_11comp_targetILNS1_3genE4ELNS1_11target_archE910ELNS1_3gpuE8ELNS1_3repE0EEENS1_30default_config_static_selectorELNS0_4arch9wavefront6targetE1EEEvT1_
		.amdhsa_group_segment_fixed_size 5120
		.amdhsa_private_segment_fixed_size 0
		.amdhsa_kernarg_size 40
		.amdhsa_user_sgpr_count 6
		.amdhsa_user_sgpr_private_segment_buffer 1
		.amdhsa_user_sgpr_dispatch_ptr 0
		.amdhsa_user_sgpr_queue_ptr 0
		.amdhsa_user_sgpr_kernarg_segment_ptr 1
		.amdhsa_user_sgpr_dispatch_id 0
		.amdhsa_user_sgpr_flat_scratch_init 0
		.amdhsa_user_sgpr_kernarg_preload_length 0
		.amdhsa_user_sgpr_kernarg_preload_offset 0
		.amdhsa_user_sgpr_private_segment_size 0
		.amdhsa_uses_dynamic_stack 0
		.amdhsa_system_sgpr_private_segment_wavefront_offset 0
		.amdhsa_system_sgpr_workgroup_id_x 1
		.amdhsa_system_sgpr_workgroup_id_y 0
		.amdhsa_system_sgpr_workgroup_id_z 0
		.amdhsa_system_sgpr_workgroup_info 0
		.amdhsa_system_vgpr_workitem_id 0
		.amdhsa_next_free_vgpr 27
		.amdhsa_next_free_sgpr 6
		.amdhsa_accum_offset 28
		.amdhsa_reserve_vcc 1
		.amdhsa_reserve_flat_scratch 0
		.amdhsa_float_round_mode_32 0
		.amdhsa_float_round_mode_16_64 0
		.amdhsa_float_denorm_mode_32 3
		.amdhsa_float_denorm_mode_16_64 3
		.amdhsa_dx10_clamp 1
		.amdhsa_ieee_mode 1
		.amdhsa_fp16_overflow 0
		.amdhsa_tg_split 0
		.amdhsa_exception_fp_ieee_invalid_op 0
		.amdhsa_exception_fp_denorm_src 0
		.amdhsa_exception_fp_ieee_div_zero 0
		.amdhsa_exception_fp_ieee_overflow 0
		.amdhsa_exception_fp_ieee_underflow 0
		.amdhsa_exception_fp_ieee_inexact 0
		.amdhsa_exception_int_div_zero 0
	.end_amdhsa_kernel
	.section	.text._ZN7rocprim17ROCPRIM_400000_NS6detail17trampoline_kernelINS0_14default_configENS1_20scan_config_selectorIjEEZZNS1_9scan_implILNS1_25lookback_scan_determinismE0ELb0ELb0ES3_N6thrust23THRUST_200600_302600_NS6detail15normal_iteratorINS9_10device_ptrIjEEEENS9_16discard_iteratorINS9_11use_defaultEEEj11max_functorIjEjEEDaPvRmT3_T4_T5_mT6_P12ihipStream_tbENKUlT_T0_E_clISt17integral_constantIbLb0EESX_EEDaSS_ST_EUlSS_E0_NS1_11comp_targetILNS1_3genE4ELNS1_11target_archE910ELNS1_3gpuE8ELNS1_3repE0EEENS1_30default_config_static_selectorELNS0_4arch9wavefront6targetE1EEEvT1_,"axG",@progbits,_ZN7rocprim17ROCPRIM_400000_NS6detail17trampoline_kernelINS0_14default_configENS1_20scan_config_selectorIjEEZZNS1_9scan_implILNS1_25lookback_scan_determinismE0ELb0ELb0ES3_N6thrust23THRUST_200600_302600_NS6detail15normal_iteratorINS9_10device_ptrIjEEEENS9_16discard_iteratorINS9_11use_defaultEEEj11max_functorIjEjEEDaPvRmT3_T4_T5_mT6_P12ihipStream_tbENKUlT_T0_E_clISt17integral_constantIbLb0EESX_EEDaSS_ST_EUlSS_E0_NS1_11comp_targetILNS1_3genE4ELNS1_11target_archE910ELNS1_3gpuE8ELNS1_3repE0EEENS1_30default_config_static_selectorELNS0_4arch9wavefront6targetE1EEEvT1_,comdat
.Lfunc_end3433:
	.size	_ZN7rocprim17ROCPRIM_400000_NS6detail17trampoline_kernelINS0_14default_configENS1_20scan_config_selectorIjEEZZNS1_9scan_implILNS1_25lookback_scan_determinismE0ELb0ELb0ES3_N6thrust23THRUST_200600_302600_NS6detail15normal_iteratorINS9_10device_ptrIjEEEENS9_16discard_iteratorINS9_11use_defaultEEEj11max_functorIjEjEEDaPvRmT3_T4_T5_mT6_P12ihipStream_tbENKUlT_T0_E_clISt17integral_constantIbLb0EESX_EEDaSS_ST_EUlSS_E0_NS1_11comp_targetILNS1_3genE4ELNS1_11target_archE910ELNS1_3gpuE8ELNS1_3repE0EEENS1_30default_config_static_selectorELNS0_4arch9wavefront6targetE1EEEvT1_, .Lfunc_end3433-_ZN7rocprim17ROCPRIM_400000_NS6detail17trampoline_kernelINS0_14default_configENS1_20scan_config_selectorIjEEZZNS1_9scan_implILNS1_25lookback_scan_determinismE0ELb0ELb0ES3_N6thrust23THRUST_200600_302600_NS6detail15normal_iteratorINS9_10device_ptrIjEEEENS9_16discard_iteratorINS9_11use_defaultEEEj11max_functorIjEjEEDaPvRmT3_T4_T5_mT6_P12ihipStream_tbENKUlT_T0_E_clISt17integral_constantIbLb0EESX_EEDaSS_ST_EUlSS_E0_NS1_11comp_targetILNS1_3genE4ELNS1_11target_archE910ELNS1_3gpuE8ELNS1_3repE0EEENS1_30default_config_static_selectorELNS0_4arch9wavefront6targetE1EEEvT1_
                                        ; -- End function
	.section	.AMDGPU.csdata,"",@progbits
; Kernel info:
; codeLenInByte = 1000
; NumSgprs: 10
; NumVgprs: 27
; NumAgprs: 0
; TotalNumVgprs: 27
; ScratchSize: 0
; MemoryBound: 0
; FloatMode: 240
; IeeeMode: 1
; LDSByteSize: 5120 bytes/workgroup (compile time only)
; SGPRBlocks: 1
; VGPRBlocks: 3
; NumSGPRsForWavesPerEU: 10
; NumVGPRsForWavesPerEU: 27
; AccumOffset: 28
; Occupancy: 6
; WaveLimiterHint : 0
; COMPUTE_PGM_RSRC2:SCRATCH_EN: 0
; COMPUTE_PGM_RSRC2:USER_SGPR: 6
; COMPUTE_PGM_RSRC2:TRAP_HANDLER: 0
; COMPUTE_PGM_RSRC2:TGID_X_EN: 1
; COMPUTE_PGM_RSRC2:TGID_Y_EN: 0
; COMPUTE_PGM_RSRC2:TGID_Z_EN: 0
; COMPUTE_PGM_RSRC2:TIDIG_COMP_CNT: 0
; COMPUTE_PGM_RSRC3_GFX90A:ACCUM_OFFSET: 6
; COMPUTE_PGM_RSRC3_GFX90A:TG_SPLIT: 0
	.section	.text._ZN7rocprim17ROCPRIM_400000_NS6detail17trampoline_kernelINS0_14default_configENS1_20scan_config_selectorIjEEZZNS1_9scan_implILNS1_25lookback_scan_determinismE0ELb0ELb0ES3_N6thrust23THRUST_200600_302600_NS6detail15normal_iteratorINS9_10device_ptrIjEEEENS9_16discard_iteratorINS9_11use_defaultEEEj11max_functorIjEjEEDaPvRmT3_T4_T5_mT6_P12ihipStream_tbENKUlT_T0_E_clISt17integral_constantIbLb0EESX_EEDaSS_ST_EUlSS_E0_NS1_11comp_targetILNS1_3genE3ELNS1_11target_archE908ELNS1_3gpuE7ELNS1_3repE0EEENS1_30default_config_static_selectorELNS0_4arch9wavefront6targetE1EEEvT1_,"axG",@progbits,_ZN7rocprim17ROCPRIM_400000_NS6detail17trampoline_kernelINS0_14default_configENS1_20scan_config_selectorIjEEZZNS1_9scan_implILNS1_25lookback_scan_determinismE0ELb0ELb0ES3_N6thrust23THRUST_200600_302600_NS6detail15normal_iteratorINS9_10device_ptrIjEEEENS9_16discard_iteratorINS9_11use_defaultEEEj11max_functorIjEjEEDaPvRmT3_T4_T5_mT6_P12ihipStream_tbENKUlT_T0_E_clISt17integral_constantIbLb0EESX_EEDaSS_ST_EUlSS_E0_NS1_11comp_targetILNS1_3genE3ELNS1_11target_archE908ELNS1_3gpuE7ELNS1_3repE0EEENS1_30default_config_static_selectorELNS0_4arch9wavefront6targetE1EEEvT1_,comdat
	.protected	_ZN7rocprim17ROCPRIM_400000_NS6detail17trampoline_kernelINS0_14default_configENS1_20scan_config_selectorIjEEZZNS1_9scan_implILNS1_25lookback_scan_determinismE0ELb0ELb0ES3_N6thrust23THRUST_200600_302600_NS6detail15normal_iteratorINS9_10device_ptrIjEEEENS9_16discard_iteratorINS9_11use_defaultEEEj11max_functorIjEjEEDaPvRmT3_T4_T5_mT6_P12ihipStream_tbENKUlT_T0_E_clISt17integral_constantIbLb0EESX_EEDaSS_ST_EUlSS_E0_NS1_11comp_targetILNS1_3genE3ELNS1_11target_archE908ELNS1_3gpuE7ELNS1_3repE0EEENS1_30default_config_static_selectorELNS0_4arch9wavefront6targetE1EEEvT1_ ; -- Begin function _ZN7rocprim17ROCPRIM_400000_NS6detail17trampoline_kernelINS0_14default_configENS1_20scan_config_selectorIjEEZZNS1_9scan_implILNS1_25lookback_scan_determinismE0ELb0ELb0ES3_N6thrust23THRUST_200600_302600_NS6detail15normal_iteratorINS9_10device_ptrIjEEEENS9_16discard_iteratorINS9_11use_defaultEEEj11max_functorIjEjEEDaPvRmT3_T4_T5_mT6_P12ihipStream_tbENKUlT_T0_E_clISt17integral_constantIbLb0EESX_EEDaSS_ST_EUlSS_E0_NS1_11comp_targetILNS1_3genE3ELNS1_11target_archE908ELNS1_3gpuE7ELNS1_3repE0EEENS1_30default_config_static_selectorELNS0_4arch9wavefront6targetE1EEEvT1_
	.globl	_ZN7rocprim17ROCPRIM_400000_NS6detail17trampoline_kernelINS0_14default_configENS1_20scan_config_selectorIjEEZZNS1_9scan_implILNS1_25lookback_scan_determinismE0ELb0ELb0ES3_N6thrust23THRUST_200600_302600_NS6detail15normal_iteratorINS9_10device_ptrIjEEEENS9_16discard_iteratorINS9_11use_defaultEEEj11max_functorIjEjEEDaPvRmT3_T4_T5_mT6_P12ihipStream_tbENKUlT_T0_E_clISt17integral_constantIbLb0EESX_EEDaSS_ST_EUlSS_E0_NS1_11comp_targetILNS1_3genE3ELNS1_11target_archE908ELNS1_3gpuE7ELNS1_3repE0EEENS1_30default_config_static_selectorELNS0_4arch9wavefront6targetE1EEEvT1_
	.p2align	8
	.type	_ZN7rocprim17ROCPRIM_400000_NS6detail17trampoline_kernelINS0_14default_configENS1_20scan_config_selectorIjEEZZNS1_9scan_implILNS1_25lookback_scan_determinismE0ELb0ELb0ES3_N6thrust23THRUST_200600_302600_NS6detail15normal_iteratorINS9_10device_ptrIjEEEENS9_16discard_iteratorINS9_11use_defaultEEEj11max_functorIjEjEEDaPvRmT3_T4_T5_mT6_P12ihipStream_tbENKUlT_T0_E_clISt17integral_constantIbLb0EESX_EEDaSS_ST_EUlSS_E0_NS1_11comp_targetILNS1_3genE3ELNS1_11target_archE908ELNS1_3gpuE7ELNS1_3repE0EEENS1_30default_config_static_selectorELNS0_4arch9wavefront6targetE1EEEvT1_,@function
_ZN7rocprim17ROCPRIM_400000_NS6detail17trampoline_kernelINS0_14default_configENS1_20scan_config_selectorIjEEZZNS1_9scan_implILNS1_25lookback_scan_determinismE0ELb0ELb0ES3_N6thrust23THRUST_200600_302600_NS6detail15normal_iteratorINS9_10device_ptrIjEEEENS9_16discard_iteratorINS9_11use_defaultEEEj11max_functorIjEjEEDaPvRmT3_T4_T5_mT6_P12ihipStream_tbENKUlT_T0_E_clISt17integral_constantIbLb0EESX_EEDaSS_ST_EUlSS_E0_NS1_11comp_targetILNS1_3genE3ELNS1_11target_archE908ELNS1_3gpuE7ELNS1_3repE0EEENS1_30default_config_static_selectorELNS0_4arch9wavefront6targetE1EEEvT1_: ; @_ZN7rocprim17ROCPRIM_400000_NS6detail17trampoline_kernelINS0_14default_configENS1_20scan_config_selectorIjEEZZNS1_9scan_implILNS1_25lookback_scan_determinismE0ELb0ELb0ES3_N6thrust23THRUST_200600_302600_NS6detail15normal_iteratorINS9_10device_ptrIjEEEENS9_16discard_iteratorINS9_11use_defaultEEEj11max_functorIjEjEEDaPvRmT3_T4_T5_mT6_P12ihipStream_tbENKUlT_T0_E_clISt17integral_constantIbLb0EESX_EEDaSS_ST_EUlSS_E0_NS1_11comp_targetILNS1_3genE3ELNS1_11target_archE908ELNS1_3gpuE7ELNS1_3repE0EEENS1_30default_config_static_selectorELNS0_4arch9wavefront6targetE1EEEvT1_
; %bb.0:
	.section	.rodata,"a",@progbits
	.p2align	6, 0x0
	.amdhsa_kernel _ZN7rocprim17ROCPRIM_400000_NS6detail17trampoline_kernelINS0_14default_configENS1_20scan_config_selectorIjEEZZNS1_9scan_implILNS1_25lookback_scan_determinismE0ELb0ELb0ES3_N6thrust23THRUST_200600_302600_NS6detail15normal_iteratorINS9_10device_ptrIjEEEENS9_16discard_iteratorINS9_11use_defaultEEEj11max_functorIjEjEEDaPvRmT3_T4_T5_mT6_P12ihipStream_tbENKUlT_T0_E_clISt17integral_constantIbLb0EESX_EEDaSS_ST_EUlSS_E0_NS1_11comp_targetILNS1_3genE3ELNS1_11target_archE908ELNS1_3gpuE7ELNS1_3repE0EEENS1_30default_config_static_selectorELNS0_4arch9wavefront6targetE1EEEvT1_
		.amdhsa_group_segment_fixed_size 0
		.amdhsa_private_segment_fixed_size 0
		.amdhsa_kernarg_size 40
		.amdhsa_user_sgpr_count 6
		.amdhsa_user_sgpr_private_segment_buffer 1
		.amdhsa_user_sgpr_dispatch_ptr 0
		.amdhsa_user_sgpr_queue_ptr 0
		.amdhsa_user_sgpr_kernarg_segment_ptr 1
		.amdhsa_user_sgpr_dispatch_id 0
		.amdhsa_user_sgpr_flat_scratch_init 0
		.amdhsa_user_sgpr_kernarg_preload_length 0
		.amdhsa_user_sgpr_kernarg_preload_offset 0
		.amdhsa_user_sgpr_private_segment_size 0
		.amdhsa_uses_dynamic_stack 0
		.amdhsa_system_sgpr_private_segment_wavefront_offset 0
		.amdhsa_system_sgpr_workgroup_id_x 1
		.amdhsa_system_sgpr_workgroup_id_y 0
		.amdhsa_system_sgpr_workgroup_id_z 0
		.amdhsa_system_sgpr_workgroup_info 0
		.amdhsa_system_vgpr_workitem_id 0
		.amdhsa_next_free_vgpr 1
		.amdhsa_next_free_sgpr 0
		.amdhsa_accum_offset 4
		.amdhsa_reserve_vcc 0
		.amdhsa_reserve_flat_scratch 0
		.amdhsa_float_round_mode_32 0
		.amdhsa_float_round_mode_16_64 0
		.amdhsa_float_denorm_mode_32 3
		.amdhsa_float_denorm_mode_16_64 3
		.amdhsa_dx10_clamp 1
		.amdhsa_ieee_mode 1
		.amdhsa_fp16_overflow 0
		.amdhsa_tg_split 0
		.amdhsa_exception_fp_ieee_invalid_op 0
		.amdhsa_exception_fp_denorm_src 0
		.amdhsa_exception_fp_ieee_div_zero 0
		.amdhsa_exception_fp_ieee_overflow 0
		.amdhsa_exception_fp_ieee_underflow 0
		.amdhsa_exception_fp_ieee_inexact 0
		.amdhsa_exception_int_div_zero 0
	.end_amdhsa_kernel
	.section	.text._ZN7rocprim17ROCPRIM_400000_NS6detail17trampoline_kernelINS0_14default_configENS1_20scan_config_selectorIjEEZZNS1_9scan_implILNS1_25lookback_scan_determinismE0ELb0ELb0ES3_N6thrust23THRUST_200600_302600_NS6detail15normal_iteratorINS9_10device_ptrIjEEEENS9_16discard_iteratorINS9_11use_defaultEEEj11max_functorIjEjEEDaPvRmT3_T4_T5_mT6_P12ihipStream_tbENKUlT_T0_E_clISt17integral_constantIbLb0EESX_EEDaSS_ST_EUlSS_E0_NS1_11comp_targetILNS1_3genE3ELNS1_11target_archE908ELNS1_3gpuE7ELNS1_3repE0EEENS1_30default_config_static_selectorELNS0_4arch9wavefront6targetE1EEEvT1_,"axG",@progbits,_ZN7rocprim17ROCPRIM_400000_NS6detail17trampoline_kernelINS0_14default_configENS1_20scan_config_selectorIjEEZZNS1_9scan_implILNS1_25lookback_scan_determinismE0ELb0ELb0ES3_N6thrust23THRUST_200600_302600_NS6detail15normal_iteratorINS9_10device_ptrIjEEEENS9_16discard_iteratorINS9_11use_defaultEEEj11max_functorIjEjEEDaPvRmT3_T4_T5_mT6_P12ihipStream_tbENKUlT_T0_E_clISt17integral_constantIbLb0EESX_EEDaSS_ST_EUlSS_E0_NS1_11comp_targetILNS1_3genE3ELNS1_11target_archE908ELNS1_3gpuE7ELNS1_3repE0EEENS1_30default_config_static_selectorELNS0_4arch9wavefront6targetE1EEEvT1_,comdat
.Lfunc_end3434:
	.size	_ZN7rocprim17ROCPRIM_400000_NS6detail17trampoline_kernelINS0_14default_configENS1_20scan_config_selectorIjEEZZNS1_9scan_implILNS1_25lookback_scan_determinismE0ELb0ELb0ES3_N6thrust23THRUST_200600_302600_NS6detail15normal_iteratorINS9_10device_ptrIjEEEENS9_16discard_iteratorINS9_11use_defaultEEEj11max_functorIjEjEEDaPvRmT3_T4_T5_mT6_P12ihipStream_tbENKUlT_T0_E_clISt17integral_constantIbLb0EESX_EEDaSS_ST_EUlSS_E0_NS1_11comp_targetILNS1_3genE3ELNS1_11target_archE908ELNS1_3gpuE7ELNS1_3repE0EEENS1_30default_config_static_selectorELNS0_4arch9wavefront6targetE1EEEvT1_, .Lfunc_end3434-_ZN7rocprim17ROCPRIM_400000_NS6detail17trampoline_kernelINS0_14default_configENS1_20scan_config_selectorIjEEZZNS1_9scan_implILNS1_25lookback_scan_determinismE0ELb0ELb0ES3_N6thrust23THRUST_200600_302600_NS6detail15normal_iteratorINS9_10device_ptrIjEEEENS9_16discard_iteratorINS9_11use_defaultEEEj11max_functorIjEjEEDaPvRmT3_T4_T5_mT6_P12ihipStream_tbENKUlT_T0_E_clISt17integral_constantIbLb0EESX_EEDaSS_ST_EUlSS_E0_NS1_11comp_targetILNS1_3genE3ELNS1_11target_archE908ELNS1_3gpuE7ELNS1_3repE0EEENS1_30default_config_static_selectorELNS0_4arch9wavefront6targetE1EEEvT1_
                                        ; -- End function
	.section	.AMDGPU.csdata,"",@progbits
; Kernel info:
; codeLenInByte = 0
; NumSgprs: 4
; NumVgprs: 0
; NumAgprs: 0
; TotalNumVgprs: 0
; ScratchSize: 0
; MemoryBound: 0
; FloatMode: 240
; IeeeMode: 1
; LDSByteSize: 0 bytes/workgroup (compile time only)
; SGPRBlocks: 0
; VGPRBlocks: 0
; NumSGPRsForWavesPerEU: 4
; NumVGPRsForWavesPerEU: 1
; AccumOffset: 4
; Occupancy: 8
; WaveLimiterHint : 0
; COMPUTE_PGM_RSRC2:SCRATCH_EN: 0
; COMPUTE_PGM_RSRC2:USER_SGPR: 6
; COMPUTE_PGM_RSRC2:TRAP_HANDLER: 0
; COMPUTE_PGM_RSRC2:TGID_X_EN: 1
; COMPUTE_PGM_RSRC2:TGID_Y_EN: 0
; COMPUTE_PGM_RSRC2:TGID_Z_EN: 0
; COMPUTE_PGM_RSRC2:TIDIG_COMP_CNT: 0
; COMPUTE_PGM_RSRC3_GFX90A:ACCUM_OFFSET: 0
; COMPUTE_PGM_RSRC3_GFX90A:TG_SPLIT: 0
	.section	.text._ZN7rocprim17ROCPRIM_400000_NS6detail17trampoline_kernelINS0_14default_configENS1_20scan_config_selectorIjEEZZNS1_9scan_implILNS1_25lookback_scan_determinismE0ELb0ELb0ES3_N6thrust23THRUST_200600_302600_NS6detail15normal_iteratorINS9_10device_ptrIjEEEENS9_16discard_iteratorINS9_11use_defaultEEEj11max_functorIjEjEEDaPvRmT3_T4_T5_mT6_P12ihipStream_tbENKUlT_T0_E_clISt17integral_constantIbLb0EESX_EEDaSS_ST_EUlSS_E0_NS1_11comp_targetILNS1_3genE2ELNS1_11target_archE906ELNS1_3gpuE6ELNS1_3repE0EEENS1_30default_config_static_selectorELNS0_4arch9wavefront6targetE1EEEvT1_,"axG",@progbits,_ZN7rocprim17ROCPRIM_400000_NS6detail17trampoline_kernelINS0_14default_configENS1_20scan_config_selectorIjEEZZNS1_9scan_implILNS1_25lookback_scan_determinismE0ELb0ELb0ES3_N6thrust23THRUST_200600_302600_NS6detail15normal_iteratorINS9_10device_ptrIjEEEENS9_16discard_iteratorINS9_11use_defaultEEEj11max_functorIjEjEEDaPvRmT3_T4_T5_mT6_P12ihipStream_tbENKUlT_T0_E_clISt17integral_constantIbLb0EESX_EEDaSS_ST_EUlSS_E0_NS1_11comp_targetILNS1_3genE2ELNS1_11target_archE906ELNS1_3gpuE6ELNS1_3repE0EEENS1_30default_config_static_selectorELNS0_4arch9wavefront6targetE1EEEvT1_,comdat
	.protected	_ZN7rocprim17ROCPRIM_400000_NS6detail17trampoline_kernelINS0_14default_configENS1_20scan_config_selectorIjEEZZNS1_9scan_implILNS1_25lookback_scan_determinismE0ELb0ELb0ES3_N6thrust23THRUST_200600_302600_NS6detail15normal_iteratorINS9_10device_ptrIjEEEENS9_16discard_iteratorINS9_11use_defaultEEEj11max_functorIjEjEEDaPvRmT3_T4_T5_mT6_P12ihipStream_tbENKUlT_T0_E_clISt17integral_constantIbLb0EESX_EEDaSS_ST_EUlSS_E0_NS1_11comp_targetILNS1_3genE2ELNS1_11target_archE906ELNS1_3gpuE6ELNS1_3repE0EEENS1_30default_config_static_selectorELNS0_4arch9wavefront6targetE1EEEvT1_ ; -- Begin function _ZN7rocprim17ROCPRIM_400000_NS6detail17trampoline_kernelINS0_14default_configENS1_20scan_config_selectorIjEEZZNS1_9scan_implILNS1_25lookback_scan_determinismE0ELb0ELb0ES3_N6thrust23THRUST_200600_302600_NS6detail15normal_iteratorINS9_10device_ptrIjEEEENS9_16discard_iteratorINS9_11use_defaultEEEj11max_functorIjEjEEDaPvRmT3_T4_T5_mT6_P12ihipStream_tbENKUlT_T0_E_clISt17integral_constantIbLb0EESX_EEDaSS_ST_EUlSS_E0_NS1_11comp_targetILNS1_3genE2ELNS1_11target_archE906ELNS1_3gpuE6ELNS1_3repE0EEENS1_30default_config_static_selectorELNS0_4arch9wavefront6targetE1EEEvT1_
	.globl	_ZN7rocprim17ROCPRIM_400000_NS6detail17trampoline_kernelINS0_14default_configENS1_20scan_config_selectorIjEEZZNS1_9scan_implILNS1_25lookback_scan_determinismE0ELb0ELb0ES3_N6thrust23THRUST_200600_302600_NS6detail15normal_iteratorINS9_10device_ptrIjEEEENS9_16discard_iteratorINS9_11use_defaultEEEj11max_functorIjEjEEDaPvRmT3_T4_T5_mT6_P12ihipStream_tbENKUlT_T0_E_clISt17integral_constantIbLb0EESX_EEDaSS_ST_EUlSS_E0_NS1_11comp_targetILNS1_3genE2ELNS1_11target_archE906ELNS1_3gpuE6ELNS1_3repE0EEENS1_30default_config_static_selectorELNS0_4arch9wavefront6targetE1EEEvT1_
	.p2align	8
	.type	_ZN7rocprim17ROCPRIM_400000_NS6detail17trampoline_kernelINS0_14default_configENS1_20scan_config_selectorIjEEZZNS1_9scan_implILNS1_25lookback_scan_determinismE0ELb0ELb0ES3_N6thrust23THRUST_200600_302600_NS6detail15normal_iteratorINS9_10device_ptrIjEEEENS9_16discard_iteratorINS9_11use_defaultEEEj11max_functorIjEjEEDaPvRmT3_T4_T5_mT6_P12ihipStream_tbENKUlT_T0_E_clISt17integral_constantIbLb0EESX_EEDaSS_ST_EUlSS_E0_NS1_11comp_targetILNS1_3genE2ELNS1_11target_archE906ELNS1_3gpuE6ELNS1_3repE0EEENS1_30default_config_static_selectorELNS0_4arch9wavefront6targetE1EEEvT1_,@function
_ZN7rocprim17ROCPRIM_400000_NS6detail17trampoline_kernelINS0_14default_configENS1_20scan_config_selectorIjEEZZNS1_9scan_implILNS1_25lookback_scan_determinismE0ELb0ELb0ES3_N6thrust23THRUST_200600_302600_NS6detail15normal_iteratorINS9_10device_ptrIjEEEENS9_16discard_iteratorINS9_11use_defaultEEEj11max_functorIjEjEEDaPvRmT3_T4_T5_mT6_P12ihipStream_tbENKUlT_T0_E_clISt17integral_constantIbLb0EESX_EEDaSS_ST_EUlSS_E0_NS1_11comp_targetILNS1_3genE2ELNS1_11target_archE906ELNS1_3gpuE6ELNS1_3repE0EEENS1_30default_config_static_selectorELNS0_4arch9wavefront6targetE1EEEvT1_: ; @_ZN7rocprim17ROCPRIM_400000_NS6detail17trampoline_kernelINS0_14default_configENS1_20scan_config_selectorIjEEZZNS1_9scan_implILNS1_25lookback_scan_determinismE0ELb0ELb0ES3_N6thrust23THRUST_200600_302600_NS6detail15normal_iteratorINS9_10device_ptrIjEEEENS9_16discard_iteratorINS9_11use_defaultEEEj11max_functorIjEjEEDaPvRmT3_T4_T5_mT6_P12ihipStream_tbENKUlT_T0_E_clISt17integral_constantIbLb0EESX_EEDaSS_ST_EUlSS_E0_NS1_11comp_targetILNS1_3genE2ELNS1_11target_archE906ELNS1_3gpuE6ELNS1_3repE0EEENS1_30default_config_static_selectorELNS0_4arch9wavefront6targetE1EEEvT1_
; %bb.0:
	.section	.rodata,"a",@progbits
	.p2align	6, 0x0
	.amdhsa_kernel _ZN7rocprim17ROCPRIM_400000_NS6detail17trampoline_kernelINS0_14default_configENS1_20scan_config_selectorIjEEZZNS1_9scan_implILNS1_25lookback_scan_determinismE0ELb0ELb0ES3_N6thrust23THRUST_200600_302600_NS6detail15normal_iteratorINS9_10device_ptrIjEEEENS9_16discard_iteratorINS9_11use_defaultEEEj11max_functorIjEjEEDaPvRmT3_T4_T5_mT6_P12ihipStream_tbENKUlT_T0_E_clISt17integral_constantIbLb0EESX_EEDaSS_ST_EUlSS_E0_NS1_11comp_targetILNS1_3genE2ELNS1_11target_archE906ELNS1_3gpuE6ELNS1_3repE0EEENS1_30default_config_static_selectorELNS0_4arch9wavefront6targetE1EEEvT1_
		.amdhsa_group_segment_fixed_size 0
		.amdhsa_private_segment_fixed_size 0
		.amdhsa_kernarg_size 40
		.amdhsa_user_sgpr_count 6
		.amdhsa_user_sgpr_private_segment_buffer 1
		.amdhsa_user_sgpr_dispatch_ptr 0
		.amdhsa_user_sgpr_queue_ptr 0
		.amdhsa_user_sgpr_kernarg_segment_ptr 1
		.amdhsa_user_sgpr_dispatch_id 0
		.amdhsa_user_sgpr_flat_scratch_init 0
		.amdhsa_user_sgpr_kernarg_preload_length 0
		.amdhsa_user_sgpr_kernarg_preload_offset 0
		.amdhsa_user_sgpr_private_segment_size 0
		.amdhsa_uses_dynamic_stack 0
		.amdhsa_system_sgpr_private_segment_wavefront_offset 0
		.amdhsa_system_sgpr_workgroup_id_x 1
		.amdhsa_system_sgpr_workgroup_id_y 0
		.amdhsa_system_sgpr_workgroup_id_z 0
		.amdhsa_system_sgpr_workgroup_info 0
		.amdhsa_system_vgpr_workitem_id 0
		.amdhsa_next_free_vgpr 1
		.amdhsa_next_free_sgpr 0
		.amdhsa_accum_offset 4
		.amdhsa_reserve_vcc 0
		.amdhsa_reserve_flat_scratch 0
		.amdhsa_float_round_mode_32 0
		.amdhsa_float_round_mode_16_64 0
		.amdhsa_float_denorm_mode_32 3
		.amdhsa_float_denorm_mode_16_64 3
		.amdhsa_dx10_clamp 1
		.amdhsa_ieee_mode 1
		.amdhsa_fp16_overflow 0
		.amdhsa_tg_split 0
		.amdhsa_exception_fp_ieee_invalid_op 0
		.amdhsa_exception_fp_denorm_src 0
		.amdhsa_exception_fp_ieee_div_zero 0
		.amdhsa_exception_fp_ieee_overflow 0
		.amdhsa_exception_fp_ieee_underflow 0
		.amdhsa_exception_fp_ieee_inexact 0
		.amdhsa_exception_int_div_zero 0
	.end_amdhsa_kernel
	.section	.text._ZN7rocprim17ROCPRIM_400000_NS6detail17trampoline_kernelINS0_14default_configENS1_20scan_config_selectorIjEEZZNS1_9scan_implILNS1_25lookback_scan_determinismE0ELb0ELb0ES3_N6thrust23THRUST_200600_302600_NS6detail15normal_iteratorINS9_10device_ptrIjEEEENS9_16discard_iteratorINS9_11use_defaultEEEj11max_functorIjEjEEDaPvRmT3_T4_T5_mT6_P12ihipStream_tbENKUlT_T0_E_clISt17integral_constantIbLb0EESX_EEDaSS_ST_EUlSS_E0_NS1_11comp_targetILNS1_3genE2ELNS1_11target_archE906ELNS1_3gpuE6ELNS1_3repE0EEENS1_30default_config_static_selectorELNS0_4arch9wavefront6targetE1EEEvT1_,"axG",@progbits,_ZN7rocprim17ROCPRIM_400000_NS6detail17trampoline_kernelINS0_14default_configENS1_20scan_config_selectorIjEEZZNS1_9scan_implILNS1_25lookback_scan_determinismE0ELb0ELb0ES3_N6thrust23THRUST_200600_302600_NS6detail15normal_iteratorINS9_10device_ptrIjEEEENS9_16discard_iteratorINS9_11use_defaultEEEj11max_functorIjEjEEDaPvRmT3_T4_T5_mT6_P12ihipStream_tbENKUlT_T0_E_clISt17integral_constantIbLb0EESX_EEDaSS_ST_EUlSS_E0_NS1_11comp_targetILNS1_3genE2ELNS1_11target_archE906ELNS1_3gpuE6ELNS1_3repE0EEENS1_30default_config_static_selectorELNS0_4arch9wavefront6targetE1EEEvT1_,comdat
.Lfunc_end3435:
	.size	_ZN7rocprim17ROCPRIM_400000_NS6detail17trampoline_kernelINS0_14default_configENS1_20scan_config_selectorIjEEZZNS1_9scan_implILNS1_25lookback_scan_determinismE0ELb0ELb0ES3_N6thrust23THRUST_200600_302600_NS6detail15normal_iteratorINS9_10device_ptrIjEEEENS9_16discard_iteratorINS9_11use_defaultEEEj11max_functorIjEjEEDaPvRmT3_T4_T5_mT6_P12ihipStream_tbENKUlT_T0_E_clISt17integral_constantIbLb0EESX_EEDaSS_ST_EUlSS_E0_NS1_11comp_targetILNS1_3genE2ELNS1_11target_archE906ELNS1_3gpuE6ELNS1_3repE0EEENS1_30default_config_static_selectorELNS0_4arch9wavefront6targetE1EEEvT1_, .Lfunc_end3435-_ZN7rocprim17ROCPRIM_400000_NS6detail17trampoline_kernelINS0_14default_configENS1_20scan_config_selectorIjEEZZNS1_9scan_implILNS1_25lookback_scan_determinismE0ELb0ELb0ES3_N6thrust23THRUST_200600_302600_NS6detail15normal_iteratorINS9_10device_ptrIjEEEENS9_16discard_iteratorINS9_11use_defaultEEEj11max_functorIjEjEEDaPvRmT3_T4_T5_mT6_P12ihipStream_tbENKUlT_T0_E_clISt17integral_constantIbLb0EESX_EEDaSS_ST_EUlSS_E0_NS1_11comp_targetILNS1_3genE2ELNS1_11target_archE906ELNS1_3gpuE6ELNS1_3repE0EEENS1_30default_config_static_selectorELNS0_4arch9wavefront6targetE1EEEvT1_
                                        ; -- End function
	.section	.AMDGPU.csdata,"",@progbits
; Kernel info:
; codeLenInByte = 0
; NumSgprs: 4
; NumVgprs: 0
; NumAgprs: 0
; TotalNumVgprs: 0
; ScratchSize: 0
; MemoryBound: 0
; FloatMode: 240
; IeeeMode: 1
; LDSByteSize: 0 bytes/workgroup (compile time only)
; SGPRBlocks: 0
; VGPRBlocks: 0
; NumSGPRsForWavesPerEU: 4
; NumVGPRsForWavesPerEU: 1
; AccumOffset: 4
; Occupancy: 8
; WaveLimiterHint : 0
; COMPUTE_PGM_RSRC2:SCRATCH_EN: 0
; COMPUTE_PGM_RSRC2:USER_SGPR: 6
; COMPUTE_PGM_RSRC2:TRAP_HANDLER: 0
; COMPUTE_PGM_RSRC2:TGID_X_EN: 1
; COMPUTE_PGM_RSRC2:TGID_Y_EN: 0
; COMPUTE_PGM_RSRC2:TGID_Z_EN: 0
; COMPUTE_PGM_RSRC2:TIDIG_COMP_CNT: 0
; COMPUTE_PGM_RSRC3_GFX90A:ACCUM_OFFSET: 0
; COMPUTE_PGM_RSRC3_GFX90A:TG_SPLIT: 0
	.section	.text._ZN7rocprim17ROCPRIM_400000_NS6detail17trampoline_kernelINS0_14default_configENS1_20scan_config_selectorIjEEZZNS1_9scan_implILNS1_25lookback_scan_determinismE0ELb0ELb0ES3_N6thrust23THRUST_200600_302600_NS6detail15normal_iteratorINS9_10device_ptrIjEEEENS9_16discard_iteratorINS9_11use_defaultEEEj11max_functorIjEjEEDaPvRmT3_T4_T5_mT6_P12ihipStream_tbENKUlT_T0_E_clISt17integral_constantIbLb0EESX_EEDaSS_ST_EUlSS_E0_NS1_11comp_targetILNS1_3genE10ELNS1_11target_archE1201ELNS1_3gpuE5ELNS1_3repE0EEENS1_30default_config_static_selectorELNS0_4arch9wavefront6targetE1EEEvT1_,"axG",@progbits,_ZN7rocprim17ROCPRIM_400000_NS6detail17trampoline_kernelINS0_14default_configENS1_20scan_config_selectorIjEEZZNS1_9scan_implILNS1_25lookback_scan_determinismE0ELb0ELb0ES3_N6thrust23THRUST_200600_302600_NS6detail15normal_iteratorINS9_10device_ptrIjEEEENS9_16discard_iteratorINS9_11use_defaultEEEj11max_functorIjEjEEDaPvRmT3_T4_T5_mT6_P12ihipStream_tbENKUlT_T0_E_clISt17integral_constantIbLb0EESX_EEDaSS_ST_EUlSS_E0_NS1_11comp_targetILNS1_3genE10ELNS1_11target_archE1201ELNS1_3gpuE5ELNS1_3repE0EEENS1_30default_config_static_selectorELNS0_4arch9wavefront6targetE1EEEvT1_,comdat
	.protected	_ZN7rocprim17ROCPRIM_400000_NS6detail17trampoline_kernelINS0_14default_configENS1_20scan_config_selectorIjEEZZNS1_9scan_implILNS1_25lookback_scan_determinismE0ELb0ELb0ES3_N6thrust23THRUST_200600_302600_NS6detail15normal_iteratorINS9_10device_ptrIjEEEENS9_16discard_iteratorINS9_11use_defaultEEEj11max_functorIjEjEEDaPvRmT3_T4_T5_mT6_P12ihipStream_tbENKUlT_T0_E_clISt17integral_constantIbLb0EESX_EEDaSS_ST_EUlSS_E0_NS1_11comp_targetILNS1_3genE10ELNS1_11target_archE1201ELNS1_3gpuE5ELNS1_3repE0EEENS1_30default_config_static_selectorELNS0_4arch9wavefront6targetE1EEEvT1_ ; -- Begin function _ZN7rocprim17ROCPRIM_400000_NS6detail17trampoline_kernelINS0_14default_configENS1_20scan_config_selectorIjEEZZNS1_9scan_implILNS1_25lookback_scan_determinismE0ELb0ELb0ES3_N6thrust23THRUST_200600_302600_NS6detail15normal_iteratorINS9_10device_ptrIjEEEENS9_16discard_iteratorINS9_11use_defaultEEEj11max_functorIjEjEEDaPvRmT3_T4_T5_mT6_P12ihipStream_tbENKUlT_T0_E_clISt17integral_constantIbLb0EESX_EEDaSS_ST_EUlSS_E0_NS1_11comp_targetILNS1_3genE10ELNS1_11target_archE1201ELNS1_3gpuE5ELNS1_3repE0EEENS1_30default_config_static_selectorELNS0_4arch9wavefront6targetE1EEEvT1_
	.globl	_ZN7rocprim17ROCPRIM_400000_NS6detail17trampoline_kernelINS0_14default_configENS1_20scan_config_selectorIjEEZZNS1_9scan_implILNS1_25lookback_scan_determinismE0ELb0ELb0ES3_N6thrust23THRUST_200600_302600_NS6detail15normal_iteratorINS9_10device_ptrIjEEEENS9_16discard_iteratorINS9_11use_defaultEEEj11max_functorIjEjEEDaPvRmT3_T4_T5_mT6_P12ihipStream_tbENKUlT_T0_E_clISt17integral_constantIbLb0EESX_EEDaSS_ST_EUlSS_E0_NS1_11comp_targetILNS1_3genE10ELNS1_11target_archE1201ELNS1_3gpuE5ELNS1_3repE0EEENS1_30default_config_static_selectorELNS0_4arch9wavefront6targetE1EEEvT1_
	.p2align	8
	.type	_ZN7rocprim17ROCPRIM_400000_NS6detail17trampoline_kernelINS0_14default_configENS1_20scan_config_selectorIjEEZZNS1_9scan_implILNS1_25lookback_scan_determinismE0ELb0ELb0ES3_N6thrust23THRUST_200600_302600_NS6detail15normal_iteratorINS9_10device_ptrIjEEEENS9_16discard_iteratorINS9_11use_defaultEEEj11max_functorIjEjEEDaPvRmT3_T4_T5_mT6_P12ihipStream_tbENKUlT_T0_E_clISt17integral_constantIbLb0EESX_EEDaSS_ST_EUlSS_E0_NS1_11comp_targetILNS1_3genE10ELNS1_11target_archE1201ELNS1_3gpuE5ELNS1_3repE0EEENS1_30default_config_static_selectorELNS0_4arch9wavefront6targetE1EEEvT1_,@function
_ZN7rocprim17ROCPRIM_400000_NS6detail17trampoline_kernelINS0_14default_configENS1_20scan_config_selectorIjEEZZNS1_9scan_implILNS1_25lookback_scan_determinismE0ELb0ELb0ES3_N6thrust23THRUST_200600_302600_NS6detail15normal_iteratorINS9_10device_ptrIjEEEENS9_16discard_iteratorINS9_11use_defaultEEEj11max_functorIjEjEEDaPvRmT3_T4_T5_mT6_P12ihipStream_tbENKUlT_T0_E_clISt17integral_constantIbLb0EESX_EEDaSS_ST_EUlSS_E0_NS1_11comp_targetILNS1_3genE10ELNS1_11target_archE1201ELNS1_3gpuE5ELNS1_3repE0EEENS1_30default_config_static_selectorELNS0_4arch9wavefront6targetE1EEEvT1_: ; @_ZN7rocprim17ROCPRIM_400000_NS6detail17trampoline_kernelINS0_14default_configENS1_20scan_config_selectorIjEEZZNS1_9scan_implILNS1_25lookback_scan_determinismE0ELb0ELb0ES3_N6thrust23THRUST_200600_302600_NS6detail15normal_iteratorINS9_10device_ptrIjEEEENS9_16discard_iteratorINS9_11use_defaultEEEj11max_functorIjEjEEDaPvRmT3_T4_T5_mT6_P12ihipStream_tbENKUlT_T0_E_clISt17integral_constantIbLb0EESX_EEDaSS_ST_EUlSS_E0_NS1_11comp_targetILNS1_3genE10ELNS1_11target_archE1201ELNS1_3gpuE5ELNS1_3repE0EEENS1_30default_config_static_selectorELNS0_4arch9wavefront6targetE1EEEvT1_
; %bb.0:
	.section	.rodata,"a",@progbits
	.p2align	6, 0x0
	.amdhsa_kernel _ZN7rocprim17ROCPRIM_400000_NS6detail17trampoline_kernelINS0_14default_configENS1_20scan_config_selectorIjEEZZNS1_9scan_implILNS1_25lookback_scan_determinismE0ELb0ELb0ES3_N6thrust23THRUST_200600_302600_NS6detail15normal_iteratorINS9_10device_ptrIjEEEENS9_16discard_iteratorINS9_11use_defaultEEEj11max_functorIjEjEEDaPvRmT3_T4_T5_mT6_P12ihipStream_tbENKUlT_T0_E_clISt17integral_constantIbLb0EESX_EEDaSS_ST_EUlSS_E0_NS1_11comp_targetILNS1_3genE10ELNS1_11target_archE1201ELNS1_3gpuE5ELNS1_3repE0EEENS1_30default_config_static_selectorELNS0_4arch9wavefront6targetE1EEEvT1_
		.amdhsa_group_segment_fixed_size 0
		.amdhsa_private_segment_fixed_size 0
		.amdhsa_kernarg_size 40
		.amdhsa_user_sgpr_count 6
		.amdhsa_user_sgpr_private_segment_buffer 1
		.amdhsa_user_sgpr_dispatch_ptr 0
		.amdhsa_user_sgpr_queue_ptr 0
		.amdhsa_user_sgpr_kernarg_segment_ptr 1
		.amdhsa_user_sgpr_dispatch_id 0
		.amdhsa_user_sgpr_flat_scratch_init 0
		.amdhsa_user_sgpr_kernarg_preload_length 0
		.amdhsa_user_sgpr_kernarg_preload_offset 0
		.amdhsa_user_sgpr_private_segment_size 0
		.amdhsa_uses_dynamic_stack 0
		.amdhsa_system_sgpr_private_segment_wavefront_offset 0
		.amdhsa_system_sgpr_workgroup_id_x 1
		.amdhsa_system_sgpr_workgroup_id_y 0
		.amdhsa_system_sgpr_workgroup_id_z 0
		.amdhsa_system_sgpr_workgroup_info 0
		.amdhsa_system_vgpr_workitem_id 0
		.amdhsa_next_free_vgpr 1
		.amdhsa_next_free_sgpr 0
		.amdhsa_accum_offset 4
		.amdhsa_reserve_vcc 0
		.amdhsa_reserve_flat_scratch 0
		.amdhsa_float_round_mode_32 0
		.amdhsa_float_round_mode_16_64 0
		.amdhsa_float_denorm_mode_32 3
		.amdhsa_float_denorm_mode_16_64 3
		.amdhsa_dx10_clamp 1
		.amdhsa_ieee_mode 1
		.amdhsa_fp16_overflow 0
		.amdhsa_tg_split 0
		.amdhsa_exception_fp_ieee_invalid_op 0
		.amdhsa_exception_fp_denorm_src 0
		.amdhsa_exception_fp_ieee_div_zero 0
		.amdhsa_exception_fp_ieee_overflow 0
		.amdhsa_exception_fp_ieee_underflow 0
		.amdhsa_exception_fp_ieee_inexact 0
		.amdhsa_exception_int_div_zero 0
	.end_amdhsa_kernel
	.section	.text._ZN7rocprim17ROCPRIM_400000_NS6detail17trampoline_kernelINS0_14default_configENS1_20scan_config_selectorIjEEZZNS1_9scan_implILNS1_25lookback_scan_determinismE0ELb0ELb0ES3_N6thrust23THRUST_200600_302600_NS6detail15normal_iteratorINS9_10device_ptrIjEEEENS9_16discard_iteratorINS9_11use_defaultEEEj11max_functorIjEjEEDaPvRmT3_T4_T5_mT6_P12ihipStream_tbENKUlT_T0_E_clISt17integral_constantIbLb0EESX_EEDaSS_ST_EUlSS_E0_NS1_11comp_targetILNS1_3genE10ELNS1_11target_archE1201ELNS1_3gpuE5ELNS1_3repE0EEENS1_30default_config_static_selectorELNS0_4arch9wavefront6targetE1EEEvT1_,"axG",@progbits,_ZN7rocprim17ROCPRIM_400000_NS6detail17trampoline_kernelINS0_14default_configENS1_20scan_config_selectorIjEEZZNS1_9scan_implILNS1_25lookback_scan_determinismE0ELb0ELb0ES3_N6thrust23THRUST_200600_302600_NS6detail15normal_iteratorINS9_10device_ptrIjEEEENS9_16discard_iteratorINS9_11use_defaultEEEj11max_functorIjEjEEDaPvRmT3_T4_T5_mT6_P12ihipStream_tbENKUlT_T0_E_clISt17integral_constantIbLb0EESX_EEDaSS_ST_EUlSS_E0_NS1_11comp_targetILNS1_3genE10ELNS1_11target_archE1201ELNS1_3gpuE5ELNS1_3repE0EEENS1_30default_config_static_selectorELNS0_4arch9wavefront6targetE1EEEvT1_,comdat
.Lfunc_end3436:
	.size	_ZN7rocprim17ROCPRIM_400000_NS6detail17trampoline_kernelINS0_14default_configENS1_20scan_config_selectorIjEEZZNS1_9scan_implILNS1_25lookback_scan_determinismE0ELb0ELb0ES3_N6thrust23THRUST_200600_302600_NS6detail15normal_iteratorINS9_10device_ptrIjEEEENS9_16discard_iteratorINS9_11use_defaultEEEj11max_functorIjEjEEDaPvRmT3_T4_T5_mT6_P12ihipStream_tbENKUlT_T0_E_clISt17integral_constantIbLb0EESX_EEDaSS_ST_EUlSS_E0_NS1_11comp_targetILNS1_3genE10ELNS1_11target_archE1201ELNS1_3gpuE5ELNS1_3repE0EEENS1_30default_config_static_selectorELNS0_4arch9wavefront6targetE1EEEvT1_, .Lfunc_end3436-_ZN7rocprim17ROCPRIM_400000_NS6detail17trampoline_kernelINS0_14default_configENS1_20scan_config_selectorIjEEZZNS1_9scan_implILNS1_25lookback_scan_determinismE0ELb0ELb0ES3_N6thrust23THRUST_200600_302600_NS6detail15normal_iteratorINS9_10device_ptrIjEEEENS9_16discard_iteratorINS9_11use_defaultEEEj11max_functorIjEjEEDaPvRmT3_T4_T5_mT6_P12ihipStream_tbENKUlT_T0_E_clISt17integral_constantIbLb0EESX_EEDaSS_ST_EUlSS_E0_NS1_11comp_targetILNS1_3genE10ELNS1_11target_archE1201ELNS1_3gpuE5ELNS1_3repE0EEENS1_30default_config_static_selectorELNS0_4arch9wavefront6targetE1EEEvT1_
                                        ; -- End function
	.section	.AMDGPU.csdata,"",@progbits
; Kernel info:
; codeLenInByte = 0
; NumSgprs: 4
; NumVgprs: 0
; NumAgprs: 0
; TotalNumVgprs: 0
; ScratchSize: 0
; MemoryBound: 0
; FloatMode: 240
; IeeeMode: 1
; LDSByteSize: 0 bytes/workgroup (compile time only)
; SGPRBlocks: 0
; VGPRBlocks: 0
; NumSGPRsForWavesPerEU: 4
; NumVGPRsForWavesPerEU: 1
; AccumOffset: 4
; Occupancy: 8
; WaveLimiterHint : 0
; COMPUTE_PGM_RSRC2:SCRATCH_EN: 0
; COMPUTE_PGM_RSRC2:USER_SGPR: 6
; COMPUTE_PGM_RSRC2:TRAP_HANDLER: 0
; COMPUTE_PGM_RSRC2:TGID_X_EN: 1
; COMPUTE_PGM_RSRC2:TGID_Y_EN: 0
; COMPUTE_PGM_RSRC2:TGID_Z_EN: 0
; COMPUTE_PGM_RSRC2:TIDIG_COMP_CNT: 0
; COMPUTE_PGM_RSRC3_GFX90A:ACCUM_OFFSET: 0
; COMPUTE_PGM_RSRC3_GFX90A:TG_SPLIT: 0
	.section	.text._ZN7rocprim17ROCPRIM_400000_NS6detail17trampoline_kernelINS0_14default_configENS1_20scan_config_selectorIjEEZZNS1_9scan_implILNS1_25lookback_scan_determinismE0ELb0ELb0ES3_N6thrust23THRUST_200600_302600_NS6detail15normal_iteratorINS9_10device_ptrIjEEEENS9_16discard_iteratorINS9_11use_defaultEEEj11max_functorIjEjEEDaPvRmT3_T4_T5_mT6_P12ihipStream_tbENKUlT_T0_E_clISt17integral_constantIbLb0EESX_EEDaSS_ST_EUlSS_E0_NS1_11comp_targetILNS1_3genE10ELNS1_11target_archE1200ELNS1_3gpuE4ELNS1_3repE0EEENS1_30default_config_static_selectorELNS0_4arch9wavefront6targetE1EEEvT1_,"axG",@progbits,_ZN7rocprim17ROCPRIM_400000_NS6detail17trampoline_kernelINS0_14default_configENS1_20scan_config_selectorIjEEZZNS1_9scan_implILNS1_25lookback_scan_determinismE0ELb0ELb0ES3_N6thrust23THRUST_200600_302600_NS6detail15normal_iteratorINS9_10device_ptrIjEEEENS9_16discard_iteratorINS9_11use_defaultEEEj11max_functorIjEjEEDaPvRmT3_T4_T5_mT6_P12ihipStream_tbENKUlT_T0_E_clISt17integral_constantIbLb0EESX_EEDaSS_ST_EUlSS_E0_NS1_11comp_targetILNS1_3genE10ELNS1_11target_archE1200ELNS1_3gpuE4ELNS1_3repE0EEENS1_30default_config_static_selectorELNS0_4arch9wavefront6targetE1EEEvT1_,comdat
	.protected	_ZN7rocprim17ROCPRIM_400000_NS6detail17trampoline_kernelINS0_14default_configENS1_20scan_config_selectorIjEEZZNS1_9scan_implILNS1_25lookback_scan_determinismE0ELb0ELb0ES3_N6thrust23THRUST_200600_302600_NS6detail15normal_iteratorINS9_10device_ptrIjEEEENS9_16discard_iteratorINS9_11use_defaultEEEj11max_functorIjEjEEDaPvRmT3_T4_T5_mT6_P12ihipStream_tbENKUlT_T0_E_clISt17integral_constantIbLb0EESX_EEDaSS_ST_EUlSS_E0_NS1_11comp_targetILNS1_3genE10ELNS1_11target_archE1200ELNS1_3gpuE4ELNS1_3repE0EEENS1_30default_config_static_selectorELNS0_4arch9wavefront6targetE1EEEvT1_ ; -- Begin function _ZN7rocprim17ROCPRIM_400000_NS6detail17trampoline_kernelINS0_14default_configENS1_20scan_config_selectorIjEEZZNS1_9scan_implILNS1_25lookback_scan_determinismE0ELb0ELb0ES3_N6thrust23THRUST_200600_302600_NS6detail15normal_iteratorINS9_10device_ptrIjEEEENS9_16discard_iteratorINS9_11use_defaultEEEj11max_functorIjEjEEDaPvRmT3_T4_T5_mT6_P12ihipStream_tbENKUlT_T0_E_clISt17integral_constantIbLb0EESX_EEDaSS_ST_EUlSS_E0_NS1_11comp_targetILNS1_3genE10ELNS1_11target_archE1200ELNS1_3gpuE4ELNS1_3repE0EEENS1_30default_config_static_selectorELNS0_4arch9wavefront6targetE1EEEvT1_
	.globl	_ZN7rocprim17ROCPRIM_400000_NS6detail17trampoline_kernelINS0_14default_configENS1_20scan_config_selectorIjEEZZNS1_9scan_implILNS1_25lookback_scan_determinismE0ELb0ELb0ES3_N6thrust23THRUST_200600_302600_NS6detail15normal_iteratorINS9_10device_ptrIjEEEENS9_16discard_iteratorINS9_11use_defaultEEEj11max_functorIjEjEEDaPvRmT3_T4_T5_mT6_P12ihipStream_tbENKUlT_T0_E_clISt17integral_constantIbLb0EESX_EEDaSS_ST_EUlSS_E0_NS1_11comp_targetILNS1_3genE10ELNS1_11target_archE1200ELNS1_3gpuE4ELNS1_3repE0EEENS1_30default_config_static_selectorELNS0_4arch9wavefront6targetE1EEEvT1_
	.p2align	8
	.type	_ZN7rocprim17ROCPRIM_400000_NS6detail17trampoline_kernelINS0_14default_configENS1_20scan_config_selectorIjEEZZNS1_9scan_implILNS1_25lookback_scan_determinismE0ELb0ELb0ES3_N6thrust23THRUST_200600_302600_NS6detail15normal_iteratorINS9_10device_ptrIjEEEENS9_16discard_iteratorINS9_11use_defaultEEEj11max_functorIjEjEEDaPvRmT3_T4_T5_mT6_P12ihipStream_tbENKUlT_T0_E_clISt17integral_constantIbLb0EESX_EEDaSS_ST_EUlSS_E0_NS1_11comp_targetILNS1_3genE10ELNS1_11target_archE1200ELNS1_3gpuE4ELNS1_3repE0EEENS1_30default_config_static_selectorELNS0_4arch9wavefront6targetE1EEEvT1_,@function
_ZN7rocprim17ROCPRIM_400000_NS6detail17trampoline_kernelINS0_14default_configENS1_20scan_config_selectorIjEEZZNS1_9scan_implILNS1_25lookback_scan_determinismE0ELb0ELb0ES3_N6thrust23THRUST_200600_302600_NS6detail15normal_iteratorINS9_10device_ptrIjEEEENS9_16discard_iteratorINS9_11use_defaultEEEj11max_functorIjEjEEDaPvRmT3_T4_T5_mT6_P12ihipStream_tbENKUlT_T0_E_clISt17integral_constantIbLb0EESX_EEDaSS_ST_EUlSS_E0_NS1_11comp_targetILNS1_3genE10ELNS1_11target_archE1200ELNS1_3gpuE4ELNS1_3repE0EEENS1_30default_config_static_selectorELNS0_4arch9wavefront6targetE1EEEvT1_: ; @_ZN7rocprim17ROCPRIM_400000_NS6detail17trampoline_kernelINS0_14default_configENS1_20scan_config_selectorIjEEZZNS1_9scan_implILNS1_25lookback_scan_determinismE0ELb0ELb0ES3_N6thrust23THRUST_200600_302600_NS6detail15normal_iteratorINS9_10device_ptrIjEEEENS9_16discard_iteratorINS9_11use_defaultEEEj11max_functorIjEjEEDaPvRmT3_T4_T5_mT6_P12ihipStream_tbENKUlT_T0_E_clISt17integral_constantIbLb0EESX_EEDaSS_ST_EUlSS_E0_NS1_11comp_targetILNS1_3genE10ELNS1_11target_archE1200ELNS1_3gpuE4ELNS1_3repE0EEENS1_30default_config_static_selectorELNS0_4arch9wavefront6targetE1EEEvT1_
; %bb.0:
	.section	.rodata,"a",@progbits
	.p2align	6, 0x0
	.amdhsa_kernel _ZN7rocprim17ROCPRIM_400000_NS6detail17trampoline_kernelINS0_14default_configENS1_20scan_config_selectorIjEEZZNS1_9scan_implILNS1_25lookback_scan_determinismE0ELb0ELb0ES3_N6thrust23THRUST_200600_302600_NS6detail15normal_iteratorINS9_10device_ptrIjEEEENS9_16discard_iteratorINS9_11use_defaultEEEj11max_functorIjEjEEDaPvRmT3_T4_T5_mT6_P12ihipStream_tbENKUlT_T0_E_clISt17integral_constantIbLb0EESX_EEDaSS_ST_EUlSS_E0_NS1_11comp_targetILNS1_3genE10ELNS1_11target_archE1200ELNS1_3gpuE4ELNS1_3repE0EEENS1_30default_config_static_selectorELNS0_4arch9wavefront6targetE1EEEvT1_
		.amdhsa_group_segment_fixed_size 0
		.amdhsa_private_segment_fixed_size 0
		.amdhsa_kernarg_size 40
		.amdhsa_user_sgpr_count 6
		.amdhsa_user_sgpr_private_segment_buffer 1
		.amdhsa_user_sgpr_dispatch_ptr 0
		.amdhsa_user_sgpr_queue_ptr 0
		.amdhsa_user_sgpr_kernarg_segment_ptr 1
		.amdhsa_user_sgpr_dispatch_id 0
		.amdhsa_user_sgpr_flat_scratch_init 0
		.amdhsa_user_sgpr_kernarg_preload_length 0
		.amdhsa_user_sgpr_kernarg_preload_offset 0
		.amdhsa_user_sgpr_private_segment_size 0
		.amdhsa_uses_dynamic_stack 0
		.amdhsa_system_sgpr_private_segment_wavefront_offset 0
		.amdhsa_system_sgpr_workgroup_id_x 1
		.amdhsa_system_sgpr_workgroup_id_y 0
		.amdhsa_system_sgpr_workgroup_id_z 0
		.amdhsa_system_sgpr_workgroup_info 0
		.amdhsa_system_vgpr_workitem_id 0
		.amdhsa_next_free_vgpr 1
		.amdhsa_next_free_sgpr 0
		.amdhsa_accum_offset 4
		.amdhsa_reserve_vcc 0
		.amdhsa_reserve_flat_scratch 0
		.amdhsa_float_round_mode_32 0
		.amdhsa_float_round_mode_16_64 0
		.amdhsa_float_denorm_mode_32 3
		.amdhsa_float_denorm_mode_16_64 3
		.amdhsa_dx10_clamp 1
		.amdhsa_ieee_mode 1
		.amdhsa_fp16_overflow 0
		.amdhsa_tg_split 0
		.amdhsa_exception_fp_ieee_invalid_op 0
		.amdhsa_exception_fp_denorm_src 0
		.amdhsa_exception_fp_ieee_div_zero 0
		.amdhsa_exception_fp_ieee_overflow 0
		.amdhsa_exception_fp_ieee_underflow 0
		.amdhsa_exception_fp_ieee_inexact 0
		.amdhsa_exception_int_div_zero 0
	.end_amdhsa_kernel
	.section	.text._ZN7rocprim17ROCPRIM_400000_NS6detail17trampoline_kernelINS0_14default_configENS1_20scan_config_selectorIjEEZZNS1_9scan_implILNS1_25lookback_scan_determinismE0ELb0ELb0ES3_N6thrust23THRUST_200600_302600_NS6detail15normal_iteratorINS9_10device_ptrIjEEEENS9_16discard_iteratorINS9_11use_defaultEEEj11max_functorIjEjEEDaPvRmT3_T4_T5_mT6_P12ihipStream_tbENKUlT_T0_E_clISt17integral_constantIbLb0EESX_EEDaSS_ST_EUlSS_E0_NS1_11comp_targetILNS1_3genE10ELNS1_11target_archE1200ELNS1_3gpuE4ELNS1_3repE0EEENS1_30default_config_static_selectorELNS0_4arch9wavefront6targetE1EEEvT1_,"axG",@progbits,_ZN7rocprim17ROCPRIM_400000_NS6detail17trampoline_kernelINS0_14default_configENS1_20scan_config_selectorIjEEZZNS1_9scan_implILNS1_25lookback_scan_determinismE0ELb0ELb0ES3_N6thrust23THRUST_200600_302600_NS6detail15normal_iteratorINS9_10device_ptrIjEEEENS9_16discard_iteratorINS9_11use_defaultEEEj11max_functorIjEjEEDaPvRmT3_T4_T5_mT6_P12ihipStream_tbENKUlT_T0_E_clISt17integral_constantIbLb0EESX_EEDaSS_ST_EUlSS_E0_NS1_11comp_targetILNS1_3genE10ELNS1_11target_archE1200ELNS1_3gpuE4ELNS1_3repE0EEENS1_30default_config_static_selectorELNS0_4arch9wavefront6targetE1EEEvT1_,comdat
.Lfunc_end3437:
	.size	_ZN7rocprim17ROCPRIM_400000_NS6detail17trampoline_kernelINS0_14default_configENS1_20scan_config_selectorIjEEZZNS1_9scan_implILNS1_25lookback_scan_determinismE0ELb0ELb0ES3_N6thrust23THRUST_200600_302600_NS6detail15normal_iteratorINS9_10device_ptrIjEEEENS9_16discard_iteratorINS9_11use_defaultEEEj11max_functorIjEjEEDaPvRmT3_T4_T5_mT6_P12ihipStream_tbENKUlT_T0_E_clISt17integral_constantIbLb0EESX_EEDaSS_ST_EUlSS_E0_NS1_11comp_targetILNS1_3genE10ELNS1_11target_archE1200ELNS1_3gpuE4ELNS1_3repE0EEENS1_30default_config_static_selectorELNS0_4arch9wavefront6targetE1EEEvT1_, .Lfunc_end3437-_ZN7rocprim17ROCPRIM_400000_NS6detail17trampoline_kernelINS0_14default_configENS1_20scan_config_selectorIjEEZZNS1_9scan_implILNS1_25lookback_scan_determinismE0ELb0ELb0ES3_N6thrust23THRUST_200600_302600_NS6detail15normal_iteratorINS9_10device_ptrIjEEEENS9_16discard_iteratorINS9_11use_defaultEEEj11max_functorIjEjEEDaPvRmT3_T4_T5_mT6_P12ihipStream_tbENKUlT_T0_E_clISt17integral_constantIbLb0EESX_EEDaSS_ST_EUlSS_E0_NS1_11comp_targetILNS1_3genE10ELNS1_11target_archE1200ELNS1_3gpuE4ELNS1_3repE0EEENS1_30default_config_static_selectorELNS0_4arch9wavefront6targetE1EEEvT1_
                                        ; -- End function
	.section	.AMDGPU.csdata,"",@progbits
; Kernel info:
; codeLenInByte = 0
; NumSgprs: 4
; NumVgprs: 0
; NumAgprs: 0
; TotalNumVgprs: 0
; ScratchSize: 0
; MemoryBound: 0
; FloatMode: 240
; IeeeMode: 1
; LDSByteSize: 0 bytes/workgroup (compile time only)
; SGPRBlocks: 0
; VGPRBlocks: 0
; NumSGPRsForWavesPerEU: 4
; NumVGPRsForWavesPerEU: 1
; AccumOffset: 4
; Occupancy: 8
; WaveLimiterHint : 0
; COMPUTE_PGM_RSRC2:SCRATCH_EN: 0
; COMPUTE_PGM_RSRC2:USER_SGPR: 6
; COMPUTE_PGM_RSRC2:TRAP_HANDLER: 0
; COMPUTE_PGM_RSRC2:TGID_X_EN: 1
; COMPUTE_PGM_RSRC2:TGID_Y_EN: 0
; COMPUTE_PGM_RSRC2:TGID_Z_EN: 0
; COMPUTE_PGM_RSRC2:TIDIG_COMP_CNT: 0
; COMPUTE_PGM_RSRC3_GFX90A:ACCUM_OFFSET: 0
; COMPUTE_PGM_RSRC3_GFX90A:TG_SPLIT: 0
	.section	.text._ZN7rocprim17ROCPRIM_400000_NS6detail17trampoline_kernelINS0_14default_configENS1_20scan_config_selectorIjEEZZNS1_9scan_implILNS1_25lookback_scan_determinismE0ELb0ELb0ES3_N6thrust23THRUST_200600_302600_NS6detail15normal_iteratorINS9_10device_ptrIjEEEENS9_16discard_iteratorINS9_11use_defaultEEEj11max_functorIjEjEEDaPvRmT3_T4_T5_mT6_P12ihipStream_tbENKUlT_T0_E_clISt17integral_constantIbLb0EESX_EEDaSS_ST_EUlSS_E0_NS1_11comp_targetILNS1_3genE9ELNS1_11target_archE1100ELNS1_3gpuE3ELNS1_3repE0EEENS1_30default_config_static_selectorELNS0_4arch9wavefront6targetE1EEEvT1_,"axG",@progbits,_ZN7rocprim17ROCPRIM_400000_NS6detail17trampoline_kernelINS0_14default_configENS1_20scan_config_selectorIjEEZZNS1_9scan_implILNS1_25lookback_scan_determinismE0ELb0ELb0ES3_N6thrust23THRUST_200600_302600_NS6detail15normal_iteratorINS9_10device_ptrIjEEEENS9_16discard_iteratorINS9_11use_defaultEEEj11max_functorIjEjEEDaPvRmT3_T4_T5_mT6_P12ihipStream_tbENKUlT_T0_E_clISt17integral_constantIbLb0EESX_EEDaSS_ST_EUlSS_E0_NS1_11comp_targetILNS1_3genE9ELNS1_11target_archE1100ELNS1_3gpuE3ELNS1_3repE0EEENS1_30default_config_static_selectorELNS0_4arch9wavefront6targetE1EEEvT1_,comdat
	.protected	_ZN7rocprim17ROCPRIM_400000_NS6detail17trampoline_kernelINS0_14default_configENS1_20scan_config_selectorIjEEZZNS1_9scan_implILNS1_25lookback_scan_determinismE0ELb0ELb0ES3_N6thrust23THRUST_200600_302600_NS6detail15normal_iteratorINS9_10device_ptrIjEEEENS9_16discard_iteratorINS9_11use_defaultEEEj11max_functorIjEjEEDaPvRmT3_T4_T5_mT6_P12ihipStream_tbENKUlT_T0_E_clISt17integral_constantIbLb0EESX_EEDaSS_ST_EUlSS_E0_NS1_11comp_targetILNS1_3genE9ELNS1_11target_archE1100ELNS1_3gpuE3ELNS1_3repE0EEENS1_30default_config_static_selectorELNS0_4arch9wavefront6targetE1EEEvT1_ ; -- Begin function _ZN7rocprim17ROCPRIM_400000_NS6detail17trampoline_kernelINS0_14default_configENS1_20scan_config_selectorIjEEZZNS1_9scan_implILNS1_25lookback_scan_determinismE0ELb0ELb0ES3_N6thrust23THRUST_200600_302600_NS6detail15normal_iteratorINS9_10device_ptrIjEEEENS9_16discard_iteratorINS9_11use_defaultEEEj11max_functorIjEjEEDaPvRmT3_T4_T5_mT6_P12ihipStream_tbENKUlT_T0_E_clISt17integral_constantIbLb0EESX_EEDaSS_ST_EUlSS_E0_NS1_11comp_targetILNS1_3genE9ELNS1_11target_archE1100ELNS1_3gpuE3ELNS1_3repE0EEENS1_30default_config_static_selectorELNS0_4arch9wavefront6targetE1EEEvT1_
	.globl	_ZN7rocprim17ROCPRIM_400000_NS6detail17trampoline_kernelINS0_14default_configENS1_20scan_config_selectorIjEEZZNS1_9scan_implILNS1_25lookback_scan_determinismE0ELb0ELb0ES3_N6thrust23THRUST_200600_302600_NS6detail15normal_iteratorINS9_10device_ptrIjEEEENS9_16discard_iteratorINS9_11use_defaultEEEj11max_functorIjEjEEDaPvRmT3_T4_T5_mT6_P12ihipStream_tbENKUlT_T0_E_clISt17integral_constantIbLb0EESX_EEDaSS_ST_EUlSS_E0_NS1_11comp_targetILNS1_3genE9ELNS1_11target_archE1100ELNS1_3gpuE3ELNS1_3repE0EEENS1_30default_config_static_selectorELNS0_4arch9wavefront6targetE1EEEvT1_
	.p2align	8
	.type	_ZN7rocprim17ROCPRIM_400000_NS6detail17trampoline_kernelINS0_14default_configENS1_20scan_config_selectorIjEEZZNS1_9scan_implILNS1_25lookback_scan_determinismE0ELb0ELb0ES3_N6thrust23THRUST_200600_302600_NS6detail15normal_iteratorINS9_10device_ptrIjEEEENS9_16discard_iteratorINS9_11use_defaultEEEj11max_functorIjEjEEDaPvRmT3_T4_T5_mT6_P12ihipStream_tbENKUlT_T0_E_clISt17integral_constantIbLb0EESX_EEDaSS_ST_EUlSS_E0_NS1_11comp_targetILNS1_3genE9ELNS1_11target_archE1100ELNS1_3gpuE3ELNS1_3repE0EEENS1_30default_config_static_selectorELNS0_4arch9wavefront6targetE1EEEvT1_,@function
_ZN7rocprim17ROCPRIM_400000_NS6detail17trampoline_kernelINS0_14default_configENS1_20scan_config_selectorIjEEZZNS1_9scan_implILNS1_25lookback_scan_determinismE0ELb0ELb0ES3_N6thrust23THRUST_200600_302600_NS6detail15normal_iteratorINS9_10device_ptrIjEEEENS9_16discard_iteratorINS9_11use_defaultEEEj11max_functorIjEjEEDaPvRmT3_T4_T5_mT6_P12ihipStream_tbENKUlT_T0_E_clISt17integral_constantIbLb0EESX_EEDaSS_ST_EUlSS_E0_NS1_11comp_targetILNS1_3genE9ELNS1_11target_archE1100ELNS1_3gpuE3ELNS1_3repE0EEENS1_30default_config_static_selectorELNS0_4arch9wavefront6targetE1EEEvT1_: ; @_ZN7rocprim17ROCPRIM_400000_NS6detail17trampoline_kernelINS0_14default_configENS1_20scan_config_selectorIjEEZZNS1_9scan_implILNS1_25lookback_scan_determinismE0ELb0ELb0ES3_N6thrust23THRUST_200600_302600_NS6detail15normal_iteratorINS9_10device_ptrIjEEEENS9_16discard_iteratorINS9_11use_defaultEEEj11max_functorIjEjEEDaPvRmT3_T4_T5_mT6_P12ihipStream_tbENKUlT_T0_E_clISt17integral_constantIbLb0EESX_EEDaSS_ST_EUlSS_E0_NS1_11comp_targetILNS1_3genE9ELNS1_11target_archE1100ELNS1_3gpuE3ELNS1_3repE0EEENS1_30default_config_static_selectorELNS0_4arch9wavefront6targetE1EEEvT1_
; %bb.0:
	.section	.rodata,"a",@progbits
	.p2align	6, 0x0
	.amdhsa_kernel _ZN7rocprim17ROCPRIM_400000_NS6detail17trampoline_kernelINS0_14default_configENS1_20scan_config_selectorIjEEZZNS1_9scan_implILNS1_25lookback_scan_determinismE0ELb0ELb0ES3_N6thrust23THRUST_200600_302600_NS6detail15normal_iteratorINS9_10device_ptrIjEEEENS9_16discard_iteratorINS9_11use_defaultEEEj11max_functorIjEjEEDaPvRmT3_T4_T5_mT6_P12ihipStream_tbENKUlT_T0_E_clISt17integral_constantIbLb0EESX_EEDaSS_ST_EUlSS_E0_NS1_11comp_targetILNS1_3genE9ELNS1_11target_archE1100ELNS1_3gpuE3ELNS1_3repE0EEENS1_30default_config_static_selectorELNS0_4arch9wavefront6targetE1EEEvT1_
		.amdhsa_group_segment_fixed_size 0
		.amdhsa_private_segment_fixed_size 0
		.amdhsa_kernarg_size 40
		.amdhsa_user_sgpr_count 6
		.amdhsa_user_sgpr_private_segment_buffer 1
		.amdhsa_user_sgpr_dispatch_ptr 0
		.amdhsa_user_sgpr_queue_ptr 0
		.amdhsa_user_sgpr_kernarg_segment_ptr 1
		.amdhsa_user_sgpr_dispatch_id 0
		.amdhsa_user_sgpr_flat_scratch_init 0
		.amdhsa_user_sgpr_kernarg_preload_length 0
		.amdhsa_user_sgpr_kernarg_preload_offset 0
		.amdhsa_user_sgpr_private_segment_size 0
		.amdhsa_uses_dynamic_stack 0
		.amdhsa_system_sgpr_private_segment_wavefront_offset 0
		.amdhsa_system_sgpr_workgroup_id_x 1
		.amdhsa_system_sgpr_workgroup_id_y 0
		.amdhsa_system_sgpr_workgroup_id_z 0
		.amdhsa_system_sgpr_workgroup_info 0
		.amdhsa_system_vgpr_workitem_id 0
		.amdhsa_next_free_vgpr 1
		.amdhsa_next_free_sgpr 0
		.amdhsa_accum_offset 4
		.amdhsa_reserve_vcc 0
		.amdhsa_reserve_flat_scratch 0
		.amdhsa_float_round_mode_32 0
		.amdhsa_float_round_mode_16_64 0
		.amdhsa_float_denorm_mode_32 3
		.amdhsa_float_denorm_mode_16_64 3
		.amdhsa_dx10_clamp 1
		.amdhsa_ieee_mode 1
		.amdhsa_fp16_overflow 0
		.amdhsa_tg_split 0
		.amdhsa_exception_fp_ieee_invalid_op 0
		.amdhsa_exception_fp_denorm_src 0
		.amdhsa_exception_fp_ieee_div_zero 0
		.amdhsa_exception_fp_ieee_overflow 0
		.amdhsa_exception_fp_ieee_underflow 0
		.amdhsa_exception_fp_ieee_inexact 0
		.amdhsa_exception_int_div_zero 0
	.end_amdhsa_kernel
	.section	.text._ZN7rocprim17ROCPRIM_400000_NS6detail17trampoline_kernelINS0_14default_configENS1_20scan_config_selectorIjEEZZNS1_9scan_implILNS1_25lookback_scan_determinismE0ELb0ELb0ES3_N6thrust23THRUST_200600_302600_NS6detail15normal_iteratorINS9_10device_ptrIjEEEENS9_16discard_iteratorINS9_11use_defaultEEEj11max_functorIjEjEEDaPvRmT3_T4_T5_mT6_P12ihipStream_tbENKUlT_T0_E_clISt17integral_constantIbLb0EESX_EEDaSS_ST_EUlSS_E0_NS1_11comp_targetILNS1_3genE9ELNS1_11target_archE1100ELNS1_3gpuE3ELNS1_3repE0EEENS1_30default_config_static_selectorELNS0_4arch9wavefront6targetE1EEEvT1_,"axG",@progbits,_ZN7rocprim17ROCPRIM_400000_NS6detail17trampoline_kernelINS0_14default_configENS1_20scan_config_selectorIjEEZZNS1_9scan_implILNS1_25lookback_scan_determinismE0ELb0ELb0ES3_N6thrust23THRUST_200600_302600_NS6detail15normal_iteratorINS9_10device_ptrIjEEEENS9_16discard_iteratorINS9_11use_defaultEEEj11max_functorIjEjEEDaPvRmT3_T4_T5_mT6_P12ihipStream_tbENKUlT_T0_E_clISt17integral_constantIbLb0EESX_EEDaSS_ST_EUlSS_E0_NS1_11comp_targetILNS1_3genE9ELNS1_11target_archE1100ELNS1_3gpuE3ELNS1_3repE0EEENS1_30default_config_static_selectorELNS0_4arch9wavefront6targetE1EEEvT1_,comdat
.Lfunc_end3438:
	.size	_ZN7rocprim17ROCPRIM_400000_NS6detail17trampoline_kernelINS0_14default_configENS1_20scan_config_selectorIjEEZZNS1_9scan_implILNS1_25lookback_scan_determinismE0ELb0ELb0ES3_N6thrust23THRUST_200600_302600_NS6detail15normal_iteratorINS9_10device_ptrIjEEEENS9_16discard_iteratorINS9_11use_defaultEEEj11max_functorIjEjEEDaPvRmT3_T4_T5_mT6_P12ihipStream_tbENKUlT_T0_E_clISt17integral_constantIbLb0EESX_EEDaSS_ST_EUlSS_E0_NS1_11comp_targetILNS1_3genE9ELNS1_11target_archE1100ELNS1_3gpuE3ELNS1_3repE0EEENS1_30default_config_static_selectorELNS0_4arch9wavefront6targetE1EEEvT1_, .Lfunc_end3438-_ZN7rocprim17ROCPRIM_400000_NS6detail17trampoline_kernelINS0_14default_configENS1_20scan_config_selectorIjEEZZNS1_9scan_implILNS1_25lookback_scan_determinismE0ELb0ELb0ES3_N6thrust23THRUST_200600_302600_NS6detail15normal_iteratorINS9_10device_ptrIjEEEENS9_16discard_iteratorINS9_11use_defaultEEEj11max_functorIjEjEEDaPvRmT3_T4_T5_mT6_P12ihipStream_tbENKUlT_T0_E_clISt17integral_constantIbLb0EESX_EEDaSS_ST_EUlSS_E0_NS1_11comp_targetILNS1_3genE9ELNS1_11target_archE1100ELNS1_3gpuE3ELNS1_3repE0EEENS1_30default_config_static_selectorELNS0_4arch9wavefront6targetE1EEEvT1_
                                        ; -- End function
	.section	.AMDGPU.csdata,"",@progbits
; Kernel info:
; codeLenInByte = 0
; NumSgprs: 4
; NumVgprs: 0
; NumAgprs: 0
; TotalNumVgprs: 0
; ScratchSize: 0
; MemoryBound: 0
; FloatMode: 240
; IeeeMode: 1
; LDSByteSize: 0 bytes/workgroup (compile time only)
; SGPRBlocks: 0
; VGPRBlocks: 0
; NumSGPRsForWavesPerEU: 4
; NumVGPRsForWavesPerEU: 1
; AccumOffset: 4
; Occupancy: 8
; WaveLimiterHint : 0
; COMPUTE_PGM_RSRC2:SCRATCH_EN: 0
; COMPUTE_PGM_RSRC2:USER_SGPR: 6
; COMPUTE_PGM_RSRC2:TRAP_HANDLER: 0
; COMPUTE_PGM_RSRC2:TGID_X_EN: 1
; COMPUTE_PGM_RSRC2:TGID_Y_EN: 0
; COMPUTE_PGM_RSRC2:TGID_Z_EN: 0
; COMPUTE_PGM_RSRC2:TIDIG_COMP_CNT: 0
; COMPUTE_PGM_RSRC3_GFX90A:ACCUM_OFFSET: 0
; COMPUTE_PGM_RSRC3_GFX90A:TG_SPLIT: 0
	.section	.text._ZN7rocprim17ROCPRIM_400000_NS6detail17trampoline_kernelINS0_14default_configENS1_20scan_config_selectorIjEEZZNS1_9scan_implILNS1_25lookback_scan_determinismE0ELb0ELb0ES3_N6thrust23THRUST_200600_302600_NS6detail15normal_iteratorINS9_10device_ptrIjEEEENS9_16discard_iteratorINS9_11use_defaultEEEj11max_functorIjEjEEDaPvRmT3_T4_T5_mT6_P12ihipStream_tbENKUlT_T0_E_clISt17integral_constantIbLb0EESX_EEDaSS_ST_EUlSS_E0_NS1_11comp_targetILNS1_3genE8ELNS1_11target_archE1030ELNS1_3gpuE2ELNS1_3repE0EEENS1_30default_config_static_selectorELNS0_4arch9wavefront6targetE1EEEvT1_,"axG",@progbits,_ZN7rocprim17ROCPRIM_400000_NS6detail17trampoline_kernelINS0_14default_configENS1_20scan_config_selectorIjEEZZNS1_9scan_implILNS1_25lookback_scan_determinismE0ELb0ELb0ES3_N6thrust23THRUST_200600_302600_NS6detail15normal_iteratorINS9_10device_ptrIjEEEENS9_16discard_iteratorINS9_11use_defaultEEEj11max_functorIjEjEEDaPvRmT3_T4_T5_mT6_P12ihipStream_tbENKUlT_T0_E_clISt17integral_constantIbLb0EESX_EEDaSS_ST_EUlSS_E0_NS1_11comp_targetILNS1_3genE8ELNS1_11target_archE1030ELNS1_3gpuE2ELNS1_3repE0EEENS1_30default_config_static_selectorELNS0_4arch9wavefront6targetE1EEEvT1_,comdat
	.protected	_ZN7rocprim17ROCPRIM_400000_NS6detail17trampoline_kernelINS0_14default_configENS1_20scan_config_selectorIjEEZZNS1_9scan_implILNS1_25lookback_scan_determinismE0ELb0ELb0ES3_N6thrust23THRUST_200600_302600_NS6detail15normal_iteratorINS9_10device_ptrIjEEEENS9_16discard_iteratorINS9_11use_defaultEEEj11max_functorIjEjEEDaPvRmT3_T4_T5_mT6_P12ihipStream_tbENKUlT_T0_E_clISt17integral_constantIbLb0EESX_EEDaSS_ST_EUlSS_E0_NS1_11comp_targetILNS1_3genE8ELNS1_11target_archE1030ELNS1_3gpuE2ELNS1_3repE0EEENS1_30default_config_static_selectorELNS0_4arch9wavefront6targetE1EEEvT1_ ; -- Begin function _ZN7rocprim17ROCPRIM_400000_NS6detail17trampoline_kernelINS0_14default_configENS1_20scan_config_selectorIjEEZZNS1_9scan_implILNS1_25lookback_scan_determinismE0ELb0ELb0ES3_N6thrust23THRUST_200600_302600_NS6detail15normal_iteratorINS9_10device_ptrIjEEEENS9_16discard_iteratorINS9_11use_defaultEEEj11max_functorIjEjEEDaPvRmT3_T4_T5_mT6_P12ihipStream_tbENKUlT_T0_E_clISt17integral_constantIbLb0EESX_EEDaSS_ST_EUlSS_E0_NS1_11comp_targetILNS1_3genE8ELNS1_11target_archE1030ELNS1_3gpuE2ELNS1_3repE0EEENS1_30default_config_static_selectorELNS0_4arch9wavefront6targetE1EEEvT1_
	.globl	_ZN7rocprim17ROCPRIM_400000_NS6detail17trampoline_kernelINS0_14default_configENS1_20scan_config_selectorIjEEZZNS1_9scan_implILNS1_25lookback_scan_determinismE0ELb0ELb0ES3_N6thrust23THRUST_200600_302600_NS6detail15normal_iteratorINS9_10device_ptrIjEEEENS9_16discard_iteratorINS9_11use_defaultEEEj11max_functorIjEjEEDaPvRmT3_T4_T5_mT6_P12ihipStream_tbENKUlT_T0_E_clISt17integral_constantIbLb0EESX_EEDaSS_ST_EUlSS_E0_NS1_11comp_targetILNS1_3genE8ELNS1_11target_archE1030ELNS1_3gpuE2ELNS1_3repE0EEENS1_30default_config_static_selectorELNS0_4arch9wavefront6targetE1EEEvT1_
	.p2align	8
	.type	_ZN7rocprim17ROCPRIM_400000_NS6detail17trampoline_kernelINS0_14default_configENS1_20scan_config_selectorIjEEZZNS1_9scan_implILNS1_25lookback_scan_determinismE0ELb0ELb0ES3_N6thrust23THRUST_200600_302600_NS6detail15normal_iteratorINS9_10device_ptrIjEEEENS9_16discard_iteratorINS9_11use_defaultEEEj11max_functorIjEjEEDaPvRmT3_T4_T5_mT6_P12ihipStream_tbENKUlT_T0_E_clISt17integral_constantIbLb0EESX_EEDaSS_ST_EUlSS_E0_NS1_11comp_targetILNS1_3genE8ELNS1_11target_archE1030ELNS1_3gpuE2ELNS1_3repE0EEENS1_30default_config_static_selectorELNS0_4arch9wavefront6targetE1EEEvT1_,@function
_ZN7rocprim17ROCPRIM_400000_NS6detail17trampoline_kernelINS0_14default_configENS1_20scan_config_selectorIjEEZZNS1_9scan_implILNS1_25lookback_scan_determinismE0ELb0ELb0ES3_N6thrust23THRUST_200600_302600_NS6detail15normal_iteratorINS9_10device_ptrIjEEEENS9_16discard_iteratorINS9_11use_defaultEEEj11max_functorIjEjEEDaPvRmT3_T4_T5_mT6_P12ihipStream_tbENKUlT_T0_E_clISt17integral_constantIbLb0EESX_EEDaSS_ST_EUlSS_E0_NS1_11comp_targetILNS1_3genE8ELNS1_11target_archE1030ELNS1_3gpuE2ELNS1_3repE0EEENS1_30default_config_static_selectorELNS0_4arch9wavefront6targetE1EEEvT1_: ; @_ZN7rocprim17ROCPRIM_400000_NS6detail17trampoline_kernelINS0_14default_configENS1_20scan_config_selectorIjEEZZNS1_9scan_implILNS1_25lookback_scan_determinismE0ELb0ELb0ES3_N6thrust23THRUST_200600_302600_NS6detail15normal_iteratorINS9_10device_ptrIjEEEENS9_16discard_iteratorINS9_11use_defaultEEEj11max_functorIjEjEEDaPvRmT3_T4_T5_mT6_P12ihipStream_tbENKUlT_T0_E_clISt17integral_constantIbLb0EESX_EEDaSS_ST_EUlSS_E0_NS1_11comp_targetILNS1_3genE8ELNS1_11target_archE1030ELNS1_3gpuE2ELNS1_3repE0EEENS1_30default_config_static_selectorELNS0_4arch9wavefront6targetE1EEEvT1_
; %bb.0:
	.section	.rodata,"a",@progbits
	.p2align	6, 0x0
	.amdhsa_kernel _ZN7rocprim17ROCPRIM_400000_NS6detail17trampoline_kernelINS0_14default_configENS1_20scan_config_selectorIjEEZZNS1_9scan_implILNS1_25lookback_scan_determinismE0ELb0ELb0ES3_N6thrust23THRUST_200600_302600_NS6detail15normal_iteratorINS9_10device_ptrIjEEEENS9_16discard_iteratorINS9_11use_defaultEEEj11max_functorIjEjEEDaPvRmT3_T4_T5_mT6_P12ihipStream_tbENKUlT_T0_E_clISt17integral_constantIbLb0EESX_EEDaSS_ST_EUlSS_E0_NS1_11comp_targetILNS1_3genE8ELNS1_11target_archE1030ELNS1_3gpuE2ELNS1_3repE0EEENS1_30default_config_static_selectorELNS0_4arch9wavefront6targetE1EEEvT1_
		.amdhsa_group_segment_fixed_size 0
		.amdhsa_private_segment_fixed_size 0
		.amdhsa_kernarg_size 40
		.amdhsa_user_sgpr_count 6
		.amdhsa_user_sgpr_private_segment_buffer 1
		.amdhsa_user_sgpr_dispatch_ptr 0
		.amdhsa_user_sgpr_queue_ptr 0
		.amdhsa_user_sgpr_kernarg_segment_ptr 1
		.amdhsa_user_sgpr_dispatch_id 0
		.amdhsa_user_sgpr_flat_scratch_init 0
		.amdhsa_user_sgpr_kernarg_preload_length 0
		.amdhsa_user_sgpr_kernarg_preload_offset 0
		.amdhsa_user_sgpr_private_segment_size 0
		.amdhsa_uses_dynamic_stack 0
		.amdhsa_system_sgpr_private_segment_wavefront_offset 0
		.amdhsa_system_sgpr_workgroup_id_x 1
		.amdhsa_system_sgpr_workgroup_id_y 0
		.amdhsa_system_sgpr_workgroup_id_z 0
		.amdhsa_system_sgpr_workgroup_info 0
		.amdhsa_system_vgpr_workitem_id 0
		.amdhsa_next_free_vgpr 1
		.amdhsa_next_free_sgpr 0
		.amdhsa_accum_offset 4
		.amdhsa_reserve_vcc 0
		.amdhsa_reserve_flat_scratch 0
		.amdhsa_float_round_mode_32 0
		.amdhsa_float_round_mode_16_64 0
		.amdhsa_float_denorm_mode_32 3
		.amdhsa_float_denorm_mode_16_64 3
		.amdhsa_dx10_clamp 1
		.amdhsa_ieee_mode 1
		.amdhsa_fp16_overflow 0
		.amdhsa_tg_split 0
		.amdhsa_exception_fp_ieee_invalid_op 0
		.amdhsa_exception_fp_denorm_src 0
		.amdhsa_exception_fp_ieee_div_zero 0
		.amdhsa_exception_fp_ieee_overflow 0
		.amdhsa_exception_fp_ieee_underflow 0
		.amdhsa_exception_fp_ieee_inexact 0
		.amdhsa_exception_int_div_zero 0
	.end_amdhsa_kernel
	.section	.text._ZN7rocprim17ROCPRIM_400000_NS6detail17trampoline_kernelINS0_14default_configENS1_20scan_config_selectorIjEEZZNS1_9scan_implILNS1_25lookback_scan_determinismE0ELb0ELb0ES3_N6thrust23THRUST_200600_302600_NS6detail15normal_iteratorINS9_10device_ptrIjEEEENS9_16discard_iteratorINS9_11use_defaultEEEj11max_functorIjEjEEDaPvRmT3_T4_T5_mT6_P12ihipStream_tbENKUlT_T0_E_clISt17integral_constantIbLb0EESX_EEDaSS_ST_EUlSS_E0_NS1_11comp_targetILNS1_3genE8ELNS1_11target_archE1030ELNS1_3gpuE2ELNS1_3repE0EEENS1_30default_config_static_selectorELNS0_4arch9wavefront6targetE1EEEvT1_,"axG",@progbits,_ZN7rocprim17ROCPRIM_400000_NS6detail17trampoline_kernelINS0_14default_configENS1_20scan_config_selectorIjEEZZNS1_9scan_implILNS1_25lookback_scan_determinismE0ELb0ELb0ES3_N6thrust23THRUST_200600_302600_NS6detail15normal_iteratorINS9_10device_ptrIjEEEENS9_16discard_iteratorINS9_11use_defaultEEEj11max_functorIjEjEEDaPvRmT3_T4_T5_mT6_P12ihipStream_tbENKUlT_T0_E_clISt17integral_constantIbLb0EESX_EEDaSS_ST_EUlSS_E0_NS1_11comp_targetILNS1_3genE8ELNS1_11target_archE1030ELNS1_3gpuE2ELNS1_3repE0EEENS1_30default_config_static_selectorELNS0_4arch9wavefront6targetE1EEEvT1_,comdat
.Lfunc_end3439:
	.size	_ZN7rocprim17ROCPRIM_400000_NS6detail17trampoline_kernelINS0_14default_configENS1_20scan_config_selectorIjEEZZNS1_9scan_implILNS1_25lookback_scan_determinismE0ELb0ELb0ES3_N6thrust23THRUST_200600_302600_NS6detail15normal_iteratorINS9_10device_ptrIjEEEENS9_16discard_iteratorINS9_11use_defaultEEEj11max_functorIjEjEEDaPvRmT3_T4_T5_mT6_P12ihipStream_tbENKUlT_T0_E_clISt17integral_constantIbLb0EESX_EEDaSS_ST_EUlSS_E0_NS1_11comp_targetILNS1_3genE8ELNS1_11target_archE1030ELNS1_3gpuE2ELNS1_3repE0EEENS1_30default_config_static_selectorELNS0_4arch9wavefront6targetE1EEEvT1_, .Lfunc_end3439-_ZN7rocprim17ROCPRIM_400000_NS6detail17trampoline_kernelINS0_14default_configENS1_20scan_config_selectorIjEEZZNS1_9scan_implILNS1_25lookback_scan_determinismE0ELb0ELb0ES3_N6thrust23THRUST_200600_302600_NS6detail15normal_iteratorINS9_10device_ptrIjEEEENS9_16discard_iteratorINS9_11use_defaultEEEj11max_functorIjEjEEDaPvRmT3_T4_T5_mT6_P12ihipStream_tbENKUlT_T0_E_clISt17integral_constantIbLb0EESX_EEDaSS_ST_EUlSS_E0_NS1_11comp_targetILNS1_3genE8ELNS1_11target_archE1030ELNS1_3gpuE2ELNS1_3repE0EEENS1_30default_config_static_selectorELNS0_4arch9wavefront6targetE1EEEvT1_
                                        ; -- End function
	.section	.AMDGPU.csdata,"",@progbits
; Kernel info:
; codeLenInByte = 0
; NumSgprs: 4
; NumVgprs: 0
; NumAgprs: 0
; TotalNumVgprs: 0
; ScratchSize: 0
; MemoryBound: 0
; FloatMode: 240
; IeeeMode: 1
; LDSByteSize: 0 bytes/workgroup (compile time only)
; SGPRBlocks: 0
; VGPRBlocks: 0
; NumSGPRsForWavesPerEU: 4
; NumVGPRsForWavesPerEU: 1
; AccumOffset: 4
; Occupancy: 8
; WaveLimiterHint : 0
; COMPUTE_PGM_RSRC2:SCRATCH_EN: 0
; COMPUTE_PGM_RSRC2:USER_SGPR: 6
; COMPUTE_PGM_RSRC2:TRAP_HANDLER: 0
; COMPUTE_PGM_RSRC2:TGID_X_EN: 1
; COMPUTE_PGM_RSRC2:TGID_Y_EN: 0
; COMPUTE_PGM_RSRC2:TGID_Z_EN: 0
; COMPUTE_PGM_RSRC2:TIDIG_COMP_CNT: 0
; COMPUTE_PGM_RSRC3_GFX90A:ACCUM_OFFSET: 0
; COMPUTE_PGM_RSRC3_GFX90A:TG_SPLIT: 0
	.section	.text._ZN7rocprim17ROCPRIM_400000_NS6detail17trampoline_kernelINS0_14default_configENS1_20scan_config_selectorIjEEZZNS1_9scan_implILNS1_25lookback_scan_determinismE0ELb0ELb0ES3_N6thrust23THRUST_200600_302600_NS6detail15normal_iteratorINS9_10device_ptrIjEEEENS9_16discard_iteratorINS9_11use_defaultEEEj11max_functorIjEjEEDaPvRmT3_T4_T5_mT6_P12ihipStream_tbENKUlT_T0_E_clISt17integral_constantIbLb1EESX_EEDaSS_ST_EUlSS_E_NS1_11comp_targetILNS1_3genE0ELNS1_11target_archE4294967295ELNS1_3gpuE0ELNS1_3repE0EEENS1_30default_config_static_selectorELNS0_4arch9wavefront6targetE1EEEvT1_,"axG",@progbits,_ZN7rocprim17ROCPRIM_400000_NS6detail17trampoline_kernelINS0_14default_configENS1_20scan_config_selectorIjEEZZNS1_9scan_implILNS1_25lookback_scan_determinismE0ELb0ELb0ES3_N6thrust23THRUST_200600_302600_NS6detail15normal_iteratorINS9_10device_ptrIjEEEENS9_16discard_iteratorINS9_11use_defaultEEEj11max_functorIjEjEEDaPvRmT3_T4_T5_mT6_P12ihipStream_tbENKUlT_T0_E_clISt17integral_constantIbLb1EESX_EEDaSS_ST_EUlSS_E_NS1_11comp_targetILNS1_3genE0ELNS1_11target_archE4294967295ELNS1_3gpuE0ELNS1_3repE0EEENS1_30default_config_static_selectorELNS0_4arch9wavefront6targetE1EEEvT1_,comdat
	.protected	_ZN7rocprim17ROCPRIM_400000_NS6detail17trampoline_kernelINS0_14default_configENS1_20scan_config_selectorIjEEZZNS1_9scan_implILNS1_25lookback_scan_determinismE0ELb0ELb0ES3_N6thrust23THRUST_200600_302600_NS6detail15normal_iteratorINS9_10device_ptrIjEEEENS9_16discard_iteratorINS9_11use_defaultEEEj11max_functorIjEjEEDaPvRmT3_T4_T5_mT6_P12ihipStream_tbENKUlT_T0_E_clISt17integral_constantIbLb1EESX_EEDaSS_ST_EUlSS_E_NS1_11comp_targetILNS1_3genE0ELNS1_11target_archE4294967295ELNS1_3gpuE0ELNS1_3repE0EEENS1_30default_config_static_selectorELNS0_4arch9wavefront6targetE1EEEvT1_ ; -- Begin function _ZN7rocprim17ROCPRIM_400000_NS6detail17trampoline_kernelINS0_14default_configENS1_20scan_config_selectorIjEEZZNS1_9scan_implILNS1_25lookback_scan_determinismE0ELb0ELb0ES3_N6thrust23THRUST_200600_302600_NS6detail15normal_iteratorINS9_10device_ptrIjEEEENS9_16discard_iteratorINS9_11use_defaultEEEj11max_functorIjEjEEDaPvRmT3_T4_T5_mT6_P12ihipStream_tbENKUlT_T0_E_clISt17integral_constantIbLb1EESX_EEDaSS_ST_EUlSS_E_NS1_11comp_targetILNS1_3genE0ELNS1_11target_archE4294967295ELNS1_3gpuE0ELNS1_3repE0EEENS1_30default_config_static_selectorELNS0_4arch9wavefront6targetE1EEEvT1_
	.globl	_ZN7rocprim17ROCPRIM_400000_NS6detail17trampoline_kernelINS0_14default_configENS1_20scan_config_selectorIjEEZZNS1_9scan_implILNS1_25lookback_scan_determinismE0ELb0ELb0ES3_N6thrust23THRUST_200600_302600_NS6detail15normal_iteratorINS9_10device_ptrIjEEEENS9_16discard_iteratorINS9_11use_defaultEEEj11max_functorIjEjEEDaPvRmT3_T4_T5_mT6_P12ihipStream_tbENKUlT_T0_E_clISt17integral_constantIbLb1EESX_EEDaSS_ST_EUlSS_E_NS1_11comp_targetILNS1_3genE0ELNS1_11target_archE4294967295ELNS1_3gpuE0ELNS1_3repE0EEENS1_30default_config_static_selectorELNS0_4arch9wavefront6targetE1EEEvT1_
	.p2align	8
	.type	_ZN7rocprim17ROCPRIM_400000_NS6detail17trampoline_kernelINS0_14default_configENS1_20scan_config_selectorIjEEZZNS1_9scan_implILNS1_25lookback_scan_determinismE0ELb0ELb0ES3_N6thrust23THRUST_200600_302600_NS6detail15normal_iteratorINS9_10device_ptrIjEEEENS9_16discard_iteratorINS9_11use_defaultEEEj11max_functorIjEjEEDaPvRmT3_T4_T5_mT6_P12ihipStream_tbENKUlT_T0_E_clISt17integral_constantIbLb1EESX_EEDaSS_ST_EUlSS_E_NS1_11comp_targetILNS1_3genE0ELNS1_11target_archE4294967295ELNS1_3gpuE0ELNS1_3repE0EEENS1_30default_config_static_selectorELNS0_4arch9wavefront6targetE1EEEvT1_,@function
_ZN7rocprim17ROCPRIM_400000_NS6detail17trampoline_kernelINS0_14default_configENS1_20scan_config_selectorIjEEZZNS1_9scan_implILNS1_25lookback_scan_determinismE0ELb0ELb0ES3_N6thrust23THRUST_200600_302600_NS6detail15normal_iteratorINS9_10device_ptrIjEEEENS9_16discard_iteratorINS9_11use_defaultEEEj11max_functorIjEjEEDaPvRmT3_T4_T5_mT6_P12ihipStream_tbENKUlT_T0_E_clISt17integral_constantIbLb1EESX_EEDaSS_ST_EUlSS_E_NS1_11comp_targetILNS1_3genE0ELNS1_11target_archE4294967295ELNS1_3gpuE0ELNS1_3repE0EEENS1_30default_config_static_selectorELNS0_4arch9wavefront6targetE1EEEvT1_: ; @_ZN7rocprim17ROCPRIM_400000_NS6detail17trampoline_kernelINS0_14default_configENS1_20scan_config_selectorIjEEZZNS1_9scan_implILNS1_25lookback_scan_determinismE0ELb0ELb0ES3_N6thrust23THRUST_200600_302600_NS6detail15normal_iteratorINS9_10device_ptrIjEEEENS9_16discard_iteratorINS9_11use_defaultEEEj11max_functorIjEjEEDaPvRmT3_T4_T5_mT6_P12ihipStream_tbENKUlT_T0_E_clISt17integral_constantIbLb1EESX_EEDaSS_ST_EUlSS_E_NS1_11comp_targetILNS1_3genE0ELNS1_11target_archE4294967295ELNS1_3gpuE0ELNS1_3repE0EEENS1_30default_config_static_selectorELNS0_4arch9wavefront6targetE1EEEvT1_
; %bb.0:
	.section	.rodata,"a",@progbits
	.p2align	6, 0x0
	.amdhsa_kernel _ZN7rocprim17ROCPRIM_400000_NS6detail17trampoline_kernelINS0_14default_configENS1_20scan_config_selectorIjEEZZNS1_9scan_implILNS1_25lookback_scan_determinismE0ELb0ELb0ES3_N6thrust23THRUST_200600_302600_NS6detail15normal_iteratorINS9_10device_ptrIjEEEENS9_16discard_iteratorINS9_11use_defaultEEEj11max_functorIjEjEEDaPvRmT3_T4_T5_mT6_P12ihipStream_tbENKUlT_T0_E_clISt17integral_constantIbLb1EESX_EEDaSS_ST_EUlSS_E_NS1_11comp_targetILNS1_3genE0ELNS1_11target_archE4294967295ELNS1_3gpuE0ELNS1_3repE0EEENS1_30default_config_static_selectorELNS0_4arch9wavefront6targetE1EEEvT1_
		.amdhsa_group_segment_fixed_size 0
		.amdhsa_private_segment_fixed_size 0
		.amdhsa_kernarg_size 104
		.amdhsa_user_sgpr_count 6
		.amdhsa_user_sgpr_private_segment_buffer 1
		.amdhsa_user_sgpr_dispatch_ptr 0
		.amdhsa_user_sgpr_queue_ptr 0
		.amdhsa_user_sgpr_kernarg_segment_ptr 1
		.amdhsa_user_sgpr_dispatch_id 0
		.amdhsa_user_sgpr_flat_scratch_init 0
		.amdhsa_user_sgpr_kernarg_preload_length 0
		.amdhsa_user_sgpr_kernarg_preload_offset 0
		.amdhsa_user_sgpr_private_segment_size 0
		.amdhsa_uses_dynamic_stack 0
		.amdhsa_system_sgpr_private_segment_wavefront_offset 0
		.amdhsa_system_sgpr_workgroup_id_x 1
		.amdhsa_system_sgpr_workgroup_id_y 0
		.amdhsa_system_sgpr_workgroup_id_z 0
		.amdhsa_system_sgpr_workgroup_info 0
		.amdhsa_system_vgpr_workitem_id 0
		.amdhsa_next_free_vgpr 1
		.amdhsa_next_free_sgpr 0
		.amdhsa_accum_offset 4
		.amdhsa_reserve_vcc 0
		.amdhsa_reserve_flat_scratch 0
		.amdhsa_float_round_mode_32 0
		.amdhsa_float_round_mode_16_64 0
		.amdhsa_float_denorm_mode_32 3
		.amdhsa_float_denorm_mode_16_64 3
		.amdhsa_dx10_clamp 1
		.amdhsa_ieee_mode 1
		.amdhsa_fp16_overflow 0
		.amdhsa_tg_split 0
		.amdhsa_exception_fp_ieee_invalid_op 0
		.amdhsa_exception_fp_denorm_src 0
		.amdhsa_exception_fp_ieee_div_zero 0
		.amdhsa_exception_fp_ieee_overflow 0
		.amdhsa_exception_fp_ieee_underflow 0
		.amdhsa_exception_fp_ieee_inexact 0
		.amdhsa_exception_int_div_zero 0
	.end_amdhsa_kernel
	.section	.text._ZN7rocprim17ROCPRIM_400000_NS6detail17trampoline_kernelINS0_14default_configENS1_20scan_config_selectorIjEEZZNS1_9scan_implILNS1_25lookback_scan_determinismE0ELb0ELb0ES3_N6thrust23THRUST_200600_302600_NS6detail15normal_iteratorINS9_10device_ptrIjEEEENS9_16discard_iteratorINS9_11use_defaultEEEj11max_functorIjEjEEDaPvRmT3_T4_T5_mT6_P12ihipStream_tbENKUlT_T0_E_clISt17integral_constantIbLb1EESX_EEDaSS_ST_EUlSS_E_NS1_11comp_targetILNS1_3genE0ELNS1_11target_archE4294967295ELNS1_3gpuE0ELNS1_3repE0EEENS1_30default_config_static_selectorELNS0_4arch9wavefront6targetE1EEEvT1_,"axG",@progbits,_ZN7rocprim17ROCPRIM_400000_NS6detail17trampoline_kernelINS0_14default_configENS1_20scan_config_selectorIjEEZZNS1_9scan_implILNS1_25lookback_scan_determinismE0ELb0ELb0ES3_N6thrust23THRUST_200600_302600_NS6detail15normal_iteratorINS9_10device_ptrIjEEEENS9_16discard_iteratorINS9_11use_defaultEEEj11max_functorIjEjEEDaPvRmT3_T4_T5_mT6_P12ihipStream_tbENKUlT_T0_E_clISt17integral_constantIbLb1EESX_EEDaSS_ST_EUlSS_E_NS1_11comp_targetILNS1_3genE0ELNS1_11target_archE4294967295ELNS1_3gpuE0ELNS1_3repE0EEENS1_30default_config_static_selectorELNS0_4arch9wavefront6targetE1EEEvT1_,comdat
.Lfunc_end3440:
	.size	_ZN7rocprim17ROCPRIM_400000_NS6detail17trampoline_kernelINS0_14default_configENS1_20scan_config_selectorIjEEZZNS1_9scan_implILNS1_25lookback_scan_determinismE0ELb0ELb0ES3_N6thrust23THRUST_200600_302600_NS6detail15normal_iteratorINS9_10device_ptrIjEEEENS9_16discard_iteratorINS9_11use_defaultEEEj11max_functorIjEjEEDaPvRmT3_T4_T5_mT6_P12ihipStream_tbENKUlT_T0_E_clISt17integral_constantIbLb1EESX_EEDaSS_ST_EUlSS_E_NS1_11comp_targetILNS1_3genE0ELNS1_11target_archE4294967295ELNS1_3gpuE0ELNS1_3repE0EEENS1_30default_config_static_selectorELNS0_4arch9wavefront6targetE1EEEvT1_, .Lfunc_end3440-_ZN7rocprim17ROCPRIM_400000_NS6detail17trampoline_kernelINS0_14default_configENS1_20scan_config_selectorIjEEZZNS1_9scan_implILNS1_25lookback_scan_determinismE0ELb0ELb0ES3_N6thrust23THRUST_200600_302600_NS6detail15normal_iteratorINS9_10device_ptrIjEEEENS9_16discard_iteratorINS9_11use_defaultEEEj11max_functorIjEjEEDaPvRmT3_T4_T5_mT6_P12ihipStream_tbENKUlT_T0_E_clISt17integral_constantIbLb1EESX_EEDaSS_ST_EUlSS_E_NS1_11comp_targetILNS1_3genE0ELNS1_11target_archE4294967295ELNS1_3gpuE0ELNS1_3repE0EEENS1_30default_config_static_selectorELNS0_4arch9wavefront6targetE1EEEvT1_
                                        ; -- End function
	.section	.AMDGPU.csdata,"",@progbits
; Kernel info:
; codeLenInByte = 0
; NumSgprs: 4
; NumVgprs: 0
; NumAgprs: 0
; TotalNumVgprs: 0
; ScratchSize: 0
; MemoryBound: 0
; FloatMode: 240
; IeeeMode: 1
; LDSByteSize: 0 bytes/workgroup (compile time only)
; SGPRBlocks: 0
; VGPRBlocks: 0
; NumSGPRsForWavesPerEU: 4
; NumVGPRsForWavesPerEU: 1
; AccumOffset: 4
; Occupancy: 8
; WaveLimiterHint : 0
; COMPUTE_PGM_RSRC2:SCRATCH_EN: 0
; COMPUTE_PGM_RSRC2:USER_SGPR: 6
; COMPUTE_PGM_RSRC2:TRAP_HANDLER: 0
; COMPUTE_PGM_RSRC2:TGID_X_EN: 1
; COMPUTE_PGM_RSRC2:TGID_Y_EN: 0
; COMPUTE_PGM_RSRC2:TGID_Z_EN: 0
; COMPUTE_PGM_RSRC2:TIDIG_COMP_CNT: 0
; COMPUTE_PGM_RSRC3_GFX90A:ACCUM_OFFSET: 0
; COMPUTE_PGM_RSRC3_GFX90A:TG_SPLIT: 0
	.section	.text._ZN7rocprim17ROCPRIM_400000_NS6detail17trampoline_kernelINS0_14default_configENS1_20scan_config_selectorIjEEZZNS1_9scan_implILNS1_25lookback_scan_determinismE0ELb0ELb0ES3_N6thrust23THRUST_200600_302600_NS6detail15normal_iteratorINS9_10device_ptrIjEEEENS9_16discard_iteratorINS9_11use_defaultEEEj11max_functorIjEjEEDaPvRmT3_T4_T5_mT6_P12ihipStream_tbENKUlT_T0_E_clISt17integral_constantIbLb1EESX_EEDaSS_ST_EUlSS_E_NS1_11comp_targetILNS1_3genE5ELNS1_11target_archE942ELNS1_3gpuE9ELNS1_3repE0EEENS1_30default_config_static_selectorELNS0_4arch9wavefront6targetE1EEEvT1_,"axG",@progbits,_ZN7rocprim17ROCPRIM_400000_NS6detail17trampoline_kernelINS0_14default_configENS1_20scan_config_selectorIjEEZZNS1_9scan_implILNS1_25lookback_scan_determinismE0ELb0ELb0ES3_N6thrust23THRUST_200600_302600_NS6detail15normal_iteratorINS9_10device_ptrIjEEEENS9_16discard_iteratorINS9_11use_defaultEEEj11max_functorIjEjEEDaPvRmT3_T4_T5_mT6_P12ihipStream_tbENKUlT_T0_E_clISt17integral_constantIbLb1EESX_EEDaSS_ST_EUlSS_E_NS1_11comp_targetILNS1_3genE5ELNS1_11target_archE942ELNS1_3gpuE9ELNS1_3repE0EEENS1_30default_config_static_selectorELNS0_4arch9wavefront6targetE1EEEvT1_,comdat
	.protected	_ZN7rocprim17ROCPRIM_400000_NS6detail17trampoline_kernelINS0_14default_configENS1_20scan_config_selectorIjEEZZNS1_9scan_implILNS1_25lookback_scan_determinismE0ELb0ELb0ES3_N6thrust23THRUST_200600_302600_NS6detail15normal_iteratorINS9_10device_ptrIjEEEENS9_16discard_iteratorINS9_11use_defaultEEEj11max_functorIjEjEEDaPvRmT3_T4_T5_mT6_P12ihipStream_tbENKUlT_T0_E_clISt17integral_constantIbLb1EESX_EEDaSS_ST_EUlSS_E_NS1_11comp_targetILNS1_3genE5ELNS1_11target_archE942ELNS1_3gpuE9ELNS1_3repE0EEENS1_30default_config_static_selectorELNS0_4arch9wavefront6targetE1EEEvT1_ ; -- Begin function _ZN7rocprim17ROCPRIM_400000_NS6detail17trampoline_kernelINS0_14default_configENS1_20scan_config_selectorIjEEZZNS1_9scan_implILNS1_25lookback_scan_determinismE0ELb0ELb0ES3_N6thrust23THRUST_200600_302600_NS6detail15normal_iteratorINS9_10device_ptrIjEEEENS9_16discard_iteratorINS9_11use_defaultEEEj11max_functorIjEjEEDaPvRmT3_T4_T5_mT6_P12ihipStream_tbENKUlT_T0_E_clISt17integral_constantIbLb1EESX_EEDaSS_ST_EUlSS_E_NS1_11comp_targetILNS1_3genE5ELNS1_11target_archE942ELNS1_3gpuE9ELNS1_3repE0EEENS1_30default_config_static_selectorELNS0_4arch9wavefront6targetE1EEEvT1_
	.globl	_ZN7rocprim17ROCPRIM_400000_NS6detail17trampoline_kernelINS0_14default_configENS1_20scan_config_selectorIjEEZZNS1_9scan_implILNS1_25lookback_scan_determinismE0ELb0ELb0ES3_N6thrust23THRUST_200600_302600_NS6detail15normal_iteratorINS9_10device_ptrIjEEEENS9_16discard_iteratorINS9_11use_defaultEEEj11max_functorIjEjEEDaPvRmT3_T4_T5_mT6_P12ihipStream_tbENKUlT_T0_E_clISt17integral_constantIbLb1EESX_EEDaSS_ST_EUlSS_E_NS1_11comp_targetILNS1_3genE5ELNS1_11target_archE942ELNS1_3gpuE9ELNS1_3repE0EEENS1_30default_config_static_selectorELNS0_4arch9wavefront6targetE1EEEvT1_
	.p2align	8
	.type	_ZN7rocprim17ROCPRIM_400000_NS6detail17trampoline_kernelINS0_14default_configENS1_20scan_config_selectorIjEEZZNS1_9scan_implILNS1_25lookback_scan_determinismE0ELb0ELb0ES3_N6thrust23THRUST_200600_302600_NS6detail15normal_iteratorINS9_10device_ptrIjEEEENS9_16discard_iteratorINS9_11use_defaultEEEj11max_functorIjEjEEDaPvRmT3_T4_T5_mT6_P12ihipStream_tbENKUlT_T0_E_clISt17integral_constantIbLb1EESX_EEDaSS_ST_EUlSS_E_NS1_11comp_targetILNS1_3genE5ELNS1_11target_archE942ELNS1_3gpuE9ELNS1_3repE0EEENS1_30default_config_static_selectorELNS0_4arch9wavefront6targetE1EEEvT1_,@function
_ZN7rocprim17ROCPRIM_400000_NS6detail17trampoline_kernelINS0_14default_configENS1_20scan_config_selectorIjEEZZNS1_9scan_implILNS1_25lookback_scan_determinismE0ELb0ELb0ES3_N6thrust23THRUST_200600_302600_NS6detail15normal_iteratorINS9_10device_ptrIjEEEENS9_16discard_iteratorINS9_11use_defaultEEEj11max_functorIjEjEEDaPvRmT3_T4_T5_mT6_P12ihipStream_tbENKUlT_T0_E_clISt17integral_constantIbLb1EESX_EEDaSS_ST_EUlSS_E_NS1_11comp_targetILNS1_3genE5ELNS1_11target_archE942ELNS1_3gpuE9ELNS1_3repE0EEENS1_30default_config_static_selectorELNS0_4arch9wavefront6targetE1EEEvT1_: ; @_ZN7rocprim17ROCPRIM_400000_NS6detail17trampoline_kernelINS0_14default_configENS1_20scan_config_selectorIjEEZZNS1_9scan_implILNS1_25lookback_scan_determinismE0ELb0ELb0ES3_N6thrust23THRUST_200600_302600_NS6detail15normal_iteratorINS9_10device_ptrIjEEEENS9_16discard_iteratorINS9_11use_defaultEEEj11max_functorIjEjEEDaPvRmT3_T4_T5_mT6_P12ihipStream_tbENKUlT_T0_E_clISt17integral_constantIbLb1EESX_EEDaSS_ST_EUlSS_E_NS1_11comp_targetILNS1_3genE5ELNS1_11target_archE942ELNS1_3gpuE9ELNS1_3repE0EEENS1_30default_config_static_selectorELNS0_4arch9wavefront6targetE1EEEvT1_
; %bb.0:
	.section	.rodata,"a",@progbits
	.p2align	6, 0x0
	.amdhsa_kernel _ZN7rocprim17ROCPRIM_400000_NS6detail17trampoline_kernelINS0_14default_configENS1_20scan_config_selectorIjEEZZNS1_9scan_implILNS1_25lookback_scan_determinismE0ELb0ELb0ES3_N6thrust23THRUST_200600_302600_NS6detail15normal_iteratorINS9_10device_ptrIjEEEENS9_16discard_iteratorINS9_11use_defaultEEEj11max_functorIjEjEEDaPvRmT3_T4_T5_mT6_P12ihipStream_tbENKUlT_T0_E_clISt17integral_constantIbLb1EESX_EEDaSS_ST_EUlSS_E_NS1_11comp_targetILNS1_3genE5ELNS1_11target_archE942ELNS1_3gpuE9ELNS1_3repE0EEENS1_30default_config_static_selectorELNS0_4arch9wavefront6targetE1EEEvT1_
		.amdhsa_group_segment_fixed_size 0
		.amdhsa_private_segment_fixed_size 0
		.amdhsa_kernarg_size 104
		.amdhsa_user_sgpr_count 6
		.amdhsa_user_sgpr_private_segment_buffer 1
		.amdhsa_user_sgpr_dispatch_ptr 0
		.amdhsa_user_sgpr_queue_ptr 0
		.amdhsa_user_sgpr_kernarg_segment_ptr 1
		.amdhsa_user_sgpr_dispatch_id 0
		.amdhsa_user_sgpr_flat_scratch_init 0
		.amdhsa_user_sgpr_kernarg_preload_length 0
		.amdhsa_user_sgpr_kernarg_preload_offset 0
		.amdhsa_user_sgpr_private_segment_size 0
		.amdhsa_uses_dynamic_stack 0
		.amdhsa_system_sgpr_private_segment_wavefront_offset 0
		.amdhsa_system_sgpr_workgroup_id_x 1
		.amdhsa_system_sgpr_workgroup_id_y 0
		.amdhsa_system_sgpr_workgroup_id_z 0
		.amdhsa_system_sgpr_workgroup_info 0
		.amdhsa_system_vgpr_workitem_id 0
		.amdhsa_next_free_vgpr 1
		.amdhsa_next_free_sgpr 0
		.amdhsa_accum_offset 4
		.amdhsa_reserve_vcc 0
		.amdhsa_reserve_flat_scratch 0
		.amdhsa_float_round_mode_32 0
		.amdhsa_float_round_mode_16_64 0
		.amdhsa_float_denorm_mode_32 3
		.amdhsa_float_denorm_mode_16_64 3
		.amdhsa_dx10_clamp 1
		.amdhsa_ieee_mode 1
		.amdhsa_fp16_overflow 0
		.amdhsa_tg_split 0
		.amdhsa_exception_fp_ieee_invalid_op 0
		.amdhsa_exception_fp_denorm_src 0
		.amdhsa_exception_fp_ieee_div_zero 0
		.amdhsa_exception_fp_ieee_overflow 0
		.amdhsa_exception_fp_ieee_underflow 0
		.amdhsa_exception_fp_ieee_inexact 0
		.amdhsa_exception_int_div_zero 0
	.end_amdhsa_kernel
	.section	.text._ZN7rocprim17ROCPRIM_400000_NS6detail17trampoline_kernelINS0_14default_configENS1_20scan_config_selectorIjEEZZNS1_9scan_implILNS1_25lookback_scan_determinismE0ELb0ELb0ES3_N6thrust23THRUST_200600_302600_NS6detail15normal_iteratorINS9_10device_ptrIjEEEENS9_16discard_iteratorINS9_11use_defaultEEEj11max_functorIjEjEEDaPvRmT3_T4_T5_mT6_P12ihipStream_tbENKUlT_T0_E_clISt17integral_constantIbLb1EESX_EEDaSS_ST_EUlSS_E_NS1_11comp_targetILNS1_3genE5ELNS1_11target_archE942ELNS1_3gpuE9ELNS1_3repE0EEENS1_30default_config_static_selectorELNS0_4arch9wavefront6targetE1EEEvT1_,"axG",@progbits,_ZN7rocprim17ROCPRIM_400000_NS6detail17trampoline_kernelINS0_14default_configENS1_20scan_config_selectorIjEEZZNS1_9scan_implILNS1_25lookback_scan_determinismE0ELb0ELb0ES3_N6thrust23THRUST_200600_302600_NS6detail15normal_iteratorINS9_10device_ptrIjEEEENS9_16discard_iteratorINS9_11use_defaultEEEj11max_functorIjEjEEDaPvRmT3_T4_T5_mT6_P12ihipStream_tbENKUlT_T0_E_clISt17integral_constantIbLb1EESX_EEDaSS_ST_EUlSS_E_NS1_11comp_targetILNS1_3genE5ELNS1_11target_archE942ELNS1_3gpuE9ELNS1_3repE0EEENS1_30default_config_static_selectorELNS0_4arch9wavefront6targetE1EEEvT1_,comdat
.Lfunc_end3441:
	.size	_ZN7rocprim17ROCPRIM_400000_NS6detail17trampoline_kernelINS0_14default_configENS1_20scan_config_selectorIjEEZZNS1_9scan_implILNS1_25lookback_scan_determinismE0ELb0ELb0ES3_N6thrust23THRUST_200600_302600_NS6detail15normal_iteratorINS9_10device_ptrIjEEEENS9_16discard_iteratorINS9_11use_defaultEEEj11max_functorIjEjEEDaPvRmT3_T4_T5_mT6_P12ihipStream_tbENKUlT_T0_E_clISt17integral_constantIbLb1EESX_EEDaSS_ST_EUlSS_E_NS1_11comp_targetILNS1_3genE5ELNS1_11target_archE942ELNS1_3gpuE9ELNS1_3repE0EEENS1_30default_config_static_selectorELNS0_4arch9wavefront6targetE1EEEvT1_, .Lfunc_end3441-_ZN7rocprim17ROCPRIM_400000_NS6detail17trampoline_kernelINS0_14default_configENS1_20scan_config_selectorIjEEZZNS1_9scan_implILNS1_25lookback_scan_determinismE0ELb0ELb0ES3_N6thrust23THRUST_200600_302600_NS6detail15normal_iteratorINS9_10device_ptrIjEEEENS9_16discard_iteratorINS9_11use_defaultEEEj11max_functorIjEjEEDaPvRmT3_T4_T5_mT6_P12ihipStream_tbENKUlT_T0_E_clISt17integral_constantIbLb1EESX_EEDaSS_ST_EUlSS_E_NS1_11comp_targetILNS1_3genE5ELNS1_11target_archE942ELNS1_3gpuE9ELNS1_3repE0EEENS1_30default_config_static_selectorELNS0_4arch9wavefront6targetE1EEEvT1_
                                        ; -- End function
	.section	.AMDGPU.csdata,"",@progbits
; Kernel info:
; codeLenInByte = 0
; NumSgprs: 4
; NumVgprs: 0
; NumAgprs: 0
; TotalNumVgprs: 0
; ScratchSize: 0
; MemoryBound: 0
; FloatMode: 240
; IeeeMode: 1
; LDSByteSize: 0 bytes/workgroup (compile time only)
; SGPRBlocks: 0
; VGPRBlocks: 0
; NumSGPRsForWavesPerEU: 4
; NumVGPRsForWavesPerEU: 1
; AccumOffset: 4
; Occupancy: 8
; WaveLimiterHint : 0
; COMPUTE_PGM_RSRC2:SCRATCH_EN: 0
; COMPUTE_PGM_RSRC2:USER_SGPR: 6
; COMPUTE_PGM_RSRC2:TRAP_HANDLER: 0
; COMPUTE_PGM_RSRC2:TGID_X_EN: 1
; COMPUTE_PGM_RSRC2:TGID_Y_EN: 0
; COMPUTE_PGM_RSRC2:TGID_Z_EN: 0
; COMPUTE_PGM_RSRC2:TIDIG_COMP_CNT: 0
; COMPUTE_PGM_RSRC3_GFX90A:ACCUM_OFFSET: 0
; COMPUTE_PGM_RSRC3_GFX90A:TG_SPLIT: 0
	.section	.text._ZN7rocprim17ROCPRIM_400000_NS6detail17trampoline_kernelINS0_14default_configENS1_20scan_config_selectorIjEEZZNS1_9scan_implILNS1_25lookback_scan_determinismE0ELb0ELb0ES3_N6thrust23THRUST_200600_302600_NS6detail15normal_iteratorINS9_10device_ptrIjEEEENS9_16discard_iteratorINS9_11use_defaultEEEj11max_functorIjEjEEDaPvRmT3_T4_T5_mT6_P12ihipStream_tbENKUlT_T0_E_clISt17integral_constantIbLb1EESX_EEDaSS_ST_EUlSS_E_NS1_11comp_targetILNS1_3genE4ELNS1_11target_archE910ELNS1_3gpuE8ELNS1_3repE0EEENS1_30default_config_static_selectorELNS0_4arch9wavefront6targetE1EEEvT1_,"axG",@progbits,_ZN7rocprim17ROCPRIM_400000_NS6detail17trampoline_kernelINS0_14default_configENS1_20scan_config_selectorIjEEZZNS1_9scan_implILNS1_25lookback_scan_determinismE0ELb0ELb0ES3_N6thrust23THRUST_200600_302600_NS6detail15normal_iteratorINS9_10device_ptrIjEEEENS9_16discard_iteratorINS9_11use_defaultEEEj11max_functorIjEjEEDaPvRmT3_T4_T5_mT6_P12ihipStream_tbENKUlT_T0_E_clISt17integral_constantIbLb1EESX_EEDaSS_ST_EUlSS_E_NS1_11comp_targetILNS1_3genE4ELNS1_11target_archE910ELNS1_3gpuE8ELNS1_3repE0EEENS1_30default_config_static_selectorELNS0_4arch9wavefront6targetE1EEEvT1_,comdat
	.protected	_ZN7rocprim17ROCPRIM_400000_NS6detail17trampoline_kernelINS0_14default_configENS1_20scan_config_selectorIjEEZZNS1_9scan_implILNS1_25lookback_scan_determinismE0ELb0ELb0ES3_N6thrust23THRUST_200600_302600_NS6detail15normal_iteratorINS9_10device_ptrIjEEEENS9_16discard_iteratorINS9_11use_defaultEEEj11max_functorIjEjEEDaPvRmT3_T4_T5_mT6_P12ihipStream_tbENKUlT_T0_E_clISt17integral_constantIbLb1EESX_EEDaSS_ST_EUlSS_E_NS1_11comp_targetILNS1_3genE4ELNS1_11target_archE910ELNS1_3gpuE8ELNS1_3repE0EEENS1_30default_config_static_selectorELNS0_4arch9wavefront6targetE1EEEvT1_ ; -- Begin function _ZN7rocprim17ROCPRIM_400000_NS6detail17trampoline_kernelINS0_14default_configENS1_20scan_config_selectorIjEEZZNS1_9scan_implILNS1_25lookback_scan_determinismE0ELb0ELb0ES3_N6thrust23THRUST_200600_302600_NS6detail15normal_iteratorINS9_10device_ptrIjEEEENS9_16discard_iteratorINS9_11use_defaultEEEj11max_functorIjEjEEDaPvRmT3_T4_T5_mT6_P12ihipStream_tbENKUlT_T0_E_clISt17integral_constantIbLb1EESX_EEDaSS_ST_EUlSS_E_NS1_11comp_targetILNS1_3genE4ELNS1_11target_archE910ELNS1_3gpuE8ELNS1_3repE0EEENS1_30default_config_static_selectorELNS0_4arch9wavefront6targetE1EEEvT1_
	.globl	_ZN7rocprim17ROCPRIM_400000_NS6detail17trampoline_kernelINS0_14default_configENS1_20scan_config_selectorIjEEZZNS1_9scan_implILNS1_25lookback_scan_determinismE0ELb0ELb0ES3_N6thrust23THRUST_200600_302600_NS6detail15normal_iteratorINS9_10device_ptrIjEEEENS9_16discard_iteratorINS9_11use_defaultEEEj11max_functorIjEjEEDaPvRmT3_T4_T5_mT6_P12ihipStream_tbENKUlT_T0_E_clISt17integral_constantIbLb1EESX_EEDaSS_ST_EUlSS_E_NS1_11comp_targetILNS1_3genE4ELNS1_11target_archE910ELNS1_3gpuE8ELNS1_3repE0EEENS1_30default_config_static_selectorELNS0_4arch9wavefront6targetE1EEEvT1_
	.p2align	8
	.type	_ZN7rocprim17ROCPRIM_400000_NS6detail17trampoline_kernelINS0_14default_configENS1_20scan_config_selectorIjEEZZNS1_9scan_implILNS1_25lookback_scan_determinismE0ELb0ELb0ES3_N6thrust23THRUST_200600_302600_NS6detail15normal_iteratorINS9_10device_ptrIjEEEENS9_16discard_iteratorINS9_11use_defaultEEEj11max_functorIjEjEEDaPvRmT3_T4_T5_mT6_P12ihipStream_tbENKUlT_T0_E_clISt17integral_constantIbLb1EESX_EEDaSS_ST_EUlSS_E_NS1_11comp_targetILNS1_3genE4ELNS1_11target_archE910ELNS1_3gpuE8ELNS1_3repE0EEENS1_30default_config_static_selectorELNS0_4arch9wavefront6targetE1EEEvT1_,@function
_ZN7rocprim17ROCPRIM_400000_NS6detail17trampoline_kernelINS0_14default_configENS1_20scan_config_selectorIjEEZZNS1_9scan_implILNS1_25lookback_scan_determinismE0ELb0ELb0ES3_N6thrust23THRUST_200600_302600_NS6detail15normal_iteratorINS9_10device_ptrIjEEEENS9_16discard_iteratorINS9_11use_defaultEEEj11max_functorIjEjEEDaPvRmT3_T4_T5_mT6_P12ihipStream_tbENKUlT_T0_E_clISt17integral_constantIbLb1EESX_EEDaSS_ST_EUlSS_E_NS1_11comp_targetILNS1_3genE4ELNS1_11target_archE910ELNS1_3gpuE8ELNS1_3repE0EEENS1_30default_config_static_selectorELNS0_4arch9wavefront6targetE1EEEvT1_: ; @_ZN7rocprim17ROCPRIM_400000_NS6detail17trampoline_kernelINS0_14default_configENS1_20scan_config_selectorIjEEZZNS1_9scan_implILNS1_25lookback_scan_determinismE0ELb0ELb0ES3_N6thrust23THRUST_200600_302600_NS6detail15normal_iteratorINS9_10device_ptrIjEEEENS9_16discard_iteratorINS9_11use_defaultEEEj11max_functorIjEjEEDaPvRmT3_T4_T5_mT6_P12ihipStream_tbENKUlT_T0_E_clISt17integral_constantIbLb1EESX_EEDaSS_ST_EUlSS_E_NS1_11comp_targetILNS1_3genE4ELNS1_11target_archE910ELNS1_3gpuE8ELNS1_3repE0EEENS1_30default_config_static_selectorELNS0_4arch9wavefront6targetE1EEEvT1_
; %bb.0:
	s_load_dwordx2 s[20:21], s[4:5], 0x20
	s_load_dwordx2 s[6:7], s[4:5], 0x30
	v_cmp_ne_u32_e64 s[0:1], 0, v0
	v_cmp_eq_u32_e64 s[2:3], 0, v0
	s_and_saveexec_b64 s[8:9], s[2:3]
	s_cbranch_execz .LBB3442_4
; %bb.1:
	s_mov_b64 s[12:13], exec
	v_mbcnt_lo_u32_b32 v1, s12, 0
	v_mbcnt_hi_u32_b32 v1, s13, v1
	v_cmp_eq_u32_e32 vcc, 0, v1
                                        ; implicit-def: $vgpr2
	s_and_saveexec_b64 s[10:11], vcc
	s_cbranch_execz .LBB3442_3
; %bb.2:
	s_load_dwordx2 s[14:15], s[4:5], 0x60
	s_bcnt1_i32_b64 s12, s[12:13]
	v_mov_b32_e32 v2, 0
	v_mov_b32_e32 v3, s12
	s_waitcnt lgkmcnt(0)
	global_atomic_add v2, v2, v3, s[14:15] glc
.LBB3442_3:
	s_or_b64 exec, exec, s[10:11]
	s_waitcnt vmcnt(0)
	v_readfirstlane_b32 s10, v2
	v_add_u32_e32 v1, s10, v1
	v_mov_b32_e32 v2, 0
	ds_write_b32 v2, v1
.LBB3442_4:
	s_or_b64 exec, exec, s[8:9]
	v_mov_b32_e32 v3, 0
	s_load_dwordx4 s[16:19], s[4:5], 0x0
	s_load_dword s22, s[4:5], 0x38
	s_load_dwordx8 s[8:15], s[4:5], 0x40
	s_waitcnt lgkmcnt(0)
	s_barrier
	ds_read_b32 v1, v3
	s_lshl_b64 s[4:5], s[18:19], 2
	s_add_u32 s4, s16, s4
	s_movk_i32 s16, 0x500
	s_addc_u32 s5, s17, s5
	s_waitcnt lgkmcnt(0)
	v_mul_lo_u32 v2, v1, s16
	s_add_i32 s16, s22, -1
	s_mul_i32 s17, s16, 0x500
	s_sub_u32 s24, s20, s17
	v_readfirstlane_b32 s26, v1
	s_subb_u32 s25, s21, 0
	v_lshlrev_b64 v[2:3], 2, v[2:3]
	s_cmp_lg_u32 s26, s16
	v_mov_b32_e32 v1, s5
	v_add_co_u32_e32 v12, vcc, s4, v2
	s_cselect_b64 s[16:17], -1, 0
	v_addc_co_u32_e32 v13, vcc, v1, v3, vcc
	s_mov_b64 s[4:5], -1
	s_and_b64 vcc, exec, s[16:17]
	v_lshlrev_b32_e32 v11, 2, v0
	s_barrier
	s_cbranch_vccz .LBB3442_6
; %bb.5:
	v_add_co_u32_e32 v2, vcc, v12, v11
	v_addc_co_u32_e32 v3, vcc, 0, v13, vcc
	flat_load_dword v1, v[2:3]
	flat_load_dword v4, v[2:3] offset:512
	flat_load_dword v5, v[2:3] offset:1024
	;; [unrolled: 1-line block ×7, first 2 shown]
	v_add_co_u32_e32 v2, vcc, 0x1000, v2
	v_addc_co_u32_e32 v3, vcc, 0, v3, vcc
	flat_load_dword v14, v[2:3]
	flat_load_dword v15, v[2:3] offset:512
	s_mov_b64 s[4:5], 0
	s_waitcnt vmcnt(0) lgkmcnt(0)
	ds_write2st64_b32 v11, v1, v4 offset1:2
	ds_write2st64_b32 v11, v5, v6 offset0:4 offset1:6
	ds_write2st64_b32 v11, v7, v8 offset0:8 offset1:10
	;; [unrolled: 1-line block ×4, first 2 shown]
	s_waitcnt lgkmcnt(0)
	s_barrier
.LBB3442_6:
	s_andn2_b64 vcc, exec, s[4:5]
	s_cbranch_vccnz .LBB3442_28
; %bb.7:
	flat_load_dword v1, v[12:13]
	v_cmp_gt_u32_e32 vcc, s24, v0
	s_waitcnt vmcnt(0) lgkmcnt(0)
	v_mov_b32_e32 v2, v1
	v_mov_b32_e32 v3, v1
	;; [unrolled: 1-line block ×9, first 2 shown]
	s_and_saveexec_b64 s[4:5], vcc
	s_cbranch_execz .LBB3442_9
; %bb.8:
	v_add_co_u32_e32 v14, vcc, v12, v11
	v_addc_co_u32_e32 v15, vcc, 0, v13, vcc
	flat_load_dword v10, v[14:15]
.LBB3442_9:
	s_or_b64 exec, exec, s[4:5]
	v_or_b32_e32 v14, 0x80, v0
	v_cmp_gt_u32_e32 vcc, s24, v14
	s_and_saveexec_b64 s[4:5], vcc
	s_cbranch_execz .LBB3442_11
; %bb.10:
	v_add_co_u32_e32 v14, vcc, v12, v11
	v_addc_co_u32_e32 v15, vcc, 0, v13, vcc
	flat_load_dword v1, v[14:15] offset:512
.LBB3442_11:
	s_or_b64 exec, exec, s[4:5]
	v_or_b32_e32 v14, 0x100, v0
	v_cmp_gt_u32_e32 vcc, s24, v14
	s_and_saveexec_b64 s[4:5], vcc
	s_cbranch_execz .LBB3442_13
; %bb.12:
	v_add_co_u32_e32 v14, vcc, v12, v11
	v_addc_co_u32_e32 v15, vcc, 0, v13, vcc
	flat_load_dword v2, v[14:15] offset:1024
.LBB3442_13:
	s_or_b64 exec, exec, s[4:5]
	v_or_b32_e32 v14, 0x180, v0
	v_cmp_gt_u32_e32 vcc, s24, v14
	s_and_saveexec_b64 s[4:5], vcc
	s_cbranch_execz .LBB3442_15
; %bb.14:
	v_add_co_u32_e32 v14, vcc, v12, v11
	v_addc_co_u32_e32 v15, vcc, 0, v13, vcc
	flat_load_dword v3, v[14:15] offset:1536
.LBB3442_15:
	s_or_b64 exec, exec, s[4:5]
	v_or_b32_e32 v14, 0x200, v0
	v_cmp_gt_u32_e32 vcc, s24, v14
	s_and_saveexec_b64 s[4:5], vcc
	s_cbranch_execz .LBB3442_17
; %bb.16:
	v_add_co_u32_e32 v14, vcc, v12, v11
	v_addc_co_u32_e32 v15, vcc, 0, v13, vcc
	flat_load_dword v4, v[14:15] offset:2048
.LBB3442_17:
	s_or_b64 exec, exec, s[4:5]
	v_or_b32_e32 v14, 0x280, v0
	v_cmp_gt_u32_e32 vcc, s24, v14
	s_and_saveexec_b64 s[4:5], vcc
	s_cbranch_execz .LBB3442_19
; %bb.18:
	v_add_co_u32_e32 v14, vcc, v12, v11
	v_addc_co_u32_e32 v15, vcc, 0, v13, vcc
	flat_load_dword v5, v[14:15] offset:2560
.LBB3442_19:
	s_or_b64 exec, exec, s[4:5]
	v_or_b32_e32 v14, 0x300, v0
	v_cmp_gt_u32_e32 vcc, s24, v14
	s_and_saveexec_b64 s[4:5], vcc
	s_cbranch_execz .LBB3442_21
; %bb.20:
	v_add_co_u32_e32 v14, vcc, v12, v11
	v_addc_co_u32_e32 v15, vcc, 0, v13, vcc
	flat_load_dword v6, v[14:15] offset:3072
.LBB3442_21:
	s_or_b64 exec, exec, s[4:5]
	v_or_b32_e32 v14, 0x380, v0
	v_cmp_gt_u32_e32 vcc, s24, v14
	s_and_saveexec_b64 s[4:5], vcc
	s_cbranch_execz .LBB3442_23
; %bb.22:
	v_add_co_u32_e32 v14, vcc, v12, v11
	v_addc_co_u32_e32 v15, vcc, 0, v13, vcc
	flat_load_dword v7, v[14:15] offset:3584
.LBB3442_23:
	s_or_b64 exec, exec, s[4:5]
	v_or_b32_e32 v14, 0x400, v0
	v_cmp_gt_u32_e32 vcc, s24, v14
	s_and_saveexec_b64 s[4:5], vcc
	s_cbranch_execz .LBB3442_25
; %bb.24:
	v_lshlrev_b32_e32 v8, 2, v14
	v_add_co_u32_e32 v14, vcc, v12, v8
	v_addc_co_u32_e32 v15, vcc, 0, v13, vcc
	flat_load_dword v8, v[14:15]
.LBB3442_25:
	s_or_b64 exec, exec, s[4:5]
	v_or_b32_e32 v14, 0x480, v0
	v_cmp_gt_u32_e32 vcc, s24, v14
	s_and_saveexec_b64 s[4:5], vcc
	s_cbranch_execz .LBB3442_27
; %bb.26:
	v_lshlrev_b32_e32 v9, 2, v14
	v_add_co_u32_e32 v12, vcc, v12, v9
	v_addc_co_u32_e32 v13, vcc, 0, v13, vcc
	flat_load_dword v9, v[12:13]
.LBB3442_27:
	s_or_b64 exec, exec, s[4:5]
	s_waitcnt vmcnt(0) lgkmcnt(0)
	ds_write2st64_b32 v11, v10, v1 offset1:2
	ds_write2st64_b32 v11, v2, v3 offset0:4 offset1:6
	ds_write2st64_b32 v11, v4, v5 offset0:8 offset1:10
	;; [unrolled: 1-line block ×4, first 2 shown]
	s_waitcnt lgkmcnt(0)
	s_barrier
.LBB3442_28:
	v_mul_u32_u24_e32 v22, 10, v0
	v_lshlrev_b32_e32 v23, 2, v22
	ds_read2_b64 v[2:5], v23 offset1:1
	ds_read2_b64 v[16:19], v23 offset0:2 offset1:3
	ds_read_b64 v[20:21], v23 offset:32
	s_cmp_lg_u32 s26, 0
	v_lshrrev_b32_e32 v1, 5, v0
	v_cmp_gt_u32_e32 vcc, 64, v0
	s_waitcnt lgkmcnt(0)
	s_barrier
	s_cbranch_scc0 .LBB3442_57
; %bb.29:
	v_max_u32_e32 v6, v2, v3
	v_max3_u32 v6, v6, v4, v5
	v_max3_u32 v6, v6, v16, v17
	;; [unrolled: 1-line block ×4, first 2 shown]
	v_add_lshl_u32 v6, v1, v0, 2
	ds_write_b32 v6, v24
	s_waitcnt lgkmcnt(0)
	s_barrier
	s_and_saveexec_b64 s[18:19], vcc
	s_cbranch_execz .LBB3442_31
; %bb.30:
	v_lshlrev_b32_e32 v6, 1, v0
	v_lshrrev_b32_e32 v7, 4, v0
	v_add_lshl_u32 v8, v7, v6, 2
	ds_read2_b32 v[6:7], v8 offset1:1
	v_mbcnt_lo_u32_b32 v9, -1, 0
	v_mbcnt_hi_u32_b32 v9, -1, v9
	v_and_b32_e32 v10, 15, v9
	v_cmp_eq_u32_e64 s[4:5], 0, v10
	s_waitcnt lgkmcnt(0)
	v_max_u32_e32 v7, v6, v7
	; wave barrier
	s_nop 1
	v_mov_b32_dpp v11, v7 row_shr:1 row_mask:0xf bank_mask:0xf
	v_max_u32_e32 v11, v11, v7
	v_cndmask_b32_e64 v7, v11, v7, s[4:5]
	v_cmp_lt_u32_e64 s[4:5], 1, v10
	s_nop 0
	v_mov_b32_dpp v11, v7 row_shr:2 row_mask:0xf bank_mask:0xf
	v_max_u32_e32 v11, v11, v7
	v_cndmask_b32_e64 v7, v7, v11, s[4:5]
	v_cmp_lt_u32_e64 s[4:5], 3, v10
	;; [unrolled: 5-line block ×3, first 2 shown]
	s_nop 0
	v_mov_b32_dpp v11, v7 row_shr:8 row_mask:0xf bank_mask:0xf
	v_max_u32_e32 v11, v11, v7
	v_cndmask_b32_e64 v7, v7, v11, s[4:5]
	v_and_b32_e32 v11, 16, v9
	v_cmp_eq_u32_e64 s[4:5], 0, v11
	v_mov_b32_dpp v10, v7 row_bcast:15 row_mask:0xf bank_mask:0xf
	v_max_u32_e32 v10, v10, v7
	v_cndmask_b32_e64 v7, v10, v7, s[4:5]
	v_cmp_lt_u32_e64 s[4:5], 31, v9
	v_and_b32_e32 v11, 64, v9
	v_mov_b32_dpp v10, v7 row_bcast:31 row_mask:0xf bank_mask:0xf
	v_max_u32_e32 v10, v10, v7
	v_cndmask_b32_e64 v7, v7, v10, s[4:5]
	v_add_u32_e32 v10, -1, v9
	v_cmp_lt_i32_e64 s[4:5], v10, v11
	v_cndmask_b32_e64 v9, v10, v9, s[4:5]
	v_lshlrev_b32_e32 v9, 2, v9
	ds_bpermute_b32 v7, v9, v7
	s_waitcnt lgkmcnt(0)
	v_max_u32_e32 v6, v7, v6
	v_cndmask_b32_e64 v6, v6, v24, s[2:3]
	ds_write_b32 v8, v6
	; wave barrier
	ds_read_b32 v7, v8 offset:4
	s_waitcnt lgkmcnt(0)
	v_max_u32_e32 v6, v6, v7
	ds_write_b32 v8, v6 offset:4
.LBB3442_31:
	s_or_b64 exec, exec, s[18:19]
	s_waitcnt lgkmcnt(0)
	s_barrier
	s_and_saveexec_b64 s[4:5], s[0:1]
	s_cbranch_execz .LBB3442_33
; %bb.32:
	v_add_u32_e32 v6, -1, v0
	v_lshrrev_b32_e32 v7, 5, v6
	v_add_lshl_u32 v6, v7, v6, 2
	ds_read_b32 v24, v6
.LBB3442_33:
	s_or_b64 exec, exec, s[4:5]
	s_and_saveexec_b64 s[18:19], vcc
	s_cbranch_execz .LBB3442_56
; %bb.34:
	v_mov_b32_e32 v15, 0
	ds_read_b32 v6, v15 offset:520
	v_mbcnt_lo_u32_b32 v7, -1, 0
	v_mbcnt_hi_u32_b32 v9, -1, v7
	s_mov_b32 s23, 0
	v_cmp_eq_u32_e64 s[4:5], 0, v9
	s_and_saveexec_b64 s[20:21], s[4:5]
	s_cbranch_execz .LBB3442_36
; %bb.35:
	s_add_i32 s22, s26, 64
	s_lshl_b64 s[22:23], s[22:23], 3
	s_add_u32 s22, s6, s22
	v_mov_b32_e32 v7, 1
	s_addc_u32 s23, s7, s23
	s_waitcnt lgkmcnt(0)
	global_store_dwordx2 v15, v[6:7], s[22:23]
.LBB3442_36:
	s_or_b64 exec, exec, s[20:21]
	v_xad_u32 v8, v9, -1, s26
	v_add_u32_e32 v14, 64, v8
	v_lshlrev_b64 v[10:11], 3, v[14:15]
	v_mov_b32_e32 v7, s7
	v_add_co_u32_e32 v10, vcc, s6, v10
	v_addc_co_u32_e32 v11, vcc, v7, v11, vcc
	global_load_dwordx2 v[12:13], v[10:11], off glc
	s_waitcnt vmcnt(0)
	v_cmp_eq_u16_sdwa s[22:23], v13, v15 src0_sel:BYTE_0 src1_sel:DWORD
	s_and_saveexec_b64 s[20:21], s[22:23]
	s_cbranch_execz .LBB3442_42
; %bb.37:
	s_mov_b32 s27, 1
	s_mov_b64 s[22:23], 0
	v_mov_b32_e32 v7, 0
.LBB3442_38:                            ; =>This Loop Header: Depth=1
                                        ;     Child Loop BB3442_39 Depth 2
	s_max_u32 s28, s27, 1
.LBB3442_39:                            ;   Parent Loop BB3442_38 Depth=1
                                        ; =>  This Inner Loop Header: Depth=2
	s_add_i32 s28, s28, -1
	s_cmp_eq_u32 s28, 0
	s_sleep 1
	s_cbranch_scc0 .LBB3442_39
; %bb.40:                               ;   in Loop: Header=BB3442_38 Depth=1
	global_load_dwordx2 v[12:13], v[10:11], off glc
	s_cmp_lt_u32 s27, 32
	s_cselect_b64 s[28:29], -1, 0
	s_cmp_lg_u64 s[28:29], 0
	s_addc_u32 s27, s27, 0
	s_waitcnt vmcnt(0)
	v_cmp_ne_u16_sdwa s[28:29], v13, v7 src0_sel:BYTE_0 src1_sel:DWORD
	s_or_b64 s[22:23], s[28:29], s[22:23]
	s_andn2_b64 exec, exec, s[22:23]
	s_cbranch_execnz .LBB3442_38
; %bb.41:
	s_or_b64 exec, exec, s[22:23]
.LBB3442_42:
	s_or_b64 exec, exec, s[20:21]
	v_and_b32_e32 v25, 63, v9
	v_cmp_ne_u32_e32 vcc, 63, v25
	v_mov_b32_e32 v7, 2
	v_addc_co_u32_e32 v26, vcc, 0, v9, vcc
	v_cmp_eq_u16_sdwa s[20:21], v13, v7 src0_sel:BYTE_0 src1_sel:DWORD
	v_lshlrev_b64 v[10:11], v9, -1
	v_lshlrev_b32_e32 v26, 2, v26
	v_and_b32_e32 v14, s21, v11
	ds_bpermute_b32 v27, v26, v12
	v_or_b32_e32 v14, 0x80000000, v14
	v_and_b32_e32 v15, s20, v10
	v_ffbl_b32_e32 v14, v14
	v_add_u32_e32 v14, 32, v14
	v_ffbl_b32_e32 v15, v15
	v_min_u32_e32 v14, v15, v14
	s_waitcnt lgkmcnt(0)
	v_max_u32_e32 v15, v27, v12
	v_cmp_lt_u32_e32 vcc, v25, v14
	v_cndmask_b32_e32 v12, v12, v15, vcc
	v_cmp_gt_u32_e32 vcc, 62, v25
	v_cndmask_b32_e64 v15, 0, 1, vcc
	v_lshlrev_b32_e32 v15, 1, v15
	v_add_lshl_u32 v27, v15, v9, 2
	ds_bpermute_b32 v15, v27, v12
	v_add_u32_e32 v28, 2, v25
	v_cmp_gt_u32_e32 vcc, v28, v14
	v_add_u32_e32 v30, 4, v25
	v_add_u32_e32 v32, 8, v25
	s_waitcnt lgkmcnt(0)
	v_max_u32_e32 v15, v15, v12
	v_cndmask_b32_e32 v12, v15, v12, vcc
	v_cmp_gt_u32_e32 vcc, 60, v25
	v_cndmask_b32_e64 v15, 0, 1, vcc
	v_lshlrev_b32_e32 v15, 2, v15
	v_add_lshl_u32 v29, v15, v9, 2
	ds_bpermute_b32 v15, v29, v12
	v_cmp_gt_u32_e32 vcc, v30, v14
	v_add_u32_e32 v35, 16, v25
	v_add_u32_e32 v37, 32, v25
	s_waitcnt lgkmcnt(0)
	v_max_u32_e32 v15, v15, v12
	v_cndmask_b32_e32 v12, v15, v12, vcc
	v_cmp_gt_u32_e32 vcc, 56, v25
	v_cndmask_b32_e64 v15, 0, 1, vcc
	v_lshlrev_b32_e32 v15, 3, v15
	v_add_lshl_u32 v31, v15, v9, 2
	ds_bpermute_b32 v15, v31, v12
	v_cmp_gt_u32_e32 vcc, v32, v14
	s_waitcnt lgkmcnt(0)
	v_max_u32_e32 v15, v15, v12
	v_cndmask_b32_e32 v12, v15, v12, vcc
	v_cmp_gt_u32_e32 vcc, 48, v25
	v_cndmask_b32_e64 v15, 0, 1, vcc
	v_lshlrev_b32_e32 v15, 4, v15
	v_add_lshl_u32 v33, v15, v9, 2
	ds_bpermute_b32 v15, v33, v12
	v_cmp_gt_u32_e32 vcc, v35, v14
	;; [unrolled: 9-line block ×3, first 2 shown]
	s_waitcnt lgkmcnt(0)
	v_max_u32_e32 v9, v9, v12
	v_cndmask_b32_e32 v12, v9, v12, vcc
	v_mov_b32_e32 v9, 0
	s_branch .LBB3442_44
.LBB3442_43:                            ;   in Loop: Header=BB3442_44 Depth=1
	s_or_b64 exec, exec, s[20:21]
	v_cmp_eq_u16_sdwa s[20:21], v13, v7 src0_sel:BYTE_0 src1_sel:DWORD
	v_and_b32_e32 v14, s21, v11
	ds_bpermute_b32 v38, v26, v12
	v_or_b32_e32 v14, 0x80000000, v14
	v_and_b32_e32 v15, s20, v10
	v_ffbl_b32_e32 v14, v14
	v_add_u32_e32 v14, 32, v14
	v_ffbl_b32_e32 v15, v15
	v_min_u32_e32 v14, v15, v14
	s_waitcnt lgkmcnt(0)
	v_max_u32_e32 v15, v38, v12
	v_cmp_lt_u32_e32 vcc, v25, v14
	v_cndmask_b32_e32 v12, v12, v15, vcc
	ds_bpermute_b32 v15, v27, v12
	v_cmp_gt_u32_e32 vcc, v28, v14
	v_subrev_u32_e32 v8, 64, v8
	s_waitcnt lgkmcnt(0)
	v_max_u32_e32 v15, v15, v12
	v_cndmask_b32_e32 v12, v15, v12, vcc
	ds_bpermute_b32 v15, v29, v12
	v_cmp_gt_u32_e32 vcc, v30, v14
	s_waitcnt lgkmcnt(0)
	v_max_u32_e32 v15, v15, v12
	v_cndmask_b32_e32 v12, v15, v12, vcc
	ds_bpermute_b32 v15, v31, v12
	v_cmp_gt_u32_e32 vcc, v32, v14
	;; [unrolled: 5-line block ×4, first 2 shown]
	s_waitcnt lgkmcnt(0)
	v_max_u32_e32 v15, v15, v12
	v_cndmask_b32_e32 v12, v15, v12, vcc
	v_max_u32_e32 v12, v12, v34
.LBB3442_44:                            ; =>This Loop Header: Depth=1
                                        ;     Child Loop BB3442_47 Depth 2
                                        ;       Child Loop BB3442_48 Depth 3
	v_cmp_ne_u16_sdwa s[20:21], v13, v7 src0_sel:BYTE_0 src1_sel:DWORD
	v_cndmask_b32_e64 v13, 0, 1, s[20:21]
	;;#ASMSTART
	;;#ASMEND
	v_cmp_ne_u32_e32 vcc, 0, v13
	s_cmp_lg_u64 vcc, exec
	v_mov_b32_e32 v34, v12
	s_cbranch_scc1 .LBB3442_51
; %bb.45:                               ;   in Loop: Header=BB3442_44 Depth=1
	v_lshlrev_b64 v[12:13], 3, v[8:9]
	v_mov_b32_e32 v15, s7
	v_add_co_u32_e32 v14, vcc, s6, v12
	v_addc_co_u32_e32 v15, vcc, v15, v13, vcc
	global_load_dwordx2 v[12:13], v[14:15], off glc
	s_waitcnt vmcnt(0)
	v_cmp_eq_u16_sdwa s[22:23], v13, v9 src0_sel:BYTE_0 src1_sel:DWORD
	s_and_saveexec_b64 s[20:21], s[22:23]
	s_cbranch_execz .LBB3442_43
; %bb.46:                               ;   in Loop: Header=BB3442_44 Depth=1
	s_mov_b32 s27, 1
	s_mov_b64 s[22:23], 0
.LBB3442_47:                            ;   Parent Loop BB3442_44 Depth=1
                                        ; =>  This Loop Header: Depth=2
                                        ;       Child Loop BB3442_48 Depth 3
	s_max_u32 s28, s27, 1
.LBB3442_48:                            ;   Parent Loop BB3442_44 Depth=1
                                        ;     Parent Loop BB3442_47 Depth=2
                                        ; =>    This Inner Loop Header: Depth=3
	s_add_i32 s28, s28, -1
	s_cmp_eq_u32 s28, 0
	s_sleep 1
	s_cbranch_scc0 .LBB3442_48
; %bb.49:                               ;   in Loop: Header=BB3442_47 Depth=2
	global_load_dwordx2 v[12:13], v[14:15], off glc
	s_cmp_lt_u32 s27, 32
	s_cselect_b64 s[28:29], -1, 0
	s_cmp_lg_u64 s[28:29], 0
	s_addc_u32 s27, s27, 0
	s_waitcnt vmcnt(0)
	v_cmp_ne_u16_sdwa s[28:29], v13, v9 src0_sel:BYTE_0 src1_sel:DWORD
	s_or_b64 s[22:23], s[28:29], s[22:23]
	s_andn2_b64 exec, exec, s[22:23]
	s_cbranch_execnz .LBB3442_47
; %bb.50:                               ;   in Loop: Header=BB3442_44 Depth=1
	s_or_b64 exec, exec, s[22:23]
	s_branch .LBB3442_43
.LBB3442_51:                            ;   in Loop: Header=BB3442_44 Depth=1
                                        ; implicit-def: $vgpr12
                                        ; implicit-def: $vgpr13
	s_cbranch_execz .LBB3442_44
; %bb.52:
	s_and_saveexec_b64 s[20:21], s[4:5]
	s_cbranch_execz .LBB3442_54
; %bb.53:
	s_add_i32 s4, s26, 64
	s_mov_b32 s5, 0
	s_lshl_b64 s[4:5], s[4:5], 3
	s_add_u32 s4, s6, s4
	v_max_u32_e32 v6, v34, v6
	v_mov_b32_e32 v7, 2
	s_addc_u32 s5, s7, s5
	v_mov_b32_e32 v8, 0
	global_store_dwordx2 v8, v[6:7], s[4:5]
.LBB3442_54:
	s_or_b64 exec, exec, s[20:21]
	s_and_b64 exec, exec, s[2:3]
	s_cbranch_execz .LBB3442_56
; %bb.55:
	v_mov_b32_e32 v6, 0
	ds_write_b32 v6, v34
.LBB3442_56:
	s_or_b64 exec, exec, s[18:19]
	v_mov_b32_e32 v6, 0
	s_waitcnt lgkmcnt(0)
	s_barrier
	ds_read_b32 v6, v6
	v_max_u32_e32 v7, v24, v2
	v_cndmask_b32_e64 v7, v7, v2, s[2:3]
	s_waitcnt lgkmcnt(0)
	v_max_u32_e32 v6, v6, v7
	v_max_u32_e32 v7, v6, v3
	v_max_u32_e32 v8, v7, v4
	v_max_u32_e32 v9, v8, v5
	v_max_u32_e32 v10, v9, v16
	v_max_u32_e32 v11, v10, v17
	v_max_u32_e32 v12, v11, v18
	v_max_u32_e32 v13, v12, v19
	v_max_u32_e32 v14, v13, v20
	v_max_u32_e32 v15, v14, v21
	s_branch .LBB3442_69
.LBB3442_57:
                                        ; implicit-def: $vgpr6_vgpr7_vgpr8_vgpr9_vgpr10_vgpr11_vgpr12_vgpr13_vgpr14_vgpr15
	s_cbranch_execz .LBB3442_69
; %bb.58:
	s_cmp_lg_u64 s[12:13], 0
	s_cselect_b64 s[4:5], -1, 0
	s_and_b64 s[12:13], s[2:3], s[4:5]
	v_mov_b32_e32 v12, v3
	v_mov_b32_e32 v13, v4
	;; [unrolled: 1-line block ×3, first 2 shown]
	s_and_saveexec_b64 s[4:5], s[12:13]
	s_cbranch_execz .LBB3442_60
; %bb.59:
	v_mov_b32_e32 v6, 0
	global_load_dword v6, v6, s[8:9]
	v_mov_b32_e32 v12, v3
	v_mov_b32_e32 v13, v4
	;; [unrolled: 1-line block ×3, first 2 shown]
	s_waitcnt vmcnt(0)
	v_max_u32_e32 v2, v6, v2
.LBB3442_60:
	s_or_b64 exec, exec, s[4:5]
	v_max_u32_e32 v3, v2, v12
	v_max_u32_e32 v4, v3, v13
	;; [unrolled: 1-line block ×9, first 2 shown]
	v_add_lshl_u32 v1, v1, v0, 2
	v_cmp_gt_u32_e32 vcc, 64, v0
	ds_write_b32 v1, v11
	s_waitcnt lgkmcnt(0)
	s_barrier
	s_and_saveexec_b64 s[4:5], vcc
	s_cbranch_execz .LBB3442_62
; %bb.61:
	v_lshlrev_b32_e32 v1, 1, v0
	v_lshrrev_b32_e32 v15, 4, v0
	v_add_lshl_u32 v1, v15, v1, 2
	ds_read2_b32 v[24:25], v1 offset1:1
	v_mbcnt_lo_u32_b32 v15, -1, 0
	v_mbcnt_hi_u32_b32 v15, -1, v15
	v_and_b32_e32 v26, 15, v15
	v_cmp_eq_u32_e32 vcc, 0, v26
	s_waitcnt lgkmcnt(0)
	v_max_u32_e32 v25, v24, v25
	; wave barrier
	s_nop 1
	v_mov_b32_dpp v27, v25 row_shr:1 row_mask:0xf bank_mask:0xf
	v_max_u32_e32 v27, v27, v25
	v_cndmask_b32_e32 v25, v27, v25, vcc
	v_cmp_lt_u32_e32 vcc, 1, v26
	s_nop 0
	v_mov_b32_dpp v27, v25 row_shr:2 row_mask:0xf bank_mask:0xf
	v_max_u32_e32 v27, v27, v25
	v_cndmask_b32_e32 v25, v25, v27, vcc
	v_cmp_lt_u32_e32 vcc, 3, v26
	;; [unrolled: 5-line block ×3, first 2 shown]
	s_nop 0
	v_mov_b32_dpp v27, v25 row_shr:8 row_mask:0xf bank_mask:0xf
	v_max_u32_e32 v27, v27, v25
	v_cndmask_b32_e32 v25, v25, v27, vcc
	v_and_b32_e32 v27, 16, v15
	v_cmp_eq_u32_e32 vcc, 0, v27
	v_mov_b32_dpp v26, v25 row_bcast:15 row_mask:0xf bank_mask:0xf
	v_max_u32_e32 v26, v26, v25
	v_cndmask_b32_e32 v25, v26, v25, vcc
	v_cmp_lt_u32_e32 vcc, 31, v15
	v_and_b32_e32 v27, 64, v15
	v_mov_b32_dpp v26, v25 row_bcast:31 row_mask:0xf bank_mask:0xf
	v_max_u32_e32 v26, v26, v25
	v_cndmask_b32_e32 v25, v25, v26, vcc
	v_add_u32_e32 v26, -1, v15
	v_cmp_lt_i32_e32 vcc, v26, v27
	v_cndmask_b32_e32 v15, v26, v15, vcc
	v_lshlrev_b32_e32 v15, 2, v15
	ds_bpermute_b32 v15, v15, v25
	s_waitcnt lgkmcnt(0)
	v_max_u32_e32 v15, v15, v24
	v_cndmask_b32_e64 v15, v15, v11, s[2:3]
	ds_write_b32 v1, v15
	; wave barrier
	ds_read_b32 v24, v1 offset:4
	s_waitcnt lgkmcnt(0)
	v_max_u32_e32 v15, v15, v24
	ds_write_b32 v1, v15 offset:4
.LBB3442_62:
	s_or_b64 exec, exec, s[4:5]
	v_mov_b32_e32 v1, v11
	s_waitcnt lgkmcnt(0)
	s_barrier
	s_and_saveexec_b64 s[2:3], s[0:1]
	s_cbranch_execz .LBB3442_64
; %bb.63:
	v_add_u32_e32 v1, -1, v0
	v_lshrrev_b32_e32 v15, 5, v1
	v_add_lshl_u32 v1, v15, v1, 2
	ds_read_b32 v1, v1
.LBB3442_64:
	s_or_b64 exec, exec, s[2:3]
	s_and_saveexec_b64 s[2:3], s[0:1]
	s_cbranch_execz .LBB3442_66
; %bb.65:
	s_waitcnt lgkmcnt(0)
	v_max_u32_e32 v2, v1, v2
	v_max_u32_e32 v3, v2, v12
	;; [unrolled: 1-line block ×10, first 2 shown]
	;;#ASMSTART
	;;#ASMEND
.LBB3442_66:
	s_or_b64 exec, exec, s[2:3]
	s_movk_i32 s0, 0x7f
	v_cmp_eq_u32_e32 vcc, s0, v0
	s_and_saveexec_b64 s[0:1], vcc
	s_cbranch_execz .LBB3442_68
; %bb.67:
	s_waitcnt lgkmcnt(0)
	v_mov_b32_e32 v1, 0
	v_mov_b32_e32 v13, 2
	;; [unrolled: 1-line block ×3, first 2 shown]
	global_store_dwordx2 v1, v[12:13], s[6:7] offset:512
.LBB3442_68:
	s_or_b64 exec, exec, s[0:1]
	v_pk_mov_b32 v[14:15], v[10:11], v[10:11] op_sel:[0,1]
	v_pk_mov_b32 v[12:13], v[8:9], v[8:9] op_sel:[0,1]
	;; [unrolled: 1-line block ×5, first 2 shown]
.LBB3442_69:
	s_mov_b64 s[0:1], -1
	s_and_b64 vcc, exec, s[16:17]
	s_waitcnt lgkmcnt(0)
	s_barrier
	ds_write2_b64 v23, v[6:7], v[8:9] offset1:1
	ds_write2_b64 v23, v[10:11], v[12:13] offset0:2 offset1:3
	ds_write_b64 v23, v[14:15] offset:32
	s_waitcnt lgkmcnt(0)
	s_cbranch_vccz .LBB3442_71
; %bb.70:
	s_barrier
	s_mov_b64 s[0:1], 0
.LBB3442_71:
	s_andn2_b64 vcc, exec, s[0:1]
	s_cbranch_vccnz .LBB3442_107
; %bb.72:
	v_cmp_lt_u64_e64 s[0:1], s[14:15], 2
	s_and_b64 vcc, exec, s[0:1]
	s_barrier
	s_cbranch_vccnz .LBB3442_107
; %bb.73:
	s_add_u32 s0, s24, -1
	s_addc_u32 s1, s25, -1
	s_add_u32 s2, 0, 0x99986000
	s_addc_u32 s3, 0, 0x59
	s_add_i32 s3, s3, 0x19999940
	s_mul_hi_u32 s7, s2, -10
	s_sub_i32 s7, s7, s2
	s_mul_i32 s8, s3, -10
	s_mul_i32 s4, s2, -10
	s_add_i32 s7, s7, s8
	s_mul_hi_u32 s5, s3, s4
	s_mul_i32 s6, s3, s4
	s_mul_i32 s9, s2, s7
	s_mul_hi_u32 s4, s2, s4
	s_mul_hi_u32 s8, s2, s7
	s_add_u32 s4, s4, s9
	s_addc_u32 s8, 0, s8
	s_add_u32 s4, s4, s6
	s_mul_hi_u32 s9, s3, s7
	s_addc_u32 s4, s8, s5
	s_addc_u32 s5, s9, 0
	s_mul_i32 s6, s3, s7
	s_add_u32 s4, s4, s6
	v_mov_b32_e32 v2, s4
	s_addc_u32 s5, 0, s5
	v_add_co_u32_e32 v2, vcc, s2, v2
	s_cmp_lg_u64 vcc, 0
	s_addc_u32 s2, s3, s5
	v_readfirstlane_b32 s5, v2
	s_mul_i32 s4, s0, s2
	s_mul_hi_u32 s6, s0, s5
	s_mul_hi_u32 s3, s0, s2
	s_add_u32 s4, s6, s4
	s_addc_u32 s3, 0, s3
	s_mul_hi_u32 s7, s1, s5
	s_mul_i32 s5, s1, s5
	s_add_u32 s4, s4, s5
	s_mul_hi_u32 s6, s1, s2
	s_addc_u32 s3, s3, s7
	s_addc_u32 s4, s6, 0
	s_mul_i32 s2, s1, s2
	s_add_u32 s2, s3, s2
	s_addc_u32 s3, 0, s4
	s_add_u32 s4, s2, 1
	s_addc_u32 s5, s3, 0
	s_add_u32 s6, s2, 2
	s_mul_i32 s8, s3, 10
	s_mul_hi_u32 s9, s2, 10
	s_addc_u32 s7, s3, 0
	s_add_i32 s9, s9, s8
	s_mul_i32 s8, s2, 10
	v_mov_b32_e32 v2, s8
	v_sub_co_u32_e32 v2, vcc, s0, v2
	s_cmp_lg_u64 vcc, 0
	s_subb_u32 s8, s1, s9
	v_subrev_co_u32_e32 v3, vcc, 10, v2
	s_cmp_lg_u64 vcc, 0
	s_subb_u32 s9, s8, 0
	v_readfirstlane_b32 s12, v3
	s_cmp_gt_u32 s12, 9
	s_cselect_b32 s12, -1, 0
	s_cmp_eq_u32 s9, 0
	s_cselect_b32 s9, s12, -1
	s_cmp_lg_u32 s9, 0
	s_cselect_b32 s4, s6, s4
	v_readfirstlane_b32 s6, v2
	s_cselect_b32 s5, s7, s5
	s_cmp_gt_u32 s6, 9
	s_cselect_b32 s6, -1, 0
	s_cmp_eq_u32 s8, 0
	s_cselect_b32 s6, s6, -1
	s_cmp_lg_u32 s6, 0
	v_mov_b32_e32 v1, 0
	s_cselect_b32 s3, s5, s3
	s_cselect_b32 s2, s4, s2
	v_cmp_eq_u64_e32 vcc, s[2:3], v[0:1]
	s_and_saveexec_b64 s[2:3], vcc
	s_cbranch_execz .LBB3442_107
; %bb.74:
	s_movk_i32 s2, 0xffdc
	v_mad_i32_i24 v2, v0, s2, v23
	v_mul_hi_u32_u24_e32 v1, 10, v0
	v_mov_b32_e32 v3, s1
	v_sub_co_u32_e32 v0, vcc, s0, v22
	v_subb_co_u32_e32 v1, vcc, v3, v1, vcc
	v_cmp_lt_i64_e32 vcc, 4, v[0:1]
	s_and_saveexec_b64 s[0:1], vcc
	s_xor_b64 s[0:1], exec, s[0:1]
	s_cbranch_execz .LBB3442_92
; %bb.75:
	v_cmp_lt_i64_e32 vcc, 6, v[0:1]
	s_and_saveexec_b64 s[2:3], vcc
	s_xor_b64 s[2:3], exec, s[2:3]
	s_cbranch_execz .LBB3442_85
; %bb.76:
	;; [unrolled: 5-line block ×4, first 2 shown]
	ds_read_b32 v0, v2 offset:4608
	v_mov_b32_e32 v1, 0
                                        ; implicit-def: $vgpr2
	s_waitcnt lgkmcnt(0)
	global_store_dword v1, v0, s[10:11]
.LBB3442_79:
	s_andn2_saveexec_b64 s[6:7], s[6:7]
	s_cbranch_execz .LBB3442_81
; %bb.80:
	ds_read_b32 v0, v2 offset:4096
	v_mov_b32_e32 v1, 0
	s_waitcnt lgkmcnt(0)
	global_store_dword v1, v0, s[10:11]
.LBB3442_81:
	s_or_b64 exec, exec, s[6:7]
                                        ; implicit-def: $vgpr2
.LBB3442_82:
	s_andn2_saveexec_b64 s[4:5], s[4:5]
	s_cbranch_execz .LBB3442_84
; %bb.83:
	ds_read_b32 v0, v2 offset:3584
	v_mov_b32_e32 v1, 0
	s_waitcnt lgkmcnt(0)
	global_store_dword v1, v0, s[10:11]
.LBB3442_84:
	s_or_b64 exec, exec, s[4:5]
                                        ; implicit-def: $vgpr2
                                        ; implicit-def: $vgpr0_vgpr1
.LBB3442_85:
	s_andn2_saveexec_b64 s[2:3], s[2:3]
	s_cbranch_execz .LBB3442_91
; %bb.86:
	v_cmp_lt_i64_e32 vcc, 5, v[0:1]
	s_and_saveexec_b64 s[4:5], vcc
	s_xor_b64 s[4:5], exec, s[4:5]
	s_cbranch_execz .LBB3442_88
; %bb.87:
	ds_read_b32 v0, v2 offset:3072
	v_mov_b32_e32 v1, 0
                                        ; implicit-def: $vgpr2
	s_waitcnt lgkmcnt(0)
	global_store_dword v1, v0, s[10:11]
.LBB3442_88:
	s_andn2_saveexec_b64 s[4:5], s[4:5]
	s_cbranch_execz .LBB3442_90
; %bb.89:
	ds_read_b32 v0, v2 offset:2560
	v_mov_b32_e32 v1, 0
	s_waitcnt lgkmcnt(0)
	global_store_dword v1, v0, s[10:11]
.LBB3442_90:
	s_or_b64 exec, exec, s[4:5]
.LBB3442_91:
	s_or_b64 exec, exec, s[2:3]
                                        ; implicit-def: $vgpr0_vgpr1
                                        ; implicit-def: $vgpr2
.LBB3442_92:
	s_andn2_saveexec_b64 s[0:1], s[0:1]
	s_cbranch_execz .LBB3442_107
; %bb.93:
	v_cmp_lt_i64_e32 vcc, 2, v[0:1]
	s_and_saveexec_b64 s[0:1], vcc
	s_xor_b64 s[0:1], exec, s[0:1]
	s_cbranch_execz .LBB3442_99
; %bb.94:
	v_cmp_lt_i64_e32 vcc, 3, v[0:1]
	s_and_saveexec_b64 s[2:3], vcc
	s_xor_b64 s[2:3], exec, s[2:3]
	s_cbranch_execz .LBB3442_96
; %bb.95:
	ds_read_b32 v0, v2 offset:2048
	v_mov_b32_e32 v1, 0
                                        ; implicit-def: $vgpr2
	s_waitcnt lgkmcnt(0)
	global_store_dword v1, v0, s[10:11]
.LBB3442_96:
	s_andn2_saveexec_b64 s[2:3], s[2:3]
	s_cbranch_execz .LBB3442_98
; %bb.97:
	ds_read_b32 v0, v2 offset:1536
	v_mov_b32_e32 v1, 0
	s_waitcnt lgkmcnt(0)
	global_store_dword v1, v0, s[10:11]
.LBB3442_98:
	s_or_b64 exec, exec, s[2:3]
                                        ; implicit-def: $vgpr0_vgpr1
                                        ; implicit-def: $vgpr2
.LBB3442_99:
	s_andn2_saveexec_b64 s[0:1], s[0:1]
	s_cbranch_execz .LBB3442_107
; %bb.100:
	v_cmp_lt_i64_e32 vcc, 1, v[0:1]
	s_and_saveexec_b64 s[0:1], vcc
	s_xor_b64 s[0:1], exec, s[0:1]
	s_cbranch_execz .LBB3442_102
; %bb.101:
	ds_read_b32 v0, v2 offset:1024
	v_mov_b32_e32 v1, 0
                                        ; implicit-def: $vgpr2
	s_waitcnt lgkmcnt(0)
	global_store_dword v1, v0, s[10:11]
                                        ; implicit-def: $vgpr0_vgpr1
.LBB3442_102:
	s_andn2_saveexec_b64 s[0:1], s[0:1]
	s_cbranch_execz .LBB3442_107
; %bb.103:
	v_cmp_ne_u64_e32 vcc, 1, v[0:1]
	s_and_saveexec_b64 s[0:1], vcc
	s_xor_b64 s[0:1], exec, s[0:1]
	s_cbranch_execz .LBB3442_105
; %bb.104:
	ds_read_b32 v0, v2
	v_mov_b32_e32 v1, 0
                                        ; implicit-def: $vgpr2
	s_waitcnt lgkmcnt(0)
	global_store_dword v1, v0, s[10:11]
.LBB3442_105:
	s_andn2_saveexec_b64 s[0:1], s[0:1]
	s_cbranch_execz .LBB3442_107
; %bb.106:
	ds_read_b32 v0, v2 offset:512
	v_mov_b32_e32 v1, 0
	s_waitcnt lgkmcnt(0)
	global_store_dword v1, v0, s[10:11]
.LBB3442_107:
	s_endpgm
	.section	.rodata,"a",@progbits
	.p2align	6, 0x0
	.amdhsa_kernel _ZN7rocprim17ROCPRIM_400000_NS6detail17trampoline_kernelINS0_14default_configENS1_20scan_config_selectorIjEEZZNS1_9scan_implILNS1_25lookback_scan_determinismE0ELb0ELb0ES3_N6thrust23THRUST_200600_302600_NS6detail15normal_iteratorINS9_10device_ptrIjEEEENS9_16discard_iteratorINS9_11use_defaultEEEj11max_functorIjEjEEDaPvRmT3_T4_T5_mT6_P12ihipStream_tbENKUlT_T0_E_clISt17integral_constantIbLb1EESX_EEDaSS_ST_EUlSS_E_NS1_11comp_targetILNS1_3genE4ELNS1_11target_archE910ELNS1_3gpuE8ELNS1_3repE0EEENS1_30default_config_static_selectorELNS0_4arch9wavefront6targetE1EEEvT1_
		.amdhsa_group_segment_fixed_size 5120
		.amdhsa_private_segment_fixed_size 0
		.amdhsa_kernarg_size 104
		.amdhsa_user_sgpr_count 6
		.amdhsa_user_sgpr_private_segment_buffer 1
		.amdhsa_user_sgpr_dispatch_ptr 0
		.amdhsa_user_sgpr_queue_ptr 0
		.amdhsa_user_sgpr_kernarg_segment_ptr 1
		.amdhsa_user_sgpr_dispatch_id 0
		.amdhsa_user_sgpr_flat_scratch_init 0
		.amdhsa_user_sgpr_kernarg_preload_length 0
		.amdhsa_user_sgpr_kernarg_preload_offset 0
		.amdhsa_user_sgpr_private_segment_size 0
		.amdhsa_uses_dynamic_stack 0
		.amdhsa_system_sgpr_private_segment_wavefront_offset 0
		.amdhsa_system_sgpr_workgroup_id_x 1
		.amdhsa_system_sgpr_workgroup_id_y 0
		.amdhsa_system_sgpr_workgroup_id_z 0
		.amdhsa_system_sgpr_workgroup_info 0
		.amdhsa_system_vgpr_workitem_id 0
		.amdhsa_next_free_vgpr 39
		.amdhsa_next_free_sgpr 30
		.amdhsa_accum_offset 40
		.amdhsa_reserve_vcc 1
		.amdhsa_reserve_flat_scratch 0
		.amdhsa_float_round_mode_32 0
		.amdhsa_float_round_mode_16_64 0
		.amdhsa_float_denorm_mode_32 3
		.amdhsa_float_denorm_mode_16_64 3
		.amdhsa_dx10_clamp 1
		.amdhsa_ieee_mode 1
		.amdhsa_fp16_overflow 0
		.amdhsa_tg_split 0
		.amdhsa_exception_fp_ieee_invalid_op 0
		.amdhsa_exception_fp_denorm_src 0
		.amdhsa_exception_fp_ieee_div_zero 0
		.amdhsa_exception_fp_ieee_overflow 0
		.amdhsa_exception_fp_ieee_underflow 0
		.amdhsa_exception_fp_ieee_inexact 0
		.amdhsa_exception_int_div_zero 0
	.end_amdhsa_kernel
	.section	.text._ZN7rocprim17ROCPRIM_400000_NS6detail17trampoline_kernelINS0_14default_configENS1_20scan_config_selectorIjEEZZNS1_9scan_implILNS1_25lookback_scan_determinismE0ELb0ELb0ES3_N6thrust23THRUST_200600_302600_NS6detail15normal_iteratorINS9_10device_ptrIjEEEENS9_16discard_iteratorINS9_11use_defaultEEEj11max_functorIjEjEEDaPvRmT3_T4_T5_mT6_P12ihipStream_tbENKUlT_T0_E_clISt17integral_constantIbLb1EESX_EEDaSS_ST_EUlSS_E_NS1_11comp_targetILNS1_3genE4ELNS1_11target_archE910ELNS1_3gpuE8ELNS1_3repE0EEENS1_30default_config_static_selectorELNS0_4arch9wavefront6targetE1EEEvT1_,"axG",@progbits,_ZN7rocprim17ROCPRIM_400000_NS6detail17trampoline_kernelINS0_14default_configENS1_20scan_config_selectorIjEEZZNS1_9scan_implILNS1_25lookback_scan_determinismE0ELb0ELb0ES3_N6thrust23THRUST_200600_302600_NS6detail15normal_iteratorINS9_10device_ptrIjEEEENS9_16discard_iteratorINS9_11use_defaultEEEj11max_functorIjEjEEDaPvRmT3_T4_T5_mT6_P12ihipStream_tbENKUlT_T0_E_clISt17integral_constantIbLb1EESX_EEDaSS_ST_EUlSS_E_NS1_11comp_targetILNS1_3genE4ELNS1_11target_archE910ELNS1_3gpuE8ELNS1_3repE0EEENS1_30default_config_static_selectorELNS0_4arch9wavefront6targetE1EEEvT1_,comdat
.Lfunc_end3442:
	.size	_ZN7rocprim17ROCPRIM_400000_NS6detail17trampoline_kernelINS0_14default_configENS1_20scan_config_selectorIjEEZZNS1_9scan_implILNS1_25lookback_scan_determinismE0ELb0ELb0ES3_N6thrust23THRUST_200600_302600_NS6detail15normal_iteratorINS9_10device_ptrIjEEEENS9_16discard_iteratorINS9_11use_defaultEEEj11max_functorIjEjEEDaPvRmT3_T4_T5_mT6_P12ihipStream_tbENKUlT_T0_E_clISt17integral_constantIbLb1EESX_EEDaSS_ST_EUlSS_E_NS1_11comp_targetILNS1_3genE4ELNS1_11target_archE910ELNS1_3gpuE8ELNS1_3repE0EEENS1_30default_config_static_selectorELNS0_4arch9wavefront6targetE1EEEvT1_, .Lfunc_end3442-_ZN7rocprim17ROCPRIM_400000_NS6detail17trampoline_kernelINS0_14default_configENS1_20scan_config_selectorIjEEZZNS1_9scan_implILNS1_25lookback_scan_determinismE0ELb0ELb0ES3_N6thrust23THRUST_200600_302600_NS6detail15normal_iteratorINS9_10device_ptrIjEEEENS9_16discard_iteratorINS9_11use_defaultEEEj11max_functorIjEjEEDaPvRmT3_T4_T5_mT6_P12ihipStream_tbENKUlT_T0_E_clISt17integral_constantIbLb1EESX_EEDaSS_ST_EUlSS_E_NS1_11comp_targetILNS1_3genE4ELNS1_11target_archE910ELNS1_3gpuE8ELNS1_3repE0EEENS1_30default_config_static_selectorELNS0_4arch9wavefront6targetE1EEEvT1_
                                        ; -- End function
	.section	.AMDGPU.csdata,"",@progbits
; Kernel info:
; codeLenInByte = 4080
; NumSgprs: 34
; NumVgprs: 39
; NumAgprs: 0
; TotalNumVgprs: 39
; ScratchSize: 0
; MemoryBound: 0
; FloatMode: 240
; IeeeMode: 1
; LDSByteSize: 5120 bytes/workgroup (compile time only)
; SGPRBlocks: 4
; VGPRBlocks: 4
; NumSGPRsForWavesPerEU: 34
; NumVGPRsForWavesPerEU: 39
; AccumOffset: 40
; Occupancy: 6
; WaveLimiterHint : 1
; COMPUTE_PGM_RSRC2:SCRATCH_EN: 0
; COMPUTE_PGM_RSRC2:USER_SGPR: 6
; COMPUTE_PGM_RSRC2:TRAP_HANDLER: 0
; COMPUTE_PGM_RSRC2:TGID_X_EN: 1
; COMPUTE_PGM_RSRC2:TGID_Y_EN: 0
; COMPUTE_PGM_RSRC2:TGID_Z_EN: 0
; COMPUTE_PGM_RSRC2:TIDIG_COMP_CNT: 0
; COMPUTE_PGM_RSRC3_GFX90A:ACCUM_OFFSET: 9
; COMPUTE_PGM_RSRC3_GFX90A:TG_SPLIT: 0
	.section	.text._ZN7rocprim17ROCPRIM_400000_NS6detail17trampoline_kernelINS0_14default_configENS1_20scan_config_selectorIjEEZZNS1_9scan_implILNS1_25lookback_scan_determinismE0ELb0ELb0ES3_N6thrust23THRUST_200600_302600_NS6detail15normal_iteratorINS9_10device_ptrIjEEEENS9_16discard_iteratorINS9_11use_defaultEEEj11max_functorIjEjEEDaPvRmT3_T4_T5_mT6_P12ihipStream_tbENKUlT_T0_E_clISt17integral_constantIbLb1EESX_EEDaSS_ST_EUlSS_E_NS1_11comp_targetILNS1_3genE3ELNS1_11target_archE908ELNS1_3gpuE7ELNS1_3repE0EEENS1_30default_config_static_selectorELNS0_4arch9wavefront6targetE1EEEvT1_,"axG",@progbits,_ZN7rocprim17ROCPRIM_400000_NS6detail17trampoline_kernelINS0_14default_configENS1_20scan_config_selectorIjEEZZNS1_9scan_implILNS1_25lookback_scan_determinismE0ELb0ELb0ES3_N6thrust23THRUST_200600_302600_NS6detail15normal_iteratorINS9_10device_ptrIjEEEENS9_16discard_iteratorINS9_11use_defaultEEEj11max_functorIjEjEEDaPvRmT3_T4_T5_mT6_P12ihipStream_tbENKUlT_T0_E_clISt17integral_constantIbLb1EESX_EEDaSS_ST_EUlSS_E_NS1_11comp_targetILNS1_3genE3ELNS1_11target_archE908ELNS1_3gpuE7ELNS1_3repE0EEENS1_30default_config_static_selectorELNS0_4arch9wavefront6targetE1EEEvT1_,comdat
	.protected	_ZN7rocprim17ROCPRIM_400000_NS6detail17trampoline_kernelINS0_14default_configENS1_20scan_config_selectorIjEEZZNS1_9scan_implILNS1_25lookback_scan_determinismE0ELb0ELb0ES3_N6thrust23THRUST_200600_302600_NS6detail15normal_iteratorINS9_10device_ptrIjEEEENS9_16discard_iteratorINS9_11use_defaultEEEj11max_functorIjEjEEDaPvRmT3_T4_T5_mT6_P12ihipStream_tbENKUlT_T0_E_clISt17integral_constantIbLb1EESX_EEDaSS_ST_EUlSS_E_NS1_11comp_targetILNS1_3genE3ELNS1_11target_archE908ELNS1_3gpuE7ELNS1_3repE0EEENS1_30default_config_static_selectorELNS0_4arch9wavefront6targetE1EEEvT1_ ; -- Begin function _ZN7rocprim17ROCPRIM_400000_NS6detail17trampoline_kernelINS0_14default_configENS1_20scan_config_selectorIjEEZZNS1_9scan_implILNS1_25lookback_scan_determinismE0ELb0ELb0ES3_N6thrust23THRUST_200600_302600_NS6detail15normal_iteratorINS9_10device_ptrIjEEEENS9_16discard_iteratorINS9_11use_defaultEEEj11max_functorIjEjEEDaPvRmT3_T4_T5_mT6_P12ihipStream_tbENKUlT_T0_E_clISt17integral_constantIbLb1EESX_EEDaSS_ST_EUlSS_E_NS1_11comp_targetILNS1_3genE3ELNS1_11target_archE908ELNS1_3gpuE7ELNS1_3repE0EEENS1_30default_config_static_selectorELNS0_4arch9wavefront6targetE1EEEvT1_
	.globl	_ZN7rocprim17ROCPRIM_400000_NS6detail17trampoline_kernelINS0_14default_configENS1_20scan_config_selectorIjEEZZNS1_9scan_implILNS1_25lookback_scan_determinismE0ELb0ELb0ES3_N6thrust23THRUST_200600_302600_NS6detail15normal_iteratorINS9_10device_ptrIjEEEENS9_16discard_iteratorINS9_11use_defaultEEEj11max_functorIjEjEEDaPvRmT3_T4_T5_mT6_P12ihipStream_tbENKUlT_T0_E_clISt17integral_constantIbLb1EESX_EEDaSS_ST_EUlSS_E_NS1_11comp_targetILNS1_3genE3ELNS1_11target_archE908ELNS1_3gpuE7ELNS1_3repE0EEENS1_30default_config_static_selectorELNS0_4arch9wavefront6targetE1EEEvT1_
	.p2align	8
	.type	_ZN7rocprim17ROCPRIM_400000_NS6detail17trampoline_kernelINS0_14default_configENS1_20scan_config_selectorIjEEZZNS1_9scan_implILNS1_25lookback_scan_determinismE0ELb0ELb0ES3_N6thrust23THRUST_200600_302600_NS6detail15normal_iteratorINS9_10device_ptrIjEEEENS9_16discard_iteratorINS9_11use_defaultEEEj11max_functorIjEjEEDaPvRmT3_T4_T5_mT6_P12ihipStream_tbENKUlT_T0_E_clISt17integral_constantIbLb1EESX_EEDaSS_ST_EUlSS_E_NS1_11comp_targetILNS1_3genE3ELNS1_11target_archE908ELNS1_3gpuE7ELNS1_3repE0EEENS1_30default_config_static_selectorELNS0_4arch9wavefront6targetE1EEEvT1_,@function
_ZN7rocprim17ROCPRIM_400000_NS6detail17trampoline_kernelINS0_14default_configENS1_20scan_config_selectorIjEEZZNS1_9scan_implILNS1_25lookback_scan_determinismE0ELb0ELb0ES3_N6thrust23THRUST_200600_302600_NS6detail15normal_iteratorINS9_10device_ptrIjEEEENS9_16discard_iteratorINS9_11use_defaultEEEj11max_functorIjEjEEDaPvRmT3_T4_T5_mT6_P12ihipStream_tbENKUlT_T0_E_clISt17integral_constantIbLb1EESX_EEDaSS_ST_EUlSS_E_NS1_11comp_targetILNS1_3genE3ELNS1_11target_archE908ELNS1_3gpuE7ELNS1_3repE0EEENS1_30default_config_static_selectorELNS0_4arch9wavefront6targetE1EEEvT1_: ; @_ZN7rocprim17ROCPRIM_400000_NS6detail17trampoline_kernelINS0_14default_configENS1_20scan_config_selectorIjEEZZNS1_9scan_implILNS1_25lookback_scan_determinismE0ELb0ELb0ES3_N6thrust23THRUST_200600_302600_NS6detail15normal_iteratorINS9_10device_ptrIjEEEENS9_16discard_iteratorINS9_11use_defaultEEEj11max_functorIjEjEEDaPvRmT3_T4_T5_mT6_P12ihipStream_tbENKUlT_T0_E_clISt17integral_constantIbLb1EESX_EEDaSS_ST_EUlSS_E_NS1_11comp_targetILNS1_3genE3ELNS1_11target_archE908ELNS1_3gpuE7ELNS1_3repE0EEENS1_30default_config_static_selectorELNS0_4arch9wavefront6targetE1EEEvT1_
; %bb.0:
	.section	.rodata,"a",@progbits
	.p2align	6, 0x0
	.amdhsa_kernel _ZN7rocprim17ROCPRIM_400000_NS6detail17trampoline_kernelINS0_14default_configENS1_20scan_config_selectorIjEEZZNS1_9scan_implILNS1_25lookback_scan_determinismE0ELb0ELb0ES3_N6thrust23THRUST_200600_302600_NS6detail15normal_iteratorINS9_10device_ptrIjEEEENS9_16discard_iteratorINS9_11use_defaultEEEj11max_functorIjEjEEDaPvRmT3_T4_T5_mT6_P12ihipStream_tbENKUlT_T0_E_clISt17integral_constantIbLb1EESX_EEDaSS_ST_EUlSS_E_NS1_11comp_targetILNS1_3genE3ELNS1_11target_archE908ELNS1_3gpuE7ELNS1_3repE0EEENS1_30default_config_static_selectorELNS0_4arch9wavefront6targetE1EEEvT1_
		.amdhsa_group_segment_fixed_size 0
		.amdhsa_private_segment_fixed_size 0
		.amdhsa_kernarg_size 104
		.amdhsa_user_sgpr_count 6
		.amdhsa_user_sgpr_private_segment_buffer 1
		.amdhsa_user_sgpr_dispatch_ptr 0
		.amdhsa_user_sgpr_queue_ptr 0
		.amdhsa_user_sgpr_kernarg_segment_ptr 1
		.amdhsa_user_sgpr_dispatch_id 0
		.amdhsa_user_sgpr_flat_scratch_init 0
		.amdhsa_user_sgpr_kernarg_preload_length 0
		.amdhsa_user_sgpr_kernarg_preload_offset 0
		.amdhsa_user_sgpr_private_segment_size 0
		.amdhsa_uses_dynamic_stack 0
		.amdhsa_system_sgpr_private_segment_wavefront_offset 0
		.amdhsa_system_sgpr_workgroup_id_x 1
		.amdhsa_system_sgpr_workgroup_id_y 0
		.amdhsa_system_sgpr_workgroup_id_z 0
		.amdhsa_system_sgpr_workgroup_info 0
		.amdhsa_system_vgpr_workitem_id 0
		.amdhsa_next_free_vgpr 1
		.amdhsa_next_free_sgpr 0
		.amdhsa_accum_offset 4
		.amdhsa_reserve_vcc 0
		.amdhsa_reserve_flat_scratch 0
		.amdhsa_float_round_mode_32 0
		.amdhsa_float_round_mode_16_64 0
		.amdhsa_float_denorm_mode_32 3
		.amdhsa_float_denorm_mode_16_64 3
		.amdhsa_dx10_clamp 1
		.amdhsa_ieee_mode 1
		.amdhsa_fp16_overflow 0
		.amdhsa_tg_split 0
		.amdhsa_exception_fp_ieee_invalid_op 0
		.amdhsa_exception_fp_denorm_src 0
		.amdhsa_exception_fp_ieee_div_zero 0
		.amdhsa_exception_fp_ieee_overflow 0
		.amdhsa_exception_fp_ieee_underflow 0
		.amdhsa_exception_fp_ieee_inexact 0
		.amdhsa_exception_int_div_zero 0
	.end_amdhsa_kernel
	.section	.text._ZN7rocprim17ROCPRIM_400000_NS6detail17trampoline_kernelINS0_14default_configENS1_20scan_config_selectorIjEEZZNS1_9scan_implILNS1_25lookback_scan_determinismE0ELb0ELb0ES3_N6thrust23THRUST_200600_302600_NS6detail15normal_iteratorINS9_10device_ptrIjEEEENS9_16discard_iteratorINS9_11use_defaultEEEj11max_functorIjEjEEDaPvRmT3_T4_T5_mT6_P12ihipStream_tbENKUlT_T0_E_clISt17integral_constantIbLb1EESX_EEDaSS_ST_EUlSS_E_NS1_11comp_targetILNS1_3genE3ELNS1_11target_archE908ELNS1_3gpuE7ELNS1_3repE0EEENS1_30default_config_static_selectorELNS0_4arch9wavefront6targetE1EEEvT1_,"axG",@progbits,_ZN7rocprim17ROCPRIM_400000_NS6detail17trampoline_kernelINS0_14default_configENS1_20scan_config_selectorIjEEZZNS1_9scan_implILNS1_25lookback_scan_determinismE0ELb0ELb0ES3_N6thrust23THRUST_200600_302600_NS6detail15normal_iteratorINS9_10device_ptrIjEEEENS9_16discard_iteratorINS9_11use_defaultEEEj11max_functorIjEjEEDaPvRmT3_T4_T5_mT6_P12ihipStream_tbENKUlT_T0_E_clISt17integral_constantIbLb1EESX_EEDaSS_ST_EUlSS_E_NS1_11comp_targetILNS1_3genE3ELNS1_11target_archE908ELNS1_3gpuE7ELNS1_3repE0EEENS1_30default_config_static_selectorELNS0_4arch9wavefront6targetE1EEEvT1_,comdat
.Lfunc_end3443:
	.size	_ZN7rocprim17ROCPRIM_400000_NS6detail17trampoline_kernelINS0_14default_configENS1_20scan_config_selectorIjEEZZNS1_9scan_implILNS1_25lookback_scan_determinismE0ELb0ELb0ES3_N6thrust23THRUST_200600_302600_NS6detail15normal_iteratorINS9_10device_ptrIjEEEENS9_16discard_iteratorINS9_11use_defaultEEEj11max_functorIjEjEEDaPvRmT3_T4_T5_mT6_P12ihipStream_tbENKUlT_T0_E_clISt17integral_constantIbLb1EESX_EEDaSS_ST_EUlSS_E_NS1_11comp_targetILNS1_3genE3ELNS1_11target_archE908ELNS1_3gpuE7ELNS1_3repE0EEENS1_30default_config_static_selectorELNS0_4arch9wavefront6targetE1EEEvT1_, .Lfunc_end3443-_ZN7rocprim17ROCPRIM_400000_NS6detail17trampoline_kernelINS0_14default_configENS1_20scan_config_selectorIjEEZZNS1_9scan_implILNS1_25lookback_scan_determinismE0ELb0ELb0ES3_N6thrust23THRUST_200600_302600_NS6detail15normal_iteratorINS9_10device_ptrIjEEEENS9_16discard_iteratorINS9_11use_defaultEEEj11max_functorIjEjEEDaPvRmT3_T4_T5_mT6_P12ihipStream_tbENKUlT_T0_E_clISt17integral_constantIbLb1EESX_EEDaSS_ST_EUlSS_E_NS1_11comp_targetILNS1_3genE3ELNS1_11target_archE908ELNS1_3gpuE7ELNS1_3repE0EEENS1_30default_config_static_selectorELNS0_4arch9wavefront6targetE1EEEvT1_
                                        ; -- End function
	.section	.AMDGPU.csdata,"",@progbits
; Kernel info:
; codeLenInByte = 0
; NumSgprs: 4
; NumVgprs: 0
; NumAgprs: 0
; TotalNumVgprs: 0
; ScratchSize: 0
; MemoryBound: 0
; FloatMode: 240
; IeeeMode: 1
; LDSByteSize: 0 bytes/workgroup (compile time only)
; SGPRBlocks: 0
; VGPRBlocks: 0
; NumSGPRsForWavesPerEU: 4
; NumVGPRsForWavesPerEU: 1
; AccumOffset: 4
; Occupancy: 8
; WaveLimiterHint : 0
; COMPUTE_PGM_RSRC2:SCRATCH_EN: 0
; COMPUTE_PGM_RSRC2:USER_SGPR: 6
; COMPUTE_PGM_RSRC2:TRAP_HANDLER: 0
; COMPUTE_PGM_RSRC2:TGID_X_EN: 1
; COMPUTE_PGM_RSRC2:TGID_Y_EN: 0
; COMPUTE_PGM_RSRC2:TGID_Z_EN: 0
; COMPUTE_PGM_RSRC2:TIDIG_COMP_CNT: 0
; COMPUTE_PGM_RSRC3_GFX90A:ACCUM_OFFSET: 0
; COMPUTE_PGM_RSRC3_GFX90A:TG_SPLIT: 0
	.section	.text._ZN7rocprim17ROCPRIM_400000_NS6detail17trampoline_kernelINS0_14default_configENS1_20scan_config_selectorIjEEZZNS1_9scan_implILNS1_25lookback_scan_determinismE0ELb0ELb0ES3_N6thrust23THRUST_200600_302600_NS6detail15normal_iteratorINS9_10device_ptrIjEEEENS9_16discard_iteratorINS9_11use_defaultEEEj11max_functorIjEjEEDaPvRmT3_T4_T5_mT6_P12ihipStream_tbENKUlT_T0_E_clISt17integral_constantIbLb1EESX_EEDaSS_ST_EUlSS_E_NS1_11comp_targetILNS1_3genE2ELNS1_11target_archE906ELNS1_3gpuE6ELNS1_3repE0EEENS1_30default_config_static_selectorELNS0_4arch9wavefront6targetE1EEEvT1_,"axG",@progbits,_ZN7rocprim17ROCPRIM_400000_NS6detail17trampoline_kernelINS0_14default_configENS1_20scan_config_selectorIjEEZZNS1_9scan_implILNS1_25lookback_scan_determinismE0ELb0ELb0ES3_N6thrust23THRUST_200600_302600_NS6detail15normal_iteratorINS9_10device_ptrIjEEEENS9_16discard_iteratorINS9_11use_defaultEEEj11max_functorIjEjEEDaPvRmT3_T4_T5_mT6_P12ihipStream_tbENKUlT_T0_E_clISt17integral_constantIbLb1EESX_EEDaSS_ST_EUlSS_E_NS1_11comp_targetILNS1_3genE2ELNS1_11target_archE906ELNS1_3gpuE6ELNS1_3repE0EEENS1_30default_config_static_selectorELNS0_4arch9wavefront6targetE1EEEvT1_,comdat
	.protected	_ZN7rocprim17ROCPRIM_400000_NS6detail17trampoline_kernelINS0_14default_configENS1_20scan_config_selectorIjEEZZNS1_9scan_implILNS1_25lookback_scan_determinismE0ELb0ELb0ES3_N6thrust23THRUST_200600_302600_NS6detail15normal_iteratorINS9_10device_ptrIjEEEENS9_16discard_iteratorINS9_11use_defaultEEEj11max_functorIjEjEEDaPvRmT3_T4_T5_mT6_P12ihipStream_tbENKUlT_T0_E_clISt17integral_constantIbLb1EESX_EEDaSS_ST_EUlSS_E_NS1_11comp_targetILNS1_3genE2ELNS1_11target_archE906ELNS1_3gpuE6ELNS1_3repE0EEENS1_30default_config_static_selectorELNS0_4arch9wavefront6targetE1EEEvT1_ ; -- Begin function _ZN7rocprim17ROCPRIM_400000_NS6detail17trampoline_kernelINS0_14default_configENS1_20scan_config_selectorIjEEZZNS1_9scan_implILNS1_25lookback_scan_determinismE0ELb0ELb0ES3_N6thrust23THRUST_200600_302600_NS6detail15normal_iteratorINS9_10device_ptrIjEEEENS9_16discard_iteratorINS9_11use_defaultEEEj11max_functorIjEjEEDaPvRmT3_T4_T5_mT6_P12ihipStream_tbENKUlT_T0_E_clISt17integral_constantIbLb1EESX_EEDaSS_ST_EUlSS_E_NS1_11comp_targetILNS1_3genE2ELNS1_11target_archE906ELNS1_3gpuE6ELNS1_3repE0EEENS1_30default_config_static_selectorELNS0_4arch9wavefront6targetE1EEEvT1_
	.globl	_ZN7rocprim17ROCPRIM_400000_NS6detail17trampoline_kernelINS0_14default_configENS1_20scan_config_selectorIjEEZZNS1_9scan_implILNS1_25lookback_scan_determinismE0ELb0ELb0ES3_N6thrust23THRUST_200600_302600_NS6detail15normal_iteratorINS9_10device_ptrIjEEEENS9_16discard_iteratorINS9_11use_defaultEEEj11max_functorIjEjEEDaPvRmT3_T4_T5_mT6_P12ihipStream_tbENKUlT_T0_E_clISt17integral_constantIbLb1EESX_EEDaSS_ST_EUlSS_E_NS1_11comp_targetILNS1_3genE2ELNS1_11target_archE906ELNS1_3gpuE6ELNS1_3repE0EEENS1_30default_config_static_selectorELNS0_4arch9wavefront6targetE1EEEvT1_
	.p2align	8
	.type	_ZN7rocprim17ROCPRIM_400000_NS6detail17trampoline_kernelINS0_14default_configENS1_20scan_config_selectorIjEEZZNS1_9scan_implILNS1_25lookback_scan_determinismE0ELb0ELb0ES3_N6thrust23THRUST_200600_302600_NS6detail15normal_iteratorINS9_10device_ptrIjEEEENS9_16discard_iteratorINS9_11use_defaultEEEj11max_functorIjEjEEDaPvRmT3_T4_T5_mT6_P12ihipStream_tbENKUlT_T0_E_clISt17integral_constantIbLb1EESX_EEDaSS_ST_EUlSS_E_NS1_11comp_targetILNS1_3genE2ELNS1_11target_archE906ELNS1_3gpuE6ELNS1_3repE0EEENS1_30default_config_static_selectorELNS0_4arch9wavefront6targetE1EEEvT1_,@function
_ZN7rocprim17ROCPRIM_400000_NS6detail17trampoline_kernelINS0_14default_configENS1_20scan_config_selectorIjEEZZNS1_9scan_implILNS1_25lookback_scan_determinismE0ELb0ELb0ES3_N6thrust23THRUST_200600_302600_NS6detail15normal_iteratorINS9_10device_ptrIjEEEENS9_16discard_iteratorINS9_11use_defaultEEEj11max_functorIjEjEEDaPvRmT3_T4_T5_mT6_P12ihipStream_tbENKUlT_T0_E_clISt17integral_constantIbLb1EESX_EEDaSS_ST_EUlSS_E_NS1_11comp_targetILNS1_3genE2ELNS1_11target_archE906ELNS1_3gpuE6ELNS1_3repE0EEENS1_30default_config_static_selectorELNS0_4arch9wavefront6targetE1EEEvT1_: ; @_ZN7rocprim17ROCPRIM_400000_NS6detail17trampoline_kernelINS0_14default_configENS1_20scan_config_selectorIjEEZZNS1_9scan_implILNS1_25lookback_scan_determinismE0ELb0ELb0ES3_N6thrust23THRUST_200600_302600_NS6detail15normal_iteratorINS9_10device_ptrIjEEEENS9_16discard_iteratorINS9_11use_defaultEEEj11max_functorIjEjEEDaPvRmT3_T4_T5_mT6_P12ihipStream_tbENKUlT_T0_E_clISt17integral_constantIbLb1EESX_EEDaSS_ST_EUlSS_E_NS1_11comp_targetILNS1_3genE2ELNS1_11target_archE906ELNS1_3gpuE6ELNS1_3repE0EEENS1_30default_config_static_selectorELNS0_4arch9wavefront6targetE1EEEvT1_
; %bb.0:
	.section	.rodata,"a",@progbits
	.p2align	6, 0x0
	.amdhsa_kernel _ZN7rocprim17ROCPRIM_400000_NS6detail17trampoline_kernelINS0_14default_configENS1_20scan_config_selectorIjEEZZNS1_9scan_implILNS1_25lookback_scan_determinismE0ELb0ELb0ES3_N6thrust23THRUST_200600_302600_NS6detail15normal_iteratorINS9_10device_ptrIjEEEENS9_16discard_iteratorINS9_11use_defaultEEEj11max_functorIjEjEEDaPvRmT3_T4_T5_mT6_P12ihipStream_tbENKUlT_T0_E_clISt17integral_constantIbLb1EESX_EEDaSS_ST_EUlSS_E_NS1_11comp_targetILNS1_3genE2ELNS1_11target_archE906ELNS1_3gpuE6ELNS1_3repE0EEENS1_30default_config_static_selectorELNS0_4arch9wavefront6targetE1EEEvT1_
		.amdhsa_group_segment_fixed_size 0
		.amdhsa_private_segment_fixed_size 0
		.amdhsa_kernarg_size 104
		.amdhsa_user_sgpr_count 6
		.amdhsa_user_sgpr_private_segment_buffer 1
		.amdhsa_user_sgpr_dispatch_ptr 0
		.amdhsa_user_sgpr_queue_ptr 0
		.amdhsa_user_sgpr_kernarg_segment_ptr 1
		.amdhsa_user_sgpr_dispatch_id 0
		.amdhsa_user_sgpr_flat_scratch_init 0
		.amdhsa_user_sgpr_kernarg_preload_length 0
		.amdhsa_user_sgpr_kernarg_preload_offset 0
		.amdhsa_user_sgpr_private_segment_size 0
		.amdhsa_uses_dynamic_stack 0
		.amdhsa_system_sgpr_private_segment_wavefront_offset 0
		.amdhsa_system_sgpr_workgroup_id_x 1
		.amdhsa_system_sgpr_workgroup_id_y 0
		.amdhsa_system_sgpr_workgroup_id_z 0
		.amdhsa_system_sgpr_workgroup_info 0
		.amdhsa_system_vgpr_workitem_id 0
		.amdhsa_next_free_vgpr 1
		.amdhsa_next_free_sgpr 0
		.amdhsa_accum_offset 4
		.amdhsa_reserve_vcc 0
		.amdhsa_reserve_flat_scratch 0
		.amdhsa_float_round_mode_32 0
		.amdhsa_float_round_mode_16_64 0
		.amdhsa_float_denorm_mode_32 3
		.amdhsa_float_denorm_mode_16_64 3
		.amdhsa_dx10_clamp 1
		.amdhsa_ieee_mode 1
		.amdhsa_fp16_overflow 0
		.amdhsa_tg_split 0
		.amdhsa_exception_fp_ieee_invalid_op 0
		.amdhsa_exception_fp_denorm_src 0
		.amdhsa_exception_fp_ieee_div_zero 0
		.amdhsa_exception_fp_ieee_overflow 0
		.amdhsa_exception_fp_ieee_underflow 0
		.amdhsa_exception_fp_ieee_inexact 0
		.amdhsa_exception_int_div_zero 0
	.end_amdhsa_kernel
	.section	.text._ZN7rocprim17ROCPRIM_400000_NS6detail17trampoline_kernelINS0_14default_configENS1_20scan_config_selectorIjEEZZNS1_9scan_implILNS1_25lookback_scan_determinismE0ELb0ELb0ES3_N6thrust23THRUST_200600_302600_NS6detail15normal_iteratorINS9_10device_ptrIjEEEENS9_16discard_iteratorINS9_11use_defaultEEEj11max_functorIjEjEEDaPvRmT3_T4_T5_mT6_P12ihipStream_tbENKUlT_T0_E_clISt17integral_constantIbLb1EESX_EEDaSS_ST_EUlSS_E_NS1_11comp_targetILNS1_3genE2ELNS1_11target_archE906ELNS1_3gpuE6ELNS1_3repE0EEENS1_30default_config_static_selectorELNS0_4arch9wavefront6targetE1EEEvT1_,"axG",@progbits,_ZN7rocprim17ROCPRIM_400000_NS6detail17trampoline_kernelINS0_14default_configENS1_20scan_config_selectorIjEEZZNS1_9scan_implILNS1_25lookback_scan_determinismE0ELb0ELb0ES3_N6thrust23THRUST_200600_302600_NS6detail15normal_iteratorINS9_10device_ptrIjEEEENS9_16discard_iteratorINS9_11use_defaultEEEj11max_functorIjEjEEDaPvRmT3_T4_T5_mT6_P12ihipStream_tbENKUlT_T0_E_clISt17integral_constantIbLb1EESX_EEDaSS_ST_EUlSS_E_NS1_11comp_targetILNS1_3genE2ELNS1_11target_archE906ELNS1_3gpuE6ELNS1_3repE0EEENS1_30default_config_static_selectorELNS0_4arch9wavefront6targetE1EEEvT1_,comdat
.Lfunc_end3444:
	.size	_ZN7rocprim17ROCPRIM_400000_NS6detail17trampoline_kernelINS0_14default_configENS1_20scan_config_selectorIjEEZZNS1_9scan_implILNS1_25lookback_scan_determinismE0ELb0ELb0ES3_N6thrust23THRUST_200600_302600_NS6detail15normal_iteratorINS9_10device_ptrIjEEEENS9_16discard_iteratorINS9_11use_defaultEEEj11max_functorIjEjEEDaPvRmT3_T4_T5_mT6_P12ihipStream_tbENKUlT_T0_E_clISt17integral_constantIbLb1EESX_EEDaSS_ST_EUlSS_E_NS1_11comp_targetILNS1_3genE2ELNS1_11target_archE906ELNS1_3gpuE6ELNS1_3repE0EEENS1_30default_config_static_selectorELNS0_4arch9wavefront6targetE1EEEvT1_, .Lfunc_end3444-_ZN7rocprim17ROCPRIM_400000_NS6detail17trampoline_kernelINS0_14default_configENS1_20scan_config_selectorIjEEZZNS1_9scan_implILNS1_25lookback_scan_determinismE0ELb0ELb0ES3_N6thrust23THRUST_200600_302600_NS6detail15normal_iteratorINS9_10device_ptrIjEEEENS9_16discard_iteratorINS9_11use_defaultEEEj11max_functorIjEjEEDaPvRmT3_T4_T5_mT6_P12ihipStream_tbENKUlT_T0_E_clISt17integral_constantIbLb1EESX_EEDaSS_ST_EUlSS_E_NS1_11comp_targetILNS1_3genE2ELNS1_11target_archE906ELNS1_3gpuE6ELNS1_3repE0EEENS1_30default_config_static_selectorELNS0_4arch9wavefront6targetE1EEEvT1_
                                        ; -- End function
	.section	.AMDGPU.csdata,"",@progbits
; Kernel info:
; codeLenInByte = 0
; NumSgprs: 4
; NumVgprs: 0
; NumAgprs: 0
; TotalNumVgprs: 0
; ScratchSize: 0
; MemoryBound: 0
; FloatMode: 240
; IeeeMode: 1
; LDSByteSize: 0 bytes/workgroup (compile time only)
; SGPRBlocks: 0
; VGPRBlocks: 0
; NumSGPRsForWavesPerEU: 4
; NumVGPRsForWavesPerEU: 1
; AccumOffset: 4
; Occupancy: 8
; WaveLimiterHint : 0
; COMPUTE_PGM_RSRC2:SCRATCH_EN: 0
; COMPUTE_PGM_RSRC2:USER_SGPR: 6
; COMPUTE_PGM_RSRC2:TRAP_HANDLER: 0
; COMPUTE_PGM_RSRC2:TGID_X_EN: 1
; COMPUTE_PGM_RSRC2:TGID_Y_EN: 0
; COMPUTE_PGM_RSRC2:TGID_Z_EN: 0
; COMPUTE_PGM_RSRC2:TIDIG_COMP_CNT: 0
; COMPUTE_PGM_RSRC3_GFX90A:ACCUM_OFFSET: 0
; COMPUTE_PGM_RSRC3_GFX90A:TG_SPLIT: 0
	.section	.text._ZN7rocprim17ROCPRIM_400000_NS6detail17trampoline_kernelINS0_14default_configENS1_20scan_config_selectorIjEEZZNS1_9scan_implILNS1_25lookback_scan_determinismE0ELb0ELb0ES3_N6thrust23THRUST_200600_302600_NS6detail15normal_iteratorINS9_10device_ptrIjEEEENS9_16discard_iteratorINS9_11use_defaultEEEj11max_functorIjEjEEDaPvRmT3_T4_T5_mT6_P12ihipStream_tbENKUlT_T0_E_clISt17integral_constantIbLb1EESX_EEDaSS_ST_EUlSS_E_NS1_11comp_targetILNS1_3genE10ELNS1_11target_archE1201ELNS1_3gpuE5ELNS1_3repE0EEENS1_30default_config_static_selectorELNS0_4arch9wavefront6targetE1EEEvT1_,"axG",@progbits,_ZN7rocprim17ROCPRIM_400000_NS6detail17trampoline_kernelINS0_14default_configENS1_20scan_config_selectorIjEEZZNS1_9scan_implILNS1_25lookback_scan_determinismE0ELb0ELb0ES3_N6thrust23THRUST_200600_302600_NS6detail15normal_iteratorINS9_10device_ptrIjEEEENS9_16discard_iteratorINS9_11use_defaultEEEj11max_functorIjEjEEDaPvRmT3_T4_T5_mT6_P12ihipStream_tbENKUlT_T0_E_clISt17integral_constantIbLb1EESX_EEDaSS_ST_EUlSS_E_NS1_11comp_targetILNS1_3genE10ELNS1_11target_archE1201ELNS1_3gpuE5ELNS1_3repE0EEENS1_30default_config_static_selectorELNS0_4arch9wavefront6targetE1EEEvT1_,comdat
	.protected	_ZN7rocprim17ROCPRIM_400000_NS6detail17trampoline_kernelINS0_14default_configENS1_20scan_config_selectorIjEEZZNS1_9scan_implILNS1_25lookback_scan_determinismE0ELb0ELb0ES3_N6thrust23THRUST_200600_302600_NS6detail15normal_iteratorINS9_10device_ptrIjEEEENS9_16discard_iteratorINS9_11use_defaultEEEj11max_functorIjEjEEDaPvRmT3_T4_T5_mT6_P12ihipStream_tbENKUlT_T0_E_clISt17integral_constantIbLb1EESX_EEDaSS_ST_EUlSS_E_NS1_11comp_targetILNS1_3genE10ELNS1_11target_archE1201ELNS1_3gpuE5ELNS1_3repE0EEENS1_30default_config_static_selectorELNS0_4arch9wavefront6targetE1EEEvT1_ ; -- Begin function _ZN7rocprim17ROCPRIM_400000_NS6detail17trampoline_kernelINS0_14default_configENS1_20scan_config_selectorIjEEZZNS1_9scan_implILNS1_25lookback_scan_determinismE0ELb0ELb0ES3_N6thrust23THRUST_200600_302600_NS6detail15normal_iteratorINS9_10device_ptrIjEEEENS9_16discard_iteratorINS9_11use_defaultEEEj11max_functorIjEjEEDaPvRmT3_T4_T5_mT6_P12ihipStream_tbENKUlT_T0_E_clISt17integral_constantIbLb1EESX_EEDaSS_ST_EUlSS_E_NS1_11comp_targetILNS1_3genE10ELNS1_11target_archE1201ELNS1_3gpuE5ELNS1_3repE0EEENS1_30default_config_static_selectorELNS0_4arch9wavefront6targetE1EEEvT1_
	.globl	_ZN7rocprim17ROCPRIM_400000_NS6detail17trampoline_kernelINS0_14default_configENS1_20scan_config_selectorIjEEZZNS1_9scan_implILNS1_25lookback_scan_determinismE0ELb0ELb0ES3_N6thrust23THRUST_200600_302600_NS6detail15normal_iteratorINS9_10device_ptrIjEEEENS9_16discard_iteratorINS9_11use_defaultEEEj11max_functorIjEjEEDaPvRmT3_T4_T5_mT6_P12ihipStream_tbENKUlT_T0_E_clISt17integral_constantIbLb1EESX_EEDaSS_ST_EUlSS_E_NS1_11comp_targetILNS1_3genE10ELNS1_11target_archE1201ELNS1_3gpuE5ELNS1_3repE0EEENS1_30default_config_static_selectorELNS0_4arch9wavefront6targetE1EEEvT1_
	.p2align	8
	.type	_ZN7rocprim17ROCPRIM_400000_NS6detail17trampoline_kernelINS0_14default_configENS1_20scan_config_selectorIjEEZZNS1_9scan_implILNS1_25lookback_scan_determinismE0ELb0ELb0ES3_N6thrust23THRUST_200600_302600_NS6detail15normal_iteratorINS9_10device_ptrIjEEEENS9_16discard_iteratorINS9_11use_defaultEEEj11max_functorIjEjEEDaPvRmT3_T4_T5_mT6_P12ihipStream_tbENKUlT_T0_E_clISt17integral_constantIbLb1EESX_EEDaSS_ST_EUlSS_E_NS1_11comp_targetILNS1_3genE10ELNS1_11target_archE1201ELNS1_3gpuE5ELNS1_3repE0EEENS1_30default_config_static_selectorELNS0_4arch9wavefront6targetE1EEEvT1_,@function
_ZN7rocprim17ROCPRIM_400000_NS6detail17trampoline_kernelINS0_14default_configENS1_20scan_config_selectorIjEEZZNS1_9scan_implILNS1_25lookback_scan_determinismE0ELb0ELb0ES3_N6thrust23THRUST_200600_302600_NS6detail15normal_iteratorINS9_10device_ptrIjEEEENS9_16discard_iteratorINS9_11use_defaultEEEj11max_functorIjEjEEDaPvRmT3_T4_T5_mT6_P12ihipStream_tbENKUlT_T0_E_clISt17integral_constantIbLb1EESX_EEDaSS_ST_EUlSS_E_NS1_11comp_targetILNS1_3genE10ELNS1_11target_archE1201ELNS1_3gpuE5ELNS1_3repE0EEENS1_30default_config_static_selectorELNS0_4arch9wavefront6targetE1EEEvT1_: ; @_ZN7rocprim17ROCPRIM_400000_NS6detail17trampoline_kernelINS0_14default_configENS1_20scan_config_selectorIjEEZZNS1_9scan_implILNS1_25lookback_scan_determinismE0ELb0ELb0ES3_N6thrust23THRUST_200600_302600_NS6detail15normal_iteratorINS9_10device_ptrIjEEEENS9_16discard_iteratorINS9_11use_defaultEEEj11max_functorIjEjEEDaPvRmT3_T4_T5_mT6_P12ihipStream_tbENKUlT_T0_E_clISt17integral_constantIbLb1EESX_EEDaSS_ST_EUlSS_E_NS1_11comp_targetILNS1_3genE10ELNS1_11target_archE1201ELNS1_3gpuE5ELNS1_3repE0EEENS1_30default_config_static_selectorELNS0_4arch9wavefront6targetE1EEEvT1_
; %bb.0:
	.section	.rodata,"a",@progbits
	.p2align	6, 0x0
	.amdhsa_kernel _ZN7rocprim17ROCPRIM_400000_NS6detail17trampoline_kernelINS0_14default_configENS1_20scan_config_selectorIjEEZZNS1_9scan_implILNS1_25lookback_scan_determinismE0ELb0ELb0ES3_N6thrust23THRUST_200600_302600_NS6detail15normal_iteratorINS9_10device_ptrIjEEEENS9_16discard_iteratorINS9_11use_defaultEEEj11max_functorIjEjEEDaPvRmT3_T4_T5_mT6_P12ihipStream_tbENKUlT_T0_E_clISt17integral_constantIbLb1EESX_EEDaSS_ST_EUlSS_E_NS1_11comp_targetILNS1_3genE10ELNS1_11target_archE1201ELNS1_3gpuE5ELNS1_3repE0EEENS1_30default_config_static_selectorELNS0_4arch9wavefront6targetE1EEEvT1_
		.amdhsa_group_segment_fixed_size 0
		.amdhsa_private_segment_fixed_size 0
		.amdhsa_kernarg_size 104
		.amdhsa_user_sgpr_count 6
		.amdhsa_user_sgpr_private_segment_buffer 1
		.amdhsa_user_sgpr_dispatch_ptr 0
		.amdhsa_user_sgpr_queue_ptr 0
		.amdhsa_user_sgpr_kernarg_segment_ptr 1
		.amdhsa_user_sgpr_dispatch_id 0
		.amdhsa_user_sgpr_flat_scratch_init 0
		.amdhsa_user_sgpr_kernarg_preload_length 0
		.amdhsa_user_sgpr_kernarg_preload_offset 0
		.amdhsa_user_sgpr_private_segment_size 0
		.amdhsa_uses_dynamic_stack 0
		.amdhsa_system_sgpr_private_segment_wavefront_offset 0
		.amdhsa_system_sgpr_workgroup_id_x 1
		.amdhsa_system_sgpr_workgroup_id_y 0
		.amdhsa_system_sgpr_workgroup_id_z 0
		.amdhsa_system_sgpr_workgroup_info 0
		.amdhsa_system_vgpr_workitem_id 0
		.amdhsa_next_free_vgpr 1
		.amdhsa_next_free_sgpr 0
		.amdhsa_accum_offset 4
		.amdhsa_reserve_vcc 0
		.amdhsa_reserve_flat_scratch 0
		.amdhsa_float_round_mode_32 0
		.amdhsa_float_round_mode_16_64 0
		.amdhsa_float_denorm_mode_32 3
		.amdhsa_float_denorm_mode_16_64 3
		.amdhsa_dx10_clamp 1
		.amdhsa_ieee_mode 1
		.amdhsa_fp16_overflow 0
		.amdhsa_tg_split 0
		.amdhsa_exception_fp_ieee_invalid_op 0
		.amdhsa_exception_fp_denorm_src 0
		.amdhsa_exception_fp_ieee_div_zero 0
		.amdhsa_exception_fp_ieee_overflow 0
		.amdhsa_exception_fp_ieee_underflow 0
		.amdhsa_exception_fp_ieee_inexact 0
		.amdhsa_exception_int_div_zero 0
	.end_amdhsa_kernel
	.section	.text._ZN7rocprim17ROCPRIM_400000_NS6detail17trampoline_kernelINS0_14default_configENS1_20scan_config_selectorIjEEZZNS1_9scan_implILNS1_25lookback_scan_determinismE0ELb0ELb0ES3_N6thrust23THRUST_200600_302600_NS6detail15normal_iteratorINS9_10device_ptrIjEEEENS9_16discard_iteratorINS9_11use_defaultEEEj11max_functorIjEjEEDaPvRmT3_T4_T5_mT6_P12ihipStream_tbENKUlT_T0_E_clISt17integral_constantIbLb1EESX_EEDaSS_ST_EUlSS_E_NS1_11comp_targetILNS1_3genE10ELNS1_11target_archE1201ELNS1_3gpuE5ELNS1_3repE0EEENS1_30default_config_static_selectorELNS0_4arch9wavefront6targetE1EEEvT1_,"axG",@progbits,_ZN7rocprim17ROCPRIM_400000_NS6detail17trampoline_kernelINS0_14default_configENS1_20scan_config_selectorIjEEZZNS1_9scan_implILNS1_25lookback_scan_determinismE0ELb0ELb0ES3_N6thrust23THRUST_200600_302600_NS6detail15normal_iteratorINS9_10device_ptrIjEEEENS9_16discard_iteratorINS9_11use_defaultEEEj11max_functorIjEjEEDaPvRmT3_T4_T5_mT6_P12ihipStream_tbENKUlT_T0_E_clISt17integral_constantIbLb1EESX_EEDaSS_ST_EUlSS_E_NS1_11comp_targetILNS1_3genE10ELNS1_11target_archE1201ELNS1_3gpuE5ELNS1_3repE0EEENS1_30default_config_static_selectorELNS0_4arch9wavefront6targetE1EEEvT1_,comdat
.Lfunc_end3445:
	.size	_ZN7rocprim17ROCPRIM_400000_NS6detail17trampoline_kernelINS0_14default_configENS1_20scan_config_selectorIjEEZZNS1_9scan_implILNS1_25lookback_scan_determinismE0ELb0ELb0ES3_N6thrust23THRUST_200600_302600_NS6detail15normal_iteratorINS9_10device_ptrIjEEEENS9_16discard_iteratorINS9_11use_defaultEEEj11max_functorIjEjEEDaPvRmT3_T4_T5_mT6_P12ihipStream_tbENKUlT_T0_E_clISt17integral_constantIbLb1EESX_EEDaSS_ST_EUlSS_E_NS1_11comp_targetILNS1_3genE10ELNS1_11target_archE1201ELNS1_3gpuE5ELNS1_3repE0EEENS1_30default_config_static_selectorELNS0_4arch9wavefront6targetE1EEEvT1_, .Lfunc_end3445-_ZN7rocprim17ROCPRIM_400000_NS6detail17trampoline_kernelINS0_14default_configENS1_20scan_config_selectorIjEEZZNS1_9scan_implILNS1_25lookback_scan_determinismE0ELb0ELb0ES3_N6thrust23THRUST_200600_302600_NS6detail15normal_iteratorINS9_10device_ptrIjEEEENS9_16discard_iteratorINS9_11use_defaultEEEj11max_functorIjEjEEDaPvRmT3_T4_T5_mT6_P12ihipStream_tbENKUlT_T0_E_clISt17integral_constantIbLb1EESX_EEDaSS_ST_EUlSS_E_NS1_11comp_targetILNS1_3genE10ELNS1_11target_archE1201ELNS1_3gpuE5ELNS1_3repE0EEENS1_30default_config_static_selectorELNS0_4arch9wavefront6targetE1EEEvT1_
                                        ; -- End function
	.section	.AMDGPU.csdata,"",@progbits
; Kernel info:
; codeLenInByte = 0
; NumSgprs: 4
; NumVgprs: 0
; NumAgprs: 0
; TotalNumVgprs: 0
; ScratchSize: 0
; MemoryBound: 0
; FloatMode: 240
; IeeeMode: 1
; LDSByteSize: 0 bytes/workgroup (compile time only)
; SGPRBlocks: 0
; VGPRBlocks: 0
; NumSGPRsForWavesPerEU: 4
; NumVGPRsForWavesPerEU: 1
; AccumOffset: 4
; Occupancy: 8
; WaveLimiterHint : 0
; COMPUTE_PGM_RSRC2:SCRATCH_EN: 0
; COMPUTE_PGM_RSRC2:USER_SGPR: 6
; COMPUTE_PGM_RSRC2:TRAP_HANDLER: 0
; COMPUTE_PGM_RSRC2:TGID_X_EN: 1
; COMPUTE_PGM_RSRC2:TGID_Y_EN: 0
; COMPUTE_PGM_RSRC2:TGID_Z_EN: 0
; COMPUTE_PGM_RSRC2:TIDIG_COMP_CNT: 0
; COMPUTE_PGM_RSRC3_GFX90A:ACCUM_OFFSET: 0
; COMPUTE_PGM_RSRC3_GFX90A:TG_SPLIT: 0
	.section	.text._ZN7rocprim17ROCPRIM_400000_NS6detail17trampoline_kernelINS0_14default_configENS1_20scan_config_selectorIjEEZZNS1_9scan_implILNS1_25lookback_scan_determinismE0ELb0ELb0ES3_N6thrust23THRUST_200600_302600_NS6detail15normal_iteratorINS9_10device_ptrIjEEEENS9_16discard_iteratorINS9_11use_defaultEEEj11max_functorIjEjEEDaPvRmT3_T4_T5_mT6_P12ihipStream_tbENKUlT_T0_E_clISt17integral_constantIbLb1EESX_EEDaSS_ST_EUlSS_E_NS1_11comp_targetILNS1_3genE10ELNS1_11target_archE1200ELNS1_3gpuE4ELNS1_3repE0EEENS1_30default_config_static_selectorELNS0_4arch9wavefront6targetE1EEEvT1_,"axG",@progbits,_ZN7rocprim17ROCPRIM_400000_NS6detail17trampoline_kernelINS0_14default_configENS1_20scan_config_selectorIjEEZZNS1_9scan_implILNS1_25lookback_scan_determinismE0ELb0ELb0ES3_N6thrust23THRUST_200600_302600_NS6detail15normal_iteratorINS9_10device_ptrIjEEEENS9_16discard_iteratorINS9_11use_defaultEEEj11max_functorIjEjEEDaPvRmT3_T4_T5_mT6_P12ihipStream_tbENKUlT_T0_E_clISt17integral_constantIbLb1EESX_EEDaSS_ST_EUlSS_E_NS1_11comp_targetILNS1_3genE10ELNS1_11target_archE1200ELNS1_3gpuE4ELNS1_3repE0EEENS1_30default_config_static_selectorELNS0_4arch9wavefront6targetE1EEEvT1_,comdat
	.protected	_ZN7rocprim17ROCPRIM_400000_NS6detail17trampoline_kernelINS0_14default_configENS1_20scan_config_selectorIjEEZZNS1_9scan_implILNS1_25lookback_scan_determinismE0ELb0ELb0ES3_N6thrust23THRUST_200600_302600_NS6detail15normal_iteratorINS9_10device_ptrIjEEEENS9_16discard_iteratorINS9_11use_defaultEEEj11max_functorIjEjEEDaPvRmT3_T4_T5_mT6_P12ihipStream_tbENKUlT_T0_E_clISt17integral_constantIbLb1EESX_EEDaSS_ST_EUlSS_E_NS1_11comp_targetILNS1_3genE10ELNS1_11target_archE1200ELNS1_3gpuE4ELNS1_3repE0EEENS1_30default_config_static_selectorELNS0_4arch9wavefront6targetE1EEEvT1_ ; -- Begin function _ZN7rocprim17ROCPRIM_400000_NS6detail17trampoline_kernelINS0_14default_configENS1_20scan_config_selectorIjEEZZNS1_9scan_implILNS1_25lookback_scan_determinismE0ELb0ELb0ES3_N6thrust23THRUST_200600_302600_NS6detail15normal_iteratorINS9_10device_ptrIjEEEENS9_16discard_iteratorINS9_11use_defaultEEEj11max_functorIjEjEEDaPvRmT3_T4_T5_mT6_P12ihipStream_tbENKUlT_T0_E_clISt17integral_constantIbLb1EESX_EEDaSS_ST_EUlSS_E_NS1_11comp_targetILNS1_3genE10ELNS1_11target_archE1200ELNS1_3gpuE4ELNS1_3repE0EEENS1_30default_config_static_selectorELNS0_4arch9wavefront6targetE1EEEvT1_
	.globl	_ZN7rocprim17ROCPRIM_400000_NS6detail17trampoline_kernelINS0_14default_configENS1_20scan_config_selectorIjEEZZNS1_9scan_implILNS1_25lookback_scan_determinismE0ELb0ELb0ES3_N6thrust23THRUST_200600_302600_NS6detail15normal_iteratorINS9_10device_ptrIjEEEENS9_16discard_iteratorINS9_11use_defaultEEEj11max_functorIjEjEEDaPvRmT3_T4_T5_mT6_P12ihipStream_tbENKUlT_T0_E_clISt17integral_constantIbLb1EESX_EEDaSS_ST_EUlSS_E_NS1_11comp_targetILNS1_3genE10ELNS1_11target_archE1200ELNS1_3gpuE4ELNS1_3repE0EEENS1_30default_config_static_selectorELNS0_4arch9wavefront6targetE1EEEvT1_
	.p2align	8
	.type	_ZN7rocprim17ROCPRIM_400000_NS6detail17trampoline_kernelINS0_14default_configENS1_20scan_config_selectorIjEEZZNS1_9scan_implILNS1_25lookback_scan_determinismE0ELb0ELb0ES3_N6thrust23THRUST_200600_302600_NS6detail15normal_iteratorINS9_10device_ptrIjEEEENS9_16discard_iteratorINS9_11use_defaultEEEj11max_functorIjEjEEDaPvRmT3_T4_T5_mT6_P12ihipStream_tbENKUlT_T0_E_clISt17integral_constantIbLb1EESX_EEDaSS_ST_EUlSS_E_NS1_11comp_targetILNS1_3genE10ELNS1_11target_archE1200ELNS1_3gpuE4ELNS1_3repE0EEENS1_30default_config_static_selectorELNS0_4arch9wavefront6targetE1EEEvT1_,@function
_ZN7rocprim17ROCPRIM_400000_NS6detail17trampoline_kernelINS0_14default_configENS1_20scan_config_selectorIjEEZZNS1_9scan_implILNS1_25lookback_scan_determinismE0ELb0ELb0ES3_N6thrust23THRUST_200600_302600_NS6detail15normal_iteratorINS9_10device_ptrIjEEEENS9_16discard_iteratorINS9_11use_defaultEEEj11max_functorIjEjEEDaPvRmT3_T4_T5_mT6_P12ihipStream_tbENKUlT_T0_E_clISt17integral_constantIbLb1EESX_EEDaSS_ST_EUlSS_E_NS1_11comp_targetILNS1_3genE10ELNS1_11target_archE1200ELNS1_3gpuE4ELNS1_3repE0EEENS1_30default_config_static_selectorELNS0_4arch9wavefront6targetE1EEEvT1_: ; @_ZN7rocprim17ROCPRIM_400000_NS6detail17trampoline_kernelINS0_14default_configENS1_20scan_config_selectorIjEEZZNS1_9scan_implILNS1_25lookback_scan_determinismE0ELb0ELb0ES3_N6thrust23THRUST_200600_302600_NS6detail15normal_iteratorINS9_10device_ptrIjEEEENS9_16discard_iteratorINS9_11use_defaultEEEj11max_functorIjEjEEDaPvRmT3_T4_T5_mT6_P12ihipStream_tbENKUlT_T0_E_clISt17integral_constantIbLb1EESX_EEDaSS_ST_EUlSS_E_NS1_11comp_targetILNS1_3genE10ELNS1_11target_archE1200ELNS1_3gpuE4ELNS1_3repE0EEENS1_30default_config_static_selectorELNS0_4arch9wavefront6targetE1EEEvT1_
; %bb.0:
	.section	.rodata,"a",@progbits
	.p2align	6, 0x0
	.amdhsa_kernel _ZN7rocprim17ROCPRIM_400000_NS6detail17trampoline_kernelINS0_14default_configENS1_20scan_config_selectorIjEEZZNS1_9scan_implILNS1_25lookback_scan_determinismE0ELb0ELb0ES3_N6thrust23THRUST_200600_302600_NS6detail15normal_iteratorINS9_10device_ptrIjEEEENS9_16discard_iteratorINS9_11use_defaultEEEj11max_functorIjEjEEDaPvRmT3_T4_T5_mT6_P12ihipStream_tbENKUlT_T0_E_clISt17integral_constantIbLb1EESX_EEDaSS_ST_EUlSS_E_NS1_11comp_targetILNS1_3genE10ELNS1_11target_archE1200ELNS1_3gpuE4ELNS1_3repE0EEENS1_30default_config_static_selectorELNS0_4arch9wavefront6targetE1EEEvT1_
		.amdhsa_group_segment_fixed_size 0
		.amdhsa_private_segment_fixed_size 0
		.amdhsa_kernarg_size 104
		.amdhsa_user_sgpr_count 6
		.amdhsa_user_sgpr_private_segment_buffer 1
		.amdhsa_user_sgpr_dispatch_ptr 0
		.amdhsa_user_sgpr_queue_ptr 0
		.amdhsa_user_sgpr_kernarg_segment_ptr 1
		.amdhsa_user_sgpr_dispatch_id 0
		.amdhsa_user_sgpr_flat_scratch_init 0
		.amdhsa_user_sgpr_kernarg_preload_length 0
		.amdhsa_user_sgpr_kernarg_preload_offset 0
		.amdhsa_user_sgpr_private_segment_size 0
		.amdhsa_uses_dynamic_stack 0
		.amdhsa_system_sgpr_private_segment_wavefront_offset 0
		.amdhsa_system_sgpr_workgroup_id_x 1
		.amdhsa_system_sgpr_workgroup_id_y 0
		.amdhsa_system_sgpr_workgroup_id_z 0
		.amdhsa_system_sgpr_workgroup_info 0
		.amdhsa_system_vgpr_workitem_id 0
		.amdhsa_next_free_vgpr 1
		.amdhsa_next_free_sgpr 0
		.amdhsa_accum_offset 4
		.amdhsa_reserve_vcc 0
		.amdhsa_reserve_flat_scratch 0
		.amdhsa_float_round_mode_32 0
		.amdhsa_float_round_mode_16_64 0
		.amdhsa_float_denorm_mode_32 3
		.amdhsa_float_denorm_mode_16_64 3
		.amdhsa_dx10_clamp 1
		.amdhsa_ieee_mode 1
		.amdhsa_fp16_overflow 0
		.amdhsa_tg_split 0
		.amdhsa_exception_fp_ieee_invalid_op 0
		.amdhsa_exception_fp_denorm_src 0
		.amdhsa_exception_fp_ieee_div_zero 0
		.amdhsa_exception_fp_ieee_overflow 0
		.amdhsa_exception_fp_ieee_underflow 0
		.amdhsa_exception_fp_ieee_inexact 0
		.amdhsa_exception_int_div_zero 0
	.end_amdhsa_kernel
	.section	.text._ZN7rocprim17ROCPRIM_400000_NS6detail17trampoline_kernelINS0_14default_configENS1_20scan_config_selectorIjEEZZNS1_9scan_implILNS1_25lookback_scan_determinismE0ELb0ELb0ES3_N6thrust23THRUST_200600_302600_NS6detail15normal_iteratorINS9_10device_ptrIjEEEENS9_16discard_iteratorINS9_11use_defaultEEEj11max_functorIjEjEEDaPvRmT3_T4_T5_mT6_P12ihipStream_tbENKUlT_T0_E_clISt17integral_constantIbLb1EESX_EEDaSS_ST_EUlSS_E_NS1_11comp_targetILNS1_3genE10ELNS1_11target_archE1200ELNS1_3gpuE4ELNS1_3repE0EEENS1_30default_config_static_selectorELNS0_4arch9wavefront6targetE1EEEvT1_,"axG",@progbits,_ZN7rocprim17ROCPRIM_400000_NS6detail17trampoline_kernelINS0_14default_configENS1_20scan_config_selectorIjEEZZNS1_9scan_implILNS1_25lookback_scan_determinismE0ELb0ELb0ES3_N6thrust23THRUST_200600_302600_NS6detail15normal_iteratorINS9_10device_ptrIjEEEENS9_16discard_iteratorINS9_11use_defaultEEEj11max_functorIjEjEEDaPvRmT3_T4_T5_mT6_P12ihipStream_tbENKUlT_T0_E_clISt17integral_constantIbLb1EESX_EEDaSS_ST_EUlSS_E_NS1_11comp_targetILNS1_3genE10ELNS1_11target_archE1200ELNS1_3gpuE4ELNS1_3repE0EEENS1_30default_config_static_selectorELNS0_4arch9wavefront6targetE1EEEvT1_,comdat
.Lfunc_end3446:
	.size	_ZN7rocprim17ROCPRIM_400000_NS6detail17trampoline_kernelINS0_14default_configENS1_20scan_config_selectorIjEEZZNS1_9scan_implILNS1_25lookback_scan_determinismE0ELb0ELb0ES3_N6thrust23THRUST_200600_302600_NS6detail15normal_iteratorINS9_10device_ptrIjEEEENS9_16discard_iteratorINS9_11use_defaultEEEj11max_functorIjEjEEDaPvRmT3_T4_T5_mT6_P12ihipStream_tbENKUlT_T0_E_clISt17integral_constantIbLb1EESX_EEDaSS_ST_EUlSS_E_NS1_11comp_targetILNS1_3genE10ELNS1_11target_archE1200ELNS1_3gpuE4ELNS1_3repE0EEENS1_30default_config_static_selectorELNS0_4arch9wavefront6targetE1EEEvT1_, .Lfunc_end3446-_ZN7rocprim17ROCPRIM_400000_NS6detail17trampoline_kernelINS0_14default_configENS1_20scan_config_selectorIjEEZZNS1_9scan_implILNS1_25lookback_scan_determinismE0ELb0ELb0ES3_N6thrust23THRUST_200600_302600_NS6detail15normal_iteratorINS9_10device_ptrIjEEEENS9_16discard_iteratorINS9_11use_defaultEEEj11max_functorIjEjEEDaPvRmT3_T4_T5_mT6_P12ihipStream_tbENKUlT_T0_E_clISt17integral_constantIbLb1EESX_EEDaSS_ST_EUlSS_E_NS1_11comp_targetILNS1_3genE10ELNS1_11target_archE1200ELNS1_3gpuE4ELNS1_3repE0EEENS1_30default_config_static_selectorELNS0_4arch9wavefront6targetE1EEEvT1_
                                        ; -- End function
	.section	.AMDGPU.csdata,"",@progbits
; Kernel info:
; codeLenInByte = 0
; NumSgprs: 4
; NumVgprs: 0
; NumAgprs: 0
; TotalNumVgprs: 0
; ScratchSize: 0
; MemoryBound: 0
; FloatMode: 240
; IeeeMode: 1
; LDSByteSize: 0 bytes/workgroup (compile time only)
; SGPRBlocks: 0
; VGPRBlocks: 0
; NumSGPRsForWavesPerEU: 4
; NumVGPRsForWavesPerEU: 1
; AccumOffset: 4
; Occupancy: 8
; WaveLimiterHint : 0
; COMPUTE_PGM_RSRC2:SCRATCH_EN: 0
; COMPUTE_PGM_RSRC2:USER_SGPR: 6
; COMPUTE_PGM_RSRC2:TRAP_HANDLER: 0
; COMPUTE_PGM_RSRC2:TGID_X_EN: 1
; COMPUTE_PGM_RSRC2:TGID_Y_EN: 0
; COMPUTE_PGM_RSRC2:TGID_Z_EN: 0
; COMPUTE_PGM_RSRC2:TIDIG_COMP_CNT: 0
; COMPUTE_PGM_RSRC3_GFX90A:ACCUM_OFFSET: 0
; COMPUTE_PGM_RSRC3_GFX90A:TG_SPLIT: 0
	.section	.text._ZN7rocprim17ROCPRIM_400000_NS6detail17trampoline_kernelINS0_14default_configENS1_20scan_config_selectorIjEEZZNS1_9scan_implILNS1_25lookback_scan_determinismE0ELb0ELb0ES3_N6thrust23THRUST_200600_302600_NS6detail15normal_iteratorINS9_10device_ptrIjEEEENS9_16discard_iteratorINS9_11use_defaultEEEj11max_functorIjEjEEDaPvRmT3_T4_T5_mT6_P12ihipStream_tbENKUlT_T0_E_clISt17integral_constantIbLb1EESX_EEDaSS_ST_EUlSS_E_NS1_11comp_targetILNS1_3genE9ELNS1_11target_archE1100ELNS1_3gpuE3ELNS1_3repE0EEENS1_30default_config_static_selectorELNS0_4arch9wavefront6targetE1EEEvT1_,"axG",@progbits,_ZN7rocprim17ROCPRIM_400000_NS6detail17trampoline_kernelINS0_14default_configENS1_20scan_config_selectorIjEEZZNS1_9scan_implILNS1_25lookback_scan_determinismE0ELb0ELb0ES3_N6thrust23THRUST_200600_302600_NS6detail15normal_iteratorINS9_10device_ptrIjEEEENS9_16discard_iteratorINS9_11use_defaultEEEj11max_functorIjEjEEDaPvRmT3_T4_T5_mT6_P12ihipStream_tbENKUlT_T0_E_clISt17integral_constantIbLb1EESX_EEDaSS_ST_EUlSS_E_NS1_11comp_targetILNS1_3genE9ELNS1_11target_archE1100ELNS1_3gpuE3ELNS1_3repE0EEENS1_30default_config_static_selectorELNS0_4arch9wavefront6targetE1EEEvT1_,comdat
	.protected	_ZN7rocprim17ROCPRIM_400000_NS6detail17trampoline_kernelINS0_14default_configENS1_20scan_config_selectorIjEEZZNS1_9scan_implILNS1_25lookback_scan_determinismE0ELb0ELb0ES3_N6thrust23THRUST_200600_302600_NS6detail15normal_iteratorINS9_10device_ptrIjEEEENS9_16discard_iteratorINS9_11use_defaultEEEj11max_functorIjEjEEDaPvRmT3_T4_T5_mT6_P12ihipStream_tbENKUlT_T0_E_clISt17integral_constantIbLb1EESX_EEDaSS_ST_EUlSS_E_NS1_11comp_targetILNS1_3genE9ELNS1_11target_archE1100ELNS1_3gpuE3ELNS1_3repE0EEENS1_30default_config_static_selectorELNS0_4arch9wavefront6targetE1EEEvT1_ ; -- Begin function _ZN7rocprim17ROCPRIM_400000_NS6detail17trampoline_kernelINS0_14default_configENS1_20scan_config_selectorIjEEZZNS1_9scan_implILNS1_25lookback_scan_determinismE0ELb0ELb0ES3_N6thrust23THRUST_200600_302600_NS6detail15normal_iteratorINS9_10device_ptrIjEEEENS9_16discard_iteratorINS9_11use_defaultEEEj11max_functorIjEjEEDaPvRmT3_T4_T5_mT6_P12ihipStream_tbENKUlT_T0_E_clISt17integral_constantIbLb1EESX_EEDaSS_ST_EUlSS_E_NS1_11comp_targetILNS1_3genE9ELNS1_11target_archE1100ELNS1_3gpuE3ELNS1_3repE0EEENS1_30default_config_static_selectorELNS0_4arch9wavefront6targetE1EEEvT1_
	.globl	_ZN7rocprim17ROCPRIM_400000_NS6detail17trampoline_kernelINS0_14default_configENS1_20scan_config_selectorIjEEZZNS1_9scan_implILNS1_25lookback_scan_determinismE0ELb0ELb0ES3_N6thrust23THRUST_200600_302600_NS6detail15normal_iteratorINS9_10device_ptrIjEEEENS9_16discard_iteratorINS9_11use_defaultEEEj11max_functorIjEjEEDaPvRmT3_T4_T5_mT6_P12ihipStream_tbENKUlT_T0_E_clISt17integral_constantIbLb1EESX_EEDaSS_ST_EUlSS_E_NS1_11comp_targetILNS1_3genE9ELNS1_11target_archE1100ELNS1_3gpuE3ELNS1_3repE0EEENS1_30default_config_static_selectorELNS0_4arch9wavefront6targetE1EEEvT1_
	.p2align	8
	.type	_ZN7rocprim17ROCPRIM_400000_NS6detail17trampoline_kernelINS0_14default_configENS1_20scan_config_selectorIjEEZZNS1_9scan_implILNS1_25lookback_scan_determinismE0ELb0ELb0ES3_N6thrust23THRUST_200600_302600_NS6detail15normal_iteratorINS9_10device_ptrIjEEEENS9_16discard_iteratorINS9_11use_defaultEEEj11max_functorIjEjEEDaPvRmT3_T4_T5_mT6_P12ihipStream_tbENKUlT_T0_E_clISt17integral_constantIbLb1EESX_EEDaSS_ST_EUlSS_E_NS1_11comp_targetILNS1_3genE9ELNS1_11target_archE1100ELNS1_3gpuE3ELNS1_3repE0EEENS1_30default_config_static_selectorELNS0_4arch9wavefront6targetE1EEEvT1_,@function
_ZN7rocprim17ROCPRIM_400000_NS6detail17trampoline_kernelINS0_14default_configENS1_20scan_config_selectorIjEEZZNS1_9scan_implILNS1_25lookback_scan_determinismE0ELb0ELb0ES3_N6thrust23THRUST_200600_302600_NS6detail15normal_iteratorINS9_10device_ptrIjEEEENS9_16discard_iteratorINS9_11use_defaultEEEj11max_functorIjEjEEDaPvRmT3_T4_T5_mT6_P12ihipStream_tbENKUlT_T0_E_clISt17integral_constantIbLb1EESX_EEDaSS_ST_EUlSS_E_NS1_11comp_targetILNS1_3genE9ELNS1_11target_archE1100ELNS1_3gpuE3ELNS1_3repE0EEENS1_30default_config_static_selectorELNS0_4arch9wavefront6targetE1EEEvT1_: ; @_ZN7rocprim17ROCPRIM_400000_NS6detail17trampoline_kernelINS0_14default_configENS1_20scan_config_selectorIjEEZZNS1_9scan_implILNS1_25lookback_scan_determinismE0ELb0ELb0ES3_N6thrust23THRUST_200600_302600_NS6detail15normal_iteratorINS9_10device_ptrIjEEEENS9_16discard_iteratorINS9_11use_defaultEEEj11max_functorIjEjEEDaPvRmT3_T4_T5_mT6_P12ihipStream_tbENKUlT_T0_E_clISt17integral_constantIbLb1EESX_EEDaSS_ST_EUlSS_E_NS1_11comp_targetILNS1_3genE9ELNS1_11target_archE1100ELNS1_3gpuE3ELNS1_3repE0EEENS1_30default_config_static_selectorELNS0_4arch9wavefront6targetE1EEEvT1_
; %bb.0:
	.section	.rodata,"a",@progbits
	.p2align	6, 0x0
	.amdhsa_kernel _ZN7rocprim17ROCPRIM_400000_NS6detail17trampoline_kernelINS0_14default_configENS1_20scan_config_selectorIjEEZZNS1_9scan_implILNS1_25lookback_scan_determinismE0ELb0ELb0ES3_N6thrust23THRUST_200600_302600_NS6detail15normal_iteratorINS9_10device_ptrIjEEEENS9_16discard_iteratorINS9_11use_defaultEEEj11max_functorIjEjEEDaPvRmT3_T4_T5_mT6_P12ihipStream_tbENKUlT_T0_E_clISt17integral_constantIbLb1EESX_EEDaSS_ST_EUlSS_E_NS1_11comp_targetILNS1_3genE9ELNS1_11target_archE1100ELNS1_3gpuE3ELNS1_3repE0EEENS1_30default_config_static_selectorELNS0_4arch9wavefront6targetE1EEEvT1_
		.amdhsa_group_segment_fixed_size 0
		.amdhsa_private_segment_fixed_size 0
		.amdhsa_kernarg_size 104
		.amdhsa_user_sgpr_count 6
		.amdhsa_user_sgpr_private_segment_buffer 1
		.amdhsa_user_sgpr_dispatch_ptr 0
		.amdhsa_user_sgpr_queue_ptr 0
		.amdhsa_user_sgpr_kernarg_segment_ptr 1
		.amdhsa_user_sgpr_dispatch_id 0
		.amdhsa_user_sgpr_flat_scratch_init 0
		.amdhsa_user_sgpr_kernarg_preload_length 0
		.amdhsa_user_sgpr_kernarg_preload_offset 0
		.amdhsa_user_sgpr_private_segment_size 0
		.amdhsa_uses_dynamic_stack 0
		.amdhsa_system_sgpr_private_segment_wavefront_offset 0
		.amdhsa_system_sgpr_workgroup_id_x 1
		.amdhsa_system_sgpr_workgroup_id_y 0
		.amdhsa_system_sgpr_workgroup_id_z 0
		.amdhsa_system_sgpr_workgroup_info 0
		.amdhsa_system_vgpr_workitem_id 0
		.amdhsa_next_free_vgpr 1
		.amdhsa_next_free_sgpr 0
		.amdhsa_accum_offset 4
		.amdhsa_reserve_vcc 0
		.amdhsa_reserve_flat_scratch 0
		.amdhsa_float_round_mode_32 0
		.amdhsa_float_round_mode_16_64 0
		.amdhsa_float_denorm_mode_32 3
		.amdhsa_float_denorm_mode_16_64 3
		.amdhsa_dx10_clamp 1
		.amdhsa_ieee_mode 1
		.amdhsa_fp16_overflow 0
		.amdhsa_tg_split 0
		.amdhsa_exception_fp_ieee_invalid_op 0
		.amdhsa_exception_fp_denorm_src 0
		.amdhsa_exception_fp_ieee_div_zero 0
		.amdhsa_exception_fp_ieee_overflow 0
		.amdhsa_exception_fp_ieee_underflow 0
		.amdhsa_exception_fp_ieee_inexact 0
		.amdhsa_exception_int_div_zero 0
	.end_amdhsa_kernel
	.section	.text._ZN7rocprim17ROCPRIM_400000_NS6detail17trampoline_kernelINS0_14default_configENS1_20scan_config_selectorIjEEZZNS1_9scan_implILNS1_25lookback_scan_determinismE0ELb0ELb0ES3_N6thrust23THRUST_200600_302600_NS6detail15normal_iteratorINS9_10device_ptrIjEEEENS9_16discard_iteratorINS9_11use_defaultEEEj11max_functorIjEjEEDaPvRmT3_T4_T5_mT6_P12ihipStream_tbENKUlT_T0_E_clISt17integral_constantIbLb1EESX_EEDaSS_ST_EUlSS_E_NS1_11comp_targetILNS1_3genE9ELNS1_11target_archE1100ELNS1_3gpuE3ELNS1_3repE0EEENS1_30default_config_static_selectorELNS0_4arch9wavefront6targetE1EEEvT1_,"axG",@progbits,_ZN7rocprim17ROCPRIM_400000_NS6detail17trampoline_kernelINS0_14default_configENS1_20scan_config_selectorIjEEZZNS1_9scan_implILNS1_25lookback_scan_determinismE0ELb0ELb0ES3_N6thrust23THRUST_200600_302600_NS6detail15normal_iteratorINS9_10device_ptrIjEEEENS9_16discard_iteratorINS9_11use_defaultEEEj11max_functorIjEjEEDaPvRmT3_T4_T5_mT6_P12ihipStream_tbENKUlT_T0_E_clISt17integral_constantIbLb1EESX_EEDaSS_ST_EUlSS_E_NS1_11comp_targetILNS1_3genE9ELNS1_11target_archE1100ELNS1_3gpuE3ELNS1_3repE0EEENS1_30default_config_static_selectorELNS0_4arch9wavefront6targetE1EEEvT1_,comdat
.Lfunc_end3447:
	.size	_ZN7rocprim17ROCPRIM_400000_NS6detail17trampoline_kernelINS0_14default_configENS1_20scan_config_selectorIjEEZZNS1_9scan_implILNS1_25lookback_scan_determinismE0ELb0ELb0ES3_N6thrust23THRUST_200600_302600_NS6detail15normal_iteratorINS9_10device_ptrIjEEEENS9_16discard_iteratorINS9_11use_defaultEEEj11max_functorIjEjEEDaPvRmT3_T4_T5_mT6_P12ihipStream_tbENKUlT_T0_E_clISt17integral_constantIbLb1EESX_EEDaSS_ST_EUlSS_E_NS1_11comp_targetILNS1_3genE9ELNS1_11target_archE1100ELNS1_3gpuE3ELNS1_3repE0EEENS1_30default_config_static_selectorELNS0_4arch9wavefront6targetE1EEEvT1_, .Lfunc_end3447-_ZN7rocprim17ROCPRIM_400000_NS6detail17trampoline_kernelINS0_14default_configENS1_20scan_config_selectorIjEEZZNS1_9scan_implILNS1_25lookback_scan_determinismE0ELb0ELb0ES3_N6thrust23THRUST_200600_302600_NS6detail15normal_iteratorINS9_10device_ptrIjEEEENS9_16discard_iteratorINS9_11use_defaultEEEj11max_functorIjEjEEDaPvRmT3_T4_T5_mT6_P12ihipStream_tbENKUlT_T0_E_clISt17integral_constantIbLb1EESX_EEDaSS_ST_EUlSS_E_NS1_11comp_targetILNS1_3genE9ELNS1_11target_archE1100ELNS1_3gpuE3ELNS1_3repE0EEENS1_30default_config_static_selectorELNS0_4arch9wavefront6targetE1EEEvT1_
                                        ; -- End function
	.section	.AMDGPU.csdata,"",@progbits
; Kernel info:
; codeLenInByte = 0
; NumSgprs: 4
; NumVgprs: 0
; NumAgprs: 0
; TotalNumVgprs: 0
; ScratchSize: 0
; MemoryBound: 0
; FloatMode: 240
; IeeeMode: 1
; LDSByteSize: 0 bytes/workgroup (compile time only)
; SGPRBlocks: 0
; VGPRBlocks: 0
; NumSGPRsForWavesPerEU: 4
; NumVGPRsForWavesPerEU: 1
; AccumOffset: 4
; Occupancy: 8
; WaveLimiterHint : 0
; COMPUTE_PGM_RSRC2:SCRATCH_EN: 0
; COMPUTE_PGM_RSRC2:USER_SGPR: 6
; COMPUTE_PGM_RSRC2:TRAP_HANDLER: 0
; COMPUTE_PGM_RSRC2:TGID_X_EN: 1
; COMPUTE_PGM_RSRC2:TGID_Y_EN: 0
; COMPUTE_PGM_RSRC2:TGID_Z_EN: 0
; COMPUTE_PGM_RSRC2:TIDIG_COMP_CNT: 0
; COMPUTE_PGM_RSRC3_GFX90A:ACCUM_OFFSET: 0
; COMPUTE_PGM_RSRC3_GFX90A:TG_SPLIT: 0
	.section	.text._ZN7rocprim17ROCPRIM_400000_NS6detail17trampoline_kernelINS0_14default_configENS1_20scan_config_selectorIjEEZZNS1_9scan_implILNS1_25lookback_scan_determinismE0ELb0ELb0ES3_N6thrust23THRUST_200600_302600_NS6detail15normal_iteratorINS9_10device_ptrIjEEEENS9_16discard_iteratorINS9_11use_defaultEEEj11max_functorIjEjEEDaPvRmT3_T4_T5_mT6_P12ihipStream_tbENKUlT_T0_E_clISt17integral_constantIbLb1EESX_EEDaSS_ST_EUlSS_E_NS1_11comp_targetILNS1_3genE8ELNS1_11target_archE1030ELNS1_3gpuE2ELNS1_3repE0EEENS1_30default_config_static_selectorELNS0_4arch9wavefront6targetE1EEEvT1_,"axG",@progbits,_ZN7rocprim17ROCPRIM_400000_NS6detail17trampoline_kernelINS0_14default_configENS1_20scan_config_selectorIjEEZZNS1_9scan_implILNS1_25lookback_scan_determinismE0ELb0ELb0ES3_N6thrust23THRUST_200600_302600_NS6detail15normal_iteratorINS9_10device_ptrIjEEEENS9_16discard_iteratorINS9_11use_defaultEEEj11max_functorIjEjEEDaPvRmT3_T4_T5_mT6_P12ihipStream_tbENKUlT_T0_E_clISt17integral_constantIbLb1EESX_EEDaSS_ST_EUlSS_E_NS1_11comp_targetILNS1_3genE8ELNS1_11target_archE1030ELNS1_3gpuE2ELNS1_3repE0EEENS1_30default_config_static_selectorELNS0_4arch9wavefront6targetE1EEEvT1_,comdat
	.protected	_ZN7rocprim17ROCPRIM_400000_NS6detail17trampoline_kernelINS0_14default_configENS1_20scan_config_selectorIjEEZZNS1_9scan_implILNS1_25lookback_scan_determinismE0ELb0ELb0ES3_N6thrust23THRUST_200600_302600_NS6detail15normal_iteratorINS9_10device_ptrIjEEEENS9_16discard_iteratorINS9_11use_defaultEEEj11max_functorIjEjEEDaPvRmT3_T4_T5_mT6_P12ihipStream_tbENKUlT_T0_E_clISt17integral_constantIbLb1EESX_EEDaSS_ST_EUlSS_E_NS1_11comp_targetILNS1_3genE8ELNS1_11target_archE1030ELNS1_3gpuE2ELNS1_3repE0EEENS1_30default_config_static_selectorELNS0_4arch9wavefront6targetE1EEEvT1_ ; -- Begin function _ZN7rocprim17ROCPRIM_400000_NS6detail17trampoline_kernelINS0_14default_configENS1_20scan_config_selectorIjEEZZNS1_9scan_implILNS1_25lookback_scan_determinismE0ELb0ELb0ES3_N6thrust23THRUST_200600_302600_NS6detail15normal_iteratorINS9_10device_ptrIjEEEENS9_16discard_iteratorINS9_11use_defaultEEEj11max_functorIjEjEEDaPvRmT3_T4_T5_mT6_P12ihipStream_tbENKUlT_T0_E_clISt17integral_constantIbLb1EESX_EEDaSS_ST_EUlSS_E_NS1_11comp_targetILNS1_3genE8ELNS1_11target_archE1030ELNS1_3gpuE2ELNS1_3repE0EEENS1_30default_config_static_selectorELNS0_4arch9wavefront6targetE1EEEvT1_
	.globl	_ZN7rocprim17ROCPRIM_400000_NS6detail17trampoline_kernelINS0_14default_configENS1_20scan_config_selectorIjEEZZNS1_9scan_implILNS1_25lookback_scan_determinismE0ELb0ELb0ES3_N6thrust23THRUST_200600_302600_NS6detail15normal_iteratorINS9_10device_ptrIjEEEENS9_16discard_iteratorINS9_11use_defaultEEEj11max_functorIjEjEEDaPvRmT3_T4_T5_mT6_P12ihipStream_tbENKUlT_T0_E_clISt17integral_constantIbLb1EESX_EEDaSS_ST_EUlSS_E_NS1_11comp_targetILNS1_3genE8ELNS1_11target_archE1030ELNS1_3gpuE2ELNS1_3repE0EEENS1_30default_config_static_selectorELNS0_4arch9wavefront6targetE1EEEvT1_
	.p2align	8
	.type	_ZN7rocprim17ROCPRIM_400000_NS6detail17trampoline_kernelINS0_14default_configENS1_20scan_config_selectorIjEEZZNS1_9scan_implILNS1_25lookback_scan_determinismE0ELb0ELb0ES3_N6thrust23THRUST_200600_302600_NS6detail15normal_iteratorINS9_10device_ptrIjEEEENS9_16discard_iteratorINS9_11use_defaultEEEj11max_functorIjEjEEDaPvRmT3_T4_T5_mT6_P12ihipStream_tbENKUlT_T0_E_clISt17integral_constantIbLb1EESX_EEDaSS_ST_EUlSS_E_NS1_11comp_targetILNS1_3genE8ELNS1_11target_archE1030ELNS1_3gpuE2ELNS1_3repE0EEENS1_30default_config_static_selectorELNS0_4arch9wavefront6targetE1EEEvT1_,@function
_ZN7rocprim17ROCPRIM_400000_NS6detail17trampoline_kernelINS0_14default_configENS1_20scan_config_selectorIjEEZZNS1_9scan_implILNS1_25lookback_scan_determinismE0ELb0ELb0ES3_N6thrust23THRUST_200600_302600_NS6detail15normal_iteratorINS9_10device_ptrIjEEEENS9_16discard_iteratorINS9_11use_defaultEEEj11max_functorIjEjEEDaPvRmT3_T4_T5_mT6_P12ihipStream_tbENKUlT_T0_E_clISt17integral_constantIbLb1EESX_EEDaSS_ST_EUlSS_E_NS1_11comp_targetILNS1_3genE8ELNS1_11target_archE1030ELNS1_3gpuE2ELNS1_3repE0EEENS1_30default_config_static_selectorELNS0_4arch9wavefront6targetE1EEEvT1_: ; @_ZN7rocprim17ROCPRIM_400000_NS6detail17trampoline_kernelINS0_14default_configENS1_20scan_config_selectorIjEEZZNS1_9scan_implILNS1_25lookback_scan_determinismE0ELb0ELb0ES3_N6thrust23THRUST_200600_302600_NS6detail15normal_iteratorINS9_10device_ptrIjEEEENS9_16discard_iteratorINS9_11use_defaultEEEj11max_functorIjEjEEDaPvRmT3_T4_T5_mT6_P12ihipStream_tbENKUlT_T0_E_clISt17integral_constantIbLb1EESX_EEDaSS_ST_EUlSS_E_NS1_11comp_targetILNS1_3genE8ELNS1_11target_archE1030ELNS1_3gpuE2ELNS1_3repE0EEENS1_30default_config_static_selectorELNS0_4arch9wavefront6targetE1EEEvT1_
; %bb.0:
	.section	.rodata,"a",@progbits
	.p2align	6, 0x0
	.amdhsa_kernel _ZN7rocprim17ROCPRIM_400000_NS6detail17trampoline_kernelINS0_14default_configENS1_20scan_config_selectorIjEEZZNS1_9scan_implILNS1_25lookback_scan_determinismE0ELb0ELb0ES3_N6thrust23THRUST_200600_302600_NS6detail15normal_iteratorINS9_10device_ptrIjEEEENS9_16discard_iteratorINS9_11use_defaultEEEj11max_functorIjEjEEDaPvRmT3_T4_T5_mT6_P12ihipStream_tbENKUlT_T0_E_clISt17integral_constantIbLb1EESX_EEDaSS_ST_EUlSS_E_NS1_11comp_targetILNS1_3genE8ELNS1_11target_archE1030ELNS1_3gpuE2ELNS1_3repE0EEENS1_30default_config_static_selectorELNS0_4arch9wavefront6targetE1EEEvT1_
		.amdhsa_group_segment_fixed_size 0
		.amdhsa_private_segment_fixed_size 0
		.amdhsa_kernarg_size 104
		.amdhsa_user_sgpr_count 6
		.amdhsa_user_sgpr_private_segment_buffer 1
		.amdhsa_user_sgpr_dispatch_ptr 0
		.amdhsa_user_sgpr_queue_ptr 0
		.amdhsa_user_sgpr_kernarg_segment_ptr 1
		.amdhsa_user_sgpr_dispatch_id 0
		.amdhsa_user_sgpr_flat_scratch_init 0
		.amdhsa_user_sgpr_kernarg_preload_length 0
		.amdhsa_user_sgpr_kernarg_preload_offset 0
		.amdhsa_user_sgpr_private_segment_size 0
		.amdhsa_uses_dynamic_stack 0
		.amdhsa_system_sgpr_private_segment_wavefront_offset 0
		.amdhsa_system_sgpr_workgroup_id_x 1
		.amdhsa_system_sgpr_workgroup_id_y 0
		.amdhsa_system_sgpr_workgroup_id_z 0
		.amdhsa_system_sgpr_workgroup_info 0
		.amdhsa_system_vgpr_workitem_id 0
		.amdhsa_next_free_vgpr 1
		.amdhsa_next_free_sgpr 0
		.amdhsa_accum_offset 4
		.amdhsa_reserve_vcc 0
		.amdhsa_reserve_flat_scratch 0
		.amdhsa_float_round_mode_32 0
		.amdhsa_float_round_mode_16_64 0
		.amdhsa_float_denorm_mode_32 3
		.amdhsa_float_denorm_mode_16_64 3
		.amdhsa_dx10_clamp 1
		.amdhsa_ieee_mode 1
		.amdhsa_fp16_overflow 0
		.amdhsa_tg_split 0
		.amdhsa_exception_fp_ieee_invalid_op 0
		.amdhsa_exception_fp_denorm_src 0
		.amdhsa_exception_fp_ieee_div_zero 0
		.amdhsa_exception_fp_ieee_overflow 0
		.amdhsa_exception_fp_ieee_underflow 0
		.amdhsa_exception_fp_ieee_inexact 0
		.amdhsa_exception_int_div_zero 0
	.end_amdhsa_kernel
	.section	.text._ZN7rocprim17ROCPRIM_400000_NS6detail17trampoline_kernelINS0_14default_configENS1_20scan_config_selectorIjEEZZNS1_9scan_implILNS1_25lookback_scan_determinismE0ELb0ELb0ES3_N6thrust23THRUST_200600_302600_NS6detail15normal_iteratorINS9_10device_ptrIjEEEENS9_16discard_iteratorINS9_11use_defaultEEEj11max_functorIjEjEEDaPvRmT3_T4_T5_mT6_P12ihipStream_tbENKUlT_T0_E_clISt17integral_constantIbLb1EESX_EEDaSS_ST_EUlSS_E_NS1_11comp_targetILNS1_3genE8ELNS1_11target_archE1030ELNS1_3gpuE2ELNS1_3repE0EEENS1_30default_config_static_selectorELNS0_4arch9wavefront6targetE1EEEvT1_,"axG",@progbits,_ZN7rocprim17ROCPRIM_400000_NS6detail17trampoline_kernelINS0_14default_configENS1_20scan_config_selectorIjEEZZNS1_9scan_implILNS1_25lookback_scan_determinismE0ELb0ELb0ES3_N6thrust23THRUST_200600_302600_NS6detail15normal_iteratorINS9_10device_ptrIjEEEENS9_16discard_iteratorINS9_11use_defaultEEEj11max_functorIjEjEEDaPvRmT3_T4_T5_mT6_P12ihipStream_tbENKUlT_T0_E_clISt17integral_constantIbLb1EESX_EEDaSS_ST_EUlSS_E_NS1_11comp_targetILNS1_3genE8ELNS1_11target_archE1030ELNS1_3gpuE2ELNS1_3repE0EEENS1_30default_config_static_selectorELNS0_4arch9wavefront6targetE1EEEvT1_,comdat
.Lfunc_end3448:
	.size	_ZN7rocprim17ROCPRIM_400000_NS6detail17trampoline_kernelINS0_14default_configENS1_20scan_config_selectorIjEEZZNS1_9scan_implILNS1_25lookback_scan_determinismE0ELb0ELb0ES3_N6thrust23THRUST_200600_302600_NS6detail15normal_iteratorINS9_10device_ptrIjEEEENS9_16discard_iteratorINS9_11use_defaultEEEj11max_functorIjEjEEDaPvRmT3_T4_T5_mT6_P12ihipStream_tbENKUlT_T0_E_clISt17integral_constantIbLb1EESX_EEDaSS_ST_EUlSS_E_NS1_11comp_targetILNS1_3genE8ELNS1_11target_archE1030ELNS1_3gpuE2ELNS1_3repE0EEENS1_30default_config_static_selectorELNS0_4arch9wavefront6targetE1EEEvT1_, .Lfunc_end3448-_ZN7rocprim17ROCPRIM_400000_NS6detail17trampoline_kernelINS0_14default_configENS1_20scan_config_selectorIjEEZZNS1_9scan_implILNS1_25lookback_scan_determinismE0ELb0ELb0ES3_N6thrust23THRUST_200600_302600_NS6detail15normal_iteratorINS9_10device_ptrIjEEEENS9_16discard_iteratorINS9_11use_defaultEEEj11max_functorIjEjEEDaPvRmT3_T4_T5_mT6_P12ihipStream_tbENKUlT_T0_E_clISt17integral_constantIbLb1EESX_EEDaSS_ST_EUlSS_E_NS1_11comp_targetILNS1_3genE8ELNS1_11target_archE1030ELNS1_3gpuE2ELNS1_3repE0EEENS1_30default_config_static_selectorELNS0_4arch9wavefront6targetE1EEEvT1_
                                        ; -- End function
	.section	.AMDGPU.csdata,"",@progbits
; Kernel info:
; codeLenInByte = 0
; NumSgprs: 4
; NumVgprs: 0
; NumAgprs: 0
; TotalNumVgprs: 0
; ScratchSize: 0
; MemoryBound: 0
; FloatMode: 240
; IeeeMode: 1
; LDSByteSize: 0 bytes/workgroup (compile time only)
; SGPRBlocks: 0
; VGPRBlocks: 0
; NumSGPRsForWavesPerEU: 4
; NumVGPRsForWavesPerEU: 1
; AccumOffset: 4
; Occupancy: 8
; WaveLimiterHint : 0
; COMPUTE_PGM_RSRC2:SCRATCH_EN: 0
; COMPUTE_PGM_RSRC2:USER_SGPR: 6
; COMPUTE_PGM_RSRC2:TRAP_HANDLER: 0
; COMPUTE_PGM_RSRC2:TGID_X_EN: 1
; COMPUTE_PGM_RSRC2:TGID_Y_EN: 0
; COMPUTE_PGM_RSRC2:TGID_Z_EN: 0
; COMPUTE_PGM_RSRC2:TIDIG_COMP_CNT: 0
; COMPUTE_PGM_RSRC3_GFX90A:ACCUM_OFFSET: 0
; COMPUTE_PGM_RSRC3_GFX90A:TG_SPLIT: 0
	.section	.text._ZN7rocprim17ROCPRIM_400000_NS6detail17trampoline_kernelINS0_14default_configENS1_20scan_config_selectorIjEEZZNS1_9scan_implILNS1_25lookback_scan_determinismE0ELb0ELb0ES3_N6thrust23THRUST_200600_302600_NS6detail15normal_iteratorINS9_10device_ptrIjEEEENS9_16discard_iteratorINS9_11use_defaultEEEj11max_functorIjEjEEDaPvRmT3_T4_T5_mT6_P12ihipStream_tbENKUlT_T0_E_clISt17integral_constantIbLb1EESX_EEDaSS_ST_EUlSS_E0_NS1_11comp_targetILNS1_3genE0ELNS1_11target_archE4294967295ELNS1_3gpuE0ELNS1_3repE0EEENS1_30default_config_static_selectorELNS0_4arch9wavefront6targetE1EEEvT1_,"axG",@progbits,_ZN7rocprim17ROCPRIM_400000_NS6detail17trampoline_kernelINS0_14default_configENS1_20scan_config_selectorIjEEZZNS1_9scan_implILNS1_25lookback_scan_determinismE0ELb0ELb0ES3_N6thrust23THRUST_200600_302600_NS6detail15normal_iteratorINS9_10device_ptrIjEEEENS9_16discard_iteratorINS9_11use_defaultEEEj11max_functorIjEjEEDaPvRmT3_T4_T5_mT6_P12ihipStream_tbENKUlT_T0_E_clISt17integral_constantIbLb1EESX_EEDaSS_ST_EUlSS_E0_NS1_11comp_targetILNS1_3genE0ELNS1_11target_archE4294967295ELNS1_3gpuE0ELNS1_3repE0EEENS1_30default_config_static_selectorELNS0_4arch9wavefront6targetE1EEEvT1_,comdat
	.protected	_ZN7rocprim17ROCPRIM_400000_NS6detail17trampoline_kernelINS0_14default_configENS1_20scan_config_selectorIjEEZZNS1_9scan_implILNS1_25lookback_scan_determinismE0ELb0ELb0ES3_N6thrust23THRUST_200600_302600_NS6detail15normal_iteratorINS9_10device_ptrIjEEEENS9_16discard_iteratorINS9_11use_defaultEEEj11max_functorIjEjEEDaPvRmT3_T4_T5_mT6_P12ihipStream_tbENKUlT_T0_E_clISt17integral_constantIbLb1EESX_EEDaSS_ST_EUlSS_E0_NS1_11comp_targetILNS1_3genE0ELNS1_11target_archE4294967295ELNS1_3gpuE0ELNS1_3repE0EEENS1_30default_config_static_selectorELNS0_4arch9wavefront6targetE1EEEvT1_ ; -- Begin function _ZN7rocprim17ROCPRIM_400000_NS6detail17trampoline_kernelINS0_14default_configENS1_20scan_config_selectorIjEEZZNS1_9scan_implILNS1_25lookback_scan_determinismE0ELb0ELb0ES3_N6thrust23THRUST_200600_302600_NS6detail15normal_iteratorINS9_10device_ptrIjEEEENS9_16discard_iteratorINS9_11use_defaultEEEj11max_functorIjEjEEDaPvRmT3_T4_T5_mT6_P12ihipStream_tbENKUlT_T0_E_clISt17integral_constantIbLb1EESX_EEDaSS_ST_EUlSS_E0_NS1_11comp_targetILNS1_3genE0ELNS1_11target_archE4294967295ELNS1_3gpuE0ELNS1_3repE0EEENS1_30default_config_static_selectorELNS0_4arch9wavefront6targetE1EEEvT1_
	.globl	_ZN7rocprim17ROCPRIM_400000_NS6detail17trampoline_kernelINS0_14default_configENS1_20scan_config_selectorIjEEZZNS1_9scan_implILNS1_25lookback_scan_determinismE0ELb0ELb0ES3_N6thrust23THRUST_200600_302600_NS6detail15normal_iteratorINS9_10device_ptrIjEEEENS9_16discard_iteratorINS9_11use_defaultEEEj11max_functorIjEjEEDaPvRmT3_T4_T5_mT6_P12ihipStream_tbENKUlT_T0_E_clISt17integral_constantIbLb1EESX_EEDaSS_ST_EUlSS_E0_NS1_11comp_targetILNS1_3genE0ELNS1_11target_archE4294967295ELNS1_3gpuE0ELNS1_3repE0EEENS1_30default_config_static_selectorELNS0_4arch9wavefront6targetE1EEEvT1_
	.p2align	8
	.type	_ZN7rocprim17ROCPRIM_400000_NS6detail17trampoline_kernelINS0_14default_configENS1_20scan_config_selectorIjEEZZNS1_9scan_implILNS1_25lookback_scan_determinismE0ELb0ELb0ES3_N6thrust23THRUST_200600_302600_NS6detail15normal_iteratorINS9_10device_ptrIjEEEENS9_16discard_iteratorINS9_11use_defaultEEEj11max_functorIjEjEEDaPvRmT3_T4_T5_mT6_P12ihipStream_tbENKUlT_T0_E_clISt17integral_constantIbLb1EESX_EEDaSS_ST_EUlSS_E0_NS1_11comp_targetILNS1_3genE0ELNS1_11target_archE4294967295ELNS1_3gpuE0ELNS1_3repE0EEENS1_30default_config_static_selectorELNS0_4arch9wavefront6targetE1EEEvT1_,@function
_ZN7rocprim17ROCPRIM_400000_NS6detail17trampoline_kernelINS0_14default_configENS1_20scan_config_selectorIjEEZZNS1_9scan_implILNS1_25lookback_scan_determinismE0ELb0ELb0ES3_N6thrust23THRUST_200600_302600_NS6detail15normal_iteratorINS9_10device_ptrIjEEEENS9_16discard_iteratorINS9_11use_defaultEEEj11max_functorIjEjEEDaPvRmT3_T4_T5_mT6_P12ihipStream_tbENKUlT_T0_E_clISt17integral_constantIbLb1EESX_EEDaSS_ST_EUlSS_E0_NS1_11comp_targetILNS1_3genE0ELNS1_11target_archE4294967295ELNS1_3gpuE0ELNS1_3repE0EEENS1_30default_config_static_selectorELNS0_4arch9wavefront6targetE1EEEvT1_: ; @_ZN7rocprim17ROCPRIM_400000_NS6detail17trampoline_kernelINS0_14default_configENS1_20scan_config_selectorIjEEZZNS1_9scan_implILNS1_25lookback_scan_determinismE0ELb0ELb0ES3_N6thrust23THRUST_200600_302600_NS6detail15normal_iteratorINS9_10device_ptrIjEEEENS9_16discard_iteratorINS9_11use_defaultEEEj11max_functorIjEjEEDaPvRmT3_T4_T5_mT6_P12ihipStream_tbENKUlT_T0_E_clISt17integral_constantIbLb1EESX_EEDaSS_ST_EUlSS_E0_NS1_11comp_targetILNS1_3genE0ELNS1_11target_archE4294967295ELNS1_3gpuE0ELNS1_3repE0EEENS1_30default_config_static_selectorELNS0_4arch9wavefront6targetE1EEEvT1_
; %bb.0:
	.section	.rodata,"a",@progbits
	.p2align	6, 0x0
	.amdhsa_kernel _ZN7rocprim17ROCPRIM_400000_NS6detail17trampoline_kernelINS0_14default_configENS1_20scan_config_selectorIjEEZZNS1_9scan_implILNS1_25lookback_scan_determinismE0ELb0ELb0ES3_N6thrust23THRUST_200600_302600_NS6detail15normal_iteratorINS9_10device_ptrIjEEEENS9_16discard_iteratorINS9_11use_defaultEEEj11max_functorIjEjEEDaPvRmT3_T4_T5_mT6_P12ihipStream_tbENKUlT_T0_E_clISt17integral_constantIbLb1EESX_EEDaSS_ST_EUlSS_E0_NS1_11comp_targetILNS1_3genE0ELNS1_11target_archE4294967295ELNS1_3gpuE0ELNS1_3repE0EEENS1_30default_config_static_selectorELNS0_4arch9wavefront6targetE1EEEvT1_
		.amdhsa_group_segment_fixed_size 0
		.amdhsa_private_segment_fixed_size 0
		.amdhsa_kernarg_size 40
		.amdhsa_user_sgpr_count 6
		.amdhsa_user_sgpr_private_segment_buffer 1
		.amdhsa_user_sgpr_dispatch_ptr 0
		.amdhsa_user_sgpr_queue_ptr 0
		.amdhsa_user_sgpr_kernarg_segment_ptr 1
		.amdhsa_user_sgpr_dispatch_id 0
		.amdhsa_user_sgpr_flat_scratch_init 0
		.amdhsa_user_sgpr_kernarg_preload_length 0
		.amdhsa_user_sgpr_kernarg_preload_offset 0
		.amdhsa_user_sgpr_private_segment_size 0
		.amdhsa_uses_dynamic_stack 0
		.amdhsa_system_sgpr_private_segment_wavefront_offset 0
		.amdhsa_system_sgpr_workgroup_id_x 1
		.amdhsa_system_sgpr_workgroup_id_y 0
		.amdhsa_system_sgpr_workgroup_id_z 0
		.amdhsa_system_sgpr_workgroup_info 0
		.amdhsa_system_vgpr_workitem_id 0
		.amdhsa_next_free_vgpr 1
		.amdhsa_next_free_sgpr 0
		.amdhsa_accum_offset 4
		.amdhsa_reserve_vcc 0
		.amdhsa_reserve_flat_scratch 0
		.amdhsa_float_round_mode_32 0
		.amdhsa_float_round_mode_16_64 0
		.amdhsa_float_denorm_mode_32 3
		.amdhsa_float_denorm_mode_16_64 3
		.amdhsa_dx10_clamp 1
		.amdhsa_ieee_mode 1
		.amdhsa_fp16_overflow 0
		.amdhsa_tg_split 0
		.amdhsa_exception_fp_ieee_invalid_op 0
		.amdhsa_exception_fp_denorm_src 0
		.amdhsa_exception_fp_ieee_div_zero 0
		.amdhsa_exception_fp_ieee_overflow 0
		.amdhsa_exception_fp_ieee_underflow 0
		.amdhsa_exception_fp_ieee_inexact 0
		.amdhsa_exception_int_div_zero 0
	.end_amdhsa_kernel
	.section	.text._ZN7rocprim17ROCPRIM_400000_NS6detail17trampoline_kernelINS0_14default_configENS1_20scan_config_selectorIjEEZZNS1_9scan_implILNS1_25lookback_scan_determinismE0ELb0ELb0ES3_N6thrust23THRUST_200600_302600_NS6detail15normal_iteratorINS9_10device_ptrIjEEEENS9_16discard_iteratorINS9_11use_defaultEEEj11max_functorIjEjEEDaPvRmT3_T4_T5_mT6_P12ihipStream_tbENKUlT_T0_E_clISt17integral_constantIbLb1EESX_EEDaSS_ST_EUlSS_E0_NS1_11comp_targetILNS1_3genE0ELNS1_11target_archE4294967295ELNS1_3gpuE0ELNS1_3repE0EEENS1_30default_config_static_selectorELNS0_4arch9wavefront6targetE1EEEvT1_,"axG",@progbits,_ZN7rocprim17ROCPRIM_400000_NS6detail17trampoline_kernelINS0_14default_configENS1_20scan_config_selectorIjEEZZNS1_9scan_implILNS1_25lookback_scan_determinismE0ELb0ELb0ES3_N6thrust23THRUST_200600_302600_NS6detail15normal_iteratorINS9_10device_ptrIjEEEENS9_16discard_iteratorINS9_11use_defaultEEEj11max_functorIjEjEEDaPvRmT3_T4_T5_mT6_P12ihipStream_tbENKUlT_T0_E_clISt17integral_constantIbLb1EESX_EEDaSS_ST_EUlSS_E0_NS1_11comp_targetILNS1_3genE0ELNS1_11target_archE4294967295ELNS1_3gpuE0ELNS1_3repE0EEENS1_30default_config_static_selectorELNS0_4arch9wavefront6targetE1EEEvT1_,comdat
.Lfunc_end3449:
	.size	_ZN7rocprim17ROCPRIM_400000_NS6detail17trampoline_kernelINS0_14default_configENS1_20scan_config_selectorIjEEZZNS1_9scan_implILNS1_25lookback_scan_determinismE0ELb0ELb0ES3_N6thrust23THRUST_200600_302600_NS6detail15normal_iteratorINS9_10device_ptrIjEEEENS9_16discard_iteratorINS9_11use_defaultEEEj11max_functorIjEjEEDaPvRmT3_T4_T5_mT6_P12ihipStream_tbENKUlT_T0_E_clISt17integral_constantIbLb1EESX_EEDaSS_ST_EUlSS_E0_NS1_11comp_targetILNS1_3genE0ELNS1_11target_archE4294967295ELNS1_3gpuE0ELNS1_3repE0EEENS1_30default_config_static_selectorELNS0_4arch9wavefront6targetE1EEEvT1_, .Lfunc_end3449-_ZN7rocprim17ROCPRIM_400000_NS6detail17trampoline_kernelINS0_14default_configENS1_20scan_config_selectorIjEEZZNS1_9scan_implILNS1_25lookback_scan_determinismE0ELb0ELb0ES3_N6thrust23THRUST_200600_302600_NS6detail15normal_iteratorINS9_10device_ptrIjEEEENS9_16discard_iteratorINS9_11use_defaultEEEj11max_functorIjEjEEDaPvRmT3_T4_T5_mT6_P12ihipStream_tbENKUlT_T0_E_clISt17integral_constantIbLb1EESX_EEDaSS_ST_EUlSS_E0_NS1_11comp_targetILNS1_3genE0ELNS1_11target_archE4294967295ELNS1_3gpuE0ELNS1_3repE0EEENS1_30default_config_static_selectorELNS0_4arch9wavefront6targetE1EEEvT1_
                                        ; -- End function
	.section	.AMDGPU.csdata,"",@progbits
; Kernel info:
; codeLenInByte = 0
; NumSgprs: 4
; NumVgprs: 0
; NumAgprs: 0
; TotalNumVgprs: 0
; ScratchSize: 0
; MemoryBound: 0
; FloatMode: 240
; IeeeMode: 1
; LDSByteSize: 0 bytes/workgroup (compile time only)
; SGPRBlocks: 0
; VGPRBlocks: 0
; NumSGPRsForWavesPerEU: 4
; NumVGPRsForWavesPerEU: 1
; AccumOffset: 4
; Occupancy: 8
; WaveLimiterHint : 0
; COMPUTE_PGM_RSRC2:SCRATCH_EN: 0
; COMPUTE_PGM_RSRC2:USER_SGPR: 6
; COMPUTE_PGM_RSRC2:TRAP_HANDLER: 0
; COMPUTE_PGM_RSRC2:TGID_X_EN: 1
; COMPUTE_PGM_RSRC2:TGID_Y_EN: 0
; COMPUTE_PGM_RSRC2:TGID_Z_EN: 0
; COMPUTE_PGM_RSRC2:TIDIG_COMP_CNT: 0
; COMPUTE_PGM_RSRC3_GFX90A:ACCUM_OFFSET: 0
; COMPUTE_PGM_RSRC3_GFX90A:TG_SPLIT: 0
	.section	.text._ZN7rocprim17ROCPRIM_400000_NS6detail17trampoline_kernelINS0_14default_configENS1_20scan_config_selectorIjEEZZNS1_9scan_implILNS1_25lookback_scan_determinismE0ELb0ELb0ES3_N6thrust23THRUST_200600_302600_NS6detail15normal_iteratorINS9_10device_ptrIjEEEENS9_16discard_iteratorINS9_11use_defaultEEEj11max_functorIjEjEEDaPvRmT3_T4_T5_mT6_P12ihipStream_tbENKUlT_T0_E_clISt17integral_constantIbLb1EESX_EEDaSS_ST_EUlSS_E0_NS1_11comp_targetILNS1_3genE5ELNS1_11target_archE942ELNS1_3gpuE9ELNS1_3repE0EEENS1_30default_config_static_selectorELNS0_4arch9wavefront6targetE1EEEvT1_,"axG",@progbits,_ZN7rocprim17ROCPRIM_400000_NS6detail17trampoline_kernelINS0_14default_configENS1_20scan_config_selectorIjEEZZNS1_9scan_implILNS1_25lookback_scan_determinismE0ELb0ELb0ES3_N6thrust23THRUST_200600_302600_NS6detail15normal_iteratorINS9_10device_ptrIjEEEENS9_16discard_iteratorINS9_11use_defaultEEEj11max_functorIjEjEEDaPvRmT3_T4_T5_mT6_P12ihipStream_tbENKUlT_T0_E_clISt17integral_constantIbLb1EESX_EEDaSS_ST_EUlSS_E0_NS1_11comp_targetILNS1_3genE5ELNS1_11target_archE942ELNS1_3gpuE9ELNS1_3repE0EEENS1_30default_config_static_selectorELNS0_4arch9wavefront6targetE1EEEvT1_,comdat
	.protected	_ZN7rocprim17ROCPRIM_400000_NS6detail17trampoline_kernelINS0_14default_configENS1_20scan_config_selectorIjEEZZNS1_9scan_implILNS1_25lookback_scan_determinismE0ELb0ELb0ES3_N6thrust23THRUST_200600_302600_NS6detail15normal_iteratorINS9_10device_ptrIjEEEENS9_16discard_iteratorINS9_11use_defaultEEEj11max_functorIjEjEEDaPvRmT3_T4_T5_mT6_P12ihipStream_tbENKUlT_T0_E_clISt17integral_constantIbLb1EESX_EEDaSS_ST_EUlSS_E0_NS1_11comp_targetILNS1_3genE5ELNS1_11target_archE942ELNS1_3gpuE9ELNS1_3repE0EEENS1_30default_config_static_selectorELNS0_4arch9wavefront6targetE1EEEvT1_ ; -- Begin function _ZN7rocprim17ROCPRIM_400000_NS6detail17trampoline_kernelINS0_14default_configENS1_20scan_config_selectorIjEEZZNS1_9scan_implILNS1_25lookback_scan_determinismE0ELb0ELb0ES3_N6thrust23THRUST_200600_302600_NS6detail15normal_iteratorINS9_10device_ptrIjEEEENS9_16discard_iteratorINS9_11use_defaultEEEj11max_functorIjEjEEDaPvRmT3_T4_T5_mT6_P12ihipStream_tbENKUlT_T0_E_clISt17integral_constantIbLb1EESX_EEDaSS_ST_EUlSS_E0_NS1_11comp_targetILNS1_3genE5ELNS1_11target_archE942ELNS1_3gpuE9ELNS1_3repE0EEENS1_30default_config_static_selectorELNS0_4arch9wavefront6targetE1EEEvT1_
	.globl	_ZN7rocprim17ROCPRIM_400000_NS6detail17trampoline_kernelINS0_14default_configENS1_20scan_config_selectorIjEEZZNS1_9scan_implILNS1_25lookback_scan_determinismE0ELb0ELb0ES3_N6thrust23THRUST_200600_302600_NS6detail15normal_iteratorINS9_10device_ptrIjEEEENS9_16discard_iteratorINS9_11use_defaultEEEj11max_functorIjEjEEDaPvRmT3_T4_T5_mT6_P12ihipStream_tbENKUlT_T0_E_clISt17integral_constantIbLb1EESX_EEDaSS_ST_EUlSS_E0_NS1_11comp_targetILNS1_3genE5ELNS1_11target_archE942ELNS1_3gpuE9ELNS1_3repE0EEENS1_30default_config_static_selectorELNS0_4arch9wavefront6targetE1EEEvT1_
	.p2align	8
	.type	_ZN7rocprim17ROCPRIM_400000_NS6detail17trampoline_kernelINS0_14default_configENS1_20scan_config_selectorIjEEZZNS1_9scan_implILNS1_25lookback_scan_determinismE0ELb0ELb0ES3_N6thrust23THRUST_200600_302600_NS6detail15normal_iteratorINS9_10device_ptrIjEEEENS9_16discard_iteratorINS9_11use_defaultEEEj11max_functorIjEjEEDaPvRmT3_T4_T5_mT6_P12ihipStream_tbENKUlT_T0_E_clISt17integral_constantIbLb1EESX_EEDaSS_ST_EUlSS_E0_NS1_11comp_targetILNS1_3genE5ELNS1_11target_archE942ELNS1_3gpuE9ELNS1_3repE0EEENS1_30default_config_static_selectorELNS0_4arch9wavefront6targetE1EEEvT1_,@function
_ZN7rocprim17ROCPRIM_400000_NS6detail17trampoline_kernelINS0_14default_configENS1_20scan_config_selectorIjEEZZNS1_9scan_implILNS1_25lookback_scan_determinismE0ELb0ELb0ES3_N6thrust23THRUST_200600_302600_NS6detail15normal_iteratorINS9_10device_ptrIjEEEENS9_16discard_iteratorINS9_11use_defaultEEEj11max_functorIjEjEEDaPvRmT3_T4_T5_mT6_P12ihipStream_tbENKUlT_T0_E_clISt17integral_constantIbLb1EESX_EEDaSS_ST_EUlSS_E0_NS1_11comp_targetILNS1_3genE5ELNS1_11target_archE942ELNS1_3gpuE9ELNS1_3repE0EEENS1_30default_config_static_selectorELNS0_4arch9wavefront6targetE1EEEvT1_: ; @_ZN7rocprim17ROCPRIM_400000_NS6detail17trampoline_kernelINS0_14default_configENS1_20scan_config_selectorIjEEZZNS1_9scan_implILNS1_25lookback_scan_determinismE0ELb0ELb0ES3_N6thrust23THRUST_200600_302600_NS6detail15normal_iteratorINS9_10device_ptrIjEEEENS9_16discard_iteratorINS9_11use_defaultEEEj11max_functorIjEjEEDaPvRmT3_T4_T5_mT6_P12ihipStream_tbENKUlT_T0_E_clISt17integral_constantIbLb1EESX_EEDaSS_ST_EUlSS_E0_NS1_11comp_targetILNS1_3genE5ELNS1_11target_archE942ELNS1_3gpuE9ELNS1_3repE0EEENS1_30default_config_static_selectorELNS0_4arch9wavefront6targetE1EEEvT1_
; %bb.0:
	.section	.rodata,"a",@progbits
	.p2align	6, 0x0
	.amdhsa_kernel _ZN7rocprim17ROCPRIM_400000_NS6detail17trampoline_kernelINS0_14default_configENS1_20scan_config_selectorIjEEZZNS1_9scan_implILNS1_25lookback_scan_determinismE0ELb0ELb0ES3_N6thrust23THRUST_200600_302600_NS6detail15normal_iteratorINS9_10device_ptrIjEEEENS9_16discard_iteratorINS9_11use_defaultEEEj11max_functorIjEjEEDaPvRmT3_T4_T5_mT6_P12ihipStream_tbENKUlT_T0_E_clISt17integral_constantIbLb1EESX_EEDaSS_ST_EUlSS_E0_NS1_11comp_targetILNS1_3genE5ELNS1_11target_archE942ELNS1_3gpuE9ELNS1_3repE0EEENS1_30default_config_static_selectorELNS0_4arch9wavefront6targetE1EEEvT1_
		.amdhsa_group_segment_fixed_size 0
		.amdhsa_private_segment_fixed_size 0
		.amdhsa_kernarg_size 40
		.amdhsa_user_sgpr_count 6
		.amdhsa_user_sgpr_private_segment_buffer 1
		.amdhsa_user_sgpr_dispatch_ptr 0
		.amdhsa_user_sgpr_queue_ptr 0
		.amdhsa_user_sgpr_kernarg_segment_ptr 1
		.amdhsa_user_sgpr_dispatch_id 0
		.amdhsa_user_sgpr_flat_scratch_init 0
		.amdhsa_user_sgpr_kernarg_preload_length 0
		.amdhsa_user_sgpr_kernarg_preload_offset 0
		.amdhsa_user_sgpr_private_segment_size 0
		.amdhsa_uses_dynamic_stack 0
		.amdhsa_system_sgpr_private_segment_wavefront_offset 0
		.amdhsa_system_sgpr_workgroup_id_x 1
		.amdhsa_system_sgpr_workgroup_id_y 0
		.amdhsa_system_sgpr_workgroup_id_z 0
		.amdhsa_system_sgpr_workgroup_info 0
		.amdhsa_system_vgpr_workitem_id 0
		.amdhsa_next_free_vgpr 1
		.amdhsa_next_free_sgpr 0
		.amdhsa_accum_offset 4
		.amdhsa_reserve_vcc 0
		.amdhsa_reserve_flat_scratch 0
		.amdhsa_float_round_mode_32 0
		.amdhsa_float_round_mode_16_64 0
		.amdhsa_float_denorm_mode_32 3
		.amdhsa_float_denorm_mode_16_64 3
		.amdhsa_dx10_clamp 1
		.amdhsa_ieee_mode 1
		.amdhsa_fp16_overflow 0
		.amdhsa_tg_split 0
		.amdhsa_exception_fp_ieee_invalid_op 0
		.amdhsa_exception_fp_denorm_src 0
		.amdhsa_exception_fp_ieee_div_zero 0
		.amdhsa_exception_fp_ieee_overflow 0
		.amdhsa_exception_fp_ieee_underflow 0
		.amdhsa_exception_fp_ieee_inexact 0
		.amdhsa_exception_int_div_zero 0
	.end_amdhsa_kernel
	.section	.text._ZN7rocprim17ROCPRIM_400000_NS6detail17trampoline_kernelINS0_14default_configENS1_20scan_config_selectorIjEEZZNS1_9scan_implILNS1_25lookback_scan_determinismE0ELb0ELb0ES3_N6thrust23THRUST_200600_302600_NS6detail15normal_iteratorINS9_10device_ptrIjEEEENS9_16discard_iteratorINS9_11use_defaultEEEj11max_functorIjEjEEDaPvRmT3_T4_T5_mT6_P12ihipStream_tbENKUlT_T0_E_clISt17integral_constantIbLb1EESX_EEDaSS_ST_EUlSS_E0_NS1_11comp_targetILNS1_3genE5ELNS1_11target_archE942ELNS1_3gpuE9ELNS1_3repE0EEENS1_30default_config_static_selectorELNS0_4arch9wavefront6targetE1EEEvT1_,"axG",@progbits,_ZN7rocprim17ROCPRIM_400000_NS6detail17trampoline_kernelINS0_14default_configENS1_20scan_config_selectorIjEEZZNS1_9scan_implILNS1_25lookback_scan_determinismE0ELb0ELb0ES3_N6thrust23THRUST_200600_302600_NS6detail15normal_iteratorINS9_10device_ptrIjEEEENS9_16discard_iteratorINS9_11use_defaultEEEj11max_functorIjEjEEDaPvRmT3_T4_T5_mT6_P12ihipStream_tbENKUlT_T0_E_clISt17integral_constantIbLb1EESX_EEDaSS_ST_EUlSS_E0_NS1_11comp_targetILNS1_3genE5ELNS1_11target_archE942ELNS1_3gpuE9ELNS1_3repE0EEENS1_30default_config_static_selectorELNS0_4arch9wavefront6targetE1EEEvT1_,comdat
.Lfunc_end3450:
	.size	_ZN7rocprim17ROCPRIM_400000_NS6detail17trampoline_kernelINS0_14default_configENS1_20scan_config_selectorIjEEZZNS1_9scan_implILNS1_25lookback_scan_determinismE0ELb0ELb0ES3_N6thrust23THRUST_200600_302600_NS6detail15normal_iteratorINS9_10device_ptrIjEEEENS9_16discard_iteratorINS9_11use_defaultEEEj11max_functorIjEjEEDaPvRmT3_T4_T5_mT6_P12ihipStream_tbENKUlT_T0_E_clISt17integral_constantIbLb1EESX_EEDaSS_ST_EUlSS_E0_NS1_11comp_targetILNS1_3genE5ELNS1_11target_archE942ELNS1_3gpuE9ELNS1_3repE0EEENS1_30default_config_static_selectorELNS0_4arch9wavefront6targetE1EEEvT1_, .Lfunc_end3450-_ZN7rocprim17ROCPRIM_400000_NS6detail17trampoline_kernelINS0_14default_configENS1_20scan_config_selectorIjEEZZNS1_9scan_implILNS1_25lookback_scan_determinismE0ELb0ELb0ES3_N6thrust23THRUST_200600_302600_NS6detail15normal_iteratorINS9_10device_ptrIjEEEENS9_16discard_iteratorINS9_11use_defaultEEEj11max_functorIjEjEEDaPvRmT3_T4_T5_mT6_P12ihipStream_tbENKUlT_T0_E_clISt17integral_constantIbLb1EESX_EEDaSS_ST_EUlSS_E0_NS1_11comp_targetILNS1_3genE5ELNS1_11target_archE942ELNS1_3gpuE9ELNS1_3repE0EEENS1_30default_config_static_selectorELNS0_4arch9wavefront6targetE1EEEvT1_
                                        ; -- End function
	.section	.AMDGPU.csdata,"",@progbits
; Kernel info:
; codeLenInByte = 0
; NumSgprs: 4
; NumVgprs: 0
; NumAgprs: 0
; TotalNumVgprs: 0
; ScratchSize: 0
; MemoryBound: 0
; FloatMode: 240
; IeeeMode: 1
; LDSByteSize: 0 bytes/workgroup (compile time only)
; SGPRBlocks: 0
; VGPRBlocks: 0
; NumSGPRsForWavesPerEU: 4
; NumVGPRsForWavesPerEU: 1
; AccumOffset: 4
; Occupancy: 8
; WaveLimiterHint : 0
; COMPUTE_PGM_RSRC2:SCRATCH_EN: 0
; COMPUTE_PGM_RSRC2:USER_SGPR: 6
; COMPUTE_PGM_RSRC2:TRAP_HANDLER: 0
; COMPUTE_PGM_RSRC2:TGID_X_EN: 1
; COMPUTE_PGM_RSRC2:TGID_Y_EN: 0
; COMPUTE_PGM_RSRC2:TGID_Z_EN: 0
; COMPUTE_PGM_RSRC2:TIDIG_COMP_CNT: 0
; COMPUTE_PGM_RSRC3_GFX90A:ACCUM_OFFSET: 0
; COMPUTE_PGM_RSRC3_GFX90A:TG_SPLIT: 0
	.section	.text._ZN7rocprim17ROCPRIM_400000_NS6detail17trampoline_kernelINS0_14default_configENS1_20scan_config_selectorIjEEZZNS1_9scan_implILNS1_25lookback_scan_determinismE0ELb0ELb0ES3_N6thrust23THRUST_200600_302600_NS6detail15normal_iteratorINS9_10device_ptrIjEEEENS9_16discard_iteratorINS9_11use_defaultEEEj11max_functorIjEjEEDaPvRmT3_T4_T5_mT6_P12ihipStream_tbENKUlT_T0_E_clISt17integral_constantIbLb1EESX_EEDaSS_ST_EUlSS_E0_NS1_11comp_targetILNS1_3genE4ELNS1_11target_archE910ELNS1_3gpuE8ELNS1_3repE0EEENS1_30default_config_static_selectorELNS0_4arch9wavefront6targetE1EEEvT1_,"axG",@progbits,_ZN7rocprim17ROCPRIM_400000_NS6detail17trampoline_kernelINS0_14default_configENS1_20scan_config_selectorIjEEZZNS1_9scan_implILNS1_25lookback_scan_determinismE0ELb0ELb0ES3_N6thrust23THRUST_200600_302600_NS6detail15normal_iteratorINS9_10device_ptrIjEEEENS9_16discard_iteratorINS9_11use_defaultEEEj11max_functorIjEjEEDaPvRmT3_T4_T5_mT6_P12ihipStream_tbENKUlT_T0_E_clISt17integral_constantIbLb1EESX_EEDaSS_ST_EUlSS_E0_NS1_11comp_targetILNS1_3genE4ELNS1_11target_archE910ELNS1_3gpuE8ELNS1_3repE0EEENS1_30default_config_static_selectorELNS0_4arch9wavefront6targetE1EEEvT1_,comdat
	.protected	_ZN7rocprim17ROCPRIM_400000_NS6detail17trampoline_kernelINS0_14default_configENS1_20scan_config_selectorIjEEZZNS1_9scan_implILNS1_25lookback_scan_determinismE0ELb0ELb0ES3_N6thrust23THRUST_200600_302600_NS6detail15normal_iteratorINS9_10device_ptrIjEEEENS9_16discard_iteratorINS9_11use_defaultEEEj11max_functorIjEjEEDaPvRmT3_T4_T5_mT6_P12ihipStream_tbENKUlT_T0_E_clISt17integral_constantIbLb1EESX_EEDaSS_ST_EUlSS_E0_NS1_11comp_targetILNS1_3genE4ELNS1_11target_archE910ELNS1_3gpuE8ELNS1_3repE0EEENS1_30default_config_static_selectorELNS0_4arch9wavefront6targetE1EEEvT1_ ; -- Begin function _ZN7rocprim17ROCPRIM_400000_NS6detail17trampoline_kernelINS0_14default_configENS1_20scan_config_selectorIjEEZZNS1_9scan_implILNS1_25lookback_scan_determinismE0ELb0ELb0ES3_N6thrust23THRUST_200600_302600_NS6detail15normal_iteratorINS9_10device_ptrIjEEEENS9_16discard_iteratorINS9_11use_defaultEEEj11max_functorIjEjEEDaPvRmT3_T4_T5_mT6_P12ihipStream_tbENKUlT_T0_E_clISt17integral_constantIbLb1EESX_EEDaSS_ST_EUlSS_E0_NS1_11comp_targetILNS1_3genE4ELNS1_11target_archE910ELNS1_3gpuE8ELNS1_3repE0EEENS1_30default_config_static_selectorELNS0_4arch9wavefront6targetE1EEEvT1_
	.globl	_ZN7rocprim17ROCPRIM_400000_NS6detail17trampoline_kernelINS0_14default_configENS1_20scan_config_selectorIjEEZZNS1_9scan_implILNS1_25lookback_scan_determinismE0ELb0ELb0ES3_N6thrust23THRUST_200600_302600_NS6detail15normal_iteratorINS9_10device_ptrIjEEEENS9_16discard_iteratorINS9_11use_defaultEEEj11max_functorIjEjEEDaPvRmT3_T4_T5_mT6_P12ihipStream_tbENKUlT_T0_E_clISt17integral_constantIbLb1EESX_EEDaSS_ST_EUlSS_E0_NS1_11comp_targetILNS1_3genE4ELNS1_11target_archE910ELNS1_3gpuE8ELNS1_3repE0EEENS1_30default_config_static_selectorELNS0_4arch9wavefront6targetE1EEEvT1_
	.p2align	8
	.type	_ZN7rocprim17ROCPRIM_400000_NS6detail17trampoline_kernelINS0_14default_configENS1_20scan_config_selectorIjEEZZNS1_9scan_implILNS1_25lookback_scan_determinismE0ELb0ELb0ES3_N6thrust23THRUST_200600_302600_NS6detail15normal_iteratorINS9_10device_ptrIjEEEENS9_16discard_iteratorINS9_11use_defaultEEEj11max_functorIjEjEEDaPvRmT3_T4_T5_mT6_P12ihipStream_tbENKUlT_T0_E_clISt17integral_constantIbLb1EESX_EEDaSS_ST_EUlSS_E0_NS1_11comp_targetILNS1_3genE4ELNS1_11target_archE910ELNS1_3gpuE8ELNS1_3repE0EEENS1_30default_config_static_selectorELNS0_4arch9wavefront6targetE1EEEvT1_,@function
_ZN7rocprim17ROCPRIM_400000_NS6detail17trampoline_kernelINS0_14default_configENS1_20scan_config_selectorIjEEZZNS1_9scan_implILNS1_25lookback_scan_determinismE0ELb0ELb0ES3_N6thrust23THRUST_200600_302600_NS6detail15normal_iteratorINS9_10device_ptrIjEEEENS9_16discard_iteratorINS9_11use_defaultEEEj11max_functorIjEjEEDaPvRmT3_T4_T5_mT6_P12ihipStream_tbENKUlT_T0_E_clISt17integral_constantIbLb1EESX_EEDaSS_ST_EUlSS_E0_NS1_11comp_targetILNS1_3genE4ELNS1_11target_archE910ELNS1_3gpuE8ELNS1_3repE0EEENS1_30default_config_static_selectorELNS0_4arch9wavefront6targetE1EEEvT1_: ; @_ZN7rocprim17ROCPRIM_400000_NS6detail17trampoline_kernelINS0_14default_configENS1_20scan_config_selectorIjEEZZNS1_9scan_implILNS1_25lookback_scan_determinismE0ELb0ELb0ES3_N6thrust23THRUST_200600_302600_NS6detail15normal_iteratorINS9_10device_ptrIjEEEENS9_16discard_iteratorINS9_11use_defaultEEEj11max_functorIjEjEEDaPvRmT3_T4_T5_mT6_P12ihipStream_tbENKUlT_T0_E_clISt17integral_constantIbLb1EESX_EEDaSS_ST_EUlSS_E0_NS1_11comp_targetILNS1_3genE4ELNS1_11target_archE910ELNS1_3gpuE8ELNS1_3repE0EEENS1_30default_config_static_selectorELNS0_4arch9wavefront6targetE1EEEvT1_
; %bb.0:
	s_load_dwordx4 s[0:3], s[4:5], 0x0
	v_lshlrev_b32_e32 v20, 2, v0
	s_waitcnt lgkmcnt(0)
	s_load_dword s3, s[0:1], 0x0
	v_cmp_gt_u32_e32 vcc, s2, v0
	s_waitcnt lgkmcnt(0)
	v_mov_b32_e32 v1, s3
	s_and_saveexec_b64 s[4:5], vcc
	s_cbranch_execz .LBB3451_2
; %bb.1:
	global_load_dword v1, v20, s[0:1]
.LBB3451_2:
	s_or_b64 exec, exec, s[4:5]
	v_or_b32_e32 v2, 0x80, v0
	v_cmp_gt_u32_e32 vcc, s2, v2
	v_mov_b32_e32 v2, s3
	s_and_saveexec_b64 s[4:5], vcc
	s_cbranch_execz .LBB3451_4
; %bb.3:
	global_load_dword v2, v20, s[0:1] offset:512
.LBB3451_4:
	s_or_b64 exec, exec, s[4:5]
	v_or_b32_e32 v3, 0x100, v0
	v_cmp_gt_u32_e32 vcc, s2, v3
	v_mov_b32_e32 v3, s3
	s_and_saveexec_b64 s[4:5], vcc
	s_cbranch_execz .LBB3451_6
; %bb.5:
	global_load_dword v3, v20, s[0:1] offset:1024
.LBB3451_6:
	;; [unrolled: 9-line block ×7, first 2 shown]
	s_or_b64 exec, exec, s[4:5]
	v_or_b32_e32 v10, 0x400, v0
	v_cmp_gt_u32_e32 vcc, s2, v10
	v_mov_b32_e32 v9, s3
	s_and_saveexec_b64 s[4:5], vcc
	s_cbranch_execz .LBB3451_18
; %bb.17:
	v_lshlrev_b32_e32 v9, 2, v10
	global_load_dword v9, v9, s[0:1]
.LBB3451_18:
	s_or_b64 exec, exec, s[4:5]
	v_or_b32_e32 v11, 0x480, v0
	v_cmp_gt_u32_e32 vcc, s2, v11
	v_mov_b32_e32 v10, s3
	s_and_saveexec_b64 s[2:3], vcc
	s_cbranch_execz .LBB3451_20
; %bb.19:
	v_lshlrev_b32_e32 v10, 2, v11
	global_load_dword v10, v10, s[0:1]
.LBB3451_20:
	s_or_b64 exec, exec, s[2:3]
	s_waitcnt vmcnt(0)
	ds_write2st64_b32 v20, v1, v2 offset1:2
	ds_write2st64_b32 v20, v3, v4 offset0:4 offset1:6
	ds_write2st64_b32 v20, v5, v6 offset0:8 offset1:10
	;; [unrolled: 1-line block ×4, first 2 shown]
	v_mad_u32_u24 v1, v0, 36, v20
	s_waitcnt lgkmcnt(0)
	s_barrier
	ds_read2_b64 v[6:9], v1 offset1:1
	ds_read2_b64 v[2:5], v1 offset0:2 offset1:3
	ds_read_b64 v[18:19], v1 offset:32
	v_lshrrev_b32_e32 v21, 3, v0
	v_and_b32_e32 v21, 12, v21
	s_waitcnt lgkmcnt(2)
	v_max_u32_e32 v1, v6, v7
	v_max_u32_e32 v14, v1, v8
	;; [unrolled: 1-line block ×3, first 2 shown]
	s_waitcnt lgkmcnt(1)
	v_max_u32_e32 v10, v15, v2
	v_max_u32_e32 v11, v10, v3
	;; [unrolled: 1-line block ×4, first 2 shown]
	s_waitcnt lgkmcnt(0)
	v_max_u32_e32 v16, v13, v18
	v_max_u32_e32 v17, v16, v19
	v_add_u32_e32 v21, v20, v21
	v_cmp_gt_u32_e32 vcc, 64, v0
	s_barrier
	ds_write_b32 v21, v17
	s_waitcnt lgkmcnt(0)
	s_barrier
	s_and_saveexec_b64 s[0:1], vcc
	s_cbranch_execz .LBB3451_22
; %bb.21:
	v_lshlrev_b32_e32 v21, 1, v0
	v_lshrrev_b32_e32 v22, 4, v0
	v_add_lshl_u32 v21, v22, v21, 2
	ds_read2_b32 v[22:23], v21 offset1:1
	v_mbcnt_lo_u32_b32 v24, -1, 0
	v_mbcnt_hi_u32_b32 v24, -1, v24
	v_and_b32_e32 v25, 15, v24
	v_cmp_eq_u32_e32 vcc, 0, v25
	s_waitcnt lgkmcnt(0)
	v_max_u32_e32 v23, v22, v23
	; wave barrier
	s_nop 1
	v_mov_b32_dpp v26, v23 row_shr:1 row_mask:0xf bank_mask:0xf
	v_max_u32_e32 v26, v26, v23
	v_cndmask_b32_e32 v23, v26, v23, vcc
	v_cmp_lt_u32_e32 vcc, 1, v25
	s_nop 0
	v_mov_b32_dpp v26, v23 row_shr:2 row_mask:0xf bank_mask:0xf
	v_max_u32_e32 v26, v26, v23
	v_cndmask_b32_e32 v23, v23, v26, vcc
	v_cmp_lt_u32_e32 vcc, 3, v25
	;; [unrolled: 5-line block ×3, first 2 shown]
	s_nop 0
	v_mov_b32_dpp v26, v23 row_shr:8 row_mask:0xf bank_mask:0xf
	v_max_u32_e32 v26, v26, v23
	v_cndmask_b32_e32 v23, v23, v26, vcc
	v_and_b32_e32 v26, 16, v24
	v_cmp_eq_u32_e32 vcc, 0, v26
	v_mov_b32_dpp v25, v23 row_bcast:15 row_mask:0xf bank_mask:0xf
	v_max_u32_e32 v25, v25, v23
	v_cndmask_b32_e32 v23, v25, v23, vcc
	v_cmp_lt_u32_e32 vcc, 31, v24
	v_and_b32_e32 v26, 64, v24
	v_mov_b32_dpp v25, v23 row_bcast:31 row_mask:0xf bank_mask:0xf
	v_max_u32_e32 v25, v25, v23
	v_cndmask_b32_e32 v23, v23, v25, vcc
	v_add_u32_e32 v25, -1, v24
	v_cmp_lt_i32_e32 vcc, v25, v26
	v_cndmask_b32_e32 v24, v25, v24, vcc
	v_lshlrev_b32_e32 v24, 2, v24
	ds_bpermute_b32 v23, v24, v23
	v_cmp_eq_u32_e32 vcc, 0, v0
	s_waitcnt lgkmcnt(0)
	v_max_u32_e32 v22, v23, v22
	v_cndmask_b32_e32 v22, v22, v17, vcc
	ds_write_b32 v21, v22
	; wave barrier
	ds_read_b32 v23, v21 offset:4
	s_waitcnt lgkmcnt(0)
	v_max_u32_e32 v22, v22, v23
	ds_write_b32 v21, v22 offset:4
.LBB3451_22:
	s_or_b64 exec, exec, s[0:1]
	v_cmp_ne_u32_e32 vcc, 0, v0
	v_mov_b32_e32 v22, v17
	s_waitcnt lgkmcnt(0)
	s_barrier
	s_and_saveexec_b64 s[0:1], vcc
	s_cbranch_execz .LBB3451_24
; %bb.23:
	v_add_u32_e32 v21, -1, v0
	v_lshrrev_b32_e32 v22, 5, v21
	v_add_lshl_u32 v21, v22, v21, 2
	ds_read_b32 v22, v21
.LBB3451_24:
	s_or_b64 exec, exec, s[0:1]
	v_mul_u32_u24_e32 v21, 36, v0
	v_mov_b32_e32 v0, v6
	s_and_saveexec_b64 s[0:1], vcc
	s_cbranch_execz .LBB3451_26
; %bb.25:
	s_waitcnt lgkmcnt(0)
	v_max_u32_e32 v0, v22, v6
	v_max_u32_e32 v1, v0, v7
	;; [unrolled: 1-line block ×10, first 2 shown]
	;;#ASMSTART
	;;#ASMEND
.LBB3451_26:
	s_or_b64 exec, exec, s[0:1]
	v_add_u32_e32 v2, v20, v21
	s_waitcnt lgkmcnt(0)
	s_barrier
	ds_write2_b64 v2, v[0:1], v[14:15] offset1:1
	ds_write2_b64 v2, v[10:11], v[12:13] offset0:2 offset1:3
	ds_write_b64 v2, v[16:17] offset:32
	s_waitcnt lgkmcnt(0)
	s_barrier
	s_endpgm
	.section	.rodata,"a",@progbits
	.p2align	6, 0x0
	.amdhsa_kernel _ZN7rocprim17ROCPRIM_400000_NS6detail17trampoline_kernelINS0_14default_configENS1_20scan_config_selectorIjEEZZNS1_9scan_implILNS1_25lookback_scan_determinismE0ELb0ELb0ES3_N6thrust23THRUST_200600_302600_NS6detail15normal_iteratorINS9_10device_ptrIjEEEENS9_16discard_iteratorINS9_11use_defaultEEEj11max_functorIjEjEEDaPvRmT3_T4_T5_mT6_P12ihipStream_tbENKUlT_T0_E_clISt17integral_constantIbLb1EESX_EEDaSS_ST_EUlSS_E0_NS1_11comp_targetILNS1_3genE4ELNS1_11target_archE910ELNS1_3gpuE8ELNS1_3repE0EEENS1_30default_config_static_selectorELNS0_4arch9wavefront6targetE1EEEvT1_
		.amdhsa_group_segment_fixed_size 5120
		.amdhsa_private_segment_fixed_size 0
		.amdhsa_kernarg_size 40
		.amdhsa_user_sgpr_count 6
		.amdhsa_user_sgpr_private_segment_buffer 1
		.amdhsa_user_sgpr_dispatch_ptr 0
		.amdhsa_user_sgpr_queue_ptr 0
		.amdhsa_user_sgpr_kernarg_segment_ptr 1
		.amdhsa_user_sgpr_dispatch_id 0
		.amdhsa_user_sgpr_flat_scratch_init 0
		.amdhsa_user_sgpr_kernarg_preload_length 0
		.amdhsa_user_sgpr_kernarg_preload_offset 0
		.amdhsa_user_sgpr_private_segment_size 0
		.amdhsa_uses_dynamic_stack 0
		.amdhsa_system_sgpr_private_segment_wavefront_offset 0
		.amdhsa_system_sgpr_workgroup_id_x 1
		.amdhsa_system_sgpr_workgroup_id_y 0
		.amdhsa_system_sgpr_workgroup_id_z 0
		.amdhsa_system_sgpr_workgroup_info 0
		.amdhsa_system_vgpr_workitem_id 0
		.amdhsa_next_free_vgpr 27
		.amdhsa_next_free_sgpr 6
		.amdhsa_accum_offset 28
		.amdhsa_reserve_vcc 1
		.amdhsa_reserve_flat_scratch 0
		.amdhsa_float_round_mode_32 0
		.amdhsa_float_round_mode_16_64 0
		.amdhsa_float_denorm_mode_32 3
		.amdhsa_float_denorm_mode_16_64 3
		.amdhsa_dx10_clamp 1
		.amdhsa_ieee_mode 1
		.amdhsa_fp16_overflow 0
		.amdhsa_tg_split 0
		.amdhsa_exception_fp_ieee_invalid_op 0
		.amdhsa_exception_fp_denorm_src 0
		.amdhsa_exception_fp_ieee_div_zero 0
		.amdhsa_exception_fp_ieee_overflow 0
		.amdhsa_exception_fp_ieee_underflow 0
		.amdhsa_exception_fp_ieee_inexact 0
		.amdhsa_exception_int_div_zero 0
	.end_amdhsa_kernel
	.section	.text._ZN7rocprim17ROCPRIM_400000_NS6detail17trampoline_kernelINS0_14default_configENS1_20scan_config_selectorIjEEZZNS1_9scan_implILNS1_25lookback_scan_determinismE0ELb0ELb0ES3_N6thrust23THRUST_200600_302600_NS6detail15normal_iteratorINS9_10device_ptrIjEEEENS9_16discard_iteratorINS9_11use_defaultEEEj11max_functorIjEjEEDaPvRmT3_T4_T5_mT6_P12ihipStream_tbENKUlT_T0_E_clISt17integral_constantIbLb1EESX_EEDaSS_ST_EUlSS_E0_NS1_11comp_targetILNS1_3genE4ELNS1_11target_archE910ELNS1_3gpuE8ELNS1_3repE0EEENS1_30default_config_static_selectorELNS0_4arch9wavefront6targetE1EEEvT1_,"axG",@progbits,_ZN7rocprim17ROCPRIM_400000_NS6detail17trampoline_kernelINS0_14default_configENS1_20scan_config_selectorIjEEZZNS1_9scan_implILNS1_25lookback_scan_determinismE0ELb0ELb0ES3_N6thrust23THRUST_200600_302600_NS6detail15normal_iteratorINS9_10device_ptrIjEEEENS9_16discard_iteratorINS9_11use_defaultEEEj11max_functorIjEjEEDaPvRmT3_T4_T5_mT6_P12ihipStream_tbENKUlT_T0_E_clISt17integral_constantIbLb1EESX_EEDaSS_ST_EUlSS_E0_NS1_11comp_targetILNS1_3genE4ELNS1_11target_archE910ELNS1_3gpuE8ELNS1_3repE0EEENS1_30default_config_static_selectorELNS0_4arch9wavefront6targetE1EEEvT1_,comdat
.Lfunc_end3451:
	.size	_ZN7rocprim17ROCPRIM_400000_NS6detail17trampoline_kernelINS0_14default_configENS1_20scan_config_selectorIjEEZZNS1_9scan_implILNS1_25lookback_scan_determinismE0ELb0ELb0ES3_N6thrust23THRUST_200600_302600_NS6detail15normal_iteratorINS9_10device_ptrIjEEEENS9_16discard_iteratorINS9_11use_defaultEEEj11max_functorIjEjEEDaPvRmT3_T4_T5_mT6_P12ihipStream_tbENKUlT_T0_E_clISt17integral_constantIbLb1EESX_EEDaSS_ST_EUlSS_E0_NS1_11comp_targetILNS1_3genE4ELNS1_11target_archE910ELNS1_3gpuE8ELNS1_3repE0EEENS1_30default_config_static_selectorELNS0_4arch9wavefront6targetE1EEEvT1_, .Lfunc_end3451-_ZN7rocprim17ROCPRIM_400000_NS6detail17trampoline_kernelINS0_14default_configENS1_20scan_config_selectorIjEEZZNS1_9scan_implILNS1_25lookback_scan_determinismE0ELb0ELb0ES3_N6thrust23THRUST_200600_302600_NS6detail15normal_iteratorINS9_10device_ptrIjEEEENS9_16discard_iteratorINS9_11use_defaultEEEj11max_functorIjEjEEDaPvRmT3_T4_T5_mT6_P12ihipStream_tbENKUlT_T0_E_clISt17integral_constantIbLb1EESX_EEDaSS_ST_EUlSS_E0_NS1_11comp_targetILNS1_3genE4ELNS1_11target_archE910ELNS1_3gpuE8ELNS1_3repE0EEENS1_30default_config_static_selectorELNS0_4arch9wavefront6targetE1EEEvT1_
                                        ; -- End function
	.section	.AMDGPU.csdata,"",@progbits
; Kernel info:
; codeLenInByte = 1000
; NumSgprs: 10
; NumVgprs: 27
; NumAgprs: 0
; TotalNumVgprs: 27
; ScratchSize: 0
; MemoryBound: 0
; FloatMode: 240
; IeeeMode: 1
; LDSByteSize: 5120 bytes/workgroup (compile time only)
; SGPRBlocks: 1
; VGPRBlocks: 3
; NumSGPRsForWavesPerEU: 10
; NumVGPRsForWavesPerEU: 27
; AccumOffset: 28
; Occupancy: 6
; WaveLimiterHint : 0
; COMPUTE_PGM_RSRC2:SCRATCH_EN: 0
; COMPUTE_PGM_RSRC2:USER_SGPR: 6
; COMPUTE_PGM_RSRC2:TRAP_HANDLER: 0
; COMPUTE_PGM_RSRC2:TGID_X_EN: 1
; COMPUTE_PGM_RSRC2:TGID_Y_EN: 0
; COMPUTE_PGM_RSRC2:TGID_Z_EN: 0
; COMPUTE_PGM_RSRC2:TIDIG_COMP_CNT: 0
; COMPUTE_PGM_RSRC3_GFX90A:ACCUM_OFFSET: 6
; COMPUTE_PGM_RSRC3_GFX90A:TG_SPLIT: 0
	.section	.text._ZN7rocprim17ROCPRIM_400000_NS6detail17trampoline_kernelINS0_14default_configENS1_20scan_config_selectorIjEEZZNS1_9scan_implILNS1_25lookback_scan_determinismE0ELb0ELb0ES3_N6thrust23THRUST_200600_302600_NS6detail15normal_iteratorINS9_10device_ptrIjEEEENS9_16discard_iteratorINS9_11use_defaultEEEj11max_functorIjEjEEDaPvRmT3_T4_T5_mT6_P12ihipStream_tbENKUlT_T0_E_clISt17integral_constantIbLb1EESX_EEDaSS_ST_EUlSS_E0_NS1_11comp_targetILNS1_3genE3ELNS1_11target_archE908ELNS1_3gpuE7ELNS1_3repE0EEENS1_30default_config_static_selectorELNS0_4arch9wavefront6targetE1EEEvT1_,"axG",@progbits,_ZN7rocprim17ROCPRIM_400000_NS6detail17trampoline_kernelINS0_14default_configENS1_20scan_config_selectorIjEEZZNS1_9scan_implILNS1_25lookback_scan_determinismE0ELb0ELb0ES3_N6thrust23THRUST_200600_302600_NS6detail15normal_iteratorINS9_10device_ptrIjEEEENS9_16discard_iteratorINS9_11use_defaultEEEj11max_functorIjEjEEDaPvRmT3_T4_T5_mT6_P12ihipStream_tbENKUlT_T0_E_clISt17integral_constantIbLb1EESX_EEDaSS_ST_EUlSS_E0_NS1_11comp_targetILNS1_3genE3ELNS1_11target_archE908ELNS1_3gpuE7ELNS1_3repE0EEENS1_30default_config_static_selectorELNS0_4arch9wavefront6targetE1EEEvT1_,comdat
	.protected	_ZN7rocprim17ROCPRIM_400000_NS6detail17trampoline_kernelINS0_14default_configENS1_20scan_config_selectorIjEEZZNS1_9scan_implILNS1_25lookback_scan_determinismE0ELb0ELb0ES3_N6thrust23THRUST_200600_302600_NS6detail15normal_iteratorINS9_10device_ptrIjEEEENS9_16discard_iteratorINS9_11use_defaultEEEj11max_functorIjEjEEDaPvRmT3_T4_T5_mT6_P12ihipStream_tbENKUlT_T0_E_clISt17integral_constantIbLb1EESX_EEDaSS_ST_EUlSS_E0_NS1_11comp_targetILNS1_3genE3ELNS1_11target_archE908ELNS1_3gpuE7ELNS1_3repE0EEENS1_30default_config_static_selectorELNS0_4arch9wavefront6targetE1EEEvT1_ ; -- Begin function _ZN7rocprim17ROCPRIM_400000_NS6detail17trampoline_kernelINS0_14default_configENS1_20scan_config_selectorIjEEZZNS1_9scan_implILNS1_25lookback_scan_determinismE0ELb0ELb0ES3_N6thrust23THRUST_200600_302600_NS6detail15normal_iteratorINS9_10device_ptrIjEEEENS9_16discard_iteratorINS9_11use_defaultEEEj11max_functorIjEjEEDaPvRmT3_T4_T5_mT6_P12ihipStream_tbENKUlT_T0_E_clISt17integral_constantIbLb1EESX_EEDaSS_ST_EUlSS_E0_NS1_11comp_targetILNS1_3genE3ELNS1_11target_archE908ELNS1_3gpuE7ELNS1_3repE0EEENS1_30default_config_static_selectorELNS0_4arch9wavefront6targetE1EEEvT1_
	.globl	_ZN7rocprim17ROCPRIM_400000_NS6detail17trampoline_kernelINS0_14default_configENS1_20scan_config_selectorIjEEZZNS1_9scan_implILNS1_25lookback_scan_determinismE0ELb0ELb0ES3_N6thrust23THRUST_200600_302600_NS6detail15normal_iteratorINS9_10device_ptrIjEEEENS9_16discard_iteratorINS9_11use_defaultEEEj11max_functorIjEjEEDaPvRmT3_T4_T5_mT6_P12ihipStream_tbENKUlT_T0_E_clISt17integral_constantIbLb1EESX_EEDaSS_ST_EUlSS_E0_NS1_11comp_targetILNS1_3genE3ELNS1_11target_archE908ELNS1_3gpuE7ELNS1_3repE0EEENS1_30default_config_static_selectorELNS0_4arch9wavefront6targetE1EEEvT1_
	.p2align	8
	.type	_ZN7rocprim17ROCPRIM_400000_NS6detail17trampoline_kernelINS0_14default_configENS1_20scan_config_selectorIjEEZZNS1_9scan_implILNS1_25lookback_scan_determinismE0ELb0ELb0ES3_N6thrust23THRUST_200600_302600_NS6detail15normal_iteratorINS9_10device_ptrIjEEEENS9_16discard_iteratorINS9_11use_defaultEEEj11max_functorIjEjEEDaPvRmT3_T4_T5_mT6_P12ihipStream_tbENKUlT_T0_E_clISt17integral_constantIbLb1EESX_EEDaSS_ST_EUlSS_E0_NS1_11comp_targetILNS1_3genE3ELNS1_11target_archE908ELNS1_3gpuE7ELNS1_3repE0EEENS1_30default_config_static_selectorELNS0_4arch9wavefront6targetE1EEEvT1_,@function
_ZN7rocprim17ROCPRIM_400000_NS6detail17trampoline_kernelINS0_14default_configENS1_20scan_config_selectorIjEEZZNS1_9scan_implILNS1_25lookback_scan_determinismE0ELb0ELb0ES3_N6thrust23THRUST_200600_302600_NS6detail15normal_iteratorINS9_10device_ptrIjEEEENS9_16discard_iteratorINS9_11use_defaultEEEj11max_functorIjEjEEDaPvRmT3_T4_T5_mT6_P12ihipStream_tbENKUlT_T0_E_clISt17integral_constantIbLb1EESX_EEDaSS_ST_EUlSS_E0_NS1_11comp_targetILNS1_3genE3ELNS1_11target_archE908ELNS1_3gpuE7ELNS1_3repE0EEENS1_30default_config_static_selectorELNS0_4arch9wavefront6targetE1EEEvT1_: ; @_ZN7rocprim17ROCPRIM_400000_NS6detail17trampoline_kernelINS0_14default_configENS1_20scan_config_selectorIjEEZZNS1_9scan_implILNS1_25lookback_scan_determinismE0ELb0ELb0ES3_N6thrust23THRUST_200600_302600_NS6detail15normal_iteratorINS9_10device_ptrIjEEEENS9_16discard_iteratorINS9_11use_defaultEEEj11max_functorIjEjEEDaPvRmT3_T4_T5_mT6_P12ihipStream_tbENKUlT_T0_E_clISt17integral_constantIbLb1EESX_EEDaSS_ST_EUlSS_E0_NS1_11comp_targetILNS1_3genE3ELNS1_11target_archE908ELNS1_3gpuE7ELNS1_3repE0EEENS1_30default_config_static_selectorELNS0_4arch9wavefront6targetE1EEEvT1_
; %bb.0:
	.section	.rodata,"a",@progbits
	.p2align	6, 0x0
	.amdhsa_kernel _ZN7rocprim17ROCPRIM_400000_NS6detail17trampoline_kernelINS0_14default_configENS1_20scan_config_selectorIjEEZZNS1_9scan_implILNS1_25lookback_scan_determinismE0ELb0ELb0ES3_N6thrust23THRUST_200600_302600_NS6detail15normal_iteratorINS9_10device_ptrIjEEEENS9_16discard_iteratorINS9_11use_defaultEEEj11max_functorIjEjEEDaPvRmT3_T4_T5_mT6_P12ihipStream_tbENKUlT_T0_E_clISt17integral_constantIbLb1EESX_EEDaSS_ST_EUlSS_E0_NS1_11comp_targetILNS1_3genE3ELNS1_11target_archE908ELNS1_3gpuE7ELNS1_3repE0EEENS1_30default_config_static_selectorELNS0_4arch9wavefront6targetE1EEEvT1_
		.amdhsa_group_segment_fixed_size 0
		.amdhsa_private_segment_fixed_size 0
		.amdhsa_kernarg_size 40
		.amdhsa_user_sgpr_count 6
		.amdhsa_user_sgpr_private_segment_buffer 1
		.amdhsa_user_sgpr_dispatch_ptr 0
		.amdhsa_user_sgpr_queue_ptr 0
		.amdhsa_user_sgpr_kernarg_segment_ptr 1
		.amdhsa_user_sgpr_dispatch_id 0
		.amdhsa_user_sgpr_flat_scratch_init 0
		.amdhsa_user_sgpr_kernarg_preload_length 0
		.amdhsa_user_sgpr_kernarg_preload_offset 0
		.amdhsa_user_sgpr_private_segment_size 0
		.amdhsa_uses_dynamic_stack 0
		.amdhsa_system_sgpr_private_segment_wavefront_offset 0
		.amdhsa_system_sgpr_workgroup_id_x 1
		.amdhsa_system_sgpr_workgroup_id_y 0
		.amdhsa_system_sgpr_workgroup_id_z 0
		.amdhsa_system_sgpr_workgroup_info 0
		.amdhsa_system_vgpr_workitem_id 0
		.amdhsa_next_free_vgpr 1
		.amdhsa_next_free_sgpr 0
		.amdhsa_accum_offset 4
		.amdhsa_reserve_vcc 0
		.amdhsa_reserve_flat_scratch 0
		.amdhsa_float_round_mode_32 0
		.amdhsa_float_round_mode_16_64 0
		.amdhsa_float_denorm_mode_32 3
		.amdhsa_float_denorm_mode_16_64 3
		.amdhsa_dx10_clamp 1
		.amdhsa_ieee_mode 1
		.amdhsa_fp16_overflow 0
		.amdhsa_tg_split 0
		.amdhsa_exception_fp_ieee_invalid_op 0
		.amdhsa_exception_fp_denorm_src 0
		.amdhsa_exception_fp_ieee_div_zero 0
		.amdhsa_exception_fp_ieee_overflow 0
		.amdhsa_exception_fp_ieee_underflow 0
		.amdhsa_exception_fp_ieee_inexact 0
		.amdhsa_exception_int_div_zero 0
	.end_amdhsa_kernel
	.section	.text._ZN7rocprim17ROCPRIM_400000_NS6detail17trampoline_kernelINS0_14default_configENS1_20scan_config_selectorIjEEZZNS1_9scan_implILNS1_25lookback_scan_determinismE0ELb0ELb0ES3_N6thrust23THRUST_200600_302600_NS6detail15normal_iteratorINS9_10device_ptrIjEEEENS9_16discard_iteratorINS9_11use_defaultEEEj11max_functorIjEjEEDaPvRmT3_T4_T5_mT6_P12ihipStream_tbENKUlT_T0_E_clISt17integral_constantIbLb1EESX_EEDaSS_ST_EUlSS_E0_NS1_11comp_targetILNS1_3genE3ELNS1_11target_archE908ELNS1_3gpuE7ELNS1_3repE0EEENS1_30default_config_static_selectorELNS0_4arch9wavefront6targetE1EEEvT1_,"axG",@progbits,_ZN7rocprim17ROCPRIM_400000_NS6detail17trampoline_kernelINS0_14default_configENS1_20scan_config_selectorIjEEZZNS1_9scan_implILNS1_25lookback_scan_determinismE0ELb0ELb0ES3_N6thrust23THRUST_200600_302600_NS6detail15normal_iteratorINS9_10device_ptrIjEEEENS9_16discard_iteratorINS9_11use_defaultEEEj11max_functorIjEjEEDaPvRmT3_T4_T5_mT6_P12ihipStream_tbENKUlT_T0_E_clISt17integral_constantIbLb1EESX_EEDaSS_ST_EUlSS_E0_NS1_11comp_targetILNS1_3genE3ELNS1_11target_archE908ELNS1_3gpuE7ELNS1_3repE0EEENS1_30default_config_static_selectorELNS0_4arch9wavefront6targetE1EEEvT1_,comdat
.Lfunc_end3452:
	.size	_ZN7rocprim17ROCPRIM_400000_NS6detail17trampoline_kernelINS0_14default_configENS1_20scan_config_selectorIjEEZZNS1_9scan_implILNS1_25lookback_scan_determinismE0ELb0ELb0ES3_N6thrust23THRUST_200600_302600_NS6detail15normal_iteratorINS9_10device_ptrIjEEEENS9_16discard_iteratorINS9_11use_defaultEEEj11max_functorIjEjEEDaPvRmT3_T4_T5_mT6_P12ihipStream_tbENKUlT_T0_E_clISt17integral_constantIbLb1EESX_EEDaSS_ST_EUlSS_E0_NS1_11comp_targetILNS1_3genE3ELNS1_11target_archE908ELNS1_3gpuE7ELNS1_3repE0EEENS1_30default_config_static_selectorELNS0_4arch9wavefront6targetE1EEEvT1_, .Lfunc_end3452-_ZN7rocprim17ROCPRIM_400000_NS6detail17trampoline_kernelINS0_14default_configENS1_20scan_config_selectorIjEEZZNS1_9scan_implILNS1_25lookback_scan_determinismE0ELb0ELb0ES3_N6thrust23THRUST_200600_302600_NS6detail15normal_iteratorINS9_10device_ptrIjEEEENS9_16discard_iteratorINS9_11use_defaultEEEj11max_functorIjEjEEDaPvRmT3_T4_T5_mT6_P12ihipStream_tbENKUlT_T0_E_clISt17integral_constantIbLb1EESX_EEDaSS_ST_EUlSS_E0_NS1_11comp_targetILNS1_3genE3ELNS1_11target_archE908ELNS1_3gpuE7ELNS1_3repE0EEENS1_30default_config_static_selectorELNS0_4arch9wavefront6targetE1EEEvT1_
                                        ; -- End function
	.section	.AMDGPU.csdata,"",@progbits
; Kernel info:
; codeLenInByte = 0
; NumSgprs: 4
; NumVgprs: 0
; NumAgprs: 0
; TotalNumVgprs: 0
; ScratchSize: 0
; MemoryBound: 0
; FloatMode: 240
; IeeeMode: 1
; LDSByteSize: 0 bytes/workgroup (compile time only)
; SGPRBlocks: 0
; VGPRBlocks: 0
; NumSGPRsForWavesPerEU: 4
; NumVGPRsForWavesPerEU: 1
; AccumOffset: 4
; Occupancy: 8
; WaveLimiterHint : 0
; COMPUTE_PGM_RSRC2:SCRATCH_EN: 0
; COMPUTE_PGM_RSRC2:USER_SGPR: 6
; COMPUTE_PGM_RSRC2:TRAP_HANDLER: 0
; COMPUTE_PGM_RSRC2:TGID_X_EN: 1
; COMPUTE_PGM_RSRC2:TGID_Y_EN: 0
; COMPUTE_PGM_RSRC2:TGID_Z_EN: 0
; COMPUTE_PGM_RSRC2:TIDIG_COMP_CNT: 0
; COMPUTE_PGM_RSRC3_GFX90A:ACCUM_OFFSET: 0
; COMPUTE_PGM_RSRC3_GFX90A:TG_SPLIT: 0
	.section	.text._ZN7rocprim17ROCPRIM_400000_NS6detail17trampoline_kernelINS0_14default_configENS1_20scan_config_selectorIjEEZZNS1_9scan_implILNS1_25lookback_scan_determinismE0ELb0ELb0ES3_N6thrust23THRUST_200600_302600_NS6detail15normal_iteratorINS9_10device_ptrIjEEEENS9_16discard_iteratorINS9_11use_defaultEEEj11max_functorIjEjEEDaPvRmT3_T4_T5_mT6_P12ihipStream_tbENKUlT_T0_E_clISt17integral_constantIbLb1EESX_EEDaSS_ST_EUlSS_E0_NS1_11comp_targetILNS1_3genE2ELNS1_11target_archE906ELNS1_3gpuE6ELNS1_3repE0EEENS1_30default_config_static_selectorELNS0_4arch9wavefront6targetE1EEEvT1_,"axG",@progbits,_ZN7rocprim17ROCPRIM_400000_NS6detail17trampoline_kernelINS0_14default_configENS1_20scan_config_selectorIjEEZZNS1_9scan_implILNS1_25lookback_scan_determinismE0ELb0ELb0ES3_N6thrust23THRUST_200600_302600_NS6detail15normal_iteratorINS9_10device_ptrIjEEEENS9_16discard_iteratorINS9_11use_defaultEEEj11max_functorIjEjEEDaPvRmT3_T4_T5_mT6_P12ihipStream_tbENKUlT_T0_E_clISt17integral_constantIbLb1EESX_EEDaSS_ST_EUlSS_E0_NS1_11comp_targetILNS1_3genE2ELNS1_11target_archE906ELNS1_3gpuE6ELNS1_3repE0EEENS1_30default_config_static_selectorELNS0_4arch9wavefront6targetE1EEEvT1_,comdat
	.protected	_ZN7rocprim17ROCPRIM_400000_NS6detail17trampoline_kernelINS0_14default_configENS1_20scan_config_selectorIjEEZZNS1_9scan_implILNS1_25lookback_scan_determinismE0ELb0ELb0ES3_N6thrust23THRUST_200600_302600_NS6detail15normal_iteratorINS9_10device_ptrIjEEEENS9_16discard_iteratorINS9_11use_defaultEEEj11max_functorIjEjEEDaPvRmT3_T4_T5_mT6_P12ihipStream_tbENKUlT_T0_E_clISt17integral_constantIbLb1EESX_EEDaSS_ST_EUlSS_E0_NS1_11comp_targetILNS1_3genE2ELNS1_11target_archE906ELNS1_3gpuE6ELNS1_3repE0EEENS1_30default_config_static_selectorELNS0_4arch9wavefront6targetE1EEEvT1_ ; -- Begin function _ZN7rocprim17ROCPRIM_400000_NS6detail17trampoline_kernelINS0_14default_configENS1_20scan_config_selectorIjEEZZNS1_9scan_implILNS1_25lookback_scan_determinismE0ELb0ELb0ES3_N6thrust23THRUST_200600_302600_NS6detail15normal_iteratorINS9_10device_ptrIjEEEENS9_16discard_iteratorINS9_11use_defaultEEEj11max_functorIjEjEEDaPvRmT3_T4_T5_mT6_P12ihipStream_tbENKUlT_T0_E_clISt17integral_constantIbLb1EESX_EEDaSS_ST_EUlSS_E0_NS1_11comp_targetILNS1_3genE2ELNS1_11target_archE906ELNS1_3gpuE6ELNS1_3repE0EEENS1_30default_config_static_selectorELNS0_4arch9wavefront6targetE1EEEvT1_
	.globl	_ZN7rocprim17ROCPRIM_400000_NS6detail17trampoline_kernelINS0_14default_configENS1_20scan_config_selectorIjEEZZNS1_9scan_implILNS1_25lookback_scan_determinismE0ELb0ELb0ES3_N6thrust23THRUST_200600_302600_NS6detail15normal_iteratorINS9_10device_ptrIjEEEENS9_16discard_iteratorINS9_11use_defaultEEEj11max_functorIjEjEEDaPvRmT3_T4_T5_mT6_P12ihipStream_tbENKUlT_T0_E_clISt17integral_constantIbLb1EESX_EEDaSS_ST_EUlSS_E0_NS1_11comp_targetILNS1_3genE2ELNS1_11target_archE906ELNS1_3gpuE6ELNS1_3repE0EEENS1_30default_config_static_selectorELNS0_4arch9wavefront6targetE1EEEvT1_
	.p2align	8
	.type	_ZN7rocprim17ROCPRIM_400000_NS6detail17trampoline_kernelINS0_14default_configENS1_20scan_config_selectorIjEEZZNS1_9scan_implILNS1_25lookback_scan_determinismE0ELb0ELb0ES3_N6thrust23THRUST_200600_302600_NS6detail15normal_iteratorINS9_10device_ptrIjEEEENS9_16discard_iteratorINS9_11use_defaultEEEj11max_functorIjEjEEDaPvRmT3_T4_T5_mT6_P12ihipStream_tbENKUlT_T0_E_clISt17integral_constantIbLb1EESX_EEDaSS_ST_EUlSS_E0_NS1_11comp_targetILNS1_3genE2ELNS1_11target_archE906ELNS1_3gpuE6ELNS1_3repE0EEENS1_30default_config_static_selectorELNS0_4arch9wavefront6targetE1EEEvT1_,@function
_ZN7rocprim17ROCPRIM_400000_NS6detail17trampoline_kernelINS0_14default_configENS1_20scan_config_selectorIjEEZZNS1_9scan_implILNS1_25lookback_scan_determinismE0ELb0ELb0ES3_N6thrust23THRUST_200600_302600_NS6detail15normal_iteratorINS9_10device_ptrIjEEEENS9_16discard_iteratorINS9_11use_defaultEEEj11max_functorIjEjEEDaPvRmT3_T4_T5_mT6_P12ihipStream_tbENKUlT_T0_E_clISt17integral_constantIbLb1EESX_EEDaSS_ST_EUlSS_E0_NS1_11comp_targetILNS1_3genE2ELNS1_11target_archE906ELNS1_3gpuE6ELNS1_3repE0EEENS1_30default_config_static_selectorELNS0_4arch9wavefront6targetE1EEEvT1_: ; @_ZN7rocprim17ROCPRIM_400000_NS6detail17trampoline_kernelINS0_14default_configENS1_20scan_config_selectorIjEEZZNS1_9scan_implILNS1_25lookback_scan_determinismE0ELb0ELb0ES3_N6thrust23THRUST_200600_302600_NS6detail15normal_iteratorINS9_10device_ptrIjEEEENS9_16discard_iteratorINS9_11use_defaultEEEj11max_functorIjEjEEDaPvRmT3_T4_T5_mT6_P12ihipStream_tbENKUlT_T0_E_clISt17integral_constantIbLb1EESX_EEDaSS_ST_EUlSS_E0_NS1_11comp_targetILNS1_3genE2ELNS1_11target_archE906ELNS1_3gpuE6ELNS1_3repE0EEENS1_30default_config_static_selectorELNS0_4arch9wavefront6targetE1EEEvT1_
; %bb.0:
	.section	.rodata,"a",@progbits
	.p2align	6, 0x0
	.amdhsa_kernel _ZN7rocprim17ROCPRIM_400000_NS6detail17trampoline_kernelINS0_14default_configENS1_20scan_config_selectorIjEEZZNS1_9scan_implILNS1_25lookback_scan_determinismE0ELb0ELb0ES3_N6thrust23THRUST_200600_302600_NS6detail15normal_iteratorINS9_10device_ptrIjEEEENS9_16discard_iteratorINS9_11use_defaultEEEj11max_functorIjEjEEDaPvRmT3_T4_T5_mT6_P12ihipStream_tbENKUlT_T0_E_clISt17integral_constantIbLb1EESX_EEDaSS_ST_EUlSS_E0_NS1_11comp_targetILNS1_3genE2ELNS1_11target_archE906ELNS1_3gpuE6ELNS1_3repE0EEENS1_30default_config_static_selectorELNS0_4arch9wavefront6targetE1EEEvT1_
		.amdhsa_group_segment_fixed_size 0
		.amdhsa_private_segment_fixed_size 0
		.amdhsa_kernarg_size 40
		.amdhsa_user_sgpr_count 6
		.amdhsa_user_sgpr_private_segment_buffer 1
		.amdhsa_user_sgpr_dispatch_ptr 0
		.amdhsa_user_sgpr_queue_ptr 0
		.amdhsa_user_sgpr_kernarg_segment_ptr 1
		.amdhsa_user_sgpr_dispatch_id 0
		.amdhsa_user_sgpr_flat_scratch_init 0
		.amdhsa_user_sgpr_kernarg_preload_length 0
		.amdhsa_user_sgpr_kernarg_preload_offset 0
		.amdhsa_user_sgpr_private_segment_size 0
		.amdhsa_uses_dynamic_stack 0
		.amdhsa_system_sgpr_private_segment_wavefront_offset 0
		.amdhsa_system_sgpr_workgroup_id_x 1
		.amdhsa_system_sgpr_workgroup_id_y 0
		.amdhsa_system_sgpr_workgroup_id_z 0
		.amdhsa_system_sgpr_workgroup_info 0
		.amdhsa_system_vgpr_workitem_id 0
		.amdhsa_next_free_vgpr 1
		.amdhsa_next_free_sgpr 0
		.amdhsa_accum_offset 4
		.amdhsa_reserve_vcc 0
		.amdhsa_reserve_flat_scratch 0
		.amdhsa_float_round_mode_32 0
		.amdhsa_float_round_mode_16_64 0
		.amdhsa_float_denorm_mode_32 3
		.amdhsa_float_denorm_mode_16_64 3
		.amdhsa_dx10_clamp 1
		.amdhsa_ieee_mode 1
		.amdhsa_fp16_overflow 0
		.amdhsa_tg_split 0
		.amdhsa_exception_fp_ieee_invalid_op 0
		.amdhsa_exception_fp_denorm_src 0
		.amdhsa_exception_fp_ieee_div_zero 0
		.amdhsa_exception_fp_ieee_overflow 0
		.amdhsa_exception_fp_ieee_underflow 0
		.amdhsa_exception_fp_ieee_inexact 0
		.amdhsa_exception_int_div_zero 0
	.end_amdhsa_kernel
	.section	.text._ZN7rocprim17ROCPRIM_400000_NS6detail17trampoline_kernelINS0_14default_configENS1_20scan_config_selectorIjEEZZNS1_9scan_implILNS1_25lookback_scan_determinismE0ELb0ELb0ES3_N6thrust23THRUST_200600_302600_NS6detail15normal_iteratorINS9_10device_ptrIjEEEENS9_16discard_iteratorINS9_11use_defaultEEEj11max_functorIjEjEEDaPvRmT3_T4_T5_mT6_P12ihipStream_tbENKUlT_T0_E_clISt17integral_constantIbLb1EESX_EEDaSS_ST_EUlSS_E0_NS1_11comp_targetILNS1_3genE2ELNS1_11target_archE906ELNS1_3gpuE6ELNS1_3repE0EEENS1_30default_config_static_selectorELNS0_4arch9wavefront6targetE1EEEvT1_,"axG",@progbits,_ZN7rocprim17ROCPRIM_400000_NS6detail17trampoline_kernelINS0_14default_configENS1_20scan_config_selectorIjEEZZNS1_9scan_implILNS1_25lookback_scan_determinismE0ELb0ELb0ES3_N6thrust23THRUST_200600_302600_NS6detail15normal_iteratorINS9_10device_ptrIjEEEENS9_16discard_iteratorINS9_11use_defaultEEEj11max_functorIjEjEEDaPvRmT3_T4_T5_mT6_P12ihipStream_tbENKUlT_T0_E_clISt17integral_constantIbLb1EESX_EEDaSS_ST_EUlSS_E0_NS1_11comp_targetILNS1_3genE2ELNS1_11target_archE906ELNS1_3gpuE6ELNS1_3repE0EEENS1_30default_config_static_selectorELNS0_4arch9wavefront6targetE1EEEvT1_,comdat
.Lfunc_end3453:
	.size	_ZN7rocprim17ROCPRIM_400000_NS6detail17trampoline_kernelINS0_14default_configENS1_20scan_config_selectorIjEEZZNS1_9scan_implILNS1_25lookback_scan_determinismE0ELb0ELb0ES3_N6thrust23THRUST_200600_302600_NS6detail15normal_iteratorINS9_10device_ptrIjEEEENS9_16discard_iteratorINS9_11use_defaultEEEj11max_functorIjEjEEDaPvRmT3_T4_T5_mT6_P12ihipStream_tbENKUlT_T0_E_clISt17integral_constantIbLb1EESX_EEDaSS_ST_EUlSS_E0_NS1_11comp_targetILNS1_3genE2ELNS1_11target_archE906ELNS1_3gpuE6ELNS1_3repE0EEENS1_30default_config_static_selectorELNS0_4arch9wavefront6targetE1EEEvT1_, .Lfunc_end3453-_ZN7rocprim17ROCPRIM_400000_NS6detail17trampoline_kernelINS0_14default_configENS1_20scan_config_selectorIjEEZZNS1_9scan_implILNS1_25lookback_scan_determinismE0ELb0ELb0ES3_N6thrust23THRUST_200600_302600_NS6detail15normal_iteratorINS9_10device_ptrIjEEEENS9_16discard_iteratorINS9_11use_defaultEEEj11max_functorIjEjEEDaPvRmT3_T4_T5_mT6_P12ihipStream_tbENKUlT_T0_E_clISt17integral_constantIbLb1EESX_EEDaSS_ST_EUlSS_E0_NS1_11comp_targetILNS1_3genE2ELNS1_11target_archE906ELNS1_3gpuE6ELNS1_3repE0EEENS1_30default_config_static_selectorELNS0_4arch9wavefront6targetE1EEEvT1_
                                        ; -- End function
	.section	.AMDGPU.csdata,"",@progbits
; Kernel info:
; codeLenInByte = 0
; NumSgprs: 4
; NumVgprs: 0
; NumAgprs: 0
; TotalNumVgprs: 0
; ScratchSize: 0
; MemoryBound: 0
; FloatMode: 240
; IeeeMode: 1
; LDSByteSize: 0 bytes/workgroup (compile time only)
; SGPRBlocks: 0
; VGPRBlocks: 0
; NumSGPRsForWavesPerEU: 4
; NumVGPRsForWavesPerEU: 1
; AccumOffset: 4
; Occupancy: 8
; WaveLimiterHint : 0
; COMPUTE_PGM_RSRC2:SCRATCH_EN: 0
; COMPUTE_PGM_RSRC2:USER_SGPR: 6
; COMPUTE_PGM_RSRC2:TRAP_HANDLER: 0
; COMPUTE_PGM_RSRC2:TGID_X_EN: 1
; COMPUTE_PGM_RSRC2:TGID_Y_EN: 0
; COMPUTE_PGM_RSRC2:TGID_Z_EN: 0
; COMPUTE_PGM_RSRC2:TIDIG_COMP_CNT: 0
; COMPUTE_PGM_RSRC3_GFX90A:ACCUM_OFFSET: 0
; COMPUTE_PGM_RSRC3_GFX90A:TG_SPLIT: 0
	.section	.text._ZN7rocprim17ROCPRIM_400000_NS6detail17trampoline_kernelINS0_14default_configENS1_20scan_config_selectorIjEEZZNS1_9scan_implILNS1_25lookback_scan_determinismE0ELb0ELb0ES3_N6thrust23THRUST_200600_302600_NS6detail15normal_iteratorINS9_10device_ptrIjEEEENS9_16discard_iteratorINS9_11use_defaultEEEj11max_functorIjEjEEDaPvRmT3_T4_T5_mT6_P12ihipStream_tbENKUlT_T0_E_clISt17integral_constantIbLb1EESX_EEDaSS_ST_EUlSS_E0_NS1_11comp_targetILNS1_3genE10ELNS1_11target_archE1201ELNS1_3gpuE5ELNS1_3repE0EEENS1_30default_config_static_selectorELNS0_4arch9wavefront6targetE1EEEvT1_,"axG",@progbits,_ZN7rocprim17ROCPRIM_400000_NS6detail17trampoline_kernelINS0_14default_configENS1_20scan_config_selectorIjEEZZNS1_9scan_implILNS1_25lookback_scan_determinismE0ELb0ELb0ES3_N6thrust23THRUST_200600_302600_NS6detail15normal_iteratorINS9_10device_ptrIjEEEENS9_16discard_iteratorINS9_11use_defaultEEEj11max_functorIjEjEEDaPvRmT3_T4_T5_mT6_P12ihipStream_tbENKUlT_T0_E_clISt17integral_constantIbLb1EESX_EEDaSS_ST_EUlSS_E0_NS1_11comp_targetILNS1_3genE10ELNS1_11target_archE1201ELNS1_3gpuE5ELNS1_3repE0EEENS1_30default_config_static_selectorELNS0_4arch9wavefront6targetE1EEEvT1_,comdat
	.protected	_ZN7rocprim17ROCPRIM_400000_NS6detail17trampoline_kernelINS0_14default_configENS1_20scan_config_selectorIjEEZZNS1_9scan_implILNS1_25lookback_scan_determinismE0ELb0ELb0ES3_N6thrust23THRUST_200600_302600_NS6detail15normal_iteratorINS9_10device_ptrIjEEEENS9_16discard_iteratorINS9_11use_defaultEEEj11max_functorIjEjEEDaPvRmT3_T4_T5_mT6_P12ihipStream_tbENKUlT_T0_E_clISt17integral_constantIbLb1EESX_EEDaSS_ST_EUlSS_E0_NS1_11comp_targetILNS1_3genE10ELNS1_11target_archE1201ELNS1_3gpuE5ELNS1_3repE0EEENS1_30default_config_static_selectorELNS0_4arch9wavefront6targetE1EEEvT1_ ; -- Begin function _ZN7rocprim17ROCPRIM_400000_NS6detail17trampoline_kernelINS0_14default_configENS1_20scan_config_selectorIjEEZZNS1_9scan_implILNS1_25lookback_scan_determinismE0ELb0ELb0ES3_N6thrust23THRUST_200600_302600_NS6detail15normal_iteratorINS9_10device_ptrIjEEEENS9_16discard_iteratorINS9_11use_defaultEEEj11max_functorIjEjEEDaPvRmT3_T4_T5_mT6_P12ihipStream_tbENKUlT_T0_E_clISt17integral_constantIbLb1EESX_EEDaSS_ST_EUlSS_E0_NS1_11comp_targetILNS1_3genE10ELNS1_11target_archE1201ELNS1_3gpuE5ELNS1_3repE0EEENS1_30default_config_static_selectorELNS0_4arch9wavefront6targetE1EEEvT1_
	.globl	_ZN7rocprim17ROCPRIM_400000_NS6detail17trampoline_kernelINS0_14default_configENS1_20scan_config_selectorIjEEZZNS1_9scan_implILNS1_25lookback_scan_determinismE0ELb0ELb0ES3_N6thrust23THRUST_200600_302600_NS6detail15normal_iteratorINS9_10device_ptrIjEEEENS9_16discard_iteratorINS9_11use_defaultEEEj11max_functorIjEjEEDaPvRmT3_T4_T5_mT6_P12ihipStream_tbENKUlT_T0_E_clISt17integral_constantIbLb1EESX_EEDaSS_ST_EUlSS_E0_NS1_11comp_targetILNS1_3genE10ELNS1_11target_archE1201ELNS1_3gpuE5ELNS1_3repE0EEENS1_30default_config_static_selectorELNS0_4arch9wavefront6targetE1EEEvT1_
	.p2align	8
	.type	_ZN7rocprim17ROCPRIM_400000_NS6detail17trampoline_kernelINS0_14default_configENS1_20scan_config_selectorIjEEZZNS1_9scan_implILNS1_25lookback_scan_determinismE0ELb0ELb0ES3_N6thrust23THRUST_200600_302600_NS6detail15normal_iteratorINS9_10device_ptrIjEEEENS9_16discard_iteratorINS9_11use_defaultEEEj11max_functorIjEjEEDaPvRmT3_T4_T5_mT6_P12ihipStream_tbENKUlT_T0_E_clISt17integral_constantIbLb1EESX_EEDaSS_ST_EUlSS_E0_NS1_11comp_targetILNS1_3genE10ELNS1_11target_archE1201ELNS1_3gpuE5ELNS1_3repE0EEENS1_30default_config_static_selectorELNS0_4arch9wavefront6targetE1EEEvT1_,@function
_ZN7rocprim17ROCPRIM_400000_NS6detail17trampoline_kernelINS0_14default_configENS1_20scan_config_selectorIjEEZZNS1_9scan_implILNS1_25lookback_scan_determinismE0ELb0ELb0ES3_N6thrust23THRUST_200600_302600_NS6detail15normal_iteratorINS9_10device_ptrIjEEEENS9_16discard_iteratorINS9_11use_defaultEEEj11max_functorIjEjEEDaPvRmT3_T4_T5_mT6_P12ihipStream_tbENKUlT_T0_E_clISt17integral_constantIbLb1EESX_EEDaSS_ST_EUlSS_E0_NS1_11comp_targetILNS1_3genE10ELNS1_11target_archE1201ELNS1_3gpuE5ELNS1_3repE0EEENS1_30default_config_static_selectorELNS0_4arch9wavefront6targetE1EEEvT1_: ; @_ZN7rocprim17ROCPRIM_400000_NS6detail17trampoline_kernelINS0_14default_configENS1_20scan_config_selectorIjEEZZNS1_9scan_implILNS1_25lookback_scan_determinismE0ELb0ELb0ES3_N6thrust23THRUST_200600_302600_NS6detail15normal_iteratorINS9_10device_ptrIjEEEENS9_16discard_iteratorINS9_11use_defaultEEEj11max_functorIjEjEEDaPvRmT3_T4_T5_mT6_P12ihipStream_tbENKUlT_T0_E_clISt17integral_constantIbLb1EESX_EEDaSS_ST_EUlSS_E0_NS1_11comp_targetILNS1_3genE10ELNS1_11target_archE1201ELNS1_3gpuE5ELNS1_3repE0EEENS1_30default_config_static_selectorELNS0_4arch9wavefront6targetE1EEEvT1_
; %bb.0:
	.section	.rodata,"a",@progbits
	.p2align	6, 0x0
	.amdhsa_kernel _ZN7rocprim17ROCPRIM_400000_NS6detail17trampoline_kernelINS0_14default_configENS1_20scan_config_selectorIjEEZZNS1_9scan_implILNS1_25lookback_scan_determinismE0ELb0ELb0ES3_N6thrust23THRUST_200600_302600_NS6detail15normal_iteratorINS9_10device_ptrIjEEEENS9_16discard_iteratorINS9_11use_defaultEEEj11max_functorIjEjEEDaPvRmT3_T4_T5_mT6_P12ihipStream_tbENKUlT_T0_E_clISt17integral_constantIbLb1EESX_EEDaSS_ST_EUlSS_E0_NS1_11comp_targetILNS1_3genE10ELNS1_11target_archE1201ELNS1_3gpuE5ELNS1_3repE0EEENS1_30default_config_static_selectorELNS0_4arch9wavefront6targetE1EEEvT1_
		.amdhsa_group_segment_fixed_size 0
		.amdhsa_private_segment_fixed_size 0
		.amdhsa_kernarg_size 40
		.amdhsa_user_sgpr_count 6
		.amdhsa_user_sgpr_private_segment_buffer 1
		.amdhsa_user_sgpr_dispatch_ptr 0
		.amdhsa_user_sgpr_queue_ptr 0
		.amdhsa_user_sgpr_kernarg_segment_ptr 1
		.amdhsa_user_sgpr_dispatch_id 0
		.amdhsa_user_sgpr_flat_scratch_init 0
		.amdhsa_user_sgpr_kernarg_preload_length 0
		.amdhsa_user_sgpr_kernarg_preload_offset 0
		.amdhsa_user_sgpr_private_segment_size 0
		.amdhsa_uses_dynamic_stack 0
		.amdhsa_system_sgpr_private_segment_wavefront_offset 0
		.amdhsa_system_sgpr_workgroup_id_x 1
		.amdhsa_system_sgpr_workgroup_id_y 0
		.amdhsa_system_sgpr_workgroup_id_z 0
		.amdhsa_system_sgpr_workgroup_info 0
		.amdhsa_system_vgpr_workitem_id 0
		.amdhsa_next_free_vgpr 1
		.amdhsa_next_free_sgpr 0
		.amdhsa_accum_offset 4
		.amdhsa_reserve_vcc 0
		.amdhsa_reserve_flat_scratch 0
		.amdhsa_float_round_mode_32 0
		.amdhsa_float_round_mode_16_64 0
		.amdhsa_float_denorm_mode_32 3
		.amdhsa_float_denorm_mode_16_64 3
		.amdhsa_dx10_clamp 1
		.amdhsa_ieee_mode 1
		.amdhsa_fp16_overflow 0
		.amdhsa_tg_split 0
		.amdhsa_exception_fp_ieee_invalid_op 0
		.amdhsa_exception_fp_denorm_src 0
		.amdhsa_exception_fp_ieee_div_zero 0
		.amdhsa_exception_fp_ieee_overflow 0
		.amdhsa_exception_fp_ieee_underflow 0
		.amdhsa_exception_fp_ieee_inexact 0
		.amdhsa_exception_int_div_zero 0
	.end_amdhsa_kernel
	.section	.text._ZN7rocprim17ROCPRIM_400000_NS6detail17trampoline_kernelINS0_14default_configENS1_20scan_config_selectorIjEEZZNS1_9scan_implILNS1_25lookback_scan_determinismE0ELb0ELb0ES3_N6thrust23THRUST_200600_302600_NS6detail15normal_iteratorINS9_10device_ptrIjEEEENS9_16discard_iteratorINS9_11use_defaultEEEj11max_functorIjEjEEDaPvRmT3_T4_T5_mT6_P12ihipStream_tbENKUlT_T0_E_clISt17integral_constantIbLb1EESX_EEDaSS_ST_EUlSS_E0_NS1_11comp_targetILNS1_3genE10ELNS1_11target_archE1201ELNS1_3gpuE5ELNS1_3repE0EEENS1_30default_config_static_selectorELNS0_4arch9wavefront6targetE1EEEvT1_,"axG",@progbits,_ZN7rocprim17ROCPRIM_400000_NS6detail17trampoline_kernelINS0_14default_configENS1_20scan_config_selectorIjEEZZNS1_9scan_implILNS1_25lookback_scan_determinismE0ELb0ELb0ES3_N6thrust23THRUST_200600_302600_NS6detail15normal_iteratorINS9_10device_ptrIjEEEENS9_16discard_iteratorINS9_11use_defaultEEEj11max_functorIjEjEEDaPvRmT3_T4_T5_mT6_P12ihipStream_tbENKUlT_T0_E_clISt17integral_constantIbLb1EESX_EEDaSS_ST_EUlSS_E0_NS1_11comp_targetILNS1_3genE10ELNS1_11target_archE1201ELNS1_3gpuE5ELNS1_3repE0EEENS1_30default_config_static_selectorELNS0_4arch9wavefront6targetE1EEEvT1_,comdat
.Lfunc_end3454:
	.size	_ZN7rocprim17ROCPRIM_400000_NS6detail17trampoline_kernelINS0_14default_configENS1_20scan_config_selectorIjEEZZNS1_9scan_implILNS1_25lookback_scan_determinismE0ELb0ELb0ES3_N6thrust23THRUST_200600_302600_NS6detail15normal_iteratorINS9_10device_ptrIjEEEENS9_16discard_iteratorINS9_11use_defaultEEEj11max_functorIjEjEEDaPvRmT3_T4_T5_mT6_P12ihipStream_tbENKUlT_T0_E_clISt17integral_constantIbLb1EESX_EEDaSS_ST_EUlSS_E0_NS1_11comp_targetILNS1_3genE10ELNS1_11target_archE1201ELNS1_3gpuE5ELNS1_3repE0EEENS1_30default_config_static_selectorELNS0_4arch9wavefront6targetE1EEEvT1_, .Lfunc_end3454-_ZN7rocprim17ROCPRIM_400000_NS6detail17trampoline_kernelINS0_14default_configENS1_20scan_config_selectorIjEEZZNS1_9scan_implILNS1_25lookback_scan_determinismE0ELb0ELb0ES3_N6thrust23THRUST_200600_302600_NS6detail15normal_iteratorINS9_10device_ptrIjEEEENS9_16discard_iteratorINS9_11use_defaultEEEj11max_functorIjEjEEDaPvRmT3_T4_T5_mT6_P12ihipStream_tbENKUlT_T0_E_clISt17integral_constantIbLb1EESX_EEDaSS_ST_EUlSS_E0_NS1_11comp_targetILNS1_3genE10ELNS1_11target_archE1201ELNS1_3gpuE5ELNS1_3repE0EEENS1_30default_config_static_selectorELNS0_4arch9wavefront6targetE1EEEvT1_
                                        ; -- End function
	.section	.AMDGPU.csdata,"",@progbits
; Kernel info:
; codeLenInByte = 0
; NumSgprs: 4
; NumVgprs: 0
; NumAgprs: 0
; TotalNumVgprs: 0
; ScratchSize: 0
; MemoryBound: 0
; FloatMode: 240
; IeeeMode: 1
; LDSByteSize: 0 bytes/workgroup (compile time only)
; SGPRBlocks: 0
; VGPRBlocks: 0
; NumSGPRsForWavesPerEU: 4
; NumVGPRsForWavesPerEU: 1
; AccumOffset: 4
; Occupancy: 8
; WaveLimiterHint : 0
; COMPUTE_PGM_RSRC2:SCRATCH_EN: 0
; COMPUTE_PGM_RSRC2:USER_SGPR: 6
; COMPUTE_PGM_RSRC2:TRAP_HANDLER: 0
; COMPUTE_PGM_RSRC2:TGID_X_EN: 1
; COMPUTE_PGM_RSRC2:TGID_Y_EN: 0
; COMPUTE_PGM_RSRC2:TGID_Z_EN: 0
; COMPUTE_PGM_RSRC2:TIDIG_COMP_CNT: 0
; COMPUTE_PGM_RSRC3_GFX90A:ACCUM_OFFSET: 0
; COMPUTE_PGM_RSRC3_GFX90A:TG_SPLIT: 0
	.section	.text._ZN7rocprim17ROCPRIM_400000_NS6detail17trampoline_kernelINS0_14default_configENS1_20scan_config_selectorIjEEZZNS1_9scan_implILNS1_25lookback_scan_determinismE0ELb0ELb0ES3_N6thrust23THRUST_200600_302600_NS6detail15normal_iteratorINS9_10device_ptrIjEEEENS9_16discard_iteratorINS9_11use_defaultEEEj11max_functorIjEjEEDaPvRmT3_T4_T5_mT6_P12ihipStream_tbENKUlT_T0_E_clISt17integral_constantIbLb1EESX_EEDaSS_ST_EUlSS_E0_NS1_11comp_targetILNS1_3genE10ELNS1_11target_archE1200ELNS1_3gpuE4ELNS1_3repE0EEENS1_30default_config_static_selectorELNS0_4arch9wavefront6targetE1EEEvT1_,"axG",@progbits,_ZN7rocprim17ROCPRIM_400000_NS6detail17trampoline_kernelINS0_14default_configENS1_20scan_config_selectorIjEEZZNS1_9scan_implILNS1_25lookback_scan_determinismE0ELb0ELb0ES3_N6thrust23THRUST_200600_302600_NS6detail15normal_iteratorINS9_10device_ptrIjEEEENS9_16discard_iteratorINS9_11use_defaultEEEj11max_functorIjEjEEDaPvRmT3_T4_T5_mT6_P12ihipStream_tbENKUlT_T0_E_clISt17integral_constantIbLb1EESX_EEDaSS_ST_EUlSS_E0_NS1_11comp_targetILNS1_3genE10ELNS1_11target_archE1200ELNS1_3gpuE4ELNS1_3repE0EEENS1_30default_config_static_selectorELNS0_4arch9wavefront6targetE1EEEvT1_,comdat
	.protected	_ZN7rocprim17ROCPRIM_400000_NS6detail17trampoline_kernelINS0_14default_configENS1_20scan_config_selectorIjEEZZNS1_9scan_implILNS1_25lookback_scan_determinismE0ELb0ELb0ES3_N6thrust23THRUST_200600_302600_NS6detail15normal_iteratorINS9_10device_ptrIjEEEENS9_16discard_iteratorINS9_11use_defaultEEEj11max_functorIjEjEEDaPvRmT3_T4_T5_mT6_P12ihipStream_tbENKUlT_T0_E_clISt17integral_constantIbLb1EESX_EEDaSS_ST_EUlSS_E0_NS1_11comp_targetILNS1_3genE10ELNS1_11target_archE1200ELNS1_3gpuE4ELNS1_3repE0EEENS1_30default_config_static_selectorELNS0_4arch9wavefront6targetE1EEEvT1_ ; -- Begin function _ZN7rocprim17ROCPRIM_400000_NS6detail17trampoline_kernelINS0_14default_configENS1_20scan_config_selectorIjEEZZNS1_9scan_implILNS1_25lookback_scan_determinismE0ELb0ELb0ES3_N6thrust23THRUST_200600_302600_NS6detail15normal_iteratorINS9_10device_ptrIjEEEENS9_16discard_iteratorINS9_11use_defaultEEEj11max_functorIjEjEEDaPvRmT3_T4_T5_mT6_P12ihipStream_tbENKUlT_T0_E_clISt17integral_constantIbLb1EESX_EEDaSS_ST_EUlSS_E0_NS1_11comp_targetILNS1_3genE10ELNS1_11target_archE1200ELNS1_3gpuE4ELNS1_3repE0EEENS1_30default_config_static_selectorELNS0_4arch9wavefront6targetE1EEEvT1_
	.globl	_ZN7rocprim17ROCPRIM_400000_NS6detail17trampoline_kernelINS0_14default_configENS1_20scan_config_selectorIjEEZZNS1_9scan_implILNS1_25lookback_scan_determinismE0ELb0ELb0ES3_N6thrust23THRUST_200600_302600_NS6detail15normal_iteratorINS9_10device_ptrIjEEEENS9_16discard_iteratorINS9_11use_defaultEEEj11max_functorIjEjEEDaPvRmT3_T4_T5_mT6_P12ihipStream_tbENKUlT_T0_E_clISt17integral_constantIbLb1EESX_EEDaSS_ST_EUlSS_E0_NS1_11comp_targetILNS1_3genE10ELNS1_11target_archE1200ELNS1_3gpuE4ELNS1_3repE0EEENS1_30default_config_static_selectorELNS0_4arch9wavefront6targetE1EEEvT1_
	.p2align	8
	.type	_ZN7rocprim17ROCPRIM_400000_NS6detail17trampoline_kernelINS0_14default_configENS1_20scan_config_selectorIjEEZZNS1_9scan_implILNS1_25lookback_scan_determinismE0ELb0ELb0ES3_N6thrust23THRUST_200600_302600_NS6detail15normal_iteratorINS9_10device_ptrIjEEEENS9_16discard_iteratorINS9_11use_defaultEEEj11max_functorIjEjEEDaPvRmT3_T4_T5_mT6_P12ihipStream_tbENKUlT_T0_E_clISt17integral_constantIbLb1EESX_EEDaSS_ST_EUlSS_E0_NS1_11comp_targetILNS1_3genE10ELNS1_11target_archE1200ELNS1_3gpuE4ELNS1_3repE0EEENS1_30default_config_static_selectorELNS0_4arch9wavefront6targetE1EEEvT1_,@function
_ZN7rocprim17ROCPRIM_400000_NS6detail17trampoline_kernelINS0_14default_configENS1_20scan_config_selectorIjEEZZNS1_9scan_implILNS1_25lookback_scan_determinismE0ELb0ELb0ES3_N6thrust23THRUST_200600_302600_NS6detail15normal_iteratorINS9_10device_ptrIjEEEENS9_16discard_iteratorINS9_11use_defaultEEEj11max_functorIjEjEEDaPvRmT3_T4_T5_mT6_P12ihipStream_tbENKUlT_T0_E_clISt17integral_constantIbLb1EESX_EEDaSS_ST_EUlSS_E0_NS1_11comp_targetILNS1_3genE10ELNS1_11target_archE1200ELNS1_3gpuE4ELNS1_3repE0EEENS1_30default_config_static_selectorELNS0_4arch9wavefront6targetE1EEEvT1_: ; @_ZN7rocprim17ROCPRIM_400000_NS6detail17trampoline_kernelINS0_14default_configENS1_20scan_config_selectorIjEEZZNS1_9scan_implILNS1_25lookback_scan_determinismE0ELb0ELb0ES3_N6thrust23THRUST_200600_302600_NS6detail15normal_iteratorINS9_10device_ptrIjEEEENS9_16discard_iteratorINS9_11use_defaultEEEj11max_functorIjEjEEDaPvRmT3_T4_T5_mT6_P12ihipStream_tbENKUlT_T0_E_clISt17integral_constantIbLb1EESX_EEDaSS_ST_EUlSS_E0_NS1_11comp_targetILNS1_3genE10ELNS1_11target_archE1200ELNS1_3gpuE4ELNS1_3repE0EEENS1_30default_config_static_selectorELNS0_4arch9wavefront6targetE1EEEvT1_
; %bb.0:
	.section	.rodata,"a",@progbits
	.p2align	6, 0x0
	.amdhsa_kernel _ZN7rocprim17ROCPRIM_400000_NS6detail17trampoline_kernelINS0_14default_configENS1_20scan_config_selectorIjEEZZNS1_9scan_implILNS1_25lookback_scan_determinismE0ELb0ELb0ES3_N6thrust23THRUST_200600_302600_NS6detail15normal_iteratorINS9_10device_ptrIjEEEENS9_16discard_iteratorINS9_11use_defaultEEEj11max_functorIjEjEEDaPvRmT3_T4_T5_mT6_P12ihipStream_tbENKUlT_T0_E_clISt17integral_constantIbLb1EESX_EEDaSS_ST_EUlSS_E0_NS1_11comp_targetILNS1_3genE10ELNS1_11target_archE1200ELNS1_3gpuE4ELNS1_3repE0EEENS1_30default_config_static_selectorELNS0_4arch9wavefront6targetE1EEEvT1_
		.amdhsa_group_segment_fixed_size 0
		.amdhsa_private_segment_fixed_size 0
		.amdhsa_kernarg_size 40
		.amdhsa_user_sgpr_count 6
		.amdhsa_user_sgpr_private_segment_buffer 1
		.amdhsa_user_sgpr_dispatch_ptr 0
		.amdhsa_user_sgpr_queue_ptr 0
		.amdhsa_user_sgpr_kernarg_segment_ptr 1
		.amdhsa_user_sgpr_dispatch_id 0
		.amdhsa_user_sgpr_flat_scratch_init 0
		.amdhsa_user_sgpr_kernarg_preload_length 0
		.amdhsa_user_sgpr_kernarg_preload_offset 0
		.amdhsa_user_sgpr_private_segment_size 0
		.amdhsa_uses_dynamic_stack 0
		.amdhsa_system_sgpr_private_segment_wavefront_offset 0
		.amdhsa_system_sgpr_workgroup_id_x 1
		.amdhsa_system_sgpr_workgroup_id_y 0
		.amdhsa_system_sgpr_workgroup_id_z 0
		.amdhsa_system_sgpr_workgroup_info 0
		.amdhsa_system_vgpr_workitem_id 0
		.amdhsa_next_free_vgpr 1
		.amdhsa_next_free_sgpr 0
		.amdhsa_accum_offset 4
		.amdhsa_reserve_vcc 0
		.amdhsa_reserve_flat_scratch 0
		.amdhsa_float_round_mode_32 0
		.amdhsa_float_round_mode_16_64 0
		.amdhsa_float_denorm_mode_32 3
		.amdhsa_float_denorm_mode_16_64 3
		.amdhsa_dx10_clamp 1
		.amdhsa_ieee_mode 1
		.amdhsa_fp16_overflow 0
		.amdhsa_tg_split 0
		.amdhsa_exception_fp_ieee_invalid_op 0
		.amdhsa_exception_fp_denorm_src 0
		.amdhsa_exception_fp_ieee_div_zero 0
		.amdhsa_exception_fp_ieee_overflow 0
		.amdhsa_exception_fp_ieee_underflow 0
		.amdhsa_exception_fp_ieee_inexact 0
		.amdhsa_exception_int_div_zero 0
	.end_amdhsa_kernel
	.section	.text._ZN7rocprim17ROCPRIM_400000_NS6detail17trampoline_kernelINS0_14default_configENS1_20scan_config_selectorIjEEZZNS1_9scan_implILNS1_25lookback_scan_determinismE0ELb0ELb0ES3_N6thrust23THRUST_200600_302600_NS6detail15normal_iteratorINS9_10device_ptrIjEEEENS9_16discard_iteratorINS9_11use_defaultEEEj11max_functorIjEjEEDaPvRmT3_T4_T5_mT6_P12ihipStream_tbENKUlT_T0_E_clISt17integral_constantIbLb1EESX_EEDaSS_ST_EUlSS_E0_NS1_11comp_targetILNS1_3genE10ELNS1_11target_archE1200ELNS1_3gpuE4ELNS1_3repE0EEENS1_30default_config_static_selectorELNS0_4arch9wavefront6targetE1EEEvT1_,"axG",@progbits,_ZN7rocprim17ROCPRIM_400000_NS6detail17trampoline_kernelINS0_14default_configENS1_20scan_config_selectorIjEEZZNS1_9scan_implILNS1_25lookback_scan_determinismE0ELb0ELb0ES3_N6thrust23THRUST_200600_302600_NS6detail15normal_iteratorINS9_10device_ptrIjEEEENS9_16discard_iteratorINS9_11use_defaultEEEj11max_functorIjEjEEDaPvRmT3_T4_T5_mT6_P12ihipStream_tbENKUlT_T0_E_clISt17integral_constantIbLb1EESX_EEDaSS_ST_EUlSS_E0_NS1_11comp_targetILNS1_3genE10ELNS1_11target_archE1200ELNS1_3gpuE4ELNS1_3repE0EEENS1_30default_config_static_selectorELNS0_4arch9wavefront6targetE1EEEvT1_,comdat
.Lfunc_end3455:
	.size	_ZN7rocprim17ROCPRIM_400000_NS6detail17trampoline_kernelINS0_14default_configENS1_20scan_config_selectorIjEEZZNS1_9scan_implILNS1_25lookback_scan_determinismE0ELb0ELb0ES3_N6thrust23THRUST_200600_302600_NS6detail15normal_iteratorINS9_10device_ptrIjEEEENS9_16discard_iteratorINS9_11use_defaultEEEj11max_functorIjEjEEDaPvRmT3_T4_T5_mT6_P12ihipStream_tbENKUlT_T0_E_clISt17integral_constantIbLb1EESX_EEDaSS_ST_EUlSS_E0_NS1_11comp_targetILNS1_3genE10ELNS1_11target_archE1200ELNS1_3gpuE4ELNS1_3repE0EEENS1_30default_config_static_selectorELNS0_4arch9wavefront6targetE1EEEvT1_, .Lfunc_end3455-_ZN7rocprim17ROCPRIM_400000_NS6detail17trampoline_kernelINS0_14default_configENS1_20scan_config_selectorIjEEZZNS1_9scan_implILNS1_25lookback_scan_determinismE0ELb0ELb0ES3_N6thrust23THRUST_200600_302600_NS6detail15normal_iteratorINS9_10device_ptrIjEEEENS9_16discard_iteratorINS9_11use_defaultEEEj11max_functorIjEjEEDaPvRmT3_T4_T5_mT6_P12ihipStream_tbENKUlT_T0_E_clISt17integral_constantIbLb1EESX_EEDaSS_ST_EUlSS_E0_NS1_11comp_targetILNS1_3genE10ELNS1_11target_archE1200ELNS1_3gpuE4ELNS1_3repE0EEENS1_30default_config_static_selectorELNS0_4arch9wavefront6targetE1EEEvT1_
                                        ; -- End function
	.section	.AMDGPU.csdata,"",@progbits
; Kernel info:
; codeLenInByte = 0
; NumSgprs: 4
; NumVgprs: 0
; NumAgprs: 0
; TotalNumVgprs: 0
; ScratchSize: 0
; MemoryBound: 0
; FloatMode: 240
; IeeeMode: 1
; LDSByteSize: 0 bytes/workgroup (compile time only)
; SGPRBlocks: 0
; VGPRBlocks: 0
; NumSGPRsForWavesPerEU: 4
; NumVGPRsForWavesPerEU: 1
; AccumOffset: 4
; Occupancy: 8
; WaveLimiterHint : 0
; COMPUTE_PGM_RSRC2:SCRATCH_EN: 0
; COMPUTE_PGM_RSRC2:USER_SGPR: 6
; COMPUTE_PGM_RSRC2:TRAP_HANDLER: 0
; COMPUTE_PGM_RSRC2:TGID_X_EN: 1
; COMPUTE_PGM_RSRC2:TGID_Y_EN: 0
; COMPUTE_PGM_RSRC2:TGID_Z_EN: 0
; COMPUTE_PGM_RSRC2:TIDIG_COMP_CNT: 0
; COMPUTE_PGM_RSRC3_GFX90A:ACCUM_OFFSET: 0
; COMPUTE_PGM_RSRC3_GFX90A:TG_SPLIT: 0
	.section	.text._ZN7rocprim17ROCPRIM_400000_NS6detail17trampoline_kernelINS0_14default_configENS1_20scan_config_selectorIjEEZZNS1_9scan_implILNS1_25lookback_scan_determinismE0ELb0ELb0ES3_N6thrust23THRUST_200600_302600_NS6detail15normal_iteratorINS9_10device_ptrIjEEEENS9_16discard_iteratorINS9_11use_defaultEEEj11max_functorIjEjEEDaPvRmT3_T4_T5_mT6_P12ihipStream_tbENKUlT_T0_E_clISt17integral_constantIbLb1EESX_EEDaSS_ST_EUlSS_E0_NS1_11comp_targetILNS1_3genE9ELNS1_11target_archE1100ELNS1_3gpuE3ELNS1_3repE0EEENS1_30default_config_static_selectorELNS0_4arch9wavefront6targetE1EEEvT1_,"axG",@progbits,_ZN7rocprim17ROCPRIM_400000_NS6detail17trampoline_kernelINS0_14default_configENS1_20scan_config_selectorIjEEZZNS1_9scan_implILNS1_25lookback_scan_determinismE0ELb0ELb0ES3_N6thrust23THRUST_200600_302600_NS6detail15normal_iteratorINS9_10device_ptrIjEEEENS9_16discard_iteratorINS9_11use_defaultEEEj11max_functorIjEjEEDaPvRmT3_T4_T5_mT6_P12ihipStream_tbENKUlT_T0_E_clISt17integral_constantIbLb1EESX_EEDaSS_ST_EUlSS_E0_NS1_11comp_targetILNS1_3genE9ELNS1_11target_archE1100ELNS1_3gpuE3ELNS1_3repE0EEENS1_30default_config_static_selectorELNS0_4arch9wavefront6targetE1EEEvT1_,comdat
	.protected	_ZN7rocprim17ROCPRIM_400000_NS6detail17trampoline_kernelINS0_14default_configENS1_20scan_config_selectorIjEEZZNS1_9scan_implILNS1_25lookback_scan_determinismE0ELb0ELb0ES3_N6thrust23THRUST_200600_302600_NS6detail15normal_iteratorINS9_10device_ptrIjEEEENS9_16discard_iteratorINS9_11use_defaultEEEj11max_functorIjEjEEDaPvRmT3_T4_T5_mT6_P12ihipStream_tbENKUlT_T0_E_clISt17integral_constantIbLb1EESX_EEDaSS_ST_EUlSS_E0_NS1_11comp_targetILNS1_3genE9ELNS1_11target_archE1100ELNS1_3gpuE3ELNS1_3repE0EEENS1_30default_config_static_selectorELNS0_4arch9wavefront6targetE1EEEvT1_ ; -- Begin function _ZN7rocprim17ROCPRIM_400000_NS6detail17trampoline_kernelINS0_14default_configENS1_20scan_config_selectorIjEEZZNS1_9scan_implILNS1_25lookback_scan_determinismE0ELb0ELb0ES3_N6thrust23THRUST_200600_302600_NS6detail15normal_iteratorINS9_10device_ptrIjEEEENS9_16discard_iteratorINS9_11use_defaultEEEj11max_functorIjEjEEDaPvRmT3_T4_T5_mT6_P12ihipStream_tbENKUlT_T0_E_clISt17integral_constantIbLb1EESX_EEDaSS_ST_EUlSS_E0_NS1_11comp_targetILNS1_3genE9ELNS1_11target_archE1100ELNS1_3gpuE3ELNS1_3repE0EEENS1_30default_config_static_selectorELNS0_4arch9wavefront6targetE1EEEvT1_
	.globl	_ZN7rocprim17ROCPRIM_400000_NS6detail17trampoline_kernelINS0_14default_configENS1_20scan_config_selectorIjEEZZNS1_9scan_implILNS1_25lookback_scan_determinismE0ELb0ELb0ES3_N6thrust23THRUST_200600_302600_NS6detail15normal_iteratorINS9_10device_ptrIjEEEENS9_16discard_iteratorINS9_11use_defaultEEEj11max_functorIjEjEEDaPvRmT3_T4_T5_mT6_P12ihipStream_tbENKUlT_T0_E_clISt17integral_constantIbLb1EESX_EEDaSS_ST_EUlSS_E0_NS1_11comp_targetILNS1_3genE9ELNS1_11target_archE1100ELNS1_3gpuE3ELNS1_3repE0EEENS1_30default_config_static_selectorELNS0_4arch9wavefront6targetE1EEEvT1_
	.p2align	8
	.type	_ZN7rocprim17ROCPRIM_400000_NS6detail17trampoline_kernelINS0_14default_configENS1_20scan_config_selectorIjEEZZNS1_9scan_implILNS1_25lookback_scan_determinismE0ELb0ELb0ES3_N6thrust23THRUST_200600_302600_NS6detail15normal_iteratorINS9_10device_ptrIjEEEENS9_16discard_iteratorINS9_11use_defaultEEEj11max_functorIjEjEEDaPvRmT3_T4_T5_mT6_P12ihipStream_tbENKUlT_T0_E_clISt17integral_constantIbLb1EESX_EEDaSS_ST_EUlSS_E0_NS1_11comp_targetILNS1_3genE9ELNS1_11target_archE1100ELNS1_3gpuE3ELNS1_3repE0EEENS1_30default_config_static_selectorELNS0_4arch9wavefront6targetE1EEEvT1_,@function
_ZN7rocprim17ROCPRIM_400000_NS6detail17trampoline_kernelINS0_14default_configENS1_20scan_config_selectorIjEEZZNS1_9scan_implILNS1_25lookback_scan_determinismE0ELb0ELb0ES3_N6thrust23THRUST_200600_302600_NS6detail15normal_iteratorINS9_10device_ptrIjEEEENS9_16discard_iteratorINS9_11use_defaultEEEj11max_functorIjEjEEDaPvRmT3_T4_T5_mT6_P12ihipStream_tbENKUlT_T0_E_clISt17integral_constantIbLb1EESX_EEDaSS_ST_EUlSS_E0_NS1_11comp_targetILNS1_3genE9ELNS1_11target_archE1100ELNS1_3gpuE3ELNS1_3repE0EEENS1_30default_config_static_selectorELNS0_4arch9wavefront6targetE1EEEvT1_: ; @_ZN7rocprim17ROCPRIM_400000_NS6detail17trampoline_kernelINS0_14default_configENS1_20scan_config_selectorIjEEZZNS1_9scan_implILNS1_25lookback_scan_determinismE0ELb0ELb0ES3_N6thrust23THRUST_200600_302600_NS6detail15normal_iteratorINS9_10device_ptrIjEEEENS9_16discard_iteratorINS9_11use_defaultEEEj11max_functorIjEjEEDaPvRmT3_T4_T5_mT6_P12ihipStream_tbENKUlT_T0_E_clISt17integral_constantIbLb1EESX_EEDaSS_ST_EUlSS_E0_NS1_11comp_targetILNS1_3genE9ELNS1_11target_archE1100ELNS1_3gpuE3ELNS1_3repE0EEENS1_30default_config_static_selectorELNS0_4arch9wavefront6targetE1EEEvT1_
; %bb.0:
	.section	.rodata,"a",@progbits
	.p2align	6, 0x0
	.amdhsa_kernel _ZN7rocprim17ROCPRIM_400000_NS6detail17trampoline_kernelINS0_14default_configENS1_20scan_config_selectorIjEEZZNS1_9scan_implILNS1_25lookback_scan_determinismE0ELb0ELb0ES3_N6thrust23THRUST_200600_302600_NS6detail15normal_iteratorINS9_10device_ptrIjEEEENS9_16discard_iteratorINS9_11use_defaultEEEj11max_functorIjEjEEDaPvRmT3_T4_T5_mT6_P12ihipStream_tbENKUlT_T0_E_clISt17integral_constantIbLb1EESX_EEDaSS_ST_EUlSS_E0_NS1_11comp_targetILNS1_3genE9ELNS1_11target_archE1100ELNS1_3gpuE3ELNS1_3repE0EEENS1_30default_config_static_selectorELNS0_4arch9wavefront6targetE1EEEvT1_
		.amdhsa_group_segment_fixed_size 0
		.amdhsa_private_segment_fixed_size 0
		.amdhsa_kernarg_size 40
		.amdhsa_user_sgpr_count 6
		.amdhsa_user_sgpr_private_segment_buffer 1
		.amdhsa_user_sgpr_dispatch_ptr 0
		.amdhsa_user_sgpr_queue_ptr 0
		.amdhsa_user_sgpr_kernarg_segment_ptr 1
		.amdhsa_user_sgpr_dispatch_id 0
		.amdhsa_user_sgpr_flat_scratch_init 0
		.amdhsa_user_sgpr_kernarg_preload_length 0
		.amdhsa_user_sgpr_kernarg_preload_offset 0
		.amdhsa_user_sgpr_private_segment_size 0
		.amdhsa_uses_dynamic_stack 0
		.amdhsa_system_sgpr_private_segment_wavefront_offset 0
		.amdhsa_system_sgpr_workgroup_id_x 1
		.amdhsa_system_sgpr_workgroup_id_y 0
		.amdhsa_system_sgpr_workgroup_id_z 0
		.amdhsa_system_sgpr_workgroup_info 0
		.amdhsa_system_vgpr_workitem_id 0
		.amdhsa_next_free_vgpr 1
		.amdhsa_next_free_sgpr 0
		.amdhsa_accum_offset 4
		.amdhsa_reserve_vcc 0
		.amdhsa_reserve_flat_scratch 0
		.amdhsa_float_round_mode_32 0
		.amdhsa_float_round_mode_16_64 0
		.amdhsa_float_denorm_mode_32 3
		.amdhsa_float_denorm_mode_16_64 3
		.amdhsa_dx10_clamp 1
		.amdhsa_ieee_mode 1
		.amdhsa_fp16_overflow 0
		.amdhsa_tg_split 0
		.amdhsa_exception_fp_ieee_invalid_op 0
		.amdhsa_exception_fp_denorm_src 0
		.amdhsa_exception_fp_ieee_div_zero 0
		.amdhsa_exception_fp_ieee_overflow 0
		.amdhsa_exception_fp_ieee_underflow 0
		.amdhsa_exception_fp_ieee_inexact 0
		.amdhsa_exception_int_div_zero 0
	.end_amdhsa_kernel
	.section	.text._ZN7rocprim17ROCPRIM_400000_NS6detail17trampoline_kernelINS0_14default_configENS1_20scan_config_selectorIjEEZZNS1_9scan_implILNS1_25lookback_scan_determinismE0ELb0ELb0ES3_N6thrust23THRUST_200600_302600_NS6detail15normal_iteratorINS9_10device_ptrIjEEEENS9_16discard_iteratorINS9_11use_defaultEEEj11max_functorIjEjEEDaPvRmT3_T4_T5_mT6_P12ihipStream_tbENKUlT_T0_E_clISt17integral_constantIbLb1EESX_EEDaSS_ST_EUlSS_E0_NS1_11comp_targetILNS1_3genE9ELNS1_11target_archE1100ELNS1_3gpuE3ELNS1_3repE0EEENS1_30default_config_static_selectorELNS0_4arch9wavefront6targetE1EEEvT1_,"axG",@progbits,_ZN7rocprim17ROCPRIM_400000_NS6detail17trampoline_kernelINS0_14default_configENS1_20scan_config_selectorIjEEZZNS1_9scan_implILNS1_25lookback_scan_determinismE0ELb0ELb0ES3_N6thrust23THRUST_200600_302600_NS6detail15normal_iteratorINS9_10device_ptrIjEEEENS9_16discard_iteratorINS9_11use_defaultEEEj11max_functorIjEjEEDaPvRmT3_T4_T5_mT6_P12ihipStream_tbENKUlT_T0_E_clISt17integral_constantIbLb1EESX_EEDaSS_ST_EUlSS_E0_NS1_11comp_targetILNS1_3genE9ELNS1_11target_archE1100ELNS1_3gpuE3ELNS1_3repE0EEENS1_30default_config_static_selectorELNS0_4arch9wavefront6targetE1EEEvT1_,comdat
.Lfunc_end3456:
	.size	_ZN7rocprim17ROCPRIM_400000_NS6detail17trampoline_kernelINS0_14default_configENS1_20scan_config_selectorIjEEZZNS1_9scan_implILNS1_25lookback_scan_determinismE0ELb0ELb0ES3_N6thrust23THRUST_200600_302600_NS6detail15normal_iteratorINS9_10device_ptrIjEEEENS9_16discard_iteratorINS9_11use_defaultEEEj11max_functorIjEjEEDaPvRmT3_T4_T5_mT6_P12ihipStream_tbENKUlT_T0_E_clISt17integral_constantIbLb1EESX_EEDaSS_ST_EUlSS_E0_NS1_11comp_targetILNS1_3genE9ELNS1_11target_archE1100ELNS1_3gpuE3ELNS1_3repE0EEENS1_30default_config_static_selectorELNS0_4arch9wavefront6targetE1EEEvT1_, .Lfunc_end3456-_ZN7rocprim17ROCPRIM_400000_NS6detail17trampoline_kernelINS0_14default_configENS1_20scan_config_selectorIjEEZZNS1_9scan_implILNS1_25lookback_scan_determinismE0ELb0ELb0ES3_N6thrust23THRUST_200600_302600_NS6detail15normal_iteratorINS9_10device_ptrIjEEEENS9_16discard_iteratorINS9_11use_defaultEEEj11max_functorIjEjEEDaPvRmT3_T4_T5_mT6_P12ihipStream_tbENKUlT_T0_E_clISt17integral_constantIbLb1EESX_EEDaSS_ST_EUlSS_E0_NS1_11comp_targetILNS1_3genE9ELNS1_11target_archE1100ELNS1_3gpuE3ELNS1_3repE0EEENS1_30default_config_static_selectorELNS0_4arch9wavefront6targetE1EEEvT1_
                                        ; -- End function
	.section	.AMDGPU.csdata,"",@progbits
; Kernel info:
; codeLenInByte = 0
; NumSgprs: 4
; NumVgprs: 0
; NumAgprs: 0
; TotalNumVgprs: 0
; ScratchSize: 0
; MemoryBound: 0
; FloatMode: 240
; IeeeMode: 1
; LDSByteSize: 0 bytes/workgroup (compile time only)
; SGPRBlocks: 0
; VGPRBlocks: 0
; NumSGPRsForWavesPerEU: 4
; NumVGPRsForWavesPerEU: 1
; AccumOffset: 4
; Occupancy: 8
; WaveLimiterHint : 0
; COMPUTE_PGM_RSRC2:SCRATCH_EN: 0
; COMPUTE_PGM_RSRC2:USER_SGPR: 6
; COMPUTE_PGM_RSRC2:TRAP_HANDLER: 0
; COMPUTE_PGM_RSRC2:TGID_X_EN: 1
; COMPUTE_PGM_RSRC2:TGID_Y_EN: 0
; COMPUTE_PGM_RSRC2:TGID_Z_EN: 0
; COMPUTE_PGM_RSRC2:TIDIG_COMP_CNT: 0
; COMPUTE_PGM_RSRC3_GFX90A:ACCUM_OFFSET: 0
; COMPUTE_PGM_RSRC3_GFX90A:TG_SPLIT: 0
	.section	.text._ZN7rocprim17ROCPRIM_400000_NS6detail17trampoline_kernelINS0_14default_configENS1_20scan_config_selectorIjEEZZNS1_9scan_implILNS1_25lookback_scan_determinismE0ELb0ELb0ES3_N6thrust23THRUST_200600_302600_NS6detail15normal_iteratorINS9_10device_ptrIjEEEENS9_16discard_iteratorINS9_11use_defaultEEEj11max_functorIjEjEEDaPvRmT3_T4_T5_mT6_P12ihipStream_tbENKUlT_T0_E_clISt17integral_constantIbLb1EESX_EEDaSS_ST_EUlSS_E0_NS1_11comp_targetILNS1_3genE8ELNS1_11target_archE1030ELNS1_3gpuE2ELNS1_3repE0EEENS1_30default_config_static_selectorELNS0_4arch9wavefront6targetE1EEEvT1_,"axG",@progbits,_ZN7rocprim17ROCPRIM_400000_NS6detail17trampoline_kernelINS0_14default_configENS1_20scan_config_selectorIjEEZZNS1_9scan_implILNS1_25lookback_scan_determinismE0ELb0ELb0ES3_N6thrust23THRUST_200600_302600_NS6detail15normal_iteratorINS9_10device_ptrIjEEEENS9_16discard_iteratorINS9_11use_defaultEEEj11max_functorIjEjEEDaPvRmT3_T4_T5_mT6_P12ihipStream_tbENKUlT_T0_E_clISt17integral_constantIbLb1EESX_EEDaSS_ST_EUlSS_E0_NS1_11comp_targetILNS1_3genE8ELNS1_11target_archE1030ELNS1_3gpuE2ELNS1_3repE0EEENS1_30default_config_static_selectorELNS0_4arch9wavefront6targetE1EEEvT1_,comdat
	.protected	_ZN7rocprim17ROCPRIM_400000_NS6detail17trampoline_kernelINS0_14default_configENS1_20scan_config_selectorIjEEZZNS1_9scan_implILNS1_25lookback_scan_determinismE0ELb0ELb0ES3_N6thrust23THRUST_200600_302600_NS6detail15normal_iteratorINS9_10device_ptrIjEEEENS9_16discard_iteratorINS9_11use_defaultEEEj11max_functorIjEjEEDaPvRmT3_T4_T5_mT6_P12ihipStream_tbENKUlT_T0_E_clISt17integral_constantIbLb1EESX_EEDaSS_ST_EUlSS_E0_NS1_11comp_targetILNS1_3genE8ELNS1_11target_archE1030ELNS1_3gpuE2ELNS1_3repE0EEENS1_30default_config_static_selectorELNS0_4arch9wavefront6targetE1EEEvT1_ ; -- Begin function _ZN7rocprim17ROCPRIM_400000_NS6detail17trampoline_kernelINS0_14default_configENS1_20scan_config_selectorIjEEZZNS1_9scan_implILNS1_25lookback_scan_determinismE0ELb0ELb0ES3_N6thrust23THRUST_200600_302600_NS6detail15normal_iteratorINS9_10device_ptrIjEEEENS9_16discard_iteratorINS9_11use_defaultEEEj11max_functorIjEjEEDaPvRmT3_T4_T5_mT6_P12ihipStream_tbENKUlT_T0_E_clISt17integral_constantIbLb1EESX_EEDaSS_ST_EUlSS_E0_NS1_11comp_targetILNS1_3genE8ELNS1_11target_archE1030ELNS1_3gpuE2ELNS1_3repE0EEENS1_30default_config_static_selectorELNS0_4arch9wavefront6targetE1EEEvT1_
	.globl	_ZN7rocprim17ROCPRIM_400000_NS6detail17trampoline_kernelINS0_14default_configENS1_20scan_config_selectorIjEEZZNS1_9scan_implILNS1_25lookback_scan_determinismE0ELb0ELb0ES3_N6thrust23THRUST_200600_302600_NS6detail15normal_iteratorINS9_10device_ptrIjEEEENS9_16discard_iteratorINS9_11use_defaultEEEj11max_functorIjEjEEDaPvRmT3_T4_T5_mT6_P12ihipStream_tbENKUlT_T0_E_clISt17integral_constantIbLb1EESX_EEDaSS_ST_EUlSS_E0_NS1_11comp_targetILNS1_3genE8ELNS1_11target_archE1030ELNS1_3gpuE2ELNS1_3repE0EEENS1_30default_config_static_selectorELNS0_4arch9wavefront6targetE1EEEvT1_
	.p2align	8
	.type	_ZN7rocprim17ROCPRIM_400000_NS6detail17trampoline_kernelINS0_14default_configENS1_20scan_config_selectorIjEEZZNS1_9scan_implILNS1_25lookback_scan_determinismE0ELb0ELb0ES3_N6thrust23THRUST_200600_302600_NS6detail15normal_iteratorINS9_10device_ptrIjEEEENS9_16discard_iteratorINS9_11use_defaultEEEj11max_functorIjEjEEDaPvRmT3_T4_T5_mT6_P12ihipStream_tbENKUlT_T0_E_clISt17integral_constantIbLb1EESX_EEDaSS_ST_EUlSS_E0_NS1_11comp_targetILNS1_3genE8ELNS1_11target_archE1030ELNS1_3gpuE2ELNS1_3repE0EEENS1_30default_config_static_selectorELNS0_4arch9wavefront6targetE1EEEvT1_,@function
_ZN7rocprim17ROCPRIM_400000_NS6detail17trampoline_kernelINS0_14default_configENS1_20scan_config_selectorIjEEZZNS1_9scan_implILNS1_25lookback_scan_determinismE0ELb0ELb0ES3_N6thrust23THRUST_200600_302600_NS6detail15normal_iteratorINS9_10device_ptrIjEEEENS9_16discard_iteratorINS9_11use_defaultEEEj11max_functorIjEjEEDaPvRmT3_T4_T5_mT6_P12ihipStream_tbENKUlT_T0_E_clISt17integral_constantIbLb1EESX_EEDaSS_ST_EUlSS_E0_NS1_11comp_targetILNS1_3genE8ELNS1_11target_archE1030ELNS1_3gpuE2ELNS1_3repE0EEENS1_30default_config_static_selectorELNS0_4arch9wavefront6targetE1EEEvT1_: ; @_ZN7rocprim17ROCPRIM_400000_NS6detail17trampoline_kernelINS0_14default_configENS1_20scan_config_selectorIjEEZZNS1_9scan_implILNS1_25lookback_scan_determinismE0ELb0ELb0ES3_N6thrust23THRUST_200600_302600_NS6detail15normal_iteratorINS9_10device_ptrIjEEEENS9_16discard_iteratorINS9_11use_defaultEEEj11max_functorIjEjEEDaPvRmT3_T4_T5_mT6_P12ihipStream_tbENKUlT_T0_E_clISt17integral_constantIbLb1EESX_EEDaSS_ST_EUlSS_E0_NS1_11comp_targetILNS1_3genE8ELNS1_11target_archE1030ELNS1_3gpuE2ELNS1_3repE0EEENS1_30default_config_static_selectorELNS0_4arch9wavefront6targetE1EEEvT1_
; %bb.0:
	.section	.rodata,"a",@progbits
	.p2align	6, 0x0
	.amdhsa_kernel _ZN7rocprim17ROCPRIM_400000_NS6detail17trampoline_kernelINS0_14default_configENS1_20scan_config_selectorIjEEZZNS1_9scan_implILNS1_25lookback_scan_determinismE0ELb0ELb0ES3_N6thrust23THRUST_200600_302600_NS6detail15normal_iteratorINS9_10device_ptrIjEEEENS9_16discard_iteratorINS9_11use_defaultEEEj11max_functorIjEjEEDaPvRmT3_T4_T5_mT6_P12ihipStream_tbENKUlT_T0_E_clISt17integral_constantIbLb1EESX_EEDaSS_ST_EUlSS_E0_NS1_11comp_targetILNS1_3genE8ELNS1_11target_archE1030ELNS1_3gpuE2ELNS1_3repE0EEENS1_30default_config_static_selectorELNS0_4arch9wavefront6targetE1EEEvT1_
		.amdhsa_group_segment_fixed_size 0
		.amdhsa_private_segment_fixed_size 0
		.amdhsa_kernarg_size 40
		.amdhsa_user_sgpr_count 6
		.amdhsa_user_sgpr_private_segment_buffer 1
		.amdhsa_user_sgpr_dispatch_ptr 0
		.amdhsa_user_sgpr_queue_ptr 0
		.amdhsa_user_sgpr_kernarg_segment_ptr 1
		.amdhsa_user_sgpr_dispatch_id 0
		.amdhsa_user_sgpr_flat_scratch_init 0
		.amdhsa_user_sgpr_kernarg_preload_length 0
		.amdhsa_user_sgpr_kernarg_preload_offset 0
		.amdhsa_user_sgpr_private_segment_size 0
		.amdhsa_uses_dynamic_stack 0
		.amdhsa_system_sgpr_private_segment_wavefront_offset 0
		.amdhsa_system_sgpr_workgroup_id_x 1
		.amdhsa_system_sgpr_workgroup_id_y 0
		.amdhsa_system_sgpr_workgroup_id_z 0
		.amdhsa_system_sgpr_workgroup_info 0
		.amdhsa_system_vgpr_workitem_id 0
		.amdhsa_next_free_vgpr 1
		.amdhsa_next_free_sgpr 0
		.amdhsa_accum_offset 4
		.amdhsa_reserve_vcc 0
		.amdhsa_reserve_flat_scratch 0
		.amdhsa_float_round_mode_32 0
		.amdhsa_float_round_mode_16_64 0
		.amdhsa_float_denorm_mode_32 3
		.amdhsa_float_denorm_mode_16_64 3
		.amdhsa_dx10_clamp 1
		.amdhsa_ieee_mode 1
		.amdhsa_fp16_overflow 0
		.amdhsa_tg_split 0
		.amdhsa_exception_fp_ieee_invalid_op 0
		.amdhsa_exception_fp_denorm_src 0
		.amdhsa_exception_fp_ieee_div_zero 0
		.amdhsa_exception_fp_ieee_overflow 0
		.amdhsa_exception_fp_ieee_underflow 0
		.amdhsa_exception_fp_ieee_inexact 0
		.amdhsa_exception_int_div_zero 0
	.end_amdhsa_kernel
	.section	.text._ZN7rocprim17ROCPRIM_400000_NS6detail17trampoline_kernelINS0_14default_configENS1_20scan_config_selectorIjEEZZNS1_9scan_implILNS1_25lookback_scan_determinismE0ELb0ELb0ES3_N6thrust23THRUST_200600_302600_NS6detail15normal_iteratorINS9_10device_ptrIjEEEENS9_16discard_iteratorINS9_11use_defaultEEEj11max_functorIjEjEEDaPvRmT3_T4_T5_mT6_P12ihipStream_tbENKUlT_T0_E_clISt17integral_constantIbLb1EESX_EEDaSS_ST_EUlSS_E0_NS1_11comp_targetILNS1_3genE8ELNS1_11target_archE1030ELNS1_3gpuE2ELNS1_3repE0EEENS1_30default_config_static_selectorELNS0_4arch9wavefront6targetE1EEEvT1_,"axG",@progbits,_ZN7rocprim17ROCPRIM_400000_NS6detail17trampoline_kernelINS0_14default_configENS1_20scan_config_selectorIjEEZZNS1_9scan_implILNS1_25lookback_scan_determinismE0ELb0ELb0ES3_N6thrust23THRUST_200600_302600_NS6detail15normal_iteratorINS9_10device_ptrIjEEEENS9_16discard_iteratorINS9_11use_defaultEEEj11max_functorIjEjEEDaPvRmT3_T4_T5_mT6_P12ihipStream_tbENKUlT_T0_E_clISt17integral_constantIbLb1EESX_EEDaSS_ST_EUlSS_E0_NS1_11comp_targetILNS1_3genE8ELNS1_11target_archE1030ELNS1_3gpuE2ELNS1_3repE0EEENS1_30default_config_static_selectorELNS0_4arch9wavefront6targetE1EEEvT1_,comdat
.Lfunc_end3457:
	.size	_ZN7rocprim17ROCPRIM_400000_NS6detail17trampoline_kernelINS0_14default_configENS1_20scan_config_selectorIjEEZZNS1_9scan_implILNS1_25lookback_scan_determinismE0ELb0ELb0ES3_N6thrust23THRUST_200600_302600_NS6detail15normal_iteratorINS9_10device_ptrIjEEEENS9_16discard_iteratorINS9_11use_defaultEEEj11max_functorIjEjEEDaPvRmT3_T4_T5_mT6_P12ihipStream_tbENKUlT_T0_E_clISt17integral_constantIbLb1EESX_EEDaSS_ST_EUlSS_E0_NS1_11comp_targetILNS1_3genE8ELNS1_11target_archE1030ELNS1_3gpuE2ELNS1_3repE0EEENS1_30default_config_static_selectorELNS0_4arch9wavefront6targetE1EEEvT1_, .Lfunc_end3457-_ZN7rocprim17ROCPRIM_400000_NS6detail17trampoline_kernelINS0_14default_configENS1_20scan_config_selectorIjEEZZNS1_9scan_implILNS1_25lookback_scan_determinismE0ELb0ELb0ES3_N6thrust23THRUST_200600_302600_NS6detail15normal_iteratorINS9_10device_ptrIjEEEENS9_16discard_iteratorINS9_11use_defaultEEEj11max_functorIjEjEEDaPvRmT3_T4_T5_mT6_P12ihipStream_tbENKUlT_T0_E_clISt17integral_constantIbLb1EESX_EEDaSS_ST_EUlSS_E0_NS1_11comp_targetILNS1_3genE8ELNS1_11target_archE1030ELNS1_3gpuE2ELNS1_3repE0EEENS1_30default_config_static_selectorELNS0_4arch9wavefront6targetE1EEEvT1_
                                        ; -- End function
	.section	.AMDGPU.csdata,"",@progbits
; Kernel info:
; codeLenInByte = 0
; NumSgprs: 4
; NumVgprs: 0
; NumAgprs: 0
; TotalNumVgprs: 0
; ScratchSize: 0
; MemoryBound: 0
; FloatMode: 240
; IeeeMode: 1
; LDSByteSize: 0 bytes/workgroup (compile time only)
; SGPRBlocks: 0
; VGPRBlocks: 0
; NumSGPRsForWavesPerEU: 4
; NumVGPRsForWavesPerEU: 1
; AccumOffset: 4
; Occupancy: 8
; WaveLimiterHint : 0
; COMPUTE_PGM_RSRC2:SCRATCH_EN: 0
; COMPUTE_PGM_RSRC2:USER_SGPR: 6
; COMPUTE_PGM_RSRC2:TRAP_HANDLER: 0
; COMPUTE_PGM_RSRC2:TGID_X_EN: 1
; COMPUTE_PGM_RSRC2:TGID_Y_EN: 0
; COMPUTE_PGM_RSRC2:TGID_Z_EN: 0
; COMPUTE_PGM_RSRC2:TIDIG_COMP_CNT: 0
; COMPUTE_PGM_RSRC3_GFX90A:ACCUM_OFFSET: 0
; COMPUTE_PGM_RSRC3_GFX90A:TG_SPLIT: 0
	.section	.text._ZN7rocprim17ROCPRIM_400000_NS6detail17trampoline_kernelINS0_14default_configENS1_20scan_config_selectorIjEEZZNS1_9scan_implILNS1_25lookback_scan_determinismE0ELb0ELb0ES3_N6thrust23THRUST_200600_302600_NS6detail15normal_iteratorINS9_10device_ptrIjEEEENS9_16discard_iteratorINS9_11use_defaultEEEj11max_functorIjEjEEDaPvRmT3_T4_T5_mT6_P12ihipStream_tbENKUlT_T0_E_clISt17integral_constantIbLb1EESW_IbLb0EEEEDaSS_ST_EUlSS_E_NS1_11comp_targetILNS1_3genE0ELNS1_11target_archE4294967295ELNS1_3gpuE0ELNS1_3repE0EEENS1_30default_config_static_selectorELNS0_4arch9wavefront6targetE1EEEvT1_,"axG",@progbits,_ZN7rocprim17ROCPRIM_400000_NS6detail17trampoline_kernelINS0_14default_configENS1_20scan_config_selectorIjEEZZNS1_9scan_implILNS1_25lookback_scan_determinismE0ELb0ELb0ES3_N6thrust23THRUST_200600_302600_NS6detail15normal_iteratorINS9_10device_ptrIjEEEENS9_16discard_iteratorINS9_11use_defaultEEEj11max_functorIjEjEEDaPvRmT3_T4_T5_mT6_P12ihipStream_tbENKUlT_T0_E_clISt17integral_constantIbLb1EESW_IbLb0EEEEDaSS_ST_EUlSS_E_NS1_11comp_targetILNS1_3genE0ELNS1_11target_archE4294967295ELNS1_3gpuE0ELNS1_3repE0EEENS1_30default_config_static_selectorELNS0_4arch9wavefront6targetE1EEEvT1_,comdat
	.protected	_ZN7rocprim17ROCPRIM_400000_NS6detail17trampoline_kernelINS0_14default_configENS1_20scan_config_selectorIjEEZZNS1_9scan_implILNS1_25lookback_scan_determinismE0ELb0ELb0ES3_N6thrust23THRUST_200600_302600_NS6detail15normal_iteratorINS9_10device_ptrIjEEEENS9_16discard_iteratorINS9_11use_defaultEEEj11max_functorIjEjEEDaPvRmT3_T4_T5_mT6_P12ihipStream_tbENKUlT_T0_E_clISt17integral_constantIbLb1EESW_IbLb0EEEEDaSS_ST_EUlSS_E_NS1_11comp_targetILNS1_3genE0ELNS1_11target_archE4294967295ELNS1_3gpuE0ELNS1_3repE0EEENS1_30default_config_static_selectorELNS0_4arch9wavefront6targetE1EEEvT1_ ; -- Begin function _ZN7rocprim17ROCPRIM_400000_NS6detail17trampoline_kernelINS0_14default_configENS1_20scan_config_selectorIjEEZZNS1_9scan_implILNS1_25lookback_scan_determinismE0ELb0ELb0ES3_N6thrust23THRUST_200600_302600_NS6detail15normal_iteratorINS9_10device_ptrIjEEEENS9_16discard_iteratorINS9_11use_defaultEEEj11max_functorIjEjEEDaPvRmT3_T4_T5_mT6_P12ihipStream_tbENKUlT_T0_E_clISt17integral_constantIbLb1EESW_IbLb0EEEEDaSS_ST_EUlSS_E_NS1_11comp_targetILNS1_3genE0ELNS1_11target_archE4294967295ELNS1_3gpuE0ELNS1_3repE0EEENS1_30default_config_static_selectorELNS0_4arch9wavefront6targetE1EEEvT1_
	.globl	_ZN7rocprim17ROCPRIM_400000_NS6detail17trampoline_kernelINS0_14default_configENS1_20scan_config_selectorIjEEZZNS1_9scan_implILNS1_25lookback_scan_determinismE0ELb0ELb0ES3_N6thrust23THRUST_200600_302600_NS6detail15normal_iteratorINS9_10device_ptrIjEEEENS9_16discard_iteratorINS9_11use_defaultEEEj11max_functorIjEjEEDaPvRmT3_T4_T5_mT6_P12ihipStream_tbENKUlT_T0_E_clISt17integral_constantIbLb1EESW_IbLb0EEEEDaSS_ST_EUlSS_E_NS1_11comp_targetILNS1_3genE0ELNS1_11target_archE4294967295ELNS1_3gpuE0ELNS1_3repE0EEENS1_30default_config_static_selectorELNS0_4arch9wavefront6targetE1EEEvT1_
	.p2align	8
	.type	_ZN7rocprim17ROCPRIM_400000_NS6detail17trampoline_kernelINS0_14default_configENS1_20scan_config_selectorIjEEZZNS1_9scan_implILNS1_25lookback_scan_determinismE0ELb0ELb0ES3_N6thrust23THRUST_200600_302600_NS6detail15normal_iteratorINS9_10device_ptrIjEEEENS9_16discard_iteratorINS9_11use_defaultEEEj11max_functorIjEjEEDaPvRmT3_T4_T5_mT6_P12ihipStream_tbENKUlT_T0_E_clISt17integral_constantIbLb1EESW_IbLb0EEEEDaSS_ST_EUlSS_E_NS1_11comp_targetILNS1_3genE0ELNS1_11target_archE4294967295ELNS1_3gpuE0ELNS1_3repE0EEENS1_30default_config_static_selectorELNS0_4arch9wavefront6targetE1EEEvT1_,@function
_ZN7rocprim17ROCPRIM_400000_NS6detail17trampoline_kernelINS0_14default_configENS1_20scan_config_selectorIjEEZZNS1_9scan_implILNS1_25lookback_scan_determinismE0ELb0ELb0ES3_N6thrust23THRUST_200600_302600_NS6detail15normal_iteratorINS9_10device_ptrIjEEEENS9_16discard_iteratorINS9_11use_defaultEEEj11max_functorIjEjEEDaPvRmT3_T4_T5_mT6_P12ihipStream_tbENKUlT_T0_E_clISt17integral_constantIbLb1EESW_IbLb0EEEEDaSS_ST_EUlSS_E_NS1_11comp_targetILNS1_3genE0ELNS1_11target_archE4294967295ELNS1_3gpuE0ELNS1_3repE0EEENS1_30default_config_static_selectorELNS0_4arch9wavefront6targetE1EEEvT1_: ; @_ZN7rocprim17ROCPRIM_400000_NS6detail17trampoline_kernelINS0_14default_configENS1_20scan_config_selectorIjEEZZNS1_9scan_implILNS1_25lookback_scan_determinismE0ELb0ELb0ES3_N6thrust23THRUST_200600_302600_NS6detail15normal_iteratorINS9_10device_ptrIjEEEENS9_16discard_iteratorINS9_11use_defaultEEEj11max_functorIjEjEEDaPvRmT3_T4_T5_mT6_P12ihipStream_tbENKUlT_T0_E_clISt17integral_constantIbLb1EESW_IbLb0EEEEDaSS_ST_EUlSS_E_NS1_11comp_targetILNS1_3genE0ELNS1_11target_archE4294967295ELNS1_3gpuE0ELNS1_3repE0EEENS1_30default_config_static_selectorELNS0_4arch9wavefront6targetE1EEEvT1_
; %bb.0:
	.section	.rodata,"a",@progbits
	.p2align	6, 0x0
	.amdhsa_kernel _ZN7rocprim17ROCPRIM_400000_NS6detail17trampoline_kernelINS0_14default_configENS1_20scan_config_selectorIjEEZZNS1_9scan_implILNS1_25lookback_scan_determinismE0ELb0ELb0ES3_N6thrust23THRUST_200600_302600_NS6detail15normal_iteratorINS9_10device_ptrIjEEEENS9_16discard_iteratorINS9_11use_defaultEEEj11max_functorIjEjEEDaPvRmT3_T4_T5_mT6_P12ihipStream_tbENKUlT_T0_E_clISt17integral_constantIbLb1EESW_IbLb0EEEEDaSS_ST_EUlSS_E_NS1_11comp_targetILNS1_3genE0ELNS1_11target_archE4294967295ELNS1_3gpuE0ELNS1_3repE0EEENS1_30default_config_static_selectorELNS0_4arch9wavefront6targetE1EEEvT1_
		.amdhsa_group_segment_fixed_size 0
		.amdhsa_private_segment_fixed_size 0
		.amdhsa_kernarg_size 104
		.amdhsa_user_sgpr_count 6
		.amdhsa_user_sgpr_private_segment_buffer 1
		.amdhsa_user_sgpr_dispatch_ptr 0
		.amdhsa_user_sgpr_queue_ptr 0
		.amdhsa_user_sgpr_kernarg_segment_ptr 1
		.amdhsa_user_sgpr_dispatch_id 0
		.amdhsa_user_sgpr_flat_scratch_init 0
		.amdhsa_user_sgpr_kernarg_preload_length 0
		.amdhsa_user_sgpr_kernarg_preload_offset 0
		.amdhsa_user_sgpr_private_segment_size 0
		.amdhsa_uses_dynamic_stack 0
		.amdhsa_system_sgpr_private_segment_wavefront_offset 0
		.amdhsa_system_sgpr_workgroup_id_x 1
		.amdhsa_system_sgpr_workgroup_id_y 0
		.amdhsa_system_sgpr_workgroup_id_z 0
		.amdhsa_system_sgpr_workgroup_info 0
		.amdhsa_system_vgpr_workitem_id 0
		.amdhsa_next_free_vgpr 1
		.amdhsa_next_free_sgpr 0
		.amdhsa_accum_offset 4
		.amdhsa_reserve_vcc 0
		.amdhsa_reserve_flat_scratch 0
		.amdhsa_float_round_mode_32 0
		.amdhsa_float_round_mode_16_64 0
		.amdhsa_float_denorm_mode_32 3
		.amdhsa_float_denorm_mode_16_64 3
		.amdhsa_dx10_clamp 1
		.amdhsa_ieee_mode 1
		.amdhsa_fp16_overflow 0
		.amdhsa_tg_split 0
		.amdhsa_exception_fp_ieee_invalid_op 0
		.amdhsa_exception_fp_denorm_src 0
		.amdhsa_exception_fp_ieee_div_zero 0
		.amdhsa_exception_fp_ieee_overflow 0
		.amdhsa_exception_fp_ieee_underflow 0
		.amdhsa_exception_fp_ieee_inexact 0
		.amdhsa_exception_int_div_zero 0
	.end_amdhsa_kernel
	.section	.text._ZN7rocprim17ROCPRIM_400000_NS6detail17trampoline_kernelINS0_14default_configENS1_20scan_config_selectorIjEEZZNS1_9scan_implILNS1_25lookback_scan_determinismE0ELb0ELb0ES3_N6thrust23THRUST_200600_302600_NS6detail15normal_iteratorINS9_10device_ptrIjEEEENS9_16discard_iteratorINS9_11use_defaultEEEj11max_functorIjEjEEDaPvRmT3_T4_T5_mT6_P12ihipStream_tbENKUlT_T0_E_clISt17integral_constantIbLb1EESW_IbLb0EEEEDaSS_ST_EUlSS_E_NS1_11comp_targetILNS1_3genE0ELNS1_11target_archE4294967295ELNS1_3gpuE0ELNS1_3repE0EEENS1_30default_config_static_selectorELNS0_4arch9wavefront6targetE1EEEvT1_,"axG",@progbits,_ZN7rocprim17ROCPRIM_400000_NS6detail17trampoline_kernelINS0_14default_configENS1_20scan_config_selectorIjEEZZNS1_9scan_implILNS1_25lookback_scan_determinismE0ELb0ELb0ES3_N6thrust23THRUST_200600_302600_NS6detail15normal_iteratorINS9_10device_ptrIjEEEENS9_16discard_iteratorINS9_11use_defaultEEEj11max_functorIjEjEEDaPvRmT3_T4_T5_mT6_P12ihipStream_tbENKUlT_T0_E_clISt17integral_constantIbLb1EESW_IbLb0EEEEDaSS_ST_EUlSS_E_NS1_11comp_targetILNS1_3genE0ELNS1_11target_archE4294967295ELNS1_3gpuE0ELNS1_3repE0EEENS1_30default_config_static_selectorELNS0_4arch9wavefront6targetE1EEEvT1_,comdat
.Lfunc_end3458:
	.size	_ZN7rocprim17ROCPRIM_400000_NS6detail17trampoline_kernelINS0_14default_configENS1_20scan_config_selectorIjEEZZNS1_9scan_implILNS1_25lookback_scan_determinismE0ELb0ELb0ES3_N6thrust23THRUST_200600_302600_NS6detail15normal_iteratorINS9_10device_ptrIjEEEENS9_16discard_iteratorINS9_11use_defaultEEEj11max_functorIjEjEEDaPvRmT3_T4_T5_mT6_P12ihipStream_tbENKUlT_T0_E_clISt17integral_constantIbLb1EESW_IbLb0EEEEDaSS_ST_EUlSS_E_NS1_11comp_targetILNS1_3genE0ELNS1_11target_archE4294967295ELNS1_3gpuE0ELNS1_3repE0EEENS1_30default_config_static_selectorELNS0_4arch9wavefront6targetE1EEEvT1_, .Lfunc_end3458-_ZN7rocprim17ROCPRIM_400000_NS6detail17trampoline_kernelINS0_14default_configENS1_20scan_config_selectorIjEEZZNS1_9scan_implILNS1_25lookback_scan_determinismE0ELb0ELb0ES3_N6thrust23THRUST_200600_302600_NS6detail15normal_iteratorINS9_10device_ptrIjEEEENS9_16discard_iteratorINS9_11use_defaultEEEj11max_functorIjEjEEDaPvRmT3_T4_T5_mT6_P12ihipStream_tbENKUlT_T0_E_clISt17integral_constantIbLb1EESW_IbLb0EEEEDaSS_ST_EUlSS_E_NS1_11comp_targetILNS1_3genE0ELNS1_11target_archE4294967295ELNS1_3gpuE0ELNS1_3repE0EEENS1_30default_config_static_selectorELNS0_4arch9wavefront6targetE1EEEvT1_
                                        ; -- End function
	.section	.AMDGPU.csdata,"",@progbits
; Kernel info:
; codeLenInByte = 0
; NumSgprs: 4
; NumVgprs: 0
; NumAgprs: 0
; TotalNumVgprs: 0
; ScratchSize: 0
; MemoryBound: 0
; FloatMode: 240
; IeeeMode: 1
; LDSByteSize: 0 bytes/workgroup (compile time only)
; SGPRBlocks: 0
; VGPRBlocks: 0
; NumSGPRsForWavesPerEU: 4
; NumVGPRsForWavesPerEU: 1
; AccumOffset: 4
; Occupancy: 8
; WaveLimiterHint : 0
; COMPUTE_PGM_RSRC2:SCRATCH_EN: 0
; COMPUTE_PGM_RSRC2:USER_SGPR: 6
; COMPUTE_PGM_RSRC2:TRAP_HANDLER: 0
; COMPUTE_PGM_RSRC2:TGID_X_EN: 1
; COMPUTE_PGM_RSRC2:TGID_Y_EN: 0
; COMPUTE_PGM_RSRC2:TGID_Z_EN: 0
; COMPUTE_PGM_RSRC2:TIDIG_COMP_CNT: 0
; COMPUTE_PGM_RSRC3_GFX90A:ACCUM_OFFSET: 0
; COMPUTE_PGM_RSRC3_GFX90A:TG_SPLIT: 0
	.section	.text._ZN7rocprim17ROCPRIM_400000_NS6detail17trampoline_kernelINS0_14default_configENS1_20scan_config_selectorIjEEZZNS1_9scan_implILNS1_25lookback_scan_determinismE0ELb0ELb0ES3_N6thrust23THRUST_200600_302600_NS6detail15normal_iteratorINS9_10device_ptrIjEEEENS9_16discard_iteratorINS9_11use_defaultEEEj11max_functorIjEjEEDaPvRmT3_T4_T5_mT6_P12ihipStream_tbENKUlT_T0_E_clISt17integral_constantIbLb1EESW_IbLb0EEEEDaSS_ST_EUlSS_E_NS1_11comp_targetILNS1_3genE5ELNS1_11target_archE942ELNS1_3gpuE9ELNS1_3repE0EEENS1_30default_config_static_selectorELNS0_4arch9wavefront6targetE1EEEvT1_,"axG",@progbits,_ZN7rocprim17ROCPRIM_400000_NS6detail17trampoline_kernelINS0_14default_configENS1_20scan_config_selectorIjEEZZNS1_9scan_implILNS1_25lookback_scan_determinismE0ELb0ELb0ES3_N6thrust23THRUST_200600_302600_NS6detail15normal_iteratorINS9_10device_ptrIjEEEENS9_16discard_iteratorINS9_11use_defaultEEEj11max_functorIjEjEEDaPvRmT3_T4_T5_mT6_P12ihipStream_tbENKUlT_T0_E_clISt17integral_constantIbLb1EESW_IbLb0EEEEDaSS_ST_EUlSS_E_NS1_11comp_targetILNS1_3genE5ELNS1_11target_archE942ELNS1_3gpuE9ELNS1_3repE0EEENS1_30default_config_static_selectorELNS0_4arch9wavefront6targetE1EEEvT1_,comdat
	.protected	_ZN7rocprim17ROCPRIM_400000_NS6detail17trampoline_kernelINS0_14default_configENS1_20scan_config_selectorIjEEZZNS1_9scan_implILNS1_25lookback_scan_determinismE0ELb0ELb0ES3_N6thrust23THRUST_200600_302600_NS6detail15normal_iteratorINS9_10device_ptrIjEEEENS9_16discard_iteratorINS9_11use_defaultEEEj11max_functorIjEjEEDaPvRmT3_T4_T5_mT6_P12ihipStream_tbENKUlT_T0_E_clISt17integral_constantIbLb1EESW_IbLb0EEEEDaSS_ST_EUlSS_E_NS1_11comp_targetILNS1_3genE5ELNS1_11target_archE942ELNS1_3gpuE9ELNS1_3repE0EEENS1_30default_config_static_selectorELNS0_4arch9wavefront6targetE1EEEvT1_ ; -- Begin function _ZN7rocprim17ROCPRIM_400000_NS6detail17trampoline_kernelINS0_14default_configENS1_20scan_config_selectorIjEEZZNS1_9scan_implILNS1_25lookback_scan_determinismE0ELb0ELb0ES3_N6thrust23THRUST_200600_302600_NS6detail15normal_iteratorINS9_10device_ptrIjEEEENS9_16discard_iteratorINS9_11use_defaultEEEj11max_functorIjEjEEDaPvRmT3_T4_T5_mT6_P12ihipStream_tbENKUlT_T0_E_clISt17integral_constantIbLb1EESW_IbLb0EEEEDaSS_ST_EUlSS_E_NS1_11comp_targetILNS1_3genE5ELNS1_11target_archE942ELNS1_3gpuE9ELNS1_3repE0EEENS1_30default_config_static_selectorELNS0_4arch9wavefront6targetE1EEEvT1_
	.globl	_ZN7rocprim17ROCPRIM_400000_NS6detail17trampoline_kernelINS0_14default_configENS1_20scan_config_selectorIjEEZZNS1_9scan_implILNS1_25lookback_scan_determinismE0ELb0ELb0ES3_N6thrust23THRUST_200600_302600_NS6detail15normal_iteratorINS9_10device_ptrIjEEEENS9_16discard_iteratorINS9_11use_defaultEEEj11max_functorIjEjEEDaPvRmT3_T4_T5_mT6_P12ihipStream_tbENKUlT_T0_E_clISt17integral_constantIbLb1EESW_IbLb0EEEEDaSS_ST_EUlSS_E_NS1_11comp_targetILNS1_3genE5ELNS1_11target_archE942ELNS1_3gpuE9ELNS1_3repE0EEENS1_30default_config_static_selectorELNS0_4arch9wavefront6targetE1EEEvT1_
	.p2align	8
	.type	_ZN7rocprim17ROCPRIM_400000_NS6detail17trampoline_kernelINS0_14default_configENS1_20scan_config_selectorIjEEZZNS1_9scan_implILNS1_25lookback_scan_determinismE0ELb0ELb0ES3_N6thrust23THRUST_200600_302600_NS6detail15normal_iteratorINS9_10device_ptrIjEEEENS9_16discard_iteratorINS9_11use_defaultEEEj11max_functorIjEjEEDaPvRmT3_T4_T5_mT6_P12ihipStream_tbENKUlT_T0_E_clISt17integral_constantIbLb1EESW_IbLb0EEEEDaSS_ST_EUlSS_E_NS1_11comp_targetILNS1_3genE5ELNS1_11target_archE942ELNS1_3gpuE9ELNS1_3repE0EEENS1_30default_config_static_selectorELNS0_4arch9wavefront6targetE1EEEvT1_,@function
_ZN7rocprim17ROCPRIM_400000_NS6detail17trampoline_kernelINS0_14default_configENS1_20scan_config_selectorIjEEZZNS1_9scan_implILNS1_25lookback_scan_determinismE0ELb0ELb0ES3_N6thrust23THRUST_200600_302600_NS6detail15normal_iteratorINS9_10device_ptrIjEEEENS9_16discard_iteratorINS9_11use_defaultEEEj11max_functorIjEjEEDaPvRmT3_T4_T5_mT6_P12ihipStream_tbENKUlT_T0_E_clISt17integral_constantIbLb1EESW_IbLb0EEEEDaSS_ST_EUlSS_E_NS1_11comp_targetILNS1_3genE5ELNS1_11target_archE942ELNS1_3gpuE9ELNS1_3repE0EEENS1_30default_config_static_selectorELNS0_4arch9wavefront6targetE1EEEvT1_: ; @_ZN7rocprim17ROCPRIM_400000_NS6detail17trampoline_kernelINS0_14default_configENS1_20scan_config_selectorIjEEZZNS1_9scan_implILNS1_25lookback_scan_determinismE0ELb0ELb0ES3_N6thrust23THRUST_200600_302600_NS6detail15normal_iteratorINS9_10device_ptrIjEEEENS9_16discard_iteratorINS9_11use_defaultEEEj11max_functorIjEjEEDaPvRmT3_T4_T5_mT6_P12ihipStream_tbENKUlT_T0_E_clISt17integral_constantIbLb1EESW_IbLb0EEEEDaSS_ST_EUlSS_E_NS1_11comp_targetILNS1_3genE5ELNS1_11target_archE942ELNS1_3gpuE9ELNS1_3repE0EEENS1_30default_config_static_selectorELNS0_4arch9wavefront6targetE1EEEvT1_
; %bb.0:
	.section	.rodata,"a",@progbits
	.p2align	6, 0x0
	.amdhsa_kernel _ZN7rocprim17ROCPRIM_400000_NS6detail17trampoline_kernelINS0_14default_configENS1_20scan_config_selectorIjEEZZNS1_9scan_implILNS1_25lookback_scan_determinismE0ELb0ELb0ES3_N6thrust23THRUST_200600_302600_NS6detail15normal_iteratorINS9_10device_ptrIjEEEENS9_16discard_iteratorINS9_11use_defaultEEEj11max_functorIjEjEEDaPvRmT3_T4_T5_mT6_P12ihipStream_tbENKUlT_T0_E_clISt17integral_constantIbLb1EESW_IbLb0EEEEDaSS_ST_EUlSS_E_NS1_11comp_targetILNS1_3genE5ELNS1_11target_archE942ELNS1_3gpuE9ELNS1_3repE0EEENS1_30default_config_static_selectorELNS0_4arch9wavefront6targetE1EEEvT1_
		.amdhsa_group_segment_fixed_size 0
		.amdhsa_private_segment_fixed_size 0
		.amdhsa_kernarg_size 104
		.amdhsa_user_sgpr_count 6
		.amdhsa_user_sgpr_private_segment_buffer 1
		.amdhsa_user_sgpr_dispatch_ptr 0
		.amdhsa_user_sgpr_queue_ptr 0
		.amdhsa_user_sgpr_kernarg_segment_ptr 1
		.amdhsa_user_sgpr_dispatch_id 0
		.amdhsa_user_sgpr_flat_scratch_init 0
		.amdhsa_user_sgpr_kernarg_preload_length 0
		.amdhsa_user_sgpr_kernarg_preload_offset 0
		.amdhsa_user_sgpr_private_segment_size 0
		.amdhsa_uses_dynamic_stack 0
		.amdhsa_system_sgpr_private_segment_wavefront_offset 0
		.amdhsa_system_sgpr_workgroup_id_x 1
		.amdhsa_system_sgpr_workgroup_id_y 0
		.amdhsa_system_sgpr_workgroup_id_z 0
		.amdhsa_system_sgpr_workgroup_info 0
		.amdhsa_system_vgpr_workitem_id 0
		.amdhsa_next_free_vgpr 1
		.amdhsa_next_free_sgpr 0
		.amdhsa_accum_offset 4
		.amdhsa_reserve_vcc 0
		.amdhsa_reserve_flat_scratch 0
		.amdhsa_float_round_mode_32 0
		.amdhsa_float_round_mode_16_64 0
		.amdhsa_float_denorm_mode_32 3
		.amdhsa_float_denorm_mode_16_64 3
		.amdhsa_dx10_clamp 1
		.amdhsa_ieee_mode 1
		.amdhsa_fp16_overflow 0
		.amdhsa_tg_split 0
		.amdhsa_exception_fp_ieee_invalid_op 0
		.amdhsa_exception_fp_denorm_src 0
		.amdhsa_exception_fp_ieee_div_zero 0
		.amdhsa_exception_fp_ieee_overflow 0
		.amdhsa_exception_fp_ieee_underflow 0
		.amdhsa_exception_fp_ieee_inexact 0
		.amdhsa_exception_int_div_zero 0
	.end_amdhsa_kernel
	.section	.text._ZN7rocprim17ROCPRIM_400000_NS6detail17trampoline_kernelINS0_14default_configENS1_20scan_config_selectorIjEEZZNS1_9scan_implILNS1_25lookback_scan_determinismE0ELb0ELb0ES3_N6thrust23THRUST_200600_302600_NS6detail15normal_iteratorINS9_10device_ptrIjEEEENS9_16discard_iteratorINS9_11use_defaultEEEj11max_functorIjEjEEDaPvRmT3_T4_T5_mT6_P12ihipStream_tbENKUlT_T0_E_clISt17integral_constantIbLb1EESW_IbLb0EEEEDaSS_ST_EUlSS_E_NS1_11comp_targetILNS1_3genE5ELNS1_11target_archE942ELNS1_3gpuE9ELNS1_3repE0EEENS1_30default_config_static_selectorELNS0_4arch9wavefront6targetE1EEEvT1_,"axG",@progbits,_ZN7rocprim17ROCPRIM_400000_NS6detail17trampoline_kernelINS0_14default_configENS1_20scan_config_selectorIjEEZZNS1_9scan_implILNS1_25lookback_scan_determinismE0ELb0ELb0ES3_N6thrust23THRUST_200600_302600_NS6detail15normal_iteratorINS9_10device_ptrIjEEEENS9_16discard_iteratorINS9_11use_defaultEEEj11max_functorIjEjEEDaPvRmT3_T4_T5_mT6_P12ihipStream_tbENKUlT_T0_E_clISt17integral_constantIbLb1EESW_IbLb0EEEEDaSS_ST_EUlSS_E_NS1_11comp_targetILNS1_3genE5ELNS1_11target_archE942ELNS1_3gpuE9ELNS1_3repE0EEENS1_30default_config_static_selectorELNS0_4arch9wavefront6targetE1EEEvT1_,comdat
.Lfunc_end3459:
	.size	_ZN7rocprim17ROCPRIM_400000_NS6detail17trampoline_kernelINS0_14default_configENS1_20scan_config_selectorIjEEZZNS1_9scan_implILNS1_25lookback_scan_determinismE0ELb0ELb0ES3_N6thrust23THRUST_200600_302600_NS6detail15normal_iteratorINS9_10device_ptrIjEEEENS9_16discard_iteratorINS9_11use_defaultEEEj11max_functorIjEjEEDaPvRmT3_T4_T5_mT6_P12ihipStream_tbENKUlT_T0_E_clISt17integral_constantIbLb1EESW_IbLb0EEEEDaSS_ST_EUlSS_E_NS1_11comp_targetILNS1_3genE5ELNS1_11target_archE942ELNS1_3gpuE9ELNS1_3repE0EEENS1_30default_config_static_selectorELNS0_4arch9wavefront6targetE1EEEvT1_, .Lfunc_end3459-_ZN7rocprim17ROCPRIM_400000_NS6detail17trampoline_kernelINS0_14default_configENS1_20scan_config_selectorIjEEZZNS1_9scan_implILNS1_25lookback_scan_determinismE0ELb0ELb0ES3_N6thrust23THRUST_200600_302600_NS6detail15normal_iteratorINS9_10device_ptrIjEEEENS9_16discard_iteratorINS9_11use_defaultEEEj11max_functorIjEjEEDaPvRmT3_T4_T5_mT6_P12ihipStream_tbENKUlT_T0_E_clISt17integral_constantIbLb1EESW_IbLb0EEEEDaSS_ST_EUlSS_E_NS1_11comp_targetILNS1_3genE5ELNS1_11target_archE942ELNS1_3gpuE9ELNS1_3repE0EEENS1_30default_config_static_selectorELNS0_4arch9wavefront6targetE1EEEvT1_
                                        ; -- End function
	.section	.AMDGPU.csdata,"",@progbits
; Kernel info:
; codeLenInByte = 0
; NumSgprs: 4
; NumVgprs: 0
; NumAgprs: 0
; TotalNumVgprs: 0
; ScratchSize: 0
; MemoryBound: 0
; FloatMode: 240
; IeeeMode: 1
; LDSByteSize: 0 bytes/workgroup (compile time only)
; SGPRBlocks: 0
; VGPRBlocks: 0
; NumSGPRsForWavesPerEU: 4
; NumVGPRsForWavesPerEU: 1
; AccumOffset: 4
; Occupancy: 8
; WaveLimiterHint : 0
; COMPUTE_PGM_RSRC2:SCRATCH_EN: 0
; COMPUTE_PGM_RSRC2:USER_SGPR: 6
; COMPUTE_PGM_RSRC2:TRAP_HANDLER: 0
; COMPUTE_PGM_RSRC2:TGID_X_EN: 1
; COMPUTE_PGM_RSRC2:TGID_Y_EN: 0
; COMPUTE_PGM_RSRC2:TGID_Z_EN: 0
; COMPUTE_PGM_RSRC2:TIDIG_COMP_CNT: 0
; COMPUTE_PGM_RSRC3_GFX90A:ACCUM_OFFSET: 0
; COMPUTE_PGM_RSRC3_GFX90A:TG_SPLIT: 0
	.section	.text._ZN7rocprim17ROCPRIM_400000_NS6detail17trampoline_kernelINS0_14default_configENS1_20scan_config_selectorIjEEZZNS1_9scan_implILNS1_25lookback_scan_determinismE0ELb0ELb0ES3_N6thrust23THRUST_200600_302600_NS6detail15normal_iteratorINS9_10device_ptrIjEEEENS9_16discard_iteratorINS9_11use_defaultEEEj11max_functorIjEjEEDaPvRmT3_T4_T5_mT6_P12ihipStream_tbENKUlT_T0_E_clISt17integral_constantIbLb1EESW_IbLb0EEEEDaSS_ST_EUlSS_E_NS1_11comp_targetILNS1_3genE4ELNS1_11target_archE910ELNS1_3gpuE8ELNS1_3repE0EEENS1_30default_config_static_selectorELNS0_4arch9wavefront6targetE1EEEvT1_,"axG",@progbits,_ZN7rocprim17ROCPRIM_400000_NS6detail17trampoline_kernelINS0_14default_configENS1_20scan_config_selectorIjEEZZNS1_9scan_implILNS1_25lookback_scan_determinismE0ELb0ELb0ES3_N6thrust23THRUST_200600_302600_NS6detail15normal_iteratorINS9_10device_ptrIjEEEENS9_16discard_iteratorINS9_11use_defaultEEEj11max_functorIjEjEEDaPvRmT3_T4_T5_mT6_P12ihipStream_tbENKUlT_T0_E_clISt17integral_constantIbLb1EESW_IbLb0EEEEDaSS_ST_EUlSS_E_NS1_11comp_targetILNS1_3genE4ELNS1_11target_archE910ELNS1_3gpuE8ELNS1_3repE0EEENS1_30default_config_static_selectorELNS0_4arch9wavefront6targetE1EEEvT1_,comdat
	.protected	_ZN7rocprim17ROCPRIM_400000_NS6detail17trampoline_kernelINS0_14default_configENS1_20scan_config_selectorIjEEZZNS1_9scan_implILNS1_25lookback_scan_determinismE0ELb0ELb0ES3_N6thrust23THRUST_200600_302600_NS6detail15normal_iteratorINS9_10device_ptrIjEEEENS9_16discard_iteratorINS9_11use_defaultEEEj11max_functorIjEjEEDaPvRmT3_T4_T5_mT6_P12ihipStream_tbENKUlT_T0_E_clISt17integral_constantIbLb1EESW_IbLb0EEEEDaSS_ST_EUlSS_E_NS1_11comp_targetILNS1_3genE4ELNS1_11target_archE910ELNS1_3gpuE8ELNS1_3repE0EEENS1_30default_config_static_selectorELNS0_4arch9wavefront6targetE1EEEvT1_ ; -- Begin function _ZN7rocprim17ROCPRIM_400000_NS6detail17trampoline_kernelINS0_14default_configENS1_20scan_config_selectorIjEEZZNS1_9scan_implILNS1_25lookback_scan_determinismE0ELb0ELb0ES3_N6thrust23THRUST_200600_302600_NS6detail15normal_iteratorINS9_10device_ptrIjEEEENS9_16discard_iteratorINS9_11use_defaultEEEj11max_functorIjEjEEDaPvRmT3_T4_T5_mT6_P12ihipStream_tbENKUlT_T0_E_clISt17integral_constantIbLb1EESW_IbLb0EEEEDaSS_ST_EUlSS_E_NS1_11comp_targetILNS1_3genE4ELNS1_11target_archE910ELNS1_3gpuE8ELNS1_3repE0EEENS1_30default_config_static_selectorELNS0_4arch9wavefront6targetE1EEEvT1_
	.globl	_ZN7rocprim17ROCPRIM_400000_NS6detail17trampoline_kernelINS0_14default_configENS1_20scan_config_selectorIjEEZZNS1_9scan_implILNS1_25lookback_scan_determinismE0ELb0ELb0ES3_N6thrust23THRUST_200600_302600_NS6detail15normal_iteratorINS9_10device_ptrIjEEEENS9_16discard_iteratorINS9_11use_defaultEEEj11max_functorIjEjEEDaPvRmT3_T4_T5_mT6_P12ihipStream_tbENKUlT_T0_E_clISt17integral_constantIbLb1EESW_IbLb0EEEEDaSS_ST_EUlSS_E_NS1_11comp_targetILNS1_3genE4ELNS1_11target_archE910ELNS1_3gpuE8ELNS1_3repE0EEENS1_30default_config_static_selectorELNS0_4arch9wavefront6targetE1EEEvT1_
	.p2align	8
	.type	_ZN7rocprim17ROCPRIM_400000_NS6detail17trampoline_kernelINS0_14default_configENS1_20scan_config_selectorIjEEZZNS1_9scan_implILNS1_25lookback_scan_determinismE0ELb0ELb0ES3_N6thrust23THRUST_200600_302600_NS6detail15normal_iteratorINS9_10device_ptrIjEEEENS9_16discard_iteratorINS9_11use_defaultEEEj11max_functorIjEjEEDaPvRmT3_T4_T5_mT6_P12ihipStream_tbENKUlT_T0_E_clISt17integral_constantIbLb1EESW_IbLb0EEEEDaSS_ST_EUlSS_E_NS1_11comp_targetILNS1_3genE4ELNS1_11target_archE910ELNS1_3gpuE8ELNS1_3repE0EEENS1_30default_config_static_selectorELNS0_4arch9wavefront6targetE1EEEvT1_,@function
_ZN7rocprim17ROCPRIM_400000_NS6detail17trampoline_kernelINS0_14default_configENS1_20scan_config_selectorIjEEZZNS1_9scan_implILNS1_25lookback_scan_determinismE0ELb0ELb0ES3_N6thrust23THRUST_200600_302600_NS6detail15normal_iteratorINS9_10device_ptrIjEEEENS9_16discard_iteratorINS9_11use_defaultEEEj11max_functorIjEjEEDaPvRmT3_T4_T5_mT6_P12ihipStream_tbENKUlT_T0_E_clISt17integral_constantIbLb1EESW_IbLb0EEEEDaSS_ST_EUlSS_E_NS1_11comp_targetILNS1_3genE4ELNS1_11target_archE910ELNS1_3gpuE8ELNS1_3repE0EEENS1_30default_config_static_selectorELNS0_4arch9wavefront6targetE1EEEvT1_: ; @_ZN7rocprim17ROCPRIM_400000_NS6detail17trampoline_kernelINS0_14default_configENS1_20scan_config_selectorIjEEZZNS1_9scan_implILNS1_25lookback_scan_determinismE0ELb0ELb0ES3_N6thrust23THRUST_200600_302600_NS6detail15normal_iteratorINS9_10device_ptrIjEEEENS9_16discard_iteratorINS9_11use_defaultEEEj11max_functorIjEjEEDaPvRmT3_T4_T5_mT6_P12ihipStream_tbENKUlT_T0_E_clISt17integral_constantIbLb1EESW_IbLb0EEEEDaSS_ST_EUlSS_E_NS1_11comp_targetILNS1_3genE4ELNS1_11target_archE910ELNS1_3gpuE8ELNS1_3repE0EEENS1_30default_config_static_selectorELNS0_4arch9wavefront6targetE1EEEvT1_
; %bb.0:
	s_load_dwordx4 s[0:3], s[4:5], 0x0
	s_load_dwordx2 s[8:9], s[4:5], 0x20
	s_load_dword s7, s[4:5], 0x38
	v_lshlrev_b32_e32 v11, 2, v0
	s_waitcnt lgkmcnt(0)
	s_lshl_b64 s[2:3], s[2:3], 2
	s_add_u32 s2, s0, s2
	s_addc_u32 s3, s1, s3
	s_add_i32 s7, s7, -1
	s_mul_i32 s10, s7, 0x500
	s_sub_u32 s18, s8, s10
	s_subb_u32 s19, s9, 0
	s_mul_i32 s0, s6, 0x500
	s_mov_b32 s1, 0
	s_cmp_lg_u32 s6, s7
	s_cselect_b64 s[12:13], -1, 0
	s_lshl_b64 s[0:1], s[0:1], 2
	s_add_u32 s0, s2, s0
	s_addc_u32 s1, s3, s1
	s_mov_b64 s[2:3], -1
	s_and_b64 vcc, exec, s[12:13]
	s_cbranch_vccz .LBB3460_2
; %bb.1:
	v_mov_b32_e32 v1, s1
	v_add_co_u32_e32 v2, vcc, s0, v11
	v_addc_co_u32_e32 v3, vcc, 0, v1, vcc
	flat_load_dword v1, v[2:3]
	flat_load_dword v4, v[2:3] offset:512
	flat_load_dword v5, v[2:3] offset:1024
	;; [unrolled: 1-line block ×7, first 2 shown]
	v_add_co_u32_e32 v2, vcc, 0x1000, v2
	v_addc_co_u32_e32 v3, vcc, 0, v3, vcc
	flat_load_dword v12, v[2:3]
	flat_load_dword v13, v[2:3] offset:512
	s_mov_b64 s[2:3], 0
	s_waitcnt vmcnt(0) lgkmcnt(0)
	ds_write2st64_b32 v11, v1, v4 offset1:2
	ds_write2st64_b32 v11, v5, v6 offset0:4 offset1:6
	ds_write2st64_b32 v11, v7, v8 offset0:8 offset1:10
	;; [unrolled: 1-line block ×4, first 2 shown]
	s_waitcnt lgkmcnt(0)
	s_barrier
.LBB3460_2:
	s_load_dwordx2 s[14:15], s[4:5], 0x30
	s_andn2_b64 vcc, exec, s[2:3]
	s_cbranch_vccnz .LBB3460_24
; %bb.3:
	v_pk_mov_b32 v[2:3], s[0:1], s[0:1] op_sel:[0,1]
	flat_load_dword v1, v[2:3]
	v_cmp_gt_u32_e32 vcc, s18, v0
	s_waitcnt vmcnt(0) lgkmcnt(0)
	v_mov_b32_e32 v2, v1
	v_mov_b32_e32 v3, v1
	;; [unrolled: 1-line block ×9, first 2 shown]
	s_and_saveexec_b64 s[2:3], vcc
	s_cbranch_execz .LBB3460_5
; %bb.4:
	v_mov_b32_e32 v10, s1
	v_add_co_u32_e32 v12, vcc, s0, v11
	v_addc_co_u32_e32 v13, vcc, 0, v10, vcc
	flat_load_dword v10, v[12:13]
.LBB3460_5:
	s_or_b64 exec, exec, s[2:3]
	v_or_b32_e32 v12, 0x80, v0
	v_cmp_gt_u32_e32 vcc, s18, v12
	s_and_saveexec_b64 s[2:3], vcc
	s_cbranch_execz .LBB3460_7
; %bb.6:
	v_mov_b32_e32 v1, s1
	v_add_co_u32_e32 v12, vcc, s0, v11
	v_addc_co_u32_e32 v13, vcc, 0, v1, vcc
	flat_load_dword v1, v[12:13] offset:512
.LBB3460_7:
	s_or_b64 exec, exec, s[2:3]
	v_or_b32_e32 v12, 0x100, v0
	v_cmp_gt_u32_e32 vcc, s18, v12
	s_and_saveexec_b64 s[2:3], vcc
	s_cbranch_execz .LBB3460_9
; %bb.8:
	v_mov_b32_e32 v2, s1
	v_add_co_u32_e32 v12, vcc, s0, v11
	v_addc_co_u32_e32 v13, vcc, 0, v2, vcc
	flat_load_dword v2, v[12:13] offset:1024
.LBB3460_9:
	;; [unrolled: 11-line block ×7, first 2 shown]
	s_or_b64 exec, exec, s[2:3]
	v_or_b32_e32 v12, 0x400, v0
	v_cmp_gt_u32_e32 vcc, s18, v12
	s_and_saveexec_b64 s[2:3], vcc
	s_cbranch_execz .LBB3460_21
; %bb.20:
	v_lshlrev_b32_e32 v8, 2, v12
	v_mov_b32_e32 v13, s1
	v_add_co_u32_e32 v12, vcc, s0, v8
	v_addc_co_u32_e32 v13, vcc, 0, v13, vcc
	flat_load_dword v8, v[12:13]
.LBB3460_21:
	s_or_b64 exec, exec, s[2:3]
	v_or_b32_e32 v12, 0x480, v0
	v_cmp_gt_u32_e32 vcc, s18, v12
	s_and_saveexec_b64 s[2:3], vcc
	s_cbranch_execz .LBB3460_23
; %bb.22:
	v_lshlrev_b32_e32 v9, 2, v12
	v_mov_b32_e32 v13, s1
	v_add_co_u32_e32 v12, vcc, s0, v9
	v_addc_co_u32_e32 v13, vcc, 0, v13, vcc
	flat_load_dword v9, v[12:13]
.LBB3460_23:
	s_or_b64 exec, exec, s[2:3]
	s_waitcnt vmcnt(0) lgkmcnt(0)
	ds_write2st64_b32 v11, v10, v1 offset1:2
	ds_write2st64_b32 v11, v2, v3 offset0:4 offset1:6
	ds_write2st64_b32 v11, v4, v5 offset0:8 offset1:10
	;; [unrolled: 1-line block ×4, first 2 shown]
	s_waitcnt lgkmcnt(0)
	s_barrier
.LBB3460_24:
	v_mul_u32_u24_e32 v22, 10, v0
	v_lshlrev_b32_e32 v23, 2, v22
	s_waitcnt lgkmcnt(0)
	ds_read2_b64 v[2:5], v23 offset1:1
	ds_read2_b64 v[16:19], v23 offset0:2 offset1:3
	ds_read_b64 v[20:21], v23 offset:32
	s_cmp_lg_u32 s6, 0
	v_lshrrev_b32_e32 v1, 5, v0
	v_cmp_gt_u32_e32 vcc, 64, v0
	s_waitcnt lgkmcnt(0)
	s_barrier
	s_cbranch_scc0 .LBB3460_53
; %bb.25:
	v_max_u32_e32 v6, v2, v3
	v_max3_u32 v6, v6, v4, v5
	v_max3_u32 v6, v6, v16, v17
	;; [unrolled: 1-line block ×4, first 2 shown]
	v_add_lshl_u32 v6, v1, v0, 2
	ds_write_b32 v6, v24
	s_waitcnt lgkmcnt(0)
	s_barrier
	s_and_saveexec_b64 s[2:3], vcc
	s_cbranch_execz .LBB3460_27
; %bb.26:
	v_lshlrev_b32_e32 v6, 1, v0
	v_lshrrev_b32_e32 v7, 4, v0
	v_add_lshl_u32 v8, v7, v6, 2
	ds_read2_b32 v[6:7], v8 offset1:1
	v_mbcnt_lo_u32_b32 v9, -1, 0
	v_mbcnt_hi_u32_b32 v9, -1, v9
	v_and_b32_e32 v10, 15, v9
	v_cmp_eq_u32_e64 s[0:1], 0, v10
	s_waitcnt lgkmcnt(0)
	v_max_u32_e32 v7, v6, v7
	; wave barrier
	s_nop 1
	v_mov_b32_dpp v11, v7 row_shr:1 row_mask:0xf bank_mask:0xf
	v_max_u32_e32 v11, v11, v7
	v_cndmask_b32_e64 v7, v11, v7, s[0:1]
	v_cmp_lt_u32_e64 s[0:1], 1, v10
	s_nop 0
	v_mov_b32_dpp v11, v7 row_shr:2 row_mask:0xf bank_mask:0xf
	v_max_u32_e32 v11, v11, v7
	v_cndmask_b32_e64 v7, v7, v11, s[0:1]
	v_cmp_lt_u32_e64 s[0:1], 3, v10
	;; [unrolled: 5-line block ×3, first 2 shown]
	s_nop 0
	v_mov_b32_dpp v11, v7 row_shr:8 row_mask:0xf bank_mask:0xf
	v_max_u32_e32 v11, v11, v7
	v_cndmask_b32_e64 v7, v7, v11, s[0:1]
	v_and_b32_e32 v11, 16, v9
	v_cmp_eq_u32_e64 s[0:1], 0, v11
	v_mov_b32_dpp v10, v7 row_bcast:15 row_mask:0xf bank_mask:0xf
	v_max_u32_e32 v10, v10, v7
	v_cndmask_b32_e64 v7, v10, v7, s[0:1]
	v_cmp_lt_u32_e64 s[0:1], 31, v9
	v_and_b32_e32 v11, 64, v9
	v_mov_b32_dpp v10, v7 row_bcast:31 row_mask:0xf bank_mask:0xf
	v_max_u32_e32 v10, v10, v7
	v_cndmask_b32_e64 v7, v7, v10, s[0:1]
	v_add_u32_e32 v10, -1, v9
	v_cmp_lt_i32_e64 s[0:1], v10, v11
	v_cndmask_b32_e64 v9, v10, v9, s[0:1]
	v_lshlrev_b32_e32 v9, 2, v9
	ds_bpermute_b32 v7, v9, v7
	v_cmp_eq_u32_e64 s[0:1], 0, v0
	s_waitcnt lgkmcnt(0)
	v_max_u32_e32 v6, v7, v6
	v_cndmask_b32_e64 v6, v6, v24, s[0:1]
	ds_write_b32 v8, v6
	; wave barrier
	ds_read_b32 v7, v8 offset:4
	s_waitcnt lgkmcnt(0)
	v_max_u32_e32 v6, v6, v7
	ds_write_b32 v8, v6 offset:4
.LBB3460_27:
	s_or_b64 exec, exec, s[2:3]
	v_cmp_eq_u32_e64 s[0:1], 0, v0
	v_cmp_ne_u32_e64 s[2:3], 0, v0
	s_waitcnt lgkmcnt(0)
	s_barrier
	s_and_saveexec_b64 s[8:9], s[2:3]
	s_cbranch_execz .LBB3460_29
; %bb.28:
	v_add_u32_e32 v6, -1, v0
	v_lshrrev_b32_e32 v7, 5, v6
	v_add_lshl_u32 v6, v7, v6, 2
	ds_read_b32 v24, v6
.LBB3460_29:
	s_or_b64 exec, exec, s[8:9]
	s_and_saveexec_b64 s[8:9], vcc
	s_cbranch_execz .LBB3460_52
; %bb.30:
	v_mov_b32_e32 v15, 0
	ds_read_b32 v6, v15 offset:520
	v_mbcnt_lo_u32_b32 v7, -1, 0
	v_mbcnt_hi_u32_b32 v9, -1, v7
	s_mov_b32 s17, 0
	v_cmp_eq_u32_e64 s[2:3], 0, v9
	s_and_saveexec_b64 s[10:11], s[2:3]
	s_cbranch_execz .LBB3460_32
; %bb.31:
	s_add_i32 s16, s6, 64
	s_lshl_b64 s[16:17], s[16:17], 3
	s_add_u32 s16, s14, s16
	v_mov_b32_e32 v7, 1
	s_addc_u32 s17, s15, s17
	s_waitcnt lgkmcnt(0)
	global_store_dwordx2 v15, v[6:7], s[16:17]
.LBB3460_32:
	s_or_b64 exec, exec, s[10:11]
	v_xad_u32 v8, v9, -1, s6
	v_add_u32_e32 v14, 64, v8
	v_lshlrev_b64 v[10:11], 3, v[14:15]
	v_mov_b32_e32 v7, s15
	v_add_co_u32_e32 v10, vcc, s14, v10
	v_addc_co_u32_e32 v11, vcc, v7, v11, vcc
	global_load_dwordx2 v[12:13], v[10:11], off glc
	s_waitcnt vmcnt(0)
	v_cmp_eq_u16_sdwa s[16:17], v13, v15 src0_sel:BYTE_0 src1_sel:DWORD
	s_and_saveexec_b64 s[10:11], s[16:17]
	s_cbranch_execz .LBB3460_38
; %bb.33:
	s_mov_b32 s7, 1
	s_mov_b64 s[16:17], 0
	v_mov_b32_e32 v7, 0
.LBB3460_34:                            ; =>This Loop Header: Depth=1
                                        ;     Child Loop BB3460_35 Depth 2
	s_max_u32 s20, s7, 1
.LBB3460_35:                            ;   Parent Loop BB3460_34 Depth=1
                                        ; =>  This Inner Loop Header: Depth=2
	s_add_i32 s20, s20, -1
	s_cmp_eq_u32 s20, 0
	s_sleep 1
	s_cbranch_scc0 .LBB3460_35
; %bb.36:                               ;   in Loop: Header=BB3460_34 Depth=1
	global_load_dwordx2 v[12:13], v[10:11], off glc
	s_cmp_lt_u32 s7, 32
	s_cselect_b64 s[20:21], -1, 0
	s_cmp_lg_u64 s[20:21], 0
	s_addc_u32 s7, s7, 0
	s_waitcnt vmcnt(0)
	v_cmp_ne_u16_sdwa s[20:21], v13, v7 src0_sel:BYTE_0 src1_sel:DWORD
	s_or_b64 s[16:17], s[20:21], s[16:17]
	s_andn2_b64 exec, exec, s[16:17]
	s_cbranch_execnz .LBB3460_34
; %bb.37:
	s_or_b64 exec, exec, s[16:17]
.LBB3460_38:
	s_or_b64 exec, exec, s[10:11]
	v_and_b32_e32 v25, 63, v9
	v_cmp_ne_u32_e32 vcc, 63, v25
	v_mov_b32_e32 v7, 2
	v_addc_co_u32_e32 v26, vcc, 0, v9, vcc
	v_cmp_eq_u16_sdwa s[10:11], v13, v7 src0_sel:BYTE_0 src1_sel:DWORD
	v_lshlrev_b64 v[10:11], v9, -1
	v_lshlrev_b32_e32 v26, 2, v26
	v_and_b32_e32 v14, s11, v11
	ds_bpermute_b32 v27, v26, v12
	v_or_b32_e32 v14, 0x80000000, v14
	v_and_b32_e32 v15, s10, v10
	v_ffbl_b32_e32 v14, v14
	v_add_u32_e32 v14, 32, v14
	v_ffbl_b32_e32 v15, v15
	v_min_u32_e32 v14, v15, v14
	s_waitcnt lgkmcnt(0)
	v_max_u32_e32 v15, v27, v12
	v_cmp_lt_u32_e32 vcc, v25, v14
	v_cndmask_b32_e32 v12, v12, v15, vcc
	v_cmp_gt_u32_e32 vcc, 62, v25
	v_cndmask_b32_e64 v15, 0, 1, vcc
	v_lshlrev_b32_e32 v15, 1, v15
	v_add_lshl_u32 v27, v15, v9, 2
	ds_bpermute_b32 v15, v27, v12
	v_add_u32_e32 v28, 2, v25
	v_cmp_gt_u32_e32 vcc, v28, v14
	v_add_u32_e32 v30, 4, v25
	v_add_u32_e32 v32, 8, v25
	s_waitcnt lgkmcnt(0)
	v_max_u32_e32 v15, v15, v12
	v_cndmask_b32_e32 v12, v15, v12, vcc
	v_cmp_gt_u32_e32 vcc, 60, v25
	v_cndmask_b32_e64 v15, 0, 1, vcc
	v_lshlrev_b32_e32 v15, 2, v15
	v_add_lshl_u32 v29, v15, v9, 2
	ds_bpermute_b32 v15, v29, v12
	v_cmp_gt_u32_e32 vcc, v30, v14
	v_add_u32_e32 v35, 16, v25
	v_add_u32_e32 v37, 32, v25
	s_waitcnt lgkmcnt(0)
	v_max_u32_e32 v15, v15, v12
	v_cndmask_b32_e32 v12, v15, v12, vcc
	v_cmp_gt_u32_e32 vcc, 56, v25
	v_cndmask_b32_e64 v15, 0, 1, vcc
	v_lshlrev_b32_e32 v15, 3, v15
	v_add_lshl_u32 v31, v15, v9, 2
	ds_bpermute_b32 v15, v31, v12
	v_cmp_gt_u32_e32 vcc, v32, v14
	s_waitcnt lgkmcnt(0)
	v_max_u32_e32 v15, v15, v12
	v_cndmask_b32_e32 v12, v15, v12, vcc
	v_cmp_gt_u32_e32 vcc, 48, v25
	v_cndmask_b32_e64 v15, 0, 1, vcc
	v_lshlrev_b32_e32 v15, 4, v15
	v_add_lshl_u32 v33, v15, v9, 2
	ds_bpermute_b32 v15, v33, v12
	v_cmp_gt_u32_e32 vcc, v35, v14
	;; [unrolled: 9-line block ×3, first 2 shown]
	s_waitcnt lgkmcnt(0)
	v_max_u32_e32 v9, v9, v12
	v_cndmask_b32_e32 v12, v9, v12, vcc
	v_mov_b32_e32 v9, 0
	s_branch .LBB3460_40
.LBB3460_39:                            ;   in Loop: Header=BB3460_40 Depth=1
	s_or_b64 exec, exec, s[10:11]
	v_cmp_eq_u16_sdwa s[10:11], v13, v7 src0_sel:BYTE_0 src1_sel:DWORD
	v_and_b32_e32 v14, s11, v11
	ds_bpermute_b32 v38, v26, v12
	v_or_b32_e32 v14, 0x80000000, v14
	v_and_b32_e32 v15, s10, v10
	v_ffbl_b32_e32 v14, v14
	v_add_u32_e32 v14, 32, v14
	v_ffbl_b32_e32 v15, v15
	v_min_u32_e32 v14, v15, v14
	s_waitcnt lgkmcnt(0)
	v_max_u32_e32 v15, v38, v12
	v_cmp_lt_u32_e32 vcc, v25, v14
	v_cndmask_b32_e32 v12, v12, v15, vcc
	ds_bpermute_b32 v15, v27, v12
	v_cmp_gt_u32_e32 vcc, v28, v14
	v_subrev_u32_e32 v8, 64, v8
	s_waitcnt lgkmcnt(0)
	v_max_u32_e32 v15, v15, v12
	v_cndmask_b32_e32 v12, v15, v12, vcc
	ds_bpermute_b32 v15, v29, v12
	v_cmp_gt_u32_e32 vcc, v30, v14
	s_waitcnt lgkmcnt(0)
	v_max_u32_e32 v15, v15, v12
	v_cndmask_b32_e32 v12, v15, v12, vcc
	ds_bpermute_b32 v15, v31, v12
	v_cmp_gt_u32_e32 vcc, v32, v14
	;; [unrolled: 5-line block ×4, first 2 shown]
	s_waitcnt lgkmcnt(0)
	v_max_u32_e32 v15, v15, v12
	v_cndmask_b32_e32 v12, v15, v12, vcc
	v_max_u32_e32 v12, v12, v34
.LBB3460_40:                            ; =>This Loop Header: Depth=1
                                        ;     Child Loop BB3460_43 Depth 2
                                        ;       Child Loop BB3460_44 Depth 3
	v_cmp_ne_u16_sdwa s[10:11], v13, v7 src0_sel:BYTE_0 src1_sel:DWORD
	v_cndmask_b32_e64 v13, 0, 1, s[10:11]
	;;#ASMSTART
	;;#ASMEND
	v_cmp_ne_u32_e32 vcc, 0, v13
	s_cmp_lg_u64 vcc, exec
	v_mov_b32_e32 v34, v12
	s_cbranch_scc1 .LBB3460_47
; %bb.41:                               ;   in Loop: Header=BB3460_40 Depth=1
	v_lshlrev_b64 v[12:13], 3, v[8:9]
	v_mov_b32_e32 v15, s15
	v_add_co_u32_e32 v14, vcc, s14, v12
	v_addc_co_u32_e32 v15, vcc, v15, v13, vcc
	global_load_dwordx2 v[12:13], v[14:15], off glc
	s_waitcnt vmcnt(0)
	v_cmp_eq_u16_sdwa s[16:17], v13, v9 src0_sel:BYTE_0 src1_sel:DWORD
	s_and_saveexec_b64 s[10:11], s[16:17]
	s_cbranch_execz .LBB3460_39
; %bb.42:                               ;   in Loop: Header=BB3460_40 Depth=1
	s_mov_b32 s7, 1
	s_mov_b64 s[16:17], 0
.LBB3460_43:                            ;   Parent Loop BB3460_40 Depth=1
                                        ; =>  This Loop Header: Depth=2
                                        ;       Child Loop BB3460_44 Depth 3
	s_max_u32 s20, s7, 1
.LBB3460_44:                            ;   Parent Loop BB3460_40 Depth=1
                                        ;     Parent Loop BB3460_43 Depth=2
                                        ; =>    This Inner Loop Header: Depth=3
	s_add_i32 s20, s20, -1
	s_cmp_eq_u32 s20, 0
	s_sleep 1
	s_cbranch_scc0 .LBB3460_44
; %bb.45:                               ;   in Loop: Header=BB3460_43 Depth=2
	global_load_dwordx2 v[12:13], v[14:15], off glc
	s_cmp_lt_u32 s7, 32
	s_cselect_b64 s[20:21], -1, 0
	s_cmp_lg_u64 s[20:21], 0
	s_addc_u32 s7, s7, 0
	s_waitcnt vmcnt(0)
	v_cmp_ne_u16_sdwa s[20:21], v13, v9 src0_sel:BYTE_0 src1_sel:DWORD
	s_or_b64 s[16:17], s[20:21], s[16:17]
	s_andn2_b64 exec, exec, s[16:17]
	s_cbranch_execnz .LBB3460_43
; %bb.46:                               ;   in Loop: Header=BB3460_40 Depth=1
	s_or_b64 exec, exec, s[16:17]
	s_branch .LBB3460_39
.LBB3460_47:                            ;   in Loop: Header=BB3460_40 Depth=1
                                        ; implicit-def: $vgpr12
                                        ; implicit-def: $vgpr13
	s_cbranch_execz .LBB3460_40
; %bb.48:
	s_and_saveexec_b64 s[10:11], s[2:3]
	s_cbranch_execz .LBB3460_50
; %bb.49:
	s_add_i32 s2, s6, 64
	s_mov_b32 s3, 0
	s_lshl_b64 s[2:3], s[2:3], 3
	s_add_u32 s2, s14, s2
	v_max_u32_e32 v6, v34, v6
	v_mov_b32_e32 v7, 2
	s_addc_u32 s3, s15, s3
	v_mov_b32_e32 v8, 0
	global_store_dwordx2 v8, v[6:7], s[2:3]
.LBB3460_50:
	s_or_b64 exec, exec, s[10:11]
	s_and_b64 exec, exec, s[0:1]
	s_cbranch_execz .LBB3460_52
; %bb.51:
	v_mov_b32_e32 v6, 0
	ds_write_b32 v6, v34
.LBB3460_52:
	s_or_b64 exec, exec, s[8:9]
	v_mov_b32_e32 v6, 0
	s_waitcnt lgkmcnt(0)
	s_barrier
	ds_read_b32 v6, v6
	v_max_u32_e32 v7, v24, v2
	v_cndmask_b32_e64 v7, v7, v2, s[0:1]
	s_waitcnt lgkmcnt(0)
	v_max_u32_e32 v6, v6, v7
	v_max_u32_e32 v7, v6, v3
	;; [unrolled: 1-line block ×10, first 2 shown]
	s_load_dwordx8 s[4:11], s[4:5], 0x40
	s_branch .LBB3460_65
.LBB3460_53:
                                        ; implicit-def: $vgpr6_vgpr7_vgpr8_vgpr9_vgpr10_vgpr11_vgpr12_vgpr13_vgpr14_vgpr15
	s_load_dwordx8 s[4:11], s[4:5], 0x40
	s_cbranch_execz .LBB3460_65
; %bb.54:
	s_waitcnt lgkmcnt(0)
	s_cmp_lg_u64 s[8:9], 0
	s_cselect_b64 s[2:3], -1, 0
	v_cmp_eq_u32_e64 s[0:1], 0, v0
	v_cmp_ne_u32_e32 vcc, 0, v0
	s_and_b64 s[8:9], s[0:1], s[2:3]
	v_mov_b32_e32 v12, v3
	v_mov_b32_e32 v13, v4
	;; [unrolled: 1-line block ×3, first 2 shown]
	s_and_saveexec_b64 s[2:3], s[8:9]
	s_cbranch_execz .LBB3460_56
; %bb.55:
	v_mov_b32_e32 v6, 0
	global_load_dword v6, v6, s[4:5]
	v_mov_b32_e32 v12, v3
	v_mov_b32_e32 v13, v4
	;; [unrolled: 1-line block ×3, first 2 shown]
	s_waitcnt vmcnt(0)
	v_max_u32_e32 v2, v6, v2
.LBB3460_56:
	s_or_b64 exec, exec, s[2:3]
	v_max_u32_e32 v3, v2, v12
	v_max_u32_e32 v4, v3, v13
	;; [unrolled: 1-line block ×9, first 2 shown]
	v_add_lshl_u32 v1, v1, v0, 2
	v_cmp_gt_u32_e64 s[2:3], 64, v0
	ds_write_b32 v1, v11
	s_waitcnt lgkmcnt(0)
	s_barrier
	s_and_saveexec_b64 s[4:5], s[2:3]
	s_cbranch_execz .LBB3460_58
; %bb.57:
	v_lshlrev_b32_e32 v1, 1, v0
	v_lshrrev_b32_e32 v15, 4, v0
	v_add_lshl_u32 v1, v15, v1, 2
	ds_read2_b32 v[24:25], v1 offset1:1
	v_mbcnt_lo_u32_b32 v15, -1, 0
	v_mbcnt_hi_u32_b32 v15, -1, v15
	v_and_b32_e32 v26, 15, v15
	v_cmp_eq_u32_e64 s[2:3], 0, v26
	s_waitcnt lgkmcnt(0)
	v_max_u32_e32 v25, v24, v25
	; wave barrier
	s_nop 1
	v_mov_b32_dpp v27, v25 row_shr:1 row_mask:0xf bank_mask:0xf
	v_max_u32_e32 v27, v27, v25
	v_cndmask_b32_e64 v25, v27, v25, s[2:3]
	v_cmp_lt_u32_e64 s[2:3], 1, v26
	s_nop 0
	v_mov_b32_dpp v27, v25 row_shr:2 row_mask:0xf bank_mask:0xf
	v_max_u32_e32 v27, v27, v25
	v_cndmask_b32_e64 v25, v25, v27, s[2:3]
	v_cmp_lt_u32_e64 s[2:3], 3, v26
	;; [unrolled: 5-line block ×3, first 2 shown]
	s_nop 0
	v_mov_b32_dpp v27, v25 row_shr:8 row_mask:0xf bank_mask:0xf
	v_max_u32_e32 v27, v27, v25
	v_cndmask_b32_e64 v25, v25, v27, s[2:3]
	v_and_b32_e32 v27, 16, v15
	v_cmp_eq_u32_e64 s[2:3], 0, v27
	v_mov_b32_dpp v26, v25 row_bcast:15 row_mask:0xf bank_mask:0xf
	v_max_u32_e32 v26, v26, v25
	v_cndmask_b32_e64 v25, v26, v25, s[2:3]
	v_cmp_lt_u32_e64 s[2:3], 31, v15
	v_and_b32_e32 v27, 64, v15
	v_mov_b32_dpp v26, v25 row_bcast:31 row_mask:0xf bank_mask:0xf
	v_max_u32_e32 v26, v26, v25
	v_cndmask_b32_e64 v25, v25, v26, s[2:3]
	v_add_u32_e32 v26, -1, v15
	v_cmp_lt_i32_e64 s[2:3], v26, v27
	v_cndmask_b32_e64 v15, v26, v15, s[2:3]
	v_lshlrev_b32_e32 v15, 2, v15
	ds_bpermute_b32 v15, v15, v25
	s_waitcnt lgkmcnt(0)
	v_max_u32_e32 v15, v15, v24
	v_cndmask_b32_e64 v15, v15, v11, s[0:1]
	ds_write_b32 v1, v15
	; wave barrier
	ds_read_b32 v24, v1 offset:4
	s_waitcnt lgkmcnt(0)
	v_max_u32_e32 v15, v15, v24
	ds_write_b32 v1, v15 offset:4
.LBB3460_58:
	s_or_b64 exec, exec, s[4:5]
	v_mov_b32_e32 v1, v11
	s_waitcnt lgkmcnt(0)
	s_barrier
	s_and_saveexec_b64 s[0:1], vcc
	s_cbranch_execz .LBB3460_60
; %bb.59:
	v_add_u32_e32 v1, -1, v0
	v_lshrrev_b32_e32 v15, 5, v1
	v_add_lshl_u32 v1, v15, v1, 2
	ds_read_b32 v1, v1
.LBB3460_60:
	s_or_b64 exec, exec, s[0:1]
	s_and_saveexec_b64 s[0:1], vcc
	s_cbranch_execz .LBB3460_62
; %bb.61:
	s_waitcnt lgkmcnt(0)
	v_max_u32_e32 v2, v1, v2
	v_max_u32_e32 v3, v2, v12
	;; [unrolled: 1-line block ×10, first 2 shown]
	;;#ASMSTART
	;;#ASMEND
.LBB3460_62:
	s_or_b64 exec, exec, s[0:1]
	s_movk_i32 s0, 0x7f
	v_cmp_eq_u32_e32 vcc, s0, v0
	s_and_saveexec_b64 s[0:1], vcc
	s_cbranch_execz .LBB3460_64
; %bb.63:
	s_waitcnt lgkmcnt(0)
	v_mov_b32_e32 v1, 0
	v_mov_b32_e32 v13, 2
	;; [unrolled: 1-line block ×3, first 2 shown]
	global_store_dwordx2 v1, v[12:13], s[14:15] offset:512
.LBB3460_64:
	s_or_b64 exec, exec, s[0:1]
	v_pk_mov_b32 v[14:15], v[10:11], v[10:11] op_sel:[0,1]
	v_pk_mov_b32 v[12:13], v[8:9], v[8:9] op_sel:[0,1]
	v_pk_mov_b32 v[10:11], v[6:7], v[6:7] op_sel:[0,1]
	v_pk_mov_b32 v[8:9], v[4:5], v[4:5] op_sel:[0,1]
	v_pk_mov_b32 v[6:7], v[2:3], v[2:3] op_sel:[0,1]
.LBB3460_65:
	s_mov_b64 s[0:1], -1
	s_and_b64 vcc, exec, s[12:13]
	s_waitcnt lgkmcnt(0)
	s_barrier
	ds_write2_b64 v23, v[6:7], v[8:9] offset1:1
	ds_write2_b64 v23, v[10:11], v[12:13] offset0:2 offset1:3
	ds_write_b64 v23, v[14:15] offset:32
	s_waitcnt lgkmcnt(0)
	s_cbranch_vccz .LBB3460_67
; %bb.66:
	s_barrier
	s_mov_b64 s[0:1], 0
.LBB3460_67:
	s_andn2_b64 vcc, exec, s[0:1]
	s_cbranch_vccnz .LBB3460_103
; %bb.68:
	v_cmp_lt_u64_e64 s[0:1], s[10:11], 2
	s_and_b64 vcc, exec, s[0:1]
	s_barrier
	s_cbranch_vccnz .LBB3460_103
; %bb.69:
	s_add_u32 s0, s18, -1
	s_addc_u32 s1, s19, -1
	s_add_u32 s2, 0, 0x99986000
	s_addc_u32 s3, 0, 0x59
	s_add_i32 s3, s3, 0x19999940
	s_mul_hi_u32 s9, s2, -10
	s_sub_i32 s9, s9, s2
	s_mul_i32 s10, s3, -10
	s_mul_i32 s4, s2, -10
	s_add_i32 s9, s9, s10
	s_mul_hi_u32 s5, s3, s4
	s_mul_i32 s8, s3, s4
	s_mul_i32 s11, s2, s9
	s_mul_hi_u32 s4, s2, s4
	s_mul_hi_u32 s10, s2, s9
	s_add_u32 s4, s4, s11
	s_addc_u32 s10, 0, s10
	s_add_u32 s4, s4, s8
	s_mul_hi_u32 s11, s3, s9
	s_addc_u32 s4, s10, s5
	s_addc_u32 s5, s11, 0
	s_mul_i32 s8, s3, s9
	s_add_u32 s4, s4, s8
	v_mov_b32_e32 v2, s4
	s_addc_u32 s5, 0, s5
	v_add_co_u32_e32 v2, vcc, s2, v2
	s_cmp_lg_u64 vcc, 0
	s_addc_u32 s2, s3, s5
	v_readfirstlane_b32 s5, v2
	s_mul_i32 s4, s0, s2
	s_mul_hi_u32 s8, s0, s5
	s_mul_hi_u32 s3, s0, s2
	s_add_u32 s4, s8, s4
	s_addc_u32 s3, 0, s3
	s_mul_hi_u32 s9, s1, s5
	s_mul_i32 s5, s1, s5
	s_add_u32 s4, s4, s5
	s_mul_hi_u32 s8, s1, s2
	s_addc_u32 s3, s3, s9
	s_addc_u32 s4, s8, 0
	s_mul_i32 s2, s1, s2
	s_add_u32 s2, s3, s2
	s_addc_u32 s3, 0, s4
	s_add_u32 s4, s2, 1
	s_addc_u32 s5, s3, 0
	s_add_u32 s8, s2, 2
	s_mul_i32 s10, s3, 10
	s_mul_hi_u32 s11, s2, 10
	s_addc_u32 s9, s3, 0
	s_add_i32 s11, s11, s10
	s_mul_i32 s10, s2, 10
	v_mov_b32_e32 v2, s10
	v_sub_co_u32_e32 v2, vcc, s0, v2
	s_cmp_lg_u64 vcc, 0
	s_subb_u32 s10, s1, s11
	v_subrev_co_u32_e32 v3, vcc, 10, v2
	s_cmp_lg_u64 vcc, 0
	s_subb_u32 s11, s10, 0
	v_readfirstlane_b32 s12, v3
	s_cmp_gt_u32 s12, 9
	s_cselect_b32 s12, -1, 0
	s_cmp_eq_u32 s11, 0
	s_cselect_b32 s11, s12, -1
	s_cmp_lg_u32 s11, 0
	s_cselect_b32 s4, s8, s4
	v_readfirstlane_b32 s8, v2
	s_cselect_b32 s5, s9, s5
	s_cmp_gt_u32 s8, 9
	s_cselect_b32 s8, -1, 0
	s_cmp_eq_u32 s10, 0
	s_cselect_b32 s8, s8, -1
	s_cmp_lg_u32 s8, 0
	v_mov_b32_e32 v1, 0
	s_cselect_b32 s3, s5, s3
	s_cselect_b32 s2, s4, s2
	v_cmp_eq_u64_e32 vcc, s[2:3], v[0:1]
	s_and_saveexec_b64 s[2:3], vcc
	s_cbranch_execz .LBB3460_103
; %bb.70:
	s_movk_i32 s2, 0xffdc
	v_mad_i32_i24 v2, v0, s2, v23
	v_mul_hi_u32_u24_e32 v1, 10, v0
	v_mov_b32_e32 v3, s1
	v_sub_co_u32_e32 v0, vcc, s0, v22
	v_subb_co_u32_e32 v1, vcc, v3, v1, vcc
	v_cmp_lt_i64_e32 vcc, 4, v[0:1]
	s_and_saveexec_b64 s[0:1], vcc
	s_xor_b64 s[0:1], exec, s[0:1]
	s_cbranch_execz .LBB3460_88
; %bb.71:
	v_cmp_lt_i64_e32 vcc, 6, v[0:1]
	s_and_saveexec_b64 s[2:3], vcc
	s_xor_b64 s[2:3], exec, s[2:3]
	s_cbranch_execz .LBB3460_81
; %bb.72:
	;; [unrolled: 5-line block ×4, first 2 shown]
	ds_read_b32 v0, v2 offset:4608
	v_mov_b32_e32 v1, 0
                                        ; implicit-def: $vgpr2
	s_waitcnt lgkmcnt(0)
	global_store_dword v1, v0, s[6:7]
.LBB3460_75:
	s_andn2_saveexec_b64 s[8:9], s[8:9]
	s_cbranch_execz .LBB3460_77
; %bb.76:
	ds_read_b32 v0, v2 offset:4096
	v_mov_b32_e32 v1, 0
	s_waitcnt lgkmcnt(0)
	global_store_dword v1, v0, s[6:7]
.LBB3460_77:
	s_or_b64 exec, exec, s[8:9]
                                        ; implicit-def: $vgpr2
.LBB3460_78:
	s_andn2_saveexec_b64 s[4:5], s[4:5]
	s_cbranch_execz .LBB3460_80
; %bb.79:
	ds_read_b32 v0, v2 offset:3584
	v_mov_b32_e32 v1, 0
	s_waitcnt lgkmcnt(0)
	global_store_dword v1, v0, s[6:7]
.LBB3460_80:
	s_or_b64 exec, exec, s[4:5]
                                        ; implicit-def: $vgpr2
                                        ; implicit-def: $vgpr0_vgpr1
.LBB3460_81:
	s_andn2_saveexec_b64 s[2:3], s[2:3]
	s_cbranch_execz .LBB3460_87
; %bb.82:
	v_cmp_lt_i64_e32 vcc, 5, v[0:1]
	s_and_saveexec_b64 s[4:5], vcc
	s_xor_b64 s[4:5], exec, s[4:5]
	s_cbranch_execz .LBB3460_84
; %bb.83:
	ds_read_b32 v0, v2 offset:3072
	v_mov_b32_e32 v1, 0
                                        ; implicit-def: $vgpr2
	s_waitcnt lgkmcnt(0)
	global_store_dword v1, v0, s[6:7]
.LBB3460_84:
	s_andn2_saveexec_b64 s[4:5], s[4:5]
	s_cbranch_execz .LBB3460_86
; %bb.85:
	ds_read_b32 v0, v2 offset:2560
	v_mov_b32_e32 v1, 0
	s_waitcnt lgkmcnt(0)
	global_store_dword v1, v0, s[6:7]
.LBB3460_86:
	s_or_b64 exec, exec, s[4:5]
.LBB3460_87:
	s_or_b64 exec, exec, s[2:3]
                                        ; implicit-def: $vgpr0_vgpr1
                                        ; implicit-def: $vgpr2
.LBB3460_88:
	s_andn2_saveexec_b64 s[0:1], s[0:1]
	s_cbranch_execz .LBB3460_103
; %bb.89:
	v_cmp_lt_i64_e32 vcc, 2, v[0:1]
	s_and_saveexec_b64 s[0:1], vcc
	s_xor_b64 s[0:1], exec, s[0:1]
	s_cbranch_execz .LBB3460_95
; %bb.90:
	v_cmp_lt_i64_e32 vcc, 3, v[0:1]
	s_and_saveexec_b64 s[2:3], vcc
	s_xor_b64 s[2:3], exec, s[2:3]
	s_cbranch_execz .LBB3460_92
; %bb.91:
	ds_read_b32 v0, v2 offset:2048
	v_mov_b32_e32 v1, 0
                                        ; implicit-def: $vgpr2
	s_waitcnt lgkmcnt(0)
	global_store_dword v1, v0, s[6:7]
.LBB3460_92:
	s_andn2_saveexec_b64 s[2:3], s[2:3]
	s_cbranch_execz .LBB3460_94
; %bb.93:
	ds_read_b32 v0, v2 offset:1536
	v_mov_b32_e32 v1, 0
	s_waitcnt lgkmcnt(0)
	global_store_dword v1, v0, s[6:7]
.LBB3460_94:
	s_or_b64 exec, exec, s[2:3]
                                        ; implicit-def: $vgpr0_vgpr1
                                        ; implicit-def: $vgpr2
.LBB3460_95:
	s_andn2_saveexec_b64 s[0:1], s[0:1]
	s_cbranch_execz .LBB3460_103
; %bb.96:
	v_cmp_lt_i64_e32 vcc, 1, v[0:1]
	s_and_saveexec_b64 s[0:1], vcc
	s_xor_b64 s[0:1], exec, s[0:1]
	s_cbranch_execz .LBB3460_98
; %bb.97:
	ds_read_b32 v0, v2 offset:1024
	v_mov_b32_e32 v1, 0
                                        ; implicit-def: $vgpr2
	s_waitcnt lgkmcnt(0)
	global_store_dword v1, v0, s[6:7]
                                        ; implicit-def: $vgpr0_vgpr1
.LBB3460_98:
	s_andn2_saveexec_b64 s[0:1], s[0:1]
	s_cbranch_execz .LBB3460_103
; %bb.99:
	v_cmp_ne_u64_e32 vcc, 1, v[0:1]
	s_and_saveexec_b64 s[0:1], vcc
	s_xor_b64 s[0:1], exec, s[0:1]
	s_cbranch_execz .LBB3460_101
; %bb.100:
	ds_read_b32 v0, v2
	v_mov_b32_e32 v1, 0
                                        ; implicit-def: $vgpr2
	s_waitcnt lgkmcnt(0)
	global_store_dword v1, v0, s[6:7]
.LBB3460_101:
	s_andn2_saveexec_b64 s[0:1], s[0:1]
	s_cbranch_execz .LBB3460_103
; %bb.102:
	ds_read_b32 v0, v2 offset:512
	v_mov_b32_e32 v1, 0
	s_waitcnt lgkmcnt(0)
	global_store_dword v1, v0, s[6:7]
.LBB3460_103:
	s_endpgm
	.section	.rodata,"a",@progbits
	.p2align	6, 0x0
	.amdhsa_kernel _ZN7rocprim17ROCPRIM_400000_NS6detail17trampoline_kernelINS0_14default_configENS1_20scan_config_selectorIjEEZZNS1_9scan_implILNS1_25lookback_scan_determinismE0ELb0ELb0ES3_N6thrust23THRUST_200600_302600_NS6detail15normal_iteratorINS9_10device_ptrIjEEEENS9_16discard_iteratorINS9_11use_defaultEEEj11max_functorIjEjEEDaPvRmT3_T4_T5_mT6_P12ihipStream_tbENKUlT_T0_E_clISt17integral_constantIbLb1EESW_IbLb0EEEEDaSS_ST_EUlSS_E_NS1_11comp_targetILNS1_3genE4ELNS1_11target_archE910ELNS1_3gpuE8ELNS1_3repE0EEENS1_30default_config_static_selectorELNS0_4arch9wavefront6targetE1EEEvT1_
		.amdhsa_group_segment_fixed_size 5120
		.amdhsa_private_segment_fixed_size 0
		.amdhsa_kernarg_size 104
		.amdhsa_user_sgpr_count 6
		.amdhsa_user_sgpr_private_segment_buffer 1
		.amdhsa_user_sgpr_dispatch_ptr 0
		.amdhsa_user_sgpr_queue_ptr 0
		.amdhsa_user_sgpr_kernarg_segment_ptr 1
		.amdhsa_user_sgpr_dispatch_id 0
		.amdhsa_user_sgpr_flat_scratch_init 0
		.amdhsa_user_sgpr_kernarg_preload_length 0
		.amdhsa_user_sgpr_kernarg_preload_offset 0
		.amdhsa_user_sgpr_private_segment_size 0
		.amdhsa_uses_dynamic_stack 0
		.amdhsa_system_sgpr_private_segment_wavefront_offset 0
		.amdhsa_system_sgpr_workgroup_id_x 1
		.amdhsa_system_sgpr_workgroup_id_y 0
		.amdhsa_system_sgpr_workgroup_id_z 0
		.amdhsa_system_sgpr_workgroup_info 0
		.amdhsa_system_vgpr_workitem_id 0
		.amdhsa_next_free_vgpr 39
		.amdhsa_next_free_sgpr 22
		.amdhsa_accum_offset 40
		.amdhsa_reserve_vcc 1
		.amdhsa_reserve_flat_scratch 0
		.amdhsa_float_round_mode_32 0
		.amdhsa_float_round_mode_16_64 0
		.amdhsa_float_denorm_mode_32 3
		.amdhsa_float_denorm_mode_16_64 3
		.amdhsa_dx10_clamp 1
		.amdhsa_ieee_mode 1
		.amdhsa_fp16_overflow 0
		.amdhsa_tg_split 0
		.amdhsa_exception_fp_ieee_invalid_op 0
		.amdhsa_exception_fp_denorm_src 0
		.amdhsa_exception_fp_ieee_div_zero 0
		.amdhsa_exception_fp_ieee_overflow 0
		.amdhsa_exception_fp_ieee_underflow 0
		.amdhsa_exception_fp_ieee_inexact 0
		.amdhsa_exception_int_div_zero 0
	.end_amdhsa_kernel
	.section	.text._ZN7rocprim17ROCPRIM_400000_NS6detail17trampoline_kernelINS0_14default_configENS1_20scan_config_selectorIjEEZZNS1_9scan_implILNS1_25lookback_scan_determinismE0ELb0ELb0ES3_N6thrust23THRUST_200600_302600_NS6detail15normal_iteratorINS9_10device_ptrIjEEEENS9_16discard_iteratorINS9_11use_defaultEEEj11max_functorIjEjEEDaPvRmT3_T4_T5_mT6_P12ihipStream_tbENKUlT_T0_E_clISt17integral_constantIbLb1EESW_IbLb0EEEEDaSS_ST_EUlSS_E_NS1_11comp_targetILNS1_3genE4ELNS1_11target_archE910ELNS1_3gpuE8ELNS1_3repE0EEENS1_30default_config_static_selectorELNS0_4arch9wavefront6targetE1EEEvT1_,"axG",@progbits,_ZN7rocprim17ROCPRIM_400000_NS6detail17trampoline_kernelINS0_14default_configENS1_20scan_config_selectorIjEEZZNS1_9scan_implILNS1_25lookback_scan_determinismE0ELb0ELb0ES3_N6thrust23THRUST_200600_302600_NS6detail15normal_iteratorINS9_10device_ptrIjEEEENS9_16discard_iteratorINS9_11use_defaultEEEj11max_functorIjEjEEDaPvRmT3_T4_T5_mT6_P12ihipStream_tbENKUlT_T0_E_clISt17integral_constantIbLb1EESW_IbLb0EEEEDaSS_ST_EUlSS_E_NS1_11comp_targetILNS1_3genE4ELNS1_11target_archE910ELNS1_3gpuE8ELNS1_3repE0EEENS1_30default_config_static_selectorELNS0_4arch9wavefront6targetE1EEEvT1_,comdat
.Lfunc_end3460:
	.size	_ZN7rocprim17ROCPRIM_400000_NS6detail17trampoline_kernelINS0_14default_configENS1_20scan_config_selectorIjEEZZNS1_9scan_implILNS1_25lookback_scan_determinismE0ELb0ELb0ES3_N6thrust23THRUST_200600_302600_NS6detail15normal_iteratorINS9_10device_ptrIjEEEENS9_16discard_iteratorINS9_11use_defaultEEEj11max_functorIjEjEEDaPvRmT3_T4_T5_mT6_P12ihipStream_tbENKUlT_T0_E_clISt17integral_constantIbLb1EESW_IbLb0EEEEDaSS_ST_EUlSS_E_NS1_11comp_targetILNS1_3genE4ELNS1_11target_archE910ELNS1_3gpuE8ELNS1_3repE0EEENS1_30default_config_static_selectorELNS0_4arch9wavefront6targetE1EEEvT1_, .Lfunc_end3460-_ZN7rocprim17ROCPRIM_400000_NS6detail17trampoline_kernelINS0_14default_configENS1_20scan_config_selectorIjEEZZNS1_9scan_implILNS1_25lookback_scan_determinismE0ELb0ELb0ES3_N6thrust23THRUST_200600_302600_NS6detail15normal_iteratorINS9_10device_ptrIjEEEENS9_16discard_iteratorINS9_11use_defaultEEEj11max_functorIjEjEEDaPvRmT3_T4_T5_mT6_P12ihipStream_tbENKUlT_T0_E_clISt17integral_constantIbLb1EESW_IbLb0EEEEDaSS_ST_EUlSS_E_NS1_11comp_targetILNS1_3genE4ELNS1_11target_archE910ELNS1_3gpuE8ELNS1_3repE0EEENS1_30default_config_static_selectorELNS0_4arch9wavefront6targetE1EEEvT1_
                                        ; -- End function
	.section	.AMDGPU.csdata,"",@progbits
; Kernel info:
; codeLenInByte = 4088
; NumSgprs: 26
; NumVgprs: 39
; NumAgprs: 0
; TotalNumVgprs: 39
; ScratchSize: 0
; MemoryBound: 0
; FloatMode: 240
; IeeeMode: 1
; LDSByteSize: 5120 bytes/workgroup (compile time only)
; SGPRBlocks: 3
; VGPRBlocks: 4
; NumSGPRsForWavesPerEU: 26
; NumVGPRsForWavesPerEU: 39
; AccumOffset: 40
; Occupancy: 6
; WaveLimiterHint : 1
; COMPUTE_PGM_RSRC2:SCRATCH_EN: 0
; COMPUTE_PGM_RSRC2:USER_SGPR: 6
; COMPUTE_PGM_RSRC2:TRAP_HANDLER: 0
; COMPUTE_PGM_RSRC2:TGID_X_EN: 1
; COMPUTE_PGM_RSRC2:TGID_Y_EN: 0
; COMPUTE_PGM_RSRC2:TGID_Z_EN: 0
; COMPUTE_PGM_RSRC2:TIDIG_COMP_CNT: 0
; COMPUTE_PGM_RSRC3_GFX90A:ACCUM_OFFSET: 9
; COMPUTE_PGM_RSRC3_GFX90A:TG_SPLIT: 0
	.section	.text._ZN7rocprim17ROCPRIM_400000_NS6detail17trampoline_kernelINS0_14default_configENS1_20scan_config_selectorIjEEZZNS1_9scan_implILNS1_25lookback_scan_determinismE0ELb0ELb0ES3_N6thrust23THRUST_200600_302600_NS6detail15normal_iteratorINS9_10device_ptrIjEEEENS9_16discard_iteratorINS9_11use_defaultEEEj11max_functorIjEjEEDaPvRmT3_T4_T5_mT6_P12ihipStream_tbENKUlT_T0_E_clISt17integral_constantIbLb1EESW_IbLb0EEEEDaSS_ST_EUlSS_E_NS1_11comp_targetILNS1_3genE3ELNS1_11target_archE908ELNS1_3gpuE7ELNS1_3repE0EEENS1_30default_config_static_selectorELNS0_4arch9wavefront6targetE1EEEvT1_,"axG",@progbits,_ZN7rocprim17ROCPRIM_400000_NS6detail17trampoline_kernelINS0_14default_configENS1_20scan_config_selectorIjEEZZNS1_9scan_implILNS1_25lookback_scan_determinismE0ELb0ELb0ES3_N6thrust23THRUST_200600_302600_NS6detail15normal_iteratorINS9_10device_ptrIjEEEENS9_16discard_iteratorINS9_11use_defaultEEEj11max_functorIjEjEEDaPvRmT3_T4_T5_mT6_P12ihipStream_tbENKUlT_T0_E_clISt17integral_constantIbLb1EESW_IbLb0EEEEDaSS_ST_EUlSS_E_NS1_11comp_targetILNS1_3genE3ELNS1_11target_archE908ELNS1_3gpuE7ELNS1_3repE0EEENS1_30default_config_static_selectorELNS0_4arch9wavefront6targetE1EEEvT1_,comdat
	.protected	_ZN7rocprim17ROCPRIM_400000_NS6detail17trampoline_kernelINS0_14default_configENS1_20scan_config_selectorIjEEZZNS1_9scan_implILNS1_25lookback_scan_determinismE0ELb0ELb0ES3_N6thrust23THRUST_200600_302600_NS6detail15normal_iteratorINS9_10device_ptrIjEEEENS9_16discard_iteratorINS9_11use_defaultEEEj11max_functorIjEjEEDaPvRmT3_T4_T5_mT6_P12ihipStream_tbENKUlT_T0_E_clISt17integral_constantIbLb1EESW_IbLb0EEEEDaSS_ST_EUlSS_E_NS1_11comp_targetILNS1_3genE3ELNS1_11target_archE908ELNS1_3gpuE7ELNS1_3repE0EEENS1_30default_config_static_selectorELNS0_4arch9wavefront6targetE1EEEvT1_ ; -- Begin function _ZN7rocprim17ROCPRIM_400000_NS6detail17trampoline_kernelINS0_14default_configENS1_20scan_config_selectorIjEEZZNS1_9scan_implILNS1_25lookback_scan_determinismE0ELb0ELb0ES3_N6thrust23THRUST_200600_302600_NS6detail15normal_iteratorINS9_10device_ptrIjEEEENS9_16discard_iteratorINS9_11use_defaultEEEj11max_functorIjEjEEDaPvRmT3_T4_T5_mT6_P12ihipStream_tbENKUlT_T0_E_clISt17integral_constantIbLb1EESW_IbLb0EEEEDaSS_ST_EUlSS_E_NS1_11comp_targetILNS1_3genE3ELNS1_11target_archE908ELNS1_3gpuE7ELNS1_3repE0EEENS1_30default_config_static_selectorELNS0_4arch9wavefront6targetE1EEEvT1_
	.globl	_ZN7rocprim17ROCPRIM_400000_NS6detail17trampoline_kernelINS0_14default_configENS1_20scan_config_selectorIjEEZZNS1_9scan_implILNS1_25lookback_scan_determinismE0ELb0ELb0ES3_N6thrust23THRUST_200600_302600_NS6detail15normal_iteratorINS9_10device_ptrIjEEEENS9_16discard_iteratorINS9_11use_defaultEEEj11max_functorIjEjEEDaPvRmT3_T4_T5_mT6_P12ihipStream_tbENKUlT_T0_E_clISt17integral_constantIbLb1EESW_IbLb0EEEEDaSS_ST_EUlSS_E_NS1_11comp_targetILNS1_3genE3ELNS1_11target_archE908ELNS1_3gpuE7ELNS1_3repE0EEENS1_30default_config_static_selectorELNS0_4arch9wavefront6targetE1EEEvT1_
	.p2align	8
	.type	_ZN7rocprim17ROCPRIM_400000_NS6detail17trampoline_kernelINS0_14default_configENS1_20scan_config_selectorIjEEZZNS1_9scan_implILNS1_25lookback_scan_determinismE0ELb0ELb0ES3_N6thrust23THRUST_200600_302600_NS6detail15normal_iteratorINS9_10device_ptrIjEEEENS9_16discard_iteratorINS9_11use_defaultEEEj11max_functorIjEjEEDaPvRmT3_T4_T5_mT6_P12ihipStream_tbENKUlT_T0_E_clISt17integral_constantIbLb1EESW_IbLb0EEEEDaSS_ST_EUlSS_E_NS1_11comp_targetILNS1_3genE3ELNS1_11target_archE908ELNS1_3gpuE7ELNS1_3repE0EEENS1_30default_config_static_selectorELNS0_4arch9wavefront6targetE1EEEvT1_,@function
_ZN7rocprim17ROCPRIM_400000_NS6detail17trampoline_kernelINS0_14default_configENS1_20scan_config_selectorIjEEZZNS1_9scan_implILNS1_25lookback_scan_determinismE0ELb0ELb0ES3_N6thrust23THRUST_200600_302600_NS6detail15normal_iteratorINS9_10device_ptrIjEEEENS9_16discard_iteratorINS9_11use_defaultEEEj11max_functorIjEjEEDaPvRmT3_T4_T5_mT6_P12ihipStream_tbENKUlT_T0_E_clISt17integral_constantIbLb1EESW_IbLb0EEEEDaSS_ST_EUlSS_E_NS1_11comp_targetILNS1_3genE3ELNS1_11target_archE908ELNS1_3gpuE7ELNS1_3repE0EEENS1_30default_config_static_selectorELNS0_4arch9wavefront6targetE1EEEvT1_: ; @_ZN7rocprim17ROCPRIM_400000_NS6detail17trampoline_kernelINS0_14default_configENS1_20scan_config_selectorIjEEZZNS1_9scan_implILNS1_25lookback_scan_determinismE0ELb0ELb0ES3_N6thrust23THRUST_200600_302600_NS6detail15normal_iteratorINS9_10device_ptrIjEEEENS9_16discard_iteratorINS9_11use_defaultEEEj11max_functorIjEjEEDaPvRmT3_T4_T5_mT6_P12ihipStream_tbENKUlT_T0_E_clISt17integral_constantIbLb1EESW_IbLb0EEEEDaSS_ST_EUlSS_E_NS1_11comp_targetILNS1_3genE3ELNS1_11target_archE908ELNS1_3gpuE7ELNS1_3repE0EEENS1_30default_config_static_selectorELNS0_4arch9wavefront6targetE1EEEvT1_
; %bb.0:
	.section	.rodata,"a",@progbits
	.p2align	6, 0x0
	.amdhsa_kernel _ZN7rocprim17ROCPRIM_400000_NS6detail17trampoline_kernelINS0_14default_configENS1_20scan_config_selectorIjEEZZNS1_9scan_implILNS1_25lookback_scan_determinismE0ELb0ELb0ES3_N6thrust23THRUST_200600_302600_NS6detail15normal_iteratorINS9_10device_ptrIjEEEENS9_16discard_iteratorINS9_11use_defaultEEEj11max_functorIjEjEEDaPvRmT3_T4_T5_mT6_P12ihipStream_tbENKUlT_T0_E_clISt17integral_constantIbLb1EESW_IbLb0EEEEDaSS_ST_EUlSS_E_NS1_11comp_targetILNS1_3genE3ELNS1_11target_archE908ELNS1_3gpuE7ELNS1_3repE0EEENS1_30default_config_static_selectorELNS0_4arch9wavefront6targetE1EEEvT1_
		.amdhsa_group_segment_fixed_size 0
		.amdhsa_private_segment_fixed_size 0
		.amdhsa_kernarg_size 104
		.amdhsa_user_sgpr_count 6
		.amdhsa_user_sgpr_private_segment_buffer 1
		.amdhsa_user_sgpr_dispatch_ptr 0
		.amdhsa_user_sgpr_queue_ptr 0
		.amdhsa_user_sgpr_kernarg_segment_ptr 1
		.amdhsa_user_sgpr_dispatch_id 0
		.amdhsa_user_sgpr_flat_scratch_init 0
		.amdhsa_user_sgpr_kernarg_preload_length 0
		.amdhsa_user_sgpr_kernarg_preload_offset 0
		.amdhsa_user_sgpr_private_segment_size 0
		.amdhsa_uses_dynamic_stack 0
		.amdhsa_system_sgpr_private_segment_wavefront_offset 0
		.amdhsa_system_sgpr_workgroup_id_x 1
		.amdhsa_system_sgpr_workgroup_id_y 0
		.amdhsa_system_sgpr_workgroup_id_z 0
		.amdhsa_system_sgpr_workgroup_info 0
		.amdhsa_system_vgpr_workitem_id 0
		.amdhsa_next_free_vgpr 1
		.amdhsa_next_free_sgpr 0
		.amdhsa_accum_offset 4
		.amdhsa_reserve_vcc 0
		.amdhsa_reserve_flat_scratch 0
		.amdhsa_float_round_mode_32 0
		.amdhsa_float_round_mode_16_64 0
		.amdhsa_float_denorm_mode_32 3
		.amdhsa_float_denorm_mode_16_64 3
		.amdhsa_dx10_clamp 1
		.amdhsa_ieee_mode 1
		.amdhsa_fp16_overflow 0
		.amdhsa_tg_split 0
		.amdhsa_exception_fp_ieee_invalid_op 0
		.amdhsa_exception_fp_denorm_src 0
		.amdhsa_exception_fp_ieee_div_zero 0
		.amdhsa_exception_fp_ieee_overflow 0
		.amdhsa_exception_fp_ieee_underflow 0
		.amdhsa_exception_fp_ieee_inexact 0
		.amdhsa_exception_int_div_zero 0
	.end_amdhsa_kernel
	.section	.text._ZN7rocprim17ROCPRIM_400000_NS6detail17trampoline_kernelINS0_14default_configENS1_20scan_config_selectorIjEEZZNS1_9scan_implILNS1_25lookback_scan_determinismE0ELb0ELb0ES3_N6thrust23THRUST_200600_302600_NS6detail15normal_iteratorINS9_10device_ptrIjEEEENS9_16discard_iteratorINS9_11use_defaultEEEj11max_functorIjEjEEDaPvRmT3_T4_T5_mT6_P12ihipStream_tbENKUlT_T0_E_clISt17integral_constantIbLb1EESW_IbLb0EEEEDaSS_ST_EUlSS_E_NS1_11comp_targetILNS1_3genE3ELNS1_11target_archE908ELNS1_3gpuE7ELNS1_3repE0EEENS1_30default_config_static_selectorELNS0_4arch9wavefront6targetE1EEEvT1_,"axG",@progbits,_ZN7rocprim17ROCPRIM_400000_NS6detail17trampoline_kernelINS0_14default_configENS1_20scan_config_selectorIjEEZZNS1_9scan_implILNS1_25lookback_scan_determinismE0ELb0ELb0ES3_N6thrust23THRUST_200600_302600_NS6detail15normal_iteratorINS9_10device_ptrIjEEEENS9_16discard_iteratorINS9_11use_defaultEEEj11max_functorIjEjEEDaPvRmT3_T4_T5_mT6_P12ihipStream_tbENKUlT_T0_E_clISt17integral_constantIbLb1EESW_IbLb0EEEEDaSS_ST_EUlSS_E_NS1_11comp_targetILNS1_3genE3ELNS1_11target_archE908ELNS1_3gpuE7ELNS1_3repE0EEENS1_30default_config_static_selectorELNS0_4arch9wavefront6targetE1EEEvT1_,comdat
.Lfunc_end3461:
	.size	_ZN7rocprim17ROCPRIM_400000_NS6detail17trampoline_kernelINS0_14default_configENS1_20scan_config_selectorIjEEZZNS1_9scan_implILNS1_25lookback_scan_determinismE0ELb0ELb0ES3_N6thrust23THRUST_200600_302600_NS6detail15normal_iteratorINS9_10device_ptrIjEEEENS9_16discard_iteratorINS9_11use_defaultEEEj11max_functorIjEjEEDaPvRmT3_T4_T5_mT6_P12ihipStream_tbENKUlT_T0_E_clISt17integral_constantIbLb1EESW_IbLb0EEEEDaSS_ST_EUlSS_E_NS1_11comp_targetILNS1_3genE3ELNS1_11target_archE908ELNS1_3gpuE7ELNS1_3repE0EEENS1_30default_config_static_selectorELNS0_4arch9wavefront6targetE1EEEvT1_, .Lfunc_end3461-_ZN7rocprim17ROCPRIM_400000_NS6detail17trampoline_kernelINS0_14default_configENS1_20scan_config_selectorIjEEZZNS1_9scan_implILNS1_25lookback_scan_determinismE0ELb0ELb0ES3_N6thrust23THRUST_200600_302600_NS6detail15normal_iteratorINS9_10device_ptrIjEEEENS9_16discard_iteratorINS9_11use_defaultEEEj11max_functorIjEjEEDaPvRmT3_T4_T5_mT6_P12ihipStream_tbENKUlT_T0_E_clISt17integral_constantIbLb1EESW_IbLb0EEEEDaSS_ST_EUlSS_E_NS1_11comp_targetILNS1_3genE3ELNS1_11target_archE908ELNS1_3gpuE7ELNS1_3repE0EEENS1_30default_config_static_selectorELNS0_4arch9wavefront6targetE1EEEvT1_
                                        ; -- End function
	.section	.AMDGPU.csdata,"",@progbits
; Kernel info:
; codeLenInByte = 0
; NumSgprs: 4
; NumVgprs: 0
; NumAgprs: 0
; TotalNumVgprs: 0
; ScratchSize: 0
; MemoryBound: 0
; FloatMode: 240
; IeeeMode: 1
; LDSByteSize: 0 bytes/workgroup (compile time only)
; SGPRBlocks: 0
; VGPRBlocks: 0
; NumSGPRsForWavesPerEU: 4
; NumVGPRsForWavesPerEU: 1
; AccumOffset: 4
; Occupancy: 8
; WaveLimiterHint : 0
; COMPUTE_PGM_RSRC2:SCRATCH_EN: 0
; COMPUTE_PGM_RSRC2:USER_SGPR: 6
; COMPUTE_PGM_RSRC2:TRAP_HANDLER: 0
; COMPUTE_PGM_RSRC2:TGID_X_EN: 1
; COMPUTE_PGM_RSRC2:TGID_Y_EN: 0
; COMPUTE_PGM_RSRC2:TGID_Z_EN: 0
; COMPUTE_PGM_RSRC2:TIDIG_COMP_CNT: 0
; COMPUTE_PGM_RSRC3_GFX90A:ACCUM_OFFSET: 0
; COMPUTE_PGM_RSRC3_GFX90A:TG_SPLIT: 0
	.section	.text._ZN7rocprim17ROCPRIM_400000_NS6detail17trampoline_kernelINS0_14default_configENS1_20scan_config_selectorIjEEZZNS1_9scan_implILNS1_25lookback_scan_determinismE0ELb0ELb0ES3_N6thrust23THRUST_200600_302600_NS6detail15normal_iteratorINS9_10device_ptrIjEEEENS9_16discard_iteratorINS9_11use_defaultEEEj11max_functorIjEjEEDaPvRmT3_T4_T5_mT6_P12ihipStream_tbENKUlT_T0_E_clISt17integral_constantIbLb1EESW_IbLb0EEEEDaSS_ST_EUlSS_E_NS1_11comp_targetILNS1_3genE2ELNS1_11target_archE906ELNS1_3gpuE6ELNS1_3repE0EEENS1_30default_config_static_selectorELNS0_4arch9wavefront6targetE1EEEvT1_,"axG",@progbits,_ZN7rocprim17ROCPRIM_400000_NS6detail17trampoline_kernelINS0_14default_configENS1_20scan_config_selectorIjEEZZNS1_9scan_implILNS1_25lookback_scan_determinismE0ELb0ELb0ES3_N6thrust23THRUST_200600_302600_NS6detail15normal_iteratorINS9_10device_ptrIjEEEENS9_16discard_iteratorINS9_11use_defaultEEEj11max_functorIjEjEEDaPvRmT3_T4_T5_mT6_P12ihipStream_tbENKUlT_T0_E_clISt17integral_constantIbLb1EESW_IbLb0EEEEDaSS_ST_EUlSS_E_NS1_11comp_targetILNS1_3genE2ELNS1_11target_archE906ELNS1_3gpuE6ELNS1_3repE0EEENS1_30default_config_static_selectorELNS0_4arch9wavefront6targetE1EEEvT1_,comdat
	.protected	_ZN7rocprim17ROCPRIM_400000_NS6detail17trampoline_kernelINS0_14default_configENS1_20scan_config_selectorIjEEZZNS1_9scan_implILNS1_25lookback_scan_determinismE0ELb0ELb0ES3_N6thrust23THRUST_200600_302600_NS6detail15normal_iteratorINS9_10device_ptrIjEEEENS9_16discard_iteratorINS9_11use_defaultEEEj11max_functorIjEjEEDaPvRmT3_T4_T5_mT6_P12ihipStream_tbENKUlT_T0_E_clISt17integral_constantIbLb1EESW_IbLb0EEEEDaSS_ST_EUlSS_E_NS1_11comp_targetILNS1_3genE2ELNS1_11target_archE906ELNS1_3gpuE6ELNS1_3repE0EEENS1_30default_config_static_selectorELNS0_4arch9wavefront6targetE1EEEvT1_ ; -- Begin function _ZN7rocprim17ROCPRIM_400000_NS6detail17trampoline_kernelINS0_14default_configENS1_20scan_config_selectorIjEEZZNS1_9scan_implILNS1_25lookback_scan_determinismE0ELb0ELb0ES3_N6thrust23THRUST_200600_302600_NS6detail15normal_iteratorINS9_10device_ptrIjEEEENS9_16discard_iteratorINS9_11use_defaultEEEj11max_functorIjEjEEDaPvRmT3_T4_T5_mT6_P12ihipStream_tbENKUlT_T0_E_clISt17integral_constantIbLb1EESW_IbLb0EEEEDaSS_ST_EUlSS_E_NS1_11comp_targetILNS1_3genE2ELNS1_11target_archE906ELNS1_3gpuE6ELNS1_3repE0EEENS1_30default_config_static_selectorELNS0_4arch9wavefront6targetE1EEEvT1_
	.globl	_ZN7rocprim17ROCPRIM_400000_NS6detail17trampoline_kernelINS0_14default_configENS1_20scan_config_selectorIjEEZZNS1_9scan_implILNS1_25lookback_scan_determinismE0ELb0ELb0ES3_N6thrust23THRUST_200600_302600_NS6detail15normal_iteratorINS9_10device_ptrIjEEEENS9_16discard_iteratorINS9_11use_defaultEEEj11max_functorIjEjEEDaPvRmT3_T4_T5_mT6_P12ihipStream_tbENKUlT_T0_E_clISt17integral_constantIbLb1EESW_IbLb0EEEEDaSS_ST_EUlSS_E_NS1_11comp_targetILNS1_3genE2ELNS1_11target_archE906ELNS1_3gpuE6ELNS1_3repE0EEENS1_30default_config_static_selectorELNS0_4arch9wavefront6targetE1EEEvT1_
	.p2align	8
	.type	_ZN7rocprim17ROCPRIM_400000_NS6detail17trampoline_kernelINS0_14default_configENS1_20scan_config_selectorIjEEZZNS1_9scan_implILNS1_25lookback_scan_determinismE0ELb0ELb0ES3_N6thrust23THRUST_200600_302600_NS6detail15normal_iteratorINS9_10device_ptrIjEEEENS9_16discard_iteratorINS9_11use_defaultEEEj11max_functorIjEjEEDaPvRmT3_T4_T5_mT6_P12ihipStream_tbENKUlT_T0_E_clISt17integral_constantIbLb1EESW_IbLb0EEEEDaSS_ST_EUlSS_E_NS1_11comp_targetILNS1_3genE2ELNS1_11target_archE906ELNS1_3gpuE6ELNS1_3repE0EEENS1_30default_config_static_selectorELNS0_4arch9wavefront6targetE1EEEvT1_,@function
_ZN7rocprim17ROCPRIM_400000_NS6detail17trampoline_kernelINS0_14default_configENS1_20scan_config_selectorIjEEZZNS1_9scan_implILNS1_25lookback_scan_determinismE0ELb0ELb0ES3_N6thrust23THRUST_200600_302600_NS6detail15normal_iteratorINS9_10device_ptrIjEEEENS9_16discard_iteratorINS9_11use_defaultEEEj11max_functorIjEjEEDaPvRmT3_T4_T5_mT6_P12ihipStream_tbENKUlT_T0_E_clISt17integral_constantIbLb1EESW_IbLb0EEEEDaSS_ST_EUlSS_E_NS1_11comp_targetILNS1_3genE2ELNS1_11target_archE906ELNS1_3gpuE6ELNS1_3repE0EEENS1_30default_config_static_selectorELNS0_4arch9wavefront6targetE1EEEvT1_: ; @_ZN7rocprim17ROCPRIM_400000_NS6detail17trampoline_kernelINS0_14default_configENS1_20scan_config_selectorIjEEZZNS1_9scan_implILNS1_25lookback_scan_determinismE0ELb0ELb0ES3_N6thrust23THRUST_200600_302600_NS6detail15normal_iteratorINS9_10device_ptrIjEEEENS9_16discard_iteratorINS9_11use_defaultEEEj11max_functorIjEjEEDaPvRmT3_T4_T5_mT6_P12ihipStream_tbENKUlT_T0_E_clISt17integral_constantIbLb1EESW_IbLb0EEEEDaSS_ST_EUlSS_E_NS1_11comp_targetILNS1_3genE2ELNS1_11target_archE906ELNS1_3gpuE6ELNS1_3repE0EEENS1_30default_config_static_selectorELNS0_4arch9wavefront6targetE1EEEvT1_
; %bb.0:
	.section	.rodata,"a",@progbits
	.p2align	6, 0x0
	.amdhsa_kernel _ZN7rocprim17ROCPRIM_400000_NS6detail17trampoline_kernelINS0_14default_configENS1_20scan_config_selectorIjEEZZNS1_9scan_implILNS1_25lookback_scan_determinismE0ELb0ELb0ES3_N6thrust23THRUST_200600_302600_NS6detail15normal_iteratorINS9_10device_ptrIjEEEENS9_16discard_iteratorINS9_11use_defaultEEEj11max_functorIjEjEEDaPvRmT3_T4_T5_mT6_P12ihipStream_tbENKUlT_T0_E_clISt17integral_constantIbLb1EESW_IbLb0EEEEDaSS_ST_EUlSS_E_NS1_11comp_targetILNS1_3genE2ELNS1_11target_archE906ELNS1_3gpuE6ELNS1_3repE0EEENS1_30default_config_static_selectorELNS0_4arch9wavefront6targetE1EEEvT1_
		.amdhsa_group_segment_fixed_size 0
		.amdhsa_private_segment_fixed_size 0
		.amdhsa_kernarg_size 104
		.amdhsa_user_sgpr_count 6
		.amdhsa_user_sgpr_private_segment_buffer 1
		.amdhsa_user_sgpr_dispatch_ptr 0
		.amdhsa_user_sgpr_queue_ptr 0
		.amdhsa_user_sgpr_kernarg_segment_ptr 1
		.amdhsa_user_sgpr_dispatch_id 0
		.amdhsa_user_sgpr_flat_scratch_init 0
		.amdhsa_user_sgpr_kernarg_preload_length 0
		.amdhsa_user_sgpr_kernarg_preload_offset 0
		.amdhsa_user_sgpr_private_segment_size 0
		.amdhsa_uses_dynamic_stack 0
		.amdhsa_system_sgpr_private_segment_wavefront_offset 0
		.amdhsa_system_sgpr_workgroup_id_x 1
		.amdhsa_system_sgpr_workgroup_id_y 0
		.amdhsa_system_sgpr_workgroup_id_z 0
		.amdhsa_system_sgpr_workgroup_info 0
		.amdhsa_system_vgpr_workitem_id 0
		.amdhsa_next_free_vgpr 1
		.amdhsa_next_free_sgpr 0
		.amdhsa_accum_offset 4
		.amdhsa_reserve_vcc 0
		.amdhsa_reserve_flat_scratch 0
		.amdhsa_float_round_mode_32 0
		.amdhsa_float_round_mode_16_64 0
		.amdhsa_float_denorm_mode_32 3
		.amdhsa_float_denorm_mode_16_64 3
		.amdhsa_dx10_clamp 1
		.amdhsa_ieee_mode 1
		.amdhsa_fp16_overflow 0
		.amdhsa_tg_split 0
		.amdhsa_exception_fp_ieee_invalid_op 0
		.amdhsa_exception_fp_denorm_src 0
		.amdhsa_exception_fp_ieee_div_zero 0
		.amdhsa_exception_fp_ieee_overflow 0
		.amdhsa_exception_fp_ieee_underflow 0
		.amdhsa_exception_fp_ieee_inexact 0
		.amdhsa_exception_int_div_zero 0
	.end_amdhsa_kernel
	.section	.text._ZN7rocprim17ROCPRIM_400000_NS6detail17trampoline_kernelINS0_14default_configENS1_20scan_config_selectorIjEEZZNS1_9scan_implILNS1_25lookback_scan_determinismE0ELb0ELb0ES3_N6thrust23THRUST_200600_302600_NS6detail15normal_iteratorINS9_10device_ptrIjEEEENS9_16discard_iteratorINS9_11use_defaultEEEj11max_functorIjEjEEDaPvRmT3_T4_T5_mT6_P12ihipStream_tbENKUlT_T0_E_clISt17integral_constantIbLb1EESW_IbLb0EEEEDaSS_ST_EUlSS_E_NS1_11comp_targetILNS1_3genE2ELNS1_11target_archE906ELNS1_3gpuE6ELNS1_3repE0EEENS1_30default_config_static_selectorELNS0_4arch9wavefront6targetE1EEEvT1_,"axG",@progbits,_ZN7rocprim17ROCPRIM_400000_NS6detail17trampoline_kernelINS0_14default_configENS1_20scan_config_selectorIjEEZZNS1_9scan_implILNS1_25lookback_scan_determinismE0ELb0ELb0ES3_N6thrust23THRUST_200600_302600_NS6detail15normal_iteratorINS9_10device_ptrIjEEEENS9_16discard_iteratorINS9_11use_defaultEEEj11max_functorIjEjEEDaPvRmT3_T4_T5_mT6_P12ihipStream_tbENKUlT_T0_E_clISt17integral_constantIbLb1EESW_IbLb0EEEEDaSS_ST_EUlSS_E_NS1_11comp_targetILNS1_3genE2ELNS1_11target_archE906ELNS1_3gpuE6ELNS1_3repE0EEENS1_30default_config_static_selectorELNS0_4arch9wavefront6targetE1EEEvT1_,comdat
.Lfunc_end3462:
	.size	_ZN7rocprim17ROCPRIM_400000_NS6detail17trampoline_kernelINS0_14default_configENS1_20scan_config_selectorIjEEZZNS1_9scan_implILNS1_25lookback_scan_determinismE0ELb0ELb0ES3_N6thrust23THRUST_200600_302600_NS6detail15normal_iteratorINS9_10device_ptrIjEEEENS9_16discard_iteratorINS9_11use_defaultEEEj11max_functorIjEjEEDaPvRmT3_T4_T5_mT6_P12ihipStream_tbENKUlT_T0_E_clISt17integral_constantIbLb1EESW_IbLb0EEEEDaSS_ST_EUlSS_E_NS1_11comp_targetILNS1_3genE2ELNS1_11target_archE906ELNS1_3gpuE6ELNS1_3repE0EEENS1_30default_config_static_selectorELNS0_4arch9wavefront6targetE1EEEvT1_, .Lfunc_end3462-_ZN7rocprim17ROCPRIM_400000_NS6detail17trampoline_kernelINS0_14default_configENS1_20scan_config_selectorIjEEZZNS1_9scan_implILNS1_25lookback_scan_determinismE0ELb0ELb0ES3_N6thrust23THRUST_200600_302600_NS6detail15normal_iteratorINS9_10device_ptrIjEEEENS9_16discard_iteratorINS9_11use_defaultEEEj11max_functorIjEjEEDaPvRmT3_T4_T5_mT6_P12ihipStream_tbENKUlT_T0_E_clISt17integral_constantIbLb1EESW_IbLb0EEEEDaSS_ST_EUlSS_E_NS1_11comp_targetILNS1_3genE2ELNS1_11target_archE906ELNS1_3gpuE6ELNS1_3repE0EEENS1_30default_config_static_selectorELNS0_4arch9wavefront6targetE1EEEvT1_
                                        ; -- End function
	.section	.AMDGPU.csdata,"",@progbits
; Kernel info:
; codeLenInByte = 0
; NumSgprs: 4
; NumVgprs: 0
; NumAgprs: 0
; TotalNumVgprs: 0
; ScratchSize: 0
; MemoryBound: 0
; FloatMode: 240
; IeeeMode: 1
; LDSByteSize: 0 bytes/workgroup (compile time only)
; SGPRBlocks: 0
; VGPRBlocks: 0
; NumSGPRsForWavesPerEU: 4
; NumVGPRsForWavesPerEU: 1
; AccumOffset: 4
; Occupancy: 8
; WaveLimiterHint : 0
; COMPUTE_PGM_RSRC2:SCRATCH_EN: 0
; COMPUTE_PGM_RSRC2:USER_SGPR: 6
; COMPUTE_PGM_RSRC2:TRAP_HANDLER: 0
; COMPUTE_PGM_RSRC2:TGID_X_EN: 1
; COMPUTE_PGM_RSRC2:TGID_Y_EN: 0
; COMPUTE_PGM_RSRC2:TGID_Z_EN: 0
; COMPUTE_PGM_RSRC2:TIDIG_COMP_CNT: 0
; COMPUTE_PGM_RSRC3_GFX90A:ACCUM_OFFSET: 0
; COMPUTE_PGM_RSRC3_GFX90A:TG_SPLIT: 0
	.section	.text._ZN7rocprim17ROCPRIM_400000_NS6detail17trampoline_kernelINS0_14default_configENS1_20scan_config_selectorIjEEZZNS1_9scan_implILNS1_25lookback_scan_determinismE0ELb0ELb0ES3_N6thrust23THRUST_200600_302600_NS6detail15normal_iteratorINS9_10device_ptrIjEEEENS9_16discard_iteratorINS9_11use_defaultEEEj11max_functorIjEjEEDaPvRmT3_T4_T5_mT6_P12ihipStream_tbENKUlT_T0_E_clISt17integral_constantIbLb1EESW_IbLb0EEEEDaSS_ST_EUlSS_E_NS1_11comp_targetILNS1_3genE10ELNS1_11target_archE1201ELNS1_3gpuE5ELNS1_3repE0EEENS1_30default_config_static_selectorELNS0_4arch9wavefront6targetE1EEEvT1_,"axG",@progbits,_ZN7rocprim17ROCPRIM_400000_NS6detail17trampoline_kernelINS0_14default_configENS1_20scan_config_selectorIjEEZZNS1_9scan_implILNS1_25lookback_scan_determinismE0ELb0ELb0ES3_N6thrust23THRUST_200600_302600_NS6detail15normal_iteratorINS9_10device_ptrIjEEEENS9_16discard_iteratorINS9_11use_defaultEEEj11max_functorIjEjEEDaPvRmT3_T4_T5_mT6_P12ihipStream_tbENKUlT_T0_E_clISt17integral_constantIbLb1EESW_IbLb0EEEEDaSS_ST_EUlSS_E_NS1_11comp_targetILNS1_3genE10ELNS1_11target_archE1201ELNS1_3gpuE5ELNS1_3repE0EEENS1_30default_config_static_selectorELNS0_4arch9wavefront6targetE1EEEvT1_,comdat
	.protected	_ZN7rocprim17ROCPRIM_400000_NS6detail17trampoline_kernelINS0_14default_configENS1_20scan_config_selectorIjEEZZNS1_9scan_implILNS1_25lookback_scan_determinismE0ELb0ELb0ES3_N6thrust23THRUST_200600_302600_NS6detail15normal_iteratorINS9_10device_ptrIjEEEENS9_16discard_iteratorINS9_11use_defaultEEEj11max_functorIjEjEEDaPvRmT3_T4_T5_mT6_P12ihipStream_tbENKUlT_T0_E_clISt17integral_constantIbLb1EESW_IbLb0EEEEDaSS_ST_EUlSS_E_NS1_11comp_targetILNS1_3genE10ELNS1_11target_archE1201ELNS1_3gpuE5ELNS1_3repE0EEENS1_30default_config_static_selectorELNS0_4arch9wavefront6targetE1EEEvT1_ ; -- Begin function _ZN7rocprim17ROCPRIM_400000_NS6detail17trampoline_kernelINS0_14default_configENS1_20scan_config_selectorIjEEZZNS1_9scan_implILNS1_25lookback_scan_determinismE0ELb0ELb0ES3_N6thrust23THRUST_200600_302600_NS6detail15normal_iteratorINS9_10device_ptrIjEEEENS9_16discard_iteratorINS9_11use_defaultEEEj11max_functorIjEjEEDaPvRmT3_T4_T5_mT6_P12ihipStream_tbENKUlT_T0_E_clISt17integral_constantIbLb1EESW_IbLb0EEEEDaSS_ST_EUlSS_E_NS1_11comp_targetILNS1_3genE10ELNS1_11target_archE1201ELNS1_3gpuE5ELNS1_3repE0EEENS1_30default_config_static_selectorELNS0_4arch9wavefront6targetE1EEEvT1_
	.globl	_ZN7rocprim17ROCPRIM_400000_NS6detail17trampoline_kernelINS0_14default_configENS1_20scan_config_selectorIjEEZZNS1_9scan_implILNS1_25lookback_scan_determinismE0ELb0ELb0ES3_N6thrust23THRUST_200600_302600_NS6detail15normal_iteratorINS9_10device_ptrIjEEEENS9_16discard_iteratorINS9_11use_defaultEEEj11max_functorIjEjEEDaPvRmT3_T4_T5_mT6_P12ihipStream_tbENKUlT_T0_E_clISt17integral_constantIbLb1EESW_IbLb0EEEEDaSS_ST_EUlSS_E_NS1_11comp_targetILNS1_3genE10ELNS1_11target_archE1201ELNS1_3gpuE5ELNS1_3repE0EEENS1_30default_config_static_selectorELNS0_4arch9wavefront6targetE1EEEvT1_
	.p2align	8
	.type	_ZN7rocprim17ROCPRIM_400000_NS6detail17trampoline_kernelINS0_14default_configENS1_20scan_config_selectorIjEEZZNS1_9scan_implILNS1_25lookback_scan_determinismE0ELb0ELb0ES3_N6thrust23THRUST_200600_302600_NS6detail15normal_iteratorINS9_10device_ptrIjEEEENS9_16discard_iteratorINS9_11use_defaultEEEj11max_functorIjEjEEDaPvRmT3_T4_T5_mT6_P12ihipStream_tbENKUlT_T0_E_clISt17integral_constantIbLb1EESW_IbLb0EEEEDaSS_ST_EUlSS_E_NS1_11comp_targetILNS1_3genE10ELNS1_11target_archE1201ELNS1_3gpuE5ELNS1_3repE0EEENS1_30default_config_static_selectorELNS0_4arch9wavefront6targetE1EEEvT1_,@function
_ZN7rocprim17ROCPRIM_400000_NS6detail17trampoline_kernelINS0_14default_configENS1_20scan_config_selectorIjEEZZNS1_9scan_implILNS1_25lookback_scan_determinismE0ELb0ELb0ES3_N6thrust23THRUST_200600_302600_NS6detail15normal_iteratorINS9_10device_ptrIjEEEENS9_16discard_iteratorINS9_11use_defaultEEEj11max_functorIjEjEEDaPvRmT3_T4_T5_mT6_P12ihipStream_tbENKUlT_T0_E_clISt17integral_constantIbLb1EESW_IbLb0EEEEDaSS_ST_EUlSS_E_NS1_11comp_targetILNS1_3genE10ELNS1_11target_archE1201ELNS1_3gpuE5ELNS1_3repE0EEENS1_30default_config_static_selectorELNS0_4arch9wavefront6targetE1EEEvT1_: ; @_ZN7rocprim17ROCPRIM_400000_NS6detail17trampoline_kernelINS0_14default_configENS1_20scan_config_selectorIjEEZZNS1_9scan_implILNS1_25lookback_scan_determinismE0ELb0ELb0ES3_N6thrust23THRUST_200600_302600_NS6detail15normal_iteratorINS9_10device_ptrIjEEEENS9_16discard_iteratorINS9_11use_defaultEEEj11max_functorIjEjEEDaPvRmT3_T4_T5_mT6_P12ihipStream_tbENKUlT_T0_E_clISt17integral_constantIbLb1EESW_IbLb0EEEEDaSS_ST_EUlSS_E_NS1_11comp_targetILNS1_3genE10ELNS1_11target_archE1201ELNS1_3gpuE5ELNS1_3repE0EEENS1_30default_config_static_selectorELNS0_4arch9wavefront6targetE1EEEvT1_
; %bb.0:
	.section	.rodata,"a",@progbits
	.p2align	6, 0x0
	.amdhsa_kernel _ZN7rocprim17ROCPRIM_400000_NS6detail17trampoline_kernelINS0_14default_configENS1_20scan_config_selectorIjEEZZNS1_9scan_implILNS1_25lookback_scan_determinismE0ELb0ELb0ES3_N6thrust23THRUST_200600_302600_NS6detail15normal_iteratorINS9_10device_ptrIjEEEENS9_16discard_iteratorINS9_11use_defaultEEEj11max_functorIjEjEEDaPvRmT3_T4_T5_mT6_P12ihipStream_tbENKUlT_T0_E_clISt17integral_constantIbLb1EESW_IbLb0EEEEDaSS_ST_EUlSS_E_NS1_11comp_targetILNS1_3genE10ELNS1_11target_archE1201ELNS1_3gpuE5ELNS1_3repE0EEENS1_30default_config_static_selectorELNS0_4arch9wavefront6targetE1EEEvT1_
		.amdhsa_group_segment_fixed_size 0
		.amdhsa_private_segment_fixed_size 0
		.amdhsa_kernarg_size 104
		.amdhsa_user_sgpr_count 6
		.amdhsa_user_sgpr_private_segment_buffer 1
		.amdhsa_user_sgpr_dispatch_ptr 0
		.amdhsa_user_sgpr_queue_ptr 0
		.amdhsa_user_sgpr_kernarg_segment_ptr 1
		.amdhsa_user_sgpr_dispatch_id 0
		.amdhsa_user_sgpr_flat_scratch_init 0
		.amdhsa_user_sgpr_kernarg_preload_length 0
		.amdhsa_user_sgpr_kernarg_preload_offset 0
		.amdhsa_user_sgpr_private_segment_size 0
		.amdhsa_uses_dynamic_stack 0
		.amdhsa_system_sgpr_private_segment_wavefront_offset 0
		.amdhsa_system_sgpr_workgroup_id_x 1
		.amdhsa_system_sgpr_workgroup_id_y 0
		.amdhsa_system_sgpr_workgroup_id_z 0
		.amdhsa_system_sgpr_workgroup_info 0
		.amdhsa_system_vgpr_workitem_id 0
		.amdhsa_next_free_vgpr 1
		.amdhsa_next_free_sgpr 0
		.amdhsa_accum_offset 4
		.amdhsa_reserve_vcc 0
		.amdhsa_reserve_flat_scratch 0
		.amdhsa_float_round_mode_32 0
		.amdhsa_float_round_mode_16_64 0
		.amdhsa_float_denorm_mode_32 3
		.amdhsa_float_denorm_mode_16_64 3
		.amdhsa_dx10_clamp 1
		.amdhsa_ieee_mode 1
		.amdhsa_fp16_overflow 0
		.amdhsa_tg_split 0
		.amdhsa_exception_fp_ieee_invalid_op 0
		.amdhsa_exception_fp_denorm_src 0
		.amdhsa_exception_fp_ieee_div_zero 0
		.amdhsa_exception_fp_ieee_overflow 0
		.amdhsa_exception_fp_ieee_underflow 0
		.amdhsa_exception_fp_ieee_inexact 0
		.amdhsa_exception_int_div_zero 0
	.end_amdhsa_kernel
	.section	.text._ZN7rocprim17ROCPRIM_400000_NS6detail17trampoline_kernelINS0_14default_configENS1_20scan_config_selectorIjEEZZNS1_9scan_implILNS1_25lookback_scan_determinismE0ELb0ELb0ES3_N6thrust23THRUST_200600_302600_NS6detail15normal_iteratorINS9_10device_ptrIjEEEENS9_16discard_iteratorINS9_11use_defaultEEEj11max_functorIjEjEEDaPvRmT3_T4_T5_mT6_P12ihipStream_tbENKUlT_T0_E_clISt17integral_constantIbLb1EESW_IbLb0EEEEDaSS_ST_EUlSS_E_NS1_11comp_targetILNS1_3genE10ELNS1_11target_archE1201ELNS1_3gpuE5ELNS1_3repE0EEENS1_30default_config_static_selectorELNS0_4arch9wavefront6targetE1EEEvT1_,"axG",@progbits,_ZN7rocprim17ROCPRIM_400000_NS6detail17trampoline_kernelINS0_14default_configENS1_20scan_config_selectorIjEEZZNS1_9scan_implILNS1_25lookback_scan_determinismE0ELb0ELb0ES3_N6thrust23THRUST_200600_302600_NS6detail15normal_iteratorINS9_10device_ptrIjEEEENS9_16discard_iteratorINS9_11use_defaultEEEj11max_functorIjEjEEDaPvRmT3_T4_T5_mT6_P12ihipStream_tbENKUlT_T0_E_clISt17integral_constantIbLb1EESW_IbLb0EEEEDaSS_ST_EUlSS_E_NS1_11comp_targetILNS1_3genE10ELNS1_11target_archE1201ELNS1_3gpuE5ELNS1_3repE0EEENS1_30default_config_static_selectorELNS0_4arch9wavefront6targetE1EEEvT1_,comdat
.Lfunc_end3463:
	.size	_ZN7rocprim17ROCPRIM_400000_NS6detail17trampoline_kernelINS0_14default_configENS1_20scan_config_selectorIjEEZZNS1_9scan_implILNS1_25lookback_scan_determinismE0ELb0ELb0ES3_N6thrust23THRUST_200600_302600_NS6detail15normal_iteratorINS9_10device_ptrIjEEEENS9_16discard_iteratorINS9_11use_defaultEEEj11max_functorIjEjEEDaPvRmT3_T4_T5_mT6_P12ihipStream_tbENKUlT_T0_E_clISt17integral_constantIbLb1EESW_IbLb0EEEEDaSS_ST_EUlSS_E_NS1_11comp_targetILNS1_3genE10ELNS1_11target_archE1201ELNS1_3gpuE5ELNS1_3repE0EEENS1_30default_config_static_selectorELNS0_4arch9wavefront6targetE1EEEvT1_, .Lfunc_end3463-_ZN7rocprim17ROCPRIM_400000_NS6detail17trampoline_kernelINS0_14default_configENS1_20scan_config_selectorIjEEZZNS1_9scan_implILNS1_25lookback_scan_determinismE0ELb0ELb0ES3_N6thrust23THRUST_200600_302600_NS6detail15normal_iteratorINS9_10device_ptrIjEEEENS9_16discard_iteratorINS9_11use_defaultEEEj11max_functorIjEjEEDaPvRmT3_T4_T5_mT6_P12ihipStream_tbENKUlT_T0_E_clISt17integral_constantIbLb1EESW_IbLb0EEEEDaSS_ST_EUlSS_E_NS1_11comp_targetILNS1_3genE10ELNS1_11target_archE1201ELNS1_3gpuE5ELNS1_3repE0EEENS1_30default_config_static_selectorELNS0_4arch9wavefront6targetE1EEEvT1_
                                        ; -- End function
	.section	.AMDGPU.csdata,"",@progbits
; Kernel info:
; codeLenInByte = 0
; NumSgprs: 4
; NumVgprs: 0
; NumAgprs: 0
; TotalNumVgprs: 0
; ScratchSize: 0
; MemoryBound: 0
; FloatMode: 240
; IeeeMode: 1
; LDSByteSize: 0 bytes/workgroup (compile time only)
; SGPRBlocks: 0
; VGPRBlocks: 0
; NumSGPRsForWavesPerEU: 4
; NumVGPRsForWavesPerEU: 1
; AccumOffset: 4
; Occupancy: 8
; WaveLimiterHint : 0
; COMPUTE_PGM_RSRC2:SCRATCH_EN: 0
; COMPUTE_PGM_RSRC2:USER_SGPR: 6
; COMPUTE_PGM_RSRC2:TRAP_HANDLER: 0
; COMPUTE_PGM_RSRC2:TGID_X_EN: 1
; COMPUTE_PGM_RSRC2:TGID_Y_EN: 0
; COMPUTE_PGM_RSRC2:TGID_Z_EN: 0
; COMPUTE_PGM_RSRC2:TIDIG_COMP_CNT: 0
; COMPUTE_PGM_RSRC3_GFX90A:ACCUM_OFFSET: 0
; COMPUTE_PGM_RSRC3_GFX90A:TG_SPLIT: 0
	.section	.text._ZN7rocprim17ROCPRIM_400000_NS6detail17trampoline_kernelINS0_14default_configENS1_20scan_config_selectorIjEEZZNS1_9scan_implILNS1_25lookback_scan_determinismE0ELb0ELb0ES3_N6thrust23THRUST_200600_302600_NS6detail15normal_iteratorINS9_10device_ptrIjEEEENS9_16discard_iteratorINS9_11use_defaultEEEj11max_functorIjEjEEDaPvRmT3_T4_T5_mT6_P12ihipStream_tbENKUlT_T0_E_clISt17integral_constantIbLb1EESW_IbLb0EEEEDaSS_ST_EUlSS_E_NS1_11comp_targetILNS1_3genE10ELNS1_11target_archE1200ELNS1_3gpuE4ELNS1_3repE0EEENS1_30default_config_static_selectorELNS0_4arch9wavefront6targetE1EEEvT1_,"axG",@progbits,_ZN7rocprim17ROCPRIM_400000_NS6detail17trampoline_kernelINS0_14default_configENS1_20scan_config_selectorIjEEZZNS1_9scan_implILNS1_25lookback_scan_determinismE0ELb0ELb0ES3_N6thrust23THRUST_200600_302600_NS6detail15normal_iteratorINS9_10device_ptrIjEEEENS9_16discard_iteratorINS9_11use_defaultEEEj11max_functorIjEjEEDaPvRmT3_T4_T5_mT6_P12ihipStream_tbENKUlT_T0_E_clISt17integral_constantIbLb1EESW_IbLb0EEEEDaSS_ST_EUlSS_E_NS1_11comp_targetILNS1_3genE10ELNS1_11target_archE1200ELNS1_3gpuE4ELNS1_3repE0EEENS1_30default_config_static_selectorELNS0_4arch9wavefront6targetE1EEEvT1_,comdat
	.protected	_ZN7rocprim17ROCPRIM_400000_NS6detail17trampoline_kernelINS0_14default_configENS1_20scan_config_selectorIjEEZZNS1_9scan_implILNS1_25lookback_scan_determinismE0ELb0ELb0ES3_N6thrust23THRUST_200600_302600_NS6detail15normal_iteratorINS9_10device_ptrIjEEEENS9_16discard_iteratorINS9_11use_defaultEEEj11max_functorIjEjEEDaPvRmT3_T4_T5_mT6_P12ihipStream_tbENKUlT_T0_E_clISt17integral_constantIbLb1EESW_IbLb0EEEEDaSS_ST_EUlSS_E_NS1_11comp_targetILNS1_3genE10ELNS1_11target_archE1200ELNS1_3gpuE4ELNS1_3repE0EEENS1_30default_config_static_selectorELNS0_4arch9wavefront6targetE1EEEvT1_ ; -- Begin function _ZN7rocprim17ROCPRIM_400000_NS6detail17trampoline_kernelINS0_14default_configENS1_20scan_config_selectorIjEEZZNS1_9scan_implILNS1_25lookback_scan_determinismE0ELb0ELb0ES3_N6thrust23THRUST_200600_302600_NS6detail15normal_iteratorINS9_10device_ptrIjEEEENS9_16discard_iteratorINS9_11use_defaultEEEj11max_functorIjEjEEDaPvRmT3_T4_T5_mT6_P12ihipStream_tbENKUlT_T0_E_clISt17integral_constantIbLb1EESW_IbLb0EEEEDaSS_ST_EUlSS_E_NS1_11comp_targetILNS1_3genE10ELNS1_11target_archE1200ELNS1_3gpuE4ELNS1_3repE0EEENS1_30default_config_static_selectorELNS0_4arch9wavefront6targetE1EEEvT1_
	.globl	_ZN7rocprim17ROCPRIM_400000_NS6detail17trampoline_kernelINS0_14default_configENS1_20scan_config_selectorIjEEZZNS1_9scan_implILNS1_25lookback_scan_determinismE0ELb0ELb0ES3_N6thrust23THRUST_200600_302600_NS6detail15normal_iteratorINS9_10device_ptrIjEEEENS9_16discard_iteratorINS9_11use_defaultEEEj11max_functorIjEjEEDaPvRmT3_T4_T5_mT6_P12ihipStream_tbENKUlT_T0_E_clISt17integral_constantIbLb1EESW_IbLb0EEEEDaSS_ST_EUlSS_E_NS1_11comp_targetILNS1_3genE10ELNS1_11target_archE1200ELNS1_3gpuE4ELNS1_3repE0EEENS1_30default_config_static_selectorELNS0_4arch9wavefront6targetE1EEEvT1_
	.p2align	8
	.type	_ZN7rocprim17ROCPRIM_400000_NS6detail17trampoline_kernelINS0_14default_configENS1_20scan_config_selectorIjEEZZNS1_9scan_implILNS1_25lookback_scan_determinismE0ELb0ELb0ES3_N6thrust23THRUST_200600_302600_NS6detail15normal_iteratorINS9_10device_ptrIjEEEENS9_16discard_iteratorINS9_11use_defaultEEEj11max_functorIjEjEEDaPvRmT3_T4_T5_mT6_P12ihipStream_tbENKUlT_T0_E_clISt17integral_constantIbLb1EESW_IbLb0EEEEDaSS_ST_EUlSS_E_NS1_11comp_targetILNS1_3genE10ELNS1_11target_archE1200ELNS1_3gpuE4ELNS1_3repE0EEENS1_30default_config_static_selectorELNS0_4arch9wavefront6targetE1EEEvT1_,@function
_ZN7rocprim17ROCPRIM_400000_NS6detail17trampoline_kernelINS0_14default_configENS1_20scan_config_selectorIjEEZZNS1_9scan_implILNS1_25lookback_scan_determinismE0ELb0ELb0ES3_N6thrust23THRUST_200600_302600_NS6detail15normal_iteratorINS9_10device_ptrIjEEEENS9_16discard_iteratorINS9_11use_defaultEEEj11max_functorIjEjEEDaPvRmT3_T4_T5_mT6_P12ihipStream_tbENKUlT_T0_E_clISt17integral_constantIbLb1EESW_IbLb0EEEEDaSS_ST_EUlSS_E_NS1_11comp_targetILNS1_3genE10ELNS1_11target_archE1200ELNS1_3gpuE4ELNS1_3repE0EEENS1_30default_config_static_selectorELNS0_4arch9wavefront6targetE1EEEvT1_: ; @_ZN7rocprim17ROCPRIM_400000_NS6detail17trampoline_kernelINS0_14default_configENS1_20scan_config_selectorIjEEZZNS1_9scan_implILNS1_25lookback_scan_determinismE0ELb0ELb0ES3_N6thrust23THRUST_200600_302600_NS6detail15normal_iteratorINS9_10device_ptrIjEEEENS9_16discard_iteratorINS9_11use_defaultEEEj11max_functorIjEjEEDaPvRmT3_T4_T5_mT6_P12ihipStream_tbENKUlT_T0_E_clISt17integral_constantIbLb1EESW_IbLb0EEEEDaSS_ST_EUlSS_E_NS1_11comp_targetILNS1_3genE10ELNS1_11target_archE1200ELNS1_3gpuE4ELNS1_3repE0EEENS1_30default_config_static_selectorELNS0_4arch9wavefront6targetE1EEEvT1_
; %bb.0:
	.section	.rodata,"a",@progbits
	.p2align	6, 0x0
	.amdhsa_kernel _ZN7rocprim17ROCPRIM_400000_NS6detail17trampoline_kernelINS0_14default_configENS1_20scan_config_selectorIjEEZZNS1_9scan_implILNS1_25lookback_scan_determinismE0ELb0ELb0ES3_N6thrust23THRUST_200600_302600_NS6detail15normal_iteratorINS9_10device_ptrIjEEEENS9_16discard_iteratorINS9_11use_defaultEEEj11max_functorIjEjEEDaPvRmT3_T4_T5_mT6_P12ihipStream_tbENKUlT_T0_E_clISt17integral_constantIbLb1EESW_IbLb0EEEEDaSS_ST_EUlSS_E_NS1_11comp_targetILNS1_3genE10ELNS1_11target_archE1200ELNS1_3gpuE4ELNS1_3repE0EEENS1_30default_config_static_selectorELNS0_4arch9wavefront6targetE1EEEvT1_
		.amdhsa_group_segment_fixed_size 0
		.amdhsa_private_segment_fixed_size 0
		.amdhsa_kernarg_size 104
		.amdhsa_user_sgpr_count 6
		.amdhsa_user_sgpr_private_segment_buffer 1
		.amdhsa_user_sgpr_dispatch_ptr 0
		.amdhsa_user_sgpr_queue_ptr 0
		.amdhsa_user_sgpr_kernarg_segment_ptr 1
		.amdhsa_user_sgpr_dispatch_id 0
		.amdhsa_user_sgpr_flat_scratch_init 0
		.amdhsa_user_sgpr_kernarg_preload_length 0
		.amdhsa_user_sgpr_kernarg_preload_offset 0
		.amdhsa_user_sgpr_private_segment_size 0
		.amdhsa_uses_dynamic_stack 0
		.amdhsa_system_sgpr_private_segment_wavefront_offset 0
		.amdhsa_system_sgpr_workgroup_id_x 1
		.amdhsa_system_sgpr_workgroup_id_y 0
		.amdhsa_system_sgpr_workgroup_id_z 0
		.amdhsa_system_sgpr_workgroup_info 0
		.amdhsa_system_vgpr_workitem_id 0
		.amdhsa_next_free_vgpr 1
		.amdhsa_next_free_sgpr 0
		.amdhsa_accum_offset 4
		.amdhsa_reserve_vcc 0
		.amdhsa_reserve_flat_scratch 0
		.amdhsa_float_round_mode_32 0
		.amdhsa_float_round_mode_16_64 0
		.amdhsa_float_denorm_mode_32 3
		.amdhsa_float_denorm_mode_16_64 3
		.amdhsa_dx10_clamp 1
		.amdhsa_ieee_mode 1
		.amdhsa_fp16_overflow 0
		.amdhsa_tg_split 0
		.amdhsa_exception_fp_ieee_invalid_op 0
		.amdhsa_exception_fp_denorm_src 0
		.amdhsa_exception_fp_ieee_div_zero 0
		.amdhsa_exception_fp_ieee_overflow 0
		.amdhsa_exception_fp_ieee_underflow 0
		.amdhsa_exception_fp_ieee_inexact 0
		.amdhsa_exception_int_div_zero 0
	.end_amdhsa_kernel
	.section	.text._ZN7rocprim17ROCPRIM_400000_NS6detail17trampoline_kernelINS0_14default_configENS1_20scan_config_selectorIjEEZZNS1_9scan_implILNS1_25lookback_scan_determinismE0ELb0ELb0ES3_N6thrust23THRUST_200600_302600_NS6detail15normal_iteratorINS9_10device_ptrIjEEEENS9_16discard_iteratorINS9_11use_defaultEEEj11max_functorIjEjEEDaPvRmT3_T4_T5_mT6_P12ihipStream_tbENKUlT_T0_E_clISt17integral_constantIbLb1EESW_IbLb0EEEEDaSS_ST_EUlSS_E_NS1_11comp_targetILNS1_3genE10ELNS1_11target_archE1200ELNS1_3gpuE4ELNS1_3repE0EEENS1_30default_config_static_selectorELNS0_4arch9wavefront6targetE1EEEvT1_,"axG",@progbits,_ZN7rocprim17ROCPRIM_400000_NS6detail17trampoline_kernelINS0_14default_configENS1_20scan_config_selectorIjEEZZNS1_9scan_implILNS1_25lookback_scan_determinismE0ELb0ELb0ES3_N6thrust23THRUST_200600_302600_NS6detail15normal_iteratorINS9_10device_ptrIjEEEENS9_16discard_iteratorINS9_11use_defaultEEEj11max_functorIjEjEEDaPvRmT3_T4_T5_mT6_P12ihipStream_tbENKUlT_T0_E_clISt17integral_constantIbLb1EESW_IbLb0EEEEDaSS_ST_EUlSS_E_NS1_11comp_targetILNS1_3genE10ELNS1_11target_archE1200ELNS1_3gpuE4ELNS1_3repE0EEENS1_30default_config_static_selectorELNS0_4arch9wavefront6targetE1EEEvT1_,comdat
.Lfunc_end3464:
	.size	_ZN7rocprim17ROCPRIM_400000_NS6detail17trampoline_kernelINS0_14default_configENS1_20scan_config_selectorIjEEZZNS1_9scan_implILNS1_25lookback_scan_determinismE0ELb0ELb0ES3_N6thrust23THRUST_200600_302600_NS6detail15normal_iteratorINS9_10device_ptrIjEEEENS9_16discard_iteratorINS9_11use_defaultEEEj11max_functorIjEjEEDaPvRmT3_T4_T5_mT6_P12ihipStream_tbENKUlT_T0_E_clISt17integral_constantIbLb1EESW_IbLb0EEEEDaSS_ST_EUlSS_E_NS1_11comp_targetILNS1_3genE10ELNS1_11target_archE1200ELNS1_3gpuE4ELNS1_3repE0EEENS1_30default_config_static_selectorELNS0_4arch9wavefront6targetE1EEEvT1_, .Lfunc_end3464-_ZN7rocprim17ROCPRIM_400000_NS6detail17trampoline_kernelINS0_14default_configENS1_20scan_config_selectorIjEEZZNS1_9scan_implILNS1_25lookback_scan_determinismE0ELb0ELb0ES3_N6thrust23THRUST_200600_302600_NS6detail15normal_iteratorINS9_10device_ptrIjEEEENS9_16discard_iteratorINS9_11use_defaultEEEj11max_functorIjEjEEDaPvRmT3_T4_T5_mT6_P12ihipStream_tbENKUlT_T0_E_clISt17integral_constantIbLb1EESW_IbLb0EEEEDaSS_ST_EUlSS_E_NS1_11comp_targetILNS1_3genE10ELNS1_11target_archE1200ELNS1_3gpuE4ELNS1_3repE0EEENS1_30default_config_static_selectorELNS0_4arch9wavefront6targetE1EEEvT1_
                                        ; -- End function
	.section	.AMDGPU.csdata,"",@progbits
; Kernel info:
; codeLenInByte = 0
; NumSgprs: 4
; NumVgprs: 0
; NumAgprs: 0
; TotalNumVgprs: 0
; ScratchSize: 0
; MemoryBound: 0
; FloatMode: 240
; IeeeMode: 1
; LDSByteSize: 0 bytes/workgroup (compile time only)
; SGPRBlocks: 0
; VGPRBlocks: 0
; NumSGPRsForWavesPerEU: 4
; NumVGPRsForWavesPerEU: 1
; AccumOffset: 4
; Occupancy: 8
; WaveLimiterHint : 0
; COMPUTE_PGM_RSRC2:SCRATCH_EN: 0
; COMPUTE_PGM_RSRC2:USER_SGPR: 6
; COMPUTE_PGM_RSRC2:TRAP_HANDLER: 0
; COMPUTE_PGM_RSRC2:TGID_X_EN: 1
; COMPUTE_PGM_RSRC2:TGID_Y_EN: 0
; COMPUTE_PGM_RSRC2:TGID_Z_EN: 0
; COMPUTE_PGM_RSRC2:TIDIG_COMP_CNT: 0
; COMPUTE_PGM_RSRC3_GFX90A:ACCUM_OFFSET: 0
; COMPUTE_PGM_RSRC3_GFX90A:TG_SPLIT: 0
	.section	.text._ZN7rocprim17ROCPRIM_400000_NS6detail17trampoline_kernelINS0_14default_configENS1_20scan_config_selectorIjEEZZNS1_9scan_implILNS1_25lookback_scan_determinismE0ELb0ELb0ES3_N6thrust23THRUST_200600_302600_NS6detail15normal_iteratorINS9_10device_ptrIjEEEENS9_16discard_iteratorINS9_11use_defaultEEEj11max_functorIjEjEEDaPvRmT3_T4_T5_mT6_P12ihipStream_tbENKUlT_T0_E_clISt17integral_constantIbLb1EESW_IbLb0EEEEDaSS_ST_EUlSS_E_NS1_11comp_targetILNS1_3genE9ELNS1_11target_archE1100ELNS1_3gpuE3ELNS1_3repE0EEENS1_30default_config_static_selectorELNS0_4arch9wavefront6targetE1EEEvT1_,"axG",@progbits,_ZN7rocprim17ROCPRIM_400000_NS6detail17trampoline_kernelINS0_14default_configENS1_20scan_config_selectorIjEEZZNS1_9scan_implILNS1_25lookback_scan_determinismE0ELb0ELb0ES3_N6thrust23THRUST_200600_302600_NS6detail15normal_iteratorINS9_10device_ptrIjEEEENS9_16discard_iteratorINS9_11use_defaultEEEj11max_functorIjEjEEDaPvRmT3_T4_T5_mT6_P12ihipStream_tbENKUlT_T0_E_clISt17integral_constantIbLb1EESW_IbLb0EEEEDaSS_ST_EUlSS_E_NS1_11comp_targetILNS1_3genE9ELNS1_11target_archE1100ELNS1_3gpuE3ELNS1_3repE0EEENS1_30default_config_static_selectorELNS0_4arch9wavefront6targetE1EEEvT1_,comdat
	.protected	_ZN7rocprim17ROCPRIM_400000_NS6detail17trampoline_kernelINS0_14default_configENS1_20scan_config_selectorIjEEZZNS1_9scan_implILNS1_25lookback_scan_determinismE0ELb0ELb0ES3_N6thrust23THRUST_200600_302600_NS6detail15normal_iteratorINS9_10device_ptrIjEEEENS9_16discard_iteratorINS9_11use_defaultEEEj11max_functorIjEjEEDaPvRmT3_T4_T5_mT6_P12ihipStream_tbENKUlT_T0_E_clISt17integral_constantIbLb1EESW_IbLb0EEEEDaSS_ST_EUlSS_E_NS1_11comp_targetILNS1_3genE9ELNS1_11target_archE1100ELNS1_3gpuE3ELNS1_3repE0EEENS1_30default_config_static_selectorELNS0_4arch9wavefront6targetE1EEEvT1_ ; -- Begin function _ZN7rocprim17ROCPRIM_400000_NS6detail17trampoline_kernelINS0_14default_configENS1_20scan_config_selectorIjEEZZNS1_9scan_implILNS1_25lookback_scan_determinismE0ELb0ELb0ES3_N6thrust23THRUST_200600_302600_NS6detail15normal_iteratorINS9_10device_ptrIjEEEENS9_16discard_iteratorINS9_11use_defaultEEEj11max_functorIjEjEEDaPvRmT3_T4_T5_mT6_P12ihipStream_tbENKUlT_T0_E_clISt17integral_constantIbLb1EESW_IbLb0EEEEDaSS_ST_EUlSS_E_NS1_11comp_targetILNS1_3genE9ELNS1_11target_archE1100ELNS1_3gpuE3ELNS1_3repE0EEENS1_30default_config_static_selectorELNS0_4arch9wavefront6targetE1EEEvT1_
	.globl	_ZN7rocprim17ROCPRIM_400000_NS6detail17trampoline_kernelINS0_14default_configENS1_20scan_config_selectorIjEEZZNS1_9scan_implILNS1_25lookback_scan_determinismE0ELb0ELb0ES3_N6thrust23THRUST_200600_302600_NS6detail15normal_iteratorINS9_10device_ptrIjEEEENS9_16discard_iteratorINS9_11use_defaultEEEj11max_functorIjEjEEDaPvRmT3_T4_T5_mT6_P12ihipStream_tbENKUlT_T0_E_clISt17integral_constantIbLb1EESW_IbLb0EEEEDaSS_ST_EUlSS_E_NS1_11comp_targetILNS1_3genE9ELNS1_11target_archE1100ELNS1_3gpuE3ELNS1_3repE0EEENS1_30default_config_static_selectorELNS0_4arch9wavefront6targetE1EEEvT1_
	.p2align	8
	.type	_ZN7rocprim17ROCPRIM_400000_NS6detail17trampoline_kernelINS0_14default_configENS1_20scan_config_selectorIjEEZZNS1_9scan_implILNS1_25lookback_scan_determinismE0ELb0ELb0ES3_N6thrust23THRUST_200600_302600_NS6detail15normal_iteratorINS9_10device_ptrIjEEEENS9_16discard_iteratorINS9_11use_defaultEEEj11max_functorIjEjEEDaPvRmT3_T4_T5_mT6_P12ihipStream_tbENKUlT_T0_E_clISt17integral_constantIbLb1EESW_IbLb0EEEEDaSS_ST_EUlSS_E_NS1_11comp_targetILNS1_3genE9ELNS1_11target_archE1100ELNS1_3gpuE3ELNS1_3repE0EEENS1_30default_config_static_selectorELNS0_4arch9wavefront6targetE1EEEvT1_,@function
_ZN7rocprim17ROCPRIM_400000_NS6detail17trampoline_kernelINS0_14default_configENS1_20scan_config_selectorIjEEZZNS1_9scan_implILNS1_25lookback_scan_determinismE0ELb0ELb0ES3_N6thrust23THRUST_200600_302600_NS6detail15normal_iteratorINS9_10device_ptrIjEEEENS9_16discard_iteratorINS9_11use_defaultEEEj11max_functorIjEjEEDaPvRmT3_T4_T5_mT6_P12ihipStream_tbENKUlT_T0_E_clISt17integral_constantIbLb1EESW_IbLb0EEEEDaSS_ST_EUlSS_E_NS1_11comp_targetILNS1_3genE9ELNS1_11target_archE1100ELNS1_3gpuE3ELNS1_3repE0EEENS1_30default_config_static_selectorELNS0_4arch9wavefront6targetE1EEEvT1_: ; @_ZN7rocprim17ROCPRIM_400000_NS6detail17trampoline_kernelINS0_14default_configENS1_20scan_config_selectorIjEEZZNS1_9scan_implILNS1_25lookback_scan_determinismE0ELb0ELb0ES3_N6thrust23THRUST_200600_302600_NS6detail15normal_iteratorINS9_10device_ptrIjEEEENS9_16discard_iteratorINS9_11use_defaultEEEj11max_functorIjEjEEDaPvRmT3_T4_T5_mT6_P12ihipStream_tbENKUlT_T0_E_clISt17integral_constantIbLb1EESW_IbLb0EEEEDaSS_ST_EUlSS_E_NS1_11comp_targetILNS1_3genE9ELNS1_11target_archE1100ELNS1_3gpuE3ELNS1_3repE0EEENS1_30default_config_static_selectorELNS0_4arch9wavefront6targetE1EEEvT1_
; %bb.0:
	.section	.rodata,"a",@progbits
	.p2align	6, 0x0
	.amdhsa_kernel _ZN7rocprim17ROCPRIM_400000_NS6detail17trampoline_kernelINS0_14default_configENS1_20scan_config_selectorIjEEZZNS1_9scan_implILNS1_25lookback_scan_determinismE0ELb0ELb0ES3_N6thrust23THRUST_200600_302600_NS6detail15normal_iteratorINS9_10device_ptrIjEEEENS9_16discard_iteratorINS9_11use_defaultEEEj11max_functorIjEjEEDaPvRmT3_T4_T5_mT6_P12ihipStream_tbENKUlT_T0_E_clISt17integral_constantIbLb1EESW_IbLb0EEEEDaSS_ST_EUlSS_E_NS1_11comp_targetILNS1_3genE9ELNS1_11target_archE1100ELNS1_3gpuE3ELNS1_3repE0EEENS1_30default_config_static_selectorELNS0_4arch9wavefront6targetE1EEEvT1_
		.amdhsa_group_segment_fixed_size 0
		.amdhsa_private_segment_fixed_size 0
		.amdhsa_kernarg_size 104
		.amdhsa_user_sgpr_count 6
		.amdhsa_user_sgpr_private_segment_buffer 1
		.amdhsa_user_sgpr_dispatch_ptr 0
		.amdhsa_user_sgpr_queue_ptr 0
		.amdhsa_user_sgpr_kernarg_segment_ptr 1
		.amdhsa_user_sgpr_dispatch_id 0
		.amdhsa_user_sgpr_flat_scratch_init 0
		.amdhsa_user_sgpr_kernarg_preload_length 0
		.amdhsa_user_sgpr_kernarg_preload_offset 0
		.amdhsa_user_sgpr_private_segment_size 0
		.amdhsa_uses_dynamic_stack 0
		.amdhsa_system_sgpr_private_segment_wavefront_offset 0
		.amdhsa_system_sgpr_workgroup_id_x 1
		.amdhsa_system_sgpr_workgroup_id_y 0
		.amdhsa_system_sgpr_workgroup_id_z 0
		.amdhsa_system_sgpr_workgroup_info 0
		.amdhsa_system_vgpr_workitem_id 0
		.amdhsa_next_free_vgpr 1
		.amdhsa_next_free_sgpr 0
		.amdhsa_accum_offset 4
		.amdhsa_reserve_vcc 0
		.amdhsa_reserve_flat_scratch 0
		.amdhsa_float_round_mode_32 0
		.amdhsa_float_round_mode_16_64 0
		.amdhsa_float_denorm_mode_32 3
		.amdhsa_float_denorm_mode_16_64 3
		.amdhsa_dx10_clamp 1
		.amdhsa_ieee_mode 1
		.amdhsa_fp16_overflow 0
		.amdhsa_tg_split 0
		.amdhsa_exception_fp_ieee_invalid_op 0
		.amdhsa_exception_fp_denorm_src 0
		.amdhsa_exception_fp_ieee_div_zero 0
		.amdhsa_exception_fp_ieee_overflow 0
		.amdhsa_exception_fp_ieee_underflow 0
		.amdhsa_exception_fp_ieee_inexact 0
		.amdhsa_exception_int_div_zero 0
	.end_amdhsa_kernel
	.section	.text._ZN7rocprim17ROCPRIM_400000_NS6detail17trampoline_kernelINS0_14default_configENS1_20scan_config_selectorIjEEZZNS1_9scan_implILNS1_25lookback_scan_determinismE0ELb0ELb0ES3_N6thrust23THRUST_200600_302600_NS6detail15normal_iteratorINS9_10device_ptrIjEEEENS9_16discard_iteratorINS9_11use_defaultEEEj11max_functorIjEjEEDaPvRmT3_T4_T5_mT6_P12ihipStream_tbENKUlT_T0_E_clISt17integral_constantIbLb1EESW_IbLb0EEEEDaSS_ST_EUlSS_E_NS1_11comp_targetILNS1_3genE9ELNS1_11target_archE1100ELNS1_3gpuE3ELNS1_3repE0EEENS1_30default_config_static_selectorELNS0_4arch9wavefront6targetE1EEEvT1_,"axG",@progbits,_ZN7rocprim17ROCPRIM_400000_NS6detail17trampoline_kernelINS0_14default_configENS1_20scan_config_selectorIjEEZZNS1_9scan_implILNS1_25lookback_scan_determinismE0ELb0ELb0ES3_N6thrust23THRUST_200600_302600_NS6detail15normal_iteratorINS9_10device_ptrIjEEEENS9_16discard_iteratorINS9_11use_defaultEEEj11max_functorIjEjEEDaPvRmT3_T4_T5_mT6_P12ihipStream_tbENKUlT_T0_E_clISt17integral_constantIbLb1EESW_IbLb0EEEEDaSS_ST_EUlSS_E_NS1_11comp_targetILNS1_3genE9ELNS1_11target_archE1100ELNS1_3gpuE3ELNS1_3repE0EEENS1_30default_config_static_selectorELNS0_4arch9wavefront6targetE1EEEvT1_,comdat
.Lfunc_end3465:
	.size	_ZN7rocprim17ROCPRIM_400000_NS6detail17trampoline_kernelINS0_14default_configENS1_20scan_config_selectorIjEEZZNS1_9scan_implILNS1_25lookback_scan_determinismE0ELb0ELb0ES3_N6thrust23THRUST_200600_302600_NS6detail15normal_iteratorINS9_10device_ptrIjEEEENS9_16discard_iteratorINS9_11use_defaultEEEj11max_functorIjEjEEDaPvRmT3_T4_T5_mT6_P12ihipStream_tbENKUlT_T0_E_clISt17integral_constantIbLb1EESW_IbLb0EEEEDaSS_ST_EUlSS_E_NS1_11comp_targetILNS1_3genE9ELNS1_11target_archE1100ELNS1_3gpuE3ELNS1_3repE0EEENS1_30default_config_static_selectorELNS0_4arch9wavefront6targetE1EEEvT1_, .Lfunc_end3465-_ZN7rocprim17ROCPRIM_400000_NS6detail17trampoline_kernelINS0_14default_configENS1_20scan_config_selectorIjEEZZNS1_9scan_implILNS1_25lookback_scan_determinismE0ELb0ELb0ES3_N6thrust23THRUST_200600_302600_NS6detail15normal_iteratorINS9_10device_ptrIjEEEENS9_16discard_iteratorINS9_11use_defaultEEEj11max_functorIjEjEEDaPvRmT3_T4_T5_mT6_P12ihipStream_tbENKUlT_T0_E_clISt17integral_constantIbLb1EESW_IbLb0EEEEDaSS_ST_EUlSS_E_NS1_11comp_targetILNS1_3genE9ELNS1_11target_archE1100ELNS1_3gpuE3ELNS1_3repE0EEENS1_30default_config_static_selectorELNS0_4arch9wavefront6targetE1EEEvT1_
                                        ; -- End function
	.section	.AMDGPU.csdata,"",@progbits
; Kernel info:
; codeLenInByte = 0
; NumSgprs: 4
; NumVgprs: 0
; NumAgprs: 0
; TotalNumVgprs: 0
; ScratchSize: 0
; MemoryBound: 0
; FloatMode: 240
; IeeeMode: 1
; LDSByteSize: 0 bytes/workgroup (compile time only)
; SGPRBlocks: 0
; VGPRBlocks: 0
; NumSGPRsForWavesPerEU: 4
; NumVGPRsForWavesPerEU: 1
; AccumOffset: 4
; Occupancy: 8
; WaveLimiterHint : 0
; COMPUTE_PGM_RSRC2:SCRATCH_EN: 0
; COMPUTE_PGM_RSRC2:USER_SGPR: 6
; COMPUTE_PGM_RSRC2:TRAP_HANDLER: 0
; COMPUTE_PGM_RSRC2:TGID_X_EN: 1
; COMPUTE_PGM_RSRC2:TGID_Y_EN: 0
; COMPUTE_PGM_RSRC2:TGID_Z_EN: 0
; COMPUTE_PGM_RSRC2:TIDIG_COMP_CNT: 0
; COMPUTE_PGM_RSRC3_GFX90A:ACCUM_OFFSET: 0
; COMPUTE_PGM_RSRC3_GFX90A:TG_SPLIT: 0
	.section	.text._ZN7rocprim17ROCPRIM_400000_NS6detail17trampoline_kernelINS0_14default_configENS1_20scan_config_selectorIjEEZZNS1_9scan_implILNS1_25lookback_scan_determinismE0ELb0ELb0ES3_N6thrust23THRUST_200600_302600_NS6detail15normal_iteratorINS9_10device_ptrIjEEEENS9_16discard_iteratorINS9_11use_defaultEEEj11max_functorIjEjEEDaPvRmT3_T4_T5_mT6_P12ihipStream_tbENKUlT_T0_E_clISt17integral_constantIbLb1EESW_IbLb0EEEEDaSS_ST_EUlSS_E_NS1_11comp_targetILNS1_3genE8ELNS1_11target_archE1030ELNS1_3gpuE2ELNS1_3repE0EEENS1_30default_config_static_selectorELNS0_4arch9wavefront6targetE1EEEvT1_,"axG",@progbits,_ZN7rocprim17ROCPRIM_400000_NS6detail17trampoline_kernelINS0_14default_configENS1_20scan_config_selectorIjEEZZNS1_9scan_implILNS1_25lookback_scan_determinismE0ELb0ELb0ES3_N6thrust23THRUST_200600_302600_NS6detail15normal_iteratorINS9_10device_ptrIjEEEENS9_16discard_iteratorINS9_11use_defaultEEEj11max_functorIjEjEEDaPvRmT3_T4_T5_mT6_P12ihipStream_tbENKUlT_T0_E_clISt17integral_constantIbLb1EESW_IbLb0EEEEDaSS_ST_EUlSS_E_NS1_11comp_targetILNS1_3genE8ELNS1_11target_archE1030ELNS1_3gpuE2ELNS1_3repE0EEENS1_30default_config_static_selectorELNS0_4arch9wavefront6targetE1EEEvT1_,comdat
	.protected	_ZN7rocprim17ROCPRIM_400000_NS6detail17trampoline_kernelINS0_14default_configENS1_20scan_config_selectorIjEEZZNS1_9scan_implILNS1_25lookback_scan_determinismE0ELb0ELb0ES3_N6thrust23THRUST_200600_302600_NS6detail15normal_iteratorINS9_10device_ptrIjEEEENS9_16discard_iteratorINS9_11use_defaultEEEj11max_functorIjEjEEDaPvRmT3_T4_T5_mT6_P12ihipStream_tbENKUlT_T0_E_clISt17integral_constantIbLb1EESW_IbLb0EEEEDaSS_ST_EUlSS_E_NS1_11comp_targetILNS1_3genE8ELNS1_11target_archE1030ELNS1_3gpuE2ELNS1_3repE0EEENS1_30default_config_static_selectorELNS0_4arch9wavefront6targetE1EEEvT1_ ; -- Begin function _ZN7rocprim17ROCPRIM_400000_NS6detail17trampoline_kernelINS0_14default_configENS1_20scan_config_selectorIjEEZZNS1_9scan_implILNS1_25lookback_scan_determinismE0ELb0ELb0ES3_N6thrust23THRUST_200600_302600_NS6detail15normal_iteratorINS9_10device_ptrIjEEEENS9_16discard_iteratorINS9_11use_defaultEEEj11max_functorIjEjEEDaPvRmT3_T4_T5_mT6_P12ihipStream_tbENKUlT_T0_E_clISt17integral_constantIbLb1EESW_IbLb0EEEEDaSS_ST_EUlSS_E_NS1_11comp_targetILNS1_3genE8ELNS1_11target_archE1030ELNS1_3gpuE2ELNS1_3repE0EEENS1_30default_config_static_selectorELNS0_4arch9wavefront6targetE1EEEvT1_
	.globl	_ZN7rocprim17ROCPRIM_400000_NS6detail17trampoline_kernelINS0_14default_configENS1_20scan_config_selectorIjEEZZNS1_9scan_implILNS1_25lookback_scan_determinismE0ELb0ELb0ES3_N6thrust23THRUST_200600_302600_NS6detail15normal_iteratorINS9_10device_ptrIjEEEENS9_16discard_iteratorINS9_11use_defaultEEEj11max_functorIjEjEEDaPvRmT3_T4_T5_mT6_P12ihipStream_tbENKUlT_T0_E_clISt17integral_constantIbLb1EESW_IbLb0EEEEDaSS_ST_EUlSS_E_NS1_11comp_targetILNS1_3genE8ELNS1_11target_archE1030ELNS1_3gpuE2ELNS1_3repE0EEENS1_30default_config_static_selectorELNS0_4arch9wavefront6targetE1EEEvT1_
	.p2align	8
	.type	_ZN7rocprim17ROCPRIM_400000_NS6detail17trampoline_kernelINS0_14default_configENS1_20scan_config_selectorIjEEZZNS1_9scan_implILNS1_25lookback_scan_determinismE0ELb0ELb0ES3_N6thrust23THRUST_200600_302600_NS6detail15normal_iteratorINS9_10device_ptrIjEEEENS9_16discard_iteratorINS9_11use_defaultEEEj11max_functorIjEjEEDaPvRmT3_T4_T5_mT6_P12ihipStream_tbENKUlT_T0_E_clISt17integral_constantIbLb1EESW_IbLb0EEEEDaSS_ST_EUlSS_E_NS1_11comp_targetILNS1_3genE8ELNS1_11target_archE1030ELNS1_3gpuE2ELNS1_3repE0EEENS1_30default_config_static_selectorELNS0_4arch9wavefront6targetE1EEEvT1_,@function
_ZN7rocprim17ROCPRIM_400000_NS6detail17trampoline_kernelINS0_14default_configENS1_20scan_config_selectorIjEEZZNS1_9scan_implILNS1_25lookback_scan_determinismE0ELb0ELb0ES3_N6thrust23THRUST_200600_302600_NS6detail15normal_iteratorINS9_10device_ptrIjEEEENS9_16discard_iteratorINS9_11use_defaultEEEj11max_functorIjEjEEDaPvRmT3_T4_T5_mT6_P12ihipStream_tbENKUlT_T0_E_clISt17integral_constantIbLb1EESW_IbLb0EEEEDaSS_ST_EUlSS_E_NS1_11comp_targetILNS1_3genE8ELNS1_11target_archE1030ELNS1_3gpuE2ELNS1_3repE0EEENS1_30default_config_static_selectorELNS0_4arch9wavefront6targetE1EEEvT1_: ; @_ZN7rocprim17ROCPRIM_400000_NS6detail17trampoline_kernelINS0_14default_configENS1_20scan_config_selectorIjEEZZNS1_9scan_implILNS1_25lookback_scan_determinismE0ELb0ELb0ES3_N6thrust23THRUST_200600_302600_NS6detail15normal_iteratorINS9_10device_ptrIjEEEENS9_16discard_iteratorINS9_11use_defaultEEEj11max_functorIjEjEEDaPvRmT3_T4_T5_mT6_P12ihipStream_tbENKUlT_T0_E_clISt17integral_constantIbLb1EESW_IbLb0EEEEDaSS_ST_EUlSS_E_NS1_11comp_targetILNS1_3genE8ELNS1_11target_archE1030ELNS1_3gpuE2ELNS1_3repE0EEENS1_30default_config_static_selectorELNS0_4arch9wavefront6targetE1EEEvT1_
; %bb.0:
	.section	.rodata,"a",@progbits
	.p2align	6, 0x0
	.amdhsa_kernel _ZN7rocprim17ROCPRIM_400000_NS6detail17trampoline_kernelINS0_14default_configENS1_20scan_config_selectorIjEEZZNS1_9scan_implILNS1_25lookback_scan_determinismE0ELb0ELb0ES3_N6thrust23THRUST_200600_302600_NS6detail15normal_iteratorINS9_10device_ptrIjEEEENS9_16discard_iteratorINS9_11use_defaultEEEj11max_functorIjEjEEDaPvRmT3_T4_T5_mT6_P12ihipStream_tbENKUlT_T0_E_clISt17integral_constantIbLb1EESW_IbLb0EEEEDaSS_ST_EUlSS_E_NS1_11comp_targetILNS1_3genE8ELNS1_11target_archE1030ELNS1_3gpuE2ELNS1_3repE0EEENS1_30default_config_static_selectorELNS0_4arch9wavefront6targetE1EEEvT1_
		.amdhsa_group_segment_fixed_size 0
		.amdhsa_private_segment_fixed_size 0
		.amdhsa_kernarg_size 104
		.amdhsa_user_sgpr_count 6
		.amdhsa_user_sgpr_private_segment_buffer 1
		.amdhsa_user_sgpr_dispatch_ptr 0
		.amdhsa_user_sgpr_queue_ptr 0
		.amdhsa_user_sgpr_kernarg_segment_ptr 1
		.amdhsa_user_sgpr_dispatch_id 0
		.amdhsa_user_sgpr_flat_scratch_init 0
		.amdhsa_user_sgpr_kernarg_preload_length 0
		.amdhsa_user_sgpr_kernarg_preload_offset 0
		.amdhsa_user_sgpr_private_segment_size 0
		.amdhsa_uses_dynamic_stack 0
		.amdhsa_system_sgpr_private_segment_wavefront_offset 0
		.amdhsa_system_sgpr_workgroup_id_x 1
		.amdhsa_system_sgpr_workgroup_id_y 0
		.amdhsa_system_sgpr_workgroup_id_z 0
		.amdhsa_system_sgpr_workgroup_info 0
		.amdhsa_system_vgpr_workitem_id 0
		.amdhsa_next_free_vgpr 1
		.amdhsa_next_free_sgpr 0
		.amdhsa_accum_offset 4
		.amdhsa_reserve_vcc 0
		.amdhsa_reserve_flat_scratch 0
		.amdhsa_float_round_mode_32 0
		.amdhsa_float_round_mode_16_64 0
		.amdhsa_float_denorm_mode_32 3
		.amdhsa_float_denorm_mode_16_64 3
		.amdhsa_dx10_clamp 1
		.amdhsa_ieee_mode 1
		.amdhsa_fp16_overflow 0
		.amdhsa_tg_split 0
		.amdhsa_exception_fp_ieee_invalid_op 0
		.amdhsa_exception_fp_denorm_src 0
		.amdhsa_exception_fp_ieee_div_zero 0
		.amdhsa_exception_fp_ieee_overflow 0
		.amdhsa_exception_fp_ieee_underflow 0
		.amdhsa_exception_fp_ieee_inexact 0
		.amdhsa_exception_int_div_zero 0
	.end_amdhsa_kernel
	.section	.text._ZN7rocprim17ROCPRIM_400000_NS6detail17trampoline_kernelINS0_14default_configENS1_20scan_config_selectorIjEEZZNS1_9scan_implILNS1_25lookback_scan_determinismE0ELb0ELb0ES3_N6thrust23THRUST_200600_302600_NS6detail15normal_iteratorINS9_10device_ptrIjEEEENS9_16discard_iteratorINS9_11use_defaultEEEj11max_functorIjEjEEDaPvRmT3_T4_T5_mT6_P12ihipStream_tbENKUlT_T0_E_clISt17integral_constantIbLb1EESW_IbLb0EEEEDaSS_ST_EUlSS_E_NS1_11comp_targetILNS1_3genE8ELNS1_11target_archE1030ELNS1_3gpuE2ELNS1_3repE0EEENS1_30default_config_static_selectorELNS0_4arch9wavefront6targetE1EEEvT1_,"axG",@progbits,_ZN7rocprim17ROCPRIM_400000_NS6detail17trampoline_kernelINS0_14default_configENS1_20scan_config_selectorIjEEZZNS1_9scan_implILNS1_25lookback_scan_determinismE0ELb0ELb0ES3_N6thrust23THRUST_200600_302600_NS6detail15normal_iteratorINS9_10device_ptrIjEEEENS9_16discard_iteratorINS9_11use_defaultEEEj11max_functorIjEjEEDaPvRmT3_T4_T5_mT6_P12ihipStream_tbENKUlT_T0_E_clISt17integral_constantIbLb1EESW_IbLb0EEEEDaSS_ST_EUlSS_E_NS1_11comp_targetILNS1_3genE8ELNS1_11target_archE1030ELNS1_3gpuE2ELNS1_3repE0EEENS1_30default_config_static_selectorELNS0_4arch9wavefront6targetE1EEEvT1_,comdat
.Lfunc_end3466:
	.size	_ZN7rocprim17ROCPRIM_400000_NS6detail17trampoline_kernelINS0_14default_configENS1_20scan_config_selectorIjEEZZNS1_9scan_implILNS1_25lookback_scan_determinismE0ELb0ELb0ES3_N6thrust23THRUST_200600_302600_NS6detail15normal_iteratorINS9_10device_ptrIjEEEENS9_16discard_iteratorINS9_11use_defaultEEEj11max_functorIjEjEEDaPvRmT3_T4_T5_mT6_P12ihipStream_tbENKUlT_T0_E_clISt17integral_constantIbLb1EESW_IbLb0EEEEDaSS_ST_EUlSS_E_NS1_11comp_targetILNS1_3genE8ELNS1_11target_archE1030ELNS1_3gpuE2ELNS1_3repE0EEENS1_30default_config_static_selectorELNS0_4arch9wavefront6targetE1EEEvT1_, .Lfunc_end3466-_ZN7rocprim17ROCPRIM_400000_NS6detail17trampoline_kernelINS0_14default_configENS1_20scan_config_selectorIjEEZZNS1_9scan_implILNS1_25lookback_scan_determinismE0ELb0ELb0ES3_N6thrust23THRUST_200600_302600_NS6detail15normal_iteratorINS9_10device_ptrIjEEEENS9_16discard_iteratorINS9_11use_defaultEEEj11max_functorIjEjEEDaPvRmT3_T4_T5_mT6_P12ihipStream_tbENKUlT_T0_E_clISt17integral_constantIbLb1EESW_IbLb0EEEEDaSS_ST_EUlSS_E_NS1_11comp_targetILNS1_3genE8ELNS1_11target_archE1030ELNS1_3gpuE2ELNS1_3repE0EEENS1_30default_config_static_selectorELNS0_4arch9wavefront6targetE1EEEvT1_
                                        ; -- End function
	.section	.AMDGPU.csdata,"",@progbits
; Kernel info:
; codeLenInByte = 0
; NumSgprs: 4
; NumVgprs: 0
; NumAgprs: 0
; TotalNumVgprs: 0
; ScratchSize: 0
; MemoryBound: 0
; FloatMode: 240
; IeeeMode: 1
; LDSByteSize: 0 bytes/workgroup (compile time only)
; SGPRBlocks: 0
; VGPRBlocks: 0
; NumSGPRsForWavesPerEU: 4
; NumVGPRsForWavesPerEU: 1
; AccumOffset: 4
; Occupancy: 8
; WaveLimiterHint : 0
; COMPUTE_PGM_RSRC2:SCRATCH_EN: 0
; COMPUTE_PGM_RSRC2:USER_SGPR: 6
; COMPUTE_PGM_RSRC2:TRAP_HANDLER: 0
; COMPUTE_PGM_RSRC2:TGID_X_EN: 1
; COMPUTE_PGM_RSRC2:TGID_Y_EN: 0
; COMPUTE_PGM_RSRC2:TGID_Z_EN: 0
; COMPUTE_PGM_RSRC2:TIDIG_COMP_CNT: 0
; COMPUTE_PGM_RSRC3_GFX90A:ACCUM_OFFSET: 0
; COMPUTE_PGM_RSRC3_GFX90A:TG_SPLIT: 0
	.section	.text._ZN7rocprim17ROCPRIM_400000_NS6detail17trampoline_kernelINS0_14default_configENS1_20scan_config_selectorIjEEZZNS1_9scan_implILNS1_25lookback_scan_determinismE0ELb0ELb0ES3_N6thrust23THRUST_200600_302600_NS6detail15normal_iteratorINS9_10device_ptrIjEEEENS9_16discard_iteratorINS9_11use_defaultEEEj11max_functorIjEjEEDaPvRmT3_T4_T5_mT6_P12ihipStream_tbENKUlT_T0_E_clISt17integral_constantIbLb1EESW_IbLb0EEEEDaSS_ST_EUlSS_E0_NS1_11comp_targetILNS1_3genE0ELNS1_11target_archE4294967295ELNS1_3gpuE0ELNS1_3repE0EEENS1_30default_config_static_selectorELNS0_4arch9wavefront6targetE1EEEvT1_,"axG",@progbits,_ZN7rocprim17ROCPRIM_400000_NS6detail17trampoline_kernelINS0_14default_configENS1_20scan_config_selectorIjEEZZNS1_9scan_implILNS1_25lookback_scan_determinismE0ELb0ELb0ES3_N6thrust23THRUST_200600_302600_NS6detail15normal_iteratorINS9_10device_ptrIjEEEENS9_16discard_iteratorINS9_11use_defaultEEEj11max_functorIjEjEEDaPvRmT3_T4_T5_mT6_P12ihipStream_tbENKUlT_T0_E_clISt17integral_constantIbLb1EESW_IbLb0EEEEDaSS_ST_EUlSS_E0_NS1_11comp_targetILNS1_3genE0ELNS1_11target_archE4294967295ELNS1_3gpuE0ELNS1_3repE0EEENS1_30default_config_static_selectorELNS0_4arch9wavefront6targetE1EEEvT1_,comdat
	.protected	_ZN7rocprim17ROCPRIM_400000_NS6detail17trampoline_kernelINS0_14default_configENS1_20scan_config_selectorIjEEZZNS1_9scan_implILNS1_25lookback_scan_determinismE0ELb0ELb0ES3_N6thrust23THRUST_200600_302600_NS6detail15normal_iteratorINS9_10device_ptrIjEEEENS9_16discard_iteratorINS9_11use_defaultEEEj11max_functorIjEjEEDaPvRmT3_T4_T5_mT6_P12ihipStream_tbENKUlT_T0_E_clISt17integral_constantIbLb1EESW_IbLb0EEEEDaSS_ST_EUlSS_E0_NS1_11comp_targetILNS1_3genE0ELNS1_11target_archE4294967295ELNS1_3gpuE0ELNS1_3repE0EEENS1_30default_config_static_selectorELNS0_4arch9wavefront6targetE1EEEvT1_ ; -- Begin function _ZN7rocprim17ROCPRIM_400000_NS6detail17trampoline_kernelINS0_14default_configENS1_20scan_config_selectorIjEEZZNS1_9scan_implILNS1_25lookback_scan_determinismE0ELb0ELb0ES3_N6thrust23THRUST_200600_302600_NS6detail15normal_iteratorINS9_10device_ptrIjEEEENS9_16discard_iteratorINS9_11use_defaultEEEj11max_functorIjEjEEDaPvRmT3_T4_T5_mT6_P12ihipStream_tbENKUlT_T0_E_clISt17integral_constantIbLb1EESW_IbLb0EEEEDaSS_ST_EUlSS_E0_NS1_11comp_targetILNS1_3genE0ELNS1_11target_archE4294967295ELNS1_3gpuE0ELNS1_3repE0EEENS1_30default_config_static_selectorELNS0_4arch9wavefront6targetE1EEEvT1_
	.globl	_ZN7rocprim17ROCPRIM_400000_NS6detail17trampoline_kernelINS0_14default_configENS1_20scan_config_selectorIjEEZZNS1_9scan_implILNS1_25lookback_scan_determinismE0ELb0ELb0ES3_N6thrust23THRUST_200600_302600_NS6detail15normal_iteratorINS9_10device_ptrIjEEEENS9_16discard_iteratorINS9_11use_defaultEEEj11max_functorIjEjEEDaPvRmT3_T4_T5_mT6_P12ihipStream_tbENKUlT_T0_E_clISt17integral_constantIbLb1EESW_IbLb0EEEEDaSS_ST_EUlSS_E0_NS1_11comp_targetILNS1_3genE0ELNS1_11target_archE4294967295ELNS1_3gpuE0ELNS1_3repE0EEENS1_30default_config_static_selectorELNS0_4arch9wavefront6targetE1EEEvT1_
	.p2align	8
	.type	_ZN7rocprim17ROCPRIM_400000_NS6detail17trampoline_kernelINS0_14default_configENS1_20scan_config_selectorIjEEZZNS1_9scan_implILNS1_25lookback_scan_determinismE0ELb0ELb0ES3_N6thrust23THRUST_200600_302600_NS6detail15normal_iteratorINS9_10device_ptrIjEEEENS9_16discard_iteratorINS9_11use_defaultEEEj11max_functorIjEjEEDaPvRmT3_T4_T5_mT6_P12ihipStream_tbENKUlT_T0_E_clISt17integral_constantIbLb1EESW_IbLb0EEEEDaSS_ST_EUlSS_E0_NS1_11comp_targetILNS1_3genE0ELNS1_11target_archE4294967295ELNS1_3gpuE0ELNS1_3repE0EEENS1_30default_config_static_selectorELNS0_4arch9wavefront6targetE1EEEvT1_,@function
_ZN7rocprim17ROCPRIM_400000_NS6detail17trampoline_kernelINS0_14default_configENS1_20scan_config_selectorIjEEZZNS1_9scan_implILNS1_25lookback_scan_determinismE0ELb0ELb0ES3_N6thrust23THRUST_200600_302600_NS6detail15normal_iteratorINS9_10device_ptrIjEEEENS9_16discard_iteratorINS9_11use_defaultEEEj11max_functorIjEjEEDaPvRmT3_T4_T5_mT6_P12ihipStream_tbENKUlT_T0_E_clISt17integral_constantIbLb1EESW_IbLb0EEEEDaSS_ST_EUlSS_E0_NS1_11comp_targetILNS1_3genE0ELNS1_11target_archE4294967295ELNS1_3gpuE0ELNS1_3repE0EEENS1_30default_config_static_selectorELNS0_4arch9wavefront6targetE1EEEvT1_: ; @_ZN7rocprim17ROCPRIM_400000_NS6detail17trampoline_kernelINS0_14default_configENS1_20scan_config_selectorIjEEZZNS1_9scan_implILNS1_25lookback_scan_determinismE0ELb0ELb0ES3_N6thrust23THRUST_200600_302600_NS6detail15normal_iteratorINS9_10device_ptrIjEEEENS9_16discard_iteratorINS9_11use_defaultEEEj11max_functorIjEjEEDaPvRmT3_T4_T5_mT6_P12ihipStream_tbENKUlT_T0_E_clISt17integral_constantIbLb1EESW_IbLb0EEEEDaSS_ST_EUlSS_E0_NS1_11comp_targetILNS1_3genE0ELNS1_11target_archE4294967295ELNS1_3gpuE0ELNS1_3repE0EEENS1_30default_config_static_selectorELNS0_4arch9wavefront6targetE1EEEvT1_
; %bb.0:
	.section	.rodata,"a",@progbits
	.p2align	6, 0x0
	.amdhsa_kernel _ZN7rocprim17ROCPRIM_400000_NS6detail17trampoline_kernelINS0_14default_configENS1_20scan_config_selectorIjEEZZNS1_9scan_implILNS1_25lookback_scan_determinismE0ELb0ELb0ES3_N6thrust23THRUST_200600_302600_NS6detail15normal_iteratorINS9_10device_ptrIjEEEENS9_16discard_iteratorINS9_11use_defaultEEEj11max_functorIjEjEEDaPvRmT3_T4_T5_mT6_P12ihipStream_tbENKUlT_T0_E_clISt17integral_constantIbLb1EESW_IbLb0EEEEDaSS_ST_EUlSS_E0_NS1_11comp_targetILNS1_3genE0ELNS1_11target_archE4294967295ELNS1_3gpuE0ELNS1_3repE0EEENS1_30default_config_static_selectorELNS0_4arch9wavefront6targetE1EEEvT1_
		.amdhsa_group_segment_fixed_size 0
		.amdhsa_private_segment_fixed_size 0
		.amdhsa_kernarg_size 40
		.amdhsa_user_sgpr_count 6
		.amdhsa_user_sgpr_private_segment_buffer 1
		.amdhsa_user_sgpr_dispatch_ptr 0
		.amdhsa_user_sgpr_queue_ptr 0
		.amdhsa_user_sgpr_kernarg_segment_ptr 1
		.amdhsa_user_sgpr_dispatch_id 0
		.amdhsa_user_sgpr_flat_scratch_init 0
		.amdhsa_user_sgpr_kernarg_preload_length 0
		.amdhsa_user_sgpr_kernarg_preload_offset 0
		.amdhsa_user_sgpr_private_segment_size 0
		.amdhsa_uses_dynamic_stack 0
		.amdhsa_system_sgpr_private_segment_wavefront_offset 0
		.amdhsa_system_sgpr_workgroup_id_x 1
		.amdhsa_system_sgpr_workgroup_id_y 0
		.amdhsa_system_sgpr_workgroup_id_z 0
		.amdhsa_system_sgpr_workgroup_info 0
		.amdhsa_system_vgpr_workitem_id 0
		.amdhsa_next_free_vgpr 1
		.amdhsa_next_free_sgpr 0
		.amdhsa_accum_offset 4
		.amdhsa_reserve_vcc 0
		.amdhsa_reserve_flat_scratch 0
		.amdhsa_float_round_mode_32 0
		.amdhsa_float_round_mode_16_64 0
		.amdhsa_float_denorm_mode_32 3
		.amdhsa_float_denorm_mode_16_64 3
		.amdhsa_dx10_clamp 1
		.amdhsa_ieee_mode 1
		.amdhsa_fp16_overflow 0
		.amdhsa_tg_split 0
		.amdhsa_exception_fp_ieee_invalid_op 0
		.amdhsa_exception_fp_denorm_src 0
		.amdhsa_exception_fp_ieee_div_zero 0
		.amdhsa_exception_fp_ieee_overflow 0
		.amdhsa_exception_fp_ieee_underflow 0
		.amdhsa_exception_fp_ieee_inexact 0
		.amdhsa_exception_int_div_zero 0
	.end_amdhsa_kernel
	.section	.text._ZN7rocprim17ROCPRIM_400000_NS6detail17trampoline_kernelINS0_14default_configENS1_20scan_config_selectorIjEEZZNS1_9scan_implILNS1_25lookback_scan_determinismE0ELb0ELb0ES3_N6thrust23THRUST_200600_302600_NS6detail15normal_iteratorINS9_10device_ptrIjEEEENS9_16discard_iteratorINS9_11use_defaultEEEj11max_functorIjEjEEDaPvRmT3_T4_T5_mT6_P12ihipStream_tbENKUlT_T0_E_clISt17integral_constantIbLb1EESW_IbLb0EEEEDaSS_ST_EUlSS_E0_NS1_11comp_targetILNS1_3genE0ELNS1_11target_archE4294967295ELNS1_3gpuE0ELNS1_3repE0EEENS1_30default_config_static_selectorELNS0_4arch9wavefront6targetE1EEEvT1_,"axG",@progbits,_ZN7rocprim17ROCPRIM_400000_NS6detail17trampoline_kernelINS0_14default_configENS1_20scan_config_selectorIjEEZZNS1_9scan_implILNS1_25lookback_scan_determinismE0ELb0ELb0ES3_N6thrust23THRUST_200600_302600_NS6detail15normal_iteratorINS9_10device_ptrIjEEEENS9_16discard_iteratorINS9_11use_defaultEEEj11max_functorIjEjEEDaPvRmT3_T4_T5_mT6_P12ihipStream_tbENKUlT_T0_E_clISt17integral_constantIbLb1EESW_IbLb0EEEEDaSS_ST_EUlSS_E0_NS1_11comp_targetILNS1_3genE0ELNS1_11target_archE4294967295ELNS1_3gpuE0ELNS1_3repE0EEENS1_30default_config_static_selectorELNS0_4arch9wavefront6targetE1EEEvT1_,comdat
.Lfunc_end3467:
	.size	_ZN7rocprim17ROCPRIM_400000_NS6detail17trampoline_kernelINS0_14default_configENS1_20scan_config_selectorIjEEZZNS1_9scan_implILNS1_25lookback_scan_determinismE0ELb0ELb0ES3_N6thrust23THRUST_200600_302600_NS6detail15normal_iteratorINS9_10device_ptrIjEEEENS9_16discard_iteratorINS9_11use_defaultEEEj11max_functorIjEjEEDaPvRmT3_T4_T5_mT6_P12ihipStream_tbENKUlT_T0_E_clISt17integral_constantIbLb1EESW_IbLb0EEEEDaSS_ST_EUlSS_E0_NS1_11comp_targetILNS1_3genE0ELNS1_11target_archE4294967295ELNS1_3gpuE0ELNS1_3repE0EEENS1_30default_config_static_selectorELNS0_4arch9wavefront6targetE1EEEvT1_, .Lfunc_end3467-_ZN7rocprim17ROCPRIM_400000_NS6detail17trampoline_kernelINS0_14default_configENS1_20scan_config_selectorIjEEZZNS1_9scan_implILNS1_25lookback_scan_determinismE0ELb0ELb0ES3_N6thrust23THRUST_200600_302600_NS6detail15normal_iteratorINS9_10device_ptrIjEEEENS9_16discard_iteratorINS9_11use_defaultEEEj11max_functorIjEjEEDaPvRmT3_T4_T5_mT6_P12ihipStream_tbENKUlT_T0_E_clISt17integral_constantIbLb1EESW_IbLb0EEEEDaSS_ST_EUlSS_E0_NS1_11comp_targetILNS1_3genE0ELNS1_11target_archE4294967295ELNS1_3gpuE0ELNS1_3repE0EEENS1_30default_config_static_selectorELNS0_4arch9wavefront6targetE1EEEvT1_
                                        ; -- End function
	.section	.AMDGPU.csdata,"",@progbits
; Kernel info:
; codeLenInByte = 0
; NumSgprs: 4
; NumVgprs: 0
; NumAgprs: 0
; TotalNumVgprs: 0
; ScratchSize: 0
; MemoryBound: 0
; FloatMode: 240
; IeeeMode: 1
; LDSByteSize: 0 bytes/workgroup (compile time only)
; SGPRBlocks: 0
; VGPRBlocks: 0
; NumSGPRsForWavesPerEU: 4
; NumVGPRsForWavesPerEU: 1
; AccumOffset: 4
; Occupancy: 8
; WaveLimiterHint : 0
; COMPUTE_PGM_RSRC2:SCRATCH_EN: 0
; COMPUTE_PGM_RSRC2:USER_SGPR: 6
; COMPUTE_PGM_RSRC2:TRAP_HANDLER: 0
; COMPUTE_PGM_RSRC2:TGID_X_EN: 1
; COMPUTE_PGM_RSRC2:TGID_Y_EN: 0
; COMPUTE_PGM_RSRC2:TGID_Z_EN: 0
; COMPUTE_PGM_RSRC2:TIDIG_COMP_CNT: 0
; COMPUTE_PGM_RSRC3_GFX90A:ACCUM_OFFSET: 0
; COMPUTE_PGM_RSRC3_GFX90A:TG_SPLIT: 0
	.section	.text._ZN7rocprim17ROCPRIM_400000_NS6detail17trampoline_kernelINS0_14default_configENS1_20scan_config_selectorIjEEZZNS1_9scan_implILNS1_25lookback_scan_determinismE0ELb0ELb0ES3_N6thrust23THRUST_200600_302600_NS6detail15normal_iteratorINS9_10device_ptrIjEEEENS9_16discard_iteratorINS9_11use_defaultEEEj11max_functorIjEjEEDaPvRmT3_T4_T5_mT6_P12ihipStream_tbENKUlT_T0_E_clISt17integral_constantIbLb1EESW_IbLb0EEEEDaSS_ST_EUlSS_E0_NS1_11comp_targetILNS1_3genE5ELNS1_11target_archE942ELNS1_3gpuE9ELNS1_3repE0EEENS1_30default_config_static_selectorELNS0_4arch9wavefront6targetE1EEEvT1_,"axG",@progbits,_ZN7rocprim17ROCPRIM_400000_NS6detail17trampoline_kernelINS0_14default_configENS1_20scan_config_selectorIjEEZZNS1_9scan_implILNS1_25lookback_scan_determinismE0ELb0ELb0ES3_N6thrust23THRUST_200600_302600_NS6detail15normal_iteratorINS9_10device_ptrIjEEEENS9_16discard_iteratorINS9_11use_defaultEEEj11max_functorIjEjEEDaPvRmT3_T4_T5_mT6_P12ihipStream_tbENKUlT_T0_E_clISt17integral_constantIbLb1EESW_IbLb0EEEEDaSS_ST_EUlSS_E0_NS1_11comp_targetILNS1_3genE5ELNS1_11target_archE942ELNS1_3gpuE9ELNS1_3repE0EEENS1_30default_config_static_selectorELNS0_4arch9wavefront6targetE1EEEvT1_,comdat
	.protected	_ZN7rocprim17ROCPRIM_400000_NS6detail17trampoline_kernelINS0_14default_configENS1_20scan_config_selectorIjEEZZNS1_9scan_implILNS1_25lookback_scan_determinismE0ELb0ELb0ES3_N6thrust23THRUST_200600_302600_NS6detail15normal_iteratorINS9_10device_ptrIjEEEENS9_16discard_iteratorINS9_11use_defaultEEEj11max_functorIjEjEEDaPvRmT3_T4_T5_mT6_P12ihipStream_tbENKUlT_T0_E_clISt17integral_constantIbLb1EESW_IbLb0EEEEDaSS_ST_EUlSS_E0_NS1_11comp_targetILNS1_3genE5ELNS1_11target_archE942ELNS1_3gpuE9ELNS1_3repE0EEENS1_30default_config_static_selectorELNS0_4arch9wavefront6targetE1EEEvT1_ ; -- Begin function _ZN7rocprim17ROCPRIM_400000_NS6detail17trampoline_kernelINS0_14default_configENS1_20scan_config_selectorIjEEZZNS1_9scan_implILNS1_25lookback_scan_determinismE0ELb0ELb0ES3_N6thrust23THRUST_200600_302600_NS6detail15normal_iteratorINS9_10device_ptrIjEEEENS9_16discard_iteratorINS9_11use_defaultEEEj11max_functorIjEjEEDaPvRmT3_T4_T5_mT6_P12ihipStream_tbENKUlT_T0_E_clISt17integral_constantIbLb1EESW_IbLb0EEEEDaSS_ST_EUlSS_E0_NS1_11comp_targetILNS1_3genE5ELNS1_11target_archE942ELNS1_3gpuE9ELNS1_3repE0EEENS1_30default_config_static_selectorELNS0_4arch9wavefront6targetE1EEEvT1_
	.globl	_ZN7rocprim17ROCPRIM_400000_NS6detail17trampoline_kernelINS0_14default_configENS1_20scan_config_selectorIjEEZZNS1_9scan_implILNS1_25lookback_scan_determinismE0ELb0ELb0ES3_N6thrust23THRUST_200600_302600_NS6detail15normal_iteratorINS9_10device_ptrIjEEEENS9_16discard_iteratorINS9_11use_defaultEEEj11max_functorIjEjEEDaPvRmT3_T4_T5_mT6_P12ihipStream_tbENKUlT_T0_E_clISt17integral_constantIbLb1EESW_IbLb0EEEEDaSS_ST_EUlSS_E0_NS1_11comp_targetILNS1_3genE5ELNS1_11target_archE942ELNS1_3gpuE9ELNS1_3repE0EEENS1_30default_config_static_selectorELNS0_4arch9wavefront6targetE1EEEvT1_
	.p2align	8
	.type	_ZN7rocprim17ROCPRIM_400000_NS6detail17trampoline_kernelINS0_14default_configENS1_20scan_config_selectorIjEEZZNS1_9scan_implILNS1_25lookback_scan_determinismE0ELb0ELb0ES3_N6thrust23THRUST_200600_302600_NS6detail15normal_iteratorINS9_10device_ptrIjEEEENS9_16discard_iteratorINS9_11use_defaultEEEj11max_functorIjEjEEDaPvRmT3_T4_T5_mT6_P12ihipStream_tbENKUlT_T0_E_clISt17integral_constantIbLb1EESW_IbLb0EEEEDaSS_ST_EUlSS_E0_NS1_11comp_targetILNS1_3genE5ELNS1_11target_archE942ELNS1_3gpuE9ELNS1_3repE0EEENS1_30default_config_static_selectorELNS0_4arch9wavefront6targetE1EEEvT1_,@function
_ZN7rocprim17ROCPRIM_400000_NS6detail17trampoline_kernelINS0_14default_configENS1_20scan_config_selectorIjEEZZNS1_9scan_implILNS1_25lookback_scan_determinismE0ELb0ELb0ES3_N6thrust23THRUST_200600_302600_NS6detail15normal_iteratorINS9_10device_ptrIjEEEENS9_16discard_iteratorINS9_11use_defaultEEEj11max_functorIjEjEEDaPvRmT3_T4_T5_mT6_P12ihipStream_tbENKUlT_T0_E_clISt17integral_constantIbLb1EESW_IbLb0EEEEDaSS_ST_EUlSS_E0_NS1_11comp_targetILNS1_3genE5ELNS1_11target_archE942ELNS1_3gpuE9ELNS1_3repE0EEENS1_30default_config_static_selectorELNS0_4arch9wavefront6targetE1EEEvT1_: ; @_ZN7rocprim17ROCPRIM_400000_NS6detail17trampoline_kernelINS0_14default_configENS1_20scan_config_selectorIjEEZZNS1_9scan_implILNS1_25lookback_scan_determinismE0ELb0ELb0ES3_N6thrust23THRUST_200600_302600_NS6detail15normal_iteratorINS9_10device_ptrIjEEEENS9_16discard_iteratorINS9_11use_defaultEEEj11max_functorIjEjEEDaPvRmT3_T4_T5_mT6_P12ihipStream_tbENKUlT_T0_E_clISt17integral_constantIbLb1EESW_IbLb0EEEEDaSS_ST_EUlSS_E0_NS1_11comp_targetILNS1_3genE5ELNS1_11target_archE942ELNS1_3gpuE9ELNS1_3repE0EEENS1_30default_config_static_selectorELNS0_4arch9wavefront6targetE1EEEvT1_
; %bb.0:
	.section	.rodata,"a",@progbits
	.p2align	6, 0x0
	.amdhsa_kernel _ZN7rocprim17ROCPRIM_400000_NS6detail17trampoline_kernelINS0_14default_configENS1_20scan_config_selectorIjEEZZNS1_9scan_implILNS1_25lookback_scan_determinismE0ELb0ELb0ES3_N6thrust23THRUST_200600_302600_NS6detail15normal_iteratorINS9_10device_ptrIjEEEENS9_16discard_iteratorINS9_11use_defaultEEEj11max_functorIjEjEEDaPvRmT3_T4_T5_mT6_P12ihipStream_tbENKUlT_T0_E_clISt17integral_constantIbLb1EESW_IbLb0EEEEDaSS_ST_EUlSS_E0_NS1_11comp_targetILNS1_3genE5ELNS1_11target_archE942ELNS1_3gpuE9ELNS1_3repE0EEENS1_30default_config_static_selectorELNS0_4arch9wavefront6targetE1EEEvT1_
		.amdhsa_group_segment_fixed_size 0
		.amdhsa_private_segment_fixed_size 0
		.amdhsa_kernarg_size 40
		.amdhsa_user_sgpr_count 6
		.amdhsa_user_sgpr_private_segment_buffer 1
		.amdhsa_user_sgpr_dispatch_ptr 0
		.amdhsa_user_sgpr_queue_ptr 0
		.amdhsa_user_sgpr_kernarg_segment_ptr 1
		.amdhsa_user_sgpr_dispatch_id 0
		.amdhsa_user_sgpr_flat_scratch_init 0
		.amdhsa_user_sgpr_kernarg_preload_length 0
		.amdhsa_user_sgpr_kernarg_preload_offset 0
		.amdhsa_user_sgpr_private_segment_size 0
		.amdhsa_uses_dynamic_stack 0
		.amdhsa_system_sgpr_private_segment_wavefront_offset 0
		.amdhsa_system_sgpr_workgroup_id_x 1
		.amdhsa_system_sgpr_workgroup_id_y 0
		.amdhsa_system_sgpr_workgroup_id_z 0
		.amdhsa_system_sgpr_workgroup_info 0
		.amdhsa_system_vgpr_workitem_id 0
		.amdhsa_next_free_vgpr 1
		.amdhsa_next_free_sgpr 0
		.amdhsa_accum_offset 4
		.amdhsa_reserve_vcc 0
		.amdhsa_reserve_flat_scratch 0
		.amdhsa_float_round_mode_32 0
		.amdhsa_float_round_mode_16_64 0
		.amdhsa_float_denorm_mode_32 3
		.amdhsa_float_denorm_mode_16_64 3
		.amdhsa_dx10_clamp 1
		.amdhsa_ieee_mode 1
		.amdhsa_fp16_overflow 0
		.amdhsa_tg_split 0
		.amdhsa_exception_fp_ieee_invalid_op 0
		.amdhsa_exception_fp_denorm_src 0
		.amdhsa_exception_fp_ieee_div_zero 0
		.amdhsa_exception_fp_ieee_overflow 0
		.amdhsa_exception_fp_ieee_underflow 0
		.amdhsa_exception_fp_ieee_inexact 0
		.amdhsa_exception_int_div_zero 0
	.end_amdhsa_kernel
	.section	.text._ZN7rocprim17ROCPRIM_400000_NS6detail17trampoline_kernelINS0_14default_configENS1_20scan_config_selectorIjEEZZNS1_9scan_implILNS1_25lookback_scan_determinismE0ELb0ELb0ES3_N6thrust23THRUST_200600_302600_NS6detail15normal_iteratorINS9_10device_ptrIjEEEENS9_16discard_iteratorINS9_11use_defaultEEEj11max_functorIjEjEEDaPvRmT3_T4_T5_mT6_P12ihipStream_tbENKUlT_T0_E_clISt17integral_constantIbLb1EESW_IbLb0EEEEDaSS_ST_EUlSS_E0_NS1_11comp_targetILNS1_3genE5ELNS1_11target_archE942ELNS1_3gpuE9ELNS1_3repE0EEENS1_30default_config_static_selectorELNS0_4arch9wavefront6targetE1EEEvT1_,"axG",@progbits,_ZN7rocprim17ROCPRIM_400000_NS6detail17trampoline_kernelINS0_14default_configENS1_20scan_config_selectorIjEEZZNS1_9scan_implILNS1_25lookback_scan_determinismE0ELb0ELb0ES3_N6thrust23THRUST_200600_302600_NS6detail15normal_iteratorINS9_10device_ptrIjEEEENS9_16discard_iteratorINS9_11use_defaultEEEj11max_functorIjEjEEDaPvRmT3_T4_T5_mT6_P12ihipStream_tbENKUlT_T0_E_clISt17integral_constantIbLb1EESW_IbLb0EEEEDaSS_ST_EUlSS_E0_NS1_11comp_targetILNS1_3genE5ELNS1_11target_archE942ELNS1_3gpuE9ELNS1_3repE0EEENS1_30default_config_static_selectorELNS0_4arch9wavefront6targetE1EEEvT1_,comdat
.Lfunc_end3468:
	.size	_ZN7rocprim17ROCPRIM_400000_NS6detail17trampoline_kernelINS0_14default_configENS1_20scan_config_selectorIjEEZZNS1_9scan_implILNS1_25lookback_scan_determinismE0ELb0ELb0ES3_N6thrust23THRUST_200600_302600_NS6detail15normal_iteratorINS9_10device_ptrIjEEEENS9_16discard_iteratorINS9_11use_defaultEEEj11max_functorIjEjEEDaPvRmT3_T4_T5_mT6_P12ihipStream_tbENKUlT_T0_E_clISt17integral_constantIbLb1EESW_IbLb0EEEEDaSS_ST_EUlSS_E0_NS1_11comp_targetILNS1_3genE5ELNS1_11target_archE942ELNS1_3gpuE9ELNS1_3repE0EEENS1_30default_config_static_selectorELNS0_4arch9wavefront6targetE1EEEvT1_, .Lfunc_end3468-_ZN7rocprim17ROCPRIM_400000_NS6detail17trampoline_kernelINS0_14default_configENS1_20scan_config_selectorIjEEZZNS1_9scan_implILNS1_25lookback_scan_determinismE0ELb0ELb0ES3_N6thrust23THRUST_200600_302600_NS6detail15normal_iteratorINS9_10device_ptrIjEEEENS9_16discard_iteratorINS9_11use_defaultEEEj11max_functorIjEjEEDaPvRmT3_T4_T5_mT6_P12ihipStream_tbENKUlT_T0_E_clISt17integral_constantIbLb1EESW_IbLb0EEEEDaSS_ST_EUlSS_E0_NS1_11comp_targetILNS1_3genE5ELNS1_11target_archE942ELNS1_3gpuE9ELNS1_3repE0EEENS1_30default_config_static_selectorELNS0_4arch9wavefront6targetE1EEEvT1_
                                        ; -- End function
	.section	.AMDGPU.csdata,"",@progbits
; Kernel info:
; codeLenInByte = 0
; NumSgprs: 4
; NumVgprs: 0
; NumAgprs: 0
; TotalNumVgprs: 0
; ScratchSize: 0
; MemoryBound: 0
; FloatMode: 240
; IeeeMode: 1
; LDSByteSize: 0 bytes/workgroup (compile time only)
; SGPRBlocks: 0
; VGPRBlocks: 0
; NumSGPRsForWavesPerEU: 4
; NumVGPRsForWavesPerEU: 1
; AccumOffset: 4
; Occupancy: 8
; WaveLimiterHint : 0
; COMPUTE_PGM_RSRC2:SCRATCH_EN: 0
; COMPUTE_PGM_RSRC2:USER_SGPR: 6
; COMPUTE_PGM_RSRC2:TRAP_HANDLER: 0
; COMPUTE_PGM_RSRC2:TGID_X_EN: 1
; COMPUTE_PGM_RSRC2:TGID_Y_EN: 0
; COMPUTE_PGM_RSRC2:TGID_Z_EN: 0
; COMPUTE_PGM_RSRC2:TIDIG_COMP_CNT: 0
; COMPUTE_PGM_RSRC3_GFX90A:ACCUM_OFFSET: 0
; COMPUTE_PGM_RSRC3_GFX90A:TG_SPLIT: 0
	.section	.text._ZN7rocprim17ROCPRIM_400000_NS6detail17trampoline_kernelINS0_14default_configENS1_20scan_config_selectorIjEEZZNS1_9scan_implILNS1_25lookback_scan_determinismE0ELb0ELb0ES3_N6thrust23THRUST_200600_302600_NS6detail15normal_iteratorINS9_10device_ptrIjEEEENS9_16discard_iteratorINS9_11use_defaultEEEj11max_functorIjEjEEDaPvRmT3_T4_T5_mT6_P12ihipStream_tbENKUlT_T0_E_clISt17integral_constantIbLb1EESW_IbLb0EEEEDaSS_ST_EUlSS_E0_NS1_11comp_targetILNS1_3genE4ELNS1_11target_archE910ELNS1_3gpuE8ELNS1_3repE0EEENS1_30default_config_static_selectorELNS0_4arch9wavefront6targetE1EEEvT1_,"axG",@progbits,_ZN7rocprim17ROCPRIM_400000_NS6detail17trampoline_kernelINS0_14default_configENS1_20scan_config_selectorIjEEZZNS1_9scan_implILNS1_25lookback_scan_determinismE0ELb0ELb0ES3_N6thrust23THRUST_200600_302600_NS6detail15normal_iteratorINS9_10device_ptrIjEEEENS9_16discard_iteratorINS9_11use_defaultEEEj11max_functorIjEjEEDaPvRmT3_T4_T5_mT6_P12ihipStream_tbENKUlT_T0_E_clISt17integral_constantIbLb1EESW_IbLb0EEEEDaSS_ST_EUlSS_E0_NS1_11comp_targetILNS1_3genE4ELNS1_11target_archE910ELNS1_3gpuE8ELNS1_3repE0EEENS1_30default_config_static_selectorELNS0_4arch9wavefront6targetE1EEEvT1_,comdat
	.protected	_ZN7rocprim17ROCPRIM_400000_NS6detail17trampoline_kernelINS0_14default_configENS1_20scan_config_selectorIjEEZZNS1_9scan_implILNS1_25lookback_scan_determinismE0ELb0ELb0ES3_N6thrust23THRUST_200600_302600_NS6detail15normal_iteratorINS9_10device_ptrIjEEEENS9_16discard_iteratorINS9_11use_defaultEEEj11max_functorIjEjEEDaPvRmT3_T4_T5_mT6_P12ihipStream_tbENKUlT_T0_E_clISt17integral_constantIbLb1EESW_IbLb0EEEEDaSS_ST_EUlSS_E0_NS1_11comp_targetILNS1_3genE4ELNS1_11target_archE910ELNS1_3gpuE8ELNS1_3repE0EEENS1_30default_config_static_selectorELNS0_4arch9wavefront6targetE1EEEvT1_ ; -- Begin function _ZN7rocprim17ROCPRIM_400000_NS6detail17trampoline_kernelINS0_14default_configENS1_20scan_config_selectorIjEEZZNS1_9scan_implILNS1_25lookback_scan_determinismE0ELb0ELb0ES3_N6thrust23THRUST_200600_302600_NS6detail15normal_iteratorINS9_10device_ptrIjEEEENS9_16discard_iteratorINS9_11use_defaultEEEj11max_functorIjEjEEDaPvRmT3_T4_T5_mT6_P12ihipStream_tbENKUlT_T0_E_clISt17integral_constantIbLb1EESW_IbLb0EEEEDaSS_ST_EUlSS_E0_NS1_11comp_targetILNS1_3genE4ELNS1_11target_archE910ELNS1_3gpuE8ELNS1_3repE0EEENS1_30default_config_static_selectorELNS0_4arch9wavefront6targetE1EEEvT1_
	.globl	_ZN7rocprim17ROCPRIM_400000_NS6detail17trampoline_kernelINS0_14default_configENS1_20scan_config_selectorIjEEZZNS1_9scan_implILNS1_25lookback_scan_determinismE0ELb0ELb0ES3_N6thrust23THRUST_200600_302600_NS6detail15normal_iteratorINS9_10device_ptrIjEEEENS9_16discard_iteratorINS9_11use_defaultEEEj11max_functorIjEjEEDaPvRmT3_T4_T5_mT6_P12ihipStream_tbENKUlT_T0_E_clISt17integral_constantIbLb1EESW_IbLb0EEEEDaSS_ST_EUlSS_E0_NS1_11comp_targetILNS1_3genE4ELNS1_11target_archE910ELNS1_3gpuE8ELNS1_3repE0EEENS1_30default_config_static_selectorELNS0_4arch9wavefront6targetE1EEEvT1_
	.p2align	8
	.type	_ZN7rocprim17ROCPRIM_400000_NS6detail17trampoline_kernelINS0_14default_configENS1_20scan_config_selectorIjEEZZNS1_9scan_implILNS1_25lookback_scan_determinismE0ELb0ELb0ES3_N6thrust23THRUST_200600_302600_NS6detail15normal_iteratorINS9_10device_ptrIjEEEENS9_16discard_iteratorINS9_11use_defaultEEEj11max_functorIjEjEEDaPvRmT3_T4_T5_mT6_P12ihipStream_tbENKUlT_T0_E_clISt17integral_constantIbLb1EESW_IbLb0EEEEDaSS_ST_EUlSS_E0_NS1_11comp_targetILNS1_3genE4ELNS1_11target_archE910ELNS1_3gpuE8ELNS1_3repE0EEENS1_30default_config_static_selectorELNS0_4arch9wavefront6targetE1EEEvT1_,@function
_ZN7rocprim17ROCPRIM_400000_NS6detail17trampoline_kernelINS0_14default_configENS1_20scan_config_selectorIjEEZZNS1_9scan_implILNS1_25lookback_scan_determinismE0ELb0ELb0ES3_N6thrust23THRUST_200600_302600_NS6detail15normal_iteratorINS9_10device_ptrIjEEEENS9_16discard_iteratorINS9_11use_defaultEEEj11max_functorIjEjEEDaPvRmT3_T4_T5_mT6_P12ihipStream_tbENKUlT_T0_E_clISt17integral_constantIbLb1EESW_IbLb0EEEEDaSS_ST_EUlSS_E0_NS1_11comp_targetILNS1_3genE4ELNS1_11target_archE910ELNS1_3gpuE8ELNS1_3repE0EEENS1_30default_config_static_selectorELNS0_4arch9wavefront6targetE1EEEvT1_: ; @_ZN7rocprim17ROCPRIM_400000_NS6detail17trampoline_kernelINS0_14default_configENS1_20scan_config_selectorIjEEZZNS1_9scan_implILNS1_25lookback_scan_determinismE0ELb0ELb0ES3_N6thrust23THRUST_200600_302600_NS6detail15normal_iteratorINS9_10device_ptrIjEEEENS9_16discard_iteratorINS9_11use_defaultEEEj11max_functorIjEjEEDaPvRmT3_T4_T5_mT6_P12ihipStream_tbENKUlT_T0_E_clISt17integral_constantIbLb1EESW_IbLb0EEEEDaSS_ST_EUlSS_E0_NS1_11comp_targetILNS1_3genE4ELNS1_11target_archE910ELNS1_3gpuE8ELNS1_3repE0EEENS1_30default_config_static_selectorELNS0_4arch9wavefront6targetE1EEEvT1_
; %bb.0:
	s_load_dwordx4 s[0:3], s[4:5], 0x0
	v_lshlrev_b32_e32 v20, 2, v0
	s_waitcnt lgkmcnt(0)
	s_load_dword s3, s[0:1], 0x0
	v_cmp_gt_u32_e32 vcc, s2, v0
	s_waitcnt lgkmcnt(0)
	v_mov_b32_e32 v1, s3
	s_and_saveexec_b64 s[4:5], vcc
	s_cbranch_execz .LBB3469_2
; %bb.1:
	global_load_dword v1, v20, s[0:1]
.LBB3469_2:
	s_or_b64 exec, exec, s[4:5]
	v_or_b32_e32 v2, 0x80, v0
	v_cmp_gt_u32_e32 vcc, s2, v2
	v_mov_b32_e32 v2, s3
	s_and_saveexec_b64 s[4:5], vcc
	s_cbranch_execz .LBB3469_4
; %bb.3:
	global_load_dword v2, v20, s[0:1] offset:512
.LBB3469_4:
	s_or_b64 exec, exec, s[4:5]
	v_or_b32_e32 v3, 0x100, v0
	v_cmp_gt_u32_e32 vcc, s2, v3
	v_mov_b32_e32 v3, s3
	s_and_saveexec_b64 s[4:5], vcc
	s_cbranch_execz .LBB3469_6
; %bb.5:
	global_load_dword v3, v20, s[0:1] offset:1024
.LBB3469_6:
	;; [unrolled: 9-line block ×7, first 2 shown]
	s_or_b64 exec, exec, s[4:5]
	v_or_b32_e32 v10, 0x400, v0
	v_cmp_gt_u32_e32 vcc, s2, v10
	v_mov_b32_e32 v9, s3
	s_and_saveexec_b64 s[4:5], vcc
	s_cbranch_execz .LBB3469_18
; %bb.17:
	v_lshlrev_b32_e32 v9, 2, v10
	global_load_dword v9, v9, s[0:1]
.LBB3469_18:
	s_or_b64 exec, exec, s[4:5]
	v_or_b32_e32 v11, 0x480, v0
	v_cmp_gt_u32_e32 vcc, s2, v11
	v_mov_b32_e32 v10, s3
	s_and_saveexec_b64 s[2:3], vcc
	s_cbranch_execz .LBB3469_20
; %bb.19:
	v_lshlrev_b32_e32 v10, 2, v11
	global_load_dword v10, v10, s[0:1]
.LBB3469_20:
	s_or_b64 exec, exec, s[2:3]
	s_waitcnt vmcnt(0)
	ds_write2st64_b32 v20, v1, v2 offset1:2
	ds_write2st64_b32 v20, v3, v4 offset0:4 offset1:6
	ds_write2st64_b32 v20, v5, v6 offset0:8 offset1:10
	;; [unrolled: 1-line block ×4, first 2 shown]
	v_mad_u32_u24 v1, v0, 36, v20
	s_waitcnt lgkmcnt(0)
	s_barrier
	ds_read2_b64 v[6:9], v1 offset1:1
	ds_read2_b64 v[2:5], v1 offset0:2 offset1:3
	ds_read_b64 v[18:19], v1 offset:32
	v_lshrrev_b32_e32 v21, 3, v0
	v_and_b32_e32 v21, 12, v21
	s_waitcnt lgkmcnt(2)
	v_max_u32_e32 v1, v6, v7
	v_max_u32_e32 v14, v1, v8
	;; [unrolled: 1-line block ×3, first 2 shown]
	s_waitcnt lgkmcnt(1)
	v_max_u32_e32 v10, v15, v2
	v_max_u32_e32 v11, v10, v3
	;; [unrolled: 1-line block ×4, first 2 shown]
	s_waitcnt lgkmcnt(0)
	v_max_u32_e32 v16, v13, v18
	v_max_u32_e32 v17, v16, v19
	v_add_u32_e32 v21, v20, v21
	v_cmp_gt_u32_e32 vcc, 64, v0
	s_barrier
	ds_write_b32 v21, v17
	s_waitcnt lgkmcnt(0)
	s_barrier
	s_and_saveexec_b64 s[0:1], vcc
	s_cbranch_execz .LBB3469_22
; %bb.21:
	v_lshlrev_b32_e32 v21, 1, v0
	v_lshrrev_b32_e32 v22, 4, v0
	v_add_lshl_u32 v21, v22, v21, 2
	ds_read2_b32 v[22:23], v21 offset1:1
	v_mbcnt_lo_u32_b32 v24, -1, 0
	v_mbcnt_hi_u32_b32 v24, -1, v24
	v_and_b32_e32 v25, 15, v24
	v_cmp_eq_u32_e32 vcc, 0, v25
	s_waitcnt lgkmcnt(0)
	v_max_u32_e32 v23, v22, v23
	; wave barrier
	s_nop 1
	v_mov_b32_dpp v26, v23 row_shr:1 row_mask:0xf bank_mask:0xf
	v_max_u32_e32 v26, v26, v23
	v_cndmask_b32_e32 v23, v26, v23, vcc
	v_cmp_lt_u32_e32 vcc, 1, v25
	s_nop 0
	v_mov_b32_dpp v26, v23 row_shr:2 row_mask:0xf bank_mask:0xf
	v_max_u32_e32 v26, v26, v23
	v_cndmask_b32_e32 v23, v23, v26, vcc
	v_cmp_lt_u32_e32 vcc, 3, v25
	;; [unrolled: 5-line block ×3, first 2 shown]
	s_nop 0
	v_mov_b32_dpp v26, v23 row_shr:8 row_mask:0xf bank_mask:0xf
	v_max_u32_e32 v26, v26, v23
	v_cndmask_b32_e32 v23, v23, v26, vcc
	v_and_b32_e32 v26, 16, v24
	v_cmp_eq_u32_e32 vcc, 0, v26
	v_mov_b32_dpp v25, v23 row_bcast:15 row_mask:0xf bank_mask:0xf
	v_max_u32_e32 v25, v25, v23
	v_cndmask_b32_e32 v23, v25, v23, vcc
	v_cmp_lt_u32_e32 vcc, 31, v24
	v_and_b32_e32 v26, 64, v24
	v_mov_b32_dpp v25, v23 row_bcast:31 row_mask:0xf bank_mask:0xf
	v_max_u32_e32 v25, v25, v23
	v_cndmask_b32_e32 v23, v23, v25, vcc
	v_add_u32_e32 v25, -1, v24
	v_cmp_lt_i32_e32 vcc, v25, v26
	v_cndmask_b32_e32 v24, v25, v24, vcc
	v_lshlrev_b32_e32 v24, 2, v24
	ds_bpermute_b32 v23, v24, v23
	v_cmp_eq_u32_e32 vcc, 0, v0
	s_waitcnt lgkmcnt(0)
	v_max_u32_e32 v22, v23, v22
	v_cndmask_b32_e32 v22, v22, v17, vcc
	ds_write_b32 v21, v22
	; wave barrier
	ds_read_b32 v23, v21 offset:4
	s_waitcnt lgkmcnt(0)
	v_max_u32_e32 v22, v22, v23
	ds_write_b32 v21, v22 offset:4
.LBB3469_22:
	s_or_b64 exec, exec, s[0:1]
	v_cmp_ne_u32_e32 vcc, 0, v0
	v_mov_b32_e32 v22, v17
	s_waitcnt lgkmcnt(0)
	s_barrier
	s_and_saveexec_b64 s[0:1], vcc
	s_cbranch_execz .LBB3469_24
; %bb.23:
	v_add_u32_e32 v21, -1, v0
	v_lshrrev_b32_e32 v22, 5, v21
	v_add_lshl_u32 v21, v22, v21, 2
	ds_read_b32 v22, v21
.LBB3469_24:
	s_or_b64 exec, exec, s[0:1]
	v_mul_u32_u24_e32 v21, 36, v0
	v_mov_b32_e32 v0, v6
	s_and_saveexec_b64 s[0:1], vcc
	s_cbranch_execz .LBB3469_26
; %bb.25:
	s_waitcnt lgkmcnt(0)
	v_max_u32_e32 v0, v22, v6
	v_max_u32_e32 v1, v0, v7
	;; [unrolled: 1-line block ×10, first 2 shown]
	;;#ASMSTART
	;;#ASMEND
.LBB3469_26:
	s_or_b64 exec, exec, s[0:1]
	v_add_u32_e32 v2, v20, v21
	s_waitcnt lgkmcnt(0)
	s_barrier
	ds_write2_b64 v2, v[0:1], v[14:15] offset1:1
	ds_write2_b64 v2, v[10:11], v[12:13] offset0:2 offset1:3
	ds_write_b64 v2, v[16:17] offset:32
	s_waitcnt lgkmcnt(0)
	s_barrier
	s_endpgm
	.section	.rodata,"a",@progbits
	.p2align	6, 0x0
	.amdhsa_kernel _ZN7rocprim17ROCPRIM_400000_NS6detail17trampoline_kernelINS0_14default_configENS1_20scan_config_selectorIjEEZZNS1_9scan_implILNS1_25lookback_scan_determinismE0ELb0ELb0ES3_N6thrust23THRUST_200600_302600_NS6detail15normal_iteratorINS9_10device_ptrIjEEEENS9_16discard_iteratorINS9_11use_defaultEEEj11max_functorIjEjEEDaPvRmT3_T4_T5_mT6_P12ihipStream_tbENKUlT_T0_E_clISt17integral_constantIbLb1EESW_IbLb0EEEEDaSS_ST_EUlSS_E0_NS1_11comp_targetILNS1_3genE4ELNS1_11target_archE910ELNS1_3gpuE8ELNS1_3repE0EEENS1_30default_config_static_selectorELNS0_4arch9wavefront6targetE1EEEvT1_
		.amdhsa_group_segment_fixed_size 5120
		.amdhsa_private_segment_fixed_size 0
		.amdhsa_kernarg_size 40
		.amdhsa_user_sgpr_count 6
		.amdhsa_user_sgpr_private_segment_buffer 1
		.amdhsa_user_sgpr_dispatch_ptr 0
		.amdhsa_user_sgpr_queue_ptr 0
		.amdhsa_user_sgpr_kernarg_segment_ptr 1
		.amdhsa_user_sgpr_dispatch_id 0
		.amdhsa_user_sgpr_flat_scratch_init 0
		.amdhsa_user_sgpr_kernarg_preload_length 0
		.amdhsa_user_sgpr_kernarg_preload_offset 0
		.amdhsa_user_sgpr_private_segment_size 0
		.amdhsa_uses_dynamic_stack 0
		.amdhsa_system_sgpr_private_segment_wavefront_offset 0
		.amdhsa_system_sgpr_workgroup_id_x 1
		.amdhsa_system_sgpr_workgroup_id_y 0
		.amdhsa_system_sgpr_workgroup_id_z 0
		.amdhsa_system_sgpr_workgroup_info 0
		.amdhsa_system_vgpr_workitem_id 0
		.amdhsa_next_free_vgpr 27
		.amdhsa_next_free_sgpr 6
		.amdhsa_accum_offset 28
		.amdhsa_reserve_vcc 1
		.amdhsa_reserve_flat_scratch 0
		.amdhsa_float_round_mode_32 0
		.amdhsa_float_round_mode_16_64 0
		.amdhsa_float_denorm_mode_32 3
		.amdhsa_float_denorm_mode_16_64 3
		.amdhsa_dx10_clamp 1
		.amdhsa_ieee_mode 1
		.amdhsa_fp16_overflow 0
		.amdhsa_tg_split 0
		.amdhsa_exception_fp_ieee_invalid_op 0
		.amdhsa_exception_fp_denorm_src 0
		.amdhsa_exception_fp_ieee_div_zero 0
		.amdhsa_exception_fp_ieee_overflow 0
		.amdhsa_exception_fp_ieee_underflow 0
		.amdhsa_exception_fp_ieee_inexact 0
		.amdhsa_exception_int_div_zero 0
	.end_amdhsa_kernel
	.section	.text._ZN7rocprim17ROCPRIM_400000_NS6detail17trampoline_kernelINS0_14default_configENS1_20scan_config_selectorIjEEZZNS1_9scan_implILNS1_25lookback_scan_determinismE0ELb0ELb0ES3_N6thrust23THRUST_200600_302600_NS6detail15normal_iteratorINS9_10device_ptrIjEEEENS9_16discard_iteratorINS9_11use_defaultEEEj11max_functorIjEjEEDaPvRmT3_T4_T5_mT6_P12ihipStream_tbENKUlT_T0_E_clISt17integral_constantIbLb1EESW_IbLb0EEEEDaSS_ST_EUlSS_E0_NS1_11comp_targetILNS1_3genE4ELNS1_11target_archE910ELNS1_3gpuE8ELNS1_3repE0EEENS1_30default_config_static_selectorELNS0_4arch9wavefront6targetE1EEEvT1_,"axG",@progbits,_ZN7rocprim17ROCPRIM_400000_NS6detail17trampoline_kernelINS0_14default_configENS1_20scan_config_selectorIjEEZZNS1_9scan_implILNS1_25lookback_scan_determinismE0ELb0ELb0ES3_N6thrust23THRUST_200600_302600_NS6detail15normal_iteratorINS9_10device_ptrIjEEEENS9_16discard_iteratorINS9_11use_defaultEEEj11max_functorIjEjEEDaPvRmT3_T4_T5_mT6_P12ihipStream_tbENKUlT_T0_E_clISt17integral_constantIbLb1EESW_IbLb0EEEEDaSS_ST_EUlSS_E0_NS1_11comp_targetILNS1_3genE4ELNS1_11target_archE910ELNS1_3gpuE8ELNS1_3repE0EEENS1_30default_config_static_selectorELNS0_4arch9wavefront6targetE1EEEvT1_,comdat
.Lfunc_end3469:
	.size	_ZN7rocprim17ROCPRIM_400000_NS6detail17trampoline_kernelINS0_14default_configENS1_20scan_config_selectorIjEEZZNS1_9scan_implILNS1_25lookback_scan_determinismE0ELb0ELb0ES3_N6thrust23THRUST_200600_302600_NS6detail15normal_iteratorINS9_10device_ptrIjEEEENS9_16discard_iteratorINS9_11use_defaultEEEj11max_functorIjEjEEDaPvRmT3_T4_T5_mT6_P12ihipStream_tbENKUlT_T0_E_clISt17integral_constantIbLb1EESW_IbLb0EEEEDaSS_ST_EUlSS_E0_NS1_11comp_targetILNS1_3genE4ELNS1_11target_archE910ELNS1_3gpuE8ELNS1_3repE0EEENS1_30default_config_static_selectorELNS0_4arch9wavefront6targetE1EEEvT1_, .Lfunc_end3469-_ZN7rocprim17ROCPRIM_400000_NS6detail17trampoline_kernelINS0_14default_configENS1_20scan_config_selectorIjEEZZNS1_9scan_implILNS1_25lookback_scan_determinismE0ELb0ELb0ES3_N6thrust23THRUST_200600_302600_NS6detail15normal_iteratorINS9_10device_ptrIjEEEENS9_16discard_iteratorINS9_11use_defaultEEEj11max_functorIjEjEEDaPvRmT3_T4_T5_mT6_P12ihipStream_tbENKUlT_T0_E_clISt17integral_constantIbLb1EESW_IbLb0EEEEDaSS_ST_EUlSS_E0_NS1_11comp_targetILNS1_3genE4ELNS1_11target_archE910ELNS1_3gpuE8ELNS1_3repE0EEENS1_30default_config_static_selectorELNS0_4arch9wavefront6targetE1EEEvT1_
                                        ; -- End function
	.section	.AMDGPU.csdata,"",@progbits
; Kernel info:
; codeLenInByte = 1000
; NumSgprs: 10
; NumVgprs: 27
; NumAgprs: 0
; TotalNumVgprs: 27
; ScratchSize: 0
; MemoryBound: 0
; FloatMode: 240
; IeeeMode: 1
; LDSByteSize: 5120 bytes/workgroup (compile time only)
; SGPRBlocks: 1
; VGPRBlocks: 3
; NumSGPRsForWavesPerEU: 10
; NumVGPRsForWavesPerEU: 27
; AccumOffset: 28
; Occupancy: 6
; WaveLimiterHint : 0
; COMPUTE_PGM_RSRC2:SCRATCH_EN: 0
; COMPUTE_PGM_RSRC2:USER_SGPR: 6
; COMPUTE_PGM_RSRC2:TRAP_HANDLER: 0
; COMPUTE_PGM_RSRC2:TGID_X_EN: 1
; COMPUTE_PGM_RSRC2:TGID_Y_EN: 0
; COMPUTE_PGM_RSRC2:TGID_Z_EN: 0
; COMPUTE_PGM_RSRC2:TIDIG_COMP_CNT: 0
; COMPUTE_PGM_RSRC3_GFX90A:ACCUM_OFFSET: 6
; COMPUTE_PGM_RSRC3_GFX90A:TG_SPLIT: 0
	.section	.text._ZN7rocprim17ROCPRIM_400000_NS6detail17trampoline_kernelINS0_14default_configENS1_20scan_config_selectorIjEEZZNS1_9scan_implILNS1_25lookback_scan_determinismE0ELb0ELb0ES3_N6thrust23THRUST_200600_302600_NS6detail15normal_iteratorINS9_10device_ptrIjEEEENS9_16discard_iteratorINS9_11use_defaultEEEj11max_functorIjEjEEDaPvRmT3_T4_T5_mT6_P12ihipStream_tbENKUlT_T0_E_clISt17integral_constantIbLb1EESW_IbLb0EEEEDaSS_ST_EUlSS_E0_NS1_11comp_targetILNS1_3genE3ELNS1_11target_archE908ELNS1_3gpuE7ELNS1_3repE0EEENS1_30default_config_static_selectorELNS0_4arch9wavefront6targetE1EEEvT1_,"axG",@progbits,_ZN7rocprim17ROCPRIM_400000_NS6detail17trampoline_kernelINS0_14default_configENS1_20scan_config_selectorIjEEZZNS1_9scan_implILNS1_25lookback_scan_determinismE0ELb0ELb0ES3_N6thrust23THRUST_200600_302600_NS6detail15normal_iteratorINS9_10device_ptrIjEEEENS9_16discard_iteratorINS9_11use_defaultEEEj11max_functorIjEjEEDaPvRmT3_T4_T5_mT6_P12ihipStream_tbENKUlT_T0_E_clISt17integral_constantIbLb1EESW_IbLb0EEEEDaSS_ST_EUlSS_E0_NS1_11comp_targetILNS1_3genE3ELNS1_11target_archE908ELNS1_3gpuE7ELNS1_3repE0EEENS1_30default_config_static_selectorELNS0_4arch9wavefront6targetE1EEEvT1_,comdat
	.protected	_ZN7rocprim17ROCPRIM_400000_NS6detail17trampoline_kernelINS0_14default_configENS1_20scan_config_selectorIjEEZZNS1_9scan_implILNS1_25lookback_scan_determinismE0ELb0ELb0ES3_N6thrust23THRUST_200600_302600_NS6detail15normal_iteratorINS9_10device_ptrIjEEEENS9_16discard_iteratorINS9_11use_defaultEEEj11max_functorIjEjEEDaPvRmT3_T4_T5_mT6_P12ihipStream_tbENKUlT_T0_E_clISt17integral_constantIbLb1EESW_IbLb0EEEEDaSS_ST_EUlSS_E0_NS1_11comp_targetILNS1_3genE3ELNS1_11target_archE908ELNS1_3gpuE7ELNS1_3repE0EEENS1_30default_config_static_selectorELNS0_4arch9wavefront6targetE1EEEvT1_ ; -- Begin function _ZN7rocprim17ROCPRIM_400000_NS6detail17trampoline_kernelINS0_14default_configENS1_20scan_config_selectorIjEEZZNS1_9scan_implILNS1_25lookback_scan_determinismE0ELb0ELb0ES3_N6thrust23THRUST_200600_302600_NS6detail15normal_iteratorINS9_10device_ptrIjEEEENS9_16discard_iteratorINS9_11use_defaultEEEj11max_functorIjEjEEDaPvRmT3_T4_T5_mT6_P12ihipStream_tbENKUlT_T0_E_clISt17integral_constantIbLb1EESW_IbLb0EEEEDaSS_ST_EUlSS_E0_NS1_11comp_targetILNS1_3genE3ELNS1_11target_archE908ELNS1_3gpuE7ELNS1_3repE0EEENS1_30default_config_static_selectorELNS0_4arch9wavefront6targetE1EEEvT1_
	.globl	_ZN7rocprim17ROCPRIM_400000_NS6detail17trampoline_kernelINS0_14default_configENS1_20scan_config_selectorIjEEZZNS1_9scan_implILNS1_25lookback_scan_determinismE0ELb0ELb0ES3_N6thrust23THRUST_200600_302600_NS6detail15normal_iteratorINS9_10device_ptrIjEEEENS9_16discard_iteratorINS9_11use_defaultEEEj11max_functorIjEjEEDaPvRmT3_T4_T5_mT6_P12ihipStream_tbENKUlT_T0_E_clISt17integral_constantIbLb1EESW_IbLb0EEEEDaSS_ST_EUlSS_E0_NS1_11comp_targetILNS1_3genE3ELNS1_11target_archE908ELNS1_3gpuE7ELNS1_3repE0EEENS1_30default_config_static_selectorELNS0_4arch9wavefront6targetE1EEEvT1_
	.p2align	8
	.type	_ZN7rocprim17ROCPRIM_400000_NS6detail17trampoline_kernelINS0_14default_configENS1_20scan_config_selectorIjEEZZNS1_9scan_implILNS1_25lookback_scan_determinismE0ELb0ELb0ES3_N6thrust23THRUST_200600_302600_NS6detail15normal_iteratorINS9_10device_ptrIjEEEENS9_16discard_iteratorINS9_11use_defaultEEEj11max_functorIjEjEEDaPvRmT3_T4_T5_mT6_P12ihipStream_tbENKUlT_T0_E_clISt17integral_constantIbLb1EESW_IbLb0EEEEDaSS_ST_EUlSS_E0_NS1_11comp_targetILNS1_3genE3ELNS1_11target_archE908ELNS1_3gpuE7ELNS1_3repE0EEENS1_30default_config_static_selectorELNS0_4arch9wavefront6targetE1EEEvT1_,@function
_ZN7rocprim17ROCPRIM_400000_NS6detail17trampoline_kernelINS0_14default_configENS1_20scan_config_selectorIjEEZZNS1_9scan_implILNS1_25lookback_scan_determinismE0ELb0ELb0ES3_N6thrust23THRUST_200600_302600_NS6detail15normal_iteratorINS9_10device_ptrIjEEEENS9_16discard_iteratorINS9_11use_defaultEEEj11max_functorIjEjEEDaPvRmT3_T4_T5_mT6_P12ihipStream_tbENKUlT_T0_E_clISt17integral_constantIbLb1EESW_IbLb0EEEEDaSS_ST_EUlSS_E0_NS1_11comp_targetILNS1_3genE3ELNS1_11target_archE908ELNS1_3gpuE7ELNS1_3repE0EEENS1_30default_config_static_selectorELNS0_4arch9wavefront6targetE1EEEvT1_: ; @_ZN7rocprim17ROCPRIM_400000_NS6detail17trampoline_kernelINS0_14default_configENS1_20scan_config_selectorIjEEZZNS1_9scan_implILNS1_25lookback_scan_determinismE0ELb0ELb0ES3_N6thrust23THRUST_200600_302600_NS6detail15normal_iteratorINS9_10device_ptrIjEEEENS9_16discard_iteratorINS9_11use_defaultEEEj11max_functorIjEjEEDaPvRmT3_T4_T5_mT6_P12ihipStream_tbENKUlT_T0_E_clISt17integral_constantIbLb1EESW_IbLb0EEEEDaSS_ST_EUlSS_E0_NS1_11comp_targetILNS1_3genE3ELNS1_11target_archE908ELNS1_3gpuE7ELNS1_3repE0EEENS1_30default_config_static_selectorELNS0_4arch9wavefront6targetE1EEEvT1_
; %bb.0:
	.section	.rodata,"a",@progbits
	.p2align	6, 0x0
	.amdhsa_kernel _ZN7rocprim17ROCPRIM_400000_NS6detail17trampoline_kernelINS0_14default_configENS1_20scan_config_selectorIjEEZZNS1_9scan_implILNS1_25lookback_scan_determinismE0ELb0ELb0ES3_N6thrust23THRUST_200600_302600_NS6detail15normal_iteratorINS9_10device_ptrIjEEEENS9_16discard_iteratorINS9_11use_defaultEEEj11max_functorIjEjEEDaPvRmT3_T4_T5_mT6_P12ihipStream_tbENKUlT_T0_E_clISt17integral_constantIbLb1EESW_IbLb0EEEEDaSS_ST_EUlSS_E0_NS1_11comp_targetILNS1_3genE3ELNS1_11target_archE908ELNS1_3gpuE7ELNS1_3repE0EEENS1_30default_config_static_selectorELNS0_4arch9wavefront6targetE1EEEvT1_
		.amdhsa_group_segment_fixed_size 0
		.amdhsa_private_segment_fixed_size 0
		.amdhsa_kernarg_size 40
		.amdhsa_user_sgpr_count 6
		.amdhsa_user_sgpr_private_segment_buffer 1
		.amdhsa_user_sgpr_dispatch_ptr 0
		.amdhsa_user_sgpr_queue_ptr 0
		.amdhsa_user_sgpr_kernarg_segment_ptr 1
		.amdhsa_user_sgpr_dispatch_id 0
		.amdhsa_user_sgpr_flat_scratch_init 0
		.amdhsa_user_sgpr_kernarg_preload_length 0
		.amdhsa_user_sgpr_kernarg_preload_offset 0
		.amdhsa_user_sgpr_private_segment_size 0
		.amdhsa_uses_dynamic_stack 0
		.amdhsa_system_sgpr_private_segment_wavefront_offset 0
		.amdhsa_system_sgpr_workgroup_id_x 1
		.amdhsa_system_sgpr_workgroup_id_y 0
		.amdhsa_system_sgpr_workgroup_id_z 0
		.amdhsa_system_sgpr_workgroup_info 0
		.amdhsa_system_vgpr_workitem_id 0
		.amdhsa_next_free_vgpr 1
		.amdhsa_next_free_sgpr 0
		.amdhsa_accum_offset 4
		.amdhsa_reserve_vcc 0
		.amdhsa_reserve_flat_scratch 0
		.amdhsa_float_round_mode_32 0
		.amdhsa_float_round_mode_16_64 0
		.amdhsa_float_denorm_mode_32 3
		.amdhsa_float_denorm_mode_16_64 3
		.amdhsa_dx10_clamp 1
		.amdhsa_ieee_mode 1
		.amdhsa_fp16_overflow 0
		.amdhsa_tg_split 0
		.amdhsa_exception_fp_ieee_invalid_op 0
		.amdhsa_exception_fp_denorm_src 0
		.amdhsa_exception_fp_ieee_div_zero 0
		.amdhsa_exception_fp_ieee_overflow 0
		.amdhsa_exception_fp_ieee_underflow 0
		.amdhsa_exception_fp_ieee_inexact 0
		.amdhsa_exception_int_div_zero 0
	.end_amdhsa_kernel
	.section	.text._ZN7rocprim17ROCPRIM_400000_NS6detail17trampoline_kernelINS0_14default_configENS1_20scan_config_selectorIjEEZZNS1_9scan_implILNS1_25lookback_scan_determinismE0ELb0ELb0ES3_N6thrust23THRUST_200600_302600_NS6detail15normal_iteratorINS9_10device_ptrIjEEEENS9_16discard_iteratorINS9_11use_defaultEEEj11max_functorIjEjEEDaPvRmT3_T4_T5_mT6_P12ihipStream_tbENKUlT_T0_E_clISt17integral_constantIbLb1EESW_IbLb0EEEEDaSS_ST_EUlSS_E0_NS1_11comp_targetILNS1_3genE3ELNS1_11target_archE908ELNS1_3gpuE7ELNS1_3repE0EEENS1_30default_config_static_selectorELNS0_4arch9wavefront6targetE1EEEvT1_,"axG",@progbits,_ZN7rocprim17ROCPRIM_400000_NS6detail17trampoline_kernelINS0_14default_configENS1_20scan_config_selectorIjEEZZNS1_9scan_implILNS1_25lookback_scan_determinismE0ELb0ELb0ES3_N6thrust23THRUST_200600_302600_NS6detail15normal_iteratorINS9_10device_ptrIjEEEENS9_16discard_iteratorINS9_11use_defaultEEEj11max_functorIjEjEEDaPvRmT3_T4_T5_mT6_P12ihipStream_tbENKUlT_T0_E_clISt17integral_constantIbLb1EESW_IbLb0EEEEDaSS_ST_EUlSS_E0_NS1_11comp_targetILNS1_3genE3ELNS1_11target_archE908ELNS1_3gpuE7ELNS1_3repE0EEENS1_30default_config_static_selectorELNS0_4arch9wavefront6targetE1EEEvT1_,comdat
.Lfunc_end3470:
	.size	_ZN7rocprim17ROCPRIM_400000_NS6detail17trampoline_kernelINS0_14default_configENS1_20scan_config_selectorIjEEZZNS1_9scan_implILNS1_25lookback_scan_determinismE0ELb0ELb0ES3_N6thrust23THRUST_200600_302600_NS6detail15normal_iteratorINS9_10device_ptrIjEEEENS9_16discard_iteratorINS9_11use_defaultEEEj11max_functorIjEjEEDaPvRmT3_T4_T5_mT6_P12ihipStream_tbENKUlT_T0_E_clISt17integral_constantIbLb1EESW_IbLb0EEEEDaSS_ST_EUlSS_E0_NS1_11comp_targetILNS1_3genE3ELNS1_11target_archE908ELNS1_3gpuE7ELNS1_3repE0EEENS1_30default_config_static_selectorELNS0_4arch9wavefront6targetE1EEEvT1_, .Lfunc_end3470-_ZN7rocprim17ROCPRIM_400000_NS6detail17trampoline_kernelINS0_14default_configENS1_20scan_config_selectorIjEEZZNS1_9scan_implILNS1_25lookback_scan_determinismE0ELb0ELb0ES3_N6thrust23THRUST_200600_302600_NS6detail15normal_iteratorINS9_10device_ptrIjEEEENS9_16discard_iteratorINS9_11use_defaultEEEj11max_functorIjEjEEDaPvRmT3_T4_T5_mT6_P12ihipStream_tbENKUlT_T0_E_clISt17integral_constantIbLb1EESW_IbLb0EEEEDaSS_ST_EUlSS_E0_NS1_11comp_targetILNS1_3genE3ELNS1_11target_archE908ELNS1_3gpuE7ELNS1_3repE0EEENS1_30default_config_static_selectorELNS0_4arch9wavefront6targetE1EEEvT1_
                                        ; -- End function
	.section	.AMDGPU.csdata,"",@progbits
; Kernel info:
; codeLenInByte = 0
; NumSgprs: 4
; NumVgprs: 0
; NumAgprs: 0
; TotalNumVgprs: 0
; ScratchSize: 0
; MemoryBound: 0
; FloatMode: 240
; IeeeMode: 1
; LDSByteSize: 0 bytes/workgroup (compile time only)
; SGPRBlocks: 0
; VGPRBlocks: 0
; NumSGPRsForWavesPerEU: 4
; NumVGPRsForWavesPerEU: 1
; AccumOffset: 4
; Occupancy: 8
; WaveLimiterHint : 0
; COMPUTE_PGM_RSRC2:SCRATCH_EN: 0
; COMPUTE_PGM_RSRC2:USER_SGPR: 6
; COMPUTE_PGM_RSRC2:TRAP_HANDLER: 0
; COMPUTE_PGM_RSRC2:TGID_X_EN: 1
; COMPUTE_PGM_RSRC2:TGID_Y_EN: 0
; COMPUTE_PGM_RSRC2:TGID_Z_EN: 0
; COMPUTE_PGM_RSRC2:TIDIG_COMP_CNT: 0
; COMPUTE_PGM_RSRC3_GFX90A:ACCUM_OFFSET: 0
; COMPUTE_PGM_RSRC3_GFX90A:TG_SPLIT: 0
	.section	.text._ZN7rocprim17ROCPRIM_400000_NS6detail17trampoline_kernelINS0_14default_configENS1_20scan_config_selectorIjEEZZNS1_9scan_implILNS1_25lookback_scan_determinismE0ELb0ELb0ES3_N6thrust23THRUST_200600_302600_NS6detail15normal_iteratorINS9_10device_ptrIjEEEENS9_16discard_iteratorINS9_11use_defaultEEEj11max_functorIjEjEEDaPvRmT3_T4_T5_mT6_P12ihipStream_tbENKUlT_T0_E_clISt17integral_constantIbLb1EESW_IbLb0EEEEDaSS_ST_EUlSS_E0_NS1_11comp_targetILNS1_3genE2ELNS1_11target_archE906ELNS1_3gpuE6ELNS1_3repE0EEENS1_30default_config_static_selectorELNS0_4arch9wavefront6targetE1EEEvT1_,"axG",@progbits,_ZN7rocprim17ROCPRIM_400000_NS6detail17trampoline_kernelINS0_14default_configENS1_20scan_config_selectorIjEEZZNS1_9scan_implILNS1_25lookback_scan_determinismE0ELb0ELb0ES3_N6thrust23THRUST_200600_302600_NS6detail15normal_iteratorINS9_10device_ptrIjEEEENS9_16discard_iteratorINS9_11use_defaultEEEj11max_functorIjEjEEDaPvRmT3_T4_T5_mT6_P12ihipStream_tbENKUlT_T0_E_clISt17integral_constantIbLb1EESW_IbLb0EEEEDaSS_ST_EUlSS_E0_NS1_11comp_targetILNS1_3genE2ELNS1_11target_archE906ELNS1_3gpuE6ELNS1_3repE0EEENS1_30default_config_static_selectorELNS0_4arch9wavefront6targetE1EEEvT1_,comdat
	.protected	_ZN7rocprim17ROCPRIM_400000_NS6detail17trampoline_kernelINS0_14default_configENS1_20scan_config_selectorIjEEZZNS1_9scan_implILNS1_25lookback_scan_determinismE0ELb0ELb0ES3_N6thrust23THRUST_200600_302600_NS6detail15normal_iteratorINS9_10device_ptrIjEEEENS9_16discard_iteratorINS9_11use_defaultEEEj11max_functorIjEjEEDaPvRmT3_T4_T5_mT6_P12ihipStream_tbENKUlT_T0_E_clISt17integral_constantIbLb1EESW_IbLb0EEEEDaSS_ST_EUlSS_E0_NS1_11comp_targetILNS1_3genE2ELNS1_11target_archE906ELNS1_3gpuE6ELNS1_3repE0EEENS1_30default_config_static_selectorELNS0_4arch9wavefront6targetE1EEEvT1_ ; -- Begin function _ZN7rocprim17ROCPRIM_400000_NS6detail17trampoline_kernelINS0_14default_configENS1_20scan_config_selectorIjEEZZNS1_9scan_implILNS1_25lookback_scan_determinismE0ELb0ELb0ES3_N6thrust23THRUST_200600_302600_NS6detail15normal_iteratorINS9_10device_ptrIjEEEENS9_16discard_iteratorINS9_11use_defaultEEEj11max_functorIjEjEEDaPvRmT3_T4_T5_mT6_P12ihipStream_tbENKUlT_T0_E_clISt17integral_constantIbLb1EESW_IbLb0EEEEDaSS_ST_EUlSS_E0_NS1_11comp_targetILNS1_3genE2ELNS1_11target_archE906ELNS1_3gpuE6ELNS1_3repE0EEENS1_30default_config_static_selectorELNS0_4arch9wavefront6targetE1EEEvT1_
	.globl	_ZN7rocprim17ROCPRIM_400000_NS6detail17trampoline_kernelINS0_14default_configENS1_20scan_config_selectorIjEEZZNS1_9scan_implILNS1_25lookback_scan_determinismE0ELb0ELb0ES3_N6thrust23THRUST_200600_302600_NS6detail15normal_iteratorINS9_10device_ptrIjEEEENS9_16discard_iteratorINS9_11use_defaultEEEj11max_functorIjEjEEDaPvRmT3_T4_T5_mT6_P12ihipStream_tbENKUlT_T0_E_clISt17integral_constantIbLb1EESW_IbLb0EEEEDaSS_ST_EUlSS_E0_NS1_11comp_targetILNS1_3genE2ELNS1_11target_archE906ELNS1_3gpuE6ELNS1_3repE0EEENS1_30default_config_static_selectorELNS0_4arch9wavefront6targetE1EEEvT1_
	.p2align	8
	.type	_ZN7rocprim17ROCPRIM_400000_NS6detail17trampoline_kernelINS0_14default_configENS1_20scan_config_selectorIjEEZZNS1_9scan_implILNS1_25lookback_scan_determinismE0ELb0ELb0ES3_N6thrust23THRUST_200600_302600_NS6detail15normal_iteratorINS9_10device_ptrIjEEEENS9_16discard_iteratorINS9_11use_defaultEEEj11max_functorIjEjEEDaPvRmT3_T4_T5_mT6_P12ihipStream_tbENKUlT_T0_E_clISt17integral_constantIbLb1EESW_IbLb0EEEEDaSS_ST_EUlSS_E0_NS1_11comp_targetILNS1_3genE2ELNS1_11target_archE906ELNS1_3gpuE6ELNS1_3repE0EEENS1_30default_config_static_selectorELNS0_4arch9wavefront6targetE1EEEvT1_,@function
_ZN7rocprim17ROCPRIM_400000_NS6detail17trampoline_kernelINS0_14default_configENS1_20scan_config_selectorIjEEZZNS1_9scan_implILNS1_25lookback_scan_determinismE0ELb0ELb0ES3_N6thrust23THRUST_200600_302600_NS6detail15normal_iteratorINS9_10device_ptrIjEEEENS9_16discard_iteratorINS9_11use_defaultEEEj11max_functorIjEjEEDaPvRmT3_T4_T5_mT6_P12ihipStream_tbENKUlT_T0_E_clISt17integral_constantIbLb1EESW_IbLb0EEEEDaSS_ST_EUlSS_E0_NS1_11comp_targetILNS1_3genE2ELNS1_11target_archE906ELNS1_3gpuE6ELNS1_3repE0EEENS1_30default_config_static_selectorELNS0_4arch9wavefront6targetE1EEEvT1_: ; @_ZN7rocprim17ROCPRIM_400000_NS6detail17trampoline_kernelINS0_14default_configENS1_20scan_config_selectorIjEEZZNS1_9scan_implILNS1_25lookback_scan_determinismE0ELb0ELb0ES3_N6thrust23THRUST_200600_302600_NS6detail15normal_iteratorINS9_10device_ptrIjEEEENS9_16discard_iteratorINS9_11use_defaultEEEj11max_functorIjEjEEDaPvRmT3_T4_T5_mT6_P12ihipStream_tbENKUlT_T0_E_clISt17integral_constantIbLb1EESW_IbLb0EEEEDaSS_ST_EUlSS_E0_NS1_11comp_targetILNS1_3genE2ELNS1_11target_archE906ELNS1_3gpuE6ELNS1_3repE0EEENS1_30default_config_static_selectorELNS0_4arch9wavefront6targetE1EEEvT1_
; %bb.0:
	.section	.rodata,"a",@progbits
	.p2align	6, 0x0
	.amdhsa_kernel _ZN7rocprim17ROCPRIM_400000_NS6detail17trampoline_kernelINS0_14default_configENS1_20scan_config_selectorIjEEZZNS1_9scan_implILNS1_25lookback_scan_determinismE0ELb0ELb0ES3_N6thrust23THRUST_200600_302600_NS6detail15normal_iteratorINS9_10device_ptrIjEEEENS9_16discard_iteratorINS9_11use_defaultEEEj11max_functorIjEjEEDaPvRmT3_T4_T5_mT6_P12ihipStream_tbENKUlT_T0_E_clISt17integral_constantIbLb1EESW_IbLb0EEEEDaSS_ST_EUlSS_E0_NS1_11comp_targetILNS1_3genE2ELNS1_11target_archE906ELNS1_3gpuE6ELNS1_3repE0EEENS1_30default_config_static_selectorELNS0_4arch9wavefront6targetE1EEEvT1_
		.amdhsa_group_segment_fixed_size 0
		.amdhsa_private_segment_fixed_size 0
		.amdhsa_kernarg_size 40
		.amdhsa_user_sgpr_count 6
		.amdhsa_user_sgpr_private_segment_buffer 1
		.amdhsa_user_sgpr_dispatch_ptr 0
		.amdhsa_user_sgpr_queue_ptr 0
		.amdhsa_user_sgpr_kernarg_segment_ptr 1
		.amdhsa_user_sgpr_dispatch_id 0
		.amdhsa_user_sgpr_flat_scratch_init 0
		.amdhsa_user_sgpr_kernarg_preload_length 0
		.amdhsa_user_sgpr_kernarg_preload_offset 0
		.amdhsa_user_sgpr_private_segment_size 0
		.amdhsa_uses_dynamic_stack 0
		.amdhsa_system_sgpr_private_segment_wavefront_offset 0
		.amdhsa_system_sgpr_workgroup_id_x 1
		.amdhsa_system_sgpr_workgroup_id_y 0
		.amdhsa_system_sgpr_workgroup_id_z 0
		.amdhsa_system_sgpr_workgroup_info 0
		.amdhsa_system_vgpr_workitem_id 0
		.amdhsa_next_free_vgpr 1
		.amdhsa_next_free_sgpr 0
		.amdhsa_accum_offset 4
		.amdhsa_reserve_vcc 0
		.amdhsa_reserve_flat_scratch 0
		.amdhsa_float_round_mode_32 0
		.amdhsa_float_round_mode_16_64 0
		.amdhsa_float_denorm_mode_32 3
		.amdhsa_float_denorm_mode_16_64 3
		.amdhsa_dx10_clamp 1
		.amdhsa_ieee_mode 1
		.amdhsa_fp16_overflow 0
		.amdhsa_tg_split 0
		.amdhsa_exception_fp_ieee_invalid_op 0
		.amdhsa_exception_fp_denorm_src 0
		.amdhsa_exception_fp_ieee_div_zero 0
		.amdhsa_exception_fp_ieee_overflow 0
		.amdhsa_exception_fp_ieee_underflow 0
		.amdhsa_exception_fp_ieee_inexact 0
		.amdhsa_exception_int_div_zero 0
	.end_amdhsa_kernel
	.section	.text._ZN7rocprim17ROCPRIM_400000_NS6detail17trampoline_kernelINS0_14default_configENS1_20scan_config_selectorIjEEZZNS1_9scan_implILNS1_25lookback_scan_determinismE0ELb0ELb0ES3_N6thrust23THRUST_200600_302600_NS6detail15normal_iteratorINS9_10device_ptrIjEEEENS9_16discard_iteratorINS9_11use_defaultEEEj11max_functorIjEjEEDaPvRmT3_T4_T5_mT6_P12ihipStream_tbENKUlT_T0_E_clISt17integral_constantIbLb1EESW_IbLb0EEEEDaSS_ST_EUlSS_E0_NS1_11comp_targetILNS1_3genE2ELNS1_11target_archE906ELNS1_3gpuE6ELNS1_3repE0EEENS1_30default_config_static_selectorELNS0_4arch9wavefront6targetE1EEEvT1_,"axG",@progbits,_ZN7rocprim17ROCPRIM_400000_NS6detail17trampoline_kernelINS0_14default_configENS1_20scan_config_selectorIjEEZZNS1_9scan_implILNS1_25lookback_scan_determinismE0ELb0ELb0ES3_N6thrust23THRUST_200600_302600_NS6detail15normal_iteratorINS9_10device_ptrIjEEEENS9_16discard_iteratorINS9_11use_defaultEEEj11max_functorIjEjEEDaPvRmT3_T4_T5_mT6_P12ihipStream_tbENKUlT_T0_E_clISt17integral_constantIbLb1EESW_IbLb0EEEEDaSS_ST_EUlSS_E0_NS1_11comp_targetILNS1_3genE2ELNS1_11target_archE906ELNS1_3gpuE6ELNS1_3repE0EEENS1_30default_config_static_selectorELNS0_4arch9wavefront6targetE1EEEvT1_,comdat
.Lfunc_end3471:
	.size	_ZN7rocprim17ROCPRIM_400000_NS6detail17trampoline_kernelINS0_14default_configENS1_20scan_config_selectorIjEEZZNS1_9scan_implILNS1_25lookback_scan_determinismE0ELb0ELb0ES3_N6thrust23THRUST_200600_302600_NS6detail15normal_iteratorINS9_10device_ptrIjEEEENS9_16discard_iteratorINS9_11use_defaultEEEj11max_functorIjEjEEDaPvRmT3_T4_T5_mT6_P12ihipStream_tbENKUlT_T0_E_clISt17integral_constantIbLb1EESW_IbLb0EEEEDaSS_ST_EUlSS_E0_NS1_11comp_targetILNS1_3genE2ELNS1_11target_archE906ELNS1_3gpuE6ELNS1_3repE0EEENS1_30default_config_static_selectorELNS0_4arch9wavefront6targetE1EEEvT1_, .Lfunc_end3471-_ZN7rocprim17ROCPRIM_400000_NS6detail17trampoline_kernelINS0_14default_configENS1_20scan_config_selectorIjEEZZNS1_9scan_implILNS1_25lookback_scan_determinismE0ELb0ELb0ES3_N6thrust23THRUST_200600_302600_NS6detail15normal_iteratorINS9_10device_ptrIjEEEENS9_16discard_iteratorINS9_11use_defaultEEEj11max_functorIjEjEEDaPvRmT3_T4_T5_mT6_P12ihipStream_tbENKUlT_T0_E_clISt17integral_constantIbLb1EESW_IbLb0EEEEDaSS_ST_EUlSS_E0_NS1_11comp_targetILNS1_3genE2ELNS1_11target_archE906ELNS1_3gpuE6ELNS1_3repE0EEENS1_30default_config_static_selectorELNS0_4arch9wavefront6targetE1EEEvT1_
                                        ; -- End function
	.section	.AMDGPU.csdata,"",@progbits
; Kernel info:
; codeLenInByte = 0
; NumSgprs: 4
; NumVgprs: 0
; NumAgprs: 0
; TotalNumVgprs: 0
; ScratchSize: 0
; MemoryBound: 0
; FloatMode: 240
; IeeeMode: 1
; LDSByteSize: 0 bytes/workgroup (compile time only)
; SGPRBlocks: 0
; VGPRBlocks: 0
; NumSGPRsForWavesPerEU: 4
; NumVGPRsForWavesPerEU: 1
; AccumOffset: 4
; Occupancy: 8
; WaveLimiterHint : 0
; COMPUTE_PGM_RSRC2:SCRATCH_EN: 0
; COMPUTE_PGM_RSRC2:USER_SGPR: 6
; COMPUTE_PGM_RSRC2:TRAP_HANDLER: 0
; COMPUTE_PGM_RSRC2:TGID_X_EN: 1
; COMPUTE_PGM_RSRC2:TGID_Y_EN: 0
; COMPUTE_PGM_RSRC2:TGID_Z_EN: 0
; COMPUTE_PGM_RSRC2:TIDIG_COMP_CNT: 0
; COMPUTE_PGM_RSRC3_GFX90A:ACCUM_OFFSET: 0
; COMPUTE_PGM_RSRC3_GFX90A:TG_SPLIT: 0
	.section	.text._ZN7rocprim17ROCPRIM_400000_NS6detail17trampoline_kernelINS0_14default_configENS1_20scan_config_selectorIjEEZZNS1_9scan_implILNS1_25lookback_scan_determinismE0ELb0ELb0ES3_N6thrust23THRUST_200600_302600_NS6detail15normal_iteratorINS9_10device_ptrIjEEEENS9_16discard_iteratorINS9_11use_defaultEEEj11max_functorIjEjEEDaPvRmT3_T4_T5_mT6_P12ihipStream_tbENKUlT_T0_E_clISt17integral_constantIbLb1EESW_IbLb0EEEEDaSS_ST_EUlSS_E0_NS1_11comp_targetILNS1_3genE10ELNS1_11target_archE1201ELNS1_3gpuE5ELNS1_3repE0EEENS1_30default_config_static_selectorELNS0_4arch9wavefront6targetE1EEEvT1_,"axG",@progbits,_ZN7rocprim17ROCPRIM_400000_NS6detail17trampoline_kernelINS0_14default_configENS1_20scan_config_selectorIjEEZZNS1_9scan_implILNS1_25lookback_scan_determinismE0ELb0ELb0ES3_N6thrust23THRUST_200600_302600_NS6detail15normal_iteratorINS9_10device_ptrIjEEEENS9_16discard_iteratorINS9_11use_defaultEEEj11max_functorIjEjEEDaPvRmT3_T4_T5_mT6_P12ihipStream_tbENKUlT_T0_E_clISt17integral_constantIbLb1EESW_IbLb0EEEEDaSS_ST_EUlSS_E0_NS1_11comp_targetILNS1_3genE10ELNS1_11target_archE1201ELNS1_3gpuE5ELNS1_3repE0EEENS1_30default_config_static_selectorELNS0_4arch9wavefront6targetE1EEEvT1_,comdat
	.protected	_ZN7rocprim17ROCPRIM_400000_NS6detail17trampoline_kernelINS0_14default_configENS1_20scan_config_selectorIjEEZZNS1_9scan_implILNS1_25lookback_scan_determinismE0ELb0ELb0ES3_N6thrust23THRUST_200600_302600_NS6detail15normal_iteratorINS9_10device_ptrIjEEEENS9_16discard_iteratorINS9_11use_defaultEEEj11max_functorIjEjEEDaPvRmT3_T4_T5_mT6_P12ihipStream_tbENKUlT_T0_E_clISt17integral_constantIbLb1EESW_IbLb0EEEEDaSS_ST_EUlSS_E0_NS1_11comp_targetILNS1_3genE10ELNS1_11target_archE1201ELNS1_3gpuE5ELNS1_3repE0EEENS1_30default_config_static_selectorELNS0_4arch9wavefront6targetE1EEEvT1_ ; -- Begin function _ZN7rocprim17ROCPRIM_400000_NS6detail17trampoline_kernelINS0_14default_configENS1_20scan_config_selectorIjEEZZNS1_9scan_implILNS1_25lookback_scan_determinismE0ELb0ELb0ES3_N6thrust23THRUST_200600_302600_NS6detail15normal_iteratorINS9_10device_ptrIjEEEENS9_16discard_iteratorINS9_11use_defaultEEEj11max_functorIjEjEEDaPvRmT3_T4_T5_mT6_P12ihipStream_tbENKUlT_T0_E_clISt17integral_constantIbLb1EESW_IbLb0EEEEDaSS_ST_EUlSS_E0_NS1_11comp_targetILNS1_3genE10ELNS1_11target_archE1201ELNS1_3gpuE5ELNS1_3repE0EEENS1_30default_config_static_selectorELNS0_4arch9wavefront6targetE1EEEvT1_
	.globl	_ZN7rocprim17ROCPRIM_400000_NS6detail17trampoline_kernelINS0_14default_configENS1_20scan_config_selectorIjEEZZNS1_9scan_implILNS1_25lookback_scan_determinismE0ELb0ELb0ES3_N6thrust23THRUST_200600_302600_NS6detail15normal_iteratorINS9_10device_ptrIjEEEENS9_16discard_iteratorINS9_11use_defaultEEEj11max_functorIjEjEEDaPvRmT3_T4_T5_mT6_P12ihipStream_tbENKUlT_T0_E_clISt17integral_constantIbLb1EESW_IbLb0EEEEDaSS_ST_EUlSS_E0_NS1_11comp_targetILNS1_3genE10ELNS1_11target_archE1201ELNS1_3gpuE5ELNS1_3repE0EEENS1_30default_config_static_selectorELNS0_4arch9wavefront6targetE1EEEvT1_
	.p2align	8
	.type	_ZN7rocprim17ROCPRIM_400000_NS6detail17trampoline_kernelINS0_14default_configENS1_20scan_config_selectorIjEEZZNS1_9scan_implILNS1_25lookback_scan_determinismE0ELb0ELb0ES3_N6thrust23THRUST_200600_302600_NS6detail15normal_iteratorINS9_10device_ptrIjEEEENS9_16discard_iteratorINS9_11use_defaultEEEj11max_functorIjEjEEDaPvRmT3_T4_T5_mT6_P12ihipStream_tbENKUlT_T0_E_clISt17integral_constantIbLb1EESW_IbLb0EEEEDaSS_ST_EUlSS_E0_NS1_11comp_targetILNS1_3genE10ELNS1_11target_archE1201ELNS1_3gpuE5ELNS1_3repE0EEENS1_30default_config_static_selectorELNS0_4arch9wavefront6targetE1EEEvT1_,@function
_ZN7rocprim17ROCPRIM_400000_NS6detail17trampoline_kernelINS0_14default_configENS1_20scan_config_selectorIjEEZZNS1_9scan_implILNS1_25lookback_scan_determinismE0ELb0ELb0ES3_N6thrust23THRUST_200600_302600_NS6detail15normal_iteratorINS9_10device_ptrIjEEEENS9_16discard_iteratorINS9_11use_defaultEEEj11max_functorIjEjEEDaPvRmT3_T4_T5_mT6_P12ihipStream_tbENKUlT_T0_E_clISt17integral_constantIbLb1EESW_IbLb0EEEEDaSS_ST_EUlSS_E0_NS1_11comp_targetILNS1_3genE10ELNS1_11target_archE1201ELNS1_3gpuE5ELNS1_3repE0EEENS1_30default_config_static_selectorELNS0_4arch9wavefront6targetE1EEEvT1_: ; @_ZN7rocprim17ROCPRIM_400000_NS6detail17trampoline_kernelINS0_14default_configENS1_20scan_config_selectorIjEEZZNS1_9scan_implILNS1_25lookback_scan_determinismE0ELb0ELb0ES3_N6thrust23THRUST_200600_302600_NS6detail15normal_iteratorINS9_10device_ptrIjEEEENS9_16discard_iteratorINS9_11use_defaultEEEj11max_functorIjEjEEDaPvRmT3_T4_T5_mT6_P12ihipStream_tbENKUlT_T0_E_clISt17integral_constantIbLb1EESW_IbLb0EEEEDaSS_ST_EUlSS_E0_NS1_11comp_targetILNS1_3genE10ELNS1_11target_archE1201ELNS1_3gpuE5ELNS1_3repE0EEENS1_30default_config_static_selectorELNS0_4arch9wavefront6targetE1EEEvT1_
; %bb.0:
	.section	.rodata,"a",@progbits
	.p2align	6, 0x0
	.amdhsa_kernel _ZN7rocprim17ROCPRIM_400000_NS6detail17trampoline_kernelINS0_14default_configENS1_20scan_config_selectorIjEEZZNS1_9scan_implILNS1_25lookback_scan_determinismE0ELb0ELb0ES3_N6thrust23THRUST_200600_302600_NS6detail15normal_iteratorINS9_10device_ptrIjEEEENS9_16discard_iteratorINS9_11use_defaultEEEj11max_functorIjEjEEDaPvRmT3_T4_T5_mT6_P12ihipStream_tbENKUlT_T0_E_clISt17integral_constantIbLb1EESW_IbLb0EEEEDaSS_ST_EUlSS_E0_NS1_11comp_targetILNS1_3genE10ELNS1_11target_archE1201ELNS1_3gpuE5ELNS1_3repE0EEENS1_30default_config_static_selectorELNS0_4arch9wavefront6targetE1EEEvT1_
		.amdhsa_group_segment_fixed_size 0
		.amdhsa_private_segment_fixed_size 0
		.amdhsa_kernarg_size 40
		.amdhsa_user_sgpr_count 6
		.amdhsa_user_sgpr_private_segment_buffer 1
		.amdhsa_user_sgpr_dispatch_ptr 0
		.amdhsa_user_sgpr_queue_ptr 0
		.amdhsa_user_sgpr_kernarg_segment_ptr 1
		.amdhsa_user_sgpr_dispatch_id 0
		.amdhsa_user_sgpr_flat_scratch_init 0
		.amdhsa_user_sgpr_kernarg_preload_length 0
		.amdhsa_user_sgpr_kernarg_preload_offset 0
		.amdhsa_user_sgpr_private_segment_size 0
		.amdhsa_uses_dynamic_stack 0
		.amdhsa_system_sgpr_private_segment_wavefront_offset 0
		.amdhsa_system_sgpr_workgroup_id_x 1
		.amdhsa_system_sgpr_workgroup_id_y 0
		.amdhsa_system_sgpr_workgroup_id_z 0
		.amdhsa_system_sgpr_workgroup_info 0
		.amdhsa_system_vgpr_workitem_id 0
		.amdhsa_next_free_vgpr 1
		.amdhsa_next_free_sgpr 0
		.amdhsa_accum_offset 4
		.amdhsa_reserve_vcc 0
		.amdhsa_reserve_flat_scratch 0
		.amdhsa_float_round_mode_32 0
		.amdhsa_float_round_mode_16_64 0
		.amdhsa_float_denorm_mode_32 3
		.amdhsa_float_denorm_mode_16_64 3
		.amdhsa_dx10_clamp 1
		.amdhsa_ieee_mode 1
		.amdhsa_fp16_overflow 0
		.amdhsa_tg_split 0
		.amdhsa_exception_fp_ieee_invalid_op 0
		.amdhsa_exception_fp_denorm_src 0
		.amdhsa_exception_fp_ieee_div_zero 0
		.amdhsa_exception_fp_ieee_overflow 0
		.amdhsa_exception_fp_ieee_underflow 0
		.amdhsa_exception_fp_ieee_inexact 0
		.amdhsa_exception_int_div_zero 0
	.end_amdhsa_kernel
	.section	.text._ZN7rocprim17ROCPRIM_400000_NS6detail17trampoline_kernelINS0_14default_configENS1_20scan_config_selectorIjEEZZNS1_9scan_implILNS1_25lookback_scan_determinismE0ELb0ELb0ES3_N6thrust23THRUST_200600_302600_NS6detail15normal_iteratorINS9_10device_ptrIjEEEENS9_16discard_iteratorINS9_11use_defaultEEEj11max_functorIjEjEEDaPvRmT3_T4_T5_mT6_P12ihipStream_tbENKUlT_T0_E_clISt17integral_constantIbLb1EESW_IbLb0EEEEDaSS_ST_EUlSS_E0_NS1_11comp_targetILNS1_3genE10ELNS1_11target_archE1201ELNS1_3gpuE5ELNS1_3repE0EEENS1_30default_config_static_selectorELNS0_4arch9wavefront6targetE1EEEvT1_,"axG",@progbits,_ZN7rocprim17ROCPRIM_400000_NS6detail17trampoline_kernelINS0_14default_configENS1_20scan_config_selectorIjEEZZNS1_9scan_implILNS1_25lookback_scan_determinismE0ELb0ELb0ES3_N6thrust23THRUST_200600_302600_NS6detail15normal_iteratorINS9_10device_ptrIjEEEENS9_16discard_iteratorINS9_11use_defaultEEEj11max_functorIjEjEEDaPvRmT3_T4_T5_mT6_P12ihipStream_tbENKUlT_T0_E_clISt17integral_constantIbLb1EESW_IbLb0EEEEDaSS_ST_EUlSS_E0_NS1_11comp_targetILNS1_3genE10ELNS1_11target_archE1201ELNS1_3gpuE5ELNS1_3repE0EEENS1_30default_config_static_selectorELNS0_4arch9wavefront6targetE1EEEvT1_,comdat
.Lfunc_end3472:
	.size	_ZN7rocprim17ROCPRIM_400000_NS6detail17trampoline_kernelINS0_14default_configENS1_20scan_config_selectorIjEEZZNS1_9scan_implILNS1_25lookback_scan_determinismE0ELb0ELb0ES3_N6thrust23THRUST_200600_302600_NS6detail15normal_iteratorINS9_10device_ptrIjEEEENS9_16discard_iteratorINS9_11use_defaultEEEj11max_functorIjEjEEDaPvRmT3_T4_T5_mT6_P12ihipStream_tbENKUlT_T0_E_clISt17integral_constantIbLb1EESW_IbLb0EEEEDaSS_ST_EUlSS_E0_NS1_11comp_targetILNS1_3genE10ELNS1_11target_archE1201ELNS1_3gpuE5ELNS1_3repE0EEENS1_30default_config_static_selectorELNS0_4arch9wavefront6targetE1EEEvT1_, .Lfunc_end3472-_ZN7rocprim17ROCPRIM_400000_NS6detail17trampoline_kernelINS0_14default_configENS1_20scan_config_selectorIjEEZZNS1_9scan_implILNS1_25lookback_scan_determinismE0ELb0ELb0ES3_N6thrust23THRUST_200600_302600_NS6detail15normal_iteratorINS9_10device_ptrIjEEEENS9_16discard_iteratorINS9_11use_defaultEEEj11max_functorIjEjEEDaPvRmT3_T4_T5_mT6_P12ihipStream_tbENKUlT_T0_E_clISt17integral_constantIbLb1EESW_IbLb0EEEEDaSS_ST_EUlSS_E0_NS1_11comp_targetILNS1_3genE10ELNS1_11target_archE1201ELNS1_3gpuE5ELNS1_3repE0EEENS1_30default_config_static_selectorELNS0_4arch9wavefront6targetE1EEEvT1_
                                        ; -- End function
	.section	.AMDGPU.csdata,"",@progbits
; Kernel info:
; codeLenInByte = 0
; NumSgprs: 4
; NumVgprs: 0
; NumAgprs: 0
; TotalNumVgprs: 0
; ScratchSize: 0
; MemoryBound: 0
; FloatMode: 240
; IeeeMode: 1
; LDSByteSize: 0 bytes/workgroup (compile time only)
; SGPRBlocks: 0
; VGPRBlocks: 0
; NumSGPRsForWavesPerEU: 4
; NumVGPRsForWavesPerEU: 1
; AccumOffset: 4
; Occupancy: 8
; WaveLimiterHint : 0
; COMPUTE_PGM_RSRC2:SCRATCH_EN: 0
; COMPUTE_PGM_RSRC2:USER_SGPR: 6
; COMPUTE_PGM_RSRC2:TRAP_HANDLER: 0
; COMPUTE_PGM_RSRC2:TGID_X_EN: 1
; COMPUTE_PGM_RSRC2:TGID_Y_EN: 0
; COMPUTE_PGM_RSRC2:TGID_Z_EN: 0
; COMPUTE_PGM_RSRC2:TIDIG_COMP_CNT: 0
; COMPUTE_PGM_RSRC3_GFX90A:ACCUM_OFFSET: 0
; COMPUTE_PGM_RSRC3_GFX90A:TG_SPLIT: 0
	.section	.text._ZN7rocprim17ROCPRIM_400000_NS6detail17trampoline_kernelINS0_14default_configENS1_20scan_config_selectorIjEEZZNS1_9scan_implILNS1_25lookback_scan_determinismE0ELb0ELb0ES3_N6thrust23THRUST_200600_302600_NS6detail15normal_iteratorINS9_10device_ptrIjEEEENS9_16discard_iteratorINS9_11use_defaultEEEj11max_functorIjEjEEDaPvRmT3_T4_T5_mT6_P12ihipStream_tbENKUlT_T0_E_clISt17integral_constantIbLb1EESW_IbLb0EEEEDaSS_ST_EUlSS_E0_NS1_11comp_targetILNS1_3genE10ELNS1_11target_archE1200ELNS1_3gpuE4ELNS1_3repE0EEENS1_30default_config_static_selectorELNS0_4arch9wavefront6targetE1EEEvT1_,"axG",@progbits,_ZN7rocprim17ROCPRIM_400000_NS6detail17trampoline_kernelINS0_14default_configENS1_20scan_config_selectorIjEEZZNS1_9scan_implILNS1_25lookback_scan_determinismE0ELb0ELb0ES3_N6thrust23THRUST_200600_302600_NS6detail15normal_iteratorINS9_10device_ptrIjEEEENS9_16discard_iteratorINS9_11use_defaultEEEj11max_functorIjEjEEDaPvRmT3_T4_T5_mT6_P12ihipStream_tbENKUlT_T0_E_clISt17integral_constantIbLb1EESW_IbLb0EEEEDaSS_ST_EUlSS_E0_NS1_11comp_targetILNS1_3genE10ELNS1_11target_archE1200ELNS1_3gpuE4ELNS1_3repE0EEENS1_30default_config_static_selectorELNS0_4arch9wavefront6targetE1EEEvT1_,comdat
	.protected	_ZN7rocprim17ROCPRIM_400000_NS6detail17trampoline_kernelINS0_14default_configENS1_20scan_config_selectorIjEEZZNS1_9scan_implILNS1_25lookback_scan_determinismE0ELb0ELb0ES3_N6thrust23THRUST_200600_302600_NS6detail15normal_iteratorINS9_10device_ptrIjEEEENS9_16discard_iteratorINS9_11use_defaultEEEj11max_functorIjEjEEDaPvRmT3_T4_T5_mT6_P12ihipStream_tbENKUlT_T0_E_clISt17integral_constantIbLb1EESW_IbLb0EEEEDaSS_ST_EUlSS_E0_NS1_11comp_targetILNS1_3genE10ELNS1_11target_archE1200ELNS1_3gpuE4ELNS1_3repE0EEENS1_30default_config_static_selectorELNS0_4arch9wavefront6targetE1EEEvT1_ ; -- Begin function _ZN7rocprim17ROCPRIM_400000_NS6detail17trampoline_kernelINS0_14default_configENS1_20scan_config_selectorIjEEZZNS1_9scan_implILNS1_25lookback_scan_determinismE0ELb0ELb0ES3_N6thrust23THRUST_200600_302600_NS6detail15normal_iteratorINS9_10device_ptrIjEEEENS9_16discard_iteratorINS9_11use_defaultEEEj11max_functorIjEjEEDaPvRmT3_T4_T5_mT6_P12ihipStream_tbENKUlT_T0_E_clISt17integral_constantIbLb1EESW_IbLb0EEEEDaSS_ST_EUlSS_E0_NS1_11comp_targetILNS1_3genE10ELNS1_11target_archE1200ELNS1_3gpuE4ELNS1_3repE0EEENS1_30default_config_static_selectorELNS0_4arch9wavefront6targetE1EEEvT1_
	.globl	_ZN7rocprim17ROCPRIM_400000_NS6detail17trampoline_kernelINS0_14default_configENS1_20scan_config_selectorIjEEZZNS1_9scan_implILNS1_25lookback_scan_determinismE0ELb0ELb0ES3_N6thrust23THRUST_200600_302600_NS6detail15normal_iteratorINS9_10device_ptrIjEEEENS9_16discard_iteratorINS9_11use_defaultEEEj11max_functorIjEjEEDaPvRmT3_T4_T5_mT6_P12ihipStream_tbENKUlT_T0_E_clISt17integral_constantIbLb1EESW_IbLb0EEEEDaSS_ST_EUlSS_E0_NS1_11comp_targetILNS1_3genE10ELNS1_11target_archE1200ELNS1_3gpuE4ELNS1_3repE0EEENS1_30default_config_static_selectorELNS0_4arch9wavefront6targetE1EEEvT1_
	.p2align	8
	.type	_ZN7rocprim17ROCPRIM_400000_NS6detail17trampoline_kernelINS0_14default_configENS1_20scan_config_selectorIjEEZZNS1_9scan_implILNS1_25lookback_scan_determinismE0ELb0ELb0ES3_N6thrust23THRUST_200600_302600_NS6detail15normal_iteratorINS9_10device_ptrIjEEEENS9_16discard_iteratorINS9_11use_defaultEEEj11max_functorIjEjEEDaPvRmT3_T4_T5_mT6_P12ihipStream_tbENKUlT_T0_E_clISt17integral_constantIbLb1EESW_IbLb0EEEEDaSS_ST_EUlSS_E0_NS1_11comp_targetILNS1_3genE10ELNS1_11target_archE1200ELNS1_3gpuE4ELNS1_3repE0EEENS1_30default_config_static_selectorELNS0_4arch9wavefront6targetE1EEEvT1_,@function
_ZN7rocprim17ROCPRIM_400000_NS6detail17trampoline_kernelINS0_14default_configENS1_20scan_config_selectorIjEEZZNS1_9scan_implILNS1_25lookback_scan_determinismE0ELb0ELb0ES3_N6thrust23THRUST_200600_302600_NS6detail15normal_iteratorINS9_10device_ptrIjEEEENS9_16discard_iteratorINS9_11use_defaultEEEj11max_functorIjEjEEDaPvRmT3_T4_T5_mT6_P12ihipStream_tbENKUlT_T0_E_clISt17integral_constantIbLb1EESW_IbLb0EEEEDaSS_ST_EUlSS_E0_NS1_11comp_targetILNS1_3genE10ELNS1_11target_archE1200ELNS1_3gpuE4ELNS1_3repE0EEENS1_30default_config_static_selectorELNS0_4arch9wavefront6targetE1EEEvT1_: ; @_ZN7rocprim17ROCPRIM_400000_NS6detail17trampoline_kernelINS0_14default_configENS1_20scan_config_selectorIjEEZZNS1_9scan_implILNS1_25lookback_scan_determinismE0ELb0ELb0ES3_N6thrust23THRUST_200600_302600_NS6detail15normal_iteratorINS9_10device_ptrIjEEEENS9_16discard_iteratorINS9_11use_defaultEEEj11max_functorIjEjEEDaPvRmT3_T4_T5_mT6_P12ihipStream_tbENKUlT_T0_E_clISt17integral_constantIbLb1EESW_IbLb0EEEEDaSS_ST_EUlSS_E0_NS1_11comp_targetILNS1_3genE10ELNS1_11target_archE1200ELNS1_3gpuE4ELNS1_3repE0EEENS1_30default_config_static_selectorELNS0_4arch9wavefront6targetE1EEEvT1_
; %bb.0:
	.section	.rodata,"a",@progbits
	.p2align	6, 0x0
	.amdhsa_kernel _ZN7rocprim17ROCPRIM_400000_NS6detail17trampoline_kernelINS0_14default_configENS1_20scan_config_selectorIjEEZZNS1_9scan_implILNS1_25lookback_scan_determinismE0ELb0ELb0ES3_N6thrust23THRUST_200600_302600_NS6detail15normal_iteratorINS9_10device_ptrIjEEEENS9_16discard_iteratorINS9_11use_defaultEEEj11max_functorIjEjEEDaPvRmT3_T4_T5_mT6_P12ihipStream_tbENKUlT_T0_E_clISt17integral_constantIbLb1EESW_IbLb0EEEEDaSS_ST_EUlSS_E0_NS1_11comp_targetILNS1_3genE10ELNS1_11target_archE1200ELNS1_3gpuE4ELNS1_3repE0EEENS1_30default_config_static_selectorELNS0_4arch9wavefront6targetE1EEEvT1_
		.amdhsa_group_segment_fixed_size 0
		.amdhsa_private_segment_fixed_size 0
		.amdhsa_kernarg_size 40
		.amdhsa_user_sgpr_count 6
		.amdhsa_user_sgpr_private_segment_buffer 1
		.amdhsa_user_sgpr_dispatch_ptr 0
		.amdhsa_user_sgpr_queue_ptr 0
		.amdhsa_user_sgpr_kernarg_segment_ptr 1
		.amdhsa_user_sgpr_dispatch_id 0
		.amdhsa_user_sgpr_flat_scratch_init 0
		.amdhsa_user_sgpr_kernarg_preload_length 0
		.amdhsa_user_sgpr_kernarg_preload_offset 0
		.amdhsa_user_sgpr_private_segment_size 0
		.amdhsa_uses_dynamic_stack 0
		.amdhsa_system_sgpr_private_segment_wavefront_offset 0
		.amdhsa_system_sgpr_workgroup_id_x 1
		.amdhsa_system_sgpr_workgroup_id_y 0
		.amdhsa_system_sgpr_workgroup_id_z 0
		.amdhsa_system_sgpr_workgroup_info 0
		.amdhsa_system_vgpr_workitem_id 0
		.amdhsa_next_free_vgpr 1
		.amdhsa_next_free_sgpr 0
		.amdhsa_accum_offset 4
		.amdhsa_reserve_vcc 0
		.amdhsa_reserve_flat_scratch 0
		.amdhsa_float_round_mode_32 0
		.amdhsa_float_round_mode_16_64 0
		.amdhsa_float_denorm_mode_32 3
		.amdhsa_float_denorm_mode_16_64 3
		.amdhsa_dx10_clamp 1
		.amdhsa_ieee_mode 1
		.amdhsa_fp16_overflow 0
		.amdhsa_tg_split 0
		.amdhsa_exception_fp_ieee_invalid_op 0
		.amdhsa_exception_fp_denorm_src 0
		.amdhsa_exception_fp_ieee_div_zero 0
		.amdhsa_exception_fp_ieee_overflow 0
		.amdhsa_exception_fp_ieee_underflow 0
		.amdhsa_exception_fp_ieee_inexact 0
		.amdhsa_exception_int_div_zero 0
	.end_amdhsa_kernel
	.section	.text._ZN7rocprim17ROCPRIM_400000_NS6detail17trampoline_kernelINS0_14default_configENS1_20scan_config_selectorIjEEZZNS1_9scan_implILNS1_25lookback_scan_determinismE0ELb0ELb0ES3_N6thrust23THRUST_200600_302600_NS6detail15normal_iteratorINS9_10device_ptrIjEEEENS9_16discard_iteratorINS9_11use_defaultEEEj11max_functorIjEjEEDaPvRmT3_T4_T5_mT6_P12ihipStream_tbENKUlT_T0_E_clISt17integral_constantIbLb1EESW_IbLb0EEEEDaSS_ST_EUlSS_E0_NS1_11comp_targetILNS1_3genE10ELNS1_11target_archE1200ELNS1_3gpuE4ELNS1_3repE0EEENS1_30default_config_static_selectorELNS0_4arch9wavefront6targetE1EEEvT1_,"axG",@progbits,_ZN7rocprim17ROCPRIM_400000_NS6detail17trampoline_kernelINS0_14default_configENS1_20scan_config_selectorIjEEZZNS1_9scan_implILNS1_25lookback_scan_determinismE0ELb0ELb0ES3_N6thrust23THRUST_200600_302600_NS6detail15normal_iteratorINS9_10device_ptrIjEEEENS9_16discard_iteratorINS9_11use_defaultEEEj11max_functorIjEjEEDaPvRmT3_T4_T5_mT6_P12ihipStream_tbENKUlT_T0_E_clISt17integral_constantIbLb1EESW_IbLb0EEEEDaSS_ST_EUlSS_E0_NS1_11comp_targetILNS1_3genE10ELNS1_11target_archE1200ELNS1_3gpuE4ELNS1_3repE0EEENS1_30default_config_static_selectorELNS0_4arch9wavefront6targetE1EEEvT1_,comdat
.Lfunc_end3473:
	.size	_ZN7rocprim17ROCPRIM_400000_NS6detail17trampoline_kernelINS0_14default_configENS1_20scan_config_selectorIjEEZZNS1_9scan_implILNS1_25lookback_scan_determinismE0ELb0ELb0ES3_N6thrust23THRUST_200600_302600_NS6detail15normal_iteratorINS9_10device_ptrIjEEEENS9_16discard_iteratorINS9_11use_defaultEEEj11max_functorIjEjEEDaPvRmT3_T4_T5_mT6_P12ihipStream_tbENKUlT_T0_E_clISt17integral_constantIbLb1EESW_IbLb0EEEEDaSS_ST_EUlSS_E0_NS1_11comp_targetILNS1_3genE10ELNS1_11target_archE1200ELNS1_3gpuE4ELNS1_3repE0EEENS1_30default_config_static_selectorELNS0_4arch9wavefront6targetE1EEEvT1_, .Lfunc_end3473-_ZN7rocprim17ROCPRIM_400000_NS6detail17trampoline_kernelINS0_14default_configENS1_20scan_config_selectorIjEEZZNS1_9scan_implILNS1_25lookback_scan_determinismE0ELb0ELb0ES3_N6thrust23THRUST_200600_302600_NS6detail15normal_iteratorINS9_10device_ptrIjEEEENS9_16discard_iteratorINS9_11use_defaultEEEj11max_functorIjEjEEDaPvRmT3_T4_T5_mT6_P12ihipStream_tbENKUlT_T0_E_clISt17integral_constantIbLb1EESW_IbLb0EEEEDaSS_ST_EUlSS_E0_NS1_11comp_targetILNS1_3genE10ELNS1_11target_archE1200ELNS1_3gpuE4ELNS1_3repE0EEENS1_30default_config_static_selectorELNS0_4arch9wavefront6targetE1EEEvT1_
                                        ; -- End function
	.section	.AMDGPU.csdata,"",@progbits
; Kernel info:
; codeLenInByte = 0
; NumSgprs: 4
; NumVgprs: 0
; NumAgprs: 0
; TotalNumVgprs: 0
; ScratchSize: 0
; MemoryBound: 0
; FloatMode: 240
; IeeeMode: 1
; LDSByteSize: 0 bytes/workgroup (compile time only)
; SGPRBlocks: 0
; VGPRBlocks: 0
; NumSGPRsForWavesPerEU: 4
; NumVGPRsForWavesPerEU: 1
; AccumOffset: 4
; Occupancy: 8
; WaveLimiterHint : 0
; COMPUTE_PGM_RSRC2:SCRATCH_EN: 0
; COMPUTE_PGM_RSRC2:USER_SGPR: 6
; COMPUTE_PGM_RSRC2:TRAP_HANDLER: 0
; COMPUTE_PGM_RSRC2:TGID_X_EN: 1
; COMPUTE_PGM_RSRC2:TGID_Y_EN: 0
; COMPUTE_PGM_RSRC2:TGID_Z_EN: 0
; COMPUTE_PGM_RSRC2:TIDIG_COMP_CNT: 0
; COMPUTE_PGM_RSRC3_GFX90A:ACCUM_OFFSET: 0
; COMPUTE_PGM_RSRC3_GFX90A:TG_SPLIT: 0
	.section	.text._ZN7rocprim17ROCPRIM_400000_NS6detail17trampoline_kernelINS0_14default_configENS1_20scan_config_selectorIjEEZZNS1_9scan_implILNS1_25lookback_scan_determinismE0ELb0ELb0ES3_N6thrust23THRUST_200600_302600_NS6detail15normal_iteratorINS9_10device_ptrIjEEEENS9_16discard_iteratorINS9_11use_defaultEEEj11max_functorIjEjEEDaPvRmT3_T4_T5_mT6_P12ihipStream_tbENKUlT_T0_E_clISt17integral_constantIbLb1EESW_IbLb0EEEEDaSS_ST_EUlSS_E0_NS1_11comp_targetILNS1_3genE9ELNS1_11target_archE1100ELNS1_3gpuE3ELNS1_3repE0EEENS1_30default_config_static_selectorELNS0_4arch9wavefront6targetE1EEEvT1_,"axG",@progbits,_ZN7rocprim17ROCPRIM_400000_NS6detail17trampoline_kernelINS0_14default_configENS1_20scan_config_selectorIjEEZZNS1_9scan_implILNS1_25lookback_scan_determinismE0ELb0ELb0ES3_N6thrust23THRUST_200600_302600_NS6detail15normal_iteratorINS9_10device_ptrIjEEEENS9_16discard_iteratorINS9_11use_defaultEEEj11max_functorIjEjEEDaPvRmT3_T4_T5_mT6_P12ihipStream_tbENKUlT_T0_E_clISt17integral_constantIbLb1EESW_IbLb0EEEEDaSS_ST_EUlSS_E0_NS1_11comp_targetILNS1_3genE9ELNS1_11target_archE1100ELNS1_3gpuE3ELNS1_3repE0EEENS1_30default_config_static_selectorELNS0_4arch9wavefront6targetE1EEEvT1_,comdat
	.protected	_ZN7rocprim17ROCPRIM_400000_NS6detail17trampoline_kernelINS0_14default_configENS1_20scan_config_selectorIjEEZZNS1_9scan_implILNS1_25lookback_scan_determinismE0ELb0ELb0ES3_N6thrust23THRUST_200600_302600_NS6detail15normal_iteratorINS9_10device_ptrIjEEEENS9_16discard_iteratorINS9_11use_defaultEEEj11max_functorIjEjEEDaPvRmT3_T4_T5_mT6_P12ihipStream_tbENKUlT_T0_E_clISt17integral_constantIbLb1EESW_IbLb0EEEEDaSS_ST_EUlSS_E0_NS1_11comp_targetILNS1_3genE9ELNS1_11target_archE1100ELNS1_3gpuE3ELNS1_3repE0EEENS1_30default_config_static_selectorELNS0_4arch9wavefront6targetE1EEEvT1_ ; -- Begin function _ZN7rocprim17ROCPRIM_400000_NS6detail17trampoline_kernelINS0_14default_configENS1_20scan_config_selectorIjEEZZNS1_9scan_implILNS1_25lookback_scan_determinismE0ELb0ELb0ES3_N6thrust23THRUST_200600_302600_NS6detail15normal_iteratorINS9_10device_ptrIjEEEENS9_16discard_iteratorINS9_11use_defaultEEEj11max_functorIjEjEEDaPvRmT3_T4_T5_mT6_P12ihipStream_tbENKUlT_T0_E_clISt17integral_constantIbLb1EESW_IbLb0EEEEDaSS_ST_EUlSS_E0_NS1_11comp_targetILNS1_3genE9ELNS1_11target_archE1100ELNS1_3gpuE3ELNS1_3repE0EEENS1_30default_config_static_selectorELNS0_4arch9wavefront6targetE1EEEvT1_
	.globl	_ZN7rocprim17ROCPRIM_400000_NS6detail17trampoline_kernelINS0_14default_configENS1_20scan_config_selectorIjEEZZNS1_9scan_implILNS1_25lookback_scan_determinismE0ELb0ELb0ES3_N6thrust23THRUST_200600_302600_NS6detail15normal_iteratorINS9_10device_ptrIjEEEENS9_16discard_iteratorINS9_11use_defaultEEEj11max_functorIjEjEEDaPvRmT3_T4_T5_mT6_P12ihipStream_tbENKUlT_T0_E_clISt17integral_constantIbLb1EESW_IbLb0EEEEDaSS_ST_EUlSS_E0_NS1_11comp_targetILNS1_3genE9ELNS1_11target_archE1100ELNS1_3gpuE3ELNS1_3repE0EEENS1_30default_config_static_selectorELNS0_4arch9wavefront6targetE1EEEvT1_
	.p2align	8
	.type	_ZN7rocprim17ROCPRIM_400000_NS6detail17trampoline_kernelINS0_14default_configENS1_20scan_config_selectorIjEEZZNS1_9scan_implILNS1_25lookback_scan_determinismE0ELb0ELb0ES3_N6thrust23THRUST_200600_302600_NS6detail15normal_iteratorINS9_10device_ptrIjEEEENS9_16discard_iteratorINS9_11use_defaultEEEj11max_functorIjEjEEDaPvRmT3_T4_T5_mT6_P12ihipStream_tbENKUlT_T0_E_clISt17integral_constantIbLb1EESW_IbLb0EEEEDaSS_ST_EUlSS_E0_NS1_11comp_targetILNS1_3genE9ELNS1_11target_archE1100ELNS1_3gpuE3ELNS1_3repE0EEENS1_30default_config_static_selectorELNS0_4arch9wavefront6targetE1EEEvT1_,@function
_ZN7rocprim17ROCPRIM_400000_NS6detail17trampoline_kernelINS0_14default_configENS1_20scan_config_selectorIjEEZZNS1_9scan_implILNS1_25lookback_scan_determinismE0ELb0ELb0ES3_N6thrust23THRUST_200600_302600_NS6detail15normal_iteratorINS9_10device_ptrIjEEEENS9_16discard_iteratorINS9_11use_defaultEEEj11max_functorIjEjEEDaPvRmT3_T4_T5_mT6_P12ihipStream_tbENKUlT_T0_E_clISt17integral_constantIbLb1EESW_IbLb0EEEEDaSS_ST_EUlSS_E0_NS1_11comp_targetILNS1_3genE9ELNS1_11target_archE1100ELNS1_3gpuE3ELNS1_3repE0EEENS1_30default_config_static_selectorELNS0_4arch9wavefront6targetE1EEEvT1_: ; @_ZN7rocprim17ROCPRIM_400000_NS6detail17trampoline_kernelINS0_14default_configENS1_20scan_config_selectorIjEEZZNS1_9scan_implILNS1_25lookback_scan_determinismE0ELb0ELb0ES3_N6thrust23THRUST_200600_302600_NS6detail15normal_iteratorINS9_10device_ptrIjEEEENS9_16discard_iteratorINS9_11use_defaultEEEj11max_functorIjEjEEDaPvRmT3_T4_T5_mT6_P12ihipStream_tbENKUlT_T0_E_clISt17integral_constantIbLb1EESW_IbLb0EEEEDaSS_ST_EUlSS_E0_NS1_11comp_targetILNS1_3genE9ELNS1_11target_archE1100ELNS1_3gpuE3ELNS1_3repE0EEENS1_30default_config_static_selectorELNS0_4arch9wavefront6targetE1EEEvT1_
; %bb.0:
	.section	.rodata,"a",@progbits
	.p2align	6, 0x0
	.amdhsa_kernel _ZN7rocprim17ROCPRIM_400000_NS6detail17trampoline_kernelINS0_14default_configENS1_20scan_config_selectorIjEEZZNS1_9scan_implILNS1_25lookback_scan_determinismE0ELb0ELb0ES3_N6thrust23THRUST_200600_302600_NS6detail15normal_iteratorINS9_10device_ptrIjEEEENS9_16discard_iteratorINS9_11use_defaultEEEj11max_functorIjEjEEDaPvRmT3_T4_T5_mT6_P12ihipStream_tbENKUlT_T0_E_clISt17integral_constantIbLb1EESW_IbLb0EEEEDaSS_ST_EUlSS_E0_NS1_11comp_targetILNS1_3genE9ELNS1_11target_archE1100ELNS1_3gpuE3ELNS1_3repE0EEENS1_30default_config_static_selectorELNS0_4arch9wavefront6targetE1EEEvT1_
		.amdhsa_group_segment_fixed_size 0
		.amdhsa_private_segment_fixed_size 0
		.amdhsa_kernarg_size 40
		.amdhsa_user_sgpr_count 6
		.amdhsa_user_sgpr_private_segment_buffer 1
		.amdhsa_user_sgpr_dispatch_ptr 0
		.amdhsa_user_sgpr_queue_ptr 0
		.amdhsa_user_sgpr_kernarg_segment_ptr 1
		.amdhsa_user_sgpr_dispatch_id 0
		.amdhsa_user_sgpr_flat_scratch_init 0
		.amdhsa_user_sgpr_kernarg_preload_length 0
		.amdhsa_user_sgpr_kernarg_preload_offset 0
		.amdhsa_user_sgpr_private_segment_size 0
		.amdhsa_uses_dynamic_stack 0
		.amdhsa_system_sgpr_private_segment_wavefront_offset 0
		.amdhsa_system_sgpr_workgroup_id_x 1
		.amdhsa_system_sgpr_workgroup_id_y 0
		.amdhsa_system_sgpr_workgroup_id_z 0
		.amdhsa_system_sgpr_workgroup_info 0
		.amdhsa_system_vgpr_workitem_id 0
		.amdhsa_next_free_vgpr 1
		.amdhsa_next_free_sgpr 0
		.amdhsa_accum_offset 4
		.amdhsa_reserve_vcc 0
		.amdhsa_reserve_flat_scratch 0
		.amdhsa_float_round_mode_32 0
		.amdhsa_float_round_mode_16_64 0
		.amdhsa_float_denorm_mode_32 3
		.amdhsa_float_denorm_mode_16_64 3
		.amdhsa_dx10_clamp 1
		.amdhsa_ieee_mode 1
		.amdhsa_fp16_overflow 0
		.amdhsa_tg_split 0
		.amdhsa_exception_fp_ieee_invalid_op 0
		.amdhsa_exception_fp_denorm_src 0
		.amdhsa_exception_fp_ieee_div_zero 0
		.amdhsa_exception_fp_ieee_overflow 0
		.amdhsa_exception_fp_ieee_underflow 0
		.amdhsa_exception_fp_ieee_inexact 0
		.amdhsa_exception_int_div_zero 0
	.end_amdhsa_kernel
	.section	.text._ZN7rocprim17ROCPRIM_400000_NS6detail17trampoline_kernelINS0_14default_configENS1_20scan_config_selectorIjEEZZNS1_9scan_implILNS1_25lookback_scan_determinismE0ELb0ELb0ES3_N6thrust23THRUST_200600_302600_NS6detail15normal_iteratorINS9_10device_ptrIjEEEENS9_16discard_iteratorINS9_11use_defaultEEEj11max_functorIjEjEEDaPvRmT3_T4_T5_mT6_P12ihipStream_tbENKUlT_T0_E_clISt17integral_constantIbLb1EESW_IbLb0EEEEDaSS_ST_EUlSS_E0_NS1_11comp_targetILNS1_3genE9ELNS1_11target_archE1100ELNS1_3gpuE3ELNS1_3repE0EEENS1_30default_config_static_selectorELNS0_4arch9wavefront6targetE1EEEvT1_,"axG",@progbits,_ZN7rocprim17ROCPRIM_400000_NS6detail17trampoline_kernelINS0_14default_configENS1_20scan_config_selectorIjEEZZNS1_9scan_implILNS1_25lookback_scan_determinismE0ELb0ELb0ES3_N6thrust23THRUST_200600_302600_NS6detail15normal_iteratorINS9_10device_ptrIjEEEENS9_16discard_iteratorINS9_11use_defaultEEEj11max_functorIjEjEEDaPvRmT3_T4_T5_mT6_P12ihipStream_tbENKUlT_T0_E_clISt17integral_constantIbLb1EESW_IbLb0EEEEDaSS_ST_EUlSS_E0_NS1_11comp_targetILNS1_3genE9ELNS1_11target_archE1100ELNS1_3gpuE3ELNS1_3repE0EEENS1_30default_config_static_selectorELNS0_4arch9wavefront6targetE1EEEvT1_,comdat
.Lfunc_end3474:
	.size	_ZN7rocprim17ROCPRIM_400000_NS6detail17trampoline_kernelINS0_14default_configENS1_20scan_config_selectorIjEEZZNS1_9scan_implILNS1_25lookback_scan_determinismE0ELb0ELb0ES3_N6thrust23THRUST_200600_302600_NS6detail15normal_iteratorINS9_10device_ptrIjEEEENS9_16discard_iteratorINS9_11use_defaultEEEj11max_functorIjEjEEDaPvRmT3_T4_T5_mT6_P12ihipStream_tbENKUlT_T0_E_clISt17integral_constantIbLb1EESW_IbLb0EEEEDaSS_ST_EUlSS_E0_NS1_11comp_targetILNS1_3genE9ELNS1_11target_archE1100ELNS1_3gpuE3ELNS1_3repE0EEENS1_30default_config_static_selectorELNS0_4arch9wavefront6targetE1EEEvT1_, .Lfunc_end3474-_ZN7rocprim17ROCPRIM_400000_NS6detail17trampoline_kernelINS0_14default_configENS1_20scan_config_selectorIjEEZZNS1_9scan_implILNS1_25lookback_scan_determinismE0ELb0ELb0ES3_N6thrust23THRUST_200600_302600_NS6detail15normal_iteratorINS9_10device_ptrIjEEEENS9_16discard_iteratorINS9_11use_defaultEEEj11max_functorIjEjEEDaPvRmT3_T4_T5_mT6_P12ihipStream_tbENKUlT_T0_E_clISt17integral_constantIbLb1EESW_IbLb0EEEEDaSS_ST_EUlSS_E0_NS1_11comp_targetILNS1_3genE9ELNS1_11target_archE1100ELNS1_3gpuE3ELNS1_3repE0EEENS1_30default_config_static_selectorELNS0_4arch9wavefront6targetE1EEEvT1_
                                        ; -- End function
	.section	.AMDGPU.csdata,"",@progbits
; Kernel info:
; codeLenInByte = 0
; NumSgprs: 4
; NumVgprs: 0
; NumAgprs: 0
; TotalNumVgprs: 0
; ScratchSize: 0
; MemoryBound: 0
; FloatMode: 240
; IeeeMode: 1
; LDSByteSize: 0 bytes/workgroup (compile time only)
; SGPRBlocks: 0
; VGPRBlocks: 0
; NumSGPRsForWavesPerEU: 4
; NumVGPRsForWavesPerEU: 1
; AccumOffset: 4
; Occupancy: 8
; WaveLimiterHint : 0
; COMPUTE_PGM_RSRC2:SCRATCH_EN: 0
; COMPUTE_PGM_RSRC2:USER_SGPR: 6
; COMPUTE_PGM_RSRC2:TRAP_HANDLER: 0
; COMPUTE_PGM_RSRC2:TGID_X_EN: 1
; COMPUTE_PGM_RSRC2:TGID_Y_EN: 0
; COMPUTE_PGM_RSRC2:TGID_Z_EN: 0
; COMPUTE_PGM_RSRC2:TIDIG_COMP_CNT: 0
; COMPUTE_PGM_RSRC3_GFX90A:ACCUM_OFFSET: 0
; COMPUTE_PGM_RSRC3_GFX90A:TG_SPLIT: 0
	.section	.text._ZN7rocprim17ROCPRIM_400000_NS6detail17trampoline_kernelINS0_14default_configENS1_20scan_config_selectorIjEEZZNS1_9scan_implILNS1_25lookback_scan_determinismE0ELb0ELb0ES3_N6thrust23THRUST_200600_302600_NS6detail15normal_iteratorINS9_10device_ptrIjEEEENS9_16discard_iteratorINS9_11use_defaultEEEj11max_functorIjEjEEDaPvRmT3_T4_T5_mT6_P12ihipStream_tbENKUlT_T0_E_clISt17integral_constantIbLb1EESW_IbLb0EEEEDaSS_ST_EUlSS_E0_NS1_11comp_targetILNS1_3genE8ELNS1_11target_archE1030ELNS1_3gpuE2ELNS1_3repE0EEENS1_30default_config_static_selectorELNS0_4arch9wavefront6targetE1EEEvT1_,"axG",@progbits,_ZN7rocprim17ROCPRIM_400000_NS6detail17trampoline_kernelINS0_14default_configENS1_20scan_config_selectorIjEEZZNS1_9scan_implILNS1_25lookback_scan_determinismE0ELb0ELb0ES3_N6thrust23THRUST_200600_302600_NS6detail15normal_iteratorINS9_10device_ptrIjEEEENS9_16discard_iteratorINS9_11use_defaultEEEj11max_functorIjEjEEDaPvRmT3_T4_T5_mT6_P12ihipStream_tbENKUlT_T0_E_clISt17integral_constantIbLb1EESW_IbLb0EEEEDaSS_ST_EUlSS_E0_NS1_11comp_targetILNS1_3genE8ELNS1_11target_archE1030ELNS1_3gpuE2ELNS1_3repE0EEENS1_30default_config_static_selectorELNS0_4arch9wavefront6targetE1EEEvT1_,comdat
	.protected	_ZN7rocprim17ROCPRIM_400000_NS6detail17trampoline_kernelINS0_14default_configENS1_20scan_config_selectorIjEEZZNS1_9scan_implILNS1_25lookback_scan_determinismE0ELb0ELb0ES3_N6thrust23THRUST_200600_302600_NS6detail15normal_iteratorINS9_10device_ptrIjEEEENS9_16discard_iteratorINS9_11use_defaultEEEj11max_functorIjEjEEDaPvRmT3_T4_T5_mT6_P12ihipStream_tbENKUlT_T0_E_clISt17integral_constantIbLb1EESW_IbLb0EEEEDaSS_ST_EUlSS_E0_NS1_11comp_targetILNS1_3genE8ELNS1_11target_archE1030ELNS1_3gpuE2ELNS1_3repE0EEENS1_30default_config_static_selectorELNS0_4arch9wavefront6targetE1EEEvT1_ ; -- Begin function _ZN7rocprim17ROCPRIM_400000_NS6detail17trampoline_kernelINS0_14default_configENS1_20scan_config_selectorIjEEZZNS1_9scan_implILNS1_25lookback_scan_determinismE0ELb0ELb0ES3_N6thrust23THRUST_200600_302600_NS6detail15normal_iteratorINS9_10device_ptrIjEEEENS9_16discard_iteratorINS9_11use_defaultEEEj11max_functorIjEjEEDaPvRmT3_T4_T5_mT6_P12ihipStream_tbENKUlT_T0_E_clISt17integral_constantIbLb1EESW_IbLb0EEEEDaSS_ST_EUlSS_E0_NS1_11comp_targetILNS1_3genE8ELNS1_11target_archE1030ELNS1_3gpuE2ELNS1_3repE0EEENS1_30default_config_static_selectorELNS0_4arch9wavefront6targetE1EEEvT1_
	.globl	_ZN7rocprim17ROCPRIM_400000_NS6detail17trampoline_kernelINS0_14default_configENS1_20scan_config_selectorIjEEZZNS1_9scan_implILNS1_25lookback_scan_determinismE0ELb0ELb0ES3_N6thrust23THRUST_200600_302600_NS6detail15normal_iteratorINS9_10device_ptrIjEEEENS9_16discard_iteratorINS9_11use_defaultEEEj11max_functorIjEjEEDaPvRmT3_T4_T5_mT6_P12ihipStream_tbENKUlT_T0_E_clISt17integral_constantIbLb1EESW_IbLb0EEEEDaSS_ST_EUlSS_E0_NS1_11comp_targetILNS1_3genE8ELNS1_11target_archE1030ELNS1_3gpuE2ELNS1_3repE0EEENS1_30default_config_static_selectorELNS0_4arch9wavefront6targetE1EEEvT1_
	.p2align	8
	.type	_ZN7rocprim17ROCPRIM_400000_NS6detail17trampoline_kernelINS0_14default_configENS1_20scan_config_selectorIjEEZZNS1_9scan_implILNS1_25lookback_scan_determinismE0ELb0ELb0ES3_N6thrust23THRUST_200600_302600_NS6detail15normal_iteratorINS9_10device_ptrIjEEEENS9_16discard_iteratorINS9_11use_defaultEEEj11max_functorIjEjEEDaPvRmT3_T4_T5_mT6_P12ihipStream_tbENKUlT_T0_E_clISt17integral_constantIbLb1EESW_IbLb0EEEEDaSS_ST_EUlSS_E0_NS1_11comp_targetILNS1_3genE8ELNS1_11target_archE1030ELNS1_3gpuE2ELNS1_3repE0EEENS1_30default_config_static_selectorELNS0_4arch9wavefront6targetE1EEEvT1_,@function
_ZN7rocprim17ROCPRIM_400000_NS6detail17trampoline_kernelINS0_14default_configENS1_20scan_config_selectorIjEEZZNS1_9scan_implILNS1_25lookback_scan_determinismE0ELb0ELb0ES3_N6thrust23THRUST_200600_302600_NS6detail15normal_iteratorINS9_10device_ptrIjEEEENS9_16discard_iteratorINS9_11use_defaultEEEj11max_functorIjEjEEDaPvRmT3_T4_T5_mT6_P12ihipStream_tbENKUlT_T0_E_clISt17integral_constantIbLb1EESW_IbLb0EEEEDaSS_ST_EUlSS_E0_NS1_11comp_targetILNS1_3genE8ELNS1_11target_archE1030ELNS1_3gpuE2ELNS1_3repE0EEENS1_30default_config_static_selectorELNS0_4arch9wavefront6targetE1EEEvT1_: ; @_ZN7rocprim17ROCPRIM_400000_NS6detail17trampoline_kernelINS0_14default_configENS1_20scan_config_selectorIjEEZZNS1_9scan_implILNS1_25lookback_scan_determinismE0ELb0ELb0ES3_N6thrust23THRUST_200600_302600_NS6detail15normal_iteratorINS9_10device_ptrIjEEEENS9_16discard_iteratorINS9_11use_defaultEEEj11max_functorIjEjEEDaPvRmT3_T4_T5_mT6_P12ihipStream_tbENKUlT_T0_E_clISt17integral_constantIbLb1EESW_IbLb0EEEEDaSS_ST_EUlSS_E0_NS1_11comp_targetILNS1_3genE8ELNS1_11target_archE1030ELNS1_3gpuE2ELNS1_3repE0EEENS1_30default_config_static_selectorELNS0_4arch9wavefront6targetE1EEEvT1_
; %bb.0:
	.section	.rodata,"a",@progbits
	.p2align	6, 0x0
	.amdhsa_kernel _ZN7rocprim17ROCPRIM_400000_NS6detail17trampoline_kernelINS0_14default_configENS1_20scan_config_selectorIjEEZZNS1_9scan_implILNS1_25lookback_scan_determinismE0ELb0ELb0ES3_N6thrust23THRUST_200600_302600_NS6detail15normal_iteratorINS9_10device_ptrIjEEEENS9_16discard_iteratorINS9_11use_defaultEEEj11max_functorIjEjEEDaPvRmT3_T4_T5_mT6_P12ihipStream_tbENKUlT_T0_E_clISt17integral_constantIbLb1EESW_IbLb0EEEEDaSS_ST_EUlSS_E0_NS1_11comp_targetILNS1_3genE8ELNS1_11target_archE1030ELNS1_3gpuE2ELNS1_3repE0EEENS1_30default_config_static_selectorELNS0_4arch9wavefront6targetE1EEEvT1_
		.amdhsa_group_segment_fixed_size 0
		.amdhsa_private_segment_fixed_size 0
		.amdhsa_kernarg_size 40
		.amdhsa_user_sgpr_count 6
		.amdhsa_user_sgpr_private_segment_buffer 1
		.amdhsa_user_sgpr_dispatch_ptr 0
		.amdhsa_user_sgpr_queue_ptr 0
		.amdhsa_user_sgpr_kernarg_segment_ptr 1
		.amdhsa_user_sgpr_dispatch_id 0
		.amdhsa_user_sgpr_flat_scratch_init 0
		.amdhsa_user_sgpr_kernarg_preload_length 0
		.amdhsa_user_sgpr_kernarg_preload_offset 0
		.amdhsa_user_sgpr_private_segment_size 0
		.amdhsa_uses_dynamic_stack 0
		.amdhsa_system_sgpr_private_segment_wavefront_offset 0
		.amdhsa_system_sgpr_workgroup_id_x 1
		.amdhsa_system_sgpr_workgroup_id_y 0
		.amdhsa_system_sgpr_workgroup_id_z 0
		.amdhsa_system_sgpr_workgroup_info 0
		.amdhsa_system_vgpr_workitem_id 0
		.amdhsa_next_free_vgpr 1
		.amdhsa_next_free_sgpr 0
		.amdhsa_accum_offset 4
		.amdhsa_reserve_vcc 0
		.amdhsa_reserve_flat_scratch 0
		.amdhsa_float_round_mode_32 0
		.amdhsa_float_round_mode_16_64 0
		.amdhsa_float_denorm_mode_32 3
		.amdhsa_float_denorm_mode_16_64 3
		.amdhsa_dx10_clamp 1
		.amdhsa_ieee_mode 1
		.amdhsa_fp16_overflow 0
		.amdhsa_tg_split 0
		.amdhsa_exception_fp_ieee_invalid_op 0
		.amdhsa_exception_fp_denorm_src 0
		.amdhsa_exception_fp_ieee_div_zero 0
		.amdhsa_exception_fp_ieee_overflow 0
		.amdhsa_exception_fp_ieee_underflow 0
		.amdhsa_exception_fp_ieee_inexact 0
		.amdhsa_exception_int_div_zero 0
	.end_amdhsa_kernel
	.section	.text._ZN7rocprim17ROCPRIM_400000_NS6detail17trampoline_kernelINS0_14default_configENS1_20scan_config_selectorIjEEZZNS1_9scan_implILNS1_25lookback_scan_determinismE0ELb0ELb0ES3_N6thrust23THRUST_200600_302600_NS6detail15normal_iteratorINS9_10device_ptrIjEEEENS9_16discard_iteratorINS9_11use_defaultEEEj11max_functorIjEjEEDaPvRmT3_T4_T5_mT6_P12ihipStream_tbENKUlT_T0_E_clISt17integral_constantIbLb1EESW_IbLb0EEEEDaSS_ST_EUlSS_E0_NS1_11comp_targetILNS1_3genE8ELNS1_11target_archE1030ELNS1_3gpuE2ELNS1_3repE0EEENS1_30default_config_static_selectorELNS0_4arch9wavefront6targetE1EEEvT1_,"axG",@progbits,_ZN7rocprim17ROCPRIM_400000_NS6detail17trampoline_kernelINS0_14default_configENS1_20scan_config_selectorIjEEZZNS1_9scan_implILNS1_25lookback_scan_determinismE0ELb0ELb0ES3_N6thrust23THRUST_200600_302600_NS6detail15normal_iteratorINS9_10device_ptrIjEEEENS9_16discard_iteratorINS9_11use_defaultEEEj11max_functorIjEjEEDaPvRmT3_T4_T5_mT6_P12ihipStream_tbENKUlT_T0_E_clISt17integral_constantIbLb1EESW_IbLb0EEEEDaSS_ST_EUlSS_E0_NS1_11comp_targetILNS1_3genE8ELNS1_11target_archE1030ELNS1_3gpuE2ELNS1_3repE0EEENS1_30default_config_static_selectorELNS0_4arch9wavefront6targetE1EEEvT1_,comdat
.Lfunc_end3475:
	.size	_ZN7rocprim17ROCPRIM_400000_NS6detail17trampoline_kernelINS0_14default_configENS1_20scan_config_selectorIjEEZZNS1_9scan_implILNS1_25lookback_scan_determinismE0ELb0ELb0ES3_N6thrust23THRUST_200600_302600_NS6detail15normal_iteratorINS9_10device_ptrIjEEEENS9_16discard_iteratorINS9_11use_defaultEEEj11max_functorIjEjEEDaPvRmT3_T4_T5_mT6_P12ihipStream_tbENKUlT_T0_E_clISt17integral_constantIbLb1EESW_IbLb0EEEEDaSS_ST_EUlSS_E0_NS1_11comp_targetILNS1_3genE8ELNS1_11target_archE1030ELNS1_3gpuE2ELNS1_3repE0EEENS1_30default_config_static_selectorELNS0_4arch9wavefront6targetE1EEEvT1_, .Lfunc_end3475-_ZN7rocprim17ROCPRIM_400000_NS6detail17trampoline_kernelINS0_14default_configENS1_20scan_config_selectorIjEEZZNS1_9scan_implILNS1_25lookback_scan_determinismE0ELb0ELb0ES3_N6thrust23THRUST_200600_302600_NS6detail15normal_iteratorINS9_10device_ptrIjEEEENS9_16discard_iteratorINS9_11use_defaultEEEj11max_functorIjEjEEDaPvRmT3_T4_T5_mT6_P12ihipStream_tbENKUlT_T0_E_clISt17integral_constantIbLb1EESW_IbLb0EEEEDaSS_ST_EUlSS_E0_NS1_11comp_targetILNS1_3genE8ELNS1_11target_archE1030ELNS1_3gpuE2ELNS1_3repE0EEENS1_30default_config_static_selectorELNS0_4arch9wavefront6targetE1EEEvT1_
                                        ; -- End function
	.section	.AMDGPU.csdata,"",@progbits
; Kernel info:
; codeLenInByte = 0
; NumSgprs: 4
; NumVgprs: 0
; NumAgprs: 0
; TotalNumVgprs: 0
; ScratchSize: 0
; MemoryBound: 0
; FloatMode: 240
; IeeeMode: 1
; LDSByteSize: 0 bytes/workgroup (compile time only)
; SGPRBlocks: 0
; VGPRBlocks: 0
; NumSGPRsForWavesPerEU: 4
; NumVGPRsForWavesPerEU: 1
; AccumOffset: 4
; Occupancy: 8
; WaveLimiterHint : 0
; COMPUTE_PGM_RSRC2:SCRATCH_EN: 0
; COMPUTE_PGM_RSRC2:USER_SGPR: 6
; COMPUTE_PGM_RSRC2:TRAP_HANDLER: 0
; COMPUTE_PGM_RSRC2:TGID_X_EN: 1
; COMPUTE_PGM_RSRC2:TGID_Y_EN: 0
; COMPUTE_PGM_RSRC2:TGID_Z_EN: 0
; COMPUTE_PGM_RSRC2:TIDIG_COMP_CNT: 0
; COMPUTE_PGM_RSRC3_GFX90A:ACCUM_OFFSET: 0
; COMPUTE_PGM_RSRC3_GFX90A:TG_SPLIT: 0
	.section	.text._ZN7rocprim17ROCPRIM_400000_NS6detail17trampoline_kernelINS0_14default_configENS1_20scan_config_selectorIjEEZZNS1_9scan_implILNS1_25lookback_scan_determinismE0ELb0ELb0ES3_N6thrust23THRUST_200600_302600_NS6detail15normal_iteratorINS9_10device_ptrIjEEEENS9_16discard_iteratorINS9_11use_defaultEEEj11max_functorIjEjEEDaPvRmT3_T4_T5_mT6_P12ihipStream_tbENKUlT_T0_E_clISt17integral_constantIbLb0EESW_IbLb1EEEEDaSS_ST_EUlSS_E_NS1_11comp_targetILNS1_3genE0ELNS1_11target_archE4294967295ELNS1_3gpuE0ELNS1_3repE0EEENS1_30default_config_static_selectorELNS0_4arch9wavefront6targetE1EEEvT1_,"axG",@progbits,_ZN7rocprim17ROCPRIM_400000_NS6detail17trampoline_kernelINS0_14default_configENS1_20scan_config_selectorIjEEZZNS1_9scan_implILNS1_25lookback_scan_determinismE0ELb0ELb0ES3_N6thrust23THRUST_200600_302600_NS6detail15normal_iteratorINS9_10device_ptrIjEEEENS9_16discard_iteratorINS9_11use_defaultEEEj11max_functorIjEjEEDaPvRmT3_T4_T5_mT6_P12ihipStream_tbENKUlT_T0_E_clISt17integral_constantIbLb0EESW_IbLb1EEEEDaSS_ST_EUlSS_E_NS1_11comp_targetILNS1_3genE0ELNS1_11target_archE4294967295ELNS1_3gpuE0ELNS1_3repE0EEENS1_30default_config_static_selectorELNS0_4arch9wavefront6targetE1EEEvT1_,comdat
	.protected	_ZN7rocprim17ROCPRIM_400000_NS6detail17trampoline_kernelINS0_14default_configENS1_20scan_config_selectorIjEEZZNS1_9scan_implILNS1_25lookback_scan_determinismE0ELb0ELb0ES3_N6thrust23THRUST_200600_302600_NS6detail15normal_iteratorINS9_10device_ptrIjEEEENS9_16discard_iteratorINS9_11use_defaultEEEj11max_functorIjEjEEDaPvRmT3_T4_T5_mT6_P12ihipStream_tbENKUlT_T0_E_clISt17integral_constantIbLb0EESW_IbLb1EEEEDaSS_ST_EUlSS_E_NS1_11comp_targetILNS1_3genE0ELNS1_11target_archE4294967295ELNS1_3gpuE0ELNS1_3repE0EEENS1_30default_config_static_selectorELNS0_4arch9wavefront6targetE1EEEvT1_ ; -- Begin function _ZN7rocprim17ROCPRIM_400000_NS6detail17trampoline_kernelINS0_14default_configENS1_20scan_config_selectorIjEEZZNS1_9scan_implILNS1_25lookback_scan_determinismE0ELb0ELb0ES3_N6thrust23THRUST_200600_302600_NS6detail15normal_iteratorINS9_10device_ptrIjEEEENS9_16discard_iteratorINS9_11use_defaultEEEj11max_functorIjEjEEDaPvRmT3_T4_T5_mT6_P12ihipStream_tbENKUlT_T0_E_clISt17integral_constantIbLb0EESW_IbLb1EEEEDaSS_ST_EUlSS_E_NS1_11comp_targetILNS1_3genE0ELNS1_11target_archE4294967295ELNS1_3gpuE0ELNS1_3repE0EEENS1_30default_config_static_selectorELNS0_4arch9wavefront6targetE1EEEvT1_
	.globl	_ZN7rocprim17ROCPRIM_400000_NS6detail17trampoline_kernelINS0_14default_configENS1_20scan_config_selectorIjEEZZNS1_9scan_implILNS1_25lookback_scan_determinismE0ELb0ELb0ES3_N6thrust23THRUST_200600_302600_NS6detail15normal_iteratorINS9_10device_ptrIjEEEENS9_16discard_iteratorINS9_11use_defaultEEEj11max_functorIjEjEEDaPvRmT3_T4_T5_mT6_P12ihipStream_tbENKUlT_T0_E_clISt17integral_constantIbLb0EESW_IbLb1EEEEDaSS_ST_EUlSS_E_NS1_11comp_targetILNS1_3genE0ELNS1_11target_archE4294967295ELNS1_3gpuE0ELNS1_3repE0EEENS1_30default_config_static_selectorELNS0_4arch9wavefront6targetE1EEEvT1_
	.p2align	8
	.type	_ZN7rocprim17ROCPRIM_400000_NS6detail17trampoline_kernelINS0_14default_configENS1_20scan_config_selectorIjEEZZNS1_9scan_implILNS1_25lookback_scan_determinismE0ELb0ELb0ES3_N6thrust23THRUST_200600_302600_NS6detail15normal_iteratorINS9_10device_ptrIjEEEENS9_16discard_iteratorINS9_11use_defaultEEEj11max_functorIjEjEEDaPvRmT3_T4_T5_mT6_P12ihipStream_tbENKUlT_T0_E_clISt17integral_constantIbLb0EESW_IbLb1EEEEDaSS_ST_EUlSS_E_NS1_11comp_targetILNS1_3genE0ELNS1_11target_archE4294967295ELNS1_3gpuE0ELNS1_3repE0EEENS1_30default_config_static_selectorELNS0_4arch9wavefront6targetE1EEEvT1_,@function
_ZN7rocprim17ROCPRIM_400000_NS6detail17trampoline_kernelINS0_14default_configENS1_20scan_config_selectorIjEEZZNS1_9scan_implILNS1_25lookback_scan_determinismE0ELb0ELb0ES3_N6thrust23THRUST_200600_302600_NS6detail15normal_iteratorINS9_10device_ptrIjEEEENS9_16discard_iteratorINS9_11use_defaultEEEj11max_functorIjEjEEDaPvRmT3_T4_T5_mT6_P12ihipStream_tbENKUlT_T0_E_clISt17integral_constantIbLb0EESW_IbLb1EEEEDaSS_ST_EUlSS_E_NS1_11comp_targetILNS1_3genE0ELNS1_11target_archE4294967295ELNS1_3gpuE0ELNS1_3repE0EEENS1_30default_config_static_selectorELNS0_4arch9wavefront6targetE1EEEvT1_: ; @_ZN7rocprim17ROCPRIM_400000_NS6detail17trampoline_kernelINS0_14default_configENS1_20scan_config_selectorIjEEZZNS1_9scan_implILNS1_25lookback_scan_determinismE0ELb0ELb0ES3_N6thrust23THRUST_200600_302600_NS6detail15normal_iteratorINS9_10device_ptrIjEEEENS9_16discard_iteratorINS9_11use_defaultEEEj11max_functorIjEjEEDaPvRmT3_T4_T5_mT6_P12ihipStream_tbENKUlT_T0_E_clISt17integral_constantIbLb0EESW_IbLb1EEEEDaSS_ST_EUlSS_E_NS1_11comp_targetILNS1_3genE0ELNS1_11target_archE4294967295ELNS1_3gpuE0ELNS1_3repE0EEENS1_30default_config_static_selectorELNS0_4arch9wavefront6targetE1EEEvT1_
; %bb.0:
	.section	.rodata,"a",@progbits
	.p2align	6, 0x0
	.amdhsa_kernel _ZN7rocprim17ROCPRIM_400000_NS6detail17trampoline_kernelINS0_14default_configENS1_20scan_config_selectorIjEEZZNS1_9scan_implILNS1_25lookback_scan_determinismE0ELb0ELb0ES3_N6thrust23THRUST_200600_302600_NS6detail15normal_iteratorINS9_10device_ptrIjEEEENS9_16discard_iteratorINS9_11use_defaultEEEj11max_functorIjEjEEDaPvRmT3_T4_T5_mT6_P12ihipStream_tbENKUlT_T0_E_clISt17integral_constantIbLb0EESW_IbLb1EEEEDaSS_ST_EUlSS_E_NS1_11comp_targetILNS1_3genE0ELNS1_11target_archE4294967295ELNS1_3gpuE0ELNS1_3repE0EEENS1_30default_config_static_selectorELNS0_4arch9wavefront6targetE1EEEvT1_
		.amdhsa_group_segment_fixed_size 0
		.amdhsa_private_segment_fixed_size 0
		.amdhsa_kernarg_size 104
		.amdhsa_user_sgpr_count 6
		.amdhsa_user_sgpr_private_segment_buffer 1
		.amdhsa_user_sgpr_dispatch_ptr 0
		.amdhsa_user_sgpr_queue_ptr 0
		.amdhsa_user_sgpr_kernarg_segment_ptr 1
		.amdhsa_user_sgpr_dispatch_id 0
		.amdhsa_user_sgpr_flat_scratch_init 0
		.amdhsa_user_sgpr_kernarg_preload_length 0
		.amdhsa_user_sgpr_kernarg_preload_offset 0
		.amdhsa_user_sgpr_private_segment_size 0
		.amdhsa_uses_dynamic_stack 0
		.amdhsa_system_sgpr_private_segment_wavefront_offset 0
		.amdhsa_system_sgpr_workgroup_id_x 1
		.amdhsa_system_sgpr_workgroup_id_y 0
		.amdhsa_system_sgpr_workgroup_id_z 0
		.amdhsa_system_sgpr_workgroup_info 0
		.amdhsa_system_vgpr_workitem_id 0
		.amdhsa_next_free_vgpr 1
		.amdhsa_next_free_sgpr 0
		.amdhsa_accum_offset 4
		.amdhsa_reserve_vcc 0
		.amdhsa_reserve_flat_scratch 0
		.amdhsa_float_round_mode_32 0
		.amdhsa_float_round_mode_16_64 0
		.amdhsa_float_denorm_mode_32 3
		.amdhsa_float_denorm_mode_16_64 3
		.amdhsa_dx10_clamp 1
		.amdhsa_ieee_mode 1
		.amdhsa_fp16_overflow 0
		.amdhsa_tg_split 0
		.amdhsa_exception_fp_ieee_invalid_op 0
		.amdhsa_exception_fp_denorm_src 0
		.amdhsa_exception_fp_ieee_div_zero 0
		.amdhsa_exception_fp_ieee_overflow 0
		.amdhsa_exception_fp_ieee_underflow 0
		.amdhsa_exception_fp_ieee_inexact 0
		.amdhsa_exception_int_div_zero 0
	.end_amdhsa_kernel
	.section	.text._ZN7rocprim17ROCPRIM_400000_NS6detail17trampoline_kernelINS0_14default_configENS1_20scan_config_selectorIjEEZZNS1_9scan_implILNS1_25lookback_scan_determinismE0ELb0ELb0ES3_N6thrust23THRUST_200600_302600_NS6detail15normal_iteratorINS9_10device_ptrIjEEEENS9_16discard_iteratorINS9_11use_defaultEEEj11max_functorIjEjEEDaPvRmT3_T4_T5_mT6_P12ihipStream_tbENKUlT_T0_E_clISt17integral_constantIbLb0EESW_IbLb1EEEEDaSS_ST_EUlSS_E_NS1_11comp_targetILNS1_3genE0ELNS1_11target_archE4294967295ELNS1_3gpuE0ELNS1_3repE0EEENS1_30default_config_static_selectorELNS0_4arch9wavefront6targetE1EEEvT1_,"axG",@progbits,_ZN7rocprim17ROCPRIM_400000_NS6detail17trampoline_kernelINS0_14default_configENS1_20scan_config_selectorIjEEZZNS1_9scan_implILNS1_25lookback_scan_determinismE0ELb0ELb0ES3_N6thrust23THRUST_200600_302600_NS6detail15normal_iteratorINS9_10device_ptrIjEEEENS9_16discard_iteratorINS9_11use_defaultEEEj11max_functorIjEjEEDaPvRmT3_T4_T5_mT6_P12ihipStream_tbENKUlT_T0_E_clISt17integral_constantIbLb0EESW_IbLb1EEEEDaSS_ST_EUlSS_E_NS1_11comp_targetILNS1_3genE0ELNS1_11target_archE4294967295ELNS1_3gpuE0ELNS1_3repE0EEENS1_30default_config_static_selectorELNS0_4arch9wavefront6targetE1EEEvT1_,comdat
.Lfunc_end3476:
	.size	_ZN7rocprim17ROCPRIM_400000_NS6detail17trampoline_kernelINS0_14default_configENS1_20scan_config_selectorIjEEZZNS1_9scan_implILNS1_25lookback_scan_determinismE0ELb0ELb0ES3_N6thrust23THRUST_200600_302600_NS6detail15normal_iteratorINS9_10device_ptrIjEEEENS9_16discard_iteratorINS9_11use_defaultEEEj11max_functorIjEjEEDaPvRmT3_T4_T5_mT6_P12ihipStream_tbENKUlT_T0_E_clISt17integral_constantIbLb0EESW_IbLb1EEEEDaSS_ST_EUlSS_E_NS1_11comp_targetILNS1_3genE0ELNS1_11target_archE4294967295ELNS1_3gpuE0ELNS1_3repE0EEENS1_30default_config_static_selectorELNS0_4arch9wavefront6targetE1EEEvT1_, .Lfunc_end3476-_ZN7rocprim17ROCPRIM_400000_NS6detail17trampoline_kernelINS0_14default_configENS1_20scan_config_selectorIjEEZZNS1_9scan_implILNS1_25lookback_scan_determinismE0ELb0ELb0ES3_N6thrust23THRUST_200600_302600_NS6detail15normal_iteratorINS9_10device_ptrIjEEEENS9_16discard_iteratorINS9_11use_defaultEEEj11max_functorIjEjEEDaPvRmT3_T4_T5_mT6_P12ihipStream_tbENKUlT_T0_E_clISt17integral_constantIbLb0EESW_IbLb1EEEEDaSS_ST_EUlSS_E_NS1_11comp_targetILNS1_3genE0ELNS1_11target_archE4294967295ELNS1_3gpuE0ELNS1_3repE0EEENS1_30default_config_static_selectorELNS0_4arch9wavefront6targetE1EEEvT1_
                                        ; -- End function
	.section	.AMDGPU.csdata,"",@progbits
; Kernel info:
; codeLenInByte = 0
; NumSgprs: 4
; NumVgprs: 0
; NumAgprs: 0
; TotalNumVgprs: 0
; ScratchSize: 0
; MemoryBound: 0
; FloatMode: 240
; IeeeMode: 1
; LDSByteSize: 0 bytes/workgroup (compile time only)
; SGPRBlocks: 0
; VGPRBlocks: 0
; NumSGPRsForWavesPerEU: 4
; NumVGPRsForWavesPerEU: 1
; AccumOffset: 4
; Occupancy: 8
; WaveLimiterHint : 0
; COMPUTE_PGM_RSRC2:SCRATCH_EN: 0
; COMPUTE_PGM_RSRC2:USER_SGPR: 6
; COMPUTE_PGM_RSRC2:TRAP_HANDLER: 0
; COMPUTE_PGM_RSRC2:TGID_X_EN: 1
; COMPUTE_PGM_RSRC2:TGID_Y_EN: 0
; COMPUTE_PGM_RSRC2:TGID_Z_EN: 0
; COMPUTE_PGM_RSRC2:TIDIG_COMP_CNT: 0
; COMPUTE_PGM_RSRC3_GFX90A:ACCUM_OFFSET: 0
; COMPUTE_PGM_RSRC3_GFX90A:TG_SPLIT: 0
	.section	.text._ZN7rocprim17ROCPRIM_400000_NS6detail17trampoline_kernelINS0_14default_configENS1_20scan_config_selectorIjEEZZNS1_9scan_implILNS1_25lookback_scan_determinismE0ELb0ELb0ES3_N6thrust23THRUST_200600_302600_NS6detail15normal_iteratorINS9_10device_ptrIjEEEENS9_16discard_iteratorINS9_11use_defaultEEEj11max_functorIjEjEEDaPvRmT3_T4_T5_mT6_P12ihipStream_tbENKUlT_T0_E_clISt17integral_constantIbLb0EESW_IbLb1EEEEDaSS_ST_EUlSS_E_NS1_11comp_targetILNS1_3genE5ELNS1_11target_archE942ELNS1_3gpuE9ELNS1_3repE0EEENS1_30default_config_static_selectorELNS0_4arch9wavefront6targetE1EEEvT1_,"axG",@progbits,_ZN7rocprim17ROCPRIM_400000_NS6detail17trampoline_kernelINS0_14default_configENS1_20scan_config_selectorIjEEZZNS1_9scan_implILNS1_25lookback_scan_determinismE0ELb0ELb0ES3_N6thrust23THRUST_200600_302600_NS6detail15normal_iteratorINS9_10device_ptrIjEEEENS9_16discard_iteratorINS9_11use_defaultEEEj11max_functorIjEjEEDaPvRmT3_T4_T5_mT6_P12ihipStream_tbENKUlT_T0_E_clISt17integral_constantIbLb0EESW_IbLb1EEEEDaSS_ST_EUlSS_E_NS1_11comp_targetILNS1_3genE5ELNS1_11target_archE942ELNS1_3gpuE9ELNS1_3repE0EEENS1_30default_config_static_selectorELNS0_4arch9wavefront6targetE1EEEvT1_,comdat
	.protected	_ZN7rocprim17ROCPRIM_400000_NS6detail17trampoline_kernelINS0_14default_configENS1_20scan_config_selectorIjEEZZNS1_9scan_implILNS1_25lookback_scan_determinismE0ELb0ELb0ES3_N6thrust23THRUST_200600_302600_NS6detail15normal_iteratorINS9_10device_ptrIjEEEENS9_16discard_iteratorINS9_11use_defaultEEEj11max_functorIjEjEEDaPvRmT3_T4_T5_mT6_P12ihipStream_tbENKUlT_T0_E_clISt17integral_constantIbLb0EESW_IbLb1EEEEDaSS_ST_EUlSS_E_NS1_11comp_targetILNS1_3genE5ELNS1_11target_archE942ELNS1_3gpuE9ELNS1_3repE0EEENS1_30default_config_static_selectorELNS0_4arch9wavefront6targetE1EEEvT1_ ; -- Begin function _ZN7rocprim17ROCPRIM_400000_NS6detail17trampoline_kernelINS0_14default_configENS1_20scan_config_selectorIjEEZZNS1_9scan_implILNS1_25lookback_scan_determinismE0ELb0ELb0ES3_N6thrust23THRUST_200600_302600_NS6detail15normal_iteratorINS9_10device_ptrIjEEEENS9_16discard_iteratorINS9_11use_defaultEEEj11max_functorIjEjEEDaPvRmT3_T4_T5_mT6_P12ihipStream_tbENKUlT_T0_E_clISt17integral_constantIbLb0EESW_IbLb1EEEEDaSS_ST_EUlSS_E_NS1_11comp_targetILNS1_3genE5ELNS1_11target_archE942ELNS1_3gpuE9ELNS1_3repE0EEENS1_30default_config_static_selectorELNS0_4arch9wavefront6targetE1EEEvT1_
	.globl	_ZN7rocprim17ROCPRIM_400000_NS6detail17trampoline_kernelINS0_14default_configENS1_20scan_config_selectorIjEEZZNS1_9scan_implILNS1_25lookback_scan_determinismE0ELb0ELb0ES3_N6thrust23THRUST_200600_302600_NS6detail15normal_iteratorINS9_10device_ptrIjEEEENS9_16discard_iteratorINS9_11use_defaultEEEj11max_functorIjEjEEDaPvRmT3_T4_T5_mT6_P12ihipStream_tbENKUlT_T0_E_clISt17integral_constantIbLb0EESW_IbLb1EEEEDaSS_ST_EUlSS_E_NS1_11comp_targetILNS1_3genE5ELNS1_11target_archE942ELNS1_3gpuE9ELNS1_3repE0EEENS1_30default_config_static_selectorELNS0_4arch9wavefront6targetE1EEEvT1_
	.p2align	8
	.type	_ZN7rocprim17ROCPRIM_400000_NS6detail17trampoline_kernelINS0_14default_configENS1_20scan_config_selectorIjEEZZNS1_9scan_implILNS1_25lookback_scan_determinismE0ELb0ELb0ES3_N6thrust23THRUST_200600_302600_NS6detail15normal_iteratorINS9_10device_ptrIjEEEENS9_16discard_iteratorINS9_11use_defaultEEEj11max_functorIjEjEEDaPvRmT3_T4_T5_mT6_P12ihipStream_tbENKUlT_T0_E_clISt17integral_constantIbLb0EESW_IbLb1EEEEDaSS_ST_EUlSS_E_NS1_11comp_targetILNS1_3genE5ELNS1_11target_archE942ELNS1_3gpuE9ELNS1_3repE0EEENS1_30default_config_static_selectorELNS0_4arch9wavefront6targetE1EEEvT1_,@function
_ZN7rocprim17ROCPRIM_400000_NS6detail17trampoline_kernelINS0_14default_configENS1_20scan_config_selectorIjEEZZNS1_9scan_implILNS1_25lookback_scan_determinismE0ELb0ELb0ES3_N6thrust23THRUST_200600_302600_NS6detail15normal_iteratorINS9_10device_ptrIjEEEENS9_16discard_iteratorINS9_11use_defaultEEEj11max_functorIjEjEEDaPvRmT3_T4_T5_mT6_P12ihipStream_tbENKUlT_T0_E_clISt17integral_constantIbLb0EESW_IbLb1EEEEDaSS_ST_EUlSS_E_NS1_11comp_targetILNS1_3genE5ELNS1_11target_archE942ELNS1_3gpuE9ELNS1_3repE0EEENS1_30default_config_static_selectorELNS0_4arch9wavefront6targetE1EEEvT1_: ; @_ZN7rocprim17ROCPRIM_400000_NS6detail17trampoline_kernelINS0_14default_configENS1_20scan_config_selectorIjEEZZNS1_9scan_implILNS1_25lookback_scan_determinismE0ELb0ELb0ES3_N6thrust23THRUST_200600_302600_NS6detail15normal_iteratorINS9_10device_ptrIjEEEENS9_16discard_iteratorINS9_11use_defaultEEEj11max_functorIjEjEEDaPvRmT3_T4_T5_mT6_P12ihipStream_tbENKUlT_T0_E_clISt17integral_constantIbLb0EESW_IbLb1EEEEDaSS_ST_EUlSS_E_NS1_11comp_targetILNS1_3genE5ELNS1_11target_archE942ELNS1_3gpuE9ELNS1_3repE0EEENS1_30default_config_static_selectorELNS0_4arch9wavefront6targetE1EEEvT1_
; %bb.0:
	.section	.rodata,"a",@progbits
	.p2align	6, 0x0
	.amdhsa_kernel _ZN7rocprim17ROCPRIM_400000_NS6detail17trampoline_kernelINS0_14default_configENS1_20scan_config_selectorIjEEZZNS1_9scan_implILNS1_25lookback_scan_determinismE0ELb0ELb0ES3_N6thrust23THRUST_200600_302600_NS6detail15normal_iteratorINS9_10device_ptrIjEEEENS9_16discard_iteratorINS9_11use_defaultEEEj11max_functorIjEjEEDaPvRmT3_T4_T5_mT6_P12ihipStream_tbENKUlT_T0_E_clISt17integral_constantIbLb0EESW_IbLb1EEEEDaSS_ST_EUlSS_E_NS1_11comp_targetILNS1_3genE5ELNS1_11target_archE942ELNS1_3gpuE9ELNS1_3repE0EEENS1_30default_config_static_selectorELNS0_4arch9wavefront6targetE1EEEvT1_
		.amdhsa_group_segment_fixed_size 0
		.amdhsa_private_segment_fixed_size 0
		.amdhsa_kernarg_size 104
		.amdhsa_user_sgpr_count 6
		.amdhsa_user_sgpr_private_segment_buffer 1
		.amdhsa_user_sgpr_dispatch_ptr 0
		.amdhsa_user_sgpr_queue_ptr 0
		.amdhsa_user_sgpr_kernarg_segment_ptr 1
		.amdhsa_user_sgpr_dispatch_id 0
		.amdhsa_user_sgpr_flat_scratch_init 0
		.amdhsa_user_sgpr_kernarg_preload_length 0
		.amdhsa_user_sgpr_kernarg_preload_offset 0
		.amdhsa_user_sgpr_private_segment_size 0
		.amdhsa_uses_dynamic_stack 0
		.amdhsa_system_sgpr_private_segment_wavefront_offset 0
		.amdhsa_system_sgpr_workgroup_id_x 1
		.amdhsa_system_sgpr_workgroup_id_y 0
		.amdhsa_system_sgpr_workgroup_id_z 0
		.amdhsa_system_sgpr_workgroup_info 0
		.amdhsa_system_vgpr_workitem_id 0
		.amdhsa_next_free_vgpr 1
		.amdhsa_next_free_sgpr 0
		.amdhsa_accum_offset 4
		.amdhsa_reserve_vcc 0
		.amdhsa_reserve_flat_scratch 0
		.amdhsa_float_round_mode_32 0
		.amdhsa_float_round_mode_16_64 0
		.amdhsa_float_denorm_mode_32 3
		.amdhsa_float_denorm_mode_16_64 3
		.amdhsa_dx10_clamp 1
		.amdhsa_ieee_mode 1
		.amdhsa_fp16_overflow 0
		.amdhsa_tg_split 0
		.amdhsa_exception_fp_ieee_invalid_op 0
		.amdhsa_exception_fp_denorm_src 0
		.amdhsa_exception_fp_ieee_div_zero 0
		.amdhsa_exception_fp_ieee_overflow 0
		.amdhsa_exception_fp_ieee_underflow 0
		.amdhsa_exception_fp_ieee_inexact 0
		.amdhsa_exception_int_div_zero 0
	.end_amdhsa_kernel
	.section	.text._ZN7rocprim17ROCPRIM_400000_NS6detail17trampoline_kernelINS0_14default_configENS1_20scan_config_selectorIjEEZZNS1_9scan_implILNS1_25lookback_scan_determinismE0ELb0ELb0ES3_N6thrust23THRUST_200600_302600_NS6detail15normal_iteratorINS9_10device_ptrIjEEEENS9_16discard_iteratorINS9_11use_defaultEEEj11max_functorIjEjEEDaPvRmT3_T4_T5_mT6_P12ihipStream_tbENKUlT_T0_E_clISt17integral_constantIbLb0EESW_IbLb1EEEEDaSS_ST_EUlSS_E_NS1_11comp_targetILNS1_3genE5ELNS1_11target_archE942ELNS1_3gpuE9ELNS1_3repE0EEENS1_30default_config_static_selectorELNS0_4arch9wavefront6targetE1EEEvT1_,"axG",@progbits,_ZN7rocprim17ROCPRIM_400000_NS6detail17trampoline_kernelINS0_14default_configENS1_20scan_config_selectorIjEEZZNS1_9scan_implILNS1_25lookback_scan_determinismE0ELb0ELb0ES3_N6thrust23THRUST_200600_302600_NS6detail15normal_iteratorINS9_10device_ptrIjEEEENS9_16discard_iteratorINS9_11use_defaultEEEj11max_functorIjEjEEDaPvRmT3_T4_T5_mT6_P12ihipStream_tbENKUlT_T0_E_clISt17integral_constantIbLb0EESW_IbLb1EEEEDaSS_ST_EUlSS_E_NS1_11comp_targetILNS1_3genE5ELNS1_11target_archE942ELNS1_3gpuE9ELNS1_3repE0EEENS1_30default_config_static_selectorELNS0_4arch9wavefront6targetE1EEEvT1_,comdat
.Lfunc_end3477:
	.size	_ZN7rocprim17ROCPRIM_400000_NS6detail17trampoline_kernelINS0_14default_configENS1_20scan_config_selectorIjEEZZNS1_9scan_implILNS1_25lookback_scan_determinismE0ELb0ELb0ES3_N6thrust23THRUST_200600_302600_NS6detail15normal_iteratorINS9_10device_ptrIjEEEENS9_16discard_iteratorINS9_11use_defaultEEEj11max_functorIjEjEEDaPvRmT3_T4_T5_mT6_P12ihipStream_tbENKUlT_T0_E_clISt17integral_constantIbLb0EESW_IbLb1EEEEDaSS_ST_EUlSS_E_NS1_11comp_targetILNS1_3genE5ELNS1_11target_archE942ELNS1_3gpuE9ELNS1_3repE0EEENS1_30default_config_static_selectorELNS0_4arch9wavefront6targetE1EEEvT1_, .Lfunc_end3477-_ZN7rocprim17ROCPRIM_400000_NS6detail17trampoline_kernelINS0_14default_configENS1_20scan_config_selectorIjEEZZNS1_9scan_implILNS1_25lookback_scan_determinismE0ELb0ELb0ES3_N6thrust23THRUST_200600_302600_NS6detail15normal_iteratorINS9_10device_ptrIjEEEENS9_16discard_iteratorINS9_11use_defaultEEEj11max_functorIjEjEEDaPvRmT3_T4_T5_mT6_P12ihipStream_tbENKUlT_T0_E_clISt17integral_constantIbLb0EESW_IbLb1EEEEDaSS_ST_EUlSS_E_NS1_11comp_targetILNS1_3genE5ELNS1_11target_archE942ELNS1_3gpuE9ELNS1_3repE0EEENS1_30default_config_static_selectorELNS0_4arch9wavefront6targetE1EEEvT1_
                                        ; -- End function
	.section	.AMDGPU.csdata,"",@progbits
; Kernel info:
; codeLenInByte = 0
; NumSgprs: 4
; NumVgprs: 0
; NumAgprs: 0
; TotalNumVgprs: 0
; ScratchSize: 0
; MemoryBound: 0
; FloatMode: 240
; IeeeMode: 1
; LDSByteSize: 0 bytes/workgroup (compile time only)
; SGPRBlocks: 0
; VGPRBlocks: 0
; NumSGPRsForWavesPerEU: 4
; NumVGPRsForWavesPerEU: 1
; AccumOffset: 4
; Occupancy: 8
; WaveLimiterHint : 0
; COMPUTE_PGM_RSRC2:SCRATCH_EN: 0
; COMPUTE_PGM_RSRC2:USER_SGPR: 6
; COMPUTE_PGM_RSRC2:TRAP_HANDLER: 0
; COMPUTE_PGM_RSRC2:TGID_X_EN: 1
; COMPUTE_PGM_RSRC2:TGID_Y_EN: 0
; COMPUTE_PGM_RSRC2:TGID_Z_EN: 0
; COMPUTE_PGM_RSRC2:TIDIG_COMP_CNT: 0
; COMPUTE_PGM_RSRC3_GFX90A:ACCUM_OFFSET: 0
; COMPUTE_PGM_RSRC3_GFX90A:TG_SPLIT: 0
	.section	.text._ZN7rocprim17ROCPRIM_400000_NS6detail17trampoline_kernelINS0_14default_configENS1_20scan_config_selectorIjEEZZNS1_9scan_implILNS1_25lookback_scan_determinismE0ELb0ELb0ES3_N6thrust23THRUST_200600_302600_NS6detail15normal_iteratorINS9_10device_ptrIjEEEENS9_16discard_iteratorINS9_11use_defaultEEEj11max_functorIjEjEEDaPvRmT3_T4_T5_mT6_P12ihipStream_tbENKUlT_T0_E_clISt17integral_constantIbLb0EESW_IbLb1EEEEDaSS_ST_EUlSS_E_NS1_11comp_targetILNS1_3genE4ELNS1_11target_archE910ELNS1_3gpuE8ELNS1_3repE0EEENS1_30default_config_static_selectorELNS0_4arch9wavefront6targetE1EEEvT1_,"axG",@progbits,_ZN7rocprim17ROCPRIM_400000_NS6detail17trampoline_kernelINS0_14default_configENS1_20scan_config_selectorIjEEZZNS1_9scan_implILNS1_25lookback_scan_determinismE0ELb0ELb0ES3_N6thrust23THRUST_200600_302600_NS6detail15normal_iteratorINS9_10device_ptrIjEEEENS9_16discard_iteratorINS9_11use_defaultEEEj11max_functorIjEjEEDaPvRmT3_T4_T5_mT6_P12ihipStream_tbENKUlT_T0_E_clISt17integral_constantIbLb0EESW_IbLb1EEEEDaSS_ST_EUlSS_E_NS1_11comp_targetILNS1_3genE4ELNS1_11target_archE910ELNS1_3gpuE8ELNS1_3repE0EEENS1_30default_config_static_selectorELNS0_4arch9wavefront6targetE1EEEvT1_,comdat
	.protected	_ZN7rocprim17ROCPRIM_400000_NS6detail17trampoline_kernelINS0_14default_configENS1_20scan_config_selectorIjEEZZNS1_9scan_implILNS1_25lookback_scan_determinismE0ELb0ELb0ES3_N6thrust23THRUST_200600_302600_NS6detail15normal_iteratorINS9_10device_ptrIjEEEENS9_16discard_iteratorINS9_11use_defaultEEEj11max_functorIjEjEEDaPvRmT3_T4_T5_mT6_P12ihipStream_tbENKUlT_T0_E_clISt17integral_constantIbLb0EESW_IbLb1EEEEDaSS_ST_EUlSS_E_NS1_11comp_targetILNS1_3genE4ELNS1_11target_archE910ELNS1_3gpuE8ELNS1_3repE0EEENS1_30default_config_static_selectorELNS0_4arch9wavefront6targetE1EEEvT1_ ; -- Begin function _ZN7rocprim17ROCPRIM_400000_NS6detail17trampoline_kernelINS0_14default_configENS1_20scan_config_selectorIjEEZZNS1_9scan_implILNS1_25lookback_scan_determinismE0ELb0ELb0ES3_N6thrust23THRUST_200600_302600_NS6detail15normal_iteratorINS9_10device_ptrIjEEEENS9_16discard_iteratorINS9_11use_defaultEEEj11max_functorIjEjEEDaPvRmT3_T4_T5_mT6_P12ihipStream_tbENKUlT_T0_E_clISt17integral_constantIbLb0EESW_IbLb1EEEEDaSS_ST_EUlSS_E_NS1_11comp_targetILNS1_3genE4ELNS1_11target_archE910ELNS1_3gpuE8ELNS1_3repE0EEENS1_30default_config_static_selectorELNS0_4arch9wavefront6targetE1EEEvT1_
	.globl	_ZN7rocprim17ROCPRIM_400000_NS6detail17trampoline_kernelINS0_14default_configENS1_20scan_config_selectorIjEEZZNS1_9scan_implILNS1_25lookback_scan_determinismE0ELb0ELb0ES3_N6thrust23THRUST_200600_302600_NS6detail15normal_iteratorINS9_10device_ptrIjEEEENS9_16discard_iteratorINS9_11use_defaultEEEj11max_functorIjEjEEDaPvRmT3_T4_T5_mT6_P12ihipStream_tbENKUlT_T0_E_clISt17integral_constantIbLb0EESW_IbLb1EEEEDaSS_ST_EUlSS_E_NS1_11comp_targetILNS1_3genE4ELNS1_11target_archE910ELNS1_3gpuE8ELNS1_3repE0EEENS1_30default_config_static_selectorELNS0_4arch9wavefront6targetE1EEEvT1_
	.p2align	8
	.type	_ZN7rocprim17ROCPRIM_400000_NS6detail17trampoline_kernelINS0_14default_configENS1_20scan_config_selectorIjEEZZNS1_9scan_implILNS1_25lookback_scan_determinismE0ELb0ELb0ES3_N6thrust23THRUST_200600_302600_NS6detail15normal_iteratorINS9_10device_ptrIjEEEENS9_16discard_iteratorINS9_11use_defaultEEEj11max_functorIjEjEEDaPvRmT3_T4_T5_mT6_P12ihipStream_tbENKUlT_T0_E_clISt17integral_constantIbLb0EESW_IbLb1EEEEDaSS_ST_EUlSS_E_NS1_11comp_targetILNS1_3genE4ELNS1_11target_archE910ELNS1_3gpuE8ELNS1_3repE0EEENS1_30default_config_static_selectorELNS0_4arch9wavefront6targetE1EEEvT1_,@function
_ZN7rocprim17ROCPRIM_400000_NS6detail17trampoline_kernelINS0_14default_configENS1_20scan_config_selectorIjEEZZNS1_9scan_implILNS1_25lookback_scan_determinismE0ELb0ELb0ES3_N6thrust23THRUST_200600_302600_NS6detail15normal_iteratorINS9_10device_ptrIjEEEENS9_16discard_iteratorINS9_11use_defaultEEEj11max_functorIjEjEEDaPvRmT3_T4_T5_mT6_P12ihipStream_tbENKUlT_T0_E_clISt17integral_constantIbLb0EESW_IbLb1EEEEDaSS_ST_EUlSS_E_NS1_11comp_targetILNS1_3genE4ELNS1_11target_archE910ELNS1_3gpuE8ELNS1_3repE0EEENS1_30default_config_static_selectorELNS0_4arch9wavefront6targetE1EEEvT1_: ; @_ZN7rocprim17ROCPRIM_400000_NS6detail17trampoline_kernelINS0_14default_configENS1_20scan_config_selectorIjEEZZNS1_9scan_implILNS1_25lookback_scan_determinismE0ELb0ELb0ES3_N6thrust23THRUST_200600_302600_NS6detail15normal_iteratorINS9_10device_ptrIjEEEENS9_16discard_iteratorINS9_11use_defaultEEEj11max_functorIjEjEEDaPvRmT3_T4_T5_mT6_P12ihipStream_tbENKUlT_T0_E_clISt17integral_constantIbLb0EESW_IbLb1EEEEDaSS_ST_EUlSS_E_NS1_11comp_targetILNS1_3genE4ELNS1_11target_archE910ELNS1_3gpuE8ELNS1_3repE0EEENS1_30default_config_static_selectorELNS0_4arch9wavefront6targetE1EEEvT1_
; %bb.0:
	s_load_dwordx2 s[20:21], s[4:5], 0x20
	s_load_dwordx2 s[6:7], s[4:5], 0x30
	v_cmp_ne_u32_e64 s[0:1], 0, v0
	v_cmp_eq_u32_e64 s[2:3], 0, v0
	s_and_saveexec_b64 s[8:9], s[2:3]
	s_cbranch_execz .LBB3478_4
; %bb.1:
	s_mov_b64 s[12:13], exec
	v_mbcnt_lo_u32_b32 v1, s12, 0
	v_mbcnt_hi_u32_b32 v1, s13, v1
	v_cmp_eq_u32_e32 vcc, 0, v1
                                        ; implicit-def: $vgpr2
	s_and_saveexec_b64 s[10:11], vcc
	s_cbranch_execz .LBB3478_3
; %bb.2:
	s_load_dwordx2 s[14:15], s[4:5], 0x60
	s_bcnt1_i32_b64 s12, s[12:13]
	v_mov_b32_e32 v2, 0
	v_mov_b32_e32 v3, s12
	s_waitcnt lgkmcnt(0)
	global_atomic_add v2, v2, v3, s[14:15] glc
.LBB3478_3:
	s_or_b64 exec, exec, s[10:11]
	s_waitcnt vmcnt(0)
	v_readfirstlane_b32 s10, v2
	v_add_u32_e32 v1, s10, v1
	v_mov_b32_e32 v2, 0
	ds_write_b32 v2, v1
.LBB3478_4:
	s_or_b64 exec, exec, s[8:9]
	v_mov_b32_e32 v3, 0
	s_load_dwordx4 s[16:19], s[4:5], 0x0
	s_load_dword s22, s[4:5], 0x38
	s_load_dwordx8 s[8:15], s[4:5], 0x40
	s_waitcnt lgkmcnt(0)
	s_barrier
	ds_read_b32 v1, v3
	s_lshl_b64 s[4:5], s[18:19], 2
	s_add_u32 s4, s16, s4
	s_movk_i32 s16, 0x500
	s_addc_u32 s5, s17, s5
	s_waitcnt lgkmcnt(0)
	v_mul_lo_u32 v2, v1, s16
	s_add_i32 s16, s22, -1
	s_mul_i32 s17, s16, 0x500
	s_sub_u32 s24, s20, s17
	v_readfirstlane_b32 s26, v1
	s_subb_u32 s25, s21, 0
	v_lshlrev_b64 v[2:3], 2, v[2:3]
	s_cmp_lg_u32 s26, s16
	v_mov_b32_e32 v1, s5
	v_add_co_u32_e32 v12, vcc, s4, v2
	s_cselect_b64 s[16:17], -1, 0
	v_addc_co_u32_e32 v13, vcc, v1, v3, vcc
	s_mov_b64 s[4:5], -1
	s_and_b64 vcc, exec, s[16:17]
	v_lshlrev_b32_e32 v11, 2, v0
	s_barrier
	s_cbranch_vccz .LBB3478_6
; %bb.5:
	v_add_co_u32_e32 v2, vcc, v12, v11
	v_addc_co_u32_e32 v3, vcc, 0, v13, vcc
	flat_load_dword v1, v[2:3]
	flat_load_dword v4, v[2:3] offset:512
	flat_load_dword v5, v[2:3] offset:1024
	;; [unrolled: 1-line block ×7, first 2 shown]
	v_add_co_u32_e32 v2, vcc, 0x1000, v2
	v_addc_co_u32_e32 v3, vcc, 0, v3, vcc
	flat_load_dword v14, v[2:3]
	flat_load_dword v15, v[2:3] offset:512
	s_mov_b64 s[4:5], 0
	s_waitcnt vmcnt(0) lgkmcnt(0)
	ds_write2st64_b32 v11, v1, v4 offset1:2
	ds_write2st64_b32 v11, v5, v6 offset0:4 offset1:6
	ds_write2st64_b32 v11, v7, v8 offset0:8 offset1:10
	;; [unrolled: 1-line block ×4, first 2 shown]
	s_waitcnt lgkmcnt(0)
	s_barrier
.LBB3478_6:
	s_andn2_b64 vcc, exec, s[4:5]
	s_cbranch_vccnz .LBB3478_28
; %bb.7:
	flat_load_dword v1, v[12:13]
	v_cmp_gt_u32_e32 vcc, s24, v0
	s_waitcnt vmcnt(0) lgkmcnt(0)
	v_mov_b32_e32 v2, v1
	v_mov_b32_e32 v3, v1
	;; [unrolled: 1-line block ×9, first 2 shown]
	s_and_saveexec_b64 s[4:5], vcc
	s_cbranch_execz .LBB3478_9
; %bb.8:
	v_add_co_u32_e32 v14, vcc, v12, v11
	v_addc_co_u32_e32 v15, vcc, 0, v13, vcc
	flat_load_dword v10, v[14:15]
.LBB3478_9:
	s_or_b64 exec, exec, s[4:5]
	v_or_b32_e32 v14, 0x80, v0
	v_cmp_gt_u32_e32 vcc, s24, v14
	s_and_saveexec_b64 s[4:5], vcc
	s_cbranch_execz .LBB3478_11
; %bb.10:
	v_add_co_u32_e32 v14, vcc, v12, v11
	v_addc_co_u32_e32 v15, vcc, 0, v13, vcc
	flat_load_dword v1, v[14:15] offset:512
.LBB3478_11:
	s_or_b64 exec, exec, s[4:5]
	v_or_b32_e32 v14, 0x100, v0
	v_cmp_gt_u32_e32 vcc, s24, v14
	s_and_saveexec_b64 s[4:5], vcc
	s_cbranch_execz .LBB3478_13
; %bb.12:
	v_add_co_u32_e32 v14, vcc, v12, v11
	v_addc_co_u32_e32 v15, vcc, 0, v13, vcc
	flat_load_dword v2, v[14:15] offset:1024
.LBB3478_13:
	;; [unrolled: 10-line block ×7, first 2 shown]
	s_or_b64 exec, exec, s[4:5]
	v_or_b32_e32 v14, 0x400, v0
	v_cmp_gt_u32_e32 vcc, s24, v14
	s_and_saveexec_b64 s[4:5], vcc
	s_cbranch_execz .LBB3478_25
; %bb.24:
	v_lshlrev_b32_e32 v8, 2, v14
	v_add_co_u32_e32 v14, vcc, v12, v8
	v_addc_co_u32_e32 v15, vcc, 0, v13, vcc
	flat_load_dword v8, v[14:15]
.LBB3478_25:
	s_or_b64 exec, exec, s[4:5]
	v_or_b32_e32 v14, 0x480, v0
	v_cmp_gt_u32_e32 vcc, s24, v14
	s_and_saveexec_b64 s[4:5], vcc
	s_cbranch_execz .LBB3478_27
; %bb.26:
	v_lshlrev_b32_e32 v9, 2, v14
	v_add_co_u32_e32 v12, vcc, v12, v9
	v_addc_co_u32_e32 v13, vcc, 0, v13, vcc
	flat_load_dword v9, v[12:13]
.LBB3478_27:
	s_or_b64 exec, exec, s[4:5]
	s_waitcnt vmcnt(0) lgkmcnt(0)
	ds_write2st64_b32 v11, v10, v1 offset1:2
	ds_write2st64_b32 v11, v2, v3 offset0:4 offset1:6
	ds_write2st64_b32 v11, v4, v5 offset0:8 offset1:10
	;; [unrolled: 1-line block ×4, first 2 shown]
	s_waitcnt lgkmcnt(0)
	s_barrier
.LBB3478_28:
	v_mul_u32_u24_e32 v22, 10, v0
	v_lshlrev_b32_e32 v23, 2, v22
	ds_read2_b64 v[2:5], v23 offset1:1
	ds_read2_b64 v[16:19], v23 offset0:2 offset1:3
	ds_read_b64 v[20:21], v23 offset:32
	s_cmp_lg_u32 s26, 0
	v_lshrrev_b32_e32 v1, 5, v0
	v_cmp_gt_u32_e32 vcc, 64, v0
	s_waitcnt lgkmcnt(0)
	s_barrier
	s_cbranch_scc0 .LBB3478_53
; %bb.29:
	v_max_u32_e32 v6, v2, v3
	v_max3_u32 v6, v6, v4, v5
	v_max3_u32 v6, v6, v16, v17
	;; [unrolled: 1-line block ×4, first 2 shown]
	v_add_lshl_u32 v6, v1, v0, 2
	ds_write_b32 v6, v24
	s_waitcnt lgkmcnt(0)
	s_barrier
	s_and_saveexec_b64 s[18:19], vcc
	s_cbranch_execz .LBB3478_31
; %bb.30:
	v_lshlrev_b32_e32 v6, 1, v0
	v_lshrrev_b32_e32 v7, 4, v0
	v_add_lshl_u32 v8, v7, v6, 2
	ds_read2_b32 v[6:7], v8 offset1:1
	v_mbcnt_lo_u32_b32 v9, -1, 0
	v_mbcnt_hi_u32_b32 v9, -1, v9
	v_and_b32_e32 v10, 15, v9
	v_cmp_eq_u32_e64 s[4:5], 0, v10
	s_waitcnt lgkmcnt(0)
	v_max_u32_e32 v7, v6, v7
	; wave barrier
	s_nop 1
	v_mov_b32_dpp v11, v7 row_shr:1 row_mask:0xf bank_mask:0xf
	v_max_u32_e32 v11, v11, v7
	v_cndmask_b32_e64 v7, v11, v7, s[4:5]
	v_cmp_lt_u32_e64 s[4:5], 1, v10
	s_nop 0
	v_mov_b32_dpp v11, v7 row_shr:2 row_mask:0xf bank_mask:0xf
	v_max_u32_e32 v11, v11, v7
	v_cndmask_b32_e64 v7, v7, v11, s[4:5]
	v_cmp_lt_u32_e64 s[4:5], 3, v10
	;; [unrolled: 5-line block ×3, first 2 shown]
	s_nop 0
	v_mov_b32_dpp v11, v7 row_shr:8 row_mask:0xf bank_mask:0xf
	v_max_u32_e32 v11, v11, v7
	v_cndmask_b32_e64 v7, v7, v11, s[4:5]
	v_and_b32_e32 v11, 16, v9
	v_cmp_eq_u32_e64 s[4:5], 0, v11
	v_mov_b32_dpp v10, v7 row_bcast:15 row_mask:0xf bank_mask:0xf
	v_max_u32_e32 v10, v10, v7
	v_cndmask_b32_e64 v7, v10, v7, s[4:5]
	v_cmp_lt_u32_e64 s[4:5], 31, v9
	v_and_b32_e32 v11, 64, v9
	v_mov_b32_dpp v10, v7 row_bcast:31 row_mask:0xf bank_mask:0xf
	v_max_u32_e32 v10, v10, v7
	v_cndmask_b32_e64 v7, v7, v10, s[4:5]
	v_add_u32_e32 v10, -1, v9
	v_cmp_lt_i32_e64 s[4:5], v10, v11
	v_cndmask_b32_e64 v9, v10, v9, s[4:5]
	v_lshlrev_b32_e32 v9, 2, v9
	ds_bpermute_b32 v7, v9, v7
	s_waitcnt lgkmcnt(0)
	v_max_u32_e32 v6, v7, v6
	v_cndmask_b32_e64 v6, v6, v24, s[2:3]
	ds_write_b32 v8, v6
	; wave barrier
	ds_read_b32 v7, v8 offset:4
	s_waitcnt lgkmcnt(0)
	v_max_u32_e32 v6, v6, v7
	ds_write_b32 v8, v6 offset:4
.LBB3478_31:
	s_or_b64 exec, exec, s[18:19]
	s_waitcnt lgkmcnt(0)
	s_barrier
	s_and_saveexec_b64 s[4:5], s[0:1]
	s_cbranch_execz .LBB3478_33
; %bb.32:
	v_add_u32_e32 v6, -1, v0
	v_lshrrev_b32_e32 v7, 5, v6
	v_add_lshl_u32 v6, v7, v6, 2
	ds_read_b32 v24, v6
.LBB3478_33:
	s_or_b64 exec, exec, s[4:5]
	s_and_saveexec_b64 s[18:19], vcc
	s_cbranch_execz .LBB3478_52
; %bb.34:
	v_mov_b32_e32 v13, 0
	ds_read_b32 v6, v13 offset:520
	v_mbcnt_lo_u32_b32 v7, -1, 0
	v_mbcnt_hi_u32_b32 v9, -1, v7
	s_mov_b32 s23, 0
	v_cmp_eq_u32_e64 s[4:5], 0, v9
	s_and_saveexec_b64 s[20:21], s[4:5]
	s_cbranch_execz .LBB3478_36
; %bb.35:
	s_add_i32 s22, s26, 64
	s_lshl_b64 s[22:23], s[22:23], 3
	s_add_u32 s22, s6, s22
	v_mov_b32_e32 v7, 1
	s_addc_u32 s23, s7, s23
	s_waitcnt lgkmcnt(0)
	global_store_dwordx2 v13, v[6:7], s[22:23]
.LBB3478_36:
	s_or_b64 exec, exec, s[20:21]
	v_xad_u32 v8, v9, -1, s26
	v_add_u32_e32 v12, 64, v8
	v_lshlrev_b64 v[10:11], 3, v[12:13]
	v_mov_b32_e32 v7, s7
	v_add_co_u32_e32 v14, vcc, s6, v10
	v_addc_co_u32_e32 v15, vcc, v7, v11, vcc
	global_load_dwordx2 v[10:11], v[14:15], off glc
	s_waitcnt vmcnt(0)
	v_cmp_eq_u16_sdwa s[22:23], v11, v13 src0_sel:BYTE_0 src1_sel:DWORD
	s_and_saveexec_b64 s[20:21], s[22:23]
	s_cbranch_execz .LBB3478_40
; %bb.37:
	s_mov_b64 s[22:23], 0
	v_mov_b32_e32 v7, 0
.LBB3478_38:                            ; =>This Inner Loop Header: Depth=1
	global_load_dwordx2 v[10:11], v[14:15], off glc
	s_waitcnt vmcnt(0)
	v_cmp_ne_u16_sdwa s[28:29], v11, v7 src0_sel:BYTE_0 src1_sel:DWORD
	s_or_b64 s[22:23], s[28:29], s[22:23]
	s_andn2_b64 exec, exec, s[22:23]
	s_cbranch_execnz .LBB3478_38
; %bb.39:
	s_or_b64 exec, exec, s[22:23]
.LBB3478_40:
	s_or_b64 exec, exec, s[20:21]
	v_and_b32_e32 v25, 63, v9
	v_cmp_ne_u32_e32 vcc, 63, v25
	v_mov_b32_e32 v7, 2
	v_addc_co_u32_e32 v26, vcc, 0, v9, vcc
	v_cmp_eq_u16_sdwa s[20:21], v11, v7 src0_sel:BYTE_0 src1_sel:DWORD
	v_lshlrev_b64 v[12:13], v9, -1
	v_lshlrev_b32_e32 v26, 2, v26
	v_and_b32_e32 v14, s21, v13
	ds_bpermute_b32 v27, v26, v10
	v_or_b32_e32 v14, 0x80000000, v14
	v_and_b32_e32 v15, s20, v12
	v_ffbl_b32_e32 v14, v14
	v_add_u32_e32 v14, 32, v14
	v_ffbl_b32_e32 v15, v15
	v_min_u32_e32 v14, v15, v14
	s_waitcnt lgkmcnt(0)
	v_max_u32_e32 v15, v27, v10
	v_cmp_lt_u32_e32 vcc, v25, v14
	v_cndmask_b32_e32 v10, v10, v15, vcc
	v_cmp_gt_u32_e32 vcc, 62, v25
	v_cndmask_b32_e64 v15, 0, 1, vcc
	v_lshlrev_b32_e32 v15, 1, v15
	v_add_lshl_u32 v27, v15, v9, 2
	ds_bpermute_b32 v15, v27, v10
	v_add_u32_e32 v28, 2, v25
	v_cmp_gt_u32_e32 vcc, v28, v14
	v_add_u32_e32 v30, 4, v25
	v_add_u32_e32 v32, 8, v25
	s_waitcnt lgkmcnt(0)
	v_max_u32_e32 v15, v15, v10
	v_cndmask_b32_e32 v10, v15, v10, vcc
	v_cmp_gt_u32_e32 vcc, 60, v25
	v_cndmask_b32_e64 v15, 0, 1, vcc
	v_lshlrev_b32_e32 v15, 2, v15
	v_add_lshl_u32 v29, v15, v9, 2
	ds_bpermute_b32 v15, v29, v10
	v_cmp_gt_u32_e32 vcc, v30, v14
	v_add_u32_e32 v35, 16, v25
	v_add_u32_e32 v37, 32, v25
	s_waitcnt lgkmcnt(0)
	v_max_u32_e32 v15, v15, v10
	v_cndmask_b32_e32 v10, v15, v10, vcc
	v_cmp_gt_u32_e32 vcc, 56, v25
	v_cndmask_b32_e64 v15, 0, 1, vcc
	v_lshlrev_b32_e32 v15, 3, v15
	v_add_lshl_u32 v31, v15, v9, 2
	ds_bpermute_b32 v15, v31, v10
	v_cmp_gt_u32_e32 vcc, v32, v14
	s_waitcnt lgkmcnt(0)
	v_max_u32_e32 v15, v15, v10
	v_cndmask_b32_e32 v10, v15, v10, vcc
	v_cmp_gt_u32_e32 vcc, 48, v25
	v_cndmask_b32_e64 v15, 0, 1, vcc
	v_lshlrev_b32_e32 v15, 4, v15
	v_add_lshl_u32 v33, v15, v9, 2
	ds_bpermute_b32 v15, v33, v10
	v_cmp_gt_u32_e32 vcc, v35, v14
	;; [unrolled: 9-line block ×3, first 2 shown]
	s_waitcnt lgkmcnt(0)
	v_max_u32_e32 v9, v9, v10
	v_cndmask_b32_e32 v10, v9, v10, vcc
	v_mov_b32_e32 v9, 0
	s_branch .LBB3478_42
.LBB3478_41:                            ;   in Loop: Header=BB3478_42 Depth=1
	s_or_b64 exec, exec, s[20:21]
	v_cmp_eq_u16_sdwa s[20:21], v11, v7 src0_sel:BYTE_0 src1_sel:DWORD
	v_and_b32_e32 v14, s21, v13
	ds_bpermute_b32 v38, v26, v10
	v_or_b32_e32 v14, 0x80000000, v14
	v_and_b32_e32 v15, s20, v12
	v_ffbl_b32_e32 v14, v14
	v_add_u32_e32 v14, 32, v14
	v_ffbl_b32_e32 v15, v15
	v_min_u32_e32 v14, v15, v14
	s_waitcnt lgkmcnt(0)
	v_max_u32_e32 v15, v38, v10
	v_cmp_lt_u32_e32 vcc, v25, v14
	v_cndmask_b32_e32 v10, v10, v15, vcc
	ds_bpermute_b32 v15, v27, v10
	v_cmp_gt_u32_e32 vcc, v28, v14
	v_subrev_u32_e32 v8, 64, v8
	s_waitcnt lgkmcnt(0)
	v_max_u32_e32 v15, v15, v10
	v_cndmask_b32_e32 v10, v15, v10, vcc
	ds_bpermute_b32 v15, v29, v10
	v_cmp_gt_u32_e32 vcc, v30, v14
	s_waitcnt lgkmcnt(0)
	v_max_u32_e32 v15, v15, v10
	v_cndmask_b32_e32 v10, v15, v10, vcc
	ds_bpermute_b32 v15, v31, v10
	v_cmp_gt_u32_e32 vcc, v32, v14
	;; [unrolled: 5-line block ×4, first 2 shown]
	s_waitcnt lgkmcnt(0)
	v_max_u32_e32 v15, v15, v10
	v_cndmask_b32_e32 v10, v15, v10, vcc
	v_max_u32_e32 v10, v10, v34
.LBB3478_42:                            ; =>This Loop Header: Depth=1
                                        ;     Child Loop BB3478_45 Depth 2
	v_cmp_ne_u16_sdwa s[20:21], v11, v7 src0_sel:BYTE_0 src1_sel:DWORD
	v_cndmask_b32_e64 v11, 0, 1, s[20:21]
	;;#ASMSTART
	;;#ASMEND
	v_cmp_ne_u32_e32 vcc, 0, v11
	s_cmp_lg_u64 vcc, exec
	v_mov_b32_e32 v34, v10
	s_cbranch_scc1 .LBB3478_47
; %bb.43:                               ;   in Loop: Header=BB3478_42 Depth=1
	v_lshlrev_b64 v[10:11], 3, v[8:9]
	v_mov_b32_e32 v15, s7
	v_add_co_u32_e32 v14, vcc, s6, v10
	v_addc_co_u32_e32 v15, vcc, v15, v11, vcc
	global_load_dwordx2 v[10:11], v[14:15], off glc
	s_waitcnt vmcnt(0)
	v_cmp_eq_u16_sdwa s[22:23], v11, v9 src0_sel:BYTE_0 src1_sel:DWORD
	s_and_saveexec_b64 s[20:21], s[22:23]
	s_cbranch_execz .LBB3478_41
; %bb.44:                               ;   in Loop: Header=BB3478_42 Depth=1
	s_mov_b64 s[22:23], 0
.LBB3478_45:                            ;   Parent Loop BB3478_42 Depth=1
                                        ; =>  This Inner Loop Header: Depth=2
	global_load_dwordx2 v[10:11], v[14:15], off glc
	s_waitcnt vmcnt(0)
	v_cmp_ne_u16_sdwa s[28:29], v11, v9 src0_sel:BYTE_0 src1_sel:DWORD
	s_or_b64 s[22:23], s[28:29], s[22:23]
	s_andn2_b64 exec, exec, s[22:23]
	s_cbranch_execnz .LBB3478_45
; %bb.46:                               ;   in Loop: Header=BB3478_42 Depth=1
	s_or_b64 exec, exec, s[22:23]
	s_branch .LBB3478_41
.LBB3478_47:                            ;   in Loop: Header=BB3478_42 Depth=1
                                        ; implicit-def: $vgpr10
                                        ; implicit-def: $vgpr11
	s_cbranch_execz .LBB3478_42
; %bb.48:
	s_and_saveexec_b64 s[20:21], s[4:5]
	s_cbranch_execz .LBB3478_50
; %bb.49:
	s_add_i32 s4, s26, 64
	s_mov_b32 s5, 0
	s_lshl_b64 s[4:5], s[4:5], 3
	s_add_u32 s4, s6, s4
	v_max_u32_e32 v6, v34, v6
	v_mov_b32_e32 v7, 2
	s_addc_u32 s5, s7, s5
	v_mov_b32_e32 v8, 0
	global_store_dwordx2 v8, v[6:7], s[4:5]
.LBB3478_50:
	s_or_b64 exec, exec, s[20:21]
	s_and_b64 exec, exec, s[2:3]
	s_cbranch_execz .LBB3478_52
; %bb.51:
	v_mov_b32_e32 v6, 0
	ds_write_b32 v6, v34
.LBB3478_52:
	s_or_b64 exec, exec, s[18:19]
	v_mov_b32_e32 v6, 0
	s_waitcnt lgkmcnt(0)
	s_barrier
	ds_read_b32 v6, v6
	v_max_u32_e32 v7, v24, v2
	v_cndmask_b32_e64 v7, v7, v2, s[2:3]
	s_waitcnt lgkmcnt(0)
	v_max_u32_e32 v6, v6, v7
	v_max_u32_e32 v7, v6, v3
	;; [unrolled: 1-line block ×10, first 2 shown]
	s_branch .LBB3478_65
.LBB3478_53:
                                        ; implicit-def: $vgpr6_vgpr7_vgpr8_vgpr9_vgpr10_vgpr11_vgpr12_vgpr13_vgpr14_vgpr15
	s_cbranch_execz .LBB3478_65
; %bb.54:
	s_cmp_lg_u64 s[12:13], 0
	s_cselect_b64 s[4:5], -1, 0
	s_and_b64 s[12:13], s[2:3], s[4:5]
	v_mov_b32_e32 v12, v3
	v_mov_b32_e32 v13, v4
	;; [unrolled: 1-line block ×3, first 2 shown]
	s_and_saveexec_b64 s[4:5], s[12:13]
	s_cbranch_execz .LBB3478_56
; %bb.55:
	v_mov_b32_e32 v6, 0
	global_load_dword v6, v6, s[8:9]
	v_mov_b32_e32 v12, v3
	v_mov_b32_e32 v13, v4
	;; [unrolled: 1-line block ×3, first 2 shown]
	s_waitcnt vmcnt(0)
	v_max_u32_e32 v2, v6, v2
.LBB3478_56:
	s_or_b64 exec, exec, s[4:5]
	v_max_u32_e32 v3, v2, v12
	v_max_u32_e32 v4, v3, v13
	;; [unrolled: 1-line block ×9, first 2 shown]
	v_add_lshl_u32 v1, v1, v0, 2
	v_cmp_gt_u32_e32 vcc, 64, v0
	ds_write_b32 v1, v11
	s_waitcnt lgkmcnt(0)
	s_barrier
	s_and_saveexec_b64 s[4:5], vcc
	s_cbranch_execz .LBB3478_58
; %bb.57:
	v_lshlrev_b32_e32 v1, 1, v0
	v_lshrrev_b32_e32 v15, 4, v0
	v_add_lshl_u32 v1, v15, v1, 2
	ds_read2_b32 v[24:25], v1 offset1:1
	v_mbcnt_lo_u32_b32 v15, -1, 0
	v_mbcnt_hi_u32_b32 v15, -1, v15
	v_and_b32_e32 v26, 15, v15
	v_cmp_eq_u32_e32 vcc, 0, v26
	s_waitcnt lgkmcnt(0)
	v_max_u32_e32 v25, v24, v25
	; wave barrier
	s_nop 1
	v_mov_b32_dpp v27, v25 row_shr:1 row_mask:0xf bank_mask:0xf
	v_max_u32_e32 v27, v27, v25
	v_cndmask_b32_e32 v25, v27, v25, vcc
	v_cmp_lt_u32_e32 vcc, 1, v26
	s_nop 0
	v_mov_b32_dpp v27, v25 row_shr:2 row_mask:0xf bank_mask:0xf
	v_max_u32_e32 v27, v27, v25
	v_cndmask_b32_e32 v25, v25, v27, vcc
	v_cmp_lt_u32_e32 vcc, 3, v26
	;; [unrolled: 5-line block ×3, first 2 shown]
	s_nop 0
	v_mov_b32_dpp v27, v25 row_shr:8 row_mask:0xf bank_mask:0xf
	v_max_u32_e32 v27, v27, v25
	v_cndmask_b32_e32 v25, v25, v27, vcc
	v_and_b32_e32 v27, 16, v15
	v_cmp_eq_u32_e32 vcc, 0, v27
	v_mov_b32_dpp v26, v25 row_bcast:15 row_mask:0xf bank_mask:0xf
	v_max_u32_e32 v26, v26, v25
	v_cndmask_b32_e32 v25, v26, v25, vcc
	v_cmp_lt_u32_e32 vcc, 31, v15
	v_and_b32_e32 v27, 64, v15
	v_mov_b32_dpp v26, v25 row_bcast:31 row_mask:0xf bank_mask:0xf
	v_max_u32_e32 v26, v26, v25
	v_cndmask_b32_e32 v25, v25, v26, vcc
	v_add_u32_e32 v26, -1, v15
	v_cmp_lt_i32_e32 vcc, v26, v27
	v_cndmask_b32_e32 v15, v26, v15, vcc
	v_lshlrev_b32_e32 v15, 2, v15
	ds_bpermute_b32 v15, v15, v25
	s_waitcnt lgkmcnt(0)
	v_max_u32_e32 v15, v15, v24
	v_cndmask_b32_e64 v15, v15, v11, s[2:3]
	ds_write_b32 v1, v15
	; wave barrier
	ds_read_b32 v24, v1 offset:4
	s_waitcnt lgkmcnt(0)
	v_max_u32_e32 v15, v15, v24
	ds_write_b32 v1, v15 offset:4
.LBB3478_58:
	s_or_b64 exec, exec, s[4:5]
	v_mov_b32_e32 v1, v11
	s_waitcnt lgkmcnt(0)
	s_barrier
	s_and_saveexec_b64 s[2:3], s[0:1]
	s_cbranch_execz .LBB3478_60
; %bb.59:
	v_add_u32_e32 v1, -1, v0
	v_lshrrev_b32_e32 v15, 5, v1
	v_add_lshl_u32 v1, v15, v1, 2
	ds_read_b32 v1, v1
.LBB3478_60:
	s_or_b64 exec, exec, s[2:3]
	s_and_saveexec_b64 s[2:3], s[0:1]
	s_cbranch_execz .LBB3478_62
; %bb.61:
	s_waitcnt lgkmcnt(0)
	v_max_u32_e32 v2, v1, v2
	v_max_u32_e32 v3, v2, v12
	;; [unrolled: 1-line block ×10, first 2 shown]
	;;#ASMSTART
	;;#ASMEND
.LBB3478_62:
	s_or_b64 exec, exec, s[2:3]
	s_movk_i32 s0, 0x7f
	v_cmp_eq_u32_e32 vcc, s0, v0
	s_and_saveexec_b64 s[0:1], vcc
	s_cbranch_execz .LBB3478_64
; %bb.63:
	s_waitcnt lgkmcnt(0)
	v_mov_b32_e32 v1, 0
	v_mov_b32_e32 v13, 2
	;; [unrolled: 1-line block ×3, first 2 shown]
	global_store_dwordx2 v1, v[12:13], s[6:7] offset:512
.LBB3478_64:
	s_or_b64 exec, exec, s[0:1]
	v_pk_mov_b32 v[14:15], v[10:11], v[10:11] op_sel:[0,1]
	v_pk_mov_b32 v[12:13], v[8:9], v[8:9] op_sel:[0,1]
	;; [unrolled: 1-line block ×5, first 2 shown]
.LBB3478_65:
	s_mov_b64 s[0:1], -1
	s_and_b64 vcc, exec, s[16:17]
	s_waitcnt lgkmcnt(0)
	s_barrier
	ds_write2_b64 v23, v[6:7], v[8:9] offset1:1
	ds_write2_b64 v23, v[10:11], v[12:13] offset0:2 offset1:3
	ds_write_b64 v23, v[14:15] offset:32
	s_waitcnt lgkmcnt(0)
	s_cbranch_vccz .LBB3478_67
; %bb.66:
	s_barrier
	s_mov_b64 s[0:1], 0
.LBB3478_67:
	s_andn2_b64 vcc, exec, s[0:1]
	s_cbranch_vccnz .LBB3478_103
; %bb.68:
	v_cmp_lt_u64_e64 s[0:1], s[14:15], 2
	s_and_b64 vcc, exec, s[0:1]
	s_barrier
	s_cbranch_vccnz .LBB3478_103
; %bb.69:
	s_add_u32 s0, s24, -1
	s_addc_u32 s1, s25, -1
	s_add_u32 s2, 0, 0x99986000
	s_addc_u32 s3, 0, 0x59
	s_add_i32 s3, s3, 0x19999940
	s_mul_hi_u32 s7, s2, -10
	s_sub_i32 s7, s7, s2
	s_mul_i32 s8, s3, -10
	s_mul_i32 s4, s2, -10
	s_add_i32 s7, s7, s8
	s_mul_hi_u32 s5, s3, s4
	s_mul_i32 s6, s3, s4
	s_mul_i32 s9, s2, s7
	s_mul_hi_u32 s4, s2, s4
	s_mul_hi_u32 s8, s2, s7
	s_add_u32 s4, s4, s9
	s_addc_u32 s8, 0, s8
	s_add_u32 s4, s4, s6
	s_mul_hi_u32 s9, s3, s7
	s_addc_u32 s4, s8, s5
	s_addc_u32 s5, s9, 0
	s_mul_i32 s6, s3, s7
	s_add_u32 s4, s4, s6
	v_mov_b32_e32 v2, s4
	s_addc_u32 s5, 0, s5
	v_add_co_u32_e32 v2, vcc, s2, v2
	s_cmp_lg_u64 vcc, 0
	s_addc_u32 s2, s3, s5
	v_readfirstlane_b32 s5, v2
	s_mul_i32 s4, s0, s2
	s_mul_hi_u32 s6, s0, s5
	s_mul_hi_u32 s3, s0, s2
	s_add_u32 s4, s6, s4
	s_addc_u32 s3, 0, s3
	s_mul_hi_u32 s7, s1, s5
	s_mul_i32 s5, s1, s5
	s_add_u32 s4, s4, s5
	s_mul_hi_u32 s6, s1, s2
	s_addc_u32 s3, s3, s7
	s_addc_u32 s4, s6, 0
	s_mul_i32 s2, s1, s2
	s_add_u32 s2, s3, s2
	s_addc_u32 s3, 0, s4
	s_add_u32 s4, s2, 1
	s_addc_u32 s5, s3, 0
	s_add_u32 s6, s2, 2
	s_mul_i32 s8, s3, 10
	s_mul_hi_u32 s9, s2, 10
	s_addc_u32 s7, s3, 0
	s_add_i32 s9, s9, s8
	s_mul_i32 s8, s2, 10
	v_mov_b32_e32 v2, s8
	v_sub_co_u32_e32 v2, vcc, s0, v2
	s_cmp_lg_u64 vcc, 0
	s_subb_u32 s8, s1, s9
	v_subrev_co_u32_e32 v3, vcc, 10, v2
	s_cmp_lg_u64 vcc, 0
	s_subb_u32 s9, s8, 0
	v_readfirstlane_b32 s12, v3
	s_cmp_gt_u32 s12, 9
	s_cselect_b32 s12, -1, 0
	s_cmp_eq_u32 s9, 0
	s_cselect_b32 s9, s12, -1
	s_cmp_lg_u32 s9, 0
	s_cselect_b32 s4, s6, s4
	v_readfirstlane_b32 s6, v2
	s_cselect_b32 s5, s7, s5
	s_cmp_gt_u32 s6, 9
	s_cselect_b32 s6, -1, 0
	s_cmp_eq_u32 s8, 0
	s_cselect_b32 s6, s6, -1
	s_cmp_lg_u32 s6, 0
	v_mov_b32_e32 v1, 0
	s_cselect_b32 s3, s5, s3
	s_cselect_b32 s2, s4, s2
	v_cmp_eq_u64_e32 vcc, s[2:3], v[0:1]
	s_and_saveexec_b64 s[2:3], vcc
	s_cbranch_execz .LBB3478_103
; %bb.70:
	s_movk_i32 s2, 0xffdc
	v_mad_i32_i24 v2, v0, s2, v23
	v_mul_hi_u32_u24_e32 v1, 10, v0
	v_mov_b32_e32 v3, s1
	v_sub_co_u32_e32 v0, vcc, s0, v22
	v_subb_co_u32_e32 v1, vcc, v3, v1, vcc
	v_cmp_lt_i64_e32 vcc, 4, v[0:1]
	s_and_saveexec_b64 s[0:1], vcc
	s_xor_b64 s[0:1], exec, s[0:1]
	s_cbranch_execz .LBB3478_88
; %bb.71:
	v_cmp_lt_i64_e32 vcc, 6, v[0:1]
	s_and_saveexec_b64 s[2:3], vcc
	s_xor_b64 s[2:3], exec, s[2:3]
	s_cbranch_execz .LBB3478_81
; %bb.72:
	;; [unrolled: 5-line block ×4, first 2 shown]
	ds_read_b32 v0, v2 offset:4608
	v_mov_b32_e32 v1, 0
                                        ; implicit-def: $vgpr2
	s_waitcnt lgkmcnt(0)
	global_store_dword v1, v0, s[10:11]
.LBB3478_75:
	s_andn2_saveexec_b64 s[6:7], s[6:7]
	s_cbranch_execz .LBB3478_77
; %bb.76:
	ds_read_b32 v0, v2 offset:4096
	v_mov_b32_e32 v1, 0
	s_waitcnt lgkmcnt(0)
	global_store_dword v1, v0, s[10:11]
.LBB3478_77:
	s_or_b64 exec, exec, s[6:7]
                                        ; implicit-def: $vgpr2
.LBB3478_78:
	s_andn2_saveexec_b64 s[4:5], s[4:5]
	s_cbranch_execz .LBB3478_80
; %bb.79:
	ds_read_b32 v0, v2 offset:3584
	v_mov_b32_e32 v1, 0
	s_waitcnt lgkmcnt(0)
	global_store_dword v1, v0, s[10:11]
.LBB3478_80:
	s_or_b64 exec, exec, s[4:5]
                                        ; implicit-def: $vgpr2
                                        ; implicit-def: $vgpr0_vgpr1
.LBB3478_81:
	s_andn2_saveexec_b64 s[2:3], s[2:3]
	s_cbranch_execz .LBB3478_87
; %bb.82:
	v_cmp_lt_i64_e32 vcc, 5, v[0:1]
	s_and_saveexec_b64 s[4:5], vcc
	s_xor_b64 s[4:5], exec, s[4:5]
	s_cbranch_execz .LBB3478_84
; %bb.83:
	ds_read_b32 v0, v2 offset:3072
	v_mov_b32_e32 v1, 0
                                        ; implicit-def: $vgpr2
	s_waitcnt lgkmcnt(0)
	global_store_dword v1, v0, s[10:11]
.LBB3478_84:
	s_andn2_saveexec_b64 s[4:5], s[4:5]
	s_cbranch_execz .LBB3478_86
; %bb.85:
	ds_read_b32 v0, v2 offset:2560
	v_mov_b32_e32 v1, 0
	s_waitcnt lgkmcnt(0)
	global_store_dword v1, v0, s[10:11]
.LBB3478_86:
	s_or_b64 exec, exec, s[4:5]
.LBB3478_87:
	s_or_b64 exec, exec, s[2:3]
                                        ; implicit-def: $vgpr0_vgpr1
                                        ; implicit-def: $vgpr2
.LBB3478_88:
	s_andn2_saveexec_b64 s[0:1], s[0:1]
	s_cbranch_execz .LBB3478_103
; %bb.89:
	v_cmp_lt_i64_e32 vcc, 2, v[0:1]
	s_and_saveexec_b64 s[0:1], vcc
	s_xor_b64 s[0:1], exec, s[0:1]
	s_cbranch_execz .LBB3478_95
; %bb.90:
	v_cmp_lt_i64_e32 vcc, 3, v[0:1]
	s_and_saveexec_b64 s[2:3], vcc
	s_xor_b64 s[2:3], exec, s[2:3]
	s_cbranch_execz .LBB3478_92
; %bb.91:
	ds_read_b32 v0, v2 offset:2048
	v_mov_b32_e32 v1, 0
                                        ; implicit-def: $vgpr2
	s_waitcnt lgkmcnt(0)
	global_store_dword v1, v0, s[10:11]
.LBB3478_92:
	s_andn2_saveexec_b64 s[2:3], s[2:3]
	s_cbranch_execz .LBB3478_94
; %bb.93:
	ds_read_b32 v0, v2 offset:1536
	v_mov_b32_e32 v1, 0
	s_waitcnt lgkmcnt(0)
	global_store_dword v1, v0, s[10:11]
.LBB3478_94:
	s_or_b64 exec, exec, s[2:3]
                                        ; implicit-def: $vgpr0_vgpr1
                                        ; implicit-def: $vgpr2
.LBB3478_95:
	s_andn2_saveexec_b64 s[0:1], s[0:1]
	s_cbranch_execz .LBB3478_103
; %bb.96:
	v_cmp_lt_i64_e32 vcc, 1, v[0:1]
	s_and_saveexec_b64 s[0:1], vcc
	s_xor_b64 s[0:1], exec, s[0:1]
	s_cbranch_execz .LBB3478_98
; %bb.97:
	ds_read_b32 v0, v2 offset:1024
	v_mov_b32_e32 v1, 0
                                        ; implicit-def: $vgpr2
	s_waitcnt lgkmcnt(0)
	global_store_dword v1, v0, s[10:11]
                                        ; implicit-def: $vgpr0_vgpr1
.LBB3478_98:
	s_andn2_saveexec_b64 s[0:1], s[0:1]
	s_cbranch_execz .LBB3478_103
; %bb.99:
	v_cmp_ne_u64_e32 vcc, 1, v[0:1]
	s_and_saveexec_b64 s[0:1], vcc
	s_xor_b64 s[0:1], exec, s[0:1]
	s_cbranch_execz .LBB3478_101
; %bb.100:
	ds_read_b32 v0, v2
	v_mov_b32_e32 v1, 0
                                        ; implicit-def: $vgpr2
	s_waitcnt lgkmcnt(0)
	global_store_dword v1, v0, s[10:11]
.LBB3478_101:
	s_andn2_saveexec_b64 s[0:1], s[0:1]
	s_cbranch_execz .LBB3478_103
; %bb.102:
	ds_read_b32 v0, v2 offset:512
	v_mov_b32_e32 v1, 0
	s_waitcnt lgkmcnt(0)
	global_store_dword v1, v0, s[10:11]
.LBB3478_103:
	s_endpgm
	.section	.rodata,"a",@progbits
	.p2align	6, 0x0
	.amdhsa_kernel _ZN7rocprim17ROCPRIM_400000_NS6detail17trampoline_kernelINS0_14default_configENS1_20scan_config_selectorIjEEZZNS1_9scan_implILNS1_25lookback_scan_determinismE0ELb0ELb0ES3_N6thrust23THRUST_200600_302600_NS6detail15normal_iteratorINS9_10device_ptrIjEEEENS9_16discard_iteratorINS9_11use_defaultEEEj11max_functorIjEjEEDaPvRmT3_T4_T5_mT6_P12ihipStream_tbENKUlT_T0_E_clISt17integral_constantIbLb0EESW_IbLb1EEEEDaSS_ST_EUlSS_E_NS1_11comp_targetILNS1_3genE4ELNS1_11target_archE910ELNS1_3gpuE8ELNS1_3repE0EEENS1_30default_config_static_selectorELNS0_4arch9wavefront6targetE1EEEvT1_
		.amdhsa_group_segment_fixed_size 5120
		.amdhsa_private_segment_fixed_size 0
		.amdhsa_kernarg_size 104
		.amdhsa_user_sgpr_count 6
		.amdhsa_user_sgpr_private_segment_buffer 1
		.amdhsa_user_sgpr_dispatch_ptr 0
		.amdhsa_user_sgpr_queue_ptr 0
		.amdhsa_user_sgpr_kernarg_segment_ptr 1
		.amdhsa_user_sgpr_dispatch_id 0
		.amdhsa_user_sgpr_flat_scratch_init 0
		.amdhsa_user_sgpr_kernarg_preload_length 0
		.amdhsa_user_sgpr_kernarg_preload_offset 0
		.amdhsa_user_sgpr_private_segment_size 0
		.amdhsa_uses_dynamic_stack 0
		.amdhsa_system_sgpr_private_segment_wavefront_offset 0
		.amdhsa_system_sgpr_workgroup_id_x 1
		.amdhsa_system_sgpr_workgroup_id_y 0
		.amdhsa_system_sgpr_workgroup_id_z 0
		.amdhsa_system_sgpr_workgroup_info 0
		.amdhsa_system_vgpr_workitem_id 0
		.amdhsa_next_free_vgpr 39
		.amdhsa_next_free_sgpr 30
		.amdhsa_accum_offset 40
		.amdhsa_reserve_vcc 1
		.amdhsa_reserve_flat_scratch 0
		.amdhsa_float_round_mode_32 0
		.amdhsa_float_round_mode_16_64 0
		.amdhsa_float_denorm_mode_32 3
		.amdhsa_float_denorm_mode_16_64 3
		.amdhsa_dx10_clamp 1
		.amdhsa_ieee_mode 1
		.amdhsa_fp16_overflow 0
		.amdhsa_tg_split 0
		.amdhsa_exception_fp_ieee_invalid_op 0
		.amdhsa_exception_fp_denorm_src 0
		.amdhsa_exception_fp_ieee_div_zero 0
		.amdhsa_exception_fp_ieee_overflow 0
		.amdhsa_exception_fp_ieee_underflow 0
		.amdhsa_exception_fp_ieee_inexact 0
		.amdhsa_exception_int_div_zero 0
	.end_amdhsa_kernel
	.section	.text._ZN7rocprim17ROCPRIM_400000_NS6detail17trampoline_kernelINS0_14default_configENS1_20scan_config_selectorIjEEZZNS1_9scan_implILNS1_25lookback_scan_determinismE0ELb0ELb0ES3_N6thrust23THRUST_200600_302600_NS6detail15normal_iteratorINS9_10device_ptrIjEEEENS9_16discard_iteratorINS9_11use_defaultEEEj11max_functorIjEjEEDaPvRmT3_T4_T5_mT6_P12ihipStream_tbENKUlT_T0_E_clISt17integral_constantIbLb0EESW_IbLb1EEEEDaSS_ST_EUlSS_E_NS1_11comp_targetILNS1_3genE4ELNS1_11target_archE910ELNS1_3gpuE8ELNS1_3repE0EEENS1_30default_config_static_selectorELNS0_4arch9wavefront6targetE1EEEvT1_,"axG",@progbits,_ZN7rocprim17ROCPRIM_400000_NS6detail17trampoline_kernelINS0_14default_configENS1_20scan_config_selectorIjEEZZNS1_9scan_implILNS1_25lookback_scan_determinismE0ELb0ELb0ES3_N6thrust23THRUST_200600_302600_NS6detail15normal_iteratorINS9_10device_ptrIjEEEENS9_16discard_iteratorINS9_11use_defaultEEEj11max_functorIjEjEEDaPvRmT3_T4_T5_mT6_P12ihipStream_tbENKUlT_T0_E_clISt17integral_constantIbLb0EESW_IbLb1EEEEDaSS_ST_EUlSS_E_NS1_11comp_targetILNS1_3genE4ELNS1_11target_archE910ELNS1_3gpuE8ELNS1_3repE0EEENS1_30default_config_static_selectorELNS0_4arch9wavefront6targetE1EEEvT1_,comdat
.Lfunc_end3478:
	.size	_ZN7rocprim17ROCPRIM_400000_NS6detail17trampoline_kernelINS0_14default_configENS1_20scan_config_selectorIjEEZZNS1_9scan_implILNS1_25lookback_scan_determinismE0ELb0ELb0ES3_N6thrust23THRUST_200600_302600_NS6detail15normal_iteratorINS9_10device_ptrIjEEEENS9_16discard_iteratorINS9_11use_defaultEEEj11max_functorIjEjEEDaPvRmT3_T4_T5_mT6_P12ihipStream_tbENKUlT_T0_E_clISt17integral_constantIbLb0EESW_IbLb1EEEEDaSS_ST_EUlSS_E_NS1_11comp_targetILNS1_3genE4ELNS1_11target_archE910ELNS1_3gpuE8ELNS1_3repE0EEENS1_30default_config_static_selectorELNS0_4arch9wavefront6targetE1EEEvT1_, .Lfunc_end3478-_ZN7rocprim17ROCPRIM_400000_NS6detail17trampoline_kernelINS0_14default_configENS1_20scan_config_selectorIjEEZZNS1_9scan_implILNS1_25lookback_scan_determinismE0ELb0ELb0ES3_N6thrust23THRUST_200600_302600_NS6detail15normal_iteratorINS9_10device_ptrIjEEEENS9_16discard_iteratorINS9_11use_defaultEEEj11max_functorIjEjEEDaPvRmT3_T4_T5_mT6_P12ihipStream_tbENKUlT_T0_E_clISt17integral_constantIbLb0EESW_IbLb1EEEEDaSS_ST_EUlSS_E_NS1_11comp_targetILNS1_3genE4ELNS1_11target_archE910ELNS1_3gpuE8ELNS1_3repE0EEENS1_30default_config_static_selectorELNS0_4arch9wavefront6targetE1EEEvT1_
                                        ; -- End function
	.section	.AMDGPU.csdata,"",@progbits
; Kernel info:
; codeLenInByte = 4000
; NumSgprs: 34
; NumVgprs: 39
; NumAgprs: 0
; TotalNumVgprs: 39
; ScratchSize: 0
; MemoryBound: 0
; FloatMode: 240
; IeeeMode: 1
; LDSByteSize: 5120 bytes/workgroup (compile time only)
; SGPRBlocks: 4
; VGPRBlocks: 4
; NumSGPRsForWavesPerEU: 34
; NumVGPRsForWavesPerEU: 39
; AccumOffset: 40
; Occupancy: 6
; WaveLimiterHint : 1
; COMPUTE_PGM_RSRC2:SCRATCH_EN: 0
; COMPUTE_PGM_RSRC2:USER_SGPR: 6
; COMPUTE_PGM_RSRC2:TRAP_HANDLER: 0
; COMPUTE_PGM_RSRC2:TGID_X_EN: 1
; COMPUTE_PGM_RSRC2:TGID_Y_EN: 0
; COMPUTE_PGM_RSRC2:TGID_Z_EN: 0
; COMPUTE_PGM_RSRC2:TIDIG_COMP_CNT: 0
; COMPUTE_PGM_RSRC3_GFX90A:ACCUM_OFFSET: 9
; COMPUTE_PGM_RSRC3_GFX90A:TG_SPLIT: 0
	.section	.text._ZN7rocprim17ROCPRIM_400000_NS6detail17trampoline_kernelINS0_14default_configENS1_20scan_config_selectorIjEEZZNS1_9scan_implILNS1_25lookback_scan_determinismE0ELb0ELb0ES3_N6thrust23THRUST_200600_302600_NS6detail15normal_iteratorINS9_10device_ptrIjEEEENS9_16discard_iteratorINS9_11use_defaultEEEj11max_functorIjEjEEDaPvRmT3_T4_T5_mT6_P12ihipStream_tbENKUlT_T0_E_clISt17integral_constantIbLb0EESW_IbLb1EEEEDaSS_ST_EUlSS_E_NS1_11comp_targetILNS1_3genE3ELNS1_11target_archE908ELNS1_3gpuE7ELNS1_3repE0EEENS1_30default_config_static_selectorELNS0_4arch9wavefront6targetE1EEEvT1_,"axG",@progbits,_ZN7rocprim17ROCPRIM_400000_NS6detail17trampoline_kernelINS0_14default_configENS1_20scan_config_selectorIjEEZZNS1_9scan_implILNS1_25lookback_scan_determinismE0ELb0ELb0ES3_N6thrust23THRUST_200600_302600_NS6detail15normal_iteratorINS9_10device_ptrIjEEEENS9_16discard_iteratorINS9_11use_defaultEEEj11max_functorIjEjEEDaPvRmT3_T4_T5_mT6_P12ihipStream_tbENKUlT_T0_E_clISt17integral_constantIbLb0EESW_IbLb1EEEEDaSS_ST_EUlSS_E_NS1_11comp_targetILNS1_3genE3ELNS1_11target_archE908ELNS1_3gpuE7ELNS1_3repE0EEENS1_30default_config_static_selectorELNS0_4arch9wavefront6targetE1EEEvT1_,comdat
	.protected	_ZN7rocprim17ROCPRIM_400000_NS6detail17trampoline_kernelINS0_14default_configENS1_20scan_config_selectorIjEEZZNS1_9scan_implILNS1_25lookback_scan_determinismE0ELb0ELb0ES3_N6thrust23THRUST_200600_302600_NS6detail15normal_iteratorINS9_10device_ptrIjEEEENS9_16discard_iteratorINS9_11use_defaultEEEj11max_functorIjEjEEDaPvRmT3_T4_T5_mT6_P12ihipStream_tbENKUlT_T0_E_clISt17integral_constantIbLb0EESW_IbLb1EEEEDaSS_ST_EUlSS_E_NS1_11comp_targetILNS1_3genE3ELNS1_11target_archE908ELNS1_3gpuE7ELNS1_3repE0EEENS1_30default_config_static_selectorELNS0_4arch9wavefront6targetE1EEEvT1_ ; -- Begin function _ZN7rocprim17ROCPRIM_400000_NS6detail17trampoline_kernelINS0_14default_configENS1_20scan_config_selectorIjEEZZNS1_9scan_implILNS1_25lookback_scan_determinismE0ELb0ELb0ES3_N6thrust23THRUST_200600_302600_NS6detail15normal_iteratorINS9_10device_ptrIjEEEENS9_16discard_iteratorINS9_11use_defaultEEEj11max_functorIjEjEEDaPvRmT3_T4_T5_mT6_P12ihipStream_tbENKUlT_T0_E_clISt17integral_constantIbLb0EESW_IbLb1EEEEDaSS_ST_EUlSS_E_NS1_11comp_targetILNS1_3genE3ELNS1_11target_archE908ELNS1_3gpuE7ELNS1_3repE0EEENS1_30default_config_static_selectorELNS0_4arch9wavefront6targetE1EEEvT1_
	.globl	_ZN7rocprim17ROCPRIM_400000_NS6detail17trampoline_kernelINS0_14default_configENS1_20scan_config_selectorIjEEZZNS1_9scan_implILNS1_25lookback_scan_determinismE0ELb0ELb0ES3_N6thrust23THRUST_200600_302600_NS6detail15normal_iteratorINS9_10device_ptrIjEEEENS9_16discard_iteratorINS9_11use_defaultEEEj11max_functorIjEjEEDaPvRmT3_T4_T5_mT6_P12ihipStream_tbENKUlT_T0_E_clISt17integral_constantIbLb0EESW_IbLb1EEEEDaSS_ST_EUlSS_E_NS1_11comp_targetILNS1_3genE3ELNS1_11target_archE908ELNS1_3gpuE7ELNS1_3repE0EEENS1_30default_config_static_selectorELNS0_4arch9wavefront6targetE1EEEvT1_
	.p2align	8
	.type	_ZN7rocprim17ROCPRIM_400000_NS6detail17trampoline_kernelINS0_14default_configENS1_20scan_config_selectorIjEEZZNS1_9scan_implILNS1_25lookback_scan_determinismE0ELb0ELb0ES3_N6thrust23THRUST_200600_302600_NS6detail15normal_iteratorINS9_10device_ptrIjEEEENS9_16discard_iteratorINS9_11use_defaultEEEj11max_functorIjEjEEDaPvRmT3_T4_T5_mT6_P12ihipStream_tbENKUlT_T0_E_clISt17integral_constantIbLb0EESW_IbLb1EEEEDaSS_ST_EUlSS_E_NS1_11comp_targetILNS1_3genE3ELNS1_11target_archE908ELNS1_3gpuE7ELNS1_3repE0EEENS1_30default_config_static_selectorELNS0_4arch9wavefront6targetE1EEEvT1_,@function
_ZN7rocprim17ROCPRIM_400000_NS6detail17trampoline_kernelINS0_14default_configENS1_20scan_config_selectorIjEEZZNS1_9scan_implILNS1_25lookback_scan_determinismE0ELb0ELb0ES3_N6thrust23THRUST_200600_302600_NS6detail15normal_iteratorINS9_10device_ptrIjEEEENS9_16discard_iteratorINS9_11use_defaultEEEj11max_functorIjEjEEDaPvRmT3_T4_T5_mT6_P12ihipStream_tbENKUlT_T0_E_clISt17integral_constantIbLb0EESW_IbLb1EEEEDaSS_ST_EUlSS_E_NS1_11comp_targetILNS1_3genE3ELNS1_11target_archE908ELNS1_3gpuE7ELNS1_3repE0EEENS1_30default_config_static_selectorELNS0_4arch9wavefront6targetE1EEEvT1_: ; @_ZN7rocprim17ROCPRIM_400000_NS6detail17trampoline_kernelINS0_14default_configENS1_20scan_config_selectorIjEEZZNS1_9scan_implILNS1_25lookback_scan_determinismE0ELb0ELb0ES3_N6thrust23THRUST_200600_302600_NS6detail15normal_iteratorINS9_10device_ptrIjEEEENS9_16discard_iteratorINS9_11use_defaultEEEj11max_functorIjEjEEDaPvRmT3_T4_T5_mT6_P12ihipStream_tbENKUlT_T0_E_clISt17integral_constantIbLb0EESW_IbLb1EEEEDaSS_ST_EUlSS_E_NS1_11comp_targetILNS1_3genE3ELNS1_11target_archE908ELNS1_3gpuE7ELNS1_3repE0EEENS1_30default_config_static_selectorELNS0_4arch9wavefront6targetE1EEEvT1_
; %bb.0:
	.section	.rodata,"a",@progbits
	.p2align	6, 0x0
	.amdhsa_kernel _ZN7rocprim17ROCPRIM_400000_NS6detail17trampoline_kernelINS0_14default_configENS1_20scan_config_selectorIjEEZZNS1_9scan_implILNS1_25lookback_scan_determinismE0ELb0ELb0ES3_N6thrust23THRUST_200600_302600_NS6detail15normal_iteratorINS9_10device_ptrIjEEEENS9_16discard_iteratorINS9_11use_defaultEEEj11max_functorIjEjEEDaPvRmT3_T4_T5_mT6_P12ihipStream_tbENKUlT_T0_E_clISt17integral_constantIbLb0EESW_IbLb1EEEEDaSS_ST_EUlSS_E_NS1_11comp_targetILNS1_3genE3ELNS1_11target_archE908ELNS1_3gpuE7ELNS1_3repE0EEENS1_30default_config_static_selectorELNS0_4arch9wavefront6targetE1EEEvT1_
		.amdhsa_group_segment_fixed_size 0
		.amdhsa_private_segment_fixed_size 0
		.amdhsa_kernarg_size 104
		.amdhsa_user_sgpr_count 6
		.amdhsa_user_sgpr_private_segment_buffer 1
		.amdhsa_user_sgpr_dispatch_ptr 0
		.amdhsa_user_sgpr_queue_ptr 0
		.amdhsa_user_sgpr_kernarg_segment_ptr 1
		.amdhsa_user_sgpr_dispatch_id 0
		.amdhsa_user_sgpr_flat_scratch_init 0
		.amdhsa_user_sgpr_kernarg_preload_length 0
		.amdhsa_user_sgpr_kernarg_preload_offset 0
		.amdhsa_user_sgpr_private_segment_size 0
		.amdhsa_uses_dynamic_stack 0
		.amdhsa_system_sgpr_private_segment_wavefront_offset 0
		.amdhsa_system_sgpr_workgroup_id_x 1
		.amdhsa_system_sgpr_workgroup_id_y 0
		.amdhsa_system_sgpr_workgroup_id_z 0
		.amdhsa_system_sgpr_workgroup_info 0
		.amdhsa_system_vgpr_workitem_id 0
		.amdhsa_next_free_vgpr 1
		.amdhsa_next_free_sgpr 0
		.amdhsa_accum_offset 4
		.amdhsa_reserve_vcc 0
		.amdhsa_reserve_flat_scratch 0
		.amdhsa_float_round_mode_32 0
		.amdhsa_float_round_mode_16_64 0
		.amdhsa_float_denorm_mode_32 3
		.amdhsa_float_denorm_mode_16_64 3
		.amdhsa_dx10_clamp 1
		.amdhsa_ieee_mode 1
		.amdhsa_fp16_overflow 0
		.amdhsa_tg_split 0
		.amdhsa_exception_fp_ieee_invalid_op 0
		.amdhsa_exception_fp_denorm_src 0
		.amdhsa_exception_fp_ieee_div_zero 0
		.amdhsa_exception_fp_ieee_overflow 0
		.amdhsa_exception_fp_ieee_underflow 0
		.amdhsa_exception_fp_ieee_inexact 0
		.amdhsa_exception_int_div_zero 0
	.end_amdhsa_kernel
	.section	.text._ZN7rocprim17ROCPRIM_400000_NS6detail17trampoline_kernelINS0_14default_configENS1_20scan_config_selectorIjEEZZNS1_9scan_implILNS1_25lookback_scan_determinismE0ELb0ELb0ES3_N6thrust23THRUST_200600_302600_NS6detail15normal_iteratorINS9_10device_ptrIjEEEENS9_16discard_iteratorINS9_11use_defaultEEEj11max_functorIjEjEEDaPvRmT3_T4_T5_mT6_P12ihipStream_tbENKUlT_T0_E_clISt17integral_constantIbLb0EESW_IbLb1EEEEDaSS_ST_EUlSS_E_NS1_11comp_targetILNS1_3genE3ELNS1_11target_archE908ELNS1_3gpuE7ELNS1_3repE0EEENS1_30default_config_static_selectorELNS0_4arch9wavefront6targetE1EEEvT1_,"axG",@progbits,_ZN7rocprim17ROCPRIM_400000_NS6detail17trampoline_kernelINS0_14default_configENS1_20scan_config_selectorIjEEZZNS1_9scan_implILNS1_25lookback_scan_determinismE0ELb0ELb0ES3_N6thrust23THRUST_200600_302600_NS6detail15normal_iteratorINS9_10device_ptrIjEEEENS9_16discard_iteratorINS9_11use_defaultEEEj11max_functorIjEjEEDaPvRmT3_T4_T5_mT6_P12ihipStream_tbENKUlT_T0_E_clISt17integral_constantIbLb0EESW_IbLb1EEEEDaSS_ST_EUlSS_E_NS1_11comp_targetILNS1_3genE3ELNS1_11target_archE908ELNS1_3gpuE7ELNS1_3repE0EEENS1_30default_config_static_selectorELNS0_4arch9wavefront6targetE1EEEvT1_,comdat
.Lfunc_end3479:
	.size	_ZN7rocprim17ROCPRIM_400000_NS6detail17trampoline_kernelINS0_14default_configENS1_20scan_config_selectorIjEEZZNS1_9scan_implILNS1_25lookback_scan_determinismE0ELb0ELb0ES3_N6thrust23THRUST_200600_302600_NS6detail15normal_iteratorINS9_10device_ptrIjEEEENS9_16discard_iteratorINS9_11use_defaultEEEj11max_functorIjEjEEDaPvRmT3_T4_T5_mT6_P12ihipStream_tbENKUlT_T0_E_clISt17integral_constantIbLb0EESW_IbLb1EEEEDaSS_ST_EUlSS_E_NS1_11comp_targetILNS1_3genE3ELNS1_11target_archE908ELNS1_3gpuE7ELNS1_3repE0EEENS1_30default_config_static_selectorELNS0_4arch9wavefront6targetE1EEEvT1_, .Lfunc_end3479-_ZN7rocprim17ROCPRIM_400000_NS6detail17trampoline_kernelINS0_14default_configENS1_20scan_config_selectorIjEEZZNS1_9scan_implILNS1_25lookback_scan_determinismE0ELb0ELb0ES3_N6thrust23THRUST_200600_302600_NS6detail15normal_iteratorINS9_10device_ptrIjEEEENS9_16discard_iteratorINS9_11use_defaultEEEj11max_functorIjEjEEDaPvRmT3_T4_T5_mT6_P12ihipStream_tbENKUlT_T0_E_clISt17integral_constantIbLb0EESW_IbLb1EEEEDaSS_ST_EUlSS_E_NS1_11comp_targetILNS1_3genE3ELNS1_11target_archE908ELNS1_3gpuE7ELNS1_3repE0EEENS1_30default_config_static_selectorELNS0_4arch9wavefront6targetE1EEEvT1_
                                        ; -- End function
	.section	.AMDGPU.csdata,"",@progbits
; Kernel info:
; codeLenInByte = 0
; NumSgprs: 4
; NumVgprs: 0
; NumAgprs: 0
; TotalNumVgprs: 0
; ScratchSize: 0
; MemoryBound: 0
; FloatMode: 240
; IeeeMode: 1
; LDSByteSize: 0 bytes/workgroup (compile time only)
; SGPRBlocks: 0
; VGPRBlocks: 0
; NumSGPRsForWavesPerEU: 4
; NumVGPRsForWavesPerEU: 1
; AccumOffset: 4
; Occupancy: 8
; WaveLimiterHint : 0
; COMPUTE_PGM_RSRC2:SCRATCH_EN: 0
; COMPUTE_PGM_RSRC2:USER_SGPR: 6
; COMPUTE_PGM_RSRC2:TRAP_HANDLER: 0
; COMPUTE_PGM_RSRC2:TGID_X_EN: 1
; COMPUTE_PGM_RSRC2:TGID_Y_EN: 0
; COMPUTE_PGM_RSRC2:TGID_Z_EN: 0
; COMPUTE_PGM_RSRC2:TIDIG_COMP_CNT: 0
; COMPUTE_PGM_RSRC3_GFX90A:ACCUM_OFFSET: 0
; COMPUTE_PGM_RSRC3_GFX90A:TG_SPLIT: 0
	.section	.text._ZN7rocprim17ROCPRIM_400000_NS6detail17trampoline_kernelINS0_14default_configENS1_20scan_config_selectorIjEEZZNS1_9scan_implILNS1_25lookback_scan_determinismE0ELb0ELb0ES3_N6thrust23THRUST_200600_302600_NS6detail15normal_iteratorINS9_10device_ptrIjEEEENS9_16discard_iteratorINS9_11use_defaultEEEj11max_functorIjEjEEDaPvRmT3_T4_T5_mT6_P12ihipStream_tbENKUlT_T0_E_clISt17integral_constantIbLb0EESW_IbLb1EEEEDaSS_ST_EUlSS_E_NS1_11comp_targetILNS1_3genE2ELNS1_11target_archE906ELNS1_3gpuE6ELNS1_3repE0EEENS1_30default_config_static_selectorELNS0_4arch9wavefront6targetE1EEEvT1_,"axG",@progbits,_ZN7rocprim17ROCPRIM_400000_NS6detail17trampoline_kernelINS0_14default_configENS1_20scan_config_selectorIjEEZZNS1_9scan_implILNS1_25lookback_scan_determinismE0ELb0ELb0ES3_N6thrust23THRUST_200600_302600_NS6detail15normal_iteratorINS9_10device_ptrIjEEEENS9_16discard_iteratorINS9_11use_defaultEEEj11max_functorIjEjEEDaPvRmT3_T4_T5_mT6_P12ihipStream_tbENKUlT_T0_E_clISt17integral_constantIbLb0EESW_IbLb1EEEEDaSS_ST_EUlSS_E_NS1_11comp_targetILNS1_3genE2ELNS1_11target_archE906ELNS1_3gpuE6ELNS1_3repE0EEENS1_30default_config_static_selectorELNS0_4arch9wavefront6targetE1EEEvT1_,comdat
	.protected	_ZN7rocprim17ROCPRIM_400000_NS6detail17trampoline_kernelINS0_14default_configENS1_20scan_config_selectorIjEEZZNS1_9scan_implILNS1_25lookback_scan_determinismE0ELb0ELb0ES3_N6thrust23THRUST_200600_302600_NS6detail15normal_iteratorINS9_10device_ptrIjEEEENS9_16discard_iteratorINS9_11use_defaultEEEj11max_functorIjEjEEDaPvRmT3_T4_T5_mT6_P12ihipStream_tbENKUlT_T0_E_clISt17integral_constantIbLb0EESW_IbLb1EEEEDaSS_ST_EUlSS_E_NS1_11comp_targetILNS1_3genE2ELNS1_11target_archE906ELNS1_3gpuE6ELNS1_3repE0EEENS1_30default_config_static_selectorELNS0_4arch9wavefront6targetE1EEEvT1_ ; -- Begin function _ZN7rocprim17ROCPRIM_400000_NS6detail17trampoline_kernelINS0_14default_configENS1_20scan_config_selectorIjEEZZNS1_9scan_implILNS1_25lookback_scan_determinismE0ELb0ELb0ES3_N6thrust23THRUST_200600_302600_NS6detail15normal_iteratorINS9_10device_ptrIjEEEENS9_16discard_iteratorINS9_11use_defaultEEEj11max_functorIjEjEEDaPvRmT3_T4_T5_mT6_P12ihipStream_tbENKUlT_T0_E_clISt17integral_constantIbLb0EESW_IbLb1EEEEDaSS_ST_EUlSS_E_NS1_11comp_targetILNS1_3genE2ELNS1_11target_archE906ELNS1_3gpuE6ELNS1_3repE0EEENS1_30default_config_static_selectorELNS0_4arch9wavefront6targetE1EEEvT1_
	.globl	_ZN7rocprim17ROCPRIM_400000_NS6detail17trampoline_kernelINS0_14default_configENS1_20scan_config_selectorIjEEZZNS1_9scan_implILNS1_25lookback_scan_determinismE0ELb0ELb0ES3_N6thrust23THRUST_200600_302600_NS6detail15normal_iteratorINS9_10device_ptrIjEEEENS9_16discard_iteratorINS9_11use_defaultEEEj11max_functorIjEjEEDaPvRmT3_T4_T5_mT6_P12ihipStream_tbENKUlT_T0_E_clISt17integral_constantIbLb0EESW_IbLb1EEEEDaSS_ST_EUlSS_E_NS1_11comp_targetILNS1_3genE2ELNS1_11target_archE906ELNS1_3gpuE6ELNS1_3repE0EEENS1_30default_config_static_selectorELNS0_4arch9wavefront6targetE1EEEvT1_
	.p2align	8
	.type	_ZN7rocprim17ROCPRIM_400000_NS6detail17trampoline_kernelINS0_14default_configENS1_20scan_config_selectorIjEEZZNS1_9scan_implILNS1_25lookback_scan_determinismE0ELb0ELb0ES3_N6thrust23THRUST_200600_302600_NS6detail15normal_iteratorINS9_10device_ptrIjEEEENS9_16discard_iteratorINS9_11use_defaultEEEj11max_functorIjEjEEDaPvRmT3_T4_T5_mT6_P12ihipStream_tbENKUlT_T0_E_clISt17integral_constantIbLb0EESW_IbLb1EEEEDaSS_ST_EUlSS_E_NS1_11comp_targetILNS1_3genE2ELNS1_11target_archE906ELNS1_3gpuE6ELNS1_3repE0EEENS1_30default_config_static_selectorELNS0_4arch9wavefront6targetE1EEEvT1_,@function
_ZN7rocprim17ROCPRIM_400000_NS6detail17trampoline_kernelINS0_14default_configENS1_20scan_config_selectorIjEEZZNS1_9scan_implILNS1_25lookback_scan_determinismE0ELb0ELb0ES3_N6thrust23THRUST_200600_302600_NS6detail15normal_iteratorINS9_10device_ptrIjEEEENS9_16discard_iteratorINS9_11use_defaultEEEj11max_functorIjEjEEDaPvRmT3_T4_T5_mT6_P12ihipStream_tbENKUlT_T0_E_clISt17integral_constantIbLb0EESW_IbLb1EEEEDaSS_ST_EUlSS_E_NS1_11comp_targetILNS1_3genE2ELNS1_11target_archE906ELNS1_3gpuE6ELNS1_3repE0EEENS1_30default_config_static_selectorELNS0_4arch9wavefront6targetE1EEEvT1_: ; @_ZN7rocprim17ROCPRIM_400000_NS6detail17trampoline_kernelINS0_14default_configENS1_20scan_config_selectorIjEEZZNS1_9scan_implILNS1_25lookback_scan_determinismE0ELb0ELb0ES3_N6thrust23THRUST_200600_302600_NS6detail15normal_iteratorINS9_10device_ptrIjEEEENS9_16discard_iteratorINS9_11use_defaultEEEj11max_functorIjEjEEDaPvRmT3_T4_T5_mT6_P12ihipStream_tbENKUlT_T0_E_clISt17integral_constantIbLb0EESW_IbLb1EEEEDaSS_ST_EUlSS_E_NS1_11comp_targetILNS1_3genE2ELNS1_11target_archE906ELNS1_3gpuE6ELNS1_3repE0EEENS1_30default_config_static_selectorELNS0_4arch9wavefront6targetE1EEEvT1_
; %bb.0:
	.section	.rodata,"a",@progbits
	.p2align	6, 0x0
	.amdhsa_kernel _ZN7rocprim17ROCPRIM_400000_NS6detail17trampoline_kernelINS0_14default_configENS1_20scan_config_selectorIjEEZZNS1_9scan_implILNS1_25lookback_scan_determinismE0ELb0ELb0ES3_N6thrust23THRUST_200600_302600_NS6detail15normal_iteratorINS9_10device_ptrIjEEEENS9_16discard_iteratorINS9_11use_defaultEEEj11max_functorIjEjEEDaPvRmT3_T4_T5_mT6_P12ihipStream_tbENKUlT_T0_E_clISt17integral_constantIbLb0EESW_IbLb1EEEEDaSS_ST_EUlSS_E_NS1_11comp_targetILNS1_3genE2ELNS1_11target_archE906ELNS1_3gpuE6ELNS1_3repE0EEENS1_30default_config_static_selectorELNS0_4arch9wavefront6targetE1EEEvT1_
		.amdhsa_group_segment_fixed_size 0
		.amdhsa_private_segment_fixed_size 0
		.amdhsa_kernarg_size 104
		.amdhsa_user_sgpr_count 6
		.amdhsa_user_sgpr_private_segment_buffer 1
		.amdhsa_user_sgpr_dispatch_ptr 0
		.amdhsa_user_sgpr_queue_ptr 0
		.amdhsa_user_sgpr_kernarg_segment_ptr 1
		.amdhsa_user_sgpr_dispatch_id 0
		.amdhsa_user_sgpr_flat_scratch_init 0
		.amdhsa_user_sgpr_kernarg_preload_length 0
		.amdhsa_user_sgpr_kernarg_preload_offset 0
		.amdhsa_user_sgpr_private_segment_size 0
		.amdhsa_uses_dynamic_stack 0
		.amdhsa_system_sgpr_private_segment_wavefront_offset 0
		.amdhsa_system_sgpr_workgroup_id_x 1
		.amdhsa_system_sgpr_workgroup_id_y 0
		.amdhsa_system_sgpr_workgroup_id_z 0
		.amdhsa_system_sgpr_workgroup_info 0
		.amdhsa_system_vgpr_workitem_id 0
		.amdhsa_next_free_vgpr 1
		.amdhsa_next_free_sgpr 0
		.amdhsa_accum_offset 4
		.amdhsa_reserve_vcc 0
		.amdhsa_reserve_flat_scratch 0
		.amdhsa_float_round_mode_32 0
		.amdhsa_float_round_mode_16_64 0
		.amdhsa_float_denorm_mode_32 3
		.amdhsa_float_denorm_mode_16_64 3
		.amdhsa_dx10_clamp 1
		.amdhsa_ieee_mode 1
		.amdhsa_fp16_overflow 0
		.amdhsa_tg_split 0
		.amdhsa_exception_fp_ieee_invalid_op 0
		.amdhsa_exception_fp_denorm_src 0
		.amdhsa_exception_fp_ieee_div_zero 0
		.amdhsa_exception_fp_ieee_overflow 0
		.amdhsa_exception_fp_ieee_underflow 0
		.amdhsa_exception_fp_ieee_inexact 0
		.amdhsa_exception_int_div_zero 0
	.end_amdhsa_kernel
	.section	.text._ZN7rocprim17ROCPRIM_400000_NS6detail17trampoline_kernelINS0_14default_configENS1_20scan_config_selectorIjEEZZNS1_9scan_implILNS1_25lookback_scan_determinismE0ELb0ELb0ES3_N6thrust23THRUST_200600_302600_NS6detail15normal_iteratorINS9_10device_ptrIjEEEENS9_16discard_iteratorINS9_11use_defaultEEEj11max_functorIjEjEEDaPvRmT3_T4_T5_mT6_P12ihipStream_tbENKUlT_T0_E_clISt17integral_constantIbLb0EESW_IbLb1EEEEDaSS_ST_EUlSS_E_NS1_11comp_targetILNS1_3genE2ELNS1_11target_archE906ELNS1_3gpuE6ELNS1_3repE0EEENS1_30default_config_static_selectorELNS0_4arch9wavefront6targetE1EEEvT1_,"axG",@progbits,_ZN7rocprim17ROCPRIM_400000_NS6detail17trampoline_kernelINS0_14default_configENS1_20scan_config_selectorIjEEZZNS1_9scan_implILNS1_25lookback_scan_determinismE0ELb0ELb0ES3_N6thrust23THRUST_200600_302600_NS6detail15normal_iteratorINS9_10device_ptrIjEEEENS9_16discard_iteratorINS9_11use_defaultEEEj11max_functorIjEjEEDaPvRmT3_T4_T5_mT6_P12ihipStream_tbENKUlT_T0_E_clISt17integral_constantIbLb0EESW_IbLb1EEEEDaSS_ST_EUlSS_E_NS1_11comp_targetILNS1_3genE2ELNS1_11target_archE906ELNS1_3gpuE6ELNS1_3repE0EEENS1_30default_config_static_selectorELNS0_4arch9wavefront6targetE1EEEvT1_,comdat
.Lfunc_end3480:
	.size	_ZN7rocprim17ROCPRIM_400000_NS6detail17trampoline_kernelINS0_14default_configENS1_20scan_config_selectorIjEEZZNS1_9scan_implILNS1_25lookback_scan_determinismE0ELb0ELb0ES3_N6thrust23THRUST_200600_302600_NS6detail15normal_iteratorINS9_10device_ptrIjEEEENS9_16discard_iteratorINS9_11use_defaultEEEj11max_functorIjEjEEDaPvRmT3_T4_T5_mT6_P12ihipStream_tbENKUlT_T0_E_clISt17integral_constantIbLb0EESW_IbLb1EEEEDaSS_ST_EUlSS_E_NS1_11comp_targetILNS1_3genE2ELNS1_11target_archE906ELNS1_3gpuE6ELNS1_3repE0EEENS1_30default_config_static_selectorELNS0_4arch9wavefront6targetE1EEEvT1_, .Lfunc_end3480-_ZN7rocprim17ROCPRIM_400000_NS6detail17trampoline_kernelINS0_14default_configENS1_20scan_config_selectorIjEEZZNS1_9scan_implILNS1_25lookback_scan_determinismE0ELb0ELb0ES3_N6thrust23THRUST_200600_302600_NS6detail15normal_iteratorINS9_10device_ptrIjEEEENS9_16discard_iteratorINS9_11use_defaultEEEj11max_functorIjEjEEDaPvRmT3_T4_T5_mT6_P12ihipStream_tbENKUlT_T0_E_clISt17integral_constantIbLb0EESW_IbLb1EEEEDaSS_ST_EUlSS_E_NS1_11comp_targetILNS1_3genE2ELNS1_11target_archE906ELNS1_3gpuE6ELNS1_3repE0EEENS1_30default_config_static_selectorELNS0_4arch9wavefront6targetE1EEEvT1_
                                        ; -- End function
	.section	.AMDGPU.csdata,"",@progbits
; Kernel info:
; codeLenInByte = 0
; NumSgprs: 4
; NumVgprs: 0
; NumAgprs: 0
; TotalNumVgprs: 0
; ScratchSize: 0
; MemoryBound: 0
; FloatMode: 240
; IeeeMode: 1
; LDSByteSize: 0 bytes/workgroup (compile time only)
; SGPRBlocks: 0
; VGPRBlocks: 0
; NumSGPRsForWavesPerEU: 4
; NumVGPRsForWavesPerEU: 1
; AccumOffset: 4
; Occupancy: 8
; WaveLimiterHint : 0
; COMPUTE_PGM_RSRC2:SCRATCH_EN: 0
; COMPUTE_PGM_RSRC2:USER_SGPR: 6
; COMPUTE_PGM_RSRC2:TRAP_HANDLER: 0
; COMPUTE_PGM_RSRC2:TGID_X_EN: 1
; COMPUTE_PGM_RSRC2:TGID_Y_EN: 0
; COMPUTE_PGM_RSRC2:TGID_Z_EN: 0
; COMPUTE_PGM_RSRC2:TIDIG_COMP_CNT: 0
; COMPUTE_PGM_RSRC3_GFX90A:ACCUM_OFFSET: 0
; COMPUTE_PGM_RSRC3_GFX90A:TG_SPLIT: 0
	.section	.text._ZN7rocprim17ROCPRIM_400000_NS6detail17trampoline_kernelINS0_14default_configENS1_20scan_config_selectorIjEEZZNS1_9scan_implILNS1_25lookback_scan_determinismE0ELb0ELb0ES3_N6thrust23THRUST_200600_302600_NS6detail15normal_iteratorINS9_10device_ptrIjEEEENS9_16discard_iteratorINS9_11use_defaultEEEj11max_functorIjEjEEDaPvRmT3_T4_T5_mT6_P12ihipStream_tbENKUlT_T0_E_clISt17integral_constantIbLb0EESW_IbLb1EEEEDaSS_ST_EUlSS_E_NS1_11comp_targetILNS1_3genE10ELNS1_11target_archE1201ELNS1_3gpuE5ELNS1_3repE0EEENS1_30default_config_static_selectorELNS0_4arch9wavefront6targetE1EEEvT1_,"axG",@progbits,_ZN7rocprim17ROCPRIM_400000_NS6detail17trampoline_kernelINS0_14default_configENS1_20scan_config_selectorIjEEZZNS1_9scan_implILNS1_25lookback_scan_determinismE0ELb0ELb0ES3_N6thrust23THRUST_200600_302600_NS6detail15normal_iteratorINS9_10device_ptrIjEEEENS9_16discard_iteratorINS9_11use_defaultEEEj11max_functorIjEjEEDaPvRmT3_T4_T5_mT6_P12ihipStream_tbENKUlT_T0_E_clISt17integral_constantIbLb0EESW_IbLb1EEEEDaSS_ST_EUlSS_E_NS1_11comp_targetILNS1_3genE10ELNS1_11target_archE1201ELNS1_3gpuE5ELNS1_3repE0EEENS1_30default_config_static_selectorELNS0_4arch9wavefront6targetE1EEEvT1_,comdat
	.protected	_ZN7rocprim17ROCPRIM_400000_NS6detail17trampoline_kernelINS0_14default_configENS1_20scan_config_selectorIjEEZZNS1_9scan_implILNS1_25lookback_scan_determinismE0ELb0ELb0ES3_N6thrust23THRUST_200600_302600_NS6detail15normal_iteratorINS9_10device_ptrIjEEEENS9_16discard_iteratorINS9_11use_defaultEEEj11max_functorIjEjEEDaPvRmT3_T4_T5_mT6_P12ihipStream_tbENKUlT_T0_E_clISt17integral_constantIbLb0EESW_IbLb1EEEEDaSS_ST_EUlSS_E_NS1_11comp_targetILNS1_3genE10ELNS1_11target_archE1201ELNS1_3gpuE5ELNS1_3repE0EEENS1_30default_config_static_selectorELNS0_4arch9wavefront6targetE1EEEvT1_ ; -- Begin function _ZN7rocprim17ROCPRIM_400000_NS6detail17trampoline_kernelINS0_14default_configENS1_20scan_config_selectorIjEEZZNS1_9scan_implILNS1_25lookback_scan_determinismE0ELb0ELb0ES3_N6thrust23THRUST_200600_302600_NS6detail15normal_iteratorINS9_10device_ptrIjEEEENS9_16discard_iteratorINS9_11use_defaultEEEj11max_functorIjEjEEDaPvRmT3_T4_T5_mT6_P12ihipStream_tbENKUlT_T0_E_clISt17integral_constantIbLb0EESW_IbLb1EEEEDaSS_ST_EUlSS_E_NS1_11comp_targetILNS1_3genE10ELNS1_11target_archE1201ELNS1_3gpuE5ELNS1_3repE0EEENS1_30default_config_static_selectorELNS0_4arch9wavefront6targetE1EEEvT1_
	.globl	_ZN7rocprim17ROCPRIM_400000_NS6detail17trampoline_kernelINS0_14default_configENS1_20scan_config_selectorIjEEZZNS1_9scan_implILNS1_25lookback_scan_determinismE0ELb0ELb0ES3_N6thrust23THRUST_200600_302600_NS6detail15normal_iteratorINS9_10device_ptrIjEEEENS9_16discard_iteratorINS9_11use_defaultEEEj11max_functorIjEjEEDaPvRmT3_T4_T5_mT6_P12ihipStream_tbENKUlT_T0_E_clISt17integral_constantIbLb0EESW_IbLb1EEEEDaSS_ST_EUlSS_E_NS1_11comp_targetILNS1_3genE10ELNS1_11target_archE1201ELNS1_3gpuE5ELNS1_3repE0EEENS1_30default_config_static_selectorELNS0_4arch9wavefront6targetE1EEEvT1_
	.p2align	8
	.type	_ZN7rocprim17ROCPRIM_400000_NS6detail17trampoline_kernelINS0_14default_configENS1_20scan_config_selectorIjEEZZNS1_9scan_implILNS1_25lookback_scan_determinismE0ELb0ELb0ES3_N6thrust23THRUST_200600_302600_NS6detail15normal_iteratorINS9_10device_ptrIjEEEENS9_16discard_iteratorINS9_11use_defaultEEEj11max_functorIjEjEEDaPvRmT3_T4_T5_mT6_P12ihipStream_tbENKUlT_T0_E_clISt17integral_constantIbLb0EESW_IbLb1EEEEDaSS_ST_EUlSS_E_NS1_11comp_targetILNS1_3genE10ELNS1_11target_archE1201ELNS1_3gpuE5ELNS1_3repE0EEENS1_30default_config_static_selectorELNS0_4arch9wavefront6targetE1EEEvT1_,@function
_ZN7rocprim17ROCPRIM_400000_NS6detail17trampoline_kernelINS0_14default_configENS1_20scan_config_selectorIjEEZZNS1_9scan_implILNS1_25lookback_scan_determinismE0ELb0ELb0ES3_N6thrust23THRUST_200600_302600_NS6detail15normal_iteratorINS9_10device_ptrIjEEEENS9_16discard_iteratorINS9_11use_defaultEEEj11max_functorIjEjEEDaPvRmT3_T4_T5_mT6_P12ihipStream_tbENKUlT_T0_E_clISt17integral_constantIbLb0EESW_IbLb1EEEEDaSS_ST_EUlSS_E_NS1_11comp_targetILNS1_3genE10ELNS1_11target_archE1201ELNS1_3gpuE5ELNS1_3repE0EEENS1_30default_config_static_selectorELNS0_4arch9wavefront6targetE1EEEvT1_: ; @_ZN7rocprim17ROCPRIM_400000_NS6detail17trampoline_kernelINS0_14default_configENS1_20scan_config_selectorIjEEZZNS1_9scan_implILNS1_25lookback_scan_determinismE0ELb0ELb0ES3_N6thrust23THRUST_200600_302600_NS6detail15normal_iteratorINS9_10device_ptrIjEEEENS9_16discard_iteratorINS9_11use_defaultEEEj11max_functorIjEjEEDaPvRmT3_T4_T5_mT6_P12ihipStream_tbENKUlT_T0_E_clISt17integral_constantIbLb0EESW_IbLb1EEEEDaSS_ST_EUlSS_E_NS1_11comp_targetILNS1_3genE10ELNS1_11target_archE1201ELNS1_3gpuE5ELNS1_3repE0EEENS1_30default_config_static_selectorELNS0_4arch9wavefront6targetE1EEEvT1_
; %bb.0:
	.section	.rodata,"a",@progbits
	.p2align	6, 0x0
	.amdhsa_kernel _ZN7rocprim17ROCPRIM_400000_NS6detail17trampoline_kernelINS0_14default_configENS1_20scan_config_selectorIjEEZZNS1_9scan_implILNS1_25lookback_scan_determinismE0ELb0ELb0ES3_N6thrust23THRUST_200600_302600_NS6detail15normal_iteratorINS9_10device_ptrIjEEEENS9_16discard_iteratorINS9_11use_defaultEEEj11max_functorIjEjEEDaPvRmT3_T4_T5_mT6_P12ihipStream_tbENKUlT_T0_E_clISt17integral_constantIbLb0EESW_IbLb1EEEEDaSS_ST_EUlSS_E_NS1_11comp_targetILNS1_3genE10ELNS1_11target_archE1201ELNS1_3gpuE5ELNS1_3repE0EEENS1_30default_config_static_selectorELNS0_4arch9wavefront6targetE1EEEvT1_
		.amdhsa_group_segment_fixed_size 0
		.amdhsa_private_segment_fixed_size 0
		.amdhsa_kernarg_size 104
		.amdhsa_user_sgpr_count 6
		.amdhsa_user_sgpr_private_segment_buffer 1
		.amdhsa_user_sgpr_dispatch_ptr 0
		.amdhsa_user_sgpr_queue_ptr 0
		.amdhsa_user_sgpr_kernarg_segment_ptr 1
		.amdhsa_user_sgpr_dispatch_id 0
		.amdhsa_user_sgpr_flat_scratch_init 0
		.amdhsa_user_sgpr_kernarg_preload_length 0
		.amdhsa_user_sgpr_kernarg_preload_offset 0
		.amdhsa_user_sgpr_private_segment_size 0
		.amdhsa_uses_dynamic_stack 0
		.amdhsa_system_sgpr_private_segment_wavefront_offset 0
		.amdhsa_system_sgpr_workgroup_id_x 1
		.amdhsa_system_sgpr_workgroup_id_y 0
		.amdhsa_system_sgpr_workgroup_id_z 0
		.amdhsa_system_sgpr_workgroup_info 0
		.amdhsa_system_vgpr_workitem_id 0
		.amdhsa_next_free_vgpr 1
		.amdhsa_next_free_sgpr 0
		.amdhsa_accum_offset 4
		.amdhsa_reserve_vcc 0
		.amdhsa_reserve_flat_scratch 0
		.amdhsa_float_round_mode_32 0
		.amdhsa_float_round_mode_16_64 0
		.amdhsa_float_denorm_mode_32 3
		.amdhsa_float_denorm_mode_16_64 3
		.amdhsa_dx10_clamp 1
		.amdhsa_ieee_mode 1
		.amdhsa_fp16_overflow 0
		.amdhsa_tg_split 0
		.amdhsa_exception_fp_ieee_invalid_op 0
		.amdhsa_exception_fp_denorm_src 0
		.amdhsa_exception_fp_ieee_div_zero 0
		.amdhsa_exception_fp_ieee_overflow 0
		.amdhsa_exception_fp_ieee_underflow 0
		.amdhsa_exception_fp_ieee_inexact 0
		.amdhsa_exception_int_div_zero 0
	.end_amdhsa_kernel
	.section	.text._ZN7rocprim17ROCPRIM_400000_NS6detail17trampoline_kernelINS0_14default_configENS1_20scan_config_selectorIjEEZZNS1_9scan_implILNS1_25lookback_scan_determinismE0ELb0ELb0ES3_N6thrust23THRUST_200600_302600_NS6detail15normal_iteratorINS9_10device_ptrIjEEEENS9_16discard_iteratorINS9_11use_defaultEEEj11max_functorIjEjEEDaPvRmT3_T4_T5_mT6_P12ihipStream_tbENKUlT_T0_E_clISt17integral_constantIbLb0EESW_IbLb1EEEEDaSS_ST_EUlSS_E_NS1_11comp_targetILNS1_3genE10ELNS1_11target_archE1201ELNS1_3gpuE5ELNS1_3repE0EEENS1_30default_config_static_selectorELNS0_4arch9wavefront6targetE1EEEvT1_,"axG",@progbits,_ZN7rocprim17ROCPRIM_400000_NS6detail17trampoline_kernelINS0_14default_configENS1_20scan_config_selectorIjEEZZNS1_9scan_implILNS1_25lookback_scan_determinismE0ELb0ELb0ES3_N6thrust23THRUST_200600_302600_NS6detail15normal_iteratorINS9_10device_ptrIjEEEENS9_16discard_iteratorINS9_11use_defaultEEEj11max_functorIjEjEEDaPvRmT3_T4_T5_mT6_P12ihipStream_tbENKUlT_T0_E_clISt17integral_constantIbLb0EESW_IbLb1EEEEDaSS_ST_EUlSS_E_NS1_11comp_targetILNS1_3genE10ELNS1_11target_archE1201ELNS1_3gpuE5ELNS1_3repE0EEENS1_30default_config_static_selectorELNS0_4arch9wavefront6targetE1EEEvT1_,comdat
.Lfunc_end3481:
	.size	_ZN7rocprim17ROCPRIM_400000_NS6detail17trampoline_kernelINS0_14default_configENS1_20scan_config_selectorIjEEZZNS1_9scan_implILNS1_25lookback_scan_determinismE0ELb0ELb0ES3_N6thrust23THRUST_200600_302600_NS6detail15normal_iteratorINS9_10device_ptrIjEEEENS9_16discard_iteratorINS9_11use_defaultEEEj11max_functorIjEjEEDaPvRmT3_T4_T5_mT6_P12ihipStream_tbENKUlT_T0_E_clISt17integral_constantIbLb0EESW_IbLb1EEEEDaSS_ST_EUlSS_E_NS1_11comp_targetILNS1_3genE10ELNS1_11target_archE1201ELNS1_3gpuE5ELNS1_3repE0EEENS1_30default_config_static_selectorELNS0_4arch9wavefront6targetE1EEEvT1_, .Lfunc_end3481-_ZN7rocprim17ROCPRIM_400000_NS6detail17trampoline_kernelINS0_14default_configENS1_20scan_config_selectorIjEEZZNS1_9scan_implILNS1_25lookback_scan_determinismE0ELb0ELb0ES3_N6thrust23THRUST_200600_302600_NS6detail15normal_iteratorINS9_10device_ptrIjEEEENS9_16discard_iteratorINS9_11use_defaultEEEj11max_functorIjEjEEDaPvRmT3_T4_T5_mT6_P12ihipStream_tbENKUlT_T0_E_clISt17integral_constantIbLb0EESW_IbLb1EEEEDaSS_ST_EUlSS_E_NS1_11comp_targetILNS1_3genE10ELNS1_11target_archE1201ELNS1_3gpuE5ELNS1_3repE0EEENS1_30default_config_static_selectorELNS0_4arch9wavefront6targetE1EEEvT1_
                                        ; -- End function
	.section	.AMDGPU.csdata,"",@progbits
; Kernel info:
; codeLenInByte = 0
; NumSgprs: 4
; NumVgprs: 0
; NumAgprs: 0
; TotalNumVgprs: 0
; ScratchSize: 0
; MemoryBound: 0
; FloatMode: 240
; IeeeMode: 1
; LDSByteSize: 0 bytes/workgroup (compile time only)
; SGPRBlocks: 0
; VGPRBlocks: 0
; NumSGPRsForWavesPerEU: 4
; NumVGPRsForWavesPerEU: 1
; AccumOffset: 4
; Occupancy: 8
; WaveLimiterHint : 0
; COMPUTE_PGM_RSRC2:SCRATCH_EN: 0
; COMPUTE_PGM_RSRC2:USER_SGPR: 6
; COMPUTE_PGM_RSRC2:TRAP_HANDLER: 0
; COMPUTE_PGM_RSRC2:TGID_X_EN: 1
; COMPUTE_PGM_RSRC2:TGID_Y_EN: 0
; COMPUTE_PGM_RSRC2:TGID_Z_EN: 0
; COMPUTE_PGM_RSRC2:TIDIG_COMP_CNT: 0
; COMPUTE_PGM_RSRC3_GFX90A:ACCUM_OFFSET: 0
; COMPUTE_PGM_RSRC3_GFX90A:TG_SPLIT: 0
	.section	.text._ZN7rocprim17ROCPRIM_400000_NS6detail17trampoline_kernelINS0_14default_configENS1_20scan_config_selectorIjEEZZNS1_9scan_implILNS1_25lookback_scan_determinismE0ELb0ELb0ES3_N6thrust23THRUST_200600_302600_NS6detail15normal_iteratorINS9_10device_ptrIjEEEENS9_16discard_iteratorINS9_11use_defaultEEEj11max_functorIjEjEEDaPvRmT3_T4_T5_mT6_P12ihipStream_tbENKUlT_T0_E_clISt17integral_constantIbLb0EESW_IbLb1EEEEDaSS_ST_EUlSS_E_NS1_11comp_targetILNS1_3genE10ELNS1_11target_archE1200ELNS1_3gpuE4ELNS1_3repE0EEENS1_30default_config_static_selectorELNS0_4arch9wavefront6targetE1EEEvT1_,"axG",@progbits,_ZN7rocprim17ROCPRIM_400000_NS6detail17trampoline_kernelINS0_14default_configENS1_20scan_config_selectorIjEEZZNS1_9scan_implILNS1_25lookback_scan_determinismE0ELb0ELb0ES3_N6thrust23THRUST_200600_302600_NS6detail15normal_iteratorINS9_10device_ptrIjEEEENS9_16discard_iteratorINS9_11use_defaultEEEj11max_functorIjEjEEDaPvRmT3_T4_T5_mT6_P12ihipStream_tbENKUlT_T0_E_clISt17integral_constantIbLb0EESW_IbLb1EEEEDaSS_ST_EUlSS_E_NS1_11comp_targetILNS1_3genE10ELNS1_11target_archE1200ELNS1_3gpuE4ELNS1_3repE0EEENS1_30default_config_static_selectorELNS0_4arch9wavefront6targetE1EEEvT1_,comdat
	.protected	_ZN7rocprim17ROCPRIM_400000_NS6detail17trampoline_kernelINS0_14default_configENS1_20scan_config_selectorIjEEZZNS1_9scan_implILNS1_25lookback_scan_determinismE0ELb0ELb0ES3_N6thrust23THRUST_200600_302600_NS6detail15normal_iteratorINS9_10device_ptrIjEEEENS9_16discard_iteratorINS9_11use_defaultEEEj11max_functorIjEjEEDaPvRmT3_T4_T5_mT6_P12ihipStream_tbENKUlT_T0_E_clISt17integral_constantIbLb0EESW_IbLb1EEEEDaSS_ST_EUlSS_E_NS1_11comp_targetILNS1_3genE10ELNS1_11target_archE1200ELNS1_3gpuE4ELNS1_3repE0EEENS1_30default_config_static_selectorELNS0_4arch9wavefront6targetE1EEEvT1_ ; -- Begin function _ZN7rocprim17ROCPRIM_400000_NS6detail17trampoline_kernelINS0_14default_configENS1_20scan_config_selectorIjEEZZNS1_9scan_implILNS1_25lookback_scan_determinismE0ELb0ELb0ES3_N6thrust23THRUST_200600_302600_NS6detail15normal_iteratorINS9_10device_ptrIjEEEENS9_16discard_iteratorINS9_11use_defaultEEEj11max_functorIjEjEEDaPvRmT3_T4_T5_mT6_P12ihipStream_tbENKUlT_T0_E_clISt17integral_constantIbLb0EESW_IbLb1EEEEDaSS_ST_EUlSS_E_NS1_11comp_targetILNS1_3genE10ELNS1_11target_archE1200ELNS1_3gpuE4ELNS1_3repE0EEENS1_30default_config_static_selectorELNS0_4arch9wavefront6targetE1EEEvT1_
	.globl	_ZN7rocprim17ROCPRIM_400000_NS6detail17trampoline_kernelINS0_14default_configENS1_20scan_config_selectorIjEEZZNS1_9scan_implILNS1_25lookback_scan_determinismE0ELb0ELb0ES3_N6thrust23THRUST_200600_302600_NS6detail15normal_iteratorINS9_10device_ptrIjEEEENS9_16discard_iteratorINS9_11use_defaultEEEj11max_functorIjEjEEDaPvRmT3_T4_T5_mT6_P12ihipStream_tbENKUlT_T0_E_clISt17integral_constantIbLb0EESW_IbLb1EEEEDaSS_ST_EUlSS_E_NS1_11comp_targetILNS1_3genE10ELNS1_11target_archE1200ELNS1_3gpuE4ELNS1_3repE0EEENS1_30default_config_static_selectorELNS0_4arch9wavefront6targetE1EEEvT1_
	.p2align	8
	.type	_ZN7rocprim17ROCPRIM_400000_NS6detail17trampoline_kernelINS0_14default_configENS1_20scan_config_selectorIjEEZZNS1_9scan_implILNS1_25lookback_scan_determinismE0ELb0ELb0ES3_N6thrust23THRUST_200600_302600_NS6detail15normal_iteratorINS9_10device_ptrIjEEEENS9_16discard_iteratorINS9_11use_defaultEEEj11max_functorIjEjEEDaPvRmT3_T4_T5_mT6_P12ihipStream_tbENKUlT_T0_E_clISt17integral_constantIbLb0EESW_IbLb1EEEEDaSS_ST_EUlSS_E_NS1_11comp_targetILNS1_3genE10ELNS1_11target_archE1200ELNS1_3gpuE4ELNS1_3repE0EEENS1_30default_config_static_selectorELNS0_4arch9wavefront6targetE1EEEvT1_,@function
_ZN7rocprim17ROCPRIM_400000_NS6detail17trampoline_kernelINS0_14default_configENS1_20scan_config_selectorIjEEZZNS1_9scan_implILNS1_25lookback_scan_determinismE0ELb0ELb0ES3_N6thrust23THRUST_200600_302600_NS6detail15normal_iteratorINS9_10device_ptrIjEEEENS9_16discard_iteratorINS9_11use_defaultEEEj11max_functorIjEjEEDaPvRmT3_T4_T5_mT6_P12ihipStream_tbENKUlT_T0_E_clISt17integral_constantIbLb0EESW_IbLb1EEEEDaSS_ST_EUlSS_E_NS1_11comp_targetILNS1_3genE10ELNS1_11target_archE1200ELNS1_3gpuE4ELNS1_3repE0EEENS1_30default_config_static_selectorELNS0_4arch9wavefront6targetE1EEEvT1_: ; @_ZN7rocprim17ROCPRIM_400000_NS6detail17trampoline_kernelINS0_14default_configENS1_20scan_config_selectorIjEEZZNS1_9scan_implILNS1_25lookback_scan_determinismE0ELb0ELb0ES3_N6thrust23THRUST_200600_302600_NS6detail15normal_iteratorINS9_10device_ptrIjEEEENS9_16discard_iteratorINS9_11use_defaultEEEj11max_functorIjEjEEDaPvRmT3_T4_T5_mT6_P12ihipStream_tbENKUlT_T0_E_clISt17integral_constantIbLb0EESW_IbLb1EEEEDaSS_ST_EUlSS_E_NS1_11comp_targetILNS1_3genE10ELNS1_11target_archE1200ELNS1_3gpuE4ELNS1_3repE0EEENS1_30default_config_static_selectorELNS0_4arch9wavefront6targetE1EEEvT1_
; %bb.0:
	.section	.rodata,"a",@progbits
	.p2align	6, 0x0
	.amdhsa_kernel _ZN7rocprim17ROCPRIM_400000_NS6detail17trampoline_kernelINS0_14default_configENS1_20scan_config_selectorIjEEZZNS1_9scan_implILNS1_25lookback_scan_determinismE0ELb0ELb0ES3_N6thrust23THRUST_200600_302600_NS6detail15normal_iteratorINS9_10device_ptrIjEEEENS9_16discard_iteratorINS9_11use_defaultEEEj11max_functorIjEjEEDaPvRmT3_T4_T5_mT6_P12ihipStream_tbENKUlT_T0_E_clISt17integral_constantIbLb0EESW_IbLb1EEEEDaSS_ST_EUlSS_E_NS1_11comp_targetILNS1_3genE10ELNS1_11target_archE1200ELNS1_3gpuE4ELNS1_3repE0EEENS1_30default_config_static_selectorELNS0_4arch9wavefront6targetE1EEEvT1_
		.amdhsa_group_segment_fixed_size 0
		.amdhsa_private_segment_fixed_size 0
		.amdhsa_kernarg_size 104
		.amdhsa_user_sgpr_count 6
		.amdhsa_user_sgpr_private_segment_buffer 1
		.amdhsa_user_sgpr_dispatch_ptr 0
		.amdhsa_user_sgpr_queue_ptr 0
		.amdhsa_user_sgpr_kernarg_segment_ptr 1
		.amdhsa_user_sgpr_dispatch_id 0
		.amdhsa_user_sgpr_flat_scratch_init 0
		.amdhsa_user_sgpr_kernarg_preload_length 0
		.amdhsa_user_sgpr_kernarg_preload_offset 0
		.amdhsa_user_sgpr_private_segment_size 0
		.amdhsa_uses_dynamic_stack 0
		.amdhsa_system_sgpr_private_segment_wavefront_offset 0
		.amdhsa_system_sgpr_workgroup_id_x 1
		.amdhsa_system_sgpr_workgroup_id_y 0
		.amdhsa_system_sgpr_workgroup_id_z 0
		.amdhsa_system_sgpr_workgroup_info 0
		.amdhsa_system_vgpr_workitem_id 0
		.amdhsa_next_free_vgpr 1
		.amdhsa_next_free_sgpr 0
		.amdhsa_accum_offset 4
		.amdhsa_reserve_vcc 0
		.amdhsa_reserve_flat_scratch 0
		.amdhsa_float_round_mode_32 0
		.amdhsa_float_round_mode_16_64 0
		.amdhsa_float_denorm_mode_32 3
		.amdhsa_float_denorm_mode_16_64 3
		.amdhsa_dx10_clamp 1
		.amdhsa_ieee_mode 1
		.amdhsa_fp16_overflow 0
		.amdhsa_tg_split 0
		.amdhsa_exception_fp_ieee_invalid_op 0
		.amdhsa_exception_fp_denorm_src 0
		.amdhsa_exception_fp_ieee_div_zero 0
		.amdhsa_exception_fp_ieee_overflow 0
		.amdhsa_exception_fp_ieee_underflow 0
		.amdhsa_exception_fp_ieee_inexact 0
		.amdhsa_exception_int_div_zero 0
	.end_amdhsa_kernel
	.section	.text._ZN7rocprim17ROCPRIM_400000_NS6detail17trampoline_kernelINS0_14default_configENS1_20scan_config_selectorIjEEZZNS1_9scan_implILNS1_25lookback_scan_determinismE0ELb0ELb0ES3_N6thrust23THRUST_200600_302600_NS6detail15normal_iteratorINS9_10device_ptrIjEEEENS9_16discard_iteratorINS9_11use_defaultEEEj11max_functorIjEjEEDaPvRmT3_T4_T5_mT6_P12ihipStream_tbENKUlT_T0_E_clISt17integral_constantIbLb0EESW_IbLb1EEEEDaSS_ST_EUlSS_E_NS1_11comp_targetILNS1_3genE10ELNS1_11target_archE1200ELNS1_3gpuE4ELNS1_3repE0EEENS1_30default_config_static_selectorELNS0_4arch9wavefront6targetE1EEEvT1_,"axG",@progbits,_ZN7rocprim17ROCPRIM_400000_NS6detail17trampoline_kernelINS0_14default_configENS1_20scan_config_selectorIjEEZZNS1_9scan_implILNS1_25lookback_scan_determinismE0ELb0ELb0ES3_N6thrust23THRUST_200600_302600_NS6detail15normal_iteratorINS9_10device_ptrIjEEEENS9_16discard_iteratorINS9_11use_defaultEEEj11max_functorIjEjEEDaPvRmT3_T4_T5_mT6_P12ihipStream_tbENKUlT_T0_E_clISt17integral_constantIbLb0EESW_IbLb1EEEEDaSS_ST_EUlSS_E_NS1_11comp_targetILNS1_3genE10ELNS1_11target_archE1200ELNS1_3gpuE4ELNS1_3repE0EEENS1_30default_config_static_selectorELNS0_4arch9wavefront6targetE1EEEvT1_,comdat
.Lfunc_end3482:
	.size	_ZN7rocprim17ROCPRIM_400000_NS6detail17trampoline_kernelINS0_14default_configENS1_20scan_config_selectorIjEEZZNS1_9scan_implILNS1_25lookback_scan_determinismE0ELb0ELb0ES3_N6thrust23THRUST_200600_302600_NS6detail15normal_iteratorINS9_10device_ptrIjEEEENS9_16discard_iteratorINS9_11use_defaultEEEj11max_functorIjEjEEDaPvRmT3_T4_T5_mT6_P12ihipStream_tbENKUlT_T0_E_clISt17integral_constantIbLb0EESW_IbLb1EEEEDaSS_ST_EUlSS_E_NS1_11comp_targetILNS1_3genE10ELNS1_11target_archE1200ELNS1_3gpuE4ELNS1_3repE0EEENS1_30default_config_static_selectorELNS0_4arch9wavefront6targetE1EEEvT1_, .Lfunc_end3482-_ZN7rocprim17ROCPRIM_400000_NS6detail17trampoline_kernelINS0_14default_configENS1_20scan_config_selectorIjEEZZNS1_9scan_implILNS1_25lookback_scan_determinismE0ELb0ELb0ES3_N6thrust23THRUST_200600_302600_NS6detail15normal_iteratorINS9_10device_ptrIjEEEENS9_16discard_iteratorINS9_11use_defaultEEEj11max_functorIjEjEEDaPvRmT3_T4_T5_mT6_P12ihipStream_tbENKUlT_T0_E_clISt17integral_constantIbLb0EESW_IbLb1EEEEDaSS_ST_EUlSS_E_NS1_11comp_targetILNS1_3genE10ELNS1_11target_archE1200ELNS1_3gpuE4ELNS1_3repE0EEENS1_30default_config_static_selectorELNS0_4arch9wavefront6targetE1EEEvT1_
                                        ; -- End function
	.section	.AMDGPU.csdata,"",@progbits
; Kernel info:
; codeLenInByte = 0
; NumSgprs: 4
; NumVgprs: 0
; NumAgprs: 0
; TotalNumVgprs: 0
; ScratchSize: 0
; MemoryBound: 0
; FloatMode: 240
; IeeeMode: 1
; LDSByteSize: 0 bytes/workgroup (compile time only)
; SGPRBlocks: 0
; VGPRBlocks: 0
; NumSGPRsForWavesPerEU: 4
; NumVGPRsForWavesPerEU: 1
; AccumOffset: 4
; Occupancy: 8
; WaveLimiterHint : 0
; COMPUTE_PGM_RSRC2:SCRATCH_EN: 0
; COMPUTE_PGM_RSRC2:USER_SGPR: 6
; COMPUTE_PGM_RSRC2:TRAP_HANDLER: 0
; COMPUTE_PGM_RSRC2:TGID_X_EN: 1
; COMPUTE_PGM_RSRC2:TGID_Y_EN: 0
; COMPUTE_PGM_RSRC2:TGID_Z_EN: 0
; COMPUTE_PGM_RSRC2:TIDIG_COMP_CNT: 0
; COMPUTE_PGM_RSRC3_GFX90A:ACCUM_OFFSET: 0
; COMPUTE_PGM_RSRC3_GFX90A:TG_SPLIT: 0
	.section	.text._ZN7rocprim17ROCPRIM_400000_NS6detail17trampoline_kernelINS0_14default_configENS1_20scan_config_selectorIjEEZZNS1_9scan_implILNS1_25lookback_scan_determinismE0ELb0ELb0ES3_N6thrust23THRUST_200600_302600_NS6detail15normal_iteratorINS9_10device_ptrIjEEEENS9_16discard_iteratorINS9_11use_defaultEEEj11max_functorIjEjEEDaPvRmT3_T4_T5_mT6_P12ihipStream_tbENKUlT_T0_E_clISt17integral_constantIbLb0EESW_IbLb1EEEEDaSS_ST_EUlSS_E_NS1_11comp_targetILNS1_3genE9ELNS1_11target_archE1100ELNS1_3gpuE3ELNS1_3repE0EEENS1_30default_config_static_selectorELNS0_4arch9wavefront6targetE1EEEvT1_,"axG",@progbits,_ZN7rocprim17ROCPRIM_400000_NS6detail17trampoline_kernelINS0_14default_configENS1_20scan_config_selectorIjEEZZNS1_9scan_implILNS1_25lookback_scan_determinismE0ELb0ELb0ES3_N6thrust23THRUST_200600_302600_NS6detail15normal_iteratorINS9_10device_ptrIjEEEENS9_16discard_iteratorINS9_11use_defaultEEEj11max_functorIjEjEEDaPvRmT3_T4_T5_mT6_P12ihipStream_tbENKUlT_T0_E_clISt17integral_constantIbLb0EESW_IbLb1EEEEDaSS_ST_EUlSS_E_NS1_11comp_targetILNS1_3genE9ELNS1_11target_archE1100ELNS1_3gpuE3ELNS1_3repE0EEENS1_30default_config_static_selectorELNS0_4arch9wavefront6targetE1EEEvT1_,comdat
	.protected	_ZN7rocprim17ROCPRIM_400000_NS6detail17trampoline_kernelINS0_14default_configENS1_20scan_config_selectorIjEEZZNS1_9scan_implILNS1_25lookback_scan_determinismE0ELb0ELb0ES3_N6thrust23THRUST_200600_302600_NS6detail15normal_iteratorINS9_10device_ptrIjEEEENS9_16discard_iteratorINS9_11use_defaultEEEj11max_functorIjEjEEDaPvRmT3_T4_T5_mT6_P12ihipStream_tbENKUlT_T0_E_clISt17integral_constantIbLb0EESW_IbLb1EEEEDaSS_ST_EUlSS_E_NS1_11comp_targetILNS1_3genE9ELNS1_11target_archE1100ELNS1_3gpuE3ELNS1_3repE0EEENS1_30default_config_static_selectorELNS0_4arch9wavefront6targetE1EEEvT1_ ; -- Begin function _ZN7rocprim17ROCPRIM_400000_NS6detail17trampoline_kernelINS0_14default_configENS1_20scan_config_selectorIjEEZZNS1_9scan_implILNS1_25lookback_scan_determinismE0ELb0ELb0ES3_N6thrust23THRUST_200600_302600_NS6detail15normal_iteratorINS9_10device_ptrIjEEEENS9_16discard_iteratorINS9_11use_defaultEEEj11max_functorIjEjEEDaPvRmT3_T4_T5_mT6_P12ihipStream_tbENKUlT_T0_E_clISt17integral_constantIbLb0EESW_IbLb1EEEEDaSS_ST_EUlSS_E_NS1_11comp_targetILNS1_3genE9ELNS1_11target_archE1100ELNS1_3gpuE3ELNS1_3repE0EEENS1_30default_config_static_selectorELNS0_4arch9wavefront6targetE1EEEvT1_
	.globl	_ZN7rocprim17ROCPRIM_400000_NS6detail17trampoline_kernelINS0_14default_configENS1_20scan_config_selectorIjEEZZNS1_9scan_implILNS1_25lookback_scan_determinismE0ELb0ELb0ES3_N6thrust23THRUST_200600_302600_NS6detail15normal_iteratorINS9_10device_ptrIjEEEENS9_16discard_iteratorINS9_11use_defaultEEEj11max_functorIjEjEEDaPvRmT3_T4_T5_mT6_P12ihipStream_tbENKUlT_T0_E_clISt17integral_constantIbLb0EESW_IbLb1EEEEDaSS_ST_EUlSS_E_NS1_11comp_targetILNS1_3genE9ELNS1_11target_archE1100ELNS1_3gpuE3ELNS1_3repE0EEENS1_30default_config_static_selectorELNS0_4arch9wavefront6targetE1EEEvT1_
	.p2align	8
	.type	_ZN7rocprim17ROCPRIM_400000_NS6detail17trampoline_kernelINS0_14default_configENS1_20scan_config_selectorIjEEZZNS1_9scan_implILNS1_25lookback_scan_determinismE0ELb0ELb0ES3_N6thrust23THRUST_200600_302600_NS6detail15normal_iteratorINS9_10device_ptrIjEEEENS9_16discard_iteratorINS9_11use_defaultEEEj11max_functorIjEjEEDaPvRmT3_T4_T5_mT6_P12ihipStream_tbENKUlT_T0_E_clISt17integral_constantIbLb0EESW_IbLb1EEEEDaSS_ST_EUlSS_E_NS1_11comp_targetILNS1_3genE9ELNS1_11target_archE1100ELNS1_3gpuE3ELNS1_3repE0EEENS1_30default_config_static_selectorELNS0_4arch9wavefront6targetE1EEEvT1_,@function
_ZN7rocprim17ROCPRIM_400000_NS6detail17trampoline_kernelINS0_14default_configENS1_20scan_config_selectorIjEEZZNS1_9scan_implILNS1_25lookback_scan_determinismE0ELb0ELb0ES3_N6thrust23THRUST_200600_302600_NS6detail15normal_iteratorINS9_10device_ptrIjEEEENS9_16discard_iteratorINS9_11use_defaultEEEj11max_functorIjEjEEDaPvRmT3_T4_T5_mT6_P12ihipStream_tbENKUlT_T0_E_clISt17integral_constantIbLb0EESW_IbLb1EEEEDaSS_ST_EUlSS_E_NS1_11comp_targetILNS1_3genE9ELNS1_11target_archE1100ELNS1_3gpuE3ELNS1_3repE0EEENS1_30default_config_static_selectorELNS0_4arch9wavefront6targetE1EEEvT1_: ; @_ZN7rocprim17ROCPRIM_400000_NS6detail17trampoline_kernelINS0_14default_configENS1_20scan_config_selectorIjEEZZNS1_9scan_implILNS1_25lookback_scan_determinismE0ELb0ELb0ES3_N6thrust23THRUST_200600_302600_NS6detail15normal_iteratorINS9_10device_ptrIjEEEENS9_16discard_iteratorINS9_11use_defaultEEEj11max_functorIjEjEEDaPvRmT3_T4_T5_mT6_P12ihipStream_tbENKUlT_T0_E_clISt17integral_constantIbLb0EESW_IbLb1EEEEDaSS_ST_EUlSS_E_NS1_11comp_targetILNS1_3genE9ELNS1_11target_archE1100ELNS1_3gpuE3ELNS1_3repE0EEENS1_30default_config_static_selectorELNS0_4arch9wavefront6targetE1EEEvT1_
; %bb.0:
	.section	.rodata,"a",@progbits
	.p2align	6, 0x0
	.amdhsa_kernel _ZN7rocprim17ROCPRIM_400000_NS6detail17trampoline_kernelINS0_14default_configENS1_20scan_config_selectorIjEEZZNS1_9scan_implILNS1_25lookback_scan_determinismE0ELb0ELb0ES3_N6thrust23THRUST_200600_302600_NS6detail15normal_iteratorINS9_10device_ptrIjEEEENS9_16discard_iteratorINS9_11use_defaultEEEj11max_functorIjEjEEDaPvRmT3_T4_T5_mT6_P12ihipStream_tbENKUlT_T0_E_clISt17integral_constantIbLb0EESW_IbLb1EEEEDaSS_ST_EUlSS_E_NS1_11comp_targetILNS1_3genE9ELNS1_11target_archE1100ELNS1_3gpuE3ELNS1_3repE0EEENS1_30default_config_static_selectorELNS0_4arch9wavefront6targetE1EEEvT1_
		.amdhsa_group_segment_fixed_size 0
		.amdhsa_private_segment_fixed_size 0
		.amdhsa_kernarg_size 104
		.amdhsa_user_sgpr_count 6
		.amdhsa_user_sgpr_private_segment_buffer 1
		.amdhsa_user_sgpr_dispatch_ptr 0
		.amdhsa_user_sgpr_queue_ptr 0
		.amdhsa_user_sgpr_kernarg_segment_ptr 1
		.amdhsa_user_sgpr_dispatch_id 0
		.amdhsa_user_sgpr_flat_scratch_init 0
		.amdhsa_user_sgpr_kernarg_preload_length 0
		.amdhsa_user_sgpr_kernarg_preload_offset 0
		.amdhsa_user_sgpr_private_segment_size 0
		.amdhsa_uses_dynamic_stack 0
		.amdhsa_system_sgpr_private_segment_wavefront_offset 0
		.amdhsa_system_sgpr_workgroup_id_x 1
		.amdhsa_system_sgpr_workgroup_id_y 0
		.amdhsa_system_sgpr_workgroup_id_z 0
		.amdhsa_system_sgpr_workgroup_info 0
		.amdhsa_system_vgpr_workitem_id 0
		.amdhsa_next_free_vgpr 1
		.amdhsa_next_free_sgpr 0
		.amdhsa_accum_offset 4
		.amdhsa_reserve_vcc 0
		.amdhsa_reserve_flat_scratch 0
		.amdhsa_float_round_mode_32 0
		.amdhsa_float_round_mode_16_64 0
		.amdhsa_float_denorm_mode_32 3
		.amdhsa_float_denorm_mode_16_64 3
		.amdhsa_dx10_clamp 1
		.amdhsa_ieee_mode 1
		.amdhsa_fp16_overflow 0
		.amdhsa_tg_split 0
		.amdhsa_exception_fp_ieee_invalid_op 0
		.amdhsa_exception_fp_denorm_src 0
		.amdhsa_exception_fp_ieee_div_zero 0
		.amdhsa_exception_fp_ieee_overflow 0
		.amdhsa_exception_fp_ieee_underflow 0
		.amdhsa_exception_fp_ieee_inexact 0
		.amdhsa_exception_int_div_zero 0
	.end_amdhsa_kernel
	.section	.text._ZN7rocprim17ROCPRIM_400000_NS6detail17trampoline_kernelINS0_14default_configENS1_20scan_config_selectorIjEEZZNS1_9scan_implILNS1_25lookback_scan_determinismE0ELb0ELb0ES3_N6thrust23THRUST_200600_302600_NS6detail15normal_iteratorINS9_10device_ptrIjEEEENS9_16discard_iteratorINS9_11use_defaultEEEj11max_functorIjEjEEDaPvRmT3_T4_T5_mT6_P12ihipStream_tbENKUlT_T0_E_clISt17integral_constantIbLb0EESW_IbLb1EEEEDaSS_ST_EUlSS_E_NS1_11comp_targetILNS1_3genE9ELNS1_11target_archE1100ELNS1_3gpuE3ELNS1_3repE0EEENS1_30default_config_static_selectorELNS0_4arch9wavefront6targetE1EEEvT1_,"axG",@progbits,_ZN7rocprim17ROCPRIM_400000_NS6detail17trampoline_kernelINS0_14default_configENS1_20scan_config_selectorIjEEZZNS1_9scan_implILNS1_25lookback_scan_determinismE0ELb0ELb0ES3_N6thrust23THRUST_200600_302600_NS6detail15normal_iteratorINS9_10device_ptrIjEEEENS9_16discard_iteratorINS9_11use_defaultEEEj11max_functorIjEjEEDaPvRmT3_T4_T5_mT6_P12ihipStream_tbENKUlT_T0_E_clISt17integral_constantIbLb0EESW_IbLb1EEEEDaSS_ST_EUlSS_E_NS1_11comp_targetILNS1_3genE9ELNS1_11target_archE1100ELNS1_3gpuE3ELNS1_3repE0EEENS1_30default_config_static_selectorELNS0_4arch9wavefront6targetE1EEEvT1_,comdat
.Lfunc_end3483:
	.size	_ZN7rocprim17ROCPRIM_400000_NS6detail17trampoline_kernelINS0_14default_configENS1_20scan_config_selectorIjEEZZNS1_9scan_implILNS1_25lookback_scan_determinismE0ELb0ELb0ES3_N6thrust23THRUST_200600_302600_NS6detail15normal_iteratorINS9_10device_ptrIjEEEENS9_16discard_iteratorINS9_11use_defaultEEEj11max_functorIjEjEEDaPvRmT3_T4_T5_mT6_P12ihipStream_tbENKUlT_T0_E_clISt17integral_constantIbLb0EESW_IbLb1EEEEDaSS_ST_EUlSS_E_NS1_11comp_targetILNS1_3genE9ELNS1_11target_archE1100ELNS1_3gpuE3ELNS1_3repE0EEENS1_30default_config_static_selectorELNS0_4arch9wavefront6targetE1EEEvT1_, .Lfunc_end3483-_ZN7rocprim17ROCPRIM_400000_NS6detail17trampoline_kernelINS0_14default_configENS1_20scan_config_selectorIjEEZZNS1_9scan_implILNS1_25lookback_scan_determinismE0ELb0ELb0ES3_N6thrust23THRUST_200600_302600_NS6detail15normal_iteratorINS9_10device_ptrIjEEEENS9_16discard_iteratorINS9_11use_defaultEEEj11max_functorIjEjEEDaPvRmT3_T4_T5_mT6_P12ihipStream_tbENKUlT_T0_E_clISt17integral_constantIbLb0EESW_IbLb1EEEEDaSS_ST_EUlSS_E_NS1_11comp_targetILNS1_3genE9ELNS1_11target_archE1100ELNS1_3gpuE3ELNS1_3repE0EEENS1_30default_config_static_selectorELNS0_4arch9wavefront6targetE1EEEvT1_
                                        ; -- End function
	.section	.AMDGPU.csdata,"",@progbits
; Kernel info:
; codeLenInByte = 0
; NumSgprs: 4
; NumVgprs: 0
; NumAgprs: 0
; TotalNumVgprs: 0
; ScratchSize: 0
; MemoryBound: 0
; FloatMode: 240
; IeeeMode: 1
; LDSByteSize: 0 bytes/workgroup (compile time only)
; SGPRBlocks: 0
; VGPRBlocks: 0
; NumSGPRsForWavesPerEU: 4
; NumVGPRsForWavesPerEU: 1
; AccumOffset: 4
; Occupancy: 8
; WaveLimiterHint : 0
; COMPUTE_PGM_RSRC2:SCRATCH_EN: 0
; COMPUTE_PGM_RSRC2:USER_SGPR: 6
; COMPUTE_PGM_RSRC2:TRAP_HANDLER: 0
; COMPUTE_PGM_RSRC2:TGID_X_EN: 1
; COMPUTE_PGM_RSRC2:TGID_Y_EN: 0
; COMPUTE_PGM_RSRC2:TGID_Z_EN: 0
; COMPUTE_PGM_RSRC2:TIDIG_COMP_CNT: 0
; COMPUTE_PGM_RSRC3_GFX90A:ACCUM_OFFSET: 0
; COMPUTE_PGM_RSRC3_GFX90A:TG_SPLIT: 0
	.section	.text._ZN7rocprim17ROCPRIM_400000_NS6detail17trampoline_kernelINS0_14default_configENS1_20scan_config_selectorIjEEZZNS1_9scan_implILNS1_25lookback_scan_determinismE0ELb0ELb0ES3_N6thrust23THRUST_200600_302600_NS6detail15normal_iteratorINS9_10device_ptrIjEEEENS9_16discard_iteratorINS9_11use_defaultEEEj11max_functorIjEjEEDaPvRmT3_T4_T5_mT6_P12ihipStream_tbENKUlT_T0_E_clISt17integral_constantIbLb0EESW_IbLb1EEEEDaSS_ST_EUlSS_E_NS1_11comp_targetILNS1_3genE8ELNS1_11target_archE1030ELNS1_3gpuE2ELNS1_3repE0EEENS1_30default_config_static_selectorELNS0_4arch9wavefront6targetE1EEEvT1_,"axG",@progbits,_ZN7rocprim17ROCPRIM_400000_NS6detail17trampoline_kernelINS0_14default_configENS1_20scan_config_selectorIjEEZZNS1_9scan_implILNS1_25lookback_scan_determinismE0ELb0ELb0ES3_N6thrust23THRUST_200600_302600_NS6detail15normal_iteratorINS9_10device_ptrIjEEEENS9_16discard_iteratorINS9_11use_defaultEEEj11max_functorIjEjEEDaPvRmT3_T4_T5_mT6_P12ihipStream_tbENKUlT_T0_E_clISt17integral_constantIbLb0EESW_IbLb1EEEEDaSS_ST_EUlSS_E_NS1_11comp_targetILNS1_3genE8ELNS1_11target_archE1030ELNS1_3gpuE2ELNS1_3repE0EEENS1_30default_config_static_selectorELNS0_4arch9wavefront6targetE1EEEvT1_,comdat
	.protected	_ZN7rocprim17ROCPRIM_400000_NS6detail17trampoline_kernelINS0_14default_configENS1_20scan_config_selectorIjEEZZNS1_9scan_implILNS1_25lookback_scan_determinismE0ELb0ELb0ES3_N6thrust23THRUST_200600_302600_NS6detail15normal_iteratorINS9_10device_ptrIjEEEENS9_16discard_iteratorINS9_11use_defaultEEEj11max_functorIjEjEEDaPvRmT3_T4_T5_mT6_P12ihipStream_tbENKUlT_T0_E_clISt17integral_constantIbLb0EESW_IbLb1EEEEDaSS_ST_EUlSS_E_NS1_11comp_targetILNS1_3genE8ELNS1_11target_archE1030ELNS1_3gpuE2ELNS1_3repE0EEENS1_30default_config_static_selectorELNS0_4arch9wavefront6targetE1EEEvT1_ ; -- Begin function _ZN7rocprim17ROCPRIM_400000_NS6detail17trampoline_kernelINS0_14default_configENS1_20scan_config_selectorIjEEZZNS1_9scan_implILNS1_25lookback_scan_determinismE0ELb0ELb0ES3_N6thrust23THRUST_200600_302600_NS6detail15normal_iteratorINS9_10device_ptrIjEEEENS9_16discard_iteratorINS9_11use_defaultEEEj11max_functorIjEjEEDaPvRmT3_T4_T5_mT6_P12ihipStream_tbENKUlT_T0_E_clISt17integral_constantIbLb0EESW_IbLb1EEEEDaSS_ST_EUlSS_E_NS1_11comp_targetILNS1_3genE8ELNS1_11target_archE1030ELNS1_3gpuE2ELNS1_3repE0EEENS1_30default_config_static_selectorELNS0_4arch9wavefront6targetE1EEEvT1_
	.globl	_ZN7rocprim17ROCPRIM_400000_NS6detail17trampoline_kernelINS0_14default_configENS1_20scan_config_selectorIjEEZZNS1_9scan_implILNS1_25lookback_scan_determinismE0ELb0ELb0ES3_N6thrust23THRUST_200600_302600_NS6detail15normal_iteratorINS9_10device_ptrIjEEEENS9_16discard_iteratorINS9_11use_defaultEEEj11max_functorIjEjEEDaPvRmT3_T4_T5_mT6_P12ihipStream_tbENKUlT_T0_E_clISt17integral_constantIbLb0EESW_IbLb1EEEEDaSS_ST_EUlSS_E_NS1_11comp_targetILNS1_3genE8ELNS1_11target_archE1030ELNS1_3gpuE2ELNS1_3repE0EEENS1_30default_config_static_selectorELNS0_4arch9wavefront6targetE1EEEvT1_
	.p2align	8
	.type	_ZN7rocprim17ROCPRIM_400000_NS6detail17trampoline_kernelINS0_14default_configENS1_20scan_config_selectorIjEEZZNS1_9scan_implILNS1_25lookback_scan_determinismE0ELb0ELb0ES3_N6thrust23THRUST_200600_302600_NS6detail15normal_iteratorINS9_10device_ptrIjEEEENS9_16discard_iteratorINS9_11use_defaultEEEj11max_functorIjEjEEDaPvRmT3_T4_T5_mT6_P12ihipStream_tbENKUlT_T0_E_clISt17integral_constantIbLb0EESW_IbLb1EEEEDaSS_ST_EUlSS_E_NS1_11comp_targetILNS1_3genE8ELNS1_11target_archE1030ELNS1_3gpuE2ELNS1_3repE0EEENS1_30default_config_static_selectorELNS0_4arch9wavefront6targetE1EEEvT1_,@function
_ZN7rocprim17ROCPRIM_400000_NS6detail17trampoline_kernelINS0_14default_configENS1_20scan_config_selectorIjEEZZNS1_9scan_implILNS1_25lookback_scan_determinismE0ELb0ELb0ES3_N6thrust23THRUST_200600_302600_NS6detail15normal_iteratorINS9_10device_ptrIjEEEENS9_16discard_iteratorINS9_11use_defaultEEEj11max_functorIjEjEEDaPvRmT3_T4_T5_mT6_P12ihipStream_tbENKUlT_T0_E_clISt17integral_constantIbLb0EESW_IbLb1EEEEDaSS_ST_EUlSS_E_NS1_11comp_targetILNS1_3genE8ELNS1_11target_archE1030ELNS1_3gpuE2ELNS1_3repE0EEENS1_30default_config_static_selectorELNS0_4arch9wavefront6targetE1EEEvT1_: ; @_ZN7rocprim17ROCPRIM_400000_NS6detail17trampoline_kernelINS0_14default_configENS1_20scan_config_selectorIjEEZZNS1_9scan_implILNS1_25lookback_scan_determinismE0ELb0ELb0ES3_N6thrust23THRUST_200600_302600_NS6detail15normal_iteratorINS9_10device_ptrIjEEEENS9_16discard_iteratorINS9_11use_defaultEEEj11max_functorIjEjEEDaPvRmT3_T4_T5_mT6_P12ihipStream_tbENKUlT_T0_E_clISt17integral_constantIbLb0EESW_IbLb1EEEEDaSS_ST_EUlSS_E_NS1_11comp_targetILNS1_3genE8ELNS1_11target_archE1030ELNS1_3gpuE2ELNS1_3repE0EEENS1_30default_config_static_selectorELNS0_4arch9wavefront6targetE1EEEvT1_
; %bb.0:
	.section	.rodata,"a",@progbits
	.p2align	6, 0x0
	.amdhsa_kernel _ZN7rocprim17ROCPRIM_400000_NS6detail17trampoline_kernelINS0_14default_configENS1_20scan_config_selectorIjEEZZNS1_9scan_implILNS1_25lookback_scan_determinismE0ELb0ELb0ES3_N6thrust23THRUST_200600_302600_NS6detail15normal_iteratorINS9_10device_ptrIjEEEENS9_16discard_iteratorINS9_11use_defaultEEEj11max_functorIjEjEEDaPvRmT3_T4_T5_mT6_P12ihipStream_tbENKUlT_T0_E_clISt17integral_constantIbLb0EESW_IbLb1EEEEDaSS_ST_EUlSS_E_NS1_11comp_targetILNS1_3genE8ELNS1_11target_archE1030ELNS1_3gpuE2ELNS1_3repE0EEENS1_30default_config_static_selectorELNS0_4arch9wavefront6targetE1EEEvT1_
		.amdhsa_group_segment_fixed_size 0
		.amdhsa_private_segment_fixed_size 0
		.amdhsa_kernarg_size 104
		.amdhsa_user_sgpr_count 6
		.amdhsa_user_sgpr_private_segment_buffer 1
		.amdhsa_user_sgpr_dispatch_ptr 0
		.amdhsa_user_sgpr_queue_ptr 0
		.amdhsa_user_sgpr_kernarg_segment_ptr 1
		.amdhsa_user_sgpr_dispatch_id 0
		.amdhsa_user_sgpr_flat_scratch_init 0
		.amdhsa_user_sgpr_kernarg_preload_length 0
		.amdhsa_user_sgpr_kernarg_preload_offset 0
		.amdhsa_user_sgpr_private_segment_size 0
		.amdhsa_uses_dynamic_stack 0
		.amdhsa_system_sgpr_private_segment_wavefront_offset 0
		.amdhsa_system_sgpr_workgroup_id_x 1
		.amdhsa_system_sgpr_workgroup_id_y 0
		.amdhsa_system_sgpr_workgroup_id_z 0
		.amdhsa_system_sgpr_workgroup_info 0
		.amdhsa_system_vgpr_workitem_id 0
		.amdhsa_next_free_vgpr 1
		.amdhsa_next_free_sgpr 0
		.amdhsa_accum_offset 4
		.amdhsa_reserve_vcc 0
		.amdhsa_reserve_flat_scratch 0
		.amdhsa_float_round_mode_32 0
		.amdhsa_float_round_mode_16_64 0
		.amdhsa_float_denorm_mode_32 3
		.amdhsa_float_denorm_mode_16_64 3
		.amdhsa_dx10_clamp 1
		.amdhsa_ieee_mode 1
		.amdhsa_fp16_overflow 0
		.amdhsa_tg_split 0
		.amdhsa_exception_fp_ieee_invalid_op 0
		.amdhsa_exception_fp_denorm_src 0
		.amdhsa_exception_fp_ieee_div_zero 0
		.amdhsa_exception_fp_ieee_overflow 0
		.amdhsa_exception_fp_ieee_underflow 0
		.amdhsa_exception_fp_ieee_inexact 0
		.amdhsa_exception_int_div_zero 0
	.end_amdhsa_kernel
	.section	.text._ZN7rocprim17ROCPRIM_400000_NS6detail17trampoline_kernelINS0_14default_configENS1_20scan_config_selectorIjEEZZNS1_9scan_implILNS1_25lookback_scan_determinismE0ELb0ELb0ES3_N6thrust23THRUST_200600_302600_NS6detail15normal_iteratorINS9_10device_ptrIjEEEENS9_16discard_iteratorINS9_11use_defaultEEEj11max_functorIjEjEEDaPvRmT3_T4_T5_mT6_P12ihipStream_tbENKUlT_T0_E_clISt17integral_constantIbLb0EESW_IbLb1EEEEDaSS_ST_EUlSS_E_NS1_11comp_targetILNS1_3genE8ELNS1_11target_archE1030ELNS1_3gpuE2ELNS1_3repE0EEENS1_30default_config_static_selectorELNS0_4arch9wavefront6targetE1EEEvT1_,"axG",@progbits,_ZN7rocprim17ROCPRIM_400000_NS6detail17trampoline_kernelINS0_14default_configENS1_20scan_config_selectorIjEEZZNS1_9scan_implILNS1_25lookback_scan_determinismE0ELb0ELb0ES3_N6thrust23THRUST_200600_302600_NS6detail15normal_iteratorINS9_10device_ptrIjEEEENS9_16discard_iteratorINS9_11use_defaultEEEj11max_functorIjEjEEDaPvRmT3_T4_T5_mT6_P12ihipStream_tbENKUlT_T0_E_clISt17integral_constantIbLb0EESW_IbLb1EEEEDaSS_ST_EUlSS_E_NS1_11comp_targetILNS1_3genE8ELNS1_11target_archE1030ELNS1_3gpuE2ELNS1_3repE0EEENS1_30default_config_static_selectorELNS0_4arch9wavefront6targetE1EEEvT1_,comdat
.Lfunc_end3484:
	.size	_ZN7rocprim17ROCPRIM_400000_NS6detail17trampoline_kernelINS0_14default_configENS1_20scan_config_selectorIjEEZZNS1_9scan_implILNS1_25lookback_scan_determinismE0ELb0ELb0ES3_N6thrust23THRUST_200600_302600_NS6detail15normal_iteratorINS9_10device_ptrIjEEEENS9_16discard_iteratorINS9_11use_defaultEEEj11max_functorIjEjEEDaPvRmT3_T4_T5_mT6_P12ihipStream_tbENKUlT_T0_E_clISt17integral_constantIbLb0EESW_IbLb1EEEEDaSS_ST_EUlSS_E_NS1_11comp_targetILNS1_3genE8ELNS1_11target_archE1030ELNS1_3gpuE2ELNS1_3repE0EEENS1_30default_config_static_selectorELNS0_4arch9wavefront6targetE1EEEvT1_, .Lfunc_end3484-_ZN7rocprim17ROCPRIM_400000_NS6detail17trampoline_kernelINS0_14default_configENS1_20scan_config_selectorIjEEZZNS1_9scan_implILNS1_25lookback_scan_determinismE0ELb0ELb0ES3_N6thrust23THRUST_200600_302600_NS6detail15normal_iteratorINS9_10device_ptrIjEEEENS9_16discard_iteratorINS9_11use_defaultEEEj11max_functorIjEjEEDaPvRmT3_T4_T5_mT6_P12ihipStream_tbENKUlT_T0_E_clISt17integral_constantIbLb0EESW_IbLb1EEEEDaSS_ST_EUlSS_E_NS1_11comp_targetILNS1_3genE8ELNS1_11target_archE1030ELNS1_3gpuE2ELNS1_3repE0EEENS1_30default_config_static_selectorELNS0_4arch9wavefront6targetE1EEEvT1_
                                        ; -- End function
	.section	.AMDGPU.csdata,"",@progbits
; Kernel info:
; codeLenInByte = 0
; NumSgprs: 4
; NumVgprs: 0
; NumAgprs: 0
; TotalNumVgprs: 0
; ScratchSize: 0
; MemoryBound: 0
; FloatMode: 240
; IeeeMode: 1
; LDSByteSize: 0 bytes/workgroup (compile time only)
; SGPRBlocks: 0
; VGPRBlocks: 0
; NumSGPRsForWavesPerEU: 4
; NumVGPRsForWavesPerEU: 1
; AccumOffset: 4
; Occupancy: 8
; WaveLimiterHint : 0
; COMPUTE_PGM_RSRC2:SCRATCH_EN: 0
; COMPUTE_PGM_RSRC2:USER_SGPR: 6
; COMPUTE_PGM_RSRC2:TRAP_HANDLER: 0
; COMPUTE_PGM_RSRC2:TGID_X_EN: 1
; COMPUTE_PGM_RSRC2:TGID_Y_EN: 0
; COMPUTE_PGM_RSRC2:TGID_Z_EN: 0
; COMPUTE_PGM_RSRC2:TIDIG_COMP_CNT: 0
; COMPUTE_PGM_RSRC3_GFX90A:ACCUM_OFFSET: 0
; COMPUTE_PGM_RSRC3_GFX90A:TG_SPLIT: 0
	.section	.text._ZN7rocprim17ROCPRIM_400000_NS6detail17trampoline_kernelINS0_14default_configENS1_20scan_config_selectorIjEEZZNS1_9scan_implILNS1_25lookback_scan_determinismE0ELb0ELb0ES3_N6thrust23THRUST_200600_302600_NS6detail15normal_iteratorINS9_10device_ptrIjEEEENS9_16discard_iteratorINS9_11use_defaultEEEj11max_functorIjEjEEDaPvRmT3_T4_T5_mT6_P12ihipStream_tbENKUlT_T0_E_clISt17integral_constantIbLb0EESW_IbLb1EEEEDaSS_ST_EUlSS_E0_NS1_11comp_targetILNS1_3genE0ELNS1_11target_archE4294967295ELNS1_3gpuE0ELNS1_3repE0EEENS1_30default_config_static_selectorELNS0_4arch9wavefront6targetE1EEEvT1_,"axG",@progbits,_ZN7rocprim17ROCPRIM_400000_NS6detail17trampoline_kernelINS0_14default_configENS1_20scan_config_selectorIjEEZZNS1_9scan_implILNS1_25lookback_scan_determinismE0ELb0ELb0ES3_N6thrust23THRUST_200600_302600_NS6detail15normal_iteratorINS9_10device_ptrIjEEEENS9_16discard_iteratorINS9_11use_defaultEEEj11max_functorIjEjEEDaPvRmT3_T4_T5_mT6_P12ihipStream_tbENKUlT_T0_E_clISt17integral_constantIbLb0EESW_IbLb1EEEEDaSS_ST_EUlSS_E0_NS1_11comp_targetILNS1_3genE0ELNS1_11target_archE4294967295ELNS1_3gpuE0ELNS1_3repE0EEENS1_30default_config_static_selectorELNS0_4arch9wavefront6targetE1EEEvT1_,comdat
	.protected	_ZN7rocprim17ROCPRIM_400000_NS6detail17trampoline_kernelINS0_14default_configENS1_20scan_config_selectorIjEEZZNS1_9scan_implILNS1_25lookback_scan_determinismE0ELb0ELb0ES3_N6thrust23THRUST_200600_302600_NS6detail15normal_iteratorINS9_10device_ptrIjEEEENS9_16discard_iteratorINS9_11use_defaultEEEj11max_functorIjEjEEDaPvRmT3_T4_T5_mT6_P12ihipStream_tbENKUlT_T0_E_clISt17integral_constantIbLb0EESW_IbLb1EEEEDaSS_ST_EUlSS_E0_NS1_11comp_targetILNS1_3genE0ELNS1_11target_archE4294967295ELNS1_3gpuE0ELNS1_3repE0EEENS1_30default_config_static_selectorELNS0_4arch9wavefront6targetE1EEEvT1_ ; -- Begin function _ZN7rocprim17ROCPRIM_400000_NS6detail17trampoline_kernelINS0_14default_configENS1_20scan_config_selectorIjEEZZNS1_9scan_implILNS1_25lookback_scan_determinismE0ELb0ELb0ES3_N6thrust23THRUST_200600_302600_NS6detail15normal_iteratorINS9_10device_ptrIjEEEENS9_16discard_iteratorINS9_11use_defaultEEEj11max_functorIjEjEEDaPvRmT3_T4_T5_mT6_P12ihipStream_tbENKUlT_T0_E_clISt17integral_constantIbLb0EESW_IbLb1EEEEDaSS_ST_EUlSS_E0_NS1_11comp_targetILNS1_3genE0ELNS1_11target_archE4294967295ELNS1_3gpuE0ELNS1_3repE0EEENS1_30default_config_static_selectorELNS0_4arch9wavefront6targetE1EEEvT1_
	.globl	_ZN7rocprim17ROCPRIM_400000_NS6detail17trampoline_kernelINS0_14default_configENS1_20scan_config_selectorIjEEZZNS1_9scan_implILNS1_25lookback_scan_determinismE0ELb0ELb0ES3_N6thrust23THRUST_200600_302600_NS6detail15normal_iteratorINS9_10device_ptrIjEEEENS9_16discard_iteratorINS9_11use_defaultEEEj11max_functorIjEjEEDaPvRmT3_T4_T5_mT6_P12ihipStream_tbENKUlT_T0_E_clISt17integral_constantIbLb0EESW_IbLb1EEEEDaSS_ST_EUlSS_E0_NS1_11comp_targetILNS1_3genE0ELNS1_11target_archE4294967295ELNS1_3gpuE0ELNS1_3repE0EEENS1_30default_config_static_selectorELNS0_4arch9wavefront6targetE1EEEvT1_
	.p2align	8
	.type	_ZN7rocprim17ROCPRIM_400000_NS6detail17trampoline_kernelINS0_14default_configENS1_20scan_config_selectorIjEEZZNS1_9scan_implILNS1_25lookback_scan_determinismE0ELb0ELb0ES3_N6thrust23THRUST_200600_302600_NS6detail15normal_iteratorINS9_10device_ptrIjEEEENS9_16discard_iteratorINS9_11use_defaultEEEj11max_functorIjEjEEDaPvRmT3_T4_T5_mT6_P12ihipStream_tbENKUlT_T0_E_clISt17integral_constantIbLb0EESW_IbLb1EEEEDaSS_ST_EUlSS_E0_NS1_11comp_targetILNS1_3genE0ELNS1_11target_archE4294967295ELNS1_3gpuE0ELNS1_3repE0EEENS1_30default_config_static_selectorELNS0_4arch9wavefront6targetE1EEEvT1_,@function
_ZN7rocprim17ROCPRIM_400000_NS6detail17trampoline_kernelINS0_14default_configENS1_20scan_config_selectorIjEEZZNS1_9scan_implILNS1_25lookback_scan_determinismE0ELb0ELb0ES3_N6thrust23THRUST_200600_302600_NS6detail15normal_iteratorINS9_10device_ptrIjEEEENS9_16discard_iteratorINS9_11use_defaultEEEj11max_functorIjEjEEDaPvRmT3_T4_T5_mT6_P12ihipStream_tbENKUlT_T0_E_clISt17integral_constantIbLb0EESW_IbLb1EEEEDaSS_ST_EUlSS_E0_NS1_11comp_targetILNS1_3genE0ELNS1_11target_archE4294967295ELNS1_3gpuE0ELNS1_3repE0EEENS1_30default_config_static_selectorELNS0_4arch9wavefront6targetE1EEEvT1_: ; @_ZN7rocprim17ROCPRIM_400000_NS6detail17trampoline_kernelINS0_14default_configENS1_20scan_config_selectorIjEEZZNS1_9scan_implILNS1_25lookback_scan_determinismE0ELb0ELb0ES3_N6thrust23THRUST_200600_302600_NS6detail15normal_iteratorINS9_10device_ptrIjEEEENS9_16discard_iteratorINS9_11use_defaultEEEj11max_functorIjEjEEDaPvRmT3_T4_T5_mT6_P12ihipStream_tbENKUlT_T0_E_clISt17integral_constantIbLb0EESW_IbLb1EEEEDaSS_ST_EUlSS_E0_NS1_11comp_targetILNS1_3genE0ELNS1_11target_archE4294967295ELNS1_3gpuE0ELNS1_3repE0EEENS1_30default_config_static_selectorELNS0_4arch9wavefront6targetE1EEEvT1_
; %bb.0:
	.section	.rodata,"a",@progbits
	.p2align	6, 0x0
	.amdhsa_kernel _ZN7rocprim17ROCPRIM_400000_NS6detail17trampoline_kernelINS0_14default_configENS1_20scan_config_selectorIjEEZZNS1_9scan_implILNS1_25lookback_scan_determinismE0ELb0ELb0ES3_N6thrust23THRUST_200600_302600_NS6detail15normal_iteratorINS9_10device_ptrIjEEEENS9_16discard_iteratorINS9_11use_defaultEEEj11max_functorIjEjEEDaPvRmT3_T4_T5_mT6_P12ihipStream_tbENKUlT_T0_E_clISt17integral_constantIbLb0EESW_IbLb1EEEEDaSS_ST_EUlSS_E0_NS1_11comp_targetILNS1_3genE0ELNS1_11target_archE4294967295ELNS1_3gpuE0ELNS1_3repE0EEENS1_30default_config_static_selectorELNS0_4arch9wavefront6targetE1EEEvT1_
		.amdhsa_group_segment_fixed_size 0
		.amdhsa_private_segment_fixed_size 0
		.amdhsa_kernarg_size 40
		.amdhsa_user_sgpr_count 6
		.amdhsa_user_sgpr_private_segment_buffer 1
		.amdhsa_user_sgpr_dispatch_ptr 0
		.amdhsa_user_sgpr_queue_ptr 0
		.amdhsa_user_sgpr_kernarg_segment_ptr 1
		.amdhsa_user_sgpr_dispatch_id 0
		.amdhsa_user_sgpr_flat_scratch_init 0
		.amdhsa_user_sgpr_kernarg_preload_length 0
		.amdhsa_user_sgpr_kernarg_preload_offset 0
		.amdhsa_user_sgpr_private_segment_size 0
		.amdhsa_uses_dynamic_stack 0
		.amdhsa_system_sgpr_private_segment_wavefront_offset 0
		.amdhsa_system_sgpr_workgroup_id_x 1
		.amdhsa_system_sgpr_workgroup_id_y 0
		.amdhsa_system_sgpr_workgroup_id_z 0
		.amdhsa_system_sgpr_workgroup_info 0
		.amdhsa_system_vgpr_workitem_id 0
		.amdhsa_next_free_vgpr 1
		.amdhsa_next_free_sgpr 0
		.amdhsa_accum_offset 4
		.amdhsa_reserve_vcc 0
		.amdhsa_reserve_flat_scratch 0
		.amdhsa_float_round_mode_32 0
		.amdhsa_float_round_mode_16_64 0
		.amdhsa_float_denorm_mode_32 3
		.amdhsa_float_denorm_mode_16_64 3
		.amdhsa_dx10_clamp 1
		.amdhsa_ieee_mode 1
		.amdhsa_fp16_overflow 0
		.amdhsa_tg_split 0
		.amdhsa_exception_fp_ieee_invalid_op 0
		.amdhsa_exception_fp_denorm_src 0
		.amdhsa_exception_fp_ieee_div_zero 0
		.amdhsa_exception_fp_ieee_overflow 0
		.amdhsa_exception_fp_ieee_underflow 0
		.amdhsa_exception_fp_ieee_inexact 0
		.amdhsa_exception_int_div_zero 0
	.end_amdhsa_kernel
	.section	.text._ZN7rocprim17ROCPRIM_400000_NS6detail17trampoline_kernelINS0_14default_configENS1_20scan_config_selectorIjEEZZNS1_9scan_implILNS1_25lookback_scan_determinismE0ELb0ELb0ES3_N6thrust23THRUST_200600_302600_NS6detail15normal_iteratorINS9_10device_ptrIjEEEENS9_16discard_iteratorINS9_11use_defaultEEEj11max_functorIjEjEEDaPvRmT3_T4_T5_mT6_P12ihipStream_tbENKUlT_T0_E_clISt17integral_constantIbLb0EESW_IbLb1EEEEDaSS_ST_EUlSS_E0_NS1_11comp_targetILNS1_3genE0ELNS1_11target_archE4294967295ELNS1_3gpuE0ELNS1_3repE0EEENS1_30default_config_static_selectorELNS0_4arch9wavefront6targetE1EEEvT1_,"axG",@progbits,_ZN7rocprim17ROCPRIM_400000_NS6detail17trampoline_kernelINS0_14default_configENS1_20scan_config_selectorIjEEZZNS1_9scan_implILNS1_25lookback_scan_determinismE0ELb0ELb0ES3_N6thrust23THRUST_200600_302600_NS6detail15normal_iteratorINS9_10device_ptrIjEEEENS9_16discard_iteratorINS9_11use_defaultEEEj11max_functorIjEjEEDaPvRmT3_T4_T5_mT6_P12ihipStream_tbENKUlT_T0_E_clISt17integral_constantIbLb0EESW_IbLb1EEEEDaSS_ST_EUlSS_E0_NS1_11comp_targetILNS1_3genE0ELNS1_11target_archE4294967295ELNS1_3gpuE0ELNS1_3repE0EEENS1_30default_config_static_selectorELNS0_4arch9wavefront6targetE1EEEvT1_,comdat
.Lfunc_end3485:
	.size	_ZN7rocprim17ROCPRIM_400000_NS6detail17trampoline_kernelINS0_14default_configENS1_20scan_config_selectorIjEEZZNS1_9scan_implILNS1_25lookback_scan_determinismE0ELb0ELb0ES3_N6thrust23THRUST_200600_302600_NS6detail15normal_iteratorINS9_10device_ptrIjEEEENS9_16discard_iteratorINS9_11use_defaultEEEj11max_functorIjEjEEDaPvRmT3_T4_T5_mT6_P12ihipStream_tbENKUlT_T0_E_clISt17integral_constantIbLb0EESW_IbLb1EEEEDaSS_ST_EUlSS_E0_NS1_11comp_targetILNS1_3genE0ELNS1_11target_archE4294967295ELNS1_3gpuE0ELNS1_3repE0EEENS1_30default_config_static_selectorELNS0_4arch9wavefront6targetE1EEEvT1_, .Lfunc_end3485-_ZN7rocprim17ROCPRIM_400000_NS6detail17trampoline_kernelINS0_14default_configENS1_20scan_config_selectorIjEEZZNS1_9scan_implILNS1_25lookback_scan_determinismE0ELb0ELb0ES3_N6thrust23THRUST_200600_302600_NS6detail15normal_iteratorINS9_10device_ptrIjEEEENS9_16discard_iteratorINS9_11use_defaultEEEj11max_functorIjEjEEDaPvRmT3_T4_T5_mT6_P12ihipStream_tbENKUlT_T0_E_clISt17integral_constantIbLb0EESW_IbLb1EEEEDaSS_ST_EUlSS_E0_NS1_11comp_targetILNS1_3genE0ELNS1_11target_archE4294967295ELNS1_3gpuE0ELNS1_3repE0EEENS1_30default_config_static_selectorELNS0_4arch9wavefront6targetE1EEEvT1_
                                        ; -- End function
	.section	.AMDGPU.csdata,"",@progbits
; Kernel info:
; codeLenInByte = 0
; NumSgprs: 4
; NumVgprs: 0
; NumAgprs: 0
; TotalNumVgprs: 0
; ScratchSize: 0
; MemoryBound: 0
; FloatMode: 240
; IeeeMode: 1
; LDSByteSize: 0 bytes/workgroup (compile time only)
; SGPRBlocks: 0
; VGPRBlocks: 0
; NumSGPRsForWavesPerEU: 4
; NumVGPRsForWavesPerEU: 1
; AccumOffset: 4
; Occupancy: 8
; WaveLimiterHint : 0
; COMPUTE_PGM_RSRC2:SCRATCH_EN: 0
; COMPUTE_PGM_RSRC2:USER_SGPR: 6
; COMPUTE_PGM_RSRC2:TRAP_HANDLER: 0
; COMPUTE_PGM_RSRC2:TGID_X_EN: 1
; COMPUTE_PGM_RSRC2:TGID_Y_EN: 0
; COMPUTE_PGM_RSRC2:TGID_Z_EN: 0
; COMPUTE_PGM_RSRC2:TIDIG_COMP_CNT: 0
; COMPUTE_PGM_RSRC3_GFX90A:ACCUM_OFFSET: 0
; COMPUTE_PGM_RSRC3_GFX90A:TG_SPLIT: 0
	.section	.text._ZN7rocprim17ROCPRIM_400000_NS6detail17trampoline_kernelINS0_14default_configENS1_20scan_config_selectorIjEEZZNS1_9scan_implILNS1_25lookback_scan_determinismE0ELb0ELb0ES3_N6thrust23THRUST_200600_302600_NS6detail15normal_iteratorINS9_10device_ptrIjEEEENS9_16discard_iteratorINS9_11use_defaultEEEj11max_functorIjEjEEDaPvRmT3_T4_T5_mT6_P12ihipStream_tbENKUlT_T0_E_clISt17integral_constantIbLb0EESW_IbLb1EEEEDaSS_ST_EUlSS_E0_NS1_11comp_targetILNS1_3genE5ELNS1_11target_archE942ELNS1_3gpuE9ELNS1_3repE0EEENS1_30default_config_static_selectorELNS0_4arch9wavefront6targetE1EEEvT1_,"axG",@progbits,_ZN7rocprim17ROCPRIM_400000_NS6detail17trampoline_kernelINS0_14default_configENS1_20scan_config_selectorIjEEZZNS1_9scan_implILNS1_25lookback_scan_determinismE0ELb0ELb0ES3_N6thrust23THRUST_200600_302600_NS6detail15normal_iteratorINS9_10device_ptrIjEEEENS9_16discard_iteratorINS9_11use_defaultEEEj11max_functorIjEjEEDaPvRmT3_T4_T5_mT6_P12ihipStream_tbENKUlT_T0_E_clISt17integral_constantIbLb0EESW_IbLb1EEEEDaSS_ST_EUlSS_E0_NS1_11comp_targetILNS1_3genE5ELNS1_11target_archE942ELNS1_3gpuE9ELNS1_3repE0EEENS1_30default_config_static_selectorELNS0_4arch9wavefront6targetE1EEEvT1_,comdat
	.protected	_ZN7rocprim17ROCPRIM_400000_NS6detail17trampoline_kernelINS0_14default_configENS1_20scan_config_selectorIjEEZZNS1_9scan_implILNS1_25lookback_scan_determinismE0ELb0ELb0ES3_N6thrust23THRUST_200600_302600_NS6detail15normal_iteratorINS9_10device_ptrIjEEEENS9_16discard_iteratorINS9_11use_defaultEEEj11max_functorIjEjEEDaPvRmT3_T4_T5_mT6_P12ihipStream_tbENKUlT_T0_E_clISt17integral_constantIbLb0EESW_IbLb1EEEEDaSS_ST_EUlSS_E0_NS1_11comp_targetILNS1_3genE5ELNS1_11target_archE942ELNS1_3gpuE9ELNS1_3repE0EEENS1_30default_config_static_selectorELNS0_4arch9wavefront6targetE1EEEvT1_ ; -- Begin function _ZN7rocprim17ROCPRIM_400000_NS6detail17trampoline_kernelINS0_14default_configENS1_20scan_config_selectorIjEEZZNS1_9scan_implILNS1_25lookback_scan_determinismE0ELb0ELb0ES3_N6thrust23THRUST_200600_302600_NS6detail15normal_iteratorINS9_10device_ptrIjEEEENS9_16discard_iteratorINS9_11use_defaultEEEj11max_functorIjEjEEDaPvRmT3_T4_T5_mT6_P12ihipStream_tbENKUlT_T0_E_clISt17integral_constantIbLb0EESW_IbLb1EEEEDaSS_ST_EUlSS_E0_NS1_11comp_targetILNS1_3genE5ELNS1_11target_archE942ELNS1_3gpuE9ELNS1_3repE0EEENS1_30default_config_static_selectorELNS0_4arch9wavefront6targetE1EEEvT1_
	.globl	_ZN7rocprim17ROCPRIM_400000_NS6detail17trampoline_kernelINS0_14default_configENS1_20scan_config_selectorIjEEZZNS1_9scan_implILNS1_25lookback_scan_determinismE0ELb0ELb0ES3_N6thrust23THRUST_200600_302600_NS6detail15normal_iteratorINS9_10device_ptrIjEEEENS9_16discard_iteratorINS9_11use_defaultEEEj11max_functorIjEjEEDaPvRmT3_T4_T5_mT6_P12ihipStream_tbENKUlT_T0_E_clISt17integral_constantIbLb0EESW_IbLb1EEEEDaSS_ST_EUlSS_E0_NS1_11comp_targetILNS1_3genE5ELNS1_11target_archE942ELNS1_3gpuE9ELNS1_3repE0EEENS1_30default_config_static_selectorELNS0_4arch9wavefront6targetE1EEEvT1_
	.p2align	8
	.type	_ZN7rocprim17ROCPRIM_400000_NS6detail17trampoline_kernelINS0_14default_configENS1_20scan_config_selectorIjEEZZNS1_9scan_implILNS1_25lookback_scan_determinismE0ELb0ELb0ES3_N6thrust23THRUST_200600_302600_NS6detail15normal_iteratorINS9_10device_ptrIjEEEENS9_16discard_iteratorINS9_11use_defaultEEEj11max_functorIjEjEEDaPvRmT3_T4_T5_mT6_P12ihipStream_tbENKUlT_T0_E_clISt17integral_constantIbLb0EESW_IbLb1EEEEDaSS_ST_EUlSS_E0_NS1_11comp_targetILNS1_3genE5ELNS1_11target_archE942ELNS1_3gpuE9ELNS1_3repE0EEENS1_30default_config_static_selectorELNS0_4arch9wavefront6targetE1EEEvT1_,@function
_ZN7rocprim17ROCPRIM_400000_NS6detail17trampoline_kernelINS0_14default_configENS1_20scan_config_selectorIjEEZZNS1_9scan_implILNS1_25lookback_scan_determinismE0ELb0ELb0ES3_N6thrust23THRUST_200600_302600_NS6detail15normal_iteratorINS9_10device_ptrIjEEEENS9_16discard_iteratorINS9_11use_defaultEEEj11max_functorIjEjEEDaPvRmT3_T4_T5_mT6_P12ihipStream_tbENKUlT_T0_E_clISt17integral_constantIbLb0EESW_IbLb1EEEEDaSS_ST_EUlSS_E0_NS1_11comp_targetILNS1_3genE5ELNS1_11target_archE942ELNS1_3gpuE9ELNS1_3repE0EEENS1_30default_config_static_selectorELNS0_4arch9wavefront6targetE1EEEvT1_: ; @_ZN7rocprim17ROCPRIM_400000_NS6detail17trampoline_kernelINS0_14default_configENS1_20scan_config_selectorIjEEZZNS1_9scan_implILNS1_25lookback_scan_determinismE0ELb0ELb0ES3_N6thrust23THRUST_200600_302600_NS6detail15normal_iteratorINS9_10device_ptrIjEEEENS9_16discard_iteratorINS9_11use_defaultEEEj11max_functorIjEjEEDaPvRmT3_T4_T5_mT6_P12ihipStream_tbENKUlT_T0_E_clISt17integral_constantIbLb0EESW_IbLb1EEEEDaSS_ST_EUlSS_E0_NS1_11comp_targetILNS1_3genE5ELNS1_11target_archE942ELNS1_3gpuE9ELNS1_3repE0EEENS1_30default_config_static_selectorELNS0_4arch9wavefront6targetE1EEEvT1_
; %bb.0:
	.section	.rodata,"a",@progbits
	.p2align	6, 0x0
	.amdhsa_kernel _ZN7rocprim17ROCPRIM_400000_NS6detail17trampoline_kernelINS0_14default_configENS1_20scan_config_selectorIjEEZZNS1_9scan_implILNS1_25lookback_scan_determinismE0ELb0ELb0ES3_N6thrust23THRUST_200600_302600_NS6detail15normal_iteratorINS9_10device_ptrIjEEEENS9_16discard_iteratorINS9_11use_defaultEEEj11max_functorIjEjEEDaPvRmT3_T4_T5_mT6_P12ihipStream_tbENKUlT_T0_E_clISt17integral_constantIbLb0EESW_IbLb1EEEEDaSS_ST_EUlSS_E0_NS1_11comp_targetILNS1_3genE5ELNS1_11target_archE942ELNS1_3gpuE9ELNS1_3repE0EEENS1_30default_config_static_selectorELNS0_4arch9wavefront6targetE1EEEvT1_
		.amdhsa_group_segment_fixed_size 0
		.amdhsa_private_segment_fixed_size 0
		.amdhsa_kernarg_size 40
		.amdhsa_user_sgpr_count 6
		.amdhsa_user_sgpr_private_segment_buffer 1
		.amdhsa_user_sgpr_dispatch_ptr 0
		.amdhsa_user_sgpr_queue_ptr 0
		.amdhsa_user_sgpr_kernarg_segment_ptr 1
		.amdhsa_user_sgpr_dispatch_id 0
		.amdhsa_user_sgpr_flat_scratch_init 0
		.amdhsa_user_sgpr_kernarg_preload_length 0
		.amdhsa_user_sgpr_kernarg_preload_offset 0
		.amdhsa_user_sgpr_private_segment_size 0
		.amdhsa_uses_dynamic_stack 0
		.amdhsa_system_sgpr_private_segment_wavefront_offset 0
		.amdhsa_system_sgpr_workgroup_id_x 1
		.amdhsa_system_sgpr_workgroup_id_y 0
		.amdhsa_system_sgpr_workgroup_id_z 0
		.amdhsa_system_sgpr_workgroup_info 0
		.amdhsa_system_vgpr_workitem_id 0
		.amdhsa_next_free_vgpr 1
		.amdhsa_next_free_sgpr 0
		.amdhsa_accum_offset 4
		.amdhsa_reserve_vcc 0
		.amdhsa_reserve_flat_scratch 0
		.amdhsa_float_round_mode_32 0
		.amdhsa_float_round_mode_16_64 0
		.amdhsa_float_denorm_mode_32 3
		.amdhsa_float_denorm_mode_16_64 3
		.amdhsa_dx10_clamp 1
		.amdhsa_ieee_mode 1
		.amdhsa_fp16_overflow 0
		.amdhsa_tg_split 0
		.amdhsa_exception_fp_ieee_invalid_op 0
		.amdhsa_exception_fp_denorm_src 0
		.amdhsa_exception_fp_ieee_div_zero 0
		.amdhsa_exception_fp_ieee_overflow 0
		.amdhsa_exception_fp_ieee_underflow 0
		.amdhsa_exception_fp_ieee_inexact 0
		.amdhsa_exception_int_div_zero 0
	.end_amdhsa_kernel
	.section	.text._ZN7rocprim17ROCPRIM_400000_NS6detail17trampoline_kernelINS0_14default_configENS1_20scan_config_selectorIjEEZZNS1_9scan_implILNS1_25lookback_scan_determinismE0ELb0ELb0ES3_N6thrust23THRUST_200600_302600_NS6detail15normal_iteratorINS9_10device_ptrIjEEEENS9_16discard_iteratorINS9_11use_defaultEEEj11max_functorIjEjEEDaPvRmT3_T4_T5_mT6_P12ihipStream_tbENKUlT_T0_E_clISt17integral_constantIbLb0EESW_IbLb1EEEEDaSS_ST_EUlSS_E0_NS1_11comp_targetILNS1_3genE5ELNS1_11target_archE942ELNS1_3gpuE9ELNS1_3repE0EEENS1_30default_config_static_selectorELNS0_4arch9wavefront6targetE1EEEvT1_,"axG",@progbits,_ZN7rocprim17ROCPRIM_400000_NS6detail17trampoline_kernelINS0_14default_configENS1_20scan_config_selectorIjEEZZNS1_9scan_implILNS1_25lookback_scan_determinismE0ELb0ELb0ES3_N6thrust23THRUST_200600_302600_NS6detail15normal_iteratorINS9_10device_ptrIjEEEENS9_16discard_iteratorINS9_11use_defaultEEEj11max_functorIjEjEEDaPvRmT3_T4_T5_mT6_P12ihipStream_tbENKUlT_T0_E_clISt17integral_constantIbLb0EESW_IbLb1EEEEDaSS_ST_EUlSS_E0_NS1_11comp_targetILNS1_3genE5ELNS1_11target_archE942ELNS1_3gpuE9ELNS1_3repE0EEENS1_30default_config_static_selectorELNS0_4arch9wavefront6targetE1EEEvT1_,comdat
.Lfunc_end3486:
	.size	_ZN7rocprim17ROCPRIM_400000_NS6detail17trampoline_kernelINS0_14default_configENS1_20scan_config_selectorIjEEZZNS1_9scan_implILNS1_25lookback_scan_determinismE0ELb0ELb0ES3_N6thrust23THRUST_200600_302600_NS6detail15normal_iteratorINS9_10device_ptrIjEEEENS9_16discard_iteratorINS9_11use_defaultEEEj11max_functorIjEjEEDaPvRmT3_T4_T5_mT6_P12ihipStream_tbENKUlT_T0_E_clISt17integral_constantIbLb0EESW_IbLb1EEEEDaSS_ST_EUlSS_E0_NS1_11comp_targetILNS1_3genE5ELNS1_11target_archE942ELNS1_3gpuE9ELNS1_3repE0EEENS1_30default_config_static_selectorELNS0_4arch9wavefront6targetE1EEEvT1_, .Lfunc_end3486-_ZN7rocprim17ROCPRIM_400000_NS6detail17trampoline_kernelINS0_14default_configENS1_20scan_config_selectorIjEEZZNS1_9scan_implILNS1_25lookback_scan_determinismE0ELb0ELb0ES3_N6thrust23THRUST_200600_302600_NS6detail15normal_iteratorINS9_10device_ptrIjEEEENS9_16discard_iteratorINS9_11use_defaultEEEj11max_functorIjEjEEDaPvRmT3_T4_T5_mT6_P12ihipStream_tbENKUlT_T0_E_clISt17integral_constantIbLb0EESW_IbLb1EEEEDaSS_ST_EUlSS_E0_NS1_11comp_targetILNS1_3genE5ELNS1_11target_archE942ELNS1_3gpuE9ELNS1_3repE0EEENS1_30default_config_static_selectorELNS0_4arch9wavefront6targetE1EEEvT1_
                                        ; -- End function
	.section	.AMDGPU.csdata,"",@progbits
; Kernel info:
; codeLenInByte = 0
; NumSgprs: 4
; NumVgprs: 0
; NumAgprs: 0
; TotalNumVgprs: 0
; ScratchSize: 0
; MemoryBound: 0
; FloatMode: 240
; IeeeMode: 1
; LDSByteSize: 0 bytes/workgroup (compile time only)
; SGPRBlocks: 0
; VGPRBlocks: 0
; NumSGPRsForWavesPerEU: 4
; NumVGPRsForWavesPerEU: 1
; AccumOffset: 4
; Occupancy: 8
; WaveLimiterHint : 0
; COMPUTE_PGM_RSRC2:SCRATCH_EN: 0
; COMPUTE_PGM_RSRC2:USER_SGPR: 6
; COMPUTE_PGM_RSRC2:TRAP_HANDLER: 0
; COMPUTE_PGM_RSRC2:TGID_X_EN: 1
; COMPUTE_PGM_RSRC2:TGID_Y_EN: 0
; COMPUTE_PGM_RSRC2:TGID_Z_EN: 0
; COMPUTE_PGM_RSRC2:TIDIG_COMP_CNT: 0
; COMPUTE_PGM_RSRC3_GFX90A:ACCUM_OFFSET: 0
; COMPUTE_PGM_RSRC3_GFX90A:TG_SPLIT: 0
	.section	.text._ZN7rocprim17ROCPRIM_400000_NS6detail17trampoline_kernelINS0_14default_configENS1_20scan_config_selectorIjEEZZNS1_9scan_implILNS1_25lookback_scan_determinismE0ELb0ELb0ES3_N6thrust23THRUST_200600_302600_NS6detail15normal_iteratorINS9_10device_ptrIjEEEENS9_16discard_iteratorINS9_11use_defaultEEEj11max_functorIjEjEEDaPvRmT3_T4_T5_mT6_P12ihipStream_tbENKUlT_T0_E_clISt17integral_constantIbLb0EESW_IbLb1EEEEDaSS_ST_EUlSS_E0_NS1_11comp_targetILNS1_3genE4ELNS1_11target_archE910ELNS1_3gpuE8ELNS1_3repE0EEENS1_30default_config_static_selectorELNS0_4arch9wavefront6targetE1EEEvT1_,"axG",@progbits,_ZN7rocprim17ROCPRIM_400000_NS6detail17trampoline_kernelINS0_14default_configENS1_20scan_config_selectorIjEEZZNS1_9scan_implILNS1_25lookback_scan_determinismE0ELb0ELb0ES3_N6thrust23THRUST_200600_302600_NS6detail15normal_iteratorINS9_10device_ptrIjEEEENS9_16discard_iteratorINS9_11use_defaultEEEj11max_functorIjEjEEDaPvRmT3_T4_T5_mT6_P12ihipStream_tbENKUlT_T0_E_clISt17integral_constantIbLb0EESW_IbLb1EEEEDaSS_ST_EUlSS_E0_NS1_11comp_targetILNS1_3genE4ELNS1_11target_archE910ELNS1_3gpuE8ELNS1_3repE0EEENS1_30default_config_static_selectorELNS0_4arch9wavefront6targetE1EEEvT1_,comdat
	.protected	_ZN7rocprim17ROCPRIM_400000_NS6detail17trampoline_kernelINS0_14default_configENS1_20scan_config_selectorIjEEZZNS1_9scan_implILNS1_25lookback_scan_determinismE0ELb0ELb0ES3_N6thrust23THRUST_200600_302600_NS6detail15normal_iteratorINS9_10device_ptrIjEEEENS9_16discard_iteratorINS9_11use_defaultEEEj11max_functorIjEjEEDaPvRmT3_T4_T5_mT6_P12ihipStream_tbENKUlT_T0_E_clISt17integral_constantIbLb0EESW_IbLb1EEEEDaSS_ST_EUlSS_E0_NS1_11comp_targetILNS1_3genE4ELNS1_11target_archE910ELNS1_3gpuE8ELNS1_3repE0EEENS1_30default_config_static_selectorELNS0_4arch9wavefront6targetE1EEEvT1_ ; -- Begin function _ZN7rocprim17ROCPRIM_400000_NS6detail17trampoline_kernelINS0_14default_configENS1_20scan_config_selectorIjEEZZNS1_9scan_implILNS1_25lookback_scan_determinismE0ELb0ELb0ES3_N6thrust23THRUST_200600_302600_NS6detail15normal_iteratorINS9_10device_ptrIjEEEENS9_16discard_iteratorINS9_11use_defaultEEEj11max_functorIjEjEEDaPvRmT3_T4_T5_mT6_P12ihipStream_tbENKUlT_T0_E_clISt17integral_constantIbLb0EESW_IbLb1EEEEDaSS_ST_EUlSS_E0_NS1_11comp_targetILNS1_3genE4ELNS1_11target_archE910ELNS1_3gpuE8ELNS1_3repE0EEENS1_30default_config_static_selectorELNS0_4arch9wavefront6targetE1EEEvT1_
	.globl	_ZN7rocprim17ROCPRIM_400000_NS6detail17trampoline_kernelINS0_14default_configENS1_20scan_config_selectorIjEEZZNS1_9scan_implILNS1_25lookback_scan_determinismE0ELb0ELb0ES3_N6thrust23THRUST_200600_302600_NS6detail15normal_iteratorINS9_10device_ptrIjEEEENS9_16discard_iteratorINS9_11use_defaultEEEj11max_functorIjEjEEDaPvRmT3_T4_T5_mT6_P12ihipStream_tbENKUlT_T0_E_clISt17integral_constantIbLb0EESW_IbLb1EEEEDaSS_ST_EUlSS_E0_NS1_11comp_targetILNS1_3genE4ELNS1_11target_archE910ELNS1_3gpuE8ELNS1_3repE0EEENS1_30default_config_static_selectorELNS0_4arch9wavefront6targetE1EEEvT1_
	.p2align	8
	.type	_ZN7rocprim17ROCPRIM_400000_NS6detail17trampoline_kernelINS0_14default_configENS1_20scan_config_selectorIjEEZZNS1_9scan_implILNS1_25lookback_scan_determinismE0ELb0ELb0ES3_N6thrust23THRUST_200600_302600_NS6detail15normal_iteratorINS9_10device_ptrIjEEEENS9_16discard_iteratorINS9_11use_defaultEEEj11max_functorIjEjEEDaPvRmT3_T4_T5_mT6_P12ihipStream_tbENKUlT_T0_E_clISt17integral_constantIbLb0EESW_IbLb1EEEEDaSS_ST_EUlSS_E0_NS1_11comp_targetILNS1_3genE4ELNS1_11target_archE910ELNS1_3gpuE8ELNS1_3repE0EEENS1_30default_config_static_selectorELNS0_4arch9wavefront6targetE1EEEvT1_,@function
_ZN7rocprim17ROCPRIM_400000_NS6detail17trampoline_kernelINS0_14default_configENS1_20scan_config_selectorIjEEZZNS1_9scan_implILNS1_25lookback_scan_determinismE0ELb0ELb0ES3_N6thrust23THRUST_200600_302600_NS6detail15normal_iteratorINS9_10device_ptrIjEEEENS9_16discard_iteratorINS9_11use_defaultEEEj11max_functorIjEjEEDaPvRmT3_T4_T5_mT6_P12ihipStream_tbENKUlT_T0_E_clISt17integral_constantIbLb0EESW_IbLb1EEEEDaSS_ST_EUlSS_E0_NS1_11comp_targetILNS1_3genE4ELNS1_11target_archE910ELNS1_3gpuE8ELNS1_3repE0EEENS1_30default_config_static_selectorELNS0_4arch9wavefront6targetE1EEEvT1_: ; @_ZN7rocprim17ROCPRIM_400000_NS6detail17trampoline_kernelINS0_14default_configENS1_20scan_config_selectorIjEEZZNS1_9scan_implILNS1_25lookback_scan_determinismE0ELb0ELb0ES3_N6thrust23THRUST_200600_302600_NS6detail15normal_iteratorINS9_10device_ptrIjEEEENS9_16discard_iteratorINS9_11use_defaultEEEj11max_functorIjEjEEDaPvRmT3_T4_T5_mT6_P12ihipStream_tbENKUlT_T0_E_clISt17integral_constantIbLb0EESW_IbLb1EEEEDaSS_ST_EUlSS_E0_NS1_11comp_targetILNS1_3genE4ELNS1_11target_archE910ELNS1_3gpuE8ELNS1_3repE0EEENS1_30default_config_static_selectorELNS0_4arch9wavefront6targetE1EEEvT1_
; %bb.0:
	s_load_dwordx4 s[0:3], s[4:5], 0x0
	v_lshlrev_b32_e32 v20, 2, v0
	s_waitcnt lgkmcnt(0)
	s_load_dword s3, s[0:1], 0x0
	v_cmp_gt_u32_e32 vcc, s2, v0
	s_waitcnt lgkmcnt(0)
	v_mov_b32_e32 v1, s3
	s_and_saveexec_b64 s[4:5], vcc
	s_cbranch_execz .LBB3487_2
; %bb.1:
	global_load_dword v1, v20, s[0:1]
.LBB3487_2:
	s_or_b64 exec, exec, s[4:5]
	v_or_b32_e32 v2, 0x80, v0
	v_cmp_gt_u32_e32 vcc, s2, v2
	v_mov_b32_e32 v2, s3
	s_and_saveexec_b64 s[4:5], vcc
	s_cbranch_execz .LBB3487_4
; %bb.3:
	global_load_dword v2, v20, s[0:1] offset:512
.LBB3487_4:
	s_or_b64 exec, exec, s[4:5]
	v_or_b32_e32 v3, 0x100, v0
	v_cmp_gt_u32_e32 vcc, s2, v3
	v_mov_b32_e32 v3, s3
	s_and_saveexec_b64 s[4:5], vcc
	s_cbranch_execz .LBB3487_6
; %bb.5:
	global_load_dword v3, v20, s[0:1] offset:1024
.LBB3487_6:
	;; [unrolled: 9-line block ×7, first 2 shown]
	s_or_b64 exec, exec, s[4:5]
	v_or_b32_e32 v10, 0x400, v0
	v_cmp_gt_u32_e32 vcc, s2, v10
	v_mov_b32_e32 v9, s3
	s_and_saveexec_b64 s[4:5], vcc
	s_cbranch_execz .LBB3487_18
; %bb.17:
	v_lshlrev_b32_e32 v9, 2, v10
	global_load_dword v9, v9, s[0:1]
.LBB3487_18:
	s_or_b64 exec, exec, s[4:5]
	v_or_b32_e32 v11, 0x480, v0
	v_cmp_gt_u32_e32 vcc, s2, v11
	v_mov_b32_e32 v10, s3
	s_and_saveexec_b64 s[2:3], vcc
	s_cbranch_execz .LBB3487_20
; %bb.19:
	v_lshlrev_b32_e32 v10, 2, v11
	global_load_dword v10, v10, s[0:1]
.LBB3487_20:
	s_or_b64 exec, exec, s[2:3]
	s_waitcnt vmcnt(0)
	ds_write2st64_b32 v20, v1, v2 offset1:2
	ds_write2st64_b32 v20, v3, v4 offset0:4 offset1:6
	ds_write2st64_b32 v20, v5, v6 offset0:8 offset1:10
	;; [unrolled: 1-line block ×4, first 2 shown]
	v_mad_u32_u24 v1, v0, 36, v20
	s_waitcnt lgkmcnt(0)
	s_barrier
	ds_read2_b64 v[6:9], v1 offset1:1
	ds_read2_b64 v[2:5], v1 offset0:2 offset1:3
	ds_read_b64 v[18:19], v1 offset:32
	v_lshrrev_b32_e32 v21, 3, v0
	v_and_b32_e32 v21, 12, v21
	s_waitcnt lgkmcnt(2)
	v_max_u32_e32 v1, v6, v7
	v_max_u32_e32 v14, v1, v8
	;; [unrolled: 1-line block ×3, first 2 shown]
	s_waitcnt lgkmcnt(1)
	v_max_u32_e32 v10, v15, v2
	v_max_u32_e32 v11, v10, v3
	;; [unrolled: 1-line block ×4, first 2 shown]
	s_waitcnt lgkmcnt(0)
	v_max_u32_e32 v16, v13, v18
	v_max_u32_e32 v17, v16, v19
	v_add_u32_e32 v21, v20, v21
	v_cmp_gt_u32_e32 vcc, 64, v0
	s_barrier
	ds_write_b32 v21, v17
	s_waitcnt lgkmcnt(0)
	s_barrier
	s_and_saveexec_b64 s[0:1], vcc
	s_cbranch_execz .LBB3487_22
; %bb.21:
	v_lshlrev_b32_e32 v21, 1, v0
	v_lshrrev_b32_e32 v22, 4, v0
	v_add_lshl_u32 v21, v22, v21, 2
	ds_read2_b32 v[22:23], v21 offset1:1
	v_mbcnt_lo_u32_b32 v24, -1, 0
	v_mbcnt_hi_u32_b32 v24, -1, v24
	v_and_b32_e32 v25, 15, v24
	v_cmp_eq_u32_e32 vcc, 0, v25
	s_waitcnt lgkmcnt(0)
	v_max_u32_e32 v23, v22, v23
	; wave barrier
	s_nop 1
	v_mov_b32_dpp v26, v23 row_shr:1 row_mask:0xf bank_mask:0xf
	v_max_u32_e32 v26, v26, v23
	v_cndmask_b32_e32 v23, v26, v23, vcc
	v_cmp_lt_u32_e32 vcc, 1, v25
	s_nop 0
	v_mov_b32_dpp v26, v23 row_shr:2 row_mask:0xf bank_mask:0xf
	v_max_u32_e32 v26, v26, v23
	v_cndmask_b32_e32 v23, v23, v26, vcc
	v_cmp_lt_u32_e32 vcc, 3, v25
	;; [unrolled: 5-line block ×3, first 2 shown]
	s_nop 0
	v_mov_b32_dpp v26, v23 row_shr:8 row_mask:0xf bank_mask:0xf
	v_max_u32_e32 v26, v26, v23
	v_cndmask_b32_e32 v23, v23, v26, vcc
	v_and_b32_e32 v26, 16, v24
	v_cmp_eq_u32_e32 vcc, 0, v26
	v_mov_b32_dpp v25, v23 row_bcast:15 row_mask:0xf bank_mask:0xf
	v_max_u32_e32 v25, v25, v23
	v_cndmask_b32_e32 v23, v25, v23, vcc
	v_cmp_lt_u32_e32 vcc, 31, v24
	v_and_b32_e32 v26, 64, v24
	v_mov_b32_dpp v25, v23 row_bcast:31 row_mask:0xf bank_mask:0xf
	v_max_u32_e32 v25, v25, v23
	v_cndmask_b32_e32 v23, v23, v25, vcc
	v_add_u32_e32 v25, -1, v24
	v_cmp_lt_i32_e32 vcc, v25, v26
	v_cndmask_b32_e32 v24, v25, v24, vcc
	v_lshlrev_b32_e32 v24, 2, v24
	ds_bpermute_b32 v23, v24, v23
	v_cmp_eq_u32_e32 vcc, 0, v0
	s_waitcnt lgkmcnt(0)
	v_max_u32_e32 v22, v23, v22
	v_cndmask_b32_e32 v22, v22, v17, vcc
	ds_write_b32 v21, v22
	; wave barrier
	ds_read_b32 v23, v21 offset:4
	s_waitcnt lgkmcnt(0)
	v_max_u32_e32 v22, v22, v23
	ds_write_b32 v21, v22 offset:4
.LBB3487_22:
	s_or_b64 exec, exec, s[0:1]
	v_cmp_ne_u32_e32 vcc, 0, v0
	v_mov_b32_e32 v22, v17
	s_waitcnt lgkmcnt(0)
	s_barrier
	s_and_saveexec_b64 s[0:1], vcc
	s_cbranch_execz .LBB3487_24
; %bb.23:
	v_add_u32_e32 v21, -1, v0
	v_lshrrev_b32_e32 v22, 5, v21
	v_add_lshl_u32 v21, v22, v21, 2
	ds_read_b32 v22, v21
.LBB3487_24:
	s_or_b64 exec, exec, s[0:1]
	v_mul_u32_u24_e32 v21, 36, v0
	v_mov_b32_e32 v0, v6
	s_and_saveexec_b64 s[0:1], vcc
	s_cbranch_execz .LBB3487_26
; %bb.25:
	s_waitcnt lgkmcnt(0)
	v_max_u32_e32 v0, v22, v6
	v_max_u32_e32 v1, v0, v7
	;; [unrolled: 1-line block ×10, first 2 shown]
	;;#ASMSTART
	;;#ASMEND
.LBB3487_26:
	s_or_b64 exec, exec, s[0:1]
	v_add_u32_e32 v2, v20, v21
	s_waitcnt lgkmcnt(0)
	s_barrier
	ds_write2_b64 v2, v[0:1], v[14:15] offset1:1
	ds_write2_b64 v2, v[10:11], v[12:13] offset0:2 offset1:3
	ds_write_b64 v2, v[16:17] offset:32
	s_waitcnt lgkmcnt(0)
	s_barrier
	s_endpgm
	.section	.rodata,"a",@progbits
	.p2align	6, 0x0
	.amdhsa_kernel _ZN7rocprim17ROCPRIM_400000_NS6detail17trampoline_kernelINS0_14default_configENS1_20scan_config_selectorIjEEZZNS1_9scan_implILNS1_25lookback_scan_determinismE0ELb0ELb0ES3_N6thrust23THRUST_200600_302600_NS6detail15normal_iteratorINS9_10device_ptrIjEEEENS9_16discard_iteratorINS9_11use_defaultEEEj11max_functorIjEjEEDaPvRmT3_T4_T5_mT6_P12ihipStream_tbENKUlT_T0_E_clISt17integral_constantIbLb0EESW_IbLb1EEEEDaSS_ST_EUlSS_E0_NS1_11comp_targetILNS1_3genE4ELNS1_11target_archE910ELNS1_3gpuE8ELNS1_3repE0EEENS1_30default_config_static_selectorELNS0_4arch9wavefront6targetE1EEEvT1_
		.amdhsa_group_segment_fixed_size 5120
		.amdhsa_private_segment_fixed_size 0
		.amdhsa_kernarg_size 40
		.amdhsa_user_sgpr_count 6
		.amdhsa_user_sgpr_private_segment_buffer 1
		.amdhsa_user_sgpr_dispatch_ptr 0
		.amdhsa_user_sgpr_queue_ptr 0
		.amdhsa_user_sgpr_kernarg_segment_ptr 1
		.amdhsa_user_sgpr_dispatch_id 0
		.amdhsa_user_sgpr_flat_scratch_init 0
		.amdhsa_user_sgpr_kernarg_preload_length 0
		.amdhsa_user_sgpr_kernarg_preload_offset 0
		.amdhsa_user_sgpr_private_segment_size 0
		.amdhsa_uses_dynamic_stack 0
		.amdhsa_system_sgpr_private_segment_wavefront_offset 0
		.amdhsa_system_sgpr_workgroup_id_x 1
		.amdhsa_system_sgpr_workgroup_id_y 0
		.amdhsa_system_sgpr_workgroup_id_z 0
		.amdhsa_system_sgpr_workgroup_info 0
		.amdhsa_system_vgpr_workitem_id 0
		.amdhsa_next_free_vgpr 27
		.amdhsa_next_free_sgpr 6
		.amdhsa_accum_offset 28
		.amdhsa_reserve_vcc 1
		.amdhsa_reserve_flat_scratch 0
		.amdhsa_float_round_mode_32 0
		.amdhsa_float_round_mode_16_64 0
		.amdhsa_float_denorm_mode_32 3
		.amdhsa_float_denorm_mode_16_64 3
		.amdhsa_dx10_clamp 1
		.amdhsa_ieee_mode 1
		.amdhsa_fp16_overflow 0
		.amdhsa_tg_split 0
		.amdhsa_exception_fp_ieee_invalid_op 0
		.amdhsa_exception_fp_denorm_src 0
		.amdhsa_exception_fp_ieee_div_zero 0
		.amdhsa_exception_fp_ieee_overflow 0
		.amdhsa_exception_fp_ieee_underflow 0
		.amdhsa_exception_fp_ieee_inexact 0
		.amdhsa_exception_int_div_zero 0
	.end_amdhsa_kernel
	.section	.text._ZN7rocprim17ROCPRIM_400000_NS6detail17trampoline_kernelINS0_14default_configENS1_20scan_config_selectorIjEEZZNS1_9scan_implILNS1_25lookback_scan_determinismE0ELb0ELb0ES3_N6thrust23THRUST_200600_302600_NS6detail15normal_iteratorINS9_10device_ptrIjEEEENS9_16discard_iteratorINS9_11use_defaultEEEj11max_functorIjEjEEDaPvRmT3_T4_T5_mT6_P12ihipStream_tbENKUlT_T0_E_clISt17integral_constantIbLb0EESW_IbLb1EEEEDaSS_ST_EUlSS_E0_NS1_11comp_targetILNS1_3genE4ELNS1_11target_archE910ELNS1_3gpuE8ELNS1_3repE0EEENS1_30default_config_static_selectorELNS0_4arch9wavefront6targetE1EEEvT1_,"axG",@progbits,_ZN7rocprim17ROCPRIM_400000_NS6detail17trampoline_kernelINS0_14default_configENS1_20scan_config_selectorIjEEZZNS1_9scan_implILNS1_25lookback_scan_determinismE0ELb0ELb0ES3_N6thrust23THRUST_200600_302600_NS6detail15normal_iteratorINS9_10device_ptrIjEEEENS9_16discard_iteratorINS9_11use_defaultEEEj11max_functorIjEjEEDaPvRmT3_T4_T5_mT6_P12ihipStream_tbENKUlT_T0_E_clISt17integral_constantIbLb0EESW_IbLb1EEEEDaSS_ST_EUlSS_E0_NS1_11comp_targetILNS1_3genE4ELNS1_11target_archE910ELNS1_3gpuE8ELNS1_3repE0EEENS1_30default_config_static_selectorELNS0_4arch9wavefront6targetE1EEEvT1_,comdat
.Lfunc_end3487:
	.size	_ZN7rocprim17ROCPRIM_400000_NS6detail17trampoline_kernelINS0_14default_configENS1_20scan_config_selectorIjEEZZNS1_9scan_implILNS1_25lookback_scan_determinismE0ELb0ELb0ES3_N6thrust23THRUST_200600_302600_NS6detail15normal_iteratorINS9_10device_ptrIjEEEENS9_16discard_iteratorINS9_11use_defaultEEEj11max_functorIjEjEEDaPvRmT3_T4_T5_mT6_P12ihipStream_tbENKUlT_T0_E_clISt17integral_constantIbLb0EESW_IbLb1EEEEDaSS_ST_EUlSS_E0_NS1_11comp_targetILNS1_3genE4ELNS1_11target_archE910ELNS1_3gpuE8ELNS1_3repE0EEENS1_30default_config_static_selectorELNS0_4arch9wavefront6targetE1EEEvT1_, .Lfunc_end3487-_ZN7rocprim17ROCPRIM_400000_NS6detail17trampoline_kernelINS0_14default_configENS1_20scan_config_selectorIjEEZZNS1_9scan_implILNS1_25lookback_scan_determinismE0ELb0ELb0ES3_N6thrust23THRUST_200600_302600_NS6detail15normal_iteratorINS9_10device_ptrIjEEEENS9_16discard_iteratorINS9_11use_defaultEEEj11max_functorIjEjEEDaPvRmT3_T4_T5_mT6_P12ihipStream_tbENKUlT_T0_E_clISt17integral_constantIbLb0EESW_IbLb1EEEEDaSS_ST_EUlSS_E0_NS1_11comp_targetILNS1_3genE4ELNS1_11target_archE910ELNS1_3gpuE8ELNS1_3repE0EEENS1_30default_config_static_selectorELNS0_4arch9wavefront6targetE1EEEvT1_
                                        ; -- End function
	.section	.AMDGPU.csdata,"",@progbits
; Kernel info:
; codeLenInByte = 1000
; NumSgprs: 10
; NumVgprs: 27
; NumAgprs: 0
; TotalNumVgprs: 27
; ScratchSize: 0
; MemoryBound: 0
; FloatMode: 240
; IeeeMode: 1
; LDSByteSize: 5120 bytes/workgroup (compile time only)
; SGPRBlocks: 1
; VGPRBlocks: 3
; NumSGPRsForWavesPerEU: 10
; NumVGPRsForWavesPerEU: 27
; AccumOffset: 28
; Occupancy: 6
; WaveLimiterHint : 0
; COMPUTE_PGM_RSRC2:SCRATCH_EN: 0
; COMPUTE_PGM_RSRC2:USER_SGPR: 6
; COMPUTE_PGM_RSRC2:TRAP_HANDLER: 0
; COMPUTE_PGM_RSRC2:TGID_X_EN: 1
; COMPUTE_PGM_RSRC2:TGID_Y_EN: 0
; COMPUTE_PGM_RSRC2:TGID_Z_EN: 0
; COMPUTE_PGM_RSRC2:TIDIG_COMP_CNT: 0
; COMPUTE_PGM_RSRC3_GFX90A:ACCUM_OFFSET: 6
; COMPUTE_PGM_RSRC3_GFX90A:TG_SPLIT: 0
	.section	.text._ZN7rocprim17ROCPRIM_400000_NS6detail17trampoline_kernelINS0_14default_configENS1_20scan_config_selectorIjEEZZNS1_9scan_implILNS1_25lookback_scan_determinismE0ELb0ELb0ES3_N6thrust23THRUST_200600_302600_NS6detail15normal_iteratorINS9_10device_ptrIjEEEENS9_16discard_iteratorINS9_11use_defaultEEEj11max_functorIjEjEEDaPvRmT3_T4_T5_mT6_P12ihipStream_tbENKUlT_T0_E_clISt17integral_constantIbLb0EESW_IbLb1EEEEDaSS_ST_EUlSS_E0_NS1_11comp_targetILNS1_3genE3ELNS1_11target_archE908ELNS1_3gpuE7ELNS1_3repE0EEENS1_30default_config_static_selectorELNS0_4arch9wavefront6targetE1EEEvT1_,"axG",@progbits,_ZN7rocprim17ROCPRIM_400000_NS6detail17trampoline_kernelINS0_14default_configENS1_20scan_config_selectorIjEEZZNS1_9scan_implILNS1_25lookback_scan_determinismE0ELb0ELb0ES3_N6thrust23THRUST_200600_302600_NS6detail15normal_iteratorINS9_10device_ptrIjEEEENS9_16discard_iteratorINS9_11use_defaultEEEj11max_functorIjEjEEDaPvRmT3_T4_T5_mT6_P12ihipStream_tbENKUlT_T0_E_clISt17integral_constantIbLb0EESW_IbLb1EEEEDaSS_ST_EUlSS_E0_NS1_11comp_targetILNS1_3genE3ELNS1_11target_archE908ELNS1_3gpuE7ELNS1_3repE0EEENS1_30default_config_static_selectorELNS0_4arch9wavefront6targetE1EEEvT1_,comdat
	.protected	_ZN7rocprim17ROCPRIM_400000_NS6detail17trampoline_kernelINS0_14default_configENS1_20scan_config_selectorIjEEZZNS1_9scan_implILNS1_25lookback_scan_determinismE0ELb0ELb0ES3_N6thrust23THRUST_200600_302600_NS6detail15normal_iteratorINS9_10device_ptrIjEEEENS9_16discard_iteratorINS9_11use_defaultEEEj11max_functorIjEjEEDaPvRmT3_T4_T5_mT6_P12ihipStream_tbENKUlT_T0_E_clISt17integral_constantIbLb0EESW_IbLb1EEEEDaSS_ST_EUlSS_E0_NS1_11comp_targetILNS1_3genE3ELNS1_11target_archE908ELNS1_3gpuE7ELNS1_3repE0EEENS1_30default_config_static_selectorELNS0_4arch9wavefront6targetE1EEEvT1_ ; -- Begin function _ZN7rocprim17ROCPRIM_400000_NS6detail17trampoline_kernelINS0_14default_configENS1_20scan_config_selectorIjEEZZNS1_9scan_implILNS1_25lookback_scan_determinismE0ELb0ELb0ES3_N6thrust23THRUST_200600_302600_NS6detail15normal_iteratorINS9_10device_ptrIjEEEENS9_16discard_iteratorINS9_11use_defaultEEEj11max_functorIjEjEEDaPvRmT3_T4_T5_mT6_P12ihipStream_tbENKUlT_T0_E_clISt17integral_constantIbLb0EESW_IbLb1EEEEDaSS_ST_EUlSS_E0_NS1_11comp_targetILNS1_3genE3ELNS1_11target_archE908ELNS1_3gpuE7ELNS1_3repE0EEENS1_30default_config_static_selectorELNS0_4arch9wavefront6targetE1EEEvT1_
	.globl	_ZN7rocprim17ROCPRIM_400000_NS6detail17trampoline_kernelINS0_14default_configENS1_20scan_config_selectorIjEEZZNS1_9scan_implILNS1_25lookback_scan_determinismE0ELb0ELb0ES3_N6thrust23THRUST_200600_302600_NS6detail15normal_iteratorINS9_10device_ptrIjEEEENS9_16discard_iteratorINS9_11use_defaultEEEj11max_functorIjEjEEDaPvRmT3_T4_T5_mT6_P12ihipStream_tbENKUlT_T0_E_clISt17integral_constantIbLb0EESW_IbLb1EEEEDaSS_ST_EUlSS_E0_NS1_11comp_targetILNS1_3genE3ELNS1_11target_archE908ELNS1_3gpuE7ELNS1_3repE0EEENS1_30default_config_static_selectorELNS0_4arch9wavefront6targetE1EEEvT1_
	.p2align	8
	.type	_ZN7rocprim17ROCPRIM_400000_NS6detail17trampoline_kernelINS0_14default_configENS1_20scan_config_selectorIjEEZZNS1_9scan_implILNS1_25lookback_scan_determinismE0ELb0ELb0ES3_N6thrust23THRUST_200600_302600_NS6detail15normal_iteratorINS9_10device_ptrIjEEEENS9_16discard_iteratorINS9_11use_defaultEEEj11max_functorIjEjEEDaPvRmT3_T4_T5_mT6_P12ihipStream_tbENKUlT_T0_E_clISt17integral_constantIbLb0EESW_IbLb1EEEEDaSS_ST_EUlSS_E0_NS1_11comp_targetILNS1_3genE3ELNS1_11target_archE908ELNS1_3gpuE7ELNS1_3repE0EEENS1_30default_config_static_selectorELNS0_4arch9wavefront6targetE1EEEvT1_,@function
_ZN7rocprim17ROCPRIM_400000_NS6detail17trampoline_kernelINS0_14default_configENS1_20scan_config_selectorIjEEZZNS1_9scan_implILNS1_25lookback_scan_determinismE0ELb0ELb0ES3_N6thrust23THRUST_200600_302600_NS6detail15normal_iteratorINS9_10device_ptrIjEEEENS9_16discard_iteratorINS9_11use_defaultEEEj11max_functorIjEjEEDaPvRmT3_T4_T5_mT6_P12ihipStream_tbENKUlT_T0_E_clISt17integral_constantIbLb0EESW_IbLb1EEEEDaSS_ST_EUlSS_E0_NS1_11comp_targetILNS1_3genE3ELNS1_11target_archE908ELNS1_3gpuE7ELNS1_3repE0EEENS1_30default_config_static_selectorELNS0_4arch9wavefront6targetE1EEEvT1_: ; @_ZN7rocprim17ROCPRIM_400000_NS6detail17trampoline_kernelINS0_14default_configENS1_20scan_config_selectorIjEEZZNS1_9scan_implILNS1_25lookback_scan_determinismE0ELb0ELb0ES3_N6thrust23THRUST_200600_302600_NS6detail15normal_iteratorINS9_10device_ptrIjEEEENS9_16discard_iteratorINS9_11use_defaultEEEj11max_functorIjEjEEDaPvRmT3_T4_T5_mT6_P12ihipStream_tbENKUlT_T0_E_clISt17integral_constantIbLb0EESW_IbLb1EEEEDaSS_ST_EUlSS_E0_NS1_11comp_targetILNS1_3genE3ELNS1_11target_archE908ELNS1_3gpuE7ELNS1_3repE0EEENS1_30default_config_static_selectorELNS0_4arch9wavefront6targetE1EEEvT1_
; %bb.0:
	.section	.rodata,"a",@progbits
	.p2align	6, 0x0
	.amdhsa_kernel _ZN7rocprim17ROCPRIM_400000_NS6detail17trampoline_kernelINS0_14default_configENS1_20scan_config_selectorIjEEZZNS1_9scan_implILNS1_25lookback_scan_determinismE0ELb0ELb0ES3_N6thrust23THRUST_200600_302600_NS6detail15normal_iteratorINS9_10device_ptrIjEEEENS9_16discard_iteratorINS9_11use_defaultEEEj11max_functorIjEjEEDaPvRmT3_T4_T5_mT6_P12ihipStream_tbENKUlT_T0_E_clISt17integral_constantIbLb0EESW_IbLb1EEEEDaSS_ST_EUlSS_E0_NS1_11comp_targetILNS1_3genE3ELNS1_11target_archE908ELNS1_3gpuE7ELNS1_3repE0EEENS1_30default_config_static_selectorELNS0_4arch9wavefront6targetE1EEEvT1_
		.amdhsa_group_segment_fixed_size 0
		.amdhsa_private_segment_fixed_size 0
		.amdhsa_kernarg_size 40
		.amdhsa_user_sgpr_count 6
		.amdhsa_user_sgpr_private_segment_buffer 1
		.amdhsa_user_sgpr_dispatch_ptr 0
		.amdhsa_user_sgpr_queue_ptr 0
		.amdhsa_user_sgpr_kernarg_segment_ptr 1
		.amdhsa_user_sgpr_dispatch_id 0
		.amdhsa_user_sgpr_flat_scratch_init 0
		.amdhsa_user_sgpr_kernarg_preload_length 0
		.amdhsa_user_sgpr_kernarg_preload_offset 0
		.amdhsa_user_sgpr_private_segment_size 0
		.amdhsa_uses_dynamic_stack 0
		.amdhsa_system_sgpr_private_segment_wavefront_offset 0
		.amdhsa_system_sgpr_workgroup_id_x 1
		.amdhsa_system_sgpr_workgroup_id_y 0
		.amdhsa_system_sgpr_workgroup_id_z 0
		.amdhsa_system_sgpr_workgroup_info 0
		.amdhsa_system_vgpr_workitem_id 0
		.amdhsa_next_free_vgpr 1
		.amdhsa_next_free_sgpr 0
		.amdhsa_accum_offset 4
		.amdhsa_reserve_vcc 0
		.amdhsa_reserve_flat_scratch 0
		.amdhsa_float_round_mode_32 0
		.amdhsa_float_round_mode_16_64 0
		.amdhsa_float_denorm_mode_32 3
		.amdhsa_float_denorm_mode_16_64 3
		.amdhsa_dx10_clamp 1
		.amdhsa_ieee_mode 1
		.amdhsa_fp16_overflow 0
		.amdhsa_tg_split 0
		.amdhsa_exception_fp_ieee_invalid_op 0
		.amdhsa_exception_fp_denorm_src 0
		.amdhsa_exception_fp_ieee_div_zero 0
		.amdhsa_exception_fp_ieee_overflow 0
		.amdhsa_exception_fp_ieee_underflow 0
		.amdhsa_exception_fp_ieee_inexact 0
		.amdhsa_exception_int_div_zero 0
	.end_amdhsa_kernel
	.section	.text._ZN7rocprim17ROCPRIM_400000_NS6detail17trampoline_kernelINS0_14default_configENS1_20scan_config_selectorIjEEZZNS1_9scan_implILNS1_25lookback_scan_determinismE0ELb0ELb0ES3_N6thrust23THRUST_200600_302600_NS6detail15normal_iteratorINS9_10device_ptrIjEEEENS9_16discard_iteratorINS9_11use_defaultEEEj11max_functorIjEjEEDaPvRmT3_T4_T5_mT6_P12ihipStream_tbENKUlT_T0_E_clISt17integral_constantIbLb0EESW_IbLb1EEEEDaSS_ST_EUlSS_E0_NS1_11comp_targetILNS1_3genE3ELNS1_11target_archE908ELNS1_3gpuE7ELNS1_3repE0EEENS1_30default_config_static_selectorELNS0_4arch9wavefront6targetE1EEEvT1_,"axG",@progbits,_ZN7rocprim17ROCPRIM_400000_NS6detail17trampoline_kernelINS0_14default_configENS1_20scan_config_selectorIjEEZZNS1_9scan_implILNS1_25lookback_scan_determinismE0ELb0ELb0ES3_N6thrust23THRUST_200600_302600_NS6detail15normal_iteratorINS9_10device_ptrIjEEEENS9_16discard_iteratorINS9_11use_defaultEEEj11max_functorIjEjEEDaPvRmT3_T4_T5_mT6_P12ihipStream_tbENKUlT_T0_E_clISt17integral_constantIbLb0EESW_IbLb1EEEEDaSS_ST_EUlSS_E0_NS1_11comp_targetILNS1_3genE3ELNS1_11target_archE908ELNS1_3gpuE7ELNS1_3repE0EEENS1_30default_config_static_selectorELNS0_4arch9wavefront6targetE1EEEvT1_,comdat
.Lfunc_end3488:
	.size	_ZN7rocprim17ROCPRIM_400000_NS6detail17trampoline_kernelINS0_14default_configENS1_20scan_config_selectorIjEEZZNS1_9scan_implILNS1_25lookback_scan_determinismE0ELb0ELb0ES3_N6thrust23THRUST_200600_302600_NS6detail15normal_iteratorINS9_10device_ptrIjEEEENS9_16discard_iteratorINS9_11use_defaultEEEj11max_functorIjEjEEDaPvRmT3_T4_T5_mT6_P12ihipStream_tbENKUlT_T0_E_clISt17integral_constantIbLb0EESW_IbLb1EEEEDaSS_ST_EUlSS_E0_NS1_11comp_targetILNS1_3genE3ELNS1_11target_archE908ELNS1_3gpuE7ELNS1_3repE0EEENS1_30default_config_static_selectorELNS0_4arch9wavefront6targetE1EEEvT1_, .Lfunc_end3488-_ZN7rocprim17ROCPRIM_400000_NS6detail17trampoline_kernelINS0_14default_configENS1_20scan_config_selectorIjEEZZNS1_9scan_implILNS1_25lookback_scan_determinismE0ELb0ELb0ES3_N6thrust23THRUST_200600_302600_NS6detail15normal_iteratorINS9_10device_ptrIjEEEENS9_16discard_iteratorINS9_11use_defaultEEEj11max_functorIjEjEEDaPvRmT3_T4_T5_mT6_P12ihipStream_tbENKUlT_T0_E_clISt17integral_constantIbLb0EESW_IbLb1EEEEDaSS_ST_EUlSS_E0_NS1_11comp_targetILNS1_3genE3ELNS1_11target_archE908ELNS1_3gpuE7ELNS1_3repE0EEENS1_30default_config_static_selectorELNS0_4arch9wavefront6targetE1EEEvT1_
                                        ; -- End function
	.section	.AMDGPU.csdata,"",@progbits
; Kernel info:
; codeLenInByte = 0
; NumSgprs: 4
; NumVgprs: 0
; NumAgprs: 0
; TotalNumVgprs: 0
; ScratchSize: 0
; MemoryBound: 0
; FloatMode: 240
; IeeeMode: 1
; LDSByteSize: 0 bytes/workgroup (compile time only)
; SGPRBlocks: 0
; VGPRBlocks: 0
; NumSGPRsForWavesPerEU: 4
; NumVGPRsForWavesPerEU: 1
; AccumOffset: 4
; Occupancy: 8
; WaveLimiterHint : 0
; COMPUTE_PGM_RSRC2:SCRATCH_EN: 0
; COMPUTE_PGM_RSRC2:USER_SGPR: 6
; COMPUTE_PGM_RSRC2:TRAP_HANDLER: 0
; COMPUTE_PGM_RSRC2:TGID_X_EN: 1
; COMPUTE_PGM_RSRC2:TGID_Y_EN: 0
; COMPUTE_PGM_RSRC2:TGID_Z_EN: 0
; COMPUTE_PGM_RSRC2:TIDIG_COMP_CNT: 0
; COMPUTE_PGM_RSRC3_GFX90A:ACCUM_OFFSET: 0
; COMPUTE_PGM_RSRC3_GFX90A:TG_SPLIT: 0
	.section	.text._ZN7rocprim17ROCPRIM_400000_NS6detail17trampoline_kernelINS0_14default_configENS1_20scan_config_selectorIjEEZZNS1_9scan_implILNS1_25lookback_scan_determinismE0ELb0ELb0ES3_N6thrust23THRUST_200600_302600_NS6detail15normal_iteratorINS9_10device_ptrIjEEEENS9_16discard_iteratorINS9_11use_defaultEEEj11max_functorIjEjEEDaPvRmT3_T4_T5_mT6_P12ihipStream_tbENKUlT_T0_E_clISt17integral_constantIbLb0EESW_IbLb1EEEEDaSS_ST_EUlSS_E0_NS1_11comp_targetILNS1_3genE2ELNS1_11target_archE906ELNS1_3gpuE6ELNS1_3repE0EEENS1_30default_config_static_selectorELNS0_4arch9wavefront6targetE1EEEvT1_,"axG",@progbits,_ZN7rocprim17ROCPRIM_400000_NS6detail17trampoline_kernelINS0_14default_configENS1_20scan_config_selectorIjEEZZNS1_9scan_implILNS1_25lookback_scan_determinismE0ELb0ELb0ES3_N6thrust23THRUST_200600_302600_NS6detail15normal_iteratorINS9_10device_ptrIjEEEENS9_16discard_iteratorINS9_11use_defaultEEEj11max_functorIjEjEEDaPvRmT3_T4_T5_mT6_P12ihipStream_tbENKUlT_T0_E_clISt17integral_constantIbLb0EESW_IbLb1EEEEDaSS_ST_EUlSS_E0_NS1_11comp_targetILNS1_3genE2ELNS1_11target_archE906ELNS1_3gpuE6ELNS1_3repE0EEENS1_30default_config_static_selectorELNS0_4arch9wavefront6targetE1EEEvT1_,comdat
	.protected	_ZN7rocprim17ROCPRIM_400000_NS6detail17trampoline_kernelINS0_14default_configENS1_20scan_config_selectorIjEEZZNS1_9scan_implILNS1_25lookback_scan_determinismE0ELb0ELb0ES3_N6thrust23THRUST_200600_302600_NS6detail15normal_iteratorINS9_10device_ptrIjEEEENS9_16discard_iteratorINS9_11use_defaultEEEj11max_functorIjEjEEDaPvRmT3_T4_T5_mT6_P12ihipStream_tbENKUlT_T0_E_clISt17integral_constantIbLb0EESW_IbLb1EEEEDaSS_ST_EUlSS_E0_NS1_11comp_targetILNS1_3genE2ELNS1_11target_archE906ELNS1_3gpuE6ELNS1_3repE0EEENS1_30default_config_static_selectorELNS0_4arch9wavefront6targetE1EEEvT1_ ; -- Begin function _ZN7rocprim17ROCPRIM_400000_NS6detail17trampoline_kernelINS0_14default_configENS1_20scan_config_selectorIjEEZZNS1_9scan_implILNS1_25lookback_scan_determinismE0ELb0ELb0ES3_N6thrust23THRUST_200600_302600_NS6detail15normal_iteratorINS9_10device_ptrIjEEEENS9_16discard_iteratorINS9_11use_defaultEEEj11max_functorIjEjEEDaPvRmT3_T4_T5_mT6_P12ihipStream_tbENKUlT_T0_E_clISt17integral_constantIbLb0EESW_IbLb1EEEEDaSS_ST_EUlSS_E0_NS1_11comp_targetILNS1_3genE2ELNS1_11target_archE906ELNS1_3gpuE6ELNS1_3repE0EEENS1_30default_config_static_selectorELNS0_4arch9wavefront6targetE1EEEvT1_
	.globl	_ZN7rocprim17ROCPRIM_400000_NS6detail17trampoline_kernelINS0_14default_configENS1_20scan_config_selectorIjEEZZNS1_9scan_implILNS1_25lookback_scan_determinismE0ELb0ELb0ES3_N6thrust23THRUST_200600_302600_NS6detail15normal_iteratorINS9_10device_ptrIjEEEENS9_16discard_iteratorINS9_11use_defaultEEEj11max_functorIjEjEEDaPvRmT3_T4_T5_mT6_P12ihipStream_tbENKUlT_T0_E_clISt17integral_constantIbLb0EESW_IbLb1EEEEDaSS_ST_EUlSS_E0_NS1_11comp_targetILNS1_3genE2ELNS1_11target_archE906ELNS1_3gpuE6ELNS1_3repE0EEENS1_30default_config_static_selectorELNS0_4arch9wavefront6targetE1EEEvT1_
	.p2align	8
	.type	_ZN7rocprim17ROCPRIM_400000_NS6detail17trampoline_kernelINS0_14default_configENS1_20scan_config_selectorIjEEZZNS1_9scan_implILNS1_25lookback_scan_determinismE0ELb0ELb0ES3_N6thrust23THRUST_200600_302600_NS6detail15normal_iteratorINS9_10device_ptrIjEEEENS9_16discard_iteratorINS9_11use_defaultEEEj11max_functorIjEjEEDaPvRmT3_T4_T5_mT6_P12ihipStream_tbENKUlT_T0_E_clISt17integral_constantIbLb0EESW_IbLb1EEEEDaSS_ST_EUlSS_E0_NS1_11comp_targetILNS1_3genE2ELNS1_11target_archE906ELNS1_3gpuE6ELNS1_3repE0EEENS1_30default_config_static_selectorELNS0_4arch9wavefront6targetE1EEEvT1_,@function
_ZN7rocprim17ROCPRIM_400000_NS6detail17trampoline_kernelINS0_14default_configENS1_20scan_config_selectorIjEEZZNS1_9scan_implILNS1_25lookback_scan_determinismE0ELb0ELb0ES3_N6thrust23THRUST_200600_302600_NS6detail15normal_iteratorINS9_10device_ptrIjEEEENS9_16discard_iteratorINS9_11use_defaultEEEj11max_functorIjEjEEDaPvRmT3_T4_T5_mT6_P12ihipStream_tbENKUlT_T0_E_clISt17integral_constantIbLb0EESW_IbLb1EEEEDaSS_ST_EUlSS_E0_NS1_11comp_targetILNS1_3genE2ELNS1_11target_archE906ELNS1_3gpuE6ELNS1_3repE0EEENS1_30default_config_static_selectorELNS0_4arch9wavefront6targetE1EEEvT1_: ; @_ZN7rocprim17ROCPRIM_400000_NS6detail17trampoline_kernelINS0_14default_configENS1_20scan_config_selectorIjEEZZNS1_9scan_implILNS1_25lookback_scan_determinismE0ELb0ELb0ES3_N6thrust23THRUST_200600_302600_NS6detail15normal_iteratorINS9_10device_ptrIjEEEENS9_16discard_iteratorINS9_11use_defaultEEEj11max_functorIjEjEEDaPvRmT3_T4_T5_mT6_P12ihipStream_tbENKUlT_T0_E_clISt17integral_constantIbLb0EESW_IbLb1EEEEDaSS_ST_EUlSS_E0_NS1_11comp_targetILNS1_3genE2ELNS1_11target_archE906ELNS1_3gpuE6ELNS1_3repE0EEENS1_30default_config_static_selectorELNS0_4arch9wavefront6targetE1EEEvT1_
; %bb.0:
	.section	.rodata,"a",@progbits
	.p2align	6, 0x0
	.amdhsa_kernel _ZN7rocprim17ROCPRIM_400000_NS6detail17trampoline_kernelINS0_14default_configENS1_20scan_config_selectorIjEEZZNS1_9scan_implILNS1_25lookback_scan_determinismE0ELb0ELb0ES3_N6thrust23THRUST_200600_302600_NS6detail15normal_iteratorINS9_10device_ptrIjEEEENS9_16discard_iteratorINS9_11use_defaultEEEj11max_functorIjEjEEDaPvRmT3_T4_T5_mT6_P12ihipStream_tbENKUlT_T0_E_clISt17integral_constantIbLb0EESW_IbLb1EEEEDaSS_ST_EUlSS_E0_NS1_11comp_targetILNS1_3genE2ELNS1_11target_archE906ELNS1_3gpuE6ELNS1_3repE0EEENS1_30default_config_static_selectorELNS0_4arch9wavefront6targetE1EEEvT1_
		.amdhsa_group_segment_fixed_size 0
		.amdhsa_private_segment_fixed_size 0
		.amdhsa_kernarg_size 40
		.amdhsa_user_sgpr_count 6
		.amdhsa_user_sgpr_private_segment_buffer 1
		.amdhsa_user_sgpr_dispatch_ptr 0
		.amdhsa_user_sgpr_queue_ptr 0
		.amdhsa_user_sgpr_kernarg_segment_ptr 1
		.amdhsa_user_sgpr_dispatch_id 0
		.amdhsa_user_sgpr_flat_scratch_init 0
		.amdhsa_user_sgpr_kernarg_preload_length 0
		.amdhsa_user_sgpr_kernarg_preload_offset 0
		.amdhsa_user_sgpr_private_segment_size 0
		.amdhsa_uses_dynamic_stack 0
		.amdhsa_system_sgpr_private_segment_wavefront_offset 0
		.amdhsa_system_sgpr_workgroup_id_x 1
		.amdhsa_system_sgpr_workgroup_id_y 0
		.amdhsa_system_sgpr_workgroup_id_z 0
		.amdhsa_system_sgpr_workgroup_info 0
		.amdhsa_system_vgpr_workitem_id 0
		.amdhsa_next_free_vgpr 1
		.amdhsa_next_free_sgpr 0
		.amdhsa_accum_offset 4
		.amdhsa_reserve_vcc 0
		.amdhsa_reserve_flat_scratch 0
		.amdhsa_float_round_mode_32 0
		.amdhsa_float_round_mode_16_64 0
		.amdhsa_float_denorm_mode_32 3
		.amdhsa_float_denorm_mode_16_64 3
		.amdhsa_dx10_clamp 1
		.amdhsa_ieee_mode 1
		.amdhsa_fp16_overflow 0
		.amdhsa_tg_split 0
		.amdhsa_exception_fp_ieee_invalid_op 0
		.amdhsa_exception_fp_denorm_src 0
		.amdhsa_exception_fp_ieee_div_zero 0
		.amdhsa_exception_fp_ieee_overflow 0
		.amdhsa_exception_fp_ieee_underflow 0
		.amdhsa_exception_fp_ieee_inexact 0
		.amdhsa_exception_int_div_zero 0
	.end_amdhsa_kernel
	.section	.text._ZN7rocprim17ROCPRIM_400000_NS6detail17trampoline_kernelINS0_14default_configENS1_20scan_config_selectorIjEEZZNS1_9scan_implILNS1_25lookback_scan_determinismE0ELb0ELb0ES3_N6thrust23THRUST_200600_302600_NS6detail15normal_iteratorINS9_10device_ptrIjEEEENS9_16discard_iteratorINS9_11use_defaultEEEj11max_functorIjEjEEDaPvRmT3_T4_T5_mT6_P12ihipStream_tbENKUlT_T0_E_clISt17integral_constantIbLb0EESW_IbLb1EEEEDaSS_ST_EUlSS_E0_NS1_11comp_targetILNS1_3genE2ELNS1_11target_archE906ELNS1_3gpuE6ELNS1_3repE0EEENS1_30default_config_static_selectorELNS0_4arch9wavefront6targetE1EEEvT1_,"axG",@progbits,_ZN7rocprim17ROCPRIM_400000_NS6detail17trampoline_kernelINS0_14default_configENS1_20scan_config_selectorIjEEZZNS1_9scan_implILNS1_25lookback_scan_determinismE0ELb0ELb0ES3_N6thrust23THRUST_200600_302600_NS6detail15normal_iteratorINS9_10device_ptrIjEEEENS9_16discard_iteratorINS9_11use_defaultEEEj11max_functorIjEjEEDaPvRmT3_T4_T5_mT6_P12ihipStream_tbENKUlT_T0_E_clISt17integral_constantIbLb0EESW_IbLb1EEEEDaSS_ST_EUlSS_E0_NS1_11comp_targetILNS1_3genE2ELNS1_11target_archE906ELNS1_3gpuE6ELNS1_3repE0EEENS1_30default_config_static_selectorELNS0_4arch9wavefront6targetE1EEEvT1_,comdat
.Lfunc_end3489:
	.size	_ZN7rocprim17ROCPRIM_400000_NS6detail17trampoline_kernelINS0_14default_configENS1_20scan_config_selectorIjEEZZNS1_9scan_implILNS1_25lookback_scan_determinismE0ELb0ELb0ES3_N6thrust23THRUST_200600_302600_NS6detail15normal_iteratorINS9_10device_ptrIjEEEENS9_16discard_iteratorINS9_11use_defaultEEEj11max_functorIjEjEEDaPvRmT3_T4_T5_mT6_P12ihipStream_tbENKUlT_T0_E_clISt17integral_constantIbLb0EESW_IbLb1EEEEDaSS_ST_EUlSS_E0_NS1_11comp_targetILNS1_3genE2ELNS1_11target_archE906ELNS1_3gpuE6ELNS1_3repE0EEENS1_30default_config_static_selectorELNS0_4arch9wavefront6targetE1EEEvT1_, .Lfunc_end3489-_ZN7rocprim17ROCPRIM_400000_NS6detail17trampoline_kernelINS0_14default_configENS1_20scan_config_selectorIjEEZZNS1_9scan_implILNS1_25lookback_scan_determinismE0ELb0ELb0ES3_N6thrust23THRUST_200600_302600_NS6detail15normal_iteratorINS9_10device_ptrIjEEEENS9_16discard_iteratorINS9_11use_defaultEEEj11max_functorIjEjEEDaPvRmT3_T4_T5_mT6_P12ihipStream_tbENKUlT_T0_E_clISt17integral_constantIbLb0EESW_IbLb1EEEEDaSS_ST_EUlSS_E0_NS1_11comp_targetILNS1_3genE2ELNS1_11target_archE906ELNS1_3gpuE6ELNS1_3repE0EEENS1_30default_config_static_selectorELNS0_4arch9wavefront6targetE1EEEvT1_
                                        ; -- End function
	.section	.AMDGPU.csdata,"",@progbits
; Kernel info:
; codeLenInByte = 0
; NumSgprs: 4
; NumVgprs: 0
; NumAgprs: 0
; TotalNumVgprs: 0
; ScratchSize: 0
; MemoryBound: 0
; FloatMode: 240
; IeeeMode: 1
; LDSByteSize: 0 bytes/workgroup (compile time only)
; SGPRBlocks: 0
; VGPRBlocks: 0
; NumSGPRsForWavesPerEU: 4
; NumVGPRsForWavesPerEU: 1
; AccumOffset: 4
; Occupancy: 8
; WaveLimiterHint : 0
; COMPUTE_PGM_RSRC2:SCRATCH_EN: 0
; COMPUTE_PGM_RSRC2:USER_SGPR: 6
; COMPUTE_PGM_RSRC2:TRAP_HANDLER: 0
; COMPUTE_PGM_RSRC2:TGID_X_EN: 1
; COMPUTE_PGM_RSRC2:TGID_Y_EN: 0
; COMPUTE_PGM_RSRC2:TGID_Z_EN: 0
; COMPUTE_PGM_RSRC2:TIDIG_COMP_CNT: 0
; COMPUTE_PGM_RSRC3_GFX90A:ACCUM_OFFSET: 0
; COMPUTE_PGM_RSRC3_GFX90A:TG_SPLIT: 0
	.section	.text._ZN7rocprim17ROCPRIM_400000_NS6detail17trampoline_kernelINS0_14default_configENS1_20scan_config_selectorIjEEZZNS1_9scan_implILNS1_25lookback_scan_determinismE0ELb0ELb0ES3_N6thrust23THRUST_200600_302600_NS6detail15normal_iteratorINS9_10device_ptrIjEEEENS9_16discard_iteratorINS9_11use_defaultEEEj11max_functorIjEjEEDaPvRmT3_T4_T5_mT6_P12ihipStream_tbENKUlT_T0_E_clISt17integral_constantIbLb0EESW_IbLb1EEEEDaSS_ST_EUlSS_E0_NS1_11comp_targetILNS1_3genE10ELNS1_11target_archE1201ELNS1_3gpuE5ELNS1_3repE0EEENS1_30default_config_static_selectorELNS0_4arch9wavefront6targetE1EEEvT1_,"axG",@progbits,_ZN7rocprim17ROCPRIM_400000_NS6detail17trampoline_kernelINS0_14default_configENS1_20scan_config_selectorIjEEZZNS1_9scan_implILNS1_25lookback_scan_determinismE0ELb0ELb0ES3_N6thrust23THRUST_200600_302600_NS6detail15normal_iteratorINS9_10device_ptrIjEEEENS9_16discard_iteratorINS9_11use_defaultEEEj11max_functorIjEjEEDaPvRmT3_T4_T5_mT6_P12ihipStream_tbENKUlT_T0_E_clISt17integral_constantIbLb0EESW_IbLb1EEEEDaSS_ST_EUlSS_E0_NS1_11comp_targetILNS1_3genE10ELNS1_11target_archE1201ELNS1_3gpuE5ELNS1_3repE0EEENS1_30default_config_static_selectorELNS0_4arch9wavefront6targetE1EEEvT1_,comdat
	.protected	_ZN7rocprim17ROCPRIM_400000_NS6detail17trampoline_kernelINS0_14default_configENS1_20scan_config_selectorIjEEZZNS1_9scan_implILNS1_25lookback_scan_determinismE0ELb0ELb0ES3_N6thrust23THRUST_200600_302600_NS6detail15normal_iteratorINS9_10device_ptrIjEEEENS9_16discard_iteratorINS9_11use_defaultEEEj11max_functorIjEjEEDaPvRmT3_T4_T5_mT6_P12ihipStream_tbENKUlT_T0_E_clISt17integral_constantIbLb0EESW_IbLb1EEEEDaSS_ST_EUlSS_E0_NS1_11comp_targetILNS1_3genE10ELNS1_11target_archE1201ELNS1_3gpuE5ELNS1_3repE0EEENS1_30default_config_static_selectorELNS0_4arch9wavefront6targetE1EEEvT1_ ; -- Begin function _ZN7rocprim17ROCPRIM_400000_NS6detail17trampoline_kernelINS0_14default_configENS1_20scan_config_selectorIjEEZZNS1_9scan_implILNS1_25lookback_scan_determinismE0ELb0ELb0ES3_N6thrust23THRUST_200600_302600_NS6detail15normal_iteratorINS9_10device_ptrIjEEEENS9_16discard_iteratorINS9_11use_defaultEEEj11max_functorIjEjEEDaPvRmT3_T4_T5_mT6_P12ihipStream_tbENKUlT_T0_E_clISt17integral_constantIbLb0EESW_IbLb1EEEEDaSS_ST_EUlSS_E0_NS1_11comp_targetILNS1_3genE10ELNS1_11target_archE1201ELNS1_3gpuE5ELNS1_3repE0EEENS1_30default_config_static_selectorELNS0_4arch9wavefront6targetE1EEEvT1_
	.globl	_ZN7rocprim17ROCPRIM_400000_NS6detail17trampoline_kernelINS0_14default_configENS1_20scan_config_selectorIjEEZZNS1_9scan_implILNS1_25lookback_scan_determinismE0ELb0ELb0ES3_N6thrust23THRUST_200600_302600_NS6detail15normal_iteratorINS9_10device_ptrIjEEEENS9_16discard_iteratorINS9_11use_defaultEEEj11max_functorIjEjEEDaPvRmT3_T4_T5_mT6_P12ihipStream_tbENKUlT_T0_E_clISt17integral_constantIbLb0EESW_IbLb1EEEEDaSS_ST_EUlSS_E0_NS1_11comp_targetILNS1_3genE10ELNS1_11target_archE1201ELNS1_3gpuE5ELNS1_3repE0EEENS1_30default_config_static_selectorELNS0_4arch9wavefront6targetE1EEEvT1_
	.p2align	8
	.type	_ZN7rocprim17ROCPRIM_400000_NS6detail17trampoline_kernelINS0_14default_configENS1_20scan_config_selectorIjEEZZNS1_9scan_implILNS1_25lookback_scan_determinismE0ELb0ELb0ES3_N6thrust23THRUST_200600_302600_NS6detail15normal_iteratorINS9_10device_ptrIjEEEENS9_16discard_iteratorINS9_11use_defaultEEEj11max_functorIjEjEEDaPvRmT3_T4_T5_mT6_P12ihipStream_tbENKUlT_T0_E_clISt17integral_constantIbLb0EESW_IbLb1EEEEDaSS_ST_EUlSS_E0_NS1_11comp_targetILNS1_3genE10ELNS1_11target_archE1201ELNS1_3gpuE5ELNS1_3repE0EEENS1_30default_config_static_selectorELNS0_4arch9wavefront6targetE1EEEvT1_,@function
_ZN7rocprim17ROCPRIM_400000_NS6detail17trampoline_kernelINS0_14default_configENS1_20scan_config_selectorIjEEZZNS1_9scan_implILNS1_25lookback_scan_determinismE0ELb0ELb0ES3_N6thrust23THRUST_200600_302600_NS6detail15normal_iteratorINS9_10device_ptrIjEEEENS9_16discard_iteratorINS9_11use_defaultEEEj11max_functorIjEjEEDaPvRmT3_T4_T5_mT6_P12ihipStream_tbENKUlT_T0_E_clISt17integral_constantIbLb0EESW_IbLb1EEEEDaSS_ST_EUlSS_E0_NS1_11comp_targetILNS1_3genE10ELNS1_11target_archE1201ELNS1_3gpuE5ELNS1_3repE0EEENS1_30default_config_static_selectorELNS0_4arch9wavefront6targetE1EEEvT1_: ; @_ZN7rocprim17ROCPRIM_400000_NS6detail17trampoline_kernelINS0_14default_configENS1_20scan_config_selectorIjEEZZNS1_9scan_implILNS1_25lookback_scan_determinismE0ELb0ELb0ES3_N6thrust23THRUST_200600_302600_NS6detail15normal_iteratorINS9_10device_ptrIjEEEENS9_16discard_iteratorINS9_11use_defaultEEEj11max_functorIjEjEEDaPvRmT3_T4_T5_mT6_P12ihipStream_tbENKUlT_T0_E_clISt17integral_constantIbLb0EESW_IbLb1EEEEDaSS_ST_EUlSS_E0_NS1_11comp_targetILNS1_3genE10ELNS1_11target_archE1201ELNS1_3gpuE5ELNS1_3repE0EEENS1_30default_config_static_selectorELNS0_4arch9wavefront6targetE1EEEvT1_
; %bb.0:
	.section	.rodata,"a",@progbits
	.p2align	6, 0x0
	.amdhsa_kernel _ZN7rocprim17ROCPRIM_400000_NS6detail17trampoline_kernelINS0_14default_configENS1_20scan_config_selectorIjEEZZNS1_9scan_implILNS1_25lookback_scan_determinismE0ELb0ELb0ES3_N6thrust23THRUST_200600_302600_NS6detail15normal_iteratorINS9_10device_ptrIjEEEENS9_16discard_iteratorINS9_11use_defaultEEEj11max_functorIjEjEEDaPvRmT3_T4_T5_mT6_P12ihipStream_tbENKUlT_T0_E_clISt17integral_constantIbLb0EESW_IbLb1EEEEDaSS_ST_EUlSS_E0_NS1_11comp_targetILNS1_3genE10ELNS1_11target_archE1201ELNS1_3gpuE5ELNS1_3repE0EEENS1_30default_config_static_selectorELNS0_4arch9wavefront6targetE1EEEvT1_
		.amdhsa_group_segment_fixed_size 0
		.amdhsa_private_segment_fixed_size 0
		.amdhsa_kernarg_size 40
		.amdhsa_user_sgpr_count 6
		.amdhsa_user_sgpr_private_segment_buffer 1
		.amdhsa_user_sgpr_dispatch_ptr 0
		.amdhsa_user_sgpr_queue_ptr 0
		.amdhsa_user_sgpr_kernarg_segment_ptr 1
		.amdhsa_user_sgpr_dispatch_id 0
		.amdhsa_user_sgpr_flat_scratch_init 0
		.amdhsa_user_sgpr_kernarg_preload_length 0
		.amdhsa_user_sgpr_kernarg_preload_offset 0
		.amdhsa_user_sgpr_private_segment_size 0
		.amdhsa_uses_dynamic_stack 0
		.amdhsa_system_sgpr_private_segment_wavefront_offset 0
		.amdhsa_system_sgpr_workgroup_id_x 1
		.amdhsa_system_sgpr_workgroup_id_y 0
		.amdhsa_system_sgpr_workgroup_id_z 0
		.amdhsa_system_sgpr_workgroup_info 0
		.amdhsa_system_vgpr_workitem_id 0
		.amdhsa_next_free_vgpr 1
		.amdhsa_next_free_sgpr 0
		.amdhsa_accum_offset 4
		.amdhsa_reserve_vcc 0
		.amdhsa_reserve_flat_scratch 0
		.amdhsa_float_round_mode_32 0
		.amdhsa_float_round_mode_16_64 0
		.amdhsa_float_denorm_mode_32 3
		.amdhsa_float_denorm_mode_16_64 3
		.amdhsa_dx10_clamp 1
		.amdhsa_ieee_mode 1
		.amdhsa_fp16_overflow 0
		.amdhsa_tg_split 0
		.amdhsa_exception_fp_ieee_invalid_op 0
		.amdhsa_exception_fp_denorm_src 0
		.amdhsa_exception_fp_ieee_div_zero 0
		.amdhsa_exception_fp_ieee_overflow 0
		.amdhsa_exception_fp_ieee_underflow 0
		.amdhsa_exception_fp_ieee_inexact 0
		.amdhsa_exception_int_div_zero 0
	.end_amdhsa_kernel
	.section	.text._ZN7rocprim17ROCPRIM_400000_NS6detail17trampoline_kernelINS0_14default_configENS1_20scan_config_selectorIjEEZZNS1_9scan_implILNS1_25lookback_scan_determinismE0ELb0ELb0ES3_N6thrust23THRUST_200600_302600_NS6detail15normal_iteratorINS9_10device_ptrIjEEEENS9_16discard_iteratorINS9_11use_defaultEEEj11max_functorIjEjEEDaPvRmT3_T4_T5_mT6_P12ihipStream_tbENKUlT_T0_E_clISt17integral_constantIbLb0EESW_IbLb1EEEEDaSS_ST_EUlSS_E0_NS1_11comp_targetILNS1_3genE10ELNS1_11target_archE1201ELNS1_3gpuE5ELNS1_3repE0EEENS1_30default_config_static_selectorELNS0_4arch9wavefront6targetE1EEEvT1_,"axG",@progbits,_ZN7rocprim17ROCPRIM_400000_NS6detail17trampoline_kernelINS0_14default_configENS1_20scan_config_selectorIjEEZZNS1_9scan_implILNS1_25lookback_scan_determinismE0ELb0ELb0ES3_N6thrust23THRUST_200600_302600_NS6detail15normal_iteratorINS9_10device_ptrIjEEEENS9_16discard_iteratorINS9_11use_defaultEEEj11max_functorIjEjEEDaPvRmT3_T4_T5_mT6_P12ihipStream_tbENKUlT_T0_E_clISt17integral_constantIbLb0EESW_IbLb1EEEEDaSS_ST_EUlSS_E0_NS1_11comp_targetILNS1_3genE10ELNS1_11target_archE1201ELNS1_3gpuE5ELNS1_3repE0EEENS1_30default_config_static_selectorELNS0_4arch9wavefront6targetE1EEEvT1_,comdat
.Lfunc_end3490:
	.size	_ZN7rocprim17ROCPRIM_400000_NS6detail17trampoline_kernelINS0_14default_configENS1_20scan_config_selectorIjEEZZNS1_9scan_implILNS1_25lookback_scan_determinismE0ELb0ELb0ES3_N6thrust23THRUST_200600_302600_NS6detail15normal_iteratorINS9_10device_ptrIjEEEENS9_16discard_iteratorINS9_11use_defaultEEEj11max_functorIjEjEEDaPvRmT3_T4_T5_mT6_P12ihipStream_tbENKUlT_T0_E_clISt17integral_constantIbLb0EESW_IbLb1EEEEDaSS_ST_EUlSS_E0_NS1_11comp_targetILNS1_3genE10ELNS1_11target_archE1201ELNS1_3gpuE5ELNS1_3repE0EEENS1_30default_config_static_selectorELNS0_4arch9wavefront6targetE1EEEvT1_, .Lfunc_end3490-_ZN7rocprim17ROCPRIM_400000_NS6detail17trampoline_kernelINS0_14default_configENS1_20scan_config_selectorIjEEZZNS1_9scan_implILNS1_25lookback_scan_determinismE0ELb0ELb0ES3_N6thrust23THRUST_200600_302600_NS6detail15normal_iteratorINS9_10device_ptrIjEEEENS9_16discard_iteratorINS9_11use_defaultEEEj11max_functorIjEjEEDaPvRmT3_T4_T5_mT6_P12ihipStream_tbENKUlT_T0_E_clISt17integral_constantIbLb0EESW_IbLb1EEEEDaSS_ST_EUlSS_E0_NS1_11comp_targetILNS1_3genE10ELNS1_11target_archE1201ELNS1_3gpuE5ELNS1_3repE0EEENS1_30default_config_static_selectorELNS0_4arch9wavefront6targetE1EEEvT1_
                                        ; -- End function
	.section	.AMDGPU.csdata,"",@progbits
; Kernel info:
; codeLenInByte = 0
; NumSgprs: 4
; NumVgprs: 0
; NumAgprs: 0
; TotalNumVgprs: 0
; ScratchSize: 0
; MemoryBound: 0
; FloatMode: 240
; IeeeMode: 1
; LDSByteSize: 0 bytes/workgroup (compile time only)
; SGPRBlocks: 0
; VGPRBlocks: 0
; NumSGPRsForWavesPerEU: 4
; NumVGPRsForWavesPerEU: 1
; AccumOffset: 4
; Occupancy: 8
; WaveLimiterHint : 0
; COMPUTE_PGM_RSRC2:SCRATCH_EN: 0
; COMPUTE_PGM_RSRC2:USER_SGPR: 6
; COMPUTE_PGM_RSRC2:TRAP_HANDLER: 0
; COMPUTE_PGM_RSRC2:TGID_X_EN: 1
; COMPUTE_PGM_RSRC2:TGID_Y_EN: 0
; COMPUTE_PGM_RSRC2:TGID_Z_EN: 0
; COMPUTE_PGM_RSRC2:TIDIG_COMP_CNT: 0
; COMPUTE_PGM_RSRC3_GFX90A:ACCUM_OFFSET: 0
; COMPUTE_PGM_RSRC3_GFX90A:TG_SPLIT: 0
	.section	.text._ZN7rocprim17ROCPRIM_400000_NS6detail17trampoline_kernelINS0_14default_configENS1_20scan_config_selectorIjEEZZNS1_9scan_implILNS1_25lookback_scan_determinismE0ELb0ELb0ES3_N6thrust23THRUST_200600_302600_NS6detail15normal_iteratorINS9_10device_ptrIjEEEENS9_16discard_iteratorINS9_11use_defaultEEEj11max_functorIjEjEEDaPvRmT3_T4_T5_mT6_P12ihipStream_tbENKUlT_T0_E_clISt17integral_constantIbLb0EESW_IbLb1EEEEDaSS_ST_EUlSS_E0_NS1_11comp_targetILNS1_3genE10ELNS1_11target_archE1200ELNS1_3gpuE4ELNS1_3repE0EEENS1_30default_config_static_selectorELNS0_4arch9wavefront6targetE1EEEvT1_,"axG",@progbits,_ZN7rocprim17ROCPRIM_400000_NS6detail17trampoline_kernelINS0_14default_configENS1_20scan_config_selectorIjEEZZNS1_9scan_implILNS1_25lookback_scan_determinismE0ELb0ELb0ES3_N6thrust23THRUST_200600_302600_NS6detail15normal_iteratorINS9_10device_ptrIjEEEENS9_16discard_iteratorINS9_11use_defaultEEEj11max_functorIjEjEEDaPvRmT3_T4_T5_mT6_P12ihipStream_tbENKUlT_T0_E_clISt17integral_constantIbLb0EESW_IbLb1EEEEDaSS_ST_EUlSS_E0_NS1_11comp_targetILNS1_3genE10ELNS1_11target_archE1200ELNS1_3gpuE4ELNS1_3repE0EEENS1_30default_config_static_selectorELNS0_4arch9wavefront6targetE1EEEvT1_,comdat
	.protected	_ZN7rocprim17ROCPRIM_400000_NS6detail17trampoline_kernelINS0_14default_configENS1_20scan_config_selectorIjEEZZNS1_9scan_implILNS1_25lookback_scan_determinismE0ELb0ELb0ES3_N6thrust23THRUST_200600_302600_NS6detail15normal_iteratorINS9_10device_ptrIjEEEENS9_16discard_iteratorINS9_11use_defaultEEEj11max_functorIjEjEEDaPvRmT3_T4_T5_mT6_P12ihipStream_tbENKUlT_T0_E_clISt17integral_constantIbLb0EESW_IbLb1EEEEDaSS_ST_EUlSS_E0_NS1_11comp_targetILNS1_3genE10ELNS1_11target_archE1200ELNS1_3gpuE4ELNS1_3repE0EEENS1_30default_config_static_selectorELNS0_4arch9wavefront6targetE1EEEvT1_ ; -- Begin function _ZN7rocprim17ROCPRIM_400000_NS6detail17trampoline_kernelINS0_14default_configENS1_20scan_config_selectorIjEEZZNS1_9scan_implILNS1_25lookback_scan_determinismE0ELb0ELb0ES3_N6thrust23THRUST_200600_302600_NS6detail15normal_iteratorINS9_10device_ptrIjEEEENS9_16discard_iteratorINS9_11use_defaultEEEj11max_functorIjEjEEDaPvRmT3_T4_T5_mT6_P12ihipStream_tbENKUlT_T0_E_clISt17integral_constantIbLb0EESW_IbLb1EEEEDaSS_ST_EUlSS_E0_NS1_11comp_targetILNS1_3genE10ELNS1_11target_archE1200ELNS1_3gpuE4ELNS1_3repE0EEENS1_30default_config_static_selectorELNS0_4arch9wavefront6targetE1EEEvT1_
	.globl	_ZN7rocprim17ROCPRIM_400000_NS6detail17trampoline_kernelINS0_14default_configENS1_20scan_config_selectorIjEEZZNS1_9scan_implILNS1_25lookback_scan_determinismE0ELb0ELb0ES3_N6thrust23THRUST_200600_302600_NS6detail15normal_iteratorINS9_10device_ptrIjEEEENS9_16discard_iteratorINS9_11use_defaultEEEj11max_functorIjEjEEDaPvRmT3_T4_T5_mT6_P12ihipStream_tbENKUlT_T0_E_clISt17integral_constantIbLb0EESW_IbLb1EEEEDaSS_ST_EUlSS_E0_NS1_11comp_targetILNS1_3genE10ELNS1_11target_archE1200ELNS1_3gpuE4ELNS1_3repE0EEENS1_30default_config_static_selectorELNS0_4arch9wavefront6targetE1EEEvT1_
	.p2align	8
	.type	_ZN7rocprim17ROCPRIM_400000_NS6detail17trampoline_kernelINS0_14default_configENS1_20scan_config_selectorIjEEZZNS1_9scan_implILNS1_25lookback_scan_determinismE0ELb0ELb0ES3_N6thrust23THRUST_200600_302600_NS6detail15normal_iteratorINS9_10device_ptrIjEEEENS9_16discard_iteratorINS9_11use_defaultEEEj11max_functorIjEjEEDaPvRmT3_T4_T5_mT6_P12ihipStream_tbENKUlT_T0_E_clISt17integral_constantIbLb0EESW_IbLb1EEEEDaSS_ST_EUlSS_E0_NS1_11comp_targetILNS1_3genE10ELNS1_11target_archE1200ELNS1_3gpuE4ELNS1_3repE0EEENS1_30default_config_static_selectorELNS0_4arch9wavefront6targetE1EEEvT1_,@function
_ZN7rocprim17ROCPRIM_400000_NS6detail17trampoline_kernelINS0_14default_configENS1_20scan_config_selectorIjEEZZNS1_9scan_implILNS1_25lookback_scan_determinismE0ELb0ELb0ES3_N6thrust23THRUST_200600_302600_NS6detail15normal_iteratorINS9_10device_ptrIjEEEENS9_16discard_iteratorINS9_11use_defaultEEEj11max_functorIjEjEEDaPvRmT3_T4_T5_mT6_P12ihipStream_tbENKUlT_T0_E_clISt17integral_constantIbLb0EESW_IbLb1EEEEDaSS_ST_EUlSS_E0_NS1_11comp_targetILNS1_3genE10ELNS1_11target_archE1200ELNS1_3gpuE4ELNS1_3repE0EEENS1_30default_config_static_selectorELNS0_4arch9wavefront6targetE1EEEvT1_: ; @_ZN7rocprim17ROCPRIM_400000_NS6detail17trampoline_kernelINS0_14default_configENS1_20scan_config_selectorIjEEZZNS1_9scan_implILNS1_25lookback_scan_determinismE0ELb0ELb0ES3_N6thrust23THRUST_200600_302600_NS6detail15normal_iteratorINS9_10device_ptrIjEEEENS9_16discard_iteratorINS9_11use_defaultEEEj11max_functorIjEjEEDaPvRmT3_T4_T5_mT6_P12ihipStream_tbENKUlT_T0_E_clISt17integral_constantIbLb0EESW_IbLb1EEEEDaSS_ST_EUlSS_E0_NS1_11comp_targetILNS1_3genE10ELNS1_11target_archE1200ELNS1_3gpuE4ELNS1_3repE0EEENS1_30default_config_static_selectorELNS0_4arch9wavefront6targetE1EEEvT1_
; %bb.0:
	.section	.rodata,"a",@progbits
	.p2align	6, 0x0
	.amdhsa_kernel _ZN7rocprim17ROCPRIM_400000_NS6detail17trampoline_kernelINS0_14default_configENS1_20scan_config_selectorIjEEZZNS1_9scan_implILNS1_25lookback_scan_determinismE0ELb0ELb0ES3_N6thrust23THRUST_200600_302600_NS6detail15normal_iteratorINS9_10device_ptrIjEEEENS9_16discard_iteratorINS9_11use_defaultEEEj11max_functorIjEjEEDaPvRmT3_T4_T5_mT6_P12ihipStream_tbENKUlT_T0_E_clISt17integral_constantIbLb0EESW_IbLb1EEEEDaSS_ST_EUlSS_E0_NS1_11comp_targetILNS1_3genE10ELNS1_11target_archE1200ELNS1_3gpuE4ELNS1_3repE0EEENS1_30default_config_static_selectorELNS0_4arch9wavefront6targetE1EEEvT1_
		.amdhsa_group_segment_fixed_size 0
		.amdhsa_private_segment_fixed_size 0
		.amdhsa_kernarg_size 40
		.amdhsa_user_sgpr_count 6
		.amdhsa_user_sgpr_private_segment_buffer 1
		.amdhsa_user_sgpr_dispatch_ptr 0
		.amdhsa_user_sgpr_queue_ptr 0
		.amdhsa_user_sgpr_kernarg_segment_ptr 1
		.amdhsa_user_sgpr_dispatch_id 0
		.amdhsa_user_sgpr_flat_scratch_init 0
		.amdhsa_user_sgpr_kernarg_preload_length 0
		.amdhsa_user_sgpr_kernarg_preload_offset 0
		.amdhsa_user_sgpr_private_segment_size 0
		.amdhsa_uses_dynamic_stack 0
		.amdhsa_system_sgpr_private_segment_wavefront_offset 0
		.amdhsa_system_sgpr_workgroup_id_x 1
		.amdhsa_system_sgpr_workgroup_id_y 0
		.amdhsa_system_sgpr_workgroup_id_z 0
		.amdhsa_system_sgpr_workgroup_info 0
		.amdhsa_system_vgpr_workitem_id 0
		.amdhsa_next_free_vgpr 1
		.amdhsa_next_free_sgpr 0
		.amdhsa_accum_offset 4
		.amdhsa_reserve_vcc 0
		.amdhsa_reserve_flat_scratch 0
		.amdhsa_float_round_mode_32 0
		.amdhsa_float_round_mode_16_64 0
		.amdhsa_float_denorm_mode_32 3
		.amdhsa_float_denorm_mode_16_64 3
		.amdhsa_dx10_clamp 1
		.amdhsa_ieee_mode 1
		.amdhsa_fp16_overflow 0
		.amdhsa_tg_split 0
		.amdhsa_exception_fp_ieee_invalid_op 0
		.amdhsa_exception_fp_denorm_src 0
		.amdhsa_exception_fp_ieee_div_zero 0
		.amdhsa_exception_fp_ieee_overflow 0
		.amdhsa_exception_fp_ieee_underflow 0
		.amdhsa_exception_fp_ieee_inexact 0
		.amdhsa_exception_int_div_zero 0
	.end_amdhsa_kernel
	.section	.text._ZN7rocprim17ROCPRIM_400000_NS6detail17trampoline_kernelINS0_14default_configENS1_20scan_config_selectorIjEEZZNS1_9scan_implILNS1_25lookback_scan_determinismE0ELb0ELb0ES3_N6thrust23THRUST_200600_302600_NS6detail15normal_iteratorINS9_10device_ptrIjEEEENS9_16discard_iteratorINS9_11use_defaultEEEj11max_functorIjEjEEDaPvRmT3_T4_T5_mT6_P12ihipStream_tbENKUlT_T0_E_clISt17integral_constantIbLb0EESW_IbLb1EEEEDaSS_ST_EUlSS_E0_NS1_11comp_targetILNS1_3genE10ELNS1_11target_archE1200ELNS1_3gpuE4ELNS1_3repE0EEENS1_30default_config_static_selectorELNS0_4arch9wavefront6targetE1EEEvT1_,"axG",@progbits,_ZN7rocprim17ROCPRIM_400000_NS6detail17trampoline_kernelINS0_14default_configENS1_20scan_config_selectorIjEEZZNS1_9scan_implILNS1_25lookback_scan_determinismE0ELb0ELb0ES3_N6thrust23THRUST_200600_302600_NS6detail15normal_iteratorINS9_10device_ptrIjEEEENS9_16discard_iteratorINS9_11use_defaultEEEj11max_functorIjEjEEDaPvRmT3_T4_T5_mT6_P12ihipStream_tbENKUlT_T0_E_clISt17integral_constantIbLb0EESW_IbLb1EEEEDaSS_ST_EUlSS_E0_NS1_11comp_targetILNS1_3genE10ELNS1_11target_archE1200ELNS1_3gpuE4ELNS1_3repE0EEENS1_30default_config_static_selectorELNS0_4arch9wavefront6targetE1EEEvT1_,comdat
.Lfunc_end3491:
	.size	_ZN7rocprim17ROCPRIM_400000_NS6detail17trampoline_kernelINS0_14default_configENS1_20scan_config_selectorIjEEZZNS1_9scan_implILNS1_25lookback_scan_determinismE0ELb0ELb0ES3_N6thrust23THRUST_200600_302600_NS6detail15normal_iteratorINS9_10device_ptrIjEEEENS9_16discard_iteratorINS9_11use_defaultEEEj11max_functorIjEjEEDaPvRmT3_T4_T5_mT6_P12ihipStream_tbENKUlT_T0_E_clISt17integral_constantIbLb0EESW_IbLb1EEEEDaSS_ST_EUlSS_E0_NS1_11comp_targetILNS1_3genE10ELNS1_11target_archE1200ELNS1_3gpuE4ELNS1_3repE0EEENS1_30default_config_static_selectorELNS0_4arch9wavefront6targetE1EEEvT1_, .Lfunc_end3491-_ZN7rocprim17ROCPRIM_400000_NS6detail17trampoline_kernelINS0_14default_configENS1_20scan_config_selectorIjEEZZNS1_9scan_implILNS1_25lookback_scan_determinismE0ELb0ELb0ES3_N6thrust23THRUST_200600_302600_NS6detail15normal_iteratorINS9_10device_ptrIjEEEENS9_16discard_iteratorINS9_11use_defaultEEEj11max_functorIjEjEEDaPvRmT3_T4_T5_mT6_P12ihipStream_tbENKUlT_T0_E_clISt17integral_constantIbLb0EESW_IbLb1EEEEDaSS_ST_EUlSS_E0_NS1_11comp_targetILNS1_3genE10ELNS1_11target_archE1200ELNS1_3gpuE4ELNS1_3repE0EEENS1_30default_config_static_selectorELNS0_4arch9wavefront6targetE1EEEvT1_
                                        ; -- End function
	.section	.AMDGPU.csdata,"",@progbits
; Kernel info:
; codeLenInByte = 0
; NumSgprs: 4
; NumVgprs: 0
; NumAgprs: 0
; TotalNumVgprs: 0
; ScratchSize: 0
; MemoryBound: 0
; FloatMode: 240
; IeeeMode: 1
; LDSByteSize: 0 bytes/workgroup (compile time only)
; SGPRBlocks: 0
; VGPRBlocks: 0
; NumSGPRsForWavesPerEU: 4
; NumVGPRsForWavesPerEU: 1
; AccumOffset: 4
; Occupancy: 8
; WaveLimiterHint : 0
; COMPUTE_PGM_RSRC2:SCRATCH_EN: 0
; COMPUTE_PGM_RSRC2:USER_SGPR: 6
; COMPUTE_PGM_RSRC2:TRAP_HANDLER: 0
; COMPUTE_PGM_RSRC2:TGID_X_EN: 1
; COMPUTE_PGM_RSRC2:TGID_Y_EN: 0
; COMPUTE_PGM_RSRC2:TGID_Z_EN: 0
; COMPUTE_PGM_RSRC2:TIDIG_COMP_CNT: 0
; COMPUTE_PGM_RSRC3_GFX90A:ACCUM_OFFSET: 0
; COMPUTE_PGM_RSRC3_GFX90A:TG_SPLIT: 0
	.section	.text._ZN7rocprim17ROCPRIM_400000_NS6detail17trampoline_kernelINS0_14default_configENS1_20scan_config_selectorIjEEZZNS1_9scan_implILNS1_25lookback_scan_determinismE0ELb0ELb0ES3_N6thrust23THRUST_200600_302600_NS6detail15normal_iteratorINS9_10device_ptrIjEEEENS9_16discard_iteratorINS9_11use_defaultEEEj11max_functorIjEjEEDaPvRmT3_T4_T5_mT6_P12ihipStream_tbENKUlT_T0_E_clISt17integral_constantIbLb0EESW_IbLb1EEEEDaSS_ST_EUlSS_E0_NS1_11comp_targetILNS1_3genE9ELNS1_11target_archE1100ELNS1_3gpuE3ELNS1_3repE0EEENS1_30default_config_static_selectorELNS0_4arch9wavefront6targetE1EEEvT1_,"axG",@progbits,_ZN7rocprim17ROCPRIM_400000_NS6detail17trampoline_kernelINS0_14default_configENS1_20scan_config_selectorIjEEZZNS1_9scan_implILNS1_25lookback_scan_determinismE0ELb0ELb0ES3_N6thrust23THRUST_200600_302600_NS6detail15normal_iteratorINS9_10device_ptrIjEEEENS9_16discard_iteratorINS9_11use_defaultEEEj11max_functorIjEjEEDaPvRmT3_T4_T5_mT6_P12ihipStream_tbENKUlT_T0_E_clISt17integral_constantIbLb0EESW_IbLb1EEEEDaSS_ST_EUlSS_E0_NS1_11comp_targetILNS1_3genE9ELNS1_11target_archE1100ELNS1_3gpuE3ELNS1_3repE0EEENS1_30default_config_static_selectorELNS0_4arch9wavefront6targetE1EEEvT1_,comdat
	.protected	_ZN7rocprim17ROCPRIM_400000_NS6detail17trampoline_kernelINS0_14default_configENS1_20scan_config_selectorIjEEZZNS1_9scan_implILNS1_25lookback_scan_determinismE0ELb0ELb0ES3_N6thrust23THRUST_200600_302600_NS6detail15normal_iteratorINS9_10device_ptrIjEEEENS9_16discard_iteratorINS9_11use_defaultEEEj11max_functorIjEjEEDaPvRmT3_T4_T5_mT6_P12ihipStream_tbENKUlT_T0_E_clISt17integral_constantIbLb0EESW_IbLb1EEEEDaSS_ST_EUlSS_E0_NS1_11comp_targetILNS1_3genE9ELNS1_11target_archE1100ELNS1_3gpuE3ELNS1_3repE0EEENS1_30default_config_static_selectorELNS0_4arch9wavefront6targetE1EEEvT1_ ; -- Begin function _ZN7rocprim17ROCPRIM_400000_NS6detail17trampoline_kernelINS0_14default_configENS1_20scan_config_selectorIjEEZZNS1_9scan_implILNS1_25lookback_scan_determinismE0ELb0ELb0ES3_N6thrust23THRUST_200600_302600_NS6detail15normal_iteratorINS9_10device_ptrIjEEEENS9_16discard_iteratorINS9_11use_defaultEEEj11max_functorIjEjEEDaPvRmT3_T4_T5_mT6_P12ihipStream_tbENKUlT_T0_E_clISt17integral_constantIbLb0EESW_IbLb1EEEEDaSS_ST_EUlSS_E0_NS1_11comp_targetILNS1_3genE9ELNS1_11target_archE1100ELNS1_3gpuE3ELNS1_3repE0EEENS1_30default_config_static_selectorELNS0_4arch9wavefront6targetE1EEEvT1_
	.globl	_ZN7rocprim17ROCPRIM_400000_NS6detail17trampoline_kernelINS0_14default_configENS1_20scan_config_selectorIjEEZZNS1_9scan_implILNS1_25lookback_scan_determinismE0ELb0ELb0ES3_N6thrust23THRUST_200600_302600_NS6detail15normal_iteratorINS9_10device_ptrIjEEEENS9_16discard_iteratorINS9_11use_defaultEEEj11max_functorIjEjEEDaPvRmT3_T4_T5_mT6_P12ihipStream_tbENKUlT_T0_E_clISt17integral_constantIbLb0EESW_IbLb1EEEEDaSS_ST_EUlSS_E0_NS1_11comp_targetILNS1_3genE9ELNS1_11target_archE1100ELNS1_3gpuE3ELNS1_3repE0EEENS1_30default_config_static_selectorELNS0_4arch9wavefront6targetE1EEEvT1_
	.p2align	8
	.type	_ZN7rocprim17ROCPRIM_400000_NS6detail17trampoline_kernelINS0_14default_configENS1_20scan_config_selectorIjEEZZNS1_9scan_implILNS1_25lookback_scan_determinismE0ELb0ELb0ES3_N6thrust23THRUST_200600_302600_NS6detail15normal_iteratorINS9_10device_ptrIjEEEENS9_16discard_iteratorINS9_11use_defaultEEEj11max_functorIjEjEEDaPvRmT3_T4_T5_mT6_P12ihipStream_tbENKUlT_T0_E_clISt17integral_constantIbLb0EESW_IbLb1EEEEDaSS_ST_EUlSS_E0_NS1_11comp_targetILNS1_3genE9ELNS1_11target_archE1100ELNS1_3gpuE3ELNS1_3repE0EEENS1_30default_config_static_selectorELNS0_4arch9wavefront6targetE1EEEvT1_,@function
_ZN7rocprim17ROCPRIM_400000_NS6detail17trampoline_kernelINS0_14default_configENS1_20scan_config_selectorIjEEZZNS1_9scan_implILNS1_25lookback_scan_determinismE0ELb0ELb0ES3_N6thrust23THRUST_200600_302600_NS6detail15normal_iteratorINS9_10device_ptrIjEEEENS9_16discard_iteratorINS9_11use_defaultEEEj11max_functorIjEjEEDaPvRmT3_T4_T5_mT6_P12ihipStream_tbENKUlT_T0_E_clISt17integral_constantIbLb0EESW_IbLb1EEEEDaSS_ST_EUlSS_E0_NS1_11comp_targetILNS1_3genE9ELNS1_11target_archE1100ELNS1_3gpuE3ELNS1_3repE0EEENS1_30default_config_static_selectorELNS0_4arch9wavefront6targetE1EEEvT1_: ; @_ZN7rocprim17ROCPRIM_400000_NS6detail17trampoline_kernelINS0_14default_configENS1_20scan_config_selectorIjEEZZNS1_9scan_implILNS1_25lookback_scan_determinismE0ELb0ELb0ES3_N6thrust23THRUST_200600_302600_NS6detail15normal_iteratorINS9_10device_ptrIjEEEENS9_16discard_iteratorINS9_11use_defaultEEEj11max_functorIjEjEEDaPvRmT3_T4_T5_mT6_P12ihipStream_tbENKUlT_T0_E_clISt17integral_constantIbLb0EESW_IbLb1EEEEDaSS_ST_EUlSS_E0_NS1_11comp_targetILNS1_3genE9ELNS1_11target_archE1100ELNS1_3gpuE3ELNS1_3repE0EEENS1_30default_config_static_selectorELNS0_4arch9wavefront6targetE1EEEvT1_
; %bb.0:
	.section	.rodata,"a",@progbits
	.p2align	6, 0x0
	.amdhsa_kernel _ZN7rocprim17ROCPRIM_400000_NS6detail17trampoline_kernelINS0_14default_configENS1_20scan_config_selectorIjEEZZNS1_9scan_implILNS1_25lookback_scan_determinismE0ELb0ELb0ES3_N6thrust23THRUST_200600_302600_NS6detail15normal_iteratorINS9_10device_ptrIjEEEENS9_16discard_iteratorINS9_11use_defaultEEEj11max_functorIjEjEEDaPvRmT3_T4_T5_mT6_P12ihipStream_tbENKUlT_T0_E_clISt17integral_constantIbLb0EESW_IbLb1EEEEDaSS_ST_EUlSS_E0_NS1_11comp_targetILNS1_3genE9ELNS1_11target_archE1100ELNS1_3gpuE3ELNS1_3repE0EEENS1_30default_config_static_selectorELNS0_4arch9wavefront6targetE1EEEvT1_
		.amdhsa_group_segment_fixed_size 0
		.amdhsa_private_segment_fixed_size 0
		.amdhsa_kernarg_size 40
		.amdhsa_user_sgpr_count 6
		.amdhsa_user_sgpr_private_segment_buffer 1
		.amdhsa_user_sgpr_dispatch_ptr 0
		.amdhsa_user_sgpr_queue_ptr 0
		.amdhsa_user_sgpr_kernarg_segment_ptr 1
		.amdhsa_user_sgpr_dispatch_id 0
		.amdhsa_user_sgpr_flat_scratch_init 0
		.amdhsa_user_sgpr_kernarg_preload_length 0
		.amdhsa_user_sgpr_kernarg_preload_offset 0
		.amdhsa_user_sgpr_private_segment_size 0
		.amdhsa_uses_dynamic_stack 0
		.amdhsa_system_sgpr_private_segment_wavefront_offset 0
		.amdhsa_system_sgpr_workgroup_id_x 1
		.amdhsa_system_sgpr_workgroup_id_y 0
		.amdhsa_system_sgpr_workgroup_id_z 0
		.amdhsa_system_sgpr_workgroup_info 0
		.amdhsa_system_vgpr_workitem_id 0
		.amdhsa_next_free_vgpr 1
		.amdhsa_next_free_sgpr 0
		.amdhsa_accum_offset 4
		.amdhsa_reserve_vcc 0
		.amdhsa_reserve_flat_scratch 0
		.amdhsa_float_round_mode_32 0
		.amdhsa_float_round_mode_16_64 0
		.amdhsa_float_denorm_mode_32 3
		.amdhsa_float_denorm_mode_16_64 3
		.amdhsa_dx10_clamp 1
		.amdhsa_ieee_mode 1
		.amdhsa_fp16_overflow 0
		.amdhsa_tg_split 0
		.amdhsa_exception_fp_ieee_invalid_op 0
		.amdhsa_exception_fp_denorm_src 0
		.amdhsa_exception_fp_ieee_div_zero 0
		.amdhsa_exception_fp_ieee_overflow 0
		.amdhsa_exception_fp_ieee_underflow 0
		.amdhsa_exception_fp_ieee_inexact 0
		.amdhsa_exception_int_div_zero 0
	.end_amdhsa_kernel
	.section	.text._ZN7rocprim17ROCPRIM_400000_NS6detail17trampoline_kernelINS0_14default_configENS1_20scan_config_selectorIjEEZZNS1_9scan_implILNS1_25lookback_scan_determinismE0ELb0ELb0ES3_N6thrust23THRUST_200600_302600_NS6detail15normal_iteratorINS9_10device_ptrIjEEEENS9_16discard_iteratorINS9_11use_defaultEEEj11max_functorIjEjEEDaPvRmT3_T4_T5_mT6_P12ihipStream_tbENKUlT_T0_E_clISt17integral_constantIbLb0EESW_IbLb1EEEEDaSS_ST_EUlSS_E0_NS1_11comp_targetILNS1_3genE9ELNS1_11target_archE1100ELNS1_3gpuE3ELNS1_3repE0EEENS1_30default_config_static_selectorELNS0_4arch9wavefront6targetE1EEEvT1_,"axG",@progbits,_ZN7rocprim17ROCPRIM_400000_NS6detail17trampoline_kernelINS0_14default_configENS1_20scan_config_selectorIjEEZZNS1_9scan_implILNS1_25lookback_scan_determinismE0ELb0ELb0ES3_N6thrust23THRUST_200600_302600_NS6detail15normal_iteratorINS9_10device_ptrIjEEEENS9_16discard_iteratorINS9_11use_defaultEEEj11max_functorIjEjEEDaPvRmT3_T4_T5_mT6_P12ihipStream_tbENKUlT_T0_E_clISt17integral_constantIbLb0EESW_IbLb1EEEEDaSS_ST_EUlSS_E0_NS1_11comp_targetILNS1_3genE9ELNS1_11target_archE1100ELNS1_3gpuE3ELNS1_3repE0EEENS1_30default_config_static_selectorELNS0_4arch9wavefront6targetE1EEEvT1_,comdat
.Lfunc_end3492:
	.size	_ZN7rocprim17ROCPRIM_400000_NS6detail17trampoline_kernelINS0_14default_configENS1_20scan_config_selectorIjEEZZNS1_9scan_implILNS1_25lookback_scan_determinismE0ELb0ELb0ES3_N6thrust23THRUST_200600_302600_NS6detail15normal_iteratorINS9_10device_ptrIjEEEENS9_16discard_iteratorINS9_11use_defaultEEEj11max_functorIjEjEEDaPvRmT3_T4_T5_mT6_P12ihipStream_tbENKUlT_T0_E_clISt17integral_constantIbLb0EESW_IbLb1EEEEDaSS_ST_EUlSS_E0_NS1_11comp_targetILNS1_3genE9ELNS1_11target_archE1100ELNS1_3gpuE3ELNS1_3repE0EEENS1_30default_config_static_selectorELNS0_4arch9wavefront6targetE1EEEvT1_, .Lfunc_end3492-_ZN7rocprim17ROCPRIM_400000_NS6detail17trampoline_kernelINS0_14default_configENS1_20scan_config_selectorIjEEZZNS1_9scan_implILNS1_25lookback_scan_determinismE0ELb0ELb0ES3_N6thrust23THRUST_200600_302600_NS6detail15normal_iteratorINS9_10device_ptrIjEEEENS9_16discard_iteratorINS9_11use_defaultEEEj11max_functorIjEjEEDaPvRmT3_T4_T5_mT6_P12ihipStream_tbENKUlT_T0_E_clISt17integral_constantIbLb0EESW_IbLb1EEEEDaSS_ST_EUlSS_E0_NS1_11comp_targetILNS1_3genE9ELNS1_11target_archE1100ELNS1_3gpuE3ELNS1_3repE0EEENS1_30default_config_static_selectorELNS0_4arch9wavefront6targetE1EEEvT1_
                                        ; -- End function
	.section	.AMDGPU.csdata,"",@progbits
; Kernel info:
; codeLenInByte = 0
; NumSgprs: 4
; NumVgprs: 0
; NumAgprs: 0
; TotalNumVgprs: 0
; ScratchSize: 0
; MemoryBound: 0
; FloatMode: 240
; IeeeMode: 1
; LDSByteSize: 0 bytes/workgroup (compile time only)
; SGPRBlocks: 0
; VGPRBlocks: 0
; NumSGPRsForWavesPerEU: 4
; NumVGPRsForWavesPerEU: 1
; AccumOffset: 4
; Occupancy: 8
; WaveLimiterHint : 0
; COMPUTE_PGM_RSRC2:SCRATCH_EN: 0
; COMPUTE_PGM_RSRC2:USER_SGPR: 6
; COMPUTE_PGM_RSRC2:TRAP_HANDLER: 0
; COMPUTE_PGM_RSRC2:TGID_X_EN: 1
; COMPUTE_PGM_RSRC2:TGID_Y_EN: 0
; COMPUTE_PGM_RSRC2:TGID_Z_EN: 0
; COMPUTE_PGM_RSRC2:TIDIG_COMP_CNT: 0
; COMPUTE_PGM_RSRC3_GFX90A:ACCUM_OFFSET: 0
; COMPUTE_PGM_RSRC3_GFX90A:TG_SPLIT: 0
	.section	.text._ZN7rocprim17ROCPRIM_400000_NS6detail17trampoline_kernelINS0_14default_configENS1_20scan_config_selectorIjEEZZNS1_9scan_implILNS1_25lookback_scan_determinismE0ELb0ELb0ES3_N6thrust23THRUST_200600_302600_NS6detail15normal_iteratorINS9_10device_ptrIjEEEENS9_16discard_iteratorINS9_11use_defaultEEEj11max_functorIjEjEEDaPvRmT3_T4_T5_mT6_P12ihipStream_tbENKUlT_T0_E_clISt17integral_constantIbLb0EESW_IbLb1EEEEDaSS_ST_EUlSS_E0_NS1_11comp_targetILNS1_3genE8ELNS1_11target_archE1030ELNS1_3gpuE2ELNS1_3repE0EEENS1_30default_config_static_selectorELNS0_4arch9wavefront6targetE1EEEvT1_,"axG",@progbits,_ZN7rocprim17ROCPRIM_400000_NS6detail17trampoline_kernelINS0_14default_configENS1_20scan_config_selectorIjEEZZNS1_9scan_implILNS1_25lookback_scan_determinismE0ELb0ELb0ES3_N6thrust23THRUST_200600_302600_NS6detail15normal_iteratorINS9_10device_ptrIjEEEENS9_16discard_iteratorINS9_11use_defaultEEEj11max_functorIjEjEEDaPvRmT3_T4_T5_mT6_P12ihipStream_tbENKUlT_T0_E_clISt17integral_constantIbLb0EESW_IbLb1EEEEDaSS_ST_EUlSS_E0_NS1_11comp_targetILNS1_3genE8ELNS1_11target_archE1030ELNS1_3gpuE2ELNS1_3repE0EEENS1_30default_config_static_selectorELNS0_4arch9wavefront6targetE1EEEvT1_,comdat
	.protected	_ZN7rocprim17ROCPRIM_400000_NS6detail17trampoline_kernelINS0_14default_configENS1_20scan_config_selectorIjEEZZNS1_9scan_implILNS1_25lookback_scan_determinismE0ELb0ELb0ES3_N6thrust23THRUST_200600_302600_NS6detail15normal_iteratorINS9_10device_ptrIjEEEENS9_16discard_iteratorINS9_11use_defaultEEEj11max_functorIjEjEEDaPvRmT3_T4_T5_mT6_P12ihipStream_tbENKUlT_T0_E_clISt17integral_constantIbLb0EESW_IbLb1EEEEDaSS_ST_EUlSS_E0_NS1_11comp_targetILNS1_3genE8ELNS1_11target_archE1030ELNS1_3gpuE2ELNS1_3repE0EEENS1_30default_config_static_selectorELNS0_4arch9wavefront6targetE1EEEvT1_ ; -- Begin function _ZN7rocprim17ROCPRIM_400000_NS6detail17trampoline_kernelINS0_14default_configENS1_20scan_config_selectorIjEEZZNS1_9scan_implILNS1_25lookback_scan_determinismE0ELb0ELb0ES3_N6thrust23THRUST_200600_302600_NS6detail15normal_iteratorINS9_10device_ptrIjEEEENS9_16discard_iteratorINS9_11use_defaultEEEj11max_functorIjEjEEDaPvRmT3_T4_T5_mT6_P12ihipStream_tbENKUlT_T0_E_clISt17integral_constantIbLb0EESW_IbLb1EEEEDaSS_ST_EUlSS_E0_NS1_11comp_targetILNS1_3genE8ELNS1_11target_archE1030ELNS1_3gpuE2ELNS1_3repE0EEENS1_30default_config_static_selectorELNS0_4arch9wavefront6targetE1EEEvT1_
	.globl	_ZN7rocprim17ROCPRIM_400000_NS6detail17trampoline_kernelINS0_14default_configENS1_20scan_config_selectorIjEEZZNS1_9scan_implILNS1_25lookback_scan_determinismE0ELb0ELb0ES3_N6thrust23THRUST_200600_302600_NS6detail15normal_iteratorINS9_10device_ptrIjEEEENS9_16discard_iteratorINS9_11use_defaultEEEj11max_functorIjEjEEDaPvRmT3_T4_T5_mT6_P12ihipStream_tbENKUlT_T0_E_clISt17integral_constantIbLb0EESW_IbLb1EEEEDaSS_ST_EUlSS_E0_NS1_11comp_targetILNS1_3genE8ELNS1_11target_archE1030ELNS1_3gpuE2ELNS1_3repE0EEENS1_30default_config_static_selectorELNS0_4arch9wavefront6targetE1EEEvT1_
	.p2align	8
	.type	_ZN7rocprim17ROCPRIM_400000_NS6detail17trampoline_kernelINS0_14default_configENS1_20scan_config_selectorIjEEZZNS1_9scan_implILNS1_25lookback_scan_determinismE0ELb0ELb0ES3_N6thrust23THRUST_200600_302600_NS6detail15normal_iteratorINS9_10device_ptrIjEEEENS9_16discard_iteratorINS9_11use_defaultEEEj11max_functorIjEjEEDaPvRmT3_T4_T5_mT6_P12ihipStream_tbENKUlT_T0_E_clISt17integral_constantIbLb0EESW_IbLb1EEEEDaSS_ST_EUlSS_E0_NS1_11comp_targetILNS1_3genE8ELNS1_11target_archE1030ELNS1_3gpuE2ELNS1_3repE0EEENS1_30default_config_static_selectorELNS0_4arch9wavefront6targetE1EEEvT1_,@function
_ZN7rocprim17ROCPRIM_400000_NS6detail17trampoline_kernelINS0_14default_configENS1_20scan_config_selectorIjEEZZNS1_9scan_implILNS1_25lookback_scan_determinismE0ELb0ELb0ES3_N6thrust23THRUST_200600_302600_NS6detail15normal_iteratorINS9_10device_ptrIjEEEENS9_16discard_iteratorINS9_11use_defaultEEEj11max_functorIjEjEEDaPvRmT3_T4_T5_mT6_P12ihipStream_tbENKUlT_T0_E_clISt17integral_constantIbLb0EESW_IbLb1EEEEDaSS_ST_EUlSS_E0_NS1_11comp_targetILNS1_3genE8ELNS1_11target_archE1030ELNS1_3gpuE2ELNS1_3repE0EEENS1_30default_config_static_selectorELNS0_4arch9wavefront6targetE1EEEvT1_: ; @_ZN7rocprim17ROCPRIM_400000_NS6detail17trampoline_kernelINS0_14default_configENS1_20scan_config_selectorIjEEZZNS1_9scan_implILNS1_25lookback_scan_determinismE0ELb0ELb0ES3_N6thrust23THRUST_200600_302600_NS6detail15normal_iteratorINS9_10device_ptrIjEEEENS9_16discard_iteratorINS9_11use_defaultEEEj11max_functorIjEjEEDaPvRmT3_T4_T5_mT6_P12ihipStream_tbENKUlT_T0_E_clISt17integral_constantIbLb0EESW_IbLb1EEEEDaSS_ST_EUlSS_E0_NS1_11comp_targetILNS1_3genE8ELNS1_11target_archE1030ELNS1_3gpuE2ELNS1_3repE0EEENS1_30default_config_static_selectorELNS0_4arch9wavefront6targetE1EEEvT1_
; %bb.0:
	.section	.rodata,"a",@progbits
	.p2align	6, 0x0
	.amdhsa_kernel _ZN7rocprim17ROCPRIM_400000_NS6detail17trampoline_kernelINS0_14default_configENS1_20scan_config_selectorIjEEZZNS1_9scan_implILNS1_25lookback_scan_determinismE0ELb0ELb0ES3_N6thrust23THRUST_200600_302600_NS6detail15normal_iteratorINS9_10device_ptrIjEEEENS9_16discard_iteratorINS9_11use_defaultEEEj11max_functorIjEjEEDaPvRmT3_T4_T5_mT6_P12ihipStream_tbENKUlT_T0_E_clISt17integral_constantIbLb0EESW_IbLb1EEEEDaSS_ST_EUlSS_E0_NS1_11comp_targetILNS1_3genE8ELNS1_11target_archE1030ELNS1_3gpuE2ELNS1_3repE0EEENS1_30default_config_static_selectorELNS0_4arch9wavefront6targetE1EEEvT1_
		.amdhsa_group_segment_fixed_size 0
		.amdhsa_private_segment_fixed_size 0
		.amdhsa_kernarg_size 40
		.amdhsa_user_sgpr_count 6
		.amdhsa_user_sgpr_private_segment_buffer 1
		.amdhsa_user_sgpr_dispatch_ptr 0
		.amdhsa_user_sgpr_queue_ptr 0
		.amdhsa_user_sgpr_kernarg_segment_ptr 1
		.amdhsa_user_sgpr_dispatch_id 0
		.amdhsa_user_sgpr_flat_scratch_init 0
		.amdhsa_user_sgpr_kernarg_preload_length 0
		.amdhsa_user_sgpr_kernarg_preload_offset 0
		.amdhsa_user_sgpr_private_segment_size 0
		.amdhsa_uses_dynamic_stack 0
		.amdhsa_system_sgpr_private_segment_wavefront_offset 0
		.amdhsa_system_sgpr_workgroup_id_x 1
		.amdhsa_system_sgpr_workgroup_id_y 0
		.amdhsa_system_sgpr_workgroup_id_z 0
		.amdhsa_system_sgpr_workgroup_info 0
		.amdhsa_system_vgpr_workitem_id 0
		.amdhsa_next_free_vgpr 1
		.amdhsa_next_free_sgpr 0
		.amdhsa_accum_offset 4
		.amdhsa_reserve_vcc 0
		.amdhsa_reserve_flat_scratch 0
		.amdhsa_float_round_mode_32 0
		.amdhsa_float_round_mode_16_64 0
		.amdhsa_float_denorm_mode_32 3
		.amdhsa_float_denorm_mode_16_64 3
		.amdhsa_dx10_clamp 1
		.amdhsa_ieee_mode 1
		.amdhsa_fp16_overflow 0
		.amdhsa_tg_split 0
		.amdhsa_exception_fp_ieee_invalid_op 0
		.amdhsa_exception_fp_denorm_src 0
		.amdhsa_exception_fp_ieee_div_zero 0
		.amdhsa_exception_fp_ieee_overflow 0
		.amdhsa_exception_fp_ieee_underflow 0
		.amdhsa_exception_fp_ieee_inexact 0
		.amdhsa_exception_int_div_zero 0
	.end_amdhsa_kernel
	.section	.text._ZN7rocprim17ROCPRIM_400000_NS6detail17trampoline_kernelINS0_14default_configENS1_20scan_config_selectorIjEEZZNS1_9scan_implILNS1_25lookback_scan_determinismE0ELb0ELb0ES3_N6thrust23THRUST_200600_302600_NS6detail15normal_iteratorINS9_10device_ptrIjEEEENS9_16discard_iteratorINS9_11use_defaultEEEj11max_functorIjEjEEDaPvRmT3_T4_T5_mT6_P12ihipStream_tbENKUlT_T0_E_clISt17integral_constantIbLb0EESW_IbLb1EEEEDaSS_ST_EUlSS_E0_NS1_11comp_targetILNS1_3genE8ELNS1_11target_archE1030ELNS1_3gpuE2ELNS1_3repE0EEENS1_30default_config_static_selectorELNS0_4arch9wavefront6targetE1EEEvT1_,"axG",@progbits,_ZN7rocprim17ROCPRIM_400000_NS6detail17trampoline_kernelINS0_14default_configENS1_20scan_config_selectorIjEEZZNS1_9scan_implILNS1_25lookback_scan_determinismE0ELb0ELb0ES3_N6thrust23THRUST_200600_302600_NS6detail15normal_iteratorINS9_10device_ptrIjEEEENS9_16discard_iteratorINS9_11use_defaultEEEj11max_functorIjEjEEDaPvRmT3_T4_T5_mT6_P12ihipStream_tbENKUlT_T0_E_clISt17integral_constantIbLb0EESW_IbLb1EEEEDaSS_ST_EUlSS_E0_NS1_11comp_targetILNS1_3genE8ELNS1_11target_archE1030ELNS1_3gpuE2ELNS1_3repE0EEENS1_30default_config_static_selectorELNS0_4arch9wavefront6targetE1EEEvT1_,comdat
.Lfunc_end3493:
	.size	_ZN7rocprim17ROCPRIM_400000_NS6detail17trampoline_kernelINS0_14default_configENS1_20scan_config_selectorIjEEZZNS1_9scan_implILNS1_25lookback_scan_determinismE0ELb0ELb0ES3_N6thrust23THRUST_200600_302600_NS6detail15normal_iteratorINS9_10device_ptrIjEEEENS9_16discard_iteratorINS9_11use_defaultEEEj11max_functorIjEjEEDaPvRmT3_T4_T5_mT6_P12ihipStream_tbENKUlT_T0_E_clISt17integral_constantIbLb0EESW_IbLb1EEEEDaSS_ST_EUlSS_E0_NS1_11comp_targetILNS1_3genE8ELNS1_11target_archE1030ELNS1_3gpuE2ELNS1_3repE0EEENS1_30default_config_static_selectorELNS0_4arch9wavefront6targetE1EEEvT1_, .Lfunc_end3493-_ZN7rocprim17ROCPRIM_400000_NS6detail17trampoline_kernelINS0_14default_configENS1_20scan_config_selectorIjEEZZNS1_9scan_implILNS1_25lookback_scan_determinismE0ELb0ELb0ES3_N6thrust23THRUST_200600_302600_NS6detail15normal_iteratorINS9_10device_ptrIjEEEENS9_16discard_iteratorINS9_11use_defaultEEEj11max_functorIjEjEEDaPvRmT3_T4_T5_mT6_P12ihipStream_tbENKUlT_T0_E_clISt17integral_constantIbLb0EESW_IbLb1EEEEDaSS_ST_EUlSS_E0_NS1_11comp_targetILNS1_3genE8ELNS1_11target_archE1030ELNS1_3gpuE2ELNS1_3repE0EEENS1_30default_config_static_selectorELNS0_4arch9wavefront6targetE1EEEvT1_
                                        ; -- End function
	.section	.AMDGPU.csdata,"",@progbits
; Kernel info:
; codeLenInByte = 0
; NumSgprs: 4
; NumVgprs: 0
; NumAgprs: 0
; TotalNumVgprs: 0
; ScratchSize: 0
; MemoryBound: 0
; FloatMode: 240
; IeeeMode: 1
; LDSByteSize: 0 bytes/workgroup (compile time only)
; SGPRBlocks: 0
; VGPRBlocks: 0
; NumSGPRsForWavesPerEU: 4
; NumVGPRsForWavesPerEU: 1
; AccumOffset: 4
; Occupancy: 8
; WaveLimiterHint : 0
; COMPUTE_PGM_RSRC2:SCRATCH_EN: 0
; COMPUTE_PGM_RSRC2:USER_SGPR: 6
; COMPUTE_PGM_RSRC2:TRAP_HANDLER: 0
; COMPUTE_PGM_RSRC2:TGID_X_EN: 1
; COMPUTE_PGM_RSRC2:TGID_Y_EN: 0
; COMPUTE_PGM_RSRC2:TGID_Z_EN: 0
; COMPUTE_PGM_RSRC2:TIDIG_COMP_CNT: 0
; COMPUTE_PGM_RSRC3_GFX90A:ACCUM_OFFSET: 0
; COMPUTE_PGM_RSRC3_GFX90A:TG_SPLIT: 0
	.section	.text._ZN7rocprim17ROCPRIM_400000_NS6detail17trampoline_kernelINS0_14default_configENS1_20scan_config_selectorIjEEZZNS1_9scan_implILNS1_25lookback_scan_determinismE0ELb1ELb1ES3_N6thrust23THRUST_200600_302600_NS6detail15normal_iteratorINS9_10device_ptrIjEEEENS9_16discard_iteratorINS9_11use_defaultEEEj11max_functorIjEjEEDaPvRmT3_T4_T5_mT6_P12ihipStream_tbENKUlT_T0_E_clISt17integral_constantIbLb0EESX_EEDaSS_ST_EUlSS_E_NS1_11comp_targetILNS1_3genE0ELNS1_11target_archE4294967295ELNS1_3gpuE0ELNS1_3repE0EEENS1_30default_config_static_selectorELNS0_4arch9wavefront6targetE1EEEvT1_,"axG",@progbits,_ZN7rocprim17ROCPRIM_400000_NS6detail17trampoline_kernelINS0_14default_configENS1_20scan_config_selectorIjEEZZNS1_9scan_implILNS1_25lookback_scan_determinismE0ELb1ELb1ES3_N6thrust23THRUST_200600_302600_NS6detail15normal_iteratorINS9_10device_ptrIjEEEENS9_16discard_iteratorINS9_11use_defaultEEEj11max_functorIjEjEEDaPvRmT3_T4_T5_mT6_P12ihipStream_tbENKUlT_T0_E_clISt17integral_constantIbLb0EESX_EEDaSS_ST_EUlSS_E_NS1_11comp_targetILNS1_3genE0ELNS1_11target_archE4294967295ELNS1_3gpuE0ELNS1_3repE0EEENS1_30default_config_static_selectorELNS0_4arch9wavefront6targetE1EEEvT1_,comdat
	.protected	_ZN7rocprim17ROCPRIM_400000_NS6detail17trampoline_kernelINS0_14default_configENS1_20scan_config_selectorIjEEZZNS1_9scan_implILNS1_25lookback_scan_determinismE0ELb1ELb1ES3_N6thrust23THRUST_200600_302600_NS6detail15normal_iteratorINS9_10device_ptrIjEEEENS9_16discard_iteratorINS9_11use_defaultEEEj11max_functorIjEjEEDaPvRmT3_T4_T5_mT6_P12ihipStream_tbENKUlT_T0_E_clISt17integral_constantIbLb0EESX_EEDaSS_ST_EUlSS_E_NS1_11comp_targetILNS1_3genE0ELNS1_11target_archE4294967295ELNS1_3gpuE0ELNS1_3repE0EEENS1_30default_config_static_selectorELNS0_4arch9wavefront6targetE1EEEvT1_ ; -- Begin function _ZN7rocprim17ROCPRIM_400000_NS6detail17trampoline_kernelINS0_14default_configENS1_20scan_config_selectorIjEEZZNS1_9scan_implILNS1_25lookback_scan_determinismE0ELb1ELb1ES3_N6thrust23THRUST_200600_302600_NS6detail15normal_iteratorINS9_10device_ptrIjEEEENS9_16discard_iteratorINS9_11use_defaultEEEj11max_functorIjEjEEDaPvRmT3_T4_T5_mT6_P12ihipStream_tbENKUlT_T0_E_clISt17integral_constantIbLb0EESX_EEDaSS_ST_EUlSS_E_NS1_11comp_targetILNS1_3genE0ELNS1_11target_archE4294967295ELNS1_3gpuE0ELNS1_3repE0EEENS1_30default_config_static_selectorELNS0_4arch9wavefront6targetE1EEEvT1_
	.globl	_ZN7rocprim17ROCPRIM_400000_NS6detail17trampoline_kernelINS0_14default_configENS1_20scan_config_selectorIjEEZZNS1_9scan_implILNS1_25lookback_scan_determinismE0ELb1ELb1ES3_N6thrust23THRUST_200600_302600_NS6detail15normal_iteratorINS9_10device_ptrIjEEEENS9_16discard_iteratorINS9_11use_defaultEEEj11max_functorIjEjEEDaPvRmT3_T4_T5_mT6_P12ihipStream_tbENKUlT_T0_E_clISt17integral_constantIbLb0EESX_EEDaSS_ST_EUlSS_E_NS1_11comp_targetILNS1_3genE0ELNS1_11target_archE4294967295ELNS1_3gpuE0ELNS1_3repE0EEENS1_30default_config_static_selectorELNS0_4arch9wavefront6targetE1EEEvT1_
	.p2align	8
	.type	_ZN7rocprim17ROCPRIM_400000_NS6detail17trampoline_kernelINS0_14default_configENS1_20scan_config_selectorIjEEZZNS1_9scan_implILNS1_25lookback_scan_determinismE0ELb1ELb1ES3_N6thrust23THRUST_200600_302600_NS6detail15normal_iteratorINS9_10device_ptrIjEEEENS9_16discard_iteratorINS9_11use_defaultEEEj11max_functorIjEjEEDaPvRmT3_T4_T5_mT6_P12ihipStream_tbENKUlT_T0_E_clISt17integral_constantIbLb0EESX_EEDaSS_ST_EUlSS_E_NS1_11comp_targetILNS1_3genE0ELNS1_11target_archE4294967295ELNS1_3gpuE0ELNS1_3repE0EEENS1_30default_config_static_selectorELNS0_4arch9wavefront6targetE1EEEvT1_,@function
_ZN7rocprim17ROCPRIM_400000_NS6detail17trampoline_kernelINS0_14default_configENS1_20scan_config_selectorIjEEZZNS1_9scan_implILNS1_25lookback_scan_determinismE0ELb1ELb1ES3_N6thrust23THRUST_200600_302600_NS6detail15normal_iteratorINS9_10device_ptrIjEEEENS9_16discard_iteratorINS9_11use_defaultEEEj11max_functorIjEjEEDaPvRmT3_T4_T5_mT6_P12ihipStream_tbENKUlT_T0_E_clISt17integral_constantIbLb0EESX_EEDaSS_ST_EUlSS_E_NS1_11comp_targetILNS1_3genE0ELNS1_11target_archE4294967295ELNS1_3gpuE0ELNS1_3repE0EEENS1_30default_config_static_selectorELNS0_4arch9wavefront6targetE1EEEvT1_: ; @_ZN7rocprim17ROCPRIM_400000_NS6detail17trampoline_kernelINS0_14default_configENS1_20scan_config_selectorIjEEZZNS1_9scan_implILNS1_25lookback_scan_determinismE0ELb1ELb1ES3_N6thrust23THRUST_200600_302600_NS6detail15normal_iteratorINS9_10device_ptrIjEEEENS9_16discard_iteratorINS9_11use_defaultEEEj11max_functorIjEjEEDaPvRmT3_T4_T5_mT6_P12ihipStream_tbENKUlT_T0_E_clISt17integral_constantIbLb0EESX_EEDaSS_ST_EUlSS_E_NS1_11comp_targetILNS1_3genE0ELNS1_11target_archE4294967295ELNS1_3gpuE0ELNS1_3repE0EEENS1_30default_config_static_selectorELNS0_4arch9wavefront6targetE1EEEvT1_
; %bb.0:
	.section	.rodata,"a",@progbits
	.p2align	6, 0x0
	.amdhsa_kernel _ZN7rocprim17ROCPRIM_400000_NS6detail17trampoline_kernelINS0_14default_configENS1_20scan_config_selectorIjEEZZNS1_9scan_implILNS1_25lookback_scan_determinismE0ELb1ELb1ES3_N6thrust23THRUST_200600_302600_NS6detail15normal_iteratorINS9_10device_ptrIjEEEENS9_16discard_iteratorINS9_11use_defaultEEEj11max_functorIjEjEEDaPvRmT3_T4_T5_mT6_P12ihipStream_tbENKUlT_T0_E_clISt17integral_constantIbLb0EESX_EEDaSS_ST_EUlSS_E_NS1_11comp_targetILNS1_3genE0ELNS1_11target_archE4294967295ELNS1_3gpuE0ELNS1_3repE0EEENS1_30default_config_static_selectorELNS0_4arch9wavefront6targetE1EEEvT1_
		.amdhsa_group_segment_fixed_size 0
		.amdhsa_private_segment_fixed_size 0
		.amdhsa_kernarg_size 104
		.amdhsa_user_sgpr_count 6
		.amdhsa_user_sgpr_private_segment_buffer 1
		.amdhsa_user_sgpr_dispatch_ptr 0
		.amdhsa_user_sgpr_queue_ptr 0
		.amdhsa_user_sgpr_kernarg_segment_ptr 1
		.amdhsa_user_sgpr_dispatch_id 0
		.amdhsa_user_sgpr_flat_scratch_init 0
		.amdhsa_user_sgpr_kernarg_preload_length 0
		.amdhsa_user_sgpr_kernarg_preload_offset 0
		.amdhsa_user_sgpr_private_segment_size 0
		.amdhsa_uses_dynamic_stack 0
		.amdhsa_system_sgpr_private_segment_wavefront_offset 0
		.amdhsa_system_sgpr_workgroup_id_x 1
		.amdhsa_system_sgpr_workgroup_id_y 0
		.amdhsa_system_sgpr_workgroup_id_z 0
		.amdhsa_system_sgpr_workgroup_info 0
		.amdhsa_system_vgpr_workitem_id 0
		.amdhsa_next_free_vgpr 1
		.amdhsa_next_free_sgpr 0
		.amdhsa_accum_offset 4
		.amdhsa_reserve_vcc 0
		.amdhsa_reserve_flat_scratch 0
		.amdhsa_float_round_mode_32 0
		.amdhsa_float_round_mode_16_64 0
		.amdhsa_float_denorm_mode_32 3
		.amdhsa_float_denorm_mode_16_64 3
		.amdhsa_dx10_clamp 1
		.amdhsa_ieee_mode 1
		.amdhsa_fp16_overflow 0
		.amdhsa_tg_split 0
		.amdhsa_exception_fp_ieee_invalid_op 0
		.amdhsa_exception_fp_denorm_src 0
		.amdhsa_exception_fp_ieee_div_zero 0
		.amdhsa_exception_fp_ieee_overflow 0
		.amdhsa_exception_fp_ieee_underflow 0
		.amdhsa_exception_fp_ieee_inexact 0
		.amdhsa_exception_int_div_zero 0
	.end_amdhsa_kernel
	.section	.text._ZN7rocprim17ROCPRIM_400000_NS6detail17trampoline_kernelINS0_14default_configENS1_20scan_config_selectorIjEEZZNS1_9scan_implILNS1_25lookback_scan_determinismE0ELb1ELb1ES3_N6thrust23THRUST_200600_302600_NS6detail15normal_iteratorINS9_10device_ptrIjEEEENS9_16discard_iteratorINS9_11use_defaultEEEj11max_functorIjEjEEDaPvRmT3_T4_T5_mT6_P12ihipStream_tbENKUlT_T0_E_clISt17integral_constantIbLb0EESX_EEDaSS_ST_EUlSS_E_NS1_11comp_targetILNS1_3genE0ELNS1_11target_archE4294967295ELNS1_3gpuE0ELNS1_3repE0EEENS1_30default_config_static_selectorELNS0_4arch9wavefront6targetE1EEEvT1_,"axG",@progbits,_ZN7rocprim17ROCPRIM_400000_NS6detail17trampoline_kernelINS0_14default_configENS1_20scan_config_selectorIjEEZZNS1_9scan_implILNS1_25lookback_scan_determinismE0ELb1ELb1ES3_N6thrust23THRUST_200600_302600_NS6detail15normal_iteratorINS9_10device_ptrIjEEEENS9_16discard_iteratorINS9_11use_defaultEEEj11max_functorIjEjEEDaPvRmT3_T4_T5_mT6_P12ihipStream_tbENKUlT_T0_E_clISt17integral_constantIbLb0EESX_EEDaSS_ST_EUlSS_E_NS1_11comp_targetILNS1_3genE0ELNS1_11target_archE4294967295ELNS1_3gpuE0ELNS1_3repE0EEENS1_30default_config_static_selectorELNS0_4arch9wavefront6targetE1EEEvT1_,comdat
.Lfunc_end3494:
	.size	_ZN7rocprim17ROCPRIM_400000_NS6detail17trampoline_kernelINS0_14default_configENS1_20scan_config_selectorIjEEZZNS1_9scan_implILNS1_25lookback_scan_determinismE0ELb1ELb1ES3_N6thrust23THRUST_200600_302600_NS6detail15normal_iteratorINS9_10device_ptrIjEEEENS9_16discard_iteratorINS9_11use_defaultEEEj11max_functorIjEjEEDaPvRmT3_T4_T5_mT6_P12ihipStream_tbENKUlT_T0_E_clISt17integral_constantIbLb0EESX_EEDaSS_ST_EUlSS_E_NS1_11comp_targetILNS1_3genE0ELNS1_11target_archE4294967295ELNS1_3gpuE0ELNS1_3repE0EEENS1_30default_config_static_selectorELNS0_4arch9wavefront6targetE1EEEvT1_, .Lfunc_end3494-_ZN7rocprim17ROCPRIM_400000_NS6detail17trampoline_kernelINS0_14default_configENS1_20scan_config_selectorIjEEZZNS1_9scan_implILNS1_25lookback_scan_determinismE0ELb1ELb1ES3_N6thrust23THRUST_200600_302600_NS6detail15normal_iteratorINS9_10device_ptrIjEEEENS9_16discard_iteratorINS9_11use_defaultEEEj11max_functorIjEjEEDaPvRmT3_T4_T5_mT6_P12ihipStream_tbENKUlT_T0_E_clISt17integral_constantIbLb0EESX_EEDaSS_ST_EUlSS_E_NS1_11comp_targetILNS1_3genE0ELNS1_11target_archE4294967295ELNS1_3gpuE0ELNS1_3repE0EEENS1_30default_config_static_selectorELNS0_4arch9wavefront6targetE1EEEvT1_
                                        ; -- End function
	.section	.AMDGPU.csdata,"",@progbits
; Kernel info:
; codeLenInByte = 0
; NumSgprs: 4
; NumVgprs: 0
; NumAgprs: 0
; TotalNumVgprs: 0
; ScratchSize: 0
; MemoryBound: 0
; FloatMode: 240
; IeeeMode: 1
; LDSByteSize: 0 bytes/workgroup (compile time only)
; SGPRBlocks: 0
; VGPRBlocks: 0
; NumSGPRsForWavesPerEU: 4
; NumVGPRsForWavesPerEU: 1
; AccumOffset: 4
; Occupancy: 8
; WaveLimiterHint : 0
; COMPUTE_PGM_RSRC2:SCRATCH_EN: 0
; COMPUTE_PGM_RSRC2:USER_SGPR: 6
; COMPUTE_PGM_RSRC2:TRAP_HANDLER: 0
; COMPUTE_PGM_RSRC2:TGID_X_EN: 1
; COMPUTE_PGM_RSRC2:TGID_Y_EN: 0
; COMPUTE_PGM_RSRC2:TGID_Z_EN: 0
; COMPUTE_PGM_RSRC2:TIDIG_COMP_CNT: 0
; COMPUTE_PGM_RSRC3_GFX90A:ACCUM_OFFSET: 0
; COMPUTE_PGM_RSRC3_GFX90A:TG_SPLIT: 0
	.section	.text._ZN7rocprim17ROCPRIM_400000_NS6detail17trampoline_kernelINS0_14default_configENS1_20scan_config_selectorIjEEZZNS1_9scan_implILNS1_25lookback_scan_determinismE0ELb1ELb1ES3_N6thrust23THRUST_200600_302600_NS6detail15normal_iteratorINS9_10device_ptrIjEEEENS9_16discard_iteratorINS9_11use_defaultEEEj11max_functorIjEjEEDaPvRmT3_T4_T5_mT6_P12ihipStream_tbENKUlT_T0_E_clISt17integral_constantIbLb0EESX_EEDaSS_ST_EUlSS_E_NS1_11comp_targetILNS1_3genE5ELNS1_11target_archE942ELNS1_3gpuE9ELNS1_3repE0EEENS1_30default_config_static_selectorELNS0_4arch9wavefront6targetE1EEEvT1_,"axG",@progbits,_ZN7rocprim17ROCPRIM_400000_NS6detail17trampoline_kernelINS0_14default_configENS1_20scan_config_selectorIjEEZZNS1_9scan_implILNS1_25lookback_scan_determinismE0ELb1ELb1ES3_N6thrust23THRUST_200600_302600_NS6detail15normal_iteratorINS9_10device_ptrIjEEEENS9_16discard_iteratorINS9_11use_defaultEEEj11max_functorIjEjEEDaPvRmT3_T4_T5_mT6_P12ihipStream_tbENKUlT_T0_E_clISt17integral_constantIbLb0EESX_EEDaSS_ST_EUlSS_E_NS1_11comp_targetILNS1_3genE5ELNS1_11target_archE942ELNS1_3gpuE9ELNS1_3repE0EEENS1_30default_config_static_selectorELNS0_4arch9wavefront6targetE1EEEvT1_,comdat
	.protected	_ZN7rocprim17ROCPRIM_400000_NS6detail17trampoline_kernelINS0_14default_configENS1_20scan_config_selectorIjEEZZNS1_9scan_implILNS1_25lookback_scan_determinismE0ELb1ELb1ES3_N6thrust23THRUST_200600_302600_NS6detail15normal_iteratorINS9_10device_ptrIjEEEENS9_16discard_iteratorINS9_11use_defaultEEEj11max_functorIjEjEEDaPvRmT3_T4_T5_mT6_P12ihipStream_tbENKUlT_T0_E_clISt17integral_constantIbLb0EESX_EEDaSS_ST_EUlSS_E_NS1_11comp_targetILNS1_3genE5ELNS1_11target_archE942ELNS1_3gpuE9ELNS1_3repE0EEENS1_30default_config_static_selectorELNS0_4arch9wavefront6targetE1EEEvT1_ ; -- Begin function _ZN7rocprim17ROCPRIM_400000_NS6detail17trampoline_kernelINS0_14default_configENS1_20scan_config_selectorIjEEZZNS1_9scan_implILNS1_25lookback_scan_determinismE0ELb1ELb1ES3_N6thrust23THRUST_200600_302600_NS6detail15normal_iteratorINS9_10device_ptrIjEEEENS9_16discard_iteratorINS9_11use_defaultEEEj11max_functorIjEjEEDaPvRmT3_T4_T5_mT6_P12ihipStream_tbENKUlT_T0_E_clISt17integral_constantIbLb0EESX_EEDaSS_ST_EUlSS_E_NS1_11comp_targetILNS1_3genE5ELNS1_11target_archE942ELNS1_3gpuE9ELNS1_3repE0EEENS1_30default_config_static_selectorELNS0_4arch9wavefront6targetE1EEEvT1_
	.globl	_ZN7rocprim17ROCPRIM_400000_NS6detail17trampoline_kernelINS0_14default_configENS1_20scan_config_selectorIjEEZZNS1_9scan_implILNS1_25lookback_scan_determinismE0ELb1ELb1ES3_N6thrust23THRUST_200600_302600_NS6detail15normal_iteratorINS9_10device_ptrIjEEEENS9_16discard_iteratorINS9_11use_defaultEEEj11max_functorIjEjEEDaPvRmT3_T4_T5_mT6_P12ihipStream_tbENKUlT_T0_E_clISt17integral_constantIbLb0EESX_EEDaSS_ST_EUlSS_E_NS1_11comp_targetILNS1_3genE5ELNS1_11target_archE942ELNS1_3gpuE9ELNS1_3repE0EEENS1_30default_config_static_selectorELNS0_4arch9wavefront6targetE1EEEvT1_
	.p2align	8
	.type	_ZN7rocprim17ROCPRIM_400000_NS6detail17trampoline_kernelINS0_14default_configENS1_20scan_config_selectorIjEEZZNS1_9scan_implILNS1_25lookback_scan_determinismE0ELb1ELb1ES3_N6thrust23THRUST_200600_302600_NS6detail15normal_iteratorINS9_10device_ptrIjEEEENS9_16discard_iteratorINS9_11use_defaultEEEj11max_functorIjEjEEDaPvRmT3_T4_T5_mT6_P12ihipStream_tbENKUlT_T0_E_clISt17integral_constantIbLb0EESX_EEDaSS_ST_EUlSS_E_NS1_11comp_targetILNS1_3genE5ELNS1_11target_archE942ELNS1_3gpuE9ELNS1_3repE0EEENS1_30default_config_static_selectorELNS0_4arch9wavefront6targetE1EEEvT1_,@function
_ZN7rocprim17ROCPRIM_400000_NS6detail17trampoline_kernelINS0_14default_configENS1_20scan_config_selectorIjEEZZNS1_9scan_implILNS1_25lookback_scan_determinismE0ELb1ELb1ES3_N6thrust23THRUST_200600_302600_NS6detail15normal_iteratorINS9_10device_ptrIjEEEENS9_16discard_iteratorINS9_11use_defaultEEEj11max_functorIjEjEEDaPvRmT3_T4_T5_mT6_P12ihipStream_tbENKUlT_T0_E_clISt17integral_constantIbLb0EESX_EEDaSS_ST_EUlSS_E_NS1_11comp_targetILNS1_3genE5ELNS1_11target_archE942ELNS1_3gpuE9ELNS1_3repE0EEENS1_30default_config_static_selectorELNS0_4arch9wavefront6targetE1EEEvT1_: ; @_ZN7rocprim17ROCPRIM_400000_NS6detail17trampoline_kernelINS0_14default_configENS1_20scan_config_selectorIjEEZZNS1_9scan_implILNS1_25lookback_scan_determinismE0ELb1ELb1ES3_N6thrust23THRUST_200600_302600_NS6detail15normal_iteratorINS9_10device_ptrIjEEEENS9_16discard_iteratorINS9_11use_defaultEEEj11max_functorIjEjEEDaPvRmT3_T4_T5_mT6_P12ihipStream_tbENKUlT_T0_E_clISt17integral_constantIbLb0EESX_EEDaSS_ST_EUlSS_E_NS1_11comp_targetILNS1_3genE5ELNS1_11target_archE942ELNS1_3gpuE9ELNS1_3repE0EEENS1_30default_config_static_selectorELNS0_4arch9wavefront6targetE1EEEvT1_
; %bb.0:
	.section	.rodata,"a",@progbits
	.p2align	6, 0x0
	.amdhsa_kernel _ZN7rocprim17ROCPRIM_400000_NS6detail17trampoline_kernelINS0_14default_configENS1_20scan_config_selectorIjEEZZNS1_9scan_implILNS1_25lookback_scan_determinismE0ELb1ELb1ES3_N6thrust23THRUST_200600_302600_NS6detail15normal_iteratorINS9_10device_ptrIjEEEENS9_16discard_iteratorINS9_11use_defaultEEEj11max_functorIjEjEEDaPvRmT3_T4_T5_mT6_P12ihipStream_tbENKUlT_T0_E_clISt17integral_constantIbLb0EESX_EEDaSS_ST_EUlSS_E_NS1_11comp_targetILNS1_3genE5ELNS1_11target_archE942ELNS1_3gpuE9ELNS1_3repE0EEENS1_30default_config_static_selectorELNS0_4arch9wavefront6targetE1EEEvT1_
		.amdhsa_group_segment_fixed_size 0
		.amdhsa_private_segment_fixed_size 0
		.amdhsa_kernarg_size 104
		.amdhsa_user_sgpr_count 6
		.amdhsa_user_sgpr_private_segment_buffer 1
		.amdhsa_user_sgpr_dispatch_ptr 0
		.amdhsa_user_sgpr_queue_ptr 0
		.amdhsa_user_sgpr_kernarg_segment_ptr 1
		.amdhsa_user_sgpr_dispatch_id 0
		.amdhsa_user_sgpr_flat_scratch_init 0
		.amdhsa_user_sgpr_kernarg_preload_length 0
		.amdhsa_user_sgpr_kernarg_preload_offset 0
		.amdhsa_user_sgpr_private_segment_size 0
		.amdhsa_uses_dynamic_stack 0
		.amdhsa_system_sgpr_private_segment_wavefront_offset 0
		.amdhsa_system_sgpr_workgroup_id_x 1
		.amdhsa_system_sgpr_workgroup_id_y 0
		.amdhsa_system_sgpr_workgroup_id_z 0
		.amdhsa_system_sgpr_workgroup_info 0
		.amdhsa_system_vgpr_workitem_id 0
		.amdhsa_next_free_vgpr 1
		.amdhsa_next_free_sgpr 0
		.amdhsa_accum_offset 4
		.amdhsa_reserve_vcc 0
		.amdhsa_reserve_flat_scratch 0
		.amdhsa_float_round_mode_32 0
		.amdhsa_float_round_mode_16_64 0
		.amdhsa_float_denorm_mode_32 3
		.amdhsa_float_denorm_mode_16_64 3
		.amdhsa_dx10_clamp 1
		.amdhsa_ieee_mode 1
		.amdhsa_fp16_overflow 0
		.amdhsa_tg_split 0
		.amdhsa_exception_fp_ieee_invalid_op 0
		.amdhsa_exception_fp_denorm_src 0
		.amdhsa_exception_fp_ieee_div_zero 0
		.amdhsa_exception_fp_ieee_overflow 0
		.amdhsa_exception_fp_ieee_underflow 0
		.amdhsa_exception_fp_ieee_inexact 0
		.amdhsa_exception_int_div_zero 0
	.end_amdhsa_kernel
	.section	.text._ZN7rocprim17ROCPRIM_400000_NS6detail17trampoline_kernelINS0_14default_configENS1_20scan_config_selectorIjEEZZNS1_9scan_implILNS1_25lookback_scan_determinismE0ELb1ELb1ES3_N6thrust23THRUST_200600_302600_NS6detail15normal_iteratorINS9_10device_ptrIjEEEENS9_16discard_iteratorINS9_11use_defaultEEEj11max_functorIjEjEEDaPvRmT3_T4_T5_mT6_P12ihipStream_tbENKUlT_T0_E_clISt17integral_constantIbLb0EESX_EEDaSS_ST_EUlSS_E_NS1_11comp_targetILNS1_3genE5ELNS1_11target_archE942ELNS1_3gpuE9ELNS1_3repE0EEENS1_30default_config_static_selectorELNS0_4arch9wavefront6targetE1EEEvT1_,"axG",@progbits,_ZN7rocprim17ROCPRIM_400000_NS6detail17trampoline_kernelINS0_14default_configENS1_20scan_config_selectorIjEEZZNS1_9scan_implILNS1_25lookback_scan_determinismE0ELb1ELb1ES3_N6thrust23THRUST_200600_302600_NS6detail15normal_iteratorINS9_10device_ptrIjEEEENS9_16discard_iteratorINS9_11use_defaultEEEj11max_functorIjEjEEDaPvRmT3_T4_T5_mT6_P12ihipStream_tbENKUlT_T0_E_clISt17integral_constantIbLb0EESX_EEDaSS_ST_EUlSS_E_NS1_11comp_targetILNS1_3genE5ELNS1_11target_archE942ELNS1_3gpuE9ELNS1_3repE0EEENS1_30default_config_static_selectorELNS0_4arch9wavefront6targetE1EEEvT1_,comdat
.Lfunc_end3495:
	.size	_ZN7rocprim17ROCPRIM_400000_NS6detail17trampoline_kernelINS0_14default_configENS1_20scan_config_selectorIjEEZZNS1_9scan_implILNS1_25lookback_scan_determinismE0ELb1ELb1ES3_N6thrust23THRUST_200600_302600_NS6detail15normal_iteratorINS9_10device_ptrIjEEEENS9_16discard_iteratorINS9_11use_defaultEEEj11max_functorIjEjEEDaPvRmT3_T4_T5_mT6_P12ihipStream_tbENKUlT_T0_E_clISt17integral_constantIbLb0EESX_EEDaSS_ST_EUlSS_E_NS1_11comp_targetILNS1_3genE5ELNS1_11target_archE942ELNS1_3gpuE9ELNS1_3repE0EEENS1_30default_config_static_selectorELNS0_4arch9wavefront6targetE1EEEvT1_, .Lfunc_end3495-_ZN7rocprim17ROCPRIM_400000_NS6detail17trampoline_kernelINS0_14default_configENS1_20scan_config_selectorIjEEZZNS1_9scan_implILNS1_25lookback_scan_determinismE0ELb1ELb1ES3_N6thrust23THRUST_200600_302600_NS6detail15normal_iteratorINS9_10device_ptrIjEEEENS9_16discard_iteratorINS9_11use_defaultEEEj11max_functorIjEjEEDaPvRmT3_T4_T5_mT6_P12ihipStream_tbENKUlT_T0_E_clISt17integral_constantIbLb0EESX_EEDaSS_ST_EUlSS_E_NS1_11comp_targetILNS1_3genE5ELNS1_11target_archE942ELNS1_3gpuE9ELNS1_3repE0EEENS1_30default_config_static_selectorELNS0_4arch9wavefront6targetE1EEEvT1_
                                        ; -- End function
	.section	.AMDGPU.csdata,"",@progbits
; Kernel info:
; codeLenInByte = 0
; NumSgprs: 4
; NumVgprs: 0
; NumAgprs: 0
; TotalNumVgprs: 0
; ScratchSize: 0
; MemoryBound: 0
; FloatMode: 240
; IeeeMode: 1
; LDSByteSize: 0 bytes/workgroup (compile time only)
; SGPRBlocks: 0
; VGPRBlocks: 0
; NumSGPRsForWavesPerEU: 4
; NumVGPRsForWavesPerEU: 1
; AccumOffset: 4
; Occupancy: 8
; WaveLimiterHint : 0
; COMPUTE_PGM_RSRC2:SCRATCH_EN: 0
; COMPUTE_PGM_RSRC2:USER_SGPR: 6
; COMPUTE_PGM_RSRC2:TRAP_HANDLER: 0
; COMPUTE_PGM_RSRC2:TGID_X_EN: 1
; COMPUTE_PGM_RSRC2:TGID_Y_EN: 0
; COMPUTE_PGM_RSRC2:TGID_Z_EN: 0
; COMPUTE_PGM_RSRC2:TIDIG_COMP_CNT: 0
; COMPUTE_PGM_RSRC3_GFX90A:ACCUM_OFFSET: 0
; COMPUTE_PGM_RSRC3_GFX90A:TG_SPLIT: 0
	.section	.text._ZN7rocprim17ROCPRIM_400000_NS6detail17trampoline_kernelINS0_14default_configENS1_20scan_config_selectorIjEEZZNS1_9scan_implILNS1_25lookback_scan_determinismE0ELb1ELb1ES3_N6thrust23THRUST_200600_302600_NS6detail15normal_iteratorINS9_10device_ptrIjEEEENS9_16discard_iteratorINS9_11use_defaultEEEj11max_functorIjEjEEDaPvRmT3_T4_T5_mT6_P12ihipStream_tbENKUlT_T0_E_clISt17integral_constantIbLb0EESX_EEDaSS_ST_EUlSS_E_NS1_11comp_targetILNS1_3genE4ELNS1_11target_archE910ELNS1_3gpuE8ELNS1_3repE0EEENS1_30default_config_static_selectorELNS0_4arch9wavefront6targetE1EEEvT1_,"axG",@progbits,_ZN7rocprim17ROCPRIM_400000_NS6detail17trampoline_kernelINS0_14default_configENS1_20scan_config_selectorIjEEZZNS1_9scan_implILNS1_25lookback_scan_determinismE0ELb1ELb1ES3_N6thrust23THRUST_200600_302600_NS6detail15normal_iteratorINS9_10device_ptrIjEEEENS9_16discard_iteratorINS9_11use_defaultEEEj11max_functorIjEjEEDaPvRmT3_T4_T5_mT6_P12ihipStream_tbENKUlT_T0_E_clISt17integral_constantIbLb0EESX_EEDaSS_ST_EUlSS_E_NS1_11comp_targetILNS1_3genE4ELNS1_11target_archE910ELNS1_3gpuE8ELNS1_3repE0EEENS1_30default_config_static_selectorELNS0_4arch9wavefront6targetE1EEEvT1_,comdat
	.protected	_ZN7rocprim17ROCPRIM_400000_NS6detail17trampoline_kernelINS0_14default_configENS1_20scan_config_selectorIjEEZZNS1_9scan_implILNS1_25lookback_scan_determinismE0ELb1ELb1ES3_N6thrust23THRUST_200600_302600_NS6detail15normal_iteratorINS9_10device_ptrIjEEEENS9_16discard_iteratorINS9_11use_defaultEEEj11max_functorIjEjEEDaPvRmT3_T4_T5_mT6_P12ihipStream_tbENKUlT_T0_E_clISt17integral_constantIbLb0EESX_EEDaSS_ST_EUlSS_E_NS1_11comp_targetILNS1_3genE4ELNS1_11target_archE910ELNS1_3gpuE8ELNS1_3repE0EEENS1_30default_config_static_selectorELNS0_4arch9wavefront6targetE1EEEvT1_ ; -- Begin function _ZN7rocprim17ROCPRIM_400000_NS6detail17trampoline_kernelINS0_14default_configENS1_20scan_config_selectorIjEEZZNS1_9scan_implILNS1_25lookback_scan_determinismE0ELb1ELb1ES3_N6thrust23THRUST_200600_302600_NS6detail15normal_iteratorINS9_10device_ptrIjEEEENS9_16discard_iteratorINS9_11use_defaultEEEj11max_functorIjEjEEDaPvRmT3_T4_T5_mT6_P12ihipStream_tbENKUlT_T0_E_clISt17integral_constantIbLb0EESX_EEDaSS_ST_EUlSS_E_NS1_11comp_targetILNS1_3genE4ELNS1_11target_archE910ELNS1_3gpuE8ELNS1_3repE0EEENS1_30default_config_static_selectorELNS0_4arch9wavefront6targetE1EEEvT1_
	.globl	_ZN7rocprim17ROCPRIM_400000_NS6detail17trampoline_kernelINS0_14default_configENS1_20scan_config_selectorIjEEZZNS1_9scan_implILNS1_25lookback_scan_determinismE0ELb1ELb1ES3_N6thrust23THRUST_200600_302600_NS6detail15normal_iteratorINS9_10device_ptrIjEEEENS9_16discard_iteratorINS9_11use_defaultEEEj11max_functorIjEjEEDaPvRmT3_T4_T5_mT6_P12ihipStream_tbENKUlT_T0_E_clISt17integral_constantIbLb0EESX_EEDaSS_ST_EUlSS_E_NS1_11comp_targetILNS1_3genE4ELNS1_11target_archE910ELNS1_3gpuE8ELNS1_3repE0EEENS1_30default_config_static_selectorELNS0_4arch9wavefront6targetE1EEEvT1_
	.p2align	8
	.type	_ZN7rocprim17ROCPRIM_400000_NS6detail17trampoline_kernelINS0_14default_configENS1_20scan_config_selectorIjEEZZNS1_9scan_implILNS1_25lookback_scan_determinismE0ELb1ELb1ES3_N6thrust23THRUST_200600_302600_NS6detail15normal_iteratorINS9_10device_ptrIjEEEENS9_16discard_iteratorINS9_11use_defaultEEEj11max_functorIjEjEEDaPvRmT3_T4_T5_mT6_P12ihipStream_tbENKUlT_T0_E_clISt17integral_constantIbLb0EESX_EEDaSS_ST_EUlSS_E_NS1_11comp_targetILNS1_3genE4ELNS1_11target_archE910ELNS1_3gpuE8ELNS1_3repE0EEENS1_30default_config_static_selectorELNS0_4arch9wavefront6targetE1EEEvT1_,@function
_ZN7rocprim17ROCPRIM_400000_NS6detail17trampoline_kernelINS0_14default_configENS1_20scan_config_selectorIjEEZZNS1_9scan_implILNS1_25lookback_scan_determinismE0ELb1ELb1ES3_N6thrust23THRUST_200600_302600_NS6detail15normal_iteratorINS9_10device_ptrIjEEEENS9_16discard_iteratorINS9_11use_defaultEEEj11max_functorIjEjEEDaPvRmT3_T4_T5_mT6_P12ihipStream_tbENKUlT_T0_E_clISt17integral_constantIbLb0EESX_EEDaSS_ST_EUlSS_E_NS1_11comp_targetILNS1_3genE4ELNS1_11target_archE910ELNS1_3gpuE8ELNS1_3repE0EEENS1_30default_config_static_selectorELNS0_4arch9wavefront6targetE1EEEvT1_: ; @_ZN7rocprim17ROCPRIM_400000_NS6detail17trampoline_kernelINS0_14default_configENS1_20scan_config_selectorIjEEZZNS1_9scan_implILNS1_25lookback_scan_determinismE0ELb1ELb1ES3_N6thrust23THRUST_200600_302600_NS6detail15normal_iteratorINS9_10device_ptrIjEEEENS9_16discard_iteratorINS9_11use_defaultEEEj11max_functorIjEjEEDaPvRmT3_T4_T5_mT6_P12ihipStream_tbENKUlT_T0_E_clISt17integral_constantIbLb0EESX_EEDaSS_ST_EUlSS_E_NS1_11comp_targetILNS1_3genE4ELNS1_11target_archE910ELNS1_3gpuE8ELNS1_3repE0EEENS1_30default_config_static_selectorELNS0_4arch9wavefront6targetE1EEEvT1_
; %bb.0:
	s_load_dwordx4 s[0:3], s[4:5], 0x0
	s_load_dwordx2 s[8:9], s[4:5], 0x20
	s_load_dword s7, s[4:5], 0x38
	v_lshlrev_b32_e32 v11, 2, v0
	s_waitcnt lgkmcnt(0)
	s_lshl_b64 s[2:3], s[2:3], 2
	s_add_u32 s21, s0, s2
	s_addc_u32 s22, s1, s3
	s_add_i32 s2, s7, -1
	s_mul_i32 s3, s2, 0x500
	s_sub_u32 s7, s8, s3
	s_subb_u32 s20, s9, 0
	s_mul_i32 s0, s6, 0x500
	s_mov_b32 s1, 0
	s_cmp_lg_u32 s6, s2
	s_cselect_b64 s[16:17], -1, 0
	s_lshl_b64 s[0:1], s[0:1], 2
	s_add_u32 s0, s21, s0
	s_addc_u32 s1, s22, s1
	s_mov_b64 s[2:3], -1
	s_and_b64 vcc, exec, s[16:17]
	s_cbranch_vccz .LBB3496_2
; %bb.1:
	v_mov_b32_e32 v1, s1
	v_add_co_u32_e32 v2, vcc, s0, v11
	v_addc_co_u32_e32 v3, vcc, 0, v1, vcc
	flat_load_dword v1, v[2:3]
	flat_load_dword v4, v[2:3] offset:512
	flat_load_dword v5, v[2:3] offset:1024
	;; [unrolled: 1-line block ×7, first 2 shown]
	v_add_co_u32_e32 v2, vcc, 0x1000, v2
	v_addc_co_u32_e32 v3, vcc, 0, v3, vcc
	flat_load_dword v12, v[2:3]
	flat_load_dword v13, v[2:3] offset:512
	s_mov_b64 s[2:3], 0
	s_waitcnt vmcnt(0) lgkmcnt(0)
	ds_write2st64_b32 v11, v1, v4 offset1:2
	ds_write2st64_b32 v11, v5, v6 offset0:4 offset1:6
	ds_write2st64_b32 v11, v7, v8 offset0:8 offset1:10
	;; [unrolled: 1-line block ×4, first 2 shown]
	s_waitcnt lgkmcnt(0)
	s_barrier
.LBB3496_2:
	s_load_dwordx2 s[18:19], s[4:5], 0x30
	s_andn2_b64 vcc, exec, s[2:3]
	s_cbranch_vccnz .LBB3496_24
; %bb.3:
	v_pk_mov_b32 v[2:3], s[0:1], s[0:1] op_sel:[0,1]
	flat_load_dword v1, v[2:3]
	v_cmp_gt_u32_e32 vcc, s7, v0
	s_waitcnt vmcnt(0) lgkmcnt(0)
	v_mov_b32_e32 v2, v1
	v_mov_b32_e32 v3, v1
	;; [unrolled: 1-line block ×9, first 2 shown]
	s_and_saveexec_b64 s[2:3], vcc
	s_cbranch_execz .LBB3496_5
; %bb.4:
	v_mov_b32_e32 v10, s1
	v_add_co_u32_e32 v12, vcc, s0, v11
	v_addc_co_u32_e32 v13, vcc, 0, v10, vcc
	flat_load_dword v10, v[12:13]
.LBB3496_5:
	s_or_b64 exec, exec, s[2:3]
	v_or_b32_e32 v12, 0x80, v0
	v_cmp_gt_u32_e32 vcc, s7, v12
	s_and_saveexec_b64 s[2:3], vcc
	s_cbranch_execz .LBB3496_7
; %bb.6:
	v_mov_b32_e32 v1, s1
	v_add_co_u32_e32 v12, vcc, s0, v11
	v_addc_co_u32_e32 v13, vcc, 0, v1, vcc
	flat_load_dword v1, v[12:13] offset:512
.LBB3496_7:
	s_or_b64 exec, exec, s[2:3]
	v_or_b32_e32 v12, 0x100, v0
	v_cmp_gt_u32_e32 vcc, s7, v12
	s_and_saveexec_b64 s[2:3], vcc
	s_cbranch_execz .LBB3496_9
; %bb.8:
	v_mov_b32_e32 v2, s1
	v_add_co_u32_e32 v12, vcc, s0, v11
	v_addc_co_u32_e32 v13, vcc, 0, v2, vcc
	flat_load_dword v2, v[12:13] offset:1024
.LBB3496_9:
	;; [unrolled: 11-line block ×7, first 2 shown]
	s_or_b64 exec, exec, s[2:3]
	v_or_b32_e32 v12, 0x400, v0
	v_cmp_gt_u32_e32 vcc, s7, v12
	s_and_saveexec_b64 s[2:3], vcc
	s_cbranch_execz .LBB3496_21
; %bb.20:
	v_lshlrev_b32_e32 v8, 2, v12
	v_mov_b32_e32 v13, s1
	v_add_co_u32_e32 v12, vcc, s0, v8
	v_addc_co_u32_e32 v13, vcc, 0, v13, vcc
	flat_load_dword v8, v[12:13]
.LBB3496_21:
	s_or_b64 exec, exec, s[2:3]
	v_or_b32_e32 v12, 0x480, v0
	v_cmp_gt_u32_e32 vcc, s7, v12
	s_and_saveexec_b64 s[2:3], vcc
	s_cbranch_execz .LBB3496_23
; %bb.22:
	v_lshlrev_b32_e32 v9, 2, v12
	v_mov_b32_e32 v13, s1
	v_add_co_u32_e32 v12, vcc, s0, v9
	v_addc_co_u32_e32 v13, vcc, 0, v13, vcc
	flat_load_dword v9, v[12:13]
.LBB3496_23:
	s_or_b64 exec, exec, s[2:3]
	s_waitcnt vmcnt(0) lgkmcnt(0)
	ds_write2st64_b32 v11, v10, v1 offset1:2
	ds_write2st64_b32 v11, v2, v3 offset0:4 offset1:6
	ds_write2st64_b32 v11, v4, v5 offset0:8 offset1:10
	;; [unrolled: 1-line block ×4, first 2 shown]
	s_waitcnt lgkmcnt(0)
	s_barrier
.LBB3496_24:
	v_mul_u32_u24_e32 v22, 10, v0
	v_lshlrev_b32_e32 v23, 2, v22
	s_waitcnt lgkmcnt(0)
	ds_read2_b64 v[16:19], v23 offset1:1
	ds_read2_b64 v[12:15], v23 offset0:2 offset1:3
	ds_read_b64 v[20:21], v23 offset:32
	s_cmp_lg_u32 s6, 0
	v_cmp_gt_u32_e32 vcc, 64, v0
	s_waitcnt lgkmcnt(2)
	v_max_u32_e32 v1, v16, v17
	v_max3_u32 v24, v1, v18, v19
	v_lshrrev_b32_e32 v1, 5, v0
	s_waitcnt lgkmcnt(0)
	s_barrier
	s_cbranch_scc0 .LBB3496_49
; %bb.25:
	v_max3_u32 v2, v24, v12, v13
	v_max3_u32 v2, v2, v14, v15
	;; [unrolled: 1-line block ×3, first 2 shown]
	v_add_lshl_u32 v2, v1, v0, 2
	ds_write_b32 v2, v25
	s_waitcnt lgkmcnt(0)
	s_barrier
	s_and_saveexec_b64 s[2:3], vcc
	s_cbranch_execz .LBB3496_27
; %bb.26:
	v_lshlrev_b32_e32 v2, 1, v0
	v_lshrrev_b32_e32 v3, 4, v0
	v_add_lshl_u32 v4, v3, v2, 2
	ds_read2_b32 v[2:3], v4 offset1:1
	v_mbcnt_lo_u32_b32 v5, -1, 0
	v_mbcnt_hi_u32_b32 v5, -1, v5
	v_and_b32_e32 v6, 15, v5
	v_cmp_eq_u32_e64 s[0:1], 0, v6
	s_waitcnt lgkmcnt(0)
	v_max_u32_e32 v3, v2, v3
	; wave barrier
	s_nop 1
	v_mov_b32_dpp v7, v3 row_shr:1 row_mask:0xf bank_mask:0xf
	v_max_u32_e32 v7, v7, v3
	v_cndmask_b32_e64 v3, v7, v3, s[0:1]
	v_cmp_lt_u32_e64 s[0:1], 1, v6
	s_nop 0
	v_mov_b32_dpp v7, v3 row_shr:2 row_mask:0xf bank_mask:0xf
	v_max_u32_e32 v7, v7, v3
	v_cndmask_b32_e64 v3, v3, v7, s[0:1]
	v_cmp_lt_u32_e64 s[0:1], 3, v6
	;; [unrolled: 5-line block ×3, first 2 shown]
	s_nop 0
	v_mov_b32_dpp v7, v3 row_shr:8 row_mask:0xf bank_mask:0xf
	v_max_u32_e32 v7, v7, v3
	v_cndmask_b32_e64 v3, v3, v7, s[0:1]
	v_and_b32_e32 v7, 16, v5
	v_cmp_eq_u32_e64 s[0:1], 0, v7
	v_mov_b32_dpp v6, v3 row_bcast:15 row_mask:0xf bank_mask:0xf
	v_max_u32_e32 v6, v6, v3
	v_cndmask_b32_e64 v3, v6, v3, s[0:1]
	v_cmp_lt_u32_e64 s[0:1], 31, v5
	v_and_b32_e32 v7, 64, v5
	v_mov_b32_dpp v6, v3 row_bcast:31 row_mask:0xf bank_mask:0xf
	v_max_u32_e32 v6, v6, v3
	v_cndmask_b32_e64 v3, v3, v6, s[0:1]
	v_add_u32_e32 v6, -1, v5
	v_cmp_lt_i32_e64 s[0:1], v6, v7
	v_cndmask_b32_e64 v5, v6, v5, s[0:1]
	v_lshlrev_b32_e32 v5, 2, v5
	ds_bpermute_b32 v3, v5, v3
	v_cmp_eq_u32_e64 s[0:1], 0, v0
	s_waitcnt lgkmcnt(0)
	v_max_u32_e32 v2, v3, v2
	v_cndmask_b32_e64 v2, v2, v25, s[0:1]
	ds_write_b32 v4, v2
	; wave barrier
	ds_read_b32 v3, v4 offset:4
	s_waitcnt lgkmcnt(0)
	v_max_u32_e32 v2, v2, v3
	ds_write_b32 v4, v2 offset:4
.LBB3496_27:
	s_or_b64 exec, exec, s[2:3]
	v_cmp_eq_u32_e64 s[0:1], 0, v0
	v_cmp_ne_u32_e64 s[2:3], 0, v0
	s_waitcnt lgkmcnt(0)
	s_barrier
	s_and_saveexec_b64 s[8:9], s[2:3]
	s_cbranch_execz .LBB3496_29
; %bb.28:
	v_add_u32_e32 v2, -1, v0
	v_lshrrev_b32_e32 v3, 5, v2
	v_add_lshl_u32 v2, v3, v2, 2
	ds_read_b32 v25, v2
.LBB3496_29:
	s_or_b64 exec, exec, s[8:9]
	s_and_saveexec_b64 s[8:9], vcc
	s_cbranch_execz .LBB3496_48
; %bb.30:
	v_mov_b32_e32 v9, 0
	ds_read_b32 v2, v9 offset:520
	v_mbcnt_lo_u32_b32 v3, -1, 0
	v_mbcnt_hi_u32_b32 v5, -1, v3
	s_mov_b32 s13, 0
	v_cmp_eq_u32_e64 s[2:3], 0, v5
	s_and_saveexec_b64 s[10:11], s[2:3]
	s_cbranch_execz .LBB3496_32
; %bb.31:
	s_add_i32 s12, s6, 64
	s_lshl_b64 s[12:13], s[12:13], 3
	s_add_u32 s12, s18, s12
	v_mov_b32_e32 v3, 1
	s_addc_u32 s13, s19, s13
	s_waitcnt lgkmcnt(0)
	global_store_dwordx2 v9, v[2:3], s[12:13]
.LBB3496_32:
	s_or_b64 exec, exec, s[10:11]
	v_xad_u32 v4, v5, -1, s6
	v_add_u32_e32 v8, 64, v4
	v_lshlrev_b64 v[6:7], 3, v[8:9]
	v_mov_b32_e32 v3, s19
	v_add_co_u32_e32 v10, vcc, s18, v6
	v_addc_co_u32_e32 v11, vcc, v3, v7, vcc
	global_load_dwordx2 v[6:7], v[10:11], off glc
	s_waitcnt vmcnt(0)
	v_cmp_eq_u16_sdwa s[12:13], v7, v9 src0_sel:BYTE_0 src1_sel:DWORD
	s_and_saveexec_b64 s[10:11], s[12:13]
	s_cbranch_execz .LBB3496_36
; %bb.33:
	s_mov_b64 s[12:13], 0
	v_mov_b32_e32 v3, 0
.LBB3496_34:                            ; =>This Inner Loop Header: Depth=1
	global_load_dwordx2 v[6:7], v[10:11], off glc
	s_waitcnt vmcnt(0)
	v_cmp_ne_u16_sdwa s[14:15], v7, v3 src0_sel:BYTE_0 src1_sel:DWORD
	s_or_b64 s[12:13], s[14:15], s[12:13]
	s_andn2_b64 exec, exec, s[12:13]
	s_cbranch_execnz .LBB3496_34
; %bb.35:
	s_or_b64 exec, exec, s[12:13]
.LBB3496_36:
	s_or_b64 exec, exec, s[10:11]
	v_and_b32_e32 v26, 63, v5
	v_cmp_ne_u32_e32 vcc, 63, v26
	v_mov_b32_e32 v3, 2
	v_addc_co_u32_e32 v27, vcc, 0, v5, vcc
	v_cmp_eq_u16_sdwa s[10:11], v7, v3 src0_sel:BYTE_0 src1_sel:DWORD
	v_lshlrev_b64 v[8:9], v5, -1
	v_lshlrev_b32_e32 v27, 2, v27
	v_and_b32_e32 v10, s11, v9
	ds_bpermute_b32 v28, v27, v6
	v_or_b32_e32 v10, 0x80000000, v10
	v_and_b32_e32 v11, s10, v8
	v_ffbl_b32_e32 v10, v10
	v_add_u32_e32 v10, 32, v10
	v_ffbl_b32_e32 v11, v11
	v_min_u32_e32 v10, v11, v10
	s_waitcnt lgkmcnt(0)
	v_max_u32_e32 v11, v28, v6
	v_cmp_lt_u32_e32 vcc, v26, v10
	v_cndmask_b32_e32 v6, v6, v11, vcc
	v_cmp_gt_u32_e32 vcc, 62, v26
	v_cndmask_b32_e64 v11, 0, 1, vcc
	v_lshlrev_b32_e32 v11, 1, v11
	v_add_lshl_u32 v28, v11, v5, 2
	ds_bpermute_b32 v11, v28, v6
	v_add_u32_e32 v29, 2, v26
	v_cmp_gt_u32_e32 vcc, v29, v10
	v_add_u32_e32 v31, 4, v26
	v_add_u32_e32 v33, 8, v26
	s_waitcnt lgkmcnt(0)
	v_max_u32_e32 v11, v11, v6
	v_cndmask_b32_e32 v6, v11, v6, vcc
	v_cmp_gt_u32_e32 vcc, 60, v26
	v_cndmask_b32_e64 v11, 0, 1, vcc
	v_lshlrev_b32_e32 v11, 2, v11
	v_add_lshl_u32 v30, v11, v5, 2
	ds_bpermute_b32 v11, v30, v6
	v_cmp_gt_u32_e32 vcc, v31, v10
	v_add_u32_e32 v36, 16, v26
	v_add_u32_e32 v38, 32, v26
	s_waitcnt lgkmcnt(0)
	v_max_u32_e32 v11, v11, v6
	v_cndmask_b32_e32 v6, v11, v6, vcc
	v_cmp_gt_u32_e32 vcc, 56, v26
	v_cndmask_b32_e64 v11, 0, 1, vcc
	v_lshlrev_b32_e32 v11, 3, v11
	v_add_lshl_u32 v32, v11, v5, 2
	ds_bpermute_b32 v11, v32, v6
	v_cmp_gt_u32_e32 vcc, v33, v10
	s_waitcnt lgkmcnt(0)
	v_max_u32_e32 v11, v11, v6
	v_cndmask_b32_e32 v6, v11, v6, vcc
	v_cmp_gt_u32_e32 vcc, 48, v26
	v_cndmask_b32_e64 v11, 0, 1, vcc
	v_lshlrev_b32_e32 v11, 4, v11
	v_add_lshl_u32 v34, v11, v5, 2
	ds_bpermute_b32 v11, v34, v6
	v_cmp_gt_u32_e32 vcc, v36, v10
	;; [unrolled: 9-line block ×3, first 2 shown]
	s_waitcnt lgkmcnt(0)
	v_max_u32_e32 v5, v5, v6
	v_cndmask_b32_e32 v6, v5, v6, vcc
	v_mov_b32_e32 v5, 0
	s_branch .LBB3496_38
.LBB3496_37:                            ;   in Loop: Header=BB3496_38 Depth=1
	s_or_b64 exec, exec, s[10:11]
	v_cmp_eq_u16_sdwa s[10:11], v7, v3 src0_sel:BYTE_0 src1_sel:DWORD
	v_and_b32_e32 v10, s11, v9
	ds_bpermute_b32 v39, v27, v6
	v_or_b32_e32 v10, 0x80000000, v10
	v_and_b32_e32 v11, s10, v8
	v_ffbl_b32_e32 v10, v10
	v_add_u32_e32 v10, 32, v10
	v_ffbl_b32_e32 v11, v11
	v_min_u32_e32 v10, v11, v10
	s_waitcnt lgkmcnt(0)
	v_max_u32_e32 v11, v39, v6
	v_cmp_lt_u32_e32 vcc, v26, v10
	v_cndmask_b32_e32 v6, v6, v11, vcc
	ds_bpermute_b32 v11, v28, v6
	v_cmp_gt_u32_e32 vcc, v29, v10
	v_subrev_u32_e32 v4, 64, v4
	s_waitcnt lgkmcnt(0)
	v_max_u32_e32 v11, v11, v6
	v_cndmask_b32_e32 v6, v11, v6, vcc
	ds_bpermute_b32 v11, v30, v6
	v_cmp_gt_u32_e32 vcc, v31, v10
	s_waitcnt lgkmcnt(0)
	v_max_u32_e32 v11, v11, v6
	v_cndmask_b32_e32 v6, v11, v6, vcc
	ds_bpermute_b32 v11, v32, v6
	v_cmp_gt_u32_e32 vcc, v33, v10
	;; [unrolled: 5-line block ×4, first 2 shown]
	s_waitcnt lgkmcnt(0)
	v_max_u32_e32 v11, v11, v6
	v_cndmask_b32_e32 v6, v11, v6, vcc
	v_max_u32_e32 v6, v6, v35
.LBB3496_38:                            ; =>This Loop Header: Depth=1
                                        ;     Child Loop BB3496_41 Depth 2
	v_cmp_ne_u16_sdwa s[10:11], v7, v3 src0_sel:BYTE_0 src1_sel:DWORD
	v_cndmask_b32_e64 v7, 0, 1, s[10:11]
	;;#ASMSTART
	;;#ASMEND
	v_cmp_ne_u32_e32 vcc, 0, v7
	s_cmp_lg_u64 vcc, exec
	v_mov_b32_e32 v35, v6
	s_cbranch_scc1 .LBB3496_43
; %bb.39:                               ;   in Loop: Header=BB3496_38 Depth=1
	v_lshlrev_b64 v[6:7], 3, v[4:5]
	v_mov_b32_e32 v11, s19
	v_add_co_u32_e32 v10, vcc, s18, v6
	v_addc_co_u32_e32 v11, vcc, v11, v7, vcc
	global_load_dwordx2 v[6:7], v[10:11], off glc
	s_waitcnt vmcnt(0)
	v_cmp_eq_u16_sdwa s[12:13], v7, v5 src0_sel:BYTE_0 src1_sel:DWORD
	s_and_saveexec_b64 s[10:11], s[12:13]
	s_cbranch_execz .LBB3496_37
; %bb.40:                               ;   in Loop: Header=BB3496_38 Depth=1
	s_mov_b64 s[12:13], 0
.LBB3496_41:                            ;   Parent Loop BB3496_38 Depth=1
                                        ; =>  This Inner Loop Header: Depth=2
	global_load_dwordx2 v[6:7], v[10:11], off glc
	s_waitcnt vmcnt(0)
	v_cmp_ne_u16_sdwa s[14:15], v7, v5 src0_sel:BYTE_0 src1_sel:DWORD
	s_or_b64 s[12:13], s[14:15], s[12:13]
	s_andn2_b64 exec, exec, s[12:13]
	s_cbranch_execnz .LBB3496_41
; %bb.42:                               ;   in Loop: Header=BB3496_38 Depth=1
	s_or_b64 exec, exec, s[12:13]
	s_branch .LBB3496_37
.LBB3496_43:                            ;   in Loop: Header=BB3496_38 Depth=1
                                        ; implicit-def: $vgpr6
                                        ; implicit-def: $vgpr7
	s_cbranch_execz .LBB3496_38
; %bb.44:
	s_and_saveexec_b64 s[10:11], s[2:3]
	s_cbranch_execz .LBB3496_46
; %bb.45:
	s_add_i32 s2, s6, 64
	s_mov_b32 s3, 0
	s_lshl_b64 s[2:3], s[2:3], 3
	s_add_u32 s2, s18, s2
	v_max_u32_e32 v2, v35, v2
	v_mov_b32_e32 v3, 2
	s_addc_u32 s3, s19, s3
	v_mov_b32_e32 v4, 0
	global_store_dwordx2 v4, v[2:3], s[2:3]
.LBB3496_46:
	s_or_b64 exec, exec, s[10:11]
	s_and_b64 exec, exec, s[0:1]
	s_cbranch_execz .LBB3496_48
; %bb.47:
	v_mov_b32_e32 v2, 0
	ds_write_b32 v2, v35
.LBB3496_48:
	s_or_b64 exec, exec, s[8:9]
	v_mov_b32_e32 v2, 0
	s_waitcnt lgkmcnt(0)
	s_barrier
	ds_read_b32 v2, v2
	s_waitcnt lgkmcnt(0)
	v_max_u32_e32 v3, v2, v25
	v_cndmask_b32_e64 v2, v3, v2, s[0:1]
	v_max_u32_e32 v3, v2, v16
	v_max_u32_e32 v4, v3, v17
	v_max_u32_e32 v5, v4, v18
	v_max_u32_e32 v6, v5, v19
	v_max_u32_e32 v7, v6, v12
	v_max_u32_e32 v8, v7, v13
	v_max_u32_e32 v9, v8, v14
	v_max_u32_e32 v10, v9, v15
	v_max_u32_e32 v11, v10, v20
	s_load_dwordx8 s[8:15], s[4:5], 0x40
	s_branch .LBB3496_59
.LBB3496_49:
                                        ; implicit-def: $vgpr2_vgpr3_vgpr4_vgpr5_vgpr6_vgpr7_vgpr8_vgpr9_vgpr10_vgpr11
	s_load_dwordx8 s[8:15], s[4:5], 0x40
	s_cbranch_execz .LBB3496_59
; %bb.50:
	s_load_dword s0, s[4:5], 0x28
	s_waitcnt lgkmcnt(0)
	s_cmp_eq_u64 s[12:13], 0
	v_mov_b32_e32 v25, s0
	s_cbranch_scc1 .LBB3496_52
; %bb.51:
	v_mov_b32_e32 v2, 0
	global_load_dword v4, v2, s[8:9]
	v_mov_b32_e32 v3, s22
	v_add_co_u32_e64 v2, vcc, -4, s21
	v_addc_co_u32_e32 v3, vcc, -1, v3, vcc
	flat_load_dword v2, v[2:3]
	s_waitcnt vmcnt(0) lgkmcnt(0)
	v_max_u32_e32 v25, v4, v2
.LBB3496_52:
	v_max3_u32 v2, v24, v12, v13
	v_max3_u32 v2, v2, v14, v15
	;; [unrolled: 1-line block ×3, first 2 shown]
	v_add_lshl_u32 v1, v1, v0, 2
	v_cmp_gt_u32_e32 vcc, 64, v0
	ds_write_b32 v1, v2
	s_waitcnt lgkmcnt(0)
	s_barrier
	s_and_saveexec_b64 s[0:1], vcc
	s_cbranch_execz .LBB3496_54
; %bb.53:
	v_lshlrev_b32_e32 v1, 1, v0
	v_lshrrev_b32_e32 v3, 4, v0
	v_add_lshl_u32 v1, v3, v1, 2
	ds_read2_b32 v[4:5], v1 offset1:1
	v_mbcnt_lo_u32_b32 v3, -1, 0
	v_mbcnt_hi_u32_b32 v3, -1, v3
	v_and_b32_e32 v6, 15, v3
	v_cmp_eq_u32_e32 vcc, 0, v6
	s_waitcnt lgkmcnt(0)
	v_max_u32_e32 v5, v4, v5
	; wave barrier
	s_nop 1
	v_mov_b32_dpp v7, v5 row_shr:1 row_mask:0xf bank_mask:0xf
	v_max_u32_e32 v7, v7, v5
	v_cndmask_b32_e32 v5, v7, v5, vcc
	v_cmp_lt_u32_e32 vcc, 1, v6
	s_nop 0
	v_mov_b32_dpp v7, v5 row_shr:2 row_mask:0xf bank_mask:0xf
	v_max_u32_e32 v7, v7, v5
	v_cndmask_b32_e32 v5, v5, v7, vcc
	v_cmp_lt_u32_e32 vcc, 3, v6
	;; [unrolled: 5-line block ×3, first 2 shown]
	s_nop 0
	v_mov_b32_dpp v7, v5 row_shr:8 row_mask:0xf bank_mask:0xf
	v_max_u32_e32 v7, v7, v5
	v_cndmask_b32_e32 v5, v5, v7, vcc
	v_and_b32_e32 v7, 16, v3
	v_cmp_eq_u32_e32 vcc, 0, v7
	v_mov_b32_dpp v6, v5 row_bcast:15 row_mask:0xf bank_mask:0xf
	v_max_u32_e32 v6, v6, v5
	v_cndmask_b32_e32 v5, v6, v5, vcc
	v_cmp_lt_u32_e32 vcc, 31, v3
	v_and_b32_e32 v7, 64, v3
	v_mov_b32_dpp v6, v5 row_bcast:31 row_mask:0xf bank_mask:0xf
	v_max_u32_e32 v6, v6, v5
	v_cndmask_b32_e32 v5, v5, v6, vcc
	v_add_u32_e32 v6, -1, v3
	v_cmp_lt_i32_e32 vcc, v6, v7
	v_cndmask_b32_e32 v3, v6, v3, vcc
	v_lshlrev_b32_e32 v3, 2, v3
	ds_bpermute_b32 v3, v3, v5
	v_cmp_eq_u32_e32 vcc, 0, v0
	s_waitcnt lgkmcnt(0)
	v_max_u32_e32 v3, v3, v4
	v_cndmask_b32_e32 v2, v3, v2, vcc
	ds_write_b32 v1, v2
	; wave barrier
	ds_read_b32 v3, v1 offset:4
	s_waitcnt lgkmcnt(0)
	v_max_u32_e32 v2, v2, v3
	ds_write_b32 v1, v2 offset:4
.LBB3496_54:
	s_or_b64 exec, exec, s[0:1]
	v_cmp_eq_u32_e32 vcc, 0, v0
	v_cmp_ne_u32_e64 s[0:1], 0, v0
	v_mov_b32_e32 v2, v25
	s_waitcnt lgkmcnt(0)
	s_barrier
	s_and_saveexec_b64 s[2:3], s[0:1]
	s_cbranch_execz .LBB3496_56
; %bb.55:
	v_add_u32_e32 v1, -1, v0
	v_lshrrev_b32_e32 v2, 5, v1
	v_add_lshl_u32 v1, v2, v1, 2
	ds_read_b32 v1, v1
	s_waitcnt lgkmcnt(0)
	v_max_u32_e32 v2, v25, v1
.LBB3496_56:
	s_or_b64 exec, exec, s[2:3]
	v_max_u32_e32 v3, v2, v16
	v_max_u32_e32 v4, v3, v17
	;; [unrolled: 1-line block ×9, first 2 shown]
	s_and_saveexec_b64 s[0:1], vcc
	s_cbranch_execz .LBB3496_58
; %bb.57:
	v_mov_b32_e32 v1, 0
	ds_read_b32 v12, v1 offset:520
	v_mov_b32_e32 v13, 2
	s_waitcnt lgkmcnt(0)
	v_max_u32_e32 v12, v25, v12
	global_store_dwordx2 v1, v[12:13], s[18:19] offset:512
.LBB3496_58:
	s_or_b64 exec, exec, s[0:1]
.LBB3496_59:
	s_mov_b64 s[0:1], -1
	s_and_b64 vcc, exec, s[16:17]
	s_waitcnt lgkmcnt(0)
	s_barrier
	ds_write2_b64 v23, v[2:3], v[4:5] offset1:1
	ds_write2_b64 v23, v[6:7], v[8:9] offset0:2 offset1:3
	ds_write_b64 v23, v[10:11] offset:32
	s_waitcnt lgkmcnt(0)
	s_cbranch_vccz .LBB3496_61
; %bb.60:
	s_barrier
	s_mov_b64 s[0:1], 0
.LBB3496_61:
	s_andn2_b64 vcc, exec, s[0:1]
	s_cbranch_vccnz .LBB3496_97
; %bb.62:
	v_cmp_lt_u64_e64 s[0:1], s[14:15], 2
	s_and_b64 vcc, exec, s[0:1]
	s_barrier
	s_cbranch_vccnz .LBB3496_97
; %bb.63:
	s_add_u32 s0, s7, -1
	s_addc_u32 s1, s20, -1
	s_add_u32 s2, 0, 0x99986000
	s_addc_u32 s3, 0, 0x59
	s_add_i32 s3, s3, 0x19999940
	s_mul_hi_u32 s7, s2, -10
	s_sub_i32 s7, s7, s2
	s_mul_i32 s8, s3, -10
	s_mul_i32 s4, s2, -10
	s_add_i32 s7, s7, s8
	s_mul_hi_u32 s5, s3, s4
	s_mul_i32 s6, s3, s4
	s_mul_i32 s9, s2, s7
	s_mul_hi_u32 s4, s2, s4
	s_mul_hi_u32 s8, s2, s7
	s_add_u32 s4, s4, s9
	s_addc_u32 s8, 0, s8
	s_add_u32 s4, s4, s6
	s_mul_hi_u32 s9, s3, s7
	s_addc_u32 s4, s8, s5
	s_addc_u32 s5, s9, 0
	s_mul_i32 s6, s3, s7
	s_add_u32 s4, s4, s6
	v_mov_b32_e32 v2, s4
	s_addc_u32 s5, 0, s5
	v_add_co_u32_e32 v2, vcc, s2, v2
	s_cmp_lg_u64 vcc, 0
	s_addc_u32 s2, s3, s5
	v_readfirstlane_b32 s5, v2
	s_mul_i32 s4, s0, s2
	s_mul_hi_u32 s6, s0, s5
	s_mul_hi_u32 s3, s0, s2
	s_add_u32 s4, s6, s4
	s_addc_u32 s3, 0, s3
	s_mul_hi_u32 s7, s1, s5
	s_mul_i32 s5, s1, s5
	s_add_u32 s4, s4, s5
	s_mul_hi_u32 s6, s1, s2
	s_addc_u32 s3, s3, s7
	s_addc_u32 s4, s6, 0
	s_mul_i32 s2, s1, s2
	s_add_u32 s2, s3, s2
	s_addc_u32 s3, 0, s4
	s_add_u32 s4, s2, 1
	s_addc_u32 s5, s3, 0
	s_add_u32 s6, s2, 2
	s_mul_i32 s8, s3, 10
	s_mul_hi_u32 s9, s2, 10
	s_addc_u32 s7, s3, 0
	s_add_i32 s9, s9, s8
	s_mul_i32 s8, s2, 10
	v_mov_b32_e32 v2, s8
	v_sub_co_u32_e32 v2, vcc, s0, v2
	s_cmp_lg_u64 vcc, 0
	s_subb_u32 s8, s1, s9
	v_subrev_co_u32_e32 v3, vcc, 10, v2
	s_cmp_lg_u64 vcc, 0
	s_subb_u32 s9, s8, 0
	v_readfirstlane_b32 s12, v3
	s_cmp_gt_u32 s12, 9
	s_cselect_b32 s12, -1, 0
	s_cmp_eq_u32 s9, 0
	s_cselect_b32 s9, s12, -1
	s_cmp_lg_u32 s9, 0
	s_cselect_b32 s4, s6, s4
	v_readfirstlane_b32 s6, v2
	s_cselect_b32 s5, s7, s5
	s_cmp_gt_u32 s6, 9
	s_cselect_b32 s6, -1, 0
	s_cmp_eq_u32 s8, 0
	s_cselect_b32 s6, s6, -1
	s_cmp_lg_u32 s6, 0
	v_mov_b32_e32 v1, 0
	s_cselect_b32 s3, s5, s3
	s_cselect_b32 s2, s4, s2
	v_cmp_eq_u64_e32 vcc, s[2:3], v[0:1]
	s_and_saveexec_b64 s[2:3], vcc
	s_cbranch_execz .LBB3496_97
; %bb.64:
	s_movk_i32 s2, 0xffdc
	v_mad_i32_i24 v2, v0, s2, v23
	v_mul_hi_u32_u24_e32 v1, 10, v0
	v_mov_b32_e32 v3, s1
	v_sub_co_u32_e32 v0, vcc, s0, v22
	v_subb_co_u32_e32 v1, vcc, v3, v1, vcc
	v_cmp_lt_i64_e32 vcc, 4, v[0:1]
	s_and_saveexec_b64 s[0:1], vcc
	s_xor_b64 s[0:1], exec, s[0:1]
	s_cbranch_execz .LBB3496_82
; %bb.65:
	v_cmp_lt_i64_e32 vcc, 6, v[0:1]
	s_and_saveexec_b64 s[2:3], vcc
	s_xor_b64 s[2:3], exec, s[2:3]
	s_cbranch_execz .LBB3496_75
; %bb.66:
	;; [unrolled: 5-line block ×4, first 2 shown]
	ds_read_b32 v0, v2 offset:4608
	v_mov_b32_e32 v1, 0
                                        ; implicit-def: $vgpr2
	s_waitcnt lgkmcnt(0)
	global_store_dword v1, v0, s[10:11]
.LBB3496_69:
	s_andn2_saveexec_b64 s[6:7], s[6:7]
	s_cbranch_execz .LBB3496_71
; %bb.70:
	ds_read_b32 v0, v2 offset:4096
	v_mov_b32_e32 v1, 0
	s_waitcnt lgkmcnt(0)
	global_store_dword v1, v0, s[10:11]
.LBB3496_71:
	s_or_b64 exec, exec, s[6:7]
                                        ; implicit-def: $vgpr2
.LBB3496_72:
	s_andn2_saveexec_b64 s[4:5], s[4:5]
	s_cbranch_execz .LBB3496_74
; %bb.73:
	ds_read_b32 v0, v2 offset:3584
	v_mov_b32_e32 v1, 0
	s_waitcnt lgkmcnt(0)
	global_store_dword v1, v0, s[10:11]
.LBB3496_74:
	s_or_b64 exec, exec, s[4:5]
                                        ; implicit-def: $vgpr2
                                        ; implicit-def: $vgpr0_vgpr1
.LBB3496_75:
	s_andn2_saveexec_b64 s[2:3], s[2:3]
	s_cbranch_execz .LBB3496_81
; %bb.76:
	v_cmp_lt_i64_e32 vcc, 5, v[0:1]
	s_and_saveexec_b64 s[4:5], vcc
	s_xor_b64 s[4:5], exec, s[4:5]
	s_cbranch_execz .LBB3496_78
; %bb.77:
	ds_read_b32 v0, v2 offset:3072
	v_mov_b32_e32 v1, 0
                                        ; implicit-def: $vgpr2
	s_waitcnt lgkmcnt(0)
	global_store_dword v1, v0, s[10:11]
.LBB3496_78:
	s_andn2_saveexec_b64 s[4:5], s[4:5]
	s_cbranch_execz .LBB3496_80
; %bb.79:
	ds_read_b32 v0, v2 offset:2560
	v_mov_b32_e32 v1, 0
	s_waitcnt lgkmcnt(0)
	global_store_dword v1, v0, s[10:11]
.LBB3496_80:
	s_or_b64 exec, exec, s[4:5]
.LBB3496_81:
	s_or_b64 exec, exec, s[2:3]
                                        ; implicit-def: $vgpr0_vgpr1
                                        ; implicit-def: $vgpr2
.LBB3496_82:
	s_andn2_saveexec_b64 s[0:1], s[0:1]
	s_cbranch_execz .LBB3496_97
; %bb.83:
	v_cmp_lt_i64_e32 vcc, 2, v[0:1]
	s_and_saveexec_b64 s[0:1], vcc
	s_xor_b64 s[0:1], exec, s[0:1]
	s_cbranch_execz .LBB3496_89
; %bb.84:
	v_cmp_lt_i64_e32 vcc, 3, v[0:1]
	s_and_saveexec_b64 s[2:3], vcc
	s_xor_b64 s[2:3], exec, s[2:3]
	s_cbranch_execz .LBB3496_86
; %bb.85:
	ds_read_b32 v0, v2 offset:2048
	v_mov_b32_e32 v1, 0
                                        ; implicit-def: $vgpr2
	s_waitcnt lgkmcnt(0)
	global_store_dword v1, v0, s[10:11]
.LBB3496_86:
	s_andn2_saveexec_b64 s[2:3], s[2:3]
	s_cbranch_execz .LBB3496_88
; %bb.87:
	ds_read_b32 v0, v2 offset:1536
	v_mov_b32_e32 v1, 0
	s_waitcnt lgkmcnt(0)
	global_store_dword v1, v0, s[10:11]
.LBB3496_88:
	s_or_b64 exec, exec, s[2:3]
                                        ; implicit-def: $vgpr0_vgpr1
                                        ; implicit-def: $vgpr2
.LBB3496_89:
	s_andn2_saveexec_b64 s[0:1], s[0:1]
	s_cbranch_execz .LBB3496_97
; %bb.90:
	v_cmp_lt_i64_e32 vcc, 1, v[0:1]
	s_and_saveexec_b64 s[0:1], vcc
	s_xor_b64 s[0:1], exec, s[0:1]
	s_cbranch_execz .LBB3496_92
; %bb.91:
	ds_read_b32 v0, v2 offset:1024
	v_mov_b32_e32 v1, 0
                                        ; implicit-def: $vgpr2
	s_waitcnt lgkmcnt(0)
	global_store_dword v1, v0, s[10:11]
                                        ; implicit-def: $vgpr0_vgpr1
.LBB3496_92:
	s_andn2_saveexec_b64 s[0:1], s[0:1]
	s_cbranch_execz .LBB3496_97
; %bb.93:
	v_cmp_ne_u64_e32 vcc, 1, v[0:1]
	s_and_saveexec_b64 s[0:1], vcc
	s_xor_b64 s[0:1], exec, s[0:1]
	s_cbranch_execz .LBB3496_95
; %bb.94:
	ds_read_b32 v0, v2
	v_mov_b32_e32 v1, 0
                                        ; implicit-def: $vgpr2
	s_waitcnt lgkmcnt(0)
	global_store_dword v1, v0, s[10:11]
.LBB3496_95:
	s_andn2_saveexec_b64 s[0:1], s[0:1]
	s_cbranch_execz .LBB3496_97
; %bb.96:
	ds_read_b32 v0, v2 offset:512
	v_mov_b32_e32 v1, 0
	s_waitcnt lgkmcnt(0)
	global_store_dword v1, v0, s[10:11]
.LBB3496_97:
	s_endpgm
	.section	.rodata,"a",@progbits
	.p2align	6, 0x0
	.amdhsa_kernel _ZN7rocprim17ROCPRIM_400000_NS6detail17trampoline_kernelINS0_14default_configENS1_20scan_config_selectorIjEEZZNS1_9scan_implILNS1_25lookback_scan_determinismE0ELb1ELb1ES3_N6thrust23THRUST_200600_302600_NS6detail15normal_iteratorINS9_10device_ptrIjEEEENS9_16discard_iteratorINS9_11use_defaultEEEj11max_functorIjEjEEDaPvRmT3_T4_T5_mT6_P12ihipStream_tbENKUlT_T0_E_clISt17integral_constantIbLb0EESX_EEDaSS_ST_EUlSS_E_NS1_11comp_targetILNS1_3genE4ELNS1_11target_archE910ELNS1_3gpuE8ELNS1_3repE0EEENS1_30default_config_static_selectorELNS0_4arch9wavefront6targetE1EEEvT1_
		.amdhsa_group_segment_fixed_size 5120
		.amdhsa_private_segment_fixed_size 0
		.amdhsa_kernarg_size 104
		.amdhsa_user_sgpr_count 6
		.amdhsa_user_sgpr_private_segment_buffer 1
		.amdhsa_user_sgpr_dispatch_ptr 0
		.amdhsa_user_sgpr_queue_ptr 0
		.amdhsa_user_sgpr_kernarg_segment_ptr 1
		.amdhsa_user_sgpr_dispatch_id 0
		.amdhsa_user_sgpr_flat_scratch_init 0
		.amdhsa_user_sgpr_kernarg_preload_length 0
		.amdhsa_user_sgpr_kernarg_preload_offset 0
		.amdhsa_user_sgpr_private_segment_size 0
		.amdhsa_uses_dynamic_stack 0
		.amdhsa_system_sgpr_private_segment_wavefront_offset 0
		.amdhsa_system_sgpr_workgroup_id_x 1
		.amdhsa_system_sgpr_workgroup_id_y 0
		.amdhsa_system_sgpr_workgroup_id_z 0
		.amdhsa_system_sgpr_workgroup_info 0
		.amdhsa_system_vgpr_workitem_id 0
		.amdhsa_next_free_vgpr 40
		.amdhsa_next_free_sgpr 23
		.amdhsa_accum_offset 40
		.amdhsa_reserve_vcc 1
		.amdhsa_reserve_flat_scratch 0
		.amdhsa_float_round_mode_32 0
		.amdhsa_float_round_mode_16_64 0
		.amdhsa_float_denorm_mode_32 3
		.amdhsa_float_denorm_mode_16_64 3
		.amdhsa_dx10_clamp 1
		.amdhsa_ieee_mode 1
		.amdhsa_fp16_overflow 0
		.amdhsa_tg_split 0
		.amdhsa_exception_fp_ieee_invalid_op 0
		.amdhsa_exception_fp_denorm_src 0
		.amdhsa_exception_fp_ieee_div_zero 0
		.amdhsa_exception_fp_ieee_overflow 0
		.amdhsa_exception_fp_ieee_underflow 0
		.amdhsa_exception_fp_ieee_inexact 0
		.amdhsa_exception_int_div_zero 0
	.end_amdhsa_kernel
	.section	.text._ZN7rocprim17ROCPRIM_400000_NS6detail17trampoline_kernelINS0_14default_configENS1_20scan_config_selectorIjEEZZNS1_9scan_implILNS1_25lookback_scan_determinismE0ELb1ELb1ES3_N6thrust23THRUST_200600_302600_NS6detail15normal_iteratorINS9_10device_ptrIjEEEENS9_16discard_iteratorINS9_11use_defaultEEEj11max_functorIjEjEEDaPvRmT3_T4_T5_mT6_P12ihipStream_tbENKUlT_T0_E_clISt17integral_constantIbLb0EESX_EEDaSS_ST_EUlSS_E_NS1_11comp_targetILNS1_3genE4ELNS1_11target_archE910ELNS1_3gpuE8ELNS1_3repE0EEENS1_30default_config_static_selectorELNS0_4arch9wavefront6targetE1EEEvT1_,"axG",@progbits,_ZN7rocprim17ROCPRIM_400000_NS6detail17trampoline_kernelINS0_14default_configENS1_20scan_config_selectorIjEEZZNS1_9scan_implILNS1_25lookback_scan_determinismE0ELb1ELb1ES3_N6thrust23THRUST_200600_302600_NS6detail15normal_iteratorINS9_10device_ptrIjEEEENS9_16discard_iteratorINS9_11use_defaultEEEj11max_functorIjEjEEDaPvRmT3_T4_T5_mT6_P12ihipStream_tbENKUlT_T0_E_clISt17integral_constantIbLb0EESX_EEDaSS_ST_EUlSS_E_NS1_11comp_targetILNS1_3genE4ELNS1_11target_archE910ELNS1_3gpuE8ELNS1_3repE0EEENS1_30default_config_static_selectorELNS0_4arch9wavefront6targetE1EEEvT1_,comdat
.Lfunc_end3496:
	.size	_ZN7rocprim17ROCPRIM_400000_NS6detail17trampoline_kernelINS0_14default_configENS1_20scan_config_selectorIjEEZZNS1_9scan_implILNS1_25lookback_scan_determinismE0ELb1ELb1ES3_N6thrust23THRUST_200600_302600_NS6detail15normal_iteratorINS9_10device_ptrIjEEEENS9_16discard_iteratorINS9_11use_defaultEEEj11max_functorIjEjEEDaPvRmT3_T4_T5_mT6_P12ihipStream_tbENKUlT_T0_E_clISt17integral_constantIbLb0EESX_EEDaSS_ST_EUlSS_E_NS1_11comp_targetILNS1_3genE4ELNS1_11target_archE910ELNS1_3gpuE8ELNS1_3repE0EEENS1_30default_config_static_selectorELNS0_4arch9wavefront6targetE1EEEvT1_, .Lfunc_end3496-_ZN7rocprim17ROCPRIM_400000_NS6detail17trampoline_kernelINS0_14default_configENS1_20scan_config_selectorIjEEZZNS1_9scan_implILNS1_25lookback_scan_determinismE0ELb1ELb1ES3_N6thrust23THRUST_200600_302600_NS6detail15normal_iteratorINS9_10device_ptrIjEEEENS9_16discard_iteratorINS9_11use_defaultEEEj11max_functorIjEjEEDaPvRmT3_T4_T5_mT6_P12ihipStream_tbENKUlT_T0_E_clISt17integral_constantIbLb0EESX_EEDaSS_ST_EUlSS_E_NS1_11comp_targetILNS1_3genE4ELNS1_11target_archE910ELNS1_3gpuE8ELNS1_3repE0EEENS1_30default_config_static_selectorELNS0_4arch9wavefront6targetE1EEEvT1_
                                        ; -- End function
	.section	.AMDGPU.csdata,"",@progbits
; Kernel info:
; codeLenInByte = 3880
; NumSgprs: 27
; NumVgprs: 40
; NumAgprs: 0
; TotalNumVgprs: 40
; ScratchSize: 0
; MemoryBound: 0
; FloatMode: 240
; IeeeMode: 1
; LDSByteSize: 5120 bytes/workgroup (compile time only)
; SGPRBlocks: 3
; VGPRBlocks: 4
; NumSGPRsForWavesPerEU: 27
; NumVGPRsForWavesPerEU: 40
; AccumOffset: 40
; Occupancy: 6
; WaveLimiterHint : 1
; COMPUTE_PGM_RSRC2:SCRATCH_EN: 0
; COMPUTE_PGM_RSRC2:USER_SGPR: 6
; COMPUTE_PGM_RSRC2:TRAP_HANDLER: 0
; COMPUTE_PGM_RSRC2:TGID_X_EN: 1
; COMPUTE_PGM_RSRC2:TGID_Y_EN: 0
; COMPUTE_PGM_RSRC2:TGID_Z_EN: 0
; COMPUTE_PGM_RSRC2:TIDIG_COMP_CNT: 0
; COMPUTE_PGM_RSRC3_GFX90A:ACCUM_OFFSET: 9
; COMPUTE_PGM_RSRC3_GFX90A:TG_SPLIT: 0
	.section	.text._ZN7rocprim17ROCPRIM_400000_NS6detail17trampoline_kernelINS0_14default_configENS1_20scan_config_selectorIjEEZZNS1_9scan_implILNS1_25lookback_scan_determinismE0ELb1ELb1ES3_N6thrust23THRUST_200600_302600_NS6detail15normal_iteratorINS9_10device_ptrIjEEEENS9_16discard_iteratorINS9_11use_defaultEEEj11max_functorIjEjEEDaPvRmT3_T4_T5_mT6_P12ihipStream_tbENKUlT_T0_E_clISt17integral_constantIbLb0EESX_EEDaSS_ST_EUlSS_E_NS1_11comp_targetILNS1_3genE3ELNS1_11target_archE908ELNS1_3gpuE7ELNS1_3repE0EEENS1_30default_config_static_selectorELNS0_4arch9wavefront6targetE1EEEvT1_,"axG",@progbits,_ZN7rocprim17ROCPRIM_400000_NS6detail17trampoline_kernelINS0_14default_configENS1_20scan_config_selectorIjEEZZNS1_9scan_implILNS1_25lookback_scan_determinismE0ELb1ELb1ES3_N6thrust23THRUST_200600_302600_NS6detail15normal_iteratorINS9_10device_ptrIjEEEENS9_16discard_iteratorINS9_11use_defaultEEEj11max_functorIjEjEEDaPvRmT3_T4_T5_mT6_P12ihipStream_tbENKUlT_T0_E_clISt17integral_constantIbLb0EESX_EEDaSS_ST_EUlSS_E_NS1_11comp_targetILNS1_3genE3ELNS1_11target_archE908ELNS1_3gpuE7ELNS1_3repE0EEENS1_30default_config_static_selectorELNS0_4arch9wavefront6targetE1EEEvT1_,comdat
	.protected	_ZN7rocprim17ROCPRIM_400000_NS6detail17trampoline_kernelINS0_14default_configENS1_20scan_config_selectorIjEEZZNS1_9scan_implILNS1_25lookback_scan_determinismE0ELb1ELb1ES3_N6thrust23THRUST_200600_302600_NS6detail15normal_iteratorINS9_10device_ptrIjEEEENS9_16discard_iteratorINS9_11use_defaultEEEj11max_functorIjEjEEDaPvRmT3_T4_T5_mT6_P12ihipStream_tbENKUlT_T0_E_clISt17integral_constantIbLb0EESX_EEDaSS_ST_EUlSS_E_NS1_11comp_targetILNS1_3genE3ELNS1_11target_archE908ELNS1_3gpuE7ELNS1_3repE0EEENS1_30default_config_static_selectorELNS0_4arch9wavefront6targetE1EEEvT1_ ; -- Begin function _ZN7rocprim17ROCPRIM_400000_NS6detail17trampoline_kernelINS0_14default_configENS1_20scan_config_selectorIjEEZZNS1_9scan_implILNS1_25lookback_scan_determinismE0ELb1ELb1ES3_N6thrust23THRUST_200600_302600_NS6detail15normal_iteratorINS9_10device_ptrIjEEEENS9_16discard_iteratorINS9_11use_defaultEEEj11max_functorIjEjEEDaPvRmT3_T4_T5_mT6_P12ihipStream_tbENKUlT_T0_E_clISt17integral_constantIbLb0EESX_EEDaSS_ST_EUlSS_E_NS1_11comp_targetILNS1_3genE3ELNS1_11target_archE908ELNS1_3gpuE7ELNS1_3repE0EEENS1_30default_config_static_selectorELNS0_4arch9wavefront6targetE1EEEvT1_
	.globl	_ZN7rocprim17ROCPRIM_400000_NS6detail17trampoline_kernelINS0_14default_configENS1_20scan_config_selectorIjEEZZNS1_9scan_implILNS1_25lookback_scan_determinismE0ELb1ELb1ES3_N6thrust23THRUST_200600_302600_NS6detail15normal_iteratorINS9_10device_ptrIjEEEENS9_16discard_iteratorINS9_11use_defaultEEEj11max_functorIjEjEEDaPvRmT3_T4_T5_mT6_P12ihipStream_tbENKUlT_T0_E_clISt17integral_constantIbLb0EESX_EEDaSS_ST_EUlSS_E_NS1_11comp_targetILNS1_3genE3ELNS1_11target_archE908ELNS1_3gpuE7ELNS1_3repE0EEENS1_30default_config_static_selectorELNS0_4arch9wavefront6targetE1EEEvT1_
	.p2align	8
	.type	_ZN7rocprim17ROCPRIM_400000_NS6detail17trampoline_kernelINS0_14default_configENS1_20scan_config_selectorIjEEZZNS1_9scan_implILNS1_25lookback_scan_determinismE0ELb1ELb1ES3_N6thrust23THRUST_200600_302600_NS6detail15normal_iteratorINS9_10device_ptrIjEEEENS9_16discard_iteratorINS9_11use_defaultEEEj11max_functorIjEjEEDaPvRmT3_T4_T5_mT6_P12ihipStream_tbENKUlT_T0_E_clISt17integral_constantIbLb0EESX_EEDaSS_ST_EUlSS_E_NS1_11comp_targetILNS1_3genE3ELNS1_11target_archE908ELNS1_3gpuE7ELNS1_3repE0EEENS1_30default_config_static_selectorELNS0_4arch9wavefront6targetE1EEEvT1_,@function
_ZN7rocprim17ROCPRIM_400000_NS6detail17trampoline_kernelINS0_14default_configENS1_20scan_config_selectorIjEEZZNS1_9scan_implILNS1_25lookback_scan_determinismE0ELb1ELb1ES3_N6thrust23THRUST_200600_302600_NS6detail15normal_iteratorINS9_10device_ptrIjEEEENS9_16discard_iteratorINS9_11use_defaultEEEj11max_functorIjEjEEDaPvRmT3_T4_T5_mT6_P12ihipStream_tbENKUlT_T0_E_clISt17integral_constantIbLb0EESX_EEDaSS_ST_EUlSS_E_NS1_11comp_targetILNS1_3genE3ELNS1_11target_archE908ELNS1_3gpuE7ELNS1_3repE0EEENS1_30default_config_static_selectorELNS0_4arch9wavefront6targetE1EEEvT1_: ; @_ZN7rocprim17ROCPRIM_400000_NS6detail17trampoline_kernelINS0_14default_configENS1_20scan_config_selectorIjEEZZNS1_9scan_implILNS1_25lookback_scan_determinismE0ELb1ELb1ES3_N6thrust23THRUST_200600_302600_NS6detail15normal_iteratorINS9_10device_ptrIjEEEENS9_16discard_iteratorINS9_11use_defaultEEEj11max_functorIjEjEEDaPvRmT3_T4_T5_mT6_P12ihipStream_tbENKUlT_T0_E_clISt17integral_constantIbLb0EESX_EEDaSS_ST_EUlSS_E_NS1_11comp_targetILNS1_3genE3ELNS1_11target_archE908ELNS1_3gpuE7ELNS1_3repE0EEENS1_30default_config_static_selectorELNS0_4arch9wavefront6targetE1EEEvT1_
; %bb.0:
	.section	.rodata,"a",@progbits
	.p2align	6, 0x0
	.amdhsa_kernel _ZN7rocprim17ROCPRIM_400000_NS6detail17trampoline_kernelINS0_14default_configENS1_20scan_config_selectorIjEEZZNS1_9scan_implILNS1_25lookback_scan_determinismE0ELb1ELb1ES3_N6thrust23THRUST_200600_302600_NS6detail15normal_iteratorINS9_10device_ptrIjEEEENS9_16discard_iteratorINS9_11use_defaultEEEj11max_functorIjEjEEDaPvRmT3_T4_T5_mT6_P12ihipStream_tbENKUlT_T0_E_clISt17integral_constantIbLb0EESX_EEDaSS_ST_EUlSS_E_NS1_11comp_targetILNS1_3genE3ELNS1_11target_archE908ELNS1_3gpuE7ELNS1_3repE0EEENS1_30default_config_static_selectorELNS0_4arch9wavefront6targetE1EEEvT1_
		.amdhsa_group_segment_fixed_size 0
		.amdhsa_private_segment_fixed_size 0
		.amdhsa_kernarg_size 104
		.amdhsa_user_sgpr_count 6
		.amdhsa_user_sgpr_private_segment_buffer 1
		.amdhsa_user_sgpr_dispatch_ptr 0
		.amdhsa_user_sgpr_queue_ptr 0
		.amdhsa_user_sgpr_kernarg_segment_ptr 1
		.amdhsa_user_sgpr_dispatch_id 0
		.amdhsa_user_sgpr_flat_scratch_init 0
		.amdhsa_user_sgpr_kernarg_preload_length 0
		.amdhsa_user_sgpr_kernarg_preload_offset 0
		.amdhsa_user_sgpr_private_segment_size 0
		.amdhsa_uses_dynamic_stack 0
		.amdhsa_system_sgpr_private_segment_wavefront_offset 0
		.amdhsa_system_sgpr_workgroup_id_x 1
		.amdhsa_system_sgpr_workgroup_id_y 0
		.amdhsa_system_sgpr_workgroup_id_z 0
		.amdhsa_system_sgpr_workgroup_info 0
		.amdhsa_system_vgpr_workitem_id 0
		.amdhsa_next_free_vgpr 1
		.amdhsa_next_free_sgpr 0
		.amdhsa_accum_offset 4
		.amdhsa_reserve_vcc 0
		.amdhsa_reserve_flat_scratch 0
		.amdhsa_float_round_mode_32 0
		.amdhsa_float_round_mode_16_64 0
		.amdhsa_float_denorm_mode_32 3
		.amdhsa_float_denorm_mode_16_64 3
		.amdhsa_dx10_clamp 1
		.amdhsa_ieee_mode 1
		.amdhsa_fp16_overflow 0
		.amdhsa_tg_split 0
		.amdhsa_exception_fp_ieee_invalid_op 0
		.amdhsa_exception_fp_denorm_src 0
		.amdhsa_exception_fp_ieee_div_zero 0
		.amdhsa_exception_fp_ieee_overflow 0
		.amdhsa_exception_fp_ieee_underflow 0
		.amdhsa_exception_fp_ieee_inexact 0
		.amdhsa_exception_int_div_zero 0
	.end_amdhsa_kernel
	.section	.text._ZN7rocprim17ROCPRIM_400000_NS6detail17trampoline_kernelINS0_14default_configENS1_20scan_config_selectorIjEEZZNS1_9scan_implILNS1_25lookback_scan_determinismE0ELb1ELb1ES3_N6thrust23THRUST_200600_302600_NS6detail15normal_iteratorINS9_10device_ptrIjEEEENS9_16discard_iteratorINS9_11use_defaultEEEj11max_functorIjEjEEDaPvRmT3_T4_T5_mT6_P12ihipStream_tbENKUlT_T0_E_clISt17integral_constantIbLb0EESX_EEDaSS_ST_EUlSS_E_NS1_11comp_targetILNS1_3genE3ELNS1_11target_archE908ELNS1_3gpuE7ELNS1_3repE0EEENS1_30default_config_static_selectorELNS0_4arch9wavefront6targetE1EEEvT1_,"axG",@progbits,_ZN7rocprim17ROCPRIM_400000_NS6detail17trampoline_kernelINS0_14default_configENS1_20scan_config_selectorIjEEZZNS1_9scan_implILNS1_25lookback_scan_determinismE0ELb1ELb1ES3_N6thrust23THRUST_200600_302600_NS6detail15normal_iteratorINS9_10device_ptrIjEEEENS9_16discard_iteratorINS9_11use_defaultEEEj11max_functorIjEjEEDaPvRmT3_T4_T5_mT6_P12ihipStream_tbENKUlT_T0_E_clISt17integral_constantIbLb0EESX_EEDaSS_ST_EUlSS_E_NS1_11comp_targetILNS1_3genE3ELNS1_11target_archE908ELNS1_3gpuE7ELNS1_3repE0EEENS1_30default_config_static_selectorELNS0_4arch9wavefront6targetE1EEEvT1_,comdat
.Lfunc_end3497:
	.size	_ZN7rocprim17ROCPRIM_400000_NS6detail17trampoline_kernelINS0_14default_configENS1_20scan_config_selectorIjEEZZNS1_9scan_implILNS1_25lookback_scan_determinismE0ELb1ELb1ES3_N6thrust23THRUST_200600_302600_NS6detail15normal_iteratorINS9_10device_ptrIjEEEENS9_16discard_iteratorINS9_11use_defaultEEEj11max_functorIjEjEEDaPvRmT3_T4_T5_mT6_P12ihipStream_tbENKUlT_T0_E_clISt17integral_constantIbLb0EESX_EEDaSS_ST_EUlSS_E_NS1_11comp_targetILNS1_3genE3ELNS1_11target_archE908ELNS1_3gpuE7ELNS1_3repE0EEENS1_30default_config_static_selectorELNS0_4arch9wavefront6targetE1EEEvT1_, .Lfunc_end3497-_ZN7rocprim17ROCPRIM_400000_NS6detail17trampoline_kernelINS0_14default_configENS1_20scan_config_selectorIjEEZZNS1_9scan_implILNS1_25lookback_scan_determinismE0ELb1ELb1ES3_N6thrust23THRUST_200600_302600_NS6detail15normal_iteratorINS9_10device_ptrIjEEEENS9_16discard_iteratorINS9_11use_defaultEEEj11max_functorIjEjEEDaPvRmT3_T4_T5_mT6_P12ihipStream_tbENKUlT_T0_E_clISt17integral_constantIbLb0EESX_EEDaSS_ST_EUlSS_E_NS1_11comp_targetILNS1_3genE3ELNS1_11target_archE908ELNS1_3gpuE7ELNS1_3repE0EEENS1_30default_config_static_selectorELNS0_4arch9wavefront6targetE1EEEvT1_
                                        ; -- End function
	.section	.AMDGPU.csdata,"",@progbits
; Kernel info:
; codeLenInByte = 0
; NumSgprs: 4
; NumVgprs: 0
; NumAgprs: 0
; TotalNumVgprs: 0
; ScratchSize: 0
; MemoryBound: 0
; FloatMode: 240
; IeeeMode: 1
; LDSByteSize: 0 bytes/workgroup (compile time only)
; SGPRBlocks: 0
; VGPRBlocks: 0
; NumSGPRsForWavesPerEU: 4
; NumVGPRsForWavesPerEU: 1
; AccumOffset: 4
; Occupancy: 8
; WaveLimiterHint : 0
; COMPUTE_PGM_RSRC2:SCRATCH_EN: 0
; COMPUTE_PGM_RSRC2:USER_SGPR: 6
; COMPUTE_PGM_RSRC2:TRAP_HANDLER: 0
; COMPUTE_PGM_RSRC2:TGID_X_EN: 1
; COMPUTE_PGM_RSRC2:TGID_Y_EN: 0
; COMPUTE_PGM_RSRC2:TGID_Z_EN: 0
; COMPUTE_PGM_RSRC2:TIDIG_COMP_CNT: 0
; COMPUTE_PGM_RSRC3_GFX90A:ACCUM_OFFSET: 0
; COMPUTE_PGM_RSRC3_GFX90A:TG_SPLIT: 0
	.section	.text._ZN7rocprim17ROCPRIM_400000_NS6detail17trampoline_kernelINS0_14default_configENS1_20scan_config_selectorIjEEZZNS1_9scan_implILNS1_25lookback_scan_determinismE0ELb1ELb1ES3_N6thrust23THRUST_200600_302600_NS6detail15normal_iteratorINS9_10device_ptrIjEEEENS9_16discard_iteratorINS9_11use_defaultEEEj11max_functorIjEjEEDaPvRmT3_T4_T5_mT6_P12ihipStream_tbENKUlT_T0_E_clISt17integral_constantIbLb0EESX_EEDaSS_ST_EUlSS_E_NS1_11comp_targetILNS1_3genE2ELNS1_11target_archE906ELNS1_3gpuE6ELNS1_3repE0EEENS1_30default_config_static_selectorELNS0_4arch9wavefront6targetE1EEEvT1_,"axG",@progbits,_ZN7rocprim17ROCPRIM_400000_NS6detail17trampoline_kernelINS0_14default_configENS1_20scan_config_selectorIjEEZZNS1_9scan_implILNS1_25lookback_scan_determinismE0ELb1ELb1ES3_N6thrust23THRUST_200600_302600_NS6detail15normal_iteratorINS9_10device_ptrIjEEEENS9_16discard_iteratorINS9_11use_defaultEEEj11max_functorIjEjEEDaPvRmT3_T4_T5_mT6_P12ihipStream_tbENKUlT_T0_E_clISt17integral_constantIbLb0EESX_EEDaSS_ST_EUlSS_E_NS1_11comp_targetILNS1_3genE2ELNS1_11target_archE906ELNS1_3gpuE6ELNS1_3repE0EEENS1_30default_config_static_selectorELNS0_4arch9wavefront6targetE1EEEvT1_,comdat
	.protected	_ZN7rocprim17ROCPRIM_400000_NS6detail17trampoline_kernelINS0_14default_configENS1_20scan_config_selectorIjEEZZNS1_9scan_implILNS1_25lookback_scan_determinismE0ELb1ELb1ES3_N6thrust23THRUST_200600_302600_NS6detail15normal_iteratorINS9_10device_ptrIjEEEENS9_16discard_iteratorINS9_11use_defaultEEEj11max_functorIjEjEEDaPvRmT3_T4_T5_mT6_P12ihipStream_tbENKUlT_T0_E_clISt17integral_constantIbLb0EESX_EEDaSS_ST_EUlSS_E_NS1_11comp_targetILNS1_3genE2ELNS1_11target_archE906ELNS1_3gpuE6ELNS1_3repE0EEENS1_30default_config_static_selectorELNS0_4arch9wavefront6targetE1EEEvT1_ ; -- Begin function _ZN7rocprim17ROCPRIM_400000_NS6detail17trampoline_kernelINS0_14default_configENS1_20scan_config_selectorIjEEZZNS1_9scan_implILNS1_25lookback_scan_determinismE0ELb1ELb1ES3_N6thrust23THRUST_200600_302600_NS6detail15normal_iteratorINS9_10device_ptrIjEEEENS9_16discard_iteratorINS9_11use_defaultEEEj11max_functorIjEjEEDaPvRmT3_T4_T5_mT6_P12ihipStream_tbENKUlT_T0_E_clISt17integral_constantIbLb0EESX_EEDaSS_ST_EUlSS_E_NS1_11comp_targetILNS1_3genE2ELNS1_11target_archE906ELNS1_3gpuE6ELNS1_3repE0EEENS1_30default_config_static_selectorELNS0_4arch9wavefront6targetE1EEEvT1_
	.globl	_ZN7rocprim17ROCPRIM_400000_NS6detail17trampoline_kernelINS0_14default_configENS1_20scan_config_selectorIjEEZZNS1_9scan_implILNS1_25lookback_scan_determinismE0ELb1ELb1ES3_N6thrust23THRUST_200600_302600_NS6detail15normal_iteratorINS9_10device_ptrIjEEEENS9_16discard_iteratorINS9_11use_defaultEEEj11max_functorIjEjEEDaPvRmT3_T4_T5_mT6_P12ihipStream_tbENKUlT_T0_E_clISt17integral_constantIbLb0EESX_EEDaSS_ST_EUlSS_E_NS1_11comp_targetILNS1_3genE2ELNS1_11target_archE906ELNS1_3gpuE6ELNS1_3repE0EEENS1_30default_config_static_selectorELNS0_4arch9wavefront6targetE1EEEvT1_
	.p2align	8
	.type	_ZN7rocprim17ROCPRIM_400000_NS6detail17trampoline_kernelINS0_14default_configENS1_20scan_config_selectorIjEEZZNS1_9scan_implILNS1_25lookback_scan_determinismE0ELb1ELb1ES3_N6thrust23THRUST_200600_302600_NS6detail15normal_iteratorINS9_10device_ptrIjEEEENS9_16discard_iteratorINS9_11use_defaultEEEj11max_functorIjEjEEDaPvRmT3_T4_T5_mT6_P12ihipStream_tbENKUlT_T0_E_clISt17integral_constantIbLb0EESX_EEDaSS_ST_EUlSS_E_NS1_11comp_targetILNS1_3genE2ELNS1_11target_archE906ELNS1_3gpuE6ELNS1_3repE0EEENS1_30default_config_static_selectorELNS0_4arch9wavefront6targetE1EEEvT1_,@function
_ZN7rocprim17ROCPRIM_400000_NS6detail17trampoline_kernelINS0_14default_configENS1_20scan_config_selectorIjEEZZNS1_9scan_implILNS1_25lookback_scan_determinismE0ELb1ELb1ES3_N6thrust23THRUST_200600_302600_NS6detail15normal_iteratorINS9_10device_ptrIjEEEENS9_16discard_iteratorINS9_11use_defaultEEEj11max_functorIjEjEEDaPvRmT3_T4_T5_mT6_P12ihipStream_tbENKUlT_T0_E_clISt17integral_constantIbLb0EESX_EEDaSS_ST_EUlSS_E_NS1_11comp_targetILNS1_3genE2ELNS1_11target_archE906ELNS1_3gpuE6ELNS1_3repE0EEENS1_30default_config_static_selectorELNS0_4arch9wavefront6targetE1EEEvT1_: ; @_ZN7rocprim17ROCPRIM_400000_NS6detail17trampoline_kernelINS0_14default_configENS1_20scan_config_selectorIjEEZZNS1_9scan_implILNS1_25lookback_scan_determinismE0ELb1ELb1ES3_N6thrust23THRUST_200600_302600_NS6detail15normal_iteratorINS9_10device_ptrIjEEEENS9_16discard_iteratorINS9_11use_defaultEEEj11max_functorIjEjEEDaPvRmT3_T4_T5_mT6_P12ihipStream_tbENKUlT_T0_E_clISt17integral_constantIbLb0EESX_EEDaSS_ST_EUlSS_E_NS1_11comp_targetILNS1_3genE2ELNS1_11target_archE906ELNS1_3gpuE6ELNS1_3repE0EEENS1_30default_config_static_selectorELNS0_4arch9wavefront6targetE1EEEvT1_
; %bb.0:
	.section	.rodata,"a",@progbits
	.p2align	6, 0x0
	.amdhsa_kernel _ZN7rocprim17ROCPRIM_400000_NS6detail17trampoline_kernelINS0_14default_configENS1_20scan_config_selectorIjEEZZNS1_9scan_implILNS1_25lookback_scan_determinismE0ELb1ELb1ES3_N6thrust23THRUST_200600_302600_NS6detail15normal_iteratorINS9_10device_ptrIjEEEENS9_16discard_iteratorINS9_11use_defaultEEEj11max_functorIjEjEEDaPvRmT3_T4_T5_mT6_P12ihipStream_tbENKUlT_T0_E_clISt17integral_constantIbLb0EESX_EEDaSS_ST_EUlSS_E_NS1_11comp_targetILNS1_3genE2ELNS1_11target_archE906ELNS1_3gpuE6ELNS1_3repE0EEENS1_30default_config_static_selectorELNS0_4arch9wavefront6targetE1EEEvT1_
		.amdhsa_group_segment_fixed_size 0
		.amdhsa_private_segment_fixed_size 0
		.amdhsa_kernarg_size 104
		.amdhsa_user_sgpr_count 6
		.amdhsa_user_sgpr_private_segment_buffer 1
		.amdhsa_user_sgpr_dispatch_ptr 0
		.amdhsa_user_sgpr_queue_ptr 0
		.amdhsa_user_sgpr_kernarg_segment_ptr 1
		.amdhsa_user_sgpr_dispatch_id 0
		.amdhsa_user_sgpr_flat_scratch_init 0
		.amdhsa_user_sgpr_kernarg_preload_length 0
		.amdhsa_user_sgpr_kernarg_preload_offset 0
		.amdhsa_user_sgpr_private_segment_size 0
		.amdhsa_uses_dynamic_stack 0
		.amdhsa_system_sgpr_private_segment_wavefront_offset 0
		.amdhsa_system_sgpr_workgroup_id_x 1
		.amdhsa_system_sgpr_workgroup_id_y 0
		.amdhsa_system_sgpr_workgroup_id_z 0
		.amdhsa_system_sgpr_workgroup_info 0
		.amdhsa_system_vgpr_workitem_id 0
		.amdhsa_next_free_vgpr 1
		.amdhsa_next_free_sgpr 0
		.amdhsa_accum_offset 4
		.amdhsa_reserve_vcc 0
		.amdhsa_reserve_flat_scratch 0
		.amdhsa_float_round_mode_32 0
		.amdhsa_float_round_mode_16_64 0
		.amdhsa_float_denorm_mode_32 3
		.amdhsa_float_denorm_mode_16_64 3
		.amdhsa_dx10_clamp 1
		.amdhsa_ieee_mode 1
		.amdhsa_fp16_overflow 0
		.amdhsa_tg_split 0
		.amdhsa_exception_fp_ieee_invalid_op 0
		.amdhsa_exception_fp_denorm_src 0
		.amdhsa_exception_fp_ieee_div_zero 0
		.amdhsa_exception_fp_ieee_overflow 0
		.amdhsa_exception_fp_ieee_underflow 0
		.amdhsa_exception_fp_ieee_inexact 0
		.amdhsa_exception_int_div_zero 0
	.end_amdhsa_kernel
	.section	.text._ZN7rocprim17ROCPRIM_400000_NS6detail17trampoline_kernelINS0_14default_configENS1_20scan_config_selectorIjEEZZNS1_9scan_implILNS1_25lookback_scan_determinismE0ELb1ELb1ES3_N6thrust23THRUST_200600_302600_NS6detail15normal_iteratorINS9_10device_ptrIjEEEENS9_16discard_iteratorINS9_11use_defaultEEEj11max_functorIjEjEEDaPvRmT3_T4_T5_mT6_P12ihipStream_tbENKUlT_T0_E_clISt17integral_constantIbLb0EESX_EEDaSS_ST_EUlSS_E_NS1_11comp_targetILNS1_3genE2ELNS1_11target_archE906ELNS1_3gpuE6ELNS1_3repE0EEENS1_30default_config_static_selectorELNS0_4arch9wavefront6targetE1EEEvT1_,"axG",@progbits,_ZN7rocprim17ROCPRIM_400000_NS6detail17trampoline_kernelINS0_14default_configENS1_20scan_config_selectorIjEEZZNS1_9scan_implILNS1_25lookback_scan_determinismE0ELb1ELb1ES3_N6thrust23THRUST_200600_302600_NS6detail15normal_iteratorINS9_10device_ptrIjEEEENS9_16discard_iteratorINS9_11use_defaultEEEj11max_functorIjEjEEDaPvRmT3_T4_T5_mT6_P12ihipStream_tbENKUlT_T0_E_clISt17integral_constantIbLb0EESX_EEDaSS_ST_EUlSS_E_NS1_11comp_targetILNS1_3genE2ELNS1_11target_archE906ELNS1_3gpuE6ELNS1_3repE0EEENS1_30default_config_static_selectorELNS0_4arch9wavefront6targetE1EEEvT1_,comdat
.Lfunc_end3498:
	.size	_ZN7rocprim17ROCPRIM_400000_NS6detail17trampoline_kernelINS0_14default_configENS1_20scan_config_selectorIjEEZZNS1_9scan_implILNS1_25lookback_scan_determinismE0ELb1ELb1ES3_N6thrust23THRUST_200600_302600_NS6detail15normal_iteratorINS9_10device_ptrIjEEEENS9_16discard_iteratorINS9_11use_defaultEEEj11max_functorIjEjEEDaPvRmT3_T4_T5_mT6_P12ihipStream_tbENKUlT_T0_E_clISt17integral_constantIbLb0EESX_EEDaSS_ST_EUlSS_E_NS1_11comp_targetILNS1_3genE2ELNS1_11target_archE906ELNS1_3gpuE6ELNS1_3repE0EEENS1_30default_config_static_selectorELNS0_4arch9wavefront6targetE1EEEvT1_, .Lfunc_end3498-_ZN7rocprim17ROCPRIM_400000_NS6detail17trampoline_kernelINS0_14default_configENS1_20scan_config_selectorIjEEZZNS1_9scan_implILNS1_25lookback_scan_determinismE0ELb1ELb1ES3_N6thrust23THRUST_200600_302600_NS6detail15normal_iteratorINS9_10device_ptrIjEEEENS9_16discard_iteratorINS9_11use_defaultEEEj11max_functorIjEjEEDaPvRmT3_T4_T5_mT6_P12ihipStream_tbENKUlT_T0_E_clISt17integral_constantIbLb0EESX_EEDaSS_ST_EUlSS_E_NS1_11comp_targetILNS1_3genE2ELNS1_11target_archE906ELNS1_3gpuE6ELNS1_3repE0EEENS1_30default_config_static_selectorELNS0_4arch9wavefront6targetE1EEEvT1_
                                        ; -- End function
	.section	.AMDGPU.csdata,"",@progbits
; Kernel info:
; codeLenInByte = 0
; NumSgprs: 4
; NumVgprs: 0
; NumAgprs: 0
; TotalNumVgprs: 0
; ScratchSize: 0
; MemoryBound: 0
; FloatMode: 240
; IeeeMode: 1
; LDSByteSize: 0 bytes/workgroup (compile time only)
; SGPRBlocks: 0
; VGPRBlocks: 0
; NumSGPRsForWavesPerEU: 4
; NumVGPRsForWavesPerEU: 1
; AccumOffset: 4
; Occupancy: 8
; WaveLimiterHint : 0
; COMPUTE_PGM_RSRC2:SCRATCH_EN: 0
; COMPUTE_PGM_RSRC2:USER_SGPR: 6
; COMPUTE_PGM_RSRC2:TRAP_HANDLER: 0
; COMPUTE_PGM_RSRC2:TGID_X_EN: 1
; COMPUTE_PGM_RSRC2:TGID_Y_EN: 0
; COMPUTE_PGM_RSRC2:TGID_Z_EN: 0
; COMPUTE_PGM_RSRC2:TIDIG_COMP_CNT: 0
; COMPUTE_PGM_RSRC3_GFX90A:ACCUM_OFFSET: 0
; COMPUTE_PGM_RSRC3_GFX90A:TG_SPLIT: 0
	.section	.text._ZN7rocprim17ROCPRIM_400000_NS6detail17trampoline_kernelINS0_14default_configENS1_20scan_config_selectorIjEEZZNS1_9scan_implILNS1_25lookback_scan_determinismE0ELb1ELb1ES3_N6thrust23THRUST_200600_302600_NS6detail15normal_iteratorINS9_10device_ptrIjEEEENS9_16discard_iteratorINS9_11use_defaultEEEj11max_functorIjEjEEDaPvRmT3_T4_T5_mT6_P12ihipStream_tbENKUlT_T0_E_clISt17integral_constantIbLb0EESX_EEDaSS_ST_EUlSS_E_NS1_11comp_targetILNS1_3genE10ELNS1_11target_archE1201ELNS1_3gpuE5ELNS1_3repE0EEENS1_30default_config_static_selectorELNS0_4arch9wavefront6targetE1EEEvT1_,"axG",@progbits,_ZN7rocprim17ROCPRIM_400000_NS6detail17trampoline_kernelINS0_14default_configENS1_20scan_config_selectorIjEEZZNS1_9scan_implILNS1_25lookback_scan_determinismE0ELb1ELb1ES3_N6thrust23THRUST_200600_302600_NS6detail15normal_iteratorINS9_10device_ptrIjEEEENS9_16discard_iteratorINS9_11use_defaultEEEj11max_functorIjEjEEDaPvRmT3_T4_T5_mT6_P12ihipStream_tbENKUlT_T0_E_clISt17integral_constantIbLb0EESX_EEDaSS_ST_EUlSS_E_NS1_11comp_targetILNS1_3genE10ELNS1_11target_archE1201ELNS1_3gpuE5ELNS1_3repE0EEENS1_30default_config_static_selectorELNS0_4arch9wavefront6targetE1EEEvT1_,comdat
	.protected	_ZN7rocprim17ROCPRIM_400000_NS6detail17trampoline_kernelINS0_14default_configENS1_20scan_config_selectorIjEEZZNS1_9scan_implILNS1_25lookback_scan_determinismE0ELb1ELb1ES3_N6thrust23THRUST_200600_302600_NS6detail15normal_iteratorINS9_10device_ptrIjEEEENS9_16discard_iteratorINS9_11use_defaultEEEj11max_functorIjEjEEDaPvRmT3_T4_T5_mT6_P12ihipStream_tbENKUlT_T0_E_clISt17integral_constantIbLb0EESX_EEDaSS_ST_EUlSS_E_NS1_11comp_targetILNS1_3genE10ELNS1_11target_archE1201ELNS1_3gpuE5ELNS1_3repE0EEENS1_30default_config_static_selectorELNS0_4arch9wavefront6targetE1EEEvT1_ ; -- Begin function _ZN7rocprim17ROCPRIM_400000_NS6detail17trampoline_kernelINS0_14default_configENS1_20scan_config_selectorIjEEZZNS1_9scan_implILNS1_25lookback_scan_determinismE0ELb1ELb1ES3_N6thrust23THRUST_200600_302600_NS6detail15normal_iteratorINS9_10device_ptrIjEEEENS9_16discard_iteratorINS9_11use_defaultEEEj11max_functorIjEjEEDaPvRmT3_T4_T5_mT6_P12ihipStream_tbENKUlT_T0_E_clISt17integral_constantIbLb0EESX_EEDaSS_ST_EUlSS_E_NS1_11comp_targetILNS1_3genE10ELNS1_11target_archE1201ELNS1_3gpuE5ELNS1_3repE0EEENS1_30default_config_static_selectorELNS0_4arch9wavefront6targetE1EEEvT1_
	.globl	_ZN7rocprim17ROCPRIM_400000_NS6detail17trampoline_kernelINS0_14default_configENS1_20scan_config_selectorIjEEZZNS1_9scan_implILNS1_25lookback_scan_determinismE0ELb1ELb1ES3_N6thrust23THRUST_200600_302600_NS6detail15normal_iteratorINS9_10device_ptrIjEEEENS9_16discard_iteratorINS9_11use_defaultEEEj11max_functorIjEjEEDaPvRmT3_T4_T5_mT6_P12ihipStream_tbENKUlT_T0_E_clISt17integral_constantIbLb0EESX_EEDaSS_ST_EUlSS_E_NS1_11comp_targetILNS1_3genE10ELNS1_11target_archE1201ELNS1_3gpuE5ELNS1_3repE0EEENS1_30default_config_static_selectorELNS0_4arch9wavefront6targetE1EEEvT1_
	.p2align	8
	.type	_ZN7rocprim17ROCPRIM_400000_NS6detail17trampoline_kernelINS0_14default_configENS1_20scan_config_selectorIjEEZZNS1_9scan_implILNS1_25lookback_scan_determinismE0ELb1ELb1ES3_N6thrust23THRUST_200600_302600_NS6detail15normal_iteratorINS9_10device_ptrIjEEEENS9_16discard_iteratorINS9_11use_defaultEEEj11max_functorIjEjEEDaPvRmT3_T4_T5_mT6_P12ihipStream_tbENKUlT_T0_E_clISt17integral_constantIbLb0EESX_EEDaSS_ST_EUlSS_E_NS1_11comp_targetILNS1_3genE10ELNS1_11target_archE1201ELNS1_3gpuE5ELNS1_3repE0EEENS1_30default_config_static_selectorELNS0_4arch9wavefront6targetE1EEEvT1_,@function
_ZN7rocprim17ROCPRIM_400000_NS6detail17trampoline_kernelINS0_14default_configENS1_20scan_config_selectorIjEEZZNS1_9scan_implILNS1_25lookback_scan_determinismE0ELb1ELb1ES3_N6thrust23THRUST_200600_302600_NS6detail15normal_iteratorINS9_10device_ptrIjEEEENS9_16discard_iteratorINS9_11use_defaultEEEj11max_functorIjEjEEDaPvRmT3_T4_T5_mT6_P12ihipStream_tbENKUlT_T0_E_clISt17integral_constantIbLb0EESX_EEDaSS_ST_EUlSS_E_NS1_11comp_targetILNS1_3genE10ELNS1_11target_archE1201ELNS1_3gpuE5ELNS1_3repE0EEENS1_30default_config_static_selectorELNS0_4arch9wavefront6targetE1EEEvT1_: ; @_ZN7rocprim17ROCPRIM_400000_NS6detail17trampoline_kernelINS0_14default_configENS1_20scan_config_selectorIjEEZZNS1_9scan_implILNS1_25lookback_scan_determinismE0ELb1ELb1ES3_N6thrust23THRUST_200600_302600_NS6detail15normal_iteratorINS9_10device_ptrIjEEEENS9_16discard_iteratorINS9_11use_defaultEEEj11max_functorIjEjEEDaPvRmT3_T4_T5_mT6_P12ihipStream_tbENKUlT_T0_E_clISt17integral_constantIbLb0EESX_EEDaSS_ST_EUlSS_E_NS1_11comp_targetILNS1_3genE10ELNS1_11target_archE1201ELNS1_3gpuE5ELNS1_3repE0EEENS1_30default_config_static_selectorELNS0_4arch9wavefront6targetE1EEEvT1_
; %bb.0:
	.section	.rodata,"a",@progbits
	.p2align	6, 0x0
	.amdhsa_kernel _ZN7rocprim17ROCPRIM_400000_NS6detail17trampoline_kernelINS0_14default_configENS1_20scan_config_selectorIjEEZZNS1_9scan_implILNS1_25lookback_scan_determinismE0ELb1ELb1ES3_N6thrust23THRUST_200600_302600_NS6detail15normal_iteratorINS9_10device_ptrIjEEEENS9_16discard_iteratorINS9_11use_defaultEEEj11max_functorIjEjEEDaPvRmT3_T4_T5_mT6_P12ihipStream_tbENKUlT_T0_E_clISt17integral_constantIbLb0EESX_EEDaSS_ST_EUlSS_E_NS1_11comp_targetILNS1_3genE10ELNS1_11target_archE1201ELNS1_3gpuE5ELNS1_3repE0EEENS1_30default_config_static_selectorELNS0_4arch9wavefront6targetE1EEEvT1_
		.amdhsa_group_segment_fixed_size 0
		.amdhsa_private_segment_fixed_size 0
		.amdhsa_kernarg_size 104
		.amdhsa_user_sgpr_count 6
		.amdhsa_user_sgpr_private_segment_buffer 1
		.amdhsa_user_sgpr_dispatch_ptr 0
		.amdhsa_user_sgpr_queue_ptr 0
		.amdhsa_user_sgpr_kernarg_segment_ptr 1
		.amdhsa_user_sgpr_dispatch_id 0
		.amdhsa_user_sgpr_flat_scratch_init 0
		.amdhsa_user_sgpr_kernarg_preload_length 0
		.amdhsa_user_sgpr_kernarg_preload_offset 0
		.amdhsa_user_sgpr_private_segment_size 0
		.amdhsa_uses_dynamic_stack 0
		.amdhsa_system_sgpr_private_segment_wavefront_offset 0
		.amdhsa_system_sgpr_workgroup_id_x 1
		.amdhsa_system_sgpr_workgroup_id_y 0
		.amdhsa_system_sgpr_workgroup_id_z 0
		.amdhsa_system_sgpr_workgroup_info 0
		.amdhsa_system_vgpr_workitem_id 0
		.amdhsa_next_free_vgpr 1
		.amdhsa_next_free_sgpr 0
		.amdhsa_accum_offset 4
		.amdhsa_reserve_vcc 0
		.amdhsa_reserve_flat_scratch 0
		.amdhsa_float_round_mode_32 0
		.amdhsa_float_round_mode_16_64 0
		.amdhsa_float_denorm_mode_32 3
		.amdhsa_float_denorm_mode_16_64 3
		.amdhsa_dx10_clamp 1
		.amdhsa_ieee_mode 1
		.amdhsa_fp16_overflow 0
		.amdhsa_tg_split 0
		.amdhsa_exception_fp_ieee_invalid_op 0
		.amdhsa_exception_fp_denorm_src 0
		.amdhsa_exception_fp_ieee_div_zero 0
		.amdhsa_exception_fp_ieee_overflow 0
		.amdhsa_exception_fp_ieee_underflow 0
		.amdhsa_exception_fp_ieee_inexact 0
		.amdhsa_exception_int_div_zero 0
	.end_amdhsa_kernel
	.section	.text._ZN7rocprim17ROCPRIM_400000_NS6detail17trampoline_kernelINS0_14default_configENS1_20scan_config_selectorIjEEZZNS1_9scan_implILNS1_25lookback_scan_determinismE0ELb1ELb1ES3_N6thrust23THRUST_200600_302600_NS6detail15normal_iteratorINS9_10device_ptrIjEEEENS9_16discard_iteratorINS9_11use_defaultEEEj11max_functorIjEjEEDaPvRmT3_T4_T5_mT6_P12ihipStream_tbENKUlT_T0_E_clISt17integral_constantIbLb0EESX_EEDaSS_ST_EUlSS_E_NS1_11comp_targetILNS1_3genE10ELNS1_11target_archE1201ELNS1_3gpuE5ELNS1_3repE0EEENS1_30default_config_static_selectorELNS0_4arch9wavefront6targetE1EEEvT1_,"axG",@progbits,_ZN7rocprim17ROCPRIM_400000_NS6detail17trampoline_kernelINS0_14default_configENS1_20scan_config_selectorIjEEZZNS1_9scan_implILNS1_25lookback_scan_determinismE0ELb1ELb1ES3_N6thrust23THRUST_200600_302600_NS6detail15normal_iteratorINS9_10device_ptrIjEEEENS9_16discard_iteratorINS9_11use_defaultEEEj11max_functorIjEjEEDaPvRmT3_T4_T5_mT6_P12ihipStream_tbENKUlT_T0_E_clISt17integral_constantIbLb0EESX_EEDaSS_ST_EUlSS_E_NS1_11comp_targetILNS1_3genE10ELNS1_11target_archE1201ELNS1_3gpuE5ELNS1_3repE0EEENS1_30default_config_static_selectorELNS0_4arch9wavefront6targetE1EEEvT1_,comdat
.Lfunc_end3499:
	.size	_ZN7rocprim17ROCPRIM_400000_NS6detail17trampoline_kernelINS0_14default_configENS1_20scan_config_selectorIjEEZZNS1_9scan_implILNS1_25lookback_scan_determinismE0ELb1ELb1ES3_N6thrust23THRUST_200600_302600_NS6detail15normal_iteratorINS9_10device_ptrIjEEEENS9_16discard_iteratorINS9_11use_defaultEEEj11max_functorIjEjEEDaPvRmT3_T4_T5_mT6_P12ihipStream_tbENKUlT_T0_E_clISt17integral_constantIbLb0EESX_EEDaSS_ST_EUlSS_E_NS1_11comp_targetILNS1_3genE10ELNS1_11target_archE1201ELNS1_3gpuE5ELNS1_3repE0EEENS1_30default_config_static_selectorELNS0_4arch9wavefront6targetE1EEEvT1_, .Lfunc_end3499-_ZN7rocprim17ROCPRIM_400000_NS6detail17trampoline_kernelINS0_14default_configENS1_20scan_config_selectorIjEEZZNS1_9scan_implILNS1_25lookback_scan_determinismE0ELb1ELb1ES3_N6thrust23THRUST_200600_302600_NS6detail15normal_iteratorINS9_10device_ptrIjEEEENS9_16discard_iteratorINS9_11use_defaultEEEj11max_functorIjEjEEDaPvRmT3_T4_T5_mT6_P12ihipStream_tbENKUlT_T0_E_clISt17integral_constantIbLb0EESX_EEDaSS_ST_EUlSS_E_NS1_11comp_targetILNS1_3genE10ELNS1_11target_archE1201ELNS1_3gpuE5ELNS1_3repE0EEENS1_30default_config_static_selectorELNS0_4arch9wavefront6targetE1EEEvT1_
                                        ; -- End function
	.section	.AMDGPU.csdata,"",@progbits
; Kernel info:
; codeLenInByte = 0
; NumSgprs: 4
; NumVgprs: 0
; NumAgprs: 0
; TotalNumVgprs: 0
; ScratchSize: 0
; MemoryBound: 0
; FloatMode: 240
; IeeeMode: 1
; LDSByteSize: 0 bytes/workgroup (compile time only)
; SGPRBlocks: 0
; VGPRBlocks: 0
; NumSGPRsForWavesPerEU: 4
; NumVGPRsForWavesPerEU: 1
; AccumOffset: 4
; Occupancy: 8
; WaveLimiterHint : 0
; COMPUTE_PGM_RSRC2:SCRATCH_EN: 0
; COMPUTE_PGM_RSRC2:USER_SGPR: 6
; COMPUTE_PGM_RSRC2:TRAP_HANDLER: 0
; COMPUTE_PGM_RSRC2:TGID_X_EN: 1
; COMPUTE_PGM_RSRC2:TGID_Y_EN: 0
; COMPUTE_PGM_RSRC2:TGID_Z_EN: 0
; COMPUTE_PGM_RSRC2:TIDIG_COMP_CNT: 0
; COMPUTE_PGM_RSRC3_GFX90A:ACCUM_OFFSET: 0
; COMPUTE_PGM_RSRC3_GFX90A:TG_SPLIT: 0
	.section	.text._ZN7rocprim17ROCPRIM_400000_NS6detail17trampoline_kernelINS0_14default_configENS1_20scan_config_selectorIjEEZZNS1_9scan_implILNS1_25lookback_scan_determinismE0ELb1ELb1ES3_N6thrust23THRUST_200600_302600_NS6detail15normal_iteratorINS9_10device_ptrIjEEEENS9_16discard_iteratorINS9_11use_defaultEEEj11max_functorIjEjEEDaPvRmT3_T4_T5_mT6_P12ihipStream_tbENKUlT_T0_E_clISt17integral_constantIbLb0EESX_EEDaSS_ST_EUlSS_E_NS1_11comp_targetILNS1_3genE10ELNS1_11target_archE1200ELNS1_3gpuE4ELNS1_3repE0EEENS1_30default_config_static_selectorELNS0_4arch9wavefront6targetE1EEEvT1_,"axG",@progbits,_ZN7rocprim17ROCPRIM_400000_NS6detail17trampoline_kernelINS0_14default_configENS1_20scan_config_selectorIjEEZZNS1_9scan_implILNS1_25lookback_scan_determinismE0ELb1ELb1ES3_N6thrust23THRUST_200600_302600_NS6detail15normal_iteratorINS9_10device_ptrIjEEEENS9_16discard_iteratorINS9_11use_defaultEEEj11max_functorIjEjEEDaPvRmT3_T4_T5_mT6_P12ihipStream_tbENKUlT_T0_E_clISt17integral_constantIbLb0EESX_EEDaSS_ST_EUlSS_E_NS1_11comp_targetILNS1_3genE10ELNS1_11target_archE1200ELNS1_3gpuE4ELNS1_3repE0EEENS1_30default_config_static_selectorELNS0_4arch9wavefront6targetE1EEEvT1_,comdat
	.protected	_ZN7rocprim17ROCPRIM_400000_NS6detail17trampoline_kernelINS0_14default_configENS1_20scan_config_selectorIjEEZZNS1_9scan_implILNS1_25lookback_scan_determinismE0ELb1ELb1ES3_N6thrust23THRUST_200600_302600_NS6detail15normal_iteratorINS9_10device_ptrIjEEEENS9_16discard_iteratorINS9_11use_defaultEEEj11max_functorIjEjEEDaPvRmT3_T4_T5_mT6_P12ihipStream_tbENKUlT_T0_E_clISt17integral_constantIbLb0EESX_EEDaSS_ST_EUlSS_E_NS1_11comp_targetILNS1_3genE10ELNS1_11target_archE1200ELNS1_3gpuE4ELNS1_3repE0EEENS1_30default_config_static_selectorELNS0_4arch9wavefront6targetE1EEEvT1_ ; -- Begin function _ZN7rocprim17ROCPRIM_400000_NS6detail17trampoline_kernelINS0_14default_configENS1_20scan_config_selectorIjEEZZNS1_9scan_implILNS1_25lookback_scan_determinismE0ELb1ELb1ES3_N6thrust23THRUST_200600_302600_NS6detail15normal_iteratorINS9_10device_ptrIjEEEENS9_16discard_iteratorINS9_11use_defaultEEEj11max_functorIjEjEEDaPvRmT3_T4_T5_mT6_P12ihipStream_tbENKUlT_T0_E_clISt17integral_constantIbLb0EESX_EEDaSS_ST_EUlSS_E_NS1_11comp_targetILNS1_3genE10ELNS1_11target_archE1200ELNS1_3gpuE4ELNS1_3repE0EEENS1_30default_config_static_selectorELNS0_4arch9wavefront6targetE1EEEvT1_
	.globl	_ZN7rocprim17ROCPRIM_400000_NS6detail17trampoline_kernelINS0_14default_configENS1_20scan_config_selectorIjEEZZNS1_9scan_implILNS1_25lookback_scan_determinismE0ELb1ELb1ES3_N6thrust23THRUST_200600_302600_NS6detail15normal_iteratorINS9_10device_ptrIjEEEENS9_16discard_iteratorINS9_11use_defaultEEEj11max_functorIjEjEEDaPvRmT3_T4_T5_mT6_P12ihipStream_tbENKUlT_T0_E_clISt17integral_constantIbLb0EESX_EEDaSS_ST_EUlSS_E_NS1_11comp_targetILNS1_3genE10ELNS1_11target_archE1200ELNS1_3gpuE4ELNS1_3repE0EEENS1_30default_config_static_selectorELNS0_4arch9wavefront6targetE1EEEvT1_
	.p2align	8
	.type	_ZN7rocprim17ROCPRIM_400000_NS6detail17trampoline_kernelINS0_14default_configENS1_20scan_config_selectorIjEEZZNS1_9scan_implILNS1_25lookback_scan_determinismE0ELb1ELb1ES3_N6thrust23THRUST_200600_302600_NS6detail15normal_iteratorINS9_10device_ptrIjEEEENS9_16discard_iteratorINS9_11use_defaultEEEj11max_functorIjEjEEDaPvRmT3_T4_T5_mT6_P12ihipStream_tbENKUlT_T0_E_clISt17integral_constantIbLb0EESX_EEDaSS_ST_EUlSS_E_NS1_11comp_targetILNS1_3genE10ELNS1_11target_archE1200ELNS1_3gpuE4ELNS1_3repE0EEENS1_30default_config_static_selectorELNS0_4arch9wavefront6targetE1EEEvT1_,@function
_ZN7rocprim17ROCPRIM_400000_NS6detail17trampoline_kernelINS0_14default_configENS1_20scan_config_selectorIjEEZZNS1_9scan_implILNS1_25lookback_scan_determinismE0ELb1ELb1ES3_N6thrust23THRUST_200600_302600_NS6detail15normal_iteratorINS9_10device_ptrIjEEEENS9_16discard_iteratorINS9_11use_defaultEEEj11max_functorIjEjEEDaPvRmT3_T4_T5_mT6_P12ihipStream_tbENKUlT_T0_E_clISt17integral_constantIbLb0EESX_EEDaSS_ST_EUlSS_E_NS1_11comp_targetILNS1_3genE10ELNS1_11target_archE1200ELNS1_3gpuE4ELNS1_3repE0EEENS1_30default_config_static_selectorELNS0_4arch9wavefront6targetE1EEEvT1_: ; @_ZN7rocprim17ROCPRIM_400000_NS6detail17trampoline_kernelINS0_14default_configENS1_20scan_config_selectorIjEEZZNS1_9scan_implILNS1_25lookback_scan_determinismE0ELb1ELb1ES3_N6thrust23THRUST_200600_302600_NS6detail15normal_iteratorINS9_10device_ptrIjEEEENS9_16discard_iteratorINS9_11use_defaultEEEj11max_functorIjEjEEDaPvRmT3_T4_T5_mT6_P12ihipStream_tbENKUlT_T0_E_clISt17integral_constantIbLb0EESX_EEDaSS_ST_EUlSS_E_NS1_11comp_targetILNS1_3genE10ELNS1_11target_archE1200ELNS1_3gpuE4ELNS1_3repE0EEENS1_30default_config_static_selectorELNS0_4arch9wavefront6targetE1EEEvT1_
; %bb.0:
	.section	.rodata,"a",@progbits
	.p2align	6, 0x0
	.amdhsa_kernel _ZN7rocprim17ROCPRIM_400000_NS6detail17trampoline_kernelINS0_14default_configENS1_20scan_config_selectorIjEEZZNS1_9scan_implILNS1_25lookback_scan_determinismE0ELb1ELb1ES3_N6thrust23THRUST_200600_302600_NS6detail15normal_iteratorINS9_10device_ptrIjEEEENS9_16discard_iteratorINS9_11use_defaultEEEj11max_functorIjEjEEDaPvRmT3_T4_T5_mT6_P12ihipStream_tbENKUlT_T0_E_clISt17integral_constantIbLb0EESX_EEDaSS_ST_EUlSS_E_NS1_11comp_targetILNS1_3genE10ELNS1_11target_archE1200ELNS1_3gpuE4ELNS1_3repE0EEENS1_30default_config_static_selectorELNS0_4arch9wavefront6targetE1EEEvT1_
		.amdhsa_group_segment_fixed_size 0
		.amdhsa_private_segment_fixed_size 0
		.amdhsa_kernarg_size 104
		.amdhsa_user_sgpr_count 6
		.amdhsa_user_sgpr_private_segment_buffer 1
		.amdhsa_user_sgpr_dispatch_ptr 0
		.amdhsa_user_sgpr_queue_ptr 0
		.amdhsa_user_sgpr_kernarg_segment_ptr 1
		.amdhsa_user_sgpr_dispatch_id 0
		.amdhsa_user_sgpr_flat_scratch_init 0
		.amdhsa_user_sgpr_kernarg_preload_length 0
		.amdhsa_user_sgpr_kernarg_preload_offset 0
		.amdhsa_user_sgpr_private_segment_size 0
		.amdhsa_uses_dynamic_stack 0
		.amdhsa_system_sgpr_private_segment_wavefront_offset 0
		.amdhsa_system_sgpr_workgroup_id_x 1
		.amdhsa_system_sgpr_workgroup_id_y 0
		.amdhsa_system_sgpr_workgroup_id_z 0
		.amdhsa_system_sgpr_workgroup_info 0
		.amdhsa_system_vgpr_workitem_id 0
		.amdhsa_next_free_vgpr 1
		.amdhsa_next_free_sgpr 0
		.amdhsa_accum_offset 4
		.amdhsa_reserve_vcc 0
		.amdhsa_reserve_flat_scratch 0
		.amdhsa_float_round_mode_32 0
		.amdhsa_float_round_mode_16_64 0
		.amdhsa_float_denorm_mode_32 3
		.amdhsa_float_denorm_mode_16_64 3
		.amdhsa_dx10_clamp 1
		.amdhsa_ieee_mode 1
		.amdhsa_fp16_overflow 0
		.amdhsa_tg_split 0
		.amdhsa_exception_fp_ieee_invalid_op 0
		.amdhsa_exception_fp_denorm_src 0
		.amdhsa_exception_fp_ieee_div_zero 0
		.amdhsa_exception_fp_ieee_overflow 0
		.amdhsa_exception_fp_ieee_underflow 0
		.amdhsa_exception_fp_ieee_inexact 0
		.amdhsa_exception_int_div_zero 0
	.end_amdhsa_kernel
	.section	.text._ZN7rocprim17ROCPRIM_400000_NS6detail17trampoline_kernelINS0_14default_configENS1_20scan_config_selectorIjEEZZNS1_9scan_implILNS1_25lookback_scan_determinismE0ELb1ELb1ES3_N6thrust23THRUST_200600_302600_NS6detail15normal_iteratorINS9_10device_ptrIjEEEENS9_16discard_iteratorINS9_11use_defaultEEEj11max_functorIjEjEEDaPvRmT3_T4_T5_mT6_P12ihipStream_tbENKUlT_T0_E_clISt17integral_constantIbLb0EESX_EEDaSS_ST_EUlSS_E_NS1_11comp_targetILNS1_3genE10ELNS1_11target_archE1200ELNS1_3gpuE4ELNS1_3repE0EEENS1_30default_config_static_selectorELNS0_4arch9wavefront6targetE1EEEvT1_,"axG",@progbits,_ZN7rocprim17ROCPRIM_400000_NS6detail17trampoline_kernelINS0_14default_configENS1_20scan_config_selectorIjEEZZNS1_9scan_implILNS1_25lookback_scan_determinismE0ELb1ELb1ES3_N6thrust23THRUST_200600_302600_NS6detail15normal_iteratorINS9_10device_ptrIjEEEENS9_16discard_iteratorINS9_11use_defaultEEEj11max_functorIjEjEEDaPvRmT3_T4_T5_mT6_P12ihipStream_tbENKUlT_T0_E_clISt17integral_constantIbLb0EESX_EEDaSS_ST_EUlSS_E_NS1_11comp_targetILNS1_3genE10ELNS1_11target_archE1200ELNS1_3gpuE4ELNS1_3repE0EEENS1_30default_config_static_selectorELNS0_4arch9wavefront6targetE1EEEvT1_,comdat
.Lfunc_end3500:
	.size	_ZN7rocprim17ROCPRIM_400000_NS6detail17trampoline_kernelINS0_14default_configENS1_20scan_config_selectorIjEEZZNS1_9scan_implILNS1_25lookback_scan_determinismE0ELb1ELb1ES3_N6thrust23THRUST_200600_302600_NS6detail15normal_iteratorINS9_10device_ptrIjEEEENS9_16discard_iteratorINS9_11use_defaultEEEj11max_functorIjEjEEDaPvRmT3_T4_T5_mT6_P12ihipStream_tbENKUlT_T0_E_clISt17integral_constantIbLb0EESX_EEDaSS_ST_EUlSS_E_NS1_11comp_targetILNS1_3genE10ELNS1_11target_archE1200ELNS1_3gpuE4ELNS1_3repE0EEENS1_30default_config_static_selectorELNS0_4arch9wavefront6targetE1EEEvT1_, .Lfunc_end3500-_ZN7rocprim17ROCPRIM_400000_NS6detail17trampoline_kernelINS0_14default_configENS1_20scan_config_selectorIjEEZZNS1_9scan_implILNS1_25lookback_scan_determinismE0ELb1ELb1ES3_N6thrust23THRUST_200600_302600_NS6detail15normal_iteratorINS9_10device_ptrIjEEEENS9_16discard_iteratorINS9_11use_defaultEEEj11max_functorIjEjEEDaPvRmT3_T4_T5_mT6_P12ihipStream_tbENKUlT_T0_E_clISt17integral_constantIbLb0EESX_EEDaSS_ST_EUlSS_E_NS1_11comp_targetILNS1_3genE10ELNS1_11target_archE1200ELNS1_3gpuE4ELNS1_3repE0EEENS1_30default_config_static_selectorELNS0_4arch9wavefront6targetE1EEEvT1_
                                        ; -- End function
	.section	.AMDGPU.csdata,"",@progbits
; Kernel info:
; codeLenInByte = 0
; NumSgprs: 4
; NumVgprs: 0
; NumAgprs: 0
; TotalNumVgprs: 0
; ScratchSize: 0
; MemoryBound: 0
; FloatMode: 240
; IeeeMode: 1
; LDSByteSize: 0 bytes/workgroup (compile time only)
; SGPRBlocks: 0
; VGPRBlocks: 0
; NumSGPRsForWavesPerEU: 4
; NumVGPRsForWavesPerEU: 1
; AccumOffset: 4
; Occupancy: 8
; WaveLimiterHint : 0
; COMPUTE_PGM_RSRC2:SCRATCH_EN: 0
; COMPUTE_PGM_RSRC2:USER_SGPR: 6
; COMPUTE_PGM_RSRC2:TRAP_HANDLER: 0
; COMPUTE_PGM_RSRC2:TGID_X_EN: 1
; COMPUTE_PGM_RSRC2:TGID_Y_EN: 0
; COMPUTE_PGM_RSRC2:TGID_Z_EN: 0
; COMPUTE_PGM_RSRC2:TIDIG_COMP_CNT: 0
; COMPUTE_PGM_RSRC3_GFX90A:ACCUM_OFFSET: 0
; COMPUTE_PGM_RSRC3_GFX90A:TG_SPLIT: 0
	.section	.text._ZN7rocprim17ROCPRIM_400000_NS6detail17trampoline_kernelINS0_14default_configENS1_20scan_config_selectorIjEEZZNS1_9scan_implILNS1_25lookback_scan_determinismE0ELb1ELb1ES3_N6thrust23THRUST_200600_302600_NS6detail15normal_iteratorINS9_10device_ptrIjEEEENS9_16discard_iteratorINS9_11use_defaultEEEj11max_functorIjEjEEDaPvRmT3_T4_T5_mT6_P12ihipStream_tbENKUlT_T0_E_clISt17integral_constantIbLb0EESX_EEDaSS_ST_EUlSS_E_NS1_11comp_targetILNS1_3genE9ELNS1_11target_archE1100ELNS1_3gpuE3ELNS1_3repE0EEENS1_30default_config_static_selectorELNS0_4arch9wavefront6targetE1EEEvT1_,"axG",@progbits,_ZN7rocprim17ROCPRIM_400000_NS6detail17trampoline_kernelINS0_14default_configENS1_20scan_config_selectorIjEEZZNS1_9scan_implILNS1_25lookback_scan_determinismE0ELb1ELb1ES3_N6thrust23THRUST_200600_302600_NS6detail15normal_iteratorINS9_10device_ptrIjEEEENS9_16discard_iteratorINS9_11use_defaultEEEj11max_functorIjEjEEDaPvRmT3_T4_T5_mT6_P12ihipStream_tbENKUlT_T0_E_clISt17integral_constantIbLb0EESX_EEDaSS_ST_EUlSS_E_NS1_11comp_targetILNS1_3genE9ELNS1_11target_archE1100ELNS1_3gpuE3ELNS1_3repE0EEENS1_30default_config_static_selectorELNS0_4arch9wavefront6targetE1EEEvT1_,comdat
	.protected	_ZN7rocprim17ROCPRIM_400000_NS6detail17trampoline_kernelINS0_14default_configENS1_20scan_config_selectorIjEEZZNS1_9scan_implILNS1_25lookback_scan_determinismE0ELb1ELb1ES3_N6thrust23THRUST_200600_302600_NS6detail15normal_iteratorINS9_10device_ptrIjEEEENS9_16discard_iteratorINS9_11use_defaultEEEj11max_functorIjEjEEDaPvRmT3_T4_T5_mT6_P12ihipStream_tbENKUlT_T0_E_clISt17integral_constantIbLb0EESX_EEDaSS_ST_EUlSS_E_NS1_11comp_targetILNS1_3genE9ELNS1_11target_archE1100ELNS1_3gpuE3ELNS1_3repE0EEENS1_30default_config_static_selectorELNS0_4arch9wavefront6targetE1EEEvT1_ ; -- Begin function _ZN7rocprim17ROCPRIM_400000_NS6detail17trampoline_kernelINS0_14default_configENS1_20scan_config_selectorIjEEZZNS1_9scan_implILNS1_25lookback_scan_determinismE0ELb1ELb1ES3_N6thrust23THRUST_200600_302600_NS6detail15normal_iteratorINS9_10device_ptrIjEEEENS9_16discard_iteratorINS9_11use_defaultEEEj11max_functorIjEjEEDaPvRmT3_T4_T5_mT6_P12ihipStream_tbENKUlT_T0_E_clISt17integral_constantIbLb0EESX_EEDaSS_ST_EUlSS_E_NS1_11comp_targetILNS1_3genE9ELNS1_11target_archE1100ELNS1_3gpuE3ELNS1_3repE0EEENS1_30default_config_static_selectorELNS0_4arch9wavefront6targetE1EEEvT1_
	.globl	_ZN7rocprim17ROCPRIM_400000_NS6detail17trampoline_kernelINS0_14default_configENS1_20scan_config_selectorIjEEZZNS1_9scan_implILNS1_25lookback_scan_determinismE0ELb1ELb1ES3_N6thrust23THRUST_200600_302600_NS6detail15normal_iteratorINS9_10device_ptrIjEEEENS9_16discard_iteratorINS9_11use_defaultEEEj11max_functorIjEjEEDaPvRmT3_T4_T5_mT6_P12ihipStream_tbENKUlT_T0_E_clISt17integral_constantIbLb0EESX_EEDaSS_ST_EUlSS_E_NS1_11comp_targetILNS1_3genE9ELNS1_11target_archE1100ELNS1_3gpuE3ELNS1_3repE0EEENS1_30default_config_static_selectorELNS0_4arch9wavefront6targetE1EEEvT1_
	.p2align	8
	.type	_ZN7rocprim17ROCPRIM_400000_NS6detail17trampoline_kernelINS0_14default_configENS1_20scan_config_selectorIjEEZZNS1_9scan_implILNS1_25lookback_scan_determinismE0ELb1ELb1ES3_N6thrust23THRUST_200600_302600_NS6detail15normal_iteratorINS9_10device_ptrIjEEEENS9_16discard_iteratorINS9_11use_defaultEEEj11max_functorIjEjEEDaPvRmT3_T4_T5_mT6_P12ihipStream_tbENKUlT_T0_E_clISt17integral_constantIbLb0EESX_EEDaSS_ST_EUlSS_E_NS1_11comp_targetILNS1_3genE9ELNS1_11target_archE1100ELNS1_3gpuE3ELNS1_3repE0EEENS1_30default_config_static_selectorELNS0_4arch9wavefront6targetE1EEEvT1_,@function
_ZN7rocprim17ROCPRIM_400000_NS6detail17trampoline_kernelINS0_14default_configENS1_20scan_config_selectorIjEEZZNS1_9scan_implILNS1_25lookback_scan_determinismE0ELb1ELb1ES3_N6thrust23THRUST_200600_302600_NS6detail15normal_iteratorINS9_10device_ptrIjEEEENS9_16discard_iteratorINS9_11use_defaultEEEj11max_functorIjEjEEDaPvRmT3_T4_T5_mT6_P12ihipStream_tbENKUlT_T0_E_clISt17integral_constantIbLb0EESX_EEDaSS_ST_EUlSS_E_NS1_11comp_targetILNS1_3genE9ELNS1_11target_archE1100ELNS1_3gpuE3ELNS1_3repE0EEENS1_30default_config_static_selectorELNS0_4arch9wavefront6targetE1EEEvT1_: ; @_ZN7rocprim17ROCPRIM_400000_NS6detail17trampoline_kernelINS0_14default_configENS1_20scan_config_selectorIjEEZZNS1_9scan_implILNS1_25lookback_scan_determinismE0ELb1ELb1ES3_N6thrust23THRUST_200600_302600_NS6detail15normal_iteratorINS9_10device_ptrIjEEEENS9_16discard_iteratorINS9_11use_defaultEEEj11max_functorIjEjEEDaPvRmT3_T4_T5_mT6_P12ihipStream_tbENKUlT_T0_E_clISt17integral_constantIbLb0EESX_EEDaSS_ST_EUlSS_E_NS1_11comp_targetILNS1_3genE9ELNS1_11target_archE1100ELNS1_3gpuE3ELNS1_3repE0EEENS1_30default_config_static_selectorELNS0_4arch9wavefront6targetE1EEEvT1_
; %bb.0:
	.section	.rodata,"a",@progbits
	.p2align	6, 0x0
	.amdhsa_kernel _ZN7rocprim17ROCPRIM_400000_NS6detail17trampoline_kernelINS0_14default_configENS1_20scan_config_selectorIjEEZZNS1_9scan_implILNS1_25lookback_scan_determinismE0ELb1ELb1ES3_N6thrust23THRUST_200600_302600_NS6detail15normal_iteratorINS9_10device_ptrIjEEEENS9_16discard_iteratorINS9_11use_defaultEEEj11max_functorIjEjEEDaPvRmT3_T4_T5_mT6_P12ihipStream_tbENKUlT_T0_E_clISt17integral_constantIbLb0EESX_EEDaSS_ST_EUlSS_E_NS1_11comp_targetILNS1_3genE9ELNS1_11target_archE1100ELNS1_3gpuE3ELNS1_3repE0EEENS1_30default_config_static_selectorELNS0_4arch9wavefront6targetE1EEEvT1_
		.amdhsa_group_segment_fixed_size 0
		.amdhsa_private_segment_fixed_size 0
		.amdhsa_kernarg_size 104
		.amdhsa_user_sgpr_count 6
		.amdhsa_user_sgpr_private_segment_buffer 1
		.amdhsa_user_sgpr_dispatch_ptr 0
		.amdhsa_user_sgpr_queue_ptr 0
		.amdhsa_user_sgpr_kernarg_segment_ptr 1
		.amdhsa_user_sgpr_dispatch_id 0
		.amdhsa_user_sgpr_flat_scratch_init 0
		.amdhsa_user_sgpr_kernarg_preload_length 0
		.amdhsa_user_sgpr_kernarg_preload_offset 0
		.amdhsa_user_sgpr_private_segment_size 0
		.amdhsa_uses_dynamic_stack 0
		.amdhsa_system_sgpr_private_segment_wavefront_offset 0
		.amdhsa_system_sgpr_workgroup_id_x 1
		.amdhsa_system_sgpr_workgroup_id_y 0
		.amdhsa_system_sgpr_workgroup_id_z 0
		.amdhsa_system_sgpr_workgroup_info 0
		.amdhsa_system_vgpr_workitem_id 0
		.amdhsa_next_free_vgpr 1
		.amdhsa_next_free_sgpr 0
		.amdhsa_accum_offset 4
		.amdhsa_reserve_vcc 0
		.amdhsa_reserve_flat_scratch 0
		.amdhsa_float_round_mode_32 0
		.amdhsa_float_round_mode_16_64 0
		.amdhsa_float_denorm_mode_32 3
		.amdhsa_float_denorm_mode_16_64 3
		.amdhsa_dx10_clamp 1
		.amdhsa_ieee_mode 1
		.amdhsa_fp16_overflow 0
		.amdhsa_tg_split 0
		.amdhsa_exception_fp_ieee_invalid_op 0
		.amdhsa_exception_fp_denorm_src 0
		.amdhsa_exception_fp_ieee_div_zero 0
		.amdhsa_exception_fp_ieee_overflow 0
		.amdhsa_exception_fp_ieee_underflow 0
		.amdhsa_exception_fp_ieee_inexact 0
		.amdhsa_exception_int_div_zero 0
	.end_amdhsa_kernel
	.section	.text._ZN7rocprim17ROCPRIM_400000_NS6detail17trampoline_kernelINS0_14default_configENS1_20scan_config_selectorIjEEZZNS1_9scan_implILNS1_25lookback_scan_determinismE0ELb1ELb1ES3_N6thrust23THRUST_200600_302600_NS6detail15normal_iteratorINS9_10device_ptrIjEEEENS9_16discard_iteratorINS9_11use_defaultEEEj11max_functorIjEjEEDaPvRmT3_T4_T5_mT6_P12ihipStream_tbENKUlT_T0_E_clISt17integral_constantIbLb0EESX_EEDaSS_ST_EUlSS_E_NS1_11comp_targetILNS1_3genE9ELNS1_11target_archE1100ELNS1_3gpuE3ELNS1_3repE0EEENS1_30default_config_static_selectorELNS0_4arch9wavefront6targetE1EEEvT1_,"axG",@progbits,_ZN7rocprim17ROCPRIM_400000_NS6detail17trampoline_kernelINS0_14default_configENS1_20scan_config_selectorIjEEZZNS1_9scan_implILNS1_25lookback_scan_determinismE0ELb1ELb1ES3_N6thrust23THRUST_200600_302600_NS6detail15normal_iteratorINS9_10device_ptrIjEEEENS9_16discard_iteratorINS9_11use_defaultEEEj11max_functorIjEjEEDaPvRmT3_T4_T5_mT6_P12ihipStream_tbENKUlT_T0_E_clISt17integral_constantIbLb0EESX_EEDaSS_ST_EUlSS_E_NS1_11comp_targetILNS1_3genE9ELNS1_11target_archE1100ELNS1_3gpuE3ELNS1_3repE0EEENS1_30default_config_static_selectorELNS0_4arch9wavefront6targetE1EEEvT1_,comdat
.Lfunc_end3501:
	.size	_ZN7rocprim17ROCPRIM_400000_NS6detail17trampoline_kernelINS0_14default_configENS1_20scan_config_selectorIjEEZZNS1_9scan_implILNS1_25lookback_scan_determinismE0ELb1ELb1ES3_N6thrust23THRUST_200600_302600_NS6detail15normal_iteratorINS9_10device_ptrIjEEEENS9_16discard_iteratorINS9_11use_defaultEEEj11max_functorIjEjEEDaPvRmT3_T4_T5_mT6_P12ihipStream_tbENKUlT_T0_E_clISt17integral_constantIbLb0EESX_EEDaSS_ST_EUlSS_E_NS1_11comp_targetILNS1_3genE9ELNS1_11target_archE1100ELNS1_3gpuE3ELNS1_3repE0EEENS1_30default_config_static_selectorELNS0_4arch9wavefront6targetE1EEEvT1_, .Lfunc_end3501-_ZN7rocprim17ROCPRIM_400000_NS6detail17trampoline_kernelINS0_14default_configENS1_20scan_config_selectorIjEEZZNS1_9scan_implILNS1_25lookback_scan_determinismE0ELb1ELb1ES3_N6thrust23THRUST_200600_302600_NS6detail15normal_iteratorINS9_10device_ptrIjEEEENS9_16discard_iteratorINS9_11use_defaultEEEj11max_functorIjEjEEDaPvRmT3_T4_T5_mT6_P12ihipStream_tbENKUlT_T0_E_clISt17integral_constantIbLb0EESX_EEDaSS_ST_EUlSS_E_NS1_11comp_targetILNS1_3genE9ELNS1_11target_archE1100ELNS1_3gpuE3ELNS1_3repE0EEENS1_30default_config_static_selectorELNS0_4arch9wavefront6targetE1EEEvT1_
                                        ; -- End function
	.section	.AMDGPU.csdata,"",@progbits
; Kernel info:
; codeLenInByte = 0
; NumSgprs: 4
; NumVgprs: 0
; NumAgprs: 0
; TotalNumVgprs: 0
; ScratchSize: 0
; MemoryBound: 0
; FloatMode: 240
; IeeeMode: 1
; LDSByteSize: 0 bytes/workgroup (compile time only)
; SGPRBlocks: 0
; VGPRBlocks: 0
; NumSGPRsForWavesPerEU: 4
; NumVGPRsForWavesPerEU: 1
; AccumOffset: 4
; Occupancy: 8
; WaveLimiterHint : 0
; COMPUTE_PGM_RSRC2:SCRATCH_EN: 0
; COMPUTE_PGM_RSRC2:USER_SGPR: 6
; COMPUTE_PGM_RSRC2:TRAP_HANDLER: 0
; COMPUTE_PGM_RSRC2:TGID_X_EN: 1
; COMPUTE_PGM_RSRC2:TGID_Y_EN: 0
; COMPUTE_PGM_RSRC2:TGID_Z_EN: 0
; COMPUTE_PGM_RSRC2:TIDIG_COMP_CNT: 0
; COMPUTE_PGM_RSRC3_GFX90A:ACCUM_OFFSET: 0
; COMPUTE_PGM_RSRC3_GFX90A:TG_SPLIT: 0
	.section	.text._ZN7rocprim17ROCPRIM_400000_NS6detail17trampoline_kernelINS0_14default_configENS1_20scan_config_selectorIjEEZZNS1_9scan_implILNS1_25lookback_scan_determinismE0ELb1ELb1ES3_N6thrust23THRUST_200600_302600_NS6detail15normal_iteratorINS9_10device_ptrIjEEEENS9_16discard_iteratorINS9_11use_defaultEEEj11max_functorIjEjEEDaPvRmT3_T4_T5_mT6_P12ihipStream_tbENKUlT_T0_E_clISt17integral_constantIbLb0EESX_EEDaSS_ST_EUlSS_E_NS1_11comp_targetILNS1_3genE8ELNS1_11target_archE1030ELNS1_3gpuE2ELNS1_3repE0EEENS1_30default_config_static_selectorELNS0_4arch9wavefront6targetE1EEEvT1_,"axG",@progbits,_ZN7rocprim17ROCPRIM_400000_NS6detail17trampoline_kernelINS0_14default_configENS1_20scan_config_selectorIjEEZZNS1_9scan_implILNS1_25lookback_scan_determinismE0ELb1ELb1ES3_N6thrust23THRUST_200600_302600_NS6detail15normal_iteratorINS9_10device_ptrIjEEEENS9_16discard_iteratorINS9_11use_defaultEEEj11max_functorIjEjEEDaPvRmT3_T4_T5_mT6_P12ihipStream_tbENKUlT_T0_E_clISt17integral_constantIbLb0EESX_EEDaSS_ST_EUlSS_E_NS1_11comp_targetILNS1_3genE8ELNS1_11target_archE1030ELNS1_3gpuE2ELNS1_3repE0EEENS1_30default_config_static_selectorELNS0_4arch9wavefront6targetE1EEEvT1_,comdat
	.protected	_ZN7rocprim17ROCPRIM_400000_NS6detail17trampoline_kernelINS0_14default_configENS1_20scan_config_selectorIjEEZZNS1_9scan_implILNS1_25lookback_scan_determinismE0ELb1ELb1ES3_N6thrust23THRUST_200600_302600_NS6detail15normal_iteratorINS9_10device_ptrIjEEEENS9_16discard_iteratorINS9_11use_defaultEEEj11max_functorIjEjEEDaPvRmT3_T4_T5_mT6_P12ihipStream_tbENKUlT_T0_E_clISt17integral_constantIbLb0EESX_EEDaSS_ST_EUlSS_E_NS1_11comp_targetILNS1_3genE8ELNS1_11target_archE1030ELNS1_3gpuE2ELNS1_3repE0EEENS1_30default_config_static_selectorELNS0_4arch9wavefront6targetE1EEEvT1_ ; -- Begin function _ZN7rocprim17ROCPRIM_400000_NS6detail17trampoline_kernelINS0_14default_configENS1_20scan_config_selectorIjEEZZNS1_9scan_implILNS1_25lookback_scan_determinismE0ELb1ELb1ES3_N6thrust23THRUST_200600_302600_NS6detail15normal_iteratorINS9_10device_ptrIjEEEENS9_16discard_iteratorINS9_11use_defaultEEEj11max_functorIjEjEEDaPvRmT3_T4_T5_mT6_P12ihipStream_tbENKUlT_T0_E_clISt17integral_constantIbLb0EESX_EEDaSS_ST_EUlSS_E_NS1_11comp_targetILNS1_3genE8ELNS1_11target_archE1030ELNS1_3gpuE2ELNS1_3repE0EEENS1_30default_config_static_selectorELNS0_4arch9wavefront6targetE1EEEvT1_
	.globl	_ZN7rocprim17ROCPRIM_400000_NS6detail17trampoline_kernelINS0_14default_configENS1_20scan_config_selectorIjEEZZNS1_9scan_implILNS1_25lookback_scan_determinismE0ELb1ELb1ES3_N6thrust23THRUST_200600_302600_NS6detail15normal_iteratorINS9_10device_ptrIjEEEENS9_16discard_iteratorINS9_11use_defaultEEEj11max_functorIjEjEEDaPvRmT3_T4_T5_mT6_P12ihipStream_tbENKUlT_T0_E_clISt17integral_constantIbLb0EESX_EEDaSS_ST_EUlSS_E_NS1_11comp_targetILNS1_3genE8ELNS1_11target_archE1030ELNS1_3gpuE2ELNS1_3repE0EEENS1_30default_config_static_selectorELNS0_4arch9wavefront6targetE1EEEvT1_
	.p2align	8
	.type	_ZN7rocprim17ROCPRIM_400000_NS6detail17trampoline_kernelINS0_14default_configENS1_20scan_config_selectorIjEEZZNS1_9scan_implILNS1_25lookback_scan_determinismE0ELb1ELb1ES3_N6thrust23THRUST_200600_302600_NS6detail15normal_iteratorINS9_10device_ptrIjEEEENS9_16discard_iteratorINS9_11use_defaultEEEj11max_functorIjEjEEDaPvRmT3_T4_T5_mT6_P12ihipStream_tbENKUlT_T0_E_clISt17integral_constantIbLb0EESX_EEDaSS_ST_EUlSS_E_NS1_11comp_targetILNS1_3genE8ELNS1_11target_archE1030ELNS1_3gpuE2ELNS1_3repE0EEENS1_30default_config_static_selectorELNS0_4arch9wavefront6targetE1EEEvT1_,@function
_ZN7rocprim17ROCPRIM_400000_NS6detail17trampoline_kernelINS0_14default_configENS1_20scan_config_selectorIjEEZZNS1_9scan_implILNS1_25lookback_scan_determinismE0ELb1ELb1ES3_N6thrust23THRUST_200600_302600_NS6detail15normal_iteratorINS9_10device_ptrIjEEEENS9_16discard_iteratorINS9_11use_defaultEEEj11max_functorIjEjEEDaPvRmT3_T4_T5_mT6_P12ihipStream_tbENKUlT_T0_E_clISt17integral_constantIbLb0EESX_EEDaSS_ST_EUlSS_E_NS1_11comp_targetILNS1_3genE8ELNS1_11target_archE1030ELNS1_3gpuE2ELNS1_3repE0EEENS1_30default_config_static_selectorELNS0_4arch9wavefront6targetE1EEEvT1_: ; @_ZN7rocprim17ROCPRIM_400000_NS6detail17trampoline_kernelINS0_14default_configENS1_20scan_config_selectorIjEEZZNS1_9scan_implILNS1_25lookback_scan_determinismE0ELb1ELb1ES3_N6thrust23THRUST_200600_302600_NS6detail15normal_iteratorINS9_10device_ptrIjEEEENS9_16discard_iteratorINS9_11use_defaultEEEj11max_functorIjEjEEDaPvRmT3_T4_T5_mT6_P12ihipStream_tbENKUlT_T0_E_clISt17integral_constantIbLb0EESX_EEDaSS_ST_EUlSS_E_NS1_11comp_targetILNS1_3genE8ELNS1_11target_archE1030ELNS1_3gpuE2ELNS1_3repE0EEENS1_30default_config_static_selectorELNS0_4arch9wavefront6targetE1EEEvT1_
; %bb.0:
	.section	.rodata,"a",@progbits
	.p2align	6, 0x0
	.amdhsa_kernel _ZN7rocprim17ROCPRIM_400000_NS6detail17trampoline_kernelINS0_14default_configENS1_20scan_config_selectorIjEEZZNS1_9scan_implILNS1_25lookback_scan_determinismE0ELb1ELb1ES3_N6thrust23THRUST_200600_302600_NS6detail15normal_iteratorINS9_10device_ptrIjEEEENS9_16discard_iteratorINS9_11use_defaultEEEj11max_functorIjEjEEDaPvRmT3_T4_T5_mT6_P12ihipStream_tbENKUlT_T0_E_clISt17integral_constantIbLb0EESX_EEDaSS_ST_EUlSS_E_NS1_11comp_targetILNS1_3genE8ELNS1_11target_archE1030ELNS1_3gpuE2ELNS1_3repE0EEENS1_30default_config_static_selectorELNS0_4arch9wavefront6targetE1EEEvT1_
		.amdhsa_group_segment_fixed_size 0
		.amdhsa_private_segment_fixed_size 0
		.amdhsa_kernarg_size 104
		.amdhsa_user_sgpr_count 6
		.amdhsa_user_sgpr_private_segment_buffer 1
		.amdhsa_user_sgpr_dispatch_ptr 0
		.amdhsa_user_sgpr_queue_ptr 0
		.amdhsa_user_sgpr_kernarg_segment_ptr 1
		.amdhsa_user_sgpr_dispatch_id 0
		.amdhsa_user_sgpr_flat_scratch_init 0
		.amdhsa_user_sgpr_kernarg_preload_length 0
		.amdhsa_user_sgpr_kernarg_preload_offset 0
		.amdhsa_user_sgpr_private_segment_size 0
		.amdhsa_uses_dynamic_stack 0
		.amdhsa_system_sgpr_private_segment_wavefront_offset 0
		.amdhsa_system_sgpr_workgroup_id_x 1
		.amdhsa_system_sgpr_workgroup_id_y 0
		.amdhsa_system_sgpr_workgroup_id_z 0
		.amdhsa_system_sgpr_workgroup_info 0
		.amdhsa_system_vgpr_workitem_id 0
		.amdhsa_next_free_vgpr 1
		.amdhsa_next_free_sgpr 0
		.amdhsa_accum_offset 4
		.amdhsa_reserve_vcc 0
		.amdhsa_reserve_flat_scratch 0
		.amdhsa_float_round_mode_32 0
		.amdhsa_float_round_mode_16_64 0
		.amdhsa_float_denorm_mode_32 3
		.amdhsa_float_denorm_mode_16_64 3
		.amdhsa_dx10_clamp 1
		.amdhsa_ieee_mode 1
		.amdhsa_fp16_overflow 0
		.amdhsa_tg_split 0
		.amdhsa_exception_fp_ieee_invalid_op 0
		.amdhsa_exception_fp_denorm_src 0
		.amdhsa_exception_fp_ieee_div_zero 0
		.amdhsa_exception_fp_ieee_overflow 0
		.amdhsa_exception_fp_ieee_underflow 0
		.amdhsa_exception_fp_ieee_inexact 0
		.amdhsa_exception_int_div_zero 0
	.end_amdhsa_kernel
	.section	.text._ZN7rocprim17ROCPRIM_400000_NS6detail17trampoline_kernelINS0_14default_configENS1_20scan_config_selectorIjEEZZNS1_9scan_implILNS1_25lookback_scan_determinismE0ELb1ELb1ES3_N6thrust23THRUST_200600_302600_NS6detail15normal_iteratorINS9_10device_ptrIjEEEENS9_16discard_iteratorINS9_11use_defaultEEEj11max_functorIjEjEEDaPvRmT3_T4_T5_mT6_P12ihipStream_tbENKUlT_T0_E_clISt17integral_constantIbLb0EESX_EEDaSS_ST_EUlSS_E_NS1_11comp_targetILNS1_3genE8ELNS1_11target_archE1030ELNS1_3gpuE2ELNS1_3repE0EEENS1_30default_config_static_selectorELNS0_4arch9wavefront6targetE1EEEvT1_,"axG",@progbits,_ZN7rocprim17ROCPRIM_400000_NS6detail17trampoline_kernelINS0_14default_configENS1_20scan_config_selectorIjEEZZNS1_9scan_implILNS1_25lookback_scan_determinismE0ELb1ELb1ES3_N6thrust23THRUST_200600_302600_NS6detail15normal_iteratorINS9_10device_ptrIjEEEENS9_16discard_iteratorINS9_11use_defaultEEEj11max_functorIjEjEEDaPvRmT3_T4_T5_mT6_P12ihipStream_tbENKUlT_T0_E_clISt17integral_constantIbLb0EESX_EEDaSS_ST_EUlSS_E_NS1_11comp_targetILNS1_3genE8ELNS1_11target_archE1030ELNS1_3gpuE2ELNS1_3repE0EEENS1_30default_config_static_selectorELNS0_4arch9wavefront6targetE1EEEvT1_,comdat
.Lfunc_end3502:
	.size	_ZN7rocprim17ROCPRIM_400000_NS6detail17trampoline_kernelINS0_14default_configENS1_20scan_config_selectorIjEEZZNS1_9scan_implILNS1_25lookback_scan_determinismE0ELb1ELb1ES3_N6thrust23THRUST_200600_302600_NS6detail15normal_iteratorINS9_10device_ptrIjEEEENS9_16discard_iteratorINS9_11use_defaultEEEj11max_functorIjEjEEDaPvRmT3_T4_T5_mT6_P12ihipStream_tbENKUlT_T0_E_clISt17integral_constantIbLb0EESX_EEDaSS_ST_EUlSS_E_NS1_11comp_targetILNS1_3genE8ELNS1_11target_archE1030ELNS1_3gpuE2ELNS1_3repE0EEENS1_30default_config_static_selectorELNS0_4arch9wavefront6targetE1EEEvT1_, .Lfunc_end3502-_ZN7rocprim17ROCPRIM_400000_NS6detail17trampoline_kernelINS0_14default_configENS1_20scan_config_selectorIjEEZZNS1_9scan_implILNS1_25lookback_scan_determinismE0ELb1ELb1ES3_N6thrust23THRUST_200600_302600_NS6detail15normal_iteratorINS9_10device_ptrIjEEEENS9_16discard_iteratorINS9_11use_defaultEEEj11max_functorIjEjEEDaPvRmT3_T4_T5_mT6_P12ihipStream_tbENKUlT_T0_E_clISt17integral_constantIbLb0EESX_EEDaSS_ST_EUlSS_E_NS1_11comp_targetILNS1_3genE8ELNS1_11target_archE1030ELNS1_3gpuE2ELNS1_3repE0EEENS1_30default_config_static_selectorELNS0_4arch9wavefront6targetE1EEEvT1_
                                        ; -- End function
	.section	.AMDGPU.csdata,"",@progbits
; Kernel info:
; codeLenInByte = 0
; NumSgprs: 4
; NumVgprs: 0
; NumAgprs: 0
; TotalNumVgprs: 0
; ScratchSize: 0
; MemoryBound: 0
; FloatMode: 240
; IeeeMode: 1
; LDSByteSize: 0 bytes/workgroup (compile time only)
; SGPRBlocks: 0
; VGPRBlocks: 0
; NumSGPRsForWavesPerEU: 4
; NumVGPRsForWavesPerEU: 1
; AccumOffset: 4
; Occupancy: 8
; WaveLimiterHint : 0
; COMPUTE_PGM_RSRC2:SCRATCH_EN: 0
; COMPUTE_PGM_RSRC2:USER_SGPR: 6
; COMPUTE_PGM_RSRC2:TRAP_HANDLER: 0
; COMPUTE_PGM_RSRC2:TGID_X_EN: 1
; COMPUTE_PGM_RSRC2:TGID_Y_EN: 0
; COMPUTE_PGM_RSRC2:TGID_Z_EN: 0
; COMPUTE_PGM_RSRC2:TIDIG_COMP_CNT: 0
; COMPUTE_PGM_RSRC3_GFX90A:ACCUM_OFFSET: 0
; COMPUTE_PGM_RSRC3_GFX90A:TG_SPLIT: 0
	.section	.text._ZN7rocprim17ROCPRIM_400000_NS6detail17trampoline_kernelINS0_14default_configENS1_20scan_config_selectorIjEEZZNS1_9scan_implILNS1_25lookback_scan_determinismE0ELb1ELb1ES3_N6thrust23THRUST_200600_302600_NS6detail15normal_iteratorINS9_10device_ptrIjEEEENS9_16discard_iteratorINS9_11use_defaultEEEj11max_functorIjEjEEDaPvRmT3_T4_T5_mT6_P12ihipStream_tbENKUlT_T0_E_clISt17integral_constantIbLb0EESX_EEDaSS_ST_EUlSS_E0_NS1_11comp_targetILNS1_3genE0ELNS1_11target_archE4294967295ELNS1_3gpuE0ELNS1_3repE0EEENS1_30default_config_static_selectorELNS0_4arch9wavefront6targetE1EEEvT1_,"axG",@progbits,_ZN7rocprim17ROCPRIM_400000_NS6detail17trampoline_kernelINS0_14default_configENS1_20scan_config_selectorIjEEZZNS1_9scan_implILNS1_25lookback_scan_determinismE0ELb1ELb1ES3_N6thrust23THRUST_200600_302600_NS6detail15normal_iteratorINS9_10device_ptrIjEEEENS9_16discard_iteratorINS9_11use_defaultEEEj11max_functorIjEjEEDaPvRmT3_T4_T5_mT6_P12ihipStream_tbENKUlT_T0_E_clISt17integral_constantIbLb0EESX_EEDaSS_ST_EUlSS_E0_NS1_11comp_targetILNS1_3genE0ELNS1_11target_archE4294967295ELNS1_3gpuE0ELNS1_3repE0EEENS1_30default_config_static_selectorELNS0_4arch9wavefront6targetE1EEEvT1_,comdat
	.protected	_ZN7rocprim17ROCPRIM_400000_NS6detail17trampoline_kernelINS0_14default_configENS1_20scan_config_selectorIjEEZZNS1_9scan_implILNS1_25lookback_scan_determinismE0ELb1ELb1ES3_N6thrust23THRUST_200600_302600_NS6detail15normal_iteratorINS9_10device_ptrIjEEEENS9_16discard_iteratorINS9_11use_defaultEEEj11max_functorIjEjEEDaPvRmT3_T4_T5_mT6_P12ihipStream_tbENKUlT_T0_E_clISt17integral_constantIbLb0EESX_EEDaSS_ST_EUlSS_E0_NS1_11comp_targetILNS1_3genE0ELNS1_11target_archE4294967295ELNS1_3gpuE0ELNS1_3repE0EEENS1_30default_config_static_selectorELNS0_4arch9wavefront6targetE1EEEvT1_ ; -- Begin function _ZN7rocprim17ROCPRIM_400000_NS6detail17trampoline_kernelINS0_14default_configENS1_20scan_config_selectorIjEEZZNS1_9scan_implILNS1_25lookback_scan_determinismE0ELb1ELb1ES3_N6thrust23THRUST_200600_302600_NS6detail15normal_iteratorINS9_10device_ptrIjEEEENS9_16discard_iteratorINS9_11use_defaultEEEj11max_functorIjEjEEDaPvRmT3_T4_T5_mT6_P12ihipStream_tbENKUlT_T0_E_clISt17integral_constantIbLb0EESX_EEDaSS_ST_EUlSS_E0_NS1_11comp_targetILNS1_3genE0ELNS1_11target_archE4294967295ELNS1_3gpuE0ELNS1_3repE0EEENS1_30default_config_static_selectorELNS0_4arch9wavefront6targetE1EEEvT1_
	.globl	_ZN7rocprim17ROCPRIM_400000_NS6detail17trampoline_kernelINS0_14default_configENS1_20scan_config_selectorIjEEZZNS1_9scan_implILNS1_25lookback_scan_determinismE0ELb1ELb1ES3_N6thrust23THRUST_200600_302600_NS6detail15normal_iteratorINS9_10device_ptrIjEEEENS9_16discard_iteratorINS9_11use_defaultEEEj11max_functorIjEjEEDaPvRmT3_T4_T5_mT6_P12ihipStream_tbENKUlT_T0_E_clISt17integral_constantIbLb0EESX_EEDaSS_ST_EUlSS_E0_NS1_11comp_targetILNS1_3genE0ELNS1_11target_archE4294967295ELNS1_3gpuE0ELNS1_3repE0EEENS1_30default_config_static_selectorELNS0_4arch9wavefront6targetE1EEEvT1_
	.p2align	8
	.type	_ZN7rocprim17ROCPRIM_400000_NS6detail17trampoline_kernelINS0_14default_configENS1_20scan_config_selectorIjEEZZNS1_9scan_implILNS1_25lookback_scan_determinismE0ELb1ELb1ES3_N6thrust23THRUST_200600_302600_NS6detail15normal_iteratorINS9_10device_ptrIjEEEENS9_16discard_iteratorINS9_11use_defaultEEEj11max_functorIjEjEEDaPvRmT3_T4_T5_mT6_P12ihipStream_tbENKUlT_T0_E_clISt17integral_constantIbLb0EESX_EEDaSS_ST_EUlSS_E0_NS1_11comp_targetILNS1_3genE0ELNS1_11target_archE4294967295ELNS1_3gpuE0ELNS1_3repE0EEENS1_30default_config_static_selectorELNS0_4arch9wavefront6targetE1EEEvT1_,@function
_ZN7rocprim17ROCPRIM_400000_NS6detail17trampoline_kernelINS0_14default_configENS1_20scan_config_selectorIjEEZZNS1_9scan_implILNS1_25lookback_scan_determinismE0ELb1ELb1ES3_N6thrust23THRUST_200600_302600_NS6detail15normal_iteratorINS9_10device_ptrIjEEEENS9_16discard_iteratorINS9_11use_defaultEEEj11max_functorIjEjEEDaPvRmT3_T4_T5_mT6_P12ihipStream_tbENKUlT_T0_E_clISt17integral_constantIbLb0EESX_EEDaSS_ST_EUlSS_E0_NS1_11comp_targetILNS1_3genE0ELNS1_11target_archE4294967295ELNS1_3gpuE0ELNS1_3repE0EEENS1_30default_config_static_selectorELNS0_4arch9wavefront6targetE1EEEvT1_: ; @_ZN7rocprim17ROCPRIM_400000_NS6detail17trampoline_kernelINS0_14default_configENS1_20scan_config_selectorIjEEZZNS1_9scan_implILNS1_25lookback_scan_determinismE0ELb1ELb1ES3_N6thrust23THRUST_200600_302600_NS6detail15normal_iteratorINS9_10device_ptrIjEEEENS9_16discard_iteratorINS9_11use_defaultEEEj11max_functorIjEjEEDaPvRmT3_T4_T5_mT6_P12ihipStream_tbENKUlT_T0_E_clISt17integral_constantIbLb0EESX_EEDaSS_ST_EUlSS_E0_NS1_11comp_targetILNS1_3genE0ELNS1_11target_archE4294967295ELNS1_3gpuE0ELNS1_3repE0EEENS1_30default_config_static_selectorELNS0_4arch9wavefront6targetE1EEEvT1_
; %bb.0:
	.section	.rodata,"a",@progbits
	.p2align	6, 0x0
	.amdhsa_kernel _ZN7rocprim17ROCPRIM_400000_NS6detail17trampoline_kernelINS0_14default_configENS1_20scan_config_selectorIjEEZZNS1_9scan_implILNS1_25lookback_scan_determinismE0ELb1ELb1ES3_N6thrust23THRUST_200600_302600_NS6detail15normal_iteratorINS9_10device_ptrIjEEEENS9_16discard_iteratorINS9_11use_defaultEEEj11max_functorIjEjEEDaPvRmT3_T4_T5_mT6_P12ihipStream_tbENKUlT_T0_E_clISt17integral_constantIbLb0EESX_EEDaSS_ST_EUlSS_E0_NS1_11comp_targetILNS1_3genE0ELNS1_11target_archE4294967295ELNS1_3gpuE0ELNS1_3repE0EEENS1_30default_config_static_selectorELNS0_4arch9wavefront6targetE1EEEvT1_
		.amdhsa_group_segment_fixed_size 0
		.amdhsa_private_segment_fixed_size 0
		.amdhsa_kernarg_size 40
		.amdhsa_user_sgpr_count 6
		.amdhsa_user_sgpr_private_segment_buffer 1
		.amdhsa_user_sgpr_dispatch_ptr 0
		.amdhsa_user_sgpr_queue_ptr 0
		.amdhsa_user_sgpr_kernarg_segment_ptr 1
		.amdhsa_user_sgpr_dispatch_id 0
		.amdhsa_user_sgpr_flat_scratch_init 0
		.amdhsa_user_sgpr_kernarg_preload_length 0
		.amdhsa_user_sgpr_kernarg_preload_offset 0
		.amdhsa_user_sgpr_private_segment_size 0
		.amdhsa_uses_dynamic_stack 0
		.amdhsa_system_sgpr_private_segment_wavefront_offset 0
		.amdhsa_system_sgpr_workgroup_id_x 1
		.amdhsa_system_sgpr_workgroup_id_y 0
		.amdhsa_system_sgpr_workgroup_id_z 0
		.amdhsa_system_sgpr_workgroup_info 0
		.amdhsa_system_vgpr_workitem_id 0
		.amdhsa_next_free_vgpr 1
		.amdhsa_next_free_sgpr 0
		.amdhsa_accum_offset 4
		.amdhsa_reserve_vcc 0
		.amdhsa_reserve_flat_scratch 0
		.amdhsa_float_round_mode_32 0
		.amdhsa_float_round_mode_16_64 0
		.amdhsa_float_denorm_mode_32 3
		.amdhsa_float_denorm_mode_16_64 3
		.amdhsa_dx10_clamp 1
		.amdhsa_ieee_mode 1
		.amdhsa_fp16_overflow 0
		.amdhsa_tg_split 0
		.amdhsa_exception_fp_ieee_invalid_op 0
		.amdhsa_exception_fp_denorm_src 0
		.amdhsa_exception_fp_ieee_div_zero 0
		.amdhsa_exception_fp_ieee_overflow 0
		.amdhsa_exception_fp_ieee_underflow 0
		.amdhsa_exception_fp_ieee_inexact 0
		.amdhsa_exception_int_div_zero 0
	.end_amdhsa_kernel
	.section	.text._ZN7rocprim17ROCPRIM_400000_NS6detail17trampoline_kernelINS0_14default_configENS1_20scan_config_selectorIjEEZZNS1_9scan_implILNS1_25lookback_scan_determinismE0ELb1ELb1ES3_N6thrust23THRUST_200600_302600_NS6detail15normal_iteratorINS9_10device_ptrIjEEEENS9_16discard_iteratorINS9_11use_defaultEEEj11max_functorIjEjEEDaPvRmT3_T4_T5_mT6_P12ihipStream_tbENKUlT_T0_E_clISt17integral_constantIbLb0EESX_EEDaSS_ST_EUlSS_E0_NS1_11comp_targetILNS1_3genE0ELNS1_11target_archE4294967295ELNS1_3gpuE0ELNS1_3repE0EEENS1_30default_config_static_selectorELNS0_4arch9wavefront6targetE1EEEvT1_,"axG",@progbits,_ZN7rocprim17ROCPRIM_400000_NS6detail17trampoline_kernelINS0_14default_configENS1_20scan_config_selectorIjEEZZNS1_9scan_implILNS1_25lookback_scan_determinismE0ELb1ELb1ES3_N6thrust23THRUST_200600_302600_NS6detail15normal_iteratorINS9_10device_ptrIjEEEENS9_16discard_iteratorINS9_11use_defaultEEEj11max_functorIjEjEEDaPvRmT3_T4_T5_mT6_P12ihipStream_tbENKUlT_T0_E_clISt17integral_constantIbLb0EESX_EEDaSS_ST_EUlSS_E0_NS1_11comp_targetILNS1_3genE0ELNS1_11target_archE4294967295ELNS1_3gpuE0ELNS1_3repE0EEENS1_30default_config_static_selectorELNS0_4arch9wavefront6targetE1EEEvT1_,comdat
.Lfunc_end3503:
	.size	_ZN7rocprim17ROCPRIM_400000_NS6detail17trampoline_kernelINS0_14default_configENS1_20scan_config_selectorIjEEZZNS1_9scan_implILNS1_25lookback_scan_determinismE0ELb1ELb1ES3_N6thrust23THRUST_200600_302600_NS6detail15normal_iteratorINS9_10device_ptrIjEEEENS9_16discard_iteratorINS9_11use_defaultEEEj11max_functorIjEjEEDaPvRmT3_T4_T5_mT6_P12ihipStream_tbENKUlT_T0_E_clISt17integral_constantIbLb0EESX_EEDaSS_ST_EUlSS_E0_NS1_11comp_targetILNS1_3genE0ELNS1_11target_archE4294967295ELNS1_3gpuE0ELNS1_3repE0EEENS1_30default_config_static_selectorELNS0_4arch9wavefront6targetE1EEEvT1_, .Lfunc_end3503-_ZN7rocprim17ROCPRIM_400000_NS6detail17trampoline_kernelINS0_14default_configENS1_20scan_config_selectorIjEEZZNS1_9scan_implILNS1_25lookback_scan_determinismE0ELb1ELb1ES3_N6thrust23THRUST_200600_302600_NS6detail15normal_iteratorINS9_10device_ptrIjEEEENS9_16discard_iteratorINS9_11use_defaultEEEj11max_functorIjEjEEDaPvRmT3_T4_T5_mT6_P12ihipStream_tbENKUlT_T0_E_clISt17integral_constantIbLb0EESX_EEDaSS_ST_EUlSS_E0_NS1_11comp_targetILNS1_3genE0ELNS1_11target_archE4294967295ELNS1_3gpuE0ELNS1_3repE0EEENS1_30default_config_static_selectorELNS0_4arch9wavefront6targetE1EEEvT1_
                                        ; -- End function
	.section	.AMDGPU.csdata,"",@progbits
; Kernel info:
; codeLenInByte = 0
; NumSgprs: 4
; NumVgprs: 0
; NumAgprs: 0
; TotalNumVgprs: 0
; ScratchSize: 0
; MemoryBound: 0
; FloatMode: 240
; IeeeMode: 1
; LDSByteSize: 0 bytes/workgroup (compile time only)
; SGPRBlocks: 0
; VGPRBlocks: 0
; NumSGPRsForWavesPerEU: 4
; NumVGPRsForWavesPerEU: 1
; AccumOffset: 4
; Occupancy: 8
; WaveLimiterHint : 0
; COMPUTE_PGM_RSRC2:SCRATCH_EN: 0
; COMPUTE_PGM_RSRC2:USER_SGPR: 6
; COMPUTE_PGM_RSRC2:TRAP_HANDLER: 0
; COMPUTE_PGM_RSRC2:TGID_X_EN: 1
; COMPUTE_PGM_RSRC2:TGID_Y_EN: 0
; COMPUTE_PGM_RSRC2:TGID_Z_EN: 0
; COMPUTE_PGM_RSRC2:TIDIG_COMP_CNT: 0
; COMPUTE_PGM_RSRC3_GFX90A:ACCUM_OFFSET: 0
; COMPUTE_PGM_RSRC3_GFX90A:TG_SPLIT: 0
	.section	.text._ZN7rocprim17ROCPRIM_400000_NS6detail17trampoline_kernelINS0_14default_configENS1_20scan_config_selectorIjEEZZNS1_9scan_implILNS1_25lookback_scan_determinismE0ELb1ELb1ES3_N6thrust23THRUST_200600_302600_NS6detail15normal_iteratorINS9_10device_ptrIjEEEENS9_16discard_iteratorINS9_11use_defaultEEEj11max_functorIjEjEEDaPvRmT3_T4_T5_mT6_P12ihipStream_tbENKUlT_T0_E_clISt17integral_constantIbLb0EESX_EEDaSS_ST_EUlSS_E0_NS1_11comp_targetILNS1_3genE5ELNS1_11target_archE942ELNS1_3gpuE9ELNS1_3repE0EEENS1_30default_config_static_selectorELNS0_4arch9wavefront6targetE1EEEvT1_,"axG",@progbits,_ZN7rocprim17ROCPRIM_400000_NS6detail17trampoline_kernelINS0_14default_configENS1_20scan_config_selectorIjEEZZNS1_9scan_implILNS1_25lookback_scan_determinismE0ELb1ELb1ES3_N6thrust23THRUST_200600_302600_NS6detail15normal_iteratorINS9_10device_ptrIjEEEENS9_16discard_iteratorINS9_11use_defaultEEEj11max_functorIjEjEEDaPvRmT3_T4_T5_mT6_P12ihipStream_tbENKUlT_T0_E_clISt17integral_constantIbLb0EESX_EEDaSS_ST_EUlSS_E0_NS1_11comp_targetILNS1_3genE5ELNS1_11target_archE942ELNS1_3gpuE9ELNS1_3repE0EEENS1_30default_config_static_selectorELNS0_4arch9wavefront6targetE1EEEvT1_,comdat
	.protected	_ZN7rocprim17ROCPRIM_400000_NS6detail17trampoline_kernelINS0_14default_configENS1_20scan_config_selectorIjEEZZNS1_9scan_implILNS1_25lookback_scan_determinismE0ELb1ELb1ES3_N6thrust23THRUST_200600_302600_NS6detail15normal_iteratorINS9_10device_ptrIjEEEENS9_16discard_iteratorINS9_11use_defaultEEEj11max_functorIjEjEEDaPvRmT3_T4_T5_mT6_P12ihipStream_tbENKUlT_T0_E_clISt17integral_constantIbLb0EESX_EEDaSS_ST_EUlSS_E0_NS1_11comp_targetILNS1_3genE5ELNS1_11target_archE942ELNS1_3gpuE9ELNS1_3repE0EEENS1_30default_config_static_selectorELNS0_4arch9wavefront6targetE1EEEvT1_ ; -- Begin function _ZN7rocprim17ROCPRIM_400000_NS6detail17trampoline_kernelINS0_14default_configENS1_20scan_config_selectorIjEEZZNS1_9scan_implILNS1_25lookback_scan_determinismE0ELb1ELb1ES3_N6thrust23THRUST_200600_302600_NS6detail15normal_iteratorINS9_10device_ptrIjEEEENS9_16discard_iteratorINS9_11use_defaultEEEj11max_functorIjEjEEDaPvRmT3_T4_T5_mT6_P12ihipStream_tbENKUlT_T0_E_clISt17integral_constantIbLb0EESX_EEDaSS_ST_EUlSS_E0_NS1_11comp_targetILNS1_3genE5ELNS1_11target_archE942ELNS1_3gpuE9ELNS1_3repE0EEENS1_30default_config_static_selectorELNS0_4arch9wavefront6targetE1EEEvT1_
	.globl	_ZN7rocprim17ROCPRIM_400000_NS6detail17trampoline_kernelINS0_14default_configENS1_20scan_config_selectorIjEEZZNS1_9scan_implILNS1_25lookback_scan_determinismE0ELb1ELb1ES3_N6thrust23THRUST_200600_302600_NS6detail15normal_iteratorINS9_10device_ptrIjEEEENS9_16discard_iteratorINS9_11use_defaultEEEj11max_functorIjEjEEDaPvRmT3_T4_T5_mT6_P12ihipStream_tbENKUlT_T0_E_clISt17integral_constantIbLb0EESX_EEDaSS_ST_EUlSS_E0_NS1_11comp_targetILNS1_3genE5ELNS1_11target_archE942ELNS1_3gpuE9ELNS1_3repE0EEENS1_30default_config_static_selectorELNS0_4arch9wavefront6targetE1EEEvT1_
	.p2align	8
	.type	_ZN7rocprim17ROCPRIM_400000_NS6detail17trampoline_kernelINS0_14default_configENS1_20scan_config_selectorIjEEZZNS1_9scan_implILNS1_25lookback_scan_determinismE0ELb1ELb1ES3_N6thrust23THRUST_200600_302600_NS6detail15normal_iteratorINS9_10device_ptrIjEEEENS9_16discard_iteratorINS9_11use_defaultEEEj11max_functorIjEjEEDaPvRmT3_T4_T5_mT6_P12ihipStream_tbENKUlT_T0_E_clISt17integral_constantIbLb0EESX_EEDaSS_ST_EUlSS_E0_NS1_11comp_targetILNS1_3genE5ELNS1_11target_archE942ELNS1_3gpuE9ELNS1_3repE0EEENS1_30default_config_static_selectorELNS0_4arch9wavefront6targetE1EEEvT1_,@function
_ZN7rocprim17ROCPRIM_400000_NS6detail17trampoline_kernelINS0_14default_configENS1_20scan_config_selectorIjEEZZNS1_9scan_implILNS1_25lookback_scan_determinismE0ELb1ELb1ES3_N6thrust23THRUST_200600_302600_NS6detail15normal_iteratorINS9_10device_ptrIjEEEENS9_16discard_iteratorINS9_11use_defaultEEEj11max_functorIjEjEEDaPvRmT3_T4_T5_mT6_P12ihipStream_tbENKUlT_T0_E_clISt17integral_constantIbLb0EESX_EEDaSS_ST_EUlSS_E0_NS1_11comp_targetILNS1_3genE5ELNS1_11target_archE942ELNS1_3gpuE9ELNS1_3repE0EEENS1_30default_config_static_selectorELNS0_4arch9wavefront6targetE1EEEvT1_: ; @_ZN7rocprim17ROCPRIM_400000_NS6detail17trampoline_kernelINS0_14default_configENS1_20scan_config_selectorIjEEZZNS1_9scan_implILNS1_25lookback_scan_determinismE0ELb1ELb1ES3_N6thrust23THRUST_200600_302600_NS6detail15normal_iteratorINS9_10device_ptrIjEEEENS9_16discard_iteratorINS9_11use_defaultEEEj11max_functorIjEjEEDaPvRmT3_T4_T5_mT6_P12ihipStream_tbENKUlT_T0_E_clISt17integral_constantIbLb0EESX_EEDaSS_ST_EUlSS_E0_NS1_11comp_targetILNS1_3genE5ELNS1_11target_archE942ELNS1_3gpuE9ELNS1_3repE0EEENS1_30default_config_static_selectorELNS0_4arch9wavefront6targetE1EEEvT1_
; %bb.0:
	.section	.rodata,"a",@progbits
	.p2align	6, 0x0
	.amdhsa_kernel _ZN7rocprim17ROCPRIM_400000_NS6detail17trampoline_kernelINS0_14default_configENS1_20scan_config_selectorIjEEZZNS1_9scan_implILNS1_25lookback_scan_determinismE0ELb1ELb1ES3_N6thrust23THRUST_200600_302600_NS6detail15normal_iteratorINS9_10device_ptrIjEEEENS9_16discard_iteratorINS9_11use_defaultEEEj11max_functorIjEjEEDaPvRmT3_T4_T5_mT6_P12ihipStream_tbENKUlT_T0_E_clISt17integral_constantIbLb0EESX_EEDaSS_ST_EUlSS_E0_NS1_11comp_targetILNS1_3genE5ELNS1_11target_archE942ELNS1_3gpuE9ELNS1_3repE0EEENS1_30default_config_static_selectorELNS0_4arch9wavefront6targetE1EEEvT1_
		.amdhsa_group_segment_fixed_size 0
		.amdhsa_private_segment_fixed_size 0
		.amdhsa_kernarg_size 40
		.amdhsa_user_sgpr_count 6
		.amdhsa_user_sgpr_private_segment_buffer 1
		.amdhsa_user_sgpr_dispatch_ptr 0
		.amdhsa_user_sgpr_queue_ptr 0
		.amdhsa_user_sgpr_kernarg_segment_ptr 1
		.amdhsa_user_sgpr_dispatch_id 0
		.amdhsa_user_sgpr_flat_scratch_init 0
		.amdhsa_user_sgpr_kernarg_preload_length 0
		.amdhsa_user_sgpr_kernarg_preload_offset 0
		.amdhsa_user_sgpr_private_segment_size 0
		.amdhsa_uses_dynamic_stack 0
		.amdhsa_system_sgpr_private_segment_wavefront_offset 0
		.amdhsa_system_sgpr_workgroup_id_x 1
		.amdhsa_system_sgpr_workgroup_id_y 0
		.amdhsa_system_sgpr_workgroup_id_z 0
		.amdhsa_system_sgpr_workgroup_info 0
		.amdhsa_system_vgpr_workitem_id 0
		.amdhsa_next_free_vgpr 1
		.amdhsa_next_free_sgpr 0
		.amdhsa_accum_offset 4
		.amdhsa_reserve_vcc 0
		.amdhsa_reserve_flat_scratch 0
		.amdhsa_float_round_mode_32 0
		.amdhsa_float_round_mode_16_64 0
		.amdhsa_float_denorm_mode_32 3
		.amdhsa_float_denorm_mode_16_64 3
		.amdhsa_dx10_clamp 1
		.amdhsa_ieee_mode 1
		.amdhsa_fp16_overflow 0
		.amdhsa_tg_split 0
		.amdhsa_exception_fp_ieee_invalid_op 0
		.amdhsa_exception_fp_denorm_src 0
		.amdhsa_exception_fp_ieee_div_zero 0
		.amdhsa_exception_fp_ieee_overflow 0
		.amdhsa_exception_fp_ieee_underflow 0
		.amdhsa_exception_fp_ieee_inexact 0
		.amdhsa_exception_int_div_zero 0
	.end_amdhsa_kernel
	.section	.text._ZN7rocprim17ROCPRIM_400000_NS6detail17trampoline_kernelINS0_14default_configENS1_20scan_config_selectorIjEEZZNS1_9scan_implILNS1_25lookback_scan_determinismE0ELb1ELb1ES3_N6thrust23THRUST_200600_302600_NS6detail15normal_iteratorINS9_10device_ptrIjEEEENS9_16discard_iteratorINS9_11use_defaultEEEj11max_functorIjEjEEDaPvRmT3_T4_T5_mT6_P12ihipStream_tbENKUlT_T0_E_clISt17integral_constantIbLb0EESX_EEDaSS_ST_EUlSS_E0_NS1_11comp_targetILNS1_3genE5ELNS1_11target_archE942ELNS1_3gpuE9ELNS1_3repE0EEENS1_30default_config_static_selectorELNS0_4arch9wavefront6targetE1EEEvT1_,"axG",@progbits,_ZN7rocprim17ROCPRIM_400000_NS6detail17trampoline_kernelINS0_14default_configENS1_20scan_config_selectorIjEEZZNS1_9scan_implILNS1_25lookback_scan_determinismE0ELb1ELb1ES3_N6thrust23THRUST_200600_302600_NS6detail15normal_iteratorINS9_10device_ptrIjEEEENS9_16discard_iteratorINS9_11use_defaultEEEj11max_functorIjEjEEDaPvRmT3_T4_T5_mT6_P12ihipStream_tbENKUlT_T0_E_clISt17integral_constantIbLb0EESX_EEDaSS_ST_EUlSS_E0_NS1_11comp_targetILNS1_3genE5ELNS1_11target_archE942ELNS1_3gpuE9ELNS1_3repE0EEENS1_30default_config_static_selectorELNS0_4arch9wavefront6targetE1EEEvT1_,comdat
.Lfunc_end3504:
	.size	_ZN7rocprim17ROCPRIM_400000_NS6detail17trampoline_kernelINS0_14default_configENS1_20scan_config_selectorIjEEZZNS1_9scan_implILNS1_25lookback_scan_determinismE0ELb1ELb1ES3_N6thrust23THRUST_200600_302600_NS6detail15normal_iteratorINS9_10device_ptrIjEEEENS9_16discard_iteratorINS9_11use_defaultEEEj11max_functorIjEjEEDaPvRmT3_T4_T5_mT6_P12ihipStream_tbENKUlT_T0_E_clISt17integral_constantIbLb0EESX_EEDaSS_ST_EUlSS_E0_NS1_11comp_targetILNS1_3genE5ELNS1_11target_archE942ELNS1_3gpuE9ELNS1_3repE0EEENS1_30default_config_static_selectorELNS0_4arch9wavefront6targetE1EEEvT1_, .Lfunc_end3504-_ZN7rocprim17ROCPRIM_400000_NS6detail17trampoline_kernelINS0_14default_configENS1_20scan_config_selectorIjEEZZNS1_9scan_implILNS1_25lookback_scan_determinismE0ELb1ELb1ES3_N6thrust23THRUST_200600_302600_NS6detail15normal_iteratorINS9_10device_ptrIjEEEENS9_16discard_iteratorINS9_11use_defaultEEEj11max_functorIjEjEEDaPvRmT3_T4_T5_mT6_P12ihipStream_tbENKUlT_T0_E_clISt17integral_constantIbLb0EESX_EEDaSS_ST_EUlSS_E0_NS1_11comp_targetILNS1_3genE5ELNS1_11target_archE942ELNS1_3gpuE9ELNS1_3repE0EEENS1_30default_config_static_selectorELNS0_4arch9wavefront6targetE1EEEvT1_
                                        ; -- End function
	.section	.AMDGPU.csdata,"",@progbits
; Kernel info:
; codeLenInByte = 0
; NumSgprs: 4
; NumVgprs: 0
; NumAgprs: 0
; TotalNumVgprs: 0
; ScratchSize: 0
; MemoryBound: 0
; FloatMode: 240
; IeeeMode: 1
; LDSByteSize: 0 bytes/workgroup (compile time only)
; SGPRBlocks: 0
; VGPRBlocks: 0
; NumSGPRsForWavesPerEU: 4
; NumVGPRsForWavesPerEU: 1
; AccumOffset: 4
; Occupancy: 8
; WaveLimiterHint : 0
; COMPUTE_PGM_RSRC2:SCRATCH_EN: 0
; COMPUTE_PGM_RSRC2:USER_SGPR: 6
; COMPUTE_PGM_RSRC2:TRAP_HANDLER: 0
; COMPUTE_PGM_RSRC2:TGID_X_EN: 1
; COMPUTE_PGM_RSRC2:TGID_Y_EN: 0
; COMPUTE_PGM_RSRC2:TGID_Z_EN: 0
; COMPUTE_PGM_RSRC2:TIDIG_COMP_CNT: 0
; COMPUTE_PGM_RSRC3_GFX90A:ACCUM_OFFSET: 0
; COMPUTE_PGM_RSRC3_GFX90A:TG_SPLIT: 0
	.section	.text._ZN7rocprim17ROCPRIM_400000_NS6detail17trampoline_kernelINS0_14default_configENS1_20scan_config_selectorIjEEZZNS1_9scan_implILNS1_25lookback_scan_determinismE0ELb1ELb1ES3_N6thrust23THRUST_200600_302600_NS6detail15normal_iteratorINS9_10device_ptrIjEEEENS9_16discard_iteratorINS9_11use_defaultEEEj11max_functorIjEjEEDaPvRmT3_T4_T5_mT6_P12ihipStream_tbENKUlT_T0_E_clISt17integral_constantIbLb0EESX_EEDaSS_ST_EUlSS_E0_NS1_11comp_targetILNS1_3genE4ELNS1_11target_archE910ELNS1_3gpuE8ELNS1_3repE0EEENS1_30default_config_static_selectorELNS0_4arch9wavefront6targetE1EEEvT1_,"axG",@progbits,_ZN7rocprim17ROCPRIM_400000_NS6detail17trampoline_kernelINS0_14default_configENS1_20scan_config_selectorIjEEZZNS1_9scan_implILNS1_25lookback_scan_determinismE0ELb1ELb1ES3_N6thrust23THRUST_200600_302600_NS6detail15normal_iteratorINS9_10device_ptrIjEEEENS9_16discard_iteratorINS9_11use_defaultEEEj11max_functorIjEjEEDaPvRmT3_T4_T5_mT6_P12ihipStream_tbENKUlT_T0_E_clISt17integral_constantIbLb0EESX_EEDaSS_ST_EUlSS_E0_NS1_11comp_targetILNS1_3genE4ELNS1_11target_archE910ELNS1_3gpuE8ELNS1_3repE0EEENS1_30default_config_static_selectorELNS0_4arch9wavefront6targetE1EEEvT1_,comdat
	.protected	_ZN7rocprim17ROCPRIM_400000_NS6detail17trampoline_kernelINS0_14default_configENS1_20scan_config_selectorIjEEZZNS1_9scan_implILNS1_25lookback_scan_determinismE0ELb1ELb1ES3_N6thrust23THRUST_200600_302600_NS6detail15normal_iteratorINS9_10device_ptrIjEEEENS9_16discard_iteratorINS9_11use_defaultEEEj11max_functorIjEjEEDaPvRmT3_T4_T5_mT6_P12ihipStream_tbENKUlT_T0_E_clISt17integral_constantIbLb0EESX_EEDaSS_ST_EUlSS_E0_NS1_11comp_targetILNS1_3genE4ELNS1_11target_archE910ELNS1_3gpuE8ELNS1_3repE0EEENS1_30default_config_static_selectorELNS0_4arch9wavefront6targetE1EEEvT1_ ; -- Begin function _ZN7rocprim17ROCPRIM_400000_NS6detail17trampoline_kernelINS0_14default_configENS1_20scan_config_selectorIjEEZZNS1_9scan_implILNS1_25lookback_scan_determinismE0ELb1ELb1ES3_N6thrust23THRUST_200600_302600_NS6detail15normal_iteratorINS9_10device_ptrIjEEEENS9_16discard_iteratorINS9_11use_defaultEEEj11max_functorIjEjEEDaPvRmT3_T4_T5_mT6_P12ihipStream_tbENKUlT_T0_E_clISt17integral_constantIbLb0EESX_EEDaSS_ST_EUlSS_E0_NS1_11comp_targetILNS1_3genE4ELNS1_11target_archE910ELNS1_3gpuE8ELNS1_3repE0EEENS1_30default_config_static_selectorELNS0_4arch9wavefront6targetE1EEEvT1_
	.globl	_ZN7rocprim17ROCPRIM_400000_NS6detail17trampoline_kernelINS0_14default_configENS1_20scan_config_selectorIjEEZZNS1_9scan_implILNS1_25lookback_scan_determinismE0ELb1ELb1ES3_N6thrust23THRUST_200600_302600_NS6detail15normal_iteratorINS9_10device_ptrIjEEEENS9_16discard_iteratorINS9_11use_defaultEEEj11max_functorIjEjEEDaPvRmT3_T4_T5_mT6_P12ihipStream_tbENKUlT_T0_E_clISt17integral_constantIbLb0EESX_EEDaSS_ST_EUlSS_E0_NS1_11comp_targetILNS1_3genE4ELNS1_11target_archE910ELNS1_3gpuE8ELNS1_3repE0EEENS1_30default_config_static_selectorELNS0_4arch9wavefront6targetE1EEEvT1_
	.p2align	8
	.type	_ZN7rocprim17ROCPRIM_400000_NS6detail17trampoline_kernelINS0_14default_configENS1_20scan_config_selectorIjEEZZNS1_9scan_implILNS1_25lookback_scan_determinismE0ELb1ELb1ES3_N6thrust23THRUST_200600_302600_NS6detail15normal_iteratorINS9_10device_ptrIjEEEENS9_16discard_iteratorINS9_11use_defaultEEEj11max_functorIjEjEEDaPvRmT3_T4_T5_mT6_P12ihipStream_tbENKUlT_T0_E_clISt17integral_constantIbLb0EESX_EEDaSS_ST_EUlSS_E0_NS1_11comp_targetILNS1_3genE4ELNS1_11target_archE910ELNS1_3gpuE8ELNS1_3repE0EEENS1_30default_config_static_selectorELNS0_4arch9wavefront6targetE1EEEvT1_,@function
_ZN7rocprim17ROCPRIM_400000_NS6detail17trampoline_kernelINS0_14default_configENS1_20scan_config_selectorIjEEZZNS1_9scan_implILNS1_25lookback_scan_determinismE0ELb1ELb1ES3_N6thrust23THRUST_200600_302600_NS6detail15normal_iteratorINS9_10device_ptrIjEEEENS9_16discard_iteratorINS9_11use_defaultEEEj11max_functorIjEjEEDaPvRmT3_T4_T5_mT6_P12ihipStream_tbENKUlT_T0_E_clISt17integral_constantIbLb0EESX_EEDaSS_ST_EUlSS_E0_NS1_11comp_targetILNS1_3genE4ELNS1_11target_archE910ELNS1_3gpuE8ELNS1_3repE0EEENS1_30default_config_static_selectorELNS0_4arch9wavefront6targetE1EEEvT1_: ; @_ZN7rocprim17ROCPRIM_400000_NS6detail17trampoline_kernelINS0_14default_configENS1_20scan_config_selectorIjEEZZNS1_9scan_implILNS1_25lookback_scan_determinismE0ELb1ELb1ES3_N6thrust23THRUST_200600_302600_NS6detail15normal_iteratorINS9_10device_ptrIjEEEENS9_16discard_iteratorINS9_11use_defaultEEEj11max_functorIjEjEEDaPvRmT3_T4_T5_mT6_P12ihipStream_tbENKUlT_T0_E_clISt17integral_constantIbLb0EESX_EEDaSS_ST_EUlSS_E0_NS1_11comp_targetILNS1_3genE4ELNS1_11target_archE910ELNS1_3gpuE8ELNS1_3repE0EEENS1_30default_config_static_selectorELNS0_4arch9wavefront6targetE1EEEvT1_
; %bb.0:
	s_load_dwordx4 s[0:3], s[4:5], 0x0
	v_lshlrev_b32_e32 v1, 2, v0
	s_waitcnt lgkmcnt(0)
	s_load_dword s3, s[0:1], 0x0
	v_cmp_gt_u32_e32 vcc, s2, v0
	s_waitcnt lgkmcnt(0)
	v_mov_b32_e32 v2, s3
	s_and_saveexec_b64 s[6:7], vcc
	s_cbranch_execz .LBB3505_2
; %bb.1:
	global_load_dword v2, v1, s[0:1]
.LBB3505_2:
	s_or_b64 exec, exec, s[6:7]
	v_or_b32_e32 v3, 0x80, v0
	v_cmp_gt_u32_e32 vcc, s2, v3
	v_mov_b32_e32 v3, s3
	s_and_saveexec_b64 s[6:7], vcc
	s_cbranch_execz .LBB3505_4
; %bb.3:
	global_load_dword v3, v1, s[0:1] offset:512
.LBB3505_4:
	s_or_b64 exec, exec, s[6:7]
	v_or_b32_e32 v4, 0x100, v0
	v_cmp_gt_u32_e32 vcc, s2, v4
	v_mov_b32_e32 v4, s3
	s_and_saveexec_b64 s[6:7], vcc
	s_cbranch_execz .LBB3505_6
; %bb.5:
	global_load_dword v4, v1, s[0:1] offset:1024
.LBB3505_6:
	s_or_b64 exec, exec, s[6:7]
	v_or_b32_e32 v5, 0x180, v0
	v_cmp_gt_u32_e32 vcc, s2, v5
	v_mov_b32_e32 v5, s3
	s_and_saveexec_b64 s[6:7], vcc
	s_cbranch_execz .LBB3505_8
; %bb.7:
	global_load_dword v5, v1, s[0:1] offset:1536
.LBB3505_8:
	s_or_b64 exec, exec, s[6:7]
	v_or_b32_e32 v6, 0x200, v0
	v_cmp_gt_u32_e32 vcc, s2, v6
	v_mov_b32_e32 v6, s3
	s_and_saveexec_b64 s[6:7], vcc
	s_cbranch_execz .LBB3505_10
; %bb.9:
	global_load_dword v6, v1, s[0:1] offset:2048
.LBB3505_10:
	s_or_b64 exec, exec, s[6:7]
	v_or_b32_e32 v7, 0x280, v0
	v_cmp_gt_u32_e32 vcc, s2, v7
	v_mov_b32_e32 v7, s3
	s_and_saveexec_b64 s[6:7], vcc
	s_cbranch_execz .LBB3505_12
; %bb.11:
	global_load_dword v7, v1, s[0:1] offset:2560
.LBB3505_12:
	s_or_b64 exec, exec, s[6:7]
	v_or_b32_e32 v8, 0x300, v0
	v_cmp_gt_u32_e32 vcc, s2, v8
	v_mov_b32_e32 v8, s3
	s_and_saveexec_b64 s[6:7], vcc
	s_cbranch_execz .LBB3505_14
; %bb.13:
	global_load_dword v8, v1, s[0:1] offset:3072
.LBB3505_14:
	s_or_b64 exec, exec, s[6:7]
	v_or_b32_e32 v9, 0x380, v0
	v_cmp_gt_u32_e32 vcc, s2, v9
	v_mov_b32_e32 v9, s3
	s_and_saveexec_b64 s[6:7], vcc
	s_cbranch_execz .LBB3505_16
; %bb.15:
	global_load_dword v9, v1, s[0:1] offset:3584
.LBB3505_16:
	s_or_b64 exec, exec, s[6:7]
	v_or_b32_e32 v11, 0x400, v0
	v_cmp_gt_u32_e32 vcc, s2, v11
	v_mov_b32_e32 v10, s3
	s_and_saveexec_b64 s[6:7], vcc
	s_cbranch_execz .LBB3505_18
; %bb.17:
	v_lshlrev_b32_e32 v10, 2, v11
	global_load_dword v10, v10, s[0:1]
.LBB3505_18:
	s_or_b64 exec, exec, s[6:7]
	s_load_dword s4, s[4:5], 0x10
	v_or_b32_e32 v12, 0x480, v0
	v_cmp_gt_u32_e32 vcc, s2, v12
	v_mov_b32_e32 v11, s3
	s_and_saveexec_b64 s[2:3], vcc
	s_cbranch_execz .LBB3505_20
; %bb.19:
	v_lshlrev_b32_e32 v11, 2, v12
	global_load_dword v11, v11, s[0:1]
.LBB3505_20:
	s_or_b64 exec, exec, s[2:3]
	s_waitcnt vmcnt(0)
	ds_write2st64_b32 v1, v2, v3 offset1:2
	ds_write2st64_b32 v1, v4, v5 offset0:4 offset1:6
	ds_write2st64_b32 v1, v6, v7 offset0:8 offset1:10
	;; [unrolled: 1-line block ×4, first 2 shown]
	v_mad_u32_u24 v10, v0, 36, v1
	s_waitcnt lgkmcnt(0)
	s_barrier
	ds_read2_b64 v[6:9], v10 offset1:1
	ds_read2_b64 v[2:5], v10 offset0:2 offset1:3
	ds_read_b64 v[10:11], v10 offset:32
	v_cmp_gt_u32_e32 vcc, 64, v0
	s_waitcnt lgkmcnt(0)
	v_max_u32_e32 v12, v6, v7
	v_max3_u32 v12, v12, v8, v9
	v_max3_u32 v12, v12, v2, v3
	;; [unrolled: 1-line block ×4, first 2 shown]
	v_lshrrev_b32_e32 v12, 3, v0
	v_and_b32_e32 v12, 12, v12
	v_add_u32_e32 v12, v1, v12
	s_barrier
	ds_write_b32 v12, v11
	s_waitcnt lgkmcnt(0)
	s_barrier
	s_and_saveexec_b64 s[0:1], vcc
	s_cbranch_execz .LBB3505_22
; %bb.21:
	v_lshlrev_b32_e32 v12, 1, v0
	v_lshrrev_b32_e32 v13, 4, v0
	v_add_lshl_u32 v14, v13, v12, 2
	ds_read2_b32 v[12:13], v14 offset1:1
	v_mbcnt_lo_u32_b32 v15, -1, 0
	v_mbcnt_hi_u32_b32 v15, -1, v15
	v_and_b32_e32 v16, 15, v15
	v_cmp_eq_u32_e32 vcc, 0, v16
	s_waitcnt lgkmcnt(0)
	v_max_u32_e32 v13, v12, v13
	; wave barrier
	s_nop 1
	v_mov_b32_dpp v17, v13 row_shr:1 row_mask:0xf bank_mask:0xf
	v_max_u32_e32 v17, v17, v13
	v_cndmask_b32_e32 v13, v17, v13, vcc
	v_cmp_lt_u32_e32 vcc, 1, v16
	s_nop 0
	v_mov_b32_dpp v17, v13 row_shr:2 row_mask:0xf bank_mask:0xf
	v_max_u32_e32 v17, v17, v13
	v_cndmask_b32_e32 v13, v13, v17, vcc
	v_cmp_lt_u32_e32 vcc, 3, v16
	;; [unrolled: 5-line block ×3, first 2 shown]
	s_nop 0
	v_mov_b32_dpp v17, v13 row_shr:8 row_mask:0xf bank_mask:0xf
	v_max_u32_e32 v17, v17, v13
	v_cndmask_b32_e32 v13, v13, v17, vcc
	v_and_b32_e32 v17, 16, v15
	v_cmp_eq_u32_e32 vcc, 0, v17
	v_mov_b32_dpp v16, v13 row_bcast:15 row_mask:0xf bank_mask:0xf
	v_max_u32_e32 v16, v16, v13
	v_cndmask_b32_e32 v13, v16, v13, vcc
	v_cmp_lt_u32_e32 vcc, 31, v15
	v_and_b32_e32 v17, 64, v15
	v_mov_b32_dpp v16, v13 row_bcast:31 row_mask:0xf bank_mask:0xf
	v_max_u32_e32 v16, v16, v13
	v_cndmask_b32_e32 v13, v13, v16, vcc
	v_add_u32_e32 v16, -1, v15
	v_cmp_lt_i32_e32 vcc, v16, v17
	v_cndmask_b32_e32 v15, v16, v15, vcc
	v_lshlrev_b32_e32 v15, 2, v15
	ds_bpermute_b32 v13, v15, v13
	v_cmp_eq_u32_e32 vcc, 0, v0
	s_waitcnt lgkmcnt(0)
	v_max_u32_e32 v12, v13, v12
	v_cndmask_b32_e32 v11, v12, v11, vcc
	ds_write_b32 v14, v11
	; wave barrier
	ds_read_b32 v12, v14 offset:4
	s_waitcnt lgkmcnt(0)
	v_max_u32_e32 v11, v11, v12
	ds_write_b32 v14, v11 offset:4
.LBB3505_22:
	s_or_b64 exec, exec, s[0:1]
	v_mul_u32_u24_e32 v11, 36, v0
	v_cmp_ne_u32_e32 vcc, 0, v0
	v_mov_b32_e32 v12, s4
	s_waitcnt lgkmcnt(0)
	s_barrier
	s_and_saveexec_b64 s[0:1], vcc
	s_cbranch_execz .LBB3505_24
; %bb.23:
	v_add_u32_e32 v0, -1, v0
	v_lshrrev_b32_e32 v12, 5, v0
	v_add_lshl_u32 v0, v12, v0, 2
	ds_read_b32 v0, v0
	s_waitcnt lgkmcnt(0)
	v_max_u32_e32 v12, s4, v0
.LBB3505_24:
	s_or_b64 exec, exec, s[0:1]
	v_max_u32_e32 v13, v12, v6
	v_max_u32_e32 v6, v13, v7
	;; [unrolled: 1-line block ×8, first 2 shown]
	v_add_u32_e32 v0, v1, v11
	v_max_u32_e32 v5, v4, v10
	s_barrier
	ds_write2_b64 v0, v[12:13], v[6:7] offset1:1
	ds_write2_b64 v0, v[8:9], v[2:3] offset0:2 offset1:3
	ds_write_b64 v0, v[4:5] offset:32
	s_waitcnt lgkmcnt(0)
	s_barrier
	s_endpgm
	.section	.rodata,"a",@progbits
	.p2align	6, 0x0
	.amdhsa_kernel _ZN7rocprim17ROCPRIM_400000_NS6detail17trampoline_kernelINS0_14default_configENS1_20scan_config_selectorIjEEZZNS1_9scan_implILNS1_25lookback_scan_determinismE0ELb1ELb1ES3_N6thrust23THRUST_200600_302600_NS6detail15normal_iteratorINS9_10device_ptrIjEEEENS9_16discard_iteratorINS9_11use_defaultEEEj11max_functorIjEjEEDaPvRmT3_T4_T5_mT6_P12ihipStream_tbENKUlT_T0_E_clISt17integral_constantIbLb0EESX_EEDaSS_ST_EUlSS_E0_NS1_11comp_targetILNS1_3genE4ELNS1_11target_archE910ELNS1_3gpuE8ELNS1_3repE0EEENS1_30default_config_static_selectorELNS0_4arch9wavefront6targetE1EEEvT1_
		.amdhsa_group_segment_fixed_size 5120
		.amdhsa_private_segment_fixed_size 0
		.amdhsa_kernarg_size 40
		.amdhsa_user_sgpr_count 6
		.amdhsa_user_sgpr_private_segment_buffer 1
		.amdhsa_user_sgpr_dispatch_ptr 0
		.amdhsa_user_sgpr_queue_ptr 0
		.amdhsa_user_sgpr_kernarg_segment_ptr 1
		.amdhsa_user_sgpr_dispatch_id 0
		.amdhsa_user_sgpr_flat_scratch_init 0
		.amdhsa_user_sgpr_kernarg_preload_length 0
		.amdhsa_user_sgpr_kernarg_preload_offset 0
		.amdhsa_user_sgpr_private_segment_size 0
		.amdhsa_uses_dynamic_stack 0
		.amdhsa_system_sgpr_private_segment_wavefront_offset 0
		.amdhsa_system_sgpr_workgroup_id_x 1
		.amdhsa_system_sgpr_workgroup_id_y 0
		.amdhsa_system_sgpr_workgroup_id_z 0
		.amdhsa_system_sgpr_workgroup_info 0
		.amdhsa_system_vgpr_workitem_id 0
		.amdhsa_next_free_vgpr 18
		.amdhsa_next_free_sgpr 8
		.amdhsa_accum_offset 20
		.amdhsa_reserve_vcc 1
		.amdhsa_reserve_flat_scratch 0
		.amdhsa_float_round_mode_32 0
		.amdhsa_float_round_mode_16_64 0
		.amdhsa_float_denorm_mode_32 3
		.amdhsa_float_denorm_mode_16_64 3
		.amdhsa_dx10_clamp 1
		.amdhsa_ieee_mode 1
		.amdhsa_fp16_overflow 0
		.amdhsa_tg_split 0
		.amdhsa_exception_fp_ieee_invalid_op 0
		.amdhsa_exception_fp_denorm_src 0
		.amdhsa_exception_fp_ieee_div_zero 0
		.amdhsa_exception_fp_ieee_overflow 0
		.amdhsa_exception_fp_ieee_underflow 0
		.amdhsa_exception_fp_ieee_inexact 0
		.amdhsa_exception_int_div_zero 0
	.end_amdhsa_kernel
	.section	.text._ZN7rocprim17ROCPRIM_400000_NS6detail17trampoline_kernelINS0_14default_configENS1_20scan_config_selectorIjEEZZNS1_9scan_implILNS1_25lookback_scan_determinismE0ELb1ELb1ES3_N6thrust23THRUST_200600_302600_NS6detail15normal_iteratorINS9_10device_ptrIjEEEENS9_16discard_iteratorINS9_11use_defaultEEEj11max_functorIjEjEEDaPvRmT3_T4_T5_mT6_P12ihipStream_tbENKUlT_T0_E_clISt17integral_constantIbLb0EESX_EEDaSS_ST_EUlSS_E0_NS1_11comp_targetILNS1_3genE4ELNS1_11target_archE910ELNS1_3gpuE8ELNS1_3repE0EEENS1_30default_config_static_selectorELNS0_4arch9wavefront6targetE1EEEvT1_,"axG",@progbits,_ZN7rocprim17ROCPRIM_400000_NS6detail17trampoline_kernelINS0_14default_configENS1_20scan_config_selectorIjEEZZNS1_9scan_implILNS1_25lookback_scan_determinismE0ELb1ELb1ES3_N6thrust23THRUST_200600_302600_NS6detail15normal_iteratorINS9_10device_ptrIjEEEENS9_16discard_iteratorINS9_11use_defaultEEEj11max_functorIjEjEEDaPvRmT3_T4_T5_mT6_P12ihipStream_tbENKUlT_T0_E_clISt17integral_constantIbLb0EESX_EEDaSS_ST_EUlSS_E0_NS1_11comp_targetILNS1_3genE4ELNS1_11target_archE910ELNS1_3gpuE8ELNS1_3repE0EEENS1_30default_config_static_selectorELNS0_4arch9wavefront6targetE1EEEvT1_,comdat
.Lfunc_end3505:
	.size	_ZN7rocprim17ROCPRIM_400000_NS6detail17trampoline_kernelINS0_14default_configENS1_20scan_config_selectorIjEEZZNS1_9scan_implILNS1_25lookback_scan_determinismE0ELb1ELb1ES3_N6thrust23THRUST_200600_302600_NS6detail15normal_iteratorINS9_10device_ptrIjEEEENS9_16discard_iteratorINS9_11use_defaultEEEj11max_functorIjEjEEDaPvRmT3_T4_T5_mT6_P12ihipStream_tbENKUlT_T0_E_clISt17integral_constantIbLb0EESX_EEDaSS_ST_EUlSS_E0_NS1_11comp_targetILNS1_3genE4ELNS1_11target_archE910ELNS1_3gpuE8ELNS1_3repE0EEENS1_30default_config_static_selectorELNS0_4arch9wavefront6targetE1EEEvT1_, .Lfunc_end3505-_ZN7rocprim17ROCPRIM_400000_NS6detail17trampoline_kernelINS0_14default_configENS1_20scan_config_selectorIjEEZZNS1_9scan_implILNS1_25lookback_scan_determinismE0ELb1ELb1ES3_N6thrust23THRUST_200600_302600_NS6detail15normal_iteratorINS9_10device_ptrIjEEEENS9_16discard_iteratorINS9_11use_defaultEEEj11max_functorIjEjEEDaPvRmT3_T4_T5_mT6_P12ihipStream_tbENKUlT_T0_E_clISt17integral_constantIbLb0EESX_EEDaSS_ST_EUlSS_E0_NS1_11comp_targetILNS1_3genE4ELNS1_11target_archE910ELNS1_3gpuE8ELNS1_3repE0EEENS1_30default_config_static_selectorELNS0_4arch9wavefront6targetE1EEEvT1_
                                        ; -- End function
	.section	.AMDGPU.csdata,"",@progbits
; Kernel info:
; codeLenInByte = 980
; NumSgprs: 12
; NumVgprs: 18
; NumAgprs: 0
; TotalNumVgprs: 18
; ScratchSize: 0
; MemoryBound: 0
; FloatMode: 240
; IeeeMode: 1
; LDSByteSize: 5120 bytes/workgroup (compile time only)
; SGPRBlocks: 1
; VGPRBlocks: 2
; NumSGPRsForWavesPerEU: 12
; NumVGPRsForWavesPerEU: 18
; AccumOffset: 20
; Occupancy: 6
; WaveLimiterHint : 0
; COMPUTE_PGM_RSRC2:SCRATCH_EN: 0
; COMPUTE_PGM_RSRC2:USER_SGPR: 6
; COMPUTE_PGM_RSRC2:TRAP_HANDLER: 0
; COMPUTE_PGM_RSRC2:TGID_X_EN: 1
; COMPUTE_PGM_RSRC2:TGID_Y_EN: 0
; COMPUTE_PGM_RSRC2:TGID_Z_EN: 0
; COMPUTE_PGM_RSRC2:TIDIG_COMP_CNT: 0
; COMPUTE_PGM_RSRC3_GFX90A:ACCUM_OFFSET: 4
; COMPUTE_PGM_RSRC3_GFX90A:TG_SPLIT: 0
	.section	.text._ZN7rocprim17ROCPRIM_400000_NS6detail17trampoline_kernelINS0_14default_configENS1_20scan_config_selectorIjEEZZNS1_9scan_implILNS1_25lookback_scan_determinismE0ELb1ELb1ES3_N6thrust23THRUST_200600_302600_NS6detail15normal_iteratorINS9_10device_ptrIjEEEENS9_16discard_iteratorINS9_11use_defaultEEEj11max_functorIjEjEEDaPvRmT3_T4_T5_mT6_P12ihipStream_tbENKUlT_T0_E_clISt17integral_constantIbLb0EESX_EEDaSS_ST_EUlSS_E0_NS1_11comp_targetILNS1_3genE3ELNS1_11target_archE908ELNS1_3gpuE7ELNS1_3repE0EEENS1_30default_config_static_selectorELNS0_4arch9wavefront6targetE1EEEvT1_,"axG",@progbits,_ZN7rocprim17ROCPRIM_400000_NS6detail17trampoline_kernelINS0_14default_configENS1_20scan_config_selectorIjEEZZNS1_9scan_implILNS1_25lookback_scan_determinismE0ELb1ELb1ES3_N6thrust23THRUST_200600_302600_NS6detail15normal_iteratorINS9_10device_ptrIjEEEENS9_16discard_iteratorINS9_11use_defaultEEEj11max_functorIjEjEEDaPvRmT3_T4_T5_mT6_P12ihipStream_tbENKUlT_T0_E_clISt17integral_constantIbLb0EESX_EEDaSS_ST_EUlSS_E0_NS1_11comp_targetILNS1_3genE3ELNS1_11target_archE908ELNS1_3gpuE7ELNS1_3repE0EEENS1_30default_config_static_selectorELNS0_4arch9wavefront6targetE1EEEvT1_,comdat
	.protected	_ZN7rocprim17ROCPRIM_400000_NS6detail17trampoline_kernelINS0_14default_configENS1_20scan_config_selectorIjEEZZNS1_9scan_implILNS1_25lookback_scan_determinismE0ELb1ELb1ES3_N6thrust23THRUST_200600_302600_NS6detail15normal_iteratorINS9_10device_ptrIjEEEENS9_16discard_iteratorINS9_11use_defaultEEEj11max_functorIjEjEEDaPvRmT3_T4_T5_mT6_P12ihipStream_tbENKUlT_T0_E_clISt17integral_constantIbLb0EESX_EEDaSS_ST_EUlSS_E0_NS1_11comp_targetILNS1_3genE3ELNS1_11target_archE908ELNS1_3gpuE7ELNS1_3repE0EEENS1_30default_config_static_selectorELNS0_4arch9wavefront6targetE1EEEvT1_ ; -- Begin function _ZN7rocprim17ROCPRIM_400000_NS6detail17trampoline_kernelINS0_14default_configENS1_20scan_config_selectorIjEEZZNS1_9scan_implILNS1_25lookback_scan_determinismE0ELb1ELb1ES3_N6thrust23THRUST_200600_302600_NS6detail15normal_iteratorINS9_10device_ptrIjEEEENS9_16discard_iteratorINS9_11use_defaultEEEj11max_functorIjEjEEDaPvRmT3_T4_T5_mT6_P12ihipStream_tbENKUlT_T0_E_clISt17integral_constantIbLb0EESX_EEDaSS_ST_EUlSS_E0_NS1_11comp_targetILNS1_3genE3ELNS1_11target_archE908ELNS1_3gpuE7ELNS1_3repE0EEENS1_30default_config_static_selectorELNS0_4arch9wavefront6targetE1EEEvT1_
	.globl	_ZN7rocprim17ROCPRIM_400000_NS6detail17trampoline_kernelINS0_14default_configENS1_20scan_config_selectorIjEEZZNS1_9scan_implILNS1_25lookback_scan_determinismE0ELb1ELb1ES3_N6thrust23THRUST_200600_302600_NS6detail15normal_iteratorINS9_10device_ptrIjEEEENS9_16discard_iteratorINS9_11use_defaultEEEj11max_functorIjEjEEDaPvRmT3_T4_T5_mT6_P12ihipStream_tbENKUlT_T0_E_clISt17integral_constantIbLb0EESX_EEDaSS_ST_EUlSS_E0_NS1_11comp_targetILNS1_3genE3ELNS1_11target_archE908ELNS1_3gpuE7ELNS1_3repE0EEENS1_30default_config_static_selectorELNS0_4arch9wavefront6targetE1EEEvT1_
	.p2align	8
	.type	_ZN7rocprim17ROCPRIM_400000_NS6detail17trampoline_kernelINS0_14default_configENS1_20scan_config_selectorIjEEZZNS1_9scan_implILNS1_25lookback_scan_determinismE0ELb1ELb1ES3_N6thrust23THRUST_200600_302600_NS6detail15normal_iteratorINS9_10device_ptrIjEEEENS9_16discard_iteratorINS9_11use_defaultEEEj11max_functorIjEjEEDaPvRmT3_T4_T5_mT6_P12ihipStream_tbENKUlT_T0_E_clISt17integral_constantIbLb0EESX_EEDaSS_ST_EUlSS_E0_NS1_11comp_targetILNS1_3genE3ELNS1_11target_archE908ELNS1_3gpuE7ELNS1_3repE0EEENS1_30default_config_static_selectorELNS0_4arch9wavefront6targetE1EEEvT1_,@function
_ZN7rocprim17ROCPRIM_400000_NS6detail17trampoline_kernelINS0_14default_configENS1_20scan_config_selectorIjEEZZNS1_9scan_implILNS1_25lookback_scan_determinismE0ELb1ELb1ES3_N6thrust23THRUST_200600_302600_NS6detail15normal_iteratorINS9_10device_ptrIjEEEENS9_16discard_iteratorINS9_11use_defaultEEEj11max_functorIjEjEEDaPvRmT3_T4_T5_mT6_P12ihipStream_tbENKUlT_T0_E_clISt17integral_constantIbLb0EESX_EEDaSS_ST_EUlSS_E0_NS1_11comp_targetILNS1_3genE3ELNS1_11target_archE908ELNS1_3gpuE7ELNS1_3repE0EEENS1_30default_config_static_selectorELNS0_4arch9wavefront6targetE1EEEvT1_: ; @_ZN7rocprim17ROCPRIM_400000_NS6detail17trampoline_kernelINS0_14default_configENS1_20scan_config_selectorIjEEZZNS1_9scan_implILNS1_25lookback_scan_determinismE0ELb1ELb1ES3_N6thrust23THRUST_200600_302600_NS6detail15normal_iteratorINS9_10device_ptrIjEEEENS9_16discard_iteratorINS9_11use_defaultEEEj11max_functorIjEjEEDaPvRmT3_T4_T5_mT6_P12ihipStream_tbENKUlT_T0_E_clISt17integral_constantIbLb0EESX_EEDaSS_ST_EUlSS_E0_NS1_11comp_targetILNS1_3genE3ELNS1_11target_archE908ELNS1_3gpuE7ELNS1_3repE0EEENS1_30default_config_static_selectorELNS0_4arch9wavefront6targetE1EEEvT1_
; %bb.0:
	.section	.rodata,"a",@progbits
	.p2align	6, 0x0
	.amdhsa_kernel _ZN7rocprim17ROCPRIM_400000_NS6detail17trampoline_kernelINS0_14default_configENS1_20scan_config_selectorIjEEZZNS1_9scan_implILNS1_25lookback_scan_determinismE0ELb1ELb1ES3_N6thrust23THRUST_200600_302600_NS6detail15normal_iteratorINS9_10device_ptrIjEEEENS9_16discard_iteratorINS9_11use_defaultEEEj11max_functorIjEjEEDaPvRmT3_T4_T5_mT6_P12ihipStream_tbENKUlT_T0_E_clISt17integral_constantIbLb0EESX_EEDaSS_ST_EUlSS_E0_NS1_11comp_targetILNS1_3genE3ELNS1_11target_archE908ELNS1_3gpuE7ELNS1_3repE0EEENS1_30default_config_static_selectorELNS0_4arch9wavefront6targetE1EEEvT1_
		.amdhsa_group_segment_fixed_size 0
		.amdhsa_private_segment_fixed_size 0
		.amdhsa_kernarg_size 40
		.amdhsa_user_sgpr_count 6
		.amdhsa_user_sgpr_private_segment_buffer 1
		.amdhsa_user_sgpr_dispatch_ptr 0
		.amdhsa_user_sgpr_queue_ptr 0
		.amdhsa_user_sgpr_kernarg_segment_ptr 1
		.amdhsa_user_sgpr_dispatch_id 0
		.amdhsa_user_sgpr_flat_scratch_init 0
		.amdhsa_user_sgpr_kernarg_preload_length 0
		.amdhsa_user_sgpr_kernarg_preload_offset 0
		.amdhsa_user_sgpr_private_segment_size 0
		.amdhsa_uses_dynamic_stack 0
		.amdhsa_system_sgpr_private_segment_wavefront_offset 0
		.amdhsa_system_sgpr_workgroup_id_x 1
		.amdhsa_system_sgpr_workgroup_id_y 0
		.amdhsa_system_sgpr_workgroup_id_z 0
		.amdhsa_system_sgpr_workgroup_info 0
		.amdhsa_system_vgpr_workitem_id 0
		.amdhsa_next_free_vgpr 1
		.amdhsa_next_free_sgpr 0
		.amdhsa_accum_offset 4
		.amdhsa_reserve_vcc 0
		.amdhsa_reserve_flat_scratch 0
		.amdhsa_float_round_mode_32 0
		.amdhsa_float_round_mode_16_64 0
		.amdhsa_float_denorm_mode_32 3
		.amdhsa_float_denorm_mode_16_64 3
		.amdhsa_dx10_clamp 1
		.amdhsa_ieee_mode 1
		.amdhsa_fp16_overflow 0
		.amdhsa_tg_split 0
		.amdhsa_exception_fp_ieee_invalid_op 0
		.amdhsa_exception_fp_denorm_src 0
		.amdhsa_exception_fp_ieee_div_zero 0
		.amdhsa_exception_fp_ieee_overflow 0
		.amdhsa_exception_fp_ieee_underflow 0
		.amdhsa_exception_fp_ieee_inexact 0
		.amdhsa_exception_int_div_zero 0
	.end_amdhsa_kernel
	.section	.text._ZN7rocprim17ROCPRIM_400000_NS6detail17trampoline_kernelINS0_14default_configENS1_20scan_config_selectorIjEEZZNS1_9scan_implILNS1_25lookback_scan_determinismE0ELb1ELb1ES3_N6thrust23THRUST_200600_302600_NS6detail15normal_iteratorINS9_10device_ptrIjEEEENS9_16discard_iteratorINS9_11use_defaultEEEj11max_functorIjEjEEDaPvRmT3_T4_T5_mT6_P12ihipStream_tbENKUlT_T0_E_clISt17integral_constantIbLb0EESX_EEDaSS_ST_EUlSS_E0_NS1_11comp_targetILNS1_3genE3ELNS1_11target_archE908ELNS1_3gpuE7ELNS1_3repE0EEENS1_30default_config_static_selectorELNS0_4arch9wavefront6targetE1EEEvT1_,"axG",@progbits,_ZN7rocprim17ROCPRIM_400000_NS6detail17trampoline_kernelINS0_14default_configENS1_20scan_config_selectorIjEEZZNS1_9scan_implILNS1_25lookback_scan_determinismE0ELb1ELb1ES3_N6thrust23THRUST_200600_302600_NS6detail15normal_iteratorINS9_10device_ptrIjEEEENS9_16discard_iteratorINS9_11use_defaultEEEj11max_functorIjEjEEDaPvRmT3_T4_T5_mT6_P12ihipStream_tbENKUlT_T0_E_clISt17integral_constantIbLb0EESX_EEDaSS_ST_EUlSS_E0_NS1_11comp_targetILNS1_3genE3ELNS1_11target_archE908ELNS1_3gpuE7ELNS1_3repE0EEENS1_30default_config_static_selectorELNS0_4arch9wavefront6targetE1EEEvT1_,comdat
.Lfunc_end3506:
	.size	_ZN7rocprim17ROCPRIM_400000_NS6detail17trampoline_kernelINS0_14default_configENS1_20scan_config_selectorIjEEZZNS1_9scan_implILNS1_25lookback_scan_determinismE0ELb1ELb1ES3_N6thrust23THRUST_200600_302600_NS6detail15normal_iteratorINS9_10device_ptrIjEEEENS9_16discard_iteratorINS9_11use_defaultEEEj11max_functorIjEjEEDaPvRmT3_T4_T5_mT6_P12ihipStream_tbENKUlT_T0_E_clISt17integral_constantIbLb0EESX_EEDaSS_ST_EUlSS_E0_NS1_11comp_targetILNS1_3genE3ELNS1_11target_archE908ELNS1_3gpuE7ELNS1_3repE0EEENS1_30default_config_static_selectorELNS0_4arch9wavefront6targetE1EEEvT1_, .Lfunc_end3506-_ZN7rocprim17ROCPRIM_400000_NS6detail17trampoline_kernelINS0_14default_configENS1_20scan_config_selectorIjEEZZNS1_9scan_implILNS1_25lookback_scan_determinismE0ELb1ELb1ES3_N6thrust23THRUST_200600_302600_NS6detail15normal_iteratorINS9_10device_ptrIjEEEENS9_16discard_iteratorINS9_11use_defaultEEEj11max_functorIjEjEEDaPvRmT3_T4_T5_mT6_P12ihipStream_tbENKUlT_T0_E_clISt17integral_constantIbLb0EESX_EEDaSS_ST_EUlSS_E0_NS1_11comp_targetILNS1_3genE3ELNS1_11target_archE908ELNS1_3gpuE7ELNS1_3repE0EEENS1_30default_config_static_selectorELNS0_4arch9wavefront6targetE1EEEvT1_
                                        ; -- End function
	.section	.AMDGPU.csdata,"",@progbits
; Kernel info:
; codeLenInByte = 0
; NumSgprs: 4
; NumVgprs: 0
; NumAgprs: 0
; TotalNumVgprs: 0
; ScratchSize: 0
; MemoryBound: 0
; FloatMode: 240
; IeeeMode: 1
; LDSByteSize: 0 bytes/workgroup (compile time only)
; SGPRBlocks: 0
; VGPRBlocks: 0
; NumSGPRsForWavesPerEU: 4
; NumVGPRsForWavesPerEU: 1
; AccumOffset: 4
; Occupancy: 8
; WaveLimiterHint : 0
; COMPUTE_PGM_RSRC2:SCRATCH_EN: 0
; COMPUTE_PGM_RSRC2:USER_SGPR: 6
; COMPUTE_PGM_RSRC2:TRAP_HANDLER: 0
; COMPUTE_PGM_RSRC2:TGID_X_EN: 1
; COMPUTE_PGM_RSRC2:TGID_Y_EN: 0
; COMPUTE_PGM_RSRC2:TGID_Z_EN: 0
; COMPUTE_PGM_RSRC2:TIDIG_COMP_CNT: 0
; COMPUTE_PGM_RSRC3_GFX90A:ACCUM_OFFSET: 0
; COMPUTE_PGM_RSRC3_GFX90A:TG_SPLIT: 0
	.section	.text._ZN7rocprim17ROCPRIM_400000_NS6detail17trampoline_kernelINS0_14default_configENS1_20scan_config_selectorIjEEZZNS1_9scan_implILNS1_25lookback_scan_determinismE0ELb1ELb1ES3_N6thrust23THRUST_200600_302600_NS6detail15normal_iteratorINS9_10device_ptrIjEEEENS9_16discard_iteratorINS9_11use_defaultEEEj11max_functorIjEjEEDaPvRmT3_T4_T5_mT6_P12ihipStream_tbENKUlT_T0_E_clISt17integral_constantIbLb0EESX_EEDaSS_ST_EUlSS_E0_NS1_11comp_targetILNS1_3genE2ELNS1_11target_archE906ELNS1_3gpuE6ELNS1_3repE0EEENS1_30default_config_static_selectorELNS0_4arch9wavefront6targetE1EEEvT1_,"axG",@progbits,_ZN7rocprim17ROCPRIM_400000_NS6detail17trampoline_kernelINS0_14default_configENS1_20scan_config_selectorIjEEZZNS1_9scan_implILNS1_25lookback_scan_determinismE0ELb1ELb1ES3_N6thrust23THRUST_200600_302600_NS6detail15normal_iteratorINS9_10device_ptrIjEEEENS9_16discard_iteratorINS9_11use_defaultEEEj11max_functorIjEjEEDaPvRmT3_T4_T5_mT6_P12ihipStream_tbENKUlT_T0_E_clISt17integral_constantIbLb0EESX_EEDaSS_ST_EUlSS_E0_NS1_11comp_targetILNS1_3genE2ELNS1_11target_archE906ELNS1_3gpuE6ELNS1_3repE0EEENS1_30default_config_static_selectorELNS0_4arch9wavefront6targetE1EEEvT1_,comdat
	.protected	_ZN7rocprim17ROCPRIM_400000_NS6detail17trampoline_kernelINS0_14default_configENS1_20scan_config_selectorIjEEZZNS1_9scan_implILNS1_25lookback_scan_determinismE0ELb1ELb1ES3_N6thrust23THRUST_200600_302600_NS6detail15normal_iteratorINS9_10device_ptrIjEEEENS9_16discard_iteratorINS9_11use_defaultEEEj11max_functorIjEjEEDaPvRmT3_T4_T5_mT6_P12ihipStream_tbENKUlT_T0_E_clISt17integral_constantIbLb0EESX_EEDaSS_ST_EUlSS_E0_NS1_11comp_targetILNS1_3genE2ELNS1_11target_archE906ELNS1_3gpuE6ELNS1_3repE0EEENS1_30default_config_static_selectorELNS0_4arch9wavefront6targetE1EEEvT1_ ; -- Begin function _ZN7rocprim17ROCPRIM_400000_NS6detail17trampoline_kernelINS0_14default_configENS1_20scan_config_selectorIjEEZZNS1_9scan_implILNS1_25lookback_scan_determinismE0ELb1ELb1ES3_N6thrust23THRUST_200600_302600_NS6detail15normal_iteratorINS9_10device_ptrIjEEEENS9_16discard_iteratorINS9_11use_defaultEEEj11max_functorIjEjEEDaPvRmT3_T4_T5_mT6_P12ihipStream_tbENKUlT_T0_E_clISt17integral_constantIbLb0EESX_EEDaSS_ST_EUlSS_E0_NS1_11comp_targetILNS1_3genE2ELNS1_11target_archE906ELNS1_3gpuE6ELNS1_3repE0EEENS1_30default_config_static_selectorELNS0_4arch9wavefront6targetE1EEEvT1_
	.globl	_ZN7rocprim17ROCPRIM_400000_NS6detail17trampoline_kernelINS0_14default_configENS1_20scan_config_selectorIjEEZZNS1_9scan_implILNS1_25lookback_scan_determinismE0ELb1ELb1ES3_N6thrust23THRUST_200600_302600_NS6detail15normal_iteratorINS9_10device_ptrIjEEEENS9_16discard_iteratorINS9_11use_defaultEEEj11max_functorIjEjEEDaPvRmT3_T4_T5_mT6_P12ihipStream_tbENKUlT_T0_E_clISt17integral_constantIbLb0EESX_EEDaSS_ST_EUlSS_E0_NS1_11comp_targetILNS1_3genE2ELNS1_11target_archE906ELNS1_3gpuE6ELNS1_3repE0EEENS1_30default_config_static_selectorELNS0_4arch9wavefront6targetE1EEEvT1_
	.p2align	8
	.type	_ZN7rocprim17ROCPRIM_400000_NS6detail17trampoline_kernelINS0_14default_configENS1_20scan_config_selectorIjEEZZNS1_9scan_implILNS1_25lookback_scan_determinismE0ELb1ELb1ES3_N6thrust23THRUST_200600_302600_NS6detail15normal_iteratorINS9_10device_ptrIjEEEENS9_16discard_iteratorINS9_11use_defaultEEEj11max_functorIjEjEEDaPvRmT3_T4_T5_mT6_P12ihipStream_tbENKUlT_T0_E_clISt17integral_constantIbLb0EESX_EEDaSS_ST_EUlSS_E0_NS1_11comp_targetILNS1_3genE2ELNS1_11target_archE906ELNS1_3gpuE6ELNS1_3repE0EEENS1_30default_config_static_selectorELNS0_4arch9wavefront6targetE1EEEvT1_,@function
_ZN7rocprim17ROCPRIM_400000_NS6detail17trampoline_kernelINS0_14default_configENS1_20scan_config_selectorIjEEZZNS1_9scan_implILNS1_25lookback_scan_determinismE0ELb1ELb1ES3_N6thrust23THRUST_200600_302600_NS6detail15normal_iteratorINS9_10device_ptrIjEEEENS9_16discard_iteratorINS9_11use_defaultEEEj11max_functorIjEjEEDaPvRmT3_T4_T5_mT6_P12ihipStream_tbENKUlT_T0_E_clISt17integral_constantIbLb0EESX_EEDaSS_ST_EUlSS_E0_NS1_11comp_targetILNS1_3genE2ELNS1_11target_archE906ELNS1_3gpuE6ELNS1_3repE0EEENS1_30default_config_static_selectorELNS0_4arch9wavefront6targetE1EEEvT1_: ; @_ZN7rocprim17ROCPRIM_400000_NS6detail17trampoline_kernelINS0_14default_configENS1_20scan_config_selectorIjEEZZNS1_9scan_implILNS1_25lookback_scan_determinismE0ELb1ELb1ES3_N6thrust23THRUST_200600_302600_NS6detail15normal_iteratorINS9_10device_ptrIjEEEENS9_16discard_iteratorINS9_11use_defaultEEEj11max_functorIjEjEEDaPvRmT3_T4_T5_mT6_P12ihipStream_tbENKUlT_T0_E_clISt17integral_constantIbLb0EESX_EEDaSS_ST_EUlSS_E0_NS1_11comp_targetILNS1_3genE2ELNS1_11target_archE906ELNS1_3gpuE6ELNS1_3repE0EEENS1_30default_config_static_selectorELNS0_4arch9wavefront6targetE1EEEvT1_
; %bb.0:
	.section	.rodata,"a",@progbits
	.p2align	6, 0x0
	.amdhsa_kernel _ZN7rocprim17ROCPRIM_400000_NS6detail17trampoline_kernelINS0_14default_configENS1_20scan_config_selectorIjEEZZNS1_9scan_implILNS1_25lookback_scan_determinismE0ELb1ELb1ES3_N6thrust23THRUST_200600_302600_NS6detail15normal_iteratorINS9_10device_ptrIjEEEENS9_16discard_iteratorINS9_11use_defaultEEEj11max_functorIjEjEEDaPvRmT3_T4_T5_mT6_P12ihipStream_tbENKUlT_T0_E_clISt17integral_constantIbLb0EESX_EEDaSS_ST_EUlSS_E0_NS1_11comp_targetILNS1_3genE2ELNS1_11target_archE906ELNS1_3gpuE6ELNS1_3repE0EEENS1_30default_config_static_selectorELNS0_4arch9wavefront6targetE1EEEvT1_
		.amdhsa_group_segment_fixed_size 0
		.amdhsa_private_segment_fixed_size 0
		.amdhsa_kernarg_size 40
		.amdhsa_user_sgpr_count 6
		.amdhsa_user_sgpr_private_segment_buffer 1
		.amdhsa_user_sgpr_dispatch_ptr 0
		.amdhsa_user_sgpr_queue_ptr 0
		.amdhsa_user_sgpr_kernarg_segment_ptr 1
		.amdhsa_user_sgpr_dispatch_id 0
		.amdhsa_user_sgpr_flat_scratch_init 0
		.amdhsa_user_sgpr_kernarg_preload_length 0
		.amdhsa_user_sgpr_kernarg_preload_offset 0
		.amdhsa_user_sgpr_private_segment_size 0
		.amdhsa_uses_dynamic_stack 0
		.amdhsa_system_sgpr_private_segment_wavefront_offset 0
		.amdhsa_system_sgpr_workgroup_id_x 1
		.amdhsa_system_sgpr_workgroup_id_y 0
		.amdhsa_system_sgpr_workgroup_id_z 0
		.amdhsa_system_sgpr_workgroup_info 0
		.amdhsa_system_vgpr_workitem_id 0
		.amdhsa_next_free_vgpr 1
		.amdhsa_next_free_sgpr 0
		.amdhsa_accum_offset 4
		.amdhsa_reserve_vcc 0
		.amdhsa_reserve_flat_scratch 0
		.amdhsa_float_round_mode_32 0
		.amdhsa_float_round_mode_16_64 0
		.amdhsa_float_denorm_mode_32 3
		.amdhsa_float_denorm_mode_16_64 3
		.amdhsa_dx10_clamp 1
		.amdhsa_ieee_mode 1
		.amdhsa_fp16_overflow 0
		.amdhsa_tg_split 0
		.amdhsa_exception_fp_ieee_invalid_op 0
		.amdhsa_exception_fp_denorm_src 0
		.amdhsa_exception_fp_ieee_div_zero 0
		.amdhsa_exception_fp_ieee_overflow 0
		.amdhsa_exception_fp_ieee_underflow 0
		.amdhsa_exception_fp_ieee_inexact 0
		.amdhsa_exception_int_div_zero 0
	.end_amdhsa_kernel
	.section	.text._ZN7rocprim17ROCPRIM_400000_NS6detail17trampoline_kernelINS0_14default_configENS1_20scan_config_selectorIjEEZZNS1_9scan_implILNS1_25lookback_scan_determinismE0ELb1ELb1ES3_N6thrust23THRUST_200600_302600_NS6detail15normal_iteratorINS9_10device_ptrIjEEEENS9_16discard_iteratorINS9_11use_defaultEEEj11max_functorIjEjEEDaPvRmT3_T4_T5_mT6_P12ihipStream_tbENKUlT_T0_E_clISt17integral_constantIbLb0EESX_EEDaSS_ST_EUlSS_E0_NS1_11comp_targetILNS1_3genE2ELNS1_11target_archE906ELNS1_3gpuE6ELNS1_3repE0EEENS1_30default_config_static_selectorELNS0_4arch9wavefront6targetE1EEEvT1_,"axG",@progbits,_ZN7rocprim17ROCPRIM_400000_NS6detail17trampoline_kernelINS0_14default_configENS1_20scan_config_selectorIjEEZZNS1_9scan_implILNS1_25lookback_scan_determinismE0ELb1ELb1ES3_N6thrust23THRUST_200600_302600_NS6detail15normal_iteratorINS9_10device_ptrIjEEEENS9_16discard_iteratorINS9_11use_defaultEEEj11max_functorIjEjEEDaPvRmT3_T4_T5_mT6_P12ihipStream_tbENKUlT_T0_E_clISt17integral_constantIbLb0EESX_EEDaSS_ST_EUlSS_E0_NS1_11comp_targetILNS1_3genE2ELNS1_11target_archE906ELNS1_3gpuE6ELNS1_3repE0EEENS1_30default_config_static_selectorELNS0_4arch9wavefront6targetE1EEEvT1_,comdat
.Lfunc_end3507:
	.size	_ZN7rocprim17ROCPRIM_400000_NS6detail17trampoline_kernelINS0_14default_configENS1_20scan_config_selectorIjEEZZNS1_9scan_implILNS1_25lookback_scan_determinismE0ELb1ELb1ES3_N6thrust23THRUST_200600_302600_NS6detail15normal_iteratorINS9_10device_ptrIjEEEENS9_16discard_iteratorINS9_11use_defaultEEEj11max_functorIjEjEEDaPvRmT3_T4_T5_mT6_P12ihipStream_tbENKUlT_T0_E_clISt17integral_constantIbLb0EESX_EEDaSS_ST_EUlSS_E0_NS1_11comp_targetILNS1_3genE2ELNS1_11target_archE906ELNS1_3gpuE6ELNS1_3repE0EEENS1_30default_config_static_selectorELNS0_4arch9wavefront6targetE1EEEvT1_, .Lfunc_end3507-_ZN7rocprim17ROCPRIM_400000_NS6detail17trampoline_kernelINS0_14default_configENS1_20scan_config_selectorIjEEZZNS1_9scan_implILNS1_25lookback_scan_determinismE0ELb1ELb1ES3_N6thrust23THRUST_200600_302600_NS6detail15normal_iteratorINS9_10device_ptrIjEEEENS9_16discard_iteratorINS9_11use_defaultEEEj11max_functorIjEjEEDaPvRmT3_T4_T5_mT6_P12ihipStream_tbENKUlT_T0_E_clISt17integral_constantIbLb0EESX_EEDaSS_ST_EUlSS_E0_NS1_11comp_targetILNS1_3genE2ELNS1_11target_archE906ELNS1_3gpuE6ELNS1_3repE0EEENS1_30default_config_static_selectorELNS0_4arch9wavefront6targetE1EEEvT1_
                                        ; -- End function
	.section	.AMDGPU.csdata,"",@progbits
; Kernel info:
; codeLenInByte = 0
; NumSgprs: 4
; NumVgprs: 0
; NumAgprs: 0
; TotalNumVgprs: 0
; ScratchSize: 0
; MemoryBound: 0
; FloatMode: 240
; IeeeMode: 1
; LDSByteSize: 0 bytes/workgroup (compile time only)
; SGPRBlocks: 0
; VGPRBlocks: 0
; NumSGPRsForWavesPerEU: 4
; NumVGPRsForWavesPerEU: 1
; AccumOffset: 4
; Occupancy: 8
; WaveLimiterHint : 0
; COMPUTE_PGM_RSRC2:SCRATCH_EN: 0
; COMPUTE_PGM_RSRC2:USER_SGPR: 6
; COMPUTE_PGM_RSRC2:TRAP_HANDLER: 0
; COMPUTE_PGM_RSRC2:TGID_X_EN: 1
; COMPUTE_PGM_RSRC2:TGID_Y_EN: 0
; COMPUTE_PGM_RSRC2:TGID_Z_EN: 0
; COMPUTE_PGM_RSRC2:TIDIG_COMP_CNT: 0
; COMPUTE_PGM_RSRC3_GFX90A:ACCUM_OFFSET: 0
; COMPUTE_PGM_RSRC3_GFX90A:TG_SPLIT: 0
	.section	.text._ZN7rocprim17ROCPRIM_400000_NS6detail17trampoline_kernelINS0_14default_configENS1_20scan_config_selectorIjEEZZNS1_9scan_implILNS1_25lookback_scan_determinismE0ELb1ELb1ES3_N6thrust23THRUST_200600_302600_NS6detail15normal_iteratorINS9_10device_ptrIjEEEENS9_16discard_iteratorINS9_11use_defaultEEEj11max_functorIjEjEEDaPvRmT3_T4_T5_mT6_P12ihipStream_tbENKUlT_T0_E_clISt17integral_constantIbLb0EESX_EEDaSS_ST_EUlSS_E0_NS1_11comp_targetILNS1_3genE10ELNS1_11target_archE1201ELNS1_3gpuE5ELNS1_3repE0EEENS1_30default_config_static_selectorELNS0_4arch9wavefront6targetE1EEEvT1_,"axG",@progbits,_ZN7rocprim17ROCPRIM_400000_NS6detail17trampoline_kernelINS0_14default_configENS1_20scan_config_selectorIjEEZZNS1_9scan_implILNS1_25lookback_scan_determinismE0ELb1ELb1ES3_N6thrust23THRUST_200600_302600_NS6detail15normal_iteratorINS9_10device_ptrIjEEEENS9_16discard_iteratorINS9_11use_defaultEEEj11max_functorIjEjEEDaPvRmT3_T4_T5_mT6_P12ihipStream_tbENKUlT_T0_E_clISt17integral_constantIbLb0EESX_EEDaSS_ST_EUlSS_E0_NS1_11comp_targetILNS1_3genE10ELNS1_11target_archE1201ELNS1_3gpuE5ELNS1_3repE0EEENS1_30default_config_static_selectorELNS0_4arch9wavefront6targetE1EEEvT1_,comdat
	.protected	_ZN7rocprim17ROCPRIM_400000_NS6detail17trampoline_kernelINS0_14default_configENS1_20scan_config_selectorIjEEZZNS1_9scan_implILNS1_25lookback_scan_determinismE0ELb1ELb1ES3_N6thrust23THRUST_200600_302600_NS6detail15normal_iteratorINS9_10device_ptrIjEEEENS9_16discard_iteratorINS9_11use_defaultEEEj11max_functorIjEjEEDaPvRmT3_T4_T5_mT6_P12ihipStream_tbENKUlT_T0_E_clISt17integral_constantIbLb0EESX_EEDaSS_ST_EUlSS_E0_NS1_11comp_targetILNS1_3genE10ELNS1_11target_archE1201ELNS1_3gpuE5ELNS1_3repE0EEENS1_30default_config_static_selectorELNS0_4arch9wavefront6targetE1EEEvT1_ ; -- Begin function _ZN7rocprim17ROCPRIM_400000_NS6detail17trampoline_kernelINS0_14default_configENS1_20scan_config_selectorIjEEZZNS1_9scan_implILNS1_25lookback_scan_determinismE0ELb1ELb1ES3_N6thrust23THRUST_200600_302600_NS6detail15normal_iteratorINS9_10device_ptrIjEEEENS9_16discard_iteratorINS9_11use_defaultEEEj11max_functorIjEjEEDaPvRmT3_T4_T5_mT6_P12ihipStream_tbENKUlT_T0_E_clISt17integral_constantIbLb0EESX_EEDaSS_ST_EUlSS_E0_NS1_11comp_targetILNS1_3genE10ELNS1_11target_archE1201ELNS1_3gpuE5ELNS1_3repE0EEENS1_30default_config_static_selectorELNS0_4arch9wavefront6targetE1EEEvT1_
	.globl	_ZN7rocprim17ROCPRIM_400000_NS6detail17trampoline_kernelINS0_14default_configENS1_20scan_config_selectorIjEEZZNS1_9scan_implILNS1_25lookback_scan_determinismE0ELb1ELb1ES3_N6thrust23THRUST_200600_302600_NS6detail15normal_iteratorINS9_10device_ptrIjEEEENS9_16discard_iteratorINS9_11use_defaultEEEj11max_functorIjEjEEDaPvRmT3_T4_T5_mT6_P12ihipStream_tbENKUlT_T0_E_clISt17integral_constantIbLb0EESX_EEDaSS_ST_EUlSS_E0_NS1_11comp_targetILNS1_3genE10ELNS1_11target_archE1201ELNS1_3gpuE5ELNS1_3repE0EEENS1_30default_config_static_selectorELNS0_4arch9wavefront6targetE1EEEvT1_
	.p2align	8
	.type	_ZN7rocprim17ROCPRIM_400000_NS6detail17trampoline_kernelINS0_14default_configENS1_20scan_config_selectorIjEEZZNS1_9scan_implILNS1_25lookback_scan_determinismE0ELb1ELb1ES3_N6thrust23THRUST_200600_302600_NS6detail15normal_iteratorINS9_10device_ptrIjEEEENS9_16discard_iteratorINS9_11use_defaultEEEj11max_functorIjEjEEDaPvRmT3_T4_T5_mT6_P12ihipStream_tbENKUlT_T0_E_clISt17integral_constantIbLb0EESX_EEDaSS_ST_EUlSS_E0_NS1_11comp_targetILNS1_3genE10ELNS1_11target_archE1201ELNS1_3gpuE5ELNS1_3repE0EEENS1_30default_config_static_selectorELNS0_4arch9wavefront6targetE1EEEvT1_,@function
_ZN7rocprim17ROCPRIM_400000_NS6detail17trampoline_kernelINS0_14default_configENS1_20scan_config_selectorIjEEZZNS1_9scan_implILNS1_25lookback_scan_determinismE0ELb1ELb1ES3_N6thrust23THRUST_200600_302600_NS6detail15normal_iteratorINS9_10device_ptrIjEEEENS9_16discard_iteratorINS9_11use_defaultEEEj11max_functorIjEjEEDaPvRmT3_T4_T5_mT6_P12ihipStream_tbENKUlT_T0_E_clISt17integral_constantIbLb0EESX_EEDaSS_ST_EUlSS_E0_NS1_11comp_targetILNS1_3genE10ELNS1_11target_archE1201ELNS1_3gpuE5ELNS1_3repE0EEENS1_30default_config_static_selectorELNS0_4arch9wavefront6targetE1EEEvT1_: ; @_ZN7rocprim17ROCPRIM_400000_NS6detail17trampoline_kernelINS0_14default_configENS1_20scan_config_selectorIjEEZZNS1_9scan_implILNS1_25lookback_scan_determinismE0ELb1ELb1ES3_N6thrust23THRUST_200600_302600_NS6detail15normal_iteratorINS9_10device_ptrIjEEEENS9_16discard_iteratorINS9_11use_defaultEEEj11max_functorIjEjEEDaPvRmT3_T4_T5_mT6_P12ihipStream_tbENKUlT_T0_E_clISt17integral_constantIbLb0EESX_EEDaSS_ST_EUlSS_E0_NS1_11comp_targetILNS1_3genE10ELNS1_11target_archE1201ELNS1_3gpuE5ELNS1_3repE0EEENS1_30default_config_static_selectorELNS0_4arch9wavefront6targetE1EEEvT1_
; %bb.0:
	.section	.rodata,"a",@progbits
	.p2align	6, 0x0
	.amdhsa_kernel _ZN7rocprim17ROCPRIM_400000_NS6detail17trampoline_kernelINS0_14default_configENS1_20scan_config_selectorIjEEZZNS1_9scan_implILNS1_25lookback_scan_determinismE0ELb1ELb1ES3_N6thrust23THRUST_200600_302600_NS6detail15normal_iteratorINS9_10device_ptrIjEEEENS9_16discard_iteratorINS9_11use_defaultEEEj11max_functorIjEjEEDaPvRmT3_T4_T5_mT6_P12ihipStream_tbENKUlT_T0_E_clISt17integral_constantIbLb0EESX_EEDaSS_ST_EUlSS_E0_NS1_11comp_targetILNS1_3genE10ELNS1_11target_archE1201ELNS1_3gpuE5ELNS1_3repE0EEENS1_30default_config_static_selectorELNS0_4arch9wavefront6targetE1EEEvT1_
		.amdhsa_group_segment_fixed_size 0
		.amdhsa_private_segment_fixed_size 0
		.amdhsa_kernarg_size 40
		.amdhsa_user_sgpr_count 6
		.amdhsa_user_sgpr_private_segment_buffer 1
		.amdhsa_user_sgpr_dispatch_ptr 0
		.amdhsa_user_sgpr_queue_ptr 0
		.amdhsa_user_sgpr_kernarg_segment_ptr 1
		.amdhsa_user_sgpr_dispatch_id 0
		.amdhsa_user_sgpr_flat_scratch_init 0
		.amdhsa_user_sgpr_kernarg_preload_length 0
		.amdhsa_user_sgpr_kernarg_preload_offset 0
		.amdhsa_user_sgpr_private_segment_size 0
		.amdhsa_uses_dynamic_stack 0
		.amdhsa_system_sgpr_private_segment_wavefront_offset 0
		.amdhsa_system_sgpr_workgroup_id_x 1
		.amdhsa_system_sgpr_workgroup_id_y 0
		.amdhsa_system_sgpr_workgroup_id_z 0
		.amdhsa_system_sgpr_workgroup_info 0
		.amdhsa_system_vgpr_workitem_id 0
		.amdhsa_next_free_vgpr 1
		.amdhsa_next_free_sgpr 0
		.amdhsa_accum_offset 4
		.amdhsa_reserve_vcc 0
		.amdhsa_reserve_flat_scratch 0
		.amdhsa_float_round_mode_32 0
		.amdhsa_float_round_mode_16_64 0
		.amdhsa_float_denorm_mode_32 3
		.amdhsa_float_denorm_mode_16_64 3
		.amdhsa_dx10_clamp 1
		.amdhsa_ieee_mode 1
		.amdhsa_fp16_overflow 0
		.amdhsa_tg_split 0
		.amdhsa_exception_fp_ieee_invalid_op 0
		.amdhsa_exception_fp_denorm_src 0
		.amdhsa_exception_fp_ieee_div_zero 0
		.amdhsa_exception_fp_ieee_overflow 0
		.amdhsa_exception_fp_ieee_underflow 0
		.amdhsa_exception_fp_ieee_inexact 0
		.amdhsa_exception_int_div_zero 0
	.end_amdhsa_kernel
	.section	.text._ZN7rocprim17ROCPRIM_400000_NS6detail17trampoline_kernelINS0_14default_configENS1_20scan_config_selectorIjEEZZNS1_9scan_implILNS1_25lookback_scan_determinismE0ELb1ELb1ES3_N6thrust23THRUST_200600_302600_NS6detail15normal_iteratorINS9_10device_ptrIjEEEENS9_16discard_iteratorINS9_11use_defaultEEEj11max_functorIjEjEEDaPvRmT3_T4_T5_mT6_P12ihipStream_tbENKUlT_T0_E_clISt17integral_constantIbLb0EESX_EEDaSS_ST_EUlSS_E0_NS1_11comp_targetILNS1_3genE10ELNS1_11target_archE1201ELNS1_3gpuE5ELNS1_3repE0EEENS1_30default_config_static_selectorELNS0_4arch9wavefront6targetE1EEEvT1_,"axG",@progbits,_ZN7rocprim17ROCPRIM_400000_NS6detail17trampoline_kernelINS0_14default_configENS1_20scan_config_selectorIjEEZZNS1_9scan_implILNS1_25lookback_scan_determinismE0ELb1ELb1ES3_N6thrust23THRUST_200600_302600_NS6detail15normal_iteratorINS9_10device_ptrIjEEEENS9_16discard_iteratorINS9_11use_defaultEEEj11max_functorIjEjEEDaPvRmT3_T4_T5_mT6_P12ihipStream_tbENKUlT_T0_E_clISt17integral_constantIbLb0EESX_EEDaSS_ST_EUlSS_E0_NS1_11comp_targetILNS1_3genE10ELNS1_11target_archE1201ELNS1_3gpuE5ELNS1_3repE0EEENS1_30default_config_static_selectorELNS0_4arch9wavefront6targetE1EEEvT1_,comdat
.Lfunc_end3508:
	.size	_ZN7rocprim17ROCPRIM_400000_NS6detail17trampoline_kernelINS0_14default_configENS1_20scan_config_selectorIjEEZZNS1_9scan_implILNS1_25lookback_scan_determinismE0ELb1ELb1ES3_N6thrust23THRUST_200600_302600_NS6detail15normal_iteratorINS9_10device_ptrIjEEEENS9_16discard_iteratorINS9_11use_defaultEEEj11max_functorIjEjEEDaPvRmT3_T4_T5_mT6_P12ihipStream_tbENKUlT_T0_E_clISt17integral_constantIbLb0EESX_EEDaSS_ST_EUlSS_E0_NS1_11comp_targetILNS1_3genE10ELNS1_11target_archE1201ELNS1_3gpuE5ELNS1_3repE0EEENS1_30default_config_static_selectorELNS0_4arch9wavefront6targetE1EEEvT1_, .Lfunc_end3508-_ZN7rocprim17ROCPRIM_400000_NS6detail17trampoline_kernelINS0_14default_configENS1_20scan_config_selectorIjEEZZNS1_9scan_implILNS1_25lookback_scan_determinismE0ELb1ELb1ES3_N6thrust23THRUST_200600_302600_NS6detail15normal_iteratorINS9_10device_ptrIjEEEENS9_16discard_iteratorINS9_11use_defaultEEEj11max_functorIjEjEEDaPvRmT3_T4_T5_mT6_P12ihipStream_tbENKUlT_T0_E_clISt17integral_constantIbLb0EESX_EEDaSS_ST_EUlSS_E0_NS1_11comp_targetILNS1_3genE10ELNS1_11target_archE1201ELNS1_3gpuE5ELNS1_3repE0EEENS1_30default_config_static_selectorELNS0_4arch9wavefront6targetE1EEEvT1_
                                        ; -- End function
	.section	.AMDGPU.csdata,"",@progbits
; Kernel info:
; codeLenInByte = 0
; NumSgprs: 4
; NumVgprs: 0
; NumAgprs: 0
; TotalNumVgprs: 0
; ScratchSize: 0
; MemoryBound: 0
; FloatMode: 240
; IeeeMode: 1
; LDSByteSize: 0 bytes/workgroup (compile time only)
; SGPRBlocks: 0
; VGPRBlocks: 0
; NumSGPRsForWavesPerEU: 4
; NumVGPRsForWavesPerEU: 1
; AccumOffset: 4
; Occupancy: 8
; WaveLimiterHint : 0
; COMPUTE_PGM_RSRC2:SCRATCH_EN: 0
; COMPUTE_PGM_RSRC2:USER_SGPR: 6
; COMPUTE_PGM_RSRC2:TRAP_HANDLER: 0
; COMPUTE_PGM_RSRC2:TGID_X_EN: 1
; COMPUTE_PGM_RSRC2:TGID_Y_EN: 0
; COMPUTE_PGM_RSRC2:TGID_Z_EN: 0
; COMPUTE_PGM_RSRC2:TIDIG_COMP_CNT: 0
; COMPUTE_PGM_RSRC3_GFX90A:ACCUM_OFFSET: 0
; COMPUTE_PGM_RSRC3_GFX90A:TG_SPLIT: 0
	.section	.text._ZN7rocprim17ROCPRIM_400000_NS6detail17trampoline_kernelINS0_14default_configENS1_20scan_config_selectorIjEEZZNS1_9scan_implILNS1_25lookback_scan_determinismE0ELb1ELb1ES3_N6thrust23THRUST_200600_302600_NS6detail15normal_iteratorINS9_10device_ptrIjEEEENS9_16discard_iteratorINS9_11use_defaultEEEj11max_functorIjEjEEDaPvRmT3_T4_T5_mT6_P12ihipStream_tbENKUlT_T0_E_clISt17integral_constantIbLb0EESX_EEDaSS_ST_EUlSS_E0_NS1_11comp_targetILNS1_3genE10ELNS1_11target_archE1200ELNS1_3gpuE4ELNS1_3repE0EEENS1_30default_config_static_selectorELNS0_4arch9wavefront6targetE1EEEvT1_,"axG",@progbits,_ZN7rocprim17ROCPRIM_400000_NS6detail17trampoline_kernelINS0_14default_configENS1_20scan_config_selectorIjEEZZNS1_9scan_implILNS1_25lookback_scan_determinismE0ELb1ELb1ES3_N6thrust23THRUST_200600_302600_NS6detail15normal_iteratorINS9_10device_ptrIjEEEENS9_16discard_iteratorINS9_11use_defaultEEEj11max_functorIjEjEEDaPvRmT3_T4_T5_mT6_P12ihipStream_tbENKUlT_T0_E_clISt17integral_constantIbLb0EESX_EEDaSS_ST_EUlSS_E0_NS1_11comp_targetILNS1_3genE10ELNS1_11target_archE1200ELNS1_3gpuE4ELNS1_3repE0EEENS1_30default_config_static_selectorELNS0_4arch9wavefront6targetE1EEEvT1_,comdat
	.protected	_ZN7rocprim17ROCPRIM_400000_NS6detail17trampoline_kernelINS0_14default_configENS1_20scan_config_selectorIjEEZZNS1_9scan_implILNS1_25lookback_scan_determinismE0ELb1ELb1ES3_N6thrust23THRUST_200600_302600_NS6detail15normal_iteratorINS9_10device_ptrIjEEEENS9_16discard_iteratorINS9_11use_defaultEEEj11max_functorIjEjEEDaPvRmT3_T4_T5_mT6_P12ihipStream_tbENKUlT_T0_E_clISt17integral_constantIbLb0EESX_EEDaSS_ST_EUlSS_E0_NS1_11comp_targetILNS1_3genE10ELNS1_11target_archE1200ELNS1_3gpuE4ELNS1_3repE0EEENS1_30default_config_static_selectorELNS0_4arch9wavefront6targetE1EEEvT1_ ; -- Begin function _ZN7rocprim17ROCPRIM_400000_NS6detail17trampoline_kernelINS0_14default_configENS1_20scan_config_selectorIjEEZZNS1_9scan_implILNS1_25lookback_scan_determinismE0ELb1ELb1ES3_N6thrust23THRUST_200600_302600_NS6detail15normal_iteratorINS9_10device_ptrIjEEEENS9_16discard_iteratorINS9_11use_defaultEEEj11max_functorIjEjEEDaPvRmT3_T4_T5_mT6_P12ihipStream_tbENKUlT_T0_E_clISt17integral_constantIbLb0EESX_EEDaSS_ST_EUlSS_E0_NS1_11comp_targetILNS1_3genE10ELNS1_11target_archE1200ELNS1_3gpuE4ELNS1_3repE0EEENS1_30default_config_static_selectorELNS0_4arch9wavefront6targetE1EEEvT1_
	.globl	_ZN7rocprim17ROCPRIM_400000_NS6detail17trampoline_kernelINS0_14default_configENS1_20scan_config_selectorIjEEZZNS1_9scan_implILNS1_25lookback_scan_determinismE0ELb1ELb1ES3_N6thrust23THRUST_200600_302600_NS6detail15normal_iteratorINS9_10device_ptrIjEEEENS9_16discard_iteratorINS9_11use_defaultEEEj11max_functorIjEjEEDaPvRmT3_T4_T5_mT6_P12ihipStream_tbENKUlT_T0_E_clISt17integral_constantIbLb0EESX_EEDaSS_ST_EUlSS_E0_NS1_11comp_targetILNS1_3genE10ELNS1_11target_archE1200ELNS1_3gpuE4ELNS1_3repE0EEENS1_30default_config_static_selectorELNS0_4arch9wavefront6targetE1EEEvT1_
	.p2align	8
	.type	_ZN7rocprim17ROCPRIM_400000_NS6detail17trampoline_kernelINS0_14default_configENS1_20scan_config_selectorIjEEZZNS1_9scan_implILNS1_25lookback_scan_determinismE0ELb1ELb1ES3_N6thrust23THRUST_200600_302600_NS6detail15normal_iteratorINS9_10device_ptrIjEEEENS9_16discard_iteratorINS9_11use_defaultEEEj11max_functorIjEjEEDaPvRmT3_T4_T5_mT6_P12ihipStream_tbENKUlT_T0_E_clISt17integral_constantIbLb0EESX_EEDaSS_ST_EUlSS_E0_NS1_11comp_targetILNS1_3genE10ELNS1_11target_archE1200ELNS1_3gpuE4ELNS1_3repE0EEENS1_30default_config_static_selectorELNS0_4arch9wavefront6targetE1EEEvT1_,@function
_ZN7rocprim17ROCPRIM_400000_NS6detail17trampoline_kernelINS0_14default_configENS1_20scan_config_selectorIjEEZZNS1_9scan_implILNS1_25lookback_scan_determinismE0ELb1ELb1ES3_N6thrust23THRUST_200600_302600_NS6detail15normal_iteratorINS9_10device_ptrIjEEEENS9_16discard_iteratorINS9_11use_defaultEEEj11max_functorIjEjEEDaPvRmT3_T4_T5_mT6_P12ihipStream_tbENKUlT_T0_E_clISt17integral_constantIbLb0EESX_EEDaSS_ST_EUlSS_E0_NS1_11comp_targetILNS1_3genE10ELNS1_11target_archE1200ELNS1_3gpuE4ELNS1_3repE0EEENS1_30default_config_static_selectorELNS0_4arch9wavefront6targetE1EEEvT1_: ; @_ZN7rocprim17ROCPRIM_400000_NS6detail17trampoline_kernelINS0_14default_configENS1_20scan_config_selectorIjEEZZNS1_9scan_implILNS1_25lookback_scan_determinismE0ELb1ELb1ES3_N6thrust23THRUST_200600_302600_NS6detail15normal_iteratorINS9_10device_ptrIjEEEENS9_16discard_iteratorINS9_11use_defaultEEEj11max_functorIjEjEEDaPvRmT3_T4_T5_mT6_P12ihipStream_tbENKUlT_T0_E_clISt17integral_constantIbLb0EESX_EEDaSS_ST_EUlSS_E0_NS1_11comp_targetILNS1_3genE10ELNS1_11target_archE1200ELNS1_3gpuE4ELNS1_3repE0EEENS1_30default_config_static_selectorELNS0_4arch9wavefront6targetE1EEEvT1_
; %bb.0:
	.section	.rodata,"a",@progbits
	.p2align	6, 0x0
	.amdhsa_kernel _ZN7rocprim17ROCPRIM_400000_NS6detail17trampoline_kernelINS0_14default_configENS1_20scan_config_selectorIjEEZZNS1_9scan_implILNS1_25lookback_scan_determinismE0ELb1ELb1ES3_N6thrust23THRUST_200600_302600_NS6detail15normal_iteratorINS9_10device_ptrIjEEEENS9_16discard_iteratorINS9_11use_defaultEEEj11max_functorIjEjEEDaPvRmT3_T4_T5_mT6_P12ihipStream_tbENKUlT_T0_E_clISt17integral_constantIbLb0EESX_EEDaSS_ST_EUlSS_E0_NS1_11comp_targetILNS1_3genE10ELNS1_11target_archE1200ELNS1_3gpuE4ELNS1_3repE0EEENS1_30default_config_static_selectorELNS0_4arch9wavefront6targetE1EEEvT1_
		.amdhsa_group_segment_fixed_size 0
		.amdhsa_private_segment_fixed_size 0
		.amdhsa_kernarg_size 40
		.amdhsa_user_sgpr_count 6
		.amdhsa_user_sgpr_private_segment_buffer 1
		.amdhsa_user_sgpr_dispatch_ptr 0
		.amdhsa_user_sgpr_queue_ptr 0
		.amdhsa_user_sgpr_kernarg_segment_ptr 1
		.amdhsa_user_sgpr_dispatch_id 0
		.amdhsa_user_sgpr_flat_scratch_init 0
		.amdhsa_user_sgpr_kernarg_preload_length 0
		.amdhsa_user_sgpr_kernarg_preload_offset 0
		.amdhsa_user_sgpr_private_segment_size 0
		.amdhsa_uses_dynamic_stack 0
		.amdhsa_system_sgpr_private_segment_wavefront_offset 0
		.amdhsa_system_sgpr_workgroup_id_x 1
		.amdhsa_system_sgpr_workgroup_id_y 0
		.amdhsa_system_sgpr_workgroup_id_z 0
		.amdhsa_system_sgpr_workgroup_info 0
		.amdhsa_system_vgpr_workitem_id 0
		.amdhsa_next_free_vgpr 1
		.amdhsa_next_free_sgpr 0
		.amdhsa_accum_offset 4
		.amdhsa_reserve_vcc 0
		.amdhsa_reserve_flat_scratch 0
		.amdhsa_float_round_mode_32 0
		.amdhsa_float_round_mode_16_64 0
		.amdhsa_float_denorm_mode_32 3
		.amdhsa_float_denorm_mode_16_64 3
		.amdhsa_dx10_clamp 1
		.amdhsa_ieee_mode 1
		.amdhsa_fp16_overflow 0
		.amdhsa_tg_split 0
		.amdhsa_exception_fp_ieee_invalid_op 0
		.amdhsa_exception_fp_denorm_src 0
		.amdhsa_exception_fp_ieee_div_zero 0
		.amdhsa_exception_fp_ieee_overflow 0
		.amdhsa_exception_fp_ieee_underflow 0
		.amdhsa_exception_fp_ieee_inexact 0
		.amdhsa_exception_int_div_zero 0
	.end_amdhsa_kernel
	.section	.text._ZN7rocprim17ROCPRIM_400000_NS6detail17trampoline_kernelINS0_14default_configENS1_20scan_config_selectorIjEEZZNS1_9scan_implILNS1_25lookback_scan_determinismE0ELb1ELb1ES3_N6thrust23THRUST_200600_302600_NS6detail15normal_iteratorINS9_10device_ptrIjEEEENS9_16discard_iteratorINS9_11use_defaultEEEj11max_functorIjEjEEDaPvRmT3_T4_T5_mT6_P12ihipStream_tbENKUlT_T0_E_clISt17integral_constantIbLb0EESX_EEDaSS_ST_EUlSS_E0_NS1_11comp_targetILNS1_3genE10ELNS1_11target_archE1200ELNS1_3gpuE4ELNS1_3repE0EEENS1_30default_config_static_selectorELNS0_4arch9wavefront6targetE1EEEvT1_,"axG",@progbits,_ZN7rocprim17ROCPRIM_400000_NS6detail17trampoline_kernelINS0_14default_configENS1_20scan_config_selectorIjEEZZNS1_9scan_implILNS1_25lookback_scan_determinismE0ELb1ELb1ES3_N6thrust23THRUST_200600_302600_NS6detail15normal_iteratorINS9_10device_ptrIjEEEENS9_16discard_iteratorINS9_11use_defaultEEEj11max_functorIjEjEEDaPvRmT3_T4_T5_mT6_P12ihipStream_tbENKUlT_T0_E_clISt17integral_constantIbLb0EESX_EEDaSS_ST_EUlSS_E0_NS1_11comp_targetILNS1_3genE10ELNS1_11target_archE1200ELNS1_3gpuE4ELNS1_3repE0EEENS1_30default_config_static_selectorELNS0_4arch9wavefront6targetE1EEEvT1_,comdat
.Lfunc_end3509:
	.size	_ZN7rocprim17ROCPRIM_400000_NS6detail17trampoline_kernelINS0_14default_configENS1_20scan_config_selectorIjEEZZNS1_9scan_implILNS1_25lookback_scan_determinismE0ELb1ELb1ES3_N6thrust23THRUST_200600_302600_NS6detail15normal_iteratorINS9_10device_ptrIjEEEENS9_16discard_iteratorINS9_11use_defaultEEEj11max_functorIjEjEEDaPvRmT3_T4_T5_mT6_P12ihipStream_tbENKUlT_T0_E_clISt17integral_constantIbLb0EESX_EEDaSS_ST_EUlSS_E0_NS1_11comp_targetILNS1_3genE10ELNS1_11target_archE1200ELNS1_3gpuE4ELNS1_3repE0EEENS1_30default_config_static_selectorELNS0_4arch9wavefront6targetE1EEEvT1_, .Lfunc_end3509-_ZN7rocprim17ROCPRIM_400000_NS6detail17trampoline_kernelINS0_14default_configENS1_20scan_config_selectorIjEEZZNS1_9scan_implILNS1_25lookback_scan_determinismE0ELb1ELb1ES3_N6thrust23THRUST_200600_302600_NS6detail15normal_iteratorINS9_10device_ptrIjEEEENS9_16discard_iteratorINS9_11use_defaultEEEj11max_functorIjEjEEDaPvRmT3_T4_T5_mT6_P12ihipStream_tbENKUlT_T0_E_clISt17integral_constantIbLb0EESX_EEDaSS_ST_EUlSS_E0_NS1_11comp_targetILNS1_3genE10ELNS1_11target_archE1200ELNS1_3gpuE4ELNS1_3repE0EEENS1_30default_config_static_selectorELNS0_4arch9wavefront6targetE1EEEvT1_
                                        ; -- End function
	.section	.AMDGPU.csdata,"",@progbits
; Kernel info:
; codeLenInByte = 0
; NumSgprs: 4
; NumVgprs: 0
; NumAgprs: 0
; TotalNumVgprs: 0
; ScratchSize: 0
; MemoryBound: 0
; FloatMode: 240
; IeeeMode: 1
; LDSByteSize: 0 bytes/workgroup (compile time only)
; SGPRBlocks: 0
; VGPRBlocks: 0
; NumSGPRsForWavesPerEU: 4
; NumVGPRsForWavesPerEU: 1
; AccumOffset: 4
; Occupancy: 8
; WaveLimiterHint : 0
; COMPUTE_PGM_RSRC2:SCRATCH_EN: 0
; COMPUTE_PGM_RSRC2:USER_SGPR: 6
; COMPUTE_PGM_RSRC2:TRAP_HANDLER: 0
; COMPUTE_PGM_RSRC2:TGID_X_EN: 1
; COMPUTE_PGM_RSRC2:TGID_Y_EN: 0
; COMPUTE_PGM_RSRC2:TGID_Z_EN: 0
; COMPUTE_PGM_RSRC2:TIDIG_COMP_CNT: 0
; COMPUTE_PGM_RSRC3_GFX90A:ACCUM_OFFSET: 0
; COMPUTE_PGM_RSRC3_GFX90A:TG_SPLIT: 0
	.section	.text._ZN7rocprim17ROCPRIM_400000_NS6detail17trampoline_kernelINS0_14default_configENS1_20scan_config_selectorIjEEZZNS1_9scan_implILNS1_25lookback_scan_determinismE0ELb1ELb1ES3_N6thrust23THRUST_200600_302600_NS6detail15normal_iteratorINS9_10device_ptrIjEEEENS9_16discard_iteratorINS9_11use_defaultEEEj11max_functorIjEjEEDaPvRmT3_T4_T5_mT6_P12ihipStream_tbENKUlT_T0_E_clISt17integral_constantIbLb0EESX_EEDaSS_ST_EUlSS_E0_NS1_11comp_targetILNS1_3genE9ELNS1_11target_archE1100ELNS1_3gpuE3ELNS1_3repE0EEENS1_30default_config_static_selectorELNS0_4arch9wavefront6targetE1EEEvT1_,"axG",@progbits,_ZN7rocprim17ROCPRIM_400000_NS6detail17trampoline_kernelINS0_14default_configENS1_20scan_config_selectorIjEEZZNS1_9scan_implILNS1_25lookback_scan_determinismE0ELb1ELb1ES3_N6thrust23THRUST_200600_302600_NS6detail15normal_iteratorINS9_10device_ptrIjEEEENS9_16discard_iteratorINS9_11use_defaultEEEj11max_functorIjEjEEDaPvRmT3_T4_T5_mT6_P12ihipStream_tbENKUlT_T0_E_clISt17integral_constantIbLb0EESX_EEDaSS_ST_EUlSS_E0_NS1_11comp_targetILNS1_3genE9ELNS1_11target_archE1100ELNS1_3gpuE3ELNS1_3repE0EEENS1_30default_config_static_selectorELNS0_4arch9wavefront6targetE1EEEvT1_,comdat
	.protected	_ZN7rocprim17ROCPRIM_400000_NS6detail17trampoline_kernelINS0_14default_configENS1_20scan_config_selectorIjEEZZNS1_9scan_implILNS1_25lookback_scan_determinismE0ELb1ELb1ES3_N6thrust23THRUST_200600_302600_NS6detail15normal_iteratorINS9_10device_ptrIjEEEENS9_16discard_iteratorINS9_11use_defaultEEEj11max_functorIjEjEEDaPvRmT3_T4_T5_mT6_P12ihipStream_tbENKUlT_T0_E_clISt17integral_constantIbLb0EESX_EEDaSS_ST_EUlSS_E0_NS1_11comp_targetILNS1_3genE9ELNS1_11target_archE1100ELNS1_3gpuE3ELNS1_3repE0EEENS1_30default_config_static_selectorELNS0_4arch9wavefront6targetE1EEEvT1_ ; -- Begin function _ZN7rocprim17ROCPRIM_400000_NS6detail17trampoline_kernelINS0_14default_configENS1_20scan_config_selectorIjEEZZNS1_9scan_implILNS1_25lookback_scan_determinismE0ELb1ELb1ES3_N6thrust23THRUST_200600_302600_NS6detail15normal_iteratorINS9_10device_ptrIjEEEENS9_16discard_iteratorINS9_11use_defaultEEEj11max_functorIjEjEEDaPvRmT3_T4_T5_mT6_P12ihipStream_tbENKUlT_T0_E_clISt17integral_constantIbLb0EESX_EEDaSS_ST_EUlSS_E0_NS1_11comp_targetILNS1_3genE9ELNS1_11target_archE1100ELNS1_3gpuE3ELNS1_3repE0EEENS1_30default_config_static_selectorELNS0_4arch9wavefront6targetE1EEEvT1_
	.globl	_ZN7rocprim17ROCPRIM_400000_NS6detail17trampoline_kernelINS0_14default_configENS1_20scan_config_selectorIjEEZZNS1_9scan_implILNS1_25lookback_scan_determinismE0ELb1ELb1ES3_N6thrust23THRUST_200600_302600_NS6detail15normal_iteratorINS9_10device_ptrIjEEEENS9_16discard_iteratorINS9_11use_defaultEEEj11max_functorIjEjEEDaPvRmT3_T4_T5_mT6_P12ihipStream_tbENKUlT_T0_E_clISt17integral_constantIbLb0EESX_EEDaSS_ST_EUlSS_E0_NS1_11comp_targetILNS1_3genE9ELNS1_11target_archE1100ELNS1_3gpuE3ELNS1_3repE0EEENS1_30default_config_static_selectorELNS0_4arch9wavefront6targetE1EEEvT1_
	.p2align	8
	.type	_ZN7rocprim17ROCPRIM_400000_NS6detail17trampoline_kernelINS0_14default_configENS1_20scan_config_selectorIjEEZZNS1_9scan_implILNS1_25lookback_scan_determinismE0ELb1ELb1ES3_N6thrust23THRUST_200600_302600_NS6detail15normal_iteratorINS9_10device_ptrIjEEEENS9_16discard_iteratorINS9_11use_defaultEEEj11max_functorIjEjEEDaPvRmT3_T4_T5_mT6_P12ihipStream_tbENKUlT_T0_E_clISt17integral_constantIbLb0EESX_EEDaSS_ST_EUlSS_E0_NS1_11comp_targetILNS1_3genE9ELNS1_11target_archE1100ELNS1_3gpuE3ELNS1_3repE0EEENS1_30default_config_static_selectorELNS0_4arch9wavefront6targetE1EEEvT1_,@function
_ZN7rocprim17ROCPRIM_400000_NS6detail17trampoline_kernelINS0_14default_configENS1_20scan_config_selectorIjEEZZNS1_9scan_implILNS1_25lookback_scan_determinismE0ELb1ELb1ES3_N6thrust23THRUST_200600_302600_NS6detail15normal_iteratorINS9_10device_ptrIjEEEENS9_16discard_iteratorINS9_11use_defaultEEEj11max_functorIjEjEEDaPvRmT3_T4_T5_mT6_P12ihipStream_tbENKUlT_T0_E_clISt17integral_constantIbLb0EESX_EEDaSS_ST_EUlSS_E0_NS1_11comp_targetILNS1_3genE9ELNS1_11target_archE1100ELNS1_3gpuE3ELNS1_3repE0EEENS1_30default_config_static_selectorELNS0_4arch9wavefront6targetE1EEEvT1_: ; @_ZN7rocprim17ROCPRIM_400000_NS6detail17trampoline_kernelINS0_14default_configENS1_20scan_config_selectorIjEEZZNS1_9scan_implILNS1_25lookback_scan_determinismE0ELb1ELb1ES3_N6thrust23THRUST_200600_302600_NS6detail15normal_iteratorINS9_10device_ptrIjEEEENS9_16discard_iteratorINS9_11use_defaultEEEj11max_functorIjEjEEDaPvRmT3_T4_T5_mT6_P12ihipStream_tbENKUlT_T0_E_clISt17integral_constantIbLb0EESX_EEDaSS_ST_EUlSS_E0_NS1_11comp_targetILNS1_3genE9ELNS1_11target_archE1100ELNS1_3gpuE3ELNS1_3repE0EEENS1_30default_config_static_selectorELNS0_4arch9wavefront6targetE1EEEvT1_
; %bb.0:
	.section	.rodata,"a",@progbits
	.p2align	6, 0x0
	.amdhsa_kernel _ZN7rocprim17ROCPRIM_400000_NS6detail17trampoline_kernelINS0_14default_configENS1_20scan_config_selectorIjEEZZNS1_9scan_implILNS1_25lookback_scan_determinismE0ELb1ELb1ES3_N6thrust23THRUST_200600_302600_NS6detail15normal_iteratorINS9_10device_ptrIjEEEENS9_16discard_iteratorINS9_11use_defaultEEEj11max_functorIjEjEEDaPvRmT3_T4_T5_mT6_P12ihipStream_tbENKUlT_T0_E_clISt17integral_constantIbLb0EESX_EEDaSS_ST_EUlSS_E0_NS1_11comp_targetILNS1_3genE9ELNS1_11target_archE1100ELNS1_3gpuE3ELNS1_3repE0EEENS1_30default_config_static_selectorELNS0_4arch9wavefront6targetE1EEEvT1_
		.amdhsa_group_segment_fixed_size 0
		.amdhsa_private_segment_fixed_size 0
		.amdhsa_kernarg_size 40
		.amdhsa_user_sgpr_count 6
		.amdhsa_user_sgpr_private_segment_buffer 1
		.amdhsa_user_sgpr_dispatch_ptr 0
		.amdhsa_user_sgpr_queue_ptr 0
		.amdhsa_user_sgpr_kernarg_segment_ptr 1
		.amdhsa_user_sgpr_dispatch_id 0
		.amdhsa_user_sgpr_flat_scratch_init 0
		.amdhsa_user_sgpr_kernarg_preload_length 0
		.amdhsa_user_sgpr_kernarg_preload_offset 0
		.amdhsa_user_sgpr_private_segment_size 0
		.amdhsa_uses_dynamic_stack 0
		.amdhsa_system_sgpr_private_segment_wavefront_offset 0
		.amdhsa_system_sgpr_workgroup_id_x 1
		.amdhsa_system_sgpr_workgroup_id_y 0
		.amdhsa_system_sgpr_workgroup_id_z 0
		.amdhsa_system_sgpr_workgroup_info 0
		.amdhsa_system_vgpr_workitem_id 0
		.amdhsa_next_free_vgpr 1
		.amdhsa_next_free_sgpr 0
		.amdhsa_accum_offset 4
		.amdhsa_reserve_vcc 0
		.amdhsa_reserve_flat_scratch 0
		.amdhsa_float_round_mode_32 0
		.amdhsa_float_round_mode_16_64 0
		.amdhsa_float_denorm_mode_32 3
		.amdhsa_float_denorm_mode_16_64 3
		.amdhsa_dx10_clamp 1
		.amdhsa_ieee_mode 1
		.amdhsa_fp16_overflow 0
		.amdhsa_tg_split 0
		.amdhsa_exception_fp_ieee_invalid_op 0
		.amdhsa_exception_fp_denorm_src 0
		.amdhsa_exception_fp_ieee_div_zero 0
		.amdhsa_exception_fp_ieee_overflow 0
		.amdhsa_exception_fp_ieee_underflow 0
		.amdhsa_exception_fp_ieee_inexact 0
		.amdhsa_exception_int_div_zero 0
	.end_amdhsa_kernel
	.section	.text._ZN7rocprim17ROCPRIM_400000_NS6detail17trampoline_kernelINS0_14default_configENS1_20scan_config_selectorIjEEZZNS1_9scan_implILNS1_25lookback_scan_determinismE0ELb1ELb1ES3_N6thrust23THRUST_200600_302600_NS6detail15normal_iteratorINS9_10device_ptrIjEEEENS9_16discard_iteratorINS9_11use_defaultEEEj11max_functorIjEjEEDaPvRmT3_T4_T5_mT6_P12ihipStream_tbENKUlT_T0_E_clISt17integral_constantIbLb0EESX_EEDaSS_ST_EUlSS_E0_NS1_11comp_targetILNS1_3genE9ELNS1_11target_archE1100ELNS1_3gpuE3ELNS1_3repE0EEENS1_30default_config_static_selectorELNS0_4arch9wavefront6targetE1EEEvT1_,"axG",@progbits,_ZN7rocprim17ROCPRIM_400000_NS6detail17trampoline_kernelINS0_14default_configENS1_20scan_config_selectorIjEEZZNS1_9scan_implILNS1_25lookback_scan_determinismE0ELb1ELb1ES3_N6thrust23THRUST_200600_302600_NS6detail15normal_iteratorINS9_10device_ptrIjEEEENS9_16discard_iteratorINS9_11use_defaultEEEj11max_functorIjEjEEDaPvRmT3_T4_T5_mT6_P12ihipStream_tbENKUlT_T0_E_clISt17integral_constantIbLb0EESX_EEDaSS_ST_EUlSS_E0_NS1_11comp_targetILNS1_3genE9ELNS1_11target_archE1100ELNS1_3gpuE3ELNS1_3repE0EEENS1_30default_config_static_selectorELNS0_4arch9wavefront6targetE1EEEvT1_,comdat
.Lfunc_end3510:
	.size	_ZN7rocprim17ROCPRIM_400000_NS6detail17trampoline_kernelINS0_14default_configENS1_20scan_config_selectorIjEEZZNS1_9scan_implILNS1_25lookback_scan_determinismE0ELb1ELb1ES3_N6thrust23THRUST_200600_302600_NS6detail15normal_iteratorINS9_10device_ptrIjEEEENS9_16discard_iteratorINS9_11use_defaultEEEj11max_functorIjEjEEDaPvRmT3_T4_T5_mT6_P12ihipStream_tbENKUlT_T0_E_clISt17integral_constantIbLb0EESX_EEDaSS_ST_EUlSS_E0_NS1_11comp_targetILNS1_3genE9ELNS1_11target_archE1100ELNS1_3gpuE3ELNS1_3repE0EEENS1_30default_config_static_selectorELNS0_4arch9wavefront6targetE1EEEvT1_, .Lfunc_end3510-_ZN7rocprim17ROCPRIM_400000_NS6detail17trampoline_kernelINS0_14default_configENS1_20scan_config_selectorIjEEZZNS1_9scan_implILNS1_25lookback_scan_determinismE0ELb1ELb1ES3_N6thrust23THRUST_200600_302600_NS6detail15normal_iteratorINS9_10device_ptrIjEEEENS9_16discard_iteratorINS9_11use_defaultEEEj11max_functorIjEjEEDaPvRmT3_T4_T5_mT6_P12ihipStream_tbENKUlT_T0_E_clISt17integral_constantIbLb0EESX_EEDaSS_ST_EUlSS_E0_NS1_11comp_targetILNS1_3genE9ELNS1_11target_archE1100ELNS1_3gpuE3ELNS1_3repE0EEENS1_30default_config_static_selectorELNS0_4arch9wavefront6targetE1EEEvT1_
                                        ; -- End function
	.section	.AMDGPU.csdata,"",@progbits
; Kernel info:
; codeLenInByte = 0
; NumSgprs: 4
; NumVgprs: 0
; NumAgprs: 0
; TotalNumVgprs: 0
; ScratchSize: 0
; MemoryBound: 0
; FloatMode: 240
; IeeeMode: 1
; LDSByteSize: 0 bytes/workgroup (compile time only)
; SGPRBlocks: 0
; VGPRBlocks: 0
; NumSGPRsForWavesPerEU: 4
; NumVGPRsForWavesPerEU: 1
; AccumOffset: 4
; Occupancy: 8
; WaveLimiterHint : 0
; COMPUTE_PGM_RSRC2:SCRATCH_EN: 0
; COMPUTE_PGM_RSRC2:USER_SGPR: 6
; COMPUTE_PGM_RSRC2:TRAP_HANDLER: 0
; COMPUTE_PGM_RSRC2:TGID_X_EN: 1
; COMPUTE_PGM_RSRC2:TGID_Y_EN: 0
; COMPUTE_PGM_RSRC2:TGID_Z_EN: 0
; COMPUTE_PGM_RSRC2:TIDIG_COMP_CNT: 0
; COMPUTE_PGM_RSRC3_GFX90A:ACCUM_OFFSET: 0
; COMPUTE_PGM_RSRC3_GFX90A:TG_SPLIT: 0
	.section	.text._ZN7rocprim17ROCPRIM_400000_NS6detail17trampoline_kernelINS0_14default_configENS1_20scan_config_selectorIjEEZZNS1_9scan_implILNS1_25lookback_scan_determinismE0ELb1ELb1ES3_N6thrust23THRUST_200600_302600_NS6detail15normal_iteratorINS9_10device_ptrIjEEEENS9_16discard_iteratorINS9_11use_defaultEEEj11max_functorIjEjEEDaPvRmT3_T4_T5_mT6_P12ihipStream_tbENKUlT_T0_E_clISt17integral_constantIbLb0EESX_EEDaSS_ST_EUlSS_E0_NS1_11comp_targetILNS1_3genE8ELNS1_11target_archE1030ELNS1_3gpuE2ELNS1_3repE0EEENS1_30default_config_static_selectorELNS0_4arch9wavefront6targetE1EEEvT1_,"axG",@progbits,_ZN7rocprim17ROCPRIM_400000_NS6detail17trampoline_kernelINS0_14default_configENS1_20scan_config_selectorIjEEZZNS1_9scan_implILNS1_25lookback_scan_determinismE0ELb1ELb1ES3_N6thrust23THRUST_200600_302600_NS6detail15normal_iteratorINS9_10device_ptrIjEEEENS9_16discard_iteratorINS9_11use_defaultEEEj11max_functorIjEjEEDaPvRmT3_T4_T5_mT6_P12ihipStream_tbENKUlT_T0_E_clISt17integral_constantIbLb0EESX_EEDaSS_ST_EUlSS_E0_NS1_11comp_targetILNS1_3genE8ELNS1_11target_archE1030ELNS1_3gpuE2ELNS1_3repE0EEENS1_30default_config_static_selectorELNS0_4arch9wavefront6targetE1EEEvT1_,comdat
	.protected	_ZN7rocprim17ROCPRIM_400000_NS6detail17trampoline_kernelINS0_14default_configENS1_20scan_config_selectorIjEEZZNS1_9scan_implILNS1_25lookback_scan_determinismE0ELb1ELb1ES3_N6thrust23THRUST_200600_302600_NS6detail15normal_iteratorINS9_10device_ptrIjEEEENS9_16discard_iteratorINS9_11use_defaultEEEj11max_functorIjEjEEDaPvRmT3_T4_T5_mT6_P12ihipStream_tbENKUlT_T0_E_clISt17integral_constantIbLb0EESX_EEDaSS_ST_EUlSS_E0_NS1_11comp_targetILNS1_3genE8ELNS1_11target_archE1030ELNS1_3gpuE2ELNS1_3repE0EEENS1_30default_config_static_selectorELNS0_4arch9wavefront6targetE1EEEvT1_ ; -- Begin function _ZN7rocprim17ROCPRIM_400000_NS6detail17trampoline_kernelINS0_14default_configENS1_20scan_config_selectorIjEEZZNS1_9scan_implILNS1_25lookback_scan_determinismE0ELb1ELb1ES3_N6thrust23THRUST_200600_302600_NS6detail15normal_iteratorINS9_10device_ptrIjEEEENS9_16discard_iteratorINS9_11use_defaultEEEj11max_functorIjEjEEDaPvRmT3_T4_T5_mT6_P12ihipStream_tbENKUlT_T0_E_clISt17integral_constantIbLb0EESX_EEDaSS_ST_EUlSS_E0_NS1_11comp_targetILNS1_3genE8ELNS1_11target_archE1030ELNS1_3gpuE2ELNS1_3repE0EEENS1_30default_config_static_selectorELNS0_4arch9wavefront6targetE1EEEvT1_
	.globl	_ZN7rocprim17ROCPRIM_400000_NS6detail17trampoline_kernelINS0_14default_configENS1_20scan_config_selectorIjEEZZNS1_9scan_implILNS1_25lookback_scan_determinismE0ELb1ELb1ES3_N6thrust23THRUST_200600_302600_NS6detail15normal_iteratorINS9_10device_ptrIjEEEENS9_16discard_iteratorINS9_11use_defaultEEEj11max_functorIjEjEEDaPvRmT3_T4_T5_mT6_P12ihipStream_tbENKUlT_T0_E_clISt17integral_constantIbLb0EESX_EEDaSS_ST_EUlSS_E0_NS1_11comp_targetILNS1_3genE8ELNS1_11target_archE1030ELNS1_3gpuE2ELNS1_3repE0EEENS1_30default_config_static_selectorELNS0_4arch9wavefront6targetE1EEEvT1_
	.p2align	8
	.type	_ZN7rocprim17ROCPRIM_400000_NS6detail17trampoline_kernelINS0_14default_configENS1_20scan_config_selectorIjEEZZNS1_9scan_implILNS1_25lookback_scan_determinismE0ELb1ELb1ES3_N6thrust23THRUST_200600_302600_NS6detail15normal_iteratorINS9_10device_ptrIjEEEENS9_16discard_iteratorINS9_11use_defaultEEEj11max_functorIjEjEEDaPvRmT3_T4_T5_mT6_P12ihipStream_tbENKUlT_T0_E_clISt17integral_constantIbLb0EESX_EEDaSS_ST_EUlSS_E0_NS1_11comp_targetILNS1_3genE8ELNS1_11target_archE1030ELNS1_3gpuE2ELNS1_3repE0EEENS1_30default_config_static_selectorELNS0_4arch9wavefront6targetE1EEEvT1_,@function
_ZN7rocprim17ROCPRIM_400000_NS6detail17trampoline_kernelINS0_14default_configENS1_20scan_config_selectorIjEEZZNS1_9scan_implILNS1_25lookback_scan_determinismE0ELb1ELb1ES3_N6thrust23THRUST_200600_302600_NS6detail15normal_iteratorINS9_10device_ptrIjEEEENS9_16discard_iteratorINS9_11use_defaultEEEj11max_functorIjEjEEDaPvRmT3_T4_T5_mT6_P12ihipStream_tbENKUlT_T0_E_clISt17integral_constantIbLb0EESX_EEDaSS_ST_EUlSS_E0_NS1_11comp_targetILNS1_3genE8ELNS1_11target_archE1030ELNS1_3gpuE2ELNS1_3repE0EEENS1_30default_config_static_selectorELNS0_4arch9wavefront6targetE1EEEvT1_: ; @_ZN7rocprim17ROCPRIM_400000_NS6detail17trampoline_kernelINS0_14default_configENS1_20scan_config_selectorIjEEZZNS1_9scan_implILNS1_25lookback_scan_determinismE0ELb1ELb1ES3_N6thrust23THRUST_200600_302600_NS6detail15normal_iteratorINS9_10device_ptrIjEEEENS9_16discard_iteratorINS9_11use_defaultEEEj11max_functorIjEjEEDaPvRmT3_T4_T5_mT6_P12ihipStream_tbENKUlT_T0_E_clISt17integral_constantIbLb0EESX_EEDaSS_ST_EUlSS_E0_NS1_11comp_targetILNS1_3genE8ELNS1_11target_archE1030ELNS1_3gpuE2ELNS1_3repE0EEENS1_30default_config_static_selectorELNS0_4arch9wavefront6targetE1EEEvT1_
; %bb.0:
	.section	.rodata,"a",@progbits
	.p2align	6, 0x0
	.amdhsa_kernel _ZN7rocprim17ROCPRIM_400000_NS6detail17trampoline_kernelINS0_14default_configENS1_20scan_config_selectorIjEEZZNS1_9scan_implILNS1_25lookback_scan_determinismE0ELb1ELb1ES3_N6thrust23THRUST_200600_302600_NS6detail15normal_iteratorINS9_10device_ptrIjEEEENS9_16discard_iteratorINS9_11use_defaultEEEj11max_functorIjEjEEDaPvRmT3_T4_T5_mT6_P12ihipStream_tbENKUlT_T0_E_clISt17integral_constantIbLb0EESX_EEDaSS_ST_EUlSS_E0_NS1_11comp_targetILNS1_3genE8ELNS1_11target_archE1030ELNS1_3gpuE2ELNS1_3repE0EEENS1_30default_config_static_selectorELNS0_4arch9wavefront6targetE1EEEvT1_
		.amdhsa_group_segment_fixed_size 0
		.amdhsa_private_segment_fixed_size 0
		.amdhsa_kernarg_size 40
		.amdhsa_user_sgpr_count 6
		.amdhsa_user_sgpr_private_segment_buffer 1
		.amdhsa_user_sgpr_dispatch_ptr 0
		.amdhsa_user_sgpr_queue_ptr 0
		.amdhsa_user_sgpr_kernarg_segment_ptr 1
		.amdhsa_user_sgpr_dispatch_id 0
		.amdhsa_user_sgpr_flat_scratch_init 0
		.amdhsa_user_sgpr_kernarg_preload_length 0
		.amdhsa_user_sgpr_kernarg_preload_offset 0
		.amdhsa_user_sgpr_private_segment_size 0
		.amdhsa_uses_dynamic_stack 0
		.amdhsa_system_sgpr_private_segment_wavefront_offset 0
		.amdhsa_system_sgpr_workgroup_id_x 1
		.amdhsa_system_sgpr_workgroup_id_y 0
		.amdhsa_system_sgpr_workgroup_id_z 0
		.amdhsa_system_sgpr_workgroup_info 0
		.amdhsa_system_vgpr_workitem_id 0
		.amdhsa_next_free_vgpr 1
		.amdhsa_next_free_sgpr 0
		.amdhsa_accum_offset 4
		.amdhsa_reserve_vcc 0
		.amdhsa_reserve_flat_scratch 0
		.amdhsa_float_round_mode_32 0
		.amdhsa_float_round_mode_16_64 0
		.amdhsa_float_denorm_mode_32 3
		.amdhsa_float_denorm_mode_16_64 3
		.amdhsa_dx10_clamp 1
		.amdhsa_ieee_mode 1
		.amdhsa_fp16_overflow 0
		.amdhsa_tg_split 0
		.amdhsa_exception_fp_ieee_invalid_op 0
		.amdhsa_exception_fp_denorm_src 0
		.amdhsa_exception_fp_ieee_div_zero 0
		.amdhsa_exception_fp_ieee_overflow 0
		.amdhsa_exception_fp_ieee_underflow 0
		.amdhsa_exception_fp_ieee_inexact 0
		.amdhsa_exception_int_div_zero 0
	.end_amdhsa_kernel
	.section	.text._ZN7rocprim17ROCPRIM_400000_NS6detail17trampoline_kernelINS0_14default_configENS1_20scan_config_selectorIjEEZZNS1_9scan_implILNS1_25lookback_scan_determinismE0ELb1ELb1ES3_N6thrust23THRUST_200600_302600_NS6detail15normal_iteratorINS9_10device_ptrIjEEEENS9_16discard_iteratorINS9_11use_defaultEEEj11max_functorIjEjEEDaPvRmT3_T4_T5_mT6_P12ihipStream_tbENKUlT_T0_E_clISt17integral_constantIbLb0EESX_EEDaSS_ST_EUlSS_E0_NS1_11comp_targetILNS1_3genE8ELNS1_11target_archE1030ELNS1_3gpuE2ELNS1_3repE0EEENS1_30default_config_static_selectorELNS0_4arch9wavefront6targetE1EEEvT1_,"axG",@progbits,_ZN7rocprim17ROCPRIM_400000_NS6detail17trampoline_kernelINS0_14default_configENS1_20scan_config_selectorIjEEZZNS1_9scan_implILNS1_25lookback_scan_determinismE0ELb1ELb1ES3_N6thrust23THRUST_200600_302600_NS6detail15normal_iteratorINS9_10device_ptrIjEEEENS9_16discard_iteratorINS9_11use_defaultEEEj11max_functorIjEjEEDaPvRmT3_T4_T5_mT6_P12ihipStream_tbENKUlT_T0_E_clISt17integral_constantIbLb0EESX_EEDaSS_ST_EUlSS_E0_NS1_11comp_targetILNS1_3genE8ELNS1_11target_archE1030ELNS1_3gpuE2ELNS1_3repE0EEENS1_30default_config_static_selectorELNS0_4arch9wavefront6targetE1EEEvT1_,comdat
.Lfunc_end3511:
	.size	_ZN7rocprim17ROCPRIM_400000_NS6detail17trampoline_kernelINS0_14default_configENS1_20scan_config_selectorIjEEZZNS1_9scan_implILNS1_25lookback_scan_determinismE0ELb1ELb1ES3_N6thrust23THRUST_200600_302600_NS6detail15normal_iteratorINS9_10device_ptrIjEEEENS9_16discard_iteratorINS9_11use_defaultEEEj11max_functorIjEjEEDaPvRmT3_T4_T5_mT6_P12ihipStream_tbENKUlT_T0_E_clISt17integral_constantIbLb0EESX_EEDaSS_ST_EUlSS_E0_NS1_11comp_targetILNS1_3genE8ELNS1_11target_archE1030ELNS1_3gpuE2ELNS1_3repE0EEENS1_30default_config_static_selectorELNS0_4arch9wavefront6targetE1EEEvT1_, .Lfunc_end3511-_ZN7rocprim17ROCPRIM_400000_NS6detail17trampoline_kernelINS0_14default_configENS1_20scan_config_selectorIjEEZZNS1_9scan_implILNS1_25lookback_scan_determinismE0ELb1ELb1ES3_N6thrust23THRUST_200600_302600_NS6detail15normal_iteratorINS9_10device_ptrIjEEEENS9_16discard_iteratorINS9_11use_defaultEEEj11max_functorIjEjEEDaPvRmT3_T4_T5_mT6_P12ihipStream_tbENKUlT_T0_E_clISt17integral_constantIbLb0EESX_EEDaSS_ST_EUlSS_E0_NS1_11comp_targetILNS1_3genE8ELNS1_11target_archE1030ELNS1_3gpuE2ELNS1_3repE0EEENS1_30default_config_static_selectorELNS0_4arch9wavefront6targetE1EEEvT1_
                                        ; -- End function
	.section	.AMDGPU.csdata,"",@progbits
; Kernel info:
; codeLenInByte = 0
; NumSgprs: 4
; NumVgprs: 0
; NumAgprs: 0
; TotalNumVgprs: 0
; ScratchSize: 0
; MemoryBound: 0
; FloatMode: 240
; IeeeMode: 1
; LDSByteSize: 0 bytes/workgroup (compile time only)
; SGPRBlocks: 0
; VGPRBlocks: 0
; NumSGPRsForWavesPerEU: 4
; NumVGPRsForWavesPerEU: 1
; AccumOffset: 4
; Occupancy: 8
; WaveLimiterHint : 0
; COMPUTE_PGM_RSRC2:SCRATCH_EN: 0
; COMPUTE_PGM_RSRC2:USER_SGPR: 6
; COMPUTE_PGM_RSRC2:TRAP_HANDLER: 0
; COMPUTE_PGM_RSRC2:TGID_X_EN: 1
; COMPUTE_PGM_RSRC2:TGID_Y_EN: 0
; COMPUTE_PGM_RSRC2:TGID_Z_EN: 0
; COMPUTE_PGM_RSRC2:TIDIG_COMP_CNT: 0
; COMPUTE_PGM_RSRC3_GFX90A:ACCUM_OFFSET: 0
; COMPUTE_PGM_RSRC3_GFX90A:TG_SPLIT: 0
	.section	.text._ZN7rocprim17ROCPRIM_400000_NS6detail17trampoline_kernelINS0_14default_configENS1_20scan_config_selectorIjEEZZNS1_9scan_implILNS1_25lookback_scan_determinismE0ELb1ELb1ES3_N6thrust23THRUST_200600_302600_NS6detail15normal_iteratorINS9_10device_ptrIjEEEENS9_16discard_iteratorINS9_11use_defaultEEEj11max_functorIjEjEEDaPvRmT3_T4_T5_mT6_P12ihipStream_tbENKUlT_T0_E_clISt17integral_constantIbLb1EESX_EEDaSS_ST_EUlSS_E_NS1_11comp_targetILNS1_3genE0ELNS1_11target_archE4294967295ELNS1_3gpuE0ELNS1_3repE0EEENS1_30default_config_static_selectorELNS0_4arch9wavefront6targetE1EEEvT1_,"axG",@progbits,_ZN7rocprim17ROCPRIM_400000_NS6detail17trampoline_kernelINS0_14default_configENS1_20scan_config_selectorIjEEZZNS1_9scan_implILNS1_25lookback_scan_determinismE0ELb1ELb1ES3_N6thrust23THRUST_200600_302600_NS6detail15normal_iteratorINS9_10device_ptrIjEEEENS9_16discard_iteratorINS9_11use_defaultEEEj11max_functorIjEjEEDaPvRmT3_T4_T5_mT6_P12ihipStream_tbENKUlT_T0_E_clISt17integral_constantIbLb1EESX_EEDaSS_ST_EUlSS_E_NS1_11comp_targetILNS1_3genE0ELNS1_11target_archE4294967295ELNS1_3gpuE0ELNS1_3repE0EEENS1_30default_config_static_selectorELNS0_4arch9wavefront6targetE1EEEvT1_,comdat
	.protected	_ZN7rocprim17ROCPRIM_400000_NS6detail17trampoline_kernelINS0_14default_configENS1_20scan_config_selectorIjEEZZNS1_9scan_implILNS1_25lookback_scan_determinismE0ELb1ELb1ES3_N6thrust23THRUST_200600_302600_NS6detail15normal_iteratorINS9_10device_ptrIjEEEENS9_16discard_iteratorINS9_11use_defaultEEEj11max_functorIjEjEEDaPvRmT3_T4_T5_mT6_P12ihipStream_tbENKUlT_T0_E_clISt17integral_constantIbLb1EESX_EEDaSS_ST_EUlSS_E_NS1_11comp_targetILNS1_3genE0ELNS1_11target_archE4294967295ELNS1_3gpuE0ELNS1_3repE0EEENS1_30default_config_static_selectorELNS0_4arch9wavefront6targetE1EEEvT1_ ; -- Begin function _ZN7rocprim17ROCPRIM_400000_NS6detail17trampoline_kernelINS0_14default_configENS1_20scan_config_selectorIjEEZZNS1_9scan_implILNS1_25lookback_scan_determinismE0ELb1ELb1ES3_N6thrust23THRUST_200600_302600_NS6detail15normal_iteratorINS9_10device_ptrIjEEEENS9_16discard_iteratorINS9_11use_defaultEEEj11max_functorIjEjEEDaPvRmT3_T4_T5_mT6_P12ihipStream_tbENKUlT_T0_E_clISt17integral_constantIbLb1EESX_EEDaSS_ST_EUlSS_E_NS1_11comp_targetILNS1_3genE0ELNS1_11target_archE4294967295ELNS1_3gpuE0ELNS1_3repE0EEENS1_30default_config_static_selectorELNS0_4arch9wavefront6targetE1EEEvT1_
	.globl	_ZN7rocprim17ROCPRIM_400000_NS6detail17trampoline_kernelINS0_14default_configENS1_20scan_config_selectorIjEEZZNS1_9scan_implILNS1_25lookback_scan_determinismE0ELb1ELb1ES3_N6thrust23THRUST_200600_302600_NS6detail15normal_iteratorINS9_10device_ptrIjEEEENS9_16discard_iteratorINS9_11use_defaultEEEj11max_functorIjEjEEDaPvRmT3_T4_T5_mT6_P12ihipStream_tbENKUlT_T0_E_clISt17integral_constantIbLb1EESX_EEDaSS_ST_EUlSS_E_NS1_11comp_targetILNS1_3genE0ELNS1_11target_archE4294967295ELNS1_3gpuE0ELNS1_3repE0EEENS1_30default_config_static_selectorELNS0_4arch9wavefront6targetE1EEEvT1_
	.p2align	8
	.type	_ZN7rocprim17ROCPRIM_400000_NS6detail17trampoline_kernelINS0_14default_configENS1_20scan_config_selectorIjEEZZNS1_9scan_implILNS1_25lookback_scan_determinismE0ELb1ELb1ES3_N6thrust23THRUST_200600_302600_NS6detail15normal_iteratorINS9_10device_ptrIjEEEENS9_16discard_iteratorINS9_11use_defaultEEEj11max_functorIjEjEEDaPvRmT3_T4_T5_mT6_P12ihipStream_tbENKUlT_T0_E_clISt17integral_constantIbLb1EESX_EEDaSS_ST_EUlSS_E_NS1_11comp_targetILNS1_3genE0ELNS1_11target_archE4294967295ELNS1_3gpuE0ELNS1_3repE0EEENS1_30default_config_static_selectorELNS0_4arch9wavefront6targetE1EEEvT1_,@function
_ZN7rocprim17ROCPRIM_400000_NS6detail17trampoline_kernelINS0_14default_configENS1_20scan_config_selectorIjEEZZNS1_9scan_implILNS1_25lookback_scan_determinismE0ELb1ELb1ES3_N6thrust23THRUST_200600_302600_NS6detail15normal_iteratorINS9_10device_ptrIjEEEENS9_16discard_iteratorINS9_11use_defaultEEEj11max_functorIjEjEEDaPvRmT3_T4_T5_mT6_P12ihipStream_tbENKUlT_T0_E_clISt17integral_constantIbLb1EESX_EEDaSS_ST_EUlSS_E_NS1_11comp_targetILNS1_3genE0ELNS1_11target_archE4294967295ELNS1_3gpuE0ELNS1_3repE0EEENS1_30default_config_static_selectorELNS0_4arch9wavefront6targetE1EEEvT1_: ; @_ZN7rocprim17ROCPRIM_400000_NS6detail17trampoline_kernelINS0_14default_configENS1_20scan_config_selectorIjEEZZNS1_9scan_implILNS1_25lookback_scan_determinismE0ELb1ELb1ES3_N6thrust23THRUST_200600_302600_NS6detail15normal_iteratorINS9_10device_ptrIjEEEENS9_16discard_iteratorINS9_11use_defaultEEEj11max_functorIjEjEEDaPvRmT3_T4_T5_mT6_P12ihipStream_tbENKUlT_T0_E_clISt17integral_constantIbLb1EESX_EEDaSS_ST_EUlSS_E_NS1_11comp_targetILNS1_3genE0ELNS1_11target_archE4294967295ELNS1_3gpuE0ELNS1_3repE0EEENS1_30default_config_static_selectorELNS0_4arch9wavefront6targetE1EEEvT1_
; %bb.0:
	.section	.rodata,"a",@progbits
	.p2align	6, 0x0
	.amdhsa_kernel _ZN7rocprim17ROCPRIM_400000_NS6detail17trampoline_kernelINS0_14default_configENS1_20scan_config_selectorIjEEZZNS1_9scan_implILNS1_25lookback_scan_determinismE0ELb1ELb1ES3_N6thrust23THRUST_200600_302600_NS6detail15normal_iteratorINS9_10device_ptrIjEEEENS9_16discard_iteratorINS9_11use_defaultEEEj11max_functorIjEjEEDaPvRmT3_T4_T5_mT6_P12ihipStream_tbENKUlT_T0_E_clISt17integral_constantIbLb1EESX_EEDaSS_ST_EUlSS_E_NS1_11comp_targetILNS1_3genE0ELNS1_11target_archE4294967295ELNS1_3gpuE0ELNS1_3repE0EEENS1_30default_config_static_selectorELNS0_4arch9wavefront6targetE1EEEvT1_
		.amdhsa_group_segment_fixed_size 0
		.amdhsa_private_segment_fixed_size 0
		.amdhsa_kernarg_size 104
		.amdhsa_user_sgpr_count 6
		.amdhsa_user_sgpr_private_segment_buffer 1
		.amdhsa_user_sgpr_dispatch_ptr 0
		.amdhsa_user_sgpr_queue_ptr 0
		.amdhsa_user_sgpr_kernarg_segment_ptr 1
		.amdhsa_user_sgpr_dispatch_id 0
		.amdhsa_user_sgpr_flat_scratch_init 0
		.amdhsa_user_sgpr_kernarg_preload_length 0
		.amdhsa_user_sgpr_kernarg_preload_offset 0
		.amdhsa_user_sgpr_private_segment_size 0
		.amdhsa_uses_dynamic_stack 0
		.amdhsa_system_sgpr_private_segment_wavefront_offset 0
		.amdhsa_system_sgpr_workgroup_id_x 1
		.amdhsa_system_sgpr_workgroup_id_y 0
		.amdhsa_system_sgpr_workgroup_id_z 0
		.amdhsa_system_sgpr_workgroup_info 0
		.amdhsa_system_vgpr_workitem_id 0
		.amdhsa_next_free_vgpr 1
		.amdhsa_next_free_sgpr 0
		.amdhsa_accum_offset 4
		.amdhsa_reserve_vcc 0
		.amdhsa_reserve_flat_scratch 0
		.amdhsa_float_round_mode_32 0
		.amdhsa_float_round_mode_16_64 0
		.amdhsa_float_denorm_mode_32 3
		.amdhsa_float_denorm_mode_16_64 3
		.amdhsa_dx10_clamp 1
		.amdhsa_ieee_mode 1
		.amdhsa_fp16_overflow 0
		.amdhsa_tg_split 0
		.amdhsa_exception_fp_ieee_invalid_op 0
		.amdhsa_exception_fp_denorm_src 0
		.amdhsa_exception_fp_ieee_div_zero 0
		.amdhsa_exception_fp_ieee_overflow 0
		.amdhsa_exception_fp_ieee_underflow 0
		.amdhsa_exception_fp_ieee_inexact 0
		.amdhsa_exception_int_div_zero 0
	.end_amdhsa_kernel
	.section	.text._ZN7rocprim17ROCPRIM_400000_NS6detail17trampoline_kernelINS0_14default_configENS1_20scan_config_selectorIjEEZZNS1_9scan_implILNS1_25lookback_scan_determinismE0ELb1ELb1ES3_N6thrust23THRUST_200600_302600_NS6detail15normal_iteratorINS9_10device_ptrIjEEEENS9_16discard_iteratorINS9_11use_defaultEEEj11max_functorIjEjEEDaPvRmT3_T4_T5_mT6_P12ihipStream_tbENKUlT_T0_E_clISt17integral_constantIbLb1EESX_EEDaSS_ST_EUlSS_E_NS1_11comp_targetILNS1_3genE0ELNS1_11target_archE4294967295ELNS1_3gpuE0ELNS1_3repE0EEENS1_30default_config_static_selectorELNS0_4arch9wavefront6targetE1EEEvT1_,"axG",@progbits,_ZN7rocprim17ROCPRIM_400000_NS6detail17trampoline_kernelINS0_14default_configENS1_20scan_config_selectorIjEEZZNS1_9scan_implILNS1_25lookback_scan_determinismE0ELb1ELb1ES3_N6thrust23THRUST_200600_302600_NS6detail15normal_iteratorINS9_10device_ptrIjEEEENS9_16discard_iteratorINS9_11use_defaultEEEj11max_functorIjEjEEDaPvRmT3_T4_T5_mT6_P12ihipStream_tbENKUlT_T0_E_clISt17integral_constantIbLb1EESX_EEDaSS_ST_EUlSS_E_NS1_11comp_targetILNS1_3genE0ELNS1_11target_archE4294967295ELNS1_3gpuE0ELNS1_3repE0EEENS1_30default_config_static_selectorELNS0_4arch9wavefront6targetE1EEEvT1_,comdat
.Lfunc_end3512:
	.size	_ZN7rocprim17ROCPRIM_400000_NS6detail17trampoline_kernelINS0_14default_configENS1_20scan_config_selectorIjEEZZNS1_9scan_implILNS1_25lookback_scan_determinismE0ELb1ELb1ES3_N6thrust23THRUST_200600_302600_NS6detail15normal_iteratorINS9_10device_ptrIjEEEENS9_16discard_iteratorINS9_11use_defaultEEEj11max_functorIjEjEEDaPvRmT3_T4_T5_mT6_P12ihipStream_tbENKUlT_T0_E_clISt17integral_constantIbLb1EESX_EEDaSS_ST_EUlSS_E_NS1_11comp_targetILNS1_3genE0ELNS1_11target_archE4294967295ELNS1_3gpuE0ELNS1_3repE0EEENS1_30default_config_static_selectorELNS0_4arch9wavefront6targetE1EEEvT1_, .Lfunc_end3512-_ZN7rocprim17ROCPRIM_400000_NS6detail17trampoline_kernelINS0_14default_configENS1_20scan_config_selectorIjEEZZNS1_9scan_implILNS1_25lookback_scan_determinismE0ELb1ELb1ES3_N6thrust23THRUST_200600_302600_NS6detail15normal_iteratorINS9_10device_ptrIjEEEENS9_16discard_iteratorINS9_11use_defaultEEEj11max_functorIjEjEEDaPvRmT3_T4_T5_mT6_P12ihipStream_tbENKUlT_T0_E_clISt17integral_constantIbLb1EESX_EEDaSS_ST_EUlSS_E_NS1_11comp_targetILNS1_3genE0ELNS1_11target_archE4294967295ELNS1_3gpuE0ELNS1_3repE0EEENS1_30default_config_static_selectorELNS0_4arch9wavefront6targetE1EEEvT1_
                                        ; -- End function
	.section	.AMDGPU.csdata,"",@progbits
; Kernel info:
; codeLenInByte = 0
; NumSgprs: 4
; NumVgprs: 0
; NumAgprs: 0
; TotalNumVgprs: 0
; ScratchSize: 0
; MemoryBound: 0
; FloatMode: 240
; IeeeMode: 1
; LDSByteSize: 0 bytes/workgroup (compile time only)
; SGPRBlocks: 0
; VGPRBlocks: 0
; NumSGPRsForWavesPerEU: 4
; NumVGPRsForWavesPerEU: 1
; AccumOffset: 4
; Occupancy: 8
; WaveLimiterHint : 0
; COMPUTE_PGM_RSRC2:SCRATCH_EN: 0
; COMPUTE_PGM_RSRC2:USER_SGPR: 6
; COMPUTE_PGM_RSRC2:TRAP_HANDLER: 0
; COMPUTE_PGM_RSRC2:TGID_X_EN: 1
; COMPUTE_PGM_RSRC2:TGID_Y_EN: 0
; COMPUTE_PGM_RSRC2:TGID_Z_EN: 0
; COMPUTE_PGM_RSRC2:TIDIG_COMP_CNT: 0
; COMPUTE_PGM_RSRC3_GFX90A:ACCUM_OFFSET: 0
; COMPUTE_PGM_RSRC3_GFX90A:TG_SPLIT: 0
	.section	.text._ZN7rocprim17ROCPRIM_400000_NS6detail17trampoline_kernelINS0_14default_configENS1_20scan_config_selectorIjEEZZNS1_9scan_implILNS1_25lookback_scan_determinismE0ELb1ELb1ES3_N6thrust23THRUST_200600_302600_NS6detail15normal_iteratorINS9_10device_ptrIjEEEENS9_16discard_iteratorINS9_11use_defaultEEEj11max_functorIjEjEEDaPvRmT3_T4_T5_mT6_P12ihipStream_tbENKUlT_T0_E_clISt17integral_constantIbLb1EESX_EEDaSS_ST_EUlSS_E_NS1_11comp_targetILNS1_3genE5ELNS1_11target_archE942ELNS1_3gpuE9ELNS1_3repE0EEENS1_30default_config_static_selectorELNS0_4arch9wavefront6targetE1EEEvT1_,"axG",@progbits,_ZN7rocprim17ROCPRIM_400000_NS6detail17trampoline_kernelINS0_14default_configENS1_20scan_config_selectorIjEEZZNS1_9scan_implILNS1_25lookback_scan_determinismE0ELb1ELb1ES3_N6thrust23THRUST_200600_302600_NS6detail15normal_iteratorINS9_10device_ptrIjEEEENS9_16discard_iteratorINS9_11use_defaultEEEj11max_functorIjEjEEDaPvRmT3_T4_T5_mT6_P12ihipStream_tbENKUlT_T0_E_clISt17integral_constantIbLb1EESX_EEDaSS_ST_EUlSS_E_NS1_11comp_targetILNS1_3genE5ELNS1_11target_archE942ELNS1_3gpuE9ELNS1_3repE0EEENS1_30default_config_static_selectorELNS0_4arch9wavefront6targetE1EEEvT1_,comdat
	.protected	_ZN7rocprim17ROCPRIM_400000_NS6detail17trampoline_kernelINS0_14default_configENS1_20scan_config_selectorIjEEZZNS1_9scan_implILNS1_25lookback_scan_determinismE0ELb1ELb1ES3_N6thrust23THRUST_200600_302600_NS6detail15normal_iteratorINS9_10device_ptrIjEEEENS9_16discard_iteratorINS9_11use_defaultEEEj11max_functorIjEjEEDaPvRmT3_T4_T5_mT6_P12ihipStream_tbENKUlT_T0_E_clISt17integral_constantIbLb1EESX_EEDaSS_ST_EUlSS_E_NS1_11comp_targetILNS1_3genE5ELNS1_11target_archE942ELNS1_3gpuE9ELNS1_3repE0EEENS1_30default_config_static_selectorELNS0_4arch9wavefront6targetE1EEEvT1_ ; -- Begin function _ZN7rocprim17ROCPRIM_400000_NS6detail17trampoline_kernelINS0_14default_configENS1_20scan_config_selectorIjEEZZNS1_9scan_implILNS1_25lookback_scan_determinismE0ELb1ELb1ES3_N6thrust23THRUST_200600_302600_NS6detail15normal_iteratorINS9_10device_ptrIjEEEENS9_16discard_iteratorINS9_11use_defaultEEEj11max_functorIjEjEEDaPvRmT3_T4_T5_mT6_P12ihipStream_tbENKUlT_T0_E_clISt17integral_constantIbLb1EESX_EEDaSS_ST_EUlSS_E_NS1_11comp_targetILNS1_3genE5ELNS1_11target_archE942ELNS1_3gpuE9ELNS1_3repE0EEENS1_30default_config_static_selectorELNS0_4arch9wavefront6targetE1EEEvT1_
	.globl	_ZN7rocprim17ROCPRIM_400000_NS6detail17trampoline_kernelINS0_14default_configENS1_20scan_config_selectorIjEEZZNS1_9scan_implILNS1_25lookback_scan_determinismE0ELb1ELb1ES3_N6thrust23THRUST_200600_302600_NS6detail15normal_iteratorINS9_10device_ptrIjEEEENS9_16discard_iteratorINS9_11use_defaultEEEj11max_functorIjEjEEDaPvRmT3_T4_T5_mT6_P12ihipStream_tbENKUlT_T0_E_clISt17integral_constantIbLb1EESX_EEDaSS_ST_EUlSS_E_NS1_11comp_targetILNS1_3genE5ELNS1_11target_archE942ELNS1_3gpuE9ELNS1_3repE0EEENS1_30default_config_static_selectorELNS0_4arch9wavefront6targetE1EEEvT1_
	.p2align	8
	.type	_ZN7rocprim17ROCPRIM_400000_NS6detail17trampoline_kernelINS0_14default_configENS1_20scan_config_selectorIjEEZZNS1_9scan_implILNS1_25lookback_scan_determinismE0ELb1ELb1ES3_N6thrust23THRUST_200600_302600_NS6detail15normal_iteratorINS9_10device_ptrIjEEEENS9_16discard_iteratorINS9_11use_defaultEEEj11max_functorIjEjEEDaPvRmT3_T4_T5_mT6_P12ihipStream_tbENKUlT_T0_E_clISt17integral_constantIbLb1EESX_EEDaSS_ST_EUlSS_E_NS1_11comp_targetILNS1_3genE5ELNS1_11target_archE942ELNS1_3gpuE9ELNS1_3repE0EEENS1_30default_config_static_selectorELNS0_4arch9wavefront6targetE1EEEvT1_,@function
_ZN7rocprim17ROCPRIM_400000_NS6detail17trampoline_kernelINS0_14default_configENS1_20scan_config_selectorIjEEZZNS1_9scan_implILNS1_25lookback_scan_determinismE0ELb1ELb1ES3_N6thrust23THRUST_200600_302600_NS6detail15normal_iteratorINS9_10device_ptrIjEEEENS9_16discard_iteratorINS9_11use_defaultEEEj11max_functorIjEjEEDaPvRmT3_T4_T5_mT6_P12ihipStream_tbENKUlT_T0_E_clISt17integral_constantIbLb1EESX_EEDaSS_ST_EUlSS_E_NS1_11comp_targetILNS1_3genE5ELNS1_11target_archE942ELNS1_3gpuE9ELNS1_3repE0EEENS1_30default_config_static_selectorELNS0_4arch9wavefront6targetE1EEEvT1_: ; @_ZN7rocprim17ROCPRIM_400000_NS6detail17trampoline_kernelINS0_14default_configENS1_20scan_config_selectorIjEEZZNS1_9scan_implILNS1_25lookback_scan_determinismE0ELb1ELb1ES3_N6thrust23THRUST_200600_302600_NS6detail15normal_iteratorINS9_10device_ptrIjEEEENS9_16discard_iteratorINS9_11use_defaultEEEj11max_functorIjEjEEDaPvRmT3_T4_T5_mT6_P12ihipStream_tbENKUlT_T0_E_clISt17integral_constantIbLb1EESX_EEDaSS_ST_EUlSS_E_NS1_11comp_targetILNS1_3genE5ELNS1_11target_archE942ELNS1_3gpuE9ELNS1_3repE0EEENS1_30default_config_static_selectorELNS0_4arch9wavefront6targetE1EEEvT1_
; %bb.0:
	.section	.rodata,"a",@progbits
	.p2align	6, 0x0
	.amdhsa_kernel _ZN7rocprim17ROCPRIM_400000_NS6detail17trampoline_kernelINS0_14default_configENS1_20scan_config_selectorIjEEZZNS1_9scan_implILNS1_25lookback_scan_determinismE0ELb1ELb1ES3_N6thrust23THRUST_200600_302600_NS6detail15normal_iteratorINS9_10device_ptrIjEEEENS9_16discard_iteratorINS9_11use_defaultEEEj11max_functorIjEjEEDaPvRmT3_T4_T5_mT6_P12ihipStream_tbENKUlT_T0_E_clISt17integral_constantIbLb1EESX_EEDaSS_ST_EUlSS_E_NS1_11comp_targetILNS1_3genE5ELNS1_11target_archE942ELNS1_3gpuE9ELNS1_3repE0EEENS1_30default_config_static_selectorELNS0_4arch9wavefront6targetE1EEEvT1_
		.amdhsa_group_segment_fixed_size 0
		.amdhsa_private_segment_fixed_size 0
		.amdhsa_kernarg_size 104
		.amdhsa_user_sgpr_count 6
		.amdhsa_user_sgpr_private_segment_buffer 1
		.amdhsa_user_sgpr_dispatch_ptr 0
		.amdhsa_user_sgpr_queue_ptr 0
		.amdhsa_user_sgpr_kernarg_segment_ptr 1
		.amdhsa_user_sgpr_dispatch_id 0
		.amdhsa_user_sgpr_flat_scratch_init 0
		.amdhsa_user_sgpr_kernarg_preload_length 0
		.amdhsa_user_sgpr_kernarg_preload_offset 0
		.amdhsa_user_sgpr_private_segment_size 0
		.amdhsa_uses_dynamic_stack 0
		.amdhsa_system_sgpr_private_segment_wavefront_offset 0
		.amdhsa_system_sgpr_workgroup_id_x 1
		.amdhsa_system_sgpr_workgroup_id_y 0
		.amdhsa_system_sgpr_workgroup_id_z 0
		.amdhsa_system_sgpr_workgroup_info 0
		.amdhsa_system_vgpr_workitem_id 0
		.amdhsa_next_free_vgpr 1
		.amdhsa_next_free_sgpr 0
		.amdhsa_accum_offset 4
		.amdhsa_reserve_vcc 0
		.amdhsa_reserve_flat_scratch 0
		.amdhsa_float_round_mode_32 0
		.amdhsa_float_round_mode_16_64 0
		.amdhsa_float_denorm_mode_32 3
		.amdhsa_float_denorm_mode_16_64 3
		.amdhsa_dx10_clamp 1
		.amdhsa_ieee_mode 1
		.amdhsa_fp16_overflow 0
		.amdhsa_tg_split 0
		.amdhsa_exception_fp_ieee_invalid_op 0
		.amdhsa_exception_fp_denorm_src 0
		.amdhsa_exception_fp_ieee_div_zero 0
		.amdhsa_exception_fp_ieee_overflow 0
		.amdhsa_exception_fp_ieee_underflow 0
		.amdhsa_exception_fp_ieee_inexact 0
		.amdhsa_exception_int_div_zero 0
	.end_amdhsa_kernel
	.section	.text._ZN7rocprim17ROCPRIM_400000_NS6detail17trampoline_kernelINS0_14default_configENS1_20scan_config_selectorIjEEZZNS1_9scan_implILNS1_25lookback_scan_determinismE0ELb1ELb1ES3_N6thrust23THRUST_200600_302600_NS6detail15normal_iteratorINS9_10device_ptrIjEEEENS9_16discard_iteratorINS9_11use_defaultEEEj11max_functorIjEjEEDaPvRmT3_T4_T5_mT6_P12ihipStream_tbENKUlT_T0_E_clISt17integral_constantIbLb1EESX_EEDaSS_ST_EUlSS_E_NS1_11comp_targetILNS1_3genE5ELNS1_11target_archE942ELNS1_3gpuE9ELNS1_3repE0EEENS1_30default_config_static_selectorELNS0_4arch9wavefront6targetE1EEEvT1_,"axG",@progbits,_ZN7rocprim17ROCPRIM_400000_NS6detail17trampoline_kernelINS0_14default_configENS1_20scan_config_selectorIjEEZZNS1_9scan_implILNS1_25lookback_scan_determinismE0ELb1ELb1ES3_N6thrust23THRUST_200600_302600_NS6detail15normal_iteratorINS9_10device_ptrIjEEEENS9_16discard_iteratorINS9_11use_defaultEEEj11max_functorIjEjEEDaPvRmT3_T4_T5_mT6_P12ihipStream_tbENKUlT_T0_E_clISt17integral_constantIbLb1EESX_EEDaSS_ST_EUlSS_E_NS1_11comp_targetILNS1_3genE5ELNS1_11target_archE942ELNS1_3gpuE9ELNS1_3repE0EEENS1_30default_config_static_selectorELNS0_4arch9wavefront6targetE1EEEvT1_,comdat
.Lfunc_end3513:
	.size	_ZN7rocprim17ROCPRIM_400000_NS6detail17trampoline_kernelINS0_14default_configENS1_20scan_config_selectorIjEEZZNS1_9scan_implILNS1_25lookback_scan_determinismE0ELb1ELb1ES3_N6thrust23THRUST_200600_302600_NS6detail15normal_iteratorINS9_10device_ptrIjEEEENS9_16discard_iteratorINS9_11use_defaultEEEj11max_functorIjEjEEDaPvRmT3_T4_T5_mT6_P12ihipStream_tbENKUlT_T0_E_clISt17integral_constantIbLb1EESX_EEDaSS_ST_EUlSS_E_NS1_11comp_targetILNS1_3genE5ELNS1_11target_archE942ELNS1_3gpuE9ELNS1_3repE0EEENS1_30default_config_static_selectorELNS0_4arch9wavefront6targetE1EEEvT1_, .Lfunc_end3513-_ZN7rocprim17ROCPRIM_400000_NS6detail17trampoline_kernelINS0_14default_configENS1_20scan_config_selectorIjEEZZNS1_9scan_implILNS1_25lookback_scan_determinismE0ELb1ELb1ES3_N6thrust23THRUST_200600_302600_NS6detail15normal_iteratorINS9_10device_ptrIjEEEENS9_16discard_iteratorINS9_11use_defaultEEEj11max_functorIjEjEEDaPvRmT3_T4_T5_mT6_P12ihipStream_tbENKUlT_T0_E_clISt17integral_constantIbLb1EESX_EEDaSS_ST_EUlSS_E_NS1_11comp_targetILNS1_3genE5ELNS1_11target_archE942ELNS1_3gpuE9ELNS1_3repE0EEENS1_30default_config_static_selectorELNS0_4arch9wavefront6targetE1EEEvT1_
                                        ; -- End function
	.section	.AMDGPU.csdata,"",@progbits
; Kernel info:
; codeLenInByte = 0
; NumSgprs: 4
; NumVgprs: 0
; NumAgprs: 0
; TotalNumVgprs: 0
; ScratchSize: 0
; MemoryBound: 0
; FloatMode: 240
; IeeeMode: 1
; LDSByteSize: 0 bytes/workgroup (compile time only)
; SGPRBlocks: 0
; VGPRBlocks: 0
; NumSGPRsForWavesPerEU: 4
; NumVGPRsForWavesPerEU: 1
; AccumOffset: 4
; Occupancy: 8
; WaveLimiterHint : 0
; COMPUTE_PGM_RSRC2:SCRATCH_EN: 0
; COMPUTE_PGM_RSRC2:USER_SGPR: 6
; COMPUTE_PGM_RSRC2:TRAP_HANDLER: 0
; COMPUTE_PGM_RSRC2:TGID_X_EN: 1
; COMPUTE_PGM_RSRC2:TGID_Y_EN: 0
; COMPUTE_PGM_RSRC2:TGID_Z_EN: 0
; COMPUTE_PGM_RSRC2:TIDIG_COMP_CNT: 0
; COMPUTE_PGM_RSRC3_GFX90A:ACCUM_OFFSET: 0
; COMPUTE_PGM_RSRC3_GFX90A:TG_SPLIT: 0
	.section	.text._ZN7rocprim17ROCPRIM_400000_NS6detail17trampoline_kernelINS0_14default_configENS1_20scan_config_selectorIjEEZZNS1_9scan_implILNS1_25lookback_scan_determinismE0ELb1ELb1ES3_N6thrust23THRUST_200600_302600_NS6detail15normal_iteratorINS9_10device_ptrIjEEEENS9_16discard_iteratorINS9_11use_defaultEEEj11max_functorIjEjEEDaPvRmT3_T4_T5_mT6_P12ihipStream_tbENKUlT_T0_E_clISt17integral_constantIbLb1EESX_EEDaSS_ST_EUlSS_E_NS1_11comp_targetILNS1_3genE4ELNS1_11target_archE910ELNS1_3gpuE8ELNS1_3repE0EEENS1_30default_config_static_selectorELNS0_4arch9wavefront6targetE1EEEvT1_,"axG",@progbits,_ZN7rocprim17ROCPRIM_400000_NS6detail17trampoline_kernelINS0_14default_configENS1_20scan_config_selectorIjEEZZNS1_9scan_implILNS1_25lookback_scan_determinismE0ELb1ELb1ES3_N6thrust23THRUST_200600_302600_NS6detail15normal_iteratorINS9_10device_ptrIjEEEENS9_16discard_iteratorINS9_11use_defaultEEEj11max_functorIjEjEEDaPvRmT3_T4_T5_mT6_P12ihipStream_tbENKUlT_T0_E_clISt17integral_constantIbLb1EESX_EEDaSS_ST_EUlSS_E_NS1_11comp_targetILNS1_3genE4ELNS1_11target_archE910ELNS1_3gpuE8ELNS1_3repE0EEENS1_30default_config_static_selectorELNS0_4arch9wavefront6targetE1EEEvT1_,comdat
	.protected	_ZN7rocprim17ROCPRIM_400000_NS6detail17trampoline_kernelINS0_14default_configENS1_20scan_config_selectorIjEEZZNS1_9scan_implILNS1_25lookback_scan_determinismE0ELb1ELb1ES3_N6thrust23THRUST_200600_302600_NS6detail15normal_iteratorINS9_10device_ptrIjEEEENS9_16discard_iteratorINS9_11use_defaultEEEj11max_functorIjEjEEDaPvRmT3_T4_T5_mT6_P12ihipStream_tbENKUlT_T0_E_clISt17integral_constantIbLb1EESX_EEDaSS_ST_EUlSS_E_NS1_11comp_targetILNS1_3genE4ELNS1_11target_archE910ELNS1_3gpuE8ELNS1_3repE0EEENS1_30default_config_static_selectorELNS0_4arch9wavefront6targetE1EEEvT1_ ; -- Begin function _ZN7rocprim17ROCPRIM_400000_NS6detail17trampoline_kernelINS0_14default_configENS1_20scan_config_selectorIjEEZZNS1_9scan_implILNS1_25lookback_scan_determinismE0ELb1ELb1ES3_N6thrust23THRUST_200600_302600_NS6detail15normal_iteratorINS9_10device_ptrIjEEEENS9_16discard_iteratorINS9_11use_defaultEEEj11max_functorIjEjEEDaPvRmT3_T4_T5_mT6_P12ihipStream_tbENKUlT_T0_E_clISt17integral_constantIbLb1EESX_EEDaSS_ST_EUlSS_E_NS1_11comp_targetILNS1_3genE4ELNS1_11target_archE910ELNS1_3gpuE8ELNS1_3repE0EEENS1_30default_config_static_selectorELNS0_4arch9wavefront6targetE1EEEvT1_
	.globl	_ZN7rocprim17ROCPRIM_400000_NS6detail17trampoline_kernelINS0_14default_configENS1_20scan_config_selectorIjEEZZNS1_9scan_implILNS1_25lookback_scan_determinismE0ELb1ELb1ES3_N6thrust23THRUST_200600_302600_NS6detail15normal_iteratorINS9_10device_ptrIjEEEENS9_16discard_iteratorINS9_11use_defaultEEEj11max_functorIjEjEEDaPvRmT3_T4_T5_mT6_P12ihipStream_tbENKUlT_T0_E_clISt17integral_constantIbLb1EESX_EEDaSS_ST_EUlSS_E_NS1_11comp_targetILNS1_3genE4ELNS1_11target_archE910ELNS1_3gpuE8ELNS1_3repE0EEENS1_30default_config_static_selectorELNS0_4arch9wavefront6targetE1EEEvT1_
	.p2align	8
	.type	_ZN7rocprim17ROCPRIM_400000_NS6detail17trampoline_kernelINS0_14default_configENS1_20scan_config_selectorIjEEZZNS1_9scan_implILNS1_25lookback_scan_determinismE0ELb1ELb1ES3_N6thrust23THRUST_200600_302600_NS6detail15normal_iteratorINS9_10device_ptrIjEEEENS9_16discard_iteratorINS9_11use_defaultEEEj11max_functorIjEjEEDaPvRmT3_T4_T5_mT6_P12ihipStream_tbENKUlT_T0_E_clISt17integral_constantIbLb1EESX_EEDaSS_ST_EUlSS_E_NS1_11comp_targetILNS1_3genE4ELNS1_11target_archE910ELNS1_3gpuE8ELNS1_3repE0EEENS1_30default_config_static_selectorELNS0_4arch9wavefront6targetE1EEEvT1_,@function
_ZN7rocprim17ROCPRIM_400000_NS6detail17trampoline_kernelINS0_14default_configENS1_20scan_config_selectorIjEEZZNS1_9scan_implILNS1_25lookback_scan_determinismE0ELb1ELb1ES3_N6thrust23THRUST_200600_302600_NS6detail15normal_iteratorINS9_10device_ptrIjEEEENS9_16discard_iteratorINS9_11use_defaultEEEj11max_functorIjEjEEDaPvRmT3_T4_T5_mT6_P12ihipStream_tbENKUlT_T0_E_clISt17integral_constantIbLb1EESX_EEDaSS_ST_EUlSS_E_NS1_11comp_targetILNS1_3genE4ELNS1_11target_archE910ELNS1_3gpuE8ELNS1_3repE0EEENS1_30default_config_static_selectorELNS0_4arch9wavefront6targetE1EEEvT1_: ; @_ZN7rocprim17ROCPRIM_400000_NS6detail17trampoline_kernelINS0_14default_configENS1_20scan_config_selectorIjEEZZNS1_9scan_implILNS1_25lookback_scan_determinismE0ELb1ELb1ES3_N6thrust23THRUST_200600_302600_NS6detail15normal_iteratorINS9_10device_ptrIjEEEENS9_16discard_iteratorINS9_11use_defaultEEEj11max_functorIjEjEEDaPvRmT3_T4_T5_mT6_P12ihipStream_tbENKUlT_T0_E_clISt17integral_constantIbLb1EESX_EEDaSS_ST_EUlSS_E_NS1_11comp_targetILNS1_3genE4ELNS1_11target_archE910ELNS1_3gpuE8ELNS1_3repE0EEENS1_30default_config_static_selectorELNS0_4arch9wavefront6targetE1EEEvT1_
; %bb.0:
	s_load_dwordx2 s[20:21], s[4:5], 0x20
	s_load_dword s26, s[4:5], 0x28
	s_load_dwordx2 s[6:7], s[4:5], 0x30
	v_cmp_ne_u32_e64 s[2:3], 0, v0
	v_cmp_eq_u32_e64 s[0:1], 0, v0
	s_and_saveexec_b64 s[8:9], s[0:1]
	s_cbranch_execz .LBB3514_4
; %bb.1:
	s_mov_b64 s[12:13], exec
	v_mbcnt_lo_u32_b32 v1, s12, 0
	v_mbcnt_hi_u32_b32 v1, s13, v1
	v_cmp_eq_u32_e32 vcc, 0, v1
                                        ; implicit-def: $vgpr2
	s_and_saveexec_b64 s[10:11], vcc
	s_cbranch_execz .LBB3514_3
; %bb.2:
	s_load_dwordx2 s[14:15], s[4:5], 0x60
	s_bcnt1_i32_b64 s12, s[12:13]
	v_mov_b32_e32 v2, 0
	v_mov_b32_e32 v3, s12
	s_waitcnt lgkmcnt(0)
	global_atomic_add v2, v2, v3, s[14:15] glc
.LBB3514_3:
	s_or_b64 exec, exec, s[10:11]
	s_waitcnt vmcnt(0)
	v_readfirstlane_b32 s10, v2
	v_add_u32_e32 v1, s10, v1
	v_mov_b32_e32 v2, 0
	ds_write_b32 v2, v1
.LBB3514_4:
	s_or_b64 exec, exec, s[8:9]
	v_mov_b32_e32 v3, 0
	s_load_dwordx4 s[16:19], s[4:5], 0x0
	s_load_dword s22, s[4:5], 0x38
	s_load_dwordx8 s[8:15], s[4:5], 0x40
	s_waitcnt lgkmcnt(0)
	s_barrier
	ds_read_b32 v1, v3
	s_lshl_b64 s[4:5], s[18:19], 2
	s_add_u32 s27, s16, s4
	s_movk_i32 s4, 0x500
	s_addc_u32 s28, s17, s5
	s_waitcnt lgkmcnt(0)
	v_mul_lo_u32 v2, v1, s4
	s_add_i32 s4, s22, -1
	s_mul_i32 s5, s4, 0x500
	s_sub_u32 s24, s20, s5
	v_readfirstlane_b32 s29, v1
	s_subb_u32 s25, s21, 0
	v_lshlrev_b64 v[2:3], 2, v[2:3]
	s_cmp_lg_u32 s29, s4
	v_mov_b32_e32 v1, s28
	v_add_co_u32_e32 v12, vcc, s27, v2
	s_cselect_b64 s[16:17], -1, 0
	v_addc_co_u32_e32 v13, vcc, v1, v3, vcc
	s_mov_b64 s[4:5], -1
	s_and_b64 vcc, exec, s[16:17]
	v_lshlrev_b32_e32 v11, 2, v0
	s_barrier
	s_cbranch_vccz .LBB3514_6
; %bb.5:
	v_add_co_u32_e32 v2, vcc, v12, v11
	v_addc_co_u32_e32 v3, vcc, 0, v13, vcc
	flat_load_dword v1, v[2:3]
	flat_load_dword v4, v[2:3] offset:512
	flat_load_dword v5, v[2:3] offset:1024
	;; [unrolled: 1-line block ×7, first 2 shown]
	v_add_co_u32_e32 v2, vcc, 0x1000, v2
	v_addc_co_u32_e32 v3, vcc, 0, v3, vcc
	flat_load_dword v14, v[2:3]
	flat_load_dword v15, v[2:3] offset:512
	s_mov_b64 s[4:5], 0
	s_waitcnt vmcnt(0) lgkmcnt(0)
	ds_write2st64_b32 v11, v1, v4 offset1:2
	ds_write2st64_b32 v11, v5, v6 offset0:4 offset1:6
	ds_write2st64_b32 v11, v7, v8 offset0:8 offset1:10
	;; [unrolled: 1-line block ×4, first 2 shown]
	s_waitcnt lgkmcnt(0)
	s_barrier
.LBB3514_6:
	s_andn2_b64 vcc, exec, s[4:5]
	s_cbranch_vccnz .LBB3514_28
; %bb.7:
	flat_load_dword v1, v[12:13]
	v_cmp_gt_u32_e32 vcc, s24, v0
	s_waitcnt vmcnt(0) lgkmcnt(0)
	v_mov_b32_e32 v2, v1
	v_mov_b32_e32 v3, v1
	;; [unrolled: 1-line block ×9, first 2 shown]
	s_and_saveexec_b64 s[4:5], vcc
	s_cbranch_execz .LBB3514_9
; %bb.8:
	v_add_co_u32_e32 v14, vcc, v12, v11
	v_addc_co_u32_e32 v15, vcc, 0, v13, vcc
	flat_load_dword v10, v[14:15]
.LBB3514_9:
	s_or_b64 exec, exec, s[4:5]
	v_or_b32_e32 v14, 0x80, v0
	v_cmp_gt_u32_e32 vcc, s24, v14
	s_and_saveexec_b64 s[4:5], vcc
	s_cbranch_execz .LBB3514_11
; %bb.10:
	v_add_co_u32_e32 v14, vcc, v12, v11
	v_addc_co_u32_e32 v15, vcc, 0, v13, vcc
	flat_load_dword v1, v[14:15] offset:512
.LBB3514_11:
	s_or_b64 exec, exec, s[4:5]
	v_or_b32_e32 v14, 0x100, v0
	v_cmp_gt_u32_e32 vcc, s24, v14
	s_and_saveexec_b64 s[4:5], vcc
	s_cbranch_execz .LBB3514_13
; %bb.12:
	v_add_co_u32_e32 v14, vcc, v12, v11
	v_addc_co_u32_e32 v15, vcc, 0, v13, vcc
	flat_load_dword v2, v[14:15] offset:1024
.LBB3514_13:
	;; [unrolled: 10-line block ×7, first 2 shown]
	s_or_b64 exec, exec, s[4:5]
	v_or_b32_e32 v14, 0x400, v0
	v_cmp_gt_u32_e32 vcc, s24, v14
	s_and_saveexec_b64 s[4:5], vcc
	s_cbranch_execz .LBB3514_25
; %bb.24:
	v_lshlrev_b32_e32 v8, 2, v14
	v_add_co_u32_e32 v14, vcc, v12, v8
	v_addc_co_u32_e32 v15, vcc, 0, v13, vcc
	flat_load_dword v8, v[14:15]
.LBB3514_25:
	s_or_b64 exec, exec, s[4:5]
	v_or_b32_e32 v14, 0x480, v0
	v_cmp_gt_u32_e32 vcc, s24, v14
	s_and_saveexec_b64 s[4:5], vcc
	s_cbranch_execz .LBB3514_27
; %bb.26:
	v_lshlrev_b32_e32 v9, 2, v14
	v_add_co_u32_e32 v12, vcc, v12, v9
	v_addc_co_u32_e32 v13, vcc, 0, v13, vcc
	flat_load_dword v9, v[12:13]
.LBB3514_27:
	s_or_b64 exec, exec, s[4:5]
	s_waitcnt vmcnt(0) lgkmcnt(0)
	ds_write2st64_b32 v11, v10, v1 offset1:2
	ds_write2st64_b32 v11, v2, v3 offset0:4 offset1:6
	ds_write2st64_b32 v11, v4, v5 offset0:8 offset1:10
	;; [unrolled: 1-line block ×4, first 2 shown]
	s_waitcnt lgkmcnt(0)
	s_barrier
.LBB3514_28:
	v_mul_u32_u24_e32 v22, 10, v0
	v_lshlrev_b32_e32 v23, 2, v22
	ds_read2_b64 v[16:19], v23 offset1:1
	ds_read2_b64 v[12:15], v23 offset0:2 offset1:3
	ds_read_b64 v[20:21], v23 offset:32
	s_cmp_lg_u32 s29, 0
	v_cmp_gt_u32_e32 vcc, 64, v0
	s_waitcnt lgkmcnt(2)
	v_max_u32_e32 v1, v16, v17
	v_max3_u32 v24, v1, v18, v19
	v_lshrrev_b32_e32 v1, 5, v0
	s_waitcnt lgkmcnt(0)
	s_barrier
	s_cbranch_scc0 .LBB3514_57
; %bb.29:
	v_max3_u32 v2, v24, v12, v13
	v_max3_u32 v2, v2, v14, v15
	;; [unrolled: 1-line block ×3, first 2 shown]
	v_add_lshl_u32 v2, v1, v0, 2
	ds_write_b32 v2, v25
	s_waitcnt lgkmcnt(0)
	s_barrier
	s_and_saveexec_b64 s[18:19], vcc
	s_cbranch_execz .LBB3514_31
; %bb.30:
	v_lshlrev_b32_e32 v2, 1, v0
	v_lshrrev_b32_e32 v3, 4, v0
	v_add_lshl_u32 v4, v3, v2, 2
	ds_read2_b32 v[2:3], v4 offset1:1
	v_mbcnt_lo_u32_b32 v5, -1, 0
	v_mbcnt_hi_u32_b32 v5, -1, v5
	v_and_b32_e32 v6, 15, v5
	v_cmp_eq_u32_e64 s[4:5], 0, v6
	s_waitcnt lgkmcnt(0)
	v_max_u32_e32 v3, v2, v3
	; wave barrier
	s_nop 1
	v_mov_b32_dpp v7, v3 row_shr:1 row_mask:0xf bank_mask:0xf
	v_max_u32_e32 v7, v7, v3
	v_cndmask_b32_e64 v3, v7, v3, s[4:5]
	v_cmp_lt_u32_e64 s[4:5], 1, v6
	s_nop 0
	v_mov_b32_dpp v7, v3 row_shr:2 row_mask:0xf bank_mask:0xf
	v_max_u32_e32 v7, v7, v3
	v_cndmask_b32_e64 v3, v3, v7, s[4:5]
	v_cmp_lt_u32_e64 s[4:5], 3, v6
	;; [unrolled: 5-line block ×3, first 2 shown]
	s_nop 0
	v_mov_b32_dpp v7, v3 row_shr:8 row_mask:0xf bank_mask:0xf
	v_max_u32_e32 v7, v7, v3
	v_cndmask_b32_e64 v3, v3, v7, s[4:5]
	v_and_b32_e32 v7, 16, v5
	v_cmp_eq_u32_e64 s[4:5], 0, v7
	v_mov_b32_dpp v6, v3 row_bcast:15 row_mask:0xf bank_mask:0xf
	v_max_u32_e32 v6, v6, v3
	v_cndmask_b32_e64 v3, v6, v3, s[4:5]
	v_cmp_lt_u32_e64 s[4:5], 31, v5
	v_and_b32_e32 v7, 64, v5
	v_mov_b32_dpp v6, v3 row_bcast:31 row_mask:0xf bank_mask:0xf
	v_max_u32_e32 v6, v6, v3
	v_cndmask_b32_e64 v3, v3, v6, s[4:5]
	v_add_u32_e32 v6, -1, v5
	v_cmp_lt_i32_e64 s[4:5], v6, v7
	v_cndmask_b32_e64 v5, v6, v5, s[4:5]
	v_lshlrev_b32_e32 v5, 2, v5
	ds_bpermute_b32 v3, v5, v3
	s_waitcnt lgkmcnt(0)
	v_max_u32_e32 v2, v3, v2
	v_cndmask_b32_e64 v2, v2, v25, s[0:1]
	ds_write_b32 v4, v2
	; wave barrier
	ds_read_b32 v3, v4 offset:4
	s_waitcnt lgkmcnt(0)
	v_max_u32_e32 v2, v2, v3
	ds_write_b32 v4, v2 offset:4
.LBB3514_31:
	s_or_b64 exec, exec, s[18:19]
	s_waitcnt lgkmcnt(0)
	s_barrier
	s_and_saveexec_b64 s[4:5], s[2:3]
	s_cbranch_execz .LBB3514_33
; %bb.32:
	v_add_u32_e32 v2, -1, v0
	v_lshrrev_b32_e32 v3, 5, v2
	v_add_lshl_u32 v2, v3, v2, 2
	ds_read_b32 v25, v2
.LBB3514_33:
	s_or_b64 exec, exec, s[4:5]
	s_and_saveexec_b64 s[18:19], vcc
	s_cbranch_execz .LBB3514_56
; %bb.34:
	v_mov_b32_e32 v11, 0
	ds_read_b32 v2, v11 offset:520
	v_mbcnt_lo_u32_b32 v3, -1, 0
	v_mbcnt_hi_u32_b32 v5, -1, v3
	s_mov_b32 s23, 0
	v_cmp_eq_u32_e64 s[4:5], 0, v5
	s_and_saveexec_b64 s[20:21], s[4:5]
	s_cbranch_execz .LBB3514_36
; %bb.35:
	s_add_i32 s22, s29, 64
	s_lshl_b64 s[22:23], s[22:23], 3
	s_add_u32 s22, s6, s22
	v_mov_b32_e32 v3, 1
	s_addc_u32 s23, s7, s23
	s_waitcnt lgkmcnt(0)
	global_store_dwordx2 v11, v[2:3], s[22:23]
.LBB3514_36:
	s_or_b64 exec, exec, s[20:21]
	v_xad_u32 v4, v5, -1, s29
	v_add_u32_e32 v10, 64, v4
	v_lshlrev_b64 v[6:7], 3, v[10:11]
	v_mov_b32_e32 v3, s7
	v_add_co_u32_e32 v6, vcc, s6, v6
	v_addc_co_u32_e32 v7, vcc, v3, v7, vcc
	global_load_dwordx2 v[8:9], v[6:7], off glc
	s_waitcnt vmcnt(0)
	v_cmp_eq_u16_sdwa s[22:23], v9, v11 src0_sel:BYTE_0 src1_sel:DWORD
	s_and_saveexec_b64 s[20:21], s[22:23]
	s_cbranch_execz .LBB3514_42
; %bb.37:
	s_mov_b32 s30, 1
	s_mov_b64 s[22:23], 0
	v_mov_b32_e32 v3, 0
.LBB3514_38:                            ; =>This Loop Header: Depth=1
                                        ;     Child Loop BB3514_39 Depth 2
	s_max_u32 s31, s30, 1
.LBB3514_39:                            ;   Parent Loop BB3514_38 Depth=1
                                        ; =>  This Inner Loop Header: Depth=2
	s_add_i32 s31, s31, -1
	s_cmp_eq_u32 s31, 0
	s_sleep 1
	s_cbranch_scc0 .LBB3514_39
; %bb.40:                               ;   in Loop: Header=BB3514_38 Depth=1
	global_load_dwordx2 v[8:9], v[6:7], off glc
	s_cmp_lt_u32 s30, 32
	s_cselect_b64 s[34:35], -1, 0
	s_cmp_lg_u64 s[34:35], 0
	s_addc_u32 s30, s30, 0
	s_waitcnt vmcnt(0)
	v_cmp_ne_u16_sdwa s[34:35], v9, v3 src0_sel:BYTE_0 src1_sel:DWORD
	s_or_b64 s[22:23], s[34:35], s[22:23]
	s_andn2_b64 exec, exec, s[22:23]
	s_cbranch_execnz .LBB3514_38
; %bb.41:
	s_or_b64 exec, exec, s[22:23]
.LBB3514_42:
	s_or_b64 exec, exec, s[20:21]
	v_and_b32_e32 v26, 63, v5
	v_cmp_ne_u32_e32 vcc, 63, v26
	v_mov_b32_e32 v3, 2
	v_addc_co_u32_e32 v27, vcc, 0, v5, vcc
	v_cmp_eq_u16_sdwa s[20:21], v9, v3 src0_sel:BYTE_0 src1_sel:DWORD
	v_lshlrev_b64 v[6:7], v5, -1
	v_lshlrev_b32_e32 v27, 2, v27
	v_and_b32_e32 v10, s21, v7
	ds_bpermute_b32 v28, v27, v8
	v_or_b32_e32 v10, 0x80000000, v10
	v_and_b32_e32 v11, s20, v6
	v_ffbl_b32_e32 v10, v10
	v_add_u32_e32 v10, 32, v10
	v_ffbl_b32_e32 v11, v11
	v_min_u32_e32 v10, v11, v10
	s_waitcnt lgkmcnt(0)
	v_max_u32_e32 v11, v28, v8
	v_cmp_lt_u32_e32 vcc, v26, v10
	v_cndmask_b32_e32 v8, v8, v11, vcc
	v_cmp_gt_u32_e32 vcc, 62, v26
	v_cndmask_b32_e64 v11, 0, 1, vcc
	v_lshlrev_b32_e32 v11, 1, v11
	v_add_lshl_u32 v28, v11, v5, 2
	ds_bpermute_b32 v11, v28, v8
	v_add_u32_e32 v29, 2, v26
	v_cmp_gt_u32_e32 vcc, v29, v10
	v_add_u32_e32 v31, 4, v26
	v_add_u32_e32 v33, 8, v26
	s_waitcnt lgkmcnt(0)
	v_max_u32_e32 v11, v11, v8
	v_cndmask_b32_e32 v8, v11, v8, vcc
	v_cmp_gt_u32_e32 vcc, 60, v26
	v_cndmask_b32_e64 v11, 0, 1, vcc
	v_lshlrev_b32_e32 v11, 2, v11
	v_add_lshl_u32 v30, v11, v5, 2
	ds_bpermute_b32 v11, v30, v8
	v_cmp_gt_u32_e32 vcc, v31, v10
	v_add_u32_e32 v36, 16, v26
	v_add_u32_e32 v38, 32, v26
	s_waitcnt lgkmcnt(0)
	v_max_u32_e32 v11, v11, v8
	v_cndmask_b32_e32 v8, v11, v8, vcc
	v_cmp_gt_u32_e32 vcc, 56, v26
	v_cndmask_b32_e64 v11, 0, 1, vcc
	v_lshlrev_b32_e32 v11, 3, v11
	v_add_lshl_u32 v32, v11, v5, 2
	ds_bpermute_b32 v11, v32, v8
	v_cmp_gt_u32_e32 vcc, v33, v10
	s_waitcnt lgkmcnt(0)
	v_max_u32_e32 v11, v11, v8
	v_cndmask_b32_e32 v8, v11, v8, vcc
	v_cmp_gt_u32_e32 vcc, 48, v26
	v_cndmask_b32_e64 v11, 0, 1, vcc
	v_lshlrev_b32_e32 v11, 4, v11
	v_add_lshl_u32 v34, v11, v5, 2
	ds_bpermute_b32 v11, v34, v8
	v_cmp_gt_u32_e32 vcc, v36, v10
	;; [unrolled: 9-line block ×3, first 2 shown]
	s_waitcnt lgkmcnt(0)
	v_max_u32_e32 v5, v5, v8
	v_cndmask_b32_e32 v8, v5, v8, vcc
	v_mov_b32_e32 v5, 0
	s_branch .LBB3514_44
.LBB3514_43:                            ;   in Loop: Header=BB3514_44 Depth=1
	s_or_b64 exec, exec, s[20:21]
	v_cmp_eq_u16_sdwa s[20:21], v9, v3 src0_sel:BYTE_0 src1_sel:DWORD
	v_and_b32_e32 v10, s21, v7
	ds_bpermute_b32 v39, v27, v8
	v_or_b32_e32 v10, 0x80000000, v10
	v_and_b32_e32 v11, s20, v6
	v_ffbl_b32_e32 v10, v10
	v_add_u32_e32 v10, 32, v10
	v_ffbl_b32_e32 v11, v11
	v_min_u32_e32 v10, v11, v10
	s_waitcnt lgkmcnt(0)
	v_max_u32_e32 v11, v39, v8
	v_cmp_lt_u32_e32 vcc, v26, v10
	v_cndmask_b32_e32 v8, v8, v11, vcc
	ds_bpermute_b32 v11, v28, v8
	v_cmp_gt_u32_e32 vcc, v29, v10
	v_subrev_u32_e32 v4, 64, v4
	s_waitcnt lgkmcnt(0)
	v_max_u32_e32 v11, v11, v8
	v_cndmask_b32_e32 v8, v11, v8, vcc
	ds_bpermute_b32 v11, v30, v8
	v_cmp_gt_u32_e32 vcc, v31, v10
	s_waitcnt lgkmcnt(0)
	v_max_u32_e32 v11, v11, v8
	v_cndmask_b32_e32 v8, v11, v8, vcc
	ds_bpermute_b32 v11, v32, v8
	v_cmp_gt_u32_e32 vcc, v33, v10
	;; [unrolled: 5-line block ×4, first 2 shown]
	s_waitcnt lgkmcnt(0)
	v_max_u32_e32 v11, v11, v8
	v_cndmask_b32_e32 v8, v11, v8, vcc
	v_max_u32_e32 v8, v8, v35
.LBB3514_44:                            ; =>This Loop Header: Depth=1
                                        ;     Child Loop BB3514_47 Depth 2
                                        ;       Child Loop BB3514_48 Depth 3
	v_cmp_ne_u16_sdwa s[20:21], v9, v3 src0_sel:BYTE_0 src1_sel:DWORD
	v_cndmask_b32_e64 v9, 0, 1, s[20:21]
	;;#ASMSTART
	;;#ASMEND
	v_cmp_ne_u32_e32 vcc, 0, v9
	s_cmp_lg_u64 vcc, exec
	v_mov_b32_e32 v35, v8
	s_cbranch_scc1 .LBB3514_51
; %bb.45:                               ;   in Loop: Header=BB3514_44 Depth=1
	v_lshlrev_b64 v[8:9], 3, v[4:5]
	v_mov_b32_e32 v11, s7
	v_add_co_u32_e32 v10, vcc, s6, v8
	v_addc_co_u32_e32 v11, vcc, v11, v9, vcc
	global_load_dwordx2 v[8:9], v[10:11], off glc
	s_waitcnt vmcnt(0)
	v_cmp_eq_u16_sdwa s[22:23], v9, v5 src0_sel:BYTE_0 src1_sel:DWORD
	s_and_saveexec_b64 s[20:21], s[22:23]
	s_cbranch_execz .LBB3514_43
; %bb.46:                               ;   in Loop: Header=BB3514_44 Depth=1
	s_mov_b32 s30, 1
	s_mov_b64 s[22:23], 0
.LBB3514_47:                            ;   Parent Loop BB3514_44 Depth=1
                                        ; =>  This Loop Header: Depth=2
                                        ;       Child Loop BB3514_48 Depth 3
	s_max_u32 s31, s30, 1
.LBB3514_48:                            ;   Parent Loop BB3514_44 Depth=1
                                        ;     Parent Loop BB3514_47 Depth=2
                                        ; =>    This Inner Loop Header: Depth=3
	s_add_i32 s31, s31, -1
	s_cmp_eq_u32 s31, 0
	s_sleep 1
	s_cbranch_scc0 .LBB3514_48
; %bb.49:                               ;   in Loop: Header=BB3514_47 Depth=2
	global_load_dwordx2 v[8:9], v[10:11], off glc
	s_cmp_lt_u32 s30, 32
	s_cselect_b64 s[34:35], -1, 0
	s_cmp_lg_u64 s[34:35], 0
	s_addc_u32 s30, s30, 0
	s_waitcnt vmcnt(0)
	v_cmp_ne_u16_sdwa s[34:35], v9, v5 src0_sel:BYTE_0 src1_sel:DWORD
	s_or_b64 s[22:23], s[34:35], s[22:23]
	s_andn2_b64 exec, exec, s[22:23]
	s_cbranch_execnz .LBB3514_47
; %bb.50:                               ;   in Loop: Header=BB3514_44 Depth=1
	s_or_b64 exec, exec, s[22:23]
	s_branch .LBB3514_43
.LBB3514_51:                            ;   in Loop: Header=BB3514_44 Depth=1
                                        ; implicit-def: $vgpr8
                                        ; implicit-def: $vgpr9
	s_cbranch_execz .LBB3514_44
; %bb.52:
	s_and_saveexec_b64 s[20:21], s[4:5]
	s_cbranch_execz .LBB3514_54
; %bb.53:
	s_add_i32 s4, s29, 64
	s_mov_b32 s5, 0
	s_lshl_b64 s[4:5], s[4:5], 3
	s_add_u32 s4, s6, s4
	v_max_u32_e32 v2, v35, v2
	v_mov_b32_e32 v3, 2
	s_addc_u32 s5, s7, s5
	v_mov_b32_e32 v4, 0
	global_store_dwordx2 v4, v[2:3], s[4:5]
.LBB3514_54:
	s_or_b64 exec, exec, s[20:21]
	s_and_b64 exec, exec, s[0:1]
	s_cbranch_execz .LBB3514_56
; %bb.55:
	v_mov_b32_e32 v2, 0
	ds_write_b32 v2, v35
.LBB3514_56:
	s_or_b64 exec, exec, s[18:19]
	v_mov_b32_e32 v2, 0
	s_waitcnt lgkmcnt(0)
	s_barrier
	ds_read_b32 v2, v2
	s_waitcnt lgkmcnt(0)
	v_max_u32_e32 v3, v2, v25
	v_cndmask_b32_e64 v2, v3, v2, s[0:1]
	v_max_u32_e32 v3, v2, v16
	v_max_u32_e32 v4, v3, v17
	;; [unrolled: 1-line block ×9, first 2 shown]
	s_branch .LBB3514_67
.LBB3514_57:
                                        ; implicit-def: $vgpr2_vgpr3_vgpr4_vgpr5_vgpr6_vgpr7_vgpr8_vgpr9_vgpr10_vgpr11
	s_cbranch_execz .LBB3514_67
; %bb.58:
	s_cmp_eq_u64 s[12:13], 0
	v_mov_b32_e32 v25, s26
	s_cbranch_scc1 .LBB3514_60
; %bb.59:
	v_mov_b32_e32 v2, 0
	global_load_dword v4, v2, s[8:9]
	v_mov_b32_e32 v3, s28
	v_add_co_u32_e64 v2, vcc, -4, s27
	v_addc_co_u32_e32 v3, vcc, -1, v3, vcc
	flat_load_dword v2, v[2:3]
	s_waitcnt vmcnt(0) lgkmcnt(0)
	v_max_u32_e32 v25, v4, v2
.LBB3514_60:
	v_max3_u32 v2, v24, v12, v13
	v_max3_u32 v2, v2, v14, v15
	;; [unrolled: 1-line block ×3, first 2 shown]
	v_add_lshl_u32 v1, v1, v0, 2
	v_cmp_gt_u32_e32 vcc, 64, v0
	ds_write_b32 v1, v2
	s_waitcnt lgkmcnt(0)
	s_barrier
	s_and_saveexec_b64 s[4:5], vcc
	s_cbranch_execz .LBB3514_62
; %bb.61:
	v_lshlrev_b32_e32 v1, 1, v0
	v_lshrrev_b32_e32 v3, 4, v0
	v_add_lshl_u32 v1, v3, v1, 2
	ds_read2_b32 v[4:5], v1 offset1:1
	v_mbcnt_lo_u32_b32 v3, -1, 0
	v_mbcnt_hi_u32_b32 v3, -1, v3
	v_and_b32_e32 v6, 15, v3
	v_cmp_eq_u32_e32 vcc, 0, v6
	s_waitcnt lgkmcnt(0)
	v_max_u32_e32 v5, v4, v5
	; wave barrier
	s_nop 1
	v_mov_b32_dpp v7, v5 row_shr:1 row_mask:0xf bank_mask:0xf
	v_max_u32_e32 v7, v7, v5
	v_cndmask_b32_e32 v5, v7, v5, vcc
	v_cmp_lt_u32_e32 vcc, 1, v6
	s_nop 0
	v_mov_b32_dpp v7, v5 row_shr:2 row_mask:0xf bank_mask:0xf
	v_max_u32_e32 v7, v7, v5
	v_cndmask_b32_e32 v5, v5, v7, vcc
	v_cmp_lt_u32_e32 vcc, 3, v6
	;; [unrolled: 5-line block ×3, first 2 shown]
	s_nop 0
	v_mov_b32_dpp v7, v5 row_shr:8 row_mask:0xf bank_mask:0xf
	v_max_u32_e32 v7, v7, v5
	v_cndmask_b32_e32 v5, v5, v7, vcc
	v_and_b32_e32 v7, 16, v3
	v_cmp_eq_u32_e32 vcc, 0, v7
	v_mov_b32_dpp v6, v5 row_bcast:15 row_mask:0xf bank_mask:0xf
	v_max_u32_e32 v6, v6, v5
	v_cndmask_b32_e32 v5, v6, v5, vcc
	v_cmp_lt_u32_e32 vcc, 31, v3
	v_and_b32_e32 v7, 64, v3
	v_mov_b32_dpp v6, v5 row_bcast:31 row_mask:0xf bank_mask:0xf
	v_max_u32_e32 v6, v6, v5
	v_cndmask_b32_e32 v5, v5, v6, vcc
	v_add_u32_e32 v6, -1, v3
	v_cmp_lt_i32_e32 vcc, v6, v7
	v_cndmask_b32_e32 v3, v6, v3, vcc
	v_lshlrev_b32_e32 v3, 2, v3
	ds_bpermute_b32 v3, v3, v5
	s_waitcnt lgkmcnt(0)
	v_max_u32_e32 v3, v3, v4
	v_cndmask_b32_e64 v2, v3, v2, s[0:1]
	ds_write_b32 v1, v2
	; wave barrier
	ds_read_b32 v3, v1 offset:4
	s_waitcnt lgkmcnt(0)
	v_max_u32_e32 v2, v2, v3
	ds_write_b32 v1, v2 offset:4
.LBB3514_62:
	s_or_b64 exec, exec, s[4:5]
	v_mov_b32_e32 v2, v25
	s_waitcnt lgkmcnt(0)
	s_barrier
	s_and_saveexec_b64 s[4:5], s[2:3]
	s_cbranch_execz .LBB3514_64
; %bb.63:
	v_add_u32_e32 v1, -1, v0
	v_lshrrev_b32_e32 v2, 5, v1
	v_add_lshl_u32 v1, v2, v1, 2
	ds_read_b32 v1, v1
	s_waitcnt lgkmcnt(0)
	v_max_u32_e32 v2, v25, v1
.LBB3514_64:
	s_or_b64 exec, exec, s[4:5]
	v_max_u32_e32 v3, v2, v16
	v_max_u32_e32 v4, v3, v17
	;; [unrolled: 1-line block ×9, first 2 shown]
	s_and_saveexec_b64 s[2:3], s[0:1]
	s_cbranch_execz .LBB3514_66
; %bb.65:
	v_mov_b32_e32 v1, 0
	ds_read_b32 v12, v1 offset:520
	v_mov_b32_e32 v13, 2
	s_waitcnt lgkmcnt(0)
	v_max_u32_e32 v12, v25, v12
	global_store_dwordx2 v1, v[12:13], s[6:7] offset:512
.LBB3514_66:
	s_or_b64 exec, exec, s[2:3]
.LBB3514_67:
	s_mov_b64 s[0:1], -1
	s_and_b64 vcc, exec, s[16:17]
	s_barrier
	ds_write2_b64 v23, v[2:3], v[4:5] offset1:1
	ds_write2_b64 v23, v[6:7], v[8:9] offset0:2 offset1:3
	ds_write_b64 v23, v[10:11] offset:32
	s_waitcnt lgkmcnt(0)
	s_cbranch_vccz .LBB3514_69
; %bb.68:
	s_barrier
	s_mov_b64 s[0:1], 0
.LBB3514_69:
	s_andn2_b64 vcc, exec, s[0:1]
	s_cbranch_vccnz .LBB3514_105
; %bb.70:
	v_cmp_lt_u64_e64 s[0:1], s[14:15], 2
	s_and_b64 vcc, exec, s[0:1]
	s_barrier
	s_cbranch_vccnz .LBB3514_105
; %bb.71:
	s_add_u32 s0, s24, -1
	s_addc_u32 s1, s25, -1
	s_add_u32 s2, 0, 0x99986000
	s_addc_u32 s3, 0, 0x59
	s_add_i32 s3, s3, 0x19999940
	s_mul_hi_u32 s7, s2, -10
	s_sub_i32 s7, s7, s2
	s_mul_i32 s8, s3, -10
	s_mul_i32 s4, s2, -10
	s_add_i32 s7, s7, s8
	s_mul_hi_u32 s5, s3, s4
	s_mul_i32 s6, s3, s4
	s_mul_i32 s9, s2, s7
	s_mul_hi_u32 s4, s2, s4
	s_mul_hi_u32 s8, s2, s7
	s_add_u32 s4, s4, s9
	s_addc_u32 s8, 0, s8
	s_add_u32 s4, s4, s6
	s_mul_hi_u32 s9, s3, s7
	s_addc_u32 s4, s8, s5
	s_addc_u32 s5, s9, 0
	s_mul_i32 s6, s3, s7
	s_add_u32 s4, s4, s6
	v_mov_b32_e32 v2, s4
	s_addc_u32 s5, 0, s5
	v_add_co_u32_e32 v2, vcc, s2, v2
	s_cmp_lg_u64 vcc, 0
	s_addc_u32 s2, s3, s5
	v_readfirstlane_b32 s5, v2
	s_mul_i32 s4, s0, s2
	s_mul_hi_u32 s6, s0, s5
	s_mul_hi_u32 s3, s0, s2
	s_add_u32 s4, s6, s4
	s_addc_u32 s3, 0, s3
	s_mul_hi_u32 s7, s1, s5
	s_mul_i32 s5, s1, s5
	s_add_u32 s4, s4, s5
	s_mul_hi_u32 s6, s1, s2
	s_addc_u32 s3, s3, s7
	s_addc_u32 s4, s6, 0
	s_mul_i32 s2, s1, s2
	s_add_u32 s2, s3, s2
	s_addc_u32 s3, 0, s4
	s_add_u32 s4, s2, 1
	s_addc_u32 s5, s3, 0
	s_add_u32 s6, s2, 2
	s_mul_i32 s8, s3, 10
	s_mul_hi_u32 s9, s2, 10
	s_addc_u32 s7, s3, 0
	s_add_i32 s9, s9, s8
	s_mul_i32 s8, s2, 10
	v_mov_b32_e32 v2, s8
	v_sub_co_u32_e32 v2, vcc, s0, v2
	s_cmp_lg_u64 vcc, 0
	s_subb_u32 s8, s1, s9
	v_subrev_co_u32_e32 v3, vcc, 10, v2
	s_cmp_lg_u64 vcc, 0
	s_subb_u32 s9, s8, 0
	v_readfirstlane_b32 s12, v3
	s_cmp_gt_u32 s12, 9
	s_cselect_b32 s12, -1, 0
	s_cmp_eq_u32 s9, 0
	s_cselect_b32 s9, s12, -1
	s_cmp_lg_u32 s9, 0
	s_cselect_b32 s4, s6, s4
	v_readfirstlane_b32 s6, v2
	s_cselect_b32 s5, s7, s5
	s_cmp_gt_u32 s6, 9
	s_cselect_b32 s6, -1, 0
	s_cmp_eq_u32 s8, 0
	s_cselect_b32 s6, s6, -1
	s_cmp_lg_u32 s6, 0
	v_mov_b32_e32 v1, 0
	s_cselect_b32 s3, s5, s3
	s_cselect_b32 s2, s4, s2
	v_cmp_eq_u64_e32 vcc, s[2:3], v[0:1]
	s_and_saveexec_b64 s[2:3], vcc
	s_cbranch_execz .LBB3514_105
; %bb.72:
	s_movk_i32 s2, 0xffdc
	v_mad_i32_i24 v2, v0, s2, v23
	v_mul_hi_u32_u24_e32 v1, 10, v0
	v_mov_b32_e32 v3, s1
	v_sub_co_u32_e32 v0, vcc, s0, v22
	v_subb_co_u32_e32 v1, vcc, v3, v1, vcc
	v_cmp_lt_i64_e32 vcc, 4, v[0:1]
	s_and_saveexec_b64 s[0:1], vcc
	s_xor_b64 s[0:1], exec, s[0:1]
	s_cbranch_execz .LBB3514_90
; %bb.73:
	v_cmp_lt_i64_e32 vcc, 6, v[0:1]
	s_and_saveexec_b64 s[2:3], vcc
	s_xor_b64 s[2:3], exec, s[2:3]
	s_cbranch_execz .LBB3514_83
; %bb.74:
	;; [unrolled: 5-line block ×4, first 2 shown]
	ds_read_b32 v0, v2 offset:4608
	v_mov_b32_e32 v1, 0
                                        ; implicit-def: $vgpr2
	s_waitcnt lgkmcnt(0)
	global_store_dword v1, v0, s[10:11]
.LBB3514_77:
	s_andn2_saveexec_b64 s[6:7], s[6:7]
	s_cbranch_execz .LBB3514_79
; %bb.78:
	ds_read_b32 v0, v2 offset:4096
	v_mov_b32_e32 v1, 0
	s_waitcnt lgkmcnt(0)
	global_store_dword v1, v0, s[10:11]
.LBB3514_79:
	s_or_b64 exec, exec, s[6:7]
                                        ; implicit-def: $vgpr2
.LBB3514_80:
	s_andn2_saveexec_b64 s[4:5], s[4:5]
	s_cbranch_execz .LBB3514_82
; %bb.81:
	ds_read_b32 v0, v2 offset:3584
	v_mov_b32_e32 v1, 0
	s_waitcnt lgkmcnt(0)
	global_store_dword v1, v0, s[10:11]
.LBB3514_82:
	s_or_b64 exec, exec, s[4:5]
                                        ; implicit-def: $vgpr2
                                        ; implicit-def: $vgpr0_vgpr1
.LBB3514_83:
	s_andn2_saveexec_b64 s[2:3], s[2:3]
	s_cbranch_execz .LBB3514_89
; %bb.84:
	v_cmp_lt_i64_e32 vcc, 5, v[0:1]
	s_and_saveexec_b64 s[4:5], vcc
	s_xor_b64 s[4:5], exec, s[4:5]
	s_cbranch_execz .LBB3514_86
; %bb.85:
	ds_read_b32 v0, v2 offset:3072
	v_mov_b32_e32 v1, 0
                                        ; implicit-def: $vgpr2
	s_waitcnt lgkmcnt(0)
	global_store_dword v1, v0, s[10:11]
.LBB3514_86:
	s_andn2_saveexec_b64 s[4:5], s[4:5]
	s_cbranch_execz .LBB3514_88
; %bb.87:
	ds_read_b32 v0, v2 offset:2560
	v_mov_b32_e32 v1, 0
	s_waitcnt lgkmcnt(0)
	global_store_dword v1, v0, s[10:11]
.LBB3514_88:
	s_or_b64 exec, exec, s[4:5]
.LBB3514_89:
	s_or_b64 exec, exec, s[2:3]
                                        ; implicit-def: $vgpr0_vgpr1
                                        ; implicit-def: $vgpr2
.LBB3514_90:
	s_andn2_saveexec_b64 s[0:1], s[0:1]
	s_cbranch_execz .LBB3514_105
; %bb.91:
	v_cmp_lt_i64_e32 vcc, 2, v[0:1]
	s_and_saveexec_b64 s[0:1], vcc
	s_xor_b64 s[0:1], exec, s[0:1]
	s_cbranch_execz .LBB3514_97
; %bb.92:
	v_cmp_lt_i64_e32 vcc, 3, v[0:1]
	s_and_saveexec_b64 s[2:3], vcc
	s_xor_b64 s[2:3], exec, s[2:3]
	s_cbranch_execz .LBB3514_94
; %bb.93:
	ds_read_b32 v0, v2 offset:2048
	v_mov_b32_e32 v1, 0
                                        ; implicit-def: $vgpr2
	s_waitcnt lgkmcnt(0)
	global_store_dword v1, v0, s[10:11]
.LBB3514_94:
	s_andn2_saveexec_b64 s[2:3], s[2:3]
	s_cbranch_execz .LBB3514_96
; %bb.95:
	ds_read_b32 v0, v2 offset:1536
	v_mov_b32_e32 v1, 0
	s_waitcnt lgkmcnt(0)
	global_store_dword v1, v0, s[10:11]
.LBB3514_96:
	s_or_b64 exec, exec, s[2:3]
                                        ; implicit-def: $vgpr0_vgpr1
                                        ; implicit-def: $vgpr2
.LBB3514_97:
	s_andn2_saveexec_b64 s[0:1], s[0:1]
	s_cbranch_execz .LBB3514_105
; %bb.98:
	v_cmp_lt_i64_e32 vcc, 1, v[0:1]
	s_and_saveexec_b64 s[0:1], vcc
	s_xor_b64 s[0:1], exec, s[0:1]
	s_cbranch_execz .LBB3514_100
; %bb.99:
	ds_read_b32 v0, v2 offset:1024
	v_mov_b32_e32 v1, 0
                                        ; implicit-def: $vgpr2
	s_waitcnt lgkmcnt(0)
	global_store_dword v1, v0, s[10:11]
                                        ; implicit-def: $vgpr0_vgpr1
.LBB3514_100:
	s_andn2_saveexec_b64 s[0:1], s[0:1]
	s_cbranch_execz .LBB3514_105
; %bb.101:
	v_cmp_ne_u64_e32 vcc, 1, v[0:1]
	s_and_saveexec_b64 s[0:1], vcc
	s_xor_b64 s[0:1], exec, s[0:1]
	s_cbranch_execz .LBB3514_103
; %bb.102:
	ds_read_b32 v0, v2
	v_mov_b32_e32 v1, 0
                                        ; implicit-def: $vgpr2
	s_waitcnt lgkmcnt(0)
	global_store_dword v1, v0, s[10:11]
.LBB3514_103:
	s_andn2_saveexec_b64 s[0:1], s[0:1]
	s_cbranch_execz .LBB3514_105
; %bb.104:
	ds_read_b32 v0, v2 offset:512
	v_mov_b32_e32 v1, 0
	s_waitcnt lgkmcnt(0)
	global_store_dword v1, v0, s[10:11]
.LBB3514_105:
	s_endpgm
	.section	.rodata,"a",@progbits
	.p2align	6, 0x0
	.amdhsa_kernel _ZN7rocprim17ROCPRIM_400000_NS6detail17trampoline_kernelINS0_14default_configENS1_20scan_config_selectorIjEEZZNS1_9scan_implILNS1_25lookback_scan_determinismE0ELb1ELb1ES3_N6thrust23THRUST_200600_302600_NS6detail15normal_iteratorINS9_10device_ptrIjEEEENS9_16discard_iteratorINS9_11use_defaultEEEj11max_functorIjEjEEDaPvRmT3_T4_T5_mT6_P12ihipStream_tbENKUlT_T0_E_clISt17integral_constantIbLb1EESX_EEDaSS_ST_EUlSS_E_NS1_11comp_targetILNS1_3genE4ELNS1_11target_archE910ELNS1_3gpuE8ELNS1_3repE0EEENS1_30default_config_static_selectorELNS0_4arch9wavefront6targetE1EEEvT1_
		.amdhsa_group_segment_fixed_size 5120
		.amdhsa_private_segment_fixed_size 0
		.amdhsa_kernarg_size 104
		.amdhsa_user_sgpr_count 6
		.amdhsa_user_sgpr_private_segment_buffer 1
		.amdhsa_user_sgpr_dispatch_ptr 0
		.amdhsa_user_sgpr_queue_ptr 0
		.amdhsa_user_sgpr_kernarg_segment_ptr 1
		.amdhsa_user_sgpr_dispatch_id 0
		.amdhsa_user_sgpr_flat_scratch_init 0
		.amdhsa_user_sgpr_kernarg_preload_length 0
		.amdhsa_user_sgpr_kernarg_preload_offset 0
		.amdhsa_user_sgpr_private_segment_size 0
		.amdhsa_uses_dynamic_stack 0
		.amdhsa_system_sgpr_private_segment_wavefront_offset 0
		.amdhsa_system_sgpr_workgroup_id_x 1
		.amdhsa_system_sgpr_workgroup_id_y 0
		.amdhsa_system_sgpr_workgroup_id_z 0
		.amdhsa_system_sgpr_workgroup_info 0
		.amdhsa_system_vgpr_workitem_id 0
		.amdhsa_next_free_vgpr 40
		.amdhsa_next_free_sgpr 36
		.amdhsa_accum_offset 40
		.amdhsa_reserve_vcc 1
		.amdhsa_reserve_flat_scratch 0
		.amdhsa_float_round_mode_32 0
		.amdhsa_float_round_mode_16_64 0
		.amdhsa_float_denorm_mode_32 3
		.amdhsa_float_denorm_mode_16_64 3
		.amdhsa_dx10_clamp 1
		.amdhsa_ieee_mode 1
		.amdhsa_fp16_overflow 0
		.amdhsa_tg_split 0
		.amdhsa_exception_fp_ieee_invalid_op 0
		.amdhsa_exception_fp_denorm_src 0
		.amdhsa_exception_fp_ieee_div_zero 0
		.amdhsa_exception_fp_ieee_overflow 0
		.amdhsa_exception_fp_ieee_underflow 0
		.amdhsa_exception_fp_ieee_inexact 0
		.amdhsa_exception_int_div_zero 0
	.end_amdhsa_kernel
	.section	.text._ZN7rocprim17ROCPRIM_400000_NS6detail17trampoline_kernelINS0_14default_configENS1_20scan_config_selectorIjEEZZNS1_9scan_implILNS1_25lookback_scan_determinismE0ELb1ELb1ES3_N6thrust23THRUST_200600_302600_NS6detail15normal_iteratorINS9_10device_ptrIjEEEENS9_16discard_iteratorINS9_11use_defaultEEEj11max_functorIjEjEEDaPvRmT3_T4_T5_mT6_P12ihipStream_tbENKUlT_T0_E_clISt17integral_constantIbLb1EESX_EEDaSS_ST_EUlSS_E_NS1_11comp_targetILNS1_3genE4ELNS1_11target_archE910ELNS1_3gpuE8ELNS1_3repE0EEENS1_30default_config_static_selectorELNS0_4arch9wavefront6targetE1EEEvT1_,"axG",@progbits,_ZN7rocprim17ROCPRIM_400000_NS6detail17trampoline_kernelINS0_14default_configENS1_20scan_config_selectorIjEEZZNS1_9scan_implILNS1_25lookback_scan_determinismE0ELb1ELb1ES3_N6thrust23THRUST_200600_302600_NS6detail15normal_iteratorINS9_10device_ptrIjEEEENS9_16discard_iteratorINS9_11use_defaultEEEj11max_functorIjEjEEDaPvRmT3_T4_T5_mT6_P12ihipStream_tbENKUlT_T0_E_clISt17integral_constantIbLb1EESX_EEDaSS_ST_EUlSS_E_NS1_11comp_targetILNS1_3genE4ELNS1_11target_archE910ELNS1_3gpuE8ELNS1_3repE0EEENS1_30default_config_static_selectorELNS0_4arch9wavefront6targetE1EEEvT1_,comdat
.Lfunc_end3514:
	.size	_ZN7rocprim17ROCPRIM_400000_NS6detail17trampoline_kernelINS0_14default_configENS1_20scan_config_selectorIjEEZZNS1_9scan_implILNS1_25lookback_scan_determinismE0ELb1ELb1ES3_N6thrust23THRUST_200600_302600_NS6detail15normal_iteratorINS9_10device_ptrIjEEEENS9_16discard_iteratorINS9_11use_defaultEEEj11max_functorIjEjEEDaPvRmT3_T4_T5_mT6_P12ihipStream_tbENKUlT_T0_E_clISt17integral_constantIbLb1EESX_EEDaSS_ST_EUlSS_E_NS1_11comp_targetILNS1_3genE4ELNS1_11target_archE910ELNS1_3gpuE8ELNS1_3repE0EEENS1_30default_config_static_selectorELNS0_4arch9wavefront6targetE1EEEvT1_, .Lfunc_end3514-_ZN7rocprim17ROCPRIM_400000_NS6detail17trampoline_kernelINS0_14default_configENS1_20scan_config_selectorIjEEZZNS1_9scan_implILNS1_25lookback_scan_determinismE0ELb1ELb1ES3_N6thrust23THRUST_200600_302600_NS6detail15normal_iteratorINS9_10device_ptrIjEEEENS9_16discard_iteratorINS9_11use_defaultEEEj11max_functorIjEjEEDaPvRmT3_T4_T5_mT6_P12ihipStream_tbENKUlT_T0_E_clISt17integral_constantIbLb1EESX_EEDaSS_ST_EUlSS_E_NS1_11comp_targetILNS1_3genE4ELNS1_11target_archE910ELNS1_3gpuE8ELNS1_3repE0EEENS1_30default_config_static_selectorELNS0_4arch9wavefront6targetE1EEEvT1_
                                        ; -- End function
	.section	.AMDGPU.csdata,"",@progbits
; Kernel info:
; codeLenInByte = 4008
; NumSgprs: 40
; NumVgprs: 40
; NumAgprs: 0
; TotalNumVgprs: 40
; ScratchSize: 0
; MemoryBound: 0
; FloatMode: 240
; IeeeMode: 1
; LDSByteSize: 5120 bytes/workgroup (compile time only)
; SGPRBlocks: 4
; VGPRBlocks: 4
; NumSGPRsForWavesPerEU: 40
; NumVGPRsForWavesPerEU: 40
; AccumOffset: 40
; Occupancy: 6
; WaveLimiterHint : 1
; COMPUTE_PGM_RSRC2:SCRATCH_EN: 0
; COMPUTE_PGM_RSRC2:USER_SGPR: 6
; COMPUTE_PGM_RSRC2:TRAP_HANDLER: 0
; COMPUTE_PGM_RSRC2:TGID_X_EN: 1
; COMPUTE_PGM_RSRC2:TGID_Y_EN: 0
; COMPUTE_PGM_RSRC2:TGID_Z_EN: 0
; COMPUTE_PGM_RSRC2:TIDIG_COMP_CNT: 0
; COMPUTE_PGM_RSRC3_GFX90A:ACCUM_OFFSET: 9
; COMPUTE_PGM_RSRC3_GFX90A:TG_SPLIT: 0
	.section	.text._ZN7rocprim17ROCPRIM_400000_NS6detail17trampoline_kernelINS0_14default_configENS1_20scan_config_selectorIjEEZZNS1_9scan_implILNS1_25lookback_scan_determinismE0ELb1ELb1ES3_N6thrust23THRUST_200600_302600_NS6detail15normal_iteratorINS9_10device_ptrIjEEEENS9_16discard_iteratorINS9_11use_defaultEEEj11max_functorIjEjEEDaPvRmT3_T4_T5_mT6_P12ihipStream_tbENKUlT_T0_E_clISt17integral_constantIbLb1EESX_EEDaSS_ST_EUlSS_E_NS1_11comp_targetILNS1_3genE3ELNS1_11target_archE908ELNS1_3gpuE7ELNS1_3repE0EEENS1_30default_config_static_selectorELNS0_4arch9wavefront6targetE1EEEvT1_,"axG",@progbits,_ZN7rocprim17ROCPRIM_400000_NS6detail17trampoline_kernelINS0_14default_configENS1_20scan_config_selectorIjEEZZNS1_9scan_implILNS1_25lookback_scan_determinismE0ELb1ELb1ES3_N6thrust23THRUST_200600_302600_NS6detail15normal_iteratorINS9_10device_ptrIjEEEENS9_16discard_iteratorINS9_11use_defaultEEEj11max_functorIjEjEEDaPvRmT3_T4_T5_mT6_P12ihipStream_tbENKUlT_T0_E_clISt17integral_constantIbLb1EESX_EEDaSS_ST_EUlSS_E_NS1_11comp_targetILNS1_3genE3ELNS1_11target_archE908ELNS1_3gpuE7ELNS1_3repE0EEENS1_30default_config_static_selectorELNS0_4arch9wavefront6targetE1EEEvT1_,comdat
	.protected	_ZN7rocprim17ROCPRIM_400000_NS6detail17trampoline_kernelINS0_14default_configENS1_20scan_config_selectorIjEEZZNS1_9scan_implILNS1_25lookback_scan_determinismE0ELb1ELb1ES3_N6thrust23THRUST_200600_302600_NS6detail15normal_iteratorINS9_10device_ptrIjEEEENS9_16discard_iteratorINS9_11use_defaultEEEj11max_functorIjEjEEDaPvRmT3_T4_T5_mT6_P12ihipStream_tbENKUlT_T0_E_clISt17integral_constantIbLb1EESX_EEDaSS_ST_EUlSS_E_NS1_11comp_targetILNS1_3genE3ELNS1_11target_archE908ELNS1_3gpuE7ELNS1_3repE0EEENS1_30default_config_static_selectorELNS0_4arch9wavefront6targetE1EEEvT1_ ; -- Begin function _ZN7rocprim17ROCPRIM_400000_NS6detail17trampoline_kernelINS0_14default_configENS1_20scan_config_selectorIjEEZZNS1_9scan_implILNS1_25lookback_scan_determinismE0ELb1ELb1ES3_N6thrust23THRUST_200600_302600_NS6detail15normal_iteratorINS9_10device_ptrIjEEEENS9_16discard_iteratorINS9_11use_defaultEEEj11max_functorIjEjEEDaPvRmT3_T4_T5_mT6_P12ihipStream_tbENKUlT_T0_E_clISt17integral_constantIbLb1EESX_EEDaSS_ST_EUlSS_E_NS1_11comp_targetILNS1_3genE3ELNS1_11target_archE908ELNS1_3gpuE7ELNS1_3repE0EEENS1_30default_config_static_selectorELNS0_4arch9wavefront6targetE1EEEvT1_
	.globl	_ZN7rocprim17ROCPRIM_400000_NS6detail17trampoline_kernelINS0_14default_configENS1_20scan_config_selectorIjEEZZNS1_9scan_implILNS1_25lookback_scan_determinismE0ELb1ELb1ES3_N6thrust23THRUST_200600_302600_NS6detail15normal_iteratorINS9_10device_ptrIjEEEENS9_16discard_iteratorINS9_11use_defaultEEEj11max_functorIjEjEEDaPvRmT3_T4_T5_mT6_P12ihipStream_tbENKUlT_T0_E_clISt17integral_constantIbLb1EESX_EEDaSS_ST_EUlSS_E_NS1_11comp_targetILNS1_3genE3ELNS1_11target_archE908ELNS1_3gpuE7ELNS1_3repE0EEENS1_30default_config_static_selectorELNS0_4arch9wavefront6targetE1EEEvT1_
	.p2align	8
	.type	_ZN7rocprim17ROCPRIM_400000_NS6detail17trampoline_kernelINS0_14default_configENS1_20scan_config_selectorIjEEZZNS1_9scan_implILNS1_25lookback_scan_determinismE0ELb1ELb1ES3_N6thrust23THRUST_200600_302600_NS6detail15normal_iteratorINS9_10device_ptrIjEEEENS9_16discard_iteratorINS9_11use_defaultEEEj11max_functorIjEjEEDaPvRmT3_T4_T5_mT6_P12ihipStream_tbENKUlT_T0_E_clISt17integral_constantIbLb1EESX_EEDaSS_ST_EUlSS_E_NS1_11comp_targetILNS1_3genE3ELNS1_11target_archE908ELNS1_3gpuE7ELNS1_3repE0EEENS1_30default_config_static_selectorELNS0_4arch9wavefront6targetE1EEEvT1_,@function
_ZN7rocprim17ROCPRIM_400000_NS6detail17trampoline_kernelINS0_14default_configENS1_20scan_config_selectorIjEEZZNS1_9scan_implILNS1_25lookback_scan_determinismE0ELb1ELb1ES3_N6thrust23THRUST_200600_302600_NS6detail15normal_iteratorINS9_10device_ptrIjEEEENS9_16discard_iteratorINS9_11use_defaultEEEj11max_functorIjEjEEDaPvRmT3_T4_T5_mT6_P12ihipStream_tbENKUlT_T0_E_clISt17integral_constantIbLb1EESX_EEDaSS_ST_EUlSS_E_NS1_11comp_targetILNS1_3genE3ELNS1_11target_archE908ELNS1_3gpuE7ELNS1_3repE0EEENS1_30default_config_static_selectorELNS0_4arch9wavefront6targetE1EEEvT1_: ; @_ZN7rocprim17ROCPRIM_400000_NS6detail17trampoline_kernelINS0_14default_configENS1_20scan_config_selectorIjEEZZNS1_9scan_implILNS1_25lookback_scan_determinismE0ELb1ELb1ES3_N6thrust23THRUST_200600_302600_NS6detail15normal_iteratorINS9_10device_ptrIjEEEENS9_16discard_iteratorINS9_11use_defaultEEEj11max_functorIjEjEEDaPvRmT3_T4_T5_mT6_P12ihipStream_tbENKUlT_T0_E_clISt17integral_constantIbLb1EESX_EEDaSS_ST_EUlSS_E_NS1_11comp_targetILNS1_3genE3ELNS1_11target_archE908ELNS1_3gpuE7ELNS1_3repE0EEENS1_30default_config_static_selectorELNS0_4arch9wavefront6targetE1EEEvT1_
; %bb.0:
	.section	.rodata,"a",@progbits
	.p2align	6, 0x0
	.amdhsa_kernel _ZN7rocprim17ROCPRIM_400000_NS6detail17trampoline_kernelINS0_14default_configENS1_20scan_config_selectorIjEEZZNS1_9scan_implILNS1_25lookback_scan_determinismE0ELb1ELb1ES3_N6thrust23THRUST_200600_302600_NS6detail15normal_iteratorINS9_10device_ptrIjEEEENS9_16discard_iteratorINS9_11use_defaultEEEj11max_functorIjEjEEDaPvRmT3_T4_T5_mT6_P12ihipStream_tbENKUlT_T0_E_clISt17integral_constantIbLb1EESX_EEDaSS_ST_EUlSS_E_NS1_11comp_targetILNS1_3genE3ELNS1_11target_archE908ELNS1_3gpuE7ELNS1_3repE0EEENS1_30default_config_static_selectorELNS0_4arch9wavefront6targetE1EEEvT1_
		.amdhsa_group_segment_fixed_size 0
		.amdhsa_private_segment_fixed_size 0
		.amdhsa_kernarg_size 104
		.amdhsa_user_sgpr_count 6
		.amdhsa_user_sgpr_private_segment_buffer 1
		.amdhsa_user_sgpr_dispatch_ptr 0
		.amdhsa_user_sgpr_queue_ptr 0
		.amdhsa_user_sgpr_kernarg_segment_ptr 1
		.amdhsa_user_sgpr_dispatch_id 0
		.amdhsa_user_sgpr_flat_scratch_init 0
		.amdhsa_user_sgpr_kernarg_preload_length 0
		.amdhsa_user_sgpr_kernarg_preload_offset 0
		.amdhsa_user_sgpr_private_segment_size 0
		.amdhsa_uses_dynamic_stack 0
		.amdhsa_system_sgpr_private_segment_wavefront_offset 0
		.amdhsa_system_sgpr_workgroup_id_x 1
		.amdhsa_system_sgpr_workgroup_id_y 0
		.amdhsa_system_sgpr_workgroup_id_z 0
		.amdhsa_system_sgpr_workgroup_info 0
		.amdhsa_system_vgpr_workitem_id 0
		.amdhsa_next_free_vgpr 1
		.amdhsa_next_free_sgpr 0
		.amdhsa_accum_offset 4
		.amdhsa_reserve_vcc 0
		.amdhsa_reserve_flat_scratch 0
		.amdhsa_float_round_mode_32 0
		.amdhsa_float_round_mode_16_64 0
		.amdhsa_float_denorm_mode_32 3
		.amdhsa_float_denorm_mode_16_64 3
		.amdhsa_dx10_clamp 1
		.amdhsa_ieee_mode 1
		.amdhsa_fp16_overflow 0
		.amdhsa_tg_split 0
		.amdhsa_exception_fp_ieee_invalid_op 0
		.amdhsa_exception_fp_denorm_src 0
		.amdhsa_exception_fp_ieee_div_zero 0
		.amdhsa_exception_fp_ieee_overflow 0
		.amdhsa_exception_fp_ieee_underflow 0
		.amdhsa_exception_fp_ieee_inexact 0
		.amdhsa_exception_int_div_zero 0
	.end_amdhsa_kernel
	.section	.text._ZN7rocprim17ROCPRIM_400000_NS6detail17trampoline_kernelINS0_14default_configENS1_20scan_config_selectorIjEEZZNS1_9scan_implILNS1_25lookback_scan_determinismE0ELb1ELb1ES3_N6thrust23THRUST_200600_302600_NS6detail15normal_iteratorINS9_10device_ptrIjEEEENS9_16discard_iteratorINS9_11use_defaultEEEj11max_functorIjEjEEDaPvRmT3_T4_T5_mT6_P12ihipStream_tbENKUlT_T0_E_clISt17integral_constantIbLb1EESX_EEDaSS_ST_EUlSS_E_NS1_11comp_targetILNS1_3genE3ELNS1_11target_archE908ELNS1_3gpuE7ELNS1_3repE0EEENS1_30default_config_static_selectorELNS0_4arch9wavefront6targetE1EEEvT1_,"axG",@progbits,_ZN7rocprim17ROCPRIM_400000_NS6detail17trampoline_kernelINS0_14default_configENS1_20scan_config_selectorIjEEZZNS1_9scan_implILNS1_25lookback_scan_determinismE0ELb1ELb1ES3_N6thrust23THRUST_200600_302600_NS6detail15normal_iteratorINS9_10device_ptrIjEEEENS9_16discard_iteratorINS9_11use_defaultEEEj11max_functorIjEjEEDaPvRmT3_T4_T5_mT6_P12ihipStream_tbENKUlT_T0_E_clISt17integral_constantIbLb1EESX_EEDaSS_ST_EUlSS_E_NS1_11comp_targetILNS1_3genE3ELNS1_11target_archE908ELNS1_3gpuE7ELNS1_3repE0EEENS1_30default_config_static_selectorELNS0_4arch9wavefront6targetE1EEEvT1_,comdat
.Lfunc_end3515:
	.size	_ZN7rocprim17ROCPRIM_400000_NS6detail17trampoline_kernelINS0_14default_configENS1_20scan_config_selectorIjEEZZNS1_9scan_implILNS1_25lookback_scan_determinismE0ELb1ELb1ES3_N6thrust23THRUST_200600_302600_NS6detail15normal_iteratorINS9_10device_ptrIjEEEENS9_16discard_iteratorINS9_11use_defaultEEEj11max_functorIjEjEEDaPvRmT3_T4_T5_mT6_P12ihipStream_tbENKUlT_T0_E_clISt17integral_constantIbLb1EESX_EEDaSS_ST_EUlSS_E_NS1_11comp_targetILNS1_3genE3ELNS1_11target_archE908ELNS1_3gpuE7ELNS1_3repE0EEENS1_30default_config_static_selectorELNS0_4arch9wavefront6targetE1EEEvT1_, .Lfunc_end3515-_ZN7rocprim17ROCPRIM_400000_NS6detail17trampoline_kernelINS0_14default_configENS1_20scan_config_selectorIjEEZZNS1_9scan_implILNS1_25lookback_scan_determinismE0ELb1ELb1ES3_N6thrust23THRUST_200600_302600_NS6detail15normal_iteratorINS9_10device_ptrIjEEEENS9_16discard_iteratorINS9_11use_defaultEEEj11max_functorIjEjEEDaPvRmT3_T4_T5_mT6_P12ihipStream_tbENKUlT_T0_E_clISt17integral_constantIbLb1EESX_EEDaSS_ST_EUlSS_E_NS1_11comp_targetILNS1_3genE3ELNS1_11target_archE908ELNS1_3gpuE7ELNS1_3repE0EEENS1_30default_config_static_selectorELNS0_4arch9wavefront6targetE1EEEvT1_
                                        ; -- End function
	.section	.AMDGPU.csdata,"",@progbits
; Kernel info:
; codeLenInByte = 0
; NumSgprs: 4
; NumVgprs: 0
; NumAgprs: 0
; TotalNumVgprs: 0
; ScratchSize: 0
; MemoryBound: 0
; FloatMode: 240
; IeeeMode: 1
; LDSByteSize: 0 bytes/workgroup (compile time only)
; SGPRBlocks: 0
; VGPRBlocks: 0
; NumSGPRsForWavesPerEU: 4
; NumVGPRsForWavesPerEU: 1
; AccumOffset: 4
; Occupancy: 8
; WaveLimiterHint : 0
; COMPUTE_PGM_RSRC2:SCRATCH_EN: 0
; COMPUTE_PGM_RSRC2:USER_SGPR: 6
; COMPUTE_PGM_RSRC2:TRAP_HANDLER: 0
; COMPUTE_PGM_RSRC2:TGID_X_EN: 1
; COMPUTE_PGM_RSRC2:TGID_Y_EN: 0
; COMPUTE_PGM_RSRC2:TGID_Z_EN: 0
; COMPUTE_PGM_RSRC2:TIDIG_COMP_CNT: 0
; COMPUTE_PGM_RSRC3_GFX90A:ACCUM_OFFSET: 0
; COMPUTE_PGM_RSRC3_GFX90A:TG_SPLIT: 0
	.section	.text._ZN7rocprim17ROCPRIM_400000_NS6detail17trampoline_kernelINS0_14default_configENS1_20scan_config_selectorIjEEZZNS1_9scan_implILNS1_25lookback_scan_determinismE0ELb1ELb1ES3_N6thrust23THRUST_200600_302600_NS6detail15normal_iteratorINS9_10device_ptrIjEEEENS9_16discard_iteratorINS9_11use_defaultEEEj11max_functorIjEjEEDaPvRmT3_T4_T5_mT6_P12ihipStream_tbENKUlT_T0_E_clISt17integral_constantIbLb1EESX_EEDaSS_ST_EUlSS_E_NS1_11comp_targetILNS1_3genE2ELNS1_11target_archE906ELNS1_3gpuE6ELNS1_3repE0EEENS1_30default_config_static_selectorELNS0_4arch9wavefront6targetE1EEEvT1_,"axG",@progbits,_ZN7rocprim17ROCPRIM_400000_NS6detail17trampoline_kernelINS0_14default_configENS1_20scan_config_selectorIjEEZZNS1_9scan_implILNS1_25lookback_scan_determinismE0ELb1ELb1ES3_N6thrust23THRUST_200600_302600_NS6detail15normal_iteratorINS9_10device_ptrIjEEEENS9_16discard_iteratorINS9_11use_defaultEEEj11max_functorIjEjEEDaPvRmT3_T4_T5_mT6_P12ihipStream_tbENKUlT_T0_E_clISt17integral_constantIbLb1EESX_EEDaSS_ST_EUlSS_E_NS1_11comp_targetILNS1_3genE2ELNS1_11target_archE906ELNS1_3gpuE6ELNS1_3repE0EEENS1_30default_config_static_selectorELNS0_4arch9wavefront6targetE1EEEvT1_,comdat
	.protected	_ZN7rocprim17ROCPRIM_400000_NS6detail17trampoline_kernelINS0_14default_configENS1_20scan_config_selectorIjEEZZNS1_9scan_implILNS1_25lookback_scan_determinismE0ELb1ELb1ES3_N6thrust23THRUST_200600_302600_NS6detail15normal_iteratorINS9_10device_ptrIjEEEENS9_16discard_iteratorINS9_11use_defaultEEEj11max_functorIjEjEEDaPvRmT3_T4_T5_mT6_P12ihipStream_tbENKUlT_T0_E_clISt17integral_constantIbLb1EESX_EEDaSS_ST_EUlSS_E_NS1_11comp_targetILNS1_3genE2ELNS1_11target_archE906ELNS1_3gpuE6ELNS1_3repE0EEENS1_30default_config_static_selectorELNS0_4arch9wavefront6targetE1EEEvT1_ ; -- Begin function _ZN7rocprim17ROCPRIM_400000_NS6detail17trampoline_kernelINS0_14default_configENS1_20scan_config_selectorIjEEZZNS1_9scan_implILNS1_25lookback_scan_determinismE0ELb1ELb1ES3_N6thrust23THRUST_200600_302600_NS6detail15normal_iteratorINS9_10device_ptrIjEEEENS9_16discard_iteratorINS9_11use_defaultEEEj11max_functorIjEjEEDaPvRmT3_T4_T5_mT6_P12ihipStream_tbENKUlT_T0_E_clISt17integral_constantIbLb1EESX_EEDaSS_ST_EUlSS_E_NS1_11comp_targetILNS1_3genE2ELNS1_11target_archE906ELNS1_3gpuE6ELNS1_3repE0EEENS1_30default_config_static_selectorELNS0_4arch9wavefront6targetE1EEEvT1_
	.globl	_ZN7rocprim17ROCPRIM_400000_NS6detail17trampoline_kernelINS0_14default_configENS1_20scan_config_selectorIjEEZZNS1_9scan_implILNS1_25lookback_scan_determinismE0ELb1ELb1ES3_N6thrust23THRUST_200600_302600_NS6detail15normal_iteratorINS9_10device_ptrIjEEEENS9_16discard_iteratorINS9_11use_defaultEEEj11max_functorIjEjEEDaPvRmT3_T4_T5_mT6_P12ihipStream_tbENKUlT_T0_E_clISt17integral_constantIbLb1EESX_EEDaSS_ST_EUlSS_E_NS1_11comp_targetILNS1_3genE2ELNS1_11target_archE906ELNS1_3gpuE6ELNS1_3repE0EEENS1_30default_config_static_selectorELNS0_4arch9wavefront6targetE1EEEvT1_
	.p2align	8
	.type	_ZN7rocprim17ROCPRIM_400000_NS6detail17trampoline_kernelINS0_14default_configENS1_20scan_config_selectorIjEEZZNS1_9scan_implILNS1_25lookback_scan_determinismE0ELb1ELb1ES3_N6thrust23THRUST_200600_302600_NS6detail15normal_iteratorINS9_10device_ptrIjEEEENS9_16discard_iteratorINS9_11use_defaultEEEj11max_functorIjEjEEDaPvRmT3_T4_T5_mT6_P12ihipStream_tbENKUlT_T0_E_clISt17integral_constantIbLb1EESX_EEDaSS_ST_EUlSS_E_NS1_11comp_targetILNS1_3genE2ELNS1_11target_archE906ELNS1_3gpuE6ELNS1_3repE0EEENS1_30default_config_static_selectorELNS0_4arch9wavefront6targetE1EEEvT1_,@function
_ZN7rocprim17ROCPRIM_400000_NS6detail17trampoline_kernelINS0_14default_configENS1_20scan_config_selectorIjEEZZNS1_9scan_implILNS1_25lookback_scan_determinismE0ELb1ELb1ES3_N6thrust23THRUST_200600_302600_NS6detail15normal_iteratorINS9_10device_ptrIjEEEENS9_16discard_iteratorINS9_11use_defaultEEEj11max_functorIjEjEEDaPvRmT3_T4_T5_mT6_P12ihipStream_tbENKUlT_T0_E_clISt17integral_constantIbLb1EESX_EEDaSS_ST_EUlSS_E_NS1_11comp_targetILNS1_3genE2ELNS1_11target_archE906ELNS1_3gpuE6ELNS1_3repE0EEENS1_30default_config_static_selectorELNS0_4arch9wavefront6targetE1EEEvT1_: ; @_ZN7rocprim17ROCPRIM_400000_NS6detail17trampoline_kernelINS0_14default_configENS1_20scan_config_selectorIjEEZZNS1_9scan_implILNS1_25lookback_scan_determinismE0ELb1ELb1ES3_N6thrust23THRUST_200600_302600_NS6detail15normal_iteratorINS9_10device_ptrIjEEEENS9_16discard_iteratorINS9_11use_defaultEEEj11max_functorIjEjEEDaPvRmT3_T4_T5_mT6_P12ihipStream_tbENKUlT_T0_E_clISt17integral_constantIbLb1EESX_EEDaSS_ST_EUlSS_E_NS1_11comp_targetILNS1_3genE2ELNS1_11target_archE906ELNS1_3gpuE6ELNS1_3repE0EEENS1_30default_config_static_selectorELNS0_4arch9wavefront6targetE1EEEvT1_
; %bb.0:
	.section	.rodata,"a",@progbits
	.p2align	6, 0x0
	.amdhsa_kernel _ZN7rocprim17ROCPRIM_400000_NS6detail17trampoline_kernelINS0_14default_configENS1_20scan_config_selectorIjEEZZNS1_9scan_implILNS1_25lookback_scan_determinismE0ELb1ELb1ES3_N6thrust23THRUST_200600_302600_NS6detail15normal_iteratorINS9_10device_ptrIjEEEENS9_16discard_iteratorINS9_11use_defaultEEEj11max_functorIjEjEEDaPvRmT3_T4_T5_mT6_P12ihipStream_tbENKUlT_T0_E_clISt17integral_constantIbLb1EESX_EEDaSS_ST_EUlSS_E_NS1_11comp_targetILNS1_3genE2ELNS1_11target_archE906ELNS1_3gpuE6ELNS1_3repE0EEENS1_30default_config_static_selectorELNS0_4arch9wavefront6targetE1EEEvT1_
		.amdhsa_group_segment_fixed_size 0
		.amdhsa_private_segment_fixed_size 0
		.amdhsa_kernarg_size 104
		.amdhsa_user_sgpr_count 6
		.amdhsa_user_sgpr_private_segment_buffer 1
		.amdhsa_user_sgpr_dispatch_ptr 0
		.amdhsa_user_sgpr_queue_ptr 0
		.amdhsa_user_sgpr_kernarg_segment_ptr 1
		.amdhsa_user_sgpr_dispatch_id 0
		.amdhsa_user_sgpr_flat_scratch_init 0
		.amdhsa_user_sgpr_kernarg_preload_length 0
		.amdhsa_user_sgpr_kernarg_preload_offset 0
		.amdhsa_user_sgpr_private_segment_size 0
		.amdhsa_uses_dynamic_stack 0
		.amdhsa_system_sgpr_private_segment_wavefront_offset 0
		.amdhsa_system_sgpr_workgroup_id_x 1
		.amdhsa_system_sgpr_workgroup_id_y 0
		.amdhsa_system_sgpr_workgroup_id_z 0
		.amdhsa_system_sgpr_workgroup_info 0
		.amdhsa_system_vgpr_workitem_id 0
		.amdhsa_next_free_vgpr 1
		.amdhsa_next_free_sgpr 0
		.amdhsa_accum_offset 4
		.amdhsa_reserve_vcc 0
		.amdhsa_reserve_flat_scratch 0
		.amdhsa_float_round_mode_32 0
		.amdhsa_float_round_mode_16_64 0
		.amdhsa_float_denorm_mode_32 3
		.amdhsa_float_denorm_mode_16_64 3
		.amdhsa_dx10_clamp 1
		.amdhsa_ieee_mode 1
		.amdhsa_fp16_overflow 0
		.amdhsa_tg_split 0
		.amdhsa_exception_fp_ieee_invalid_op 0
		.amdhsa_exception_fp_denorm_src 0
		.amdhsa_exception_fp_ieee_div_zero 0
		.amdhsa_exception_fp_ieee_overflow 0
		.amdhsa_exception_fp_ieee_underflow 0
		.amdhsa_exception_fp_ieee_inexact 0
		.amdhsa_exception_int_div_zero 0
	.end_amdhsa_kernel
	.section	.text._ZN7rocprim17ROCPRIM_400000_NS6detail17trampoline_kernelINS0_14default_configENS1_20scan_config_selectorIjEEZZNS1_9scan_implILNS1_25lookback_scan_determinismE0ELb1ELb1ES3_N6thrust23THRUST_200600_302600_NS6detail15normal_iteratorINS9_10device_ptrIjEEEENS9_16discard_iteratorINS9_11use_defaultEEEj11max_functorIjEjEEDaPvRmT3_T4_T5_mT6_P12ihipStream_tbENKUlT_T0_E_clISt17integral_constantIbLb1EESX_EEDaSS_ST_EUlSS_E_NS1_11comp_targetILNS1_3genE2ELNS1_11target_archE906ELNS1_3gpuE6ELNS1_3repE0EEENS1_30default_config_static_selectorELNS0_4arch9wavefront6targetE1EEEvT1_,"axG",@progbits,_ZN7rocprim17ROCPRIM_400000_NS6detail17trampoline_kernelINS0_14default_configENS1_20scan_config_selectorIjEEZZNS1_9scan_implILNS1_25lookback_scan_determinismE0ELb1ELb1ES3_N6thrust23THRUST_200600_302600_NS6detail15normal_iteratorINS9_10device_ptrIjEEEENS9_16discard_iteratorINS9_11use_defaultEEEj11max_functorIjEjEEDaPvRmT3_T4_T5_mT6_P12ihipStream_tbENKUlT_T0_E_clISt17integral_constantIbLb1EESX_EEDaSS_ST_EUlSS_E_NS1_11comp_targetILNS1_3genE2ELNS1_11target_archE906ELNS1_3gpuE6ELNS1_3repE0EEENS1_30default_config_static_selectorELNS0_4arch9wavefront6targetE1EEEvT1_,comdat
.Lfunc_end3516:
	.size	_ZN7rocprim17ROCPRIM_400000_NS6detail17trampoline_kernelINS0_14default_configENS1_20scan_config_selectorIjEEZZNS1_9scan_implILNS1_25lookback_scan_determinismE0ELb1ELb1ES3_N6thrust23THRUST_200600_302600_NS6detail15normal_iteratorINS9_10device_ptrIjEEEENS9_16discard_iteratorINS9_11use_defaultEEEj11max_functorIjEjEEDaPvRmT3_T4_T5_mT6_P12ihipStream_tbENKUlT_T0_E_clISt17integral_constantIbLb1EESX_EEDaSS_ST_EUlSS_E_NS1_11comp_targetILNS1_3genE2ELNS1_11target_archE906ELNS1_3gpuE6ELNS1_3repE0EEENS1_30default_config_static_selectorELNS0_4arch9wavefront6targetE1EEEvT1_, .Lfunc_end3516-_ZN7rocprim17ROCPRIM_400000_NS6detail17trampoline_kernelINS0_14default_configENS1_20scan_config_selectorIjEEZZNS1_9scan_implILNS1_25lookback_scan_determinismE0ELb1ELb1ES3_N6thrust23THRUST_200600_302600_NS6detail15normal_iteratorINS9_10device_ptrIjEEEENS9_16discard_iteratorINS9_11use_defaultEEEj11max_functorIjEjEEDaPvRmT3_T4_T5_mT6_P12ihipStream_tbENKUlT_T0_E_clISt17integral_constantIbLb1EESX_EEDaSS_ST_EUlSS_E_NS1_11comp_targetILNS1_3genE2ELNS1_11target_archE906ELNS1_3gpuE6ELNS1_3repE0EEENS1_30default_config_static_selectorELNS0_4arch9wavefront6targetE1EEEvT1_
                                        ; -- End function
	.section	.AMDGPU.csdata,"",@progbits
; Kernel info:
; codeLenInByte = 0
; NumSgprs: 4
; NumVgprs: 0
; NumAgprs: 0
; TotalNumVgprs: 0
; ScratchSize: 0
; MemoryBound: 0
; FloatMode: 240
; IeeeMode: 1
; LDSByteSize: 0 bytes/workgroup (compile time only)
; SGPRBlocks: 0
; VGPRBlocks: 0
; NumSGPRsForWavesPerEU: 4
; NumVGPRsForWavesPerEU: 1
; AccumOffset: 4
; Occupancy: 8
; WaveLimiterHint : 0
; COMPUTE_PGM_RSRC2:SCRATCH_EN: 0
; COMPUTE_PGM_RSRC2:USER_SGPR: 6
; COMPUTE_PGM_RSRC2:TRAP_HANDLER: 0
; COMPUTE_PGM_RSRC2:TGID_X_EN: 1
; COMPUTE_PGM_RSRC2:TGID_Y_EN: 0
; COMPUTE_PGM_RSRC2:TGID_Z_EN: 0
; COMPUTE_PGM_RSRC2:TIDIG_COMP_CNT: 0
; COMPUTE_PGM_RSRC3_GFX90A:ACCUM_OFFSET: 0
; COMPUTE_PGM_RSRC3_GFX90A:TG_SPLIT: 0
	.section	.text._ZN7rocprim17ROCPRIM_400000_NS6detail17trampoline_kernelINS0_14default_configENS1_20scan_config_selectorIjEEZZNS1_9scan_implILNS1_25lookback_scan_determinismE0ELb1ELb1ES3_N6thrust23THRUST_200600_302600_NS6detail15normal_iteratorINS9_10device_ptrIjEEEENS9_16discard_iteratorINS9_11use_defaultEEEj11max_functorIjEjEEDaPvRmT3_T4_T5_mT6_P12ihipStream_tbENKUlT_T0_E_clISt17integral_constantIbLb1EESX_EEDaSS_ST_EUlSS_E_NS1_11comp_targetILNS1_3genE10ELNS1_11target_archE1201ELNS1_3gpuE5ELNS1_3repE0EEENS1_30default_config_static_selectorELNS0_4arch9wavefront6targetE1EEEvT1_,"axG",@progbits,_ZN7rocprim17ROCPRIM_400000_NS6detail17trampoline_kernelINS0_14default_configENS1_20scan_config_selectorIjEEZZNS1_9scan_implILNS1_25lookback_scan_determinismE0ELb1ELb1ES3_N6thrust23THRUST_200600_302600_NS6detail15normal_iteratorINS9_10device_ptrIjEEEENS9_16discard_iteratorINS9_11use_defaultEEEj11max_functorIjEjEEDaPvRmT3_T4_T5_mT6_P12ihipStream_tbENKUlT_T0_E_clISt17integral_constantIbLb1EESX_EEDaSS_ST_EUlSS_E_NS1_11comp_targetILNS1_3genE10ELNS1_11target_archE1201ELNS1_3gpuE5ELNS1_3repE0EEENS1_30default_config_static_selectorELNS0_4arch9wavefront6targetE1EEEvT1_,comdat
	.protected	_ZN7rocprim17ROCPRIM_400000_NS6detail17trampoline_kernelINS0_14default_configENS1_20scan_config_selectorIjEEZZNS1_9scan_implILNS1_25lookback_scan_determinismE0ELb1ELb1ES3_N6thrust23THRUST_200600_302600_NS6detail15normal_iteratorINS9_10device_ptrIjEEEENS9_16discard_iteratorINS9_11use_defaultEEEj11max_functorIjEjEEDaPvRmT3_T4_T5_mT6_P12ihipStream_tbENKUlT_T0_E_clISt17integral_constantIbLb1EESX_EEDaSS_ST_EUlSS_E_NS1_11comp_targetILNS1_3genE10ELNS1_11target_archE1201ELNS1_3gpuE5ELNS1_3repE0EEENS1_30default_config_static_selectorELNS0_4arch9wavefront6targetE1EEEvT1_ ; -- Begin function _ZN7rocprim17ROCPRIM_400000_NS6detail17trampoline_kernelINS0_14default_configENS1_20scan_config_selectorIjEEZZNS1_9scan_implILNS1_25lookback_scan_determinismE0ELb1ELb1ES3_N6thrust23THRUST_200600_302600_NS6detail15normal_iteratorINS9_10device_ptrIjEEEENS9_16discard_iteratorINS9_11use_defaultEEEj11max_functorIjEjEEDaPvRmT3_T4_T5_mT6_P12ihipStream_tbENKUlT_T0_E_clISt17integral_constantIbLb1EESX_EEDaSS_ST_EUlSS_E_NS1_11comp_targetILNS1_3genE10ELNS1_11target_archE1201ELNS1_3gpuE5ELNS1_3repE0EEENS1_30default_config_static_selectorELNS0_4arch9wavefront6targetE1EEEvT1_
	.globl	_ZN7rocprim17ROCPRIM_400000_NS6detail17trampoline_kernelINS0_14default_configENS1_20scan_config_selectorIjEEZZNS1_9scan_implILNS1_25lookback_scan_determinismE0ELb1ELb1ES3_N6thrust23THRUST_200600_302600_NS6detail15normal_iteratorINS9_10device_ptrIjEEEENS9_16discard_iteratorINS9_11use_defaultEEEj11max_functorIjEjEEDaPvRmT3_T4_T5_mT6_P12ihipStream_tbENKUlT_T0_E_clISt17integral_constantIbLb1EESX_EEDaSS_ST_EUlSS_E_NS1_11comp_targetILNS1_3genE10ELNS1_11target_archE1201ELNS1_3gpuE5ELNS1_3repE0EEENS1_30default_config_static_selectorELNS0_4arch9wavefront6targetE1EEEvT1_
	.p2align	8
	.type	_ZN7rocprim17ROCPRIM_400000_NS6detail17trampoline_kernelINS0_14default_configENS1_20scan_config_selectorIjEEZZNS1_9scan_implILNS1_25lookback_scan_determinismE0ELb1ELb1ES3_N6thrust23THRUST_200600_302600_NS6detail15normal_iteratorINS9_10device_ptrIjEEEENS9_16discard_iteratorINS9_11use_defaultEEEj11max_functorIjEjEEDaPvRmT3_T4_T5_mT6_P12ihipStream_tbENKUlT_T0_E_clISt17integral_constantIbLb1EESX_EEDaSS_ST_EUlSS_E_NS1_11comp_targetILNS1_3genE10ELNS1_11target_archE1201ELNS1_3gpuE5ELNS1_3repE0EEENS1_30default_config_static_selectorELNS0_4arch9wavefront6targetE1EEEvT1_,@function
_ZN7rocprim17ROCPRIM_400000_NS6detail17trampoline_kernelINS0_14default_configENS1_20scan_config_selectorIjEEZZNS1_9scan_implILNS1_25lookback_scan_determinismE0ELb1ELb1ES3_N6thrust23THRUST_200600_302600_NS6detail15normal_iteratorINS9_10device_ptrIjEEEENS9_16discard_iteratorINS9_11use_defaultEEEj11max_functorIjEjEEDaPvRmT3_T4_T5_mT6_P12ihipStream_tbENKUlT_T0_E_clISt17integral_constantIbLb1EESX_EEDaSS_ST_EUlSS_E_NS1_11comp_targetILNS1_3genE10ELNS1_11target_archE1201ELNS1_3gpuE5ELNS1_3repE0EEENS1_30default_config_static_selectorELNS0_4arch9wavefront6targetE1EEEvT1_: ; @_ZN7rocprim17ROCPRIM_400000_NS6detail17trampoline_kernelINS0_14default_configENS1_20scan_config_selectorIjEEZZNS1_9scan_implILNS1_25lookback_scan_determinismE0ELb1ELb1ES3_N6thrust23THRUST_200600_302600_NS6detail15normal_iteratorINS9_10device_ptrIjEEEENS9_16discard_iteratorINS9_11use_defaultEEEj11max_functorIjEjEEDaPvRmT3_T4_T5_mT6_P12ihipStream_tbENKUlT_T0_E_clISt17integral_constantIbLb1EESX_EEDaSS_ST_EUlSS_E_NS1_11comp_targetILNS1_3genE10ELNS1_11target_archE1201ELNS1_3gpuE5ELNS1_3repE0EEENS1_30default_config_static_selectorELNS0_4arch9wavefront6targetE1EEEvT1_
; %bb.0:
	.section	.rodata,"a",@progbits
	.p2align	6, 0x0
	.amdhsa_kernel _ZN7rocprim17ROCPRIM_400000_NS6detail17trampoline_kernelINS0_14default_configENS1_20scan_config_selectorIjEEZZNS1_9scan_implILNS1_25lookback_scan_determinismE0ELb1ELb1ES3_N6thrust23THRUST_200600_302600_NS6detail15normal_iteratorINS9_10device_ptrIjEEEENS9_16discard_iteratorINS9_11use_defaultEEEj11max_functorIjEjEEDaPvRmT3_T4_T5_mT6_P12ihipStream_tbENKUlT_T0_E_clISt17integral_constantIbLb1EESX_EEDaSS_ST_EUlSS_E_NS1_11comp_targetILNS1_3genE10ELNS1_11target_archE1201ELNS1_3gpuE5ELNS1_3repE0EEENS1_30default_config_static_selectorELNS0_4arch9wavefront6targetE1EEEvT1_
		.amdhsa_group_segment_fixed_size 0
		.amdhsa_private_segment_fixed_size 0
		.amdhsa_kernarg_size 104
		.amdhsa_user_sgpr_count 6
		.amdhsa_user_sgpr_private_segment_buffer 1
		.amdhsa_user_sgpr_dispatch_ptr 0
		.amdhsa_user_sgpr_queue_ptr 0
		.amdhsa_user_sgpr_kernarg_segment_ptr 1
		.amdhsa_user_sgpr_dispatch_id 0
		.amdhsa_user_sgpr_flat_scratch_init 0
		.amdhsa_user_sgpr_kernarg_preload_length 0
		.amdhsa_user_sgpr_kernarg_preload_offset 0
		.amdhsa_user_sgpr_private_segment_size 0
		.amdhsa_uses_dynamic_stack 0
		.amdhsa_system_sgpr_private_segment_wavefront_offset 0
		.amdhsa_system_sgpr_workgroup_id_x 1
		.amdhsa_system_sgpr_workgroup_id_y 0
		.amdhsa_system_sgpr_workgroup_id_z 0
		.amdhsa_system_sgpr_workgroup_info 0
		.amdhsa_system_vgpr_workitem_id 0
		.amdhsa_next_free_vgpr 1
		.amdhsa_next_free_sgpr 0
		.amdhsa_accum_offset 4
		.amdhsa_reserve_vcc 0
		.amdhsa_reserve_flat_scratch 0
		.amdhsa_float_round_mode_32 0
		.amdhsa_float_round_mode_16_64 0
		.amdhsa_float_denorm_mode_32 3
		.amdhsa_float_denorm_mode_16_64 3
		.amdhsa_dx10_clamp 1
		.amdhsa_ieee_mode 1
		.amdhsa_fp16_overflow 0
		.amdhsa_tg_split 0
		.amdhsa_exception_fp_ieee_invalid_op 0
		.amdhsa_exception_fp_denorm_src 0
		.amdhsa_exception_fp_ieee_div_zero 0
		.amdhsa_exception_fp_ieee_overflow 0
		.amdhsa_exception_fp_ieee_underflow 0
		.amdhsa_exception_fp_ieee_inexact 0
		.amdhsa_exception_int_div_zero 0
	.end_amdhsa_kernel
	.section	.text._ZN7rocprim17ROCPRIM_400000_NS6detail17trampoline_kernelINS0_14default_configENS1_20scan_config_selectorIjEEZZNS1_9scan_implILNS1_25lookback_scan_determinismE0ELb1ELb1ES3_N6thrust23THRUST_200600_302600_NS6detail15normal_iteratorINS9_10device_ptrIjEEEENS9_16discard_iteratorINS9_11use_defaultEEEj11max_functorIjEjEEDaPvRmT3_T4_T5_mT6_P12ihipStream_tbENKUlT_T0_E_clISt17integral_constantIbLb1EESX_EEDaSS_ST_EUlSS_E_NS1_11comp_targetILNS1_3genE10ELNS1_11target_archE1201ELNS1_3gpuE5ELNS1_3repE0EEENS1_30default_config_static_selectorELNS0_4arch9wavefront6targetE1EEEvT1_,"axG",@progbits,_ZN7rocprim17ROCPRIM_400000_NS6detail17trampoline_kernelINS0_14default_configENS1_20scan_config_selectorIjEEZZNS1_9scan_implILNS1_25lookback_scan_determinismE0ELb1ELb1ES3_N6thrust23THRUST_200600_302600_NS6detail15normal_iteratorINS9_10device_ptrIjEEEENS9_16discard_iteratorINS9_11use_defaultEEEj11max_functorIjEjEEDaPvRmT3_T4_T5_mT6_P12ihipStream_tbENKUlT_T0_E_clISt17integral_constantIbLb1EESX_EEDaSS_ST_EUlSS_E_NS1_11comp_targetILNS1_3genE10ELNS1_11target_archE1201ELNS1_3gpuE5ELNS1_3repE0EEENS1_30default_config_static_selectorELNS0_4arch9wavefront6targetE1EEEvT1_,comdat
.Lfunc_end3517:
	.size	_ZN7rocprim17ROCPRIM_400000_NS6detail17trampoline_kernelINS0_14default_configENS1_20scan_config_selectorIjEEZZNS1_9scan_implILNS1_25lookback_scan_determinismE0ELb1ELb1ES3_N6thrust23THRUST_200600_302600_NS6detail15normal_iteratorINS9_10device_ptrIjEEEENS9_16discard_iteratorINS9_11use_defaultEEEj11max_functorIjEjEEDaPvRmT3_T4_T5_mT6_P12ihipStream_tbENKUlT_T0_E_clISt17integral_constantIbLb1EESX_EEDaSS_ST_EUlSS_E_NS1_11comp_targetILNS1_3genE10ELNS1_11target_archE1201ELNS1_3gpuE5ELNS1_3repE0EEENS1_30default_config_static_selectorELNS0_4arch9wavefront6targetE1EEEvT1_, .Lfunc_end3517-_ZN7rocprim17ROCPRIM_400000_NS6detail17trampoline_kernelINS0_14default_configENS1_20scan_config_selectorIjEEZZNS1_9scan_implILNS1_25lookback_scan_determinismE0ELb1ELb1ES3_N6thrust23THRUST_200600_302600_NS6detail15normal_iteratorINS9_10device_ptrIjEEEENS9_16discard_iteratorINS9_11use_defaultEEEj11max_functorIjEjEEDaPvRmT3_T4_T5_mT6_P12ihipStream_tbENKUlT_T0_E_clISt17integral_constantIbLb1EESX_EEDaSS_ST_EUlSS_E_NS1_11comp_targetILNS1_3genE10ELNS1_11target_archE1201ELNS1_3gpuE5ELNS1_3repE0EEENS1_30default_config_static_selectorELNS0_4arch9wavefront6targetE1EEEvT1_
                                        ; -- End function
	.section	.AMDGPU.csdata,"",@progbits
; Kernel info:
; codeLenInByte = 0
; NumSgprs: 4
; NumVgprs: 0
; NumAgprs: 0
; TotalNumVgprs: 0
; ScratchSize: 0
; MemoryBound: 0
; FloatMode: 240
; IeeeMode: 1
; LDSByteSize: 0 bytes/workgroup (compile time only)
; SGPRBlocks: 0
; VGPRBlocks: 0
; NumSGPRsForWavesPerEU: 4
; NumVGPRsForWavesPerEU: 1
; AccumOffset: 4
; Occupancy: 8
; WaveLimiterHint : 0
; COMPUTE_PGM_RSRC2:SCRATCH_EN: 0
; COMPUTE_PGM_RSRC2:USER_SGPR: 6
; COMPUTE_PGM_RSRC2:TRAP_HANDLER: 0
; COMPUTE_PGM_RSRC2:TGID_X_EN: 1
; COMPUTE_PGM_RSRC2:TGID_Y_EN: 0
; COMPUTE_PGM_RSRC2:TGID_Z_EN: 0
; COMPUTE_PGM_RSRC2:TIDIG_COMP_CNT: 0
; COMPUTE_PGM_RSRC3_GFX90A:ACCUM_OFFSET: 0
; COMPUTE_PGM_RSRC3_GFX90A:TG_SPLIT: 0
	.section	.text._ZN7rocprim17ROCPRIM_400000_NS6detail17trampoline_kernelINS0_14default_configENS1_20scan_config_selectorIjEEZZNS1_9scan_implILNS1_25lookback_scan_determinismE0ELb1ELb1ES3_N6thrust23THRUST_200600_302600_NS6detail15normal_iteratorINS9_10device_ptrIjEEEENS9_16discard_iteratorINS9_11use_defaultEEEj11max_functorIjEjEEDaPvRmT3_T4_T5_mT6_P12ihipStream_tbENKUlT_T0_E_clISt17integral_constantIbLb1EESX_EEDaSS_ST_EUlSS_E_NS1_11comp_targetILNS1_3genE10ELNS1_11target_archE1200ELNS1_3gpuE4ELNS1_3repE0EEENS1_30default_config_static_selectorELNS0_4arch9wavefront6targetE1EEEvT1_,"axG",@progbits,_ZN7rocprim17ROCPRIM_400000_NS6detail17trampoline_kernelINS0_14default_configENS1_20scan_config_selectorIjEEZZNS1_9scan_implILNS1_25lookback_scan_determinismE0ELb1ELb1ES3_N6thrust23THRUST_200600_302600_NS6detail15normal_iteratorINS9_10device_ptrIjEEEENS9_16discard_iteratorINS9_11use_defaultEEEj11max_functorIjEjEEDaPvRmT3_T4_T5_mT6_P12ihipStream_tbENKUlT_T0_E_clISt17integral_constantIbLb1EESX_EEDaSS_ST_EUlSS_E_NS1_11comp_targetILNS1_3genE10ELNS1_11target_archE1200ELNS1_3gpuE4ELNS1_3repE0EEENS1_30default_config_static_selectorELNS0_4arch9wavefront6targetE1EEEvT1_,comdat
	.protected	_ZN7rocprim17ROCPRIM_400000_NS6detail17trampoline_kernelINS0_14default_configENS1_20scan_config_selectorIjEEZZNS1_9scan_implILNS1_25lookback_scan_determinismE0ELb1ELb1ES3_N6thrust23THRUST_200600_302600_NS6detail15normal_iteratorINS9_10device_ptrIjEEEENS9_16discard_iteratorINS9_11use_defaultEEEj11max_functorIjEjEEDaPvRmT3_T4_T5_mT6_P12ihipStream_tbENKUlT_T0_E_clISt17integral_constantIbLb1EESX_EEDaSS_ST_EUlSS_E_NS1_11comp_targetILNS1_3genE10ELNS1_11target_archE1200ELNS1_3gpuE4ELNS1_3repE0EEENS1_30default_config_static_selectorELNS0_4arch9wavefront6targetE1EEEvT1_ ; -- Begin function _ZN7rocprim17ROCPRIM_400000_NS6detail17trampoline_kernelINS0_14default_configENS1_20scan_config_selectorIjEEZZNS1_9scan_implILNS1_25lookback_scan_determinismE0ELb1ELb1ES3_N6thrust23THRUST_200600_302600_NS6detail15normal_iteratorINS9_10device_ptrIjEEEENS9_16discard_iteratorINS9_11use_defaultEEEj11max_functorIjEjEEDaPvRmT3_T4_T5_mT6_P12ihipStream_tbENKUlT_T0_E_clISt17integral_constantIbLb1EESX_EEDaSS_ST_EUlSS_E_NS1_11comp_targetILNS1_3genE10ELNS1_11target_archE1200ELNS1_3gpuE4ELNS1_3repE0EEENS1_30default_config_static_selectorELNS0_4arch9wavefront6targetE1EEEvT1_
	.globl	_ZN7rocprim17ROCPRIM_400000_NS6detail17trampoline_kernelINS0_14default_configENS1_20scan_config_selectorIjEEZZNS1_9scan_implILNS1_25lookback_scan_determinismE0ELb1ELb1ES3_N6thrust23THRUST_200600_302600_NS6detail15normal_iteratorINS9_10device_ptrIjEEEENS9_16discard_iteratorINS9_11use_defaultEEEj11max_functorIjEjEEDaPvRmT3_T4_T5_mT6_P12ihipStream_tbENKUlT_T0_E_clISt17integral_constantIbLb1EESX_EEDaSS_ST_EUlSS_E_NS1_11comp_targetILNS1_3genE10ELNS1_11target_archE1200ELNS1_3gpuE4ELNS1_3repE0EEENS1_30default_config_static_selectorELNS0_4arch9wavefront6targetE1EEEvT1_
	.p2align	8
	.type	_ZN7rocprim17ROCPRIM_400000_NS6detail17trampoline_kernelINS0_14default_configENS1_20scan_config_selectorIjEEZZNS1_9scan_implILNS1_25lookback_scan_determinismE0ELb1ELb1ES3_N6thrust23THRUST_200600_302600_NS6detail15normal_iteratorINS9_10device_ptrIjEEEENS9_16discard_iteratorINS9_11use_defaultEEEj11max_functorIjEjEEDaPvRmT3_T4_T5_mT6_P12ihipStream_tbENKUlT_T0_E_clISt17integral_constantIbLb1EESX_EEDaSS_ST_EUlSS_E_NS1_11comp_targetILNS1_3genE10ELNS1_11target_archE1200ELNS1_3gpuE4ELNS1_3repE0EEENS1_30default_config_static_selectorELNS0_4arch9wavefront6targetE1EEEvT1_,@function
_ZN7rocprim17ROCPRIM_400000_NS6detail17trampoline_kernelINS0_14default_configENS1_20scan_config_selectorIjEEZZNS1_9scan_implILNS1_25lookback_scan_determinismE0ELb1ELb1ES3_N6thrust23THRUST_200600_302600_NS6detail15normal_iteratorINS9_10device_ptrIjEEEENS9_16discard_iteratorINS9_11use_defaultEEEj11max_functorIjEjEEDaPvRmT3_T4_T5_mT6_P12ihipStream_tbENKUlT_T0_E_clISt17integral_constantIbLb1EESX_EEDaSS_ST_EUlSS_E_NS1_11comp_targetILNS1_3genE10ELNS1_11target_archE1200ELNS1_3gpuE4ELNS1_3repE0EEENS1_30default_config_static_selectorELNS0_4arch9wavefront6targetE1EEEvT1_: ; @_ZN7rocprim17ROCPRIM_400000_NS6detail17trampoline_kernelINS0_14default_configENS1_20scan_config_selectorIjEEZZNS1_9scan_implILNS1_25lookback_scan_determinismE0ELb1ELb1ES3_N6thrust23THRUST_200600_302600_NS6detail15normal_iteratorINS9_10device_ptrIjEEEENS9_16discard_iteratorINS9_11use_defaultEEEj11max_functorIjEjEEDaPvRmT3_T4_T5_mT6_P12ihipStream_tbENKUlT_T0_E_clISt17integral_constantIbLb1EESX_EEDaSS_ST_EUlSS_E_NS1_11comp_targetILNS1_3genE10ELNS1_11target_archE1200ELNS1_3gpuE4ELNS1_3repE0EEENS1_30default_config_static_selectorELNS0_4arch9wavefront6targetE1EEEvT1_
; %bb.0:
	.section	.rodata,"a",@progbits
	.p2align	6, 0x0
	.amdhsa_kernel _ZN7rocprim17ROCPRIM_400000_NS6detail17trampoline_kernelINS0_14default_configENS1_20scan_config_selectorIjEEZZNS1_9scan_implILNS1_25lookback_scan_determinismE0ELb1ELb1ES3_N6thrust23THRUST_200600_302600_NS6detail15normal_iteratorINS9_10device_ptrIjEEEENS9_16discard_iteratorINS9_11use_defaultEEEj11max_functorIjEjEEDaPvRmT3_T4_T5_mT6_P12ihipStream_tbENKUlT_T0_E_clISt17integral_constantIbLb1EESX_EEDaSS_ST_EUlSS_E_NS1_11comp_targetILNS1_3genE10ELNS1_11target_archE1200ELNS1_3gpuE4ELNS1_3repE0EEENS1_30default_config_static_selectorELNS0_4arch9wavefront6targetE1EEEvT1_
		.amdhsa_group_segment_fixed_size 0
		.amdhsa_private_segment_fixed_size 0
		.amdhsa_kernarg_size 104
		.amdhsa_user_sgpr_count 6
		.amdhsa_user_sgpr_private_segment_buffer 1
		.amdhsa_user_sgpr_dispatch_ptr 0
		.amdhsa_user_sgpr_queue_ptr 0
		.amdhsa_user_sgpr_kernarg_segment_ptr 1
		.amdhsa_user_sgpr_dispatch_id 0
		.amdhsa_user_sgpr_flat_scratch_init 0
		.amdhsa_user_sgpr_kernarg_preload_length 0
		.amdhsa_user_sgpr_kernarg_preload_offset 0
		.amdhsa_user_sgpr_private_segment_size 0
		.amdhsa_uses_dynamic_stack 0
		.amdhsa_system_sgpr_private_segment_wavefront_offset 0
		.amdhsa_system_sgpr_workgroup_id_x 1
		.amdhsa_system_sgpr_workgroup_id_y 0
		.amdhsa_system_sgpr_workgroup_id_z 0
		.amdhsa_system_sgpr_workgroup_info 0
		.amdhsa_system_vgpr_workitem_id 0
		.amdhsa_next_free_vgpr 1
		.amdhsa_next_free_sgpr 0
		.amdhsa_accum_offset 4
		.amdhsa_reserve_vcc 0
		.amdhsa_reserve_flat_scratch 0
		.amdhsa_float_round_mode_32 0
		.amdhsa_float_round_mode_16_64 0
		.amdhsa_float_denorm_mode_32 3
		.amdhsa_float_denorm_mode_16_64 3
		.amdhsa_dx10_clamp 1
		.amdhsa_ieee_mode 1
		.amdhsa_fp16_overflow 0
		.amdhsa_tg_split 0
		.amdhsa_exception_fp_ieee_invalid_op 0
		.amdhsa_exception_fp_denorm_src 0
		.amdhsa_exception_fp_ieee_div_zero 0
		.amdhsa_exception_fp_ieee_overflow 0
		.amdhsa_exception_fp_ieee_underflow 0
		.amdhsa_exception_fp_ieee_inexact 0
		.amdhsa_exception_int_div_zero 0
	.end_amdhsa_kernel
	.section	.text._ZN7rocprim17ROCPRIM_400000_NS6detail17trampoline_kernelINS0_14default_configENS1_20scan_config_selectorIjEEZZNS1_9scan_implILNS1_25lookback_scan_determinismE0ELb1ELb1ES3_N6thrust23THRUST_200600_302600_NS6detail15normal_iteratorINS9_10device_ptrIjEEEENS9_16discard_iteratorINS9_11use_defaultEEEj11max_functorIjEjEEDaPvRmT3_T4_T5_mT6_P12ihipStream_tbENKUlT_T0_E_clISt17integral_constantIbLb1EESX_EEDaSS_ST_EUlSS_E_NS1_11comp_targetILNS1_3genE10ELNS1_11target_archE1200ELNS1_3gpuE4ELNS1_3repE0EEENS1_30default_config_static_selectorELNS0_4arch9wavefront6targetE1EEEvT1_,"axG",@progbits,_ZN7rocprim17ROCPRIM_400000_NS6detail17trampoline_kernelINS0_14default_configENS1_20scan_config_selectorIjEEZZNS1_9scan_implILNS1_25lookback_scan_determinismE0ELb1ELb1ES3_N6thrust23THRUST_200600_302600_NS6detail15normal_iteratorINS9_10device_ptrIjEEEENS9_16discard_iteratorINS9_11use_defaultEEEj11max_functorIjEjEEDaPvRmT3_T4_T5_mT6_P12ihipStream_tbENKUlT_T0_E_clISt17integral_constantIbLb1EESX_EEDaSS_ST_EUlSS_E_NS1_11comp_targetILNS1_3genE10ELNS1_11target_archE1200ELNS1_3gpuE4ELNS1_3repE0EEENS1_30default_config_static_selectorELNS0_4arch9wavefront6targetE1EEEvT1_,comdat
.Lfunc_end3518:
	.size	_ZN7rocprim17ROCPRIM_400000_NS6detail17trampoline_kernelINS0_14default_configENS1_20scan_config_selectorIjEEZZNS1_9scan_implILNS1_25lookback_scan_determinismE0ELb1ELb1ES3_N6thrust23THRUST_200600_302600_NS6detail15normal_iteratorINS9_10device_ptrIjEEEENS9_16discard_iteratorINS9_11use_defaultEEEj11max_functorIjEjEEDaPvRmT3_T4_T5_mT6_P12ihipStream_tbENKUlT_T0_E_clISt17integral_constantIbLb1EESX_EEDaSS_ST_EUlSS_E_NS1_11comp_targetILNS1_3genE10ELNS1_11target_archE1200ELNS1_3gpuE4ELNS1_3repE0EEENS1_30default_config_static_selectorELNS0_4arch9wavefront6targetE1EEEvT1_, .Lfunc_end3518-_ZN7rocprim17ROCPRIM_400000_NS6detail17trampoline_kernelINS0_14default_configENS1_20scan_config_selectorIjEEZZNS1_9scan_implILNS1_25lookback_scan_determinismE0ELb1ELb1ES3_N6thrust23THRUST_200600_302600_NS6detail15normal_iteratorINS9_10device_ptrIjEEEENS9_16discard_iteratorINS9_11use_defaultEEEj11max_functorIjEjEEDaPvRmT3_T4_T5_mT6_P12ihipStream_tbENKUlT_T0_E_clISt17integral_constantIbLb1EESX_EEDaSS_ST_EUlSS_E_NS1_11comp_targetILNS1_3genE10ELNS1_11target_archE1200ELNS1_3gpuE4ELNS1_3repE0EEENS1_30default_config_static_selectorELNS0_4arch9wavefront6targetE1EEEvT1_
                                        ; -- End function
	.section	.AMDGPU.csdata,"",@progbits
; Kernel info:
; codeLenInByte = 0
; NumSgprs: 4
; NumVgprs: 0
; NumAgprs: 0
; TotalNumVgprs: 0
; ScratchSize: 0
; MemoryBound: 0
; FloatMode: 240
; IeeeMode: 1
; LDSByteSize: 0 bytes/workgroup (compile time only)
; SGPRBlocks: 0
; VGPRBlocks: 0
; NumSGPRsForWavesPerEU: 4
; NumVGPRsForWavesPerEU: 1
; AccumOffset: 4
; Occupancy: 8
; WaveLimiterHint : 0
; COMPUTE_PGM_RSRC2:SCRATCH_EN: 0
; COMPUTE_PGM_RSRC2:USER_SGPR: 6
; COMPUTE_PGM_RSRC2:TRAP_HANDLER: 0
; COMPUTE_PGM_RSRC2:TGID_X_EN: 1
; COMPUTE_PGM_RSRC2:TGID_Y_EN: 0
; COMPUTE_PGM_RSRC2:TGID_Z_EN: 0
; COMPUTE_PGM_RSRC2:TIDIG_COMP_CNT: 0
; COMPUTE_PGM_RSRC3_GFX90A:ACCUM_OFFSET: 0
; COMPUTE_PGM_RSRC3_GFX90A:TG_SPLIT: 0
	.section	.text._ZN7rocprim17ROCPRIM_400000_NS6detail17trampoline_kernelINS0_14default_configENS1_20scan_config_selectorIjEEZZNS1_9scan_implILNS1_25lookback_scan_determinismE0ELb1ELb1ES3_N6thrust23THRUST_200600_302600_NS6detail15normal_iteratorINS9_10device_ptrIjEEEENS9_16discard_iteratorINS9_11use_defaultEEEj11max_functorIjEjEEDaPvRmT3_T4_T5_mT6_P12ihipStream_tbENKUlT_T0_E_clISt17integral_constantIbLb1EESX_EEDaSS_ST_EUlSS_E_NS1_11comp_targetILNS1_3genE9ELNS1_11target_archE1100ELNS1_3gpuE3ELNS1_3repE0EEENS1_30default_config_static_selectorELNS0_4arch9wavefront6targetE1EEEvT1_,"axG",@progbits,_ZN7rocprim17ROCPRIM_400000_NS6detail17trampoline_kernelINS0_14default_configENS1_20scan_config_selectorIjEEZZNS1_9scan_implILNS1_25lookback_scan_determinismE0ELb1ELb1ES3_N6thrust23THRUST_200600_302600_NS6detail15normal_iteratorINS9_10device_ptrIjEEEENS9_16discard_iteratorINS9_11use_defaultEEEj11max_functorIjEjEEDaPvRmT3_T4_T5_mT6_P12ihipStream_tbENKUlT_T0_E_clISt17integral_constantIbLb1EESX_EEDaSS_ST_EUlSS_E_NS1_11comp_targetILNS1_3genE9ELNS1_11target_archE1100ELNS1_3gpuE3ELNS1_3repE0EEENS1_30default_config_static_selectorELNS0_4arch9wavefront6targetE1EEEvT1_,comdat
	.protected	_ZN7rocprim17ROCPRIM_400000_NS6detail17trampoline_kernelINS0_14default_configENS1_20scan_config_selectorIjEEZZNS1_9scan_implILNS1_25lookback_scan_determinismE0ELb1ELb1ES3_N6thrust23THRUST_200600_302600_NS6detail15normal_iteratorINS9_10device_ptrIjEEEENS9_16discard_iteratorINS9_11use_defaultEEEj11max_functorIjEjEEDaPvRmT3_T4_T5_mT6_P12ihipStream_tbENKUlT_T0_E_clISt17integral_constantIbLb1EESX_EEDaSS_ST_EUlSS_E_NS1_11comp_targetILNS1_3genE9ELNS1_11target_archE1100ELNS1_3gpuE3ELNS1_3repE0EEENS1_30default_config_static_selectorELNS0_4arch9wavefront6targetE1EEEvT1_ ; -- Begin function _ZN7rocprim17ROCPRIM_400000_NS6detail17trampoline_kernelINS0_14default_configENS1_20scan_config_selectorIjEEZZNS1_9scan_implILNS1_25lookback_scan_determinismE0ELb1ELb1ES3_N6thrust23THRUST_200600_302600_NS6detail15normal_iteratorINS9_10device_ptrIjEEEENS9_16discard_iteratorINS9_11use_defaultEEEj11max_functorIjEjEEDaPvRmT3_T4_T5_mT6_P12ihipStream_tbENKUlT_T0_E_clISt17integral_constantIbLb1EESX_EEDaSS_ST_EUlSS_E_NS1_11comp_targetILNS1_3genE9ELNS1_11target_archE1100ELNS1_3gpuE3ELNS1_3repE0EEENS1_30default_config_static_selectorELNS0_4arch9wavefront6targetE1EEEvT1_
	.globl	_ZN7rocprim17ROCPRIM_400000_NS6detail17trampoline_kernelINS0_14default_configENS1_20scan_config_selectorIjEEZZNS1_9scan_implILNS1_25lookback_scan_determinismE0ELb1ELb1ES3_N6thrust23THRUST_200600_302600_NS6detail15normal_iteratorINS9_10device_ptrIjEEEENS9_16discard_iteratorINS9_11use_defaultEEEj11max_functorIjEjEEDaPvRmT3_T4_T5_mT6_P12ihipStream_tbENKUlT_T0_E_clISt17integral_constantIbLb1EESX_EEDaSS_ST_EUlSS_E_NS1_11comp_targetILNS1_3genE9ELNS1_11target_archE1100ELNS1_3gpuE3ELNS1_3repE0EEENS1_30default_config_static_selectorELNS0_4arch9wavefront6targetE1EEEvT1_
	.p2align	8
	.type	_ZN7rocprim17ROCPRIM_400000_NS6detail17trampoline_kernelINS0_14default_configENS1_20scan_config_selectorIjEEZZNS1_9scan_implILNS1_25lookback_scan_determinismE0ELb1ELb1ES3_N6thrust23THRUST_200600_302600_NS6detail15normal_iteratorINS9_10device_ptrIjEEEENS9_16discard_iteratorINS9_11use_defaultEEEj11max_functorIjEjEEDaPvRmT3_T4_T5_mT6_P12ihipStream_tbENKUlT_T0_E_clISt17integral_constantIbLb1EESX_EEDaSS_ST_EUlSS_E_NS1_11comp_targetILNS1_3genE9ELNS1_11target_archE1100ELNS1_3gpuE3ELNS1_3repE0EEENS1_30default_config_static_selectorELNS0_4arch9wavefront6targetE1EEEvT1_,@function
_ZN7rocprim17ROCPRIM_400000_NS6detail17trampoline_kernelINS0_14default_configENS1_20scan_config_selectorIjEEZZNS1_9scan_implILNS1_25lookback_scan_determinismE0ELb1ELb1ES3_N6thrust23THRUST_200600_302600_NS6detail15normal_iteratorINS9_10device_ptrIjEEEENS9_16discard_iteratorINS9_11use_defaultEEEj11max_functorIjEjEEDaPvRmT3_T4_T5_mT6_P12ihipStream_tbENKUlT_T0_E_clISt17integral_constantIbLb1EESX_EEDaSS_ST_EUlSS_E_NS1_11comp_targetILNS1_3genE9ELNS1_11target_archE1100ELNS1_3gpuE3ELNS1_3repE0EEENS1_30default_config_static_selectorELNS0_4arch9wavefront6targetE1EEEvT1_: ; @_ZN7rocprim17ROCPRIM_400000_NS6detail17trampoline_kernelINS0_14default_configENS1_20scan_config_selectorIjEEZZNS1_9scan_implILNS1_25lookback_scan_determinismE0ELb1ELb1ES3_N6thrust23THRUST_200600_302600_NS6detail15normal_iteratorINS9_10device_ptrIjEEEENS9_16discard_iteratorINS9_11use_defaultEEEj11max_functorIjEjEEDaPvRmT3_T4_T5_mT6_P12ihipStream_tbENKUlT_T0_E_clISt17integral_constantIbLb1EESX_EEDaSS_ST_EUlSS_E_NS1_11comp_targetILNS1_3genE9ELNS1_11target_archE1100ELNS1_3gpuE3ELNS1_3repE0EEENS1_30default_config_static_selectorELNS0_4arch9wavefront6targetE1EEEvT1_
; %bb.0:
	.section	.rodata,"a",@progbits
	.p2align	6, 0x0
	.amdhsa_kernel _ZN7rocprim17ROCPRIM_400000_NS6detail17trampoline_kernelINS0_14default_configENS1_20scan_config_selectorIjEEZZNS1_9scan_implILNS1_25lookback_scan_determinismE0ELb1ELb1ES3_N6thrust23THRUST_200600_302600_NS6detail15normal_iteratorINS9_10device_ptrIjEEEENS9_16discard_iteratorINS9_11use_defaultEEEj11max_functorIjEjEEDaPvRmT3_T4_T5_mT6_P12ihipStream_tbENKUlT_T0_E_clISt17integral_constantIbLb1EESX_EEDaSS_ST_EUlSS_E_NS1_11comp_targetILNS1_3genE9ELNS1_11target_archE1100ELNS1_3gpuE3ELNS1_3repE0EEENS1_30default_config_static_selectorELNS0_4arch9wavefront6targetE1EEEvT1_
		.amdhsa_group_segment_fixed_size 0
		.amdhsa_private_segment_fixed_size 0
		.amdhsa_kernarg_size 104
		.amdhsa_user_sgpr_count 6
		.amdhsa_user_sgpr_private_segment_buffer 1
		.amdhsa_user_sgpr_dispatch_ptr 0
		.amdhsa_user_sgpr_queue_ptr 0
		.amdhsa_user_sgpr_kernarg_segment_ptr 1
		.amdhsa_user_sgpr_dispatch_id 0
		.amdhsa_user_sgpr_flat_scratch_init 0
		.amdhsa_user_sgpr_kernarg_preload_length 0
		.amdhsa_user_sgpr_kernarg_preload_offset 0
		.amdhsa_user_sgpr_private_segment_size 0
		.amdhsa_uses_dynamic_stack 0
		.amdhsa_system_sgpr_private_segment_wavefront_offset 0
		.amdhsa_system_sgpr_workgroup_id_x 1
		.amdhsa_system_sgpr_workgroup_id_y 0
		.amdhsa_system_sgpr_workgroup_id_z 0
		.amdhsa_system_sgpr_workgroup_info 0
		.amdhsa_system_vgpr_workitem_id 0
		.amdhsa_next_free_vgpr 1
		.amdhsa_next_free_sgpr 0
		.amdhsa_accum_offset 4
		.amdhsa_reserve_vcc 0
		.amdhsa_reserve_flat_scratch 0
		.amdhsa_float_round_mode_32 0
		.amdhsa_float_round_mode_16_64 0
		.amdhsa_float_denorm_mode_32 3
		.amdhsa_float_denorm_mode_16_64 3
		.amdhsa_dx10_clamp 1
		.amdhsa_ieee_mode 1
		.amdhsa_fp16_overflow 0
		.amdhsa_tg_split 0
		.amdhsa_exception_fp_ieee_invalid_op 0
		.amdhsa_exception_fp_denorm_src 0
		.amdhsa_exception_fp_ieee_div_zero 0
		.amdhsa_exception_fp_ieee_overflow 0
		.amdhsa_exception_fp_ieee_underflow 0
		.amdhsa_exception_fp_ieee_inexact 0
		.amdhsa_exception_int_div_zero 0
	.end_amdhsa_kernel
	.section	.text._ZN7rocprim17ROCPRIM_400000_NS6detail17trampoline_kernelINS0_14default_configENS1_20scan_config_selectorIjEEZZNS1_9scan_implILNS1_25lookback_scan_determinismE0ELb1ELb1ES3_N6thrust23THRUST_200600_302600_NS6detail15normal_iteratorINS9_10device_ptrIjEEEENS9_16discard_iteratorINS9_11use_defaultEEEj11max_functorIjEjEEDaPvRmT3_T4_T5_mT6_P12ihipStream_tbENKUlT_T0_E_clISt17integral_constantIbLb1EESX_EEDaSS_ST_EUlSS_E_NS1_11comp_targetILNS1_3genE9ELNS1_11target_archE1100ELNS1_3gpuE3ELNS1_3repE0EEENS1_30default_config_static_selectorELNS0_4arch9wavefront6targetE1EEEvT1_,"axG",@progbits,_ZN7rocprim17ROCPRIM_400000_NS6detail17trampoline_kernelINS0_14default_configENS1_20scan_config_selectorIjEEZZNS1_9scan_implILNS1_25lookback_scan_determinismE0ELb1ELb1ES3_N6thrust23THRUST_200600_302600_NS6detail15normal_iteratorINS9_10device_ptrIjEEEENS9_16discard_iteratorINS9_11use_defaultEEEj11max_functorIjEjEEDaPvRmT3_T4_T5_mT6_P12ihipStream_tbENKUlT_T0_E_clISt17integral_constantIbLb1EESX_EEDaSS_ST_EUlSS_E_NS1_11comp_targetILNS1_3genE9ELNS1_11target_archE1100ELNS1_3gpuE3ELNS1_3repE0EEENS1_30default_config_static_selectorELNS0_4arch9wavefront6targetE1EEEvT1_,comdat
.Lfunc_end3519:
	.size	_ZN7rocprim17ROCPRIM_400000_NS6detail17trampoline_kernelINS0_14default_configENS1_20scan_config_selectorIjEEZZNS1_9scan_implILNS1_25lookback_scan_determinismE0ELb1ELb1ES3_N6thrust23THRUST_200600_302600_NS6detail15normal_iteratorINS9_10device_ptrIjEEEENS9_16discard_iteratorINS9_11use_defaultEEEj11max_functorIjEjEEDaPvRmT3_T4_T5_mT6_P12ihipStream_tbENKUlT_T0_E_clISt17integral_constantIbLb1EESX_EEDaSS_ST_EUlSS_E_NS1_11comp_targetILNS1_3genE9ELNS1_11target_archE1100ELNS1_3gpuE3ELNS1_3repE0EEENS1_30default_config_static_selectorELNS0_4arch9wavefront6targetE1EEEvT1_, .Lfunc_end3519-_ZN7rocprim17ROCPRIM_400000_NS6detail17trampoline_kernelINS0_14default_configENS1_20scan_config_selectorIjEEZZNS1_9scan_implILNS1_25lookback_scan_determinismE0ELb1ELb1ES3_N6thrust23THRUST_200600_302600_NS6detail15normal_iteratorINS9_10device_ptrIjEEEENS9_16discard_iteratorINS9_11use_defaultEEEj11max_functorIjEjEEDaPvRmT3_T4_T5_mT6_P12ihipStream_tbENKUlT_T0_E_clISt17integral_constantIbLb1EESX_EEDaSS_ST_EUlSS_E_NS1_11comp_targetILNS1_3genE9ELNS1_11target_archE1100ELNS1_3gpuE3ELNS1_3repE0EEENS1_30default_config_static_selectorELNS0_4arch9wavefront6targetE1EEEvT1_
                                        ; -- End function
	.section	.AMDGPU.csdata,"",@progbits
; Kernel info:
; codeLenInByte = 0
; NumSgprs: 4
; NumVgprs: 0
; NumAgprs: 0
; TotalNumVgprs: 0
; ScratchSize: 0
; MemoryBound: 0
; FloatMode: 240
; IeeeMode: 1
; LDSByteSize: 0 bytes/workgroup (compile time only)
; SGPRBlocks: 0
; VGPRBlocks: 0
; NumSGPRsForWavesPerEU: 4
; NumVGPRsForWavesPerEU: 1
; AccumOffset: 4
; Occupancy: 8
; WaveLimiterHint : 0
; COMPUTE_PGM_RSRC2:SCRATCH_EN: 0
; COMPUTE_PGM_RSRC2:USER_SGPR: 6
; COMPUTE_PGM_RSRC2:TRAP_HANDLER: 0
; COMPUTE_PGM_RSRC2:TGID_X_EN: 1
; COMPUTE_PGM_RSRC2:TGID_Y_EN: 0
; COMPUTE_PGM_RSRC2:TGID_Z_EN: 0
; COMPUTE_PGM_RSRC2:TIDIG_COMP_CNT: 0
; COMPUTE_PGM_RSRC3_GFX90A:ACCUM_OFFSET: 0
; COMPUTE_PGM_RSRC3_GFX90A:TG_SPLIT: 0
	.section	.text._ZN7rocprim17ROCPRIM_400000_NS6detail17trampoline_kernelINS0_14default_configENS1_20scan_config_selectorIjEEZZNS1_9scan_implILNS1_25lookback_scan_determinismE0ELb1ELb1ES3_N6thrust23THRUST_200600_302600_NS6detail15normal_iteratorINS9_10device_ptrIjEEEENS9_16discard_iteratorINS9_11use_defaultEEEj11max_functorIjEjEEDaPvRmT3_T4_T5_mT6_P12ihipStream_tbENKUlT_T0_E_clISt17integral_constantIbLb1EESX_EEDaSS_ST_EUlSS_E_NS1_11comp_targetILNS1_3genE8ELNS1_11target_archE1030ELNS1_3gpuE2ELNS1_3repE0EEENS1_30default_config_static_selectorELNS0_4arch9wavefront6targetE1EEEvT1_,"axG",@progbits,_ZN7rocprim17ROCPRIM_400000_NS6detail17trampoline_kernelINS0_14default_configENS1_20scan_config_selectorIjEEZZNS1_9scan_implILNS1_25lookback_scan_determinismE0ELb1ELb1ES3_N6thrust23THRUST_200600_302600_NS6detail15normal_iteratorINS9_10device_ptrIjEEEENS9_16discard_iteratorINS9_11use_defaultEEEj11max_functorIjEjEEDaPvRmT3_T4_T5_mT6_P12ihipStream_tbENKUlT_T0_E_clISt17integral_constantIbLb1EESX_EEDaSS_ST_EUlSS_E_NS1_11comp_targetILNS1_3genE8ELNS1_11target_archE1030ELNS1_3gpuE2ELNS1_3repE0EEENS1_30default_config_static_selectorELNS0_4arch9wavefront6targetE1EEEvT1_,comdat
	.protected	_ZN7rocprim17ROCPRIM_400000_NS6detail17trampoline_kernelINS0_14default_configENS1_20scan_config_selectorIjEEZZNS1_9scan_implILNS1_25lookback_scan_determinismE0ELb1ELb1ES3_N6thrust23THRUST_200600_302600_NS6detail15normal_iteratorINS9_10device_ptrIjEEEENS9_16discard_iteratorINS9_11use_defaultEEEj11max_functorIjEjEEDaPvRmT3_T4_T5_mT6_P12ihipStream_tbENKUlT_T0_E_clISt17integral_constantIbLb1EESX_EEDaSS_ST_EUlSS_E_NS1_11comp_targetILNS1_3genE8ELNS1_11target_archE1030ELNS1_3gpuE2ELNS1_3repE0EEENS1_30default_config_static_selectorELNS0_4arch9wavefront6targetE1EEEvT1_ ; -- Begin function _ZN7rocprim17ROCPRIM_400000_NS6detail17trampoline_kernelINS0_14default_configENS1_20scan_config_selectorIjEEZZNS1_9scan_implILNS1_25lookback_scan_determinismE0ELb1ELb1ES3_N6thrust23THRUST_200600_302600_NS6detail15normal_iteratorINS9_10device_ptrIjEEEENS9_16discard_iteratorINS9_11use_defaultEEEj11max_functorIjEjEEDaPvRmT3_T4_T5_mT6_P12ihipStream_tbENKUlT_T0_E_clISt17integral_constantIbLb1EESX_EEDaSS_ST_EUlSS_E_NS1_11comp_targetILNS1_3genE8ELNS1_11target_archE1030ELNS1_3gpuE2ELNS1_3repE0EEENS1_30default_config_static_selectorELNS0_4arch9wavefront6targetE1EEEvT1_
	.globl	_ZN7rocprim17ROCPRIM_400000_NS6detail17trampoline_kernelINS0_14default_configENS1_20scan_config_selectorIjEEZZNS1_9scan_implILNS1_25lookback_scan_determinismE0ELb1ELb1ES3_N6thrust23THRUST_200600_302600_NS6detail15normal_iteratorINS9_10device_ptrIjEEEENS9_16discard_iteratorINS9_11use_defaultEEEj11max_functorIjEjEEDaPvRmT3_T4_T5_mT6_P12ihipStream_tbENKUlT_T0_E_clISt17integral_constantIbLb1EESX_EEDaSS_ST_EUlSS_E_NS1_11comp_targetILNS1_3genE8ELNS1_11target_archE1030ELNS1_3gpuE2ELNS1_3repE0EEENS1_30default_config_static_selectorELNS0_4arch9wavefront6targetE1EEEvT1_
	.p2align	8
	.type	_ZN7rocprim17ROCPRIM_400000_NS6detail17trampoline_kernelINS0_14default_configENS1_20scan_config_selectorIjEEZZNS1_9scan_implILNS1_25lookback_scan_determinismE0ELb1ELb1ES3_N6thrust23THRUST_200600_302600_NS6detail15normal_iteratorINS9_10device_ptrIjEEEENS9_16discard_iteratorINS9_11use_defaultEEEj11max_functorIjEjEEDaPvRmT3_T4_T5_mT6_P12ihipStream_tbENKUlT_T0_E_clISt17integral_constantIbLb1EESX_EEDaSS_ST_EUlSS_E_NS1_11comp_targetILNS1_3genE8ELNS1_11target_archE1030ELNS1_3gpuE2ELNS1_3repE0EEENS1_30default_config_static_selectorELNS0_4arch9wavefront6targetE1EEEvT1_,@function
_ZN7rocprim17ROCPRIM_400000_NS6detail17trampoline_kernelINS0_14default_configENS1_20scan_config_selectorIjEEZZNS1_9scan_implILNS1_25lookback_scan_determinismE0ELb1ELb1ES3_N6thrust23THRUST_200600_302600_NS6detail15normal_iteratorINS9_10device_ptrIjEEEENS9_16discard_iteratorINS9_11use_defaultEEEj11max_functorIjEjEEDaPvRmT3_T4_T5_mT6_P12ihipStream_tbENKUlT_T0_E_clISt17integral_constantIbLb1EESX_EEDaSS_ST_EUlSS_E_NS1_11comp_targetILNS1_3genE8ELNS1_11target_archE1030ELNS1_3gpuE2ELNS1_3repE0EEENS1_30default_config_static_selectorELNS0_4arch9wavefront6targetE1EEEvT1_: ; @_ZN7rocprim17ROCPRIM_400000_NS6detail17trampoline_kernelINS0_14default_configENS1_20scan_config_selectorIjEEZZNS1_9scan_implILNS1_25lookback_scan_determinismE0ELb1ELb1ES3_N6thrust23THRUST_200600_302600_NS6detail15normal_iteratorINS9_10device_ptrIjEEEENS9_16discard_iteratorINS9_11use_defaultEEEj11max_functorIjEjEEDaPvRmT3_T4_T5_mT6_P12ihipStream_tbENKUlT_T0_E_clISt17integral_constantIbLb1EESX_EEDaSS_ST_EUlSS_E_NS1_11comp_targetILNS1_3genE8ELNS1_11target_archE1030ELNS1_3gpuE2ELNS1_3repE0EEENS1_30default_config_static_selectorELNS0_4arch9wavefront6targetE1EEEvT1_
; %bb.0:
	.section	.rodata,"a",@progbits
	.p2align	6, 0x0
	.amdhsa_kernel _ZN7rocprim17ROCPRIM_400000_NS6detail17trampoline_kernelINS0_14default_configENS1_20scan_config_selectorIjEEZZNS1_9scan_implILNS1_25lookback_scan_determinismE0ELb1ELb1ES3_N6thrust23THRUST_200600_302600_NS6detail15normal_iteratorINS9_10device_ptrIjEEEENS9_16discard_iteratorINS9_11use_defaultEEEj11max_functorIjEjEEDaPvRmT3_T4_T5_mT6_P12ihipStream_tbENKUlT_T0_E_clISt17integral_constantIbLb1EESX_EEDaSS_ST_EUlSS_E_NS1_11comp_targetILNS1_3genE8ELNS1_11target_archE1030ELNS1_3gpuE2ELNS1_3repE0EEENS1_30default_config_static_selectorELNS0_4arch9wavefront6targetE1EEEvT1_
		.amdhsa_group_segment_fixed_size 0
		.amdhsa_private_segment_fixed_size 0
		.amdhsa_kernarg_size 104
		.amdhsa_user_sgpr_count 6
		.amdhsa_user_sgpr_private_segment_buffer 1
		.amdhsa_user_sgpr_dispatch_ptr 0
		.amdhsa_user_sgpr_queue_ptr 0
		.amdhsa_user_sgpr_kernarg_segment_ptr 1
		.amdhsa_user_sgpr_dispatch_id 0
		.amdhsa_user_sgpr_flat_scratch_init 0
		.amdhsa_user_sgpr_kernarg_preload_length 0
		.amdhsa_user_sgpr_kernarg_preload_offset 0
		.amdhsa_user_sgpr_private_segment_size 0
		.amdhsa_uses_dynamic_stack 0
		.amdhsa_system_sgpr_private_segment_wavefront_offset 0
		.amdhsa_system_sgpr_workgroup_id_x 1
		.amdhsa_system_sgpr_workgroup_id_y 0
		.amdhsa_system_sgpr_workgroup_id_z 0
		.amdhsa_system_sgpr_workgroup_info 0
		.amdhsa_system_vgpr_workitem_id 0
		.amdhsa_next_free_vgpr 1
		.amdhsa_next_free_sgpr 0
		.amdhsa_accum_offset 4
		.amdhsa_reserve_vcc 0
		.amdhsa_reserve_flat_scratch 0
		.amdhsa_float_round_mode_32 0
		.amdhsa_float_round_mode_16_64 0
		.amdhsa_float_denorm_mode_32 3
		.amdhsa_float_denorm_mode_16_64 3
		.amdhsa_dx10_clamp 1
		.amdhsa_ieee_mode 1
		.amdhsa_fp16_overflow 0
		.amdhsa_tg_split 0
		.amdhsa_exception_fp_ieee_invalid_op 0
		.amdhsa_exception_fp_denorm_src 0
		.amdhsa_exception_fp_ieee_div_zero 0
		.amdhsa_exception_fp_ieee_overflow 0
		.amdhsa_exception_fp_ieee_underflow 0
		.amdhsa_exception_fp_ieee_inexact 0
		.amdhsa_exception_int_div_zero 0
	.end_amdhsa_kernel
	.section	.text._ZN7rocprim17ROCPRIM_400000_NS6detail17trampoline_kernelINS0_14default_configENS1_20scan_config_selectorIjEEZZNS1_9scan_implILNS1_25lookback_scan_determinismE0ELb1ELb1ES3_N6thrust23THRUST_200600_302600_NS6detail15normal_iteratorINS9_10device_ptrIjEEEENS9_16discard_iteratorINS9_11use_defaultEEEj11max_functorIjEjEEDaPvRmT3_T4_T5_mT6_P12ihipStream_tbENKUlT_T0_E_clISt17integral_constantIbLb1EESX_EEDaSS_ST_EUlSS_E_NS1_11comp_targetILNS1_3genE8ELNS1_11target_archE1030ELNS1_3gpuE2ELNS1_3repE0EEENS1_30default_config_static_selectorELNS0_4arch9wavefront6targetE1EEEvT1_,"axG",@progbits,_ZN7rocprim17ROCPRIM_400000_NS6detail17trampoline_kernelINS0_14default_configENS1_20scan_config_selectorIjEEZZNS1_9scan_implILNS1_25lookback_scan_determinismE0ELb1ELb1ES3_N6thrust23THRUST_200600_302600_NS6detail15normal_iteratorINS9_10device_ptrIjEEEENS9_16discard_iteratorINS9_11use_defaultEEEj11max_functorIjEjEEDaPvRmT3_T4_T5_mT6_P12ihipStream_tbENKUlT_T0_E_clISt17integral_constantIbLb1EESX_EEDaSS_ST_EUlSS_E_NS1_11comp_targetILNS1_3genE8ELNS1_11target_archE1030ELNS1_3gpuE2ELNS1_3repE0EEENS1_30default_config_static_selectorELNS0_4arch9wavefront6targetE1EEEvT1_,comdat
.Lfunc_end3520:
	.size	_ZN7rocprim17ROCPRIM_400000_NS6detail17trampoline_kernelINS0_14default_configENS1_20scan_config_selectorIjEEZZNS1_9scan_implILNS1_25lookback_scan_determinismE0ELb1ELb1ES3_N6thrust23THRUST_200600_302600_NS6detail15normal_iteratorINS9_10device_ptrIjEEEENS9_16discard_iteratorINS9_11use_defaultEEEj11max_functorIjEjEEDaPvRmT3_T4_T5_mT6_P12ihipStream_tbENKUlT_T0_E_clISt17integral_constantIbLb1EESX_EEDaSS_ST_EUlSS_E_NS1_11comp_targetILNS1_3genE8ELNS1_11target_archE1030ELNS1_3gpuE2ELNS1_3repE0EEENS1_30default_config_static_selectorELNS0_4arch9wavefront6targetE1EEEvT1_, .Lfunc_end3520-_ZN7rocprim17ROCPRIM_400000_NS6detail17trampoline_kernelINS0_14default_configENS1_20scan_config_selectorIjEEZZNS1_9scan_implILNS1_25lookback_scan_determinismE0ELb1ELb1ES3_N6thrust23THRUST_200600_302600_NS6detail15normal_iteratorINS9_10device_ptrIjEEEENS9_16discard_iteratorINS9_11use_defaultEEEj11max_functorIjEjEEDaPvRmT3_T4_T5_mT6_P12ihipStream_tbENKUlT_T0_E_clISt17integral_constantIbLb1EESX_EEDaSS_ST_EUlSS_E_NS1_11comp_targetILNS1_3genE8ELNS1_11target_archE1030ELNS1_3gpuE2ELNS1_3repE0EEENS1_30default_config_static_selectorELNS0_4arch9wavefront6targetE1EEEvT1_
                                        ; -- End function
	.section	.AMDGPU.csdata,"",@progbits
; Kernel info:
; codeLenInByte = 0
; NumSgprs: 4
; NumVgprs: 0
; NumAgprs: 0
; TotalNumVgprs: 0
; ScratchSize: 0
; MemoryBound: 0
; FloatMode: 240
; IeeeMode: 1
; LDSByteSize: 0 bytes/workgroup (compile time only)
; SGPRBlocks: 0
; VGPRBlocks: 0
; NumSGPRsForWavesPerEU: 4
; NumVGPRsForWavesPerEU: 1
; AccumOffset: 4
; Occupancy: 8
; WaveLimiterHint : 0
; COMPUTE_PGM_RSRC2:SCRATCH_EN: 0
; COMPUTE_PGM_RSRC2:USER_SGPR: 6
; COMPUTE_PGM_RSRC2:TRAP_HANDLER: 0
; COMPUTE_PGM_RSRC2:TGID_X_EN: 1
; COMPUTE_PGM_RSRC2:TGID_Y_EN: 0
; COMPUTE_PGM_RSRC2:TGID_Z_EN: 0
; COMPUTE_PGM_RSRC2:TIDIG_COMP_CNT: 0
; COMPUTE_PGM_RSRC3_GFX90A:ACCUM_OFFSET: 0
; COMPUTE_PGM_RSRC3_GFX90A:TG_SPLIT: 0
	.section	.text._ZN7rocprim17ROCPRIM_400000_NS6detail17trampoline_kernelINS0_14default_configENS1_20scan_config_selectorIjEEZZNS1_9scan_implILNS1_25lookback_scan_determinismE0ELb1ELb1ES3_N6thrust23THRUST_200600_302600_NS6detail15normal_iteratorINS9_10device_ptrIjEEEENS9_16discard_iteratorINS9_11use_defaultEEEj11max_functorIjEjEEDaPvRmT3_T4_T5_mT6_P12ihipStream_tbENKUlT_T0_E_clISt17integral_constantIbLb1EESX_EEDaSS_ST_EUlSS_E0_NS1_11comp_targetILNS1_3genE0ELNS1_11target_archE4294967295ELNS1_3gpuE0ELNS1_3repE0EEENS1_30default_config_static_selectorELNS0_4arch9wavefront6targetE1EEEvT1_,"axG",@progbits,_ZN7rocprim17ROCPRIM_400000_NS6detail17trampoline_kernelINS0_14default_configENS1_20scan_config_selectorIjEEZZNS1_9scan_implILNS1_25lookback_scan_determinismE0ELb1ELb1ES3_N6thrust23THRUST_200600_302600_NS6detail15normal_iteratorINS9_10device_ptrIjEEEENS9_16discard_iteratorINS9_11use_defaultEEEj11max_functorIjEjEEDaPvRmT3_T4_T5_mT6_P12ihipStream_tbENKUlT_T0_E_clISt17integral_constantIbLb1EESX_EEDaSS_ST_EUlSS_E0_NS1_11comp_targetILNS1_3genE0ELNS1_11target_archE4294967295ELNS1_3gpuE0ELNS1_3repE0EEENS1_30default_config_static_selectorELNS0_4arch9wavefront6targetE1EEEvT1_,comdat
	.protected	_ZN7rocprim17ROCPRIM_400000_NS6detail17trampoline_kernelINS0_14default_configENS1_20scan_config_selectorIjEEZZNS1_9scan_implILNS1_25lookback_scan_determinismE0ELb1ELb1ES3_N6thrust23THRUST_200600_302600_NS6detail15normal_iteratorINS9_10device_ptrIjEEEENS9_16discard_iteratorINS9_11use_defaultEEEj11max_functorIjEjEEDaPvRmT3_T4_T5_mT6_P12ihipStream_tbENKUlT_T0_E_clISt17integral_constantIbLb1EESX_EEDaSS_ST_EUlSS_E0_NS1_11comp_targetILNS1_3genE0ELNS1_11target_archE4294967295ELNS1_3gpuE0ELNS1_3repE0EEENS1_30default_config_static_selectorELNS0_4arch9wavefront6targetE1EEEvT1_ ; -- Begin function _ZN7rocprim17ROCPRIM_400000_NS6detail17trampoline_kernelINS0_14default_configENS1_20scan_config_selectorIjEEZZNS1_9scan_implILNS1_25lookback_scan_determinismE0ELb1ELb1ES3_N6thrust23THRUST_200600_302600_NS6detail15normal_iteratorINS9_10device_ptrIjEEEENS9_16discard_iteratorINS9_11use_defaultEEEj11max_functorIjEjEEDaPvRmT3_T4_T5_mT6_P12ihipStream_tbENKUlT_T0_E_clISt17integral_constantIbLb1EESX_EEDaSS_ST_EUlSS_E0_NS1_11comp_targetILNS1_3genE0ELNS1_11target_archE4294967295ELNS1_3gpuE0ELNS1_3repE0EEENS1_30default_config_static_selectorELNS0_4arch9wavefront6targetE1EEEvT1_
	.globl	_ZN7rocprim17ROCPRIM_400000_NS6detail17trampoline_kernelINS0_14default_configENS1_20scan_config_selectorIjEEZZNS1_9scan_implILNS1_25lookback_scan_determinismE0ELb1ELb1ES3_N6thrust23THRUST_200600_302600_NS6detail15normal_iteratorINS9_10device_ptrIjEEEENS9_16discard_iteratorINS9_11use_defaultEEEj11max_functorIjEjEEDaPvRmT3_T4_T5_mT6_P12ihipStream_tbENKUlT_T0_E_clISt17integral_constantIbLb1EESX_EEDaSS_ST_EUlSS_E0_NS1_11comp_targetILNS1_3genE0ELNS1_11target_archE4294967295ELNS1_3gpuE0ELNS1_3repE0EEENS1_30default_config_static_selectorELNS0_4arch9wavefront6targetE1EEEvT1_
	.p2align	8
	.type	_ZN7rocprim17ROCPRIM_400000_NS6detail17trampoline_kernelINS0_14default_configENS1_20scan_config_selectorIjEEZZNS1_9scan_implILNS1_25lookback_scan_determinismE0ELb1ELb1ES3_N6thrust23THRUST_200600_302600_NS6detail15normal_iteratorINS9_10device_ptrIjEEEENS9_16discard_iteratorINS9_11use_defaultEEEj11max_functorIjEjEEDaPvRmT3_T4_T5_mT6_P12ihipStream_tbENKUlT_T0_E_clISt17integral_constantIbLb1EESX_EEDaSS_ST_EUlSS_E0_NS1_11comp_targetILNS1_3genE0ELNS1_11target_archE4294967295ELNS1_3gpuE0ELNS1_3repE0EEENS1_30default_config_static_selectorELNS0_4arch9wavefront6targetE1EEEvT1_,@function
_ZN7rocprim17ROCPRIM_400000_NS6detail17trampoline_kernelINS0_14default_configENS1_20scan_config_selectorIjEEZZNS1_9scan_implILNS1_25lookback_scan_determinismE0ELb1ELb1ES3_N6thrust23THRUST_200600_302600_NS6detail15normal_iteratorINS9_10device_ptrIjEEEENS9_16discard_iteratorINS9_11use_defaultEEEj11max_functorIjEjEEDaPvRmT3_T4_T5_mT6_P12ihipStream_tbENKUlT_T0_E_clISt17integral_constantIbLb1EESX_EEDaSS_ST_EUlSS_E0_NS1_11comp_targetILNS1_3genE0ELNS1_11target_archE4294967295ELNS1_3gpuE0ELNS1_3repE0EEENS1_30default_config_static_selectorELNS0_4arch9wavefront6targetE1EEEvT1_: ; @_ZN7rocprim17ROCPRIM_400000_NS6detail17trampoline_kernelINS0_14default_configENS1_20scan_config_selectorIjEEZZNS1_9scan_implILNS1_25lookback_scan_determinismE0ELb1ELb1ES3_N6thrust23THRUST_200600_302600_NS6detail15normal_iteratorINS9_10device_ptrIjEEEENS9_16discard_iteratorINS9_11use_defaultEEEj11max_functorIjEjEEDaPvRmT3_T4_T5_mT6_P12ihipStream_tbENKUlT_T0_E_clISt17integral_constantIbLb1EESX_EEDaSS_ST_EUlSS_E0_NS1_11comp_targetILNS1_3genE0ELNS1_11target_archE4294967295ELNS1_3gpuE0ELNS1_3repE0EEENS1_30default_config_static_selectorELNS0_4arch9wavefront6targetE1EEEvT1_
; %bb.0:
	.section	.rodata,"a",@progbits
	.p2align	6, 0x0
	.amdhsa_kernel _ZN7rocprim17ROCPRIM_400000_NS6detail17trampoline_kernelINS0_14default_configENS1_20scan_config_selectorIjEEZZNS1_9scan_implILNS1_25lookback_scan_determinismE0ELb1ELb1ES3_N6thrust23THRUST_200600_302600_NS6detail15normal_iteratorINS9_10device_ptrIjEEEENS9_16discard_iteratorINS9_11use_defaultEEEj11max_functorIjEjEEDaPvRmT3_T4_T5_mT6_P12ihipStream_tbENKUlT_T0_E_clISt17integral_constantIbLb1EESX_EEDaSS_ST_EUlSS_E0_NS1_11comp_targetILNS1_3genE0ELNS1_11target_archE4294967295ELNS1_3gpuE0ELNS1_3repE0EEENS1_30default_config_static_selectorELNS0_4arch9wavefront6targetE1EEEvT1_
		.amdhsa_group_segment_fixed_size 0
		.amdhsa_private_segment_fixed_size 0
		.amdhsa_kernarg_size 40
		.amdhsa_user_sgpr_count 6
		.amdhsa_user_sgpr_private_segment_buffer 1
		.amdhsa_user_sgpr_dispatch_ptr 0
		.amdhsa_user_sgpr_queue_ptr 0
		.amdhsa_user_sgpr_kernarg_segment_ptr 1
		.amdhsa_user_sgpr_dispatch_id 0
		.amdhsa_user_sgpr_flat_scratch_init 0
		.amdhsa_user_sgpr_kernarg_preload_length 0
		.amdhsa_user_sgpr_kernarg_preload_offset 0
		.amdhsa_user_sgpr_private_segment_size 0
		.amdhsa_uses_dynamic_stack 0
		.amdhsa_system_sgpr_private_segment_wavefront_offset 0
		.amdhsa_system_sgpr_workgroup_id_x 1
		.amdhsa_system_sgpr_workgroup_id_y 0
		.amdhsa_system_sgpr_workgroup_id_z 0
		.amdhsa_system_sgpr_workgroup_info 0
		.amdhsa_system_vgpr_workitem_id 0
		.amdhsa_next_free_vgpr 1
		.amdhsa_next_free_sgpr 0
		.amdhsa_accum_offset 4
		.amdhsa_reserve_vcc 0
		.amdhsa_reserve_flat_scratch 0
		.amdhsa_float_round_mode_32 0
		.amdhsa_float_round_mode_16_64 0
		.amdhsa_float_denorm_mode_32 3
		.amdhsa_float_denorm_mode_16_64 3
		.amdhsa_dx10_clamp 1
		.amdhsa_ieee_mode 1
		.amdhsa_fp16_overflow 0
		.amdhsa_tg_split 0
		.amdhsa_exception_fp_ieee_invalid_op 0
		.amdhsa_exception_fp_denorm_src 0
		.amdhsa_exception_fp_ieee_div_zero 0
		.amdhsa_exception_fp_ieee_overflow 0
		.amdhsa_exception_fp_ieee_underflow 0
		.amdhsa_exception_fp_ieee_inexact 0
		.amdhsa_exception_int_div_zero 0
	.end_amdhsa_kernel
	.section	.text._ZN7rocprim17ROCPRIM_400000_NS6detail17trampoline_kernelINS0_14default_configENS1_20scan_config_selectorIjEEZZNS1_9scan_implILNS1_25lookback_scan_determinismE0ELb1ELb1ES3_N6thrust23THRUST_200600_302600_NS6detail15normal_iteratorINS9_10device_ptrIjEEEENS9_16discard_iteratorINS9_11use_defaultEEEj11max_functorIjEjEEDaPvRmT3_T4_T5_mT6_P12ihipStream_tbENKUlT_T0_E_clISt17integral_constantIbLb1EESX_EEDaSS_ST_EUlSS_E0_NS1_11comp_targetILNS1_3genE0ELNS1_11target_archE4294967295ELNS1_3gpuE0ELNS1_3repE0EEENS1_30default_config_static_selectorELNS0_4arch9wavefront6targetE1EEEvT1_,"axG",@progbits,_ZN7rocprim17ROCPRIM_400000_NS6detail17trampoline_kernelINS0_14default_configENS1_20scan_config_selectorIjEEZZNS1_9scan_implILNS1_25lookback_scan_determinismE0ELb1ELb1ES3_N6thrust23THRUST_200600_302600_NS6detail15normal_iteratorINS9_10device_ptrIjEEEENS9_16discard_iteratorINS9_11use_defaultEEEj11max_functorIjEjEEDaPvRmT3_T4_T5_mT6_P12ihipStream_tbENKUlT_T0_E_clISt17integral_constantIbLb1EESX_EEDaSS_ST_EUlSS_E0_NS1_11comp_targetILNS1_3genE0ELNS1_11target_archE4294967295ELNS1_3gpuE0ELNS1_3repE0EEENS1_30default_config_static_selectorELNS0_4arch9wavefront6targetE1EEEvT1_,comdat
.Lfunc_end3521:
	.size	_ZN7rocprim17ROCPRIM_400000_NS6detail17trampoline_kernelINS0_14default_configENS1_20scan_config_selectorIjEEZZNS1_9scan_implILNS1_25lookback_scan_determinismE0ELb1ELb1ES3_N6thrust23THRUST_200600_302600_NS6detail15normal_iteratorINS9_10device_ptrIjEEEENS9_16discard_iteratorINS9_11use_defaultEEEj11max_functorIjEjEEDaPvRmT3_T4_T5_mT6_P12ihipStream_tbENKUlT_T0_E_clISt17integral_constantIbLb1EESX_EEDaSS_ST_EUlSS_E0_NS1_11comp_targetILNS1_3genE0ELNS1_11target_archE4294967295ELNS1_3gpuE0ELNS1_3repE0EEENS1_30default_config_static_selectorELNS0_4arch9wavefront6targetE1EEEvT1_, .Lfunc_end3521-_ZN7rocprim17ROCPRIM_400000_NS6detail17trampoline_kernelINS0_14default_configENS1_20scan_config_selectorIjEEZZNS1_9scan_implILNS1_25lookback_scan_determinismE0ELb1ELb1ES3_N6thrust23THRUST_200600_302600_NS6detail15normal_iteratorINS9_10device_ptrIjEEEENS9_16discard_iteratorINS9_11use_defaultEEEj11max_functorIjEjEEDaPvRmT3_T4_T5_mT6_P12ihipStream_tbENKUlT_T0_E_clISt17integral_constantIbLb1EESX_EEDaSS_ST_EUlSS_E0_NS1_11comp_targetILNS1_3genE0ELNS1_11target_archE4294967295ELNS1_3gpuE0ELNS1_3repE0EEENS1_30default_config_static_selectorELNS0_4arch9wavefront6targetE1EEEvT1_
                                        ; -- End function
	.section	.AMDGPU.csdata,"",@progbits
; Kernel info:
; codeLenInByte = 0
; NumSgprs: 4
; NumVgprs: 0
; NumAgprs: 0
; TotalNumVgprs: 0
; ScratchSize: 0
; MemoryBound: 0
; FloatMode: 240
; IeeeMode: 1
; LDSByteSize: 0 bytes/workgroup (compile time only)
; SGPRBlocks: 0
; VGPRBlocks: 0
; NumSGPRsForWavesPerEU: 4
; NumVGPRsForWavesPerEU: 1
; AccumOffset: 4
; Occupancy: 8
; WaveLimiterHint : 0
; COMPUTE_PGM_RSRC2:SCRATCH_EN: 0
; COMPUTE_PGM_RSRC2:USER_SGPR: 6
; COMPUTE_PGM_RSRC2:TRAP_HANDLER: 0
; COMPUTE_PGM_RSRC2:TGID_X_EN: 1
; COMPUTE_PGM_RSRC2:TGID_Y_EN: 0
; COMPUTE_PGM_RSRC2:TGID_Z_EN: 0
; COMPUTE_PGM_RSRC2:TIDIG_COMP_CNT: 0
; COMPUTE_PGM_RSRC3_GFX90A:ACCUM_OFFSET: 0
; COMPUTE_PGM_RSRC3_GFX90A:TG_SPLIT: 0
	.section	.text._ZN7rocprim17ROCPRIM_400000_NS6detail17trampoline_kernelINS0_14default_configENS1_20scan_config_selectorIjEEZZNS1_9scan_implILNS1_25lookback_scan_determinismE0ELb1ELb1ES3_N6thrust23THRUST_200600_302600_NS6detail15normal_iteratorINS9_10device_ptrIjEEEENS9_16discard_iteratorINS9_11use_defaultEEEj11max_functorIjEjEEDaPvRmT3_T4_T5_mT6_P12ihipStream_tbENKUlT_T0_E_clISt17integral_constantIbLb1EESX_EEDaSS_ST_EUlSS_E0_NS1_11comp_targetILNS1_3genE5ELNS1_11target_archE942ELNS1_3gpuE9ELNS1_3repE0EEENS1_30default_config_static_selectorELNS0_4arch9wavefront6targetE1EEEvT1_,"axG",@progbits,_ZN7rocprim17ROCPRIM_400000_NS6detail17trampoline_kernelINS0_14default_configENS1_20scan_config_selectorIjEEZZNS1_9scan_implILNS1_25lookback_scan_determinismE0ELb1ELb1ES3_N6thrust23THRUST_200600_302600_NS6detail15normal_iteratorINS9_10device_ptrIjEEEENS9_16discard_iteratorINS9_11use_defaultEEEj11max_functorIjEjEEDaPvRmT3_T4_T5_mT6_P12ihipStream_tbENKUlT_T0_E_clISt17integral_constantIbLb1EESX_EEDaSS_ST_EUlSS_E0_NS1_11comp_targetILNS1_3genE5ELNS1_11target_archE942ELNS1_3gpuE9ELNS1_3repE0EEENS1_30default_config_static_selectorELNS0_4arch9wavefront6targetE1EEEvT1_,comdat
	.protected	_ZN7rocprim17ROCPRIM_400000_NS6detail17trampoline_kernelINS0_14default_configENS1_20scan_config_selectorIjEEZZNS1_9scan_implILNS1_25lookback_scan_determinismE0ELb1ELb1ES3_N6thrust23THRUST_200600_302600_NS6detail15normal_iteratorINS9_10device_ptrIjEEEENS9_16discard_iteratorINS9_11use_defaultEEEj11max_functorIjEjEEDaPvRmT3_T4_T5_mT6_P12ihipStream_tbENKUlT_T0_E_clISt17integral_constantIbLb1EESX_EEDaSS_ST_EUlSS_E0_NS1_11comp_targetILNS1_3genE5ELNS1_11target_archE942ELNS1_3gpuE9ELNS1_3repE0EEENS1_30default_config_static_selectorELNS0_4arch9wavefront6targetE1EEEvT1_ ; -- Begin function _ZN7rocprim17ROCPRIM_400000_NS6detail17trampoline_kernelINS0_14default_configENS1_20scan_config_selectorIjEEZZNS1_9scan_implILNS1_25lookback_scan_determinismE0ELb1ELb1ES3_N6thrust23THRUST_200600_302600_NS6detail15normal_iteratorINS9_10device_ptrIjEEEENS9_16discard_iteratorINS9_11use_defaultEEEj11max_functorIjEjEEDaPvRmT3_T4_T5_mT6_P12ihipStream_tbENKUlT_T0_E_clISt17integral_constantIbLb1EESX_EEDaSS_ST_EUlSS_E0_NS1_11comp_targetILNS1_3genE5ELNS1_11target_archE942ELNS1_3gpuE9ELNS1_3repE0EEENS1_30default_config_static_selectorELNS0_4arch9wavefront6targetE1EEEvT1_
	.globl	_ZN7rocprim17ROCPRIM_400000_NS6detail17trampoline_kernelINS0_14default_configENS1_20scan_config_selectorIjEEZZNS1_9scan_implILNS1_25lookback_scan_determinismE0ELb1ELb1ES3_N6thrust23THRUST_200600_302600_NS6detail15normal_iteratorINS9_10device_ptrIjEEEENS9_16discard_iteratorINS9_11use_defaultEEEj11max_functorIjEjEEDaPvRmT3_T4_T5_mT6_P12ihipStream_tbENKUlT_T0_E_clISt17integral_constantIbLb1EESX_EEDaSS_ST_EUlSS_E0_NS1_11comp_targetILNS1_3genE5ELNS1_11target_archE942ELNS1_3gpuE9ELNS1_3repE0EEENS1_30default_config_static_selectorELNS0_4arch9wavefront6targetE1EEEvT1_
	.p2align	8
	.type	_ZN7rocprim17ROCPRIM_400000_NS6detail17trampoline_kernelINS0_14default_configENS1_20scan_config_selectorIjEEZZNS1_9scan_implILNS1_25lookback_scan_determinismE0ELb1ELb1ES3_N6thrust23THRUST_200600_302600_NS6detail15normal_iteratorINS9_10device_ptrIjEEEENS9_16discard_iteratorINS9_11use_defaultEEEj11max_functorIjEjEEDaPvRmT3_T4_T5_mT6_P12ihipStream_tbENKUlT_T0_E_clISt17integral_constantIbLb1EESX_EEDaSS_ST_EUlSS_E0_NS1_11comp_targetILNS1_3genE5ELNS1_11target_archE942ELNS1_3gpuE9ELNS1_3repE0EEENS1_30default_config_static_selectorELNS0_4arch9wavefront6targetE1EEEvT1_,@function
_ZN7rocprim17ROCPRIM_400000_NS6detail17trampoline_kernelINS0_14default_configENS1_20scan_config_selectorIjEEZZNS1_9scan_implILNS1_25lookback_scan_determinismE0ELb1ELb1ES3_N6thrust23THRUST_200600_302600_NS6detail15normal_iteratorINS9_10device_ptrIjEEEENS9_16discard_iteratorINS9_11use_defaultEEEj11max_functorIjEjEEDaPvRmT3_T4_T5_mT6_P12ihipStream_tbENKUlT_T0_E_clISt17integral_constantIbLb1EESX_EEDaSS_ST_EUlSS_E0_NS1_11comp_targetILNS1_3genE5ELNS1_11target_archE942ELNS1_3gpuE9ELNS1_3repE0EEENS1_30default_config_static_selectorELNS0_4arch9wavefront6targetE1EEEvT1_: ; @_ZN7rocprim17ROCPRIM_400000_NS6detail17trampoline_kernelINS0_14default_configENS1_20scan_config_selectorIjEEZZNS1_9scan_implILNS1_25lookback_scan_determinismE0ELb1ELb1ES3_N6thrust23THRUST_200600_302600_NS6detail15normal_iteratorINS9_10device_ptrIjEEEENS9_16discard_iteratorINS9_11use_defaultEEEj11max_functorIjEjEEDaPvRmT3_T4_T5_mT6_P12ihipStream_tbENKUlT_T0_E_clISt17integral_constantIbLb1EESX_EEDaSS_ST_EUlSS_E0_NS1_11comp_targetILNS1_3genE5ELNS1_11target_archE942ELNS1_3gpuE9ELNS1_3repE0EEENS1_30default_config_static_selectorELNS0_4arch9wavefront6targetE1EEEvT1_
; %bb.0:
	.section	.rodata,"a",@progbits
	.p2align	6, 0x0
	.amdhsa_kernel _ZN7rocprim17ROCPRIM_400000_NS6detail17trampoline_kernelINS0_14default_configENS1_20scan_config_selectorIjEEZZNS1_9scan_implILNS1_25lookback_scan_determinismE0ELb1ELb1ES3_N6thrust23THRUST_200600_302600_NS6detail15normal_iteratorINS9_10device_ptrIjEEEENS9_16discard_iteratorINS9_11use_defaultEEEj11max_functorIjEjEEDaPvRmT3_T4_T5_mT6_P12ihipStream_tbENKUlT_T0_E_clISt17integral_constantIbLb1EESX_EEDaSS_ST_EUlSS_E0_NS1_11comp_targetILNS1_3genE5ELNS1_11target_archE942ELNS1_3gpuE9ELNS1_3repE0EEENS1_30default_config_static_selectorELNS0_4arch9wavefront6targetE1EEEvT1_
		.amdhsa_group_segment_fixed_size 0
		.amdhsa_private_segment_fixed_size 0
		.amdhsa_kernarg_size 40
		.amdhsa_user_sgpr_count 6
		.amdhsa_user_sgpr_private_segment_buffer 1
		.amdhsa_user_sgpr_dispatch_ptr 0
		.amdhsa_user_sgpr_queue_ptr 0
		.amdhsa_user_sgpr_kernarg_segment_ptr 1
		.amdhsa_user_sgpr_dispatch_id 0
		.amdhsa_user_sgpr_flat_scratch_init 0
		.amdhsa_user_sgpr_kernarg_preload_length 0
		.amdhsa_user_sgpr_kernarg_preload_offset 0
		.amdhsa_user_sgpr_private_segment_size 0
		.amdhsa_uses_dynamic_stack 0
		.amdhsa_system_sgpr_private_segment_wavefront_offset 0
		.amdhsa_system_sgpr_workgroup_id_x 1
		.amdhsa_system_sgpr_workgroup_id_y 0
		.amdhsa_system_sgpr_workgroup_id_z 0
		.amdhsa_system_sgpr_workgroup_info 0
		.amdhsa_system_vgpr_workitem_id 0
		.amdhsa_next_free_vgpr 1
		.amdhsa_next_free_sgpr 0
		.amdhsa_accum_offset 4
		.amdhsa_reserve_vcc 0
		.amdhsa_reserve_flat_scratch 0
		.amdhsa_float_round_mode_32 0
		.amdhsa_float_round_mode_16_64 0
		.amdhsa_float_denorm_mode_32 3
		.amdhsa_float_denorm_mode_16_64 3
		.amdhsa_dx10_clamp 1
		.amdhsa_ieee_mode 1
		.amdhsa_fp16_overflow 0
		.amdhsa_tg_split 0
		.amdhsa_exception_fp_ieee_invalid_op 0
		.amdhsa_exception_fp_denorm_src 0
		.amdhsa_exception_fp_ieee_div_zero 0
		.amdhsa_exception_fp_ieee_overflow 0
		.amdhsa_exception_fp_ieee_underflow 0
		.amdhsa_exception_fp_ieee_inexact 0
		.amdhsa_exception_int_div_zero 0
	.end_amdhsa_kernel
	.section	.text._ZN7rocprim17ROCPRIM_400000_NS6detail17trampoline_kernelINS0_14default_configENS1_20scan_config_selectorIjEEZZNS1_9scan_implILNS1_25lookback_scan_determinismE0ELb1ELb1ES3_N6thrust23THRUST_200600_302600_NS6detail15normal_iteratorINS9_10device_ptrIjEEEENS9_16discard_iteratorINS9_11use_defaultEEEj11max_functorIjEjEEDaPvRmT3_T4_T5_mT6_P12ihipStream_tbENKUlT_T0_E_clISt17integral_constantIbLb1EESX_EEDaSS_ST_EUlSS_E0_NS1_11comp_targetILNS1_3genE5ELNS1_11target_archE942ELNS1_3gpuE9ELNS1_3repE0EEENS1_30default_config_static_selectorELNS0_4arch9wavefront6targetE1EEEvT1_,"axG",@progbits,_ZN7rocprim17ROCPRIM_400000_NS6detail17trampoline_kernelINS0_14default_configENS1_20scan_config_selectorIjEEZZNS1_9scan_implILNS1_25lookback_scan_determinismE0ELb1ELb1ES3_N6thrust23THRUST_200600_302600_NS6detail15normal_iteratorINS9_10device_ptrIjEEEENS9_16discard_iteratorINS9_11use_defaultEEEj11max_functorIjEjEEDaPvRmT3_T4_T5_mT6_P12ihipStream_tbENKUlT_T0_E_clISt17integral_constantIbLb1EESX_EEDaSS_ST_EUlSS_E0_NS1_11comp_targetILNS1_3genE5ELNS1_11target_archE942ELNS1_3gpuE9ELNS1_3repE0EEENS1_30default_config_static_selectorELNS0_4arch9wavefront6targetE1EEEvT1_,comdat
.Lfunc_end3522:
	.size	_ZN7rocprim17ROCPRIM_400000_NS6detail17trampoline_kernelINS0_14default_configENS1_20scan_config_selectorIjEEZZNS1_9scan_implILNS1_25lookback_scan_determinismE0ELb1ELb1ES3_N6thrust23THRUST_200600_302600_NS6detail15normal_iteratorINS9_10device_ptrIjEEEENS9_16discard_iteratorINS9_11use_defaultEEEj11max_functorIjEjEEDaPvRmT3_T4_T5_mT6_P12ihipStream_tbENKUlT_T0_E_clISt17integral_constantIbLb1EESX_EEDaSS_ST_EUlSS_E0_NS1_11comp_targetILNS1_3genE5ELNS1_11target_archE942ELNS1_3gpuE9ELNS1_3repE0EEENS1_30default_config_static_selectorELNS0_4arch9wavefront6targetE1EEEvT1_, .Lfunc_end3522-_ZN7rocprim17ROCPRIM_400000_NS6detail17trampoline_kernelINS0_14default_configENS1_20scan_config_selectorIjEEZZNS1_9scan_implILNS1_25lookback_scan_determinismE0ELb1ELb1ES3_N6thrust23THRUST_200600_302600_NS6detail15normal_iteratorINS9_10device_ptrIjEEEENS9_16discard_iteratorINS9_11use_defaultEEEj11max_functorIjEjEEDaPvRmT3_T4_T5_mT6_P12ihipStream_tbENKUlT_T0_E_clISt17integral_constantIbLb1EESX_EEDaSS_ST_EUlSS_E0_NS1_11comp_targetILNS1_3genE5ELNS1_11target_archE942ELNS1_3gpuE9ELNS1_3repE0EEENS1_30default_config_static_selectorELNS0_4arch9wavefront6targetE1EEEvT1_
                                        ; -- End function
	.section	.AMDGPU.csdata,"",@progbits
; Kernel info:
; codeLenInByte = 0
; NumSgprs: 4
; NumVgprs: 0
; NumAgprs: 0
; TotalNumVgprs: 0
; ScratchSize: 0
; MemoryBound: 0
; FloatMode: 240
; IeeeMode: 1
; LDSByteSize: 0 bytes/workgroup (compile time only)
; SGPRBlocks: 0
; VGPRBlocks: 0
; NumSGPRsForWavesPerEU: 4
; NumVGPRsForWavesPerEU: 1
; AccumOffset: 4
; Occupancy: 8
; WaveLimiterHint : 0
; COMPUTE_PGM_RSRC2:SCRATCH_EN: 0
; COMPUTE_PGM_RSRC2:USER_SGPR: 6
; COMPUTE_PGM_RSRC2:TRAP_HANDLER: 0
; COMPUTE_PGM_RSRC2:TGID_X_EN: 1
; COMPUTE_PGM_RSRC2:TGID_Y_EN: 0
; COMPUTE_PGM_RSRC2:TGID_Z_EN: 0
; COMPUTE_PGM_RSRC2:TIDIG_COMP_CNT: 0
; COMPUTE_PGM_RSRC3_GFX90A:ACCUM_OFFSET: 0
; COMPUTE_PGM_RSRC3_GFX90A:TG_SPLIT: 0
	.section	.text._ZN7rocprim17ROCPRIM_400000_NS6detail17trampoline_kernelINS0_14default_configENS1_20scan_config_selectorIjEEZZNS1_9scan_implILNS1_25lookback_scan_determinismE0ELb1ELb1ES3_N6thrust23THRUST_200600_302600_NS6detail15normal_iteratorINS9_10device_ptrIjEEEENS9_16discard_iteratorINS9_11use_defaultEEEj11max_functorIjEjEEDaPvRmT3_T4_T5_mT6_P12ihipStream_tbENKUlT_T0_E_clISt17integral_constantIbLb1EESX_EEDaSS_ST_EUlSS_E0_NS1_11comp_targetILNS1_3genE4ELNS1_11target_archE910ELNS1_3gpuE8ELNS1_3repE0EEENS1_30default_config_static_selectorELNS0_4arch9wavefront6targetE1EEEvT1_,"axG",@progbits,_ZN7rocprim17ROCPRIM_400000_NS6detail17trampoline_kernelINS0_14default_configENS1_20scan_config_selectorIjEEZZNS1_9scan_implILNS1_25lookback_scan_determinismE0ELb1ELb1ES3_N6thrust23THRUST_200600_302600_NS6detail15normal_iteratorINS9_10device_ptrIjEEEENS9_16discard_iteratorINS9_11use_defaultEEEj11max_functorIjEjEEDaPvRmT3_T4_T5_mT6_P12ihipStream_tbENKUlT_T0_E_clISt17integral_constantIbLb1EESX_EEDaSS_ST_EUlSS_E0_NS1_11comp_targetILNS1_3genE4ELNS1_11target_archE910ELNS1_3gpuE8ELNS1_3repE0EEENS1_30default_config_static_selectorELNS0_4arch9wavefront6targetE1EEEvT1_,comdat
	.protected	_ZN7rocprim17ROCPRIM_400000_NS6detail17trampoline_kernelINS0_14default_configENS1_20scan_config_selectorIjEEZZNS1_9scan_implILNS1_25lookback_scan_determinismE0ELb1ELb1ES3_N6thrust23THRUST_200600_302600_NS6detail15normal_iteratorINS9_10device_ptrIjEEEENS9_16discard_iteratorINS9_11use_defaultEEEj11max_functorIjEjEEDaPvRmT3_T4_T5_mT6_P12ihipStream_tbENKUlT_T0_E_clISt17integral_constantIbLb1EESX_EEDaSS_ST_EUlSS_E0_NS1_11comp_targetILNS1_3genE4ELNS1_11target_archE910ELNS1_3gpuE8ELNS1_3repE0EEENS1_30default_config_static_selectorELNS0_4arch9wavefront6targetE1EEEvT1_ ; -- Begin function _ZN7rocprim17ROCPRIM_400000_NS6detail17trampoline_kernelINS0_14default_configENS1_20scan_config_selectorIjEEZZNS1_9scan_implILNS1_25lookback_scan_determinismE0ELb1ELb1ES3_N6thrust23THRUST_200600_302600_NS6detail15normal_iteratorINS9_10device_ptrIjEEEENS9_16discard_iteratorINS9_11use_defaultEEEj11max_functorIjEjEEDaPvRmT3_T4_T5_mT6_P12ihipStream_tbENKUlT_T0_E_clISt17integral_constantIbLb1EESX_EEDaSS_ST_EUlSS_E0_NS1_11comp_targetILNS1_3genE4ELNS1_11target_archE910ELNS1_3gpuE8ELNS1_3repE0EEENS1_30default_config_static_selectorELNS0_4arch9wavefront6targetE1EEEvT1_
	.globl	_ZN7rocprim17ROCPRIM_400000_NS6detail17trampoline_kernelINS0_14default_configENS1_20scan_config_selectorIjEEZZNS1_9scan_implILNS1_25lookback_scan_determinismE0ELb1ELb1ES3_N6thrust23THRUST_200600_302600_NS6detail15normal_iteratorINS9_10device_ptrIjEEEENS9_16discard_iteratorINS9_11use_defaultEEEj11max_functorIjEjEEDaPvRmT3_T4_T5_mT6_P12ihipStream_tbENKUlT_T0_E_clISt17integral_constantIbLb1EESX_EEDaSS_ST_EUlSS_E0_NS1_11comp_targetILNS1_3genE4ELNS1_11target_archE910ELNS1_3gpuE8ELNS1_3repE0EEENS1_30default_config_static_selectorELNS0_4arch9wavefront6targetE1EEEvT1_
	.p2align	8
	.type	_ZN7rocprim17ROCPRIM_400000_NS6detail17trampoline_kernelINS0_14default_configENS1_20scan_config_selectorIjEEZZNS1_9scan_implILNS1_25lookback_scan_determinismE0ELb1ELb1ES3_N6thrust23THRUST_200600_302600_NS6detail15normal_iteratorINS9_10device_ptrIjEEEENS9_16discard_iteratorINS9_11use_defaultEEEj11max_functorIjEjEEDaPvRmT3_T4_T5_mT6_P12ihipStream_tbENKUlT_T0_E_clISt17integral_constantIbLb1EESX_EEDaSS_ST_EUlSS_E0_NS1_11comp_targetILNS1_3genE4ELNS1_11target_archE910ELNS1_3gpuE8ELNS1_3repE0EEENS1_30default_config_static_selectorELNS0_4arch9wavefront6targetE1EEEvT1_,@function
_ZN7rocprim17ROCPRIM_400000_NS6detail17trampoline_kernelINS0_14default_configENS1_20scan_config_selectorIjEEZZNS1_9scan_implILNS1_25lookback_scan_determinismE0ELb1ELb1ES3_N6thrust23THRUST_200600_302600_NS6detail15normal_iteratorINS9_10device_ptrIjEEEENS9_16discard_iteratorINS9_11use_defaultEEEj11max_functorIjEjEEDaPvRmT3_T4_T5_mT6_P12ihipStream_tbENKUlT_T0_E_clISt17integral_constantIbLb1EESX_EEDaSS_ST_EUlSS_E0_NS1_11comp_targetILNS1_3genE4ELNS1_11target_archE910ELNS1_3gpuE8ELNS1_3repE0EEENS1_30default_config_static_selectorELNS0_4arch9wavefront6targetE1EEEvT1_: ; @_ZN7rocprim17ROCPRIM_400000_NS6detail17trampoline_kernelINS0_14default_configENS1_20scan_config_selectorIjEEZZNS1_9scan_implILNS1_25lookback_scan_determinismE0ELb1ELb1ES3_N6thrust23THRUST_200600_302600_NS6detail15normal_iteratorINS9_10device_ptrIjEEEENS9_16discard_iteratorINS9_11use_defaultEEEj11max_functorIjEjEEDaPvRmT3_T4_T5_mT6_P12ihipStream_tbENKUlT_T0_E_clISt17integral_constantIbLb1EESX_EEDaSS_ST_EUlSS_E0_NS1_11comp_targetILNS1_3genE4ELNS1_11target_archE910ELNS1_3gpuE8ELNS1_3repE0EEENS1_30default_config_static_selectorELNS0_4arch9wavefront6targetE1EEEvT1_
; %bb.0:
	s_load_dwordx4 s[0:3], s[4:5], 0x0
	v_lshlrev_b32_e32 v1, 2, v0
	s_waitcnt lgkmcnt(0)
	s_load_dword s3, s[0:1], 0x0
	v_cmp_gt_u32_e32 vcc, s2, v0
	s_waitcnt lgkmcnt(0)
	v_mov_b32_e32 v2, s3
	s_and_saveexec_b64 s[6:7], vcc
	s_cbranch_execz .LBB3523_2
; %bb.1:
	global_load_dword v2, v1, s[0:1]
.LBB3523_2:
	s_or_b64 exec, exec, s[6:7]
	v_or_b32_e32 v3, 0x80, v0
	v_cmp_gt_u32_e32 vcc, s2, v3
	v_mov_b32_e32 v3, s3
	s_and_saveexec_b64 s[6:7], vcc
	s_cbranch_execz .LBB3523_4
; %bb.3:
	global_load_dword v3, v1, s[0:1] offset:512
.LBB3523_4:
	s_or_b64 exec, exec, s[6:7]
	v_or_b32_e32 v4, 0x100, v0
	v_cmp_gt_u32_e32 vcc, s2, v4
	v_mov_b32_e32 v4, s3
	s_and_saveexec_b64 s[6:7], vcc
	s_cbranch_execz .LBB3523_6
; %bb.5:
	global_load_dword v4, v1, s[0:1] offset:1024
.LBB3523_6:
	;; [unrolled: 9-line block ×7, first 2 shown]
	s_or_b64 exec, exec, s[6:7]
	v_or_b32_e32 v11, 0x400, v0
	v_cmp_gt_u32_e32 vcc, s2, v11
	v_mov_b32_e32 v10, s3
	s_and_saveexec_b64 s[6:7], vcc
	s_cbranch_execz .LBB3523_18
; %bb.17:
	v_lshlrev_b32_e32 v10, 2, v11
	global_load_dword v10, v10, s[0:1]
.LBB3523_18:
	s_or_b64 exec, exec, s[6:7]
	s_load_dword s4, s[4:5], 0x10
	v_or_b32_e32 v12, 0x480, v0
	v_cmp_gt_u32_e32 vcc, s2, v12
	v_mov_b32_e32 v11, s3
	s_and_saveexec_b64 s[2:3], vcc
	s_cbranch_execz .LBB3523_20
; %bb.19:
	v_lshlrev_b32_e32 v11, 2, v12
	global_load_dword v11, v11, s[0:1]
.LBB3523_20:
	s_or_b64 exec, exec, s[2:3]
	s_waitcnt vmcnt(0)
	ds_write2st64_b32 v1, v2, v3 offset1:2
	ds_write2st64_b32 v1, v4, v5 offset0:4 offset1:6
	ds_write2st64_b32 v1, v6, v7 offset0:8 offset1:10
	;; [unrolled: 1-line block ×4, first 2 shown]
	v_mad_u32_u24 v10, v0, 36, v1
	s_waitcnt lgkmcnt(0)
	s_barrier
	ds_read2_b64 v[6:9], v10 offset1:1
	ds_read2_b64 v[2:5], v10 offset0:2 offset1:3
	ds_read_b64 v[10:11], v10 offset:32
	v_cmp_gt_u32_e32 vcc, 64, v0
	s_waitcnt lgkmcnt(0)
	v_max_u32_e32 v12, v6, v7
	v_max3_u32 v12, v12, v8, v9
	v_max3_u32 v12, v12, v2, v3
	;; [unrolled: 1-line block ×4, first 2 shown]
	v_lshrrev_b32_e32 v12, 3, v0
	v_and_b32_e32 v12, 12, v12
	v_add_u32_e32 v12, v1, v12
	s_barrier
	ds_write_b32 v12, v11
	s_waitcnt lgkmcnt(0)
	s_barrier
	s_and_saveexec_b64 s[0:1], vcc
	s_cbranch_execz .LBB3523_22
; %bb.21:
	v_lshlrev_b32_e32 v12, 1, v0
	v_lshrrev_b32_e32 v13, 4, v0
	v_add_lshl_u32 v14, v13, v12, 2
	ds_read2_b32 v[12:13], v14 offset1:1
	v_mbcnt_lo_u32_b32 v15, -1, 0
	v_mbcnt_hi_u32_b32 v15, -1, v15
	v_and_b32_e32 v16, 15, v15
	v_cmp_eq_u32_e32 vcc, 0, v16
	s_waitcnt lgkmcnt(0)
	v_max_u32_e32 v13, v12, v13
	; wave barrier
	s_nop 1
	v_mov_b32_dpp v17, v13 row_shr:1 row_mask:0xf bank_mask:0xf
	v_max_u32_e32 v17, v17, v13
	v_cndmask_b32_e32 v13, v17, v13, vcc
	v_cmp_lt_u32_e32 vcc, 1, v16
	s_nop 0
	v_mov_b32_dpp v17, v13 row_shr:2 row_mask:0xf bank_mask:0xf
	v_max_u32_e32 v17, v17, v13
	v_cndmask_b32_e32 v13, v13, v17, vcc
	v_cmp_lt_u32_e32 vcc, 3, v16
	;; [unrolled: 5-line block ×3, first 2 shown]
	s_nop 0
	v_mov_b32_dpp v17, v13 row_shr:8 row_mask:0xf bank_mask:0xf
	v_max_u32_e32 v17, v17, v13
	v_cndmask_b32_e32 v13, v13, v17, vcc
	v_and_b32_e32 v17, 16, v15
	v_cmp_eq_u32_e32 vcc, 0, v17
	v_mov_b32_dpp v16, v13 row_bcast:15 row_mask:0xf bank_mask:0xf
	v_max_u32_e32 v16, v16, v13
	v_cndmask_b32_e32 v13, v16, v13, vcc
	v_cmp_lt_u32_e32 vcc, 31, v15
	v_and_b32_e32 v17, 64, v15
	v_mov_b32_dpp v16, v13 row_bcast:31 row_mask:0xf bank_mask:0xf
	v_max_u32_e32 v16, v16, v13
	v_cndmask_b32_e32 v13, v13, v16, vcc
	v_add_u32_e32 v16, -1, v15
	v_cmp_lt_i32_e32 vcc, v16, v17
	v_cndmask_b32_e32 v15, v16, v15, vcc
	v_lshlrev_b32_e32 v15, 2, v15
	ds_bpermute_b32 v13, v15, v13
	v_cmp_eq_u32_e32 vcc, 0, v0
	s_waitcnt lgkmcnt(0)
	v_max_u32_e32 v12, v13, v12
	v_cndmask_b32_e32 v11, v12, v11, vcc
	ds_write_b32 v14, v11
	; wave barrier
	ds_read_b32 v12, v14 offset:4
	s_waitcnt lgkmcnt(0)
	v_max_u32_e32 v11, v11, v12
	ds_write_b32 v14, v11 offset:4
.LBB3523_22:
	s_or_b64 exec, exec, s[0:1]
	v_mul_u32_u24_e32 v11, 36, v0
	v_cmp_ne_u32_e32 vcc, 0, v0
	v_mov_b32_e32 v12, s4
	s_waitcnt lgkmcnt(0)
	s_barrier
	s_and_saveexec_b64 s[0:1], vcc
	s_cbranch_execz .LBB3523_24
; %bb.23:
	v_add_u32_e32 v0, -1, v0
	v_lshrrev_b32_e32 v12, 5, v0
	v_add_lshl_u32 v0, v12, v0, 2
	ds_read_b32 v0, v0
	s_waitcnt lgkmcnt(0)
	v_max_u32_e32 v12, s4, v0
.LBB3523_24:
	s_or_b64 exec, exec, s[0:1]
	v_max_u32_e32 v13, v12, v6
	v_max_u32_e32 v6, v13, v7
	;; [unrolled: 1-line block ×8, first 2 shown]
	v_add_u32_e32 v0, v1, v11
	v_max_u32_e32 v5, v4, v10
	s_barrier
	ds_write2_b64 v0, v[12:13], v[6:7] offset1:1
	ds_write2_b64 v0, v[8:9], v[2:3] offset0:2 offset1:3
	ds_write_b64 v0, v[4:5] offset:32
	s_waitcnt lgkmcnt(0)
	s_barrier
	s_endpgm
	.section	.rodata,"a",@progbits
	.p2align	6, 0x0
	.amdhsa_kernel _ZN7rocprim17ROCPRIM_400000_NS6detail17trampoline_kernelINS0_14default_configENS1_20scan_config_selectorIjEEZZNS1_9scan_implILNS1_25lookback_scan_determinismE0ELb1ELb1ES3_N6thrust23THRUST_200600_302600_NS6detail15normal_iteratorINS9_10device_ptrIjEEEENS9_16discard_iteratorINS9_11use_defaultEEEj11max_functorIjEjEEDaPvRmT3_T4_T5_mT6_P12ihipStream_tbENKUlT_T0_E_clISt17integral_constantIbLb1EESX_EEDaSS_ST_EUlSS_E0_NS1_11comp_targetILNS1_3genE4ELNS1_11target_archE910ELNS1_3gpuE8ELNS1_3repE0EEENS1_30default_config_static_selectorELNS0_4arch9wavefront6targetE1EEEvT1_
		.amdhsa_group_segment_fixed_size 5120
		.amdhsa_private_segment_fixed_size 0
		.amdhsa_kernarg_size 40
		.amdhsa_user_sgpr_count 6
		.amdhsa_user_sgpr_private_segment_buffer 1
		.amdhsa_user_sgpr_dispatch_ptr 0
		.amdhsa_user_sgpr_queue_ptr 0
		.amdhsa_user_sgpr_kernarg_segment_ptr 1
		.amdhsa_user_sgpr_dispatch_id 0
		.amdhsa_user_sgpr_flat_scratch_init 0
		.amdhsa_user_sgpr_kernarg_preload_length 0
		.amdhsa_user_sgpr_kernarg_preload_offset 0
		.amdhsa_user_sgpr_private_segment_size 0
		.amdhsa_uses_dynamic_stack 0
		.amdhsa_system_sgpr_private_segment_wavefront_offset 0
		.amdhsa_system_sgpr_workgroup_id_x 1
		.amdhsa_system_sgpr_workgroup_id_y 0
		.amdhsa_system_sgpr_workgroup_id_z 0
		.amdhsa_system_sgpr_workgroup_info 0
		.amdhsa_system_vgpr_workitem_id 0
		.amdhsa_next_free_vgpr 18
		.amdhsa_next_free_sgpr 8
		.amdhsa_accum_offset 20
		.amdhsa_reserve_vcc 1
		.amdhsa_reserve_flat_scratch 0
		.amdhsa_float_round_mode_32 0
		.amdhsa_float_round_mode_16_64 0
		.amdhsa_float_denorm_mode_32 3
		.amdhsa_float_denorm_mode_16_64 3
		.amdhsa_dx10_clamp 1
		.amdhsa_ieee_mode 1
		.amdhsa_fp16_overflow 0
		.amdhsa_tg_split 0
		.amdhsa_exception_fp_ieee_invalid_op 0
		.amdhsa_exception_fp_denorm_src 0
		.amdhsa_exception_fp_ieee_div_zero 0
		.amdhsa_exception_fp_ieee_overflow 0
		.amdhsa_exception_fp_ieee_underflow 0
		.amdhsa_exception_fp_ieee_inexact 0
		.amdhsa_exception_int_div_zero 0
	.end_amdhsa_kernel
	.section	.text._ZN7rocprim17ROCPRIM_400000_NS6detail17trampoline_kernelINS0_14default_configENS1_20scan_config_selectorIjEEZZNS1_9scan_implILNS1_25lookback_scan_determinismE0ELb1ELb1ES3_N6thrust23THRUST_200600_302600_NS6detail15normal_iteratorINS9_10device_ptrIjEEEENS9_16discard_iteratorINS9_11use_defaultEEEj11max_functorIjEjEEDaPvRmT3_T4_T5_mT6_P12ihipStream_tbENKUlT_T0_E_clISt17integral_constantIbLb1EESX_EEDaSS_ST_EUlSS_E0_NS1_11comp_targetILNS1_3genE4ELNS1_11target_archE910ELNS1_3gpuE8ELNS1_3repE0EEENS1_30default_config_static_selectorELNS0_4arch9wavefront6targetE1EEEvT1_,"axG",@progbits,_ZN7rocprim17ROCPRIM_400000_NS6detail17trampoline_kernelINS0_14default_configENS1_20scan_config_selectorIjEEZZNS1_9scan_implILNS1_25lookback_scan_determinismE0ELb1ELb1ES3_N6thrust23THRUST_200600_302600_NS6detail15normal_iteratorINS9_10device_ptrIjEEEENS9_16discard_iteratorINS9_11use_defaultEEEj11max_functorIjEjEEDaPvRmT3_T4_T5_mT6_P12ihipStream_tbENKUlT_T0_E_clISt17integral_constantIbLb1EESX_EEDaSS_ST_EUlSS_E0_NS1_11comp_targetILNS1_3genE4ELNS1_11target_archE910ELNS1_3gpuE8ELNS1_3repE0EEENS1_30default_config_static_selectorELNS0_4arch9wavefront6targetE1EEEvT1_,comdat
.Lfunc_end3523:
	.size	_ZN7rocprim17ROCPRIM_400000_NS6detail17trampoline_kernelINS0_14default_configENS1_20scan_config_selectorIjEEZZNS1_9scan_implILNS1_25lookback_scan_determinismE0ELb1ELb1ES3_N6thrust23THRUST_200600_302600_NS6detail15normal_iteratorINS9_10device_ptrIjEEEENS9_16discard_iteratorINS9_11use_defaultEEEj11max_functorIjEjEEDaPvRmT3_T4_T5_mT6_P12ihipStream_tbENKUlT_T0_E_clISt17integral_constantIbLb1EESX_EEDaSS_ST_EUlSS_E0_NS1_11comp_targetILNS1_3genE4ELNS1_11target_archE910ELNS1_3gpuE8ELNS1_3repE0EEENS1_30default_config_static_selectorELNS0_4arch9wavefront6targetE1EEEvT1_, .Lfunc_end3523-_ZN7rocprim17ROCPRIM_400000_NS6detail17trampoline_kernelINS0_14default_configENS1_20scan_config_selectorIjEEZZNS1_9scan_implILNS1_25lookback_scan_determinismE0ELb1ELb1ES3_N6thrust23THRUST_200600_302600_NS6detail15normal_iteratorINS9_10device_ptrIjEEEENS9_16discard_iteratorINS9_11use_defaultEEEj11max_functorIjEjEEDaPvRmT3_T4_T5_mT6_P12ihipStream_tbENKUlT_T0_E_clISt17integral_constantIbLb1EESX_EEDaSS_ST_EUlSS_E0_NS1_11comp_targetILNS1_3genE4ELNS1_11target_archE910ELNS1_3gpuE8ELNS1_3repE0EEENS1_30default_config_static_selectorELNS0_4arch9wavefront6targetE1EEEvT1_
                                        ; -- End function
	.section	.AMDGPU.csdata,"",@progbits
; Kernel info:
; codeLenInByte = 980
; NumSgprs: 12
; NumVgprs: 18
; NumAgprs: 0
; TotalNumVgprs: 18
; ScratchSize: 0
; MemoryBound: 0
; FloatMode: 240
; IeeeMode: 1
; LDSByteSize: 5120 bytes/workgroup (compile time only)
; SGPRBlocks: 1
; VGPRBlocks: 2
; NumSGPRsForWavesPerEU: 12
; NumVGPRsForWavesPerEU: 18
; AccumOffset: 20
; Occupancy: 6
; WaveLimiterHint : 0
; COMPUTE_PGM_RSRC2:SCRATCH_EN: 0
; COMPUTE_PGM_RSRC2:USER_SGPR: 6
; COMPUTE_PGM_RSRC2:TRAP_HANDLER: 0
; COMPUTE_PGM_RSRC2:TGID_X_EN: 1
; COMPUTE_PGM_RSRC2:TGID_Y_EN: 0
; COMPUTE_PGM_RSRC2:TGID_Z_EN: 0
; COMPUTE_PGM_RSRC2:TIDIG_COMP_CNT: 0
; COMPUTE_PGM_RSRC3_GFX90A:ACCUM_OFFSET: 4
; COMPUTE_PGM_RSRC3_GFX90A:TG_SPLIT: 0
	.section	.text._ZN7rocprim17ROCPRIM_400000_NS6detail17trampoline_kernelINS0_14default_configENS1_20scan_config_selectorIjEEZZNS1_9scan_implILNS1_25lookback_scan_determinismE0ELb1ELb1ES3_N6thrust23THRUST_200600_302600_NS6detail15normal_iteratorINS9_10device_ptrIjEEEENS9_16discard_iteratorINS9_11use_defaultEEEj11max_functorIjEjEEDaPvRmT3_T4_T5_mT6_P12ihipStream_tbENKUlT_T0_E_clISt17integral_constantIbLb1EESX_EEDaSS_ST_EUlSS_E0_NS1_11comp_targetILNS1_3genE3ELNS1_11target_archE908ELNS1_3gpuE7ELNS1_3repE0EEENS1_30default_config_static_selectorELNS0_4arch9wavefront6targetE1EEEvT1_,"axG",@progbits,_ZN7rocprim17ROCPRIM_400000_NS6detail17trampoline_kernelINS0_14default_configENS1_20scan_config_selectorIjEEZZNS1_9scan_implILNS1_25lookback_scan_determinismE0ELb1ELb1ES3_N6thrust23THRUST_200600_302600_NS6detail15normal_iteratorINS9_10device_ptrIjEEEENS9_16discard_iteratorINS9_11use_defaultEEEj11max_functorIjEjEEDaPvRmT3_T4_T5_mT6_P12ihipStream_tbENKUlT_T0_E_clISt17integral_constantIbLb1EESX_EEDaSS_ST_EUlSS_E0_NS1_11comp_targetILNS1_3genE3ELNS1_11target_archE908ELNS1_3gpuE7ELNS1_3repE0EEENS1_30default_config_static_selectorELNS0_4arch9wavefront6targetE1EEEvT1_,comdat
	.protected	_ZN7rocprim17ROCPRIM_400000_NS6detail17trampoline_kernelINS0_14default_configENS1_20scan_config_selectorIjEEZZNS1_9scan_implILNS1_25lookback_scan_determinismE0ELb1ELb1ES3_N6thrust23THRUST_200600_302600_NS6detail15normal_iteratorINS9_10device_ptrIjEEEENS9_16discard_iteratorINS9_11use_defaultEEEj11max_functorIjEjEEDaPvRmT3_T4_T5_mT6_P12ihipStream_tbENKUlT_T0_E_clISt17integral_constantIbLb1EESX_EEDaSS_ST_EUlSS_E0_NS1_11comp_targetILNS1_3genE3ELNS1_11target_archE908ELNS1_3gpuE7ELNS1_3repE0EEENS1_30default_config_static_selectorELNS0_4arch9wavefront6targetE1EEEvT1_ ; -- Begin function _ZN7rocprim17ROCPRIM_400000_NS6detail17trampoline_kernelINS0_14default_configENS1_20scan_config_selectorIjEEZZNS1_9scan_implILNS1_25lookback_scan_determinismE0ELb1ELb1ES3_N6thrust23THRUST_200600_302600_NS6detail15normal_iteratorINS9_10device_ptrIjEEEENS9_16discard_iteratorINS9_11use_defaultEEEj11max_functorIjEjEEDaPvRmT3_T4_T5_mT6_P12ihipStream_tbENKUlT_T0_E_clISt17integral_constantIbLb1EESX_EEDaSS_ST_EUlSS_E0_NS1_11comp_targetILNS1_3genE3ELNS1_11target_archE908ELNS1_3gpuE7ELNS1_3repE0EEENS1_30default_config_static_selectorELNS0_4arch9wavefront6targetE1EEEvT1_
	.globl	_ZN7rocprim17ROCPRIM_400000_NS6detail17trampoline_kernelINS0_14default_configENS1_20scan_config_selectorIjEEZZNS1_9scan_implILNS1_25lookback_scan_determinismE0ELb1ELb1ES3_N6thrust23THRUST_200600_302600_NS6detail15normal_iteratorINS9_10device_ptrIjEEEENS9_16discard_iteratorINS9_11use_defaultEEEj11max_functorIjEjEEDaPvRmT3_T4_T5_mT6_P12ihipStream_tbENKUlT_T0_E_clISt17integral_constantIbLb1EESX_EEDaSS_ST_EUlSS_E0_NS1_11comp_targetILNS1_3genE3ELNS1_11target_archE908ELNS1_3gpuE7ELNS1_3repE0EEENS1_30default_config_static_selectorELNS0_4arch9wavefront6targetE1EEEvT1_
	.p2align	8
	.type	_ZN7rocprim17ROCPRIM_400000_NS6detail17trampoline_kernelINS0_14default_configENS1_20scan_config_selectorIjEEZZNS1_9scan_implILNS1_25lookback_scan_determinismE0ELb1ELb1ES3_N6thrust23THRUST_200600_302600_NS6detail15normal_iteratorINS9_10device_ptrIjEEEENS9_16discard_iteratorINS9_11use_defaultEEEj11max_functorIjEjEEDaPvRmT3_T4_T5_mT6_P12ihipStream_tbENKUlT_T0_E_clISt17integral_constantIbLb1EESX_EEDaSS_ST_EUlSS_E0_NS1_11comp_targetILNS1_3genE3ELNS1_11target_archE908ELNS1_3gpuE7ELNS1_3repE0EEENS1_30default_config_static_selectorELNS0_4arch9wavefront6targetE1EEEvT1_,@function
_ZN7rocprim17ROCPRIM_400000_NS6detail17trampoline_kernelINS0_14default_configENS1_20scan_config_selectorIjEEZZNS1_9scan_implILNS1_25lookback_scan_determinismE0ELb1ELb1ES3_N6thrust23THRUST_200600_302600_NS6detail15normal_iteratorINS9_10device_ptrIjEEEENS9_16discard_iteratorINS9_11use_defaultEEEj11max_functorIjEjEEDaPvRmT3_T4_T5_mT6_P12ihipStream_tbENKUlT_T0_E_clISt17integral_constantIbLb1EESX_EEDaSS_ST_EUlSS_E0_NS1_11comp_targetILNS1_3genE3ELNS1_11target_archE908ELNS1_3gpuE7ELNS1_3repE0EEENS1_30default_config_static_selectorELNS0_4arch9wavefront6targetE1EEEvT1_: ; @_ZN7rocprim17ROCPRIM_400000_NS6detail17trampoline_kernelINS0_14default_configENS1_20scan_config_selectorIjEEZZNS1_9scan_implILNS1_25lookback_scan_determinismE0ELb1ELb1ES3_N6thrust23THRUST_200600_302600_NS6detail15normal_iteratorINS9_10device_ptrIjEEEENS9_16discard_iteratorINS9_11use_defaultEEEj11max_functorIjEjEEDaPvRmT3_T4_T5_mT6_P12ihipStream_tbENKUlT_T0_E_clISt17integral_constantIbLb1EESX_EEDaSS_ST_EUlSS_E0_NS1_11comp_targetILNS1_3genE3ELNS1_11target_archE908ELNS1_3gpuE7ELNS1_3repE0EEENS1_30default_config_static_selectorELNS0_4arch9wavefront6targetE1EEEvT1_
; %bb.0:
	.section	.rodata,"a",@progbits
	.p2align	6, 0x0
	.amdhsa_kernel _ZN7rocprim17ROCPRIM_400000_NS6detail17trampoline_kernelINS0_14default_configENS1_20scan_config_selectorIjEEZZNS1_9scan_implILNS1_25lookback_scan_determinismE0ELb1ELb1ES3_N6thrust23THRUST_200600_302600_NS6detail15normal_iteratorINS9_10device_ptrIjEEEENS9_16discard_iteratorINS9_11use_defaultEEEj11max_functorIjEjEEDaPvRmT3_T4_T5_mT6_P12ihipStream_tbENKUlT_T0_E_clISt17integral_constantIbLb1EESX_EEDaSS_ST_EUlSS_E0_NS1_11comp_targetILNS1_3genE3ELNS1_11target_archE908ELNS1_3gpuE7ELNS1_3repE0EEENS1_30default_config_static_selectorELNS0_4arch9wavefront6targetE1EEEvT1_
		.amdhsa_group_segment_fixed_size 0
		.amdhsa_private_segment_fixed_size 0
		.amdhsa_kernarg_size 40
		.amdhsa_user_sgpr_count 6
		.amdhsa_user_sgpr_private_segment_buffer 1
		.amdhsa_user_sgpr_dispatch_ptr 0
		.amdhsa_user_sgpr_queue_ptr 0
		.amdhsa_user_sgpr_kernarg_segment_ptr 1
		.amdhsa_user_sgpr_dispatch_id 0
		.amdhsa_user_sgpr_flat_scratch_init 0
		.amdhsa_user_sgpr_kernarg_preload_length 0
		.amdhsa_user_sgpr_kernarg_preload_offset 0
		.amdhsa_user_sgpr_private_segment_size 0
		.amdhsa_uses_dynamic_stack 0
		.amdhsa_system_sgpr_private_segment_wavefront_offset 0
		.amdhsa_system_sgpr_workgroup_id_x 1
		.amdhsa_system_sgpr_workgroup_id_y 0
		.amdhsa_system_sgpr_workgroup_id_z 0
		.amdhsa_system_sgpr_workgroup_info 0
		.amdhsa_system_vgpr_workitem_id 0
		.amdhsa_next_free_vgpr 1
		.amdhsa_next_free_sgpr 0
		.amdhsa_accum_offset 4
		.amdhsa_reserve_vcc 0
		.amdhsa_reserve_flat_scratch 0
		.amdhsa_float_round_mode_32 0
		.amdhsa_float_round_mode_16_64 0
		.amdhsa_float_denorm_mode_32 3
		.amdhsa_float_denorm_mode_16_64 3
		.amdhsa_dx10_clamp 1
		.amdhsa_ieee_mode 1
		.amdhsa_fp16_overflow 0
		.amdhsa_tg_split 0
		.amdhsa_exception_fp_ieee_invalid_op 0
		.amdhsa_exception_fp_denorm_src 0
		.amdhsa_exception_fp_ieee_div_zero 0
		.amdhsa_exception_fp_ieee_overflow 0
		.amdhsa_exception_fp_ieee_underflow 0
		.amdhsa_exception_fp_ieee_inexact 0
		.amdhsa_exception_int_div_zero 0
	.end_amdhsa_kernel
	.section	.text._ZN7rocprim17ROCPRIM_400000_NS6detail17trampoline_kernelINS0_14default_configENS1_20scan_config_selectorIjEEZZNS1_9scan_implILNS1_25lookback_scan_determinismE0ELb1ELb1ES3_N6thrust23THRUST_200600_302600_NS6detail15normal_iteratorINS9_10device_ptrIjEEEENS9_16discard_iteratorINS9_11use_defaultEEEj11max_functorIjEjEEDaPvRmT3_T4_T5_mT6_P12ihipStream_tbENKUlT_T0_E_clISt17integral_constantIbLb1EESX_EEDaSS_ST_EUlSS_E0_NS1_11comp_targetILNS1_3genE3ELNS1_11target_archE908ELNS1_3gpuE7ELNS1_3repE0EEENS1_30default_config_static_selectorELNS0_4arch9wavefront6targetE1EEEvT1_,"axG",@progbits,_ZN7rocprim17ROCPRIM_400000_NS6detail17trampoline_kernelINS0_14default_configENS1_20scan_config_selectorIjEEZZNS1_9scan_implILNS1_25lookback_scan_determinismE0ELb1ELb1ES3_N6thrust23THRUST_200600_302600_NS6detail15normal_iteratorINS9_10device_ptrIjEEEENS9_16discard_iteratorINS9_11use_defaultEEEj11max_functorIjEjEEDaPvRmT3_T4_T5_mT6_P12ihipStream_tbENKUlT_T0_E_clISt17integral_constantIbLb1EESX_EEDaSS_ST_EUlSS_E0_NS1_11comp_targetILNS1_3genE3ELNS1_11target_archE908ELNS1_3gpuE7ELNS1_3repE0EEENS1_30default_config_static_selectorELNS0_4arch9wavefront6targetE1EEEvT1_,comdat
.Lfunc_end3524:
	.size	_ZN7rocprim17ROCPRIM_400000_NS6detail17trampoline_kernelINS0_14default_configENS1_20scan_config_selectorIjEEZZNS1_9scan_implILNS1_25lookback_scan_determinismE0ELb1ELb1ES3_N6thrust23THRUST_200600_302600_NS6detail15normal_iteratorINS9_10device_ptrIjEEEENS9_16discard_iteratorINS9_11use_defaultEEEj11max_functorIjEjEEDaPvRmT3_T4_T5_mT6_P12ihipStream_tbENKUlT_T0_E_clISt17integral_constantIbLb1EESX_EEDaSS_ST_EUlSS_E0_NS1_11comp_targetILNS1_3genE3ELNS1_11target_archE908ELNS1_3gpuE7ELNS1_3repE0EEENS1_30default_config_static_selectorELNS0_4arch9wavefront6targetE1EEEvT1_, .Lfunc_end3524-_ZN7rocprim17ROCPRIM_400000_NS6detail17trampoline_kernelINS0_14default_configENS1_20scan_config_selectorIjEEZZNS1_9scan_implILNS1_25lookback_scan_determinismE0ELb1ELb1ES3_N6thrust23THRUST_200600_302600_NS6detail15normal_iteratorINS9_10device_ptrIjEEEENS9_16discard_iteratorINS9_11use_defaultEEEj11max_functorIjEjEEDaPvRmT3_T4_T5_mT6_P12ihipStream_tbENKUlT_T0_E_clISt17integral_constantIbLb1EESX_EEDaSS_ST_EUlSS_E0_NS1_11comp_targetILNS1_3genE3ELNS1_11target_archE908ELNS1_3gpuE7ELNS1_3repE0EEENS1_30default_config_static_selectorELNS0_4arch9wavefront6targetE1EEEvT1_
                                        ; -- End function
	.section	.AMDGPU.csdata,"",@progbits
; Kernel info:
; codeLenInByte = 0
; NumSgprs: 4
; NumVgprs: 0
; NumAgprs: 0
; TotalNumVgprs: 0
; ScratchSize: 0
; MemoryBound: 0
; FloatMode: 240
; IeeeMode: 1
; LDSByteSize: 0 bytes/workgroup (compile time only)
; SGPRBlocks: 0
; VGPRBlocks: 0
; NumSGPRsForWavesPerEU: 4
; NumVGPRsForWavesPerEU: 1
; AccumOffset: 4
; Occupancy: 8
; WaveLimiterHint : 0
; COMPUTE_PGM_RSRC2:SCRATCH_EN: 0
; COMPUTE_PGM_RSRC2:USER_SGPR: 6
; COMPUTE_PGM_RSRC2:TRAP_HANDLER: 0
; COMPUTE_PGM_RSRC2:TGID_X_EN: 1
; COMPUTE_PGM_RSRC2:TGID_Y_EN: 0
; COMPUTE_PGM_RSRC2:TGID_Z_EN: 0
; COMPUTE_PGM_RSRC2:TIDIG_COMP_CNT: 0
; COMPUTE_PGM_RSRC3_GFX90A:ACCUM_OFFSET: 0
; COMPUTE_PGM_RSRC3_GFX90A:TG_SPLIT: 0
	.section	.text._ZN7rocprim17ROCPRIM_400000_NS6detail17trampoline_kernelINS0_14default_configENS1_20scan_config_selectorIjEEZZNS1_9scan_implILNS1_25lookback_scan_determinismE0ELb1ELb1ES3_N6thrust23THRUST_200600_302600_NS6detail15normal_iteratorINS9_10device_ptrIjEEEENS9_16discard_iteratorINS9_11use_defaultEEEj11max_functorIjEjEEDaPvRmT3_T4_T5_mT6_P12ihipStream_tbENKUlT_T0_E_clISt17integral_constantIbLb1EESX_EEDaSS_ST_EUlSS_E0_NS1_11comp_targetILNS1_3genE2ELNS1_11target_archE906ELNS1_3gpuE6ELNS1_3repE0EEENS1_30default_config_static_selectorELNS0_4arch9wavefront6targetE1EEEvT1_,"axG",@progbits,_ZN7rocprim17ROCPRIM_400000_NS6detail17trampoline_kernelINS0_14default_configENS1_20scan_config_selectorIjEEZZNS1_9scan_implILNS1_25lookback_scan_determinismE0ELb1ELb1ES3_N6thrust23THRUST_200600_302600_NS6detail15normal_iteratorINS9_10device_ptrIjEEEENS9_16discard_iteratorINS9_11use_defaultEEEj11max_functorIjEjEEDaPvRmT3_T4_T5_mT6_P12ihipStream_tbENKUlT_T0_E_clISt17integral_constantIbLb1EESX_EEDaSS_ST_EUlSS_E0_NS1_11comp_targetILNS1_3genE2ELNS1_11target_archE906ELNS1_3gpuE6ELNS1_3repE0EEENS1_30default_config_static_selectorELNS0_4arch9wavefront6targetE1EEEvT1_,comdat
	.protected	_ZN7rocprim17ROCPRIM_400000_NS6detail17trampoline_kernelINS0_14default_configENS1_20scan_config_selectorIjEEZZNS1_9scan_implILNS1_25lookback_scan_determinismE0ELb1ELb1ES3_N6thrust23THRUST_200600_302600_NS6detail15normal_iteratorINS9_10device_ptrIjEEEENS9_16discard_iteratorINS9_11use_defaultEEEj11max_functorIjEjEEDaPvRmT3_T4_T5_mT6_P12ihipStream_tbENKUlT_T0_E_clISt17integral_constantIbLb1EESX_EEDaSS_ST_EUlSS_E0_NS1_11comp_targetILNS1_3genE2ELNS1_11target_archE906ELNS1_3gpuE6ELNS1_3repE0EEENS1_30default_config_static_selectorELNS0_4arch9wavefront6targetE1EEEvT1_ ; -- Begin function _ZN7rocprim17ROCPRIM_400000_NS6detail17trampoline_kernelINS0_14default_configENS1_20scan_config_selectorIjEEZZNS1_9scan_implILNS1_25lookback_scan_determinismE0ELb1ELb1ES3_N6thrust23THRUST_200600_302600_NS6detail15normal_iteratorINS9_10device_ptrIjEEEENS9_16discard_iteratorINS9_11use_defaultEEEj11max_functorIjEjEEDaPvRmT3_T4_T5_mT6_P12ihipStream_tbENKUlT_T0_E_clISt17integral_constantIbLb1EESX_EEDaSS_ST_EUlSS_E0_NS1_11comp_targetILNS1_3genE2ELNS1_11target_archE906ELNS1_3gpuE6ELNS1_3repE0EEENS1_30default_config_static_selectorELNS0_4arch9wavefront6targetE1EEEvT1_
	.globl	_ZN7rocprim17ROCPRIM_400000_NS6detail17trampoline_kernelINS0_14default_configENS1_20scan_config_selectorIjEEZZNS1_9scan_implILNS1_25lookback_scan_determinismE0ELb1ELb1ES3_N6thrust23THRUST_200600_302600_NS6detail15normal_iteratorINS9_10device_ptrIjEEEENS9_16discard_iteratorINS9_11use_defaultEEEj11max_functorIjEjEEDaPvRmT3_T4_T5_mT6_P12ihipStream_tbENKUlT_T0_E_clISt17integral_constantIbLb1EESX_EEDaSS_ST_EUlSS_E0_NS1_11comp_targetILNS1_3genE2ELNS1_11target_archE906ELNS1_3gpuE6ELNS1_3repE0EEENS1_30default_config_static_selectorELNS0_4arch9wavefront6targetE1EEEvT1_
	.p2align	8
	.type	_ZN7rocprim17ROCPRIM_400000_NS6detail17trampoline_kernelINS0_14default_configENS1_20scan_config_selectorIjEEZZNS1_9scan_implILNS1_25lookback_scan_determinismE0ELb1ELb1ES3_N6thrust23THRUST_200600_302600_NS6detail15normal_iteratorINS9_10device_ptrIjEEEENS9_16discard_iteratorINS9_11use_defaultEEEj11max_functorIjEjEEDaPvRmT3_T4_T5_mT6_P12ihipStream_tbENKUlT_T0_E_clISt17integral_constantIbLb1EESX_EEDaSS_ST_EUlSS_E0_NS1_11comp_targetILNS1_3genE2ELNS1_11target_archE906ELNS1_3gpuE6ELNS1_3repE0EEENS1_30default_config_static_selectorELNS0_4arch9wavefront6targetE1EEEvT1_,@function
_ZN7rocprim17ROCPRIM_400000_NS6detail17trampoline_kernelINS0_14default_configENS1_20scan_config_selectorIjEEZZNS1_9scan_implILNS1_25lookback_scan_determinismE0ELb1ELb1ES3_N6thrust23THRUST_200600_302600_NS6detail15normal_iteratorINS9_10device_ptrIjEEEENS9_16discard_iteratorINS9_11use_defaultEEEj11max_functorIjEjEEDaPvRmT3_T4_T5_mT6_P12ihipStream_tbENKUlT_T0_E_clISt17integral_constantIbLb1EESX_EEDaSS_ST_EUlSS_E0_NS1_11comp_targetILNS1_3genE2ELNS1_11target_archE906ELNS1_3gpuE6ELNS1_3repE0EEENS1_30default_config_static_selectorELNS0_4arch9wavefront6targetE1EEEvT1_: ; @_ZN7rocprim17ROCPRIM_400000_NS6detail17trampoline_kernelINS0_14default_configENS1_20scan_config_selectorIjEEZZNS1_9scan_implILNS1_25lookback_scan_determinismE0ELb1ELb1ES3_N6thrust23THRUST_200600_302600_NS6detail15normal_iteratorINS9_10device_ptrIjEEEENS9_16discard_iteratorINS9_11use_defaultEEEj11max_functorIjEjEEDaPvRmT3_T4_T5_mT6_P12ihipStream_tbENKUlT_T0_E_clISt17integral_constantIbLb1EESX_EEDaSS_ST_EUlSS_E0_NS1_11comp_targetILNS1_3genE2ELNS1_11target_archE906ELNS1_3gpuE6ELNS1_3repE0EEENS1_30default_config_static_selectorELNS0_4arch9wavefront6targetE1EEEvT1_
; %bb.0:
	.section	.rodata,"a",@progbits
	.p2align	6, 0x0
	.amdhsa_kernel _ZN7rocprim17ROCPRIM_400000_NS6detail17trampoline_kernelINS0_14default_configENS1_20scan_config_selectorIjEEZZNS1_9scan_implILNS1_25lookback_scan_determinismE0ELb1ELb1ES3_N6thrust23THRUST_200600_302600_NS6detail15normal_iteratorINS9_10device_ptrIjEEEENS9_16discard_iteratorINS9_11use_defaultEEEj11max_functorIjEjEEDaPvRmT3_T4_T5_mT6_P12ihipStream_tbENKUlT_T0_E_clISt17integral_constantIbLb1EESX_EEDaSS_ST_EUlSS_E0_NS1_11comp_targetILNS1_3genE2ELNS1_11target_archE906ELNS1_3gpuE6ELNS1_3repE0EEENS1_30default_config_static_selectorELNS0_4arch9wavefront6targetE1EEEvT1_
		.amdhsa_group_segment_fixed_size 0
		.amdhsa_private_segment_fixed_size 0
		.amdhsa_kernarg_size 40
		.amdhsa_user_sgpr_count 6
		.amdhsa_user_sgpr_private_segment_buffer 1
		.amdhsa_user_sgpr_dispatch_ptr 0
		.amdhsa_user_sgpr_queue_ptr 0
		.amdhsa_user_sgpr_kernarg_segment_ptr 1
		.amdhsa_user_sgpr_dispatch_id 0
		.amdhsa_user_sgpr_flat_scratch_init 0
		.amdhsa_user_sgpr_kernarg_preload_length 0
		.amdhsa_user_sgpr_kernarg_preload_offset 0
		.amdhsa_user_sgpr_private_segment_size 0
		.amdhsa_uses_dynamic_stack 0
		.amdhsa_system_sgpr_private_segment_wavefront_offset 0
		.amdhsa_system_sgpr_workgroup_id_x 1
		.amdhsa_system_sgpr_workgroup_id_y 0
		.amdhsa_system_sgpr_workgroup_id_z 0
		.amdhsa_system_sgpr_workgroup_info 0
		.amdhsa_system_vgpr_workitem_id 0
		.amdhsa_next_free_vgpr 1
		.amdhsa_next_free_sgpr 0
		.amdhsa_accum_offset 4
		.amdhsa_reserve_vcc 0
		.amdhsa_reserve_flat_scratch 0
		.amdhsa_float_round_mode_32 0
		.amdhsa_float_round_mode_16_64 0
		.amdhsa_float_denorm_mode_32 3
		.amdhsa_float_denorm_mode_16_64 3
		.amdhsa_dx10_clamp 1
		.amdhsa_ieee_mode 1
		.amdhsa_fp16_overflow 0
		.amdhsa_tg_split 0
		.amdhsa_exception_fp_ieee_invalid_op 0
		.amdhsa_exception_fp_denorm_src 0
		.amdhsa_exception_fp_ieee_div_zero 0
		.amdhsa_exception_fp_ieee_overflow 0
		.amdhsa_exception_fp_ieee_underflow 0
		.amdhsa_exception_fp_ieee_inexact 0
		.amdhsa_exception_int_div_zero 0
	.end_amdhsa_kernel
	.section	.text._ZN7rocprim17ROCPRIM_400000_NS6detail17trampoline_kernelINS0_14default_configENS1_20scan_config_selectorIjEEZZNS1_9scan_implILNS1_25lookback_scan_determinismE0ELb1ELb1ES3_N6thrust23THRUST_200600_302600_NS6detail15normal_iteratorINS9_10device_ptrIjEEEENS9_16discard_iteratorINS9_11use_defaultEEEj11max_functorIjEjEEDaPvRmT3_T4_T5_mT6_P12ihipStream_tbENKUlT_T0_E_clISt17integral_constantIbLb1EESX_EEDaSS_ST_EUlSS_E0_NS1_11comp_targetILNS1_3genE2ELNS1_11target_archE906ELNS1_3gpuE6ELNS1_3repE0EEENS1_30default_config_static_selectorELNS0_4arch9wavefront6targetE1EEEvT1_,"axG",@progbits,_ZN7rocprim17ROCPRIM_400000_NS6detail17trampoline_kernelINS0_14default_configENS1_20scan_config_selectorIjEEZZNS1_9scan_implILNS1_25lookback_scan_determinismE0ELb1ELb1ES3_N6thrust23THRUST_200600_302600_NS6detail15normal_iteratorINS9_10device_ptrIjEEEENS9_16discard_iteratorINS9_11use_defaultEEEj11max_functorIjEjEEDaPvRmT3_T4_T5_mT6_P12ihipStream_tbENKUlT_T0_E_clISt17integral_constantIbLb1EESX_EEDaSS_ST_EUlSS_E0_NS1_11comp_targetILNS1_3genE2ELNS1_11target_archE906ELNS1_3gpuE6ELNS1_3repE0EEENS1_30default_config_static_selectorELNS0_4arch9wavefront6targetE1EEEvT1_,comdat
.Lfunc_end3525:
	.size	_ZN7rocprim17ROCPRIM_400000_NS6detail17trampoline_kernelINS0_14default_configENS1_20scan_config_selectorIjEEZZNS1_9scan_implILNS1_25lookback_scan_determinismE0ELb1ELb1ES3_N6thrust23THRUST_200600_302600_NS6detail15normal_iteratorINS9_10device_ptrIjEEEENS9_16discard_iteratorINS9_11use_defaultEEEj11max_functorIjEjEEDaPvRmT3_T4_T5_mT6_P12ihipStream_tbENKUlT_T0_E_clISt17integral_constantIbLb1EESX_EEDaSS_ST_EUlSS_E0_NS1_11comp_targetILNS1_3genE2ELNS1_11target_archE906ELNS1_3gpuE6ELNS1_3repE0EEENS1_30default_config_static_selectorELNS0_4arch9wavefront6targetE1EEEvT1_, .Lfunc_end3525-_ZN7rocprim17ROCPRIM_400000_NS6detail17trampoline_kernelINS0_14default_configENS1_20scan_config_selectorIjEEZZNS1_9scan_implILNS1_25lookback_scan_determinismE0ELb1ELb1ES3_N6thrust23THRUST_200600_302600_NS6detail15normal_iteratorINS9_10device_ptrIjEEEENS9_16discard_iteratorINS9_11use_defaultEEEj11max_functorIjEjEEDaPvRmT3_T4_T5_mT6_P12ihipStream_tbENKUlT_T0_E_clISt17integral_constantIbLb1EESX_EEDaSS_ST_EUlSS_E0_NS1_11comp_targetILNS1_3genE2ELNS1_11target_archE906ELNS1_3gpuE6ELNS1_3repE0EEENS1_30default_config_static_selectorELNS0_4arch9wavefront6targetE1EEEvT1_
                                        ; -- End function
	.section	.AMDGPU.csdata,"",@progbits
; Kernel info:
; codeLenInByte = 0
; NumSgprs: 4
; NumVgprs: 0
; NumAgprs: 0
; TotalNumVgprs: 0
; ScratchSize: 0
; MemoryBound: 0
; FloatMode: 240
; IeeeMode: 1
; LDSByteSize: 0 bytes/workgroup (compile time only)
; SGPRBlocks: 0
; VGPRBlocks: 0
; NumSGPRsForWavesPerEU: 4
; NumVGPRsForWavesPerEU: 1
; AccumOffset: 4
; Occupancy: 8
; WaveLimiterHint : 0
; COMPUTE_PGM_RSRC2:SCRATCH_EN: 0
; COMPUTE_PGM_RSRC2:USER_SGPR: 6
; COMPUTE_PGM_RSRC2:TRAP_HANDLER: 0
; COMPUTE_PGM_RSRC2:TGID_X_EN: 1
; COMPUTE_PGM_RSRC2:TGID_Y_EN: 0
; COMPUTE_PGM_RSRC2:TGID_Z_EN: 0
; COMPUTE_PGM_RSRC2:TIDIG_COMP_CNT: 0
; COMPUTE_PGM_RSRC3_GFX90A:ACCUM_OFFSET: 0
; COMPUTE_PGM_RSRC3_GFX90A:TG_SPLIT: 0
	.section	.text._ZN7rocprim17ROCPRIM_400000_NS6detail17trampoline_kernelINS0_14default_configENS1_20scan_config_selectorIjEEZZNS1_9scan_implILNS1_25lookback_scan_determinismE0ELb1ELb1ES3_N6thrust23THRUST_200600_302600_NS6detail15normal_iteratorINS9_10device_ptrIjEEEENS9_16discard_iteratorINS9_11use_defaultEEEj11max_functorIjEjEEDaPvRmT3_T4_T5_mT6_P12ihipStream_tbENKUlT_T0_E_clISt17integral_constantIbLb1EESX_EEDaSS_ST_EUlSS_E0_NS1_11comp_targetILNS1_3genE10ELNS1_11target_archE1201ELNS1_3gpuE5ELNS1_3repE0EEENS1_30default_config_static_selectorELNS0_4arch9wavefront6targetE1EEEvT1_,"axG",@progbits,_ZN7rocprim17ROCPRIM_400000_NS6detail17trampoline_kernelINS0_14default_configENS1_20scan_config_selectorIjEEZZNS1_9scan_implILNS1_25lookback_scan_determinismE0ELb1ELb1ES3_N6thrust23THRUST_200600_302600_NS6detail15normal_iteratorINS9_10device_ptrIjEEEENS9_16discard_iteratorINS9_11use_defaultEEEj11max_functorIjEjEEDaPvRmT3_T4_T5_mT6_P12ihipStream_tbENKUlT_T0_E_clISt17integral_constantIbLb1EESX_EEDaSS_ST_EUlSS_E0_NS1_11comp_targetILNS1_3genE10ELNS1_11target_archE1201ELNS1_3gpuE5ELNS1_3repE0EEENS1_30default_config_static_selectorELNS0_4arch9wavefront6targetE1EEEvT1_,comdat
	.protected	_ZN7rocprim17ROCPRIM_400000_NS6detail17trampoline_kernelINS0_14default_configENS1_20scan_config_selectorIjEEZZNS1_9scan_implILNS1_25lookback_scan_determinismE0ELb1ELb1ES3_N6thrust23THRUST_200600_302600_NS6detail15normal_iteratorINS9_10device_ptrIjEEEENS9_16discard_iteratorINS9_11use_defaultEEEj11max_functorIjEjEEDaPvRmT3_T4_T5_mT6_P12ihipStream_tbENKUlT_T0_E_clISt17integral_constantIbLb1EESX_EEDaSS_ST_EUlSS_E0_NS1_11comp_targetILNS1_3genE10ELNS1_11target_archE1201ELNS1_3gpuE5ELNS1_3repE0EEENS1_30default_config_static_selectorELNS0_4arch9wavefront6targetE1EEEvT1_ ; -- Begin function _ZN7rocprim17ROCPRIM_400000_NS6detail17trampoline_kernelINS0_14default_configENS1_20scan_config_selectorIjEEZZNS1_9scan_implILNS1_25lookback_scan_determinismE0ELb1ELb1ES3_N6thrust23THRUST_200600_302600_NS6detail15normal_iteratorINS9_10device_ptrIjEEEENS9_16discard_iteratorINS9_11use_defaultEEEj11max_functorIjEjEEDaPvRmT3_T4_T5_mT6_P12ihipStream_tbENKUlT_T0_E_clISt17integral_constantIbLb1EESX_EEDaSS_ST_EUlSS_E0_NS1_11comp_targetILNS1_3genE10ELNS1_11target_archE1201ELNS1_3gpuE5ELNS1_3repE0EEENS1_30default_config_static_selectorELNS0_4arch9wavefront6targetE1EEEvT1_
	.globl	_ZN7rocprim17ROCPRIM_400000_NS6detail17trampoline_kernelINS0_14default_configENS1_20scan_config_selectorIjEEZZNS1_9scan_implILNS1_25lookback_scan_determinismE0ELb1ELb1ES3_N6thrust23THRUST_200600_302600_NS6detail15normal_iteratorINS9_10device_ptrIjEEEENS9_16discard_iteratorINS9_11use_defaultEEEj11max_functorIjEjEEDaPvRmT3_T4_T5_mT6_P12ihipStream_tbENKUlT_T0_E_clISt17integral_constantIbLb1EESX_EEDaSS_ST_EUlSS_E0_NS1_11comp_targetILNS1_3genE10ELNS1_11target_archE1201ELNS1_3gpuE5ELNS1_3repE0EEENS1_30default_config_static_selectorELNS0_4arch9wavefront6targetE1EEEvT1_
	.p2align	8
	.type	_ZN7rocprim17ROCPRIM_400000_NS6detail17trampoline_kernelINS0_14default_configENS1_20scan_config_selectorIjEEZZNS1_9scan_implILNS1_25lookback_scan_determinismE0ELb1ELb1ES3_N6thrust23THRUST_200600_302600_NS6detail15normal_iteratorINS9_10device_ptrIjEEEENS9_16discard_iteratorINS9_11use_defaultEEEj11max_functorIjEjEEDaPvRmT3_T4_T5_mT6_P12ihipStream_tbENKUlT_T0_E_clISt17integral_constantIbLb1EESX_EEDaSS_ST_EUlSS_E0_NS1_11comp_targetILNS1_3genE10ELNS1_11target_archE1201ELNS1_3gpuE5ELNS1_3repE0EEENS1_30default_config_static_selectorELNS0_4arch9wavefront6targetE1EEEvT1_,@function
_ZN7rocprim17ROCPRIM_400000_NS6detail17trampoline_kernelINS0_14default_configENS1_20scan_config_selectorIjEEZZNS1_9scan_implILNS1_25lookback_scan_determinismE0ELb1ELb1ES3_N6thrust23THRUST_200600_302600_NS6detail15normal_iteratorINS9_10device_ptrIjEEEENS9_16discard_iteratorINS9_11use_defaultEEEj11max_functorIjEjEEDaPvRmT3_T4_T5_mT6_P12ihipStream_tbENKUlT_T0_E_clISt17integral_constantIbLb1EESX_EEDaSS_ST_EUlSS_E0_NS1_11comp_targetILNS1_3genE10ELNS1_11target_archE1201ELNS1_3gpuE5ELNS1_3repE0EEENS1_30default_config_static_selectorELNS0_4arch9wavefront6targetE1EEEvT1_: ; @_ZN7rocprim17ROCPRIM_400000_NS6detail17trampoline_kernelINS0_14default_configENS1_20scan_config_selectorIjEEZZNS1_9scan_implILNS1_25lookback_scan_determinismE0ELb1ELb1ES3_N6thrust23THRUST_200600_302600_NS6detail15normal_iteratorINS9_10device_ptrIjEEEENS9_16discard_iteratorINS9_11use_defaultEEEj11max_functorIjEjEEDaPvRmT3_T4_T5_mT6_P12ihipStream_tbENKUlT_T0_E_clISt17integral_constantIbLb1EESX_EEDaSS_ST_EUlSS_E0_NS1_11comp_targetILNS1_3genE10ELNS1_11target_archE1201ELNS1_3gpuE5ELNS1_3repE0EEENS1_30default_config_static_selectorELNS0_4arch9wavefront6targetE1EEEvT1_
; %bb.0:
	.section	.rodata,"a",@progbits
	.p2align	6, 0x0
	.amdhsa_kernel _ZN7rocprim17ROCPRIM_400000_NS6detail17trampoline_kernelINS0_14default_configENS1_20scan_config_selectorIjEEZZNS1_9scan_implILNS1_25lookback_scan_determinismE0ELb1ELb1ES3_N6thrust23THRUST_200600_302600_NS6detail15normal_iteratorINS9_10device_ptrIjEEEENS9_16discard_iteratorINS9_11use_defaultEEEj11max_functorIjEjEEDaPvRmT3_T4_T5_mT6_P12ihipStream_tbENKUlT_T0_E_clISt17integral_constantIbLb1EESX_EEDaSS_ST_EUlSS_E0_NS1_11comp_targetILNS1_3genE10ELNS1_11target_archE1201ELNS1_3gpuE5ELNS1_3repE0EEENS1_30default_config_static_selectorELNS0_4arch9wavefront6targetE1EEEvT1_
		.amdhsa_group_segment_fixed_size 0
		.amdhsa_private_segment_fixed_size 0
		.amdhsa_kernarg_size 40
		.amdhsa_user_sgpr_count 6
		.amdhsa_user_sgpr_private_segment_buffer 1
		.amdhsa_user_sgpr_dispatch_ptr 0
		.amdhsa_user_sgpr_queue_ptr 0
		.amdhsa_user_sgpr_kernarg_segment_ptr 1
		.amdhsa_user_sgpr_dispatch_id 0
		.amdhsa_user_sgpr_flat_scratch_init 0
		.amdhsa_user_sgpr_kernarg_preload_length 0
		.amdhsa_user_sgpr_kernarg_preload_offset 0
		.amdhsa_user_sgpr_private_segment_size 0
		.amdhsa_uses_dynamic_stack 0
		.amdhsa_system_sgpr_private_segment_wavefront_offset 0
		.amdhsa_system_sgpr_workgroup_id_x 1
		.amdhsa_system_sgpr_workgroup_id_y 0
		.amdhsa_system_sgpr_workgroup_id_z 0
		.amdhsa_system_sgpr_workgroup_info 0
		.amdhsa_system_vgpr_workitem_id 0
		.amdhsa_next_free_vgpr 1
		.amdhsa_next_free_sgpr 0
		.amdhsa_accum_offset 4
		.amdhsa_reserve_vcc 0
		.amdhsa_reserve_flat_scratch 0
		.amdhsa_float_round_mode_32 0
		.amdhsa_float_round_mode_16_64 0
		.amdhsa_float_denorm_mode_32 3
		.amdhsa_float_denorm_mode_16_64 3
		.amdhsa_dx10_clamp 1
		.amdhsa_ieee_mode 1
		.amdhsa_fp16_overflow 0
		.amdhsa_tg_split 0
		.amdhsa_exception_fp_ieee_invalid_op 0
		.amdhsa_exception_fp_denorm_src 0
		.amdhsa_exception_fp_ieee_div_zero 0
		.amdhsa_exception_fp_ieee_overflow 0
		.amdhsa_exception_fp_ieee_underflow 0
		.amdhsa_exception_fp_ieee_inexact 0
		.amdhsa_exception_int_div_zero 0
	.end_amdhsa_kernel
	.section	.text._ZN7rocprim17ROCPRIM_400000_NS6detail17trampoline_kernelINS0_14default_configENS1_20scan_config_selectorIjEEZZNS1_9scan_implILNS1_25lookback_scan_determinismE0ELb1ELb1ES3_N6thrust23THRUST_200600_302600_NS6detail15normal_iteratorINS9_10device_ptrIjEEEENS9_16discard_iteratorINS9_11use_defaultEEEj11max_functorIjEjEEDaPvRmT3_T4_T5_mT6_P12ihipStream_tbENKUlT_T0_E_clISt17integral_constantIbLb1EESX_EEDaSS_ST_EUlSS_E0_NS1_11comp_targetILNS1_3genE10ELNS1_11target_archE1201ELNS1_3gpuE5ELNS1_3repE0EEENS1_30default_config_static_selectorELNS0_4arch9wavefront6targetE1EEEvT1_,"axG",@progbits,_ZN7rocprim17ROCPRIM_400000_NS6detail17trampoline_kernelINS0_14default_configENS1_20scan_config_selectorIjEEZZNS1_9scan_implILNS1_25lookback_scan_determinismE0ELb1ELb1ES3_N6thrust23THRUST_200600_302600_NS6detail15normal_iteratorINS9_10device_ptrIjEEEENS9_16discard_iteratorINS9_11use_defaultEEEj11max_functorIjEjEEDaPvRmT3_T4_T5_mT6_P12ihipStream_tbENKUlT_T0_E_clISt17integral_constantIbLb1EESX_EEDaSS_ST_EUlSS_E0_NS1_11comp_targetILNS1_3genE10ELNS1_11target_archE1201ELNS1_3gpuE5ELNS1_3repE0EEENS1_30default_config_static_selectorELNS0_4arch9wavefront6targetE1EEEvT1_,comdat
.Lfunc_end3526:
	.size	_ZN7rocprim17ROCPRIM_400000_NS6detail17trampoline_kernelINS0_14default_configENS1_20scan_config_selectorIjEEZZNS1_9scan_implILNS1_25lookback_scan_determinismE0ELb1ELb1ES3_N6thrust23THRUST_200600_302600_NS6detail15normal_iteratorINS9_10device_ptrIjEEEENS9_16discard_iteratorINS9_11use_defaultEEEj11max_functorIjEjEEDaPvRmT3_T4_T5_mT6_P12ihipStream_tbENKUlT_T0_E_clISt17integral_constantIbLb1EESX_EEDaSS_ST_EUlSS_E0_NS1_11comp_targetILNS1_3genE10ELNS1_11target_archE1201ELNS1_3gpuE5ELNS1_3repE0EEENS1_30default_config_static_selectorELNS0_4arch9wavefront6targetE1EEEvT1_, .Lfunc_end3526-_ZN7rocprim17ROCPRIM_400000_NS6detail17trampoline_kernelINS0_14default_configENS1_20scan_config_selectorIjEEZZNS1_9scan_implILNS1_25lookback_scan_determinismE0ELb1ELb1ES3_N6thrust23THRUST_200600_302600_NS6detail15normal_iteratorINS9_10device_ptrIjEEEENS9_16discard_iteratorINS9_11use_defaultEEEj11max_functorIjEjEEDaPvRmT3_T4_T5_mT6_P12ihipStream_tbENKUlT_T0_E_clISt17integral_constantIbLb1EESX_EEDaSS_ST_EUlSS_E0_NS1_11comp_targetILNS1_3genE10ELNS1_11target_archE1201ELNS1_3gpuE5ELNS1_3repE0EEENS1_30default_config_static_selectorELNS0_4arch9wavefront6targetE1EEEvT1_
                                        ; -- End function
	.section	.AMDGPU.csdata,"",@progbits
; Kernel info:
; codeLenInByte = 0
; NumSgprs: 4
; NumVgprs: 0
; NumAgprs: 0
; TotalNumVgprs: 0
; ScratchSize: 0
; MemoryBound: 0
; FloatMode: 240
; IeeeMode: 1
; LDSByteSize: 0 bytes/workgroup (compile time only)
; SGPRBlocks: 0
; VGPRBlocks: 0
; NumSGPRsForWavesPerEU: 4
; NumVGPRsForWavesPerEU: 1
; AccumOffset: 4
; Occupancy: 8
; WaveLimiterHint : 0
; COMPUTE_PGM_RSRC2:SCRATCH_EN: 0
; COMPUTE_PGM_RSRC2:USER_SGPR: 6
; COMPUTE_PGM_RSRC2:TRAP_HANDLER: 0
; COMPUTE_PGM_RSRC2:TGID_X_EN: 1
; COMPUTE_PGM_RSRC2:TGID_Y_EN: 0
; COMPUTE_PGM_RSRC2:TGID_Z_EN: 0
; COMPUTE_PGM_RSRC2:TIDIG_COMP_CNT: 0
; COMPUTE_PGM_RSRC3_GFX90A:ACCUM_OFFSET: 0
; COMPUTE_PGM_RSRC3_GFX90A:TG_SPLIT: 0
	.section	.text._ZN7rocprim17ROCPRIM_400000_NS6detail17trampoline_kernelINS0_14default_configENS1_20scan_config_selectorIjEEZZNS1_9scan_implILNS1_25lookback_scan_determinismE0ELb1ELb1ES3_N6thrust23THRUST_200600_302600_NS6detail15normal_iteratorINS9_10device_ptrIjEEEENS9_16discard_iteratorINS9_11use_defaultEEEj11max_functorIjEjEEDaPvRmT3_T4_T5_mT6_P12ihipStream_tbENKUlT_T0_E_clISt17integral_constantIbLb1EESX_EEDaSS_ST_EUlSS_E0_NS1_11comp_targetILNS1_3genE10ELNS1_11target_archE1200ELNS1_3gpuE4ELNS1_3repE0EEENS1_30default_config_static_selectorELNS0_4arch9wavefront6targetE1EEEvT1_,"axG",@progbits,_ZN7rocprim17ROCPRIM_400000_NS6detail17trampoline_kernelINS0_14default_configENS1_20scan_config_selectorIjEEZZNS1_9scan_implILNS1_25lookback_scan_determinismE0ELb1ELb1ES3_N6thrust23THRUST_200600_302600_NS6detail15normal_iteratorINS9_10device_ptrIjEEEENS9_16discard_iteratorINS9_11use_defaultEEEj11max_functorIjEjEEDaPvRmT3_T4_T5_mT6_P12ihipStream_tbENKUlT_T0_E_clISt17integral_constantIbLb1EESX_EEDaSS_ST_EUlSS_E0_NS1_11comp_targetILNS1_3genE10ELNS1_11target_archE1200ELNS1_3gpuE4ELNS1_3repE0EEENS1_30default_config_static_selectorELNS0_4arch9wavefront6targetE1EEEvT1_,comdat
	.protected	_ZN7rocprim17ROCPRIM_400000_NS6detail17trampoline_kernelINS0_14default_configENS1_20scan_config_selectorIjEEZZNS1_9scan_implILNS1_25lookback_scan_determinismE0ELb1ELb1ES3_N6thrust23THRUST_200600_302600_NS6detail15normal_iteratorINS9_10device_ptrIjEEEENS9_16discard_iteratorINS9_11use_defaultEEEj11max_functorIjEjEEDaPvRmT3_T4_T5_mT6_P12ihipStream_tbENKUlT_T0_E_clISt17integral_constantIbLb1EESX_EEDaSS_ST_EUlSS_E0_NS1_11comp_targetILNS1_3genE10ELNS1_11target_archE1200ELNS1_3gpuE4ELNS1_3repE0EEENS1_30default_config_static_selectorELNS0_4arch9wavefront6targetE1EEEvT1_ ; -- Begin function _ZN7rocprim17ROCPRIM_400000_NS6detail17trampoline_kernelINS0_14default_configENS1_20scan_config_selectorIjEEZZNS1_9scan_implILNS1_25lookback_scan_determinismE0ELb1ELb1ES3_N6thrust23THRUST_200600_302600_NS6detail15normal_iteratorINS9_10device_ptrIjEEEENS9_16discard_iteratorINS9_11use_defaultEEEj11max_functorIjEjEEDaPvRmT3_T4_T5_mT6_P12ihipStream_tbENKUlT_T0_E_clISt17integral_constantIbLb1EESX_EEDaSS_ST_EUlSS_E0_NS1_11comp_targetILNS1_3genE10ELNS1_11target_archE1200ELNS1_3gpuE4ELNS1_3repE0EEENS1_30default_config_static_selectorELNS0_4arch9wavefront6targetE1EEEvT1_
	.globl	_ZN7rocprim17ROCPRIM_400000_NS6detail17trampoline_kernelINS0_14default_configENS1_20scan_config_selectorIjEEZZNS1_9scan_implILNS1_25lookback_scan_determinismE0ELb1ELb1ES3_N6thrust23THRUST_200600_302600_NS6detail15normal_iteratorINS9_10device_ptrIjEEEENS9_16discard_iteratorINS9_11use_defaultEEEj11max_functorIjEjEEDaPvRmT3_T4_T5_mT6_P12ihipStream_tbENKUlT_T0_E_clISt17integral_constantIbLb1EESX_EEDaSS_ST_EUlSS_E0_NS1_11comp_targetILNS1_3genE10ELNS1_11target_archE1200ELNS1_3gpuE4ELNS1_3repE0EEENS1_30default_config_static_selectorELNS0_4arch9wavefront6targetE1EEEvT1_
	.p2align	8
	.type	_ZN7rocprim17ROCPRIM_400000_NS6detail17trampoline_kernelINS0_14default_configENS1_20scan_config_selectorIjEEZZNS1_9scan_implILNS1_25lookback_scan_determinismE0ELb1ELb1ES3_N6thrust23THRUST_200600_302600_NS6detail15normal_iteratorINS9_10device_ptrIjEEEENS9_16discard_iteratorINS9_11use_defaultEEEj11max_functorIjEjEEDaPvRmT3_T4_T5_mT6_P12ihipStream_tbENKUlT_T0_E_clISt17integral_constantIbLb1EESX_EEDaSS_ST_EUlSS_E0_NS1_11comp_targetILNS1_3genE10ELNS1_11target_archE1200ELNS1_3gpuE4ELNS1_3repE0EEENS1_30default_config_static_selectorELNS0_4arch9wavefront6targetE1EEEvT1_,@function
_ZN7rocprim17ROCPRIM_400000_NS6detail17trampoline_kernelINS0_14default_configENS1_20scan_config_selectorIjEEZZNS1_9scan_implILNS1_25lookback_scan_determinismE0ELb1ELb1ES3_N6thrust23THRUST_200600_302600_NS6detail15normal_iteratorINS9_10device_ptrIjEEEENS9_16discard_iteratorINS9_11use_defaultEEEj11max_functorIjEjEEDaPvRmT3_T4_T5_mT6_P12ihipStream_tbENKUlT_T0_E_clISt17integral_constantIbLb1EESX_EEDaSS_ST_EUlSS_E0_NS1_11comp_targetILNS1_3genE10ELNS1_11target_archE1200ELNS1_3gpuE4ELNS1_3repE0EEENS1_30default_config_static_selectorELNS0_4arch9wavefront6targetE1EEEvT1_: ; @_ZN7rocprim17ROCPRIM_400000_NS6detail17trampoline_kernelINS0_14default_configENS1_20scan_config_selectorIjEEZZNS1_9scan_implILNS1_25lookback_scan_determinismE0ELb1ELb1ES3_N6thrust23THRUST_200600_302600_NS6detail15normal_iteratorINS9_10device_ptrIjEEEENS9_16discard_iteratorINS9_11use_defaultEEEj11max_functorIjEjEEDaPvRmT3_T4_T5_mT6_P12ihipStream_tbENKUlT_T0_E_clISt17integral_constantIbLb1EESX_EEDaSS_ST_EUlSS_E0_NS1_11comp_targetILNS1_3genE10ELNS1_11target_archE1200ELNS1_3gpuE4ELNS1_3repE0EEENS1_30default_config_static_selectorELNS0_4arch9wavefront6targetE1EEEvT1_
; %bb.0:
	.section	.rodata,"a",@progbits
	.p2align	6, 0x0
	.amdhsa_kernel _ZN7rocprim17ROCPRIM_400000_NS6detail17trampoline_kernelINS0_14default_configENS1_20scan_config_selectorIjEEZZNS1_9scan_implILNS1_25lookback_scan_determinismE0ELb1ELb1ES3_N6thrust23THRUST_200600_302600_NS6detail15normal_iteratorINS9_10device_ptrIjEEEENS9_16discard_iteratorINS9_11use_defaultEEEj11max_functorIjEjEEDaPvRmT3_T4_T5_mT6_P12ihipStream_tbENKUlT_T0_E_clISt17integral_constantIbLb1EESX_EEDaSS_ST_EUlSS_E0_NS1_11comp_targetILNS1_3genE10ELNS1_11target_archE1200ELNS1_3gpuE4ELNS1_3repE0EEENS1_30default_config_static_selectorELNS0_4arch9wavefront6targetE1EEEvT1_
		.amdhsa_group_segment_fixed_size 0
		.amdhsa_private_segment_fixed_size 0
		.amdhsa_kernarg_size 40
		.amdhsa_user_sgpr_count 6
		.amdhsa_user_sgpr_private_segment_buffer 1
		.amdhsa_user_sgpr_dispatch_ptr 0
		.amdhsa_user_sgpr_queue_ptr 0
		.amdhsa_user_sgpr_kernarg_segment_ptr 1
		.amdhsa_user_sgpr_dispatch_id 0
		.amdhsa_user_sgpr_flat_scratch_init 0
		.amdhsa_user_sgpr_kernarg_preload_length 0
		.amdhsa_user_sgpr_kernarg_preload_offset 0
		.amdhsa_user_sgpr_private_segment_size 0
		.amdhsa_uses_dynamic_stack 0
		.amdhsa_system_sgpr_private_segment_wavefront_offset 0
		.amdhsa_system_sgpr_workgroup_id_x 1
		.amdhsa_system_sgpr_workgroup_id_y 0
		.amdhsa_system_sgpr_workgroup_id_z 0
		.amdhsa_system_sgpr_workgroup_info 0
		.amdhsa_system_vgpr_workitem_id 0
		.amdhsa_next_free_vgpr 1
		.amdhsa_next_free_sgpr 0
		.amdhsa_accum_offset 4
		.amdhsa_reserve_vcc 0
		.amdhsa_reserve_flat_scratch 0
		.amdhsa_float_round_mode_32 0
		.amdhsa_float_round_mode_16_64 0
		.amdhsa_float_denorm_mode_32 3
		.amdhsa_float_denorm_mode_16_64 3
		.amdhsa_dx10_clamp 1
		.amdhsa_ieee_mode 1
		.amdhsa_fp16_overflow 0
		.amdhsa_tg_split 0
		.amdhsa_exception_fp_ieee_invalid_op 0
		.amdhsa_exception_fp_denorm_src 0
		.amdhsa_exception_fp_ieee_div_zero 0
		.amdhsa_exception_fp_ieee_overflow 0
		.amdhsa_exception_fp_ieee_underflow 0
		.amdhsa_exception_fp_ieee_inexact 0
		.amdhsa_exception_int_div_zero 0
	.end_amdhsa_kernel
	.section	.text._ZN7rocprim17ROCPRIM_400000_NS6detail17trampoline_kernelINS0_14default_configENS1_20scan_config_selectorIjEEZZNS1_9scan_implILNS1_25lookback_scan_determinismE0ELb1ELb1ES3_N6thrust23THRUST_200600_302600_NS6detail15normal_iteratorINS9_10device_ptrIjEEEENS9_16discard_iteratorINS9_11use_defaultEEEj11max_functorIjEjEEDaPvRmT3_T4_T5_mT6_P12ihipStream_tbENKUlT_T0_E_clISt17integral_constantIbLb1EESX_EEDaSS_ST_EUlSS_E0_NS1_11comp_targetILNS1_3genE10ELNS1_11target_archE1200ELNS1_3gpuE4ELNS1_3repE0EEENS1_30default_config_static_selectorELNS0_4arch9wavefront6targetE1EEEvT1_,"axG",@progbits,_ZN7rocprim17ROCPRIM_400000_NS6detail17trampoline_kernelINS0_14default_configENS1_20scan_config_selectorIjEEZZNS1_9scan_implILNS1_25lookback_scan_determinismE0ELb1ELb1ES3_N6thrust23THRUST_200600_302600_NS6detail15normal_iteratorINS9_10device_ptrIjEEEENS9_16discard_iteratorINS9_11use_defaultEEEj11max_functorIjEjEEDaPvRmT3_T4_T5_mT6_P12ihipStream_tbENKUlT_T0_E_clISt17integral_constantIbLb1EESX_EEDaSS_ST_EUlSS_E0_NS1_11comp_targetILNS1_3genE10ELNS1_11target_archE1200ELNS1_3gpuE4ELNS1_3repE0EEENS1_30default_config_static_selectorELNS0_4arch9wavefront6targetE1EEEvT1_,comdat
.Lfunc_end3527:
	.size	_ZN7rocprim17ROCPRIM_400000_NS6detail17trampoline_kernelINS0_14default_configENS1_20scan_config_selectorIjEEZZNS1_9scan_implILNS1_25lookback_scan_determinismE0ELb1ELb1ES3_N6thrust23THRUST_200600_302600_NS6detail15normal_iteratorINS9_10device_ptrIjEEEENS9_16discard_iteratorINS9_11use_defaultEEEj11max_functorIjEjEEDaPvRmT3_T4_T5_mT6_P12ihipStream_tbENKUlT_T0_E_clISt17integral_constantIbLb1EESX_EEDaSS_ST_EUlSS_E0_NS1_11comp_targetILNS1_3genE10ELNS1_11target_archE1200ELNS1_3gpuE4ELNS1_3repE0EEENS1_30default_config_static_selectorELNS0_4arch9wavefront6targetE1EEEvT1_, .Lfunc_end3527-_ZN7rocprim17ROCPRIM_400000_NS6detail17trampoline_kernelINS0_14default_configENS1_20scan_config_selectorIjEEZZNS1_9scan_implILNS1_25lookback_scan_determinismE0ELb1ELb1ES3_N6thrust23THRUST_200600_302600_NS6detail15normal_iteratorINS9_10device_ptrIjEEEENS9_16discard_iteratorINS9_11use_defaultEEEj11max_functorIjEjEEDaPvRmT3_T4_T5_mT6_P12ihipStream_tbENKUlT_T0_E_clISt17integral_constantIbLb1EESX_EEDaSS_ST_EUlSS_E0_NS1_11comp_targetILNS1_3genE10ELNS1_11target_archE1200ELNS1_3gpuE4ELNS1_3repE0EEENS1_30default_config_static_selectorELNS0_4arch9wavefront6targetE1EEEvT1_
                                        ; -- End function
	.section	.AMDGPU.csdata,"",@progbits
; Kernel info:
; codeLenInByte = 0
; NumSgprs: 4
; NumVgprs: 0
; NumAgprs: 0
; TotalNumVgprs: 0
; ScratchSize: 0
; MemoryBound: 0
; FloatMode: 240
; IeeeMode: 1
; LDSByteSize: 0 bytes/workgroup (compile time only)
; SGPRBlocks: 0
; VGPRBlocks: 0
; NumSGPRsForWavesPerEU: 4
; NumVGPRsForWavesPerEU: 1
; AccumOffset: 4
; Occupancy: 8
; WaveLimiterHint : 0
; COMPUTE_PGM_RSRC2:SCRATCH_EN: 0
; COMPUTE_PGM_RSRC2:USER_SGPR: 6
; COMPUTE_PGM_RSRC2:TRAP_HANDLER: 0
; COMPUTE_PGM_RSRC2:TGID_X_EN: 1
; COMPUTE_PGM_RSRC2:TGID_Y_EN: 0
; COMPUTE_PGM_RSRC2:TGID_Z_EN: 0
; COMPUTE_PGM_RSRC2:TIDIG_COMP_CNT: 0
; COMPUTE_PGM_RSRC3_GFX90A:ACCUM_OFFSET: 0
; COMPUTE_PGM_RSRC3_GFX90A:TG_SPLIT: 0
	.section	.text._ZN7rocprim17ROCPRIM_400000_NS6detail17trampoline_kernelINS0_14default_configENS1_20scan_config_selectorIjEEZZNS1_9scan_implILNS1_25lookback_scan_determinismE0ELb1ELb1ES3_N6thrust23THRUST_200600_302600_NS6detail15normal_iteratorINS9_10device_ptrIjEEEENS9_16discard_iteratorINS9_11use_defaultEEEj11max_functorIjEjEEDaPvRmT3_T4_T5_mT6_P12ihipStream_tbENKUlT_T0_E_clISt17integral_constantIbLb1EESX_EEDaSS_ST_EUlSS_E0_NS1_11comp_targetILNS1_3genE9ELNS1_11target_archE1100ELNS1_3gpuE3ELNS1_3repE0EEENS1_30default_config_static_selectorELNS0_4arch9wavefront6targetE1EEEvT1_,"axG",@progbits,_ZN7rocprim17ROCPRIM_400000_NS6detail17trampoline_kernelINS0_14default_configENS1_20scan_config_selectorIjEEZZNS1_9scan_implILNS1_25lookback_scan_determinismE0ELb1ELb1ES3_N6thrust23THRUST_200600_302600_NS6detail15normal_iteratorINS9_10device_ptrIjEEEENS9_16discard_iteratorINS9_11use_defaultEEEj11max_functorIjEjEEDaPvRmT3_T4_T5_mT6_P12ihipStream_tbENKUlT_T0_E_clISt17integral_constantIbLb1EESX_EEDaSS_ST_EUlSS_E0_NS1_11comp_targetILNS1_3genE9ELNS1_11target_archE1100ELNS1_3gpuE3ELNS1_3repE0EEENS1_30default_config_static_selectorELNS0_4arch9wavefront6targetE1EEEvT1_,comdat
	.protected	_ZN7rocprim17ROCPRIM_400000_NS6detail17trampoline_kernelINS0_14default_configENS1_20scan_config_selectorIjEEZZNS1_9scan_implILNS1_25lookback_scan_determinismE0ELb1ELb1ES3_N6thrust23THRUST_200600_302600_NS6detail15normal_iteratorINS9_10device_ptrIjEEEENS9_16discard_iteratorINS9_11use_defaultEEEj11max_functorIjEjEEDaPvRmT3_T4_T5_mT6_P12ihipStream_tbENKUlT_T0_E_clISt17integral_constantIbLb1EESX_EEDaSS_ST_EUlSS_E0_NS1_11comp_targetILNS1_3genE9ELNS1_11target_archE1100ELNS1_3gpuE3ELNS1_3repE0EEENS1_30default_config_static_selectorELNS0_4arch9wavefront6targetE1EEEvT1_ ; -- Begin function _ZN7rocprim17ROCPRIM_400000_NS6detail17trampoline_kernelINS0_14default_configENS1_20scan_config_selectorIjEEZZNS1_9scan_implILNS1_25lookback_scan_determinismE0ELb1ELb1ES3_N6thrust23THRUST_200600_302600_NS6detail15normal_iteratorINS9_10device_ptrIjEEEENS9_16discard_iteratorINS9_11use_defaultEEEj11max_functorIjEjEEDaPvRmT3_T4_T5_mT6_P12ihipStream_tbENKUlT_T0_E_clISt17integral_constantIbLb1EESX_EEDaSS_ST_EUlSS_E0_NS1_11comp_targetILNS1_3genE9ELNS1_11target_archE1100ELNS1_3gpuE3ELNS1_3repE0EEENS1_30default_config_static_selectorELNS0_4arch9wavefront6targetE1EEEvT1_
	.globl	_ZN7rocprim17ROCPRIM_400000_NS6detail17trampoline_kernelINS0_14default_configENS1_20scan_config_selectorIjEEZZNS1_9scan_implILNS1_25lookback_scan_determinismE0ELb1ELb1ES3_N6thrust23THRUST_200600_302600_NS6detail15normal_iteratorINS9_10device_ptrIjEEEENS9_16discard_iteratorINS9_11use_defaultEEEj11max_functorIjEjEEDaPvRmT3_T4_T5_mT6_P12ihipStream_tbENKUlT_T0_E_clISt17integral_constantIbLb1EESX_EEDaSS_ST_EUlSS_E0_NS1_11comp_targetILNS1_3genE9ELNS1_11target_archE1100ELNS1_3gpuE3ELNS1_3repE0EEENS1_30default_config_static_selectorELNS0_4arch9wavefront6targetE1EEEvT1_
	.p2align	8
	.type	_ZN7rocprim17ROCPRIM_400000_NS6detail17trampoline_kernelINS0_14default_configENS1_20scan_config_selectorIjEEZZNS1_9scan_implILNS1_25lookback_scan_determinismE0ELb1ELb1ES3_N6thrust23THRUST_200600_302600_NS6detail15normal_iteratorINS9_10device_ptrIjEEEENS9_16discard_iteratorINS9_11use_defaultEEEj11max_functorIjEjEEDaPvRmT3_T4_T5_mT6_P12ihipStream_tbENKUlT_T0_E_clISt17integral_constantIbLb1EESX_EEDaSS_ST_EUlSS_E0_NS1_11comp_targetILNS1_3genE9ELNS1_11target_archE1100ELNS1_3gpuE3ELNS1_3repE0EEENS1_30default_config_static_selectorELNS0_4arch9wavefront6targetE1EEEvT1_,@function
_ZN7rocprim17ROCPRIM_400000_NS6detail17trampoline_kernelINS0_14default_configENS1_20scan_config_selectorIjEEZZNS1_9scan_implILNS1_25lookback_scan_determinismE0ELb1ELb1ES3_N6thrust23THRUST_200600_302600_NS6detail15normal_iteratorINS9_10device_ptrIjEEEENS9_16discard_iteratorINS9_11use_defaultEEEj11max_functorIjEjEEDaPvRmT3_T4_T5_mT6_P12ihipStream_tbENKUlT_T0_E_clISt17integral_constantIbLb1EESX_EEDaSS_ST_EUlSS_E0_NS1_11comp_targetILNS1_3genE9ELNS1_11target_archE1100ELNS1_3gpuE3ELNS1_3repE0EEENS1_30default_config_static_selectorELNS0_4arch9wavefront6targetE1EEEvT1_: ; @_ZN7rocprim17ROCPRIM_400000_NS6detail17trampoline_kernelINS0_14default_configENS1_20scan_config_selectorIjEEZZNS1_9scan_implILNS1_25lookback_scan_determinismE0ELb1ELb1ES3_N6thrust23THRUST_200600_302600_NS6detail15normal_iteratorINS9_10device_ptrIjEEEENS9_16discard_iteratorINS9_11use_defaultEEEj11max_functorIjEjEEDaPvRmT3_T4_T5_mT6_P12ihipStream_tbENKUlT_T0_E_clISt17integral_constantIbLb1EESX_EEDaSS_ST_EUlSS_E0_NS1_11comp_targetILNS1_3genE9ELNS1_11target_archE1100ELNS1_3gpuE3ELNS1_3repE0EEENS1_30default_config_static_selectorELNS0_4arch9wavefront6targetE1EEEvT1_
; %bb.0:
	.section	.rodata,"a",@progbits
	.p2align	6, 0x0
	.amdhsa_kernel _ZN7rocprim17ROCPRIM_400000_NS6detail17trampoline_kernelINS0_14default_configENS1_20scan_config_selectorIjEEZZNS1_9scan_implILNS1_25lookback_scan_determinismE0ELb1ELb1ES3_N6thrust23THRUST_200600_302600_NS6detail15normal_iteratorINS9_10device_ptrIjEEEENS9_16discard_iteratorINS9_11use_defaultEEEj11max_functorIjEjEEDaPvRmT3_T4_T5_mT6_P12ihipStream_tbENKUlT_T0_E_clISt17integral_constantIbLb1EESX_EEDaSS_ST_EUlSS_E0_NS1_11comp_targetILNS1_3genE9ELNS1_11target_archE1100ELNS1_3gpuE3ELNS1_3repE0EEENS1_30default_config_static_selectorELNS0_4arch9wavefront6targetE1EEEvT1_
		.amdhsa_group_segment_fixed_size 0
		.amdhsa_private_segment_fixed_size 0
		.amdhsa_kernarg_size 40
		.amdhsa_user_sgpr_count 6
		.amdhsa_user_sgpr_private_segment_buffer 1
		.amdhsa_user_sgpr_dispatch_ptr 0
		.amdhsa_user_sgpr_queue_ptr 0
		.amdhsa_user_sgpr_kernarg_segment_ptr 1
		.amdhsa_user_sgpr_dispatch_id 0
		.amdhsa_user_sgpr_flat_scratch_init 0
		.amdhsa_user_sgpr_kernarg_preload_length 0
		.amdhsa_user_sgpr_kernarg_preload_offset 0
		.amdhsa_user_sgpr_private_segment_size 0
		.amdhsa_uses_dynamic_stack 0
		.amdhsa_system_sgpr_private_segment_wavefront_offset 0
		.amdhsa_system_sgpr_workgroup_id_x 1
		.amdhsa_system_sgpr_workgroup_id_y 0
		.amdhsa_system_sgpr_workgroup_id_z 0
		.amdhsa_system_sgpr_workgroup_info 0
		.amdhsa_system_vgpr_workitem_id 0
		.amdhsa_next_free_vgpr 1
		.amdhsa_next_free_sgpr 0
		.amdhsa_accum_offset 4
		.amdhsa_reserve_vcc 0
		.amdhsa_reserve_flat_scratch 0
		.amdhsa_float_round_mode_32 0
		.amdhsa_float_round_mode_16_64 0
		.amdhsa_float_denorm_mode_32 3
		.amdhsa_float_denorm_mode_16_64 3
		.amdhsa_dx10_clamp 1
		.amdhsa_ieee_mode 1
		.amdhsa_fp16_overflow 0
		.amdhsa_tg_split 0
		.amdhsa_exception_fp_ieee_invalid_op 0
		.amdhsa_exception_fp_denorm_src 0
		.amdhsa_exception_fp_ieee_div_zero 0
		.amdhsa_exception_fp_ieee_overflow 0
		.amdhsa_exception_fp_ieee_underflow 0
		.amdhsa_exception_fp_ieee_inexact 0
		.amdhsa_exception_int_div_zero 0
	.end_amdhsa_kernel
	.section	.text._ZN7rocprim17ROCPRIM_400000_NS6detail17trampoline_kernelINS0_14default_configENS1_20scan_config_selectorIjEEZZNS1_9scan_implILNS1_25lookback_scan_determinismE0ELb1ELb1ES3_N6thrust23THRUST_200600_302600_NS6detail15normal_iteratorINS9_10device_ptrIjEEEENS9_16discard_iteratorINS9_11use_defaultEEEj11max_functorIjEjEEDaPvRmT3_T4_T5_mT6_P12ihipStream_tbENKUlT_T0_E_clISt17integral_constantIbLb1EESX_EEDaSS_ST_EUlSS_E0_NS1_11comp_targetILNS1_3genE9ELNS1_11target_archE1100ELNS1_3gpuE3ELNS1_3repE0EEENS1_30default_config_static_selectorELNS0_4arch9wavefront6targetE1EEEvT1_,"axG",@progbits,_ZN7rocprim17ROCPRIM_400000_NS6detail17trampoline_kernelINS0_14default_configENS1_20scan_config_selectorIjEEZZNS1_9scan_implILNS1_25lookback_scan_determinismE0ELb1ELb1ES3_N6thrust23THRUST_200600_302600_NS6detail15normal_iteratorINS9_10device_ptrIjEEEENS9_16discard_iteratorINS9_11use_defaultEEEj11max_functorIjEjEEDaPvRmT3_T4_T5_mT6_P12ihipStream_tbENKUlT_T0_E_clISt17integral_constantIbLb1EESX_EEDaSS_ST_EUlSS_E0_NS1_11comp_targetILNS1_3genE9ELNS1_11target_archE1100ELNS1_3gpuE3ELNS1_3repE0EEENS1_30default_config_static_selectorELNS0_4arch9wavefront6targetE1EEEvT1_,comdat
.Lfunc_end3528:
	.size	_ZN7rocprim17ROCPRIM_400000_NS6detail17trampoline_kernelINS0_14default_configENS1_20scan_config_selectorIjEEZZNS1_9scan_implILNS1_25lookback_scan_determinismE0ELb1ELb1ES3_N6thrust23THRUST_200600_302600_NS6detail15normal_iteratorINS9_10device_ptrIjEEEENS9_16discard_iteratorINS9_11use_defaultEEEj11max_functorIjEjEEDaPvRmT3_T4_T5_mT6_P12ihipStream_tbENKUlT_T0_E_clISt17integral_constantIbLb1EESX_EEDaSS_ST_EUlSS_E0_NS1_11comp_targetILNS1_3genE9ELNS1_11target_archE1100ELNS1_3gpuE3ELNS1_3repE0EEENS1_30default_config_static_selectorELNS0_4arch9wavefront6targetE1EEEvT1_, .Lfunc_end3528-_ZN7rocprim17ROCPRIM_400000_NS6detail17trampoline_kernelINS0_14default_configENS1_20scan_config_selectorIjEEZZNS1_9scan_implILNS1_25lookback_scan_determinismE0ELb1ELb1ES3_N6thrust23THRUST_200600_302600_NS6detail15normal_iteratorINS9_10device_ptrIjEEEENS9_16discard_iteratorINS9_11use_defaultEEEj11max_functorIjEjEEDaPvRmT3_T4_T5_mT6_P12ihipStream_tbENKUlT_T0_E_clISt17integral_constantIbLb1EESX_EEDaSS_ST_EUlSS_E0_NS1_11comp_targetILNS1_3genE9ELNS1_11target_archE1100ELNS1_3gpuE3ELNS1_3repE0EEENS1_30default_config_static_selectorELNS0_4arch9wavefront6targetE1EEEvT1_
                                        ; -- End function
	.section	.AMDGPU.csdata,"",@progbits
; Kernel info:
; codeLenInByte = 0
; NumSgprs: 4
; NumVgprs: 0
; NumAgprs: 0
; TotalNumVgprs: 0
; ScratchSize: 0
; MemoryBound: 0
; FloatMode: 240
; IeeeMode: 1
; LDSByteSize: 0 bytes/workgroup (compile time only)
; SGPRBlocks: 0
; VGPRBlocks: 0
; NumSGPRsForWavesPerEU: 4
; NumVGPRsForWavesPerEU: 1
; AccumOffset: 4
; Occupancy: 8
; WaveLimiterHint : 0
; COMPUTE_PGM_RSRC2:SCRATCH_EN: 0
; COMPUTE_PGM_RSRC2:USER_SGPR: 6
; COMPUTE_PGM_RSRC2:TRAP_HANDLER: 0
; COMPUTE_PGM_RSRC2:TGID_X_EN: 1
; COMPUTE_PGM_RSRC2:TGID_Y_EN: 0
; COMPUTE_PGM_RSRC2:TGID_Z_EN: 0
; COMPUTE_PGM_RSRC2:TIDIG_COMP_CNT: 0
; COMPUTE_PGM_RSRC3_GFX90A:ACCUM_OFFSET: 0
; COMPUTE_PGM_RSRC3_GFX90A:TG_SPLIT: 0
	.section	.text._ZN7rocprim17ROCPRIM_400000_NS6detail17trampoline_kernelINS0_14default_configENS1_20scan_config_selectorIjEEZZNS1_9scan_implILNS1_25lookback_scan_determinismE0ELb1ELb1ES3_N6thrust23THRUST_200600_302600_NS6detail15normal_iteratorINS9_10device_ptrIjEEEENS9_16discard_iteratorINS9_11use_defaultEEEj11max_functorIjEjEEDaPvRmT3_T4_T5_mT6_P12ihipStream_tbENKUlT_T0_E_clISt17integral_constantIbLb1EESX_EEDaSS_ST_EUlSS_E0_NS1_11comp_targetILNS1_3genE8ELNS1_11target_archE1030ELNS1_3gpuE2ELNS1_3repE0EEENS1_30default_config_static_selectorELNS0_4arch9wavefront6targetE1EEEvT1_,"axG",@progbits,_ZN7rocprim17ROCPRIM_400000_NS6detail17trampoline_kernelINS0_14default_configENS1_20scan_config_selectorIjEEZZNS1_9scan_implILNS1_25lookback_scan_determinismE0ELb1ELb1ES3_N6thrust23THRUST_200600_302600_NS6detail15normal_iteratorINS9_10device_ptrIjEEEENS9_16discard_iteratorINS9_11use_defaultEEEj11max_functorIjEjEEDaPvRmT3_T4_T5_mT6_P12ihipStream_tbENKUlT_T0_E_clISt17integral_constantIbLb1EESX_EEDaSS_ST_EUlSS_E0_NS1_11comp_targetILNS1_3genE8ELNS1_11target_archE1030ELNS1_3gpuE2ELNS1_3repE0EEENS1_30default_config_static_selectorELNS0_4arch9wavefront6targetE1EEEvT1_,comdat
	.protected	_ZN7rocprim17ROCPRIM_400000_NS6detail17trampoline_kernelINS0_14default_configENS1_20scan_config_selectorIjEEZZNS1_9scan_implILNS1_25lookback_scan_determinismE0ELb1ELb1ES3_N6thrust23THRUST_200600_302600_NS6detail15normal_iteratorINS9_10device_ptrIjEEEENS9_16discard_iteratorINS9_11use_defaultEEEj11max_functorIjEjEEDaPvRmT3_T4_T5_mT6_P12ihipStream_tbENKUlT_T0_E_clISt17integral_constantIbLb1EESX_EEDaSS_ST_EUlSS_E0_NS1_11comp_targetILNS1_3genE8ELNS1_11target_archE1030ELNS1_3gpuE2ELNS1_3repE0EEENS1_30default_config_static_selectorELNS0_4arch9wavefront6targetE1EEEvT1_ ; -- Begin function _ZN7rocprim17ROCPRIM_400000_NS6detail17trampoline_kernelINS0_14default_configENS1_20scan_config_selectorIjEEZZNS1_9scan_implILNS1_25lookback_scan_determinismE0ELb1ELb1ES3_N6thrust23THRUST_200600_302600_NS6detail15normal_iteratorINS9_10device_ptrIjEEEENS9_16discard_iteratorINS9_11use_defaultEEEj11max_functorIjEjEEDaPvRmT3_T4_T5_mT6_P12ihipStream_tbENKUlT_T0_E_clISt17integral_constantIbLb1EESX_EEDaSS_ST_EUlSS_E0_NS1_11comp_targetILNS1_3genE8ELNS1_11target_archE1030ELNS1_3gpuE2ELNS1_3repE0EEENS1_30default_config_static_selectorELNS0_4arch9wavefront6targetE1EEEvT1_
	.globl	_ZN7rocprim17ROCPRIM_400000_NS6detail17trampoline_kernelINS0_14default_configENS1_20scan_config_selectorIjEEZZNS1_9scan_implILNS1_25lookback_scan_determinismE0ELb1ELb1ES3_N6thrust23THRUST_200600_302600_NS6detail15normal_iteratorINS9_10device_ptrIjEEEENS9_16discard_iteratorINS9_11use_defaultEEEj11max_functorIjEjEEDaPvRmT3_T4_T5_mT6_P12ihipStream_tbENKUlT_T0_E_clISt17integral_constantIbLb1EESX_EEDaSS_ST_EUlSS_E0_NS1_11comp_targetILNS1_3genE8ELNS1_11target_archE1030ELNS1_3gpuE2ELNS1_3repE0EEENS1_30default_config_static_selectorELNS0_4arch9wavefront6targetE1EEEvT1_
	.p2align	8
	.type	_ZN7rocprim17ROCPRIM_400000_NS6detail17trampoline_kernelINS0_14default_configENS1_20scan_config_selectorIjEEZZNS1_9scan_implILNS1_25lookback_scan_determinismE0ELb1ELb1ES3_N6thrust23THRUST_200600_302600_NS6detail15normal_iteratorINS9_10device_ptrIjEEEENS9_16discard_iteratorINS9_11use_defaultEEEj11max_functorIjEjEEDaPvRmT3_T4_T5_mT6_P12ihipStream_tbENKUlT_T0_E_clISt17integral_constantIbLb1EESX_EEDaSS_ST_EUlSS_E0_NS1_11comp_targetILNS1_3genE8ELNS1_11target_archE1030ELNS1_3gpuE2ELNS1_3repE0EEENS1_30default_config_static_selectorELNS0_4arch9wavefront6targetE1EEEvT1_,@function
_ZN7rocprim17ROCPRIM_400000_NS6detail17trampoline_kernelINS0_14default_configENS1_20scan_config_selectorIjEEZZNS1_9scan_implILNS1_25lookback_scan_determinismE0ELb1ELb1ES3_N6thrust23THRUST_200600_302600_NS6detail15normal_iteratorINS9_10device_ptrIjEEEENS9_16discard_iteratorINS9_11use_defaultEEEj11max_functorIjEjEEDaPvRmT3_T4_T5_mT6_P12ihipStream_tbENKUlT_T0_E_clISt17integral_constantIbLb1EESX_EEDaSS_ST_EUlSS_E0_NS1_11comp_targetILNS1_3genE8ELNS1_11target_archE1030ELNS1_3gpuE2ELNS1_3repE0EEENS1_30default_config_static_selectorELNS0_4arch9wavefront6targetE1EEEvT1_: ; @_ZN7rocprim17ROCPRIM_400000_NS6detail17trampoline_kernelINS0_14default_configENS1_20scan_config_selectorIjEEZZNS1_9scan_implILNS1_25lookback_scan_determinismE0ELb1ELb1ES3_N6thrust23THRUST_200600_302600_NS6detail15normal_iteratorINS9_10device_ptrIjEEEENS9_16discard_iteratorINS9_11use_defaultEEEj11max_functorIjEjEEDaPvRmT3_T4_T5_mT6_P12ihipStream_tbENKUlT_T0_E_clISt17integral_constantIbLb1EESX_EEDaSS_ST_EUlSS_E0_NS1_11comp_targetILNS1_3genE8ELNS1_11target_archE1030ELNS1_3gpuE2ELNS1_3repE0EEENS1_30default_config_static_selectorELNS0_4arch9wavefront6targetE1EEEvT1_
; %bb.0:
	.section	.rodata,"a",@progbits
	.p2align	6, 0x0
	.amdhsa_kernel _ZN7rocprim17ROCPRIM_400000_NS6detail17trampoline_kernelINS0_14default_configENS1_20scan_config_selectorIjEEZZNS1_9scan_implILNS1_25lookback_scan_determinismE0ELb1ELb1ES3_N6thrust23THRUST_200600_302600_NS6detail15normal_iteratorINS9_10device_ptrIjEEEENS9_16discard_iteratorINS9_11use_defaultEEEj11max_functorIjEjEEDaPvRmT3_T4_T5_mT6_P12ihipStream_tbENKUlT_T0_E_clISt17integral_constantIbLb1EESX_EEDaSS_ST_EUlSS_E0_NS1_11comp_targetILNS1_3genE8ELNS1_11target_archE1030ELNS1_3gpuE2ELNS1_3repE0EEENS1_30default_config_static_selectorELNS0_4arch9wavefront6targetE1EEEvT1_
		.amdhsa_group_segment_fixed_size 0
		.amdhsa_private_segment_fixed_size 0
		.amdhsa_kernarg_size 40
		.amdhsa_user_sgpr_count 6
		.amdhsa_user_sgpr_private_segment_buffer 1
		.amdhsa_user_sgpr_dispatch_ptr 0
		.amdhsa_user_sgpr_queue_ptr 0
		.amdhsa_user_sgpr_kernarg_segment_ptr 1
		.amdhsa_user_sgpr_dispatch_id 0
		.amdhsa_user_sgpr_flat_scratch_init 0
		.amdhsa_user_sgpr_kernarg_preload_length 0
		.amdhsa_user_sgpr_kernarg_preload_offset 0
		.amdhsa_user_sgpr_private_segment_size 0
		.amdhsa_uses_dynamic_stack 0
		.amdhsa_system_sgpr_private_segment_wavefront_offset 0
		.amdhsa_system_sgpr_workgroup_id_x 1
		.amdhsa_system_sgpr_workgroup_id_y 0
		.amdhsa_system_sgpr_workgroup_id_z 0
		.amdhsa_system_sgpr_workgroup_info 0
		.amdhsa_system_vgpr_workitem_id 0
		.amdhsa_next_free_vgpr 1
		.amdhsa_next_free_sgpr 0
		.amdhsa_accum_offset 4
		.amdhsa_reserve_vcc 0
		.amdhsa_reserve_flat_scratch 0
		.amdhsa_float_round_mode_32 0
		.amdhsa_float_round_mode_16_64 0
		.amdhsa_float_denorm_mode_32 3
		.amdhsa_float_denorm_mode_16_64 3
		.amdhsa_dx10_clamp 1
		.amdhsa_ieee_mode 1
		.amdhsa_fp16_overflow 0
		.amdhsa_tg_split 0
		.amdhsa_exception_fp_ieee_invalid_op 0
		.amdhsa_exception_fp_denorm_src 0
		.amdhsa_exception_fp_ieee_div_zero 0
		.amdhsa_exception_fp_ieee_overflow 0
		.amdhsa_exception_fp_ieee_underflow 0
		.amdhsa_exception_fp_ieee_inexact 0
		.amdhsa_exception_int_div_zero 0
	.end_amdhsa_kernel
	.section	.text._ZN7rocprim17ROCPRIM_400000_NS6detail17trampoline_kernelINS0_14default_configENS1_20scan_config_selectorIjEEZZNS1_9scan_implILNS1_25lookback_scan_determinismE0ELb1ELb1ES3_N6thrust23THRUST_200600_302600_NS6detail15normal_iteratorINS9_10device_ptrIjEEEENS9_16discard_iteratorINS9_11use_defaultEEEj11max_functorIjEjEEDaPvRmT3_T4_T5_mT6_P12ihipStream_tbENKUlT_T0_E_clISt17integral_constantIbLb1EESX_EEDaSS_ST_EUlSS_E0_NS1_11comp_targetILNS1_3genE8ELNS1_11target_archE1030ELNS1_3gpuE2ELNS1_3repE0EEENS1_30default_config_static_selectorELNS0_4arch9wavefront6targetE1EEEvT1_,"axG",@progbits,_ZN7rocprim17ROCPRIM_400000_NS6detail17trampoline_kernelINS0_14default_configENS1_20scan_config_selectorIjEEZZNS1_9scan_implILNS1_25lookback_scan_determinismE0ELb1ELb1ES3_N6thrust23THRUST_200600_302600_NS6detail15normal_iteratorINS9_10device_ptrIjEEEENS9_16discard_iteratorINS9_11use_defaultEEEj11max_functorIjEjEEDaPvRmT3_T4_T5_mT6_P12ihipStream_tbENKUlT_T0_E_clISt17integral_constantIbLb1EESX_EEDaSS_ST_EUlSS_E0_NS1_11comp_targetILNS1_3genE8ELNS1_11target_archE1030ELNS1_3gpuE2ELNS1_3repE0EEENS1_30default_config_static_selectorELNS0_4arch9wavefront6targetE1EEEvT1_,comdat
.Lfunc_end3529:
	.size	_ZN7rocprim17ROCPRIM_400000_NS6detail17trampoline_kernelINS0_14default_configENS1_20scan_config_selectorIjEEZZNS1_9scan_implILNS1_25lookback_scan_determinismE0ELb1ELb1ES3_N6thrust23THRUST_200600_302600_NS6detail15normal_iteratorINS9_10device_ptrIjEEEENS9_16discard_iteratorINS9_11use_defaultEEEj11max_functorIjEjEEDaPvRmT3_T4_T5_mT6_P12ihipStream_tbENKUlT_T0_E_clISt17integral_constantIbLb1EESX_EEDaSS_ST_EUlSS_E0_NS1_11comp_targetILNS1_3genE8ELNS1_11target_archE1030ELNS1_3gpuE2ELNS1_3repE0EEENS1_30default_config_static_selectorELNS0_4arch9wavefront6targetE1EEEvT1_, .Lfunc_end3529-_ZN7rocprim17ROCPRIM_400000_NS6detail17trampoline_kernelINS0_14default_configENS1_20scan_config_selectorIjEEZZNS1_9scan_implILNS1_25lookback_scan_determinismE0ELb1ELb1ES3_N6thrust23THRUST_200600_302600_NS6detail15normal_iteratorINS9_10device_ptrIjEEEENS9_16discard_iteratorINS9_11use_defaultEEEj11max_functorIjEjEEDaPvRmT3_T4_T5_mT6_P12ihipStream_tbENKUlT_T0_E_clISt17integral_constantIbLb1EESX_EEDaSS_ST_EUlSS_E0_NS1_11comp_targetILNS1_3genE8ELNS1_11target_archE1030ELNS1_3gpuE2ELNS1_3repE0EEENS1_30default_config_static_selectorELNS0_4arch9wavefront6targetE1EEEvT1_
                                        ; -- End function
	.section	.AMDGPU.csdata,"",@progbits
; Kernel info:
; codeLenInByte = 0
; NumSgprs: 4
; NumVgprs: 0
; NumAgprs: 0
; TotalNumVgprs: 0
; ScratchSize: 0
; MemoryBound: 0
; FloatMode: 240
; IeeeMode: 1
; LDSByteSize: 0 bytes/workgroup (compile time only)
; SGPRBlocks: 0
; VGPRBlocks: 0
; NumSGPRsForWavesPerEU: 4
; NumVGPRsForWavesPerEU: 1
; AccumOffset: 4
; Occupancy: 8
; WaveLimiterHint : 0
; COMPUTE_PGM_RSRC2:SCRATCH_EN: 0
; COMPUTE_PGM_RSRC2:USER_SGPR: 6
; COMPUTE_PGM_RSRC2:TRAP_HANDLER: 0
; COMPUTE_PGM_RSRC2:TGID_X_EN: 1
; COMPUTE_PGM_RSRC2:TGID_Y_EN: 0
; COMPUTE_PGM_RSRC2:TGID_Z_EN: 0
; COMPUTE_PGM_RSRC2:TIDIG_COMP_CNT: 0
; COMPUTE_PGM_RSRC3_GFX90A:ACCUM_OFFSET: 0
; COMPUTE_PGM_RSRC3_GFX90A:TG_SPLIT: 0
	.section	.text._ZN7rocprim17ROCPRIM_400000_NS6detail17trampoline_kernelINS0_14default_configENS1_20scan_config_selectorIjEEZZNS1_9scan_implILNS1_25lookback_scan_determinismE0ELb1ELb1ES3_N6thrust23THRUST_200600_302600_NS6detail15normal_iteratorINS9_10device_ptrIjEEEENS9_16discard_iteratorINS9_11use_defaultEEEj11max_functorIjEjEEDaPvRmT3_T4_T5_mT6_P12ihipStream_tbENKUlT_T0_E_clISt17integral_constantIbLb1EESW_IbLb0EEEEDaSS_ST_EUlSS_E_NS1_11comp_targetILNS1_3genE0ELNS1_11target_archE4294967295ELNS1_3gpuE0ELNS1_3repE0EEENS1_30default_config_static_selectorELNS0_4arch9wavefront6targetE1EEEvT1_,"axG",@progbits,_ZN7rocprim17ROCPRIM_400000_NS6detail17trampoline_kernelINS0_14default_configENS1_20scan_config_selectorIjEEZZNS1_9scan_implILNS1_25lookback_scan_determinismE0ELb1ELb1ES3_N6thrust23THRUST_200600_302600_NS6detail15normal_iteratorINS9_10device_ptrIjEEEENS9_16discard_iteratorINS9_11use_defaultEEEj11max_functorIjEjEEDaPvRmT3_T4_T5_mT6_P12ihipStream_tbENKUlT_T0_E_clISt17integral_constantIbLb1EESW_IbLb0EEEEDaSS_ST_EUlSS_E_NS1_11comp_targetILNS1_3genE0ELNS1_11target_archE4294967295ELNS1_3gpuE0ELNS1_3repE0EEENS1_30default_config_static_selectorELNS0_4arch9wavefront6targetE1EEEvT1_,comdat
	.protected	_ZN7rocprim17ROCPRIM_400000_NS6detail17trampoline_kernelINS0_14default_configENS1_20scan_config_selectorIjEEZZNS1_9scan_implILNS1_25lookback_scan_determinismE0ELb1ELb1ES3_N6thrust23THRUST_200600_302600_NS6detail15normal_iteratorINS9_10device_ptrIjEEEENS9_16discard_iteratorINS9_11use_defaultEEEj11max_functorIjEjEEDaPvRmT3_T4_T5_mT6_P12ihipStream_tbENKUlT_T0_E_clISt17integral_constantIbLb1EESW_IbLb0EEEEDaSS_ST_EUlSS_E_NS1_11comp_targetILNS1_3genE0ELNS1_11target_archE4294967295ELNS1_3gpuE0ELNS1_3repE0EEENS1_30default_config_static_selectorELNS0_4arch9wavefront6targetE1EEEvT1_ ; -- Begin function _ZN7rocprim17ROCPRIM_400000_NS6detail17trampoline_kernelINS0_14default_configENS1_20scan_config_selectorIjEEZZNS1_9scan_implILNS1_25lookback_scan_determinismE0ELb1ELb1ES3_N6thrust23THRUST_200600_302600_NS6detail15normal_iteratorINS9_10device_ptrIjEEEENS9_16discard_iteratorINS9_11use_defaultEEEj11max_functorIjEjEEDaPvRmT3_T4_T5_mT6_P12ihipStream_tbENKUlT_T0_E_clISt17integral_constantIbLb1EESW_IbLb0EEEEDaSS_ST_EUlSS_E_NS1_11comp_targetILNS1_3genE0ELNS1_11target_archE4294967295ELNS1_3gpuE0ELNS1_3repE0EEENS1_30default_config_static_selectorELNS0_4arch9wavefront6targetE1EEEvT1_
	.globl	_ZN7rocprim17ROCPRIM_400000_NS6detail17trampoline_kernelINS0_14default_configENS1_20scan_config_selectorIjEEZZNS1_9scan_implILNS1_25lookback_scan_determinismE0ELb1ELb1ES3_N6thrust23THRUST_200600_302600_NS6detail15normal_iteratorINS9_10device_ptrIjEEEENS9_16discard_iteratorINS9_11use_defaultEEEj11max_functorIjEjEEDaPvRmT3_T4_T5_mT6_P12ihipStream_tbENKUlT_T0_E_clISt17integral_constantIbLb1EESW_IbLb0EEEEDaSS_ST_EUlSS_E_NS1_11comp_targetILNS1_3genE0ELNS1_11target_archE4294967295ELNS1_3gpuE0ELNS1_3repE0EEENS1_30default_config_static_selectorELNS0_4arch9wavefront6targetE1EEEvT1_
	.p2align	8
	.type	_ZN7rocprim17ROCPRIM_400000_NS6detail17trampoline_kernelINS0_14default_configENS1_20scan_config_selectorIjEEZZNS1_9scan_implILNS1_25lookback_scan_determinismE0ELb1ELb1ES3_N6thrust23THRUST_200600_302600_NS6detail15normal_iteratorINS9_10device_ptrIjEEEENS9_16discard_iteratorINS9_11use_defaultEEEj11max_functorIjEjEEDaPvRmT3_T4_T5_mT6_P12ihipStream_tbENKUlT_T0_E_clISt17integral_constantIbLb1EESW_IbLb0EEEEDaSS_ST_EUlSS_E_NS1_11comp_targetILNS1_3genE0ELNS1_11target_archE4294967295ELNS1_3gpuE0ELNS1_3repE0EEENS1_30default_config_static_selectorELNS0_4arch9wavefront6targetE1EEEvT1_,@function
_ZN7rocprim17ROCPRIM_400000_NS6detail17trampoline_kernelINS0_14default_configENS1_20scan_config_selectorIjEEZZNS1_9scan_implILNS1_25lookback_scan_determinismE0ELb1ELb1ES3_N6thrust23THRUST_200600_302600_NS6detail15normal_iteratorINS9_10device_ptrIjEEEENS9_16discard_iteratorINS9_11use_defaultEEEj11max_functorIjEjEEDaPvRmT3_T4_T5_mT6_P12ihipStream_tbENKUlT_T0_E_clISt17integral_constantIbLb1EESW_IbLb0EEEEDaSS_ST_EUlSS_E_NS1_11comp_targetILNS1_3genE0ELNS1_11target_archE4294967295ELNS1_3gpuE0ELNS1_3repE0EEENS1_30default_config_static_selectorELNS0_4arch9wavefront6targetE1EEEvT1_: ; @_ZN7rocprim17ROCPRIM_400000_NS6detail17trampoline_kernelINS0_14default_configENS1_20scan_config_selectorIjEEZZNS1_9scan_implILNS1_25lookback_scan_determinismE0ELb1ELb1ES3_N6thrust23THRUST_200600_302600_NS6detail15normal_iteratorINS9_10device_ptrIjEEEENS9_16discard_iteratorINS9_11use_defaultEEEj11max_functorIjEjEEDaPvRmT3_T4_T5_mT6_P12ihipStream_tbENKUlT_T0_E_clISt17integral_constantIbLb1EESW_IbLb0EEEEDaSS_ST_EUlSS_E_NS1_11comp_targetILNS1_3genE0ELNS1_11target_archE4294967295ELNS1_3gpuE0ELNS1_3repE0EEENS1_30default_config_static_selectorELNS0_4arch9wavefront6targetE1EEEvT1_
; %bb.0:
	.section	.rodata,"a",@progbits
	.p2align	6, 0x0
	.amdhsa_kernel _ZN7rocprim17ROCPRIM_400000_NS6detail17trampoline_kernelINS0_14default_configENS1_20scan_config_selectorIjEEZZNS1_9scan_implILNS1_25lookback_scan_determinismE0ELb1ELb1ES3_N6thrust23THRUST_200600_302600_NS6detail15normal_iteratorINS9_10device_ptrIjEEEENS9_16discard_iteratorINS9_11use_defaultEEEj11max_functorIjEjEEDaPvRmT3_T4_T5_mT6_P12ihipStream_tbENKUlT_T0_E_clISt17integral_constantIbLb1EESW_IbLb0EEEEDaSS_ST_EUlSS_E_NS1_11comp_targetILNS1_3genE0ELNS1_11target_archE4294967295ELNS1_3gpuE0ELNS1_3repE0EEENS1_30default_config_static_selectorELNS0_4arch9wavefront6targetE1EEEvT1_
		.amdhsa_group_segment_fixed_size 0
		.amdhsa_private_segment_fixed_size 0
		.amdhsa_kernarg_size 104
		.amdhsa_user_sgpr_count 6
		.amdhsa_user_sgpr_private_segment_buffer 1
		.amdhsa_user_sgpr_dispatch_ptr 0
		.amdhsa_user_sgpr_queue_ptr 0
		.amdhsa_user_sgpr_kernarg_segment_ptr 1
		.amdhsa_user_sgpr_dispatch_id 0
		.amdhsa_user_sgpr_flat_scratch_init 0
		.amdhsa_user_sgpr_kernarg_preload_length 0
		.amdhsa_user_sgpr_kernarg_preload_offset 0
		.amdhsa_user_sgpr_private_segment_size 0
		.amdhsa_uses_dynamic_stack 0
		.amdhsa_system_sgpr_private_segment_wavefront_offset 0
		.amdhsa_system_sgpr_workgroup_id_x 1
		.amdhsa_system_sgpr_workgroup_id_y 0
		.amdhsa_system_sgpr_workgroup_id_z 0
		.amdhsa_system_sgpr_workgroup_info 0
		.amdhsa_system_vgpr_workitem_id 0
		.amdhsa_next_free_vgpr 1
		.amdhsa_next_free_sgpr 0
		.amdhsa_accum_offset 4
		.amdhsa_reserve_vcc 0
		.amdhsa_reserve_flat_scratch 0
		.amdhsa_float_round_mode_32 0
		.amdhsa_float_round_mode_16_64 0
		.amdhsa_float_denorm_mode_32 3
		.amdhsa_float_denorm_mode_16_64 3
		.amdhsa_dx10_clamp 1
		.amdhsa_ieee_mode 1
		.amdhsa_fp16_overflow 0
		.amdhsa_tg_split 0
		.amdhsa_exception_fp_ieee_invalid_op 0
		.amdhsa_exception_fp_denorm_src 0
		.amdhsa_exception_fp_ieee_div_zero 0
		.amdhsa_exception_fp_ieee_overflow 0
		.amdhsa_exception_fp_ieee_underflow 0
		.amdhsa_exception_fp_ieee_inexact 0
		.amdhsa_exception_int_div_zero 0
	.end_amdhsa_kernel
	.section	.text._ZN7rocprim17ROCPRIM_400000_NS6detail17trampoline_kernelINS0_14default_configENS1_20scan_config_selectorIjEEZZNS1_9scan_implILNS1_25lookback_scan_determinismE0ELb1ELb1ES3_N6thrust23THRUST_200600_302600_NS6detail15normal_iteratorINS9_10device_ptrIjEEEENS9_16discard_iteratorINS9_11use_defaultEEEj11max_functorIjEjEEDaPvRmT3_T4_T5_mT6_P12ihipStream_tbENKUlT_T0_E_clISt17integral_constantIbLb1EESW_IbLb0EEEEDaSS_ST_EUlSS_E_NS1_11comp_targetILNS1_3genE0ELNS1_11target_archE4294967295ELNS1_3gpuE0ELNS1_3repE0EEENS1_30default_config_static_selectorELNS0_4arch9wavefront6targetE1EEEvT1_,"axG",@progbits,_ZN7rocprim17ROCPRIM_400000_NS6detail17trampoline_kernelINS0_14default_configENS1_20scan_config_selectorIjEEZZNS1_9scan_implILNS1_25lookback_scan_determinismE0ELb1ELb1ES3_N6thrust23THRUST_200600_302600_NS6detail15normal_iteratorINS9_10device_ptrIjEEEENS9_16discard_iteratorINS9_11use_defaultEEEj11max_functorIjEjEEDaPvRmT3_T4_T5_mT6_P12ihipStream_tbENKUlT_T0_E_clISt17integral_constantIbLb1EESW_IbLb0EEEEDaSS_ST_EUlSS_E_NS1_11comp_targetILNS1_3genE0ELNS1_11target_archE4294967295ELNS1_3gpuE0ELNS1_3repE0EEENS1_30default_config_static_selectorELNS0_4arch9wavefront6targetE1EEEvT1_,comdat
.Lfunc_end3530:
	.size	_ZN7rocprim17ROCPRIM_400000_NS6detail17trampoline_kernelINS0_14default_configENS1_20scan_config_selectorIjEEZZNS1_9scan_implILNS1_25lookback_scan_determinismE0ELb1ELb1ES3_N6thrust23THRUST_200600_302600_NS6detail15normal_iteratorINS9_10device_ptrIjEEEENS9_16discard_iteratorINS9_11use_defaultEEEj11max_functorIjEjEEDaPvRmT3_T4_T5_mT6_P12ihipStream_tbENKUlT_T0_E_clISt17integral_constantIbLb1EESW_IbLb0EEEEDaSS_ST_EUlSS_E_NS1_11comp_targetILNS1_3genE0ELNS1_11target_archE4294967295ELNS1_3gpuE0ELNS1_3repE0EEENS1_30default_config_static_selectorELNS0_4arch9wavefront6targetE1EEEvT1_, .Lfunc_end3530-_ZN7rocprim17ROCPRIM_400000_NS6detail17trampoline_kernelINS0_14default_configENS1_20scan_config_selectorIjEEZZNS1_9scan_implILNS1_25lookback_scan_determinismE0ELb1ELb1ES3_N6thrust23THRUST_200600_302600_NS6detail15normal_iteratorINS9_10device_ptrIjEEEENS9_16discard_iteratorINS9_11use_defaultEEEj11max_functorIjEjEEDaPvRmT3_T4_T5_mT6_P12ihipStream_tbENKUlT_T0_E_clISt17integral_constantIbLb1EESW_IbLb0EEEEDaSS_ST_EUlSS_E_NS1_11comp_targetILNS1_3genE0ELNS1_11target_archE4294967295ELNS1_3gpuE0ELNS1_3repE0EEENS1_30default_config_static_selectorELNS0_4arch9wavefront6targetE1EEEvT1_
                                        ; -- End function
	.section	.AMDGPU.csdata,"",@progbits
; Kernel info:
; codeLenInByte = 0
; NumSgprs: 4
; NumVgprs: 0
; NumAgprs: 0
; TotalNumVgprs: 0
; ScratchSize: 0
; MemoryBound: 0
; FloatMode: 240
; IeeeMode: 1
; LDSByteSize: 0 bytes/workgroup (compile time only)
; SGPRBlocks: 0
; VGPRBlocks: 0
; NumSGPRsForWavesPerEU: 4
; NumVGPRsForWavesPerEU: 1
; AccumOffset: 4
; Occupancy: 8
; WaveLimiterHint : 0
; COMPUTE_PGM_RSRC2:SCRATCH_EN: 0
; COMPUTE_PGM_RSRC2:USER_SGPR: 6
; COMPUTE_PGM_RSRC2:TRAP_HANDLER: 0
; COMPUTE_PGM_RSRC2:TGID_X_EN: 1
; COMPUTE_PGM_RSRC2:TGID_Y_EN: 0
; COMPUTE_PGM_RSRC2:TGID_Z_EN: 0
; COMPUTE_PGM_RSRC2:TIDIG_COMP_CNT: 0
; COMPUTE_PGM_RSRC3_GFX90A:ACCUM_OFFSET: 0
; COMPUTE_PGM_RSRC3_GFX90A:TG_SPLIT: 0
	.section	.text._ZN7rocprim17ROCPRIM_400000_NS6detail17trampoline_kernelINS0_14default_configENS1_20scan_config_selectorIjEEZZNS1_9scan_implILNS1_25lookback_scan_determinismE0ELb1ELb1ES3_N6thrust23THRUST_200600_302600_NS6detail15normal_iteratorINS9_10device_ptrIjEEEENS9_16discard_iteratorINS9_11use_defaultEEEj11max_functorIjEjEEDaPvRmT3_T4_T5_mT6_P12ihipStream_tbENKUlT_T0_E_clISt17integral_constantIbLb1EESW_IbLb0EEEEDaSS_ST_EUlSS_E_NS1_11comp_targetILNS1_3genE5ELNS1_11target_archE942ELNS1_3gpuE9ELNS1_3repE0EEENS1_30default_config_static_selectorELNS0_4arch9wavefront6targetE1EEEvT1_,"axG",@progbits,_ZN7rocprim17ROCPRIM_400000_NS6detail17trampoline_kernelINS0_14default_configENS1_20scan_config_selectorIjEEZZNS1_9scan_implILNS1_25lookback_scan_determinismE0ELb1ELb1ES3_N6thrust23THRUST_200600_302600_NS6detail15normal_iteratorINS9_10device_ptrIjEEEENS9_16discard_iteratorINS9_11use_defaultEEEj11max_functorIjEjEEDaPvRmT3_T4_T5_mT6_P12ihipStream_tbENKUlT_T0_E_clISt17integral_constantIbLb1EESW_IbLb0EEEEDaSS_ST_EUlSS_E_NS1_11comp_targetILNS1_3genE5ELNS1_11target_archE942ELNS1_3gpuE9ELNS1_3repE0EEENS1_30default_config_static_selectorELNS0_4arch9wavefront6targetE1EEEvT1_,comdat
	.protected	_ZN7rocprim17ROCPRIM_400000_NS6detail17trampoline_kernelINS0_14default_configENS1_20scan_config_selectorIjEEZZNS1_9scan_implILNS1_25lookback_scan_determinismE0ELb1ELb1ES3_N6thrust23THRUST_200600_302600_NS6detail15normal_iteratorINS9_10device_ptrIjEEEENS9_16discard_iteratorINS9_11use_defaultEEEj11max_functorIjEjEEDaPvRmT3_T4_T5_mT6_P12ihipStream_tbENKUlT_T0_E_clISt17integral_constantIbLb1EESW_IbLb0EEEEDaSS_ST_EUlSS_E_NS1_11comp_targetILNS1_3genE5ELNS1_11target_archE942ELNS1_3gpuE9ELNS1_3repE0EEENS1_30default_config_static_selectorELNS0_4arch9wavefront6targetE1EEEvT1_ ; -- Begin function _ZN7rocprim17ROCPRIM_400000_NS6detail17trampoline_kernelINS0_14default_configENS1_20scan_config_selectorIjEEZZNS1_9scan_implILNS1_25lookback_scan_determinismE0ELb1ELb1ES3_N6thrust23THRUST_200600_302600_NS6detail15normal_iteratorINS9_10device_ptrIjEEEENS9_16discard_iteratorINS9_11use_defaultEEEj11max_functorIjEjEEDaPvRmT3_T4_T5_mT6_P12ihipStream_tbENKUlT_T0_E_clISt17integral_constantIbLb1EESW_IbLb0EEEEDaSS_ST_EUlSS_E_NS1_11comp_targetILNS1_3genE5ELNS1_11target_archE942ELNS1_3gpuE9ELNS1_3repE0EEENS1_30default_config_static_selectorELNS0_4arch9wavefront6targetE1EEEvT1_
	.globl	_ZN7rocprim17ROCPRIM_400000_NS6detail17trampoline_kernelINS0_14default_configENS1_20scan_config_selectorIjEEZZNS1_9scan_implILNS1_25lookback_scan_determinismE0ELb1ELb1ES3_N6thrust23THRUST_200600_302600_NS6detail15normal_iteratorINS9_10device_ptrIjEEEENS9_16discard_iteratorINS9_11use_defaultEEEj11max_functorIjEjEEDaPvRmT3_T4_T5_mT6_P12ihipStream_tbENKUlT_T0_E_clISt17integral_constantIbLb1EESW_IbLb0EEEEDaSS_ST_EUlSS_E_NS1_11comp_targetILNS1_3genE5ELNS1_11target_archE942ELNS1_3gpuE9ELNS1_3repE0EEENS1_30default_config_static_selectorELNS0_4arch9wavefront6targetE1EEEvT1_
	.p2align	8
	.type	_ZN7rocprim17ROCPRIM_400000_NS6detail17trampoline_kernelINS0_14default_configENS1_20scan_config_selectorIjEEZZNS1_9scan_implILNS1_25lookback_scan_determinismE0ELb1ELb1ES3_N6thrust23THRUST_200600_302600_NS6detail15normal_iteratorINS9_10device_ptrIjEEEENS9_16discard_iteratorINS9_11use_defaultEEEj11max_functorIjEjEEDaPvRmT3_T4_T5_mT6_P12ihipStream_tbENKUlT_T0_E_clISt17integral_constantIbLb1EESW_IbLb0EEEEDaSS_ST_EUlSS_E_NS1_11comp_targetILNS1_3genE5ELNS1_11target_archE942ELNS1_3gpuE9ELNS1_3repE0EEENS1_30default_config_static_selectorELNS0_4arch9wavefront6targetE1EEEvT1_,@function
_ZN7rocprim17ROCPRIM_400000_NS6detail17trampoline_kernelINS0_14default_configENS1_20scan_config_selectorIjEEZZNS1_9scan_implILNS1_25lookback_scan_determinismE0ELb1ELb1ES3_N6thrust23THRUST_200600_302600_NS6detail15normal_iteratorINS9_10device_ptrIjEEEENS9_16discard_iteratorINS9_11use_defaultEEEj11max_functorIjEjEEDaPvRmT3_T4_T5_mT6_P12ihipStream_tbENKUlT_T0_E_clISt17integral_constantIbLb1EESW_IbLb0EEEEDaSS_ST_EUlSS_E_NS1_11comp_targetILNS1_3genE5ELNS1_11target_archE942ELNS1_3gpuE9ELNS1_3repE0EEENS1_30default_config_static_selectorELNS0_4arch9wavefront6targetE1EEEvT1_: ; @_ZN7rocprim17ROCPRIM_400000_NS6detail17trampoline_kernelINS0_14default_configENS1_20scan_config_selectorIjEEZZNS1_9scan_implILNS1_25lookback_scan_determinismE0ELb1ELb1ES3_N6thrust23THRUST_200600_302600_NS6detail15normal_iteratorINS9_10device_ptrIjEEEENS9_16discard_iteratorINS9_11use_defaultEEEj11max_functorIjEjEEDaPvRmT3_T4_T5_mT6_P12ihipStream_tbENKUlT_T0_E_clISt17integral_constantIbLb1EESW_IbLb0EEEEDaSS_ST_EUlSS_E_NS1_11comp_targetILNS1_3genE5ELNS1_11target_archE942ELNS1_3gpuE9ELNS1_3repE0EEENS1_30default_config_static_selectorELNS0_4arch9wavefront6targetE1EEEvT1_
; %bb.0:
	.section	.rodata,"a",@progbits
	.p2align	6, 0x0
	.amdhsa_kernel _ZN7rocprim17ROCPRIM_400000_NS6detail17trampoline_kernelINS0_14default_configENS1_20scan_config_selectorIjEEZZNS1_9scan_implILNS1_25lookback_scan_determinismE0ELb1ELb1ES3_N6thrust23THRUST_200600_302600_NS6detail15normal_iteratorINS9_10device_ptrIjEEEENS9_16discard_iteratorINS9_11use_defaultEEEj11max_functorIjEjEEDaPvRmT3_T4_T5_mT6_P12ihipStream_tbENKUlT_T0_E_clISt17integral_constantIbLb1EESW_IbLb0EEEEDaSS_ST_EUlSS_E_NS1_11comp_targetILNS1_3genE5ELNS1_11target_archE942ELNS1_3gpuE9ELNS1_3repE0EEENS1_30default_config_static_selectorELNS0_4arch9wavefront6targetE1EEEvT1_
		.amdhsa_group_segment_fixed_size 0
		.amdhsa_private_segment_fixed_size 0
		.amdhsa_kernarg_size 104
		.amdhsa_user_sgpr_count 6
		.amdhsa_user_sgpr_private_segment_buffer 1
		.amdhsa_user_sgpr_dispatch_ptr 0
		.amdhsa_user_sgpr_queue_ptr 0
		.amdhsa_user_sgpr_kernarg_segment_ptr 1
		.amdhsa_user_sgpr_dispatch_id 0
		.amdhsa_user_sgpr_flat_scratch_init 0
		.amdhsa_user_sgpr_kernarg_preload_length 0
		.amdhsa_user_sgpr_kernarg_preload_offset 0
		.amdhsa_user_sgpr_private_segment_size 0
		.amdhsa_uses_dynamic_stack 0
		.amdhsa_system_sgpr_private_segment_wavefront_offset 0
		.amdhsa_system_sgpr_workgroup_id_x 1
		.amdhsa_system_sgpr_workgroup_id_y 0
		.amdhsa_system_sgpr_workgroup_id_z 0
		.amdhsa_system_sgpr_workgroup_info 0
		.amdhsa_system_vgpr_workitem_id 0
		.amdhsa_next_free_vgpr 1
		.amdhsa_next_free_sgpr 0
		.amdhsa_accum_offset 4
		.amdhsa_reserve_vcc 0
		.amdhsa_reserve_flat_scratch 0
		.amdhsa_float_round_mode_32 0
		.amdhsa_float_round_mode_16_64 0
		.amdhsa_float_denorm_mode_32 3
		.amdhsa_float_denorm_mode_16_64 3
		.amdhsa_dx10_clamp 1
		.amdhsa_ieee_mode 1
		.amdhsa_fp16_overflow 0
		.amdhsa_tg_split 0
		.amdhsa_exception_fp_ieee_invalid_op 0
		.amdhsa_exception_fp_denorm_src 0
		.amdhsa_exception_fp_ieee_div_zero 0
		.amdhsa_exception_fp_ieee_overflow 0
		.amdhsa_exception_fp_ieee_underflow 0
		.amdhsa_exception_fp_ieee_inexact 0
		.amdhsa_exception_int_div_zero 0
	.end_amdhsa_kernel
	.section	.text._ZN7rocprim17ROCPRIM_400000_NS6detail17trampoline_kernelINS0_14default_configENS1_20scan_config_selectorIjEEZZNS1_9scan_implILNS1_25lookback_scan_determinismE0ELb1ELb1ES3_N6thrust23THRUST_200600_302600_NS6detail15normal_iteratorINS9_10device_ptrIjEEEENS9_16discard_iteratorINS9_11use_defaultEEEj11max_functorIjEjEEDaPvRmT3_T4_T5_mT6_P12ihipStream_tbENKUlT_T0_E_clISt17integral_constantIbLb1EESW_IbLb0EEEEDaSS_ST_EUlSS_E_NS1_11comp_targetILNS1_3genE5ELNS1_11target_archE942ELNS1_3gpuE9ELNS1_3repE0EEENS1_30default_config_static_selectorELNS0_4arch9wavefront6targetE1EEEvT1_,"axG",@progbits,_ZN7rocprim17ROCPRIM_400000_NS6detail17trampoline_kernelINS0_14default_configENS1_20scan_config_selectorIjEEZZNS1_9scan_implILNS1_25lookback_scan_determinismE0ELb1ELb1ES3_N6thrust23THRUST_200600_302600_NS6detail15normal_iteratorINS9_10device_ptrIjEEEENS9_16discard_iteratorINS9_11use_defaultEEEj11max_functorIjEjEEDaPvRmT3_T4_T5_mT6_P12ihipStream_tbENKUlT_T0_E_clISt17integral_constantIbLb1EESW_IbLb0EEEEDaSS_ST_EUlSS_E_NS1_11comp_targetILNS1_3genE5ELNS1_11target_archE942ELNS1_3gpuE9ELNS1_3repE0EEENS1_30default_config_static_selectorELNS0_4arch9wavefront6targetE1EEEvT1_,comdat
.Lfunc_end3531:
	.size	_ZN7rocprim17ROCPRIM_400000_NS6detail17trampoline_kernelINS0_14default_configENS1_20scan_config_selectorIjEEZZNS1_9scan_implILNS1_25lookback_scan_determinismE0ELb1ELb1ES3_N6thrust23THRUST_200600_302600_NS6detail15normal_iteratorINS9_10device_ptrIjEEEENS9_16discard_iteratorINS9_11use_defaultEEEj11max_functorIjEjEEDaPvRmT3_T4_T5_mT6_P12ihipStream_tbENKUlT_T0_E_clISt17integral_constantIbLb1EESW_IbLb0EEEEDaSS_ST_EUlSS_E_NS1_11comp_targetILNS1_3genE5ELNS1_11target_archE942ELNS1_3gpuE9ELNS1_3repE0EEENS1_30default_config_static_selectorELNS0_4arch9wavefront6targetE1EEEvT1_, .Lfunc_end3531-_ZN7rocprim17ROCPRIM_400000_NS6detail17trampoline_kernelINS0_14default_configENS1_20scan_config_selectorIjEEZZNS1_9scan_implILNS1_25lookback_scan_determinismE0ELb1ELb1ES3_N6thrust23THRUST_200600_302600_NS6detail15normal_iteratorINS9_10device_ptrIjEEEENS9_16discard_iteratorINS9_11use_defaultEEEj11max_functorIjEjEEDaPvRmT3_T4_T5_mT6_P12ihipStream_tbENKUlT_T0_E_clISt17integral_constantIbLb1EESW_IbLb0EEEEDaSS_ST_EUlSS_E_NS1_11comp_targetILNS1_3genE5ELNS1_11target_archE942ELNS1_3gpuE9ELNS1_3repE0EEENS1_30default_config_static_selectorELNS0_4arch9wavefront6targetE1EEEvT1_
                                        ; -- End function
	.section	.AMDGPU.csdata,"",@progbits
; Kernel info:
; codeLenInByte = 0
; NumSgprs: 4
; NumVgprs: 0
; NumAgprs: 0
; TotalNumVgprs: 0
; ScratchSize: 0
; MemoryBound: 0
; FloatMode: 240
; IeeeMode: 1
; LDSByteSize: 0 bytes/workgroup (compile time only)
; SGPRBlocks: 0
; VGPRBlocks: 0
; NumSGPRsForWavesPerEU: 4
; NumVGPRsForWavesPerEU: 1
; AccumOffset: 4
; Occupancy: 8
; WaveLimiterHint : 0
; COMPUTE_PGM_RSRC2:SCRATCH_EN: 0
; COMPUTE_PGM_RSRC2:USER_SGPR: 6
; COMPUTE_PGM_RSRC2:TRAP_HANDLER: 0
; COMPUTE_PGM_RSRC2:TGID_X_EN: 1
; COMPUTE_PGM_RSRC2:TGID_Y_EN: 0
; COMPUTE_PGM_RSRC2:TGID_Z_EN: 0
; COMPUTE_PGM_RSRC2:TIDIG_COMP_CNT: 0
; COMPUTE_PGM_RSRC3_GFX90A:ACCUM_OFFSET: 0
; COMPUTE_PGM_RSRC3_GFX90A:TG_SPLIT: 0
	.section	.text._ZN7rocprim17ROCPRIM_400000_NS6detail17trampoline_kernelINS0_14default_configENS1_20scan_config_selectorIjEEZZNS1_9scan_implILNS1_25lookback_scan_determinismE0ELb1ELb1ES3_N6thrust23THRUST_200600_302600_NS6detail15normal_iteratorINS9_10device_ptrIjEEEENS9_16discard_iteratorINS9_11use_defaultEEEj11max_functorIjEjEEDaPvRmT3_T4_T5_mT6_P12ihipStream_tbENKUlT_T0_E_clISt17integral_constantIbLb1EESW_IbLb0EEEEDaSS_ST_EUlSS_E_NS1_11comp_targetILNS1_3genE4ELNS1_11target_archE910ELNS1_3gpuE8ELNS1_3repE0EEENS1_30default_config_static_selectorELNS0_4arch9wavefront6targetE1EEEvT1_,"axG",@progbits,_ZN7rocprim17ROCPRIM_400000_NS6detail17trampoline_kernelINS0_14default_configENS1_20scan_config_selectorIjEEZZNS1_9scan_implILNS1_25lookback_scan_determinismE0ELb1ELb1ES3_N6thrust23THRUST_200600_302600_NS6detail15normal_iteratorINS9_10device_ptrIjEEEENS9_16discard_iteratorINS9_11use_defaultEEEj11max_functorIjEjEEDaPvRmT3_T4_T5_mT6_P12ihipStream_tbENKUlT_T0_E_clISt17integral_constantIbLb1EESW_IbLb0EEEEDaSS_ST_EUlSS_E_NS1_11comp_targetILNS1_3genE4ELNS1_11target_archE910ELNS1_3gpuE8ELNS1_3repE0EEENS1_30default_config_static_selectorELNS0_4arch9wavefront6targetE1EEEvT1_,comdat
	.protected	_ZN7rocprim17ROCPRIM_400000_NS6detail17trampoline_kernelINS0_14default_configENS1_20scan_config_selectorIjEEZZNS1_9scan_implILNS1_25lookback_scan_determinismE0ELb1ELb1ES3_N6thrust23THRUST_200600_302600_NS6detail15normal_iteratorINS9_10device_ptrIjEEEENS9_16discard_iteratorINS9_11use_defaultEEEj11max_functorIjEjEEDaPvRmT3_T4_T5_mT6_P12ihipStream_tbENKUlT_T0_E_clISt17integral_constantIbLb1EESW_IbLb0EEEEDaSS_ST_EUlSS_E_NS1_11comp_targetILNS1_3genE4ELNS1_11target_archE910ELNS1_3gpuE8ELNS1_3repE0EEENS1_30default_config_static_selectorELNS0_4arch9wavefront6targetE1EEEvT1_ ; -- Begin function _ZN7rocprim17ROCPRIM_400000_NS6detail17trampoline_kernelINS0_14default_configENS1_20scan_config_selectorIjEEZZNS1_9scan_implILNS1_25lookback_scan_determinismE0ELb1ELb1ES3_N6thrust23THRUST_200600_302600_NS6detail15normal_iteratorINS9_10device_ptrIjEEEENS9_16discard_iteratorINS9_11use_defaultEEEj11max_functorIjEjEEDaPvRmT3_T4_T5_mT6_P12ihipStream_tbENKUlT_T0_E_clISt17integral_constantIbLb1EESW_IbLb0EEEEDaSS_ST_EUlSS_E_NS1_11comp_targetILNS1_3genE4ELNS1_11target_archE910ELNS1_3gpuE8ELNS1_3repE0EEENS1_30default_config_static_selectorELNS0_4arch9wavefront6targetE1EEEvT1_
	.globl	_ZN7rocprim17ROCPRIM_400000_NS6detail17trampoline_kernelINS0_14default_configENS1_20scan_config_selectorIjEEZZNS1_9scan_implILNS1_25lookback_scan_determinismE0ELb1ELb1ES3_N6thrust23THRUST_200600_302600_NS6detail15normal_iteratorINS9_10device_ptrIjEEEENS9_16discard_iteratorINS9_11use_defaultEEEj11max_functorIjEjEEDaPvRmT3_T4_T5_mT6_P12ihipStream_tbENKUlT_T0_E_clISt17integral_constantIbLb1EESW_IbLb0EEEEDaSS_ST_EUlSS_E_NS1_11comp_targetILNS1_3genE4ELNS1_11target_archE910ELNS1_3gpuE8ELNS1_3repE0EEENS1_30default_config_static_selectorELNS0_4arch9wavefront6targetE1EEEvT1_
	.p2align	8
	.type	_ZN7rocprim17ROCPRIM_400000_NS6detail17trampoline_kernelINS0_14default_configENS1_20scan_config_selectorIjEEZZNS1_9scan_implILNS1_25lookback_scan_determinismE0ELb1ELb1ES3_N6thrust23THRUST_200600_302600_NS6detail15normal_iteratorINS9_10device_ptrIjEEEENS9_16discard_iteratorINS9_11use_defaultEEEj11max_functorIjEjEEDaPvRmT3_T4_T5_mT6_P12ihipStream_tbENKUlT_T0_E_clISt17integral_constantIbLb1EESW_IbLb0EEEEDaSS_ST_EUlSS_E_NS1_11comp_targetILNS1_3genE4ELNS1_11target_archE910ELNS1_3gpuE8ELNS1_3repE0EEENS1_30default_config_static_selectorELNS0_4arch9wavefront6targetE1EEEvT1_,@function
_ZN7rocprim17ROCPRIM_400000_NS6detail17trampoline_kernelINS0_14default_configENS1_20scan_config_selectorIjEEZZNS1_9scan_implILNS1_25lookback_scan_determinismE0ELb1ELb1ES3_N6thrust23THRUST_200600_302600_NS6detail15normal_iteratorINS9_10device_ptrIjEEEENS9_16discard_iteratorINS9_11use_defaultEEEj11max_functorIjEjEEDaPvRmT3_T4_T5_mT6_P12ihipStream_tbENKUlT_T0_E_clISt17integral_constantIbLb1EESW_IbLb0EEEEDaSS_ST_EUlSS_E_NS1_11comp_targetILNS1_3genE4ELNS1_11target_archE910ELNS1_3gpuE8ELNS1_3repE0EEENS1_30default_config_static_selectorELNS0_4arch9wavefront6targetE1EEEvT1_: ; @_ZN7rocprim17ROCPRIM_400000_NS6detail17trampoline_kernelINS0_14default_configENS1_20scan_config_selectorIjEEZZNS1_9scan_implILNS1_25lookback_scan_determinismE0ELb1ELb1ES3_N6thrust23THRUST_200600_302600_NS6detail15normal_iteratorINS9_10device_ptrIjEEEENS9_16discard_iteratorINS9_11use_defaultEEEj11max_functorIjEjEEDaPvRmT3_T4_T5_mT6_P12ihipStream_tbENKUlT_T0_E_clISt17integral_constantIbLb1EESW_IbLb0EEEEDaSS_ST_EUlSS_E_NS1_11comp_targetILNS1_3genE4ELNS1_11target_archE910ELNS1_3gpuE8ELNS1_3repE0EEENS1_30default_config_static_selectorELNS0_4arch9wavefront6targetE1EEEvT1_
; %bb.0:
	s_load_dwordx4 s[0:3], s[4:5], 0x0
	s_load_dwordx2 s[8:9], s[4:5], 0x20
	s_load_dword s7, s[4:5], 0x38
	v_lshlrev_b32_e32 v11, 2, v0
	s_waitcnt lgkmcnt(0)
	s_lshl_b64 s[2:3], s[2:3], 2
	s_add_u32 s21, s0, s2
	s_addc_u32 s22, s1, s3
	s_add_i32 s2, s7, -1
	s_mul_i32 s3, s2, 0x500
	s_sub_u32 s7, s8, s3
	s_subb_u32 s20, s9, 0
	s_mul_i32 s0, s6, 0x500
	s_mov_b32 s1, 0
	s_cmp_lg_u32 s6, s2
	s_cselect_b64 s[16:17], -1, 0
	s_lshl_b64 s[0:1], s[0:1], 2
	s_add_u32 s0, s21, s0
	s_addc_u32 s1, s22, s1
	s_mov_b64 s[2:3], -1
	s_and_b64 vcc, exec, s[16:17]
	s_cbranch_vccz .LBB3532_2
; %bb.1:
	v_mov_b32_e32 v1, s1
	v_add_co_u32_e32 v2, vcc, s0, v11
	v_addc_co_u32_e32 v3, vcc, 0, v1, vcc
	flat_load_dword v1, v[2:3]
	flat_load_dword v4, v[2:3] offset:512
	flat_load_dword v5, v[2:3] offset:1024
	;; [unrolled: 1-line block ×7, first 2 shown]
	v_add_co_u32_e32 v2, vcc, 0x1000, v2
	v_addc_co_u32_e32 v3, vcc, 0, v3, vcc
	flat_load_dword v12, v[2:3]
	flat_load_dword v13, v[2:3] offset:512
	s_mov_b64 s[2:3], 0
	s_waitcnt vmcnt(0) lgkmcnt(0)
	ds_write2st64_b32 v11, v1, v4 offset1:2
	ds_write2st64_b32 v11, v5, v6 offset0:4 offset1:6
	ds_write2st64_b32 v11, v7, v8 offset0:8 offset1:10
	ds_write2st64_b32 v11, v9, v10 offset0:12 offset1:14
	ds_write2st64_b32 v11, v12, v13 offset0:16 offset1:18
	s_waitcnt lgkmcnt(0)
	s_barrier
.LBB3532_2:
	s_load_dwordx2 s[18:19], s[4:5], 0x30
	s_andn2_b64 vcc, exec, s[2:3]
	s_cbranch_vccnz .LBB3532_24
; %bb.3:
	v_pk_mov_b32 v[2:3], s[0:1], s[0:1] op_sel:[0,1]
	flat_load_dword v1, v[2:3]
	v_cmp_gt_u32_e32 vcc, s7, v0
	s_waitcnt vmcnt(0) lgkmcnt(0)
	v_mov_b32_e32 v2, v1
	v_mov_b32_e32 v3, v1
	;; [unrolled: 1-line block ×9, first 2 shown]
	s_and_saveexec_b64 s[2:3], vcc
	s_cbranch_execz .LBB3532_5
; %bb.4:
	v_mov_b32_e32 v10, s1
	v_add_co_u32_e32 v12, vcc, s0, v11
	v_addc_co_u32_e32 v13, vcc, 0, v10, vcc
	flat_load_dword v10, v[12:13]
.LBB3532_5:
	s_or_b64 exec, exec, s[2:3]
	v_or_b32_e32 v12, 0x80, v0
	v_cmp_gt_u32_e32 vcc, s7, v12
	s_and_saveexec_b64 s[2:3], vcc
	s_cbranch_execz .LBB3532_7
; %bb.6:
	v_mov_b32_e32 v1, s1
	v_add_co_u32_e32 v12, vcc, s0, v11
	v_addc_co_u32_e32 v13, vcc, 0, v1, vcc
	flat_load_dword v1, v[12:13] offset:512
.LBB3532_7:
	s_or_b64 exec, exec, s[2:3]
	v_or_b32_e32 v12, 0x100, v0
	v_cmp_gt_u32_e32 vcc, s7, v12
	s_and_saveexec_b64 s[2:3], vcc
	s_cbranch_execz .LBB3532_9
; %bb.8:
	v_mov_b32_e32 v2, s1
	v_add_co_u32_e32 v12, vcc, s0, v11
	v_addc_co_u32_e32 v13, vcc, 0, v2, vcc
	flat_load_dword v2, v[12:13] offset:1024
.LBB3532_9:
	s_or_b64 exec, exec, s[2:3]
	v_or_b32_e32 v12, 0x180, v0
	v_cmp_gt_u32_e32 vcc, s7, v12
	s_and_saveexec_b64 s[2:3], vcc
	s_cbranch_execz .LBB3532_11
; %bb.10:
	v_mov_b32_e32 v3, s1
	v_add_co_u32_e32 v12, vcc, s0, v11
	v_addc_co_u32_e32 v13, vcc, 0, v3, vcc
	flat_load_dword v3, v[12:13] offset:1536
.LBB3532_11:
	s_or_b64 exec, exec, s[2:3]
	v_or_b32_e32 v12, 0x200, v0
	v_cmp_gt_u32_e32 vcc, s7, v12
	s_and_saveexec_b64 s[2:3], vcc
	s_cbranch_execz .LBB3532_13
; %bb.12:
	v_mov_b32_e32 v4, s1
	v_add_co_u32_e32 v12, vcc, s0, v11
	v_addc_co_u32_e32 v13, vcc, 0, v4, vcc
	flat_load_dword v4, v[12:13] offset:2048
.LBB3532_13:
	s_or_b64 exec, exec, s[2:3]
	v_or_b32_e32 v12, 0x280, v0
	v_cmp_gt_u32_e32 vcc, s7, v12
	s_and_saveexec_b64 s[2:3], vcc
	s_cbranch_execz .LBB3532_15
; %bb.14:
	v_mov_b32_e32 v5, s1
	v_add_co_u32_e32 v12, vcc, s0, v11
	v_addc_co_u32_e32 v13, vcc, 0, v5, vcc
	flat_load_dword v5, v[12:13] offset:2560
.LBB3532_15:
	s_or_b64 exec, exec, s[2:3]
	v_or_b32_e32 v12, 0x300, v0
	v_cmp_gt_u32_e32 vcc, s7, v12
	s_and_saveexec_b64 s[2:3], vcc
	s_cbranch_execz .LBB3532_17
; %bb.16:
	v_mov_b32_e32 v6, s1
	v_add_co_u32_e32 v12, vcc, s0, v11
	v_addc_co_u32_e32 v13, vcc, 0, v6, vcc
	flat_load_dword v6, v[12:13] offset:3072
.LBB3532_17:
	s_or_b64 exec, exec, s[2:3]
	v_or_b32_e32 v12, 0x380, v0
	v_cmp_gt_u32_e32 vcc, s7, v12
	s_and_saveexec_b64 s[2:3], vcc
	s_cbranch_execz .LBB3532_19
; %bb.18:
	v_mov_b32_e32 v7, s1
	v_add_co_u32_e32 v12, vcc, s0, v11
	v_addc_co_u32_e32 v13, vcc, 0, v7, vcc
	flat_load_dword v7, v[12:13] offset:3584
.LBB3532_19:
	s_or_b64 exec, exec, s[2:3]
	v_or_b32_e32 v12, 0x400, v0
	v_cmp_gt_u32_e32 vcc, s7, v12
	s_and_saveexec_b64 s[2:3], vcc
	s_cbranch_execz .LBB3532_21
; %bb.20:
	v_lshlrev_b32_e32 v8, 2, v12
	v_mov_b32_e32 v13, s1
	v_add_co_u32_e32 v12, vcc, s0, v8
	v_addc_co_u32_e32 v13, vcc, 0, v13, vcc
	flat_load_dword v8, v[12:13]
.LBB3532_21:
	s_or_b64 exec, exec, s[2:3]
	v_or_b32_e32 v12, 0x480, v0
	v_cmp_gt_u32_e32 vcc, s7, v12
	s_and_saveexec_b64 s[2:3], vcc
	s_cbranch_execz .LBB3532_23
; %bb.22:
	v_lshlrev_b32_e32 v9, 2, v12
	v_mov_b32_e32 v13, s1
	v_add_co_u32_e32 v12, vcc, s0, v9
	v_addc_co_u32_e32 v13, vcc, 0, v13, vcc
	flat_load_dword v9, v[12:13]
.LBB3532_23:
	s_or_b64 exec, exec, s[2:3]
	s_waitcnt vmcnt(0) lgkmcnt(0)
	ds_write2st64_b32 v11, v10, v1 offset1:2
	ds_write2st64_b32 v11, v2, v3 offset0:4 offset1:6
	ds_write2st64_b32 v11, v4, v5 offset0:8 offset1:10
	;; [unrolled: 1-line block ×4, first 2 shown]
	s_waitcnt lgkmcnt(0)
	s_barrier
.LBB3532_24:
	v_mul_u32_u24_e32 v22, 10, v0
	v_lshlrev_b32_e32 v23, 2, v22
	s_waitcnt lgkmcnt(0)
	ds_read2_b64 v[16:19], v23 offset1:1
	ds_read2_b64 v[12:15], v23 offset0:2 offset1:3
	ds_read_b64 v[20:21], v23 offset:32
	s_cmp_lg_u32 s6, 0
	v_cmp_gt_u32_e32 vcc, 64, v0
	s_waitcnt lgkmcnt(2)
	v_max_u32_e32 v1, v16, v17
	v_max3_u32 v24, v1, v18, v19
	v_lshrrev_b32_e32 v1, 5, v0
	s_waitcnt lgkmcnt(0)
	s_barrier
	s_cbranch_scc0 .LBB3532_53
; %bb.25:
	v_max3_u32 v2, v24, v12, v13
	v_max3_u32 v2, v2, v14, v15
	;; [unrolled: 1-line block ×3, first 2 shown]
	v_add_lshl_u32 v2, v1, v0, 2
	ds_write_b32 v2, v25
	s_waitcnt lgkmcnt(0)
	s_barrier
	s_and_saveexec_b64 s[2:3], vcc
	s_cbranch_execz .LBB3532_27
; %bb.26:
	v_lshlrev_b32_e32 v2, 1, v0
	v_lshrrev_b32_e32 v3, 4, v0
	v_add_lshl_u32 v4, v3, v2, 2
	ds_read2_b32 v[2:3], v4 offset1:1
	v_mbcnt_lo_u32_b32 v5, -1, 0
	v_mbcnt_hi_u32_b32 v5, -1, v5
	v_and_b32_e32 v6, 15, v5
	v_cmp_eq_u32_e64 s[0:1], 0, v6
	s_waitcnt lgkmcnt(0)
	v_max_u32_e32 v3, v2, v3
	; wave barrier
	s_nop 1
	v_mov_b32_dpp v7, v3 row_shr:1 row_mask:0xf bank_mask:0xf
	v_max_u32_e32 v7, v7, v3
	v_cndmask_b32_e64 v3, v7, v3, s[0:1]
	v_cmp_lt_u32_e64 s[0:1], 1, v6
	s_nop 0
	v_mov_b32_dpp v7, v3 row_shr:2 row_mask:0xf bank_mask:0xf
	v_max_u32_e32 v7, v7, v3
	v_cndmask_b32_e64 v3, v3, v7, s[0:1]
	v_cmp_lt_u32_e64 s[0:1], 3, v6
	;; [unrolled: 5-line block ×3, first 2 shown]
	s_nop 0
	v_mov_b32_dpp v7, v3 row_shr:8 row_mask:0xf bank_mask:0xf
	v_max_u32_e32 v7, v7, v3
	v_cndmask_b32_e64 v3, v3, v7, s[0:1]
	v_and_b32_e32 v7, 16, v5
	v_cmp_eq_u32_e64 s[0:1], 0, v7
	v_mov_b32_dpp v6, v3 row_bcast:15 row_mask:0xf bank_mask:0xf
	v_max_u32_e32 v6, v6, v3
	v_cndmask_b32_e64 v3, v6, v3, s[0:1]
	v_cmp_lt_u32_e64 s[0:1], 31, v5
	v_and_b32_e32 v7, 64, v5
	v_mov_b32_dpp v6, v3 row_bcast:31 row_mask:0xf bank_mask:0xf
	v_max_u32_e32 v6, v6, v3
	v_cndmask_b32_e64 v3, v3, v6, s[0:1]
	v_add_u32_e32 v6, -1, v5
	v_cmp_lt_i32_e64 s[0:1], v6, v7
	v_cndmask_b32_e64 v5, v6, v5, s[0:1]
	v_lshlrev_b32_e32 v5, 2, v5
	ds_bpermute_b32 v3, v5, v3
	v_cmp_eq_u32_e64 s[0:1], 0, v0
	s_waitcnt lgkmcnt(0)
	v_max_u32_e32 v2, v3, v2
	v_cndmask_b32_e64 v2, v2, v25, s[0:1]
	ds_write_b32 v4, v2
	; wave barrier
	ds_read_b32 v3, v4 offset:4
	s_waitcnt lgkmcnt(0)
	v_max_u32_e32 v2, v2, v3
	ds_write_b32 v4, v2 offset:4
.LBB3532_27:
	s_or_b64 exec, exec, s[2:3]
	v_cmp_eq_u32_e64 s[0:1], 0, v0
	v_cmp_ne_u32_e64 s[2:3], 0, v0
	s_waitcnt lgkmcnt(0)
	s_barrier
	s_and_saveexec_b64 s[8:9], s[2:3]
	s_cbranch_execz .LBB3532_29
; %bb.28:
	v_add_u32_e32 v2, -1, v0
	v_lshrrev_b32_e32 v3, 5, v2
	v_add_lshl_u32 v2, v3, v2, 2
	ds_read_b32 v25, v2
.LBB3532_29:
	s_or_b64 exec, exec, s[8:9]
	s_and_saveexec_b64 s[8:9], vcc
	s_cbranch_execz .LBB3532_52
; %bb.30:
	v_mov_b32_e32 v11, 0
	ds_read_b32 v2, v11 offset:520
	v_mbcnt_lo_u32_b32 v3, -1, 0
	v_mbcnt_hi_u32_b32 v5, -1, v3
	s_mov_b32 s13, 0
	v_cmp_eq_u32_e64 s[2:3], 0, v5
	s_and_saveexec_b64 s[10:11], s[2:3]
	s_cbranch_execz .LBB3532_32
; %bb.31:
	s_add_i32 s12, s6, 64
	s_lshl_b64 s[12:13], s[12:13], 3
	s_add_u32 s12, s18, s12
	v_mov_b32_e32 v3, 1
	s_addc_u32 s13, s19, s13
	s_waitcnt lgkmcnt(0)
	global_store_dwordx2 v11, v[2:3], s[12:13]
.LBB3532_32:
	s_or_b64 exec, exec, s[10:11]
	v_xad_u32 v4, v5, -1, s6
	v_add_u32_e32 v10, 64, v4
	v_lshlrev_b64 v[6:7], 3, v[10:11]
	v_mov_b32_e32 v3, s19
	v_add_co_u32_e32 v6, vcc, s18, v6
	v_addc_co_u32_e32 v7, vcc, v3, v7, vcc
	global_load_dwordx2 v[8:9], v[6:7], off glc
	s_waitcnt vmcnt(0)
	v_cmp_eq_u16_sdwa s[12:13], v9, v11 src0_sel:BYTE_0 src1_sel:DWORD
	s_and_saveexec_b64 s[10:11], s[12:13]
	s_cbranch_execz .LBB3532_38
; %bb.33:
	s_mov_b32 s14, 1
	s_mov_b64 s[12:13], 0
	v_mov_b32_e32 v3, 0
.LBB3532_34:                            ; =>This Loop Header: Depth=1
                                        ;     Child Loop BB3532_35 Depth 2
	s_max_u32 s15, s14, 1
.LBB3532_35:                            ;   Parent Loop BB3532_34 Depth=1
                                        ; =>  This Inner Loop Header: Depth=2
	s_add_i32 s15, s15, -1
	s_cmp_eq_u32 s15, 0
	s_sleep 1
	s_cbranch_scc0 .LBB3532_35
; %bb.36:                               ;   in Loop: Header=BB3532_34 Depth=1
	global_load_dwordx2 v[8:9], v[6:7], off glc
	s_cmp_lt_u32 s14, 32
	s_cselect_b64 s[24:25], -1, 0
	s_cmp_lg_u64 s[24:25], 0
	s_addc_u32 s14, s14, 0
	s_waitcnt vmcnt(0)
	v_cmp_ne_u16_sdwa s[24:25], v9, v3 src0_sel:BYTE_0 src1_sel:DWORD
	s_or_b64 s[12:13], s[24:25], s[12:13]
	s_andn2_b64 exec, exec, s[12:13]
	s_cbranch_execnz .LBB3532_34
; %bb.37:
	s_or_b64 exec, exec, s[12:13]
.LBB3532_38:
	s_or_b64 exec, exec, s[10:11]
	v_and_b32_e32 v26, 63, v5
	v_cmp_ne_u32_e32 vcc, 63, v26
	v_mov_b32_e32 v3, 2
	v_addc_co_u32_e32 v27, vcc, 0, v5, vcc
	v_cmp_eq_u16_sdwa s[10:11], v9, v3 src0_sel:BYTE_0 src1_sel:DWORD
	v_lshlrev_b64 v[6:7], v5, -1
	v_lshlrev_b32_e32 v27, 2, v27
	v_and_b32_e32 v10, s11, v7
	ds_bpermute_b32 v28, v27, v8
	v_or_b32_e32 v10, 0x80000000, v10
	v_and_b32_e32 v11, s10, v6
	v_ffbl_b32_e32 v10, v10
	v_add_u32_e32 v10, 32, v10
	v_ffbl_b32_e32 v11, v11
	v_min_u32_e32 v10, v11, v10
	s_waitcnt lgkmcnt(0)
	v_max_u32_e32 v11, v28, v8
	v_cmp_lt_u32_e32 vcc, v26, v10
	v_cndmask_b32_e32 v8, v8, v11, vcc
	v_cmp_gt_u32_e32 vcc, 62, v26
	v_cndmask_b32_e64 v11, 0, 1, vcc
	v_lshlrev_b32_e32 v11, 1, v11
	v_add_lshl_u32 v28, v11, v5, 2
	ds_bpermute_b32 v11, v28, v8
	v_add_u32_e32 v29, 2, v26
	v_cmp_gt_u32_e32 vcc, v29, v10
	v_add_u32_e32 v31, 4, v26
	v_add_u32_e32 v33, 8, v26
	s_waitcnt lgkmcnt(0)
	v_max_u32_e32 v11, v11, v8
	v_cndmask_b32_e32 v8, v11, v8, vcc
	v_cmp_gt_u32_e32 vcc, 60, v26
	v_cndmask_b32_e64 v11, 0, 1, vcc
	v_lshlrev_b32_e32 v11, 2, v11
	v_add_lshl_u32 v30, v11, v5, 2
	ds_bpermute_b32 v11, v30, v8
	v_cmp_gt_u32_e32 vcc, v31, v10
	v_add_u32_e32 v36, 16, v26
	v_add_u32_e32 v38, 32, v26
	s_waitcnt lgkmcnt(0)
	v_max_u32_e32 v11, v11, v8
	v_cndmask_b32_e32 v8, v11, v8, vcc
	v_cmp_gt_u32_e32 vcc, 56, v26
	v_cndmask_b32_e64 v11, 0, 1, vcc
	v_lshlrev_b32_e32 v11, 3, v11
	v_add_lshl_u32 v32, v11, v5, 2
	ds_bpermute_b32 v11, v32, v8
	v_cmp_gt_u32_e32 vcc, v33, v10
	s_waitcnt lgkmcnt(0)
	v_max_u32_e32 v11, v11, v8
	v_cndmask_b32_e32 v8, v11, v8, vcc
	v_cmp_gt_u32_e32 vcc, 48, v26
	v_cndmask_b32_e64 v11, 0, 1, vcc
	v_lshlrev_b32_e32 v11, 4, v11
	v_add_lshl_u32 v34, v11, v5, 2
	ds_bpermute_b32 v11, v34, v8
	v_cmp_gt_u32_e32 vcc, v36, v10
	;; [unrolled: 9-line block ×3, first 2 shown]
	s_waitcnt lgkmcnt(0)
	v_max_u32_e32 v5, v5, v8
	v_cndmask_b32_e32 v8, v5, v8, vcc
	v_mov_b32_e32 v5, 0
	s_branch .LBB3532_40
.LBB3532_39:                            ;   in Loop: Header=BB3532_40 Depth=1
	s_or_b64 exec, exec, s[10:11]
	v_cmp_eq_u16_sdwa s[10:11], v9, v3 src0_sel:BYTE_0 src1_sel:DWORD
	v_and_b32_e32 v10, s11, v7
	ds_bpermute_b32 v39, v27, v8
	v_or_b32_e32 v10, 0x80000000, v10
	v_and_b32_e32 v11, s10, v6
	v_ffbl_b32_e32 v10, v10
	v_add_u32_e32 v10, 32, v10
	v_ffbl_b32_e32 v11, v11
	v_min_u32_e32 v10, v11, v10
	s_waitcnt lgkmcnt(0)
	v_max_u32_e32 v11, v39, v8
	v_cmp_lt_u32_e32 vcc, v26, v10
	v_cndmask_b32_e32 v8, v8, v11, vcc
	ds_bpermute_b32 v11, v28, v8
	v_cmp_gt_u32_e32 vcc, v29, v10
	v_subrev_u32_e32 v4, 64, v4
	s_waitcnt lgkmcnt(0)
	v_max_u32_e32 v11, v11, v8
	v_cndmask_b32_e32 v8, v11, v8, vcc
	ds_bpermute_b32 v11, v30, v8
	v_cmp_gt_u32_e32 vcc, v31, v10
	s_waitcnt lgkmcnt(0)
	v_max_u32_e32 v11, v11, v8
	v_cndmask_b32_e32 v8, v11, v8, vcc
	ds_bpermute_b32 v11, v32, v8
	v_cmp_gt_u32_e32 vcc, v33, v10
	s_waitcnt lgkmcnt(0)
	v_max_u32_e32 v11, v11, v8
	v_cndmask_b32_e32 v8, v11, v8, vcc
	ds_bpermute_b32 v11, v34, v8
	v_cmp_gt_u32_e32 vcc, v36, v10
	s_waitcnt lgkmcnt(0)
	v_max_u32_e32 v11, v11, v8
	v_cndmask_b32_e32 v8, v11, v8, vcc
	ds_bpermute_b32 v11, v37, v8
	v_cmp_gt_u32_e32 vcc, v38, v10
	s_waitcnt lgkmcnt(0)
	v_max_u32_e32 v11, v11, v8
	v_cndmask_b32_e32 v8, v11, v8, vcc
	v_max_u32_e32 v8, v8, v35
.LBB3532_40:                            ; =>This Loop Header: Depth=1
                                        ;     Child Loop BB3532_43 Depth 2
                                        ;       Child Loop BB3532_44 Depth 3
	v_cmp_ne_u16_sdwa s[10:11], v9, v3 src0_sel:BYTE_0 src1_sel:DWORD
	v_cndmask_b32_e64 v9, 0, 1, s[10:11]
	;;#ASMSTART
	;;#ASMEND
	v_cmp_ne_u32_e32 vcc, 0, v9
	s_cmp_lg_u64 vcc, exec
	v_mov_b32_e32 v35, v8
	s_cbranch_scc1 .LBB3532_47
; %bb.41:                               ;   in Loop: Header=BB3532_40 Depth=1
	v_lshlrev_b64 v[8:9], 3, v[4:5]
	v_mov_b32_e32 v11, s19
	v_add_co_u32_e32 v10, vcc, s18, v8
	v_addc_co_u32_e32 v11, vcc, v11, v9, vcc
	global_load_dwordx2 v[8:9], v[10:11], off glc
	s_waitcnt vmcnt(0)
	v_cmp_eq_u16_sdwa s[12:13], v9, v5 src0_sel:BYTE_0 src1_sel:DWORD
	s_and_saveexec_b64 s[10:11], s[12:13]
	s_cbranch_execz .LBB3532_39
; %bb.42:                               ;   in Loop: Header=BB3532_40 Depth=1
	s_mov_b32 s14, 1
	s_mov_b64 s[12:13], 0
.LBB3532_43:                            ;   Parent Loop BB3532_40 Depth=1
                                        ; =>  This Loop Header: Depth=2
                                        ;       Child Loop BB3532_44 Depth 3
	s_max_u32 s15, s14, 1
.LBB3532_44:                            ;   Parent Loop BB3532_40 Depth=1
                                        ;     Parent Loop BB3532_43 Depth=2
                                        ; =>    This Inner Loop Header: Depth=3
	s_add_i32 s15, s15, -1
	s_cmp_eq_u32 s15, 0
	s_sleep 1
	s_cbranch_scc0 .LBB3532_44
; %bb.45:                               ;   in Loop: Header=BB3532_43 Depth=2
	global_load_dwordx2 v[8:9], v[10:11], off glc
	s_cmp_lt_u32 s14, 32
	s_cselect_b64 s[24:25], -1, 0
	s_cmp_lg_u64 s[24:25], 0
	s_addc_u32 s14, s14, 0
	s_waitcnt vmcnt(0)
	v_cmp_ne_u16_sdwa s[24:25], v9, v5 src0_sel:BYTE_0 src1_sel:DWORD
	s_or_b64 s[12:13], s[24:25], s[12:13]
	s_andn2_b64 exec, exec, s[12:13]
	s_cbranch_execnz .LBB3532_43
; %bb.46:                               ;   in Loop: Header=BB3532_40 Depth=1
	s_or_b64 exec, exec, s[12:13]
	s_branch .LBB3532_39
.LBB3532_47:                            ;   in Loop: Header=BB3532_40 Depth=1
                                        ; implicit-def: $vgpr8
                                        ; implicit-def: $vgpr9
	s_cbranch_execz .LBB3532_40
; %bb.48:
	s_and_saveexec_b64 s[10:11], s[2:3]
	s_cbranch_execz .LBB3532_50
; %bb.49:
	s_add_i32 s2, s6, 64
	s_mov_b32 s3, 0
	s_lshl_b64 s[2:3], s[2:3], 3
	s_add_u32 s2, s18, s2
	v_max_u32_e32 v2, v35, v2
	v_mov_b32_e32 v3, 2
	s_addc_u32 s3, s19, s3
	v_mov_b32_e32 v4, 0
	global_store_dwordx2 v4, v[2:3], s[2:3]
.LBB3532_50:
	s_or_b64 exec, exec, s[10:11]
	s_and_b64 exec, exec, s[0:1]
	s_cbranch_execz .LBB3532_52
; %bb.51:
	v_mov_b32_e32 v2, 0
	ds_write_b32 v2, v35
.LBB3532_52:
	s_or_b64 exec, exec, s[8:9]
	v_mov_b32_e32 v2, 0
	s_waitcnt lgkmcnt(0)
	s_barrier
	ds_read_b32 v2, v2
	s_waitcnt lgkmcnt(0)
	v_max_u32_e32 v3, v2, v25
	v_cndmask_b32_e64 v2, v3, v2, s[0:1]
	v_max_u32_e32 v3, v2, v16
	v_max_u32_e32 v4, v3, v17
	;; [unrolled: 1-line block ×9, first 2 shown]
	s_load_dwordx8 s[8:15], s[4:5], 0x40
	s_branch .LBB3532_63
.LBB3532_53:
                                        ; implicit-def: $vgpr2_vgpr3_vgpr4_vgpr5_vgpr6_vgpr7_vgpr8_vgpr9_vgpr10_vgpr11
	s_load_dwordx8 s[8:15], s[4:5], 0x40
	s_cbranch_execz .LBB3532_63
; %bb.54:
	s_load_dword s0, s[4:5], 0x28
	s_waitcnt lgkmcnt(0)
	s_cmp_eq_u64 s[12:13], 0
	v_mov_b32_e32 v25, s0
	s_cbranch_scc1 .LBB3532_56
; %bb.55:
	v_mov_b32_e32 v2, 0
	global_load_dword v4, v2, s[8:9]
	v_mov_b32_e32 v3, s22
	v_add_co_u32_e64 v2, vcc, -4, s21
	v_addc_co_u32_e32 v3, vcc, -1, v3, vcc
	flat_load_dword v2, v[2:3]
	s_waitcnt vmcnt(0) lgkmcnt(0)
	v_max_u32_e32 v25, v4, v2
.LBB3532_56:
	v_max3_u32 v2, v24, v12, v13
	v_max3_u32 v2, v2, v14, v15
	;; [unrolled: 1-line block ×3, first 2 shown]
	v_add_lshl_u32 v1, v1, v0, 2
	v_cmp_gt_u32_e32 vcc, 64, v0
	ds_write_b32 v1, v2
	s_waitcnt lgkmcnt(0)
	s_barrier
	s_and_saveexec_b64 s[0:1], vcc
	s_cbranch_execz .LBB3532_58
; %bb.57:
	v_lshlrev_b32_e32 v1, 1, v0
	v_lshrrev_b32_e32 v3, 4, v0
	v_add_lshl_u32 v1, v3, v1, 2
	ds_read2_b32 v[4:5], v1 offset1:1
	v_mbcnt_lo_u32_b32 v3, -1, 0
	v_mbcnt_hi_u32_b32 v3, -1, v3
	v_and_b32_e32 v6, 15, v3
	v_cmp_eq_u32_e32 vcc, 0, v6
	s_waitcnt lgkmcnt(0)
	v_max_u32_e32 v5, v4, v5
	; wave barrier
	s_nop 1
	v_mov_b32_dpp v7, v5 row_shr:1 row_mask:0xf bank_mask:0xf
	v_max_u32_e32 v7, v7, v5
	v_cndmask_b32_e32 v5, v7, v5, vcc
	v_cmp_lt_u32_e32 vcc, 1, v6
	s_nop 0
	v_mov_b32_dpp v7, v5 row_shr:2 row_mask:0xf bank_mask:0xf
	v_max_u32_e32 v7, v7, v5
	v_cndmask_b32_e32 v5, v5, v7, vcc
	v_cmp_lt_u32_e32 vcc, 3, v6
	;; [unrolled: 5-line block ×3, first 2 shown]
	s_nop 0
	v_mov_b32_dpp v7, v5 row_shr:8 row_mask:0xf bank_mask:0xf
	v_max_u32_e32 v7, v7, v5
	v_cndmask_b32_e32 v5, v5, v7, vcc
	v_and_b32_e32 v7, 16, v3
	v_cmp_eq_u32_e32 vcc, 0, v7
	v_mov_b32_dpp v6, v5 row_bcast:15 row_mask:0xf bank_mask:0xf
	v_max_u32_e32 v6, v6, v5
	v_cndmask_b32_e32 v5, v6, v5, vcc
	v_cmp_lt_u32_e32 vcc, 31, v3
	v_and_b32_e32 v7, 64, v3
	v_mov_b32_dpp v6, v5 row_bcast:31 row_mask:0xf bank_mask:0xf
	v_max_u32_e32 v6, v6, v5
	v_cndmask_b32_e32 v5, v5, v6, vcc
	v_add_u32_e32 v6, -1, v3
	v_cmp_lt_i32_e32 vcc, v6, v7
	v_cndmask_b32_e32 v3, v6, v3, vcc
	v_lshlrev_b32_e32 v3, 2, v3
	ds_bpermute_b32 v3, v3, v5
	v_cmp_eq_u32_e32 vcc, 0, v0
	s_waitcnt lgkmcnt(0)
	v_max_u32_e32 v3, v3, v4
	v_cndmask_b32_e32 v2, v3, v2, vcc
	ds_write_b32 v1, v2
	; wave barrier
	ds_read_b32 v3, v1 offset:4
	s_waitcnt lgkmcnt(0)
	v_max_u32_e32 v2, v2, v3
	ds_write_b32 v1, v2 offset:4
.LBB3532_58:
	s_or_b64 exec, exec, s[0:1]
	v_cmp_eq_u32_e32 vcc, 0, v0
	v_cmp_ne_u32_e64 s[0:1], 0, v0
	v_mov_b32_e32 v2, v25
	s_waitcnt lgkmcnt(0)
	s_barrier
	s_and_saveexec_b64 s[2:3], s[0:1]
	s_cbranch_execz .LBB3532_60
; %bb.59:
	v_add_u32_e32 v1, -1, v0
	v_lshrrev_b32_e32 v2, 5, v1
	v_add_lshl_u32 v1, v2, v1, 2
	ds_read_b32 v1, v1
	s_waitcnt lgkmcnt(0)
	v_max_u32_e32 v2, v25, v1
.LBB3532_60:
	s_or_b64 exec, exec, s[2:3]
	v_max_u32_e32 v3, v2, v16
	v_max_u32_e32 v4, v3, v17
	;; [unrolled: 1-line block ×9, first 2 shown]
	s_and_saveexec_b64 s[0:1], vcc
	s_cbranch_execz .LBB3532_62
; %bb.61:
	v_mov_b32_e32 v1, 0
	ds_read_b32 v12, v1 offset:520
	v_mov_b32_e32 v13, 2
	s_waitcnt lgkmcnt(0)
	v_max_u32_e32 v12, v25, v12
	global_store_dwordx2 v1, v[12:13], s[18:19] offset:512
.LBB3532_62:
	s_or_b64 exec, exec, s[0:1]
.LBB3532_63:
	s_mov_b64 s[0:1], -1
	s_and_b64 vcc, exec, s[16:17]
	s_waitcnt lgkmcnt(0)
	s_barrier
	ds_write2_b64 v23, v[2:3], v[4:5] offset1:1
	ds_write2_b64 v23, v[6:7], v[8:9] offset0:2 offset1:3
	ds_write_b64 v23, v[10:11] offset:32
	s_waitcnt lgkmcnt(0)
	s_cbranch_vccz .LBB3532_65
; %bb.64:
	s_barrier
	s_mov_b64 s[0:1], 0
.LBB3532_65:
	s_andn2_b64 vcc, exec, s[0:1]
	s_cbranch_vccnz .LBB3532_101
; %bb.66:
	v_cmp_lt_u64_e64 s[0:1], s[14:15], 2
	s_and_b64 vcc, exec, s[0:1]
	s_barrier
	s_cbranch_vccnz .LBB3532_101
; %bb.67:
	s_add_u32 s0, s7, -1
	s_addc_u32 s1, s20, -1
	s_add_u32 s2, 0, 0x99986000
	s_addc_u32 s3, 0, 0x59
	s_add_i32 s3, s3, 0x19999940
	s_mul_hi_u32 s7, s2, -10
	s_sub_i32 s7, s7, s2
	s_mul_i32 s8, s3, -10
	s_mul_i32 s4, s2, -10
	s_add_i32 s7, s7, s8
	s_mul_hi_u32 s5, s3, s4
	s_mul_i32 s6, s3, s4
	s_mul_i32 s9, s2, s7
	s_mul_hi_u32 s4, s2, s4
	s_mul_hi_u32 s8, s2, s7
	s_add_u32 s4, s4, s9
	s_addc_u32 s8, 0, s8
	s_add_u32 s4, s4, s6
	s_mul_hi_u32 s9, s3, s7
	s_addc_u32 s4, s8, s5
	s_addc_u32 s5, s9, 0
	s_mul_i32 s6, s3, s7
	s_add_u32 s4, s4, s6
	v_mov_b32_e32 v2, s4
	s_addc_u32 s5, 0, s5
	v_add_co_u32_e32 v2, vcc, s2, v2
	s_cmp_lg_u64 vcc, 0
	s_addc_u32 s2, s3, s5
	v_readfirstlane_b32 s5, v2
	s_mul_i32 s4, s0, s2
	s_mul_hi_u32 s6, s0, s5
	s_mul_hi_u32 s3, s0, s2
	s_add_u32 s4, s6, s4
	s_addc_u32 s3, 0, s3
	s_mul_hi_u32 s7, s1, s5
	s_mul_i32 s5, s1, s5
	s_add_u32 s4, s4, s5
	s_mul_hi_u32 s6, s1, s2
	s_addc_u32 s3, s3, s7
	s_addc_u32 s4, s6, 0
	s_mul_i32 s2, s1, s2
	s_add_u32 s2, s3, s2
	s_addc_u32 s3, 0, s4
	s_add_u32 s4, s2, 1
	s_addc_u32 s5, s3, 0
	s_add_u32 s6, s2, 2
	s_mul_i32 s8, s3, 10
	s_mul_hi_u32 s9, s2, 10
	s_addc_u32 s7, s3, 0
	s_add_i32 s9, s9, s8
	s_mul_i32 s8, s2, 10
	v_mov_b32_e32 v2, s8
	v_sub_co_u32_e32 v2, vcc, s0, v2
	s_cmp_lg_u64 vcc, 0
	s_subb_u32 s8, s1, s9
	v_subrev_co_u32_e32 v3, vcc, 10, v2
	s_cmp_lg_u64 vcc, 0
	s_subb_u32 s9, s8, 0
	v_readfirstlane_b32 s12, v3
	s_cmp_gt_u32 s12, 9
	s_cselect_b32 s12, -1, 0
	s_cmp_eq_u32 s9, 0
	s_cselect_b32 s9, s12, -1
	s_cmp_lg_u32 s9, 0
	s_cselect_b32 s4, s6, s4
	v_readfirstlane_b32 s6, v2
	s_cselect_b32 s5, s7, s5
	s_cmp_gt_u32 s6, 9
	s_cselect_b32 s6, -1, 0
	s_cmp_eq_u32 s8, 0
	s_cselect_b32 s6, s6, -1
	s_cmp_lg_u32 s6, 0
	v_mov_b32_e32 v1, 0
	s_cselect_b32 s3, s5, s3
	s_cselect_b32 s2, s4, s2
	v_cmp_eq_u64_e32 vcc, s[2:3], v[0:1]
	s_and_saveexec_b64 s[2:3], vcc
	s_cbranch_execz .LBB3532_101
; %bb.68:
	s_movk_i32 s2, 0xffdc
	v_mad_i32_i24 v2, v0, s2, v23
	v_mul_hi_u32_u24_e32 v1, 10, v0
	v_mov_b32_e32 v3, s1
	v_sub_co_u32_e32 v0, vcc, s0, v22
	v_subb_co_u32_e32 v1, vcc, v3, v1, vcc
	v_cmp_lt_i64_e32 vcc, 4, v[0:1]
	s_and_saveexec_b64 s[0:1], vcc
	s_xor_b64 s[0:1], exec, s[0:1]
	s_cbranch_execz .LBB3532_86
; %bb.69:
	v_cmp_lt_i64_e32 vcc, 6, v[0:1]
	s_and_saveexec_b64 s[2:3], vcc
	s_xor_b64 s[2:3], exec, s[2:3]
	s_cbranch_execz .LBB3532_79
; %bb.70:
	;; [unrolled: 5-line block ×4, first 2 shown]
	ds_read_b32 v0, v2 offset:4608
	v_mov_b32_e32 v1, 0
                                        ; implicit-def: $vgpr2
	s_waitcnt lgkmcnt(0)
	global_store_dword v1, v0, s[10:11]
.LBB3532_73:
	s_andn2_saveexec_b64 s[6:7], s[6:7]
	s_cbranch_execz .LBB3532_75
; %bb.74:
	ds_read_b32 v0, v2 offset:4096
	v_mov_b32_e32 v1, 0
	s_waitcnt lgkmcnt(0)
	global_store_dword v1, v0, s[10:11]
.LBB3532_75:
	s_or_b64 exec, exec, s[6:7]
                                        ; implicit-def: $vgpr2
.LBB3532_76:
	s_andn2_saveexec_b64 s[4:5], s[4:5]
	s_cbranch_execz .LBB3532_78
; %bb.77:
	ds_read_b32 v0, v2 offset:3584
	v_mov_b32_e32 v1, 0
	s_waitcnt lgkmcnt(0)
	global_store_dword v1, v0, s[10:11]
.LBB3532_78:
	s_or_b64 exec, exec, s[4:5]
                                        ; implicit-def: $vgpr2
                                        ; implicit-def: $vgpr0_vgpr1
.LBB3532_79:
	s_andn2_saveexec_b64 s[2:3], s[2:3]
	s_cbranch_execz .LBB3532_85
; %bb.80:
	v_cmp_lt_i64_e32 vcc, 5, v[0:1]
	s_and_saveexec_b64 s[4:5], vcc
	s_xor_b64 s[4:5], exec, s[4:5]
	s_cbranch_execz .LBB3532_82
; %bb.81:
	ds_read_b32 v0, v2 offset:3072
	v_mov_b32_e32 v1, 0
                                        ; implicit-def: $vgpr2
	s_waitcnt lgkmcnt(0)
	global_store_dword v1, v0, s[10:11]
.LBB3532_82:
	s_andn2_saveexec_b64 s[4:5], s[4:5]
	s_cbranch_execz .LBB3532_84
; %bb.83:
	ds_read_b32 v0, v2 offset:2560
	v_mov_b32_e32 v1, 0
	s_waitcnt lgkmcnt(0)
	global_store_dword v1, v0, s[10:11]
.LBB3532_84:
	s_or_b64 exec, exec, s[4:5]
.LBB3532_85:
	s_or_b64 exec, exec, s[2:3]
                                        ; implicit-def: $vgpr0_vgpr1
                                        ; implicit-def: $vgpr2
.LBB3532_86:
	s_andn2_saveexec_b64 s[0:1], s[0:1]
	s_cbranch_execz .LBB3532_101
; %bb.87:
	v_cmp_lt_i64_e32 vcc, 2, v[0:1]
	s_and_saveexec_b64 s[0:1], vcc
	s_xor_b64 s[0:1], exec, s[0:1]
	s_cbranch_execz .LBB3532_93
; %bb.88:
	v_cmp_lt_i64_e32 vcc, 3, v[0:1]
	s_and_saveexec_b64 s[2:3], vcc
	s_xor_b64 s[2:3], exec, s[2:3]
	s_cbranch_execz .LBB3532_90
; %bb.89:
	ds_read_b32 v0, v2 offset:2048
	v_mov_b32_e32 v1, 0
                                        ; implicit-def: $vgpr2
	s_waitcnt lgkmcnt(0)
	global_store_dword v1, v0, s[10:11]
.LBB3532_90:
	s_andn2_saveexec_b64 s[2:3], s[2:3]
	s_cbranch_execz .LBB3532_92
; %bb.91:
	ds_read_b32 v0, v2 offset:1536
	v_mov_b32_e32 v1, 0
	s_waitcnt lgkmcnt(0)
	global_store_dword v1, v0, s[10:11]
.LBB3532_92:
	s_or_b64 exec, exec, s[2:3]
                                        ; implicit-def: $vgpr0_vgpr1
                                        ; implicit-def: $vgpr2
.LBB3532_93:
	s_andn2_saveexec_b64 s[0:1], s[0:1]
	s_cbranch_execz .LBB3532_101
; %bb.94:
	v_cmp_lt_i64_e32 vcc, 1, v[0:1]
	s_and_saveexec_b64 s[0:1], vcc
	s_xor_b64 s[0:1], exec, s[0:1]
	s_cbranch_execz .LBB3532_96
; %bb.95:
	ds_read_b32 v0, v2 offset:1024
	v_mov_b32_e32 v1, 0
                                        ; implicit-def: $vgpr2
	s_waitcnt lgkmcnt(0)
	global_store_dword v1, v0, s[10:11]
                                        ; implicit-def: $vgpr0_vgpr1
.LBB3532_96:
	s_andn2_saveexec_b64 s[0:1], s[0:1]
	s_cbranch_execz .LBB3532_101
; %bb.97:
	v_cmp_ne_u64_e32 vcc, 1, v[0:1]
	s_and_saveexec_b64 s[0:1], vcc
	s_xor_b64 s[0:1], exec, s[0:1]
	s_cbranch_execz .LBB3532_99
; %bb.98:
	ds_read_b32 v0, v2
	v_mov_b32_e32 v1, 0
                                        ; implicit-def: $vgpr2
	s_waitcnt lgkmcnt(0)
	global_store_dword v1, v0, s[10:11]
.LBB3532_99:
	s_andn2_saveexec_b64 s[0:1], s[0:1]
	s_cbranch_execz .LBB3532_101
; %bb.100:
	ds_read_b32 v0, v2 offset:512
	v_mov_b32_e32 v1, 0
	s_waitcnt lgkmcnt(0)
	global_store_dword v1, v0, s[10:11]
.LBB3532_101:
	s_endpgm
	.section	.rodata,"a",@progbits
	.p2align	6, 0x0
	.amdhsa_kernel _ZN7rocprim17ROCPRIM_400000_NS6detail17trampoline_kernelINS0_14default_configENS1_20scan_config_selectorIjEEZZNS1_9scan_implILNS1_25lookback_scan_determinismE0ELb1ELb1ES3_N6thrust23THRUST_200600_302600_NS6detail15normal_iteratorINS9_10device_ptrIjEEEENS9_16discard_iteratorINS9_11use_defaultEEEj11max_functorIjEjEEDaPvRmT3_T4_T5_mT6_P12ihipStream_tbENKUlT_T0_E_clISt17integral_constantIbLb1EESW_IbLb0EEEEDaSS_ST_EUlSS_E_NS1_11comp_targetILNS1_3genE4ELNS1_11target_archE910ELNS1_3gpuE8ELNS1_3repE0EEENS1_30default_config_static_selectorELNS0_4arch9wavefront6targetE1EEEvT1_
		.amdhsa_group_segment_fixed_size 5120
		.amdhsa_private_segment_fixed_size 0
		.amdhsa_kernarg_size 104
		.amdhsa_user_sgpr_count 6
		.amdhsa_user_sgpr_private_segment_buffer 1
		.amdhsa_user_sgpr_dispatch_ptr 0
		.amdhsa_user_sgpr_queue_ptr 0
		.amdhsa_user_sgpr_kernarg_segment_ptr 1
		.amdhsa_user_sgpr_dispatch_id 0
		.amdhsa_user_sgpr_flat_scratch_init 0
		.amdhsa_user_sgpr_kernarg_preload_length 0
		.amdhsa_user_sgpr_kernarg_preload_offset 0
		.amdhsa_user_sgpr_private_segment_size 0
		.amdhsa_uses_dynamic_stack 0
		.amdhsa_system_sgpr_private_segment_wavefront_offset 0
		.amdhsa_system_sgpr_workgroup_id_x 1
		.amdhsa_system_sgpr_workgroup_id_y 0
		.amdhsa_system_sgpr_workgroup_id_z 0
		.amdhsa_system_sgpr_workgroup_info 0
		.amdhsa_system_vgpr_workitem_id 0
		.amdhsa_next_free_vgpr 40
		.amdhsa_next_free_sgpr 26
		.amdhsa_accum_offset 40
		.amdhsa_reserve_vcc 1
		.amdhsa_reserve_flat_scratch 0
		.amdhsa_float_round_mode_32 0
		.amdhsa_float_round_mode_16_64 0
		.amdhsa_float_denorm_mode_32 3
		.amdhsa_float_denorm_mode_16_64 3
		.amdhsa_dx10_clamp 1
		.amdhsa_ieee_mode 1
		.amdhsa_fp16_overflow 0
		.amdhsa_tg_split 0
		.amdhsa_exception_fp_ieee_invalid_op 0
		.amdhsa_exception_fp_denorm_src 0
		.amdhsa_exception_fp_ieee_div_zero 0
		.amdhsa_exception_fp_ieee_overflow 0
		.amdhsa_exception_fp_ieee_underflow 0
		.amdhsa_exception_fp_ieee_inexact 0
		.amdhsa_exception_int_div_zero 0
	.end_amdhsa_kernel
	.section	.text._ZN7rocprim17ROCPRIM_400000_NS6detail17trampoline_kernelINS0_14default_configENS1_20scan_config_selectorIjEEZZNS1_9scan_implILNS1_25lookback_scan_determinismE0ELb1ELb1ES3_N6thrust23THRUST_200600_302600_NS6detail15normal_iteratorINS9_10device_ptrIjEEEENS9_16discard_iteratorINS9_11use_defaultEEEj11max_functorIjEjEEDaPvRmT3_T4_T5_mT6_P12ihipStream_tbENKUlT_T0_E_clISt17integral_constantIbLb1EESW_IbLb0EEEEDaSS_ST_EUlSS_E_NS1_11comp_targetILNS1_3genE4ELNS1_11target_archE910ELNS1_3gpuE8ELNS1_3repE0EEENS1_30default_config_static_selectorELNS0_4arch9wavefront6targetE1EEEvT1_,"axG",@progbits,_ZN7rocprim17ROCPRIM_400000_NS6detail17trampoline_kernelINS0_14default_configENS1_20scan_config_selectorIjEEZZNS1_9scan_implILNS1_25lookback_scan_determinismE0ELb1ELb1ES3_N6thrust23THRUST_200600_302600_NS6detail15normal_iteratorINS9_10device_ptrIjEEEENS9_16discard_iteratorINS9_11use_defaultEEEj11max_functorIjEjEEDaPvRmT3_T4_T5_mT6_P12ihipStream_tbENKUlT_T0_E_clISt17integral_constantIbLb1EESW_IbLb0EEEEDaSS_ST_EUlSS_E_NS1_11comp_targetILNS1_3genE4ELNS1_11target_archE910ELNS1_3gpuE8ELNS1_3repE0EEENS1_30default_config_static_selectorELNS0_4arch9wavefront6targetE1EEEvT1_,comdat
.Lfunc_end3532:
	.size	_ZN7rocprim17ROCPRIM_400000_NS6detail17trampoline_kernelINS0_14default_configENS1_20scan_config_selectorIjEEZZNS1_9scan_implILNS1_25lookback_scan_determinismE0ELb1ELb1ES3_N6thrust23THRUST_200600_302600_NS6detail15normal_iteratorINS9_10device_ptrIjEEEENS9_16discard_iteratorINS9_11use_defaultEEEj11max_functorIjEjEEDaPvRmT3_T4_T5_mT6_P12ihipStream_tbENKUlT_T0_E_clISt17integral_constantIbLb1EESW_IbLb0EEEEDaSS_ST_EUlSS_E_NS1_11comp_targetILNS1_3genE4ELNS1_11target_archE910ELNS1_3gpuE8ELNS1_3repE0EEENS1_30default_config_static_selectorELNS0_4arch9wavefront6targetE1EEEvT1_, .Lfunc_end3532-_ZN7rocprim17ROCPRIM_400000_NS6detail17trampoline_kernelINS0_14default_configENS1_20scan_config_selectorIjEEZZNS1_9scan_implILNS1_25lookback_scan_determinismE0ELb1ELb1ES3_N6thrust23THRUST_200600_302600_NS6detail15normal_iteratorINS9_10device_ptrIjEEEENS9_16discard_iteratorINS9_11use_defaultEEEj11max_functorIjEjEEDaPvRmT3_T4_T5_mT6_P12ihipStream_tbENKUlT_T0_E_clISt17integral_constantIbLb1EESW_IbLb0EEEEDaSS_ST_EUlSS_E_NS1_11comp_targetILNS1_3genE4ELNS1_11target_archE910ELNS1_3gpuE8ELNS1_3repE0EEENS1_30default_config_static_selectorELNS0_4arch9wavefront6targetE1EEEvT1_
                                        ; -- End function
	.section	.AMDGPU.csdata,"",@progbits
; Kernel info:
; codeLenInByte = 3960
; NumSgprs: 30
; NumVgprs: 40
; NumAgprs: 0
; TotalNumVgprs: 40
; ScratchSize: 0
; MemoryBound: 0
; FloatMode: 240
; IeeeMode: 1
; LDSByteSize: 5120 bytes/workgroup (compile time only)
; SGPRBlocks: 3
; VGPRBlocks: 4
; NumSGPRsForWavesPerEU: 30
; NumVGPRsForWavesPerEU: 40
; AccumOffset: 40
; Occupancy: 6
; WaveLimiterHint : 1
; COMPUTE_PGM_RSRC2:SCRATCH_EN: 0
; COMPUTE_PGM_RSRC2:USER_SGPR: 6
; COMPUTE_PGM_RSRC2:TRAP_HANDLER: 0
; COMPUTE_PGM_RSRC2:TGID_X_EN: 1
; COMPUTE_PGM_RSRC2:TGID_Y_EN: 0
; COMPUTE_PGM_RSRC2:TGID_Z_EN: 0
; COMPUTE_PGM_RSRC2:TIDIG_COMP_CNT: 0
; COMPUTE_PGM_RSRC3_GFX90A:ACCUM_OFFSET: 9
; COMPUTE_PGM_RSRC3_GFX90A:TG_SPLIT: 0
	.section	.text._ZN7rocprim17ROCPRIM_400000_NS6detail17trampoline_kernelINS0_14default_configENS1_20scan_config_selectorIjEEZZNS1_9scan_implILNS1_25lookback_scan_determinismE0ELb1ELb1ES3_N6thrust23THRUST_200600_302600_NS6detail15normal_iteratorINS9_10device_ptrIjEEEENS9_16discard_iteratorINS9_11use_defaultEEEj11max_functorIjEjEEDaPvRmT3_T4_T5_mT6_P12ihipStream_tbENKUlT_T0_E_clISt17integral_constantIbLb1EESW_IbLb0EEEEDaSS_ST_EUlSS_E_NS1_11comp_targetILNS1_3genE3ELNS1_11target_archE908ELNS1_3gpuE7ELNS1_3repE0EEENS1_30default_config_static_selectorELNS0_4arch9wavefront6targetE1EEEvT1_,"axG",@progbits,_ZN7rocprim17ROCPRIM_400000_NS6detail17trampoline_kernelINS0_14default_configENS1_20scan_config_selectorIjEEZZNS1_9scan_implILNS1_25lookback_scan_determinismE0ELb1ELb1ES3_N6thrust23THRUST_200600_302600_NS6detail15normal_iteratorINS9_10device_ptrIjEEEENS9_16discard_iteratorINS9_11use_defaultEEEj11max_functorIjEjEEDaPvRmT3_T4_T5_mT6_P12ihipStream_tbENKUlT_T0_E_clISt17integral_constantIbLb1EESW_IbLb0EEEEDaSS_ST_EUlSS_E_NS1_11comp_targetILNS1_3genE3ELNS1_11target_archE908ELNS1_3gpuE7ELNS1_3repE0EEENS1_30default_config_static_selectorELNS0_4arch9wavefront6targetE1EEEvT1_,comdat
	.protected	_ZN7rocprim17ROCPRIM_400000_NS6detail17trampoline_kernelINS0_14default_configENS1_20scan_config_selectorIjEEZZNS1_9scan_implILNS1_25lookback_scan_determinismE0ELb1ELb1ES3_N6thrust23THRUST_200600_302600_NS6detail15normal_iteratorINS9_10device_ptrIjEEEENS9_16discard_iteratorINS9_11use_defaultEEEj11max_functorIjEjEEDaPvRmT3_T4_T5_mT6_P12ihipStream_tbENKUlT_T0_E_clISt17integral_constantIbLb1EESW_IbLb0EEEEDaSS_ST_EUlSS_E_NS1_11comp_targetILNS1_3genE3ELNS1_11target_archE908ELNS1_3gpuE7ELNS1_3repE0EEENS1_30default_config_static_selectorELNS0_4arch9wavefront6targetE1EEEvT1_ ; -- Begin function _ZN7rocprim17ROCPRIM_400000_NS6detail17trampoline_kernelINS0_14default_configENS1_20scan_config_selectorIjEEZZNS1_9scan_implILNS1_25lookback_scan_determinismE0ELb1ELb1ES3_N6thrust23THRUST_200600_302600_NS6detail15normal_iteratorINS9_10device_ptrIjEEEENS9_16discard_iteratorINS9_11use_defaultEEEj11max_functorIjEjEEDaPvRmT3_T4_T5_mT6_P12ihipStream_tbENKUlT_T0_E_clISt17integral_constantIbLb1EESW_IbLb0EEEEDaSS_ST_EUlSS_E_NS1_11comp_targetILNS1_3genE3ELNS1_11target_archE908ELNS1_3gpuE7ELNS1_3repE0EEENS1_30default_config_static_selectorELNS0_4arch9wavefront6targetE1EEEvT1_
	.globl	_ZN7rocprim17ROCPRIM_400000_NS6detail17trampoline_kernelINS0_14default_configENS1_20scan_config_selectorIjEEZZNS1_9scan_implILNS1_25lookback_scan_determinismE0ELb1ELb1ES3_N6thrust23THRUST_200600_302600_NS6detail15normal_iteratorINS9_10device_ptrIjEEEENS9_16discard_iteratorINS9_11use_defaultEEEj11max_functorIjEjEEDaPvRmT3_T4_T5_mT6_P12ihipStream_tbENKUlT_T0_E_clISt17integral_constantIbLb1EESW_IbLb0EEEEDaSS_ST_EUlSS_E_NS1_11comp_targetILNS1_3genE3ELNS1_11target_archE908ELNS1_3gpuE7ELNS1_3repE0EEENS1_30default_config_static_selectorELNS0_4arch9wavefront6targetE1EEEvT1_
	.p2align	8
	.type	_ZN7rocprim17ROCPRIM_400000_NS6detail17trampoline_kernelINS0_14default_configENS1_20scan_config_selectorIjEEZZNS1_9scan_implILNS1_25lookback_scan_determinismE0ELb1ELb1ES3_N6thrust23THRUST_200600_302600_NS6detail15normal_iteratorINS9_10device_ptrIjEEEENS9_16discard_iteratorINS9_11use_defaultEEEj11max_functorIjEjEEDaPvRmT3_T4_T5_mT6_P12ihipStream_tbENKUlT_T0_E_clISt17integral_constantIbLb1EESW_IbLb0EEEEDaSS_ST_EUlSS_E_NS1_11comp_targetILNS1_3genE3ELNS1_11target_archE908ELNS1_3gpuE7ELNS1_3repE0EEENS1_30default_config_static_selectorELNS0_4arch9wavefront6targetE1EEEvT1_,@function
_ZN7rocprim17ROCPRIM_400000_NS6detail17trampoline_kernelINS0_14default_configENS1_20scan_config_selectorIjEEZZNS1_9scan_implILNS1_25lookback_scan_determinismE0ELb1ELb1ES3_N6thrust23THRUST_200600_302600_NS6detail15normal_iteratorINS9_10device_ptrIjEEEENS9_16discard_iteratorINS9_11use_defaultEEEj11max_functorIjEjEEDaPvRmT3_T4_T5_mT6_P12ihipStream_tbENKUlT_T0_E_clISt17integral_constantIbLb1EESW_IbLb0EEEEDaSS_ST_EUlSS_E_NS1_11comp_targetILNS1_3genE3ELNS1_11target_archE908ELNS1_3gpuE7ELNS1_3repE0EEENS1_30default_config_static_selectorELNS0_4arch9wavefront6targetE1EEEvT1_: ; @_ZN7rocprim17ROCPRIM_400000_NS6detail17trampoline_kernelINS0_14default_configENS1_20scan_config_selectorIjEEZZNS1_9scan_implILNS1_25lookback_scan_determinismE0ELb1ELb1ES3_N6thrust23THRUST_200600_302600_NS6detail15normal_iteratorINS9_10device_ptrIjEEEENS9_16discard_iteratorINS9_11use_defaultEEEj11max_functorIjEjEEDaPvRmT3_T4_T5_mT6_P12ihipStream_tbENKUlT_T0_E_clISt17integral_constantIbLb1EESW_IbLb0EEEEDaSS_ST_EUlSS_E_NS1_11comp_targetILNS1_3genE3ELNS1_11target_archE908ELNS1_3gpuE7ELNS1_3repE0EEENS1_30default_config_static_selectorELNS0_4arch9wavefront6targetE1EEEvT1_
; %bb.0:
	.section	.rodata,"a",@progbits
	.p2align	6, 0x0
	.amdhsa_kernel _ZN7rocprim17ROCPRIM_400000_NS6detail17trampoline_kernelINS0_14default_configENS1_20scan_config_selectorIjEEZZNS1_9scan_implILNS1_25lookback_scan_determinismE0ELb1ELb1ES3_N6thrust23THRUST_200600_302600_NS6detail15normal_iteratorINS9_10device_ptrIjEEEENS9_16discard_iteratorINS9_11use_defaultEEEj11max_functorIjEjEEDaPvRmT3_T4_T5_mT6_P12ihipStream_tbENKUlT_T0_E_clISt17integral_constantIbLb1EESW_IbLb0EEEEDaSS_ST_EUlSS_E_NS1_11comp_targetILNS1_3genE3ELNS1_11target_archE908ELNS1_3gpuE7ELNS1_3repE0EEENS1_30default_config_static_selectorELNS0_4arch9wavefront6targetE1EEEvT1_
		.amdhsa_group_segment_fixed_size 0
		.amdhsa_private_segment_fixed_size 0
		.amdhsa_kernarg_size 104
		.amdhsa_user_sgpr_count 6
		.amdhsa_user_sgpr_private_segment_buffer 1
		.amdhsa_user_sgpr_dispatch_ptr 0
		.amdhsa_user_sgpr_queue_ptr 0
		.amdhsa_user_sgpr_kernarg_segment_ptr 1
		.amdhsa_user_sgpr_dispatch_id 0
		.amdhsa_user_sgpr_flat_scratch_init 0
		.amdhsa_user_sgpr_kernarg_preload_length 0
		.amdhsa_user_sgpr_kernarg_preload_offset 0
		.amdhsa_user_sgpr_private_segment_size 0
		.amdhsa_uses_dynamic_stack 0
		.amdhsa_system_sgpr_private_segment_wavefront_offset 0
		.amdhsa_system_sgpr_workgroup_id_x 1
		.amdhsa_system_sgpr_workgroup_id_y 0
		.amdhsa_system_sgpr_workgroup_id_z 0
		.amdhsa_system_sgpr_workgroup_info 0
		.amdhsa_system_vgpr_workitem_id 0
		.amdhsa_next_free_vgpr 1
		.amdhsa_next_free_sgpr 0
		.amdhsa_accum_offset 4
		.amdhsa_reserve_vcc 0
		.amdhsa_reserve_flat_scratch 0
		.amdhsa_float_round_mode_32 0
		.amdhsa_float_round_mode_16_64 0
		.amdhsa_float_denorm_mode_32 3
		.amdhsa_float_denorm_mode_16_64 3
		.amdhsa_dx10_clamp 1
		.amdhsa_ieee_mode 1
		.amdhsa_fp16_overflow 0
		.amdhsa_tg_split 0
		.amdhsa_exception_fp_ieee_invalid_op 0
		.amdhsa_exception_fp_denorm_src 0
		.amdhsa_exception_fp_ieee_div_zero 0
		.amdhsa_exception_fp_ieee_overflow 0
		.amdhsa_exception_fp_ieee_underflow 0
		.amdhsa_exception_fp_ieee_inexact 0
		.amdhsa_exception_int_div_zero 0
	.end_amdhsa_kernel
	.section	.text._ZN7rocprim17ROCPRIM_400000_NS6detail17trampoline_kernelINS0_14default_configENS1_20scan_config_selectorIjEEZZNS1_9scan_implILNS1_25lookback_scan_determinismE0ELb1ELb1ES3_N6thrust23THRUST_200600_302600_NS6detail15normal_iteratorINS9_10device_ptrIjEEEENS9_16discard_iteratorINS9_11use_defaultEEEj11max_functorIjEjEEDaPvRmT3_T4_T5_mT6_P12ihipStream_tbENKUlT_T0_E_clISt17integral_constantIbLb1EESW_IbLb0EEEEDaSS_ST_EUlSS_E_NS1_11comp_targetILNS1_3genE3ELNS1_11target_archE908ELNS1_3gpuE7ELNS1_3repE0EEENS1_30default_config_static_selectorELNS0_4arch9wavefront6targetE1EEEvT1_,"axG",@progbits,_ZN7rocprim17ROCPRIM_400000_NS6detail17trampoline_kernelINS0_14default_configENS1_20scan_config_selectorIjEEZZNS1_9scan_implILNS1_25lookback_scan_determinismE0ELb1ELb1ES3_N6thrust23THRUST_200600_302600_NS6detail15normal_iteratorINS9_10device_ptrIjEEEENS9_16discard_iteratorINS9_11use_defaultEEEj11max_functorIjEjEEDaPvRmT3_T4_T5_mT6_P12ihipStream_tbENKUlT_T0_E_clISt17integral_constantIbLb1EESW_IbLb0EEEEDaSS_ST_EUlSS_E_NS1_11comp_targetILNS1_3genE3ELNS1_11target_archE908ELNS1_3gpuE7ELNS1_3repE0EEENS1_30default_config_static_selectorELNS0_4arch9wavefront6targetE1EEEvT1_,comdat
.Lfunc_end3533:
	.size	_ZN7rocprim17ROCPRIM_400000_NS6detail17trampoline_kernelINS0_14default_configENS1_20scan_config_selectorIjEEZZNS1_9scan_implILNS1_25lookback_scan_determinismE0ELb1ELb1ES3_N6thrust23THRUST_200600_302600_NS6detail15normal_iteratorINS9_10device_ptrIjEEEENS9_16discard_iteratorINS9_11use_defaultEEEj11max_functorIjEjEEDaPvRmT3_T4_T5_mT6_P12ihipStream_tbENKUlT_T0_E_clISt17integral_constantIbLb1EESW_IbLb0EEEEDaSS_ST_EUlSS_E_NS1_11comp_targetILNS1_3genE3ELNS1_11target_archE908ELNS1_3gpuE7ELNS1_3repE0EEENS1_30default_config_static_selectorELNS0_4arch9wavefront6targetE1EEEvT1_, .Lfunc_end3533-_ZN7rocprim17ROCPRIM_400000_NS6detail17trampoline_kernelINS0_14default_configENS1_20scan_config_selectorIjEEZZNS1_9scan_implILNS1_25lookback_scan_determinismE0ELb1ELb1ES3_N6thrust23THRUST_200600_302600_NS6detail15normal_iteratorINS9_10device_ptrIjEEEENS9_16discard_iteratorINS9_11use_defaultEEEj11max_functorIjEjEEDaPvRmT3_T4_T5_mT6_P12ihipStream_tbENKUlT_T0_E_clISt17integral_constantIbLb1EESW_IbLb0EEEEDaSS_ST_EUlSS_E_NS1_11comp_targetILNS1_3genE3ELNS1_11target_archE908ELNS1_3gpuE7ELNS1_3repE0EEENS1_30default_config_static_selectorELNS0_4arch9wavefront6targetE1EEEvT1_
                                        ; -- End function
	.section	.AMDGPU.csdata,"",@progbits
; Kernel info:
; codeLenInByte = 0
; NumSgprs: 4
; NumVgprs: 0
; NumAgprs: 0
; TotalNumVgprs: 0
; ScratchSize: 0
; MemoryBound: 0
; FloatMode: 240
; IeeeMode: 1
; LDSByteSize: 0 bytes/workgroup (compile time only)
; SGPRBlocks: 0
; VGPRBlocks: 0
; NumSGPRsForWavesPerEU: 4
; NumVGPRsForWavesPerEU: 1
; AccumOffset: 4
; Occupancy: 8
; WaveLimiterHint : 0
; COMPUTE_PGM_RSRC2:SCRATCH_EN: 0
; COMPUTE_PGM_RSRC2:USER_SGPR: 6
; COMPUTE_PGM_RSRC2:TRAP_HANDLER: 0
; COMPUTE_PGM_RSRC2:TGID_X_EN: 1
; COMPUTE_PGM_RSRC2:TGID_Y_EN: 0
; COMPUTE_PGM_RSRC2:TGID_Z_EN: 0
; COMPUTE_PGM_RSRC2:TIDIG_COMP_CNT: 0
; COMPUTE_PGM_RSRC3_GFX90A:ACCUM_OFFSET: 0
; COMPUTE_PGM_RSRC3_GFX90A:TG_SPLIT: 0
	.section	.text._ZN7rocprim17ROCPRIM_400000_NS6detail17trampoline_kernelINS0_14default_configENS1_20scan_config_selectorIjEEZZNS1_9scan_implILNS1_25lookback_scan_determinismE0ELb1ELb1ES3_N6thrust23THRUST_200600_302600_NS6detail15normal_iteratorINS9_10device_ptrIjEEEENS9_16discard_iteratorINS9_11use_defaultEEEj11max_functorIjEjEEDaPvRmT3_T4_T5_mT6_P12ihipStream_tbENKUlT_T0_E_clISt17integral_constantIbLb1EESW_IbLb0EEEEDaSS_ST_EUlSS_E_NS1_11comp_targetILNS1_3genE2ELNS1_11target_archE906ELNS1_3gpuE6ELNS1_3repE0EEENS1_30default_config_static_selectorELNS0_4arch9wavefront6targetE1EEEvT1_,"axG",@progbits,_ZN7rocprim17ROCPRIM_400000_NS6detail17trampoline_kernelINS0_14default_configENS1_20scan_config_selectorIjEEZZNS1_9scan_implILNS1_25lookback_scan_determinismE0ELb1ELb1ES3_N6thrust23THRUST_200600_302600_NS6detail15normal_iteratorINS9_10device_ptrIjEEEENS9_16discard_iteratorINS9_11use_defaultEEEj11max_functorIjEjEEDaPvRmT3_T4_T5_mT6_P12ihipStream_tbENKUlT_T0_E_clISt17integral_constantIbLb1EESW_IbLb0EEEEDaSS_ST_EUlSS_E_NS1_11comp_targetILNS1_3genE2ELNS1_11target_archE906ELNS1_3gpuE6ELNS1_3repE0EEENS1_30default_config_static_selectorELNS0_4arch9wavefront6targetE1EEEvT1_,comdat
	.protected	_ZN7rocprim17ROCPRIM_400000_NS6detail17trampoline_kernelINS0_14default_configENS1_20scan_config_selectorIjEEZZNS1_9scan_implILNS1_25lookback_scan_determinismE0ELb1ELb1ES3_N6thrust23THRUST_200600_302600_NS6detail15normal_iteratorINS9_10device_ptrIjEEEENS9_16discard_iteratorINS9_11use_defaultEEEj11max_functorIjEjEEDaPvRmT3_T4_T5_mT6_P12ihipStream_tbENKUlT_T0_E_clISt17integral_constantIbLb1EESW_IbLb0EEEEDaSS_ST_EUlSS_E_NS1_11comp_targetILNS1_3genE2ELNS1_11target_archE906ELNS1_3gpuE6ELNS1_3repE0EEENS1_30default_config_static_selectorELNS0_4arch9wavefront6targetE1EEEvT1_ ; -- Begin function _ZN7rocprim17ROCPRIM_400000_NS6detail17trampoline_kernelINS0_14default_configENS1_20scan_config_selectorIjEEZZNS1_9scan_implILNS1_25lookback_scan_determinismE0ELb1ELb1ES3_N6thrust23THRUST_200600_302600_NS6detail15normal_iteratorINS9_10device_ptrIjEEEENS9_16discard_iteratorINS9_11use_defaultEEEj11max_functorIjEjEEDaPvRmT3_T4_T5_mT6_P12ihipStream_tbENKUlT_T0_E_clISt17integral_constantIbLb1EESW_IbLb0EEEEDaSS_ST_EUlSS_E_NS1_11comp_targetILNS1_3genE2ELNS1_11target_archE906ELNS1_3gpuE6ELNS1_3repE0EEENS1_30default_config_static_selectorELNS0_4arch9wavefront6targetE1EEEvT1_
	.globl	_ZN7rocprim17ROCPRIM_400000_NS6detail17trampoline_kernelINS0_14default_configENS1_20scan_config_selectorIjEEZZNS1_9scan_implILNS1_25lookback_scan_determinismE0ELb1ELb1ES3_N6thrust23THRUST_200600_302600_NS6detail15normal_iteratorINS9_10device_ptrIjEEEENS9_16discard_iteratorINS9_11use_defaultEEEj11max_functorIjEjEEDaPvRmT3_T4_T5_mT6_P12ihipStream_tbENKUlT_T0_E_clISt17integral_constantIbLb1EESW_IbLb0EEEEDaSS_ST_EUlSS_E_NS1_11comp_targetILNS1_3genE2ELNS1_11target_archE906ELNS1_3gpuE6ELNS1_3repE0EEENS1_30default_config_static_selectorELNS0_4arch9wavefront6targetE1EEEvT1_
	.p2align	8
	.type	_ZN7rocprim17ROCPRIM_400000_NS6detail17trampoline_kernelINS0_14default_configENS1_20scan_config_selectorIjEEZZNS1_9scan_implILNS1_25lookback_scan_determinismE0ELb1ELb1ES3_N6thrust23THRUST_200600_302600_NS6detail15normal_iteratorINS9_10device_ptrIjEEEENS9_16discard_iteratorINS9_11use_defaultEEEj11max_functorIjEjEEDaPvRmT3_T4_T5_mT6_P12ihipStream_tbENKUlT_T0_E_clISt17integral_constantIbLb1EESW_IbLb0EEEEDaSS_ST_EUlSS_E_NS1_11comp_targetILNS1_3genE2ELNS1_11target_archE906ELNS1_3gpuE6ELNS1_3repE0EEENS1_30default_config_static_selectorELNS0_4arch9wavefront6targetE1EEEvT1_,@function
_ZN7rocprim17ROCPRIM_400000_NS6detail17trampoline_kernelINS0_14default_configENS1_20scan_config_selectorIjEEZZNS1_9scan_implILNS1_25lookback_scan_determinismE0ELb1ELb1ES3_N6thrust23THRUST_200600_302600_NS6detail15normal_iteratorINS9_10device_ptrIjEEEENS9_16discard_iteratorINS9_11use_defaultEEEj11max_functorIjEjEEDaPvRmT3_T4_T5_mT6_P12ihipStream_tbENKUlT_T0_E_clISt17integral_constantIbLb1EESW_IbLb0EEEEDaSS_ST_EUlSS_E_NS1_11comp_targetILNS1_3genE2ELNS1_11target_archE906ELNS1_3gpuE6ELNS1_3repE0EEENS1_30default_config_static_selectorELNS0_4arch9wavefront6targetE1EEEvT1_: ; @_ZN7rocprim17ROCPRIM_400000_NS6detail17trampoline_kernelINS0_14default_configENS1_20scan_config_selectorIjEEZZNS1_9scan_implILNS1_25lookback_scan_determinismE0ELb1ELb1ES3_N6thrust23THRUST_200600_302600_NS6detail15normal_iteratorINS9_10device_ptrIjEEEENS9_16discard_iteratorINS9_11use_defaultEEEj11max_functorIjEjEEDaPvRmT3_T4_T5_mT6_P12ihipStream_tbENKUlT_T0_E_clISt17integral_constantIbLb1EESW_IbLb0EEEEDaSS_ST_EUlSS_E_NS1_11comp_targetILNS1_3genE2ELNS1_11target_archE906ELNS1_3gpuE6ELNS1_3repE0EEENS1_30default_config_static_selectorELNS0_4arch9wavefront6targetE1EEEvT1_
; %bb.0:
	.section	.rodata,"a",@progbits
	.p2align	6, 0x0
	.amdhsa_kernel _ZN7rocprim17ROCPRIM_400000_NS6detail17trampoline_kernelINS0_14default_configENS1_20scan_config_selectorIjEEZZNS1_9scan_implILNS1_25lookback_scan_determinismE0ELb1ELb1ES3_N6thrust23THRUST_200600_302600_NS6detail15normal_iteratorINS9_10device_ptrIjEEEENS9_16discard_iteratorINS9_11use_defaultEEEj11max_functorIjEjEEDaPvRmT3_T4_T5_mT6_P12ihipStream_tbENKUlT_T0_E_clISt17integral_constantIbLb1EESW_IbLb0EEEEDaSS_ST_EUlSS_E_NS1_11comp_targetILNS1_3genE2ELNS1_11target_archE906ELNS1_3gpuE6ELNS1_3repE0EEENS1_30default_config_static_selectorELNS0_4arch9wavefront6targetE1EEEvT1_
		.amdhsa_group_segment_fixed_size 0
		.amdhsa_private_segment_fixed_size 0
		.amdhsa_kernarg_size 104
		.amdhsa_user_sgpr_count 6
		.amdhsa_user_sgpr_private_segment_buffer 1
		.amdhsa_user_sgpr_dispatch_ptr 0
		.amdhsa_user_sgpr_queue_ptr 0
		.amdhsa_user_sgpr_kernarg_segment_ptr 1
		.amdhsa_user_sgpr_dispatch_id 0
		.amdhsa_user_sgpr_flat_scratch_init 0
		.amdhsa_user_sgpr_kernarg_preload_length 0
		.amdhsa_user_sgpr_kernarg_preload_offset 0
		.amdhsa_user_sgpr_private_segment_size 0
		.amdhsa_uses_dynamic_stack 0
		.amdhsa_system_sgpr_private_segment_wavefront_offset 0
		.amdhsa_system_sgpr_workgroup_id_x 1
		.amdhsa_system_sgpr_workgroup_id_y 0
		.amdhsa_system_sgpr_workgroup_id_z 0
		.amdhsa_system_sgpr_workgroup_info 0
		.amdhsa_system_vgpr_workitem_id 0
		.amdhsa_next_free_vgpr 1
		.amdhsa_next_free_sgpr 0
		.amdhsa_accum_offset 4
		.amdhsa_reserve_vcc 0
		.amdhsa_reserve_flat_scratch 0
		.amdhsa_float_round_mode_32 0
		.amdhsa_float_round_mode_16_64 0
		.amdhsa_float_denorm_mode_32 3
		.amdhsa_float_denorm_mode_16_64 3
		.amdhsa_dx10_clamp 1
		.amdhsa_ieee_mode 1
		.amdhsa_fp16_overflow 0
		.amdhsa_tg_split 0
		.amdhsa_exception_fp_ieee_invalid_op 0
		.amdhsa_exception_fp_denorm_src 0
		.amdhsa_exception_fp_ieee_div_zero 0
		.amdhsa_exception_fp_ieee_overflow 0
		.amdhsa_exception_fp_ieee_underflow 0
		.amdhsa_exception_fp_ieee_inexact 0
		.amdhsa_exception_int_div_zero 0
	.end_amdhsa_kernel
	.section	.text._ZN7rocprim17ROCPRIM_400000_NS6detail17trampoline_kernelINS0_14default_configENS1_20scan_config_selectorIjEEZZNS1_9scan_implILNS1_25lookback_scan_determinismE0ELb1ELb1ES3_N6thrust23THRUST_200600_302600_NS6detail15normal_iteratorINS9_10device_ptrIjEEEENS9_16discard_iteratorINS9_11use_defaultEEEj11max_functorIjEjEEDaPvRmT3_T4_T5_mT6_P12ihipStream_tbENKUlT_T0_E_clISt17integral_constantIbLb1EESW_IbLb0EEEEDaSS_ST_EUlSS_E_NS1_11comp_targetILNS1_3genE2ELNS1_11target_archE906ELNS1_3gpuE6ELNS1_3repE0EEENS1_30default_config_static_selectorELNS0_4arch9wavefront6targetE1EEEvT1_,"axG",@progbits,_ZN7rocprim17ROCPRIM_400000_NS6detail17trampoline_kernelINS0_14default_configENS1_20scan_config_selectorIjEEZZNS1_9scan_implILNS1_25lookback_scan_determinismE0ELb1ELb1ES3_N6thrust23THRUST_200600_302600_NS6detail15normal_iteratorINS9_10device_ptrIjEEEENS9_16discard_iteratorINS9_11use_defaultEEEj11max_functorIjEjEEDaPvRmT3_T4_T5_mT6_P12ihipStream_tbENKUlT_T0_E_clISt17integral_constantIbLb1EESW_IbLb0EEEEDaSS_ST_EUlSS_E_NS1_11comp_targetILNS1_3genE2ELNS1_11target_archE906ELNS1_3gpuE6ELNS1_3repE0EEENS1_30default_config_static_selectorELNS0_4arch9wavefront6targetE1EEEvT1_,comdat
.Lfunc_end3534:
	.size	_ZN7rocprim17ROCPRIM_400000_NS6detail17trampoline_kernelINS0_14default_configENS1_20scan_config_selectorIjEEZZNS1_9scan_implILNS1_25lookback_scan_determinismE0ELb1ELb1ES3_N6thrust23THRUST_200600_302600_NS6detail15normal_iteratorINS9_10device_ptrIjEEEENS9_16discard_iteratorINS9_11use_defaultEEEj11max_functorIjEjEEDaPvRmT3_T4_T5_mT6_P12ihipStream_tbENKUlT_T0_E_clISt17integral_constantIbLb1EESW_IbLb0EEEEDaSS_ST_EUlSS_E_NS1_11comp_targetILNS1_3genE2ELNS1_11target_archE906ELNS1_3gpuE6ELNS1_3repE0EEENS1_30default_config_static_selectorELNS0_4arch9wavefront6targetE1EEEvT1_, .Lfunc_end3534-_ZN7rocprim17ROCPRIM_400000_NS6detail17trampoline_kernelINS0_14default_configENS1_20scan_config_selectorIjEEZZNS1_9scan_implILNS1_25lookback_scan_determinismE0ELb1ELb1ES3_N6thrust23THRUST_200600_302600_NS6detail15normal_iteratorINS9_10device_ptrIjEEEENS9_16discard_iteratorINS9_11use_defaultEEEj11max_functorIjEjEEDaPvRmT3_T4_T5_mT6_P12ihipStream_tbENKUlT_T0_E_clISt17integral_constantIbLb1EESW_IbLb0EEEEDaSS_ST_EUlSS_E_NS1_11comp_targetILNS1_3genE2ELNS1_11target_archE906ELNS1_3gpuE6ELNS1_3repE0EEENS1_30default_config_static_selectorELNS0_4arch9wavefront6targetE1EEEvT1_
                                        ; -- End function
	.section	.AMDGPU.csdata,"",@progbits
; Kernel info:
; codeLenInByte = 0
; NumSgprs: 4
; NumVgprs: 0
; NumAgprs: 0
; TotalNumVgprs: 0
; ScratchSize: 0
; MemoryBound: 0
; FloatMode: 240
; IeeeMode: 1
; LDSByteSize: 0 bytes/workgroup (compile time only)
; SGPRBlocks: 0
; VGPRBlocks: 0
; NumSGPRsForWavesPerEU: 4
; NumVGPRsForWavesPerEU: 1
; AccumOffset: 4
; Occupancy: 8
; WaveLimiterHint : 0
; COMPUTE_PGM_RSRC2:SCRATCH_EN: 0
; COMPUTE_PGM_RSRC2:USER_SGPR: 6
; COMPUTE_PGM_RSRC2:TRAP_HANDLER: 0
; COMPUTE_PGM_RSRC2:TGID_X_EN: 1
; COMPUTE_PGM_RSRC2:TGID_Y_EN: 0
; COMPUTE_PGM_RSRC2:TGID_Z_EN: 0
; COMPUTE_PGM_RSRC2:TIDIG_COMP_CNT: 0
; COMPUTE_PGM_RSRC3_GFX90A:ACCUM_OFFSET: 0
; COMPUTE_PGM_RSRC3_GFX90A:TG_SPLIT: 0
	.section	.text._ZN7rocprim17ROCPRIM_400000_NS6detail17trampoline_kernelINS0_14default_configENS1_20scan_config_selectorIjEEZZNS1_9scan_implILNS1_25lookback_scan_determinismE0ELb1ELb1ES3_N6thrust23THRUST_200600_302600_NS6detail15normal_iteratorINS9_10device_ptrIjEEEENS9_16discard_iteratorINS9_11use_defaultEEEj11max_functorIjEjEEDaPvRmT3_T4_T5_mT6_P12ihipStream_tbENKUlT_T0_E_clISt17integral_constantIbLb1EESW_IbLb0EEEEDaSS_ST_EUlSS_E_NS1_11comp_targetILNS1_3genE10ELNS1_11target_archE1201ELNS1_3gpuE5ELNS1_3repE0EEENS1_30default_config_static_selectorELNS0_4arch9wavefront6targetE1EEEvT1_,"axG",@progbits,_ZN7rocprim17ROCPRIM_400000_NS6detail17trampoline_kernelINS0_14default_configENS1_20scan_config_selectorIjEEZZNS1_9scan_implILNS1_25lookback_scan_determinismE0ELb1ELb1ES3_N6thrust23THRUST_200600_302600_NS6detail15normal_iteratorINS9_10device_ptrIjEEEENS9_16discard_iteratorINS9_11use_defaultEEEj11max_functorIjEjEEDaPvRmT3_T4_T5_mT6_P12ihipStream_tbENKUlT_T0_E_clISt17integral_constantIbLb1EESW_IbLb0EEEEDaSS_ST_EUlSS_E_NS1_11comp_targetILNS1_3genE10ELNS1_11target_archE1201ELNS1_3gpuE5ELNS1_3repE0EEENS1_30default_config_static_selectorELNS0_4arch9wavefront6targetE1EEEvT1_,comdat
	.protected	_ZN7rocprim17ROCPRIM_400000_NS6detail17trampoline_kernelINS0_14default_configENS1_20scan_config_selectorIjEEZZNS1_9scan_implILNS1_25lookback_scan_determinismE0ELb1ELb1ES3_N6thrust23THRUST_200600_302600_NS6detail15normal_iteratorINS9_10device_ptrIjEEEENS9_16discard_iteratorINS9_11use_defaultEEEj11max_functorIjEjEEDaPvRmT3_T4_T5_mT6_P12ihipStream_tbENKUlT_T0_E_clISt17integral_constantIbLb1EESW_IbLb0EEEEDaSS_ST_EUlSS_E_NS1_11comp_targetILNS1_3genE10ELNS1_11target_archE1201ELNS1_3gpuE5ELNS1_3repE0EEENS1_30default_config_static_selectorELNS0_4arch9wavefront6targetE1EEEvT1_ ; -- Begin function _ZN7rocprim17ROCPRIM_400000_NS6detail17trampoline_kernelINS0_14default_configENS1_20scan_config_selectorIjEEZZNS1_9scan_implILNS1_25lookback_scan_determinismE0ELb1ELb1ES3_N6thrust23THRUST_200600_302600_NS6detail15normal_iteratorINS9_10device_ptrIjEEEENS9_16discard_iteratorINS9_11use_defaultEEEj11max_functorIjEjEEDaPvRmT3_T4_T5_mT6_P12ihipStream_tbENKUlT_T0_E_clISt17integral_constantIbLb1EESW_IbLb0EEEEDaSS_ST_EUlSS_E_NS1_11comp_targetILNS1_3genE10ELNS1_11target_archE1201ELNS1_3gpuE5ELNS1_3repE0EEENS1_30default_config_static_selectorELNS0_4arch9wavefront6targetE1EEEvT1_
	.globl	_ZN7rocprim17ROCPRIM_400000_NS6detail17trampoline_kernelINS0_14default_configENS1_20scan_config_selectorIjEEZZNS1_9scan_implILNS1_25lookback_scan_determinismE0ELb1ELb1ES3_N6thrust23THRUST_200600_302600_NS6detail15normal_iteratorINS9_10device_ptrIjEEEENS9_16discard_iteratorINS9_11use_defaultEEEj11max_functorIjEjEEDaPvRmT3_T4_T5_mT6_P12ihipStream_tbENKUlT_T0_E_clISt17integral_constantIbLb1EESW_IbLb0EEEEDaSS_ST_EUlSS_E_NS1_11comp_targetILNS1_3genE10ELNS1_11target_archE1201ELNS1_3gpuE5ELNS1_3repE0EEENS1_30default_config_static_selectorELNS0_4arch9wavefront6targetE1EEEvT1_
	.p2align	8
	.type	_ZN7rocprim17ROCPRIM_400000_NS6detail17trampoline_kernelINS0_14default_configENS1_20scan_config_selectorIjEEZZNS1_9scan_implILNS1_25lookback_scan_determinismE0ELb1ELb1ES3_N6thrust23THRUST_200600_302600_NS6detail15normal_iteratorINS9_10device_ptrIjEEEENS9_16discard_iteratorINS9_11use_defaultEEEj11max_functorIjEjEEDaPvRmT3_T4_T5_mT6_P12ihipStream_tbENKUlT_T0_E_clISt17integral_constantIbLb1EESW_IbLb0EEEEDaSS_ST_EUlSS_E_NS1_11comp_targetILNS1_3genE10ELNS1_11target_archE1201ELNS1_3gpuE5ELNS1_3repE0EEENS1_30default_config_static_selectorELNS0_4arch9wavefront6targetE1EEEvT1_,@function
_ZN7rocprim17ROCPRIM_400000_NS6detail17trampoline_kernelINS0_14default_configENS1_20scan_config_selectorIjEEZZNS1_9scan_implILNS1_25lookback_scan_determinismE0ELb1ELb1ES3_N6thrust23THRUST_200600_302600_NS6detail15normal_iteratorINS9_10device_ptrIjEEEENS9_16discard_iteratorINS9_11use_defaultEEEj11max_functorIjEjEEDaPvRmT3_T4_T5_mT6_P12ihipStream_tbENKUlT_T0_E_clISt17integral_constantIbLb1EESW_IbLb0EEEEDaSS_ST_EUlSS_E_NS1_11comp_targetILNS1_3genE10ELNS1_11target_archE1201ELNS1_3gpuE5ELNS1_3repE0EEENS1_30default_config_static_selectorELNS0_4arch9wavefront6targetE1EEEvT1_: ; @_ZN7rocprim17ROCPRIM_400000_NS6detail17trampoline_kernelINS0_14default_configENS1_20scan_config_selectorIjEEZZNS1_9scan_implILNS1_25lookback_scan_determinismE0ELb1ELb1ES3_N6thrust23THRUST_200600_302600_NS6detail15normal_iteratorINS9_10device_ptrIjEEEENS9_16discard_iteratorINS9_11use_defaultEEEj11max_functorIjEjEEDaPvRmT3_T4_T5_mT6_P12ihipStream_tbENKUlT_T0_E_clISt17integral_constantIbLb1EESW_IbLb0EEEEDaSS_ST_EUlSS_E_NS1_11comp_targetILNS1_3genE10ELNS1_11target_archE1201ELNS1_3gpuE5ELNS1_3repE0EEENS1_30default_config_static_selectorELNS0_4arch9wavefront6targetE1EEEvT1_
; %bb.0:
	.section	.rodata,"a",@progbits
	.p2align	6, 0x0
	.amdhsa_kernel _ZN7rocprim17ROCPRIM_400000_NS6detail17trampoline_kernelINS0_14default_configENS1_20scan_config_selectorIjEEZZNS1_9scan_implILNS1_25lookback_scan_determinismE0ELb1ELb1ES3_N6thrust23THRUST_200600_302600_NS6detail15normal_iteratorINS9_10device_ptrIjEEEENS9_16discard_iteratorINS9_11use_defaultEEEj11max_functorIjEjEEDaPvRmT3_T4_T5_mT6_P12ihipStream_tbENKUlT_T0_E_clISt17integral_constantIbLb1EESW_IbLb0EEEEDaSS_ST_EUlSS_E_NS1_11comp_targetILNS1_3genE10ELNS1_11target_archE1201ELNS1_3gpuE5ELNS1_3repE0EEENS1_30default_config_static_selectorELNS0_4arch9wavefront6targetE1EEEvT1_
		.amdhsa_group_segment_fixed_size 0
		.amdhsa_private_segment_fixed_size 0
		.amdhsa_kernarg_size 104
		.amdhsa_user_sgpr_count 6
		.amdhsa_user_sgpr_private_segment_buffer 1
		.amdhsa_user_sgpr_dispatch_ptr 0
		.amdhsa_user_sgpr_queue_ptr 0
		.amdhsa_user_sgpr_kernarg_segment_ptr 1
		.amdhsa_user_sgpr_dispatch_id 0
		.amdhsa_user_sgpr_flat_scratch_init 0
		.amdhsa_user_sgpr_kernarg_preload_length 0
		.amdhsa_user_sgpr_kernarg_preload_offset 0
		.amdhsa_user_sgpr_private_segment_size 0
		.amdhsa_uses_dynamic_stack 0
		.amdhsa_system_sgpr_private_segment_wavefront_offset 0
		.amdhsa_system_sgpr_workgroup_id_x 1
		.amdhsa_system_sgpr_workgroup_id_y 0
		.amdhsa_system_sgpr_workgroup_id_z 0
		.amdhsa_system_sgpr_workgroup_info 0
		.amdhsa_system_vgpr_workitem_id 0
		.amdhsa_next_free_vgpr 1
		.amdhsa_next_free_sgpr 0
		.amdhsa_accum_offset 4
		.amdhsa_reserve_vcc 0
		.amdhsa_reserve_flat_scratch 0
		.amdhsa_float_round_mode_32 0
		.amdhsa_float_round_mode_16_64 0
		.amdhsa_float_denorm_mode_32 3
		.amdhsa_float_denorm_mode_16_64 3
		.amdhsa_dx10_clamp 1
		.amdhsa_ieee_mode 1
		.amdhsa_fp16_overflow 0
		.amdhsa_tg_split 0
		.amdhsa_exception_fp_ieee_invalid_op 0
		.amdhsa_exception_fp_denorm_src 0
		.amdhsa_exception_fp_ieee_div_zero 0
		.amdhsa_exception_fp_ieee_overflow 0
		.amdhsa_exception_fp_ieee_underflow 0
		.amdhsa_exception_fp_ieee_inexact 0
		.amdhsa_exception_int_div_zero 0
	.end_amdhsa_kernel
	.section	.text._ZN7rocprim17ROCPRIM_400000_NS6detail17trampoline_kernelINS0_14default_configENS1_20scan_config_selectorIjEEZZNS1_9scan_implILNS1_25lookback_scan_determinismE0ELb1ELb1ES3_N6thrust23THRUST_200600_302600_NS6detail15normal_iteratorINS9_10device_ptrIjEEEENS9_16discard_iteratorINS9_11use_defaultEEEj11max_functorIjEjEEDaPvRmT3_T4_T5_mT6_P12ihipStream_tbENKUlT_T0_E_clISt17integral_constantIbLb1EESW_IbLb0EEEEDaSS_ST_EUlSS_E_NS1_11comp_targetILNS1_3genE10ELNS1_11target_archE1201ELNS1_3gpuE5ELNS1_3repE0EEENS1_30default_config_static_selectorELNS0_4arch9wavefront6targetE1EEEvT1_,"axG",@progbits,_ZN7rocprim17ROCPRIM_400000_NS6detail17trampoline_kernelINS0_14default_configENS1_20scan_config_selectorIjEEZZNS1_9scan_implILNS1_25lookback_scan_determinismE0ELb1ELb1ES3_N6thrust23THRUST_200600_302600_NS6detail15normal_iteratorINS9_10device_ptrIjEEEENS9_16discard_iteratorINS9_11use_defaultEEEj11max_functorIjEjEEDaPvRmT3_T4_T5_mT6_P12ihipStream_tbENKUlT_T0_E_clISt17integral_constantIbLb1EESW_IbLb0EEEEDaSS_ST_EUlSS_E_NS1_11comp_targetILNS1_3genE10ELNS1_11target_archE1201ELNS1_3gpuE5ELNS1_3repE0EEENS1_30default_config_static_selectorELNS0_4arch9wavefront6targetE1EEEvT1_,comdat
.Lfunc_end3535:
	.size	_ZN7rocprim17ROCPRIM_400000_NS6detail17trampoline_kernelINS0_14default_configENS1_20scan_config_selectorIjEEZZNS1_9scan_implILNS1_25lookback_scan_determinismE0ELb1ELb1ES3_N6thrust23THRUST_200600_302600_NS6detail15normal_iteratorINS9_10device_ptrIjEEEENS9_16discard_iteratorINS9_11use_defaultEEEj11max_functorIjEjEEDaPvRmT3_T4_T5_mT6_P12ihipStream_tbENKUlT_T0_E_clISt17integral_constantIbLb1EESW_IbLb0EEEEDaSS_ST_EUlSS_E_NS1_11comp_targetILNS1_3genE10ELNS1_11target_archE1201ELNS1_3gpuE5ELNS1_3repE0EEENS1_30default_config_static_selectorELNS0_4arch9wavefront6targetE1EEEvT1_, .Lfunc_end3535-_ZN7rocprim17ROCPRIM_400000_NS6detail17trampoline_kernelINS0_14default_configENS1_20scan_config_selectorIjEEZZNS1_9scan_implILNS1_25lookback_scan_determinismE0ELb1ELb1ES3_N6thrust23THRUST_200600_302600_NS6detail15normal_iteratorINS9_10device_ptrIjEEEENS9_16discard_iteratorINS9_11use_defaultEEEj11max_functorIjEjEEDaPvRmT3_T4_T5_mT6_P12ihipStream_tbENKUlT_T0_E_clISt17integral_constantIbLb1EESW_IbLb0EEEEDaSS_ST_EUlSS_E_NS1_11comp_targetILNS1_3genE10ELNS1_11target_archE1201ELNS1_3gpuE5ELNS1_3repE0EEENS1_30default_config_static_selectorELNS0_4arch9wavefront6targetE1EEEvT1_
                                        ; -- End function
	.section	.AMDGPU.csdata,"",@progbits
; Kernel info:
; codeLenInByte = 0
; NumSgprs: 4
; NumVgprs: 0
; NumAgprs: 0
; TotalNumVgprs: 0
; ScratchSize: 0
; MemoryBound: 0
; FloatMode: 240
; IeeeMode: 1
; LDSByteSize: 0 bytes/workgroup (compile time only)
; SGPRBlocks: 0
; VGPRBlocks: 0
; NumSGPRsForWavesPerEU: 4
; NumVGPRsForWavesPerEU: 1
; AccumOffset: 4
; Occupancy: 8
; WaveLimiterHint : 0
; COMPUTE_PGM_RSRC2:SCRATCH_EN: 0
; COMPUTE_PGM_RSRC2:USER_SGPR: 6
; COMPUTE_PGM_RSRC2:TRAP_HANDLER: 0
; COMPUTE_PGM_RSRC2:TGID_X_EN: 1
; COMPUTE_PGM_RSRC2:TGID_Y_EN: 0
; COMPUTE_PGM_RSRC2:TGID_Z_EN: 0
; COMPUTE_PGM_RSRC2:TIDIG_COMP_CNT: 0
; COMPUTE_PGM_RSRC3_GFX90A:ACCUM_OFFSET: 0
; COMPUTE_PGM_RSRC3_GFX90A:TG_SPLIT: 0
	.section	.text._ZN7rocprim17ROCPRIM_400000_NS6detail17trampoline_kernelINS0_14default_configENS1_20scan_config_selectorIjEEZZNS1_9scan_implILNS1_25lookback_scan_determinismE0ELb1ELb1ES3_N6thrust23THRUST_200600_302600_NS6detail15normal_iteratorINS9_10device_ptrIjEEEENS9_16discard_iteratorINS9_11use_defaultEEEj11max_functorIjEjEEDaPvRmT3_T4_T5_mT6_P12ihipStream_tbENKUlT_T0_E_clISt17integral_constantIbLb1EESW_IbLb0EEEEDaSS_ST_EUlSS_E_NS1_11comp_targetILNS1_3genE10ELNS1_11target_archE1200ELNS1_3gpuE4ELNS1_3repE0EEENS1_30default_config_static_selectorELNS0_4arch9wavefront6targetE1EEEvT1_,"axG",@progbits,_ZN7rocprim17ROCPRIM_400000_NS6detail17trampoline_kernelINS0_14default_configENS1_20scan_config_selectorIjEEZZNS1_9scan_implILNS1_25lookback_scan_determinismE0ELb1ELb1ES3_N6thrust23THRUST_200600_302600_NS6detail15normal_iteratorINS9_10device_ptrIjEEEENS9_16discard_iteratorINS9_11use_defaultEEEj11max_functorIjEjEEDaPvRmT3_T4_T5_mT6_P12ihipStream_tbENKUlT_T0_E_clISt17integral_constantIbLb1EESW_IbLb0EEEEDaSS_ST_EUlSS_E_NS1_11comp_targetILNS1_3genE10ELNS1_11target_archE1200ELNS1_3gpuE4ELNS1_3repE0EEENS1_30default_config_static_selectorELNS0_4arch9wavefront6targetE1EEEvT1_,comdat
	.protected	_ZN7rocprim17ROCPRIM_400000_NS6detail17trampoline_kernelINS0_14default_configENS1_20scan_config_selectorIjEEZZNS1_9scan_implILNS1_25lookback_scan_determinismE0ELb1ELb1ES3_N6thrust23THRUST_200600_302600_NS6detail15normal_iteratorINS9_10device_ptrIjEEEENS9_16discard_iteratorINS9_11use_defaultEEEj11max_functorIjEjEEDaPvRmT3_T4_T5_mT6_P12ihipStream_tbENKUlT_T0_E_clISt17integral_constantIbLb1EESW_IbLb0EEEEDaSS_ST_EUlSS_E_NS1_11comp_targetILNS1_3genE10ELNS1_11target_archE1200ELNS1_3gpuE4ELNS1_3repE0EEENS1_30default_config_static_selectorELNS0_4arch9wavefront6targetE1EEEvT1_ ; -- Begin function _ZN7rocprim17ROCPRIM_400000_NS6detail17trampoline_kernelINS0_14default_configENS1_20scan_config_selectorIjEEZZNS1_9scan_implILNS1_25lookback_scan_determinismE0ELb1ELb1ES3_N6thrust23THRUST_200600_302600_NS6detail15normal_iteratorINS9_10device_ptrIjEEEENS9_16discard_iteratorINS9_11use_defaultEEEj11max_functorIjEjEEDaPvRmT3_T4_T5_mT6_P12ihipStream_tbENKUlT_T0_E_clISt17integral_constantIbLb1EESW_IbLb0EEEEDaSS_ST_EUlSS_E_NS1_11comp_targetILNS1_3genE10ELNS1_11target_archE1200ELNS1_3gpuE4ELNS1_3repE0EEENS1_30default_config_static_selectorELNS0_4arch9wavefront6targetE1EEEvT1_
	.globl	_ZN7rocprim17ROCPRIM_400000_NS6detail17trampoline_kernelINS0_14default_configENS1_20scan_config_selectorIjEEZZNS1_9scan_implILNS1_25lookback_scan_determinismE0ELb1ELb1ES3_N6thrust23THRUST_200600_302600_NS6detail15normal_iteratorINS9_10device_ptrIjEEEENS9_16discard_iteratorINS9_11use_defaultEEEj11max_functorIjEjEEDaPvRmT3_T4_T5_mT6_P12ihipStream_tbENKUlT_T0_E_clISt17integral_constantIbLb1EESW_IbLb0EEEEDaSS_ST_EUlSS_E_NS1_11comp_targetILNS1_3genE10ELNS1_11target_archE1200ELNS1_3gpuE4ELNS1_3repE0EEENS1_30default_config_static_selectorELNS0_4arch9wavefront6targetE1EEEvT1_
	.p2align	8
	.type	_ZN7rocprim17ROCPRIM_400000_NS6detail17trampoline_kernelINS0_14default_configENS1_20scan_config_selectorIjEEZZNS1_9scan_implILNS1_25lookback_scan_determinismE0ELb1ELb1ES3_N6thrust23THRUST_200600_302600_NS6detail15normal_iteratorINS9_10device_ptrIjEEEENS9_16discard_iteratorINS9_11use_defaultEEEj11max_functorIjEjEEDaPvRmT3_T4_T5_mT6_P12ihipStream_tbENKUlT_T0_E_clISt17integral_constantIbLb1EESW_IbLb0EEEEDaSS_ST_EUlSS_E_NS1_11comp_targetILNS1_3genE10ELNS1_11target_archE1200ELNS1_3gpuE4ELNS1_3repE0EEENS1_30default_config_static_selectorELNS0_4arch9wavefront6targetE1EEEvT1_,@function
_ZN7rocprim17ROCPRIM_400000_NS6detail17trampoline_kernelINS0_14default_configENS1_20scan_config_selectorIjEEZZNS1_9scan_implILNS1_25lookback_scan_determinismE0ELb1ELb1ES3_N6thrust23THRUST_200600_302600_NS6detail15normal_iteratorINS9_10device_ptrIjEEEENS9_16discard_iteratorINS9_11use_defaultEEEj11max_functorIjEjEEDaPvRmT3_T4_T5_mT6_P12ihipStream_tbENKUlT_T0_E_clISt17integral_constantIbLb1EESW_IbLb0EEEEDaSS_ST_EUlSS_E_NS1_11comp_targetILNS1_3genE10ELNS1_11target_archE1200ELNS1_3gpuE4ELNS1_3repE0EEENS1_30default_config_static_selectorELNS0_4arch9wavefront6targetE1EEEvT1_: ; @_ZN7rocprim17ROCPRIM_400000_NS6detail17trampoline_kernelINS0_14default_configENS1_20scan_config_selectorIjEEZZNS1_9scan_implILNS1_25lookback_scan_determinismE0ELb1ELb1ES3_N6thrust23THRUST_200600_302600_NS6detail15normal_iteratorINS9_10device_ptrIjEEEENS9_16discard_iteratorINS9_11use_defaultEEEj11max_functorIjEjEEDaPvRmT3_T4_T5_mT6_P12ihipStream_tbENKUlT_T0_E_clISt17integral_constantIbLb1EESW_IbLb0EEEEDaSS_ST_EUlSS_E_NS1_11comp_targetILNS1_3genE10ELNS1_11target_archE1200ELNS1_3gpuE4ELNS1_3repE0EEENS1_30default_config_static_selectorELNS0_4arch9wavefront6targetE1EEEvT1_
; %bb.0:
	.section	.rodata,"a",@progbits
	.p2align	6, 0x0
	.amdhsa_kernel _ZN7rocprim17ROCPRIM_400000_NS6detail17trampoline_kernelINS0_14default_configENS1_20scan_config_selectorIjEEZZNS1_9scan_implILNS1_25lookback_scan_determinismE0ELb1ELb1ES3_N6thrust23THRUST_200600_302600_NS6detail15normal_iteratorINS9_10device_ptrIjEEEENS9_16discard_iteratorINS9_11use_defaultEEEj11max_functorIjEjEEDaPvRmT3_T4_T5_mT6_P12ihipStream_tbENKUlT_T0_E_clISt17integral_constantIbLb1EESW_IbLb0EEEEDaSS_ST_EUlSS_E_NS1_11comp_targetILNS1_3genE10ELNS1_11target_archE1200ELNS1_3gpuE4ELNS1_3repE0EEENS1_30default_config_static_selectorELNS0_4arch9wavefront6targetE1EEEvT1_
		.amdhsa_group_segment_fixed_size 0
		.amdhsa_private_segment_fixed_size 0
		.amdhsa_kernarg_size 104
		.amdhsa_user_sgpr_count 6
		.amdhsa_user_sgpr_private_segment_buffer 1
		.amdhsa_user_sgpr_dispatch_ptr 0
		.amdhsa_user_sgpr_queue_ptr 0
		.amdhsa_user_sgpr_kernarg_segment_ptr 1
		.amdhsa_user_sgpr_dispatch_id 0
		.amdhsa_user_sgpr_flat_scratch_init 0
		.amdhsa_user_sgpr_kernarg_preload_length 0
		.amdhsa_user_sgpr_kernarg_preload_offset 0
		.amdhsa_user_sgpr_private_segment_size 0
		.amdhsa_uses_dynamic_stack 0
		.amdhsa_system_sgpr_private_segment_wavefront_offset 0
		.amdhsa_system_sgpr_workgroup_id_x 1
		.amdhsa_system_sgpr_workgroup_id_y 0
		.amdhsa_system_sgpr_workgroup_id_z 0
		.amdhsa_system_sgpr_workgroup_info 0
		.amdhsa_system_vgpr_workitem_id 0
		.amdhsa_next_free_vgpr 1
		.amdhsa_next_free_sgpr 0
		.amdhsa_accum_offset 4
		.amdhsa_reserve_vcc 0
		.amdhsa_reserve_flat_scratch 0
		.amdhsa_float_round_mode_32 0
		.amdhsa_float_round_mode_16_64 0
		.amdhsa_float_denorm_mode_32 3
		.amdhsa_float_denorm_mode_16_64 3
		.amdhsa_dx10_clamp 1
		.amdhsa_ieee_mode 1
		.amdhsa_fp16_overflow 0
		.amdhsa_tg_split 0
		.amdhsa_exception_fp_ieee_invalid_op 0
		.amdhsa_exception_fp_denorm_src 0
		.amdhsa_exception_fp_ieee_div_zero 0
		.amdhsa_exception_fp_ieee_overflow 0
		.amdhsa_exception_fp_ieee_underflow 0
		.amdhsa_exception_fp_ieee_inexact 0
		.amdhsa_exception_int_div_zero 0
	.end_amdhsa_kernel
	.section	.text._ZN7rocprim17ROCPRIM_400000_NS6detail17trampoline_kernelINS0_14default_configENS1_20scan_config_selectorIjEEZZNS1_9scan_implILNS1_25lookback_scan_determinismE0ELb1ELb1ES3_N6thrust23THRUST_200600_302600_NS6detail15normal_iteratorINS9_10device_ptrIjEEEENS9_16discard_iteratorINS9_11use_defaultEEEj11max_functorIjEjEEDaPvRmT3_T4_T5_mT6_P12ihipStream_tbENKUlT_T0_E_clISt17integral_constantIbLb1EESW_IbLb0EEEEDaSS_ST_EUlSS_E_NS1_11comp_targetILNS1_3genE10ELNS1_11target_archE1200ELNS1_3gpuE4ELNS1_3repE0EEENS1_30default_config_static_selectorELNS0_4arch9wavefront6targetE1EEEvT1_,"axG",@progbits,_ZN7rocprim17ROCPRIM_400000_NS6detail17trampoline_kernelINS0_14default_configENS1_20scan_config_selectorIjEEZZNS1_9scan_implILNS1_25lookback_scan_determinismE0ELb1ELb1ES3_N6thrust23THRUST_200600_302600_NS6detail15normal_iteratorINS9_10device_ptrIjEEEENS9_16discard_iteratorINS9_11use_defaultEEEj11max_functorIjEjEEDaPvRmT3_T4_T5_mT6_P12ihipStream_tbENKUlT_T0_E_clISt17integral_constantIbLb1EESW_IbLb0EEEEDaSS_ST_EUlSS_E_NS1_11comp_targetILNS1_3genE10ELNS1_11target_archE1200ELNS1_3gpuE4ELNS1_3repE0EEENS1_30default_config_static_selectorELNS0_4arch9wavefront6targetE1EEEvT1_,comdat
.Lfunc_end3536:
	.size	_ZN7rocprim17ROCPRIM_400000_NS6detail17trampoline_kernelINS0_14default_configENS1_20scan_config_selectorIjEEZZNS1_9scan_implILNS1_25lookback_scan_determinismE0ELb1ELb1ES3_N6thrust23THRUST_200600_302600_NS6detail15normal_iteratorINS9_10device_ptrIjEEEENS9_16discard_iteratorINS9_11use_defaultEEEj11max_functorIjEjEEDaPvRmT3_T4_T5_mT6_P12ihipStream_tbENKUlT_T0_E_clISt17integral_constantIbLb1EESW_IbLb0EEEEDaSS_ST_EUlSS_E_NS1_11comp_targetILNS1_3genE10ELNS1_11target_archE1200ELNS1_3gpuE4ELNS1_3repE0EEENS1_30default_config_static_selectorELNS0_4arch9wavefront6targetE1EEEvT1_, .Lfunc_end3536-_ZN7rocprim17ROCPRIM_400000_NS6detail17trampoline_kernelINS0_14default_configENS1_20scan_config_selectorIjEEZZNS1_9scan_implILNS1_25lookback_scan_determinismE0ELb1ELb1ES3_N6thrust23THRUST_200600_302600_NS6detail15normal_iteratorINS9_10device_ptrIjEEEENS9_16discard_iteratorINS9_11use_defaultEEEj11max_functorIjEjEEDaPvRmT3_T4_T5_mT6_P12ihipStream_tbENKUlT_T0_E_clISt17integral_constantIbLb1EESW_IbLb0EEEEDaSS_ST_EUlSS_E_NS1_11comp_targetILNS1_3genE10ELNS1_11target_archE1200ELNS1_3gpuE4ELNS1_3repE0EEENS1_30default_config_static_selectorELNS0_4arch9wavefront6targetE1EEEvT1_
                                        ; -- End function
	.section	.AMDGPU.csdata,"",@progbits
; Kernel info:
; codeLenInByte = 0
; NumSgprs: 4
; NumVgprs: 0
; NumAgprs: 0
; TotalNumVgprs: 0
; ScratchSize: 0
; MemoryBound: 0
; FloatMode: 240
; IeeeMode: 1
; LDSByteSize: 0 bytes/workgroup (compile time only)
; SGPRBlocks: 0
; VGPRBlocks: 0
; NumSGPRsForWavesPerEU: 4
; NumVGPRsForWavesPerEU: 1
; AccumOffset: 4
; Occupancy: 8
; WaveLimiterHint : 0
; COMPUTE_PGM_RSRC2:SCRATCH_EN: 0
; COMPUTE_PGM_RSRC2:USER_SGPR: 6
; COMPUTE_PGM_RSRC2:TRAP_HANDLER: 0
; COMPUTE_PGM_RSRC2:TGID_X_EN: 1
; COMPUTE_PGM_RSRC2:TGID_Y_EN: 0
; COMPUTE_PGM_RSRC2:TGID_Z_EN: 0
; COMPUTE_PGM_RSRC2:TIDIG_COMP_CNT: 0
; COMPUTE_PGM_RSRC3_GFX90A:ACCUM_OFFSET: 0
; COMPUTE_PGM_RSRC3_GFX90A:TG_SPLIT: 0
	.section	.text._ZN7rocprim17ROCPRIM_400000_NS6detail17trampoline_kernelINS0_14default_configENS1_20scan_config_selectorIjEEZZNS1_9scan_implILNS1_25lookback_scan_determinismE0ELb1ELb1ES3_N6thrust23THRUST_200600_302600_NS6detail15normal_iteratorINS9_10device_ptrIjEEEENS9_16discard_iteratorINS9_11use_defaultEEEj11max_functorIjEjEEDaPvRmT3_T4_T5_mT6_P12ihipStream_tbENKUlT_T0_E_clISt17integral_constantIbLb1EESW_IbLb0EEEEDaSS_ST_EUlSS_E_NS1_11comp_targetILNS1_3genE9ELNS1_11target_archE1100ELNS1_3gpuE3ELNS1_3repE0EEENS1_30default_config_static_selectorELNS0_4arch9wavefront6targetE1EEEvT1_,"axG",@progbits,_ZN7rocprim17ROCPRIM_400000_NS6detail17trampoline_kernelINS0_14default_configENS1_20scan_config_selectorIjEEZZNS1_9scan_implILNS1_25lookback_scan_determinismE0ELb1ELb1ES3_N6thrust23THRUST_200600_302600_NS6detail15normal_iteratorINS9_10device_ptrIjEEEENS9_16discard_iteratorINS9_11use_defaultEEEj11max_functorIjEjEEDaPvRmT3_T4_T5_mT6_P12ihipStream_tbENKUlT_T0_E_clISt17integral_constantIbLb1EESW_IbLb0EEEEDaSS_ST_EUlSS_E_NS1_11comp_targetILNS1_3genE9ELNS1_11target_archE1100ELNS1_3gpuE3ELNS1_3repE0EEENS1_30default_config_static_selectorELNS0_4arch9wavefront6targetE1EEEvT1_,comdat
	.protected	_ZN7rocprim17ROCPRIM_400000_NS6detail17trampoline_kernelINS0_14default_configENS1_20scan_config_selectorIjEEZZNS1_9scan_implILNS1_25lookback_scan_determinismE0ELb1ELb1ES3_N6thrust23THRUST_200600_302600_NS6detail15normal_iteratorINS9_10device_ptrIjEEEENS9_16discard_iteratorINS9_11use_defaultEEEj11max_functorIjEjEEDaPvRmT3_T4_T5_mT6_P12ihipStream_tbENKUlT_T0_E_clISt17integral_constantIbLb1EESW_IbLb0EEEEDaSS_ST_EUlSS_E_NS1_11comp_targetILNS1_3genE9ELNS1_11target_archE1100ELNS1_3gpuE3ELNS1_3repE0EEENS1_30default_config_static_selectorELNS0_4arch9wavefront6targetE1EEEvT1_ ; -- Begin function _ZN7rocprim17ROCPRIM_400000_NS6detail17trampoline_kernelINS0_14default_configENS1_20scan_config_selectorIjEEZZNS1_9scan_implILNS1_25lookback_scan_determinismE0ELb1ELb1ES3_N6thrust23THRUST_200600_302600_NS6detail15normal_iteratorINS9_10device_ptrIjEEEENS9_16discard_iteratorINS9_11use_defaultEEEj11max_functorIjEjEEDaPvRmT3_T4_T5_mT6_P12ihipStream_tbENKUlT_T0_E_clISt17integral_constantIbLb1EESW_IbLb0EEEEDaSS_ST_EUlSS_E_NS1_11comp_targetILNS1_3genE9ELNS1_11target_archE1100ELNS1_3gpuE3ELNS1_3repE0EEENS1_30default_config_static_selectorELNS0_4arch9wavefront6targetE1EEEvT1_
	.globl	_ZN7rocprim17ROCPRIM_400000_NS6detail17trampoline_kernelINS0_14default_configENS1_20scan_config_selectorIjEEZZNS1_9scan_implILNS1_25lookback_scan_determinismE0ELb1ELb1ES3_N6thrust23THRUST_200600_302600_NS6detail15normal_iteratorINS9_10device_ptrIjEEEENS9_16discard_iteratorINS9_11use_defaultEEEj11max_functorIjEjEEDaPvRmT3_T4_T5_mT6_P12ihipStream_tbENKUlT_T0_E_clISt17integral_constantIbLb1EESW_IbLb0EEEEDaSS_ST_EUlSS_E_NS1_11comp_targetILNS1_3genE9ELNS1_11target_archE1100ELNS1_3gpuE3ELNS1_3repE0EEENS1_30default_config_static_selectorELNS0_4arch9wavefront6targetE1EEEvT1_
	.p2align	8
	.type	_ZN7rocprim17ROCPRIM_400000_NS6detail17trampoline_kernelINS0_14default_configENS1_20scan_config_selectorIjEEZZNS1_9scan_implILNS1_25lookback_scan_determinismE0ELb1ELb1ES3_N6thrust23THRUST_200600_302600_NS6detail15normal_iteratorINS9_10device_ptrIjEEEENS9_16discard_iteratorINS9_11use_defaultEEEj11max_functorIjEjEEDaPvRmT3_T4_T5_mT6_P12ihipStream_tbENKUlT_T0_E_clISt17integral_constantIbLb1EESW_IbLb0EEEEDaSS_ST_EUlSS_E_NS1_11comp_targetILNS1_3genE9ELNS1_11target_archE1100ELNS1_3gpuE3ELNS1_3repE0EEENS1_30default_config_static_selectorELNS0_4arch9wavefront6targetE1EEEvT1_,@function
_ZN7rocprim17ROCPRIM_400000_NS6detail17trampoline_kernelINS0_14default_configENS1_20scan_config_selectorIjEEZZNS1_9scan_implILNS1_25lookback_scan_determinismE0ELb1ELb1ES3_N6thrust23THRUST_200600_302600_NS6detail15normal_iteratorINS9_10device_ptrIjEEEENS9_16discard_iteratorINS9_11use_defaultEEEj11max_functorIjEjEEDaPvRmT3_T4_T5_mT6_P12ihipStream_tbENKUlT_T0_E_clISt17integral_constantIbLb1EESW_IbLb0EEEEDaSS_ST_EUlSS_E_NS1_11comp_targetILNS1_3genE9ELNS1_11target_archE1100ELNS1_3gpuE3ELNS1_3repE0EEENS1_30default_config_static_selectorELNS0_4arch9wavefront6targetE1EEEvT1_: ; @_ZN7rocprim17ROCPRIM_400000_NS6detail17trampoline_kernelINS0_14default_configENS1_20scan_config_selectorIjEEZZNS1_9scan_implILNS1_25lookback_scan_determinismE0ELb1ELb1ES3_N6thrust23THRUST_200600_302600_NS6detail15normal_iteratorINS9_10device_ptrIjEEEENS9_16discard_iteratorINS9_11use_defaultEEEj11max_functorIjEjEEDaPvRmT3_T4_T5_mT6_P12ihipStream_tbENKUlT_T0_E_clISt17integral_constantIbLb1EESW_IbLb0EEEEDaSS_ST_EUlSS_E_NS1_11comp_targetILNS1_3genE9ELNS1_11target_archE1100ELNS1_3gpuE3ELNS1_3repE0EEENS1_30default_config_static_selectorELNS0_4arch9wavefront6targetE1EEEvT1_
; %bb.0:
	.section	.rodata,"a",@progbits
	.p2align	6, 0x0
	.amdhsa_kernel _ZN7rocprim17ROCPRIM_400000_NS6detail17trampoline_kernelINS0_14default_configENS1_20scan_config_selectorIjEEZZNS1_9scan_implILNS1_25lookback_scan_determinismE0ELb1ELb1ES3_N6thrust23THRUST_200600_302600_NS6detail15normal_iteratorINS9_10device_ptrIjEEEENS9_16discard_iteratorINS9_11use_defaultEEEj11max_functorIjEjEEDaPvRmT3_T4_T5_mT6_P12ihipStream_tbENKUlT_T0_E_clISt17integral_constantIbLb1EESW_IbLb0EEEEDaSS_ST_EUlSS_E_NS1_11comp_targetILNS1_3genE9ELNS1_11target_archE1100ELNS1_3gpuE3ELNS1_3repE0EEENS1_30default_config_static_selectorELNS0_4arch9wavefront6targetE1EEEvT1_
		.amdhsa_group_segment_fixed_size 0
		.amdhsa_private_segment_fixed_size 0
		.amdhsa_kernarg_size 104
		.amdhsa_user_sgpr_count 6
		.amdhsa_user_sgpr_private_segment_buffer 1
		.amdhsa_user_sgpr_dispatch_ptr 0
		.amdhsa_user_sgpr_queue_ptr 0
		.amdhsa_user_sgpr_kernarg_segment_ptr 1
		.amdhsa_user_sgpr_dispatch_id 0
		.amdhsa_user_sgpr_flat_scratch_init 0
		.amdhsa_user_sgpr_kernarg_preload_length 0
		.amdhsa_user_sgpr_kernarg_preload_offset 0
		.amdhsa_user_sgpr_private_segment_size 0
		.amdhsa_uses_dynamic_stack 0
		.amdhsa_system_sgpr_private_segment_wavefront_offset 0
		.amdhsa_system_sgpr_workgroup_id_x 1
		.amdhsa_system_sgpr_workgroup_id_y 0
		.amdhsa_system_sgpr_workgroup_id_z 0
		.amdhsa_system_sgpr_workgroup_info 0
		.amdhsa_system_vgpr_workitem_id 0
		.amdhsa_next_free_vgpr 1
		.amdhsa_next_free_sgpr 0
		.amdhsa_accum_offset 4
		.amdhsa_reserve_vcc 0
		.amdhsa_reserve_flat_scratch 0
		.amdhsa_float_round_mode_32 0
		.amdhsa_float_round_mode_16_64 0
		.amdhsa_float_denorm_mode_32 3
		.amdhsa_float_denorm_mode_16_64 3
		.amdhsa_dx10_clamp 1
		.amdhsa_ieee_mode 1
		.amdhsa_fp16_overflow 0
		.amdhsa_tg_split 0
		.amdhsa_exception_fp_ieee_invalid_op 0
		.amdhsa_exception_fp_denorm_src 0
		.amdhsa_exception_fp_ieee_div_zero 0
		.amdhsa_exception_fp_ieee_overflow 0
		.amdhsa_exception_fp_ieee_underflow 0
		.amdhsa_exception_fp_ieee_inexact 0
		.amdhsa_exception_int_div_zero 0
	.end_amdhsa_kernel
	.section	.text._ZN7rocprim17ROCPRIM_400000_NS6detail17trampoline_kernelINS0_14default_configENS1_20scan_config_selectorIjEEZZNS1_9scan_implILNS1_25lookback_scan_determinismE0ELb1ELb1ES3_N6thrust23THRUST_200600_302600_NS6detail15normal_iteratorINS9_10device_ptrIjEEEENS9_16discard_iteratorINS9_11use_defaultEEEj11max_functorIjEjEEDaPvRmT3_T4_T5_mT6_P12ihipStream_tbENKUlT_T0_E_clISt17integral_constantIbLb1EESW_IbLb0EEEEDaSS_ST_EUlSS_E_NS1_11comp_targetILNS1_3genE9ELNS1_11target_archE1100ELNS1_3gpuE3ELNS1_3repE0EEENS1_30default_config_static_selectorELNS0_4arch9wavefront6targetE1EEEvT1_,"axG",@progbits,_ZN7rocprim17ROCPRIM_400000_NS6detail17trampoline_kernelINS0_14default_configENS1_20scan_config_selectorIjEEZZNS1_9scan_implILNS1_25lookback_scan_determinismE0ELb1ELb1ES3_N6thrust23THRUST_200600_302600_NS6detail15normal_iteratorINS9_10device_ptrIjEEEENS9_16discard_iteratorINS9_11use_defaultEEEj11max_functorIjEjEEDaPvRmT3_T4_T5_mT6_P12ihipStream_tbENKUlT_T0_E_clISt17integral_constantIbLb1EESW_IbLb0EEEEDaSS_ST_EUlSS_E_NS1_11comp_targetILNS1_3genE9ELNS1_11target_archE1100ELNS1_3gpuE3ELNS1_3repE0EEENS1_30default_config_static_selectorELNS0_4arch9wavefront6targetE1EEEvT1_,comdat
.Lfunc_end3537:
	.size	_ZN7rocprim17ROCPRIM_400000_NS6detail17trampoline_kernelINS0_14default_configENS1_20scan_config_selectorIjEEZZNS1_9scan_implILNS1_25lookback_scan_determinismE0ELb1ELb1ES3_N6thrust23THRUST_200600_302600_NS6detail15normal_iteratorINS9_10device_ptrIjEEEENS9_16discard_iteratorINS9_11use_defaultEEEj11max_functorIjEjEEDaPvRmT3_T4_T5_mT6_P12ihipStream_tbENKUlT_T0_E_clISt17integral_constantIbLb1EESW_IbLb0EEEEDaSS_ST_EUlSS_E_NS1_11comp_targetILNS1_3genE9ELNS1_11target_archE1100ELNS1_3gpuE3ELNS1_3repE0EEENS1_30default_config_static_selectorELNS0_4arch9wavefront6targetE1EEEvT1_, .Lfunc_end3537-_ZN7rocprim17ROCPRIM_400000_NS6detail17trampoline_kernelINS0_14default_configENS1_20scan_config_selectorIjEEZZNS1_9scan_implILNS1_25lookback_scan_determinismE0ELb1ELb1ES3_N6thrust23THRUST_200600_302600_NS6detail15normal_iteratorINS9_10device_ptrIjEEEENS9_16discard_iteratorINS9_11use_defaultEEEj11max_functorIjEjEEDaPvRmT3_T4_T5_mT6_P12ihipStream_tbENKUlT_T0_E_clISt17integral_constantIbLb1EESW_IbLb0EEEEDaSS_ST_EUlSS_E_NS1_11comp_targetILNS1_3genE9ELNS1_11target_archE1100ELNS1_3gpuE3ELNS1_3repE0EEENS1_30default_config_static_selectorELNS0_4arch9wavefront6targetE1EEEvT1_
                                        ; -- End function
	.section	.AMDGPU.csdata,"",@progbits
; Kernel info:
; codeLenInByte = 0
; NumSgprs: 4
; NumVgprs: 0
; NumAgprs: 0
; TotalNumVgprs: 0
; ScratchSize: 0
; MemoryBound: 0
; FloatMode: 240
; IeeeMode: 1
; LDSByteSize: 0 bytes/workgroup (compile time only)
; SGPRBlocks: 0
; VGPRBlocks: 0
; NumSGPRsForWavesPerEU: 4
; NumVGPRsForWavesPerEU: 1
; AccumOffset: 4
; Occupancy: 8
; WaveLimiterHint : 0
; COMPUTE_PGM_RSRC2:SCRATCH_EN: 0
; COMPUTE_PGM_RSRC2:USER_SGPR: 6
; COMPUTE_PGM_RSRC2:TRAP_HANDLER: 0
; COMPUTE_PGM_RSRC2:TGID_X_EN: 1
; COMPUTE_PGM_RSRC2:TGID_Y_EN: 0
; COMPUTE_PGM_RSRC2:TGID_Z_EN: 0
; COMPUTE_PGM_RSRC2:TIDIG_COMP_CNT: 0
; COMPUTE_PGM_RSRC3_GFX90A:ACCUM_OFFSET: 0
; COMPUTE_PGM_RSRC3_GFX90A:TG_SPLIT: 0
	.section	.text._ZN7rocprim17ROCPRIM_400000_NS6detail17trampoline_kernelINS0_14default_configENS1_20scan_config_selectorIjEEZZNS1_9scan_implILNS1_25lookback_scan_determinismE0ELb1ELb1ES3_N6thrust23THRUST_200600_302600_NS6detail15normal_iteratorINS9_10device_ptrIjEEEENS9_16discard_iteratorINS9_11use_defaultEEEj11max_functorIjEjEEDaPvRmT3_T4_T5_mT6_P12ihipStream_tbENKUlT_T0_E_clISt17integral_constantIbLb1EESW_IbLb0EEEEDaSS_ST_EUlSS_E_NS1_11comp_targetILNS1_3genE8ELNS1_11target_archE1030ELNS1_3gpuE2ELNS1_3repE0EEENS1_30default_config_static_selectorELNS0_4arch9wavefront6targetE1EEEvT1_,"axG",@progbits,_ZN7rocprim17ROCPRIM_400000_NS6detail17trampoline_kernelINS0_14default_configENS1_20scan_config_selectorIjEEZZNS1_9scan_implILNS1_25lookback_scan_determinismE0ELb1ELb1ES3_N6thrust23THRUST_200600_302600_NS6detail15normal_iteratorINS9_10device_ptrIjEEEENS9_16discard_iteratorINS9_11use_defaultEEEj11max_functorIjEjEEDaPvRmT3_T4_T5_mT6_P12ihipStream_tbENKUlT_T0_E_clISt17integral_constantIbLb1EESW_IbLb0EEEEDaSS_ST_EUlSS_E_NS1_11comp_targetILNS1_3genE8ELNS1_11target_archE1030ELNS1_3gpuE2ELNS1_3repE0EEENS1_30default_config_static_selectorELNS0_4arch9wavefront6targetE1EEEvT1_,comdat
	.protected	_ZN7rocprim17ROCPRIM_400000_NS6detail17trampoline_kernelINS0_14default_configENS1_20scan_config_selectorIjEEZZNS1_9scan_implILNS1_25lookback_scan_determinismE0ELb1ELb1ES3_N6thrust23THRUST_200600_302600_NS6detail15normal_iteratorINS9_10device_ptrIjEEEENS9_16discard_iteratorINS9_11use_defaultEEEj11max_functorIjEjEEDaPvRmT3_T4_T5_mT6_P12ihipStream_tbENKUlT_T0_E_clISt17integral_constantIbLb1EESW_IbLb0EEEEDaSS_ST_EUlSS_E_NS1_11comp_targetILNS1_3genE8ELNS1_11target_archE1030ELNS1_3gpuE2ELNS1_3repE0EEENS1_30default_config_static_selectorELNS0_4arch9wavefront6targetE1EEEvT1_ ; -- Begin function _ZN7rocprim17ROCPRIM_400000_NS6detail17trampoline_kernelINS0_14default_configENS1_20scan_config_selectorIjEEZZNS1_9scan_implILNS1_25lookback_scan_determinismE0ELb1ELb1ES3_N6thrust23THRUST_200600_302600_NS6detail15normal_iteratorINS9_10device_ptrIjEEEENS9_16discard_iteratorINS9_11use_defaultEEEj11max_functorIjEjEEDaPvRmT3_T4_T5_mT6_P12ihipStream_tbENKUlT_T0_E_clISt17integral_constantIbLb1EESW_IbLb0EEEEDaSS_ST_EUlSS_E_NS1_11comp_targetILNS1_3genE8ELNS1_11target_archE1030ELNS1_3gpuE2ELNS1_3repE0EEENS1_30default_config_static_selectorELNS0_4arch9wavefront6targetE1EEEvT1_
	.globl	_ZN7rocprim17ROCPRIM_400000_NS6detail17trampoline_kernelINS0_14default_configENS1_20scan_config_selectorIjEEZZNS1_9scan_implILNS1_25lookback_scan_determinismE0ELb1ELb1ES3_N6thrust23THRUST_200600_302600_NS6detail15normal_iteratorINS9_10device_ptrIjEEEENS9_16discard_iteratorINS9_11use_defaultEEEj11max_functorIjEjEEDaPvRmT3_T4_T5_mT6_P12ihipStream_tbENKUlT_T0_E_clISt17integral_constantIbLb1EESW_IbLb0EEEEDaSS_ST_EUlSS_E_NS1_11comp_targetILNS1_3genE8ELNS1_11target_archE1030ELNS1_3gpuE2ELNS1_3repE0EEENS1_30default_config_static_selectorELNS0_4arch9wavefront6targetE1EEEvT1_
	.p2align	8
	.type	_ZN7rocprim17ROCPRIM_400000_NS6detail17trampoline_kernelINS0_14default_configENS1_20scan_config_selectorIjEEZZNS1_9scan_implILNS1_25lookback_scan_determinismE0ELb1ELb1ES3_N6thrust23THRUST_200600_302600_NS6detail15normal_iteratorINS9_10device_ptrIjEEEENS9_16discard_iteratorINS9_11use_defaultEEEj11max_functorIjEjEEDaPvRmT3_T4_T5_mT6_P12ihipStream_tbENKUlT_T0_E_clISt17integral_constantIbLb1EESW_IbLb0EEEEDaSS_ST_EUlSS_E_NS1_11comp_targetILNS1_3genE8ELNS1_11target_archE1030ELNS1_3gpuE2ELNS1_3repE0EEENS1_30default_config_static_selectorELNS0_4arch9wavefront6targetE1EEEvT1_,@function
_ZN7rocprim17ROCPRIM_400000_NS6detail17trampoline_kernelINS0_14default_configENS1_20scan_config_selectorIjEEZZNS1_9scan_implILNS1_25lookback_scan_determinismE0ELb1ELb1ES3_N6thrust23THRUST_200600_302600_NS6detail15normal_iteratorINS9_10device_ptrIjEEEENS9_16discard_iteratorINS9_11use_defaultEEEj11max_functorIjEjEEDaPvRmT3_T4_T5_mT6_P12ihipStream_tbENKUlT_T0_E_clISt17integral_constantIbLb1EESW_IbLb0EEEEDaSS_ST_EUlSS_E_NS1_11comp_targetILNS1_3genE8ELNS1_11target_archE1030ELNS1_3gpuE2ELNS1_3repE0EEENS1_30default_config_static_selectorELNS0_4arch9wavefront6targetE1EEEvT1_: ; @_ZN7rocprim17ROCPRIM_400000_NS6detail17trampoline_kernelINS0_14default_configENS1_20scan_config_selectorIjEEZZNS1_9scan_implILNS1_25lookback_scan_determinismE0ELb1ELb1ES3_N6thrust23THRUST_200600_302600_NS6detail15normal_iteratorINS9_10device_ptrIjEEEENS9_16discard_iteratorINS9_11use_defaultEEEj11max_functorIjEjEEDaPvRmT3_T4_T5_mT6_P12ihipStream_tbENKUlT_T0_E_clISt17integral_constantIbLb1EESW_IbLb0EEEEDaSS_ST_EUlSS_E_NS1_11comp_targetILNS1_3genE8ELNS1_11target_archE1030ELNS1_3gpuE2ELNS1_3repE0EEENS1_30default_config_static_selectorELNS0_4arch9wavefront6targetE1EEEvT1_
; %bb.0:
	.section	.rodata,"a",@progbits
	.p2align	6, 0x0
	.amdhsa_kernel _ZN7rocprim17ROCPRIM_400000_NS6detail17trampoline_kernelINS0_14default_configENS1_20scan_config_selectorIjEEZZNS1_9scan_implILNS1_25lookback_scan_determinismE0ELb1ELb1ES3_N6thrust23THRUST_200600_302600_NS6detail15normal_iteratorINS9_10device_ptrIjEEEENS9_16discard_iteratorINS9_11use_defaultEEEj11max_functorIjEjEEDaPvRmT3_T4_T5_mT6_P12ihipStream_tbENKUlT_T0_E_clISt17integral_constantIbLb1EESW_IbLb0EEEEDaSS_ST_EUlSS_E_NS1_11comp_targetILNS1_3genE8ELNS1_11target_archE1030ELNS1_3gpuE2ELNS1_3repE0EEENS1_30default_config_static_selectorELNS0_4arch9wavefront6targetE1EEEvT1_
		.amdhsa_group_segment_fixed_size 0
		.amdhsa_private_segment_fixed_size 0
		.amdhsa_kernarg_size 104
		.amdhsa_user_sgpr_count 6
		.amdhsa_user_sgpr_private_segment_buffer 1
		.amdhsa_user_sgpr_dispatch_ptr 0
		.amdhsa_user_sgpr_queue_ptr 0
		.amdhsa_user_sgpr_kernarg_segment_ptr 1
		.amdhsa_user_sgpr_dispatch_id 0
		.amdhsa_user_sgpr_flat_scratch_init 0
		.amdhsa_user_sgpr_kernarg_preload_length 0
		.amdhsa_user_sgpr_kernarg_preload_offset 0
		.amdhsa_user_sgpr_private_segment_size 0
		.amdhsa_uses_dynamic_stack 0
		.amdhsa_system_sgpr_private_segment_wavefront_offset 0
		.amdhsa_system_sgpr_workgroup_id_x 1
		.amdhsa_system_sgpr_workgroup_id_y 0
		.amdhsa_system_sgpr_workgroup_id_z 0
		.amdhsa_system_sgpr_workgroup_info 0
		.amdhsa_system_vgpr_workitem_id 0
		.amdhsa_next_free_vgpr 1
		.amdhsa_next_free_sgpr 0
		.amdhsa_accum_offset 4
		.amdhsa_reserve_vcc 0
		.amdhsa_reserve_flat_scratch 0
		.amdhsa_float_round_mode_32 0
		.amdhsa_float_round_mode_16_64 0
		.amdhsa_float_denorm_mode_32 3
		.amdhsa_float_denorm_mode_16_64 3
		.amdhsa_dx10_clamp 1
		.amdhsa_ieee_mode 1
		.amdhsa_fp16_overflow 0
		.amdhsa_tg_split 0
		.amdhsa_exception_fp_ieee_invalid_op 0
		.amdhsa_exception_fp_denorm_src 0
		.amdhsa_exception_fp_ieee_div_zero 0
		.amdhsa_exception_fp_ieee_overflow 0
		.amdhsa_exception_fp_ieee_underflow 0
		.amdhsa_exception_fp_ieee_inexact 0
		.amdhsa_exception_int_div_zero 0
	.end_amdhsa_kernel
	.section	.text._ZN7rocprim17ROCPRIM_400000_NS6detail17trampoline_kernelINS0_14default_configENS1_20scan_config_selectorIjEEZZNS1_9scan_implILNS1_25lookback_scan_determinismE0ELb1ELb1ES3_N6thrust23THRUST_200600_302600_NS6detail15normal_iteratorINS9_10device_ptrIjEEEENS9_16discard_iteratorINS9_11use_defaultEEEj11max_functorIjEjEEDaPvRmT3_T4_T5_mT6_P12ihipStream_tbENKUlT_T0_E_clISt17integral_constantIbLb1EESW_IbLb0EEEEDaSS_ST_EUlSS_E_NS1_11comp_targetILNS1_3genE8ELNS1_11target_archE1030ELNS1_3gpuE2ELNS1_3repE0EEENS1_30default_config_static_selectorELNS0_4arch9wavefront6targetE1EEEvT1_,"axG",@progbits,_ZN7rocprim17ROCPRIM_400000_NS6detail17trampoline_kernelINS0_14default_configENS1_20scan_config_selectorIjEEZZNS1_9scan_implILNS1_25lookback_scan_determinismE0ELb1ELb1ES3_N6thrust23THRUST_200600_302600_NS6detail15normal_iteratorINS9_10device_ptrIjEEEENS9_16discard_iteratorINS9_11use_defaultEEEj11max_functorIjEjEEDaPvRmT3_T4_T5_mT6_P12ihipStream_tbENKUlT_T0_E_clISt17integral_constantIbLb1EESW_IbLb0EEEEDaSS_ST_EUlSS_E_NS1_11comp_targetILNS1_3genE8ELNS1_11target_archE1030ELNS1_3gpuE2ELNS1_3repE0EEENS1_30default_config_static_selectorELNS0_4arch9wavefront6targetE1EEEvT1_,comdat
.Lfunc_end3538:
	.size	_ZN7rocprim17ROCPRIM_400000_NS6detail17trampoline_kernelINS0_14default_configENS1_20scan_config_selectorIjEEZZNS1_9scan_implILNS1_25lookback_scan_determinismE0ELb1ELb1ES3_N6thrust23THRUST_200600_302600_NS6detail15normal_iteratorINS9_10device_ptrIjEEEENS9_16discard_iteratorINS9_11use_defaultEEEj11max_functorIjEjEEDaPvRmT3_T4_T5_mT6_P12ihipStream_tbENKUlT_T0_E_clISt17integral_constantIbLb1EESW_IbLb0EEEEDaSS_ST_EUlSS_E_NS1_11comp_targetILNS1_3genE8ELNS1_11target_archE1030ELNS1_3gpuE2ELNS1_3repE0EEENS1_30default_config_static_selectorELNS0_4arch9wavefront6targetE1EEEvT1_, .Lfunc_end3538-_ZN7rocprim17ROCPRIM_400000_NS6detail17trampoline_kernelINS0_14default_configENS1_20scan_config_selectorIjEEZZNS1_9scan_implILNS1_25lookback_scan_determinismE0ELb1ELb1ES3_N6thrust23THRUST_200600_302600_NS6detail15normal_iteratorINS9_10device_ptrIjEEEENS9_16discard_iteratorINS9_11use_defaultEEEj11max_functorIjEjEEDaPvRmT3_T4_T5_mT6_P12ihipStream_tbENKUlT_T0_E_clISt17integral_constantIbLb1EESW_IbLb0EEEEDaSS_ST_EUlSS_E_NS1_11comp_targetILNS1_3genE8ELNS1_11target_archE1030ELNS1_3gpuE2ELNS1_3repE0EEENS1_30default_config_static_selectorELNS0_4arch9wavefront6targetE1EEEvT1_
                                        ; -- End function
	.section	.AMDGPU.csdata,"",@progbits
; Kernel info:
; codeLenInByte = 0
; NumSgprs: 4
; NumVgprs: 0
; NumAgprs: 0
; TotalNumVgprs: 0
; ScratchSize: 0
; MemoryBound: 0
; FloatMode: 240
; IeeeMode: 1
; LDSByteSize: 0 bytes/workgroup (compile time only)
; SGPRBlocks: 0
; VGPRBlocks: 0
; NumSGPRsForWavesPerEU: 4
; NumVGPRsForWavesPerEU: 1
; AccumOffset: 4
; Occupancy: 8
; WaveLimiterHint : 0
; COMPUTE_PGM_RSRC2:SCRATCH_EN: 0
; COMPUTE_PGM_RSRC2:USER_SGPR: 6
; COMPUTE_PGM_RSRC2:TRAP_HANDLER: 0
; COMPUTE_PGM_RSRC2:TGID_X_EN: 1
; COMPUTE_PGM_RSRC2:TGID_Y_EN: 0
; COMPUTE_PGM_RSRC2:TGID_Z_EN: 0
; COMPUTE_PGM_RSRC2:TIDIG_COMP_CNT: 0
; COMPUTE_PGM_RSRC3_GFX90A:ACCUM_OFFSET: 0
; COMPUTE_PGM_RSRC3_GFX90A:TG_SPLIT: 0
	.section	.text._ZN7rocprim17ROCPRIM_400000_NS6detail17trampoline_kernelINS0_14default_configENS1_20scan_config_selectorIjEEZZNS1_9scan_implILNS1_25lookback_scan_determinismE0ELb1ELb1ES3_N6thrust23THRUST_200600_302600_NS6detail15normal_iteratorINS9_10device_ptrIjEEEENS9_16discard_iteratorINS9_11use_defaultEEEj11max_functorIjEjEEDaPvRmT3_T4_T5_mT6_P12ihipStream_tbENKUlT_T0_E_clISt17integral_constantIbLb1EESW_IbLb0EEEEDaSS_ST_EUlSS_E0_NS1_11comp_targetILNS1_3genE0ELNS1_11target_archE4294967295ELNS1_3gpuE0ELNS1_3repE0EEENS1_30default_config_static_selectorELNS0_4arch9wavefront6targetE1EEEvT1_,"axG",@progbits,_ZN7rocprim17ROCPRIM_400000_NS6detail17trampoline_kernelINS0_14default_configENS1_20scan_config_selectorIjEEZZNS1_9scan_implILNS1_25lookback_scan_determinismE0ELb1ELb1ES3_N6thrust23THRUST_200600_302600_NS6detail15normal_iteratorINS9_10device_ptrIjEEEENS9_16discard_iteratorINS9_11use_defaultEEEj11max_functorIjEjEEDaPvRmT3_T4_T5_mT6_P12ihipStream_tbENKUlT_T0_E_clISt17integral_constantIbLb1EESW_IbLb0EEEEDaSS_ST_EUlSS_E0_NS1_11comp_targetILNS1_3genE0ELNS1_11target_archE4294967295ELNS1_3gpuE0ELNS1_3repE0EEENS1_30default_config_static_selectorELNS0_4arch9wavefront6targetE1EEEvT1_,comdat
	.protected	_ZN7rocprim17ROCPRIM_400000_NS6detail17trampoline_kernelINS0_14default_configENS1_20scan_config_selectorIjEEZZNS1_9scan_implILNS1_25lookback_scan_determinismE0ELb1ELb1ES3_N6thrust23THRUST_200600_302600_NS6detail15normal_iteratorINS9_10device_ptrIjEEEENS9_16discard_iteratorINS9_11use_defaultEEEj11max_functorIjEjEEDaPvRmT3_T4_T5_mT6_P12ihipStream_tbENKUlT_T0_E_clISt17integral_constantIbLb1EESW_IbLb0EEEEDaSS_ST_EUlSS_E0_NS1_11comp_targetILNS1_3genE0ELNS1_11target_archE4294967295ELNS1_3gpuE0ELNS1_3repE0EEENS1_30default_config_static_selectorELNS0_4arch9wavefront6targetE1EEEvT1_ ; -- Begin function _ZN7rocprim17ROCPRIM_400000_NS6detail17trampoline_kernelINS0_14default_configENS1_20scan_config_selectorIjEEZZNS1_9scan_implILNS1_25lookback_scan_determinismE0ELb1ELb1ES3_N6thrust23THRUST_200600_302600_NS6detail15normal_iteratorINS9_10device_ptrIjEEEENS9_16discard_iteratorINS9_11use_defaultEEEj11max_functorIjEjEEDaPvRmT3_T4_T5_mT6_P12ihipStream_tbENKUlT_T0_E_clISt17integral_constantIbLb1EESW_IbLb0EEEEDaSS_ST_EUlSS_E0_NS1_11comp_targetILNS1_3genE0ELNS1_11target_archE4294967295ELNS1_3gpuE0ELNS1_3repE0EEENS1_30default_config_static_selectorELNS0_4arch9wavefront6targetE1EEEvT1_
	.globl	_ZN7rocprim17ROCPRIM_400000_NS6detail17trampoline_kernelINS0_14default_configENS1_20scan_config_selectorIjEEZZNS1_9scan_implILNS1_25lookback_scan_determinismE0ELb1ELb1ES3_N6thrust23THRUST_200600_302600_NS6detail15normal_iteratorINS9_10device_ptrIjEEEENS9_16discard_iteratorINS9_11use_defaultEEEj11max_functorIjEjEEDaPvRmT3_T4_T5_mT6_P12ihipStream_tbENKUlT_T0_E_clISt17integral_constantIbLb1EESW_IbLb0EEEEDaSS_ST_EUlSS_E0_NS1_11comp_targetILNS1_3genE0ELNS1_11target_archE4294967295ELNS1_3gpuE0ELNS1_3repE0EEENS1_30default_config_static_selectorELNS0_4arch9wavefront6targetE1EEEvT1_
	.p2align	8
	.type	_ZN7rocprim17ROCPRIM_400000_NS6detail17trampoline_kernelINS0_14default_configENS1_20scan_config_selectorIjEEZZNS1_9scan_implILNS1_25lookback_scan_determinismE0ELb1ELb1ES3_N6thrust23THRUST_200600_302600_NS6detail15normal_iteratorINS9_10device_ptrIjEEEENS9_16discard_iteratorINS9_11use_defaultEEEj11max_functorIjEjEEDaPvRmT3_T4_T5_mT6_P12ihipStream_tbENKUlT_T0_E_clISt17integral_constantIbLb1EESW_IbLb0EEEEDaSS_ST_EUlSS_E0_NS1_11comp_targetILNS1_3genE0ELNS1_11target_archE4294967295ELNS1_3gpuE0ELNS1_3repE0EEENS1_30default_config_static_selectorELNS0_4arch9wavefront6targetE1EEEvT1_,@function
_ZN7rocprim17ROCPRIM_400000_NS6detail17trampoline_kernelINS0_14default_configENS1_20scan_config_selectorIjEEZZNS1_9scan_implILNS1_25lookback_scan_determinismE0ELb1ELb1ES3_N6thrust23THRUST_200600_302600_NS6detail15normal_iteratorINS9_10device_ptrIjEEEENS9_16discard_iteratorINS9_11use_defaultEEEj11max_functorIjEjEEDaPvRmT3_T4_T5_mT6_P12ihipStream_tbENKUlT_T0_E_clISt17integral_constantIbLb1EESW_IbLb0EEEEDaSS_ST_EUlSS_E0_NS1_11comp_targetILNS1_3genE0ELNS1_11target_archE4294967295ELNS1_3gpuE0ELNS1_3repE0EEENS1_30default_config_static_selectorELNS0_4arch9wavefront6targetE1EEEvT1_: ; @_ZN7rocprim17ROCPRIM_400000_NS6detail17trampoline_kernelINS0_14default_configENS1_20scan_config_selectorIjEEZZNS1_9scan_implILNS1_25lookback_scan_determinismE0ELb1ELb1ES3_N6thrust23THRUST_200600_302600_NS6detail15normal_iteratorINS9_10device_ptrIjEEEENS9_16discard_iteratorINS9_11use_defaultEEEj11max_functorIjEjEEDaPvRmT3_T4_T5_mT6_P12ihipStream_tbENKUlT_T0_E_clISt17integral_constantIbLb1EESW_IbLb0EEEEDaSS_ST_EUlSS_E0_NS1_11comp_targetILNS1_3genE0ELNS1_11target_archE4294967295ELNS1_3gpuE0ELNS1_3repE0EEENS1_30default_config_static_selectorELNS0_4arch9wavefront6targetE1EEEvT1_
; %bb.0:
	.section	.rodata,"a",@progbits
	.p2align	6, 0x0
	.amdhsa_kernel _ZN7rocprim17ROCPRIM_400000_NS6detail17trampoline_kernelINS0_14default_configENS1_20scan_config_selectorIjEEZZNS1_9scan_implILNS1_25lookback_scan_determinismE0ELb1ELb1ES3_N6thrust23THRUST_200600_302600_NS6detail15normal_iteratorINS9_10device_ptrIjEEEENS9_16discard_iteratorINS9_11use_defaultEEEj11max_functorIjEjEEDaPvRmT3_T4_T5_mT6_P12ihipStream_tbENKUlT_T0_E_clISt17integral_constantIbLb1EESW_IbLb0EEEEDaSS_ST_EUlSS_E0_NS1_11comp_targetILNS1_3genE0ELNS1_11target_archE4294967295ELNS1_3gpuE0ELNS1_3repE0EEENS1_30default_config_static_selectorELNS0_4arch9wavefront6targetE1EEEvT1_
		.amdhsa_group_segment_fixed_size 0
		.amdhsa_private_segment_fixed_size 0
		.amdhsa_kernarg_size 40
		.amdhsa_user_sgpr_count 6
		.amdhsa_user_sgpr_private_segment_buffer 1
		.amdhsa_user_sgpr_dispatch_ptr 0
		.amdhsa_user_sgpr_queue_ptr 0
		.amdhsa_user_sgpr_kernarg_segment_ptr 1
		.amdhsa_user_sgpr_dispatch_id 0
		.amdhsa_user_sgpr_flat_scratch_init 0
		.amdhsa_user_sgpr_kernarg_preload_length 0
		.amdhsa_user_sgpr_kernarg_preload_offset 0
		.amdhsa_user_sgpr_private_segment_size 0
		.amdhsa_uses_dynamic_stack 0
		.amdhsa_system_sgpr_private_segment_wavefront_offset 0
		.amdhsa_system_sgpr_workgroup_id_x 1
		.amdhsa_system_sgpr_workgroup_id_y 0
		.amdhsa_system_sgpr_workgroup_id_z 0
		.amdhsa_system_sgpr_workgroup_info 0
		.amdhsa_system_vgpr_workitem_id 0
		.amdhsa_next_free_vgpr 1
		.amdhsa_next_free_sgpr 0
		.amdhsa_accum_offset 4
		.amdhsa_reserve_vcc 0
		.amdhsa_reserve_flat_scratch 0
		.amdhsa_float_round_mode_32 0
		.amdhsa_float_round_mode_16_64 0
		.amdhsa_float_denorm_mode_32 3
		.amdhsa_float_denorm_mode_16_64 3
		.amdhsa_dx10_clamp 1
		.amdhsa_ieee_mode 1
		.amdhsa_fp16_overflow 0
		.amdhsa_tg_split 0
		.amdhsa_exception_fp_ieee_invalid_op 0
		.amdhsa_exception_fp_denorm_src 0
		.amdhsa_exception_fp_ieee_div_zero 0
		.amdhsa_exception_fp_ieee_overflow 0
		.amdhsa_exception_fp_ieee_underflow 0
		.amdhsa_exception_fp_ieee_inexact 0
		.amdhsa_exception_int_div_zero 0
	.end_amdhsa_kernel
	.section	.text._ZN7rocprim17ROCPRIM_400000_NS6detail17trampoline_kernelINS0_14default_configENS1_20scan_config_selectorIjEEZZNS1_9scan_implILNS1_25lookback_scan_determinismE0ELb1ELb1ES3_N6thrust23THRUST_200600_302600_NS6detail15normal_iteratorINS9_10device_ptrIjEEEENS9_16discard_iteratorINS9_11use_defaultEEEj11max_functorIjEjEEDaPvRmT3_T4_T5_mT6_P12ihipStream_tbENKUlT_T0_E_clISt17integral_constantIbLb1EESW_IbLb0EEEEDaSS_ST_EUlSS_E0_NS1_11comp_targetILNS1_3genE0ELNS1_11target_archE4294967295ELNS1_3gpuE0ELNS1_3repE0EEENS1_30default_config_static_selectorELNS0_4arch9wavefront6targetE1EEEvT1_,"axG",@progbits,_ZN7rocprim17ROCPRIM_400000_NS6detail17trampoline_kernelINS0_14default_configENS1_20scan_config_selectorIjEEZZNS1_9scan_implILNS1_25lookback_scan_determinismE0ELb1ELb1ES3_N6thrust23THRUST_200600_302600_NS6detail15normal_iteratorINS9_10device_ptrIjEEEENS9_16discard_iteratorINS9_11use_defaultEEEj11max_functorIjEjEEDaPvRmT3_T4_T5_mT6_P12ihipStream_tbENKUlT_T0_E_clISt17integral_constantIbLb1EESW_IbLb0EEEEDaSS_ST_EUlSS_E0_NS1_11comp_targetILNS1_3genE0ELNS1_11target_archE4294967295ELNS1_3gpuE0ELNS1_3repE0EEENS1_30default_config_static_selectorELNS0_4arch9wavefront6targetE1EEEvT1_,comdat
.Lfunc_end3539:
	.size	_ZN7rocprim17ROCPRIM_400000_NS6detail17trampoline_kernelINS0_14default_configENS1_20scan_config_selectorIjEEZZNS1_9scan_implILNS1_25lookback_scan_determinismE0ELb1ELb1ES3_N6thrust23THRUST_200600_302600_NS6detail15normal_iteratorINS9_10device_ptrIjEEEENS9_16discard_iteratorINS9_11use_defaultEEEj11max_functorIjEjEEDaPvRmT3_T4_T5_mT6_P12ihipStream_tbENKUlT_T0_E_clISt17integral_constantIbLb1EESW_IbLb0EEEEDaSS_ST_EUlSS_E0_NS1_11comp_targetILNS1_3genE0ELNS1_11target_archE4294967295ELNS1_3gpuE0ELNS1_3repE0EEENS1_30default_config_static_selectorELNS0_4arch9wavefront6targetE1EEEvT1_, .Lfunc_end3539-_ZN7rocprim17ROCPRIM_400000_NS6detail17trampoline_kernelINS0_14default_configENS1_20scan_config_selectorIjEEZZNS1_9scan_implILNS1_25lookback_scan_determinismE0ELb1ELb1ES3_N6thrust23THRUST_200600_302600_NS6detail15normal_iteratorINS9_10device_ptrIjEEEENS9_16discard_iteratorINS9_11use_defaultEEEj11max_functorIjEjEEDaPvRmT3_T4_T5_mT6_P12ihipStream_tbENKUlT_T0_E_clISt17integral_constantIbLb1EESW_IbLb0EEEEDaSS_ST_EUlSS_E0_NS1_11comp_targetILNS1_3genE0ELNS1_11target_archE4294967295ELNS1_3gpuE0ELNS1_3repE0EEENS1_30default_config_static_selectorELNS0_4arch9wavefront6targetE1EEEvT1_
                                        ; -- End function
	.section	.AMDGPU.csdata,"",@progbits
; Kernel info:
; codeLenInByte = 0
; NumSgprs: 4
; NumVgprs: 0
; NumAgprs: 0
; TotalNumVgprs: 0
; ScratchSize: 0
; MemoryBound: 0
; FloatMode: 240
; IeeeMode: 1
; LDSByteSize: 0 bytes/workgroup (compile time only)
; SGPRBlocks: 0
; VGPRBlocks: 0
; NumSGPRsForWavesPerEU: 4
; NumVGPRsForWavesPerEU: 1
; AccumOffset: 4
; Occupancy: 8
; WaveLimiterHint : 0
; COMPUTE_PGM_RSRC2:SCRATCH_EN: 0
; COMPUTE_PGM_RSRC2:USER_SGPR: 6
; COMPUTE_PGM_RSRC2:TRAP_HANDLER: 0
; COMPUTE_PGM_RSRC2:TGID_X_EN: 1
; COMPUTE_PGM_RSRC2:TGID_Y_EN: 0
; COMPUTE_PGM_RSRC2:TGID_Z_EN: 0
; COMPUTE_PGM_RSRC2:TIDIG_COMP_CNT: 0
; COMPUTE_PGM_RSRC3_GFX90A:ACCUM_OFFSET: 0
; COMPUTE_PGM_RSRC3_GFX90A:TG_SPLIT: 0
	.section	.text._ZN7rocprim17ROCPRIM_400000_NS6detail17trampoline_kernelINS0_14default_configENS1_20scan_config_selectorIjEEZZNS1_9scan_implILNS1_25lookback_scan_determinismE0ELb1ELb1ES3_N6thrust23THRUST_200600_302600_NS6detail15normal_iteratorINS9_10device_ptrIjEEEENS9_16discard_iteratorINS9_11use_defaultEEEj11max_functorIjEjEEDaPvRmT3_T4_T5_mT6_P12ihipStream_tbENKUlT_T0_E_clISt17integral_constantIbLb1EESW_IbLb0EEEEDaSS_ST_EUlSS_E0_NS1_11comp_targetILNS1_3genE5ELNS1_11target_archE942ELNS1_3gpuE9ELNS1_3repE0EEENS1_30default_config_static_selectorELNS0_4arch9wavefront6targetE1EEEvT1_,"axG",@progbits,_ZN7rocprim17ROCPRIM_400000_NS6detail17trampoline_kernelINS0_14default_configENS1_20scan_config_selectorIjEEZZNS1_9scan_implILNS1_25lookback_scan_determinismE0ELb1ELb1ES3_N6thrust23THRUST_200600_302600_NS6detail15normal_iteratorINS9_10device_ptrIjEEEENS9_16discard_iteratorINS9_11use_defaultEEEj11max_functorIjEjEEDaPvRmT3_T4_T5_mT6_P12ihipStream_tbENKUlT_T0_E_clISt17integral_constantIbLb1EESW_IbLb0EEEEDaSS_ST_EUlSS_E0_NS1_11comp_targetILNS1_3genE5ELNS1_11target_archE942ELNS1_3gpuE9ELNS1_3repE0EEENS1_30default_config_static_selectorELNS0_4arch9wavefront6targetE1EEEvT1_,comdat
	.protected	_ZN7rocprim17ROCPRIM_400000_NS6detail17trampoline_kernelINS0_14default_configENS1_20scan_config_selectorIjEEZZNS1_9scan_implILNS1_25lookback_scan_determinismE0ELb1ELb1ES3_N6thrust23THRUST_200600_302600_NS6detail15normal_iteratorINS9_10device_ptrIjEEEENS9_16discard_iteratorINS9_11use_defaultEEEj11max_functorIjEjEEDaPvRmT3_T4_T5_mT6_P12ihipStream_tbENKUlT_T0_E_clISt17integral_constantIbLb1EESW_IbLb0EEEEDaSS_ST_EUlSS_E0_NS1_11comp_targetILNS1_3genE5ELNS1_11target_archE942ELNS1_3gpuE9ELNS1_3repE0EEENS1_30default_config_static_selectorELNS0_4arch9wavefront6targetE1EEEvT1_ ; -- Begin function _ZN7rocprim17ROCPRIM_400000_NS6detail17trampoline_kernelINS0_14default_configENS1_20scan_config_selectorIjEEZZNS1_9scan_implILNS1_25lookback_scan_determinismE0ELb1ELb1ES3_N6thrust23THRUST_200600_302600_NS6detail15normal_iteratorINS9_10device_ptrIjEEEENS9_16discard_iteratorINS9_11use_defaultEEEj11max_functorIjEjEEDaPvRmT3_T4_T5_mT6_P12ihipStream_tbENKUlT_T0_E_clISt17integral_constantIbLb1EESW_IbLb0EEEEDaSS_ST_EUlSS_E0_NS1_11comp_targetILNS1_3genE5ELNS1_11target_archE942ELNS1_3gpuE9ELNS1_3repE0EEENS1_30default_config_static_selectorELNS0_4arch9wavefront6targetE1EEEvT1_
	.globl	_ZN7rocprim17ROCPRIM_400000_NS6detail17trampoline_kernelINS0_14default_configENS1_20scan_config_selectorIjEEZZNS1_9scan_implILNS1_25lookback_scan_determinismE0ELb1ELb1ES3_N6thrust23THRUST_200600_302600_NS6detail15normal_iteratorINS9_10device_ptrIjEEEENS9_16discard_iteratorINS9_11use_defaultEEEj11max_functorIjEjEEDaPvRmT3_T4_T5_mT6_P12ihipStream_tbENKUlT_T0_E_clISt17integral_constantIbLb1EESW_IbLb0EEEEDaSS_ST_EUlSS_E0_NS1_11comp_targetILNS1_3genE5ELNS1_11target_archE942ELNS1_3gpuE9ELNS1_3repE0EEENS1_30default_config_static_selectorELNS0_4arch9wavefront6targetE1EEEvT1_
	.p2align	8
	.type	_ZN7rocprim17ROCPRIM_400000_NS6detail17trampoline_kernelINS0_14default_configENS1_20scan_config_selectorIjEEZZNS1_9scan_implILNS1_25lookback_scan_determinismE0ELb1ELb1ES3_N6thrust23THRUST_200600_302600_NS6detail15normal_iteratorINS9_10device_ptrIjEEEENS9_16discard_iteratorINS9_11use_defaultEEEj11max_functorIjEjEEDaPvRmT3_T4_T5_mT6_P12ihipStream_tbENKUlT_T0_E_clISt17integral_constantIbLb1EESW_IbLb0EEEEDaSS_ST_EUlSS_E0_NS1_11comp_targetILNS1_3genE5ELNS1_11target_archE942ELNS1_3gpuE9ELNS1_3repE0EEENS1_30default_config_static_selectorELNS0_4arch9wavefront6targetE1EEEvT1_,@function
_ZN7rocprim17ROCPRIM_400000_NS6detail17trampoline_kernelINS0_14default_configENS1_20scan_config_selectorIjEEZZNS1_9scan_implILNS1_25lookback_scan_determinismE0ELb1ELb1ES3_N6thrust23THRUST_200600_302600_NS6detail15normal_iteratorINS9_10device_ptrIjEEEENS9_16discard_iteratorINS9_11use_defaultEEEj11max_functorIjEjEEDaPvRmT3_T4_T5_mT6_P12ihipStream_tbENKUlT_T0_E_clISt17integral_constantIbLb1EESW_IbLb0EEEEDaSS_ST_EUlSS_E0_NS1_11comp_targetILNS1_3genE5ELNS1_11target_archE942ELNS1_3gpuE9ELNS1_3repE0EEENS1_30default_config_static_selectorELNS0_4arch9wavefront6targetE1EEEvT1_: ; @_ZN7rocprim17ROCPRIM_400000_NS6detail17trampoline_kernelINS0_14default_configENS1_20scan_config_selectorIjEEZZNS1_9scan_implILNS1_25lookback_scan_determinismE0ELb1ELb1ES3_N6thrust23THRUST_200600_302600_NS6detail15normal_iteratorINS9_10device_ptrIjEEEENS9_16discard_iteratorINS9_11use_defaultEEEj11max_functorIjEjEEDaPvRmT3_T4_T5_mT6_P12ihipStream_tbENKUlT_T0_E_clISt17integral_constantIbLb1EESW_IbLb0EEEEDaSS_ST_EUlSS_E0_NS1_11comp_targetILNS1_3genE5ELNS1_11target_archE942ELNS1_3gpuE9ELNS1_3repE0EEENS1_30default_config_static_selectorELNS0_4arch9wavefront6targetE1EEEvT1_
; %bb.0:
	.section	.rodata,"a",@progbits
	.p2align	6, 0x0
	.amdhsa_kernel _ZN7rocprim17ROCPRIM_400000_NS6detail17trampoline_kernelINS0_14default_configENS1_20scan_config_selectorIjEEZZNS1_9scan_implILNS1_25lookback_scan_determinismE0ELb1ELb1ES3_N6thrust23THRUST_200600_302600_NS6detail15normal_iteratorINS9_10device_ptrIjEEEENS9_16discard_iteratorINS9_11use_defaultEEEj11max_functorIjEjEEDaPvRmT3_T4_T5_mT6_P12ihipStream_tbENKUlT_T0_E_clISt17integral_constantIbLb1EESW_IbLb0EEEEDaSS_ST_EUlSS_E0_NS1_11comp_targetILNS1_3genE5ELNS1_11target_archE942ELNS1_3gpuE9ELNS1_3repE0EEENS1_30default_config_static_selectorELNS0_4arch9wavefront6targetE1EEEvT1_
		.amdhsa_group_segment_fixed_size 0
		.amdhsa_private_segment_fixed_size 0
		.amdhsa_kernarg_size 40
		.amdhsa_user_sgpr_count 6
		.amdhsa_user_sgpr_private_segment_buffer 1
		.amdhsa_user_sgpr_dispatch_ptr 0
		.amdhsa_user_sgpr_queue_ptr 0
		.amdhsa_user_sgpr_kernarg_segment_ptr 1
		.amdhsa_user_sgpr_dispatch_id 0
		.amdhsa_user_sgpr_flat_scratch_init 0
		.amdhsa_user_sgpr_kernarg_preload_length 0
		.amdhsa_user_sgpr_kernarg_preload_offset 0
		.amdhsa_user_sgpr_private_segment_size 0
		.amdhsa_uses_dynamic_stack 0
		.amdhsa_system_sgpr_private_segment_wavefront_offset 0
		.amdhsa_system_sgpr_workgroup_id_x 1
		.amdhsa_system_sgpr_workgroup_id_y 0
		.amdhsa_system_sgpr_workgroup_id_z 0
		.amdhsa_system_sgpr_workgroup_info 0
		.amdhsa_system_vgpr_workitem_id 0
		.amdhsa_next_free_vgpr 1
		.amdhsa_next_free_sgpr 0
		.amdhsa_accum_offset 4
		.amdhsa_reserve_vcc 0
		.amdhsa_reserve_flat_scratch 0
		.amdhsa_float_round_mode_32 0
		.amdhsa_float_round_mode_16_64 0
		.amdhsa_float_denorm_mode_32 3
		.amdhsa_float_denorm_mode_16_64 3
		.amdhsa_dx10_clamp 1
		.amdhsa_ieee_mode 1
		.amdhsa_fp16_overflow 0
		.amdhsa_tg_split 0
		.amdhsa_exception_fp_ieee_invalid_op 0
		.amdhsa_exception_fp_denorm_src 0
		.amdhsa_exception_fp_ieee_div_zero 0
		.amdhsa_exception_fp_ieee_overflow 0
		.amdhsa_exception_fp_ieee_underflow 0
		.amdhsa_exception_fp_ieee_inexact 0
		.amdhsa_exception_int_div_zero 0
	.end_amdhsa_kernel
	.section	.text._ZN7rocprim17ROCPRIM_400000_NS6detail17trampoline_kernelINS0_14default_configENS1_20scan_config_selectorIjEEZZNS1_9scan_implILNS1_25lookback_scan_determinismE0ELb1ELb1ES3_N6thrust23THRUST_200600_302600_NS6detail15normal_iteratorINS9_10device_ptrIjEEEENS9_16discard_iteratorINS9_11use_defaultEEEj11max_functorIjEjEEDaPvRmT3_T4_T5_mT6_P12ihipStream_tbENKUlT_T0_E_clISt17integral_constantIbLb1EESW_IbLb0EEEEDaSS_ST_EUlSS_E0_NS1_11comp_targetILNS1_3genE5ELNS1_11target_archE942ELNS1_3gpuE9ELNS1_3repE0EEENS1_30default_config_static_selectorELNS0_4arch9wavefront6targetE1EEEvT1_,"axG",@progbits,_ZN7rocprim17ROCPRIM_400000_NS6detail17trampoline_kernelINS0_14default_configENS1_20scan_config_selectorIjEEZZNS1_9scan_implILNS1_25lookback_scan_determinismE0ELb1ELb1ES3_N6thrust23THRUST_200600_302600_NS6detail15normal_iteratorINS9_10device_ptrIjEEEENS9_16discard_iteratorINS9_11use_defaultEEEj11max_functorIjEjEEDaPvRmT3_T4_T5_mT6_P12ihipStream_tbENKUlT_T0_E_clISt17integral_constantIbLb1EESW_IbLb0EEEEDaSS_ST_EUlSS_E0_NS1_11comp_targetILNS1_3genE5ELNS1_11target_archE942ELNS1_3gpuE9ELNS1_3repE0EEENS1_30default_config_static_selectorELNS0_4arch9wavefront6targetE1EEEvT1_,comdat
.Lfunc_end3540:
	.size	_ZN7rocprim17ROCPRIM_400000_NS6detail17trampoline_kernelINS0_14default_configENS1_20scan_config_selectorIjEEZZNS1_9scan_implILNS1_25lookback_scan_determinismE0ELb1ELb1ES3_N6thrust23THRUST_200600_302600_NS6detail15normal_iteratorINS9_10device_ptrIjEEEENS9_16discard_iteratorINS9_11use_defaultEEEj11max_functorIjEjEEDaPvRmT3_T4_T5_mT6_P12ihipStream_tbENKUlT_T0_E_clISt17integral_constantIbLb1EESW_IbLb0EEEEDaSS_ST_EUlSS_E0_NS1_11comp_targetILNS1_3genE5ELNS1_11target_archE942ELNS1_3gpuE9ELNS1_3repE0EEENS1_30default_config_static_selectorELNS0_4arch9wavefront6targetE1EEEvT1_, .Lfunc_end3540-_ZN7rocprim17ROCPRIM_400000_NS6detail17trampoline_kernelINS0_14default_configENS1_20scan_config_selectorIjEEZZNS1_9scan_implILNS1_25lookback_scan_determinismE0ELb1ELb1ES3_N6thrust23THRUST_200600_302600_NS6detail15normal_iteratorINS9_10device_ptrIjEEEENS9_16discard_iteratorINS9_11use_defaultEEEj11max_functorIjEjEEDaPvRmT3_T4_T5_mT6_P12ihipStream_tbENKUlT_T0_E_clISt17integral_constantIbLb1EESW_IbLb0EEEEDaSS_ST_EUlSS_E0_NS1_11comp_targetILNS1_3genE5ELNS1_11target_archE942ELNS1_3gpuE9ELNS1_3repE0EEENS1_30default_config_static_selectorELNS0_4arch9wavefront6targetE1EEEvT1_
                                        ; -- End function
	.section	.AMDGPU.csdata,"",@progbits
; Kernel info:
; codeLenInByte = 0
; NumSgprs: 4
; NumVgprs: 0
; NumAgprs: 0
; TotalNumVgprs: 0
; ScratchSize: 0
; MemoryBound: 0
; FloatMode: 240
; IeeeMode: 1
; LDSByteSize: 0 bytes/workgroup (compile time only)
; SGPRBlocks: 0
; VGPRBlocks: 0
; NumSGPRsForWavesPerEU: 4
; NumVGPRsForWavesPerEU: 1
; AccumOffset: 4
; Occupancy: 8
; WaveLimiterHint : 0
; COMPUTE_PGM_RSRC2:SCRATCH_EN: 0
; COMPUTE_PGM_RSRC2:USER_SGPR: 6
; COMPUTE_PGM_RSRC2:TRAP_HANDLER: 0
; COMPUTE_PGM_RSRC2:TGID_X_EN: 1
; COMPUTE_PGM_RSRC2:TGID_Y_EN: 0
; COMPUTE_PGM_RSRC2:TGID_Z_EN: 0
; COMPUTE_PGM_RSRC2:TIDIG_COMP_CNT: 0
; COMPUTE_PGM_RSRC3_GFX90A:ACCUM_OFFSET: 0
; COMPUTE_PGM_RSRC3_GFX90A:TG_SPLIT: 0
	.section	.text._ZN7rocprim17ROCPRIM_400000_NS6detail17trampoline_kernelINS0_14default_configENS1_20scan_config_selectorIjEEZZNS1_9scan_implILNS1_25lookback_scan_determinismE0ELb1ELb1ES3_N6thrust23THRUST_200600_302600_NS6detail15normal_iteratorINS9_10device_ptrIjEEEENS9_16discard_iteratorINS9_11use_defaultEEEj11max_functorIjEjEEDaPvRmT3_T4_T5_mT6_P12ihipStream_tbENKUlT_T0_E_clISt17integral_constantIbLb1EESW_IbLb0EEEEDaSS_ST_EUlSS_E0_NS1_11comp_targetILNS1_3genE4ELNS1_11target_archE910ELNS1_3gpuE8ELNS1_3repE0EEENS1_30default_config_static_selectorELNS0_4arch9wavefront6targetE1EEEvT1_,"axG",@progbits,_ZN7rocprim17ROCPRIM_400000_NS6detail17trampoline_kernelINS0_14default_configENS1_20scan_config_selectorIjEEZZNS1_9scan_implILNS1_25lookback_scan_determinismE0ELb1ELb1ES3_N6thrust23THRUST_200600_302600_NS6detail15normal_iteratorINS9_10device_ptrIjEEEENS9_16discard_iteratorINS9_11use_defaultEEEj11max_functorIjEjEEDaPvRmT3_T4_T5_mT6_P12ihipStream_tbENKUlT_T0_E_clISt17integral_constantIbLb1EESW_IbLb0EEEEDaSS_ST_EUlSS_E0_NS1_11comp_targetILNS1_3genE4ELNS1_11target_archE910ELNS1_3gpuE8ELNS1_3repE0EEENS1_30default_config_static_selectorELNS0_4arch9wavefront6targetE1EEEvT1_,comdat
	.protected	_ZN7rocprim17ROCPRIM_400000_NS6detail17trampoline_kernelINS0_14default_configENS1_20scan_config_selectorIjEEZZNS1_9scan_implILNS1_25lookback_scan_determinismE0ELb1ELb1ES3_N6thrust23THRUST_200600_302600_NS6detail15normal_iteratorINS9_10device_ptrIjEEEENS9_16discard_iteratorINS9_11use_defaultEEEj11max_functorIjEjEEDaPvRmT3_T4_T5_mT6_P12ihipStream_tbENKUlT_T0_E_clISt17integral_constantIbLb1EESW_IbLb0EEEEDaSS_ST_EUlSS_E0_NS1_11comp_targetILNS1_3genE4ELNS1_11target_archE910ELNS1_3gpuE8ELNS1_3repE0EEENS1_30default_config_static_selectorELNS0_4arch9wavefront6targetE1EEEvT1_ ; -- Begin function _ZN7rocprim17ROCPRIM_400000_NS6detail17trampoline_kernelINS0_14default_configENS1_20scan_config_selectorIjEEZZNS1_9scan_implILNS1_25lookback_scan_determinismE0ELb1ELb1ES3_N6thrust23THRUST_200600_302600_NS6detail15normal_iteratorINS9_10device_ptrIjEEEENS9_16discard_iteratorINS9_11use_defaultEEEj11max_functorIjEjEEDaPvRmT3_T4_T5_mT6_P12ihipStream_tbENKUlT_T0_E_clISt17integral_constantIbLb1EESW_IbLb0EEEEDaSS_ST_EUlSS_E0_NS1_11comp_targetILNS1_3genE4ELNS1_11target_archE910ELNS1_3gpuE8ELNS1_3repE0EEENS1_30default_config_static_selectorELNS0_4arch9wavefront6targetE1EEEvT1_
	.globl	_ZN7rocprim17ROCPRIM_400000_NS6detail17trampoline_kernelINS0_14default_configENS1_20scan_config_selectorIjEEZZNS1_9scan_implILNS1_25lookback_scan_determinismE0ELb1ELb1ES3_N6thrust23THRUST_200600_302600_NS6detail15normal_iteratorINS9_10device_ptrIjEEEENS9_16discard_iteratorINS9_11use_defaultEEEj11max_functorIjEjEEDaPvRmT3_T4_T5_mT6_P12ihipStream_tbENKUlT_T0_E_clISt17integral_constantIbLb1EESW_IbLb0EEEEDaSS_ST_EUlSS_E0_NS1_11comp_targetILNS1_3genE4ELNS1_11target_archE910ELNS1_3gpuE8ELNS1_3repE0EEENS1_30default_config_static_selectorELNS0_4arch9wavefront6targetE1EEEvT1_
	.p2align	8
	.type	_ZN7rocprim17ROCPRIM_400000_NS6detail17trampoline_kernelINS0_14default_configENS1_20scan_config_selectorIjEEZZNS1_9scan_implILNS1_25lookback_scan_determinismE0ELb1ELb1ES3_N6thrust23THRUST_200600_302600_NS6detail15normal_iteratorINS9_10device_ptrIjEEEENS9_16discard_iteratorINS9_11use_defaultEEEj11max_functorIjEjEEDaPvRmT3_T4_T5_mT6_P12ihipStream_tbENKUlT_T0_E_clISt17integral_constantIbLb1EESW_IbLb0EEEEDaSS_ST_EUlSS_E0_NS1_11comp_targetILNS1_3genE4ELNS1_11target_archE910ELNS1_3gpuE8ELNS1_3repE0EEENS1_30default_config_static_selectorELNS0_4arch9wavefront6targetE1EEEvT1_,@function
_ZN7rocprim17ROCPRIM_400000_NS6detail17trampoline_kernelINS0_14default_configENS1_20scan_config_selectorIjEEZZNS1_9scan_implILNS1_25lookback_scan_determinismE0ELb1ELb1ES3_N6thrust23THRUST_200600_302600_NS6detail15normal_iteratorINS9_10device_ptrIjEEEENS9_16discard_iteratorINS9_11use_defaultEEEj11max_functorIjEjEEDaPvRmT3_T4_T5_mT6_P12ihipStream_tbENKUlT_T0_E_clISt17integral_constantIbLb1EESW_IbLb0EEEEDaSS_ST_EUlSS_E0_NS1_11comp_targetILNS1_3genE4ELNS1_11target_archE910ELNS1_3gpuE8ELNS1_3repE0EEENS1_30default_config_static_selectorELNS0_4arch9wavefront6targetE1EEEvT1_: ; @_ZN7rocprim17ROCPRIM_400000_NS6detail17trampoline_kernelINS0_14default_configENS1_20scan_config_selectorIjEEZZNS1_9scan_implILNS1_25lookback_scan_determinismE0ELb1ELb1ES3_N6thrust23THRUST_200600_302600_NS6detail15normal_iteratorINS9_10device_ptrIjEEEENS9_16discard_iteratorINS9_11use_defaultEEEj11max_functorIjEjEEDaPvRmT3_T4_T5_mT6_P12ihipStream_tbENKUlT_T0_E_clISt17integral_constantIbLb1EESW_IbLb0EEEEDaSS_ST_EUlSS_E0_NS1_11comp_targetILNS1_3genE4ELNS1_11target_archE910ELNS1_3gpuE8ELNS1_3repE0EEENS1_30default_config_static_selectorELNS0_4arch9wavefront6targetE1EEEvT1_
; %bb.0:
	s_load_dwordx4 s[0:3], s[4:5], 0x0
	v_lshlrev_b32_e32 v1, 2, v0
	s_waitcnt lgkmcnt(0)
	s_load_dword s3, s[0:1], 0x0
	v_cmp_gt_u32_e32 vcc, s2, v0
	s_waitcnt lgkmcnt(0)
	v_mov_b32_e32 v2, s3
	s_and_saveexec_b64 s[6:7], vcc
	s_cbranch_execz .LBB3541_2
; %bb.1:
	global_load_dword v2, v1, s[0:1]
.LBB3541_2:
	s_or_b64 exec, exec, s[6:7]
	v_or_b32_e32 v3, 0x80, v0
	v_cmp_gt_u32_e32 vcc, s2, v3
	v_mov_b32_e32 v3, s3
	s_and_saveexec_b64 s[6:7], vcc
	s_cbranch_execz .LBB3541_4
; %bb.3:
	global_load_dword v3, v1, s[0:1] offset:512
.LBB3541_4:
	s_or_b64 exec, exec, s[6:7]
	v_or_b32_e32 v4, 0x100, v0
	v_cmp_gt_u32_e32 vcc, s2, v4
	v_mov_b32_e32 v4, s3
	s_and_saveexec_b64 s[6:7], vcc
	s_cbranch_execz .LBB3541_6
; %bb.5:
	global_load_dword v4, v1, s[0:1] offset:1024
.LBB3541_6:
	;; [unrolled: 9-line block ×7, first 2 shown]
	s_or_b64 exec, exec, s[6:7]
	v_or_b32_e32 v11, 0x400, v0
	v_cmp_gt_u32_e32 vcc, s2, v11
	v_mov_b32_e32 v10, s3
	s_and_saveexec_b64 s[6:7], vcc
	s_cbranch_execz .LBB3541_18
; %bb.17:
	v_lshlrev_b32_e32 v10, 2, v11
	global_load_dword v10, v10, s[0:1]
.LBB3541_18:
	s_or_b64 exec, exec, s[6:7]
	s_load_dword s4, s[4:5], 0x10
	v_or_b32_e32 v12, 0x480, v0
	v_cmp_gt_u32_e32 vcc, s2, v12
	v_mov_b32_e32 v11, s3
	s_and_saveexec_b64 s[2:3], vcc
	s_cbranch_execz .LBB3541_20
; %bb.19:
	v_lshlrev_b32_e32 v11, 2, v12
	global_load_dword v11, v11, s[0:1]
.LBB3541_20:
	s_or_b64 exec, exec, s[2:3]
	s_waitcnt vmcnt(0)
	ds_write2st64_b32 v1, v2, v3 offset1:2
	ds_write2st64_b32 v1, v4, v5 offset0:4 offset1:6
	ds_write2st64_b32 v1, v6, v7 offset0:8 offset1:10
	;; [unrolled: 1-line block ×4, first 2 shown]
	v_mad_u32_u24 v10, v0, 36, v1
	s_waitcnt lgkmcnt(0)
	s_barrier
	ds_read2_b64 v[6:9], v10 offset1:1
	ds_read2_b64 v[2:5], v10 offset0:2 offset1:3
	ds_read_b64 v[10:11], v10 offset:32
	v_cmp_gt_u32_e32 vcc, 64, v0
	s_waitcnt lgkmcnt(0)
	v_max_u32_e32 v12, v6, v7
	v_max3_u32 v12, v12, v8, v9
	v_max3_u32 v12, v12, v2, v3
	;; [unrolled: 1-line block ×4, first 2 shown]
	v_lshrrev_b32_e32 v12, 3, v0
	v_and_b32_e32 v12, 12, v12
	v_add_u32_e32 v12, v1, v12
	s_barrier
	ds_write_b32 v12, v11
	s_waitcnt lgkmcnt(0)
	s_barrier
	s_and_saveexec_b64 s[0:1], vcc
	s_cbranch_execz .LBB3541_22
; %bb.21:
	v_lshlrev_b32_e32 v12, 1, v0
	v_lshrrev_b32_e32 v13, 4, v0
	v_add_lshl_u32 v14, v13, v12, 2
	ds_read2_b32 v[12:13], v14 offset1:1
	v_mbcnt_lo_u32_b32 v15, -1, 0
	v_mbcnt_hi_u32_b32 v15, -1, v15
	v_and_b32_e32 v16, 15, v15
	v_cmp_eq_u32_e32 vcc, 0, v16
	s_waitcnt lgkmcnt(0)
	v_max_u32_e32 v13, v12, v13
	; wave barrier
	s_nop 1
	v_mov_b32_dpp v17, v13 row_shr:1 row_mask:0xf bank_mask:0xf
	v_max_u32_e32 v17, v17, v13
	v_cndmask_b32_e32 v13, v17, v13, vcc
	v_cmp_lt_u32_e32 vcc, 1, v16
	s_nop 0
	v_mov_b32_dpp v17, v13 row_shr:2 row_mask:0xf bank_mask:0xf
	v_max_u32_e32 v17, v17, v13
	v_cndmask_b32_e32 v13, v13, v17, vcc
	v_cmp_lt_u32_e32 vcc, 3, v16
	;; [unrolled: 5-line block ×3, first 2 shown]
	s_nop 0
	v_mov_b32_dpp v17, v13 row_shr:8 row_mask:0xf bank_mask:0xf
	v_max_u32_e32 v17, v17, v13
	v_cndmask_b32_e32 v13, v13, v17, vcc
	v_and_b32_e32 v17, 16, v15
	v_cmp_eq_u32_e32 vcc, 0, v17
	v_mov_b32_dpp v16, v13 row_bcast:15 row_mask:0xf bank_mask:0xf
	v_max_u32_e32 v16, v16, v13
	v_cndmask_b32_e32 v13, v16, v13, vcc
	v_cmp_lt_u32_e32 vcc, 31, v15
	v_and_b32_e32 v17, 64, v15
	v_mov_b32_dpp v16, v13 row_bcast:31 row_mask:0xf bank_mask:0xf
	v_max_u32_e32 v16, v16, v13
	v_cndmask_b32_e32 v13, v13, v16, vcc
	v_add_u32_e32 v16, -1, v15
	v_cmp_lt_i32_e32 vcc, v16, v17
	v_cndmask_b32_e32 v15, v16, v15, vcc
	v_lshlrev_b32_e32 v15, 2, v15
	ds_bpermute_b32 v13, v15, v13
	v_cmp_eq_u32_e32 vcc, 0, v0
	s_waitcnt lgkmcnt(0)
	v_max_u32_e32 v12, v13, v12
	v_cndmask_b32_e32 v11, v12, v11, vcc
	ds_write_b32 v14, v11
	; wave barrier
	ds_read_b32 v12, v14 offset:4
	s_waitcnt lgkmcnt(0)
	v_max_u32_e32 v11, v11, v12
	ds_write_b32 v14, v11 offset:4
.LBB3541_22:
	s_or_b64 exec, exec, s[0:1]
	v_mul_u32_u24_e32 v11, 36, v0
	v_cmp_ne_u32_e32 vcc, 0, v0
	v_mov_b32_e32 v12, s4
	s_waitcnt lgkmcnt(0)
	s_barrier
	s_and_saveexec_b64 s[0:1], vcc
	s_cbranch_execz .LBB3541_24
; %bb.23:
	v_add_u32_e32 v0, -1, v0
	v_lshrrev_b32_e32 v12, 5, v0
	v_add_lshl_u32 v0, v12, v0, 2
	ds_read_b32 v0, v0
	s_waitcnt lgkmcnt(0)
	v_max_u32_e32 v12, s4, v0
.LBB3541_24:
	s_or_b64 exec, exec, s[0:1]
	v_max_u32_e32 v13, v12, v6
	v_max_u32_e32 v6, v13, v7
	;; [unrolled: 1-line block ×8, first 2 shown]
	v_add_u32_e32 v0, v1, v11
	v_max_u32_e32 v5, v4, v10
	s_barrier
	ds_write2_b64 v0, v[12:13], v[6:7] offset1:1
	ds_write2_b64 v0, v[8:9], v[2:3] offset0:2 offset1:3
	ds_write_b64 v0, v[4:5] offset:32
	s_waitcnt lgkmcnt(0)
	s_barrier
	s_endpgm
	.section	.rodata,"a",@progbits
	.p2align	6, 0x0
	.amdhsa_kernel _ZN7rocprim17ROCPRIM_400000_NS6detail17trampoline_kernelINS0_14default_configENS1_20scan_config_selectorIjEEZZNS1_9scan_implILNS1_25lookback_scan_determinismE0ELb1ELb1ES3_N6thrust23THRUST_200600_302600_NS6detail15normal_iteratorINS9_10device_ptrIjEEEENS9_16discard_iteratorINS9_11use_defaultEEEj11max_functorIjEjEEDaPvRmT3_T4_T5_mT6_P12ihipStream_tbENKUlT_T0_E_clISt17integral_constantIbLb1EESW_IbLb0EEEEDaSS_ST_EUlSS_E0_NS1_11comp_targetILNS1_3genE4ELNS1_11target_archE910ELNS1_3gpuE8ELNS1_3repE0EEENS1_30default_config_static_selectorELNS0_4arch9wavefront6targetE1EEEvT1_
		.amdhsa_group_segment_fixed_size 5120
		.amdhsa_private_segment_fixed_size 0
		.amdhsa_kernarg_size 40
		.amdhsa_user_sgpr_count 6
		.amdhsa_user_sgpr_private_segment_buffer 1
		.amdhsa_user_sgpr_dispatch_ptr 0
		.amdhsa_user_sgpr_queue_ptr 0
		.amdhsa_user_sgpr_kernarg_segment_ptr 1
		.amdhsa_user_sgpr_dispatch_id 0
		.amdhsa_user_sgpr_flat_scratch_init 0
		.amdhsa_user_sgpr_kernarg_preload_length 0
		.amdhsa_user_sgpr_kernarg_preload_offset 0
		.amdhsa_user_sgpr_private_segment_size 0
		.amdhsa_uses_dynamic_stack 0
		.amdhsa_system_sgpr_private_segment_wavefront_offset 0
		.amdhsa_system_sgpr_workgroup_id_x 1
		.amdhsa_system_sgpr_workgroup_id_y 0
		.amdhsa_system_sgpr_workgroup_id_z 0
		.amdhsa_system_sgpr_workgroup_info 0
		.amdhsa_system_vgpr_workitem_id 0
		.amdhsa_next_free_vgpr 18
		.amdhsa_next_free_sgpr 8
		.amdhsa_accum_offset 20
		.amdhsa_reserve_vcc 1
		.amdhsa_reserve_flat_scratch 0
		.amdhsa_float_round_mode_32 0
		.amdhsa_float_round_mode_16_64 0
		.amdhsa_float_denorm_mode_32 3
		.amdhsa_float_denorm_mode_16_64 3
		.amdhsa_dx10_clamp 1
		.amdhsa_ieee_mode 1
		.amdhsa_fp16_overflow 0
		.amdhsa_tg_split 0
		.amdhsa_exception_fp_ieee_invalid_op 0
		.amdhsa_exception_fp_denorm_src 0
		.amdhsa_exception_fp_ieee_div_zero 0
		.amdhsa_exception_fp_ieee_overflow 0
		.amdhsa_exception_fp_ieee_underflow 0
		.amdhsa_exception_fp_ieee_inexact 0
		.amdhsa_exception_int_div_zero 0
	.end_amdhsa_kernel
	.section	.text._ZN7rocprim17ROCPRIM_400000_NS6detail17trampoline_kernelINS0_14default_configENS1_20scan_config_selectorIjEEZZNS1_9scan_implILNS1_25lookback_scan_determinismE0ELb1ELb1ES3_N6thrust23THRUST_200600_302600_NS6detail15normal_iteratorINS9_10device_ptrIjEEEENS9_16discard_iteratorINS9_11use_defaultEEEj11max_functorIjEjEEDaPvRmT3_T4_T5_mT6_P12ihipStream_tbENKUlT_T0_E_clISt17integral_constantIbLb1EESW_IbLb0EEEEDaSS_ST_EUlSS_E0_NS1_11comp_targetILNS1_3genE4ELNS1_11target_archE910ELNS1_3gpuE8ELNS1_3repE0EEENS1_30default_config_static_selectorELNS0_4arch9wavefront6targetE1EEEvT1_,"axG",@progbits,_ZN7rocprim17ROCPRIM_400000_NS6detail17trampoline_kernelINS0_14default_configENS1_20scan_config_selectorIjEEZZNS1_9scan_implILNS1_25lookback_scan_determinismE0ELb1ELb1ES3_N6thrust23THRUST_200600_302600_NS6detail15normal_iteratorINS9_10device_ptrIjEEEENS9_16discard_iteratorINS9_11use_defaultEEEj11max_functorIjEjEEDaPvRmT3_T4_T5_mT6_P12ihipStream_tbENKUlT_T0_E_clISt17integral_constantIbLb1EESW_IbLb0EEEEDaSS_ST_EUlSS_E0_NS1_11comp_targetILNS1_3genE4ELNS1_11target_archE910ELNS1_3gpuE8ELNS1_3repE0EEENS1_30default_config_static_selectorELNS0_4arch9wavefront6targetE1EEEvT1_,comdat
.Lfunc_end3541:
	.size	_ZN7rocprim17ROCPRIM_400000_NS6detail17trampoline_kernelINS0_14default_configENS1_20scan_config_selectorIjEEZZNS1_9scan_implILNS1_25lookback_scan_determinismE0ELb1ELb1ES3_N6thrust23THRUST_200600_302600_NS6detail15normal_iteratorINS9_10device_ptrIjEEEENS9_16discard_iteratorINS9_11use_defaultEEEj11max_functorIjEjEEDaPvRmT3_T4_T5_mT6_P12ihipStream_tbENKUlT_T0_E_clISt17integral_constantIbLb1EESW_IbLb0EEEEDaSS_ST_EUlSS_E0_NS1_11comp_targetILNS1_3genE4ELNS1_11target_archE910ELNS1_3gpuE8ELNS1_3repE0EEENS1_30default_config_static_selectorELNS0_4arch9wavefront6targetE1EEEvT1_, .Lfunc_end3541-_ZN7rocprim17ROCPRIM_400000_NS6detail17trampoline_kernelINS0_14default_configENS1_20scan_config_selectorIjEEZZNS1_9scan_implILNS1_25lookback_scan_determinismE0ELb1ELb1ES3_N6thrust23THRUST_200600_302600_NS6detail15normal_iteratorINS9_10device_ptrIjEEEENS9_16discard_iteratorINS9_11use_defaultEEEj11max_functorIjEjEEDaPvRmT3_T4_T5_mT6_P12ihipStream_tbENKUlT_T0_E_clISt17integral_constantIbLb1EESW_IbLb0EEEEDaSS_ST_EUlSS_E0_NS1_11comp_targetILNS1_3genE4ELNS1_11target_archE910ELNS1_3gpuE8ELNS1_3repE0EEENS1_30default_config_static_selectorELNS0_4arch9wavefront6targetE1EEEvT1_
                                        ; -- End function
	.section	.AMDGPU.csdata,"",@progbits
; Kernel info:
; codeLenInByte = 980
; NumSgprs: 12
; NumVgprs: 18
; NumAgprs: 0
; TotalNumVgprs: 18
; ScratchSize: 0
; MemoryBound: 0
; FloatMode: 240
; IeeeMode: 1
; LDSByteSize: 5120 bytes/workgroup (compile time only)
; SGPRBlocks: 1
; VGPRBlocks: 2
; NumSGPRsForWavesPerEU: 12
; NumVGPRsForWavesPerEU: 18
; AccumOffset: 20
; Occupancy: 6
; WaveLimiterHint : 0
; COMPUTE_PGM_RSRC2:SCRATCH_EN: 0
; COMPUTE_PGM_RSRC2:USER_SGPR: 6
; COMPUTE_PGM_RSRC2:TRAP_HANDLER: 0
; COMPUTE_PGM_RSRC2:TGID_X_EN: 1
; COMPUTE_PGM_RSRC2:TGID_Y_EN: 0
; COMPUTE_PGM_RSRC2:TGID_Z_EN: 0
; COMPUTE_PGM_RSRC2:TIDIG_COMP_CNT: 0
; COMPUTE_PGM_RSRC3_GFX90A:ACCUM_OFFSET: 4
; COMPUTE_PGM_RSRC3_GFX90A:TG_SPLIT: 0
	.section	.text._ZN7rocprim17ROCPRIM_400000_NS6detail17trampoline_kernelINS0_14default_configENS1_20scan_config_selectorIjEEZZNS1_9scan_implILNS1_25lookback_scan_determinismE0ELb1ELb1ES3_N6thrust23THRUST_200600_302600_NS6detail15normal_iteratorINS9_10device_ptrIjEEEENS9_16discard_iteratorINS9_11use_defaultEEEj11max_functorIjEjEEDaPvRmT3_T4_T5_mT6_P12ihipStream_tbENKUlT_T0_E_clISt17integral_constantIbLb1EESW_IbLb0EEEEDaSS_ST_EUlSS_E0_NS1_11comp_targetILNS1_3genE3ELNS1_11target_archE908ELNS1_3gpuE7ELNS1_3repE0EEENS1_30default_config_static_selectorELNS0_4arch9wavefront6targetE1EEEvT1_,"axG",@progbits,_ZN7rocprim17ROCPRIM_400000_NS6detail17trampoline_kernelINS0_14default_configENS1_20scan_config_selectorIjEEZZNS1_9scan_implILNS1_25lookback_scan_determinismE0ELb1ELb1ES3_N6thrust23THRUST_200600_302600_NS6detail15normal_iteratorINS9_10device_ptrIjEEEENS9_16discard_iteratorINS9_11use_defaultEEEj11max_functorIjEjEEDaPvRmT3_T4_T5_mT6_P12ihipStream_tbENKUlT_T0_E_clISt17integral_constantIbLb1EESW_IbLb0EEEEDaSS_ST_EUlSS_E0_NS1_11comp_targetILNS1_3genE3ELNS1_11target_archE908ELNS1_3gpuE7ELNS1_3repE0EEENS1_30default_config_static_selectorELNS0_4arch9wavefront6targetE1EEEvT1_,comdat
	.protected	_ZN7rocprim17ROCPRIM_400000_NS6detail17trampoline_kernelINS0_14default_configENS1_20scan_config_selectorIjEEZZNS1_9scan_implILNS1_25lookback_scan_determinismE0ELb1ELb1ES3_N6thrust23THRUST_200600_302600_NS6detail15normal_iteratorINS9_10device_ptrIjEEEENS9_16discard_iteratorINS9_11use_defaultEEEj11max_functorIjEjEEDaPvRmT3_T4_T5_mT6_P12ihipStream_tbENKUlT_T0_E_clISt17integral_constantIbLb1EESW_IbLb0EEEEDaSS_ST_EUlSS_E0_NS1_11comp_targetILNS1_3genE3ELNS1_11target_archE908ELNS1_3gpuE7ELNS1_3repE0EEENS1_30default_config_static_selectorELNS0_4arch9wavefront6targetE1EEEvT1_ ; -- Begin function _ZN7rocprim17ROCPRIM_400000_NS6detail17trampoline_kernelINS0_14default_configENS1_20scan_config_selectorIjEEZZNS1_9scan_implILNS1_25lookback_scan_determinismE0ELb1ELb1ES3_N6thrust23THRUST_200600_302600_NS6detail15normal_iteratorINS9_10device_ptrIjEEEENS9_16discard_iteratorINS9_11use_defaultEEEj11max_functorIjEjEEDaPvRmT3_T4_T5_mT6_P12ihipStream_tbENKUlT_T0_E_clISt17integral_constantIbLb1EESW_IbLb0EEEEDaSS_ST_EUlSS_E0_NS1_11comp_targetILNS1_3genE3ELNS1_11target_archE908ELNS1_3gpuE7ELNS1_3repE0EEENS1_30default_config_static_selectorELNS0_4arch9wavefront6targetE1EEEvT1_
	.globl	_ZN7rocprim17ROCPRIM_400000_NS6detail17trampoline_kernelINS0_14default_configENS1_20scan_config_selectorIjEEZZNS1_9scan_implILNS1_25lookback_scan_determinismE0ELb1ELb1ES3_N6thrust23THRUST_200600_302600_NS6detail15normal_iteratorINS9_10device_ptrIjEEEENS9_16discard_iteratorINS9_11use_defaultEEEj11max_functorIjEjEEDaPvRmT3_T4_T5_mT6_P12ihipStream_tbENKUlT_T0_E_clISt17integral_constantIbLb1EESW_IbLb0EEEEDaSS_ST_EUlSS_E0_NS1_11comp_targetILNS1_3genE3ELNS1_11target_archE908ELNS1_3gpuE7ELNS1_3repE0EEENS1_30default_config_static_selectorELNS0_4arch9wavefront6targetE1EEEvT1_
	.p2align	8
	.type	_ZN7rocprim17ROCPRIM_400000_NS6detail17trampoline_kernelINS0_14default_configENS1_20scan_config_selectorIjEEZZNS1_9scan_implILNS1_25lookback_scan_determinismE0ELb1ELb1ES3_N6thrust23THRUST_200600_302600_NS6detail15normal_iteratorINS9_10device_ptrIjEEEENS9_16discard_iteratorINS9_11use_defaultEEEj11max_functorIjEjEEDaPvRmT3_T4_T5_mT6_P12ihipStream_tbENKUlT_T0_E_clISt17integral_constantIbLb1EESW_IbLb0EEEEDaSS_ST_EUlSS_E0_NS1_11comp_targetILNS1_3genE3ELNS1_11target_archE908ELNS1_3gpuE7ELNS1_3repE0EEENS1_30default_config_static_selectorELNS0_4arch9wavefront6targetE1EEEvT1_,@function
_ZN7rocprim17ROCPRIM_400000_NS6detail17trampoline_kernelINS0_14default_configENS1_20scan_config_selectorIjEEZZNS1_9scan_implILNS1_25lookback_scan_determinismE0ELb1ELb1ES3_N6thrust23THRUST_200600_302600_NS6detail15normal_iteratorINS9_10device_ptrIjEEEENS9_16discard_iteratorINS9_11use_defaultEEEj11max_functorIjEjEEDaPvRmT3_T4_T5_mT6_P12ihipStream_tbENKUlT_T0_E_clISt17integral_constantIbLb1EESW_IbLb0EEEEDaSS_ST_EUlSS_E0_NS1_11comp_targetILNS1_3genE3ELNS1_11target_archE908ELNS1_3gpuE7ELNS1_3repE0EEENS1_30default_config_static_selectorELNS0_4arch9wavefront6targetE1EEEvT1_: ; @_ZN7rocprim17ROCPRIM_400000_NS6detail17trampoline_kernelINS0_14default_configENS1_20scan_config_selectorIjEEZZNS1_9scan_implILNS1_25lookback_scan_determinismE0ELb1ELb1ES3_N6thrust23THRUST_200600_302600_NS6detail15normal_iteratorINS9_10device_ptrIjEEEENS9_16discard_iteratorINS9_11use_defaultEEEj11max_functorIjEjEEDaPvRmT3_T4_T5_mT6_P12ihipStream_tbENKUlT_T0_E_clISt17integral_constantIbLb1EESW_IbLb0EEEEDaSS_ST_EUlSS_E0_NS1_11comp_targetILNS1_3genE3ELNS1_11target_archE908ELNS1_3gpuE7ELNS1_3repE0EEENS1_30default_config_static_selectorELNS0_4arch9wavefront6targetE1EEEvT1_
; %bb.0:
	.section	.rodata,"a",@progbits
	.p2align	6, 0x0
	.amdhsa_kernel _ZN7rocprim17ROCPRIM_400000_NS6detail17trampoline_kernelINS0_14default_configENS1_20scan_config_selectorIjEEZZNS1_9scan_implILNS1_25lookback_scan_determinismE0ELb1ELb1ES3_N6thrust23THRUST_200600_302600_NS6detail15normal_iteratorINS9_10device_ptrIjEEEENS9_16discard_iteratorINS9_11use_defaultEEEj11max_functorIjEjEEDaPvRmT3_T4_T5_mT6_P12ihipStream_tbENKUlT_T0_E_clISt17integral_constantIbLb1EESW_IbLb0EEEEDaSS_ST_EUlSS_E0_NS1_11comp_targetILNS1_3genE3ELNS1_11target_archE908ELNS1_3gpuE7ELNS1_3repE0EEENS1_30default_config_static_selectorELNS0_4arch9wavefront6targetE1EEEvT1_
		.amdhsa_group_segment_fixed_size 0
		.amdhsa_private_segment_fixed_size 0
		.amdhsa_kernarg_size 40
		.amdhsa_user_sgpr_count 6
		.amdhsa_user_sgpr_private_segment_buffer 1
		.amdhsa_user_sgpr_dispatch_ptr 0
		.amdhsa_user_sgpr_queue_ptr 0
		.amdhsa_user_sgpr_kernarg_segment_ptr 1
		.amdhsa_user_sgpr_dispatch_id 0
		.amdhsa_user_sgpr_flat_scratch_init 0
		.amdhsa_user_sgpr_kernarg_preload_length 0
		.amdhsa_user_sgpr_kernarg_preload_offset 0
		.amdhsa_user_sgpr_private_segment_size 0
		.amdhsa_uses_dynamic_stack 0
		.amdhsa_system_sgpr_private_segment_wavefront_offset 0
		.amdhsa_system_sgpr_workgroup_id_x 1
		.amdhsa_system_sgpr_workgroup_id_y 0
		.amdhsa_system_sgpr_workgroup_id_z 0
		.amdhsa_system_sgpr_workgroup_info 0
		.amdhsa_system_vgpr_workitem_id 0
		.amdhsa_next_free_vgpr 1
		.amdhsa_next_free_sgpr 0
		.amdhsa_accum_offset 4
		.amdhsa_reserve_vcc 0
		.amdhsa_reserve_flat_scratch 0
		.amdhsa_float_round_mode_32 0
		.amdhsa_float_round_mode_16_64 0
		.amdhsa_float_denorm_mode_32 3
		.amdhsa_float_denorm_mode_16_64 3
		.amdhsa_dx10_clamp 1
		.amdhsa_ieee_mode 1
		.amdhsa_fp16_overflow 0
		.amdhsa_tg_split 0
		.amdhsa_exception_fp_ieee_invalid_op 0
		.amdhsa_exception_fp_denorm_src 0
		.amdhsa_exception_fp_ieee_div_zero 0
		.amdhsa_exception_fp_ieee_overflow 0
		.amdhsa_exception_fp_ieee_underflow 0
		.amdhsa_exception_fp_ieee_inexact 0
		.amdhsa_exception_int_div_zero 0
	.end_amdhsa_kernel
	.section	.text._ZN7rocprim17ROCPRIM_400000_NS6detail17trampoline_kernelINS0_14default_configENS1_20scan_config_selectorIjEEZZNS1_9scan_implILNS1_25lookback_scan_determinismE0ELb1ELb1ES3_N6thrust23THRUST_200600_302600_NS6detail15normal_iteratorINS9_10device_ptrIjEEEENS9_16discard_iteratorINS9_11use_defaultEEEj11max_functorIjEjEEDaPvRmT3_T4_T5_mT6_P12ihipStream_tbENKUlT_T0_E_clISt17integral_constantIbLb1EESW_IbLb0EEEEDaSS_ST_EUlSS_E0_NS1_11comp_targetILNS1_3genE3ELNS1_11target_archE908ELNS1_3gpuE7ELNS1_3repE0EEENS1_30default_config_static_selectorELNS0_4arch9wavefront6targetE1EEEvT1_,"axG",@progbits,_ZN7rocprim17ROCPRIM_400000_NS6detail17trampoline_kernelINS0_14default_configENS1_20scan_config_selectorIjEEZZNS1_9scan_implILNS1_25lookback_scan_determinismE0ELb1ELb1ES3_N6thrust23THRUST_200600_302600_NS6detail15normal_iteratorINS9_10device_ptrIjEEEENS9_16discard_iteratorINS9_11use_defaultEEEj11max_functorIjEjEEDaPvRmT3_T4_T5_mT6_P12ihipStream_tbENKUlT_T0_E_clISt17integral_constantIbLb1EESW_IbLb0EEEEDaSS_ST_EUlSS_E0_NS1_11comp_targetILNS1_3genE3ELNS1_11target_archE908ELNS1_3gpuE7ELNS1_3repE0EEENS1_30default_config_static_selectorELNS0_4arch9wavefront6targetE1EEEvT1_,comdat
.Lfunc_end3542:
	.size	_ZN7rocprim17ROCPRIM_400000_NS6detail17trampoline_kernelINS0_14default_configENS1_20scan_config_selectorIjEEZZNS1_9scan_implILNS1_25lookback_scan_determinismE0ELb1ELb1ES3_N6thrust23THRUST_200600_302600_NS6detail15normal_iteratorINS9_10device_ptrIjEEEENS9_16discard_iteratorINS9_11use_defaultEEEj11max_functorIjEjEEDaPvRmT3_T4_T5_mT6_P12ihipStream_tbENKUlT_T0_E_clISt17integral_constantIbLb1EESW_IbLb0EEEEDaSS_ST_EUlSS_E0_NS1_11comp_targetILNS1_3genE3ELNS1_11target_archE908ELNS1_3gpuE7ELNS1_3repE0EEENS1_30default_config_static_selectorELNS0_4arch9wavefront6targetE1EEEvT1_, .Lfunc_end3542-_ZN7rocprim17ROCPRIM_400000_NS6detail17trampoline_kernelINS0_14default_configENS1_20scan_config_selectorIjEEZZNS1_9scan_implILNS1_25lookback_scan_determinismE0ELb1ELb1ES3_N6thrust23THRUST_200600_302600_NS6detail15normal_iteratorINS9_10device_ptrIjEEEENS9_16discard_iteratorINS9_11use_defaultEEEj11max_functorIjEjEEDaPvRmT3_T4_T5_mT6_P12ihipStream_tbENKUlT_T0_E_clISt17integral_constantIbLb1EESW_IbLb0EEEEDaSS_ST_EUlSS_E0_NS1_11comp_targetILNS1_3genE3ELNS1_11target_archE908ELNS1_3gpuE7ELNS1_3repE0EEENS1_30default_config_static_selectorELNS0_4arch9wavefront6targetE1EEEvT1_
                                        ; -- End function
	.section	.AMDGPU.csdata,"",@progbits
; Kernel info:
; codeLenInByte = 0
; NumSgprs: 4
; NumVgprs: 0
; NumAgprs: 0
; TotalNumVgprs: 0
; ScratchSize: 0
; MemoryBound: 0
; FloatMode: 240
; IeeeMode: 1
; LDSByteSize: 0 bytes/workgroup (compile time only)
; SGPRBlocks: 0
; VGPRBlocks: 0
; NumSGPRsForWavesPerEU: 4
; NumVGPRsForWavesPerEU: 1
; AccumOffset: 4
; Occupancy: 8
; WaveLimiterHint : 0
; COMPUTE_PGM_RSRC2:SCRATCH_EN: 0
; COMPUTE_PGM_RSRC2:USER_SGPR: 6
; COMPUTE_PGM_RSRC2:TRAP_HANDLER: 0
; COMPUTE_PGM_RSRC2:TGID_X_EN: 1
; COMPUTE_PGM_RSRC2:TGID_Y_EN: 0
; COMPUTE_PGM_RSRC2:TGID_Z_EN: 0
; COMPUTE_PGM_RSRC2:TIDIG_COMP_CNT: 0
; COMPUTE_PGM_RSRC3_GFX90A:ACCUM_OFFSET: 0
; COMPUTE_PGM_RSRC3_GFX90A:TG_SPLIT: 0
	.section	.text._ZN7rocprim17ROCPRIM_400000_NS6detail17trampoline_kernelINS0_14default_configENS1_20scan_config_selectorIjEEZZNS1_9scan_implILNS1_25lookback_scan_determinismE0ELb1ELb1ES3_N6thrust23THRUST_200600_302600_NS6detail15normal_iteratorINS9_10device_ptrIjEEEENS9_16discard_iteratorINS9_11use_defaultEEEj11max_functorIjEjEEDaPvRmT3_T4_T5_mT6_P12ihipStream_tbENKUlT_T0_E_clISt17integral_constantIbLb1EESW_IbLb0EEEEDaSS_ST_EUlSS_E0_NS1_11comp_targetILNS1_3genE2ELNS1_11target_archE906ELNS1_3gpuE6ELNS1_3repE0EEENS1_30default_config_static_selectorELNS0_4arch9wavefront6targetE1EEEvT1_,"axG",@progbits,_ZN7rocprim17ROCPRIM_400000_NS6detail17trampoline_kernelINS0_14default_configENS1_20scan_config_selectorIjEEZZNS1_9scan_implILNS1_25lookback_scan_determinismE0ELb1ELb1ES3_N6thrust23THRUST_200600_302600_NS6detail15normal_iteratorINS9_10device_ptrIjEEEENS9_16discard_iteratorINS9_11use_defaultEEEj11max_functorIjEjEEDaPvRmT3_T4_T5_mT6_P12ihipStream_tbENKUlT_T0_E_clISt17integral_constantIbLb1EESW_IbLb0EEEEDaSS_ST_EUlSS_E0_NS1_11comp_targetILNS1_3genE2ELNS1_11target_archE906ELNS1_3gpuE6ELNS1_3repE0EEENS1_30default_config_static_selectorELNS0_4arch9wavefront6targetE1EEEvT1_,comdat
	.protected	_ZN7rocprim17ROCPRIM_400000_NS6detail17trampoline_kernelINS0_14default_configENS1_20scan_config_selectorIjEEZZNS1_9scan_implILNS1_25lookback_scan_determinismE0ELb1ELb1ES3_N6thrust23THRUST_200600_302600_NS6detail15normal_iteratorINS9_10device_ptrIjEEEENS9_16discard_iteratorINS9_11use_defaultEEEj11max_functorIjEjEEDaPvRmT3_T4_T5_mT6_P12ihipStream_tbENKUlT_T0_E_clISt17integral_constantIbLb1EESW_IbLb0EEEEDaSS_ST_EUlSS_E0_NS1_11comp_targetILNS1_3genE2ELNS1_11target_archE906ELNS1_3gpuE6ELNS1_3repE0EEENS1_30default_config_static_selectorELNS0_4arch9wavefront6targetE1EEEvT1_ ; -- Begin function _ZN7rocprim17ROCPRIM_400000_NS6detail17trampoline_kernelINS0_14default_configENS1_20scan_config_selectorIjEEZZNS1_9scan_implILNS1_25lookback_scan_determinismE0ELb1ELb1ES3_N6thrust23THRUST_200600_302600_NS6detail15normal_iteratorINS9_10device_ptrIjEEEENS9_16discard_iteratorINS9_11use_defaultEEEj11max_functorIjEjEEDaPvRmT3_T4_T5_mT6_P12ihipStream_tbENKUlT_T0_E_clISt17integral_constantIbLb1EESW_IbLb0EEEEDaSS_ST_EUlSS_E0_NS1_11comp_targetILNS1_3genE2ELNS1_11target_archE906ELNS1_3gpuE6ELNS1_3repE0EEENS1_30default_config_static_selectorELNS0_4arch9wavefront6targetE1EEEvT1_
	.globl	_ZN7rocprim17ROCPRIM_400000_NS6detail17trampoline_kernelINS0_14default_configENS1_20scan_config_selectorIjEEZZNS1_9scan_implILNS1_25lookback_scan_determinismE0ELb1ELb1ES3_N6thrust23THRUST_200600_302600_NS6detail15normal_iteratorINS9_10device_ptrIjEEEENS9_16discard_iteratorINS9_11use_defaultEEEj11max_functorIjEjEEDaPvRmT3_T4_T5_mT6_P12ihipStream_tbENKUlT_T0_E_clISt17integral_constantIbLb1EESW_IbLb0EEEEDaSS_ST_EUlSS_E0_NS1_11comp_targetILNS1_3genE2ELNS1_11target_archE906ELNS1_3gpuE6ELNS1_3repE0EEENS1_30default_config_static_selectorELNS0_4arch9wavefront6targetE1EEEvT1_
	.p2align	8
	.type	_ZN7rocprim17ROCPRIM_400000_NS6detail17trampoline_kernelINS0_14default_configENS1_20scan_config_selectorIjEEZZNS1_9scan_implILNS1_25lookback_scan_determinismE0ELb1ELb1ES3_N6thrust23THRUST_200600_302600_NS6detail15normal_iteratorINS9_10device_ptrIjEEEENS9_16discard_iteratorINS9_11use_defaultEEEj11max_functorIjEjEEDaPvRmT3_T4_T5_mT6_P12ihipStream_tbENKUlT_T0_E_clISt17integral_constantIbLb1EESW_IbLb0EEEEDaSS_ST_EUlSS_E0_NS1_11comp_targetILNS1_3genE2ELNS1_11target_archE906ELNS1_3gpuE6ELNS1_3repE0EEENS1_30default_config_static_selectorELNS0_4arch9wavefront6targetE1EEEvT1_,@function
_ZN7rocprim17ROCPRIM_400000_NS6detail17trampoline_kernelINS0_14default_configENS1_20scan_config_selectorIjEEZZNS1_9scan_implILNS1_25lookback_scan_determinismE0ELb1ELb1ES3_N6thrust23THRUST_200600_302600_NS6detail15normal_iteratorINS9_10device_ptrIjEEEENS9_16discard_iteratorINS9_11use_defaultEEEj11max_functorIjEjEEDaPvRmT3_T4_T5_mT6_P12ihipStream_tbENKUlT_T0_E_clISt17integral_constantIbLb1EESW_IbLb0EEEEDaSS_ST_EUlSS_E0_NS1_11comp_targetILNS1_3genE2ELNS1_11target_archE906ELNS1_3gpuE6ELNS1_3repE0EEENS1_30default_config_static_selectorELNS0_4arch9wavefront6targetE1EEEvT1_: ; @_ZN7rocprim17ROCPRIM_400000_NS6detail17trampoline_kernelINS0_14default_configENS1_20scan_config_selectorIjEEZZNS1_9scan_implILNS1_25lookback_scan_determinismE0ELb1ELb1ES3_N6thrust23THRUST_200600_302600_NS6detail15normal_iteratorINS9_10device_ptrIjEEEENS9_16discard_iteratorINS9_11use_defaultEEEj11max_functorIjEjEEDaPvRmT3_T4_T5_mT6_P12ihipStream_tbENKUlT_T0_E_clISt17integral_constantIbLb1EESW_IbLb0EEEEDaSS_ST_EUlSS_E0_NS1_11comp_targetILNS1_3genE2ELNS1_11target_archE906ELNS1_3gpuE6ELNS1_3repE0EEENS1_30default_config_static_selectorELNS0_4arch9wavefront6targetE1EEEvT1_
; %bb.0:
	.section	.rodata,"a",@progbits
	.p2align	6, 0x0
	.amdhsa_kernel _ZN7rocprim17ROCPRIM_400000_NS6detail17trampoline_kernelINS0_14default_configENS1_20scan_config_selectorIjEEZZNS1_9scan_implILNS1_25lookback_scan_determinismE0ELb1ELb1ES3_N6thrust23THRUST_200600_302600_NS6detail15normal_iteratorINS9_10device_ptrIjEEEENS9_16discard_iteratorINS9_11use_defaultEEEj11max_functorIjEjEEDaPvRmT3_T4_T5_mT6_P12ihipStream_tbENKUlT_T0_E_clISt17integral_constantIbLb1EESW_IbLb0EEEEDaSS_ST_EUlSS_E0_NS1_11comp_targetILNS1_3genE2ELNS1_11target_archE906ELNS1_3gpuE6ELNS1_3repE0EEENS1_30default_config_static_selectorELNS0_4arch9wavefront6targetE1EEEvT1_
		.amdhsa_group_segment_fixed_size 0
		.amdhsa_private_segment_fixed_size 0
		.amdhsa_kernarg_size 40
		.amdhsa_user_sgpr_count 6
		.amdhsa_user_sgpr_private_segment_buffer 1
		.amdhsa_user_sgpr_dispatch_ptr 0
		.amdhsa_user_sgpr_queue_ptr 0
		.amdhsa_user_sgpr_kernarg_segment_ptr 1
		.amdhsa_user_sgpr_dispatch_id 0
		.amdhsa_user_sgpr_flat_scratch_init 0
		.amdhsa_user_sgpr_kernarg_preload_length 0
		.amdhsa_user_sgpr_kernarg_preload_offset 0
		.amdhsa_user_sgpr_private_segment_size 0
		.amdhsa_uses_dynamic_stack 0
		.amdhsa_system_sgpr_private_segment_wavefront_offset 0
		.amdhsa_system_sgpr_workgroup_id_x 1
		.amdhsa_system_sgpr_workgroup_id_y 0
		.amdhsa_system_sgpr_workgroup_id_z 0
		.amdhsa_system_sgpr_workgroup_info 0
		.amdhsa_system_vgpr_workitem_id 0
		.amdhsa_next_free_vgpr 1
		.amdhsa_next_free_sgpr 0
		.amdhsa_accum_offset 4
		.amdhsa_reserve_vcc 0
		.amdhsa_reserve_flat_scratch 0
		.amdhsa_float_round_mode_32 0
		.amdhsa_float_round_mode_16_64 0
		.amdhsa_float_denorm_mode_32 3
		.amdhsa_float_denorm_mode_16_64 3
		.amdhsa_dx10_clamp 1
		.amdhsa_ieee_mode 1
		.amdhsa_fp16_overflow 0
		.amdhsa_tg_split 0
		.amdhsa_exception_fp_ieee_invalid_op 0
		.amdhsa_exception_fp_denorm_src 0
		.amdhsa_exception_fp_ieee_div_zero 0
		.amdhsa_exception_fp_ieee_overflow 0
		.amdhsa_exception_fp_ieee_underflow 0
		.amdhsa_exception_fp_ieee_inexact 0
		.amdhsa_exception_int_div_zero 0
	.end_amdhsa_kernel
	.section	.text._ZN7rocprim17ROCPRIM_400000_NS6detail17trampoline_kernelINS0_14default_configENS1_20scan_config_selectorIjEEZZNS1_9scan_implILNS1_25lookback_scan_determinismE0ELb1ELb1ES3_N6thrust23THRUST_200600_302600_NS6detail15normal_iteratorINS9_10device_ptrIjEEEENS9_16discard_iteratorINS9_11use_defaultEEEj11max_functorIjEjEEDaPvRmT3_T4_T5_mT6_P12ihipStream_tbENKUlT_T0_E_clISt17integral_constantIbLb1EESW_IbLb0EEEEDaSS_ST_EUlSS_E0_NS1_11comp_targetILNS1_3genE2ELNS1_11target_archE906ELNS1_3gpuE6ELNS1_3repE0EEENS1_30default_config_static_selectorELNS0_4arch9wavefront6targetE1EEEvT1_,"axG",@progbits,_ZN7rocprim17ROCPRIM_400000_NS6detail17trampoline_kernelINS0_14default_configENS1_20scan_config_selectorIjEEZZNS1_9scan_implILNS1_25lookback_scan_determinismE0ELb1ELb1ES3_N6thrust23THRUST_200600_302600_NS6detail15normal_iteratorINS9_10device_ptrIjEEEENS9_16discard_iteratorINS9_11use_defaultEEEj11max_functorIjEjEEDaPvRmT3_T4_T5_mT6_P12ihipStream_tbENKUlT_T0_E_clISt17integral_constantIbLb1EESW_IbLb0EEEEDaSS_ST_EUlSS_E0_NS1_11comp_targetILNS1_3genE2ELNS1_11target_archE906ELNS1_3gpuE6ELNS1_3repE0EEENS1_30default_config_static_selectorELNS0_4arch9wavefront6targetE1EEEvT1_,comdat
.Lfunc_end3543:
	.size	_ZN7rocprim17ROCPRIM_400000_NS6detail17trampoline_kernelINS0_14default_configENS1_20scan_config_selectorIjEEZZNS1_9scan_implILNS1_25lookback_scan_determinismE0ELb1ELb1ES3_N6thrust23THRUST_200600_302600_NS6detail15normal_iteratorINS9_10device_ptrIjEEEENS9_16discard_iteratorINS9_11use_defaultEEEj11max_functorIjEjEEDaPvRmT3_T4_T5_mT6_P12ihipStream_tbENKUlT_T0_E_clISt17integral_constantIbLb1EESW_IbLb0EEEEDaSS_ST_EUlSS_E0_NS1_11comp_targetILNS1_3genE2ELNS1_11target_archE906ELNS1_3gpuE6ELNS1_3repE0EEENS1_30default_config_static_selectorELNS0_4arch9wavefront6targetE1EEEvT1_, .Lfunc_end3543-_ZN7rocprim17ROCPRIM_400000_NS6detail17trampoline_kernelINS0_14default_configENS1_20scan_config_selectorIjEEZZNS1_9scan_implILNS1_25lookback_scan_determinismE0ELb1ELb1ES3_N6thrust23THRUST_200600_302600_NS6detail15normal_iteratorINS9_10device_ptrIjEEEENS9_16discard_iteratorINS9_11use_defaultEEEj11max_functorIjEjEEDaPvRmT3_T4_T5_mT6_P12ihipStream_tbENKUlT_T0_E_clISt17integral_constantIbLb1EESW_IbLb0EEEEDaSS_ST_EUlSS_E0_NS1_11comp_targetILNS1_3genE2ELNS1_11target_archE906ELNS1_3gpuE6ELNS1_3repE0EEENS1_30default_config_static_selectorELNS0_4arch9wavefront6targetE1EEEvT1_
                                        ; -- End function
	.section	.AMDGPU.csdata,"",@progbits
; Kernel info:
; codeLenInByte = 0
; NumSgprs: 4
; NumVgprs: 0
; NumAgprs: 0
; TotalNumVgprs: 0
; ScratchSize: 0
; MemoryBound: 0
; FloatMode: 240
; IeeeMode: 1
; LDSByteSize: 0 bytes/workgroup (compile time only)
; SGPRBlocks: 0
; VGPRBlocks: 0
; NumSGPRsForWavesPerEU: 4
; NumVGPRsForWavesPerEU: 1
; AccumOffset: 4
; Occupancy: 8
; WaveLimiterHint : 0
; COMPUTE_PGM_RSRC2:SCRATCH_EN: 0
; COMPUTE_PGM_RSRC2:USER_SGPR: 6
; COMPUTE_PGM_RSRC2:TRAP_HANDLER: 0
; COMPUTE_PGM_RSRC2:TGID_X_EN: 1
; COMPUTE_PGM_RSRC2:TGID_Y_EN: 0
; COMPUTE_PGM_RSRC2:TGID_Z_EN: 0
; COMPUTE_PGM_RSRC2:TIDIG_COMP_CNT: 0
; COMPUTE_PGM_RSRC3_GFX90A:ACCUM_OFFSET: 0
; COMPUTE_PGM_RSRC3_GFX90A:TG_SPLIT: 0
	.section	.text._ZN7rocprim17ROCPRIM_400000_NS6detail17trampoline_kernelINS0_14default_configENS1_20scan_config_selectorIjEEZZNS1_9scan_implILNS1_25lookback_scan_determinismE0ELb1ELb1ES3_N6thrust23THRUST_200600_302600_NS6detail15normal_iteratorINS9_10device_ptrIjEEEENS9_16discard_iteratorINS9_11use_defaultEEEj11max_functorIjEjEEDaPvRmT3_T4_T5_mT6_P12ihipStream_tbENKUlT_T0_E_clISt17integral_constantIbLb1EESW_IbLb0EEEEDaSS_ST_EUlSS_E0_NS1_11comp_targetILNS1_3genE10ELNS1_11target_archE1201ELNS1_3gpuE5ELNS1_3repE0EEENS1_30default_config_static_selectorELNS0_4arch9wavefront6targetE1EEEvT1_,"axG",@progbits,_ZN7rocprim17ROCPRIM_400000_NS6detail17trampoline_kernelINS0_14default_configENS1_20scan_config_selectorIjEEZZNS1_9scan_implILNS1_25lookback_scan_determinismE0ELb1ELb1ES3_N6thrust23THRUST_200600_302600_NS6detail15normal_iteratorINS9_10device_ptrIjEEEENS9_16discard_iteratorINS9_11use_defaultEEEj11max_functorIjEjEEDaPvRmT3_T4_T5_mT6_P12ihipStream_tbENKUlT_T0_E_clISt17integral_constantIbLb1EESW_IbLb0EEEEDaSS_ST_EUlSS_E0_NS1_11comp_targetILNS1_3genE10ELNS1_11target_archE1201ELNS1_3gpuE5ELNS1_3repE0EEENS1_30default_config_static_selectorELNS0_4arch9wavefront6targetE1EEEvT1_,comdat
	.protected	_ZN7rocprim17ROCPRIM_400000_NS6detail17trampoline_kernelINS0_14default_configENS1_20scan_config_selectorIjEEZZNS1_9scan_implILNS1_25lookback_scan_determinismE0ELb1ELb1ES3_N6thrust23THRUST_200600_302600_NS6detail15normal_iteratorINS9_10device_ptrIjEEEENS9_16discard_iteratorINS9_11use_defaultEEEj11max_functorIjEjEEDaPvRmT3_T4_T5_mT6_P12ihipStream_tbENKUlT_T0_E_clISt17integral_constantIbLb1EESW_IbLb0EEEEDaSS_ST_EUlSS_E0_NS1_11comp_targetILNS1_3genE10ELNS1_11target_archE1201ELNS1_3gpuE5ELNS1_3repE0EEENS1_30default_config_static_selectorELNS0_4arch9wavefront6targetE1EEEvT1_ ; -- Begin function _ZN7rocprim17ROCPRIM_400000_NS6detail17trampoline_kernelINS0_14default_configENS1_20scan_config_selectorIjEEZZNS1_9scan_implILNS1_25lookback_scan_determinismE0ELb1ELb1ES3_N6thrust23THRUST_200600_302600_NS6detail15normal_iteratorINS9_10device_ptrIjEEEENS9_16discard_iteratorINS9_11use_defaultEEEj11max_functorIjEjEEDaPvRmT3_T4_T5_mT6_P12ihipStream_tbENKUlT_T0_E_clISt17integral_constantIbLb1EESW_IbLb0EEEEDaSS_ST_EUlSS_E0_NS1_11comp_targetILNS1_3genE10ELNS1_11target_archE1201ELNS1_3gpuE5ELNS1_3repE0EEENS1_30default_config_static_selectorELNS0_4arch9wavefront6targetE1EEEvT1_
	.globl	_ZN7rocprim17ROCPRIM_400000_NS6detail17trampoline_kernelINS0_14default_configENS1_20scan_config_selectorIjEEZZNS1_9scan_implILNS1_25lookback_scan_determinismE0ELb1ELb1ES3_N6thrust23THRUST_200600_302600_NS6detail15normal_iteratorINS9_10device_ptrIjEEEENS9_16discard_iteratorINS9_11use_defaultEEEj11max_functorIjEjEEDaPvRmT3_T4_T5_mT6_P12ihipStream_tbENKUlT_T0_E_clISt17integral_constantIbLb1EESW_IbLb0EEEEDaSS_ST_EUlSS_E0_NS1_11comp_targetILNS1_3genE10ELNS1_11target_archE1201ELNS1_3gpuE5ELNS1_3repE0EEENS1_30default_config_static_selectorELNS0_4arch9wavefront6targetE1EEEvT1_
	.p2align	8
	.type	_ZN7rocprim17ROCPRIM_400000_NS6detail17trampoline_kernelINS0_14default_configENS1_20scan_config_selectorIjEEZZNS1_9scan_implILNS1_25lookback_scan_determinismE0ELb1ELb1ES3_N6thrust23THRUST_200600_302600_NS6detail15normal_iteratorINS9_10device_ptrIjEEEENS9_16discard_iteratorINS9_11use_defaultEEEj11max_functorIjEjEEDaPvRmT3_T4_T5_mT6_P12ihipStream_tbENKUlT_T0_E_clISt17integral_constantIbLb1EESW_IbLb0EEEEDaSS_ST_EUlSS_E0_NS1_11comp_targetILNS1_3genE10ELNS1_11target_archE1201ELNS1_3gpuE5ELNS1_3repE0EEENS1_30default_config_static_selectorELNS0_4arch9wavefront6targetE1EEEvT1_,@function
_ZN7rocprim17ROCPRIM_400000_NS6detail17trampoline_kernelINS0_14default_configENS1_20scan_config_selectorIjEEZZNS1_9scan_implILNS1_25lookback_scan_determinismE0ELb1ELb1ES3_N6thrust23THRUST_200600_302600_NS6detail15normal_iteratorINS9_10device_ptrIjEEEENS9_16discard_iteratorINS9_11use_defaultEEEj11max_functorIjEjEEDaPvRmT3_T4_T5_mT6_P12ihipStream_tbENKUlT_T0_E_clISt17integral_constantIbLb1EESW_IbLb0EEEEDaSS_ST_EUlSS_E0_NS1_11comp_targetILNS1_3genE10ELNS1_11target_archE1201ELNS1_3gpuE5ELNS1_3repE0EEENS1_30default_config_static_selectorELNS0_4arch9wavefront6targetE1EEEvT1_: ; @_ZN7rocprim17ROCPRIM_400000_NS6detail17trampoline_kernelINS0_14default_configENS1_20scan_config_selectorIjEEZZNS1_9scan_implILNS1_25lookback_scan_determinismE0ELb1ELb1ES3_N6thrust23THRUST_200600_302600_NS6detail15normal_iteratorINS9_10device_ptrIjEEEENS9_16discard_iteratorINS9_11use_defaultEEEj11max_functorIjEjEEDaPvRmT3_T4_T5_mT6_P12ihipStream_tbENKUlT_T0_E_clISt17integral_constantIbLb1EESW_IbLb0EEEEDaSS_ST_EUlSS_E0_NS1_11comp_targetILNS1_3genE10ELNS1_11target_archE1201ELNS1_3gpuE5ELNS1_3repE0EEENS1_30default_config_static_selectorELNS0_4arch9wavefront6targetE1EEEvT1_
; %bb.0:
	.section	.rodata,"a",@progbits
	.p2align	6, 0x0
	.amdhsa_kernel _ZN7rocprim17ROCPRIM_400000_NS6detail17trampoline_kernelINS0_14default_configENS1_20scan_config_selectorIjEEZZNS1_9scan_implILNS1_25lookback_scan_determinismE0ELb1ELb1ES3_N6thrust23THRUST_200600_302600_NS6detail15normal_iteratorINS9_10device_ptrIjEEEENS9_16discard_iteratorINS9_11use_defaultEEEj11max_functorIjEjEEDaPvRmT3_T4_T5_mT6_P12ihipStream_tbENKUlT_T0_E_clISt17integral_constantIbLb1EESW_IbLb0EEEEDaSS_ST_EUlSS_E0_NS1_11comp_targetILNS1_3genE10ELNS1_11target_archE1201ELNS1_3gpuE5ELNS1_3repE0EEENS1_30default_config_static_selectorELNS0_4arch9wavefront6targetE1EEEvT1_
		.amdhsa_group_segment_fixed_size 0
		.amdhsa_private_segment_fixed_size 0
		.amdhsa_kernarg_size 40
		.amdhsa_user_sgpr_count 6
		.amdhsa_user_sgpr_private_segment_buffer 1
		.amdhsa_user_sgpr_dispatch_ptr 0
		.amdhsa_user_sgpr_queue_ptr 0
		.amdhsa_user_sgpr_kernarg_segment_ptr 1
		.amdhsa_user_sgpr_dispatch_id 0
		.amdhsa_user_sgpr_flat_scratch_init 0
		.amdhsa_user_sgpr_kernarg_preload_length 0
		.amdhsa_user_sgpr_kernarg_preload_offset 0
		.amdhsa_user_sgpr_private_segment_size 0
		.amdhsa_uses_dynamic_stack 0
		.amdhsa_system_sgpr_private_segment_wavefront_offset 0
		.amdhsa_system_sgpr_workgroup_id_x 1
		.amdhsa_system_sgpr_workgroup_id_y 0
		.amdhsa_system_sgpr_workgroup_id_z 0
		.amdhsa_system_sgpr_workgroup_info 0
		.amdhsa_system_vgpr_workitem_id 0
		.amdhsa_next_free_vgpr 1
		.amdhsa_next_free_sgpr 0
		.amdhsa_accum_offset 4
		.amdhsa_reserve_vcc 0
		.amdhsa_reserve_flat_scratch 0
		.amdhsa_float_round_mode_32 0
		.amdhsa_float_round_mode_16_64 0
		.amdhsa_float_denorm_mode_32 3
		.amdhsa_float_denorm_mode_16_64 3
		.amdhsa_dx10_clamp 1
		.amdhsa_ieee_mode 1
		.amdhsa_fp16_overflow 0
		.amdhsa_tg_split 0
		.amdhsa_exception_fp_ieee_invalid_op 0
		.amdhsa_exception_fp_denorm_src 0
		.amdhsa_exception_fp_ieee_div_zero 0
		.amdhsa_exception_fp_ieee_overflow 0
		.amdhsa_exception_fp_ieee_underflow 0
		.amdhsa_exception_fp_ieee_inexact 0
		.amdhsa_exception_int_div_zero 0
	.end_amdhsa_kernel
	.section	.text._ZN7rocprim17ROCPRIM_400000_NS6detail17trampoline_kernelINS0_14default_configENS1_20scan_config_selectorIjEEZZNS1_9scan_implILNS1_25lookback_scan_determinismE0ELb1ELb1ES3_N6thrust23THRUST_200600_302600_NS6detail15normal_iteratorINS9_10device_ptrIjEEEENS9_16discard_iteratorINS9_11use_defaultEEEj11max_functorIjEjEEDaPvRmT3_T4_T5_mT6_P12ihipStream_tbENKUlT_T0_E_clISt17integral_constantIbLb1EESW_IbLb0EEEEDaSS_ST_EUlSS_E0_NS1_11comp_targetILNS1_3genE10ELNS1_11target_archE1201ELNS1_3gpuE5ELNS1_3repE0EEENS1_30default_config_static_selectorELNS0_4arch9wavefront6targetE1EEEvT1_,"axG",@progbits,_ZN7rocprim17ROCPRIM_400000_NS6detail17trampoline_kernelINS0_14default_configENS1_20scan_config_selectorIjEEZZNS1_9scan_implILNS1_25lookback_scan_determinismE0ELb1ELb1ES3_N6thrust23THRUST_200600_302600_NS6detail15normal_iteratorINS9_10device_ptrIjEEEENS9_16discard_iteratorINS9_11use_defaultEEEj11max_functorIjEjEEDaPvRmT3_T4_T5_mT6_P12ihipStream_tbENKUlT_T0_E_clISt17integral_constantIbLb1EESW_IbLb0EEEEDaSS_ST_EUlSS_E0_NS1_11comp_targetILNS1_3genE10ELNS1_11target_archE1201ELNS1_3gpuE5ELNS1_3repE0EEENS1_30default_config_static_selectorELNS0_4arch9wavefront6targetE1EEEvT1_,comdat
.Lfunc_end3544:
	.size	_ZN7rocprim17ROCPRIM_400000_NS6detail17trampoline_kernelINS0_14default_configENS1_20scan_config_selectorIjEEZZNS1_9scan_implILNS1_25lookback_scan_determinismE0ELb1ELb1ES3_N6thrust23THRUST_200600_302600_NS6detail15normal_iteratorINS9_10device_ptrIjEEEENS9_16discard_iteratorINS9_11use_defaultEEEj11max_functorIjEjEEDaPvRmT3_T4_T5_mT6_P12ihipStream_tbENKUlT_T0_E_clISt17integral_constantIbLb1EESW_IbLb0EEEEDaSS_ST_EUlSS_E0_NS1_11comp_targetILNS1_3genE10ELNS1_11target_archE1201ELNS1_3gpuE5ELNS1_3repE0EEENS1_30default_config_static_selectorELNS0_4arch9wavefront6targetE1EEEvT1_, .Lfunc_end3544-_ZN7rocprim17ROCPRIM_400000_NS6detail17trampoline_kernelINS0_14default_configENS1_20scan_config_selectorIjEEZZNS1_9scan_implILNS1_25lookback_scan_determinismE0ELb1ELb1ES3_N6thrust23THRUST_200600_302600_NS6detail15normal_iteratorINS9_10device_ptrIjEEEENS9_16discard_iteratorINS9_11use_defaultEEEj11max_functorIjEjEEDaPvRmT3_T4_T5_mT6_P12ihipStream_tbENKUlT_T0_E_clISt17integral_constantIbLb1EESW_IbLb0EEEEDaSS_ST_EUlSS_E0_NS1_11comp_targetILNS1_3genE10ELNS1_11target_archE1201ELNS1_3gpuE5ELNS1_3repE0EEENS1_30default_config_static_selectorELNS0_4arch9wavefront6targetE1EEEvT1_
                                        ; -- End function
	.section	.AMDGPU.csdata,"",@progbits
; Kernel info:
; codeLenInByte = 0
; NumSgprs: 4
; NumVgprs: 0
; NumAgprs: 0
; TotalNumVgprs: 0
; ScratchSize: 0
; MemoryBound: 0
; FloatMode: 240
; IeeeMode: 1
; LDSByteSize: 0 bytes/workgroup (compile time only)
; SGPRBlocks: 0
; VGPRBlocks: 0
; NumSGPRsForWavesPerEU: 4
; NumVGPRsForWavesPerEU: 1
; AccumOffset: 4
; Occupancy: 8
; WaveLimiterHint : 0
; COMPUTE_PGM_RSRC2:SCRATCH_EN: 0
; COMPUTE_PGM_RSRC2:USER_SGPR: 6
; COMPUTE_PGM_RSRC2:TRAP_HANDLER: 0
; COMPUTE_PGM_RSRC2:TGID_X_EN: 1
; COMPUTE_PGM_RSRC2:TGID_Y_EN: 0
; COMPUTE_PGM_RSRC2:TGID_Z_EN: 0
; COMPUTE_PGM_RSRC2:TIDIG_COMP_CNT: 0
; COMPUTE_PGM_RSRC3_GFX90A:ACCUM_OFFSET: 0
; COMPUTE_PGM_RSRC3_GFX90A:TG_SPLIT: 0
	.section	.text._ZN7rocprim17ROCPRIM_400000_NS6detail17trampoline_kernelINS0_14default_configENS1_20scan_config_selectorIjEEZZNS1_9scan_implILNS1_25lookback_scan_determinismE0ELb1ELb1ES3_N6thrust23THRUST_200600_302600_NS6detail15normal_iteratorINS9_10device_ptrIjEEEENS9_16discard_iteratorINS9_11use_defaultEEEj11max_functorIjEjEEDaPvRmT3_T4_T5_mT6_P12ihipStream_tbENKUlT_T0_E_clISt17integral_constantIbLb1EESW_IbLb0EEEEDaSS_ST_EUlSS_E0_NS1_11comp_targetILNS1_3genE10ELNS1_11target_archE1200ELNS1_3gpuE4ELNS1_3repE0EEENS1_30default_config_static_selectorELNS0_4arch9wavefront6targetE1EEEvT1_,"axG",@progbits,_ZN7rocprim17ROCPRIM_400000_NS6detail17trampoline_kernelINS0_14default_configENS1_20scan_config_selectorIjEEZZNS1_9scan_implILNS1_25lookback_scan_determinismE0ELb1ELb1ES3_N6thrust23THRUST_200600_302600_NS6detail15normal_iteratorINS9_10device_ptrIjEEEENS9_16discard_iteratorINS9_11use_defaultEEEj11max_functorIjEjEEDaPvRmT3_T4_T5_mT6_P12ihipStream_tbENKUlT_T0_E_clISt17integral_constantIbLb1EESW_IbLb0EEEEDaSS_ST_EUlSS_E0_NS1_11comp_targetILNS1_3genE10ELNS1_11target_archE1200ELNS1_3gpuE4ELNS1_3repE0EEENS1_30default_config_static_selectorELNS0_4arch9wavefront6targetE1EEEvT1_,comdat
	.protected	_ZN7rocprim17ROCPRIM_400000_NS6detail17trampoline_kernelINS0_14default_configENS1_20scan_config_selectorIjEEZZNS1_9scan_implILNS1_25lookback_scan_determinismE0ELb1ELb1ES3_N6thrust23THRUST_200600_302600_NS6detail15normal_iteratorINS9_10device_ptrIjEEEENS9_16discard_iteratorINS9_11use_defaultEEEj11max_functorIjEjEEDaPvRmT3_T4_T5_mT6_P12ihipStream_tbENKUlT_T0_E_clISt17integral_constantIbLb1EESW_IbLb0EEEEDaSS_ST_EUlSS_E0_NS1_11comp_targetILNS1_3genE10ELNS1_11target_archE1200ELNS1_3gpuE4ELNS1_3repE0EEENS1_30default_config_static_selectorELNS0_4arch9wavefront6targetE1EEEvT1_ ; -- Begin function _ZN7rocprim17ROCPRIM_400000_NS6detail17trampoline_kernelINS0_14default_configENS1_20scan_config_selectorIjEEZZNS1_9scan_implILNS1_25lookback_scan_determinismE0ELb1ELb1ES3_N6thrust23THRUST_200600_302600_NS6detail15normal_iteratorINS9_10device_ptrIjEEEENS9_16discard_iteratorINS9_11use_defaultEEEj11max_functorIjEjEEDaPvRmT3_T4_T5_mT6_P12ihipStream_tbENKUlT_T0_E_clISt17integral_constantIbLb1EESW_IbLb0EEEEDaSS_ST_EUlSS_E0_NS1_11comp_targetILNS1_3genE10ELNS1_11target_archE1200ELNS1_3gpuE4ELNS1_3repE0EEENS1_30default_config_static_selectorELNS0_4arch9wavefront6targetE1EEEvT1_
	.globl	_ZN7rocprim17ROCPRIM_400000_NS6detail17trampoline_kernelINS0_14default_configENS1_20scan_config_selectorIjEEZZNS1_9scan_implILNS1_25lookback_scan_determinismE0ELb1ELb1ES3_N6thrust23THRUST_200600_302600_NS6detail15normal_iteratorINS9_10device_ptrIjEEEENS9_16discard_iteratorINS9_11use_defaultEEEj11max_functorIjEjEEDaPvRmT3_T4_T5_mT6_P12ihipStream_tbENKUlT_T0_E_clISt17integral_constantIbLb1EESW_IbLb0EEEEDaSS_ST_EUlSS_E0_NS1_11comp_targetILNS1_3genE10ELNS1_11target_archE1200ELNS1_3gpuE4ELNS1_3repE0EEENS1_30default_config_static_selectorELNS0_4arch9wavefront6targetE1EEEvT1_
	.p2align	8
	.type	_ZN7rocprim17ROCPRIM_400000_NS6detail17trampoline_kernelINS0_14default_configENS1_20scan_config_selectorIjEEZZNS1_9scan_implILNS1_25lookback_scan_determinismE0ELb1ELb1ES3_N6thrust23THRUST_200600_302600_NS6detail15normal_iteratorINS9_10device_ptrIjEEEENS9_16discard_iteratorINS9_11use_defaultEEEj11max_functorIjEjEEDaPvRmT3_T4_T5_mT6_P12ihipStream_tbENKUlT_T0_E_clISt17integral_constantIbLb1EESW_IbLb0EEEEDaSS_ST_EUlSS_E0_NS1_11comp_targetILNS1_3genE10ELNS1_11target_archE1200ELNS1_3gpuE4ELNS1_3repE0EEENS1_30default_config_static_selectorELNS0_4arch9wavefront6targetE1EEEvT1_,@function
_ZN7rocprim17ROCPRIM_400000_NS6detail17trampoline_kernelINS0_14default_configENS1_20scan_config_selectorIjEEZZNS1_9scan_implILNS1_25lookback_scan_determinismE0ELb1ELb1ES3_N6thrust23THRUST_200600_302600_NS6detail15normal_iteratorINS9_10device_ptrIjEEEENS9_16discard_iteratorINS9_11use_defaultEEEj11max_functorIjEjEEDaPvRmT3_T4_T5_mT6_P12ihipStream_tbENKUlT_T0_E_clISt17integral_constantIbLb1EESW_IbLb0EEEEDaSS_ST_EUlSS_E0_NS1_11comp_targetILNS1_3genE10ELNS1_11target_archE1200ELNS1_3gpuE4ELNS1_3repE0EEENS1_30default_config_static_selectorELNS0_4arch9wavefront6targetE1EEEvT1_: ; @_ZN7rocprim17ROCPRIM_400000_NS6detail17trampoline_kernelINS0_14default_configENS1_20scan_config_selectorIjEEZZNS1_9scan_implILNS1_25lookback_scan_determinismE0ELb1ELb1ES3_N6thrust23THRUST_200600_302600_NS6detail15normal_iteratorINS9_10device_ptrIjEEEENS9_16discard_iteratorINS9_11use_defaultEEEj11max_functorIjEjEEDaPvRmT3_T4_T5_mT6_P12ihipStream_tbENKUlT_T0_E_clISt17integral_constantIbLb1EESW_IbLb0EEEEDaSS_ST_EUlSS_E0_NS1_11comp_targetILNS1_3genE10ELNS1_11target_archE1200ELNS1_3gpuE4ELNS1_3repE0EEENS1_30default_config_static_selectorELNS0_4arch9wavefront6targetE1EEEvT1_
; %bb.0:
	.section	.rodata,"a",@progbits
	.p2align	6, 0x0
	.amdhsa_kernel _ZN7rocprim17ROCPRIM_400000_NS6detail17trampoline_kernelINS0_14default_configENS1_20scan_config_selectorIjEEZZNS1_9scan_implILNS1_25lookback_scan_determinismE0ELb1ELb1ES3_N6thrust23THRUST_200600_302600_NS6detail15normal_iteratorINS9_10device_ptrIjEEEENS9_16discard_iteratorINS9_11use_defaultEEEj11max_functorIjEjEEDaPvRmT3_T4_T5_mT6_P12ihipStream_tbENKUlT_T0_E_clISt17integral_constantIbLb1EESW_IbLb0EEEEDaSS_ST_EUlSS_E0_NS1_11comp_targetILNS1_3genE10ELNS1_11target_archE1200ELNS1_3gpuE4ELNS1_3repE0EEENS1_30default_config_static_selectorELNS0_4arch9wavefront6targetE1EEEvT1_
		.amdhsa_group_segment_fixed_size 0
		.amdhsa_private_segment_fixed_size 0
		.amdhsa_kernarg_size 40
		.amdhsa_user_sgpr_count 6
		.amdhsa_user_sgpr_private_segment_buffer 1
		.amdhsa_user_sgpr_dispatch_ptr 0
		.amdhsa_user_sgpr_queue_ptr 0
		.amdhsa_user_sgpr_kernarg_segment_ptr 1
		.amdhsa_user_sgpr_dispatch_id 0
		.amdhsa_user_sgpr_flat_scratch_init 0
		.amdhsa_user_sgpr_kernarg_preload_length 0
		.amdhsa_user_sgpr_kernarg_preload_offset 0
		.amdhsa_user_sgpr_private_segment_size 0
		.amdhsa_uses_dynamic_stack 0
		.amdhsa_system_sgpr_private_segment_wavefront_offset 0
		.amdhsa_system_sgpr_workgroup_id_x 1
		.amdhsa_system_sgpr_workgroup_id_y 0
		.amdhsa_system_sgpr_workgroup_id_z 0
		.amdhsa_system_sgpr_workgroup_info 0
		.amdhsa_system_vgpr_workitem_id 0
		.amdhsa_next_free_vgpr 1
		.amdhsa_next_free_sgpr 0
		.amdhsa_accum_offset 4
		.amdhsa_reserve_vcc 0
		.amdhsa_reserve_flat_scratch 0
		.amdhsa_float_round_mode_32 0
		.amdhsa_float_round_mode_16_64 0
		.amdhsa_float_denorm_mode_32 3
		.amdhsa_float_denorm_mode_16_64 3
		.amdhsa_dx10_clamp 1
		.amdhsa_ieee_mode 1
		.amdhsa_fp16_overflow 0
		.amdhsa_tg_split 0
		.amdhsa_exception_fp_ieee_invalid_op 0
		.amdhsa_exception_fp_denorm_src 0
		.amdhsa_exception_fp_ieee_div_zero 0
		.amdhsa_exception_fp_ieee_overflow 0
		.amdhsa_exception_fp_ieee_underflow 0
		.amdhsa_exception_fp_ieee_inexact 0
		.amdhsa_exception_int_div_zero 0
	.end_amdhsa_kernel
	.section	.text._ZN7rocprim17ROCPRIM_400000_NS6detail17trampoline_kernelINS0_14default_configENS1_20scan_config_selectorIjEEZZNS1_9scan_implILNS1_25lookback_scan_determinismE0ELb1ELb1ES3_N6thrust23THRUST_200600_302600_NS6detail15normal_iteratorINS9_10device_ptrIjEEEENS9_16discard_iteratorINS9_11use_defaultEEEj11max_functorIjEjEEDaPvRmT3_T4_T5_mT6_P12ihipStream_tbENKUlT_T0_E_clISt17integral_constantIbLb1EESW_IbLb0EEEEDaSS_ST_EUlSS_E0_NS1_11comp_targetILNS1_3genE10ELNS1_11target_archE1200ELNS1_3gpuE4ELNS1_3repE0EEENS1_30default_config_static_selectorELNS0_4arch9wavefront6targetE1EEEvT1_,"axG",@progbits,_ZN7rocprim17ROCPRIM_400000_NS6detail17trampoline_kernelINS0_14default_configENS1_20scan_config_selectorIjEEZZNS1_9scan_implILNS1_25lookback_scan_determinismE0ELb1ELb1ES3_N6thrust23THRUST_200600_302600_NS6detail15normal_iteratorINS9_10device_ptrIjEEEENS9_16discard_iteratorINS9_11use_defaultEEEj11max_functorIjEjEEDaPvRmT3_T4_T5_mT6_P12ihipStream_tbENKUlT_T0_E_clISt17integral_constantIbLb1EESW_IbLb0EEEEDaSS_ST_EUlSS_E0_NS1_11comp_targetILNS1_3genE10ELNS1_11target_archE1200ELNS1_3gpuE4ELNS1_3repE0EEENS1_30default_config_static_selectorELNS0_4arch9wavefront6targetE1EEEvT1_,comdat
.Lfunc_end3545:
	.size	_ZN7rocprim17ROCPRIM_400000_NS6detail17trampoline_kernelINS0_14default_configENS1_20scan_config_selectorIjEEZZNS1_9scan_implILNS1_25lookback_scan_determinismE0ELb1ELb1ES3_N6thrust23THRUST_200600_302600_NS6detail15normal_iteratorINS9_10device_ptrIjEEEENS9_16discard_iteratorINS9_11use_defaultEEEj11max_functorIjEjEEDaPvRmT3_T4_T5_mT6_P12ihipStream_tbENKUlT_T0_E_clISt17integral_constantIbLb1EESW_IbLb0EEEEDaSS_ST_EUlSS_E0_NS1_11comp_targetILNS1_3genE10ELNS1_11target_archE1200ELNS1_3gpuE4ELNS1_3repE0EEENS1_30default_config_static_selectorELNS0_4arch9wavefront6targetE1EEEvT1_, .Lfunc_end3545-_ZN7rocprim17ROCPRIM_400000_NS6detail17trampoline_kernelINS0_14default_configENS1_20scan_config_selectorIjEEZZNS1_9scan_implILNS1_25lookback_scan_determinismE0ELb1ELb1ES3_N6thrust23THRUST_200600_302600_NS6detail15normal_iteratorINS9_10device_ptrIjEEEENS9_16discard_iteratorINS9_11use_defaultEEEj11max_functorIjEjEEDaPvRmT3_T4_T5_mT6_P12ihipStream_tbENKUlT_T0_E_clISt17integral_constantIbLb1EESW_IbLb0EEEEDaSS_ST_EUlSS_E0_NS1_11comp_targetILNS1_3genE10ELNS1_11target_archE1200ELNS1_3gpuE4ELNS1_3repE0EEENS1_30default_config_static_selectorELNS0_4arch9wavefront6targetE1EEEvT1_
                                        ; -- End function
	.section	.AMDGPU.csdata,"",@progbits
; Kernel info:
; codeLenInByte = 0
; NumSgprs: 4
; NumVgprs: 0
; NumAgprs: 0
; TotalNumVgprs: 0
; ScratchSize: 0
; MemoryBound: 0
; FloatMode: 240
; IeeeMode: 1
; LDSByteSize: 0 bytes/workgroup (compile time only)
; SGPRBlocks: 0
; VGPRBlocks: 0
; NumSGPRsForWavesPerEU: 4
; NumVGPRsForWavesPerEU: 1
; AccumOffset: 4
; Occupancy: 8
; WaveLimiterHint : 0
; COMPUTE_PGM_RSRC2:SCRATCH_EN: 0
; COMPUTE_PGM_RSRC2:USER_SGPR: 6
; COMPUTE_PGM_RSRC2:TRAP_HANDLER: 0
; COMPUTE_PGM_RSRC2:TGID_X_EN: 1
; COMPUTE_PGM_RSRC2:TGID_Y_EN: 0
; COMPUTE_PGM_RSRC2:TGID_Z_EN: 0
; COMPUTE_PGM_RSRC2:TIDIG_COMP_CNT: 0
; COMPUTE_PGM_RSRC3_GFX90A:ACCUM_OFFSET: 0
; COMPUTE_PGM_RSRC3_GFX90A:TG_SPLIT: 0
	.section	.text._ZN7rocprim17ROCPRIM_400000_NS6detail17trampoline_kernelINS0_14default_configENS1_20scan_config_selectorIjEEZZNS1_9scan_implILNS1_25lookback_scan_determinismE0ELb1ELb1ES3_N6thrust23THRUST_200600_302600_NS6detail15normal_iteratorINS9_10device_ptrIjEEEENS9_16discard_iteratorINS9_11use_defaultEEEj11max_functorIjEjEEDaPvRmT3_T4_T5_mT6_P12ihipStream_tbENKUlT_T0_E_clISt17integral_constantIbLb1EESW_IbLb0EEEEDaSS_ST_EUlSS_E0_NS1_11comp_targetILNS1_3genE9ELNS1_11target_archE1100ELNS1_3gpuE3ELNS1_3repE0EEENS1_30default_config_static_selectorELNS0_4arch9wavefront6targetE1EEEvT1_,"axG",@progbits,_ZN7rocprim17ROCPRIM_400000_NS6detail17trampoline_kernelINS0_14default_configENS1_20scan_config_selectorIjEEZZNS1_9scan_implILNS1_25lookback_scan_determinismE0ELb1ELb1ES3_N6thrust23THRUST_200600_302600_NS6detail15normal_iteratorINS9_10device_ptrIjEEEENS9_16discard_iteratorINS9_11use_defaultEEEj11max_functorIjEjEEDaPvRmT3_T4_T5_mT6_P12ihipStream_tbENKUlT_T0_E_clISt17integral_constantIbLb1EESW_IbLb0EEEEDaSS_ST_EUlSS_E0_NS1_11comp_targetILNS1_3genE9ELNS1_11target_archE1100ELNS1_3gpuE3ELNS1_3repE0EEENS1_30default_config_static_selectorELNS0_4arch9wavefront6targetE1EEEvT1_,comdat
	.protected	_ZN7rocprim17ROCPRIM_400000_NS6detail17trampoline_kernelINS0_14default_configENS1_20scan_config_selectorIjEEZZNS1_9scan_implILNS1_25lookback_scan_determinismE0ELb1ELb1ES3_N6thrust23THRUST_200600_302600_NS6detail15normal_iteratorINS9_10device_ptrIjEEEENS9_16discard_iteratorINS9_11use_defaultEEEj11max_functorIjEjEEDaPvRmT3_T4_T5_mT6_P12ihipStream_tbENKUlT_T0_E_clISt17integral_constantIbLb1EESW_IbLb0EEEEDaSS_ST_EUlSS_E0_NS1_11comp_targetILNS1_3genE9ELNS1_11target_archE1100ELNS1_3gpuE3ELNS1_3repE0EEENS1_30default_config_static_selectorELNS0_4arch9wavefront6targetE1EEEvT1_ ; -- Begin function _ZN7rocprim17ROCPRIM_400000_NS6detail17trampoline_kernelINS0_14default_configENS1_20scan_config_selectorIjEEZZNS1_9scan_implILNS1_25lookback_scan_determinismE0ELb1ELb1ES3_N6thrust23THRUST_200600_302600_NS6detail15normal_iteratorINS9_10device_ptrIjEEEENS9_16discard_iteratorINS9_11use_defaultEEEj11max_functorIjEjEEDaPvRmT3_T4_T5_mT6_P12ihipStream_tbENKUlT_T0_E_clISt17integral_constantIbLb1EESW_IbLb0EEEEDaSS_ST_EUlSS_E0_NS1_11comp_targetILNS1_3genE9ELNS1_11target_archE1100ELNS1_3gpuE3ELNS1_3repE0EEENS1_30default_config_static_selectorELNS0_4arch9wavefront6targetE1EEEvT1_
	.globl	_ZN7rocprim17ROCPRIM_400000_NS6detail17trampoline_kernelINS0_14default_configENS1_20scan_config_selectorIjEEZZNS1_9scan_implILNS1_25lookback_scan_determinismE0ELb1ELb1ES3_N6thrust23THRUST_200600_302600_NS6detail15normal_iteratorINS9_10device_ptrIjEEEENS9_16discard_iteratorINS9_11use_defaultEEEj11max_functorIjEjEEDaPvRmT3_T4_T5_mT6_P12ihipStream_tbENKUlT_T0_E_clISt17integral_constantIbLb1EESW_IbLb0EEEEDaSS_ST_EUlSS_E0_NS1_11comp_targetILNS1_3genE9ELNS1_11target_archE1100ELNS1_3gpuE3ELNS1_3repE0EEENS1_30default_config_static_selectorELNS0_4arch9wavefront6targetE1EEEvT1_
	.p2align	8
	.type	_ZN7rocprim17ROCPRIM_400000_NS6detail17trampoline_kernelINS0_14default_configENS1_20scan_config_selectorIjEEZZNS1_9scan_implILNS1_25lookback_scan_determinismE0ELb1ELb1ES3_N6thrust23THRUST_200600_302600_NS6detail15normal_iteratorINS9_10device_ptrIjEEEENS9_16discard_iteratorINS9_11use_defaultEEEj11max_functorIjEjEEDaPvRmT3_T4_T5_mT6_P12ihipStream_tbENKUlT_T0_E_clISt17integral_constantIbLb1EESW_IbLb0EEEEDaSS_ST_EUlSS_E0_NS1_11comp_targetILNS1_3genE9ELNS1_11target_archE1100ELNS1_3gpuE3ELNS1_3repE0EEENS1_30default_config_static_selectorELNS0_4arch9wavefront6targetE1EEEvT1_,@function
_ZN7rocprim17ROCPRIM_400000_NS6detail17trampoline_kernelINS0_14default_configENS1_20scan_config_selectorIjEEZZNS1_9scan_implILNS1_25lookback_scan_determinismE0ELb1ELb1ES3_N6thrust23THRUST_200600_302600_NS6detail15normal_iteratorINS9_10device_ptrIjEEEENS9_16discard_iteratorINS9_11use_defaultEEEj11max_functorIjEjEEDaPvRmT3_T4_T5_mT6_P12ihipStream_tbENKUlT_T0_E_clISt17integral_constantIbLb1EESW_IbLb0EEEEDaSS_ST_EUlSS_E0_NS1_11comp_targetILNS1_3genE9ELNS1_11target_archE1100ELNS1_3gpuE3ELNS1_3repE0EEENS1_30default_config_static_selectorELNS0_4arch9wavefront6targetE1EEEvT1_: ; @_ZN7rocprim17ROCPRIM_400000_NS6detail17trampoline_kernelINS0_14default_configENS1_20scan_config_selectorIjEEZZNS1_9scan_implILNS1_25lookback_scan_determinismE0ELb1ELb1ES3_N6thrust23THRUST_200600_302600_NS6detail15normal_iteratorINS9_10device_ptrIjEEEENS9_16discard_iteratorINS9_11use_defaultEEEj11max_functorIjEjEEDaPvRmT3_T4_T5_mT6_P12ihipStream_tbENKUlT_T0_E_clISt17integral_constantIbLb1EESW_IbLb0EEEEDaSS_ST_EUlSS_E0_NS1_11comp_targetILNS1_3genE9ELNS1_11target_archE1100ELNS1_3gpuE3ELNS1_3repE0EEENS1_30default_config_static_selectorELNS0_4arch9wavefront6targetE1EEEvT1_
; %bb.0:
	.section	.rodata,"a",@progbits
	.p2align	6, 0x0
	.amdhsa_kernel _ZN7rocprim17ROCPRIM_400000_NS6detail17trampoline_kernelINS0_14default_configENS1_20scan_config_selectorIjEEZZNS1_9scan_implILNS1_25lookback_scan_determinismE0ELb1ELb1ES3_N6thrust23THRUST_200600_302600_NS6detail15normal_iteratorINS9_10device_ptrIjEEEENS9_16discard_iteratorINS9_11use_defaultEEEj11max_functorIjEjEEDaPvRmT3_T4_T5_mT6_P12ihipStream_tbENKUlT_T0_E_clISt17integral_constantIbLb1EESW_IbLb0EEEEDaSS_ST_EUlSS_E0_NS1_11comp_targetILNS1_3genE9ELNS1_11target_archE1100ELNS1_3gpuE3ELNS1_3repE0EEENS1_30default_config_static_selectorELNS0_4arch9wavefront6targetE1EEEvT1_
		.amdhsa_group_segment_fixed_size 0
		.amdhsa_private_segment_fixed_size 0
		.amdhsa_kernarg_size 40
		.amdhsa_user_sgpr_count 6
		.amdhsa_user_sgpr_private_segment_buffer 1
		.amdhsa_user_sgpr_dispatch_ptr 0
		.amdhsa_user_sgpr_queue_ptr 0
		.amdhsa_user_sgpr_kernarg_segment_ptr 1
		.amdhsa_user_sgpr_dispatch_id 0
		.amdhsa_user_sgpr_flat_scratch_init 0
		.amdhsa_user_sgpr_kernarg_preload_length 0
		.amdhsa_user_sgpr_kernarg_preload_offset 0
		.amdhsa_user_sgpr_private_segment_size 0
		.amdhsa_uses_dynamic_stack 0
		.amdhsa_system_sgpr_private_segment_wavefront_offset 0
		.amdhsa_system_sgpr_workgroup_id_x 1
		.amdhsa_system_sgpr_workgroup_id_y 0
		.amdhsa_system_sgpr_workgroup_id_z 0
		.amdhsa_system_sgpr_workgroup_info 0
		.amdhsa_system_vgpr_workitem_id 0
		.amdhsa_next_free_vgpr 1
		.amdhsa_next_free_sgpr 0
		.amdhsa_accum_offset 4
		.amdhsa_reserve_vcc 0
		.amdhsa_reserve_flat_scratch 0
		.amdhsa_float_round_mode_32 0
		.amdhsa_float_round_mode_16_64 0
		.amdhsa_float_denorm_mode_32 3
		.amdhsa_float_denorm_mode_16_64 3
		.amdhsa_dx10_clamp 1
		.amdhsa_ieee_mode 1
		.amdhsa_fp16_overflow 0
		.amdhsa_tg_split 0
		.amdhsa_exception_fp_ieee_invalid_op 0
		.amdhsa_exception_fp_denorm_src 0
		.amdhsa_exception_fp_ieee_div_zero 0
		.amdhsa_exception_fp_ieee_overflow 0
		.amdhsa_exception_fp_ieee_underflow 0
		.amdhsa_exception_fp_ieee_inexact 0
		.amdhsa_exception_int_div_zero 0
	.end_amdhsa_kernel
	.section	.text._ZN7rocprim17ROCPRIM_400000_NS6detail17trampoline_kernelINS0_14default_configENS1_20scan_config_selectorIjEEZZNS1_9scan_implILNS1_25lookback_scan_determinismE0ELb1ELb1ES3_N6thrust23THRUST_200600_302600_NS6detail15normal_iteratorINS9_10device_ptrIjEEEENS9_16discard_iteratorINS9_11use_defaultEEEj11max_functorIjEjEEDaPvRmT3_T4_T5_mT6_P12ihipStream_tbENKUlT_T0_E_clISt17integral_constantIbLb1EESW_IbLb0EEEEDaSS_ST_EUlSS_E0_NS1_11comp_targetILNS1_3genE9ELNS1_11target_archE1100ELNS1_3gpuE3ELNS1_3repE0EEENS1_30default_config_static_selectorELNS0_4arch9wavefront6targetE1EEEvT1_,"axG",@progbits,_ZN7rocprim17ROCPRIM_400000_NS6detail17trampoline_kernelINS0_14default_configENS1_20scan_config_selectorIjEEZZNS1_9scan_implILNS1_25lookback_scan_determinismE0ELb1ELb1ES3_N6thrust23THRUST_200600_302600_NS6detail15normal_iteratorINS9_10device_ptrIjEEEENS9_16discard_iteratorINS9_11use_defaultEEEj11max_functorIjEjEEDaPvRmT3_T4_T5_mT6_P12ihipStream_tbENKUlT_T0_E_clISt17integral_constantIbLb1EESW_IbLb0EEEEDaSS_ST_EUlSS_E0_NS1_11comp_targetILNS1_3genE9ELNS1_11target_archE1100ELNS1_3gpuE3ELNS1_3repE0EEENS1_30default_config_static_selectorELNS0_4arch9wavefront6targetE1EEEvT1_,comdat
.Lfunc_end3546:
	.size	_ZN7rocprim17ROCPRIM_400000_NS6detail17trampoline_kernelINS0_14default_configENS1_20scan_config_selectorIjEEZZNS1_9scan_implILNS1_25lookback_scan_determinismE0ELb1ELb1ES3_N6thrust23THRUST_200600_302600_NS6detail15normal_iteratorINS9_10device_ptrIjEEEENS9_16discard_iteratorINS9_11use_defaultEEEj11max_functorIjEjEEDaPvRmT3_T4_T5_mT6_P12ihipStream_tbENKUlT_T0_E_clISt17integral_constantIbLb1EESW_IbLb0EEEEDaSS_ST_EUlSS_E0_NS1_11comp_targetILNS1_3genE9ELNS1_11target_archE1100ELNS1_3gpuE3ELNS1_3repE0EEENS1_30default_config_static_selectorELNS0_4arch9wavefront6targetE1EEEvT1_, .Lfunc_end3546-_ZN7rocprim17ROCPRIM_400000_NS6detail17trampoline_kernelINS0_14default_configENS1_20scan_config_selectorIjEEZZNS1_9scan_implILNS1_25lookback_scan_determinismE0ELb1ELb1ES3_N6thrust23THRUST_200600_302600_NS6detail15normal_iteratorINS9_10device_ptrIjEEEENS9_16discard_iteratorINS9_11use_defaultEEEj11max_functorIjEjEEDaPvRmT3_T4_T5_mT6_P12ihipStream_tbENKUlT_T0_E_clISt17integral_constantIbLb1EESW_IbLb0EEEEDaSS_ST_EUlSS_E0_NS1_11comp_targetILNS1_3genE9ELNS1_11target_archE1100ELNS1_3gpuE3ELNS1_3repE0EEENS1_30default_config_static_selectorELNS0_4arch9wavefront6targetE1EEEvT1_
                                        ; -- End function
	.section	.AMDGPU.csdata,"",@progbits
; Kernel info:
; codeLenInByte = 0
; NumSgprs: 4
; NumVgprs: 0
; NumAgprs: 0
; TotalNumVgprs: 0
; ScratchSize: 0
; MemoryBound: 0
; FloatMode: 240
; IeeeMode: 1
; LDSByteSize: 0 bytes/workgroup (compile time only)
; SGPRBlocks: 0
; VGPRBlocks: 0
; NumSGPRsForWavesPerEU: 4
; NumVGPRsForWavesPerEU: 1
; AccumOffset: 4
; Occupancy: 8
; WaveLimiterHint : 0
; COMPUTE_PGM_RSRC2:SCRATCH_EN: 0
; COMPUTE_PGM_RSRC2:USER_SGPR: 6
; COMPUTE_PGM_RSRC2:TRAP_HANDLER: 0
; COMPUTE_PGM_RSRC2:TGID_X_EN: 1
; COMPUTE_PGM_RSRC2:TGID_Y_EN: 0
; COMPUTE_PGM_RSRC2:TGID_Z_EN: 0
; COMPUTE_PGM_RSRC2:TIDIG_COMP_CNT: 0
; COMPUTE_PGM_RSRC3_GFX90A:ACCUM_OFFSET: 0
; COMPUTE_PGM_RSRC3_GFX90A:TG_SPLIT: 0
	.section	.text._ZN7rocprim17ROCPRIM_400000_NS6detail17trampoline_kernelINS0_14default_configENS1_20scan_config_selectorIjEEZZNS1_9scan_implILNS1_25lookback_scan_determinismE0ELb1ELb1ES3_N6thrust23THRUST_200600_302600_NS6detail15normal_iteratorINS9_10device_ptrIjEEEENS9_16discard_iteratorINS9_11use_defaultEEEj11max_functorIjEjEEDaPvRmT3_T4_T5_mT6_P12ihipStream_tbENKUlT_T0_E_clISt17integral_constantIbLb1EESW_IbLb0EEEEDaSS_ST_EUlSS_E0_NS1_11comp_targetILNS1_3genE8ELNS1_11target_archE1030ELNS1_3gpuE2ELNS1_3repE0EEENS1_30default_config_static_selectorELNS0_4arch9wavefront6targetE1EEEvT1_,"axG",@progbits,_ZN7rocprim17ROCPRIM_400000_NS6detail17trampoline_kernelINS0_14default_configENS1_20scan_config_selectorIjEEZZNS1_9scan_implILNS1_25lookback_scan_determinismE0ELb1ELb1ES3_N6thrust23THRUST_200600_302600_NS6detail15normal_iteratorINS9_10device_ptrIjEEEENS9_16discard_iteratorINS9_11use_defaultEEEj11max_functorIjEjEEDaPvRmT3_T4_T5_mT6_P12ihipStream_tbENKUlT_T0_E_clISt17integral_constantIbLb1EESW_IbLb0EEEEDaSS_ST_EUlSS_E0_NS1_11comp_targetILNS1_3genE8ELNS1_11target_archE1030ELNS1_3gpuE2ELNS1_3repE0EEENS1_30default_config_static_selectorELNS0_4arch9wavefront6targetE1EEEvT1_,comdat
	.protected	_ZN7rocprim17ROCPRIM_400000_NS6detail17trampoline_kernelINS0_14default_configENS1_20scan_config_selectorIjEEZZNS1_9scan_implILNS1_25lookback_scan_determinismE0ELb1ELb1ES3_N6thrust23THRUST_200600_302600_NS6detail15normal_iteratorINS9_10device_ptrIjEEEENS9_16discard_iteratorINS9_11use_defaultEEEj11max_functorIjEjEEDaPvRmT3_T4_T5_mT6_P12ihipStream_tbENKUlT_T0_E_clISt17integral_constantIbLb1EESW_IbLb0EEEEDaSS_ST_EUlSS_E0_NS1_11comp_targetILNS1_3genE8ELNS1_11target_archE1030ELNS1_3gpuE2ELNS1_3repE0EEENS1_30default_config_static_selectorELNS0_4arch9wavefront6targetE1EEEvT1_ ; -- Begin function _ZN7rocprim17ROCPRIM_400000_NS6detail17trampoline_kernelINS0_14default_configENS1_20scan_config_selectorIjEEZZNS1_9scan_implILNS1_25lookback_scan_determinismE0ELb1ELb1ES3_N6thrust23THRUST_200600_302600_NS6detail15normal_iteratorINS9_10device_ptrIjEEEENS9_16discard_iteratorINS9_11use_defaultEEEj11max_functorIjEjEEDaPvRmT3_T4_T5_mT6_P12ihipStream_tbENKUlT_T0_E_clISt17integral_constantIbLb1EESW_IbLb0EEEEDaSS_ST_EUlSS_E0_NS1_11comp_targetILNS1_3genE8ELNS1_11target_archE1030ELNS1_3gpuE2ELNS1_3repE0EEENS1_30default_config_static_selectorELNS0_4arch9wavefront6targetE1EEEvT1_
	.globl	_ZN7rocprim17ROCPRIM_400000_NS6detail17trampoline_kernelINS0_14default_configENS1_20scan_config_selectorIjEEZZNS1_9scan_implILNS1_25lookback_scan_determinismE0ELb1ELb1ES3_N6thrust23THRUST_200600_302600_NS6detail15normal_iteratorINS9_10device_ptrIjEEEENS9_16discard_iteratorINS9_11use_defaultEEEj11max_functorIjEjEEDaPvRmT3_T4_T5_mT6_P12ihipStream_tbENKUlT_T0_E_clISt17integral_constantIbLb1EESW_IbLb0EEEEDaSS_ST_EUlSS_E0_NS1_11comp_targetILNS1_3genE8ELNS1_11target_archE1030ELNS1_3gpuE2ELNS1_3repE0EEENS1_30default_config_static_selectorELNS0_4arch9wavefront6targetE1EEEvT1_
	.p2align	8
	.type	_ZN7rocprim17ROCPRIM_400000_NS6detail17trampoline_kernelINS0_14default_configENS1_20scan_config_selectorIjEEZZNS1_9scan_implILNS1_25lookback_scan_determinismE0ELb1ELb1ES3_N6thrust23THRUST_200600_302600_NS6detail15normal_iteratorINS9_10device_ptrIjEEEENS9_16discard_iteratorINS9_11use_defaultEEEj11max_functorIjEjEEDaPvRmT3_T4_T5_mT6_P12ihipStream_tbENKUlT_T0_E_clISt17integral_constantIbLb1EESW_IbLb0EEEEDaSS_ST_EUlSS_E0_NS1_11comp_targetILNS1_3genE8ELNS1_11target_archE1030ELNS1_3gpuE2ELNS1_3repE0EEENS1_30default_config_static_selectorELNS0_4arch9wavefront6targetE1EEEvT1_,@function
_ZN7rocprim17ROCPRIM_400000_NS6detail17trampoline_kernelINS0_14default_configENS1_20scan_config_selectorIjEEZZNS1_9scan_implILNS1_25lookback_scan_determinismE0ELb1ELb1ES3_N6thrust23THRUST_200600_302600_NS6detail15normal_iteratorINS9_10device_ptrIjEEEENS9_16discard_iteratorINS9_11use_defaultEEEj11max_functorIjEjEEDaPvRmT3_T4_T5_mT6_P12ihipStream_tbENKUlT_T0_E_clISt17integral_constantIbLb1EESW_IbLb0EEEEDaSS_ST_EUlSS_E0_NS1_11comp_targetILNS1_3genE8ELNS1_11target_archE1030ELNS1_3gpuE2ELNS1_3repE0EEENS1_30default_config_static_selectorELNS0_4arch9wavefront6targetE1EEEvT1_: ; @_ZN7rocprim17ROCPRIM_400000_NS6detail17trampoline_kernelINS0_14default_configENS1_20scan_config_selectorIjEEZZNS1_9scan_implILNS1_25lookback_scan_determinismE0ELb1ELb1ES3_N6thrust23THRUST_200600_302600_NS6detail15normal_iteratorINS9_10device_ptrIjEEEENS9_16discard_iteratorINS9_11use_defaultEEEj11max_functorIjEjEEDaPvRmT3_T4_T5_mT6_P12ihipStream_tbENKUlT_T0_E_clISt17integral_constantIbLb1EESW_IbLb0EEEEDaSS_ST_EUlSS_E0_NS1_11comp_targetILNS1_3genE8ELNS1_11target_archE1030ELNS1_3gpuE2ELNS1_3repE0EEENS1_30default_config_static_selectorELNS0_4arch9wavefront6targetE1EEEvT1_
; %bb.0:
	.section	.rodata,"a",@progbits
	.p2align	6, 0x0
	.amdhsa_kernel _ZN7rocprim17ROCPRIM_400000_NS6detail17trampoline_kernelINS0_14default_configENS1_20scan_config_selectorIjEEZZNS1_9scan_implILNS1_25lookback_scan_determinismE0ELb1ELb1ES3_N6thrust23THRUST_200600_302600_NS6detail15normal_iteratorINS9_10device_ptrIjEEEENS9_16discard_iteratorINS9_11use_defaultEEEj11max_functorIjEjEEDaPvRmT3_T4_T5_mT6_P12ihipStream_tbENKUlT_T0_E_clISt17integral_constantIbLb1EESW_IbLb0EEEEDaSS_ST_EUlSS_E0_NS1_11comp_targetILNS1_3genE8ELNS1_11target_archE1030ELNS1_3gpuE2ELNS1_3repE0EEENS1_30default_config_static_selectorELNS0_4arch9wavefront6targetE1EEEvT1_
		.amdhsa_group_segment_fixed_size 0
		.amdhsa_private_segment_fixed_size 0
		.amdhsa_kernarg_size 40
		.amdhsa_user_sgpr_count 6
		.amdhsa_user_sgpr_private_segment_buffer 1
		.amdhsa_user_sgpr_dispatch_ptr 0
		.amdhsa_user_sgpr_queue_ptr 0
		.amdhsa_user_sgpr_kernarg_segment_ptr 1
		.amdhsa_user_sgpr_dispatch_id 0
		.amdhsa_user_sgpr_flat_scratch_init 0
		.amdhsa_user_sgpr_kernarg_preload_length 0
		.amdhsa_user_sgpr_kernarg_preload_offset 0
		.amdhsa_user_sgpr_private_segment_size 0
		.amdhsa_uses_dynamic_stack 0
		.amdhsa_system_sgpr_private_segment_wavefront_offset 0
		.amdhsa_system_sgpr_workgroup_id_x 1
		.amdhsa_system_sgpr_workgroup_id_y 0
		.amdhsa_system_sgpr_workgroup_id_z 0
		.amdhsa_system_sgpr_workgroup_info 0
		.amdhsa_system_vgpr_workitem_id 0
		.amdhsa_next_free_vgpr 1
		.amdhsa_next_free_sgpr 0
		.amdhsa_accum_offset 4
		.amdhsa_reserve_vcc 0
		.amdhsa_reserve_flat_scratch 0
		.amdhsa_float_round_mode_32 0
		.amdhsa_float_round_mode_16_64 0
		.amdhsa_float_denorm_mode_32 3
		.amdhsa_float_denorm_mode_16_64 3
		.amdhsa_dx10_clamp 1
		.amdhsa_ieee_mode 1
		.amdhsa_fp16_overflow 0
		.amdhsa_tg_split 0
		.amdhsa_exception_fp_ieee_invalid_op 0
		.amdhsa_exception_fp_denorm_src 0
		.amdhsa_exception_fp_ieee_div_zero 0
		.amdhsa_exception_fp_ieee_overflow 0
		.amdhsa_exception_fp_ieee_underflow 0
		.amdhsa_exception_fp_ieee_inexact 0
		.amdhsa_exception_int_div_zero 0
	.end_amdhsa_kernel
	.section	.text._ZN7rocprim17ROCPRIM_400000_NS6detail17trampoline_kernelINS0_14default_configENS1_20scan_config_selectorIjEEZZNS1_9scan_implILNS1_25lookback_scan_determinismE0ELb1ELb1ES3_N6thrust23THRUST_200600_302600_NS6detail15normal_iteratorINS9_10device_ptrIjEEEENS9_16discard_iteratorINS9_11use_defaultEEEj11max_functorIjEjEEDaPvRmT3_T4_T5_mT6_P12ihipStream_tbENKUlT_T0_E_clISt17integral_constantIbLb1EESW_IbLb0EEEEDaSS_ST_EUlSS_E0_NS1_11comp_targetILNS1_3genE8ELNS1_11target_archE1030ELNS1_3gpuE2ELNS1_3repE0EEENS1_30default_config_static_selectorELNS0_4arch9wavefront6targetE1EEEvT1_,"axG",@progbits,_ZN7rocprim17ROCPRIM_400000_NS6detail17trampoline_kernelINS0_14default_configENS1_20scan_config_selectorIjEEZZNS1_9scan_implILNS1_25lookback_scan_determinismE0ELb1ELb1ES3_N6thrust23THRUST_200600_302600_NS6detail15normal_iteratorINS9_10device_ptrIjEEEENS9_16discard_iteratorINS9_11use_defaultEEEj11max_functorIjEjEEDaPvRmT3_T4_T5_mT6_P12ihipStream_tbENKUlT_T0_E_clISt17integral_constantIbLb1EESW_IbLb0EEEEDaSS_ST_EUlSS_E0_NS1_11comp_targetILNS1_3genE8ELNS1_11target_archE1030ELNS1_3gpuE2ELNS1_3repE0EEENS1_30default_config_static_selectorELNS0_4arch9wavefront6targetE1EEEvT1_,comdat
.Lfunc_end3547:
	.size	_ZN7rocprim17ROCPRIM_400000_NS6detail17trampoline_kernelINS0_14default_configENS1_20scan_config_selectorIjEEZZNS1_9scan_implILNS1_25lookback_scan_determinismE0ELb1ELb1ES3_N6thrust23THRUST_200600_302600_NS6detail15normal_iteratorINS9_10device_ptrIjEEEENS9_16discard_iteratorINS9_11use_defaultEEEj11max_functorIjEjEEDaPvRmT3_T4_T5_mT6_P12ihipStream_tbENKUlT_T0_E_clISt17integral_constantIbLb1EESW_IbLb0EEEEDaSS_ST_EUlSS_E0_NS1_11comp_targetILNS1_3genE8ELNS1_11target_archE1030ELNS1_3gpuE2ELNS1_3repE0EEENS1_30default_config_static_selectorELNS0_4arch9wavefront6targetE1EEEvT1_, .Lfunc_end3547-_ZN7rocprim17ROCPRIM_400000_NS6detail17trampoline_kernelINS0_14default_configENS1_20scan_config_selectorIjEEZZNS1_9scan_implILNS1_25lookback_scan_determinismE0ELb1ELb1ES3_N6thrust23THRUST_200600_302600_NS6detail15normal_iteratorINS9_10device_ptrIjEEEENS9_16discard_iteratorINS9_11use_defaultEEEj11max_functorIjEjEEDaPvRmT3_T4_T5_mT6_P12ihipStream_tbENKUlT_T0_E_clISt17integral_constantIbLb1EESW_IbLb0EEEEDaSS_ST_EUlSS_E0_NS1_11comp_targetILNS1_3genE8ELNS1_11target_archE1030ELNS1_3gpuE2ELNS1_3repE0EEENS1_30default_config_static_selectorELNS0_4arch9wavefront6targetE1EEEvT1_
                                        ; -- End function
	.section	.AMDGPU.csdata,"",@progbits
; Kernel info:
; codeLenInByte = 0
; NumSgprs: 4
; NumVgprs: 0
; NumAgprs: 0
; TotalNumVgprs: 0
; ScratchSize: 0
; MemoryBound: 0
; FloatMode: 240
; IeeeMode: 1
; LDSByteSize: 0 bytes/workgroup (compile time only)
; SGPRBlocks: 0
; VGPRBlocks: 0
; NumSGPRsForWavesPerEU: 4
; NumVGPRsForWavesPerEU: 1
; AccumOffset: 4
; Occupancy: 8
; WaveLimiterHint : 0
; COMPUTE_PGM_RSRC2:SCRATCH_EN: 0
; COMPUTE_PGM_RSRC2:USER_SGPR: 6
; COMPUTE_PGM_RSRC2:TRAP_HANDLER: 0
; COMPUTE_PGM_RSRC2:TGID_X_EN: 1
; COMPUTE_PGM_RSRC2:TGID_Y_EN: 0
; COMPUTE_PGM_RSRC2:TGID_Z_EN: 0
; COMPUTE_PGM_RSRC2:TIDIG_COMP_CNT: 0
; COMPUTE_PGM_RSRC3_GFX90A:ACCUM_OFFSET: 0
; COMPUTE_PGM_RSRC3_GFX90A:TG_SPLIT: 0
	.section	.text._ZN7rocprim17ROCPRIM_400000_NS6detail17trampoline_kernelINS0_14default_configENS1_20scan_config_selectorIjEEZZNS1_9scan_implILNS1_25lookback_scan_determinismE0ELb1ELb1ES3_N6thrust23THRUST_200600_302600_NS6detail15normal_iteratorINS9_10device_ptrIjEEEENS9_16discard_iteratorINS9_11use_defaultEEEj11max_functorIjEjEEDaPvRmT3_T4_T5_mT6_P12ihipStream_tbENKUlT_T0_E_clISt17integral_constantIbLb0EESW_IbLb1EEEEDaSS_ST_EUlSS_E_NS1_11comp_targetILNS1_3genE0ELNS1_11target_archE4294967295ELNS1_3gpuE0ELNS1_3repE0EEENS1_30default_config_static_selectorELNS0_4arch9wavefront6targetE1EEEvT1_,"axG",@progbits,_ZN7rocprim17ROCPRIM_400000_NS6detail17trampoline_kernelINS0_14default_configENS1_20scan_config_selectorIjEEZZNS1_9scan_implILNS1_25lookback_scan_determinismE0ELb1ELb1ES3_N6thrust23THRUST_200600_302600_NS6detail15normal_iteratorINS9_10device_ptrIjEEEENS9_16discard_iteratorINS9_11use_defaultEEEj11max_functorIjEjEEDaPvRmT3_T4_T5_mT6_P12ihipStream_tbENKUlT_T0_E_clISt17integral_constantIbLb0EESW_IbLb1EEEEDaSS_ST_EUlSS_E_NS1_11comp_targetILNS1_3genE0ELNS1_11target_archE4294967295ELNS1_3gpuE0ELNS1_3repE0EEENS1_30default_config_static_selectorELNS0_4arch9wavefront6targetE1EEEvT1_,comdat
	.protected	_ZN7rocprim17ROCPRIM_400000_NS6detail17trampoline_kernelINS0_14default_configENS1_20scan_config_selectorIjEEZZNS1_9scan_implILNS1_25lookback_scan_determinismE0ELb1ELb1ES3_N6thrust23THRUST_200600_302600_NS6detail15normal_iteratorINS9_10device_ptrIjEEEENS9_16discard_iteratorINS9_11use_defaultEEEj11max_functorIjEjEEDaPvRmT3_T4_T5_mT6_P12ihipStream_tbENKUlT_T0_E_clISt17integral_constantIbLb0EESW_IbLb1EEEEDaSS_ST_EUlSS_E_NS1_11comp_targetILNS1_3genE0ELNS1_11target_archE4294967295ELNS1_3gpuE0ELNS1_3repE0EEENS1_30default_config_static_selectorELNS0_4arch9wavefront6targetE1EEEvT1_ ; -- Begin function _ZN7rocprim17ROCPRIM_400000_NS6detail17trampoline_kernelINS0_14default_configENS1_20scan_config_selectorIjEEZZNS1_9scan_implILNS1_25lookback_scan_determinismE0ELb1ELb1ES3_N6thrust23THRUST_200600_302600_NS6detail15normal_iteratorINS9_10device_ptrIjEEEENS9_16discard_iteratorINS9_11use_defaultEEEj11max_functorIjEjEEDaPvRmT3_T4_T5_mT6_P12ihipStream_tbENKUlT_T0_E_clISt17integral_constantIbLb0EESW_IbLb1EEEEDaSS_ST_EUlSS_E_NS1_11comp_targetILNS1_3genE0ELNS1_11target_archE4294967295ELNS1_3gpuE0ELNS1_3repE0EEENS1_30default_config_static_selectorELNS0_4arch9wavefront6targetE1EEEvT1_
	.globl	_ZN7rocprim17ROCPRIM_400000_NS6detail17trampoline_kernelINS0_14default_configENS1_20scan_config_selectorIjEEZZNS1_9scan_implILNS1_25lookback_scan_determinismE0ELb1ELb1ES3_N6thrust23THRUST_200600_302600_NS6detail15normal_iteratorINS9_10device_ptrIjEEEENS9_16discard_iteratorINS9_11use_defaultEEEj11max_functorIjEjEEDaPvRmT3_T4_T5_mT6_P12ihipStream_tbENKUlT_T0_E_clISt17integral_constantIbLb0EESW_IbLb1EEEEDaSS_ST_EUlSS_E_NS1_11comp_targetILNS1_3genE0ELNS1_11target_archE4294967295ELNS1_3gpuE0ELNS1_3repE0EEENS1_30default_config_static_selectorELNS0_4arch9wavefront6targetE1EEEvT1_
	.p2align	8
	.type	_ZN7rocprim17ROCPRIM_400000_NS6detail17trampoline_kernelINS0_14default_configENS1_20scan_config_selectorIjEEZZNS1_9scan_implILNS1_25lookback_scan_determinismE0ELb1ELb1ES3_N6thrust23THRUST_200600_302600_NS6detail15normal_iteratorINS9_10device_ptrIjEEEENS9_16discard_iteratorINS9_11use_defaultEEEj11max_functorIjEjEEDaPvRmT3_T4_T5_mT6_P12ihipStream_tbENKUlT_T0_E_clISt17integral_constantIbLb0EESW_IbLb1EEEEDaSS_ST_EUlSS_E_NS1_11comp_targetILNS1_3genE0ELNS1_11target_archE4294967295ELNS1_3gpuE0ELNS1_3repE0EEENS1_30default_config_static_selectorELNS0_4arch9wavefront6targetE1EEEvT1_,@function
_ZN7rocprim17ROCPRIM_400000_NS6detail17trampoline_kernelINS0_14default_configENS1_20scan_config_selectorIjEEZZNS1_9scan_implILNS1_25lookback_scan_determinismE0ELb1ELb1ES3_N6thrust23THRUST_200600_302600_NS6detail15normal_iteratorINS9_10device_ptrIjEEEENS9_16discard_iteratorINS9_11use_defaultEEEj11max_functorIjEjEEDaPvRmT3_T4_T5_mT6_P12ihipStream_tbENKUlT_T0_E_clISt17integral_constantIbLb0EESW_IbLb1EEEEDaSS_ST_EUlSS_E_NS1_11comp_targetILNS1_3genE0ELNS1_11target_archE4294967295ELNS1_3gpuE0ELNS1_3repE0EEENS1_30default_config_static_selectorELNS0_4arch9wavefront6targetE1EEEvT1_: ; @_ZN7rocprim17ROCPRIM_400000_NS6detail17trampoline_kernelINS0_14default_configENS1_20scan_config_selectorIjEEZZNS1_9scan_implILNS1_25lookback_scan_determinismE0ELb1ELb1ES3_N6thrust23THRUST_200600_302600_NS6detail15normal_iteratorINS9_10device_ptrIjEEEENS9_16discard_iteratorINS9_11use_defaultEEEj11max_functorIjEjEEDaPvRmT3_T4_T5_mT6_P12ihipStream_tbENKUlT_T0_E_clISt17integral_constantIbLb0EESW_IbLb1EEEEDaSS_ST_EUlSS_E_NS1_11comp_targetILNS1_3genE0ELNS1_11target_archE4294967295ELNS1_3gpuE0ELNS1_3repE0EEENS1_30default_config_static_selectorELNS0_4arch9wavefront6targetE1EEEvT1_
; %bb.0:
	.section	.rodata,"a",@progbits
	.p2align	6, 0x0
	.amdhsa_kernel _ZN7rocprim17ROCPRIM_400000_NS6detail17trampoline_kernelINS0_14default_configENS1_20scan_config_selectorIjEEZZNS1_9scan_implILNS1_25lookback_scan_determinismE0ELb1ELb1ES3_N6thrust23THRUST_200600_302600_NS6detail15normal_iteratorINS9_10device_ptrIjEEEENS9_16discard_iteratorINS9_11use_defaultEEEj11max_functorIjEjEEDaPvRmT3_T4_T5_mT6_P12ihipStream_tbENKUlT_T0_E_clISt17integral_constantIbLb0EESW_IbLb1EEEEDaSS_ST_EUlSS_E_NS1_11comp_targetILNS1_3genE0ELNS1_11target_archE4294967295ELNS1_3gpuE0ELNS1_3repE0EEENS1_30default_config_static_selectorELNS0_4arch9wavefront6targetE1EEEvT1_
		.amdhsa_group_segment_fixed_size 0
		.amdhsa_private_segment_fixed_size 0
		.amdhsa_kernarg_size 104
		.amdhsa_user_sgpr_count 6
		.amdhsa_user_sgpr_private_segment_buffer 1
		.amdhsa_user_sgpr_dispatch_ptr 0
		.amdhsa_user_sgpr_queue_ptr 0
		.amdhsa_user_sgpr_kernarg_segment_ptr 1
		.amdhsa_user_sgpr_dispatch_id 0
		.amdhsa_user_sgpr_flat_scratch_init 0
		.amdhsa_user_sgpr_kernarg_preload_length 0
		.amdhsa_user_sgpr_kernarg_preload_offset 0
		.amdhsa_user_sgpr_private_segment_size 0
		.amdhsa_uses_dynamic_stack 0
		.amdhsa_system_sgpr_private_segment_wavefront_offset 0
		.amdhsa_system_sgpr_workgroup_id_x 1
		.amdhsa_system_sgpr_workgroup_id_y 0
		.amdhsa_system_sgpr_workgroup_id_z 0
		.amdhsa_system_sgpr_workgroup_info 0
		.amdhsa_system_vgpr_workitem_id 0
		.amdhsa_next_free_vgpr 1
		.amdhsa_next_free_sgpr 0
		.amdhsa_accum_offset 4
		.amdhsa_reserve_vcc 0
		.amdhsa_reserve_flat_scratch 0
		.amdhsa_float_round_mode_32 0
		.amdhsa_float_round_mode_16_64 0
		.amdhsa_float_denorm_mode_32 3
		.amdhsa_float_denorm_mode_16_64 3
		.amdhsa_dx10_clamp 1
		.amdhsa_ieee_mode 1
		.amdhsa_fp16_overflow 0
		.amdhsa_tg_split 0
		.amdhsa_exception_fp_ieee_invalid_op 0
		.amdhsa_exception_fp_denorm_src 0
		.amdhsa_exception_fp_ieee_div_zero 0
		.amdhsa_exception_fp_ieee_overflow 0
		.amdhsa_exception_fp_ieee_underflow 0
		.amdhsa_exception_fp_ieee_inexact 0
		.amdhsa_exception_int_div_zero 0
	.end_amdhsa_kernel
	.section	.text._ZN7rocprim17ROCPRIM_400000_NS6detail17trampoline_kernelINS0_14default_configENS1_20scan_config_selectorIjEEZZNS1_9scan_implILNS1_25lookback_scan_determinismE0ELb1ELb1ES3_N6thrust23THRUST_200600_302600_NS6detail15normal_iteratorINS9_10device_ptrIjEEEENS9_16discard_iteratorINS9_11use_defaultEEEj11max_functorIjEjEEDaPvRmT3_T4_T5_mT6_P12ihipStream_tbENKUlT_T0_E_clISt17integral_constantIbLb0EESW_IbLb1EEEEDaSS_ST_EUlSS_E_NS1_11comp_targetILNS1_3genE0ELNS1_11target_archE4294967295ELNS1_3gpuE0ELNS1_3repE0EEENS1_30default_config_static_selectorELNS0_4arch9wavefront6targetE1EEEvT1_,"axG",@progbits,_ZN7rocprim17ROCPRIM_400000_NS6detail17trampoline_kernelINS0_14default_configENS1_20scan_config_selectorIjEEZZNS1_9scan_implILNS1_25lookback_scan_determinismE0ELb1ELb1ES3_N6thrust23THRUST_200600_302600_NS6detail15normal_iteratorINS9_10device_ptrIjEEEENS9_16discard_iteratorINS9_11use_defaultEEEj11max_functorIjEjEEDaPvRmT3_T4_T5_mT6_P12ihipStream_tbENKUlT_T0_E_clISt17integral_constantIbLb0EESW_IbLb1EEEEDaSS_ST_EUlSS_E_NS1_11comp_targetILNS1_3genE0ELNS1_11target_archE4294967295ELNS1_3gpuE0ELNS1_3repE0EEENS1_30default_config_static_selectorELNS0_4arch9wavefront6targetE1EEEvT1_,comdat
.Lfunc_end3548:
	.size	_ZN7rocprim17ROCPRIM_400000_NS6detail17trampoline_kernelINS0_14default_configENS1_20scan_config_selectorIjEEZZNS1_9scan_implILNS1_25lookback_scan_determinismE0ELb1ELb1ES3_N6thrust23THRUST_200600_302600_NS6detail15normal_iteratorINS9_10device_ptrIjEEEENS9_16discard_iteratorINS9_11use_defaultEEEj11max_functorIjEjEEDaPvRmT3_T4_T5_mT6_P12ihipStream_tbENKUlT_T0_E_clISt17integral_constantIbLb0EESW_IbLb1EEEEDaSS_ST_EUlSS_E_NS1_11comp_targetILNS1_3genE0ELNS1_11target_archE4294967295ELNS1_3gpuE0ELNS1_3repE0EEENS1_30default_config_static_selectorELNS0_4arch9wavefront6targetE1EEEvT1_, .Lfunc_end3548-_ZN7rocprim17ROCPRIM_400000_NS6detail17trampoline_kernelINS0_14default_configENS1_20scan_config_selectorIjEEZZNS1_9scan_implILNS1_25lookback_scan_determinismE0ELb1ELb1ES3_N6thrust23THRUST_200600_302600_NS6detail15normal_iteratorINS9_10device_ptrIjEEEENS9_16discard_iteratorINS9_11use_defaultEEEj11max_functorIjEjEEDaPvRmT3_T4_T5_mT6_P12ihipStream_tbENKUlT_T0_E_clISt17integral_constantIbLb0EESW_IbLb1EEEEDaSS_ST_EUlSS_E_NS1_11comp_targetILNS1_3genE0ELNS1_11target_archE4294967295ELNS1_3gpuE0ELNS1_3repE0EEENS1_30default_config_static_selectorELNS0_4arch9wavefront6targetE1EEEvT1_
                                        ; -- End function
	.section	.AMDGPU.csdata,"",@progbits
; Kernel info:
; codeLenInByte = 0
; NumSgprs: 4
; NumVgprs: 0
; NumAgprs: 0
; TotalNumVgprs: 0
; ScratchSize: 0
; MemoryBound: 0
; FloatMode: 240
; IeeeMode: 1
; LDSByteSize: 0 bytes/workgroup (compile time only)
; SGPRBlocks: 0
; VGPRBlocks: 0
; NumSGPRsForWavesPerEU: 4
; NumVGPRsForWavesPerEU: 1
; AccumOffset: 4
; Occupancy: 8
; WaveLimiterHint : 0
; COMPUTE_PGM_RSRC2:SCRATCH_EN: 0
; COMPUTE_PGM_RSRC2:USER_SGPR: 6
; COMPUTE_PGM_RSRC2:TRAP_HANDLER: 0
; COMPUTE_PGM_RSRC2:TGID_X_EN: 1
; COMPUTE_PGM_RSRC2:TGID_Y_EN: 0
; COMPUTE_PGM_RSRC2:TGID_Z_EN: 0
; COMPUTE_PGM_RSRC2:TIDIG_COMP_CNT: 0
; COMPUTE_PGM_RSRC3_GFX90A:ACCUM_OFFSET: 0
; COMPUTE_PGM_RSRC3_GFX90A:TG_SPLIT: 0
	.section	.text._ZN7rocprim17ROCPRIM_400000_NS6detail17trampoline_kernelINS0_14default_configENS1_20scan_config_selectorIjEEZZNS1_9scan_implILNS1_25lookback_scan_determinismE0ELb1ELb1ES3_N6thrust23THRUST_200600_302600_NS6detail15normal_iteratorINS9_10device_ptrIjEEEENS9_16discard_iteratorINS9_11use_defaultEEEj11max_functorIjEjEEDaPvRmT3_T4_T5_mT6_P12ihipStream_tbENKUlT_T0_E_clISt17integral_constantIbLb0EESW_IbLb1EEEEDaSS_ST_EUlSS_E_NS1_11comp_targetILNS1_3genE5ELNS1_11target_archE942ELNS1_3gpuE9ELNS1_3repE0EEENS1_30default_config_static_selectorELNS0_4arch9wavefront6targetE1EEEvT1_,"axG",@progbits,_ZN7rocprim17ROCPRIM_400000_NS6detail17trampoline_kernelINS0_14default_configENS1_20scan_config_selectorIjEEZZNS1_9scan_implILNS1_25lookback_scan_determinismE0ELb1ELb1ES3_N6thrust23THRUST_200600_302600_NS6detail15normal_iteratorINS9_10device_ptrIjEEEENS9_16discard_iteratorINS9_11use_defaultEEEj11max_functorIjEjEEDaPvRmT3_T4_T5_mT6_P12ihipStream_tbENKUlT_T0_E_clISt17integral_constantIbLb0EESW_IbLb1EEEEDaSS_ST_EUlSS_E_NS1_11comp_targetILNS1_3genE5ELNS1_11target_archE942ELNS1_3gpuE9ELNS1_3repE0EEENS1_30default_config_static_selectorELNS0_4arch9wavefront6targetE1EEEvT1_,comdat
	.protected	_ZN7rocprim17ROCPRIM_400000_NS6detail17trampoline_kernelINS0_14default_configENS1_20scan_config_selectorIjEEZZNS1_9scan_implILNS1_25lookback_scan_determinismE0ELb1ELb1ES3_N6thrust23THRUST_200600_302600_NS6detail15normal_iteratorINS9_10device_ptrIjEEEENS9_16discard_iteratorINS9_11use_defaultEEEj11max_functorIjEjEEDaPvRmT3_T4_T5_mT6_P12ihipStream_tbENKUlT_T0_E_clISt17integral_constantIbLb0EESW_IbLb1EEEEDaSS_ST_EUlSS_E_NS1_11comp_targetILNS1_3genE5ELNS1_11target_archE942ELNS1_3gpuE9ELNS1_3repE0EEENS1_30default_config_static_selectorELNS0_4arch9wavefront6targetE1EEEvT1_ ; -- Begin function _ZN7rocprim17ROCPRIM_400000_NS6detail17trampoline_kernelINS0_14default_configENS1_20scan_config_selectorIjEEZZNS1_9scan_implILNS1_25lookback_scan_determinismE0ELb1ELb1ES3_N6thrust23THRUST_200600_302600_NS6detail15normal_iteratorINS9_10device_ptrIjEEEENS9_16discard_iteratorINS9_11use_defaultEEEj11max_functorIjEjEEDaPvRmT3_T4_T5_mT6_P12ihipStream_tbENKUlT_T0_E_clISt17integral_constantIbLb0EESW_IbLb1EEEEDaSS_ST_EUlSS_E_NS1_11comp_targetILNS1_3genE5ELNS1_11target_archE942ELNS1_3gpuE9ELNS1_3repE0EEENS1_30default_config_static_selectorELNS0_4arch9wavefront6targetE1EEEvT1_
	.globl	_ZN7rocprim17ROCPRIM_400000_NS6detail17trampoline_kernelINS0_14default_configENS1_20scan_config_selectorIjEEZZNS1_9scan_implILNS1_25lookback_scan_determinismE0ELb1ELb1ES3_N6thrust23THRUST_200600_302600_NS6detail15normal_iteratorINS9_10device_ptrIjEEEENS9_16discard_iteratorINS9_11use_defaultEEEj11max_functorIjEjEEDaPvRmT3_T4_T5_mT6_P12ihipStream_tbENKUlT_T0_E_clISt17integral_constantIbLb0EESW_IbLb1EEEEDaSS_ST_EUlSS_E_NS1_11comp_targetILNS1_3genE5ELNS1_11target_archE942ELNS1_3gpuE9ELNS1_3repE0EEENS1_30default_config_static_selectorELNS0_4arch9wavefront6targetE1EEEvT1_
	.p2align	8
	.type	_ZN7rocprim17ROCPRIM_400000_NS6detail17trampoline_kernelINS0_14default_configENS1_20scan_config_selectorIjEEZZNS1_9scan_implILNS1_25lookback_scan_determinismE0ELb1ELb1ES3_N6thrust23THRUST_200600_302600_NS6detail15normal_iteratorINS9_10device_ptrIjEEEENS9_16discard_iteratorINS9_11use_defaultEEEj11max_functorIjEjEEDaPvRmT3_T4_T5_mT6_P12ihipStream_tbENKUlT_T0_E_clISt17integral_constantIbLb0EESW_IbLb1EEEEDaSS_ST_EUlSS_E_NS1_11comp_targetILNS1_3genE5ELNS1_11target_archE942ELNS1_3gpuE9ELNS1_3repE0EEENS1_30default_config_static_selectorELNS0_4arch9wavefront6targetE1EEEvT1_,@function
_ZN7rocprim17ROCPRIM_400000_NS6detail17trampoline_kernelINS0_14default_configENS1_20scan_config_selectorIjEEZZNS1_9scan_implILNS1_25lookback_scan_determinismE0ELb1ELb1ES3_N6thrust23THRUST_200600_302600_NS6detail15normal_iteratorINS9_10device_ptrIjEEEENS9_16discard_iteratorINS9_11use_defaultEEEj11max_functorIjEjEEDaPvRmT3_T4_T5_mT6_P12ihipStream_tbENKUlT_T0_E_clISt17integral_constantIbLb0EESW_IbLb1EEEEDaSS_ST_EUlSS_E_NS1_11comp_targetILNS1_3genE5ELNS1_11target_archE942ELNS1_3gpuE9ELNS1_3repE0EEENS1_30default_config_static_selectorELNS0_4arch9wavefront6targetE1EEEvT1_: ; @_ZN7rocprim17ROCPRIM_400000_NS6detail17trampoline_kernelINS0_14default_configENS1_20scan_config_selectorIjEEZZNS1_9scan_implILNS1_25lookback_scan_determinismE0ELb1ELb1ES3_N6thrust23THRUST_200600_302600_NS6detail15normal_iteratorINS9_10device_ptrIjEEEENS9_16discard_iteratorINS9_11use_defaultEEEj11max_functorIjEjEEDaPvRmT3_T4_T5_mT6_P12ihipStream_tbENKUlT_T0_E_clISt17integral_constantIbLb0EESW_IbLb1EEEEDaSS_ST_EUlSS_E_NS1_11comp_targetILNS1_3genE5ELNS1_11target_archE942ELNS1_3gpuE9ELNS1_3repE0EEENS1_30default_config_static_selectorELNS0_4arch9wavefront6targetE1EEEvT1_
; %bb.0:
	.section	.rodata,"a",@progbits
	.p2align	6, 0x0
	.amdhsa_kernel _ZN7rocprim17ROCPRIM_400000_NS6detail17trampoline_kernelINS0_14default_configENS1_20scan_config_selectorIjEEZZNS1_9scan_implILNS1_25lookback_scan_determinismE0ELb1ELb1ES3_N6thrust23THRUST_200600_302600_NS6detail15normal_iteratorINS9_10device_ptrIjEEEENS9_16discard_iteratorINS9_11use_defaultEEEj11max_functorIjEjEEDaPvRmT3_T4_T5_mT6_P12ihipStream_tbENKUlT_T0_E_clISt17integral_constantIbLb0EESW_IbLb1EEEEDaSS_ST_EUlSS_E_NS1_11comp_targetILNS1_3genE5ELNS1_11target_archE942ELNS1_3gpuE9ELNS1_3repE0EEENS1_30default_config_static_selectorELNS0_4arch9wavefront6targetE1EEEvT1_
		.amdhsa_group_segment_fixed_size 0
		.amdhsa_private_segment_fixed_size 0
		.amdhsa_kernarg_size 104
		.amdhsa_user_sgpr_count 6
		.amdhsa_user_sgpr_private_segment_buffer 1
		.amdhsa_user_sgpr_dispatch_ptr 0
		.amdhsa_user_sgpr_queue_ptr 0
		.amdhsa_user_sgpr_kernarg_segment_ptr 1
		.amdhsa_user_sgpr_dispatch_id 0
		.amdhsa_user_sgpr_flat_scratch_init 0
		.amdhsa_user_sgpr_kernarg_preload_length 0
		.amdhsa_user_sgpr_kernarg_preload_offset 0
		.amdhsa_user_sgpr_private_segment_size 0
		.amdhsa_uses_dynamic_stack 0
		.amdhsa_system_sgpr_private_segment_wavefront_offset 0
		.amdhsa_system_sgpr_workgroup_id_x 1
		.amdhsa_system_sgpr_workgroup_id_y 0
		.amdhsa_system_sgpr_workgroup_id_z 0
		.amdhsa_system_sgpr_workgroup_info 0
		.amdhsa_system_vgpr_workitem_id 0
		.amdhsa_next_free_vgpr 1
		.amdhsa_next_free_sgpr 0
		.amdhsa_accum_offset 4
		.amdhsa_reserve_vcc 0
		.amdhsa_reserve_flat_scratch 0
		.amdhsa_float_round_mode_32 0
		.amdhsa_float_round_mode_16_64 0
		.amdhsa_float_denorm_mode_32 3
		.amdhsa_float_denorm_mode_16_64 3
		.amdhsa_dx10_clamp 1
		.amdhsa_ieee_mode 1
		.amdhsa_fp16_overflow 0
		.amdhsa_tg_split 0
		.amdhsa_exception_fp_ieee_invalid_op 0
		.amdhsa_exception_fp_denorm_src 0
		.amdhsa_exception_fp_ieee_div_zero 0
		.amdhsa_exception_fp_ieee_overflow 0
		.amdhsa_exception_fp_ieee_underflow 0
		.amdhsa_exception_fp_ieee_inexact 0
		.amdhsa_exception_int_div_zero 0
	.end_amdhsa_kernel
	.section	.text._ZN7rocprim17ROCPRIM_400000_NS6detail17trampoline_kernelINS0_14default_configENS1_20scan_config_selectorIjEEZZNS1_9scan_implILNS1_25lookback_scan_determinismE0ELb1ELb1ES3_N6thrust23THRUST_200600_302600_NS6detail15normal_iteratorINS9_10device_ptrIjEEEENS9_16discard_iteratorINS9_11use_defaultEEEj11max_functorIjEjEEDaPvRmT3_T4_T5_mT6_P12ihipStream_tbENKUlT_T0_E_clISt17integral_constantIbLb0EESW_IbLb1EEEEDaSS_ST_EUlSS_E_NS1_11comp_targetILNS1_3genE5ELNS1_11target_archE942ELNS1_3gpuE9ELNS1_3repE0EEENS1_30default_config_static_selectorELNS0_4arch9wavefront6targetE1EEEvT1_,"axG",@progbits,_ZN7rocprim17ROCPRIM_400000_NS6detail17trampoline_kernelINS0_14default_configENS1_20scan_config_selectorIjEEZZNS1_9scan_implILNS1_25lookback_scan_determinismE0ELb1ELb1ES3_N6thrust23THRUST_200600_302600_NS6detail15normal_iteratorINS9_10device_ptrIjEEEENS9_16discard_iteratorINS9_11use_defaultEEEj11max_functorIjEjEEDaPvRmT3_T4_T5_mT6_P12ihipStream_tbENKUlT_T0_E_clISt17integral_constantIbLb0EESW_IbLb1EEEEDaSS_ST_EUlSS_E_NS1_11comp_targetILNS1_3genE5ELNS1_11target_archE942ELNS1_3gpuE9ELNS1_3repE0EEENS1_30default_config_static_selectorELNS0_4arch9wavefront6targetE1EEEvT1_,comdat
.Lfunc_end3549:
	.size	_ZN7rocprim17ROCPRIM_400000_NS6detail17trampoline_kernelINS0_14default_configENS1_20scan_config_selectorIjEEZZNS1_9scan_implILNS1_25lookback_scan_determinismE0ELb1ELb1ES3_N6thrust23THRUST_200600_302600_NS6detail15normal_iteratorINS9_10device_ptrIjEEEENS9_16discard_iteratorINS9_11use_defaultEEEj11max_functorIjEjEEDaPvRmT3_T4_T5_mT6_P12ihipStream_tbENKUlT_T0_E_clISt17integral_constantIbLb0EESW_IbLb1EEEEDaSS_ST_EUlSS_E_NS1_11comp_targetILNS1_3genE5ELNS1_11target_archE942ELNS1_3gpuE9ELNS1_3repE0EEENS1_30default_config_static_selectorELNS0_4arch9wavefront6targetE1EEEvT1_, .Lfunc_end3549-_ZN7rocprim17ROCPRIM_400000_NS6detail17trampoline_kernelINS0_14default_configENS1_20scan_config_selectorIjEEZZNS1_9scan_implILNS1_25lookback_scan_determinismE0ELb1ELb1ES3_N6thrust23THRUST_200600_302600_NS6detail15normal_iteratorINS9_10device_ptrIjEEEENS9_16discard_iteratorINS9_11use_defaultEEEj11max_functorIjEjEEDaPvRmT3_T4_T5_mT6_P12ihipStream_tbENKUlT_T0_E_clISt17integral_constantIbLb0EESW_IbLb1EEEEDaSS_ST_EUlSS_E_NS1_11comp_targetILNS1_3genE5ELNS1_11target_archE942ELNS1_3gpuE9ELNS1_3repE0EEENS1_30default_config_static_selectorELNS0_4arch9wavefront6targetE1EEEvT1_
                                        ; -- End function
	.section	.AMDGPU.csdata,"",@progbits
; Kernel info:
; codeLenInByte = 0
; NumSgprs: 4
; NumVgprs: 0
; NumAgprs: 0
; TotalNumVgprs: 0
; ScratchSize: 0
; MemoryBound: 0
; FloatMode: 240
; IeeeMode: 1
; LDSByteSize: 0 bytes/workgroup (compile time only)
; SGPRBlocks: 0
; VGPRBlocks: 0
; NumSGPRsForWavesPerEU: 4
; NumVGPRsForWavesPerEU: 1
; AccumOffset: 4
; Occupancy: 8
; WaveLimiterHint : 0
; COMPUTE_PGM_RSRC2:SCRATCH_EN: 0
; COMPUTE_PGM_RSRC2:USER_SGPR: 6
; COMPUTE_PGM_RSRC2:TRAP_HANDLER: 0
; COMPUTE_PGM_RSRC2:TGID_X_EN: 1
; COMPUTE_PGM_RSRC2:TGID_Y_EN: 0
; COMPUTE_PGM_RSRC2:TGID_Z_EN: 0
; COMPUTE_PGM_RSRC2:TIDIG_COMP_CNT: 0
; COMPUTE_PGM_RSRC3_GFX90A:ACCUM_OFFSET: 0
; COMPUTE_PGM_RSRC3_GFX90A:TG_SPLIT: 0
	.section	.text._ZN7rocprim17ROCPRIM_400000_NS6detail17trampoline_kernelINS0_14default_configENS1_20scan_config_selectorIjEEZZNS1_9scan_implILNS1_25lookback_scan_determinismE0ELb1ELb1ES3_N6thrust23THRUST_200600_302600_NS6detail15normal_iteratorINS9_10device_ptrIjEEEENS9_16discard_iteratorINS9_11use_defaultEEEj11max_functorIjEjEEDaPvRmT3_T4_T5_mT6_P12ihipStream_tbENKUlT_T0_E_clISt17integral_constantIbLb0EESW_IbLb1EEEEDaSS_ST_EUlSS_E_NS1_11comp_targetILNS1_3genE4ELNS1_11target_archE910ELNS1_3gpuE8ELNS1_3repE0EEENS1_30default_config_static_selectorELNS0_4arch9wavefront6targetE1EEEvT1_,"axG",@progbits,_ZN7rocprim17ROCPRIM_400000_NS6detail17trampoline_kernelINS0_14default_configENS1_20scan_config_selectorIjEEZZNS1_9scan_implILNS1_25lookback_scan_determinismE0ELb1ELb1ES3_N6thrust23THRUST_200600_302600_NS6detail15normal_iteratorINS9_10device_ptrIjEEEENS9_16discard_iteratorINS9_11use_defaultEEEj11max_functorIjEjEEDaPvRmT3_T4_T5_mT6_P12ihipStream_tbENKUlT_T0_E_clISt17integral_constantIbLb0EESW_IbLb1EEEEDaSS_ST_EUlSS_E_NS1_11comp_targetILNS1_3genE4ELNS1_11target_archE910ELNS1_3gpuE8ELNS1_3repE0EEENS1_30default_config_static_selectorELNS0_4arch9wavefront6targetE1EEEvT1_,comdat
	.protected	_ZN7rocprim17ROCPRIM_400000_NS6detail17trampoline_kernelINS0_14default_configENS1_20scan_config_selectorIjEEZZNS1_9scan_implILNS1_25lookback_scan_determinismE0ELb1ELb1ES3_N6thrust23THRUST_200600_302600_NS6detail15normal_iteratorINS9_10device_ptrIjEEEENS9_16discard_iteratorINS9_11use_defaultEEEj11max_functorIjEjEEDaPvRmT3_T4_T5_mT6_P12ihipStream_tbENKUlT_T0_E_clISt17integral_constantIbLb0EESW_IbLb1EEEEDaSS_ST_EUlSS_E_NS1_11comp_targetILNS1_3genE4ELNS1_11target_archE910ELNS1_3gpuE8ELNS1_3repE0EEENS1_30default_config_static_selectorELNS0_4arch9wavefront6targetE1EEEvT1_ ; -- Begin function _ZN7rocprim17ROCPRIM_400000_NS6detail17trampoline_kernelINS0_14default_configENS1_20scan_config_selectorIjEEZZNS1_9scan_implILNS1_25lookback_scan_determinismE0ELb1ELb1ES3_N6thrust23THRUST_200600_302600_NS6detail15normal_iteratorINS9_10device_ptrIjEEEENS9_16discard_iteratorINS9_11use_defaultEEEj11max_functorIjEjEEDaPvRmT3_T4_T5_mT6_P12ihipStream_tbENKUlT_T0_E_clISt17integral_constantIbLb0EESW_IbLb1EEEEDaSS_ST_EUlSS_E_NS1_11comp_targetILNS1_3genE4ELNS1_11target_archE910ELNS1_3gpuE8ELNS1_3repE0EEENS1_30default_config_static_selectorELNS0_4arch9wavefront6targetE1EEEvT1_
	.globl	_ZN7rocprim17ROCPRIM_400000_NS6detail17trampoline_kernelINS0_14default_configENS1_20scan_config_selectorIjEEZZNS1_9scan_implILNS1_25lookback_scan_determinismE0ELb1ELb1ES3_N6thrust23THRUST_200600_302600_NS6detail15normal_iteratorINS9_10device_ptrIjEEEENS9_16discard_iteratorINS9_11use_defaultEEEj11max_functorIjEjEEDaPvRmT3_T4_T5_mT6_P12ihipStream_tbENKUlT_T0_E_clISt17integral_constantIbLb0EESW_IbLb1EEEEDaSS_ST_EUlSS_E_NS1_11comp_targetILNS1_3genE4ELNS1_11target_archE910ELNS1_3gpuE8ELNS1_3repE0EEENS1_30default_config_static_selectorELNS0_4arch9wavefront6targetE1EEEvT1_
	.p2align	8
	.type	_ZN7rocprim17ROCPRIM_400000_NS6detail17trampoline_kernelINS0_14default_configENS1_20scan_config_selectorIjEEZZNS1_9scan_implILNS1_25lookback_scan_determinismE0ELb1ELb1ES3_N6thrust23THRUST_200600_302600_NS6detail15normal_iteratorINS9_10device_ptrIjEEEENS9_16discard_iteratorINS9_11use_defaultEEEj11max_functorIjEjEEDaPvRmT3_T4_T5_mT6_P12ihipStream_tbENKUlT_T0_E_clISt17integral_constantIbLb0EESW_IbLb1EEEEDaSS_ST_EUlSS_E_NS1_11comp_targetILNS1_3genE4ELNS1_11target_archE910ELNS1_3gpuE8ELNS1_3repE0EEENS1_30default_config_static_selectorELNS0_4arch9wavefront6targetE1EEEvT1_,@function
_ZN7rocprim17ROCPRIM_400000_NS6detail17trampoline_kernelINS0_14default_configENS1_20scan_config_selectorIjEEZZNS1_9scan_implILNS1_25lookback_scan_determinismE0ELb1ELb1ES3_N6thrust23THRUST_200600_302600_NS6detail15normal_iteratorINS9_10device_ptrIjEEEENS9_16discard_iteratorINS9_11use_defaultEEEj11max_functorIjEjEEDaPvRmT3_T4_T5_mT6_P12ihipStream_tbENKUlT_T0_E_clISt17integral_constantIbLb0EESW_IbLb1EEEEDaSS_ST_EUlSS_E_NS1_11comp_targetILNS1_3genE4ELNS1_11target_archE910ELNS1_3gpuE8ELNS1_3repE0EEENS1_30default_config_static_selectorELNS0_4arch9wavefront6targetE1EEEvT1_: ; @_ZN7rocprim17ROCPRIM_400000_NS6detail17trampoline_kernelINS0_14default_configENS1_20scan_config_selectorIjEEZZNS1_9scan_implILNS1_25lookback_scan_determinismE0ELb1ELb1ES3_N6thrust23THRUST_200600_302600_NS6detail15normal_iteratorINS9_10device_ptrIjEEEENS9_16discard_iteratorINS9_11use_defaultEEEj11max_functorIjEjEEDaPvRmT3_T4_T5_mT6_P12ihipStream_tbENKUlT_T0_E_clISt17integral_constantIbLb0EESW_IbLb1EEEEDaSS_ST_EUlSS_E_NS1_11comp_targetILNS1_3genE4ELNS1_11target_archE910ELNS1_3gpuE8ELNS1_3repE0EEENS1_30default_config_static_selectorELNS0_4arch9wavefront6targetE1EEEvT1_
; %bb.0:
	s_load_dwordx2 s[20:21], s[4:5], 0x20
	s_load_dword s26, s[4:5], 0x28
	s_load_dwordx2 s[6:7], s[4:5], 0x30
	v_cmp_ne_u32_e64 s[2:3], 0, v0
	v_cmp_eq_u32_e64 s[0:1], 0, v0
	s_and_saveexec_b64 s[8:9], s[0:1]
	s_cbranch_execz .LBB3550_4
; %bb.1:
	s_mov_b64 s[12:13], exec
	v_mbcnt_lo_u32_b32 v1, s12, 0
	v_mbcnt_hi_u32_b32 v1, s13, v1
	v_cmp_eq_u32_e32 vcc, 0, v1
                                        ; implicit-def: $vgpr2
	s_and_saveexec_b64 s[10:11], vcc
	s_cbranch_execz .LBB3550_3
; %bb.2:
	s_load_dwordx2 s[14:15], s[4:5], 0x60
	s_bcnt1_i32_b64 s12, s[12:13]
	v_mov_b32_e32 v2, 0
	v_mov_b32_e32 v3, s12
	s_waitcnt lgkmcnt(0)
	global_atomic_add v2, v2, v3, s[14:15] glc
.LBB3550_3:
	s_or_b64 exec, exec, s[10:11]
	s_waitcnt vmcnt(0)
	v_readfirstlane_b32 s10, v2
	v_add_u32_e32 v1, s10, v1
	v_mov_b32_e32 v2, 0
	ds_write_b32 v2, v1
.LBB3550_4:
	s_or_b64 exec, exec, s[8:9]
	v_mov_b32_e32 v3, 0
	s_load_dwordx4 s[16:19], s[4:5], 0x0
	s_load_dword s22, s[4:5], 0x38
	s_load_dwordx8 s[8:15], s[4:5], 0x40
	s_waitcnt lgkmcnt(0)
	s_barrier
	ds_read_b32 v1, v3
	s_lshl_b64 s[4:5], s[18:19], 2
	s_add_u32 s27, s16, s4
	s_movk_i32 s4, 0x500
	s_addc_u32 s28, s17, s5
	s_waitcnt lgkmcnt(0)
	v_mul_lo_u32 v2, v1, s4
	s_add_i32 s4, s22, -1
	s_mul_i32 s5, s4, 0x500
	s_sub_u32 s24, s20, s5
	v_readfirstlane_b32 s29, v1
	s_subb_u32 s25, s21, 0
	v_lshlrev_b64 v[2:3], 2, v[2:3]
	s_cmp_lg_u32 s29, s4
	v_mov_b32_e32 v1, s28
	v_add_co_u32_e32 v12, vcc, s27, v2
	s_cselect_b64 s[16:17], -1, 0
	v_addc_co_u32_e32 v13, vcc, v1, v3, vcc
	s_mov_b64 s[4:5], -1
	s_and_b64 vcc, exec, s[16:17]
	v_lshlrev_b32_e32 v11, 2, v0
	s_barrier
	s_cbranch_vccz .LBB3550_6
; %bb.5:
	v_add_co_u32_e32 v2, vcc, v12, v11
	v_addc_co_u32_e32 v3, vcc, 0, v13, vcc
	flat_load_dword v1, v[2:3]
	flat_load_dword v4, v[2:3] offset:512
	flat_load_dword v5, v[2:3] offset:1024
	;; [unrolled: 1-line block ×7, first 2 shown]
	v_add_co_u32_e32 v2, vcc, 0x1000, v2
	v_addc_co_u32_e32 v3, vcc, 0, v3, vcc
	flat_load_dword v14, v[2:3]
	flat_load_dword v15, v[2:3] offset:512
	s_mov_b64 s[4:5], 0
	s_waitcnt vmcnt(0) lgkmcnt(0)
	ds_write2st64_b32 v11, v1, v4 offset1:2
	ds_write2st64_b32 v11, v5, v6 offset0:4 offset1:6
	ds_write2st64_b32 v11, v7, v8 offset0:8 offset1:10
	;; [unrolled: 1-line block ×4, first 2 shown]
	s_waitcnt lgkmcnt(0)
	s_barrier
.LBB3550_6:
	s_andn2_b64 vcc, exec, s[4:5]
	s_cbranch_vccnz .LBB3550_28
; %bb.7:
	flat_load_dword v1, v[12:13]
	v_cmp_gt_u32_e32 vcc, s24, v0
	s_waitcnt vmcnt(0) lgkmcnt(0)
	v_mov_b32_e32 v2, v1
	v_mov_b32_e32 v3, v1
	;; [unrolled: 1-line block ×9, first 2 shown]
	s_and_saveexec_b64 s[4:5], vcc
	s_cbranch_execz .LBB3550_9
; %bb.8:
	v_add_co_u32_e32 v14, vcc, v12, v11
	v_addc_co_u32_e32 v15, vcc, 0, v13, vcc
	flat_load_dword v10, v[14:15]
.LBB3550_9:
	s_or_b64 exec, exec, s[4:5]
	v_or_b32_e32 v14, 0x80, v0
	v_cmp_gt_u32_e32 vcc, s24, v14
	s_and_saveexec_b64 s[4:5], vcc
	s_cbranch_execz .LBB3550_11
; %bb.10:
	v_add_co_u32_e32 v14, vcc, v12, v11
	v_addc_co_u32_e32 v15, vcc, 0, v13, vcc
	flat_load_dword v1, v[14:15] offset:512
.LBB3550_11:
	s_or_b64 exec, exec, s[4:5]
	v_or_b32_e32 v14, 0x100, v0
	v_cmp_gt_u32_e32 vcc, s24, v14
	s_and_saveexec_b64 s[4:5], vcc
	s_cbranch_execz .LBB3550_13
; %bb.12:
	v_add_co_u32_e32 v14, vcc, v12, v11
	v_addc_co_u32_e32 v15, vcc, 0, v13, vcc
	flat_load_dword v2, v[14:15] offset:1024
.LBB3550_13:
	;; [unrolled: 10-line block ×7, first 2 shown]
	s_or_b64 exec, exec, s[4:5]
	v_or_b32_e32 v14, 0x400, v0
	v_cmp_gt_u32_e32 vcc, s24, v14
	s_and_saveexec_b64 s[4:5], vcc
	s_cbranch_execz .LBB3550_25
; %bb.24:
	v_lshlrev_b32_e32 v8, 2, v14
	v_add_co_u32_e32 v14, vcc, v12, v8
	v_addc_co_u32_e32 v15, vcc, 0, v13, vcc
	flat_load_dword v8, v[14:15]
.LBB3550_25:
	s_or_b64 exec, exec, s[4:5]
	v_or_b32_e32 v14, 0x480, v0
	v_cmp_gt_u32_e32 vcc, s24, v14
	s_and_saveexec_b64 s[4:5], vcc
	s_cbranch_execz .LBB3550_27
; %bb.26:
	v_lshlrev_b32_e32 v9, 2, v14
	v_add_co_u32_e32 v12, vcc, v12, v9
	v_addc_co_u32_e32 v13, vcc, 0, v13, vcc
	flat_load_dword v9, v[12:13]
.LBB3550_27:
	s_or_b64 exec, exec, s[4:5]
	s_waitcnt vmcnt(0) lgkmcnt(0)
	ds_write2st64_b32 v11, v10, v1 offset1:2
	ds_write2st64_b32 v11, v2, v3 offset0:4 offset1:6
	ds_write2st64_b32 v11, v4, v5 offset0:8 offset1:10
	;; [unrolled: 1-line block ×4, first 2 shown]
	s_waitcnt lgkmcnt(0)
	s_barrier
.LBB3550_28:
	v_mul_u32_u24_e32 v22, 10, v0
	v_lshlrev_b32_e32 v23, 2, v22
	ds_read2_b64 v[16:19], v23 offset1:1
	ds_read2_b64 v[12:15], v23 offset0:2 offset1:3
	ds_read_b64 v[20:21], v23 offset:32
	s_cmp_lg_u32 s29, 0
	v_cmp_gt_u32_e32 vcc, 64, v0
	s_waitcnt lgkmcnt(2)
	v_max_u32_e32 v1, v16, v17
	v_max3_u32 v24, v1, v18, v19
	v_lshrrev_b32_e32 v1, 5, v0
	s_waitcnt lgkmcnt(0)
	s_barrier
	s_cbranch_scc0 .LBB3550_53
; %bb.29:
	v_max3_u32 v2, v24, v12, v13
	v_max3_u32 v2, v2, v14, v15
	;; [unrolled: 1-line block ×3, first 2 shown]
	v_add_lshl_u32 v2, v1, v0, 2
	ds_write_b32 v2, v25
	s_waitcnt lgkmcnt(0)
	s_barrier
	s_and_saveexec_b64 s[18:19], vcc
	s_cbranch_execz .LBB3550_31
; %bb.30:
	v_lshlrev_b32_e32 v2, 1, v0
	v_lshrrev_b32_e32 v3, 4, v0
	v_add_lshl_u32 v4, v3, v2, 2
	ds_read2_b32 v[2:3], v4 offset1:1
	v_mbcnt_lo_u32_b32 v5, -1, 0
	v_mbcnt_hi_u32_b32 v5, -1, v5
	v_and_b32_e32 v6, 15, v5
	v_cmp_eq_u32_e64 s[4:5], 0, v6
	s_waitcnt lgkmcnt(0)
	v_max_u32_e32 v3, v2, v3
	; wave barrier
	s_nop 1
	v_mov_b32_dpp v7, v3 row_shr:1 row_mask:0xf bank_mask:0xf
	v_max_u32_e32 v7, v7, v3
	v_cndmask_b32_e64 v3, v7, v3, s[4:5]
	v_cmp_lt_u32_e64 s[4:5], 1, v6
	s_nop 0
	v_mov_b32_dpp v7, v3 row_shr:2 row_mask:0xf bank_mask:0xf
	v_max_u32_e32 v7, v7, v3
	v_cndmask_b32_e64 v3, v3, v7, s[4:5]
	v_cmp_lt_u32_e64 s[4:5], 3, v6
	;; [unrolled: 5-line block ×3, first 2 shown]
	s_nop 0
	v_mov_b32_dpp v7, v3 row_shr:8 row_mask:0xf bank_mask:0xf
	v_max_u32_e32 v7, v7, v3
	v_cndmask_b32_e64 v3, v3, v7, s[4:5]
	v_and_b32_e32 v7, 16, v5
	v_cmp_eq_u32_e64 s[4:5], 0, v7
	v_mov_b32_dpp v6, v3 row_bcast:15 row_mask:0xf bank_mask:0xf
	v_max_u32_e32 v6, v6, v3
	v_cndmask_b32_e64 v3, v6, v3, s[4:5]
	v_cmp_lt_u32_e64 s[4:5], 31, v5
	v_and_b32_e32 v7, 64, v5
	v_mov_b32_dpp v6, v3 row_bcast:31 row_mask:0xf bank_mask:0xf
	v_max_u32_e32 v6, v6, v3
	v_cndmask_b32_e64 v3, v3, v6, s[4:5]
	v_add_u32_e32 v6, -1, v5
	v_cmp_lt_i32_e64 s[4:5], v6, v7
	v_cndmask_b32_e64 v5, v6, v5, s[4:5]
	v_lshlrev_b32_e32 v5, 2, v5
	ds_bpermute_b32 v3, v5, v3
	s_waitcnt lgkmcnt(0)
	v_max_u32_e32 v2, v3, v2
	v_cndmask_b32_e64 v2, v2, v25, s[0:1]
	ds_write_b32 v4, v2
	; wave barrier
	ds_read_b32 v3, v4 offset:4
	s_waitcnt lgkmcnt(0)
	v_max_u32_e32 v2, v2, v3
	ds_write_b32 v4, v2 offset:4
.LBB3550_31:
	s_or_b64 exec, exec, s[18:19]
	s_waitcnt lgkmcnt(0)
	s_barrier
	s_and_saveexec_b64 s[4:5], s[2:3]
	s_cbranch_execz .LBB3550_33
; %bb.32:
	v_add_u32_e32 v2, -1, v0
	v_lshrrev_b32_e32 v3, 5, v2
	v_add_lshl_u32 v2, v3, v2, 2
	ds_read_b32 v25, v2
.LBB3550_33:
	s_or_b64 exec, exec, s[4:5]
	s_and_saveexec_b64 s[18:19], vcc
	s_cbranch_execz .LBB3550_52
; %bb.34:
	v_mov_b32_e32 v9, 0
	ds_read_b32 v2, v9 offset:520
	v_mbcnt_lo_u32_b32 v3, -1, 0
	v_mbcnt_hi_u32_b32 v5, -1, v3
	s_mov_b32 s23, 0
	v_cmp_eq_u32_e64 s[4:5], 0, v5
	s_and_saveexec_b64 s[20:21], s[4:5]
	s_cbranch_execz .LBB3550_36
; %bb.35:
	s_add_i32 s22, s29, 64
	s_lshl_b64 s[22:23], s[22:23], 3
	s_add_u32 s22, s6, s22
	v_mov_b32_e32 v3, 1
	s_addc_u32 s23, s7, s23
	s_waitcnt lgkmcnt(0)
	global_store_dwordx2 v9, v[2:3], s[22:23]
.LBB3550_36:
	s_or_b64 exec, exec, s[20:21]
	v_xad_u32 v4, v5, -1, s29
	v_add_u32_e32 v8, 64, v4
	v_lshlrev_b64 v[6:7], 3, v[8:9]
	v_mov_b32_e32 v3, s7
	v_add_co_u32_e32 v10, vcc, s6, v6
	v_addc_co_u32_e32 v11, vcc, v3, v7, vcc
	global_load_dwordx2 v[6:7], v[10:11], off glc
	s_waitcnt vmcnt(0)
	v_cmp_eq_u16_sdwa s[22:23], v7, v9 src0_sel:BYTE_0 src1_sel:DWORD
	s_and_saveexec_b64 s[20:21], s[22:23]
	s_cbranch_execz .LBB3550_40
; %bb.37:
	s_mov_b64 s[22:23], 0
	v_mov_b32_e32 v3, 0
.LBB3550_38:                            ; =>This Inner Loop Header: Depth=1
	global_load_dwordx2 v[6:7], v[10:11], off glc
	s_waitcnt vmcnt(0)
	v_cmp_ne_u16_sdwa s[30:31], v7, v3 src0_sel:BYTE_0 src1_sel:DWORD
	s_or_b64 s[22:23], s[30:31], s[22:23]
	s_andn2_b64 exec, exec, s[22:23]
	s_cbranch_execnz .LBB3550_38
; %bb.39:
	s_or_b64 exec, exec, s[22:23]
.LBB3550_40:
	s_or_b64 exec, exec, s[20:21]
	v_and_b32_e32 v26, 63, v5
	v_cmp_ne_u32_e32 vcc, 63, v26
	v_mov_b32_e32 v3, 2
	v_addc_co_u32_e32 v27, vcc, 0, v5, vcc
	v_cmp_eq_u16_sdwa s[20:21], v7, v3 src0_sel:BYTE_0 src1_sel:DWORD
	v_lshlrev_b64 v[8:9], v5, -1
	v_lshlrev_b32_e32 v27, 2, v27
	v_and_b32_e32 v10, s21, v9
	ds_bpermute_b32 v28, v27, v6
	v_or_b32_e32 v10, 0x80000000, v10
	v_and_b32_e32 v11, s20, v8
	v_ffbl_b32_e32 v10, v10
	v_add_u32_e32 v10, 32, v10
	v_ffbl_b32_e32 v11, v11
	v_min_u32_e32 v10, v11, v10
	s_waitcnt lgkmcnt(0)
	v_max_u32_e32 v11, v28, v6
	v_cmp_lt_u32_e32 vcc, v26, v10
	v_cndmask_b32_e32 v6, v6, v11, vcc
	v_cmp_gt_u32_e32 vcc, 62, v26
	v_cndmask_b32_e64 v11, 0, 1, vcc
	v_lshlrev_b32_e32 v11, 1, v11
	v_add_lshl_u32 v28, v11, v5, 2
	ds_bpermute_b32 v11, v28, v6
	v_add_u32_e32 v29, 2, v26
	v_cmp_gt_u32_e32 vcc, v29, v10
	v_add_u32_e32 v31, 4, v26
	v_add_u32_e32 v33, 8, v26
	s_waitcnt lgkmcnt(0)
	v_max_u32_e32 v11, v11, v6
	v_cndmask_b32_e32 v6, v11, v6, vcc
	v_cmp_gt_u32_e32 vcc, 60, v26
	v_cndmask_b32_e64 v11, 0, 1, vcc
	v_lshlrev_b32_e32 v11, 2, v11
	v_add_lshl_u32 v30, v11, v5, 2
	ds_bpermute_b32 v11, v30, v6
	v_cmp_gt_u32_e32 vcc, v31, v10
	v_add_u32_e32 v36, 16, v26
	v_add_u32_e32 v38, 32, v26
	s_waitcnt lgkmcnt(0)
	v_max_u32_e32 v11, v11, v6
	v_cndmask_b32_e32 v6, v11, v6, vcc
	v_cmp_gt_u32_e32 vcc, 56, v26
	v_cndmask_b32_e64 v11, 0, 1, vcc
	v_lshlrev_b32_e32 v11, 3, v11
	v_add_lshl_u32 v32, v11, v5, 2
	ds_bpermute_b32 v11, v32, v6
	v_cmp_gt_u32_e32 vcc, v33, v10
	s_waitcnt lgkmcnt(0)
	v_max_u32_e32 v11, v11, v6
	v_cndmask_b32_e32 v6, v11, v6, vcc
	v_cmp_gt_u32_e32 vcc, 48, v26
	v_cndmask_b32_e64 v11, 0, 1, vcc
	v_lshlrev_b32_e32 v11, 4, v11
	v_add_lshl_u32 v34, v11, v5, 2
	ds_bpermute_b32 v11, v34, v6
	v_cmp_gt_u32_e32 vcc, v36, v10
	;; [unrolled: 9-line block ×3, first 2 shown]
	s_waitcnt lgkmcnt(0)
	v_max_u32_e32 v5, v5, v6
	v_cndmask_b32_e32 v6, v5, v6, vcc
	v_mov_b32_e32 v5, 0
	s_branch .LBB3550_42
.LBB3550_41:                            ;   in Loop: Header=BB3550_42 Depth=1
	s_or_b64 exec, exec, s[20:21]
	v_cmp_eq_u16_sdwa s[20:21], v7, v3 src0_sel:BYTE_0 src1_sel:DWORD
	v_and_b32_e32 v10, s21, v9
	ds_bpermute_b32 v39, v27, v6
	v_or_b32_e32 v10, 0x80000000, v10
	v_and_b32_e32 v11, s20, v8
	v_ffbl_b32_e32 v10, v10
	v_add_u32_e32 v10, 32, v10
	v_ffbl_b32_e32 v11, v11
	v_min_u32_e32 v10, v11, v10
	s_waitcnt lgkmcnt(0)
	v_max_u32_e32 v11, v39, v6
	v_cmp_lt_u32_e32 vcc, v26, v10
	v_cndmask_b32_e32 v6, v6, v11, vcc
	ds_bpermute_b32 v11, v28, v6
	v_cmp_gt_u32_e32 vcc, v29, v10
	v_subrev_u32_e32 v4, 64, v4
	s_waitcnt lgkmcnt(0)
	v_max_u32_e32 v11, v11, v6
	v_cndmask_b32_e32 v6, v11, v6, vcc
	ds_bpermute_b32 v11, v30, v6
	v_cmp_gt_u32_e32 vcc, v31, v10
	s_waitcnt lgkmcnt(0)
	v_max_u32_e32 v11, v11, v6
	v_cndmask_b32_e32 v6, v11, v6, vcc
	ds_bpermute_b32 v11, v32, v6
	v_cmp_gt_u32_e32 vcc, v33, v10
	;; [unrolled: 5-line block ×4, first 2 shown]
	s_waitcnt lgkmcnt(0)
	v_max_u32_e32 v11, v11, v6
	v_cndmask_b32_e32 v6, v11, v6, vcc
	v_max_u32_e32 v6, v6, v35
.LBB3550_42:                            ; =>This Loop Header: Depth=1
                                        ;     Child Loop BB3550_45 Depth 2
	v_cmp_ne_u16_sdwa s[20:21], v7, v3 src0_sel:BYTE_0 src1_sel:DWORD
	v_cndmask_b32_e64 v7, 0, 1, s[20:21]
	;;#ASMSTART
	;;#ASMEND
	v_cmp_ne_u32_e32 vcc, 0, v7
	s_cmp_lg_u64 vcc, exec
	v_mov_b32_e32 v35, v6
	s_cbranch_scc1 .LBB3550_47
; %bb.43:                               ;   in Loop: Header=BB3550_42 Depth=1
	v_lshlrev_b64 v[6:7], 3, v[4:5]
	v_mov_b32_e32 v11, s7
	v_add_co_u32_e32 v10, vcc, s6, v6
	v_addc_co_u32_e32 v11, vcc, v11, v7, vcc
	global_load_dwordx2 v[6:7], v[10:11], off glc
	s_waitcnt vmcnt(0)
	v_cmp_eq_u16_sdwa s[22:23], v7, v5 src0_sel:BYTE_0 src1_sel:DWORD
	s_and_saveexec_b64 s[20:21], s[22:23]
	s_cbranch_execz .LBB3550_41
; %bb.44:                               ;   in Loop: Header=BB3550_42 Depth=1
	s_mov_b64 s[22:23], 0
.LBB3550_45:                            ;   Parent Loop BB3550_42 Depth=1
                                        ; =>  This Inner Loop Header: Depth=2
	global_load_dwordx2 v[6:7], v[10:11], off glc
	s_waitcnt vmcnt(0)
	v_cmp_ne_u16_sdwa s[30:31], v7, v5 src0_sel:BYTE_0 src1_sel:DWORD
	s_or_b64 s[22:23], s[30:31], s[22:23]
	s_andn2_b64 exec, exec, s[22:23]
	s_cbranch_execnz .LBB3550_45
; %bb.46:                               ;   in Loop: Header=BB3550_42 Depth=1
	s_or_b64 exec, exec, s[22:23]
	s_branch .LBB3550_41
.LBB3550_47:                            ;   in Loop: Header=BB3550_42 Depth=1
                                        ; implicit-def: $vgpr6
                                        ; implicit-def: $vgpr7
	s_cbranch_execz .LBB3550_42
; %bb.48:
	s_and_saveexec_b64 s[20:21], s[4:5]
	s_cbranch_execz .LBB3550_50
; %bb.49:
	s_add_i32 s4, s29, 64
	s_mov_b32 s5, 0
	s_lshl_b64 s[4:5], s[4:5], 3
	s_add_u32 s4, s6, s4
	v_max_u32_e32 v2, v35, v2
	v_mov_b32_e32 v3, 2
	s_addc_u32 s5, s7, s5
	v_mov_b32_e32 v4, 0
	global_store_dwordx2 v4, v[2:3], s[4:5]
.LBB3550_50:
	s_or_b64 exec, exec, s[20:21]
	s_and_b64 exec, exec, s[0:1]
	s_cbranch_execz .LBB3550_52
; %bb.51:
	v_mov_b32_e32 v2, 0
	ds_write_b32 v2, v35
.LBB3550_52:
	s_or_b64 exec, exec, s[18:19]
	v_mov_b32_e32 v2, 0
	s_waitcnt lgkmcnt(0)
	s_barrier
	ds_read_b32 v2, v2
	s_waitcnt lgkmcnt(0)
	v_max_u32_e32 v3, v2, v25
	v_cndmask_b32_e64 v2, v3, v2, s[0:1]
	v_max_u32_e32 v3, v2, v16
	v_max_u32_e32 v4, v3, v17
	;; [unrolled: 1-line block ×9, first 2 shown]
	s_branch .LBB3550_63
.LBB3550_53:
                                        ; implicit-def: $vgpr2_vgpr3_vgpr4_vgpr5_vgpr6_vgpr7_vgpr8_vgpr9_vgpr10_vgpr11
	s_cbranch_execz .LBB3550_63
; %bb.54:
	s_cmp_eq_u64 s[12:13], 0
	v_mov_b32_e32 v25, s26
	s_cbranch_scc1 .LBB3550_56
; %bb.55:
	v_mov_b32_e32 v2, 0
	global_load_dword v4, v2, s[8:9]
	v_mov_b32_e32 v3, s28
	v_add_co_u32_e64 v2, vcc, -4, s27
	v_addc_co_u32_e32 v3, vcc, -1, v3, vcc
	flat_load_dword v2, v[2:3]
	s_waitcnt vmcnt(0) lgkmcnt(0)
	v_max_u32_e32 v25, v4, v2
.LBB3550_56:
	v_max3_u32 v2, v24, v12, v13
	v_max3_u32 v2, v2, v14, v15
	;; [unrolled: 1-line block ×3, first 2 shown]
	v_add_lshl_u32 v1, v1, v0, 2
	v_cmp_gt_u32_e32 vcc, 64, v0
	ds_write_b32 v1, v2
	s_waitcnt lgkmcnt(0)
	s_barrier
	s_and_saveexec_b64 s[4:5], vcc
	s_cbranch_execz .LBB3550_58
; %bb.57:
	v_lshlrev_b32_e32 v1, 1, v0
	v_lshrrev_b32_e32 v3, 4, v0
	v_add_lshl_u32 v1, v3, v1, 2
	ds_read2_b32 v[4:5], v1 offset1:1
	v_mbcnt_lo_u32_b32 v3, -1, 0
	v_mbcnt_hi_u32_b32 v3, -1, v3
	v_and_b32_e32 v6, 15, v3
	v_cmp_eq_u32_e32 vcc, 0, v6
	s_waitcnt lgkmcnt(0)
	v_max_u32_e32 v5, v4, v5
	; wave barrier
	s_nop 1
	v_mov_b32_dpp v7, v5 row_shr:1 row_mask:0xf bank_mask:0xf
	v_max_u32_e32 v7, v7, v5
	v_cndmask_b32_e32 v5, v7, v5, vcc
	v_cmp_lt_u32_e32 vcc, 1, v6
	s_nop 0
	v_mov_b32_dpp v7, v5 row_shr:2 row_mask:0xf bank_mask:0xf
	v_max_u32_e32 v7, v7, v5
	v_cndmask_b32_e32 v5, v5, v7, vcc
	v_cmp_lt_u32_e32 vcc, 3, v6
	;; [unrolled: 5-line block ×3, first 2 shown]
	s_nop 0
	v_mov_b32_dpp v7, v5 row_shr:8 row_mask:0xf bank_mask:0xf
	v_max_u32_e32 v7, v7, v5
	v_cndmask_b32_e32 v5, v5, v7, vcc
	v_and_b32_e32 v7, 16, v3
	v_cmp_eq_u32_e32 vcc, 0, v7
	v_mov_b32_dpp v6, v5 row_bcast:15 row_mask:0xf bank_mask:0xf
	v_max_u32_e32 v6, v6, v5
	v_cndmask_b32_e32 v5, v6, v5, vcc
	v_cmp_lt_u32_e32 vcc, 31, v3
	v_and_b32_e32 v7, 64, v3
	v_mov_b32_dpp v6, v5 row_bcast:31 row_mask:0xf bank_mask:0xf
	v_max_u32_e32 v6, v6, v5
	v_cndmask_b32_e32 v5, v5, v6, vcc
	v_add_u32_e32 v6, -1, v3
	v_cmp_lt_i32_e32 vcc, v6, v7
	v_cndmask_b32_e32 v3, v6, v3, vcc
	v_lshlrev_b32_e32 v3, 2, v3
	ds_bpermute_b32 v3, v3, v5
	s_waitcnt lgkmcnt(0)
	v_max_u32_e32 v3, v3, v4
	v_cndmask_b32_e64 v2, v3, v2, s[0:1]
	ds_write_b32 v1, v2
	; wave barrier
	ds_read_b32 v3, v1 offset:4
	s_waitcnt lgkmcnt(0)
	v_max_u32_e32 v2, v2, v3
	ds_write_b32 v1, v2 offset:4
.LBB3550_58:
	s_or_b64 exec, exec, s[4:5]
	v_mov_b32_e32 v2, v25
	s_waitcnt lgkmcnt(0)
	s_barrier
	s_and_saveexec_b64 s[4:5], s[2:3]
	s_cbranch_execz .LBB3550_60
; %bb.59:
	v_add_u32_e32 v1, -1, v0
	v_lshrrev_b32_e32 v2, 5, v1
	v_add_lshl_u32 v1, v2, v1, 2
	ds_read_b32 v1, v1
	s_waitcnt lgkmcnt(0)
	v_max_u32_e32 v2, v25, v1
.LBB3550_60:
	s_or_b64 exec, exec, s[4:5]
	v_max_u32_e32 v3, v2, v16
	v_max_u32_e32 v4, v3, v17
	;; [unrolled: 1-line block ×9, first 2 shown]
	s_and_saveexec_b64 s[2:3], s[0:1]
	s_cbranch_execz .LBB3550_62
; %bb.61:
	v_mov_b32_e32 v1, 0
	ds_read_b32 v12, v1 offset:520
	v_mov_b32_e32 v13, 2
	s_waitcnt lgkmcnt(0)
	v_max_u32_e32 v12, v25, v12
	global_store_dwordx2 v1, v[12:13], s[6:7] offset:512
.LBB3550_62:
	s_or_b64 exec, exec, s[2:3]
.LBB3550_63:
	s_mov_b64 s[0:1], -1
	s_and_b64 vcc, exec, s[16:17]
	s_barrier
	ds_write2_b64 v23, v[2:3], v[4:5] offset1:1
	ds_write2_b64 v23, v[6:7], v[8:9] offset0:2 offset1:3
	ds_write_b64 v23, v[10:11] offset:32
	s_waitcnt lgkmcnt(0)
	s_cbranch_vccz .LBB3550_65
; %bb.64:
	s_barrier
	s_mov_b64 s[0:1], 0
.LBB3550_65:
	s_andn2_b64 vcc, exec, s[0:1]
	s_cbranch_vccnz .LBB3550_101
; %bb.66:
	v_cmp_lt_u64_e64 s[0:1], s[14:15], 2
	s_and_b64 vcc, exec, s[0:1]
	s_barrier
	s_cbranch_vccnz .LBB3550_101
; %bb.67:
	s_add_u32 s0, s24, -1
	s_addc_u32 s1, s25, -1
	s_add_u32 s2, 0, 0x99986000
	s_addc_u32 s3, 0, 0x59
	s_add_i32 s3, s3, 0x19999940
	s_mul_hi_u32 s7, s2, -10
	s_sub_i32 s7, s7, s2
	s_mul_i32 s8, s3, -10
	s_mul_i32 s4, s2, -10
	s_add_i32 s7, s7, s8
	s_mul_hi_u32 s5, s3, s4
	s_mul_i32 s6, s3, s4
	s_mul_i32 s9, s2, s7
	s_mul_hi_u32 s4, s2, s4
	s_mul_hi_u32 s8, s2, s7
	s_add_u32 s4, s4, s9
	s_addc_u32 s8, 0, s8
	s_add_u32 s4, s4, s6
	s_mul_hi_u32 s9, s3, s7
	s_addc_u32 s4, s8, s5
	s_addc_u32 s5, s9, 0
	s_mul_i32 s6, s3, s7
	s_add_u32 s4, s4, s6
	v_mov_b32_e32 v2, s4
	s_addc_u32 s5, 0, s5
	v_add_co_u32_e32 v2, vcc, s2, v2
	s_cmp_lg_u64 vcc, 0
	s_addc_u32 s2, s3, s5
	v_readfirstlane_b32 s5, v2
	s_mul_i32 s4, s0, s2
	s_mul_hi_u32 s6, s0, s5
	s_mul_hi_u32 s3, s0, s2
	s_add_u32 s4, s6, s4
	s_addc_u32 s3, 0, s3
	s_mul_hi_u32 s7, s1, s5
	s_mul_i32 s5, s1, s5
	s_add_u32 s4, s4, s5
	s_mul_hi_u32 s6, s1, s2
	s_addc_u32 s3, s3, s7
	s_addc_u32 s4, s6, 0
	s_mul_i32 s2, s1, s2
	s_add_u32 s2, s3, s2
	s_addc_u32 s3, 0, s4
	s_add_u32 s4, s2, 1
	s_addc_u32 s5, s3, 0
	s_add_u32 s6, s2, 2
	s_mul_i32 s8, s3, 10
	s_mul_hi_u32 s9, s2, 10
	s_addc_u32 s7, s3, 0
	s_add_i32 s9, s9, s8
	s_mul_i32 s8, s2, 10
	v_mov_b32_e32 v2, s8
	v_sub_co_u32_e32 v2, vcc, s0, v2
	s_cmp_lg_u64 vcc, 0
	s_subb_u32 s8, s1, s9
	v_subrev_co_u32_e32 v3, vcc, 10, v2
	s_cmp_lg_u64 vcc, 0
	s_subb_u32 s9, s8, 0
	v_readfirstlane_b32 s12, v3
	s_cmp_gt_u32 s12, 9
	s_cselect_b32 s12, -1, 0
	s_cmp_eq_u32 s9, 0
	s_cselect_b32 s9, s12, -1
	s_cmp_lg_u32 s9, 0
	s_cselect_b32 s4, s6, s4
	v_readfirstlane_b32 s6, v2
	s_cselect_b32 s5, s7, s5
	s_cmp_gt_u32 s6, 9
	s_cselect_b32 s6, -1, 0
	s_cmp_eq_u32 s8, 0
	s_cselect_b32 s6, s6, -1
	s_cmp_lg_u32 s6, 0
	v_mov_b32_e32 v1, 0
	s_cselect_b32 s3, s5, s3
	s_cselect_b32 s2, s4, s2
	v_cmp_eq_u64_e32 vcc, s[2:3], v[0:1]
	s_and_saveexec_b64 s[2:3], vcc
	s_cbranch_execz .LBB3550_101
; %bb.68:
	s_movk_i32 s2, 0xffdc
	v_mad_i32_i24 v2, v0, s2, v23
	v_mul_hi_u32_u24_e32 v1, 10, v0
	v_mov_b32_e32 v3, s1
	v_sub_co_u32_e32 v0, vcc, s0, v22
	v_subb_co_u32_e32 v1, vcc, v3, v1, vcc
	v_cmp_lt_i64_e32 vcc, 4, v[0:1]
	s_and_saveexec_b64 s[0:1], vcc
	s_xor_b64 s[0:1], exec, s[0:1]
	s_cbranch_execz .LBB3550_86
; %bb.69:
	v_cmp_lt_i64_e32 vcc, 6, v[0:1]
	s_and_saveexec_b64 s[2:3], vcc
	s_xor_b64 s[2:3], exec, s[2:3]
	s_cbranch_execz .LBB3550_79
; %bb.70:
	;; [unrolled: 5-line block ×4, first 2 shown]
	ds_read_b32 v0, v2 offset:4608
	v_mov_b32_e32 v1, 0
                                        ; implicit-def: $vgpr2
	s_waitcnt lgkmcnt(0)
	global_store_dword v1, v0, s[10:11]
.LBB3550_73:
	s_andn2_saveexec_b64 s[6:7], s[6:7]
	s_cbranch_execz .LBB3550_75
; %bb.74:
	ds_read_b32 v0, v2 offset:4096
	v_mov_b32_e32 v1, 0
	s_waitcnt lgkmcnt(0)
	global_store_dword v1, v0, s[10:11]
.LBB3550_75:
	s_or_b64 exec, exec, s[6:7]
                                        ; implicit-def: $vgpr2
.LBB3550_76:
	s_andn2_saveexec_b64 s[4:5], s[4:5]
	s_cbranch_execz .LBB3550_78
; %bb.77:
	ds_read_b32 v0, v2 offset:3584
	v_mov_b32_e32 v1, 0
	s_waitcnt lgkmcnt(0)
	global_store_dword v1, v0, s[10:11]
.LBB3550_78:
	s_or_b64 exec, exec, s[4:5]
                                        ; implicit-def: $vgpr2
                                        ; implicit-def: $vgpr0_vgpr1
.LBB3550_79:
	s_andn2_saveexec_b64 s[2:3], s[2:3]
	s_cbranch_execz .LBB3550_85
; %bb.80:
	v_cmp_lt_i64_e32 vcc, 5, v[0:1]
	s_and_saveexec_b64 s[4:5], vcc
	s_xor_b64 s[4:5], exec, s[4:5]
	s_cbranch_execz .LBB3550_82
; %bb.81:
	ds_read_b32 v0, v2 offset:3072
	v_mov_b32_e32 v1, 0
                                        ; implicit-def: $vgpr2
	s_waitcnt lgkmcnt(0)
	global_store_dword v1, v0, s[10:11]
.LBB3550_82:
	s_andn2_saveexec_b64 s[4:5], s[4:5]
	s_cbranch_execz .LBB3550_84
; %bb.83:
	ds_read_b32 v0, v2 offset:2560
	v_mov_b32_e32 v1, 0
	s_waitcnt lgkmcnt(0)
	global_store_dword v1, v0, s[10:11]
.LBB3550_84:
	s_or_b64 exec, exec, s[4:5]
.LBB3550_85:
	s_or_b64 exec, exec, s[2:3]
                                        ; implicit-def: $vgpr0_vgpr1
                                        ; implicit-def: $vgpr2
.LBB3550_86:
	s_andn2_saveexec_b64 s[0:1], s[0:1]
	s_cbranch_execz .LBB3550_101
; %bb.87:
	v_cmp_lt_i64_e32 vcc, 2, v[0:1]
	s_and_saveexec_b64 s[0:1], vcc
	s_xor_b64 s[0:1], exec, s[0:1]
	s_cbranch_execz .LBB3550_93
; %bb.88:
	v_cmp_lt_i64_e32 vcc, 3, v[0:1]
	s_and_saveexec_b64 s[2:3], vcc
	s_xor_b64 s[2:3], exec, s[2:3]
	s_cbranch_execz .LBB3550_90
; %bb.89:
	ds_read_b32 v0, v2 offset:2048
	v_mov_b32_e32 v1, 0
                                        ; implicit-def: $vgpr2
	s_waitcnt lgkmcnt(0)
	global_store_dword v1, v0, s[10:11]
.LBB3550_90:
	s_andn2_saveexec_b64 s[2:3], s[2:3]
	s_cbranch_execz .LBB3550_92
; %bb.91:
	ds_read_b32 v0, v2 offset:1536
	v_mov_b32_e32 v1, 0
	s_waitcnt lgkmcnt(0)
	global_store_dword v1, v0, s[10:11]
.LBB3550_92:
	s_or_b64 exec, exec, s[2:3]
                                        ; implicit-def: $vgpr0_vgpr1
                                        ; implicit-def: $vgpr2
.LBB3550_93:
	s_andn2_saveexec_b64 s[0:1], s[0:1]
	s_cbranch_execz .LBB3550_101
; %bb.94:
	v_cmp_lt_i64_e32 vcc, 1, v[0:1]
	s_and_saveexec_b64 s[0:1], vcc
	s_xor_b64 s[0:1], exec, s[0:1]
	s_cbranch_execz .LBB3550_96
; %bb.95:
	ds_read_b32 v0, v2 offset:1024
	v_mov_b32_e32 v1, 0
                                        ; implicit-def: $vgpr2
	s_waitcnt lgkmcnt(0)
	global_store_dword v1, v0, s[10:11]
                                        ; implicit-def: $vgpr0_vgpr1
.LBB3550_96:
	s_andn2_saveexec_b64 s[0:1], s[0:1]
	s_cbranch_execz .LBB3550_101
; %bb.97:
	v_cmp_ne_u64_e32 vcc, 1, v[0:1]
	s_and_saveexec_b64 s[0:1], vcc
	s_xor_b64 s[0:1], exec, s[0:1]
	s_cbranch_execz .LBB3550_99
; %bb.98:
	ds_read_b32 v0, v2
	v_mov_b32_e32 v1, 0
                                        ; implicit-def: $vgpr2
	s_waitcnt lgkmcnt(0)
	global_store_dword v1, v0, s[10:11]
.LBB3550_99:
	s_andn2_saveexec_b64 s[0:1], s[0:1]
	s_cbranch_execz .LBB3550_101
; %bb.100:
	ds_read_b32 v0, v2 offset:512
	v_mov_b32_e32 v1, 0
	s_waitcnt lgkmcnt(0)
	global_store_dword v1, v0, s[10:11]
.LBB3550_101:
	s_endpgm
	.section	.rodata,"a",@progbits
	.p2align	6, 0x0
	.amdhsa_kernel _ZN7rocprim17ROCPRIM_400000_NS6detail17trampoline_kernelINS0_14default_configENS1_20scan_config_selectorIjEEZZNS1_9scan_implILNS1_25lookback_scan_determinismE0ELb1ELb1ES3_N6thrust23THRUST_200600_302600_NS6detail15normal_iteratorINS9_10device_ptrIjEEEENS9_16discard_iteratorINS9_11use_defaultEEEj11max_functorIjEjEEDaPvRmT3_T4_T5_mT6_P12ihipStream_tbENKUlT_T0_E_clISt17integral_constantIbLb0EESW_IbLb1EEEEDaSS_ST_EUlSS_E_NS1_11comp_targetILNS1_3genE4ELNS1_11target_archE910ELNS1_3gpuE8ELNS1_3repE0EEENS1_30default_config_static_selectorELNS0_4arch9wavefront6targetE1EEEvT1_
		.amdhsa_group_segment_fixed_size 5120
		.amdhsa_private_segment_fixed_size 0
		.amdhsa_kernarg_size 104
		.amdhsa_user_sgpr_count 6
		.amdhsa_user_sgpr_private_segment_buffer 1
		.amdhsa_user_sgpr_dispatch_ptr 0
		.amdhsa_user_sgpr_queue_ptr 0
		.amdhsa_user_sgpr_kernarg_segment_ptr 1
		.amdhsa_user_sgpr_dispatch_id 0
		.amdhsa_user_sgpr_flat_scratch_init 0
		.amdhsa_user_sgpr_kernarg_preload_length 0
		.amdhsa_user_sgpr_kernarg_preload_offset 0
		.amdhsa_user_sgpr_private_segment_size 0
		.amdhsa_uses_dynamic_stack 0
		.amdhsa_system_sgpr_private_segment_wavefront_offset 0
		.amdhsa_system_sgpr_workgroup_id_x 1
		.amdhsa_system_sgpr_workgroup_id_y 0
		.amdhsa_system_sgpr_workgroup_id_z 0
		.amdhsa_system_sgpr_workgroup_info 0
		.amdhsa_system_vgpr_workitem_id 0
		.amdhsa_next_free_vgpr 40
		.amdhsa_next_free_sgpr 32
		.amdhsa_accum_offset 40
		.amdhsa_reserve_vcc 1
		.amdhsa_reserve_flat_scratch 0
		.amdhsa_float_round_mode_32 0
		.amdhsa_float_round_mode_16_64 0
		.amdhsa_float_denorm_mode_32 3
		.amdhsa_float_denorm_mode_16_64 3
		.amdhsa_dx10_clamp 1
		.amdhsa_ieee_mode 1
		.amdhsa_fp16_overflow 0
		.amdhsa_tg_split 0
		.amdhsa_exception_fp_ieee_invalid_op 0
		.amdhsa_exception_fp_denorm_src 0
		.amdhsa_exception_fp_ieee_div_zero 0
		.amdhsa_exception_fp_ieee_overflow 0
		.amdhsa_exception_fp_ieee_underflow 0
		.amdhsa_exception_fp_ieee_inexact 0
		.amdhsa_exception_int_div_zero 0
	.end_amdhsa_kernel
	.section	.text._ZN7rocprim17ROCPRIM_400000_NS6detail17trampoline_kernelINS0_14default_configENS1_20scan_config_selectorIjEEZZNS1_9scan_implILNS1_25lookback_scan_determinismE0ELb1ELb1ES3_N6thrust23THRUST_200600_302600_NS6detail15normal_iteratorINS9_10device_ptrIjEEEENS9_16discard_iteratorINS9_11use_defaultEEEj11max_functorIjEjEEDaPvRmT3_T4_T5_mT6_P12ihipStream_tbENKUlT_T0_E_clISt17integral_constantIbLb0EESW_IbLb1EEEEDaSS_ST_EUlSS_E_NS1_11comp_targetILNS1_3genE4ELNS1_11target_archE910ELNS1_3gpuE8ELNS1_3repE0EEENS1_30default_config_static_selectorELNS0_4arch9wavefront6targetE1EEEvT1_,"axG",@progbits,_ZN7rocprim17ROCPRIM_400000_NS6detail17trampoline_kernelINS0_14default_configENS1_20scan_config_selectorIjEEZZNS1_9scan_implILNS1_25lookback_scan_determinismE0ELb1ELb1ES3_N6thrust23THRUST_200600_302600_NS6detail15normal_iteratorINS9_10device_ptrIjEEEENS9_16discard_iteratorINS9_11use_defaultEEEj11max_functorIjEjEEDaPvRmT3_T4_T5_mT6_P12ihipStream_tbENKUlT_T0_E_clISt17integral_constantIbLb0EESW_IbLb1EEEEDaSS_ST_EUlSS_E_NS1_11comp_targetILNS1_3genE4ELNS1_11target_archE910ELNS1_3gpuE8ELNS1_3repE0EEENS1_30default_config_static_selectorELNS0_4arch9wavefront6targetE1EEEvT1_,comdat
.Lfunc_end3550:
	.size	_ZN7rocprim17ROCPRIM_400000_NS6detail17trampoline_kernelINS0_14default_configENS1_20scan_config_selectorIjEEZZNS1_9scan_implILNS1_25lookback_scan_determinismE0ELb1ELb1ES3_N6thrust23THRUST_200600_302600_NS6detail15normal_iteratorINS9_10device_ptrIjEEEENS9_16discard_iteratorINS9_11use_defaultEEEj11max_functorIjEjEEDaPvRmT3_T4_T5_mT6_P12ihipStream_tbENKUlT_T0_E_clISt17integral_constantIbLb0EESW_IbLb1EEEEDaSS_ST_EUlSS_E_NS1_11comp_targetILNS1_3genE4ELNS1_11target_archE910ELNS1_3gpuE8ELNS1_3repE0EEENS1_30default_config_static_selectorELNS0_4arch9wavefront6targetE1EEEvT1_, .Lfunc_end3550-_ZN7rocprim17ROCPRIM_400000_NS6detail17trampoline_kernelINS0_14default_configENS1_20scan_config_selectorIjEEZZNS1_9scan_implILNS1_25lookback_scan_determinismE0ELb1ELb1ES3_N6thrust23THRUST_200600_302600_NS6detail15normal_iteratorINS9_10device_ptrIjEEEENS9_16discard_iteratorINS9_11use_defaultEEEj11max_functorIjEjEEDaPvRmT3_T4_T5_mT6_P12ihipStream_tbENKUlT_T0_E_clISt17integral_constantIbLb0EESW_IbLb1EEEEDaSS_ST_EUlSS_E_NS1_11comp_targetILNS1_3genE4ELNS1_11target_archE910ELNS1_3gpuE8ELNS1_3repE0EEENS1_30default_config_static_selectorELNS0_4arch9wavefront6targetE1EEEvT1_
                                        ; -- End function
	.section	.AMDGPU.csdata,"",@progbits
; Kernel info:
; codeLenInByte = 3928
; NumSgprs: 36
; NumVgprs: 40
; NumAgprs: 0
; TotalNumVgprs: 40
; ScratchSize: 0
; MemoryBound: 0
; FloatMode: 240
; IeeeMode: 1
; LDSByteSize: 5120 bytes/workgroup (compile time only)
; SGPRBlocks: 4
; VGPRBlocks: 4
; NumSGPRsForWavesPerEU: 36
; NumVGPRsForWavesPerEU: 40
; AccumOffset: 40
; Occupancy: 6
; WaveLimiterHint : 1
; COMPUTE_PGM_RSRC2:SCRATCH_EN: 0
; COMPUTE_PGM_RSRC2:USER_SGPR: 6
; COMPUTE_PGM_RSRC2:TRAP_HANDLER: 0
; COMPUTE_PGM_RSRC2:TGID_X_EN: 1
; COMPUTE_PGM_RSRC2:TGID_Y_EN: 0
; COMPUTE_PGM_RSRC2:TGID_Z_EN: 0
; COMPUTE_PGM_RSRC2:TIDIG_COMP_CNT: 0
; COMPUTE_PGM_RSRC3_GFX90A:ACCUM_OFFSET: 9
; COMPUTE_PGM_RSRC3_GFX90A:TG_SPLIT: 0
	.section	.text._ZN7rocprim17ROCPRIM_400000_NS6detail17trampoline_kernelINS0_14default_configENS1_20scan_config_selectorIjEEZZNS1_9scan_implILNS1_25lookback_scan_determinismE0ELb1ELb1ES3_N6thrust23THRUST_200600_302600_NS6detail15normal_iteratorINS9_10device_ptrIjEEEENS9_16discard_iteratorINS9_11use_defaultEEEj11max_functorIjEjEEDaPvRmT3_T4_T5_mT6_P12ihipStream_tbENKUlT_T0_E_clISt17integral_constantIbLb0EESW_IbLb1EEEEDaSS_ST_EUlSS_E_NS1_11comp_targetILNS1_3genE3ELNS1_11target_archE908ELNS1_3gpuE7ELNS1_3repE0EEENS1_30default_config_static_selectorELNS0_4arch9wavefront6targetE1EEEvT1_,"axG",@progbits,_ZN7rocprim17ROCPRIM_400000_NS6detail17trampoline_kernelINS0_14default_configENS1_20scan_config_selectorIjEEZZNS1_9scan_implILNS1_25lookback_scan_determinismE0ELb1ELb1ES3_N6thrust23THRUST_200600_302600_NS6detail15normal_iteratorINS9_10device_ptrIjEEEENS9_16discard_iteratorINS9_11use_defaultEEEj11max_functorIjEjEEDaPvRmT3_T4_T5_mT6_P12ihipStream_tbENKUlT_T0_E_clISt17integral_constantIbLb0EESW_IbLb1EEEEDaSS_ST_EUlSS_E_NS1_11comp_targetILNS1_3genE3ELNS1_11target_archE908ELNS1_3gpuE7ELNS1_3repE0EEENS1_30default_config_static_selectorELNS0_4arch9wavefront6targetE1EEEvT1_,comdat
	.protected	_ZN7rocprim17ROCPRIM_400000_NS6detail17trampoline_kernelINS0_14default_configENS1_20scan_config_selectorIjEEZZNS1_9scan_implILNS1_25lookback_scan_determinismE0ELb1ELb1ES3_N6thrust23THRUST_200600_302600_NS6detail15normal_iteratorINS9_10device_ptrIjEEEENS9_16discard_iteratorINS9_11use_defaultEEEj11max_functorIjEjEEDaPvRmT3_T4_T5_mT6_P12ihipStream_tbENKUlT_T0_E_clISt17integral_constantIbLb0EESW_IbLb1EEEEDaSS_ST_EUlSS_E_NS1_11comp_targetILNS1_3genE3ELNS1_11target_archE908ELNS1_3gpuE7ELNS1_3repE0EEENS1_30default_config_static_selectorELNS0_4arch9wavefront6targetE1EEEvT1_ ; -- Begin function _ZN7rocprim17ROCPRIM_400000_NS6detail17trampoline_kernelINS0_14default_configENS1_20scan_config_selectorIjEEZZNS1_9scan_implILNS1_25lookback_scan_determinismE0ELb1ELb1ES3_N6thrust23THRUST_200600_302600_NS6detail15normal_iteratorINS9_10device_ptrIjEEEENS9_16discard_iteratorINS9_11use_defaultEEEj11max_functorIjEjEEDaPvRmT3_T4_T5_mT6_P12ihipStream_tbENKUlT_T0_E_clISt17integral_constantIbLb0EESW_IbLb1EEEEDaSS_ST_EUlSS_E_NS1_11comp_targetILNS1_3genE3ELNS1_11target_archE908ELNS1_3gpuE7ELNS1_3repE0EEENS1_30default_config_static_selectorELNS0_4arch9wavefront6targetE1EEEvT1_
	.globl	_ZN7rocprim17ROCPRIM_400000_NS6detail17trampoline_kernelINS0_14default_configENS1_20scan_config_selectorIjEEZZNS1_9scan_implILNS1_25lookback_scan_determinismE0ELb1ELb1ES3_N6thrust23THRUST_200600_302600_NS6detail15normal_iteratorINS9_10device_ptrIjEEEENS9_16discard_iteratorINS9_11use_defaultEEEj11max_functorIjEjEEDaPvRmT3_T4_T5_mT6_P12ihipStream_tbENKUlT_T0_E_clISt17integral_constantIbLb0EESW_IbLb1EEEEDaSS_ST_EUlSS_E_NS1_11comp_targetILNS1_3genE3ELNS1_11target_archE908ELNS1_3gpuE7ELNS1_3repE0EEENS1_30default_config_static_selectorELNS0_4arch9wavefront6targetE1EEEvT1_
	.p2align	8
	.type	_ZN7rocprim17ROCPRIM_400000_NS6detail17trampoline_kernelINS0_14default_configENS1_20scan_config_selectorIjEEZZNS1_9scan_implILNS1_25lookback_scan_determinismE0ELb1ELb1ES3_N6thrust23THRUST_200600_302600_NS6detail15normal_iteratorINS9_10device_ptrIjEEEENS9_16discard_iteratorINS9_11use_defaultEEEj11max_functorIjEjEEDaPvRmT3_T4_T5_mT6_P12ihipStream_tbENKUlT_T0_E_clISt17integral_constantIbLb0EESW_IbLb1EEEEDaSS_ST_EUlSS_E_NS1_11comp_targetILNS1_3genE3ELNS1_11target_archE908ELNS1_3gpuE7ELNS1_3repE0EEENS1_30default_config_static_selectorELNS0_4arch9wavefront6targetE1EEEvT1_,@function
_ZN7rocprim17ROCPRIM_400000_NS6detail17trampoline_kernelINS0_14default_configENS1_20scan_config_selectorIjEEZZNS1_9scan_implILNS1_25lookback_scan_determinismE0ELb1ELb1ES3_N6thrust23THRUST_200600_302600_NS6detail15normal_iteratorINS9_10device_ptrIjEEEENS9_16discard_iteratorINS9_11use_defaultEEEj11max_functorIjEjEEDaPvRmT3_T4_T5_mT6_P12ihipStream_tbENKUlT_T0_E_clISt17integral_constantIbLb0EESW_IbLb1EEEEDaSS_ST_EUlSS_E_NS1_11comp_targetILNS1_3genE3ELNS1_11target_archE908ELNS1_3gpuE7ELNS1_3repE0EEENS1_30default_config_static_selectorELNS0_4arch9wavefront6targetE1EEEvT1_: ; @_ZN7rocprim17ROCPRIM_400000_NS6detail17trampoline_kernelINS0_14default_configENS1_20scan_config_selectorIjEEZZNS1_9scan_implILNS1_25lookback_scan_determinismE0ELb1ELb1ES3_N6thrust23THRUST_200600_302600_NS6detail15normal_iteratorINS9_10device_ptrIjEEEENS9_16discard_iteratorINS9_11use_defaultEEEj11max_functorIjEjEEDaPvRmT3_T4_T5_mT6_P12ihipStream_tbENKUlT_T0_E_clISt17integral_constantIbLb0EESW_IbLb1EEEEDaSS_ST_EUlSS_E_NS1_11comp_targetILNS1_3genE3ELNS1_11target_archE908ELNS1_3gpuE7ELNS1_3repE0EEENS1_30default_config_static_selectorELNS0_4arch9wavefront6targetE1EEEvT1_
; %bb.0:
	.section	.rodata,"a",@progbits
	.p2align	6, 0x0
	.amdhsa_kernel _ZN7rocprim17ROCPRIM_400000_NS6detail17trampoline_kernelINS0_14default_configENS1_20scan_config_selectorIjEEZZNS1_9scan_implILNS1_25lookback_scan_determinismE0ELb1ELb1ES3_N6thrust23THRUST_200600_302600_NS6detail15normal_iteratorINS9_10device_ptrIjEEEENS9_16discard_iteratorINS9_11use_defaultEEEj11max_functorIjEjEEDaPvRmT3_T4_T5_mT6_P12ihipStream_tbENKUlT_T0_E_clISt17integral_constantIbLb0EESW_IbLb1EEEEDaSS_ST_EUlSS_E_NS1_11comp_targetILNS1_3genE3ELNS1_11target_archE908ELNS1_3gpuE7ELNS1_3repE0EEENS1_30default_config_static_selectorELNS0_4arch9wavefront6targetE1EEEvT1_
		.amdhsa_group_segment_fixed_size 0
		.amdhsa_private_segment_fixed_size 0
		.amdhsa_kernarg_size 104
		.amdhsa_user_sgpr_count 6
		.amdhsa_user_sgpr_private_segment_buffer 1
		.amdhsa_user_sgpr_dispatch_ptr 0
		.amdhsa_user_sgpr_queue_ptr 0
		.amdhsa_user_sgpr_kernarg_segment_ptr 1
		.amdhsa_user_sgpr_dispatch_id 0
		.amdhsa_user_sgpr_flat_scratch_init 0
		.amdhsa_user_sgpr_kernarg_preload_length 0
		.amdhsa_user_sgpr_kernarg_preload_offset 0
		.amdhsa_user_sgpr_private_segment_size 0
		.amdhsa_uses_dynamic_stack 0
		.amdhsa_system_sgpr_private_segment_wavefront_offset 0
		.amdhsa_system_sgpr_workgroup_id_x 1
		.amdhsa_system_sgpr_workgroup_id_y 0
		.amdhsa_system_sgpr_workgroup_id_z 0
		.amdhsa_system_sgpr_workgroup_info 0
		.amdhsa_system_vgpr_workitem_id 0
		.amdhsa_next_free_vgpr 1
		.amdhsa_next_free_sgpr 0
		.amdhsa_accum_offset 4
		.amdhsa_reserve_vcc 0
		.amdhsa_reserve_flat_scratch 0
		.amdhsa_float_round_mode_32 0
		.amdhsa_float_round_mode_16_64 0
		.amdhsa_float_denorm_mode_32 3
		.amdhsa_float_denorm_mode_16_64 3
		.amdhsa_dx10_clamp 1
		.amdhsa_ieee_mode 1
		.amdhsa_fp16_overflow 0
		.amdhsa_tg_split 0
		.amdhsa_exception_fp_ieee_invalid_op 0
		.amdhsa_exception_fp_denorm_src 0
		.amdhsa_exception_fp_ieee_div_zero 0
		.amdhsa_exception_fp_ieee_overflow 0
		.amdhsa_exception_fp_ieee_underflow 0
		.amdhsa_exception_fp_ieee_inexact 0
		.amdhsa_exception_int_div_zero 0
	.end_amdhsa_kernel
	.section	.text._ZN7rocprim17ROCPRIM_400000_NS6detail17trampoline_kernelINS0_14default_configENS1_20scan_config_selectorIjEEZZNS1_9scan_implILNS1_25lookback_scan_determinismE0ELb1ELb1ES3_N6thrust23THRUST_200600_302600_NS6detail15normal_iteratorINS9_10device_ptrIjEEEENS9_16discard_iteratorINS9_11use_defaultEEEj11max_functorIjEjEEDaPvRmT3_T4_T5_mT6_P12ihipStream_tbENKUlT_T0_E_clISt17integral_constantIbLb0EESW_IbLb1EEEEDaSS_ST_EUlSS_E_NS1_11comp_targetILNS1_3genE3ELNS1_11target_archE908ELNS1_3gpuE7ELNS1_3repE0EEENS1_30default_config_static_selectorELNS0_4arch9wavefront6targetE1EEEvT1_,"axG",@progbits,_ZN7rocprim17ROCPRIM_400000_NS6detail17trampoline_kernelINS0_14default_configENS1_20scan_config_selectorIjEEZZNS1_9scan_implILNS1_25lookback_scan_determinismE0ELb1ELb1ES3_N6thrust23THRUST_200600_302600_NS6detail15normal_iteratorINS9_10device_ptrIjEEEENS9_16discard_iteratorINS9_11use_defaultEEEj11max_functorIjEjEEDaPvRmT3_T4_T5_mT6_P12ihipStream_tbENKUlT_T0_E_clISt17integral_constantIbLb0EESW_IbLb1EEEEDaSS_ST_EUlSS_E_NS1_11comp_targetILNS1_3genE3ELNS1_11target_archE908ELNS1_3gpuE7ELNS1_3repE0EEENS1_30default_config_static_selectorELNS0_4arch9wavefront6targetE1EEEvT1_,comdat
.Lfunc_end3551:
	.size	_ZN7rocprim17ROCPRIM_400000_NS6detail17trampoline_kernelINS0_14default_configENS1_20scan_config_selectorIjEEZZNS1_9scan_implILNS1_25lookback_scan_determinismE0ELb1ELb1ES3_N6thrust23THRUST_200600_302600_NS6detail15normal_iteratorINS9_10device_ptrIjEEEENS9_16discard_iteratorINS9_11use_defaultEEEj11max_functorIjEjEEDaPvRmT3_T4_T5_mT6_P12ihipStream_tbENKUlT_T0_E_clISt17integral_constantIbLb0EESW_IbLb1EEEEDaSS_ST_EUlSS_E_NS1_11comp_targetILNS1_3genE3ELNS1_11target_archE908ELNS1_3gpuE7ELNS1_3repE0EEENS1_30default_config_static_selectorELNS0_4arch9wavefront6targetE1EEEvT1_, .Lfunc_end3551-_ZN7rocprim17ROCPRIM_400000_NS6detail17trampoline_kernelINS0_14default_configENS1_20scan_config_selectorIjEEZZNS1_9scan_implILNS1_25lookback_scan_determinismE0ELb1ELb1ES3_N6thrust23THRUST_200600_302600_NS6detail15normal_iteratorINS9_10device_ptrIjEEEENS9_16discard_iteratorINS9_11use_defaultEEEj11max_functorIjEjEEDaPvRmT3_T4_T5_mT6_P12ihipStream_tbENKUlT_T0_E_clISt17integral_constantIbLb0EESW_IbLb1EEEEDaSS_ST_EUlSS_E_NS1_11comp_targetILNS1_3genE3ELNS1_11target_archE908ELNS1_3gpuE7ELNS1_3repE0EEENS1_30default_config_static_selectorELNS0_4arch9wavefront6targetE1EEEvT1_
                                        ; -- End function
	.section	.AMDGPU.csdata,"",@progbits
; Kernel info:
; codeLenInByte = 0
; NumSgprs: 4
; NumVgprs: 0
; NumAgprs: 0
; TotalNumVgprs: 0
; ScratchSize: 0
; MemoryBound: 0
; FloatMode: 240
; IeeeMode: 1
; LDSByteSize: 0 bytes/workgroup (compile time only)
; SGPRBlocks: 0
; VGPRBlocks: 0
; NumSGPRsForWavesPerEU: 4
; NumVGPRsForWavesPerEU: 1
; AccumOffset: 4
; Occupancy: 8
; WaveLimiterHint : 0
; COMPUTE_PGM_RSRC2:SCRATCH_EN: 0
; COMPUTE_PGM_RSRC2:USER_SGPR: 6
; COMPUTE_PGM_RSRC2:TRAP_HANDLER: 0
; COMPUTE_PGM_RSRC2:TGID_X_EN: 1
; COMPUTE_PGM_RSRC2:TGID_Y_EN: 0
; COMPUTE_PGM_RSRC2:TGID_Z_EN: 0
; COMPUTE_PGM_RSRC2:TIDIG_COMP_CNT: 0
; COMPUTE_PGM_RSRC3_GFX90A:ACCUM_OFFSET: 0
; COMPUTE_PGM_RSRC3_GFX90A:TG_SPLIT: 0
	.section	.text._ZN7rocprim17ROCPRIM_400000_NS6detail17trampoline_kernelINS0_14default_configENS1_20scan_config_selectorIjEEZZNS1_9scan_implILNS1_25lookback_scan_determinismE0ELb1ELb1ES3_N6thrust23THRUST_200600_302600_NS6detail15normal_iteratorINS9_10device_ptrIjEEEENS9_16discard_iteratorINS9_11use_defaultEEEj11max_functorIjEjEEDaPvRmT3_T4_T5_mT6_P12ihipStream_tbENKUlT_T0_E_clISt17integral_constantIbLb0EESW_IbLb1EEEEDaSS_ST_EUlSS_E_NS1_11comp_targetILNS1_3genE2ELNS1_11target_archE906ELNS1_3gpuE6ELNS1_3repE0EEENS1_30default_config_static_selectorELNS0_4arch9wavefront6targetE1EEEvT1_,"axG",@progbits,_ZN7rocprim17ROCPRIM_400000_NS6detail17trampoline_kernelINS0_14default_configENS1_20scan_config_selectorIjEEZZNS1_9scan_implILNS1_25lookback_scan_determinismE0ELb1ELb1ES3_N6thrust23THRUST_200600_302600_NS6detail15normal_iteratorINS9_10device_ptrIjEEEENS9_16discard_iteratorINS9_11use_defaultEEEj11max_functorIjEjEEDaPvRmT3_T4_T5_mT6_P12ihipStream_tbENKUlT_T0_E_clISt17integral_constantIbLb0EESW_IbLb1EEEEDaSS_ST_EUlSS_E_NS1_11comp_targetILNS1_3genE2ELNS1_11target_archE906ELNS1_3gpuE6ELNS1_3repE0EEENS1_30default_config_static_selectorELNS0_4arch9wavefront6targetE1EEEvT1_,comdat
	.protected	_ZN7rocprim17ROCPRIM_400000_NS6detail17trampoline_kernelINS0_14default_configENS1_20scan_config_selectorIjEEZZNS1_9scan_implILNS1_25lookback_scan_determinismE0ELb1ELb1ES3_N6thrust23THRUST_200600_302600_NS6detail15normal_iteratorINS9_10device_ptrIjEEEENS9_16discard_iteratorINS9_11use_defaultEEEj11max_functorIjEjEEDaPvRmT3_T4_T5_mT6_P12ihipStream_tbENKUlT_T0_E_clISt17integral_constantIbLb0EESW_IbLb1EEEEDaSS_ST_EUlSS_E_NS1_11comp_targetILNS1_3genE2ELNS1_11target_archE906ELNS1_3gpuE6ELNS1_3repE0EEENS1_30default_config_static_selectorELNS0_4arch9wavefront6targetE1EEEvT1_ ; -- Begin function _ZN7rocprim17ROCPRIM_400000_NS6detail17trampoline_kernelINS0_14default_configENS1_20scan_config_selectorIjEEZZNS1_9scan_implILNS1_25lookback_scan_determinismE0ELb1ELb1ES3_N6thrust23THRUST_200600_302600_NS6detail15normal_iteratorINS9_10device_ptrIjEEEENS9_16discard_iteratorINS9_11use_defaultEEEj11max_functorIjEjEEDaPvRmT3_T4_T5_mT6_P12ihipStream_tbENKUlT_T0_E_clISt17integral_constantIbLb0EESW_IbLb1EEEEDaSS_ST_EUlSS_E_NS1_11comp_targetILNS1_3genE2ELNS1_11target_archE906ELNS1_3gpuE6ELNS1_3repE0EEENS1_30default_config_static_selectorELNS0_4arch9wavefront6targetE1EEEvT1_
	.globl	_ZN7rocprim17ROCPRIM_400000_NS6detail17trampoline_kernelINS0_14default_configENS1_20scan_config_selectorIjEEZZNS1_9scan_implILNS1_25lookback_scan_determinismE0ELb1ELb1ES3_N6thrust23THRUST_200600_302600_NS6detail15normal_iteratorINS9_10device_ptrIjEEEENS9_16discard_iteratorINS9_11use_defaultEEEj11max_functorIjEjEEDaPvRmT3_T4_T5_mT6_P12ihipStream_tbENKUlT_T0_E_clISt17integral_constantIbLb0EESW_IbLb1EEEEDaSS_ST_EUlSS_E_NS1_11comp_targetILNS1_3genE2ELNS1_11target_archE906ELNS1_3gpuE6ELNS1_3repE0EEENS1_30default_config_static_selectorELNS0_4arch9wavefront6targetE1EEEvT1_
	.p2align	8
	.type	_ZN7rocprim17ROCPRIM_400000_NS6detail17trampoline_kernelINS0_14default_configENS1_20scan_config_selectorIjEEZZNS1_9scan_implILNS1_25lookback_scan_determinismE0ELb1ELb1ES3_N6thrust23THRUST_200600_302600_NS6detail15normal_iteratorINS9_10device_ptrIjEEEENS9_16discard_iteratorINS9_11use_defaultEEEj11max_functorIjEjEEDaPvRmT3_T4_T5_mT6_P12ihipStream_tbENKUlT_T0_E_clISt17integral_constantIbLb0EESW_IbLb1EEEEDaSS_ST_EUlSS_E_NS1_11comp_targetILNS1_3genE2ELNS1_11target_archE906ELNS1_3gpuE6ELNS1_3repE0EEENS1_30default_config_static_selectorELNS0_4arch9wavefront6targetE1EEEvT1_,@function
_ZN7rocprim17ROCPRIM_400000_NS6detail17trampoline_kernelINS0_14default_configENS1_20scan_config_selectorIjEEZZNS1_9scan_implILNS1_25lookback_scan_determinismE0ELb1ELb1ES3_N6thrust23THRUST_200600_302600_NS6detail15normal_iteratorINS9_10device_ptrIjEEEENS9_16discard_iteratorINS9_11use_defaultEEEj11max_functorIjEjEEDaPvRmT3_T4_T5_mT6_P12ihipStream_tbENKUlT_T0_E_clISt17integral_constantIbLb0EESW_IbLb1EEEEDaSS_ST_EUlSS_E_NS1_11comp_targetILNS1_3genE2ELNS1_11target_archE906ELNS1_3gpuE6ELNS1_3repE0EEENS1_30default_config_static_selectorELNS0_4arch9wavefront6targetE1EEEvT1_: ; @_ZN7rocprim17ROCPRIM_400000_NS6detail17trampoline_kernelINS0_14default_configENS1_20scan_config_selectorIjEEZZNS1_9scan_implILNS1_25lookback_scan_determinismE0ELb1ELb1ES3_N6thrust23THRUST_200600_302600_NS6detail15normal_iteratorINS9_10device_ptrIjEEEENS9_16discard_iteratorINS9_11use_defaultEEEj11max_functorIjEjEEDaPvRmT3_T4_T5_mT6_P12ihipStream_tbENKUlT_T0_E_clISt17integral_constantIbLb0EESW_IbLb1EEEEDaSS_ST_EUlSS_E_NS1_11comp_targetILNS1_3genE2ELNS1_11target_archE906ELNS1_3gpuE6ELNS1_3repE0EEENS1_30default_config_static_selectorELNS0_4arch9wavefront6targetE1EEEvT1_
; %bb.0:
	.section	.rodata,"a",@progbits
	.p2align	6, 0x0
	.amdhsa_kernel _ZN7rocprim17ROCPRIM_400000_NS6detail17trampoline_kernelINS0_14default_configENS1_20scan_config_selectorIjEEZZNS1_9scan_implILNS1_25lookback_scan_determinismE0ELb1ELb1ES3_N6thrust23THRUST_200600_302600_NS6detail15normal_iteratorINS9_10device_ptrIjEEEENS9_16discard_iteratorINS9_11use_defaultEEEj11max_functorIjEjEEDaPvRmT3_T4_T5_mT6_P12ihipStream_tbENKUlT_T0_E_clISt17integral_constantIbLb0EESW_IbLb1EEEEDaSS_ST_EUlSS_E_NS1_11comp_targetILNS1_3genE2ELNS1_11target_archE906ELNS1_3gpuE6ELNS1_3repE0EEENS1_30default_config_static_selectorELNS0_4arch9wavefront6targetE1EEEvT1_
		.amdhsa_group_segment_fixed_size 0
		.amdhsa_private_segment_fixed_size 0
		.amdhsa_kernarg_size 104
		.amdhsa_user_sgpr_count 6
		.amdhsa_user_sgpr_private_segment_buffer 1
		.amdhsa_user_sgpr_dispatch_ptr 0
		.amdhsa_user_sgpr_queue_ptr 0
		.amdhsa_user_sgpr_kernarg_segment_ptr 1
		.amdhsa_user_sgpr_dispatch_id 0
		.amdhsa_user_sgpr_flat_scratch_init 0
		.amdhsa_user_sgpr_kernarg_preload_length 0
		.amdhsa_user_sgpr_kernarg_preload_offset 0
		.amdhsa_user_sgpr_private_segment_size 0
		.amdhsa_uses_dynamic_stack 0
		.amdhsa_system_sgpr_private_segment_wavefront_offset 0
		.amdhsa_system_sgpr_workgroup_id_x 1
		.amdhsa_system_sgpr_workgroup_id_y 0
		.amdhsa_system_sgpr_workgroup_id_z 0
		.amdhsa_system_sgpr_workgroup_info 0
		.amdhsa_system_vgpr_workitem_id 0
		.amdhsa_next_free_vgpr 1
		.amdhsa_next_free_sgpr 0
		.amdhsa_accum_offset 4
		.amdhsa_reserve_vcc 0
		.amdhsa_reserve_flat_scratch 0
		.amdhsa_float_round_mode_32 0
		.amdhsa_float_round_mode_16_64 0
		.amdhsa_float_denorm_mode_32 3
		.amdhsa_float_denorm_mode_16_64 3
		.amdhsa_dx10_clamp 1
		.amdhsa_ieee_mode 1
		.amdhsa_fp16_overflow 0
		.amdhsa_tg_split 0
		.amdhsa_exception_fp_ieee_invalid_op 0
		.amdhsa_exception_fp_denorm_src 0
		.amdhsa_exception_fp_ieee_div_zero 0
		.amdhsa_exception_fp_ieee_overflow 0
		.amdhsa_exception_fp_ieee_underflow 0
		.amdhsa_exception_fp_ieee_inexact 0
		.amdhsa_exception_int_div_zero 0
	.end_amdhsa_kernel
	.section	.text._ZN7rocprim17ROCPRIM_400000_NS6detail17trampoline_kernelINS0_14default_configENS1_20scan_config_selectorIjEEZZNS1_9scan_implILNS1_25lookback_scan_determinismE0ELb1ELb1ES3_N6thrust23THRUST_200600_302600_NS6detail15normal_iteratorINS9_10device_ptrIjEEEENS9_16discard_iteratorINS9_11use_defaultEEEj11max_functorIjEjEEDaPvRmT3_T4_T5_mT6_P12ihipStream_tbENKUlT_T0_E_clISt17integral_constantIbLb0EESW_IbLb1EEEEDaSS_ST_EUlSS_E_NS1_11comp_targetILNS1_3genE2ELNS1_11target_archE906ELNS1_3gpuE6ELNS1_3repE0EEENS1_30default_config_static_selectorELNS0_4arch9wavefront6targetE1EEEvT1_,"axG",@progbits,_ZN7rocprim17ROCPRIM_400000_NS6detail17trampoline_kernelINS0_14default_configENS1_20scan_config_selectorIjEEZZNS1_9scan_implILNS1_25lookback_scan_determinismE0ELb1ELb1ES3_N6thrust23THRUST_200600_302600_NS6detail15normal_iteratorINS9_10device_ptrIjEEEENS9_16discard_iteratorINS9_11use_defaultEEEj11max_functorIjEjEEDaPvRmT3_T4_T5_mT6_P12ihipStream_tbENKUlT_T0_E_clISt17integral_constantIbLb0EESW_IbLb1EEEEDaSS_ST_EUlSS_E_NS1_11comp_targetILNS1_3genE2ELNS1_11target_archE906ELNS1_3gpuE6ELNS1_3repE0EEENS1_30default_config_static_selectorELNS0_4arch9wavefront6targetE1EEEvT1_,comdat
.Lfunc_end3552:
	.size	_ZN7rocprim17ROCPRIM_400000_NS6detail17trampoline_kernelINS0_14default_configENS1_20scan_config_selectorIjEEZZNS1_9scan_implILNS1_25lookback_scan_determinismE0ELb1ELb1ES3_N6thrust23THRUST_200600_302600_NS6detail15normal_iteratorINS9_10device_ptrIjEEEENS9_16discard_iteratorINS9_11use_defaultEEEj11max_functorIjEjEEDaPvRmT3_T4_T5_mT6_P12ihipStream_tbENKUlT_T0_E_clISt17integral_constantIbLb0EESW_IbLb1EEEEDaSS_ST_EUlSS_E_NS1_11comp_targetILNS1_3genE2ELNS1_11target_archE906ELNS1_3gpuE6ELNS1_3repE0EEENS1_30default_config_static_selectorELNS0_4arch9wavefront6targetE1EEEvT1_, .Lfunc_end3552-_ZN7rocprim17ROCPRIM_400000_NS6detail17trampoline_kernelINS0_14default_configENS1_20scan_config_selectorIjEEZZNS1_9scan_implILNS1_25lookback_scan_determinismE0ELb1ELb1ES3_N6thrust23THRUST_200600_302600_NS6detail15normal_iteratorINS9_10device_ptrIjEEEENS9_16discard_iteratorINS9_11use_defaultEEEj11max_functorIjEjEEDaPvRmT3_T4_T5_mT6_P12ihipStream_tbENKUlT_T0_E_clISt17integral_constantIbLb0EESW_IbLb1EEEEDaSS_ST_EUlSS_E_NS1_11comp_targetILNS1_3genE2ELNS1_11target_archE906ELNS1_3gpuE6ELNS1_3repE0EEENS1_30default_config_static_selectorELNS0_4arch9wavefront6targetE1EEEvT1_
                                        ; -- End function
	.section	.AMDGPU.csdata,"",@progbits
; Kernel info:
; codeLenInByte = 0
; NumSgprs: 4
; NumVgprs: 0
; NumAgprs: 0
; TotalNumVgprs: 0
; ScratchSize: 0
; MemoryBound: 0
; FloatMode: 240
; IeeeMode: 1
; LDSByteSize: 0 bytes/workgroup (compile time only)
; SGPRBlocks: 0
; VGPRBlocks: 0
; NumSGPRsForWavesPerEU: 4
; NumVGPRsForWavesPerEU: 1
; AccumOffset: 4
; Occupancy: 8
; WaveLimiterHint : 0
; COMPUTE_PGM_RSRC2:SCRATCH_EN: 0
; COMPUTE_PGM_RSRC2:USER_SGPR: 6
; COMPUTE_PGM_RSRC2:TRAP_HANDLER: 0
; COMPUTE_PGM_RSRC2:TGID_X_EN: 1
; COMPUTE_PGM_RSRC2:TGID_Y_EN: 0
; COMPUTE_PGM_RSRC2:TGID_Z_EN: 0
; COMPUTE_PGM_RSRC2:TIDIG_COMP_CNT: 0
; COMPUTE_PGM_RSRC3_GFX90A:ACCUM_OFFSET: 0
; COMPUTE_PGM_RSRC3_GFX90A:TG_SPLIT: 0
	.section	.text._ZN7rocprim17ROCPRIM_400000_NS6detail17trampoline_kernelINS0_14default_configENS1_20scan_config_selectorIjEEZZNS1_9scan_implILNS1_25lookback_scan_determinismE0ELb1ELb1ES3_N6thrust23THRUST_200600_302600_NS6detail15normal_iteratorINS9_10device_ptrIjEEEENS9_16discard_iteratorINS9_11use_defaultEEEj11max_functorIjEjEEDaPvRmT3_T4_T5_mT6_P12ihipStream_tbENKUlT_T0_E_clISt17integral_constantIbLb0EESW_IbLb1EEEEDaSS_ST_EUlSS_E_NS1_11comp_targetILNS1_3genE10ELNS1_11target_archE1201ELNS1_3gpuE5ELNS1_3repE0EEENS1_30default_config_static_selectorELNS0_4arch9wavefront6targetE1EEEvT1_,"axG",@progbits,_ZN7rocprim17ROCPRIM_400000_NS6detail17trampoline_kernelINS0_14default_configENS1_20scan_config_selectorIjEEZZNS1_9scan_implILNS1_25lookback_scan_determinismE0ELb1ELb1ES3_N6thrust23THRUST_200600_302600_NS6detail15normal_iteratorINS9_10device_ptrIjEEEENS9_16discard_iteratorINS9_11use_defaultEEEj11max_functorIjEjEEDaPvRmT3_T4_T5_mT6_P12ihipStream_tbENKUlT_T0_E_clISt17integral_constantIbLb0EESW_IbLb1EEEEDaSS_ST_EUlSS_E_NS1_11comp_targetILNS1_3genE10ELNS1_11target_archE1201ELNS1_3gpuE5ELNS1_3repE0EEENS1_30default_config_static_selectorELNS0_4arch9wavefront6targetE1EEEvT1_,comdat
	.protected	_ZN7rocprim17ROCPRIM_400000_NS6detail17trampoline_kernelINS0_14default_configENS1_20scan_config_selectorIjEEZZNS1_9scan_implILNS1_25lookback_scan_determinismE0ELb1ELb1ES3_N6thrust23THRUST_200600_302600_NS6detail15normal_iteratorINS9_10device_ptrIjEEEENS9_16discard_iteratorINS9_11use_defaultEEEj11max_functorIjEjEEDaPvRmT3_T4_T5_mT6_P12ihipStream_tbENKUlT_T0_E_clISt17integral_constantIbLb0EESW_IbLb1EEEEDaSS_ST_EUlSS_E_NS1_11comp_targetILNS1_3genE10ELNS1_11target_archE1201ELNS1_3gpuE5ELNS1_3repE0EEENS1_30default_config_static_selectorELNS0_4arch9wavefront6targetE1EEEvT1_ ; -- Begin function _ZN7rocprim17ROCPRIM_400000_NS6detail17trampoline_kernelINS0_14default_configENS1_20scan_config_selectorIjEEZZNS1_9scan_implILNS1_25lookback_scan_determinismE0ELb1ELb1ES3_N6thrust23THRUST_200600_302600_NS6detail15normal_iteratorINS9_10device_ptrIjEEEENS9_16discard_iteratorINS9_11use_defaultEEEj11max_functorIjEjEEDaPvRmT3_T4_T5_mT6_P12ihipStream_tbENKUlT_T0_E_clISt17integral_constantIbLb0EESW_IbLb1EEEEDaSS_ST_EUlSS_E_NS1_11comp_targetILNS1_3genE10ELNS1_11target_archE1201ELNS1_3gpuE5ELNS1_3repE0EEENS1_30default_config_static_selectorELNS0_4arch9wavefront6targetE1EEEvT1_
	.globl	_ZN7rocprim17ROCPRIM_400000_NS6detail17trampoline_kernelINS0_14default_configENS1_20scan_config_selectorIjEEZZNS1_9scan_implILNS1_25lookback_scan_determinismE0ELb1ELb1ES3_N6thrust23THRUST_200600_302600_NS6detail15normal_iteratorINS9_10device_ptrIjEEEENS9_16discard_iteratorINS9_11use_defaultEEEj11max_functorIjEjEEDaPvRmT3_T4_T5_mT6_P12ihipStream_tbENKUlT_T0_E_clISt17integral_constantIbLb0EESW_IbLb1EEEEDaSS_ST_EUlSS_E_NS1_11comp_targetILNS1_3genE10ELNS1_11target_archE1201ELNS1_3gpuE5ELNS1_3repE0EEENS1_30default_config_static_selectorELNS0_4arch9wavefront6targetE1EEEvT1_
	.p2align	8
	.type	_ZN7rocprim17ROCPRIM_400000_NS6detail17trampoline_kernelINS0_14default_configENS1_20scan_config_selectorIjEEZZNS1_9scan_implILNS1_25lookback_scan_determinismE0ELb1ELb1ES3_N6thrust23THRUST_200600_302600_NS6detail15normal_iteratorINS9_10device_ptrIjEEEENS9_16discard_iteratorINS9_11use_defaultEEEj11max_functorIjEjEEDaPvRmT3_T4_T5_mT6_P12ihipStream_tbENKUlT_T0_E_clISt17integral_constantIbLb0EESW_IbLb1EEEEDaSS_ST_EUlSS_E_NS1_11comp_targetILNS1_3genE10ELNS1_11target_archE1201ELNS1_3gpuE5ELNS1_3repE0EEENS1_30default_config_static_selectorELNS0_4arch9wavefront6targetE1EEEvT1_,@function
_ZN7rocprim17ROCPRIM_400000_NS6detail17trampoline_kernelINS0_14default_configENS1_20scan_config_selectorIjEEZZNS1_9scan_implILNS1_25lookback_scan_determinismE0ELb1ELb1ES3_N6thrust23THRUST_200600_302600_NS6detail15normal_iteratorINS9_10device_ptrIjEEEENS9_16discard_iteratorINS9_11use_defaultEEEj11max_functorIjEjEEDaPvRmT3_T4_T5_mT6_P12ihipStream_tbENKUlT_T0_E_clISt17integral_constantIbLb0EESW_IbLb1EEEEDaSS_ST_EUlSS_E_NS1_11comp_targetILNS1_3genE10ELNS1_11target_archE1201ELNS1_3gpuE5ELNS1_3repE0EEENS1_30default_config_static_selectorELNS0_4arch9wavefront6targetE1EEEvT1_: ; @_ZN7rocprim17ROCPRIM_400000_NS6detail17trampoline_kernelINS0_14default_configENS1_20scan_config_selectorIjEEZZNS1_9scan_implILNS1_25lookback_scan_determinismE0ELb1ELb1ES3_N6thrust23THRUST_200600_302600_NS6detail15normal_iteratorINS9_10device_ptrIjEEEENS9_16discard_iteratorINS9_11use_defaultEEEj11max_functorIjEjEEDaPvRmT3_T4_T5_mT6_P12ihipStream_tbENKUlT_T0_E_clISt17integral_constantIbLb0EESW_IbLb1EEEEDaSS_ST_EUlSS_E_NS1_11comp_targetILNS1_3genE10ELNS1_11target_archE1201ELNS1_3gpuE5ELNS1_3repE0EEENS1_30default_config_static_selectorELNS0_4arch9wavefront6targetE1EEEvT1_
; %bb.0:
	.section	.rodata,"a",@progbits
	.p2align	6, 0x0
	.amdhsa_kernel _ZN7rocprim17ROCPRIM_400000_NS6detail17trampoline_kernelINS0_14default_configENS1_20scan_config_selectorIjEEZZNS1_9scan_implILNS1_25lookback_scan_determinismE0ELb1ELb1ES3_N6thrust23THRUST_200600_302600_NS6detail15normal_iteratorINS9_10device_ptrIjEEEENS9_16discard_iteratorINS9_11use_defaultEEEj11max_functorIjEjEEDaPvRmT3_T4_T5_mT6_P12ihipStream_tbENKUlT_T0_E_clISt17integral_constantIbLb0EESW_IbLb1EEEEDaSS_ST_EUlSS_E_NS1_11comp_targetILNS1_3genE10ELNS1_11target_archE1201ELNS1_3gpuE5ELNS1_3repE0EEENS1_30default_config_static_selectorELNS0_4arch9wavefront6targetE1EEEvT1_
		.amdhsa_group_segment_fixed_size 0
		.amdhsa_private_segment_fixed_size 0
		.amdhsa_kernarg_size 104
		.amdhsa_user_sgpr_count 6
		.amdhsa_user_sgpr_private_segment_buffer 1
		.amdhsa_user_sgpr_dispatch_ptr 0
		.amdhsa_user_sgpr_queue_ptr 0
		.amdhsa_user_sgpr_kernarg_segment_ptr 1
		.amdhsa_user_sgpr_dispatch_id 0
		.amdhsa_user_sgpr_flat_scratch_init 0
		.amdhsa_user_sgpr_kernarg_preload_length 0
		.amdhsa_user_sgpr_kernarg_preload_offset 0
		.amdhsa_user_sgpr_private_segment_size 0
		.amdhsa_uses_dynamic_stack 0
		.amdhsa_system_sgpr_private_segment_wavefront_offset 0
		.amdhsa_system_sgpr_workgroup_id_x 1
		.amdhsa_system_sgpr_workgroup_id_y 0
		.amdhsa_system_sgpr_workgroup_id_z 0
		.amdhsa_system_sgpr_workgroup_info 0
		.amdhsa_system_vgpr_workitem_id 0
		.amdhsa_next_free_vgpr 1
		.amdhsa_next_free_sgpr 0
		.amdhsa_accum_offset 4
		.amdhsa_reserve_vcc 0
		.amdhsa_reserve_flat_scratch 0
		.amdhsa_float_round_mode_32 0
		.amdhsa_float_round_mode_16_64 0
		.amdhsa_float_denorm_mode_32 3
		.amdhsa_float_denorm_mode_16_64 3
		.amdhsa_dx10_clamp 1
		.amdhsa_ieee_mode 1
		.amdhsa_fp16_overflow 0
		.amdhsa_tg_split 0
		.amdhsa_exception_fp_ieee_invalid_op 0
		.amdhsa_exception_fp_denorm_src 0
		.amdhsa_exception_fp_ieee_div_zero 0
		.amdhsa_exception_fp_ieee_overflow 0
		.amdhsa_exception_fp_ieee_underflow 0
		.amdhsa_exception_fp_ieee_inexact 0
		.amdhsa_exception_int_div_zero 0
	.end_amdhsa_kernel
	.section	.text._ZN7rocprim17ROCPRIM_400000_NS6detail17trampoline_kernelINS0_14default_configENS1_20scan_config_selectorIjEEZZNS1_9scan_implILNS1_25lookback_scan_determinismE0ELb1ELb1ES3_N6thrust23THRUST_200600_302600_NS6detail15normal_iteratorINS9_10device_ptrIjEEEENS9_16discard_iteratorINS9_11use_defaultEEEj11max_functorIjEjEEDaPvRmT3_T4_T5_mT6_P12ihipStream_tbENKUlT_T0_E_clISt17integral_constantIbLb0EESW_IbLb1EEEEDaSS_ST_EUlSS_E_NS1_11comp_targetILNS1_3genE10ELNS1_11target_archE1201ELNS1_3gpuE5ELNS1_3repE0EEENS1_30default_config_static_selectorELNS0_4arch9wavefront6targetE1EEEvT1_,"axG",@progbits,_ZN7rocprim17ROCPRIM_400000_NS6detail17trampoline_kernelINS0_14default_configENS1_20scan_config_selectorIjEEZZNS1_9scan_implILNS1_25lookback_scan_determinismE0ELb1ELb1ES3_N6thrust23THRUST_200600_302600_NS6detail15normal_iteratorINS9_10device_ptrIjEEEENS9_16discard_iteratorINS9_11use_defaultEEEj11max_functorIjEjEEDaPvRmT3_T4_T5_mT6_P12ihipStream_tbENKUlT_T0_E_clISt17integral_constantIbLb0EESW_IbLb1EEEEDaSS_ST_EUlSS_E_NS1_11comp_targetILNS1_3genE10ELNS1_11target_archE1201ELNS1_3gpuE5ELNS1_3repE0EEENS1_30default_config_static_selectorELNS0_4arch9wavefront6targetE1EEEvT1_,comdat
.Lfunc_end3553:
	.size	_ZN7rocprim17ROCPRIM_400000_NS6detail17trampoline_kernelINS0_14default_configENS1_20scan_config_selectorIjEEZZNS1_9scan_implILNS1_25lookback_scan_determinismE0ELb1ELb1ES3_N6thrust23THRUST_200600_302600_NS6detail15normal_iteratorINS9_10device_ptrIjEEEENS9_16discard_iteratorINS9_11use_defaultEEEj11max_functorIjEjEEDaPvRmT3_T4_T5_mT6_P12ihipStream_tbENKUlT_T0_E_clISt17integral_constantIbLb0EESW_IbLb1EEEEDaSS_ST_EUlSS_E_NS1_11comp_targetILNS1_3genE10ELNS1_11target_archE1201ELNS1_3gpuE5ELNS1_3repE0EEENS1_30default_config_static_selectorELNS0_4arch9wavefront6targetE1EEEvT1_, .Lfunc_end3553-_ZN7rocprim17ROCPRIM_400000_NS6detail17trampoline_kernelINS0_14default_configENS1_20scan_config_selectorIjEEZZNS1_9scan_implILNS1_25lookback_scan_determinismE0ELb1ELb1ES3_N6thrust23THRUST_200600_302600_NS6detail15normal_iteratorINS9_10device_ptrIjEEEENS9_16discard_iteratorINS9_11use_defaultEEEj11max_functorIjEjEEDaPvRmT3_T4_T5_mT6_P12ihipStream_tbENKUlT_T0_E_clISt17integral_constantIbLb0EESW_IbLb1EEEEDaSS_ST_EUlSS_E_NS1_11comp_targetILNS1_3genE10ELNS1_11target_archE1201ELNS1_3gpuE5ELNS1_3repE0EEENS1_30default_config_static_selectorELNS0_4arch9wavefront6targetE1EEEvT1_
                                        ; -- End function
	.section	.AMDGPU.csdata,"",@progbits
; Kernel info:
; codeLenInByte = 0
; NumSgprs: 4
; NumVgprs: 0
; NumAgprs: 0
; TotalNumVgprs: 0
; ScratchSize: 0
; MemoryBound: 0
; FloatMode: 240
; IeeeMode: 1
; LDSByteSize: 0 bytes/workgroup (compile time only)
; SGPRBlocks: 0
; VGPRBlocks: 0
; NumSGPRsForWavesPerEU: 4
; NumVGPRsForWavesPerEU: 1
; AccumOffset: 4
; Occupancy: 8
; WaveLimiterHint : 0
; COMPUTE_PGM_RSRC2:SCRATCH_EN: 0
; COMPUTE_PGM_RSRC2:USER_SGPR: 6
; COMPUTE_PGM_RSRC2:TRAP_HANDLER: 0
; COMPUTE_PGM_RSRC2:TGID_X_EN: 1
; COMPUTE_PGM_RSRC2:TGID_Y_EN: 0
; COMPUTE_PGM_RSRC2:TGID_Z_EN: 0
; COMPUTE_PGM_RSRC2:TIDIG_COMP_CNT: 0
; COMPUTE_PGM_RSRC3_GFX90A:ACCUM_OFFSET: 0
; COMPUTE_PGM_RSRC3_GFX90A:TG_SPLIT: 0
	.section	.text._ZN7rocprim17ROCPRIM_400000_NS6detail17trampoline_kernelINS0_14default_configENS1_20scan_config_selectorIjEEZZNS1_9scan_implILNS1_25lookback_scan_determinismE0ELb1ELb1ES3_N6thrust23THRUST_200600_302600_NS6detail15normal_iteratorINS9_10device_ptrIjEEEENS9_16discard_iteratorINS9_11use_defaultEEEj11max_functorIjEjEEDaPvRmT3_T4_T5_mT6_P12ihipStream_tbENKUlT_T0_E_clISt17integral_constantIbLb0EESW_IbLb1EEEEDaSS_ST_EUlSS_E_NS1_11comp_targetILNS1_3genE10ELNS1_11target_archE1200ELNS1_3gpuE4ELNS1_3repE0EEENS1_30default_config_static_selectorELNS0_4arch9wavefront6targetE1EEEvT1_,"axG",@progbits,_ZN7rocprim17ROCPRIM_400000_NS6detail17trampoline_kernelINS0_14default_configENS1_20scan_config_selectorIjEEZZNS1_9scan_implILNS1_25lookback_scan_determinismE0ELb1ELb1ES3_N6thrust23THRUST_200600_302600_NS6detail15normal_iteratorINS9_10device_ptrIjEEEENS9_16discard_iteratorINS9_11use_defaultEEEj11max_functorIjEjEEDaPvRmT3_T4_T5_mT6_P12ihipStream_tbENKUlT_T0_E_clISt17integral_constantIbLb0EESW_IbLb1EEEEDaSS_ST_EUlSS_E_NS1_11comp_targetILNS1_3genE10ELNS1_11target_archE1200ELNS1_3gpuE4ELNS1_3repE0EEENS1_30default_config_static_selectorELNS0_4arch9wavefront6targetE1EEEvT1_,comdat
	.protected	_ZN7rocprim17ROCPRIM_400000_NS6detail17trampoline_kernelINS0_14default_configENS1_20scan_config_selectorIjEEZZNS1_9scan_implILNS1_25lookback_scan_determinismE0ELb1ELb1ES3_N6thrust23THRUST_200600_302600_NS6detail15normal_iteratorINS9_10device_ptrIjEEEENS9_16discard_iteratorINS9_11use_defaultEEEj11max_functorIjEjEEDaPvRmT3_T4_T5_mT6_P12ihipStream_tbENKUlT_T0_E_clISt17integral_constantIbLb0EESW_IbLb1EEEEDaSS_ST_EUlSS_E_NS1_11comp_targetILNS1_3genE10ELNS1_11target_archE1200ELNS1_3gpuE4ELNS1_3repE0EEENS1_30default_config_static_selectorELNS0_4arch9wavefront6targetE1EEEvT1_ ; -- Begin function _ZN7rocprim17ROCPRIM_400000_NS6detail17trampoline_kernelINS0_14default_configENS1_20scan_config_selectorIjEEZZNS1_9scan_implILNS1_25lookback_scan_determinismE0ELb1ELb1ES3_N6thrust23THRUST_200600_302600_NS6detail15normal_iteratorINS9_10device_ptrIjEEEENS9_16discard_iteratorINS9_11use_defaultEEEj11max_functorIjEjEEDaPvRmT3_T4_T5_mT6_P12ihipStream_tbENKUlT_T0_E_clISt17integral_constantIbLb0EESW_IbLb1EEEEDaSS_ST_EUlSS_E_NS1_11comp_targetILNS1_3genE10ELNS1_11target_archE1200ELNS1_3gpuE4ELNS1_3repE0EEENS1_30default_config_static_selectorELNS0_4arch9wavefront6targetE1EEEvT1_
	.globl	_ZN7rocprim17ROCPRIM_400000_NS6detail17trampoline_kernelINS0_14default_configENS1_20scan_config_selectorIjEEZZNS1_9scan_implILNS1_25lookback_scan_determinismE0ELb1ELb1ES3_N6thrust23THRUST_200600_302600_NS6detail15normal_iteratorINS9_10device_ptrIjEEEENS9_16discard_iteratorINS9_11use_defaultEEEj11max_functorIjEjEEDaPvRmT3_T4_T5_mT6_P12ihipStream_tbENKUlT_T0_E_clISt17integral_constantIbLb0EESW_IbLb1EEEEDaSS_ST_EUlSS_E_NS1_11comp_targetILNS1_3genE10ELNS1_11target_archE1200ELNS1_3gpuE4ELNS1_3repE0EEENS1_30default_config_static_selectorELNS0_4arch9wavefront6targetE1EEEvT1_
	.p2align	8
	.type	_ZN7rocprim17ROCPRIM_400000_NS6detail17trampoline_kernelINS0_14default_configENS1_20scan_config_selectorIjEEZZNS1_9scan_implILNS1_25lookback_scan_determinismE0ELb1ELb1ES3_N6thrust23THRUST_200600_302600_NS6detail15normal_iteratorINS9_10device_ptrIjEEEENS9_16discard_iteratorINS9_11use_defaultEEEj11max_functorIjEjEEDaPvRmT3_T4_T5_mT6_P12ihipStream_tbENKUlT_T0_E_clISt17integral_constantIbLb0EESW_IbLb1EEEEDaSS_ST_EUlSS_E_NS1_11comp_targetILNS1_3genE10ELNS1_11target_archE1200ELNS1_3gpuE4ELNS1_3repE0EEENS1_30default_config_static_selectorELNS0_4arch9wavefront6targetE1EEEvT1_,@function
_ZN7rocprim17ROCPRIM_400000_NS6detail17trampoline_kernelINS0_14default_configENS1_20scan_config_selectorIjEEZZNS1_9scan_implILNS1_25lookback_scan_determinismE0ELb1ELb1ES3_N6thrust23THRUST_200600_302600_NS6detail15normal_iteratorINS9_10device_ptrIjEEEENS9_16discard_iteratorINS9_11use_defaultEEEj11max_functorIjEjEEDaPvRmT3_T4_T5_mT6_P12ihipStream_tbENKUlT_T0_E_clISt17integral_constantIbLb0EESW_IbLb1EEEEDaSS_ST_EUlSS_E_NS1_11comp_targetILNS1_3genE10ELNS1_11target_archE1200ELNS1_3gpuE4ELNS1_3repE0EEENS1_30default_config_static_selectorELNS0_4arch9wavefront6targetE1EEEvT1_: ; @_ZN7rocprim17ROCPRIM_400000_NS6detail17trampoline_kernelINS0_14default_configENS1_20scan_config_selectorIjEEZZNS1_9scan_implILNS1_25lookback_scan_determinismE0ELb1ELb1ES3_N6thrust23THRUST_200600_302600_NS6detail15normal_iteratorINS9_10device_ptrIjEEEENS9_16discard_iteratorINS9_11use_defaultEEEj11max_functorIjEjEEDaPvRmT3_T4_T5_mT6_P12ihipStream_tbENKUlT_T0_E_clISt17integral_constantIbLb0EESW_IbLb1EEEEDaSS_ST_EUlSS_E_NS1_11comp_targetILNS1_3genE10ELNS1_11target_archE1200ELNS1_3gpuE4ELNS1_3repE0EEENS1_30default_config_static_selectorELNS0_4arch9wavefront6targetE1EEEvT1_
; %bb.0:
	.section	.rodata,"a",@progbits
	.p2align	6, 0x0
	.amdhsa_kernel _ZN7rocprim17ROCPRIM_400000_NS6detail17trampoline_kernelINS0_14default_configENS1_20scan_config_selectorIjEEZZNS1_9scan_implILNS1_25lookback_scan_determinismE0ELb1ELb1ES3_N6thrust23THRUST_200600_302600_NS6detail15normal_iteratorINS9_10device_ptrIjEEEENS9_16discard_iteratorINS9_11use_defaultEEEj11max_functorIjEjEEDaPvRmT3_T4_T5_mT6_P12ihipStream_tbENKUlT_T0_E_clISt17integral_constantIbLb0EESW_IbLb1EEEEDaSS_ST_EUlSS_E_NS1_11comp_targetILNS1_3genE10ELNS1_11target_archE1200ELNS1_3gpuE4ELNS1_3repE0EEENS1_30default_config_static_selectorELNS0_4arch9wavefront6targetE1EEEvT1_
		.amdhsa_group_segment_fixed_size 0
		.amdhsa_private_segment_fixed_size 0
		.amdhsa_kernarg_size 104
		.amdhsa_user_sgpr_count 6
		.amdhsa_user_sgpr_private_segment_buffer 1
		.amdhsa_user_sgpr_dispatch_ptr 0
		.amdhsa_user_sgpr_queue_ptr 0
		.amdhsa_user_sgpr_kernarg_segment_ptr 1
		.amdhsa_user_sgpr_dispatch_id 0
		.amdhsa_user_sgpr_flat_scratch_init 0
		.amdhsa_user_sgpr_kernarg_preload_length 0
		.amdhsa_user_sgpr_kernarg_preload_offset 0
		.amdhsa_user_sgpr_private_segment_size 0
		.amdhsa_uses_dynamic_stack 0
		.amdhsa_system_sgpr_private_segment_wavefront_offset 0
		.amdhsa_system_sgpr_workgroup_id_x 1
		.amdhsa_system_sgpr_workgroup_id_y 0
		.amdhsa_system_sgpr_workgroup_id_z 0
		.amdhsa_system_sgpr_workgroup_info 0
		.amdhsa_system_vgpr_workitem_id 0
		.amdhsa_next_free_vgpr 1
		.amdhsa_next_free_sgpr 0
		.amdhsa_accum_offset 4
		.amdhsa_reserve_vcc 0
		.amdhsa_reserve_flat_scratch 0
		.amdhsa_float_round_mode_32 0
		.amdhsa_float_round_mode_16_64 0
		.amdhsa_float_denorm_mode_32 3
		.amdhsa_float_denorm_mode_16_64 3
		.amdhsa_dx10_clamp 1
		.amdhsa_ieee_mode 1
		.amdhsa_fp16_overflow 0
		.amdhsa_tg_split 0
		.amdhsa_exception_fp_ieee_invalid_op 0
		.amdhsa_exception_fp_denorm_src 0
		.amdhsa_exception_fp_ieee_div_zero 0
		.amdhsa_exception_fp_ieee_overflow 0
		.amdhsa_exception_fp_ieee_underflow 0
		.amdhsa_exception_fp_ieee_inexact 0
		.amdhsa_exception_int_div_zero 0
	.end_amdhsa_kernel
	.section	.text._ZN7rocprim17ROCPRIM_400000_NS6detail17trampoline_kernelINS0_14default_configENS1_20scan_config_selectorIjEEZZNS1_9scan_implILNS1_25lookback_scan_determinismE0ELb1ELb1ES3_N6thrust23THRUST_200600_302600_NS6detail15normal_iteratorINS9_10device_ptrIjEEEENS9_16discard_iteratorINS9_11use_defaultEEEj11max_functorIjEjEEDaPvRmT3_T4_T5_mT6_P12ihipStream_tbENKUlT_T0_E_clISt17integral_constantIbLb0EESW_IbLb1EEEEDaSS_ST_EUlSS_E_NS1_11comp_targetILNS1_3genE10ELNS1_11target_archE1200ELNS1_3gpuE4ELNS1_3repE0EEENS1_30default_config_static_selectorELNS0_4arch9wavefront6targetE1EEEvT1_,"axG",@progbits,_ZN7rocprim17ROCPRIM_400000_NS6detail17trampoline_kernelINS0_14default_configENS1_20scan_config_selectorIjEEZZNS1_9scan_implILNS1_25lookback_scan_determinismE0ELb1ELb1ES3_N6thrust23THRUST_200600_302600_NS6detail15normal_iteratorINS9_10device_ptrIjEEEENS9_16discard_iteratorINS9_11use_defaultEEEj11max_functorIjEjEEDaPvRmT3_T4_T5_mT6_P12ihipStream_tbENKUlT_T0_E_clISt17integral_constantIbLb0EESW_IbLb1EEEEDaSS_ST_EUlSS_E_NS1_11comp_targetILNS1_3genE10ELNS1_11target_archE1200ELNS1_3gpuE4ELNS1_3repE0EEENS1_30default_config_static_selectorELNS0_4arch9wavefront6targetE1EEEvT1_,comdat
.Lfunc_end3554:
	.size	_ZN7rocprim17ROCPRIM_400000_NS6detail17trampoline_kernelINS0_14default_configENS1_20scan_config_selectorIjEEZZNS1_9scan_implILNS1_25lookback_scan_determinismE0ELb1ELb1ES3_N6thrust23THRUST_200600_302600_NS6detail15normal_iteratorINS9_10device_ptrIjEEEENS9_16discard_iteratorINS9_11use_defaultEEEj11max_functorIjEjEEDaPvRmT3_T4_T5_mT6_P12ihipStream_tbENKUlT_T0_E_clISt17integral_constantIbLb0EESW_IbLb1EEEEDaSS_ST_EUlSS_E_NS1_11comp_targetILNS1_3genE10ELNS1_11target_archE1200ELNS1_3gpuE4ELNS1_3repE0EEENS1_30default_config_static_selectorELNS0_4arch9wavefront6targetE1EEEvT1_, .Lfunc_end3554-_ZN7rocprim17ROCPRIM_400000_NS6detail17trampoline_kernelINS0_14default_configENS1_20scan_config_selectorIjEEZZNS1_9scan_implILNS1_25lookback_scan_determinismE0ELb1ELb1ES3_N6thrust23THRUST_200600_302600_NS6detail15normal_iteratorINS9_10device_ptrIjEEEENS9_16discard_iteratorINS9_11use_defaultEEEj11max_functorIjEjEEDaPvRmT3_T4_T5_mT6_P12ihipStream_tbENKUlT_T0_E_clISt17integral_constantIbLb0EESW_IbLb1EEEEDaSS_ST_EUlSS_E_NS1_11comp_targetILNS1_3genE10ELNS1_11target_archE1200ELNS1_3gpuE4ELNS1_3repE0EEENS1_30default_config_static_selectorELNS0_4arch9wavefront6targetE1EEEvT1_
                                        ; -- End function
	.section	.AMDGPU.csdata,"",@progbits
; Kernel info:
; codeLenInByte = 0
; NumSgprs: 4
; NumVgprs: 0
; NumAgprs: 0
; TotalNumVgprs: 0
; ScratchSize: 0
; MemoryBound: 0
; FloatMode: 240
; IeeeMode: 1
; LDSByteSize: 0 bytes/workgroup (compile time only)
; SGPRBlocks: 0
; VGPRBlocks: 0
; NumSGPRsForWavesPerEU: 4
; NumVGPRsForWavesPerEU: 1
; AccumOffset: 4
; Occupancy: 8
; WaveLimiterHint : 0
; COMPUTE_PGM_RSRC2:SCRATCH_EN: 0
; COMPUTE_PGM_RSRC2:USER_SGPR: 6
; COMPUTE_PGM_RSRC2:TRAP_HANDLER: 0
; COMPUTE_PGM_RSRC2:TGID_X_EN: 1
; COMPUTE_PGM_RSRC2:TGID_Y_EN: 0
; COMPUTE_PGM_RSRC2:TGID_Z_EN: 0
; COMPUTE_PGM_RSRC2:TIDIG_COMP_CNT: 0
; COMPUTE_PGM_RSRC3_GFX90A:ACCUM_OFFSET: 0
; COMPUTE_PGM_RSRC3_GFX90A:TG_SPLIT: 0
	.section	.text._ZN7rocprim17ROCPRIM_400000_NS6detail17trampoline_kernelINS0_14default_configENS1_20scan_config_selectorIjEEZZNS1_9scan_implILNS1_25lookback_scan_determinismE0ELb1ELb1ES3_N6thrust23THRUST_200600_302600_NS6detail15normal_iteratorINS9_10device_ptrIjEEEENS9_16discard_iteratorINS9_11use_defaultEEEj11max_functorIjEjEEDaPvRmT3_T4_T5_mT6_P12ihipStream_tbENKUlT_T0_E_clISt17integral_constantIbLb0EESW_IbLb1EEEEDaSS_ST_EUlSS_E_NS1_11comp_targetILNS1_3genE9ELNS1_11target_archE1100ELNS1_3gpuE3ELNS1_3repE0EEENS1_30default_config_static_selectorELNS0_4arch9wavefront6targetE1EEEvT1_,"axG",@progbits,_ZN7rocprim17ROCPRIM_400000_NS6detail17trampoline_kernelINS0_14default_configENS1_20scan_config_selectorIjEEZZNS1_9scan_implILNS1_25lookback_scan_determinismE0ELb1ELb1ES3_N6thrust23THRUST_200600_302600_NS6detail15normal_iteratorINS9_10device_ptrIjEEEENS9_16discard_iteratorINS9_11use_defaultEEEj11max_functorIjEjEEDaPvRmT3_T4_T5_mT6_P12ihipStream_tbENKUlT_T0_E_clISt17integral_constantIbLb0EESW_IbLb1EEEEDaSS_ST_EUlSS_E_NS1_11comp_targetILNS1_3genE9ELNS1_11target_archE1100ELNS1_3gpuE3ELNS1_3repE0EEENS1_30default_config_static_selectorELNS0_4arch9wavefront6targetE1EEEvT1_,comdat
	.protected	_ZN7rocprim17ROCPRIM_400000_NS6detail17trampoline_kernelINS0_14default_configENS1_20scan_config_selectorIjEEZZNS1_9scan_implILNS1_25lookback_scan_determinismE0ELb1ELb1ES3_N6thrust23THRUST_200600_302600_NS6detail15normal_iteratorINS9_10device_ptrIjEEEENS9_16discard_iteratorINS9_11use_defaultEEEj11max_functorIjEjEEDaPvRmT3_T4_T5_mT6_P12ihipStream_tbENKUlT_T0_E_clISt17integral_constantIbLb0EESW_IbLb1EEEEDaSS_ST_EUlSS_E_NS1_11comp_targetILNS1_3genE9ELNS1_11target_archE1100ELNS1_3gpuE3ELNS1_3repE0EEENS1_30default_config_static_selectorELNS0_4arch9wavefront6targetE1EEEvT1_ ; -- Begin function _ZN7rocprim17ROCPRIM_400000_NS6detail17trampoline_kernelINS0_14default_configENS1_20scan_config_selectorIjEEZZNS1_9scan_implILNS1_25lookback_scan_determinismE0ELb1ELb1ES3_N6thrust23THRUST_200600_302600_NS6detail15normal_iteratorINS9_10device_ptrIjEEEENS9_16discard_iteratorINS9_11use_defaultEEEj11max_functorIjEjEEDaPvRmT3_T4_T5_mT6_P12ihipStream_tbENKUlT_T0_E_clISt17integral_constantIbLb0EESW_IbLb1EEEEDaSS_ST_EUlSS_E_NS1_11comp_targetILNS1_3genE9ELNS1_11target_archE1100ELNS1_3gpuE3ELNS1_3repE0EEENS1_30default_config_static_selectorELNS0_4arch9wavefront6targetE1EEEvT1_
	.globl	_ZN7rocprim17ROCPRIM_400000_NS6detail17trampoline_kernelINS0_14default_configENS1_20scan_config_selectorIjEEZZNS1_9scan_implILNS1_25lookback_scan_determinismE0ELb1ELb1ES3_N6thrust23THRUST_200600_302600_NS6detail15normal_iteratorINS9_10device_ptrIjEEEENS9_16discard_iteratorINS9_11use_defaultEEEj11max_functorIjEjEEDaPvRmT3_T4_T5_mT6_P12ihipStream_tbENKUlT_T0_E_clISt17integral_constantIbLb0EESW_IbLb1EEEEDaSS_ST_EUlSS_E_NS1_11comp_targetILNS1_3genE9ELNS1_11target_archE1100ELNS1_3gpuE3ELNS1_3repE0EEENS1_30default_config_static_selectorELNS0_4arch9wavefront6targetE1EEEvT1_
	.p2align	8
	.type	_ZN7rocprim17ROCPRIM_400000_NS6detail17trampoline_kernelINS0_14default_configENS1_20scan_config_selectorIjEEZZNS1_9scan_implILNS1_25lookback_scan_determinismE0ELb1ELb1ES3_N6thrust23THRUST_200600_302600_NS6detail15normal_iteratorINS9_10device_ptrIjEEEENS9_16discard_iteratorINS9_11use_defaultEEEj11max_functorIjEjEEDaPvRmT3_T4_T5_mT6_P12ihipStream_tbENKUlT_T0_E_clISt17integral_constantIbLb0EESW_IbLb1EEEEDaSS_ST_EUlSS_E_NS1_11comp_targetILNS1_3genE9ELNS1_11target_archE1100ELNS1_3gpuE3ELNS1_3repE0EEENS1_30default_config_static_selectorELNS0_4arch9wavefront6targetE1EEEvT1_,@function
_ZN7rocprim17ROCPRIM_400000_NS6detail17trampoline_kernelINS0_14default_configENS1_20scan_config_selectorIjEEZZNS1_9scan_implILNS1_25lookback_scan_determinismE0ELb1ELb1ES3_N6thrust23THRUST_200600_302600_NS6detail15normal_iteratorINS9_10device_ptrIjEEEENS9_16discard_iteratorINS9_11use_defaultEEEj11max_functorIjEjEEDaPvRmT3_T4_T5_mT6_P12ihipStream_tbENKUlT_T0_E_clISt17integral_constantIbLb0EESW_IbLb1EEEEDaSS_ST_EUlSS_E_NS1_11comp_targetILNS1_3genE9ELNS1_11target_archE1100ELNS1_3gpuE3ELNS1_3repE0EEENS1_30default_config_static_selectorELNS0_4arch9wavefront6targetE1EEEvT1_: ; @_ZN7rocprim17ROCPRIM_400000_NS6detail17trampoline_kernelINS0_14default_configENS1_20scan_config_selectorIjEEZZNS1_9scan_implILNS1_25lookback_scan_determinismE0ELb1ELb1ES3_N6thrust23THRUST_200600_302600_NS6detail15normal_iteratorINS9_10device_ptrIjEEEENS9_16discard_iteratorINS9_11use_defaultEEEj11max_functorIjEjEEDaPvRmT3_T4_T5_mT6_P12ihipStream_tbENKUlT_T0_E_clISt17integral_constantIbLb0EESW_IbLb1EEEEDaSS_ST_EUlSS_E_NS1_11comp_targetILNS1_3genE9ELNS1_11target_archE1100ELNS1_3gpuE3ELNS1_3repE0EEENS1_30default_config_static_selectorELNS0_4arch9wavefront6targetE1EEEvT1_
; %bb.0:
	.section	.rodata,"a",@progbits
	.p2align	6, 0x0
	.amdhsa_kernel _ZN7rocprim17ROCPRIM_400000_NS6detail17trampoline_kernelINS0_14default_configENS1_20scan_config_selectorIjEEZZNS1_9scan_implILNS1_25lookback_scan_determinismE0ELb1ELb1ES3_N6thrust23THRUST_200600_302600_NS6detail15normal_iteratorINS9_10device_ptrIjEEEENS9_16discard_iteratorINS9_11use_defaultEEEj11max_functorIjEjEEDaPvRmT3_T4_T5_mT6_P12ihipStream_tbENKUlT_T0_E_clISt17integral_constantIbLb0EESW_IbLb1EEEEDaSS_ST_EUlSS_E_NS1_11comp_targetILNS1_3genE9ELNS1_11target_archE1100ELNS1_3gpuE3ELNS1_3repE0EEENS1_30default_config_static_selectorELNS0_4arch9wavefront6targetE1EEEvT1_
		.amdhsa_group_segment_fixed_size 0
		.amdhsa_private_segment_fixed_size 0
		.amdhsa_kernarg_size 104
		.amdhsa_user_sgpr_count 6
		.amdhsa_user_sgpr_private_segment_buffer 1
		.amdhsa_user_sgpr_dispatch_ptr 0
		.amdhsa_user_sgpr_queue_ptr 0
		.amdhsa_user_sgpr_kernarg_segment_ptr 1
		.amdhsa_user_sgpr_dispatch_id 0
		.amdhsa_user_sgpr_flat_scratch_init 0
		.amdhsa_user_sgpr_kernarg_preload_length 0
		.amdhsa_user_sgpr_kernarg_preload_offset 0
		.amdhsa_user_sgpr_private_segment_size 0
		.amdhsa_uses_dynamic_stack 0
		.amdhsa_system_sgpr_private_segment_wavefront_offset 0
		.amdhsa_system_sgpr_workgroup_id_x 1
		.amdhsa_system_sgpr_workgroup_id_y 0
		.amdhsa_system_sgpr_workgroup_id_z 0
		.amdhsa_system_sgpr_workgroup_info 0
		.amdhsa_system_vgpr_workitem_id 0
		.amdhsa_next_free_vgpr 1
		.amdhsa_next_free_sgpr 0
		.amdhsa_accum_offset 4
		.amdhsa_reserve_vcc 0
		.amdhsa_reserve_flat_scratch 0
		.amdhsa_float_round_mode_32 0
		.amdhsa_float_round_mode_16_64 0
		.amdhsa_float_denorm_mode_32 3
		.amdhsa_float_denorm_mode_16_64 3
		.amdhsa_dx10_clamp 1
		.amdhsa_ieee_mode 1
		.amdhsa_fp16_overflow 0
		.amdhsa_tg_split 0
		.amdhsa_exception_fp_ieee_invalid_op 0
		.amdhsa_exception_fp_denorm_src 0
		.amdhsa_exception_fp_ieee_div_zero 0
		.amdhsa_exception_fp_ieee_overflow 0
		.amdhsa_exception_fp_ieee_underflow 0
		.amdhsa_exception_fp_ieee_inexact 0
		.amdhsa_exception_int_div_zero 0
	.end_amdhsa_kernel
	.section	.text._ZN7rocprim17ROCPRIM_400000_NS6detail17trampoline_kernelINS0_14default_configENS1_20scan_config_selectorIjEEZZNS1_9scan_implILNS1_25lookback_scan_determinismE0ELb1ELb1ES3_N6thrust23THRUST_200600_302600_NS6detail15normal_iteratorINS9_10device_ptrIjEEEENS9_16discard_iteratorINS9_11use_defaultEEEj11max_functorIjEjEEDaPvRmT3_T4_T5_mT6_P12ihipStream_tbENKUlT_T0_E_clISt17integral_constantIbLb0EESW_IbLb1EEEEDaSS_ST_EUlSS_E_NS1_11comp_targetILNS1_3genE9ELNS1_11target_archE1100ELNS1_3gpuE3ELNS1_3repE0EEENS1_30default_config_static_selectorELNS0_4arch9wavefront6targetE1EEEvT1_,"axG",@progbits,_ZN7rocprim17ROCPRIM_400000_NS6detail17trampoline_kernelINS0_14default_configENS1_20scan_config_selectorIjEEZZNS1_9scan_implILNS1_25lookback_scan_determinismE0ELb1ELb1ES3_N6thrust23THRUST_200600_302600_NS6detail15normal_iteratorINS9_10device_ptrIjEEEENS9_16discard_iteratorINS9_11use_defaultEEEj11max_functorIjEjEEDaPvRmT3_T4_T5_mT6_P12ihipStream_tbENKUlT_T0_E_clISt17integral_constantIbLb0EESW_IbLb1EEEEDaSS_ST_EUlSS_E_NS1_11comp_targetILNS1_3genE9ELNS1_11target_archE1100ELNS1_3gpuE3ELNS1_3repE0EEENS1_30default_config_static_selectorELNS0_4arch9wavefront6targetE1EEEvT1_,comdat
.Lfunc_end3555:
	.size	_ZN7rocprim17ROCPRIM_400000_NS6detail17trampoline_kernelINS0_14default_configENS1_20scan_config_selectorIjEEZZNS1_9scan_implILNS1_25lookback_scan_determinismE0ELb1ELb1ES3_N6thrust23THRUST_200600_302600_NS6detail15normal_iteratorINS9_10device_ptrIjEEEENS9_16discard_iteratorINS9_11use_defaultEEEj11max_functorIjEjEEDaPvRmT3_T4_T5_mT6_P12ihipStream_tbENKUlT_T0_E_clISt17integral_constantIbLb0EESW_IbLb1EEEEDaSS_ST_EUlSS_E_NS1_11comp_targetILNS1_3genE9ELNS1_11target_archE1100ELNS1_3gpuE3ELNS1_3repE0EEENS1_30default_config_static_selectorELNS0_4arch9wavefront6targetE1EEEvT1_, .Lfunc_end3555-_ZN7rocprim17ROCPRIM_400000_NS6detail17trampoline_kernelINS0_14default_configENS1_20scan_config_selectorIjEEZZNS1_9scan_implILNS1_25lookback_scan_determinismE0ELb1ELb1ES3_N6thrust23THRUST_200600_302600_NS6detail15normal_iteratorINS9_10device_ptrIjEEEENS9_16discard_iteratorINS9_11use_defaultEEEj11max_functorIjEjEEDaPvRmT3_T4_T5_mT6_P12ihipStream_tbENKUlT_T0_E_clISt17integral_constantIbLb0EESW_IbLb1EEEEDaSS_ST_EUlSS_E_NS1_11comp_targetILNS1_3genE9ELNS1_11target_archE1100ELNS1_3gpuE3ELNS1_3repE0EEENS1_30default_config_static_selectorELNS0_4arch9wavefront6targetE1EEEvT1_
                                        ; -- End function
	.section	.AMDGPU.csdata,"",@progbits
; Kernel info:
; codeLenInByte = 0
; NumSgprs: 4
; NumVgprs: 0
; NumAgprs: 0
; TotalNumVgprs: 0
; ScratchSize: 0
; MemoryBound: 0
; FloatMode: 240
; IeeeMode: 1
; LDSByteSize: 0 bytes/workgroup (compile time only)
; SGPRBlocks: 0
; VGPRBlocks: 0
; NumSGPRsForWavesPerEU: 4
; NumVGPRsForWavesPerEU: 1
; AccumOffset: 4
; Occupancy: 8
; WaveLimiterHint : 0
; COMPUTE_PGM_RSRC2:SCRATCH_EN: 0
; COMPUTE_PGM_RSRC2:USER_SGPR: 6
; COMPUTE_PGM_RSRC2:TRAP_HANDLER: 0
; COMPUTE_PGM_RSRC2:TGID_X_EN: 1
; COMPUTE_PGM_RSRC2:TGID_Y_EN: 0
; COMPUTE_PGM_RSRC2:TGID_Z_EN: 0
; COMPUTE_PGM_RSRC2:TIDIG_COMP_CNT: 0
; COMPUTE_PGM_RSRC3_GFX90A:ACCUM_OFFSET: 0
; COMPUTE_PGM_RSRC3_GFX90A:TG_SPLIT: 0
	.section	.text._ZN7rocprim17ROCPRIM_400000_NS6detail17trampoline_kernelINS0_14default_configENS1_20scan_config_selectorIjEEZZNS1_9scan_implILNS1_25lookback_scan_determinismE0ELb1ELb1ES3_N6thrust23THRUST_200600_302600_NS6detail15normal_iteratorINS9_10device_ptrIjEEEENS9_16discard_iteratorINS9_11use_defaultEEEj11max_functorIjEjEEDaPvRmT3_T4_T5_mT6_P12ihipStream_tbENKUlT_T0_E_clISt17integral_constantIbLb0EESW_IbLb1EEEEDaSS_ST_EUlSS_E_NS1_11comp_targetILNS1_3genE8ELNS1_11target_archE1030ELNS1_3gpuE2ELNS1_3repE0EEENS1_30default_config_static_selectorELNS0_4arch9wavefront6targetE1EEEvT1_,"axG",@progbits,_ZN7rocprim17ROCPRIM_400000_NS6detail17trampoline_kernelINS0_14default_configENS1_20scan_config_selectorIjEEZZNS1_9scan_implILNS1_25lookback_scan_determinismE0ELb1ELb1ES3_N6thrust23THRUST_200600_302600_NS6detail15normal_iteratorINS9_10device_ptrIjEEEENS9_16discard_iteratorINS9_11use_defaultEEEj11max_functorIjEjEEDaPvRmT3_T4_T5_mT6_P12ihipStream_tbENKUlT_T0_E_clISt17integral_constantIbLb0EESW_IbLb1EEEEDaSS_ST_EUlSS_E_NS1_11comp_targetILNS1_3genE8ELNS1_11target_archE1030ELNS1_3gpuE2ELNS1_3repE0EEENS1_30default_config_static_selectorELNS0_4arch9wavefront6targetE1EEEvT1_,comdat
	.protected	_ZN7rocprim17ROCPRIM_400000_NS6detail17trampoline_kernelINS0_14default_configENS1_20scan_config_selectorIjEEZZNS1_9scan_implILNS1_25lookback_scan_determinismE0ELb1ELb1ES3_N6thrust23THRUST_200600_302600_NS6detail15normal_iteratorINS9_10device_ptrIjEEEENS9_16discard_iteratorINS9_11use_defaultEEEj11max_functorIjEjEEDaPvRmT3_T4_T5_mT6_P12ihipStream_tbENKUlT_T0_E_clISt17integral_constantIbLb0EESW_IbLb1EEEEDaSS_ST_EUlSS_E_NS1_11comp_targetILNS1_3genE8ELNS1_11target_archE1030ELNS1_3gpuE2ELNS1_3repE0EEENS1_30default_config_static_selectorELNS0_4arch9wavefront6targetE1EEEvT1_ ; -- Begin function _ZN7rocprim17ROCPRIM_400000_NS6detail17trampoline_kernelINS0_14default_configENS1_20scan_config_selectorIjEEZZNS1_9scan_implILNS1_25lookback_scan_determinismE0ELb1ELb1ES3_N6thrust23THRUST_200600_302600_NS6detail15normal_iteratorINS9_10device_ptrIjEEEENS9_16discard_iteratorINS9_11use_defaultEEEj11max_functorIjEjEEDaPvRmT3_T4_T5_mT6_P12ihipStream_tbENKUlT_T0_E_clISt17integral_constantIbLb0EESW_IbLb1EEEEDaSS_ST_EUlSS_E_NS1_11comp_targetILNS1_3genE8ELNS1_11target_archE1030ELNS1_3gpuE2ELNS1_3repE0EEENS1_30default_config_static_selectorELNS0_4arch9wavefront6targetE1EEEvT1_
	.globl	_ZN7rocprim17ROCPRIM_400000_NS6detail17trampoline_kernelINS0_14default_configENS1_20scan_config_selectorIjEEZZNS1_9scan_implILNS1_25lookback_scan_determinismE0ELb1ELb1ES3_N6thrust23THRUST_200600_302600_NS6detail15normal_iteratorINS9_10device_ptrIjEEEENS9_16discard_iteratorINS9_11use_defaultEEEj11max_functorIjEjEEDaPvRmT3_T4_T5_mT6_P12ihipStream_tbENKUlT_T0_E_clISt17integral_constantIbLb0EESW_IbLb1EEEEDaSS_ST_EUlSS_E_NS1_11comp_targetILNS1_3genE8ELNS1_11target_archE1030ELNS1_3gpuE2ELNS1_3repE0EEENS1_30default_config_static_selectorELNS0_4arch9wavefront6targetE1EEEvT1_
	.p2align	8
	.type	_ZN7rocprim17ROCPRIM_400000_NS6detail17trampoline_kernelINS0_14default_configENS1_20scan_config_selectorIjEEZZNS1_9scan_implILNS1_25lookback_scan_determinismE0ELb1ELb1ES3_N6thrust23THRUST_200600_302600_NS6detail15normal_iteratorINS9_10device_ptrIjEEEENS9_16discard_iteratorINS9_11use_defaultEEEj11max_functorIjEjEEDaPvRmT3_T4_T5_mT6_P12ihipStream_tbENKUlT_T0_E_clISt17integral_constantIbLb0EESW_IbLb1EEEEDaSS_ST_EUlSS_E_NS1_11comp_targetILNS1_3genE8ELNS1_11target_archE1030ELNS1_3gpuE2ELNS1_3repE0EEENS1_30default_config_static_selectorELNS0_4arch9wavefront6targetE1EEEvT1_,@function
_ZN7rocprim17ROCPRIM_400000_NS6detail17trampoline_kernelINS0_14default_configENS1_20scan_config_selectorIjEEZZNS1_9scan_implILNS1_25lookback_scan_determinismE0ELb1ELb1ES3_N6thrust23THRUST_200600_302600_NS6detail15normal_iteratorINS9_10device_ptrIjEEEENS9_16discard_iteratorINS9_11use_defaultEEEj11max_functorIjEjEEDaPvRmT3_T4_T5_mT6_P12ihipStream_tbENKUlT_T0_E_clISt17integral_constantIbLb0EESW_IbLb1EEEEDaSS_ST_EUlSS_E_NS1_11comp_targetILNS1_3genE8ELNS1_11target_archE1030ELNS1_3gpuE2ELNS1_3repE0EEENS1_30default_config_static_selectorELNS0_4arch9wavefront6targetE1EEEvT1_: ; @_ZN7rocprim17ROCPRIM_400000_NS6detail17trampoline_kernelINS0_14default_configENS1_20scan_config_selectorIjEEZZNS1_9scan_implILNS1_25lookback_scan_determinismE0ELb1ELb1ES3_N6thrust23THRUST_200600_302600_NS6detail15normal_iteratorINS9_10device_ptrIjEEEENS9_16discard_iteratorINS9_11use_defaultEEEj11max_functorIjEjEEDaPvRmT3_T4_T5_mT6_P12ihipStream_tbENKUlT_T0_E_clISt17integral_constantIbLb0EESW_IbLb1EEEEDaSS_ST_EUlSS_E_NS1_11comp_targetILNS1_3genE8ELNS1_11target_archE1030ELNS1_3gpuE2ELNS1_3repE0EEENS1_30default_config_static_selectorELNS0_4arch9wavefront6targetE1EEEvT1_
; %bb.0:
	.section	.rodata,"a",@progbits
	.p2align	6, 0x0
	.amdhsa_kernel _ZN7rocprim17ROCPRIM_400000_NS6detail17trampoline_kernelINS0_14default_configENS1_20scan_config_selectorIjEEZZNS1_9scan_implILNS1_25lookback_scan_determinismE0ELb1ELb1ES3_N6thrust23THRUST_200600_302600_NS6detail15normal_iteratorINS9_10device_ptrIjEEEENS9_16discard_iteratorINS9_11use_defaultEEEj11max_functorIjEjEEDaPvRmT3_T4_T5_mT6_P12ihipStream_tbENKUlT_T0_E_clISt17integral_constantIbLb0EESW_IbLb1EEEEDaSS_ST_EUlSS_E_NS1_11comp_targetILNS1_3genE8ELNS1_11target_archE1030ELNS1_3gpuE2ELNS1_3repE0EEENS1_30default_config_static_selectorELNS0_4arch9wavefront6targetE1EEEvT1_
		.amdhsa_group_segment_fixed_size 0
		.amdhsa_private_segment_fixed_size 0
		.amdhsa_kernarg_size 104
		.amdhsa_user_sgpr_count 6
		.amdhsa_user_sgpr_private_segment_buffer 1
		.amdhsa_user_sgpr_dispatch_ptr 0
		.amdhsa_user_sgpr_queue_ptr 0
		.amdhsa_user_sgpr_kernarg_segment_ptr 1
		.amdhsa_user_sgpr_dispatch_id 0
		.amdhsa_user_sgpr_flat_scratch_init 0
		.amdhsa_user_sgpr_kernarg_preload_length 0
		.amdhsa_user_sgpr_kernarg_preload_offset 0
		.amdhsa_user_sgpr_private_segment_size 0
		.amdhsa_uses_dynamic_stack 0
		.amdhsa_system_sgpr_private_segment_wavefront_offset 0
		.amdhsa_system_sgpr_workgroup_id_x 1
		.amdhsa_system_sgpr_workgroup_id_y 0
		.amdhsa_system_sgpr_workgroup_id_z 0
		.amdhsa_system_sgpr_workgroup_info 0
		.amdhsa_system_vgpr_workitem_id 0
		.amdhsa_next_free_vgpr 1
		.amdhsa_next_free_sgpr 0
		.amdhsa_accum_offset 4
		.amdhsa_reserve_vcc 0
		.amdhsa_reserve_flat_scratch 0
		.amdhsa_float_round_mode_32 0
		.amdhsa_float_round_mode_16_64 0
		.amdhsa_float_denorm_mode_32 3
		.amdhsa_float_denorm_mode_16_64 3
		.amdhsa_dx10_clamp 1
		.amdhsa_ieee_mode 1
		.amdhsa_fp16_overflow 0
		.amdhsa_tg_split 0
		.amdhsa_exception_fp_ieee_invalid_op 0
		.amdhsa_exception_fp_denorm_src 0
		.amdhsa_exception_fp_ieee_div_zero 0
		.amdhsa_exception_fp_ieee_overflow 0
		.amdhsa_exception_fp_ieee_underflow 0
		.amdhsa_exception_fp_ieee_inexact 0
		.amdhsa_exception_int_div_zero 0
	.end_amdhsa_kernel
	.section	.text._ZN7rocprim17ROCPRIM_400000_NS6detail17trampoline_kernelINS0_14default_configENS1_20scan_config_selectorIjEEZZNS1_9scan_implILNS1_25lookback_scan_determinismE0ELb1ELb1ES3_N6thrust23THRUST_200600_302600_NS6detail15normal_iteratorINS9_10device_ptrIjEEEENS9_16discard_iteratorINS9_11use_defaultEEEj11max_functorIjEjEEDaPvRmT3_T4_T5_mT6_P12ihipStream_tbENKUlT_T0_E_clISt17integral_constantIbLb0EESW_IbLb1EEEEDaSS_ST_EUlSS_E_NS1_11comp_targetILNS1_3genE8ELNS1_11target_archE1030ELNS1_3gpuE2ELNS1_3repE0EEENS1_30default_config_static_selectorELNS0_4arch9wavefront6targetE1EEEvT1_,"axG",@progbits,_ZN7rocprim17ROCPRIM_400000_NS6detail17trampoline_kernelINS0_14default_configENS1_20scan_config_selectorIjEEZZNS1_9scan_implILNS1_25lookback_scan_determinismE0ELb1ELb1ES3_N6thrust23THRUST_200600_302600_NS6detail15normal_iteratorINS9_10device_ptrIjEEEENS9_16discard_iteratorINS9_11use_defaultEEEj11max_functorIjEjEEDaPvRmT3_T4_T5_mT6_P12ihipStream_tbENKUlT_T0_E_clISt17integral_constantIbLb0EESW_IbLb1EEEEDaSS_ST_EUlSS_E_NS1_11comp_targetILNS1_3genE8ELNS1_11target_archE1030ELNS1_3gpuE2ELNS1_3repE0EEENS1_30default_config_static_selectorELNS0_4arch9wavefront6targetE1EEEvT1_,comdat
.Lfunc_end3556:
	.size	_ZN7rocprim17ROCPRIM_400000_NS6detail17trampoline_kernelINS0_14default_configENS1_20scan_config_selectorIjEEZZNS1_9scan_implILNS1_25lookback_scan_determinismE0ELb1ELb1ES3_N6thrust23THRUST_200600_302600_NS6detail15normal_iteratorINS9_10device_ptrIjEEEENS9_16discard_iteratorINS9_11use_defaultEEEj11max_functorIjEjEEDaPvRmT3_T4_T5_mT6_P12ihipStream_tbENKUlT_T0_E_clISt17integral_constantIbLb0EESW_IbLb1EEEEDaSS_ST_EUlSS_E_NS1_11comp_targetILNS1_3genE8ELNS1_11target_archE1030ELNS1_3gpuE2ELNS1_3repE0EEENS1_30default_config_static_selectorELNS0_4arch9wavefront6targetE1EEEvT1_, .Lfunc_end3556-_ZN7rocprim17ROCPRIM_400000_NS6detail17trampoline_kernelINS0_14default_configENS1_20scan_config_selectorIjEEZZNS1_9scan_implILNS1_25lookback_scan_determinismE0ELb1ELb1ES3_N6thrust23THRUST_200600_302600_NS6detail15normal_iteratorINS9_10device_ptrIjEEEENS9_16discard_iteratorINS9_11use_defaultEEEj11max_functorIjEjEEDaPvRmT3_T4_T5_mT6_P12ihipStream_tbENKUlT_T0_E_clISt17integral_constantIbLb0EESW_IbLb1EEEEDaSS_ST_EUlSS_E_NS1_11comp_targetILNS1_3genE8ELNS1_11target_archE1030ELNS1_3gpuE2ELNS1_3repE0EEENS1_30default_config_static_selectorELNS0_4arch9wavefront6targetE1EEEvT1_
                                        ; -- End function
	.section	.AMDGPU.csdata,"",@progbits
; Kernel info:
; codeLenInByte = 0
; NumSgprs: 4
; NumVgprs: 0
; NumAgprs: 0
; TotalNumVgprs: 0
; ScratchSize: 0
; MemoryBound: 0
; FloatMode: 240
; IeeeMode: 1
; LDSByteSize: 0 bytes/workgroup (compile time only)
; SGPRBlocks: 0
; VGPRBlocks: 0
; NumSGPRsForWavesPerEU: 4
; NumVGPRsForWavesPerEU: 1
; AccumOffset: 4
; Occupancy: 8
; WaveLimiterHint : 0
; COMPUTE_PGM_RSRC2:SCRATCH_EN: 0
; COMPUTE_PGM_RSRC2:USER_SGPR: 6
; COMPUTE_PGM_RSRC2:TRAP_HANDLER: 0
; COMPUTE_PGM_RSRC2:TGID_X_EN: 1
; COMPUTE_PGM_RSRC2:TGID_Y_EN: 0
; COMPUTE_PGM_RSRC2:TGID_Z_EN: 0
; COMPUTE_PGM_RSRC2:TIDIG_COMP_CNT: 0
; COMPUTE_PGM_RSRC3_GFX90A:ACCUM_OFFSET: 0
; COMPUTE_PGM_RSRC3_GFX90A:TG_SPLIT: 0
	.section	.text._ZN7rocprim17ROCPRIM_400000_NS6detail17trampoline_kernelINS0_14default_configENS1_20scan_config_selectorIjEEZZNS1_9scan_implILNS1_25lookback_scan_determinismE0ELb1ELb1ES3_N6thrust23THRUST_200600_302600_NS6detail15normal_iteratorINS9_10device_ptrIjEEEENS9_16discard_iteratorINS9_11use_defaultEEEj11max_functorIjEjEEDaPvRmT3_T4_T5_mT6_P12ihipStream_tbENKUlT_T0_E_clISt17integral_constantIbLb0EESW_IbLb1EEEEDaSS_ST_EUlSS_E0_NS1_11comp_targetILNS1_3genE0ELNS1_11target_archE4294967295ELNS1_3gpuE0ELNS1_3repE0EEENS1_30default_config_static_selectorELNS0_4arch9wavefront6targetE1EEEvT1_,"axG",@progbits,_ZN7rocprim17ROCPRIM_400000_NS6detail17trampoline_kernelINS0_14default_configENS1_20scan_config_selectorIjEEZZNS1_9scan_implILNS1_25lookback_scan_determinismE0ELb1ELb1ES3_N6thrust23THRUST_200600_302600_NS6detail15normal_iteratorINS9_10device_ptrIjEEEENS9_16discard_iteratorINS9_11use_defaultEEEj11max_functorIjEjEEDaPvRmT3_T4_T5_mT6_P12ihipStream_tbENKUlT_T0_E_clISt17integral_constantIbLb0EESW_IbLb1EEEEDaSS_ST_EUlSS_E0_NS1_11comp_targetILNS1_3genE0ELNS1_11target_archE4294967295ELNS1_3gpuE0ELNS1_3repE0EEENS1_30default_config_static_selectorELNS0_4arch9wavefront6targetE1EEEvT1_,comdat
	.protected	_ZN7rocprim17ROCPRIM_400000_NS6detail17trampoline_kernelINS0_14default_configENS1_20scan_config_selectorIjEEZZNS1_9scan_implILNS1_25lookback_scan_determinismE0ELb1ELb1ES3_N6thrust23THRUST_200600_302600_NS6detail15normal_iteratorINS9_10device_ptrIjEEEENS9_16discard_iteratorINS9_11use_defaultEEEj11max_functorIjEjEEDaPvRmT3_T4_T5_mT6_P12ihipStream_tbENKUlT_T0_E_clISt17integral_constantIbLb0EESW_IbLb1EEEEDaSS_ST_EUlSS_E0_NS1_11comp_targetILNS1_3genE0ELNS1_11target_archE4294967295ELNS1_3gpuE0ELNS1_3repE0EEENS1_30default_config_static_selectorELNS0_4arch9wavefront6targetE1EEEvT1_ ; -- Begin function _ZN7rocprim17ROCPRIM_400000_NS6detail17trampoline_kernelINS0_14default_configENS1_20scan_config_selectorIjEEZZNS1_9scan_implILNS1_25lookback_scan_determinismE0ELb1ELb1ES3_N6thrust23THRUST_200600_302600_NS6detail15normal_iteratorINS9_10device_ptrIjEEEENS9_16discard_iteratorINS9_11use_defaultEEEj11max_functorIjEjEEDaPvRmT3_T4_T5_mT6_P12ihipStream_tbENKUlT_T0_E_clISt17integral_constantIbLb0EESW_IbLb1EEEEDaSS_ST_EUlSS_E0_NS1_11comp_targetILNS1_3genE0ELNS1_11target_archE4294967295ELNS1_3gpuE0ELNS1_3repE0EEENS1_30default_config_static_selectorELNS0_4arch9wavefront6targetE1EEEvT1_
	.globl	_ZN7rocprim17ROCPRIM_400000_NS6detail17trampoline_kernelINS0_14default_configENS1_20scan_config_selectorIjEEZZNS1_9scan_implILNS1_25lookback_scan_determinismE0ELb1ELb1ES3_N6thrust23THRUST_200600_302600_NS6detail15normal_iteratorINS9_10device_ptrIjEEEENS9_16discard_iteratorINS9_11use_defaultEEEj11max_functorIjEjEEDaPvRmT3_T4_T5_mT6_P12ihipStream_tbENKUlT_T0_E_clISt17integral_constantIbLb0EESW_IbLb1EEEEDaSS_ST_EUlSS_E0_NS1_11comp_targetILNS1_3genE0ELNS1_11target_archE4294967295ELNS1_3gpuE0ELNS1_3repE0EEENS1_30default_config_static_selectorELNS0_4arch9wavefront6targetE1EEEvT1_
	.p2align	8
	.type	_ZN7rocprim17ROCPRIM_400000_NS6detail17trampoline_kernelINS0_14default_configENS1_20scan_config_selectorIjEEZZNS1_9scan_implILNS1_25lookback_scan_determinismE0ELb1ELb1ES3_N6thrust23THRUST_200600_302600_NS6detail15normal_iteratorINS9_10device_ptrIjEEEENS9_16discard_iteratorINS9_11use_defaultEEEj11max_functorIjEjEEDaPvRmT3_T4_T5_mT6_P12ihipStream_tbENKUlT_T0_E_clISt17integral_constantIbLb0EESW_IbLb1EEEEDaSS_ST_EUlSS_E0_NS1_11comp_targetILNS1_3genE0ELNS1_11target_archE4294967295ELNS1_3gpuE0ELNS1_3repE0EEENS1_30default_config_static_selectorELNS0_4arch9wavefront6targetE1EEEvT1_,@function
_ZN7rocprim17ROCPRIM_400000_NS6detail17trampoline_kernelINS0_14default_configENS1_20scan_config_selectorIjEEZZNS1_9scan_implILNS1_25lookback_scan_determinismE0ELb1ELb1ES3_N6thrust23THRUST_200600_302600_NS6detail15normal_iteratorINS9_10device_ptrIjEEEENS9_16discard_iteratorINS9_11use_defaultEEEj11max_functorIjEjEEDaPvRmT3_T4_T5_mT6_P12ihipStream_tbENKUlT_T0_E_clISt17integral_constantIbLb0EESW_IbLb1EEEEDaSS_ST_EUlSS_E0_NS1_11comp_targetILNS1_3genE0ELNS1_11target_archE4294967295ELNS1_3gpuE0ELNS1_3repE0EEENS1_30default_config_static_selectorELNS0_4arch9wavefront6targetE1EEEvT1_: ; @_ZN7rocprim17ROCPRIM_400000_NS6detail17trampoline_kernelINS0_14default_configENS1_20scan_config_selectorIjEEZZNS1_9scan_implILNS1_25lookback_scan_determinismE0ELb1ELb1ES3_N6thrust23THRUST_200600_302600_NS6detail15normal_iteratorINS9_10device_ptrIjEEEENS9_16discard_iteratorINS9_11use_defaultEEEj11max_functorIjEjEEDaPvRmT3_T4_T5_mT6_P12ihipStream_tbENKUlT_T0_E_clISt17integral_constantIbLb0EESW_IbLb1EEEEDaSS_ST_EUlSS_E0_NS1_11comp_targetILNS1_3genE0ELNS1_11target_archE4294967295ELNS1_3gpuE0ELNS1_3repE0EEENS1_30default_config_static_selectorELNS0_4arch9wavefront6targetE1EEEvT1_
; %bb.0:
	.section	.rodata,"a",@progbits
	.p2align	6, 0x0
	.amdhsa_kernel _ZN7rocprim17ROCPRIM_400000_NS6detail17trampoline_kernelINS0_14default_configENS1_20scan_config_selectorIjEEZZNS1_9scan_implILNS1_25lookback_scan_determinismE0ELb1ELb1ES3_N6thrust23THRUST_200600_302600_NS6detail15normal_iteratorINS9_10device_ptrIjEEEENS9_16discard_iteratorINS9_11use_defaultEEEj11max_functorIjEjEEDaPvRmT3_T4_T5_mT6_P12ihipStream_tbENKUlT_T0_E_clISt17integral_constantIbLb0EESW_IbLb1EEEEDaSS_ST_EUlSS_E0_NS1_11comp_targetILNS1_3genE0ELNS1_11target_archE4294967295ELNS1_3gpuE0ELNS1_3repE0EEENS1_30default_config_static_selectorELNS0_4arch9wavefront6targetE1EEEvT1_
		.amdhsa_group_segment_fixed_size 0
		.amdhsa_private_segment_fixed_size 0
		.amdhsa_kernarg_size 40
		.amdhsa_user_sgpr_count 6
		.amdhsa_user_sgpr_private_segment_buffer 1
		.amdhsa_user_sgpr_dispatch_ptr 0
		.amdhsa_user_sgpr_queue_ptr 0
		.amdhsa_user_sgpr_kernarg_segment_ptr 1
		.amdhsa_user_sgpr_dispatch_id 0
		.amdhsa_user_sgpr_flat_scratch_init 0
		.amdhsa_user_sgpr_kernarg_preload_length 0
		.amdhsa_user_sgpr_kernarg_preload_offset 0
		.amdhsa_user_sgpr_private_segment_size 0
		.amdhsa_uses_dynamic_stack 0
		.amdhsa_system_sgpr_private_segment_wavefront_offset 0
		.amdhsa_system_sgpr_workgroup_id_x 1
		.amdhsa_system_sgpr_workgroup_id_y 0
		.amdhsa_system_sgpr_workgroup_id_z 0
		.amdhsa_system_sgpr_workgroup_info 0
		.amdhsa_system_vgpr_workitem_id 0
		.amdhsa_next_free_vgpr 1
		.amdhsa_next_free_sgpr 0
		.amdhsa_accum_offset 4
		.amdhsa_reserve_vcc 0
		.amdhsa_reserve_flat_scratch 0
		.amdhsa_float_round_mode_32 0
		.amdhsa_float_round_mode_16_64 0
		.amdhsa_float_denorm_mode_32 3
		.amdhsa_float_denorm_mode_16_64 3
		.amdhsa_dx10_clamp 1
		.amdhsa_ieee_mode 1
		.amdhsa_fp16_overflow 0
		.amdhsa_tg_split 0
		.amdhsa_exception_fp_ieee_invalid_op 0
		.amdhsa_exception_fp_denorm_src 0
		.amdhsa_exception_fp_ieee_div_zero 0
		.amdhsa_exception_fp_ieee_overflow 0
		.amdhsa_exception_fp_ieee_underflow 0
		.amdhsa_exception_fp_ieee_inexact 0
		.amdhsa_exception_int_div_zero 0
	.end_amdhsa_kernel
	.section	.text._ZN7rocprim17ROCPRIM_400000_NS6detail17trampoline_kernelINS0_14default_configENS1_20scan_config_selectorIjEEZZNS1_9scan_implILNS1_25lookback_scan_determinismE0ELb1ELb1ES3_N6thrust23THRUST_200600_302600_NS6detail15normal_iteratorINS9_10device_ptrIjEEEENS9_16discard_iteratorINS9_11use_defaultEEEj11max_functorIjEjEEDaPvRmT3_T4_T5_mT6_P12ihipStream_tbENKUlT_T0_E_clISt17integral_constantIbLb0EESW_IbLb1EEEEDaSS_ST_EUlSS_E0_NS1_11comp_targetILNS1_3genE0ELNS1_11target_archE4294967295ELNS1_3gpuE0ELNS1_3repE0EEENS1_30default_config_static_selectorELNS0_4arch9wavefront6targetE1EEEvT1_,"axG",@progbits,_ZN7rocprim17ROCPRIM_400000_NS6detail17trampoline_kernelINS0_14default_configENS1_20scan_config_selectorIjEEZZNS1_9scan_implILNS1_25lookback_scan_determinismE0ELb1ELb1ES3_N6thrust23THRUST_200600_302600_NS6detail15normal_iteratorINS9_10device_ptrIjEEEENS9_16discard_iteratorINS9_11use_defaultEEEj11max_functorIjEjEEDaPvRmT3_T4_T5_mT6_P12ihipStream_tbENKUlT_T0_E_clISt17integral_constantIbLb0EESW_IbLb1EEEEDaSS_ST_EUlSS_E0_NS1_11comp_targetILNS1_3genE0ELNS1_11target_archE4294967295ELNS1_3gpuE0ELNS1_3repE0EEENS1_30default_config_static_selectorELNS0_4arch9wavefront6targetE1EEEvT1_,comdat
.Lfunc_end3557:
	.size	_ZN7rocprim17ROCPRIM_400000_NS6detail17trampoline_kernelINS0_14default_configENS1_20scan_config_selectorIjEEZZNS1_9scan_implILNS1_25lookback_scan_determinismE0ELb1ELb1ES3_N6thrust23THRUST_200600_302600_NS6detail15normal_iteratorINS9_10device_ptrIjEEEENS9_16discard_iteratorINS9_11use_defaultEEEj11max_functorIjEjEEDaPvRmT3_T4_T5_mT6_P12ihipStream_tbENKUlT_T0_E_clISt17integral_constantIbLb0EESW_IbLb1EEEEDaSS_ST_EUlSS_E0_NS1_11comp_targetILNS1_3genE0ELNS1_11target_archE4294967295ELNS1_3gpuE0ELNS1_3repE0EEENS1_30default_config_static_selectorELNS0_4arch9wavefront6targetE1EEEvT1_, .Lfunc_end3557-_ZN7rocprim17ROCPRIM_400000_NS6detail17trampoline_kernelINS0_14default_configENS1_20scan_config_selectorIjEEZZNS1_9scan_implILNS1_25lookback_scan_determinismE0ELb1ELb1ES3_N6thrust23THRUST_200600_302600_NS6detail15normal_iteratorINS9_10device_ptrIjEEEENS9_16discard_iteratorINS9_11use_defaultEEEj11max_functorIjEjEEDaPvRmT3_T4_T5_mT6_P12ihipStream_tbENKUlT_T0_E_clISt17integral_constantIbLb0EESW_IbLb1EEEEDaSS_ST_EUlSS_E0_NS1_11comp_targetILNS1_3genE0ELNS1_11target_archE4294967295ELNS1_3gpuE0ELNS1_3repE0EEENS1_30default_config_static_selectorELNS0_4arch9wavefront6targetE1EEEvT1_
                                        ; -- End function
	.section	.AMDGPU.csdata,"",@progbits
; Kernel info:
; codeLenInByte = 0
; NumSgprs: 4
; NumVgprs: 0
; NumAgprs: 0
; TotalNumVgprs: 0
; ScratchSize: 0
; MemoryBound: 0
; FloatMode: 240
; IeeeMode: 1
; LDSByteSize: 0 bytes/workgroup (compile time only)
; SGPRBlocks: 0
; VGPRBlocks: 0
; NumSGPRsForWavesPerEU: 4
; NumVGPRsForWavesPerEU: 1
; AccumOffset: 4
; Occupancy: 8
; WaveLimiterHint : 0
; COMPUTE_PGM_RSRC2:SCRATCH_EN: 0
; COMPUTE_PGM_RSRC2:USER_SGPR: 6
; COMPUTE_PGM_RSRC2:TRAP_HANDLER: 0
; COMPUTE_PGM_RSRC2:TGID_X_EN: 1
; COMPUTE_PGM_RSRC2:TGID_Y_EN: 0
; COMPUTE_PGM_RSRC2:TGID_Z_EN: 0
; COMPUTE_PGM_RSRC2:TIDIG_COMP_CNT: 0
; COMPUTE_PGM_RSRC3_GFX90A:ACCUM_OFFSET: 0
; COMPUTE_PGM_RSRC3_GFX90A:TG_SPLIT: 0
	.section	.text._ZN7rocprim17ROCPRIM_400000_NS6detail17trampoline_kernelINS0_14default_configENS1_20scan_config_selectorIjEEZZNS1_9scan_implILNS1_25lookback_scan_determinismE0ELb1ELb1ES3_N6thrust23THRUST_200600_302600_NS6detail15normal_iteratorINS9_10device_ptrIjEEEENS9_16discard_iteratorINS9_11use_defaultEEEj11max_functorIjEjEEDaPvRmT3_T4_T5_mT6_P12ihipStream_tbENKUlT_T0_E_clISt17integral_constantIbLb0EESW_IbLb1EEEEDaSS_ST_EUlSS_E0_NS1_11comp_targetILNS1_3genE5ELNS1_11target_archE942ELNS1_3gpuE9ELNS1_3repE0EEENS1_30default_config_static_selectorELNS0_4arch9wavefront6targetE1EEEvT1_,"axG",@progbits,_ZN7rocprim17ROCPRIM_400000_NS6detail17trampoline_kernelINS0_14default_configENS1_20scan_config_selectorIjEEZZNS1_9scan_implILNS1_25lookback_scan_determinismE0ELb1ELb1ES3_N6thrust23THRUST_200600_302600_NS6detail15normal_iteratorINS9_10device_ptrIjEEEENS9_16discard_iteratorINS9_11use_defaultEEEj11max_functorIjEjEEDaPvRmT3_T4_T5_mT6_P12ihipStream_tbENKUlT_T0_E_clISt17integral_constantIbLb0EESW_IbLb1EEEEDaSS_ST_EUlSS_E0_NS1_11comp_targetILNS1_3genE5ELNS1_11target_archE942ELNS1_3gpuE9ELNS1_3repE0EEENS1_30default_config_static_selectorELNS0_4arch9wavefront6targetE1EEEvT1_,comdat
	.protected	_ZN7rocprim17ROCPRIM_400000_NS6detail17trampoline_kernelINS0_14default_configENS1_20scan_config_selectorIjEEZZNS1_9scan_implILNS1_25lookback_scan_determinismE0ELb1ELb1ES3_N6thrust23THRUST_200600_302600_NS6detail15normal_iteratorINS9_10device_ptrIjEEEENS9_16discard_iteratorINS9_11use_defaultEEEj11max_functorIjEjEEDaPvRmT3_T4_T5_mT6_P12ihipStream_tbENKUlT_T0_E_clISt17integral_constantIbLb0EESW_IbLb1EEEEDaSS_ST_EUlSS_E0_NS1_11comp_targetILNS1_3genE5ELNS1_11target_archE942ELNS1_3gpuE9ELNS1_3repE0EEENS1_30default_config_static_selectorELNS0_4arch9wavefront6targetE1EEEvT1_ ; -- Begin function _ZN7rocprim17ROCPRIM_400000_NS6detail17trampoline_kernelINS0_14default_configENS1_20scan_config_selectorIjEEZZNS1_9scan_implILNS1_25lookback_scan_determinismE0ELb1ELb1ES3_N6thrust23THRUST_200600_302600_NS6detail15normal_iteratorINS9_10device_ptrIjEEEENS9_16discard_iteratorINS9_11use_defaultEEEj11max_functorIjEjEEDaPvRmT3_T4_T5_mT6_P12ihipStream_tbENKUlT_T0_E_clISt17integral_constantIbLb0EESW_IbLb1EEEEDaSS_ST_EUlSS_E0_NS1_11comp_targetILNS1_3genE5ELNS1_11target_archE942ELNS1_3gpuE9ELNS1_3repE0EEENS1_30default_config_static_selectorELNS0_4arch9wavefront6targetE1EEEvT1_
	.globl	_ZN7rocprim17ROCPRIM_400000_NS6detail17trampoline_kernelINS0_14default_configENS1_20scan_config_selectorIjEEZZNS1_9scan_implILNS1_25lookback_scan_determinismE0ELb1ELb1ES3_N6thrust23THRUST_200600_302600_NS6detail15normal_iteratorINS9_10device_ptrIjEEEENS9_16discard_iteratorINS9_11use_defaultEEEj11max_functorIjEjEEDaPvRmT3_T4_T5_mT6_P12ihipStream_tbENKUlT_T0_E_clISt17integral_constantIbLb0EESW_IbLb1EEEEDaSS_ST_EUlSS_E0_NS1_11comp_targetILNS1_3genE5ELNS1_11target_archE942ELNS1_3gpuE9ELNS1_3repE0EEENS1_30default_config_static_selectorELNS0_4arch9wavefront6targetE1EEEvT1_
	.p2align	8
	.type	_ZN7rocprim17ROCPRIM_400000_NS6detail17trampoline_kernelINS0_14default_configENS1_20scan_config_selectorIjEEZZNS1_9scan_implILNS1_25lookback_scan_determinismE0ELb1ELb1ES3_N6thrust23THRUST_200600_302600_NS6detail15normal_iteratorINS9_10device_ptrIjEEEENS9_16discard_iteratorINS9_11use_defaultEEEj11max_functorIjEjEEDaPvRmT3_T4_T5_mT6_P12ihipStream_tbENKUlT_T0_E_clISt17integral_constantIbLb0EESW_IbLb1EEEEDaSS_ST_EUlSS_E0_NS1_11comp_targetILNS1_3genE5ELNS1_11target_archE942ELNS1_3gpuE9ELNS1_3repE0EEENS1_30default_config_static_selectorELNS0_4arch9wavefront6targetE1EEEvT1_,@function
_ZN7rocprim17ROCPRIM_400000_NS6detail17trampoline_kernelINS0_14default_configENS1_20scan_config_selectorIjEEZZNS1_9scan_implILNS1_25lookback_scan_determinismE0ELb1ELb1ES3_N6thrust23THRUST_200600_302600_NS6detail15normal_iteratorINS9_10device_ptrIjEEEENS9_16discard_iteratorINS9_11use_defaultEEEj11max_functorIjEjEEDaPvRmT3_T4_T5_mT6_P12ihipStream_tbENKUlT_T0_E_clISt17integral_constantIbLb0EESW_IbLb1EEEEDaSS_ST_EUlSS_E0_NS1_11comp_targetILNS1_3genE5ELNS1_11target_archE942ELNS1_3gpuE9ELNS1_3repE0EEENS1_30default_config_static_selectorELNS0_4arch9wavefront6targetE1EEEvT1_: ; @_ZN7rocprim17ROCPRIM_400000_NS6detail17trampoline_kernelINS0_14default_configENS1_20scan_config_selectorIjEEZZNS1_9scan_implILNS1_25lookback_scan_determinismE0ELb1ELb1ES3_N6thrust23THRUST_200600_302600_NS6detail15normal_iteratorINS9_10device_ptrIjEEEENS9_16discard_iteratorINS9_11use_defaultEEEj11max_functorIjEjEEDaPvRmT3_T4_T5_mT6_P12ihipStream_tbENKUlT_T0_E_clISt17integral_constantIbLb0EESW_IbLb1EEEEDaSS_ST_EUlSS_E0_NS1_11comp_targetILNS1_3genE5ELNS1_11target_archE942ELNS1_3gpuE9ELNS1_3repE0EEENS1_30default_config_static_selectorELNS0_4arch9wavefront6targetE1EEEvT1_
; %bb.0:
	.section	.rodata,"a",@progbits
	.p2align	6, 0x0
	.amdhsa_kernel _ZN7rocprim17ROCPRIM_400000_NS6detail17trampoline_kernelINS0_14default_configENS1_20scan_config_selectorIjEEZZNS1_9scan_implILNS1_25lookback_scan_determinismE0ELb1ELb1ES3_N6thrust23THRUST_200600_302600_NS6detail15normal_iteratorINS9_10device_ptrIjEEEENS9_16discard_iteratorINS9_11use_defaultEEEj11max_functorIjEjEEDaPvRmT3_T4_T5_mT6_P12ihipStream_tbENKUlT_T0_E_clISt17integral_constantIbLb0EESW_IbLb1EEEEDaSS_ST_EUlSS_E0_NS1_11comp_targetILNS1_3genE5ELNS1_11target_archE942ELNS1_3gpuE9ELNS1_3repE0EEENS1_30default_config_static_selectorELNS0_4arch9wavefront6targetE1EEEvT1_
		.amdhsa_group_segment_fixed_size 0
		.amdhsa_private_segment_fixed_size 0
		.amdhsa_kernarg_size 40
		.amdhsa_user_sgpr_count 6
		.amdhsa_user_sgpr_private_segment_buffer 1
		.amdhsa_user_sgpr_dispatch_ptr 0
		.amdhsa_user_sgpr_queue_ptr 0
		.amdhsa_user_sgpr_kernarg_segment_ptr 1
		.amdhsa_user_sgpr_dispatch_id 0
		.amdhsa_user_sgpr_flat_scratch_init 0
		.amdhsa_user_sgpr_kernarg_preload_length 0
		.amdhsa_user_sgpr_kernarg_preload_offset 0
		.amdhsa_user_sgpr_private_segment_size 0
		.amdhsa_uses_dynamic_stack 0
		.amdhsa_system_sgpr_private_segment_wavefront_offset 0
		.amdhsa_system_sgpr_workgroup_id_x 1
		.amdhsa_system_sgpr_workgroup_id_y 0
		.amdhsa_system_sgpr_workgroup_id_z 0
		.amdhsa_system_sgpr_workgroup_info 0
		.amdhsa_system_vgpr_workitem_id 0
		.amdhsa_next_free_vgpr 1
		.amdhsa_next_free_sgpr 0
		.amdhsa_accum_offset 4
		.amdhsa_reserve_vcc 0
		.amdhsa_reserve_flat_scratch 0
		.amdhsa_float_round_mode_32 0
		.amdhsa_float_round_mode_16_64 0
		.amdhsa_float_denorm_mode_32 3
		.amdhsa_float_denorm_mode_16_64 3
		.amdhsa_dx10_clamp 1
		.amdhsa_ieee_mode 1
		.amdhsa_fp16_overflow 0
		.amdhsa_tg_split 0
		.amdhsa_exception_fp_ieee_invalid_op 0
		.amdhsa_exception_fp_denorm_src 0
		.amdhsa_exception_fp_ieee_div_zero 0
		.amdhsa_exception_fp_ieee_overflow 0
		.amdhsa_exception_fp_ieee_underflow 0
		.amdhsa_exception_fp_ieee_inexact 0
		.amdhsa_exception_int_div_zero 0
	.end_amdhsa_kernel
	.section	.text._ZN7rocprim17ROCPRIM_400000_NS6detail17trampoline_kernelINS0_14default_configENS1_20scan_config_selectorIjEEZZNS1_9scan_implILNS1_25lookback_scan_determinismE0ELb1ELb1ES3_N6thrust23THRUST_200600_302600_NS6detail15normal_iteratorINS9_10device_ptrIjEEEENS9_16discard_iteratorINS9_11use_defaultEEEj11max_functorIjEjEEDaPvRmT3_T4_T5_mT6_P12ihipStream_tbENKUlT_T0_E_clISt17integral_constantIbLb0EESW_IbLb1EEEEDaSS_ST_EUlSS_E0_NS1_11comp_targetILNS1_3genE5ELNS1_11target_archE942ELNS1_3gpuE9ELNS1_3repE0EEENS1_30default_config_static_selectorELNS0_4arch9wavefront6targetE1EEEvT1_,"axG",@progbits,_ZN7rocprim17ROCPRIM_400000_NS6detail17trampoline_kernelINS0_14default_configENS1_20scan_config_selectorIjEEZZNS1_9scan_implILNS1_25lookback_scan_determinismE0ELb1ELb1ES3_N6thrust23THRUST_200600_302600_NS6detail15normal_iteratorINS9_10device_ptrIjEEEENS9_16discard_iteratorINS9_11use_defaultEEEj11max_functorIjEjEEDaPvRmT3_T4_T5_mT6_P12ihipStream_tbENKUlT_T0_E_clISt17integral_constantIbLb0EESW_IbLb1EEEEDaSS_ST_EUlSS_E0_NS1_11comp_targetILNS1_3genE5ELNS1_11target_archE942ELNS1_3gpuE9ELNS1_3repE0EEENS1_30default_config_static_selectorELNS0_4arch9wavefront6targetE1EEEvT1_,comdat
.Lfunc_end3558:
	.size	_ZN7rocprim17ROCPRIM_400000_NS6detail17trampoline_kernelINS0_14default_configENS1_20scan_config_selectorIjEEZZNS1_9scan_implILNS1_25lookback_scan_determinismE0ELb1ELb1ES3_N6thrust23THRUST_200600_302600_NS6detail15normal_iteratorINS9_10device_ptrIjEEEENS9_16discard_iteratorINS9_11use_defaultEEEj11max_functorIjEjEEDaPvRmT3_T4_T5_mT6_P12ihipStream_tbENKUlT_T0_E_clISt17integral_constantIbLb0EESW_IbLb1EEEEDaSS_ST_EUlSS_E0_NS1_11comp_targetILNS1_3genE5ELNS1_11target_archE942ELNS1_3gpuE9ELNS1_3repE0EEENS1_30default_config_static_selectorELNS0_4arch9wavefront6targetE1EEEvT1_, .Lfunc_end3558-_ZN7rocprim17ROCPRIM_400000_NS6detail17trampoline_kernelINS0_14default_configENS1_20scan_config_selectorIjEEZZNS1_9scan_implILNS1_25lookback_scan_determinismE0ELb1ELb1ES3_N6thrust23THRUST_200600_302600_NS6detail15normal_iteratorINS9_10device_ptrIjEEEENS9_16discard_iteratorINS9_11use_defaultEEEj11max_functorIjEjEEDaPvRmT3_T4_T5_mT6_P12ihipStream_tbENKUlT_T0_E_clISt17integral_constantIbLb0EESW_IbLb1EEEEDaSS_ST_EUlSS_E0_NS1_11comp_targetILNS1_3genE5ELNS1_11target_archE942ELNS1_3gpuE9ELNS1_3repE0EEENS1_30default_config_static_selectorELNS0_4arch9wavefront6targetE1EEEvT1_
                                        ; -- End function
	.section	.AMDGPU.csdata,"",@progbits
; Kernel info:
; codeLenInByte = 0
; NumSgprs: 4
; NumVgprs: 0
; NumAgprs: 0
; TotalNumVgprs: 0
; ScratchSize: 0
; MemoryBound: 0
; FloatMode: 240
; IeeeMode: 1
; LDSByteSize: 0 bytes/workgroup (compile time only)
; SGPRBlocks: 0
; VGPRBlocks: 0
; NumSGPRsForWavesPerEU: 4
; NumVGPRsForWavesPerEU: 1
; AccumOffset: 4
; Occupancy: 8
; WaveLimiterHint : 0
; COMPUTE_PGM_RSRC2:SCRATCH_EN: 0
; COMPUTE_PGM_RSRC2:USER_SGPR: 6
; COMPUTE_PGM_RSRC2:TRAP_HANDLER: 0
; COMPUTE_PGM_RSRC2:TGID_X_EN: 1
; COMPUTE_PGM_RSRC2:TGID_Y_EN: 0
; COMPUTE_PGM_RSRC2:TGID_Z_EN: 0
; COMPUTE_PGM_RSRC2:TIDIG_COMP_CNT: 0
; COMPUTE_PGM_RSRC3_GFX90A:ACCUM_OFFSET: 0
; COMPUTE_PGM_RSRC3_GFX90A:TG_SPLIT: 0
	.section	.text._ZN7rocprim17ROCPRIM_400000_NS6detail17trampoline_kernelINS0_14default_configENS1_20scan_config_selectorIjEEZZNS1_9scan_implILNS1_25lookback_scan_determinismE0ELb1ELb1ES3_N6thrust23THRUST_200600_302600_NS6detail15normal_iteratorINS9_10device_ptrIjEEEENS9_16discard_iteratorINS9_11use_defaultEEEj11max_functorIjEjEEDaPvRmT3_T4_T5_mT6_P12ihipStream_tbENKUlT_T0_E_clISt17integral_constantIbLb0EESW_IbLb1EEEEDaSS_ST_EUlSS_E0_NS1_11comp_targetILNS1_3genE4ELNS1_11target_archE910ELNS1_3gpuE8ELNS1_3repE0EEENS1_30default_config_static_selectorELNS0_4arch9wavefront6targetE1EEEvT1_,"axG",@progbits,_ZN7rocprim17ROCPRIM_400000_NS6detail17trampoline_kernelINS0_14default_configENS1_20scan_config_selectorIjEEZZNS1_9scan_implILNS1_25lookback_scan_determinismE0ELb1ELb1ES3_N6thrust23THRUST_200600_302600_NS6detail15normal_iteratorINS9_10device_ptrIjEEEENS9_16discard_iteratorINS9_11use_defaultEEEj11max_functorIjEjEEDaPvRmT3_T4_T5_mT6_P12ihipStream_tbENKUlT_T0_E_clISt17integral_constantIbLb0EESW_IbLb1EEEEDaSS_ST_EUlSS_E0_NS1_11comp_targetILNS1_3genE4ELNS1_11target_archE910ELNS1_3gpuE8ELNS1_3repE0EEENS1_30default_config_static_selectorELNS0_4arch9wavefront6targetE1EEEvT1_,comdat
	.protected	_ZN7rocprim17ROCPRIM_400000_NS6detail17trampoline_kernelINS0_14default_configENS1_20scan_config_selectorIjEEZZNS1_9scan_implILNS1_25lookback_scan_determinismE0ELb1ELb1ES3_N6thrust23THRUST_200600_302600_NS6detail15normal_iteratorINS9_10device_ptrIjEEEENS9_16discard_iteratorINS9_11use_defaultEEEj11max_functorIjEjEEDaPvRmT3_T4_T5_mT6_P12ihipStream_tbENKUlT_T0_E_clISt17integral_constantIbLb0EESW_IbLb1EEEEDaSS_ST_EUlSS_E0_NS1_11comp_targetILNS1_3genE4ELNS1_11target_archE910ELNS1_3gpuE8ELNS1_3repE0EEENS1_30default_config_static_selectorELNS0_4arch9wavefront6targetE1EEEvT1_ ; -- Begin function _ZN7rocprim17ROCPRIM_400000_NS6detail17trampoline_kernelINS0_14default_configENS1_20scan_config_selectorIjEEZZNS1_9scan_implILNS1_25lookback_scan_determinismE0ELb1ELb1ES3_N6thrust23THRUST_200600_302600_NS6detail15normal_iteratorINS9_10device_ptrIjEEEENS9_16discard_iteratorINS9_11use_defaultEEEj11max_functorIjEjEEDaPvRmT3_T4_T5_mT6_P12ihipStream_tbENKUlT_T0_E_clISt17integral_constantIbLb0EESW_IbLb1EEEEDaSS_ST_EUlSS_E0_NS1_11comp_targetILNS1_3genE4ELNS1_11target_archE910ELNS1_3gpuE8ELNS1_3repE0EEENS1_30default_config_static_selectorELNS0_4arch9wavefront6targetE1EEEvT1_
	.globl	_ZN7rocprim17ROCPRIM_400000_NS6detail17trampoline_kernelINS0_14default_configENS1_20scan_config_selectorIjEEZZNS1_9scan_implILNS1_25lookback_scan_determinismE0ELb1ELb1ES3_N6thrust23THRUST_200600_302600_NS6detail15normal_iteratorINS9_10device_ptrIjEEEENS9_16discard_iteratorINS9_11use_defaultEEEj11max_functorIjEjEEDaPvRmT3_T4_T5_mT6_P12ihipStream_tbENKUlT_T0_E_clISt17integral_constantIbLb0EESW_IbLb1EEEEDaSS_ST_EUlSS_E0_NS1_11comp_targetILNS1_3genE4ELNS1_11target_archE910ELNS1_3gpuE8ELNS1_3repE0EEENS1_30default_config_static_selectorELNS0_4arch9wavefront6targetE1EEEvT1_
	.p2align	8
	.type	_ZN7rocprim17ROCPRIM_400000_NS6detail17trampoline_kernelINS0_14default_configENS1_20scan_config_selectorIjEEZZNS1_9scan_implILNS1_25lookback_scan_determinismE0ELb1ELb1ES3_N6thrust23THRUST_200600_302600_NS6detail15normal_iteratorINS9_10device_ptrIjEEEENS9_16discard_iteratorINS9_11use_defaultEEEj11max_functorIjEjEEDaPvRmT3_T4_T5_mT6_P12ihipStream_tbENKUlT_T0_E_clISt17integral_constantIbLb0EESW_IbLb1EEEEDaSS_ST_EUlSS_E0_NS1_11comp_targetILNS1_3genE4ELNS1_11target_archE910ELNS1_3gpuE8ELNS1_3repE0EEENS1_30default_config_static_selectorELNS0_4arch9wavefront6targetE1EEEvT1_,@function
_ZN7rocprim17ROCPRIM_400000_NS6detail17trampoline_kernelINS0_14default_configENS1_20scan_config_selectorIjEEZZNS1_9scan_implILNS1_25lookback_scan_determinismE0ELb1ELb1ES3_N6thrust23THRUST_200600_302600_NS6detail15normal_iteratorINS9_10device_ptrIjEEEENS9_16discard_iteratorINS9_11use_defaultEEEj11max_functorIjEjEEDaPvRmT3_T4_T5_mT6_P12ihipStream_tbENKUlT_T0_E_clISt17integral_constantIbLb0EESW_IbLb1EEEEDaSS_ST_EUlSS_E0_NS1_11comp_targetILNS1_3genE4ELNS1_11target_archE910ELNS1_3gpuE8ELNS1_3repE0EEENS1_30default_config_static_selectorELNS0_4arch9wavefront6targetE1EEEvT1_: ; @_ZN7rocprim17ROCPRIM_400000_NS6detail17trampoline_kernelINS0_14default_configENS1_20scan_config_selectorIjEEZZNS1_9scan_implILNS1_25lookback_scan_determinismE0ELb1ELb1ES3_N6thrust23THRUST_200600_302600_NS6detail15normal_iteratorINS9_10device_ptrIjEEEENS9_16discard_iteratorINS9_11use_defaultEEEj11max_functorIjEjEEDaPvRmT3_T4_T5_mT6_P12ihipStream_tbENKUlT_T0_E_clISt17integral_constantIbLb0EESW_IbLb1EEEEDaSS_ST_EUlSS_E0_NS1_11comp_targetILNS1_3genE4ELNS1_11target_archE910ELNS1_3gpuE8ELNS1_3repE0EEENS1_30default_config_static_selectorELNS0_4arch9wavefront6targetE1EEEvT1_
; %bb.0:
	s_load_dwordx4 s[0:3], s[4:5], 0x0
	v_lshlrev_b32_e32 v1, 2, v0
	s_waitcnt lgkmcnt(0)
	s_load_dword s3, s[0:1], 0x0
	v_cmp_gt_u32_e32 vcc, s2, v0
	s_waitcnt lgkmcnt(0)
	v_mov_b32_e32 v2, s3
	s_and_saveexec_b64 s[6:7], vcc
	s_cbranch_execz .LBB3559_2
; %bb.1:
	global_load_dword v2, v1, s[0:1]
.LBB3559_2:
	s_or_b64 exec, exec, s[6:7]
	v_or_b32_e32 v3, 0x80, v0
	v_cmp_gt_u32_e32 vcc, s2, v3
	v_mov_b32_e32 v3, s3
	s_and_saveexec_b64 s[6:7], vcc
	s_cbranch_execz .LBB3559_4
; %bb.3:
	global_load_dword v3, v1, s[0:1] offset:512
.LBB3559_4:
	s_or_b64 exec, exec, s[6:7]
	v_or_b32_e32 v4, 0x100, v0
	v_cmp_gt_u32_e32 vcc, s2, v4
	v_mov_b32_e32 v4, s3
	s_and_saveexec_b64 s[6:7], vcc
	s_cbranch_execz .LBB3559_6
; %bb.5:
	global_load_dword v4, v1, s[0:1] offset:1024
.LBB3559_6:
	;; [unrolled: 9-line block ×7, first 2 shown]
	s_or_b64 exec, exec, s[6:7]
	v_or_b32_e32 v11, 0x400, v0
	v_cmp_gt_u32_e32 vcc, s2, v11
	v_mov_b32_e32 v10, s3
	s_and_saveexec_b64 s[6:7], vcc
	s_cbranch_execz .LBB3559_18
; %bb.17:
	v_lshlrev_b32_e32 v10, 2, v11
	global_load_dword v10, v10, s[0:1]
.LBB3559_18:
	s_or_b64 exec, exec, s[6:7]
	s_load_dword s4, s[4:5], 0x10
	v_or_b32_e32 v12, 0x480, v0
	v_cmp_gt_u32_e32 vcc, s2, v12
	v_mov_b32_e32 v11, s3
	s_and_saveexec_b64 s[2:3], vcc
	s_cbranch_execz .LBB3559_20
; %bb.19:
	v_lshlrev_b32_e32 v11, 2, v12
	global_load_dword v11, v11, s[0:1]
.LBB3559_20:
	s_or_b64 exec, exec, s[2:3]
	s_waitcnt vmcnt(0)
	ds_write2st64_b32 v1, v2, v3 offset1:2
	ds_write2st64_b32 v1, v4, v5 offset0:4 offset1:6
	ds_write2st64_b32 v1, v6, v7 offset0:8 offset1:10
	;; [unrolled: 1-line block ×4, first 2 shown]
	v_mad_u32_u24 v10, v0, 36, v1
	s_waitcnt lgkmcnt(0)
	s_barrier
	ds_read2_b64 v[6:9], v10 offset1:1
	ds_read2_b64 v[2:5], v10 offset0:2 offset1:3
	ds_read_b64 v[10:11], v10 offset:32
	v_cmp_gt_u32_e32 vcc, 64, v0
	s_waitcnt lgkmcnt(0)
	v_max_u32_e32 v12, v6, v7
	v_max3_u32 v12, v12, v8, v9
	v_max3_u32 v12, v12, v2, v3
	v_max3_u32 v12, v12, v4, v5
	v_max3_u32 v11, v12, v10, v11
	v_lshrrev_b32_e32 v12, 3, v0
	v_and_b32_e32 v12, 12, v12
	v_add_u32_e32 v12, v1, v12
	s_barrier
	ds_write_b32 v12, v11
	s_waitcnt lgkmcnt(0)
	s_barrier
	s_and_saveexec_b64 s[0:1], vcc
	s_cbranch_execz .LBB3559_22
; %bb.21:
	v_lshlrev_b32_e32 v12, 1, v0
	v_lshrrev_b32_e32 v13, 4, v0
	v_add_lshl_u32 v14, v13, v12, 2
	ds_read2_b32 v[12:13], v14 offset1:1
	v_mbcnt_lo_u32_b32 v15, -1, 0
	v_mbcnt_hi_u32_b32 v15, -1, v15
	v_and_b32_e32 v16, 15, v15
	v_cmp_eq_u32_e32 vcc, 0, v16
	s_waitcnt lgkmcnt(0)
	v_max_u32_e32 v13, v12, v13
	; wave barrier
	s_nop 1
	v_mov_b32_dpp v17, v13 row_shr:1 row_mask:0xf bank_mask:0xf
	v_max_u32_e32 v17, v17, v13
	v_cndmask_b32_e32 v13, v17, v13, vcc
	v_cmp_lt_u32_e32 vcc, 1, v16
	s_nop 0
	v_mov_b32_dpp v17, v13 row_shr:2 row_mask:0xf bank_mask:0xf
	v_max_u32_e32 v17, v17, v13
	v_cndmask_b32_e32 v13, v13, v17, vcc
	v_cmp_lt_u32_e32 vcc, 3, v16
	;; [unrolled: 5-line block ×3, first 2 shown]
	s_nop 0
	v_mov_b32_dpp v17, v13 row_shr:8 row_mask:0xf bank_mask:0xf
	v_max_u32_e32 v17, v17, v13
	v_cndmask_b32_e32 v13, v13, v17, vcc
	v_and_b32_e32 v17, 16, v15
	v_cmp_eq_u32_e32 vcc, 0, v17
	v_mov_b32_dpp v16, v13 row_bcast:15 row_mask:0xf bank_mask:0xf
	v_max_u32_e32 v16, v16, v13
	v_cndmask_b32_e32 v13, v16, v13, vcc
	v_cmp_lt_u32_e32 vcc, 31, v15
	v_and_b32_e32 v17, 64, v15
	v_mov_b32_dpp v16, v13 row_bcast:31 row_mask:0xf bank_mask:0xf
	v_max_u32_e32 v16, v16, v13
	v_cndmask_b32_e32 v13, v13, v16, vcc
	v_add_u32_e32 v16, -1, v15
	v_cmp_lt_i32_e32 vcc, v16, v17
	v_cndmask_b32_e32 v15, v16, v15, vcc
	v_lshlrev_b32_e32 v15, 2, v15
	ds_bpermute_b32 v13, v15, v13
	v_cmp_eq_u32_e32 vcc, 0, v0
	s_waitcnt lgkmcnt(0)
	v_max_u32_e32 v12, v13, v12
	v_cndmask_b32_e32 v11, v12, v11, vcc
	ds_write_b32 v14, v11
	; wave barrier
	ds_read_b32 v12, v14 offset:4
	s_waitcnt lgkmcnt(0)
	v_max_u32_e32 v11, v11, v12
	ds_write_b32 v14, v11 offset:4
.LBB3559_22:
	s_or_b64 exec, exec, s[0:1]
	v_mul_u32_u24_e32 v11, 36, v0
	v_cmp_ne_u32_e32 vcc, 0, v0
	v_mov_b32_e32 v12, s4
	s_waitcnt lgkmcnt(0)
	s_barrier
	s_and_saveexec_b64 s[0:1], vcc
	s_cbranch_execz .LBB3559_24
; %bb.23:
	v_add_u32_e32 v0, -1, v0
	v_lshrrev_b32_e32 v12, 5, v0
	v_add_lshl_u32 v0, v12, v0, 2
	ds_read_b32 v0, v0
	s_waitcnt lgkmcnt(0)
	v_max_u32_e32 v12, s4, v0
.LBB3559_24:
	s_or_b64 exec, exec, s[0:1]
	v_max_u32_e32 v13, v12, v6
	v_max_u32_e32 v6, v13, v7
	;; [unrolled: 1-line block ×8, first 2 shown]
	v_add_u32_e32 v0, v1, v11
	v_max_u32_e32 v5, v4, v10
	s_barrier
	ds_write2_b64 v0, v[12:13], v[6:7] offset1:1
	ds_write2_b64 v0, v[8:9], v[2:3] offset0:2 offset1:3
	ds_write_b64 v0, v[4:5] offset:32
	s_waitcnt lgkmcnt(0)
	s_barrier
	s_endpgm
	.section	.rodata,"a",@progbits
	.p2align	6, 0x0
	.amdhsa_kernel _ZN7rocprim17ROCPRIM_400000_NS6detail17trampoline_kernelINS0_14default_configENS1_20scan_config_selectorIjEEZZNS1_9scan_implILNS1_25lookback_scan_determinismE0ELb1ELb1ES3_N6thrust23THRUST_200600_302600_NS6detail15normal_iteratorINS9_10device_ptrIjEEEENS9_16discard_iteratorINS9_11use_defaultEEEj11max_functorIjEjEEDaPvRmT3_T4_T5_mT6_P12ihipStream_tbENKUlT_T0_E_clISt17integral_constantIbLb0EESW_IbLb1EEEEDaSS_ST_EUlSS_E0_NS1_11comp_targetILNS1_3genE4ELNS1_11target_archE910ELNS1_3gpuE8ELNS1_3repE0EEENS1_30default_config_static_selectorELNS0_4arch9wavefront6targetE1EEEvT1_
		.amdhsa_group_segment_fixed_size 5120
		.amdhsa_private_segment_fixed_size 0
		.amdhsa_kernarg_size 40
		.amdhsa_user_sgpr_count 6
		.amdhsa_user_sgpr_private_segment_buffer 1
		.amdhsa_user_sgpr_dispatch_ptr 0
		.amdhsa_user_sgpr_queue_ptr 0
		.amdhsa_user_sgpr_kernarg_segment_ptr 1
		.amdhsa_user_sgpr_dispatch_id 0
		.amdhsa_user_sgpr_flat_scratch_init 0
		.amdhsa_user_sgpr_kernarg_preload_length 0
		.amdhsa_user_sgpr_kernarg_preload_offset 0
		.amdhsa_user_sgpr_private_segment_size 0
		.amdhsa_uses_dynamic_stack 0
		.amdhsa_system_sgpr_private_segment_wavefront_offset 0
		.amdhsa_system_sgpr_workgroup_id_x 1
		.amdhsa_system_sgpr_workgroup_id_y 0
		.amdhsa_system_sgpr_workgroup_id_z 0
		.amdhsa_system_sgpr_workgroup_info 0
		.amdhsa_system_vgpr_workitem_id 0
		.amdhsa_next_free_vgpr 18
		.amdhsa_next_free_sgpr 8
		.amdhsa_accum_offset 20
		.amdhsa_reserve_vcc 1
		.amdhsa_reserve_flat_scratch 0
		.amdhsa_float_round_mode_32 0
		.amdhsa_float_round_mode_16_64 0
		.amdhsa_float_denorm_mode_32 3
		.amdhsa_float_denorm_mode_16_64 3
		.amdhsa_dx10_clamp 1
		.amdhsa_ieee_mode 1
		.amdhsa_fp16_overflow 0
		.amdhsa_tg_split 0
		.amdhsa_exception_fp_ieee_invalid_op 0
		.amdhsa_exception_fp_denorm_src 0
		.amdhsa_exception_fp_ieee_div_zero 0
		.amdhsa_exception_fp_ieee_overflow 0
		.amdhsa_exception_fp_ieee_underflow 0
		.amdhsa_exception_fp_ieee_inexact 0
		.amdhsa_exception_int_div_zero 0
	.end_amdhsa_kernel
	.section	.text._ZN7rocprim17ROCPRIM_400000_NS6detail17trampoline_kernelINS0_14default_configENS1_20scan_config_selectorIjEEZZNS1_9scan_implILNS1_25lookback_scan_determinismE0ELb1ELb1ES3_N6thrust23THRUST_200600_302600_NS6detail15normal_iteratorINS9_10device_ptrIjEEEENS9_16discard_iteratorINS9_11use_defaultEEEj11max_functorIjEjEEDaPvRmT3_T4_T5_mT6_P12ihipStream_tbENKUlT_T0_E_clISt17integral_constantIbLb0EESW_IbLb1EEEEDaSS_ST_EUlSS_E0_NS1_11comp_targetILNS1_3genE4ELNS1_11target_archE910ELNS1_3gpuE8ELNS1_3repE0EEENS1_30default_config_static_selectorELNS0_4arch9wavefront6targetE1EEEvT1_,"axG",@progbits,_ZN7rocprim17ROCPRIM_400000_NS6detail17trampoline_kernelINS0_14default_configENS1_20scan_config_selectorIjEEZZNS1_9scan_implILNS1_25lookback_scan_determinismE0ELb1ELb1ES3_N6thrust23THRUST_200600_302600_NS6detail15normal_iteratorINS9_10device_ptrIjEEEENS9_16discard_iteratorINS9_11use_defaultEEEj11max_functorIjEjEEDaPvRmT3_T4_T5_mT6_P12ihipStream_tbENKUlT_T0_E_clISt17integral_constantIbLb0EESW_IbLb1EEEEDaSS_ST_EUlSS_E0_NS1_11comp_targetILNS1_3genE4ELNS1_11target_archE910ELNS1_3gpuE8ELNS1_3repE0EEENS1_30default_config_static_selectorELNS0_4arch9wavefront6targetE1EEEvT1_,comdat
.Lfunc_end3559:
	.size	_ZN7rocprim17ROCPRIM_400000_NS6detail17trampoline_kernelINS0_14default_configENS1_20scan_config_selectorIjEEZZNS1_9scan_implILNS1_25lookback_scan_determinismE0ELb1ELb1ES3_N6thrust23THRUST_200600_302600_NS6detail15normal_iteratorINS9_10device_ptrIjEEEENS9_16discard_iteratorINS9_11use_defaultEEEj11max_functorIjEjEEDaPvRmT3_T4_T5_mT6_P12ihipStream_tbENKUlT_T0_E_clISt17integral_constantIbLb0EESW_IbLb1EEEEDaSS_ST_EUlSS_E0_NS1_11comp_targetILNS1_3genE4ELNS1_11target_archE910ELNS1_3gpuE8ELNS1_3repE0EEENS1_30default_config_static_selectorELNS0_4arch9wavefront6targetE1EEEvT1_, .Lfunc_end3559-_ZN7rocprim17ROCPRIM_400000_NS6detail17trampoline_kernelINS0_14default_configENS1_20scan_config_selectorIjEEZZNS1_9scan_implILNS1_25lookback_scan_determinismE0ELb1ELb1ES3_N6thrust23THRUST_200600_302600_NS6detail15normal_iteratorINS9_10device_ptrIjEEEENS9_16discard_iteratorINS9_11use_defaultEEEj11max_functorIjEjEEDaPvRmT3_T4_T5_mT6_P12ihipStream_tbENKUlT_T0_E_clISt17integral_constantIbLb0EESW_IbLb1EEEEDaSS_ST_EUlSS_E0_NS1_11comp_targetILNS1_3genE4ELNS1_11target_archE910ELNS1_3gpuE8ELNS1_3repE0EEENS1_30default_config_static_selectorELNS0_4arch9wavefront6targetE1EEEvT1_
                                        ; -- End function
	.section	.AMDGPU.csdata,"",@progbits
; Kernel info:
; codeLenInByte = 980
; NumSgprs: 12
; NumVgprs: 18
; NumAgprs: 0
; TotalNumVgprs: 18
; ScratchSize: 0
; MemoryBound: 0
; FloatMode: 240
; IeeeMode: 1
; LDSByteSize: 5120 bytes/workgroup (compile time only)
; SGPRBlocks: 1
; VGPRBlocks: 2
; NumSGPRsForWavesPerEU: 12
; NumVGPRsForWavesPerEU: 18
; AccumOffset: 20
; Occupancy: 6
; WaveLimiterHint : 0
; COMPUTE_PGM_RSRC2:SCRATCH_EN: 0
; COMPUTE_PGM_RSRC2:USER_SGPR: 6
; COMPUTE_PGM_RSRC2:TRAP_HANDLER: 0
; COMPUTE_PGM_RSRC2:TGID_X_EN: 1
; COMPUTE_PGM_RSRC2:TGID_Y_EN: 0
; COMPUTE_PGM_RSRC2:TGID_Z_EN: 0
; COMPUTE_PGM_RSRC2:TIDIG_COMP_CNT: 0
; COMPUTE_PGM_RSRC3_GFX90A:ACCUM_OFFSET: 4
; COMPUTE_PGM_RSRC3_GFX90A:TG_SPLIT: 0
	.section	.text._ZN7rocprim17ROCPRIM_400000_NS6detail17trampoline_kernelINS0_14default_configENS1_20scan_config_selectorIjEEZZNS1_9scan_implILNS1_25lookback_scan_determinismE0ELb1ELb1ES3_N6thrust23THRUST_200600_302600_NS6detail15normal_iteratorINS9_10device_ptrIjEEEENS9_16discard_iteratorINS9_11use_defaultEEEj11max_functorIjEjEEDaPvRmT3_T4_T5_mT6_P12ihipStream_tbENKUlT_T0_E_clISt17integral_constantIbLb0EESW_IbLb1EEEEDaSS_ST_EUlSS_E0_NS1_11comp_targetILNS1_3genE3ELNS1_11target_archE908ELNS1_3gpuE7ELNS1_3repE0EEENS1_30default_config_static_selectorELNS0_4arch9wavefront6targetE1EEEvT1_,"axG",@progbits,_ZN7rocprim17ROCPRIM_400000_NS6detail17trampoline_kernelINS0_14default_configENS1_20scan_config_selectorIjEEZZNS1_9scan_implILNS1_25lookback_scan_determinismE0ELb1ELb1ES3_N6thrust23THRUST_200600_302600_NS6detail15normal_iteratorINS9_10device_ptrIjEEEENS9_16discard_iteratorINS9_11use_defaultEEEj11max_functorIjEjEEDaPvRmT3_T4_T5_mT6_P12ihipStream_tbENKUlT_T0_E_clISt17integral_constantIbLb0EESW_IbLb1EEEEDaSS_ST_EUlSS_E0_NS1_11comp_targetILNS1_3genE3ELNS1_11target_archE908ELNS1_3gpuE7ELNS1_3repE0EEENS1_30default_config_static_selectorELNS0_4arch9wavefront6targetE1EEEvT1_,comdat
	.protected	_ZN7rocprim17ROCPRIM_400000_NS6detail17trampoline_kernelINS0_14default_configENS1_20scan_config_selectorIjEEZZNS1_9scan_implILNS1_25lookback_scan_determinismE0ELb1ELb1ES3_N6thrust23THRUST_200600_302600_NS6detail15normal_iteratorINS9_10device_ptrIjEEEENS9_16discard_iteratorINS9_11use_defaultEEEj11max_functorIjEjEEDaPvRmT3_T4_T5_mT6_P12ihipStream_tbENKUlT_T0_E_clISt17integral_constantIbLb0EESW_IbLb1EEEEDaSS_ST_EUlSS_E0_NS1_11comp_targetILNS1_3genE3ELNS1_11target_archE908ELNS1_3gpuE7ELNS1_3repE0EEENS1_30default_config_static_selectorELNS0_4arch9wavefront6targetE1EEEvT1_ ; -- Begin function _ZN7rocprim17ROCPRIM_400000_NS6detail17trampoline_kernelINS0_14default_configENS1_20scan_config_selectorIjEEZZNS1_9scan_implILNS1_25lookback_scan_determinismE0ELb1ELb1ES3_N6thrust23THRUST_200600_302600_NS6detail15normal_iteratorINS9_10device_ptrIjEEEENS9_16discard_iteratorINS9_11use_defaultEEEj11max_functorIjEjEEDaPvRmT3_T4_T5_mT6_P12ihipStream_tbENKUlT_T0_E_clISt17integral_constantIbLb0EESW_IbLb1EEEEDaSS_ST_EUlSS_E0_NS1_11comp_targetILNS1_3genE3ELNS1_11target_archE908ELNS1_3gpuE7ELNS1_3repE0EEENS1_30default_config_static_selectorELNS0_4arch9wavefront6targetE1EEEvT1_
	.globl	_ZN7rocprim17ROCPRIM_400000_NS6detail17trampoline_kernelINS0_14default_configENS1_20scan_config_selectorIjEEZZNS1_9scan_implILNS1_25lookback_scan_determinismE0ELb1ELb1ES3_N6thrust23THRUST_200600_302600_NS6detail15normal_iteratorINS9_10device_ptrIjEEEENS9_16discard_iteratorINS9_11use_defaultEEEj11max_functorIjEjEEDaPvRmT3_T4_T5_mT6_P12ihipStream_tbENKUlT_T0_E_clISt17integral_constantIbLb0EESW_IbLb1EEEEDaSS_ST_EUlSS_E0_NS1_11comp_targetILNS1_3genE3ELNS1_11target_archE908ELNS1_3gpuE7ELNS1_3repE0EEENS1_30default_config_static_selectorELNS0_4arch9wavefront6targetE1EEEvT1_
	.p2align	8
	.type	_ZN7rocprim17ROCPRIM_400000_NS6detail17trampoline_kernelINS0_14default_configENS1_20scan_config_selectorIjEEZZNS1_9scan_implILNS1_25lookback_scan_determinismE0ELb1ELb1ES3_N6thrust23THRUST_200600_302600_NS6detail15normal_iteratorINS9_10device_ptrIjEEEENS9_16discard_iteratorINS9_11use_defaultEEEj11max_functorIjEjEEDaPvRmT3_T4_T5_mT6_P12ihipStream_tbENKUlT_T0_E_clISt17integral_constantIbLb0EESW_IbLb1EEEEDaSS_ST_EUlSS_E0_NS1_11comp_targetILNS1_3genE3ELNS1_11target_archE908ELNS1_3gpuE7ELNS1_3repE0EEENS1_30default_config_static_selectorELNS0_4arch9wavefront6targetE1EEEvT1_,@function
_ZN7rocprim17ROCPRIM_400000_NS6detail17trampoline_kernelINS0_14default_configENS1_20scan_config_selectorIjEEZZNS1_9scan_implILNS1_25lookback_scan_determinismE0ELb1ELb1ES3_N6thrust23THRUST_200600_302600_NS6detail15normal_iteratorINS9_10device_ptrIjEEEENS9_16discard_iteratorINS9_11use_defaultEEEj11max_functorIjEjEEDaPvRmT3_T4_T5_mT6_P12ihipStream_tbENKUlT_T0_E_clISt17integral_constantIbLb0EESW_IbLb1EEEEDaSS_ST_EUlSS_E0_NS1_11comp_targetILNS1_3genE3ELNS1_11target_archE908ELNS1_3gpuE7ELNS1_3repE0EEENS1_30default_config_static_selectorELNS0_4arch9wavefront6targetE1EEEvT1_: ; @_ZN7rocprim17ROCPRIM_400000_NS6detail17trampoline_kernelINS0_14default_configENS1_20scan_config_selectorIjEEZZNS1_9scan_implILNS1_25lookback_scan_determinismE0ELb1ELb1ES3_N6thrust23THRUST_200600_302600_NS6detail15normal_iteratorINS9_10device_ptrIjEEEENS9_16discard_iteratorINS9_11use_defaultEEEj11max_functorIjEjEEDaPvRmT3_T4_T5_mT6_P12ihipStream_tbENKUlT_T0_E_clISt17integral_constantIbLb0EESW_IbLb1EEEEDaSS_ST_EUlSS_E0_NS1_11comp_targetILNS1_3genE3ELNS1_11target_archE908ELNS1_3gpuE7ELNS1_3repE0EEENS1_30default_config_static_selectorELNS0_4arch9wavefront6targetE1EEEvT1_
; %bb.0:
	.section	.rodata,"a",@progbits
	.p2align	6, 0x0
	.amdhsa_kernel _ZN7rocprim17ROCPRIM_400000_NS6detail17trampoline_kernelINS0_14default_configENS1_20scan_config_selectorIjEEZZNS1_9scan_implILNS1_25lookback_scan_determinismE0ELb1ELb1ES3_N6thrust23THRUST_200600_302600_NS6detail15normal_iteratorINS9_10device_ptrIjEEEENS9_16discard_iteratorINS9_11use_defaultEEEj11max_functorIjEjEEDaPvRmT3_T4_T5_mT6_P12ihipStream_tbENKUlT_T0_E_clISt17integral_constantIbLb0EESW_IbLb1EEEEDaSS_ST_EUlSS_E0_NS1_11comp_targetILNS1_3genE3ELNS1_11target_archE908ELNS1_3gpuE7ELNS1_3repE0EEENS1_30default_config_static_selectorELNS0_4arch9wavefront6targetE1EEEvT1_
		.amdhsa_group_segment_fixed_size 0
		.amdhsa_private_segment_fixed_size 0
		.amdhsa_kernarg_size 40
		.amdhsa_user_sgpr_count 6
		.amdhsa_user_sgpr_private_segment_buffer 1
		.amdhsa_user_sgpr_dispatch_ptr 0
		.amdhsa_user_sgpr_queue_ptr 0
		.amdhsa_user_sgpr_kernarg_segment_ptr 1
		.amdhsa_user_sgpr_dispatch_id 0
		.amdhsa_user_sgpr_flat_scratch_init 0
		.amdhsa_user_sgpr_kernarg_preload_length 0
		.amdhsa_user_sgpr_kernarg_preload_offset 0
		.amdhsa_user_sgpr_private_segment_size 0
		.amdhsa_uses_dynamic_stack 0
		.amdhsa_system_sgpr_private_segment_wavefront_offset 0
		.amdhsa_system_sgpr_workgroup_id_x 1
		.amdhsa_system_sgpr_workgroup_id_y 0
		.amdhsa_system_sgpr_workgroup_id_z 0
		.amdhsa_system_sgpr_workgroup_info 0
		.amdhsa_system_vgpr_workitem_id 0
		.amdhsa_next_free_vgpr 1
		.amdhsa_next_free_sgpr 0
		.amdhsa_accum_offset 4
		.amdhsa_reserve_vcc 0
		.amdhsa_reserve_flat_scratch 0
		.amdhsa_float_round_mode_32 0
		.amdhsa_float_round_mode_16_64 0
		.amdhsa_float_denorm_mode_32 3
		.amdhsa_float_denorm_mode_16_64 3
		.amdhsa_dx10_clamp 1
		.amdhsa_ieee_mode 1
		.amdhsa_fp16_overflow 0
		.amdhsa_tg_split 0
		.amdhsa_exception_fp_ieee_invalid_op 0
		.amdhsa_exception_fp_denorm_src 0
		.amdhsa_exception_fp_ieee_div_zero 0
		.amdhsa_exception_fp_ieee_overflow 0
		.amdhsa_exception_fp_ieee_underflow 0
		.amdhsa_exception_fp_ieee_inexact 0
		.amdhsa_exception_int_div_zero 0
	.end_amdhsa_kernel
	.section	.text._ZN7rocprim17ROCPRIM_400000_NS6detail17trampoline_kernelINS0_14default_configENS1_20scan_config_selectorIjEEZZNS1_9scan_implILNS1_25lookback_scan_determinismE0ELb1ELb1ES3_N6thrust23THRUST_200600_302600_NS6detail15normal_iteratorINS9_10device_ptrIjEEEENS9_16discard_iteratorINS9_11use_defaultEEEj11max_functorIjEjEEDaPvRmT3_T4_T5_mT6_P12ihipStream_tbENKUlT_T0_E_clISt17integral_constantIbLb0EESW_IbLb1EEEEDaSS_ST_EUlSS_E0_NS1_11comp_targetILNS1_3genE3ELNS1_11target_archE908ELNS1_3gpuE7ELNS1_3repE0EEENS1_30default_config_static_selectorELNS0_4arch9wavefront6targetE1EEEvT1_,"axG",@progbits,_ZN7rocprim17ROCPRIM_400000_NS6detail17trampoline_kernelINS0_14default_configENS1_20scan_config_selectorIjEEZZNS1_9scan_implILNS1_25lookback_scan_determinismE0ELb1ELb1ES3_N6thrust23THRUST_200600_302600_NS6detail15normal_iteratorINS9_10device_ptrIjEEEENS9_16discard_iteratorINS9_11use_defaultEEEj11max_functorIjEjEEDaPvRmT3_T4_T5_mT6_P12ihipStream_tbENKUlT_T0_E_clISt17integral_constantIbLb0EESW_IbLb1EEEEDaSS_ST_EUlSS_E0_NS1_11comp_targetILNS1_3genE3ELNS1_11target_archE908ELNS1_3gpuE7ELNS1_3repE0EEENS1_30default_config_static_selectorELNS0_4arch9wavefront6targetE1EEEvT1_,comdat
.Lfunc_end3560:
	.size	_ZN7rocprim17ROCPRIM_400000_NS6detail17trampoline_kernelINS0_14default_configENS1_20scan_config_selectorIjEEZZNS1_9scan_implILNS1_25lookback_scan_determinismE0ELb1ELb1ES3_N6thrust23THRUST_200600_302600_NS6detail15normal_iteratorINS9_10device_ptrIjEEEENS9_16discard_iteratorINS9_11use_defaultEEEj11max_functorIjEjEEDaPvRmT3_T4_T5_mT6_P12ihipStream_tbENKUlT_T0_E_clISt17integral_constantIbLb0EESW_IbLb1EEEEDaSS_ST_EUlSS_E0_NS1_11comp_targetILNS1_3genE3ELNS1_11target_archE908ELNS1_3gpuE7ELNS1_3repE0EEENS1_30default_config_static_selectorELNS0_4arch9wavefront6targetE1EEEvT1_, .Lfunc_end3560-_ZN7rocprim17ROCPRIM_400000_NS6detail17trampoline_kernelINS0_14default_configENS1_20scan_config_selectorIjEEZZNS1_9scan_implILNS1_25lookback_scan_determinismE0ELb1ELb1ES3_N6thrust23THRUST_200600_302600_NS6detail15normal_iteratorINS9_10device_ptrIjEEEENS9_16discard_iteratorINS9_11use_defaultEEEj11max_functorIjEjEEDaPvRmT3_T4_T5_mT6_P12ihipStream_tbENKUlT_T0_E_clISt17integral_constantIbLb0EESW_IbLb1EEEEDaSS_ST_EUlSS_E0_NS1_11comp_targetILNS1_3genE3ELNS1_11target_archE908ELNS1_3gpuE7ELNS1_3repE0EEENS1_30default_config_static_selectorELNS0_4arch9wavefront6targetE1EEEvT1_
                                        ; -- End function
	.section	.AMDGPU.csdata,"",@progbits
; Kernel info:
; codeLenInByte = 0
; NumSgprs: 4
; NumVgprs: 0
; NumAgprs: 0
; TotalNumVgprs: 0
; ScratchSize: 0
; MemoryBound: 0
; FloatMode: 240
; IeeeMode: 1
; LDSByteSize: 0 bytes/workgroup (compile time only)
; SGPRBlocks: 0
; VGPRBlocks: 0
; NumSGPRsForWavesPerEU: 4
; NumVGPRsForWavesPerEU: 1
; AccumOffset: 4
; Occupancy: 8
; WaveLimiterHint : 0
; COMPUTE_PGM_RSRC2:SCRATCH_EN: 0
; COMPUTE_PGM_RSRC2:USER_SGPR: 6
; COMPUTE_PGM_RSRC2:TRAP_HANDLER: 0
; COMPUTE_PGM_RSRC2:TGID_X_EN: 1
; COMPUTE_PGM_RSRC2:TGID_Y_EN: 0
; COMPUTE_PGM_RSRC2:TGID_Z_EN: 0
; COMPUTE_PGM_RSRC2:TIDIG_COMP_CNT: 0
; COMPUTE_PGM_RSRC3_GFX90A:ACCUM_OFFSET: 0
; COMPUTE_PGM_RSRC3_GFX90A:TG_SPLIT: 0
	.section	.text._ZN7rocprim17ROCPRIM_400000_NS6detail17trampoline_kernelINS0_14default_configENS1_20scan_config_selectorIjEEZZNS1_9scan_implILNS1_25lookback_scan_determinismE0ELb1ELb1ES3_N6thrust23THRUST_200600_302600_NS6detail15normal_iteratorINS9_10device_ptrIjEEEENS9_16discard_iteratorINS9_11use_defaultEEEj11max_functorIjEjEEDaPvRmT3_T4_T5_mT6_P12ihipStream_tbENKUlT_T0_E_clISt17integral_constantIbLb0EESW_IbLb1EEEEDaSS_ST_EUlSS_E0_NS1_11comp_targetILNS1_3genE2ELNS1_11target_archE906ELNS1_3gpuE6ELNS1_3repE0EEENS1_30default_config_static_selectorELNS0_4arch9wavefront6targetE1EEEvT1_,"axG",@progbits,_ZN7rocprim17ROCPRIM_400000_NS6detail17trampoline_kernelINS0_14default_configENS1_20scan_config_selectorIjEEZZNS1_9scan_implILNS1_25lookback_scan_determinismE0ELb1ELb1ES3_N6thrust23THRUST_200600_302600_NS6detail15normal_iteratorINS9_10device_ptrIjEEEENS9_16discard_iteratorINS9_11use_defaultEEEj11max_functorIjEjEEDaPvRmT3_T4_T5_mT6_P12ihipStream_tbENKUlT_T0_E_clISt17integral_constantIbLb0EESW_IbLb1EEEEDaSS_ST_EUlSS_E0_NS1_11comp_targetILNS1_3genE2ELNS1_11target_archE906ELNS1_3gpuE6ELNS1_3repE0EEENS1_30default_config_static_selectorELNS0_4arch9wavefront6targetE1EEEvT1_,comdat
	.protected	_ZN7rocprim17ROCPRIM_400000_NS6detail17trampoline_kernelINS0_14default_configENS1_20scan_config_selectorIjEEZZNS1_9scan_implILNS1_25lookback_scan_determinismE0ELb1ELb1ES3_N6thrust23THRUST_200600_302600_NS6detail15normal_iteratorINS9_10device_ptrIjEEEENS9_16discard_iteratorINS9_11use_defaultEEEj11max_functorIjEjEEDaPvRmT3_T4_T5_mT6_P12ihipStream_tbENKUlT_T0_E_clISt17integral_constantIbLb0EESW_IbLb1EEEEDaSS_ST_EUlSS_E0_NS1_11comp_targetILNS1_3genE2ELNS1_11target_archE906ELNS1_3gpuE6ELNS1_3repE0EEENS1_30default_config_static_selectorELNS0_4arch9wavefront6targetE1EEEvT1_ ; -- Begin function _ZN7rocprim17ROCPRIM_400000_NS6detail17trampoline_kernelINS0_14default_configENS1_20scan_config_selectorIjEEZZNS1_9scan_implILNS1_25lookback_scan_determinismE0ELb1ELb1ES3_N6thrust23THRUST_200600_302600_NS6detail15normal_iteratorINS9_10device_ptrIjEEEENS9_16discard_iteratorINS9_11use_defaultEEEj11max_functorIjEjEEDaPvRmT3_T4_T5_mT6_P12ihipStream_tbENKUlT_T0_E_clISt17integral_constantIbLb0EESW_IbLb1EEEEDaSS_ST_EUlSS_E0_NS1_11comp_targetILNS1_3genE2ELNS1_11target_archE906ELNS1_3gpuE6ELNS1_3repE0EEENS1_30default_config_static_selectorELNS0_4arch9wavefront6targetE1EEEvT1_
	.globl	_ZN7rocprim17ROCPRIM_400000_NS6detail17trampoline_kernelINS0_14default_configENS1_20scan_config_selectorIjEEZZNS1_9scan_implILNS1_25lookback_scan_determinismE0ELb1ELb1ES3_N6thrust23THRUST_200600_302600_NS6detail15normal_iteratorINS9_10device_ptrIjEEEENS9_16discard_iteratorINS9_11use_defaultEEEj11max_functorIjEjEEDaPvRmT3_T4_T5_mT6_P12ihipStream_tbENKUlT_T0_E_clISt17integral_constantIbLb0EESW_IbLb1EEEEDaSS_ST_EUlSS_E0_NS1_11comp_targetILNS1_3genE2ELNS1_11target_archE906ELNS1_3gpuE6ELNS1_3repE0EEENS1_30default_config_static_selectorELNS0_4arch9wavefront6targetE1EEEvT1_
	.p2align	8
	.type	_ZN7rocprim17ROCPRIM_400000_NS6detail17trampoline_kernelINS0_14default_configENS1_20scan_config_selectorIjEEZZNS1_9scan_implILNS1_25lookback_scan_determinismE0ELb1ELb1ES3_N6thrust23THRUST_200600_302600_NS6detail15normal_iteratorINS9_10device_ptrIjEEEENS9_16discard_iteratorINS9_11use_defaultEEEj11max_functorIjEjEEDaPvRmT3_T4_T5_mT6_P12ihipStream_tbENKUlT_T0_E_clISt17integral_constantIbLb0EESW_IbLb1EEEEDaSS_ST_EUlSS_E0_NS1_11comp_targetILNS1_3genE2ELNS1_11target_archE906ELNS1_3gpuE6ELNS1_3repE0EEENS1_30default_config_static_selectorELNS0_4arch9wavefront6targetE1EEEvT1_,@function
_ZN7rocprim17ROCPRIM_400000_NS6detail17trampoline_kernelINS0_14default_configENS1_20scan_config_selectorIjEEZZNS1_9scan_implILNS1_25lookback_scan_determinismE0ELb1ELb1ES3_N6thrust23THRUST_200600_302600_NS6detail15normal_iteratorINS9_10device_ptrIjEEEENS9_16discard_iteratorINS9_11use_defaultEEEj11max_functorIjEjEEDaPvRmT3_T4_T5_mT6_P12ihipStream_tbENKUlT_T0_E_clISt17integral_constantIbLb0EESW_IbLb1EEEEDaSS_ST_EUlSS_E0_NS1_11comp_targetILNS1_3genE2ELNS1_11target_archE906ELNS1_3gpuE6ELNS1_3repE0EEENS1_30default_config_static_selectorELNS0_4arch9wavefront6targetE1EEEvT1_: ; @_ZN7rocprim17ROCPRIM_400000_NS6detail17trampoline_kernelINS0_14default_configENS1_20scan_config_selectorIjEEZZNS1_9scan_implILNS1_25lookback_scan_determinismE0ELb1ELb1ES3_N6thrust23THRUST_200600_302600_NS6detail15normal_iteratorINS9_10device_ptrIjEEEENS9_16discard_iteratorINS9_11use_defaultEEEj11max_functorIjEjEEDaPvRmT3_T4_T5_mT6_P12ihipStream_tbENKUlT_T0_E_clISt17integral_constantIbLb0EESW_IbLb1EEEEDaSS_ST_EUlSS_E0_NS1_11comp_targetILNS1_3genE2ELNS1_11target_archE906ELNS1_3gpuE6ELNS1_3repE0EEENS1_30default_config_static_selectorELNS0_4arch9wavefront6targetE1EEEvT1_
; %bb.0:
	.section	.rodata,"a",@progbits
	.p2align	6, 0x0
	.amdhsa_kernel _ZN7rocprim17ROCPRIM_400000_NS6detail17trampoline_kernelINS0_14default_configENS1_20scan_config_selectorIjEEZZNS1_9scan_implILNS1_25lookback_scan_determinismE0ELb1ELb1ES3_N6thrust23THRUST_200600_302600_NS6detail15normal_iteratorINS9_10device_ptrIjEEEENS9_16discard_iteratorINS9_11use_defaultEEEj11max_functorIjEjEEDaPvRmT3_T4_T5_mT6_P12ihipStream_tbENKUlT_T0_E_clISt17integral_constantIbLb0EESW_IbLb1EEEEDaSS_ST_EUlSS_E0_NS1_11comp_targetILNS1_3genE2ELNS1_11target_archE906ELNS1_3gpuE6ELNS1_3repE0EEENS1_30default_config_static_selectorELNS0_4arch9wavefront6targetE1EEEvT1_
		.amdhsa_group_segment_fixed_size 0
		.amdhsa_private_segment_fixed_size 0
		.amdhsa_kernarg_size 40
		.amdhsa_user_sgpr_count 6
		.amdhsa_user_sgpr_private_segment_buffer 1
		.amdhsa_user_sgpr_dispatch_ptr 0
		.amdhsa_user_sgpr_queue_ptr 0
		.amdhsa_user_sgpr_kernarg_segment_ptr 1
		.amdhsa_user_sgpr_dispatch_id 0
		.amdhsa_user_sgpr_flat_scratch_init 0
		.amdhsa_user_sgpr_kernarg_preload_length 0
		.amdhsa_user_sgpr_kernarg_preload_offset 0
		.amdhsa_user_sgpr_private_segment_size 0
		.amdhsa_uses_dynamic_stack 0
		.amdhsa_system_sgpr_private_segment_wavefront_offset 0
		.amdhsa_system_sgpr_workgroup_id_x 1
		.amdhsa_system_sgpr_workgroup_id_y 0
		.amdhsa_system_sgpr_workgroup_id_z 0
		.amdhsa_system_sgpr_workgroup_info 0
		.amdhsa_system_vgpr_workitem_id 0
		.amdhsa_next_free_vgpr 1
		.amdhsa_next_free_sgpr 0
		.amdhsa_accum_offset 4
		.amdhsa_reserve_vcc 0
		.amdhsa_reserve_flat_scratch 0
		.amdhsa_float_round_mode_32 0
		.amdhsa_float_round_mode_16_64 0
		.amdhsa_float_denorm_mode_32 3
		.amdhsa_float_denorm_mode_16_64 3
		.amdhsa_dx10_clamp 1
		.amdhsa_ieee_mode 1
		.amdhsa_fp16_overflow 0
		.amdhsa_tg_split 0
		.amdhsa_exception_fp_ieee_invalid_op 0
		.amdhsa_exception_fp_denorm_src 0
		.amdhsa_exception_fp_ieee_div_zero 0
		.amdhsa_exception_fp_ieee_overflow 0
		.amdhsa_exception_fp_ieee_underflow 0
		.amdhsa_exception_fp_ieee_inexact 0
		.amdhsa_exception_int_div_zero 0
	.end_amdhsa_kernel
	.section	.text._ZN7rocprim17ROCPRIM_400000_NS6detail17trampoline_kernelINS0_14default_configENS1_20scan_config_selectorIjEEZZNS1_9scan_implILNS1_25lookback_scan_determinismE0ELb1ELb1ES3_N6thrust23THRUST_200600_302600_NS6detail15normal_iteratorINS9_10device_ptrIjEEEENS9_16discard_iteratorINS9_11use_defaultEEEj11max_functorIjEjEEDaPvRmT3_T4_T5_mT6_P12ihipStream_tbENKUlT_T0_E_clISt17integral_constantIbLb0EESW_IbLb1EEEEDaSS_ST_EUlSS_E0_NS1_11comp_targetILNS1_3genE2ELNS1_11target_archE906ELNS1_3gpuE6ELNS1_3repE0EEENS1_30default_config_static_selectorELNS0_4arch9wavefront6targetE1EEEvT1_,"axG",@progbits,_ZN7rocprim17ROCPRIM_400000_NS6detail17trampoline_kernelINS0_14default_configENS1_20scan_config_selectorIjEEZZNS1_9scan_implILNS1_25lookback_scan_determinismE0ELb1ELb1ES3_N6thrust23THRUST_200600_302600_NS6detail15normal_iteratorINS9_10device_ptrIjEEEENS9_16discard_iteratorINS9_11use_defaultEEEj11max_functorIjEjEEDaPvRmT3_T4_T5_mT6_P12ihipStream_tbENKUlT_T0_E_clISt17integral_constantIbLb0EESW_IbLb1EEEEDaSS_ST_EUlSS_E0_NS1_11comp_targetILNS1_3genE2ELNS1_11target_archE906ELNS1_3gpuE6ELNS1_3repE0EEENS1_30default_config_static_selectorELNS0_4arch9wavefront6targetE1EEEvT1_,comdat
.Lfunc_end3561:
	.size	_ZN7rocprim17ROCPRIM_400000_NS6detail17trampoline_kernelINS0_14default_configENS1_20scan_config_selectorIjEEZZNS1_9scan_implILNS1_25lookback_scan_determinismE0ELb1ELb1ES3_N6thrust23THRUST_200600_302600_NS6detail15normal_iteratorINS9_10device_ptrIjEEEENS9_16discard_iteratorINS9_11use_defaultEEEj11max_functorIjEjEEDaPvRmT3_T4_T5_mT6_P12ihipStream_tbENKUlT_T0_E_clISt17integral_constantIbLb0EESW_IbLb1EEEEDaSS_ST_EUlSS_E0_NS1_11comp_targetILNS1_3genE2ELNS1_11target_archE906ELNS1_3gpuE6ELNS1_3repE0EEENS1_30default_config_static_selectorELNS0_4arch9wavefront6targetE1EEEvT1_, .Lfunc_end3561-_ZN7rocprim17ROCPRIM_400000_NS6detail17trampoline_kernelINS0_14default_configENS1_20scan_config_selectorIjEEZZNS1_9scan_implILNS1_25lookback_scan_determinismE0ELb1ELb1ES3_N6thrust23THRUST_200600_302600_NS6detail15normal_iteratorINS9_10device_ptrIjEEEENS9_16discard_iteratorINS9_11use_defaultEEEj11max_functorIjEjEEDaPvRmT3_T4_T5_mT6_P12ihipStream_tbENKUlT_T0_E_clISt17integral_constantIbLb0EESW_IbLb1EEEEDaSS_ST_EUlSS_E0_NS1_11comp_targetILNS1_3genE2ELNS1_11target_archE906ELNS1_3gpuE6ELNS1_3repE0EEENS1_30default_config_static_selectorELNS0_4arch9wavefront6targetE1EEEvT1_
                                        ; -- End function
	.section	.AMDGPU.csdata,"",@progbits
; Kernel info:
; codeLenInByte = 0
; NumSgprs: 4
; NumVgprs: 0
; NumAgprs: 0
; TotalNumVgprs: 0
; ScratchSize: 0
; MemoryBound: 0
; FloatMode: 240
; IeeeMode: 1
; LDSByteSize: 0 bytes/workgroup (compile time only)
; SGPRBlocks: 0
; VGPRBlocks: 0
; NumSGPRsForWavesPerEU: 4
; NumVGPRsForWavesPerEU: 1
; AccumOffset: 4
; Occupancy: 8
; WaveLimiterHint : 0
; COMPUTE_PGM_RSRC2:SCRATCH_EN: 0
; COMPUTE_PGM_RSRC2:USER_SGPR: 6
; COMPUTE_PGM_RSRC2:TRAP_HANDLER: 0
; COMPUTE_PGM_RSRC2:TGID_X_EN: 1
; COMPUTE_PGM_RSRC2:TGID_Y_EN: 0
; COMPUTE_PGM_RSRC2:TGID_Z_EN: 0
; COMPUTE_PGM_RSRC2:TIDIG_COMP_CNT: 0
; COMPUTE_PGM_RSRC3_GFX90A:ACCUM_OFFSET: 0
; COMPUTE_PGM_RSRC3_GFX90A:TG_SPLIT: 0
	.section	.text._ZN7rocprim17ROCPRIM_400000_NS6detail17trampoline_kernelINS0_14default_configENS1_20scan_config_selectorIjEEZZNS1_9scan_implILNS1_25lookback_scan_determinismE0ELb1ELb1ES3_N6thrust23THRUST_200600_302600_NS6detail15normal_iteratorINS9_10device_ptrIjEEEENS9_16discard_iteratorINS9_11use_defaultEEEj11max_functorIjEjEEDaPvRmT3_T4_T5_mT6_P12ihipStream_tbENKUlT_T0_E_clISt17integral_constantIbLb0EESW_IbLb1EEEEDaSS_ST_EUlSS_E0_NS1_11comp_targetILNS1_3genE10ELNS1_11target_archE1201ELNS1_3gpuE5ELNS1_3repE0EEENS1_30default_config_static_selectorELNS0_4arch9wavefront6targetE1EEEvT1_,"axG",@progbits,_ZN7rocprim17ROCPRIM_400000_NS6detail17trampoline_kernelINS0_14default_configENS1_20scan_config_selectorIjEEZZNS1_9scan_implILNS1_25lookback_scan_determinismE0ELb1ELb1ES3_N6thrust23THRUST_200600_302600_NS6detail15normal_iteratorINS9_10device_ptrIjEEEENS9_16discard_iteratorINS9_11use_defaultEEEj11max_functorIjEjEEDaPvRmT3_T4_T5_mT6_P12ihipStream_tbENKUlT_T0_E_clISt17integral_constantIbLb0EESW_IbLb1EEEEDaSS_ST_EUlSS_E0_NS1_11comp_targetILNS1_3genE10ELNS1_11target_archE1201ELNS1_3gpuE5ELNS1_3repE0EEENS1_30default_config_static_selectorELNS0_4arch9wavefront6targetE1EEEvT1_,comdat
	.protected	_ZN7rocprim17ROCPRIM_400000_NS6detail17trampoline_kernelINS0_14default_configENS1_20scan_config_selectorIjEEZZNS1_9scan_implILNS1_25lookback_scan_determinismE0ELb1ELb1ES3_N6thrust23THRUST_200600_302600_NS6detail15normal_iteratorINS9_10device_ptrIjEEEENS9_16discard_iteratorINS9_11use_defaultEEEj11max_functorIjEjEEDaPvRmT3_T4_T5_mT6_P12ihipStream_tbENKUlT_T0_E_clISt17integral_constantIbLb0EESW_IbLb1EEEEDaSS_ST_EUlSS_E0_NS1_11comp_targetILNS1_3genE10ELNS1_11target_archE1201ELNS1_3gpuE5ELNS1_3repE0EEENS1_30default_config_static_selectorELNS0_4arch9wavefront6targetE1EEEvT1_ ; -- Begin function _ZN7rocprim17ROCPRIM_400000_NS6detail17trampoline_kernelINS0_14default_configENS1_20scan_config_selectorIjEEZZNS1_9scan_implILNS1_25lookback_scan_determinismE0ELb1ELb1ES3_N6thrust23THRUST_200600_302600_NS6detail15normal_iteratorINS9_10device_ptrIjEEEENS9_16discard_iteratorINS9_11use_defaultEEEj11max_functorIjEjEEDaPvRmT3_T4_T5_mT6_P12ihipStream_tbENKUlT_T0_E_clISt17integral_constantIbLb0EESW_IbLb1EEEEDaSS_ST_EUlSS_E0_NS1_11comp_targetILNS1_3genE10ELNS1_11target_archE1201ELNS1_3gpuE5ELNS1_3repE0EEENS1_30default_config_static_selectorELNS0_4arch9wavefront6targetE1EEEvT1_
	.globl	_ZN7rocprim17ROCPRIM_400000_NS6detail17trampoline_kernelINS0_14default_configENS1_20scan_config_selectorIjEEZZNS1_9scan_implILNS1_25lookback_scan_determinismE0ELb1ELb1ES3_N6thrust23THRUST_200600_302600_NS6detail15normal_iteratorINS9_10device_ptrIjEEEENS9_16discard_iteratorINS9_11use_defaultEEEj11max_functorIjEjEEDaPvRmT3_T4_T5_mT6_P12ihipStream_tbENKUlT_T0_E_clISt17integral_constantIbLb0EESW_IbLb1EEEEDaSS_ST_EUlSS_E0_NS1_11comp_targetILNS1_3genE10ELNS1_11target_archE1201ELNS1_3gpuE5ELNS1_3repE0EEENS1_30default_config_static_selectorELNS0_4arch9wavefront6targetE1EEEvT1_
	.p2align	8
	.type	_ZN7rocprim17ROCPRIM_400000_NS6detail17trampoline_kernelINS0_14default_configENS1_20scan_config_selectorIjEEZZNS1_9scan_implILNS1_25lookback_scan_determinismE0ELb1ELb1ES3_N6thrust23THRUST_200600_302600_NS6detail15normal_iteratorINS9_10device_ptrIjEEEENS9_16discard_iteratorINS9_11use_defaultEEEj11max_functorIjEjEEDaPvRmT3_T4_T5_mT6_P12ihipStream_tbENKUlT_T0_E_clISt17integral_constantIbLb0EESW_IbLb1EEEEDaSS_ST_EUlSS_E0_NS1_11comp_targetILNS1_3genE10ELNS1_11target_archE1201ELNS1_3gpuE5ELNS1_3repE0EEENS1_30default_config_static_selectorELNS0_4arch9wavefront6targetE1EEEvT1_,@function
_ZN7rocprim17ROCPRIM_400000_NS6detail17trampoline_kernelINS0_14default_configENS1_20scan_config_selectorIjEEZZNS1_9scan_implILNS1_25lookback_scan_determinismE0ELb1ELb1ES3_N6thrust23THRUST_200600_302600_NS6detail15normal_iteratorINS9_10device_ptrIjEEEENS9_16discard_iteratorINS9_11use_defaultEEEj11max_functorIjEjEEDaPvRmT3_T4_T5_mT6_P12ihipStream_tbENKUlT_T0_E_clISt17integral_constantIbLb0EESW_IbLb1EEEEDaSS_ST_EUlSS_E0_NS1_11comp_targetILNS1_3genE10ELNS1_11target_archE1201ELNS1_3gpuE5ELNS1_3repE0EEENS1_30default_config_static_selectorELNS0_4arch9wavefront6targetE1EEEvT1_: ; @_ZN7rocprim17ROCPRIM_400000_NS6detail17trampoline_kernelINS0_14default_configENS1_20scan_config_selectorIjEEZZNS1_9scan_implILNS1_25lookback_scan_determinismE0ELb1ELb1ES3_N6thrust23THRUST_200600_302600_NS6detail15normal_iteratorINS9_10device_ptrIjEEEENS9_16discard_iteratorINS9_11use_defaultEEEj11max_functorIjEjEEDaPvRmT3_T4_T5_mT6_P12ihipStream_tbENKUlT_T0_E_clISt17integral_constantIbLb0EESW_IbLb1EEEEDaSS_ST_EUlSS_E0_NS1_11comp_targetILNS1_3genE10ELNS1_11target_archE1201ELNS1_3gpuE5ELNS1_3repE0EEENS1_30default_config_static_selectorELNS0_4arch9wavefront6targetE1EEEvT1_
; %bb.0:
	.section	.rodata,"a",@progbits
	.p2align	6, 0x0
	.amdhsa_kernel _ZN7rocprim17ROCPRIM_400000_NS6detail17trampoline_kernelINS0_14default_configENS1_20scan_config_selectorIjEEZZNS1_9scan_implILNS1_25lookback_scan_determinismE0ELb1ELb1ES3_N6thrust23THRUST_200600_302600_NS6detail15normal_iteratorINS9_10device_ptrIjEEEENS9_16discard_iteratorINS9_11use_defaultEEEj11max_functorIjEjEEDaPvRmT3_T4_T5_mT6_P12ihipStream_tbENKUlT_T0_E_clISt17integral_constantIbLb0EESW_IbLb1EEEEDaSS_ST_EUlSS_E0_NS1_11comp_targetILNS1_3genE10ELNS1_11target_archE1201ELNS1_3gpuE5ELNS1_3repE0EEENS1_30default_config_static_selectorELNS0_4arch9wavefront6targetE1EEEvT1_
		.amdhsa_group_segment_fixed_size 0
		.amdhsa_private_segment_fixed_size 0
		.amdhsa_kernarg_size 40
		.amdhsa_user_sgpr_count 6
		.amdhsa_user_sgpr_private_segment_buffer 1
		.amdhsa_user_sgpr_dispatch_ptr 0
		.amdhsa_user_sgpr_queue_ptr 0
		.amdhsa_user_sgpr_kernarg_segment_ptr 1
		.amdhsa_user_sgpr_dispatch_id 0
		.amdhsa_user_sgpr_flat_scratch_init 0
		.amdhsa_user_sgpr_kernarg_preload_length 0
		.amdhsa_user_sgpr_kernarg_preload_offset 0
		.amdhsa_user_sgpr_private_segment_size 0
		.amdhsa_uses_dynamic_stack 0
		.amdhsa_system_sgpr_private_segment_wavefront_offset 0
		.amdhsa_system_sgpr_workgroup_id_x 1
		.amdhsa_system_sgpr_workgroup_id_y 0
		.amdhsa_system_sgpr_workgroup_id_z 0
		.amdhsa_system_sgpr_workgroup_info 0
		.amdhsa_system_vgpr_workitem_id 0
		.amdhsa_next_free_vgpr 1
		.amdhsa_next_free_sgpr 0
		.amdhsa_accum_offset 4
		.amdhsa_reserve_vcc 0
		.amdhsa_reserve_flat_scratch 0
		.amdhsa_float_round_mode_32 0
		.amdhsa_float_round_mode_16_64 0
		.amdhsa_float_denorm_mode_32 3
		.amdhsa_float_denorm_mode_16_64 3
		.amdhsa_dx10_clamp 1
		.amdhsa_ieee_mode 1
		.amdhsa_fp16_overflow 0
		.amdhsa_tg_split 0
		.amdhsa_exception_fp_ieee_invalid_op 0
		.amdhsa_exception_fp_denorm_src 0
		.amdhsa_exception_fp_ieee_div_zero 0
		.amdhsa_exception_fp_ieee_overflow 0
		.amdhsa_exception_fp_ieee_underflow 0
		.amdhsa_exception_fp_ieee_inexact 0
		.amdhsa_exception_int_div_zero 0
	.end_amdhsa_kernel
	.section	.text._ZN7rocprim17ROCPRIM_400000_NS6detail17trampoline_kernelINS0_14default_configENS1_20scan_config_selectorIjEEZZNS1_9scan_implILNS1_25lookback_scan_determinismE0ELb1ELb1ES3_N6thrust23THRUST_200600_302600_NS6detail15normal_iteratorINS9_10device_ptrIjEEEENS9_16discard_iteratorINS9_11use_defaultEEEj11max_functorIjEjEEDaPvRmT3_T4_T5_mT6_P12ihipStream_tbENKUlT_T0_E_clISt17integral_constantIbLb0EESW_IbLb1EEEEDaSS_ST_EUlSS_E0_NS1_11comp_targetILNS1_3genE10ELNS1_11target_archE1201ELNS1_3gpuE5ELNS1_3repE0EEENS1_30default_config_static_selectorELNS0_4arch9wavefront6targetE1EEEvT1_,"axG",@progbits,_ZN7rocprim17ROCPRIM_400000_NS6detail17trampoline_kernelINS0_14default_configENS1_20scan_config_selectorIjEEZZNS1_9scan_implILNS1_25lookback_scan_determinismE0ELb1ELb1ES3_N6thrust23THRUST_200600_302600_NS6detail15normal_iteratorINS9_10device_ptrIjEEEENS9_16discard_iteratorINS9_11use_defaultEEEj11max_functorIjEjEEDaPvRmT3_T4_T5_mT6_P12ihipStream_tbENKUlT_T0_E_clISt17integral_constantIbLb0EESW_IbLb1EEEEDaSS_ST_EUlSS_E0_NS1_11comp_targetILNS1_3genE10ELNS1_11target_archE1201ELNS1_3gpuE5ELNS1_3repE0EEENS1_30default_config_static_selectorELNS0_4arch9wavefront6targetE1EEEvT1_,comdat
.Lfunc_end3562:
	.size	_ZN7rocprim17ROCPRIM_400000_NS6detail17trampoline_kernelINS0_14default_configENS1_20scan_config_selectorIjEEZZNS1_9scan_implILNS1_25lookback_scan_determinismE0ELb1ELb1ES3_N6thrust23THRUST_200600_302600_NS6detail15normal_iteratorINS9_10device_ptrIjEEEENS9_16discard_iteratorINS9_11use_defaultEEEj11max_functorIjEjEEDaPvRmT3_T4_T5_mT6_P12ihipStream_tbENKUlT_T0_E_clISt17integral_constantIbLb0EESW_IbLb1EEEEDaSS_ST_EUlSS_E0_NS1_11comp_targetILNS1_3genE10ELNS1_11target_archE1201ELNS1_3gpuE5ELNS1_3repE0EEENS1_30default_config_static_selectorELNS0_4arch9wavefront6targetE1EEEvT1_, .Lfunc_end3562-_ZN7rocprim17ROCPRIM_400000_NS6detail17trampoline_kernelINS0_14default_configENS1_20scan_config_selectorIjEEZZNS1_9scan_implILNS1_25lookback_scan_determinismE0ELb1ELb1ES3_N6thrust23THRUST_200600_302600_NS6detail15normal_iteratorINS9_10device_ptrIjEEEENS9_16discard_iteratorINS9_11use_defaultEEEj11max_functorIjEjEEDaPvRmT3_T4_T5_mT6_P12ihipStream_tbENKUlT_T0_E_clISt17integral_constantIbLb0EESW_IbLb1EEEEDaSS_ST_EUlSS_E0_NS1_11comp_targetILNS1_3genE10ELNS1_11target_archE1201ELNS1_3gpuE5ELNS1_3repE0EEENS1_30default_config_static_selectorELNS0_4arch9wavefront6targetE1EEEvT1_
                                        ; -- End function
	.section	.AMDGPU.csdata,"",@progbits
; Kernel info:
; codeLenInByte = 0
; NumSgprs: 4
; NumVgprs: 0
; NumAgprs: 0
; TotalNumVgprs: 0
; ScratchSize: 0
; MemoryBound: 0
; FloatMode: 240
; IeeeMode: 1
; LDSByteSize: 0 bytes/workgroup (compile time only)
; SGPRBlocks: 0
; VGPRBlocks: 0
; NumSGPRsForWavesPerEU: 4
; NumVGPRsForWavesPerEU: 1
; AccumOffset: 4
; Occupancy: 8
; WaveLimiterHint : 0
; COMPUTE_PGM_RSRC2:SCRATCH_EN: 0
; COMPUTE_PGM_RSRC2:USER_SGPR: 6
; COMPUTE_PGM_RSRC2:TRAP_HANDLER: 0
; COMPUTE_PGM_RSRC2:TGID_X_EN: 1
; COMPUTE_PGM_RSRC2:TGID_Y_EN: 0
; COMPUTE_PGM_RSRC2:TGID_Z_EN: 0
; COMPUTE_PGM_RSRC2:TIDIG_COMP_CNT: 0
; COMPUTE_PGM_RSRC3_GFX90A:ACCUM_OFFSET: 0
; COMPUTE_PGM_RSRC3_GFX90A:TG_SPLIT: 0
	.section	.text._ZN7rocprim17ROCPRIM_400000_NS6detail17trampoline_kernelINS0_14default_configENS1_20scan_config_selectorIjEEZZNS1_9scan_implILNS1_25lookback_scan_determinismE0ELb1ELb1ES3_N6thrust23THRUST_200600_302600_NS6detail15normal_iteratorINS9_10device_ptrIjEEEENS9_16discard_iteratorINS9_11use_defaultEEEj11max_functorIjEjEEDaPvRmT3_T4_T5_mT6_P12ihipStream_tbENKUlT_T0_E_clISt17integral_constantIbLb0EESW_IbLb1EEEEDaSS_ST_EUlSS_E0_NS1_11comp_targetILNS1_3genE10ELNS1_11target_archE1200ELNS1_3gpuE4ELNS1_3repE0EEENS1_30default_config_static_selectorELNS0_4arch9wavefront6targetE1EEEvT1_,"axG",@progbits,_ZN7rocprim17ROCPRIM_400000_NS6detail17trampoline_kernelINS0_14default_configENS1_20scan_config_selectorIjEEZZNS1_9scan_implILNS1_25lookback_scan_determinismE0ELb1ELb1ES3_N6thrust23THRUST_200600_302600_NS6detail15normal_iteratorINS9_10device_ptrIjEEEENS9_16discard_iteratorINS9_11use_defaultEEEj11max_functorIjEjEEDaPvRmT3_T4_T5_mT6_P12ihipStream_tbENKUlT_T0_E_clISt17integral_constantIbLb0EESW_IbLb1EEEEDaSS_ST_EUlSS_E0_NS1_11comp_targetILNS1_3genE10ELNS1_11target_archE1200ELNS1_3gpuE4ELNS1_3repE0EEENS1_30default_config_static_selectorELNS0_4arch9wavefront6targetE1EEEvT1_,comdat
	.protected	_ZN7rocprim17ROCPRIM_400000_NS6detail17trampoline_kernelINS0_14default_configENS1_20scan_config_selectorIjEEZZNS1_9scan_implILNS1_25lookback_scan_determinismE0ELb1ELb1ES3_N6thrust23THRUST_200600_302600_NS6detail15normal_iteratorINS9_10device_ptrIjEEEENS9_16discard_iteratorINS9_11use_defaultEEEj11max_functorIjEjEEDaPvRmT3_T4_T5_mT6_P12ihipStream_tbENKUlT_T0_E_clISt17integral_constantIbLb0EESW_IbLb1EEEEDaSS_ST_EUlSS_E0_NS1_11comp_targetILNS1_3genE10ELNS1_11target_archE1200ELNS1_3gpuE4ELNS1_3repE0EEENS1_30default_config_static_selectorELNS0_4arch9wavefront6targetE1EEEvT1_ ; -- Begin function _ZN7rocprim17ROCPRIM_400000_NS6detail17trampoline_kernelINS0_14default_configENS1_20scan_config_selectorIjEEZZNS1_9scan_implILNS1_25lookback_scan_determinismE0ELb1ELb1ES3_N6thrust23THRUST_200600_302600_NS6detail15normal_iteratorINS9_10device_ptrIjEEEENS9_16discard_iteratorINS9_11use_defaultEEEj11max_functorIjEjEEDaPvRmT3_T4_T5_mT6_P12ihipStream_tbENKUlT_T0_E_clISt17integral_constantIbLb0EESW_IbLb1EEEEDaSS_ST_EUlSS_E0_NS1_11comp_targetILNS1_3genE10ELNS1_11target_archE1200ELNS1_3gpuE4ELNS1_3repE0EEENS1_30default_config_static_selectorELNS0_4arch9wavefront6targetE1EEEvT1_
	.globl	_ZN7rocprim17ROCPRIM_400000_NS6detail17trampoline_kernelINS0_14default_configENS1_20scan_config_selectorIjEEZZNS1_9scan_implILNS1_25lookback_scan_determinismE0ELb1ELb1ES3_N6thrust23THRUST_200600_302600_NS6detail15normal_iteratorINS9_10device_ptrIjEEEENS9_16discard_iteratorINS9_11use_defaultEEEj11max_functorIjEjEEDaPvRmT3_T4_T5_mT6_P12ihipStream_tbENKUlT_T0_E_clISt17integral_constantIbLb0EESW_IbLb1EEEEDaSS_ST_EUlSS_E0_NS1_11comp_targetILNS1_3genE10ELNS1_11target_archE1200ELNS1_3gpuE4ELNS1_3repE0EEENS1_30default_config_static_selectorELNS0_4arch9wavefront6targetE1EEEvT1_
	.p2align	8
	.type	_ZN7rocprim17ROCPRIM_400000_NS6detail17trampoline_kernelINS0_14default_configENS1_20scan_config_selectorIjEEZZNS1_9scan_implILNS1_25lookback_scan_determinismE0ELb1ELb1ES3_N6thrust23THRUST_200600_302600_NS6detail15normal_iteratorINS9_10device_ptrIjEEEENS9_16discard_iteratorINS9_11use_defaultEEEj11max_functorIjEjEEDaPvRmT3_T4_T5_mT6_P12ihipStream_tbENKUlT_T0_E_clISt17integral_constantIbLb0EESW_IbLb1EEEEDaSS_ST_EUlSS_E0_NS1_11comp_targetILNS1_3genE10ELNS1_11target_archE1200ELNS1_3gpuE4ELNS1_3repE0EEENS1_30default_config_static_selectorELNS0_4arch9wavefront6targetE1EEEvT1_,@function
_ZN7rocprim17ROCPRIM_400000_NS6detail17trampoline_kernelINS0_14default_configENS1_20scan_config_selectorIjEEZZNS1_9scan_implILNS1_25lookback_scan_determinismE0ELb1ELb1ES3_N6thrust23THRUST_200600_302600_NS6detail15normal_iteratorINS9_10device_ptrIjEEEENS9_16discard_iteratorINS9_11use_defaultEEEj11max_functorIjEjEEDaPvRmT3_T4_T5_mT6_P12ihipStream_tbENKUlT_T0_E_clISt17integral_constantIbLb0EESW_IbLb1EEEEDaSS_ST_EUlSS_E0_NS1_11comp_targetILNS1_3genE10ELNS1_11target_archE1200ELNS1_3gpuE4ELNS1_3repE0EEENS1_30default_config_static_selectorELNS0_4arch9wavefront6targetE1EEEvT1_: ; @_ZN7rocprim17ROCPRIM_400000_NS6detail17trampoline_kernelINS0_14default_configENS1_20scan_config_selectorIjEEZZNS1_9scan_implILNS1_25lookback_scan_determinismE0ELb1ELb1ES3_N6thrust23THRUST_200600_302600_NS6detail15normal_iteratorINS9_10device_ptrIjEEEENS9_16discard_iteratorINS9_11use_defaultEEEj11max_functorIjEjEEDaPvRmT3_T4_T5_mT6_P12ihipStream_tbENKUlT_T0_E_clISt17integral_constantIbLb0EESW_IbLb1EEEEDaSS_ST_EUlSS_E0_NS1_11comp_targetILNS1_3genE10ELNS1_11target_archE1200ELNS1_3gpuE4ELNS1_3repE0EEENS1_30default_config_static_selectorELNS0_4arch9wavefront6targetE1EEEvT1_
; %bb.0:
	.section	.rodata,"a",@progbits
	.p2align	6, 0x0
	.amdhsa_kernel _ZN7rocprim17ROCPRIM_400000_NS6detail17trampoline_kernelINS0_14default_configENS1_20scan_config_selectorIjEEZZNS1_9scan_implILNS1_25lookback_scan_determinismE0ELb1ELb1ES3_N6thrust23THRUST_200600_302600_NS6detail15normal_iteratorINS9_10device_ptrIjEEEENS9_16discard_iteratorINS9_11use_defaultEEEj11max_functorIjEjEEDaPvRmT3_T4_T5_mT6_P12ihipStream_tbENKUlT_T0_E_clISt17integral_constantIbLb0EESW_IbLb1EEEEDaSS_ST_EUlSS_E0_NS1_11comp_targetILNS1_3genE10ELNS1_11target_archE1200ELNS1_3gpuE4ELNS1_3repE0EEENS1_30default_config_static_selectorELNS0_4arch9wavefront6targetE1EEEvT1_
		.amdhsa_group_segment_fixed_size 0
		.amdhsa_private_segment_fixed_size 0
		.amdhsa_kernarg_size 40
		.amdhsa_user_sgpr_count 6
		.amdhsa_user_sgpr_private_segment_buffer 1
		.amdhsa_user_sgpr_dispatch_ptr 0
		.amdhsa_user_sgpr_queue_ptr 0
		.amdhsa_user_sgpr_kernarg_segment_ptr 1
		.amdhsa_user_sgpr_dispatch_id 0
		.amdhsa_user_sgpr_flat_scratch_init 0
		.amdhsa_user_sgpr_kernarg_preload_length 0
		.amdhsa_user_sgpr_kernarg_preload_offset 0
		.amdhsa_user_sgpr_private_segment_size 0
		.amdhsa_uses_dynamic_stack 0
		.amdhsa_system_sgpr_private_segment_wavefront_offset 0
		.amdhsa_system_sgpr_workgroup_id_x 1
		.amdhsa_system_sgpr_workgroup_id_y 0
		.amdhsa_system_sgpr_workgroup_id_z 0
		.amdhsa_system_sgpr_workgroup_info 0
		.amdhsa_system_vgpr_workitem_id 0
		.amdhsa_next_free_vgpr 1
		.amdhsa_next_free_sgpr 0
		.amdhsa_accum_offset 4
		.amdhsa_reserve_vcc 0
		.amdhsa_reserve_flat_scratch 0
		.amdhsa_float_round_mode_32 0
		.amdhsa_float_round_mode_16_64 0
		.amdhsa_float_denorm_mode_32 3
		.amdhsa_float_denorm_mode_16_64 3
		.amdhsa_dx10_clamp 1
		.amdhsa_ieee_mode 1
		.amdhsa_fp16_overflow 0
		.amdhsa_tg_split 0
		.amdhsa_exception_fp_ieee_invalid_op 0
		.amdhsa_exception_fp_denorm_src 0
		.amdhsa_exception_fp_ieee_div_zero 0
		.amdhsa_exception_fp_ieee_overflow 0
		.amdhsa_exception_fp_ieee_underflow 0
		.amdhsa_exception_fp_ieee_inexact 0
		.amdhsa_exception_int_div_zero 0
	.end_amdhsa_kernel
	.section	.text._ZN7rocprim17ROCPRIM_400000_NS6detail17trampoline_kernelINS0_14default_configENS1_20scan_config_selectorIjEEZZNS1_9scan_implILNS1_25lookback_scan_determinismE0ELb1ELb1ES3_N6thrust23THRUST_200600_302600_NS6detail15normal_iteratorINS9_10device_ptrIjEEEENS9_16discard_iteratorINS9_11use_defaultEEEj11max_functorIjEjEEDaPvRmT3_T4_T5_mT6_P12ihipStream_tbENKUlT_T0_E_clISt17integral_constantIbLb0EESW_IbLb1EEEEDaSS_ST_EUlSS_E0_NS1_11comp_targetILNS1_3genE10ELNS1_11target_archE1200ELNS1_3gpuE4ELNS1_3repE0EEENS1_30default_config_static_selectorELNS0_4arch9wavefront6targetE1EEEvT1_,"axG",@progbits,_ZN7rocprim17ROCPRIM_400000_NS6detail17trampoline_kernelINS0_14default_configENS1_20scan_config_selectorIjEEZZNS1_9scan_implILNS1_25lookback_scan_determinismE0ELb1ELb1ES3_N6thrust23THRUST_200600_302600_NS6detail15normal_iteratorINS9_10device_ptrIjEEEENS9_16discard_iteratorINS9_11use_defaultEEEj11max_functorIjEjEEDaPvRmT3_T4_T5_mT6_P12ihipStream_tbENKUlT_T0_E_clISt17integral_constantIbLb0EESW_IbLb1EEEEDaSS_ST_EUlSS_E0_NS1_11comp_targetILNS1_3genE10ELNS1_11target_archE1200ELNS1_3gpuE4ELNS1_3repE0EEENS1_30default_config_static_selectorELNS0_4arch9wavefront6targetE1EEEvT1_,comdat
.Lfunc_end3563:
	.size	_ZN7rocprim17ROCPRIM_400000_NS6detail17trampoline_kernelINS0_14default_configENS1_20scan_config_selectorIjEEZZNS1_9scan_implILNS1_25lookback_scan_determinismE0ELb1ELb1ES3_N6thrust23THRUST_200600_302600_NS6detail15normal_iteratorINS9_10device_ptrIjEEEENS9_16discard_iteratorINS9_11use_defaultEEEj11max_functorIjEjEEDaPvRmT3_T4_T5_mT6_P12ihipStream_tbENKUlT_T0_E_clISt17integral_constantIbLb0EESW_IbLb1EEEEDaSS_ST_EUlSS_E0_NS1_11comp_targetILNS1_3genE10ELNS1_11target_archE1200ELNS1_3gpuE4ELNS1_3repE0EEENS1_30default_config_static_selectorELNS0_4arch9wavefront6targetE1EEEvT1_, .Lfunc_end3563-_ZN7rocprim17ROCPRIM_400000_NS6detail17trampoline_kernelINS0_14default_configENS1_20scan_config_selectorIjEEZZNS1_9scan_implILNS1_25lookback_scan_determinismE0ELb1ELb1ES3_N6thrust23THRUST_200600_302600_NS6detail15normal_iteratorINS9_10device_ptrIjEEEENS9_16discard_iteratorINS9_11use_defaultEEEj11max_functorIjEjEEDaPvRmT3_T4_T5_mT6_P12ihipStream_tbENKUlT_T0_E_clISt17integral_constantIbLb0EESW_IbLb1EEEEDaSS_ST_EUlSS_E0_NS1_11comp_targetILNS1_3genE10ELNS1_11target_archE1200ELNS1_3gpuE4ELNS1_3repE0EEENS1_30default_config_static_selectorELNS0_4arch9wavefront6targetE1EEEvT1_
                                        ; -- End function
	.section	.AMDGPU.csdata,"",@progbits
; Kernel info:
; codeLenInByte = 0
; NumSgprs: 4
; NumVgprs: 0
; NumAgprs: 0
; TotalNumVgprs: 0
; ScratchSize: 0
; MemoryBound: 0
; FloatMode: 240
; IeeeMode: 1
; LDSByteSize: 0 bytes/workgroup (compile time only)
; SGPRBlocks: 0
; VGPRBlocks: 0
; NumSGPRsForWavesPerEU: 4
; NumVGPRsForWavesPerEU: 1
; AccumOffset: 4
; Occupancy: 8
; WaveLimiterHint : 0
; COMPUTE_PGM_RSRC2:SCRATCH_EN: 0
; COMPUTE_PGM_RSRC2:USER_SGPR: 6
; COMPUTE_PGM_RSRC2:TRAP_HANDLER: 0
; COMPUTE_PGM_RSRC2:TGID_X_EN: 1
; COMPUTE_PGM_RSRC2:TGID_Y_EN: 0
; COMPUTE_PGM_RSRC2:TGID_Z_EN: 0
; COMPUTE_PGM_RSRC2:TIDIG_COMP_CNT: 0
; COMPUTE_PGM_RSRC3_GFX90A:ACCUM_OFFSET: 0
; COMPUTE_PGM_RSRC3_GFX90A:TG_SPLIT: 0
	.section	.text._ZN7rocprim17ROCPRIM_400000_NS6detail17trampoline_kernelINS0_14default_configENS1_20scan_config_selectorIjEEZZNS1_9scan_implILNS1_25lookback_scan_determinismE0ELb1ELb1ES3_N6thrust23THRUST_200600_302600_NS6detail15normal_iteratorINS9_10device_ptrIjEEEENS9_16discard_iteratorINS9_11use_defaultEEEj11max_functorIjEjEEDaPvRmT3_T4_T5_mT6_P12ihipStream_tbENKUlT_T0_E_clISt17integral_constantIbLb0EESW_IbLb1EEEEDaSS_ST_EUlSS_E0_NS1_11comp_targetILNS1_3genE9ELNS1_11target_archE1100ELNS1_3gpuE3ELNS1_3repE0EEENS1_30default_config_static_selectorELNS0_4arch9wavefront6targetE1EEEvT1_,"axG",@progbits,_ZN7rocprim17ROCPRIM_400000_NS6detail17trampoline_kernelINS0_14default_configENS1_20scan_config_selectorIjEEZZNS1_9scan_implILNS1_25lookback_scan_determinismE0ELb1ELb1ES3_N6thrust23THRUST_200600_302600_NS6detail15normal_iteratorINS9_10device_ptrIjEEEENS9_16discard_iteratorINS9_11use_defaultEEEj11max_functorIjEjEEDaPvRmT3_T4_T5_mT6_P12ihipStream_tbENKUlT_T0_E_clISt17integral_constantIbLb0EESW_IbLb1EEEEDaSS_ST_EUlSS_E0_NS1_11comp_targetILNS1_3genE9ELNS1_11target_archE1100ELNS1_3gpuE3ELNS1_3repE0EEENS1_30default_config_static_selectorELNS0_4arch9wavefront6targetE1EEEvT1_,comdat
	.protected	_ZN7rocprim17ROCPRIM_400000_NS6detail17trampoline_kernelINS0_14default_configENS1_20scan_config_selectorIjEEZZNS1_9scan_implILNS1_25lookback_scan_determinismE0ELb1ELb1ES3_N6thrust23THRUST_200600_302600_NS6detail15normal_iteratorINS9_10device_ptrIjEEEENS9_16discard_iteratorINS9_11use_defaultEEEj11max_functorIjEjEEDaPvRmT3_T4_T5_mT6_P12ihipStream_tbENKUlT_T0_E_clISt17integral_constantIbLb0EESW_IbLb1EEEEDaSS_ST_EUlSS_E0_NS1_11comp_targetILNS1_3genE9ELNS1_11target_archE1100ELNS1_3gpuE3ELNS1_3repE0EEENS1_30default_config_static_selectorELNS0_4arch9wavefront6targetE1EEEvT1_ ; -- Begin function _ZN7rocprim17ROCPRIM_400000_NS6detail17trampoline_kernelINS0_14default_configENS1_20scan_config_selectorIjEEZZNS1_9scan_implILNS1_25lookback_scan_determinismE0ELb1ELb1ES3_N6thrust23THRUST_200600_302600_NS6detail15normal_iteratorINS9_10device_ptrIjEEEENS9_16discard_iteratorINS9_11use_defaultEEEj11max_functorIjEjEEDaPvRmT3_T4_T5_mT6_P12ihipStream_tbENKUlT_T0_E_clISt17integral_constantIbLb0EESW_IbLb1EEEEDaSS_ST_EUlSS_E0_NS1_11comp_targetILNS1_3genE9ELNS1_11target_archE1100ELNS1_3gpuE3ELNS1_3repE0EEENS1_30default_config_static_selectorELNS0_4arch9wavefront6targetE1EEEvT1_
	.globl	_ZN7rocprim17ROCPRIM_400000_NS6detail17trampoline_kernelINS0_14default_configENS1_20scan_config_selectorIjEEZZNS1_9scan_implILNS1_25lookback_scan_determinismE0ELb1ELb1ES3_N6thrust23THRUST_200600_302600_NS6detail15normal_iteratorINS9_10device_ptrIjEEEENS9_16discard_iteratorINS9_11use_defaultEEEj11max_functorIjEjEEDaPvRmT3_T4_T5_mT6_P12ihipStream_tbENKUlT_T0_E_clISt17integral_constantIbLb0EESW_IbLb1EEEEDaSS_ST_EUlSS_E0_NS1_11comp_targetILNS1_3genE9ELNS1_11target_archE1100ELNS1_3gpuE3ELNS1_3repE0EEENS1_30default_config_static_selectorELNS0_4arch9wavefront6targetE1EEEvT1_
	.p2align	8
	.type	_ZN7rocprim17ROCPRIM_400000_NS6detail17trampoline_kernelINS0_14default_configENS1_20scan_config_selectorIjEEZZNS1_9scan_implILNS1_25lookback_scan_determinismE0ELb1ELb1ES3_N6thrust23THRUST_200600_302600_NS6detail15normal_iteratorINS9_10device_ptrIjEEEENS9_16discard_iteratorINS9_11use_defaultEEEj11max_functorIjEjEEDaPvRmT3_T4_T5_mT6_P12ihipStream_tbENKUlT_T0_E_clISt17integral_constantIbLb0EESW_IbLb1EEEEDaSS_ST_EUlSS_E0_NS1_11comp_targetILNS1_3genE9ELNS1_11target_archE1100ELNS1_3gpuE3ELNS1_3repE0EEENS1_30default_config_static_selectorELNS0_4arch9wavefront6targetE1EEEvT1_,@function
_ZN7rocprim17ROCPRIM_400000_NS6detail17trampoline_kernelINS0_14default_configENS1_20scan_config_selectorIjEEZZNS1_9scan_implILNS1_25lookback_scan_determinismE0ELb1ELb1ES3_N6thrust23THRUST_200600_302600_NS6detail15normal_iteratorINS9_10device_ptrIjEEEENS9_16discard_iteratorINS9_11use_defaultEEEj11max_functorIjEjEEDaPvRmT3_T4_T5_mT6_P12ihipStream_tbENKUlT_T0_E_clISt17integral_constantIbLb0EESW_IbLb1EEEEDaSS_ST_EUlSS_E0_NS1_11comp_targetILNS1_3genE9ELNS1_11target_archE1100ELNS1_3gpuE3ELNS1_3repE0EEENS1_30default_config_static_selectorELNS0_4arch9wavefront6targetE1EEEvT1_: ; @_ZN7rocprim17ROCPRIM_400000_NS6detail17trampoline_kernelINS0_14default_configENS1_20scan_config_selectorIjEEZZNS1_9scan_implILNS1_25lookback_scan_determinismE0ELb1ELb1ES3_N6thrust23THRUST_200600_302600_NS6detail15normal_iteratorINS9_10device_ptrIjEEEENS9_16discard_iteratorINS9_11use_defaultEEEj11max_functorIjEjEEDaPvRmT3_T4_T5_mT6_P12ihipStream_tbENKUlT_T0_E_clISt17integral_constantIbLb0EESW_IbLb1EEEEDaSS_ST_EUlSS_E0_NS1_11comp_targetILNS1_3genE9ELNS1_11target_archE1100ELNS1_3gpuE3ELNS1_3repE0EEENS1_30default_config_static_selectorELNS0_4arch9wavefront6targetE1EEEvT1_
; %bb.0:
	.section	.rodata,"a",@progbits
	.p2align	6, 0x0
	.amdhsa_kernel _ZN7rocprim17ROCPRIM_400000_NS6detail17trampoline_kernelINS0_14default_configENS1_20scan_config_selectorIjEEZZNS1_9scan_implILNS1_25lookback_scan_determinismE0ELb1ELb1ES3_N6thrust23THRUST_200600_302600_NS6detail15normal_iteratorINS9_10device_ptrIjEEEENS9_16discard_iteratorINS9_11use_defaultEEEj11max_functorIjEjEEDaPvRmT3_T4_T5_mT6_P12ihipStream_tbENKUlT_T0_E_clISt17integral_constantIbLb0EESW_IbLb1EEEEDaSS_ST_EUlSS_E0_NS1_11comp_targetILNS1_3genE9ELNS1_11target_archE1100ELNS1_3gpuE3ELNS1_3repE0EEENS1_30default_config_static_selectorELNS0_4arch9wavefront6targetE1EEEvT1_
		.amdhsa_group_segment_fixed_size 0
		.amdhsa_private_segment_fixed_size 0
		.amdhsa_kernarg_size 40
		.amdhsa_user_sgpr_count 6
		.amdhsa_user_sgpr_private_segment_buffer 1
		.amdhsa_user_sgpr_dispatch_ptr 0
		.amdhsa_user_sgpr_queue_ptr 0
		.amdhsa_user_sgpr_kernarg_segment_ptr 1
		.amdhsa_user_sgpr_dispatch_id 0
		.amdhsa_user_sgpr_flat_scratch_init 0
		.amdhsa_user_sgpr_kernarg_preload_length 0
		.amdhsa_user_sgpr_kernarg_preload_offset 0
		.amdhsa_user_sgpr_private_segment_size 0
		.amdhsa_uses_dynamic_stack 0
		.amdhsa_system_sgpr_private_segment_wavefront_offset 0
		.amdhsa_system_sgpr_workgroup_id_x 1
		.amdhsa_system_sgpr_workgroup_id_y 0
		.amdhsa_system_sgpr_workgroup_id_z 0
		.amdhsa_system_sgpr_workgroup_info 0
		.amdhsa_system_vgpr_workitem_id 0
		.amdhsa_next_free_vgpr 1
		.amdhsa_next_free_sgpr 0
		.amdhsa_accum_offset 4
		.amdhsa_reserve_vcc 0
		.amdhsa_reserve_flat_scratch 0
		.amdhsa_float_round_mode_32 0
		.amdhsa_float_round_mode_16_64 0
		.amdhsa_float_denorm_mode_32 3
		.amdhsa_float_denorm_mode_16_64 3
		.amdhsa_dx10_clamp 1
		.amdhsa_ieee_mode 1
		.amdhsa_fp16_overflow 0
		.amdhsa_tg_split 0
		.amdhsa_exception_fp_ieee_invalid_op 0
		.amdhsa_exception_fp_denorm_src 0
		.amdhsa_exception_fp_ieee_div_zero 0
		.amdhsa_exception_fp_ieee_overflow 0
		.amdhsa_exception_fp_ieee_underflow 0
		.amdhsa_exception_fp_ieee_inexact 0
		.amdhsa_exception_int_div_zero 0
	.end_amdhsa_kernel
	.section	.text._ZN7rocprim17ROCPRIM_400000_NS6detail17trampoline_kernelINS0_14default_configENS1_20scan_config_selectorIjEEZZNS1_9scan_implILNS1_25lookback_scan_determinismE0ELb1ELb1ES3_N6thrust23THRUST_200600_302600_NS6detail15normal_iteratorINS9_10device_ptrIjEEEENS9_16discard_iteratorINS9_11use_defaultEEEj11max_functorIjEjEEDaPvRmT3_T4_T5_mT6_P12ihipStream_tbENKUlT_T0_E_clISt17integral_constantIbLb0EESW_IbLb1EEEEDaSS_ST_EUlSS_E0_NS1_11comp_targetILNS1_3genE9ELNS1_11target_archE1100ELNS1_3gpuE3ELNS1_3repE0EEENS1_30default_config_static_selectorELNS0_4arch9wavefront6targetE1EEEvT1_,"axG",@progbits,_ZN7rocprim17ROCPRIM_400000_NS6detail17trampoline_kernelINS0_14default_configENS1_20scan_config_selectorIjEEZZNS1_9scan_implILNS1_25lookback_scan_determinismE0ELb1ELb1ES3_N6thrust23THRUST_200600_302600_NS6detail15normal_iteratorINS9_10device_ptrIjEEEENS9_16discard_iteratorINS9_11use_defaultEEEj11max_functorIjEjEEDaPvRmT3_T4_T5_mT6_P12ihipStream_tbENKUlT_T0_E_clISt17integral_constantIbLb0EESW_IbLb1EEEEDaSS_ST_EUlSS_E0_NS1_11comp_targetILNS1_3genE9ELNS1_11target_archE1100ELNS1_3gpuE3ELNS1_3repE0EEENS1_30default_config_static_selectorELNS0_4arch9wavefront6targetE1EEEvT1_,comdat
.Lfunc_end3564:
	.size	_ZN7rocprim17ROCPRIM_400000_NS6detail17trampoline_kernelINS0_14default_configENS1_20scan_config_selectorIjEEZZNS1_9scan_implILNS1_25lookback_scan_determinismE0ELb1ELb1ES3_N6thrust23THRUST_200600_302600_NS6detail15normal_iteratorINS9_10device_ptrIjEEEENS9_16discard_iteratorINS9_11use_defaultEEEj11max_functorIjEjEEDaPvRmT3_T4_T5_mT6_P12ihipStream_tbENKUlT_T0_E_clISt17integral_constantIbLb0EESW_IbLb1EEEEDaSS_ST_EUlSS_E0_NS1_11comp_targetILNS1_3genE9ELNS1_11target_archE1100ELNS1_3gpuE3ELNS1_3repE0EEENS1_30default_config_static_selectorELNS0_4arch9wavefront6targetE1EEEvT1_, .Lfunc_end3564-_ZN7rocprim17ROCPRIM_400000_NS6detail17trampoline_kernelINS0_14default_configENS1_20scan_config_selectorIjEEZZNS1_9scan_implILNS1_25lookback_scan_determinismE0ELb1ELb1ES3_N6thrust23THRUST_200600_302600_NS6detail15normal_iteratorINS9_10device_ptrIjEEEENS9_16discard_iteratorINS9_11use_defaultEEEj11max_functorIjEjEEDaPvRmT3_T4_T5_mT6_P12ihipStream_tbENKUlT_T0_E_clISt17integral_constantIbLb0EESW_IbLb1EEEEDaSS_ST_EUlSS_E0_NS1_11comp_targetILNS1_3genE9ELNS1_11target_archE1100ELNS1_3gpuE3ELNS1_3repE0EEENS1_30default_config_static_selectorELNS0_4arch9wavefront6targetE1EEEvT1_
                                        ; -- End function
	.section	.AMDGPU.csdata,"",@progbits
; Kernel info:
; codeLenInByte = 0
; NumSgprs: 4
; NumVgprs: 0
; NumAgprs: 0
; TotalNumVgprs: 0
; ScratchSize: 0
; MemoryBound: 0
; FloatMode: 240
; IeeeMode: 1
; LDSByteSize: 0 bytes/workgroup (compile time only)
; SGPRBlocks: 0
; VGPRBlocks: 0
; NumSGPRsForWavesPerEU: 4
; NumVGPRsForWavesPerEU: 1
; AccumOffset: 4
; Occupancy: 8
; WaveLimiterHint : 0
; COMPUTE_PGM_RSRC2:SCRATCH_EN: 0
; COMPUTE_PGM_RSRC2:USER_SGPR: 6
; COMPUTE_PGM_RSRC2:TRAP_HANDLER: 0
; COMPUTE_PGM_RSRC2:TGID_X_EN: 1
; COMPUTE_PGM_RSRC2:TGID_Y_EN: 0
; COMPUTE_PGM_RSRC2:TGID_Z_EN: 0
; COMPUTE_PGM_RSRC2:TIDIG_COMP_CNT: 0
; COMPUTE_PGM_RSRC3_GFX90A:ACCUM_OFFSET: 0
; COMPUTE_PGM_RSRC3_GFX90A:TG_SPLIT: 0
	.section	.text._ZN7rocprim17ROCPRIM_400000_NS6detail17trampoline_kernelINS0_14default_configENS1_20scan_config_selectorIjEEZZNS1_9scan_implILNS1_25lookback_scan_determinismE0ELb1ELb1ES3_N6thrust23THRUST_200600_302600_NS6detail15normal_iteratorINS9_10device_ptrIjEEEENS9_16discard_iteratorINS9_11use_defaultEEEj11max_functorIjEjEEDaPvRmT3_T4_T5_mT6_P12ihipStream_tbENKUlT_T0_E_clISt17integral_constantIbLb0EESW_IbLb1EEEEDaSS_ST_EUlSS_E0_NS1_11comp_targetILNS1_3genE8ELNS1_11target_archE1030ELNS1_3gpuE2ELNS1_3repE0EEENS1_30default_config_static_selectorELNS0_4arch9wavefront6targetE1EEEvT1_,"axG",@progbits,_ZN7rocprim17ROCPRIM_400000_NS6detail17trampoline_kernelINS0_14default_configENS1_20scan_config_selectorIjEEZZNS1_9scan_implILNS1_25lookback_scan_determinismE0ELb1ELb1ES3_N6thrust23THRUST_200600_302600_NS6detail15normal_iteratorINS9_10device_ptrIjEEEENS9_16discard_iteratorINS9_11use_defaultEEEj11max_functorIjEjEEDaPvRmT3_T4_T5_mT6_P12ihipStream_tbENKUlT_T0_E_clISt17integral_constantIbLb0EESW_IbLb1EEEEDaSS_ST_EUlSS_E0_NS1_11comp_targetILNS1_3genE8ELNS1_11target_archE1030ELNS1_3gpuE2ELNS1_3repE0EEENS1_30default_config_static_selectorELNS0_4arch9wavefront6targetE1EEEvT1_,comdat
	.protected	_ZN7rocprim17ROCPRIM_400000_NS6detail17trampoline_kernelINS0_14default_configENS1_20scan_config_selectorIjEEZZNS1_9scan_implILNS1_25lookback_scan_determinismE0ELb1ELb1ES3_N6thrust23THRUST_200600_302600_NS6detail15normal_iteratorINS9_10device_ptrIjEEEENS9_16discard_iteratorINS9_11use_defaultEEEj11max_functorIjEjEEDaPvRmT3_T4_T5_mT6_P12ihipStream_tbENKUlT_T0_E_clISt17integral_constantIbLb0EESW_IbLb1EEEEDaSS_ST_EUlSS_E0_NS1_11comp_targetILNS1_3genE8ELNS1_11target_archE1030ELNS1_3gpuE2ELNS1_3repE0EEENS1_30default_config_static_selectorELNS0_4arch9wavefront6targetE1EEEvT1_ ; -- Begin function _ZN7rocprim17ROCPRIM_400000_NS6detail17trampoline_kernelINS0_14default_configENS1_20scan_config_selectorIjEEZZNS1_9scan_implILNS1_25lookback_scan_determinismE0ELb1ELb1ES3_N6thrust23THRUST_200600_302600_NS6detail15normal_iteratorINS9_10device_ptrIjEEEENS9_16discard_iteratorINS9_11use_defaultEEEj11max_functorIjEjEEDaPvRmT3_T4_T5_mT6_P12ihipStream_tbENKUlT_T0_E_clISt17integral_constantIbLb0EESW_IbLb1EEEEDaSS_ST_EUlSS_E0_NS1_11comp_targetILNS1_3genE8ELNS1_11target_archE1030ELNS1_3gpuE2ELNS1_3repE0EEENS1_30default_config_static_selectorELNS0_4arch9wavefront6targetE1EEEvT1_
	.globl	_ZN7rocprim17ROCPRIM_400000_NS6detail17trampoline_kernelINS0_14default_configENS1_20scan_config_selectorIjEEZZNS1_9scan_implILNS1_25lookback_scan_determinismE0ELb1ELb1ES3_N6thrust23THRUST_200600_302600_NS6detail15normal_iteratorINS9_10device_ptrIjEEEENS9_16discard_iteratorINS9_11use_defaultEEEj11max_functorIjEjEEDaPvRmT3_T4_T5_mT6_P12ihipStream_tbENKUlT_T0_E_clISt17integral_constantIbLb0EESW_IbLb1EEEEDaSS_ST_EUlSS_E0_NS1_11comp_targetILNS1_3genE8ELNS1_11target_archE1030ELNS1_3gpuE2ELNS1_3repE0EEENS1_30default_config_static_selectorELNS0_4arch9wavefront6targetE1EEEvT1_
	.p2align	8
	.type	_ZN7rocprim17ROCPRIM_400000_NS6detail17trampoline_kernelINS0_14default_configENS1_20scan_config_selectorIjEEZZNS1_9scan_implILNS1_25lookback_scan_determinismE0ELb1ELb1ES3_N6thrust23THRUST_200600_302600_NS6detail15normal_iteratorINS9_10device_ptrIjEEEENS9_16discard_iteratorINS9_11use_defaultEEEj11max_functorIjEjEEDaPvRmT3_T4_T5_mT6_P12ihipStream_tbENKUlT_T0_E_clISt17integral_constantIbLb0EESW_IbLb1EEEEDaSS_ST_EUlSS_E0_NS1_11comp_targetILNS1_3genE8ELNS1_11target_archE1030ELNS1_3gpuE2ELNS1_3repE0EEENS1_30default_config_static_selectorELNS0_4arch9wavefront6targetE1EEEvT1_,@function
_ZN7rocprim17ROCPRIM_400000_NS6detail17trampoline_kernelINS0_14default_configENS1_20scan_config_selectorIjEEZZNS1_9scan_implILNS1_25lookback_scan_determinismE0ELb1ELb1ES3_N6thrust23THRUST_200600_302600_NS6detail15normal_iteratorINS9_10device_ptrIjEEEENS9_16discard_iteratorINS9_11use_defaultEEEj11max_functorIjEjEEDaPvRmT3_T4_T5_mT6_P12ihipStream_tbENKUlT_T0_E_clISt17integral_constantIbLb0EESW_IbLb1EEEEDaSS_ST_EUlSS_E0_NS1_11comp_targetILNS1_3genE8ELNS1_11target_archE1030ELNS1_3gpuE2ELNS1_3repE0EEENS1_30default_config_static_selectorELNS0_4arch9wavefront6targetE1EEEvT1_: ; @_ZN7rocprim17ROCPRIM_400000_NS6detail17trampoline_kernelINS0_14default_configENS1_20scan_config_selectorIjEEZZNS1_9scan_implILNS1_25lookback_scan_determinismE0ELb1ELb1ES3_N6thrust23THRUST_200600_302600_NS6detail15normal_iteratorINS9_10device_ptrIjEEEENS9_16discard_iteratorINS9_11use_defaultEEEj11max_functorIjEjEEDaPvRmT3_T4_T5_mT6_P12ihipStream_tbENKUlT_T0_E_clISt17integral_constantIbLb0EESW_IbLb1EEEEDaSS_ST_EUlSS_E0_NS1_11comp_targetILNS1_3genE8ELNS1_11target_archE1030ELNS1_3gpuE2ELNS1_3repE0EEENS1_30default_config_static_selectorELNS0_4arch9wavefront6targetE1EEEvT1_
; %bb.0:
	.section	.rodata,"a",@progbits
	.p2align	6, 0x0
	.amdhsa_kernel _ZN7rocprim17ROCPRIM_400000_NS6detail17trampoline_kernelINS0_14default_configENS1_20scan_config_selectorIjEEZZNS1_9scan_implILNS1_25lookback_scan_determinismE0ELb1ELb1ES3_N6thrust23THRUST_200600_302600_NS6detail15normal_iteratorINS9_10device_ptrIjEEEENS9_16discard_iteratorINS9_11use_defaultEEEj11max_functorIjEjEEDaPvRmT3_T4_T5_mT6_P12ihipStream_tbENKUlT_T0_E_clISt17integral_constantIbLb0EESW_IbLb1EEEEDaSS_ST_EUlSS_E0_NS1_11comp_targetILNS1_3genE8ELNS1_11target_archE1030ELNS1_3gpuE2ELNS1_3repE0EEENS1_30default_config_static_selectorELNS0_4arch9wavefront6targetE1EEEvT1_
		.amdhsa_group_segment_fixed_size 0
		.amdhsa_private_segment_fixed_size 0
		.amdhsa_kernarg_size 40
		.amdhsa_user_sgpr_count 6
		.amdhsa_user_sgpr_private_segment_buffer 1
		.amdhsa_user_sgpr_dispatch_ptr 0
		.amdhsa_user_sgpr_queue_ptr 0
		.amdhsa_user_sgpr_kernarg_segment_ptr 1
		.amdhsa_user_sgpr_dispatch_id 0
		.amdhsa_user_sgpr_flat_scratch_init 0
		.amdhsa_user_sgpr_kernarg_preload_length 0
		.amdhsa_user_sgpr_kernarg_preload_offset 0
		.amdhsa_user_sgpr_private_segment_size 0
		.amdhsa_uses_dynamic_stack 0
		.amdhsa_system_sgpr_private_segment_wavefront_offset 0
		.amdhsa_system_sgpr_workgroup_id_x 1
		.amdhsa_system_sgpr_workgroup_id_y 0
		.amdhsa_system_sgpr_workgroup_id_z 0
		.amdhsa_system_sgpr_workgroup_info 0
		.amdhsa_system_vgpr_workitem_id 0
		.amdhsa_next_free_vgpr 1
		.amdhsa_next_free_sgpr 0
		.amdhsa_accum_offset 4
		.amdhsa_reserve_vcc 0
		.amdhsa_reserve_flat_scratch 0
		.amdhsa_float_round_mode_32 0
		.amdhsa_float_round_mode_16_64 0
		.amdhsa_float_denorm_mode_32 3
		.amdhsa_float_denorm_mode_16_64 3
		.amdhsa_dx10_clamp 1
		.amdhsa_ieee_mode 1
		.amdhsa_fp16_overflow 0
		.amdhsa_tg_split 0
		.amdhsa_exception_fp_ieee_invalid_op 0
		.amdhsa_exception_fp_denorm_src 0
		.amdhsa_exception_fp_ieee_div_zero 0
		.amdhsa_exception_fp_ieee_overflow 0
		.amdhsa_exception_fp_ieee_underflow 0
		.amdhsa_exception_fp_ieee_inexact 0
		.amdhsa_exception_int_div_zero 0
	.end_amdhsa_kernel
	.section	.text._ZN7rocprim17ROCPRIM_400000_NS6detail17trampoline_kernelINS0_14default_configENS1_20scan_config_selectorIjEEZZNS1_9scan_implILNS1_25lookback_scan_determinismE0ELb1ELb1ES3_N6thrust23THRUST_200600_302600_NS6detail15normal_iteratorINS9_10device_ptrIjEEEENS9_16discard_iteratorINS9_11use_defaultEEEj11max_functorIjEjEEDaPvRmT3_T4_T5_mT6_P12ihipStream_tbENKUlT_T0_E_clISt17integral_constantIbLb0EESW_IbLb1EEEEDaSS_ST_EUlSS_E0_NS1_11comp_targetILNS1_3genE8ELNS1_11target_archE1030ELNS1_3gpuE2ELNS1_3repE0EEENS1_30default_config_static_selectorELNS0_4arch9wavefront6targetE1EEEvT1_,"axG",@progbits,_ZN7rocprim17ROCPRIM_400000_NS6detail17trampoline_kernelINS0_14default_configENS1_20scan_config_selectorIjEEZZNS1_9scan_implILNS1_25lookback_scan_determinismE0ELb1ELb1ES3_N6thrust23THRUST_200600_302600_NS6detail15normal_iteratorINS9_10device_ptrIjEEEENS9_16discard_iteratorINS9_11use_defaultEEEj11max_functorIjEjEEDaPvRmT3_T4_T5_mT6_P12ihipStream_tbENKUlT_T0_E_clISt17integral_constantIbLb0EESW_IbLb1EEEEDaSS_ST_EUlSS_E0_NS1_11comp_targetILNS1_3genE8ELNS1_11target_archE1030ELNS1_3gpuE2ELNS1_3repE0EEENS1_30default_config_static_selectorELNS0_4arch9wavefront6targetE1EEEvT1_,comdat
.Lfunc_end3565:
	.size	_ZN7rocprim17ROCPRIM_400000_NS6detail17trampoline_kernelINS0_14default_configENS1_20scan_config_selectorIjEEZZNS1_9scan_implILNS1_25lookback_scan_determinismE0ELb1ELb1ES3_N6thrust23THRUST_200600_302600_NS6detail15normal_iteratorINS9_10device_ptrIjEEEENS9_16discard_iteratorINS9_11use_defaultEEEj11max_functorIjEjEEDaPvRmT3_T4_T5_mT6_P12ihipStream_tbENKUlT_T0_E_clISt17integral_constantIbLb0EESW_IbLb1EEEEDaSS_ST_EUlSS_E0_NS1_11comp_targetILNS1_3genE8ELNS1_11target_archE1030ELNS1_3gpuE2ELNS1_3repE0EEENS1_30default_config_static_selectorELNS0_4arch9wavefront6targetE1EEEvT1_, .Lfunc_end3565-_ZN7rocprim17ROCPRIM_400000_NS6detail17trampoline_kernelINS0_14default_configENS1_20scan_config_selectorIjEEZZNS1_9scan_implILNS1_25lookback_scan_determinismE0ELb1ELb1ES3_N6thrust23THRUST_200600_302600_NS6detail15normal_iteratorINS9_10device_ptrIjEEEENS9_16discard_iteratorINS9_11use_defaultEEEj11max_functorIjEjEEDaPvRmT3_T4_T5_mT6_P12ihipStream_tbENKUlT_T0_E_clISt17integral_constantIbLb0EESW_IbLb1EEEEDaSS_ST_EUlSS_E0_NS1_11comp_targetILNS1_3genE8ELNS1_11target_archE1030ELNS1_3gpuE2ELNS1_3repE0EEENS1_30default_config_static_selectorELNS0_4arch9wavefront6targetE1EEEvT1_
                                        ; -- End function
	.section	.AMDGPU.csdata,"",@progbits
; Kernel info:
; codeLenInByte = 0
; NumSgprs: 4
; NumVgprs: 0
; NumAgprs: 0
; TotalNumVgprs: 0
; ScratchSize: 0
; MemoryBound: 0
; FloatMode: 240
; IeeeMode: 1
; LDSByteSize: 0 bytes/workgroup (compile time only)
; SGPRBlocks: 0
; VGPRBlocks: 0
; NumSGPRsForWavesPerEU: 4
; NumVGPRsForWavesPerEU: 1
; AccumOffset: 4
; Occupancy: 8
; WaveLimiterHint : 0
; COMPUTE_PGM_RSRC2:SCRATCH_EN: 0
; COMPUTE_PGM_RSRC2:USER_SGPR: 6
; COMPUTE_PGM_RSRC2:TRAP_HANDLER: 0
; COMPUTE_PGM_RSRC2:TGID_X_EN: 1
; COMPUTE_PGM_RSRC2:TGID_Y_EN: 0
; COMPUTE_PGM_RSRC2:TGID_Z_EN: 0
; COMPUTE_PGM_RSRC2:TIDIG_COMP_CNT: 0
; COMPUTE_PGM_RSRC3_GFX90A:ACCUM_OFFSET: 0
; COMPUTE_PGM_RSRC3_GFX90A:TG_SPLIT: 0
	.section	.text._ZN7rocprim17ROCPRIM_400000_NS6detail17trampoline_kernelINS0_14default_configENS1_20scan_config_selectorItEEZZNS1_9scan_implILNS1_25lookback_scan_determinismE0ELb0ELb0ES3_N6thrust23THRUST_200600_302600_NS6detail15normal_iteratorINS9_10device_ptrItEEEENS9_16discard_iteratorINS9_11use_defaultEEEt11max_functorItEtEEDaPvRmT3_T4_T5_mT6_P12ihipStream_tbENKUlT_T0_E_clISt17integral_constantIbLb0EESX_EEDaSS_ST_EUlSS_E_NS1_11comp_targetILNS1_3genE0ELNS1_11target_archE4294967295ELNS1_3gpuE0ELNS1_3repE0EEENS1_30default_config_static_selectorELNS0_4arch9wavefront6targetE1EEEvT1_,"axG",@progbits,_ZN7rocprim17ROCPRIM_400000_NS6detail17trampoline_kernelINS0_14default_configENS1_20scan_config_selectorItEEZZNS1_9scan_implILNS1_25lookback_scan_determinismE0ELb0ELb0ES3_N6thrust23THRUST_200600_302600_NS6detail15normal_iteratorINS9_10device_ptrItEEEENS9_16discard_iteratorINS9_11use_defaultEEEt11max_functorItEtEEDaPvRmT3_T4_T5_mT6_P12ihipStream_tbENKUlT_T0_E_clISt17integral_constantIbLb0EESX_EEDaSS_ST_EUlSS_E_NS1_11comp_targetILNS1_3genE0ELNS1_11target_archE4294967295ELNS1_3gpuE0ELNS1_3repE0EEENS1_30default_config_static_selectorELNS0_4arch9wavefront6targetE1EEEvT1_,comdat
	.protected	_ZN7rocprim17ROCPRIM_400000_NS6detail17trampoline_kernelINS0_14default_configENS1_20scan_config_selectorItEEZZNS1_9scan_implILNS1_25lookback_scan_determinismE0ELb0ELb0ES3_N6thrust23THRUST_200600_302600_NS6detail15normal_iteratorINS9_10device_ptrItEEEENS9_16discard_iteratorINS9_11use_defaultEEEt11max_functorItEtEEDaPvRmT3_T4_T5_mT6_P12ihipStream_tbENKUlT_T0_E_clISt17integral_constantIbLb0EESX_EEDaSS_ST_EUlSS_E_NS1_11comp_targetILNS1_3genE0ELNS1_11target_archE4294967295ELNS1_3gpuE0ELNS1_3repE0EEENS1_30default_config_static_selectorELNS0_4arch9wavefront6targetE1EEEvT1_ ; -- Begin function _ZN7rocprim17ROCPRIM_400000_NS6detail17trampoline_kernelINS0_14default_configENS1_20scan_config_selectorItEEZZNS1_9scan_implILNS1_25lookback_scan_determinismE0ELb0ELb0ES3_N6thrust23THRUST_200600_302600_NS6detail15normal_iteratorINS9_10device_ptrItEEEENS9_16discard_iteratorINS9_11use_defaultEEEt11max_functorItEtEEDaPvRmT3_T4_T5_mT6_P12ihipStream_tbENKUlT_T0_E_clISt17integral_constantIbLb0EESX_EEDaSS_ST_EUlSS_E_NS1_11comp_targetILNS1_3genE0ELNS1_11target_archE4294967295ELNS1_3gpuE0ELNS1_3repE0EEENS1_30default_config_static_selectorELNS0_4arch9wavefront6targetE1EEEvT1_
	.globl	_ZN7rocprim17ROCPRIM_400000_NS6detail17trampoline_kernelINS0_14default_configENS1_20scan_config_selectorItEEZZNS1_9scan_implILNS1_25lookback_scan_determinismE0ELb0ELb0ES3_N6thrust23THRUST_200600_302600_NS6detail15normal_iteratorINS9_10device_ptrItEEEENS9_16discard_iteratorINS9_11use_defaultEEEt11max_functorItEtEEDaPvRmT3_T4_T5_mT6_P12ihipStream_tbENKUlT_T0_E_clISt17integral_constantIbLb0EESX_EEDaSS_ST_EUlSS_E_NS1_11comp_targetILNS1_3genE0ELNS1_11target_archE4294967295ELNS1_3gpuE0ELNS1_3repE0EEENS1_30default_config_static_selectorELNS0_4arch9wavefront6targetE1EEEvT1_
	.p2align	8
	.type	_ZN7rocprim17ROCPRIM_400000_NS6detail17trampoline_kernelINS0_14default_configENS1_20scan_config_selectorItEEZZNS1_9scan_implILNS1_25lookback_scan_determinismE0ELb0ELb0ES3_N6thrust23THRUST_200600_302600_NS6detail15normal_iteratorINS9_10device_ptrItEEEENS9_16discard_iteratorINS9_11use_defaultEEEt11max_functorItEtEEDaPvRmT3_T4_T5_mT6_P12ihipStream_tbENKUlT_T0_E_clISt17integral_constantIbLb0EESX_EEDaSS_ST_EUlSS_E_NS1_11comp_targetILNS1_3genE0ELNS1_11target_archE4294967295ELNS1_3gpuE0ELNS1_3repE0EEENS1_30default_config_static_selectorELNS0_4arch9wavefront6targetE1EEEvT1_,@function
_ZN7rocprim17ROCPRIM_400000_NS6detail17trampoline_kernelINS0_14default_configENS1_20scan_config_selectorItEEZZNS1_9scan_implILNS1_25lookback_scan_determinismE0ELb0ELb0ES3_N6thrust23THRUST_200600_302600_NS6detail15normal_iteratorINS9_10device_ptrItEEEENS9_16discard_iteratorINS9_11use_defaultEEEt11max_functorItEtEEDaPvRmT3_T4_T5_mT6_P12ihipStream_tbENKUlT_T0_E_clISt17integral_constantIbLb0EESX_EEDaSS_ST_EUlSS_E_NS1_11comp_targetILNS1_3genE0ELNS1_11target_archE4294967295ELNS1_3gpuE0ELNS1_3repE0EEENS1_30default_config_static_selectorELNS0_4arch9wavefront6targetE1EEEvT1_: ; @_ZN7rocprim17ROCPRIM_400000_NS6detail17trampoline_kernelINS0_14default_configENS1_20scan_config_selectorItEEZZNS1_9scan_implILNS1_25lookback_scan_determinismE0ELb0ELb0ES3_N6thrust23THRUST_200600_302600_NS6detail15normal_iteratorINS9_10device_ptrItEEEENS9_16discard_iteratorINS9_11use_defaultEEEt11max_functorItEtEEDaPvRmT3_T4_T5_mT6_P12ihipStream_tbENKUlT_T0_E_clISt17integral_constantIbLb0EESX_EEDaSS_ST_EUlSS_E_NS1_11comp_targetILNS1_3genE0ELNS1_11target_archE4294967295ELNS1_3gpuE0ELNS1_3repE0EEENS1_30default_config_static_selectorELNS0_4arch9wavefront6targetE1EEEvT1_
; %bb.0:
	.section	.rodata,"a",@progbits
	.p2align	6, 0x0
	.amdhsa_kernel _ZN7rocprim17ROCPRIM_400000_NS6detail17trampoline_kernelINS0_14default_configENS1_20scan_config_selectorItEEZZNS1_9scan_implILNS1_25lookback_scan_determinismE0ELb0ELb0ES3_N6thrust23THRUST_200600_302600_NS6detail15normal_iteratorINS9_10device_ptrItEEEENS9_16discard_iteratorINS9_11use_defaultEEEt11max_functorItEtEEDaPvRmT3_T4_T5_mT6_P12ihipStream_tbENKUlT_T0_E_clISt17integral_constantIbLb0EESX_EEDaSS_ST_EUlSS_E_NS1_11comp_targetILNS1_3genE0ELNS1_11target_archE4294967295ELNS1_3gpuE0ELNS1_3repE0EEENS1_30default_config_static_selectorELNS0_4arch9wavefront6targetE1EEEvT1_
		.amdhsa_group_segment_fixed_size 0
		.amdhsa_private_segment_fixed_size 0
		.amdhsa_kernarg_size 104
		.amdhsa_user_sgpr_count 6
		.amdhsa_user_sgpr_private_segment_buffer 1
		.amdhsa_user_sgpr_dispatch_ptr 0
		.amdhsa_user_sgpr_queue_ptr 0
		.amdhsa_user_sgpr_kernarg_segment_ptr 1
		.amdhsa_user_sgpr_dispatch_id 0
		.amdhsa_user_sgpr_flat_scratch_init 0
		.amdhsa_user_sgpr_kernarg_preload_length 0
		.amdhsa_user_sgpr_kernarg_preload_offset 0
		.amdhsa_user_sgpr_private_segment_size 0
		.amdhsa_uses_dynamic_stack 0
		.amdhsa_system_sgpr_private_segment_wavefront_offset 0
		.amdhsa_system_sgpr_workgroup_id_x 1
		.amdhsa_system_sgpr_workgroup_id_y 0
		.amdhsa_system_sgpr_workgroup_id_z 0
		.amdhsa_system_sgpr_workgroup_info 0
		.amdhsa_system_vgpr_workitem_id 0
		.amdhsa_next_free_vgpr 1
		.amdhsa_next_free_sgpr 0
		.amdhsa_accum_offset 4
		.amdhsa_reserve_vcc 0
		.amdhsa_reserve_flat_scratch 0
		.amdhsa_float_round_mode_32 0
		.amdhsa_float_round_mode_16_64 0
		.amdhsa_float_denorm_mode_32 3
		.amdhsa_float_denorm_mode_16_64 3
		.amdhsa_dx10_clamp 1
		.amdhsa_ieee_mode 1
		.amdhsa_fp16_overflow 0
		.amdhsa_tg_split 0
		.amdhsa_exception_fp_ieee_invalid_op 0
		.amdhsa_exception_fp_denorm_src 0
		.amdhsa_exception_fp_ieee_div_zero 0
		.amdhsa_exception_fp_ieee_overflow 0
		.amdhsa_exception_fp_ieee_underflow 0
		.amdhsa_exception_fp_ieee_inexact 0
		.amdhsa_exception_int_div_zero 0
	.end_amdhsa_kernel
	.section	.text._ZN7rocprim17ROCPRIM_400000_NS6detail17trampoline_kernelINS0_14default_configENS1_20scan_config_selectorItEEZZNS1_9scan_implILNS1_25lookback_scan_determinismE0ELb0ELb0ES3_N6thrust23THRUST_200600_302600_NS6detail15normal_iteratorINS9_10device_ptrItEEEENS9_16discard_iteratorINS9_11use_defaultEEEt11max_functorItEtEEDaPvRmT3_T4_T5_mT6_P12ihipStream_tbENKUlT_T0_E_clISt17integral_constantIbLb0EESX_EEDaSS_ST_EUlSS_E_NS1_11comp_targetILNS1_3genE0ELNS1_11target_archE4294967295ELNS1_3gpuE0ELNS1_3repE0EEENS1_30default_config_static_selectorELNS0_4arch9wavefront6targetE1EEEvT1_,"axG",@progbits,_ZN7rocprim17ROCPRIM_400000_NS6detail17trampoline_kernelINS0_14default_configENS1_20scan_config_selectorItEEZZNS1_9scan_implILNS1_25lookback_scan_determinismE0ELb0ELb0ES3_N6thrust23THRUST_200600_302600_NS6detail15normal_iteratorINS9_10device_ptrItEEEENS9_16discard_iteratorINS9_11use_defaultEEEt11max_functorItEtEEDaPvRmT3_T4_T5_mT6_P12ihipStream_tbENKUlT_T0_E_clISt17integral_constantIbLb0EESX_EEDaSS_ST_EUlSS_E_NS1_11comp_targetILNS1_3genE0ELNS1_11target_archE4294967295ELNS1_3gpuE0ELNS1_3repE0EEENS1_30default_config_static_selectorELNS0_4arch9wavefront6targetE1EEEvT1_,comdat
.Lfunc_end3566:
	.size	_ZN7rocprim17ROCPRIM_400000_NS6detail17trampoline_kernelINS0_14default_configENS1_20scan_config_selectorItEEZZNS1_9scan_implILNS1_25lookback_scan_determinismE0ELb0ELb0ES3_N6thrust23THRUST_200600_302600_NS6detail15normal_iteratorINS9_10device_ptrItEEEENS9_16discard_iteratorINS9_11use_defaultEEEt11max_functorItEtEEDaPvRmT3_T4_T5_mT6_P12ihipStream_tbENKUlT_T0_E_clISt17integral_constantIbLb0EESX_EEDaSS_ST_EUlSS_E_NS1_11comp_targetILNS1_3genE0ELNS1_11target_archE4294967295ELNS1_3gpuE0ELNS1_3repE0EEENS1_30default_config_static_selectorELNS0_4arch9wavefront6targetE1EEEvT1_, .Lfunc_end3566-_ZN7rocprim17ROCPRIM_400000_NS6detail17trampoline_kernelINS0_14default_configENS1_20scan_config_selectorItEEZZNS1_9scan_implILNS1_25lookback_scan_determinismE0ELb0ELb0ES3_N6thrust23THRUST_200600_302600_NS6detail15normal_iteratorINS9_10device_ptrItEEEENS9_16discard_iteratorINS9_11use_defaultEEEt11max_functorItEtEEDaPvRmT3_T4_T5_mT6_P12ihipStream_tbENKUlT_T0_E_clISt17integral_constantIbLb0EESX_EEDaSS_ST_EUlSS_E_NS1_11comp_targetILNS1_3genE0ELNS1_11target_archE4294967295ELNS1_3gpuE0ELNS1_3repE0EEENS1_30default_config_static_selectorELNS0_4arch9wavefront6targetE1EEEvT1_
                                        ; -- End function
	.section	.AMDGPU.csdata,"",@progbits
; Kernel info:
; codeLenInByte = 0
; NumSgprs: 4
; NumVgprs: 0
; NumAgprs: 0
; TotalNumVgprs: 0
; ScratchSize: 0
; MemoryBound: 0
; FloatMode: 240
; IeeeMode: 1
; LDSByteSize: 0 bytes/workgroup (compile time only)
; SGPRBlocks: 0
; VGPRBlocks: 0
; NumSGPRsForWavesPerEU: 4
; NumVGPRsForWavesPerEU: 1
; AccumOffset: 4
; Occupancy: 8
; WaveLimiterHint : 0
; COMPUTE_PGM_RSRC2:SCRATCH_EN: 0
; COMPUTE_PGM_RSRC2:USER_SGPR: 6
; COMPUTE_PGM_RSRC2:TRAP_HANDLER: 0
; COMPUTE_PGM_RSRC2:TGID_X_EN: 1
; COMPUTE_PGM_RSRC2:TGID_Y_EN: 0
; COMPUTE_PGM_RSRC2:TGID_Z_EN: 0
; COMPUTE_PGM_RSRC2:TIDIG_COMP_CNT: 0
; COMPUTE_PGM_RSRC3_GFX90A:ACCUM_OFFSET: 0
; COMPUTE_PGM_RSRC3_GFX90A:TG_SPLIT: 0
	.section	.text._ZN7rocprim17ROCPRIM_400000_NS6detail17trampoline_kernelINS0_14default_configENS1_20scan_config_selectorItEEZZNS1_9scan_implILNS1_25lookback_scan_determinismE0ELb0ELb0ES3_N6thrust23THRUST_200600_302600_NS6detail15normal_iteratorINS9_10device_ptrItEEEENS9_16discard_iteratorINS9_11use_defaultEEEt11max_functorItEtEEDaPvRmT3_T4_T5_mT6_P12ihipStream_tbENKUlT_T0_E_clISt17integral_constantIbLb0EESX_EEDaSS_ST_EUlSS_E_NS1_11comp_targetILNS1_3genE5ELNS1_11target_archE942ELNS1_3gpuE9ELNS1_3repE0EEENS1_30default_config_static_selectorELNS0_4arch9wavefront6targetE1EEEvT1_,"axG",@progbits,_ZN7rocprim17ROCPRIM_400000_NS6detail17trampoline_kernelINS0_14default_configENS1_20scan_config_selectorItEEZZNS1_9scan_implILNS1_25lookback_scan_determinismE0ELb0ELb0ES3_N6thrust23THRUST_200600_302600_NS6detail15normal_iteratorINS9_10device_ptrItEEEENS9_16discard_iteratorINS9_11use_defaultEEEt11max_functorItEtEEDaPvRmT3_T4_T5_mT6_P12ihipStream_tbENKUlT_T0_E_clISt17integral_constantIbLb0EESX_EEDaSS_ST_EUlSS_E_NS1_11comp_targetILNS1_3genE5ELNS1_11target_archE942ELNS1_3gpuE9ELNS1_3repE0EEENS1_30default_config_static_selectorELNS0_4arch9wavefront6targetE1EEEvT1_,comdat
	.protected	_ZN7rocprim17ROCPRIM_400000_NS6detail17trampoline_kernelINS0_14default_configENS1_20scan_config_selectorItEEZZNS1_9scan_implILNS1_25lookback_scan_determinismE0ELb0ELb0ES3_N6thrust23THRUST_200600_302600_NS6detail15normal_iteratorINS9_10device_ptrItEEEENS9_16discard_iteratorINS9_11use_defaultEEEt11max_functorItEtEEDaPvRmT3_T4_T5_mT6_P12ihipStream_tbENKUlT_T0_E_clISt17integral_constantIbLb0EESX_EEDaSS_ST_EUlSS_E_NS1_11comp_targetILNS1_3genE5ELNS1_11target_archE942ELNS1_3gpuE9ELNS1_3repE0EEENS1_30default_config_static_selectorELNS0_4arch9wavefront6targetE1EEEvT1_ ; -- Begin function _ZN7rocprim17ROCPRIM_400000_NS6detail17trampoline_kernelINS0_14default_configENS1_20scan_config_selectorItEEZZNS1_9scan_implILNS1_25lookback_scan_determinismE0ELb0ELb0ES3_N6thrust23THRUST_200600_302600_NS6detail15normal_iteratorINS9_10device_ptrItEEEENS9_16discard_iteratorINS9_11use_defaultEEEt11max_functorItEtEEDaPvRmT3_T4_T5_mT6_P12ihipStream_tbENKUlT_T0_E_clISt17integral_constantIbLb0EESX_EEDaSS_ST_EUlSS_E_NS1_11comp_targetILNS1_3genE5ELNS1_11target_archE942ELNS1_3gpuE9ELNS1_3repE0EEENS1_30default_config_static_selectorELNS0_4arch9wavefront6targetE1EEEvT1_
	.globl	_ZN7rocprim17ROCPRIM_400000_NS6detail17trampoline_kernelINS0_14default_configENS1_20scan_config_selectorItEEZZNS1_9scan_implILNS1_25lookback_scan_determinismE0ELb0ELb0ES3_N6thrust23THRUST_200600_302600_NS6detail15normal_iteratorINS9_10device_ptrItEEEENS9_16discard_iteratorINS9_11use_defaultEEEt11max_functorItEtEEDaPvRmT3_T4_T5_mT6_P12ihipStream_tbENKUlT_T0_E_clISt17integral_constantIbLb0EESX_EEDaSS_ST_EUlSS_E_NS1_11comp_targetILNS1_3genE5ELNS1_11target_archE942ELNS1_3gpuE9ELNS1_3repE0EEENS1_30default_config_static_selectorELNS0_4arch9wavefront6targetE1EEEvT1_
	.p2align	8
	.type	_ZN7rocprim17ROCPRIM_400000_NS6detail17trampoline_kernelINS0_14default_configENS1_20scan_config_selectorItEEZZNS1_9scan_implILNS1_25lookback_scan_determinismE0ELb0ELb0ES3_N6thrust23THRUST_200600_302600_NS6detail15normal_iteratorINS9_10device_ptrItEEEENS9_16discard_iteratorINS9_11use_defaultEEEt11max_functorItEtEEDaPvRmT3_T4_T5_mT6_P12ihipStream_tbENKUlT_T0_E_clISt17integral_constantIbLb0EESX_EEDaSS_ST_EUlSS_E_NS1_11comp_targetILNS1_3genE5ELNS1_11target_archE942ELNS1_3gpuE9ELNS1_3repE0EEENS1_30default_config_static_selectorELNS0_4arch9wavefront6targetE1EEEvT1_,@function
_ZN7rocprim17ROCPRIM_400000_NS6detail17trampoline_kernelINS0_14default_configENS1_20scan_config_selectorItEEZZNS1_9scan_implILNS1_25lookback_scan_determinismE0ELb0ELb0ES3_N6thrust23THRUST_200600_302600_NS6detail15normal_iteratorINS9_10device_ptrItEEEENS9_16discard_iteratorINS9_11use_defaultEEEt11max_functorItEtEEDaPvRmT3_T4_T5_mT6_P12ihipStream_tbENKUlT_T0_E_clISt17integral_constantIbLb0EESX_EEDaSS_ST_EUlSS_E_NS1_11comp_targetILNS1_3genE5ELNS1_11target_archE942ELNS1_3gpuE9ELNS1_3repE0EEENS1_30default_config_static_selectorELNS0_4arch9wavefront6targetE1EEEvT1_: ; @_ZN7rocprim17ROCPRIM_400000_NS6detail17trampoline_kernelINS0_14default_configENS1_20scan_config_selectorItEEZZNS1_9scan_implILNS1_25lookback_scan_determinismE0ELb0ELb0ES3_N6thrust23THRUST_200600_302600_NS6detail15normal_iteratorINS9_10device_ptrItEEEENS9_16discard_iteratorINS9_11use_defaultEEEt11max_functorItEtEEDaPvRmT3_T4_T5_mT6_P12ihipStream_tbENKUlT_T0_E_clISt17integral_constantIbLb0EESX_EEDaSS_ST_EUlSS_E_NS1_11comp_targetILNS1_3genE5ELNS1_11target_archE942ELNS1_3gpuE9ELNS1_3repE0EEENS1_30default_config_static_selectorELNS0_4arch9wavefront6targetE1EEEvT1_
; %bb.0:
	.section	.rodata,"a",@progbits
	.p2align	6, 0x0
	.amdhsa_kernel _ZN7rocprim17ROCPRIM_400000_NS6detail17trampoline_kernelINS0_14default_configENS1_20scan_config_selectorItEEZZNS1_9scan_implILNS1_25lookback_scan_determinismE0ELb0ELb0ES3_N6thrust23THRUST_200600_302600_NS6detail15normal_iteratorINS9_10device_ptrItEEEENS9_16discard_iteratorINS9_11use_defaultEEEt11max_functorItEtEEDaPvRmT3_T4_T5_mT6_P12ihipStream_tbENKUlT_T0_E_clISt17integral_constantIbLb0EESX_EEDaSS_ST_EUlSS_E_NS1_11comp_targetILNS1_3genE5ELNS1_11target_archE942ELNS1_3gpuE9ELNS1_3repE0EEENS1_30default_config_static_selectorELNS0_4arch9wavefront6targetE1EEEvT1_
		.amdhsa_group_segment_fixed_size 0
		.amdhsa_private_segment_fixed_size 0
		.amdhsa_kernarg_size 104
		.amdhsa_user_sgpr_count 6
		.amdhsa_user_sgpr_private_segment_buffer 1
		.amdhsa_user_sgpr_dispatch_ptr 0
		.amdhsa_user_sgpr_queue_ptr 0
		.amdhsa_user_sgpr_kernarg_segment_ptr 1
		.amdhsa_user_sgpr_dispatch_id 0
		.amdhsa_user_sgpr_flat_scratch_init 0
		.amdhsa_user_sgpr_kernarg_preload_length 0
		.amdhsa_user_sgpr_kernarg_preload_offset 0
		.amdhsa_user_sgpr_private_segment_size 0
		.amdhsa_uses_dynamic_stack 0
		.amdhsa_system_sgpr_private_segment_wavefront_offset 0
		.amdhsa_system_sgpr_workgroup_id_x 1
		.amdhsa_system_sgpr_workgroup_id_y 0
		.amdhsa_system_sgpr_workgroup_id_z 0
		.amdhsa_system_sgpr_workgroup_info 0
		.amdhsa_system_vgpr_workitem_id 0
		.amdhsa_next_free_vgpr 1
		.amdhsa_next_free_sgpr 0
		.amdhsa_accum_offset 4
		.amdhsa_reserve_vcc 0
		.amdhsa_reserve_flat_scratch 0
		.amdhsa_float_round_mode_32 0
		.amdhsa_float_round_mode_16_64 0
		.amdhsa_float_denorm_mode_32 3
		.amdhsa_float_denorm_mode_16_64 3
		.amdhsa_dx10_clamp 1
		.amdhsa_ieee_mode 1
		.amdhsa_fp16_overflow 0
		.amdhsa_tg_split 0
		.amdhsa_exception_fp_ieee_invalid_op 0
		.amdhsa_exception_fp_denorm_src 0
		.amdhsa_exception_fp_ieee_div_zero 0
		.amdhsa_exception_fp_ieee_overflow 0
		.amdhsa_exception_fp_ieee_underflow 0
		.amdhsa_exception_fp_ieee_inexact 0
		.amdhsa_exception_int_div_zero 0
	.end_amdhsa_kernel
	.section	.text._ZN7rocprim17ROCPRIM_400000_NS6detail17trampoline_kernelINS0_14default_configENS1_20scan_config_selectorItEEZZNS1_9scan_implILNS1_25lookback_scan_determinismE0ELb0ELb0ES3_N6thrust23THRUST_200600_302600_NS6detail15normal_iteratorINS9_10device_ptrItEEEENS9_16discard_iteratorINS9_11use_defaultEEEt11max_functorItEtEEDaPvRmT3_T4_T5_mT6_P12ihipStream_tbENKUlT_T0_E_clISt17integral_constantIbLb0EESX_EEDaSS_ST_EUlSS_E_NS1_11comp_targetILNS1_3genE5ELNS1_11target_archE942ELNS1_3gpuE9ELNS1_3repE0EEENS1_30default_config_static_selectorELNS0_4arch9wavefront6targetE1EEEvT1_,"axG",@progbits,_ZN7rocprim17ROCPRIM_400000_NS6detail17trampoline_kernelINS0_14default_configENS1_20scan_config_selectorItEEZZNS1_9scan_implILNS1_25lookback_scan_determinismE0ELb0ELb0ES3_N6thrust23THRUST_200600_302600_NS6detail15normal_iteratorINS9_10device_ptrItEEEENS9_16discard_iteratorINS9_11use_defaultEEEt11max_functorItEtEEDaPvRmT3_T4_T5_mT6_P12ihipStream_tbENKUlT_T0_E_clISt17integral_constantIbLb0EESX_EEDaSS_ST_EUlSS_E_NS1_11comp_targetILNS1_3genE5ELNS1_11target_archE942ELNS1_3gpuE9ELNS1_3repE0EEENS1_30default_config_static_selectorELNS0_4arch9wavefront6targetE1EEEvT1_,comdat
.Lfunc_end3567:
	.size	_ZN7rocprim17ROCPRIM_400000_NS6detail17trampoline_kernelINS0_14default_configENS1_20scan_config_selectorItEEZZNS1_9scan_implILNS1_25lookback_scan_determinismE0ELb0ELb0ES3_N6thrust23THRUST_200600_302600_NS6detail15normal_iteratorINS9_10device_ptrItEEEENS9_16discard_iteratorINS9_11use_defaultEEEt11max_functorItEtEEDaPvRmT3_T4_T5_mT6_P12ihipStream_tbENKUlT_T0_E_clISt17integral_constantIbLb0EESX_EEDaSS_ST_EUlSS_E_NS1_11comp_targetILNS1_3genE5ELNS1_11target_archE942ELNS1_3gpuE9ELNS1_3repE0EEENS1_30default_config_static_selectorELNS0_4arch9wavefront6targetE1EEEvT1_, .Lfunc_end3567-_ZN7rocprim17ROCPRIM_400000_NS6detail17trampoline_kernelINS0_14default_configENS1_20scan_config_selectorItEEZZNS1_9scan_implILNS1_25lookback_scan_determinismE0ELb0ELb0ES3_N6thrust23THRUST_200600_302600_NS6detail15normal_iteratorINS9_10device_ptrItEEEENS9_16discard_iteratorINS9_11use_defaultEEEt11max_functorItEtEEDaPvRmT3_T4_T5_mT6_P12ihipStream_tbENKUlT_T0_E_clISt17integral_constantIbLb0EESX_EEDaSS_ST_EUlSS_E_NS1_11comp_targetILNS1_3genE5ELNS1_11target_archE942ELNS1_3gpuE9ELNS1_3repE0EEENS1_30default_config_static_selectorELNS0_4arch9wavefront6targetE1EEEvT1_
                                        ; -- End function
	.section	.AMDGPU.csdata,"",@progbits
; Kernel info:
; codeLenInByte = 0
; NumSgprs: 4
; NumVgprs: 0
; NumAgprs: 0
; TotalNumVgprs: 0
; ScratchSize: 0
; MemoryBound: 0
; FloatMode: 240
; IeeeMode: 1
; LDSByteSize: 0 bytes/workgroup (compile time only)
; SGPRBlocks: 0
; VGPRBlocks: 0
; NumSGPRsForWavesPerEU: 4
; NumVGPRsForWavesPerEU: 1
; AccumOffset: 4
; Occupancy: 8
; WaveLimiterHint : 0
; COMPUTE_PGM_RSRC2:SCRATCH_EN: 0
; COMPUTE_PGM_RSRC2:USER_SGPR: 6
; COMPUTE_PGM_RSRC2:TRAP_HANDLER: 0
; COMPUTE_PGM_RSRC2:TGID_X_EN: 1
; COMPUTE_PGM_RSRC2:TGID_Y_EN: 0
; COMPUTE_PGM_RSRC2:TGID_Z_EN: 0
; COMPUTE_PGM_RSRC2:TIDIG_COMP_CNT: 0
; COMPUTE_PGM_RSRC3_GFX90A:ACCUM_OFFSET: 0
; COMPUTE_PGM_RSRC3_GFX90A:TG_SPLIT: 0
	.section	.text._ZN7rocprim17ROCPRIM_400000_NS6detail17trampoline_kernelINS0_14default_configENS1_20scan_config_selectorItEEZZNS1_9scan_implILNS1_25lookback_scan_determinismE0ELb0ELb0ES3_N6thrust23THRUST_200600_302600_NS6detail15normal_iteratorINS9_10device_ptrItEEEENS9_16discard_iteratorINS9_11use_defaultEEEt11max_functorItEtEEDaPvRmT3_T4_T5_mT6_P12ihipStream_tbENKUlT_T0_E_clISt17integral_constantIbLb0EESX_EEDaSS_ST_EUlSS_E_NS1_11comp_targetILNS1_3genE4ELNS1_11target_archE910ELNS1_3gpuE8ELNS1_3repE0EEENS1_30default_config_static_selectorELNS0_4arch9wavefront6targetE1EEEvT1_,"axG",@progbits,_ZN7rocprim17ROCPRIM_400000_NS6detail17trampoline_kernelINS0_14default_configENS1_20scan_config_selectorItEEZZNS1_9scan_implILNS1_25lookback_scan_determinismE0ELb0ELb0ES3_N6thrust23THRUST_200600_302600_NS6detail15normal_iteratorINS9_10device_ptrItEEEENS9_16discard_iteratorINS9_11use_defaultEEEt11max_functorItEtEEDaPvRmT3_T4_T5_mT6_P12ihipStream_tbENKUlT_T0_E_clISt17integral_constantIbLb0EESX_EEDaSS_ST_EUlSS_E_NS1_11comp_targetILNS1_3genE4ELNS1_11target_archE910ELNS1_3gpuE8ELNS1_3repE0EEENS1_30default_config_static_selectorELNS0_4arch9wavefront6targetE1EEEvT1_,comdat
	.protected	_ZN7rocprim17ROCPRIM_400000_NS6detail17trampoline_kernelINS0_14default_configENS1_20scan_config_selectorItEEZZNS1_9scan_implILNS1_25lookback_scan_determinismE0ELb0ELb0ES3_N6thrust23THRUST_200600_302600_NS6detail15normal_iteratorINS9_10device_ptrItEEEENS9_16discard_iteratorINS9_11use_defaultEEEt11max_functorItEtEEDaPvRmT3_T4_T5_mT6_P12ihipStream_tbENKUlT_T0_E_clISt17integral_constantIbLb0EESX_EEDaSS_ST_EUlSS_E_NS1_11comp_targetILNS1_3genE4ELNS1_11target_archE910ELNS1_3gpuE8ELNS1_3repE0EEENS1_30default_config_static_selectorELNS0_4arch9wavefront6targetE1EEEvT1_ ; -- Begin function _ZN7rocprim17ROCPRIM_400000_NS6detail17trampoline_kernelINS0_14default_configENS1_20scan_config_selectorItEEZZNS1_9scan_implILNS1_25lookback_scan_determinismE0ELb0ELb0ES3_N6thrust23THRUST_200600_302600_NS6detail15normal_iteratorINS9_10device_ptrItEEEENS9_16discard_iteratorINS9_11use_defaultEEEt11max_functorItEtEEDaPvRmT3_T4_T5_mT6_P12ihipStream_tbENKUlT_T0_E_clISt17integral_constantIbLb0EESX_EEDaSS_ST_EUlSS_E_NS1_11comp_targetILNS1_3genE4ELNS1_11target_archE910ELNS1_3gpuE8ELNS1_3repE0EEENS1_30default_config_static_selectorELNS0_4arch9wavefront6targetE1EEEvT1_
	.globl	_ZN7rocprim17ROCPRIM_400000_NS6detail17trampoline_kernelINS0_14default_configENS1_20scan_config_selectorItEEZZNS1_9scan_implILNS1_25lookback_scan_determinismE0ELb0ELb0ES3_N6thrust23THRUST_200600_302600_NS6detail15normal_iteratorINS9_10device_ptrItEEEENS9_16discard_iteratorINS9_11use_defaultEEEt11max_functorItEtEEDaPvRmT3_T4_T5_mT6_P12ihipStream_tbENKUlT_T0_E_clISt17integral_constantIbLb0EESX_EEDaSS_ST_EUlSS_E_NS1_11comp_targetILNS1_3genE4ELNS1_11target_archE910ELNS1_3gpuE8ELNS1_3repE0EEENS1_30default_config_static_selectorELNS0_4arch9wavefront6targetE1EEEvT1_
	.p2align	8
	.type	_ZN7rocprim17ROCPRIM_400000_NS6detail17trampoline_kernelINS0_14default_configENS1_20scan_config_selectorItEEZZNS1_9scan_implILNS1_25lookback_scan_determinismE0ELb0ELb0ES3_N6thrust23THRUST_200600_302600_NS6detail15normal_iteratorINS9_10device_ptrItEEEENS9_16discard_iteratorINS9_11use_defaultEEEt11max_functorItEtEEDaPvRmT3_T4_T5_mT6_P12ihipStream_tbENKUlT_T0_E_clISt17integral_constantIbLb0EESX_EEDaSS_ST_EUlSS_E_NS1_11comp_targetILNS1_3genE4ELNS1_11target_archE910ELNS1_3gpuE8ELNS1_3repE0EEENS1_30default_config_static_selectorELNS0_4arch9wavefront6targetE1EEEvT1_,@function
_ZN7rocprim17ROCPRIM_400000_NS6detail17trampoline_kernelINS0_14default_configENS1_20scan_config_selectorItEEZZNS1_9scan_implILNS1_25lookback_scan_determinismE0ELb0ELb0ES3_N6thrust23THRUST_200600_302600_NS6detail15normal_iteratorINS9_10device_ptrItEEEENS9_16discard_iteratorINS9_11use_defaultEEEt11max_functorItEtEEDaPvRmT3_T4_T5_mT6_P12ihipStream_tbENKUlT_T0_E_clISt17integral_constantIbLb0EESX_EEDaSS_ST_EUlSS_E_NS1_11comp_targetILNS1_3genE4ELNS1_11target_archE910ELNS1_3gpuE8ELNS1_3repE0EEENS1_30default_config_static_selectorELNS0_4arch9wavefront6targetE1EEEvT1_: ; @_ZN7rocprim17ROCPRIM_400000_NS6detail17trampoline_kernelINS0_14default_configENS1_20scan_config_selectorItEEZZNS1_9scan_implILNS1_25lookback_scan_determinismE0ELb0ELb0ES3_N6thrust23THRUST_200600_302600_NS6detail15normal_iteratorINS9_10device_ptrItEEEENS9_16discard_iteratorINS9_11use_defaultEEEt11max_functorItEtEEDaPvRmT3_T4_T5_mT6_P12ihipStream_tbENKUlT_T0_E_clISt17integral_constantIbLb0EESX_EEDaSS_ST_EUlSS_E_NS1_11comp_targetILNS1_3genE4ELNS1_11target_archE910ELNS1_3gpuE8ELNS1_3repE0EEENS1_30default_config_static_selectorELNS0_4arch9wavefront6targetE1EEEvT1_
; %bb.0:
	s_load_dwordx4 s[0:3], s[4:5], 0x0
	s_load_dwordx2 s[8:9], s[4:5], 0x20
	s_load_dword s7, s[4:5], 0x38
	v_lshlrev_b32_e32 v1, 1, v0
	s_waitcnt lgkmcnt(0)
	s_lshl_b64 s[2:3], s[2:3], 1
	s_add_u32 s2, s0, s2
	s_addc_u32 s3, s1, s3
	s_add_i32 s7, s7, -1
	s_mul_i32 s10, s7, 0x600
	s_sub_u32 s20, s8, s10
	s_subb_u32 s21, s9, 0
	s_mul_i32 s0, s6, 0x600
	s_mov_b32 s1, 0
	s_cmp_lg_u32 s6, s7
	s_cselect_b64 s[14:15], -1, 0
	s_lshl_b64 s[0:1], s[0:1], 1
	s_add_u32 s0, s2, s0
	s_addc_u32 s1, s3, s1
	s_mov_b64 s[2:3], -1
	s_and_b64 vcc, exec, s[14:15]
	s_cbranch_vccz .LBB3568_2
; %bb.1:
	v_mov_b32_e32 v3, s1
	v_add_co_u32_e32 v2, vcc, s0, v1
	v_addc_co_u32_e32 v3, vcc, 0, v3, vcc
	flat_load_ushort v4, v[2:3]
	flat_load_ushort v5, v[2:3] offset:128
	flat_load_ushort v6, v[2:3] offset:256
	flat_load_ushort v7, v[2:3] offset:384
	flat_load_ushort v8, v[2:3] offset:512
	flat_load_ushort v9, v[2:3] offset:640
	flat_load_ushort v10, v[2:3] offset:768
	flat_load_ushort v11, v[2:3] offset:896
	flat_load_ushort v12, v[2:3] offset:1024
	flat_load_ushort v13, v[2:3] offset:1152
	flat_load_ushort v14, v[2:3] offset:1280
	flat_load_ushort v15, v[2:3] offset:1408
	flat_load_ushort v16, v[2:3] offset:1536
	flat_load_ushort v17, v[2:3] offset:1664
	flat_load_ushort v18, v[2:3] offset:1792
	flat_load_ushort v19, v[2:3] offset:1920
	flat_load_ushort v20, v[2:3] offset:2048
	flat_load_ushort v21, v[2:3] offset:2176
	flat_load_ushort v22, v[2:3] offset:2304
	flat_load_ushort v23, v[2:3] offset:2432
	flat_load_ushort v24, v[2:3] offset:2560
	flat_load_ushort v25, v[2:3] offset:2688
	flat_load_ushort v26, v[2:3] offset:2816
	flat_load_ushort v27, v[2:3] offset:2944
	s_mov_b64 s[2:3], 0
	s_waitcnt vmcnt(0) lgkmcnt(0)
	ds_write_b16 v1, v4
	ds_write_b16 v1, v5 offset:128
	ds_write_b16 v1, v6 offset:256
	;; [unrolled: 1-line block ×23, first 2 shown]
	s_waitcnt lgkmcnt(0)
	; wave barrier
.LBB3568_2:
	s_load_dwordx2 s[16:17], s[4:5], 0x30
	s_andn2_b64 vcc, exec, s[2:3]
	s_cbranch_vccnz .LBB3568_52
; %bb.3:
	v_pk_mov_b32 v[2:3], s[0:1], s[0:1] op_sel:[0,1]
	flat_load_ushort v2, v[2:3]
	v_cmp_gt_u32_e32 vcc, s20, v0
	s_waitcnt vmcnt(0) lgkmcnt(0)
	v_mov_b32_e32 v3, v2
	s_and_saveexec_b64 s[2:3], vcc
	s_cbranch_execz .LBB3568_5
; %bb.4:
	v_mov_b32_e32 v3, s1
	v_add_co_u32_e32 v4, vcc, s0, v1
	v_addc_co_u32_e32 v5, vcc, 0, v3, vcc
	flat_load_ushort v3, v[4:5]
.LBB3568_5:
	s_or_b64 exec, exec, s[2:3]
	v_or_b32_e32 v4, 64, v0
	v_cmp_gt_u32_e32 vcc, s20, v4
	v_mov_b32_e32 v4, v2
	s_and_saveexec_b64 s[2:3], vcc
	s_cbranch_execz .LBB3568_7
; %bb.6:
	v_mov_b32_e32 v5, s1
	v_add_co_u32_e32 v4, vcc, s0, v1
	v_addc_co_u32_e32 v5, vcc, 0, v5, vcc
	flat_load_ushort v4, v[4:5] offset:128
.LBB3568_7:
	s_or_b64 exec, exec, s[2:3]
	v_or_b32_e32 v5, 0x80, v0
	v_cmp_gt_u32_e32 vcc, s20, v5
	v_mov_b32_e32 v5, v2
	s_and_saveexec_b64 s[2:3], vcc
	s_cbranch_execz .LBB3568_9
; %bb.8:
	v_mov_b32_e32 v5, s1
	v_add_co_u32_e32 v6, vcc, s0, v1
	v_addc_co_u32_e32 v7, vcc, 0, v5, vcc
	flat_load_ushort v5, v[6:7] offset:256
.LBB3568_9:
	;; [unrolled: 12-line block ×22, first 2 shown]
	s_or_b64 exec, exec, s[2:3]
	v_or_b32_e32 v26, 0x5c0, v0
	v_cmp_gt_u32_e32 vcc, s20, v26
	s_and_saveexec_b64 s[2:3], vcc
	s_cbranch_execz .LBB3568_51
; %bb.50:
	v_mov_b32_e32 v2, s1
	v_add_co_u32_e32 v26, vcc, s0, v1
	v_addc_co_u32_e32 v27, vcc, 0, v2, vcc
	flat_load_ushort v2, v[26:27] offset:2944
.LBB3568_51:
	s_or_b64 exec, exec, s[2:3]
	s_waitcnt vmcnt(0) lgkmcnt(0)
	ds_write_b16 v1, v3
	ds_write_b16 v1, v4 offset:128
	ds_write_b16 v1, v5 offset:256
	;; [unrolled: 1-line block ×23, first 2 shown]
	s_waitcnt lgkmcnt(0)
	; wave barrier
.LBB3568_52:
	v_mul_u32_u24_e32 v20, 24, v0
	v_lshlrev_b32_e32 v21, 1, v20
	s_waitcnt lgkmcnt(0)
	ds_read_b128 v[10:13], v21
	ds_read_b128 v[6:9], v21 offset:16
	ds_read_b128 v[2:5], v21 offset:32
	s_cmp_lg_u32 s6, 0
	v_mbcnt_lo_u32_b32 v32, -1, 0
	s_waitcnt lgkmcnt(2)
	v_lshrrev_b32_e32 v31, 16, v11
	v_lshrrev_b32_e32 v30, 16, v12
	;; [unrolled: 1-line block ×3, first 2 shown]
	s_waitcnt lgkmcnt(1)
	v_lshrrev_b32_e32 v28, 16, v6
	v_lshrrev_b32_e32 v27, 16, v7
	;; [unrolled: 1-line block ×4, first 2 shown]
	s_waitcnt lgkmcnt(0)
	v_lshrrev_b32_e32 v24, 16, v2
	v_lshrrev_b32_e32 v23, 16, v3
	;; [unrolled: 1-line block ×4, first 2 shown]
	v_cmp_eq_u32_e32 vcc, 63, v0
	s_waitcnt lgkmcnt(0)
	; wave barrier
	s_cbranch_scc0 .LBB3568_75
; %bb.53:
	v_max_u16_sdwa v14, v10, v10 dst_sel:DWORD dst_unused:UNUSED_PAD src0_sel:DWORD src1_sel:WORD_1
	v_max3_u16 v14, v14, v11, v31
	v_max3_u16 v14, v14, v12, v30
	;; [unrolled: 1-line block ×11, first 2 shown]
	v_mbcnt_hi_u32_b32 v15, -1, v32
	v_and_b32_e32 v17, 0xffff, v14
	v_and_b32_e32 v16, 15, v15
	v_cmp_eq_u32_e64 s[0:1], 0, v16
	v_mov_b32_dpp v17, v17 row_shr:1 row_mask:0xf bank_mask:0xf
	v_max_u16_e32 v17, v17, v14
	v_cndmask_b32_e64 v14, v17, v14, s[0:1]
	v_and_b32_e32 v17, 0xffff, v14
	v_cmp_lt_u32_e64 s[0:1], 1, v16
	s_nop 0
	v_mov_b32_dpp v17, v17 row_shr:2 row_mask:0xf bank_mask:0xf
	v_max_u16_e32 v17, v17, v14
	v_cndmask_b32_e64 v14, v14, v17, s[0:1]
	v_and_b32_e32 v17, 0xffff, v14
	v_cmp_lt_u32_e64 s[0:1], 3, v16
	s_nop 0
	;; [unrolled: 6-line block ×3, first 2 shown]
	v_mov_b32_dpp v17, v17 row_shr:8 row_mask:0xf bank_mask:0xf
	v_max_u16_e32 v17, v17, v14
	v_cndmask_b32_e64 v14, v14, v17, s[0:1]
	v_and_b32_e32 v16, 0xffff, v14
	v_and_b32_e32 v17, 16, v15
	v_cmp_eq_u32_e64 s[0:1], 0, v17
	v_mov_b32_dpp v16, v16 row_bcast:15 row_mask:0xf bank_mask:0xf
	v_max_u16_e32 v16, v16, v14
	v_cndmask_b32_e64 v14, v16, v14, s[0:1]
	v_and_b32_e32 v16, 0xffff, v14
	v_cmp_lt_u32_e64 s[0:1], 31, v15
	s_nop 0
	v_mov_b32_dpp v16, v16 row_bcast:31 row_mask:0xf bank_mask:0xf
	v_max_u16_e32 v16, v16, v14
	v_cndmask_b32_e64 v14, v14, v16, s[0:1]
	s_and_saveexec_b64 s[0:1], vcc
	s_cbranch_execz .LBB3568_55
; %bb.54:
	v_mov_b32_e32 v16, 0
	ds_write_b16 v16, v14
.LBB3568_55:
	s_or_b64 exec, exec, s[0:1]
	v_add_u32_e32 v16, -1, v15
	v_and_b32_e32 v17, 64, v15
	v_cmp_lt_i32_e32 vcc, v16, v17
	v_cndmask_b32_e32 v16, v16, v15, vcc
	v_and_b32_e32 v14, 0xffff, v14
	v_lshlrev_b32_e32 v16, 2, v16
	ds_bpermute_b32 v33, v16, v14
	v_cmp_gt_u32_e32 vcc, 64, v0
	s_waitcnt lgkmcnt(0)
	; wave barrier
	s_waitcnt lgkmcnt(0)
	s_and_saveexec_b64 s[18:19], vcc
	s_cbranch_execz .LBB3568_74
; %bb.56:
	v_mov_b32_e32 v17, 0
	ds_read_u16 v34, v17
	s_mov_b32 s9, 0
	v_cmp_eq_u32_e64 s[0:1], 0, v15
	s_and_saveexec_b64 s[2:3], s[0:1]
	s_cbranch_execz .LBB3568_58
; %bb.57:
	s_add_i32 s8, s6, 64
	s_lshl_b64 s[8:9], s[8:9], 2
	s_add_u32 s8, s16, s8
	s_waitcnt lgkmcnt(0)
	v_or_b32_e32 v14, 0x10000, v34
	s_addc_u32 s9, s17, s9
	global_store_dword v17, v14, s[8:9]
.LBB3568_58:
	s_or_b64 exec, exec, s[2:3]
	v_xad_u32 v14, v15, -1, s6
	v_add_u32_e32 v16, 64, v14
	v_lshlrev_b64 v[18:19], 2, v[16:17]
	v_mov_b32_e32 v16, s17
	v_add_co_u32_e32 v18, vcc, s16, v18
	v_addc_co_u32_e32 v19, vcc, v16, v19, vcc
	global_load_dword v47, v[18:19], off glc
	s_waitcnt vmcnt(0)
	v_lshrrev_b32_e32 v36, 16, v47
	v_cmp_eq_u16_sdwa s[8:9], v36, v17 src0_sel:BYTE_0 src1_sel:DWORD
	s_and_saveexec_b64 s[2:3], s[8:9]
	s_cbranch_execz .LBB3568_62
; %bb.59:
	s_mov_b64 s[8:9], 0
	v_mov_b32_e32 v16, 0
.LBB3568_60:                            ; =>This Inner Loop Header: Depth=1
	global_load_dword v47, v[18:19], off glc
	s_waitcnt vmcnt(0)
	v_lshrrev_b32_e32 v36, 16, v47
	v_cmp_ne_u16_sdwa s[10:11], v36, v16 src0_sel:BYTE_0 src1_sel:DWORD
	s_or_b64 s[8:9], s[10:11], s[8:9]
	s_andn2_b64 exec, exec, s[8:9]
	s_cbranch_execnz .LBB3568_60
; %bb.61:
	s_or_b64 exec, exec, s[8:9]
.LBB3568_62:
	s_or_b64 exec, exec, s[2:3]
	v_and_b32_e32 v37, 63, v15
	v_cmp_ne_u32_e32 vcc, 63, v37
	v_mov_b32_e32 v35, 2
	v_addc_co_u32_e32 v38, vcc, 0, v15, vcc
	v_cmp_eq_u16_sdwa s[2:3], v36, v35 src0_sel:BYTE_0 src1_sel:DWORD
	v_lshlrev_b64 v[16:17], v15, -1
	v_and_b32_e32 v39, 0xffff, v47
	v_lshlrev_b32_e32 v38, 2, v38
	v_and_b32_e32 v18, s3, v17
	ds_bpermute_b32 v40, v38, v39
	v_or_b32_e32 v18, 0x80000000, v18
	v_and_b32_e32 v19, s2, v16
	v_ffbl_b32_e32 v18, v18
	v_add_u32_e32 v18, 32, v18
	v_ffbl_b32_e32 v19, v19
	v_min_u32_e32 v18, v19, v18
	s_waitcnt lgkmcnt(0)
	v_max_u16_e32 v19, v40, v47
	v_cmp_lt_u32_e32 vcc, v37, v18
	v_cmp_gt_u32_e64 s[2:3], 62, v37
	v_cndmask_b32_e32 v41, v39, v19, vcc
	v_cndmask_b32_e64 v39, 0, 1, s[2:3]
	v_lshlrev_b32_e32 v39, 1, v39
	v_add_lshl_u32 v39, v39, v15, 2
	ds_bpermute_b32 v42, v39, v41
	v_cndmask_b32_e32 v19, v47, v19, vcc
	v_add_u32_e32 v40, 2, v37
	v_cmp_gt_u32_e64 s[2:3], v40, v18
	v_cmp_gt_u32_e64 s[8:9], 60, v37
	s_waitcnt lgkmcnt(0)
	v_max_u16_e32 v42, v42, v19
	v_cndmask_b32_e64 v43, v42, v41, s[2:3]
	v_cndmask_b32_e64 v41, 0, 1, s[8:9]
	v_lshlrev_b32_e32 v41, 2, v41
	v_add_lshl_u32 v41, v41, v15, 2
	ds_bpermute_b32 v44, v41, v43
	v_cndmask_b32_e64 v19, v42, v19, s[2:3]
	v_add_u32_e32 v42, 4, v37
	v_cmp_gt_u32_e64 s[2:3], v42, v18
	v_cmp_gt_u32_e64 s[8:9], 56, v37
	s_waitcnt lgkmcnt(0)
	v_max_u16_e32 v50, v44, v19
	v_cndmask_b32_e64 v45, v50, v43, s[2:3]
	v_cndmask_b32_e64 v43, 0, 1, s[8:9]
	v_lshlrev_b32_e32 v43, 3, v43
	v_add_lshl_u32 v43, v43, v15, 2
	ds_bpermute_b32 v46, v43, v45
	v_cndmask_b32_e64 v48, v50, v19, s[2:3]
	v_add_u32_e32 v44, 8, v37
	v_cmp_gt_u32_e64 s[8:9], v44, v18
	v_cmp_gt_u32_e64 s[10:11], 48, v37
	s_waitcnt lgkmcnt(0)
	v_max_u16_e32 v51, v46, v48
	v_cndmask_b32_e64 v49, v51, v45, s[8:9]
	v_cndmask_b32_e64 v45, 0, 1, s[10:11]
	v_lshlrev_b32_e32 v45, 4, v45
	v_add_lshl_u32 v45, v45, v15, 2
	ds_bpermute_b32 v52, v45, v49
	v_cmp_gt_u32_e64 s[12:13], 32, v37
	v_cndmask_b32_e64 v53, v51, v48, s[8:9]
	v_add_u32_e32 v46, 16, v37
	v_cndmask_b32_e64 v48, 0, 1, s[12:13]
	s_waitcnt lgkmcnt(0)
	v_max_u16_e32 v52, v52, v53
	v_cmp_gt_u32_e64 s[10:11], v46, v18
	v_lshlrev_b32_e32 v48, 5, v48
	v_cndmask_b32_e64 v49, v52, v49, s[10:11]
	v_add_lshl_u32 v48, v48, v15, 2
	ds_bpermute_b32 v15, v48, v49
	v_cndmask_b32_e32 v19, v47, v19, vcc
	v_cndmask_b32_e64 v19, v50, v19, s[2:3]
	v_add_u32_e32 v49, 32, v37
	v_cndmask_b32_e64 v53, v52, v53, s[10:11]
	v_cndmask_b32_e64 v19, v51, v19, s[8:9]
	s_waitcnt lgkmcnt(0)
	v_max_u16_e32 v15, v15, v53
	v_cndmask_b32_e64 v19, v52, v19, s[10:11]
	v_cmp_gt_u32_e32 vcc, v49, v18
	v_cndmask_b32_e32 v18, v15, v19, vcc
	v_mov_b32_e32 v15, 0
	s_branch .LBB3568_64
.LBB3568_63:                            ;   in Loop: Header=BB3568_64 Depth=1
	s_or_b64 exec, exec, s[2:3]
	v_cmp_eq_u16_sdwa s[2:3], v36, v35 src0_sel:BYTE_0 src1_sel:DWORD
	v_and_b32_e32 v51, 0xffff, v50
	v_and_b32_e32 v18, s3, v17
	ds_bpermute_b32 v52, v38, v51
	v_or_b32_e32 v18, 0x80000000, v18
	v_and_b32_e32 v19, s2, v16
	v_ffbl_b32_e32 v18, v18
	v_add_u32_e32 v18, 32, v18
	v_ffbl_b32_e32 v19, v19
	v_min_u32_e32 v18, v19, v18
	s_waitcnt lgkmcnt(0)
	v_max_u16_e32 v19, v52, v50
	v_cmp_lt_u32_e32 vcc, v37, v18
	v_cndmask_b32_e32 v51, v51, v19, vcc
	ds_bpermute_b32 v52, v39, v51
	v_cndmask_b32_e32 v19, v50, v19, vcc
	v_cmp_gt_u32_e64 s[2:3], v40, v18
	v_cmp_gt_u32_e64 s[8:9], v44, v18
	v_subrev_u32_e32 v14, 64, v14
	s_waitcnt lgkmcnt(0)
	v_max_u16_e32 v52, v52, v19
	v_cndmask_b32_e64 v51, v52, v51, s[2:3]
	ds_bpermute_b32 v53, v41, v51
	v_cndmask_b32_e64 v19, v52, v19, s[2:3]
	v_cmp_gt_u32_e64 s[2:3], v42, v18
	s_waitcnt lgkmcnt(0)
	v_max_u16_e32 v52, v53, v19
	v_cndmask_b32_e64 v51, v52, v51, s[2:3]
	ds_bpermute_b32 v53, v43, v51
	v_cndmask_b32_e64 v54, v52, v19, s[2:3]
	v_cndmask_b32_e32 v19, v50, v19, vcc
	v_cmp_gt_u32_e32 vcc, v46, v18
	v_cndmask_b32_e64 v19, v52, v19, s[2:3]
	s_waitcnt lgkmcnt(0)
	v_max_u16_e32 v53, v53, v54
	v_cndmask_b32_e64 v51, v53, v51, s[8:9]
	ds_bpermute_b32 v55, v45, v51
	v_cndmask_b32_e64 v50, v53, v54, s[8:9]
	v_cndmask_b32_e64 v19, v53, v19, s[8:9]
	s_waitcnt lgkmcnt(0)
	v_max_u16_e32 v54, v55, v50
	v_cndmask_b32_e32 v51, v54, v51, vcc
	ds_bpermute_b32 v51, v48, v51
	v_cndmask_b32_e32 v50, v54, v50, vcc
	v_cndmask_b32_e32 v19, v54, v19, vcc
	v_cmp_gt_u32_e32 vcc, v49, v18
	s_waitcnt lgkmcnt(0)
	v_max_u16_e32 v50, v51, v50
	v_cndmask_b32_e32 v18, v50, v19, vcc
	v_max_u16_e32 v18, v18, v47
.LBB3568_64:                            ; =>This Loop Header: Depth=1
                                        ;     Child Loop BB3568_67 Depth 2
	v_cmp_ne_u16_sdwa s[2:3], v36, v35 src0_sel:BYTE_0 src1_sel:DWORD
	v_cndmask_b32_e64 v19, 0, 1, s[2:3]
	;;#ASMSTART
	;;#ASMEND
	v_cmp_ne_u32_e32 vcc, 0, v19
	s_cmp_lg_u64 vcc, exec
	v_mov_b32_e32 v47, v18
	s_cbranch_scc1 .LBB3568_69
; %bb.65:                               ;   in Loop: Header=BB3568_64 Depth=1
	v_lshlrev_b64 v[18:19], 2, v[14:15]
	v_mov_b32_e32 v36, s17
	v_add_co_u32_e32 v18, vcc, s16, v18
	v_addc_co_u32_e32 v19, vcc, v36, v19, vcc
	global_load_dword v50, v[18:19], off glc
	s_waitcnt vmcnt(0)
	v_lshrrev_b32_e32 v36, 16, v50
	v_cmp_eq_u16_sdwa s[8:9], v36, v15 src0_sel:BYTE_0 src1_sel:DWORD
	s_and_saveexec_b64 s[2:3], s[8:9]
	s_cbranch_execz .LBB3568_63
; %bb.66:                               ;   in Loop: Header=BB3568_64 Depth=1
	s_mov_b64 s[8:9], 0
.LBB3568_67:                            ;   Parent Loop BB3568_64 Depth=1
                                        ; =>  This Inner Loop Header: Depth=2
	global_load_dword v50, v[18:19], off glc
	s_waitcnt vmcnt(0)
	v_lshrrev_b32_e32 v36, 16, v50
	v_cmp_ne_u16_sdwa s[10:11], v36, v15 src0_sel:BYTE_0 src1_sel:DWORD
	s_or_b64 s[8:9], s[10:11], s[8:9]
	s_andn2_b64 exec, exec, s[8:9]
	s_cbranch_execnz .LBB3568_67
; %bb.68:                               ;   in Loop: Header=BB3568_64 Depth=1
	s_or_b64 exec, exec, s[8:9]
	s_branch .LBB3568_63
.LBB3568_69:                            ;   in Loop: Header=BB3568_64 Depth=1
                                        ; implicit-def: $vgpr18
                                        ; implicit-def: $vgpr36
	s_cbranch_execz .LBB3568_64
; %bb.70:
	s_and_saveexec_b64 s[2:3], s[0:1]
	s_cbranch_execz .LBB3568_72
; %bb.71:
	s_add_i32 s0, s6, 64
	s_mov_b32 s1, 0
	s_lshl_b64 s[0:1], s[0:1], 2
	v_max_u16_e32 v14, v47, v34
	s_add_u32 s0, s16, s0
	v_or_b32_e32 v14, 0x20000, v14
	s_addc_u32 s1, s17, s1
	v_mov_b32_e32 v15, 0
	global_store_dword v15, v14, s[0:1]
.LBB3568_72:
	s_or_b64 exec, exec, s[2:3]
	v_cmp_eq_u32_e32 vcc, 0, v0
	s_and_b64 exec, exec, vcc
	s_cbranch_execz .LBB3568_74
; %bb.73:
	v_mov_b32_e32 v14, 0
	ds_write_b16 v14, v47
.LBB3568_74:
	s_or_b64 exec, exec, s[18:19]
	v_mov_b32_e32 v14, 0
	s_waitcnt lgkmcnt(0)
	; wave barrier
	s_waitcnt lgkmcnt(0)
	ds_read_u16 v14, v14
	v_max_u16_e32 v15, v33, v10
	v_cmp_eq_u32_e32 vcc, 0, v0
	v_cndmask_b32_e32 v15, v15, v10, vcc
	s_waitcnt lgkmcnt(0)
	v_max_u16_e32 v14, v14, v15
	v_max_u16_sdwa v15, v14, v10 dst_sel:DWORD dst_unused:UNUSED_PAD src0_sel:DWORD src1_sel:WORD_1
	v_max_u16_e32 v16, v15, v11
	v_max_u16_e32 v17, v16, v31
	;; [unrolled: 1-line block ×22, first 2 shown]
	s_load_dwordx8 s[4:11], s[4:5], 0x40
	s_branch .LBB3568_85
.LBB3568_75:
                                        ; implicit-def: $vgpr14
                                        ; implicit-def: $vgpr15
                                        ; implicit-def: $vgpr16
                                        ; implicit-def: $vgpr17
                                        ; implicit-def: $vgpr18
                                        ; implicit-def: $vgpr19
                                        ; implicit-def: $vgpr34
                                        ; implicit-def: $vgpr36
                                        ; implicit-def: $vgpr33
                                        ; implicit-def: $vgpr35
                                        ; implicit-def: $vgpr37
                                        ; implicit-def: $vgpr38
                                        ; implicit-def: $vgpr39
                                        ; implicit-def: $vgpr40
                                        ; implicit-def: $vgpr42
                                        ; implicit-def: $vgpr44
                                        ; implicit-def: $vgpr41
                                        ; implicit-def: $vgpr43
                                        ; implicit-def: $vgpr45
                                        ; implicit-def: $vgpr46
                                        ; implicit-def: $vgpr47
                                        ; implicit-def: $vgpr48
                                        ; implicit-def: $vgpr49
                                        ; implicit-def: $vgpr50
	s_load_dwordx8 s[4:11], s[4:5], 0x40
	s_cbranch_execz .LBB3568_85
; %bb.76:
	s_waitcnt lgkmcnt(0)
	s_cmp_lg_u64 s[8:9], 0
	s_cselect_b64 s[2:3], -1, 0
	v_cmp_eq_u32_e64 s[0:1], 0, v0
	v_cmp_ne_u32_e32 vcc, 0, v0
	s_and_b64 s[2:3], s[0:1], s[2:3]
	v_mov_b32_e32 v14, v10
	s_and_saveexec_b64 s[0:1], s[2:3]
	s_cbranch_execz .LBB3568_78
; %bb.77:
	v_mov_b32_e32 v14, 0
	global_load_ushort v14, v14, s[4:5]
	s_waitcnt vmcnt(0)
	v_max_u16_e32 v14, v14, v10
.LBB3568_78:
	s_or_b64 exec, exec, s[0:1]
	v_max_u16_sdwa v15, v14, v10 dst_sel:DWORD dst_unused:UNUSED_PAD src0_sel:DWORD src1_sel:WORD_1
	v_max_u16_e32 v16, v15, v11
	v_max_u16_e32 v17, v16, v31
	;; [unrolled: 1-line block ×22, first 2 shown]
	v_mbcnt_hi_u32_b32 v32, -1, v32
	v_and_b32_e32 v51, 15, v32
	v_mov_b32_dpp v52, v50 row_shr:1 row_mask:0xf bank_mask:0xf
	v_max_u16_e32 v52, v52, v50
	v_cmp_eq_u32_e64 s[0:1], 0, v51
	v_cndmask_b32_e64 v52, v52, v50, s[0:1]
	v_and_b32_e32 v53, 0xffff, v52
	v_cmp_lt_u32_e64 s[0:1], 1, v51
	s_nop 0
	v_mov_b32_dpp v53, v53 row_shr:2 row_mask:0xf bank_mask:0xf
	v_max_u16_e32 v53, v53, v52
	v_cndmask_b32_e64 v52, v52, v53, s[0:1]
	v_and_b32_e32 v53, 0xffff, v52
	v_cmp_lt_u32_e64 s[0:1], 3, v51
	s_nop 0
	v_mov_b32_dpp v53, v53 row_shr:4 row_mask:0xf bank_mask:0xf
	v_max_u16_e32 v53, v53, v52
	;; [unrolled: 6-line block ×3, first 2 shown]
	v_cndmask_b32_e64 v51, v52, v53, s[0:1]
	v_and_b32_e32 v52, 0xffff, v51
	v_and_b32_e32 v53, 16, v32
	v_cmp_eq_u32_e64 s[0:1], 0, v53
	v_mov_b32_dpp v52, v52 row_bcast:15 row_mask:0xf bank_mask:0xf
	v_max_u16_e32 v52, v52, v51
	v_cndmask_b32_e64 v51, v52, v51, s[0:1]
	v_and_b32_e32 v52, 0xffff, v51
	v_cmp_lt_u32_e64 s[0:1], 31, v32
	s_nop 0
	v_mov_b32_dpp v52, v52 row_bcast:31 row_mask:0xf bank_mask:0xf
	v_max_u16_e32 v52, v52, v51
	v_cndmask_b32_e64 v51, v51, v52, s[0:1]
	v_cmp_eq_u32_e64 s[0:1], 63, v0
	s_and_saveexec_b64 s[2:3], s[0:1]
	s_cbranch_execz .LBB3568_80
; %bb.79:
	v_mov_b32_e32 v52, 0
	ds_write_b16 v52, v51
.LBB3568_80:
	s_or_b64 exec, exec, s[2:3]
	v_add_u32_e32 v52, -1, v32
	v_and_b32_e32 v53, 64, v32
	v_cmp_lt_i32_e64 s[2:3], v52, v53
	v_cndmask_b32_e64 v32, v52, v32, s[2:3]
	v_and_b32_e32 v51, 0xffff, v51
	v_lshlrev_b32_e32 v32, 2, v32
	ds_bpermute_b32 v32, v32, v51
	s_waitcnt lgkmcnt(0)
	; wave barrier
	s_waitcnt lgkmcnt(0)
	s_and_saveexec_b64 s[2:3], vcc
	s_cbranch_execz .LBB3568_82
; %bb.81:
	v_max_u16_e32 v14, v32, v14
	v_max_u16_sdwa v15, v14, v10 dst_sel:DWORD dst_unused:UNUSED_PAD src0_sel:DWORD src1_sel:WORD_1
	v_max_u16_e32 v16, v15, v11
	v_max_u16_e32 v17, v16, v31
	;; [unrolled: 1-line block ×22, first 2 shown]
	;;#ASMSTART
	;;#ASMEND
.LBB3568_82:
	s_or_b64 exec, exec, s[2:3]
	s_and_saveexec_b64 s[2:3], s[0:1]
	s_cbranch_execz .LBB3568_84
; %bb.83:
	s_mov_b32 s0, 0x20000
	v_mov_b32_e32 v1, 0
	v_or_b32_sdwa v2, v50, s0 dst_sel:DWORD dst_unused:UNUSED_PAD src0_sel:WORD_0 src1_sel:DWORD
	global_store_dword v1, v2, s[16:17] offset:256
.LBB3568_84:
	s_or_b64 exec, exec, s[2:3]
.LBB3568_85:
	s_mov_b32 s0, 0x5040100
	v_perm_b32 v5, v36, v34, s0
	v_perm_b32 v4, v19, v18, s0
	;; [unrolled: 1-line block ×4, first 2 shown]
	s_waitcnt lgkmcnt(0)
	; wave barrier
	s_waitcnt lgkmcnt(0)
	ds_write_b128 v21, v[2:5]
	v_perm_b32 v5, v44, v42, s0
	v_perm_b32 v4, v40, v39, s0
	;; [unrolled: 1-line block ×4, first 2 shown]
	ds_write_b128 v21, v[2:5] offset:16
	v_perm_b32 v5, v50, v49, s0
	v_perm_b32 v4, v48, v47, s0
	;; [unrolled: 1-line block ×4, first 2 shown]
	s_mov_b64 s[0:1], -1
	s_and_b64 vcc, exec, s[14:15]
	ds_write_b128 v21, v[2:5] offset:32
	s_waitcnt lgkmcnt(0)
	s_cbranch_vccz .LBB3568_87
; %bb.86:
	; wave barrier
	s_mov_b64 s[0:1], 0
.LBB3568_87:
	s_andn2_b64 vcc, exec, s[0:1]
	s_cbranch_vccnz .LBB3568_96
; %bb.88:
	v_cmp_lt_u64_e64 s[0:1], s[10:11], 2
	s_and_b64 vcc, exec, s[0:1]
	; wave barrier
	s_cbranch_vccnz .LBB3568_96
; %bb.89:
	s_add_u32 s0, s20, -1
	s_addc_u32 s1, s21, -1
	s_add_u32 s2, 0, 0xaaaa0000
	s_addc_u32 s3, 0, 42
	s_add_i32 s3, s3, 0xaaaaa80
	s_mul_hi_u32 s9, s2, 0xffffffe8
	s_sub_i32 s9, s9, s2
	s_mul_i32 s10, s3, 0xffffffe8
	s_mul_i32 s4, s2, 0xffffffe8
	s_add_i32 s9, s9, s10
	s_mul_hi_u32 s5, s3, s4
	s_mul_i32 s8, s3, s4
	s_mul_i32 s11, s2, s9
	s_mul_hi_u32 s4, s2, s4
	s_mul_hi_u32 s10, s2, s9
	s_add_u32 s4, s4, s11
	s_addc_u32 s10, 0, s10
	s_add_u32 s4, s4, s8
	s_mul_hi_u32 s11, s3, s9
	s_addc_u32 s4, s10, s5
	s_addc_u32 s5, s11, 0
	s_mul_i32 s8, s3, s9
	s_add_u32 s4, s4, s8
	v_mov_b32_e32 v2, s4
	s_addc_u32 s5, 0, s5
	v_add_co_u32_e32 v2, vcc, s2, v2
	s_cmp_lg_u64 vcc, 0
	s_addc_u32 s2, s3, s5
	v_readfirstlane_b32 s5, v2
	s_mul_i32 s4, s0, s2
	s_mul_hi_u32 s8, s0, s5
	s_mul_hi_u32 s3, s0, s2
	s_add_u32 s4, s8, s4
	s_addc_u32 s3, 0, s3
	s_mul_hi_u32 s9, s1, s5
	s_mul_i32 s5, s1, s5
	s_add_u32 s4, s4, s5
	s_mul_hi_u32 s8, s1, s2
	s_addc_u32 s3, s3, s9
	s_addc_u32 s4, s8, 0
	s_mul_i32 s2, s1, s2
	s_add_u32 s2, s3, s2
	s_addc_u32 s3, 0, s4
	s_add_u32 s4, s2, 1
	s_addc_u32 s5, s3, 0
	s_add_u32 s8, s2, 2
	s_mul_i32 s10, s3, 24
	s_mul_hi_u32 s11, s2, 24
	s_addc_u32 s9, s3, 0
	s_add_i32 s11, s11, s10
	s_mul_i32 s10, s2, 24
	v_mov_b32_e32 v2, s10
	v_sub_co_u32_e32 v2, vcc, s0, v2
	s_cmp_lg_u64 vcc, 0
	s_subb_u32 s10, s1, s11
	v_subrev_co_u32_e32 v3, vcc, 24, v2
	s_cmp_lg_u64 vcc, 0
	s_subb_u32 s11, s10, 0
	v_readfirstlane_b32 s12, v3
	s_cmp_gt_u32 s12, 23
	s_cselect_b32 s12, -1, 0
	s_cmp_eq_u32 s11, 0
	s_cselect_b32 s11, s12, -1
	s_cmp_lg_u32 s11, 0
	s_cselect_b32 s4, s8, s4
	v_readfirstlane_b32 s8, v2
	s_cselect_b32 s5, s9, s5
	s_cmp_gt_u32 s8, 23
	s_cselect_b32 s8, -1, 0
	s_cmp_eq_u32 s10, 0
	s_cselect_b32 s8, s8, -1
	s_cmp_lg_u32 s8, 0
	v_mov_b32_e32 v1, 0
	s_cselect_b32 s3, s5, s3
	s_cselect_b32 s2, s4, s2
	v_cmp_eq_u64_e32 vcc, s[2:3], v[0:1]
	s_and_saveexec_b64 s[2:3], vcc
	s_cbranch_execz .LBB3568_96
; %bb.90:
	s_movk_i32 s2, 0xffd2
	v_mad_i32_i24 v2, v0, s2, v21
	v_mul_hi_u32_u24_e32 v1, 24, v0
	v_mov_b32_e32 v3, s1
	v_sub_co_u32_e32 v0, vcc, s0, v20
	v_subb_co_u32_e32 v1, vcc, v3, v1, vcc
	v_cmp_lt_i64_e32 vcc, 11, v[0:1]
	s_mov_b64 s[0:1], 0
	s_mov_b64 s[10:11], 0
	;; [unrolled: 1-line block ×4, first 2 shown]
                                        ; implicit-def: $vgpr3
                                        ; implicit-def: $vgpr4
                                        ; implicit-def: $vgpr5
	s_and_saveexec_b64 s[2:3], vcc
	s_xor_b64 s[2:3], exec, s[2:3]
	s_cbranch_execnz .LBB3568_97
; %bb.91:
	s_andn2_saveexec_b64 s[2:3], s[2:3]
	s_cbranch_execnz .LBB3568_142
.LBB3568_92:
	s_or_b64 exec, exec, s[2:3]
	s_and_saveexec_b64 s[2:3], s[10:11]
	s_cbranch_execnz .LBB3568_159
.LBB3568_93:
	s_or_b64 exec, exec, s[2:3]
	s_and_saveexec_b64 s[2:3], s[8:9]
	s_cbranch_execnz .LBB3568_160
.LBB3568_94:
	s_or_b64 exec, exec, s[2:3]
	s_and_saveexec_b64 s[2:3], s[4:5]
	s_xor_b64 s[2:3], exec, s[2:3]
	s_cbranch_execnz .LBB3568_161
.LBB3568_95:
	s_or_b64 exec, exec, s[2:3]
	s_and_b64 exec, exec, s[0:1]
	s_cbranch_execnz .LBB3568_162
.LBB3568_96:
	s_endpgm
.LBB3568_97:
	v_cmp_lt_i64_e32 vcc, 17, v[0:1]
                                        ; implicit-def: $vgpr3
                                        ; implicit-def: $vgpr4
                                        ; implicit-def: $vgpr5
	s_and_saveexec_b64 s[12:13], vcc
	s_xor_b64 s[12:13], exec, s[12:13]
	s_cbranch_execz .LBB3568_119
; %bb.98:
	v_cmp_lt_i64_e32 vcc, 20, v[0:1]
                                        ; implicit-def: $vgpr3
                                        ; implicit-def: $vgpr4
	s_and_saveexec_b64 s[14:15], vcc
	s_xor_b64 s[14:15], exec, s[14:15]
	s_cbranch_execz .LBB3568_108
; %bb.99:
	v_cmp_lt_i64_e32 vcc, 21, v[0:1]
	s_mov_b64 s[16:17], 0
                                        ; implicit-def: $vgpr3
	s_and_saveexec_b64 s[4:5], vcc
	s_xor_b64 s[4:5], exec, s[4:5]
	s_cbranch_execz .LBB3568_105
; %bb.100:
	v_cmp_lt_i64_e32 vcc, 22, v[0:1]
	s_and_saveexec_b64 s[16:17], vcc
	s_xor_b64 s[16:17], exec, s[16:17]
	s_cbranch_execz .LBB3568_102
; %bb.101:
	ds_read_u16 v3, v2 offset:2944
	v_mov_b32_e32 v4, 0
	s_waitcnt lgkmcnt(0)
	global_store_short v4, v3, s[6:7]
.LBB3568_102:
	s_or_saveexec_b64 s[16:17], s[16:17]
	s_mov_b64 s[18:19], 0
                                        ; implicit-def: $vgpr3
	s_xor_b64 exec, exec, s[16:17]
	s_cbranch_execz .LBB3568_104
; %bb.103:
	ds_read_u16 v3, v2 offset:2816
	s_mov_b64 s[18:19], exec
.LBB3568_104:
	s_or_b64 exec, exec, s[16:17]
	s_and_b64 s[16:17], s[18:19], exec
.LBB3568_105:
	s_or_saveexec_b64 s[4:5], s[4:5]
                                        ; implicit-def: $vgpr4
	s_xor_b64 exec, exec, s[4:5]
	s_cbranch_execz .LBB3568_107
; %bb.106:
	ds_read_u16 v4, v2 offset:2688
	s_mov_b64 s[8:9], exec
                                        ; implicit-def: $vgpr3
.LBB3568_107:
	s_or_b64 exec, exec, s[4:5]
	s_and_b64 s[4:5], s[16:17], exec
	s_and_b64 s[8:9], s[8:9], exec
.LBB3568_108:
	s_or_saveexec_b64 s[14:15], s[14:15]
                                        ; implicit-def: $vgpr5
	s_xor_b64 exec, exec, s[14:15]
	s_cbranch_execz .LBB3568_118
; %bb.109:
	v_cmp_lt_i64_e32 vcc, 18, v[0:1]
	s_mov_b64 s[16:17], 0
                                        ; implicit-def: $vgpr5
	s_and_saveexec_b64 s[10:11], vcc
	s_xor_b64 s[10:11], exec, s[10:11]
	s_cbranch_execz .LBB3568_115
; %bb.110:
	v_cmp_lt_i64_e32 vcc, 19, v[0:1]
                                        ; implicit-def: $vgpr5
	s_and_saveexec_b64 s[18:19], vcc
	s_xor_b64 s[18:19], exec, s[18:19]
	s_cbranch_execz .LBB3568_112
; %bb.111:
	ds_read_u16 v5, v2 offset:2560
	s_mov_b64 s[16:17], exec
.LBB3568_112:
	s_andn2_saveexec_b64 s[18:19], s[18:19]
	s_cbranch_execz .LBB3568_114
; %bb.113:
	s_waitcnt lgkmcnt(0)
	ds_read_u16 v3, v2 offset:2432
	v_mov_b32_e32 v4, 0
                                        ; implicit-def: $vgpr5
	s_waitcnt lgkmcnt(0)
	global_store_short v4, v3, s[6:7]
.LBB3568_114:
	s_or_b64 exec, exec, s[18:19]
	s_and_b64 s[16:17], s[16:17], exec
.LBB3568_115:
	s_andn2_saveexec_b64 s[10:11], s[10:11]
	s_cbranch_execz .LBB3568_117
; %bb.116:
	s_waitcnt lgkmcnt(0)
	ds_read_u16 v3, v2 offset:2304
	v_mov_b32_e32 v4, 0
                                        ; implicit-def: $vgpr5
	s_waitcnt lgkmcnt(0)
	global_store_short v4, v3, s[6:7]
.LBB3568_117:
	s_or_b64 exec, exec, s[10:11]
	s_and_b64 s[10:11], s[16:17], exec
                                        ; implicit-def: $vgpr3
                                        ; implicit-def: $vgpr4
.LBB3568_118:
	s_or_b64 exec, exec, s[14:15]
	s_and_b64 s[4:5], s[4:5], exec
	s_and_b64 s[8:9], s[8:9], exec
	;; [unrolled: 1-line block ×3, first 2 shown]
.LBB3568_119:
	s_andn2_saveexec_b64 s[12:13], s[12:13]
	s_cbranch_execz .LBB3568_141
; %bb.120:
	v_cmp_lt_i64_e32 vcc, 14, v[0:1]
	s_mov_b64 s[14:15], s[4:5]
                                        ; implicit-def: $vgpr3
	s_and_saveexec_b64 s[16:17], vcc
	s_xor_b64 s[16:17], exec, s[16:17]
	s_cbranch_execz .LBB3568_130
; %bb.121:
	v_cmp_lt_i64_e32 vcc, 15, v[0:1]
	s_and_saveexec_b64 s[14:15], vcc
	s_xor_b64 s[14:15], exec, s[14:15]
	s_cbranch_execz .LBB3568_127
; %bb.122:
	v_cmp_lt_i64_e32 vcc, 16, v[0:1]
	s_and_saveexec_b64 s[18:19], vcc
	s_xor_b64 s[18:19], exec, s[18:19]
	s_cbranch_execz .LBB3568_124
; %bb.123:
	s_waitcnt lgkmcnt(0)
	ds_read_u16 v3, v2 offset:2176
	v_mov_b32_e32 v4, 0
	s_waitcnt lgkmcnt(0)
	global_store_short v4, v3, s[6:7]
.LBB3568_124:
	s_andn2_saveexec_b64 s[18:19], s[18:19]
	s_cbranch_execz .LBB3568_126
; %bb.125:
	s_waitcnt lgkmcnt(0)
	ds_read_u16 v3, v2 offset:2048
	v_mov_b32_e32 v4, 0
	s_waitcnt lgkmcnt(0)
	global_store_short v4, v3, s[6:7]
.LBB3568_126:
	s_or_b64 exec, exec, s[18:19]
.LBB3568_127:
	s_or_saveexec_b64 s[14:15], s[14:15]
	s_mov_b64 s[18:19], s[4:5]
                                        ; implicit-def: $vgpr3
	s_xor_b64 exec, exec, s[14:15]
	s_cbranch_execz .LBB3568_129
; %bb.128:
	s_waitcnt lgkmcnt(0)
	ds_read_u16 v3, v2 offset:1920
	s_or_b64 s[18:19], s[4:5], exec
.LBB3568_129:
	s_or_b64 exec, exec, s[14:15]
	s_andn2_b64 s[14:15], s[4:5], exec
	s_and_b64 s[18:19], s[18:19], exec
	s_or_b64 s[14:15], s[14:15], s[18:19]
.LBB3568_130:
	s_or_saveexec_b64 s[16:17], s[16:17]
	s_mov_b64 s[18:19], s[8:9]
                                        ; implicit-def: $vgpr4
	s_xor_b64 exec, exec, s[16:17]
	s_cbranch_execz .LBB3568_140
; %bb.131:
	v_cmp_lt_i64_e32 vcc, 12, v[0:1]
	s_mov_b64 s[20:21], s[8:9]
	s_mov_b64 s[22:23], s[14:15]
                                        ; implicit-def: $vgpr3
                                        ; implicit-def: $vgpr4
	s_and_saveexec_b64 s[18:19], vcc
	s_xor_b64 s[18:19], exec, s[18:19]
	s_cbranch_execz .LBB3568_137
; %bb.132:
	v_cmp_lt_i64_e32 vcc, 13, v[0:1]
	s_mov_b64 s[20:21], s[14:15]
                                        ; implicit-def: $vgpr3
	s_and_saveexec_b64 s[22:23], vcc
	s_xor_b64 s[22:23], exec, s[22:23]
	s_cbranch_execz .LBB3568_134
; %bb.133:
	s_waitcnt lgkmcnt(0)
	ds_read_u16 v3, v2 offset:1792
	s_or_b64 s[20:21], s[14:15], exec
.LBB3568_134:
	s_or_saveexec_b64 s[22:23], s[22:23]
	s_mov_b64 s[24:25], s[8:9]
                                        ; implicit-def: $vgpr4
	s_xor_b64 exec, exec, s[22:23]
	s_cbranch_execz .LBB3568_136
; %bb.135:
	s_waitcnt lgkmcnt(0)
	ds_read_u16 v4, v2 offset:1664
	s_or_b64 s[24:25], s[8:9], exec
                                        ; implicit-def: $vgpr3
.LBB3568_136:
	s_or_b64 exec, exec, s[22:23]
	s_andn2_b64 s[22:23], s[14:15], exec
	s_and_b64 s[20:21], s[20:21], exec
	s_or_b64 s[22:23], s[22:23], s[20:21]
	s_andn2_b64 s[20:21], s[8:9], exec
	s_and_b64 s[24:25], s[24:25], exec
	s_or_b64 s[20:21], s[20:21], s[24:25]
.LBB3568_137:
	s_andn2_saveexec_b64 s[18:19], s[18:19]
	s_cbranch_execz .LBB3568_139
; %bb.138:
	s_waitcnt lgkmcnt(0)
	ds_read_u16 v4, v2 offset:1536
	s_or_b64 s[20:21], s[20:21], exec
                                        ; implicit-def: $vgpr3
.LBB3568_139:
	s_or_b64 exec, exec, s[18:19]
	s_andn2_b64 s[14:15], s[14:15], exec
	s_and_b64 s[18:19], s[22:23], exec
	s_or_b64 s[14:15], s[14:15], s[18:19]
	s_andn2_b64 s[18:19], s[8:9], exec
	s_and_b64 s[20:21], s[20:21], exec
	s_or_b64 s[18:19], s[18:19], s[20:21]
.LBB3568_140:
	s_or_b64 exec, exec, s[16:17]
	s_andn2_b64 s[4:5], s[4:5], exec
	s_and_b64 s[14:15], s[14:15], exec
	s_or_b64 s[4:5], s[4:5], s[14:15]
	s_andn2_b64 s[8:9], s[8:9], exec
	s_and_b64 s[14:15], s[18:19], exec
	s_or_b64 s[8:9], s[8:9], s[14:15]
                                        ; implicit-def: $vgpr5
.LBB3568_141:
	s_or_b64 exec, exec, s[12:13]
	s_and_b64 s[4:5], s[4:5], exec
	s_and_b64 s[8:9], s[8:9], exec
	;; [unrolled: 1-line block ×3, first 2 shown]
	s_andn2_saveexec_b64 s[2:3], s[2:3]
	s_cbranch_execz .LBB3568_92
.LBB3568_142:
	v_cmp_lt_i64_e32 vcc, 5, v[0:1]
	s_mov_b64 s[14:15], -1
	s_mov_b64 s[12:13], s[10:11]
	s_mov_b64 s[16:17], s[8:9]
	;; [unrolled: 1-line block ×3, first 2 shown]
                                        ; implicit-def: $vgpr3
                                        ; implicit-def: $vgpr4
                                        ; implicit-def: $vgpr5
	s_and_saveexec_b64 s[0:1], vcc
	s_cbranch_execz .LBB3568_158
; %bb.143:
	v_cmp_lt_i64_e32 vcc, 8, v[0:1]
	s_mov_b64 s[12:13], s[10:11]
                                        ; implicit-def: $vgpr5
	s_and_saveexec_b64 s[14:15], vcc
	s_xor_b64 s[14:15], exec, s[14:15]
	s_cbranch_execz .LBB3568_153
; %bb.144:
	v_cmp_lt_i64_e32 vcc, 9, v[0:1]
                                        ; implicit-def: $vgpr5
	s_and_saveexec_b64 s[12:13], vcc
	s_xor_b64 s[12:13], exec, s[12:13]
	s_cbranch_execz .LBB3568_150
; %bb.145:
	v_cmp_lt_i64_e32 vcc, 10, v[0:1]
                                        ; implicit-def: $vgpr5
	s_and_saveexec_b64 s[16:17], vcc
	s_xor_b64 s[16:17], exec, s[16:17]
	s_cbranch_execz .LBB3568_147
; %bb.146:
	s_waitcnt lgkmcnt(0)
	ds_read_u16 v5, v2 offset:1408
.LBB3568_147:
	s_andn2_saveexec_b64 s[16:17], s[16:17]
	s_cbranch_execz .LBB3568_149
; %bb.148:
	s_waitcnt lgkmcnt(0)
	ds_read_u16 v5, v2 offset:1280
.LBB3568_149:
	s_or_b64 exec, exec, s[16:17]
.LBB3568_150:
	s_andn2_saveexec_b64 s[12:13], s[12:13]
	s_cbranch_execz .LBB3568_152
; %bb.151:
	s_waitcnt lgkmcnt(0)
	ds_read_u16 v5, v2 offset:1152
.LBB3568_152:
	s_or_b64 exec, exec, s[12:13]
	s_or_b64 s[12:13], s[10:11], exec
.LBB3568_153:
	s_or_saveexec_b64 s[14:15], s[14:15]
	s_mov_b64 s[16:17], s[8:9]
	s_mov_b64 s[20:21], s[4:5]
                                        ; implicit-def: $vgpr3
                                        ; implicit-def: $vgpr4
	s_xor_b64 exec, exec, s[14:15]
	s_cbranch_execz .LBB3568_157
; %bb.154:
	s_waitcnt lgkmcnt(0)
	ds_read_u16 v3, v2 offset:768
	v_cmp_lt_i64_e32 vcc, 6, v[0:1]
	s_mov_b64 s[20:21], -1
	s_mov_b64 s[18:19], s[12:13]
	s_mov_b64 s[16:17], s[8:9]
                                        ; implicit-def: $vgpr4
                                        ; implicit-def: $vgpr5
	s_and_saveexec_b64 s[22:23], vcc
	s_cbranch_execz .LBB3568_156
; %bb.155:
	ds_read_u16 v4, v2 offset:896
	ds_read_u16 v5, v2 offset:1024
	v_cmp_lt_i64_e32 vcc, 7, v[0:1]
	s_andn2_b64 s[18:19], s[12:13], exec
	s_and_b64 s[24:25], vcc, exec
	s_xor_b64 s[20:21], exec, -1
	s_or_b64 s[16:17], s[8:9], exec
	s_or_b64 s[18:19], s[18:19], s[24:25]
                                        ; implicit-def: $vgpr3
.LBB3568_156:
	s_or_b64 exec, exec, s[22:23]
	s_andn2_b64 s[22:23], s[4:5], exec
	s_and_b64 s[20:21], s[20:21], exec
	s_or_b64 s[20:21], s[22:23], s[20:21]
	s_andn2_b64 s[22:23], s[8:9], exec
	s_and_b64 s[16:17], s[16:17], exec
	s_andn2_b64 s[12:13], s[12:13], exec
	s_and_b64 s[18:19], s[18:19], exec
	s_or_b64 s[16:17], s[22:23], s[16:17]
	s_or_b64 s[12:13], s[12:13], s[18:19]
.LBB3568_157:
	s_or_b64 exec, exec, s[14:15]
	s_andn2_b64 s[18:19], s[4:5], exec
	s_and_b64 s[20:21], s[20:21], exec
	s_or_b64 s[18:19], s[18:19], s[20:21]
	s_andn2_b64 s[20:21], s[8:9], exec
	s_and_b64 s[16:17], s[16:17], exec
	s_or_b64 s[16:17], s[20:21], s[16:17]
	s_andn2_b64 s[20:21], s[10:11], exec
	s_and_b64 s[12:13], s[12:13], exec
	s_xor_b64 s[14:15], exec, -1
	s_or_b64 s[12:13], s[20:21], s[12:13]
.LBB3568_158:
	s_or_b64 exec, exec, s[0:1]
	s_and_b64 s[0:1], s[14:15], exec
	s_andn2_b64 s[4:5], s[4:5], exec
	s_and_b64 s[14:15], s[18:19], exec
	s_or_b64 s[4:5], s[4:5], s[14:15]
	s_andn2_b64 s[8:9], s[8:9], exec
	s_and_b64 s[14:15], s[16:17], exec
	s_andn2_b64 s[10:11], s[10:11], exec
	s_and_b64 s[12:13], s[12:13], exec
	s_or_b64 s[8:9], s[8:9], s[14:15]
	s_or_b64 s[10:11], s[10:11], s[12:13]
	s_or_b64 exec, exec, s[2:3]
	s_and_saveexec_b64 s[2:3], s[10:11]
	s_cbranch_execz .LBB3568_93
.LBB3568_159:
	s_waitcnt lgkmcnt(0)
	v_mov_b32_e32 v3, 0
	s_andn2_b64 s[8:9], s[8:9], exec
	global_store_short v3, v5, s[6:7]
                                        ; implicit-def: $vgpr3
                                        ; implicit-def: $vgpr4
	s_or_b64 exec, exec, s[2:3]
	s_and_saveexec_b64 s[2:3], s[8:9]
	s_cbranch_execz .LBB3568_94
.LBB3568_160:
	s_waitcnt lgkmcnt(0)
	v_mov_b32_e32 v3, 0
	global_store_short v3, v4, s[6:7]
                                        ; implicit-def: $vgpr3
	s_or_b64 exec, exec, s[2:3]
	s_and_saveexec_b64 s[2:3], s[4:5]
	s_xor_b64 s[2:3], exec, s[2:3]
	s_cbranch_execz .LBB3568_95
.LBB3568_161:
	s_waitcnt lgkmcnt(0)
	v_mov_b32_e32 v4, 0
	global_store_short v4, v3, s[6:7]
	s_or_b64 exec, exec, s[2:3]
	s_and_b64 exec, exec, s[0:1]
	s_cbranch_execz .LBB3568_96
.LBB3568_162:
	v_cmp_lt_i64_e32 vcc, 2, v[0:1]
	s_and_saveexec_b64 s[0:1], vcc
	s_xor_b64 s[0:1], exec, s[0:1]
	s_cbranch_execz .LBB3568_172
; %bb.163:
	v_cmp_lt_i64_e32 vcc, 3, v[0:1]
	s_and_saveexec_b64 s[2:3], vcc
	s_xor_b64 s[2:3], exec, s[2:3]
	s_cbranch_execz .LBB3568_169
; %bb.164:
	;; [unrolled: 5-line block ×3, first 2 shown]
	ds_read_u16 v0, v2 offset:640
	v_mov_b32_e32 v1, 0
                                        ; implicit-def: $vgpr2
	s_waitcnt lgkmcnt(0)
	global_store_short v1, v0, s[6:7]
.LBB3568_166:
	s_andn2_saveexec_b64 s[4:5], s[4:5]
	s_cbranch_execz .LBB3568_168
; %bb.167:
	ds_read_u16 v0, v2 offset:512
	v_mov_b32_e32 v1, 0
	s_waitcnt lgkmcnt(0)
	global_store_short v1, v0, s[6:7]
.LBB3568_168:
	s_or_b64 exec, exec, s[4:5]
                                        ; implicit-def: $vgpr2
.LBB3568_169:
	s_andn2_saveexec_b64 s[2:3], s[2:3]
	s_cbranch_execz .LBB3568_171
; %bb.170:
	ds_read_u16 v0, v2 offset:384
	v_mov_b32_e32 v1, 0
	s_waitcnt lgkmcnt(0)
	global_store_short v1, v0, s[6:7]
.LBB3568_171:
	s_or_b64 exec, exec, s[2:3]
                                        ; implicit-def: $vgpr0_vgpr1
                                        ; implicit-def: $vgpr2
.LBB3568_172:
	s_andn2_saveexec_b64 s[0:1], s[0:1]
	s_cbranch_execz .LBB3568_96
; %bb.173:
	v_cmp_lt_i64_e32 vcc, 1, v[0:1]
	s_and_saveexec_b64 s[0:1], vcc
	s_xor_b64 s[0:1], exec, s[0:1]
	s_cbranch_execz .LBB3568_175
; %bb.174:
	ds_read_u16 v0, v2 offset:256
	v_mov_b32_e32 v1, 0
                                        ; implicit-def: $vgpr2
	s_waitcnt lgkmcnt(0)
	global_store_short v1, v0, s[6:7]
                                        ; implicit-def: $vgpr0_vgpr1
.LBB3568_175:
	s_andn2_saveexec_b64 s[0:1], s[0:1]
	s_cbranch_execz .LBB3568_96
; %bb.176:
	v_cmp_ne_u64_e32 vcc, 1, v[0:1]
	s_and_saveexec_b64 s[0:1], vcc
	s_xor_b64 s[0:1], exec, s[0:1]
	s_cbranch_execz .LBB3568_178
; %bb.177:
	ds_read_u16 v0, v2
	v_mov_b32_e32 v1, 0
                                        ; implicit-def: $vgpr2
	s_waitcnt lgkmcnt(0)
	global_store_short v1, v0, s[6:7]
.LBB3568_178:
	s_andn2_saveexec_b64 s[0:1], s[0:1]
	s_cbranch_execz .LBB3568_96
; %bb.179:
	ds_read_u16 v0, v2 offset:128
	v_mov_b32_e32 v1, 0
	s_waitcnt lgkmcnt(0)
	global_store_short v1, v0, s[6:7]
	s_endpgm
	.section	.rodata,"a",@progbits
	.p2align	6, 0x0
	.amdhsa_kernel _ZN7rocprim17ROCPRIM_400000_NS6detail17trampoline_kernelINS0_14default_configENS1_20scan_config_selectorItEEZZNS1_9scan_implILNS1_25lookback_scan_determinismE0ELb0ELb0ES3_N6thrust23THRUST_200600_302600_NS6detail15normal_iteratorINS9_10device_ptrItEEEENS9_16discard_iteratorINS9_11use_defaultEEEt11max_functorItEtEEDaPvRmT3_T4_T5_mT6_P12ihipStream_tbENKUlT_T0_E_clISt17integral_constantIbLb0EESX_EEDaSS_ST_EUlSS_E_NS1_11comp_targetILNS1_3genE4ELNS1_11target_archE910ELNS1_3gpuE8ELNS1_3repE0EEENS1_30default_config_static_selectorELNS0_4arch9wavefront6targetE1EEEvT1_
		.amdhsa_group_segment_fixed_size 3072
		.amdhsa_private_segment_fixed_size 0
		.amdhsa_kernarg_size 104
		.amdhsa_user_sgpr_count 6
		.amdhsa_user_sgpr_private_segment_buffer 1
		.amdhsa_user_sgpr_dispatch_ptr 0
		.amdhsa_user_sgpr_queue_ptr 0
		.amdhsa_user_sgpr_kernarg_segment_ptr 1
		.amdhsa_user_sgpr_dispatch_id 0
		.amdhsa_user_sgpr_flat_scratch_init 0
		.amdhsa_user_sgpr_kernarg_preload_length 0
		.amdhsa_user_sgpr_kernarg_preload_offset 0
		.amdhsa_user_sgpr_private_segment_size 0
		.amdhsa_uses_dynamic_stack 0
		.amdhsa_system_sgpr_private_segment_wavefront_offset 0
		.amdhsa_system_sgpr_workgroup_id_x 1
		.amdhsa_system_sgpr_workgroup_id_y 0
		.amdhsa_system_sgpr_workgroup_id_z 0
		.amdhsa_system_sgpr_workgroup_info 0
		.amdhsa_system_vgpr_workitem_id 0
		.amdhsa_next_free_vgpr 56
		.amdhsa_next_free_sgpr 26
		.amdhsa_accum_offset 56
		.amdhsa_reserve_vcc 1
		.amdhsa_reserve_flat_scratch 0
		.amdhsa_float_round_mode_32 0
		.amdhsa_float_round_mode_16_64 0
		.amdhsa_float_denorm_mode_32 3
		.amdhsa_float_denorm_mode_16_64 3
		.amdhsa_dx10_clamp 1
		.amdhsa_ieee_mode 1
		.amdhsa_fp16_overflow 0
		.amdhsa_tg_split 0
		.amdhsa_exception_fp_ieee_invalid_op 0
		.amdhsa_exception_fp_denorm_src 0
		.amdhsa_exception_fp_ieee_div_zero 0
		.amdhsa_exception_fp_ieee_overflow 0
		.amdhsa_exception_fp_ieee_underflow 0
		.amdhsa_exception_fp_ieee_inexact 0
		.amdhsa_exception_int_div_zero 0
	.end_amdhsa_kernel
	.section	.text._ZN7rocprim17ROCPRIM_400000_NS6detail17trampoline_kernelINS0_14default_configENS1_20scan_config_selectorItEEZZNS1_9scan_implILNS1_25lookback_scan_determinismE0ELb0ELb0ES3_N6thrust23THRUST_200600_302600_NS6detail15normal_iteratorINS9_10device_ptrItEEEENS9_16discard_iteratorINS9_11use_defaultEEEt11max_functorItEtEEDaPvRmT3_T4_T5_mT6_P12ihipStream_tbENKUlT_T0_E_clISt17integral_constantIbLb0EESX_EEDaSS_ST_EUlSS_E_NS1_11comp_targetILNS1_3genE4ELNS1_11target_archE910ELNS1_3gpuE8ELNS1_3repE0EEENS1_30default_config_static_selectorELNS0_4arch9wavefront6targetE1EEEvT1_,"axG",@progbits,_ZN7rocprim17ROCPRIM_400000_NS6detail17trampoline_kernelINS0_14default_configENS1_20scan_config_selectorItEEZZNS1_9scan_implILNS1_25lookback_scan_determinismE0ELb0ELb0ES3_N6thrust23THRUST_200600_302600_NS6detail15normal_iteratorINS9_10device_ptrItEEEENS9_16discard_iteratorINS9_11use_defaultEEEt11max_functorItEtEEDaPvRmT3_T4_T5_mT6_P12ihipStream_tbENKUlT_T0_E_clISt17integral_constantIbLb0EESX_EEDaSS_ST_EUlSS_E_NS1_11comp_targetILNS1_3genE4ELNS1_11target_archE910ELNS1_3gpuE8ELNS1_3repE0EEENS1_30default_config_static_selectorELNS0_4arch9wavefront6targetE1EEEvT1_,comdat
.Lfunc_end3568:
	.size	_ZN7rocprim17ROCPRIM_400000_NS6detail17trampoline_kernelINS0_14default_configENS1_20scan_config_selectorItEEZZNS1_9scan_implILNS1_25lookback_scan_determinismE0ELb0ELb0ES3_N6thrust23THRUST_200600_302600_NS6detail15normal_iteratorINS9_10device_ptrItEEEENS9_16discard_iteratorINS9_11use_defaultEEEt11max_functorItEtEEDaPvRmT3_T4_T5_mT6_P12ihipStream_tbENKUlT_T0_E_clISt17integral_constantIbLb0EESX_EEDaSS_ST_EUlSS_E_NS1_11comp_targetILNS1_3genE4ELNS1_11target_archE910ELNS1_3gpuE8ELNS1_3repE0EEENS1_30default_config_static_selectorELNS0_4arch9wavefront6targetE1EEEvT1_, .Lfunc_end3568-_ZN7rocprim17ROCPRIM_400000_NS6detail17trampoline_kernelINS0_14default_configENS1_20scan_config_selectorItEEZZNS1_9scan_implILNS1_25lookback_scan_determinismE0ELb0ELb0ES3_N6thrust23THRUST_200600_302600_NS6detail15normal_iteratorINS9_10device_ptrItEEEENS9_16discard_iteratorINS9_11use_defaultEEEt11max_functorItEtEEDaPvRmT3_T4_T5_mT6_P12ihipStream_tbENKUlT_T0_E_clISt17integral_constantIbLb0EESX_EEDaSS_ST_EUlSS_E_NS1_11comp_targetILNS1_3genE4ELNS1_11target_archE910ELNS1_3gpuE8ELNS1_3repE0EEENS1_30default_config_static_selectorELNS0_4arch9wavefront6targetE1EEEvT1_
                                        ; -- End function
	.section	.AMDGPU.csdata,"",@progbits
; Kernel info:
; codeLenInByte = 6528
; NumSgprs: 30
; NumVgprs: 56
; NumAgprs: 0
; TotalNumVgprs: 56
; ScratchSize: 0
; MemoryBound: 0
; FloatMode: 240
; IeeeMode: 1
; LDSByteSize: 3072 bytes/workgroup (compile time only)
; SGPRBlocks: 3
; VGPRBlocks: 6
; NumSGPRsForWavesPerEU: 30
; NumVGPRsForWavesPerEU: 56
; AccumOffset: 56
; Occupancy: 6
; WaveLimiterHint : 1
; COMPUTE_PGM_RSRC2:SCRATCH_EN: 0
; COMPUTE_PGM_RSRC2:USER_SGPR: 6
; COMPUTE_PGM_RSRC2:TRAP_HANDLER: 0
; COMPUTE_PGM_RSRC2:TGID_X_EN: 1
; COMPUTE_PGM_RSRC2:TGID_Y_EN: 0
; COMPUTE_PGM_RSRC2:TGID_Z_EN: 0
; COMPUTE_PGM_RSRC2:TIDIG_COMP_CNT: 0
; COMPUTE_PGM_RSRC3_GFX90A:ACCUM_OFFSET: 13
; COMPUTE_PGM_RSRC3_GFX90A:TG_SPLIT: 0
	.section	.text._ZN7rocprim17ROCPRIM_400000_NS6detail17trampoline_kernelINS0_14default_configENS1_20scan_config_selectorItEEZZNS1_9scan_implILNS1_25lookback_scan_determinismE0ELb0ELb0ES3_N6thrust23THRUST_200600_302600_NS6detail15normal_iteratorINS9_10device_ptrItEEEENS9_16discard_iteratorINS9_11use_defaultEEEt11max_functorItEtEEDaPvRmT3_T4_T5_mT6_P12ihipStream_tbENKUlT_T0_E_clISt17integral_constantIbLb0EESX_EEDaSS_ST_EUlSS_E_NS1_11comp_targetILNS1_3genE3ELNS1_11target_archE908ELNS1_3gpuE7ELNS1_3repE0EEENS1_30default_config_static_selectorELNS0_4arch9wavefront6targetE1EEEvT1_,"axG",@progbits,_ZN7rocprim17ROCPRIM_400000_NS6detail17trampoline_kernelINS0_14default_configENS1_20scan_config_selectorItEEZZNS1_9scan_implILNS1_25lookback_scan_determinismE0ELb0ELb0ES3_N6thrust23THRUST_200600_302600_NS6detail15normal_iteratorINS9_10device_ptrItEEEENS9_16discard_iteratorINS9_11use_defaultEEEt11max_functorItEtEEDaPvRmT3_T4_T5_mT6_P12ihipStream_tbENKUlT_T0_E_clISt17integral_constantIbLb0EESX_EEDaSS_ST_EUlSS_E_NS1_11comp_targetILNS1_3genE3ELNS1_11target_archE908ELNS1_3gpuE7ELNS1_3repE0EEENS1_30default_config_static_selectorELNS0_4arch9wavefront6targetE1EEEvT1_,comdat
	.protected	_ZN7rocprim17ROCPRIM_400000_NS6detail17trampoline_kernelINS0_14default_configENS1_20scan_config_selectorItEEZZNS1_9scan_implILNS1_25lookback_scan_determinismE0ELb0ELb0ES3_N6thrust23THRUST_200600_302600_NS6detail15normal_iteratorINS9_10device_ptrItEEEENS9_16discard_iteratorINS9_11use_defaultEEEt11max_functorItEtEEDaPvRmT3_T4_T5_mT6_P12ihipStream_tbENKUlT_T0_E_clISt17integral_constantIbLb0EESX_EEDaSS_ST_EUlSS_E_NS1_11comp_targetILNS1_3genE3ELNS1_11target_archE908ELNS1_3gpuE7ELNS1_3repE0EEENS1_30default_config_static_selectorELNS0_4arch9wavefront6targetE1EEEvT1_ ; -- Begin function _ZN7rocprim17ROCPRIM_400000_NS6detail17trampoline_kernelINS0_14default_configENS1_20scan_config_selectorItEEZZNS1_9scan_implILNS1_25lookback_scan_determinismE0ELb0ELb0ES3_N6thrust23THRUST_200600_302600_NS6detail15normal_iteratorINS9_10device_ptrItEEEENS9_16discard_iteratorINS9_11use_defaultEEEt11max_functorItEtEEDaPvRmT3_T4_T5_mT6_P12ihipStream_tbENKUlT_T0_E_clISt17integral_constantIbLb0EESX_EEDaSS_ST_EUlSS_E_NS1_11comp_targetILNS1_3genE3ELNS1_11target_archE908ELNS1_3gpuE7ELNS1_3repE0EEENS1_30default_config_static_selectorELNS0_4arch9wavefront6targetE1EEEvT1_
	.globl	_ZN7rocprim17ROCPRIM_400000_NS6detail17trampoline_kernelINS0_14default_configENS1_20scan_config_selectorItEEZZNS1_9scan_implILNS1_25lookback_scan_determinismE0ELb0ELb0ES3_N6thrust23THRUST_200600_302600_NS6detail15normal_iteratorINS9_10device_ptrItEEEENS9_16discard_iteratorINS9_11use_defaultEEEt11max_functorItEtEEDaPvRmT3_T4_T5_mT6_P12ihipStream_tbENKUlT_T0_E_clISt17integral_constantIbLb0EESX_EEDaSS_ST_EUlSS_E_NS1_11comp_targetILNS1_3genE3ELNS1_11target_archE908ELNS1_3gpuE7ELNS1_3repE0EEENS1_30default_config_static_selectorELNS0_4arch9wavefront6targetE1EEEvT1_
	.p2align	8
	.type	_ZN7rocprim17ROCPRIM_400000_NS6detail17trampoline_kernelINS0_14default_configENS1_20scan_config_selectorItEEZZNS1_9scan_implILNS1_25lookback_scan_determinismE0ELb0ELb0ES3_N6thrust23THRUST_200600_302600_NS6detail15normal_iteratorINS9_10device_ptrItEEEENS9_16discard_iteratorINS9_11use_defaultEEEt11max_functorItEtEEDaPvRmT3_T4_T5_mT6_P12ihipStream_tbENKUlT_T0_E_clISt17integral_constantIbLb0EESX_EEDaSS_ST_EUlSS_E_NS1_11comp_targetILNS1_3genE3ELNS1_11target_archE908ELNS1_3gpuE7ELNS1_3repE0EEENS1_30default_config_static_selectorELNS0_4arch9wavefront6targetE1EEEvT1_,@function
_ZN7rocprim17ROCPRIM_400000_NS6detail17trampoline_kernelINS0_14default_configENS1_20scan_config_selectorItEEZZNS1_9scan_implILNS1_25lookback_scan_determinismE0ELb0ELb0ES3_N6thrust23THRUST_200600_302600_NS6detail15normal_iteratorINS9_10device_ptrItEEEENS9_16discard_iteratorINS9_11use_defaultEEEt11max_functorItEtEEDaPvRmT3_T4_T5_mT6_P12ihipStream_tbENKUlT_T0_E_clISt17integral_constantIbLb0EESX_EEDaSS_ST_EUlSS_E_NS1_11comp_targetILNS1_3genE3ELNS1_11target_archE908ELNS1_3gpuE7ELNS1_3repE0EEENS1_30default_config_static_selectorELNS0_4arch9wavefront6targetE1EEEvT1_: ; @_ZN7rocprim17ROCPRIM_400000_NS6detail17trampoline_kernelINS0_14default_configENS1_20scan_config_selectorItEEZZNS1_9scan_implILNS1_25lookback_scan_determinismE0ELb0ELb0ES3_N6thrust23THRUST_200600_302600_NS6detail15normal_iteratorINS9_10device_ptrItEEEENS9_16discard_iteratorINS9_11use_defaultEEEt11max_functorItEtEEDaPvRmT3_T4_T5_mT6_P12ihipStream_tbENKUlT_T0_E_clISt17integral_constantIbLb0EESX_EEDaSS_ST_EUlSS_E_NS1_11comp_targetILNS1_3genE3ELNS1_11target_archE908ELNS1_3gpuE7ELNS1_3repE0EEENS1_30default_config_static_selectorELNS0_4arch9wavefront6targetE1EEEvT1_
; %bb.0:
	.section	.rodata,"a",@progbits
	.p2align	6, 0x0
	.amdhsa_kernel _ZN7rocprim17ROCPRIM_400000_NS6detail17trampoline_kernelINS0_14default_configENS1_20scan_config_selectorItEEZZNS1_9scan_implILNS1_25lookback_scan_determinismE0ELb0ELb0ES3_N6thrust23THRUST_200600_302600_NS6detail15normal_iteratorINS9_10device_ptrItEEEENS9_16discard_iteratorINS9_11use_defaultEEEt11max_functorItEtEEDaPvRmT3_T4_T5_mT6_P12ihipStream_tbENKUlT_T0_E_clISt17integral_constantIbLb0EESX_EEDaSS_ST_EUlSS_E_NS1_11comp_targetILNS1_3genE3ELNS1_11target_archE908ELNS1_3gpuE7ELNS1_3repE0EEENS1_30default_config_static_selectorELNS0_4arch9wavefront6targetE1EEEvT1_
		.amdhsa_group_segment_fixed_size 0
		.amdhsa_private_segment_fixed_size 0
		.amdhsa_kernarg_size 104
		.amdhsa_user_sgpr_count 6
		.amdhsa_user_sgpr_private_segment_buffer 1
		.amdhsa_user_sgpr_dispatch_ptr 0
		.amdhsa_user_sgpr_queue_ptr 0
		.amdhsa_user_sgpr_kernarg_segment_ptr 1
		.amdhsa_user_sgpr_dispatch_id 0
		.amdhsa_user_sgpr_flat_scratch_init 0
		.amdhsa_user_sgpr_kernarg_preload_length 0
		.amdhsa_user_sgpr_kernarg_preload_offset 0
		.amdhsa_user_sgpr_private_segment_size 0
		.amdhsa_uses_dynamic_stack 0
		.amdhsa_system_sgpr_private_segment_wavefront_offset 0
		.amdhsa_system_sgpr_workgroup_id_x 1
		.amdhsa_system_sgpr_workgroup_id_y 0
		.amdhsa_system_sgpr_workgroup_id_z 0
		.amdhsa_system_sgpr_workgroup_info 0
		.amdhsa_system_vgpr_workitem_id 0
		.amdhsa_next_free_vgpr 1
		.amdhsa_next_free_sgpr 0
		.amdhsa_accum_offset 4
		.amdhsa_reserve_vcc 0
		.amdhsa_reserve_flat_scratch 0
		.amdhsa_float_round_mode_32 0
		.amdhsa_float_round_mode_16_64 0
		.amdhsa_float_denorm_mode_32 3
		.amdhsa_float_denorm_mode_16_64 3
		.amdhsa_dx10_clamp 1
		.amdhsa_ieee_mode 1
		.amdhsa_fp16_overflow 0
		.amdhsa_tg_split 0
		.amdhsa_exception_fp_ieee_invalid_op 0
		.amdhsa_exception_fp_denorm_src 0
		.amdhsa_exception_fp_ieee_div_zero 0
		.amdhsa_exception_fp_ieee_overflow 0
		.amdhsa_exception_fp_ieee_underflow 0
		.amdhsa_exception_fp_ieee_inexact 0
		.amdhsa_exception_int_div_zero 0
	.end_amdhsa_kernel
	.section	.text._ZN7rocprim17ROCPRIM_400000_NS6detail17trampoline_kernelINS0_14default_configENS1_20scan_config_selectorItEEZZNS1_9scan_implILNS1_25lookback_scan_determinismE0ELb0ELb0ES3_N6thrust23THRUST_200600_302600_NS6detail15normal_iteratorINS9_10device_ptrItEEEENS9_16discard_iteratorINS9_11use_defaultEEEt11max_functorItEtEEDaPvRmT3_T4_T5_mT6_P12ihipStream_tbENKUlT_T0_E_clISt17integral_constantIbLb0EESX_EEDaSS_ST_EUlSS_E_NS1_11comp_targetILNS1_3genE3ELNS1_11target_archE908ELNS1_3gpuE7ELNS1_3repE0EEENS1_30default_config_static_selectorELNS0_4arch9wavefront6targetE1EEEvT1_,"axG",@progbits,_ZN7rocprim17ROCPRIM_400000_NS6detail17trampoline_kernelINS0_14default_configENS1_20scan_config_selectorItEEZZNS1_9scan_implILNS1_25lookback_scan_determinismE0ELb0ELb0ES3_N6thrust23THRUST_200600_302600_NS6detail15normal_iteratorINS9_10device_ptrItEEEENS9_16discard_iteratorINS9_11use_defaultEEEt11max_functorItEtEEDaPvRmT3_T4_T5_mT6_P12ihipStream_tbENKUlT_T0_E_clISt17integral_constantIbLb0EESX_EEDaSS_ST_EUlSS_E_NS1_11comp_targetILNS1_3genE3ELNS1_11target_archE908ELNS1_3gpuE7ELNS1_3repE0EEENS1_30default_config_static_selectorELNS0_4arch9wavefront6targetE1EEEvT1_,comdat
.Lfunc_end3569:
	.size	_ZN7rocprim17ROCPRIM_400000_NS6detail17trampoline_kernelINS0_14default_configENS1_20scan_config_selectorItEEZZNS1_9scan_implILNS1_25lookback_scan_determinismE0ELb0ELb0ES3_N6thrust23THRUST_200600_302600_NS6detail15normal_iteratorINS9_10device_ptrItEEEENS9_16discard_iteratorINS9_11use_defaultEEEt11max_functorItEtEEDaPvRmT3_T4_T5_mT6_P12ihipStream_tbENKUlT_T0_E_clISt17integral_constantIbLb0EESX_EEDaSS_ST_EUlSS_E_NS1_11comp_targetILNS1_3genE3ELNS1_11target_archE908ELNS1_3gpuE7ELNS1_3repE0EEENS1_30default_config_static_selectorELNS0_4arch9wavefront6targetE1EEEvT1_, .Lfunc_end3569-_ZN7rocprim17ROCPRIM_400000_NS6detail17trampoline_kernelINS0_14default_configENS1_20scan_config_selectorItEEZZNS1_9scan_implILNS1_25lookback_scan_determinismE0ELb0ELb0ES3_N6thrust23THRUST_200600_302600_NS6detail15normal_iteratorINS9_10device_ptrItEEEENS9_16discard_iteratorINS9_11use_defaultEEEt11max_functorItEtEEDaPvRmT3_T4_T5_mT6_P12ihipStream_tbENKUlT_T0_E_clISt17integral_constantIbLb0EESX_EEDaSS_ST_EUlSS_E_NS1_11comp_targetILNS1_3genE3ELNS1_11target_archE908ELNS1_3gpuE7ELNS1_3repE0EEENS1_30default_config_static_selectorELNS0_4arch9wavefront6targetE1EEEvT1_
                                        ; -- End function
	.section	.AMDGPU.csdata,"",@progbits
; Kernel info:
; codeLenInByte = 0
; NumSgprs: 4
; NumVgprs: 0
; NumAgprs: 0
; TotalNumVgprs: 0
; ScratchSize: 0
; MemoryBound: 0
; FloatMode: 240
; IeeeMode: 1
; LDSByteSize: 0 bytes/workgroup (compile time only)
; SGPRBlocks: 0
; VGPRBlocks: 0
; NumSGPRsForWavesPerEU: 4
; NumVGPRsForWavesPerEU: 1
; AccumOffset: 4
; Occupancy: 8
; WaveLimiterHint : 0
; COMPUTE_PGM_RSRC2:SCRATCH_EN: 0
; COMPUTE_PGM_RSRC2:USER_SGPR: 6
; COMPUTE_PGM_RSRC2:TRAP_HANDLER: 0
; COMPUTE_PGM_RSRC2:TGID_X_EN: 1
; COMPUTE_PGM_RSRC2:TGID_Y_EN: 0
; COMPUTE_PGM_RSRC2:TGID_Z_EN: 0
; COMPUTE_PGM_RSRC2:TIDIG_COMP_CNT: 0
; COMPUTE_PGM_RSRC3_GFX90A:ACCUM_OFFSET: 0
; COMPUTE_PGM_RSRC3_GFX90A:TG_SPLIT: 0
	.section	.text._ZN7rocprim17ROCPRIM_400000_NS6detail17trampoline_kernelINS0_14default_configENS1_20scan_config_selectorItEEZZNS1_9scan_implILNS1_25lookback_scan_determinismE0ELb0ELb0ES3_N6thrust23THRUST_200600_302600_NS6detail15normal_iteratorINS9_10device_ptrItEEEENS9_16discard_iteratorINS9_11use_defaultEEEt11max_functorItEtEEDaPvRmT3_T4_T5_mT6_P12ihipStream_tbENKUlT_T0_E_clISt17integral_constantIbLb0EESX_EEDaSS_ST_EUlSS_E_NS1_11comp_targetILNS1_3genE2ELNS1_11target_archE906ELNS1_3gpuE6ELNS1_3repE0EEENS1_30default_config_static_selectorELNS0_4arch9wavefront6targetE1EEEvT1_,"axG",@progbits,_ZN7rocprim17ROCPRIM_400000_NS6detail17trampoline_kernelINS0_14default_configENS1_20scan_config_selectorItEEZZNS1_9scan_implILNS1_25lookback_scan_determinismE0ELb0ELb0ES3_N6thrust23THRUST_200600_302600_NS6detail15normal_iteratorINS9_10device_ptrItEEEENS9_16discard_iteratorINS9_11use_defaultEEEt11max_functorItEtEEDaPvRmT3_T4_T5_mT6_P12ihipStream_tbENKUlT_T0_E_clISt17integral_constantIbLb0EESX_EEDaSS_ST_EUlSS_E_NS1_11comp_targetILNS1_3genE2ELNS1_11target_archE906ELNS1_3gpuE6ELNS1_3repE0EEENS1_30default_config_static_selectorELNS0_4arch9wavefront6targetE1EEEvT1_,comdat
	.protected	_ZN7rocprim17ROCPRIM_400000_NS6detail17trampoline_kernelINS0_14default_configENS1_20scan_config_selectorItEEZZNS1_9scan_implILNS1_25lookback_scan_determinismE0ELb0ELb0ES3_N6thrust23THRUST_200600_302600_NS6detail15normal_iteratorINS9_10device_ptrItEEEENS9_16discard_iteratorINS9_11use_defaultEEEt11max_functorItEtEEDaPvRmT3_T4_T5_mT6_P12ihipStream_tbENKUlT_T0_E_clISt17integral_constantIbLb0EESX_EEDaSS_ST_EUlSS_E_NS1_11comp_targetILNS1_3genE2ELNS1_11target_archE906ELNS1_3gpuE6ELNS1_3repE0EEENS1_30default_config_static_selectorELNS0_4arch9wavefront6targetE1EEEvT1_ ; -- Begin function _ZN7rocprim17ROCPRIM_400000_NS6detail17trampoline_kernelINS0_14default_configENS1_20scan_config_selectorItEEZZNS1_9scan_implILNS1_25lookback_scan_determinismE0ELb0ELb0ES3_N6thrust23THRUST_200600_302600_NS6detail15normal_iteratorINS9_10device_ptrItEEEENS9_16discard_iteratorINS9_11use_defaultEEEt11max_functorItEtEEDaPvRmT3_T4_T5_mT6_P12ihipStream_tbENKUlT_T0_E_clISt17integral_constantIbLb0EESX_EEDaSS_ST_EUlSS_E_NS1_11comp_targetILNS1_3genE2ELNS1_11target_archE906ELNS1_3gpuE6ELNS1_3repE0EEENS1_30default_config_static_selectorELNS0_4arch9wavefront6targetE1EEEvT1_
	.globl	_ZN7rocprim17ROCPRIM_400000_NS6detail17trampoline_kernelINS0_14default_configENS1_20scan_config_selectorItEEZZNS1_9scan_implILNS1_25lookback_scan_determinismE0ELb0ELb0ES3_N6thrust23THRUST_200600_302600_NS6detail15normal_iteratorINS9_10device_ptrItEEEENS9_16discard_iteratorINS9_11use_defaultEEEt11max_functorItEtEEDaPvRmT3_T4_T5_mT6_P12ihipStream_tbENKUlT_T0_E_clISt17integral_constantIbLb0EESX_EEDaSS_ST_EUlSS_E_NS1_11comp_targetILNS1_3genE2ELNS1_11target_archE906ELNS1_3gpuE6ELNS1_3repE0EEENS1_30default_config_static_selectorELNS0_4arch9wavefront6targetE1EEEvT1_
	.p2align	8
	.type	_ZN7rocprim17ROCPRIM_400000_NS6detail17trampoline_kernelINS0_14default_configENS1_20scan_config_selectorItEEZZNS1_9scan_implILNS1_25lookback_scan_determinismE0ELb0ELb0ES3_N6thrust23THRUST_200600_302600_NS6detail15normal_iteratorINS9_10device_ptrItEEEENS9_16discard_iteratorINS9_11use_defaultEEEt11max_functorItEtEEDaPvRmT3_T4_T5_mT6_P12ihipStream_tbENKUlT_T0_E_clISt17integral_constantIbLb0EESX_EEDaSS_ST_EUlSS_E_NS1_11comp_targetILNS1_3genE2ELNS1_11target_archE906ELNS1_3gpuE6ELNS1_3repE0EEENS1_30default_config_static_selectorELNS0_4arch9wavefront6targetE1EEEvT1_,@function
_ZN7rocprim17ROCPRIM_400000_NS6detail17trampoline_kernelINS0_14default_configENS1_20scan_config_selectorItEEZZNS1_9scan_implILNS1_25lookback_scan_determinismE0ELb0ELb0ES3_N6thrust23THRUST_200600_302600_NS6detail15normal_iteratorINS9_10device_ptrItEEEENS9_16discard_iteratorINS9_11use_defaultEEEt11max_functorItEtEEDaPvRmT3_T4_T5_mT6_P12ihipStream_tbENKUlT_T0_E_clISt17integral_constantIbLb0EESX_EEDaSS_ST_EUlSS_E_NS1_11comp_targetILNS1_3genE2ELNS1_11target_archE906ELNS1_3gpuE6ELNS1_3repE0EEENS1_30default_config_static_selectorELNS0_4arch9wavefront6targetE1EEEvT1_: ; @_ZN7rocprim17ROCPRIM_400000_NS6detail17trampoline_kernelINS0_14default_configENS1_20scan_config_selectorItEEZZNS1_9scan_implILNS1_25lookback_scan_determinismE0ELb0ELb0ES3_N6thrust23THRUST_200600_302600_NS6detail15normal_iteratorINS9_10device_ptrItEEEENS9_16discard_iteratorINS9_11use_defaultEEEt11max_functorItEtEEDaPvRmT3_T4_T5_mT6_P12ihipStream_tbENKUlT_T0_E_clISt17integral_constantIbLb0EESX_EEDaSS_ST_EUlSS_E_NS1_11comp_targetILNS1_3genE2ELNS1_11target_archE906ELNS1_3gpuE6ELNS1_3repE0EEENS1_30default_config_static_selectorELNS0_4arch9wavefront6targetE1EEEvT1_
; %bb.0:
	.section	.rodata,"a",@progbits
	.p2align	6, 0x0
	.amdhsa_kernel _ZN7rocprim17ROCPRIM_400000_NS6detail17trampoline_kernelINS0_14default_configENS1_20scan_config_selectorItEEZZNS1_9scan_implILNS1_25lookback_scan_determinismE0ELb0ELb0ES3_N6thrust23THRUST_200600_302600_NS6detail15normal_iteratorINS9_10device_ptrItEEEENS9_16discard_iteratorINS9_11use_defaultEEEt11max_functorItEtEEDaPvRmT3_T4_T5_mT6_P12ihipStream_tbENKUlT_T0_E_clISt17integral_constantIbLb0EESX_EEDaSS_ST_EUlSS_E_NS1_11comp_targetILNS1_3genE2ELNS1_11target_archE906ELNS1_3gpuE6ELNS1_3repE0EEENS1_30default_config_static_selectorELNS0_4arch9wavefront6targetE1EEEvT1_
		.amdhsa_group_segment_fixed_size 0
		.amdhsa_private_segment_fixed_size 0
		.amdhsa_kernarg_size 104
		.amdhsa_user_sgpr_count 6
		.amdhsa_user_sgpr_private_segment_buffer 1
		.amdhsa_user_sgpr_dispatch_ptr 0
		.amdhsa_user_sgpr_queue_ptr 0
		.amdhsa_user_sgpr_kernarg_segment_ptr 1
		.amdhsa_user_sgpr_dispatch_id 0
		.amdhsa_user_sgpr_flat_scratch_init 0
		.amdhsa_user_sgpr_kernarg_preload_length 0
		.amdhsa_user_sgpr_kernarg_preload_offset 0
		.amdhsa_user_sgpr_private_segment_size 0
		.amdhsa_uses_dynamic_stack 0
		.amdhsa_system_sgpr_private_segment_wavefront_offset 0
		.amdhsa_system_sgpr_workgroup_id_x 1
		.amdhsa_system_sgpr_workgroup_id_y 0
		.amdhsa_system_sgpr_workgroup_id_z 0
		.amdhsa_system_sgpr_workgroup_info 0
		.amdhsa_system_vgpr_workitem_id 0
		.amdhsa_next_free_vgpr 1
		.amdhsa_next_free_sgpr 0
		.amdhsa_accum_offset 4
		.amdhsa_reserve_vcc 0
		.amdhsa_reserve_flat_scratch 0
		.amdhsa_float_round_mode_32 0
		.amdhsa_float_round_mode_16_64 0
		.amdhsa_float_denorm_mode_32 3
		.amdhsa_float_denorm_mode_16_64 3
		.amdhsa_dx10_clamp 1
		.amdhsa_ieee_mode 1
		.amdhsa_fp16_overflow 0
		.amdhsa_tg_split 0
		.amdhsa_exception_fp_ieee_invalid_op 0
		.amdhsa_exception_fp_denorm_src 0
		.amdhsa_exception_fp_ieee_div_zero 0
		.amdhsa_exception_fp_ieee_overflow 0
		.amdhsa_exception_fp_ieee_underflow 0
		.amdhsa_exception_fp_ieee_inexact 0
		.amdhsa_exception_int_div_zero 0
	.end_amdhsa_kernel
	.section	.text._ZN7rocprim17ROCPRIM_400000_NS6detail17trampoline_kernelINS0_14default_configENS1_20scan_config_selectorItEEZZNS1_9scan_implILNS1_25lookback_scan_determinismE0ELb0ELb0ES3_N6thrust23THRUST_200600_302600_NS6detail15normal_iteratorINS9_10device_ptrItEEEENS9_16discard_iteratorINS9_11use_defaultEEEt11max_functorItEtEEDaPvRmT3_T4_T5_mT6_P12ihipStream_tbENKUlT_T0_E_clISt17integral_constantIbLb0EESX_EEDaSS_ST_EUlSS_E_NS1_11comp_targetILNS1_3genE2ELNS1_11target_archE906ELNS1_3gpuE6ELNS1_3repE0EEENS1_30default_config_static_selectorELNS0_4arch9wavefront6targetE1EEEvT1_,"axG",@progbits,_ZN7rocprim17ROCPRIM_400000_NS6detail17trampoline_kernelINS0_14default_configENS1_20scan_config_selectorItEEZZNS1_9scan_implILNS1_25lookback_scan_determinismE0ELb0ELb0ES3_N6thrust23THRUST_200600_302600_NS6detail15normal_iteratorINS9_10device_ptrItEEEENS9_16discard_iteratorINS9_11use_defaultEEEt11max_functorItEtEEDaPvRmT3_T4_T5_mT6_P12ihipStream_tbENKUlT_T0_E_clISt17integral_constantIbLb0EESX_EEDaSS_ST_EUlSS_E_NS1_11comp_targetILNS1_3genE2ELNS1_11target_archE906ELNS1_3gpuE6ELNS1_3repE0EEENS1_30default_config_static_selectorELNS0_4arch9wavefront6targetE1EEEvT1_,comdat
.Lfunc_end3570:
	.size	_ZN7rocprim17ROCPRIM_400000_NS6detail17trampoline_kernelINS0_14default_configENS1_20scan_config_selectorItEEZZNS1_9scan_implILNS1_25lookback_scan_determinismE0ELb0ELb0ES3_N6thrust23THRUST_200600_302600_NS6detail15normal_iteratorINS9_10device_ptrItEEEENS9_16discard_iteratorINS9_11use_defaultEEEt11max_functorItEtEEDaPvRmT3_T4_T5_mT6_P12ihipStream_tbENKUlT_T0_E_clISt17integral_constantIbLb0EESX_EEDaSS_ST_EUlSS_E_NS1_11comp_targetILNS1_3genE2ELNS1_11target_archE906ELNS1_3gpuE6ELNS1_3repE0EEENS1_30default_config_static_selectorELNS0_4arch9wavefront6targetE1EEEvT1_, .Lfunc_end3570-_ZN7rocprim17ROCPRIM_400000_NS6detail17trampoline_kernelINS0_14default_configENS1_20scan_config_selectorItEEZZNS1_9scan_implILNS1_25lookback_scan_determinismE0ELb0ELb0ES3_N6thrust23THRUST_200600_302600_NS6detail15normal_iteratorINS9_10device_ptrItEEEENS9_16discard_iteratorINS9_11use_defaultEEEt11max_functorItEtEEDaPvRmT3_T4_T5_mT6_P12ihipStream_tbENKUlT_T0_E_clISt17integral_constantIbLb0EESX_EEDaSS_ST_EUlSS_E_NS1_11comp_targetILNS1_3genE2ELNS1_11target_archE906ELNS1_3gpuE6ELNS1_3repE0EEENS1_30default_config_static_selectorELNS0_4arch9wavefront6targetE1EEEvT1_
                                        ; -- End function
	.section	.AMDGPU.csdata,"",@progbits
; Kernel info:
; codeLenInByte = 0
; NumSgprs: 4
; NumVgprs: 0
; NumAgprs: 0
; TotalNumVgprs: 0
; ScratchSize: 0
; MemoryBound: 0
; FloatMode: 240
; IeeeMode: 1
; LDSByteSize: 0 bytes/workgroup (compile time only)
; SGPRBlocks: 0
; VGPRBlocks: 0
; NumSGPRsForWavesPerEU: 4
; NumVGPRsForWavesPerEU: 1
; AccumOffset: 4
; Occupancy: 8
; WaveLimiterHint : 0
; COMPUTE_PGM_RSRC2:SCRATCH_EN: 0
; COMPUTE_PGM_RSRC2:USER_SGPR: 6
; COMPUTE_PGM_RSRC2:TRAP_HANDLER: 0
; COMPUTE_PGM_RSRC2:TGID_X_EN: 1
; COMPUTE_PGM_RSRC2:TGID_Y_EN: 0
; COMPUTE_PGM_RSRC2:TGID_Z_EN: 0
; COMPUTE_PGM_RSRC2:TIDIG_COMP_CNT: 0
; COMPUTE_PGM_RSRC3_GFX90A:ACCUM_OFFSET: 0
; COMPUTE_PGM_RSRC3_GFX90A:TG_SPLIT: 0
	.section	.text._ZN7rocprim17ROCPRIM_400000_NS6detail17trampoline_kernelINS0_14default_configENS1_20scan_config_selectorItEEZZNS1_9scan_implILNS1_25lookback_scan_determinismE0ELb0ELb0ES3_N6thrust23THRUST_200600_302600_NS6detail15normal_iteratorINS9_10device_ptrItEEEENS9_16discard_iteratorINS9_11use_defaultEEEt11max_functorItEtEEDaPvRmT3_T4_T5_mT6_P12ihipStream_tbENKUlT_T0_E_clISt17integral_constantIbLb0EESX_EEDaSS_ST_EUlSS_E_NS1_11comp_targetILNS1_3genE10ELNS1_11target_archE1201ELNS1_3gpuE5ELNS1_3repE0EEENS1_30default_config_static_selectorELNS0_4arch9wavefront6targetE1EEEvT1_,"axG",@progbits,_ZN7rocprim17ROCPRIM_400000_NS6detail17trampoline_kernelINS0_14default_configENS1_20scan_config_selectorItEEZZNS1_9scan_implILNS1_25lookback_scan_determinismE0ELb0ELb0ES3_N6thrust23THRUST_200600_302600_NS6detail15normal_iteratorINS9_10device_ptrItEEEENS9_16discard_iteratorINS9_11use_defaultEEEt11max_functorItEtEEDaPvRmT3_T4_T5_mT6_P12ihipStream_tbENKUlT_T0_E_clISt17integral_constantIbLb0EESX_EEDaSS_ST_EUlSS_E_NS1_11comp_targetILNS1_3genE10ELNS1_11target_archE1201ELNS1_3gpuE5ELNS1_3repE0EEENS1_30default_config_static_selectorELNS0_4arch9wavefront6targetE1EEEvT1_,comdat
	.protected	_ZN7rocprim17ROCPRIM_400000_NS6detail17trampoline_kernelINS0_14default_configENS1_20scan_config_selectorItEEZZNS1_9scan_implILNS1_25lookback_scan_determinismE0ELb0ELb0ES3_N6thrust23THRUST_200600_302600_NS6detail15normal_iteratorINS9_10device_ptrItEEEENS9_16discard_iteratorINS9_11use_defaultEEEt11max_functorItEtEEDaPvRmT3_T4_T5_mT6_P12ihipStream_tbENKUlT_T0_E_clISt17integral_constantIbLb0EESX_EEDaSS_ST_EUlSS_E_NS1_11comp_targetILNS1_3genE10ELNS1_11target_archE1201ELNS1_3gpuE5ELNS1_3repE0EEENS1_30default_config_static_selectorELNS0_4arch9wavefront6targetE1EEEvT1_ ; -- Begin function _ZN7rocprim17ROCPRIM_400000_NS6detail17trampoline_kernelINS0_14default_configENS1_20scan_config_selectorItEEZZNS1_9scan_implILNS1_25lookback_scan_determinismE0ELb0ELb0ES3_N6thrust23THRUST_200600_302600_NS6detail15normal_iteratorINS9_10device_ptrItEEEENS9_16discard_iteratorINS9_11use_defaultEEEt11max_functorItEtEEDaPvRmT3_T4_T5_mT6_P12ihipStream_tbENKUlT_T0_E_clISt17integral_constantIbLb0EESX_EEDaSS_ST_EUlSS_E_NS1_11comp_targetILNS1_3genE10ELNS1_11target_archE1201ELNS1_3gpuE5ELNS1_3repE0EEENS1_30default_config_static_selectorELNS0_4arch9wavefront6targetE1EEEvT1_
	.globl	_ZN7rocprim17ROCPRIM_400000_NS6detail17trampoline_kernelINS0_14default_configENS1_20scan_config_selectorItEEZZNS1_9scan_implILNS1_25lookback_scan_determinismE0ELb0ELb0ES3_N6thrust23THRUST_200600_302600_NS6detail15normal_iteratorINS9_10device_ptrItEEEENS9_16discard_iteratorINS9_11use_defaultEEEt11max_functorItEtEEDaPvRmT3_T4_T5_mT6_P12ihipStream_tbENKUlT_T0_E_clISt17integral_constantIbLb0EESX_EEDaSS_ST_EUlSS_E_NS1_11comp_targetILNS1_3genE10ELNS1_11target_archE1201ELNS1_3gpuE5ELNS1_3repE0EEENS1_30default_config_static_selectorELNS0_4arch9wavefront6targetE1EEEvT1_
	.p2align	8
	.type	_ZN7rocprim17ROCPRIM_400000_NS6detail17trampoline_kernelINS0_14default_configENS1_20scan_config_selectorItEEZZNS1_9scan_implILNS1_25lookback_scan_determinismE0ELb0ELb0ES3_N6thrust23THRUST_200600_302600_NS6detail15normal_iteratorINS9_10device_ptrItEEEENS9_16discard_iteratorINS9_11use_defaultEEEt11max_functorItEtEEDaPvRmT3_T4_T5_mT6_P12ihipStream_tbENKUlT_T0_E_clISt17integral_constantIbLb0EESX_EEDaSS_ST_EUlSS_E_NS1_11comp_targetILNS1_3genE10ELNS1_11target_archE1201ELNS1_3gpuE5ELNS1_3repE0EEENS1_30default_config_static_selectorELNS0_4arch9wavefront6targetE1EEEvT1_,@function
_ZN7rocprim17ROCPRIM_400000_NS6detail17trampoline_kernelINS0_14default_configENS1_20scan_config_selectorItEEZZNS1_9scan_implILNS1_25lookback_scan_determinismE0ELb0ELb0ES3_N6thrust23THRUST_200600_302600_NS6detail15normal_iteratorINS9_10device_ptrItEEEENS9_16discard_iteratorINS9_11use_defaultEEEt11max_functorItEtEEDaPvRmT3_T4_T5_mT6_P12ihipStream_tbENKUlT_T0_E_clISt17integral_constantIbLb0EESX_EEDaSS_ST_EUlSS_E_NS1_11comp_targetILNS1_3genE10ELNS1_11target_archE1201ELNS1_3gpuE5ELNS1_3repE0EEENS1_30default_config_static_selectorELNS0_4arch9wavefront6targetE1EEEvT1_: ; @_ZN7rocprim17ROCPRIM_400000_NS6detail17trampoline_kernelINS0_14default_configENS1_20scan_config_selectorItEEZZNS1_9scan_implILNS1_25lookback_scan_determinismE0ELb0ELb0ES3_N6thrust23THRUST_200600_302600_NS6detail15normal_iteratorINS9_10device_ptrItEEEENS9_16discard_iteratorINS9_11use_defaultEEEt11max_functorItEtEEDaPvRmT3_T4_T5_mT6_P12ihipStream_tbENKUlT_T0_E_clISt17integral_constantIbLb0EESX_EEDaSS_ST_EUlSS_E_NS1_11comp_targetILNS1_3genE10ELNS1_11target_archE1201ELNS1_3gpuE5ELNS1_3repE0EEENS1_30default_config_static_selectorELNS0_4arch9wavefront6targetE1EEEvT1_
; %bb.0:
	.section	.rodata,"a",@progbits
	.p2align	6, 0x0
	.amdhsa_kernel _ZN7rocprim17ROCPRIM_400000_NS6detail17trampoline_kernelINS0_14default_configENS1_20scan_config_selectorItEEZZNS1_9scan_implILNS1_25lookback_scan_determinismE0ELb0ELb0ES3_N6thrust23THRUST_200600_302600_NS6detail15normal_iteratorINS9_10device_ptrItEEEENS9_16discard_iteratorINS9_11use_defaultEEEt11max_functorItEtEEDaPvRmT3_T4_T5_mT6_P12ihipStream_tbENKUlT_T0_E_clISt17integral_constantIbLb0EESX_EEDaSS_ST_EUlSS_E_NS1_11comp_targetILNS1_3genE10ELNS1_11target_archE1201ELNS1_3gpuE5ELNS1_3repE0EEENS1_30default_config_static_selectorELNS0_4arch9wavefront6targetE1EEEvT1_
		.amdhsa_group_segment_fixed_size 0
		.amdhsa_private_segment_fixed_size 0
		.amdhsa_kernarg_size 104
		.amdhsa_user_sgpr_count 6
		.amdhsa_user_sgpr_private_segment_buffer 1
		.amdhsa_user_sgpr_dispatch_ptr 0
		.amdhsa_user_sgpr_queue_ptr 0
		.amdhsa_user_sgpr_kernarg_segment_ptr 1
		.amdhsa_user_sgpr_dispatch_id 0
		.amdhsa_user_sgpr_flat_scratch_init 0
		.amdhsa_user_sgpr_kernarg_preload_length 0
		.amdhsa_user_sgpr_kernarg_preload_offset 0
		.amdhsa_user_sgpr_private_segment_size 0
		.amdhsa_uses_dynamic_stack 0
		.amdhsa_system_sgpr_private_segment_wavefront_offset 0
		.amdhsa_system_sgpr_workgroup_id_x 1
		.amdhsa_system_sgpr_workgroup_id_y 0
		.amdhsa_system_sgpr_workgroup_id_z 0
		.amdhsa_system_sgpr_workgroup_info 0
		.amdhsa_system_vgpr_workitem_id 0
		.amdhsa_next_free_vgpr 1
		.amdhsa_next_free_sgpr 0
		.amdhsa_accum_offset 4
		.amdhsa_reserve_vcc 0
		.amdhsa_reserve_flat_scratch 0
		.amdhsa_float_round_mode_32 0
		.amdhsa_float_round_mode_16_64 0
		.amdhsa_float_denorm_mode_32 3
		.amdhsa_float_denorm_mode_16_64 3
		.amdhsa_dx10_clamp 1
		.amdhsa_ieee_mode 1
		.amdhsa_fp16_overflow 0
		.amdhsa_tg_split 0
		.amdhsa_exception_fp_ieee_invalid_op 0
		.amdhsa_exception_fp_denorm_src 0
		.amdhsa_exception_fp_ieee_div_zero 0
		.amdhsa_exception_fp_ieee_overflow 0
		.amdhsa_exception_fp_ieee_underflow 0
		.amdhsa_exception_fp_ieee_inexact 0
		.amdhsa_exception_int_div_zero 0
	.end_amdhsa_kernel
	.section	.text._ZN7rocprim17ROCPRIM_400000_NS6detail17trampoline_kernelINS0_14default_configENS1_20scan_config_selectorItEEZZNS1_9scan_implILNS1_25lookback_scan_determinismE0ELb0ELb0ES3_N6thrust23THRUST_200600_302600_NS6detail15normal_iteratorINS9_10device_ptrItEEEENS9_16discard_iteratorINS9_11use_defaultEEEt11max_functorItEtEEDaPvRmT3_T4_T5_mT6_P12ihipStream_tbENKUlT_T0_E_clISt17integral_constantIbLb0EESX_EEDaSS_ST_EUlSS_E_NS1_11comp_targetILNS1_3genE10ELNS1_11target_archE1201ELNS1_3gpuE5ELNS1_3repE0EEENS1_30default_config_static_selectorELNS0_4arch9wavefront6targetE1EEEvT1_,"axG",@progbits,_ZN7rocprim17ROCPRIM_400000_NS6detail17trampoline_kernelINS0_14default_configENS1_20scan_config_selectorItEEZZNS1_9scan_implILNS1_25lookback_scan_determinismE0ELb0ELb0ES3_N6thrust23THRUST_200600_302600_NS6detail15normal_iteratorINS9_10device_ptrItEEEENS9_16discard_iteratorINS9_11use_defaultEEEt11max_functorItEtEEDaPvRmT3_T4_T5_mT6_P12ihipStream_tbENKUlT_T0_E_clISt17integral_constantIbLb0EESX_EEDaSS_ST_EUlSS_E_NS1_11comp_targetILNS1_3genE10ELNS1_11target_archE1201ELNS1_3gpuE5ELNS1_3repE0EEENS1_30default_config_static_selectorELNS0_4arch9wavefront6targetE1EEEvT1_,comdat
.Lfunc_end3571:
	.size	_ZN7rocprim17ROCPRIM_400000_NS6detail17trampoline_kernelINS0_14default_configENS1_20scan_config_selectorItEEZZNS1_9scan_implILNS1_25lookback_scan_determinismE0ELb0ELb0ES3_N6thrust23THRUST_200600_302600_NS6detail15normal_iteratorINS9_10device_ptrItEEEENS9_16discard_iteratorINS9_11use_defaultEEEt11max_functorItEtEEDaPvRmT3_T4_T5_mT6_P12ihipStream_tbENKUlT_T0_E_clISt17integral_constantIbLb0EESX_EEDaSS_ST_EUlSS_E_NS1_11comp_targetILNS1_3genE10ELNS1_11target_archE1201ELNS1_3gpuE5ELNS1_3repE0EEENS1_30default_config_static_selectorELNS0_4arch9wavefront6targetE1EEEvT1_, .Lfunc_end3571-_ZN7rocprim17ROCPRIM_400000_NS6detail17trampoline_kernelINS0_14default_configENS1_20scan_config_selectorItEEZZNS1_9scan_implILNS1_25lookback_scan_determinismE0ELb0ELb0ES3_N6thrust23THRUST_200600_302600_NS6detail15normal_iteratorINS9_10device_ptrItEEEENS9_16discard_iteratorINS9_11use_defaultEEEt11max_functorItEtEEDaPvRmT3_T4_T5_mT6_P12ihipStream_tbENKUlT_T0_E_clISt17integral_constantIbLb0EESX_EEDaSS_ST_EUlSS_E_NS1_11comp_targetILNS1_3genE10ELNS1_11target_archE1201ELNS1_3gpuE5ELNS1_3repE0EEENS1_30default_config_static_selectorELNS0_4arch9wavefront6targetE1EEEvT1_
                                        ; -- End function
	.section	.AMDGPU.csdata,"",@progbits
; Kernel info:
; codeLenInByte = 0
; NumSgprs: 4
; NumVgprs: 0
; NumAgprs: 0
; TotalNumVgprs: 0
; ScratchSize: 0
; MemoryBound: 0
; FloatMode: 240
; IeeeMode: 1
; LDSByteSize: 0 bytes/workgroup (compile time only)
; SGPRBlocks: 0
; VGPRBlocks: 0
; NumSGPRsForWavesPerEU: 4
; NumVGPRsForWavesPerEU: 1
; AccumOffset: 4
; Occupancy: 8
; WaveLimiterHint : 0
; COMPUTE_PGM_RSRC2:SCRATCH_EN: 0
; COMPUTE_PGM_RSRC2:USER_SGPR: 6
; COMPUTE_PGM_RSRC2:TRAP_HANDLER: 0
; COMPUTE_PGM_RSRC2:TGID_X_EN: 1
; COMPUTE_PGM_RSRC2:TGID_Y_EN: 0
; COMPUTE_PGM_RSRC2:TGID_Z_EN: 0
; COMPUTE_PGM_RSRC2:TIDIG_COMP_CNT: 0
; COMPUTE_PGM_RSRC3_GFX90A:ACCUM_OFFSET: 0
; COMPUTE_PGM_RSRC3_GFX90A:TG_SPLIT: 0
	.section	.text._ZN7rocprim17ROCPRIM_400000_NS6detail17trampoline_kernelINS0_14default_configENS1_20scan_config_selectorItEEZZNS1_9scan_implILNS1_25lookback_scan_determinismE0ELb0ELb0ES3_N6thrust23THRUST_200600_302600_NS6detail15normal_iteratorINS9_10device_ptrItEEEENS9_16discard_iteratorINS9_11use_defaultEEEt11max_functorItEtEEDaPvRmT3_T4_T5_mT6_P12ihipStream_tbENKUlT_T0_E_clISt17integral_constantIbLb0EESX_EEDaSS_ST_EUlSS_E_NS1_11comp_targetILNS1_3genE10ELNS1_11target_archE1200ELNS1_3gpuE4ELNS1_3repE0EEENS1_30default_config_static_selectorELNS0_4arch9wavefront6targetE1EEEvT1_,"axG",@progbits,_ZN7rocprim17ROCPRIM_400000_NS6detail17trampoline_kernelINS0_14default_configENS1_20scan_config_selectorItEEZZNS1_9scan_implILNS1_25lookback_scan_determinismE0ELb0ELb0ES3_N6thrust23THRUST_200600_302600_NS6detail15normal_iteratorINS9_10device_ptrItEEEENS9_16discard_iteratorINS9_11use_defaultEEEt11max_functorItEtEEDaPvRmT3_T4_T5_mT6_P12ihipStream_tbENKUlT_T0_E_clISt17integral_constantIbLb0EESX_EEDaSS_ST_EUlSS_E_NS1_11comp_targetILNS1_3genE10ELNS1_11target_archE1200ELNS1_3gpuE4ELNS1_3repE0EEENS1_30default_config_static_selectorELNS0_4arch9wavefront6targetE1EEEvT1_,comdat
	.protected	_ZN7rocprim17ROCPRIM_400000_NS6detail17trampoline_kernelINS0_14default_configENS1_20scan_config_selectorItEEZZNS1_9scan_implILNS1_25lookback_scan_determinismE0ELb0ELb0ES3_N6thrust23THRUST_200600_302600_NS6detail15normal_iteratorINS9_10device_ptrItEEEENS9_16discard_iteratorINS9_11use_defaultEEEt11max_functorItEtEEDaPvRmT3_T4_T5_mT6_P12ihipStream_tbENKUlT_T0_E_clISt17integral_constantIbLb0EESX_EEDaSS_ST_EUlSS_E_NS1_11comp_targetILNS1_3genE10ELNS1_11target_archE1200ELNS1_3gpuE4ELNS1_3repE0EEENS1_30default_config_static_selectorELNS0_4arch9wavefront6targetE1EEEvT1_ ; -- Begin function _ZN7rocprim17ROCPRIM_400000_NS6detail17trampoline_kernelINS0_14default_configENS1_20scan_config_selectorItEEZZNS1_9scan_implILNS1_25lookback_scan_determinismE0ELb0ELb0ES3_N6thrust23THRUST_200600_302600_NS6detail15normal_iteratorINS9_10device_ptrItEEEENS9_16discard_iteratorINS9_11use_defaultEEEt11max_functorItEtEEDaPvRmT3_T4_T5_mT6_P12ihipStream_tbENKUlT_T0_E_clISt17integral_constantIbLb0EESX_EEDaSS_ST_EUlSS_E_NS1_11comp_targetILNS1_3genE10ELNS1_11target_archE1200ELNS1_3gpuE4ELNS1_3repE0EEENS1_30default_config_static_selectorELNS0_4arch9wavefront6targetE1EEEvT1_
	.globl	_ZN7rocprim17ROCPRIM_400000_NS6detail17trampoline_kernelINS0_14default_configENS1_20scan_config_selectorItEEZZNS1_9scan_implILNS1_25lookback_scan_determinismE0ELb0ELb0ES3_N6thrust23THRUST_200600_302600_NS6detail15normal_iteratorINS9_10device_ptrItEEEENS9_16discard_iteratorINS9_11use_defaultEEEt11max_functorItEtEEDaPvRmT3_T4_T5_mT6_P12ihipStream_tbENKUlT_T0_E_clISt17integral_constantIbLb0EESX_EEDaSS_ST_EUlSS_E_NS1_11comp_targetILNS1_3genE10ELNS1_11target_archE1200ELNS1_3gpuE4ELNS1_3repE0EEENS1_30default_config_static_selectorELNS0_4arch9wavefront6targetE1EEEvT1_
	.p2align	8
	.type	_ZN7rocprim17ROCPRIM_400000_NS6detail17trampoline_kernelINS0_14default_configENS1_20scan_config_selectorItEEZZNS1_9scan_implILNS1_25lookback_scan_determinismE0ELb0ELb0ES3_N6thrust23THRUST_200600_302600_NS6detail15normal_iteratorINS9_10device_ptrItEEEENS9_16discard_iteratorINS9_11use_defaultEEEt11max_functorItEtEEDaPvRmT3_T4_T5_mT6_P12ihipStream_tbENKUlT_T0_E_clISt17integral_constantIbLb0EESX_EEDaSS_ST_EUlSS_E_NS1_11comp_targetILNS1_3genE10ELNS1_11target_archE1200ELNS1_3gpuE4ELNS1_3repE0EEENS1_30default_config_static_selectorELNS0_4arch9wavefront6targetE1EEEvT1_,@function
_ZN7rocprim17ROCPRIM_400000_NS6detail17trampoline_kernelINS0_14default_configENS1_20scan_config_selectorItEEZZNS1_9scan_implILNS1_25lookback_scan_determinismE0ELb0ELb0ES3_N6thrust23THRUST_200600_302600_NS6detail15normal_iteratorINS9_10device_ptrItEEEENS9_16discard_iteratorINS9_11use_defaultEEEt11max_functorItEtEEDaPvRmT3_T4_T5_mT6_P12ihipStream_tbENKUlT_T0_E_clISt17integral_constantIbLb0EESX_EEDaSS_ST_EUlSS_E_NS1_11comp_targetILNS1_3genE10ELNS1_11target_archE1200ELNS1_3gpuE4ELNS1_3repE0EEENS1_30default_config_static_selectorELNS0_4arch9wavefront6targetE1EEEvT1_: ; @_ZN7rocprim17ROCPRIM_400000_NS6detail17trampoline_kernelINS0_14default_configENS1_20scan_config_selectorItEEZZNS1_9scan_implILNS1_25lookback_scan_determinismE0ELb0ELb0ES3_N6thrust23THRUST_200600_302600_NS6detail15normal_iteratorINS9_10device_ptrItEEEENS9_16discard_iteratorINS9_11use_defaultEEEt11max_functorItEtEEDaPvRmT3_T4_T5_mT6_P12ihipStream_tbENKUlT_T0_E_clISt17integral_constantIbLb0EESX_EEDaSS_ST_EUlSS_E_NS1_11comp_targetILNS1_3genE10ELNS1_11target_archE1200ELNS1_3gpuE4ELNS1_3repE0EEENS1_30default_config_static_selectorELNS0_4arch9wavefront6targetE1EEEvT1_
; %bb.0:
	.section	.rodata,"a",@progbits
	.p2align	6, 0x0
	.amdhsa_kernel _ZN7rocprim17ROCPRIM_400000_NS6detail17trampoline_kernelINS0_14default_configENS1_20scan_config_selectorItEEZZNS1_9scan_implILNS1_25lookback_scan_determinismE0ELb0ELb0ES3_N6thrust23THRUST_200600_302600_NS6detail15normal_iteratorINS9_10device_ptrItEEEENS9_16discard_iteratorINS9_11use_defaultEEEt11max_functorItEtEEDaPvRmT3_T4_T5_mT6_P12ihipStream_tbENKUlT_T0_E_clISt17integral_constantIbLb0EESX_EEDaSS_ST_EUlSS_E_NS1_11comp_targetILNS1_3genE10ELNS1_11target_archE1200ELNS1_3gpuE4ELNS1_3repE0EEENS1_30default_config_static_selectorELNS0_4arch9wavefront6targetE1EEEvT1_
		.amdhsa_group_segment_fixed_size 0
		.amdhsa_private_segment_fixed_size 0
		.amdhsa_kernarg_size 104
		.amdhsa_user_sgpr_count 6
		.amdhsa_user_sgpr_private_segment_buffer 1
		.amdhsa_user_sgpr_dispatch_ptr 0
		.amdhsa_user_sgpr_queue_ptr 0
		.amdhsa_user_sgpr_kernarg_segment_ptr 1
		.amdhsa_user_sgpr_dispatch_id 0
		.amdhsa_user_sgpr_flat_scratch_init 0
		.amdhsa_user_sgpr_kernarg_preload_length 0
		.amdhsa_user_sgpr_kernarg_preload_offset 0
		.amdhsa_user_sgpr_private_segment_size 0
		.amdhsa_uses_dynamic_stack 0
		.amdhsa_system_sgpr_private_segment_wavefront_offset 0
		.amdhsa_system_sgpr_workgroup_id_x 1
		.amdhsa_system_sgpr_workgroup_id_y 0
		.amdhsa_system_sgpr_workgroup_id_z 0
		.amdhsa_system_sgpr_workgroup_info 0
		.amdhsa_system_vgpr_workitem_id 0
		.amdhsa_next_free_vgpr 1
		.amdhsa_next_free_sgpr 0
		.amdhsa_accum_offset 4
		.amdhsa_reserve_vcc 0
		.amdhsa_reserve_flat_scratch 0
		.amdhsa_float_round_mode_32 0
		.amdhsa_float_round_mode_16_64 0
		.amdhsa_float_denorm_mode_32 3
		.amdhsa_float_denorm_mode_16_64 3
		.amdhsa_dx10_clamp 1
		.amdhsa_ieee_mode 1
		.amdhsa_fp16_overflow 0
		.amdhsa_tg_split 0
		.amdhsa_exception_fp_ieee_invalid_op 0
		.amdhsa_exception_fp_denorm_src 0
		.amdhsa_exception_fp_ieee_div_zero 0
		.amdhsa_exception_fp_ieee_overflow 0
		.amdhsa_exception_fp_ieee_underflow 0
		.amdhsa_exception_fp_ieee_inexact 0
		.amdhsa_exception_int_div_zero 0
	.end_amdhsa_kernel
	.section	.text._ZN7rocprim17ROCPRIM_400000_NS6detail17trampoline_kernelINS0_14default_configENS1_20scan_config_selectorItEEZZNS1_9scan_implILNS1_25lookback_scan_determinismE0ELb0ELb0ES3_N6thrust23THRUST_200600_302600_NS6detail15normal_iteratorINS9_10device_ptrItEEEENS9_16discard_iteratorINS9_11use_defaultEEEt11max_functorItEtEEDaPvRmT3_T4_T5_mT6_P12ihipStream_tbENKUlT_T0_E_clISt17integral_constantIbLb0EESX_EEDaSS_ST_EUlSS_E_NS1_11comp_targetILNS1_3genE10ELNS1_11target_archE1200ELNS1_3gpuE4ELNS1_3repE0EEENS1_30default_config_static_selectorELNS0_4arch9wavefront6targetE1EEEvT1_,"axG",@progbits,_ZN7rocprim17ROCPRIM_400000_NS6detail17trampoline_kernelINS0_14default_configENS1_20scan_config_selectorItEEZZNS1_9scan_implILNS1_25lookback_scan_determinismE0ELb0ELb0ES3_N6thrust23THRUST_200600_302600_NS6detail15normal_iteratorINS9_10device_ptrItEEEENS9_16discard_iteratorINS9_11use_defaultEEEt11max_functorItEtEEDaPvRmT3_T4_T5_mT6_P12ihipStream_tbENKUlT_T0_E_clISt17integral_constantIbLb0EESX_EEDaSS_ST_EUlSS_E_NS1_11comp_targetILNS1_3genE10ELNS1_11target_archE1200ELNS1_3gpuE4ELNS1_3repE0EEENS1_30default_config_static_selectorELNS0_4arch9wavefront6targetE1EEEvT1_,comdat
.Lfunc_end3572:
	.size	_ZN7rocprim17ROCPRIM_400000_NS6detail17trampoline_kernelINS0_14default_configENS1_20scan_config_selectorItEEZZNS1_9scan_implILNS1_25lookback_scan_determinismE0ELb0ELb0ES3_N6thrust23THRUST_200600_302600_NS6detail15normal_iteratorINS9_10device_ptrItEEEENS9_16discard_iteratorINS9_11use_defaultEEEt11max_functorItEtEEDaPvRmT3_T4_T5_mT6_P12ihipStream_tbENKUlT_T0_E_clISt17integral_constantIbLb0EESX_EEDaSS_ST_EUlSS_E_NS1_11comp_targetILNS1_3genE10ELNS1_11target_archE1200ELNS1_3gpuE4ELNS1_3repE0EEENS1_30default_config_static_selectorELNS0_4arch9wavefront6targetE1EEEvT1_, .Lfunc_end3572-_ZN7rocprim17ROCPRIM_400000_NS6detail17trampoline_kernelINS0_14default_configENS1_20scan_config_selectorItEEZZNS1_9scan_implILNS1_25lookback_scan_determinismE0ELb0ELb0ES3_N6thrust23THRUST_200600_302600_NS6detail15normal_iteratorINS9_10device_ptrItEEEENS9_16discard_iteratorINS9_11use_defaultEEEt11max_functorItEtEEDaPvRmT3_T4_T5_mT6_P12ihipStream_tbENKUlT_T0_E_clISt17integral_constantIbLb0EESX_EEDaSS_ST_EUlSS_E_NS1_11comp_targetILNS1_3genE10ELNS1_11target_archE1200ELNS1_3gpuE4ELNS1_3repE0EEENS1_30default_config_static_selectorELNS0_4arch9wavefront6targetE1EEEvT1_
                                        ; -- End function
	.section	.AMDGPU.csdata,"",@progbits
; Kernel info:
; codeLenInByte = 0
; NumSgprs: 4
; NumVgprs: 0
; NumAgprs: 0
; TotalNumVgprs: 0
; ScratchSize: 0
; MemoryBound: 0
; FloatMode: 240
; IeeeMode: 1
; LDSByteSize: 0 bytes/workgroup (compile time only)
; SGPRBlocks: 0
; VGPRBlocks: 0
; NumSGPRsForWavesPerEU: 4
; NumVGPRsForWavesPerEU: 1
; AccumOffset: 4
; Occupancy: 8
; WaveLimiterHint : 0
; COMPUTE_PGM_RSRC2:SCRATCH_EN: 0
; COMPUTE_PGM_RSRC2:USER_SGPR: 6
; COMPUTE_PGM_RSRC2:TRAP_HANDLER: 0
; COMPUTE_PGM_RSRC2:TGID_X_EN: 1
; COMPUTE_PGM_RSRC2:TGID_Y_EN: 0
; COMPUTE_PGM_RSRC2:TGID_Z_EN: 0
; COMPUTE_PGM_RSRC2:TIDIG_COMP_CNT: 0
; COMPUTE_PGM_RSRC3_GFX90A:ACCUM_OFFSET: 0
; COMPUTE_PGM_RSRC3_GFX90A:TG_SPLIT: 0
	.section	.text._ZN7rocprim17ROCPRIM_400000_NS6detail17trampoline_kernelINS0_14default_configENS1_20scan_config_selectorItEEZZNS1_9scan_implILNS1_25lookback_scan_determinismE0ELb0ELb0ES3_N6thrust23THRUST_200600_302600_NS6detail15normal_iteratorINS9_10device_ptrItEEEENS9_16discard_iteratorINS9_11use_defaultEEEt11max_functorItEtEEDaPvRmT3_T4_T5_mT6_P12ihipStream_tbENKUlT_T0_E_clISt17integral_constantIbLb0EESX_EEDaSS_ST_EUlSS_E_NS1_11comp_targetILNS1_3genE9ELNS1_11target_archE1100ELNS1_3gpuE3ELNS1_3repE0EEENS1_30default_config_static_selectorELNS0_4arch9wavefront6targetE1EEEvT1_,"axG",@progbits,_ZN7rocprim17ROCPRIM_400000_NS6detail17trampoline_kernelINS0_14default_configENS1_20scan_config_selectorItEEZZNS1_9scan_implILNS1_25lookback_scan_determinismE0ELb0ELb0ES3_N6thrust23THRUST_200600_302600_NS6detail15normal_iteratorINS9_10device_ptrItEEEENS9_16discard_iteratorINS9_11use_defaultEEEt11max_functorItEtEEDaPvRmT3_T4_T5_mT6_P12ihipStream_tbENKUlT_T0_E_clISt17integral_constantIbLb0EESX_EEDaSS_ST_EUlSS_E_NS1_11comp_targetILNS1_3genE9ELNS1_11target_archE1100ELNS1_3gpuE3ELNS1_3repE0EEENS1_30default_config_static_selectorELNS0_4arch9wavefront6targetE1EEEvT1_,comdat
	.protected	_ZN7rocprim17ROCPRIM_400000_NS6detail17trampoline_kernelINS0_14default_configENS1_20scan_config_selectorItEEZZNS1_9scan_implILNS1_25lookback_scan_determinismE0ELb0ELb0ES3_N6thrust23THRUST_200600_302600_NS6detail15normal_iteratorINS9_10device_ptrItEEEENS9_16discard_iteratorINS9_11use_defaultEEEt11max_functorItEtEEDaPvRmT3_T4_T5_mT6_P12ihipStream_tbENKUlT_T0_E_clISt17integral_constantIbLb0EESX_EEDaSS_ST_EUlSS_E_NS1_11comp_targetILNS1_3genE9ELNS1_11target_archE1100ELNS1_3gpuE3ELNS1_3repE0EEENS1_30default_config_static_selectorELNS0_4arch9wavefront6targetE1EEEvT1_ ; -- Begin function _ZN7rocprim17ROCPRIM_400000_NS6detail17trampoline_kernelINS0_14default_configENS1_20scan_config_selectorItEEZZNS1_9scan_implILNS1_25lookback_scan_determinismE0ELb0ELb0ES3_N6thrust23THRUST_200600_302600_NS6detail15normal_iteratorINS9_10device_ptrItEEEENS9_16discard_iteratorINS9_11use_defaultEEEt11max_functorItEtEEDaPvRmT3_T4_T5_mT6_P12ihipStream_tbENKUlT_T0_E_clISt17integral_constantIbLb0EESX_EEDaSS_ST_EUlSS_E_NS1_11comp_targetILNS1_3genE9ELNS1_11target_archE1100ELNS1_3gpuE3ELNS1_3repE0EEENS1_30default_config_static_selectorELNS0_4arch9wavefront6targetE1EEEvT1_
	.globl	_ZN7rocprim17ROCPRIM_400000_NS6detail17trampoline_kernelINS0_14default_configENS1_20scan_config_selectorItEEZZNS1_9scan_implILNS1_25lookback_scan_determinismE0ELb0ELb0ES3_N6thrust23THRUST_200600_302600_NS6detail15normal_iteratorINS9_10device_ptrItEEEENS9_16discard_iteratorINS9_11use_defaultEEEt11max_functorItEtEEDaPvRmT3_T4_T5_mT6_P12ihipStream_tbENKUlT_T0_E_clISt17integral_constantIbLb0EESX_EEDaSS_ST_EUlSS_E_NS1_11comp_targetILNS1_3genE9ELNS1_11target_archE1100ELNS1_3gpuE3ELNS1_3repE0EEENS1_30default_config_static_selectorELNS0_4arch9wavefront6targetE1EEEvT1_
	.p2align	8
	.type	_ZN7rocprim17ROCPRIM_400000_NS6detail17trampoline_kernelINS0_14default_configENS1_20scan_config_selectorItEEZZNS1_9scan_implILNS1_25lookback_scan_determinismE0ELb0ELb0ES3_N6thrust23THRUST_200600_302600_NS6detail15normal_iteratorINS9_10device_ptrItEEEENS9_16discard_iteratorINS9_11use_defaultEEEt11max_functorItEtEEDaPvRmT3_T4_T5_mT6_P12ihipStream_tbENKUlT_T0_E_clISt17integral_constantIbLb0EESX_EEDaSS_ST_EUlSS_E_NS1_11comp_targetILNS1_3genE9ELNS1_11target_archE1100ELNS1_3gpuE3ELNS1_3repE0EEENS1_30default_config_static_selectorELNS0_4arch9wavefront6targetE1EEEvT1_,@function
_ZN7rocprim17ROCPRIM_400000_NS6detail17trampoline_kernelINS0_14default_configENS1_20scan_config_selectorItEEZZNS1_9scan_implILNS1_25lookback_scan_determinismE0ELb0ELb0ES3_N6thrust23THRUST_200600_302600_NS6detail15normal_iteratorINS9_10device_ptrItEEEENS9_16discard_iteratorINS9_11use_defaultEEEt11max_functorItEtEEDaPvRmT3_T4_T5_mT6_P12ihipStream_tbENKUlT_T0_E_clISt17integral_constantIbLb0EESX_EEDaSS_ST_EUlSS_E_NS1_11comp_targetILNS1_3genE9ELNS1_11target_archE1100ELNS1_3gpuE3ELNS1_3repE0EEENS1_30default_config_static_selectorELNS0_4arch9wavefront6targetE1EEEvT1_: ; @_ZN7rocprim17ROCPRIM_400000_NS6detail17trampoline_kernelINS0_14default_configENS1_20scan_config_selectorItEEZZNS1_9scan_implILNS1_25lookback_scan_determinismE0ELb0ELb0ES3_N6thrust23THRUST_200600_302600_NS6detail15normal_iteratorINS9_10device_ptrItEEEENS9_16discard_iteratorINS9_11use_defaultEEEt11max_functorItEtEEDaPvRmT3_T4_T5_mT6_P12ihipStream_tbENKUlT_T0_E_clISt17integral_constantIbLb0EESX_EEDaSS_ST_EUlSS_E_NS1_11comp_targetILNS1_3genE9ELNS1_11target_archE1100ELNS1_3gpuE3ELNS1_3repE0EEENS1_30default_config_static_selectorELNS0_4arch9wavefront6targetE1EEEvT1_
; %bb.0:
	.section	.rodata,"a",@progbits
	.p2align	6, 0x0
	.amdhsa_kernel _ZN7rocprim17ROCPRIM_400000_NS6detail17trampoline_kernelINS0_14default_configENS1_20scan_config_selectorItEEZZNS1_9scan_implILNS1_25lookback_scan_determinismE0ELb0ELb0ES3_N6thrust23THRUST_200600_302600_NS6detail15normal_iteratorINS9_10device_ptrItEEEENS9_16discard_iteratorINS9_11use_defaultEEEt11max_functorItEtEEDaPvRmT3_T4_T5_mT6_P12ihipStream_tbENKUlT_T0_E_clISt17integral_constantIbLb0EESX_EEDaSS_ST_EUlSS_E_NS1_11comp_targetILNS1_3genE9ELNS1_11target_archE1100ELNS1_3gpuE3ELNS1_3repE0EEENS1_30default_config_static_selectorELNS0_4arch9wavefront6targetE1EEEvT1_
		.amdhsa_group_segment_fixed_size 0
		.amdhsa_private_segment_fixed_size 0
		.amdhsa_kernarg_size 104
		.amdhsa_user_sgpr_count 6
		.amdhsa_user_sgpr_private_segment_buffer 1
		.amdhsa_user_sgpr_dispatch_ptr 0
		.amdhsa_user_sgpr_queue_ptr 0
		.amdhsa_user_sgpr_kernarg_segment_ptr 1
		.amdhsa_user_sgpr_dispatch_id 0
		.amdhsa_user_sgpr_flat_scratch_init 0
		.amdhsa_user_sgpr_kernarg_preload_length 0
		.amdhsa_user_sgpr_kernarg_preload_offset 0
		.amdhsa_user_sgpr_private_segment_size 0
		.amdhsa_uses_dynamic_stack 0
		.amdhsa_system_sgpr_private_segment_wavefront_offset 0
		.amdhsa_system_sgpr_workgroup_id_x 1
		.amdhsa_system_sgpr_workgroup_id_y 0
		.amdhsa_system_sgpr_workgroup_id_z 0
		.amdhsa_system_sgpr_workgroup_info 0
		.amdhsa_system_vgpr_workitem_id 0
		.amdhsa_next_free_vgpr 1
		.amdhsa_next_free_sgpr 0
		.amdhsa_accum_offset 4
		.amdhsa_reserve_vcc 0
		.amdhsa_reserve_flat_scratch 0
		.amdhsa_float_round_mode_32 0
		.amdhsa_float_round_mode_16_64 0
		.amdhsa_float_denorm_mode_32 3
		.amdhsa_float_denorm_mode_16_64 3
		.amdhsa_dx10_clamp 1
		.amdhsa_ieee_mode 1
		.amdhsa_fp16_overflow 0
		.amdhsa_tg_split 0
		.amdhsa_exception_fp_ieee_invalid_op 0
		.amdhsa_exception_fp_denorm_src 0
		.amdhsa_exception_fp_ieee_div_zero 0
		.amdhsa_exception_fp_ieee_overflow 0
		.amdhsa_exception_fp_ieee_underflow 0
		.amdhsa_exception_fp_ieee_inexact 0
		.amdhsa_exception_int_div_zero 0
	.end_amdhsa_kernel
	.section	.text._ZN7rocprim17ROCPRIM_400000_NS6detail17trampoline_kernelINS0_14default_configENS1_20scan_config_selectorItEEZZNS1_9scan_implILNS1_25lookback_scan_determinismE0ELb0ELb0ES3_N6thrust23THRUST_200600_302600_NS6detail15normal_iteratorINS9_10device_ptrItEEEENS9_16discard_iteratorINS9_11use_defaultEEEt11max_functorItEtEEDaPvRmT3_T4_T5_mT6_P12ihipStream_tbENKUlT_T0_E_clISt17integral_constantIbLb0EESX_EEDaSS_ST_EUlSS_E_NS1_11comp_targetILNS1_3genE9ELNS1_11target_archE1100ELNS1_3gpuE3ELNS1_3repE0EEENS1_30default_config_static_selectorELNS0_4arch9wavefront6targetE1EEEvT1_,"axG",@progbits,_ZN7rocprim17ROCPRIM_400000_NS6detail17trampoline_kernelINS0_14default_configENS1_20scan_config_selectorItEEZZNS1_9scan_implILNS1_25lookback_scan_determinismE0ELb0ELb0ES3_N6thrust23THRUST_200600_302600_NS6detail15normal_iteratorINS9_10device_ptrItEEEENS9_16discard_iteratorINS9_11use_defaultEEEt11max_functorItEtEEDaPvRmT3_T4_T5_mT6_P12ihipStream_tbENKUlT_T0_E_clISt17integral_constantIbLb0EESX_EEDaSS_ST_EUlSS_E_NS1_11comp_targetILNS1_3genE9ELNS1_11target_archE1100ELNS1_3gpuE3ELNS1_3repE0EEENS1_30default_config_static_selectorELNS0_4arch9wavefront6targetE1EEEvT1_,comdat
.Lfunc_end3573:
	.size	_ZN7rocprim17ROCPRIM_400000_NS6detail17trampoline_kernelINS0_14default_configENS1_20scan_config_selectorItEEZZNS1_9scan_implILNS1_25lookback_scan_determinismE0ELb0ELb0ES3_N6thrust23THRUST_200600_302600_NS6detail15normal_iteratorINS9_10device_ptrItEEEENS9_16discard_iteratorINS9_11use_defaultEEEt11max_functorItEtEEDaPvRmT3_T4_T5_mT6_P12ihipStream_tbENKUlT_T0_E_clISt17integral_constantIbLb0EESX_EEDaSS_ST_EUlSS_E_NS1_11comp_targetILNS1_3genE9ELNS1_11target_archE1100ELNS1_3gpuE3ELNS1_3repE0EEENS1_30default_config_static_selectorELNS0_4arch9wavefront6targetE1EEEvT1_, .Lfunc_end3573-_ZN7rocprim17ROCPRIM_400000_NS6detail17trampoline_kernelINS0_14default_configENS1_20scan_config_selectorItEEZZNS1_9scan_implILNS1_25lookback_scan_determinismE0ELb0ELb0ES3_N6thrust23THRUST_200600_302600_NS6detail15normal_iteratorINS9_10device_ptrItEEEENS9_16discard_iteratorINS9_11use_defaultEEEt11max_functorItEtEEDaPvRmT3_T4_T5_mT6_P12ihipStream_tbENKUlT_T0_E_clISt17integral_constantIbLb0EESX_EEDaSS_ST_EUlSS_E_NS1_11comp_targetILNS1_3genE9ELNS1_11target_archE1100ELNS1_3gpuE3ELNS1_3repE0EEENS1_30default_config_static_selectorELNS0_4arch9wavefront6targetE1EEEvT1_
                                        ; -- End function
	.section	.AMDGPU.csdata,"",@progbits
; Kernel info:
; codeLenInByte = 0
; NumSgprs: 4
; NumVgprs: 0
; NumAgprs: 0
; TotalNumVgprs: 0
; ScratchSize: 0
; MemoryBound: 0
; FloatMode: 240
; IeeeMode: 1
; LDSByteSize: 0 bytes/workgroup (compile time only)
; SGPRBlocks: 0
; VGPRBlocks: 0
; NumSGPRsForWavesPerEU: 4
; NumVGPRsForWavesPerEU: 1
; AccumOffset: 4
; Occupancy: 8
; WaveLimiterHint : 0
; COMPUTE_PGM_RSRC2:SCRATCH_EN: 0
; COMPUTE_PGM_RSRC2:USER_SGPR: 6
; COMPUTE_PGM_RSRC2:TRAP_HANDLER: 0
; COMPUTE_PGM_RSRC2:TGID_X_EN: 1
; COMPUTE_PGM_RSRC2:TGID_Y_EN: 0
; COMPUTE_PGM_RSRC2:TGID_Z_EN: 0
; COMPUTE_PGM_RSRC2:TIDIG_COMP_CNT: 0
; COMPUTE_PGM_RSRC3_GFX90A:ACCUM_OFFSET: 0
; COMPUTE_PGM_RSRC3_GFX90A:TG_SPLIT: 0
	.section	.text._ZN7rocprim17ROCPRIM_400000_NS6detail17trampoline_kernelINS0_14default_configENS1_20scan_config_selectorItEEZZNS1_9scan_implILNS1_25lookback_scan_determinismE0ELb0ELb0ES3_N6thrust23THRUST_200600_302600_NS6detail15normal_iteratorINS9_10device_ptrItEEEENS9_16discard_iteratorINS9_11use_defaultEEEt11max_functorItEtEEDaPvRmT3_T4_T5_mT6_P12ihipStream_tbENKUlT_T0_E_clISt17integral_constantIbLb0EESX_EEDaSS_ST_EUlSS_E_NS1_11comp_targetILNS1_3genE8ELNS1_11target_archE1030ELNS1_3gpuE2ELNS1_3repE0EEENS1_30default_config_static_selectorELNS0_4arch9wavefront6targetE1EEEvT1_,"axG",@progbits,_ZN7rocprim17ROCPRIM_400000_NS6detail17trampoline_kernelINS0_14default_configENS1_20scan_config_selectorItEEZZNS1_9scan_implILNS1_25lookback_scan_determinismE0ELb0ELb0ES3_N6thrust23THRUST_200600_302600_NS6detail15normal_iteratorINS9_10device_ptrItEEEENS9_16discard_iteratorINS9_11use_defaultEEEt11max_functorItEtEEDaPvRmT3_T4_T5_mT6_P12ihipStream_tbENKUlT_T0_E_clISt17integral_constantIbLb0EESX_EEDaSS_ST_EUlSS_E_NS1_11comp_targetILNS1_3genE8ELNS1_11target_archE1030ELNS1_3gpuE2ELNS1_3repE0EEENS1_30default_config_static_selectorELNS0_4arch9wavefront6targetE1EEEvT1_,comdat
	.protected	_ZN7rocprim17ROCPRIM_400000_NS6detail17trampoline_kernelINS0_14default_configENS1_20scan_config_selectorItEEZZNS1_9scan_implILNS1_25lookback_scan_determinismE0ELb0ELb0ES3_N6thrust23THRUST_200600_302600_NS6detail15normal_iteratorINS9_10device_ptrItEEEENS9_16discard_iteratorINS9_11use_defaultEEEt11max_functorItEtEEDaPvRmT3_T4_T5_mT6_P12ihipStream_tbENKUlT_T0_E_clISt17integral_constantIbLb0EESX_EEDaSS_ST_EUlSS_E_NS1_11comp_targetILNS1_3genE8ELNS1_11target_archE1030ELNS1_3gpuE2ELNS1_3repE0EEENS1_30default_config_static_selectorELNS0_4arch9wavefront6targetE1EEEvT1_ ; -- Begin function _ZN7rocprim17ROCPRIM_400000_NS6detail17trampoline_kernelINS0_14default_configENS1_20scan_config_selectorItEEZZNS1_9scan_implILNS1_25lookback_scan_determinismE0ELb0ELb0ES3_N6thrust23THRUST_200600_302600_NS6detail15normal_iteratorINS9_10device_ptrItEEEENS9_16discard_iteratorINS9_11use_defaultEEEt11max_functorItEtEEDaPvRmT3_T4_T5_mT6_P12ihipStream_tbENKUlT_T0_E_clISt17integral_constantIbLb0EESX_EEDaSS_ST_EUlSS_E_NS1_11comp_targetILNS1_3genE8ELNS1_11target_archE1030ELNS1_3gpuE2ELNS1_3repE0EEENS1_30default_config_static_selectorELNS0_4arch9wavefront6targetE1EEEvT1_
	.globl	_ZN7rocprim17ROCPRIM_400000_NS6detail17trampoline_kernelINS0_14default_configENS1_20scan_config_selectorItEEZZNS1_9scan_implILNS1_25lookback_scan_determinismE0ELb0ELb0ES3_N6thrust23THRUST_200600_302600_NS6detail15normal_iteratorINS9_10device_ptrItEEEENS9_16discard_iteratorINS9_11use_defaultEEEt11max_functorItEtEEDaPvRmT3_T4_T5_mT6_P12ihipStream_tbENKUlT_T0_E_clISt17integral_constantIbLb0EESX_EEDaSS_ST_EUlSS_E_NS1_11comp_targetILNS1_3genE8ELNS1_11target_archE1030ELNS1_3gpuE2ELNS1_3repE0EEENS1_30default_config_static_selectorELNS0_4arch9wavefront6targetE1EEEvT1_
	.p2align	8
	.type	_ZN7rocprim17ROCPRIM_400000_NS6detail17trampoline_kernelINS0_14default_configENS1_20scan_config_selectorItEEZZNS1_9scan_implILNS1_25lookback_scan_determinismE0ELb0ELb0ES3_N6thrust23THRUST_200600_302600_NS6detail15normal_iteratorINS9_10device_ptrItEEEENS9_16discard_iteratorINS9_11use_defaultEEEt11max_functorItEtEEDaPvRmT3_T4_T5_mT6_P12ihipStream_tbENKUlT_T0_E_clISt17integral_constantIbLb0EESX_EEDaSS_ST_EUlSS_E_NS1_11comp_targetILNS1_3genE8ELNS1_11target_archE1030ELNS1_3gpuE2ELNS1_3repE0EEENS1_30default_config_static_selectorELNS0_4arch9wavefront6targetE1EEEvT1_,@function
_ZN7rocprim17ROCPRIM_400000_NS6detail17trampoline_kernelINS0_14default_configENS1_20scan_config_selectorItEEZZNS1_9scan_implILNS1_25lookback_scan_determinismE0ELb0ELb0ES3_N6thrust23THRUST_200600_302600_NS6detail15normal_iteratorINS9_10device_ptrItEEEENS9_16discard_iteratorINS9_11use_defaultEEEt11max_functorItEtEEDaPvRmT3_T4_T5_mT6_P12ihipStream_tbENKUlT_T0_E_clISt17integral_constantIbLb0EESX_EEDaSS_ST_EUlSS_E_NS1_11comp_targetILNS1_3genE8ELNS1_11target_archE1030ELNS1_3gpuE2ELNS1_3repE0EEENS1_30default_config_static_selectorELNS0_4arch9wavefront6targetE1EEEvT1_: ; @_ZN7rocprim17ROCPRIM_400000_NS6detail17trampoline_kernelINS0_14default_configENS1_20scan_config_selectorItEEZZNS1_9scan_implILNS1_25lookback_scan_determinismE0ELb0ELb0ES3_N6thrust23THRUST_200600_302600_NS6detail15normal_iteratorINS9_10device_ptrItEEEENS9_16discard_iteratorINS9_11use_defaultEEEt11max_functorItEtEEDaPvRmT3_T4_T5_mT6_P12ihipStream_tbENKUlT_T0_E_clISt17integral_constantIbLb0EESX_EEDaSS_ST_EUlSS_E_NS1_11comp_targetILNS1_3genE8ELNS1_11target_archE1030ELNS1_3gpuE2ELNS1_3repE0EEENS1_30default_config_static_selectorELNS0_4arch9wavefront6targetE1EEEvT1_
; %bb.0:
	.section	.rodata,"a",@progbits
	.p2align	6, 0x0
	.amdhsa_kernel _ZN7rocprim17ROCPRIM_400000_NS6detail17trampoline_kernelINS0_14default_configENS1_20scan_config_selectorItEEZZNS1_9scan_implILNS1_25lookback_scan_determinismE0ELb0ELb0ES3_N6thrust23THRUST_200600_302600_NS6detail15normal_iteratorINS9_10device_ptrItEEEENS9_16discard_iteratorINS9_11use_defaultEEEt11max_functorItEtEEDaPvRmT3_T4_T5_mT6_P12ihipStream_tbENKUlT_T0_E_clISt17integral_constantIbLb0EESX_EEDaSS_ST_EUlSS_E_NS1_11comp_targetILNS1_3genE8ELNS1_11target_archE1030ELNS1_3gpuE2ELNS1_3repE0EEENS1_30default_config_static_selectorELNS0_4arch9wavefront6targetE1EEEvT1_
		.amdhsa_group_segment_fixed_size 0
		.amdhsa_private_segment_fixed_size 0
		.amdhsa_kernarg_size 104
		.amdhsa_user_sgpr_count 6
		.amdhsa_user_sgpr_private_segment_buffer 1
		.amdhsa_user_sgpr_dispatch_ptr 0
		.amdhsa_user_sgpr_queue_ptr 0
		.amdhsa_user_sgpr_kernarg_segment_ptr 1
		.amdhsa_user_sgpr_dispatch_id 0
		.amdhsa_user_sgpr_flat_scratch_init 0
		.amdhsa_user_sgpr_kernarg_preload_length 0
		.amdhsa_user_sgpr_kernarg_preload_offset 0
		.amdhsa_user_sgpr_private_segment_size 0
		.amdhsa_uses_dynamic_stack 0
		.amdhsa_system_sgpr_private_segment_wavefront_offset 0
		.amdhsa_system_sgpr_workgroup_id_x 1
		.amdhsa_system_sgpr_workgroup_id_y 0
		.amdhsa_system_sgpr_workgroup_id_z 0
		.amdhsa_system_sgpr_workgroup_info 0
		.amdhsa_system_vgpr_workitem_id 0
		.amdhsa_next_free_vgpr 1
		.amdhsa_next_free_sgpr 0
		.amdhsa_accum_offset 4
		.amdhsa_reserve_vcc 0
		.amdhsa_reserve_flat_scratch 0
		.amdhsa_float_round_mode_32 0
		.amdhsa_float_round_mode_16_64 0
		.amdhsa_float_denorm_mode_32 3
		.amdhsa_float_denorm_mode_16_64 3
		.amdhsa_dx10_clamp 1
		.amdhsa_ieee_mode 1
		.amdhsa_fp16_overflow 0
		.amdhsa_tg_split 0
		.amdhsa_exception_fp_ieee_invalid_op 0
		.amdhsa_exception_fp_denorm_src 0
		.amdhsa_exception_fp_ieee_div_zero 0
		.amdhsa_exception_fp_ieee_overflow 0
		.amdhsa_exception_fp_ieee_underflow 0
		.amdhsa_exception_fp_ieee_inexact 0
		.amdhsa_exception_int_div_zero 0
	.end_amdhsa_kernel
	.section	.text._ZN7rocprim17ROCPRIM_400000_NS6detail17trampoline_kernelINS0_14default_configENS1_20scan_config_selectorItEEZZNS1_9scan_implILNS1_25lookback_scan_determinismE0ELb0ELb0ES3_N6thrust23THRUST_200600_302600_NS6detail15normal_iteratorINS9_10device_ptrItEEEENS9_16discard_iteratorINS9_11use_defaultEEEt11max_functorItEtEEDaPvRmT3_T4_T5_mT6_P12ihipStream_tbENKUlT_T0_E_clISt17integral_constantIbLb0EESX_EEDaSS_ST_EUlSS_E_NS1_11comp_targetILNS1_3genE8ELNS1_11target_archE1030ELNS1_3gpuE2ELNS1_3repE0EEENS1_30default_config_static_selectorELNS0_4arch9wavefront6targetE1EEEvT1_,"axG",@progbits,_ZN7rocprim17ROCPRIM_400000_NS6detail17trampoline_kernelINS0_14default_configENS1_20scan_config_selectorItEEZZNS1_9scan_implILNS1_25lookback_scan_determinismE0ELb0ELb0ES3_N6thrust23THRUST_200600_302600_NS6detail15normal_iteratorINS9_10device_ptrItEEEENS9_16discard_iteratorINS9_11use_defaultEEEt11max_functorItEtEEDaPvRmT3_T4_T5_mT6_P12ihipStream_tbENKUlT_T0_E_clISt17integral_constantIbLb0EESX_EEDaSS_ST_EUlSS_E_NS1_11comp_targetILNS1_3genE8ELNS1_11target_archE1030ELNS1_3gpuE2ELNS1_3repE0EEENS1_30default_config_static_selectorELNS0_4arch9wavefront6targetE1EEEvT1_,comdat
.Lfunc_end3574:
	.size	_ZN7rocprim17ROCPRIM_400000_NS6detail17trampoline_kernelINS0_14default_configENS1_20scan_config_selectorItEEZZNS1_9scan_implILNS1_25lookback_scan_determinismE0ELb0ELb0ES3_N6thrust23THRUST_200600_302600_NS6detail15normal_iteratorINS9_10device_ptrItEEEENS9_16discard_iteratorINS9_11use_defaultEEEt11max_functorItEtEEDaPvRmT3_T4_T5_mT6_P12ihipStream_tbENKUlT_T0_E_clISt17integral_constantIbLb0EESX_EEDaSS_ST_EUlSS_E_NS1_11comp_targetILNS1_3genE8ELNS1_11target_archE1030ELNS1_3gpuE2ELNS1_3repE0EEENS1_30default_config_static_selectorELNS0_4arch9wavefront6targetE1EEEvT1_, .Lfunc_end3574-_ZN7rocprim17ROCPRIM_400000_NS6detail17trampoline_kernelINS0_14default_configENS1_20scan_config_selectorItEEZZNS1_9scan_implILNS1_25lookback_scan_determinismE0ELb0ELb0ES3_N6thrust23THRUST_200600_302600_NS6detail15normal_iteratorINS9_10device_ptrItEEEENS9_16discard_iteratorINS9_11use_defaultEEEt11max_functorItEtEEDaPvRmT3_T4_T5_mT6_P12ihipStream_tbENKUlT_T0_E_clISt17integral_constantIbLb0EESX_EEDaSS_ST_EUlSS_E_NS1_11comp_targetILNS1_3genE8ELNS1_11target_archE1030ELNS1_3gpuE2ELNS1_3repE0EEENS1_30default_config_static_selectorELNS0_4arch9wavefront6targetE1EEEvT1_
                                        ; -- End function
	.section	.AMDGPU.csdata,"",@progbits
; Kernel info:
; codeLenInByte = 0
; NumSgprs: 4
; NumVgprs: 0
; NumAgprs: 0
; TotalNumVgprs: 0
; ScratchSize: 0
; MemoryBound: 0
; FloatMode: 240
; IeeeMode: 1
; LDSByteSize: 0 bytes/workgroup (compile time only)
; SGPRBlocks: 0
; VGPRBlocks: 0
; NumSGPRsForWavesPerEU: 4
; NumVGPRsForWavesPerEU: 1
; AccumOffset: 4
; Occupancy: 8
; WaveLimiterHint : 0
; COMPUTE_PGM_RSRC2:SCRATCH_EN: 0
; COMPUTE_PGM_RSRC2:USER_SGPR: 6
; COMPUTE_PGM_RSRC2:TRAP_HANDLER: 0
; COMPUTE_PGM_RSRC2:TGID_X_EN: 1
; COMPUTE_PGM_RSRC2:TGID_Y_EN: 0
; COMPUTE_PGM_RSRC2:TGID_Z_EN: 0
; COMPUTE_PGM_RSRC2:TIDIG_COMP_CNT: 0
; COMPUTE_PGM_RSRC3_GFX90A:ACCUM_OFFSET: 0
; COMPUTE_PGM_RSRC3_GFX90A:TG_SPLIT: 0
	.section	.text._ZN7rocprim17ROCPRIM_400000_NS6detail17trampoline_kernelINS0_14default_configENS1_20scan_config_selectorItEEZZNS1_9scan_implILNS1_25lookback_scan_determinismE0ELb0ELb0ES3_N6thrust23THRUST_200600_302600_NS6detail15normal_iteratorINS9_10device_ptrItEEEENS9_16discard_iteratorINS9_11use_defaultEEEt11max_functorItEtEEDaPvRmT3_T4_T5_mT6_P12ihipStream_tbENKUlT_T0_E_clISt17integral_constantIbLb0EESX_EEDaSS_ST_EUlSS_E0_NS1_11comp_targetILNS1_3genE0ELNS1_11target_archE4294967295ELNS1_3gpuE0ELNS1_3repE0EEENS1_30default_config_static_selectorELNS0_4arch9wavefront6targetE1EEEvT1_,"axG",@progbits,_ZN7rocprim17ROCPRIM_400000_NS6detail17trampoline_kernelINS0_14default_configENS1_20scan_config_selectorItEEZZNS1_9scan_implILNS1_25lookback_scan_determinismE0ELb0ELb0ES3_N6thrust23THRUST_200600_302600_NS6detail15normal_iteratorINS9_10device_ptrItEEEENS9_16discard_iteratorINS9_11use_defaultEEEt11max_functorItEtEEDaPvRmT3_T4_T5_mT6_P12ihipStream_tbENKUlT_T0_E_clISt17integral_constantIbLb0EESX_EEDaSS_ST_EUlSS_E0_NS1_11comp_targetILNS1_3genE0ELNS1_11target_archE4294967295ELNS1_3gpuE0ELNS1_3repE0EEENS1_30default_config_static_selectorELNS0_4arch9wavefront6targetE1EEEvT1_,comdat
	.protected	_ZN7rocprim17ROCPRIM_400000_NS6detail17trampoline_kernelINS0_14default_configENS1_20scan_config_selectorItEEZZNS1_9scan_implILNS1_25lookback_scan_determinismE0ELb0ELb0ES3_N6thrust23THRUST_200600_302600_NS6detail15normal_iteratorINS9_10device_ptrItEEEENS9_16discard_iteratorINS9_11use_defaultEEEt11max_functorItEtEEDaPvRmT3_T4_T5_mT6_P12ihipStream_tbENKUlT_T0_E_clISt17integral_constantIbLb0EESX_EEDaSS_ST_EUlSS_E0_NS1_11comp_targetILNS1_3genE0ELNS1_11target_archE4294967295ELNS1_3gpuE0ELNS1_3repE0EEENS1_30default_config_static_selectorELNS0_4arch9wavefront6targetE1EEEvT1_ ; -- Begin function _ZN7rocprim17ROCPRIM_400000_NS6detail17trampoline_kernelINS0_14default_configENS1_20scan_config_selectorItEEZZNS1_9scan_implILNS1_25lookback_scan_determinismE0ELb0ELb0ES3_N6thrust23THRUST_200600_302600_NS6detail15normal_iteratorINS9_10device_ptrItEEEENS9_16discard_iteratorINS9_11use_defaultEEEt11max_functorItEtEEDaPvRmT3_T4_T5_mT6_P12ihipStream_tbENKUlT_T0_E_clISt17integral_constantIbLb0EESX_EEDaSS_ST_EUlSS_E0_NS1_11comp_targetILNS1_3genE0ELNS1_11target_archE4294967295ELNS1_3gpuE0ELNS1_3repE0EEENS1_30default_config_static_selectorELNS0_4arch9wavefront6targetE1EEEvT1_
	.globl	_ZN7rocprim17ROCPRIM_400000_NS6detail17trampoline_kernelINS0_14default_configENS1_20scan_config_selectorItEEZZNS1_9scan_implILNS1_25lookback_scan_determinismE0ELb0ELb0ES3_N6thrust23THRUST_200600_302600_NS6detail15normal_iteratorINS9_10device_ptrItEEEENS9_16discard_iteratorINS9_11use_defaultEEEt11max_functorItEtEEDaPvRmT3_T4_T5_mT6_P12ihipStream_tbENKUlT_T0_E_clISt17integral_constantIbLb0EESX_EEDaSS_ST_EUlSS_E0_NS1_11comp_targetILNS1_3genE0ELNS1_11target_archE4294967295ELNS1_3gpuE0ELNS1_3repE0EEENS1_30default_config_static_selectorELNS0_4arch9wavefront6targetE1EEEvT1_
	.p2align	8
	.type	_ZN7rocprim17ROCPRIM_400000_NS6detail17trampoline_kernelINS0_14default_configENS1_20scan_config_selectorItEEZZNS1_9scan_implILNS1_25lookback_scan_determinismE0ELb0ELb0ES3_N6thrust23THRUST_200600_302600_NS6detail15normal_iteratorINS9_10device_ptrItEEEENS9_16discard_iteratorINS9_11use_defaultEEEt11max_functorItEtEEDaPvRmT3_T4_T5_mT6_P12ihipStream_tbENKUlT_T0_E_clISt17integral_constantIbLb0EESX_EEDaSS_ST_EUlSS_E0_NS1_11comp_targetILNS1_3genE0ELNS1_11target_archE4294967295ELNS1_3gpuE0ELNS1_3repE0EEENS1_30default_config_static_selectorELNS0_4arch9wavefront6targetE1EEEvT1_,@function
_ZN7rocprim17ROCPRIM_400000_NS6detail17trampoline_kernelINS0_14default_configENS1_20scan_config_selectorItEEZZNS1_9scan_implILNS1_25lookback_scan_determinismE0ELb0ELb0ES3_N6thrust23THRUST_200600_302600_NS6detail15normal_iteratorINS9_10device_ptrItEEEENS9_16discard_iteratorINS9_11use_defaultEEEt11max_functorItEtEEDaPvRmT3_T4_T5_mT6_P12ihipStream_tbENKUlT_T0_E_clISt17integral_constantIbLb0EESX_EEDaSS_ST_EUlSS_E0_NS1_11comp_targetILNS1_3genE0ELNS1_11target_archE4294967295ELNS1_3gpuE0ELNS1_3repE0EEENS1_30default_config_static_selectorELNS0_4arch9wavefront6targetE1EEEvT1_: ; @_ZN7rocprim17ROCPRIM_400000_NS6detail17trampoline_kernelINS0_14default_configENS1_20scan_config_selectorItEEZZNS1_9scan_implILNS1_25lookback_scan_determinismE0ELb0ELb0ES3_N6thrust23THRUST_200600_302600_NS6detail15normal_iteratorINS9_10device_ptrItEEEENS9_16discard_iteratorINS9_11use_defaultEEEt11max_functorItEtEEDaPvRmT3_T4_T5_mT6_P12ihipStream_tbENKUlT_T0_E_clISt17integral_constantIbLb0EESX_EEDaSS_ST_EUlSS_E0_NS1_11comp_targetILNS1_3genE0ELNS1_11target_archE4294967295ELNS1_3gpuE0ELNS1_3repE0EEENS1_30default_config_static_selectorELNS0_4arch9wavefront6targetE1EEEvT1_
; %bb.0:
	.section	.rodata,"a",@progbits
	.p2align	6, 0x0
	.amdhsa_kernel _ZN7rocprim17ROCPRIM_400000_NS6detail17trampoline_kernelINS0_14default_configENS1_20scan_config_selectorItEEZZNS1_9scan_implILNS1_25lookback_scan_determinismE0ELb0ELb0ES3_N6thrust23THRUST_200600_302600_NS6detail15normal_iteratorINS9_10device_ptrItEEEENS9_16discard_iteratorINS9_11use_defaultEEEt11max_functorItEtEEDaPvRmT3_T4_T5_mT6_P12ihipStream_tbENKUlT_T0_E_clISt17integral_constantIbLb0EESX_EEDaSS_ST_EUlSS_E0_NS1_11comp_targetILNS1_3genE0ELNS1_11target_archE4294967295ELNS1_3gpuE0ELNS1_3repE0EEENS1_30default_config_static_selectorELNS0_4arch9wavefront6targetE1EEEvT1_
		.amdhsa_group_segment_fixed_size 0
		.amdhsa_private_segment_fixed_size 0
		.amdhsa_kernarg_size 40
		.amdhsa_user_sgpr_count 6
		.amdhsa_user_sgpr_private_segment_buffer 1
		.amdhsa_user_sgpr_dispatch_ptr 0
		.amdhsa_user_sgpr_queue_ptr 0
		.amdhsa_user_sgpr_kernarg_segment_ptr 1
		.amdhsa_user_sgpr_dispatch_id 0
		.amdhsa_user_sgpr_flat_scratch_init 0
		.amdhsa_user_sgpr_kernarg_preload_length 0
		.amdhsa_user_sgpr_kernarg_preload_offset 0
		.amdhsa_user_sgpr_private_segment_size 0
		.amdhsa_uses_dynamic_stack 0
		.amdhsa_system_sgpr_private_segment_wavefront_offset 0
		.amdhsa_system_sgpr_workgroup_id_x 1
		.amdhsa_system_sgpr_workgroup_id_y 0
		.amdhsa_system_sgpr_workgroup_id_z 0
		.amdhsa_system_sgpr_workgroup_info 0
		.amdhsa_system_vgpr_workitem_id 0
		.amdhsa_next_free_vgpr 1
		.amdhsa_next_free_sgpr 0
		.amdhsa_accum_offset 4
		.amdhsa_reserve_vcc 0
		.amdhsa_reserve_flat_scratch 0
		.amdhsa_float_round_mode_32 0
		.amdhsa_float_round_mode_16_64 0
		.amdhsa_float_denorm_mode_32 3
		.amdhsa_float_denorm_mode_16_64 3
		.amdhsa_dx10_clamp 1
		.amdhsa_ieee_mode 1
		.amdhsa_fp16_overflow 0
		.amdhsa_tg_split 0
		.amdhsa_exception_fp_ieee_invalid_op 0
		.amdhsa_exception_fp_denorm_src 0
		.amdhsa_exception_fp_ieee_div_zero 0
		.amdhsa_exception_fp_ieee_overflow 0
		.amdhsa_exception_fp_ieee_underflow 0
		.amdhsa_exception_fp_ieee_inexact 0
		.amdhsa_exception_int_div_zero 0
	.end_amdhsa_kernel
	.section	.text._ZN7rocprim17ROCPRIM_400000_NS6detail17trampoline_kernelINS0_14default_configENS1_20scan_config_selectorItEEZZNS1_9scan_implILNS1_25lookback_scan_determinismE0ELb0ELb0ES3_N6thrust23THRUST_200600_302600_NS6detail15normal_iteratorINS9_10device_ptrItEEEENS9_16discard_iteratorINS9_11use_defaultEEEt11max_functorItEtEEDaPvRmT3_T4_T5_mT6_P12ihipStream_tbENKUlT_T0_E_clISt17integral_constantIbLb0EESX_EEDaSS_ST_EUlSS_E0_NS1_11comp_targetILNS1_3genE0ELNS1_11target_archE4294967295ELNS1_3gpuE0ELNS1_3repE0EEENS1_30default_config_static_selectorELNS0_4arch9wavefront6targetE1EEEvT1_,"axG",@progbits,_ZN7rocprim17ROCPRIM_400000_NS6detail17trampoline_kernelINS0_14default_configENS1_20scan_config_selectorItEEZZNS1_9scan_implILNS1_25lookback_scan_determinismE0ELb0ELb0ES3_N6thrust23THRUST_200600_302600_NS6detail15normal_iteratorINS9_10device_ptrItEEEENS9_16discard_iteratorINS9_11use_defaultEEEt11max_functorItEtEEDaPvRmT3_T4_T5_mT6_P12ihipStream_tbENKUlT_T0_E_clISt17integral_constantIbLb0EESX_EEDaSS_ST_EUlSS_E0_NS1_11comp_targetILNS1_3genE0ELNS1_11target_archE4294967295ELNS1_3gpuE0ELNS1_3repE0EEENS1_30default_config_static_selectorELNS0_4arch9wavefront6targetE1EEEvT1_,comdat
.Lfunc_end3575:
	.size	_ZN7rocprim17ROCPRIM_400000_NS6detail17trampoline_kernelINS0_14default_configENS1_20scan_config_selectorItEEZZNS1_9scan_implILNS1_25lookback_scan_determinismE0ELb0ELb0ES3_N6thrust23THRUST_200600_302600_NS6detail15normal_iteratorINS9_10device_ptrItEEEENS9_16discard_iteratorINS9_11use_defaultEEEt11max_functorItEtEEDaPvRmT3_T4_T5_mT6_P12ihipStream_tbENKUlT_T0_E_clISt17integral_constantIbLb0EESX_EEDaSS_ST_EUlSS_E0_NS1_11comp_targetILNS1_3genE0ELNS1_11target_archE4294967295ELNS1_3gpuE0ELNS1_3repE0EEENS1_30default_config_static_selectorELNS0_4arch9wavefront6targetE1EEEvT1_, .Lfunc_end3575-_ZN7rocprim17ROCPRIM_400000_NS6detail17trampoline_kernelINS0_14default_configENS1_20scan_config_selectorItEEZZNS1_9scan_implILNS1_25lookback_scan_determinismE0ELb0ELb0ES3_N6thrust23THRUST_200600_302600_NS6detail15normal_iteratorINS9_10device_ptrItEEEENS9_16discard_iteratorINS9_11use_defaultEEEt11max_functorItEtEEDaPvRmT3_T4_T5_mT6_P12ihipStream_tbENKUlT_T0_E_clISt17integral_constantIbLb0EESX_EEDaSS_ST_EUlSS_E0_NS1_11comp_targetILNS1_3genE0ELNS1_11target_archE4294967295ELNS1_3gpuE0ELNS1_3repE0EEENS1_30default_config_static_selectorELNS0_4arch9wavefront6targetE1EEEvT1_
                                        ; -- End function
	.section	.AMDGPU.csdata,"",@progbits
; Kernel info:
; codeLenInByte = 0
; NumSgprs: 4
; NumVgprs: 0
; NumAgprs: 0
; TotalNumVgprs: 0
; ScratchSize: 0
; MemoryBound: 0
; FloatMode: 240
; IeeeMode: 1
; LDSByteSize: 0 bytes/workgroup (compile time only)
; SGPRBlocks: 0
; VGPRBlocks: 0
; NumSGPRsForWavesPerEU: 4
; NumVGPRsForWavesPerEU: 1
; AccumOffset: 4
; Occupancy: 8
; WaveLimiterHint : 0
; COMPUTE_PGM_RSRC2:SCRATCH_EN: 0
; COMPUTE_PGM_RSRC2:USER_SGPR: 6
; COMPUTE_PGM_RSRC2:TRAP_HANDLER: 0
; COMPUTE_PGM_RSRC2:TGID_X_EN: 1
; COMPUTE_PGM_RSRC2:TGID_Y_EN: 0
; COMPUTE_PGM_RSRC2:TGID_Z_EN: 0
; COMPUTE_PGM_RSRC2:TIDIG_COMP_CNT: 0
; COMPUTE_PGM_RSRC3_GFX90A:ACCUM_OFFSET: 0
; COMPUTE_PGM_RSRC3_GFX90A:TG_SPLIT: 0
	.section	.text._ZN7rocprim17ROCPRIM_400000_NS6detail17trampoline_kernelINS0_14default_configENS1_20scan_config_selectorItEEZZNS1_9scan_implILNS1_25lookback_scan_determinismE0ELb0ELb0ES3_N6thrust23THRUST_200600_302600_NS6detail15normal_iteratorINS9_10device_ptrItEEEENS9_16discard_iteratorINS9_11use_defaultEEEt11max_functorItEtEEDaPvRmT3_T4_T5_mT6_P12ihipStream_tbENKUlT_T0_E_clISt17integral_constantIbLb0EESX_EEDaSS_ST_EUlSS_E0_NS1_11comp_targetILNS1_3genE5ELNS1_11target_archE942ELNS1_3gpuE9ELNS1_3repE0EEENS1_30default_config_static_selectorELNS0_4arch9wavefront6targetE1EEEvT1_,"axG",@progbits,_ZN7rocprim17ROCPRIM_400000_NS6detail17trampoline_kernelINS0_14default_configENS1_20scan_config_selectorItEEZZNS1_9scan_implILNS1_25lookback_scan_determinismE0ELb0ELb0ES3_N6thrust23THRUST_200600_302600_NS6detail15normal_iteratorINS9_10device_ptrItEEEENS9_16discard_iteratorINS9_11use_defaultEEEt11max_functorItEtEEDaPvRmT3_T4_T5_mT6_P12ihipStream_tbENKUlT_T0_E_clISt17integral_constantIbLb0EESX_EEDaSS_ST_EUlSS_E0_NS1_11comp_targetILNS1_3genE5ELNS1_11target_archE942ELNS1_3gpuE9ELNS1_3repE0EEENS1_30default_config_static_selectorELNS0_4arch9wavefront6targetE1EEEvT1_,comdat
	.protected	_ZN7rocprim17ROCPRIM_400000_NS6detail17trampoline_kernelINS0_14default_configENS1_20scan_config_selectorItEEZZNS1_9scan_implILNS1_25lookback_scan_determinismE0ELb0ELb0ES3_N6thrust23THRUST_200600_302600_NS6detail15normal_iteratorINS9_10device_ptrItEEEENS9_16discard_iteratorINS9_11use_defaultEEEt11max_functorItEtEEDaPvRmT3_T4_T5_mT6_P12ihipStream_tbENKUlT_T0_E_clISt17integral_constantIbLb0EESX_EEDaSS_ST_EUlSS_E0_NS1_11comp_targetILNS1_3genE5ELNS1_11target_archE942ELNS1_3gpuE9ELNS1_3repE0EEENS1_30default_config_static_selectorELNS0_4arch9wavefront6targetE1EEEvT1_ ; -- Begin function _ZN7rocprim17ROCPRIM_400000_NS6detail17trampoline_kernelINS0_14default_configENS1_20scan_config_selectorItEEZZNS1_9scan_implILNS1_25lookback_scan_determinismE0ELb0ELb0ES3_N6thrust23THRUST_200600_302600_NS6detail15normal_iteratorINS9_10device_ptrItEEEENS9_16discard_iteratorINS9_11use_defaultEEEt11max_functorItEtEEDaPvRmT3_T4_T5_mT6_P12ihipStream_tbENKUlT_T0_E_clISt17integral_constantIbLb0EESX_EEDaSS_ST_EUlSS_E0_NS1_11comp_targetILNS1_3genE5ELNS1_11target_archE942ELNS1_3gpuE9ELNS1_3repE0EEENS1_30default_config_static_selectorELNS0_4arch9wavefront6targetE1EEEvT1_
	.globl	_ZN7rocprim17ROCPRIM_400000_NS6detail17trampoline_kernelINS0_14default_configENS1_20scan_config_selectorItEEZZNS1_9scan_implILNS1_25lookback_scan_determinismE0ELb0ELb0ES3_N6thrust23THRUST_200600_302600_NS6detail15normal_iteratorINS9_10device_ptrItEEEENS9_16discard_iteratorINS9_11use_defaultEEEt11max_functorItEtEEDaPvRmT3_T4_T5_mT6_P12ihipStream_tbENKUlT_T0_E_clISt17integral_constantIbLb0EESX_EEDaSS_ST_EUlSS_E0_NS1_11comp_targetILNS1_3genE5ELNS1_11target_archE942ELNS1_3gpuE9ELNS1_3repE0EEENS1_30default_config_static_selectorELNS0_4arch9wavefront6targetE1EEEvT1_
	.p2align	8
	.type	_ZN7rocprim17ROCPRIM_400000_NS6detail17trampoline_kernelINS0_14default_configENS1_20scan_config_selectorItEEZZNS1_9scan_implILNS1_25lookback_scan_determinismE0ELb0ELb0ES3_N6thrust23THRUST_200600_302600_NS6detail15normal_iteratorINS9_10device_ptrItEEEENS9_16discard_iteratorINS9_11use_defaultEEEt11max_functorItEtEEDaPvRmT3_T4_T5_mT6_P12ihipStream_tbENKUlT_T0_E_clISt17integral_constantIbLb0EESX_EEDaSS_ST_EUlSS_E0_NS1_11comp_targetILNS1_3genE5ELNS1_11target_archE942ELNS1_3gpuE9ELNS1_3repE0EEENS1_30default_config_static_selectorELNS0_4arch9wavefront6targetE1EEEvT1_,@function
_ZN7rocprim17ROCPRIM_400000_NS6detail17trampoline_kernelINS0_14default_configENS1_20scan_config_selectorItEEZZNS1_9scan_implILNS1_25lookback_scan_determinismE0ELb0ELb0ES3_N6thrust23THRUST_200600_302600_NS6detail15normal_iteratorINS9_10device_ptrItEEEENS9_16discard_iteratorINS9_11use_defaultEEEt11max_functorItEtEEDaPvRmT3_T4_T5_mT6_P12ihipStream_tbENKUlT_T0_E_clISt17integral_constantIbLb0EESX_EEDaSS_ST_EUlSS_E0_NS1_11comp_targetILNS1_3genE5ELNS1_11target_archE942ELNS1_3gpuE9ELNS1_3repE0EEENS1_30default_config_static_selectorELNS0_4arch9wavefront6targetE1EEEvT1_: ; @_ZN7rocprim17ROCPRIM_400000_NS6detail17trampoline_kernelINS0_14default_configENS1_20scan_config_selectorItEEZZNS1_9scan_implILNS1_25lookback_scan_determinismE0ELb0ELb0ES3_N6thrust23THRUST_200600_302600_NS6detail15normal_iteratorINS9_10device_ptrItEEEENS9_16discard_iteratorINS9_11use_defaultEEEt11max_functorItEtEEDaPvRmT3_T4_T5_mT6_P12ihipStream_tbENKUlT_T0_E_clISt17integral_constantIbLb0EESX_EEDaSS_ST_EUlSS_E0_NS1_11comp_targetILNS1_3genE5ELNS1_11target_archE942ELNS1_3gpuE9ELNS1_3repE0EEENS1_30default_config_static_selectorELNS0_4arch9wavefront6targetE1EEEvT1_
; %bb.0:
	.section	.rodata,"a",@progbits
	.p2align	6, 0x0
	.amdhsa_kernel _ZN7rocprim17ROCPRIM_400000_NS6detail17trampoline_kernelINS0_14default_configENS1_20scan_config_selectorItEEZZNS1_9scan_implILNS1_25lookback_scan_determinismE0ELb0ELb0ES3_N6thrust23THRUST_200600_302600_NS6detail15normal_iteratorINS9_10device_ptrItEEEENS9_16discard_iteratorINS9_11use_defaultEEEt11max_functorItEtEEDaPvRmT3_T4_T5_mT6_P12ihipStream_tbENKUlT_T0_E_clISt17integral_constantIbLb0EESX_EEDaSS_ST_EUlSS_E0_NS1_11comp_targetILNS1_3genE5ELNS1_11target_archE942ELNS1_3gpuE9ELNS1_3repE0EEENS1_30default_config_static_selectorELNS0_4arch9wavefront6targetE1EEEvT1_
		.amdhsa_group_segment_fixed_size 0
		.amdhsa_private_segment_fixed_size 0
		.amdhsa_kernarg_size 40
		.amdhsa_user_sgpr_count 6
		.amdhsa_user_sgpr_private_segment_buffer 1
		.amdhsa_user_sgpr_dispatch_ptr 0
		.amdhsa_user_sgpr_queue_ptr 0
		.amdhsa_user_sgpr_kernarg_segment_ptr 1
		.amdhsa_user_sgpr_dispatch_id 0
		.amdhsa_user_sgpr_flat_scratch_init 0
		.amdhsa_user_sgpr_kernarg_preload_length 0
		.amdhsa_user_sgpr_kernarg_preload_offset 0
		.amdhsa_user_sgpr_private_segment_size 0
		.amdhsa_uses_dynamic_stack 0
		.amdhsa_system_sgpr_private_segment_wavefront_offset 0
		.amdhsa_system_sgpr_workgroup_id_x 1
		.amdhsa_system_sgpr_workgroup_id_y 0
		.amdhsa_system_sgpr_workgroup_id_z 0
		.amdhsa_system_sgpr_workgroup_info 0
		.amdhsa_system_vgpr_workitem_id 0
		.amdhsa_next_free_vgpr 1
		.amdhsa_next_free_sgpr 0
		.amdhsa_accum_offset 4
		.amdhsa_reserve_vcc 0
		.amdhsa_reserve_flat_scratch 0
		.amdhsa_float_round_mode_32 0
		.amdhsa_float_round_mode_16_64 0
		.amdhsa_float_denorm_mode_32 3
		.amdhsa_float_denorm_mode_16_64 3
		.amdhsa_dx10_clamp 1
		.amdhsa_ieee_mode 1
		.amdhsa_fp16_overflow 0
		.amdhsa_tg_split 0
		.amdhsa_exception_fp_ieee_invalid_op 0
		.amdhsa_exception_fp_denorm_src 0
		.amdhsa_exception_fp_ieee_div_zero 0
		.amdhsa_exception_fp_ieee_overflow 0
		.amdhsa_exception_fp_ieee_underflow 0
		.amdhsa_exception_fp_ieee_inexact 0
		.amdhsa_exception_int_div_zero 0
	.end_amdhsa_kernel
	.section	.text._ZN7rocprim17ROCPRIM_400000_NS6detail17trampoline_kernelINS0_14default_configENS1_20scan_config_selectorItEEZZNS1_9scan_implILNS1_25lookback_scan_determinismE0ELb0ELb0ES3_N6thrust23THRUST_200600_302600_NS6detail15normal_iteratorINS9_10device_ptrItEEEENS9_16discard_iteratorINS9_11use_defaultEEEt11max_functorItEtEEDaPvRmT3_T4_T5_mT6_P12ihipStream_tbENKUlT_T0_E_clISt17integral_constantIbLb0EESX_EEDaSS_ST_EUlSS_E0_NS1_11comp_targetILNS1_3genE5ELNS1_11target_archE942ELNS1_3gpuE9ELNS1_3repE0EEENS1_30default_config_static_selectorELNS0_4arch9wavefront6targetE1EEEvT1_,"axG",@progbits,_ZN7rocprim17ROCPRIM_400000_NS6detail17trampoline_kernelINS0_14default_configENS1_20scan_config_selectorItEEZZNS1_9scan_implILNS1_25lookback_scan_determinismE0ELb0ELb0ES3_N6thrust23THRUST_200600_302600_NS6detail15normal_iteratorINS9_10device_ptrItEEEENS9_16discard_iteratorINS9_11use_defaultEEEt11max_functorItEtEEDaPvRmT3_T4_T5_mT6_P12ihipStream_tbENKUlT_T0_E_clISt17integral_constantIbLb0EESX_EEDaSS_ST_EUlSS_E0_NS1_11comp_targetILNS1_3genE5ELNS1_11target_archE942ELNS1_3gpuE9ELNS1_3repE0EEENS1_30default_config_static_selectorELNS0_4arch9wavefront6targetE1EEEvT1_,comdat
.Lfunc_end3576:
	.size	_ZN7rocprim17ROCPRIM_400000_NS6detail17trampoline_kernelINS0_14default_configENS1_20scan_config_selectorItEEZZNS1_9scan_implILNS1_25lookback_scan_determinismE0ELb0ELb0ES3_N6thrust23THRUST_200600_302600_NS6detail15normal_iteratorINS9_10device_ptrItEEEENS9_16discard_iteratorINS9_11use_defaultEEEt11max_functorItEtEEDaPvRmT3_T4_T5_mT6_P12ihipStream_tbENKUlT_T0_E_clISt17integral_constantIbLb0EESX_EEDaSS_ST_EUlSS_E0_NS1_11comp_targetILNS1_3genE5ELNS1_11target_archE942ELNS1_3gpuE9ELNS1_3repE0EEENS1_30default_config_static_selectorELNS0_4arch9wavefront6targetE1EEEvT1_, .Lfunc_end3576-_ZN7rocprim17ROCPRIM_400000_NS6detail17trampoline_kernelINS0_14default_configENS1_20scan_config_selectorItEEZZNS1_9scan_implILNS1_25lookback_scan_determinismE0ELb0ELb0ES3_N6thrust23THRUST_200600_302600_NS6detail15normal_iteratorINS9_10device_ptrItEEEENS9_16discard_iteratorINS9_11use_defaultEEEt11max_functorItEtEEDaPvRmT3_T4_T5_mT6_P12ihipStream_tbENKUlT_T0_E_clISt17integral_constantIbLb0EESX_EEDaSS_ST_EUlSS_E0_NS1_11comp_targetILNS1_3genE5ELNS1_11target_archE942ELNS1_3gpuE9ELNS1_3repE0EEENS1_30default_config_static_selectorELNS0_4arch9wavefront6targetE1EEEvT1_
                                        ; -- End function
	.section	.AMDGPU.csdata,"",@progbits
; Kernel info:
; codeLenInByte = 0
; NumSgprs: 4
; NumVgprs: 0
; NumAgprs: 0
; TotalNumVgprs: 0
; ScratchSize: 0
; MemoryBound: 0
; FloatMode: 240
; IeeeMode: 1
; LDSByteSize: 0 bytes/workgroup (compile time only)
; SGPRBlocks: 0
; VGPRBlocks: 0
; NumSGPRsForWavesPerEU: 4
; NumVGPRsForWavesPerEU: 1
; AccumOffset: 4
; Occupancy: 8
; WaveLimiterHint : 0
; COMPUTE_PGM_RSRC2:SCRATCH_EN: 0
; COMPUTE_PGM_RSRC2:USER_SGPR: 6
; COMPUTE_PGM_RSRC2:TRAP_HANDLER: 0
; COMPUTE_PGM_RSRC2:TGID_X_EN: 1
; COMPUTE_PGM_RSRC2:TGID_Y_EN: 0
; COMPUTE_PGM_RSRC2:TGID_Z_EN: 0
; COMPUTE_PGM_RSRC2:TIDIG_COMP_CNT: 0
; COMPUTE_PGM_RSRC3_GFX90A:ACCUM_OFFSET: 0
; COMPUTE_PGM_RSRC3_GFX90A:TG_SPLIT: 0
	.section	.text._ZN7rocprim17ROCPRIM_400000_NS6detail17trampoline_kernelINS0_14default_configENS1_20scan_config_selectorItEEZZNS1_9scan_implILNS1_25lookback_scan_determinismE0ELb0ELb0ES3_N6thrust23THRUST_200600_302600_NS6detail15normal_iteratorINS9_10device_ptrItEEEENS9_16discard_iteratorINS9_11use_defaultEEEt11max_functorItEtEEDaPvRmT3_T4_T5_mT6_P12ihipStream_tbENKUlT_T0_E_clISt17integral_constantIbLb0EESX_EEDaSS_ST_EUlSS_E0_NS1_11comp_targetILNS1_3genE4ELNS1_11target_archE910ELNS1_3gpuE8ELNS1_3repE0EEENS1_30default_config_static_selectorELNS0_4arch9wavefront6targetE1EEEvT1_,"axG",@progbits,_ZN7rocprim17ROCPRIM_400000_NS6detail17trampoline_kernelINS0_14default_configENS1_20scan_config_selectorItEEZZNS1_9scan_implILNS1_25lookback_scan_determinismE0ELb0ELb0ES3_N6thrust23THRUST_200600_302600_NS6detail15normal_iteratorINS9_10device_ptrItEEEENS9_16discard_iteratorINS9_11use_defaultEEEt11max_functorItEtEEDaPvRmT3_T4_T5_mT6_P12ihipStream_tbENKUlT_T0_E_clISt17integral_constantIbLb0EESX_EEDaSS_ST_EUlSS_E0_NS1_11comp_targetILNS1_3genE4ELNS1_11target_archE910ELNS1_3gpuE8ELNS1_3repE0EEENS1_30default_config_static_selectorELNS0_4arch9wavefront6targetE1EEEvT1_,comdat
	.protected	_ZN7rocprim17ROCPRIM_400000_NS6detail17trampoline_kernelINS0_14default_configENS1_20scan_config_selectorItEEZZNS1_9scan_implILNS1_25lookback_scan_determinismE0ELb0ELb0ES3_N6thrust23THRUST_200600_302600_NS6detail15normal_iteratorINS9_10device_ptrItEEEENS9_16discard_iteratorINS9_11use_defaultEEEt11max_functorItEtEEDaPvRmT3_T4_T5_mT6_P12ihipStream_tbENKUlT_T0_E_clISt17integral_constantIbLb0EESX_EEDaSS_ST_EUlSS_E0_NS1_11comp_targetILNS1_3genE4ELNS1_11target_archE910ELNS1_3gpuE8ELNS1_3repE0EEENS1_30default_config_static_selectorELNS0_4arch9wavefront6targetE1EEEvT1_ ; -- Begin function _ZN7rocprim17ROCPRIM_400000_NS6detail17trampoline_kernelINS0_14default_configENS1_20scan_config_selectorItEEZZNS1_9scan_implILNS1_25lookback_scan_determinismE0ELb0ELb0ES3_N6thrust23THRUST_200600_302600_NS6detail15normal_iteratorINS9_10device_ptrItEEEENS9_16discard_iteratorINS9_11use_defaultEEEt11max_functorItEtEEDaPvRmT3_T4_T5_mT6_P12ihipStream_tbENKUlT_T0_E_clISt17integral_constantIbLb0EESX_EEDaSS_ST_EUlSS_E0_NS1_11comp_targetILNS1_3genE4ELNS1_11target_archE910ELNS1_3gpuE8ELNS1_3repE0EEENS1_30default_config_static_selectorELNS0_4arch9wavefront6targetE1EEEvT1_
	.globl	_ZN7rocprim17ROCPRIM_400000_NS6detail17trampoline_kernelINS0_14default_configENS1_20scan_config_selectorItEEZZNS1_9scan_implILNS1_25lookback_scan_determinismE0ELb0ELb0ES3_N6thrust23THRUST_200600_302600_NS6detail15normal_iteratorINS9_10device_ptrItEEEENS9_16discard_iteratorINS9_11use_defaultEEEt11max_functorItEtEEDaPvRmT3_T4_T5_mT6_P12ihipStream_tbENKUlT_T0_E_clISt17integral_constantIbLb0EESX_EEDaSS_ST_EUlSS_E0_NS1_11comp_targetILNS1_3genE4ELNS1_11target_archE910ELNS1_3gpuE8ELNS1_3repE0EEENS1_30default_config_static_selectorELNS0_4arch9wavefront6targetE1EEEvT1_
	.p2align	8
	.type	_ZN7rocprim17ROCPRIM_400000_NS6detail17trampoline_kernelINS0_14default_configENS1_20scan_config_selectorItEEZZNS1_9scan_implILNS1_25lookback_scan_determinismE0ELb0ELb0ES3_N6thrust23THRUST_200600_302600_NS6detail15normal_iteratorINS9_10device_ptrItEEEENS9_16discard_iteratorINS9_11use_defaultEEEt11max_functorItEtEEDaPvRmT3_T4_T5_mT6_P12ihipStream_tbENKUlT_T0_E_clISt17integral_constantIbLb0EESX_EEDaSS_ST_EUlSS_E0_NS1_11comp_targetILNS1_3genE4ELNS1_11target_archE910ELNS1_3gpuE8ELNS1_3repE0EEENS1_30default_config_static_selectorELNS0_4arch9wavefront6targetE1EEEvT1_,@function
_ZN7rocprim17ROCPRIM_400000_NS6detail17trampoline_kernelINS0_14default_configENS1_20scan_config_selectorItEEZZNS1_9scan_implILNS1_25lookback_scan_determinismE0ELb0ELb0ES3_N6thrust23THRUST_200600_302600_NS6detail15normal_iteratorINS9_10device_ptrItEEEENS9_16discard_iteratorINS9_11use_defaultEEEt11max_functorItEtEEDaPvRmT3_T4_T5_mT6_P12ihipStream_tbENKUlT_T0_E_clISt17integral_constantIbLb0EESX_EEDaSS_ST_EUlSS_E0_NS1_11comp_targetILNS1_3genE4ELNS1_11target_archE910ELNS1_3gpuE8ELNS1_3repE0EEENS1_30default_config_static_selectorELNS0_4arch9wavefront6targetE1EEEvT1_: ; @_ZN7rocprim17ROCPRIM_400000_NS6detail17trampoline_kernelINS0_14default_configENS1_20scan_config_selectorItEEZZNS1_9scan_implILNS1_25lookback_scan_determinismE0ELb0ELb0ES3_N6thrust23THRUST_200600_302600_NS6detail15normal_iteratorINS9_10device_ptrItEEEENS9_16discard_iteratorINS9_11use_defaultEEEt11max_functorItEtEEDaPvRmT3_T4_T5_mT6_P12ihipStream_tbENKUlT_T0_E_clISt17integral_constantIbLb0EESX_EEDaSS_ST_EUlSS_E0_NS1_11comp_targetILNS1_3genE4ELNS1_11target_archE910ELNS1_3gpuE8ELNS1_3repE0EEENS1_30default_config_static_selectorELNS0_4arch9wavefront6targetE1EEEvT1_
; %bb.0:
	s_load_dwordx4 s[0:3], s[4:5], 0x0
	v_mov_b32_e32 v1, 0
	s_waitcnt lgkmcnt(0)
	global_load_ushort v2, v1, s[0:1]
	v_cmp_gt_u32_e32 vcc, s2, v0
	v_lshlrev_b32_e32 v1, 1, v0
	s_waitcnt vmcnt(0)
	v_mov_b32_e32 v3, v2
	s_and_saveexec_b64 s[4:5], vcc
	s_cbranch_execz .LBB3577_2
; %bb.1:
	global_load_ushort v3, v1, s[0:1]
.LBB3577_2:
	s_or_b64 exec, exec, s[4:5]
	v_or_b32_e32 v4, 64, v0
	v_cmp_gt_u32_e32 vcc, s2, v4
	v_mov_b32_e32 v4, v2
	s_and_saveexec_b64 s[4:5], vcc
	s_cbranch_execz .LBB3577_4
; %bb.3:
	global_load_ushort v4, v1, s[0:1] offset:128
.LBB3577_4:
	s_or_b64 exec, exec, s[4:5]
	v_or_b32_e32 v5, 0x80, v0
	v_cmp_gt_u32_e32 vcc, s2, v5
	v_mov_b32_e32 v5, v2
	s_and_saveexec_b64 s[4:5], vcc
	s_cbranch_execz .LBB3577_6
; %bb.5:
	global_load_ushort v5, v1, s[0:1] offset:256
.LBB3577_6:
	;; [unrolled: 9-line block ×22, first 2 shown]
	s_or_b64 exec, exec, s[4:5]
	v_or_b32_e32 v26, 0x5c0, v0
	v_cmp_gt_u32_e32 vcc, s2, v26
	s_and_saveexec_b64 s[2:3], vcc
	s_cbranch_execz .LBB3577_48
; %bb.47:
	global_load_ushort v2, v1, s[0:1] offset:2944
.LBB3577_48:
	s_or_b64 exec, exec, s[2:3]
	s_waitcnt vmcnt(0)
	ds_write_b16 v1, v3
	ds_write_b16 v1, v4 offset:128
	ds_write_b16 v1, v5 offset:256
	;; [unrolled: 1-line block ×23, first 2 shown]
	v_mad_u32_u24 v6, v0, 46, v1
	s_waitcnt lgkmcnt(0)
	; wave barrier
	s_waitcnt lgkmcnt(0)
	ds_read_b128 v[2:5], v6
	ds_read_b128 v[10:13], v6 offset:16
	ds_read_b128 v[6:9], v6 offset:32
	v_mbcnt_lo_u32_b32 v37, -1, 0
	v_mbcnt_hi_u32_b32 v37, -1, v37
	s_waitcnt lgkmcnt(2)
	v_max_u16_sdwa v14, v2, v2 dst_sel:DWORD dst_unused:UNUSED_PAD src0_sel:DWORD src1_sel:WORD_1
	v_max_u16_e32 v15, v14, v3
	v_max_u16_sdwa v17, v15, v3 dst_sel:DWORD dst_unused:UNUSED_PAD src0_sel:DWORD src1_sel:WORD_1
	v_max_u16_e32 v19, v17, v4
	;; [unrolled: 2-line block ×3, first 2 shown]
	v_max_u16_sdwa v27, v24, v5 dst_sel:DWORD dst_unused:UNUSED_PAD src0_sel:DWORD src1_sel:WORD_1
	s_waitcnt lgkmcnt(1)
	v_max_u16_e32 v16, v27, v10
	v_max_u16_sdwa v18, v16, v10 dst_sel:DWORD dst_unused:UNUSED_PAD src0_sel:DWORD src1_sel:WORD_1
	v_max_u16_e32 v20, v18, v11
	v_max_u16_sdwa v23, v20, v11 dst_sel:DWORD dst_unused:UNUSED_PAD src0_sel:DWORD src1_sel:WORD_1
	;; [unrolled: 2-line block ×4, first 2 shown]
	s_waitcnt lgkmcnt(0)
	v_max_u16_e32 v22, v33, v6
	v_max_u16_sdwa v25, v22, v6 dst_sel:DWORD dst_unused:UNUSED_PAD src0_sel:DWORD src1_sel:WORD_1
	v_max_u16_e32 v28, v25, v7
	v_max_u16_sdwa v30, v28, v7 dst_sel:DWORD dst_unused:UNUSED_PAD src0_sel:DWORD src1_sel:WORD_1
	;; [unrolled: 2-line block ×4, first 2 shown]
	v_and_b32_e32 v38, 15, v37
	v_cmp_eq_u32_e32 vcc, 0, v38
	v_mov_b32_dpp v39, v36 row_shr:1 row_mask:0xf bank_mask:0xf
	v_max_u16_e32 v39, v39, v36
	v_cndmask_b32_e32 v39, v39, v36, vcc
	v_and_b32_e32 v40, 0xffff, v39
	v_cmp_lt_u32_e32 vcc, 1, v38
	s_nop 0
	v_mov_b32_dpp v40, v40 row_shr:2 row_mask:0xf bank_mask:0xf
	v_max_u16_e32 v40, v40, v39
	v_cndmask_b32_e32 v39, v39, v40, vcc
	v_and_b32_e32 v40, 0xffff, v39
	v_cmp_lt_u32_e32 vcc, 3, v38
	; wave barrier
	s_nop 0
	v_mov_b32_dpp v40, v40 row_shr:4 row_mask:0xf bank_mask:0xf
	v_max_u16_e32 v40, v40, v39
	v_cndmask_b32_e32 v39, v39, v40, vcc
	v_and_b32_e32 v40, 0xffff, v39
	v_cmp_lt_u32_e32 vcc, 7, v38
	s_nop 0
	v_mov_b32_dpp v40, v40 row_shr:8 row_mask:0xf bank_mask:0xf
	v_max_u16_e32 v40, v40, v39
	v_cndmask_b32_e32 v38, v39, v40, vcc
	v_and_b32_e32 v39, 0xffff, v38
	v_and_b32_e32 v40, 16, v37
	v_cmp_eq_u32_e32 vcc, 0, v40
	v_mov_b32_dpp v39, v39 row_bcast:15 row_mask:0xf bank_mask:0xf
	v_max_u16_e32 v39, v39, v38
	v_cndmask_b32_e32 v38, v39, v38, vcc
	v_and_b32_e32 v39, 0xffff, v38
	v_cmp_lt_u32_e32 vcc, 31, v37
	s_nop 0
	v_mov_b32_dpp v39, v39 row_bcast:31 row_mask:0xf bank_mask:0xf
	v_max_u16_e32 v39, v39, v38
	v_cndmask_b32_e32 v38, v38, v39, vcc
	v_cmp_eq_u32_e32 vcc, 63, v0
	s_and_saveexec_b64 s[0:1], vcc
	s_cbranch_execz .LBB3577_50
; %bb.49:
	v_mov_b32_e32 v39, 0
	ds_write_b16 v39, v38
.LBB3577_50:
	s_or_b64 exec, exec, s[0:1]
	v_add_u32_e32 v39, -1, v37
	v_and_b32_e32 v40, 64, v37
	v_cmp_lt_i32_e32 vcc, v39, v40
	v_cndmask_b32_e32 v37, v39, v37, vcc
	v_and_b32_e32 v38, 0xffff, v38
	v_lshlrev_b32_e32 v37, 2, v37
	ds_bpermute_b32 v38, v37, v38
	v_mul_u32_u24_e32 v37, 46, v0
	v_cmp_ne_u32_e32 vcc, 0, v0
	s_waitcnt lgkmcnt(0)
	; wave barrier
	s_waitcnt lgkmcnt(0)
	s_and_saveexec_b64 s[0:1], vcc
	s_cbranch_execz .LBB3577_52
; %bb.51:
	v_max_u16_e32 v0, v38, v2
	v_max_u16_sdwa v14, v0, v2 dst_sel:DWORD dst_unused:UNUSED_PAD src0_sel:DWORD src1_sel:WORD_1
	v_max_u16_e32 v15, v14, v3
	v_max_u16_sdwa v17, v15, v3 dst_sel:DWORD dst_unused:UNUSED_PAD src0_sel:DWORD src1_sel:WORD_1
	;; [unrolled: 2-line block ×12, first 2 shown]
	v_mov_b32_e32 v2, v0
	;;#ASMSTART
	;;#ASMEND
.LBB3577_52:
	s_or_b64 exec, exec, s[0:1]
	s_mov_b32 s0, 0x5040100
	v_add_u32_e32 v6, v1, v37
	v_perm_b32 v5, v27, v24, s0
	v_perm_b32 v4, v21, v19, s0
	;; [unrolled: 1-line block ×4, first 2 shown]
	s_waitcnt lgkmcnt(0)
	; wave barrier
	ds_write_b128 v6, v[2:5]
	v_perm_b32 v3, v33, v31, s0
	v_perm_b32 v2, v29, v26, s0
	;; [unrolled: 1-line block ×4, first 2 shown]
	ds_write_b128 v6, v[0:3] offset:16
	v_perm_b32 v3, v36, v35, s0
	v_perm_b32 v2, v34, v32, s0
	;; [unrolled: 1-line block ×4, first 2 shown]
	ds_write_b128 v6, v[0:3] offset:32
	s_waitcnt lgkmcnt(0)
	; wave barrier
	s_waitcnt lgkmcnt(0)
	s_endpgm
	.section	.rodata,"a",@progbits
	.p2align	6, 0x0
	.amdhsa_kernel _ZN7rocprim17ROCPRIM_400000_NS6detail17trampoline_kernelINS0_14default_configENS1_20scan_config_selectorItEEZZNS1_9scan_implILNS1_25lookback_scan_determinismE0ELb0ELb0ES3_N6thrust23THRUST_200600_302600_NS6detail15normal_iteratorINS9_10device_ptrItEEEENS9_16discard_iteratorINS9_11use_defaultEEEt11max_functorItEtEEDaPvRmT3_T4_T5_mT6_P12ihipStream_tbENKUlT_T0_E_clISt17integral_constantIbLb0EESX_EEDaSS_ST_EUlSS_E0_NS1_11comp_targetILNS1_3genE4ELNS1_11target_archE910ELNS1_3gpuE8ELNS1_3repE0EEENS1_30default_config_static_selectorELNS0_4arch9wavefront6targetE1EEEvT1_
		.amdhsa_group_segment_fixed_size 3072
		.amdhsa_private_segment_fixed_size 0
		.amdhsa_kernarg_size 40
		.amdhsa_user_sgpr_count 6
		.amdhsa_user_sgpr_private_segment_buffer 1
		.amdhsa_user_sgpr_dispatch_ptr 0
		.amdhsa_user_sgpr_queue_ptr 0
		.amdhsa_user_sgpr_kernarg_segment_ptr 1
		.amdhsa_user_sgpr_dispatch_id 0
		.amdhsa_user_sgpr_flat_scratch_init 0
		.amdhsa_user_sgpr_kernarg_preload_length 0
		.amdhsa_user_sgpr_kernarg_preload_offset 0
		.amdhsa_user_sgpr_private_segment_size 0
		.amdhsa_uses_dynamic_stack 0
		.amdhsa_system_sgpr_private_segment_wavefront_offset 0
		.amdhsa_system_sgpr_workgroup_id_x 1
		.amdhsa_system_sgpr_workgroup_id_y 0
		.amdhsa_system_sgpr_workgroup_id_z 0
		.amdhsa_system_sgpr_workgroup_info 0
		.amdhsa_system_vgpr_workitem_id 0
		.amdhsa_next_free_vgpr 41
		.amdhsa_next_free_sgpr 6
		.amdhsa_accum_offset 44
		.amdhsa_reserve_vcc 1
		.amdhsa_reserve_flat_scratch 0
		.amdhsa_float_round_mode_32 0
		.amdhsa_float_round_mode_16_64 0
		.amdhsa_float_denorm_mode_32 3
		.amdhsa_float_denorm_mode_16_64 3
		.amdhsa_dx10_clamp 1
		.amdhsa_ieee_mode 1
		.amdhsa_fp16_overflow 0
		.amdhsa_tg_split 0
		.amdhsa_exception_fp_ieee_invalid_op 0
		.amdhsa_exception_fp_denorm_src 0
		.amdhsa_exception_fp_ieee_div_zero 0
		.amdhsa_exception_fp_ieee_overflow 0
		.amdhsa_exception_fp_ieee_underflow 0
		.amdhsa_exception_fp_ieee_inexact 0
		.amdhsa_exception_int_div_zero 0
	.end_amdhsa_kernel
	.section	.text._ZN7rocprim17ROCPRIM_400000_NS6detail17trampoline_kernelINS0_14default_configENS1_20scan_config_selectorItEEZZNS1_9scan_implILNS1_25lookback_scan_determinismE0ELb0ELb0ES3_N6thrust23THRUST_200600_302600_NS6detail15normal_iteratorINS9_10device_ptrItEEEENS9_16discard_iteratorINS9_11use_defaultEEEt11max_functorItEtEEDaPvRmT3_T4_T5_mT6_P12ihipStream_tbENKUlT_T0_E_clISt17integral_constantIbLb0EESX_EEDaSS_ST_EUlSS_E0_NS1_11comp_targetILNS1_3genE4ELNS1_11target_archE910ELNS1_3gpuE8ELNS1_3repE0EEENS1_30default_config_static_selectorELNS0_4arch9wavefront6targetE1EEEvT1_,"axG",@progbits,_ZN7rocprim17ROCPRIM_400000_NS6detail17trampoline_kernelINS0_14default_configENS1_20scan_config_selectorItEEZZNS1_9scan_implILNS1_25lookback_scan_determinismE0ELb0ELb0ES3_N6thrust23THRUST_200600_302600_NS6detail15normal_iteratorINS9_10device_ptrItEEEENS9_16discard_iteratorINS9_11use_defaultEEEt11max_functorItEtEEDaPvRmT3_T4_T5_mT6_P12ihipStream_tbENKUlT_T0_E_clISt17integral_constantIbLb0EESX_EEDaSS_ST_EUlSS_E0_NS1_11comp_targetILNS1_3genE4ELNS1_11target_archE910ELNS1_3gpuE8ELNS1_3repE0EEENS1_30default_config_static_selectorELNS0_4arch9wavefront6targetE1EEEvT1_,comdat
.Lfunc_end3577:
	.size	_ZN7rocprim17ROCPRIM_400000_NS6detail17trampoline_kernelINS0_14default_configENS1_20scan_config_selectorItEEZZNS1_9scan_implILNS1_25lookback_scan_determinismE0ELb0ELb0ES3_N6thrust23THRUST_200600_302600_NS6detail15normal_iteratorINS9_10device_ptrItEEEENS9_16discard_iteratorINS9_11use_defaultEEEt11max_functorItEtEEDaPvRmT3_T4_T5_mT6_P12ihipStream_tbENKUlT_T0_E_clISt17integral_constantIbLb0EESX_EEDaSS_ST_EUlSS_E0_NS1_11comp_targetILNS1_3genE4ELNS1_11target_archE910ELNS1_3gpuE8ELNS1_3repE0EEENS1_30default_config_static_selectorELNS0_4arch9wavefront6targetE1EEEvT1_, .Lfunc_end3577-_ZN7rocprim17ROCPRIM_400000_NS6detail17trampoline_kernelINS0_14default_configENS1_20scan_config_selectorItEEZZNS1_9scan_implILNS1_25lookback_scan_determinismE0ELb0ELb0ES3_N6thrust23THRUST_200600_302600_NS6detail15normal_iteratorINS9_10device_ptrItEEEENS9_16discard_iteratorINS9_11use_defaultEEEt11max_functorItEtEEDaPvRmT3_T4_T5_mT6_P12ihipStream_tbENKUlT_T0_E_clISt17integral_constantIbLb0EESX_EEDaSS_ST_EUlSS_E0_NS1_11comp_targetILNS1_3genE4ELNS1_11target_archE910ELNS1_3gpuE8ELNS1_3repE0EEENS1_30default_config_static_selectorELNS0_4arch9wavefront6targetE1EEEvT1_
                                        ; -- End function
	.section	.AMDGPU.csdata,"",@progbits
; Kernel info:
; codeLenInByte = 1856
; NumSgprs: 10
; NumVgprs: 41
; NumAgprs: 0
; TotalNumVgprs: 41
; ScratchSize: 0
; MemoryBound: 0
; FloatMode: 240
; IeeeMode: 1
; LDSByteSize: 3072 bytes/workgroup (compile time only)
; SGPRBlocks: 1
; VGPRBlocks: 5
; NumSGPRsForWavesPerEU: 10
; NumVGPRsForWavesPerEU: 41
; AccumOffset: 44
; Occupancy: 6
; WaveLimiterHint : 0
; COMPUTE_PGM_RSRC2:SCRATCH_EN: 0
; COMPUTE_PGM_RSRC2:USER_SGPR: 6
; COMPUTE_PGM_RSRC2:TRAP_HANDLER: 0
; COMPUTE_PGM_RSRC2:TGID_X_EN: 1
; COMPUTE_PGM_RSRC2:TGID_Y_EN: 0
; COMPUTE_PGM_RSRC2:TGID_Z_EN: 0
; COMPUTE_PGM_RSRC2:TIDIG_COMP_CNT: 0
; COMPUTE_PGM_RSRC3_GFX90A:ACCUM_OFFSET: 10
; COMPUTE_PGM_RSRC3_GFX90A:TG_SPLIT: 0
	.section	.text._ZN7rocprim17ROCPRIM_400000_NS6detail17trampoline_kernelINS0_14default_configENS1_20scan_config_selectorItEEZZNS1_9scan_implILNS1_25lookback_scan_determinismE0ELb0ELb0ES3_N6thrust23THRUST_200600_302600_NS6detail15normal_iteratorINS9_10device_ptrItEEEENS9_16discard_iteratorINS9_11use_defaultEEEt11max_functorItEtEEDaPvRmT3_T4_T5_mT6_P12ihipStream_tbENKUlT_T0_E_clISt17integral_constantIbLb0EESX_EEDaSS_ST_EUlSS_E0_NS1_11comp_targetILNS1_3genE3ELNS1_11target_archE908ELNS1_3gpuE7ELNS1_3repE0EEENS1_30default_config_static_selectorELNS0_4arch9wavefront6targetE1EEEvT1_,"axG",@progbits,_ZN7rocprim17ROCPRIM_400000_NS6detail17trampoline_kernelINS0_14default_configENS1_20scan_config_selectorItEEZZNS1_9scan_implILNS1_25lookback_scan_determinismE0ELb0ELb0ES3_N6thrust23THRUST_200600_302600_NS6detail15normal_iteratorINS9_10device_ptrItEEEENS9_16discard_iteratorINS9_11use_defaultEEEt11max_functorItEtEEDaPvRmT3_T4_T5_mT6_P12ihipStream_tbENKUlT_T0_E_clISt17integral_constantIbLb0EESX_EEDaSS_ST_EUlSS_E0_NS1_11comp_targetILNS1_3genE3ELNS1_11target_archE908ELNS1_3gpuE7ELNS1_3repE0EEENS1_30default_config_static_selectorELNS0_4arch9wavefront6targetE1EEEvT1_,comdat
	.protected	_ZN7rocprim17ROCPRIM_400000_NS6detail17trampoline_kernelINS0_14default_configENS1_20scan_config_selectorItEEZZNS1_9scan_implILNS1_25lookback_scan_determinismE0ELb0ELb0ES3_N6thrust23THRUST_200600_302600_NS6detail15normal_iteratorINS9_10device_ptrItEEEENS9_16discard_iteratorINS9_11use_defaultEEEt11max_functorItEtEEDaPvRmT3_T4_T5_mT6_P12ihipStream_tbENKUlT_T0_E_clISt17integral_constantIbLb0EESX_EEDaSS_ST_EUlSS_E0_NS1_11comp_targetILNS1_3genE3ELNS1_11target_archE908ELNS1_3gpuE7ELNS1_3repE0EEENS1_30default_config_static_selectorELNS0_4arch9wavefront6targetE1EEEvT1_ ; -- Begin function _ZN7rocprim17ROCPRIM_400000_NS6detail17trampoline_kernelINS0_14default_configENS1_20scan_config_selectorItEEZZNS1_9scan_implILNS1_25lookback_scan_determinismE0ELb0ELb0ES3_N6thrust23THRUST_200600_302600_NS6detail15normal_iteratorINS9_10device_ptrItEEEENS9_16discard_iteratorINS9_11use_defaultEEEt11max_functorItEtEEDaPvRmT3_T4_T5_mT6_P12ihipStream_tbENKUlT_T0_E_clISt17integral_constantIbLb0EESX_EEDaSS_ST_EUlSS_E0_NS1_11comp_targetILNS1_3genE3ELNS1_11target_archE908ELNS1_3gpuE7ELNS1_3repE0EEENS1_30default_config_static_selectorELNS0_4arch9wavefront6targetE1EEEvT1_
	.globl	_ZN7rocprim17ROCPRIM_400000_NS6detail17trampoline_kernelINS0_14default_configENS1_20scan_config_selectorItEEZZNS1_9scan_implILNS1_25lookback_scan_determinismE0ELb0ELb0ES3_N6thrust23THRUST_200600_302600_NS6detail15normal_iteratorINS9_10device_ptrItEEEENS9_16discard_iteratorINS9_11use_defaultEEEt11max_functorItEtEEDaPvRmT3_T4_T5_mT6_P12ihipStream_tbENKUlT_T0_E_clISt17integral_constantIbLb0EESX_EEDaSS_ST_EUlSS_E0_NS1_11comp_targetILNS1_3genE3ELNS1_11target_archE908ELNS1_3gpuE7ELNS1_3repE0EEENS1_30default_config_static_selectorELNS0_4arch9wavefront6targetE1EEEvT1_
	.p2align	8
	.type	_ZN7rocprim17ROCPRIM_400000_NS6detail17trampoline_kernelINS0_14default_configENS1_20scan_config_selectorItEEZZNS1_9scan_implILNS1_25lookback_scan_determinismE0ELb0ELb0ES3_N6thrust23THRUST_200600_302600_NS6detail15normal_iteratorINS9_10device_ptrItEEEENS9_16discard_iteratorINS9_11use_defaultEEEt11max_functorItEtEEDaPvRmT3_T4_T5_mT6_P12ihipStream_tbENKUlT_T0_E_clISt17integral_constantIbLb0EESX_EEDaSS_ST_EUlSS_E0_NS1_11comp_targetILNS1_3genE3ELNS1_11target_archE908ELNS1_3gpuE7ELNS1_3repE0EEENS1_30default_config_static_selectorELNS0_4arch9wavefront6targetE1EEEvT1_,@function
_ZN7rocprim17ROCPRIM_400000_NS6detail17trampoline_kernelINS0_14default_configENS1_20scan_config_selectorItEEZZNS1_9scan_implILNS1_25lookback_scan_determinismE0ELb0ELb0ES3_N6thrust23THRUST_200600_302600_NS6detail15normal_iteratorINS9_10device_ptrItEEEENS9_16discard_iteratorINS9_11use_defaultEEEt11max_functorItEtEEDaPvRmT3_T4_T5_mT6_P12ihipStream_tbENKUlT_T0_E_clISt17integral_constantIbLb0EESX_EEDaSS_ST_EUlSS_E0_NS1_11comp_targetILNS1_3genE3ELNS1_11target_archE908ELNS1_3gpuE7ELNS1_3repE0EEENS1_30default_config_static_selectorELNS0_4arch9wavefront6targetE1EEEvT1_: ; @_ZN7rocprim17ROCPRIM_400000_NS6detail17trampoline_kernelINS0_14default_configENS1_20scan_config_selectorItEEZZNS1_9scan_implILNS1_25lookback_scan_determinismE0ELb0ELb0ES3_N6thrust23THRUST_200600_302600_NS6detail15normal_iteratorINS9_10device_ptrItEEEENS9_16discard_iteratorINS9_11use_defaultEEEt11max_functorItEtEEDaPvRmT3_T4_T5_mT6_P12ihipStream_tbENKUlT_T0_E_clISt17integral_constantIbLb0EESX_EEDaSS_ST_EUlSS_E0_NS1_11comp_targetILNS1_3genE3ELNS1_11target_archE908ELNS1_3gpuE7ELNS1_3repE0EEENS1_30default_config_static_selectorELNS0_4arch9wavefront6targetE1EEEvT1_
; %bb.0:
	.section	.rodata,"a",@progbits
	.p2align	6, 0x0
	.amdhsa_kernel _ZN7rocprim17ROCPRIM_400000_NS6detail17trampoline_kernelINS0_14default_configENS1_20scan_config_selectorItEEZZNS1_9scan_implILNS1_25lookback_scan_determinismE0ELb0ELb0ES3_N6thrust23THRUST_200600_302600_NS6detail15normal_iteratorINS9_10device_ptrItEEEENS9_16discard_iteratorINS9_11use_defaultEEEt11max_functorItEtEEDaPvRmT3_T4_T5_mT6_P12ihipStream_tbENKUlT_T0_E_clISt17integral_constantIbLb0EESX_EEDaSS_ST_EUlSS_E0_NS1_11comp_targetILNS1_3genE3ELNS1_11target_archE908ELNS1_3gpuE7ELNS1_3repE0EEENS1_30default_config_static_selectorELNS0_4arch9wavefront6targetE1EEEvT1_
		.amdhsa_group_segment_fixed_size 0
		.amdhsa_private_segment_fixed_size 0
		.amdhsa_kernarg_size 40
		.amdhsa_user_sgpr_count 6
		.amdhsa_user_sgpr_private_segment_buffer 1
		.amdhsa_user_sgpr_dispatch_ptr 0
		.amdhsa_user_sgpr_queue_ptr 0
		.amdhsa_user_sgpr_kernarg_segment_ptr 1
		.amdhsa_user_sgpr_dispatch_id 0
		.amdhsa_user_sgpr_flat_scratch_init 0
		.amdhsa_user_sgpr_kernarg_preload_length 0
		.amdhsa_user_sgpr_kernarg_preload_offset 0
		.amdhsa_user_sgpr_private_segment_size 0
		.amdhsa_uses_dynamic_stack 0
		.amdhsa_system_sgpr_private_segment_wavefront_offset 0
		.amdhsa_system_sgpr_workgroup_id_x 1
		.amdhsa_system_sgpr_workgroup_id_y 0
		.amdhsa_system_sgpr_workgroup_id_z 0
		.amdhsa_system_sgpr_workgroup_info 0
		.amdhsa_system_vgpr_workitem_id 0
		.amdhsa_next_free_vgpr 1
		.amdhsa_next_free_sgpr 0
		.amdhsa_accum_offset 4
		.amdhsa_reserve_vcc 0
		.amdhsa_reserve_flat_scratch 0
		.amdhsa_float_round_mode_32 0
		.amdhsa_float_round_mode_16_64 0
		.amdhsa_float_denorm_mode_32 3
		.amdhsa_float_denorm_mode_16_64 3
		.amdhsa_dx10_clamp 1
		.amdhsa_ieee_mode 1
		.amdhsa_fp16_overflow 0
		.amdhsa_tg_split 0
		.amdhsa_exception_fp_ieee_invalid_op 0
		.amdhsa_exception_fp_denorm_src 0
		.amdhsa_exception_fp_ieee_div_zero 0
		.amdhsa_exception_fp_ieee_overflow 0
		.amdhsa_exception_fp_ieee_underflow 0
		.amdhsa_exception_fp_ieee_inexact 0
		.amdhsa_exception_int_div_zero 0
	.end_amdhsa_kernel
	.section	.text._ZN7rocprim17ROCPRIM_400000_NS6detail17trampoline_kernelINS0_14default_configENS1_20scan_config_selectorItEEZZNS1_9scan_implILNS1_25lookback_scan_determinismE0ELb0ELb0ES3_N6thrust23THRUST_200600_302600_NS6detail15normal_iteratorINS9_10device_ptrItEEEENS9_16discard_iteratorINS9_11use_defaultEEEt11max_functorItEtEEDaPvRmT3_T4_T5_mT6_P12ihipStream_tbENKUlT_T0_E_clISt17integral_constantIbLb0EESX_EEDaSS_ST_EUlSS_E0_NS1_11comp_targetILNS1_3genE3ELNS1_11target_archE908ELNS1_3gpuE7ELNS1_3repE0EEENS1_30default_config_static_selectorELNS0_4arch9wavefront6targetE1EEEvT1_,"axG",@progbits,_ZN7rocprim17ROCPRIM_400000_NS6detail17trampoline_kernelINS0_14default_configENS1_20scan_config_selectorItEEZZNS1_9scan_implILNS1_25lookback_scan_determinismE0ELb0ELb0ES3_N6thrust23THRUST_200600_302600_NS6detail15normal_iteratorINS9_10device_ptrItEEEENS9_16discard_iteratorINS9_11use_defaultEEEt11max_functorItEtEEDaPvRmT3_T4_T5_mT6_P12ihipStream_tbENKUlT_T0_E_clISt17integral_constantIbLb0EESX_EEDaSS_ST_EUlSS_E0_NS1_11comp_targetILNS1_3genE3ELNS1_11target_archE908ELNS1_3gpuE7ELNS1_3repE0EEENS1_30default_config_static_selectorELNS0_4arch9wavefront6targetE1EEEvT1_,comdat
.Lfunc_end3578:
	.size	_ZN7rocprim17ROCPRIM_400000_NS6detail17trampoline_kernelINS0_14default_configENS1_20scan_config_selectorItEEZZNS1_9scan_implILNS1_25lookback_scan_determinismE0ELb0ELb0ES3_N6thrust23THRUST_200600_302600_NS6detail15normal_iteratorINS9_10device_ptrItEEEENS9_16discard_iteratorINS9_11use_defaultEEEt11max_functorItEtEEDaPvRmT3_T4_T5_mT6_P12ihipStream_tbENKUlT_T0_E_clISt17integral_constantIbLb0EESX_EEDaSS_ST_EUlSS_E0_NS1_11comp_targetILNS1_3genE3ELNS1_11target_archE908ELNS1_3gpuE7ELNS1_3repE0EEENS1_30default_config_static_selectorELNS0_4arch9wavefront6targetE1EEEvT1_, .Lfunc_end3578-_ZN7rocprim17ROCPRIM_400000_NS6detail17trampoline_kernelINS0_14default_configENS1_20scan_config_selectorItEEZZNS1_9scan_implILNS1_25lookback_scan_determinismE0ELb0ELb0ES3_N6thrust23THRUST_200600_302600_NS6detail15normal_iteratorINS9_10device_ptrItEEEENS9_16discard_iteratorINS9_11use_defaultEEEt11max_functorItEtEEDaPvRmT3_T4_T5_mT6_P12ihipStream_tbENKUlT_T0_E_clISt17integral_constantIbLb0EESX_EEDaSS_ST_EUlSS_E0_NS1_11comp_targetILNS1_3genE3ELNS1_11target_archE908ELNS1_3gpuE7ELNS1_3repE0EEENS1_30default_config_static_selectorELNS0_4arch9wavefront6targetE1EEEvT1_
                                        ; -- End function
	.section	.AMDGPU.csdata,"",@progbits
; Kernel info:
; codeLenInByte = 0
; NumSgprs: 4
; NumVgprs: 0
; NumAgprs: 0
; TotalNumVgprs: 0
; ScratchSize: 0
; MemoryBound: 0
; FloatMode: 240
; IeeeMode: 1
; LDSByteSize: 0 bytes/workgroup (compile time only)
; SGPRBlocks: 0
; VGPRBlocks: 0
; NumSGPRsForWavesPerEU: 4
; NumVGPRsForWavesPerEU: 1
; AccumOffset: 4
; Occupancy: 8
; WaveLimiterHint : 0
; COMPUTE_PGM_RSRC2:SCRATCH_EN: 0
; COMPUTE_PGM_RSRC2:USER_SGPR: 6
; COMPUTE_PGM_RSRC2:TRAP_HANDLER: 0
; COMPUTE_PGM_RSRC2:TGID_X_EN: 1
; COMPUTE_PGM_RSRC2:TGID_Y_EN: 0
; COMPUTE_PGM_RSRC2:TGID_Z_EN: 0
; COMPUTE_PGM_RSRC2:TIDIG_COMP_CNT: 0
; COMPUTE_PGM_RSRC3_GFX90A:ACCUM_OFFSET: 0
; COMPUTE_PGM_RSRC3_GFX90A:TG_SPLIT: 0
	.section	.text._ZN7rocprim17ROCPRIM_400000_NS6detail17trampoline_kernelINS0_14default_configENS1_20scan_config_selectorItEEZZNS1_9scan_implILNS1_25lookback_scan_determinismE0ELb0ELb0ES3_N6thrust23THRUST_200600_302600_NS6detail15normal_iteratorINS9_10device_ptrItEEEENS9_16discard_iteratorINS9_11use_defaultEEEt11max_functorItEtEEDaPvRmT3_T4_T5_mT6_P12ihipStream_tbENKUlT_T0_E_clISt17integral_constantIbLb0EESX_EEDaSS_ST_EUlSS_E0_NS1_11comp_targetILNS1_3genE2ELNS1_11target_archE906ELNS1_3gpuE6ELNS1_3repE0EEENS1_30default_config_static_selectorELNS0_4arch9wavefront6targetE1EEEvT1_,"axG",@progbits,_ZN7rocprim17ROCPRIM_400000_NS6detail17trampoline_kernelINS0_14default_configENS1_20scan_config_selectorItEEZZNS1_9scan_implILNS1_25lookback_scan_determinismE0ELb0ELb0ES3_N6thrust23THRUST_200600_302600_NS6detail15normal_iteratorINS9_10device_ptrItEEEENS9_16discard_iteratorINS9_11use_defaultEEEt11max_functorItEtEEDaPvRmT3_T4_T5_mT6_P12ihipStream_tbENKUlT_T0_E_clISt17integral_constantIbLb0EESX_EEDaSS_ST_EUlSS_E0_NS1_11comp_targetILNS1_3genE2ELNS1_11target_archE906ELNS1_3gpuE6ELNS1_3repE0EEENS1_30default_config_static_selectorELNS0_4arch9wavefront6targetE1EEEvT1_,comdat
	.protected	_ZN7rocprim17ROCPRIM_400000_NS6detail17trampoline_kernelINS0_14default_configENS1_20scan_config_selectorItEEZZNS1_9scan_implILNS1_25lookback_scan_determinismE0ELb0ELb0ES3_N6thrust23THRUST_200600_302600_NS6detail15normal_iteratorINS9_10device_ptrItEEEENS9_16discard_iteratorINS9_11use_defaultEEEt11max_functorItEtEEDaPvRmT3_T4_T5_mT6_P12ihipStream_tbENKUlT_T0_E_clISt17integral_constantIbLb0EESX_EEDaSS_ST_EUlSS_E0_NS1_11comp_targetILNS1_3genE2ELNS1_11target_archE906ELNS1_3gpuE6ELNS1_3repE0EEENS1_30default_config_static_selectorELNS0_4arch9wavefront6targetE1EEEvT1_ ; -- Begin function _ZN7rocprim17ROCPRIM_400000_NS6detail17trampoline_kernelINS0_14default_configENS1_20scan_config_selectorItEEZZNS1_9scan_implILNS1_25lookback_scan_determinismE0ELb0ELb0ES3_N6thrust23THRUST_200600_302600_NS6detail15normal_iteratorINS9_10device_ptrItEEEENS9_16discard_iteratorINS9_11use_defaultEEEt11max_functorItEtEEDaPvRmT3_T4_T5_mT6_P12ihipStream_tbENKUlT_T0_E_clISt17integral_constantIbLb0EESX_EEDaSS_ST_EUlSS_E0_NS1_11comp_targetILNS1_3genE2ELNS1_11target_archE906ELNS1_3gpuE6ELNS1_3repE0EEENS1_30default_config_static_selectorELNS0_4arch9wavefront6targetE1EEEvT1_
	.globl	_ZN7rocprim17ROCPRIM_400000_NS6detail17trampoline_kernelINS0_14default_configENS1_20scan_config_selectorItEEZZNS1_9scan_implILNS1_25lookback_scan_determinismE0ELb0ELb0ES3_N6thrust23THRUST_200600_302600_NS6detail15normal_iteratorINS9_10device_ptrItEEEENS9_16discard_iteratorINS9_11use_defaultEEEt11max_functorItEtEEDaPvRmT3_T4_T5_mT6_P12ihipStream_tbENKUlT_T0_E_clISt17integral_constantIbLb0EESX_EEDaSS_ST_EUlSS_E0_NS1_11comp_targetILNS1_3genE2ELNS1_11target_archE906ELNS1_3gpuE6ELNS1_3repE0EEENS1_30default_config_static_selectorELNS0_4arch9wavefront6targetE1EEEvT1_
	.p2align	8
	.type	_ZN7rocprim17ROCPRIM_400000_NS6detail17trampoline_kernelINS0_14default_configENS1_20scan_config_selectorItEEZZNS1_9scan_implILNS1_25lookback_scan_determinismE0ELb0ELb0ES3_N6thrust23THRUST_200600_302600_NS6detail15normal_iteratorINS9_10device_ptrItEEEENS9_16discard_iteratorINS9_11use_defaultEEEt11max_functorItEtEEDaPvRmT3_T4_T5_mT6_P12ihipStream_tbENKUlT_T0_E_clISt17integral_constantIbLb0EESX_EEDaSS_ST_EUlSS_E0_NS1_11comp_targetILNS1_3genE2ELNS1_11target_archE906ELNS1_3gpuE6ELNS1_3repE0EEENS1_30default_config_static_selectorELNS0_4arch9wavefront6targetE1EEEvT1_,@function
_ZN7rocprim17ROCPRIM_400000_NS6detail17trampoline_kernelINS0_14default_configENS1_20scan_config_selectorItEEZZNS1_9scan_implILNS1_25lookback_scan_determinismE0ELb0ELb0ES3_N6thrust23THRUST_200600_302600_NS6detail15normal_iteratorINS9_10device_ptrItEEEENS9_16discard_iteratorINS9_11use_defaultEEEt11max_functorItEtEEDaPvRmT3_T4_T5_mT6_P12ihipStream_tbENKUlT_T0_E_clISt17integral_constantIbLb0EESX_EEDaSS_ST_EUlSS_E0_NS1_11comp_targetILNS1_3genE2ELNS1_11target_archE906ELNS1_3gpuE6ELNS1_3repE0EEENS1_30default_config_static_selectorELNS0_4arch9wavefront6targetE1EEEvT1_: ; @_ZN7rocprim17ROCPRIM_400000_NS6detail17trampoline_kernelINS0_14default_configENS1_20scan_config_selectorItEEZZNS1_9scan_implILNS1_25lookback_scan_determinismE0ELb0ELb0ES3_N6thrust23THRUST_200600_302600_NS6detail15normal_iteratorINS9_10device_ptrItEEEENS9_16discard_iteratorINS9_11use_defaultEEEt11max_functorItEtEEDaPvRmT3_T4_T5_mT6_P12ihipStream_tbENKUlT_T0_E_clISt17integral_constantIbLb0EESX_EEDaSS_ST_EUlSS_E0_NS1_11comp_targetILNS1_3genE2ELNS1_11target_archE906ELNS1_3gpuE6ELNS1_3repE0EEENS1_30default_config_static_selectorELNS0_4arch9wavefront6targetE1EEEvT1_
; %bb.0:
	.section	.rodata,"a",@progbits
	.p2align	6, 0x0
	.amdhsa_kernel _ZN7rocprim17ROCPRIM_400000_NS6detail17trampoline_kernelINS0_14default_configENS1_20scan_config_selectorItEEZZNS1_9scan_implILNS1_25lookback_scan_determinismE0ELb0ELb0ES3_N6thrust23THRUST_200600_302600_NS6detail15normal_iteratorINS9_10device_ptrItEEEENS9_16discard_iteratorINS9_11use_defaultEEEt11max_functorItEtEEDaPvRmT3_T4_T5_mT6_P12ihipStream_tbENKUlT_T0_E_clISt17integral_constantIbLb0EESX_EEDaSS_ST_EUlSS_E0_NS1_11comp_targetILNS1_3genE2ELNS1_11target_archE906ELNS1_3gpuE6ELNS1_3repE0EEENS1_30default_config_static_selectorELNS0_4arch9wavefront6targetE1EEEvT1_
		.amdhsa_group_segment_fixed_size 0
		.amdhsa_private_segment_fixed_size 0
		.amdhsa_kernarg_size 40
		.amdhsa_user_sgpr_count 6
		.amdhsa_user_sgpr_private_segment_buffer 1
		.amdhsa_user_sgpr_dispatch_ptr 0
		.amdhsa_user_sgpr_queue_ptr 0
		.amdhsa_user_sgpr_kernarg_segment_ptr 1
		.amdhsa_user_sgpr_dispatch_id 0
		.amdhsa_user_sgpr_flat_scratch_init 0
		.amdhsa_user_sgpr_kernarg_preload_length 0
		.amdhsa_user_sgpr_kernarg_preload_offset 0
		.amdhsa_user_sgpr_private_segment_size 0
		.amdhsa_uses_dynamic_stack 0
		.amdhsa_system_sgpr_private_segment_wavefront_offset 0
		.amdhsa_system_sgpr_workgroup_id_x 1
		.amdhsa_system_sgpr_workgroup_id_y 0
		.amdhsa_system_sgpr_workgroup_id_z 0
		.amdhsa_system_sgpr_workgroup_info 0
		.amdhsa_system_vgpr_workitem_id 0
		.amdhsa_next_free_vgpr 1
		.amdhsa_next_free_sgpr 0
		.amdhsa_accum_offset 4
		.amdhsa_reserve_vcc 0
		.amdhsa_reserve_flat_scratch 0
		.amdhsa_float_round_mode_32 0
		.amdhsa_float_round_mode_16_64 0
		.amdhsa_float_denorm_mode_32 3
		.amdhsa_float_denorm_mode_16_64 3
		.amdhsa_dx10_clamp 1
		.amdhsa_ieee_mode 1
		.amdhsa_fp16_overflow 0
		.amdhsa_tg_split 0
		.amdhsa_exception_fp_ieee_invalid_op 0
		.amdhsa_exception_fp_denorm_src 0
		.amdhsa_exception_fp_ieee_div_zero 0
		.amdhsa_exception_fp_ieee_overflow 0
		.amdhsa_exception_fp_ieee_underflow 0
		.amdhsa_exception_fp_ieee_inexact 0
		.amdhsa_exception_int_div_zero 0
	.end_amdhsa_kernel
	.section	.text._ZN7rocprim17ROCPRIM_400000_NS6detail17trampoline_kernelINS0_14default_configENS1_20scan_config_selectorItEEZZNS1_9scan_implILNS1_25lookback_scan_determinismE0ELb0ELb0ES3_N6thrust23THRUST_200600_302600_NS6detail15normal_iteratorINS9_10device_ptrItEEEENS9_16discard_iteratorINS9_11use_defaultEEEt11max_functorItEtEEDaPvRmT3_T4_T5_mT6_P12ihipStream_tbENKUlT_T0_E_clISt17integral_constantIbLb0EESX_EEDaSS_ST_EUlSS_E0_NS1_11comp_targetILNS1_3genE2ELNS1_11target_archE906ELNS1_3gpuE6ELNS1_3repE0EEENS1_30default_config_static_selectorELNS0_4arch9wavefront6targetE1EEEvT1_,"axG",@progbits,_ZN7rocprim17ROCPRIM_400000_NS6detail17trampoline_kernelINS0_14default_configENS1_20scan_config_selectorItEEZZNS1_9scan_implILNS1_25lookback_scan_determinismE0ELb0ELb0ES3_N6thrust23THRUST_200600_302600_NS6detail15normal_iteratorINS9_10device_ptrItEEEENS9_16discard_iteratorINS9_11use_defaultEEEt11max_functorItEtEEDaPvRmT3_T4_T5_mT6_P12ihipStream_tbENKUlT_T0_E_clISt17integral_constantIbLb0EESX_EEDaSS_ST_EUlSS_E0_NS1_11comp_targetILNS1_3genE2ELNS1_11target_archE906ELNS1_3gpuE6ELNS1_3repE0EEENS1_30default_config_static_selectorELNS0_4arch9wavefront6targetE1EEEvT1_,comdat
.Lfunc_end3579:
	.size	_ZN7rocprim17ROCPRIM_400000_NS6detail17trampoline_kernelINS0_14default_configENS1_20scan_config_selectorItEEZZNS1_9scan_implILNS1_25lookback_scan_determinismE0ELb0ELb0ES3_N6thrust23THRUST_200600_302600_NS6detail15normal_iteratorINS9_10device_ptrItEEEENS9_16discard_iteratorINS9_11use_defaultEEEt11max_functorItEtEEDaPvRmT3_T4_T5_mT6_P12ihipStream_tbENKUlT_T0_E_clISt17integral_constantIbLb0EESX_EEDaSS_ST_EUlSS_E0_NS1_11comp_targetILNS1_3genE2ELNS1_11target_archE906ELNS1_3gpuE6ELNS1_3repE0EEENS1_30default_config_static_selectorELNS0_4arch9wavefront6targetE1EEEvT1_, .Lfunc_end3579-_ZN7rocprim17ROCPRIM_400000_NS6detail17trampoline_kernelINS0_14default_configENS1_20scan_config_selectorItEEZZNS1_9scan_implILNS1_25lookback_scan_determinismE0ELb0ELb0ES3_N6thrust23THRUST_200600_302600_NS6detail15normal_iteratorINS9_10device_ptrItEEEENS9_16discard_iteratorINS9_11use_defaultEEEt11max_functorItEtEEDaPvRmT3_T4_T5_mT6_P12ihipStream_tbENKUlT_T0_E_clISt17integral_constantIbLb0EESX_EEDaSS_ST_EUlSS_E0_NS1_11comp_targetILNS1_3genE2ELNS1_11target_archE906ELNS1_3gpuE6ELNS1_3repE0EEENS1_30default_config_static_selectorELNS0_4arch9wavefront6targetE1EEEvT1_
                                        ; -- End function
	.section	.AMDGPU.csdata,"",@progbits
; Kernel info:
; codeLenInByte = 0
; NumSgprs: 4
; NumVgprs: 0
; NumAgprs: 0
; TotalNumVgprs: 0
; ScratchSize: 0
; MemoryBound: 0
; FloatMode: 240
; IeeeMode: 1
; LDSByteSize: 0 bytes/workgroup (compile time only)
; SGPRBlocks: 0
; VGPRBlocks: 0
; NumSGPRsForWavesPerEU: 4
; NumVGPRsForWavesPerEU: 1
; AccumOffset: 4
; Occupancy: 8
; WaveLimiterHint : 0
; COMPUTE_PGM_RSRC2:SCRATCH_EN: 0
; COMPUTE_PGM_RSRC2:USER_SGPR: 6
; COMPUTE_PGM_RSRC2:TRAP_HANDLER: 0
; COMPUTE_PGM_RSRC2:TGID_X_EN: 1
; COMPUTE_PGM_RSRC2:TGID_Y_EN: 0
; COMPUTE_PGM_RSRC2:TGID_Z_EN: 0
; COMPUTE_PGM_RSRC2:TIDIG_COMP_CNT: 0
; COMPUTE_PGM_RSRC3_GFX90A:ACCUM_OFFSET: 0
; COMPUTE_PGM_RSRC3_GFX90A:TG_SPLIT: 0
	.section	.text._ZN7rocprim17ROCPRIM_400000_NS6detail17trampoline_kernelINS0_14default_configENS1_20scan_config_selectorItEEZZNS1_9scan_implILNS1_25lookback_scan_determinismE0ELb0ELb0ES3_N6thrust23THRUST_200600_302600_NS6detail15normal_iteratorINS9_10device_ptrItEEEENS9_16discard_iteratorINS9_11use_defaultEEEt11max_functorItEtEEDaPvRmT3_T4_T5_mT6_P12ihipStream_tbENKUlT_T0_E_clISt17integral_constantIbLb0EESX_EEDaSS_ST_EUlSS_E0_NS1_11comp_targetILNS1_3genE10ELNS1_11target_archE1201ELNS1_3gpuE5ELNS1_3repE0EEENS1_30default_config_static_selectorELNS0_4arch9wavefront6targetE1EEEvT1_,"axG",@progbits,_ZN7rocprim17ROCPRIM_400000_NS6detail17trampoline_kernelINS0_14default_configENS1_20scan_config_selectorItEEZZNS1_9scan_implILNS1_25lookback_scan_determinismE0ELb0ELb0ES3_N6thrust23THRUST_200600_302600_NS6detail15normal_iteratorINS9_10device_ptrItEEEENS9_16discard_iteratorINS9_11use_defaultEEEt11max_functorItEtEEDaPvRmT3_T4_T5_mT6_P12ihipStream_tbENKUlT_T0_E_clISt17integral_constantIbLb0EESX_EEDaSS_ST_EUlSS_E0_NS1_11comp_targetILNS1_3genE10ELNS1_11target_archE1201ELNS1_3gpuE5ELNS1_3repE0EEENS1_30default_config_static_selectorELNS0_4arch9wavefront6targetE1EEEvT1_,comdat
	.protected	_ZN7rocprim17ROCPRIM_400000_NS6detail17trampoline_kernelINS0_14default_configENS1_20scan_config_selectorItEEZZNS1_9scan_implILNS1_25lookback_scan_determinismE0ELb0ELb0ES3_N6thrust23THRUST_200600_302600_NS6detail15normal_iteratorINS9_10device_ptrItEEEENS9_16discard_iteratorINS9_11use_defaultEEEt11max_functorItEtEEDaPvRmT3_T4_T5_mT6_P12ihipStream_tbENKUlT_T0_E_clISt17integral_constantIbLb0EESX_EEDaSS_ST_EUlSS_E0_NS1_11comp_targetILNS1_3genE10ELNS1_11target_archE1201ELNS1_3gpuE5ELNS1_3repE0EEENS1_30default_config_static_selectorELNS0_4arch9wavefront6targetE1EEEvT1_ ; -- Begin function _ZN7rocprim17ROCPRIM_400000_NS6detail17trampoline_kernelINS0_14default_configENS1_20scan_config_selectorItEEZZNS1_9scan_implILNS1_25lookback_scan_determinismE0ELb0ELb0ES3_N6thrust23THRUST_200600_302600_NS6detail15normal_iteratorINS9_10device_ptrItEEEENS9_16discard_iteratorINS9_11use_defaultEEEt11max_functorItEtEEDaPvRmT3_T4_T5_mT6_P12ihipStream_tbENKUlT_T0_E_clISt17integral_constantIbLb0EESX_EEDaSS_ST_EUlSS_E0_NS1_11comp_targetILNS1_3genE10ELNS1_11target_archE1201ELNS1_3gpuE5ELNS1_3repE0EEENS1_30default_config_static_selectorELNS0_4arch9wavefront6targetE1EEEvT1_
	.globl	_ZN7rocprim17ROCPRIM_400000_NS6detail17trampoline_kernelINS0_14default_configENS1_20scan_config_selectorItEEZZNS1_9scan_implILNS1_25lookback_scan_determinismE0ELb0ELb0ES3_N6thrust23THRUST_200600_302600_NS6detail15normal_iteratorINS9_10device_ptrItEEEENS9_16discard_iteratorINS9_11use_defaultEEEt11max_functorItEtEEDaPvRmT3_T4_T5_mT6_P12ihipStream_tbENKUlT_T0_E_clISt17integral_constantIbLb0EESX_EEDaSS_ST_EUlSS_E0_NS1_11comp_targetILNS1_3genE10ELNS1_11target_archE1201ELNS1_3gpuE5ELNS1_3repE0EEENS1_30default_config_static_selectorELNS0_4arch9wavefront6targetE1EEEvT1_
	.p2align	8
	.type	_ZN7rocprim17ROCPRIM_400000_NS6detail17trampoline_kernelINS0_14default_configENS1_20scan_config_selectorItEEZZNS1_9scan_implILNS1_25lookback_scan_determinismE0ELb0ELb0ES3_N6thrust23THRUST_200600_302600_NS6detail15normal_iteratorINS9_10device_ptrItEEEENS9_16discard_iteratorINS9_11use_defaultEEEt11max_functorItEtEEDaPvRmT3_T4_T5_mT6_P12ihipStream_tbENKUlT_T0_E_clISt17integral_constantIbLb0EESX_EEDaSS_ST_EUlSS_E0_NS1_11comp_targetILNS1_3genE10ELNS1_11target_archE1201ELNS1_3gpuE5ELNS1_3repE0EEENS1_30default_config_static_selectorELNS0_4arch9wavefront6targetE1EEEvT1_,@function
_ZN7rocprim17ROCPRIM_400000_NS6detail17trampoline_kernelINS0_14default_configENS1_20scan_config_selectorItEEZZNS1_9scan_implILNS1_25lookback_scan_determinismE0ELb0ELb0ES3_N6thrust23THRUST_200600_302600_NS6detail15normal_iteratorINS9_10device_ptrItEEEENS9_16discard_iteratorINS9_11use_defaultEEEt11max_functorItEtEEDaPvRmT3_T4_T5_mT6_P12ihipStream_tbENKUlT_T0_E_clISt17integral_constantIbLb0EESX_EEDaSS_ST_EUlSS_E0_NS1_11comp_targetILNS1_3genE10ELNS1_11target_archE1201ELNS1_3gpuE5ELNS1_3repE0EEENS1_30default_config_static_selectorELNS0_4arch9wavefront6targetE1EEEvT1_: ; @_ZN7rocprim17ROCPRIM_400000_NS6detail17trampoline_kernelINS0_14default_configENS1_20scan_config_selectorItEEZZNS1_9scan_implILNS1_25lookback_scan_determinismE0ELb0ELb0ES3_N6thrust23THRUST_200600_302600_NS6detail15normal_iteratorINS9_10device_ptrItEEEENS9_16discard_iteratorINS9_11use_defaultEEEt11max_functorItEtEEDaPvRmT3_T4_T5_mT6_P12ihipStream_tbENKUlT_T0_E_clISt17integral_constantIbLb0EESX_EEDaSS_ST_EUlSS_E0_NS1_11comp_targetILNS1_3genE10ELNS1_11target_archE1201ELNS1_3gpuE5ELNS1_3repE0EEENS1_30default_config_static_selectorELNS0_4arch9wavefront6targetE1EEEvT1_
; %bb.0:
	.section	.rodata,"a",@progbits
	.p2align	6, 0x0
	.amdhsa_kernel _ZN7rocprim17ROCPRIM_400000_NS6detail17trampoline_kernelINS0_14default_configENS1_20scan_config_selectorItEEZZNS1_9scan_implILNS1_25lookback_scan_determinismE0ELb0ELb0ES3_N6thrust23THRUST_200600_302600_NS6detail15normal_iteratorINS9_10device_ptrItEEEENS9_16discard_iteratorINS9_11use_defaultEEEt11max_functorItEtEEDaPvRmT3_T4_T5_mT6_P12ihipStream_tbENKUlT_T0_E_clISt17integral_constantIbLb0EESX_EEDaSS_ST_EUlSS_E0_NS1_11comp_targetILNS1_3genE10ELNS1_11target_archE1201ELNS1_3gpuE5ELNS1_3repE0EEENS1_30default_config_static_selectorELNS0_4arch9wavefront6targetE1EEEvT1_
		.amdhsa_group_segment_fixed_size 0
		.amdhsa_private_segment_fixed_size 0
		.amdhsa_kernarg_size 40
		.amdhsa_user_sgpr_count 6
		.amdhsa_user_sgpr_private_segment_buffer 1
		.amdhsa_user_sgpr_dispatch_ptr 0
		.amdhsa_user_sgpr_queue_ptr 0
		.amdhsa_user_sgpr_kernarg_segment_ptr 1
		.amdhsa_user_sgpr_dispatch_id 0
		.amdhsa_user_sgpr_flat_scratch_init 0
		.amdhsa_user_sgpr_kernarg_preload_length 0
		.amdhsa_user_sgpr_kernarg_preload_offset 0
		.amdhsa_user_sgpr_private_segment_size 0
		.amdhsa_uses_dynamic_stack 0
		.amdhsa_system_sgpr_private_segment_wavefront_offset 0
		.amdhsa_system_sgpr_workgroup_id_x 1
		.amdhsa_system_sgpr_workgroup_id_y 0
		.amdhsa_system_sgpr_workgroup_id_z 0
		.amdhsa_system_sgpr_workgroup_info 0
		.amdhsa_system_vgpr_workitem_id 0
		.amdhsa_next_free_vgpr 1
		.amdhsa_next_free_sgpr 0
		.amdhsa_accum_offset 4
		.amdhsa_reserve_vcc 0
		.amdhsa_reserve_flat_scratch 0
		.amdhsa_float_round_mode_32 0
		.amdhsa_float_round_mode_16_64 0
		.amdhsa_float_denorm_mode_32 3
		.amdhsa_float_denorm_mode_16_64 3
		.amdhsa_dx10_clamp 1
		.amdhsa_ieee_mode 1
		.amdhsa_fp16_overflow 0
		.amdhsa_tg_split 0
		.amdhsa_exception_fp_ieee_invalid_op 0
		.amdhsa_exception_fp_denorm_src 0
		.amdhsa_exception_fp_ieee_div_zero 0
		.amdhsa_exception_fp_ieee_overflow 0
		.amdhsa_exception_fp_ieee_underflow 0
		.amdhsa_exception_fp_ieee_inexact 0
		.amdhsa_exception_int_div_zero 0
	.end_amdhsa_kernel
	.section	.text._ZN7rocprim17ROCPRIM_400000_NS6detail17trampoline_kernelINS0_14default_configENS1_20scan_config_selectorItEEZZNS1_9scan_implILNS1_25lookback_scan_determinismE0ELb0ELb0ES3_N6thrust23THRUST_200600_302600_NS6detail15normal_iteratorINS9_10device_ptrItEEEENS9_16discard_iteratorINS9_11use_defaultEEEt11max_functorItEtEEDaPvRmT3_T4_T5_mT6_P12ihipStream_tbENKUlT_T0_E_clISt17integral_constantIbLb0EESX_EEDaSS_ST_EUlSS_E0_NS1_11comp_targetILNS1_3genE10ELNS1_11target_archE1201ELNS1_3gpuE5ELNS1_3repE0EEENS1_30default_config_static_selectorELNS0_4arch9wavefront6targetE1EEEvT1_,"axG",@progbits,_ZN7rocprim17ROCPRIM_400000_NS6detail17trampoline_kernelINS0_14default_configENS1_20scan_config_selectorItEEZZNS1_9scan_implILNS1_25lookback_scan_determinismE0ELb0ELb0ES3_N6thrust23THRUST_200600_302600_NS6detail15normal_iteratorINS9_10device_ptrItEEEENS9_16discard_iteratorINS9_11use_defaultEEEt11max_functorItEtEEDaPvRmT3_T4_T5_mT6_P12ihipStream_tbENKUlT_T0_E_clISt17integral_constantIbLb0EESX_EEDaSS_ST_EUlSS_E0_NS1_11comp_targetILNS1_3genE10ELNS1_11target_archE1201ELNS1_3gpuE5ELNS1_3repE0EEENS1_30default_config_static_selectorELNS0_4arch9wavefront6targetE1EEEvT1_,comdat
.Lfunc_end3580:
	.size	_ZN7rocprim17ROCPRIM_400000_NS6detail17trampoline_kernelINS0_14default_configENS1_20scan_config_selectorItEEZZNS1_9scan_implILNS1_25lookback_scan_determinismE0ELb0ELb0ES3_N6thrust23THRUST_200600_302600_NS6detail15normal_iteratorINS9_10device_ptrItEEEENS9_16discard_iteratorINS9_11use_defaultEEEt11max_functorItEtEEDaPvRmT3_T4_T5_mT6_P12ihipStream_tbENKUlT_T0_E_clISt17integral_constantIbLb0EESX_EEDaSS_ST_EUlSS_E0_NS1_11comp_targetILNS1_3genE10ELNS1_11target_archE1201ELNS1_3gpuE5ELNS1_3repE0EEENS1_30default_config_static_selectorELNS0_4arch9wavefront6targetE1EEEvT1_, .Lfunc_end3580-_ZN7rocprim17ROCPRIM_400000_NS6detail17trampoline_kernelINS0_14default_configENS1_20scan_config_selectorItEEZZNS1_9scan_implILNS1_25lookback_scan_determinismE0ELb0ELb0ES3_N6thrust23THRUST_200600_302600_NS6detail15normal_iteratorINS9_10device_ptrItEEEENS9_16discard_iteratorINS9_11use_defaultEEEt11max_functorItEtEEDaPvRmT3_T4_T5_mT6_P12ihipStream_tbENKUlT_T0_E_clISt17integral_constantIbLb0EESX_EEDaSS_ST_EUlSS_E0_NS1_11comp_targetILNS1_3genE10ELNS1_11target_archE1201ELNS1_3gpuE5ELNS1_3repE0EEENS1_30default_config_static_selectorELNS0_4arch9wavefront6targetE1EEEvT1_
                                        ; -- End function
	.section	.AMDGPU.csdata,"",@progbits
; Kernel info:
; codeLenInByte = 0
; NumSgprs: 4
; NumVgprs: 0
; NumAgprs: 0
; TotalNumVgprs: 0
; ScratchSize: 0
; MemoryBound: 0
; FloatMode: 240
; IeeeMode: 1
; LDSByteSize: 0 bytes/workgroup (compile time only)
; SGPRBlocks: 0
; VGPRBlocks: 0
; NumSGPRsForWavesPerEU: 4
; NumVGPRsForWavesPerEU: 1
; AccumOffset: 4
; Occupancy: 8
; WaveLimiterHint : 0
; COMPUTE_PGM_RSRC2:SCRATCH_EN: 0
; COMPUTE_PGM_RSRC2:USER_SGPR: 6
; COMPUTE_PGM_RSRC2:TRAP_HANDLER: 0
; COMPUTE_PGM_RSRC2:TGID_X_EN: 1
; COMPUTE_PGM_RSRC2:TGID_Y_EN: 0
; COMPUTE_PGM_RSRC2:TGID_Z_EN: 0
; COMPUTE_PGM_RSRC2:TIDIG_COMP_CNT: 0
; COMPUTE_PGM_RSRC3_GFX90A:ACCUM_OFFSET: 0
; COMPUTE_PGM_RSRC3_GFX90A:TG_SPLIT: 0
	.section	.text._ZN7rocprim17ROCPRIM_400000_NS6detail17trampoline_kernelINS0_14default_configENS1_20scan_config_selectorItEEZZNS1_9scan_implILNS1_25lookback_scan_determinismE0ELb0ELb0ES3_N6thrust23THRUST_200600_302600_NS6detail15normal_iteratorINS9_10device_ptrItEEEENS9_16discard_iteratorINS9_11use_defaultEEEt11max_functorItEtEEDaPvRmT3_T4_T5_mT6_P12ihipStream_tbENKUlT_T0_E_clISt17integral_constantIbLb0EESX_EEDaSS_ST_EUlSS_E0_NS1_11comp_targetILNS1_3genE10ELNS1_11target_archE1200ELNS1_3gpuE4ELNS1_3repE0EEENS1_30default_config_static_selectorELNS0_4arch9wavefront6targetE1EEEvT1_,"axG",@progbits,_ZN7rocprim17ROCPRIM_400000_NS6detail17trampoline_kernelINS0_14default_configENS1_20scan_config_selectorItEEZZNS1_9scan_implILNS1_25lookback_scan_determinismE0ELb0ELb0ES3_N6thrust23THRUST_200600_302600_NS6detail15normal_iteratorINS9_10device_ptrItEEEENS9_16discard_iteratorINS9_11use_defaultEEEt11max_functorItEtEEDaPvRmT3_T4_T5_mT6_P12ihipStream_tbENKUlT_T0_E_clISt17integral_constantIbLb0EESX_EEDaSS_ST_EUlSS_E0_NS1_11comp_targetILNS1_3genE10ELNS1_11target_archE1200ELNS1_3gpuE4ELNS1_3repE0EEENS1_30default_config_static_selectorELNS0_4arch9wavefront6targetE1EEEvT1_,comdat
	.protected	_ZN7rocprim17ROCPRIM_400000_NS6detail17trampoline_kernelINS0_14default_configENS1_20scan_config_selectorItEEZZNS1_9scan_implILNS1_25lookback_scan_determinismE0ELb0ELb0ES3_N6thrust23THRUST_200600_302600_NS6detail15normal_iteratorINS9_10device_ptrItEEEENS9_16discard_iteratorINS9_11use_defaultEEEt11max_functorItEtEEDaPvRmT3_T4_T5_mT6_P12ihipStream_tbENKUlT_T0_E_clISt17integral_constantIbLb0EESX_EEDaSS_ST_EUlSS_E0_NS1_11comp_targetILNS1_3genE10ELNS1_11target_archE1200ELNS1_3gpuE4ELNS1_3repE0EEENS1_30default_config_static_selectorELNS0_4arch9wavefront6targetE1EEEvT1_ ; -- Begin function _ZN7rocprim17ROCPRIM_400000_NS6detail17trampoline_kernelINS0_14default_configENS1_20scan_config_selectorItEEZZNS1_9scan_implILNS1_25lookback_scan_determinismE0ELb0ELb0ES3_N6thrust23THRUST_200600_302600_NS6detail15normal_iteratorINS9_10device_ptrItEEEENS9_16discard_iteratorINS9_11use_defaultEEEt11max_functorItEtEEDaPvRmT3_T4_T5_mT6_P12ihipStream_tbENKUlT_T0_E_clISt17integral_constantIbLb0EESX_EEDaSS_ST_EUlSS_E0_NS1_11comp_targetILNS1_3genE10ELNS1_11target_archE1200ELNS1_3gpuE4ELNS1_3repE0EEENS1_30default_config_static_selectorELNS0_4arch9wavefront6targetE1EEEvT1_
	.globl	_ZN7rocprim17ROCPRIM_400000_NS6detail17trampoline_kernelINS0_14default_configENS1_20scan_config_selectorItEEZZNS1_9scan_implILNS1_25lookback_scan_determinismE0ELb0ELb0ES3_N6thrust23THRUST_200600_302600_NS6detail15normal_iteratorINS9_10device_ptrItEEEENS9_16discard_iteratorINS9_11use_defaultEEEt11max_functorItEtEEDaPvRmT3_T4_T5_mT6_P12ihipStream_tbENKUlT_T0_E_clISt17integral_constantIbLb0EESX_EEDaSS_ST_EUlSS_E0_NS1_11comp_targetILNS1_3genE10ELNS1_11target_archE1200ELNS1_3gpuE4ELNS1_3repE0EEENS1_30default_config_static_selectorELNS0_4arch9wavefront6targetE1EEEvT1_
	.p2align	8
	.type	_ZN7rocprim17ROCPRIM_400000_NS6detail17trampoline_kernelINS0_14default_configENS1_20scan_config_selectorItEEZZNS1_9scan_implILNS1_25lookback_scan_determinismE0ELb0ELb0ES3_N6thrust23THRUST_200600_302600_NS6detail15normal_iteratorINS9_10device_ptrItEEEENS9_16discard_iteratorINS9_11use_defaultEEEt11max_functorItEtEEDaPvRmT3_T4_T5_mT6_P12ihipStream_tbENKUlT_T0_E_clISt17integral_constantIbLb0EESX_EEDaSS_ST_EUlSS_E0_NS1_11comp_targetILNS1_3genE10ELNS1_11target_archE1200ELNS1_3gpuE4ELNS1_3repE0EEENS1_30default_config_static_selectorELNS0_4arch9wavefront6targetE1EEEvT1_,@function
_ZN7rocprim17ROCPRIM_400000_NS6detail17trampoline_kernelINS0_14default_configENS1_20scan_config_selectorItEEZZNS1_9scan_implILNS1_25lookback_scan_determinismE0ELb0ELb0ES3_N6thrust23THRUST_200600_302600_NS6detail15normal_iteratorINS9_10device_ptrItEEEENS9_16discard_iteratorINS9_11use_defaultEEEt11max_functorItEtEEDaPvRmT3_T4_T5_mT6_P12ihipStream_tbENKUlT_T0_E_clISt17integral_constantIbLb0EESX_EEDaSS_ST_EUlSS_E0_NS1_11comp_targetILNS1_3genE10ELNS1_11target_archE1200ELNS1_3gpuE4ELNS1_3repE0EEENS1_30default_config_static_selectorELNS0_4arch9wavefront6targetE1EEEvT1_: ; @_ZN7rocprim17ROCPRIM_400000_NS6detail17trampoline_kernelINS0_14default_configENS1_20scan_config_selectorItEEZZNS1_9scan_implILNS1_25lookback_scan_determinismE0ELb0ELb0ES3_N6thrust23THRUST_200600_302600_NS6detail15normal_iteratorINS9_10device_ptrItEEEENS9_16discard_iteratorINS9_11use_defaultEEEt11max_functorItEtEEDaPvRmT3_T4_T5_mT6_P12ihipStream_tbENKUlT_T0_E_clISt17integral_constantIbLb0EESX_EEDaSS_ST_EUlSS_E0_NS1_11comp_targetILNS1_3genE10ELNS1_11target_archE1200ELNS1_3gpuE4ELNS1_3repE0EEENS1_30default_config_static_selectorELNS0_4arch9wavefront6targetE1EEEvT1_
; %bb.0:
	.section	.rodata,"a",@progbits
	.p2align	6, 0x0
	.amdhsa_kernel _ZN7rocprim17ROCPRIM_400000_NS6detail17trampoline_kernelINS0_14default_configENS1_20scan_config_selectorItEEZZNS1_9scan_implILNS1_25lookback_scan_determinismE0ELb0ELb0ES3_N6thrust23THRUST_200600_302600_NS6detail15normal_iteratorINS9_10device_ptrItEEEENS9_16discard_iteratorINS9_11use_defaultEEEt11max_functorItEtEEDaPvRmT3_T4_T5_mT6_P12ihipStream_tbENKUlT_T0_E_clISt17integral_constantIbLb0EESX_EEDaSS_ST_EUlSS_E0_NS1_11comp_targetILNS1_3genE10ELNS1_11target_archE1200ELNS1_3gpuE4ELNS1_3repE0EEENS1_30default_config_static_selectorELNS0_4arch9wavefront6targetE1EEEvT1_
		.amdhsa_group_segment_fixed_size 0
		.amdhsa_private_segment_fixed_size 0
		.amdhsa_kernarg_size 40
		.amdhsa_user_sgpr_count 6
		.amdhsa_user_sgpr_private_segment_buffer 1
		.amdhsa_user_sgpr_dispatch_ptr 0
		.amdhsa_user_sgpr_queue_ptr 0
		.amdhsa_user_sgpr_kernarg_segment_ptr 1
		.amdhsa_user_sgpr_dispatch_id 0
		.amdhsa_user_sgpr_flat_scratch_init 0
		.amdhsa_user_sgpr_kernarg_preload_length 0
		.amdhsa_user_sgpr_kernarg_preload_offset 0
		.amdhsa_user_sgpr_private_segment_size 0
		.amdhsa_uses_dynamic_stack 0
		.amdhsa_system_sgpr_private_segment_wavefront_offset 0
		.amdhsa_system_sgpr_workgroup_id_x 1
		.amdhsa_system_sgpr_workgroup_id_y 0
		.amdhsa_system_sgpr_workgroup_id_z 0
		.amdhsa_system_sgpr_workgroup_info 0
		.amdhsa_system_vgpr_workitem_id 0
		.amdhsa_next_free_vgpr 1
		.amdhsa_next_free_sgpr 0
		.amdhsa_accum_offset 4
		.amdhsa_reserve_vcc 0
		.amdhsa_reserve_flat_scratch 0
		.amdhsa_float_round_mode_32 0
		.amdhsa_float_round_mode_16_64 0
		.amdhsa_float_denorm_mode_32 3
		.amdhsa_float_denorm_mode_16_64 3
		.amdhsa_dx10_clamp 1
		.amdhsa_ieee_mode 1
		.amdhsa_fp16_overflow 0
		.amdhsa_tg_split 0
		.amdhsa_exception_fp_ieee_invalid_op 0
		.amdhsa_exception_fp_denorm_src 0
		.amdhsa_exception_fp_ieee_div_zero 0
		.amdhsa_exception_fp_ieee_overflow 0
		.amdhsa_exception_fp_ieee_underflow 0
		.amdhsa_exception_fp_ieee_inexact 0
		.amdhsa_exception_int_div_zero 0
	.end_amdhsa_kernel
	.section	.text._ZN7rocprim17ROCPRIM_400000_NS6detail17trampoline_kernelINS0_14default_configENS1_20scan_config_selectorItEEZZNS1_9scan_implILNS1_25lookback_scan_determinismE0ELb0ELb0ES3_N6thrust23THRUST_200600_302600_NS6detail15normal_iteratorINS9_10device_ptrItEEEENS9_16discard_iteratorINS9_11use_defaultEEEt11max_functorItEtEEDaPvRmT3_T4_T5_mT6_P12ihipStream_tbENKUlT_T0_E_clISt17integral_constantIbLb0EESX_EEDaSS_ST_EUlSS_E0_NS1_11comp_targetILNS1_3genE10ELNS1_11target_archE1200ELNS1_3gpuE4ELNS1_3repE0EEENS1_30default_config_static_selectorELNS0_4arch9wavefront6targetE1EEEvT1_,"axG",@progbits,_ZN7rocprim17ROCPRIM_400000_NS6detail17trampoline_kernelINS0_14default_configENS1_20scan_config_selectorItEEZZNS1_9scan_implILNS1_25lookback_scan_determinismE0ELb0ELb0ES3_N6thrust23THRUST_200600_302600_NS6detail15normal_iteratorINS9_10device_ptrItEEEENS9_16discard_iteratorINS9_11use_defaultEEEt11max_functorItEtEEDaPvRmT3_T4_T5_mT6_P12ihipStream_tbENKUlT_T0_E_clISt17integral_constantIbLb0EESX_EEDaSS_ST_EUlSS_E0_NS1_11comp_targetILNS1_3genE10ELNS1_11target_archE1200ELNS1_3gpuE4ELNS1_3repE0EEENS1_30default_config_static_selectorELNS0_4arch9wavefront6targetE1EEEvT1_,comdat
.Lfunc_end3581:
	.size	_ZN7rocprim17ROCPRIM_400000_NS6detail17trampoline_kernelINS0_14default_configENS1_20scan_config_selectorItEEZZNS1_9scan_implILNS1_25lookback_scan_determinismE0ELb0ELb0ES3_N6thrust23THRUST_200600_302600_NS6detail15normal_iteratorINS9_10device_ptrItEEEENS9_16discard_iteratorINS9_11use_defaultEEEt11max_functorItEtEEDaPvRmT3_T4_T5_mT6_P12ihipStream_tbENKUlT_T0_E_clISt17integral_constantIbLb0EESX_EEDaSS_ST_EUlSS_E0_NS1_11comp_targetILNS1_3genE10ELNS1_11target_archE1200ELNS1_3gpuE4ELNS1_3repE0EEENS1_30default_config_static_selectorELNS0_4arch9wavefront6targetE1EEEvT1_, .Lfunc_end3581-_ZN7rocprim17ROCPRIM_400000_NS6detail17trampoline_kernelINS0_14default_configENS1_20scan_config_selectorItEEZZNS1_9scan_implILNS1_25lookback_scan_determinismE0ELb0ELb0ES3_N6thrust23THRUST_200600_302600_NS6detail15normal_iteratorINS9_10device_ptrItEEEENS9_16discard_iteratorINS9_11use_defaultEEEt11max_functorItEtEEDaPvRmT3_T4_T5_mT6_P12ihipStream_tbENKUlT_T0_E_clISt17integral_constantIbLb0EESX_EEDaSS_ST_EUlSS_E0_NS1_11comp_targetILNS1_3genE10ELNS1_11target_archE1200ELNS1_3gpuE4ELNS1_3repE0EEENS1_30default_config_static_selectorELNS0_4arch9wavefront6targetE1EEEvT1_
                                        ; -- End function
	.section	.AMDGPU.csdata,"",@progbits
; Kernel info:
; codeLenInByte = 0
; NumSgprs: 4
; NumVgprs: 0
; NumAgprs: 0
; TotalNumVgprs: 0
; ScratchSize: 0
; MemoryBound: 0
; FloatMode: 240
; IeeeMode: 1
; LDSByteSize: 0 bytes/workgroup (compile time only)
; SGPRBlocks: 0
; VGPRBlocks: 0
; NumSGPRsForWavesPerEU: 4
; NumVGPRsForWavesPerEU: 1
; AccumOffset: 4
; Occupancy: 8
; WaveLimiterHint : 0
; COMPUTE_PGM_RSRC2:SCRATCH_EN: 0
; COMPUTE_PGM_RSRC2:USER_SGPR: 6
; COMPUTE_PGM_RSRC2:TRAP_HANDLER: 0
; COMPUTE_PGM_RSRC2:TGID_X_EN: 1
; COMPUTE_PGM_RSRC2:TGID_Y_EN: 0
; COMPUTE_PGM_RSRC2:TGID_Z_EN: 0
; COMPUTE_PGM_RSRC2:TIDIG_COMP_CNT: 0
; COMPUTE_PGM_RSRC3_GFX90A:ACCUM_OFFSET: 0
; COMPUTE_PGM_RSRC3_GFX90A:TG_SPLIT: 0
	.section	.text._ZN7rocprim17ROCPRIM_400000_NS6detail17trampoline_kernelINS0_14default_configENS1_20scan_config_selectorItEEZZNS1_9scan_implILNS1_25lookback_scan_determinismE0ELb0ELb0ES3_N6thrust23THRUST_200600_302600_NS6detail15normal_iteratorINS9_10device_ptrItEEEENS9_16discard_iteratorINS9_11use_defaultEEEt11max_functorItEtEEDaPvRmT3_T4_T5_mT6_P12ihipStream_tbENKUlT_T0_E_clISt17integral_constantIbLb0EESX_EEDaSS_ST_EUlSS_E0_NS1_11comp_targetILNS1_3genE9ELNS1_11target_archE1100ELNS1_3gpuE3ELNS1_3repE0EEENS1_30default_config_static_selectorELNS0_4arch9wavefront6targetE1EEEvT1_,"axG",@progbits,_ZN7rocprim17ROCPRIM_400000_NS6detail17trampoline_kernelINS0_14default_configENS1_20scan_config_selectorItEEZZNS1_9scan_implILNS1_25lookback_scan_determinismE0ELb0ELb0ES3_N6thrust23THRUST_200600_302600_NS6detail15normal_iteratorINS9_10device_ptrItEEEENS9_16discard_iteratorINS9_11use_defaultEEEt11max_functorItEtEEDaPvRmT3_T4_T5_mT6_P12ihipStream_tbENKUlT_T0_E_clISt17integral_constantIbLb0EESX_EEDaSS_ST_EUlSS_E0_NS1_11comp_targetILNS1_3genE9ELNS1_11target_archE1100ELNS1_3gpuE3ELNS1_3repE0EEENS1_30default_config_static_selectorELNS0_4arch9wavefront6targetE1EEEvT1_,comdat
	.protected	_ZN7rocprim17ROCPRIM_400000_NS6detail17trampoline_kernelINS0_14default_configENS1_20scan_config_selectorItEEZZNS1_9scan_implILNS1_25lookback_scan_determinismE0ELb0ELb0ES3_N6thrust23THRUST_200600_302600_NS6detail15normal_iteratorINS9_10device_ptrItEEEENS9_16discard_iteratorINS9_11use_defaultEEEt11max_functorItEtEEDaPvRmT3_T4_T5_mT6_P12ihipStream_tbENKUlT_T0_E_clISt17integral_constantIbLb0EESX_EEDaSS_ST_EUlSS_E0_NS1_11comp_targetILNS1_3genE9ELNS1_11target_archE1100ELNS1_3gpuE3ELNS1_3repE0EEENS1_30default_config_static_selectorELNS0_4arch9wavefront6targetE1EEEvT1_ ; -- Begin function _ZN7rocprim17ROCPRIM_400000_NS6detail17trampoline_kernelINS0_14default_configENS1_20scan_config_selectorItEEZZNS1_9scan_implILNS1_25lookback_scan_determinismE0ELb0ELb0ES3_N6thrust23THRUST_200600_302600_NS6detail15normal_iteratorINS9_10device_ptrItEEEENS9_16discard_iteratorINS9_11use_defaultEEEt11max_functorItEtEEDaPvRmT3_T4_T5_mT6_P12ihipStream_tbENKUlT_T0_E_clISt17integral_constantIbLb0EESX_EEDaSS_ST_EUlSS_E0_NS1_11comp_targetILNS1_3genE9ELNS1_11target_archE1100ELNS1_3gpuE3ELNS1_3repE0EEENS1_30default_config_static_selectorELNS0_4arch9wavefront6targetE1EEEvT1_
	.globl	_ZN7rocprim17ROCPRIM_400000_NS6detail17trampoline_kernelINS0_14default_configENS1_20scan_config_selectorItEEZZNS1_9scan_implILNS1_25lookback_scan_determinismE0ELb0ELb0ES3_N6thrust23THRUST_200600_302600_NS6detail15normal_iteratorINS9_10device_ptrItEEEENS9_16discard_iteratorINS9_11use_defaultEEEt11max_functorItEtEEDaPvRmT3_T4_T5_mT6_P12ihipStream_tbENKUlT_T0_E_clISt17integral_constantIbLb0EESX_EEDaSS_ST_EUlSS_E0_NS1_11comp_targetILNS1_3genE9ELNS1_11target_archE1100ELNS1_3gpuE3ELNS1_3repE0EEENS1_30default_config_static_selectorELNS0_4arch9wavefront6targetE1EEEvT1_
	.p2align	8
	.type	_ZN7rocprim17ROCPRIM_400000_NS6detail17trampoline_kernelINS0_14default_configENS1_20scan_config_selectorItEEZZNS1_9scan_implILNS1_25lookback_scan_determinismE0ELb0ELb0ES3_N6thrust23THRUST_200600_302600_NS6detail15normal_iteratorINS9_10device_ptrItEEEENS9_16discard_iteratorINS9_11use_defaultEEEt11max_functorItEtEEDaPvRmT3_T4_T5_mT6_P12ihipStream_tbENKUlT_T0_E_clISt17integral_constantIbLb0EESX_EEDaSS_ST_EUlSS_E0_NS1_11comp_targetILNS1_3genE9ELNS1_11target_archE1100ELNS1_3gpuE3ELNS1_3repE0EEENS1_30default_config_static_selectorELNS0_4arch9wavefront6targetE1EEEvT1_,@function
_ZN7rocprim17ROCPRIM_400000_NS6detail17trampoline_kernelINS0_14default_configENS1_20scan_config_selectorItEEZZNS1_9scan_implILNS1_25lookback_scan_determinismE0ELb0ELb0ES3_N6thrust23THRUST_200600_302600_NS6detail15normal_iteratorINS9_10device_ptrItEEEENS9_16discard_iteratorINS9_11use_defaultEEEt11max_functorItEtEEDaPvRmT3_T4_T5_mT6_P12ihipStream_tbENKUlT_T0_E_clISt17integral_constantIbLb0EESX_EEDaSS_ST_EUlSS_E0_NS1_11comp_targetILNS1_3genE9ELNS1_11target_archE1100ELNS1_3gpuE3ELNS1_3repE0EEENS1_30default_config_static_selectorELNS0_4arch9wavefront6targetE1EEEvT1_: ; @_ZN7rocprim17ROCPRIM_400000_NS6detail17trampoline_kernelINS0_14default_configENS1_20scan_config_selectorItEEZZNS1_9scan_implILNS1_25lookback_scan_determinismE0ELb0ELb0ES3_N6thrust23THRUST_200600_302600_NS6detail15normal_iteratorINS9_10device_ptrItEEEENS9_16discard_iteratorINS9_11use_defaultEEEt11max_functorItEtEEDaPvRmT3_T4_T5_mT6_P12ihipStream_tbENKUlT_T0_E_clISt17integral_constantIbLb0EESX_EEDaSS_ST_EUlSS_E0_NS1_11comp_targetILNS1_3genE9ELNS1_11target_archE1100ELNS1_3gpuE3ELNS1_3repE0EEENS1_30default_config_static_selectorELNS0_4arch9wavefront6targetE1EEEvT1_
; %bb.0:
	.section	.rodata,"a",@progbits
	.p2align	6, 0x0
	.amdhsa_kernel _ZN7rocprim17ROCPRIM_400000_NS6detail17trampoline_kernelINS0_14default_configENS1_20scan_config_selectorItEEZZNS1_9scan_implILNS1_25lookback_scan_determinismE0ELb0ELb0ES3_N6thrust23THRUST_200600_302600_NS6detail15normal_iteratorINS9_10device_ptrItEEEENS9_16discard_iteratorINS9_11use_defaultEEEt11max_functorItEtEEDaPvRmT3_T4_T5_mT6_P12ihipStream_tbENKUlT_T0_E_clISt17integral_constantIbLb0EESX_EEDaSS_ST_EUlSS_E0_NS1_11comp_targetILNS1_3genE9ELNS1_11target_archE1100ELNS1_3gpuE3ELNS1_3repE0EEENS1_30default_config_static_selectorELNS0_4arch9wavefront6targetE1EEEvT1_
		.amdhsa_group_segment_fixed_size 0
		.amdhsa_private_segment_fixed_size 0
		.amdhsa_kernarg_size 40
		.amdhsa_user_sgpr_count 6
		.amdhsa_user_sgpr_private_segment_buffer 1
		.amdhsa_user_sgpr_dispatch_ptr 0
		.amdhsa_user_sgpr_queue_ptr 0
		.amdhsa_user_sgpr_kernarg_segment_ptr 1
		.amdhsa_user_sgpr_dispatch_id 0
		.amdhsa_user_sgpr_flat_scratch_init 0
		.amdhsa_user_sgpr_kernarg_preload_length 0
		.amdhsa_user_sgpr_kernarg_preload_offset 0
		.amdhsa_user_sgpr_private_segment_size 0
		.amdhsa_uses_dynamic_stack 0
		.amdhsa_system_sgpr_private_segment_wavefront_offset 0
		.amdhsa_system_sgpr_workgroup_id_x 1
		.amdhsa_system_sgpr_workgroup_id_y 0
		.amdhsa_system_sgpr_workgroup_id_z 0
		.amdhsa_system_sgpr_workgroup_info 0
		.amdhsa_system_vgpr_workitem_id 0
		.amdhsa_next_free_vgpr 1
		.amdhsa_next_free_sgpr 0
		.amdhsa_accum_offset 4
		.amdhsa_reserve_vcc 0
		.amdhsa_reserve_flat_scratch 0
		.amdhsa_float_round_mode_32 0
		.amdhsa_float_round_mode_16_64 0
		.amdhsa_float_denorm_mode_32 3
		.amdhsa_float_denorm_mode_16_64 3
		.amdhsa_dx10_clamp 1
		.amdhsa_ieee_mode 1
		.amdhsa_fp16_overflow 0
		.amdhsa_tg_split 0
		.amdhsa_exception_fp_ieee_invalid_op 0
		.amdhsa_exception_fp_denorm_src 0
		.amdhsa_exception_fp_ieee_div_zero 0
		.amdhsa_exception_fp_ieee_overflow 0
		.amdhsa_exception_fp_ieee_underflow 0
		.amdhsa_exception_fp_ieee_inexact 0
		.amdhsa_exception_int_div_zero 0
	.end_amdhsa_kernel
	.section	.text._ZN7rocprim17ROCPRIM_400000_NS6detail17trampoline_kernelINS0_14default_configENS1_20scan_config_selectorItEEZZNS1_9scan_implILNS1_25lookback_scan_determinismE0ELb0ELb0ES3_N6thrust23THRUST_200600_302600_NS6detail15normal_iteratorINS9_10device_ptrItEEEENS9_16discard_iteratorINS9_11use_defaultEEEt11max_functorItEtEEDaPvRmT3_T4_T5_mT6_P12ihipStream_tbENKUlT_T0_E_clISt17integral_constantIbLb0EESX_EEDaSS_ST_EUlSS_E0_NS1_11comp_targetILNS1_3genE9ELNS1_11target_archE1100ELNS1_3gpuE3ELNS1_3repE0EEENS1_30default_config_static_selectorELNS0_4arch9wavefront6targetE1EEEvT1_,"axG",@progbits,_ZN7rocprim17ROCPRIM_400000_NS6detail17trampoline_kernelINS0_14default_configENS1_20scan_config_selectorItEEZZNS1_9scan_implILNS1_25lookback_scan_determinismE0ELb0ELb0ES3_N6thrust23THRUST_200600_302600_NS6detail15normal_iteratorINS9_10device_ptrItEEEENS9_16discard_iteratorINS9_11use_defaultEEEt11max_functorItEtEEDaPvRmT3_T4_T5_mT6_P12ihipStream_tbENKUlT_T0_E_clISt17integral_constantIbLb0EESX_EEDaSS_ST_EUlSS_E0_NS1_11comp_targetILNS1_3genE9ELNS1_11target_archE1100ELNS1_3gpuE3ELNS1_3repE0EEENS1_30default_config_static_selectorELNS0_4arch9wavefront6targetE1EEEvT1_,comdat
.Lfunc_end3582:
	.size	_ZN7rocprim17ROCPRIM_400000_NS6detail17trampoline_kernelINS0_14default_configENS1_20scan_config_selectorItEEZZNS1_9scan_implILNS1_25lookback_scan_determinismE0ELb0ELb0ES3_N6thrust23THRUST_200600_302600_NS6detail15normal_iteratorINS9_10device_ptrItEEEENS9_16discard_iteratorINS9_11use_defaultEEEt11max_functorItEtEEDaPvRmT3_T4_T5_mT6_P12ihipStream_tbENKUlT_T0_E_clISt17integral_constantIbLb0EESX_EEDaSS_ST_EUlSS_E0_NS1_11comp_targetILNS1_3genE9ELNS1_11target_archE1100ELNS1_3gpuE3ELNS1_3repE0EEENS1_30default_config_static_selectorELNS0_4arch9wavefront6targetE1EEEvT1_, .Lfunc_end3582-_ZN7rocprim17ROCPRIM_400000_NS6detail17trampoline_kernelINS0_14default_configENS1_20scan_config_selectorItEEZZNS1_9scan_implILNS1_25lookback_scan_determinismE0ELb0ELb0ES3_N6thrust23THRUST_200600_302600_NS6detail15normal_iteratorINS9_10device_ptrItEEEENS9_16discard_iteratorINS9_11use_defaultEEEt11max_functorItEtEEDaPvRmT3_T4_T5_mT6_P12ihipStream_tbENKUlT_T0_E_clISt17integral_constantIbLb0EESX_EEDaSS_ST_EUlSS_E0_NS1_11comp_targetILNS1_3genE9ELNS1_11target_archE1100ELNS1_3gpuE3ELNS1_3repE0EEENS1_30default_config_static_selectorELNS0_4arch9wavefront6targetE1EEEvT1_
                                        ; -- End function
	.section	.AMDGPU.csdata,"",@progbits
; Kernel info:
; codeLenInByte = 0
; NumSgprs: 4
; NumVgprs: 0
; NumAgprs: 0
; TotalNumVgprs: 0
; ScratchSize: 0
; MemoryBound: 0
; FloatMode: 240
; IeeeMode: 1
; LDSByteSize: 0 bytes/workgroup (compile time only)
; SGPRBlocks: 0
; VGPRBlocks: 0
; NumSGPRsForWavesPerEU: 4
; NumVGPRsForWavesPerEU: 1
; AccumOffset: 4
; Occupancy: 8
; WaveLimiterHint : 0
; COMPUTE_PGM_RSRC2:SCRATCH_EN: 0
; COMPUTE_PGM_RSRC2:USER_SGPR: 6
; COMPUTE_PGM_RSRC2:TRAP_HANDLER: 0
; COMPUTE_PGM_RSRC2:TGID_X_EN: 1
; COMPUTE_PGM_RSRC2:TGID_Y_EN: 0
; COMPUTE_PGM_RSRC2:TGID_Z_EN: 0
; COMPUTE_PGM_RSRC2:TIDIG_COMP_CNT: 0
; COMPUTE_PGM_RSRC3_GFX90A:ACCUM_OFFSET: 0
; COMPUTE_PGM_RSRC3_GFX90A:TG_SPLIT: 0
	.section	.text._ZN7rocprim17ROCPRIM_400000_NS6detail17trampoline_kernelINS0_14default_configENS1_20scan_config_selectorItEEZZNS1_9scan_implILNS1_25lookback_scan_determinismE0ELb0ELb0ES3_N6thrust23THRUST_200600_302600_NS6detail15normal_iteratorINS9_10device_ptrItEEEENS9_16discard_iteratorINS9_11use_defaultEEEt11max_functorItEtEEDaPvRmT3_T4_T5_mT6_P12ihipStream_tbENKUlT_T0_E_clISt17integral_constantIbLb0EESX_EEDaSS_ST_EUlSS_E0_NS1_11comp_targetILNS1_3genE8ELNS1_11target_archE1030ELNS1_3gpuE2ELNS1_3repE0EEENS1_30default_config_static_selectorELNS0_4arch9wavefront6targetE1EEEvT1_,"axG",@progbits,_ZN7rocprim17ROCPRIM_400000_NS6detail17trampoline_kernelINS0_14default_configENS1_20scan_config_selectorItEEZZNS1_9scan_implILNS1_25lookback_scan_determinismE0ELb0ELb0ES3_N6thrust23THRUST_200600_302600_NS6detail15normal_iteratorINS9_10device_ptrItEEEENS9_16discard_iteratorINS9_11use_defaultEEEt11max_functorItEtEEDaPvRmT3_T4_T5_mT6_P12ihipStream_tbENKUlT_T0_E_clISt17integral_constantIbLb0EESX_EEDaSS_ST_EUlSS_E0_NS1_11comp_targetILNS1_3genE8ELNS1_11target_archE1030ELNS1_3gpuE2ELNS1_3repE0EEENS1_30default_config_static_selectorELNS0_4arch9wavefront6targetE1EEEvT1_,comdat
	.protected	_ZN7rocprim17ROCPRIM_400000_NS6detail17trampoline_kernelINS0_14default_configENS1_20scan_config_selectorItEEZZNS1_9scan_implILNS1_25lookback_scan_determinismE0ELb0ELb0ES3_N6thrust23THRUST_200600_302600_NS6detail15normal_iteratorINS9_10device_ptrItEEEENS9_16discard_iteratorINS9_11use_defaultEEEt11max_functorItEtEEDaPvRmT3_T4_T5_mT6_P12ihipStream_tbENKUlT_T0_E_clISt17integral_constantIbLb0EESX_EEDaSS_ST_EUlSS_E0_NS1_11comp_targetILNS1_3genE8ELNS1_11target_archE1030ELNS1_3gpuE2ELNS1_3repE0EEENS1_30default_config_static_selectorELNS0_4arch9wavefront6targetE1EEEvT1_ ; -- Begin function _ZN7rocprim17ROCPRIM_400000_NS6detail17trampoline_kernelINS0_14default_configENS1_20scan_config_selectorItEEZZNS1_9scan_implILNS1_25lookback_scan_determinismE0ELb0ELb0ES3_N6thrust23THRUST_200600_302600_NS6detail15normal_iteratorINS9_10device_ptrItEEEENS9_16discard_iteratorINS9_11use_defaultEEEt11max_functorItEtEEDaPvRmT3_T4_T5_mT6_P12ihipStream_tbENKUlT_T0_E_clISt17integral_constantIbLb0EESX_EEDaSS_ST_EUlSS_E0_NS1_11comp_targetILNS1_3genE8ELNS1_11target_archE1030ELNS1_3gpuE2ELNS1_3repE0EEENS1_30default_config_static_selectorELNS0_4arch9wavefront6targetE1EEEvT1_
	.globl	_ZN7rocprim17ROCPRIM_400000_NS6detail17trampoline_kernelINS0_14default_configENS1_20scan_config_selectorItEEZZNS1_9scan_implILNS1_25lookback_scan_determinismE0ELb0ELb0ES3_N6thrust23THRUST_200600_302600_NS6detail15normal_iteratorINS9_10device_ptrItEEEENS9_16discard_iteratorINS9_11use_defaultEEEt11max_functorItEtEEDaPvRmT3_T4_T5_mT6_P12ihipStream_tbENKUlT_T0_E_clISt17integral_constantIbLb0EESX_EEDaSS_ST_EUlSS_E0_NS1_11comp_targetILNS1_3genE8ELNS1_11target_archE1030ELNS1_3gpuE2ELNS1_3repE0EEENS1_30default_config_static_selectorELNS0_4arch9wavefront6targetE1EEEvT1_
	.p2align	8
	.type	_ZN7rocprim17ROCPRIM_400000_NS6detail17trampoline_kernelINS0_14default_configENS1_20scan_config_selectorItEEZZNS1_9scan_implILNS1_25lookback_scan_determinismE0ELb0ELb0ES3_N6thrust23THRUST_200600_302600_NS6detail15normal_iteratorINS9_10device_ptrItEEEENS9_16discard_iteratorINS9_11use_defaultEEEt11max_functorItEtEEDaPvRmT3_T4_T5_mT6_P12ihipStream_tbENKUlT_T0_E_clISt17integral_constantIbLb0EESX_EEDaSS_ST_EUlSS_E0_NS1_11comp_targetILNS1_3genE8ELNS1_11target_archE1030ELNS1_3gpuE2ELNS1_3repE0EEENS1_30default_config_static_selectorELNS0_4arch9wavefront6targetE1EEEvT1_,@function
_ZN7rocprim17ROCPRIM_400000_NS6detail17trampoline_kernelINS0_14default_configENS1_20scan_config_selectorItEEZZNS1_9scan_implILNS1_25lookback_scan_determinismE0ELb0ELb0ES3_N6thrust23THRUST_200600_302600_NS6detail15normal_iteratorINS9_10device_ptrItEEEENS9_16discard_iteratorINS9_11use_defaultEEEt11max_functorItEtEEDaPvRmT3_T4_T5_mT6_P12ihipStream_tbENKUlT_T0_E_clISt17integral_constantIbLb0EESX_EEDaSS_ST_EUlSS_E0_NS1_11comp_targetILNS1_3genE8ELNS1_11target_archE1030ELNS1_3gpuE2ELNS1_3repE0EEENS1_30default_config_static_selectorELNS0_4arch9wavefront6targetE1EEEvT1_: ; @_ZN7rocprim17ROCPRIM_400000_NS6detail17trampoline_kernelINS0_14default_configENS1_20scan_config_selectorItEEZZNS1_9scan_implILNS1_25lookback_scan_determinismE0ELb0ELb0ES3_N6thrust23THRUST_200600_302600_NS6detail15normal_iteratorINS9_10device_ptrItEEEENS9_16discard_iteratorINS9_11use_defaultEEEt11max_functorItEtEEDaPvRmT3_T4_T5_mT6_P12ihipStream_tbENKUlT_T0_E_clISt17integral_constantIbLb0EESX_EEDaSS_ST_EUlSS_E0_NS1_11comp_targetILNS1_3genE8ELNS1_11target_archE1030ELNS1_3gpuE2ELNS1_3repE0EEENS1_30default_config_static_selectorELNS0_4arch9wavefront6targetE1EEEvT1_
; %bb.0:
	.section	.rodata,"a",@progbits
	.p2align	6, 0x0
	.amdhsa_kernel _ZN7rocprim17ROCPRIM_400000_NS6detail17trampoline_kernelINS0_14default_configENS1_20scan_config_selectorItEEZZNS1_9scan_implILNS1_25lookback_scan_determinismE0ELb0ELb0ES3_N6thrust23THRUST_200600_302600_NS6detail15normal_iteratorINS9_10device_ptrItEEEENS9_16discard_iteratorINS9_11use_defaultEEEt11max_functorItEtEEDaPvRmT3_T4_T5_mT6_P12ihipStream_tbENKUlT_T0_E_clISt17integral_constantIbLb0EESX_EEDaSS_ST_EUlSS_E0_NS1_11comp_targetILNS1_3genE8ELNS1_11target_archE1030ELNS1_3gpuE2ELNS1_3repE0EEENS1_30default_config_static_selectorELNS0_4arch9wavefront6targetE1EEEvT1_
		.amdhsa_group_segment_fixed_size 0
		.amdhsa_private_segment_fixed_size 0
		.amdhsa_kernarg_size 40
		.amdhsa_user_sgpr_count 6
		.amdhsa_user_sgpr_private_segment_buffer 1
		.amdhsa_user_sgpr_dispatch_ptr 0
		.amdhsa_user_sgpr_queue_ptr 0
		.amdhsa_user_sgpr_kernarg_segment_ptr 1
		.amdhsa_user_sgpr_dispatch_id 0
		.amdhsa_user_sgpr_flat_scratch_init 0
		.amdhsa_user_sgpr_kernarg_preload_length 0
		.amdhsa_user_sgpr_kernarg_preload_offset 0
		.amdhsa_user_sgpr_private_segment_size 0
		.amdhsa_uses_dynamic_stack 0
		.amdhsa_system_sgpr_private_segment_wavefront_offset 0
		.amdhsa_system_sgpr_workgroup_id_x 1
		.amdhsa_system_sgpr_workgroup_id_y 0
		.amdhsa_system_sgpr_workgroup_id_z 0
		.amdhsa_system_sgpr_workgroup_info 0
		.amdhsa_system_vgpr_workitem_id 0
		.amdhsa_next_free_vgpr 1
		.amdhsa_next_free_sgpr 0
		.amdhsa_accum_offset 4
		.amdhsa_reserve_vcc 0
		.amdhsa_reserve_flat_scratch 0
		.amdhsa_float_round_mode_32 0
		.amdhsa_float_round_mode_16_64 0
		.amdhsa_float_denorm_mode_32 3
		.amdhsa_float_denorm_mode_16_64 3
		.amdhsa_dx10_clamp 1
		.amdhsa_ieee_mode 1
		.amdhsa_fp16_overflow 0
		.amdhsa_tg_split 0
		.amdhsa_exception_fp_ieee_invalid_op 0
		.amdhsa_exception_fp_denorm_src 0
		.amdhsa_exception_fp_ieee_div_zero 0
		.amdhsa_exception_fp_ieee_overflow 0
		.amdhsa_exception_fp_ieee_underflow 0
		.amdhsa_exception_fp_ieee_inexact 0
		.amdhsa_exception_int_div_zero 0
	.end_amdhsa_kernel
	.section	.text._ZN7rocprim17ROCPRIM_400000_NS6detail17trampoline_kernelINS0_14default_configENS1_20scan_config_selectorItEEZZNS1_9scan_implILNS1_25lookback_scan_determinismE0ELb0ELb0ES3_N6thrust23THRUST_200600_302600_NS6detail15normal_iteratorINS9_10device_ptrItEEEENS9_16discard_iteratorINS9_11use_defaultEEEt11max_functorItEtEEDaPvRmT3_T4_T5_mT6_P12ihipStream_tbENKUlT_T0_E_clISt17integral_constantIbLb0EESX_EEDaSS_ST_EUlSS_E0_NS1_11comp_targetILNS1_3genE8ELNS1_11target_archE1030ELNS1_3gpuE2ELNS1_3repE0EEENS1_30default_config_static_selectorELNS0_4arch9wavefront6targetE1EEEvT1_,"axG",@progbits,_ZN7rocprim17ROCPRIM_400000_NS6detail17trampoline_kernelINS0_14default_configENS1_20scan_config_selectorItEEZZNS1_9scan_implILNS1_25lookback_scan_determinismE0ELb0ELb0ES3_N6thrust23THRUST_200600_302600_NS6detail15normal_iteratorINS9_10device_ptrItEEEENS9_16discard_iteratorINS9_11use_defaultEEEt11max_functorItEtEEDaPvRmT3_T4_T5_mT6_P12ihipStream_tbENKUlT_T0_E_clISt17integral_constantIbLb0EESX_EEDaSS_ST_EUlSS_E0_NS1_11comp_targetILNS1_3genE8ELNS1_11target_archE1030ELNS1_3gpuE2ELNS1_3repE0EEENS1_30default_config_static_selectorELNS0_4arch9wavefront6targetE1EEEvT1_,comdat
.Lfunc_end3583:
	.size	_ZN7rocprim17ROCPRIM_400000_NS6detail17trampoline_kernelINS0_14default_configENS1_20scan_config_selectorItEEZZNS1_9scan_implILNS1_25lookback_scan_determinismE0ELb0ELb0ES3_N6thrust23THRUST_200600_302600_NS6detail15normal_iteratorINS9_10device_ptrItEEEENS9_16discard_iteratorINS9_11use_defaultEEEt11max_functorItEtEEDaPvRmT3_T4_T5_mT6_P12ihipStream_tbENKUlT_T0_E_clISt17integral_constantIbLb0EESX_EEDaSS_ST_EUlSS_E0_NS1_11comp_targetILNS1_3genE8ELNS1_11target_archE1030ELNS1_3gpuE2ELNS1_3repE0EEENS1_30default_config_static_selectorELNS0_4arch9wavefront6targetE1EEEvT1_, .Lfunc_end3583-_ZN7rocprim17ROCPRIM_400000_NS6detail17trampoline_kernelINS0_14default_configENS1_20scan_config_selectorItEEZZNS1_9scan_implILNS1_25lookback_scan_determinismE0ELb0ELb0ES3_N6thrust23THRUST_200600_302600_NS6detail15normal_iteratorINS9_10device_ptrItEEEENS9_16discard_iteratorINS9_11use_defaultEEEt11max_functorItEtEEDaPvRmT3_T4_T5_mT6_P12ihipStream_tbENKUlT_T0_E_clISt17integral_constantIbLb0EESX_EEDaSS_ST_EUlSS_E0_NS1_11comp_targetILNS1_3genE8ELNS1_11target_archE1030ELNS1_3gpuE2ELNS1_3repE0EEENS1_30default_config_static_selectorELNS0_4arch9wavefront6targetE1EEEvT1_
                                        ; -- End function
	.section	.AMDGPU.csdata,"",@progbits
; Kernel info:
; codeLenInByte = 0
; NumSgprs: 4
; NumVgprs: 0
; NumAgprs: 0
; TotalNumVgprs: 0
; ScratchSize: 0
; MemoryBound: 0
; FloatMode: 240
; IeeeMode: 1
; LDSByteSize: 0 bytes/workgroup (compile time only)
; SGPRBlocks: 0
; VGPRBlocks: 0
; NumSGPRsForWavesPerEU: 4
; NumVGPRsForWavesPerEU: 1
; AccumOffset: 4
; Occupancy: 8
; WaveLimiterHint : 0
; COMPUTE_PGM_RSRC2:SCRATCH_EN: 0
; COMPUTE_PGM_RSRC2:USER_SGPR: 6
; COMPUTE_PGM_RSRC2:TRAP_HANDLER: 0
; COMPUTE_PGM_RSRC2:TGID_X_EN: 1
; COMPUTE_PGM_RSRC2:TGID_Y_EN: 0
; COMPUTE_PGM_RSRC2:TGID_Z_EN: 0
; COMPUTE_PGM_RSRC2:TIDIG_COMP_CNT: 0
; COMPUTE_PGM_RSRC3_GFX90A:ACCUM_OFFSET: 0
; COMPUTE_PGM_RSRC3_GFX90A:TG_SPLIT: 0
	.section	.text._ZN7rocprim17ROCPRIM_400000_NS6detail17trampoline_kernelINS0_14default_configENS1_20scan_config_selectorItEEZZNS1_9scan_implILNS1_25lookback_scan_determinismE0ELb0ELb0ES3_N6thrust23THRUST_200600_302600_NS6detail15normal_iteratorINS9_10device_ptrItEEEENS9_16discard_iteratorINS9_11use_defaultEEEt11max_functorItEtEEDaPvRmT3_T4_T5_mT6_P12ihipStream_tbENKUlT_T0_E_clISt17integral_constantIbLb1EESX_EEDaSS_ST_EUlSS_E_NS1_11comp_targetILNS1_3genE0ELNS1_11target_archE4294967295ELNS1_3gpuE0ELNS1_3repE0EEENS1_30default_config_static_selectorELNS0_4arch9wavefront6targetE1EEEvT1_,"axG",@progbits,_ZN7rocprim17ROCPRIM_400000_NS6detail17trampoline_kernelINS0_14default_configENS1_20scan_config_selectorItEEZZNS1_9scan_implILNS1_25lookback_scan_determinismE0ELb0ELb0ES3_N6thrust23THRUST_200600_302600_NS6detail15normal_iteratorINS9_10device_ptrItEEEENS9_16discard_iteratorINS9_11use_defaultEEEt11max_functorItEtEEDaPvRmT3_T4_T5_mT6_P12ihipStream_tbENKUlT_T0_E_clISt17integral_constantIbLb1EESX_EEDaSS_ST_EUlSS_E_NS1_11comp_targetILNS1_3genE0ELNS1_11target_archE4294967295ELNS1_3gpuE0ELNS1_3repE0EEENS1_30default_config_static_selectorELNS0_4arch9wavefront6targetE1EEEvT1_,comdat
	.protected	_ZN7rocprim17ROCPRIM_400000_NS6detail17trampoline_kernelINS0_14default_configENS1_20scan_config_selectorItEEZZNS1_9scan_implILNS1_25lookback_scan_determinismE0ELb0ELb0ES3_N6thrust23THRUST_200600_302600_NS6detail15normal_iteratorINS9_10device_ptrItEEEENS9_16discard_iteratorINS9_11use_defaultEEEt11max_functorItEtEEDaPvRmT3_T4_T5_mT6_P12ihipStream_tbENKUlT_T0_E_clISt17integral_constantIbLb1EESX_EEDaSS_ST_EUlSS_E_NS1_11comp_targetILNS1_3genE0ELNS1_11target_archE4294967295ELNS1_3gpuE0ELNS1_3repE0EEENS1_30default_config_static_selectorELNS0_4arch9wavefront6targetE1EEEvT1_ ; -- Begin function _ZN7rocprim17ROCPRIM_400000_NS6detail17trampoline_kernelINS0_14default_configENS1_20scan_config_selectorItEEZZNS1_9scan_implILNS1_25lookback_scan_determinismE0ELb0ELb0ES3_N6thrust23THRUST_200600_302600_NS6detail15normal_iteratorINS9_10device_ptrItEEEENS9_16discard_iteratorINS9_11use_defaultEEEt11max_functorItEtEEDaPvRmT3_T4_T5_mT6_P12ihipStream_tbENKUlT_T0_E_clISt17integral_constantIbLb1EESX_EEDaSS_ST_EUlSS_E_NS1_11comp_targetILNS1_3genE0ELNS1_11target_archE4294967295ELNS1_3gpuE0ELNS1_3repE0EEENS1_30default_config_static_selectorELNS0_4arch9wavefront6targetE1EEEvT1_
	.globl	_ZN7rocprim17ROCPRIM_400000_NS6detail17trampoline_kernelINS0_14default_configENS1_20scan_config_selectorItEEZZNS1_9scan_implILNS1_25lookback_scan_determinismE0ELb0ELb0ES3_N6thrust23THRUST_200600_302600_NS6detail15normal_iteratorINS9_10device_ptrItEEEENS9_16discard_iteratorINS9_11use_defaultEEEt11max_functorItEtEEDaPvRmT3_T4_T5_mT6_P12ihipStream_tbENKUlT_T0_E_clISt17integral_constantIbLb1EESX_EEDaSS_ST_EUlSS_E_NS1_11comp_targetILNS1_3genE0ELNS1_11target_archE4294967295ELNS1_3gpuE0ELNS1_3repE0EEENS1_30default_config_static_selectorELNS0_4arch9wavefront6targetE1EEEvT1_
	.p2align	8
	.type	_ZN7rocprim17ROCPRIM_400000_NS6detail17trampoline_kernelINS0_14default_configENS1_20scan_config_selectorItEEZZNS1_9scan_implILNS1_25lookback_scan_determinismE0ELb0ELb0ES3_N6thrust23THRUST_200600_302600_NS6detail15normal_iteratorINS9_10device_ptrItEEEENS9_16discard_iteratorINS9_11use_defaultEEEt11max_functorItEtEEDaPvRmT3_T4_T5_mT6_P12ihipStream_tbENKUlT_T0_E_clISt17integral_constantIbLb1EESX_EEDaSS_ST_EUlSS_E_NS1_11comp_targetILNS1_3genE0ELNS1_11target_archE4294967295ELNS1_3gpuE0ELNS1_3repE0EEENS1_30default_config_static_selectorELNS0_4arch9wavefront6targetE1EEEvT1_,@function
_ZN7rocprim17ROCPRIM_400000_NS6detail17trampoline_kernelINS0_14default_configENS1_20scan_config_selectorItEEZZNS1_9scan_implILNS1_25lookback_scan_determinismE0ELb0ELb0ES3_N6thrust23THRUST_200600_302600_NS6detail15normal_iteratorINS9_10device_ptrItEEEENS9_16discard_iteratorINS9_11use_defaultEEEt11max_functorItEtEEDaPvRmT3_T4_T5_mT6_P12ihipStream_tbENKUlT_T0_E_clISt17integral_constantIbLb1EESX_EEDaSS_ST_EUlSS_E_NS1_11comp_targetILNS1_3genE0ELNS1_11target_archE4294967295ELNS1_3gpuE0ELNS1_3repE0EEENS1_30default_config_static_selectorELNS0_4arch9wavefront6targetE1EEEvT1_: ; @_ZN7rocprim17ROCPRIM_400000_NS6detail17trampoline_kernelINS0_14default_configENS1_20scan_config_selectorItEEZZNS1_9scan_implILNS1_25lookback_scan_determinismE0ELb0ELb0ES3_N6thrust23THRUST_200600_302600_NS6detail15normal_iteratorINS9_10device_ptrItEEEENS9_16discard_iteratorINS9_11use_defaultEEEt11max_functorItEtEEDaPvRmT3_T4_T5_mT6_P12ihipStream_tbENKUlT_T0_E_clISt17integral_constantIbLb1EESX_EEDaSS_ST_EUlSS_E_NS1_11comp_targetILNS1_3genE0ELNS1_11target_archE4294967295ELNS1_3gpuE0ELNS1_3repE0EEENS1_30default_config_static_selectorELNS0_4arch9wavefront6targetE1EEEvT1_
; %bb.0:
	.section	.rodata,"a",@progbits
	.p2align	6, 0x0
	.amdhsa_kernel _ZN7rocprim17ROCPRIM_400000_NS6detail17trampoline_kernelINS0_14default_configENS1_20scan_config_selectorItEEZZNS1_9scan_implILNS1_25lookback_scan_determinismE0ELb0ELb0ES3_N6thrust23THRUST_200600_302600_NS6detail15normal_iteratorINS9_10device_ptrItEEEENS9_16discard_iteratorINS9_11use_defaultEEEt11max_functorItEtEEDaPvRmT3_T4_T5_mT6_P12ihipStream_tbENKUlT_T0_E_clISt17integral_constantIbLb1EESX_EEDaSS_ST_EUlSS_E_NS1_11comp_targetILNS1_3genE0ELNS1_11target_archE4294967295ELNS1_3gpuE0ELNS1_3repE0EEENS1_30default_config_static_selectorELNS0_4arch9wavefront6targetE1EEEvT1_
		.amdhsa_group_segment_fixed_size 0
		.amdhsa_private_segment_fixed_size 0
		.amdhsa_kernarg_size 104
		.amdhsa_user_sgpr_count 6
		.amdhsa_user_sgpr_private_segment_buffer 1
		.amdhsa_user_sgpr_dispatch_ptr 0
		.amdhsa_user_sgpr_queue_ptr 0
		.amdhsa_user_sgpr_kernarg_segment_ptr 1
		.amdhsa_user_sgpr_dispatch_id 0
		.amdhsa_user_sgpr_flat_scratch_init 0
		.amdhsa_user_sgpr_kernarg_preload_length 0
		.amdhsa_user_sgpr_kernarg_preload_offset 0
		.amdhsa_user_sgpr_private_segment_size 0
		.amdhsa_uses_dynamic_stack 0
		.amdhsa_system_sgpr_private_segment_wavefront_offset 0
		.amdhsa_system_sgpr_workgroup_id_x 1
		.amdhsa_system_sgpr_workgroup_id_y 0
		.amdhsa_system_sgpr_workgroup_id_z 0
		.amdhsa_system_sgpr_workgroup_info 0
		.amdhsa_system_vgpr_workitem_id 0
		.amdhsa_next_free_vgpr 1
		.amdhsa_next_free_sgpr 0
		.amdhsa_accum_offset 4
		.amdhsa_reserve_vcc 0
		.amdhsa_reserve_flat_scratch 0
		.amdhsa_float_round_mode_32 0
		.amdhsa_float_round_mode_16_64 0
		.amdhsa_float_denorm_mode_32 3
		.amdhsa_float_denorm_mode_16_64 3
		.amdhsa_dx10_clamp 1
		.amdhsa_ieee_mode 1
		.amdhsa_fp16_overflow 0
		.amdhsa_tg_split 0
		.amdhsa_exception_fp_ieee_invalid_op 0
		.amdhsa_exception_fp_denorm_src 0
		.amdhsa_exception_fp_ieee_div_zero 0
		.amdhsa_exception_fp_ieee_overflow 0
		.amdhsa_exception_fp_ieee_underflow 0
		.amdhsa_exception_fp_ieee_inexact 0
		.amdhsa_exception_int_div_zero 0
	.end_amdhsa_kernel
	.section	.text._ZN7rocprim17ROCPRIM_400000_NS6detail17trampoline_kernelINS0_14default_configENS1_20scan_config_selectorItEEZZNS1_9scan_implILNS1_25lookback_scan_determinismE0ELb0ELb0ES3_N6thrust23THRUST_200600_302600_NS6detail15normal_iteratorINS9_10device_ptrItEEEENS9_16discard_iteratorINS9_11use_defaultEEEt11max_functorItEtEEDaPvRmT3_T4_T5_mT6_P12ihipStream_tbENKUlT_T0_E_clISt17integral_constantIbLb1EESX_EEDaSS_ST_EUlSS_E_NS1_11comp_targetILNS1_3genE0ELNS1_11target_archE4294967295ELNS1_3gpuE0ELNS1_3repE0EEENS1_30default_config_static_selectorELNS0_4arch9wavefront6targetE1EEEvT1_,"axG",@progbits,_ZN7rocprim17ROCPRIM_400000_NS6detail17trampoline_kernelINS0_14default_configENS1_20scan_config_selectorItEEZZNS1_9scan_implILNS1_25lookback_scan_determinismE0ELb0ELb0ES3_N6thrust23THRUST_200600_302600_NS6detail15normal_iteratorINS9_10device_ptrItEEEENS9_16discard_iteratorINS9_11use_defaultEEEt11max_functorItEtEEDaPvRmT3_T4_T5_mT6_P12ihipStream_tbENKUlT_T0_E_clISt17integral_constantIbLb1EESX_EEDaSS_ST_EUlSS_E_NS1_11comp_targetILNS1_3genE0ELNS1_11target_archE4294967295ELNS1_3gpuE0ELNS1_3repE0EEENS1_30default_config_static_selectorELNS0_4arch9wavefront6targetE1EEEvT1_,comdat
.Lfunc_end3584:
	.size	_ZN7rocprim17ROCPRIM_400000_NS6detail17trampoline_kernelINS0_14default_configENS1_20scan_config_selectorItEEZZNS1_9scan_implILNS1_25lookback_scan_determinismE0ELb0ELb0ES3_N6thrust23THRUST_200600_302600_NS6detail15normal_iteratorINS9_10device_ptrItEEEENS9_16discard_iteratorINS9_11use_defaultEEEt11max_functorItEtEEDaPvRmT3_T4_T5_mT6_P12ihipStream_tbENKUlT_T0_E_clISt17integral_constantIbLb1EESX_EEDaSS_ST_EUlSS_E_NS1_11comp_targetILNS1_3genE0ELNS1_11target_archE4294967295ELNS1_3gpuE0ELNS1_3repE0EEENS1_30default_config_static_selectorELNS0_4arch9wavefront6targetE1EEEvT1_, .Lfunc_end3584-_ZN7rocprim17ROCPRIM_400000_NS6detail17trampoline_kernelINS0_14default_configENS1_20scan_config_selectorItEEZZNS1_9scan_implILNS1_25lookback_scan_determinismE0ELb0ELb0ES3_N6thrust23THRUST_200600_302600_NS6detail15normal_iteratorINS9_10device_ptrItEEEENS9_16discard_iteratorINS9_11use_defaultEEEt11max_functorItEtEEDaPvRmT3_T4_T5_mT6_P12ihipStream_tbENKUlT_T0_E_clISt17integral_constantIbLb1EESX_EEDaSS_ST_EUlSS_E_NS1_11comp_targetILNS1_3genE0ELNS1_11target_archE4294967295ELNS1_3gpuE0ELNS1_3repE0EEENS1_30default_config_static_selectorELNS0_4arch9wavefront6targetE1EEEvT1_
                                        ; -- End function
	.section	.AMDGPU.csdata,"",@progbits
; Kernel info:
; codeLenInByte = 0
; NumSgprs: 4
; NumVgprs: 0
; NumAgprs: 0
; TotalNumVgprs: 0
; ScratchSize: 0
; MemoryBound: 0
; FloatMode: 240
; IeeeMode: 1
; LDSByteSize: 0 bytes/workgroup (compile time only)
; SGPRBlocks: 0
; VGPRBlocks: 0
; NumSGPRsForWavesPerEU: 4
; NumVGPRsForWavesPerEU: 1
; AccumOffset: 4
; Occupancy: 8
; WaveLimiterHint : 0
; COMPUTE_PGM_RSRC2:SCRATCH_EN: 0
; COMPUTE_PGM_RSRC2:USER_SGPR: 6
; COMPUTE_PGM_RSRC2:TRAP_HANDLER: 0
; COMPUTE_PGM_RSRC2:TGID_X_EN: 1
; COMPUTE_PGM_RSRC2:TGID_Y_EN: 0
; COMPUTE_PGM_RSRC2:TGID_Z_EN: 0
; COMPUTE_PGM_RSRC2:TIDIG_COMP_CNT: 0
; COMPUTE_PGM_RSRC3_GFX90A:ACCUM_OFFSET: 0
; COMPUTE_PGM_RSRC3_GFX90A:TG_SPLIT: 0
	.section	.text._ZN7rocprim17ROCPRIM_400000_NS6detail17trampoline_kernelINS0_14default_configENS1_20scan_config_selectorItEEZZNS1_9scan_implILNS1_25lookback_scan_determinismE0ELb0ELb0ES3_N6thrust23THRUST_200600_302600_NS6detail15normal_iteratorINS9_10device_ptrItEEEENS9_16discard_iteratorINS9_11use_defaultEEEt11max_functorItEtEEDaPvRmT3_T4_T5_mT6_P12ihipStream_tbENKUlT_T0_E_clISt17integral_constantIbLb1EESX_EEDaSS_ST_EUlSS_E_NS1_11comp_targetILNS1_3genE5ELNS1_11target_archE942ELNS1_3gpuE9ELNS1_3repE0EEENS1_30default_config_static_selectorELNS0_4arch9wavefront6targetE1EEEvT1_,"axG",@progbits,_ZN7rocprim17ROCPRIM_400000_NS6detail17trampoline_kernelINS0_14default_configENS1_20scan_config_selectorItEEZZNS1_9scan_implILNS1_25lookback_scan_determinismE0ELb0ELb0ES3_N6thrust23THRUST_200600_302600_NS6detail15normal_iteratorINS9_10device_ptrItEEEENS9_16discard_iteratorINS9_11use_defaultEEEt11max_functorItEtEEDaPvRmT3_T4_T5_mT6_P12ihipStream_tbENKUlT_T0_E_clISt17integral_constantIbLb1EESX_EEDaSS_ST_EUlSS_E_NS1_11comp_targetILNS1_3genE5ELNS1_11target_archE942ELNS1_3gpuE9ELNS1_3repE0EEENS1_30default_config_static_selectorELNS0_4arch9wavefront6targetE1EEEvT1_,comdat
	.protected	_ZN7rocprim17ROCPRIM_400000_NS6detail17trampoline_kernelINS0_14default_configENS1_20scan_config_selectorItEEZZNS1_9scan_implILNS1_25lookback_scan_determinismE0ELb0ELb0ES3_N6thrust23THRUST_200600_302600_NS6detail15normal_iteratorINS9_10device_ptrItEEEENS9_16discard_iteratorINS9_11use_defaultEEEt11max_functorItEtEEDaPvRmT3_T4_T5_mT6_P12ihipStream_tbENKUlT_T0_E_clISt17integral_constantIbLb1EESX_EEDaSS_ST_EUlSS_E_NS1_11comp_targetILNS1_3genE5ELNS1_11target_archE942ELNS1_3gpuE9ELNS1_3repE0EEENS1_30default_config_static_selectorELNS0_4arch9wavefront6targetE1EEEvT1_ ; -- Begin function _ZN7rocprim17ROCPRIM_400000_NS6detail17trampoline_kernelINS0_14default_configENS1_20scan_config_selectorItEEZZNS1_9scan_implILNS1_25lookback_scan_determinismE0ELb0ELb0ES3_N6thrust23THRUST_200600_302600_NS6detail15normal_iteratorINS9_10device_ptrItEEEENS9_16discard_iteratorINS9_11use_defaultEEEt11max_functorItEtEEDaPvRmT3_T4_T5_mT6_P12ihipStream_tbENKUlT_T0_E_clISt17integral_constantIbLb1EESX_EEDaSS_ST_EUlSS_E_NS1_11comp_targetILNS1_3genE5ELNS1_11target_archE942ELNS1_3gpuE9ELNS1_3repE0EEENS1_30default_config_static_selectorELNS0_4arch9wavefront6targetE1EEEvT1_
	.globl	_ZN7rocprim17ROCPRIM_400000_NS6detail17trampoline_kernelINS0_14default_configENS1_20scan_config_selectorItEEZZNS1_9scan_implILNS1_25lookback_scan_determinismE0ELb0ELb0ES3_N6thrust23THRUST_200600_302600_NS6detail15normal_iteratorINS9_10device_ptrItEEEENS9_16discard_iteratorINS9_11use_defaultEEEt11max_functorItEtEEDaPvRmT3_T4_T5_mT6_P12ihipStream_tbENKUlT_T0_E_clISt17integral_constantIbLb1EESX_EEDaSS_ST_EUlSS_E_NS1_11comp_targetILNS1_3genE5ELNS1_11target_archE942ELNS1_3gpuE9ELNS1_3repE0EEENS1_30default_config_static_selectorELNS0_4arch9wavefront6targetE1EEEvT1_
	.p2align	8
	.type	_ZN7rocprim17ROCPRIM_400000_NS6detail17trampoline_kernelINS0_14default_configENS1_20scan_config_selectorItEEZZNS1_9scan_implILNS1_25lookback_scan_determinismE0ELb0ELb0ES3_N6thrust23THRUST_200600_302600_NS6detail15normal_iteratorINS9_10device_ptrItEEEENS9_16discard_iteratorINS9_11use_defaultEEEt11max_functorItEtEEDaPvRmT3_T4_T5_mT6_P12ihipStream_tbENKUlT_T0_E_clISt17integral_constantIbLb1EESX_EEDaSS_ST_EUlSS_E_NS1_11comp_targetILNS1_3genE5ELNS1_11target_archE942ELNS1_3gpuE9ELNS1_3repE0EEENS1_30default_config_static_selectorELNS0_4arch9wavefront6targetE1EEEvT1_,@function
_ZN7rocprim17ROCPRIM_400000_NS6detail17trampoline_kernelINS0_14default_configENS1_20scan_config_selectorItEEZZNS1_9scan_implILNS1_25lookback_scan_determinismE0ELb0ELb0ES3_N6thrust23THRUST_200600_302600_NS6detail15normal_iteratorINS9_10device_ptrItEEEENS9_16discard_iteratorINS9_11use_defaultEEEt11max_functorItEtEEDaPvRmT3_T4_T5_mT6_P12ihipStream_tbENKUlT_T0_E_clISt17integral_constantIbLb1EESX_EEDaSS_ST_EUlSS_E_NS1_11comp_targetILNS1_3genE5ELNS1_11target_archE942ELNS1_3gpuE9ELNS1_3repE0EEENS1_30default_config_static_selectorELNS0_4arch9wavefront6targetE1EEEvT1_: ; @_ZN7rocprim17ROCPRIM_400000_NS6detail17trampoline_kernelINS0_14default_configENS1_20scan_config_selectorItEEZZNS1_9scan_implILNS1_25lookback_scan_determinismE0ELb0ELb0ES3_N6thrust23THRUST_200600_302600_NS6detail15normal_iteratorINS9_10device_ptrItEEEENS9_16discard_iteratorINS9_11use_defaultEEEt11max_functorItEtEEDaPvRmT3_T4_T5_mT6_P12ihipStream_tbENKUlT_T0_E_clISt17integral_constantIbLb1EESX_EEDaSS_ST_EUlSS_E_NS1_11comp_targetILNS1_3genE5ELNS1_11target_archE942ELNS1_3gpuE9ELNS1_3repE0EEENS1_30default_config_static_selectorELNS0_4arch9wavefront6targetE1EEEvT1_
; %bb.0:
	.section	.rodata,"a",@progbits
	.p2align	6, 0x0
	.amdhsa_kernel _ZN7rocprim17ROCPRIM_400000_NS6detail17trampoline_kernelINS0_14default_configENS1_20scan_config_selectorItEEZZNS1_9scan_implILNS1_25lookback_scan_determinismE0ELb0ELb0ES3_N6thrust23THRUST_200600_302600_NS6detail15normal_iteratorINS9_10device_ptrItEEEENS9_16discard_iteratorINS9_11use_defaultEEEt11max_functorItEtEEDaPvRmT3_T4_T5_mT6_P12ihipStream_tbENKUlT_T0_E_clISt17integral_constantIbLb1EESX_EEDaSS_ST_EUlSS_E_NS1_11comp_targetILNS1_3genE5ELNS1_11target_archE942ELNS1_3gpuE9ELNS1_3repE0EEENS1_30default_config_static_selectorELNS0_4arch9wavefront6targetE1EEEvT1_
		.amdhsa_group_segment_fixed_size 0
		.amdhsa_private_segment_fixed_size 0
		.amdhsa_kernarg_size 104
		.amdhsa_user_sgpr_count 6
		.amdhsa_user_sgpr_private_segment_buffer 1
		.amdhsa_user_sgpr_dispatch_ptr 0
		.amdhsa_user_sgpr_queue_ptr 0
		.amdhsa_user_sgpr_kernarg_segment_ptr 1
		.amdhsa_user_sgpr_dispatch_id 0
		.amdhsa_user_sgpr_flat_scratch_init 0
		.amdhsa_user_sgpr_kernarg_preload_length 0
		.amdhsa_user_sgpr_kernarg_preload_offset 0
		.amdhsa_user_sgpr_private_segment_size 0
		.amdhsa_uses_dynamic_stack 0
		.amdhsa_system_sgpr_private_segment_wavefront_offset 0
		.amdhsa_system_sgpr_workgroup_id_x 1
		.amdhsa_system_sgpr_workgroup_id_y 0
		.amdhsa_system_sgpr_workgroup_id_z 0
		.amdhsa_system_sgpr_workgroup_info 0
		.amdhsa_system_vgpr_workitem_id 0
		.amdhsa_next_free_vgpr 1
		.amdhsa_next_free_sgpr 0
		.amdhsa_accum_offset 4
		.amdhsa_reserve_vcc 0
		.amdhsa_reserve_flat_scratch 0
		.amdhsa_float_round_mode_32 0
		.amdhsa_float_round_mode_16_64 0
		.amdhsa_float_denorm_mode_32 3
		.amdhsa_float_denorm_mode_16_64 3
		.amdhsa_dx10_clamp 1
		.amdhsa_ieee_mode 1
		.amdhsa_fp16_overflow 0
		.amdhsa_tg_split 0
		.amdhsa_exception_fp_ieee_invalid_op 0
		.amdhsa_exception_fp_denorm_src 0
		.amdhsa_exception_fp_ieee_div_zero 0
		.amdhsa_exception_fp_ieee_overflow 0
		.amdhsa_exception_fp_ieee_underflow 0
		.amdhsa_exception_fp_ieee_inexact 0
		.amdhsa_exception_int_div_zero 0
	.end_amdhsa_kernel
	.section	.text._ZN7rocprim17ROCPRIM_400000_NS6detail17trampoline_kernelINS0_14default_configENS1_20scan_config_selectorItEEZZNS1_9scan_implILNS1_25lookback_scan_determinismE0ELb0ELb0ES3_N6thrust23THRUST_200600_302600_NS6detail15normal_iteratorINS9_10device_ptrItEEEENS9_16discard_iteratorINS9_11use_defaultEEEt11max_functorItEtEEDaPvRmT3_T4_T5_mT6_P12ihipStream_tbENKUlT_T0_E_clISt17integral_constantIbLb1EESX_EEDaSS_ST_EUlSS_E_NS1_11comp_targetILNS1_3genE5ELNS1_11target_archE942ELNS1_3gpuE9ELNS1_3repE0EEENS1_30default_config_static_selectorELNS0_4arch9wavefront6targetE1EEEvT1_,"axG",@progbits,_ZN7rocprim17ROCPRIM_400000_NS6detail17trampoline_kernelINS0_14default_configENS1_20scan_config_selectorItEEZZNS1_9scan_implILNS1_25lookback_scan_determinismE0ELb0ELb0ES3_N6thrust23THRUST_200600_302600_NS6detail15normal_iteratorINS9_10device_ptrItEEEENS9_16discard_iteratorINS9_11use_defaultEEEt11max_functorItEtEEDaPvRmT3_T4_T5_mT6_P12ihipStream_tbENKUlT_T0_E_clISt17integral_constantIbLb1EESX_EEDaSS_ST_EUlSS_E_NS1_11comp_targetILNS1_3genE5ELNS1_11target_archE942ELNS1_3gpuE9ELNS1_3repE0EEENS1_30default_config_static_selectorELNS0_4arch9wavefront6targetE1EEEvT1_,comdat
.Lfunc_end3585:
	.size	_ZN7rocprim17ROCPRIM_400000_NS6detail17trampoline_kernelINS0_14default_configENS1_20scan_config_selectorItEEZZNS1_9scan_implILNS1_25lookback_scan_determinismE0ELb0ELb0ES3_N6thrust23THRUST_200600_302600_NS6detail15normal_iteratorINS9_10device_ptrItEEEENS9_16discard_iteratorINS9_11use_defaultEEEt11max_functorItEtEEDaPvRmT3_T4_T5_mT6_P12ihipStream_tbENKUlT_T0_E_clISt17integral_constantIbLb1EESX_EEDaSS_ST_EUlSS_E_NS1_11comp_targetILNS1_3genE5ELNS1_11target_archE942ELNS1_3gpuE9ELNS1_3repE0EEENS1_30default_config_static_selectorELNS0_4arch9wavefront6targetE1EEEvT1_, .Lfunc_end3585-_ZN7rocprim17ROCPRIM_400000_NS6detail17trampoline_kernelINS0_14default_configENS1_20scan_config_selectorItEEZZNS1_9scan_implILNS1_25lookback_scan_determinismE0ELb0ELb0ES3_N6thrust23THRUST_200600_302600_NS6detail15normal_iteratorINS9_10device_ptrItEEEENS9_16discard_iteratorINS9_11use_defaultEEEt11max_functorItEtEEDaPvRmT3_T4_T5_mT6_P12ihipStream_tbENKUlT_T0_E_clISt17integral_constantIbLb1EESX_EEDaSS_ST_EUlSS_E_NS1_11comp_targetILNS1_3genE5ELNS1_11target_archE942ELNS1_3gpuE9ELNS1_3repE0EEENS1_30default_config_static_selectorELNS0_4arch9wavefront6targetE1EEEvT1_
                                        ; -- End function
	.section	.AMDGPU.csdata,"",@progbits
; Kernel info:
; codeLenInByte = 0
; NumSgprs: 4
; NumVgprs: 0
; NumAgprs: 0
; TotalNumVgprs: 0
; ScratchSize: 0
; MemoryBound: 0
; FloatMode: 240
; IeeeMode: 1
; LDSByteSize: 0 bytes/workgroup (compile time only)
; SGPRBlocks: 0
; VGPRBlocks: 0
; NumSGPRsForWavesPerEU: 4
; NumVGPRsForWavesPerEU: 1
; AccumOffset: 4
; Occupancy: 8
; WaveLimiterHint : 0
; COMPUTE_PGM_RSRC2:SCRATCH_EN: 0
; COMPUTE_PGM_RSRC2:USER_SGPR: 6
; COMPUTE_PGM_RSRC2:TRAP_HANDLER: 0
; COMPUTE_PGM_RSRC2:TGID_X_EN: 1
; COMPUTE_PGM_RSRC2:TGID_Y_EN: 0
; COMPUTE_PGM_RSRC2:TGID_Z_EN: 0
; COMPUTE_PGM_RSRC2:TIDIG_COMP_CNT: 0
; COMPUTE_PGM_RSRC3_GFX90A:ACCUM_OFFSET: 0
; COMPUTE_PGM_RSRC3_GFX90A:TG_SPLIT: 0
	.section	.text._ZN7rocprim17ROCPRIM_400000_NS6detail17trampoline_kernelINS0_14default_configENS1_20scan_config_selectorItEEZZNS1_9scan_implILNS1_25lookback_scan_determinismE0ELb0ELb0ES3_N6thrust23THRUST_200600_302600_NS6detail15normal_iteratorINS9_10device_ptrItEEEENS9_16discard_iteratorINS9_11use_defaultEEEt11max_functorItEtEEDaPvRmT3_T4_T5_mT6_P12ihipStream_tbENKUlT_T0_E_clISt17integral_constantIbLb1EESX_EEDaSS_ST_EUlSS_E_NS1_11comp_targetILNS1_3genE4ELNS1_11target_archE910ELNS1_3gpuE8ELNS1_3repE0EEENS1_30default_config_static_selectorELNS0_4arch9wavefront6targetE1EEEvT1_,"axG",@progbits,_ZN7rocprim17ROCPRIM_400000_NS6detail17trampoline_kernelINS0_14default_configENS1_20scan_config_selectorItEEZZNS1_9scan_implILNS1_25lookback_scan_determinismE0ELb0ELb0ES3_N6thrust23THRUST_200600_302600_NS6detail15normal_iteratorINS9_10device_ptrItEEEENS9_16discard_iteratorINS9_11use_defaultEEEt11max_functorItEtEEDaPvRmT3_T4_T5_mT6_P12ihipStream_tbENKUlT_T0_E_clISt17integral_constantIbLb1EESX_EEDaSS_ST_EUlSS_E_NS1_11comp_targetILNS1_3genE4ELNS1_11target_archE910ELNS1_3gpuE8ELNS1_3repE0EEENS1_30default_config_static_selectorELNS0_4arch9wavefront6targetE1EEEvT1_,comdat
	.protected	_ZN7rocprim17ROCPRIM_400000_NS6detail17trampoline_kernelINS0_14default_configENS1_20scan_config_selectorItEEZZNS1_9scan_implILNS1_25lookback_scan_determinismE0ELb0ELb0ES3_N6thrust23THRUST_200600_302600_NS6detail15normal_iteratorINS9_10device_ptrItEEEENS9_16discard_iteratorINS9_11use_defaultEEEt11max_functorItEtEEDaPvRmT3_T4_T5_mT6_P12ihipStream_tbENKUlT_T0_E_clISt17integral_constantIbLb1EESX_EEDaSS_ST_EUlSS_E_NS1_11comp_targetILNS1_3genE4ELNS1_11target_archE910ELNS1_3gpuE8ELNS1_3repE0EEENS1_30default_config_static_selectorELNS0_4arch9wavefront6targetE1EEEvT1_ ; -- Begin function _ZN7rocprim17ROCPRIM_400000_NS6detail17trampoline_kernelINS0_14default_configENS1_20scan_config_selectorItEEZZNS1_9scan_implILNS1_25lookback_scan_determinismE0ELb0ELb0ES3_N6thrust23THRUST_200600_302600_NS6detail15normal_iteratorINS9_10device_ptrItEEEENS9_16discard_iteratorINS9_11use_defaultEEEt11max_functorItEtEEDaPvRmT3_T4_T5_mT6_P12ihipStream_tbENKUlT_T0_E_clISt17integral_constantIbLb1EESX_EEDaSS_ST_EUlSS_E_NS1_11comp_targetILNS1_3genE4ELNS1_11target_archE910ELNS1_3gpuE8ELNS1_3repE0EEENS1_30default_config_static_selectorELNS0_4arch9wavefront6targetE1EEEvT1_
	.globl	_ZN7rocprim17ROCPRIM_400000_NS6detail17trampoline_kernelINS0_14default_configENS1_20scan_config_selectorItEEZZNS1_9scan_implILNS1_25lookback_scan_determinismE0ELb0ELb0ES3_N6thrust23THRUST_200600_302600_NS6detail15normal_iteratorINS9_10device_ptrItEEEENS9_16discard_iteratorINS9_11use_defaultEEEt11max_functorItEtEEDaPvRmT3_T4_T5_mT6_P12ihipStream_tbENKUlT_T0_E_clISt17integral_constantIbLb1EESX_EEDaSS_ST_EUlSS_E_NS1_11comp_targetILNS1_3genE4ELNS1_11target_archE910ELNS1_3gpuE8ELNS1_3repE0EEENS1_30default_config_static_selectorELNS0_4arch9wavefront6targetE1EEEvT1_
	.p2align	8
	.type	_ZN7rocprim17ROCPRIM_400000_NS6detail17trampoline_kernelINS0_14default_configENS1_20scan_config_selectorItEEZZNS1_9scan_implILNS1_25lookback_scan_determinismE0ELb0ELb0ES3_N6thrust23THRUST_200600_302600_NS6detail15normal_iteratorINS9_10device_ptrItEEEENS9_16discard_iteratorINS9_11use_defaultEEEt11max_functorItEtEEDaPvRmT3_T4_T5_mT6_P12ihipStream_tbENKUlT_T0_E_clISt17integral_constantIbLb1EESX_EEDaSS_ST_EUlSS_E_NS1_11comp_targetILNS1_3genE4ELNS1_11target_archE910ELNS1_3gpuE8ELNS1_3repE0EEENS1_30default_config_static_selectorELNS0_4arch9wavefront6targetE1EEEvT1_,@function
_ZN7rocprim17ROCPRIM_400000_NS6detail17trampoline_kernelINS0_14default_configENS1_20scan_config_selectorItEEZZNS1_9scan_implILNS1_25lookback_scan_determinismE0ELb0ELb0ES3_N6thrust23THRUST_200600_302600_NS6detail15normal_iteratorINS9_10device_ptrItEEEENS9_16discard_iteratorINS9_11use_defaultEEEt11max_functorItEtEEDaPvRmT3_T4_T5_mT6_P12ihipStream_tbENKUlT_T0_E_clISt17integral_constantIbLb1EESX_EEDaSS_ST_EUlSS_E_NS1_11comp_targetILNS1_3genE4ELNS1_11target_archE910ELNS1_3gpuE8ELNS1_3repE0EEENS1_30default_config_static_selectorELNS0_4arch9wavefront6targetE1EEEvT1_: ; @_ZN7rocprim17ROCPRIM_400000_NS6detail17trampoline_kernelINS0_14default_configENS1_20scan_config_selectorItEEZZNS1_9scan_implILNS1_25lookback_scan_determinismE0ELb0ELb0ES3_N6thrust23THRUST_200600_302600_NS6detail15normal_iteratorINS9_10device_ptrItEEEENS9_16discard_iteratorINS9_11use_defaultEEEt11max_functorItEtEEDaPvRmT3_T4_T5_mT6_P12ihipStream_tbENKUlT_T0_E_clISt17integral_constantIbLb1EESX_EEDaSS_ST_EUlSS_E_NS1_11comp_targetILNS1_3genE4ELNS1_11target_archE910ELNS1_3gpuE8ELNS1_3repE0EEENS1_30default_config_static_selectorELNS0_4arch9wavefront6targetE1EEEvT1_
; %bb.0:
	s_load_dwordx2 s[6:7], s[4:5], 0x20
	s_load_dwordx2 s[24:25], s[4:5], 0x30
	v_cmp_ne_u32_e64 s[0:1], 0, v0
	v_cmp_eq_u32_e64 s[2:3], 0, v0
	s_and_saveexec_b64 s[8:9], s[2:3]
	s_cbranch_execz .LBB3586_4
; %bb.1:
	s_mov_b64 s[12:13], exec
	v_mbcnt_lo_u32_b32 v1, s12, 0
	v_mbcnt_hi_u32_b32 v1, s13, v1
	v_cmp_eq_u32_e32 vcc, 0, v1
                                        ; implicit-def: $vgpr2
	s_and_saveexec_b64 s[10:11], vcc
	s_cbranch_execz .LBB3586_3
; %bb.2:
	s_load_dwordx2 s[14:15], s[4:5], 0x60
	s_bcnt1_i32_b64 s12, s[12:13]
	v_mov_b32_e32 v2, 0
	v_mov_b32_e32 v3, s12
	s_waitcnt lgkmcnt(0)
	global_atomic_add v2, v2, v3, s[14:15] glc
.LBB3586_3:
	s_or_b64 exec, exec, s[10:11]
	s_waitcnt vmcnt(0)
	v_readfirstlane_b32 s10, v2
	v_add_u32_e32 v1, s10, v1
	v_mov_b32_e32 v2, 0
	ds_write_b32 v2, v1
.LBB3586_4:
	s_or_b64 exec, exec, s[8:9]
	v_mov_b32_e32 v3, 0
	s_load_dwordx4 s[8:11], s[4:5], 0x0
	s_load_dword s12, s[4:5], 0x38
	s_load_dwordx8 s[16:23], s[4:5], 0x40
	s_waitcnt lgkmcnt(0)
	; wave barrier
	s_waitcnt lgkmcnt(0)
	ds_read_b32 v1, v3
	s_lshl_b64 s[4:5], s[10:11], 1
	s_add_u32 s4, s8, s4
	s_movk_i32 s8, 0x600
	s_addc_u32 s5, s9, s5
	s_waitcnt lgkmcnt(0)
	v_mul_lo_u32 v2, v1, s8
	s_add_i32 s8, s12, -1
	s_mul_i32 s9, s8, 0x600
	s_sub_u32 s28, s6, s9
	v_readfirstlane_b32 s30, v1
	s_subb_u32 s29, s7, 0
	v_lshlrev_b64 v[2:3], 1, v[2:3]
	s_cmp_lg_u32 s30, s8
	v_mov_b32_e32 v1, s5
	v_add_co_u32_e32 v2, vcc, s4, v2
	s_cselect_b64 s[14:15], -1, 0
	v_addc_co_u32_e32 v3, vcc, v1, v3, vcc
	s_mov_b64 s[4:5], -1
	s_and_b64 vcc, exec, s[14:15]
	v_lshlrev_b32_e32 v1, 1, v0
	s_waitcnt lgkmcnt(0)
	; wave barrier
	s_cbranch_vccz .LBB3586_6
; %bb.5:
	v_add_co_u32_e32 v4, vcc, v2, v1
	v_addc_co_u32_e32 v5, vcc, 0, v3, vcc
	flat_load_ushort v6, v[4:5]
	flat_load_ushort v7, v[4:5] offset:128
	flat_load_ushort v8, v[4:5] offset:256
	;; [unrolled: 1-line block ×23, first 2 shown]
	s_mov_b64 s[4:5], 0
	s_waitcnt vmcnt(0) lgkmcnt(0)
	ds_write_b16 v1, v6
	ds_write_b16 v1, v7 offset:128
	ds_write_b16 v1, v8 offset:256
	;; [unrolled: 1-line block ×23, first 2 shown]
	s_waitcnt lgkmcnt(0)
	; wave barrier
.LBB3586_6:
	s_andn2_b64 vcc, exec, s[4:5]
	s_cbranch_vccnz .LBB3586_56
; %bb.7:
	flat_load_ushort v4, v[2:3]
	v_cmp_gt_u32_e32 vcc, s28, v0
	s_waitcnt vmcnt(0) lgkmcnt(0)
	v_mov_b32_e32 v5, v4
	s_and_saveexec_b64 s[4:5], vcc
	s_cbranch_execz .LBB3586_9
; %bb.8:
	v_add_co_u32_e32 v6, vcc, v2, v1
	v_addc_co_u32_e32 v7, vcc, 0, v3, vcc
	flat_load_ushort v5, v[6:7]
.LBB3586_9:
	s_or_b64 exec, exec, s[4:5]
	v_or_b32_e32 v6, 64, v0
	v_cmp_gt_u32_e32 vcc, s28, v6
	v_mov_b32_e32 v6, v4
	s_and_saveexec_b64 s[4:5], vcc
	s_cbranch_execz .LBB3586_11
; %bb.10:
	v_add_co_u32_e32 v6, vcc, v2, v1
	v_addc_co_u32_e32 v7, vcc, 0, v3, vcc
	flat_load_ushort v6, v[6:7] offset:128
.LBB3586_11:
	s_or_b64 exec, exec, s[4:5]
	v_or_b32_e32 v7, 0x80, v0
	v_cmp_gt_u32_e32 vcc, s28, v7
	v_mov_b32_e32 v7, v4
	s_and_saveexec_b64 s[4:5], vcc
	s_cbranch_execz .LBB3586_13
; %bb.12:
	v_add_co_u32_e32 v8, vcc, v2, v1
	v_addc_co_u32_e32 v9, vcc, 0, v3, vcc
	flat_load_ushort v7, v[8:9] offset:256
.LBB3586_13:
	;; [unrolled: 11-line block ×22, first 2 shown]
	s_or_b64 exec, exec, s[4:5]
	v_or_b32_e32 v28, 0x5c0, v0
	v_cmp_gt_u32_e32 vcc, s28, v28
	s_and_saveexec_b64 s[4:5], vcc
	s_cbranch_execz .LBB3586_55
; %bb.54:
	v_add_co_u32_e32 v2, vcc, v2, v1
	v_addc_co_u32_e32 v3, vcc, 0, v3, vcc
	flat_load_ushort v4, v[2:3] offset:2944
.LBB3586_55:
	s_or_b64 exec, exec, s[4:5]
	s_waitcnt vmcnt(0) lgkmcnt(0)
	ds_write_b16 v1, v5
	ds_write_b16 v1, v6 offset:128
	ds_write_b16 v1, v7 offset:256
	;; [unrolled: 1-line block ×23, first 2 shown]
	s_waitcnt lgkmcnt(0)
	; wave barrier
.LBB3586_56:
	v_mul_u32_u24_e32 v20, 24, v0
	v_lshlrev_b32_e32 v21, 1, v20
	s_waitcnt lgkmcnt(0)
	ds_read_b128 v[10:13], v21
	ds_read_b128 v[6:9], v21 offset:16
	ds_read_b128 v[2:5], v21 offset:32
	s_cmp_lg_u32 s30, 0
	v_mbcnt_lo_u32_b32 v32, -1, 0
	s_waitcnt lgkmcnt(2)
	v_lshrrev_b32_e32 v31, 16, v11
	v_lshrrev_b32_e32 v30, 16, v12
	;; [unrolled: 1-line block ×3, first 2 shown]
	s_waitcnt lgkmcnt(1)
	v_lshrrev_b32_e32 v28, 16, v6
	v_lshrrev_b32_e32 v27, 16, v7
	;; [unrolled: 1-line block ×4, first 2 shown]
	s_waitcnt lgkmcnt(0)
	v_lshrrev_b32_e32 v24, 16, v2
	v_lshrrev_b32_e32 v23, 16, v3
	;; [unrolled: 1-line block ×4, first 2 shown]
	v_cmp_eq_u32_e32 vcc, 63, v0
	s_waitcnt lgkmcnt(0)
	; wave barrier
	s_cbranch_scc0 .LBB3586_83
; %bb.57:
	v_max_u16_sdwa v14, v10, v10 dst_sel:DWORD dst_unused:UNUSED_PAD src0_sel:DWORD src1_sel:WORD_1
	v_max3_u16 v14, v14, v11, v31
	v_max3_u16 v14, v14, v12, v30
	;; [unrolled: 1-line block ×11, first 2 shown]
	v_mbcnt_hi_u32_b32 v15, -1, v32
	v_and_b32_e32 v17, 0xffff, v14
	v_and_b32_e32 v16, 15, v15
	v_cmp_eq_u32_e64 s[4:5], 0, v16
	v_mov_b32_dpp v17, v17 row_shr:1 row_mask:0xf bank_mask:0xf
	v_max_u16_e32 v17, v17, v14
	v_cndmask_b32_e64 v14, v17, v14, s[4:5]
	v_and_b32_e32 v17, 0xffff, v14
	v_cmp_lt_u32_e64 s[4:5], 1, v16
	s_nop 0
	v_mov_b32_dpp v17, v17 row_shr:2 row_mask:0xf bank_mask:0xf
	v_max_u16_e32 v17, v17, v14
	v_cndmask_b32_e64 v14, v14, v17, s[4:5]
	v_and_b32_e32 v17, 0xffff, v14
	v_cmp_lt_u32_e64 s[4:5], 3, v16
	s_nop 0
	;; [unrolled: 6-line block ×3, first 2 shown]
	v_mov_b32_dpp v17, v17 row_shr:8 row_mask:0xf bank_mask:0xf
	v_max_u16_e32 v17, v17, v14
	v_cndmask_b32_e64 v14, v14, v17, s[4:5]
	v_and_b32_e32 v16, 0xffff, v14
	v_and_b32_e32 v17, 16, v15
	v_cmp_eq_u32_e64 s[4:5], 0, v17
	v_mov_b32_dpp v16, v16 row_bcast:15 row_mask:0xf bank_mask:0xf
	v_max_u16_e32 v16, v16, v14
	v_cndmask_b32_e64 v14, v16, v14, s[4:5]
	v_and_b32_e32 v16, 0xffff, v14
	v_cmp_lt_u32_e64 s[4:5], 31, v15
	s_nop 0
	v_mov_b32_dpp v16, v16 row_bcast:31 row_mask:0xf bank_mask:0xf
	v_max_u16_e32 v16, v16, v14
	v_cndmask_b32_e64 v14, v14, v16, s[4:5]
	s_and_saveexec_b64 s[4:5], vcc
	s_cbranch_execz .LBB3586_59
; %bb.58:
	v_mov_b32_e32 v16, 0
	ds_write_b16 v16, v14
.LBB3586_59:
	s_or_b64 exec, exec, s[4:5]
	v_add_u32_e32 v16, -1, v15
	v_and_b32_e32 v17, 64, v15
	v_cmp_lt_i32_e32 vcc, v16, v17
	v_cndmask_b32_e32 v16, v16, v15, vcc
	v_and_b32_e32 v14, 0xffff, v14
	v_lshlrev_b32_e32 v16, 2, v16
	ds_bpermute_b32 v33, v16, v14
	v_cmp_gt_u32_e32 vcc, 64, v0
	s_waitcnt lgkmcnt(0)
	; wave barrier
	s_waitcnt lgkmcnt(0)
	s_and_saveexec_b64 s[26:27], vcc
	s_cbranch_execz .LBB3586_82
; %bb.60:
	v_mov_b32_e32 v19, 0
	ds_read_u16 v34, v19
	s_mov_b32 s9, 0
	v_cmp_eq_u32_e64 s[4:5], 0, v15
	s_and_saveexec_b64 s[6:7], s[4:5]
	s_cbranch_execz .LBB3586_62
; %bb.61:
	s_add_i32 s8, s30, 64
	s_lshl_b64 s[8:9], s[8:9], 2
	s_add_u32 s8, s24, s8
	s_waitcnt lgkmcnt(0)
	v_or_b32_e32 v14, 0x10000, v34
	s_addc_u32 s9, s25, s9
	global_store_dword v19, v14, s[8:9]
.LBB3586_62:
	s_or_b64 exec, exec, s[6:7]
	v_xad_u32 v14, v15, -1, s30
	v_add_u32_e32 v18, 64, v14
	v_lshlrev_b64 v[16:17], 2, v[18:19]
	v_mov_b32_e32 v18, s25
	v_add_co_u32_e32 v16, vcc, s24, v16
	v_addc_co_u32_e32 v17, vcc, v18, v17, vcc
	global_load_dword v18, v[16:17], off glc
	s_waitcnt vmcnt(0)
	v_lshrrev_b32_e32 v38, 16, v18
	v_cmp_eq_u16_sdwa s[8:9], v38, v19 src0_sel:BYTE_0 src1_sel:DWORD
	s_and_saveexec_b64 s[6:7], s[8:9]
	s_cbranch_execz .LBB3586_68
; %bb.63:
	s_mov_b32 s10, 1
	s_mov_b64 s[8:9], 0
	v_mov_b32_e32 v19, 0
.LBB3586_64:                            ; =>This Loop Header: Depth=1
                                        ;     Child Loop BB3586_65 Depth 2
	s_max_u32 s11, s10, 1
.LBB3586_65:                            ;   Parent Loop BB3586_64 Depth=1
                                        ; =>  This Inner Loop Header: Depth=2
	s_add_i32 s11, s11, -1
	s_cmp_eq_u32 s11, 0
	s_sleep 1
	s_cbranch_scc0 .LBB3586_65
; %bb.66:                               ;   in Loop: Header=BB3586_64 Depth=1
	global_load_dword v18, v[16:17], off glc
	s_cmp_lt_u32 s10, 32
	s_cselect_b64 s[12:13], -1, 0
	s_cmp_lg_u64 s[12:13], 0
	s_addc_u32 s10, s10, 0
	s_waitcnt vmcnt(0)
	v_lshrrev_b32_e32 v38, 16, v18
	v_cmp_ne_u16_sdwa s[12:13], v38, v19 src0_sel:BYTE_0 src1_sel:DWORD
	s_or_b64 s[8:9], s[12:13], s[8:9]
	s_andn2_b64 exec, exec, s[8:9]
	s_cbranch_execnz .LBB3586_64
; %bb.67:
	s_or_b64 exec, exec, s[8:9]
.LBB3586_68:
	s_or_b64 exec, exec, s[6:7]
	v_and_b32_e32 v36, 63, v15
	v_cmp_ne_u32_e32 vcc, 63, v36
	v_mov_b32_e32 v35, 2
	v_addc_co_u32_e32 v37, vcc, 0, v15, vcc
	v_cmp_eq_u16_sdwa s[6:7], v38, v35 src0_sel:BYTE_0 src1_sel:DWORD
	v_lshlrev_b64 v[16:17], v15, -1
	v_and_b32_e32 v40, 0xffff, v18
	v_lshlrev_b32_e32 v37, 2, v37
	v_and_b32_e32 v19, s7, v17
	ds_bpermute_b32 v41, v37, v40
	v_or_b32_e32 v19, 0x80000000, v19
	v_and_b32_e32 v39, s6, v16
	v_ffbl_b32_e32 v19, v19
	v_add_u32_e32 v19, 32, v19
	v_ffbl_b32_e32 v39, v39
	v_cmp_gt_u32_e64 s[6:7], 62, v36
	v_min_u32_e32 v19, v39, v19
	v_cndmask_b32_e64 v39, 0, 1, s[6:7]
	s_waitcnt lgkmcnt(0)
	v_max_u16_e32 v41, v41, v18
	v_cmp_lt_u32_e32 vcc, v36, v19
	v_lshlrev_b32_e32 v39, 1, v39
	v_cndmask_b32_e32 v42, v40, v41, vcc
	v_add_lshl_u32 v39, v39, v15, 2
	ds_bpermute_b32 v43, v39, v42
	v_cmp_gt_u32_e64 s[8:9], 60, v36
	v_cndmask_b32_e32 v44, v18, v41, vcc
	v_add_u32_e32 v40, 2, v36
	v_cndmask_b32_e64 v41, 0, 1, s[8:9]
	s_waitcnt lgkmcnt(0)
	v_max_u16_e32 v43, v43, v44
	v_cmp_gt_u32_e64 s[6:7], v40, v19
	v_lshlrev_b32_e32 v41, 2, v41
	v_cndmask_b32_e64 v45, v43, v42, s[6:7]
	v_add_lshl_u32 v41, v41, v15, 2
	ds_bpermute_b32 v46, v41, v45
	v_cmp_gt_u32_e64 s[8:9], 56, v36
	v_cndmask_b32_e64 v47, v43, v44, s[6:7]
	v_add_u32_e32 v42, 4, v36
	v_cndmask_b32_e64 v43, 0, 1, s[8:9]
	s_waitcnt lgkmcnt(0)
	v_max_u16_e32 v50, v46, v47
	v_cmp_gt_u32_e64 s[6:7], v42, v19
	v_lshlrev_b32_e32 v43, 3, v43
	v_cndmask_b32_e64 v45, v50, v45, s[6:7]
	v_add_lshl_u32 v43, v43, v15, 2
	ds_bpermute_b32 v46, v43, v45
	v_cndmask_b32_e64 v48, v50, v47, s[6:7]
	v_add_u32_e32 v44, 8, v36
	v_cmp_gt_u32_e64 s[8:9], v44, v19
	v_cmp_gt_u32_e64 s[10:11], 48, v36
	s_waitcnt lgkmcnt(0)
	v_max_u16_e32 v51, v46, v48
	v_cndmask_b32_e64 v49, v51, v45, s[8:9]
	v_cndmask_b32_e64 v45, 0, 1, s[10:11]
	v_lshlrev_b32_e32 v45, 4, v45
	v_add_lshl_u32 v45, v45, v15, 2
	ds_bpermute_b32 v52, v45, v49
	v_cmp_gt_u32_e64 s[12:13], 32, v36
	v_cndmask_b32_e64 v53, v51, v48, s[8:9]
	v_add_u32_e32 v46, 16, v36
	v_cndmask_b32_e64 v48, 0, 1, s[12:13]
	s_waitcnt lgkmcnt(0)
	v_max_u16_e32 v52, v52, v53
	v_cmp_gt_u32_e64 s[10:11], v46, v19
	v_lshlrev_b32_e32 v48, 5, v48
	v_cndmask_b32_e64 v49, v52, v49, s[10:11]
	v_add_lshl_u32 v48, v48, v15, 2
	ds_bpermute_b32 v15, v48, v49
	v_cndmask_b32_e32 v18, v18, v47, vcc
	v_cndmask_b32_e64 v18, v50, v18, s[6:7]
	v_add_u32_e32 v49, 32, v36
	v_cndmask_b32_e64 v53, v52, v53, s[10:11]
	v_cndmask_b32_e64 v18, v51, v18, s[8:9]
	s_waitcnt lgkmcnt(0)
	v_max_u16_e32 v15, v15, v53
	v_cndmask_b32_e64 v18, v52, v18, s[10:11]
	v_cmp_gt_u32_e32 vcc, v49, v19
	v_cndmask_b32_e32 v18, v15, v18, vcc
	v_mov_b32_e32 v15, 0
	s_branch .LBB3586_70
.LBB3586_69:                            ;   in Loop: Header=BB3586_70 Depth=1
	s_or_b64 exec, exec, s[6:7]
	v_cmp_eq_u16_sdwa s[6:7], v38, v35 src0_sel:BYTE_0 src1_sel:DWORD
	v_and_b32_e32 v51, 0xffff, v50
	v_and_b32_e32 v18, s7, v17
	ds_bpermute_b32 v52, v37, v51
	v_or_b32_e32 v18, 0x80000000, v18
	v_and_b32_e32 v19, s6, v16
	v_ffbl_b32_e32 v18, v18
	v_add_u32_e32 v18, 32, v18
	v_ffbl_b32_e32 v19, v19
	v_min_u32_e32 v18, v19, v18
	s_waitcnt lgkmcnt(0)
	v_max_u16_e32 v19, v52, v50
	v_cmp_lt_u32_e32 vcc, v36, v18
	v_cndmask_b32_e32 v51, v51, v19, vcc
	ds_bpermute_b32 v52, v39, v51
	v_cndmask_b32_e32 v19, v50, v19, vcc
	v_cmp_gt_u32_e64 s[6:7], v40, v18
	v_cmp_gt_u32_e64 s[8:9], v44, v18
	v_subrev_u32_e32 v14, 64, v14
	s_waitcnt lgkmcnt(0)
	v_max_u16_e32 v52, v52, v19
	v_cndmask_b32_e64 v51, v52, v51, s[6:7]
	ds_bpermute_b32 v53, v41, v51
	v_cndmask_b32_e64 v19, v52, v19, s[6:7]
	v_cmp_gt_u32_e64 s[6:7], v42, v18
	s_waitcnt lgkmcnt(0)
	v_max_u16_e32 v52, v53, v19
	v_cndmask_b32_e64 v51, v52, v51, s[6:7]
	ds_bpermute_b32 v53, v43, v51
	v_cndmask_b32_e64 v54, v52, v19, s[6:7]
	v_cndmask_b32_e32 v19, v50, v19, vcc
	v_cmp_gt_u32_e32 vcc, v46, v18
	v_cndmask_b32_e64 v19, v52, v19, s[6:7]
	s_waitcnt lgkmcnt(0)
	v_max_u16_e32 v53, v53, v54
	v_cndmask_b32_e64 v51, v53, v51, s[8:9]
	ds_bpermute_b32 v55, v45, v51
	v_cndmask_b32_e64 v50, v53, v54, s[8:9]
	v_cndmask_b32_e64 v19, v53, v19, s[8:9]
	s_waitcnt lgkmcnt(0)
	v_max_u16_e32 v54, v55, v50
	v_cndmask_b32_e32 v51, v54, v51, vcc
	ds_bpermute_b32 v51, v48, v51
	v_cndmask_b32_e32 v50, v54, v50, vcc
	v_cndmask_b32_e32 v19, v54, v19, vcc
	v_cmp_gt_u32_e32 vcc, v49, v18
	s_waitcnt lgkmcnt(0)
	v_max_u16_e32 v50, v51, v50
	v_cndmask_b32_e32 v18, v50, v19, vcc
	v_max_u16_e32 v18, v18, v47
.LBB3586_70:                            ; =>This Loop Header: Depth=1
                                        ;     Child Loop BB3586_73 Depth 2
                                        ;       Child Loop BB3586_74 Depth 3
	v_cmp_ne_u16_sdwa s[6:7], v38, v35 src0_sel:BYTE_0 src1_sel:DWORD
	v_cndmask_b32_e64 v19, 0, 1, s[6:7]
	;;#ASMSTART
	;;#ASMEND
	v_cmp_ne_u32_e32 vcc, 0, v19
	s_cmp_lg_u64 vcc, exec
	v_mov_b32_e32 v47, v18
	s_cbranch_scc1 .LBB3586_77
; %bb.71:                               ;   in Loop: Header=BB3586_70 Depth=1
	v_lshlrev_b64 v[18:19], 2, v[14:15]
	v_mov_b32_e32 v38, s25
	v_add_co_u32_e32 v18, vcc, s24, v18
	v_addc_co_u32_e32 v19, vcc, v38, v19, vcc
	global_load_dword v50, v[18:19], off glc
	s_waitcnt vmcnt(0)
	v_lshrrev_b32_e32 v38, 16, v50
	v_cmp_eq_u16_sdwa s[8:9], v38, v15 src0_sel:BYTE_0 src1_sel:DWORD
	s_and_saveexec_b64 s[6:7], s[8:9]
	s_cbranch_execz .LBB3586_69
; %bb.72:                               ;   in Loop: Header=BB3586_70 Depth=1
	s_mov_b32 s10, 1
	s_mov_b64 s[8:9], 0
.LBB3586_73:                            ;   Parent Loop BB3586_70 Depth=1
                                        ; =>  This Loop Header: Depth=2
                                        ;       Child Loop BB3586_74 Depth 3
	s_max_u32 s11, s10, 1
.LBB3586_74:                            ;   Parent Loop BB3586_70 Depth=1
                                        ;     Parent Loop BB3586_73 Depth=2
                                        ; =>    This Inner Loop Header: Depth=3
	s_add_i32 s11, s11, -1
	s_cmp_eq_u32 s11, 0
	s_sleep 1
	s_cbranch_scc0 .LBB3586_74
; %bb.75:                               ;   in Loop: Header=BB3586_73 Depth=2
	global_load_dword v50, v[18:19], off glc
	s_cmp_lt_u32 s10, 32
	s_cselect_b64 s[12:13], -1, 0
	s_cmp_lg_u64 s[12:13], 0
	s_addc_u32 s10, s10, 0
	s_waitcnt vmcnt(0)
	v_lshrrev_b32_e32 v38, 16, v50
	v_cmp_ne_u16_sdwa s[12:13], v38, v15 src0_sel:BYTE_0 src1_sel:DWORD
	s_or_b64 s[8:9], s[12:13], s[8:9]
	s_andn2_b64 exec, exec, s[8:9]
	s_cbranch_execnz .LBB3586_73
; %bb.76:                               ;   in Loop: Header=BB3586_70 Depth=1
	s_or_b64 exec, exec, s[8:9]
	s_branch .LBB3586_69
.LBB3586_77:                            ;   in Loop: Header=BB3586_70 Depth=1
                                        ; implicit-def: $vgpr18
                                        ; implicit-def: $vgpr38
	s_cbranch_execz .LBB3586_70
; %bb.78:
	s_and_saveexec_b64 s[6:7], s[4:5]
	s_cbranch_execz .LBB3586_80
; %bb.79:
	s_add_i32 s4, s30, 64
	s_mov_b32 s5, 0
	s_lshl_b64 s[4:5], s[4:5], 2
	v_max_u16_e32 v14, v47, v34
	s_add_u32 s4, s24, s4
	v_or_b32_e32 v14, 0x20000, v14
	s_addc_u32 s5, s25, s5
	v_mov_b32_e32 v15, 0
	global_store_dword v15, v14, s[4:5]
.LBB3586_80:
	s_or_b64 exec, exec, s[6:7]
	s_and_b64 exec, exec, s[2:3]
	s_cbranch_execz .LBB3586_82
; %bb.81:
	v_mov_b32_e32 v14, 0
	ds_write_b16 v14, v47
.LBB3586_82:
	s_or_b64 exec, exec, s[26:27]
	v_mov_b32_e32 v14, 0
	s_waitcnt lgkmcnt(0)
	; wave barrier
	s_waitcnt lgkmcnt(0)
	ds_read_u16 v14, v14
	v_max_u16_e32 v15, v33, v10
	v_cndmask_b32_e64 v15, v15, v10, s[2:3]
	s_waitcnt lgkmcnt(0)
	v_max_u16_e32 v14, v14, v15
	v_max_u16_sdwa v15, v14, v10 dst_sel:DWORD dst_unused:UNUSED_PAD src0_sel:DWORD src1_sel:WORD_1
	v_max_u16_e32 v16, v15, v11
	v_max_u16_e32 v17, v16, v31
	;; [unrolled: 1-line block ×22, first 2 shown]
	s_branch .LBB3586_93
.LBB3586_83:
                                        ; implicit-def: $vgpr14
                                        ; implicit-def: $vgpr15
                                        ; implicit-def: $vgpr16
                                        ; implicit-def: $vgpr17
                                        ; implicit-def: $vgpr18
                                        ; implicit-def: $vgpr19
                                        ; implicit-def: $vgpr34
                                        ; implicit-def: $vgpr36
                                        ; implicit-def: $vgpr33
                                        ; implicit-def: $vgpr35
                                        ; implicit-def: $vgpr37
                                        ; implicit-def: $vgpr38
                                        ; implicit-def: $vgpr39
                                        ; implicit-def: $vgpr40
                                        ; implicit-def: $vgpr42
                                        ; implicit-def: $vgpr44
                                        ; implicit-def: $vgpr41
                                        ; implicit-def: $vgpr43
                                        ; implicit-def: $vgpr45
                                        ; implicit-def: $vgpr46
                                        ; implicit-def: $vgpr47
                                        ; implicit-def: $vgpr48
                                        ; implicit-def: $vgpr49
                                        ; implicit-def: $vgpr50
	s_cbranch_execz .LBB3586_93
; %bb.84:
	s_cmp_lg_u64 s[20:21], 0
	s_cselect_b64 s[4:5], -1, 0
	s_and_b64 s[4:5], s[2:3], s[4:5]
	v_mov_b32_e32 v14, v10
	s_and_saveexec_b64 s[2:3], s[4:5]
	s_cbranch_execz .LBB3586_86
; %bb.85:
	v_mov_b32_e32 v14, 0
	global_load_ushort v14, v14, s[16:17]
	s_waitcnt vmcnt(0)
	v_max_u16_e32 v14, v14, v10
.LBB3586_86:
	s_or_b64 exec, exec, s[2:3]
	v_max_u16_sdwa v15, v14, v10 dst_sel:DWORD dst_unused:UNUSED_PAD src0_sel:DWORD src1_sel:WORD_1
	v_max_u16_e32 v16, v15, v11
	v_max_u16_e32 v17, v16, v31
	v_max_u16_e32 v18, v17, v12
	v_max_u16_e32 v19, v18, v30
	v_max_u16_e32 v34, v19, v13
	v_max_u16_e32 v36, v34, v29
	v_max_u16_e32 v33, v36, v6
	v_max_u16_e32 v35, v33, v28
	v_max_u16_e32 v37, v35, v7
	v_max_u16_e32 v38, v37, v27
	v_max_u16_e32 v39, v38, v8
	v_max_u16_e32 v40, v39, v26
	v_max_u16_e32 v42, v40, v9
	v_max_u16_e32 v44, v42, v25
	v_max_u16_e32 v41, v44, v2
	v_max_u16_e32 v43, v41, v24
	v_max_u16_e32 v45, v43, v3
	v_max_u16_e32 v46, v45, v23
	v_max_u16_e32 v47, v46, v4
	v_max_u16_e32 v48, v47, v22
	v_max_u16_e32 v49, v48, v5
	v_max_u16_e32 v50, v49, v1
	v_mbcnt_hi_u32_b32 v32, -1, v32
	v_and_b32_e32 v51, 15, v32
	v_mov_b32_dpp v52, v50 row_shr:1 row_mask:0xf bank_mask:0xf
	v_max_u16_e32 v52, v52, v50
	v_cmp_eq_u32_e32 vcc, 0, v51
	v_cndmask_b32_e32 v52, v52, v50, vcc
	v_and_b32_e32 v53, 0xffff, v52
	v_cmp_lt_u32_e32 vcc, 1, v51
	s_nop 0
	v_mov_b32_dpp v53, v53 row_shr:2 row_mask:0xf bank_mask:0xf
	v_max_u16_e32 v53, v53, v52
	v_cndmask_b32_e32 v52, v52, v53, vcc
	v_and_b32_e32 v53, 0xffff, v52
	v_cmp_lt_u32_e32 vcc, 3, v51
	s_nop 0
	v_mov_b32_dpp v53, v53 row_shr:4 row_mask:0xf bank_mask:0xf
	v_max_u16_e32 v53, v53, v52
	v_cndmask_b32_e32 v52, v52, v53, vcc
	v_and_b32_e32 v53, 0xffff, v52
	v_cmp_lt_u32_e32 vcc, 7, v51
	s_nop 0
	v_mov_b32_dpp v53, v53 row_shr:8 row_mask:0xf bank_mask:0xf
	v_max_u16_e32 v53, v53, v52
	v_cndmask_b32_e32 v51, v52, v53, vcc
	v_and_b32_e32 v52, 0xffff, v51
	v_and_b32_e32 v53, 16, v32
	v_cmp_eq_u32_e32 vcc, 0, v53
	v_mov_b32_dpp v52, v52 row_bcast:15 row_mask:0xf bank_mask:0xf
	v_max_u16_e32 v52, v52, v51
	v_cndmask_b32_e32 v51, v52, v51, vcc
	v_and_b32_e32 v52, 0xffff, v51
	v_cmp_lt_u32_e32 vcc, 31, v32
	s_nop 0
	v_mov_b32_dpp v52, v52 row_bcast:31 row_mask:0xf bank_mask:0xf
	v_max_u16_e32 v52, v52, v51
	v_cndmask_b32_e32 v51, v51, v52, vcc
	v_cmp_eq_u32_e32 vcc, 63, v0
	s_and_saveexec_b64 s[2:3], vcc
	s_cbranch_execz .LBB3586_88
; %bb.87:
	v_mov_b32_e32 v52, 0
	ds_write_b16 v52, v51
.LBB3586_88:
	s_or_b64 exec, exec, s[2:3]
	v_add_u32_e32 v52, -1, v32
	v_and_b32_e32 v53, 64, v32
	v_cmp_lt_i32_e64 s[2:3], v52, v53
	v_cndmask_b32_e64 v32, v52, v32, s[2:3]
	v_and_b32_e32 v51, 0xffff, v51
	v_lshlrev_b32_e32 v32, 2, v32
	ds_bpermute_b32 v32, v32, v51
	s_waitcnt lgkmcnt(0)
	; wave barrier
	s_waitcnt lgkmcnt(0)
	s_and_saveexec_b64 s[2:3], s[0:1]
	s_cbranch_execz .LBB3586_90
; %bb.89:
	v_max_u16_e32 v14, v32, v14
	v_max_u16_sdwa v15, v14, v10 dst_sel:DWORD dst_unused:UNUSED_PAD src0_sel:DWORD src1_sel:WORD_1
	v_max_u16_e32 v16, v15, v11
	v_max_u16_e32 v17, v16, v31
	v_max_u16_e32 v18, v17, v12
	v_max_u16_e32 v19, v18, v30
	v_max_u16_e32 v34, v19, v13
	v_max_u16_e32 v36, v34, v29
	v_max_u16_e32 v33, v36, v6
	v_max_u16_e32 v35, v33, v28
	v_max_u16_e32 v37, v35, v7
	v_max_u16_e32 v38, v37, v27
	v_max_u16_e32 v39, v38, v8
	v_max_u16_e32 v40, v39, v26
	v_max_u16_e32 v42, v40, v9
	v_max_u16_e32 v44, v42, v25
	v_max_u16_e32 v41, v44, v2
	v_max_u16_e32 v43, v41, v24
	v_max_u16_e32 v45, v43, v3
	v_max_u16_e32 v46, v45, v23
	v_max_u16_e32 v47, v46, v4
	v_max_u16_e32 v48, v47, v22
	v_max_u16_e32 v49, v48, v5
	v_max_u16_e32 v50, v49, v1
	;;#ASMSTART
	;;#ASMEND
.LBB3586_90:
	s_or_b64 exec, exec, s[2:3]
	s_and_saveexec_b64 s[0:1], vcc
	s_cbranch_execz .LBB3586_92
; %bb.91:
	s_mov_b32 s2, 0x20000
	v_mov_b32_e32 v1, 0
	v_or_b32_sdwa v2, v50, s2 dst_sel:DWORD dst_unused:UNUSED_PAD src0_sel:WORD_0 src1_sel:DWORD
	global_store_dword v1, v2, s[24:25] offset:256
.LBB3586_92:
	s_or_b64 exec, exec, s[0:1]
.LBB3586_93:
	s_mov_b32 s0, 0x5040100
	v_perm_b32 v5, v36, v34, s0
	v_perm_b32 v4, v19, v18, s0
	;; [unrolled: 1-line block ×4, first 2 shown]
	s_waitcnt lgkmcnt(0)
	; wave barrier
	ds_write_b128 v21, v[2:5]
	v_perm_b32 v5, v44, v42, s0
	v_perm_b32 v4, v40, v39, s0
	v_perm_b32 v3, v38, v37, s0
	v_perm_b32 v2, v35, v33, s0
	ds_write_b128 v21, v[2:5] offset:16
	v_perm_b32 v5, v50, v49, s0
	v_perm_b32 v4, v48, v47, s0
	;; [unrolled: 1-line block ×4, first 2 shown]
	s_mov_b64 s[0:1], -1
	s_and_b64 vcc, exec, s[14:15]
	ds_write_b128 v21, v[2:5] offset:32
	s_waitcnt lgkmcnt(0)
	s_cbranch_vccz .LBB3586_95
; %bb.94:
	; wave barrier
	s_mov_b64 s[0:1], 0
.LBB3586_95:
	s_andn2_b64 vcc, exec, s[0:1]
	s_cbranch_vccnz .LBB3586_104
; %bb.96:
	v_cmp_lt_u64_e64 s[0:1], s[22:23], 2
	s_and_b64 vcc, exec, s[0:1]
	; wave barrier
	s_cbranch_vccnz .LBB3586_104
; %bb.97:
	s_add_u32 s0, s28, -1
	s_addc_u32 s1, s29, -1
	s_add_u32 s2, 0, 0xaaaa0000
	s_addc_u32 s3, 0, 42
	s_add_i32 s3, s3, 0xaaaaa80
	s_mul_hi_u32 s7, s2, 0xffffffe8
	s_sub_i32 s7, s7, s2
	s_mul_i32 s8, s3, 0xffffffe8
	s_mul_i32 s4, s2, 0xffffffe8
	s_add_i32 s7, s7, s8
	s_mul_hi_u32 s5, s3, s4
	s_mul_i32 s6, s3, s4
	s_mul_i32 s9, s2, s7
	s_mul_hi_u32 s4, s2, s4
	s_mul_hi_u32 s8, s2, s7
	s_add_u32 s4, s4, s9
	s_addc_u32 s8, 0, s8
	s_add_u32 s4, s4, s6
	s_mul_hi_u32 s9, s3, s7
	s_addc_u32 s4, s8, s5
	s_addc_u32 s5, s9, 0
	s_mul_i32 s6, s3, s7
	s_add_u32 s4, s4, s6
	v_mov_b32_e32 v2, s4
	s_addc_u32 s5, 0, s5
	v_add_co_u32_e32 v2, vcc, s2, v2
	s_cmp_lg_u64 vcc, 0
	s_addc_u32 s2, s3, s5
	v_readfirstlane_b32 s5, v2
	s_mul_i32 s4, s0, s2
	s_mul_hi_u32 s6, s0, s5
	s_mul_hi_u32 s3, s0, s2
	s_add_u32 s4, s6, s4
	s_addc_u32 s3, 0, s3
	s_mul_hi_u32 s7, s1, s5
	s_mul_i32 s5, s1, s5
	s_add_u32 s4, s4, s5
	s_mul_hi_u32 s6, s1, s2
	s_addc_u32 s3, s3, s7
	s_addc_u32 s4, s6, 0
	s_mul_i32 s2, s1, s2
	s_add_u32 s2, s3, s2
	s_addc_u32 s3, 0, s4
	s_add_u32 s4, s2, 1
	s_addc_u32 s5, s3, 0
	s_add_u32 s6, s2, 2
	s_mul_i32 s8, s3, 24
	s_mul_hi_u32 s9, s2, 24
	s_addc_u32 s7, s3, 0
	s_add_i32 s9, s9, s8
	s_mul_i32 s8, s2, 24
	v_mov_b32_e32 v2, s8
	v_sub_co_u32_e32 v2, vcc, s0, v2
	s_cmp_lg_u64 vcc, 0
	s_subb_u32 s8, s1, s9
	v_subrev_co_u32_e32 v3, vcc, 24, v2
	s_cmp_lg_u64 vcc, 0
	s_subb_u32 s9, s8, 0
	v_readfirstlane_b32 s10, v3
	s_cmp_gt_u32 s10, 23
	s_cselect_b32 s10, -1, 0
	s_cmp_eq_u32 s9, 0
	s_cselect_b32 s9, s10, -1
	s_cmp_lg_u32 s9, 0
	s_cselect_b32 s4, s6, s4
	v_readfirstlane_b32 s6, v2
	s_cselect_b32 s5, s7, s5
	s_cmp_gt_u32 s6, 23
	s_cselect_b32 s6, -1, 0
	s_cmp_eq_u32 s8, 0
	s_cselect_b32 s6, s6, -1
	s_cmp_lg_u32 s6, 0
	v_mov_b32_e32 v1, 0
	s_cselect_b32 s3, s5, s3
	s_cselect_b32 s2, s4, s2
	v_cmp_eq_u64_e32 vcc, s[2:3], v[0:1]
	s_and_saveexec_b64 s[2:3], vcc
	s_cbranch_execz .LBB3586_104
; %bb.98:
	s_movk_i32 s2, 0xffd2
	v_mad_i32_i24 v2, v0, s2, v21
	v_mul_hi_u32_u24_e32 v1, 24, v0
	v_mov_b32_e32 v3, s1
	v_sub_co_u32_e32 v0, vcc, s0, v20
	v_subb_co_u32_e32 v1, vcc, v3, v1, vcc
	v_cmp_lt_i64_e32 vcc, 11, v[0:1]
	s_mov_b64 s[0:1], 0
	s_mov_b64 s[8:9], 0
	;; [unrolled: 1-line block ×4, first 2 shown]
                                        ; implicit-def: $vgpr3
                                        ; implicit-def: $vgpr4
                                        ; implicit-def: $vgpr5
	s_and_saveexec_b64 s[2:3], vcc
	s_xor_b64 s[2:3], exec, s[2:3]
	s_cbranch_execnz .LBB3586_105
; %bb.99:
	s_andn2_saveexec_b64 s[2:3], s[2:3]
	s_cbranch_execnz .LBB3586_150
.LBB3586_100:
	s_or_b64 exec, exec, s[2:3]
	s_and_saveexec_b64 s[2:3], s[8:9]
	s_cbranch_execnz .LBB3586_167
.LBB3586_101:
	s_or_b64 exec, exec, s[2:3]
	s_and_saveexec_b64 s[2:3], s[6:7]
	s_cbranch_execnz .LBB3586_168
.LBB3586_102:
	s_or_b64 exec, exec, s[2:3]
	s_and_saveexec_b64 s[2:3], s[4:5]
	s_xor_b64 s[2:3], exec, s[2:3]
	s_cbranch_execnz .LBB3586_169
.LBB3586_103:
	s_or_b64 exec, exec, s[2:3]
	s_and_b64 exec, exec, s[0:1]
	s_cbranch_execnz .LBB3586_170
.LBB3586_104:
	s_endpgm
.LBB3586_105:
	v_cmp_lt_i64_e32 vcc, 17, v[0:1]
                                        ; implicit-def: $vgpr3
                                        ; implicit-def: $vgpr4
                                        ; implicit-def: $vgpr5
	s_and_saveexec_b64 s[10:11], vcc
	s_xor_b64 s[10:11], exec, s[10:11]
	s_cbranch_execz .LBB3586_127
; %bb.106:
	v_cmp_lt_i64_e32 vcc, 20, v[0:1]
                                        ; implicit-def: $vgpr3
                                        ; implicit-def: $vgpr4
	s_and_saveexec_b64 s[12:13], vcc
	s_xor_b64 s[12:13], exec, s[12:13]
	s_cbranch_execz .LBB3586_116
; %bb.107:
	v_cmp_lt_i64_e32 vcc, 21, v[0:1]
	s_mov_b64 s[14:15], 0
                                        ; implicit-def: $vgpr3
	s_and_saveexec_b64 s[4:5], vcc
	s_xor_b64 s[4:5], exec, s[4:5]
	s_cbranch_execz .LBB3586_113
; %bb.108:
	v_cmp_lt_i64_e32 vcc, 22, v[0:1]
	s_and_saveexec_b64 s[14:15], vcc
	s_xor_b64 s[14:15], exec, s[14:15]
	s_cbranch_execz .LBB3586_110
; %bb.109:
	ds_read_u16 v3, v2 offset:2944
	v_mov_b32_e32 v4, 0
	s_waitcnt lgkmcnt(0)
	global_store_short v4, v3, s[18:19]
.LBB3586_110:
	s_or_saveexec_b64 s[14:15], s[14:15]
	s_mov_b64 s[16:17], 0
                                        ; implicit-def: $vgpr3
	s_xor_b64 exec, exec, s[14:15]
	s_cbranch_execz .LBB3586_112
; %bb.111:
	ds_read_u16 v3, v2 offset:2816
	s_mov_b64 s[16:17], exec
.LBB3586_112:
	s_or_b64 exec, exec, s[14:15]
	s_and_b64 s[14:15], s[16:17], exec
.LBB3586_113:
	s_or_saveexec_b64 s[4:5], s[4:5]
                                        ; implicit-def: $vgpr4
	s_xor_b64 exec, exec, s[4:5]
	s_cbranch_execz .LBB3586_115
; %bb.114:
	ds_read_u16 v4, v2 offset:2688
	s_mov_b64 s[6:7], exec
                                        ; implicit-def: $vgpr3
.LBB3586_115:
	s_or_b64 exec, exec, s[4:5]
	s_and_b64 s[4:5], s[14:15], exec
	s_and_b64 s[6:7], s[6:7], exec
.LBB3586_116:
	s_or_saveexec_b64 s[12:13], s[12:13]
                                        ; implicit-def: $vgpr5
	s_xor_b64 exec, exec, s[12:13]
	s_cbranch_execz .LBB3586_126
; %bb.117:
	v_cmp_lt_i64_e32 vcc, 18, v[0:1]
	s_mov_b64 s[14:15], 0
                                        ; implicit-def: $vgpr5
	s_and_saveexec_b64 s[8:9], vcc
	s_xor_b64 s[8:9], exec, s[8:9]
	s_cbranch_execz .LBB3586_123
; %bb.118:
	v_cmp_lt_i64_e32 vcc, 19, v[0:1]
                                        ; implicit-def: $vgpr5
	s_and_saveexec_b64 s[16:17], vcc
	s_xor_b64 s[16:17], exec, s[16:17]
	s_cbranch_execz .LBB3586_120
; %bb.119:
	ds_read_u16 v5, v2 offset:2560
	s_mov_b64 s[14:15], exec
.LBB3586_120:
	s_andn2_saveexec_b64 s[16:17], s[16:17]
	s_cbranch_execz .LBB3586_122
; %bb.121:
	s_waitcnt lgkmcnt(0)
	ds_read_u16 v3, v2 offset:2432
	v_mov_b32_e32 v4, 0
                                        ; implicit-def: $vgpr5
	s_waitcnt lgkmcnt(0)
	global_store_short v4, v3, s[18:19]
.LBB3586_122:
	s_or_b64 exec, exec, s[16:17]
	s_and_b64 s[14:15], s[14:15], exec
.LBB3586_123:
	s_andn2_saveexec_b64 s[8:9], s[8:9]
	s_cbranch_execz .LBB3586_125
; %bb.124:
	s_waitcnt lgkmcnt(0)
	ds_read_u16 v3, v2 offset:2304
	v_mov_b32_e32 v4, 0
                                        ; implicit-def: $vgpr5
	s_waitcnt lgkmcnt(0)
	global_store_short v4, v3, s[18:19]
.LBB3586_125:
	s_or_b64 exec, exec, s[8:9]
	s_and_b64 s[8:9], s[14:15], exec
                                        ; implicit-def: $vgpr3
                                        ; implicit-def: $vgpr4
.LBB3586_126:
	s_or_b64 exec, exec, s[12:13]
	s_and_b64 s[4:5], s[4:5], exec
	s_and_b64 s[6:7], s[6:7], exec
	;; [unrolled: 1-line block ×3, first 2 shown]
.LBB3586_127:
	s_andn2_saveexec_b64 s[10:11], s[10:11]
	s_cbranch_execz .LBB3586_149
; %bb.128:
	v_cmp_lt_i64_e32 vcc, 14, v[0:1]
	s_mov_b64 s[12:13], s[4:5]
                                        ; implicit-def: $vgpr3
	s_and_saveexec_b64 s[14:15], vcc
	s_xor_b64 s[14:15], exec, s[14:15]
	s_cbranch_execz .LBB3586_138
; %bb.129:
	v_cmp_lt_i64_e32 vcc, 15, v[0:1]
	s_and_saveexec_b64 s[12:13], vcc
	s_xor_b64 s[12:13], exec, s[12:13]
	s_cbranch_execz .LBB3586_135
; %bb.130:
	v_cmp_lt_i64_e32 vcc, 16, v[0:1]
	s_and_saveexec_b64 s[16:17], vcc
	s_xor_b64 s[16:17], exec, s[16:17]
	s_cbranch_execz .LBB3586_132
; %bb.131:
	s_waitcnt lgkmcnt(0)
	ds_read_u16 v3, v2 offset:2176
	v_mov_b32_e32 v4, 0
	s_waitcnt lgkmcnt(0)
	global_store_short v4, v3, s[18:19]
.LBB3586_132:
	s_andn2_saveexec_b64 s[16:17], s[16:17]
	s_cbranch_execz .LBB3586_134
; %bb.133:
	s_waitcnt lgkmcnt(0)
	ds_read_u16 v3, v2 offset:2048
	v_mov_b32_e32 v4, 0
	s_waitcnt lgkmcnt(0)
	global_store_short v4, v3, s[18:19]
.LBB3586_134:
	s_or_b64 exec, exec, s[16:17]
.LBB3586_135:
	s_or_saveexec_b64 s[12:13], s[12:13]
	s_mov_b64 s[16:17], s[4:5]
                                        ; implicit-def: $vgpr3
	s_xor_b64 exec, exec, s[12:13]
	s_cbranch_execz .LBB3586_137
; %bb.136:
	s_waitcnt lgkmcnt(0)
	ds_read_u16 v3, v2 offset:1920
	s_or_b64 s[16:17], s[4:5], exec
.LBB3586_137:
	s_or_b64 exec, exec, s[12:13]
	s_andn2_b64 s[12:13], s[4:5], exec
	s_and_b64 s[16:17], s[16:17], exec
	s_or_b64 s[12:13], s[12:13], s[16:17]
.LBB3586_138:
	s_or_saveexec_b64 s[14:15], s[14:15]
	s_mov_b64 s[16:17], s[6:7]
                                        ; implicit-def: $vgpr4
	s_xor_b64 exec, exec, s[14:15]
	s_cbranch_execz .LBB3586_148
; %bb.139:
	v_cmp_lt_i64_e32 vcc, 12, v[0:1]
	s_mov_b64 s[20:21], s[6:7]
	s_mov_b64 s[22:23], s[12:13]
                                        ; implicit-def: $vgpr3
                                        ; implicit-def: $vgpr4
	s_and_saveexec_b64 s[16:17], vcc
	s_xor_b64 s[16:17], exec, s[16:17]
	s_cbranch_execz .LBB3586_145
; %bb.140:
	v_cmp_lt_i64_e32 vcc, 13, v[0:1]
	s_mov_b64 s[20:21], s[12:13]
                                        ; implicit-def: $vgpr3
	s_and_saveexec_b64 s[22:23], vcc
	s_xor_b64 s[22:23], exec, s[22:23]
	s_cbranch_execz .LBB3586_142
; %bb.141:
	s_waitcnt lgkmcnt(0)
	ds_read_u16 v3, v2 offset:1792
	s_or_b64 s[20:21], s[12:13], exec
.LBB3586_142:
	s_or_saveexec_b64 s[22:23], s[22:23]
	s_mov_b64 s[24:25], s[6:7]
                                        ; implicit-def: $vgpr4
	s_xor_b64 exec, exec, s[22:23]
	s_cbranch_execz .LBB3586_144
; %bb.143:
	s_waitcnt lgkmcnt(0)
	ds_read_u16 v4, v2 offset:1664
	s_or_b64 s[24:25], s[6:7], exec
                                        ; implicit-def: $vgpr3
.LBB3586_144:
	s_or_b64 exec, exec, s[22:23]
	s_andn2_b64 s[22:23], s[12:13], exec
	s_and_b64 s[20:21], s[20:21], exec
	s_or_b64 s[22:23], s[22:23], s[20:21]
	s_andn2_b64 s[20:21], s[6:7], exec
	s_and_b64 s[24:25], s[24:25], exec
	s_or_b64 s[20:21], s[20:21], s[24:25]
.LBB3586_145:
	s_andn2_saveexec_b64 s[16:17], s[16:17]
	s_cbranch_execz .LBB3586_147
; %bb.146:
	s_waitcnt lgkmcnt(0)
	ds_read_u16 v4, v2 offset:1536
	s_or_b64 s[20:21], s[20:21], exec
                                        ; implicit-def: $vgpr3
.LBB3586_147:
	s_or_b64 exec, exec, s[16:17]
	s_andn2_b64 s[12:13], s[12:13], exec
	s_and_b64 s[16:17], s[22:23], exec
	s_or_b64 s[12:13], s[12:13], s[16:17]
	s_andn2_b64 s[16:17], s[6:7], exec
	s_and_b64 s[20:21], s[20:21], exec
	s_or_b64 s[16:17], s[16:17], s[20:21]
.LBB3586_148:
	s_or_b64 exec, exec, s[14:15]
	s_andn2_b64 s[4:5], s[4:5], exec
	s_and_b64 s[12:13], s[12:13], exec
	s_or_b64 s[4:5], s[4:5], s[12:13]
	s_andn2_b64 s[6:7], s[6:7], exec
	s_and_b64 s[12:13], s[16:17], exec
	s_or_b64 s[6:7], s[6:7], s[12:13]
                                        ; implicit-def: $vgpr5
.LBB3586_149:
	s_or_b64 exec, exec, s[10:11]
	s_and_b64 s[4:5], s[4:5], exec
	s_and_b64 s[6:7], s[6:7], exec
	;; [unrolled: 1-line block ×3, first 2 shown]
	s_andn2_saveexec_b64 s[2:3], s[2:3]
	s_cbranch_execz .LBB3586_100
.LBB3586_150:
	v_cmp_lt_i64_e32 vcc, 5, v[0:1]
	s_mov_b64 s[12:13], -1
	s_mov_b64 s[10:11], s[8:9]
	s_mov_b64 s[14:15], s[6:7]
	s_mov_b64 s[16:17], s[4:5]
                                        ; implicit-def: $vgpr3
                                        ; implicit-def: $vgpr4
                                        ; implicit-def: $vgpr5
	s_and_saveexec_b64 s[0:1], vcc
	s_cbranch_execz .LBB3586_166
; %bb.151:
	v_cmp_lt_i64_e32 vcc, 8, v[0:1]
	s_mov_b64 s[10:11], s[8:9]
                                        ; implicit-def: $vgpr5
	s_and_saveexec_b64 s[12:13], vcc
	s_xor_b64 s[12:13], exec, s[12:13]
	s_cbranch_execz .LBB3586_161
; %bb.152:
	v_cmp_lt_i64_e32 vcc, 9, v[0:1]
                                        ; implicit-def: $vgpr5
	s_and_saveexec_b64 s[10:11], vcc
	s_xor_b64 s[10:11], exec, s[10:11]
	s_cbranch_execz .LBB3586_158
; %bb.153:
	v_cmp_lt_i64_e32 vcc, 10, v[0:1]
                                        ; implicit-def: $vgpr5
	s_and_saveexec_b64 s[14:15], vcc
	s_xor_b64 s[14:15], exec, s[14:15]
	s_cbranch_execz .LBB3586_155
; %bb.154:
	s_waitcnt lgkmcnt(0)
	ds_read_u16 v5, v2 offset:1408
.LBB3586_155:
	s_andn2_saveexec_b64 s[14:15], s[14:15]
	s_cbranch_execz .LBB3586_157
; %bb.156:
	s_waitcnt lgkmcnt(0)
	ds_read_u16 v5, v2 offset:1280
.LBB3586_157:
	s_or_b64 exec, exec, s[14:15]
.LBB3586_158:
	s_andn2_saveexec_b64 s[10:11], s[10:11]
	s_cbranch_execz .LBB3586_160
; %bb.159:
	s_waitcnt lgkmcnt(0)
	ds_read_u16 v5, v2 offset:1152
.LBB3586_160:
	s_or_b64 exec, exec, s[10:11]
	s_or_b64 s[10:11], s[8:9], exec
.LBB3586_161:
	s_or_saveexec_b64 s[12:13], s[12:13]
	s_mov_b64 s[14:15], s[6:7]
	s_mov_b64 s[20:21], s[4:5]
                                        ; implicit-def: $vgpr3
                                        ; implicit-def: $vgpr4
	s_xor_b64 exec, exec, s[12:13]
	s_cbranch_execz .LBB3586_165
; %bb.162:
	s_waitcnt lgkmcnt(0)
	ds_read_u16 v3, v2 offset:768
	v_cmp_lt_i64_e32 vcc, 6, v[0:1]
	s_mov_b64 s[20:21], -1
	s_mov_b64 s[16:17], s[10:11]
	s_mov_b64 s[14:15], s[6:7]
                                        ; implicit-def: $vgpr4
                                        ; implicit-def: $vgpr5
	s_and_saveexec_b64 s[22:23], vcc
	s_cbranch_execz .LBB3586_164
; %bb.163:
	ds_read_u16 v4, v2 offset:896
	ds_read_u16 v5, v2 offset:1024
	v_cmp_lt_i64_e32 vcc, 7, v[0:1]
	s_andn2_b64 s[16:17], s[10:11], exec
	s_and_b64 s[24:25], vcc, exec
	s_xor_b64 s[20:21], exec, -1
	s_or_b64 s[14:15], s[6:7], exec
	s_or_b64 s[16:17], s[16:17], s[24:25]
                                        ; implicit-def: $vgpr3
.LBB3586_164:
	s_or_b64 exec, exec, s[22:23]
	s_andn2_b64 s[22:23], s[4:5], exec
	s_and_b64 s[20:21], s[20:21], exec
	s_or_b64 s[20:21], s[22:23], s[20:21]
	s_andn2_b64 s[22:23], s[6:7], exec
	s_and_b64 s[14:15], s[14:15], exec
	s_andn2_b64 s[10:11], s[10:11], exec
	s_and_b64 s[16:17], s[16:17], exec
	s_or_b64 s[14:15], s[22:23], s[14:15]
	s_or_b64 s[10:11], s[10:11], s[16:17]
.LBB3586_165:
	s_or_b64 exec, exec, s[12:13]
	s_andn2_b64 s[16:17], s[4:5], exec
	s_and_b64 s[20:21], s[20:21], exec
	s_or_b64 s[16:17], s[16:17], s[20:21]
	s_andn2_b64 s[20:21], s[6:7], exec
	s_and_b64 s[14:15], s[14:15], exec
	s_or_b64 s[14:15], s[20:21], s[14:15]
	s_andn2_b64 s[20:21], s[8:9], exec
	s_and_b64 s[10:11], s[10:11], exec
	s_xor_b64 s[12:13], exec, -1
	s_or_b64 s[10:11], s[20:21], s[10:11]
.LBB3586_166:
	s_or_b64 exec, exec, s[0:1]
	s_and_b64 s[0:1], s[12:13], exec
	s_andn2_b64 s[4:5], s[4:5], exec
	s_and_b64 s[12:13], s[16:17], exec
	s_or_b64 s[4:5], s[4:5], s[12:13]
	s_andn2_b64 s[6:7], s[6:7], exec
	s_and_b64 s[12:13], s[14:15], exec
	s_andn2_b64 s[8:9], s[8:9], exec
	s_and_b64 s[10:11], s[10:11], exec
	s_or_b64 s[6:7], s[6:7], s[12:13]
	s_or_b64 s[8:9], s[8:9], s[10:11]
	s_or_b64 exec, exec, s[2:3]
	s_and_saveexec_b64 s[2:3], s[8:9]
	s_cbranch_execz .LBB3586_101
.LBB3586_167:
	s_waitcnt lgkmcnt(0)
	v_mov_b32_e32 v3, 0
	s_andn2_b64 s[6:7], s[6:7], exec
	global_store_short v3, v5, s[18:19]
                                        ; implicit-def: $vgpr3
                                        ; implicit-def: $vgpr4
	s_or_b64 exec, exec, s[2:3]
	s_and_saveexec_b64 s[2:3], s[6:7]
	s_cbranch_execz .LBB3586_102
.LBB3586_168:
	s_waitcnt lgkmcnt(0)
	v_mov_b32_e32 v3, 0
	global_store_short v3, v4, s[18:19]
                                        ; implicit-def: $vgpr3
	s_or_b64 exec, exec, s[2:3]
	s_and_saveexec_b64 s[2:3], s[4:5]
	s_xor_b64 s[2:3], exec, s[2:3]
	s_cbranch_execz .LBB3586_103
.LBB3586_169:
	s_waitcnt lgkmcnt(0)
	v_mov_b32_e32 v4, 0
	global_store_short v4, v3, s[18:19]
	s_or_b64 exec, exec, s[2:3]
	s_and_b64 exec, exec, s[0:1]
	s_cbranch_execz .LBB3586_104
.LBB3586_170:
	v_cmp_lt_i64_e32 vcc, 2, v[0:1]
	s_and_saveexec_b64 s[0:1], vcc
	s_xor_b64 s[0:1], exec, s[0:1]
	s_cbranch_execz .LBB3586_180
; %bb.171:
	v_cmp_lt_i64_e32 vcc, 3, v[0:1]
	s_and_saveexec_b64 s[2:3], vcc
	s_xor_b64 s[2:3], exec, s[2:3]
	s_cbranch_execz .LBB3586_177
; %bb.172:
	;; [unrolled: 5-line block ×3, first 2 shown]
	ds_read_u16 v0, v2 offset:640
	v_mov_b32_e32 v1, 0
                                        ; implicit-def: $vgpr2
	s_waitcnt lgkmcnt(0)
	global_store_short v1, v0, s[18:19]
.LBB3586_174:
	s_andn2_saveexec_b64 s[4:5], s[4:5]
	s_cbranch_execz .LBB3586_176
; %bb.175:
	ds_read_u16 v0, v2 offset:512
	v_mov_b32_e32 v1, 0
	s_waitcnt lgkmcnt(0)
	global_store_short v1, v0, s[18:19]
.LBB3586_176:
	s_or_b64 exec, exec, s[4:5]
                                        ; implicit-def: $vgpr2
.LBB3586_177:
	s_andn2_saveexec_b64 s[2:3], s[2:3]
	s_cbranch_execz .LBB3586_179
; %bb.178:
	ds_read_u16 v0, v2 offset:384
	v_mov_b32_e32 v1, 0
	s_waitcnt lgkmcnt(0)
	global_store_short v1, v0, s[18:19]
.LBB3586_179:
	s_or_b64 exec, exec, s[2:3]
                                        ; implicit-def: $vgpr0_vgpr1
                                        ; implicit-def: $vgpr2
.LBB3586_180:
	s_andn2_saveexec_b64 s[0:1], s[0:1]
	s_cbranch_execz .LBB3586_104
; %bb.181:
	v_cmp_lt_i64_e32 vcc, 1, v[0:1]
	s_and_saveexec_b64 s[0:1], vcc
	s_xor_b64 s[0:1], exec, s[0:1]
	s_cbranch_execz .LBB3586_183
; %bb.182:
	ds_read_u16 v0, v2 offset:256
	v_mov_b32_e32 v1, 0
                                        ; implicit-def: $vgpr2
	s_waitcnt lgkmcnt(0)
	global_store_short v1, v0, s[18:19]
                                        ; implicit-def: $vgpr0_vgpr1
.LBB3586_183:
	s_andn2_saveexec_b64 s[0:1], s[0:1]
	s_cbranch_execz .LBB3586_104
; %bb.184:
	v_cmp_ne_u64_e32 vcc, 1, v[0:1]
	s_and_saveexec_b64 s[0:1], vcc
	s_xor_b64 s[0:1], exec, s[0:1]
	s_cbranch_execz .LBB3586_186
; %bb.185:
	ds_read_u16 v0, v2
	v_mov_b32_e32 v1, 0
                                        ; implicit-def: $vgpr2
	s_waitcnt lgkmcnt(0)
	global_store_short v1, v0, s[18:19]
.LBB3586_186:
	s_andn2_saveexec_b64 s[0:1], s[0:1]
	s_cbranch_execz .LBB3586_104
; %bb.187:
	ds_read_u16 v0, v2 offset:128
	v_mov_b32_e32 v1, 0
	s_waitcnt lgkmcnt(0)
	global_store_short v1, v0, s[18:19]
	s_endpgm
	.section	.rodata,"a",@progbits
	.p2align	6, 0x0
	.amdhsa_kernel _ZN7rocprim17ROCPRIM_400000_NS6detail17trampoline_kernelINS0_14default_configENS1_20scan_config_selectorItEEZZNS1_9scan_implILNS1_25lookback_scan_determinismE0ELb0ELb0ES3_N6thrust23THRUST_200600_302600_NS6detail15normal_iteratorINS9_10device_ptrItEEEENS9_16discard_iteratorINS9_11use_defaultEEEt11max_functorItEtEEDaPvRmT3_T4_T5_mT6_P12ihipStream_tbENKUlT_T0_E_clISt17integral_constantIbLb1EESX_EEDaSS_ST_EUlSS_E_NS1_11comp_targetILNS1_3genE4ELNS1_11target_archE910ELNS1_3gpuE8ELNS1_3repE0EEENS1_30default_config_static_selectorELNS0_4arch9wavefront6targetE1EEEvT1_
		.amdhsa_group_segment_fixed_size 3072
		.amdhsa_private_segment_fixed_size 0
		.amdhsa_kernarg_size 104
		.amdhsa_user_sgpr_count 6
		.amdhsa_user_sgpr_private_segment_buffer 1
		.amdhsa_user_sgpr_dispatch_ptr 0
		.amdhsa_user_sgpr_queue_ptr 0
		.amdhsa_user_sgpr_kernarg_segment_ptr 1
		.amdhsa_user_sgpr_dispatch_id 0
		.amdhsa_user_sgpr_flat_scratch_init 0
		.amdhsa_user_sgpr_kernarg_preload_length 0
		.amdhsa_user_sgpr_kernarg_preload_offset 0
		.amdhsa_user_sgpr_private_segment_size 0
		.amdhsa_uses_dynamic_stack 0
		.amdhsa_system_sgpr_private_segment_wavefront_offset 0
		.amdhsa_system_sgpr_workgroup_id_x 1
		.amdhsa_system_sgpr_workgroup_id_y 0
		.amdhsa_system_sgpr_workgroup_id_z 0
		.amdhsa_system_sgpr_workgroup_info 0
		.amdhsa_system_vgpr_workitem_id 0
		.amdhsa_next_free_vgpr 56
		.amdhsa_next_free_sgpr 31
		.amdhsa_accum_offset 56
		.amdhsa_reserve_vcc 1
		.amdhsa_reserve_flat_scratch 0
		.amdhsa_float_round_mode_32 0
		.amdhsa_float_round_mode_16_64 0
		.amdhsa_float_denorm_mode_32 3
		.amdhsa_float_denorm_mode_16_64 3
		.amdhsa_dx10_clamp 1
		.amdhsa_ieee_mode 1
		.amdhsa_fp16_overflow 0
		.amdhsa_tg_split 0
		.amdhsa_exception_fp_ieee_invalid_op 0
		.amdhsa_exception_fp_denorm_src 0
		.amdhsa_exception_fp_ieee_div_zero 0
		.amdhsa_exception_fp_ieee_overflow 0
		.amdhsa_exception_fp_ieee_underflow 0
		.amdhsa_exception_fp_ieee_inexact 0
		.amdhsa_exception_int_div_zero 0
	.end_amdhsa_kernel
	.section	.text._ZN7rocprim17ROCPRIM_400000_NS6detail17trampoline_kernelINS0_14default_configENS1_20scan_config_selectorItEEZZNS1_9scan_implILNS1_25lookback_scan_determinismE0ELb0ELb0ES3_N6thrust23THRUST_200600_302600_NS6detail15normal_iteratorINS9_10device_ptrItEEEENS9_16discard_iteratorINS9_11use_defaultEEEt11max_functorItEtEEDaPvRmT3_T4_T5_mT6_P12ihipStream_tbENKUlT_T0_E_clISt17integral_constantIbLb1EESX_EEDaSS_ST_EUlSS_E_NS1_11comp_targetILNS1_3genE4ELNS1_11target_archE910ELNS1_3gpuE8ELNS1_3repE0EEENS1_30default_config_static_selectorELNS0_4arch9wavefront6targetE1EEEvT1_,"axG",@progbits,_ZN7rocprim17ROCPRIM_400000_NS6detail17trampoline_kernelINS0_14default_configENS1_20scan_config_selectorItEEZZNS1_9scan_implILNS1_25lookback_scan_determinismE0ELb0ELb0ES3_N6thrust23THRUST_200600_302600_NS6detail15normal_iteratorINS9_10device_ptrItEEEENS9_16discard_iteratorINS9_11use_defaultEEEt11max_functorItEtEEDaPvRmT3_T4_T5_mT6_P12ihipStream_tbENKUlT_T0_E_clISt17integral_constantIbLb1EESX_EEDaSS_ST_EUlSS_E_NS1_11comp_targetILNS1_3genE4ELNS1_11target_archE910ELNS1_3gpuE8ELNS1_3repE0EEENS1_30default_config_static_selectorELNS0_4arch9wavefront6targetE1EEEvT1_,comdat
.Lfunc_end3586:
	.size	_ZN7rocprim17ROCPRIM_400000_NS6detail17trampoline_kernelINS0_14default_configENS1_20scan_config_selectorItEEZZNS1_9scan_implILNS1_25lookback_scan_determinismE0ELb0ELb0ES3_N6thrust23THRUST_200600_302600_NS6detail15normal_iteratorINS9_10device_ptrItEEEENS9_16discard_iteratorINS9_11use_defaultEEEt11max_functorItEtEEDaPvRmT3_T4_T5_mT6_P12ihipStream_tbENKUlT_T0_E_clISt17integral_constantIbLb1EESX_EEDaSS_ST_EUlSS_E_NS1_11comp_targetILNS1_3genE4ELNS1_11target_archE910ELNS1_3gpuE8ELNS1_3repE0EEENS1_30default_config_static_selectorELNS0_4arch9wavefront6targetE1EEEvT1_, .Lfunc_end3586-_ZN7rocprim17ROCPRIM_400000_NS6detail17trampoline_kernelINS0_14default_configENS1_20scan_config_selectorItEEZZNS1_9scan_implILNS1_25lookback_scan_determinismE0ELb0ELb0ES3_N6thrust23THRUST_200600_302600_NS6detail15normal_iteratorINS9_10device_ptrItEEEENS9_16discard_iteratorINS9_11use_defaultEEEt11max_functorItEtEEDaPvRmT3_T4_T5_mT6_P12ihipStream_tbENKUlT_T0_E_clISt17integral_constantIbLb1EESX_EEDaSS_ST_EUlSS_E_NS1_11comp_targetILNS1_3genE4ELNS1_11target_archE910ELNS1_3gpuE8ELNS1_3repE0EEENS1_30default_config_static_selectorELNS0_4arch9wavefront6targetE1EEEvT1_
                                        ; -- End function
	.section	.AMDGPU.csdata,"",@progbits
; Kernel info:
; codeLenInByte = 6572
; NumSgprs: 35
; NumVgprs: 56
; NumAgprs: 0
; TotalNumVgprs: 56
; ScratchSize: 0
; MemoryBound: 0
; FloatMode: 240
; IeeeMode: 1
; LDSByteSize: 3072 bytes/workgroup (compile time only)
; SGPRBlocks: 4
; VGPRBlocks: 6
; NumSGPRsForWavesPerEU: 35
; NumVGPRsForWavesPerEU: 56
; AccumOffset: 56
; Occupancy: 6
; WaveLimiterHint : 1
; COMPUTE_PGM_RSRC2:SCRATCH_EN: 0
; COMPUTE_PGM_RSRC2:USER_SGPR: 6
; COMPUTE_PGM_RSRC2:TRAP_HANDLER: 0
; COMPUTE_PGM_RSRC2:TGID_X_EN: 1
; COMPUTE_PGM_RSRC2:TGID_Y_EN: 0
; COMPUTE_PGM_RSRC2:TGID_Z_EN: 0
; COMPUTE_PGM_RSRC2:TIDIG_COMP_CNT: 0
; COMPUTE_PGM_RSRC3_GFX90A:ACCUM_OFFSET: 13
; COMPUTE_PGM_RSRC3_GFX90A:TG_SPLIT: 0
	.section	.text._ZN7rocprim17ROCPRIM_400000_NS6detail17trampoline_kernelINS0_14default_configENS1_20scan_config_selectorItEEZZNS1_9scan_implILNS1_25lookback_scan_determinismE0ELb0ELb0ES3_N6thrust23THRUST_200600_302600_NS6detail15normal_iteratorINS9_10device_ptrItEEEENS9_16discard_iteratorINS9_11use_defaultEEEt11max_functorItEtEEDaPvRmT3_T4_T5_mT6_P12ihipStream_tbENKUlT_T0_E_clISt17integral_constantIbLb1EESX_EEDaSS_ST_EUlSS_E_NS1_11comp_targetILNS1_3genE3ELNS1_11target_archE908ELNS1_3gpuE7ELNS1_3repE0EEENS1_30default_config_static_selectorELNS0_4arch9wavefront6targetE1EEEvT1_,"axG",@progbits,_ZN7rocprim17ROCPRIM_400000_NS6detail17trampoline_kernelINS0_14default_configENS1_20scan_config_selectorItEEZZNS1_9scan_implILNS1_25lookback_scan_determinismE0ELb0ELb0ES3_N6thrust23THRUST_200600_302600_NS6detail15normal_iteratorINS9_10device_ptrItEEEENS9_16discard_iteratorINS9_11use_defaultEEEt11max_functorItEtEEDaPvRmT3_T4_T5_mT6_P12ihipStream_tbENKUlT_T0_E_clISt17integral_constantIbLb1EESX_EEDaSS_ST_EUlSS_E_NS1_11comp_targetILNS1_3genE3ELNS1_11target_archE908ELNS1_3gpuE7ELNS1_3repE0EEENS1_30default_config_static_selectorELNS0_4arch9wavefront6targetE1EEEvT1_,comdat
	.protected	_ZN7rocprim17ROCPRIM_400000_NS6detail17trampoline_kernelINS0_14default_configENS1_20scan_config_selectorItEEZZNS1_9scan_implILNS1_25lookback_scan_determinismE0ELb0ELb0ES3_N6thrust23THRUST_200600_302600_NS6detail15normal_iteratorINS9_10device_ptrItEEEENS9_16discard_iteratorINS9_11use_defaultEEEt11max_functorItEtEEDaPvRmT3_T4_T5_mT6_P12ihipStream_tbENKUlT_T0_E_clISt17integral_constantIbLb1EESX_EEDaSS_ST_EUlSS_E_NS1_11comp_targetILNS1_3genE3ELNS1_11target_archE908ELNS1_3gpuE7ELNS1_3repE0EEENS1_30default_config_static_selectorELNS0_4arch9wavefront6targetE1EEEvT1_ ; -- Begin function _ZN7rocprim17ROCPRIM_400000_NS6detail17trampoline_kernelINS0_14default_configENS1_20scan_config_selectorItEEZZNS1_9scan_implILNS1_25lookback_scan_determinismE0ELb0ELb0ES3_N6thrust23THRUST_200600_302600_NS6detail15normal_iteratorINS9_10device_ptrItEEEENS9_16discard_iteratorINS9_11use_defaultEEEt11max_functorItEtEEDaPvRmT3_T4_T5_mT6_P12ihipStream_tbENKUlT_T0_E_clISt17integral_constantIbLb1EESX_EEDaSS_ST_EUlSS_E_NS1_11comp_targetILNS1_3genE3ELNS1_11target_archE908ELNS1_3gpuE7ELNS1_3repE0EEENS1_30default_config_static_selectorELNS0_4arch9wavefront6targetE1EEEvT1_
	.globl	_ZN7rocprim17ROCPRIM_400000_NS6detail17trampoline_kernelINS0_14default_configENS1_20scan_config_selectorItEEZZNS1_9scan_implILNS1_25lookback_scan_determinismE0ELb0ELb0ES3_N6thrust23THRUST_200600_302600_NS6detail15normal_iteratorINS9_10device_ptrItEEEENS9_16discard_iteratorINS9_11use_defaultEEEt11max_functorItEtEEDaPvRmT3_T4_T5_mT6_P12ihipStream_tbENKUlT_T0_E_clISt17integral_constantIbLb1EESX_EEDaSS_ST_EUlSS_E_NS1_11comp_targetILNS1_3genE3ELNS1_11target_archE908ELNS1_3gpuE7ELNS1_3repE0EEENS1_30default_config_static_selectorELNS0_4arch9wavefront6targetE1EEEvT1_
	.p2align	8
	.type	_ZN7rocprim17ROCPRIM_400000_NS6detail17trampoline_kernelINS0_14default_configENS1_20scan_config_selectorItEEZZNS1_9scan_implILNS1_25lookback_scan_determinismE0ELb0ELb0ES3_N6thrust23THRUST_200600_302600_NS6detail15normal_iteratorINS9_10device_ptrItEEEENS9_16discard_iteratorINS9_11use_defaultEEEt11max_functorItEtEEDaPvRmT3_T4_T5_mT6_P12ihipStream_tbENKUlT_T0_E_clISt17integral_constantIbLb1EESX_EEDaSS_ST_EUlSS_E_NS1_11comp_targetILNS1_3genE3ELNS1_11target_archE908ELNS1_3gpuE7ELNS1_3repE0EEENS1_30default_config_static_selectorELNS0_4arch9wavefront6targetE1EEEvT1_,@function
_ZN7rocprim17ROCPRIM_400000_NS6detail17trampoline_kernelINS0_14default_configENS1_20scan_config_selectorItEEZZNS1_9scan_implILNS1_25lookback_scan_determinismE0ELb0ELb0ES3_N6thrust23THRUST_200600_302600_NS6detail15normal_iteratorINS9_10device_ptrItEEEENS9_16discard_iteratorINS9_11use_defaultEEEt11max_functorItEtEEDaPvRmT3_T4_T5_mT6_P12ihipStream_tbENKUlT_T0_E_clISt17integral_constantIbLb1EESX_EEDaSS_ST_EUlSS_E_NS1_11comp_targetILNS1_3genE3ELNS1_11target_archE908ELNS1_3gpuE7ELNS1_3repE0EEENS1_30default_config_static_selectorELNS0_4arch9wavefront6targetE1EEEvT1_: ; @_ZN7rocprim17ROCPRIM_400000_NS6detail17trampoline_kernelINS0_14default_configENS1_20scan_config_selectorItEEZZNS1_9scan_implILNS1_25lookback_scan_determinismE0ELb0ELb0ES3_N6thrust23THRUST_200600_302600_NS6detail15normal_iteratorINS9_10device_ptrItEEEENS9_16discard_iteratorINS9_11use_defaultEEEt11max_functorItEtEEDaPvRmT3_T4_T5_mT6_P12ihipStream_tbENKUlT_T0_E_clISt17integral_constantIbLb1EESX_EEDaSS_ST_EUlSS_E_NS1_11comp_targetILNS1_3genE3ELNS1_11target_archE908ELNS1_3gpuE7ELNS1_3repE0EEENS1_30default_config_static_selectorELNS0_4arch9wavefront6targetE1EEEvT1_
; %bb.0:
	.section	.rodata,"a",@progbits
	.p2align	6, 0x0
	.amdhsa_kernel _ZN7rocprim17ROCPRIM_400000_NS6detail17trampoline_kernelINS0_14default_configENS1_20scan_config_selectorItEEZZNS1_9scan_implILNS1_25lookback_scan_determinismE0ELb0ELb0ES3_N6thrust23THRUST_200600_302600_NS6detail15normal_iteratorINS9_10device_ptrItEEEENS9_16discard_iteratorINS9_11use_defaultEEEt11max_functorItEtEEDaPvRmT3_T4_T5_mT6_P12ihipStream_tbENKUlT_T0_E_clISt17integral_constantIbLb1EESX_EEDaSS_ST_EUlSS_E_NS1_11comp_targetILNS1_3genE3ELNS1_11target_archE908ELNS1_3gpuE7ELNS1_3repE0EEENS1_30default_config_static_selectorELNS0_4arch9wavefront6targetE1EEEvT1_
		.amdhsa_group_segment_fixed_size 0
		.amdhsa_private_segment_fixed_size 0
		.amdhsa_kernarg_size 104
		.amdhsa_user_sgpr_count 6
		.amdhsa_user_sgpr_private_segment_buffer 1
		.amdhsa_user_sgpr_dispatch_ptr 0
		.amdhsa_user_sgpr_queue_ptr 0
		.amdhsa_user_sgpr_kernarg_segment_ptr 1
		.amdhsa_user_sgpr_dispatch_id 0
		.amdhsa_user_sgpr_flat_scratch_init 0
		.amdhsa_user_sgpr_kernarg_preload_length 0
		.amdhsa_user_sgpr_kernarg_preload_offset 0
		.amdhsa_user_sgpr_private_segment_size 0
		.amdhsa_uses_dynamic_stack 0
		.amdhsa_system_sgpr_private_segment_wavefront_offset 0
		.amdhsa_system_sgpr_workgroup_id_x 1
		.amdhsa_system_sgpr_workgroup_id_y 0
		.amdhsa_system_sgpr_workgroup_id_z 0
		.amdhsa_system_sgpr_workgroup_info 0
		.amdhsa_system_vgpr_workitem_id 0
		.amdhsa_next_free_vgpr 1
		.amdhsa_next_free_sgpr 0
		.amdhsa_accum_offset 4
		.amdhsa_reserve_vcc 0
		.amdhsa_reserve_flat_scratch 0
		.amdhsa_float_round_mode_32 0
		.amdhsa_float_round_mode_16_64 0
		.amdhsa_float_denorm_mode_32 3
		.amdhsa_float_denorm_mode_16_64 3
		.amdhsa_dx10_clamp 1
		.amdhsa_ieee_mode 1
		.amdhsa_fp16_overflow 0
		.amdhsa_tg_split 0
		.amdhsa_exception_fp_ieee_invalid_op 0
		.amdhsa_exception_fp_denorm_src 0
		.amdhsa_exception_fp_ieee_div_zero 0
		.amdhsa_exception_fp_ieee_overflow 0
		.amdhsa_exception_fp_ieee_underflow 0
		.amdhsa_exception_fp_ieee_inexact 0
		.amdhsa_exception_int_div_zero 0
	.end_amdhsa_kernel
	.section	.text._ZN7rocprim17ROCPRIM_400000_NS6detail17trampoline_kernelINS0_14default_configENS1_20scan_config_selectorItEEZZNS1_9scan_implILNS1_25lookback_scan_determinismE0ELb0ELb0ES3_N6thrust23THRUST_200600_302600_NS6detail15normal_iteratorINS9_10device_ptrItEEEENS9_16discard_iteratorINS9_11use_defaultEEEt11max_functorItEtEEDaPvRmT3_T4_T5_mT6_P12ihipStream_tbENKUlT_T0_E_clISt17integral_constantIbLb1EESX_EEDaSS_ST_EUlSS_E_NS1_11comp_targetILNS1_3genE3ELNS1_11target_archE908ELNS1_3gpuE7ELNS1_3repE0EEENS1_30default_config_static_selectorELNS0_4arch9wavefront6targetE1EEEvT1_,"axG",@progbits,_ZN7rocprim17ROCPRIM_400000_NS6detail17trampoline_kernelINS0_14default_configENS1_20scan_config_selectorItEEZZNS1_9scan_implILNS1_25lookback_scan_determinismE0ELb0ELb0ES3_N6thrust23THRUST_200600_302600_NS6detail15normal_iteratorINS9_10device_ptrItEEEENS9_16discard_iteratorINS9_11use_defaultEEEt11max_functorItEtEEDaPvRmT3_T4_T5_mT6_P12ihipStream_tbENKUlT_T0_E_clISt17integral_constantIbLb1EESX_EEDaSS_ST_EUlSS_E_NS1_11comp_targetILNS1_3genE3ELNS1_11target_archE908ELNS1_3gpuE7ELNS1_3repE0EEENS1_30default_config_static_selectorELNS0_4arch9wavefront6targetE1EEEvT1_,comdat
.Lfunc_end3587:
	.size	_ZN7rocprim17ROCPRIM_400000_NS6detail17trampoline_kernelINS0_14default_configENS1_20scan_config_selectorItEEZZNS1_9scan_implILNS1_25lookback_scan_determinismE0ELb0ELb0ES3_N6thrust23THRUST_200600_302600_NS6detail15normal_iteratorINS9_10device_ptrItEEEENS9_16discard_iteratorINS9_11use_defaultEEEt11max_functorItEtEEDaPvRmT3_T4_T5_mT6_P12ihipStream_tbENKUlT_T0_E_clISt17integral_constantIbLb1EESX_EEDaSS_ST_EUlSS_E_NS1_11comp_targetILNS1_3genE3ELNS1_11target_archE908ELNS1_3gpuE7ELNS1_3repE0EEENS1_30default_config_static_selectorELNS0_4arch9wavefront6targetE1EEEvT1_, .Lfunc_end3587-_ZN7rocprim17ROCPRIM_400000_NS6detail17trampoline_kernelINS0_14default_configENS1_20scan_config_selectorItEEZZNS1_9scan_implILNS1_25lookback_scan_determinismE0ELb0ELb0ES3_N6thrust23THRUST_200600_302600_NS6detail15normal_iteratorINS9_10device_ptrItEEEENS9_16discard_iteratorINS9_11use_defaultEEEt11max_functorItEtEEDaPvRmT3_T4_T5_mT6_P12ihipStream_tbENKUlT_T0_E_clISt17integral_constantIbLb1EESX_EEDaSS_ST_EUlSS_E_NS1_11comp_targetILNS1_3genE3ELNS1_11target_archE908ELNS1_3gpuE7ELNS1_3repE0EEENS1_30default_config_static_selectorELNS0_4arch9wavefront6targetE1EEEvT1_
                                        ; -- End function
	.section	.AMDGPU.csdata,"",@progbits
; Kernel info:
; codeLenInByte = 0
; NumSgprs: 4
; NumVgprs: 0
; NumAgprs: 0
; TotalNumVgprs: 0
; ScratchSize: 0
; MemoryBound: 0
; FloatMode: 240
; IeeeMode: 1
; LDSByteSize: 0 bytes/workgroup (compile time only)
; SGPRBlocks: 0
; VGPRBlocks: 0
; NumSGPRsForWavesPerEU: 4
; NumVGPRsForWavesPerEU: 1
; AccumOffset: 4
; Occupancy: 8
; WaveLimiterHint : 0
; COMPUTE_PGM_RSRC2:SCRATCH_EN: 0
; COMPUTE_PGM_RSRC2:USER_SGPR: 6
; COMPUTE_PGM_RSRC2:TRAP_HANDLER: 0
; COMPUTE_PGM_RSRC2:TGID_X_EN: 1
; COMPUTE_PGM_RSRC2:TGID_Y_EN: 0
; COMPUTE_PGM_RSRC2:TGID_Z_EN: 0
; COMPUTE_PGM_RSRC2:TIDIG_COMP_CNT: 0
; COMPUTE_PGM_RSRC3_GFX90A:ACCUM_OFFSET: 0
; COMPUTE_PGM_RSRC3_GFX90A:TG_SPLIT: 0
	.section	.text._ZN7rocprim17ROCPRIM_400000_NS6detail17trampoline_kernelINS0_14default_configENS1_20scan_config_selectorItEEZZNS1_9scan_implILNS1_25lookback_scan_determinismE0ELb0ELb0ES3_N6thrust23THRUST_200600_302600_NS6detail15normal_iteratorINS9_10device_ptrItEEEENS9_16discard_iteratorINS9_11use_defaultEEEt11max_functorItEtEEDaPvRmT3_T4_T5_mT6_P12ihipStream_tbENKUlT_T0_E_clISt17integral_constantIbLb1EESX_EEDaSS_ST_EUlSS_E_NS1_11comp_targetILNS1_3genE2ELNS1_11target_archE906ELNS1_3gpuE6ELNS1_3repE0EEENS1_30default_config_static_selectorELNS0_4arch9wavefront6targetE1EEEvT1_,"axG",@progbits,_ZN7rocprim17ROCPRIM_400000_NS6detail17trampoline_kernelINS0_14default_configENS1_20scan_config_selectorItEEZZNS1_9scan_implILNS1_25lookback_scan_determinismE0ELb0ELb0ES3_N6thrust23THRUST_200600_302600_NS6detail15normal_iteratorINS9_10device_ptrItEEEENS9_16discard_iteratorINS9_11use_defaultEEEt11max_functorItEtEEDaPvRmT3_T4_T5_mT6_P12ihipStream_tbENKUlT_T0_E_clISt17integral_constantIbLb1EESX_EEDaSS_ST_EUlSS_E_NS1_11comp_targetILNS1_3genE2ELNS1_11target_archE906ELNS1_3gpuE6ELNS1_3repE0EEENS1_30default_config_static_selectorELNS0_4arch9wavefront6targetE1EEEvT1_,comdat
	.protected	_ZN7rocprim17ROCPRIM_400000_NS6detail17trampoline_kernelINS0_14default_configENS1_20scan_config_selectorItEEZZNS1_9scan_implILNS1_25lookback_scan_determinismE0ELb0ELb0ES3_N6thrust23THRUST_200600_302600_NS6detail15normal_iteratorINS9_10device_ptrItEEEENS9_16discard_iteratorINS9_11use_defaultEEEt11max_functorItEtEEDaPvRmT3_T4_T5_mT6_P12ihipStream_tbENKUlT_T0_E_clISt17integral_constantIbLb1EESX_EEDaSS_ST_EUlSS_E_NS1_11comp_targetILNS1_3genE2ELNS1_11target_archE906ELNS1_3gpuE6ELNS1_3repE0EEENS1_30default_config_static_selectorELNS0_4arch9wavefront6targetE1EEEvT1_ ; -- Begin function _ZN7rocprim17ROCPRIM_400000_NS6detail17trampoline_kernelINS0_14default_configENS1_20scan_config_selectorItEEZZNS1_9scan_implILNS1_25lookback_scan_determinismE0ELb0ELb0ES3_N6thrust23THRUST_200600_302600_NS6detail15normal_iteratorINS9_10device_ptrItEEEENS9_16discard_iteratorINS9_11use_defaultEEEt11max_functorItEtEEDaPvRmT3_T4_T5_mT6_P12ihipStream_tbENKUlT_T0_E_clISt17integral_constantIbLb1EESX_EEDaSS_ST_EUlSS_E_NS1_11comp_targetILNS1_3genE2ELNS1_11target_archE906ELNS1_3gpuE6ELNS1_3repE0EEENS1_30default_config_static_selectorELNS0_4arch9wavefront6targetE1EEEvT1_
	.globl	_ZN7rocprim17ROCPRIM_400000_NS6detail17trampoline_kernelINS0_14default_configENS1_20scan_config_selectorItEEZZNS1_9scan_implILNS1_25lookback_scan_determinismE0ELb0ELb0ES3_N6thrust23THRUST_200600_302600_NS6detail15normal_iteratorINS9_10device_ptrItEEEENS9_16discard_iteratorINS9_11use_defaultEEEt11max_functorItEtEEDaPvRmT3_T4_T5_mT6_P12ihipStream_tbENKUlT_T0_E_clISt17integral_constantIbLb1EESX_EEDaSS_ST_EUlSS_E_NS1_11comp_targetILNS1_3genE2ELNS1_11target_archE906ELNS1_3gpuE6ELNS1_3repE0EEENS1_30default_config_static_selectorELNS0_4arch9wavefront6targetE1EEEvT1_
	.p2align	8
	.type	_ZN7rocprim17ROCPRIM_400000_NS6detail17trampoline_kernelINS0_14default_configENS1_20scan_config_selectorItEEZZNS1_9scan_implILNS1_25lookback_scan_determinismE0ELb0ELb0ES3_N6thrust23THRUST_200600_302600_NS6detail15normal_iteratorINS9_10device_ptrItEEEENS9_16discard_iteratorINS9_11use_defaultEEEt11max_functorItEtEEDaPvRmT3_T4_T5_mT6_P12ihipStream_tbENKUlT_T0_E_clISt17integral_constantIbLb1EESX_EEDaSS_ST_EUlSS_E_NS1_11comp_targetILNS1_3genE2ELNS1_11target_archE906ELNS1_3gpuE6ELNS1_3repE0EEENS1_30default_config_static_selectorELNS0_4arch9wavefront6targetE1EEEvT1_,@function
_ZN7rocprim17ROCPRIM_400000_NS6detail17trampoline_kernelINS0_14default_configENS1_20scan_config_selectorItEEZZNS1_9scan_implILNS1_25lookback_scan_determinismE0ELb0ELb0ES3_N6thrust23THRUST_200600_302600_NS6detail15normal_iteratorINS9_10device_ptrItEEEENS9_16discard_iteratorINS9_11use_defaultEEEt11max_functorItEtEEDaPvRmT3_T4_T5_mT6_P12ihipStream_tbENKUlT_T0_E_clISt17integral_constantIbLb1EESX_EEDaSS_ST_EUlSS_E_NS1_11comp_targetILNS1_3genE2ELNS1_11target_archE906ELNS1_3gpuE6ELNS1_3repE0EEENS1_30default_config_static_selectorELNS0_4arch9wavefront6targetE1EEEvT1_: ; @_ZN7rocprim17ROCPRIM_400000_NS6detail17trampoline_kernelINS0_14default_configENS1_20scan_config_selectorItEEZZNS1_9scan_implILNS1_25lookback_scan_determinismE0ELb0ELb0ES3_N6thrust23THRUST_200600_302600_NS6detail15normal_iteratorINS9_10device_ptrItEEEENS9_16discard_iteratorINS9_11use_defaultEEEt11max_functorItEtEEDaPvRmT3_T4_T5_mT6_P12ihipStream_tbENKUlT_T0_E_clISt17integral_constantIbLb1EESX_EEDaSS_ST_EUlSS_E_NS1_11comp_targetILNS1_3genE2ELNS1_11target_archE906ELNS1_3gpuE6ELNS1_3repE0EEENS1_30default_config_static_selectorELNS0_4arch9wavefront6targetE1EEEvT1_
; %bb.0:
	.section	.rodata,"a",@progbits
	.p2align	6, 0x0
	.amdhsa_kernel _ZN7rocprim17ROCPRIM_400000_NS6detail17trampoline_kernelINS0_14default_configENS1_20scan_config_selectorItEEZZNS1_9scan_implILNS1_25lookback_scan_determinismE0ELb0ELb0ES3_N6thrust23THRUST_200600_302600_NS6detail15normal_iteratorINS9_10device_ptrItEEEENS9_16discard_iteratorINS9_11use_defaultEEEt11max_functorItEtEEDaPvRmT3_T4_T5_mT6_P12ihipStream_tbENKUlT_T0_E_clISt17integral_constantIbLb1EESX_EEDaSS_ST_EUlSS_E_NS1_11comp_targetILNS1_3genE2ELNS1_11target_archE906ELNS1_3gpuE6ELNS1_3repE0EEENS1_30default_config_static_selectorELNS0_4arch9wavefront6targetE1EEEvT1_
		.amdhsa_group_segment_fixed_size 0
		.amdhsa_private_segment_fixed_size 0
		.amdhsa_kernarg_size 104
		.amdhsa_user_sgpr_count 6
		.amdhsa_user_sgpr_private_segment_buffer 1
		.amdhsa_user_sgpr_dispatch_ptr 0
		.amdhsa_user_sgpr_queue_ptr 0
		.amdhsa_user_sgpr_kernarg_segment_ptr 1
		.amdhsa_user_sgpr_dispatch_id 0
		.amdhsa_user_sgpr_flat_scratch_init 0
		.amdhsa_user_sgpr_kernarg_preload_length 0
		.amdhsa_user_sgpr_kernarg_preload_offset 0
		.amdhsa_user_sgpr_private_segment_size 0
		.amdhsa_uses_dynamic_stack 0
		.amdhsa_system_sgpr_private_segment_wavefront_offset 0
		.amdhsa_system_sgpr_workgroup_id_x 1
		.amdhsa_system_sgpr_workgroup_id_y 0
		.amdhsa_system_sgpr_workgroup_id_z 0
		.amdhsa_system_sgpr_workgroup_info 0
		.amdhsa_system_vgpr_workitem_id 0
		.amdhsa_next_free_vgpr 1
		.amdhsa_next_free_sgpr 0
		.amdhsa_accum_offset 4
		.amdhsa_reserve_vcc 0
		.amdhsa_reserve_flat_scratch 0
		.amdhsa_float_round_mode_32 0
		.amdhsa_float_round_mode_16_64 0
		.amdhsa_float_denorm_mode_32 3
		.amdhsa_float_denorm_mode_16_64 3
		.amdhsa_dx10_clamp 1
		.amdhsa_ieee_mode 1
		.amdhsa_fp16_overflow 0
		.amdhsa_tg_split 0
		.amdhsa_exception_fp_ieee_invalid_op 0
		.amdhsa_exception_fp_denorm_src 0
		.amdhsa_exception_fp_ieee_div_zero 0
		.amdhsa_exception_fp_ieee_overflow 0
		.amdhsa_exception_fp_ieee_underflow 0
		.amdhsa_exception_fp_ieee_inexact 0
		.amdhsa_exception_int_div_zero 0
	.end_amdhsa_kernel
	.section	.text._ZN7rocprim17ROCPRIM_400000_NS6detail17trampoline_kernelINS0_14default_configENS1_20scan_config_selectorItEEZZNS1_9scan_implILNS1_25lookback_scan_determinismE0ELb0ELb0ES3_N6thrust23THRUST_200600_302600_NS6detail15normal_iteratorINS9_10device_ptrItEEEENS9_16discard_iteratorINS9_11use_defaultEEEt11max_functorItEtEEDaPvRmT3_T4_T5_mT6_P12ihipStream_tbENKUlT_T0_E_clISt17integral_constantIbLb1EESX_EEDaSS_ST_EUlSS_E_NS1_11comp_targetILNS1_3genE2ELNS1_11target_archE906ELNS1_3gpuE6ELNS1_3repE0EEENS1_30default_config_static_selectorELNS0_4arch9wavefront6targetE1EEEvT1_,"axG",@progbits,_ZN7rocprim17ROCPRIM_400000_NS6detail17trampoline_kernelINS0_14default_configENS1_20scan_config_selectorItEEZZNS1_9scan_implILNS1_25lookback_scan_determinismE0ELb0ELb0ES3_N6thrust23THRUST_200600_302600_NS6detail15normal_iteratorINS9_10device_ptrItEEEENS9_16discard_iteratorINS9_11use_defaultEEEt11max_functorItEtEEDaPvRmT3_T4_T5_mT6_P12ihipStream_tbENKUlT_T0_E_clISt17integral_constantIbLb1EESX_EEDaSS_ST_EUlSS_E_NS1_11comp_targetILNS1_3genE2ELNS1_11target_archE906ELNS1_3gpuE6ELNS1_3repE0EEENS1_30default_config_static_selectorELNS0_4arch9wavefront6targetE1EEEvT1_,comdat
.Lfunc_end3588:
	.size	_ZN7rocprim17ROCPRIM_400000_NS6detail17trampoline_kernelINS0_14default_configENS1_20scan_config_selectorItEEZZNS1_9scan_implILNS1_25lookback_scan_determinismE0ELb0ELb0ES3_N6thrust23THRUST_200600_302600_NS6detail15normal_iteratorINS9_10device_ptrItEEEENS9_16discard_iteratorINS9_11use_defaultEEEt11max_functorItEtEEDaPvRmT3_T4_T5_mT6_P12ihipStream_tbENKUlT_T0_E_clISt17integral_constantIbLb1EESX_EEDaSS_ST_EUlSS_E_NS1_11comp_targetILNS1_3genE2ELNS1_11target_archE906ELNS1_3gpuE6ELNS1_3repE0EEENS1_30default_config_static_selectorELNS0_4arch9wavefront6targetE1EEEvT1_, .Lfunc_end3588-_ZN7rocprim17ROCPRIM_400000_NS6detail17trampoline_kernelINS0_14default_configENS1_20scan_config_selectorItEEZZNS1_9scan_implILNS1_25lookback_scan_determinismE0ELb0ELb0ES3_N6thrust23THRUST_200600_302600_NS6detail15normal_iteratorINS9_10device_ptrItEEEENS9_16discard_iteratorINS9_11use_defaultEEEt11max_functorItEtEEDaPvRmT3_T4_T5_mT6_P12ihipStream_tbENKUlT_T0_E_clISt17integral_constantIbLb1EESX_EEDaSS_ST_EUlSS_E_NS1_11comp_targetILNS1_3genE2ELNS1_11target_archE906ELNS1_3gpuE6ELNS1_3repE0EEENS1_30default_config_static_selectorELNS0_4arch9wavefront6targetE1EEEvT1_
                                        ; -- End function
	.section	.AMDGPU.csdata,"",@progbits
; Kernel info:
; codeLenInByte = 0
; NumSgprs: 4
; NumVgprs: 0
; NumAgprs: 0
; TotalNumVgprs: 0
; ScratchSize: 0
; MemoryBound: 0
; FloatMode: 240
; IeeeMode: 1
; LDSByteSize: 0 bytes/workgroup (compile time only)
; SGPRBlocks: 0
; VGPRBlocks: 0
; NumSGPRsForWavesPerEU: 4
; NumVGPRsForWavesPerEU: 1
; AccumOffset: 4
; Occupancy: 8
; WaveLimiterHint : 0
; COMPUTE_PGM_RSRC2:SCRATCH_EN: 0
; COMPUTE_PGM_RSRC2:USER_SGPR: 6
; COMPUTE_PGM_RSRC2:TRAP_HANDLER: 0
; COMPUTE_PGM_RSRC2:TGID_X_EN: 1
; COMPUTE_PGM_RSRC2:TGID_Y_EN: 0
; COMPUTE_PGM_RSRC2:TGID_Z_EN: 0
; COMPUTE_PGM_RSRC2:TIDIG_COMP_CNT: 0
; COMPUTE_PGM_RSRC3_GFX90A:ACCUM_OFFSET: 0
; COMPUTE_PGM_RSRC3_GFX90A:TG_SPLIT: 0
	.section	.text._ZN7rocprim17ROCPRIM_400000_NS6detail17trampoline_kernelINS0_14default_configENS1_20scan_config_selectorItEEZZNS1_9scan_implILNS1_25lookback_scan_determinismE0ELb0ELb0ES3_N6thrust23THRUST_200600_302600_NS6detail15normal_iteratorINS9_10device_ptrItEEEENS9_16discard_iteratorINS9_11use_defaultEEEt11max_functorItEtEEDaPvRmT3_T4_T5_mT6_P12ihipStream_tbENKUlT_T0_E_clISt17integral_constantIbLb1EESX_EEDaSS_ST_EUlSS_E_NS1_11comp_targetILNS1_3genE10ELNS1_11target_archE1201ELNS1_3gpuE5ELNS1_3repE0EEENS1_30default_config_static_selectorELNS0_4arch9wavefront6targetE1EEEvT1_,"axG",@progbits,_ZN7rocprim17ROCPRIM_400000_NS6detail17trampoline_kernelINS0_14default_configENS1_20scan_config_selectorItEEZZNS1_9scan_implILNS1_25lookback_scan_determinismE0ELb0ELb0ES3_N6thrust23THRUST_200600_302600_NS6detail15normal_iteratorINS9_10device_ptrItEEEENS9_16discard_iteratorINS9_11use_defaultEEEt11max_functorItEtEEDaPvRmT3_T4_T5_mT6_P12ihipStream_tbENKUlT_T0_E_clISt17integral_constantIbLb1EESX_EEDaSS_ST_EUlSS_E_NS1_11comp_targetILNS1_3genE10ELNS1_11target_archE1201ELNS1_3gpuE5ELNS1_3repE0EEENS1_30default_config_static_selectorELNS0_4arch9wavefront6targetE1EEEvT1_,comdat
	.protected	_ZN7rocprim17ROCPRIM_400000_NS6detail17trampoline_kernelINS0_14default_configENS1_20scan_config_selectorItEEZZNS1_9scan_implILNS1_25lookback_scan_determinismE0ELb0ELb0ES3_N6thrust23THRUST_200600_302600_NS6detail15normal_iteratorINS9_10device_ptrItEEEENS9_16discard_iteratorINS9_11use_defaultEEEt11max_functorItEtEEDaPvRmT3_T4_T5_mT6_P12ihipStream_tbENKUlT_T0_E_clISt17integral_constantIbLb1EESX_EEDaSS_ST_EUlSS_E_NS1_11comp_targetILNS1_3genE10ELNS1_11target_archE1201ELNS1_3gpuE5ELNS1_3repE0EEENS1_30default_config_static_selectorELNS0_4arch9wavefront6targetE1EEEvT1_ ; -- Begin function _ZN7rocprim17ROCPRIM_400000_NS6detail17trampoline_kernelINS0_14default_configENS1_20scan_config_selectorItEEZZNS1_9scan_implILNS1_25lookback_scan_determinismE0ELb0ELb0ES3_N6thrust23THRUST_200600_302600_NS6detail15normal_iteratorINS9_10device_ptrItEEEENS9_16discard_iteratorINS9_11use_defaultEEEt11max_functorItEtEEDaPvRmT3_T4_T5_mT6_P12ihipStream_tbENKUlT_T0_E_clISt17integral_constantIbLb1EESX_EEDaSS_ST_EUlSS_E_NS1_11comp_targetILNS1_3genE10ELNS1_11target_archE1201ELNS1_3gpuE5ELNS1_3repE0EEENS1_30default_config_static_selectorELNS0_4arch9wavefront6targetE1EEEvT1_
	.globl	_ZN7rocprim17ROCPRIM_400000_NS6detail17trampoline_kernelINS0_14default_configENS1_20scan_config_selectorItEEZZNS1_9scan_implILNS1_25lookback_scan_determinismE0ELb0ELb0ES3_N6thrust23THRUST_200600_302600_NS6detail15normal_iteratorINS9_10device_ptrItEEEENS9_16discard_iteratorINS9_11use_defaultEEEt11max_functorItEtEEDaPvRmT3_T4_T5_mT6_P12ihipStream_tbENKUlT_T0_E_clISt17integral_constantIbLb1EESX_EEDaSS_ST_EUlSS_E_NS1_11comp_targetILNS1_3genE10ELNS1_11target_archE1201ELNS1_3gpuE5ELNS1_3repE0EEENS1_30default_config_static_selectorELNS0_4arch9wavefront6targetE1EEEvT1_
	.p2align	8
	.type	_ZN7rocprim17ROCPRIM_400000_NS6detail17trampoline_kernelINS0_14default_configENS1_20scan_config_selectorItEEZZNS1_9scan_implILNS1_25lookback_scan_determinismE0ELb0ELb0ES3_N6thrust23THRUST_200600_302600_NS6detail15normal_iteratorINS9_10device_ptrItEEEENS9_16discard_iteratorINS9_11use_defaultEEEt11max_functorItEtEEDaPvRmT3_T4_T5_mT6_P12ihipStream_tbENKUlT_T0_E_clISt17integral_constantIbLb1EESX_EEDaSS_ST_EUlSS_E_NS1_11comp_targetILNS1_3genE10ELNS1_11target_archE1201ELNS1_3gpuE5ELNS1_3repE0EEENS1_30default_config_static_selectorELNS0_4arch9wavefront6targetE1EEEvT1_,@function
_ZN7rocprim17ROCPRIM_400000_NS6detail17trampoline_kernelINS0_14default_configENS1_20scan_config_selectorItEEZZNS1_9scan_implILNS1_25lookback_scan_determinismE0ELb0ELb0ES3_N6thrust23THRUST_200600_302600_NS6detail15normal_iteratorINS9_10device_ptrItEEEENS9_16discard_iteratorINS9_11use_defaultEEEt11max_functorItEtEEDaPvRmT3_T4_T5_mT6_P12ihipStream_tbENKUlT_T0_E_clISt17integral_constantIbLb1EESX_EEDaSS_ST_EUlSS_E_NS1_11comp_targetILNS1_3genE10ELNS1_11target_archE1201ELNS1_3gpuE5ELNS1_3repE0EEENS1_30default_config_static_selectorELNS0_4arch9wavefront6targetE1EEEvT1_: ; @_ZN7rocprim17ROCPRIM_400000_NS6detail17trampoline_kernelINS0_14default_configENS1_20scan_config_selectorItEEZZNS1_9scan_implILNS1_25lookback_scan_determinismE0ELb0ELb0ES3_N6thrust23THRUST_200600_302600_NS6detail15normal_iteratorINS9_10device_ptrItEEEENS9_16discard_iteratorINS9_11use_defaultEEEt11max_functorItEtEEDaPvRmT3_T4_T5_mT6_P12ihipStream_tbENKUlT_T0_E_clISt17integral_constantIbLb1EESX_EEDaSS_ST_EUlSS_E_NS1_11comp_targetILNS1_3genE10ELNS1_11target_archE1201ELNS1_3gpuE5ELNS1_3repE0EEENS1_30default_config_static_selectorELNS0_4arch9wavefront6targetE1EEEvT1_
; %bb.0:
	.section	.rodata,"a",@progbits
	.p2align	6, 0x0
	.amdhsa_kernel _ZN7rocprim17ROCPRIM_400000_NS6detail17trampoline_kernelINS0_14default_configENS1_20scan_config_selectorItEEZZNS1_9scan_implILNS1_25lookback_scan_determinismE0ELb0ELb0ES3_N6thrust23THRUST_200600_302600_NS6detail15normal_iteratorINS9_10device_ptrItEEEENS9_16discard_iteratorINS9_11use_defaultEEEt11max_functorItEtEEDaPvRmT3_T4_T5_mT6_P12ihipStream_tbENKUlT_T0_E_clISt17integral_constantIbLb1EESX_EEDaSS_ST_EUlSS_E_NS1_11comp_targetILNS1_3genE10ELNS1_11target_archE1201ELNS1_3gpuE5ELNS1_3repE0EEENS1_30default_config_static_selectorELNS0_4arch9wavefront6targetE1EEEvT1_
		.amdhsa_group_segment_fixed_size 0
		.amdhsa_private_segment_fixed_size 0
		.amdhsa_kernarg_size 104
		.amdhsa_user_sgpr_count 6
		.amdhsa_user_sgpr_private_segment_buffer 1
		.amdhsa_user_sgpr_dispatch_ptr 0
		.amdhsa_user_sgpr_queue_ptr 0
		.amdhsa_user_sgpr_kernarg_segment_ptr 1
		.amdhsa_user_sgpr_dispatch_id 0
		.amdhsa_user_sgpr_flat_scratch_init 0
		.amdhsa_user_sgpr_kernarg_preload_length 0
		.amdhsa_user_sgpr_kernarg_preload_offset 0
		.amdhsa_user_sgpr_private_segment_size 0
		.amdhsa_uses_dynamic_stack 0
		.amdhsa_system_sgpr_private_segment_wavefront_offset 0
		.amdhsa_system_sgpr_workgroup_id_x 1
		.amdhsa_system_sgpr_workgroup_id_y 0
		.amdhsa_system_sgpr_workgroup_id_z 0
		.amdhsa_system_sgpr_workgroup_info 0
		.amdhsa_system_vgpr_workitem_id 0
		.amdhsa_next_free_vgpr 1
		.amdhsa_next_free_sgpr 0
		.amdhsa_accum_offset 4
		.amdhsa_reserve_vcc 0
		.amdhsa_reserve_flat_scratch 0
		.amdhsa_float_round_mode_32 0
		.amdhsa_float_round_mode_16_64 0
		.amdhsa_float_denorm_mode_32 3
		.amdhsa_float_denorm_mode_16_64 3
		.amdhsa_dx10_clamp 1
		.amdhsa_ieee_mode 1
		.amdhsa_fp16_overflow 0
		.amdhsa_tg_split 0
		.amdhsa_exception_fp_ieee_invalid_op 0
		.amdhsa_exception_fp_denorm_src 0
		.amdhsa_exception_fp_ieee_div_zero 0
		.amdhsa_exception_fp_ieee_overflow 0
		.amdhsa_exception_fp_ieee_underflow 0
		.amdhsa_exception_fp_ieee_inexact 0
		.amdhsa_exception_int_div_zero 0
	.end_amdhsa_kernel
	.section	.text._ZN7rocprim17ROCPRIM_400000_NS6detail17trampoline_kernelINS0_14default_configENS1_20scan_config_selectorItEEZZNS1_9scan_implILNS1_25lookback_scan_determinismE0ELb0ELb0ES3_N6thrust23THRUST_200600_302600_NS6detail15normal_iteratorINS9_10device_ptrItEEEENS9_16discard_iteratorINS9_11use_defaultEEEt11max_functorItEtEEDaPvRmT3_T4_T5_mT6_P12ihipStream_tbENKUlT_T0_E_clISt17integral_constantIbLb1EESX_EEDaSS_ST_EUlSS_E_NS1_11comp_targetILNS1_3genE10ELNS1_11target_archE1201ELNS1_3gpuE5ELNS1_3repE0EEENS1_30default_config_static_selectorELNS0_4arch9wavefront6targetE1EEEvT1_,"axG",@progbits,_ZN7rocprim17ROCPRIM_400000_NS6detail17trampoline_kernelINS0_14default_configENS1_20scan_config_selectorItEEZZNS1_9scan_implILNS1_25lookback_scan_determinismE0ELb0ELb0ES3_N6thrust23THRUST_200600_302600_NS6detail15normal_iteratorINS9_10device_ptrItEEEENS9_16discard_iteratorINS9_11use_defaultEEEt11max_functorItEtEEDaPvRmT3_T4_T5_mT6_P12ihipStream_tbENKUlT_T0_E_clISt17integral_constantIbLb1EESX_EEDaSS_ST_EUlSS_E_NS1_11comp_targetILNS1_3genE10ELNS1_11target_archE1201ELNS1_3gpuE5ELNS1_3repE0EEENS1_30default_config_static_selectorELNS0_4arch9wavefront6targetE1EEEvT1_,comdat
.Lfunc_end3589:
	.size	_ZN7rocprim17ROCPRIM_400000_NS6detail17trampoline_kernelINS0_14default_configENS1_20scan_config_selectorItEEZZNS1_9scan_implILNS1_25lookback_scan_determinismE0ELb0ELb0ES3_N6thrust23THRUST_200600_302600_NS6detail15normal_iteratorINS9_10device_ptrItEEEENS9_16discard_iteratorINS9_11use_defaultEEEt11max_functorItEtEEDaPvRmT3_T4_T5_mT6_P12ihipStream_tbENKUlT_T0_E_clISt17integral_constantIbLb1EESX_EEDaSS_ST_EUlSS_E_NS1_11comp_targetILNS1_3genE10ELNS1_11target_archE1201ELNS1_3gpuE5ELNS1_3repE0EEENS1_30default_config_static_selectorELNS0_4arch9wavefront6targetE1EEEvT1_, .Lfunc_end3589-_ZN7rocprim17ROCPRIM_400000_NS6detail17trampoline_kernelINS0_14default_configENS1_20scan_config_selectorItEEZZNS1_9scan_implILNS1_25lookback_scan_determinismE0ELb0ELb0ES3_N6thrust23THRUST_200600_302600_NS6detail15normal_iteratorINS9_10device_ptrItEEEENS9_16discard_iteratorINS9_11use_defaultEEEt11max_functorItEtEEDaPvRmT3_T4_T5_mT6_P12ihipStream_tbENKUlT_T0_E_clISt17integral_constantIbLb1EESX_EEDaSS_ST_EUlSS_E_NS1_11comp_targetILNS1_3genE10ELNS1_11target_archE1201ELNS1_3gpuE5ELNS1_3repE0EEENS1_30default_config_static_selectorELNS0_4arch9wavefront6targetE1EEEvT1_
                                        ; -- End function
	.section	.AMDGPU.csdata,"",@progbits
; Kernel info:
; codeLenInByte = 0
; NumSgprs: 4
; NumVgprs: 0
; NumAgprs: 0
; TotalNumVgprs: 0
; ScratchSize: 0
; MemoryBound: 0
; FloatMode: 240
; IeeeMode: 1
; LDSByteSize: 0 bytes/workgroup (compile time only)
; SGPRBlocks: 0
; VGPRBlocks: 0
; NumSGPRsForWavesPerEU: 4
; NumVGPRsForWavesPerEU: 1
; AccumOffset: 4
; Occupancy: 8
; WaveLimiterHint : 0
; COMPUTE_PGM_RSRC2:SCRATCH_EN: 0
; COMPUTE_PGM_RSRC2:USER_SGPR: 6
; COMPUTE_PGM_RSRC2:TRAP_HANDLER: 0
; COMPUTE_PGM_RSRC2:TGID_X_EN: 1
; COMPUTE_PGM_RSRC2:TGID_Y_EN: 0
; COMPUTE_PGM_RSRC2:TGID_Z_EN: 0
; COMPUTE_PGM_RSRC2:TIDIG_COMP_CNT: 0
; COMPUTE_PGM_RSRC3_GFX90A:ACCUM_OFFSET: 0
; COMPUTE_PGM_RSRC3_GFX90A:TG_SPLIT: 0
	.section	.text._ZN7rocprim17ROCPRIM_400000_NS6detail17trampoline_kernelINS0_14default_configENS1_20scan_config_selectorItEEZZNS1_9scan_implILNS1_25lookback_scan_determinismE0ELb0ELb0ES3_N6thrust23THRUST_200600_302600_NS6detail15normal_iteratorINS9_10device_ptrItEEEENS9_16discard_iteratorINS9_11use_defaultEEEt11max_functorItEtEEDaPvRmT3_T4_T5_mT6_P12ihipStream_tbENKUlT_T0_E_clISt17integral_constantIbLb1EESX_EEDaSS_ST_EUlSS_E_NS1_11comp_targetILNS1_3genE10ELNS1_11target_archE1200ELNS1_3gpuE4ELNS1_3repE0EEENS1_30default_config_static_selectorELNS0_4arch9wavefront6targetE1EEEvT1_,"axG",@progbits,_ZN7rocprim17ROCPRIM_400000_NS6detail17trampoline_kernelINS0_14default_configENS1_20scan_config_selectorItEEZZNS1_9scan_implILNS1_25lookback_scan_determinismE0ELb0ELb0ES3_N6thrust23THRUST_200600_302600_NS6detail15normal_iteratorINS9_10device_ptrItEEEENS9_16discard_iteratorINS9_11use_defaultEEEt11max_functorItEtEEDaPvRmT3_T4_T5_mT6_P12ihipStream_tbENKUlT_T0_E_clISt17integral_constantIbLb1EESX_EEDaSS_ST_EUlSS_E_NS1_11comp_targetILNS1_3genE10ELNS1_11target_archE1200ELNS1_3gpuE4ELNS1_3repE0EEENS1_30default_config_static_selectorELNS0_4arch9wavefront6targetE1EEEvT1_,comdat
	.protected	_ZN7rocprim17ROCPRIM_400000_NS6detail17trampoline_kernelINS0_14default_configENS1_20scan_config_selectorItEEZZNS1_9scan_implILNS1_25lookback_scan_determinismE0ELb0ELb0ES3_N6thrust23THRUST_200600_302600_NS6detail15normal_iteratorINS9_10device_ptrItEEEENS9_16discard_iteratorINS9_11use_defaultEEEt11max_functorItEtEEDaPvRmT3_T4_T5_mT6_P12ihipStream_tbENKUlT_T0_E_clISt17integral_constantIbLb1EESX_EEDaSS_ST_EUlSS_E_NS1_11comp_targetILNS1_3genE10ELNS1_11target_archE1200ELNS1_3gpuE4ELNS1_3repE0EEENS1_30default_config_static_selectorELNS0_4arch9wavefront6targetE1EEEvT1_ ; -- Begin function _ZN7rocprim17ROCPRIM_400000_NS6detail17trampoline_kernelINS0_14default_configENS1_20scan_config_selectorItEEZZNS1_9scan_implILNS1_25lookback_scan_determinismE0ELb0ELb0ES3_N6thrust23THRUST_200600_302600_NS6detail15normal_iteratorINS9_10device_ptrItEEEENS9_16discard_iteratorINS9_11use_defaultEEEt11max_functorItEtEEDaPvRmT3_T4_T5_mT6_P12ihipStream_tbENKUlT_T0_E_clISt17integral_constantIbLb1EESX_EEDaSS_ST_EUlSS_E_NS1_11comp_targetILNS1_3genE10ELNS1_11target_archE1200ELNS1_3gpuE4ELNS1_3repE0EEENS1_30default_config_static_selectorELNS0_4arch9wavefront6targetE1EEEvT1_
	.globl	_ZN7rocprim17ROCPRIM_400000_NS6detail17trampoline_kernelINS0_14default_configENS1_20scan_config_selectorItEEZZNS1_9scan_implILNS1_25lookback_scan_determinismE0ELb0ELb0ES3_N6thrust23THRUST_200600_302600_NS6detail15normal_iteratorINS9_10device_ptrItEEEENS9_16discard_iteratorINS9_11use_defaultEEEt11max_functorItEtEEDaPvRmT3_T4_T5_mT6_P12ihipStream_tbENKUlT_T0_E_clISt17integral_constantIbLb1EESX_EEDaSS_ST_EUlSS_E_NS1_11comp_targetILNS1_3genE10ELNS1_11target_archE1200ELNS1_3gpuE4ELNS1_3repE0EEENS1_30default_config_static_selectorELNS0_4arch9wavefront6targetE1EEEvT1_
	.p2align	8
	.type	_ZN7rocprim17ROCPRIM_400000_NS6detail17trampoline_kernelINS0_14default_configENS1_20scan_config_selectorItEEZZNS1_9scan_implILNS1_25lookback_scan_determinismE0ELb0ELb0ES3_N6thrust23THRUST_200600_302600_NS6detail15normal_iteratorINS9_10device_ptrItEEEENS9_16discard_iteratorINS9_11use_defaultEEEt11max_functorItEtEEDaPvRmT3_T4_T5_mT6_P12ihipStream_tbENKUlT_T0_E_clISt17integral_constantIbLb1EESX_EEDaSS_ST_EUlSS_E_NS1_11comp_targetILNS1_3genE10ELNS1_11target_archE1200ELNS1_3gpuE4ELNS1_3repE0EEENS1_30default_config_static_selectorELNS0_4arch9wavefront6targetE1EEEvT1_,@function
_ZN7rocprim17ROCPRIM_400000_NS6detail17trampoline_kernelINS0_14default_configENS1_20scan_config_selectorItEEZZNS1_9scan_implILNS1_25lookback_scan_determinismE0ELb0ELb0ES3_N6thrust23THRUST_200600_302600_NS6detail15normal_iteratorINS9_10device_ptrItEEEENS9_16discard_iteratorINS9_11use_defaultEEEt11max_functorItEtEEDaPvRmT3_T4_T5_mT6_P12ihipStream_tbENKUlT_T0_E_clISt17integral_constantIbLb1EESX_EEDaSS_ST_EUlSS_E_NS1_11comp_targetILNS1_3genE10ELNS1_11target_archE1200ELNS1_3gpuE4ELNS1_3repE0EEENS1_30default_config_static_selectorELNS0_4arch9wavefront6targetE1EEEvT1_: ; @_ZN7rocprim17ROCPRIM_400000_NS6detail17trampoline_kernelINS0_14default_configENS1_20scan_config_selectorItEEZZNS1_9scan_implILNS1_25lookback_scan_determinismE0ELb0ELb0ES3_N6thrust23THRUST_200600_302600_NS6detail15normal_iteratorINS9_10device_ptrItEEEENS9_16discard_iteratorINS9_11use_defaultEEEt11max_functorItEtEEDaPvRmT3_T4_T5_mT6_P12ihipStream_tbENKUlT_T0_E_clISt17integral_constantIbLb1EESX_EEDaSS_ST_EUlSS_E_NS1_11comp_targetILNS1_3genE10ELNS1_11target_archE1200ELNS1_3gpuE4ELNS1_3repE0EEENS1_30default_config_static_selectorELNS0_4arch9wavefront6targetE1EEEvT1_
; %bb.0:
	.section	.rodata,"a",@progbits
	.p2align	6, 0x0
	.amdhsa_kernel _ZN7rocprim17ROCPRIM_400000_NS6detail17trampoline_kernelINS0_14default_configENS1_20scan_config_selectorItEEZZNS1_9scan_implILNS1_25lookback_scan_determinismE0ELb0ELb0ES3_N6thrust23THRUST_200600_302600_NS6detail15normal_iteratorINS9_10device_ptrItEEEENS9_16discard_iteratorINS9_11use_defaultEEEt11max_functorItEtEEDaPvRmT3_T4_T5_mT6_P12ihipStream_tbENKUlT_T0_E_clISt17integral_constantIbLb1EESX_EEDaSS_ST_EUlSS_E_NS1_11comp_targetILNS1_3genE10ELNS1_11target_archE1200ELNS1_3gpuE4ELNS1_3repE0EEENS1_30default_config_static_selectorELNS0_4arch9wavefront6targetE1EEEvT1_
		.amdhsa_group_segment_fixed_size 0
		.amdhsa_private_segment_fixed_size 0
		.amdhsa_kernarg_size 104
		.amdhsa_user_sgpr_count 6
		.amdhsa_user_sgpr_private_segment_buffer 1
		.amdhsa_user_sgpr_dispatch_ptr 0
		.amdhsa_user_sgpr_queue_ptr 0
		.amdhsa_user_sgpr_kernarg_segment_ptr 1
		.amdhsa_user_sgpr_dispatch_id 0
		.amdhsa_user_sgpr_flat_scratch_init 0
		.amdhsa_user_sgpr_kernarg_preload_length 0
		.amdhsa_user_sgpr_kernarg_preload_offset 0
		.amdhsa_user_sgpr_private_segment_size 0
		.amdhsa_uses_dynamic_stack 0
		.amdhsa_system_sgpr_private_segment_wavefront_offset 0
		.amdhsa_system_sgpr_workgroup_id_x 1
		.amdhsa_system_sgpr_workgroup_id_y 0
		.amdhsa_system_sgpr_workgroup_id_z 0
		.amdhsa_system_sgpr_workgroup_info 0
		.amdhsa_system_vgpr_workitem_id 0
		.amdhsa_next_free_vgpr 1
		.amdhsa_next_free_sgpr 0
		.amdhsa_accum_offset 4
		.amdhsa_reserve_vcc 0
		.amdhsa_reserve_flat_scratch 0
		.amdhsa_float_round_mode_32 0
		.amdhsa_float_round_mode_16_64 0
		.amdhsa_float_denorm_mode_32 3
		.amdhsa_float_denorm_mode_16_64 3
		.amdhsa_dx10_clamp 1
		.amdhsa_ieee_mode 1
		.amdhsa_fp16_overflow 0
		.amdhsa_tg_split 0
		.amdhsa_exception_fp_ieee_invalid_op 0
		.amdhsa_exception_fp_denorm_src 0
		.amdhsa_exception_fp_ieee_div_zero 0
		.amdhsa_exception_fp_ieee_overflow 0
		.amdhsa_exception_fp_ieee_underflow 0
		.amdhsa_exception_fp_ieee_inexact 0
		.amdhsa_exception_int_div_zero 0
	.end_amdhsa_kernel
	.section	.text._ZN7rocprim17ROCPRIM_400000_NS6detail17trampoline_kernelINS0_14default_configENS1_20scan_config_selectorItEEZZNS1_9scan_implILNS1_25lookback_scan_determinismE0ELb0ELb0ES3_N6thrust23THRUST_200600_302600_NS6detail15normal_iteratorINS9_10device_ptrItEEEENS9_16discard_iteratorINS9_11use_defaultEEEt11max_functorItEtEEDaPvRmT3_T4_T5_mT6_P12ihipStream_tbENKUlT_T0_E_clISt17integral_constantIbLb1EESX_EEDaSS_ST_EUlSS_E_NS1_11comp_targetILNS1_3genE10ELNS1_11target_archE1200ELNS1_3gpuE4ELNS1_3repE0EEENS1_30default_config_static_selectorELNS0_4arch9wavefront6targetE1EEEvT1_,"axG",@progbits,_ZN7rocprim17ROCPRIM_400000_NS6detail17trampoline_kernelINS0_14default_configENS1_20scan_config_selectorItEEZZNS1_9scan_implILNS1_25lookback_scan_determinismE0ELb0ELb0ES3_N6thrust23THRUST_200600_302600_NS6detail15normal_iteratorINS9_10device_ptrItEEEENS9_16discard_iteratorINS9_11use_defaultEEEt11max_functorItEtEEDaPvRmT3_T4_T5_mT6_P12ihipStream_tbENKUlT_T0_E_clISt17integral_constantIbLb1EESX_EEDaSS_ST_EUlSS_E_NS1_11comp_targetILNS1_3genE10ELNS1_11target_archE1200ELNS1_3gpuE4ELNS1_3repE0EEENS1_30default_config_static_selectorELNS0_4arch9wavefront6targetE1EEEvT1_,comdat
.Lfunc_end3590:
	.size	_ZN7rocprim17ROCPRIM_400000_NS6detail17trampoline_kernelINS0_14default_configENS1_20scan_config_selectorItEEZZNS1_9scan_implILNS1_25lookback_scan_determinismE0ELb0ELb0ES3_N6thrust23THRUST_200600_302600_NS6detail15normal_iteratorINS9_10device_ptrItEEEENS9_16discard_iteratorINS9_11use_defaultEEEt11max_functorItEtEEDaPvRmT3_T4_T5_mT6_P12ihipStream_tbENKUlT_T0_E_clISt17integral_constantIbLb1EESX_EEDaSS_ST_EUlSS_E_NS1_11comp_targetILNS1_3genE10ELNS1_11target_archE1200ELNS1_3gpuE4ELNS1_3repE0EEENS1_30default_config_static_selectorELNS0_4arch9wavefront6targetE1EEEvT1_, .Lfunc_end3590-_ZN7rocprim17ROCPRIM_400000_NS6detail17trampoline_kernelINS0_14default_configENS1_20scan_config_selectorItEEZZNS1_9scan_implILNS1_25lookback_scan_determinismE0ELb0ELb0ES3_N6thrust23THRUST_200600_302600_NS6detail15normal_iteratorINS9_10device_ptrItEEEENS9_16discard_iteratorINS9_11use_defaultEEEt11max_functorItEtEEDaPvRmT3_T4_T5_mT6_P12ihipStream_tbENKUlT_T0_E_clISt17integral_constantIbLb1EESX_EEDaSS_ST_EUlSS_E_NS1_11comp_targetILNS1_3genE10ELNS1_11target_archE1200ELNS1_3gpuE4ELNS1_3repE0EEENS1_30default_config_static_selectorELNS0_4arch9wavefront6targetE1EEEvT1_
                                        ; -- End function
	.section	.AMDGPU.csdata,"",@progbits
; Kernel info:
; codeLenInByte = 0
; NumSgprs: 4
; NumVgprs: 0
; NumAgprs: 0
; TotalNumVgprs: 0
; ScratchSize: 0
; MemoryBound: 0
; FloatMode: 240
; IeeeMode: 1
; LDSByteSize: 0 bytes/workgroup (compile time only)
; SGPRBlocks: 0
; VGPRBlocks: 0
; NumSGPRsForWavesPerEU: 4
; NumVGPRsForWavesPerEU: 1
; AccumOffset: 4
; Occupancy: 8
; WaveLimiterHint : 0
; COMPUTE_PGM_RSRC2:SCRATCH_EN: 0
; COMPUTE_PGM_RSRC2:USER_SGPR: 6
; COMPUTE_PGM_RSRC2:TRAP_HANDLER: 0
; COMPUTE_PGM_RSRC2:TGID_X_EN: 1
; COMPUTE_PGM_RSRC2:TGID_Y_EN: 0
; COMPUTE_PGM_RSRC2:TGID_Z_EN: 0
; COMPUTE_PGM_RSRC2:TIDIG_COMP_CNT: 0
; COMPUTE_PGM_RSRC3_GFX90A:ACCUM_OFFSET: 0
; COMPUTE_PGM_RSRC3_GFX90A:TG_SPLIT: 0
	.section	.text._ZN7rocprim17ROCPRIM_400000_NS6detail17trampoline_kernelINS0_14default_configENS1_20scan_config_selectorItEEZZNS1_9scan_implILNS1_25lookback_scan_determinismE0ELb0ELb0ES3_N6thrust23THRUST_200600_302600_NS6detail15normal_iteratorINS9_10device_ptrItEEEENS9_16discard_iteratorINS9_11use_defaultEEEt11max_functorItEtEEDaPvRmT3_T4_T5_mT6_P12ihipStream_tbENKUlT_T0_E_clISt17integral_constantIbLb1EESX_EEDaSS_ST_EUlSS_E_NS1_11comp_targetILNS1_3genE9ELNS1_11target_archE1100ELNS1_3gpuE3ELNS1_3repE0EEENS1_30default_config_static_selectorELNS0_4arch9wavefront6targetE1EEEvT1_,"axG",@progbits,_ZN7rocprim17ROCPRIM_400000_NS6detail17trampoline_kernelINS0_14default_configENS1_20scan_config_selectorItEEZZNS1_9scan_implILNS1_25lookback_scan_determinismE0ELb0ELb0ES3_N6thrust23THRUST_200600_302600_NS6detail15normal_iteratorINS9_10device_ptrItEEEENS9_16discard_iteratorINS9_11use_defaultEEEt11max_functorItEtEEDaPvRmT3_T4_T5_mT6_P12ihipStream_tbENKUlT_T0_E_clISt17integral_constantIbLb1EESX_EEDaSS_ST_EUlSS_E_NS1_11comp_targetILNS1_3genE9ELNS1_11target_archE1100ELNS1_3gpuE3ELNS1_3repE0EEENS1_30default_config_static_selectorELNS0_4arch9wavefront6targetE1EEEvT1_,comdat
	.protected	_ZN7rocprim17ROCPRIM_400000_NS6detail17trampoline_kernelINS0_14default_configENS1_20scan_config_selectorItEEZZNS1_9scan_implILNS1_25lookback_scan_determinismE0ELb0ELb0ES3_N6thrust23THRUST_200600_302600_NS6detail15normal_iteratorINS9_10device_ptrItEEEENS9_16discard_iteratorINS9_11use_defaultEEEt11max_functorItEtEEDaPvRmT3_T4_T5_mT6_P12ihipStream_tbENKUlT_T0_E_clISt17integral_constantIbLb1EESX_EEDaSS_ST_EUlSS_E_NS1_11comp_targetILNS1_3genE9ELNS1_11target_archE1100ELNS1_3gpuE3ELNS1_3repE0EEENS1_30default_config_static_selectorELNS0_4arch9wavefront6targetE1EEEvT1_ ; -- Begin function _ZN7rocprim17ROCPRIM_400000_NS6detail17trampoline_kernelINS0_14default_configENS1_20scan_config_selectorItEEZZNS1_9scan_implILNS1_25lookback_scan_determinismE0ELb0ELb0ES3_N6thrust23THRUST_200600_302600_NS6detail15normal_iteratorINS9_10device_ptrItEEEENS9_16discard_iteratorINS9_11use_defaultEEEt11max_functorItEtEEDaPvRmT3_T4_T5_mT6_P12ihipStream_tbENKUlT_T0_E_clISt17integral_constantIbLb1EESX_EEDaSS_ST_EUlSS_E_NS1_11comp_targetILNS1_3genE9ELNS1_11target_archE1100ELNS1_3gpuE3ELNS1_3repE0EEENS1_30default_config_static_selectorELNS0_4arch9wavefront6targetE1EEEvT1_
	.globl	_ZN7rocprim17ROCPRIM_400000_NS6detail17trampoline_kernelINS0_14default_configENS1_20scan_config_selectorItEEZZNS1_9scan_implILNS1_25lookback_scan_determinismE0ELb0ELb0ES3_N6thrust23THRUST_200600_302600_NS6detail15normal_iteratorINS9_10device_ptrItEEEENS9_16discard_iteratorINS9_11use_defaultEEEt11max_functorItEtEEDaPvRmT3_T4_T5_mT6_P12ihipStream_tbENKUlT_T0_E_clISt17integral_constantIbLb1EESX_EEDaSS_ST_EUlSS_E_NS1_11comp_targetILNS1_3genE9ELNS1_11target_archE1100ELNS1_3gpuE3ELNS1_3repE0EEENS1_30default_config_static_selectorELNS0_4arch9wavefront6targetE1EEEvT1_
	.p2align	8
	.type	_ZN7rocprim17ROCPRIM_400000_NS6detail17trampoline_kernelINS0_14default_configENS1_20scan_config_selectorItEEZZNS1_9scan_implILNS1_25lookback_scan_determinismE0ELb0ELb0ES3_N6thrust23THRUST_200600_302600_NS6detail15normal_iteratorINS9_10device_ptrItEEEENS9_16discard_iteratorINS9_11use_defaultEEEt11max_functorItEtEEDaPvRmT3_T4_T5_mT6_P12ihipStream_tbENKUlT_T0_E_clISt17integral_constantIbLb1EESX_EEDaSS_ST_EUlSS_E_NS1_11comp_targetILNS1_3genE9ELNS1_11target_archE1100ELNS1_3gpuE3ELNS1_3repE0EEENS1_30default_config_static_selectorELNS0_4arch9wavefront6targetE1EEEvT1_,@function
_ZN7rocprim17ROCPRIM_400000_NS6detail17trampoline_kernelINS0_14default_configENS1_20scan_config_selectorItEEZZNS1_9scan_implILNS1_25lookback_scan_determinismE0ELb0ELb0ES3_N6thrust23THRUST_200600_302600_NS6detail15normal_iteratorINS9_10device_ptrItEEEENS9_16discard_iteratorINS9_11use_defaultEEEt11max_functorItEtEEDaPvRmT3_T4_T5_mT6_P12ihipStream_tbENKUlT_T0_E_clISt17integral_constantIbLb1EESX_EEDaSS_ST_EUlSS_E_NS1_11comp_targetILNS1_3genE9ELNS1_11target_archE1100ELNS1_3gpuE3ELNS1_3repE0EEENS1_30default_config_static_selectorELNS0_4arch9wavefront6targetE1EEEvT1_: ; @_ZN7rocprim17ROCPRIM_400000_NS6detail17trampoline_kernelINS0_14default_configENS1_20scan_config_selectorItEEZZNS1_9scan_implILNS1_25lookback_scan_determinismE0ELb0ELb0ES3_N6thrust23THRUST_200600_302600_NS6detail15normal_iteratorINS9_10device_ptrItEEEENS9_16discard_iteratorINS9_11use_defaultEEEt11max_functorItEtEEDaPvRmT3_T4_T5_mT6_P12ihipStream_tbENKUlT_T0_E_clISt17integral_constantIbLb1EESX_EEDaSS_ST_EUlSS_E_NS1_11comp_targetILNS1_3genE9ELNS1_11target_archE1100ELNS1_3gpuE3ELNS1_3repE0EEENS1_30default_config_static_selectorELNS0_4arch9wavefront6targetE1EEEvT1_
; %bb.0:
	.section	.rodata,"a",@progbits
	.p2align	6, 0x0
	.amdhsa_kernel _ZN7rocprim17ROCPRIM_400000_NS6detail17trampoline_kernelINS0_14default_configENS1_20scan_config_selectorItEEZZNS1_9scan_implILNS1_25lookback_scan_determinismE0ELb0ELb0ES3_N6thrust23THRUST_200600_302600_NS6detail15normal_iteratorINS9_10device_ptrItEEEENS9_16discard_iteratorINS9_11use_defaultEEEt11max_functorItEtEEDaPvRmT3_T4_T5_mT6_P12ihipStream_tbENKUlT_T0_E_clISt17integral_constantIbLb1EESX_EEDaSS_ST_EUlSS_E_NS1_11comp_targetILNS1_3genE9ELNS1_11target_archE1100ELNS1_3gpuE3ELNS1_3repE0EEENS1_30default_config_static_selectorELNS0_4arch9wavefront6targetE1EEEvT1_
		.amdhsa_group_segment_fixed_size 0
		.amdhsa_private_segment_fixed_size 0
		.amdhsa_kernarg_size 104
		.amdhsa_user_sgpr_count 6
		.amdhsa_user_sgpr_private_segment_buffer 1
		.amdhsa_user_sgpr_dispatch_ptr 0
		.amdhsa_user_sgpr_queue_ptr 0
		.amdhsa_user_sgpr_kernarg_segment_ptr 1
		.amdhsa_user_sgpr_dispatch_id 0
		.amdhsa_user_sgpr_flat_scratch_init 0
		.amdhsa_user_sgpr_kernarg_preload_length 0
		.amdhsa_user_sgpr_kernarg_preload_offset 0
		.amdhsa_user_sgpr_private_segment_size 0
		.amdhsa_uses_dynamic_stack 0
		.amdhsa_system_sgpr_private_segment_wavefront_offset 0
		.amdhsa_system_sgpr_workgroup_id_x 1
		.amdhsa_system_sgpr_workgroup_id_y 0
		.amdhsa_system_sgpr_workgroup_id_z 0
		.amdhsa_system_sgpr_workgroup_info 0
		.amdhsa_system_vgpr_workitem_id 0
		.amdhsa_next_free_vgpr 1
		.amdhsa_next_free_sgpr 0
		.amdhsa_accum_offset 4
		.amdhsa_reserve_vcc 0
		.amdhsa_reserve_flat_scratch 0
		.amdhsa_float_round_mode_32 0
		.amdhsa_float_round_mode_16_64 0
		.amdhsa_float_denorm_mode_32 3
		.amdhsa_float_denorm_mode_16_64 3
		.amdhsa_dx10_clamp 1
		.amdhsa_ieee_mode 1
		.amdhsa_fp16_overflow 0
		.amdhsa_tg_split 0
		.amdhsa_exception_fp_ieee_invalid_op 0
		.amdhsa_exception_fp_denorm_src 0
		.amdhsa_exception_fp_ieee_div_zero 0
		.amdhsa_exception_fp_ieee_overflow 0
		.amdhsa_exception_fp_ieee_underflow 0
		.amdhsa_exception_fp_ieee_inexact 0
		.amdhsa_exception_int_div_zero 0
	.end_amdhsa_kernel
	.section	.text._ZN7rocprim17ROCPRIM_400000_NS6detail17trampoline_kernelINS0_14default_configENS1_20scan_config_selectorItEEZZNS1_9scan_implILNS1_25lookback_scan_determinismE0ELb0ELb0ES3_N6thrust23THRUST_200600_302600_NS6detail15normal_iteratorINS9_10device_ptrItEEEENS9_16discard_iteratorINS9_11use_defaultEEEt11max_functorItEtEEDaPvRmT3_T4_T5_mT6_P12ihipStream_tbENKUlT_T0_E_clISt17integral_constantIbLb1EESX_EEDaSS_ST_EUlSS_E_NS1_11comp_targetILNS1_3genE9ELNS1_11target_archE1100ELNS1_3gpuE3ELNS1_3repE0EEENS1_30default_config_static_selectorELNS0_4arch9wavefront6targetE1EEEvT1_,"axG",@progbits,_ZN7rocprim17ROCPRIM_400000_NS6detail17trampoline_kernelINS0_14default_configENS1_20scan_config_selectorItEEZZNS1_9scan_implILNS1_25lookback_scan_determinismE0ELb0ELb0ES3_N6thrust23THRUST_200600_302600_NS6detail15normal_iteratorINS9_10device_ptrItEEEENS9_16discard_iteratorINS9_11use_defaultEEEt11max_functorItEtEEDaPvRmT3_T4_T5_mT6_P12ihipStream_tbENKUlT_T0_E_clISt17integral_constantIbLb1EESX_EEDaSS_ST_EUlSS_E_NS1_11comp_targetILNS1_3genE9ELNS1_11target_archE1100ELNS1_3gpuE3ELNS1_3repE0EEENS1_30default_config_static_selectorELNS0_4arch9wavefront6targetE1EEEvT1_,comdat
.Lfunc_end3591:
	.size	_ZN7rocprim17ROCPRIM_400000_NS6detail17trampoline_kernelINS0_14default_configENS1_20scan_config_selectorItEEZZNS1_9scan_implILNS1_25lookback_scan_determinismE0ELb0ELb0ES3_N6thrust23THRUST_200600_302600_NS6detail15normal_iteratorINS9_10device_ptrItEEEENS9_16discard_iteratorINS9_11use_defaultEEEt11max_functorItEtEEDaPvRmT3_T4_T5_mT6_P12ihipStream_tbENKUlT_T0_E_clISt17integral_constantIbLb1EESX_EEDaSS_ST_EUlSS_E_NS1_11comp_targetILNS1_3genE9ELNS1_11target_archE1100ELNS1_3gpuE3ELNS1_3repE0EEENS1_30default_config_static_selectorELNS0_4arch9wavefront6targetE1EEEvT1_, .Lfunc_end3591-_ZN7rocprim17ROCPRIM_400000_NS6detail17trampoline_kernelINS0_14default_configENS1_20scan_config_selectorItEEZZNS1_9scan_implILNS1_25lookback_scan_determinismE0ELb0ELb0ES3_N6thrust23THRUST_200600_302600_NS6detail15normal_iteratorINS9_10device_ptrItEEEENS9_16discard_iteratorINS9_11use_defaultEEEt11max_functorItEtEEDaPvRmT3_T4_T5_mT6_P12ihipStream_tbENKUlT_T0_E_clISt17integral_constantIbLb1EESX_EEDaSS_ST_EUlSS_E_NS1_11comp_targetILNS1_3genE9ELNS1_11target_archE1100ELNS1_3gpuE3ELNS1_3repE0EEENS1_30default_config_static_selectorELNS0_4arch9wavefront6targetE1EEEvT1_
                                        ; -- End function
	.section	.AMDGPU.csdata,"",@progbits
; Kernel info:
; codeLenInByte = 0
; NumSgprs: 4
; NumVgprs: 0
; NumAgprs: 0
; TotalNumVgprs: 0
; ScratchSize: 0
; MemoryBound: 0
; FloatMode: 240
; IeeeMode: 1
; LDSByteSize: 0 bytes/workgroup (compile time only)
; SGPRBlocks: 0
; VGPRBlocks: 0
; NumSGPRsForWavesPerEU: 4
; NumVGPRsForWavesPerEU: 1
; AccumOffset: 4
; Occupancy: 8
; WaveLimiterHint : 0
; COMPUTE_PGM_RSRC2:SCRATCH_EN: 0
; COMPUTE_PGM_RSRC2:USER_SGPR: 6
; COMPUTE_PGM_RSRC2:TRAP_HANDLER: 0
; COMPUTE_PGM_RSRC2:TGID_X_EN: 1
; COMPUTE_PGM_RSRC2:TGID_Y_EN: 0
; COMPUTE_PGM_RSRC2:TGID_Z_EN: 0
; COMPUTE_PGM_RSRC2:TIDIG_COMP_CNT: 0
; COMPUTE_PGM_RSRC3_GFX90A:ACCUM_OFFSET: 0
; COMPUTE_PGM_RSRC3_GFX90A:TG_SPLIT: 0
	.section	.text._ZN7rocprim17ROCPRIM_400000_NS6detail17trampoline_kernelINS0_14default_configENS1_20scan_config_selectorItEEZZNS1_9scan_implILNS1_25lookback_scan_determinismE0ELb0ELb0ES3_N6thrust23THRUST_200600_302600_NS6detail15normal_iteratorINS9_10device_ptrItEEEENS9_16discard_iteratorINS9_11use_defaultEEEt11max_functorItEtEEDaPvRmT3_T4_T5_mT6_P12ihipStream_tbENKUlT_T0_E_clISt17integral_constantIbLb1EESX_EEDaSS_ST_EUlSS_E_NS1_11comp_targetILNS1_3genE8ELNS1_11target_archE1030ELNS1_3gpuE2ELNS1_3repE0EEENS1_30default_config_static_selectorELNS0_4arch9wavefront6targetE1EEEvT1_,"axG",@progbits,_ZN7rocprim17ROCPRIM_400000_NS6detail17trampoline_kernelINS0_14default_configENS1_20scan_config_selectorItEEZZNS1_9scan_implILNS1_25lookback_scan_determinismE0ELb0ELb0ES3_N6thrust23THRUST_200600_302600_NS6detail15normal_iteratorINS9_10device_ptrItEEEENS9_16discard_iteratorINS9_11use_defaultEEEt11max_functorItEtEEDaPvRmT3_T4_T5_mT6_P12ihipStream_tbENKUlT_T0_E_clISt17integral_constantIbLb1EESX_EEDaSS_ST_EUlSS_E_NS1_11comp_targetILNS1_3genE8ELNS1_11target_archE1030ELNS1_3gpuE2ELNS1_3repE0EEENS1_30default_config_static_selectorELNS0_4arch9wavefront6targetE1EEEvT1_,comdat
	.protected	_ZN7rocprim17ROCPRIM_400000_NS6detail17trampoline_kernelINS0_14default_configENS1_20scan_config_selectorItEEZZNS1_9scan_implILNS1_25lookback_scan_determinismE0ELb0ELb0ES3_N6thrust23THRUST_200600_302600_NS6detail15normal_iteratorINS9_10device_ptrItEEEENS9_16discard_iteratorINS9_11use_defaultEEEt11max_functorItEtEEDaPvRmT3_T4_T5_mT6_P12ihipStream_tbENKUlT_T0_E_clISt17integral_constantIbLb1EESX_EEDaSS_ST_EUlSS_E_NS1_11comp_targetILNS1_3genE8ELNS1_11target_archE1030ELNS1_3gpuE2ELNS1_3repE0EEENS1_30default_config_static_selectorELNS0_4arch9wavefront6targetE1EEEvT1_ ; -- Begin function _ZN7rocprim17ROCPRIM_400000_NS6detail17trampoline_kernelINS0_14default_configENS1_20scan_config_selectorItEEZZNS1_9scan_implILNS1_25lookback_scan_determinismE0ELb0ELb0ES3_N6thrust23THRUST_200600_302600_NS6detail15normal_iteratorINS9_10device_ptrItEEEENS9_16discard_iteratorINS9_11use_defaultEEEt11max_functorItEtEEDaPvRmT3_T4_T5_mT6_P12ihipStream_tbENKUlT_T0_E_clISt17integral_constantIbLb1EESX_EEDaSS_ST_EUlSS_E_NS1_11comp_targetILNS1_3genE8ELNS1_11target_archE1030ELNS1_3gpuE2ELNS1_3repE0EEENS1_30default_config_static_selectorELNS0_4arch9wavefront6targetE1EEEvT1_
	.globl	_ZN7rocprim17ROCPRIM_400000_NS6detail17trampoline_kernelINS0_14default_configENS1_20scan_config_selectorItEEZZNS1_9scan_implILNS1_25lookback_scan_determinismE0ELb0ELb0ES3_N6thrust23THRUST_200600_302600_NS6detail15normal_iteratorINS9_10device_ptrItEEEENS9_16discard_iteratorINS9_11use_defaultEEEt11max_functorItEtEEDaPvRmT3_T4_T5_mT6_P12ihipStream_tbENKUlT_T0_E_clISt17integral_constantIbLb1EESX_EEDaSS_ST_EUlSS_E_NS1_11comp_targetILNS1_3genE8ELNS1_11target_archE1030ELNS1_3gpuE2ELNS1_3repE0EEENS1_30default_config_static_selectorELNS0_4arch9wavefront6targetE1EEEvT1_
	.p2align	8
	.type	_ZN7rocprim17ROCPRIM_400000_NS6detail17trampoline_kernelINS0_14default_configENS1_20scan_config_selectorItEEZZNS1_9scan_implILNS1_25lookback_scan_determinismE0ELb0ELb0ES3_N6thrust23THRUST_200600_302600_NS6detail15normal_iteratorINS9_10device_ptrItEEEENS9_16discard_iteratorINS9_11use_defaultEEEt11max_functorItEtEEDaPvRmT3_T4_T5_mT6_P12ihipStream_tbENKUlT_T0_E_clISt17integral_constantIbLb1EESX_EEDaSS_ST_EUlSS_E_NS1_11comp_targetILNS1_3genE8ELNS1_11target_archE1030ELNS1_3gpuE2ELNS1_3repE0EEENS1_30default_config_static_selectorELNS0_4arch9wavefront6targetE1EEEvT1_,@function
_ZN7rocprim17ROCPRIM_400000_NS6detail17trampoline_kernelINS0_14default_configENS1_20scan_config_selectorItEEZZNS1_9scan_implILNS1_25lookback_scan_determinismE0ELb0ELb0ES3_N6thrust23THRUST_200600_302600_NS6detail15normal_iteratorINS9_10device_ptrItEEEENS9_16discard_iteratorINS9_11use_defaultEEEt11max_functorItEtEEDaPvRmT3_T4_T5_mT6_P12ihipStream_tbENKUlT_T0_E_clISt17integral_constantIbLb1EESX_EEDaSS_ST_EUlSS_E_NS1_11comp_targetILNS1_3genE8ELNS1_11target_archE1030ELNS1_3gpuE2ELNS1_3repE0EEENS1_30default_config_static_selectorELNS0_4arch9wavefront6targetE1EEEvT1_: ; @_ZN7rocprim17ROCPRIM_400000_NS6detail17trampoline_kernelINS0_14default_configENS1_20scan_config_selectorItEEZZNS1_9scan_implILNS1_25lookback_scan_determinismE0ELb0ELb0ES3_N6thrust23THRUST_200600_302600_NS6detail15normal_iteratorINS9_10device_ptrItEEEENS9_16discard_iteratorINS9_11use_defaultEEEt11max_functorItEtEEDaPvRmT3_T4_T5_mT6_P12ihipStream_tbENKUlT_T0_E_clISt17integral_constantIbLb1EESX_EEDaSS_ST_EUlSS_E_NS1_11comp_targetILNS1_3genE8ELNS1_11target_archE1030ELNS1_3gpuE2ELNS1_3repE0EEENS1_30default_config_static_selectorELNS0_4arch9wavefront6targetE1EEEvT1_
; %bb.0:
	.section	.rodata,"a",@progbits
	.p2align	6, 0x0
	.amdhsa_kernel _ZN7rocprim17ROCPRIM_400000_NS6detail17trampoline_kernelINS0_14default_configENS1_20scan_config_selectorItEEZZNS1_9scan_implILNS1_25lookback_scan_determinismE0ELb0ELb0ES3_N6thrust23THRUST_200600_302600_NS6detail15normal_iteratorINS9_10device_ptrItEEEENS9_16discard_iteratorINS9_11use_defaultEEEt11max_functorItEtEEDaPvRmT3_T4_T5_mT6_P12ihipStream_tbENKUlT_T0_E_clISt17integral_constantIbLb1EESX_EEDaSS_ST_EUlSS_E_NS1_11comp_targetILNS1_3genE8ELNS1_11target_archE1030ELNS1_3gpuE2ELNS1_3repE0EEENS1_30default_config_static_selectorELNS0_4arch9wavefront6targetE1EEEvT1_
		.amdhsa_group_segment_fixed_size 0
		.amdhsa_private_segment_fixed_size 0
		.amdhsa_kernarg_size 104
		.amdhsa_user_sgpr_count 6
		.amdhsa_user_sgpr_private_segment_buffer 1
		.amdhsa_user_sgpr_dispatch_ptr 0
		.amdhsa_user_sgpr_queue_ptr 0
		.amdhsa_user_sgpr_kernarg_segment_ptr 1
		.amdhsa_user_sgpr_dispatch_id 0
		.amdhsa_user_sgpr_flat_scratch_init 0
		.amdhsa_user_sgpr_kernarg_preload_length 0
		.amdhsa_user_sgpr_kernarg_preload_offset 0
		.amdhsa_user_sgpr_private_segment_size 0
		.amdhsa_uses_dynamic_stack 0
		.amdhsa_system_sgpr_private_segment_wavefront_offset 0
		.amdhsa_system_sgpr_workgroup_id_x 1
		.amdhsa_system_sgpr_workgroup_id_y 0
		.amdhsa_system_sgpr_workgroup_id_z 0
		.amdhsa_system_sgpr_workgroup_info 0
		.amdhsa_system_vgpr_workitem_id 0
		.amdhsa_next_free_vgpr 1
		.amdhsa_next_free_sgpr 0
		.amdhsa_accum_offset 4
		.amdhsa_reserve_vcc 0
		.amdhsa_reserve_flat_scratch 0
		.amdhsa_float_round_mode_32 0
		.amdhsa_float_round_mode_16_64 0
		.amdhsa_float_denorm_mode_32 3
		.amdhsa_float_denorm_mode_16_64 3
		.amdhsa_dx10_clamp 1
		.amdhsa_ieee_mode 1
		.amdhsa_fp16_overflow 0
		.amdhsa_tg_split 0
		.amdhsa_exception_fp_ieee_invalid_op 0
		.amdhsa_exception_fp_denorm_src 0
		.amdhsa_exception_fp_ieee_div_zero 0
		.amdhsa_exception_fp_ieee_overflow 0
		.amdhsa_exception_fp_ieee_underflow 0
		.amdhsa_exception_fp_ieee_inexact 0
		.amdhsa_exception_int_div_zero 0
	.end_amdhsa_kernel
	.section	.text._ZN7rocprim17ROCPRIM_400000_NS6detail17trampoline_kernelINS0_14default_configENS1_20scan_config_selectorItEEZZNS1_9scan_implILNS1_25lookback_scan_determinismE0ELb0ELb0ES3_N6thrust23THRUST_200600_302600_NS6detail15normal_iteratorINS9_10device_ptrItEEEENS9_16discard_iteratorINS9_11use_defaultEEEt11max_functorItEtEEDaPvRmT3_T4_T5_mT6_P12ihipStream_tbENKUlT_T0_E_clISt17integral_constantIbLb1EESX_EEDaSS_ST_EUlSS_E_NS1_11comp_targetILNS1_3genE8ELNS1_11target_archE1030ELNS1_3gpuE2ELNS1_3repE0EEENS1_30default_config_static_selectorELNS0_4arch9wavefront6targetE1EEEvT1_,"axG",@progbits,_ZN7rocprim17ROCPRIM_400000_NS6detail17trampoline_kernelINS0_14default_configENS1_20scan_config_selectorItEEZZNS1_9scan_implILNS1_25lookback_scan_determinismE0ELb0ELb0ES3_N6thrust23THRUST_200600_302600_NS6detail15normal_iteratorINS9_10device_ptrItEEEENS9_16discard_iteratorINS9_11use_defaultEEEt11max_functorItEtEEDaPvRmT3_T4_T5_mT6_P12ihipStream_tbENKUlT_T0_E_clISt17integral_constantIbLb1EESX_EEDaSS_ST_EUlSS_E_NS1_11comp_targetILNS1_3genE8ELNS1_11target_archE1030ELNS1_3gpuE2ELNS1_3repE0EEENS1_30default_config_static_selectorELNS0_4arch9wavefront6targetE1EEEvT1_,comdat
.Lfunc_end3592:
	.size	_ZN7rocprim17ROCPRIM_400000_NS6detail17trampoline_kernelINS0_14default_configENS1_20scan_config_selectorItEEZZNS1_9scan_implILNS1_25lookback_scan_determinismE0ELb0ELb0ES3_N6thrust23THRUST_200600_302600_NS6detail15normal_iteratorINS9_10device_ptrItEEEENS9_16discard_iteratorINS9_11use_defaultEEEt11max_functorItEtEEDaPvRmT3_T4_T5_mT6_P12ihipStream_tbENKUlT_T0_E_clISt17integral_constantIbLb1EESX_EEDaSS_ST_EUlSS_E_NS1_11comp_targetILNS1_3genE8ELNS1_11target_archE1030ELNS1_3gpuE2ELNS1_3repE0EEENS1_30default_config_static_selectorELNS0_4arch9wavefront6targetE1EEEvT1_, .Lfunc_end3592-_ZN7rocprim17ROCPRIM_400000_NS6detail17trampoline_kernelINS0_14default_configENS1_20scan_config_selectorItEEZZNS1_9scan_implILNS1_25lookback_scan_determinismE0ELb0ELb0ES3_N6thrust23THRUST_200600_302600_NS6detail15normal_iteratorINS9_10device_ptrItEEEENS9_16discard_iteratorINS9_11use_defaultEEEt11max_functorItEtEEDaPvRmT3_T4_T5_mT6_P12ihipStream_tbENKUlT_T0_E_clISt17integral_constantIbLb1EESX_EEDaSS_ST_EUlSS_E_NS1_11comp_targetILNS1_3genE8ELNS1_11target_archE1030ELNS1_3gpuE2ELNS1_3repE0EEENS1_30default_config_static_selectorELNS0_4arch9wavefront6targetE1EEEvT1_
                                        ; -- End function
	.section	.AMDGPU.csdata,"",@progbits
; Kernel info:
; codeLenInByte = 0
; NumSgprs: 4
; NumVgprs: 0
; NumAgprs: 0
; TotalNumVgprs: 0
; ScratchSize: 0
; MemoryBound: 0
; FloatMode: 240
; IeeeMode: 1
; LDSByteSize: 0 bytes/workgroup (compile time only)
; SGPRBlocks: 0
; VGPRBlocks: 0
; NumSGPRsForWavesPerEU: 4
; NumVGPRsForWavesPerEU: 1
; AccumOffset: 4
; Occupancy: 8
; WaveLimiterHint : 0
; COMPUTE_PGM_RSRC2:SCRATCH_EN: 0
; COMPUTE_PGM_RSRC2:USER_SGPR: 6
; COMPUTE_PGM_RSRC2:TRAP_HANDLER: 0
; COMPUTE_PGM_RSRC2:TGID_X_EN: 1
; COMPUTE_PGM_RSRC2:TGID_Y_EN: 0
; COMPUTE_PGM_RSRC2:TGID_Z_EN: 0
; COMPUTE_PGM_RSRC2:TIDIG_COMP_CNT: 0
; COMPUTE_PGM_RSRC3_GFX90A:ACCUM_OFFSET: 0
; COMPUTE_PGM_RSRC3_GFX90A:TG_SPLIT: 0
	.section	.text._ZN7rocprim17ROCPRIM_400000_NS6detail17trampoline_kernelINS0_14default_configENS1_20scan_config_selectorItEEZZNS1_9scan_implILNS1_25lookback_scan_determinismE0ELb0ELb0ES3_N6thrust23THRUST_200600_302600_NS6detail15normal_iteratorINS9_10device_ptrItEEEENS9_16discard_iteratorINS9_11use_defaultEEEt11max_functorItEtEEDaPvRmT3_T4_T5_mT6_P12ihipStream_tbENKUlT_T0_E_clISt17integral_constantIbLb1EESX_EEDaSS_ST_EUlSS_E0_NS1_11comp_targetILNS1_3genE0ELNS1_11target_archE4294967295ELNS1_3gpuE0ELNS1_3repE0EEENS1_30default_config_static_selectorELNS0_4arch9wavefront6targetE1EEEvT1_,"axG",@progbits,_ZN7rocprim17ROCPRIM_400000_NS6detail17trampoline_kernelINS0_14default_configENS1_20scan_config_selectorItEEZZNS1_9scan_implILNS1_25lookback_scan_determinismE0ELb0ELb0ES3_N6thrust23THRUST_200600_302600_NS6detail15normal_iteratorINS9_10device_ptrItEEEENS9_16discard_iteratorINS9_11use_defaultEEEt11max_functorItEtEEDaPvRmT3_T4_T5_mT6_P12ihipStream_tbENKUlT_T0_E_clISt17integral_constantIbLb1EESX_EEDaSS_ST_EUlSS_E0_NS1_11comp_targetILNS1_3genE0ELNS1_11target_archE4294967295ELNS1_3gpuE0ELNS1_3repE0EEENS1_30default_config_static_selectorELNS0_4arch9wavefront6targetE1EEEvT1_,comdat
	.protected	_ZN7rocprim17ROCPRIM_400000_NS6detail17trampoline_kernelINS0_14default_configENS1_20scan_config_selectorItEEZZNS1_9scan_implILNS1_25lookback_scan_determinismE0ELb0ELb0ES3_N6thrust23THRUST_200600_302600_NS6detail15normal_iteratorINS9_10device_ptrItEEEENS9_16discard_iteratorINS9_11use_defaultEEEt11max_functorItEtEEDaPvRmT3_T4_T5_mT6_P12ihipStream_tbENKUlT_T0_E_clISt17integral_constantIbLb1EESX_EEDaSS_ST_EUlSS_E0_NS1_11comp_targetILNS1_3genE0ELNS1_11target_archE4294967295ELNS1_3gpuE0ELNS1_3repE0EEENS1_30default_config_static_selectorELNS0_4arch9wavefront6targetE1EEEvT1_ ; -- Begin function _ZN7rocprim17ROCPRIM_400000_NS6detail17trampoline_kernelINS0_14default_configENS1_20scan_config_selectorItEEZZNS1_9scan_implILNS1_25lookback_scan_determinismE0ELb0ELb0ES3_N6thrust23THRUST_200600_302600_NS6detail15normal_iteratorINS9_10device_ptrItEEEENS9_16discard_iteratorINS9_11use_defaultEEEt11max_functorItEtEEDaPvRmT3_T4_T5_mT6_P12ihipStream_tbENKUlT_T0_E_clISt17integral_constantIbLb1EESX_EEDaSS_ST_EUlSS_E0_NS1_11comp_targetILNS1_3genE0ELNS1_11target_archE4294967295ELNS1_3gpuE0ELNS1_3repE0EEENS1_30default_config_static_selectorELNS0_4arch9wavefront6targetE1EEEvT1_
	.globl	_ZN7rocprim17ROCPRIM_400000_NS6detail17trampoline_kernelINS0_14default_configENS1_20scan_config_selectorItEEZZNS1_9scan_implILNS1_25lookback_scan_determinismE0ELb0ELb0ES3_N6thrust23THRUST_200600_302600_NS6detail15normal_iteratorINS9_10device_ptrItEEEENS9_16discard_iteratorINS9_11use_defaultEEEt11max_functorItEtEEDaPvRmT3_T4_T5_mT6_P12ihipStream_tbENKUlT_T0_E_clISt17integral_constantIbLb1EESX_EEDaSS_ST_EUlSS_E0_NS1_11comp_targetILNS1_3genE0ELNS1_11target_archE4294967295ELNS1_3gpuE0ELNS1_3repE0EEENS1_30default_config_static_selectorELNS0_4arch9wavefront6targetE1EEEvT1_
	.p2align	8
	.type	_ZN7rocprim17ROCPRIM_400000_NS6detail17trampoline_kernelINS0_14default_configENS1_20scan_config_selectorItEEZZNS1_9scan_implILNS1_25lookback_scan_determinismE0ELb0ELb0ES3_N6thrust23THRUST_200600_302600_NS6detail15normal_iteratorINS9_10device_ptrItEEEENS9_16discard_iteratorINS9_11use_defaultEEEt11max_functorItEtEEDaPvRmT3_T4_T5_mT6_P12ihipStream_tbENKUlT_T0_E_clISt17integral_constantIbLb1EESX_EEDaSS_ST_EUlSS_E0_NS1_11comp_targetILNS1_3genE0ELNS1_11target_archE4294967295ELNS1_3gpuE0ELNS1_3repE0EEENS1_30default_config_static_selectorELNS0_4arch9wavefront6targetE1EEEvT1_,@function
_ZN7rocprim17ROCPRIM_400000_NS6detail17trampoline_kernelINS0_14default_configENS1_20scan_config_selectorItEEZZNS1_9scan_implILNS1_25lookback_scan_determinismE0ELb0ELb0ES3_N6thrust23THRUST_200600_302600_NS6detail15normal_iteratorINS9_10device_ptrItEEEENS9_16discard_iteratorINS9_11use_defaultEEEt11max_functorItEtEEDaPvRmT3_T4_T5_mT6_P12ihipStream_tbENKUlT_T0_E_clISt17integral_constantIbLb1EESX_EEDaSS_ST_EUlSS_E0_NS1_11comp_targetILNS1_3genE0ELNS1_11target_archE4294967295ELNS1_3gpuE0ELNS1_3repE0EEENS1_30default_config_static_selectorELNS0_4arch9wavefront6targetE1EEEvT1_: ; @_ZN7rocprim17ROCPRIM_400000_NS6detail17trampoline_kernelINS0_14default_configENS1_20scan_config_selectorItEEZZNS1_9scan_implILNS1_25lookback_scan_determinismE0ELb0ELb0ES3_N6thrust23THRUST_200600_302600_NS6detail15normal_iteratorINS9_10device_ptrItEEEENS9_16discard_iteratorINS9_11use_defaultEEEt11max_functorItEtEEDaPvRmT3_T4_T5_mT6_P12ihipStream_tbENKUlT_T0_E_clISt17integral_constantIbLb1EESX_EEDaSS_ST_EUlSS_E0_NS1_11comp_targetILNS1_3genE0ELNS1_11target_archE4294967295ELNS1_3gpuE0ELNS1_3repE0EEENS1_30default_config_static_selectorELNS0_4arch9wavefront6targetE1EEEvT1_
; %bb.0:
	.section	.rodata,"a",@progbits
	.p2align	6, 0x0
	.amdhsa_kernel _ZN7rocprim17ROCPRIM_400000_NS6detail17trampoline_kernelINS0_14default_configENS1_20scan_config_selectorItEEZZNS1_9scan_implILNS1_25lookback_scan_determinismE0ELb0ELb0ES3_N6thrust23THRUST_200600_302600_NS6detail15normal_iteratorINS9_10device_ptrItEEEENS9_16discard_iteratorINS9_11use_defaultEEEt11max_functorItEtEEDaPvRmT3_T4_T5_mT6_P12ihipStream_tbENKUlT_T0_E_clISt17integral_constantIbLb1EESX_EEDaSS_ST_EUlSS_E0_NS1_11comp_targetILNS1_3genE0ELNS1_11target_archE4294967295ELNS1_3gpuE0ELNS1_3repE0EEENS1_30default_config_static_selectorELNS0_4arch9wavefront6targetE1EEEvT1_
		.amdhsa_group_segment_fixed_size 0
		.amdhsa_private_segment_fixed_size 0
		.amdhsa_kernarg_size 40
		.amdhsa_user_sgpr_count 6
		.amdhsa_user_sgpr_private_segment_buffer 1
		.amdhsa_user_sgpr_dispatch_ptr 0
		.amdhsa_user_sgpr_queue_ptr 0
		.amdhsa_user_sgpr_kernarg_segment_ptr 1
		.amdhsa_user_sgpr_dispatch_id 0
		.amdhsa_user_sgpr_flat_scratch_init 0
		.amdhsa_user_sgpr_kernarg_preload_length 0
		.amdhsa_user_sgpr_kernarg_preload_offset 0
		.amdhsa_user_sgpr_private_segment_size 0
		.amdhsa_uses_dynamic_stack 0
		.amdhsa_system_sgpr_private_segment_wavefront_offset 0
		.amdhsa_system_sgpr_workgroup_id_x 1
		.amdhsa_system_sgpr_workgroup_id_y 0
		.amdhsa_system_sgpr_workgroup_id_z 0
		.amdhsa_system_sgpr_workgroup_info 0
		.amdhsa_system_vgpr_workitem_id 0
		.amdhsa_next_free_vgpr 1
		.amdhsa_next_free_sgpr 0
		.amdhsa_accum_offset 4
		.amdhsa_reserve_vcc 0
		.amdhsa_reserve_flat_scratch 0
		.amdhsa_float_round_mode_32 0
		.amdhsa_float_round_mode_16_64 0
		.amdhsa_float_denorm_mode_32 3
		.amdhsa_float_denorm_mode_16_64 3
		.amdhsa_dx10_clamp 1
		.amdhsa_ieee_mode 1
		.amdhsa_fp16_overflow 0
		.amdhsa_tg_split 0
		.amdhsa_exception_fp_ieee_invalid_op 0
		.amdhsa_exception_fp_denorm_src 0
		.amdhsa_exception_fp_ieee_div_zero 0
		.amdhsa_exception_fp_ieee_overflow 0
		.amdhsa_exception_fp_ieee_underflow 0
		.amdhsa_exception_fp_ieee_inexact 0
		.amdhsa_exception_int_div_zero 0
	.end_amdhsa_kernel
	.section	.text._ZN7rocprim17ROCPRIM_400000_NS6detail17trampoline_kernelINS0_14default_configENS1_20scan_config_selectorItEEZZNS1_9scan_implILNS1_25lookback_scan_determinismE0ELb0ELb0ES3_N6thrust23THRUST_200600_302600_NS6detail15normal_iteratorINS9_10device_ptrItEEEENS9_16discard_iteratorINS9_11use_defaultEEEt11max_functorItEtEEDaPvRmT3_T4_T5_mT6_P12ihipStream_tbENKUlT_T0_E_clISt17integral_constantIbLb1EESX_EEDaSS_ST_EUlSS_E0_NS1_11comp_targetILNS1_3genE0ELNS1_11target_archE4294967295ELNS1_3gpuE0ELNS1_3repE0EEENS1_30default_config_static_selectorELNS0_4arch9wavefront6targetE1EEEvT1_,"axG",@progbits,_ZN7rocprim17ROCPRIM_400000_NS6detail17trampoline_kernelINS0_14default_configENS1_20scan_config_selectorItEEZZNS1_9scan_implILNS1_25lookback_scan_determinismE0ELb0ELb0ES3_N6thrust23THRUST_200600_302600_NS6detail15normal_iteratorINS9_10device_ptrItEEEENS9_16discard_iteratorINS9_11use_defaultEEEt11max_functorItEtEEDaPvRmT3_T4_T5_mT6_P12ihipStream_tbENKUlT_T0_E_clISt17integral_constantIbLb1EESX_EEDaSS_ST_EUlSS_E0_NS1_11comp_targetILNS1_3genE0ELNS1_11target_archE4294967295ELNS1_3gpuE0ELNS1_3repE0EEENS1_30default_config_static_selectorELNS0_4arch9wavefront6targetE1EEEvT1_,comdat
.Lfunc_end3593:
	.size	_ZN7rocprim17ROCPRIM_400000_NS6detail17trampoline_kernelINS0_14default_configENS1_20scan_config_selectorItEEZZNS1_9scan_implILNS1_25lookback_scan_determinismE0ELb0ELb0ES3_N6thrust23THRUST_200600_302600_NS6detail15normal_iteratorINS9_10device_ptrItEEEENS9_16discard_iteratorINS9_11use_defaultEEEt11max_functorItEtEEDaPvRmT3_T4_T5_mT6_P12ihipStream_tbENKUlT_T0_E_clISt17integral_constantIbLb1EESX_EEDaSS_ST_EUlSS_E0_NS1_11comp_targetILNS1_3genE0ELNS1_11target_archE4294967295ELNS1_3gpuE0ELNS1_3repE0EEENS1_30default_config_static_selectorELNS0_4arch9wavefront6targetE1EEEvT1_, .Lfunc_end3593-_ZN7rocprim17ROCPRIM_400000_NS6detail17trampoline_kernelINS0_14default_configENS1_20scan_config_selectorItEEZZNS1_9scan_implILNS1_25lookback_scan_determinismE0ELb0ELb0ES3_N6thrust23THRUST_200600_302600_NS6detail15normal_iteratorINS9_10device_ptrItEEEENS9_16discard_iteratorINS9_11use_defaultEEEt11max_functorItEtEEDaPvRmT3_T4_T5_mT6_P12ihipStream_tbENKUlT_T0_E_clISt17integral_constantIbLb1EESX_EEDaSS_ST_EUlSS_E0_NS1_11comp_targetILNS1_3genE0ELNS1_11target_archE4294967295ELNS1_3gpuE0ELNS1_3repE0EEENS1_30default_config_static_selectorELNS0_4arch9wavefront6targetE1EEEvT1_
                                        ; -- End function
	.section	.AMDGPU.csdata,"",@progbits
; Kernel info:
; codeLenInByte = 0
; NumSgprs: 4
; NumVgprs: 0
; NumAgprs: 0
; TotalNumVgprs: 0
; ScratchSize: 0
; MemoryBound: 0
; FloatMode: 240
; IeeeMode: 1
; LDSByteSize: 0 bytes/workgroup (compile time only)
; SGPRBlocks: 0
; VGPRBlocks: 0
; NumSGPRsForWavesPerEU: 4
; NumVGPRsForWavesPerEU: 1
; AccumOffset: 4
; Occupancy: 8
; WaveLimiterHint : 0
; COMPUTE_PGM_RSRC2:SCRATCH_EN: 0
; COMPUTE_PGM_RSRC2:USER_SGPR: 6
; COMPUTE_PGM_RSRC2:TRAP_HANDLER: 0
; COMPUTE_PGM_RSRC2:TGID_X_EN: 1
; COMPUTE_PGM_RSRC2:TGID_Y_EN: 0
; COMPUTE_PGM_RSRC2:TGID_Z_EN: 0
; COMPUTE_PGM_RSRC2:TIDIG_COMP_CNT: 0
; COMPUTE_PGM_RSRC3_GFX90A:ACCUM_OFFSET: 0
; COMPUTE_PGM_RSRC3_GFX90A:TG_SPLIT: 0
	.section	.text._ZN7rocprim17ROCPRIM_400000_NS6detail17trampoline_kernelINS0_14default_configENS1_20scan_config_selectorItEEZZNS1_9scan_implILNS1_25lookback_scan_determinismE0ELb0ELb0ES3_N6thrust23THRUST_200600_302600_NS6detail15normal_iteratorINS9_10device_ptrItEEEENS9_16discard_iteratorINS9_11use_defaultEEEt11max_functorItEtEEDaPvRmT3_T4_T5_mT6_P12ihipStream_tbENKUlT_T0_E_clISt17integral_constantIbLb1EESX_EEDaSS_ST_EUlSS_E0_NS1_11comp_targetILNS1_3genE5ELNS1_11target_archE942ELNS1_3gpuE9ELNS1_3repE0EEENS1_30default_config_static_selectorELNS0_4arch9wavefront6targetE1EEEvT1_,"axG",@progbits,_ZN7rocprim17ROCPRIM_400000_NS6detail17trampoline_kernelINS0_14default_configENS1_20scan_config_selectorItEEZZNS1_9scan_implILNS1_25lookback_scan_determinismE0ELb0ELb0ES3_N6thrust23THRUST_200600_302600_NS6detail15normal_iteratorINS9_10device_ptrItEEEENS9_16discard_iteratorINS9_11use_defaultEEEt11max_functorItEtEEDaPvRmT3_T4_T5_mT6_P12ihipStream_tbENKUlT_T0_E_clISt17integral_constantIbLb1EESX_EEDaSS_ST_EUlSS_E0_NS1_11comp_targetILNS1_3genE5ELNS1_11target_archE942ELNS1_3gpuE9ELNS1_3repE0EEENS1_30default_config_static_selectorELNS0_4arch9wavefront6targetE1EEEvT1_,comdat
	.protected	_ZN7rocprim17ROCPRIM_400000_NS6detail17trampoline_kernelINS0_14default_configENS1_20scan_config_selectorItEEZZNS1_9scan_implILNS1_25lookback_scan_determinismE0ELb0ELb0ES3_N6thrust23THRUST_200600_302600_NS6detail15normal_iteratorINS9_10device_ptrItEEEENS9_16discard_iteratorINS9_11use_defaultEEEt11max_functorItEtEEDaPvRmT3_T4_T5_mT6_P12ihipStream_tbENKUlT_T0_E_clISt17integral_constantIbLb1EESX_EEDaSS_ST_EUlSS_E0_NS1_11comp_targetILNS1_3genE5ELNS1_11target_archE942ELNS1_3gpuE9ELNS1_3repE0EEENS1_30default_config_static_selectorELNS0_4arch9wavefront6targetE1EEEvT1_ ; -- Begin function _ZN7rocprim17ROCPRIM_400000_NS6detail17trampoline_kernelINS0_14default_configENS1_20scan_config_selectorItEEZZNS1_9scan_implILNS1_25lookback_scan_determinismE0ELb0ELb0ES3_N6thrust23THRUST_200600_302600_NS6detail15normal_iteratorINS9_10device_ptrItEEEENS9_16discard_iteratorINS9_11use_defaultEEEt11max_functorItEtEEDaPvRmT3_T4_T5_mT6_P12ihipStream_tbENKUlT_T0_E_clISt17integral_constantIbLb1EESX_EEDaSS_ST_EUlSS_E0_NS1_11comp_targetILNS1_3genE5ELNS1_11target_archE942ELNS1_3gpuE9ELNS1_3repE0EEENS1_30default_config_static_selectorELNS0_4arch9wavefront6targetE1EEEvT1_
	.globl	_ZN7rocprim17ROCPRIM_400000_NS6detail17trampoline_kernelINS0_14default_configENS1_20scan_config_selectorItEEZZNS1_9scan_implILNS1_25lookback_scan_determinismE0ELb0ELb0ES3_N6thrust23THRUST_200600_302600_NS6detail15normal_iteratorINS9_10device_ptrItEEEENS9_16discard_iteratorINS9_11use_defaultEEEt11max_functorItEtEEDaPvRmT3_T4_T5_mT6_P12ihipStream_tbENKUlT_T0_E_clISt17integral_constantIbLb1EESX_EEDaSS_ST_EUlSS_E0_NS1_11comp_targetILNS1_3genE5ELNS1_11target_archE942ELNS1_3gpuE9ELNS1_3repE0EEENS1_30default_config_static_selectorELNS0_4arch9wavefront6targetE1EEEvT1_
	.p2align	8
	.type	_ZN7rocprim17ROCPRIM_400000_NS6detail17trampoline_kernelINS0_14default_configENS1_20scan_config_selectorItEEZZNS1_9scan_implILNS1_25lookback_scan_determinismE0ELb0ELb0ES3_N6thrust23THRUST_200600_302600_NS6detail15normal_iteratorINS9_10device_ptrItEEEENS9_16discard_iteratorINS9_11use_defaultEEEt11max_functorItEtEEDaPvRmT3_T4_T5_mT6_P12ihipStream_tbENKUlT_T0_E_clISt17integral_constantIbLb1EESX_EEDaSS_ST_EUlSS_E0_NS1_11comp_targetILNS1_3genE5ELNS1_11target_archE942ELNS1_3gpuE9ELNS1_3repE0EEENS1_30default_config_static_selectorELNS0_4arch9wavefront6targetE1EEEvT1_,@function
_ZN7rocprim17ROCPRIM_400000_NS6detail17trampoline_kernelINS0_14default_configENS1_20scan_config_selectorItEEZZNS1_9scan_implILNS1_25lookback_scan_determinismE0ELb0ELb0ES3_N6thrust23THRUST_200600_302600_NS6detail15normal_iteratorINS9_10device_ptrItEEEENS9_16discard_iteratorINS9_11use_defaultEEEt11max_functorItEtEEDaPvRmT3_T4_T5_mT6_P12ihipStream_tbENKUlT_T0_E_clISt17integral_constantIbLb1EESX_EEDaSS_ST_EUlSS_E0_NS1_11comp_targetILNS1_3genE5ELNS1_11target_archE942ELNS1_3gpuE9ELNS1_3repE0EEENS1_30default_config_static_selectorELNS0_4arch9wavefront6targetE1EEEvT1_: ; @_ZN7rocprim17ROCPRIM_400000_NS6detail17trampoline_kernelINS0_14default_configENS1_20scan_config_selectorItEEZZNS1_9scan_implILNS1_25lookback_scan_determinismE0ELb0ELb0ES3_N6thrust23THRUST_200600_302600_NS6detail15normal_iteratorINS9_10device_ptrItEEEENS9_16discard_iteratorINS9_11use_defaultEEEt11max_functorItEtEEDaPvRmT3_T4_T5_mT6_P12ihipStream_tbENKUlT_T0_E_clISt17integral_constantIbLb1EESX_EEDaSS_ST_EUlSS_E0_NS1_11comp_targetILNS1_3genE5ELNS1_11target_archE942ELNS1_3gpuE9ELNS1_3repE0EEENS1_30default_config_static_selectorELNS0_4arch9wavefront6targetE1EEEvT1_
; %bb.0:
	.section	.rodata,"a",@progbits
	.p2align	6, 0x0
	.amdhsa_kernel _ZN7rocprim17ROCPRIM_400000_NS6detail17trampoline_kernelINS0_14default_configENS1_20scan_config_selectorItEEZZNS1_9scan_implILNS1_25lookback_scan_determinismE0ELb0ELb0ES3_N6thrust23THRUST_200600_302600_NS6detail15normal_iteratorINS9_10device_ptrItEEEENS9_16discard_iteratorINS9_11use_defaultEEEt11max_functorItEtEEDaPvRmT3_T4_T5_mT6_P12ihipStream_tbENKUlT_T0_E_clISt17integral_constantIbLb1EESX_EEDaSS_ST_EUlSS_E0_NS1_11comp_targetILNS1_3genE5ELNS1_11target_archE942ELNS1_3gpuE9ELNS1_3repE0EEENS1_30default_config_static_selectorELNS0_4arch9wavefront6targetE1EEEvT1_
		.amdhsa_group_segment_fixed_size 0
		.amdhsa_private_segment_fixed_size 0
		.amdhsa_kernarg_size 40
		.amdhsa_user_sgpr_count 6
		.amdhsa_user_sgpr_private_segment_buffer 1
		.amdhsa_user_sgpr_dispatch_ptr 0
		.amdhsa_user_sgpr_queue_ptr 0
		.amdhsa_user_sgpr_kernarg_segment_ptr 1
		.amdhsa_user_sgpr_dispatch_id 0
		.amdhsa_user_sgpr_flat_scratch_init 0
		.amdhsa_user_sgpr_kernarg_preload_length 0
		.amdhsa_user_sgpr_kernarg_preload_offset 0
		.amdhsa_user_sgpr_private_segment_size 0
		.amdhsa_uses_dynamic_stack 0
		.amdhsa_system_sgpr_private_segment_wavefront_offset 0
		.amdhsa_system_sgpr_workgroup_id_x 1
		.amdhsa_system_sgpr_workgroup_id_y 0
		.amdhsa_system_sgpr_workgroup_id_z 0
		.amdhsa_system_sgpr_workgroup_info 0
		.amdhsa_system_vgpr_workitem_id 0
		.amdhsa_next_free_vgpr 1
		.amdhsa_next_free_sgpr 0
		.amdhsa_accum_offset 4
		.amdhsa_reserve_vcc 0
		.amdhsa_reserve_flat_scratch 0
		.amdhsa_float_round_mode_32 0
		.amdhsa_float_round_mode_16_64 0
		.amdhsa_float_denorm_mode_32 3
		.amdhsa_float_denorm_mode_16_64 3
		.amdhsa_dx10_clamp 1
		.amdhsa_ieee_mode 1
		.amdhsa_fp16_overflow 0
		.amdhsa_tg_split 0
		.amdhsa_exception_fp_ieee_invalid_op 0
		.amdhsa_exception_fp_denorm_src 0
		.amdhsa_exception_fp_ieee_div_zero 0
		.amdhsa_exception_fp_ieee_overflow 0
		.amdhsa_exception_fp_ieee_underflow 0
		.amdhsa_exception_fp_ieee_inexact 0
		.amdhsa_exception_int_div_zero 0
	.end_amdhsa_kernel
	.section	.text._ZN7rocprim17ROCPRIM_400000_NS6detail17trampoline_kernelINS0_14default_configENS1_20scan_config_selectorItEEZZNS1_9scan_implILNS1_25lookback_scan_determinismE0ELb0ELb0ES3_N6thrust23THRUST_200600_302600_NS6detail15normal_iteratorINS9_10device_ptrItEEEENS9_16discard_iteratorINS9_11use_defaultEEEt11max_functorItEtEEDaPvRmT3_T4_T5_mT6_P12ihipStream_tbENKUlT_T0_E_clISt17integral_constantIbLb1EESX_EEDaSS_ST_EUlSS_E0_NS1_11comp_targetILNS1_3genE5ELNS1_11target_archE942ELNS1_3gpuE9ELNS1_3repE0EEENS1_30default_config_static_selectorELNS0_4arch9wavefront6targetE1EEEvT1_,"axG",@progbits,_ZN7rocprim17ROCPRIM_400000_NS6detail17trampoline_kernelINS0_14default_configENS1_20scan_config_selectorItEEZZNS1_9scan_implILNS1_25lookback_scan_determinismE0ELb0ELb0ES3_N6thrust23THRUST_200600_302600_NS6detail15normal_iteratorINS9_10device_ptrItEEEENS9_16discard_iteratorINS9_11use_defaultEEEt11max_functorItEtEEDaPvRmT3_T4_T5_mT6_P12ihipStream_tbENKUlT_T0_E_clISt17integral_constantIbLb1EESX_EEDaSS_ST_EUlSS_E0_NS1_11comp_targetILNS1_3genE5ELNS1_11target_archE942ELNS1_3gpuE9ELNS1_3repE0EEENS1_30default_config_static_selectorELNS0_4arch9wavefront6targetE1EEEvT1_,comdat
.Lfunc_end3594:
	.size	_ZN7rocprim17ROCPRIM_400000_NS6detail17trampoline_kernelINS0_14default_configENS1_20scan_config_selectorItEEZZNS1_9scan_implILNS1_25lookback_scan_determinismE0ELb0ELb0ES3_N6thrust23THRUST_200600_302600_NS6detail15normal_iteratorINS9_10device_ptrItEEEENS9_16discard_iteratorINS9_11use_defaultEEEt11max_functorItEtEEDaPvRmT3_T4_T5_mT6_P12ihipStream_tbENKUlT_T0_E_clISt17integral_constantIbLb1EESX_EEDaSS_ST_EUlSS_E0_NS1_11comp_targetILNS1_3genE5ELNS1_11target_archE942ELNS1_3gpuE9ELNS1_3repE0EEENS1_30default_config_static_selectorELNS0_4arch9wavefront6targetE1EEEvT1_, .Lfunc_end3594-_ZN7rocprim17ROCPRIM_400000_NS6detail17trampoline_kernelINS0_14default_configENS1_20scan_config_selectorItEEZZNS1_9scan_implILNS1_25lookback_scan_determinismE0ELb0ELb0ES3_N6thrust23THRUST_200600_302600_NS6detail15normal_iteratorINS9_10device_ptrItEEEENS9_16discard_iteratorINS9_11use_defaultEEEt11max_functorItEtEEDaPvRmT3_T4_T5_mT6_P12ihipStream_tbENKUlT_T0_E_clISt17integral_constantIbLb1EESX_EEDaSS_ST_EUlSS_E0_NS1_11comp_targetILNS1_3genE5ELNS1_11target_archE942ELNS1_3gpuE9ELNS1_3repE0EEENS1_30default_config_static_selectorELNS0_4arch9wavefront6targetE1EEEvT1_
                                        ; -- End function
	.section	.AMDGPU.csdata,"",@progbits
; Kernel info:
; codeLenInByte = 0
; NumSgprs: 4
; NumVgprs: 0
; NumAgprs: 0
; TotalNumVgprs: 0
; ScratchSize: 0
; MemoryBound: 0
; FloatMode: 240
; IeeeMode: 1
; LDSByteSize: 0 bytes/workgroup (compile time only)
; SGPRBlocks: 0
; VGPRBlocks: 0
; NumSGPRsForWavesPerEU: 4
; NumVGPRsForWavesPerEU: 1
; AccumOffset: 4
; Occupancy: 8
; WaveLimiterHint : 0
; COMPUTE_PGM_RSRC2:SCRATCH_EN: 0
; COMPUTE_PGM_RSRC2:USER_SGPR: 6
; COMPUTE_PGM_RSRC2:TRAP_HANDLER: 0
; COMPUTE_PGM_RSRC2:TGID_X_EN: 1
; COMPUTE_PGM_RSRC2:TGID_Y_EN: 0
; COMPUTE_PGM_RSRC2:TGID_Z_EN: 0
; COMPUTE_PGM_RSRC2:TIDIG_COMP_CNT: 0
; COMPUTE_PGM_RSRC3_GFX90A:ACCUM_OFFSET: 0
; COMPUTE_PGM_RSRC3_GFX90A:TG_SPLIT: 0
	.section	.text._ZN7rocprim17ROCPRIM_400000_NS6detail17trampoline_kernelINS0_14default_configENS1_20scan_config_selectorItEEZZNS1_9scan_implILNS1_25lookback_scan_determinismE0ELb0ELb0ES3_N6thrust23THRUST_200600_302600_NS6detail15normal_iteratorINS9_10device_ptrItEEEENS9_16discard_iteratorINS9_11use_defaultEEEt11max_functorItEtEEDaPvRmT3_T4_T5_mT6_P12ihipStream_tbENKUlT_T0_E_clISt17integral_constantIbLb1EESX_EEDaSS_ST_EUlSS_E0_NS1_11comp_targetILNS1_3genE4ELNS1_11target_archE910ELNS1_3gpuE8ELNS1_3repE0EEENS1_30default_config_static_selectorELNS0_4arch9wavefront6targetE1EEEvT1_,"axG",@progbits,_ZN7rocprim17ROCPRIM_400000_NS6detail17trampoline_kernelINS0_14default_configENS1_20scan_config_selectorItEEZZNS1_9scan_implILNS1_25lookback_scan_determinismE0ELb0ELb0ES3_N6thrust23THRUST_200600_302600_NS6detail15normal_iteratorINS9_10device_ptrItEEEENS9_16discard_iteratorINS9_11use_defaultEEEt11max_functorItEtEEDaPvRmT3_T4_T5_mT6_P12ihipStream_tbENKUlT_T0_E_clISt17integral_constantIbLb1EESX_EEDaSS_ST_EUlSS_E0_NS1_11comp_targetILNS1_3genE4ELNS1_11target_archE910ELNS1_3gpuE8ELNS1_3repE0EEENS1_30default_config_static_selectorELNS0_4arch9wavefront6targetE1EEEvT1_,comdat
	.protected	_ZN7rocprim17ROCPRIM_400000_NS6detail17trampoline_kernelINS0_14default_configENS1_20scan_config_selectorItEEZZNS1_9scan_implILNS1_25lookback_scan_determinismE0ELb0ELb0ES3_N6thrust23THRUST_200600_302600_NS6detail15normal_iteratorINS9_10device_ptrItEEEENS9_16discard_iteratorINS9_11use_defaultEEEt11max_functorItEtEEDaPvRmT3_T4_T5_mT6_P12ihipStream_tbENKUlT_T0_E_clISt17integral_constantIbLb1EESX_EEDaSS_ST_EUlSS_E0_NS1_11comp_targetILNS1_3genE4ELNS1_11target_archE910ELNS1_3gpuE8ELNS1_3repE0EEENS1_30default_config_static_selectorELNS0_4arch9wavefront6targetE1EEEvT1_ ; -- Begin function _ZN7rocprim17ROCPRIM_400000_NS6detail17trampoline_kernelINS0_14default_configENS1_20scan_config_selectorItEEZZNS1_9scan_implILNS1_25lookback_scan_determinismE0ELb0ELb0ES3_N6thrust23THRUST_200600_302600_NS6detail15normal_iteratorINS9_10device_ptrItEEEENS9_16discard_iteratorINS9_11use_defaultEEEt11max_functorItEtEEDaPvRmT3_T4_T5_mT6_P12ihipStream_tbENKUlT_T0_E_clISt17integral_constantIbLb1EESX_EEDaSS_ST_EUlSS_E0_NS1_11comp_targetILNS1_3genE4ELNS1_11target_archE910ELNS1_3gpuE8ELNS1_3repE0EEENS1_30default_config_static_selectorELNS0_4arch9wavefront6targetE1EEEvT1_
	.globl	_ZN7rocprim17ROCPRIM_400000_NS6detail17trampoline_kernelINS0_14default_configENS1_20scan_config_selectorItEEZZNS1_9scan_implILNS1_25lookback_scan_determinismE0ELb0ELb0ES3_N6thrust23THRUST_200600_302600_NS6detail15normal_iteratorINS9_10device_ptrItEEEENS9_16discard_iteratorINS9_11use_defaultEEEt11max_functorItEtEEDaPvRmT3_T4_T5_mT6_P12ihipStream_tbENKUlT_T0_E_clISt17integral_constantIbLb1EESX_EEDaSS_ST_EUlSS_E0_NS1_11comp_targetILNS1_3genE4ELNS1_11target_archE910ELNS1_3gpuE8ELNS1_3repE0EEENS1_30default_config_static_selectorELNS0_4arch9wavefront6targetE1EEEvT1_
	.p2align	8
	.type	_ZN7rocprim17ROCPRIM_400000_NS6detail17trampoline_kernelINS0_14default_configENS1_20scan_config_selectorItEEZZNS1_9scan_implILNS1_25lookback_scan_determinismE0ELb0ELb0ES3_N6thrust23THRUST_200600_302600_NS6detail15normal_iteratorINS9_10device_ptrItEEEENS9_16discard_iteratorINS9_11use_defaultEEEt11max_functorItEtEEDaPvRmT3_T4_T5_mT6_P12ihipStream_tbENKUlT_T0_E_clISt17integral_constantIbLb1EESX_EEDaSS_ST_EUlSS_E0_NS1_11comp_targetILNS1_3genE4ELNS1_11target_archE910ELNS1_3gpuE8ELNS1_3repE0EEENS1_30default_config_static_selectorELNS0_4arch9wavefront6targetE1EEEvT1_,@function
_ZN7rocprim17ROCPRIM_400000_NS6detail17trampoline_kernelINS0_14default_configENS1_20scan_config_selectorItEEZZNS1_9scan_implILNS1_25lookback_scan_determinismE0ELb0ELb0ES3_N6thrust23THRUST_200600_302600_NS6detail15normal_iteratorINS9_10device_ptrItEEEENS9_16discard_iteratorINS9_11use_defaultEEEt11max_functorItEtEEDaPvRmT3_T4_T5_mT6_P12ihipStream_tbENKUlT_T0_E_clISt17integral_constantIbLb1EESX_EEDaSS_ST_EUlSS_E0_NS1_11comp_targetILNS1_3genE4ELNS1_11target_archE910ELNS1_3gpuE8ELNS1_3repE0EEENS1_30default_config_static_selectorELNS0_4arch9wavefront6targetE1EEEvT1_: ; @_ZN7rocprim17ROCPRIM_400000_NS6detail17trampoline_kernelINS0_14default_configENS1_20scan_config_selectorItEEZZNS1_9scan_implILNS1_25lookback_scan_determinismE0ELb0ELb0ES3_N6thrust23THRUST_200600_302600_NS6detail15normal_iteratorINS9_10device_ptrItEEEENS9_16discard_iteratorINS9_11use_defaultEEEt11max_functorItEtEEDaPvRmT3_T4_T5_mT6_P12ihipStream_tbENKUlT_T0_E_clISt17integral_constantIbLb1EESX_EEDaSS_ST_EUlSS_E0_NS1_11comp_targetILNS1_3genE4ELNS1_11target_archE910ELNS1_3gpuE8ELNS1_3repE0EEENS1_30default_config_static_selectorELNS0_4arch9wavefront6targetE1EEEvT1_
; %bb.0:
	s_load_dwordx4 s[0:3], s[4:5], 0x0
	v_mov_b32_e32 v1, 0
	s_waitcnt lgkmcnt(0)
	global_load_ushort v2, v1, s[0:1]
	v_cmp_gt_u32_e32 vcc, s2, v0
	v_lshlrev_b32_e32 v1, 1, v0
	s_waitcnt vmcnt(0)
	v_mov_b32_e32 v3, v2
	s_and_saveexec_b64 s[4:5], vcc
	s_cbranch_execz .LBB3595_2
; %bb.1:
	global_load_ushort v3, v1, s[0:1]
.LBB3595_2:
	s_or_b64 exec, exec, s[4:5]
	v_or_b32_e32 v4, 64, v0
	v_cmp_gt_u32_e32 vcc, s2, v4
	v_mov_b32_e32 v4, v2
	s_and_saveexec_b64 s[4:5], vcc
	s_cbranch_execz .LBB3595_4
; %bb.3:
	global_load_ushort v4, v1, s[0:1] offset:128
.LBB3595_4:
	s_or_b64 exec, exec, s[4:5]
	v_or_b32_e32 v5, 0x80, v0
	v_cmp_gt_u32_e32 vcc, s2, v5
	v_mov_b32_e32 v5, v2
	s_and_saveexec_b64 s[4:5], vcc
	s_cbranch_execz .LBB3595_6
; %bb.5:
	global_load_ushort v5, v1, s[0:1] offset:256
.LBB3595_6:
	;; [unrolled: 9-line block ×22, first 2 shown]
	s_or_b64 exec, exec, s[4:5]
	v_or_b32_e32 v26, 0x5c0, v0
	v_cmp_gt_u32_e32 vcc, s2, v26
	s_and_saveexec_b64 s[2:3], vcc
	s_cbranch_execz .LBB3595_48
; %bb.47:
	global_load_ushort v2, v1, s[0:1] offset:2944
.LBB3595_48:
	s_or_b64 exec, exec, s[2:3]
	s_waitcnt vmcnt(0)
	ds_write_b16 v1, v3
	ds_write_b16 v1, v4 offset:128
	ds_write_b16 v1, v5 offset:256
	;; [unrolled: 1-line block ×23, first 2 shown]
	v_mad_u32_u24 v6, v0, 46, v1
	s_waitcnt lgkmcnt(0)
	; wave barrier
	s_waitcnt lgkmcnt(0)
	ds_read_b128 v[2:5], v6
	ds_read_b128 v[10:13], v6 offset:16
	ds_read_b128 v[6:9], v6 offset:32
	v_mbcnt_lo_u32_b32 v37, -1, 0
	v_mbcnt_hi_u32_b32 v37, -1, v37
	s_waitcnt lgkmcnt(2)
	v_max_u16_sdwa v14, v2, v2 dst_sel:DWORD dst_unused:UNUSED_PAD src0_sel:DWORD src1_sel:WORD_1
	v_max_u16_e32 v15, v14, v3
	v_max_u16_sdwa v17, v15, v3 dst_sel:DWORD dst_unused:UNUSED_PAD src0_sel:DWORD src1_sel:WORD_1
	v_max_u16_e32 v19, v17, v4
	;; [unrolled: 2-line block ×3, first 2 shown]
	v_max_u16_sdwa v27, v24, v5 dst_sel:DWORD dst_unused:UNUSED_PAD src0_sel:DWORD src1_sel:WORD_1
	s_waitcnt lgkmcnt(1)
	v_max_u16_e32 v16, v27, v10
	v_max_u16_sdwa v18, v16, v10 dst_sel:DWORD dst_unused:UNUSED_PAD src0_sel:DWORD src1_sel:WORD_1
	v_max_u16_e32 v20, v18, v11
	v_max_u16_sdwa v23, v20, v11 dst_sel:DWORD dst_unused:UNUSED_PAD src0_sel:DWORD src1_sel:WORD_1
	;; [unrolled: 2-line block ×4, first 2 shown]
	s_waitcnt lgkmcnt(0)
	v_max_u16_e32 v22, v33, v6
	v_max_u16_sdwa v25, v22, v6 dst_sel:DWORD dst_unused:UNUSED_PAD src0_sel:DWORD src1_sel:WORD_1
	v_max_u16_e32 v28, v25, v7
	v_max_u16_sdwa v30, v28, v7 dst_sel:DWORD dst_unused:UNUSED_PAD src0_sel:DWORD src1_sel:WORD_1
	;; [unrolled: 2-line block ×4, first 2 shown]
	v_and_b32_e32 v38, 15, v37
	v_cmp_eq_u32_e32 vcc, 0, v38
	v_mov_b32_dpp v39, v36 row_shr:1 row_mask:0xf bank_mask:0xf
	v_max_u16_e32 v39, v39, v36
	v_cndmask_b32_e32 v39, v39, v36, vcc
	v_and_b32_e32 v40, 0xffff, v39
	v_cmp_lt_u32_e32 vcc, 1, v38
	s_nop 0
	v_mov_b32_dpp v40, v40 row_shr:2 row_mask:0xf bank_mask:0xf
	v_max_u16_e32 v40, v40, v39
	v_cndmask_b32_e32 v39, v39, v40, vcc
	v_and_b32_e32 v40, 0xffff, v39
	v_cmp_lt_u32_e32 vcc, 3, v38
	; wave barrier
	s_nop 0
	v_mov_b32_dpp v40, v40 row_shr:4 row_mask:0xf bank_mask:0xf
	v_max_u16_e32 v40, v40, v39
	v_cndmask_b32_e32 v39, v39, v40, vcc
	v_and_b32_e32 v40, 0xffff, v39
	v_cmp_lt_u32_e32 vcc, 7, v38
	s_nop 0
	v_mov_b32_dpp v40, v40 row_shr:8 row_mask:0xf bank_mask:0xf
	v_max_u16_e32 v40, v40, v39
	v_cndmask_b32_e32 v38, v39, v40, vcc
	v_and_b32_e32 v39, 0xffff, v38
	v_and_b32_e32 v40, 16, v37
	v_cmp_eq_u32_e32 vcc, 0, v40
	v_mov_b32_dpp v39, v39 row_bcast:15 row_mask:0xf bank_mask:0xf
	v_max_u16_e32 v39, v39, v38
	v_cndmask_b32_e32 v38, v39, v38, vcc
	v_and_b32_e32 v39, 0xffff, v38
	v_cmp_lt_u32_e32 vcc, 31, v37
	s_nop 0
	v_mov_b32_dpp v39, v39 row_bcast:31 row_mask:0xf bank_mask:0xf
	v_max_u16_e32 v39, v39, v38
	v_cndmask_b32_e32 v38, v38, v39, vcc
	v_cmp_eq_u32_e32 vcc, 63, v0
	s_and_saveexec_b64 s[0:1], vcc
	s_cbranch_execz .LBB3595_50
; %bb.49:
	v_mov_b32_e32 v39, 0
	ds_write_b16 v39, v38
.LBB3595_50:
	s_or_b64 exec, exec, s[0:1]
	v_add_u32_e32 v39, -1, v37
	v_and_b32_e32 v40, 64, v37
	v_cmp_lt_i32_e32 vcc, v39, v40
	v_cndmask_b32_e32 v37, v39, v37, vcc
	v_and_b32_e32 v38, 0xffff, v38
	v_lshlrev_b32_e32 v37, 2, v37
	ds_bpermute_b32 v38, v37, v38
	v_mul_u32_u24_e32 v37, 46, v0
	v_cmp_ne_u32_e32 vcc, 0, v0
	s_waitcnt lgkmcnt(0)
	; wave barrier
	s_waitcnt lgkmcnt(0)
	s_and_saveexec_b64 s[0:1], vcc
	s_cbranch_execz .LBB3595_52
; %bb.51:
	v_max_u16_e32 v0, v38, v2
	v_max_u16_sdwa v14, v0, v2 dst_sel:DWORD dst_unused:UNUSED_PAD src0_sel:DWORD src1_sel:WORD_1
	v_max_u16_e32 v15, v14, v3
	v_max_u16_sdwa v17, v15, v3 dst_sel:DWORD dst_unused:UNUSED_PAD src0_sel:DWORD src1_sel:WORD_1
	;; [unrolled: 2-line block ×12, first 2 shown]
	v_mov_b32_e32 v2, v0
	;;#ASMSTART
	;;#ASMEND
.LBB3595_52:
	s_or_b64 exec, exec, s[0:1]
	s_mov_b32 s0, 0x5040100
	v_add_u32_e32 v6, v1, v37
	v_perm_b32 v5, v27, v24, s0
	v_perm_b32 v4, v21, v19, s0
	;; [unrolled: 1-line block ×4, first 2 shown]
	s_waitcnt lgkmcnt(0)
	; wave barrier
	ds_write_b128 v6, v[2:5]
	v_perm_b32 v3, v33, v31, s0
	v_perm_b32 v2, v29, v26, s0
	;; [unrolled: 1-line block ×4, first 2 shown]
	ds_write_b128 v6, v[0:3] offset:16
	v_perm_b32 v3, v36, v35, s0
	v_perm_b32 v2, v34, v32, s0
	;; [unrolled: 1-line block ×4, first 2 shown]
	ds_write_b128 v6, v[0:3] offset:32
	s_waitcnt lgkmcnt(0)
	; wave barrier
	s_waitcnt lgkmcnt(0)
	s_endpgm
	.section	.rodata,"a",@progbits
	.p2align	6, 0x0
	.amdhsa_kernel _ZN7rocprim17ROCPRIM_400000_NS6detail17trampoline_kernelINS0_14default_configENS1_20scan_config_selectorItEEZZNS1_9scan_implILNS1_25lookback_scan_determinismE0ELb0ELb0ES3_N6thrust23THRUST_200600_302600_NS6detail15normal_iteratorINS9_10device_ptrItEEEENS9_16discard_iteratorINS9_11use_defaultEEEt11max_functorItEtEEDaPvRmT3_T4_T5_mT6_P12ihipStream_tbENKUlT_T0_E_clISt17integral_constantIbLb1EESX_EEDaSS_ST_EUlSS_E0_NS1_11comp_targetILNS1_3genE4ELNS1_11target_archE910ELNS1_3gpuE8ELNS1_3repE0EEENS1_30default_config_static_selectorELNS0_4arch9wavefront6targetE1EEEvT1_
		.amdhsa_group_segment_fixed_size 3072
		.amdhsa_private_segment_fixed_size 0
		.amdhsa_kernarg_size 40
		.amdhsa_user_sgpr_count 6
		.amdhsa_user_sgpr_private_segment_buffer 1
		.amdhsa_user_sgpr_dispatch_ptr 0
		.amdhsa_user_sgpr_queue_ptr 0
		.amdhsa_user_sgpr_kernarg_segment_ptr 1
		.amdhsa_user_sgpr_dispatch_id 0
		.amdhsa_user_sgpr_flat_scratch_init 0
		.amdhsa_user_sgpr_kernarg_preload_length 0
		.amdhsa_user_sgpr_kernarg_preload_offset 0
		.amdhsa_user_sgpr_private_segment_size 0
		.amdhsa_uses_dynamic_stack 0
		.amdhsa_system_sgpr_private_segment_wavefront_offset 0
		.amdhsa_system_sgpr_workgroup_id_x 1
		.amdhsa_system_sgpr_workgroup_id_y 0
		.amdhsa_system_sgpr_workgroup_id_z 0
		.amdhsa_system_sgpr_workgroup_info 0
		.amdhsa_system_vgpr_workitem_id 0
		.amdhsa_next_free_vgpr 41
		.amdhsa_next_free_sgpr 6
		.amdhsa_accum_offset 44
		.amdhsa_reserve_vcc 1
		.amdhsa_reserve_flat_scratch 0
		.amdhsa_float_round_mode_32 0
		.amdhsa_float_round_mode_16_64 0
		.amdhsa_float_denorm_mode_32 3
		.amdhsa_float_denorm_mode_16_64 3
		.amdhsa_dx10_clamp 1
		.amdhsa_ieee_mode 1
		.amdhsa_fp16_overflow 0
		.amdhsa_tg_split 0
		.amdhsa_exception_fp_ieee_invalid_op 0
		.amdhsa_exception_fp_denorm_src 0
		.amdhsa_exception_fp_ieee_div_zero 0
		.amdhsa_exception_fp_ieee_overflow 0
		.amdhsa_exception_fp_ieee_underflow 0
		.amdhsa_exception_fp_ieee_inexact 0
		.amdhsa_exception_int_div_zero 0
	.end_amdhsa_kernel
	.section	.text._ZN7rocprim17ROCPRIM_400000_NS6detail17trampoline_kernelINS0_14default_configENS1_20scan_config_selectorItEEZZNS1_9scan_implILNS1_25lookback_scan_determinismE0ELb0ELb0ES3_N6thrust23THRUST_200600_302600_NS6detail15normal_iteratorINS9_10device_ptrItEEEENS9_16discard_iteratorINS9_11use_defaultEEEt11max_functorItEtEEDaPvRmT3_T4_T5_mT6_P12ihipStream_tbENKUlT_T0_E_clISt17integral_constantIbLb1EESX_EEDaSS_ST_EUlSS_E0_NS1_11comp_targetILNS1_3genE4ELNS1_11target_archE910ELNS1_3gpuE8ELNS1_3repE0EEENS1_30default_config_static_selectorELNS0_4arch9wavefront6targetE1EEEvT1_,"axG",@progbits,_ZN7rocprim17ROCPRIM_400000_NS6detail17trampoline_kernelINS0_14default_configENS1_20scan_config_selectorItEEZZNS1_9scan_implILNS1_25lookback_scan_determinismE0ELb0ELb0ES3_N6thrust23THRUST_200600_302600_NS6detail15normal_iteratorINS9_10device_ptrItEEEENS9_16discard_iteratorINS9_11use_defaultEEEt11max_functorItEtEEDaPvRmT3_T4_T5_mT6_P12ihipStream_tbENKUlT_T0_E_clISt17integral_constantIbLb1EESX_EEDaSS_ST_EUlSS_E0_NS1_11comp_targetILNS1_3genE4ELNS1_11target_archE910ELNS1_3gpuE8ELNS1_3repE0EEENS1_30default_config_static_selectorELNS0_4arch9wavefront6targetE1EEEvT1_,comdat
.Lfunc_end3595:
	.size	_ZN7rocprim17ROCPRIM_400000_NS6detail17trampoline_kernelINS0_14default_configENS1_20scan_config_selectorItEEZZNS1_9scan_implILNS1_25lookback_scan_determinismE0ELb0ELb0ES3_N6thrust23THRUST_200600_302600_NS6detail15normal_iteratorINS9_10device_ptrItEEEENS9_16discard_iteratorINS9_11use_defaultEEEt11max_functorItEtEEDaPvRmT3_T4_T5_mT6_P12ihipStream_tbENKUlT_T0_E_clISt17integral_constantIbLb1EESX_EEDaSS_ST_EUlSS_E0_NS1_11comp_targetILNS1_3genE4ELNS1_11target_archE910ELNS1_3gpuE8ELNS1_3repE0EEENS1_30default_config_static_selectorELNS0_4arch9wavefront6targetE1EEEvT1_, .Lfunc_end3595-_ZN7rocprim17ROCPRIM_400000_NS6detail17trampoline_kernelINS0_14default_configENS1_20scan_config_selectorItEEZZNS1_9scan_implILNS1_25lookback_scan_determinismE0ELb0ELb0ES3_N6thrust23THRUST_200600_302600_NS6detail15normal_iteratorINS9_10device_ptrItEEEENS9_16discard_iteratorINS9_11use_defaultEEEt11max_functorItEtEEDaPvRmT3_T4_T5_mT6_P12ihipStream_tbENKUlT_T0_E_clISt17integral_constantIbLb1EESX_EEDaSS_ST_EUlSS_E0_NS1_11comp_targetILNS1_3genE4ELNS1_11target_archE910ELNS1_3gpuE8ELNS1_3repE0EEENS1_30default_config_static_selectorELNS0_4arch9wavefront6targetE1EEEvT1_
                                        ; -- End function
	.section	.AMDGPU.csdata,"",@progbits
; Kernel info:
; codeLenInByte = 1856
; NumSgprs: 10
; NumVgprs: 41
; NumAgprs: 0
; TotalNumVgprs: 41
; ScratchSize: 0
; MemoryBound: 0
; FloatMode: 240
; IeeeMode: 1
; LDSByteSize: 3072 bytes/workgroup (compile time only)
; SGPRBlocks: 1
; VGPRBlocks: 5
; NumSGPRsForWavesPerEU: 10
; NumVGPRsForWavesPerEU: 41
; AccumOffset: 44
; Occupancy: 6
; WaveLimiterHint : 0
; COMPUTE_PGM_RSRC2:SCRATCH_EN: 0
; COMPUTE_PGM_RSRC2:USER_SGPR: 6
; COMPUTE_PGM_RSRC2:TRAP_HANDLER: 0
; COMPUTE_PGM_RSRC2:TGID_X_EN: 1
; COMPUTE_PGM_RSRC2:TGID_Y_EN: 0
; COMPUTE_PGM_RSRC2:TGID_Z_EN: 0
; COMPUTE_PGM_RSRC2:TIDIG_COMP_CNT: 0
; COMPUTE_PGM_RSRC3_GFX90A:ACCUM_OFFSET: 10
; COMPUTE_PGM_RSRC3_GFX90A:TG_SPLIT: 0
	.section	.text._ZN7rocprim17ROCPRIM_400000_NS6detail17trampoline_kernelINS0_14default_configENS1_20scan_config_selectorItEEZZNS1_9scan_implILNS1_25lookback_scan_determinismE0ELb0ELb0ES3_N6thrust23THRUST_200600_302600_NS6detail15normal_iteratorINS9_10device_ptrItEEEENS9_16discard_iteratorINS9_11use_defaultEEEt11max_functorItEtEEDaPvRmT3_T4_T5_mT6_P12ihipStream_tbENKUlT_T0_E_clISt17integral_constantIbLb1EESX_EEDaSS_ST_EUlSS_E0_NS1_11comp_targetILNS1_3genE3ELNS1_11target_archE908ELNS1_3gpuE7ELNS1_3repE0EEENS1_30default_config_static_selectorELNS0_4arch9wavefront6targetE1EEEvT1_,"axG",@progbits,_ZN7rocprim17ROCPRIM_400000_NS6detail17trampoline_kernelINS0_14default_configENS1_20scan_config_selectorItEEZZNS1_9scan_implILNS1_25lookback_scan_determinismE0ELb0ELb0ES3_N6thrust23THRUST_200600_302600_NS6detail15normal_iteratorINS9_10device_ptrItEEEENS9_16discard_iteratorINS9_11use_defaultEEEt11max_functorItEtEEDaPvRmT3_T4_T5_mT6_P12ihipStream_tbENKUlT_T0_E_clISt17integral_constantIbLb1EESX_EEDaSS_ST_EUlSS_E0_NS1_11comp_targetILNS1_3genE3ELNS1_11target_archE908ELNS1_3gpuE7ELNS1_3repE0EEENS1_30default_config_static_selectorELNS0_4arch9wavefront6targetE1EEEvT1_,comdat
	.protected	_ZN7rocprim17ROCPRIM_400000_NS6detail17trampoline_kernelINS0_14default_configENS1_20scan_config_selectorItEEZZNS1_9scan_implILNS1_25lookback_scan_determinismE0ELb0ELb0ES3_N6thrust23THRUST_200600_302600_NS6detail15normal_iteratorINS9_10device_ptrItEEEENS9_16discard_iteratorINS9_11use_defaultEEEt11max_functorItEtEEDaPvRmT3_T4_T5_mT6_P12ihipStream_tbENKUlT_T0_E_clISt17integral_constantIbLb1EESX_EEDaSS_ST_EUlSS_E0_NS1_11comp_targetILNS1_3genE3ELNS1_11target_archE908ELNS1_3gpuE7ELNS1_3repE0EEENS1_30default_config_static_selectorELNS0_4arch9wavefront6targetE1EEEvT1_ ; -- Begin function _ZN7rocprim17ROCPRIM_400000_NS6detail17trampoline_kernelINS0_14default_configENS1_20scan_config_selectorItEEZZNS1_9scan_implILNS1_25lookback_scan_determinismE0ELb0ELb0ES3_N6thrust23THRUST_200600_302600_NS6detail15normal_iteratorINS9_10device_ptrItEEEENS9_16discard_iteratorINS9_11use_defaultEEEt11max_functorItEtEEDaPvRmT3_T4_T5_mT6_P12ihipStream_tbENKUlT_T0_E_clISt17integral_constantIbLb1EESX_EEDaSS_ST_EUlSS_E0_NS1_11comp_targetILNS1_3genE3ELNS1_11target_archE908ELNS1_3gpuE7ELNS1_3repE0EEENS1_30default_config_static_selectorELNS0_4arch9wavefront6targetE1EEEvT1_
	.globl	_ZN7rocprim17ROCPRIM_400000_NS6detail17trampoline_kernelINS0_14default_configENS1_20scan_config_selectorItEEZZNS1_9scan_implILNS1_25lookback_scan_determinismE0ELb0ELb0ES3_N6thrust23THRUST_200600_302600_NS6detail15normal_iteratorINS9_10device_ptrItEEEENS9_16discard_iteratorINS9_11use_defaultEEEt11max_functorItEtEEDaPvRmT3_T4_T5_mT6_P12ihipStream_tbENKUlT_T0_E_clISt17integral_constantIbLb1EESX_EEDaSS_ST_EUlSS_E0_NS1_11comp_targetILNS1_3genE3ELNS1_11target_archE908ELNS1_3gpuE7ELNS1_3repE0EEENS1_30default_config_static_selectorELNS0_4arch9wavefront6targetE1EEEvT1_
	.p2align	8
	.type	_ZN7rocprim17ROCPRIM_400000_NS6detail17trampoline_kernelINS0_14default_configENS1_20scan_config_selectorItEEZZNS1_9scan_implILNS1_25lookback_scan_determinismE0ELb0ELb0ES3_N6thrust23THRUST_200600_302600_NS6detail15normal_iteratorINS9_10device_ptrItEEEENS9_16discard_iteratorINS9_11use_defaultEEEt11max_functorItEtEEDaPvRmT3_T4_T5_mT6_P12ihipStream_tbENKUlT_T0_E_clISt17integral_constantIbLb1EESX_EEDaSS_ST_EUlSS_E0_NS1_11comp_targetILNS1_3genE3ELNS1_11target_archE908ELNS1_3gpuE7ELNS1_3repE0EEENS1_30default_config_static_selectorELNS0_4arch9wavefront6targetE1EEEvT1_,@function
_ZN7rocprim17ROCPRIM_400000_NS6detail17trampoline_kernelINS0_14default_configENS1_20scan_config_selectorItEEZZNS1_9scan_implILNS1_25lookback_scan_determinismE0ELb0ELb0ES3_N6thrust23THRUST_200600_302600_NS6detail15normal_iteratorINS9_10device_ptrItEEEENS9_16discard_iteratorINS9_11use_defaultEEEt11max_functorItEtEEDaPvRmT3_T4_T5_mT6_P12ihipStream_tbENKUlT_T0_E_clISt17integral_constantIbLb1EESX_EEDaSS_ST_EUlSS_E0_NS1_11comp_targetILNS1_3genE3ELNS1_11target_archE908ELNS1_3gpuE7ELNS1_3repE0EEENS1_30default_config_static_selectorELNS0_4arch9wavefront6targetE1EEEvT1_: ; @_ZN7rocprim17ROCPRIM_400000_NS6detail17trampoline_kernelINS0_14default_configENS1_20scan_config_selectorItEEZZNS1_9scan_implILNS1_25lookback_scan_determinismE0ELb0ELb0ES3_N6thrust23THRUST_200600_302600_NS6detail15normal_iteratorINS9_10device_ptrItEEEENS9_16discard_iteratorINS9_11use_defaultEEEt11max_functorItEtEEDaPvRmT3_T4_T5_mT6_P12ihipStream_tbENKUlT_T0_E_clISt17integral_constantIbLb1EESX_EEDaSS_ST_EUlSS_E0_NS1_11comp_targetILNS1_3genE3ELNS1_11target_archE908ELNS1_3gpuE7ELNS1_3repE0EEENS1_30default_config_static_selectorELNS0_4arch9wavefront6targetE1EEEvT1_
; %bb.0:
	.section	.rodata,"a",@progbits
	.p2align	6, 0x0
	.amdhsa_kernel _ZN7rocprim17ROCPRIM_400000_NS6detail17trampoline_kernelINS0_14default_configENS1_20scan_config_selectorItEEZZNS1_9scan_implILNS1_25lookback_scan_determinismE0ELb0ELb0ES3_N6thrust23THRUST_200600_302600_NS6detail15normal_iteratorINS9_10device_ptrItEEEENS9_16discard_iteratorINS9_11use_defaultEEEt11max_functorItEtEEDaPvRmT3_T4_T5_mT6_P12ihipStream_tbENKUlT_T0_E_clISt17integral_constantIbLb1EESX_EEDaSS_ST_EUlSS_E0_NS1_11comp_targetILNS1_3genE3ELNS1_11target_archE908ELNS1_3gpuE7ELNS1_3repE0EEENS1_30default_config_static_selectorELNS0_4arch9wavefront6targetE1EEEvT1_
		.amdhsa_group_segment_fixed_size 0
		.amdhsa_private_segment_fixed_size 0
		.amdhsa_kernarg_size 40
		.amdhsa_user_sgpr_count 6
		.amdhsa_user_sgpr_private_segment_buffer 1
		.amdhsa_user_sgpr_dispatch_ptr 0
		.amdhsa_user_sgpr_queue_ptr 0
		.amdhsa_user_sgpr_kernarg_segment_ptr 1
		.amdhsa_user_sgpr_dispatch_id 0
		.amdhsa_user_sgpr_flat_scratch_init 0
		.amdhsa_user_sgpr_kernarg_preload_length 0
		.amdhsa_user_sgpr_kernarg_preload_offset 0
		.amdhsa_user_sgpr_private_segment_size 0
		.amdhsa_uses_dynamic_stack 0
		.amdhsa_system_sgpr_private_segment_wavefront_offset 0
		.amdhsa_system_sgpr_workgroup_id_x 1
		.amdhsa_system_sgpr_workgroup_id_y 0
		.amdhsa_system_sgpr_workgroup_id_z 0
		.amdhsa_system_sgpr_workgroup_info 0
		.amdhsa_system_vgpr_workitem_id 0
		.amdhsa_next_free_vgpr 1
		.amdhsa_next_free_sgpr 0
		.amdhsa_accum_offset 4
		.amdhsa_reserve_vcc 0
		.amdhsa_reserve_flat_scratch 0
		.amdhsa_float_round_mode_32 0
		.amdhsa_float_round_mode_16_64 0
		.amdhsa_float_denorm_mode_32 3
		.amdhsa_float_denorm_mode_16_64 3
		.amdhsa_dx10_clamp 1
		.amdhsa_ieee_mode 1
		.amdhsa_fp16_overflow 0
		.amdhsa_tg_split 0
		.amdhsa_exception_fp_ieee_invalid_op 0
		.amdhsa_exception_fp_denorm_src 0
		.amdhsa_exception_fp_ieee_div_zero 0
		.amdhsa_exception_fp_ieee_overflow 0
		.amdhsa_exception_fp_ieee_underflow 0
		.amdhsa_exception_fp_ieee_inexact 0
		.amdhsa_exception_int_div_zero 0
	.end_amdhsa_kernel
	.section	.text._ZN7rocprim17ROCPRIM_400000_NS6detail17trampoline_kernelINS0_14default_configENS1_20scan_config_selectorItEEZZNS1_9scan_implILNS1_25lookback_scan_determinismE0ELb0ELb0ES3_N6thrust23THRUST_200600_302600_NS6detail15normal_iteratorINS9_10device_ptrItEEEENS9_16discard_iteratorINS9_11use_defaultEEEt11max_functorItEtEEDaPvRmT3_T4_T5_mT6_P12ihipStream_tbENKUlT_T0_E_clISt17integral_constantIbLb1EESX_EEDaSS_ST_EUlSS_E0_NS1_11comp_targetILNS1_3genE3ELNS1_11target_archE908ELNS1_3gpuE7ELNS1_3repE0EEENS1_30default_config_static_selectorELNS0_4arch9wavefront6targetE1EEEvT1_,"axG",@progbits,_ZN7rocprim17ROCPRIM_400000_NS6detail17trampoline_kernelINS0_14default_configENS1_20scan_config_selectorItEEZZNS1_9scan_implILNS1_25lookback_scan_determinismE0ELb0ELb0ES3_N6thrust23THRUST_200600_302600_NS6detail15normal_iteratorINS9_10device_ptrItEEEENS9_16discard_iteratorINS9_11use_defaultEEEt11max_functorItEtEEDaPvRmT3_T4_T5_mT6_P12ihipStream_tbENKUlT_T0_E_clISt17integral_constantIbLb1EESX_EEDaSS_ST_EUlSS_E0_NS1_11comp_targetILNS1_3genE3ELNS1_11target_archE908ELNS1_3gpuE7ELNS1_3repE0EEENS1_30default_config_static_selectorELNS0_4arch9wavefront6targetE1EEEvT1_,comdat
.Lfunc_end3596:
	.size	_ZN7rocprim17ROCPRIM_400000_NS6detail17trampoline_kernelINS0_14default_configENS1_20scan_config_selectorItEEZZNS1_9scan_implILNS1_25lookback_scan_determinismE0ELb0ELb0ES3_N6thrust23THRUST_200600_302600_NS6detail15normal_iteratorINS9_10device_ptrItEEEENS9_16discard_iteratorINS9_11use_defaultEEEt11max_functorItEtEEDaPvRmT3_T4_T5_mT6_P12ihipStream_tbENKUlT_T0_E_clISt17integral_constantIbLb1EESX_EEDaSS_ST_EUlSS_E0_NS1_11comp_targetILNS1_3genE3ELNS1_11target_archE908ELNS1_3gpuE7ELNS1_3repE0EEENS1_30default_config_static_selectorELNS0_4arch9wavefront6targetE1EEEvT1_, .Lfunc_end3596-_ZN7rocprim17ROCPRIM_400000_NS6detail17trampoline_kernelINS0_14default_configENS1_20scan_config_selectorItEEZZNS1_9scan_implILNS1_25lookback_scan_determinismE0ELb0ELb0ES3_N6thrust23THRUST_200600_302600_NS6detail15normal_iteratorINS9_10device_ptrItEEEENS9_16discard_iteratorINS9_11use_defaultEEEt11max_functorItEtEEDaPvRmT3_T4_T5_mT6_P12ihipStream_tbENKUlT_T0_E_clISt17integral_constantIbLb1EESX_EEDaSS_ST_EUlSS_E0_NS1_11comp_targetILNS1_3genE3ELNS1_11target_archE908ELNS1_3gpuE7ELNS1_3repE0EEENS1_30default_config_static_selectorELNS0_4arch9wavefront6targetE1EEEvT1_
                                        ; -- End function
	.section	.AMDGPU.csdata,"",@progbits
; Kernel info:
; codeLenInByte = 0
; NumSgprs: 4
; NumVgprs: 0
; NumAgprs: 0
; TotalNumVgprs: 0
; ScratchSize: 0
; MemoryBound: 0
; FloatMode: 240
; IeeeMode: 1
; LDSByteSize: 0 bytes/workgroup (compile time only)
; SGPRBlocks: 0
; VGPRBlocks: 0
; NumSGPRsForWavesPerEU: 4
; NumVGPRsForWavesPerEU: 1
; AccumOffset: 4
; Occupancy: 8
; WaveLimiterHint : 0
; COMPUTE_PGM_RSRC2:SCRATCH_EN: 0
; COMPUTE_PGM_RSRC2:USER_SGPR: 6
; COMPUTE_PGM_RSRC2:TRAP_HANDLER: 0
; COMPUTE_PGM_RSRC2:TGID_X_EN: 1
; COMPUTE_PGM_RSRC2:TGID_Y_EN: 0
; COMPUTE_PGM_RSRC2:TGID_Z_EN: 0
; COMPUTE_PGM_RSRC2:TIDIG_COMP_CNT: 0
; COMPUTE_PGM_RSRC3_GFX90A:ACCUM_OFFSET: 0
; COMPUTE_PGM_RSRC3_GFX90A:TG_SPLIT: 0
	.section	.text._ZN7rocprim17ROCPRIM_400000_NS6detail17trampoline_kernelINS0_14default_configENS1_20scan_config_selectorItEEZZNS1_9scan_implILNS1_25lookback_scan_determinismE0ELb0ELb0ES3_N6thrust23THRUST_200600_302600_NS6detail15normal_iteratorINS9_10device_ptrItEEEENS9_16discard_iteratorINS9_11use_defaultEEEt11max_functorItEtEEDaPvRmT3_T4_T5_mT6_P12ihipStream_tbENKUlT_T0_E_clISt17integral_constantIbLb1EESX_EEDaSS_ST_EUlSS_E0_NS1_11comp_targetILNS1_3genE2ELNS1_11target_archE906ELNS1_3gpuE6ELNS1_3repE0EEENS1_30default_config_static_selectorELNS0_4arch9wavefront6targetE1EEEvT1_,"axG",@progbits,_ZN7rocprim17ROCPRIM_400000_NS6detail17trampoline_kernelINS0_14default_configENS1_20scan_config_selectorItEEZZNS1_9scan_implILNS1_25lookback_scan_determinismE0ELb0ELb0ES3_N6thrust23THRUST_200600_302600_NS6detail15normal_iteratorINS9_10device_ptrItEEEENS9_16discard_iteratorINS9_11use_defaultEEEt11max_functorItEtEEDaPvRmT3_T4_T5_mT6_P12ihipStream_tbENKUlT_T0_E_clISt17integral_constantIbLb1EESX_EEDaSS_ST_EUlSS_E0_NS1_11comp_targetILNS1_3genE2ELNS1_11target_archE906ELNS1_3gpuE6ELNS1_3repE0EEENS1_30default_config_static_selectorELNS0_4arch9wavefront6targetE1EEEvT1_,comdat
	.protected	_ZN7rocprim17ROCPRIM_400000_NS6detail17trampoline_kernelINS0_14default_configENS1_20scan_config_selectorItEEZZNS1_9scan_implILNS1_25lookback_scan_determinismE0ELb0ELb0ES3_N6thrust23THRUST_200600_302600_NS6detail15normal_iteratorINS9_10device_ptrItEEEENS9_16discard_iteratorINS9_11use_defaultEEEt11max_functorItEtEEDaPvRmT3_T4_T5_mT6_P12ihipStream_tbENKUlT_T0_E_clISt17integral_constantIbLb1EESX_EEDaSS_ST_EUlSS_E0_NS1_11comp_targetILNS1_3genE2ELNS1_11target_archE906ELNS1_3gpuE6ELNS1_3repE0EEENS1_30default_config_static_selectorELNS0_4arch9wavefront6targetE1EEEvT1_ ; -- Begin function _ZN7rocprim17ROCPRIM_400000_NS6detail17trampoline_kernelINS0_14default_configENS1_20scan_config_selectorItEEZZNS1_9scan_implILNS1_25lookback_scan_determinismE0ELb0ELb0ES3_N6thrust23THRUST_200600_302600_NS6detail15normal_iteratorINS9_10device_ptrItEEEENS9_16discard_iteratorINS9_11use_defaultEEEt11max_functorItEtEEDaPvRmT3_T4_T5_mT6_P12ihipStream_tbENKUlT_T0_E_clISt17integral_constantIbLb1EESX_EEDaSS_ST_EUlSS_E0_NS1_11comp_targetILNS1_3genE2ELNS1_11target_archE906ELNS1_3gpuE6ELNS1_3repE0EEENS1_30default_config_static_selectorELNS0_4arch9wavefront6targetE1EEEvT1_
	.globl	_ZN7rocprim17ROCPRIM_400000_NS6detail17trampoline_kernelINS0_14default_configENS1_20scan_config_selectorItEEZZNS1_9scan_implILNS1_25lookback_scan_determinismE0ELb0ELb0ES3_N6thrust23THRUST_200600_302600_NS6detail15normal_iteratorINS9_10device_ptrItEEEENS9_16discard_iteratorINS9_11use_defaultEEEt11max_functorItEtEEDaPvRmT3_T4_T5_mT6_P12ihipStream_tbENKUlT_T0_E_clISt17integral_constantIbLb1EESX_EEDaSS_ST_EUlSS_E0_NS1_11comp_targetILNS1_3genE2ELNS1_11target_archE906ELNS1_3gpuE6ELNS1_3repE0EEENS1_30default_config_static_selectorELNS0_4arch9wavefront6targetE1EEEvT1_
	.p2align	8
	.type	_ZN7rocprim17ROCPRIM_400000_NS6detail17trampoline_kernelINS0_14default_configENS1_20scan_config_selectorItEEZZNS1_9scan_implILNS1_25lookback_scan_determinismE0ELb0ELb0ES3_N6thrust23THRUST_200600_302600_NS6detail15normal_iteratorINS9_10device_ptrItEEEENS9_16discard_iteratorINS9_11use_defaultEEEt11max_functorItEtEEDaPvRmT3_T4_T5_mT6_P12ihipStream_tbENKUlT_T0_E_clISt17integral_constantIbLb1EESX_EEDaSS_ST_EUlSS_E0_NS1_11comp_targetILNS1_3genE2ELNS1_11target_archE906ELNS1_3gpuE6ELNS1_3repE0EEENS1_30default_config_static_selectorELNS0_4arch9wavefront6targetE1EEEvT1_,@function
_ZN7rocprim17ROCPRIM_400000_NS6detail17trampoline_kernelINS0_14default_configENS1_20scan_config_selectorItEEZZNS1_9scan_implILNS1_25lookback_scan_determinismE0ELb0ELb0ES3_N6thrust23THRUST_200600_302600_NS6detail15normal_iteratorINS9_10device_ptrItEEEENS9_16discard_iteratorINS9_11use_defaultEEEt11max_functorItEtEEDaPvRmT3_T4_T5_mT6_P12ihipStream_tbENKUlT_T0_E_clISt17integral_constantIbLb1EESX_EEDaSS_ST_EUlSS_E0_NS1_11comp_targetILNS1_3genE2ELNS1_11target_archE906ELNS1_3gpuE6ELNS1_3repE0EEENS1_30default_config_static_selectorELNS0_4arch9wavefront6targetE1EEEvT1_: ; @_ZN7rocprim17ROCPRIM_400000_NS6detail17trampoline_kernelINS0_14default_configENS1_20scan_config_selectorItEEZZNS1_9scan_implILNS1_25lookback_scan_determinismE0ELb0ELb0ES3_N6thrust23THRUST_200600_302600_NS6detail15normal_iteratorINS9_10device_ptrItEEEENS9_16discard_iteratorINS9_11use_defaultEEEt11max_functorItEtEEDaPvRmT3_T4_T5_mT6_P12ihipStream_tbENKUlT_T0_E_clISt17integral_constantIbLb1EESX_EEDaSS_ST_EUlSS_E0_NS1_11comp_targetILNS1_3genE2ELNS1_11target_archE906ELNS1_3gpuE6ELNS1_3repE0EEENS1_30default_config_static_selectorELNS0_4arch9wavefront6targetE1EEEvT1_
; %bb.0:
	.section	.rodata,"a",@progbits
	.p2align	6, 0x0
	.amdhsa_kernel _ZN7rocprim17ROCPRIM_400000_NS6detail17trampoline_kernelINS0_14default_configENS1_20scan_config_selectorItEEZZNS1_9scan_implILNS1_25lookback_scan_determinismE0ELb0ELb0ES3_N6thrust23THRUST_200600_302600_NS6detail15normal_iteratorINS9_10device_ptrItEEEENS9_16discard_iteratorINS9_11use_defaultEEEt11max_functorItEtEEDaPvRmT3_T4_T5_mT6_P12ihipStream_tbENKUlT_T0_E_clISt17integral_constantIbLb1EESX_EEDaSS_ST_EUlSS_E0_NS1_11comp_targetILNS1_3genE2ELNS1_11target_archE906ELNS1_3gpuE6ELNS1_3repE0EEENS1_30default_config_static_selectorELNS0_4arch9wavefront6targetE1EEEvT1_
		.amdhsa_group_segment_fixed_size 0
		.amdhsa_private_segment_fixed_size 0
		.amdhsa_kernarg_size 40
		.amdhsa_user_sgpr_count 6
		.amdhsa_user_sgpr_private_segment_buffer 1
		.amdhsa_user_sgpr_dispatch_ptr 0
		.amdhsa_user_sgpr_queue_ptr 0
		.amdhsa_user_sgpr_kernarg_segment_ptr 1
		.amdhsa_user_sgpr_dispatch_id 0
		.amdhsa_user_sgpr_flat_scratch_init 0
		.amdhsa_user_sgpr_kernarg_preload_length 0
		.amdhsa_user_sgpr_kernarg_preload_offset 0
		.amdhsa_user_sgpr_private_segment_size 0
		.amdhsa_uses_dynamic_stack 0
		.amdhsa_system_sgpr_private_segment_wavefront_offset 0
		.amdhsa_system_sgpr_workgroup_id_x 1
		.amdhsa_system_sgpr_workgroup_id_y 0
		.amdhsa_system_sgpr_workgroup_id_z 0
		.amdhsa_system_sgpr_workgroup_info 0
		.amdhsa_system_vgpr_workitem_id 0
		.amdhsa_next_free_vgpr 1
		.amdhsa_next_free_sgpr 0
		.amdhsa_accum_offset 4
		.amdhsa_reserve_vcc 0
		.amdhsa_reserve_flat_scratch 0
		.amdhsa_float_round_mode_32 0
		.amdhsa_float_round_mode_16_64 0
		.amdhsa_float_denorm_mode_32 3
		.amdhsa_float_denorm_mode_16_64 3
		.amdhsa_dx10_clamp 1
		.amdhsa_ieee_mode 1
		.amdhsa_fp16_overflow 0
		.amdhsa_tg_split 0
		.amdhsa_exception_fp_ieee_invalid_op 0
		.amdhsa_exception_fp_denorm_src 0
		.amdhsa_exception_fp_ieee_div_zero 0
		.amdhsa_exception_fp_ieee_overflow 0
		.amdhsa_exception_fp_ieee_underflow 0
		.amdhsa_exception_fp_ieee_inexact 0
		.amdhsa_exception_int_div_zero 0
	.end_amdhsa_kernel
	.section	.text._ZN7rocprim17ROCPRIM_400000_NS6detail17trampoline_kernelINS0_14default_configENS1_20scan_config_selectorItEEZZNS1_9scan_implILNS1_25lookback_scan_determinismE0ELb0ELb0ES3_N6thrust23THRUST_200600_302600_NS6detail15normal_iteratorINS9_10device_ptrItEEEENS9_16discard_iteratorINS9_11use_defaultEEEt11max_functorItEtEEDaPvRmT3_T4_T5_mT6_P12ihipStream_tbENKUlT_T0_E_clISt17integral_constantIbLb1EESX_EEDaSS_ST_EUlSS_E0_NS1_11comp_targetILNS1_3genE2ELNS1_11target_archE906ELNS1_3gpuE6ELNS1_3repE0EEENS1_30default_config_static_selectorELNS0_4arch9wavefront6targetE1EEEvT1_,"axG",@progbits,_ZN7rocprim17ROCPRIM_400000_NS6detail17trampoline_kernelINS0_14default_configENS1_20scan_config_selectorItEEZZNS1_9scan_implILNS1_25lookback_scan_determinismE0ELb0ELb0ES3_N6thrust23THRUST_200600_302600_NS6detail15normal_iteratorINS9_10device_ptrItEEEENS9_16discard_iteratorINS9_11use_defaultEEEt11max_functorItEtEEDaPvRmT3_T4_T5_mT6_P12ihipStream_tbENKUlT_T0_E_clISt17integral_constantIbLb1EESX_EEDaSS_ST_EUlSS_E0_NS1_11comp_targetILNS1_3genE2ELNS1_11target_archE906ELNS1_3gpuE6ELNS1_3repE0EEENS1_30default_config_static_selectorELNS0_4arch9wavefront6targetE1EEEvT1_,comdat
.Lfunc_end3597:
	.size	_ZN7rocprim17ROCPRIM_400000_NS6detail17trampoline_kernelINS0_14default_configENS1_20scan_config_selectorItEEZZNS1_9scan_implILNS1_25lookback_scan_determinismE0ELb0ELb0ES3_N6thrust23THRUST_200600_302600_NS6detail15normal_iteratorINS9_10device_ptrItEEEENS9_16discard_iteratorINS9_11use_defaultEEEt11max_functorItEtEEDaPvRmT3_T4_T5_mT6_P12ihipStream_tbENKUlT_T0_E_clISt17integral_constantIbLb1EESX_EEDaSS_ST_EUlSS_E0_NS1_11comp_targetILNS1_3genE2ELNS1_11target_archE906ELNS1_3gpuE6ELNS1_3repE0EEENS1_30default_config_static_selectorELNS0_4arch9wavefront6targetE1EEEvT1_, .Lfunc_end3597-_ZN7rocprim17ROCPRIM_400000_NS6detail17trampoline_kernelINS0_14default_configENS1_20scan_config_selectorItEEZZNS1_9scan_implILNS1_25lookback_scan_determinismE0ELb0ELb0ES3_N6thrust23THRUST_200600_302600_NS6detail15normal_iteratorINS9_10device_ptrItEEEENS9_16discard_iteratorINS9_11use_defaultEEEt11max_functorItEtEEDaPvRmT3_T4_T5_mT6_P12ihipStream_tbENKUlT_T0_E_clISt17integral_constantIbLb1EESX_EEDaSS_ST_EUlSS_E0_NS1_11comp_targetILNS1_3genE2ELNS1_11target_archE906ELNS1_3gpuE6ELNS1_3repE0EEENS1_30default_config_static_selectorELNS0_4arch9wavefront6targetE1EEEvT1_
                                        ; -- End function
	.section	.AMDGPU.csdata,"",@progbits
; Kernel info:
; codeLenInByte = 0
; NumSgprs: 4
; NumVgprs: 0
; NumAgprs: 0
; TotalNumVgprs: 0
; ScratchSize: 0
; MemoryBound: 0
; FloatMode: 240
; IeeeMode: 1
; LDSByteSize: 0 bytes/workgroup (compile time only)
; SGPRBlocks: 0
; VGPRBlocks: 0
; NumSGPRsForWavesPerEU: 4
; NumVGPRsForWavesPerEU: 1
; AccumOffset: 4
; Occupancy: 8
; WaveLimiterHint : 0
; COMPUTE_PGM_RSRC2:SCRATCH_EN: 0
; COMPUTE_PGM_RSRC2:USER_SGPR: 6
; COMPUTE_PGM_RSRC2:TRAP_HANDLER: 0
; COMPUTE_PGM_RSRC2:TGID_X_EN: 1
; COMPUTE_PGM_RSRC2:TGID_Y_EN: 0
; COMPUTE_PGM_RSRC2:TGID_Z_EN: 0
; COMPUTE_PGM_RSRC2:TIDIG_COMP_CNT: 0
; COMPUTE_PGM_RSRC3_GFX90A:ACCUM_OFFSET: 0
; COMPUTE_PGM_RSRC3_GFX90A:TG_SPLIT: 0
	.section	.text._ZN7rocprim17ROCPRIM_400000_NS6detail17trampoline_kernelINS0_14default_configENS1_20scan_config_selectorItEEZZNS1_9scan_implILNS1_25lookback_scan_determinismE0ELb0ELb0ES3_N6thrust23THRUST_200600_302600_NS6detail15normal_iteratorINS9_10device_ptrItEEEENS9_16discard_iteratorINS9_11use_defaultEEEt11max_functorItEtEEDaPvRmT3_T4_T5_mT6_P12ihipStream_tbENKUlT_T0_E_clISt17integral_constantIbLb1EESX_EEDaSS_ST_EUlSS_E0_NS1_11comp_targetILNS1_3genE10ELNS1_11target_archE1201ELNS1_3gpuE5ELNS1_3repE0EEENS1_30default_config_static_selectorELNS0_4arch9wavefront6targetE1EEEvT1_,"axG",@progbits,_ZN7rocprim17ROCPRIM_400000_NS6detail17trampoline_kernelINS0_14default_configENS1_20scan_config_selectorItEEZZNS1_9scan_implILNS1_25lookback_scan_determinismE0ELb0ELb0ES3_N6thrust23THRUST_200600_302600_NS6detail15normal_iteratorINS9_10device_ptrItEEEENS9_16discard_iteratorINS9_11use_defaultEEEt11max_functorItEtEEDaPvRmT3_T4_T5_mT6_P12ihipStream_tbENKUlT_T0_E_clISt17integral_constantIbLb1EESX_EEDaSS_ST_EUlSS_E0_NS1_11comp_targetILNS1_3genE10ELNS1_11target_archE1201ELNS1_3gpuE5ELNS1_3repE0EEENS1_30default_config_static_selectorELNS0_4arch9wavefront6targetE1EEEvT1_,comdat
	.protected	_ZN7rocprim17ROCPRIM_400000_NS6detail17trampoline_kernelINS0_14default_configENS1_20scan_config_selectorItEEZZNS1_9scan_implILNS1_25lookback_scan_determinismE0ELb0ELb0ES3_N6thrust23THRUST_200600_302600_NS6detail15normal_iteratorINS9_10device_ptrItEEEENS9_16discard_iteratorINS9_11use_defaultEEEt11max_functorItEtEEDaPvRmT3_T4_T5_mT6_P12ihipStream_tbENKUlT_T0_E_clISt17integral_constantIbLb1EESX_EEDaSS_ST_EUlSS_E0_NS1_11comp_targetILNS1_3genE10ELNS1_11target_archE1201ELNS1_3gpuE5ELNS1_3repE0EEENS1_30default_config_static_selectorELNS0_4arch9wavefront6targetE1EEEvT1_ ; -- Begin function _ZN7rocprim17ROCPRIM_400000_NS6detail17trampoline_kernelINS0_14default_configENS1_20scan_config_selectorItEEZZNS1_9scan_implILNS1_25lookback_scan_determinismE0ELb0ELb0ES3_N6thrust23THRUST_200600_302600_NS6detail15normal_iteratorINS9_10device_ptrItEEEENS9_16discard_iteratorINS9_11use_defaultEEEt11max_functorItEtEEDaPvRmT3_T4_T5_mT6_P12ihipStream_tbENKUlT_T0_E_clISt17integral_constantIbLb1EESX_EEDaSS_ST_EUlSS_E0_NS1_11comp_targetILNS1_3genE10ELNS1_11target_archE1201ELNS1_3gpuE5ELNS1_3repE0EEENS1_30default_config_static_selectorELNS0_4arch9wavefront6targetE1EEEvT1_
	.globl	_ZN7rocprim17ROCPRIM_400000_NS6detail17trampoline_kernelINS0_14default_configENS1_20scan_config_selectorItEEZZNS1_9scan_implILNS1_25lookback_scan_determinismE0ELb0ELb0ES3_N6thrust23THRUST_200600_302600_NS6detail15normal_iteratorINS9_10device_ptrItEEEENS9_16discard_iteratorINS9_11use_defaultEEEt11max_functorItEtEEDaPvRmT3_T4_T5_mT6_P12ihipStream_tbENKUlT_T0_E_clISt17integral_constantIbLb1EESX_EEDaSS_ST_EUlSS_E0_NS1_11comp_targetILNS1_3genE10ELNS1_11target_archE1201ELNS1_3gpuE5ELNS1_3repE0EEENS1_30default_config_static_selectorELNS0_4arch9wavefront6targetE1EEEvT1_
	.p2align	8
	.type	_ZN7rocprim17ROCPRIM_400000_NS6detail17trampoline_kernelINS0_14default_configENS1_20scan_config_selectorItEEZZNS1_9scan_implILNS1_25lookback_scan_determinismE0ELb0ELb0ES3_N6thrust23THRUST_200600_302600_NS6detail15normal_iteratorINS9_10device_ptrItEEEENS9_16discard_iteratorINS9_11use_defaultEEEt11max_functorItEtEEDaPvRmT3_T4_T5_mT6_P12ihipStream_tbENKUlT_T0_E_clISt17integral_constantIbLb1EESX_EEDaSS_ST_EUlSS_E0_NS1_11comp_targetILNS1_3genE10ELNS1_11target_archE1201ELNS1_3gpuE5ELNS1_3repE0EEENS1_30default_config_static_selectorELNS0_4arch9wavefront6targetE1EEEvT1_,@function
_ZN7rocprim17ROCPRIM_400000_NS6detail17trampoline_kernelINS0_14default_configENS1_20scan_config_selectorItEEZZNS1_9scan_implILNS1_25lookback_scan_determinismE0ELb0ELb0ES3_N6thrust23THRUST_200600_302600_NS6detail15normal_iteratorINS9_10device_ptrItEEEENS9_16discard_iteratorINS9_11use_defaultEEEt11max_functorItEtEEDaPvRmT3_T4_T5_mT6_P12ihipStream_tbENKUlT_T0_E_clISt17integral_constantIbLb1EESX_EEDaSS_ST_EUlSS_E0_NS1_11comp_targetILNS1_3genE10ELNS1_11target_archE1201ELNS1_3gpuE5ELNS1_3repE0EEENS1_30default_config_static_selectorELNS0_4arch9wavefront6targetE1EEEvT1_: ; @_ZN7rocprim17ROCPRIM_400000_NS6detail17trampoline_kernelINS0_14default_configENS1_20scan_config_selectorItEEZZNS1_9scan_implILNS1_25lookback_scan_determinismE0ELb0ELb0ES3_N6thrust23THRUST_200600_302600_NS6detail15normal_iteratorINS9_10device_ptrItEEEENS9_16discard_iteratorINS9_11use_defaultEEEt11max_functorItEtEEDaPvRmT3_T4_T5_mT6_P12ihipStream_tbENKUlT_T0_E_clISt17integral_constantIbLb1EESX_EEDaSS_ST_EUlSS_E0_NS1_11comp_targetILNS1_3genE10ELNS1_11target_archE1201ELNS1_3gpuE5ELNS1_3repE0EEENS1_30default_config_static_selectorELNS0_4arch9wavefront6targetE1EEEvT1_
; %bb.0:
	.section	.rodata,"a",@progbits
	.p2align	6, 0x0
	.amdhsa_kernel _ZN7rocprim17ROCPRIM_400000_NS6detail17trampoline_kernelINS0_14default_configENS1_20scan_config_selectorItEEZZNS1_9scan_implILNS1_25lookback_scan_determinismE0ELb0ELb0ES3_N6thrust23THRUST_200600_302600_NS6detail15normal_iteratorINS9_10device_ptrItEEEENS9_16discard_iteratorINS9_11use_defaultEEEt11max_functorItEtEEDaPvRmT3_T4_T5_mT6_P12ihipStream_tbENKUlT_T0_E_clISt17integral_constantIbLb1EESX_EEDaSS_ST_EUlSS_E0_NS1_11comp_targetILNS1_3genE10ELNS1_11target_archE1201ELNS1_3gpuE5ELNS1_3repE0EEENS1_30default_config_static_selectorELNS0_4arch9wavefront6targetE1EEEvT1_
		.amdhsa_group_segment_fixed_size 0
		.amdhsa_private_segment_fixed_size 0
		.amdhsa_kernarg_size 40
		.amdhsa_user_sgpr_count 6
		.amdhsa_user_sgpr_private_segment_buffer 1
		.amdhsa_user_sgpr_dispatch_ptr 0
		.amdhsa_user_sgpr_queue_ptr 0
		.amdhsa_user_sgpr_kernarg_segment_ptr 1
		.amdhsa_user_sgpr_dispatch_id 0
		.amdhsa_user_sgpr_flat_scratch_init 0
		.amdhsa_user_sgpr_kernarg_preload_length 0
		.amdhsa_user_sgpr_kernarg_preload_offset 0
		.amdhsa_user_sgpr_private_segment_size 0
		.amdhsa_uses_dynamic_stack 0
		.amdhsa_system_sgpr_private_segment_wavefront_offset 0
		.amdhsa_system_sgpr_workgroup_id_x 1
		.amdhsa_system_sgpr_workgroup_id_y 0
		.amdhsa_system_sgpr_workgroup_id_z 0
		.amdhsa_system_sgpr_workgroup_info 0
		.amdhsa_system_vgpr_workitem_id 0
		.amdhsa_next_free_vgpr 1
		.amdhsa_next_free_sgpr 0
		.amdhsa_accum_offset 4
		.amdhsa_reserve_vcc 0
		.amdhsa_reserve_flat_scratch 0
		.amdhsa_float_round_mode_32 0
		.amdhsa_float_round_mode_16_64 0
		.amdhsa_float_denorm_mode_32 3
		.amdhsa_float_denorm_mode_16_64 3
		.amdhsa_dx10_clamp 1
		.amdhsa_ieee_mode 1
		.amdhsa_fp16_overflow 0
		.amdhsa_tg_split 0
		.amdhsa_exception_fp_ieee_invalid_op 0
		.amdhsa_exception_fp_denorm_src 0
		.amdhsa_exception_fp_ieee_div_zero 0
		.amdhsa_exception_fp_ieee_overflow 0
		.amdhsa_exception_fp_ieee_underflow 0
		.amdhsa_exception_fp_ieee_inexact 0
		.amdhsa_exception_int_div_zero 0
	.end_amdhsa_kernel
	.section	.text._ZN7rocprim17ROCPRIM_400000_NS6detail17trampoline_kernelINS0_14default_configENS1_20scan_config_selectorItEEZZNS1_9scan_implILNS1_25lookback_scan_determinismE0ELb0ELb0ES3_N6thrust23THRUST_200600_302600_NS6detail15normal_iteratorINS9_10device_ptrItEEEENS9_16discard_iteratorINS9_11use_defaultEEEt11max_functorItEtEEDaPvRmT3_T4_T5_mT6_P12ihipStream_tbENKUlT_T0_E_clISt17integral_constantIbLb1EESX_EEDaSS_ST_EUlSS_E0_NS1_11comp_targetILNS1_3genE10ELNS1_11target_archE1201ELNS1_3gpuE5ELNS1_3repE0EEENS1_30default_config_static_selectorELNS0_4arch9wavefront6targetE1EEEvT1_,"axG",@progbits,_ZN7rocprim17ROCPRIM_400000_NS6detail17trampoline_kernelINS0_14default_configENS1_20scan_config_selectorItEEZZNS1_9scan_implILNS1_25lookback_scan_determinismE0ELb0ELb0ES3_N6thrust23THRUST_200600_302600_NS6detail15normal_iteratorINS9_10device_ptrItEEEENS9_16discard_iteratorINS9_11use_defaultEEEt11max_functorItEtEEDaPvRmT3_T4_T5_mT6_P12ihipStream_tbENKUlT_T0_E_clISt17integral_constantIbLb1EESX_EEDaSS_ST_EUlSS_E0_NS1_11comp_targetILNS1_3genE10ELNS1_11target_archE1201ELNS1_3gpuE5ELNS1_3repE0EEENS1_30default_config_static_selectorELNS0_4arch9wavefront6targetE1EEEvT1_,comdat
.Lfunc_end3598:
	.size	_ZN7rocprim17ROCPRIM_400000_NS6detail17trampoline_kernelINS0_14default_configENS1_20scan_config_selectorItEEZZNS1_9scan_implILNS1_25lookback_scan_determinismE0ELb0ELb0ES3_N6thrust23THRUST_200600_302600_NS6detail15normal_iteratorINS9_10device_ptrItEEEENS9_16discard_iteratorINS9_11use_defaultEEEt11max_functorItEtEEDaPvRmT3_T4_T5_mT6_P12ihipStream_tbENKUlT_T0_E_clISt17integral_constantIbLb1EESX_EEDaSS_ST_EUlSS_E0_NS1_11comp_targetILNS1_3genE10ELNS1_11target_archE1201ELNS1_3gpuE5ELNS1_3repE0EEENS1_30default_config_static_selectorELNS0_4arch9wavefront6targetE1EEEvT1_, .Lfunc_end3598-_ZN7rocprim17ROCPRIM_400000_NS6detail17trampoline_kernelINS0_14default_configENS1_20scan_config_selectorItEEZZNS1_9scan_implILNS1_25lookback_scan_determinismE0ELb0ELb0ES3_N6thrust23THRUST_200600_302600_NS6detail15normal_iteratorINS9_10device_ptrItEEEENS9_16discard_iteratorINS9_11use_defaultEEEt11max_functorItEtEEDaPvRmT3_T4_T5_mT6_P12ihipStream_tbENKUlT_T0_E_clISt17integral_constantIbLb1EESX_EEDaSS_ST_EUlSS_E0_NS1_11comp_targetILNS1_3genE10ELNS1_11target_archE1201ELNS1_3gpuE5ELNS1_3repE0EEENS1_30default_config_static_selectorELNS0_4arch9wavefront6targetE1EEEvT1_
                                        ; -- End function
	.section	.AMDGPU.csdata,"",@progbits
; Kernel info:
; codeLenInByte = 0
; NumSgprs: 4
; NumVgprs: 0
; NumAgprs: 0
; TotalNumVgprs: 0
; ScratchSize: 0
; MemoryBound: 0
; FloatMode: 240
; IeeeMode: 1
; LDSByteSize: 0 bytes/workgroup (compile time only)
; SGPRBlocks: 0
; VGPRBlocks: 0
; NumSGPRsForWavesPerEU: 4
; NumVGPRsForWavesPerEU: 1
; AccumOffset: 4
; Occupancy: 8
; WaveLimiterHint : 0
; COMPUTE_PGM_RSRC2:SCRATCH_EN: 0
; COMPUTE_PGM_RSRC2:USER_SGPR: 6
; COMPUTE_PGM_RSRC2:TRAP_HANDLER: 0
; COMPUTE_PGM_RSRC2:TGID_X_EN: 1
; COMPUTE_PGM_RSRC2:TGID_Y_EN: 0
; COMPUTE_PGM_RSRC2:TGID_Z_EN: 0
; COMPUTE_PGM_RSRC2:TIDIG_COMP_CNT: 0
; COMPUTE_PGM_RSRC3_GFX90A:ACCUM_OFFSET: 0
; COMPUTE_PGM_RSRC3_GFX90A:TG_SPLIT: 0
	.section	.text._ZN7rocprim17ROCPRIM_400000_NS6detail17trampoline_kernelINS0_14default_configENS1_20scan_config_selectorItEEZZNS1_9scan_implILNS1_25lookback_scan_determinismE0ELb0ELb0ES3_N6thrust23THRUST_200600_302600_NS6detail15normal_iteratorINS9_10device_ptrItEEEENS9_16discard_iteratorINS9_11use_defaultEEEt11max_functorItEtEEDaPvRmT3_T4_T5_mT6_P12ihipStream_tbENKUlT_T0_E_clISt17integral_constantIbLb1EESX_EEDaSS_ST_EUlSS_E0_NS1_11comp_targetILNS1_3genE10ELNS1_11target_archE1200ELNS1_3gpuE4ELNS1_3repE0EEENS1_30default_config_static_selectorELNS0_4arch9wavefront6targetE1EEEvT1_,"axG",@progbits,_ZN7rocprim17ROCPRIM_400000_NS6detail17trampoline_kernelINS0_14default_configENS1_20scan_config_selectorItEEZZNS1_9scan_implILNS1_25lookback_scan_determinismE0ELb0ELb0ES3_N6thrust23THRUST_200600_302600_NS6detail15normal_iteratorINS9_10device_ptrItEEEENS9_16discard_iteratorINS9_11use_defaultEEEt11max_functorItEtEEDaPvRmT3_T4_T5_mT6_P12ihipStream_tbENKUlT_T0_E_clISt17integral_constantIbLb1EESX_EEDaSS_ST_EUlSS_E0_NS1_11comp_targetILNS1_3genE10ELNS1_11target_archE1200ELNS1_3gpuE4ELNS1_3repE0EEENS1_30default_config_static_selectorELNS0_4arch9wavefront6targetE1EEEvT1_,comdat
	.protected	_ZN7rocprim17ROCPRIM_400000_NS6detail17trampoline_kernelINS0_14default_configENS1_20scan_config_selectorItEEZZNS1_9scan_implILNS1_25lookback_scan_determinismE0ELb0ELb0ES3_N6thrust23THRUST_200600_302600_NS6detail15normal_iteratorINS9_10device_ptrItEEEENS9_16discard_iteratorINS9_11use_defaultEEEt11max_functorItEtEEDaPvRmT3_T4_T5_mT6_P12ihipStream_tbENKUlT_T0_E_clISt17integral_constantIbLb1EESX_EEDaSS_ST_EUlSS_E0_NS1_11comp_targetILNS1_3genE10ELNS1_11target_archE1200ELNS1_3gpuE4ELNS1_3repE0EEENS1_30default_config_static_selectorELNS0_4arch9wavefront6targetE1EEEvT1_ ; -- Begin function _ZN7rocprim17ROCPRIM_400000_NS6detail17trampoline_kernelINS0_14default_configENS1_20scan_config_selectorItEEZZNS1_9scan_implILNS1_25lookback_scan_determinismE0ELb0ELb0ES3_N6thrust23THRUST_200600_302600_NS6detail15normal_iteratorINS9_10device_ptrItEEEENS9_16discard_iteratorINS9_11use_defaultEEEt11max_functorItEtEEDaPvRmT3_T4_T5_mT6_P12ihipStream_tbENKUlT_T0_E_clISt17integral_constantIbLb1EESX_EEDaSS_ST_EUlSS_E0_NS1_11comp_targetILNS1_3genE10ELNS1_11target_archE1200ELNS1_3gpuE4ELNS1_3repE0EEENS1_30default_config_static_selectorELNS0_4arch9wavefront6targetE1EEEvT1_
	.globl	_ZN7rocprim17ROCPRIM_400000_NS6detail17trampoline_kernelINS0_14default_configENS1_20scan_config_selectorItEEZZNS1_9scan_implILNS1_25lookback_scan_determinismE0ELb0ELb0ES3_N6thrust23THRUST_200600_302600_NS6detail15normal_iteratorINS9_10device_ptrItEEEENS9_16discard_iteratorINS9_11use_defaultEEEt11max_functorItEtEEDaPvRmT3_T4_T5_mT6_P12ihipStream_tbENKUlT_T0_E_clISt17integral_constantIbLb1EESX_EEDaSS_ST_EUlSS_E0_NS1_11comp_targetILNS1_3genE10ELNS1_11target_archE1200ELNS1_3gpuE4ELNS1_3repE0EEENS1_30default_config_static_selectorELNS0_4arch9wavefront6targetE1EEEvT1_
	.p2align	8
	.type	_ZN7rocprim17ROCPRIM_400000_NS6detail17trampoline_kernelINS0_14default_configENS1_20scan_config_selectorItEEZZNS1_9scan_implILNS1_25lookback_scan_determinismE0ELb0ELb0ES3_N6thrust23THRUST_200600_302600_NS6detail15normal_iteratorINS9_10device_ptrItEEEENS9_16discard_iteratorINS9_11use_defaultEEEt11max_functorItEtEEDaPvRmT3_T4_T5_mT6_P12ihipStream_tbENKUlT_T0_E_clISt17integral_constantIbLb1EESX_EEDaSS_ST_EUlSS_E0_NS1_11comp_targetILNS1_3genE10ELNS1_11target_archE1200ELNS1_3gpuE4ELNS1_3repE0EEENS1_30default_config_static_selectorELNS0_4arch9wavefront6targetE1EEEvT1_,@function
_ZN7rocprim17ROCPRIM_400000_NS6detail17trampoline_kernelINS0_14default_configENS1_20scan_config_selectorItEEZZNS1_9scan_implILNS1_25lookback_scan_determinismE0ELb0ELb0ES3_N6thrust23THRUST_200600_302600_NS6detail15normal_iteratorINS9_10device_ptrItEEEENS9_16discard_iteratorINS9_11use_defaultEEEt11max_functorItEtEEDaPvRmT3_T4_T5_mT6_P12ihipStream_tbENKUlT_T0_E_clISt17integral_constantIbLb1EESX_EEDaSS_ST_EUlSS_E0_NS1_11comp_targetILNS1_3genE10ELNS1_11target_archE1200ELNS1_3gpuE4ELNS1_3repE0EEENS1_30default_config_static_selectorELNS0_4arch9wavefront6targetE1EEEvT1_: ; @_ZN7rocprim17ROCPRIM_400000_NS6detail17trampoline_kernelINS0_14default_configENS1_20scan_config_selectorItEEZZNS1_9scan_implILNS1_25lookback_scan_determinismE0ELb0ELb0ES3_N6thrust23THRUST_200600_302600_NS6detail15normal_iteratorINS9_10device_ptrItEEEENS9_16discard_iteratorINS9_11use_defaultEEEt11max_functorItEtEEDaPvRmT3_T4_T5_mT6_P12ihipStream_tbENKUlT_T0_E_clISt17integral_constantIbLb1EESX_EEDaSS_ST_EUlSS_E0_NS1_11comp_targetILNS1_3genE10ELNS1_11target_archE1200ELNS1_3gpuE4ELNS1_3repE0EEENS1_30default_config_static_selectorELNS0_4arch9wavefront6targetE1EEEvT1_
; %bb.0:
	.section	.rodata,"a",@progbits
	.p2align	6, 0x0
	.amdhsa_kernel _ZN7rocprim17ROCPRIM_400000_NS6detail17trampoline_kernelINS0_14default_configENS1_20scan_config_selectorItEEZZNS1_9scan_implILNS1_25lookback_scan_determinismE0ELb0ELb0ES3_N6thrust23THRUST_200600_302600_NS6detail15normal_iteratorINS9_10device_ptrItEEEENS9_16discard_iteratorINS9_11use_defaultEEEt11max_functorItEtEEDaPvRmT3_T4_T5_mT6_P12ihipStream_tbENKUlT_T0_E_clISt17integral_constantIbLb1EESX_EEDaSS_ST_EUlSS_E0_NS1_11comp_targetILNS1_3genE10ELNS1_11target_archE1200ELNS1_3gpuE4ELNS1_3repE0EEENS1_30default_config_static_selectorELNS0_4arch9wavefront6targetE1EEEvT1_
		.amdhsa_group_segment_fixed_size 0
		.amdhsa_private_segment_fixed_size 0
		.amdhsa_kernarg_size 40
		.amdhsa_user_sgpr_count 6
		.amdhsa_user_sgpr_private_segment_buffer 1
		.amdhsa_user_sgpr_dispatch_ptr 0
		.amdhsa_user_sgpr_queue_ptr 0
		.amdhsa_user_sgpr_kernarg_segment_ptr 1
		.amdhsa_user_sgpr_dispatch_id 0
		.amdhsa_user_sgpr_flat_scratch_init 0
		.amdhsa_user_sgpr_kernarg_preload_length 0
		.amdhsa_user_sgpr_kernarg_preload_offset 0
		.amdhsa_user_sgpr_private_segment_size 0
		.amdhsa_uses_dynamic_stack 0
		.amdhsa_system_sgpr_private_segment_wavefront_offset 0
		.amdhsa_system_sgpr_workgroup_id_x 1
		.amdhsa_system_sgpr_workgroup_id_y 0
		.amdhsa_system_sgpr_workgroup_id_z 0
		.amdhsa_system_sgpr_workgroup_info 0
		.amdhsa_system_vgpr_workitem_id 0
		.amdhsa_next_free_vgpr 1
		.amdhsa_next_free_sgpr 0
		.amdhsa_accum_offset 4
		.amdhsa_reserve_vcc 0
		.amdhsa_reserve_flat_scratch 0
		.amdhsa_float_round_mode_32 0
		.amdhsa_float_round_mode_16_64 0
		.amdhsa_float_denorm_mode_32 3
		.amdhsa_float_denorm_mode_16_64 3
		.amdhsa_dx10_clamp 1
		.amdhsa_ieee_mode 1
		.amdhsa_fp16_overflow 0
		.amdhsa_tg_split 0
		.amdhsa_exception_fp_ieee_invalid_op 0
		.amdhsa_exception_fp_denorm_src 0
		.amdhsa_exception_fp_ieee_div_zero 0
		.amdhsa_exception_fp_ieee_overflow 0
		.amdhsa_exception_fp_ieee_underflow 0
		.amdhsa_exception_fp_ieee_inexact 0
		.amdhsa_exception_int_div_zero 0
	.end_amdhsa_kernel
	.section	.text._ZN7rocprim17ROCPRIM_400000_NS6detail17trampoline_kernelINS0_14default_configENS1_20scan_config_selectorItEEZZNS1_9scan_implILNS1_25lookback_scan_determinismE0ELb0ELb0ES3_N6thrust23THRUST_200600_302600_NS6detail15normal_iteratorINS9_10device_ptrItEEEENS9_16discard_iteratorINS9_11use_defaultEEEt11max_functorItEtEEDaPvRmT3_T4_T5_mT6_P12ihipStream_tbENKUlT_T0_E_clISt17integral_constantIbLb1EESX_EEDaSS_ST_EUlSS_E0_NS1_11comp_targetILNS1_3genE10ELNS1_11target_archE1200ELNS1_3gpuE4ELNS1_3repE0EEENS1_30default_config_static_selectorELNS0_4arch9wavefront6targetE1EEEvT1_,"axG",@progbits,_ZN7rocprim17ROCPRIM_400000_NS6detail17trampoline_kernelINS0_14default_configENS1_20scan_config_selectorItEEZZNS1_9scan_implILNS1_25lookback_scan_determinismE0ELb0ELb0ES3_N6thrust23THRUST_200600_302600_NS6detail15normal_iteratorINS9_10device_ptrItEEEENS9_16discard_iteratorINS9_11use_defaultEEEt11max_functorItEtEEDaPvRmT3_T4_T5_mT6_P12ihipStream_tbENKUlT_T0_E_clISt17integral_constantIbLb1EESX_EEDaSS_ST_EUlSS_E0_NS1_11comp_targetILNS1_3genE10ELNS1_11target_archE1200ELNS1_3gpuE4ELNS1_3repE0EEENS1_30default_config_static_selectorELNS0_4arch9wavefront6targetE1EEEvT1_,comdat
.Lfunc_end3599:
	.size	_ZN7rocprim17ROCPRIM_400000_NS6detail17trampoline_kernelINS0_14default_configENS1_20scan_config_selectorItEEZZNS1_9scan_implILNS1_25lookback_scan_determinismE0ELb0ELb0ES3_N6thrust23THRUST_200600_302600_NS6detail15normal_iteratorINS9_10device_ptrItEEEENS9_16discard_iteratorINS9_11use_defaultEEEt11max_functorItEtEEDaPvRmT3_T4_T5_mT6_P12ihipStream_tbENKUlT_T0_E_clISt17integral_constantIbLb1EESX_EEDaSS_ST_EUlSS_E0_NS1_11comp_targetILNS1_3genE10ELNS1_11target_archE1200ELNS1_3gpuE4ELNS1_3repE0EEENS1_30default_config_static_selectorELNS0_4arch9wavefront6targetE1EEEvT1_, .Lfunc_end3599-_ZN7rocprim17ROCPRIM_400000_NS6detail17trampoline_kernelINS0_14default_configENS1_20scan_config_selectorItEEZZNS1_9scan_implILNS1_25lookback_scan_determinismE0ELb0ELb0ES3_N6thrust23THRUST_200600_302600_NS6detail15normal_iteratorINS9_10device_ptrItEEEENS9_16discard_iteratorINS9_11use_defaultEEEt11max_functorItEtEEDaPvRmT3_T4_T5_mT6_P12ihipStream_tbENKUlT_T0_E_clISt17integral_constantIbLb1EESX_EEDaSS_ST_EUlSS_E0_NS1_11comp_targetILNS1_3genE10ELNS1_11target_archE1200ELNS1_3gpuE4ELNS1_3repE0EEENS1_30default_config_static_selectorELNS0_4arch9wavefront6targetE1EEEvT1_
                                        ; -- End function
	.section	.AMDGPU.csdata,"",@progbits
; Kernel info:
; codeLenInByte = 0
; NumSgprs: 4
; NumVgprs: 0
; NumAgprs: 0
; TotalNumVgprs: 0
; ScratchSize: 0
; MemoryBound: 0
; FloatMode: 240
; IeeeMode: 1
; LDSByteSize: 0 bytes/workgroup (compile time only)
; SGPRBlocks: 0
; VGPRBlocks: 0
; NumSGPRsForWavesPerEU: 4
; NumVGPRsForWavesPerEU: 1
; AccumOffset: 4
; Occupancy: 8
; WaveLimiterHint : 0
; COMPUTE_PGM_RSRC2:SCRATCH_EN: 0
; COMPUTE_PGM_RSRC2:USER_SGPR: 6
; COMPUTE_PGM_RSRC2:TRAP_HANDLER: 0
; COMPUTE_PGM_RSRC2:TGID_X_EN: 1
; COMPUTE_PGM_RSRC2:TGID_Y_EN: 0
; COMPUTE_PGM_RSRC2:TGID_Z_EN: 0
; COMPUTE_PGM_RSRC2:TIDIG_COMP_CNT: 0
; COMPUTE_PGM_RSRC3_GFX90A:ACCUM_OFFSET: 0
; COMPUTE_PGM_RSRC3_GFX90A:TG_SPLIT: 0
	.section	.text._ZN7rocprim17ROCPRIM_400000_NS6detail17trampoline_kernelINS0_14default_configENS1_20scan_config_selectorItEEZZNS1_9scan_implILNS1_25lookback_scan_determinismE0ELb0ELb0ES3_N6thrust23THRUST_200600_302600_NS6detail15normal_iteratorINS9_10device_ptrItEEEENS9_16discard_iteratorINS9_11use_defaultEEEt11max_functorItEtEEDaPvRmT3_T4_T5_mT6_P12ihipStream_tbENKUlT_T0_E_clISt17integral_constantIbLb1EESX_EEDaSS_ST_EUlSS_E0_NS1_11comp_targetILNS1_3genE9ELNS1_11target_archE1100ELNS1_3gpuE3ELNS1_3repE0EEENS1_30default_config_static_selectorELNS0_4arch9wavefront6targetE1EEEvT1_,"axG",@progbits,_ZN7rocprim17ROCPRIM_400000_NS6detail17trampoline_kernelINS0_14default_configENS1_20scan_config_selectorItEEZZNS1_9scan_implILNS1_25lookback_scan_determinismE0ELb0ELb0ES3_N6thrust23THRUST_200600_302600_NS6detail15normal_iteratorINS9_10device_ptrItEEEENS9_16discard_iteratorINS9_11use_defaultEEEt11max_functorItEtEEDaPvRmT3_T4_T5_mT6_P12ihipStream_tbENKUlT_T0_E_clISt17integral_constantIbLb1EESX_EEDaSS_ST_EUlSS_E0_NS1_11comp_targetILNS1_3genE9ELNS1_11target_archE1100ELNS1_3gpuE3ELNS1_3repE0EEENS1_30default_config_static_selectorELNS0_4arch9wavefront6targetE1EEEvT1_,comdat
	.protected	_ZN7rocprim17ROCPRIM_400000_NS6detail17trampoline_kernelINS0_14default_configENS1_20scan_config_selectorItEEZZNS1_9scan_implILNS1_25lookback_scan_determinismE0ELb0ELb0ES3_N6thrust23THRUST_200600_302600_NS6detail15normal_iteratorINS9_10device_ptrItEEEENS9_16discard_iteratorINS9_11use_defaultEEEt11max_functorItEtEEDaPvRmT3_T4_T5_mT6_P12ihipStream_tbENKUlT_T0_E_clISt17integral_constantIbLb1EESX_EEDaSS_ST_EUlSS_E0_NS1_11comp_targetILNS1_3genE9ELNS1_11target_archE1100ELNS1_3gpuE3ELNS1_3repE0EEENS1_30default_config_static_selectorELNS0_4arch9wavefront6targetE1EEEvT1_ ; -- Begin function _ZN7rocprim17ROCPRIM_400000_NS6detail17trampoline_kernelINS0_14default_configENS1_20scan_config_selectorItEEZZNS1_9scan_implILNS1_25lookback_scan_determinismE0ELb0ELb0ES3_N6thrust23THRUST_200600_302600_NS6detail15normal_iteratorINS9_10device_ptrItEEEENS9_16discard_iteratorINS9_11use_defaultEEEt11max_functorItEtEEDaPvRmT3_T4_T5_mT6_P12ihipStream_tbENKUlT_T0_E_clISt17integral_constantIbLb1EESX_EEDaSS_ST_EUlSS_E0_NS1_11comp_targetILNS1_3genE9ELNS1_11target_archE1100ELNS1_3gpuE3ELNS1_3repE0EEENS1_30default_config_static_selectorELNS0_4arch9wavefront6targetE1EEEvT1_
	.globl	_ZN7rocprim17ROCPRIM_400000_NS6detail17trampoline_kernelINS0_14default_configENS1_20scan_config_selectorItEEZZNS1_9scan_implILNS1_25lookback_scan_determinismE0ELb0ELb0ES3_N6thrust23THRUST_200600_302600_NS6detail15normal_iteratorINS9_10device_ptrItEEEENS9_16discard_iteratorINS9_11use_defaultEEEt11max_functorItEtEEDaPvRmT3_T4_T5_mT6_P12ihipStream_tbENKUlT_T0_E_clISt17integral_constantIbLb1EESX_EEDaSS_ST_EUlSS_E0_NS1_11comp_targetILNS1_3genE9ELNS1_11target_archE1100ELNS1_3gpuE3ELNS1_3repE0EEENS1_30default_config_static_selectorELNS0_4arch9wavefront6targetE1EEEvT1_
	.p2align	8
	.type	_ZN7rocprim17ROCPRIM_400000_NS6detail17trampoline_kernelINS0_14default_configENS1_20scan_config_selectorItEEZZNS1_9scan_implILNS1_25lookback_scan_determinismE0ELb0ELb0ES3_N6thrust23THRUST_200600_302600_NS6detail15normal_iteratorINS9_10device_ptrItEEEENS9_16discard_iteratorINS9_11use_defaultEEEt11max_functorItEtEEDaPvRmT3_T4_T5_mT6_P12ihipStream_tbENKUlT_T0_E_clISt17integral_constantIbLb1EESX_EEDaSS_ST_EUlSS_E0_NS1_11comp_targetILNS1_3genE9ELNS1_11target_archE1100ELNS1_3gpuE3ELNS1_3repE0EEENS1_30default_config_static_selectorELNS0_4arch9wavefront6targetE1EEEvT1_,@function
_ZN7rocprim17ROCPRIM_400000_NS6detail17trampoline_kernelINS0_14default_configENS1_20scan_config_selectorItEEZZNS1_9scan_implILNS1_25lookback_scan_determinismE0ELb0ELb0ES3_N6thrust23THRUST_200600_302600_NS6detail15normal_iteratorINS9_10device_ptrItEEEENS9_16discard_iteratorINS9_11use_defaultEEEt11max_functorItEtEEDaPvRmT3_T4_T5_mT6_P12ihipStream_tbENKUlT_T0_E_clISt17integral_constantIbLb1EESX_EEDaSS_ST_EUlSS_E0_NS1_11comp_targetILNS1_3genE9ELNS1_11target_archE1100ELNS1_3gpuE3ELNS1_3repE0EEENS1_30default_config_static_selectorELNS0_4arch9wavefront6targetE1EEEvT1_: ; @_ZN7rocprim17ROCPRIM_400000_NS6detail17trampoline_kernelINS0_14default_configENS1_20scan_config_selectorItEEZZNS1_9scan_implILNS1_25lookback_scan_determinismE0ELb0ELb0ES3_N6thrust23THRUST_200600_302600_NS6detail15normal_iteratorINS9_10device_ptrItEEEENS9_16discard_iteratorINS9_11use_defaultEEEt11max_functorItEtEEDaPvRmT3_T4_T5_mT6_P12ihipStream_tbENKUlT_T0_E_clISt17integral_constantIbLb1EESX_EEDaSS_ST_EUlSS_E0_NS1_11comp_targetILNS1_3genE9ELNS1_11target_archE1100ELNS1_3gpuE3ELNS1_3repE0EEENS1_30default_config_static_selectorELNS0_4arch9wavefront6targetE1EEEvT1_
; %bb.0:
	.section	.rodata,"a",@progbits
	.p2align	6, 0x0
	.amdhsa_kernel _ZN7rocprim17ROCPRIM_400000_NS6detail17trampoline_kernelINS0_14default_configENS1_20scan_config_selectorItEEZZNS1_9scan_implILNS1_25lookback_scan_determinismE0ELb0ELb0ES3_N6thrust23THRUST_200600_302600_NS6detail15normal_iteratorINS9_10device_ptrItEEEENS9_16discard_iteratorINS9_11use_defaultEEEt11max_functorItEtEEDaPvRmT3_T4_T5_mT6_P12ihipStream_tbENKUlT_T0_E_clISt17integral_constantIbLb1EESX_EEDaSS_ST_EUlSS_E0_NS1_11comp_targetILNS1_3genE9ELNS1_11target_archE1100ELNS1_3gpuE3ELNS1_3repE0EEENS1_30default_config_static_selectorELNS0_4arch9wavefront6targetE1EEEvT1_
		.amdhsa_group_segment_fixed_size 0
		.amdhsa_private_segment_fixed_size 0
		.amdhsa_kernarg_size 40
		.amdhsa_user_sgpr_count 6
		.amdhsa_user_sgpr_private_segment_buffer 1
		.amdhsa_user_sgpr_dispatch_ptr 0
		.amdhsa_user_sgpr_queue_ptr 0
		.amdhsa_user_sgpr_kernarg_segment_ptr 1
		.amdhsa_user_sgpr_dispatch_id 0
		.amdhsa_user_sgpr_flat_scratch_init 0
		.amdhsa_user_sgpr_kernarg_preload_length 0
		.amdhsa_user_sgpr_kernarg_preload_offset 0
		.amdhsa_user_sgpr_private_segment_size 0
		.amdhsa_uses_dynamic_stack 0
		.amdhsa_system_sgpr_private_segment_wavefront_offset 0
		.amdhsa_system_sgpr_workgroup_id_x 1
		.amdhsa_system_sgpr_workgroup_id_y 0
		.amdhsa_system_sgpr_workgroup_id_z 0
		.amdhsa_system_sgpr_workgroup_info 0
		.amdhsa_system_vgpr_workitem_id 0
		.amdhsa_next_free_vgpr 1
		.amdhsa_next_free_sgpr 0
		.amdhsa_accum_offset 4
		.amdhsa_reserve_vcc 0
		.amdhsa_reserve_flat_scratch 0
		.amdhsa_float_round_mode_32 0
		.amdhsa_float_round_mode_16_64 0
		.amdhsa_float_denorm_mode_32 3
		.amdhsa_float_denorm_mode_16_64 3
		.amdhsa_dx10_clamp 1
		.amdhsa_ieee_mode 1
		.amdhsa_fp16_overflow 0
		.amdhsa_tg_split 0
		.amdhsa_exception_fp_ieee_invalid_op 0
		.amdhsa_exception_fp_denorm_src 0
		.amdhsa_exception_fp_ieee_div_zero 0
		.amdhsa_exception_fp_ieee_overflow 0
		.amdhsa_exception_fp_ieee_underflow 0
		.amdhsa_exception_fp_ieee_inexact 0
		.amdhsa_exception_int_div_zero 0
	.end_amdhsa_kernel
	.section	.text._ZN7rocprim17ROCPRIM_400000_NS6detail17trampoline_kernelINS0_14default_configENS1_20scan_config_selectorItEEZZNS1_9scan_implILNS1_25lookback_scan_determinismE0ELb0ELb0ES3_N6thrust23THRUST_200600_302600_NS6detail15normal_iteratorINS9_10device_ptrItEEEENS9_16discard_iteratorINS9_11use_defaultEEEt11max_functorItEtEEDaPvRmT3_T4_T5_mT6_P12ihipStream_tbENKUlT_T0_E_clISt17integral_constantIbLb1EESX_EEDaSS_ST_EUlSS_E0_NS1_11comp_targetILNS1_3genE9ELNS1_11target_archE1100ELNS1_3gpuE3ELNS1_3repE0EEENS1_30default_config_static_selectorELNS0_4arch9wavefront6targetE1EEEvT1_,"axG",@progbits,_ZN7rocprim17ROCPRIM_400000_NS6detail17trampoline_kernelINS0_14default_configENS1_20scan_config_selectorItEEZZNS1_9scan_implILNS1_25lookback_scan_determinismE0ELb0ELb0ES3_N6thrust23THRUST_200600_302600_NS6detail15normal_iteratorINS9_10device_ptrItEEEENS9_16discard_iteratorINS9_11use_defaultEEEt11max_functorItEtEEDaPvRmT3_T4_T5_mT6_P12ihipStream_tbENKUlT_T0_E_clISt17integral_constantIbLb1EESX_EEDaSS_ST_EUlSS_E0_NS1_11comp_targetILNS1_3genE9ELNS1_11target_archE1100ELNS1_3gpuE3ELNS1_3repE0EEENS1_30default_config_static_selectorELNS0_4arch9wavefront6targetE1EEEvT1_,comdat
.Lfunc_end3600:
	.size	_ZN7rocprim17ROCPRIM_400000_NS6detail17trampoline_kernelINS0_14default_configENS1_20scan_config_selectorItEEZZNS1_9scan_implILNS1_25lookback_scan_determinismE0ELb0ELb0ES3_N6thrust23THRUST_200600_302600_NS6detail15normal_iteratorINS9_10device_ptrItEEEENS9_16discard_iteratorINS9_11use_defaultEEEt11max_functorItEtEEDaPvRmT3_T4_T5_mT6_P12ihipStream_tbENKUlT_T0_E_clISt17integral_constantIbLb1EESX_EEDaSS_ST_EUlSS_E0_NS1_11comp_targetILNS1_3genE9ELNS1_11target_archE1100ELNS1_3gpuE3ELNS1_3repE0EEENS1_30default_config_static_selectorELNS0_4arch9wavefront6targetE1EEEvT1_, .Lfunc_end3600-_ZN7rocprim17ROCPRIM_400000_NS6detail17trampoline_kernelINS0_14default_configENS1_20scan_config_selectorItEEZZNS1_9scan_implILNS1_25lookback_scan_determinismE0ELb0ELb0ES3_N6thrust23THRUST_200600_302600_NS6detail15normal_iteratorINS9_10device_ptrItEEEENS9_16discard_iteratorINS9_11use_defaultEEEt11max_functorItEtEEDaPvRmT3_T4_T5_mT6_P12ihipStream_tbENKUlT_T0_E_clISt17integral_constantIbLb1EESX_EEDaSS_ST_EUlSS_E0_NS1_11comp_targetILNS1_3genE9ELNS1_11target_archE1100ELNS1_3gpuE3ELNS1_3repE0EEENS1_30default_config_static_selectorELNS0_4arch9wavefront6targetE1EEEvT1_
                                        ; -- End function
	.section	.AMDGPU.csdata,"",@progbits
; Kernel info:
; codeLenInByte = 0
; NumSgprs: 4
; NumVgprs: 0
; NumAgprs: 0
; TotalNumVgprs: 0
; ScratchSize: 0
; MemoryBound: 0
; FloatMode: 240
; IeeeMode: 1
; LDSByteSize: 0 bytes/workgroup (compile time only)
; SGPRBlocks: 0
; VGPRBlocks: 0
; NumSGPRsForWavesPerEU: 4
; NumVGPRsForWavesPerEU: 1
; AccumOffset: 4
; Occupancy: 8
; WaveLimiterHint : 0
; COMPUTE_PGM_RSRC2:SCRATCH_EN: 0
; COMPUTE_PGM_RSRC2:USER_SGPR: 6
; COMPUTE_PGM_RSRC2:TRAP_HANDLER: 0
; COMPUTE_PGM_RSRC2:TGID_X_EN: 1
; COMPUTE_PGM_RSRC2:TGID_Y_EN: 0
; COMPUTE_PGM_RSRC2:TGID_Z_EN: 0
; COMPUTE_PGM_RSRC2:TIDIG_COMP_CNT: 0
; COMPUTE_PGM_RSRC3_GFX90A:ACCUM_OFFSET: 0
; COMPUTE_PGM_RSRC3_GFX90A:TG_SPLIT: 0
	.section	.text._ZN7rocprim17ROCPRIM_400000_NS6detail17trampoline_kernelINS0_14default_configENS1_20scan_config_selectorItEEZZNS1_9scan_implILNS1_25lookback_scan_determinismE0ELb0ELb0ES3_N6thrust23THRUST_200600_302600_NS6detail15normal_iteratorINS9_10device_ptrItEEEENS9_16discard_iteratorINS9_11use_defaultEEEt11max_functorItEtEEDaPvRmT3_T4_T5_mT6_P12ihipStream_tbENKUlT_T0_E_clISt17integral_constantIbLb1EESX_EEDaSS_ST_EUlSS_E0_NS1_11comp_targetILNS1_3genE8ELNS1_11target_archE1030ELNS1_3gpuE2ELNS1_3repE0EEENS1_30default_config_static_selectorELNS0_4arch9wavefront6targetE1EEEvT1_,"axG",@progbits,_ZN7rocprim17ROCPRIM_400000_NS6detail17trampoline_kernelINS0_14default_configENS1_20scan_config_selectorItEEZZNS1_9scan_implILNS1_25lookback_scan_determinismE0ELb0ELb0ES3_N6thrust23THRUST_200600_302600_NS6detail15normal_iteratorINS9_10device_ptrItEEEENS9_16discard_iteratorINS9_11use_defaultEEEt11max_functorItEtEEDaPvRmT3_T4_T5_mT6_P12ihipStream_tbENKUlT_T0_E_clISt17integral_constantIbLb1EESX_EEDaSS_ST_EUlSS_E0_NS1_11comp_targetILNS1_3genE8ELNS1_11target_archE1030ELNS1_3gpuE2ELNS1_3repE0EEENS1_30default_config_static_selectorELNS0_4arch9wavefront6targetE1EEEvT1_,comdat
	.protected	_ZN7rocprim17ROCPRIM_400000_NS6detail17trampoline_kernelINS0_14default_configENS1_20scan_config_selectorItEEZZNS1_9scan_implILNS1_25lookback_scan_determinismE0ELb0ELb0ES3_N6thrust23THRUST_200600_302600_NS6detail15normal_iteratorINS9_10device_ptrItEEEENS9_16discard_iteratorINS9_11use_defaultEEEt11max_functorItEtEEDaPvRmT3_T4_T5_mT6_P12ihipStream_tbENKUlT_T0_E_clISt17integral_constantIbLb1EESX_EEDaSS_ST_EUlSS_E0_NS1_11comp_targetILNS1_3genE8ELNS1_11target_archE1030ELNS1_3gpuE2ELNS1_3repE0EEENS1_30default_config_static_selectorELNS0_4arch9wavefront6targetE1EEEvT1_ ; -- Begin function _ZN7rocprim17ROCPRIM_400000_NS6detail17trampoline_kernelINS0_14default_configENS1_20scan_config_selectorItEEZZNS1_9scan_implILNS1_25lookback_scan_determinismE0ELb0ELb0ES3_N6thrust23THRUST_200600_302600_NS6detail15normal_iteratorINS9_10device_ptrItEEEENS9_16discard_iteratorINS9_11use_defaultEEEt11max_functorItEtEEDaPvRmT3_T4_T5_mT6_P12ihipStream_tbENKUlT_T0_E_clISt17integral_constantIbLb1EESX_EEDaSS_ST_EUlSS_E0_NS1_11comp_targetILNS1_3genE8ELNS1_11target_archE1030ELNS1_3gpuE2ELNS1_3repE0EEENS1_30default_config_static_selectorELNS0_4arch9wavefront6targetE1EEEvT1_
	.globl	_ZN7rocprim17ROCPRIM_400000_NS6detail17trampoline_kernelINS0_14default_configENS1_20scan_config_selectorItEEZZNS1_9scan_implILNS1_25lookback_scan_determinismE0ELb0ELb0ES3_N6thrust23THRUST_200600_302600_NS6detail15normal_iteratorINS9_10device_ptrItEEEENS9_16discard_iteratorINS9_11use_defaultEEEt11max_functorItEtEEDaPvRmT3_T4_T5_mT6_P12ihipStream_tbENKUlT_T0_E_clISt17integral_constantIbLb1EESX_EEDaSS_ST_EUlSS_E0_NS1_11comp_targetILNS1_3genE8ELNS1_11target_archE1030ELNS1_3gpuE2ELNS1_3repE0EEENS1_30default_config_static_selectorELNS0_4arch9wavefront6targetE1EEEvT1_
	.p2align	8
	.type	_ZN7rocprim17ROCPRIM_400000_NS6detail17trampoline_kernelINS0_14default_configENS1_20scan_config_selectorItEEZZNS1_9scan_implILNS1_25lookback_scan_determinismE0ELb0ELb0ES3_N6thrust23THRUST_200600_302600_NS6detail15normal_iteratorINS9_10device_ptrItEEEENS9_16discard_iteratorINS9_11use_defaultEEEt11max_functorItEtEEDaPvRmT3_T4_T5_mT6_P12ihipStream_tbENKUlT_T0_E_clISt17integral_constantIbLb1EESX_EEDaSS_ST_EUlSS_E0_NS1_11comp_targetILNS1_3genE8ELNS1_11target_archE1030ELNS1_3gpuE2ELNS1_3repE0EEENS1_30default_config_static_selectorELNS0_4arch9wavefront6targetE1EEEvT1_,@function
_ZN7rocprim17ROCPRIM_400000_NS6detail17trampoline_kernelINS0_14default_configENS1_20scan_config_selectorItEEZZNS1_9scan_implILNS1_25lookback_scan_determinismE0ELb0ELb0ES3_N6thrust23THRUST_200600_302600_NS6detail15normal_iteratorINS9_10device_ptrItEEEENS9_16discard_iteratorINS9_11use_defaultEEEt11max_functorItEtEEDaPvRmT3_T4_T5_mT6_P12ihipStream_tbENKUlT_T0_E_clISt17integral_constantIbLb1EESX_EEDaSS_ST_EUlSS_E0_NS1_11comp_targetILNS1_3genE8ELNS1_11target_archE1030ELNS1_3gpuE2ELNS1_3repE0EEENS1_30default_config_static_selectorELNS0_4arch9wavefront6targetE1EEEvT1_: ; @_ZN7rocprim17ROCPRIM_400000_NS6detail17trampoline_kernelINS0_14default_configENS1_20scan_config_selectorItEEZZNS1_9scan_implILNS1_25lookback_scan_determinismE0ELb0ELb0ES3_N6thrust23THRUST_200600_302600_NS6detail15normal_iteratorINS9_10device_ptrItEEEENS9_16discard_iteratorINS9_11use_defaultEEEt11max_functorItEtEEDaPvRmT3_T4_T5_mT6_P12ihipStream_tbENKUlT_T0_E_clISt17integral_constantIbLb1EESX_EEDaSS_ST_EUlSS_E0_NS1_11comp_targetILNS1_3genE8ELNS1_11target_archE1030ELNS1_3gpuE2ELNS1_3repE0EEENS1_30default_config_static_selectorELNS0_4arch9wavefront6targetE1EEEvT1_
; %bb.0:
	.section	.rodata,"a",@progbits
	.p2align	6, 0x0
	.amdhsa_kernel _ZN7rocprim17ROCPRIM_400000_NS6detail17trampoline_kernelINS0_14default_configENS1_20scan_config_selectorItEEZZNS1_9scan_implILNS1_25lookback_scan_determinismE0ELb0ELb0ES3_N6thrust23THRUST_200600_302600_NS6detail15normal_iteratorINS9_10device_ptrItEEEENS9_16discard_iteratorINS9_11use_defaultEEEt11max_functorItEtEEDaPvRmT3_T4_T5_mT6_P12ihipStream_tbENKUlT_T0_E_clISt17integral_constantIbLb1EESX_EEDaSS_ST_EUlSS_E0_NS1_11comp_targetILNS1_3genE8ELNS1_11target_archE1030ELNS1_3gpuE2ELNS1_3repE0EEENS1_30default_config_static_selectorELNS0_4arch9wavefront6targetE1EEEvT1_
		.amdhsa_group_segment_fixed_size 0
		.amdhsa_private_segment_fixed_size 0
		.amdhsa_kernarg_size 40
		.amdhsa_user_sgpr_count 6
		.amdhsa_user_sgpr_private_segment_buffer 1
		.amdhsa_user_sgpr_dispatch_ptr 0
		.amdhsa_user_sgpr_queue_ptr 0
		.amdhsa_user_sgpr_kernarg_segment_ptr 1
		.amdhsa_user_sgpr_dispatch_id 0
		.amdhsa_user_sgpr_flat_scratch_init 0
		.amdhsa_user_sgpr_kernarg_preload_length 0
		.amdhsa_user_sgpr_kernarg_preload_offset 0
		.amdhsa_user_sgpr_private_segment_size 0
		.amdhsa_uses_dynamic_stack 0
		.amdhsa_system_sgpr_private_segment_wavefront_offset 0
		.amdhsa_system_sgpr_workgroup_id_x 1
		.amdhsa_system_sgpr_workgroup_id_y 0
		.amdhsa_system_sgpr_workgroup_id_z 0
		.amdhsa_system_sgpr_workgroup_info 0
		.amdhsa_system_vgpr_workitem_id 0
		.amdhsa_next_free_vgpr 1
		.amdhsa_next_free_sgpr 0
		.amdhsa_accum_offset 4
		.amdhsa_reserve_vcc 0
		.amdhsa_reserve_flat_scratch 0
		.amdhsa_float_round_mode_32 0
		.amdhsa_float_round_mode_16_64 0
		.amdhsa_float_denorm_mode_32 3
		.amdhsa_float_denorm_mode_16_64 3
		.amdhsa_dx10_clamp 1
		.amdhsa_ieee_mode 1
		.amdhsa_fp16_overflow 0
		.amdhsa_tg_split 0
		.amdhsa_exception_fp_ieee_invalid_op 0
		.amdhsa_exception_fp_denorm_src 0
		.amdhsa_exception_fp_ieee_div_zero 0
		.amdhsa_exception_fp_ieee_overflow 0
		.amdhsa_exception_fp_ieee_underflow 0
		.amdhsa_exception_fp_ieee_inexact 0
		.amdhsa_exception_int_div_zero 0
	.end_amdhsa_kernel
	.section	.text._ZN7rocprim17ROCPRIM_400000_NS6detail17trampoline_kernelINS0_14default_configENS1_20scan_config_selectorItEEZZNS1_9scan_implILNS1_25lookback_scan_determinismE0ELb0ELb0ES3_N6thrust23THRUST_200600_302600_NS6detail15normal_iteratorINS9_10device_ptrItEEEENS9_16discard_iteratorINS9_11use_defaultEEEt11max_functorItEtEEDaPvRmT3_T4_T5_mT6_P12ihipStream_tbENKUlT_T0_E_clISt17integral_constantIbLb1EESX_EEDaSS_ST_EUlSS_E0_NS1_11comp_targetILNS1_3genE8ELNS1_11target_archE1030ELNS1_3gpuE2ELNS1_3repE0EEENS1_30default_config_static_selectorELNS0_4arch9wavefront6targetE1EEEvT1_,"axG",@progbits,_ZN7rocprim17ROCPRIM_400000_NS6detail17trampoline_kernelINS0_14default_configENS1_20scan_config_selectorItEEZZNS1_9scan_implILNS1_25lookback_scan_determinismE0ELb0ELb0ES3_N6thrust23THRUST_200600_302600_NS6detail15normal_iteratorINS9_10device_ptrItEEEENS9_16discard_iteratorINS9_11use_defaultEEEt11max_functorItEtEEDaPvRmT3_T4_T5_mT6_P12ihipStream_tbENKUlT_T0_E_clISt17integral_constantIbLb1EESX_EEDaSS_ST_EUlSS_E0_NS1_11comp_targetILNS1_3genE8ELNS1_11target_archE1030ELNS1_3gpuE2ELNS1_3repE0EEENS1_30default_config_static_selectorELNS0_4arch9wavefront6targetE1EEEvT1_,comdat
.Lfunc_end3601:
	.size	_ZN7rocprim17ROCPRIM_400000_NS6detail17trampoline_kernelINS0_14default_configENS1_20scan_config_selectorItEEZZNS1_9scan_implILNS1_25lookback_scan_determinismE0ELb0ELb0ES3_N6thrust23THRUST_200600_302600_NS6detail15normal_iteratorINS9_10device_ptrItEEEENS9_16discard_iteratorINS9_11use_defaultEEEt11max_functorItEtEEDaPvRmT3_T4_T5_mT6_P12ihipStream_tbENKUlT_T0_E_clISt17integral_constantIbLb1EESX_EEDaSS_ST_EUlSS_E0_NS1_11comp_targetILNS1_3genE8ELNS1_11target_archE1030ELNS1_3gpuE2ELNS1_3repE0EEENS1_30default_config_static_selectorELNS0_4arch9wavefront6targetE1EEEvT1_, .Lfunc_end3601-_ZN7rocprim17ROCPRIM_400000_NS6detail17trampoline_kernelINS0_14default_configENS1_20scan_config_selectorItEEZZNS1_9scan_implILNS1_25lookback_scan_determinismE0ELb0ELb0ES3_N6thrust23THRUST_200600_302600_NS6detail15normal_iteratorINS9_10device_ptrItEEEENS9_16discard_iteratorINS9_11use_defaultEEEt11max_functorItEtEEDaPvRmT3_T4_T5_mT6_P12ihipStream_tbENKUlT_T0_E_clISt17integral_constantIbLb1EESX_EEDaSS_ST_EUlSS_E0_NS1_11comp_targetILNS1_3genE8ELNS1_11target_archE1030ELNS1_3gpuE2ELNS1_3repE0EEENS1_30default_config_static_selectorELNS0_4arch9wavefront6targetE1EEEvT1_
                                        ; -- End function
	.section	.AMDGPU.csdata,"",@progbits
; Kernel info:
; codeLenInByte = 0
; NumSgprs: 4
; NumVgprs: 0
; NumAgprs: 0
; TotalNumVgprs: 0
; ScratchSize: 0
; MemoryBound: 0
; FloatMode: 240
; IeeeMode: 1
; LDSByteSize: 0 bytes/workgroup (compile time only)
; SGPRBlocks: 0
; VGPRBlocks: 0
; NumSGPRsForWavesPerEU: 4
; NumVGPRsForWavesPerEU: 1
; AccumOffset: 4
; Occupancy: 8
; WaveLimiterHint : 0
; COMPUTE_PGM_RSRC2:SCRATCH_EN: 0
; COMPUTE_PGM_RSRC2:USER_SGPR: 6
; COMPUTE_PGM_RSRC2:TRAP_HANDLER: 0
; COMPUTE_PGM_RSRC2:TGID_X_EN: 1
; COMPUTE_PGM_RSRC2:TGID_Y_EN: 0
; COMPUTE_PGM_RSRC2:TGID_Z_EN: 0
; COMPUTE_PGM_RSRC2:TIDIG_COMP_CNT: 0
; COMPUTE_PGM_RSRC3_GFX90A:ACCUM_OFFSET: 0
; COMPUTE_PGM_RSRC3_GFX90A:TG_SPLIT: 0
	.section	.text._ZN7rocprim17ROCPRIM_400000_NS6detail17trampoline_kernelINS0_14default_configENS1_20scan_config_selectorItEEZZNS1_9scan_implILNS1_25lookback_scan_determinismE0ELb0ELb0ES3_N6thrust23THRUST_200600_302600_NS6detail15normal_iteratorINS9_10device_ptrItEEEENS9_16discard_iteratorINS9_11use_defaultEEEt11max_functorItEtEEDaPvRmT3_T4_T5_mT6_P12ihipStream_tbENKUlT_T0_E_clISt17integral_constantIbLb1EESW_IbLb0EEEEDaSS_ST_EUlSS_E_NS1_11comp_targetILNS1_3genE0ELNS1_11target_archE4294967295ELNS1_3gpuE0ELNS1_3repE0EEENS1_30default_config_static_selectorELNS0_4arch9wavefront6targetE1EEEvT1_,"axG",@progbits,_ZN7rocprim17ROCPRIM_400000_NS6detail17trampoline_kernelINS0_14default_configENS1_20scan_config_selectorItEEZZNS1_9scan_implILNS1_25lookback_scan_determinismE0ELb0ELb0ES3_N6thrust23THRUST_200600_302600_NS6detail15normal_iteratorINS9_10device_ptrItEEEENS9_16discard_iteratorINS9_11use_defaultEEEt11max_functorItEtEEDaPvRmT3_T4_T5_mT6_P12ihipStream_tbENKUlT_T0_E_clISt17integral_constantIbLb1EESW_IbLb0EEEEDaSS_ST_EUlSS_E_NS1_11comp_targetILNS1_3genE0ELNS1_11target_archE4294967295ELNS1_3gpuE0ELNS1_3repE0EEENS1_30default_config_static_selectorELNS0_4arch9wavefront6targetE1EEEvT1_,comdat
	.protected	_ZN7rocprim17ROCPRIM_400000_NS6detail17trampoline_kernelINS0_14default_configENS1_20scan_config_selectorItEEZZNS1_9scan_implILNS1_25lookback_scan_determinismE0ELb0ELb0ES3_N6thrust23THRUST_200600_302600_NS6detail15normal_iteratorINS9_10device_ptrItEEEENS9_16discard_iteratorINS9_11use_defaultEEEt11max_functorItEtEEDaPvRmT3_T4_T5_mT6_P12ihipStream_tbENKUlT_T0_E_clISt17integral_constantIbLb1EESW_IbLb0EEEEDaSS_ST_EUlSS_E_NS1_11comp_targetILNS1_3genE0ELNS1_11target_archE4294967295ELNS1_3gpuE0ELNS1_3repE0EEENS1_30default_config_static_selectorELNS0_4arch9wavefront6targetE1EEEvT1_ ; -- Begin function _ZN7rocprim17ROCPRIM_400000_NS6detail17trampoline_kernelINS0_14default_configENS1_20scan_config_selectorItEEZZNS1_9scan_implILNS1_25lookback_scan_determinismE0ELb0ELb0ES3_N6thrust23THRUST_200600_302600_NS6detail15normal_iteratorINS9_10device_ptrItEEEENS9_16discard_iteratorINS9_11use_defaultEEEt11max_functorItEtEEDaPvRmT3_T4_T5_mT6_P12ihipStream_tbENKUlT_T0_E_clISt17integral_constantIbLb1EESW_IbLb0EEEEDaSS_ST_EUlSS_E_NS1_11comp_targetILNS1_3genE0ELNS1_11target_archE4294967295ELNS1_3gpuE0ELNS1_3repE0EEENS1_30default_config_static_selectorELNS0_4arch9wavefront6targetE1EEEvT1_
	.globl	_ZN7rocprim17ROCPRIM_400000_NS6detail17trampoline_kernelINS0_14default_configENS1_20scan_config_selectorItEEZZNS1_9scan_implILNS1_25lookback_scan_determinismE0ELb0ELb0ES3_N6thrust23THRUST_200600_302600_NS6detail15normal_iteratorINS9_10device_ptrItEEEENS9_16discard_iteratorINS9_11use_defaultEEEt11max_functorItEtEEDaPvRmT3_T4_T5_mT6_P12ihipStream_tbENKUlT_T0_E_clISt17integral_constantIbLb1EESW_IbLb0EEEEDaSS_ST_EUlSS_E_NS1_11comp_targetILNS1_3genE0ELNS1_11target_archE4294967295ELNS1_3gpuE0ELNS1_3repE0EEENS1_30default_config_static_selectorELNS0_4arch9wavefront6targetE1EEEvT1_
	.p2align	8
	.type	_ZN7rocprim17ROCPRIM_400000_NS6detail17trampoline_kernelINS0_14default_configENS1_20scan_config_selectorItEEZZNS1_9scan_implILNS1_25lookback_scan_determinismE0ELb0ELb0ES3_N6thrust23THRUST_200600_302600_NS6detail15normal_iteratorINS9_10device_ptrItEEEENS9_16discard_iteratorINS9_11use_defaultEEEt11max_functorItEtEEDaPvRmT3_T4_T5_mT6_P12ihipStream_tbENKUlT_T0_E_clISt17integral_constantIbLb1EESW_IbLb0EEEEDaSS_ST_EUlSS_E_NS1_11comp_targetILNS1_3genE0ELNS1_11target_archE4294967295ELNS1_3gpuE0ELNS1_3repE0EEENS1_30default_config_static_selectorELNS0_4arch9wavefront6targetE1EEEvT1_,@function
_ZN7rocprim17ROCPRIM_400000_NS6detail17trampoline_kernelINS0_14default_configENS1_20scan_config_selectorItEEZZNS1_9scan_implILNS1_25lookback_scan_determinismE0ELb0ELb0ES3_N6thrust23THRUST_200600_302600_NS6detail15normal_iteratorINS9_10device_ptrItEEEENS9_16discard_iteratorINS9_11use_defaultEEEt11max_functorItEtEEDaPvRmT3_T4_T5_mT6_P12ihipStream_tbENKUlT_T0_E_clISt17integral_constantIbLb1EESW_IbLb0EEEEDaSS_ST_EUlSS_E_NS1_11comp_targetILNS1_3genE0ELNS1_11target_archE4294967295ELNS1_3gpuE0ELNS1_3repE0EEENS1_30default_config_static_selectorELNS0_4arch9wavefront6targetE1EEEvT1_: ; @_ZN7rocprim17ROCPRIM_400000_NS6detail17trampoline_kernelINS0_14default_configENS1_20scan_config_selectorItEEZZNS1_9scan_implILNS1_25lookback_scan_determinismE0ELb0ELb0ES3_N6thrust23THRUST_200600_302600_NS6detail15normal_iteratorINS9_10device_ptrItEEEENS9_16discard_iteratorINS9_11use_defaultEEEt11max_functorItEtEEDaPvRmT3_T4_T5_mT6_P12ihipStream_tbENKUlT_T0_E_clISt17integral_constantIbLb1EESW_IbLb0EEEEDaSS_ST_EUlSS_E_NS1_11comp_targetILNS1_3genE0ELNS1_11target_archE4294967295ELNS1_3gpuE0ELNS1_3repE0EEENS1_30default_config_static_selectorELNS0_4arch9wavefront6targetE1EEEvT1_
; %bb.0:
	.section	.rodata,"a",@progbits
	.p2align	6, 0x0
	.amdhsa_kernel _ZN7rocprim17ROCPRIM_400000_NS6detail17trampoline_kernelINS0_14default_configENS1_20scan_config_selectorItEEZZNS1_9scan_implILNS1_25lookback_scan_determinismE0ELb0ELb0ES3_N6thrust23THRUST_200600_302600_NS6detail15normal_iteratorINS9_10device_ptrItEEEENS9_16discard_iteratorINS9_11use_defaultEEEt11max_functorItEtEEDaPvRmT3_T4_T5_mT6_P12ihipStream_tbENKUlT_T0_E_clISt17integral_constantIbLb1EESW_IbLb0EEEEDaSS_ST_EUlSS_E_NS1_11comp_targetILNS1_3genE0ELNS1_11target_archE4294967295ELNS1_3gpuE0ELNS1_3repE0EEENS1_30default_config_static_selectorELNS0_4arch9wavefront6targetE1EEEvT1_
		.amdhsa_group_segment_fixed_size 0
		.amdhsa_private_segment_fixed_size 0
		.amdhsa_kernarg_size 104
		.amdhsa_user_sgpr_count 6
		.amdhsa_user_sgpr_private_segment_buffer 1
		.amdhsa_user_sgpr_dispatch_ptr 0
		.amdhsa_user_sgpr_queue_ptr 0
		.amdhsa_user_sgpr_kernarg_segment_ptr 1
		.amdhsa_user_sgpr_dispatch_id 0
		.amdhsa_user_sgpr_flat_scratch_init 0
		.amdhsa_user_sgpr_kernarg_preload_length 0
		.amdhsa_user_sgpr_kernarg_preload_offset 0
		.amdhsa_user_sgpr_private_segment_size 0
		.amdhsa_uses_dynamic_stack 0
		.amdhsa_system_sgpr_private_segment_wavefront_offset 0
		.amdhsa_system_sgpr_workgroup_id_x 1
		.amdhsa_system_sgpr_workgroup_id_y 0
		.amdhsa_system_sgpr_workgroup_id_z 0
		.amdhsa_system_sgpr_workgroup_info 0
		.amdhsa_system_vgpr_workitem_id 0
		.amdhsa_next_free_vgpr 1
		.amdhsa_next_free_sgpr 0
		.amdhsa_accum_offset 4
		.amdhsa_reserve_vcc 0
		.amdhsa_reserve_flat_scratch 0
		.amdhsa_float_round_mode_32 0
		.amdhsa_float_round_mode_16_64 0
		.amdhsa_float_denorm_mode_32 3
		.amdhsa_float_denorm_mode_16_64 3
		.amdhsa_dx10_clamp 1
		.amdhsa_ieee_mode 1
		.amdhsa_fp16_overflow 0
		.amdhsa_tg_split 0
		.amdhsa_exception_fp_ieee_invalid_op 0
		.amdhsa_exception_fp_denorm_src 0
		.amdhsa_exception_fp_ieee_div_zero 0
		.amdhsa_exception_fp_ieee_overflow 0
		.amdhsa_exception_fp_ieee_underflow 0
		.amdhsa_exception_fp_ieee_inexact 0
		.amdhsa_exception_int_div_zero 0
	.end_amdhsa_kernel
	.section	.text._ZN7rocprim17ROCPRIM_400000_NS6detail17trampoline_kernelINS0_14default_configENS1_20scan_config_selectorItEEZZNS1_9scan_implILNS1_25lookback_scan_determinismE0ELb0ELb0ES3_N6thrust23THRUST_200600_302600_NS6detail15normal_iteratorINS9_10device_ptrItEEEENS9_16discard_iteratorINS9_11use_defaultEEEt11max_functorItEtEEDaPvRmT3_T4_T5_mT6_P12ihipStream_tbENKUlT_T0_E_clISt17integral_constantIbLb1EESW_IbLb0EEEEDaSS_ST_EUlSS_E_NS1_11comp_targetILNS1_3genE0ELNS1_11target_archE4294967295ELNS1_3gpuE0ELNS1_3repE0EEENS1_30default_config_static_selectorELNS0_4arch9wavefront6targetE1EEEvT1_,"axG",@progbits,_ZN7rocprim17ROCPRIM_400000_NS6detail17trampoline_kernelINS0_14default_configENS1_20scan_config_selectorItEEZZNS1_9scan_implILNS1_25lookback_scan_determinismE0ELb0ELb0ES3_N6thrust23THRUST_200600_302600_NS6detail15normal_iteratorINS9_10device_ptrItEEEENS9_16discard_iteratorINS9_11use_defaultEEEt11max_functorItEtEEDaPvRmT3_T4_T5_mT6_P12ihipStream_tbENKUlT_T0_E_clISt17integral_constantIbLb1EESW_IbLb0EEEEDaSS_ST_EUlSS_E_NS1_11comp_targetILNS1_3genE0ELNS1_11target_archE4294967295ELNS1_3gpuE0ELNS1_3repE0EEENS1_30default_config_static_selectorELNS0_4arch9wavefront6targetE1EEEvT1_,comdat
.Lfunc_end3602:
	.size	_ZN7rocprim17ROCPRIM_400000_NS6detail17trampoline_kernelINS0_14default_configENS1_20scan_config_selectorItEEZZNS1_9scan_implILNS1_25lookback_scan_determinismE0ELb0ELb0ES3_N6thrust23THRUST_200600_302600_NS6detail15normal_iteratorINS9_10device_ptrItEEEENS9_16discard_iteratorINS9_11use_defaultEEEt11max_functorItEtEEDaPvRmT3_T4_T5_mT6_P12ihipStream_tbENKUlT_T0_E_clISt17integral_constantIbLb1EESW_IbLb0EEEEDaSS_ST_EUlSS_E_NS1_11comp_targetILNS1_3genE0ELNS1_11target_archE4294967295ELNS1_3gpuE0ELNS1_3repE0EEENS1_30default_config_static_selectorELNS0_4arch9wavefront6targetE1EEEvT1_, .Lfunc_end3602-_ZN7rocprim17ROCPRIM_400000_NS6detail17trampoline_kernelINS0_14default_configENS1_20scan_config_selectorItEEZZNS1_9scan_implILNS1_25lookback_scan_determinismE0ELb0ELb0ES3_N6thrust23THRUST_200600_302600_NS6detail15normal_iteratorINS9_10device_ptrItEEEENS9_16discard_iteratorINS9_11use_defaultEEEt11max_functorItEtEEDaPvRmT3_T4_T5_mT6_P12ihipStream_tbENKUlT_T0_E_clISt17integral_constantIbLb1EESW_IbLb0EEEEDaSS_ST_EUlSS_E_NS1_11comp_targetILNS1_3genE0ELNS1_11target_archE4294967295ELNS1_3gpuE0ELNS1_3repE0EEENS1_30default_config_static_selectorELNS0_4arch9wavefront6targetE1EEEvT1_
                                        ; -- End function
	.section	.AMDGPU.csdata,"",@progbits
; Kernel info:
; codeLenInByte = 0
; NumSgprs: 4
; NumVgprs: 0
; NumAgprs: 0
; TotalNumVgprs: 0
; ScratchSize: 0
; MemoryBound: 0
; FloatMode: 240
; IeeeMode: 1
; LDSByteSize: 0 bytes/workgroup (compile time only)
; SGPRBlocks: 0
; VGPRBlocks: 0
; NumSGPRsForWavesPerEU: 4
; NumVGPRsForWavesPerEU: 1
; AccumOffset: 4
; Occupancy: 8
; WaveLimiterHint : 0
; COMPUTE_PGM_RSRC2:SCRATCH_EN: 0
; COMPUTE_PGM_RSRC2:USER_SGPR: 6
; COMPUTE_PGM_RSRC2:TRAP_HANDLER: 0
; COMPUTE_PGM_RSRC2:TGID_X_EN: 1
; COMPUTE_PGM_RSRC2:TGID_Y_EN: 0
; COMPUTE_PGM_RSRC2:TGID_Z_EN: 0
; COMPUTE_PGM_RSRC2:TIDIG_COMP_CNT: 0
; COMPUTE_PGM_RSRC3_GFX90A:ACCUM_OFFSET: 0
; COMPUTE_PGM_RSRC3_GFX90A:TG_SPLIT: 0
	.section	.text._ZN7rocprim17ROCPRIM_400000_NS6detail17trampoline_kernelINS0_14default_configENS1_20scan_config_selectorItEEZZNS1_9scan_implILNS1_25lookback_scan_determinismE0ELb0ELb0ES3_N6thrust23THRUST_200600_302600_NS6detail15normal_iteratorINS9_10device_ptrItEEEENS9_16discard_iteratorINS9_11use_defaultEEEt11max_functorItEtEEDaPvRmT3_T4_T5_mT6_P12ihipStream_tbENKUlT_T0_E_clISt17integral_constantIbLb1EESW_IbLb0EEEEDaSS_ST_EUlSS_E_NS1_11comp_targetILNS1_3genE5ELNS1_11target_archE942ELNS1_3gpuE9ELNS1_3repE0EEENS1_30default_config_static_selectorELNS0_4arch9wavefront6targetE1EEEvT1_,"axG",@progbits,_ZN7rocprim17ROCPRIM_400000_NS6detail17trampoline_kernelINS0_14default_configENS1_20scan_config_selectorItEEZZNS1_9scan_implILNS1_25lookback_scan_determinismE0ELb0ELb0ES3_N6thrust23THRUST_200600_302600_NS6detail15normal_iteratorINS9_10device_ptrItEEEENS9_16discard_iteratorINS9_11use_defaultEEEt11max_functorItEtEEDaPvRmT3_T4_T5_mT6_P12ihipStream_tbENKUlT_T0_E_clISt17integral_constantIbLb1EESW_IbLb0EEEEDaSS_ST_EUlSS_E_NS1_11comp_targetILNS1_3genE5ELNS1_11target_archE942ELNS1_3gpuE9ELNS1_3repE0EEENS1_30default_config_static_selectorELNS0_4arch9wavefront6targetE1EEEvT1_,comdat
	.protected	_ZN7rocprim17ROCPRIM_400000_NS6detail17trampoline_kernelINS0_14default_configENS1_20scan_config_selectorItEEZZNS1_9scan_implILNS1_25lookback_scan_determinismE0ELb0ELb0ES3_N6thrust23THRUST_200600_302600_NS6detail15normal_iteratorINS9_10device_ptrItEEEENS9_16discard_iteratorINS9_11use_defaultEEEt11max_functorItEtEEDaPvRmT3_T4_T5_mT6_P12ihipStream_tbENKUlT_T0_E_clISt17integral_constantIbLb1EESW_IbLb0EEEEDaSS_ST_EUlSS_E_NS1_11comp_targetILNS1_3genE5ELNS1_11target_archE942ELNS1_3gpuE9ELNS1_3repE0EEENS1_30default_config_static_selectorELNS0_4arch9wavefront6targetE1EEEvT1_ ; -- Begin function _ZN7rocprim17ROCPRIM_400000_NS6detail17trampoline_kernelINS0_14default_configENS1_20scan_config_selectorItEEZZNS1_9scan_implILNS1_25lookback_scan_determinismE0ELb0ELb0ES3_N6thrust23THRUST_200600_302600_NS6detail15normal_iteratorINS9_10device_ptrItEEEENS9_16discard_iteratorINS9_11use_defaultEEEt11max_functorItEtEEDaPvRmT3_T4_T5_mT6_P12ihipStream_tbENKUlT_T0_E_clISt17integral_constantIbLb1EESW_IbLb0EEEEDaSS_ST_EUlSS_E_NS1_11comp_targetILNS1_3genE5ELNS1_11target_archE942ELNS1_3gpuE9ELNS1_3repE0EEENS1_30default_config_static_selectorELNS0_4arch9wavefront6targetE1EEEvT1_
	.globl	_ZN7rocprim17ROCPRIM_400000_NS6detail17trampoline_kernelINS0_14default_configENS1_20scan_config_selectorItEEZZNS1_9scan_implILNS1_25lookback_scan_determinismE0ELb0ELb0ES3_N6thrust23THRUST_200600_302600_NS6detail15normal_iteratorINS9_10device_ptrItEEEENS9_16discard_iteratorINS9_11use_defaultEEEt11max_functorItEtEEDaPvRmT3_T4_T5_mT6_P12ihipStream_tbENKUlT_T0_E_clISt17integral_constantIbLb1EESW_IbLb0EEEEDaSS_ST_EUlSS_E_NS1_11comp_targetILNS1_3genE5ELNS1_11target_archE942ELNS1_3gpuE9ELNS1_3repE0EEENS1_30default_config_static_selectorELNS0_4arch9wavefront6targetE1EEEvT1_
	.p2align	8
	.type	_ZN7rocprim17ROCPRIM_400000_NS6detail17trampoline_kernelINS0_14default_configENS1_20scan_config_selectorItEEZZNS1_9scan_implILNS1_25lookback_scan_determinismE0ELb0ELb0ES3_N6thrust23THRUST_200600_302600_NS6detail15normal_iteratorINS9_10device_ptrItEEEENS9_16discard_iteratorINS9_11use_defaultEEEt11max_functorItEtEEDaPvRmT3_T4_T5_mT6_P12ihipStream_tbENKUlT_T0_E_clISt17integral_constantIbLb1EESW_IbLb0EEEEDaSS_ST_EUlSS_E_NS1_11comp_targetILNS1_3genE5ELNS1_11target_archE942ELNS1_3gpuE9ELNS1_3repE0EEENS1_30default_config_static_selectorELNS0_4arch9wavefront6targetE1EEEvT1_,@function
_ZN7rocprim17ROCPRIM_400000_NS6detail17trampoline_kernelINS0_14default_configENS1_20scan_config_selectorItEEZZNS1_9scan_implILNS1_25lookback_scan_determinismE0ELb0ELb0ES3_N6thrust23THRUST_200600_302600_NS6detail15normal_iteratorINS9_10device_ptrItEEEENS9_16discard_iteratorINS9_11use_defaultEEEt11max_functorItEtEEDaPvRmT3_T4_T5_mT6_P12ihipStream_tbENKUlT_T0_E_clISt17integral_constantIbLb1EESW_IbLb0EEEEDaSS_ST_EUlSS_E_NS1_11comp_targetILNS1_3genE5ELNS1_11target_archE942ELNS1_3gpuE9ELNS1_3repE0EEENS1_30default_config_static_selectorELNS0_4arch9wavefront6targetE1EEEvT1_: ; @_ZN7rocprim17ROCPRIM_400000_NS6detail17trampoline_kernelINS0_14default_configENS1_20scan_config_selectorItEEZZNS1_9scan_implILNS1_25lookback_scan_determinismE0ELb0ELb0ES3_N6thrust23THRUST_200600_302600_NS6detail15normal_iteratorINS9_10device_ptrItEEEENS9_16discard_iteratorINS9_11use_defaultEEEt11max_functorItEtEEDaPvRmT3_T4_T5_mT6_P12ihipStream_tbENKUlT_T0_E_clISt17integral_constantIbLb1EESW_IbLb0EEEEDaSS_ST_EUlSS_E_NS1_11comp_targetILNS1_3genE5ELNS1_11target_archE942ELNS1_3gpuE9ELNS1_3repE0EEENS1_30default_config_static_selectorELNS0_4arch9wavefront6targetE1EEEvT1_
; %bb.0:
	.section	.rodata,"a",@progbits
	.p2align	6, 0x0
	.amdhsa_kernel _ZN7rocprim17ROCPRIM_400000_NS6detail17trampoline_kernelINS0_14default_configENS1_20scan_config_selectorItEEZZNS1_9scan_implILNS1_25lookback_scan_determinismE0ELb0ELb0ES3_N6thrust23THRUST_200600_302600_NS6detail15normal_iteratorINS9_10device_ptrItEEEENS9_16discard_iteratorINS9_11use_defaultEEEt11max_functorItEtEEDaPvRmT3_T4_T5_mT6_P12ihipStream_tbENKUlT_T0_E_clISt17integral_constantIbLb1EESW_IbLb0EEEEDaSS_ST_EUlSS_E_NS1_11comp_targetILNS1_3genE5ELNS1_11target_archE942ELNS1_3gpuE9ELNS1_3repE0EEENS1_30default_config_static_selectorELNS0_4arch9wavefront6targetE1EEEvT1_
		.amdhsa_group_segment_fixed_size 0
		.amdhsa_private_segment_fixed_size 0
		.amdhsa_kernarg_size 104
		.amdhsa_user_sgpr_count 6
		.amdhsa_user_sgpr_private_segment_buffer 1
		.amdhsa_user_sgpr_dispatch_ptr 0
		.amdhsa_user_sgpr_queue_ptr 0
		.amdhsa_user_sgpr_kernarg_segment_ptr 1
		.amdhsa_user_sgpr_dispatch_id 0
		.amdhsa_user_sgpr_flat_scratch_init 0
		.amdhsa_user_sgpr_kernarg_preload_length 0
		.amdhsa_user_sgpr_kernarg_preload_offset 0
		.amdhsa_user_sgpr_private_segment_size 0
		.amdhsa_uses_dynamic_stack 0
		.amdhsa_system_sgpr_private_segment_wavefront_offset 0
		.amdhsa_system_sgpr_workgroup_id_x 1
		.amdhsa_system_sgpr_workgroup_id_y 0
		.amdhsa_system_sgpr_workgroup_id_z 0
		.amdhsa_system_sgpr_workgroup_info 0
		.amdhsa_system_vgpr_workitem_id 0
		.amdhsa_next_free_vgpr 1
		.amdhsa_next_free_sgpr 0
		.amdhsa_accum_offset 4
		.amdhsa_reserve_vcc 0
		.amdhsa_reserve_flat_scratch 0
		.amdhsa_float_round_mode_32 0
		.amdhsa_float_round_mode_16_64 0
		.amdhsa_float_denorm_mode_32 3
		.amdhsa_float_denorm_mode_16_64 3
		.amdhsa_dx10_clamp 1
		.amdhsa_ieee_mode 1
		.amdhsa_fp16_overflow 0
		.amdhsa_tg_split 0
		.amdhsa_exception_fp_ieee_invalid_op 0
		.amdhsa_exception_fp_denorm_src 0
		.amdhsa_exception_fp_ieee_div_zero 0
		.amdhsa_exception_fp_ieee_overflow 0
		.amdhsa_exception_fp_ieee_underflow 0
		.amdhsa_exception_fp_ieee_inexact 0
		.amdhsa_exception_int_div_zero 0
	.end_amdhsa_kernel
	.section	.text._ZN7rocprim17ROCPRIM_400000_NS6detail17trampoline_kernelINS0_14default_configENS1_20scan_config_selectorItEEZZNS1_9scan_implILNS1_25lookback_scan_determinismE0ELb0ELb0ES3_N6thrust23THRUST_200600_302600_NS6detail15normal_iteratorINS9_10device_ptrItEEEENS9_16discard_iteratorINS9_11use_defaultEEEt11max_functorItEtEEDaPvRmT3_T4_T5_mT6_P12ihipStream_tbENKUlT_T0_E_clISt17integral_constantIbLb1EESW_IbLb0EEEEDaSS_ST_EUlSS_E_NS1_11comp_targetILNS1_3genE5ELNS1_11target_archE942ELNS1_3gpuE9ELNS1_3repE0EEENS1_30default_config_static_selectorELNS0_4arch9wavefront6targetE1EEEvT1_,"axG",@progbits,_ZN7rocprim17ROCPRIM_400000_NS6detail17trampoline_kernelINS0_14default_configENS1_20scan_config_selectorItEEZZNS1_9scan_implILNS1_25lookback_scan_determinismE0ELb0ELb0ES3_N6thrust23THRUST_200600_302600_NS6detail15normal_iteratorINS9_10device_ptrItEEEENS9_16discard_iteratorINS9_11use_defaultEEEt11max_functorItEtEEDaPvRmT3_T4_T5_mT6_P12ihipStream_tbENKUlT_T0_E_clISt17integral_constantIbLb1EESW_IbLb0EEEEDaSS_ST_EUlSS_E_NS1_11comp_targetILNS1_3genE5ELNS1_11target_archE942ELNS1_3gpuE9ELNS1_3repE0EEENS1_30default_config_static_selectorELNS0_4arch9wavefront6targetE1EEEvT1_,comdat
.Lfunc_end3603:
	.size	_ZN7rocprim17ROCPRIM_400000_NS6detail17trampoline_kernelINS0_14default_configENS1_20scan_config_selectorItEEZZNS1_9scan_implILNS1_25lookback_scan_determinismE0ELb0ELb0ES3_N6thrust23THRUST_200600_302600_NS6detail15normal_iteratorINS9_10device_ptrItEEEENS9_16discard_iteratorINS9_11use_defaultEEEt11max_functorItEtEEDaPvRmT3_T4_T5_mT6_P12ihipStream_tbENKUlT_T0_E_clISt17integral_constantIbLb1EESW_IbLb0EEEEDaSS_ST_EUlSS_E_NS1_11comp_targetILNS1_3genE5ELNS1_11target_archE942ELNS1_3gpuE9ELNS1_3repE0EEENS1_30default_config_static_selectorELNS0_4arch9wavefront6targetE1EEEvT1_, .Lfunc_end3603-_ZN7rocprim17ROCPRIM_400000_NS6detail17trampoline_kernelINS0_14default_configENS1_20scan_config_selectorItEEZZNS1_9scan_implILNS1_25lookback_scan_determinismE0ELb0ELb0ES3_N6thrust23THRUST_200600_302600_NS6detail15normal_iteratorINS9_10device_ptrItEEEENS9_16discard_iteratorINS9_11use_defaultEEEt11max_functorItEtEEDaPvRmT3_T4_T5_mT6_P12ihipStream_tbENKUlT_T0_E_clISt17integral_constantIbLb1EESW_IbLb0EEEEDaSS_ST_EUlSS_E_NS1_11comp_targetILNS1_3genE5ELNS1_11target_archE942ELNS1_3gpuE9ELNS1_3repE0EEENS1_30default_config_static_selectorELNS0_4arch9wavefront6targetE1EEEvT1_
                                        ; -- End function
	.section	.AMDGPU.csdata,"",@progbits
; Kernel info:
; codeLenInByte = 0
; NumSgprs: 4
; NumVgprs: 0
; NumAgprs: 0
; TotalNumVgprs: 0
; ScratchSize: 0
; MemoryBound: 0
; FloatMode: 240
; IeeeMode: 1
; LDSByteSize: 0 bytes/workgroup (compile time only)
; SGPRBlocks: 0
; VGPRBlocks: 0
; NumSGPRsForWavesPerEU: 4
; NumVGPRsForWavesPerEU: 1
; AccumOffset: 4
; Occupancy: 8
; WaveLimiterHint : 0
; COMPUTE_PGM_RSRC2:SCRATCH_EN: 0
; COMPUTE_PGM_RSRC2:USER_SGPR: 6
; COMPUTE_PGM_RSRC2:TRAP_HANDLER: 0
; COMPUTE_PGM_RSRC2:TGID_X_EN: 1
; COMPUTE_PGM_RSRC2:TGID_Y_EN: 0
; COMPUTE_PGM_RSRC2:TGID_Z_EN: 0
; COMPUTE_PGM_RSRC2:TIDIG_COMP_CNT: 0
; COMPUTE_PGM_RSRC3_GFX90A:ACCUM_OFFSET: 0
; COMPUTE_PGM_RSRC3_GFX90A:TG_SPLIT: 0
	.section	.text._ZN7rocprim17ROCPRIM_400000_NS6detail17trampoline_kernelINS0_14default_configENS1_20scan_config_selectorItEEZZNS1_9scan_implILNS1_25lookback_scan_determinismE0ELb0ELb0ES3_N6thrust23THRUST_200600_302600_NS6detail15normal_iteratorINS9_10device_ptrItEEEENS9_16discard_iteratorINS9_11use_defaultEEEt11max_functorItEtEEDaPvRmT3_T4_T5_mT6_P12ihipStream_tbENKUlT_T0_E_clISt17integral_constantIbLb1EESW_IbLb0EEEEDaSS_ST_EUlSS_E_NS1_11comp_targetILNS1_3genE4ELNS1_11target_archE910ELNS1_3gpuE8ELNS1_3repE0EEENS1_30default_config_static_selectorELNS0_4arch9wavefront6targetE1EEEvT1_,"axG",@progbits,_ZN7rocprim17ROCPRIM_400000_NS6detail17trampoline_kernelINS0_14default_configENS1_20scan_config_selectorItEEZZNS1_9scan_implILNS1_25lookback_scan_determinismE0ELb0ELb0ES3_N6thrust23THRUST_200600_302600_NS6detail15normal_iteratorINS9_10device_ptrItEEEENS9_16discard_iteratorINS9_11use_defaultEEEt11max_functorItEtEEDaPvRmT3_T4_T5_mT6_P12ihipStream_tbENKUlT_T0_E_clISt17integral_constantIbLb1EESW_IbLb0EEEEDaSS_ST_EUlSS_E_NS1_11comp_targetILNS1_3genE4ELNS1_11target_archE910ELNS1_3gpuE8ELNS1_3repE0EEENS1_30default_config_static_selectorELNS0_4arch9wavefront6targetE1EEEvT1_,comdat
	.protected	_ZN7rocprim17ROCPRIM_400000_NS6detail17trampoline_kernelINS0_14default_configENS1_20scan_config_selectorItEEZZNS1_9scan_implILNS1_25lookback_scan_determinismE0ELb0ELb0ES3_N6thrust23THRUST_200600_302600_NS6detail15normal_iteratorINS9_10device_ptrItEEEENS9_16discard_iteratorINS9_11use_defaultEEEt11max_functorItEtEEDaPvRmT3_T4_T5_mT6_P12ihipStream_tbENKUlT_T0_E_clISt17integral_constantIbLb1EESW_IbLb0EEEEDaSS_ST_EUlSS_E_NS1_11comp_targetILNS1_3genE4ELNS1_11target_archE910ELNS1_3gpuE8ELNS1_3repE0EEENS1_30default_config_static_selectorELNS0_4arch9wavefront6targetE1EEEvT1_ ; -- Begin function _ZN7rocprim17ROCPRIM_400000_NS6detail17trampoline_kernelINS0_14default_configENS1_20scan_config_selectorItEEZZNS1_9scan_implILNS1_25lookback_scan_determinismE0ELb0ELb0ES3_N6thrust23THRUST_200600_302600_NS6detail15normal_iteratorINS9_10device_ptrItEEEENS9_16discard_iteratorINS9_11use_defaultEEEt11max_functorItEtEEDaPvRmT3_T4_T5_mT6_P12ihipStream_tbENKUlT_T0_E_clISt17integral_constantIbLb1EESW_IbLb0EEEEDaSS_ST_EUlSS_E_NS1_11comp_targetILNS1_3genE4ELNS1_11target_archE910ELNS1_3gpuE8ELNS1_3repE0EEENS1_30default_config_static_selectorELNS0_4arch9wavefront6targetE1EEEvT1_
	.globl	_ZN7rocprim17ROCPRIM_400000_NS6detail17trampoline_kernelINS0_14default_configENS1_20scan_config_selectorItEEZZNS1_9scan_implILNS1_25lookback_scan_determinismE0ELb0ELb0ES3_N6thrust23THRUST_200600_302600_NS6detail15normal_iteratorINS9_10device_ptrItEEEENS9_16discard_iteratorINS9_11use_defaultEEEt11max_functorItEtEEDaPvRmT3_T4_T5_mT6_P12ihipStream_tbENKUlT_T0_E_clISt17integral_constantIbLb1EESW_IbLb0EEEEDaSS_ST_EUlSS_E_NS1_11comp_targetILNS1_3genE4ELNS1_11target_archE910ELNS1_3gpuE8ELNS1_3repE0EEENS1_30default_config_static_selectorELNS0_4arch9wavefront6targetE1EEEvT1_
	.p2align	8
	.type	_ZN7rocprim17ROCPRIM_400000_NS6detail17trampoline_kernelINS0_14default_configENS1_20scan_config_selectorItEEZZNS1_9scan_implILNS1_25lookback_scan_determinismE0ELb0ELb0ES3_N6thrust23THRUST_200600_302600_NS6detail15normal_iteratorINS9_10device_ptrItEEEENS9_16discard_iteratorINS9_11use_defaultEEEt11max_functorItEtEEDaPvRmT3_T4_T5_mT6_P12ihipStream_tbENKUlT_T0_E_clISt17integral_constantIbLb1EESW_IbLb0EEEEDaSS_ST_EUlSS_E_NS1_11comp_targetILNS1_3genE4ELNS1_11target_archE910ELNS1_3gpuE8ELNS1_3repE0EEENS1_30default_config_static_selectorELNS0_4arch9wavefront6targetE1EEEvT1_,@function
_ZN7rocprim17ROCPRIM_400000_NS6detail17trampoline_kernelINS0_14default_configENS1_20scan_config_selectorItEEZZNS1_9scan_implILNS1_25lookback_scan_determinismE0ELb0ELb0ES3_N6thrust23THRUST_200600_302600_NS6detail15normal_iteratorINS9_10device_ptrItEEEENS9_16discard_iteratorINS9_11use_defaultEEEt11max_functorItEtEEDaPvRmT3_T4_T5_mT6_P12ihipStream_tbENKUlT_T0_E_clISt17integral_constantIbLb1EESW_IbLb0EEEEDaSS_ST_EUlSS_E_NS1_11comp_targetILNS1_3genE4ELNS1_11target_archE910ELNS1_3gpuE8ELNS1_3repE0EEENS1_30default_config_static_selectorELNS0_4arch9wavefront6targetE1EEEvT1_: ; @_ZN7rocprim17ROCPRIM_400000_NS6detail17trampoline_kernelINS0_14default_configENS1_20scan_config_selectorItEEZZNS1_9scan_implILNS1_25lookback_scan_determinismE0ELb0ELb0ES3_N6thrust23THRUST_200600_302600_NS6detail15normal_iteratorINS9_10device_ptrItEEEENS9_16discard_iteratorINS9_11use_defaultEEEt11max_functorItEtEEDaPvRmT3_T4_T5_mT6_P12ihipStream_tbENKUlT_T0_E_clISt17integral_constantIbLb1EESW_IbLb0EEEEDaSS_ST_EUlSS_E_NS1_11comp_targetILNS1_3genE4ELNS1_11target_archE910ELNS1_3gpuE8ELNS1_3repE0EEENS1_30default_config_static_selectorELNS0_4arch9wavefront6targetE1EEEvT1_
; %bb.0:
	s_load_dwordx4 s[0:3], s[4:5], 0x0
	s_load_dwordx2 s[8:9], s[4:5], 0x20
	s_load_dword s7, s[4:5], 0x38
	v_lshlrev_b32_e32 v1, 1, v0
	s_waitcnt lgkmcnt(0)
	s_lshl_b64 s[2:3], s[2:3], 1
	s_add_u32 s2, s0, s2
	s_addc_u32 s3, s1, s3
	s_add_i32 s7, s7, -1
	s_mul_i32 s10, s7, 0x600
	s_sub_u32 s20, s8, s10
	s_subb_u32 s21, s9, 0
	s_mul_i32 s0, s6, 0x600
	s_mov_b32 s1, 0
	s_cmp_lg_u32 s6, s7
	s_cselect_b64 s[14:15], -1, 0
	s_lshl_b64 s[0:1], s[0:1], 1
	s_add_u32 s0, s2, s0
	s_addc_u32 s1, s3, s1
	s_mov_b64 s[2:3], -1
	s_and_b64 vcc, exec, s[14:15]
	s_cbranch_vccz .LBB3604_2
; %bb.1:
	v_mov_b32_e32 v3, s1
	v_add_co_u32_e32 v2, vcc, s0, v1
	v_addc_co_u32_e32 v3, vcc, 0, v3, vcc
	flat_load_ushort v4, v[2:3]
	flat_load_ushort v5, v[2:3] offset:128
	flat_load_ushort v6, v[2:3] offset:256
	;; [unrolled: 1-line block ×23, first 2 shown]
	s_mov_b64 s[2:3], 0
	s_waitcnt vmcnt(0) lgkmcnt(0)
	ds_write_b16 v1, v4
	ds_write_b16 v1, v5 offset:128
	ds_write_b16 v1, v6 offset:256
	;; [unrolled: 1-line block ×23, first 2 shown]
	s_waitcnt lgkmcnt(0)
	; wave barrier
.LBB3604_2:
	s_load_dwordx2 s[16:17], s[4:5], 0x30
	s_andn2_b64 vcc, exec, s[2:3]
	s_cbranch_vccnz .LBB3604_52
; %bb.3:
	v_pk_mov_b32 v[2:3], s[0:1], s[0:1] op_sel:[0,1]
	flat_load_ushort v2, v[2:3]
	v_cmp_gt_u32_e32 vcc, s20, v0
	s_waitcnt vmcnt(0) lgkmcnt(0)
	v_mov_b32_e32 v3, v2
	s_and_saveexec_b64 s[2:3], vcc
	s_cbranch_execz .LBB3604_5
; %bb.4:
	v_mov_b32_e32 v3, s1
	v_add_co_u32_e32 v4, vcc, s0, v1
	v_addc_co_u32_e32 v5, vcc, 0, v3, vcc
	flat_load_ushort v3, v[4:5]
.LBB3604_5:
	s_or_b64 exec, exec, s[2:3]
	v_or_b32_e32 v4, 64, v0
	v_cmp_gt_u32_e32 vcc, s20, v4
	v_mov_b32_e32 v4, v2
	s_and_saveexec_b64 s[2:3], vcc
	s_cbranch_execz .LBB3604_7
; %bb.6:
	v_mov_b32_e32 v5, s1
	v_add_co_u32_e32 v4, vcc, s0, v1
	v_addc_co_u32_e32 v5, vcc, 0, v5, vcc
	flat_load_ushort v4, v[4:5] offset:128
.LBB3604_7:
	s_or_b64 exec, exec, s[2:3]
	v_or_b32_e32 v5, 0x80, v0
	v_cmp_gt_u32_e32 vcc, s20, v5
	v_mov_b32_e32 v5, v2
	s_and_saveexec_b64 s[2:3], vcc
	s_cbranch_execz .LBB3604_9
; %bb.8:
	v_mov_b32_e32 v5, s1
	v_add_co_u32_e32 v6, vcc, s0, v1
	v_addc_co_u32_e32 v7, vcc, 0, v5, vcc
	flat_load_ushort v5, v[6:7] offset:256
.LBB3604_9:
	;; [unrolled: 12-line block ×22, first 2 shown]
	s_or_b64 exec, exec, s[2:3]
	v_or_b32_e32 v26, 0x5c0, v0
	v_cmp_gt_u32_e32 vcc, s20, v26
	s_and_saveexec_b64 s[2:3], vcc
	s_cbranch_execz .LBB3604_51
; %bb.50:
	v_mov_b32_e32 v2, s1
	v_add_co_u32_e32 v26, vcc, s0, v1
	v_addc_co_u32_e32 v27, vcc, 0, v2, vcc
	flat_load_ushort v2, v[26:27] offset:2944
.LBB3604_51:
	s_or_b64 exec, exec, s[2:3]
	s_waitcnt vmcnt(0) lgkmcnt(0)
	ds_write_b16 v1, v3
	ds_write_b16 v1, v4 offset:128
	ds_write_b16 v1, v5 offset:256
	;; [unrolled: 1-line block ×23, first 2 shown]
	s_waitcnt lgkmcnt(0)
	; wave barrier
.LBB3604_52:
	v_mul_u32_u24_e32 v20, 24, v0
	v_lshlrev_b32_e32 v21, 1, v20
	s_waitcnt lgkmcnt(0)
	ds_read_b128 v[10:13], v21
	ds_read_b128 v[6:9], v21 offset:16
	ds_read_b128 v[2:5], v21 offset:32
	s_cmp_lg_u32 s6, 0
	v_mbcnt_lo_u32_b32 v32, -1, 0
	s_waitcnt lgkmcnt(2)
	v_lshrrev_b32_e32 v31, 16, v11
	v_lshrrev_b32_e32 v30, 16, v12
	v_lshrrev_b32_e32 v29, 16, v13
	s_waitcnt lgkmcnt(1)
	v_lshrrev_b32_e32 v28, 16, v6
	v_lshrrev_b32_e32 v27, 16, v7
	;; [unrolled: 1-line block ×4, first 2 shown]
	s_waitcnt lgkmcnt(0)
	v_lshrrev_b32_e32 v24, 16, v2
	v_lshrrev_b32_e32 v23, 16, v3
	;; [unrolled: 1-line block ×4, first 2 shown]
	v_cmp_eq_u32_e32 vcc, 63, v0
	s_waitcnt lgkmcnt(0)
	; wave barrier
	s_cbranch_scc0 .LBB3604_79
; %bb.53:
	v_max_u16_sdwa v14, v10, v10 dst_sel:DWORD dst_unused:UNUSED_PAD src0_sel:DWORD src1_sel:WORD_1
	v_max3_u16 v14, v14, v11, v31
	v_max3_u16 v14, v14, v12, v30
	v_max3_u16 v14, v14, v13, v29
	v_max3_u16 v14, v14, v6, v28
	v_max3_u16 v14, v14, v7, v27
	v_max3_u16 v14, v14, v8, v26
	v_max3_u16 v14, v14, v9, v25
	v_max3_u16 v14, v14, v2, v24
	v_max3_u16 v14, v14, v3, v23
	v_max3_u16 v14, v14, v4, v22
	v_max3_u16 v14, v14, v5, v1
	v_mbcnt_hi_u32_b32 v15, -1, v32
	v_and_b32_e32 v17, 0xffff, v14
	v_and_b32_e32 v16, 15, v15
	v_cmp_eq_u32_e64 s[0:1], 0, v16
	v_mov_b32_dpp v17, v17 row_shr:1 row_mask:0xf bank_mask:0xf
	v_max_u16_e32 v17, v17, v14
	v_cndmask_b32_e64 v14, v17, v14, s[0:1]
	v_and_b32_e32 v17, 0xffff, v14
	v_cmp_lt_u32_e64 s[0:1], 1, v16
	s_nop 0
	v_mov_b32_dpp v17, v17 row_shr:2 row_mask:0xf bank_mask:0xf
	v_max_u16_e32 v17, v17, v14
	v_cndmask_b32_e64 v14, v14, v17, s[0:1]
	v_and_b32_e32 v17, 0xffff, v14
	v_cmp_lt_u32_e64 s[0:1], 3, v16
	s_nop 0
	;; [unrolled: 6-line block ×3, first 2 shown]
	v_mov_b32_dpp v17, v17 row_shr:8 row_mask:0xf bank_mask:0xf
	v_max_u16_e32 v17, v17, v14
	v_cndmask_b32_e64 v14, v14, v17, s[0:1]
	v_and_b32_e32 v16, 0xffff, v14
	v_and_b32_e32 v17, 16, v15
	v_cmp_eq_u32_e64 s[0:1], 0, v17
	v_mov_b32_dpp v16, v16 row_bcast:15 row_mask:0xf bank_mask:0xf
	v_max_u16_e32 v16, v16, v14
	v_cndmask_b32_e64 v14, v16, v14, s[0:1]
	v_and_b32_e32 v16, 0xffff, v14
	v_cmp_lt_u32_e64 s[0:1], 31, v15
	s_nop 0
	v_mov_b32_dpp v16, v16 row_bcast:31 row_mask:0xf bank_mask:0xf
	v_max_u16_e32 v16, v16, v14
	v_cndmask_b32_e64 v14, v14, v16, s[0:1]
	s_and_saveexec_b64 s[0:1], vcc
	s_cbranch_execz .LBB3604_55
; %bb.54:
	v_mov_b32_e32 v16, 0
	ds_write_b16 v16, v14
.LBB3604_55:
	s_or_b64 exec, exec, s[0:1]
	v_add_u32_e32 v16, -1, v15
	v_and_b32_e32 v17, 64, v15
	v_cmp_lt_i32_e32 vcc, v16, v17
	v_cndmask_b32_e32 v16, v16, v15, vcc
	v_and_b32_e32 v14, 0xffff, v14
	v_lshlrev_b32_e32 v16, 2, v16
	ds_bpermute_b32 v33, v16, v14
	v_cmp_gt_u32_e32 vcc, 64, v0
	s_waitcnt lgkmcnt(0)
	; wave barrier
	s_waitcnt lgkmcnt(0)
	s_and_saveexec_b64 s[18:19], vcc
	s_cbranch_execz .LBB3604_78
; %bb.56:
	v_mov_b32_e32 v19, 0
	ds_read_u16 v34, v19
	s_mov_b32 s9, 0
	v_cmp_eq_u32_e64 s[0:1], 0, v15
	s_and_saveexec_b64 s[2:3], s[0:1]
	s_cbranch_execz .LBB3604_58
; %bb.57:
	s_add_i32 s8, s6, 64
	s_lshl_b64 s[8:9], s[8:9], 2
	s_add_u32 s8, s16, s8
	s_waitcnt lgkmcnt(0)
	v_or_b32_e32 v14, 0x10000, v34
	s_addc_u32 s9, s17, s9
	global_store_dword v19, v14, s[8:9]
.LBB3604_58:
	s_or_b64 exec, exec, s[2:3]
	v_xad_u32 v14, v15, -1, s6
	v_add_u32_e32 v18, 64, v14
	v_lshlrev_b64 v[16:17], 2, v[18:19]
	v_mov_b32_e32 v18, s17
	v_add_co_u32_e32 v16, vcc, s16, v16
	v_addc_co_u32_e32 v17, vcc, v18, v17, vcc
	global_load_dword v18, v[16:17], off glc
	s_waitcnt vmcnt(0)
	v_lshrrev_b32_e32 v38, 16, v18
	v_cmp_eq_u16_sdwa s[8:9], v38, v19 src0_sel:BYTE_0 src1_sel:DWORD
	s_and_saveexec_b64 s[2:3], s[8:9]
	s_cbranch_execz .LBB3604_64
; %bb.59:
	s_mov_b32 s7, 1
	s_mov_b64 s[8:9], 0
	v_mov_b32_e32 v19, 0
.LBB3604_60:                            ; =>This Loop Header: Depth=1
                                        ;     Child Loop BB3604_61 Depth 2
	s_max_u32 s10, s7, 1
.LBB3604_61:                            ;   Parent Loop BB3604_60 Depth=1
                                        ; =>  This Inner Loop Header: Depth=2
	s_add_i32 s10, s10, -1
	s_cmp_eq_u32 s10, 0
	s_sleep 1
	s_cbranch_scc0 .LBB3604_61
; %bb.62:                               ;   in Loop: Header=BB3604_60 Depth=1
	global_load_dword v18, v[16:17], off glc
	s_cmp_lt_u32 s7, 32
	s_cselect_b64 s[10:11], -1, 0
	s_cmp_lg_u64 s[10:11], 0
	s_addc_u32 s7, s7, 0
	s_waitcnt vmcnt(0)
	v_lshrrev_b32_e32 v38, 16, v18
	v_cmp_ne_u16_sdwa s[10:11], v38, v19 src0_sel:BYTE_0 src1_sel:DWORD
	s_or_b64 s[8:9], s[10:11], s[8:9]
	s_andn2_b64 exec, exec, s[8:9]
	s_cbranch_execnz .LBB3604_60
; %bb.63:
	s_or_b64 exec, exec, s[8:9]
.LBB3604_64:
	s_or_b64 exec, exec, s[2:3]
	v_and_b32_e32 v36, 63, v15
	v_cmp_ne_u32_e32 vcc, 63, v36
	v_mov_b32_e32 v35, 2
	v_addc_co_u32_e32 v37, vcc, 0, v15, vcc
	v_cmp_eq_u16_sdwa s[2:3], v38, v35 src0_sel:BYTE_0 src1_sel:DWORD
	v_lshlrev_b64 v[16:17], v15, -1
	v_and_b32_e32 v40, 0xffff, v18
	v_lshlrev_b32_e32 v37, 2, v37
	v_and_b32_e32 v19, s3, v17
	ds_bpermute_b32 v41, v37, v40
	v_or_b32_e32 v19, 0x80000000, v19
	v_and_b32_e32 v39, s2, v16
	v_ffbl_b32_e32 v19, v19
	v_add_u32_e32 v19, 32, v19
	v_ffbl_b32_e32 v39, v39
	v_cmp_gt_u32_e64 s[2:3], 62, v36
	v_min_u32_e32 v19, v39, v19
	v_cndmask_b32_e64 v39, 0, 1, s[2:3]
	s_waitcnt lgkmcnt(0)
	v_max_u16_e32 v41, v41, v18
	v_cmp_lt_u32_e32 vcc, v36, v19
	v_lshlrev_b32_e32 v39, 1, v39
	v_cndmask_b32_e32 v42, v40, v41, vcc
	v_add_lshl_u32 v39, v39, v15, 2
	ds_bpermute_b32 v43, v39, v42
	v_cmp_gt_u32_e64 s[8:9], 60, v36
	v_cndmask_b32_e32 v44, v18, v41, vcc
	v_add_u32_e32 v40, 2, v36
	v_cndmask_b32_e64 v41, 0, 1, s[8:9]
	s_waitcnt lgkmcnt(0)
	v_max_u16_e32 v43, v43, v44
	v_cmp_gt_u32_e64 s[2:3], v40, v19
	v_lshlrev_b32_e32 v41, 2, v41
	v_cndmask_b32_e64 v45, v43, v42, s[2:3]
	v_add_lshl_u32 v41, v41, v15, 2
	ds_bpermute_b32 v46, v41, v45
	v_cmp_gt_u32_e64 s[8:9], 56, v36
	v_cndmask_b32_e64 v47, v43, v44, s[2:3]
	v_add_u32_e32 v42, 4, v36
	v_cndmask_b32_e64 v43, 0, 1, s[8:9]
	s_waitcnt lgkmcnt(0)
	v_max_u16_e32 v50, v46, v47
	v_cmp_gt_u32_e64 s[2:3], v42, v19
	v_lshlrev_b32_e32 v43, 3, v43
	v_cndmask_b32_e64 v45, v50, v45, s[2:3]
	v_add_lshl_u32 v43, v43, v15, 2
	ds_bpermute_b32 v46, v43, v45
	v_cndmask_b32_e64 v48, v50, v47, s[2:3]
	v_add_u32_e32 v44, 8, v36
	v_cmp_gt_u32_e64 s[8:9], v44, v19
	v_cmp_gt_u32_e64 s[10:11], 48, v36
	s_waitcnt lgkmcnt(0)
	v_max_u16_e32 v51, v46, v48
	v_cndmask_b32_e64 v49, v51, v45, s[8:9]
	v_cndmask_b32_e64 v45, 0, 1, s[10:11]
	v_lshlrev_b32_e32 v45, 4, v45
	v_add_lshl_u32 v45, v45, v15, 2
	ds_bpermute_b32 v52, v45, v49
	v_cmp_gt_u32_e64 s[12:13], 32, v36
	v_cndmask_b32_e64 v53, v51, v48, s[8:9]
	v_add_u32_e32 v46, 16, v36
	v_cndmask_b32_e64 v48, 0, 1, s[12:13]
	s_waitcnt lgkmcnt(0)
	v_max_u16_e32 v52, v52, v53
	v_cmp_gt_u32_e64 s[10:11], v46, v19
	v_lshlrev_b32_e32 v48, 5, v48
	v_cndmask_b32_e64 v49, v52, v49, s[10:11]
	v_add_lshl_u32 v48, v48, v15, 2
	ds_bpermute_b32 v15, v48, v49
	v_cndmask_b32_e32 v18, v18, v47, vcc
	v_cndmask_b32_e64 v18, v50, v18, s[2:3]
	v_add_u32_e32 v49, 32, v36
	v_cndmask_b32_e64 v53, v52, v53, s[10:11]
	v_cndmask_b32_e64 v18, v51, v18, s[8:9]
	s_waitcnt lgkmcnt(0)
	v_max_u16_e32 v15, v15, v53
	v_cndmask_b32_e64 v18, v52, v18, s[10:11]
	v_cmp_gt_u32_e32 vcc, v49, v19
	v_cndmask_b32_e32 v18, v15, v18, vcc
	v_mov_b32_e32 v15, 0
	s_branch .LBB3604_66
.LBB3604_65:                            ;   in Loop: Header=BB3604_66 Depth=1
	s_or_b64 exec, exec, s[2:3]
	v_cmp_eq_u16_sdwa s[2:3], v38, v35 src0_sel:BYTE_0 src1_sel:DWORD
	v_and_b32_e32 v51, 0xffff, v50
	v_and_b32_e32 v18, s3, v17
	ds_bpermute_b32 v52, v37, v51
	v_or_b32_e32 v18, 0x80000000, v18
	v_and_b32_e32 v19, s2, v16
	v_ffbl_b32_e32 v18, v18
	v_add_u32_e32 v18, 32, v18
	v_ffbl_b32_e32 v19, v19
	v_min_u32_e32 v18, v19, v18
	s_waitcnt lgkmcnt(0)
	v_max_u16_e32 v19, v52, v50
	v_cmp_lt_u32_e32 vcc, v36, v18
	v_cndmask_b32_e32 v51, v51, v19, vcc
	ds_bpermute_b32 v52, v39, v51
	v_cndmask_b32_e32 v19, v50, v19, vcc
	v_cmp_gt_u32_e64 s[2:3], v40, v18
	v_cmp_gt_u32_e64 s[8:9], v44, v18
	v_subrev_u32_e32 v14, 64, v14
	s_waitcnt lgkmcnt(0)
	v_max_u16_e32 v52, v52, v19
	v_cndmask_b32_e64 v51, v52, v51, s[2:3]
	ds_bpermute_b32 v53, v41, v51
	v_cndmask_b32_e64 v19, v52, v19, s[2:3]
	v_cmp_gt_u32_e64 s[2:3], v42, v18
	s_waitcnt lgkmcnt(0)
	v_max_u16_e32 v52, v53, v19
	v_cndmask_b32_e64 v51, v52, v51, s[2:3]
	ds_bpermute_b32 v53, v43, v51
	v_cndmask_b32_e64 v54, v52, v19, s[2:3]
	v_cndmask_b32_e32 v19, v50, v19, vcc
	v_cmp_gt_u32_e32 vcc, v46, v18
	v_cndmask_b32_e64 v19, v52, v19, s[2:3]
	s_waitcnt lgkmcnt(0)
	v_max_u16_e32 v53, v53, v54
	v_cndmask_b32_e64 v51, v53, v51, s[8:9]
	ds_bpermute_b32 v55, v45, v51
	v_cndmask_b32_e64 v50, v53, v54, s[8:9]
	v_cndmask_b32_e64 v19, v53, v19, s[8:9]
	s_waitcnt lgkmcnt(0)
	v_max_u16_e32 v54, v55, v50
	v_cndmask_b32_e32 v51, v54, v51, vcc
	ds_bpermute_b32 v51, v48, v51
	v_cndmask_b32_e32 v50, v54, v50, vcc
	v_cndmask_b32_e32 v19, v54, v19, vcc
	v_cmp_gt_u32_e32 vcc, v49, v18
	s_waitcnt lgkmcnt(0)
	v_max_u16_e32 v50, v51, v50
	v_cndmask_b32_e32 v18, v50, v19, vcc
	v_max_u16_e32 v18, v18, v47
.LBB3604_66:                            ; =>This Loop Header: Depth=1
                                        ;     Child Loop BB3604_69 Depth 2
                                        ;       Child Loop BB3604_70 Depth 3
	v_cmp_ne_u16_sdwa s[2:3], v38, v35 src0_sel:BYTE_0 src1_sel:DWORD
	v_cndmask_b32_e64 v19, 0, 1, s[2:3]
	;;#ASMSTART
	;;#ASMEND
	v_cmp_ne_u32_e32 vcc, 0, v19
	s_cmp_lg_u64 vcc, exec
	v_mov_b32_e32 v47, v18
	s_cbranch_scc1 .LBB3604_73
; %bb.67:                               ;   in Loop: Header=BB3604_66 Depth=1
	v_lshlrev_b64 v[18:19], 2, v[14:15]
	v_mov_b32_e32 v38, s17
	v_add_co_u32_e32 v18, vcc, s16, v18
	v_addc_co_u32_e32 v19, vcc, v38, v19, vcc
	global_load_dword v50, v[18:19], off glc
	s_waitcnt vmcnt(0)
	v_lshrrev_b32_e32 v38, 16, v50
	v_cmp_eq_u16_sdwa s[8:9], v38, v15 src0_sel:BYTE_0 src1_sel:DWORD
	s_and_saveexec_b64 s[2:3], s[8:9]
	s_cbranch_execz .LBB3604_65
; %bb.68:                               ;   in Loop: Header=BB3604_66 Depth=1
	s_mov_b32 s7, 1
	s_mov_b64 s[8:9], 0
.LBB3604_69:                            ;   Parent Loop BB3604_66 Depth=1
                                        ; =>  This Loop Header: Depth=2
                                        ;       Child Loop BB3604_70 Depth 3
	s_max_u32 s10, s7, 1
.LBB3604_70:                            ;   Parent Loop BB3604_66 Depth=1
                                        ;     Parent Loop BB3604_69 Depth=2
                                        ; =>    This Inner Loop Header: Depth=3
	s_add_i32 s10, s10, -1
	s_cmp_eq_u32 s10, 0
	s_sleep 1
	s_cbranch_scc0 .LBB3604_70
; %bb.71:                               ;   in Loop: Header=BB3604_69 Depth=2
	global_load_dword v50, v[18:19], off glc
	s_cmp_lt_u32 s7, 32
	s_cselect_b64 s[10:11], -1, 0
	s_cmp_lg_u64 s[10:11], 0
	s_addc_u32 s7, s7, 0
	s_waitcnt vmcnt(0)
	v_lshrrev_b32_e32 v38, 16, v50
	v_cmp_ne_u16_sdwa s[10:11], v38, v15 src0_sel:BYTE_0 src1_sel:DWORD
	s_or_b64 s[8:9], s[10:11], s[8:9]
	s_andn2_b64 exec, exec, s[8:9]
	s_cbranch_execnz .LBB3604_69
; %bb.72:                               ;   in Loop: Header=BB3604_66 Depth=1
	s_or_b64 exec, exec, s[8:9]
	s_branch .LBB3604_65
.LBB3604_73:                            ;   in Loop: Header=BB3604_66 Depth=1
                                        ; implicit-def: $vgpr18
                                        ; implicit-def: $vgpr38
	s_cbranch_execz .LBB3604_66
; %bb.74:
	s_and_saveexec_b64 s[2:3], s[0:1]
	s_cbranch_execz .LBB3604_76
; %bb.75:
	s_add_i32 s0, s6, 64
	s_mov_b32 s1, 0
	s_lshl_b64 s[0:1], s[0:1], 2
	v_max_u16_e32 v14, v47, v34
	s_add_u32 s0, s16, s0
	v_or_b32_e32 v14, 0x20000, v14
	s_addc_u32 s1, s17, s1
	v_mov_b32_e32 v15, 0
	global_store_dword v15, v14, s[0:1]
.LBB3604_76:
	s_or_b64 exec, exec, s[2:3]
	v_cmp_eq_u32_e32 vcc, 0, v0
	s_and_b64 exec, exec, vcc
	s_cbranch_execz .LBB3604_78
; %bb.77:
	v_mov_b32_e32 v14, 0
	ds_write_b16 v14, v47
.LBB3604_78:
	s_or_b64 exec, exec, s[18:19]
	v_mov_b32_e32 v14, 0
	s_waitcnt lgkmcnt(0)
	; wave barrier
	s_waitcnt lgkmcnt(0)
	ds_read_u16 v14, v14
	v_max_u16_e32 v15, v33, v10
	v_cmp_eq_u32_e32 vcc, 0, v0
	v_cndmask_b32_e32 v15, v15, v10, vcc
	s_waitcnt lgkmcnt(0)
	v_max_u16_e32 v14, v14, v15
	v_max_u16_sdwa v15, v14, v10 dst_sel:DWORD dst_unused:UNUSED_PAD src0_sel:DWORD src1_sel:WORD_1
	v_max_u16_e32 v16, v15, v11
	v_max_u16_e32 v17, v16, v31
	;; [unrolled: 1-line block ×22, first 2 shown]
	s_load_dwordx8 s[4:11], s[4:5], 0x40
	s_branch .LBB3604_89
.LBB3604_79:
                                        ; implicit-def: $vgpr14
                                        ; implicit-def: $vgpr15
                                        ; implicit-def: $vgpr16
                                        ; implicit-def: $vgpr17
                                        ; implicit-def: $vgpr18
                                        ; implicit-def: $vgpr19
                                        ; implicit-def: $vgpr34
                                        ; implicit-def: $vgpr36
                                        ; implicit-def: $vgpr33
                                        ; implicit-def: $vgpr35
                                        ; implicit-def: $vgpr37
                                        ; implicit-def: $vgpr38
                                        ; implicit-def: $vgpr39
                                        ; implicit-def: $vgpr40
                                        ; implicit-def: $vgpr42
                                        ; implicit-def: $vgpr44
                                        ; implicit-def: $vgpr41
                                        ; implicit-def: $vgpr43
                                        ; implicit-def: $vgpr45
                                        ; implicit-def: $vgpr46
                                        ; implicit-def: $vgpr47
                                        ; implicit-def: $vgpr48
                                        ; implicit-def: $vgpr49
                                        ; implicit-def: $vgpr50
	s_load_dwordx8 s[4:11], s[4:5], 0x40
	s_cbranch_execz .LBB3604_89
; %bb.80:
	s_waitcnt lgkmcnt(0)
	s_cmp_lg_u64 s[8:9], 0
	s_cselect_b64 s[2:3], -1, 0
	v_cmp_eq_u32_e64 s[0:1], 0, v0
	v_cmp_ne_u32_e32 vcc, 0, v0
	s_and_b64 s[2:3], s[0:1], s[2:3]
	v_mov_b32_e32 v14, v10
	s_and_saveexec_b64 s[0:1], s[2:3]
	s_cbranch_execz .LBB3604_82
; %bb.81:
	v_mov_b32_e32 v14, 0
	global_load_ushort v14, v14, s[4:5]
	s_waitcnt vmcnt(0)
	v_max_u16_e32 v14, v14, v10
.LBB3604_82:
	s_or_b64 exec, exec, s[0:1]
	v_max_u16_sdwa v15, v14, v10 dst_sel:DWORD dst_unused:UNUSED_PAD src0_sel:DWORD src1_sel:WORD_1
	v_max_u16_e32 v16, v15, v11
	v_max_u16_e32 v17, v16, v31
	v_max_u16_e32 v18, v17, v12
	v_max_u16_e32 v19, v18, v30
	v_max_u16_e32 v34, v19, v13
	v_max_u16_e32 v36, v34, v29
	v_max_u16_e32 v33, v36, v6
	v_max_u16_e32 v35, v33, v28
	v_max_u16_e32 v37, v35, v7
	v_max_u16_e32 v38, v37, v27
	v_max_u16_e32 v39, v38, v8
	v_max_u16_e32 v40, v39, v26
	v_max_u16_e32 v42, v40, v9
	v_max_u16_e32 v44, v42, v25
	v_max_u16_e32 v41, v44, v2
	v_max_u16_e32 v43, v41, v24
	v_max_u16_e32 v45, v43, v3
	v_max_u16_e32 v46, v45, v23
	v_max_u16_e32 v47, v46, v4
	v_max_u16_e32 v48, v47, v22
	v_max_u16_e32 v49, v48, v5
	v_max_u16_e32 v50, v49, v1
	v_mbcnt_hi_u32_b32 v32, -1, v32
	v_and_b32_e32 v51, 15, v32
	v_mov_b32_dpp v52, v50 row_shr:1 row_mask:0xf bank_mask:0xf
	v_max_u16_e32 v52, v52, v50
	v_cmp_eq_u32_e64 s[0:1], 0, v51
	v_cndmask_b32_e64 v52, v52, v50, s[0:1]
	v_and_b32_e32 v53, 0xffff, v52
	v_cmp_lt_u32_e64 s[0:1], 1, v51
	s_nop 0
	v_mov_b32_dpp v53, v53 row_shr:2 row_mask:0xf bank_mask:0xf
	v_max_u16_e32 v53, v53, v52
	v_cndmask_b32_e64 v52, v52, v53, s[0:1]
	v_and_b32_e32 v53, 0xffff, v52
	v_cmp_lt_u32_e64 s[0:1], 3, v51
	s_nop 0
	v_mov_b32_dpp v53, v53 row_shr:4 row_mask:0xf bank_mask:0xf
	v_max_u16_e32 v53, v53, v52
	;; [unrolled: 6-line block ×3, first 2 shown]
	v_cndmask_b32_e64 v51, v52, v53, s[0:1]
	v_and_b32_e32 v52, 0xffff, v51
	v_and_b32_e32 v53, 16, v32
	v_cmp_eq_u32_e64 s[0:1], 0, v53
	v_mov_b32_dpp v52, v52 row_bcast:15 row_mask:0xf bank_mask:0xf
	v_max_u16_e32 v52, v52, v51
	v_cndmask_b32_e64 v51, v52, v51, s[0:1]
	v_and_b32_e32 v52, 0xffff, v51
	v_cmp_lt_u32_e64 s[0:1], 31, v32
	s_nop 0
	v_mov_b32_dpp v52, v52 row_bcast:31 row_mask:0xf bank_mask:0xf
	v_max_u16_e32 v52, v52, v51
	v_cndmask_b32_e64 v51, v51, v52, s[0:1]
	v_cmp_eq_u32_e64 s[0:1], 63, v0
	s_and_saveexec_b64 s[2:3], s[0:1]
	s_cbranch_execz .LBB3604_84
; %bb.83:
	v_mov_b32_e32 v52, 0
	ds_write_b16 v52, v51
.LBB3604_84:
	s_or_b64 exec, exec, s[2:3]
	v_add_u32_e32 v52, -1, v32
	v_and_b32_e32 v53, 64, v32
	v_cmp_lt_i32_e64 s[2:3], v52, v53
	v_cndmask_b32_e64 v32, v52, v32, s[2:3]
	v_and_b32_e32 v51, 0xffff, v51
	v_lshlrev_b32_e32 v32, 2, v32
	ds_bpermute_b32 v32, v32, v51
	s_waitcnt lgkmcnt(0)
	; wave barrier
	s_waitcnt lgkmcnt(0)
	s_and_saveexec_b64 s[2:3], vcc
	s_cbranch_execz .LBB3604_86
; %bb.85:
	v_max_u16_e32 v14, v32, v14
	v_max_u16_sdwa v15, v14, v10 dst_sel:DWORD dst_unused:UNUSED_PAD src0_sel:DWORD src1_sel:WORD_1
	v_max_u16_e32 v16, v15, v11
	v_max_u16_e32 v17, v16, v31
	v_max_u16_e32 v18, v17, v12
	v_max_u16_e32 v19, v18, v30
	v_max_u16_e32 v34, v19, v13
	v_max_u16_e32 v36, v34, v29
	v_max_u16_e32 v33, v36, v6
	v_max_u16_e32 v35, v33, v28
	v_max_u16_e32 v37, v35, v7
	v_max_u16_e32 v38, v37, v27
	v_max_u16_e32 v39, v38, v8
	v_max_u16_e32 v40, v39, v26
	v_max_u16_e32 v42, v40, v9
	v_max_u16_e32 v44, v42, v25
	v_max_u16_e32 v41, v44, v2
	v_max_u16_e32 v43, v41, v24
	v_max_u16_e32 v45, v43, v3
	v_max_u16_e32 v46, v45, v23
	v_max_u16_e32 v47, v46, v4
	v_max_u16_e32 v48, v47, v22
	v_max_u16_e32 v49, v48, v5
	v_max_u16_e32 v50, v49, v1
	;;#ASMSTART
	;;#ASMEND
.LBB3604_86:
	s_or_b64 exec, exec, s[2:3]
	s_and_saveexec_b64 s[2:3], s[0:1]
	s_cbranch_execz .LBB3604_88
; %bb.87:
	s_mov_b32 s0, 0x20000
	v_mov_b32_e32 v1, 0
	v_or_b32_sdwa v2, v50, s0 dst_sel:DWORD dst_unused:UNUSED_PAD src0_sel:WORD_0 src1_sel:DWORD
	global_store_dword v1, v2, s[16:17] offset:256
.LBB3604_88:
	s_or_b64 exec, exec, s[2:3]
.LBB3604_89:
	s_mov_b32 s0, 0x5040100
	v_perm_b32 v5, v36, v34, s0
	v_perm_b32 v4, v19, v18, s0
	;; [unrolled: 1-line block ×4, first 2 shown]
	s_waitcnt lgkmcnt(0)
	; wave barrier
	s_waitcnt lgkmcnt(0)
	ds_write_b128 v21, v[2:5]
	v_perm_b32 v5, v44, v42, s0
	v_perm_b32 v4, v40, v39, s0
	;; [unrolled: 1-line block ×4, first 2 shown]
	ds_write_b128 v21, v[2:5] offset:16
	v_perm_b32 v5, v50, v49, s0
	v_perm_b32 v4, v48, v47, s0
	;; [unrolled: 1-line block ×4, first 2 shown]
	s_mov_b64 s[0:1], -1
	s_and_b64 vcc, exec, s[14:15]
	ds_write_b128 v21, v[2:5] offset:32
	s_waitcnt lgkmcnt(0)
	s_cbranch_vccz .LBB3604_91
; %bb.90:
	; wave barrier
	s_mov_b64 s[0:1], 0
.LBB3604_91:
	s_andn2_b64 vcc, exec, s[0:1]
	s_cbranch_vccnz .LBB3604_100
; %bb.92:
	v_cmp_lt_u64_e64 s[0:1], s[10:11], 2
	s_and_b64 vcc, exec, s[0:1]
	; wave barrier
	s_cbranch_vccnz .LBB3604_100
; %bb.93:
	s_add_u32 s0, s20, -1
	s_addc_u32 s1, s21, -1
	s_add_u32 s2, 0, 0xaaaa0000
	s_addc_u32 s3, 0, 42
	s_add_i32 s3, s3, 0xaaaaa80
	s_mul_hi_u32 s9, s2, 0xffffffe8
	s_sub_i32 s9, s9, s2
	s_mul_i32 s10, s3, 0xffffffe8
	s_mul_i32 s4, s2, 0xffffffe8
	s_add_i32 s9, s9, s10
	s_mul_hi_u32 s5, s3, s4
	s_mul_i32 s8, s3, s4
	s_mul_i32 s11, s2, s9
	s_mul_hi_u32 s4, s2, s4
	s_mul_hi_u32 s10, s2, s9
	s_add_u32 s4, s4, s11
	s_addc_u32 s10, 0, s10
	s_add_u32 s4, s4, s8
	s_mul_hi_u32 s11, s3, s9
	s_addc_u32 s4, s10, s5
	s_addc_u32 s5, s11, 0
	s_mul_i32 s8, s3, s9
	s_add_u32 s4, s4, s8
	v_mov_b32_e32 v2, s4
	s_addc_u32 s5, 0, s5
	v_add_co_u32_e32 v2, vcc, s2, v2
	s_cmp_lg_u64 vcc, 0
	s_addc_u32 s2, s3, s5
	v_readfirstlane_b32 s5, v2
	s_mul_i32 s4, s0, s2
	s_mul_hi_u32 s8, s0, s5
	s_mul_hi_u32 s3, s0, s2
	s_add_u32 s4, s8, s4
	s_addc_u32 s3, 0, s3
	s_mul_hi_u32 s9, s1, s5
	s_mul_i32 s5, s1, s5
	s_add_u32 s4, s4, s5
	s_mul_hi_u32 s8, s1, s2
	s_addc_u32 s3, s3, s9
	s_addc_u32 s4, s8, 0
	s_mul_i32 s2, s1, s2
	s_add_u32 s2, s3, s2
	s_addc_u32 s3, 0, s4
	s_add_u32 s4, s2, 1
	s_addc_u32 s5, s3, 0
	s_add_u32 s8, s2, 2
	s_mul_i32 s10, s3, 24
	s_mul_hi_u32 s11, s2, 24
	s_addc_u32 s9, s3, 0
	s_add_i32 s11, s11, s10
	s_mul_i32 s10, s2, 24
	v_mov_b32_e32 v2, s10
	v_sub_co_u32_e32 v2, vcc, s0, v2
	s_cmp_lg_u64 vcc, 0
	s_subb_u32 s10, s1, s11
	v_subrev_co_u32_e32 v3, vcc, 24, v2
	s_cmp_lg_u64 vcc, 0
	s_subb_u32 s11, s10, 0
	v_readfirstlane_b32 s12, v3
	s_cmp_gt_u32 s12, 23
	s_cselect_b32 s12, -1, 0
	s_cmp_eq_u32 s11, 0
	s_cselect_b32 s11, s12, -1
	s_cmp_lg_u32 s11, 0
	s_cselect_b32 s4, s8, s4
	v_readfirstlane_b32 s8, v2
	s_cselect_b32 s5, s9, s5
	s_cmp_gt_u32 s8, 23
	s_cselect_b32 s8, -1, 0
	s_cmp_eq_u32 s10, 0
	s_cselect_b32 s8, s8, -1
	s_cmp_lg_u32 s8, 0
	v_mov_b32_e32 v1, 0
	s_cselect_b32 s3, s5, s3
	s_cselect_b32 s2, s4, s2
	v_cmp_eq_u64_e32 vcc, s[2:3], v[0:1]
	s_and_saveexec_b64 s[2:3], vcc
	s_cbranch_execz .LBB3604_100
; %bb.94:
	s_movk_i32 s2, 0xffd2
	v_mad_i32_i24 v2, v0, s2, v21
	v_mul_hi_u32_u24_e32 v1, 24, v0
	v_mov_b32_e32 v3, s1
	v_sub_co_u32_e32 v0, vcc, s0, v20
	v_subb_co_u32_e32 v1, vcc, v3, v1, vcc
	v_cmp_lt_i64_e32 vcc, 11, v[0:1]
	s_mov_b64 s[0:1], 0
	s_mov_b64 s[10:11], 0
	;; [unrolled: 1-line block ×4, first 2 shown]
                                        ; implicit-def: $vgpr3
                                        ; implicit-def: $vgpr4
                                        ; implicit-def: $vgpr5
	s_and_saveexec_b64 s[2:3], vcc
	s_xor_b64 s[2:3], exec, s[2:3]
	s_cbranch_execnz .LBB3604_101
; %bb.95:
	s_andn2_saveexec_b64 s[2:3], s[2:3]
	s_cbranch_execnz .LBB3604_146
.LBB3604_96:
	s_or_b64 exec, exec, s[2:3]
	s_and_saveexec_b64 s[2:3], s[10:11]
	s_cbranch_execnz .LBB3604_163
.LBB3604_97:
	s_or_b64 exec, exec, s[2:3]
	s_and_saveexec_b64 s[2:3], s[8:9]
	s_cbranch_execnz .LBB3604_164
.LBB3604_98:
	s_or_b64 exec, exec, s[2:3]
	s_and_saveexec_b64 s[2:3], s[4:5]
	s_xor_b64 s[2:3], exec, s[2:3]
	s_cbranch_execnz .LBB3604_165
.LBB3604_99:
	s_or_b64 exec, exec, s[2:3]
	s_and_b64 exec, exec, s[0:1]
	s_cbranch_execnz .LBB3604_166
.LBB3604_100:
	s_endpgm
.LBB3604_101:
	v_cmp_lt_i64_e32 vcc, 17, v[0:1]
                                        ; implicit-def: $vgpr3
                                        ; implicit-def: $vgpr4
                                        ; implicit-def: $vgpr5
	s_and_saveexec_b64 s[12:13], vcc
	s_xor_b64 s[12:13], exec, s[12:13]
	s_cbranch_execz .LBB3604_123
; %bb.102:
	v_cmp_lt_i64_e32 vcc, 20, v[0:1]
                                        ; implicit-def: $vgpr3
                                        ; implicit-def: $vgpr4
	s_and_saveexec_b64 s[14:15], vcc
	s_xor_b64 s[14:15], exec, s[14:15]
	s_cbranch_execz .LBB3604_112
; %bb.103:
	v_cmp_lt_i64_e32 vcc, 21, v[0:1]
	s_mov_b64 s[16:17], 0
                                        ; implicit-def: $vgpr3
	s_and_saveexec_b64 s[4:5], vcc
	s_xor_b64 s[4:5], exec, s[4:5]
	s_cbranch_execz .LBB3604_109
; %bb.104:
	v_cmp_lt_i64_e32 vcc, 22, v[0:1]
	s_and_saveexec_b64 s[16:17], vcc
	s_xor_b64 s[16:17], exec, s[16:17]
	s_cbranch_execz .LBB3604_106
; %bb.105:
	ds_read_u16 v3, v2 offset:2944
	v_mov_b32_e32 v4, 0
	s_waitcnt lgkmcnt(0)
	global_store_short v4, v3, s[6:7]
.LBB3604_106:
	s_or_saveexec_b64 s[16:17], s[16:17]
	s_mov_b64 s[18:19], 0
                                        ; implicit-def: $vgpr3
	s_xor_b64 exec, exec, s[16:17]
	s_cbranch_execz .LBB3604_108
; %bb.107:
	ds_read_u16 v3, v2 offset:2816
	s_mov_b64 s[18:19], exec
.LBB3604_108:
	s_or_b64 exec, exec, s[16:17]
	s_and_b64 s[16:17], s[18:19], exec
.LBB3604_109:
	s_or_saveexec_b64 s[4:5], s[4:5]
                                        ; implicit-def: $vgpr4
	s_xor_b64 exec, exec, s[4:5]
	s_cbranch_execz .LBB3604_111
; %bb.110:
	ds_read_u16 v4, v2 offset:2688
	s_mov_b64 s[8:9], exec
                                        ; implicit-def: $vgpr3
.LBB3604_111:
	s_or_b64 exec, exec, s[4:5]
	s_and_b64 s[4:5], s[16:17], exec
	s_and_b64 s[8:9], s[8:9], exec
.LBB3604_112:
	s_or_saveexec_b64 s[14:15], s[14:15]
                                        ; implicit-def: $vgpr5
	s_xor_b64 exec, exec, s[14:15]
	s_cbranch_execz .LBB3604_122
; %bb.113:
	v_cmp_lt_i64_e32 vcc, 18, v[0:1]
	s_mov_b64 s[16:17], 0
                                        ; implicit-def: $vgpr5
	s_and_saveexec_b64 s[10:11], vcc
	s_xor_b64 s[10:11], exec, s[10:11]
	s_cbranch_execz .LBB3604_119
; %bb.114:
	v_cmp_lt_i64_e32 vcc, 19, v[0:1]
                                        ; implicit-def: $vgpr5
	s_and_saveexec_b64 s[18:19], vcc
	s_xor_b64 s[18:19], exec, s[18:19]
	s_cbranch_execz .LBB3604_116
; %bb.115:
	ds_read_u16 v5, v2 offset:2560
	s_mov_b64 s[16:17], exec
.LBB3604_116:
	s_andn2_saveexec_b64 s[18:19], s[18:19]
	s_cbranch_execz .LBB3604_118
; %bb.117:
	s_waitcnt lgkmcnt(0)
	ds_read_u16 v3, v2 offset:2432
	v_mov_b32_e32 v4, 0
                                        ; implicit-def: $vgpr5
	s_waitcnt lgkmcnt(0)
	global_store_short v4, v3, s[6:7]
.LBB3604_118:
	s_or_b64 exec, exec, s[18:19]
	s_and_b64 s[16:17], s[16:17], exec
.LBB3604_119:
	s_andn2_saveexec_b64 s[10:11], s[10:11]
	s_cbranch_execz .LBB3604_121
; %bb.120:
	s_waitcnt lgkmcnt(0)
	ds_read_u16 v3, v2 offset:2304
	v_mov_b32_e32 v4, 0
                                        ; implicit-def: $vgpr5
	s_waitcnt lgkmcnt(0)
	global_store_short v4, v3, s[6:7]
.LBB3604_121:
	s_or_b64 exec, exec, s[10:11]
	s_and_b64 s[10:11], s[16:17], exec
                                        ; implicit-def: $vgpr3
                                        ; implicit-def: $vgpr4
.LBB3604_122:
	s_or_b64 exec, exec, s[14:15]
	s_and_b64 s[4:5], s[4:5], exec
	s_and_b64 s[8:9], s[8:9], exec
	s_and_b64 s[10:11], s[10:11], exec
.LBB3604_123:
	s_andn2_saveexec_b64 s[12:13], s[12:13]
	s_cbranch_execz .LBB3604_145
; %bb.124:
	v_cmp_lt_i64_e32 vcc, 14, v[0:1]
	s_mov_b64 s[14:15], s[4:5]
                                        ; implicit-def: $vgpr3
	s_and_saveexec_b64 s[16:17], vcc
	s_xor_b64 s[16:17], exec, s[16:17]
	s_cbranch_execz .LBB3604_134
; %bb.125:
	v_cmp_lt_i64_e32 vcc, 15, v[0:1]
	s_and_saveexec_b64 s[14:15], vcc
	s_xor_b64 s[14:15], exec, s[14:15]
	s_cbranch_execz .LBB3604_131
; %bb.126:
	v_cmp_lt_i64_e32 vcc, 16, v[0:1]
	s_and_saveexec_b64 s[18:19], vcc
	s_xor_b64 s[18:19], exec, s[18:19]
	s_cbranch_execz .LBB3604_128
; %bb.127:
	s_waitcnt lgkmcnt(0)
	ds_read_u16 v3, v2 offset:2176
	v_mov_b32_e32 v4, 0
	s_waitcnt lgkmcnt(0)
	global_store_short v4, v3, s[6:7]
.LBB3604_128:
	s_andn2_saveexec_b64 s[18:19], s[18:19]
	s_cbranch_execz .LBB3604_130
; %bb.129:
	s_waitcnt lgkmcnt(0)
	ds_read_u16 v3, v2 offset:2048
	v_mov_b32_e32 v4, 0
	s_waitcnt lgkmcnt(0)
	global_store_short v4, v3, s[6:7]
.LBB3604_130:
	s_or_b64 exec, exec, s[18:19]
.LBB3604_131:
	s_or_saveexec_b64 s[14:15], s[14:15]
	s_mov_b64 s[18:19], s[4:5]
                                        ; implicit-def: $vgpr3
	s_xor_b64 exec, exec, s[14:15]
	s_cbranch_execz .LBB3604_133
; %bb.132:
	s_waitcnt lgkmcnt(0)
	ds_read_u16 v3, v2 offset:1920
	s_or_b64 s[18:19], s[4:5], exec
.LBB3604_133:
	s_or_b64 exec, exec, s[14:15]
	s_andn2_b64 s[14:15], s[4:5], exec
	s_and_b64 s[18:19], s[18:19], exec
	s_or_b64 s[14:15], s[14:15], s[18:19]
.LBB3604_134:
	s_or_saveexec_b64 s[16:17], s[16:17]
	s_mov_b64 s[18:19], s[8:9]
                                        ; implicit-def: $vgpr4
	s_xor_b64 exec, exec, s[16:17]
	s_cbranch_execz .LBB3604_144
; %bb.135:
	v_cmp_lt_i64_e32 vcc, 12, v[0:1]
	s_mov_b64 s[20:21], s[8:9]
	s_mov_b64 s[22:23], s[14:15]
                                        ; implicit-def: $vgpr3
                                        ; implicit-def: $vgpr4
	s_and_saveexec_b64 s[18:19], vcc
	s_xor_b64 s[18:19], exec, s[18:19]
	s_cbranch_execz .LBB3604_141
; %bb.136:
	v_cmp_lt_i64_e32 vcc, 13, v[0:1]
	s_mov_b64 s[20:21], s[14:15]
                                        ; implicit-def: $vgpr3
	s_and_saveexec_b64 s[22:23], vcc
	s_xor_b64 s[22:23], exec, s[22:23]
	s_cbranch_execz .LBB3604_138
; %bb.137:
	s_waitcnt lgkmcnt(0)
	ds_read_u16 v3, v2 offset:1792
	s_or_b64 s[20:21], s[14:15], exec
.LBB3604_138:
	s_or_saveexec_b64 s[22:23], s[22:23]
	s_mov_b64 s[24:25], s[8:9]
                                        ; implicit-def: $vgpr4
	s_xor_b64 exec, exec, s[22:23]
	s_cbranch_execz .LBB3604_140
; %bb.139:
	s_waitcnt lgkmcnt(0)
	ds_read_u16 v4, v2 offset:1664
	s_or_b64 s[24:25], s[8:9], exec
                                        ; implicit-def: $vgpr3
.LBB3604_140:
	s_or_b64 exec, exec, s[22:23]
	s_andn2_b64 s[22:23], s[14:15], exec
	s_and_b64 s[20:21], s[20:21], exec
	s_or_b64 s[22:23], s[22:23], s[20:21]
	s_andn2_b64 s[20:21], s[8:9], exec
	s_and_b64 s[24:25], s[24:25], exec
	s_or_b64 s[20:21], s[20:21], s[24:25]
.LBB3604_141:
	s_andn2_saveexec_b64 s[18:19], s[18:19]
	s_cbranch_execz .LBB3604_143
; %bb.142:
	s_waitcnt lgkmcnt(0)
	ds_read_u16 v4, v2 offset:1536
	s_or_b64 s[20:21], s[20:21], exec
                                        ; implicit-def: $vgpr3
.LBB3604_143:
	s_or_b64 exec, exec, s[18:19]
	s_andn2_b64 s[14:15], s[14:15], exec
	s_and_b64 s[18:19], s[22:23], exec
	s_or_b64 s[14:15], s[14:15], s[18:19]
	s_andn2_b64 s[18:19], s[8:9], exec
	s_and_b64 s[20:21], s[20:21], exec
	s_or_b64 s[18:19], s[18:19], s[20:21]
.LBB3604_144:
	s_or_b64 exec, exec, s[16:17]
	s_andn2_b64 s[4:5], s[4:5], exec
	s_and_b64 s[14:15], s[14:15], exec
	s_or_b64 s[4:5], s[4:5], s[14:15]
	s_andn2_b64 s[8:9], s[8:9], exec
	s_and_b64 s[14:15], s[18:19], exec
	s_or_b64 s[8:9], s[8:9], s[14:15]
                                        ; implicit-def: $vgpr5
.LBB3604_145:
	s_or_b64 exec, exec, s[12:13]
	s_and_b64 s[4:5], s[4:5], exec
	s_and_b64 s[8:9], s[8:9], exec
	;; [unrolled: 1-line block ×3, first 2 shown]
	s_andn2_saveexec_b64 s[2:3], s[2:3]
	s_cbranch_execz .LBB3604_96
.LBB3604_146:
	v_cmp_lt_i64_e32 vcc, 5, v[0:1]
	s_mov_b64 s[14:15], -1
	s_mov_b64 s[12:13], s[10:11]
	s_mov_b64 s[16:17], s[8:9]
	;; [unrolled: 1-line block ×3, first 2 shown]
                                        ; implicit-def: $vgpr3
                                        ; implicit-def: $vgpr4
                                        ; implicit-def: $vgpr5
	s_and_saveexec_b64 s[0:1], vcc
	s_cbranch_execz .LBB3604_162
; %bb.147:
	v_cmp_lt_i64_e32 vcc, 8, v[0:1]
	s_mov_b64 s[12:13], s[10:11]
                                        ; implicit-def: $vgpr5
	s_and_saveexec_b64 s[14:15], vcc
	s_xor_b64 s[14:15], exec, s[14:15]
	s_cbranch_execz .LBB3604_157
; %bb.148:
	v_cmp_lt_i64_e32 vcc, 9, v[0:1]
                                        ; implicit-def: $vgpr5
	s_and_saveexec_b64 s[12:13], vcc
	s_xor_b64 s[12:13], exec, s[12:13]
	s_cbranch_execz .LBB3604_154
; %bb.149:
	v_cmp_lt_i64_e32 vcc, 10, v[0:1]
                                        ; implicit-def: $vgpr5
	s_and_saveexec_b64 s[16:17], vcc
	s_xor_b64 s[16:17], exec, s[16:17]
	s_cbranch_execz .LBB3604_151
; %bb.150:
	s_waitcnt lgkmcnt(0)
	ds_read_u16 v5, v2 offset:1408
.LBB3604_151:
	s_andn2_saveexec_b64 s[16:17], s[16:17]
	s_cbranch_execz .LBB3604_153
; %bb.152:
	s_waitcnt lgkmcnt(0)
	ds_read_u16 v5, v2 offset:1280
.LBB3604_153:
	s_or_b64 exec, exec, s[16:17]
.LBB3604_154:
	s_andn2_saveexec_b64 s[12:13], s[12:13]
	s_cbranch_execz .LBB3604_156
; %bb.155:
	s_waitcnt lgkmcnt(0)
	ds_read_u16 v5, v2 offset:1152
.LBB3604_156:
	s_or_b64 exec, exec, s[12:13]
	s_or_b64 s[12:13], s[10:11], exec
.LBB3604_157:
	s_or_saveexec_b64 s[14:15], s[14:15]
	s_mov_b64 s[16:17], s[8:9]
	s_mov_b64 s[20:21], s[4:5]
                                        ; implicit-def: $vgpr3
                                        ; implicit-def: $vgpr4
	s_xor_b64 exec, exec, s[14:15]
	s_cbranch_execz .LBB3604_161
; %bb.158:
	s_waitcnt lgkmcnt(0)
	ds_read_u16 v3, v2 offset:768
	v_cmp_lt_i64_e32 vcc, 6, v[0:1]
	s_mov_b64 s[20:21], -1
	s_mov_b64 s[18:19], s[12:13]
	s_mov_b64 s[16:17], s[8:9]
                                        ; implicit-def: $vgpr4
                                        ; implicit-def: $vgpr5
	s_and_saveexec_b64 s[22:23], vcc
	s_cbranch_execz .LBB3604_160
; %bb.159:
	ds_read_u16 v4, v2 offset:896
	ds_read_u16 v5, v2 offset:1024
	v_cmp_lt_i64_e32 vcc, 7, v[0:1]
	s_andn2_b64 s[18:19], s[12:13], exec
	s_and_b64 s[24:25], vcc, exec
	s_xor_b64 s[20:21], exec, -1
	s_or_b64 s[16:17], s[8:9], exec
	s_or_b64 s[18:19], s[18:19], s[24:25]
                                        ; implicit-def: $vgpr3
.LBB3604_160:
	s_or_b64 exec, exec, s[22:23]
	s_andn2_b64 s[22:23], s[4:5], exec
	s_and_b64 s[20:21], s[20:21], exec
	s_or_b64 s[20:21], s[22:23], s[20:21]
	s_andn2_b64 s[22:23], s[8:9], exec
	s_and_b64 s[16:17], s[16:17], exec
	s_andn2_b64 s[12:13], s[12:13], exec
	s_and_b64 s[18:19], s[18:19], exec
	s_or_b64 s[16:17], s[22:23], s[16:17]
	s_or_b64 s[12:13], s[12:13], s[18:19]
.LBB3604_161:
	s_or_b64 exec, exec, s[14:15]
	s_andn2_b64 s[18:19], s[4:5], exec
	s_and_b64 s[20:21], s[20:21], exec
	s_or_b64 s[18:19], s[18:19], s[20:21]
	s_andn2_b64 s[20:21], s[8:9], exec
	s_and_b64 s[16:17], s[16:17], exec
	s_or_b64 s[16:17], s[20:21], s[16:17]
	s_andn2_b64 s[20:21], s[10:11], exec
	s_and_b64 s[12:13], s[12:13], exec
	s_xor_b64 s[14:15], exec, -1
	s_or_b64 s[12:13], s[20:21], s[12:13]
.LBB3604_162:
	s_or_b64 exec, exec, s[0:1]
	s_and_b64 s[0:1], s[14:15], exec
	s_andn2_b64 s[4:5], s[4:5], exec
	s_and_b64 s[14:15], s[18:19], exec
	s_or_b64 s[4:5], s[4:5], s[14:15]
	s_andn2_b64 s[8:9], s[8:9], exec
	s_and_b64 s[14:15], s[16:17], exec
	s_andn2_b64 s[10:11], s[10:11], exec
	s_and_b64 s[12:13], s[12:13], exec
	s_or_b64 s[8:9], s[8:9], s[14:15]
	s_or_b64 s[10:11], s[10:11], s[12:13]
	s_or_b64 exec, exec, s[2:3]
	s_and_saveexec_b64 s[2:3], s[10:11]
	s_cbranch_execz .LBB3604_97
.LBB3604_163:
	s_waitcnt lgkmcnt(0)
	v_mov_b32_e32 v3, 0
	s_andn2_b64 s[8:9], s[8:9], exec
	global_store_short v3, v5, s[6:7]
                                        ; implicit-def: $vgpr3
                                        ; implicit-def: $vgpr4
	s_or_b64 exec, exec, s[2:3]
	s_and_saveexec_b64 s[2:3], s[8:9]
	s_cbranch_execz .LBB3604_98
.LBB3604_164:
	s_waitcnt lgkmcnt(0)
	v_mov_b32_e32 v3, 0
	global_store_short v3, v4, s[6:7]
                                        ; implicit-def: $vgpr3
	s_or_b64 exec, exec, s[2:3]
	s_and_saveexec_b64 s[2:3], s[4:5]
	s_xor_b64 s[2:3], exec, s[2:3]
	s_cbranch_execz .LBB3604_99
.LBB3604_165:
	s_waitcnt lgkmcnt(0)
	v_mov_b32_e32 v4, 0
	global_store_short v4, v3, s[6:7]
	s_or_b64 exec, exec, s[2:3]
	s_and_b64 exec, exec, s[0:1]
	s_cbranch_execz .LBB3604_100
.LBB3604_166:
	v_cmp_lt_i64_e32 vcc, 2, v[0:1]
	s_and_saveexec_b64 s[0:1], vcc
	s_xor_b64 s[0:1], exec, s[0:1]
	s_cbranch_execz .LBB3604_176
; %bb.167:
	v_cmp_lt_i64_e32 vcc, 3, v[0:1]
	s_and_saveexec_b64 s[2:3], vcc
	s_xor_b64 s[2:3], exec, s[2:3]
	s_cbranch_execz .LBB3604_173
; %bb.168:
	;; [unrolled: 5-line block ×3, first 2 shown]
	ds_read_u16 v0, v2 offset:640
	v_mov_b32_e32 v1, 0
                                        ; implicit-def: $vgpr2
	s_waitcnt lgkmcnt(0)
	global_store_short v1, v0, s[6:7]
.LBB3604_170:
	s_andn2_saveexec_b64 s[4:5], s[4:5]
	s_cbranch_execz .LBB3604_172
; %bb.171:
	ds_read_u16 v0, v2 offset:512
	v_mov_b32_e32 v1, 0
	s_waitcnt lgkmcnt(0)
	global_store_short v1, v0, s[6:7]
.LBB3604_172:
	s_or_b64 exec, exec, s[4:5]
                                        ; implicit-def: $vgpr2
.LBB3604_173:
	s_andn2_saveexec_b64 s[2:3], s[2:3]
	s_cbranch_execz .LBB3604_175
; %bb.174:
	ds_read_u16 v0, v2 offset:384
	v_mov_b32_e32 v1, 0
	s_waitcnt lgkmcnt(0)
	global_store_short v1, v0, s[6:7]
.LBB3604_175:
	s_or_b64 exec, exec, s[2:3]
                                        ; implicit-def: $vgpr0_vgpr1
                                        ; implicit-def: $vgpr2
.LBB3604_176:
	s_andn2_saveexec_b64 s[0:1], s[0:1]
	s_cbranch_execz .LBB3604_100
; %bb.177:
	v_cmp_lt_i64_e32 vcc, 1, v[0:1]
	s_and_saveexec_b64 s[0:1], vcc
	s_xor_b64 s[0:1], exec, s[0:1]
	s_cbranch_execz .LBB3604_179
; %bb.178:
	ds_read_u16 v0, v2 offset:256
	v_mov_b32_e32 v1, 0
                                        ; implicit-def: $vgpr2
	s_waitcnt lgkmcnt(0)
	global_store_short v1, v0, s[6:7]
                                        ; implicit-def: $vgpr0_vgpr1
.LBB3604_179:
	s_andn2_saveexec_b64 s[0:1], s[0:1]
	s_cbranch_execz .LBB3604_100
; %bb.180:
	v_cmp_ne_u64_e32 vcc, 1, v[0:1]
	s_and_saveexec_b64 s[0:1], vcc
	s_xor_b64 s[0:1], exec, s[0:1]
	s_cbranch_execz .LBB3604_182
; %bb.181:
	ds_read_u16 v0, v2
	v_mov_b32_e32 v1, 0
                                        ; implicit-def: $vgpr2
	s_waitcnt lgkmcnt(0)
	global_store_short v1, v0, s[6:7]
.LBB3604_182:
	s_andn2_saveexec_b64 s[0:1], s[0:1]
	s_cbranch_execz .LBB3604_100
; %bb.183:
	ds_read_u16 v0, v2 offset:128
	v_mov_b32_e32 v1, 0
	s_waitcnt lgkmcnt(0)
	global_store_short v1, v0, s[6:7]
	s_endpgm
	.section	.rodata,"a",@progbits
	.p2align	6, 0x0
	.amdhsa_kernel _ZN7rocprim17ROCPRIM_400000_NS6detail17trampoline_kernelINS0_14default_configENS1_20scan_config_selectorItEEZZNS1_9scan_implILNS1_25lookback_scan_determinismE0ELb0ELb0ES3_N6thrust23THRUST_200600_302600_NS6detail15normal_iteratorINS9_10device_ptrItEEEENS9_16discard_iteratorINS9_11use_defaultEEEt11max_functorItEtEEDaPvRmT3_T4_T5_mT6_P12ihipStream_tbENKUlT_T0_E_clISt17integral_constantIbLb1EESW_IbLb0EEEEDaSS_ST_EUlSS_E_NS1_11comp_targetILNS1_3genE4ELNS1_11target_archE910ELNS1_3gpuE8ELNS1_3repE0EEENS1_30default_config_static_selectorELNS0_4arch9wavefront6targetE1EEEvT1_
		.amdhsa_group_segment_fixed_size 3072
		.amdhsa_private_segment_fixed_size 0
		.amdhsa_kernarg_size 104
		.amdhsa_user_sgpr_count 6
		.amdhsa_user_sgpr_private_segment_buffer 1
		.amdhsa_user_sgpr_dispatch_ptr 0
		.amdhsa_user_sgpr_queue_ptr 0
		.amdhsa_user_sgpr_kernarg_segment_ptr 1
		.amdhsa_user_sgpr_dispatch_id 0
		.amdhsa_user_sgpr_flat_scratch_init 0
		.amdhsa_user_sgpr_kernarg_preload_length 0
		.amdhsa_user_sgpr_kernarg_preload_offset 0
		.amdhsa_user_sgpr_private_segment_size 0
		.amdhsa_uses_dynamic_stack 0
		.amdhsa_system_sgpr_private_segment_wavefront_offset 0
		.amdhsa_system_sgpr_workgroup_id_x 1
		.amdhsa_system_sgpr_workgroup_id_y 0
		.amdhsa_system_sgpr_workgroup_id_z 0
		.amdhsa_system_sgpr_workgroup_info 0
		.amdhsa_system_vgpr_workitem_id 0
		.amdhsa_next_free_vgpr 56
		.amdhsa_next_free_sgpr 26
		.amdhsa_accum_offset 56
		.amdhsa_reserve_vcc 1
		.amdhsa_reserve_flat_scratch 0
		.amdhsa_float_round_mode_32 0
		.amdhsa_float_round_mode_16_64 0
		.amdhsa_float_denorm_mode_32 3
		.amdhsa_float_denorm_mode_16_64 3
		.amdhsa_dx10_clamp 1
		.amdhsa_ieee_mode 1
		.amdhsa_fp16_overflow 0
		.amdhsa_tg_split 0
		.amdhsa_exception_fp_ieee_invalid_op 0
		.amdhsa_exception_fp_denorm_src 0
		.amdhsa_exception_fp_ieee_div_zero 0
		.amdhsa_exception_fp_ieee_overflow 0
		.amdhsa_exception_fp_ieee_underflow 0
		.amdhsa_exception_fp_ieee_inexact 0
		.amdhsa_exception_int_div_zero 0
	.end_amdhsa_kernel
	.section	.text._ZN7rocprim17ROCPRIM_400000_NS6detail17trampoline_kernelINS0_14default_configENS1_20scan_config_selectorItEEZZNS1_9scan_implILNS1_25lookback_scan_determinismE0ELb0ELb0ES3_N6thrust23THRUST_200600_302600_NS6detail15normal_iteratorINS9_10device_ptrItEEEENS9_16discard_iteratorINS9_11use_defaultEEEt11max_functorItEtEEDaPvRmT3_T4_T5_mT6_P12ihipStream_tbENKUlT_T0_E_clISt17integral_constantIbLb1EESW_IbLb0EEEEDaSS_ST_EUlSS_E_NS1_11comp_targetILNS1_3genE4ELNS1_11target_archE910ELNS1_3gpuE8ELNS1_3repE0EEENS1_30default_config_static_selectorELNS0_4arch9wavefront6targetE1EEEvT1_,"axG",@progbits,_ZN7rocprim17ROCPRIM_400000_NS6detail17trampoline_kernelINS0_14default_configENS1_20scan_config_selectorItEEZZNS1_9scan_implILNS1_25lookback_scan_determinismE0ELb0ELb0ES3_N6thrust23THRUST_200600_302600_NS6detail15normal_iteratorINS9_10device_ptrItEEEENS9_16discard_iteratorINS9_11use_defaultEEEt11max_functorItEtEEDaPvRmT3_T4_T5_mT6_P12ihipStream_tbENKUlT_T0_E_clISt17integral_constantIbLb1EESW_IbLb0EEEEDaSS_ST_EUlSS_E_NS1_11comp_targetILNS1_3genE4ELNS1_11target_archE910ELNS1_3gpuE8ELNS1_3repE0EEENS1_30default_config_static_selectorELNS0_4arch9wavefront6targetE1EEEvT1_,comdat
.Lfunc_end3604:
	.size	_ZN7rocprim17ROCPRIM_400000_NS6detail17trampoline_kernelINS0_14default_configENS1_20scan_config_selectorItEEZZNS1_9scan_implILNS1_25lookback_scan_determinismE0ELb0ELb0ES3_N6thrust23THRUST_200600_302600_NS6detail15normal_iteratorINS9_10device_ptrItEEEENS9_16discard_iteratorINS9_11use_defaultEEEt11max_functorItEtEEDaPvRmT3_T4_T5_mT6_P12ihipStream_tbENKUlT_T0_E_clISt17integral_constantIbLb1EESW_IbLb0EEEEDaSS_ST_EUlSS_E_NS1_11comp_targetILNS1_3genE4ELNS1_11target_archE910ELNS1_3gpuE8ELNS1_3repE0EEENS1_30default_config_static_selectorELNS0_4arch9wavefront6targetE1EEEvT1_, .Lfunc_end3604-_ZN7rocprim17ROCPRIM_400000_NS6detail17trampoline_kernelINS0_14default_configENS1_20scan_config_selectorItEEZZNS1_9scan_implILNS1_25lookback_scan_determinismE0ELb0ELb0ES3_N6thrust23THRUST_200600_302600_NS6detail15normal_iteratorINS9_10device_ptrItEEEENS9_16discard_iteratorINS9_11use_defaultEEEt11max_functorItEtEEDaPvRmT3_T4_T5_mT6_P12ihipStream_tbENKUlT_T0_E_clISt17integral_constantIbLb1EESW_IbLb0EEEEDaSS_ST_EUlSS_E_NS1_11comp_targetILNS1_3genE4ELNS1_11target_archE910ELNS1_3gpuE8ELNS1_3repE0EEENS1_30default_config_static_selectorELNS0_4arch9wavefront6targetE1EEEvT1_
                                        ; -- End function
	.section	.AMDGPU.csdata,"",@progbits
; Kernel info:
; codeLenInByte = 6608
; NumSgprs: 30
; NumVgprs: 56
; NumAgprs: 0
; TotalNumVgprs: 56
; ScratchSize: 0
; MemoryBound: 0
; FloatMode: 240
; IeeeMode: 1
; LDSByteSize: 3072 bytes/workgroup (compile time only)
; SGPRBlocks: 3
; VGPRBlocks: 6
; NumSGPRsForWavesPerEU: 30
; NumVGPRsForWavesPerEU: 56
; AccumOffset: 56
; Occupancy: 6
; WaveLimiterHint : 1
; COMPUTE_PGM_RSRC2:SCRATCH_EN: 0
; COMPUTE_PGM_RSRC2:USER_SGPR: 6
; COMPUTE_PGM_RSRC2:TRAP_HANDLER: 0
; COMPUTE_PGM_RSRC2:TGID_X_EN: 1
; COMPUTE_PGM_RSRC2:TGID_Y_EN: 0
; COMPUTE_PGM_RSRC2:TGID_Z_EN: 0
; COMPUTE_PGM_RSRC2:TIDIG_COMP_CNT: 0
; COMPUTE_PGM_RSRC3_GFX90A:ACCUM_OFFSET: 13
; COMPUTE_PGM_RSRC3_GFX90A:TG_SPLIT: 0
	.section	.text._ZN7rocprim17ROCPRIM_400000_NS6detail17trampoline_kernelINS0_14default_configENS1_20scan_config_selectorItEEZZNS1_9scan_implILNS1_25lookback_scan_determinismE0ELb0ELb0ES3_N6thrust23THRUST_200600_302600_NS6detail15normal_iteratorINS9_10device_ptrItEEEENS9_16discard_iteratorINS9_11use_defaultEEEt11max_functorItEtEEDaPvRmT3_T4_T5_mT6_P12ihipStream_tbENKUlT_T0_E_clISt17integral_constantIbLb1EESW_IbLb0EEEEDaSS_ST_EUlSS_E_NS1_11comp_targetILNS1_3genE3ELNS1_11target_archE908ELNS1_3gpuE7ELNS1_3repE0EEENS1_30default_config_static_selectorELNS0_4arch9wavefront6targetE1EEEvT1_,"axG",@progbits,_ZN7rocprim17ROCPRIM_400000_NS6detail17trampoline_kernelINS0_14default_configENS1_20scan_config_selectorItEEZZNS1_9scan_implILNS1_25lookback_scan_determinismE0ELb0ELb0ES3_N6thrust23THRUST_200600_302600_NS6detail15normal_iteratorINS9_10device_ptrItEEEENS9_16discard_iteratorINS9_11use_defaultEEEt11max_functorItEtEEDaPvRmT3_T4_T5_mT6_P12ihipStream_tbENKUlT_T0_E_clISt17integral_constantIbLb1EESW_IbLb0EEEEDaSS_ST_EUlSS_E_NS1_11comp_targetILNS1_3genE3ELNS1_11target_archE908ELNS1_3gpuE7ELNS1_3repE0EEENS1_30default_config_static_selectorELNS0_4arch9wavefront6targetE1EEEvT1_,comdat
	.protected	_ZN7rocprim17ROCPRIM_400000_NS6detail17trampoline_kernelINS0_14default_configENS1_20scan_config_selectorItEEZZNS1_9scan_implILNS1_25lookback_scan_determinismE0ELb0ELb0ES3_N6thrust23THRUST_200600_302600_NS6detail15normal_iteratorINS9_10device_ptrItEEEENS9_16discard_iteratorINS9_11use_defaultEEEt11max_functorItEtEEDaPvRmT3_T4_T5_mT6_P12ihipStream_tbENKUlT_T0_E_clISt17integral_constantIbLb1EESW_IbLb0EEEEDaSS_ST_EUlSS_E_NS1_11comp_targetILNS1_3genE3ELNS1_11target_archE908ELNS1_3gpuE7ELNS1_3repE0EEENS1_30default_config_static_selectorELNS0_4arch9wavefront6targetE1EEEvT1_ ; -- Begin function _ZN7rocprim17ROCPRIM_400000_NS6detail17trampoline_kernelINS0_14default_configENS1_20scan_config_selectorItEEZZNS1_9scan_implILNS1_25lookback_scan_determinismE0ELb0ELb0ES3_N6thrust23THRUST_200600_302600_NS6detail15normal_iteratorINS9_10device_ptrItEEEENS9_16discard_iteratorINS9_11use_defaultEEEt11max_functorItEtEEDaPvRmT3_T4_T5_mT6_P12ihipStream_tbENKUlT_T0_E_clISt17integral_constantIbLb1EESW_IbLb0EEEEDaSS_ST_EUlSS_E_NS1_11comp_targetILNS1_3genE3ELNS1_11target_archE908ELNS1_3gpuE7ELNS1_3repE0EEENS1_30default_config_static_selectorELNS0_4arch9wavefront6targetE1EEEvT1_
	.globl	_ZN7rocprim17ROCPRIM_400000_NS6detail17trampoline_kernelINS0_14default_configENS1_20scan_config_selectorItEEZZNS1_9scan_implILNS1_25lookback_scan_determinismE0ELb0ELb0ES3_N6thrust23THRUST_200600_302600_NS6detail15normal_iteratorINS9_10device_ptrItEEEENS9_16discard_iteratorINS9_11use_defaultEEEt11max_functorItEtEEDaPvRmT3_T4_T5_mT6_P12ihipStream_tbENKUlT_T0_E_clISt17integral_constantIbLb1EESW_IbLb0EEEEDaSS_ST_EUlSS_E_NS1_11comp_targetILNS1_3genE3ELNS1_11target_archE908ELNS1_3gpuE7ELNS1_3repE0EEENS1_30default_config_static_selectorELNS0_4arch9wavefront6targetE1EEEvT1_
	.p2align	8
	.type	_ZN7rocprim17ROCPRIM_400000_NS6detail17trampoline_kernelINS0_14default_configENS1_20scan_config_selectorItEEZZNS1_9scan_implILNS1_25lookback_scan_determinismE0ELb0ELb0ES3_N6thrust23THRUST_200600_302600_NS6detail15normal_iteratorINS9_10device_ptrItEEEENS9_16discard_iteratorINS9_11use_defaultEEEt11max_functorItEtEEDaPvRmT3_T4_T5_mT6_P12ihipStream_tbENKUlT_T0_E_clISt17integral_constantIbLb1EESW_IbLb0EEEEDaSS_ST_EUlSS_E_NS1_11comp_targetILNS1_3genE3ELNS1_11target_archE908ELNS1_3gpuE7ELNS1_3repE0EEENS1_30default_config_static_selectorELNS0_4arch9wavefront6targetE1EEEvT1_,@function
_ZN7rocprim17ROCPRIM_400000_NS6detail17trampoline_kernelINS0_14default_configENS1_20scan_config_selectorItEEZZNS1_9scan_implILNS1_25lookback_scan_determinismE0ELb0ELb0ES3_N6thrust23THRUST_200600_302600_NS6detail15normal_iteratorINS9_10device_ptrItEEEENS9_16discard_iteratorINS9_11use_defaultEEEt11max_functorItEtEEDaPvRmT3_T4_T5_mT6_P12ihipStream_tbENKUlT_T0_E_clISt17integral_constantIbLb1EESW_IbLb0EEEEDaSS_ST_EUlSS_E_NS1_11comp_targetILNS1_3genE3ELNS1_11target_archE908ELNS1_3gpuE7ELNS1_3repE0EEENS1_30default_config_static_selectorELNS0_4arch9wavefront6targetE1EEEvT1_: ; @_ZN7rocprim17ROCPRIM_400000_NS6detail17trampoline_kernelINS0_14default_configENS1_20scan_config_selectorItEEZZNS1_9scan_implILNS1_25lookback_scan_determinismE0ELb0ELb0ES3_N6thrust23THRUST_200600_302600_NS6detail15normal_iteratorINS9_10device_ptrItEEEENS9_16discard_iteratorINS9_11use_defaultEEEt11max_functorItEtEEDaPvRmT3_T4_T5_mT6_P12ihipStream_tbENKUlT_T0_E_clISt17integral_constantIbLb1EESW_IbLb0EEEEDaSS_ST_EUlSS_E_NS1_11comp_targetILNS1_3genE3ELNS1_11target_archE908ELNS1_3gpuE7ELNS1_3repE0EEENS1_30default_config_static_selectorELNS0_4arch9wavefront6targetE1EEEvT1_
; %bb.0:
	.section	.rodata,"a",@progbits
	.p2align	6, 0x0
	.amdhsa_kernel _ZN7rocprim17ROCPRIM_400000_NS6detail17trampoline_kernelINS0_14default_configENS1_20scan_config_selectorItEEZZNS1_9scan_implILNS1_25lookback_scan_determinismE0ELb0ELb0ES3_N6thrust23THRUST_200600_302600_NS6detail15normal_iteratorINS9_10device_ptrItEEEENS9_16discard_iteratorINS9_11use_defaultEEEt11max_functorItEtEEDaPvRmT3_T4_T5_mT6_P12ihipStream_tbENKUlT_T0_E_clISt17integral_constantIbLb1EESW_IbLb0EEEEDaSS_ST_EUlSS_E_NS1_11comp_targetILNS1_3genE3ELNS1_11target_archE908ELNS1_3gpuE7ELNS1_3repE0EEENS1_30default_config_static_selectorELNS0_4arch9wavefront6targetE1EEEvT1_
		.amdhsa_group_segment_fixed_size 0
		.amdhsa_private_segment_fixed_size 0
		.amdhsa_kernarg_size 104
		.amdhsa_user_sgpr_count 6
		.amdhsa_user_sgpr_private_segment_buffer 1
		.amdhsa_user_sgpr_dispatch_ptr 0
		.amdhsa_user_sgpr_queue_ptr 0
		.amdhsa_user_sgpr_kernarg_segment_ptr 1
		.amdhsa_user_sgpr_dispatch_id 0
		.amdhsa_user_sgpr_flat_scratch_init 0
		.amdhsa_user_sgpr_kernarg_preload_length 0
		.amdhsa_user_sgpr_kernarg_preload_offset 0
		.amdhsa_user_sgpr_private_segment_size 0
		.amdhsa_uses_dynamic_stack 0
		.amdhsa_system_sgpr_private_segment_wavefront_offset 0
		.amdhsa_system_sgpr_workgroup_id_x 1
		.amdhsa_system_sgpr_workgroup_id_y 0
		.amdhsa_system_sgpr_workgroup_id_z 0
		.amdhsa_system_sgpr_workgroup_info 0
		.amdhsa_system_vgpr_workitem_id 0
		.amdhsa_next_free_vgpr 1
		.amdhsa_next_free_sgpr 0
		.amdhsa_accum_offset 4
		.amdhsa_reserve_vcc 0
		.amdhsa_reserve_flat_scratch 0
		.amdhsa_float_round_mode_32 0
		.amdhsa_float_round_mode_16_64 0
		.amdhsa_float_denorm_mode_32 3
		.amdhsa_float_denorm_mode_16_64 3
		.amdhsa_dx10_clamp 1
		.amdhsa_ieee_mode 1
		.amdhsa_fp16_overflow 0
		.amdhsa_tg_split 0
		.amdhsa_exception_fp_ieee_invalid_op 0
		.amdhsa_exception_fp_denorm_src 0
		.amdhsa_exception_fp_ieee_div_zero 0
		.amdhsa_exception_fp_ieee_overflow 0
		.amdhsa_exception_fp_ieee_underflow 0
		.amdhsa_exception_fp_ieee_inexact 0
		.amdhsa_exception_int_div_zero 0
	.end_amdhsa_kernel
	.section	.text._ZN7rocprim17ROCPRIM_400000_NS6detail17trampoline_kernelINS0_14default_configENS1_20scan_config_selectorItEEZZNS1_9scan_implILNS1_25lookback_scan_determinismE0ELb0ELb0ES3_N6thrust23THRUST_200600_302600_NS6detail15normal_iteratorINS9_10device_ptrItEEEENS9_16discard_iteratorINS9_11use_defaultEEEt11max_functorItEtEEDaPvRmT3_T4_T5_mT6_P12ihipStream_tbENKUlT_T0_E_clISt17integral_constantIbLb1EESW_IbLb0EEEEDaSS_ST_EUlSS_E_NS1_11comp_targetILNS1_3genE3ELNS1_11target_archE908ELNS1_3gpuE7ELNS1_3repE0EEENS1_30default_config_static_selectorELNS0_4arch9wavefront6targetE1EEEvT1_,"axG",@progbits,_ZN7rocprim17ROCPRIM_400000_NS6detail17trampoline_kernelINS0_14default_configENS1_20scan_config_selectorItEEZZNS1_9scan_implILNS1_25lookback_scan_determinismE0ELb0ELb0ES3_N6thrust23THRUST_200600_302600_NS6detail15normal_iteratorINS9_10device_ptrItEEEENS9_16discard_iteratorINS9_11use_defaultEEEt11max_functorItEtEEDaPvRmT3_T4_T5_mT6_P12ihipStream_tbENKUlT_T0_E_clISt17integral_constantIbLb1EESW_IbLb0EEEEDaSS_ST_EUlSS_E_NS1_11comp_targetILNS1_3genE3ELNS1_11target_archE908ELNS1_3gpuE7ELNS1_3repE0EEENS1_30default_config_static_selectorELNS0_4arch9wavefront6targetE1EEEvT1_,comdat
.Lfunc_end3605:
	.size	_ZN7rocprim17ROCPRIM_400000_NS6detail17trampoline_kernelINS0_14default_configENS1_20scan_config_selectorItEEZZNS1_9scan_implILNS1_25lookback_scan_determinismE0ELb0ELb0ES3_N6thrust23THRUST_200600_302600_NS6detail15normal_iteratorINS9_10device_ptrItEEEENS9_16discard_iteratorINS9_11use_defaultEEEt11max_functorItEtEEDaPvRmT3_T4_T5_mT6_P12ihipStream_tbENKUlT_T0_E_clISt17integral_constantIbLb1EESW_IbLb0EEEEDaSS_ST_EUlSS_E_NS1_11comp_targetILNS1_3genE3ELNS1_11target_archE908ELNS1_3gpuE7ELNS1_3repE0EEENS1_30default_config_static_selectorELNS0_4arch9wavefront6targetE1EEEvT1_, .Lfunc_end3605-_ZN7rocprim17ROCPRIM_400000_NS6detail17trampoline_kernelINS0_14default_configENS1_20scan_config_selectorItEEZZNS1_9scan_implILNS1_25lookback_scan_determinismE0ELb0ELb0ES3_N6thrust23THRUST_200600_302600_NS6detail15normal_iteratorINS9_10device_ptrItEEEENS9_16discard_iteratorINS9_11use_defaultEEEt11max_functorItEtEEDaPvRmT3_T4_T5_mT6_P12ihipStream_tbENKUlT_T0_E_clISt17integral_constantIbLb1EESW_IbLb0EEEEDaSS_ST_EUlSS_E_NS1_11comp_targetILNS1_3genE3ELNS1_11target_archE908ELNS1_3gpuE7ELNS1_3repE0EEENS1_30default_config_static_selectorELNS0_4arch9wavefront6targetE1EEEvT1_
                                        ; -- End function
	.section	.AMDGPU.csdata,"",@progbits
; Kernel info:
; codeLenInByte = 0
; NumSgprs: 4
; NumVgprs: 0
; NumAgprs: 0
; TotalNumVgprs: 0
; ScratchSize: 0
; MemoryBound: 0
; FloatMode: 240
; IeeeMode: 1
; LDSByteSize: 0 bytes/workgroup (compile time only)
; SGPRBlocks: 0
; VGPRBlocks: 0
; NumSGPRsForWavesPerEU: 4
; NumVGPRsForWavesPerEU: 1
; AccumOffset: 4
; Occupancy: 8
; WaveLimiterHint : 0
; COMPUTE_PGM_RSRC2:SCRATCH_EN: 0
; COMPUTE_PGM_RSRC2:USER_SGPR: 6
; COMPUTE_PGM_RSRC2:TRAP_HANDLER: 0
; COMPUTE_PGM_RSRC2:TGID_X_EN: 1
; COMPUTE_PGM_RSRC2:TGID_Y_EN: 0
; COMPUTE_PGM_RSRC2:TGID_Z_EN: 0
; COMPUTE_PGM_RSRC2:TIDIG_COMP_CNT: 0
; COMPUTE_PGM_RSRC3_GFX90A:ACCUM_OFFSET: 0
; COMPUTE_PGM_RSRC3_GFX90A:TG_SPLIT: 0
	.section	.text._ZN7rocprim17ROCPRIM_400000_NS6detail17trampoline_kernelINS0_14default_configENS1_20scan_config_selectorItEEZZNS1_9scan_implILNS1_25lookback_scan_determinismE0ELb0ELb0ES3_N6thrust23THRUST_200600_302600_NS6detail15normal_iteratorINS9_10device_ptrItEEEENS9_16discard_iteratorINS9_11use_defaultEEEt11max_functorItEtEEDaPvRmT3_T4_T5_mT6_P12ihipStream_tbENKUlT_T0_E_clISt17integral_constantIbLb1EESW_IbLb0EEEEDaSS_ST_EUlSS_E_NS1_11comp_targetILNS1_3genE2ELNS1_11target_archE906ELNS1_3gpuE6ELNS1_3repE0EEENS1_30default_config_static_selectorELNS0_4arch9wavefront6targetE1EEEvT1_,"axG",@progbits,_ZN7rocprim17ROCPRIM_400000_NS6detail17trampoline_kernelINS0_14default_configENS1_20scan_config_selectorItEEZZNS1_9scan_implILNS1_25lookback_scan_determinismE0ELb0ELb0ES3_N6thrust23THRUST_200600_302600_NS6detail15normal_iteratorINS9_10device_ptrItEEEENS9_16discard_iteratorINS9_11use_defaultEEEt11max_functorItEtEEDaPvRmT3_T4_T5_mT6_P12ihipStream_tbENKUlT_T0_E_clISt17integral_constantIbLb1EESW_IbLb0EEEEDaSS_ST_EUlSS_E_NS1_11comp_targetILNS1_3genE2ELNS1_11target_archE906ELNS1_3gpuE6ELNS1_3repE0EEENS1_30default_config_static_selectorELNS0_4arch9wavefront6targetE1EEEvT1_,comdat
	.protected	_ZN7rocprim17ROCPRIM_400000_NS6detail17trampoline_kernelINS0_14default_configENS1_20scan_config_selectorItEEZZNS1_9scan_implILNS1_25lookback_scan_determinismE0ELb0ELb0ES3_N6thrust23THRUST_200600_302600_NS6detail15normal_iteratorINS9_10device_ptrItEEEENS9_16discard_iteratorINS9_11use_defaultEEEt11max_functorItEtEEDaPvRmT3_T4_T5_mT6_P12ihipStream_tbENKUlT_T0_E_clISt17integral_constantIbLb1EESW_IbLb0EEEEDaSS_ST_EUlSS_E_NS1_11comp_targetILNS1_3genE2ELNS1_11target_archE906ELNS1_3gpuE6ELNS1_3repE0EEENS1_30default_config_static_selectorELNS0_4arch9wavefront6targetE1EEEvT1_ ; -- Begin function _ZN7rocprim17ROCPRIM_400000_NS6detail17trampoline_kernelINS0_14default_configENS1_20scan_config_selectorItEEZZNS1_9scan_implILNS1_25lookback_scan_determinismE0ELb0ELb0ES3_N6thrust23THRUST_200600_302600_NS6detail15normal_iteratorINS9_10device_ptrItEEEENS9_16discard_iteratorINS9_11use_defaultEEEt11max_functorItEtEEDaPvRmT3_T4_T5_mT6_P12ihipStream_tbENKUlT_T0_E_clISt17integral_constantIbLb1EESW_IbLb0EEEEDaSS_ST_EUlSS_E_NS1_11comp_targetILNS1_3genE2ELNS1_11target_archE906ELNS1_3gpuE6ELNS1_3repE0EEENS1_30default_config_static_selectorELNS0_4arch9wavefront6targetE1EEEvT1_
	.globl	_ZN7rocprim17ROCPRIM_400000_NS6detail17trampoline_kernelINS0_14default_configENS1_20scan_config_selectorItEEZZNS1_9scan_implILNS1_25lookback_scan_determinismE0ELb0ELb0ES3_N6thrust23THRUST_200600_302600_NS6detail15normal_iteratorINS9_10device_ptrItEEEENS9_16discard_iteratorINS9_11use_defaultEEEt11max_functorItEtEEDaPvRmT3_T4_T5_mT6_P12ihipStream_tbENKUlT_T0_E_clISt17integral_constantIbLb1EESW_IbLb0EEEEDaSS_ST_EUlSS_E_NS1_11comp_targetILNS1_3genE2ELNS1_11target_archE906ELNS1_3gpuE6ELNS1_3repE0EEENS1_30default_config_static_selectorELNS0_4arch9wavefront6targetE1EEEvT1_
	.p2align	8
	.type	_ZN7rocprim17ROCPRIM_400000_NS6detail17trampoline_kernelINS0_14default_configENS1_20scan_config_selectorItEEZZNS1_9scan_implILNS1_25lookback_scan_determinismE0ELb0ELb0ES3_N6thrust23THRUST_200600_302600_NS6detail15normal_iteratorINS9_10device_ptrItEEEENS9_16discard_iteratorINS9_11use_defaultEEEt11max_functorItEtEEDaPvRmT3_T4_T5_mT6_P12ihipStream_tbENKUlT_T0_E_clISt17integral_constantIbLb1EESW_IbLb0EEEEDaSS_ST_EUlSS_E_NS1_11comp_targetILNS1_3genE2ELNS1_11target_archE906ELNS1_3gpuE6ELNS1_3repE0EEENS1_30default_config_static_selectorELNS0_4arch9wavefront6targetE1EEEvT1_,@function
_ZN7rocprim17ROCPRIM_400000_NS6detail17trampoline_kernelINS0_14default_configENS1_20scan_config_selectorItEEZZNS1_9scan_implILNS1_25lookback_scan_determinismE0ELb0ELb0ES3_N6thrust23THRUST_200600_302600_NS6detail15normal_iteratorINS9_10device_ptrItEEEENS9_16discard_iteratorINS9_11use_defaultEEEt11max_functorItEtEEDaPvRmT3_T4_T5_mT6_P12ihipStream_tbENKUlT_T0_E_clISt17integral_constantIbLb1EESW_IbLb0EEEEDaSS_ST_EUlSS_E_NS1_11comp_targetILNS1_3genE2ELNS1_11target_archE906ELNS1_3gpuE6ELNS1_3repE0EEENS1_30default_config_static_selectorELNS0_4arch9wavefront6targetE1EEEvT1_: ; @_ZN7rocprim17ROCPRIM_400000_NS6detail17trampoline_kernelINS0_14default_configENS1_20scan_config_selectorItEEZZNS1_9scan_implILNS1_25lookback_scan_determinismE0ELb0ELb0ES3_N6thrust23THRUST_200600_302600_NS6detail15normal_iteratorINS9_10device_ptrItEEEENS9_16discard_iteratorINS9_11use_defaultEEEt11max_functorItEtEEDaPvRmT3_T4_T5_mT6_P12ihipStream_tbENKUlT_T0_E_clISt17integral_constantIbLb1EESW_IbLb0EEEEDaSS_ST_EUlSS_E_NS1_11comp_targetILNS1_3genE2ELNS1_11target_archE906ELNS1_3gpuE6ELNS1_3repE0EEENS1_30default_config_static_selectorELNS0_4arch9wavefront6targetE1EEEvT1_
; %bb.0:
	.section	.rodata,"a",@progbits
	.p2align	6, 0x0
	.amdhsa_kernel _ZN7rocprim17ROCPRIM_400000_NS6detail17trampoline_kernelINS0_14default_configENS1_20scan_config_selectorItEEZZNS1_9scan_implILNS1_25lookback_scan_determinismE0ELb0ELb0ES3_N6thrust23THRUST_200600_302600_NS6detail15normal_iteratorINS9_10device_ptrItEEEENS9_16discard_iteratorINS9_11use_defaultEEEt11max_functorItEtEEDaPvRmT3_T4_T5_mT6_P12ihipStream_tbENKUlT_T0_E_clISt17integral_constantIbLb1EESW_IbLb0EEEEDaSS_ST_EUlSS_E_NS1_11comp_targetILNS1_3genE2ELNS1_11target_archE906ELNS1_3gpuE6ELNS1_3repE0EEENS1_30default_config_static_selectorELNS0_4arch9wavefront6targetE1EEEvT1_
		.amdhsa_group_segment_fixed_size 0
		.amdhsa_private_segment_fixed_size 0
		.amdhsa_kernarg_size 104
		.amdhsa_user_sgpr_count 6
		.amdhsa_user_sgpr_private_segment_buffer 1
		.amdhsa_user_sgpr_dispatch_ptr 0
		.amdhsa_user_sgpr_queue_ptr 0
		.amdhsa_user_sgpr_kernarg_segment_ptr 1
		.amdhsa_user_sgpr_dispatch_id 0
		.amdhsa_user_sgpr_flat_scratch_init 0
		.amdhsa_user_sgpr_kernarg_preload_length 0
		.amdhsa_user_sgpr_kernarg_preload_offset 0
		.amdhsa_user_sgpr_private_segment_size 0
		.amdhsa_uses_dynamic_stack 0
		.amdhsa_system_sgpr_private_segment_wavefront_offset 0
		.amdhsa_system_sgpr_workgroup_id_x 1
		.amdhsa_system_sgpr_workgroup_id_y 0
		.amdhsa_system_sgpr_workgroup_id_z 0
		.amdhsa_system_sgpr_workgroup_info 0
		.amdhsa_system_vgpr_workitem_id 0
		.amdhsa_next_free_vgpr 1
		.amdhsa_next_free_sgpr 0
		.amdhsa_accum_offset 4
		.amdhsa_reserve_vcc 0
		.amdhsa_reserve_flat_scratch 0
		.amdhsa_float_round_mode_32 0
		.amdhsa_float_round_mode_16_64 0
		.amdhsa_float_denorm_mode_32 3
		.amdhsa_float_denorm_mode_16_64 3
		.amdhsa_dx10_clamp 1
		.amdhsa_ieee_mode 1
		.amdhsa_fp16_overflow 0
		.amdhsa_tg_split 0
		.amdhsa_exception_fp_ieee_invalid_op 0
		.amdhsa_exception_fp_denorm_src 0
		.amdhsa_exception_fp_ieee_div_zero 0
		.amdhsa_exception_fp_ieee_overflow 0
		.amdhsa_exception_fp_ieee_underflow 0
		.amdhsa_exception_fp_ieee_inexact 0
		.amdhsa_exception_int_div_zero 0
	.end_amdhsa_kernel
	.section	.text._ZN7rocprim17ROCPRIM_400000_NS6detail17trampoline_kernelINS0_14default_configENS1_20scan_config_selectorItEEZZNS1_9scan_implILNS1_25lookback_scan_determinismE0ELb0ELb0ES3_N6thrust23THRUST_200600_302600_NS6detail15normal_iteratorINS9_10device_ptrItEEEENS9_16discard_iteratorINS9_11use_defaultEEEt11max_functorItEtEEDaPvRmT3_T4_T5_mT6_P12ihipStream_tbENKUlT_T0_E_clISt17integral_constantIbLb1EESW_IbLb0EEEEDaSS_ST_EUlSS_E_NS1_11comp_targetILNS1_3genE2ELNS1_11target_archE906ELNS1_3gpuE6ELNS1_3repE0EEENS1_30default_config_static_selectorELNS0_4arch9wavefront6targetE1EEEvT1_,"axG",@progbits,_ZN7rocprim17ROCPRIM_400000_NS6detail17trampoline_kernelINS0_14default_configENS1_20scan_config_selectorItEEZZNS1_9scan_implILNS1_25lookback_scan_determinismE0ELb0ELb0ES3_N6thrust23THRUST_200600_302600_NS6detail15normal_iteratorINS9_10device_ptrItEEEENS9_16discard_iteratorINS9_11use_defaultEEEt11max_functorItEtEEDaPvRmT3_T4_T5_mT6_P12ihipStream_tbENKUlT_T0_E_clISt17integral_constantIbLb1EESW_IbLb0EEEEDaSS_ST_EUlSS_E_NS1_11comp_targetILNS1_3genE2ELNS1_11target_archE906ELNS1_3gpuE6ELNS1_3repE0EEENS1_30default_config_static_selectorELNS0_4arch9wavefront6targetE1EEEvT1_,comdat
.Lfunc_end3606:
	.size	_ZN7rocprim17ROCPRIM_400000_NS6detail17trampoline_kernelINS0_14default_configENS1_20scan_config_selectorItEEZZNS1_9scan_implILNS1_25lookback_scan_determinismE0ELb0ELb0ES3_N6thrust23THRUST_200600_302600_NS6detail15normal_iteratorINS9_10device_ptrItEEEENS9_16discard_iteratorINS9_11use_defaultEEEt11max_functorItEtEEDaPvRmT3_T4_T5_mT6_P12ihipStream_tbENKUlT_T0_E_clISt17integral_constantIbLb1EESW_IbLb0EEEEDaSS_ST_EUlSS_E_NS1_11comp_targetILNS1_3genE2ELNS1_11target_archE906ELNS1_3gpuE6ELNS1_3repE0EEENS1_30default_config_static_selectorELNS0_4arch9wavefront6targetE1EEEvT1_, .Lfunc_end3606-_ZN7rocprim17ROCPRIM_400000_NS6detail17trampoline_kernelINS0_14default_configENS1_20scan_config_selectorItEEZZNS1_9scan_implILNS1_25lookback_scan_determinismE0ELb0ELb0ES3_N6thrust23THRUST_200600_302600_NS6detail15normal_iteratorINS9_10device_ptrItEEEENS9_16discard_iteratorINS9_11use_defaultEEEt11max_functorItEtEEDaPvRmT3_T4_T5_mT6_P12ihipStream_tbENKUlT_T0_E_clISt17integral_constantIbLb1EESW_IbLb0EEEEDaSS_ST_EUlSS_E_NS1_11comp_targetILNS1_3genE2ELNS1_11target_archE906ELNS1_3gpuE6ELNS1_3repE0EEENS1_30default_config_static_selectorELNS0_4arch9wavefront6targetE1EEEvT1_
                                        ; -- End function
	.section	.AMDGPU.csdata,"",@progbits
; Kernel info:
; codeLenInByte = 0
; NumSgprs: 4
; NumVgprs: 0
; NumAgprs: 0
; TotalNumVgprs: 0
; ScratchSize: 0
; MemoryBound: 0
; FloatMode: 240
; IeeeMode: 1
; LDSByteSize: 0 bytes/workgroup (compile time only)
; SGPRBlocks: 0
; VGPRBlocks: 0
; NumSGPRsForWavesPerEU: 4
; NumVGPRsForWavesPerEU: 1
; AccumOffset: 4
; Occupancy: 8
; WaveLimiterHint : 0
; COMPUTE_PGM_RSRC2:SCRATCH_EN: 0
; COMPUTE_PGM_RSRC2:USER_SGPR: 6
; COMPUTE_PGM_RSRC2:TRAP_HANDLER: 0
; COMPUTE_PGM_RSRC2:TGID_X_EN: 1
; COMPUTE_PGM_RSRC2:TGID_Y_EN: 0
; COMPUTE_PGM_RSRC2:TGID_Z_EN: 0
; COMPUTE_PGM_RSRC2:TIDIG_COMP_CNT: 0
; COMPUTE_PGM_RSRC3_GFX90A:ACCUM_OFFSET: 0
; COMPUTE_PGM_RSRC3_GFX90A:TG_SPLIT: 0
	.section	.text._ZN7rocprim17ROCPRIM_400000_NS6detail17trampoline_kernelINS0_14default_configENS1_20scan_config_selectorItEEZZNS1_9scan_implILNS1_25lookback_scan_determinismE0ELb0ELb0ES3_N6thrust23THRUST_200600_302600_NS6detail15normal_iteratorINS9_10device_ptrItEEEENS9_16discard_iteratorINS9_11use_defaultEEEt11max_functorItEtEEDaPvRmT3_T4_T5_mT6_P12ihipStream_tbENKUlT_T0_E_clISt17integral_constantIbLb1EESW_IbLb0EEEEDaSS_ST_EUlSS_E_NS1_11comp_targetILNS1_3genE10ELNS1_11target_archE1201ELNS1_3gpuE5ELNS1_3repE0EEENS1_30default_config_static_selectorELNS0_4arch9wavefront6targetE1EEEvT1_,"axG",@progbits,_ZN7rocprim17ROCPRIM_400000_NS6detail17trampoline_kernelINS0_14default_configENS1_20scan_config_selectorItEEZZNS1_9scan_implILNS1_25lookback_scan_determinismE0ELb0ELb0ES3_N6thrust23THRUST_200600_302600_NS6detail15normal_iteratorINS9_10device_ptrItEEEENS9_16discard_iteratorINS9_11use_defaultEEEt11max_functorItEtEEDaPvRmT3_T4_T5_mT6_P12ihipStream_tbENKUlT_T0_E_clISt17integral_constantIbLb1EESW_IbLb0EEEEDaSS_ST_EUlSS_E_NS1_11comp_targetILNS1_3genE10ELNS1_11target_archE1201ELNS1_3gpuE5ELNS1_3repE0EEENS1_30default_config_static_selectorELNS0_4arch9wavefront6targetE1EEEvT1_,comdat
	.protected	_ZN7rocprim17ROCPRIM_400000_NS6detail17trampoline_kernelINS0_14default_configENS1_20scan_config_selectorItEEZZNS1_9scan_implILNS1_25lookback_scan_determinismE0ELb0ELb0ES3_N6thrust23THRUST_200600_302600_NS6detail15normal_iteratorINS9_10device_ptrItEEEENS9_16discard_iteratorINS9_11use_defaultEEEt11max_functorItEtEEDaPvRmT3_T4_T5_mT6_P12ihipStream_tbENKUlT_T0_E_clISt17integral_constantIbLb1EESW_IbLb0EEEEDaSS_ST_EUlSS_E_NS1_11comp_targetILNS1_3genE10ELNS1_11target_archE1201ELNS1_3gpuE5ELNS1_3repE0EEENS1_30default_config_static_selectorELNS0_4arch9wavefront6targetE1EEEvT1_ ; -- Begin function _ZN7rocprim17ROCPRIM_400000_NS6detail17trampoline_kernelINS0_14default_configENS1_20scan_config_selectorItEEZZNS1_9scan_implILNS1_25lookback_scan_determinismE0ELb0ELb0ES3_N6thrust23THRUST_200600_302600_NS6detail15normal_iteratorINS9_10device_ptrItEEEENS9_16discard_iteratorINS9_11use_defaultEEEt11max_functorItEtEEDaPvRmT3_T4_T5_mT6_P12ihipStream_tbENKUlT_T0_E_clISt17integral_constantIbLb1EESW_IbLb0EEEEDaSS_ST_EUlSS_E_NS1_11comp_targetILNS1_3genE10ELNS1_11target_archE1201ELNS1_3gpuE5ELNS1_3repE0EEENS1_30default_config_static_selectorELNS0_4arch9wavefront6targetE1EEEvT1_
	.globl	_ZN7rocprim17ROCPRIM_400000_NS6detail17trampoline_kernelINS0_14default_configENS1_20scan_config_selectorItEEZZNS1_9scan_implILNS1_25lookback_scan_determinismE0ELb0ELb0ES3_N6thrust23THRUST_200600_302600_NS6detail15normal_iteratorINS9_10device_ptrItEEEENS9_16discard_iteratorINS9_11use_defaultEEEt11max_functorItEtEEDaPvRmT3_T4_T5_mT6_P12ihipStream_tbENKUlT_T0_E_clISt17integral_constantIbLb1EESW_IbLb0EEEEDaSS_ST_EUlSS_E_NS1_11comp_targetILNS1_3genE10ELNS1_11target_archE1201ELNS1_3gpuE5ELNS1_3repE0EEENS1_30default_config_static_selectorELNS0_4arch9wavefront6targetE1EEEvT1_
	.p2align	8
	.type	_ZN7rocprim17ROCPRIM_400000_NS6detail17trampoline_kernelINS0_14default_configENS1_20scan_config_selectorItEEZZNS1_9scan_implILNS1_25lookback_scan_determinismE0ELb0ELb0ES3_N6thrust23THRUST_200600_302600_NS6detail15normal_iteratorINS9_10device_ptrItEEEENS9_16discard_iteratorINS9_11use_defaultEEEt11max_functorItEtEEDaPvRmT3_T4_T5_mT6_P12ihipStream_tbENKUlT_T0_E_clISt17integral_constantIbLb1EESW_IbLb0EEEEDaSS_ST_EUlSS_E_NS1_11comp_targetILNS1_3genE10ELNS1_11target_archE1201ELNS1_3gpuE5ELNS1_3repE0EEENS1_30default_config_static_selectorELNS0_4arch9wavefront6targetE1EEEvT1_,@function
_ZN7rocprim17ROCPRIM_400000_NS6detail17trampoline_kernelINS0_14default_configENS1_20scan_config_selectorItEEZZNS1_9scan_implILNS1_25lookback_scan_determinismE0ELb0ELb0ES3_N6thrust23THRUST_200600_302600_NS6detail15normal_iteratorINS9_10device_ptrItEEEENS9_16discard_iteratorINS9_11use_defaultEEEt11max_functorItEtEEDaPvRmT3_T4_T5_mT6_P12ihipStream_tbENKUlT_T0_E_clISt17integral_constantIbLb1EESW_IbLb0EEEEDaSS_ST_EUlSS_E_NS1_11comp_targetILNS1_3genE10ELNS1_11target_archE1201ELNS1_3gpuE5ELNS1_3repE0EEENS1_30default_config_static_selectorELNS0_4arch9wavefront6targetE1EEEvT1_: ; @_ZN7rocprim17ROCPRIM_400000_NS6detail17trampoline_kernelINS0_14default_configENS1_20scan_config_selectorItEEZZNS1_9scan_implILNS1_25lookback_scan_determinismE0ELb0ELb0ES3_N6thrust23THRUST_200600_302600_NS6detail15normal_iteratorINS9_10device_ptrItEEEENS9_16discard_iteratorINS9_11use_defaultEEEt11max_functorItEtEEDaPvRmT3_T4_T5_mT6_P12ihipStream_tbENKUlT_T0_E_clISt17integral_constantIbLb1EESW_IbLb0EEEEDaSS_ST_EUlSS_E_NS1_11comp_targetILNS1_3genE10ELNS1_11target_archE1201ELNS1_3gpuE5ELNS1_3repE0EEENS1_30default_config_static_selectorELNS0_4arch9wavefront6targetE1EEEvT1_
; %bb.0:
	.section	.rodata,"a",@progbits
	.p2align	6, 0x0
	.amdhsa_kernel _ZN7rocprim17ROCPRIM_400000_NS6detail17trampoline_kernelINS0_14default_configENS1_20scan_config_selectorItEEZZNS1_9scan_implILNS1_25lookback_scan_determinismE0ELb0ELb0ES3_N6thrust23THRUST_200600_302600_NS6detail15normal_iteratorINS9_10device_ptrItEEEENS9_16discard_iteratorINS9_11use_defaultEEEt11max_functorItEtEEDaPvRmT3_T4_T5_mT6_P12ihipStream_tbENKUlT_T0_E_clISt17integral_constantIbLb1EESW_IbLb0EEEEDaSS_ST_EUlSS_E_NS1_11comp_targetILNS1_3genE10ELNS1_11target_archE1201ELNS1_3gpuE5ELNS1_3repE0EEENS1_30default_config_static_selectorELNS0_4arch9wavefront6targetE1EEEvT1_
		.amdhsa_group_segment_fixed_size 0
		.amdhsa_private_segment_fixed_size 0
		.amdhsa_kernarg_size 104
		.amdhsa_user_sgpr_count 6
		.amdhsa_user_sgpr_private_segment_buffer 1
		.amdhsa_user_sgpr_dispatch_ptr 0
		.amdhsa_user_sgpr_queue_ptr 0
		.amdhsa_user_sgpr_kernarg_segment_ptr 1
		.amdhsa_user_sgpr_dispatch_id 0
		.amdhsa_user_sgpr_flat_scratch_init 0
		.amdhsa_user_sgpr_kernarg_preload_length 0
		.amdhsa_user_sgpr_kernarg_preload_offset 0
		.amdhsa_user_sgpr_private_segment_size 0
		.amdhsa_uses_dynamic_stack 0
		.amdhsa_system_sgpr_private_segment_wavefront_offset 0
		.amdhsa_system_sgpr_workgroup_id_x 1
		.amdhsa_system_sgpr_workgroup_id_y 0
		.amdhsa_system_sgpr_workgroup_id_z 0
		.amdhsa_system_sgpr_workgroup_info 0
		.amdhsa_system_vgpr_workitem_id 0
		.amdhsa_next_free_vgpr 1
		.amdhsa_next_free_sgpr 0
		.amdhsa_accum_offset 4
		.amdhsa_reserve_vcc 0
		.amdhsa_reserve_flat_scratch 0
		.amdhsa_float_round_mode_32 0
		.amdhsa_float_round_mode_16_64 0
		.amdhsa_float_denorm_mode_32 3
		.amdhsa_float_denorm_mode_16_64 3
		.amdhsa_dx10_clamp 1
		.amdhsa_ieee_mode 1
		.amdhsa_fp16_overflow 0
		.amdhsa_tg_split 0
		.amdhsa_exception_fp_ieee_invalid_op 0
		.amdhsa_exception_fp_denorm_src 0
		.amdhsa_exception_fp_ieee_div_zero 0
		.amdhsa_exception_fp_ieee_overflow 0
		.amdhsa_exception_fp_ieee_underflow 0
		.amdhsa_exception_fp_ieee_inexact 0
		.amdhsa_exception_int_div_zero 0
	.end_amdhsa_kernel
	.section	.text._ZN7rocprim17ROCPRIM_400000_NS6detail17trampoline_kernelINS0_14default_configENS1_20scan_config_selectorItEEZZNS1_9scan_implILNS1_25lookback_scan_determinismE0ELb0ELb0ES3_N6thrust23THRUST_200600_302600_NS6detail15normal_iteratorINS9_10device_ptrItEEEENS9_16discard_iteratorINS9_11use_defaultEEEt11max_functorItEtEEDaPvRmT3_T4_T5_mT6_P12ihipStream_tbENKUlT_T0_E_clISt17integral_constantIbLb1EESW_IbLb0EEEEDaSS_ST_EUlSS_E_NS1_11comp_targetILNS1_3genE10ELNS1_11target_archE1201ELNS1_3gpuE5ELNS1_3repE0EEENS1_30default_config_static_selectorELNS0_4arch9wavefront6targetE1EEEvT1_,"axG",@progbits,_ZN7rocprim17ROCPRIM_400000_NS6detail17trampoline_kernelINS0_14default_configENS1_20scan_config_selectorItEEZZNS1_9scan_implILNS1_25lookback_scan_determinismE0ELb0ELb0ES3_N6thrust23THRUST_200600_302600_NS6detail15normal_iteratorINS9_10device_ptrItEEEENS9_16discard_iteratorINS9_11use_defaultEEEt11max_functorItEtEEDaPvRmT3_T4_T5_mT6_P12ihipStream_tbENKUlT_T0_E_clISt17integral_constantIbLb1EESW_IbLb0EEEEDaSS_ST_EUlSS_E_NS1_11comp_targetILNS1_3genE10ELNS1_11target_archE1201ELNS1_3gpuE5ELNS1_3repE0EEENS1_30default_config_static_selectorELNS0_4arch9wavefront6targetE1EEEvT1_,comdat
.Lfunc_end3607:
	.size	_ZN7rocprim17ROCPRIM_400000_NS6detail17trampoline_kernelINS0_14default_configENS1_20scan_config_selectorItEEZZNS1_9scan_implILNS1_25lookback_scan_determinismE0ELb0ELb0ES3_N6thrust23THRUST_200600_302600_NS6detail15normal_iteratorINS9_10device_ptrItEEEENS9_16discard_iteratorINS9_11use_defaultEEEt11max_functorItEtEEDaPvRmT3_T4_T5_mT6_P12ihipStream_tbENKUlT_T0_E_clISt17integral_constantIbLb1EESW_IbLb0EEEEDaSS_ST_EUlSS_E_NS1_11comp_targetILNS1_3genE10ELNS1_11target_archE1201ELNS1_3gpuE5ELNS1_3repE0EEENS1_30default_config_static_selectorELNS0_4arch9wavefront6targetE1EEEvT1_, .Lfunc_end3607-_ZN7rocprim17ROCPRIM_400000_NS6detail17trampoline_kernelINS0_14default_configENS1_20scan_config_selectorItEEZZNS1_9scan_implILNS1_25lookback_scan_determinismE0ELb0ELb0ES3_N6thrust23THRUST_200600_302600_NS6detail15normal_iteratorINS9_10device_ptrItEEEENS9_16discard_iteratorINS9_11use_defaultEEEt11max_functorItEtEEDaPvRmT3_T4_T5_mT6_P12ihipStream_tbENKUlT_T0_E_clISt17integral_constantIbLb1EESW_IbLb0EEEEDaSS_ST_EUlSS_E_NS1_11comp_targetILNS1_3genE10ELNS1_11target_archE1201ELNS1_3gpuE5ELNS1_3repE0EEENS1_30default_config_static_selectorELNS0_4arch9wavefront6targetE1EEEvT1_
                                        ; -- End function
	.section	.AMDGPU.csdata,"",@progbits
; Kernel info:
; codeLenInByte = 0
; NumSgprs: 4
; NumVgprs: 0
; NumAgprs: 0
; TotalNumVgprs: 0
; ScratchSize: 0
; MemoryBound: 0
; FloatMode: 240
; IeeeMode: 1
; LDSByteSize: 0 bytes/workgroup (compile time only)
; SGPRBlocks: 0
; VGPRBlocks: 0
; NumSGPRsForWavesPerEU: 4
; NumVGPRsForWavesPerEU: 1
; AccumOffset: 4
; Occupancy: 8
; WaveLimiterHint : 0
; COMPUTE_PGM_RSRC2:SCRATCH_EN: 0
; COMPUTE_PGM_RSRC2:USER_SGPR: 6
; COMPUTE_PGM_RSRC2:TRAP_HANDLER: 0
; COMPUTE_PGM_RSRC2:TGID_X_EN: 1
; COMPUTE_PGM_RSRC2:TGID_Y_EN: 0
; COMPUTE_PGM_RSRC2:TGID_Z_EN: 0
; COMPUTE_PGM_RSRC2:TIDIG_COMP_CNT: 0
; COMPUTE_PGM_RSRC3_GFX90A:ACCUM_OFFSET: 0
; COMPUTE_PGM_RSRC3_GFX90A:TG_SPLIT: 0
	.section	.text._ZN7rocprim17ROCPRIM_400000_NS6detail17trampoline_kernelINS0_14default_configENS1_20scan_config_selectorItEEZZNS1_9scan_implILNS1_25lookback_scan_determinismE0ELb0ELb0ES3_N6thrust23THRUST_200600_302600_NS6detail15normal_iteratorINS9_10device_ptrItEEEENS9_16discard_iteratorINS9_11use_defaultEEEt11max_functorItEtEEDaPvRmT3_T4_T5_mT6_P12ihipStream_tbENKUlT_T0_E_clISt17integral_constantIbLb1EESW_IbLb0EEEEDaSS_ST_EUlSS_E_NS1_11comp_targetILNS1_3genE10ELNS1_11target_archE1200ELNS1_3gpuE4ELNS1_3repE0EEENS1_30default_config_static_selectorELNS0_4arch9wavefront6targetE1EEEvT1_,"axG",@progbits,_ZN7rocprim17ROCPRIM_400000_NS6detail17trampoline_kernelINS0_14default_configENS1_20scan_config_selectorItEEZZNS1_9scan_implILNS1_25lookback_scan_determinismE0ELb0ELb0ES3_N6thrust23THRUST_200600_302600_NS6detail15normal_iteratorINS9_10device_ptrItEEEENS9_16discard_iteratorINS9_11use_defaultEEEt11max_functorItEtEEDaPvRmT3_T4_T5_mT6_P12ihipStream_tbENKUlT_T0_E_clISt17integral_constantIbLb1EESW_IbLb0EEEEDaSS_ST_EUlSS_E_NS1_11comp_targetILNS1_3genE10ELNS1_11target_archE1200ELNS1_3gpuE4ELNS1_3repE0EEENS1_30default_config_static_selectorELNS0_4arch9wavefront6targetE1EEEvT1_,comdat
	.protected	_ZN7rocprim17ROCPRIM_400000_NS6detail17trampoline_kernelINS0_14default_configENS1_20scan_config_selectorItEEZZNS1_9scan_implILNS1_25lookback_scan_determinismE0ELb0ELb0ES3_N6thrust23THRUST_200600_302600_NS6detail15normal_iteratorINS9_10device_ptrItEEEENS9_16discard_iteratorINS9_11use_defaultEEEt11max_functorItEtEEDaPvRmT3_T4_T5_mT6_P12ihipStream_tbENKUlT_T0_E_clISt17integral_constantIbLb1EESW_IbLb0EEEEDaSS_ST_EUlSS_E_NS1_11comp_targetILNS1_3genE10ELNS1_11target_archE1200ELNS1_3gpuE4ELNS1_3repE0EEENS1_30default_config_static_selectorELNS0_4arch9wavefront6targetE1EEEvT1_ ; -- Begin function _ZN7rocprim17ROCPRIM_400000_NS6detail17trampoline_kernelINS0_14default_configENS1_20scan_config_selectorItEEZZNS1_9scan_implILNS1_25lookback_scan_determinismE0ELb0ELb0ES3_N6thrust23THRUST_200600_302600_NS6detail15normal_iteratorINS9_10device_ptrItEEEENS9_16discard_iteratorINS9_11use_defaultEEEt11max_functorItEtEEDaPvRmT3_T4_T5_mT6_P12ihipStream_tbENKUlT_T0_E_clISt17integral_constantIbLb1EESW_IbLb0EEEEDaSS_ST_EUlSS_E_NS1_11comp_targetILNS1_3genE10ELNS1_11target_archE1200ELNS1_3gpuE4ELNS1_3repE0EEENS1_30default_config_static_selectorELNS0_4arch9wavefront6targetE1EEEvT1_
	.globl	_ZN7rocprim17ROCPRIM_400000_NS6detail17trampoline_kernelINS0_14default_configENS1_20scan_config_selectorItEEZZNS1_9scan_implILNS1_25lookback_scan_determinismE0ELb0ELb0ES3_N6thrust23THRUST_200600_302600_NS6detail15normal_iteratorINS9_10device_ptrItEEEENS9_16discard_iteratorINS9_11use_defaultEEEt11max_functorItEtEEDaPvRmT3_T4_T5_mT6_P12ihipStream_tbENKUlT_T0_E_clISt17integral_constantIbLb1EESW_IbLb0EEEEDaSS_ST_EUlSS_E_NS1_11comp_targetILNS1_3genE10ELNS1_11target_archE1200ELNS1_3gpuE4ELNS1_3repE0EEENS1_30default_config_static_selectorELNS0_4arch9wavefront6targetE1EEEvT1_
	.p2align	8
	.type	_ZN7rocprim17ROCPRIM_400000_NS6detail17trampoline_kernelINS0_14default_configENS1_20scan_config_selectorItEEZZNS1_9scan_implILNS1_25lookback_scan_determinismE0ELb0ELb0ES3_N6thrust23THRUST_200600_302600_NS6detail15normal_iteratorINS9_10device_ptrItEEEENS9_16discard_iteratorINS9_11use_defaultEEEt11max_functorItEtEEDaPvRmT3_T4_T5_mT6_P12ihipStream_tbENKUlT_T0_E_clISt17integral_constantIbLb1EESW_IbLb0EEEEDaSS_ST_EUlSS_E_NS1_11comp_targetILNS1_3genE10ELNS1_11target_archE1200ELNS1_3gpuE4ELNS1_3repE0EEENS1_30default_config_static_selectorELNS0_4arch9wavefront6targetE1EEEvT1_,@function
_ZN7rocprim17ROCPRIM_400000_NS6detail17trampoline_kernelINS0_14default_configENS1_20scan_config_selectorItEEZZNS1_9scan_implILNS1_25lookback_scan_determinismE0ELb0ELb0ES3_N6thrust23THRUST_200600_302600_NS6detail15normal_iteratorINS9_10device_ptrItEEEENS9_16discard_iteratorINS9_11use_defaultEEEt11max_functorItEtEEDaPvRmT3_T4_T5_mT6_P12ihipStream_tbENKUlT_T0_E_clISt17integral_constantIbLb1EESW_IbLb0EEEEDaSS_ST_EUlSS_E_NS1_11comp_targetILNS1_3genE10ELNS1_11target_archE1200ELNS1_3gpuE4ELNS1_3repE0EEENS1_30default_config_static_selectorELNS0_4arch9wavefront6targetE1EEEvT1_: ; @_ZN7rocprim17ROCPRIM_400000_NS6detail17trampoline_kernelINS0_14default_configENS1_20scan_config_selectorItEEZZNS1_9scan_implILNS1_25lookback_scan_determinismE0ELb0ELb0ES3_N6thrust23THRUST_200600_302600_NS6detail15normal_iteratorINS9_10device_ptrItEEEENS9_16discard_iteratorINS9_11use_defaultEEEt11max_functorItEtEEDaPvRmT3_T4_T5_mT6_P12ihipStream_tbENKUlT_T0_E_clISt17integral_constantIbLb1EESW_IbLb0EEEEDaSS_ST_EUlSS_E_NS1_11comp_targetILNS1_3genE10ELNS1_11target_archE1200ELNS1_3gpuE4ELNS1_3repE0EEENS1_30default_config_static_selectorELNS0_4arch9wavefront6targetE1EEEvT1_
; %bb.0:
	.section	.rodata,"a",@progbits
	.p2align	6, 0x0
	.amdhsa_kernel _ZN7rocprim17ROCPRIM_400000_NS6detail17trampoline_kernelINS0_14default_configENS1_20scan_config_selectorItEEZZNS1_9scan_implILNS1_25lookback_scan_determinismE0ELb0ELb0ES3_N6thrust23THRUST_200600_302600_NS6detail15normal_iteratorINS9_10device_ptrItEEEENS9_16discard_iteratorINS9_11use_defaultEEEt11max_functorItEtEEDaPvRmT3_T4_T5_mT6_P12ihipStream_tbENKUlT_T0_E_clISt17integral_constantIbLb1EESW_IbLb0EEEEDaSS_ST_EUlSS_E_NS1_11comp_targetILNS1_3genE10ELNS1_11target_archE1200ELNS1_3gpuE4ELNS1_3repE0EEENS1_30default_config_static_selectorELNS0_4arch9wavefront6targetE1EEEvT1_
		.amdhsa_group_segment_fixed_size 0
		.amdhsa_private_segment_fixed_size 0
		.amdhsa_kernarg_size 104
		.amdhsa_user_sgpr_count 6
		.amdhsa_user_sgpr_private_segment_buffer 1
		.amdhsa_user_sgpr_dispatch_ptr 0
		.amdhsa_user_sgpr_queue_ptr 0
		.amdhsa_user_sgpr_kernarg_segment_ptr 1
		.amdhsa_user_sgpr_dispatch_id 0
		.amdhsa_user_sgpr_flat_scratch_init 0
		.amdhsa_user_sgpr_kernarg_preload_length 0
		.amdhsa_user_sgpr_kernarg_preload_offset 0
		.amdhsa_user_sgpr_private_segment_size 0
		.amdhsa_uses_dynamic_stack 0
		.amdhsa_system_sgpr_private_segment_wavefront_offset 0
		.amdhsa_system_sgpr_workgroup_id_x 1
		.amdhsa_system_sgpr_workgroup_id_y 0
		.amdhsa_system_sgpr_workgroup_id_z 0
		.amdhsa_system_sgpr_workgroup_info 0
		.amdhsa_system_vgpr_workitem_id 0
		.amdhsa_next_free_vgpr 1
		.amdhsa_next_free_sgpr 0
		.amdhsa_accum_offset 4
		.amdhsa_reserve_vcc 0
		.amdhsa_reserve_flat_scratch 0
		.amdhsa_float_round_mode_32 0
		.amdhsa_float_round_mode_16_64 0
		.amdhsa_float_denorm_mode_32 3
		.amdhsa_float_denorm_mode_16_64 3
		.amdhsa_dx10_clamp 1
		.amdhsa_ieee_mode 1
		.amdhsa_fp16_overflow 0
		.amdhsa_tg_split 0
		.amdhsa_exception_fp_ieee_invalid_op 0
		.amdhsa_exception_fp_denorm_src 0
		.amdhsa_exception_fp_ieee_div_zero 0
		.amdhsa_exception_fp_ieee_overflow 0
		.amdhsa_exception_fp_ieee_underflow 0
		.amdhsa_exception_fp_ieee_inexact 0
		.amdhsa_exception_int_div_zero 0
	.end_amdhsa_kernel
	.section	.text._ZN7rocprim17ROCPRIM_400000_NS6detail17trampoline_kernelINS0_14default_configENS1_20scan_config_selectorItEEZZNS1_9scan_implILNS1_25lookback_scan_determinismE0ELb0ELb0ES3_N6thrust23THRUST_200600_302600_NS6detail15normal_iteratorINS9_10device_ptrItEEEENS9_16discard_iteratorINS9_11use_defaultEEEt11max_functorItEtEEDaPvRmT3_T4_T5_mT6_P12ihipStream_tbENKUlT_T0_E_clISt17integral_constantIbLb1EESW_IbLb0EEEEDaSS_ST_EUlSS_E_NS1_11comp_targetILNS1_3genE10ELNS1_11target_archE1200ELNS1_3gpuE4ELNS1_3repE0EEENS1_30default_config_static_selectorELNS0_4arch9wavefront6targetE1EEEvT1_,"axG",@progbits,_ZN7rocprim17ROCPRIM_400000_NS6detail17trampoline_kernelINS0_14default_configENS1_20scan_config_selectorItEEZZNS1_9scan_implILNS1_25lookback_scan_determinismE0ELb0ELb0ES3_N6thrust23THRUST_200600_302600_NS6detail15normal_iteratorINS9_10device_ptrItEEEENS9_16discard_iteratorINS9_11use_defaultEEEt11max_functorItEtEEDaPvRmT3_T4_T5_mT6_P12ihipStream_tbENKUlT_T0_E_clISt17integral_constantIbLb1EESW_IbLb0EEEEDaSS_ST_EUlSS_E_NS1_11comp_targetILNS1_3genE10ELNS1_11target_archE1200ELNS1_3gpuE4ELNS1_3repE0EEENS1_30default_config_static_selectorELNS0_4arch9wavefront6targetE1EEEvT1_,comdat
.Lfunc_end3608:
	.size	_ZN7rocprim17ROCPRIM_400000_NS6detail17trampoline_kernelINS0_14default_configENS1_20scan_config_selectorItEEZZNS1_9scan_implILNS1_25lookback_scan_determinismE0ELb0ELb0ES3_N6thrust23THRUST_200600_302600_NS6detail15normal_iteratorINS9_10device_ptrItEEEENS9_16discard_iteratorINS9_11use_defaultEEEt11max_functorItEtEEDaPvRmT3_T4_T5_mT6_P12ihipStream_tbENKUlT_T0_E_clISt17integral_constantIbLb1EESW_IbLb0EEEEDaSS_ST_EUlSS_E_NS1_11comp_targetILNS1_3genE10ELNS1_11target_archE1200ELNS1_3gpuE4ELNS1_3repE0EEENS1_30default_config_static_selectorELNS0_4arch9wavefront6targetE1EEEvT1_, .Lfunc_end3608-_ZN7rocprim17ROCPRIM_400000_NS6detail17trampoline_kernelINS0_14default_configENS1_20scan_config_selectorItEEZZNS1_9scan_implILNS1_25lookback_scan_determinismE0ELb0ELb0ES3_N6thrust23THRUST_200600_302600_NS6detail15normal_iteratorINS9_10device_ptrItEEEENS9_16discard_iteratorINS9_11use_defaultEEEt11max_functorItEtEEDaPvRmT3_T4_T5_mT6_P12ihipStream_tbENKUlT_T0_E_clISt17integral_constantIbLb1EESW_IbLb0EEEEDaSS_ST_EUlSS_E_NS1_11comp_targetILNS1_3genE10ELNS1_11target_archE1200ELNS1_3gpuE4ELNS1_3repE0EEENS1_30default_config_static_selectorELNS0_4arch9wavefront6targetE1EEEvT1_
                                        ; -- End function
	.section	.AMDGPU.csdata,"",@progbits
; Kernel info:
; codeLenInByte = 0
; NumSgprs: 4
; NumVgprs: 0
; NumAgprs: 0
; TotalNumVgprs: 0
; ScratchSize: 0
; MemoryBound: 0
; FloatMode: 240
; IeeeMode: 1
; LDSByteSize: 0 bytes/workgroup (compile time only)
; SGPRBlocks: 0
; VGPRBlocks: 0
; NumSGPRsForWavesPerEU: 4
; NumVGPRsForWavesPerEU: 1
; AccumOffset: 4
; Occupancy: 8
; WaveLimiterHint : 0
; COMPUTE_PGM_RSRC2:SCRATCH_EN: 0
; COMPUTE_PGM_RSRC2:USER_SGPR: 6
; COMPUTE_PGM_RSRC2:TRAP_HANDLER: 0
; COMPUTE_PGM_RSRC2:TGID_X_EN: 1
; COMPUTE_PGM_RSRC2:TGID_Y_EN: 0
; COMPUTE_PGM_RSRC2:TGID_Z_EN: 0
; COMPUTE_PGM_RSRC2:TIDIG_COMP_CNT: 0
; COMPUTE_PGM_RSRC3_GFX90A:ACCUM_OFFSET: 0
; COMPUTE_PGM_RSRC3_GFX90A:TG_SPLIT: 0
	.section	.text._ZN7rocprim17ROCPRIM_400000_NS6detail17trampoline_kernelINS0_14default_configENS1_20scan_config_selectorItEEZZNS1_9scan_implILNS1_25lookback_scan_determinismE0ELb0ELb0ES3_N6thrust23THRUST_200600_302600_NS6detail15normal_iteratorINS9_10device_ptrItEEEENS9_16discard_iteratorINS9_11use_defaultEEEt11max_functorItEtEEDaPvRmT3_T4_T5_mT6_P12ihipStream_tbENKUlT_T0_E_clISt17integral_constantIbLb1EESW_IbLb0EEEEDaSS_ST_EUlSS_E_NS1_11comp_targetILNS1_3genE9ELNS1_11target_archE1100ELNS1_3gpuE3ELNS1_3repE0EEENS1_30default_config_static_selectorELNS0_4arch9wavefront6targetE1EEEvT1_,"axG",@progbits,_ZN7rocprim17ROCPRIM_400000_NS6detail17trampoline_kernelINS0_14default_configENS1_20scan_config_selectorItEEZZNS1_9scan_implILNS1_25lookback_scan_determinismE0ELb0ELb0ES3_N6thrust23THRUST_200600_302600_NS6detail15normal_iteratorINS9_10device_ptrItEEEENS9_16discard_iteratorINS9_11use_defaultEEEt11max_functorItEtEEDaPvRmT3_T4_T5_mT6_P12ihipStream_tbENKUlT_T0_E_clISt17integral_constantIbLb1EESW_IbLb0EEEEDaSS_ST_EUlSS_E_NS1_11comp_targetILNS1_3genE9ELNS1_11target_archE1100ELNS1_3gpuE3ELNS1_3repE0EEENS1_30default_config_static_selectorELNS0_4arch9wavefront6targetE1EEEvT1_,comdat
	.protected	_ZN7rocprim17ROCPRIM_400000_NS6detail17trampoline_kernelINS0_14default_configENS1_20scan_config_selectorItEEZZNS1_9scan_implILNS1_25lookback_scan_determinismE0ELb0ELb0ES3_N6thrust23THRUST_200600_302600_NS6detail15normal_iteratorINS9_10device_ptrItEEEENS9_16discard_iteratorINS9_11use_defaultEEEt11max_functorItEtEEDaPvRmT3_T4_T5_mT6_P12ihipStream_tbENKUlT_T0_E_clISt17integral_constantIbLb1EESW_IbLb0EEEEDaSS_ST_EUlSS_E_NS1_11comp_targetILNS1_3genE9ELNS1_11target_archE1100ELNS1_3gpuE3ELNS1_3repE0EEENS1_30default_config_static_selectorELNS0_4arch9wavefront6targetE1EEEvT1_ ; -- Begin function _ZN7rocprim17ROCPRIM_400000_NS6detail17trampoline_kernelINS0_14default_configENS1_20scan_config_selectorItEEZZNS1_9scan_implILNS1_25lookback_scan_determinismE0ELb0ELb0ES3_N6thrust23THRUST_200600_302600_NS6detail15normal_iteratorINS9_10device_ptrItEEEENS9_16discard_iteratorINS9_11use_defaultEEEt11max_functorItEtEEDaPvRmT3_T4_T5_mT6_P12ihipStream_tbENKUlT_T0_E_clISt17integral_constantIbLb1EESW_IbLb0EEEEDaSS_ST_EUlSS_E_NS1_11comp_targetILNS1_3genE9ELNS1_11target_archE1100ELNS1_3gpuE3ELNS1_3repE0EEENS1_30default_config_static_selectorELNS0_4arch9wavefront6targetE1EEEvT1_
	.globl	_ZN7rocprim17ROCPRIM_400000_NS6detail17trampoline_kernelINS0_14default_configENS1_20scan_config_selectorItEEZZNS1_9scan_implILNS1_25lookback_scan_determinismE0ELb0ELb0ES3_N6thrust23THRUST_200600_302600_NS6detail15normal_iteratorINS9_10device_ptrItEEEENS9_16discard_iteratorINS9_11use_defaultEEEt11max_functorItEtEEDaPvRmT3_T4_T5_mT6_P12ihipStream_tbENKUlT_T0_E_clISt17integral_constantIbLb1EESW_IbLb0EEEEDaSS_ST_EUlSS_E_NS1_11comp_targetILNS1_3genE9ELNS1_11target_archE1100ELNS1_3gpuE3ELNS1_3repE0EEENS1_30default_config_static_selectorELNS0_4arch9wavefront6targetE1EEEvT1_
	.p2align	8
	.type	_ZN7rocprim17ROCPRIM_400000_NS6detail17trampoline_kernelINS0_14default_configENS1_20scan_config_selectorItEEZZNS1_9scan_implILNS1_25lookback_scan_determinismE0ELb0ELb0ES3_N6thrust23THRUST_200600_302600_NS6detail15normal_iteratorINS9_10device_ptrItEEEENS9_16discard_iteratorINS9_11use_defaultEEEt11max_functorItEtEEDaPvRmT3_T4_T5_mT6_P12ihipStream_tbENKUlT_T0_E_clISt17integral_constantIbLb1EESW_IbLb0EEEEDaSS_ST_EUlSS_E_NS1_11comp_targetILNS1_3genE9ELNS1_11target_archE1100ELNS1_3gpuE3ELNS1_3repE0EEENS1_30default_config_static_selectorELNS0_4arch9wavefront6targetE1EEEvT1_,@function
_ZN7rocprim17ROCPRIM_400000_NS6detail17trampoline_kernelINS0_14default_configENS1_20scan_config_selectorItEEZZNS1_9scan_implILNS1_25lookback_scan_determinismE0ELb0ELb0ES3_N6thrust23THRUST_200600_302600_NS6detail15normal_iteratorINS9_10device_ptrItEEEENS9_16discard_iteratorINS9_11use_defaultEEEt11max_functorItEtEEDaPvRmT3_T4_T5_mT6_P12ihipStream_tbENKUlT_T0_E_clISt17integral_constantIbLb1EESW_IbLb0EEEEDaSS_ST_EUlSS_E_NS1_11comp_targetILNS1_3genE9ELNS1_11target_archE1100ELNS1_3gpuE3ELNS1_3repE0EEENS1_30default_config_static_selectorELNS0_4arch9wavefront6targetE1EEEvT1_: ; @_ZN7rocprim17ROCPRIM_400000_NS6detail17trampoline_kernelINS0_14default_configENS1_20scan_config_selectorItEEZZNS1_9scan_implILNS1_25lookback_scan_determinismE0ELb0ELb0ES3_N6thrust23THRUST_200600_302600_NS6detail15normal_iteratorINS9_10device_ptrItEEEENS9_16discard_iteratorINS9_11use_defaultEEEt11max_functorItEtEEDaPvRmT3_T4_T5_mT6_P12ihipStream_tbENKUlT_T0_E_clISt17integral_constantIbLb1EESW_IbLb0EEEEDaSS_ST_EUlSS_E_NS1_11comp_targetILNS1_3genE9ELNS1_11target_archE1100ELNS1_3gpuE3ELNS1_3repE0EEENS1_30default_config_static_selectorELNS0_4arch9wavefront6targetE1EEEvT1_
; %bb.0:
	.section	.rodata,"a",@progbits
	.p2align	6, 0x0
	.amdhsa_kernel _ZN7rocprim17ROCPRIM_400000_NS6detail17trampoline_kernelINS0_14default_configENS1_20scan_config_selectorItEEZZNS1_9scan_implILNS1_25lookback_scan_determinismE0ELb0ELb0ES3_N6thrust23THRUST_200600_302600_NS6detail15normal_iteratorINS9_10device_ptrItEEEENS9_16discard_iteratorINS9_11use_defaultEEEt11max_functorItEtEEDaPvRmT3_T4_T5_mT6_P12ihipStream_tbENKUlT_T0_E_clISt17integral_constantIbLb1EESW_IbLb0EEEEDaSS_ST_EUlSS_E_NS1_11comp_targetILNS1_3genE9ELNS1_11target_archE1100ELNS1_3gpuE3ELNS1_3repE0EEENS1_30default_config_static_selectorELNS0_4arch9wavefront6targetE1EEEvT1_
		.amdhsa_group_segment_fixed_size 0
		.amdhsa_private_segment_fixed_size 0
		.amdhsa_kernarg_size 104
		.amdhsa_user_sgpr_count 6
		.amdhsa_user_sgpr_private_segment_buffer 1
		.amdhsa_user_sgpr_dispatch_ptr 0
		.amdhsa_user_sgpr_queue_ptr 0
		.amdhsa_user_sgpr_kernarg_segment_ptr 1
		.amdhsa_user_sgpr_dispatch_id 0
		.amdhsa_user_sgpr_flat_scratch_init 0
		.amdhsa_user_sgpr_kernarg_preload_length 0
		.amdhsa_user_sgpr_kernarg_preload_offset 0
		.amdhsa_user_sgpr_private_segment_size 0
		.amdhsa_uses_dynamic_stack 0
		.amdhsa_system_sgpr_private_segment_wavefront_offset 0
		.amdhsa_system_sgpr_workgroup_id_x 1
		.amdhsa_system_sgpr_workgroup_id_y 0
		.amdhsa_system_sgpr_workgroup_id_z 0
		.amdhsa_system_sgpr_workgroup_info 0
		.amdhsa_system_vgpr_workitem_id 0
		.amdhsa_next_free_vgpr 1
		.amdhsa_next_free_sgpr 0
		.amdhsa_accum_offset 4
		.amdhsa_reserve_vcc 0
		.amdhsa_reserve_flat_scratch 0
		.amdhsa_float_round_mode_32 0
		.amdhsa_float_round_mode_16_64 0
		.amdhsa_float_denorm_mode_32 3
		.amdhsa_float_denorm_mode_16_64 3
		.amdhsa_dx10_clamp 1
		.amdhsa_ieee_mode 1
		.amdhsa_fp16_overflow 0
		.amdhsa_tg_split 0
		.amdhsa_exception_fp_ieee_invalid_op 0
		.amdhsa_exception_fp_denorm_src 0
		.amdhsa_exception_fp_ieee_div_zero 0
		.amdhsa_exception_fp_ieee_overflow 0
		.amdhsa_exception_fp_ieee_underflow 0
		.amdhsa_exception_fp_ieee_inexact 0
		.amdhsa_exception_int_div_zero 0
	.end_amdhsa_kernel
	.section	.text._ZN7rocprim17ROCPRIM_400000_NS6detail17trampoline_kernelINS0_14default_configENS1_20scan_config_selectorItEEZZNS1_9scan_implILNS1_25lookback_scan_determinismE0ELb0ELb0ES3_N6thrust23THRUST_200600_302600_NS6detail15normal_iteratorINS9_10device_ptrItEEEENS9_16discard_iteratorINS9_11use_defaultEEEt11max_functorItEtEEDaPvRmT3_T4_T5_mT6_P12ihipStream_tbENKUlT_T0_E_clISt17integral_constantIbLb1EESW_IbLb0EEEEDaSS_ST_EUlSS_E_NS1_11comp_targetILNS1_3genE9ELNS1_11target_archE1100ELNS1_3gpuE3ELNS1_3repE0EEENS1_30default_config_static_selectorELNS0_4arch9wavefront6targetE1EEEvT1_,"axG",@progbits,_ZN7rocprim17ROCPRIM_400000_NS6detail17trampoline_kernelINS0_14default_configENS1_20scan_config_selectorItEEZZNS1_9scan_implILNS1_25lookback_scan_determinismE0ELb0ELb0ES3_N6thrust23THRUST_200600_302600_NS6detail15normal_iteratorINS9_10device_ptrItEEEENS9_16discard_iteratorINS9_11use_defaultEEEt11max_functorItEtEEDaPvRmT3_T4_T5_mT6_P12ihipStream_tbENKUlT_T0_E_clISt17integral_constantIbLb1EESW_IbLb0EEEEDaSS_ST_EUlSS_E_NS1_11comp_targetILNS1_3genE9ELNS1_11target_archE1100ELNS1_3gpuE3ELNS1_3repE0EEENS1_30default_config_static_selectorELNS0_4arch9wavefront6targetE1EEEvT1_,comdat
.Lfunc_end3609:
	.size	_ZN7rocprim17ROCPRIM_400000_NS6detail17trampoline_kernelINS0_14default_configENS1_20scan_config_selectorItEEZZNS1_9scan_implILNS1_25lookback_scan_determinismE0ELb0ELb0ES3_N6thrust23THRUST_200600_302600_NS6detail15normal_iteratorINS9_10device_ptrItEEEENS9_16discard_iteratorINS9_11use_defaultEEEt11max_functorItEtEEDaPvRmT3_T4_T5_mT6_P12ihipStream_tbENKUlT_T0_E_clISt17integral_constantIbLb1EESW_IbLb0EEEEDaSS_ST_EUlSS_E_NS1_11comp_targetILNS1_3genE9ELNS1_11target_archE1100ELNS1_3gpuE3ELNS1_3repE0EEENS1_30default_config_static_selectorELNS0_4arch9wavefront6targetE1EEEvT1_, .Lfunc_end3609-_ZN7rocprim17ROCPRIM_400000_NS6detail17trampoline_kernelINS0_14default_configENS1_20scan_config_selectorItEEZZNS1_9scan_implILNS1_25lookback_scan_determinismE0ELb0ELb0ES3_N6thrust23THRUST_200600_302600_NS6detail15normal_iteratorINS9_10device_ptrItEEEENS9_16discard_iteratorINS9_11use_defaultEEEt11max_functorItEtEEDaPvRmT3_T4_T5_mT6_P12ihipStream_tbENKUlT_T0_E_clISt17integral_constantIbLb1EESW_IbLb0EEEEDaSS_ST_EUlSS_E_NS1_11comp_targetILNS1_3genE9ELNS1_11target_archE1100ELNS1_3gpuE3ELNS1_3repE0EEENS1_30default_config_static_selectorELNS0_4arch9wavefront6targetE1EEEvT1_
                                        ; -- End function
	.section	.AMDGPU.csdata,"",@progbits
; Kernel info:
; codeLenInByte = 0
; NumSgprs: 4
; NumVgprs: 0
; NumAgprs: 0
; TotalNumVgprs: 0
; ScratchSize: 0
; MemoryBound: 0
; FloatMode: 240
; IeeeMode: 1
; LDSByteSize: 0 bytes/workgroup (compile time only)
; SGPRBlocks: 0
; VGPRBlocks: 0
; NumSGPRsForWavesPerEU: 4
; NumVGPRsForWavesPerEU: 1
; AccumOffset: 4
; Occupancy: 8
; WaveLimiterHint : 0
; COMPUTE_PGM_RSRC2:SCRATCH_EN: 0
; COMPUTE_PGM_RSRC2:USER_SGPR: 6
; COMPUTE_PGM_RSRC2:TRAP_HANDLER: 0
; COMPUTE_PGM_RSRC2:TGID_X_EN: 1
; COMPUTE_PGM_RSRC2:TGID_Y_EN: 0
; COMPUTE_PGM_RSRC2:TGID_Z_EN: 0
; COMPUTE_PGM_RSRC2:TIDIG_COMP_CNT: 0
; COMPUTE_PGM_RSRC3_GFX90A:ACCUM_OFFSET: 0
; COMPUTE_PGM_RSRC3_GFX90A:TG_SPLIT: 0
	.section	.text._ZN7rocprim17ROCPRIM_400000_NS6detail17trampoline_kernelINS0_14default_configENS1_20scan_config_selectorItEEZZNS1_9scan_implILNS1_25lookback_scan_determinismE0ELb0ELb0ES3_N6thrust23THRUST_200600_302600_NS6detail15normal_iteratorINS9_10device_ptrItEEEENS9_16discard_iteratorINS9_11use_defaultEEEt11max_functorItEtEEDaPvRmT3_T4_T5_mT6_P12ihipStream_tbENKUlT_T0_E_clISt17integral_constantIbLb1EESW_IbLb0EEEEDaSS_ST_EUlSS_E_NS1_11comp_targetILNS1_3genE8ELNS1_11target_archE1030ELNS1_3gpuE2ELNS1_3repE0EEENS1_30default_config_static_selectorELNS0_4arch9wavefront6targetE1EEEvT1_,"axG",@progbits,_ZN7rocprim17ROCPRIM_400000_NS6detail17trampoline_kernelINS0_14default_configENS1_20scan_config_selectorItEEZZNS1_9scan_implILNS1_25lookback_scan_determinismE0ELb0ELb0ES3_N6thrust23THRUST_200600_302600_NS6detail15normal_iteratorINS9_10device_ptrItEEEENS9_16discard_iteratorINS9_11use_defaultEEEt11max_functorItEtEEDaPvRmT3_T4_T5_mT6_P12ihipStream_tbENKUlT_T0_E_clISt17integral_constantIbLb1EESW_IbLb0EEEEDaSS_ST_EUlSS_E_NS1_11comp_targetILNS1_3genE8ELNS1_11target_archE1030ELNS1_3gpuE2ELNS1_3repE0EEENS1_30default_config_static_selectorELNS0_4arch9wavefront6targetE1EEEvT1_,comdat
	.protected	_ZN7rocprim17ROCPRIM_400000_NS6detail17trampoline_kernelINS0_14default_configENS1_20scan_config_selectorItEEZZNS1_9scan_implILNS1_25lookback_scan_determinismE0ELb0ELb0ES3_N6thrust23THRUST_200600_302600_NS6detail15normal_iteratorINS9_10device_ptrItEEEENS9_16discard_iteratorINS9_11use_defaultEEEt11max_functorItEtEEDaPvRmT3_T4_T5_mT6_P12ihipStream_tbENKUlT_T0_E_clISt17integral_constantIbLb1EESW_IbLb0EEEEDaSS_ST_EUlSS_E_NS1_11comp_targetILNS1_3genE8ELNS1_11target_archE1030ELNS1_3gpuE2ELNS1_3repE0EEENS1_30default_config_static_selectorELNS0_4arch9wavefront6targetE1EEEvT1_ ; -- Begin function _ZN7rocprim17ROCPRIM_400000_NS6detail17trampoline_kernelINS0_14default_configENS1_20scan_config_selectorItEEZZNS1_9scan_implILNS1_25lookback_scan_determinismE0ELb0ELb0ES3_N6thrust23THRUST_200600_302600_NS6detail15normal_iteratorINS9_10device_ptrItEEEENS9_16discard_iteratorINS9_11use_defaultEEEt11max_functorItEtEEDaPvRmT3_T4_T5_mT6_P12ihipStream_tbENKUlT_T0_E_clISt17integral_constantIbLb1EESW_IbLb0EEEEDaSS_ST_EUlSS_E_NS1_11comp_targetILNS1_3genE8ELNS1_11target_archE1030ELNS1_3gpuE2ELNS1_3repE0EEENS1_30default_config_static_selectorELNS0_4arch9wavefront6targetE1EEEvT1_
	.globl	_ZN7rocprim17ROCPRIM_400000_NS6detail17trampoline_kernelINS0_14default_configENS1_20scan_config_selectorItEEZZNS1_9scan_implILNS1_25lookback_scan_determinismE0ELb0ELb0ES3_N6thrust23THRUST_200600_302600_NS6detail15normal_iteratorINS9_10device_ptrItEEEENS9_16discard_iteratorINS9_11use_defaultEEEt11max_functorItEtEEDaPvRmT3_T4_T5_mT6_P12ihipStream_tbENKUlT_T0_E_clISt17integral_constantIbLb1EESW_IbLb0EEEEDaSS_ST_EUlSS_E_NS1_11comp_targetILNS1_3genE8ELNS1_11target_archE1030ELNS1_3gpuE2ELNS1_3repE0EEENS1_30default_config_static_selectorELNS0_4arch9wavefront6targetE1EEEvT1_
	.p2align	8
	.type	_ZN7rocprim17ROCPRIM_400000_NS6detail17trampoline_kernelINS0_14default_configENS1_20scan_config_selectorItEEZZNS1_9scan_implILNS1_25lookback_scan_determinismE0ELb0ELb0ES3_N6thrust23THRUST_200600_302600_NS6detail15normal_iteratorINS9_10device_ptrItEEEENS9_16discard_iteratorINS9_11use_defaultEEEt11max_functorItEtEEDaPvRmT3_T4_T5_mT6_P12ihipStream_tbENKUlT_T0_E_clISt17integral_constantIbLb1EESW_IbLb0EEEEDaSS_ST_EUlSS_E_NS1_11comp_targetILNS1_3genE8ELNS1_11target_archE1030ELNS1_3gpuE2ELNS1_3repE0EEENS1_30default_config_static_selectorELNS0_4arch9wavefront6targetE1EEEvT1_,@function
_ZN7rocprim17ROCPRIM_400000_NS6detail17trampoline_kernelINS0_14default_configENS1_20scan_config_selectorItEEZZNS1_9scan_implILNS1_25lookback_scan_determinismE0ELb0ELb0ES3_N6thrust23THRUST_200600_302600_NS6detail15normal_iteratorINS9_10device_ptrItEEEENS9_16discard_iteratorINS9_11use_defaultEEEt11max_functorItEtEEDaPvRmT3_T4_T5_mT6_P12ihipStream_tbENKUlT_T0_E_clISt17integral_constantIbLb1EESW_IbLb0EEEEDaSS_ST_EUlSS_E_NS1_11comp_targetILNS1_3genE8ELNS1_11target_archE1030ELNS1_3gpuE2ELNS1_3repE0EEENS1_30default_config_static_selectorELNS0_4arch9wavefront6targetE1EEEvT1_: ; @_ZN7rocprim17ROCPRIM_400000_NS6detail17trampoline_kernelINS0_14default_configENS1_20scan_config_selectorItEEZZNS1_9scan_implILNS1_25lookback_scan_determinismE0ELb0ELb0ES3_N6thrust23THRUST_200600_302600_NS6detail15normal_iteratorINS9_10device_ptrItEEEENS9_16discard_iteratorINS9_11use_defaultEEEt11max_functorItEtEEDaPvRmT3_T4_T5_mT6_P12ihipStream_tbENKUlT_T0_E_clISt17integral_constantIbLb1EESW_IbLb0EEEEDaSS_ST_EUlSS_E_NS1_11comp_targetILNS1_3genE8ELNS1_11target_archE1030ELNS1_3gpuE2ELNS1_3repE0EEENS1_30default_config_static_selectorELNS0_4arch9wavefront6targetE1EEEvT1_
; %bb.0:
	.section	.rodata,"a",@progbits
	.p2align	6, 0x0
	.amdhsa_kernel _ZN7rocprim17ROCPRIM_400000_NS6detail17trampoline_kernelINS0_14default_configENS1_20scan_config_selectorItEEZZNS1_9scan_implILNS1_25lookback_scan_determinismE0ELb0ELb0ES3_N6thrust23THRUST_200600_302600_NS6detail15normal_iteratorINS9_10device_ptrItEEEENS9_16discard_iteratorINS9_11use_defaultEEEt11max_functorItEtEEDaPvRmT3_T4_T5_mT6_P12ihipStream_tbENKUlT_T0_E_clISt17integral_constantIbLb1EESW_IbLb0EEEEDaSS_ST_EUlSS_E_NS1_11comp_targetILNS1_3genE8ELNS1_11target_archE1030ELNS1_3gpuE2ELNS1_3repE0EEENS1_30default_config_static_selectorELNS0_4arch9wavefront6targetE1EEEvT1_
		.amdhsa_group_segment_fixed_size 0
		.amdhsa_private_segment_fixed_size 0
		.amdhsa_kernarg_size 104
		.amdhsa_user_sgpr_count 6
		.amdhsa_user_sgpr_private_segment_buffer 1
		.amdhsa_user_sgpr_dispatch_ptr 0
		.amdhsa_user_sgpr_queue_ptr 0
		.amdhsa_user_sgpr_kernarg_segment_ptr 1
		.amdhsa_user_sgpr_dispatch_id 0
		.amdhsa_user_sgpr_flat_scratch_init 0
		.amdhsa_user_sgpr_kernarg_preload_length 0
		.amdhsa_user_sgpr_kernarg_preload_offset 0
		.amdhsa_user_sgpr_private_segment_size 0
		.amdhsa_uses_dynamic_stack 0
		.amdhsa_system_sgpr_private_segment_wavefront_offset 0
		.amdhsa_system_sgpr_workgroup_id_x 1
		.amdhsa_system_sgpr_workgroup_id_y 0
		.amdhsa_system_sgpr_workgroup_id_z 0
		.amdhsa_system_sgpr_workgroup_info 0
		.amdhsa_system_vgpr_workitem_id 0
		.amdhsa_next_free_vgpr 1
		.amdhsa_next_free_sgpr 0
		.amdhsa_accum_offset 4
		.amdhsa_reserve_vcc 0
		.amdhsa_reserve_flat_scratch 0
		.amdhsa_float_round_mode_32 0
		.amdhsa_float_round_mode_16_64 0
		.amdhsa_float_denorm_mode_32 3
		.amdhsa_float_denorm_mode_16_64 3
		.amdhsa_dx10_clamp 1
		.amdhsa_ieee_mode 1
		.amdhsa_fp16_overflow 0
		.amdhsa_tg_split 0
		.amdhsa_exception_fp_ieee_invalid_op 0
		.amdhsa_exception_fp_denorm_src 0
		.amdhsa_exception_fp_ieee_div_zero 0
		.amdhsa_exception_fp_ieee_overflow 0
		.amdhsa_exception_fp_ieee_underflow 0
		.amdhsa_exception_fp_ieee_inexact 0
		.amdhsa_exception_int_div_zero 0
	.end_amdhsa_kernel
	.section	.text._ZN7rocprim17ROCPRIM_400000_NS6detail17trampoline_kernelINS0_14default_configENS1_20scan_config_selectorItEEZZNS1_9scan_implILNS1_25lookback_scan_determinismE0ELb0ELb0ES3_N6thrust23THRUST_200600_302600_NS6detail15normal_iteratorINS9_10device_ptrItEEEENS9_16discard_iteratorINS9_11use_defaultEEEt11max_functorItEtEEDaPvRmT3_T4_T5_mT6_P12ihipStream_tbENKUlT_T0_E_clISt17integral_constantIbLb1EESW_IbLb0EEEEDaSS_ST_EUlSS_E_NS1_11comp_targetILNS1_3genE8ELNS1_11target_archE1030ELNS1_3gpuE2ELNS1_3repE0EEENS1_30default_config_static_selectorELNS0_4arch9wavefront6targetE1EEEvT1_,"axG",@progbits,_ZN7rocprim17ROCPRIM_400000_NS6detail17trampoline_kernelINS0_14default_configENS1_20scan_config_selectorItEEZZNS1_9scan_implILNS1_25lookback_scan_determinismE0ELb0ELb0ES3_N6thrust23THRUST_200600_302600_NS6detail15normal_iteratorINS9_10device_ptrItEEEENS9_16discard_iteratorINS9_11use_defaultEEEt11max_functorItEtEEDaPvRmT3_T4_T5_mT6_P12ihipStream_tbENKUlT_T0_E_clISt17integral_constantIbLb1EESW_IbLb0EEEEDaSS_ST_EUlSS_E_NS1_11comp_targetILNS1_3genE8ELNS1_11target_archE1030ELNS1_3gpuE2ELNS1_3repE0EEENS1_30default_config_static_selectorELNS0_4arch9wavefront6targetE1EEEvT1_,comdat
.Lfunc_end3610:
	.size	_ZN7rocprim17ROCPRIM_400000_NS6detail17trampoline_kernelINS0_14default_configENS1_20scan_config_selectorItEEZZNS1_9scan_implILNS1_25lookback_scan_determinismE0ELb0ELb0ES3_N6thrust23THRUST_200600_302600_NS6detail15normal_iteratorINS9_10device_ptrItEEEENS9_16discard_iteratorINS9_11use_defaultEEEt11max_functorItEtEEDaPvRmT3_T4_T5_mT6_P12ihipStream_tbENKUlT_T0_E_clISt17integral_constantIbLb1EESW_IbLb0EEEEDaSS_ST_EUlSS_E_NS1_11comp_targetILNS1_3genE8ELNS1_11target_archE1030ELNS1_3gpuE2ELNS1_3repE0EEENS1_30default_config_static_selectorELNS0_4arch9wavefront6targetE1EEEvT1_, .Lfunc_end3610-_ZN7rocprim17ROCPRIM_400000_NS6detail17trampoline_kernelINS0_14default_configENS1_20scan_config_selectorItEEZZNS1_9scan_implILNS1_25lookback_scan_determinismE0ELb0ELb0ES3_N6thrust23THRUST_200600_302600_NS6detail15normal_iteratorINS9_10device_ptrItEEEENS9_16discard_iteratorINS9_11use_defaultEEEt11max_functorItEtEEDaPvRmT3_T4_T5_mT6_P12ihipStream_tbENKUlT_T0_E_clISt17integral_constantIbLb1EESW_IbLb0EEEEDaSS_ST_EUlSS_E_NS1_11comp_targetILNS1_3genE8ELNS1_11target_archE1030ELNS1_3gpuE2ELNS1_3repE0EEENS1_30default_config_static_selectorELNS0_4arch9wavefront6targetE1EEEvT1_
                                        ; -- End function
	.section	.AMDGPU.csdata,"",@progbits
; Kernel info:
; codeLenInByte = 0
; NumSgprs: 4
; NumVgprs: 0
; NumAgprs: 0
; TotalNumVgprs: 0
; ScratchSize: 0
; MemoryBound: 0
; FloatMode: 240
; IeeeMode: 1
; LDSByteSize: 0 bytes/workgroup (compile time only)
; SGPRBlocks: 0
; VGPRBlocks: 0
; NumSGPRsForWavesPerEU: 4
; NumVGPRsForWavesPerEU: 1
; AccumOffset: 4
; Occupancy: 8
; WaveLimiterHint : 0
; COMPUTE_PGM_RSRC2:SCRATCH_EN: 0
; COMPUTE_PGM_RSRC2:USER_SGPR: 6
; COMPUTE_PGM_RSRC2:TRAP_HANDLER: 0
; COMPUTE_PGM_RSRC2:TGID_X_EN: 1
; COMPUTE_PGM_RSRC2:TGID_Y_EN: 0
; COMPUTE_PGM_RSRC2:TGID_Z_EN: 0
; COMPUTE_PGM_RSRC2:TIDIG_COMP_CNT: 0
; COMPUTE_PGM_RSRC3_GFX90A:ACCUM_OFFSET: 0
; COMPUTE_PGM_RSRC3_GFX90A:TG_SPLIT: 0
	.section	.text._ZN7rocprim17ROCPRIM_400000_NS6detail17trampoline_kernelINS0_14default_configENS1_20scan_config_selectorItEEZZNS1_9scan_implILNS1_25lookback_scan_determinismE0ELb0ELb0ES3_N6thrust23THRUST_200600_302600_NS6detail15normal_iteratorINS9_10device_ptrItEEEENS9_16discard_iteratorINS9_11use_defaultEEEt11max_functorItEtEEDaPvRmT3_T4_T5_mT6_P12ihipStream_tbENKUlT_T0_E_clISt17integral_constantIbLb1EESW_IbLb0EEEEDaSS_ST_EUlSS_E0_NS1_11comp_targetILNS1_3genE0ELNS1_11target_archE4294967295ELNS1_3gpuE0ELNS1_3repE0EEENS1_30default_config_static_selectorELNS0_4arch9wavefront6targetE1EEEvT1_,"axG",@progbits,_ZN7rocprim17ROCPRIM_400000_NS6detail17trampoline_kernelINS0_14default_configENS1_20scan_config_selectorItEEZZNS1_9scan_implILNS1_25lookback_scan_determinismE0ELb0ELb0ES3_N6thrust23THRUST_200600_302600_NS6detail15normal_iteratorINS9_10device_ptrItEEEENS9_16discard_iteratorINS9_11use_defaultEEEt11max_functorItEtEEDaPvRmT3_T4_T5_mT6_P12ihipStream_tbENKUlT_T0_E_clISt17integral_constantIbLb1EESW_IbLb0EEEEDaSS_ST_EUlSS_E0_NS1_11comp_targetILNS1_3genE0ELNS1_11target_archE4294967295ELNS1_3gpuE0ELNS1_3repE0EEENS1_30default_config_static_selectorELNS0_4arch9wavefront6targetE1EEEvT1_,comdat
	.protected	_ZN7rocprim17ROCPRIM_400000_NS6detail17trampoline_kernelINS0_14default_configENS1_20scan_config_selectorItEEZZNS1_9scan_implILNS1_25lookback_scan_determinismE0ELb0ELb0ES3_N6thrust23THRUST_200600_302600_NS6detail15normal_iteratorINS9_10device_ptrItEEEENS9_16discard_iteratorINS9_11use_defaultEEEt11max_functorItEtEEDaPvRmT3_T4_T5_mT6_P12ihipStream_tbENKUlT_T0_E_clISt17integral_constantIbLb1EESW_IbLb0EEEEDaSS_ST_EUlSS_E0_NS1_11comp_targetILNS1_3genE0ELNS1_11target_archE4294967295ELNS1_3gpuE0ELNS1_3repE0EEENS1_30default_config_static_selectorELNS0_4arch9wavefront6targetE1EEEvT1_ ; -- Begin function _ZN7rocprim17ROCPRIM_400000_NS6detail17trampoline_kernelINS0_14default_configENS1_20scan_config_selectorItEEZZNS1_9scan_implILNS1_25lookback_scan_determinismE0ELb0ELb0ES3_N6thrust23THRUST_200600_302600_NS6detail15normal_iteratorINS9_10device_ptrItEEEENS9_16discard_iteratorINS9_11use_defaultEEEt11max_functorItEtEEDaPvRmT3_T4_T5_mT6_P12ihipStream_tbENKUlT_T0_E_clISt17integral_constantIbLb1EESW_IbLb0EEEEDaSS_ST_EUlSS_E0_NS1_11comp_targetILNS1_3genE0ELNS1_11target_archE4294967295ELNS1_3gpuE0ELNS1_3repE0EEENS1_30default_config_static_selectorELNS0_4arch9wavefront6targetE1EEEvT1_
	.globl	_ZN7rocprim17ROCPRIM_400000_NS6detail17trampoline_kernelINS0_14default_configENS1_20scan_config_selectorItEEZZNS1_9scan_implILNS1_25lookback_scan_determinismE0ELb0ELb0ES3_N6thrust23THRUST_200600_302600_NS6detail15normal_iteratorINS9_10device_ptrItEEEENS9_16discard_iteratorINS9_11use_defaultEEEt11max_functorItEtEEDaPvRmT3_T4_T5_mT6_P12ihipStream_tbENKUlT_T0_E_clISt17integral_constantIbLb1EESW_IbLb0EEEEDaSS_ST_EUlSS_E0_NS1_11comp_targetILNS1_3genE0ELNS1_11target_archE4294967295ELNS1_3gpuE0ELNS1_3repE0EEENS1_30default_config_static_selectorELNS0_4arch9wavefront6targetE1EEEvT1_
	.p2align	8
	.type	_ZN7rocprim17ROCPRIM_400000_NS6detail17trampoline_kernelINS0_14default_configENS1_20scan_config_selectorItEEZZNS1_9scan_implILNS1_25lookback_scan_determinismE0ELb0ELb0ES3_N6thrust23THRUST_200600_302600_NS6detail15normal_iteratorINS9_10device_ptrItEEEENS9_16discard_iteratorINS9_11use_defaultEEEt11max_functorItEtEEDaPvRmT3_T4_T5_mT6_P12ihipStream_tbENKUlT_T0_E_clISt17integral_constantIbLb1EESW_IbLb0EEEEDaSS_ST_EUlSS_E0_NS1_11comp_targetILNS1_3genE0ELNS1_11target_archE4294967295ELNS1_3gpuE0ELNS1_3repE0EEENS1_30default_config_static_selectorELNS0_4arch9wavefront6targetE1EEEvT1_,@function
_ZN7rocprim17ROCPRIM_400000_NS6detail17trampoline_kernelINS0_14default_configENS1_20scan_config_selectorItEEZZNS1_9scan_implILNS1_25lookback_scan_determinismE0ELb0ELb0ES3_N6thrust23THRUST_200600_302600_NS6detail15normal_iteratorINS9_10device_ptrItEEEENS9_16discard_iteratorINS9_11use_defaultEEEt11max_functorItEtEEDaPvRmT3_T4_T5_mT6_P12ihipStream_tbENKUlT_T0_E_clISt17integral_constantIbLb1EESW_IbLb0EEEEDaSS_ST_EUlSS_E0_NS1_11comp_targetILNS1_3genE0ELNS1_11target_archE4294967295ELNS1_3gpuE0ELNS1_3repE0EEENS1_30default_config_static_selectorELNS0_4arch9wavefront6targetE1EEEvT1_: ; @_ZN7rocprim17ROCPRIM_400000_NS6detail17trampoline_kernelINS0_14default_configENS1_20scan_config_selectorItEEZZNS1_9scan_implILNS1_25lookback_scan_determinismE0ELb0ELb0ES3_N6thrust23THRUST_200600_302600_NS6detail15normal_iteratorINS9_10device_ptrItEEEENS9_16discard_iteratorINS9_11use_defaultEEEt11max_functorItEtEEDaPvRmT3_T4_T5_mT6_P12ihipStream_tbENKUlT_T0_E_clISt17integral_constantIbLb1EESW_IbLb0EEEEDaSS_ST_EUlSS_E0_NS1_11comp_targetILNS1_3genE0ELNS1_11target_archE4294967295ELNS1_3gpuE0ELNS1_3repE0EEENS1_30default_config_static_selectorELNS0_4arch9wavefront6targetE1EEEvT1_
; %bb.0:
	.section	.rodata,"a",@progbits
	.p2align	6, 0x0
	.amdhsa_kernel _ZN7rocprim17ROCPRIM_400000_NS6detail17trampoline_kernelINS0_14default_configENS1_20scan_config_selectorItEEZZNS1_9scan_implILNS1_25lookback_scan_determinismE0ELb0ELb0ES3_N6thrust23THRUST_200600_302600_NS6detail15normal_iteratorINS9_10device_ptrItEEEENS9_16discard_iteratorINS9_11use_defaultEEEt11max_functorItEtEEDaPvRmT3_T4_T5_mT6_P12ihipStream_tbENKUlT_T0_E_clISt17integral_constantIbLb1EESW_IbLb0EEEEDaSS_ST_EUlSS_E0_NS1_11comp_targetILNS1_3genE0ELNS1_11target_archE4294967295ELNS1_3gpuE0ELNS1_3repE0EEENS1_30default_config_static_selectorELNS0_4arch9wavefront6targetE1EEEvT1_
		.amdhsa_group_segment_fixed_size 0
		.amdhsa_private_segment_fixed_size 0
		.amdhsa_kernarg_size 40
		.amdhsa_user_sgpr_count 6
		.amdhsa_user_sgpr_private_segment_buffer 1
		.amdhsa_user_sgpr_dispatch_ptr 0
		.amdhsa_user_sgpr_queue_ptr 0
		.amdhsa_user_sgpr_kernarg_segment_ptr 1
		.amdhsa_user_sgpr_dispatch_id 0
		.amdhsa_user_sgpr_flat_scratch_init 0
		.amdhsa_user_sgpr_kernarg_preload_length 0
		.amdhsa_user_sgpr_kernarg_preload_offset 0
		.amdhsa_user_sgpr_private_segment_size 0
		.amdhsa_uses_dynamic_stack 0
		.amdhsa_system_sgpr_private_segment_wavefront_offset 0
		.amdhsa_system_sgpr_workgroup_id_x 1
		.amdhsa_system_sgpr_workgroup_id_y 0
		.amdhsa_system_sgpr_workgroup_id_z 0
		.amdhsa_system_sgpr_workgroup_info 0
		.amdhsa_system_vgpr_workitem_id 0
		.amdhsa_next_free_vgpr 1
		.amdhsa_next_free_sgpr 0
		.amdhsa_accum_offset 4
		.amdhsa_reserve_vcc 0
		.amdhsa_reserve_flat_scratch 0
		.amdhsa_float_round_mode_32 0
		.amdhsa_float_round_mode_16_64 0
		.amdhsa_float_denorm_mode_32 3
		.amdhsa_float_denorm_mode_16_64 3
		.amdhsa_dx10_clamp 1
		.amdhsa_ieee_mode 1
		.amdhsa_fp16_overflow 0
		.amdhsa_tg_split 0
		.amdhsa_exception_fp_ieee_invalid_op 0
		.amdhsa_exception_fp_denorm_src 0
		.amdhsa_exception_fp_ieee_div_zero 0
		.amdhsa_exception_fp_ieee_overflow 0
		.amdhsa_exception_fp_ieee_underflow 0
		.amdhsa_exception_fp_ieee_inexact 0
		.amdhsa_exception_int_div_zero 0
	.end_amdhsa_kernel
	.section	.text._ZN7rocprim17ROCPRIM_400000_NS6detail17trampoline_kernelINS0_14default_configENS1_20scan_config_selectorItEEZZNS1_9scan_implILNS1_25lookback_scan_determinismE0ELb0ELb0ES3_N6thrust23THRUST_200600_302600_NS6detail15normal_iteratorINS9_10device_ptrItEEEENS9_16discard_iteratorINS9_11use_defaultEEEt11max_functorItEtEEDaPvRmT3_T4_T5_mT6_P12ihipStream_tbENKUlT_T0_E_clISt17integral_constantIbLb1EESW_IbLb0EEEEDaSS_ST_EUlSS_E0_NS1_11comp_targetILNS1_3genE0ELNS1_11target_archE4294967295ELNS1_3gpuE0ELNS1_3repE0EEENS1_30default_config_static_selectorELNS0_4arch9wavefront6targetE1EEEvT1_,"axG",@progbits,_ZN7rocprim17ROCPRIM_400000_NS6detail17trampoline_kernelINS0_14default_configENS1_20scan_config_selectorItEEZZNS1_9scan_implILNS1_25lookback_scan_determinismE0ELb0ELb0ES3_N6thrust23THRUST_200600_302600_NS6detail15normal_iteratorINS9_10device_ptrItEEEENS9_16discard_iteratorINS9_11use_defaultEEEt11max_functorItEtEEDaPvRmT3_T4_T5_mT6_P12ihipStream_tbENKUlT_T0_E_clISt17integral_constantIbLb1EESW_IbLb0EEEEDaSS_ST_EUlSS_E0_NS1_11comp_targetILNS1_3genE0ELNS1_11target_archE4294967295ELNS1_3gpuE0ELNS1_3repE0EEENS1_30default_config_static_selectorELNS0_4arch9wavefront6targetE1EEEvT1_,comdat
.Lfunc_end3611:
	.size	_ZN7rocprim17ROCPRIM_400000_NS6detail17trampoline_kernelINS0_14default_configENS1_20scan_config_selectorItEEZZNS1_9scan_implILNS1_25lookback_scan_determinismE0ELb0ELb0ES3_N6thrust23THRUST_200600_302600_NS6detail15normal_iteratorINS9_10device_ptrItEEEENS9_16discard_iteratorINS9_11use_defaultEEEt11max_functorItEtEEDaPvRmT3_T4_T5_mT6_P12ihipStream_tbENKUlT_T0_E_clISt17integral_constantIbLb1EESW_IbLb0EEEEDaSS_ST_EUlSS_E0_NS1_11comp_targetILNS1_3genE0ELNS1_11target_archE4294967295ELNS1_3gpuE0ELNS1_3repE0EEENS1_30default_config_static_selectorELNS0_4arch9wavefront6targetE1EEEvT1_, .Lfunc_end3611-_ZN7rocprim17ROCPRIM_400000_NS6detail17trampoline_kernelINS0_14default_configENS1_20scan_config_selectorItEEZZNS1_9scan_implILNS1_25lookback_scan_determinismE0ELb0ELb0ES3_N6thrust23THRUST_200600_302600_NS6detail15normal_iteratorINS9_10device_ptrItEEEENS9_16discard_iteratorINS9_11use_defaultEEEt11max_functorItEtEEDaPvRmT3_T4_T5_mT6_P12ihipStream_tbENKUlT_T0_E_clISt17integral_constantIbLb1EESW_IbLb0EEEEDaSS_ST_EUlSS_E0_NS1_11comp_targetILNS1_3genE0ELNS1_11target_archE4294967295ELNS1_3gpuE0ELNS1_3repE0EEENS1_30default_config_static_selectorELNS0_4arch9wavefront6targetE1EEEvT1_
                                        ; -- End function
	.section	.AMDGPU.csdata,"",@progbits
; Kernel info:
; codeLenInByte = 0
; NumSgprs: 4
; NumVgprs: 0
; NumAgprs: 0
; TotalNumVgprs: 0
; ScratchSize: 0
; MemoryBound: 0
; FloatMode: 240
; IeeeMode: 1
; LDSByteSize: 0 bytes/workgroup (compile time only)
; SGPRBlocks: 0
; VGPRBlocks: 0
; NumSGPRsForWavesPerEU: 4
; NumVGPRsForWavesPerEU: 1
; AccumOffset: 4
; Occupancy: 8
; WaveLimiterHint : 0
; COMPUTE_PGM_RSRC2:SCRATCH_EN: 0
; COMPUTE_PGM_RSRC2:USER_SGPR: 6
; COMPUTE_PGM_RSRC2:TRAP_HANDLER: 0
; COMPUTE_PGM_RSRC2:TGID_X_EN: 1
; COMPUTE_PGM_RSRC2:TGID_Y_EN: 0
; COMPUTE_PGM_RSRC2:TGID_Z_EN: 0
; COMPUTE_PGM_RSRC2:TIDIG_COMP_CNT: 0
; COMPUTE_PGM_RSRC3_GFX90A:ACCUM_OFFSET: 0
; COMPUTE_PGM_RSRC3_GFX90A:TG_SPLIT: 0
	.section	.text._ZN7rocprim17ROCPRIM_400000_NS6detail17trampoline_kernelINS0_14default_configENS1_20scan_config_selectorItEEZZNS1_9scan_implILNS1_25lookback_scan_determinismE0ELb0ELb0ES3_N6thrust23THRUST_200600_302600_NS6detail15normal_iteratorINS9_10device_ptrItEEEENS9_16discard_iteratorINS9_11use_defaultEEEt11max_functorItEtEEDaPvRmT3_T4_T5_mT6_P12ihipStream_tbENKUlT_T0_E_clISt17integral_constantIbLb1EESW_IbLb0EEEEDaSS_ST_EUlSS_E0_NS1_11comp_targetILNS1_3genE5ELNS1_11target_archE942ELNS1_3gpuE9ELNS1_3repE0EEENS1_30default_config_static_selectorELNS0_4arch9wavefront6targetE1EEEvT1_,"axG",@progbits,_ZN7rocprim17ROCPRIM_400000_NS6detail17trampoline_kernelINS0_14default_configENS1_20scan_config_selectorItEEZZNS1_9scan_implILNS1_25lookback_scan_determinismE0ELb0ELb0ES3_N6thrust23THRUST_200600_302600_NS6detail15normal_iteratorINS9_10device_ptrItEEEENS9_16discard_iteratorINS9_11use_defaultEEEt11max_functorItEtEEDaPvRmT3_T4_T5_mT6_P12ihipStream_tbENKUlT_T0_E_clISt17integral_constantIbLb1EESW_IbLb0EEEEDaSS_ST_EUlSS_E0_NS1_11comp_targetILNS1_3genE5ELNS1_11target_archE942ELNS1_3gpuE9ELNS1_3repE0EEENS1_30default_config_static_selectorELNS0_4arch9wavefront6targetE1EEEvT1_,comdat
	.protected	_ZN7rocprim17ROCPRIM_400000_NS6detail17trampoline_kernelINS0_14default_configENS1_20scan_config_selectorItEEZZNS1_9scan_implILNS1_25lookback_scan_determinismE0ELb0ELb0ES3_N6thrust23THRUST_200600_302600_NS6detail15normal_iteratorINS9_10device_ptrItEEEENS9_16discard_iteratorINS9_11use_defaultEEEt11max_functorItEtEEDaPvRmT3_T4_T5_mT6_P12ihipStream_tbENKUlT_T0_E_clISt17integral_constantIbLb1EESW_IbLb0EEEEDaSS_ST_EUlSS_E0_NS1_11comp_targetILNS1_3genE5ELNS1_11target_archE942ELNS1_3gpuE9ELNS1_3repE0EEENS1_30default_config_static_selectorELNS0_4arch9wavefront6targetE1EEEvT1_ ; -- Begin function _ZN7rocprim17ROCPRIM_400000_NS6detail17trampoline_kernelINS0_14default_configENS1_20scan_config_selectorItEEZZNS1_9scan_implILNS1_25lookback_scan_determinismE0ELb0ELb0ES3_N6thrust23THRUST_200600_302600_NS6detail15normal_iteratorINS9_10device_ptrItEEEENS9_16discard_iteratorINS9_11use_defaultEEEt11max_functorItEtEEDaPvRmT3_T4_T5_mT6_P12ihipStream_tbENKUlT_T0_E_clISt17integral_constantIbLb1EESW_IbLb0EEEEDaSS_ST_EUlSS_E0_NS1_11comp_targetILNS1_3genE5ELNS1_11target_archE942ELNS1_3gpuE9ELNS1_3repE0EEENS1_30default_config_static_selectorELNS0_4arch9wavefront6targetE1EEEvT1_
	.globl	_ZN7rocprim17ROCPRIM_400000_NS6detail17trampoline_kernelINS0_14default_configENS1_20scan_config_selectorItEEZZNS1_9scan_implILNS1_25lookback_scan_determinismE0ELb0ELb0ES3_N6thrust23THRUST_200600_302600_NS6detail15normal_iteratorINS9_10device_ptrItEEEENS9_16discard_iteratorINS9_11use_defaultEEEt11max_functorItEtEEDaPvRmT3_T4_T5_mT6_P12ihipStream_tbENKUlT_T0_E_clISt17integral_constantIbLb1EESW_IbLb0EEEEDaSS_ST_EUlSS_E0_NS1_11comp_targetILNS1_3genE5ELNS1_11target_archE942ELNS1_3gpuE9ELNS1_3repE0EEENS1_30default_config_static_selectorELNS0_4arch9wavefront6targetE1EEEvT1_
	.p2align	8
	.type	_ZN7rocprim17ROCPRIM_400000_NS6detail17trampoline_kernelINS0_14default_configENS1_20scan_config_selectorItEEZZNS1_9scan_implILNS1_25lookback_scan_determinismE0ELb0ELb0ES3_N6thrust23THRUST_200600_302600_NS6detail15normal_iteratorINS9_10device_ptrItEEEENS9_16discard_iteratorINS9_11use_defaultEEEt11max_functorItEtEEDaPvRmT3_T4_T5_mT6_P12ihipStream_tbENKUlT_T0_E_clISt17integral_constantIbLb1EESW_IbLb0EEEEDaSS_ST_EUlSS_E0_NS1_11comp_targetILNS1_3genE5ELNS1_11target_archE942ELNS1_3gpuE9ELNS1_3repE0EEENS1_30default_config_static_selectorELNS0_4arch9wavefront6targetE1EEEvT1_,@function
_ZN7rocprim17ROCPRIM_400000_NS6detail17trampoline_kernelINS0_14default_configENS1_20scan_config_selectorItEEZZNS1_9scan_implILNS1_25lookback_scan_determinismE0ELb0ELb0ES3_N6thrust23THRUST_200600_302600_NS6detail15normal_iteratorINS9_10device_ptrItEEEENS9_16discard_iteratorINS9_11use_defaultEEEt11max_functorItEtEEDaPvRmT3_T4_T5_mT6_P12ihipStream_tbENKUlT_T0_E_clISt17integral_constantIbLb1EESW_IbLb0EEEEDaSS_ST_EUlSS_E0_NS1_11comp_targetILNS1_3genE5ELNS1_11target_archE942ELNS1_3gpuE9ELNS1_3repE0EEENS1_30default_config_static_selectorELNS0_4arch9wavefront6targetE1EEEvT1_: ; @_ZN7rocprim17ROCPRIM_400000_NS6detail17trampoline_kernelINS0_14default_configENS1_20scan_config_selectorItEEZZNS1_9scan_implILNS1_25lookback_scan_determinismE0ELb0ELb0ES3_N6thrust23THRUST_200600_302600_NS6detail15normal_iteratorINS9_10device_ptrItEEEENS9_16discard_iteratorINS9_11use_defaultEEEt11max_functorItEtEEDaPvRmT3_T4_T5_mT6_P12ihipStream_tbENKUlT_T0_E_clISt17integral_constantIbLb1EESW_IbLb0EEEEDaSS_ST_EUlSS_E0_NS1_11comp_targetILNS1_3genE5ELNS1_11target_archE942ELNS1_3gpuE9ELNS1_3repE0EEENS1_30default_config_static_selectorELNS0_4arch9wavefront6targetE1EEEvT1_
; %bb.0:
	.section	.rodata,"a",@progbits
	.p2align	6, 0x0
	.amdhsa_kernel _ZN7rocprim17ROCPRIM_400000_NS6detail17trampoline_kernelINS0_14default_configENS1_20scan_config_selectorItEEZZNS1_9scan_implILNS1_25lookback_scan_determinismE0ELb0ELb0ES3_N6thrust23THRUST_200600_302600_NS6detail15normal_iteratorINS9_10device_ptrItEEEENS9_16discard_iteratorINS9_11use_defaultEEEt11max_functorItEtEEDaPvRmT3_T4_T5_mT6_P12ihipStream_tbENKUlT_T0_E_clISt17integral_constantIbLb1EESW_IbLb0EEEEDaSS_ST_EUlSS_E0_NS1_11comp_targetILNS1_3genE5ELNS1_11target_archE942ELNS1_3gpuE9ELNS1_3repE0EEENS1_30default_config_static_selectorELNS0_4arch9wavefront6targetE1EEEvT1_
		.amdhsa_group_segment_fixed_size 0
		.amdhsa_private_segment_fixed_size 0
		.amdhsa_kernarg_size 40
		.amdhsa_user_sgpr_count 6
		.amdhsa_user_sgpr_private_segment_buffer 1
		.amdhsa_user_sgpr_dispatch_ptr 0
		.amdhsa_user_sgpr_queue_ptr 0
		.amdhsa_user_sgpr_kernarg_segment_ptr 1
		.amdhsa_user_sgpr_dispatch_id 0
		.amdhsa_user_sgpr_flat_scratch_init 0
		.amdhsa_user_sgpr_kernarg_preload_length 0
		.amdhsa_user_sgpr_kernarg_preload_offset 0
		.amdhsa_user_sgpr_private_segment_size 0
		.amdhsa_uses_dynamic_stack 0
		.amdhsa_system_sgpr_private_segment_wavefront_offset 0
		.amdhsa_system_sgpr_workgroup_id_x 1
		.amdhsa_system_sgpr_workgroup_id_y 0
		.amdhsa_system_sgpr_workgroup_id_z 0
		.amdhsa_system_sgpr_workgroup_info 0
		.amdhsa_system_vgpr_workitem_id 0
		.amdhsa_next_free_vgpr 1
		.amdhsa_next_free_sgpr 0
		.amdhsa_accum_offset 4
		.amdhsa_reserve_vcc 0
		.amdhsa_reserve_flat_scratch 0
		.amdhsa_float_round_mode_32 0
		.amdhsa_float_round_mode_16_64 0
		.amdhsa_float_denorm_mode_32 3
		.amdhsa_float_denorm_mode_16_64 3
		.amdhsa_dx10_clamp 1
		.amdhsa_ieee_mode 1
		.amdhsa_fp16_overflow 0
		.amdhsa_tg_split 0
		.amdhsa_exception_fp_ieee_invalid_op 0
		.amdhsa_exception_fp_denorm_src 0
		.amdhsa_exception_fp_ieee_div_zero 0
		.amdhsa_exception_fp_ieee_overflow 0
		.amdhsa_exception_fp_ieee_underflow 0
		.amdhsa_exception_fp_ieee_inexact 0
		.amdhsa_exception_int_div_zero 0
	.end_amdhsa_kernel
	.section	.text._ZN7rocprim17ROCPRIM_400000_NS6detail17trampoline_kernelINS0_14default_configENS1_20scan_config_selectorItEEZZNS1_9scan_implILNS1_25lookback_scan_determinismE0ELb0ELb0ES3_N6thrust23THRUST_200600_302600_NS6detail15normal_iteratorINS9_10device_ptrItEEEENS9_16discard_iteratorINS9_11use_defaultEEEt11max_functorItEtEEDaPvRmT3_T4_T5_mT6_P12ihipStream_tbENKUlT_T0_E_clISt17integral_constantIbLb1EESW_IbLb0EEEEDaSS_ST_EUlSS_E0_NS1_11comp_targetILNS1_3genE5ELNS1_11target_archE942ELNS1_3gpuE9ELNS1_3repE0EEENS1_30default_config_static_selectorELNS0_4arch9wavefront6targetE1EEEvT1_,"axG",@progbits,_ZN7rocprim17ROCPRIM_400000_NS6detail17trampoline_kernelINS0_14default_configENS1_20scan_config_selectorItEEZZNS1_9scan_implILNS1_25lookback_scan_determinismE0ELb0ELb0ES3_N6thrust23THRUST_200600_302600_NS6detail15normal_iteratorINS9_10device_ptrItEEEENS9_16discard_iteratorINS9_11use_defaultEEEt11max_functorItEtEEDaPvRmT3_T4_T5_mT6_P12ihipStream_tbENKUlT_T0_E_clISt17integral_constantIbLb1EESW_IbLb0EEEEDaSS_ST_EUlSS_E0_NS1_11comp_targetILNS1_3genE5ELNS1_11target_archE942ELNS1_3gpuE9ELNS1_3repE0EEENS1_30default_config_static_selectorELNS0_4arch9wavefront6targetE1EEEvT1_,comdat
.Lfunc_end3612:
	.size	_ZN7rocprim17ROCPRIM_400000_NS6detail17trampoline_kernelINS0_14default_configENS1_20scan_config_selectorItEEZZNS1_9scan_implILNS1_25lookback_scan_determinismE0ELb0ELb0ES3_N6thrust23THRUST_200600_302600_NS6detail15normal_iteratorINS9_10device_ptrItEEEENS9_16discard_iteratorINS9_11use_defaultEEEt11max_functorItEtEEDaPvRmT3_T4_T5_mT6_P12ihipStream_tbENKUlT_T0_E_clISt17integral_constantIbLb1EESW_IbLb0EEEEDaSS_ST_EUlSS_E0_NS1_11comp_targetILNS1_3genE5ELNS1_11target_archE942ELNS1_3gpuE9ELNS1_3repE0EEENS1_30default_config_static_selectorELNS0_4arch9wavefront6targetE1EEEvT1_, .Lfunc_end3612-_ZN7rocprim17ROCPRIM_400000_NS6detail17trampoline_kernelINS0_14default_configENS1_20scan_config_selectorItEEZZNS1_9scan_implILNS1_25lookback_scan_determinismE0ELb0ELb0ES3_N6thrust23THRUST_200600_302600_NS6detail15normal_iteratorINS9_10device_ptrItEEEENS9_16discard_iteratorINS9_11use_defaultEEEt11max_functorItEtEEDaPvRmT3_T4_T5_mT6_P12ihipStream_tbENKUlT_T0_E_clISt17integral_constantIbLb1EESW_IbLb0EEEEDaSS_ST_EUlSS_E0_NS1_11comp_targetILNS1_3genE5ELNS1_11target_archE942ELNS1_3gpuE9ELNS1_3repE0EEENS1_30default_config_static_selectorELNS0_4arch9wavefront6targetE1EEEvT1_
                                        ; -- End function
	.section	.AMDGPU.csdata,"",@progbits
; Kernel info:
; codeLenInByte = 0
; NumSgprs: 4
; NumVgprs: 0
; NumAgprs: 0
; TotalNumVgprs: 0
; ScratchSize: 0
; MemoryBound: 0
; FloatMode: 240
; IeeeMode: 1
; LDSByteSize: 0 bytes/workgroup (compile time only)
; SGPRBlocks: 0
; VGPRBlocks: 0
; NumSGPRsForWavesPerEU: 4
; NumVGPRsForWavesPerEU: 1
; AccumOffset: 4
; Occupancy: 8
; WaveLimiterHint : 0
; COMPUTE_PGM_RSRC2:SCRATCH_EN: 0
; COMPUTE_PGM_RSRC2:USER_SGPR: 6
; COMPUTE_PGM_RSRC2:TRAP_HANDLER: 0
; COMPUTE_PGM_RSRC2:TGID_X_EN: 1
; COMPUTE_PGM_RSRC2:TGID_Y_EN: 0
; COMPUTE_PGM_RSRC2:TGID_Z_EN: 0
; COMPUTE_PGM_RSRC2:TIDIG_COMP_CNT: 0
; COMPUTE_PGM_RSRC3_GFX90A:ACCUM_OFFSET: 0
; COMPUTE_PGM_RSRC3_GFX90A:TG_SPLIT: 0
	.section	.text._ZN7rocprim17ROCPRIM_400000_NS6detail17trampoline_kernelINS0_14default_configENS1_20scan_config_selectorItEEZZNS1_9scan_implILNS1_25lookback_scan_determinismE0ELb0ELb0ES3_N6thrust23THRUST_200600_302600_NS6detail15normal_iteratorINS9_10device_ptrItEEEENS9_16discard_iteratorINS9_11use_defaultEEEt11max_functorItEtEEDaPvRmT3_T4_T5_mT6_P12ihipStream_tbENKUlT_T0_E_clISt17integral_constantIbLb1EESW_IbLb0EEEEDaSS_ST_EUlSS_E0_NS1_11comp_targetILNS1_3genE4ELNS1_11target_archE910ELNS1_3gpuE8ELNS1_3repE0EEENS1_30default_config_static_selectorELNS0_4arch9wavefront6targetE1EEEvT1_,"axG",@progbits,_ZN7rocprim17ROCPRIM_400000_NS6detail17trampoline_kernelINS0_14default_configENS1_20scan_config_selectorItEEZZNS1_9scan_implILNS1_25lookback_scan_determinismE0ELb0ELb0ES3_N6thrust23THRUST_200600_302600_NS6detail15normal_iteratorINS9_10device_ptrItEEEENS9_16discard_iteratorINS9_11use_defaultEEEt11max_functorItEtEEDaPvRmT3_T4_T5_mT6_P12ihipStream_tbENKUlT_T0_E_clISt17integral_constantIbLb1EESW_IbLb0EEEEDaSS_ST_EUlSS_E0_NS1_11comp_targetILNS1_3genE4ELNS1_11target_archE910ELNS1_3gpuE8ELNS1_3repE0EEENS1_30default_config_static_selectorELNS0_4arch9wavefront6targetE1EEEvT1_,comdat
	.protected	_ZN7rocprim17ROCPRIM_400000_NS6detail17trampoline_kernelINS0_14default_configENS1_20scan_config_selectorItEEZZNS1_9scan_implILNS1_25lookback_scan_determinismE0ELb0ELb0ES3_N6thrust23THRUST_200600_302600_NS6detail15normal_iteratorINS9_10device_ptrItEEEENS9_16discard_iteratorINS9_11use_defaultEEEt11max_functorItEtEEDaPvRmT3_T4_T5_mT6_P12ihipStream_tbENKUlT_T0_E_clISt17integral_constantIbLb1EESW_IbLb0EEEEDaSS_ST_EUlSS_E0_NS1_11comp_targetILNS1_3genE4ELNS1_11target_archE910ELNS1_3gpuE8ELNS1_3repE0EEENS1_30default_config_static_selectorELNS0_4arch9wavefront6targetE1EEEvT1_ ; -- Begin function _ZN7rocprim17ROCPRIM_400000_NS6detail17trampoline_kernelINS0_14default_configENS1_20scan_config_selectorItEEZZNS1_9scan_implILNS1_25lookback_scan_determinismE0ELb0ELb0ES3_N6thrust23THRUST_200600_302600_NS6detail15normal_iteratorINS9_10device_ptrItEEEENS9_16discard_iteratorINS9_11use_defaultEEEt11max_functorItEtEEDaPvRmT3_T4_T5_mT6_P12ihipStream_tbENKUlT_T0_E_clISt17integral_constantIbLb1EESW_IbLb0EEEEDaSS_ST_EUlSS_E0_NS1_11comp_targetILNS1_3genE4ELNS1_11target_archE910ELNS1_3gpuE8ELNS1_3repE0EEENS1_30default_config_static_selectorELNS0_4arch9wavefront6targetE1EEEvT1_
	.globl	_ZN7rocprim17ROCPRIM_400000_NS6detail17trampoline_kernelINS0_14default_configENS1_20scan_config_selectorItEEZZNS1_9scan_implILNS1_25lookback_scan_determinismE0ELb0ELb0ES3_N6thrust23THRUST_200600_302600_NS6detail15normal_iteratorINS9_10device_ptrItEEEENS9_16discard_iteratorINS9_11use_defaultEEEt11max_functorItEtEEDaPvRmT3_T4_T5_mT6_P12ihipStream_tbENKUlT_T0_E_clISt17integral_constantIbLb1EESW_IbLb0EEEEDaSS_ST_EUlSS_E0_NS1_11comp_targetILNS1_3genE4ELNS1_11target_archE910ELNS1_3gpuE8ELNS1_3repE0EEENS1_30default_config_static_selectorELNS0_4arch9wavefront6targetE1EEEvT1_
	.p2align	8
	.type	_ZN7rocprim17ROCPRIM_400000_NS6detail17trampoline_kernelINS0_14default_configENS1_20scan_config_selectorItEEZZNS1_9scan_implILNS1_25lookback_scan_determinismE0ELb0ELb0ES3_N6thrust23THRUST_200600_302600_NS6detail15normal_iteratorINS9_10device_ptrItEEEENS9_16discard_iteratorINS9_11use_defaultEEEt11max_functorItEtEEDaPvRmT3_T4_T5_mT6_P12ihipStream_tbENKUlT_T0_E_clISt17integral_constantIbLb1EESW_IbLb0EEEEDaSS_ST_EUlSS_E0_NS1_11comp_targetILNS1_3genE4ELNS1_11target_archE910ELNS1_3gpuE8ELNS1_3repE0EEENS1_30default_config_static_selectorELNS0_4arch9wavefront6targetE1EEEvT1_,@function
_ZN7rocprim17ROCPRIM_400000_NS6detail17trampoline_kernelINS0_14default_configENS1_20scan_config_selectorItEEZZNS1_9scan_implILNS1_25lookback_scan_determinismE0ELb0ELb0ES3_N6thrust23THRUST_200600_302600_NS6detail15normal_iteratorINS9_10device_ptrItEEEENS9_16discard_iteratorINS9_11use_defaultEEEt11max_functorItEtEEDaPvRmT3_T4_T5_mT6_P12ihipStream_tbENKUlT_T0_E_clISt17integral_constantIbLb1EESW_IbLb0EEEEDaSS_ST_EUlSS_E0_NS1_11comp_targetILNS1_3genE4ELNS1_11target_archE910ELNS1_3gpuE8ELNS1_3repE0EEENS1_30default_config_static_selectorELNS0_4arch9wavefront6targetE1EEEvT1_: ; @_ZN7rocprim17ROCPRIM_400000_NS6detail17trampoline_kernelINS0_14default_configENS1_20scan_config_selectorItEEZZNS1_9scan_implILNS1_25lookback_scan_determinismE0ELb0ELb0ES3_N6thrust23THRUST_200600_302600_NS6detail15normal_iteratorINS9_10device_ptrItEEEENS9_16discard_iteratorINS9_11use_defaultEEEt11max_functorItEtEEDaPvRmT3_T4_T5_mT6_P12ihipStream_tbENKUlT_T0_E_clISt17integral_constantIbLb1EESW_IbLb0EEEEDaSS_ST_EUlSS_E0_NS1_11comp_targetILNS1_3genE4ELNS1_11target_archE910ELNS1_3gpuE8ELNS1_3repE0EEENS1_30default_config_static_selectorELNS0_4arch9wavefront6targetE1EEEvT1_
; %bb.0:
	s_load_dwordx4 s[0:3], s[4:5], 0x0
	v_mov_b32_e32 v1, 0
	s_waitcnt lgkmcnt(0)
	global_load_ushort v2, v1, s[0:1]
	v_cmp_gt_u32_e32 vcc, s2, v0
	v_lshlrev_b32_e32 v1, 1, v0
	s_waitcnt vmcnt(0)
	v_mov_b32_e32 v3, v2
	s_and_saveexec_b64 s[4:5], vcc
	s_cbranch_execz .LBB3613_2
; %bb.1:
	global_load_ushort v3, v1, s[0:1]
.LBB3613_2:
	s_or_b64 exec, exec, s[4:5]
	v_or_b32_e32 v4, 64, v0
	v_cmp_gt_u32_e32 vcc, s2, v4
	v_mov_b32_e32 v4, v2
	s_and_saveexec_b64 s[4:5], vcc
	s_cbranch_execz .LBB3613_4
; %bb.3:
	global_load_ushort v4, v1, s[0:1] offset:128
.LBB3613_4:
	s_or_b64 exec, exec, s[4:5]
	v_or_b32_e32 v5, 0x80, v0
	v_cmp_gt_u32_e32 vcc, s2, v5
	v_mov_b32_e32 v5, v2
	s_and_saveexec_b64 s[4:5], vcc
	s_cbranch_execz .LBB3613_6
; %bb.5:
	global_load_ushort v5, v1, s[0:1] offset:256
.LBB3613_6:
	;; [unrolled: 9-line block ×22, first 2 shown]
	s_or_b64 exec, exec, s[4:5]
	v_or_b32_e32 v26, 0x5c0, v0
	v_cmp_gt_u32_e32 vcc, s2, v26
	s_and_saveexec_b64 s[2:3], vcc
	s_cbranch_execz .LBB3613_48
; %bb.47:
	global_load_ushort v2, v1, s[0:1] offset:2944
.LBB3613_48:
	s_or_b64 exec, exec, s[2:3]
	s_waitcnt vmcnt(0)
	ds_write_b16 v1, v3
	ds_write_b16 v1, v4 offset:128
	ds_write_b16 v1, v5 offset:256
	;; [unrolled: 1-line block ×23, first 2 shown]
	v_mad_u32_u24 v6, v0, 46, v1
	s_waitcnt lgkmcnt(0)
	; wave barrier
	s_waitcnt lgkmcnt(0)
	ds_read_b128 v[2:5], v6
	ds_read_b128 v[10:13], v6 offset:16
	ds_read_b128 v[6:9], v6 offset:32
	v_mbcnt_lo_u32_b32 v37, -1, 0
	v_mbcnt_hi_u32_b32 v37, -1, v37
	s_waitcnt lgkmcnt(2)
	v_max_u16_sdwa v14, v2, v2 dst_sel:DWORD dst_unused:UNUSED_PAD src0_sel:DWORD src1_sel:WORD_1
	v_max_u16_e32 v15, v14, v3
	v_max_u16_sdwa v17, v15, v3 dst_sel:DWORD dst_unused:UNUSED_PAD src0_sel:DWORD src1_sel:WORD_1
	v_max_u16_e32 v19, v17, v4
	;; [unrolled: 2-line block ×3, first 2 shown]
	v_max_u16_sdwa v27, v24, v5 dst_sel:DWORD dst_unused:UNUSED_PAD src0_sel:DWORD src1_sel:WORD_1
	s_waitcnt lgkmcnt(1)
	v_max_u16_e32 v16, v27, v10
	v_max_u16_sdwa v18, v16, v10 dst_sel:DWORD dst_unused:UNUSED_PAD src0_sel:DWORD src1_sel:WORD_1
	v_max_u16_e32 v20, v18, v11
	v_max_u16_sdwa v23, v20, v11 dst_sel:DWORD dst_unused:UNUSED_PAD src0_sel:DWORD src1_sel:WORD_1
	;; [unrolled: 2-line block ×4, first 2 shown]
	s_waitcnt lgkmcnt(0)
	v_max_u16_e32 v22, v33, v6
	v_max_u16_sdwa v25, v22, v6 dst_sel:DWORD dst_unused:UNUSED_PAD src0_sel:DWORD src1_sel:WORD_1
	v_max_u16_e32 v28, v25, v7
	v_max_u16_sdwa v30, v28, v7 dst_sel:DWORD dst_unused:UNUSED_PAD src0_sel:DWORD src1_sel:WORD_1
	;; [unrolled: 2-line block ×4, first 2 shown]
	v_and_b32_e32 v38, 15, v37
	v_cmp_eq_u32_e32 vcc, 0, v38
	v_mov_b32_dpp v39, v36 row_shr:1 row_mask:0xf bank_mask:0xf
	v_max_u16_e32 v39, v39, v36
	v_cndmask_b32_e32 v39, v39, v36, vcc
	v_and_b32_e32 v40, 0xffff, v39
	v_cmp_lt_u32_e32 vcc, 1, v38
	s_nop 0
	v_mov_b32_dpp v40, v40 row_shr:2 row_mask:0xf bank_mask:0xf
	v_max_u16_e32 v40, v40, v39
	v_cndmask_b32_e32 v39, v39, v40, vcc
	v_and_b32_e32 v40, 0xffff, v39
	v_cmp_lt_u32_e32 vcc, 3, v38
	; wave barrier
	s_nop 0
	v_mov_b32_dpp v40, v40 row_shr:4 row_mask:0xf bank_mask:0xf
	v_max_u16_e32 v40, v40, v39
	v_cndmask_b32_e32 v39, v39, v40, vcc
	v_and_b32_e32 v40, 0xffff, v39
	v_cmp_lt_u32_e32 vcc, 7, v38
	s_nop 0
	v_mov_b32_dpp v40, v40 row_shr:8 row_mask:0xf bank_mask:0xf
	v_max_u16_e32 v40, v40, v39
	v_cndmask_b32_e32 v38, v39, v40, vcc
	v_and_b32_e32 v39, 0xffff, v38
	v_and_b32_e32 v40, 16, v37
	v_cmp_eq_u32_e32 vcc, 0, v40
	v_mov_b32_dpp v39, v39 row_bcast:15 row_mask:0xf bank_mask:0xf
	v_max_u16_e32 v39, v39, v38
	v_cndmask_b32_e32 v38, v39, v38, vcc
	v_and_b32_e32 v39, 0xffff, v38
	v_cmp_lt_u32_e32 vcc, 31, v37
	s_nop 0
	v_mov_b32_dpp v39, v39 row_bcast:31 row_mask:0xf bank_mask:0xf
	v_max_u16_e32 v39, v39, v38
	v_cndmask_b32_e32 v38, v38, v39, vcc
	v_cmp_eq_u32_e32 vcc, 63, v0
	s_and_saveexec_b64 s[0:1], vcc
	s_cbranch_execz .LBB3613_50
; %bb.49:
	v_mov_b32_e32 v39, 0
	ds_write_b16 v39, v38
.LBB3613_50:
	s_or_b64 exec, exec, s[0:1]
	v_add_u32_e32 v39, -1, v37
	v_and_b32_e32 v40, 64, v37
	v_cmp_lt_i32_e32 vcc, v39, v40
	v_cndmask_b32_e32 v37, v39, v37, vcc
	v_and_b32_e32 v38, 0xffff, v38
	v_lshlrev_b32_e32 v37, 2, v37
	ds_bpermute_b32 v38, v37, v38
	v_mul_u32_u24_e32 v37, 46, v0
	v_cmp_ne_u32_e32 vcc, 0, v0
	s_waitcnt lgkmcnt(0)
	; wave barrier
	s_waitcnt lgkmcnt(0)
	s_and_saveexec_b64 s[0:1], vcc
	s_cbranch_execz .LBB3613_52
; %bb.51:
	v_max_u16_e32 v0, v38, v2
	v_max_u16_sdwa v14, v0, v2 dst_sel:DWORD dst_unused:UNUSED_PAD src0_sel:DWORD src1_sel:WORD_1
	v_max_u16_e32 v15, v14, v3
	v_max_u16_sdwa v17, v15, v3 dst_sel:DWORD dst_unused:UNUSED_PAD src0_sel:DWORD src1_sel:WORD_1
	;; [unrolled: 2-line block ×12, first 2 shown]
	v_mov_b32_e32 v2, v0
	;;#ASMSTART
	;;#ASMEND
.LBB3613_52:
	s_or_b64 exec, exec, s[0:1]
	s_mov_b32 s0, 0x5040100
	v_add_u32_e32 v6, v1, v37
	v_perm_b32 v5, v27, v24, s0
	v_perm_b32 v4, v21, v19, s0
	;; [unrolled: 1-line block ×4, first 2 shown]
	s_waitcnt lgkmcnt(0)
	; wave barrier
	ds_write_b128 v6, v[2:5]
	v_perm_b32 v3, v33, v31, s0
	v_perm_b32 v2, v29, v26, s0
	;; [unrolled: 1-line block ×4, first 2 shown]
	ds_write_b128 v6, v[0:3] offset:16
	v_perm_b32 v3, v36, v35, s0
	v_perm_b32 v2, v34, v32, s0
	;; [unrolled: 1-line block ×4, first 2 shown]
	ds_write_b128 v6, v[0:3] offset:32
	s_waitcnt lgkmcnt(0)
	; wave barrier
	s_waitcnt lgkmcnt(0)
	s_endpgm
	.section	.rodata,"a",@progbits
	.p2align	6, 0x0
	.amdhsa_kernel _ZN7rocprim17ROCPRIM_400000_NS6detail17trampoline_kernelINS0_14default_configENS1_20scan_config_selectorItEEZZNS1_9scan_implILNS1_25lookback_scan_determinismE0ELb0ELb0ES3_N6thrust23THRUST_200600_302600_NS6detail15normal_iteratorINS9_10device_ptrItEEEENS9_16discard_iteratorINS9_11use_defaultEEEt11max_functorItEtEEDaPvRmT3_T4_T5_mT6_P12ihipStream_tbENKUlT_T0_E_clISt17integral_constantIbLb1EESW_IbLb0EEEEDaSS_ST_EUlSS_E0_NS1_11comp_targetILNS1_3genE4ELNS1_11target_archE910ELNS1_3gpuE8ELNS1_3repE0EEENS1_30default_config_static_selectorELNS0_4arch9wavefront6targetE1EEEvT1_
		.amdhsa_group_segment_fixed_size 3072
		.amdhsa_private_segment_fixed_size 0
		.amdhsa_kernarg_size 40
		.amdhsa_user_sgpr_count 6
		.amdhsa_user_sgpr_private_segment_buffer 1
		.amdhsa_user_sgpr_dispatch_ptr 0
		.amdhsa_user_sgpr_queue_ptr 0
		.amdhsa_user_sgpr_kernarg_segment_ptr 1
		.amdhsa_user_sgpr_dispatch_id 0
		.amdhsa_user_sgpr_flat_scratch_init 0
		.amdhsa_user_sgpr_kernarg_preload_length 0
		.amdhsa_user_sgpr_kernarg_preload_offset 0
		.amdhsa_user_sgpr_private_segment_size 0
		.amdhsa_uses_dynamic_stack 0
		.amdhsa_system_sgpr_private_segment_wavefront_offset 0
		.amdhsa_system_sgpr_workgroup_id_x 1
		.amdhsa_system_sgpr_workgroup_id_y 0
		.amdhsa_system_sgpr_workgroup_id_z 0
		.amdhsa_system_sgpr_workgroup_info 0
		.amdhsa_system_vgpr_workitem_id 0
		.amdhsa_next_free_vgpr 41
		.amdhsa_next_free_sgpr 6
		.amdhsa_accum_offset 44
		.amdhsa_reserve_vcc 1
		.amdhsa_reserve_flat_scratch 0
		.amdhsa_float_round_mode_32 0
		.amdhsa_float_round_mode_16_64 0
		.amdhsa_float_denorm_mode_32 3
		.amdhsa_float_denorm_mode_16_64 3
		.amdhsa_dx10_clamp 1
		.amdhsa_ieee_mode 1
		.amdhsa_fp16_overflow 0
		.amdhsa_tg_split 0
		.amdhsa_exception_fp_ieee_invalid_op 0
		.amdhsa_exception_fp_denorm_src 0
		.amdhsa_exception_fp_ieee_div_zero 0
		.amdhsa_exception_fp_ieee_overflow 0
		.amdhsa_exception_fp_ieee_underflow 0
		.amdhsa_exception_fp_ieee_inexact 0
		.amdhsa_exception_int_div_zero 0
	.end_amdhsa_kernel
	.section	.text._ZN7rocprim17ROCPRIM_400000_NS6detail17trampoline_kernelINS0_14default_configENS1_20scan_config_selectorItEEZZNS1_9scan_implILNS1_25lookback_scan_determinismE0ELb0ELb0ES3_N6thrust23THRUST_200600_302600_NS6detail15normal_iteratorINS9_10device_ptrItEEEENS9_16discard_iteratorINS9_11use_defaultEEEt11max_functorItEtEEDaPvRmT3_T4_T5_mT6_P12ihipStream_tbENKUlT_T0_E_clISt17integral_constantIbLb1EESW_IbLb0EEEEDaSS_ST_EUlSS_E0_NS1_11comp_targetILNS1_3genE4ELNS1_11target_archE910ELNS1_3gpuE8ELNS1_3repE0EEENS1_30default_config_static_selectorELNS0_4arch9wavefront6targetE1EEEvT1_,"axG",@progbits,_ZN7rocprim17ROCPRIM_400000_NS6detail17trampoline_kernelINS0_14default_configENS1_20scan_config_selectorItEEZZNS1_9scan_implILNS1_25lookback_scan_determinismE0ELb0ELb0ES3_N6thrust23THRUST_200600_302600_NS6detail15normal_iteratorINS9_10device_ptrItEEEENS9_16discard_iteratorINS9_11use_defaultEEEt11max_functorItEtEEDaPvRmT3_T4_T5_mT6_P12ihipStream_tbENKUlT_T0_E_clISt17integral_constantIbLb1EESW_IbLb0EEEEDaSS_ST_EUlSS_E0_NS1_11comp_targetILNS1_3genE4ELNS1_11target_archE910ELNS1_3gpuE8ELNS1_3repE0EEENS1_30default_config_static_selectorELNS0_4arch9wavefront6targetE1EEEvT1_,comdat
.Lfunc_end3613:
	.size	_ZN7rocprim17ROCPRIM_400000_NS6detail17trampoline_kernelINS0_14default_configENS1_20scan_config_selectorItEEZZNS1_9scan_implILNS1_25lookback_scan_determinismE0ELb0ELb0ES3_N6thrust23THRUST_200600_302600_NS6detail15normal_iteratorINS9_10device_ptrItEEEENS9_16discard_iteratorINS9_11use_defaultEEEt11max_functorItEtEEDaPvRmT3_T4_T5_mT6_P12ihipStream_tbENKUlT_T0_E_clISt17integral_constantIbLb1EESW_IbLb0EEEEDaSS_ST_EUlSS_E0_NS1_11comp_targetILNS1_3genE4ELNS1_11target_archE910ELNS1_3gpuE8ELNS1_3repE0EEENS1_30default_config_static_selectorELNS0_4arch9wavefront6targetE1EEEvT1_, .Lfunc_end3613-_ZN7rocprim17ROCPRIM_400000_NS6detail17trampoline_kernelINS0_14default_configENS1_20scan_config_selectorItEEZZNS1_9scan_implILNS1_25lookback_scan_determinismE0ELb0ELb0ES3_N6thrust23THRUST_200600_302600_NS6detail15normal_iteratorINS9_10device_ptrItEEEENS9_16discard_iteratorINS9_11use_defaultEEEt11max_functorItEtEEDaPvRmT3_T4_T5_mT6_P12ihipStream_tbENKUlT_T0_E_clISt17integral_constantIbLb1EESW_IbLb0EEEEDaSS_ST_EUlSS_E0_NS1_11comp_targetILNS1_3genE4ELNS1_11target_archE910ELNS1_3gpuE8ELNS1_3repE0EEENS1_30default_config_static_selectorELNS0_4arch9wavefront6targetE1EEEvT1_
                                        ; -- End function
	.section	.AMDGPU.csdata,"",@progbits
; Kernel info:
; codeLenInByte = 1856
; NumSgprs: 10
; NumVgprs: 41
; NumAgprs: 0
; TotalNumVgprs: 41
; ScratchSize: 0
; MemoryBound: 0
; FloatMode: 240
; IeeeMode: 1
; LDSByteSize: 3072 bytes/workgroup (compile time only)
; SGPRBlocks: 1
; VGPRBlocks: 5
; NumSGPRsForWavesPerEU: 10
; NumVGPRsForWavesPerEU: 41
; AccumOffset: 44
; Occupancy: 6
; WaveLimiterHint : 0
; COMPUTE_PGM_RSRC2:SCRATCH_EN: 0
; COMPUTE_PGM_RSRC2:USER_SGPR: 6
; COMPUTE_PGM_RSRC2:TRAP_HANDLER: 0
; COMPUTE_PGM_RSRC2:TGID_X_EN: 1
; COMPUTE_PGM_RSRC2:TGID_Y_EN: 0
; COMPUTE_PGM_RSRC2:TGID_Z_EN: 0
; COMPUTE_PGM_RSRC2:TIDIG_COMP_CNT: 0
; COMPUTE_PGM_RSRC3_GFX90A:ACCUM_OFFSET: 10
; COMPUTE_PGM_RSRC3_GFX90A:TG_SPLIT: 0
	.section	.text._ZN7rocprim17ROCPRIM_400000_NS6detail17trampoline_kernelINS0_14default_configENS1_20scan_config_selectorItEEZZNS1_9scan_implILNS1_25lookback_scan_determinismE0ELb0ELb0ES3_N6thrust23THRUST_200600_302600_NS6detail15normal_iteratorINS9_10device_ptrItEEEENS9_16discard_iteratorINS9_11use_defaultEEEt11max_functorItEtEEDaPvRmT3_T4_T5_mT6_P12ihipStream_tbENKUlT_T0_E_clISt17integral_constantIbLb1EESW_IbLb0EEEEDaSS_ST_EUlSS_E0_NS1_11comp_targetILNS1_3genE3ELNS1_11target_archE908ELNS1_3gpuE7ELNS1_3repE0EEENS1_30default_config_static_selectorELNS0_4arch9wavefront6targetE1EEEvT1_,"axG",@progbits,_ZN7rocprim17ROCPRIM_400000_NS6detail17trampoline_kernelINS0_14default_configENS1_20scan_config_selectorItEEZZNS1_9scan_implILNS1_25lookback_scan_determinismE0ELb0ELb0ES3_N6thrust23THRUST_200600_302600_NS6detail15normal_iteratorINS9_10device_ptrItEEEENS9_16discard_iteratorINS9_11use_defaultEEEt11max_functorItEtEEDaPvRmT3_T4_T5_mT6_P12ihipStream_tbENKUlT_T0_E_clISt17integral_constantIbLb1EESW_IbLb0EEEEDaSS_ST_EUlSS_E0_NS1_11comp_targetILNS1_3genE3ELNS1_11target_archE908ELNS1_3gpuE7ELNS1_3repE0EEENS1_30default_config_static_selectorELNS0_4arch9wavefront6targetE1EEEvT1_,comdat
	.protected	_ZN7rocprim17ROCPRIM_400000_NS6detail17trampoline_kernelINS0_14default_configENS1_20scan_config_selectorItEEZZNS1_9scan_implILNS1_25lookback_scan_determinismE0ELb0ELb0ES3_N6thrust23THRUST_200600_302600_NS6detail15normal_iteratorINS9_10device_ptrItEEEENS9_16discard_iteratorINS9_11use_defaultEEEt11max_functorItEtEEDaPvRmT3_T4_T5_mT6_P12ihipStream_tbENKUlT_T0_E_clISt17integral_constantIbLb1EESW_IbLb0EEEEDaSS_ST_EUlSS_E0_NS1_11comp_targetILNS1_3genE3ELNS1_11target_archE908ELNS1_3gpuE7ELNS1_3repE0EEENS1_30default_config_static_selectorELNS0_4arch9wavefront6targetE1EEEvT1_ ; -- Begin function _ZN7rocprim17ROCPRIM_400000_NS6detail17trampoline_kernelINS0_14default_configENS1_20scan_config_selectorItEEZZNS1_9scan_implILNS1_25lookback_scan_determinismE0ELb0ELb0ES3_N6thrust23THRUST_200600_302600_NS6detail15normal_iteratorINS9_10device_ptrItEEEENS9_16discard_iteratorINS9_11use_defaultEEEt11max_functorItEtEEDaPvRmT3_T4_T5_mT6_P12ihipStream_tbENKUlT_T0_E_clISt17integral_constantIbLb1EESW_IbLb0EEEEDaSS_ST_EUlSS_E0_NS1_11comp_targetILNS1_3genE3ELNS1_11target_archE908ELNS1_3gpuE7ELNS1_3repE0EEENS1_30default_config_static_selectorELNS0_4arch9wavefront6targetE1EEEvT1_
	.globl	_ZN7rocprim17ROCPRIM_400000_NS6detail17trampoline_kernelINS0_14default_configENS1_20scan_config_selectorItEEZZNS1_9scan_implILNS1_25lookback_scan_determinismE0ELb0ELb0ES3_N6thrust23THRUST_200600_302600_NS6detail15normal_iteratorINS9_10device_ptrItEEEENS9_16discard_iteratorINS9_11use_defaultEEEt11max_functorItEtEEDaPvRmT3_T4_T5_mT6_P12ihipStream_tbENKUlT_T0_E_clISt17integral_constantIbLb1EESW_IbLb0EEEEDaSS_ST_EUlSS_E0_NS1_11comp_targetILNS1_3genE3ELNS1_11target_archE908ELNS1_3gpuE7ELNS1_3repE0EEENS1_30default_config_static_selectorELNS0_4arch9wavefront6targetE1EEEvT1_
	.p2align	8
	.type	_ZN7rocprim17ROCPRIM_400000_NS6detail17trampoline_kernelINS0_14default_configENS1_20scan_config_selectorItEEZZNS1_9scan_implILNS1_25lookback_scan_determinismE0ELb0ELb0ES3_N6thrust23THRUST_200600_302600_NS6detail15normal_iteratorINS9_10device_ptrItEEEENS9_16discard_iteratorINS9_11use_defaultEEEt11max_functorItEtEEDaPvRmT3_T4_T5_mT6_P12ihipStream_tbENKUlT_T0_E_clISt17integral_constantIbLb1EESW_IbLb0EEEEDaSS_ST_EUlSS_E0_NS1_11comp_targetILNS1_3genE3ELNS1_11target_archE908ELNS1_3gpuE7ELNS1_3repE0EEENS1_30default_config_static_selectorELNS0_4arch9wavefront6targetE1EEEvT1_,@function
_ZN7rocprim17ROCPRIM_400000_NS6detail17trampoline_kernelINS0_14default_configENS1_20scan_config_selectorItEEZZNS1_9scan_implILNS1_25lookback_scan_determinismE0ELb0ELb0ES3_N6thrust23THRUST_200600_302600_NS6detail15normal_iteratorINS9_10device_ptrItEEEENS9_16discard_iteratorINS9_11use_defaultEEEt11max_functorItEtEEDaPvRmT3_T4_T5_mT6_P12ihipStream_tbENKUlT_T0_E_clISt17integral_constantIbLb1EESW_IbLb0EEEEDaSS_ST_EUlSS_E0_NS1_11comp_targetILNS1_3genE3ELNS1_11target_archE908ELNS1_3gpuE7ELNS1_3repE0EEENS1_30default_config_static_selectorELNS0_4arch9wavefront6targetE1EEEvT1_: ; @_ZN7rocprim17ROCPRIM_400000_NS6detail17trampoline_kernelINS0_14default_configENS1_20scan_config_selectorItEEZZNS1_9scan_implILNS1_25lookback_scan_determinismE0ELb0ELb0ES3_N6thrust23THRUST_200600_302600_NS6detail15normal_iteratorINS9_10device_ptrItEEEENS9_16discard_iteratorINS9_11use_defaultEEEt11max_functorItEtEEDaPvRmT3_T4_T5_mT6_P12ihipStream_tbENKUlT_T0_E_clISt17integral_constantIbLb1EESW_IbLb0EEEEDaSS_ST_EUlSS_E0_NS1_11comp_targetILNS1_3genE3ELNS1_11target_archE908ELNS1_3gpuE7ELNS1_3repE0EEENS1_30default_config_static_selectorELNS0_4arch9wavefront6targetE1EEEvT1_
; %bb.0:
	.section	.rodata,"a",@progbits
	.p2align	6, 0x0
	.amdhsa_kernel _ZN7rocprim17ROCPRIM_400000_NS6detail17trampoline_kernelINS0_14default_configENS1_20scan_config_selectorItEEZZNS1_9scan_implILNS1_25lookback_scan_determinismE0ELb0ELb0ES3_N6thrust23THRUST_200600_302600_NS6detail15normal_iteratorINS9_10device_ptrItEEEENS9_16discard_iteratorINS9_11use_defaultEEEt11max_functorItEtEEDaPvRmT3_T4_T5_mT6_P12ihipStream_tbENKUlT_T0_E_clISt17integral_constantIbLb1EESW_IbLb0EEEEDaSS_ST_EUlSS_E0_NS1_11comp_targetILNS1_3genE3ELNS1_11target_archE908ELNS1_3gpuE7ELNS1_3repE0EEENS1_30default_config_static_selectorELNS0_4arch9wavefront6targetE1EEEvT1_
		.amdhsa_group_segment_fixed_size 0
		.amdhsa_private_segment_fixed_size 0
		.amdhsa_kernarg_size 40
		.amdhsa_user_sgpr_count 6
		.amdhsa_user_sgpr_private_segment_buffer 1
		.amdhsa_user_sgpr_dispatch_ptr 0
		.amdhsa_user_sgpr_queue_ptr 0
		.amdhsa_user_sgpr_kernarg_segment_ptr 1
		.amdhsa_user_sgpr_dispatch_id 0
		.amdhsa_user_sgpr_flat_scratch_init 0
		.amdhsa_user_sgpr_kernarg_preload_length 0
		.amdhsa_user_sgpr_kernarg_preload_offset 0
		.amdhsa_user_sgpr_private_segment_size 0
		.amdhsa_uses_dynamic_stack 0
		.amdhsa_system_sgpr_private_segment_wavefront_offset 0
		.amdhsa_system_sgpr_workgroup_id_x 1
		.amdhsa_system_sgpr_workgroup_id_y 0
		.amdhsa_system_sgpr_workgroup_id_z 0
		.amdhsa_system_sgpr_workgroup_info 0
		.amdhsa_system_vgpr_workitem_id 0
		.amdhsa_next_free_vgpr 1
		.amdhsa_next_free_sgpr 0
		.amdhsa_accum_offset 4
		.amdhsa_reserve_vcc 0
		.amdhsa_reserve_flat_scratch 0
		.amdhsa_float_round_mode_32 0
		.amdhsa_float_round_mode_16_64 0
		.amdhsa_float_denorm_mode_32 3
		.amdhsa_float_denorm_mode_16_64 3
		.amdhsa_dx10_clamp 1
		.amdhsa_ieee_mode 1
		.amdhsa_fp16_overflow 0
		.amdhsa_tg_split 0
		.amdhsa_exception_fp_ieee_invalid_op 0
		.amdhsa_exception_fp_denorm_src 0
		.amdhsa_exception_fp_ieee_div_zero 0
		.amdhsa_exception_fp_ieee_overflow 0
		.amdhsa_exception_fp_ieee_underflow 0
		.amdhsa_exception_fp_ieee_inexact 0
		.amdhsa_exception_int_div_zero 0
	.end_amdhsa_kernel
	.section	.text._ZN7rocprim17ROCPRIM_400000_NS6detail17trampoline_kernelINS0_14default_configENS1_20scan_config_selectorItEEZZNS1_9scan_implILNS1_25lookback_scan_determinismE0ELb0ELb0ES3_N6thrust23THRUST_200600_302600_NS6detail15normal_iteratorINS9_10device_ptrItEEEENS9_16discard_iteratorINS9_11use_defaultEEEt11max_functorItEtEEDaPvRmT3_T4_T5_mT6_P12ihipStream_tbENKUlT_T0_E_clISt17integral_constantIbLb1EESW_IbLb0EEEEDaSS_ST_EUlSS_E0_NS1_11comp_targetILNS1_3genE3ELNS1_11target_archE908ELNS1_3gpuE7ELNS1_3repE0EEENS1_30default_config_static_selectorELNS0_4arch9wavefront6targetE1EEEvT1_,"axG",@progbits,_ZN7rocprim17ROCPRIM_400000_NS6detail17trampoline_kernelINS0_14default_configENS1_20scan_config_selectorItEEZZNS1_9scan_implILNS1_25lookback_scan_determinismE0ELb0ELb0ES3_N6thrust23THRUST_200600_302600_NS6detail15normal_iteratorINS9_10device_ptrItEEEENS9_16discard_iteratorINS9_11use_defaultEEEt11max_functorItEtEEDaPvRmT3_T4_T5_mT6_P12ihipStream_tbENKUlT_T0_E_clISt17integral_constantIbLb1EESW_IbLb0EEEEDaSS_ST_EUlSS_E0_NS1_11comp_targetILNS1_3genE3ELNS1_11target_archE908ELNS1_3gpuE7ELNS1_3repE0EEENS1_30default_config_static_selectorELNS0_4arch9wavefront6targetE1EEEvT1_,comdat
.Lfunc_end3614:
	.size	_ZN7rocprim17ROCPRIM_400000_NS6detail17trampoline_kernelINS0_14default_configENS1_20scan_config_selectorItEEZZNS1_9scan_implILNS1_25lookback_scan_determinismE0ELb0ELb0ES3_N6thrust23THRUST_200600_302600_NS6detail15normal_iteratorINS9_10device_ptrItEEEENS9_16discard_iteratorINS9_11use_defaultEEEt11max_functorItEtEEDaPvRmT3_T4_T5_mT6_P12ihipStream_tbENKUlT_T0_E_clISt17integral_constantIbLb1EESW_IbLb0EEEEDaSS_ST_EUlSS_E0_NS1_11comp_targetILNS1_3genE3ELNS1_11target_archE908ELNS1_3gpuE7ELNS1_3repE0EEENS1_30default_config_static_selectorELNS0_4arch9wavefront6targetE1EEEvT1_, .Lfunc_end3614-_ZN7rocprim17ROCPRIM_400000_NS6detail17trampoline_kernelINS0_14default_configENS1_20scan_config_selectorItEEZZNS1_9scan_implILNS1_25lookback_scan_determinismE0ELb0ELb0ES3_N6thrust23THRUST_200600_302600_NS6detail15normal_iteratorINS9_10device_ptrItEEEENS9_16discard_iteratorINS9_11use_defaultEEEt11max_functorItEtEEDaPvRmT3_T4_T5_mT6_P12ihipStream_tbENKUlT_T0_E_clISt17integral_constantIbLb1EESW_IbLb0EEEEDaSS_ST_EUlSS_E0_NS1_11comp_targetILNS1_3genE3ELNS1_11target_archE908ELNS1_3gpuE7ELNS1_3repE0EEENS1_30default_config_static_selectorELNS0_4arch9wavefront6targetE1EEEvT1_
                                        ; -- End function
	.section	.AMDGPU.csdata,"",@progbits
; Kernel info:
; codeLenInByte = 0
; NumSgprs: 4
; NumVgprs: 0
; NumAgprs: 0
; TotalNumVgprs: 0
; ScratchSize: 0
; MemoryBound: 0
; FloatMode: 240
; IeeeMode: 1
; LDSByteSize: 0 bytes/workgroup (compile time only)
; SGPRBlocks: 0
; VGPRBlocks: 0
; NumSGPRsForWavesPerEU: 4
; NumVGPRsForWavesPerEU: 1
; AccumOffset: 4
; Occupancy: 8
; WaveLimiterHint : 0
; COMPUTE_PGM_RSRC2:SCRATCH_EN: 0
; COMPUTE_PGM_RSRC2:USER_SGPR: 6
; COMPUTE_PGM_RSRC2:TRAP_HANDLER: 0
; COMPUTE_PGM_RSRC2:TGID_X_EN: 1
; COMPUTE_PGM_RSRC2:TGID_Y_EN: 0
; COMPUTE_PGM_RSRC2:TGID_Z_EN: 0
; COMPUTE_PGM_RSRC2:TIDIG_COMP_CNT: 0
; COMPUTE_PGM_RSRC3_GFX90A:ACCUM_OFFSET: 0
; COMPUTE_PGM_RSRC3_GFX90A:TG_SPLIT: 0
	.section	.text._ZN7rocprim17ROCPRIM_400000_NS6detail17trampoline_kernelINS0_14default_configENS1_20scan_config_selectorItEEZZNS1_9scan_implILNS1_25lookback_scan_determinismE0ELb0ELb0ES3_N6thrust23THRUST_200600_302600_NS6detail15normal_iteratorINS9_10device_ptrItEEEENS9_16discard_iteratorINS9_11use_defaultEEEt11max_functorItEtEEDaPvRmT3_T4_T5_mT6_P12ihipStream_tbENKUlT_T0_E_clISt17integral_constantIbLb1EESW_IbLb0EEEEDaSS_ST_EUlSS_E0_NS1_11comp_targetILNS1_3genE2ELNS1_11target_archE906ELNS1_3gpuE6ELNS1_3repE0EEENS1_30default_config_static_selectorELNS0_4arch9wavefront6targetE1EEEvT1_,"axG",@progbits,_ZN7rocprim17ROCPRIM_400000_NS6detail17trampoline_kernelINS0_14default_configENS1_20scan_config_selectorItEEZZNS1_9scan_implILNS1_25lookback_scan_determinismE0ELb0ELb0ES3_N6thrust23THRUST_200600_302600_NS6detail15normal_iteratorINS9_10device_ptrItEEEENS9_16discard_iteratorINS9_11use_defaultEEEt11max_functorItEtEEDaPvRmT3_T4_T5_mT6_P12ihipStream_tbENKUlT_T0_E_clISt17integral_constantIbLb1EESW_IbLb0EEEEDaSS_ST_EUlSS_E0_NS1_11comp_targetILNS1_3genE2ELNS1_11target_archE906ELNS1_3gpuE6ELNS1_3repE0EEENS1_30default_config_static_selectorELNS0_4arch9wavefront6targetE1EEEvT1_,comdat
	.protected	_ZN7rocprim17ROCPRIM_400000_NS6detail17trampoline_kernelINS0_14default_configENS1_20scan_config_selectorItEEZZNS1_9scan_implILNS1_25lookback_scan_determinismE0ELb0ELb0ES3_N6thrust23THRUST_200600_302600_NS6detail15normal_iteratorINS9_10device_ptrItEEEENS9_16discard_iteratorINS9_11use_defaultEEEt11max_functorItEtEEDaPvRmT3_T4_T5_mT6_P12ihipStream_tbENKUlT_T0_E_clISt17integral_constantIbLb1EESW_IbLb0EEEEDaSS_ST_EUlSS_E0_NS1_11comp_targetILNS1_3genE2ELNS1_11target_archE906ELNS1_3gpuE6ELNS1_3repE0EEENS1_30default_config_static_selectorELNS0_4arch9wavefront6targetE1EEEvT1_ ; -- Begin function _ZN7rocprim17ROCPRIM_400000_NS6detail17trampoline_kernelINS0_14default_configENS1_20scan_config_selectorItEEZZNS1_9scan_implILNS1_25lookback_scan_determinismE0ELb0ELb0ES3_N6thrust23THRUST_200600_302600_NS6detail15normal_iteratorINS9_10device_ptrItEEEENS9_16discard_iteratorINS9_11use_defaultEEEt11max_functorItEtEEDaPvRmT3_T4_T5_mT6_P12ihipStream_tbENKUlT_T0_E_clISt17integral_constantIbLb1EESW_IbLb0EEEEDaSS_ST_EUlSS_E0_NS1_11comp_targetILNS1_3genE2ELNS1_11target_archE906ELNS1_3gpuE6ELNS1_3repE0EEENS1_30default_config_static_selectorELNS0_4arch9wavefront6targetE1EEEvT1_
	.globl	_ZN7rocprim17ROCPRIM_400000_NS6detail17trampoline_kernelINS0_14default_configENS1_20scan_config_selectorItEEZZNS1_9scan_implILNS1_25lookback_scan_determinismE0ELb0ELb0ES3_N6thrust23THRUST_200600_302600_NS6detail15normal_iteratorINS9_10device_ptrItEEEENS9_16discard_iteratorINS9_11use_defaultEEEt11max_functorItEtEEDaPvRmT3_T4_T5_mT6_P12ihipStream_tbENKUlT_T0_E_clISt17integral_constantIbLb1EESW_IbLb0EEEEDaSS_ST_EUlSS_E0_NS1_11comp_targetILNS1_3genE2ELNS1_11target_archE906ELNS1_3gpuE6ELNS1_3repE0EEENS1_30default_config_static_selectorELNS0_4arch9wavefront6targetE1EEEvT1_
	.p2align	8
	.type	_ZN7rocprim17ROCPRIM_400000_NS6detail17trampoline_kernelINS0_14default_configENS1_20scan_config_selectorItEEZZNS1_9scan_implILNS1_25lookback_scan_determinismE0ELb0ELb0ES3_N6thrust23THRUST_200600_302600_NS6detail15normal_iteratorINS9_10device_ptrItEEEENS9_16discard_iteratorINS9_11use_defaultEEEt11max_functorItEtEEDaPvRmT3_T4_T5_mT6_P12ihipStream_tbENKUlT_T0_E_clISt17integral_constantIbLb1EESW_IbLb0EEEEDaSS_ST_EUlSS_E0_NS1_11comp_targetILNS1_3genE2ELNS1_11target_archE906ELNS1_3gpuE6ELNS1_3repE0EEENS1_30default_config_static_selectorELNS0_4arch9wavefront6targetE1EEEvT1_,@function
_ZN7rocprim17ROCPRIM_400000_NS6detail17trampoline_kernelINS0_14default_configENS1_20scan_config_selectorItEEZZNS1_9scan_implILNS1_25lookback_scan_determinismE0ELb0ELb0ES3_N6thrust23THRUST_200600_302600_NS6detail15normal_iteratorINS9_10device_ptrItEEEENS9_16discard_iteratorINS9_11use_defaultEEEt11max_functorItEtEEDaPvRmT3_T4_T5_mT6_P12ihipStream_tbENKUlT_T0_E_clISt17integral_constantIbLb1EESW_IbLb0EEEEDaSS_ST_EUlSS_E0_NS1_11comp_targetILNS1_3genE2ELNS1_11target_archE906ELNS1_3gpuE6ELNS1_3repE0EEENS1_30default_config_static_selectorELNS0_4arch9wavefront6targetE1EEEvT1_: ; @_ZN7rocprim17ROCPRIM_400000_NS6detail17trampoline_kernelINS0_14default_configENS1_20scan_config_selectorItEEZZNS1_9scan_implILNS1_25lookback_scan_determinismE0ELb0ELb0ES3_N6thrust23THRUST_200600_302600_NS6detail15normal_iteratorINS9_10device_ptrItEEEENS9_16discard_iteratorINS9_11use_defaultEEEt11max_functorItEtEEDaPvRmT3_T4_T5_mT6_P12ihipStream_tbENKUlT_T0_E_clISt17integral_constantIbLb1EESW_IbLb0EEEEDaSS_ST_EUlSS_E0_NS1_11comp_targetILNS1_3genE2ELNS1_11target_archE906ELNS1_3gpuE6ELNS1_3repE0EEENS1_30default_config_static_selectorELNS0_4arch9wavefront6targetE1EEEvT1_
; %bb.0:
	.section	.rodata,"a",@progbits
	.p2align	6, 0x0
	.amdhsa_kernel _ZN7rocprim17ROCPRIM_400000_NS6detail17trampoline_kernelINS0_14default_configENS1_20scan_config_selectorItEEZZNS1_9scan_implILNS1_25lookback_scan_determinismE0ELb0ELb0ES3_N6thrust23THRUST_200600_302600_NS6detail15normal_iteratorINS9_10device_ptrItEEEENS9_16discard_iteratorINS9_11use_defaultEEEt11max_functorItEtEEDaPvRmT3_T4_T5_mT6_P12ihipStream_tbENKUlT_T0_E_clISt17integral_constantIbLb1EESW_IbLb0EEEEDaSS_ST_EUlSS_E0_NS1_11comp_targetILNS1_3genE2ELNS1_11target_archE906ELNS1_3gpuE6ELNS1_3repE0EEENS1_30default_config_static_selectorELNS0_4arch9wavefront6targetE1EEEvT1_
		.amdhsa_group_segment_fixed_size 0
		.amdhsa_private_segment_fixed_size 0
		.amdhsa_kernarg_size 40
		.amdhsa_user_sgpr_count 6
		.amdhsa_user_sgpr_private_segment_buffer 1
		.amdhsa_user_sgpr_dispatch_ptr 0
		.amdhsa_user_sgpr_queue_ptr 0
		.amdhsa_user_sgpr_kernarg_segment_ptr 1
		.amdhsa_user_sgpr_dispatch_id 0
		.amdhsa_user_sgpr_flat_scratch_init 0
		.amdhsa_user_sgpr_kernarg_preload_length 0
		.amdhsa_user_sgpr_kernarg_preload_offset 0
		.amdhsa_user_sgpr_private_segment_size 0
		.amdhsa_uses_dynamic_stack 0
		.amdhsa_system_sgpr_private_segment_wavefront_offset 0
		.amdhsa_system_sgpr_workgroup_id_x 1
		.amdhsa_system_sgpr_workgroup_id_y 0
		.amdhsa_system_sgpr_workgroup_id_z 0
		.amdhsa_system_sgpr_workgroup_info 0
		.amdhsa_system_vgpr_workitem_id 0
		.amdhsa_next_free_vgpr 1
		.amdhsa_next_free_sgpr 0
		.amdhsa_accum_offset 4
		.amdhsa_reserve_vcc 0
		.amdhsa_reserve_flat_scratch 0
		.amdhsa_float_round_mode_32 0
		.amdhsa_float_round_mode_16_64 0
		.amdhsa_float_denorm_mode_32 3
		.amdhsa_float_denorm_mode_16_64 3
		.amdhsa_dx10_clamp 1
		.amdhsa_ieee_mode 1
		.amdhsa_fp16_overflow 0
		.amdhsa_tg_split 0
		.amdhsa_exception_fp_ieee_invalid_op 0
		.amdhsa_exception_fp_denorm_src 0
		.amdhsa_exception_fp_ieee_div_zero 0
		.amdhsa_exception_fp_ieee_overflow 0
		.amdhsa_exception_fp_ieee_underflow 0
		.amdhsa_exception_fp_ieee_inexact 0
		.amdhsa_exception_int_div_zero 0
	.end_amdhsa_kernel
	.section	.text._ZN7rocprim17ROCPRIM_400000_NS6detail17trampoline_kernelINS0_14default_configENS1_20scan_config_selectorItEEZZNS1_9scan_implILNS1_25lookback_scan_determinismE0ELb0ELb0ES3_N6thrust23THRUST_200600_302600_NS6detail15normal_iteratorINS9_10device_ptrItEEEENS9_16discard_iteratorINS9_11use_defaultEEEt11max_functorItEtEEDaPvRmT3_T4_T5_mT6_P12ihipStream_tbENKUlT_T0_E_clISt17integral_constantIbLb1EESW_IbLb0EEEEDaSS_ST_EUlSS_E0_NS1_11comp_targetILNS1_3genE2ELNS1_11target_archE906ELNS1_3gpuE6ELNS1_3repE0EEENS1_30default_config_static_selectorELNS0_4arch9wavefront6targetE1EEEvT1_,"axG",@progbits,_ZN7rocprim17ROCPRIM_400000_NS6detail17trampoline_kernelINS0_14default_configENS1_20scan_config_selectorItEEZZNS1_9scan_implILNS1_25lookback_scan_determinismE0ELb0ELb0ES3_N6thrust23THRUST_200600_302600_NS6detail15normal_iteratorINS9_10device_ptrItEEEENS9_16discard_iteratorINS9_11use_defaultEEEt11max_functorItEtEEDaPvRmT3_T4_T5_mT6_P12ihipStream_tbENKUlT_T0_E_clISt17integral_constantIbLb1EESW_IbLb0EEEEDaSS_ST_EUlSS_E0_NS1_11comp_targetILNS1_3genE2ELNS1_11target_archE906ELNS1_3gpuE6ELNS1_3repE0EEENS1_30default_config_static_selectorELNS0_4arch9wavefront6targetE1EEEvT1_,comdat
.Lfunc_end3615:
	.size	_ZN7rocprim17ROCPRIM_400000_NS6detail17trampoline_kernelINS0_14default_configENS1_20scan_config_selectorItEEZZNS1_9scan_implILNS1_25lookback_scan_determinismE0ELb0ELb0ES3_N6thrust23THRUST_200600_302600_NS6detail15normal_iteratorINS9_10device_ptrItEEEENS9_16discard_iteratorINS9_11use_defaultEEEt11max_functorItEtEEDaPvRmT3_T4_T5_mT6_P12ihipStream_tbENKUlT_T0_E_clISt17integral_constantIbLb1EESW_IbLb0EEEEDaSS_ST_EUlSS_E0_NS1_11comp_targetILNS1_3genE2ELNS1_11target_archE906ELNS1_3gpuE6ELNS1_3repE0EEENS1_30default_config_static_selectorELNS0_4arch9wavefront6targetE1EEEvT1_, .Lfunc_end3615-_ZN7rocprim17ROCPRIM_400000_NS6detail17trampoline_kernelINS0_14default_configENS1_20scan_config_selectorItEEZZNS1_9scan_implILNS1_25lookback_scan_determinismE0ELb0ELb0ES3_N6thrust23THRUST_200600_302600_NS6detail15normal_iteratorINS9_10device_ptrItEEEENS9_16discard_iteratorINS9_11use_defaultEEEt11max_functorItEtEEDaPvRmT3_T4_T5_mT6_P12ihipStream_tbENKUlT_T0_E_clISt17integral_constantIbLb1EESW_IbLb0EEEEDaSS_ST_EUlSS_E0_NS1_11comp_targetILNS1_3genE2ELNS1_11target_archE906ELNS1_3gpuE6ELNS1_3repE0EEENS1_30default_config_static_selectorELNS0_4arch9wavefront6targetE1EEEvT1_
                                        ; -- End function
	.section	.AMDGPU.csdata,"",@progbits
; Kernel info:
; codeLenInByte = 0
; NumSgprs: 4
; NumVgprs: 0
; NumAgprs: 0
; TotalNumVgprs: 0
; ScratchSize: 0
; MemoryBound: 0
; FloatMode: 240
; IeeeMode: 1
; LDSByteSize: 0 bytes/workgroup (compile time only)
; SGPRBlocks: 0
; VGPRBlocks: 0
; NumSGPRsForWavesPerEU: 4
; NumVGPRsForWavesPerEU: 1
; AccumOffset: 4
; Occupancy: 8
; WaveLimiterHint : 0
; COMPUTE_PGM_RSRC2:SCRATCH_EN: 0
; COMPUTE_PGM_RSRC2:USER_SGPR: 6
; COMPUTE_PGM_RSRC2:TRAP_HANDLER: 0
; COMPUTE_PGM_RSRC2:TGID_X_EN: 1
; COMPUTE_PGM_RSRC2:TGID_Y_EN: 0
; COMPUTE_PGM_RSRC2:TGID_Z_EN: 0
; COMPUTE_PGM_RSRC2:TIDIG_COMP_CNT: 0
; COMPUTE_PGM_RSRC3_GFX90A:ACCUM_OFFSET: 0
; COMPUTE_PGM_RSRC3_GFX90A:TG_SPLIT: 0
	.section	.text._ZN7rocprim17ROCPRIM_400000_NS6detail17trampoline_kernelINS0_14default_configENS1_20scan_config_selectorItEEZZNS1_9scan_implILNS1_25lookback_scan_determinismE0ELb0ELb0ES3_N6thrust23THRUST_200600_302600_NS6detail15normal_iteratorINS9_10device_ptrItEEEENS9_16discard_iteratorINS9_11use_defaultEEEt11max_functorItEtEEDaPvRmT3_T4_T5_mT6_P12ihipStream_tbENKUlT_T0_E_clISt17integral_constantIbLb1EESW_IbLb0EEEEDaSS_ST_EUlSS_E0_NS1_11comp_targetILNS1_3genE10ELNS1_11target_archE1201ELNS1_3gpuE5ELNS1_3repE0EEENS1_30default_config_static_selectorELNS0_4arch9wavefront6targetE1EEEvT1_,"axG",@progbits,_ZN7rocprim17ROCPRIM_400000_NS6detail17trampoline_kernelINS0_14default_configENS1_20scan_config_selectorItEEZZNS1_9scan_implILNS1_25lookback_scan_determinismE0ELb0ELb0ES3_N6thrust23THRUST_200600_302600_NS6detail15normal_iteratorINS9_10device_ptrItEEEENS9_16discard_iteratorINS9_11use_defaultEEEt11max_functorItEtEEDaPvRmT3_T4_T5_mT6_P12ihipStream_tbENKUlT_T0_E_clISt17integral_constantIbLb1EESW_IbLb0EEEEDaSS_ST_EUlSS_E0_NS1_11comp_targetILNS1_3genE10ELNS1_11target_archE1201ELNS1_3gpuE5ELNS1_3repE0EEENS1_30default_config_static_selectorELNS0_4arch9wavefront6targetE1EEEvT1_,comdat
	.protected	_ZN7rocprim17ROCPRIM_400000_NS6detail17trampoline_kernelINS0_14default_configENS1_20scan_config_selectorItEEZZNS1_9scan_implILNS1_25lookback_scan_determinismE0ELb0ELb0ES3_N6thrust23THRUST_200600_302600_NS6detail15normal_iteratorINS9_10device_ptrItEEEENS9_16discard_iteratorINS9_11use_defaultEEEt11max_functorItEtEEDaPvRmT3_T4_T5_mT6_P12ihipStream_tbENKUlT_T0_E_clISt17integral_constantIbLb1EESW_IbLb0EEEEDaSS_ST_EUlSS_E0_NS1_11comp_targetILNS1_3genE10ELNS1_11target_archE1201ELNS1_3gpuE5ELNS1_3repE0EEENS1_30default_config_static_selectorELNS0_4arch9wavefront6targetE1EEEvT1_ ; -- Begin function _ZN7rocprim17ROCPRIM_400000_NS6detail17trampoline_kernelINS0_14default_configENS1_20scan_config_selectorItEEZZNS1_9scan_implILNS1_25lookback_scan_determinismE0ELb0ELb0ES3_N6thrust23THRUST_200600_302600_NS6detail15normal_iteratorINS9_10device_ptrItEEEENS9_16discard_iteratorINS9_11use_defaultEEEt11max_functorItEtEEDaPvRmT3_T4_T5_mT6_P12ihipStream_tbENKUlT_T0_E_clISt17integral_constantIbLb1EESW_IbLb0EEEEDaSS_ST_EUlSS_E0_NS1_11comp_targetILNS1_3genE10ELNS1_11target_archE1201ELNS1_3gpuE5ELNS1_3repE0EEENS1_30default_config_static_selectorELNS0_4arch9wavefront6targetE1EEEvT1_
	.globl	_ZN7rocprim17ROCPRIM_400000_NS6detail17trampoline_kernelINS0_14default_configENS1_20scan_config_selectorItEEZZNS1_9scan_implILNS1_25lookback_scan_determinismE0ELb0ELb0ES3_N6thrust23THRUST_200600_302600_NS6detail15normal_iteratorINS9_10device_ptrItEEEENS9_16discard_iteratorINS9_11use_defaultEEEt11max_functorItEtEEDaPvRmT3_T4_T5_mT6_P12ihipStream_tbENKUlT_T0_E_clISt17integral_constantIbLb1EESW_IbLb0EEEEDaSS_ST_EUlSS_E0_NS1_11comp_targetILNS1_3genE10ELNS1_11target_archE1201ELNS1_3gpuE5ELNS1_3repE0EEENS1_30default_config_static_selectorELNS0_4arch9wavefront6targetE1EEEvT1_
	.p2align	8
	.type	_ZN7rocprim17ROCPRIM_400000_NS6detail17trampoline_kernelINS0_14default_configENS1_20scan_config_selectorItEEZZNS1_9scan_implILNS1_25lookback_scan_determinismE0ELb0ELb0ES3_N6thrust23THRUST_200600_302600_NS6detail15normal_iteratorINS9_10device_ptrItEEEENS9_16discard_iteratorINS9_11use_defaultEEEt11max_functorItEtEEDaPvRmT3_T4_T5_mT6_P12ihipStream_tbENKUlT_T0_E_clISt17integral_constantIbLb1EESW_IbLb0EEEEDaSS_ST_EUlSS_E0_NS1_11comp_targetILNS1_3genE10ELNS1_11target_archE1201ELNS1_3gpuE5ELNS1_3repE0EEENS1_30default_config_static_selectorELNS0_4arch9wavefront6targetE1EEEvT1_,@function
_ZN7rocprim17ROCPRIM_400000_NS6detail17trampoline_kernelINS0_14default_configENS1_20scan_config_selectorItEEZZNS1_9scan_implILNS1_25lookback_scan_determinismE0ELb0ELb0ES3_N6thrust23THRUST_200600_302600_NS6detail15normal_iteratorINS9_10device_ptrItEEEENS9_16discard_iteratorINS9_11use_defaultEEEt11max_functorItEtEEDaPvRmT3_T4_T5_mT6_P12ihipStream_tbENKUlT_T0_E_clISt17integral_constantIbLb1EESW_IbLb0EEEEDaSS_ST_EUlSS_E0_NS1_11comp_targetILNS1_3genE10ELNS1_11target_archE1201ELNS1_3gpuE5ELNS1_3repE0EEENS1_30default_config_static_selectorELNS0_4arch9wavefront6targetE1EEEvT1_: ; @_ZN7rocprim17ROCPRIM_400000_NS6detail17trampoline_kernelINS0_14default_configENS1_20scan_config_selectorItEEZZNS1_9scan_implILNS1_25lookback_scan_determinismE0ELb0ELb0ES3_N6thrust23THRUST_200600_302600_NS6detail15normal_iteratorINS9_10device_ptrItEEEENS9_16discard_iteratorINS9_11use_defaultEEEt11max_functorItEtEEDaPvRmT3_T4_T5_mT6_P12ihipStream_tbENKUlT_T0_E_clISt17integral_constantIbLb1EESW_IbLb0EEEEDaSS_ST_EUlSS_E0_NS1_11comp_targetILNS1_3genE10ELNS1_11target_archE1201ELNS1_3gpuE5ELNS1_3repE0EEENS1_30default_config_static_selectorELNS0_4arch9wavefront6targetE1EEEvT1_
; %bb.0:
	.section	.rodata,"a",@progbits
	.p2align	6, 0x0
	.amdhsa_kernel _ZN7rocprim17ROCPRIM_400000_NS6detail17trampoline_kernelINS0_14default_configENS1_20scan_config_selectorItEEZZNS1_9scan_implILNS1_25lookback_scan_determinismE0ELb0ELb0ES3_N6thrust23THRUST_200600_302600_NS6detail15normal_iteratorINS9_10device_ptrItEEEENS9_16discard_iteratorINS9_11use_defaultEEEt11max_functorItEtEEDaPvRmT3_T4_T5_mT6_P12ihipStream_tbENKUlT_T0_E_clISt17integral_constantIbLb1EESW_IbLb0EEEEDaSS_ST_EUlSS_E0_NS1_11comp_targetILNS1_3genE10ELNS1_11target_archE1201ELNS1_3gpuE5ELNS1_3repE0EEENS1_30default_config_static_selectorELNS0_4arch9wavefront6targetE1EEEvT1_
		.amdhsa_group_segment_fixed_size 0
		.amdhsa_private_segment_fixed_size 0
		.amdhsa_kernarg_size 40
		.amdhsa_user_sgpr_count 6
		.amdhsa_user_sgpr_private_segment_buffer 1
		.amdhsa_user_sgpr_dispatch_ptr 0
		.amdhsa_user_sgpr_queue_ptr 0
		.amdhsa_user_sgpr_kernarg_segment_ptr 1
		.amdhsa_user_sgpr_dispatch_id 0
		.amdhsa_user_sgpr_flat_scratch_init 0
		.amdhsa_user_sgpr_kernarg_preload_length 0
		.amdhsa_user_sgpr_kernarg_preload_offset 0
		.amdhsa_user_sgpr_private_segment_size 0
		.amdhsa_uses_dynamic_stack 0
		.amdhsa_system_sgpr_private_segment_wavefront_offset 0
		.amdhsa_system_sgpr_workgroup_id_x 1
		.amdhsa_system_sgpr_workgroup_id_y 0
		.amdhsa_system_sgpr_workgroup_id_z 0
		.amdhsa_system_sgpr_workgroup_info 0
		.amdhsa_system_vgpr_workitem_id 0
		.amdhsa_next_free_vgpr 1
		.amdhsa_next_free_sgpr 0
		.amdhsa_accum_offset 4
		.amdhsa_reserve_vcc 0
		.amdhsa_reserve_flat_scratch 0
		.amdhsa_float_round_mode_32 0
		.amdhsa_float_round_mode_16_64 0
		.amdhsa_float_denorm_mode_32 3
		.amdhsa_float_denorm_mode_16_64 3
		.amdhsa_dx10_clamp 1
		.amdhsa_ieee_mode 1
		.amdhsa_fp16_overflow 0
		.amdhsa_tg_split 0
		.amdhsa_exception_fp_ieee_invalid_op 0
		.amdhsa_exception_fp_denorm_src 0
		.amdhsa_exception_fp_ieee_div_zero 0
		.amdhsa_exception_fp_ieee_overflow 0
		.amdhsa_exception_fp_ieee_underflow 0
		.amdhsa_exception_fp_ieee_inexact 0
		.amdhsa_exception_int_div_zero 0
	.end_amdhsa_kernel
	.section	.text._ZN7rocprim17ROCPRIM_400000_NS6detail17trampoline_kernelINS0_14default_configENS1_20scan_config_selectorItEEZZNS1_9scan_implILNS1_25lookback_scan_determinismE0ELb0ELb0ES3_N6thrust23THRUST_200600_302600_NS6detail15normal_iteratorINS9_10device_ptrItEEEENS9_16discard_iteratorINS9_11use_defaultEEEt11max_functorItEtEEDaPvRmT3_T4_T5_mT6_P12ihipStream_tbENKUlT_T0_E_clISt17integral_constantIbLb1EESW_IbLb0EEEEDaSS_ST_EUlSS_E0_NS1_11comp_targetILNS1_3genE10ELNS1_11target_archE1201ELNS1_3gpuE5ELNS1_3repE0EEENS1_30default_config_static_selectorELNS0_4arch9wavefront6targetE1EEEvT1_,"axG",@progbits,_ZN7rocprim17ROCPRIM_400000_NS6detail17trampoline_kernelINS0_14default_configENS1_20scan_config_selectorItEEZZNS1_9scan_implILNS1_25lookback_scan_determinismE0ELb0ELb0ES3_N6thrust23THRUST_200600_302600_NS6detail15normal_iteratorINS9_10device_ptrItEEEENS9_16discard_iteratorINS9_11use_defaultEEEt11max_functorItEtEEDaPvRmT3_T4_T5_mT6_P12ihipStream_tbENKUlT_T0_E_clISt17integral_constantIbLb1EESW_IbLb0EEEEDaSS_ST_EUlSS_E0_NS1_11comp_targetILNS1_3genE10ELNS1_11target_archE1201ELNS1_3gpuE5ELNS1_3repE0EEENS1_30default_config_static_selectorELNS0_4arch9wavefront6targetE1EEEvT1_,comdat
.Lfunc_end3616:
	.size	_ZN7rocprim17ROCPRIM_400000_NS6detail17trampoline_kernelINS0_14default_configENS1_20scan_config_selectorItEEZZNS1_9scan_implILNS1_25lookback_scan_determinismE0ELb0ELb0ES3_N6thrust23THRUST_200600_302600_NS6detail15normal_iteratorINS9_10device_ptrItEEEENS9_16discard_iteratorINS9_11use_defaultEEEt11max_functorItEtEEDaPvRmT3_T4_T5_mT6_P12ihipStream_tbENKUlT_T0_E_clISt17integral_constantIbLb1EESW_IbLb0EEEEDaSS_ST_EUlSS_E0_NS1_11comp_targetILNS1_3genE10ELNS1_11target_archE1201ELNS1_3gpuE5ELNS1_3repE0EEENS1_30default_config_static_selectorELNS0_4arch9wavefront6targetE1EEEvT1_, .Lfunc_end3616-_ZN7rocprim17ROCPRIM_400000_NS6detail17trampoline_kernelINS0_14default_configENS1_20scan_config_selectorItEEZZNS1_9scan_implILNS1_25lookback_scan_determinismE0ELb0ELb0ES3_N6thrust23THRUST_200600_302600_NS6detail15normal_iteratorINS9_10device_ptrItEEEENS9_16discard_iteratorINS9_11use_defaultEEEt11max_functorItEtEEDaPvRmT3_T4_T5_mT6_P12ihipStream_tbENKUlT_T0_E_clISt17integral_constantIbLb1EESW_IbLb0EEEEDaSS_ST_EUlSS_E0_NS1_11comp_targetILNS1_3genE10ELNS1_11target_archE1201ELNS1_3gpuE5ELNS1_3repE0EEENS1_30default_config_static_selectorELNS0_4arch9wavefront6targetE1EEEvT1_
                                        ; -- End function
	.section	.AMDGPU.csdata,"",@progbits
; Kernel info:
; codeLenInByte = 0
; NumSgprs: 4
; NumVgprs: 0
; NumAgprs: 0
; TotalNumVgprs: 0
; ScratchSize: 0
; MemoryBound: 0
; FloatMode: 240
; IeeeMode: 1
; LDSByteSize: 0 bytes/workgroup (compile time only)
; SGPRBlocks: 0
; VGPRBlocks: 0
; NumSGPRsForWavesPerEU: 4
; NumVGPRsForWavesPerEU: 1
; AccumOffset: 4
; Occupancy: 8
; WaveLimiterHint : 0
; COMPUTE_PGM_RSRC2:SCRATCH_EN: 0
; COMPUTE_PGM_RSRC2:USER_SGPR: 6
; COMPUTE_PGM_RSRC2:TRAP_HANDLER: 0
; COMPUTE_PGM_RSRC2:TGID_X_EN: 1
; COMPUTE_PGM_RSRC2:TGID_Y_EN: 0
; COMPUTE_PGM_RSRC2:TGID_Z_EN: 0
; COMPUTE_PGM_RSRC2:TIDIG_COMP_CNT: 0
; COMPUTE_PGM_RSRC3_GFX90A:ACCUM_OFFSET: 0
; COMPUTE_PGM_RSRC3_GFX90A:TG_SPLIT: 0
	.section	.text._ZN7rocprim17ROCPRIM_400000_NS6detail17trampoline_kernelINS0_14default_configENS1_20scan_config_selectorItEEZZNS1_9scan_implILNS1_25lookback_scan_determinismE0ELb0ELb0ES3_N6thrust23THRUST_200600_302600_NS6detail15normal_iteratorINS9_10device_ptrItEEEENS9_16discard_iteratorINS9_11use_defaultEEEt11max_functorItEtEEDaPvRmT3_T4_T5_mT6_P12ihipStream_tbENKUlT_T0_E_clISt17integral_constantIbLb1EESW_IbLb0EEEEDaSS_ST_EUlSS_E0_NS1_11comp_targetILNS1_3genE10ELNS1_11target_archE1200ELNS1_3gpuE4ELNS1_3repE0EEENS1_30default_config_static_selectorELNS0_4arch9wavefront6targetE1EEEvT1_,"axG",@progbits,_ZN7rocprim17ROCPRIM_400000_NS6detail17trampoline_kernelINS0_14default_configENS1_20scan_config_selectorItEEZZNS1_9scan_implILNS1_25lookback_scan_determinismE0ELb0ELb0ES3_N6thrust23THRUST_200600_302600_NS6detail15normal_iteratorINS9_10device_ptrItEEEENS9_16discard_iteratorINS9_11use_defaultEEEt11max_functorItEtEEDaPvRmT3_T4_T5_mT6_P12ihipStream_tbENKUlT_T0_E_clISt17integral_constantIbLb1EESW_IbLb0EEEEDaSS_ST_EUlSS_E0_NS1_11comp_targetILNS1_3genE10ELNS1_11target_archE1200ELNS1_3gpuE4ELNS1_3repE0EEENS1_30default_config_static_selectorELNS0_4arch9wavefront6targetE1EEEvT1_,comdat
	.protected	_ZN7rocprim17ROCPRIM_400000_NS6detail17trampoline_kernelINS0_14default_configENS1_20scan_config_selectorItEEZZNS1_9scan_implILNS1_25lookback_scan_determinismE0ELb0ELb0ES3_N6thrust23THRUST_200600_302600_NS6detail15normal_iteratorINS9_10device_ptrItEEEENS9_16discard_iteratorINS9_11use_defaultEEEt11max_functorItEtEEDaPvRmT3_T4_T5_mT6_P12ihipStream_tbENKUlT_T0_E_clISt17integral_constantIbLb1EESW_IbLb0EEEEDaSS_ST_EUlSS_E0_NS1_11comp_targetILNS1_3genE10ELNS1_11target_archE1200ELNS1_3gpuE4ELNS1_3repE0EEENS1_30default_config_static_selectorELNS0_4arch9wavefront6targetE1EEEvT1_ ; -- Begin function _ZN7rocprim17ROCPRIM_400000_NS6detail17trampoline_kernelINS0_14default_configENS1_20scan_config_selectorItEEZZNS1_9scan_implILNS1_25lookback_scan_determinismE0ELb0ELb0ES3_N6thrust23THRUST_200600_302600_NS6detail15normal_iteratorINS9_10device_ptrItEEEENS9_16discard_iteratorINS9_11use_defaultEEEt11max_functorItEtEEDaPvRmT3_T4_T5_mT6_P12ihipStream_tbENKUlT_T0_E_clISt17integral_constantIbLb1EESW_IbLb0EEEEDaSS_ST_EUlSS_E0_NS1_11comp_targetILNS1_3genE10ELNS1_11target_archE1200ELNS1_3gpuE4ELNS1_3repE0EEENS1_30default_config_static_selectorELNS0_4arch9wavefront6targetE1EEEvT1_
	.globl	_ZN7rocprim17ROCPRIM_400000_NS6detail17trampoline_kernelINS0_14default_configENS1_20scan_config_selectorItEEZZNS1_9scan_implILNS1_25lookback_scan_determinismE0ELb0ELb0ES3_N6thrust23THRUST_200600_302600_NS6detail15normal_iteratorINS9_10device_ptrItEEEENS9_16discard_iteratorINS9_11use_defaultEEEt11max_functorItEtEEDaPvRmT3_T4_T5_mT6_P12ihipStream_tbENKUlT_T0_E_clISt17integral_constantIbLb1EESW_IbLb0EEEEDaSS_ST_EUlSS_E0_NS1_11comp_targetILNS1_3genE10ELNS1_11target_archE1200ELNS1_3gpuE4ELNS1_3repE0EEENS1_30default_config_static_selectorELNS0_4arch9wavefront6targetE1EEEvT1_
	.p2align	8
	.type	_ZN7rocprim17ROCPRIM_400000_NS6detail17trampoline_kernelINS0_14default_configENS1_20scan_config_selectorItEEZZNS1_9scan_implILNS1_25lookback_scan_determinismE0ELb0ELb0ES3_N6thrust23THRUST_200600_302600_NS6detail15normal_iteratorINS9_10device_ptrItEEEENS9_16discard_iteratorINS9_11use_defaultEEEt11max_functorItEtEEDaPvRmT3_T4_T5_mT6_P12ihipStream_tbENKUlT_T0_E_clISt17integral_constantIbLb1EESW_IbLb0EEEEDaSS_ST_EUlSS_E0_NS1_11comp_targetILNS1_3genE10ELNS1_11target_archE1200ELNS1_3gpuE4ELNS1_3repE0EEENS1_30default_config_static_selectorELNS0_4arch9wavefront6targetE1EEEvT1_,@function
_ZN7rocprim17ROCPRIM_400000_NS6detail17trampoline_kernelINS0_14default_configENS1_20scan_config_selectorItEEZZNS1_9scan_implILNS1_25lookback_scan_determinismE0ELb0ELb0ES3_N6thrust23THRUST_200600_302600_NS6detail15normal_iteratorINS9_10device_ptrItEEEENS9_16discard_iteratorINS9_11use_defaultEEEt11max_functorItEtEEDaPvRmT3_T4_T5_mT6_P12ihipStream_tbENKUlT_T0_E_clISt17integral_constantIbLb1EESW_IbLb0EEEEDaSS_ST_EUlSS_E0_NS1_11comp_targetILNS1_3genE10ELNS1_11target_archE1200ELNS1_3gpuE4ELNS1_3repE0EEENS1_30default_config_static_selectorELNS0_4arch9wavefront6targetE1EEEvT1_: ; @_ZN7rocprim17ROCPRIM_400000_NS6detail17trampoline_kernelINS0_14default_configENS1_20scan_config_selectorItEEZZNS1_9scan_implILNS1_25lookback_scan_determinismE0ELb0ELb0ES3_N6thrust23THRUST_200600_302600_NS6detail15normal_iteratorINS9_10device_ptrItEEEENS9_16discard_iteratorINS9_11use_defaultEEEt11max_functorItEtEEDaPvRmT3_T4_T5_mT6_P12ihipStream_tbENKUlT_T0_E_clISt17integral_constantIbLb1EESW_IbLb0EEEEDaSS_ST_EUlSS_E0_NS1_11comp_targetILNS1_3genE10ELNS1_11target_archE1200ELNS1_3gpuE4ELNS1_3repE0EEENS1_30default_config_static_selectorELNS0_4arch9wavefront6targetE1EEEvT1_
; %bb.0:
	.section	.rodata,"a",@progbits
	.p2align	6, 0x0
	.amdhsa_kernel _ZN7rocprim17ROCPRIM_400000_NS6detail17trampoline_kernelINS0_14default_configENS1_20scan_config_selectorItEEZZNS1_9scan_implILNS1_25lookback_scan_determinismE0ELb0ELb0ES3_N6thrust23THRUST_200600_302600_NS6detail15normal_iteratorINS9_10device_ptrItEEEENS9_16discard_iteratorINS9_11use_defaultEEEt11max_functorItEtEEDaPvRmT3_T4_T5_mT6_P12ihipStream_tbENKUlT_T0_E_clISt17integral_constantIbLb1EESW_IbLb0EEEEDaSS_ST_EUlSS_E0_NS1_11comp_targetILNS1_3genE10ELNS1_11target_archE1200ELNS1_3gpuE4ELNS1_3repE0EEENS1_30default_config_static_selectorELNS0_4arch9wavefront6targetE1EEEvT1_
		.amdhsa_group_segment_fixed_size 0
		.amdhsa_private_segment_fixed_size 0
		.amdhsa_kernarg_size 40
		.amdhsa_user_sgpr_count 6
		.amdhsa_user_sgpr_private_segment_buffer 1
		.amdhsa_user_sgpr_dispatch_ptr 0
		.amdhsa_user_sgpr_queue_ptr 0
		.amdhsa_user_sgpr_kernarg_segment_ptr 1
		.amdhsa_user_sgpr_dispatch_id 0
		.amdhsa_user_sgpr_flat_scratch_init 0
		.amdhsa_user_sgpr_kernarg_preload_length 0
		.amdhsa_user_sgpr_kernarg_preload_offset 0
		.amdhsa_user_sgpr_private_segment_size 0
		.amdhsa_uses_dynamic_stack 0
		.amdhsa_system_sgpr_private_segment_wavefront_offset 0
		.amdhsa_system_sgpr_workgroup_id_x 1
		.amdhsa_system_sgpr_workgroup_id_y 0
		.amdhsa_system_sgpr_workgroup_id_z 0
		.amdhsa_system_sgpr_workgroup_info 0
		.amdhsa_system_vgpr_workitem_id 0
		.amdhsa_next_free_vgpr 1
		.amdhsa_next_free_sgpr 0
		.amdhsa_accum_offset 4
		.amdhsa_reserve_vcc 0
		.amdhsa_reserve_flat_scratch 0
		.amdhsa_float_round_mode_32 0
		.amdhsa_float_round_mode_16_64 0
		.amdhsa_float_denorm_mode_32 3
		.amdhsa_float_denorm_mode_16_64 3
		.amdhsa_dx10_clamp 1
		.amdhsa_ieee_mode 1
		.amdhsa_fp16_overflow 0
		.amdhsa_tg_split 0
		.amdhsa_exception_fp_ieee_invalid_op 0
		.amdhsa_exception_fp_denorm_src 0
		.amdhsa_exception_fp_ieee_div_zero 0
		.amdhsa_exception_fp_ieee_overflow 0
		.amdhsa_exception_fp_ieee_underflow 0
		.amdhsa_exception_fp_ieee_inexact 0
		.amdhsa_exception_int_div_zero 0
	.end_amdhsa_kernel
	.section	.text._ZN7rocprim17ROCPRIM_400000_NS6detail17trampoline_kernelINS0_14default_configENS1_20scan_config_selectorItEEZZNS1_9scan_implILNS1_25lookback_scan_determinismE0ELb0ELb0ES3_N6thrust23THRUST_200600_302600_NS6detail15normal_iteratorINS9_10device_ptrItEEEENS9_16discard_iteratorINS9_11use_defaultEEEt11max_functorItEtEEDaPvRmT3_T4_T5_mT6_P12ihipStream_tbENKUlT_T0_E_clISt17integral_constantIbLb1EESW_IbLb0EEEEDaSS_ST_EUlSS_E0_NS1_11comp_targetILNS1_3genE10ELNS1_11target_archE1200ELNS1_3gpuE4ELNS1_3repE0EEENS1_30default_config_static_selectorELNS0_4arch9wavefront6targetE1EEEvT1_,"axG",@progbits,_ZN7rocprim17ROCPRIM_400000_NS6detail17trampoline_kernelINS0_14default_configENS1_20scan_config_selectorItEEZZNS1_9scan_implILNS1_25lookback_scan_determinismE0ELb0ELb0ES3_N6thrust23THRUST_200600_302600_NS6detail15normal_iteratorINS9_10device_ptrItEEEENS9_16discard_iteratorINS9_11use_defaultEEEt11max_functorItEtEEDaPvRmT3_T4_T5_mT6_P12ihipStream_tbENKUlT_T0_E_clISt17integral_constantIbLb1EESW_IbLb0EEEEDaSS_ST_EUlSS_E0_NS1_11comp_targetILNS1_3genE10ELNS1_11target_archE1200ELNS1_3gpuE4ELNS1_3repE0EEENS1_30default_config_static_selectorELNS0_4arch9wavefront6targetE1EEEvT1_,comdat
.Lfunc_end3617:
	.size	_ZN7rocprim17ROCPRIM_400000_NS6detail17trampoline_kernelINS0_14default_configENS1_20scan_config_selectorItEEZZNS1_9scan_implILNS1_25lookback_scan_determinismE0ELb0ELb0ES3_N6thrust23THRUST_200600_302600_NS6detail15normal_iteratorINS9_10device_ptrItEEEENS9_16discard_iteratorINS9_11use_defaultEEEt11max_functorItEtEEDaPvRmT3_T4_T5_mT6_P12ihipStream_tbENKUlT_T0_E_clISt17integral_constantIbLb1EESW_IbLb0EEEEDaSS_ST_EUlSS_E0_NS1_11comp_targetILNS1_3genE10ELNS1_11target_archE1200ELNS1_3gpuE4ELNS1_3repE0EEENS1_30default_config_static_selectorELNS0_4arch9wavefront6targetE1EEEvT1_, .Lfunc_end3617-_ZN7rocprim17ROCPRIM_400000_NS6detail17trampoline_kernelINS0_14default_configENS1_20scan_config_selectorItEEZZNS1_9scan_implILNS1_25lookback_scan_determinismE0ELb0ELb0ES3_N6thrust23THRUST_200600_302600_NS6detail15normal_iteratorINS9_10device_ptrItEEEENS9_16discard_iteratorINS9_11use_defaultEEEt11max_functorItEtEEDaPvRmT3_T4_T5_mT6_P12ihipStream_tbENKUlT_T0_E_clISt17integral_constantIbLb1EESW_IbLb0EEEEDaSS_ST_EUlSS_E0_NS1_11comp_targetILNS1_3genE10ELNS1_11target_archE1200ELNS1_3gpuE4ELNS1_3repE0EEENS1_30default_config_static_selectorELNS0_4arch9wavefront6targetE1EEEvT1_
                                        ; -- End function
	.section	.AMDGPU.csdata,"",@progbits
; Kernel info:
; codeLenInByte = 0
; NumSgprs: 4
; NumVgprs: 0
; NumAgprs: 0
; TotalNumVgprs: 0
; ScratchSize: 0
; MemoryBound: 0
; FloatMode: 240
; IeeeMode: 1
; LDSByteSize: 0 bytes/workgroup (compile time only)
; SGPRBlocks: 0
; VGPRBlocks: 0
; NumSGPRsForWavesPerEU: 4
; NumVGPRsForWavesPerEU: 1
; AccumOffset: 4
; Occupancy: 8
; WaveLimiterHint : 0
; COMPUTE_PGM_RSRC2:SCRATCH_EN: 0
; COMPUTE_PGM_RSRC2:USER_SGPR: 6
; COMPUTE_PGM_RSRC2:TRAP_HANDLER: 0
; COMPUTE_PGM_RSRC2:TGID_X_EN: 1
; COMPUTE_PGM_RSRC2:TGID_Y_EN: 0
; COMPUTE_PGM_RSRC2:TGID_Z_EN: 0
; COMPUTE_PGM_RSRC2:TIDIG_COMP_CNT: 0
; COMPUTE_PGM_RSRC3_GFX90A:ACCUM_OFFSET: 0
; COMPUTE_PGM_RSRC3_GFX90A:TG_SPLIT: 0
	.section	.text._ZN7rocprim17ROCPRIM_400000_NS6detail17trampoline_kernelINS0_14default_configENS1_20scan_config_selectorItEEZZNS1_9scan_implILNS1_25lookback_scan_determinismE0ELb0ELb0ES3_N6thrust23THRUST_200600_302600_NS6detail15normal_iteratorINS9_10device_ptrItEEEENS9_16discard_iteratorINS9_11use_defaultEEEt11max_functorItEtEEDaPvRmT3_T4_T5_mT6_P12ihipStream_tbENKUlT_T0_E_clISt17integral_constantIbLb1EESW_IbLb0EEEEDaSS_ST_EUlSS_E0_NS1_11comp_targetILNS1_3genE9ELNS1_11target_archE1100ELNS1_3gpuE3ELNS1_3repE0EEENS1_30default_config_static_selectorELNS0_4arch9wavefront6targetE1EEEvT1_,"axG",@progbits,_ZN7rocprim17ROCPRIM_400000_NS6detail17trampoline_kernelINS0_14default_configENS1_20scan_config_selectorItEEZZNS1_9scan_implILNS1_25lookback_scan_determinismE0ELb0ELb0ES3_N6thrust23THRUST_200600_302600_NS6detail15normal_iteratorINS9_10device_ptrItEEEENS9_16discard_iteratorINS9_11use_defaultEEEt11max_functorItEtEEDaPvRmT3_T4_T5_mT6_P12ihipStream_tbENKUlT_T0_E_clISt17integral_constantIbLb1EESW_IbLb0EEEEDaSS_ST_EUlSS_E0_NS1_11comp_targetILNS1_3genE9ELNS1_11target_archE1100ELNS1_3gpuE3ELNS1_3repE0EEENS1_30default_config_static_selectorELNS0_4arch9wavefront6targetE1EEEvT1_,comdat
	.protected	_ZN7rocprim17ROCPRIM_400000_NS6detail17trampoline_kernelINS0_14default_configENS1_20scan_config_selectorItEEZZNS1_9scan_implILNS1_25lookback_scan_determinismE0ELb0ELb0ES3_N6thrust23THRUST_200600_302600_NS6detail15normal_iteratorINS9_10device_ptrItEEEENS9_16discard_iteratorINS9_11use_defaultEEEt11max_functorItEtEEDaPvRmT3_T4_T5_mT6_P12ihipStream_tbENKUlT_T0_E_clISt17integral_constantIbLb1EESW_IbLb0EEEEDaSS_ST_EUlSS_E0_NS1_11comp_targetILNS1_3genE9ELNS1_11target_archE1100ELNS1_3gpuE3ELNS1_3repE0EEENS1_30default_config_static_selectorELNS0_4arch9wavefront6targetE1EEEvT1_ ; -- Begin function _ZN7rocprim17ROCPRIM_400000_NS6detail17trampoline_kernelINS0_14default_configENS1_20scan_config_selectorItEEZZNS1_9scan_implILNS1_25lookback_scan_determinismE0ELb0ELb0ES3_N6thrust23THRUST_200600_302600_NS6detail15normal_iteratorINS9_10device_ptrItEEEENS9_16discard_iteratorINS9_11use_defaultEEEt11max_functorItEtEEDaPvRmT3_T4_T5_mT6_P12ihipStream_tbENKUlT_T0_E_clISt17integral_constantIbLb1EESW_IbLb0EEEEDaSS_ST_EUlSS_E0_NS1_11comp_targetILNS1_3genE9ELNS1_11target_archE1100ELNS1_3gpuE3ELNS1_3repE0EEENS1_30default_config_static_selectorELNS0_4arch9wavefront6targetE1EEEvT1_
	.globl	_ZN7rocprim17ROCPRIM_400000_NS6detail17trampoline_kernelINS0_14default_configENS1_20scan_config_selectorItEEZZNS1_9scan_implILNS1_25lookback_scan_determinismE0ELb0ELb0ES3_N6thrust23THRUST_200600_302600_NS6detail15normal_iteratorINS9_10device_ptrItEEEENS9_16discard_iteratorINS9_11use_defaultEEEt11max_functorItEtEEDaPvRmT3_T4_T5_mT6_P12ihipStream_tbENKUlT_T0_E_clISt17integral_constantIbLb1EESW_IbLb0EEEEDaSS_ST_EUlSS_E0_NS1_11comp_targetILNS1_3genE9ELNS1_11target_archE1100ELNS1_3gpuE3ELNS1_3repE0EEENS1_30default_config_static_selectorELNS0_4arch9wavefront6targetE1EEEvT1_
	.p2align	8
	.type	_ZN7rocprim17ROCPRIM_400000_NS6detail17trampoline_kernelINS0_14default_configENS1_20scan_config_selectorItEEZZNS1_9scan_implILNS1_25lookback_scan_determinismE0ELb0ELb0ES3_N6thrust23THRUST_200600_302600_NS6detail15normal_iteratorINS9_10device_ptrItEEEENS9_16discard_iteratorINS9_11use_defaultEEEt11max_functorItEtEEDaPvRmT3_T4_T5_mT6_P12ihipStream_tbENKUlT_T0_E_clISt17integral_constantIbLb1EESW_IbLb0EEEEDaSS_ST_EUlSS_E0_NS1_11comp_targetILNS1_3genE9ELNS1_11target_archE1100ELNS1_3gpuE3ELNS1_3repE0EEENS1_30default_config_static_selectorELNS0_4arch9wavefront6targetE1EEEvT1_,@function
_ZN7rocprim17ROCPRIM_400000_NS6detail17trampoline_kernelINS0_14default_configENS1_20scan_config_selectorItEEZZNS1_9scan_implILNS1_25lookback_scan_determinismE0ELb0ELb0ES3_N6thrust23THRUST_200600_302600_NS6detail15normal_iteratorINS9_10device_ptrItEEEENS9_16discard_iteratorINS9_11use_defaultEEEt11max_functorItEtEEDaPvRmT3_T4_T5_mT6_P12ihipStream_tbENKUlT_T0_E_clISt17integral_constantIbLb1EESW_IbLb0EEEEDaSS_ST_EUlSS_E0_NS1_11comp_targetILNS1_3genE9ELNS1_11target_archE1100ELNS1_3gpuE3ELNS1_3repE0EEENS1_30default_config_static_selectorELNS0_4arch9wavefront6targetE1EEEvT1_: ; @_ZN7rocprim17ROCPRIM_400000_NS6detail17trampoline_kernelINS0_14default_configENS1_20scan_config_selectorItEEZZNS1_9scan_implILNS1_25lookback_scan_determinismE0ELb0ELb0ES3_N6thrust23THRUST_200600_302600_NS6detail15normal_iteratorINS9_10device_ptrItEEEENS9_16discard_iteratorINS9_11use_defaultEEEt11max_functorItEtEEDaPvRmT3_T4_T5_mT6_P12ihipStream_tbENKUlT_T0_E_clISt17integral_constantIbLb1EESW_IbLb0EEEEDaSS_ST_EUlSS_E0_NS1_11comp_targetILNS1_3genE9ELNS1_11target_archE1100ELNS1_3gpuE3ELNS1_3repE0EEENS1_30default_config_static_selectorELNS0_4arch9wavefront6targetE1EEEvT1_
; %bb.0:
	.section	.rodata,"a",@progbits
	.p2align	6, 0x0
	.amdhsa_kernel _ZN7rocprim17ROCPRIM_400000_NS6detail17trampoline_kernelINS0_14default_configENS1_20scan_config_selectorItEEZZNS1_9scan_implILNS1_25lookback_scan_determinismE0ELb0ELb0ES3_N6thrust23THRUST_200600_302600_NS6detail15normal_iteratorINS9_10device_ptrItEEEENS9_16discard_iteratorINS9_11use_defaultEEEt11max_functorItEtEEDaPvRmT3_T4_T5_mT6_P12ihipStream_tbENKUlT_T0_E_clISt17integral_constantIbLb1EESW_IbLb0EEEEDaSS_ST_EUlSS_E0_NS1_11comp_targetILNS1_3genE9ELNS1_11target_archE1100ELNS1_3gpuE3ELNS1_3repE0EEENS1_30default_config_static_selectorELNS0_4arch9wavefront6targetE1EEEvT1_
		.amdhsa_group_segment_fixed_size 0
		.amdhsa_private_segment_fixed_size 0
		.amdhsa_kernarg_size 40
		.amdhsa_user_sgpr_count 6
		.amdhsa_user_sgpr_private_segment_buffer 1
		.amdhsa_user_sgpr_dispatch_ptr 0
		.amdhsa_user_sgpr_queue_ptr 0
		.amdhsa_user_sgpr_kernarg_segment_ptr 1
		.amdhsa_user_sgpr_dispatch_id 0
		.amdhsa_user_sgpr_flat_scratch_init 0
		.amdhsa_user_sgpr_kernarg_preload_length 0
		.amdhsa_user_sgpr_kernarg_preload_offset 0
		.amdhsa_user_sgpr_private_segment_size 0
		.amdhsa_uses_dynamic_stack 0
		.amdhsa_system_sgpr_private_segment_wavefront_offset 0
		.amdhsa_system_sgpr_workgroup_id_x 1
		.amdhsa_system_sgpr_workgroup_id_y 0
		.amdhsa_system_sgpr_workgroup_id_z 0
		.amdhsa_system_sgpr_workgroup_info 0
		.amdhsa_system_vgpr_workitem_id 0
		.amdhsa_next_free_vgpr 1
		.amdhsa_next_free_sgpr 0
		.amdhsa_accum_offset 4
		.amdhsa_reserve_vcc 0
		.amdhsa_reserve_flat_scratch 0
		.amdhsa_float_round_mode_32 0
		.amdhsa_float_round_mode_16_64 0
		.amdhsa_float_denorm_mode_32 3
		.amdhsa_float_denorm_mode_16_64 3
		.amdhsa_dx10_clamp 1
		.amdhsa_ieee_mode 1
		.amdhsa_fp16_overflow 0
		.amdhsa_tg_split 0
		.amdhsa_exception_fp_ieee_invalid_op 0
		.amdhsa_exception_fp_denorm_src 0
		.amdhsa_exception_fp_ieee_div_zero 0
		.amdhsa_exception_fp_ieee_overflow 0
		.amdhsa_exception_fp_ieee_underflow 0
		.amdhsa_exception_fp_ieee_inexact 0
		.amdhsa_exception_int_div_zero 0
	.end_amdhsa_kernel
	.section	.text._ZN7rocprim17ROCPRIM_400000_NS6detail17trampoline_kernelINS0_14default_configENS1_20scan_config_selectorItEEZZNS1_9scan_implILNS1_25lookback_scan_determinismE0ELb0ELb0ES3_N6thrust23THRUST_200600_302600_NS6detail15normal_iteratorINS9_10device_ptrItEEEENS9_16discard_iteratorINS9_11use_defaultEEEt11max_functorItEtEEDaPvRmT3_T4_T5_mT6_P12ihipStream_tbENKUlT_T0_E_clISt17integral_constantIbLb1EESW_IbLb0EEEEDaSS_ST_EUlSS_E0_NS1_11comp_targetILNS1_3genE9ELNS1_11target_archE1100ELNS1_3gpuE3ELNS1_3repE0EEENS1_30default_config_static_selectorELNS0_4arch9wavefront6targetE1EEEvT1_,"axG",@progbits,_ZN7rocprim17ROCPRIM_400000_NS6detail17trampoline_kernelINS0_14default_configENS1_20scan_config_selectorItEEZZNS1_9scan_implILNS1_25lookback_scan_determinismE0ELb0ELb0ES3_N6thrust23THRUST_200600_302600_NS6detail15normal_iteratorINS9_10device_ptrItEEEENS9_16discard_iteratorINS9_11use_defaultEEEt11max_functorItEtEEDaPvRmT3_T4_T5_mT6_P12ihipStream_tbENKUlT_T0_E_clISt17integral_constantIbLb1EESW_IbLb0EEEEDaSS_ST_EUlSS_E0_NS1_11comp_targetILNS1_3genE9ELNS1_11target_archE1100ELNS1_3gpuE3ELNS1_3repE0EEENS1_30default_config_static_selectorELNS0_4arch9wavefront6targetE1EEEvT1_,comdat
.Lfunc_end3618:
	.size	_ZN7rocprim17ROCPRIM_400000_NS6detail17trampoline_kernelINS0_14default_configENS1_20scan_config_selectorItEEZZNS1_9scan_implILNS1_25lookback_scan_determinismE0ELb0ELb0ES3_N6thrust23THRUST_200600_302600_NS6detail15normal_iteratorINS9_10device_ptrItEEEENS9_16discard_iteratorINS9_11use_defaultEEEt11max_functorItEtEEDaPvRmT3_T4_T5_mT6_P12ihipStream_tbENKUlT_T0_E_clISt17integral_constantIbLb1EESW_IbLb0EEEEDaSS_ST_EUlSS_E0_NS1_11comp_targetILNS1_3genE9ELNS1_11target_archE1100ELNS1_3gpuE3ELNS1_3repE0EEENS1_30default_config_static_selectorELNS0_4arch9wavefront6targetE1EEEvT1_, .Lfunc_end3618-_ZN7rocprim17ROCPRIM_400000_NS6detail17trampoline_kernelINS0_14default_configENS1_20scan_config_selectorItEEZZNS1_9scan_implILNS1_25lookback_scan_determinismE0ELb0ELb0ES3_N6thrust23THRUST_200600_302600_NS6detail15normal_iteratorINS9_10device_ptrItEEEENS9_16discard_iteratorINS9_11use_defaultEEEt11max_functorItEtEEDaPvRmT3_T4_T5_mT6_P12ihipStream_tbENKUlT_T0_E_clISt17integral_constantIbLb1EESW_IbLb0EEEEDaSS_ST_EUlSS_E0_NS1_11comp_targetILNS1_3genE9ELNS1_11target_archE1100ELNS1_3gpuE3ELNS1_3repE0EEENS1_30default_config_static_selectorELNS0_4arch9wavefront6targetE1EEEvT1_
                                        ; -- End function
	.section	.AMDGPU.csdata,"",@progbits
; Kernel info:
; codeLenInByte = 0
; NumSgprs: 4
; NumVgprs: 0
; NumAgprs: 0
; TotalNumVgprs: 0
; ScratchSize: 0
; MemoryBound: 0
; FloatMode: 240
; IeeeMode: 1
; LDSByteSize: 0 bytes/workgroup (compile time only)
; SGPRBlocks: 0
; VGPRBlocks: 0
; NumSGPRsForWavesPerEU: 4
; NumVGPRsForWavesPerEU: 1
; AccumOffset: 4
; Occupancy: 8
; WaveLimiterHint : 0
; COMPUTE_PGM_RSRC2:SCRATCH_EN: 0
; COMPUTE_PGM_RSRC2:USER_SGPR: 6
; COMPUTE_PGM_RSRC2:TRAP_HANDLER: 0
; COMPUTE_PGM_RSRC2:TGID_X_EN: 1
; COMPUTE_PGM_RSRC2:TGID_Y_EN: 0
; COMPUTE_PGM_RSRC2:TGID_Z_EN: 0
; COMPUTE_PGM_RSRC2:TIDIG_COMP_CNT: 0
; COMPUTE_PGM_RSRC3_GFX90A:ACCUM_OFFSET: 0
; COMPUTE_PGM_RSRC3_GFX90A:TG_SPLIT: 0
	.section	.text._ZN7rocprim17ROCPRIM_400000_NS6detail17trampoline_kernelINS0_14default_configENS1_20scan_config_selectorItEEZZNS1_9scan_implILNS1_25lookback_scan_determinismE0ELb0ELb0ES3_N6thrust23THRUST_200600_302600_NS6detail15normal_iteratorINS9_10device_ptrItEEEENS9_16discard_iteratorINS9_11use_defaultEEEt11max_functorItEtEEDaPvRmT3_T4_T5_mT6_P12ihipStream_tbENKUlT_T0_E_clISt17integral_constantIbLb1EESW_IbLb0EEEEDaSS_ST_EUlSS_E0_NS1_11comp_targetILNS1_3genE8ELNS1_11target_archE1030ELNS1_3gpuE2ELNS1_3repE0EEENS1_30default_config_static_selectorELNS0_4arch9wavefront6targetE1EEEvT1_,"axG",@progbits,_ZN7rocprim17ROCPRIM_400000_NS6detail17trampoline_kernelINS0_14default_configENS1_20scan_config_selectorItEEZZNS1_9scan_implILNS1_25lookback_scan_determinismE0ELb0ELb0ES3_N6thrust23THRUST_200600_302600_NS6detail15normal_iteratorINS9_10device_ptrItEEEENS9_16discard_iteratorINS9_11use_defaultEEEt11max_functorItEtEEDaPvRmT3_T4_T5_mT6_P12ihipStream_tbENKUlT_T0_E_clISt17integral_constantIbLb1EESW_IbLb0EEEEDaSS_ST_EUlSS_E0_NS1_11comp_targetILNS1_3genE8ELNS1_11target_archE1030ELNS1_3gpuE2ELNS1_3repE0EEENS1_30default_config_static_selectorELNS0_4arch9wavefront6targetE1EEEvT1_,comdat
	.protected	_ZN7rocprim17ROCPRIM_400000_NS6detail17trampoline_kernelINS0_14default_configENS1_20scan_config_selectorItEEZZNS1_9scan_implILNS1_25lookback_scan_determinismE0ELb0ELb0ES3_N6thrust23THRUST_200600_302600_NS6detail15normal_iteratorINS9_10device_ptrItEEEENS9_16discard_iteratorINS9_11use_defaultEEEt11max_functorItEtEEDaPvRmT3_T4_T5_mT6_P12ihipStream_tbENKUlT_T0_E_clISt17integral_constantIbLb1EESW_IbLb0EEEEDaSS_ST_EUlSS_E0_NS1_11comp_targetILNS1_3genE8ELNS1_11target_archE1030ELNS1_3gpuE2ELNS1_3repE0EEENS1_30default_config_static_selectorELNS0_4arch9wavefront6targetE1EEEvT1_ ; -- Begin function _ZN7rocprim17ROCPRIM_400000_NS6detail17trampoline_kernelINS0_14default_configENS1_20scan_config_selectorItEEZZNS1_9scan_implILNS1_25lookback_scan_determinismE0ELb0ELb0ES3_N6thrust23THRUST_200600_302600_NS6detail15normal_iteratorINS9_10device_ptrItEEEENS9_16discard_iteratorINS9_11use_defaultEEEt11max_functorItEtEEDaPvRmT3_T4_T5_mT6_P12ihipStream_tbENKUlT_T0_E_clISt17integral_constantIbLb1EESW_IbLb0EEEEDaSS_ST_EUlSS_E0_NS1_11comp_targetILNS1_3genE8ELNS1_11target_archE1030ELNS1_3gpuE2ELNS1_3repE0EEENS1_30default_config_static_selectorELNS0_4arch9wavefront6targetE1EEEvT1_
	.globl	_ZN7rocprim17ROCPRIM_400000_NS6detail17trampoline_kernelINS0_14default_configENS1_20scan_config_selectorItEEZZNS1_9scan_implILNS1_25lookback_scan_determinismE0ELb0ELb0ES3_N6thrust23THRUST_200600_302600_NS6detail15normal_iteratorINS9_10device_ptrItEEEENS9_16discard_iteratorINS9_11use_defaultEEEt11max_functorItEtEEDaPvRmT3_T4_T5_mT6_P12ihipStream_tbENKUlT_T0_E_clISt17integral_constantIbLb1EESW_IbLb0EEEEDaSS_ST_EUlSS_E0_NS1_11comp_targetILNS1_3genE8ELNS1_11target_archE1030ELNS1_3gpuE2ELNS1_3repE0EEENS1_30default_config_static_selectorELNS0_4arch9wavefront6targetE1EEEvT1_
	.p2align	8
	.type	_ZN7rocprim17ROCPRIM_400000_NS6detail17trampoline_kernelINS0_14default_configENS1_20scan_config_selectorItEEZZNS1_9scan_implILNS1_25lookback_scan_determinismE0ELb0ELb0ES3_N6thrust23THRUST_200600_302600_NS6detail15normal_iteratorINS9_10device_ptrItEEEENS9_16discard_iteratorINS9_11use_defaultEEEt11max_functorItEtEEDaPvRmT3_T4_T5_mT6_P12ihipStream_tbENKUlT_T0_E_clISt17integral_constantIbLb1EESW_IbLb0EEEEDaSS_ST_EUlSS_E0_NS1_11comp_targetILNS1_3genE8ELNS1_11target_archE1030ELNS1_3gpuE2ELNS1_3repE0EEENS1_30default_config_static_selectorELNS0_4arch9wavefront6targetE1EEEvT1_,@function
_ZN7rocprim17ROCPRIM_400000_NS6detail17trampoline_kernelINS0_14default_configENS1_20scan_config_selectorItEEZZNS1_9scan_implILNS1_25lookback_scan_determinismE0ELb0ELb0ES3_N6thrust23THRUST_200600_302600_NS6detail15normal_iteratorINS9_10device_ptrItEEEENS9_16discard_iteratorINS9_11use_defaultEEEt11max_functorItEtEEDaPvRmT3_T4_T5_mT6_P12ihipStream_tbENKUlT_T0_E_clISt17integral_constantIbLb1EESW_IbLb0EEEEDaSS_ST_EUlSS_E0_NS1_11comp_targetILNS1_3genE8ELNS1_11target_archE1030ELNS1_3gpuE2ELNS1_3repE0EEENS1_30default_config_static_selectorELNS0_4arch9wavefront6targetE1EEEvT1_: ; @_ZN7rocprim17ROCPRIM_400000_NS6detail17trampoline_kernelINS0_14default_configENS1_20scan_config_selectorItEEZZNS1_9scan_implILNS1_25lookback_scan_determinismE0ELb0ELb0ES3_N6thrust23THRUST_200600_302600_NS6detail15normal_iteratorINS9_10device_ptrItEEEENS9_16discard_iteratorINS9_11use_defaultEEEt11max_functorItEtEEDaPvRmT3_T4_T5_mT6_P12ihipStream_tbENKUlT_T0_E_clISt17integral_constantIbLb1EESW_IbLb0EEEEDaSS_ST_EUlSS_E0_NS1_11comp_targetILNS1_3genE8ELNS1_11target_archE1030ELNS1_3gpuE2ELNS1_3repE0EEENS1_30default_config_static_selectorELNS0_4arch9wavefront6targetE1EEEvT1_
; %bb.0:
	.section	.rodata,"a",@progbits
	.p2align	6, 0x0
	.amdhsa_kernel _ZN7rocprim17ROCPRIM_400000_NS6detail17trampoline_kernelINS0_14default_configENS1_20scan_config_selectorItEEZZNS1_9scan_implILNS1_25lookback_scan_determinismE0ELb0ELb0ES3_N6thrust23THRUST_200600_302600_NS6detail15normal_iteratorINS9_10device_ptrItEEEENS9_16discard_iteratorINS9_11use_defaultEEEt11max_functorItEtEEDaPvRmT3_T4_T5_mT6_P12ihipStream_tbENKUlT_T0_E_clISt17integral_constantIbLb1EESW_IbLb0EEEEDaSS_ST_EUlSS_E0_NS1_11comp_targetILNS1_3genE8ELNS1_11target_archE1030ELNS1_3gpuE2ELNS1_3repE0EEENS1_30default_config_static_selectorELNS0_4arch9wavefront6targetE1EEEvT1_
		.amdhsa_group_segment_fixed_size 0
		.amdhsa_private_segment_fixed_size 0
		.amdhsa_kernarg_size 40
		.amdhsa_user_sgpr_count 6
		.amdhsa_user_sgpr_private_segment_buffer 1
		.amdhsa_user_sgpr_dispatch_ptr 0
		.amdhsa_user_sgpr_queue_ptr 0
		.amdhsa_user_sgpr_kernarg_segment_ptr 1
		.amdhsa_user_sgpr_dispatch_id 0
		.amdhsa_user_sgpr_flat_scratch_init 0
		.amdhsa_user_sgpr_kernarg_preload_length 0
		.amdhsa_user_sgpr_kernarg_preload_offset 0
		.amdhsa_user_sgpr_private_segment_size 0
		.amdhsa_uses_dynamic_stack 0
		.amdhsa_system_sgpr_private_segment_wavefront_offset 0
		.amdhsa_system_sgpr_workgroup_id_x 1
		.amdhsa_system_sgpr_workgroup_id_y 0
		.amdhsa_system_sgpr_workgroup_id_z 0
		.amdhsa_system_sgpr_workgroup_info 0
		.amdhsa_system_vgpr_workitem_id 0
		.amdhsa_next_free_vgpr 1
		.amdhsa_next_free_sgpr 0
		.amdhsa_accum_offset 4
		.amdhsa_reserve_vcc 0
		.amdhsa_reserve_flat_scratch 0
		.amdhsa_float_round_mode_32 0
		.amdhsa_float_round_mode_16_64 0
		.amdhsa_float_denorm_mode_32 3
		.amdhsa_float_denorm_mode_16_64 3
		.amdhsa_dx10_clamp 1
		.amdhsa_ieee_mode 1
		.amdhsa_fp16_overflow 0
		.amdhsa_tg_split 0
		.amdhsa_exception_fp_ieee_invalid_op 0
		.amdhsa_exception_fp_denorm_src 0
		.amdhsa_exception_fp_ieee_div_zero 0
		.amdhsa_exception_fp_ieee_overflow 0
		.amdhsa_exception_fp_ieee_underflow 0
		.amdhsa_exception_fp_ieee_inexact 0
		.amdhsa_exception_int_div_zero 0
	.end_amdhsa_kernel
	.section	.text._ZN7rocprim17ROCPRIM_400000_NS6detail17trampoline_kernelINS0_14default_configENS1_20scan_config_selectorItEEZZNS1_9scan_implILNS1_25lookback_scan_determinismE0ELb0ELb0ES3_N6thrust23THRUST_200600_302600_NS6detail15normal_iteratorINS9_10device_ptrItEEEENS9_16discard_iteratorINS9_11use_defaultEEEt11max_functorItEtEEDaPvRmT3_T4_T5_mT6_P12ihipStream_tbENKUlT_T0_E_clISt17integral_constantIbLb1EESW_IbLb0EEEEDaSS_ST_EUlSS_E0_NS1_11comp_targetILNS1_3genE8ELNS1_11target_archE1030ELNS1_3gpuE2ELNS1_3repE0EEENS1_30default_config_static_selectorELNS0_4arch9wavefront6targetE1EEEvT1_,"axG",@progbits,_ZN7rocprim17ROCPRIM_400000_NS6detail17trampoline_kernelINS0_14default_configENS1_20scan_config_selectorItEEZZNS1_9scan_implILNS1_25lookback_scan_determinismE0ELb0ELb0ES3_N6thrust23THRUST_200600_302600_NS6detail15normal_iteratorINS9_10device_ptrItEEEENS9_16discard_iteratorINS9_11use_defaultEEEt11max_functorItEtEEDaPvRmT3_T4_T5_mT6_P12ihipStream_tbENKUlT_T0_E_clISt17integral_constantIbLb1EESW_IbLb0EEEEDaSS_ST_EUlSS_E0_NS1_11comp_targetILNS1_3genE8ELNS1_11target_archE1030ELNS1_3gpuE2ELNS1_3repE0EEENS1_30default_config_static_selectorELNS0_4arch9wavefront6targetE1EEEvT1_,comdat
.Lfunc_end3619:
	.size	_ZN7rocprim17ROCPRIM_400000_NS6detail17trampoline_kernelINS0_14default_configENS1_20scan_config_selectorItEEZZNS1_9scan_implILNS1_25lookback_scan_determinismE0ELb0ELb0ES3_N6thrust23THRUST_200600_302600_NS6detail15normal_iteratorINS9_10device_ptrItEEEENS9_16discard_iteratorINS9_11use_defaultEEEt11max_functorItEtEEDaPvRmT3_T4_T5_mT6_P12ihipStream_tbENKUlT_T0_E_clISt17integral_constantIbLb1EESW_IbLb0EEEEDaSS_ST_EUlSS_E0_NS1_11comp_targetILNS1_3genE8ELNS1_11target_archE1030ELNS1_3gpuE2ELNS1_3repE0EEENS1_30default_config_static_selectorELNS0_4arch9wavefront6targetE1EEEvT1_, .Lfunc_end3619-_ZN7rocprim17ROCPRIM_400000_NS6detail17trampoline_kernelINS0_14default_configENS1_20scan_config_selectorItEEZZNS1_9scan_implILNS1_25lookback_scan_determinismE0ELb0ELb0ES3_N6thrust23THRUST_200600_302600_NS6detail15normal_iteratorINS9_10device_ptrItEEEENS9_16discard_iteratorINS9_11use_defaultEEEt11max_functorItEtEEDaPvRmT3_T4_T5_mT6_P12ihipStream_tbENKUlT_T0_E_clISt17integral_constantIbLb1EESW_IbLb0EEEEDaSS_ST_EUlSS_E0_NS1_11comp_targetILNS1_3genE8ELNS1_11target_archE1030ELNS1_3gpuE2ELNS1_3repE0EEENS1_30default_config_static_selectorELNS0_4arch9wavefront6targetE1EEEvT1_
                                        ; -- End function
	.section	.AMDGPU.csdata,"",@progbits
; Kernel info:
; codeLenInByte = 0
; NumSgprs: 4
; NumVgprs: 0
; NumAgprs: 0
; TotalNumVgprs: 0
; ScratchSize: 0
; MemoryBound: 0
; FloatMode: 240
; IeeeMode: 1
; LDSByteSize: 0 bytes/workgroup (compile time only)
; SGPRBlocks: 0
; VGPRBlocks: 0
; NumSGPRsForWavesPerEU: 4
; NumVGPRsForWavesPerEU: 1
; AccumOffset: 4
; Occupancy: 8
; WaveLimiterHint : 0
; COMPUTE_PGM_RSRC2:SCRATCH_EN: 0
; COMPUTE_PGM_RSRC2:USER_SGPR: 6
; COMPUTE_PGM_RSRC2:TRAP_HANDLER: 0
; COMPUTE_PGM_RSRC2:TGID_X_EN: 1
; COMPUTE_PGM_RSRC2:TGID_Y_EN: 0
; COMPUTE_PGM_RSRC2:TGID_Z_EN: 0
; COMPUTE_PGM_RSRC2:TIDIG_COMP_CNT: 0
; COMPUTE_PGM_RSRC3_GFX90A:ACCUM_OFFSET: 0
; COMPUTE_PGM_RSRC3_GFX90A:TG_SPLIT: 0
	.section	.text._ZN7rocprim17ROCPRIM_400000_NS6detail17trampoline_kernelINS0_14default_configENS1_20scan_config_selectorItEEZZNS1_9scan_implILNS1_25lookback_scan_determinismE0ELb0ELb0ES3_N6thrust23THRUST_200600_302600_NS6detail15normal_iteratorINS9_10device_ptrItEEEENS9_16discard_iteratorINS9_11use_defaultEEEt11max_functorItEtEEDaPvRmT3_T4_T5_mT6_P12ihipStream_tbENKUlT_T0_E_clISt17integral_constantIbLb0EESW_IbLb1EEEEDaSS_ST_EUlSS_E_NS1_11comp_targetILNS1_3genE0ELNS1_11target_archE4294967295ELNS1_3gpuE0ELNS1_3repE0EEENS1_30default_config_static_selectorELNS0_4arch9wavefront6targetE1EEEvT1_,"axG",@progbits,_ZN7rocprim17ROCPRIM_400000_NS6detail17trampoline_kernelINS0_14default_configENS1_20scan_config_selectorItEEZZNS1_9scan_implILNS1_25lookback_scan_determinismE0ELb0ELb0ES3_N6thrust23THRUST_200600_302600_NS6detail15normal_iteratorINS9_10device_ptrItEEEENS9_16discard_iteratorINS9_11use_defaultEEEt11max_functorItEtEEDaPvRmT3_T4_T5_mT6_P12ihipStream_tbENKUlT_T0_E_clISt17integral_constantIbLb0EESW_IbLb1EEEEDaSS_ST_EUlSS_E_NS1_11comp_targetILNS1_3genE0ELNS1_11target_archE4294967295ELNS1_3gpuE0ELNS1_3repE0EEENS1_30default_config_static_selectorELNS0_4arch9wavefront6targetE1EEEvT1_,comdat
	.protected	_ZN7rocprim17ROCPRIM_400000_NS6detail17trampoline_kernelINS0_14default_configENS1_20scan_config_selectorItEEZZNS1_9scan_implILNS1_25lookback_scan_determinismE0ELb0ELb0ES3_N6thrust23THRUST_200600_302600_NS6detail15normal_iteratorINS9_10device_ptrItEEEENS9_16discard_iteratorINS9_11use_defaultEEEt11max_functorItEtEEDaPvRmT3_T4_T5_mT6_P12ihipStream_tbENKUlT_T0_E_clISt17integral_constantIbLb0EESW_IbLb1EEEEDaSS_ST_EUlSS_E_NS1_11comp_targetILNS1_3genE0ELNS1_11target_archE4294967295ELNS1_3gpuE0ELNS1_3repE0EEENS1_30default_config_static_selectorELNS0_4arch9wavefront6targetE1EEEvT1_ ; -- Begin function _ZN7rocprim17ROCPRIM_400000_NS6detail17trampoline_kernelINS0_14default_configENS1_20scan_config_selectorItEEZZNS1_9scan_implILNS1_25lookback_scan_determinismE0ELb0ELb0ES3_N6thrust23THRUST_200600_302600_NS6detail15normal_iteratorINS9_10device_ptrItEEEENS9_16discard_iteratorINS9_11use_defaultEEEt11max_functorItEtEEDaPvRmT3_T4_T5_mT6_P12ihipStream_tbENKUlT_T0_E_clISt17integral_constantIbLb0EESW_IbLb1EEEEDaSS_ST_EUlSS_E_NS1_11comp_targetILNS1_3genE0ELNS1_11target_archE4294967295ELNS1_3gpuE0ELNS1_3repE0EEENS1_30default_config_static_selectorELNS0_4arch9wavefront6targetE1EEEvT1_
	.globl	_ZN7rocprim17ROCPRIM_400000_NS6detail17trampoline_kernelINS0_14default_configENS1_20scan_config_selectorItEEZZNS1_9scan_implILNS1_25lookback_scan_determinismE0ELb0ELb0ES3_N6thrust23THRUST_200600_302600_NS6detail15normal_iteratorINS9_10device_ptrItEEEENS9_16discard_iteratorINS9_11use_defaultEEEt11max_functorItEtEEDaPvRmT3_T4_T5_mT6_P12ihipStream_tbENKUlT_T0_E_clISt17integral_constantIbLb0EESW_IbLb1EEEEDaSS_ST_EUlSS_E_NS1_11comp_targetILNS1_3genE0ELNS1_11target_archE4294967295ELNS1_3gpuE0ELNS1_3repE0EEENS1_30default_config_static_selectorELNS0_4arch9wavefront6targetE1EEEvT1_
	.p2align	8
	.type	_ZN7rocprim17ROCPRIM_400000_NS6detail17trampoline_kernelINS0_14default_configENS1_20scan_config_selectorItEEZZNS1_9scan_implILNS1_25lookback_scan_determinismE0ELb0ELb0ES3_N6thrust23THRUST_200600_302600_NS6detail15normal_iteratorINS9_10device_ptrItEEEENS9_16discard_iteratorINS9_11use_defaultEEEt11max_functorItEtEEDaPvRmT3_T4_T5_mT6_P12ihipStream_tbENKUlT_T0_E_clISt17integral_constantIbLb0EESW_IbLb1EEEEDaSS_ST_EUlSS_E_NS1_11comp_targetILNS1_3genE0ELNS1_11target_archE4294967295ELNS1_3gpuE0ELNS1_3repE0EEENS1_30default_config_static_selectorELNS0_4arch9wavefront6targetE1EEEvT1_,@function
_ZN7rocprim17ROCPRIM_400000_NS6detail17trampoline_kernelINS0_14default_configENS1_20scan_config_selectorItEEZZNS1_9scan_implILNS1_25lookback_scan_determinismE0ELb0ELb0ES3_N6thrust23THRUST_200600_302600_NS6detail15normal_iteratorINS9_10device_ptrItEEEENS9_16discard_iteratorINS9_11use_defaultEEEt11max_functorItEtEEDaPvRmT3_T4_T5_mT6_P12ihipStream_tbENKUlT_T0_E_clISt17integral_constantIbLb0EESW_IbLb1EEEEDaSS_ST_EUlSS_E_NS1_11comp_targetILNS1_3genE0ELNS1_11target_archE4294967295ELNS1_3gpuE0ELNS1_3repE0EEENS1_30default_config_static_selectorELNS0_4arch9wavefront6targetE1EEEvT1_: ; @_ZN7rocprim17ROCPRIM_400000_NS6detail17trampoline_kernelINS0_14default_configENS1_20scan_config_selectorItEEZZNS1_9scan_implILNS1_25lookback_scan_determinismE0ELb0ELb0ES3_N6thrust23THRUST_200600_302600_NS6detail15normal_iteratorINS9_10device_ptrItEEEENS9_16discard_iteratorINS9_11use_defaultEEEt11max_functorItEtEEDaPvRmT3_T4_T5_mT6_P12ihipStream_tbENKUlT_T0_E_clISt17integral_constantIbLb0EESW_IbLb1EEEEDaSS_ST_EUlSS_E_NS1_11comp_targetILNS1_3genE0ELNS1_11target_archE4294967295ELNS1_3gpuE0ELNS1_3repE0EEENS1_30default_config_static_selectorELNS0_4arch9wavefront6targetE1EEEvT1_
; %bb.0:
	.section	.rodata,"a",@progbits
	.p2align	6, 0x0
	.amdhsa_kernel _ZN7rocprim17ROCPRIM_400000_NS6detail17trampoline_kernelINS0_14default_configENS1_20scan_config_selectorItEEZZNS1_9scan_implILNS1_25lookback_scan_determinismE0ELb0ELb0ES3_N6thrust23THRUST_200600_302600_NS6detail15normal_iteratorINS9_10device_ptrItEEEENS9_16discard_iteratorINS9_11use_defaultEEEt11max_functorItEtEEDaPvRmT3_T4_T5_mT6_P12ihipStream_tbENKUlT_T0_E_clISt17integral_constantIbLb0EESW_IbLb1EEEEDaSS_ST_EUlSS_E_NS1_11comp_targetILNS1_3genE0ELNS1_11target_archE4294967295ELNS1_3gpuE0ELNS1_3repE0EEENS1_30default_config_static_selectorELNS0_4arch9wavefront6targetE1EEEvT1_
		.amdhsa_group_segment_fixed_size 0
		.amdhsa_private_segment_fixed_size 0
		.amdhsa_kernarg_size 104
		.amdhsa_user_sgpr_count 6
		.amdhsa_user_sgpr_private_segment_buffer 1
		.amdhsa_user_sgpr_dispatch_ptr 0
		.amdhsa_user_sgpr_queue_ptr 0
		.amdhsa_user_sgpr_kernarg_segment_ptr 1
		.amdhsa_user_sgpr_dispatch_id 0
		.amdhsa_user_sgpr_flat_scratch_init 0
		.amdhsa_user_sgpr_kernarg_preload_length 0
		.amdhsa_user_sgpr_kernarg_preload_offset 0
		.amdhsa_user_sgpr_private_segment_size 0
		.amdhsa_uses_dynamic_stack 0
		.amdhsa_system_sgpr_private_segment_wavefront_offset 0
		.amdhsa_system_sgpr_workgroup_id_x 1
		.amdhsa_system_sgpr_workgroup_id_y 0
		.amdhsa_system_sgpr_workgroup_id_z 0
		.amdhsa_system_sgpr_workgroup_info 0
		.amdhsa_system_vgpr_workitem_id 0
		.amdhsa_next_free_vgpr 1
		.amdhsa_next_free_sgpr 0
		.amdhsa_accum_offset 4
		.amdhsa_reserve_vcc 0
		.amdhsa_reserve_flat_scratch 0
		.amdhsa_float_round_mode_32 0
		.amdhsa_float_round_mode_16_64 0
		.amdhsa_float_denorm_mode_32 3
		.amdhsa_float_denorm_mode_16_64 3
		.amdhsa_dx10_clamp 1
		.amdhsa_ieee_mode 1
		.amdhsa_fp16_overflow 0
		.amdhsa_tg_split 0
		.amdhsa_exception_fp_ieee_invalid_op 0
		.amdhsa_exception_fp_denorm_src 0
		.amdhsa_exception_fp_ieee_div_zero 0
		.amdhsa_exception_fp_ieee_overflow 0
		.amdhsa_exception_fp_ieee_underflow 0
		.amdhsa_exception_fp_ieee_inexact 0
		.amdhsa_exception_int_div_zero 0
	.end_amdhsa_kernel
	.section	.text._ZN7rocprim17ROCPRIM_400000_NS6detail17trampoline_kernelINS0_14default_configENS1_20scan_config_selectorItEEZZNS1_9scan_implILNS1_25lookback_scan_determinismE0ELb0ELb0ES3_N6thrust23THRUST_200600_302600_NS6detail15normal_iteratorINS9_10device_ptrItEEEENS9_16discard_iteratorINS9_11use_defaultEEEt11max_functorItEtEEDaPvRmT3_T4_T5_mT6_P12ihipStream_tbENKUlT_T0_E_clISt17integral_constantIbLb0EESW_IbLb1EEEEDaSS_ST_EUlSS_E_NS1_11comp_targetILNS1_3genE0ELNS1_11target_archE4294967295ELNS1_3gpuE0ELNS1_3repE0EEENS1_30default_config_static_selectorELNS0_4arch9wavefront6targetE1EEEvT1_,"axG",@progbits,_ZN7rocprim17ROCPRIM_400000_NS6detail17trampoline_kernelINS0_14default_configENS1_20scan_config_selectorItEEZZNS1_9scan_implILNS1_25lookback_scan_determinismE0ELb0ELb0ES3_N6thrust23THRUST_200600_302600_NS6detail15normal_iteratorINS9_10device_ptrItEEEENS9_16discard_iteratorINS9_11use_defaultEEEt11max_functorItEtEEDaPvRmT3_T4_T5_mT6_P12ihipStream_tbENKUlT_T0_E_clISt17integral_constantIbLb0EESW_IbLb1EEEEDaSS_ST_EUlSS_E_NS1_11comp_targetILNS1_3genE0ELNS1_11target_archE4294967295ELNS1_3gpuE0ELNS1_3repE0EEENS1_30default_config_static_selectorELNS0_4arch9wavefront6targetE1EEEvT1_,comdat
.Lfunc_end3620:
	.size	_ZN7rocprim17ROCPRIM_400000_NS6detail17trampoline_kernelINS0_14default_configENS1_20scan_config_selectorItEEZZNS1_9scan_implILNS1_25lookback_scan_determinismE0ELb0ELb0ES3_N6thrust23THRUST_200600_302600_NS6detail15normal_iteratorINS9_10device_ptrItEEEENS9_16discard_iteratorINS9_11use_defaultEEEt11max_functorItEtEEDaPvRmT3_T4_T5_mT6_P12ihipStream_tbENKUlT_T0_E_clISt17integral_constantIbLb0EESW_IbLb1EEEEDaSS_ST_EUlSS_E_NS1_11comp_targetILNS1_3genE0ELNS1_11target_archE4294967295ELNS1_3gpuE0ELNS1_3repE0EEENS1_30default_config_static_selectorELNS0_4arch9wavefront6targetE1EEEvT1_, .Lfunc_end3620-_ZN7rocprim17ROCPRIM_400000_NS6detail17trampoline_kernelINS0_14default_configENS1_20scan_config_selectorItEEZZNS1_9scan_implILNS1_25lookback_scan_determinismE0ELb0ELb0ES3_N6thrust23THRUST_200600_302600_NS6detail15normal_iteratorINS9_10device_ptrItEEEENS9_16discard_iteratorINS9_11use_defaultEEEt11max_functorItEtEEDaPvRmT3_T4_T5_mT6_P12ihipStream_tbENKUlT_T0_E_clISt17integral_constantIbLb0EESW_IbLb1EEEEDaSS_ST_EUlSS_E_NS1_11comp_targetILNS1_3genE0ELNS1_11target_archE4294967295ELNS1_3gpuE0ELNS1_3repE0EEENS1_30default_config_static_selectorELNS0_4arch9wavefront6targetE1EEEvT1_
                                        ; -- End function
	.section	.AMDGPU.csdata,"",@progbits
; Kernel info:
; codeLenInByte = 0
; NumSgprs: 4
; NumVgprs: 0
; NumAgprs: 0
; TotalNumVgprs: 0
; ScratchSize: 0
; MemoryBound: 0
; FloatMode: 240
; IeeeMode: 1
; LDSByteSize: 0 bytes/workgroup (compile time only)
; SGPRBlocks: 0
; VGPRBlocks: 0
; NumSGPRsForWavesPerEU: 4
; NumVGPRsForWavesPerEU: 1
; AccumOffset: 4
; Occupancy: 8
; WaveLimiterHint : 0
; COMPUTE_PGM_RSRC2:SCRATCH_EN: 0
; COMPUTE_PGM_RSRC2:USER_SGPR: 6
; COMPUTE_PGM_RSRC2:TRAP_HANDLER: 0
; COMPUTE_PGM_RSRC2:TGID_X_EN: 1
; COMPUTE_PGM_RSRC2:TGID_Y_EN: 0
; COMPUTE_PGM_RSRC2:TGID_Z_EN: 0
; COMPUTE_PGM_RSRC2:TIDIG_COMP_CNT: 0
; COMPUTE_PGM_RSRC3_GFX90A:ACCUM_OFFSET: 0
; COMPUTE_PGM_RSRC3_GFX90A:TG_SPLIT: 0
	.section	.text._ZN7rocprim17ROCPRIM_400000_NS6detail17trampoline_kernelINS0_14default_configENS1_20scan_config_selectorItEEZZNS1_9scan_implILNS1_25lookback_scan_determinismE0ELb0ELb0ES3_N6thrust23THRUST_200600_302600_NS6detail15normal_iteratorINS9_10device_ptrItEEEENS9_16discard_iteratorINS9_11use_defaultEEEt11max_functorItEtEEDaPvRmT3_T4_T5_mT6_P12ihipStream_tbENKUlT_T0_E_clISt17integral_constantIbLb0EESW_IbLb1EEEEDaSS_ST_EUlSS_E_NS1_11comp_targetILNS1_3genE5ELNS1_11target_archE942ELNS1_3gpuE9ELNS1_3repE0EEENS1_30default_config_static_selectorELNS0_4arch9wavefront6targetE1EEEvT1_,"axG",@progbits,_ZN7rocprim17ROCPRIM_400000_NS6detail17trampoline_kernelINS0_14default_configENS1_20scan_config_selectorItEEZZNS1_9scan_implILNS1_25lookback_scan_determinismE0ELb0ELb0ES3_N6thrust23THRUST_200600_302600_NS6detail15normal_iteratorINS9_10device_ptrItEEEENS9_16discard_iteratorINS9_11use_defaultEEEt11max_functorItEtEEDaPvRmT3_T4_T5_mT6_P12ihipStream_tbENKUlT_T0_E_clISt17integral_constantIbLb0EESW_IbLb1EEEEDaSS_ST_EUlSS_E_NS1_11comp_targetILNS1_3genE5ELNS1_11target_archE942ELNS1_3gpuE9ELNS1_3repE0EEENS1_30default_config_static_selectorELNS0_4arch9wavefront6targetE1EEEvT1_,comdat
	.protected	_ZN7rocprim17ROCPRIM_400000_NS6detail17trampoline_kernelINS0_14default_configENS1_20scan_config_selectorItEEZZNS1_9scan_implILNS1_25lookback_scan_determinismE0ELb0ELb0ES3_N6thrust23THRUST_200600_302600_NS6detail15normal_iteratorINS9_10device_ptrItEEEENS9_16discard_iteratorINS9_11use_defaultEEEt11max_functorItEtEEDaPvRmT3_T4_T5_mT6_P12ihipStream_tbENKUlT_T0_E_clISt17integral_constantIbLb0EESW_IbLb1EEEEDaSS_ST_EUlSS_E_NS1_11comp_targetILNS1_3genE5ELNS1_11target_archE942ELNS1_3gpuE9ELNS1_3repE0EEENS1_30default_config_static_selectorELNS0_4arch9wavefront6targetE1EEEvT1_ ; -- Begin function _ZN7rocprim17ROCPRIM_400000_NS6detail17trampoline_kernelINS0_14default_configENS1_20scan_config_selectorItEEZZNS1_9scan_implILNS1_25lookback_scan_determinismE0ELb0ELb0ES3_N6thrust23THRUST_200600_302600_NS6detail15normal_iteratorINS9_10device_ptrItEEEENS9_16discard_iteratorINS9_11use_defaultEEEt11max_functorItEtEEDaPvRmT3_T4_T5_mT6_P12ihipStream_tbENKUlT_T0_E_clISt17integral_constantIbLb0EESW_IbLb1EEEEDaSS_ST_EUlSS_E_NS1_11comp_targetILNS1_3genE5ELNS1_11target_archE942ELNS1_3gpuE9ELNS1_3repE0EEENS1_30default_config_static_selectorELNS0_4arch9wavefront6targetE1EEEvT1_
	.globl	_ZN7rocprim17ROCPRIM_400000_NS6detail17trampoline_kernelINS0_14default_configENS1_20scan_config_selectorItEEZZNS1_9scan_implILNS1_25lookback_scan_determinismE0ELb0ELb0ES3_N6thrust23THRUST_200600_302600_NS6detail15normal_iteratorINS9_10device_ptrItEEEENS9_16discard_iteratorINS9_11use_defaultEEEt11max_functorItEtEEDaPvRmT3_T4_T5_mT6_P12ihipStream_tbENKUlT_T0_E_clISt17integral_constantIbLb0EESW_IbLb1EEEEDaSS_ST_EUlSS_E_NS1_11comp_targetILNS1_3genE5ELNS1_11target_archE942ELNS1_3gpuE9ELNS1_3repE0EEENS1_30default_config_static_selectorELNS0_4arch9wavefront6targetE1EEEvT1_
	.p2align	8
	.type	_ZN7rocprim17ROCPRIM_400000_NS6detail17trampoline_kernelINS0_14default_configENS1_20scan_config_selectorItEEZZNS1_9scan_implILNS1_25lookback_scan_determinismE0ELb0ELb0ES3_N6thrust23THRUST_200600_302600_NS6detail15normal_iteratorINS9_10device_ptrItEEEENS9_16discard_iteratorINS9_11use_defaultEEEt11max_functorItEtEEDaPvRmT3_T4_T5_mT6_P12ihipStream_tbENKUlT_T0_E_clISt17integral_constantIbLb0EESW_IbLb1EEEEDaSS_ST_EUlSS_E_NS1_11comp_targetILNS1_3genE5ELNS1_11target_archE942ELNS1_3gpuE9ELNS1_3repE0EEENS1_30default_config_static_selectorELNS0_4arch9wavefront6targetE1EEEvT1_,@function
_ZN7rocprim17ROCPRIM_400000_NS6detail17trampoline_kernelINS0_14default_configENS1_20scan_config_selectorItEEZZNS1_9scan_implILNS1_25lookback_scan_determinismE0ELb0ELb0ES3_N6thrust23THRUST_200600_302600_NS6detail15normal_iteratorINS9_10device_ptrItEEEENS9_16discard_iteratorINS9_11use_defaultEEEt11max_functorItEtEEDaPvRmT3_T4_T5_mT6_P12ihipStream_tbENKUlT_T0_E_clISt17integral_constantIbLb0EESW_IbLb1EEEEDaSS_ST_EUlSS_E_NS1_11comp_targetILNS1_3genE5ELNS1_11target_archE942ELNS1_3gpuE9ELNS1_3repE0EEENS1_30default_config_static_selectorELNS0_4arch9wavefront6targetE1EEEvT1_: ; @_ZN7rocprim17ROCPRIM_400000_NS6detail17trampoline_kernelINS0_14default_configENS1_20scan_config_selectorItEEZZNS1_9scan_implILNS1_25lookback_scan_determinismE0ELb0ELb0ES3_N6thrust23THRUST_200600_302600_NS6detail15normal_iteratorINS9_10device_ptrItEEEENS9_16discard_iteratorINS9_11use_defaultEEEt11max_functorItEtEEDaPvRmT3_T4_T5_mT6_P12ihipStream_tbENKUlT_T0_E_clISt17integral_constantIbLb0EESW_IbLb1EEEEDaSS_ST_EUlSS_E_NS1_11comp_targetILNS1_3genE5ELNS1_11target_archE942ELNS1_3gpuE9ELNS1_3repE0EEENS1_30default_config_static_selectorELNS0_4arch9wavefront6targetE1EEEvT1_
; %bb.0:
	.section	.rodata,"a",@progbits
	.p2align	6, 0x0
	.amdhsa_kernel _ZN7rocprim17ROCPRIM_400000_NS6detail17trampoline_kernelINS0_14default_configENS1_20scan_config_selectorItEEZZNS1_9scan_implILNS1_25lookback_scan_determinismE0ELb0ELb0ES3_N6thrust23THRUST_200600_302600_NS6detail15normal_iteratorINS9_10device_ptrItEEEENS9_16discard_iteratorINS9_11use_defaultEEEt11max_functorItEtEEDaPvRmT3_T4_T5_mT6_P12ihipStream_tbENKUlT_T0_E_clISt17integral_constantIbLb0EESW_IbLb1EEEEDaSS_ST_EUlSS_E_NS1_11comp_targetILNS1_3genE5ELNS1_11target_archE942ELNS1_3gpuE9ELNS1_3repE0EEENS1_30default_config_static_selectorELNS0_4arch9wavefront6targetE1EEEvT1_
		.amdhsa_group_segment_fixed_size 0
		.amdhsa_private_segment_fixed_size 0
		.amdhsa_kernarg_size 104
		.amdhsa_user_sgpr_count 6
		.amdhsa_user_sgpr_private_segment_buffer 1
		.amdhsa_user_sgpr_dispatch_ptr 0
		.amdhsa_user_sgpr_queue_ptr 0
		.amdhsa_user_sgpr_kernarg_segment_ptr 1
		.amdhsa_user_sgpr_dispatch_id 0
		.amdhsa_user_sgpr_flat_scratch_init 0
		.amdhsa_user_sgpr_kernarg_preload_length 0
		.amdhsa_user_sgpr_kernarg_preload_offset 0
		.amdhsa_user_sgpr_private_segment_size 0
		.amdhsa_uses_dynamic_stack 0
		.amdhsa_system_sgpr_private_segment_wavefront_offset 0
		.amdhsa_system_sgpr_workgroup_id_x 1
		.amdhsa_system_sgpr_workgroup_id_y 0
		.amdhsa_system_sgpr_workgroup_id_z 0
		.amdhsa_system_sgpr_workgroup_info 0
		.amdhsa_system_vgpr_workitem_id 0
		.amdhsa_next_free_vgpr 1
		.amdhsa_next_free_sgpr 0
		.amdhsa_accum_offset 4
		.amdhsa_reserve_vcc 0
		.amdhsa_reserve_flat_scratch 0
		.amdhsa_float_round_mode_32 0
		.amdhsa_float_round_mode_16_64 0
		.amdhsa_float_denorm_mode_32 3
		.amdhsa_float_denorm_mode_16_64 3
		.amdhsa_dx10_clamp 1
		.amdhsa_ieee_mode 1
		.amdhsa_fp16_overflow 0
		.amdhsa_tg_split 0
		.amdhsa_exception_fp_ieee_invalid_op 0
		.amdhsa_exception_fp_denorm_src 0
		.amdhsa_exception_fp_ieee_div_zero 0
		.amdhsa_exception_fp_ieee_overflow 0
		.amdhsa_exception_fp_ieee_underflow 0
		.amdhsa_exception_fp_ieee_inexact 0
		.amdhsa_exception_int_div_zero 0
	.end_amdhsa_kernel
	.section	.text._ZN7rocprim17ROCPRIM_400000_NS6detail17trampoline_kernelINS0_14default_configENS1_20scan_config_selectorItEEZZNS1_9scan_implILNS1_25lookback_scan_determinismE0ELb0ELb0ES3_N6thrust23THRUST_200600_302600_NS6detail15normal_iteratorINS9_10device_ptrItEEEENS9_16discard_iteratorINS9_11use_defaultEEEt11max_functorItEtEEDaPvRmT3_T4_T5_mT6_P12ihipStream_tbENKUlT_T0_E_clISt17integral_constantIbLb0EESW_IbLb1EEEEDaSS_ST_EUlSS_E_NS1_11comp_targetILNS1_3genE5ELNS1_11target_archE942ELNS1_3gpuE9ELNS1_3repE0EEENS1_30default_config_static_selectorELNS0_4arch9wavefront6targetE1EEEvT1_,"axG",@progbits,_ZN7rocprim17ROCPRIM_400000_NS6detail17trampoline_kernelINS0_14default_configENS1_20scan_config_selectorItEEZZNS1_9scan_implILNS1_25lookback_scan_determinismE0ELb0ELb0ES3_N6thrust23THRUST_200600_302600_NS6detail15normal_iteratorINS9_10device_ptrItEEEENS9_16discard_iteratorINS9_11use_defaultEEEt11max_functorItEtEEDaPvRmT3_T4_T5_mT6_P12ihipStream_tbENKUlT_T0_E_clISt17integral_constantIbLb0EESW_IbLb1EEEEDaSS_ST_EUlSS_E_NS1_11comp_targetILNS1_3genE5ELNS1_11target_archE942ELNS1_3gpuE9ELNS1_3repE0EEENS1_30default_config_static_selectorELNS0_4arch9wavefront6targetE1EEEvT1_,comdat
.Lfunc_end3621:
	.size	_ZN7rocprim17ROCPRIM_400000_NS6detail17trampoline_kernelINS0_14default_configENS1_20scan_config_selectorItEEZZNS1_9scan_implILNS1_25lookback_scan_determinismE0ELb0ELb0ES3_N6thrust23THRUST_200600_302600_NS6detail15normal_iteratorINS9_10device_ptrItEEEENS9_16discard_iteratorINS9_11use_defaultEEEt11max_functorItEtEEDaPvRmT3_T4_T5_mT6_P12ihipStream_tbENKUlT_T0_E_clISt17integral_constantIbLb0EESW_IbLb1EEEEDaSS_ST_EUlSS_E_NS1_11comp_targetILNS1_3genE5ELNS1_11target_archE942ELNS1_3gpuE9ELNS1_3repE0EEENS1_30default_config_static_selectorELNS0_4arch9wavefront6targetE1EEEvT1_, .Lfunc_end3621-_ZN7rocprim17ROCPRIM_400000_NS6detail17trampoline_kernelINS0_14default_configENS1_20scan_config_selectorItEEZZNS1_9scan_implILNS1_25lookback_scan_determinismE0ELb0ELb0ES3_N6thrust23THRUST_200600_302600_NS6detail15normal_iteratorINS9_10device_ptrItEEEENS9_16discard_iteratorINS9_11use_defaultEEEt11max_functorItEtEEDaPvRmT3_T4_T5_mT6_P12ihipStream_tbENKUlT_T0_E_clISt17integral_constantIbLb0EESW_IbLb1EEEEDaSS_ST_EUlSS_E_NS1_11comp_targetILNS1_3genE5ELNS1_11target_archE942ELNS1_3gpuE9ELNS1_3repE0EEENS1_30default_config_static_selectorELNS0_4arch9wavefront6targetE1EEEvT1_
                                        ; -- End function
	.section	.AMDGPU.csdata,"",@progbits
; Kernel info:
; codeLenInByte = 0
; NumSgprs: 4
; NumVgprs: 0
; NumAgprs: 0
; TotalNumVgprs: 0
; ScratchSize: 0
; MemoryBound: 0
; FloatMode: 240
; IeeeMode: 1
; LDSByteSize: 0 bytes/workgroup (compile time only)
; SGPRBlocks: 0
; VGPRBlocks: 0
; NumSGPRsForWavesPerEU: 4
; NumVGPRsForWavesPerEU: 1
; AccumOffset: 4
; Occupancy: 8
; WaveLimiterHint : 0
; COMPUTE_PGM_RSRC2:SCRATCH_EN: 0
; COMPUTE_PGM_RSRC2:USER_SGPR: 6
; COMPUTE_PGM_RSRC2:TRAP_HANDLER: 0
; COMPUTE_PGM_RSRC2:TGID_X_EN: 1
; COMPUTE_PGM_RSRC2:TGID_Y_EN: 0
; COMPUTE_PGM_RSRC2:TGID_Z_EN: 0
; COMPUTE_PGM_RSRC2:TIDIG_COMP_CNT: 0
; COMPUTE_PGM_RSRC3_GFX90A:ACCUM_OFFSET: 0
; COMPUTE_PGM_RSRC3_GFX90A:TG_SPLIT: 0
	.section	.text._ZN7rocprim17ROCPRIM_400000_NS6detail17trampoline_kernelINS0_14default_configENS1_20scan_config_selectorItEEZZNS1_9scan_implILNS1_25lookback_scan_determinismE0ELb0ELb0ES3_N6thrust23THRUST_200600_302600_NS6detail15normal_iteratorINS9_10device_ptrItEEEENS9_16discard_iteratorINS9_11use_defaultEEEt11max_functorItEtEEDaPvRmT3_T4_T5_mT6_P12ihipStream_tbENKUlT_T0_E_clISt17integral_constantIbLb0EESW_IbLb1EEEEDaSS_ST_EUlSS_E_NS1_11comp_targetILNS1_3genE4ELNS1_11target_archE910ELNS1_3gpuE8ELNS1_3repE0EEENS1_30default_config_static_selectorELNS0_4arch9wavefront6targetE1EEEvT1_,"axG",@progbits,_ZN7rocprim17ROCPRIM_400000_NS6detail17trampoline_kernelINS0_14default_configENS1_20scan_config_selectorItEEZZNS1_9scan_implILNS1_25lookback_scan_determinismE0ELb0ELb0ES3_N6thrust23THRUST_200600_302600_NS6detail15normal_iteratorINS9_10device_ptrItEEEENS9_16discard_iteratorINS9_11use_defaultEEEt11max_functorItEtEEDaPvRmT3_T4_T5_mT6_P12ihipStream_tbENKUlT_T0_E_clISt17integral_constantIbLb0EESW_IbLb1EEEEDaSS_ST_EUlSS_E_NS1_11comp_targetILNS1_3genE4ELNS1_11target_archE910ELNS1_3gpuE8ELNS1_3repE0EEENS1_30default_config_static_selectorELNS0_4arch9wavefront6targetE1EEEvT1_,comdat
	.protected	_ZN7rocprim17ROCPRIM_400000_NS6detail17trampoline_kernelINS0_14default_configENS1_20scan_config_selectorItEEZZNS1_9scan_implILNS1_25lookback_scan_determinismE0ELb0ELb0ES3_N6thrust23THRUST_200600_302600_NS6detail15normal_iteratorINS9_10device_ptrItEEEENS9_16discard_iteratorINS9_11use_defaultEEEt11max_functorItEtEEDaPvRmT3_T4_T5_mT6_P12ihipStream_tbENKUlT_T0_E_clISt17integral_constantIbLb0EESW_IbLb1EEEEDaSS_ST_EUlSS_E_NS1_11comp_targetILNS1_3genE4ELNS1_11target_archE910ELNS1_3gpuE8ELNS1_3repE0EEENS1_30default_config_static_selectorELNS0_4arch9wavefront6targetE1EEEvT1_ ; -- Begin function _ZN7rocprim17ROCPRIM_400000_NS6detail17trampoline_kernelINS0_14default_configENS1_20scan_config_selectorItEEZZNS1_9scan_implILNS1_25lookback_scan_determinismE0ELb0ELb0ES3_N6thrust23THRUST_200600_302600_NS6detail15normal_iteratorINS9_10device_ptrItEEEENS9_16discard_iteratorINS9_11use_defaultEEEt11max_functorItEtEEDaPvRmT3_T4_T5_mT6_P12ihipStream_tbENKUlT_T0_E_clISt17integral_constantIbLb0EESW_IbLb1EEEEDaSS_ST_EUlSS_E_NS1_11comp_targetILNS1_3genE4ELNS1_11target_archE910ELNS1_3gpuE8ELNS1_3repE0EEENS1_30default_config_static_selectorELNS0_4arch9wavefront6targetE1EEEvT1_
	.globl	_ZN7rocprim17ROCPRIM_400000_NS6detail17trampoline_kernelINS0_14default_configENS1_20scan_config_selectorItEEZZNS1_9scan_implILNS1_25lookback_scan_determinismE0ELb0ELb0ES3_N6thrust23THRUST_200600_302600_NS6detail15normal_iteratorINS9_10device_ptrItEEEENS9_16discard_iteratorINS9_11use_defaultEEEt11max_functorItEtEEDaPvRmT3_T4_T5_mT6_P12ihipStream_tbENKUlT_T0_E_clISt17integral_constantIbLb0EESW_IbLb1EEEEDaSS_ST_EUlSS_E_NS1_11comp_targetILNS1_3genE4ELNS1_11target_archE910ELNS1_3gpuE8ELNS1_3repE0EEENS1_30default_config_static_selectorELNS0_4arch9wavefront6targetE1EEEvT1_
	.p2align	8
	.type	_ZN7rocprim17ROCPRIM_400000_NS6detail17trampoline_kernelINS0_14default_configENS1_20scan_config_selectorItEEZZNS1_9scan_implILNS1_25lookback_scan_determinismE0ELb0ELb0ES3_N6thrust23THRUST_200600_302600_NS6detail15normal_iteratorINS9_10device_ptrItEEEENS9_16discard_iteratorINS9_11use_defaultEEEt11max_functorItEtEEDaPvRmT3_T4_T5_mT6_P12ihipStream_tbENKUlT_T0_E_clISt17integral_constantIbLb0EESW_IbLb1EEEEDaSS_ST_EUlSS_E_NS1_11comp_targetILNS1_3genE4ELNS1_11target_archE910ELNS1_3gpuE8ELNS1_3repE0EEENS1_30default_config_static_selectorELNS0_4arch9wavefront6targetE1EEEvT1_,@function
_ZN7rocprim17ROCPRIM_400000_NS6detail17trampoline_kernelINS0_14default_configENS1_20scan_config_selectorItEEZZNS1_9scan_implILNS1_25lookback_scan_determinismE0ELb0ELb0ES3_N6thrust23THRUST_200600_302600_NS6detail15normal_iteratorINS9_10device_ptrItEEEENS9_16discard_iteratorINS9_11use_defaultEEEt11max_functorItEtEEDaPvRmT3_T4_T5_mT6_P12ihipStream_tbENKUlT_T0_E_clISt17integral_constantIbLb0EESW_IbLb1EEEEDaSS_ST_EUlSS_E_NS1_11comp_targetILNS1_3genE4ELNS1_11target_archE910ELNS1_3gpuE8ELNS1_3repE0EEENS1_30default_config_static_selectorELNS0_4arch9wavefront6targetE1EEEvT1_: ; @_ZN7rocprim17ROCPRIM_400000_NS6detail17trampoline_kernelINS0_14default_configENS1_20scan_config_selectorItEEZZNS1_9scan_implILNS1_25lookback_scan_determinismE0ELb0ELb0ES3_N6thrust23THRUST_200600_302600_NS6detail15normal_iteratorINS9_10device_ptrItEEEENS9_16discard_iteratorINS9_11use_defaultEEEt11max_functorItEtEEDaPvRmT3_T4_T5_mT6_P12ihipStream_tbENKUlT_T0_E_clISt17integral_constantIbLb0EESW_IbLb1EEEEDaSS_ST_EUlSS_E_NS1_11comp_targetILNS1_3genE4ELNS1_11target_archE910ELNS1_3gpuE8ELNS1_3repE0EEENS1_30default_config_static_selectorELNS0_4arch9wavefront6targetE1EEEvT1_
; %bb.0:
	s_load_dwordx2 s[6:7], s[4:5], 0x20
	s_load_dwordx2 s[24:25], s[4:5], 0x30
	v_cmp_ne_u32_e64 s[0:1], 0, v0
	v_cmp_eq_u32_e64 s[2:3], 0, v0
	s_and_saveexec_b64 s[8:9], s[2:3]
	s_cbranch_execz .LBB3622_4
; %bb.1:
	s_mov_b64 s[12:13], exec
	v_mbcnt_lo_u32_b32 v1, s12, 0
	v_mbcnt_hi_u32_b32 v1, s13, v1
	v_cmp_eq_u32_e32 vcc, 0, v1
                                        ; implicit-def: $vgpr2
	s_and_saveexec_b64 s[10:11], vcc
	s_cbranch_execz .LBB3622_3
; %bb.2:
	s_load_dwordx2 s[14:15], s[4:5], 0x60
	s_bcnt1_i32_b64 s12, s[12:13]
	v_mov_b32_e32 v2, 0
	v_mov_b32_e32 v3, s12
	s_waitcnt lgkmcnt(0)
	global_atomic_add v2, v2, v3, s[14:15] glc
.LBB3622_3:
	s_or_b64 exec, exec, s[10:11]
	s_waitcnt vmcnt(0)
	v_readfirstlane_b32 s10, v2
	v_add_u32_e32 v1, s10, v1
	v_mov_b32_e32 v2, 0
	ds_write_b32 v2, v1
.LBB3622_4:
	s_or_b64 exec, exec, s[8:9]
	v_mov_b32_e32 v3, 0
	s_load_dwordx4 s[8:11], s[4:5], 0x0
	s_load_dword s12, s[4:5], 0x38
	s_load_dwordx8 s[16:23], s[4:5], 0x40
	s_waitcnt lgkmcnt(0)
	; wave barrier
	s_waitcnt lgkmcnt(0)
	ds_read_b32 v1, v3
	s_lshl_b64 s[4:5], s[10:11], 1
	s_add_u32 s4, s8, s4
	s_movk_i32 s8, 0x600
	s_addc_u32 s5, s9, s5
	s_waitcnt lgkmcnt(0)
	v_mul_lo_u32 v2, v1, s8
	s_add_i32 s8, s12, -1
	s_mul_i32 s9, s8, 0x600
	s_sub_u32 s28, s6, s9
	v_readfirstlane_b32 s30, v1
	s_subb_u32 s29, s7, 0
	v_lshlrev_b64 v[2:3], 1, v[2:3]
	s_cmp_lg_u32 s30, s8
	v_mov_b32_e32 v1, s5
	v_add_co_u32_e32 v2, vcc, s4, v2
	s_cselect_b64 s[14:15], -1, 0
	v_addc_co_u32_e32 v3, vcc, v1, v3, vcc
	s_mov_b64 s[4:5], -1
	s_and_b64 vcc, exec, s[14:15]
	v_lshlrev_b32_e32 v1, 1, v0
	s_waitcnt lgkmcnt(0)
	; wave barrier
	s_cbranch_vccz .LBB3622_6
; %bb.5:
	v_add_co_u32_e32 v4, vcc, v2, v1
	v_addc_co_u32_e32 v5, vcc, 0, v3, vcc
	flat_load_ushort v6, v[4:5]
	flat_load_ushort v7, v[4:5] offset:128
	flat_load_ushort v8, v[4:5] offset:256
	;; [unrolled: 1-line block ×23, first 2 shown]
	s_mov_b64 s[4:5], 0
	s_waitcnt vmcnt(0) lgkmcnt(0)
	ds_write_b16 v1, v6
	ds_write_b16 v1, v7 offset:128
	ds_write_b16 v1, v8 offset:256
	;; [unrolled: 1-line block ×23, first 2 shown]
	s_waitcnt lgkmcnt(0)
	; wave barrier
.LBB3622_6:
	s_andn2_b64 vcc, exec, s[4:5]
	s_cbranch_vccnz .LBB3622_56
; %bb.7:
	flat_load_ushort v4, v[2:3]
	v_cmp_gt_u32_e32 vcc, s28, v0
	s_waitcnt vmcnt(0) lgkmcnt(0)
	v_mov_b32_e32 v5, v4
	s_and_saveexec_b64 s[4:5], vcc
	s_cbranch_execz .LBB3622_9
; %bb.8:
	v_add_co_u32_e32 v6, vcc, v2, v1
	v_addc_co_u32_e32 v7, vcc, 0, v3, vcc
	flat_load_ushort v5, v[6:7]
.LBB3622_9:
	s_or_b64 exec, exec, s[4:5]
	v_or_b32_e32 v6, 64, v0
	v_cmp_gt_u32_e32 vcc, s28, v6
	v_mov_b32_e32 v6, v4
	s_and_saveexec_b64 s[4:5], vcc
	s_cbranch_execz .LBB3622_11
; %bb.10:
	v_add_co_u32_e32 v6, vcc, v2, v1
	v_addc_co_u32_e32 v7, vcc, 0, v3, vcc
	flat_load_ushort v6, v[6:7] offset:128
.LBB3622_11:
	s_or_b64 exec, exec, s[4:5]
	v_or_b32_e32 v7, 0x80, v0
	v_cmp_gt_u32_e32 vcc, s28, v7
	v_mov_b32_e32 v7, v4
	s_and_saveexec_b64 s[4:5], vcc
	s_cbranch_execz .LBB3622_13
; %bb.12:
	v_add_co_u32_e32 v8, vcc, v2, v1
	v_addc_co_u32_e32 v9, vcc, 0, v3, vcc
	flat_load_ushort v7, v[8:9] offset:256
.LBB3622_13:
	;; [unrolled: 11-line block ×22, first 2 shown]
	s_or_b64 exec, exec, s[4:5]
	v_or_b32_e32 v28, 0x5c0, v0
	v_cmp_gt_u32_e32 vcc, s28, v28
	s_and_saveexec_b64 s[4:5], vcc
	s_cbranch_execz .LBB3622_55
; %bb.54:
	v_add_co_u32_e32 v2, vcc, v2, v1
	v_addc_co_u32_e32 v3, vcc, 0, v3, vcc
	flat_load_ushort v4, v[2:3] offset:2944
.LBB3622_55:
	s_or_b64 exec, exec, s[4:5]
	s_waitcnt vmcnt(0) lgkmcnt(0)
	ds_write_b16 v1, v5
	ds_write_b16 v1, v6 offset:128
	ds_write_b16 v1, v7 offset:256
	;; [unrolled: 1-line block ×23, first 2 shown]
	s_waitcnt lgkmcnt(0)
	; wave barrier
.LBB3622_56:
	v_mul_u32_u24_e32 v20, 24, v0
	v_lshlrev_b32_e32 v21, 1, v20
	s_waitcnt lgkmcnt(0)
	ds_read_b128 v[10:13], v21
	ds_read_b128 v[6:9], v21 offset:16
	ds_read_b128 v[2:5], v21 offset:32
	s_cmp_lg_u32 s30, 0
	v_mbcnt_lo_u32_b32 v32, -1, 0
	s_waitcnt lgkmcnt(2)
	v_lshrrev_b32_e32 v31, 16, v11
	v_lshrrev_b32_e32 v30, 16, v12
	v_lshrrev_b32_e32 v29, 16, v13
	s_waitcnt lgkmcnt(1)
	v_lshrrev_b32_e32 v28, 16, v6
	v_lshrrev_b32_e32 v27, 16, v7
	v_lshrrev_b32_e32 v26, 16, v8
	v_lshrrev_b32_e32 v25, 16, v9
	s_waitcnt lgkmcnt(0)
	v_lshrrev_b32_e32 v24, 16, v2
	v_lshrrev_b32_e32 v23, 16, v3
	;; [unrolled: 1-line block ×4, first 2 shown]
	v_cmp_eq_u32_e32 vcc, 63, v0
	s_waitcnt lgkmcnt(0)
	; wave barrier
	s_cbranch_scc0 .LBB3622_79
; %bb.57:
	v_max_u16_sdwa v14, v10, v10 dst_sel:DWORD dst_unused:UNUSED_PAD src0_sel:DWORD src1_sel:WORD_1
	v_max3_u16 v14, v14, v11, v31
	v_max3_u16 v14, v14, v12, v30
	v_max3_u16 v14, v14, v13, v29
	v_max3_u16 v14, v14, v6, v28
	v_max3_u16 v14, v14, v7, v27
	v_max3_u16 v14, v14, v8, v26
	v_max3_u16 v14, v14, v9, v25
	v_max3_u16 v14, v14, v2, v24
	v_max3_u16 v14, v14, v3, v23
	v_max3_u16 v14, v14, v4, v22
	v_max3_u16 v14, v14, v5, v1
	v_mbcnt_hi_u32_b32 v15, -1, v32
	v_and_b32_e32 v17, 0xffff, v14
	v_and_b32_e32 v16, 15, v15
	v_cmp_eq_u32_e64 s[4:5], 0, v16
	v_mov_b32_dpp v17, v17 row_shr:1 row_mask:0xf bank_mask:0xf
	v_max_u16_e32 v17, v17, v14
	v_cndmask_b32_e64 v14, v17, v14, s[4:5]
	v_and_b32_e32 v17, 0xffff, v14
	v_cmp_lt_u32_e64 s[4:5], 1, v16
	s_nop 0
	v_mov_b32_dpp v17, v17 row_shr:2 row_mask:0xf bank_mask:0xf
	v_max_u16_e32 v17, v17, v14
	v_cndmask_b32_e64 v14, v14, v17, s[4:5]
	v_and_b32_e32 v17, 0xffff, v14
	v_cmp_lt_u32_e64 s[4:5], 3, v16
	s_nop 0
	;; [unrolled: 6-line block ×3, first 2 shown]
	v_mov_b32_dpp v17, v17 row_shr:8 row_mask:0xf bank_mask:0xf
	v_max_u16_e32 v17, v17, v14
	v_cndmask_b32_e64 v14, v14, v17, s[4:5]
	v_and_b32_e32 v16, 0xffff, v14
	v_and_b32_e32 v17, 16, v15
	v_cmp_eq_u32_e64 s[4:5], 0, v17
	v_mov_b32_dpp v16, v16 row_bcast:15 row_mask:0xf bank_mask:0xf
	v_max_u16_e32 v16, v16, v14
	v_cndmask_b32_e64 v14, v16, v14, s[4:5]
	v_and_b32_e32 v16, 0xffff, v14
	v_cmp_lt_u32_e64 s[4:5], 31, v15
	s_nop 0
	v_mov_b32_dpp v16, v16 row_bcast:31 row_mask:0xf bank_mask:0xf
	v_max_u16_e32 v16, v16, v14
	v_cndmask_b32_e64 v14, v14, v16, s[4:5]
	s_and_saveexec_b64 s[4:5], vcc
	s_cbranch_execz .LBB3622_59
; %bb.58:
	v_mov_b32_e32 v16, 0
	ds_write_b16 v16, v14
.LBB3622_59:
	s_or_b64 exec, exec, s[4:5]
	v_add_u32_e32 v16, -1, v15
	v_and_b32_e32 v17, 64, v15
	v_cmp_lt_i32_e32 vcc, v16, v17
	v_cndmask_b32_e32 v16, v16, v15, vcc
	v_and_b32_e32 v14, 0xffff, v14
	v_lshlrev_b32_e32 v16, 2, v16
	ds_bpermute_b32 v33, v16, v14
	v_cmp_gt_u32_e32 vcc, 64, v0
	s_waitcnt lgkmcnt(0)
	; wave barrier
	s_waitcnt lgkmcnt(0)
	s_and_saveexec_b64 s[26:27], vcc
	s_cbranch_execz .LBB3622_78
; %bb.60:
	v_mov_b32_e32 v17, 0
	ds_read_u16 v34, v17
	s_mov_b32 s9, 0
	v_cmp_eq_u32_e64 s[4:5], 0, v15
	s_and_saveexec_b64 s[6:7], s[4:5]
	s_cbranch_execz .LBB3622_62
; %bb.61:
	s_add_i32 s8, s30, 64
	s_lshl_b64 s[8:9], s[8:9], 2
	s_add_u32 s8, s24, s8
	s_waitcnt lgkmcnt(0)
	v_or_b32_e32 v14, 0x10000, v34
	s_addc_u32 s9, s25, s9
	global_store_dword v17, v14, s[8:9]
.LBB3622_62:
	s_or_b64 exec, exec, s[6:7]
	v_xad_u32 v14, v15, -1, s30
	v_add_u32_e32 v16, 64, v14
	v_lshlrev_b64 v[18:19], 2, v[16:17]
	v_mov_b32_e32 v16, s25
	v_add_co_u32_e32 v18, vcc, s24, v18
	v_addc_co_u32_e32 v19, vcc, v16, v19, vcc
	global_load_dword v47, v[18:19], off glc
	s_waitcnt vmcnt(0)
	v_lshrrev_b32_e32 v36, 16, v47
	v_cmp_eq_u16_sdwa s[8:9], v36, v17 src0_sel:BYTE_0 src1_sel:DWORD
	s_and_saveexec_b64 s[6:7], s[8:9]
	s_cbranch_execz .LBB3622_66
; %bb.63:
	s_mov_b64 s[8:9], 0
	v_mov_b32_e32 v16, 0
.LBB3622_64:                            ; =>This Inner Loop Header: Depth=1
	global_load_dword v47, v[18:19], off glc
	s_waitcnt vmcnt(0)
	v_lshrrev_b32_e32 v36, 16, v47
	v_cmp_ne_u16_sdwa s[10:11], v36, v16 src0_sel:BYTE_0 src1_sel:DWORD
	s_or_b64 s[8:9], s[10:11], s[8:9]
	s_andn2_b64 exec, exec, s[8:9]
	s_cbranch_execnz .LBB3622_64
; %bb.65:
	s_or_b64 exec, exec, s[8:9]
.LBB3622_66:
	s_or_b64 exec, exec, s[6:7]
	v_and_b32_e32 v37, 63, v15
	v_cmp_ne_u32_e32 vcc, 63, v37
	v_mov_b32_e32 v35, 2
	v_addc_co_u32_e32 v38, vcc, 0, v15, vcc
	v_cmp_eq_u16_sdwa s[6:7], v36, v35 src0_sel:BYTE_0 src1_sel:DWORD
	v_lshlrev_b64 v[16:17], v15, -1
	v_and_b32_e32 v39, 0xffff, v47
	v_lshlrev_b32_e32 v38, 2, v38
	v_and_b32_e32 v18, s7, v17
	ds_bpermute_b32 v40, v38, v39
	v_or_b32_e32 v18, 0x80000000, v18
	v_and_b32_e32 v19, s6, v16
	v_ffbl_b32_e32 v18, v18
	v_add_u32_e32 v18, 32, v18
	v_ffbl_b32_e32 v19, v19
	v_min_u32_e32 v18, v19, v18
	s_waitcnt lgkmcnt(0)
	v_max_u16_e32 v19, v40, v47
	v_cmp_lt_u32_e32 vcc, v37, v18
	v_cmp_gt_u32_e64 s[6:7], 62, v37
	v_cndmask_b32_e32 v41, v39, v19, vcc
	v_cndmask_b32_e64 v39, 0, 1, s[6:7]
	v_lshlrev_b32_e32 v39, 1, v39
	v_add_lshl_u32 v39, v39, v15, 2
	ds_bpermute_b32 v42, v39, v41
	v_cndmask_b32_e32 v19, v47, v19, vcc
	v_add_u32_e32 v40, 2, v37
	v_cmp_gt_u32_e64 s[6:7], v40, v18
	v_cmp_gt_u32_e64 s[8:9], 60, v37
	s_waitcnt lgkmcnt(0)
	v_max_u16_e32 v42, v42, v19
	v_cndmask_b32_e64 v43, v42, v41, s[6:7]
	v_cndmask_b32_e64 v41, 0, 1, s[8:9]
	v_lshlrev_b32_e32 v41, 2, v41
	v_add_lshl_u32 v41, v41, v15, 2
	ds_bpermute_b32 v44, v41, v43
	v_cndmask_b32_e64 v19, v42, v19, s[6:7]
	v_add_u32_e32 v42, 4, v37
	v_cmp_gt_u32_e64 s[6:7], v42, v18
	v_cmp_gt_u32_e64 s[8:9], 56, v37
	s_waitcnt lgkmcnt(0)
	v_max_u16_e32 v50, v44, v19
	v_cndmask_b32_e64 v45, v50, v43, s[6:7]
	v_cndmask_b32_e64 v43, 0, 1, s[8:9]
	v_lshlrev_b32_e32 v43, 3, v43
	v_add_lshl_u32 v43, v43, v15, 2
	ds_bpermute_b32 v46, v43, v45
	v_cndmask_b32_e64 v48, v50, v19, s[6:7]
	v_add_u32_e32 v44, 8, v37
	v_cmp_gt_u32_e64 s[8:9], v44, v18
	v_cmp_gt_u32_e64 s[10:11], 48, v37
	s_waitcnt lgkmcnt(0)
	v_max_u16_e32 v51, v46, v48
	v_cndmask_b32_e64 v49, v51, v45, s[8:9]
	v_cndmask_b32_e64 v45, 0, 1, s[10:11]
	v_lshlrev_b32_e32 v45, 4, v45
	v_add_lshl_u32 v45, v45, v15, 2
	ds_bpermute_b32 v52, v45, v49
	v_cmp_gt_u32_e64 s[12:13], 32, v37
	v_cndmask_b32_e64 v53, v51, v48, s[8:9]
	v_add_u32_e32 v46, 16, v37
	v_cndmask_b32_e64 v48, 0, 1, s[12:13]
	s_waitcnt lgkmcnt(0)
	v_max_u16_e32 v52, v52, v53
	v_cmp_gt_u32_e64 s[10:11], v46, v18
	v_lshlrev_b32_e32 v48, 5, v48
	v_cndmask_b32_e64 v49, v52, v49, s[10:11]
	v_add_lshl_u32 v48, v48, v15, 2
	ds_bpermute_b32 v15, v48, v49
	v_cndmask_b32_e32 v19, v47, v19, vcc
	v_cndmask_b32_e64 v19, v50, v19, s[6:7]
	v_add_u32_e32 v49, 32, v37
	v_cndmask_b32_e64 v53, v52, v53, s[10:11]
	v_cndmask_b32_e64 v19, v51, v19, s[8:9]
	s_waitcnt lgkmcnt(0)
	v_max_u16_e32 v15, v15, v53
	v_cndmask_b32_e64 v19, v52, v19, s[10:11]
	v_cmp_gt_u32_e32 vcc, v49, v18
	v_cndmask_b32_e32 v18, v15, v19, vcc
	v_mov_b32_e32 v15, 0
	s_branch .LBB3622_68
.LBB3622_67:                            ;   in Loop: Header=BB3622_68 Depth=1
	s_or_b64 exec, exec, s[6:7]
	v_cmp_eq_u16_sdwa s[6:7], v36, v35 src0_sel:BYTE_0 src1_sel:DWORD
	v_and_b32_e32 v51, 0xffff, v50
	v_and_b32_e32 v18, s7, v17
	ds_bpermute_b32 v52, v38, v51
	v_or_b32_e32 v18, 0x80000000, v18
	v_and_b32_e32 v19, s6, v16
	v_ffbl_b32_e32 v18, v18
	v_add_u32_e32 v18, 32, v18
	v_ffbl_b32_e32 v19, v19
	v_min_u32_e32 v18, v19, v18
	s_waitcnt lgkmcnt(0)
	v_max_u16_e32 v19, v52, v50
	v_cmp_lt_u32_e32 vcc, v37, v18
	v_cndmask_b32_e32 v51, v51, v19, vcc
	ds_bpermute_b32 v52, v39, v51
	v_cndmask_b32_e32 v19, v50, v19, vcc
	v_cmp_gt_u32_e64 s[6:7], v40, v18
	v_cmp_gt_u32_e64 s[8:9], v44, v18
	v_subrev_u32_e32 v14, 64, v14
	s_waitcnt lgkmcnt(0)
	v_max_u16_e32 v52, v52, v19
	v_cndmask_b32_e64 v51, v52, v51, s[6:7]
	ds_bpermute_b32 v53, v41, v51
	v_cndmask_b32_e64 v19, v52, v19, s[6:7]
	v_cmp_gt_u32_e64 s[6:7], v42, v18
	s_waitcnt lgkmcnt(0)
	v_max_u16_e32 v52, v53, v19
	v_cndmask_b32_e64 v51, v52, v51, s[6:7]
	ds_bpermute_b32 v53, v43, v51
	v_cndmask_b32_e64 v54, v52, v19, s[6:7]
	v_cndmask_b32_e32 v19, v50, v19, vcc
	v_cmp_gt_u32_e32 vcc, v46, v18
	v_cndmask_b32_e64 v19, v52, v19, s[6:7]
	s_waitcnt lgkmcnt(0)
	v_max_u16_e32 v53, v53, v54
	v_cndmask_b32_e64 v51, v53, v51, s[8:9]
	ds_bpermute_b32 v55, v45, v51
	v_cndmask_b32_e64 v50, v53, v54, s[8:9]
	v_cndmask_b32_e64 v19, v53, v19, s[8:9]
	s_waitcnt lgkmcnt(0)
	v_max_u16_e32 v54, v55, v50
	v_cndmask_b32_e32 v51, v54, v51, vcc
	ds_bpermute_b32 v51, v48, v51
	v_cndmask_b32_e32 v50, v54, v50, vcc
	v_cndmask_b32_e32 v19, v54, v19, vcc
	v_cmp_gt_u32_e32 vcc, v49, v18
	s_waitcnt lgkmcnt(0)
	v_max_u16_e32 v50, v51, v50
	v_cndmask_b32_e32 v18, v50, v19, vcc
	v_max_u16_e32 v18, v18, v47
.LBB3622_68:                            ; =>This Loop Header: Depth=1
                                        ;     Child Loop BB3622_71 Depth 2
	v_cmp_ne_u16_sdwa s[6:7], v36, v35 src0_sel:BYTE_0 src1_sel:DWORD
	v_cndmask_b32_e64 v19, 0, 1, s[6:7]
	;;#ASMSTART
	;;#ASMEND
	v_cmp_ne_u32_e32 vcc, 0, v19
	s_cmp_lg_u64 vcc, exec
	v_mov_b32_e32 v47, v18
	s_cbranch_scc1 .LBB3622_73
; %bb.69:                               ;   in Loop: Header=BB3622_68 Depth=1
	v_lshlrev_b64 v[18:19], 2, v[14:15]
	v_mov_b32_e32 v36, s25
	v_add_co_u32_e32 v18, vcc, s24, v18
	v_addc_co_u32_e32 v19, vcc, v36, v19, vcc
	global_load_dword v50, v[18:19], off glc
	s_waitcnt vmcnt(0)
	v_lshrrev_b32_e32 v36, 16, v50
	v_cmp_eq_u16_sdwa s[8:9], v36, v15 src0_sel:BYTE_0 src1_sel:DWORD
	s_and_saveexec_b64 s[6:7], s[8:9]
	s_cbranch_execz .LBB3622_67
; %bb.70:                               ;   in Loop: Header=BB3622_68 Depth=1
	s_mov_b64 s[8:9], 0
.LBB3622_71:                            ;   Parent Loop BB3622_68 Depth=1
                                        ; =>  This Inner Loop Header: Depth=2
	global_load_dword v50, v[18:19], off glc
	s_waitcnt vmcnt(0)
	v_lshrrev_b32_e32 v36, 16, v50
	v_cmp_ne_u16_sdwa s[10:11], v36, v15 src0_sel:BYTE_0 src1_sel:DWORD
	s_or_b64 s[8:9], s[10:11], s[8:9]
	s_andn2_b64 exec, exec, s[8:9]
	s_cbranch_execnz .LBB3622_71
; %bb.72:                               ;   in Loop: Header=BB3622_68 Depth=1
	s_or_b64 exec, exec, s[8:9]
	s_branch .LBB3622_67
.LBB3622_73:                            ;   in Loop: Header=BB3622_68 Depth=1
                                        ; implicit-def: $vgpr18
                                        ; implicit-def: $vgpr36
	s_cbranch_execz .LBB3622_68
; %bb.74:
	s_and_saveexec_b64 s[6:7], s[4:5]
	s_cbranch_execz .LBB3622_76
; %bb.75:
	s_add_i32 s4, s30, 64
	s_mov_b32 s5, 0
	s_lshl_b64 s[4:5], s[4:5], 2
	v_max_u16_e32 v14, v47, v34
	s_add_u32 s4, s24, s4
	v_or_b32_e32 v14, 0x20000, v14
	s_addc_u32 s5, s25, s5
	v_mov_b32_e32 v15, 0
	global_store_dword v15, v14, s[4:5]
.LBB3622_76:
	s_or_b64 exec, exec, s[6:7]
	s_and_b64 exec, exec, s[2:3]
	s_cbranch_execz .LBB3622_78
; %bb.77:
	v_mov_b32_e32 v14, 0
	ds_write_b16 v14, v47
.LBB3622_78:
	s_or_b64 exec, exec, s[26:27]
	v_mov_b32_e32 v14, 0
	s_waitcnt lgkmcnt(0)
	; wave barrier
	s_waitcnt lgkmcnt(0)
	ds_read_u16 v14, v14
	v_max_u16_e32 v15, v33, v10
	v_cndmask_b32_e64 v15, v15, v10, s[2:3]
	s_waitcnt lgkmcnt(0)
	v_max_u16_e32 v14, v14, v15
	v_max_u16_sdwa v15, v14, v10 dst_sel:DWORD dst_unused:UNUSED_PAD src0_sel:DWORD src1_sel:WORD_1
	v_max_u16_e32 v16, v15, v11
	v_max_u16_e32 v17, v16, v31
	;; [unrolled: 1-line block ×22, first 2 shown]
	s_branch .LBB3622_89
.LBB3622_79:
                                        ; implicit-def: $vgpr14
                                        ; implicit-def: $vgpr15
                                        ; implicit-def: $vgpr16
                                        ; implicit-def: $vgpr17
                                        ; implicit-def: $vgpr18
                                        ; implicit-def: $vgpr19
                                        ; implicit-def: $vgpr34
                                        ; implicit-def: $vgpr36
                                        ; implicit-def: $vgpr33
                                        ; implicit-def: $vgpr35
                                        ; implicit-def: $vgpr37
                                        ; implicit-def: $vgpr38
                                        ; implicit-def: $vgpr39
                                        ; implicit-def: $vgpr40
                                        ; implicit-def: $vgpr42
                                        ; implicit-def: $vgpr44
                                        ; implicit-def: $vgpr41
                                        ; implicit-def: $vgpr43
                                        ; implicit-def: $vgpr45
                                        ; implicit-def: $vgpr46
                                        ; implicit-def: $vgpr47
                                        ; implicit-def: $vgpr48
                                        ; implicit-def: $vgpr49
                                        ; implicit-def: $vgpr50
	s_cbranch_execz .LBB3622_89
; %bb.80:
	s_cmp_lg_u64 s[20:21], 0
	s_cselect_b64 s[4:5], -1, 0
	s_and_b64 s[4:5], s[2:3], s[4:5]
	v_mov_b32_e32 v14, v10
	s_and_saveexec_b64 s[2:3], s[4:5]
	s_cbranch_execz .LBB3622_82
; %bb.81:
	v_mov_b32_e32 v14, 0
	global_load_ushort v14, v14, s[16:17]
	s_waitcnt vmcnt(0)
	v_max_u16_e32 v14, v14, v10
.LBB3622_82:
	s_or_b64 exec, exec, s[2:3]
	v_max_u16_sdwa v15, v14, v10 dst_sel:DWORD dst_unused:UNUSED_PAD src0_sel:DWORD src1_sel:WORD_1
	v_max_u16_e32 v16, v15, v11
	v_max_u16_e32 v17, v16, v31
	;; [unrolled: 1-line block ×22, first 2 shown]
	v_mbcnt_hi_u32_b32 v32, -1, v32
	v_and_b32_e32 v51, 15, v32
	v_mov_b32_dpp v52, v50 row_shr:1 row_mask:0xf bank_mask:0xf
	v_max_u16_e32 v52, v52, v50
	v_cmp_eq_u32_e32 vcc, 0, v51
	v_cndmask_b32_e32 v52, v52, v50, vcc
	v_and_b32_e32 v53, 0xffff, v52
	v_cmp_lt_u32_e32 vcc, 1, v51
	s_nop 0
	v_mov_b32_dpp v53, v53 row_shr:2 row_mask:0xf bank_mask:0xf
	v_max_u16_e32 v53, v53, v52
	v_cndmask_b32_e32 v52, v52, v53, vcc
	v_and_b32_e32 v53, 0xffff, v52
	v_cmp_lt_u32_e32 vcc, 3, v51
	s_nop 0
	v_mov_b32_dpp v53, v53 row_shr:4 row_mask:0xf bank_mask:0xf
	v_max_u16_e32 v53, v53, v52
	;; [unrolled: 6-line block ×3, first 2 shown]
	v_cndmask_b32_e32 v51, v52, v53, vcc
	v_and_b32_e32 v52, 0xffff, v51
	v_and_b32_e32 v53, 16, v32
	v_cmp_eq_u32_e32 vcc, 0, v53
	v_mov_b32_dpp v52, v52 row_bcast:15 row_mask:0xf bank_mask:0xf
	v_max_u16_e32 v52, v52, v51
	v_cndmask_b32_e32 v51, v52, v51, vcc
	v_and_b32_e32 v52, 0xffff, v51
	v_cmp_lt_u32_e32 vcc, 31, v32
	s_nop 0
	v_mov_b32_dpp v52, v52 row_bcast:31 row_mask:0xf bank_mask:0xf
	v_max_u16_e32 v52, v52, v51
	v_cndmask_b32_e32 v51, v51, v52, vcc
	v_cmp_eq_u32_e32 vcc, 63, v0
	s_and_saveexec_b64 s[2:3], vcc
	s_cbranch_execz .LBB3622_84
; %bb.83:
	v_mov_b32_e32 v52, 0
	ds_write_b16 v52, v51
.LBB3622_84:
	s_or_b64 exec, exec, s[2:3]
	v_add_u32_e32 v52, -1, v32
	v_and_b32_e32 v53, 64, v32
	v_cmp_lt_i32_e64 s[2:3], v52, v53
	v_cndmask_b32_e64 v32, v52, v32, s[2:3]
	v_and_b32_e32 v51, 0xffff, v51
	v_lshlrev_b32_e32 v32, 2, v32
	ds_bpermute_b32 v32, v32, v51
	s_waitcnt lgkmcnt(0)
	; wave barrier
	s_waitcnt lgkmcnt(0)
	s_and_saveexec_b64 s[2:3], s[0:1]
	s_cbranch_execz .LBB3622_86
; %bb.85:
	v_max_u16_e32 v14, v32, v14
	v_max_u16_sdwa v15, v14, v10 dst_sel:DWORD dst_unused:UNUSED_PAD src0_sel:DWORD src1_sel:WORD_1
	v_max_u16_e32 v16, v15, v11
	v_max_u16_e32 v17, v16, v31
	;; [unrolled: 1-line block ×22, first 2 shown]
	;;#ASMSTART
	;;#ASMEND
.LBB3622_86:
	s_or_b64 exec, exec, s[2:3]
	s_and_saveexec_b64 s[0:1], vcc
	s_cbranch_execz .LBB3622_88
; %bb.87:
	s_mov_b32 s2, 0x20000
	v_mov_b32_e32 v1, 0
	v_or_b32_sdwa v2, v50, s2 dst_sel:DWORD dst_unused:UNUSED_PAD src0_sel:WORD_0 src1_sel:DWORD
	global_store_dword v1, v2, s[24:25] offset:256
.LBB3622_88:
	s_or_b64 exec, exec, s[0:1]
.LBB3622_89:
	s_mov_b32 s0, 0x5040100
	v_perm_b32 v5, v36, v34, s0
	v_perm_b32 v4, v19, v18, s0
	;; [unrolled: 1-line block ×4, first 2 shown]
	s_waitcnt lgkmcnt(0)
	; wave barrier
	ds_write_b128 v21, v[2:5]
	v_perm_b32 v5, v44, v42, s0
	v_perm_b32 v4, v40, v39, s0
	;; [unrolled: 1-line block ×4, first 2 shown]
	ds_write_b128 v21, v[2:5] offset:16
	v_perm_b32 v5, v50, v49, s0
	v_perm_b32 v4, v48, v47, s0
	;; [unrolled: 1-line block ×4, first 2 shown]
	s_mov_b64 s[0:1], -1
	s_and_b64 vcc, exec, s[14:15]
	ds_write_b128 v21, v[2:5] offset:32
	s_waitcnt lgkmcnt(0)
	s_cbranch_vccz .LBB3622_91
; %bb.90:
	; wave barrier
	s_mov_b64 s[0:1], 0
.LBB3622_91:
	s_andn2_b64 vcc, exec, s[0:1]
	s_cbranch_vccnz .LBB3622_100
; %bb.92:
	v_cmp_lt_u64_e64 s[0:1], s[22:23], 2
	s_and_b64 vcc, exec, s[0:1]
	; wave barrier
	s_cbranch_vccnz .LBB3622_100
; %bb.93:
	s_add_u32 s0, s28, -1
	s_addc_u32 s1, s29, -1
	s_add_u32 s2, 0, 0xaaaa0000
	s_addc_u32 s3, 0, 42
	s_add_i32 s3, s3, 0xaaaaa80
	s_mul_hi_u32 s7, s2, 0xffffffe8
	s_sub_i32 s7, s7, s2
	s_mul_i32 s8, s3, 0xffffffe8
	s_mul_i32 s4, s2, 0xffffffe8
	s_add_i32 s7, s7, s8
	s_mul_hi_u32 s5, s3, s4
	s_mul_i32 s6, s3, s4
	s_mul_i32 s9, s2, s7
	s_mul_hi_u32 s4, s2, s4
	s_mul_hi_u32 s8, s2, s7
	s_add_u32 s4, s4, s9
	s_addc_u32 s8, 0, s8
	s_add_u32 s4, s4, s6
	s_mul_hi_u32 s9, s3, s7
	s_addc_u32 s4, s8, s5
	s_addc_u32 s5, s9, 0
	s_mul_i32 s6, s3, s7
	s_add_u32 s4, s4, s6
	v_mov_b32_e32 v2, s4
	s_addc_u32 s5, 0, s5
	v_add_co_u32_e32 v2, vcc, s2, v2
	s_cmp_lg_u64 vcc, 0
	s_addc_u32 s2, s3, s5
	v_readfirstlane_b32 s5, v2
	s_mul_i32 s4, s0, s2
	s_mul_hi_u32 s6, s0, s5
	s_mul_hi_u32 s3, s0, s2
	s_add_u32 s4, s6, s4
	s_addc_u32 s3, 0, s3
	s_mul_hi_u32 s7, s1, s5
	s_mul_i32 s5, s1, s5
	s_add_u32 s4, s4, s5
	s_mul_hi_u32 s6, s1, s2
	s_addc_u32 s3, s3, s7
	s_addc_u32 s4, s6, 0
	s_mul_i32 s2, s1, s2
	s_add_u32 s2, s3, s2
	s_addc_u32 s3, 0, s4
	s_add_u32 s4, s2, 1
	s_addc_u32 s5, s3, 0
	s_add_u32 s6, s2, 2
	s_mul_i32 s8, s3, 24
	s_mul_hi_u32 s9, s2, 24
	s_addc_u32 s7, s3, 0
	s_add_i32 s9, s9, s8
	s_mul_i32 s8, s2, 24
	v_mov_b32_e32 v2, s8
	v_sub_co_u32_e32 v2, vcc, s0, v2
	s_cmp_lg_u64 vcc, 0
	s_subb_u32 s8, s1, s9
	v_subrev_co_u32_e32 v3, vcc, 24, v2
	s_cmp_lg_u64 vcc, 0
	s_subb_u32 s9, s8, 0
	v_readfirstlane_b32 s10, v3
	s_cmp_gt_u32 s10, 23
	s_cselect_b32 s10, -1, 0
	s_cmp_eq_u32 s9, 0
	s_cselect_b32 s9, s10, -1
	s_cmp_lg_u32 s9, 0
	s_cselect_b32 s4, s6, s4
	v_readfirstlane_b32 s6, v2
	s_cselect_b32 s5, s7, s5
	s_cmp_gt_u32 s6, 23
	s_cselect_b32 s6, -1, 0
	s_cmp_eq_u32 s8, 0
	s_cselect_b32 s6, s6, -1
	s_cmp_lg_u32 s6, 0
	v_mov_b32_e32 v1, 0
	s_cselect_b32 s3, s5, s3
	s_cselect_b32 s2, s4, s2
	v_cmp_eq_u64_e32 vcc, s[2:3], v[0:1]
	s_and_saveexec_b64 s[2:3], vcc
	s_cbranch_execz .LBB3622_100
; %bb.94:
	s_movk_i32 s2, 0xffd2
	v_mad_i32_i24 v2, v0, s2, v21
	v_mul_hi_u32_u24_e32 v1, 24, v0
	v_mov_b32_e32 v3, s1
	v_sub_co_u32_e32 v0, vcc, s0, v20
	v_subb_co_u32_e32 v1, vcc, v3, v1, vcc
	v_cmp_lt_i64_e32 vcc, 11, v[0:1]
	s_mov_b64 s[0:1], 0
	s_mov_b64 s[8:9], 0
	;; [unrolled: 1-line block ×4, first 2 shown]
                                        ; implicit-def: $vgpr3
                                        ; implicit-def: $vgpr4
                                        ; implicit-def: $vgpr5
	s_and_saveexec_b64 s[2:3], vcc
	s_xor_b64 s[2:3], exec, s[2:3]
	s_cbranch_execnz .LBB3622_101
; %bb.95:
	s_andn2_saveexec_b64 s[2:3], s[2:3]
	s_cbranch_execnz .LBB3622_146
.LBB3622_96:
	s_or_b64 exec, exec, s[2:3]
	s_and_saveexec_b64 s[2:3], s[8:9]
	s_cbranch_execnz .LBB3622_163
.LBB3622_97:
	s_or_b64 exec, exec, s[2:3]
	s_and_saveexec_b64 s[2:3], s[6:7]
	s_cbranch_execnz .LBB3622_164
.LBB3622_98:
	s_or_b64 exec, exec, s[2:3]
	s_and_saveexec_b64 s[2:3], s[4:5]
	s_xor_b64 s[2:3], exec, s[2:3]
	s_cbranch_execnz .LBB3622_165
.LBB3622_99:
	s_or_b64 exec, exec, s[2:3]
	s_and_b64 exec, exec, s[0:1]
	s_cbranch_execnz .LBB3622_166
.LBB3622_100:
	s_endpgm
.LBB3622_101:
	v_cmp_lt_i64_e32 vcc, 17, v[0:1]
                                        ; implicit-def: $vgpr3
                                        ; implicit-def: $vgpr4
                                        ; implicit-def: $vgpr5
	s_and_saveexec_b64 s[10:11], vcc
	s_xor_b64 s[10:11], exec, s[10:11]
	s_cbranch_execz .LBB3622_123
; %bb.102:
	v_cmp_lt_i64_e32 vcc, 20, v[0:1]
                                        ; implicit-def: $vgpr3
                                        ; implicit-def: $vgpr4
	s_and_saveexec_b64 s[12:13], vcc
	s_xor_b64 s[12:13], exec, s[12:13]
	s_cbranch_execz .LBB3622_112
; %bb.103:
	v_cmp_lt_i64_e32 vcc, 21, v[0:1]
	s_mov_b64 s[14:15], 0
                                        ; implicit-def: $vgpr3
	s_and_saveexec_b64 s[4:5], vcc
	s_xor_b64 s[4:5], exec, s[4:5]
	s_cbranch_execz .LBB3622_109
; %bb.104:
	v_cmp_lt_i64_e32 vcc, 22, v[0:1]
	s_and_saveexec_b64 s[14:15], vcc
	s_xor_b64 s[14:15], exec, s[14:15]
	s_cbranch_execz .LBB3622_106
; %bb.105:
	ds_read_u16 v3, v2 offset:2944
	v_mov_b32_e32 v4, 0
	s_waitcnt lgkmcnt(0)
	global_store_short v4, v3, s[18:19]
.LBB3622_106:
	s_or_saveexec_b64 s[14:15], s[14:15]
	s_mov_b64 s[16:17], 0
                                        ; implicit-def: $vgpr3
	s_xor_b64 exec, exec, s[14:15]
	s_cbranch_execz .LBB3622_108
; %bb.107:
	ds_read_u16 v3, v2 offset:2816
	s_mov_b64 s[16:17], exec
.LBB3622_108:
	s_or_b64 exec, exec, s[14:15]
	s_and_b64 s[14:15], s[16:17], exec
.LBB3622_109:
	s_or_saveexec_b64 s[4:5], s[4:5]
                                        ; implicit-def: $vgpr4
	s_xor_b64 exec, exec, s[4:5]
	s_cbranch_execz .LBB3622_111
; %bb.110:
	ds_read_u16 v4, v2 offset:2688
	s_mov_b64 s[6:7], exec
                                        ; implicit-def: $vgpr3
.LBB3622_111:
	s_or_b64 exec, exec, s[4:5]
	s_and_b64 s[4:5], s[14:15], exec
	s_and_b64 s[6:7], s[6:7], exec
.LBB3622_112:
	s_or_saveexec_b64 s[12:13], s[12:13]
                                        ; implicit-def: $vgpr5
	s_xor_b64 exec, exec, s[12:13]
	s_cbranch_execz .LBB3622_122
; %bb.113:
	v_cmp_lt_i64_e32 vcc, 18, v[0:1]
	s_mov_b64 s[14:15], 0
                                        ; implicit-def: $vgpr5
	s_and_saveexec_b64 s[8:9], vcc
	s_xor_b64 s[8:9], exec, s[8:9]
	s_cbranch_execz .LBB3622_119
; %bb.114:
	v_cmp_lt_i64_e32 vcc, 19, v[0:1]
                                        ; implicit-def: $vgpr5
	s_and_saveexec_b64 s[16:17], vcc
	s_xor_b64 s[16:17], exec, s[16:17]
	s_cbranch_execz .LBB3622_116
; %bb.115:
	ds_read_u16 v5, v2 offset:2560
	s_mov_b64 s[14:15], exec
.LBB3622_116:
	s_andn2_saveexec_b64 s[16:17], s[16:17]
	s_cbranch_execz .LBB3622_118
; %bb.117:
	s_waitcnt lgkmcnt(0)
	ds_read_u16 v3, v2 offset:2432
	v_mov_b32_e32 v4, 0
                                        ; implicit-def: $vgpr5
	s_waitcnt lgkmcnt(0)
	global_store_short v4, v3, s[18:19]
.LBB3622_118:
	s_or_b64 exec, exec, s[16:17]
	s_and_b64 s[14:15], s[14:15], exec
.LBB3622_119:
	s_andn2_saveexec_b64 s[8:9], s[8:9]
	s_cbranch_execz .LBB3622_121
; %bb.120:
	s_waitcnt lgkmcnt(0)
	ds_read_u16 v3, v2 offset:2304
	v_mov_b32_e32 v4, 0
                                        ; implicit-def: $vgpr5
	s_waitcnt lgkmcnt(0)
	global_store_short v4, v3, s[18:19]
.LBB3622_121:
	s_or_b64 exec, exec, s[8:9]
	s_and_b64 s[8:9], s[14:15], exec
                                        ; implicit-def: $vgpr3
                                        ; implicit-def: $vgpr4
.LBB3622_122:
	s_or_b64 exec, exec, s[12:13]
	s_and_b64 s[4:5], s[4:5], exec
	s_and_b64 s[6:7], s[6:7], exec
	;; [unrolled: 1-line block ×3, first 2 shown]
.LBB3622_123:
	s_andn2_saveexec_b64 s[10:11], s[10:11]
	s_cbranch_execz .LBB3622_145
; %bb.124:
	v_cmp_lt_i64_e32 vcc, 14, v[0:1]
	s_mov_b64 s[12:13], s[4:5]
                                        ; implicit-def: $vgpr3
	s_and_saveexec_b64 s[14:15], vcc
	s_xor_b64 s[14:15], exec, s[14:15]
	s_cbranch_execz .LBB3622_134
; %bb.125:
	v_cmp_lt_i64_e32 vcc, 15, v[0:1]
	s_and_saveexec_b64 s[12:13], vcc
	s_xor_b64 s[12:13], exec, s[12:13]
	s_cbranch_execz .LBB3622_131
; %bb.126:
	v_cmp_lt_i64_e32 vcc, 16, v[0:1]
	s_and_saveexec_b64 s[16:17], vcc
	s_xor_b64 s[16:17], exec, s[16:17]
	s_cbranch_execz .LBB3622_128
; %bb.127:
	s_waitcnt lgkmcnt(0)
	ds_read_u16 v3, v2 offset:2176
	v_mov_b32_e32 v4, 0
	s_waitcnt lgkmcnt(0)
	global_store_short v4, v3, s[18:19]
.LBB3622_128:
	s_andn2_saveexec_b64 s[16:17], s[16:17]
	s_cbranch_execz .LBB3622_130
; %bb.129:
	s_waitcnt lgkmcnt(0)
	ds_read_u16 v3, v2 offset:2048
	v_mov_b32_e32 v4, 0
	s_waitcnt lgkmcnt(0)
	global_store_short v4, v3, s[18:19]
.LBB3622_130:
	s_or_b64 exec, exec, s[16:17]
.LBB3622_131:
	s_or_saveexec_b64 s[12:13], s[12:13]
	s_mov_b64 s[16:17], s[4:5]
                                        ; implicit-def: $vgpr3
	s_xor_b64 exec, exec, s[12:13]
	s_cbranch_execz .LBB3622_133
; %bb.132:
	s_waitcnt lgkmcnt(0)
	ds_read_u16 v3, v2 offset:1920
	s_or_b64 s[16:17], s[4:5], exec
.LBB3622_133:
	s_or_b64 exec, exec, s[12:13]
	s_andn2_b64 s[12:13], s[4:5], exec
	s_and_b64 s[16:17], s[16:17], exec
	s_or_b64 s[12:13], s[12:13], s[16:17]
.LBB3622_134:
	s_or_saveexec_b64 s[14:15], s[14:15]
	s_mov_b64 s[16:17], s[6:7]
                                        ; implicit-def: $vgpr4
	s_xor_b64 exec, exec, s[14:15]
	s_cbranch_execz .LBB3622_144
; %bb.135:
	v_cmp_lt_i64_e32 vcc, 12, v[0:1]
	s_mov_b64 s[20:21], s[6:7]
	s_mov_b64 s[22:23], s[12:13]
                                        ; implicit-def: $vgpr3
                                        ; implicit-def: $vgpr4
	s_and_saveexec_b64 s[16:17], vcc
	s_xor_b64 s[16:17], exec, s[16:17]
	s_cbranch_execz .LBB3622_141
; %bb.136:
	v_cmp_lt_i64_e32 vcc, 13, v[0:1]
	s_mov_b64 s[20:21], s[12:13]
                                        ; implicit-def: $vgpr3
	s_and_saveexec_b64 s[22:23], vcc
	s_xor_b64 s[22:23], exec, s[22:23]
	s_cbranch_execz .LBB3622_138
; %bb.137:
	s_waitcnt lgkmcnt(0)
	ds_read_u16 v3, v2 offset:1792
	s_or_b64 s[20:21], s[12:13], exec
.LBB3622_138:
	s_or_saveexec_b64 s[22:23], s[22:23]
	s_mov_b64 s[24:25], s[6:7]
                                        ; implicit-def: $vgpr4
	s_xor_b64 exec, exec, s[22:23]
	s_cbranch_execz .LBB3622_140
; %bb.139:
	s_waitcnt lgkmcnt(0)
	ds_read_u16 v4, v2 offset:1664
	s_or_b64 s[24:25], s[6:7], exec
                                        ; implicit-def: $vgpr3
.LBB3622_140:
	s_or_b64 exec, exec, s[22:23]
	s_andn2_b64 s[22:23], s[12:13], exec
	s_and_b64 s[20:21], s[20:21], exec
	s_or_b64 s[22:23], s[22:23], s[20:21]
	s_andn2_b64 s[20:21], s[6:7], exec
	s_and_b64 s[24:25], s[24:25], exec
	s_or_b64 s[20:21], s[20:21], s[24:25]
.LBB3622_141:
	s_andn2_saveexec_b64 s[16:17], s[16:17]
	s_cbranch_execz .LBB3622_143
; %bb.142:
	s_waitcnt lgkmcnt(0)
	ds_read_u16 v4, v2 offset:1536
	s_or_b64 s[20:21], s[20:21], exec
                                        ; implicit-def: $vgpr3
.LBB3622_143:
	s_or_b64 exec, exec, s[16:17]
	s_andn2_b64 s[12:13], s[12:13], exec
	s_and_b64 s[16:17], s[22:23], exec
	s_or_b64 s[12:13], s[12:13], s[16:17]
	s_andn2_b64 s[16:17], s[6:7], exec
	s_and_b64 s[20:21], s[20:21], exec
	s_or_b64 s[16:17], s[16:17], s[20:21]
.LBB3622_144:
	s_or_b64 exec, exec, s[14:15]
	s_andn2_b64 s[4:5], s[4:5], exec
	s_and_b64 s[12:13], s[12:13], exec
	s_or_b64 s[4:5], s[4:5], s[12:13]
	s_andn2_b64 s[6:7], s[6:7], exec
	s_and_b64 s[12:13], s[16:17], exec
	s_or_b64 s[6:7], s[6:7], s[12:13]
                                        ; implicit-def: $vgpr5
.LBB3622_145:
	s_or_b64 exec, exec, s[10:11]
	s_and_b64 s[4:5], s[4:5], exec
	s_and_b64 s[6:7], s[6:7], exec
	;; [unrolled: 1-line block ×3, first 2 shown]
	s_andn2_saveexec_b64 s[2:3], s[2:3]
	s_cbranch_execz .LBB3622_96
.LBB3622_146:
	v_cmp_lt_i64_e32 vcc, 5, v[0:1]
	s_mov_b64 s[12:13], -1
	s_mov_b64 s[10:11], s[8:9]
	s_mov_b64 s[14:15], s[6:7]
	;; [unrolled: 1-line block ×3, first 2 shown]
                                        ; implicit-def: $vgpr3
                                        ; implicit-def: $vgpr4
                                        ; implicit-def: $vgpr5
	s_and_saveexec_b64 s[0:1], vcc
	s_cbranch_execz .LBB3622_162
; %bb.147:
	v_cmp_lt_i64_e32 vcc, 8, v[0:1]
	s_mov_b64 s[10:11], s[8:9]
                                        ; implicit-def: $vgpr5
	s_and_saveexec_b64 s[12:13], vcc
	s_xor_b64 s[12:13], exec, s[12:13]
	s_cbranch_execz .LBB3622_157
; %bb.148:
	v_cmp_lt_i64_e32 vcc, 9, v[0:1]
                                        ; implicit-def: $vgpr5
	s_and_saveexec_b64 s[10:11], vcc
	s_xor_b64 s[10:11], exec, s[10:11]
	s_cbranch_execz .LBB3622_154
; %bb.149:
	v_cmp_lt_i64_e32 vcc, 10, v[0:1]
                                        ; implicit-def: $vgpr5
	s_and_saveexec_b64 s[14:15], vcc
	s_xor_b64 s[14:15], exec, s[14:15]
	s_cbranch_execz .LBB3622_151
; %bb.150:
	s_waitcnt lgkmcnt(0)
	ds_read_u16 v5, v2 offset:1408
.LBB3622_151:
	s_andn2_saveexec_b64 s[14:15], s[14:15]
	s_cbranch_execz .LBB3622_153
; %bb.152:
	s_waitcnt lgkmcnt(0)
	ds_read_u16 v5, v2 offset:1280
.LBB3622_153:
	s_or_b64 exec, exec, s[14:15]
.LBB3622_154:
	s_andn2_saveexec_b64 s[10:11], s[10:11]
	s_cbranch_execz .LBB3622_156
; %bb.155:
	s_waitcnt lgkmcnt(0)
	ds_read_u16 v5, v2 offset:1152
.LBB3622_156:
	s_or_b64 exec, exec, s[10:11]
	s_or_b64 s[10:11], s[8:9], exec
.LBB3622_157:
	s_or_saveexec_b64 s[12:13], s[12:13]
	s_mov_b64 s[14:15], s[6:7]
	s_mov_b64 s[20:21], s[4:5]
                                        ; implicit-def: $vgpr3
                                        ; implicit-def: $vgpr4
	s_xor_b64 exec, exec, s[12:13]
	s_cbranch_execz .LBB3622_161
; %bb.158:
	s_waitcnt lgkmcnt(0)
	ds_read_u16 v3, v2 offset:768
	v_cmp_lt_i64_e32 vcc, 6, v[0:1]
	s_mov_b64 s[20:21], -1
	s_mov_b64 s[16:17], s[10:11]
	s_mov_b64 s[14:15], s[6:7]
                                        ; implicit-def: $vgpr4
                                        ; implicit-def: $vgpr5
	s_and_saveexec_b64 s[22:23], vcc
	s_cbranch_execz .LBB3622_160
; %bb.159:
	ds_read_u16 v4, v2 offset:896
	ds_read_u16 v5, v2 offset:1024
	v_cmp_lt_i64_e32 vcc, 7, v[0:1]
	s_andn2_b64 s[16:17], s[10:11], exec
	s_and_b64 s[24:25], vcc, exec
	s_xor_b64 s[20:21], exec, -1
	s_or_b64 s[14:15], s[6:7], exec
	s_or_b64 s[16:17], s[16:17], s[24:25]
                                        ; implicit-def: $vgpr3
.LBB3622_160:
	s_or_b64 exec, exec, s[22:23]
	s_andn2_b64 s[22:23], s[4:5], exec
	s_and_b64 s[20:21], s[20:21], exec
	s_or_b64 s[20:21], s[22:23], s[20:21]
	s_andn2_b64 s[22:23], s[6:7], exec
	s_and_b64 s[14:15], s[14:15], exec
	s_andn2_b64 s[10:11], s[10:11], exec
	s_and_b64 s[16:17], s[16:17], exec
	s_or_b64 s[14:15], s[22:23], s[14:15]
	s_or_b64 s[10:11], s[10:11], s[16:17]
.LBB3622_161:
	s_or_b64 exec, exec, s[12:13]
	s_andn2_b64 s[16:17], s[4:5], exec
	s_and_b64 s[20:21], s[20:21], exec
	s_or_b64 s[16:17], s[16:17], s[20:21]
	s_andn2_b64 s[20:21], s[6:7], exec
	s_and_b64 s[14:15], s[14:15], exec
	s_or_b64 s[14:15], s[20:21], s[14:15]
	s_andn2_b64 s[20:21], s[8:9], exec
	s_and_b64 s[10:11], s[10:11], exec
	s_xor_b64 s[12:13], exec, -1
	s_or_b64 s[10:11], s[20:21], s[10:11]
.LBB3622_162:
	s_or_b64 exec, exec, s[0:1]
	s_and_b64 s[0:1], s[12:13], exec
	s_andn2_b64 s[4:5], s[4:5], exec
	s_and_b64 s[12:13], s[16:17], exec
	s_or_b64 s[4:5], s[4:5], s[12:13]
	s_andn2_b64 s[6:7], s[6:7], exec
	s_and_b64 s[12:13], s[14:15], exec
	s_andn2_b64 s[8:9], s[8:9], exec
	s_and_b64 s[10:11], s[10:11], exec
	s_or_b64 s[6:7], s[6:7], s[12:13]
	s_or_b64 s[8:9], s[8:9], s[10:11]
	s_or_b64 exec, exec, s[2:3]
	s_and_saveexec_b64 s[2:3], s[8:9]
	s_cbranch_execz .LBB3622_97
.LBB3622_163:
	s_waitcnt lgkmcnt(0)
	v_mov_b32_e32 v3, 0
	s_andn2_b64 s[6:7], s[6:7], exec
	global_store_short v3, v5, s[18:19]
                                        ; implicit-def: $vgpr3
                                        ; implicit-def: $vgpr4
	s_or_b64 exec, exec, s[2:3]
	s_and_saveexec_b64 s[2:3], s[6:7]
	s_cbranch_execz .LBB3622_98
.LBB3622_164:
	s_waitcnt lgkmcnt(0)
	v_mov_b32_e32 v3, 0
	global_store_short v3, v4, s[18:19]
                                        ; implicit-def: $vgpr3
	s_or_b64 exec, exec, s[2:3]
	s_and_saveexec_b64 s[2:3], s[4:5]
	s_xor_b64 s[2:3], exec, s[2:3]
	s_cbranch_execz .LBB3622_99
.LBB3622_165:
	s_waitcnt lgkmcnt(0)
	v_mov_b32_e32 v4, 0
	global_store_short v4, v3, s[18:19]
	s_or_b64 exec, exec, s[2:3]
	s_and_b64 exec, exec, s[0:1]
	s_cbranch_execz .LBB3622_100
.LBB3622_166:
	v_cmp_lt_i64_e32 vcc, 2, v[0:1]
	s_and_saveexec_b64 s[0:1], vcc
	s_xor_b64 s[0:1], exec, s[0:1]
	s_cbranch_execz .LBB3622_176
; %bb.167:
	v_cmp_lt_i64_e32 vcc, 3, v[0:1]
	s_and_saveexec_b64 s[2:3], vcc
	s_xor_b64 s[2:3], exec, s[2:3]
	s_cbranch_execz .LBB3622_173
; %bb.168:
	;; [unrolled: 5-line block ×3, first 2 shown]
	ds_read_u16 v0, v2 offset:640
	v_mov_b32_e32 v1, 0
                                        ; implicit-def: $vgpr2
	s_waitcnt lgkmcnt(0)
	global_store_short v1, v0, s[18:19]
.LBB3622_170:
	s_andn2_saveexec_b64 s[4:5], s[4:5]
	s_cbranch_execz .LBB3622_172
; %bb.171:
	ds_read_u16 v0, v2 offset:512
	v_mov_b32_e32 v1, 0
	s_waitcnt lgkmcnt(0)
	global_store_short v1, v0, s[18:19]
.LBB3622_172:
	s_or_b64 exec, exec, s[4:5]
                                        ; implicit-def: $vgpr2
.LBB3622_173:
	s_andn2_saveexec_b64 s[2:3], s[2:3]
	s_cbranch_execz .LBB3622_175
; %bb.174:
	ds_read_u16 v0, v2 offset:384
	v_mov_b32_e32 v1, 0
	s_waitcnt lgkmcnt(0)
	global_store_short v1, v0, s[18:19]
.LBB3622_175:
	s_or_b64 exec, exec, s[2:3]
                                        ; implicit-def: $vgpr0_vgpr1
                                        ; implicit-def: $vgpr2
.LBB3622_176:
	s_andn2_saveexec_b64 s[0:1], s[0:1]
	s_cbranch_execz .LBB3622_100
; %bb.177:
	v_cmp_lt_i64_e32 vcc, 1, v[0:1]
	s_and_saveexec_b64 s[0:1], vcc
	s_xor_b64 s[0:1], exec, s[0:1]
	s_cbranch_execz .LBB3622_179
; %bb.178:
	ds_read_u16 v0, v2 offset:256
	v_mov_b32_e32 v1, 0
                                        ; implicit-def: $vgpr2
	s_waitcnt lgkmcnt(0)
	global_store_short v1, v0, s[18:19]
                                        ; implicit-def: $vgpr0_vgpr1
.LBB3622_179:
	s_andn2_saveexec_b64 s[0:1], s[0:1]
	s_cbranch_execz .LBB3622_100
; %bb.180:
	v_cmp_ne_u64_e32 vcc, 1, v[0:1]
	s_and_saveexec_b64 s[0:1], vcc
	s_xor_b64 s[0:1], exec, s[0:1]
	s_cbranch_execz .LBB3622_182
; %bb.181:
	ds_read_u16 v0, v2
	v_mov_b32_e32 v1, 0
                                        ; implicit-def: $vgpr2
	s_waitcnt lgkmcnt(0)
	global_store_short v1, v0, s[18:19]
.LBB3622_182:
	s_andn2_saveexec_b64 s[0:1], s[0:1]
	s_cbranch_execz .LBB3622_100
; %bb.183:
	ds_read_u16 v0, v2 offset:128
	v_mov_b32_e32 v1, 0
	s_waitcnt lgkmcnt(0)
	global_store_short v1, v0, s[18:19]
	s_endpgm
	.section	.rodata,"a",@progbits
	.p2align	6, 0x0
	.amdhsa_kernel _ZN7rocprim17ROCPRIM_400000_NS6detail17trampoline_kernelINS0_14default_configENS1_20scan_config_selectorItEEZZNS1_9scan_implILNS1_25lookback_scan_determinismE0ELb0ELb0ES3_N6thrust23THRUST_200600_302600_NS6detail15normal_iteratorINS9_10device_ptrItEEEENS9_16discard_iteratorINS9_11use_defaultEEEt11max_functorItEtEEDaPvRmT3_T4_T5_mT6_P12ihipStream_tbENKUlT_T0_E_clISt17integral_constantIbLb0EESW_IbLb1EEEEDaSS_ST_EUlSS_E_NS1_11comp_targetILNS1_3genE4ELNS1_11target_archE910ELNS1_3gpuE8ELNS1_3repE0EEENS1_30default_config_static_selectorELNS0_4arch9wavefront6targetE1EEEvT1_
		.amdhsa_group_segment_fixed_size 3072
		.amdhsa_private_segment_fixed_size 0
		.amdhsa_kernarg_size 104
		.amdhsa_user_sgpr_count 6
		.amdhsa_user_sgpr_private_segment_buffer 1
		.amdhsa_user_sgpr_dispatch_ptr 0
		.amdhsa_user_sgpr_queue_ptr 0
		.amdhsa_user_sgpr_kernarg_segment_ptr 1
		.amdhsa_user_sgpr_dispatch_id 0
		.amdhsa_user_sgpr_flat_scratch_init 0
		.amdhsa_user_sgpr_kernarg_preload_length 0
		.amdhsa_user_sgpr_kernarg_preload_offset 0
		.amdhsa_user_sgpr_private_segment_size 0
		.amdhsa_uses_dynamic_stack 0
		.amdhsa_system_sgpr_private_segment_wavefront_offset 0
		.amdhsa_system_sgpr_workgroup_id_x 1
		.amdhsa_system_sgpr_workgroup_id_y 0
		.amdhsa_system_sgpr_workgroup_id_z 0
		.amdhsa_system_sgpr_workgroup_info 0
		.amdhsa_system_vgpr_workitem_id 0
		.amdhsa_next_free_vgpr 56
		.amdhsa_next_free_sgpr 31
		.amdhsa_accum_offset 56
		.amdhsa_reserve_vcc 1
		.amdhsa_reserve_flat_scratch 0
		.amdhsa_float_round_mode_32 0
		.amdhsa_float_round_mode_16_64 0
		.amdhsa_float_denorm_mode_32 3
		.amdhsa_float_denorm_mode_16_64 3
		.amdhsa_dx10_clamp 1
		.amdhsa_ieee_mode 1
		.amdhsa_fp16_overflow 0
		.amdhsa_tg_split 0
		.amdhsa_exception_fp_ieee_invalid_op 0
		.amdhsa_exception_fp_denorm_src 0
		.amdhsa_exception_fp_ieee_div_zero 0
		.amdhsa_exception_fp_ieee_overflow 0
		.amdhsa_exception_fp_ieee_underflow 0
		.amdhsa_exception_fp_ieee_inexact 0
		.amdhsa_exception_int_div_zero 0
	.end_amdhsa_kernel
	.section	.text._ZN7rocprim17ROCPRIM_400000_NS6detail17trampoline_kernelINS0_14default_configENS1_20scan_config_selectorItEEZZNS1_9scan_implILNS1_25lookback_scan_determinismE0ELb0ELb0ES3_N6thrust23THRUST_200600_302600_NS6detail15normal_iteratorINS9_10device_ptrItEEEENS9_16discard_iteratorINS9_11use_defaultEEEt11max_functorItEtEEDaPvRmT3_T4_T5_mT6_P12ihipStream_tbENKUlT_T0_E_clISt17integral_constantIbLb0EESW_IbLb1EEEEDaSS_ST_EUlSS_E_NS1_11comp_targetILNS1_3genE4ELNS1_11target_archE910ELNS1_3gpuE8ELNS1_3repE0EEENS1_30default_config_static_selectorELNS0_4arch9wavefront6targetE1EEEvT1_,"axG",@progbits,_ZN7rocprim17ROCPRIM_400000_NS6detail17trampoline_kernelINS0_14default_configENS1_20scan_config_selectorItEEZZNS1_9scan_implILNS1_25lookback_scan_determinismE0ELb0ELb0ES3_N6thrust23THRUST_200600_302600_NS6detail15normal_iteratorINS9_10device_ptrItEEEENS9_16discard_iteratorINS9_11use_defaultEEEt11max_functorItEtEEDaPvRmT3_T4_T5_mT6_P12ihipStream_tbENKUlT_T0_E_clISt17integral_constantIbLb0EESW_IbLb1EEEEDaSS_ST_EUlSS_E_NS1_11comp_targetILNS1_3genE4ELNS1_11target_archE910ELNS1_3gpuE8ELNS1_3repE0EEENS1_30default_config_static_selectorELNS0_4arch9wavefront6targetE1EEEvT1_,comdat
.Lfunc_end3622:
	.size	_ZN7rocprim17ROCPRIM_400000_NS6detail17trampoline_kernelINS0_14default_configENS1_20scan_config_selectorItEEZZNS1_9scan_implILNS1_25lookback_scan_determinismE0ELb0ELb0ES3_N6thrust23THRUST_200600_302600_NS6detail15normal_iteratorINS9_10device_ptrItEEEENS9_16discard_iteratorINS9_11use_defaultEEEt11max_functorItEtEEDaPvRmT3_T4_T5_mT6_P12ihipStream_tbENKUlT_T0_E_clISt17integral_constantIbLb0EESW_IbLb1EEEEDaSS_ST_EUlSS_E_NS1_11comp_targetILNS1_3genE4ELNS1_11target_archE910ELNS1_3gpuE8ELNS1_3repE0EEENS1_30default_config_static_selectorELNS0_4arch9wavefront6targetE1EEEvT1_, .Lfunc_end3622-_ZN7rocprim17ROCPRIM_400000_NS6detail17trampoline_kernelINS0_14default_configENS1_20scan_config_selectorItEEZZNS1_9scan_implILNS1_25lookback_scan_determinismE0ELb0ELb0ES3_N6thrust23THRUST_200600_302600_NS6detail15normal_iteratorINS9_10device_ptrItEEEENS9_16discard_iteratorINS9_11use_defaultEEEt11max_functorItEtEEDaPvRmT3_T4_T5_mT6_P12ihipStream_tbENKUlT_T0_E_clISt17integral_constantIbLb0EESW_IbLb1EEEEDaSS_ST_EUlSS_E_NS1_11comp_targetILNS1_3genE4ELNS1_11target_archE910ELNS1_3gpuE8ELNS1_3repE0EEENS1_30default_config_static_selectorELNS0_4arch9wavefront6targetE1EEEvT1_
                                        ; -- End function
	.section	.AMDGPU.csdata,"",@progbits
; Kernel info:
; codeLenInByte = 6492
; NumSgprs: 35
; NumVgprs: 56
; NumAgprs: 0
; TotalNumVgprs: 56
; ScratchSize: 0
; MemoryBound: 0
; FloatMode: 240
; IeeeMode: 1
; LDSByteSize: 3072 bytes/workgroup (compile time only)
; SGPRBlocks: 4
; VGPRBlocks: 6
; NumSGPRsForWavesPerEU: 35
; NumVGPRsForWavesPerEU: 56
; AccumOffset: 56
; Occupancy: 6
; WaveLimiterHint : 1
; COMPUTE_PGM_RSRC2:SCRATCH_EN: 0
; COMPUTE_PGM_RSRC2:USER_SGPR: 6
; COMPUTE_PGM_RSRC2:TRAP_HANDLER: 0
; COMPUTE_PGM_RSRC2:TGID_X_EN: 1
; COMPUTE_PGM_RSRC2:TGID_Y_EN: 0
; COMPUTE_PGM_RSRC2:TGID_Z_EN: 0
; COMPUTE_PGM_RSRC2:TIDIG_COMP_CNT: 0
; COMPUTE_PGM_RSRC3_GFX90A:ACCUM_OFFSET: 13
; COMPUTE_PGM_RSRC3_GFX90A:TG_SPLIT: 0
	.section	.text._ZN7rocprim17ROCPRIM_400000_NS6detail17trampoline_kernelINS0_14default_configENS1_20scan_config_selectorItEEZZNS1_9scan_implILNS1_25lookback_scan_determinismE0ELb0ELb0ES3_N6thrust23THRUST_200600_302600_NS6detail15normal_iteratorINS9_10device_ptrItEEEENS9_16discard_iteratorINS9_11use_defaultEEEt11max_functorItEtEEDaPvRmT3_T4_T5_mT6_P12ihipStream_tbENKUlT_T0_E_clISt17integral_constantIbLb0EESW_IbLb1EEEEDaSS_ST_EUlSS_E_NS1_11comp_targetILNS1_3genE3ELNS1_11target_archE908ELNS1_3gpuE7ELNS1_3repE0EEENS1_30default_config_static_selectorELNS0_4arch9wavefront6targetE1EEEvT1_,"axG",@progbits,_ZN7rocprim17ROCPRIM_400000_NS6detail17trampoline_kernelINS0_14default_configENS1_20scan_config_selectorItEEZZNS1_9scan_implILNS1_25lookback_scan_determinismE0ELb0ELb0ES3_N6thrust23THRUST_200600_302600_NS6detail15normal_iteratorINS9_10device_ptrItEEEENS9_16discard_iteratorINS9_11use_defaultEEEt11max_functorItEtEEDaPvRmT3_T4_T5_mT6_P12ihipStream_tbENKUlT_T0_E_clISt17integral_constantIbLb0EESW_IbLb1EEEEDaSS_ST_EUlSS_E_NS1_11comp_targetILNS1_3genE3ELNS1_11target_archE908ELNS1_3gpuE7ELNS1_3repE0EEENS1_30default_config_static_selectorELNS0_4arch9wavefront6targetE1EEEvT1_,comdat
	.protected	_ZN7rocprim17ROCPRIM_400000_NS6detail17trampoline_kernelINS0_14default_configENS1_20scan_config_selectorItEEZZNS1_9scan_implILNS1_25lookback_scan_determinismE0ELb0ELb0ES3_N6thrust23THRUST_200600_302600_NS6detail15normal_iteratorINS9_10device_ptrItEEEENS9_16discard_iteratorINS9_11use_defaultEEEt11max_functorItEtEEDaPvRmT3_T4_T5_mT6_P12ihipStream_tbENKUlT_T0_E_clISt17integral_constantIbLb0EESW_IbLb1EEEEDaSS_ST_EUlSS_E_NS1_11comp_targetILNS1_3genE3ELNS1_11target_archE908ELNS1_3gpuE7ELNS1_3repE0EEENS1_30default_config_static_selectorELNS0_4arch9wavefront6targetE1EEEvT1_ ; -- Begin function _ZN7rocprim17ROCPRIM_400000_NS6detail17trampoline_kernelINS0_14default_configENS1_20scan_config_selectorItEEZZNS1_9scan_implILNS1_25lookback_scan_determinismE0ELb0ELb0ES3_N6thrust23THRUST_200600_302600_NS6detail15normal_iteratorINS9_10device_ptrItEEEENS9_16discard_iteratorINS9_11use_defaultEEEt11max_functorItEtEEDaPvRmT3_T4_T5_mT6_P12ihipStream_tbENKUlT_T0_E_clISt17integral_constantIbLb0EESW_IbLb1EEEEDaSS_ST_EUlSS_E_NS1_11comp_targetILNS1_3genE3ELNS1_11target_archE908ELNS1_3gpuE7ELNS1_3repE0EEENS1_30default_config_static_selectorELNS0_4arch9wavefront6targetE1EEEvT1_
	.globl	_ZN7rocprim17ROCPRIM_400000_NS6detail17trampoline_kernelINS0_14default_configENS1_20scan_config_selectorItEEZZNS1_9scan_implILNS1_25lookback_scan_determinismE0ELb0ELb0ES3_N6thrust23THRUST_200600_302600_NS6detail15normal_iteratorINS9_10device_ptrItEEEENS9_16discard_iteratorINS9_11use_defaultEEEt11max_functorItEtEEDaPvRmT3_T4_T5_mT6_P12ihipStream_tbENKUlT_T0_E_clISt17integral_constantIbLb0EESW_IbLb1EEEEDaSS_ST_EUlSS_E_NS1_11comp_targetILNS1_3genE3ELNS1_11target_archE908ELNS1_3gpuE7ELNS1_3repE0EEENS1_30default_config_static_selectorELNS0_4arch9wavefront6targetE1EEEvT1_
	.p2align	8
	.type	_ZN7rocprim17ROCPRIM_400000_NS6detail17trampoline_kernelINS0_14default_configENS1_20scan_config_selectorItEEZZNS1_9scan_implILNS1_25lookback_scan_determinismE0ELb0ELb0ES3_N6thrust23THRUST_200600_302600_NS6detail15normal_iteratorINS9_10device_ptrItEEEENS9_16discard_iteratorINS9_11use_defaultEEEt11max_functorItEtEEDaPvRmT3_T4_T5_mT6_P12ihipStream_tbENKUlT_T0_E_clISt17integral_constantIbLb0EESW_IbLb1EEEEDaSS_ST_EUlSS_E_NS1_11comp_targetILNS1_3genE3ELNS1_11target_archE908ELNS1_3gpuE7ELNS1_3repE0EEENS1_30default_config_static_selectorELNS0_4arch9wavefront6targetE1EEEvT1_,@function
_ZN7rocprim17ROCPRIM_400000_NS6detail17trampoline_kernelINS0_14default_configENS1_20scan_config_selectorItEEZZNS1_9scan_implILNS1_25lookback_scan_determinismE0ELb0ELb0ES3_N6thrust23THRUST_200600_302600_NS6detail15normal_iteratorINS9_10device_ptrItEEEENS9_16discard_iteratorINS9_11use_defaultEEEt11max_functorItEtEEDaPvRmT3_T4_T5_mT6_P12ihipStream_tbENKUlT_T0_E_clISt17integral_constantIbLb0EESW_IbLb1EEEEDaSS_ST_EUlSS_E_NS1_11comp_targetILNS1_3genE3ELNS1_11target_archE908ELNS1_3gpuE7ELNS1_3repE0EEENS1_30default_config_static_selectorELNS0_4arch9wavefront6targetE1EEEvT1_: ; @_ZN7rocprim17ROCPRIM_400000_NS6detail17trampoline_kernelINS0_14default_configENS1_20scan_config_selectorItEEZZNS1_9scan_implILNS1_25lookback_scan_determinismE0ELb0ELb0ES3_N6thrust23THRUST_200600_302600_NS6detail15normal_iteratorINS9_10device_ptrItEEEENS9_16discard_iteratorINS9_11use_defaultEEEt11max_functorItEtEEDaPvRmT3_T4_T5_mT6_P12ihipStream_tbENKUlT_T0_E_clISt17integral_constantIbLb0EESW_IbLb1EEEEDaSS_ST_EUlSS_E_NS1_11comp_targetILNS1_3genE3ELNS1_11target_archE908ELNS1_3gpuE7ELNS1_3repE0EEENS1_30default_config_static_selectorELNS0_4arch9wavefront6targetE1EEEvT1_
; %bb.0:
	.section	.rodata,"a",@progbits
	.p2align	6, 0x0
	.amdhsa_kernel _ZN7rocprim17ROCPRIM_400000_NS6detail17trampoline_kernelINS0_14default_configENS1_20scan_config_selectorItEEZZNS1_9scan_implILNS1_25lookback_scan_determinismE0ELb0ELb0ES3_N6thrust23THRUST_200600_302600_NS6detail15normal_iteratorINS9_10device_ptrItEEEENS9_16discard_iteratorINS9_11use_defaultEEEt11max_functorItEtEEDaPvRmT3_T4_T5_mT6_P12ihipStream_tbENKUlT_T0_E_clISt17integral_constantIbLb0EESW_IbLb1EEEEDaSS_ST_EUlSS_E_NS1_11comp_targetILNS1_3genE3ELNS1_11target_archE908ELNS1_3gpuE7ELNS1_3repE0EEENS1_30default_config_static_selectorELNS0_4arch9wavefront6targetE1EEEvT1_
		.amdhsa_group_segment_fixed_size 0
		.amdhsa_private_segment_fixed_size 0
		.amdhsa_kernarg_size 104
		.amdhsa_user_sgpr_count 6
		.amdhsa_user_sgpr_private_segment_buffer 1
		.amdhsa_user_sgpr_dispatch_ptr 0
		.amdhsa_user_sgpr_queue_ptr 0
		.amdhsa_user_sgpr_kernarg_segment_ptr 1
		.amdhsa_user_sgpr_dispatch_id 0
		.amdhsa_user_sgpr_flat_scratch_init 0
		.amdhsa_user_sgpr_kernarg_preload_length 0
		.amdhsa_user_sgpr_kernarg_preload_offset 0
		.amdhsa_user_sgpr_private_segment_size 0
		.amdhsa_uses_dynamic_stack 0
		.amdhsa_system_sgpr_private_segment_wavefront_offset 0
		.amdhsa_system_sgpr_workgroup_id_x 1
		.amdhsa_system_sgpr_workgroup_id_y 0
		.amdhsa_system_sgpr_workgroup_id_z 0
		.amdhsa_system_sgpr_workgroup_info 0
		.amdhsa_system_vgpr_workitem_id 0
		.amdhsa_next_free_vgpr 1
		.amdhsa_next_free_sgpr 0
		.amdhsa_accum_offset 4
		.amdhsa_reserve_vcc 0
		.amdhsa_reserve_flat_scratch 0
		.amdhsa_float_round_mode_32 0
		.amdhsa_float_round_mode_16_64 0
		.amdhsa_float_denorm_mode_32 3
		.amdhsa_float_denorm_mode_16_64 3
		.amdhsa_dx10_clamp 1
		.amdhsa_ieee_mode 1
		.amdhsa_fp16_overflow 0
		.amdhsa_tg_split 0
		.amdhsa_exception_fp_ieee_invalid_op 0
		.amdhsa_exception_fp_denorm_src 0
		.amdhsa_exception_fp_ieee_div_zero 0
		.amdhsa_exception_fp_ieee_overflow 0
		.amdhsa_exception_fp_ieee_underflow 0
		.amdhsa_exception_fp_ieee_inexact 0
		.amdhsa_exception_int_div_zero 0
	.end_amdhsa_kernel
	.section	.text._ZN7rocprim17ROCPRIM_400000_NS6detail17trampoline_kernelINS0_14default_configENS1_20scan_config_selectorItEEZZNS1_9scan_implILNS1_25lookback_scan_determinismE0ELb0ELb0ES3_N6thrust23THRUST_200600_302600_NS6detail15normal_iteratorINS9_10device_ptrItEEEENS9_16discard_iteratorINS9_11use_defaultEEEt11max_functorItEtEEDaPvRmT3_T4_T5_mT6_P12ihipStream_tbENKUlT_T0_E_clISt17integral_constantIbLb0EESW_IbLb1EEEEDaSS_ST_EUlSS_E_NS1_11comp_targetILNS1_3genE3ELNS1_11target_archE908ELNS1_3gpuE7ELNS1_3repE0EEENS1_30default_config_static_selectorELNS0_4arch9wavefront6targetE1EEEvT1_,"axG",@progbits,_ZN7rocprim17ROCPRIM_400000_NS6detail17trampoline_kernelINS0_14default_configENS1_20scan_config_selectorItEEZZNS1_9scan_implILNS1_25lookback_scan_determinismE0ELb0ELb0ES3_N6thrust23THRUST_200600_302600_NS6detail15normal_iteratorINS9_10device_ptrItEEEENS9_16discard_iteratorINS9_11use_defaultEEEt11max_functorItEtEEDaPvRmT3_T4_T5_mT6_P12ihipStream_tbENKUlT_T0_E_clISt17integral_constantIbLb0EESW_IbLb1EEEEDaSS_ST_EUlSS_E_NS1_11comp_targetILNS1_3genE3ELNS1_11target_archE908ELNS1_3gpuE7ELNS1_3repE0EEENS1_30default_config_static_selectorELNS0_4arch9wavefront6targetE1EEEvT1_,comdat
.Lfunc_end3623:
	.size	_ZN7rocprim17ROCPRIM_400000_NS6detail17trampoline_kernelINS0_14default_configENS1_20scan_config_selectorItEEZZNS1_9scan_implILNS1_25lookback_scan_determinismE0ELb0ELb0ES3_N6thrust23THRUST_200600_302600_NS6detail15normal_iteratorINS9_10device_ptrItEEEENS9_16discard_iteratorINS9_11use_defaultEEEt11max_functorItEtEEDaPvRmT3_T4_T5_mT6_P12ihipStream_tbENKUlT_T0_E_clISt17integral_constantIbLb0EESW_IbLb1EEEEDaSS_ST_EUlSS_E_NS1_11comp_targetILNS1_3genE3ELNS1_11target_archE908ELNS1_3gpuE7ELNS1_3repE0EEENS1_30default_config_static_selectorELNS0_4arch9wavefront6targetE1EEEvT1_, .Lfunc_end3623-_ZN7rocprim17ROCPRIM_400000_NS6detail17trampoline_kernelINS0_14default_configENS1_20scan_config_selectorItEEZZNS1_9scan_implILNS1_25lookback_scan_determinismE0ELb0ELb0ES3_N6thrust23THRUST_200600_302600_NS6detail15normal_iteratorINS9_10device_ptrItEEEENS9_16discard_iteratorINS9_11use_defaultEEEt11max_functorItEtEEDaPvRmT3_T4_T5_mT6_P12ihipStream_tbENKUlT_T0_E_clISt17integral_constantIbLb0EESW_IbLb1EEEEDaSS_ST_EUlSS_E_NS1_11comp_targetILNS1_3genE3ELNS1_11target_archE908ELNS1_3gpuE7ELNS1_3repE0EEENS1_30default_config_static_selectorELNS0_4arch9wavefront6targetE1EEEvT1_
                                        ; -- End function
	.section	.AMDGPU.csdata,"",@progbits
; Kernel info:
; codeLenInByte = 0
; NumSgprs: 4
; NumVgprs: 0
; NumAgprs: 0
; TotalNumVgprs: 0
; ScratchSize: 0
; MemoryBound: 0
; FloatMode: 240
; IeeeMode: 1
; LDSByteSize: 0 bytes/workgroup (compile time only)
; SGPRBlocks: 0
; VGPRBlocks: 0
; NumSGPRsForWavesPerEU: 4
; NumVGPRsForWavesPerEU: 1
; AccumOffset: 4
; Occupancy: 8
; WaveLimiterHint : 0
; COMPUTE_PGM_RSRC2:SCRATCH_EN: 0
; COMPUTE_PGM_RSRC2:USER_SGPR: 6
; COMPUTE_PGM_RSRC2:TRAP_HANDLER: 0
; COMPUTE_PGM_RSRC2:TGID_X_EN: 1
; COMPUTE_PGM_RSRC2:TGID_Y_EN: 0
; COMPUTE_PGM_RSRC2:TGID_Z_EN: 0
; COMPUTE_PGM_RSRC2:TIDIG_COMP_CNT: 0
; COMPUTE_PGM_RSRC3_GFX90A:ACCUM_OFFSET: 0
; COMPUTE_PGM_RSRC3_GFX90A:TG_SPLIT: 0
	.section	.text._ZN7rocprim17ROCPRIM_400000_NS6detail17trampoline_kernelINS0_14default_configENS1_20scan_config_selectorItEEZZNS1_9scan_implILNS1_25lookback_scan_determinismE0ELb0ELb0ES3_N6thrust23THRUST_200600_302600_NS6detail15normal_iteratorINS9_10device_ptrItEEEENS9_16discard_iteratorINS9_11use_defaultEEEt11max_functorItEtEEDaPvRmT3_T4_T5_mT6_P12ihipStream_tbENKUlT_T0_E_clISt17integral_constantIbLb0EESW_IbLb1EEEEDaSS_ST_EUlSS_E_NS1_11comp_targetILNS1_3genE2ELNS1_11target_archE906ELNS1_3gpuE6ELNS1_3repE0EEENS1_30default_config_static_selectorELNS0_4arch9wavefront6targetE1EEEvT1_,"axG",@progbits,_ZN7rocprim17ROCPRIM_400000_NS6detail17trampoline_kernelINS0_14default_configENS1_20scan_config_selectorItEEZZNS1_9scan_implILNS1_25lookback_scan_determinismE0ELb0ELb0ES3_N6thrust23THRUST_200600_302600_NS6detail15normal_iteratorINS9_10device_ptrItEEEENS9_16discard_iteratorINS9_11use_defaultEEEt11max_functorItEtEEDaPvRmT3_T4_T5_mT6_P12ihipStream_tbENKUlT_T0_E_clISt17integral_constantIbLb0EESW_IbLb1EEEEDaSS_ST_EUlSS_E_NS1_11comp_targetILNS1_3genE2ELNS1_11target_archE906ELNS1_3gpuE6ELNS1_3repE0EEENS1_30default_config_static_selectorELNS0_4arch9wavefront6targetE1EEEvT1_,comdat
	.protected	_ZN7rocprim17ROCPRIM_400000_NS6detail17trampoline_kernelINS0_14default_configENS1_20scan_config_selectorItEEZZNS1_9scan_implILNS1_25lookback_scan_determinismE0ELb0ELb0ES3_N6thrust23THRUST_200600_302600_NS6detail15normal_iteratorINS9_10device_ptrItEEEENS9_16discard_iteratorINS9_11use_defaultEEEt11max_functorItEtEEDaPvRmT3_T4_T5_mT6_P12ihipStream_tbENKUlT_T0_E_clISt17integral_constantIbLb0EESW_IbLb1EEEEDaSS_ST_EUlSS_E_NS1_11comp_targetILNS1_3genE2ELNS1_11target_archE906ELNS1_3gpuE6ELNS1_3repE0EEENS1_30default_config_static_selectorELNS0_4arch9wavefront6targetE1EEEvT1_ ; -- Begin function _ZN7rocprim17ROCPRIM_400000_NS6detail17trampoline_kernelINS0_14default_configENS1_20scan_config_selectorItEEZZNS1_9scan_implILNS1_25lookback_scan_determinismE0ELb0ELb0ES3_N6thrust23THRUST_200600_302600_NS6detail15normal_iteratorINS9_10device_ptrItEEEENS9_16discard_iteratorINS9_11use_defaultEEEt11max_functorItEtEEDaPvRmT3_T4_T5_mT6_P12ihipStream_tbENKUlT_T0_E_clISt17integral_constantIbLb0EESW_IbLb1EEEEDaSS_ST_EUlSS_E_NS1_11comp_targetILNS1_3genE2ELNS1_11target_archE906ELNS1_3gpuE6ELNS1_3repE0EEENS1_30default_config_static_selectorELNS0_4arch9wavefront6targetE1EEEvT1_
	.globl	_ZN7rocprim17ROCPRIM_400000_NS6detail17trampoline_kernelINS0_14default_configENS1_20scan_config_selectorItEEZZNS1_9scan_implILNS1_25lookback_scan_determinismE0ELb0ELb0ES3_N6thrust23THRUST_200600_302600_NS6detail15normal_iteratorINS9_10device_ptrItEEEENS9_16discard_iteratorINS9_11use_defaultEEEt11max_functorItEtEEDaPvRmT3_T4_T5_mT6_P12ihipStream_tbENKUlT_T0_E_clISt17integral_constantIbLb0EESW_IbLb1EEEEDaSS_ST_EUlSS_E_NS1_11comp_targetILNS1_3genE2ELNS1_11target_archE906ELNS1_3gpuE6ELNS1_3repE0EEENS1_30default_config_static_selectorELNS0_4arch9wavefront6targetE1EEEvT1_
	.p2align	8
	.type	_ZN7rocprim17ROCPRIM_400000_NS6detail17trampoline_kernelINS0_14default_configENS1_20scan_config_selectorItEEZZNS1_9scan_implILNS1_25lookback_scan_determinismE0ELb0ELb0ES3_N6thrust23THRUST_200600_302600_NS6detail15normal_iteratorINS9_10device_ptrItEEEENS9_16discard_iteratorINS9_11use_defaultEEEt11max_functorItEtEEDaPvRmT3_T4_T5_mT6_P12ihipStream_tbENKUlT_T0_E_clISt17integral_constantIbLb0EESW_IbLb1EEEEDaSS_ST_EUlSS_E_NS1_11comp_targetILNS1_3genE2ELNS1_11target_archE906ELNS1_3gpuE6ELNS1_3repE0EEENS1_30default_config_static_selectorELNS0_4arch9wavefront6targetE1EEEvT1_,@function
_ZN7rocprim17ROCPRIM_400000_NS6detail17trampoline_kernelINS0_14default_configENS1_20scan_config_selectorItEEZZNS1_9scan_implILNS1_25lookback_scan_determinismE0ELb0ELb0ES3_N6thrust23THRUST_200600_302600_NS6detail15normal_iteratorINS9_10device_ptrItEEEENS9_16discard_iteratorINS9_11use_defaultEEEt11max_functorItEtEEDaPvRmT3_T4_T5_mT6_P12ihipStream_tbENKUlT_T0_E_clISt17integral_constantIbLb0EESW_IbLb1EEEEDaSS_ST_EUlSS_E_NS1_11comp_targetILNS1_3genE2ELNS1_11target_archE906ELNS1_3gpuE6ELNS1_3repE0EEENS1_30default_config_static_selectorELNS0_4arch9wavefront6targetE1EEEvT1_: ; @_ZN7rocprim17ROCPRIM_400000_NS6detail17trampoline_kernelINS0_14default_configENS1_20scan_config_selectorItEEZZNS1_9scan_implILNS1_25lookback_scan_determinismE0ELb0ELb0ES3_N6thrust23THRUST_200600_302600_NS6detail15normal_iteratorINS9_10device_ptrItEEEENS9_16discard_iteratorINS9_11use_defaultEEEt11max_functorItEtEEDaPvRmT3_T4_T5_mT6_P12ihipStream_tbENKUlT_T0_E_clISt17integral_constantIbLb0EESW_IbLb1EEEEDaSS_ST_EUlSS_E_NS1_11comp_targetILNS1_3genE2ELNS1_11target_archE906ELNS1_3gpuE6ELNS1_3repE0EEENS1_30default_config_static_selectorELNS0_4arch9wavefront6targetE1EEEvT1_
; %bb.0:
	.section	.rodata,"a",@progbits
	.p2align	6, 0x0
	.amdhsa_kernel _ZN7rocprim17ROCPRIM_400000_NS6detail17trampoline_kernelINS0_14default_configENS1_20scan_config_selectorItEEZZNS1_9scan_implILNS1_25lookback_scan_determinismE0ELb0ELb0ES3_N6thrust23THRUST_200600_302600_NS6detail15normal_iteratorINS9_10device_ptrItEEEENS9_16discard_iteratorINS9_11use_defaultEEEt11max_functorItEtEEDaPvRmT3_T4_T5_mT6_P12ihipStream_tbENKUlT_T0_E_clISt17integral_constantIbLb0EESW_IbLb1EEEEDaSS_ST_EUlSS_E_NS1_11comp_targetILNS1_3genE2ELNS1_11target_archE906ELNS1_3gpuE6ELNS1_3repE0EEENS1_30default_config_static_selectorELNS0_4arch9wavefront6targetE1EEEvT1_
		.amdhsa_group_segment_fixed_size 0
		.amdhsa_private_segment_fixed_size 0
		.amdhsa_kernarg_size 104
		.amdhsa_user_sgpr_count 6
		.amdhsa_user_sgpr_private_segment_buffer 1
		.amdhsa_user_sgpr_dispatch_ptr 0
		.amdhsa_user_sgpr_queue_ptr 0
		.amdhsa_user_sgpr_kernarg_segment_ptr 1
		.amdhsa_user_sgpr_dispatch_id 0
		.amdhsa_user_sgpr_flat_scratch_init 0
		.amdhsa_user_sgpr_kernarg_preload_length 0
		.amdhsa_user_sgpr_kernarg_preload_offset 0
		.amdhsa_user_sgpr_private_segment_size 0
		.amdhsa_uses_dynamic_stack 0
		.amdhsa_system_sgpr_private_segment_wavefront_offset 0
		.amdhsa_system_sgpr_workgroup_id_x 1
		.amdhsa_system_sgpr_workgroup_id_y 0
		.amdhsa_system_sgpr_workgroup_id_z 0
		.amdhsa_system_sgpr_workgroup_info 0
		.amdhsa_system_vgpr_workitem_id 0
		.amdhsa_next_free_vgpr 1
		.amdhsa_next_free_sgpr 0
		.amdhsa_accum_offset 4
		.amdhsa_reserve_vcc 0
		.amdhsa_reserve_flat_scratch 0
		.amdhsa_float_round_mode_32 0
		.amdhsa_float_round_mode_16_64 0
		.amdhsa_float_denorm_mode_32 3
		.amdhsa_float_denorm_mode_16_64 3
		.amdhsa_dx10_clamp 1
		.amdhsa_ieee_mode 1
		.amdhsa_fp16_overflow 0
		.amdhsa_tg_split 0
		.amdhsa_exception_fp_ieee_invalid_op 0
		.amdhsa_exception_fp_denorm_src 0
		.amdhsa_exception_fp_ieee_div_zero 0
		.amdhsa_exception_fp_ieee_overflow 0
		.amdhsa_exception_fp_ieee_underflow 0
		.amdhsa_exception_fp_ieee_inexact 0
		.amdhsa_exception_int_div_zero 0
	.end_amdhsa_kernel
	.section	.text._ZN7rocprim17ROCPRIM_400000_NS6detail17trampoline_kernelINS0_14default_configENS1_20scan_config_selectorItEEZZNS1_9scan_implILNS1_25lookback_scan_determinismE0ELb0ELb0ES3_N6thrust23THRUST_200600_302600_NS6detail15normal_iteratorINS9_10device_ptrItEEEENS9_16discard_iteratorINS9_11use_defaultEEEt11max_functorItEtEEDaPvRmT3_T4_T5_mT6_P12ihipStream_tbENKUlT_T0_E_clISt17integral_constantIbLb0EESW_IbLb1EEEEDaSS_ST_EUlSS_E_NS1_11comp_targetILNS1_3genE2ELNS1_11target_archE906ELNS1_3gpuE6ELNS1_3repE0EEENS1_30default_config_static_selectorELNS0_4arch9wavefront6targetE1EEEvT1_,"axG",@progbits,_ZN7rocprim17ROCPRIM_400000_NS6detail17trampoline_kernelINS0_14default_configENS1_20scan_config_selectorItEEZZNS1_9scan_implILNS1_25lookback_scan_determinismE0ELb0ELb0ES3_N6thrust23THRUST_200600_302600_NS6detail15normal_iteratorINS9_10device_ptrItEEEENS9_16discard_iteratorINS9_11use_defaultEEEt11max_functorItEtEEDaPvRmT3_T4_T5_mT6_P12ihipStream_tbENKUlT_T0_E_clISt17integral_constantIbLb0EESW_IbLb1EEEEDaSS_ST_EUlSS_E_NS1_11comp_targetILNS1_3genE2ELNS1_11target_archE906ELNS1_3gpuE6ELNS1_3repE0EEENS1_30default_config_static_selectorELNS0_4arch9wavefront6targetE1EEEvT1_,comdat
.Lfunc_end3624:
	.size	_ZN7rocprim17ROCPRIM_400000_NS6detail17trampoline_kernelINS0_14default_configENS1_20scan_config_selectorItEEZZNS1_9scan_implILNS1_25lookback_scan_determinismE0ELb0ELb0ES3_N6thrust23THRUST_200600_302600_NS6detail15normal_iteratorINS9_10device_ptrItEEEENS9_16discard_iteratorINS9_11use_defaultEEEt11max_functorItEtEEDaPvRmT3_T4_T5_mT6_P12ihipStream_tbENKUlT_T0_E_clISt17integral_constantIbLb0EESW_IbLb1EEEEDaSS_ST_EUlSS_E_NS1_11comp_targetILNS1_3genE2ELNS1_11target_archE906ELNS1_3gpuE6ELNS1_3repE0EEENS1_30default_config_static_selectorELNS0_4arch9wavefront6targetE1EEEvT1_, .Lfunc_end3624-_ZN7rocprim17ROCPRIM_400000_NS6detail17trampoline_kernelINS0_14default_configENS1_20scan_config_selectorItEEZZNS1_9scan_implILNS1_25lookback_scan_determinismE0ELb0ELb0ES3_N6thrust23THRUST_200600_302600_NS6detail15normal_iteratorINS9_10device_ptrItEEEENS9_16discard_iteratorINS9_11use_defaultEEEt11max_functorItEtEEDaPvRmT3_T4_T5_mT6_P12ihipStream_tbENKUlT_T0_E_clISt17integral_constantIbLb0EESW_IbLb1EEEEDaSS_ST_EUlSS_E_NS1_11comp_targetILNS1_3genE2ELNS1_11target_archE906ELNS1_3gpuE6ELNS1_3repE0EEENS1_30default_config_static_selectorELNS0_4arch9wavefront6targetE1EEEvT1_
                                        ; -- End function
	.section	.AMDGPU.csdata,"",@progbits
; Kernel info:
; codeLenInByte = 0
; NumSgprs: 4
; NumVgprs: 0
; NumAgprs: 0
; TotalNumVgprs: 0
; ScratchSize: 0
; MemoryBound: 0
; FloatMode: 240
; IeeeMode: 1
; LDSByteSize: 0 bytes/workgroup (compile time only)
; SGPRBlocks: 0
; VGPRBlocks: 0
; NumSGPRsForWavesPerEU: 4
; NumVGPRsForWavesPerEU: 1
; AccumOffset: 4
; Occupancy: 8
; WaveLimiterHint : 0
; COMPUTE_PGM_RSRC2:SCRATCH_EN: 0
; COMPUTE_PGM_RSRC2:USER_SGPR: 6
; COMPUTE_PGM_RSRC2:TRAP_HANDLER: 0
; COMPUTE_PGM_RSRC2:TGID_X_EN: 1
; COMPUTE_PGM_RSRC2:TGID_Y_EN: 0
; COMPUTE_PGM_RSRC2:TGID_Z_EN: 0
; COMPUTE_PGM_RSRC2:TIDIG_COMP_CNT: 0
; COMPUTE_PGM_RSRC3_GFX90A:ACCUM_OFFSET: 0
; COMPUTE_PGM_RSRC3_GFX90A:TG_SPLIT: 0
	.section	.text._ZN7rocprim17ROCPRIM_400000_NS6detail17trampoline_kernelINS0_14default_configENS1_20scan_config_selectorItEEZZNS1_9scan_implILNS1_25lookback_scan_determinismE0ELb0ELb0ES3_N6thrust23THRUST_200600_302600_NS6detail15normal_iteratorINS9_10device_ptrItEEEENS9_16discard_iteratorINS9_11use_defaultEEEt11max_functorItEtEEDaPvRmT3_T4_T5_mT6_P12ihipStream_tbENKUlT_T0_E_clISt17integral_constantIbLb0EESW_IbLb1EEEEDaSS_ST_EUlSS_E_NS1_11comp_targetILNS1_3genE10ELNS1_11target_archE1201ELNS1_3gpuE5ELNS1_3repE0EEENS1_30default_config_static_selectorELNS0_4arch9wavefront6targetE1EEEvT1_,"axG",@progbits,_ZN7rocprim17ROCPRIM_400000_NS6detail17trampoline_kernelINS0_14default_configENS1_20scan_config_selectorItEEZZNS1_9scan_implILNS1_25lookback_scan_determinismE0ELb0ELb0ES3_N6thrust23THRUST_200600_302600_NS6detail15normal_iteratorINS9_10device_ptrItEEEENS9_16discard_iteratorINS9_11use_defaultEEEt11max_functorItEtEEDaPvRmT3_T4_T5_mT6_P12ihipStream_tbENKUlT_T0_E_clISt17integral_constantIbLb0EESW_IbLb1EEEEDaSS_ST_EUlSS_E_NS1_11comp_targetILNS1_3genE10ELNS1_11target_archE1201ELNS1_3gpuE5ELNS1_3repE0EEENS1_30default_config_static_selectorELNS0_4arch9wavefront6targetE1EEEvT1_,comdat
	.protected	_ZN7rocprim17ROCPRIM_400000_NS6detail17trampoline_kernelINS0_14default_configENS1_20scan_config_selectorItEEZZNS1_9scan_implILNS1_25lookback_scan_determinismE0ELb0ELb0ES3_N6thrust23THRUST_200600_302600_NS6detail15normal_iteratorINS9_10device_ptrItEEEENS9_16discard_iteratorINS9_11use_defaultEEEt11max_functorItEtEEDaPvRmT3_T4_T5_mT6_P12ihipStream_tbENKUlT_T0_E_clISt17integral_constantIbLb0EESW_IbLb1EEEEDaSS_ST_EUlSS_E_NS1_11comp_targetILNS1_3genE10ELNS1_11target_archE1201ELNS1_3gpuE5ELNS1_3repE0EEENS1_30default_config_static_selectorELNS0_4arch9wavefront6targetE1EEEvT1_ ; -- Begin function _ZN7rocprim17ROCPRIM_400000_NS6detail17trampoline_kernelINS0_14default_configENS1_20scan_config_selectorItEEZZNS1_9scan_implILNS1_25lookback_scan_determinismE0ELb0ELb0ES3_N6thrust23THRUST_200600_302600_NS6detail15normal_iteratorINS9_10device_ptrItEEEENS9_16discard_iteratorINS9_11use_defaultEEEt11max_functorItEtEEDaPvRmT3_T4_T5_mT6_P12ihipStream_tbENKUlT_T0_E_clISt17integral_constantIbLb0EESW_IbLb1EEEEDaSS_ST_EUlSS_E_NS1_11comp_targetILNS1_3genE10ELNS1_11target_archE1201ELNS1_3gpuE5ELNS1_3repE0EEENS1_30default_config_static_selectorELNS0_4arch9wavefront6targetE1EEEvT1_
	.globl	_ZN7rocprim17ROCPRIM_400000_NS6detail17trampoline_kernelINS0_14default_configENS1_20scan_config_selectorItEEZZNS1_9scan_implILNS1_25lookback_scan_determinismE0ELb0ELb0ES3_N6thrust23THRUST_200600_302600_NS6detail15normal_iteratorINS9_10device_ptrItEEEENS9_16discard_iteratorINS9_11use_defaultEEEt11max_functorItEtEEDaPvRmT3_T4_T5_mT6_P12ihipStream_tbENKUlT_T0_E_clISt17integral_constantIbLb0EESW_IbLb1EEEEDaSS_ST_EUlSS_E_NS1_11comp_targetILNS1_3genE10ELNS1_11target_archE1201ELNS1_3gpuE5ELNS1_3repE0EEENS1_30default_config_static_selectorELNS0_4arch9wavefront6targetE1EEEvT1_
	.p2align	8
	.type	_ZN7rocprim17ROCPRIM_400000_NS6detail17trampoline_kernelINS0_14default_configENS1_20scan_config_selectorItEEZZNS1_9scan_implILNS1_25lookback_scan_determinismE0ELb0ELb0ES3_N6thrust23THRUST_200600_302600_NS6detail15normal_iteratorINS9_10device_ptrItEEEENS9_16discard_iteratorINS9_11use_defaultEEEt11max_functorItEtEEDaPvRmT3_T4_T5_mT6_P12ihipStream_tbENKUlT_T0_E_clISt17integral_constantIbLb0EESW_IbLb1EEEEDaSS_ST_EUlSS_E_NS1_11comp_targetILNS1_3genE10ELNS1_11target_archE1201ELNS1_3gpuE5ELNS1_3repE0EEENS1_30default_config_static_selectorELNS0_4arch9wavefront6targetE1EEEvT1_,@function
_ZN7rocprim17ROCPRIM_400000_NS6detail17trampoline_kernelINS0_14default_configENS1_20scan_config_selectorItEEZZNS1_9scan_implILNS1_25lookback_scan_determinismE0ELb0ELb0ES3_N6thrust23THRUST_200600_302600_NS6detail15normal_iteratorINS9_10device_ptrItEEEENS9_16discard_iteratorINS9_11use_defaultEEEt11max_functorItEtEEDaPvRmT3_T4_T5_mT6_P12ihipStream_tbENKUlT_T0_E_clISt17integral_constantIbLb0EESW_IbLb1EEEEDaSS_ST_EUlSS_E_NS1_11comp_targetILNS1_3genE10ELNS1_11target_archE1201ELNS1_3gpuE5ELNS1_3repE0EEENS1_30default_config_static_selectorELNS0_4arch9wavefront6targetE1EEEvT1_: ; @_ZN7rocprim17ROCPRIM_400000_NS6detail17trampoline_kernelINS0_14default_configENS1_20scan_config_selectorItEEZZNS1_9scan_implILNS1_25lookback_scan_determinismE0ELb0ELb0ES3_N6thrust23THRUST_200600_302600_NS6detail15normal_iteratorINS9_10device_ptrItEEEENS9_16discard_iteratorINS9_11use_defaultEEEt11max_functorItEtEEDaPvRmT3_T4_T5_mT6_P12ihipStream_tbENKUlT_T0_E_clISt17integral_constantIbLb0EESW_IbLb1EEEEDaSS_ST_EUlSS_E_NS1_11comp_targetILNS1_3genE10ELNS1_11target_archE1201ELNS1_3gpuE5ELNS1_3repE0EEENS1_30default_config_static_selectorELNS0_4arch9wavefront6targetE1EEEvT1_
; %bb.0:
	.section	.rodata,"a",@progbits
	.p2align	6, 0x0
	.amdhsa_kernel _ZN7rocprim17ROCPRIM_400000_NS6detail17trampoline_kernelINS0_14default_configENS1_20scan_config_selectorItEEZZNS1_9scan_implILNS1_25lookback_scan_determinismE0ELb0ELb0ES3_N6thrust23THRUST_200600_302600_NS6detail15normal_iteratorINS9_10device_ptrItEEEENS9_16discard_iteratorINS9_11use_defaultEEEt11max_functorItEtEEDaPvRmT3_T4_T5_mT6_P12ihipStream_tbENKUlT_T0_E_clISt17integral_constantIbLb0EESW_IbLb1EEEEDaSS_ST_EUlSS_E_NS1_11comp_targetILNS1_3genE10ELNS1_11target_archE1201ELNS1_3gpuE5ELNS1_3repE0EEENS1_30default_config_static_selectorELNS0_4arch9wavefront6targetE1EEEvT1_
		.amdhsa_group_segment_fixed_size 0
		.amdhsa_private_segment_fixed_size 0
		.amdhsa_kernarg_size 104
		.amdhsa_user_sgpr_count 6
		.amdhsa_user_sgpr_private_segment_buffer 1
		.amdhsa_user_sgpr_dispatch_ptr 0
		.amdhsa_user_sgpr_queue_ptr 0
		.amdhsa_user_sgpr_kernarg_segment_ptr 1
		.amdhsa_user_sgpr_dispatch_id 0
		.amdhsa_user_sgpr_flat_scratch_init 0
		.amdhsa_user_sgpr_kernarg_preload_length 0
		.amdhsa_user_sgpr_kernarg_preload_offset 0
		.amdhsa_user_sgpr_private_segment_size 0
		.amdhsa_uses_dynamic_stack 0
		.amdhsa_system_sgpr_private_segment_wavefront_offset 0
		.amdhsa_system_sgpr_workgroup_id_x 1
		.amdhsa_system_sgpr_workgroup_id_y 0
		.amdhsa_system_sgpr_workgroup_id_z 0
		.amdhsa_system_sgpr_workgroup_info 0
		.amdhsa_system_vgpr_workitem_id 0
		.amdhsa_next_free_vgpr 1
		.amdhsa_next_free_sgpr 0
		.amdhsa_accum_offset 4
		.amdhsa_reserve_vcc 0
		.amdhsa_reserve_flat_scratch 0
		.amdhsa_float_round_mode_32 0
		.amdhsa_float_round_mode_16_64 0
		.amdhsa_float_denorm_mode_32 3
		.amdhsa_float_denorm_mode_16_64 3
		.amdhsa_dx10_clamp 1
		.amdhsa_ieee_mode 1
		.amdhsa_fp16_overflow 0
		.amdhsa_tg_split 0
		.amdhsa_exception_fp_ieee_invalid_op 0
		.amdhsa_exception_fp_denorm_src 0
		.amdhsa_exception_fp_ieee_div_zero 0
		.amdhsa_exception_fp_ieee_overflow 0
		.amdhsa_exception_fp_ieee_underflow 0
		.amdhsa_exception_fp_ieee_inexact 0
		.amdhsa_exception_int_div_zero 0
	.end_amdhsa_kernel
	.section	.text._ZN7rocprim17ROCPRIM_400000_NS6detail17trampoline_kernelINS0_14default_configENS1_20scan_config_selectorItEEZZNS1_9scan_implILNS1_25lookback_scan_determinismE0ELb0ELb0ES3_N6thrust23THRUST_200600_302600_NS6detail15normal_iteratorINS9_10device_ptrItEEEENS9_16discard_iteratorINS9_11use_defaultEEEt11max_functorItEtEEDaPvRmT3_T4_T5_mT6_P12ihipStream_tbENKUlT_T0_E_clISt17integral_constantIbLb0EESW_IbLb1EEEEDaSS_ST_EUlSS_E_NS1_11comp_targetILNS1_3genE10ELNS1_11target_archE1201ELNS1_3gpuE5ELNS1_3repE0EEENS1_30default_config_static_selectorELNS0_4arch9wavefront6targetE1EEEvT1_,"axG",@progbits,_ZN7rocprim17ROCPRIM_400000_NS6detail17trampoline_kernelINS0_14default_configENS1_20scan_config_selectorItEEZZNS1_9scan_implILNS1_25lookback_scan_determinismE0ELb0ELb0ES3_N6thrust23THRUST_200600_302600_NS6detail15normal_iteratorINS9_10device_ptrItEEEENS9_16discard_iteratorINS9_11use_defaultEEEt11max_functorItEtEEDaPvRmT3_T4_T5_mT6_P12ihipStream_tbENKUlT_T0_E_clISt17integral_constantIbLb0EESW_IbLb1EEEEDaSS_ST_EUlSS_E_NS1_11comp_targetILNS1_3genE10ELNS1_11target_archE1201ELNS1_3gpuE5ELNS1_3repE0EEENS1_30default_config_static_selectorELNS0_4arch9wavefront6targetE1EEEvT1_,comdat
.Lfunc_end3625:
	.size	_ZN7rocprim17ROCPRIM_400000_NS6detail17trampoline_kernelINS0_14default_configENS1_20scan_config_selectorItEEZZNS1_9scan_implILNS1_25lookback_scan_determinismE0ELb0ELb0ES3_N6thrust23THRUST_200600_302600_NS6detail15normal_iteratorINS9_10device_ptrItEEEENS9_16discard_iteratorINS9_11use_defaultEEEt11max_functorItEtEEDaPvRmT3_T4_T5_mT6_P12ihipStream_tbENKUlT_T0_E_clISt17integral_constantIbLb0EESW_IbLb1EEEEDaSS_ST_EUlSS_E_NS1_11comp_targetILNS1_3genE10ELNS1_11target_archE1201ELNS1_3gpuE5ELNS1_3repE0EEENS1_30default_config_static_selectorELNS0_4arch9wavefront6targetE1EEEvT1_, .Lfunc_end3625-_ZN7rocprim17ROCPRIM_400000_NS6detail17trampoline_kernelINS0_14default_configENS1_20scan_config_selectorItEEZZNS1_9scan_implILNS1_25lookback_scan_determinismE0ELb0ELb0ES3_N6thrust23THRUST_200600_302600_NS6detail15normal_iteratorINS9_10device_ptrItEEEENS9_16discard_iteratorINS9_11use_defaultEEEt11max_functorItEtEEDaPvRmT3_T4_T5_mT6_P12ihipStream_tbENKUlT_T0_E_clISt17integral_constantIbLb0EESW_IbLb1EEEEDaSS_ST_EUlSS_E_NS1_11comp_targetILNS1_3genE10ELNS1_11target_archE1201ELNS1_3gpuE5ELNS1_3repE0EEENS1_30default_config_static_selectorELNS0_4arch9wavefront6targetE1EEEvT1_
                                        ; -- End function
	.section	.AMDGPU.csdata,"",@progbits
; Kernel info:
; codeLenInByte = 0
; NumSgprs: 4
; NumVgprs: 0
; NumAgprs: 0
; TotalNumVgprs: 0
; ScratchSize: 0
; MemoryBound: 0
; FloatMode: 240
; IeeeMode: 1
; LDSByteSize: 0 bytes/workgroup (compile time only)
; SGPRBlocks: 0
; VGPRBlocks: 0
; NumSGPRsForWavesPerEU: 4
; NumVGPRsForWavesPerEU: 1
; AccumOffset: 4
; Occupancy: 8
; WaveLimiterHint : 0
; COMPUTE_PGM_RSRC2:SCRATCH_EN: 0
; COMPUTE_PGM_RSRC2:USER_SGPR: 6
; COMPUTE_PGM_RSRC2:TRAP_HANDLER: 0
; COMPUTE_PGM_RSRC2:TGID_X_EN: 1
; COMPUTE_PGM_RSRC2:TGID_Y_EN: 0
; COMPUTE_PGM_RSRC2:TGID_Z_EN: 0
; COMPUTE_PGM_RSRC2:TIDIG_COMP_CNT: 0
; COMPUTE_PGM_RSRC3_GFX90A:ACCUM_OFFSET: 0
; COMPUTE_PGM_RSRC3_GFX90A:TG_SPLIT: 0
	.section	.text._ZN7rocprim17ROCPRIM_400000_NS6detail17trampoline_kernelINS0_14default_configENS1_20scan_config_selectorItEEZZNS1_9scan_implILNS1_25lookback_scan_determinismE0ELb0ELb0ES3_N6thrust23THRUST_200600_302600_NS6detail15normal_iteratorINS9_10device_ptrItEEEENS9_16discard_iteratorINS9_11use_defaultEEEt11max_functorItEtEEDaPvRmT3_T4_T5_mT6_P12ihipStream_tbENKUlT_T0_E_clISt17integral_constantIbLb0EESW_IbLb1EEEEDaSS_ST_EUlSS_E_NS1_11comp_targetILNS1_3genE10ELNS1_11target_archE1200ELNS1_3gpuE4ELNS1_3repE0EEENS1_30default_config_static_selectorELNS0_4arch9wavefront6targetE1EEEvT1_,"axG",@progbits,_ZN7rocprim17ROCPRIM_400000_NS6detail17trampoline_kernelINS0_14default_configENS1_20scan_config_selectorItEEZZNS1_9scan_implILNS1_25lookback_scan_determinismE0ELb0ELb0ES3_N6thrust23THRUST_200600_302600_NS6detail15normal_iteratorINS9_10device_ptrItEEEENS9_16discard_iteratorINS9_11use_defaultEEEt11max_functorItEtEEDaPvRmT3_T4_T5_mT6_P12ihipStream_tbENKUlT_T0_E_clISt17integral_constantIbLb0EESW_IbLb1EEEEDaSS_ST_EUlSS_E_NS1_11comp_targetILNS1_3genE10ELNS1_11target_archE1200ELNS1_3gpuE4ELNS1_3repE0EEENS1_30default_config_static_selectorELNS0_4arch9wavefront6targetE1EEEvT1_,comdat
	.protected	_ZN7rocprim17ROCPRIM_400000_NS6detail17trampoline_kernelINS0_14default_configENS1_20scan_config_selectorItEEZZNS1_9scan_implILNS1_25lookback_scan_determinismE0ELb0ELb0ES3_N6thrust23THRUST_200600_302600_NS6detail15normal_iteratorINS9_10device_ptrItEEEENS9_16discard_iteratorINS9_11use_defaultEEEt11max_functorItEtEEDaPvRmT3_T4_T5_mT6_P12ihipStream_tbENKUlT_T0_E_clISt17integral_constantIbLb0EESW_IbLb1EEEEDaSS_ST_EUlSS_E_NS1_11comp_targetILNS1_3genE10ELNS1_11target_archE1200ELNS1_3gpuE4ELNS1_3repE0EEENS1_30default_config_static_selectorELNS0_4arch9wavefront6targetE1EEEvT1_ ; -- Begin function _ZN7rocprim17ROCPRIM_400000_NS6detail17trampoline_kernelINS0_14default_configENS1_20scan_config_selectorItEEZZNS1_9scan_implILNS1_25lookback_scan_determinismE0ELb0ELb0ES3_N6thrust23THRUST_200600_302600_NS6detail15normal_iteratorINS9_10device_ptrItEEEENS9_16discard_iteratorINS9_11use_defaultEEEt11max_functorItEtEEDaPvRmT3_T4_T5_mT6_P12ihipStream_tbENKUlT_T0_E_clISt17integral_constantIbLb0EESW_IbLb1EEEEDaSS_ST_EUlSS_E_NS1_11comp_targetILNS1_3genE10ELNS1_11target_archE1200ELNS1_3gpuE4ELNS1_3repE0EEENS1_30default_config_static_selectorELNS0_4arch9wavefront6targetE1EEEvT1_
	.globl	_ZN7rocprim17ROCPRIM_400000_NS6detail17trampoline_kernelINS0_14default_configENS1_20scan_config_selectorItEEZZNS1_9scan_implILNS1_25lookback_scan_determinismE0ELb0ELb0ES3_N6thrust23THRUST_200600_302600_NS6detail15normal_iteratorINS9_10device_ptrItEEEENS9_16discard_iteratorINS9_11use_defaultEEEt11max_functorItEtEEDaPvRmT3_T4_T5_mT6_P12ihipStream_tbENKUlT_T0_E_clISt17integral_constantIbLb0EESW_IbLb1EEEEDaSS_ST_EUlSS_E_NS1_11comp_targetILNS1_3genE10ELNS1_11target_archE1200ELNS1_3gpuE4ELNS1_3repE0EEENS1_30default_config_static_selectorELNS0_4arch9wavefront6targetE1EEEvT1_
	.p2align	8
	.type	_ZN7rocprim17ROCPRIM_400000_NS6detail17trampoline_kernelINS0_14default_configENS1_20scan_config_selectorItEEZZNS1_9scan_implILNS1_25lookback_scan_determinismE0ELb0ELb0ES3_N6thrust23THRUST_200600_302600_NS6detail15normal_iteratorINS9_10device_ptrItEEEENS9_16discard_iteratorINS9_11use_defaultEEEt11max_functorItEtEEDaPvRmT3_T4_T5_mT6_P12ihipStream_tbENKUlT_T0_E_clISt17integral_constantIbLb0EESW_IbLb1EEEEDaSS_ST_EUlSS_E_NS1_11comp_targetILNS1_3genE10ELNS1_11target_archE1200ELNS1_3gpuE4ELNS1_3repE0EEENS1_30default_config_static_selectorELNS0_4arch9wavefront6targetE1EEEvT1_,@function
_ZN7rocprim17ROCPRIM_400000_NS6detail17trampoline_kernelINS0_14default_configENS1_20scan_config_selectorItEEZZNS1_9scan_implILNS1_25lookback_scan_determinismE0ELb0ELb0ES3_N6thrust23THRUST_200600_302600_NS6detail15normal_iteratorINS9_10device_ptrItEEEENS9_16discard_iteratorINS9_11use_defaultEEEt11max_functorItEtEEDaPvRmT3_T4_T5_mT6_P12ihipStream_tbENKUlT_T0_E_clISt17integral_constantIbLb0EESW_IbLb1EEEEDaSS_ST_EUlSS_E_NS1_11comp_targetILNS1_3genE10ELNS1_11target_archE1200ELNS1_3gpuE4ELNS1_3repE0EEENS1_30default_config_static_selectorELNS0_4arch9wavefront6targetE1EEEvT1_: ; @_ZN7rocprim17ROCPRIM_400000_NS6detail17trampoline_kernelINS0_14default_configENS1_20scan_config_selectorItEEZZNS1_9scan_implILNS1_25lookback_scan_determinismE0ELb0ELb0ES3_N6thrust23THRUST_200600_302600_NS6detail15normal_iteratorINS9_10device_ptrItEEEENS9_16discard_iteratorINS9_11use_defaultEEEt11max_functorItEtEEDaPvRmT3_T4_T5_mT6_P12ihipStream_tbENKUlT_T0_E_clISt17integral_constantIbLb0EESW_IbLb1EEEEDaSS_ST_EUlSS_E_NS1_11comp_targetILNS1_3genE10ELNS1_11target_archE1200ELNS1_3gpuE4ELNS1_3repE0EEENS1_30default_config_static_selectorELNS0_4arch9wavefront6targetE1EEEvT1_
; %bb.0:
	.section	.rodata,"a",@progbits
	.p2align	6, 0x0
	.amdhsa_kernel _ZN7rocprim17ROCPRIM_400000_NS6detail17trampoline_kernelINS0_14default_configENS1_20scan_config_selectorItEEZZNS1_9scan_implILNS1_25lookback_scan_determinismE0ELb0ELb0ES3_N6thrust23THRUST_200600_302600_NS6detail15normal_iteratorINS9_10device_ptrItEEEENS9_16discard_iteratorINS9_11use_defaultEEEt11max_functorItEtEEDaPvRmT3_T4_T5_mT6_P12ihipStream_tbENKUlT_T0_E_clISt17integral_constantIbLb0EESW_IbLb1EEEEDaSS_ST_EUlSS_E_NS1_11comp_targetILNS1_3genE10ELNS1_11target_archE1200ELNS1_3gpuE4ELNS1_3repE0EEENS1_30default_config_static_selectorELNS0_4arch9wavefront6targetE1EEEvT1_
		.amdhsa_group_segment_fixed_size 0
		.amdhsa_private_segment_fixed_size 0
		.amdhsa_kernarg_size 104
		.amdhsa_user_sgpr_count 6
		.amdhsa_user_sgpr_private_segment_buffer 1
		.amdhsa_user_sgpr_dispatch_ptr 0
		.amdhsa_user_sgpr_queue_ptr 0
		.amdhsa_user_sgpr_kernarg_segment_ptr 1
		.amdhsa_user_sgpr_dispatch_id 0
		.amdhsa_user_sgpr_flat_scratch_init 0
		.amdhsa_user_sgpr_kernarg_preload_length 0
		.amdhsa_user_sgpr_kernarg_preload_offset 0
		.amdhsa_user_sgpr_private_segment_size 0
		.amdhsa_uses_dynamic_stack 0
		.amdhsa_system_sgpr_private_segment_wavefront_offset 0
		.amdhsa_system_sgpr_workgroup_id_x 1
		.amdhsa_system_sgpr_workgroup_id_y 0
		.amdhsa_system_sgpr_workgroup_id_z 0
		.amdhsa_system_sgpr_workgroup_info 0
		.amdhsa_system_vgpr_workitem_id 0
		.amdhsa_next_free_vgpr 1
		.amdhsa_next_free_sgpr 0
		.amdhsa_accum_offset 4
		.amdhsa_reserve_vcc 0
		.amdhsa_reserve_flat_scratch 0
		.amdhsa_float_round_mode_32 0
		.amdhsa_float_round_mode_16_64 0
		.amdhsa_float_denorm_mode_32 3
		.amdhsa_float_denorm_mode_16_64 3
		.amdhsa_dx10_clamp 1
		.amdhsa_ieee_mode 1
		.amdhsa_fp16_overflow 0
		.amdhsa_tg_split 0
		.amdhsa_exception_fp_ieee_invalid_op 0
		.amdhsa_exception_fp_denorm_src 0
		.amdhsa_exception_fp_ieee_div_zero 0
		.amdhsa_exception_fp_ieee_overflow 0
		.amdhsa_exception_fp_ieee_underflow 0
		.amdhsa_exception_fp_ieee_inexact 0
		.amdhsa_exception_int_div_zero 0
	.end_amdhsa_kernel
	.section	.text._ZN7rocprim17ROCPRIM_400000_NS6detail17trampoline_kernelINS0_14default_configENS1_20scan_config_selectorItEEZZNS1_9scan_implILNS1_25lookback_scan_determinismE0ELb0ELb0ES3_N6thrust23THRUST_200600_302600_NS6detail15normal_iteratorINS9_10device_ptrItEEEENS9_16discard_iteratorINS9_11use_defaultEEEt11max_functorItEtEEDaPvRmT3_T4_T5_mT6_P12ihipStream_tbENKUlT_T0_E_clISt17integral_constantIbLb0EESW_IbLb1EEEEDaSS_ST_EUlSS_E_NS1_11comp_targetILNS1_3genE10ELNS1_11target_archE1200ELNS1_3gpuE4ELNS1_3repE0EEENS1_30default_config_static_selectorELNS0_4arch9wavefront6targetE1EEEvT1_,"axG",@progbits,_ZN7rocprim17ROCPRIM_400000_NS6detail17trampoline_kernelINS0_14default_configENS1_20scan_config_selectorItEEZZNS1_9scan_implILNS1_25lookback_scan_determinismE0ELb0ELb0ES3_N6thrust23THRUST_200600_302600_NS6detail15normal_iteratorINS9_10device_ptrItEEEENS9_16discard_iteratorINS9_11use_defaultEEEt11max_functorItEtEEDaPvRmT3_T4_T5_mT6_P12ihipStream_tbENKUlT_T0_E_clISt17integral_constantIbLb0EESW_IbLb1EEEEDaSS_ST_EUlSS_E_NS1_11comp_targetILNS1_3genE10ELNS1_11target_archE1200ELNS1_3gpuE4ELNS1_3repE0EEENS1_30default_config_static_selectorELNS0_4arch9wavefront6targetE1EEEvT1_,comdat
.Lfunc_end3626:
	.size	_ZN7rocprim17ROCPRIM_400000_NS6detail17trampoline_kernelINS0_14default_configENS1_20scan_config_selectorItEEZZNS1_9scan_implILNS1_25lookback_scan_determinismE0ELb0ELb0ES3_N6thrust23THRUST_200600_302600_NS6detail15normal_iteratorINS9_10device_ptrItEEEENS9_16discard_iteratorINS9_11use_defaultEEEt11max_functorItEtEEDaPvRmT3_T4_T5_mT6_P12ihipStream_tbENKUlT_T0_E_clISt17integral_constantIbLb0EESW_IbLb1EEEEDaSS_ST_EUlSS_E_NS1_11comp_targetILNS1_3genE10ELNS1_11target_archE1200ELNS1_3gpuE4ELNS1_3repE0EEENS1_30default_config_static_selectorELNS0_4arch9wavefront6targetE1EEEvT1_, .Lfunc_end3626-_ZN7rocprim17ROCPRIM_400000_NS6detail17trampoline_kernelINS0_14default_configENS1_20scan_config_selectorItEEZZNS1_9scan_implILNS1_25lookback_scan_determinismE0ELb0ELb0ES3_N6thrust23THRUST_200600_302600_NS6detail15normal_iteratorINS9_10device_ptrItEEEENS9_16discard_iteratorINS9_11use_defaultEEEt11max_functorItEtEEDaPvRmT3_T4_T5_mT6_P12ihipStream_tbENKUlT_T0_E_clISt17integral_constantIbLb0EESW_IbLb1EEEEDaSS_ST_EUlSS_E_NS1_11comp_targetILNS1_3genE10ELNS1_11target_archE1200ELNS1_3gpuE4ELNS1_3repE0EEENS1_30default_config_static_selectorELNS0_4arch9wavefront6targetE1EEEvT1_
                                        ; -- End function
	.section	.AMDGPU.csdata,"",@progbits
; Kernel info:
; codeLenInByte = 0
; NumSgprs: 4
; NumVgprs: 0
; NumAgprs: 0
; TotalNumVgprs: 0
; ScratchSize: 0
; MemoryBound: 0
; FloatMode: 240
; IeeeMode: 1
; LDSByteSize: 0 bytes/workgroup (compile time only)
; SGPRBlocks: 0
; VGPRBlocks: 0
; NumSGPRsForWavesPerEU: 4
; NumVGPRsForWavesPerEU: 1
; AccumOffset: 4
; Occupancy: 8
; WaveLimiterHint : 0
; COMPUTE_PGM_RSRC2:SCRATCH_EN: 0
; COMPUTE_PGM_RSRC2:USER_SGPR: 6
; COMPUTE_PGM_RSRC2:TRAP_HANDLER: 0
; COMPUTE_PGM_RSRC2:TGID_X_EN: 1
; COMPUTE_PGM_RSRC2:TGID_Y_EN: 0
; COMPUTE_PGM_RSRC2:TGID_Z_EN: 0
; COMPUTE_PGM_RSRC2:TIDIG_COMP_CNT: 0
; COMPUTE_PGM_RSRC3_GFX90A:ACCUM_OFFSET: 0
; COMPUTE_PGM_RSRC3_GFX90A:TG_SPLIT: 0
	.section	.text._ZN7rocprim17ROCPRIM_400000_NS6detail17trampoline_kernelINS0_14default_configENS1_20scan_config_selectorItEEZZNS1_9scan_implILNS1_25lookback_scan_determinismE0ELb0ELb0ES3_N6thrust23THRUST_200600_302600_NS6detail15normal_iteratorINS9_10device_ptrItEEEENS9_16discard_iteratorINS9_11use_defaultEEEt11max_functorItEtEEDaPvRmT3_T4_T5_mT6_P12ihipStream_tbENKUlT_T0_E_clISt17integral_constantIbLb0EESW_IbLb1EEEEDaSS_ST_EUlSS_E_NS1_11comp_targetILNS1_3genE9ELNS1_11target_archE1100ELNS1_3gpuE3ELNS1_3repE0EEENS1_30default_config_static_selectorELNS0_4arch9wavefront6targetE1EEEvT1_,"axG",@progbits,_ZN7rocprim17ROCPRIM_400000_NS6detail17trampoline_kernelINS0_14default_configENS1_20scan_config_selectorItEEZZNS1_9scan_implILNS1_25lookback_scan_determinismE0ELb0ELb0ES3_N6thrust23THRUST_200600_302600_NS6detail15normal_iteratorINS9_10device_ptrItEEEENS9_16discard_iteratorINS9_11use_defaultEEEt11max_functorItEtEEDaPvRmT3_T4_T5_mT6_P12ihipStream_tbENKUlT_T0_E_clISt17integral_constantIbLb0EESW_IbLb1EEEEDaSS_ST_EUlSS_E_NS1_11comp_targetILNS1_3genE9ELNS1_11target_archE1100ELNS1_3gpuE3ELNS1_3repE0EEENS1_30default_config_static_selectorELNS0_4arch9wavefront6targetE1EEEvT1_,comdat
	.protected	_ZN7rocprim17ROCPRIM_400000_NS6detail17trampoline_kernelINS0_14default_configENS1_20scan_config_selectorItEEZZNS1_9scan_implILNS1_25lookback_scan_determinismE0ELb0ELb0ES3_N6thrust23THRUST_200600_302600_NS6detail15normal_iteratorINS9_10device_ptrItEEEENS9_16discard_iteratorINS9_11use_defaultEEEt11max_functorItEtEEDaPvRmT3_T4_T5_mT6_P12ihipStream_tbENKUlT_T0_E_clISt17integral_constantIbLb0EESW_IbLb1EEEEDaSS_ST_EUlSS_E_NS1_11comp_targetILNS1_3genE9ELNS1_11target_archE1100ELNS1_3gpuE3ELNS1_3repE0EEENS1_30default_config_static_selectorELNS0_4arch9wavefront6targetE1EEEvT1_ ; -- Begin function _ZN7rocprim17ROCPRIM_400000_NS6detail17trampoline_kernelINS0_14default_configENS1_20scan_config_selectorItEEZZNS1_9scan_implILNS1_25lookback_scan_determinismE0ELb0ELb0ES3_N6thrust23THRUST_200600_302600_NS6detail15normal_iteratorINS9_10device_ptrItEEEENS9_16discard_iteratorINS9_11use_defaultEEEt11max_functorItEtEEDaPvRmT3_T4_T5_mT6_P12ihipStream_tbENKUlT_T0_E_clISt17integral_constantIbLb0EESW_IbLb1EEEEDaSS_ST_EUlSS_E_NS1_11comp_targetILNS1_3genE9ELNS1_11target_archE1100ELNS1_3gpuE3ELNS1_3repE0EEENS1_30default_config_static_selectorELNS0_4arch9wavefront6targetE1EEEvT1_
	.globl	_ZN7rocprim17ROCPRIM_400000_NS6detail17trampoline_kernelINS0_14default_configENS1_20scan_config_selectorItEEZZNS1_9scan_implILNS1_25lookback_scan_determinismE0ELb0ELb0ES3_N6thrust23THRUST_200600_302600_NS6detail15normal_iteratorINS9_10device_ptrItEEEENS9_16discard_iteratorINS9_11use_defaultEEEt11max_functorItEtEEDaPvRmT3_T4_T5_mT6_P12ihipStream_tbENKUlT_T0_E_clISt17integral_constantIbLb0EESW_IbLb1EEEEDaSS_ST_EUlSS_E_NS1_11comp_targetILNS1_3genE9ELNS1_11target_archE1100ELNS1_3gpuE3ELNS1_3repE0EEENS1_30default_config_static_selectorELNS0_4arch9wavefront6targetE1EEEvT1_
	.p2align	8
	.type	_ZN7rocprim17ROCPRIM_400000_NS6detail17trampoline_kernelINS0_14default_configENS1_20scan_config_selectorItEEZZNS1_9scan_implILNS1_25lookback_scan_determinismE0ELb0ELb0ES3_N6thrust23THRUST_200600_302600_NS6detail15normal_iteratorINS9_10device_ptrItEEEENS9_16discard_iteratorINS9_11use_defaultEEEt11max_functorItEtEEDaPvRmT3_T4_T5_mT6_P12ihipStream_tbENKUlT_T0_E_clISt17integral_constantIbLb0EESW_IbLb1EEEEDaSS_ST_EUlSS_E_NS1_11comp_targetILNS1_3genE9ELNS1_11target_archE1100ELNS1_3gpuE3ELNS1_3repE0EEENS1_30default_config_static_selectorELNS0_4arch9wavefront6targetE1EEEvT1_,@function
_ZN7rocprim17ROCPRIM_400000_NS6detail17trampoline_kernelINS0_14default_configENS1_20scan_config_selectorItEEZZNS1_9scan_implILNS1_25lookback_scan_determinismE0ELb0ELb0ES3_N6thrust23THRUST_200600_302600_NS6detail15normal_iteratorINS9_10device_ptrItEEEENS9_16discard_iteratorINS9_11use_defaultEEEt11max_functorItEtEEDaPvRmT3_T4_T5_mT6_P12ihipStream_tbENKUlT_T0_E_clISt17integral_constantIbLb0EESW_IbLb1EEEEDaSS_ST_EUlSS_E_NS1_11comp_targetILNS1_3genE9ELNS1_11target_archE1100ELNS1_3gpuE3ELNS1_3repE0EEENS1_30default_config_static_selectorELNS0_4arch9wavefront6targetE1EEEvT1_: ; @_ZN7rocprim17ROCPRIM_400000_NS6detail17trampoline_kernelINS0_14default_configENS1_20scan_config_selectorItEEZZNS1_9scan_implILNS1_25lookback_scan_determinismE0ELb0ELb0ES3_N6thrust23THRUST_200600_302600_NS6detail15normal_iteratorINS9_10device_ptrItEEEENS9_16discard_iteratorINS9_11use_defaultEEEt11max_functorItEtEEDaPvRmT3_T4_T5_mT6_P12ihipStream_tbENKUlT_T0_E_clISt17integral_constantIbLb0EESW_IbLb1EEEEDaSS_ST_EUlSS_E_NS1_11comp_targetILNS1_3genE9ELNS1_11target_archE1100ELNS1_3gpuE3ELNS1_3repE0EEENS1_30default_config_static_selectorELNS0_4arch9wavefront6targetE1EEEvT1_
; %bb.0:
	.section	.rodata,"a",@progbits
	.p2align	6, 0x0
	.amdhsa_kernel _ZN7rocprim17ROCPRIM_400000_NS6detail17trampoline_kernelINS0_14default_configENS1_20scan_config_selectorItEEZZNS1_9scan_implILNS1_25lookback_scan_determinismE0ELb0ELb0ES3_N6thrust23THRUST_200600_302600_NS6detail15normal_iteratorINS9_10device_ptrItEEEENS9_16discard_iteratorINS9_11use_defaultEEEt11max_functorItEtEEDaPvRmT3_T4_T5_mT6_P12ihipStream_tbENKUlT_T0_E_clISt17integral_constantIbLb0EESW_IbLb1EEEEDaSS_ST_EUlSS_E_NS1_11comp_targetILNS1_3genE9ELNS1_11target_archE1100ELNS1_3gpuE3ELNS1_3repE0EEENS1_30default_config_static_selectorELNS0_4arch9wavefront6targetE1EEEvT1_
		.amdhsa_group_segment_fixed_size 0
		.amdhsa_private_segment_fixed_size 0
		.amdhsa_kernarg_size 104
		.amdhsa_user_sgpr_count 6
		.amdhsa_user_sgpr_private_segment_buffer 1
		.amdhsa_user_sgpr_dispatch_ptr 0
		.amdhsa_user_sgpr_queue_ptr 0
		.amdhsa_user_sgpr_kernarg_segment_ptr 1
		.amdhsa_user_sgpr_dispatch_id 0
		.amdhsa_user_sgpr_flat_scratch_init 0
		.amdhsa_user_sgpr_kernarg_preload_length 0
		.amdhsa_user_sgpr_kernarg_preload_offset 0
		.amdhsa_user_sgpr_private_segment_size 0
		.amdhsa_uses_dynamic_stack 0
		.amdhsa_system_sgpr_private_segment_wavefront_offset 0
		.amdhsa_system_sgpr_workgroup_id_x 1
		.amdhsa_system_sgpr_workgroup_id_y 0
		.amdhsa_system_sgpr_workgroup_id_z 0
		.amdhsa_system_sgpr_workgroup_info 0
		.amdhsa_system_vgpr_workitem_id 0
		.amdhsa_next_free_vgpr 1
		.amdhsa_next_free_sgpr 0
		.amdhsa_accum_offset 4
		.amdhsa_reserve_vcc 0
		.amdhsa_reserve_flat_scratch 0
		.amdhsa_float_round_mode_32 0
		.amdhsa_float_round_mode_16_64 0
		.amdhsa_float_denorm_mode_32 3
		.amdhsa_float_denorm_mode_16_64 3
		.amdhsa_dx10_clamp 1
		.amdhsa_ieee_mode 1
		.amdhsa_fp16_overflow 0
		.amdhsa_tg_split 0
		.amdhsa_exception_fp_ieee_invalid_op 0
		.amdhsa_exception_fp_denorm_src 0
		.amdhsa_exception_fp_ieee_div_zero 0
		.amdhsa_exception_fp_ieee_overflow 0
		.amdhsa_exception_fp_ieee_underflow 0
		.amdhsa_exception_fp_ieee_inexact 0
		.amdhsa_exception_int_div_zero 0
	.end_amdhsa_kernel
	.section	.text._ZN7rocprim17ROCPRIM_400000_NS6detail17trampoline_kernelINS0_14default_configENS1_20scan_config_selectorItEEZZNS1_9scan_implILNS1_25lookback_scan_determinismE0ELb0ELb0ES3_N6thrust23THRUST_200600_302600_NS6detail15normal_iteratorINS9_10device_ptrItEEEENS9_16discard_iteratorINS9_11use_defaultEEEt11max_functorItEtEEDaPvRmT3_T4_T5_mT6_P12ihipStream_tbENKUlT_T0_E_clISt17integral_constantIbLb0EESW_IbLb1EEEEDaSS_ST_EUlSS_E_NS1_11comp_targetILNS1_3genE9ELNS1_11target_archE1100ELNS1_3gpuE3ELNS1_3repE0EEENS1_30default_config_static_selectorELNS0_4arch9wavefront6targetE1EEEvT1_,"axG",@progbits,_ZN7rocprim17ROCPRIM_400000_NS6detail17trampoline_kernelINS0_14default_configENS1_20scan_config_selectorItEEZZNS1_9scan_implILNS1_25lookback_scan_determinismE0ELb0ELb0ES3_N6thrust23THRUST_200600_302600_NS6detail15normal_iteratorINS9_10device_ptrItEEEENS9_16discard_iteratorINS9_11use_defaultEEEt11max_functorItEtEEDaPvRmT3_T4_T5_mT6_P12ihipStream_tbENKUlT_T0_E_clISt17integral_constantIbLb0EESW_IbLb1EEEEDaSS_ST_EUlSS_E_NS1_11comp_targetILNS1_3genE9ELNS1_11target_archE1100ELNS1_3gpuE3ELNS1_3repE0EEENS1_30default_config_static_selectorELNS0_4arch9wavefront6targetE1EEEvT1_,comdat
.Lfunc_end3627:
	.size	_ZN7rocprim17ROCPRIM_400000_NS6detail17trampoline_kernelINS0_14default_configENS1_20scan_config_selectorItEEZZNS1_9scan_implILNS1_25lookback_scan_determinismE0ELb0ELb0ES3_N6thrust23THRUST_200600_302600_NS6detail15normal_iteratorINS9_10device_ptrItEEEENS9_16discard_iteratorINS9_11use_defaultEEEt11max_functorItEtEEDaPvRmT3_T4_T5_mT6_P12ihipStream_tbENKUlT_T0_E_clISt17integral_constantIbLb0EESW_IbLb1EEEEDaSS_ST_EUlSS_E_NS1_11comp_targetILNS1_3genE9ELNS1_11target_archE1100ELNS1_3gpuE3ELNS1_3repE0EEENS1_30default_config_static_selectorELNS0_4arch9wavefront6targetE1EEEvT1_, .Lfunc_end3627-_ZN7rocprim17ROCPRIM_400000_NS6detail17trampoline_kernelINS0_14default_configENS1_20scan_config_selectorItEEZZNS1_9scan_implILNS1_25lookback_scan_determinismE0ELb0ELb0ES3_N6thrust23THRUST_200600_302600_NS6detail15normal_iteratorINS9_10device_ptrItEEEENS9_16discard_iteratorINS9_11use_defaultEEEt11max_functorItEtEEDaPvRmT3_T4_T5_mT6_P12ihipStream_tbENKUlT_T0_E_clISt17integral_constantIbLb0EESW_IbLb1EEEEDaSS_ST_EUlSS_E_NS1_11comp_targetILNS1_3genE9ELNS1_11target_archE1100ELNS1_3gpuE3ELNS1_3repE0EEENS1_30default_config_static_selectorELNS0_4arch9wavefront6targetE1EEEvT1_
                                        ; -- End function
	.section	.AMDGPU.csdata,"",@progbits
; Kernel info:
; codeLenInByte = 0
; NumSgprs: 4
; NumVgprs: 0
; NumAgprs: 0
; TotalNumVgprs: 0
; ScratchSize: 0
; MemoryBound: 0
; FloatMode: 240
; IeeeMode: 1
; LDSByteSize: 0 bytes/workgroup (compile time only)
; SGPRBlocks: 0
; VGPRBlocks: 0
; NumSGPRsForWavesPerEU: 4
; NumVGPRsForWavesPerEU: 1
; AccumOffset: 4
; Occupancy: 8
; WaveLimiterHint : 0
; COMPUTE_PGM_RSRC2:SCRATCH_EN: 0
; COMPUTE_PGM_RSRC2:USER_SGPR: 6
; COMPUTE_PGM_RSRC2:TRAP_HANDLER: 0
; COMPUTE_PGM_RSRC2:TGID_X_EN: 1
; COMPUTE_PGM_RSRC2:TGID_Y_EN: 0
; COMPUTE_PGM_RSRC2:TGID_Z_EN: 0
; COMPUTE_PGM_RSRC2:TIDIG_COMP_CNT: 0
; COMPUTE_PGM_RSRC3_GFX90A:ACCUM_OFFSET: 0
; COMPUTE_PGM_RSRC3_GFX90A:TG_SPLIT: 0
	.section	.text._ZN7rocprim17ROCPRIM_400000_NS6detail17trampoline_kernelINS0_14default_configENS1_20scan_config_selectorItEEZZNS1_9scan_implILNS1_25lookback_scan_determinismE0ELb0ELb0ES3_N6thrust23THRUST_200600_302600_NS6detail15normal_iteratorINS9_10device_ptrItEEEENS9_16discard_iteratorINS9_11use_defaultEEEt11max_functorItEtEEDaPvRmT3_T4_T5_mT6_P12ihipStream_tbENKUlT_T0_E_clISt17integral_constantIbLb0EESW_IbLb1EEEEDaSS_ST_EUlSS_E_NS1_11comp_targetILNS1_3genE8ELNS1_11target_archE1030ELNS1_3gpuE2ELNS1_3repE0EEENS1_30default_config_static_selectorELNS0_4arch9wavefront6targetE1EEEvT1_,"axG",@progbits,_ZN7rocprim17ROCPRIM_400000_NS6detail17trampoline_kernelINS0_14default_configENS1_20scan_config_selectorItEEZZNS1_9scan_implILNS1_25lookback_scan_determinismE0ELb0ELb0ES3_N6thrust23THRUST_200600_302600_NS6detail15normal_iteratorINS9_10device_ptrItEEEENS9_16discard_iteratorINS9_11use_defaultEEEt11max_functorItEtEEDaPvRmT3_T4_T5_mT6_P12ihipStream_tbENKUlT_T0_E_clISt17integral_constantIbLb0EESW_IbLb1EEEEDaSS_ST_EUlSS_E_NS1_11comp_targetILNS1_3genE8ELNS1_11target_archE1030ELNS1_3gpuE2ELNS1_3repE0EEENS1_30default_config_static_selectorELNS0_4arch9wavefront6targetE1EEEvT1_,comdat
	.protected	_ZN7rocprim17ROCPRIM_400000_NS6detail17trampoline_kernelINS0_14default_configENS1_20scan_config_selectorItEEZZNS1_9scan_implILNS1_25lookback_scan_determinismE0ELb0ELb0ES3_N6thrust23THRUST_200600_302600_NS6detail15normal_iteratorINS9_10device_ptrItEEEENS9_16discard_iteratorINS9_11use_defaultEEEt11max_functorItEtEEDaPvRmT3_T4_T5_mT6_P12ihipStream_tbENKUlT_T0_E_clISt17integral_constantIbLb0EESW_IbLb1EEEEDaSS_ST_EUlSS_E_NS1_11comp_targetILNS1_3genE8ELNS1_11target_archE1030ELNS1_3gpuE2ELNS1_3repE0EEENS1_30default_config_static_selectorELNS0_4arch9wavefront6targetE1EEEvT1_ ; -- Begin function _ZN7rocprim17ROCPRIM_400000_NS6detail17trampoline_kernelINS0_14default_configENS1_20scan_config_selectorItEEZZNS1_9scan_implILNS1_25lookback_scan_determinismE0ELb0ELb0ES3_N6thrust23THRUST_200600_302600_NS6detail15normal_iteratorINS9_10device_ptrItEEEENS9_16discard_iteratorINS9_11use_defaultEEEt11max_functorItEtEEDaPvRmT3_T4_T5_mT6_P12ihipStream_tbENKUlT_T0_E_clISt17integral_constantIbLb0EESW_IbLb1EEEEDaSS_ST_EUlSS_E_NS1_11comp_targetILNS1_3genE8ELNS1_11target_archE1030ELNS1_3gpuE2ELNS1_3repE0EEENS1_30default_config_static_selectorELNS0_4arch9wavefront6targetE1EEEvT1_
	.globl	_ZN7rocprim17ROCPRIM_400000_NS6detail17trampoline_kernelINS0_14default_configENS1_20scan_config_selectorItEEZZNS1_9scan_implILNS1_25lookback_scan_determinismE0ELb0ELb0ES3_N6thrust23THRUST_200600_302600_NS6detail15normal_iteratorINS9_10device_ptrItEEEENS9_16discard_iteratorINS9_11use_defaultEEEt11max_functorItEtEEDaPvRmT3_T4_T5_mT6_P12ihipStream_tbENKUlT_T0_E_clISt17integral_constantIbLb0EESW_IbLb1EEEEDaSS_ST_EUlSS_E_NS1_11comp_targetILNS1_3genE8ELNS1_11target_archE1030ELNS1_3gpuE2ELNS1_3repE0EEENS1_30default_config_static_selectorELNS0_4arch9wavefront6targetE1EEEvT1_
	.p2align	8
	.type	_ZN7rocprim17ROCPRIM_400000_NS6detail17trampoline_kernelINS0_14default_configENS1_20scan_config_selectorItEEZZNS1_9scan_implILNS1_25lookback_scan_determinismE0ELb0ELb0ES3_N6thrust23THRUST_200600_302600_NS6detail15normal_iteratorINS9_10device_ptrItEEEENS9_16discard_iteratorINS9_11use_defaultEEEt11max_functorItEtEEDaPvRmT3_T4_T5_mT6_P12ihipStream_tbENKUlT_T0_E_clISt17integral_constantIbLb0EESW_IbLb1EEEEDaSS_ST_EUlSS_E_NS1_11comp_targetILNS1_3genE8ELNS1_11target_archE1030ELNS1_3gpuE2ELNS1_3repE0EEENS1_30default_config_static_selectorELNS0_4arch9wavefront6targetE1EEEvT1_,@function
_ZN7rocprim17ROCPRIM_400000_NS6detail17trampoline_kernelINS0_14default_configENS1_20scan_config_selectorItEEZZNS1_9scan_implILNS1_25lookback_scan_determinismE0ELb0ELb0ES3_N6thrust23THRUST_200600_302600_NS6detail15normal_iteratorINS9_10device_ptrItEEEENS9_16discard_iteratorINS9_11use_defaultEEEt11max_functorItEtEEDaPvRmT3_T4_T5_mT6_P12ihipStream_tbENKUlT_T0_E_clISt17integral_constantIbLb0EESW_IbLb1EEEEDaSS_ST_EUlSS_E_NS1_11comp_targetILNS1_3genE8ELNS1_11target_archE1030ELNS1_3gpuE2ELNS1_3repE0EEENS1_30default_config_static_selectorELNS0_4arch9wavefront6targetE1EEEvT1_: ; @_ZN7rocprim17ROCPRIM_400000_NS6detail17trampoline_kernelINS0_14default_configENS1_20scan_config_selectorItEEZZNS1_9scan_implILNS1_25lookback_scan_determinismE0ELb0ELb0ES3_N6thrust23THRUST_200600_302600_NS6detail15normal_iteratorINS9_10device_ptrItEEEENS9_16discard_iteratorINS9_11use_defaultEEEt11max_functorItEtEEDaPvRmT3_T4_T5_mT6_P12ihipStream_tbENKUlT_T0_E_clISt17integral_constantIbLb0EESW_IbLb1EEEEDaSS_ST_EUlSS_E_NS1_11comp_targetILNS1_3genE8ELNS1_11target_archE1030ELNS1_3gpuE2ELNS1_3repE0EEENS1_30default_config_static_selectorELNS0_4arch9wavefront6targetE1EEEvT1_
; %bb.0:
	.section	.rodata,"a",@progbits
	.p2align	6, 0x0
	.amdhsa_kernel _ZN7rocprim17ROCPRIM_400000_NS6detail17trampoline_kernelINS0_14default_configENS1_20scan_config_selectorItEEZZNS1_9scan_implILNS1_25lookback_scan_determinismE0ELb0ELb0ES3_N6thrust23THRUST_200600_302600_NS6detail15normal_iteratorINS9_10device_ptrItEEEENS9_16discard_iteratorINS9_11use_defaultEEEt11max_functorItEtEEDaPvRmT3_T4_T5_mT6_P12ihipStream_tbENKUlT_T0_E_clISt17integral_constantIbLb0EESW_IbLb1EEEEDaSS_ST_EUlSS_E_NS1_11comp_targetILNS1_3genE8ELNS1_11target_archE1030ELNS1_3gpuE2ELNS1_3repE0EEENS1_30default_config_static_selectorELNS0_4arch9wavefront6targetE1EEEvT1_
		.amdhsa_group_segment_fixed_size 0
		.amdhsa_private_segment_fixed_size 0
		.amdhsa_kernarg_size 104
		.amdhsa_user_sgpr_count 6
		.amdhsa_user_sgpr_private_segment_buffer 1
		.amdhsa_user_sgpr_dispatch_ptr 0
		.amdhsa_user_sgpr_queue_ptr 0
		.amdhsa_user_sgpr_kernarg_segment_ptr 1
		.amdhsa_user_sgpr_dispatch_id 0
		.amdhsa_user_sgpr_flat_scratch_init 0
		.amdhsa_user_sgpr_kernarg_preload_length 0
		.amdhsa_user_sgpr_kernarg_preload_offset 0
		.amdhsa_user_sgpr_private_segment_size 0
		.amdhsa_uses_dynamic_stack 0
		.amdhsa_system_sgpr_private_segment_wavefront_offset 0
		.amdhsa_system_sgpr_workgroup_id_x 1
		.amdhsa_system_sgpr_workgroup_id_y 0
		.amdhsa_system_sgpr_workgroup_id_z 0
		.amdhsa_system_sgpr_workgroup_info 0
		.amdhsa_system_vgpr_workitem_id 0
		.amdhsa_next_free_vgpr 1
		.amdhsa_next_free_sgpr 0
		.amdhsa_accum_offset 4
		.amdhsa_reserve_vcc 0
		.amdhsa_reserve_flat_scratch 0
		.amdhsa_float_round_mode_32 0
		.amdhsa_float_round_mode_16_64 0
		.amdhsa_float_denorm_mode_32 3
		.amdhsa_float_denorm_mode_16_64 3
		.amdhsa_dx10_clamp 1
		.amdhsa_ieee_mode 1
		.amdhsa_fp16_overflow 0
		.amdhsa_tg_split 0
		.amdhsa_exception_fp_ieee_invalid_op 0
		.amdhsa_exception_fp_denorm_src 0
		.amdhsa_exception_fp_ieee_div_zero 0
		.amdhsa_exception_fp_ieee_overflow 0
		.amdhsa_exception_fp_ieee_underflow 0
		.amdhsa_exception_fp_ieee_inexact 0
		.amdhsa_exception_int_div_zero 0
	.end_amdhsa_kernel
	.section	.text._ZN7rocprim17ROCPRIM_400000_NS6detail17trampoline_kernelINS0_14default_configENS1_20scan_config_selectorItEEZZNS1_9scan_implILNS1_25lookback_scan_determinismE0ELb0ELb0ES3_N6thrust23THRUST_200600_302600_NS6detail15normal_iteratorINS9_10device_ptrItEEEENS9_16discard_iteratorINS9_11use_defaultEEEt11max_functorItEtEEDaPvRmT3_T4_T5_mT6_P12ihipStream_tbENKUlT_T0_E_clISt17integral_constantIbLb0EESW_IbLb1EEEEDaSS_ST_EUlSS_E_NS1_11comp_targetILNS1_3genE8ELNS1_11target_archE1030ELNS1_3gpuE2ELNS1_3repE0EEENS1_30default_config_static_selectorELNS0_4arch9wavefront6targetE1EEEvT1_,"axG",@progbits,_ZN7rocprim17ROCPRIM_400000_NS6detail17trampoline_kernelINS0_14default_configENS1_20scan_config_selectorItEEZZNS1_9scan_implILNS1_25lookback_scan_determinismE0ELb0ELb0ES3_N6thrust23THRUST_200600_302600_NS6detail15normal_iteratorINS9_10device_ptrItEEEENS9_16discard_iteratorINS9_11use_defaultEEEt11max_functorItEtEEDaPvRmT3_T4_T5_mT6_P12ihipStream_tbENKUlT_T0_E_clISt17integral_constantIbLb0EESW_IbLb1EEEEDaSS_ST_EUlSS_E_NS1_11comp_targetILNS1_3genE8ELNS1_11target_archE1030ELNS1_3gpuE2ELNS1_3repE0EEENS1_30default_config_static_selectorELNS0_4arch9wavefront6targetE1EEEvT1_,comdat
.Lfunc_end3628:
	.size	_ZN7rocprim17ROCPRIM_400000_NS6detail17trampoline_kernelINS0_14default_configENS1_20scan_config_selectorItEEZZNS1_9scan_implILNS1_25lookback_scan_determinismE0ELb0ELb0ES3_N6thrust23THRUST_200600_302600_NS6detail15normal_iteratorINS9_10device_ptrItEEEENS9_16discard_iteratorINS9_11use_defaultEEEt11max_functorItEtEEDaPvRmT3_T4_T5_mT6_P12ihipStream_tbENKUlT_T0_E_clISt17integral_constantIbLb0EESW_IbLb1EEEEDaSS_ST_EUlSS_E_NS1_11comp_targetILNS1_3genE8ELNS1_11target_archE1030ELNS1_3gpuE2ELNS1_3repE0EEENS1_30default_config_static_selectorELNS0_4arch9wavefront6targetE1EEEvT1_, .Lfunc_end3628-_ZN7rocprim17ROCPRIM_400000_NS6detail17trampoline_kernelINS0_14default_configENS1_20scan_config_selectorItEEZZNS1_9scan_implILNS1_25lookback_scan_determinismE0ELb0ELb0ES3_N6thrust23THRUST_200600_302600_NS6detail15normal_iteratorINS9_10device_ptrItEEEENS9_16discard_iteratorINS9_11use_defaultEEEt11max_functorItEtEEDaPvRmT3_T4_T5_mT6_P12ihipStream_tbENKUlT_T0_E_clISt17integral_constantIbLb0EESW_IbLb1EEEEDaSS_ST_EUlSS_E_NS1_11comp_targetILNS1_3genE8ELNS1_11target_archE1030ELNS1_3gpuE2ELNS1_3repE0EEENS1_30default_config_static_selectorELNS0_4arch9wavefront6targetE1EEEvT1_
                                        ; -- End function
	.section	.AMDGPU.csdata,"",@progbits
; Kernel info:
; codeLenInByte = 0
; NumSgprs: 4
; NumVgprs: 0
; NumAgprs: 0
; TotalNumVgprs: 0
; ScratchSize: 0
; MemoryBound: 0
; FloatMode: 240
; IeeeMode: 1
; LDSByteSize: 0 bytes/workgroup (compile time only)
; SGPRBlocks: 0
; VGPRBlocks: 0
; NumSGPRsForWavesPerEU: 4
; NumVGPRsForWavesPerEU: 1
; AccumOffset: 4
; Occupancy: 8
; WaveLimiterHint : 0
; COMPUTE_PGM_RSRC2:SCRATCH_EN: 0
; COMPUTE_PGM_RSRC2:USER_SGPR: 6
; COMPUTE_PGM_RSRC2:TRAP_HANDLER: 0
; COMPUTE_PGM_RSRC2:TGID_X_EN: 1
; COMPUTE_PGM_RSRC2:TGID_Y_EN: 0
; COMPUTE_PGM_RSRC2:TGID_Z_EN: 0
; COMPUTE_PGM_RSRC2:TIDIG_COMP_CNT: 0
; COMPUTE_PGM_RSRC3_GFX90A:ACCUM_OFFSET: 0
; COMPUTE_PGM_RSRC3_GFX90A:TG_SPLIT: 0
	.section	.text._ZN7rocprim17ROCPRIM_400000_NS6detail17trampoline_kernelINS0_14default_configENS1_20scan_config_selectorItEEZZNS1_9scan_implILNS1_25lookback_scan_determinismE0ELb0ELb0ES3_N6thrust23THRUST_200600_302600_NS6detail15normal_iteratorINS9_10device_ptrItEEEENS9_16discard_iteratorINS9_11use_defaultEEEt11max_functorItEtEEDaPvRmT3_T4_T5_mT6_P12ihipStream_tbENKUlT_T0_E_clISt17integral_constantIbLb0EESW_IbLb1EEEEDaSS_ST_EUlSS_E0_NS1_11comp_targetILNS1_3genE0ELNS1_11target_archE4294967295ELNS1_3gpuE0ELNS1_3repE0EEENS1_30default_config_static_selectorELNS0_4arch9wavefront6targetE1EEEvT1_,"axG",@progbits,_ZN7rocprim17ROCPRIM_400000_NS6detail17trampoline_kernelINS0_14default_configENS1_20scan_config_selectorItEEZZNS1_9scan_implILNS1_25lookback_scan_determinismE0ELb0ELb0ES3_N6thrust23THRUST_200600_302600_NS6detail15normal_iteratorINS9_10device_ptrItEEEENS9_16discard_iteratorINS9_11use_defaultEEEt11max_functorItEtEEDaPvRmT3_T4_T5_mT6_P12ihipStream_tbENKUlT_T0_E_clISt17integral_constantIbLb0EESW_IbLb1EEEEDaSS_ST_EUlSS_E0_NS1_11comp_targetILNS1_3genE0ELNS1_11target_archE4294967295ELNS1_3gpuE0ELNS1_3repE0EEENS1_30default_config_static_selectorELNS0_4arch9wavefront6targetE1EEEvT1_,comdat
	.protected	_ZN7rocprim17ROCPRIM_400000_NS6detail17trampoline_kernelINS0_14default_configENS1_20scan_config_selectorItEEZZNS1_9scan_implILNS1_25lookback_scan_determinismE0ELb0ELb0ES3_N6thrust23THRUST_200600_302600_NS6detail15normal_iteratorINS9_10device_ptrItEEEENS9_16discard_iteratorINS9_11use_defaultEEEt11max_functorItEtEEDaPvRmT3_T4_T5_mT6_P12ihipStream_tbENKUlT_T0_E_clISt17integral_constantIbLb0EESW_IbLb1EEEEDaSS_ST_EUlSS_E0_NS1_11comp_targetILNS1_3genE0ELNS1_11target_archE4294967295ELNS1_3gpuE0ELNS1_3repE0EEENS1_30default_config_static_selectorELNS0_4arch9wavefront6targetE1EEEvT1_ ; -- Begin function _ZN7rocprim17ROCPRIM_400000_NS6detail17trampoline_kernelINS0_14default_configENS1_20scan_config_selectorItEEZZNS1_9scan_implILNS1_25lookback_scan_determinismE0ELb0ELb0ES3_N6thrust23THRUST_200600_302600_NS6detail15normal_iteratorINS9_10device_ptrItEEEENS9_16discard_iteratorINS9_11use_defaultEEEt11max_functorItEtEEDaPvRmT3_T4_T5_mT6_P12ihipStream_tbENKUlT_T0_E_clISt17integral_constantIbLb0EESW_IbLb1EEEEDaSS_ST_EUlSS_E0_NS1_11comp_targetILNS1_3genE0ELNS1_11target_archE4294967295ELNS1_3gpuE0ELNS1_3repE0EEENS1_30default_config_static_selectorELNS0_4arch9wavefront6targetE1EEEvT1_
	.globl	_ZN7rocprim17ROCPRIM_400000_NS6detail17trampoline_kernelINS0_14default_configENS1_20scan_config_selectorItEEZZNS1_9scan_implILNS1_25lookback_scan_determinismE0ELb0ELb0ES3_N6thrust23THRUST_200600_302600_NS6detail15normal_iteratorINS9_10device_ptrItEEEENS9_16discard_iteratorINS9_11use_defaultEEEt11max_functorItEtEEDaPvRmT3_T4_T5_mT6_P12ihipStream_tbENKUlT_T0_E_clISt17integral_constantIbLb0EESW_IbLb1EEEEDaSS_ST_EUlSS_E0_NS1_11comp_targetILNS1_3genE0ELNS1_11target_archE4294967295ELNS1_3gpuE0ELNS1_3repE0EEENS1_30default_config_static_selectorELNS0_4arch9wavefront6targetE1EEEvT1_
	.p2align	8
	.type	_ZN7rocprim17ROCPRIM_400000_NS6detail17trampoline_kernelINS0_14default_configENS1_20scan_config_selectorItEEZZNS1_9scan_implILNS1_25lookback_scan_determinismE0ELb0ELb0ES3_N6thrust23THRUST_200600_302600_NS6detail15normal_iteratorINS9_10device_ptrItEEEENS9_16discard_iteratorINS9_11use_defaultEEEt11max_functorItEtEEDaPvRmT3_T4_T5_mT6_P12ihipStream_tbENKUlT_T0_E_clISt17integral_constantIbLb0EESW_IbLb1EEEEDaSS_ST_EUlSS_E0_NS1_11comp_targetILNS1_3genE0ELNS1_11target_archE4294967295ELNS1_3gpuE0ELNS1_3repE0EEENS1_30default_config_static_selectorELNS0_4arch9wavefront6targetE1EEEvT1_,@function
_ZN7rocprim17ROCPRIM_400000_NS6detail17trampoline_kernelINS0_14default_configENS1_20scan_config_selectorItEEZZNS1_9scan_implILNS1_25lookback_scan_determinismE0ELb0ELb0ES3_N6thrust23THRUST_200600_302600_NS6detail15normal_iteratorINS9_10device_ptrItEEEENS9_16discard_iteratorINS9_11use_defaultEEEt11max_functorItEtEEDaPvRmT3_T4_T5_mT6_P12ihipStream_tbENKUlT_T0_E_clISt17integral_constantIbLb0EESW_IbLb1EEEEDaSS_ST_EUlSS_E0_NS1_11comp_targetILNS1_3genE0ELNS1_11target_archE4294967295ELNS1_3gpuE0ELNS1_3repE0EEENS1_30default_config_static_selectorELNS0_4arch9wavefront6targetE1EEEvT1_: ; @_ZN7rocprim17ROCPRIM_400000_NS6detail17trampoline_kernelINS0_14default_configENS1_20scan_config_selectorItEEZZNS1_9scan_implILNS1_25lookback_scan_determinismE0ELb0ELb0ES3_N6thrust23THRUST_200600_302600_NS6detail15normal_iteratorINS9_10device_ptrItEEEENS9_16discard_iteratorINS9_11use_defaultEEEt11max_functorItEtEEDaPvRmT3_T4_T5_mT6_P12ihipStream_tbENKUlT_T0_E_clISt17integral_constantIbLb0EESW_IbLb1EEEEDaSS_ST_EUlSS_E0_NS1_11comp_targetILNS1_3genE0ELNS1_11target_archE4294967295ELNS1_3gpuE0ELNS1_3repE0EEENS1_30default_config_static_selectorELNS0_4arch9wavefront6targetE1EEEvT1_
; %bb.0:
	.section	.rodata,"a",@progbits
	.p2align	6, 0x0
	.amdhsa_kernel _ZN7rocprim17ROCPRIM_400000_NS6detail17trampoline_kernelINS0_14default_configENS1_20scan_config_selectorItEEZZNS1_9scan_implILNS1_25lookback_scan_determinismE0ELb0ELb0ES3_N6thrust23THRUST_200600_302600_NS6detail15normal_iteratorINS9_10device_ptrItEEEENS9_16discard_iteratorINS9_11use_defaultEEEt11max_functorItEtEEDaPvRmT3_T4_T5_mT6_P12ihipStream_tbENKUlT_T0_E_clISt17integral_constantIbLb0EESW_IbLb1EEEEDaSS_ST_EUlSS_E0_NS1_11comp_targetILNS1_3genE0ELNS1_11target_archE4294967295ELNS1_3gpuE0ELNS1_3repE0EEENS1_30default_config_static_selectorELNS0_4arch9wavefront6targetE1EEEvT1_
		.amdhsa_group_segment_fixed_size 0
		.amdhsa_private_segment_fixed_size 0
		.amdhsa_kernarg_size 40
		.amdhsa_user_sgpr_count 6
		.amdhsa_user_sgpr_private_segment_buffer 1
		.amdhsa_user_sgpr_dispatch_ptr 0
		.amdhsa_user_sgpr_queue_ptr 0
		.amdhsa_user_sgpr_kernarg_segment_ptr 1
		.amdhsa_user_sgpr_dispatch_id 0
		.amdhsa_user_sgpr_flat_scratch_init 0
		.amdhsa_user_sgpr_kernarg_preload_length 0
		.amdhsa_user_sgpr_kernarg_preload_offset 0
		.amdhsa_user_sgpr_private_segment_size 0
		.amdhsa_uses_dynamic_stack 0
		.amdhsa_system_sgpr_private_segment_wavefront_offset 0
		.amdhsa_system_sgpr_workgroup_id_x 1
		.amdhsa_system_sgpr_workgroup_id_y 0
		.amdhsa_system_sgpr_workgroup_id_z 0
		.amdhsa_system_sgpr_workgroup_info 0
		.amdhsa_system_vgpr_workitem_id 0
		.amdhsa_next_free_vgpr 1
		.amdhsa_next_free_sgpr 0
		.amdhsa_accum_offset 4
		.amdhsa_reserve_vcc 0
		.amdhsa_reserve_flat_scratch 0
		.amdhsa_float_round_mode_32 0
		.amdhsa_float_round_mode_16_64 0
		.amdhsa_float_denorm_mode_32 3
		.amdhsa_float_denorm_mode_16_64 3
		.amdhsa_dx10_clamp 1
		.amdhsa_ieee_mode 1
		.amdhsa_fp16_overflow 0
		.amdhsa_tg_split 0
		.amdhsa_exception_fp_ieee_invalid_op 0
		.amdhsa_exception_fp_denorm_src 0
		.amdhsa_exception_fp_ieee_div_zero 0
		.amdhsa_exception_fp_ieee_overflow 0
		.amdhsa_exception_fp_ieee_underflow 0
		.amdhsa_exception_fp_ieee_inexact 0
		.amdhsa_exception_int_div_zero 0
	.end_amdhsa_kernel
	.section	.text._ZN7rocprim17ROCPRIM_400000_NS6detail17trampoline_kernelINS0_14default_configENS1_20scan_config_selectorItEEZZNS1_9scan_implILNS1_25lookback_scan_determinismE0ELb0ELb0ES3_N6thrust23THRUST_200600_302600_NS6detail15normal_iteratorINS9_10device_ptrItEEEENS9_16discard_iteratorINS9_11use_defaultEEEt11max_functorItEtEEDaPvRmT3_T4_T5_mT6_P12ihipStream_tbENKUlT_T0_E_clISt17integral_constantIbLb0EESW_IbLb1EEEEDaSS_ST_EUlSS_E0_NS1_11comp_targetILNS1_3genE0ELNS1_11target_archE4294967295ELNS1_3gpuE0ELNS1_3repE0EEENS1_30default_config_static_selectorELNS0_4arch9wavefront6targetE1EEEvT1_,"axG",@progbits,_ZN7rocprim17ROCPRIM_400000_NS6detail17trampoline_kernelINS0_14default_configENS1_20scan_config_selectorItEEZZNS1_9scan_implILNS1_25lookback_scan_determinismE0ELb0ELb0ES3_N6thrust23THRUST_200600_302600_NS6detail15normal_iteratorINS9_10device_ptrItEEEENS9_16discard_iteratorINS9_11use_defaultEEEt11max_functorItEtEEDaPvRmT3_T4_T5_mT6_P12ihipStream_tbENKUlT_T0_E_clISt17integral_constantIbLb0EESW_IbLb1EEEEDaSS_ST_EUlSS_E0_NS1_11comp_targetILNS1_3genE0ELNS1_11target_archE4294967295ELNS1_3gpuE0ELNS1_3repE0EEENS1_30default_config_static_selectorELNS0_4arch9wavefront6targetE1EEEvT1_,comdat
.Lfunc_end3629:
	.size	_ZN7rocprim17ROCPRIM_400000_NS6detail17trampoline_kernelINS0_14default_configENS1_20scan_config_selectorItEEZZNS1_9scan_implILNS1_25lookback_scan_determinismE0ELb0ELb0ES3_N6thrust23THRUST_200600_302600_NS6detail15normal_iteratorINS9_10device_ptrItEEEENS9_16discard_iteratorINS9_11use_defaultEEEt11max_functorItEtEEDaPvRmT3_T4_T5_mT6_P12ihipStream_tbENKUlT_T0_E_clISt17integral_constantIbLb0EESW_IbLb1EEEEDaSS_ST_EUlSS_E0_NS1_11comp_targetILNS1_3genE0ELNS1_11target_archE4294967295ELNS1_3gpuE0ELNS1_3repE0EEENS1_30default_config_static_selectorELNS0_4arch9wavefront6targetE1EEEvT1_, .Lfunc_end3629-_ZN7rocprim17ROCPRIM_400000_NS6detail17trampoline_kernelINS0_14default_configENS1_20scan_config_selectorItEEZZNS1_9scan_implILNS1_25lookback_scan_determinismE0ELb0ELb0ES3_N6thrust23THRUST_200600_302600_NS6detail15normal_iteratorINS9_10device_ptrItEEEENS9_16discard_iteratorINS9_11use_defaultEEEt11max_functorItEtEEDaPvRmT3_T4_T5_mT6_P12ihipStream_tbENKUlT_T0_E_clISt17integral_constantIbLb0EESW_IbLb1EEEEDaSS_ST_EUlSS_E0_NS1_11comp_targetILNS1_3genE0ELNS1_11target_archE4294967295ELNS1_3gpuE0ELNS1_3repE0EEENS1_30default_config_static_selectorELNS0_4arch9wavefront6targetE1EEEvT1_
                                        ; -- End function
	.section	.AMDGPU.csdata,"",@progbits
; Kernel info:
; codeLenInByte = 0
; NumSgprs: 4
; NumVgprs: 0
; NumAgprs: 0
; TotalNumVgprs: 0
; ScratchSize: 0
; MemoryBound: 0
; FloatMode: 240
; IeeeMode: 1
; LDSByteSize: 0 bytes/workgroup (compile time only)
; SGPRBlocks: 0
; VGPRBlocks: 0
; NumSGPRsForWavesPerEU: 4
; NumVGPRsForWavesPerEU: 1
; AccumOffset: 4
; Occupancy: 8
; WaveLimiterHint : 0
; COMPUTE_PGM_RSRC2:SCRATCH_EN: 0
; COMPUTE_PGM_RSRC2:USER_SGPR: 6
; COMPUTE_PGM_RSRC2:TRAP_HANDLER: 0
; COMPUTE_PGM_RSRC2:TGID_X_EN: 1
; COMPUTE_PGM_RSRC2:TGID_Y_EN: 0
; COMPUTE_PGM_RSRC2:TGID_Z_EN: 0
; COMPUTE_PGM_RSRC2:TIDIG_COMP_CNT: 0
; COMPUTE_PGM_RSRC3_GFX90A:ACCUM_OFFSET: 0
; COMPUTE_PGM_RSRC3_GFX90A:TG_SPLIT: 0
	.section	.text._ZN7rocprim17ROCPRIM_400000_NS6detail17trampoline_kernelINS0_14default_configENS1_20scan_config_selectorItEEZZNS1_9scan_implILNS1_25lookback_scan_determinismE0ELb0ELb0ES3_N6thrust23THRUST_200600_302600_NS6detail15normal_iteratorINS9_10device_ptrItEEEENS9_16discard_iteratorINS9_11use_defaultEEEt11max_functorItEtEEDaPvRmT3_T4_T5_mT6_P12ihipStream_tbENKUlT_T0_E_clISt17integral_constantIbLb0EESW_IbLb1EEEEDaSS_ST_EUlSS_E0_NS1_11comp_targetILNS1_3genE5ELNS1_11target_archE942ELNS1_3gpuE9ELNS1_3repE0EEENS1_30default_config_static_selectorELNS0_4arch9wavefront6targetE1EEEvT1_,"axG",@progbits,_ZN7rocprim17ROCPRIM_400000_NS6detail17trampoline_kernelINS0_14default_configENS1_20scan_config_selectorItEEZZNS1_9scan_implILNS1_25lookback_scan_determinismE0ELb0ELb0ES3_N6thrust23THRUST_200600_302600_NS6detail15normal_iteratorINS9_10device_ptrItEEEENS9_16discard_iteratorINS9_11use_defaultEEEt11max_functorItEtEEDaPvRmT3_T4_T5_mT6_P12ihipStream_tbENKUlT_T0_E_clISt17integral_constantIbLb0EESW_IbLb1EEEEDaSS_ST_EUlSS_E0_NS1_11comp_targetILNS1_3genE5ELNS1_11target_archE942ELNS1_3gpuE9ELNS1_3repE0EEENS1_30default_config_static_selectorELNS0_4arch9wavefront6targetE1EEEvT1_,comdat
	.protected	_ZN7rocprim17ROCPRIM_400000_NS6detail17trampoline_kernelINS0_14default_configENS1_20scan_config_selectorItEEZZNS1_9scan_implILNS1_25lookback_scan_determinismE0ELb0ELb0ES3_N6thrust23THRUST_200600_302600_NS6detail15normal_iteratorINS9_10device_ptrItEEEENS9_16discard_iteratorINS9_11use_defaultEEEt11max_functorItEtEEDaPvRmT3_T4_T5_mT6_P12ihipStream_tbENKUlT_T0_E_clISt17integral_constantIbLb0EESW_IbLb1EEEEDaSS_ST_EUlSS_E0_NS1_11comp_targetILNS1_3genE5ELNS1_11target_archE942ELNS1_3gpuE9ELNS1_3repE0EEENS1_30default_config_static_selectorELNS0_4arch9wavefront6targetE1EEEvT1_ ; -- Begin function _ZN7rocprim17ROCPRIM_400000_NS6detail17trampoline_kernelINS0_14default_configENS1_20scan_config_selectorItEEZZNS1_9scan_implILNS1_25lookback_scan_determinismE0ELb0ELb0ES3_N6thrust23THRUST_200600_302600_NS6detail15normal_iteratorINS9_10device_ptrItEEEENS9_16discard_iteratorINS9_11use_defaultEEEt11max_functorItEtEEDaPvRmT3_T4_T5_mT6_P12ihipStream_tbENKUlT_T0_E_clISt17integral_constantIbLb0EESW_IbLb1EEEEDaSS_ST_EUlSS_E0_NS1_11comp_targetILNS1_3genE5ELNS1_11target_archE942ELNS1_3gpuE9ELNS1_3repE0EEENS1_30default_config_static_selectorELNS0_4arch9wavefront6targetE1EEEvT1_
	.globl	_ZN7rocprim17ROCPRIM_400000_NS6detail17trampoline_kernelINS0_14default_configENS1_20scan_config_selectorItEEZZNS1_9scan_implILNS1_25lookback_scan_determinismE0ELb0ELb0ES3_N6thrust23THRUST_200600_302600_NS6detail15normal_iteratorINS9_10device_ptrItEEEENS9_16discard_iteratorINS9_11use_defaultEEEt11max_functorItEtEEDaPvRmT3_T4_T5_mT6_P12ihipStream_tbENKUlT_T0_E_clISt17integral_constantIbLb0EESW_IbLb1EEEEDaSS_ST_EUlSS_E0_NS1_11comp_targetILNS1_3genE5ELNS1_11target_archE942ELNS1_3gpuE9ELNS1_3repE0EEENS1_30default_config_static_selectorELNS0_4arch9wavefront6targetE1EEEvT1_
	.p2align	8
	.type	_ZN7rocprim17ROCPRIM_400000_NS6detail17trampoline_kernelINS0_14default_configENS1_20scan_config_selectorItEEZZNS1_9scan_implILNS1_25lookback_scan_determinismE0ELb0ELb0ES3_N6thrust23THRUST_200600_302600_NS6detail15normal_iteratorINS9_10device_ptrItEEEENS9_16discard_iteratorINS9_11use_defaultEEEt11max_functorItEtEEDaPvRmT3_T4_T5_mT6_P12ihipStream_tbENKUlT_T0_E_clISt17integral_constantIbLb0EESW_IbLb1EEEEDaSS_ST_EUlSS_E0_NS1_11comp_targetILNS1_3genE5ELNS1_11target_archE942ELNS1_3gpuE9ELNS1_3repE0EEENS1_30default_config_static_selectorELNS0_4arch9wavefront6targetE1EEEvT1_,@function
_ZN7rocprim17ROCPRIM_400000_NS6detail17trampoline_kernelINS0_14default_configENS1_20scan_config_selectorItEEZZNS1_9scan_implILNS1_25lookback_scan_determinismE0ELb0ELb0ES3_N6thrust23THRUST_200600_302600_NS6detail15normal_iteratorINS9_10device_ptrItEEEENS9_16discard_iteratorINS9_11use_defaultEEEt11max_functorItEtEEDaPvRmT3_T4_T5_mT6_P12ihipStream_tbENKUlT_T0_E_clISt17integral_constantIbLb0EESW_IbLb1EEEEDaSS_ST_EUlSS_E0_NS1_11comp_targetILNS1_3genE5ELNS1_11target_archE942ELNS1_3gpuE9ELNS1_3repE0EEENS1_30default_config_static_selectorELNS0_4arch9wavefront6targetE1EEEvT1_: ; @_ZN7rocprim17ROCPRIM_400000_NS6detail17trampoline_kernelINS0_14default_configENS1_20scan_config_selectorItEEZZNS1_9scan_implILNS1_25lookback_scan_determinismE0ELb0ELb0ES3_N6thrust23THRUST_200600_302600_NS6detail15normal_iteratorINS9_10device_ptrItEEEENS9_16discard_iteratorINS9_11use_defaultEEEt11max_functorItEtEEDaPvRmT3_T4_T5_mT6_P12ihipStream_tbENKUlT_T0_E_clISt17integral_constantIbLb0EESW_IbLb1EEEEDaSS_ST_EUlSS_E0_NS1_11comp_targetILNS1_3genE5ELNS1_11target_archE942ELNS1_3gpuE9ELNS1_3repE0EEENS1_30default_config_static_selectorELNS0_4arch9wavefront6targetE1EEEvT1_
; %bb.0:
	.section	.rodata,"a",@progbits
	.p2align	6, 0x0
	.amdhsa_kernel _ZN7rocprim17ROCPRIM_400000_NS6detail17trampoline_kernelINS0_14default_configENS1_20scan_config_selectorItEEZZNS1_9scan_implILNS1_25lookback_scan_determinismE0ELb0ELb0ES3_N6thrust23THRUST_200600_302600_NS6detail15normal_iteratorINS9_10device_ptrItEEEENS9_16discard_iteratorINS9_11use_defaultEEEt11max_functorItEtEEDaPvRmT3_T4_T5_mT6_P12ihipStream_tbENKUlT_T0_E_clISt17integral_constantIbLb0EESW_IbLb1EEEEDaSS_ST_EUlSS_E0_NS1_11comp_targetILNS1_3genE5ELNS1_11target_archE942ELNS1_3gpuE9ELNS1_3repE0EEENS1_30default_config_static_selectorELNS0_4arch9wavefront6targetE1EEEvT1_
		.amdhsa_group_segment_fixed_size 0
		.amdhsa_private_segment_fixed_size 0
		.amdhsa_kernarg_size 40
		.amdhsa_user_sgpr_count 6
		.amdhsa_user_sgpr_private_segment_buffer 1
		.amdhsa_user_sgpr_dispatch_ptr 0
		.amdhsa_user_sgpr_queue_ptr 0
		.amdhsa_user_sgpr_kernarg_segment_ptr 1
		.amdhsa_user_sgpr_dispatch_id 0
		.amdhsa_user_sgpr_flat_scratch_init 0
		.amdhsa_user_sgpr_kernarg_preload_length 0
		.amdhsa_user_sgpr_kernarg_preload_offset 0
		.amdhsa_user_sgpr_private_segment_size 0
		.amdhsa_uses_dynamic_stack 0
		.amdhsa_system_sgpr_private_segment_wavefront_offset 0
		.amdhsa_system_sgpr_workgroup_id_x 1
		.amdhsa_system_sgpr_workgroup_id_y 0
		.amdhsa_system_sgpr_workgroup_id_z 0
		.amdhsa_system_sgpr_workgroup_info 0
		.amdhsa_system_vgpr_workitem_id 0
		.amdhsa_next_free_vgpr 1
		.amdhsa_next_free_sgpr 0
		.amdhsa_accum_offset 4
		.amdhsa_reserve_vcc 0
		.amdhsa_reserve_flat_scratch 0
		.amdhsa_float_round_mode_32 0
		.amdhsa_float_round_mode_16_64 0
		.amdhsa_float_denorm_mode_32 3
		.amdhsa_float_denorm_mode_16_64 3
		.amdhsa_dx10_clamp 1
		.amdhsa_ieee_mode 1
		.amdhsa_fp16_overflow 0
		.amdhsa_tg_split 0
		.amdhsa_exception_fp_ieee_invalid_op 0
		.amdhsa_exception_fp_denorm_src 0
		.amdhsa_exception_fp_ieee_div_zero 0
		.amdhsa_exception_fp_ieee_overflow 0
		.amdhsa_exception_fp_ieee_underflow 0
		.amdhsa_exception_fp_ieee_inexact 0
		.amdhsa_exception_int_div_zero 0
	.end_amdhsa_kernel
	.section	.text._ZN7rocprim17ROCPRIM_400000_NS6detail17trampoline_kernelINS0_14default_configENS1_20scan_config_selectorItEEZZNS1_9scan_implILNS1_25lookback_scan_determinismE0ELb0ELb0ES3_N6thrust23THRUST_200600_302600_NS6detail15normal_iteratorINS9_10device_ptrItEEEENS9_16discard_iteratorINS9_11use_defaultEEEt11max_functorItEtEEDaPvRmT3_T4_T5_mT6_P12ihipStream_tbENKUlT_T0_E_clISt17integral_constantIbLb0EESW_IbLb1EEEEDaSS_ST_EUlSS_E0_NS1_11comp_targetILNS1_3genE5ELNS1_11target_archE942ELNS1_3gpuE9ELNS1_3repE0EEENS1_30default_config_static_selectorELNS0_4arch9wavefront6targetE1EEEvT1_,"axG",@progbits,_ZN7rocprim17ROCPRIM_400000_NS6detail17trampoline_kernelINS0_14default_configENS1_20scan_config_selectorItEEZZNS1_9scan_implILNS1_25lookback_scan_determinismE0ELb0ELb0ES3_N6thrust23THRUST_200600_302600_NS6detail15normal_iteratorINS9_10device_ptrItEEEENS9_16discard_iteratorINS9_11use_defaultEEEt11max_functorItEtEEDaPvRmT3_T4_T5_mT6_P12ihipStream_tbENKUlT_T0_E_clISt17integral_constantIbLb0EESW_IbLb1EEEEDaSS_ST_EUlSS_E0_NS1_11comp_targetILNS1_3genE5ELNS1_11target_archE942ELNS1_3gpuE9ELNS1_3repE0EEENS1_30default_config_static_selectorELNS0_4arch9wavefront6targetE1EEEvT1_,comdat
.Lfunc_end3630:
	.size	_ZN7rocprim17ROCPRIM_400000_NS6detail17trampoline_kernelINS0_14default_configENS1_20scan_config_selectorItEEZZNS1_9scan_implILNS1_25lookback_scan_determinismE0ELb0ELb0ES3_N6thrust23THRUST_200600_302600_NS6detail15normal_iteratorINS9_10device_ptrItEEEENS9_16discard_iteratorINS9_11use_defaultEEEt11max_functorItEtEEDaPvRmT3_T4_T5_mT6_P12ihipStream_tbENKUlT_T0_E_clISt17integral_constantIbLb0EESW_IbLb1EEEEDaSS_ST_EUlSS_E0_NS1_11comp_targetILNS1_3genE5ELNS1_11target_archE942ELNS1_3gpuE9ELNS1_3repE0EEENS1_30default_config_static_selectorELNS0_4arch9wavefront6targetE1EEEvT1_, .Lfunc_end3630-_ZN7rocprim17ROCPRIM_400000_NS6detail17trampoline_kernelINS0_14default_configENS1_20scan_config_selectorItEEZZNS1_9scan_implILNS1_25lookback_scan_determinismE0ELb0ELb0ES3_N6thrust23THRUST_200600_302600_NS6detail15normal_iteratorINS9_10device_ptrItEEEENS9_16discard_iteratorINS9_11use_defaultEEEt11max_functorItEtEEDaPvRmT3_T4_T5_mT6_P12ihipStream_tbENKUlT_T0_E_clISt17integral_constantIbLb0EESW_IbLb1EEEEDaSS_ST_EUlSS_E0_NS1_11comp_targetILNS1_3genE5ELNS1_11target_archE942ELNS1_3gpuE9ELNS1_3repE0EEENS1_30default_config_static_selectorELNS0_4arch9wavefront6targetE1EEEvT1_
                                        ; -- End function
	.section	.AMDGPU.csdata,"",@progbits
; Kernel info:
; codeLenInByte = 0
; NumSgprs: 4
; NumVgprs: 0
; NumAgprs: 0
; TotalNumVgprs: 0
; ScratchSize: 0
; MemoryBound: 0
; FloatMode: 240
; IeeeMode: 1
; LDSByteSize: 0 bytes/workgroup (compile time only)
; SGPRBlocks: 0
; VGPRBlocks: 0
; NumSGPRsForWavesPerEU: 4
; NumVGPRsForWavesPerEU: 1
; AccumOffset: 4
; Occupancy: 8
; WaveLimiterHint : 0
; COMPUTE_PGM_RSRC2:SCRATCH_EN: 0
; COMPUTE_PGM_RSRC2:USER_SGPR: 6
; COMPUTE_PGM_RSRC2:TRAP_HANDLER: 0
; COMPUTE_PGM_RSRC2:TGID_X_EN: 1
; COMPUTE_PGM_RSRC2:TGID_Y_EN: 0
; COMPUTE_PGM_RSRC2:TGID_Z_EN: 0
; COMPUTE_PGM_RSRC2:TIDIG_COMP_CNT: 0
; COMPUTE_PGM_RSRC3_GFX90A:ACCUM_OFFSET: 0
; COMPUTE_PGM_RSRC3_GFX90A:TG_SPLIT: 0
	.section	.text._ZN7rocprim17ROCPRIM_400000_NS6detail17trampoline_kernelINS0_14default_configENS1_20scan_config_selectorItEEZZNS1_9scan_implILNS1_25lookback_scan_determinismE0ELb0ELb0ES3_N6thrust23THRUST_200600_302600_NS6detail15normal_iteratorINS9_10device_ptrItEEEENS9_16discard_iteratorINS9_11use_defaultEEEt11max_functorItEtEEDaPvRmT3_T4_T5_mT6_P12ihipStream_tbENKUlT_T0_E_clISt17integral_constantIbLb0EESW_IbLb1EEEEDaSS_ST_EUlSS_E0_NS1_11comp_targetILNS1_3genE4ELNS1_11target_archE910ELNS1_3gpuE8ELNS1_3repE0EEENS1_30default_config_static_selectorELNS0_4arch9wavefront6targetE1EEEvT1_,"axG",@progbits,_ZN7rocprim17ROCPRIM_400000_NS6detail17trampoline_kernelINS0_14default_configENS1_20scan_config_selectorItEEZZNS1_9scan_implILNS1_25lookback_scan_determinismE0ELb0ELb0ES3_N6thrust23THRUST_200600_302600_NS6detail15normal_iteratorINS9_10device_ptrItEEEENS9_16discard_iteratorINS9_11use_defaultEEEt11max_functorItEtEEDaPvRmT3_T4_T5_mT6_P12ihipStream_tbENKUlT_T0_E_clISt17integral_constantIbLb0EESW_IbLb1EEEEDaSS_ST_EUlSS_E0_NS1_11comp_targetILNS1_3genE4ELNS1_11target_archE910ELNS1_3gpuE8ELNS1_3repE0EEENS1_30default_config_static_selectorELNS0_4arch9wavefront6targetE1EEEvT1_,comdat
	.protected	_ZN7rocprim17ROCPRIM_400000_NS6detail17trampoline_kernelINS0_14default_configENS1_20scan_config_selectorItEEZZNS1_9scan_implILNS1_25lookback_scan_determinismE0ELb0ELb0ES3_N6thrust23THRUST_200600_302600_NS6detail15normal_iteratorINS9_10device_ptrItEEEENS9_16discard_iteratorINS9_11use_defaultEEEt11max_functorItEtEEDaPvRmT3_T4_T5_mT6_P12ihipStream_tbENKUlT_T0_E_clISt17integral_constantIbLb0EESW_IbLb1EEEEDaSS_ST_EUlSS_E0_NS1_11comp_targetILNS1_3genE4ELNS1_11target_archE910ELNS1_3gpuE8ELNS1_3repE0EEENS1_30default_config_static_selectorELNS0_4arch9wavefront6targetE1EEEvT1_ ; -- Begin function _ZN7rocprim17ROCPRIM_400000_NS6detail17trampoline_kernelINS0_14default_configENS1_20scan_config_selectorItEEZZNS1_9scan_implILNS1_25lookback_scan_determinismE0ELb0ELb0ES3_N6thrust23THRUST_200600_302600_NS6detail15normal_iteratorINS9_10device_ptrItEEEENS9_16discard_iteratorINS9_11use_defaultEEEt11max_functorItEtEEDaPvRmT3_T4_T5_mT6_P12ihipStream_tbENKUlT_T0_E_clISt17integral_constantIbLb0EESW_IbLb1EEEEDaSS_ST_EUlSS_E0_NS1_11comp_targetILNS1_3genE4ELNS1_11target_archE910ELNS1_3gpuE8ELNS1_3repE0EEENS1_30default_config_static_selectorELNS0_4arch9wavefront6targetE1EEEvT1_
	.globl	_ZN7rocprim17ROCPRIM_400000_NS6detail17trampoline_kernelINS0_14default_configENS1_20scan_config_selectorItEEZZNS1_9scan_implILNS1_25lookback_scan_determinismE0ELb0ELb0ES3_N6thrust23THRUST_200600_302600_NS6detail15normal_iteratorINS9_10device_ptrItEEEENS9_16discard_iteratorINS9_11use_defaultEEEt11max_functorItEtEEDaPvRmT3_T4_T5_mT6_P12ihipStream_tbENKUlT_T0_E_clISt17integral_constantIbLb0EESW_IbLb1EEEEDaSS_ST_EUlSS_E0_NS1_11comp_targetILNS1_3genE4ELNS1_11target_archE910ELNS1_3gpuE8ELNS1_3repE0EEENS1_30default_config_static_selectorELNS0_4arch9wavefront6targetE1EEEvT1_
	.p2align	8
	.type	_ZN7rocprim17ROCPRIM_400000_NS6detail17trampoline_kernelINS0_14default_configENS1_20scan_config_selectorItEEZZNS1_9scan_implILNS1_25lookback_scan_determinismE0ELb0ELb0ES3_N6thrust23THRUST_200600_302600_NS6detail15normal_iteratorINS9_10device_ptrItEEEENS9_16discard_iteratorINS9_11use_defaultEEEt11max_functorItEtEEDaPvRmT3_T4_T5_mT6_P12ihipStream_tbENKUlT_T0_E_clISt17integral_constantIbLb0EESW_IbLb1EEEEDaSS_ST_EUlSS_E0_NS1_11comp_targetILNS1_3genE4ELNS1_11target_archE910ELNS1_3gpuE8ELNS1_3repE0EEENS1_30default_config_static_selectorELNS0_4arch9wavefront6targetE1EEEvT1_,@function
_ZN7rocprim17ROCPRIM_400000_NS6detail17trampoline_kernelINS0_14default_configENS1_20scan_config_selectorItEEZZNS1_9scan_implILNS1_25lookback_scan_determinismE0ELb0ELb0ES3_N6thrust23THRUST_200600_302600_NS6detail15normal_iteratorINS9_10device_ptrItEEEENS9_16discard_iteratorINS9_11use_defaultEEEt11max_functorItEtEEDaPvRmT3_T4_T5_mT6_P12ihipStream_tbENKUlT_T0_E_clISt17integral_constantIbLb0EESW_IbLb1EEEEDaSS_ST_EUlSS_E0_NS1_11comp_targetILNS1_3genE4ELNS1_11target_archE910ELNS1_3gpuE8ELNS1_3repE0EEENS1_30default_config_static_selectorELNS0_4arch9wavefront6targetE1EEEvT1_: ; @_ZN7rocprim17ROCPRIM_400000_NS6detail17trampoline_kernelINS0_14default_configENS1_20scan_config_selectorItEEZZNS1_9scan_implILNS1_25lookback_scan_determinismE0ELb0ELb0ES3_N6thrust23THRUST_200600_302600_NS6detail15normal_iteratorINS9_10device_ptrItEEEENS9_16discard_iteratorINS9_11use_defaultEEEt11max_functorItEtEEDaPvRmT3_T4_T5_mT6_P12ihipStream_tbENKUlT_T0_E_clISt17integral_constantIbLb0EESW_IbLb1EEEEDaSS_ST_EUlSS_E0_NS1_11comp_targetILNS1_3genE4ELNS1_11target_archE910ELNS1_3gpuE8ELNS1_3repE0EEENS1_30default_config_static_selectorELNS0_4arch9wavefront6targetE1EEEvT1_
; %bb.0:
	s_load_dwordx4 s[0:3], s[4:5], 0x0
	v_mov_b32_e32 v1, 0
	s_waitcnt lgkmcnt(0)
	global_load_ushort v2, v1, s[0:1]
	v_cmp_gt_u32_e32 vcc, s2, v0
	v_lshlrev_b32_e32 v1, 1, v0
	s_waitcnt vmcnt(0)
	v_mov_b32_e32 v3, v2
	s_and_saveexec_b64 s[4:5], vcc
	s_cbranch_execz .LBB3631_2
; %bb.1:
	global_load_ushort v3, v1, s[0:1]
.LBB3631_2:
	s_or_b64 exec, exec, s[4:5]
	v_or_b32_e32 v4, 64, v0
	v_cmp_gt_u32_e32 vcc, s2, v4
	v_mov_b32_e32 v4, v2
	s_and_saveexec_b64 s[4:5], vcc
	s_cbranch_execz .LBB3631_4
; %bb.3:
	global_load_ushort v4, v1, s[0:1] offset:128
.LBB3631_4:
	s_or_b64 exec, exec, s[4:5]
	v_or_b32_e32 v5, 0x80, v0
	v_cmp_gt_u32_e32 vcc, s2, v5
	v_mov_b32_e32 v5, v2
	s_and_saveexec_b64 s[4:5], vcc
	s_cbranch_execz .LBB3631_6
; %bb.5:
	global_load_ushort v5, v1, s[0:1] offset:256
.LBB3631_6:
	;; [unrolled: 9-line block ×22, first 2 shown]
	s_or_b64 exec, exec, s[4:5]
	v_or_b32_e32 v26, 0x5c0, v0
	v_cmp_gt_u32_e32 vcc, s2, v26
	s_and_saveexec_b64 s[2:3], vcc
	s_cbranch_execz .LBB3631_48
; %bb.47:
	global_load_ushort v2, v1, s[0:1] offset:2944
.LBB3631_48:
	s_or_b64 exec, exec, s[2:3]
	s_waitcnt vmcnt(0)
	ds_write_b16 v1, v3
	ds_write_b16 v1, v4 offset:128
	ds_write_b16 v1, v5 offset:256
	;; [unrolled: 1-line block ×23, first 2 shown]
	v_mad_u32_u24 v6, v0, 46, v1
	s_waitcnt lgkmcnt(0)
	; wave barrier
	s_waitcnt lgkmcnt(0)
	ds_read_b128 v[2:5], v6
	ds_read_b128 v[10:13], v6 offset:16
	ds_read_b128 v[6:9], v6 offset:32
	v_mbcnt_lo_u32_b32 v37, -1, 0
	v_mbcnt_hi_u32_b32 v37, -1, v37
	s_waitcnt lgkmcnt(2)
	v_max_u16_sdwa v14, v2, v2 dst_sel:DWORD dst_unused:UNUSED_PAD src0_sel:DWORD src1_sel:WORD_1
	v_max_u16_e32 v15, v14, v3
	v_max_u16_sdwa v17, v15, v3 dst_sel:DWORD dst_unused:UNUSED_PAD src0_sel:DWORD src1_sel:WORD_1
	v_max_u16_e32 v19, v17, v4
	;; [unrolled: 2-line block ×3, first 2 shown]
	v_max_u16_sdwa v27, v24, v5 dst_sel:DWORD dst_unused:UNUSED_PAD src0_sel:DWORD src1_sel:WORD_1
	s_waitcnt lgkmcnt(1)
	v_max_u16_e32 v16, v27, v10
	v_max_u16_sdwa v18, v16, v10 dst_sel:DWORD dst_unused:UNUSED_PAD src0_sel:DWORD src1_sel:WORD_1
	v_max_u16_e32 v20, v18, v11
	v_max_u16_sdwa v23, v20, v11 dst_sel:DWORD dst_unused:UNUSED_PAD src0_sel:DWORD src1_sel:WORD_1
	;; [unrolled: 2-line block ×4, first 2 shown]
	s_waitcnt lgkmcnt(0)
	v_max_u16_e32 v22, v33, v6
	v_max_u16_sdwa v25, v22, v6 dst_sel:DWORD dst_unused:UNUSED_PAD src0_sel:DWORD src1_sel:WORD_1
	v_max_u16_e32 v28, v25, v7
	v_max_u16_sdwa v30, v28, v7 dst_sel:DWORD dst_unused:UNUSED_PAD src0_sel:DWORD src1_sel:WORD_1
	;; [unrolled: 2-line block ×4, first 2 shown]
	v_and_b32_e32 v38, 15, v37
	v_cmp_eq_u32_e32 vcc, 0, v38
	v_mov_b32_dpp v39, v36 row_shr:1 row_mask:0xf bank_mask:0xf
	v_max_u16_e32 v39, v39, v36
	v_cndmask_b32_e32 v39, v39, v36, vcc
	v_and_b32_e32 v40, 0xffff, v39
	v_cmp_lt_u32_e32 vcc, 1, v38
	s_nop 0
	v_mov_b32_dpp v40, v40 row_shr:2 row_mask:0xf bank_mask:0xf
	v_max_u16_e32 v40, v40, v39
	v_cndmask_b32_e32 v39, v39, v40, vcc
	v_and_b32_e32 v40, 0xffff, v39
	v_cmp_lt_u32_e32 vcc, 3, v38
	; wave barrier
	s_nop 0
	v_mov_b32_dpp v40, v40 row_shr:4 row_mask:0xf bank_mask:0xf
	v_max_u16_e32 v40, v40, v39
	v_cndmask_b32_e32 v39, v39, v40, vcc
	v_and_b32_e32 v40, 0xffff, v39
	v_cmp_lt_u32_e32 vcc, 7, v38
	s_nop 0
	v_mov_b32_dpp v40, v40 row_shr:8 row_mask:0xf bank_mask:0xf
	v_max_u16_e32 v40, v40, v39
	v_cndmask_b32_e32 v38, v39, v40, vcc
	v_and_b32_e32 v39, 0xffff, v38
	v_and_b32_e32 v40, 16, v37
	v_cmp_eq_u32_e32 vcc, 0, v40
	v_mov_b32_dpp v39, v39 row_bcast:15 row_mask:0xf bank_mask:0xf
	v_max_u16_e32 v39, v39, v38
	v_cndmask_b32_e32 v38, v39, v38, vcc
	v_and_b32_e32 v39, 0xffff, v38
	v_cmp_lt_u32_e32 vcc, 31, v37
	s_nop 0
	v_mov_b32_dpp v39, v39 row_bcast:31 row_mask:0xf bank_mask:0xf
	v_max_u16_e32 v39, v39, v38
	v_cndmask_b32_e32 v38, v38, v39, vcc
	v_cmp_eq_u32_e32 vcc, 63, v0
	s_and_saveexec_b64 s[0:1], vcc
	s_cbranch_execz .LBB3631_50
; %bb.49:
	v_mov_b32_e32 v39, 0
	ds_write_b16 v39, v38
.LBB3631_50:
	s_or_b64 exec, exec, s[0:1]
	v_add_u32_e32 v39, -1, v37
	v_and_b32_e32 v40, 64, v37
	v_cmp_lt_i32_e32 vcc, v39, v40
	v_cndmask_b32_e32 v37, v39, v37, vcc
	v_and_b32_e32 v38, 0xffff, v38
	v_lshlrev_b32_e32 v37, 2, v37
	ds_bpermute_b32 v38, v37, v38
	v_mul_u32_u24_e32 v37, 46, v0
	v_cmp_ne_u32_e32 vcc, 0, v0
	s_waitcnt lgkmcnt(0)
	; wave barrier
	s_waitcnt lgkmcnt(0)
	s_and_saveexec_b64 s[0:1], vcc
	s_cbranch_execz .LBB3631_52
; %bb.51:
	v_max_u16_e32 v0, v38, v2
	v_max_u16_sdwa v14, v0, v2 dst_sel:DWORD dst_unused:UNUSED_PAD src0_sel:DWORD src1_sel:WORD_1
	v_max_u16_e32 v15, v14, v3
	v_max_u16_sdwa v17, v15, v3 dst_sel:DWORD dst_unused:UNUSED_PAD src0_sel:DWORD src1_sel:WORD_1
	;; [unrolled: 2-line block ×12, first 2 shown]
	v_mov_b32_e32 v2, v0
	;;#ASMSTART
	;;#ASMEND
.LBB3631_52:
	s_or_b64 exec, exec, s[0:1]
	s_mov_b32 s0, 0x5040100
	v_add_u32_e32 v6, v1, v37
	v_perm_b32 v5, v27, v24, s0
	v_perm_b32 v4, v21, v19, s0
	;; [unrolled: 1-line block ×4, first 2 shown]
	s_waitcnt lgkmcnt(0)
	; wave barrier
	ds_write_b128 v6, v[2:5]
	v_perm_b32 v3, v33, v31, s0
	v_perm_b32 v2, v29, v26, s0
	;; [unrolled: 1-line block ×4, first 2 shown]
	ds_write_b128 v6, v[0:3] offset:16
	v_perm_b32 v3, v36, v35, s0
	v_perm_b32 v2, v34, v32, s0
	v_perm_b32 v1, v30, v28, s0
	v_perm_b32 v0, v25, v22, s0
	ds_write_b128 v6, v[0:3] offset:32
	s_waitcnt lgkmcnt(0)
	; wave barrier
	s_waitcnt lgkmcnt(0)
	s_endpgm
	.section	.rodata,"a",@progbits
	.p2align	6, 0x0
	.amdhsa_kernel _ZN7rocprim17ROCPRIM_400000_NS6detail17trampoline_kernelINS0_14default_configENS1_20scan_config_selectorItEEZZNS1_9scan_implILNS1_25lookback_scan_determinismE0ELb0ELb0ES3_N6thrust23THRUST_200600_302600_NS6detail15normal_iteratorINS9_10device_ptrItEEEENS9_16discard_iteratorINS9_11use_defaultEEEt11max_functorItEtEEDaPvRmT3_T4_T5_mT6_P12ihipStream_tbENKUlT_T0_E_clISt17integral_constantIbLb0EESW_IbLb1EEEEDaSS_ST_EUlSS_E0_NS1_11comp_targetILNS1_3genE4ELNS1_11target_archE910ELNS1_3gpuE8ELNS1_3repE0EEENS1_30default_config_static_selectorELNS0_4arch9wavefront6targetE1EEEvT1_
		.amdhsa_group_segment_fixed_size 3072
		.amdhsa_private_segment_fixed_size 0
		.amdhsa_kernarg_size 40
		.amdhsa_user_sgpr_count 6
		.amdhsa_user_sgpr_private_segment_buffer 1
		.amdhsa_user_sgpr_dispatch_ptr 0
		.amdhsa_user_sgpr_queue_ptr 0
		.amdhsa_user_sgpr_kernarg_segment_ptr 1
		.amdhsa_user_sgpr_dispatch_id 0
		.amdhsa_user_sgpr_flat_scratch_init 0
		.amdhsa_user_sgpr_kernarg_preload_length 0
		.amdhsa_user_sgpr_kernarg_preload_offset 0
		.amdhsa_user_sgpr_private_segment_size 0
		.amdhsa_uses_dynamic_stack 0
		.amdhsa_system_sgpr_private_segment_wavefront_offset 0
		.amdhsa_system_sgpr_workgroup_id_x 1
		.amdhsa_system_sgpr_workgroup_id_y 0
		.amdhsa_system_sgpr_workgroup_id_z 0
		.amdhsa_system_sgpr_workgroup_info 0
		.amdhsa_system_vgpr_workitem_id 0
		.amdhsa_next_free_vgpr 41
		.amdhsa_next_free_sgpr 6
		.amdhsa_accum_offset 44
		.amdhsa_reserve_vcc 1
		.amdhsa_reserve_flat_scratch 0
		.amdhsa_float_round_mode_32 0
		.amdhsa_float_round_mode_16_64 0
		.amdhsa_float_denorm_mode_32 3
		.amdhsa_float_denorm_mode_16_64 3
		.amdhsa_dx10_clamp 1
		.amdhsa_ieee_mode 1
		.amdhsa_fp16_overflow 0
		.amdhsa_tg_split 0
		.amdhsa_exception_fp_ieee_invalid_op 0
		.amdhsa_exception_fp_denorm_src 0
		.amdhsa_exception_fp_ieee_div_zero 0
		.amdhsa_exception_fp_ieee_overflow 0
		.amdhsa_exception_fp_ieee_underflow 0
		.amdhsa_exception_fp_ieee_inexact 0
		.amdhsa_exception_int_div_zero 0
	.end_amdhsa_kernel
	.section	.text._ZN7rocprim17ROCPRIM_400000_NS6detail17trampoline_kernelINS0_14default_configENS1_20scan_config_selectorItEEZZNS1_9scan_implILNS1_25lookback_scan_determinismE0ELb0ELb0ES3_N6thrust23THRUST_200600_302600_NS6detail15normal_iteratorINS9_10device_ptrItEEEENS9_16discard_iteratorINS9_11use_defaultEEEt11max_functorItEtEEDaPvRmT3_T4_T5_mT6_P12ihipStream_tbENKUlT_T0_E_clISt17integral_constantIbLb0EESW_IbLb1EEEEDaSS_ST_EUlSS_E0_NS1_11comp_targetILNS1_3genE4ELNS1_11target_archE910ELNS1_3gpuE8ELNS1_3repE0EEENS1_30default_config_static_selectorELNS0_4arch9wavefront6targetE1EEEvT1_,"axG",@progbits,_ZN7rocprim17ROCPRIM_400000_NS6detail17trampoline_kernelINS0_14default_configENS1_20scan_config_selectorItEEZZNS1_9scan_implILNS1_25lookback_scan_determinismE0ELb0ELb0ES3_N6thrust23THRUST_200600_302600_NS6detail15normal_iteratorINS9_10device_ptrItEEEENS9_16discard_iteratorINS9_11use_defaultEEEt11max_functorItEtEEDaPvRmT3_T4_T5_mT6_P12ihipStream_tbENKUlT_T0_E_clISt17integral_constantIbLb0EESW_IbLb1EEEEDaSS_ST_EUlSS_E0_NS1_11comp_targetILNS1_3genE4ELNS1_11target_archE910ELNS1_3gpuE8ELNS1_3repE0EEENS1_30default_config_static_selectorELNS0_4arch9wavefront6targetE1EEEvT1_,comdat
.Lfunc_end3631:
	.size	_ZN7rocprim17ROCPRIM_400000_NS6detail17trampoline_kernelINS0_14default_configENS1_20scan_config_selectorItEEZZNS1_9scan_implILNS1_25lookback_scan_determinismE0ELb0ELb0ES3_N6thrust23THRUST_200600_302600_NS6detail15normal_iteratorINS9_10device_ptrItEEEENS9_16discard_iteratorINS9_11use_defaultEEEt11max_functorItEtEEDaPvRmT3_T4_T5_mT6_P12ihipStream_tbENKUlT_T0_E_clISt17integral_constantIbLb0EESW_IbLb1EEEEDaSS_ST_EUlSS_E0_NS1_11comp_targetILNS1_3genE4ELNS1_11target_archE910ELNS1_3gpuE8ELNS1_3repE0EEENS1_30default_config_static_selectorELNS0_4arch9wavefront6targetE1EEEvT1_, .Lfunc_end3631-_ZN7rocprim17ROCPRIM_400000_NS6detail17trampoline_kernelINS0_14default_configENS1_20scan_config_selectorItEEZZNS1_9scan_implILNS1_25lookback_scan_determinismE0ELb0ELb0ES3_N6thrust23THRUST_200600_302600_NS6detail15normal_iteratorINS9_10device_ptrItEEEENS9_16discard_iteratorINS9_11use_defaultEEEt11max_functorItEtEEDaPvRmT3_T4_T5_mT6_P12ihipStream_tbENKUlT_T0_E_clISt17integral_constantIbLb0EESW_IbLb1EEEEDaSS_ST_EUlSS_E0_NS1_11comp_targetILNS1_3genE4ELNS1_11target_archE910ELNS1_3gpuE8ELNS1_3repE0EEENS1_30default_config_static_selectorELNS0_4arch9wavefront6targetE1EEEvT1_
                                        ; -- End function
	.section	.AMDGPU.csdata,"",@progbits
; Kernel info:
; codeLenInByte = 1856
; NumSgprs: 10
; NumVgprs: 41
; NumAgprs: 0
; TotalNumVgprs: 41
; ScratchSize: 0
; MemoryBound: 0
; FloatMode: 240
; IeeeMode: 1
; LDSByteSize: 3072 bytes/workgroup (compile time only)
; SGPRBlocks: 1
; VGPRBlocks: 5
; NumSGPRsForWavesPerEU: 10
; NumVGPRsForWavesPerEU: 41
; AccumOffset: 44
; Occupancy: 6
; WaveLimiterHint : 0
; COMPUTE_PGM_RSRC2:SCRATCH_EN: 0
; COMPUTE_PGM_RSRC2:USER_SGPR: 6
; COMPUTE_PGM_RSRC2:TRAP_HANDLER: 0
; COMPUTE_PGM_RSRC2:TGID_X_EN: 1
; COMPUTE_PGM_RSRC2:TGID_Y_EN: 0
; COMPUTE_PGM_RSRC2:TGID_Z_EN: 0
; COMPUTE_PGM_RSRC2:TIDIG_COMP_CNT: 0
; COMPUTE_PGM_RSRC3_GFX90A:ACCUM_OFFSET: 10
; COMPUTE_PGM_RSRC3_GFX90A:TG_SPLIT: 0
	.section	.text._ZN7rocprim17ROCPRIM_400000_NS6detail17trampoline_kernelINS0_14default_configENS1_20scan_config_selectorItEEZZNS1_9scan_implILNS1_25lookback_scan_determinismE0ELb0ELb0ES3_N6thrust23THRUST_200600_302600_NS6detail15normal_iteratorINS9_10device_ptrItEEEENS9_16discard_iteratorINS9_11use_defaultEEEt11max_functorItEtEEDaPvRmT3_T4_T5_mT6_P12ihipStream_tbENKUlT_T0_E_clISt17integral_constantIbLb0EESW_IbLb1EEEEDaSS_ST_EUlSS_E0_NS1_11comp_targetILNS1_3genE3ELNS1_11target_archE908ELNS1_3gpuE7ELNS1_3repE0EEENS1_30default_config_static_selectorELNS0_4arch9wavefront6targetE1EEEvT1_,"axG",@progbits,_ZN7rocprim17ROCPRIM_400000_NS6detail17trampoline_kernelINS0_14default_configENS1_20scan_config_selectorItEEZZNS1_9scan_implILNS1_25lookback_scan_determinismE0ELb0ELb0ES3_N6thrust23THRUST_200600_302600_NS6detail15normal_iteratorINS9_10device_ptrItEEEENS9_16discard_iteratorINS9_11use_defaultEEEt11max_functorItEtEEDaPvRmT3_T4_T5_mT6_P12ihipStream_tbENKUlT_T0_E_clISt17integral_constantIbLb0EESW_IbLb1EEEEDaSS_ST_EUlSS_E0_NS1_11comp_targetILNS1_3genE3ELNS1_11target_archE908ELNS1_3gpuE7ELNS1_3repE0EEENS1_30default_config_static_selectorELNS0_4arch9wavefront6targetE1EEEvT1_,comdat
	.protected	_ZN7rocprim17ROCPRIM_400000_NS6detail17trampoline_kernelINS0_14default_configENS1_20scan_config_selectorItEEZZNS1_9scan_implILNS1_25lookback_scan_determinismE0ELb0ELb0ES3_N6thrust23THRUST_200600_302600_NS6detail15normal_iteratorINS9_10device_ptrItEEEENS9_16discard_iteratorINS9_11use_defaultEEEt11max_functorItEtEEDaPvRmT3_T4_T5_mT6_P12ihipStream_tbENKUlT_T0_E_clISt17integral_constantIbLb0EESW_IbLb1EEEEDaSS_ST_EUlSS_E0_NS1_11comp_targetILNS1_3genE3ELNS1_11target_archE908ELNS1_3gpuE7ELNS1_3repE0EEENS1_30default_config_static_selectorELNS0_4arch9wavefront6targetE1EEEvT1_ ; -- Begin function _ZN7rocprim17ROCPRIM_400000_NS6detail17trampoline_kernelINS0_14default_configENS1_20scan_config_selectorItEEZZNS1_9scan_implILNS1_25lookback_scan_determinismE0ELb0ELb0ES3_N6thrust23THRUST_200600_302600_NS6detail15normal_iteratorINS9_10device_ptrItEEEENS9_16discard_iteratorINS9_11use_defaultEEEt11max_functorItEtEEDaPvRmT3_T4_T5_mT6_P12ihipStream_tbENKUlT_T0_E_clISt17integral_constantIbLb0EESW_IbLb1EEEEDaSS_ST_EUlSS_E0_NS1_11comp_targetILNS1_3genE3ELNS1_11target_archE908ELNS1_3gpuE7ELNS1_3repE0EEENS1_30default_config_static_selectorELNS0_4arch9wavefront6targetE1EEEvT1_
	.globl	_ZN7rocprim17ROCPRIM_400000_NS6detail17trampoline_kernelINS0_14default_configENS1_20scan_config_selectorItEEZZNS1_9scan_implILNS1_25lookback_scan_determinismE0ELb0ELb0ES3_N6thrust23THRUST_200600_302600_NS6detail15normal_iteratorINS9_10device_ptrItEEEENS9_16discard_iteratorINS9_11use_defaultEEEt11max_functorItEtEEDaPvRmT3_T4_T5_mT6_P12ihipStream_tbENKUlT_T0_E_clISt17integral_constantIbLb0EESW_IbLb1EEEEDaSS_ST_EUlSS_E0_NS1_11comp_targetILNS1_3genE3ELNS1_11target_archE908ELNS1_3gpuE7ELNS1_3repE0EEENS1_30default_config_static_selectorELNS0_4arch9wavefront6targetE1EEEvT1_
	.p2align	8
	.type	_ZN7rocprim17ROCPRIM_400000_NS6detail17trampoline_kernelINS0_14default_configENS1_20scan_config_selectorItEEZZNS1_9scan_implILNS1_25lookback_scan_determinismE0ELb0ELb0ES3_N6thrust23THRUST_200600_302600_NS6detail15normal_iteratorINS9_10device_ptrItEEEENS9_16discard_iteratorINS9_11use_defaultEEEt11max_functorItEtEEDaPvRmT3_T4_T5_mT6_P12ihipStream_tbENKUlT_T0_E_clISt17integral_constantIbLb0EESW_IbLb1EEEEDaSS_ST_EUlSS_E0_NS1_11comp_targetILNS1_3genE3ELNS1_11target_archE908ELNS1_3gpuE7ELNS1_3repE0EEENS1_30default_config_static_selectorELNS0_4arch9wavefront6targetE1EEEvT1_,@function
_ZN7rocprim17ROCPRIM_400000_NS6detail17trampoline_kernelINS0_14default_configENS1_20scan_config_selectorItEEZZNS1_9scan_implILNS1_25lookback_scan_determinismE0ELb0ELb0ES3_N6thrust23THRUST_200600_302600_NS6detail15normal_iteratorINS9_10device_ptrItEEEENS9_16discard_iteratorINS9_11use_defaultEEEt11max_functorItEtEEDaPvRmT3_T4_T5_mT6_P12ihipStream_tbENKUlT_T0_E_clISt17integral_constantIbLb0EESW_IbLb1EEEEDaSS_ST_EUlSS_E0_NS1_11comp_targetILNS1_3genE3ELNS1_11target_archE908ELNS1_3gpuE7ELNS1_3repE0EEENS1_30default_config_static_selectorELNS0_4arch9wavefront6targetE1EEEvT1_: ; @_ZN7rocprim17ROCPRIM_400000_NS6detail17trampoline_kernelINS0_14default_configENS1_20scan_config_selectorItEEZZNS1_9scan_implILNS1_25lookback_scan_determinismE0ELb0ELb0ES3_N6thrust23THRUST_200600_302600_NS6detail15normal_iteratorINS9_10device_ptrItEEEENS9_16discard_iteratorINS9_11use_defaultEEEt11max_functorItEtEEDaPvRmT3_T4_T5_mT6_P12ihipStream_tbENKUlT_T0_E_clISt17integral_constantIbLb0EESW_IbLb1EEEEDaSS_ST_EUlSS_E0_NS1_11comp_targetILNS1_3genE3ELNS1_11target_archE908ELNS1_3gpuE7ELNS1_3repE0EEENS1_30default_config_static_selectorELNS0_4arch9wavefront6targetE1EEEvT1_
; %bb.0:
	.section	.rodata,"a",@progbits
	.p2align	6, 0x0
	.amdhsa_kernel _ZN7rocprim17ROCPRIM_400000_NS6detail17trampoline_kernelINS0_14default_configENS1_20scan_config_selectorItEEZZNS1_9scan_implILNS1_25lookback_scan_determinismE0ELb0ELb0ES3_N6thrust23THRUST_200600_302600_NS6detail15normal_iteratorINS9_10device_ptrItEEEENS9_16discard_iteratorINS9_11use_defaultEEEt11max_functorItEtEEDaPvRmT3_T4_T5_mT6_P12ihipStream_tbENKUlT_T0_E_clISt17integral_constantIbLb0EESW_IbLb1EEEEDaSS_ST_EUlSS_E0_NS1_11comp_targetILNS1_3genE3ELNS1_11target_archE908ELNS1_3gpuE7ELNS1_3repE0EEENS1_30default_config_static_selectorELNS0_4arch9wavefront6targetE1EEEvT1_
		.amdhsa_group_segment_fixed_size 0
		.amdhsa_private_segment_fixed_size 0
		.amdhsa_kernarg_size 40
		.amdhsa_user_sgpr_count 6
		.amdhsa_user_sgpr_private_segment_buffer 1
		.amdhsa_user_sgpr_dispatch_ptr 0
		.amdhsa_user_sgpr_queue_ptr 0
		.amdhsa_user_sgpr_kernarg_segment_ptr 1
		.amdhsa_user_sgpr_dispatch_id 0
		.amdhsa_user_sgpr_flat_scratch_init 0
		.amdhsa_user_sgpr_kernarg_preload_length 0
		.amdhsa_user_sgpr_kernarg_preload_offset 0
		.amdhsa_user_sgpr_private_segment_size 0
		.amdhsa_uses_dynamic_stack 0
		.amdhsa_system_sgpr_private_segment_wavefront_offset 0
		.amdhsa_system_sgpr_workgroup_id_x 1
		.amdhsa_system_sgpr_workgroup_id_y 0
		.amdhsa_system_sgpr_workgroup_id_z 0
		.amdhsa_system_sgpr_workgroup_info 0
		.amdhsa_system_vgpr_workitem_id 0
		.amdhsa_next_free_vgpr 1
		.amdhsa_next_free_sgpr 0
		.amdhsa_accum_offset 4
		.amdhsa_reserve_vcc 0
		.amdhsa_reserve_flat_scratch 0
		.amdhsa_float_round_mode_32 0
		.amdhsa_float_round_mode_16_64 0
		.amdhsa_float_denorm_mode_32 3
		.amdhsa_float_denorm_mode_16_64 3
		.amdhsa_dx10_clamp 1
		.amdhsa_ieee_mode 1
		.amdhsa_fp16_overflow 0
		.amdhsa_tg_split 0
		.amdhsa_exception_fp_ieee_invalid_op 0
		.amdhsa_exception_fp_denorm_src 0
		.amdhsa_exception_fp_ieee_div_zero 0
		.amdhsa_exception_fp_ieee_overflow 0
		.amdhsa_exception_fp_ieee_underflow 0
		.amdhsa_exception_fp_ieee_inexact 0
		.amdhsa_exception_int_div_zero 0
	.end_amdhsa_kernel
	.section	.text._ZN7rocprim17ROCPRIM_400000_NS6detail17trampoline_kernelINS0_14default_configENS1_20scan_config_selectorItEEZZNS1_9scan_implILNS1_25lookback_scan_determinismE0ELb0ELb0ES3_N6thrust23THRUST_200600_302600_NS6detail15normal_iteratorINS9_10device_ptrItEEEENS9_16discard_iteratorINS9_11use_defaultEEEt11max_functorItEtEEDaPvRmT3_T4_T5_mT6_P12ihipStream_tbENKUlT_T0_E_clISt17integral_constantIbLb0EESW_IbLb1EEEEDaSS_ST_EUlSS_E0_NS1_11comp_targetILNS1_3genE3ELNS1_11target_archE908ELNS1_3gpuE7ELNS1_3repE0EEENS1_30default_config_static_selectorELNS0_4arch9wavefront6targetE1EEEvT1_,"axG",@progbits,_ZN7rocprim17ROCPRIM_400000_NS6detail17trampoline_kernelINS0_14default_configENS1_20scan_config_selectorItEEZZNS1_9scan_implILNS1_25lookback_scan_determinismE0ELb0ELb0ES3_N6thrust23THRUST_200600_302600_NS6detail15normal_iteratorINS9_10device_ptrItEEEENS9_16discard_iteratorINS9_11use_defaultEEEt11max_functorItEtEEDaPvRmT3_T4_T5_mT6_P12ihipStream_tbENKUlT_T0_E_clISt17integral_constantIbLb0EESW_IbLb1EEEEDaSS_ST_EUlSS_E0_NS1_11comp_targetILNS1_3genE3ELNS1_11target_archE908ELNS1_3gpuE7ELNS1_3repE0EEENS1_30default_config_static_selectorELNS0_4arch9wavefront6targetE1EEEvT1_,comdat
.Lfunc_end3632:
	.size	_ZN7rocprim17ROCPRIM_400000_NS6detail17trampoline_kernelINS0_14default_configENS1_20scan_config_selectorItEEZZNS1_9scan_implILNS1_25lookback_scan_determinismE0ELb0ELb0ES3_N6thrust23THRUST_200600_302600_NS6detail15normal_iteratorINS9_10device_ptrItEEEENS9_16discard_iteratorINS9_11use_defaultEEEt11max_functorItEtEEDaPvRmT3_T4_T5_mT6_P12ihipStream_tbENKUlT_T0_E_clISt17integral_constantIbLb0EESW_IbLb1EEEEDaSS_ST_EUlSS_E0_NS1_11comp_targetILNS1_3genE3ELNS1_11target_archE908ELNS1_3gpuE7ELNS1_3repE0EEENS1_30default_config_static_selectorELNS0_4arch9wavefront6targetE1EEEvT1_, .Lfunc_end3632-_ZN7rocprim17ROCPRIM_400000_NS6detail17trampoline_kernelINS0_14default_configENS1_20scan_config_selectorItEEZZNS1_9scan_implILNS1_25lookback_scan_determinismE0ELb0ELb0ES3_N6thrust23THRUST_200600_302600_NS6detail15normal_iteratorINS9_10device_ptrItEEEENS9_16discard_iteratorINS9_11use_defaultEEEt11max_functorItEtEEDaPvRmT3_T4_T5_mT6_P12ihipStream_tbENKUlT_T0_E_clISt17integral_constantIbLb0EESW_IbLb1EEEEDaSS_ST_EUlSS_E0_NS1_11comp_targetILNS1_3genE3ELNS1_11target_archE908ELNS1_3gpuE7ELNS1_3repE0EEENS1_30default_config_static_selectorELNS0_4arch9wavefront6targetE1EEEvT1_
                                        ; -- End function
	.section	.AMDGPU.csdata,"",@progbits
; Kernel info:
; codeLenInByte = 0
; NumSgprs: 4
; NumVgprs: 0
; NumAgprs: 0
; TotalNumVgprs: 0
; ScratchSize: 0
; MemoryBound: 0
; FloatMode: 240
; IeeeMode: 1
; LDSByteSize: 0 bytes/workgroup (compile time only)
; SGPRBlocks: 0
; VGPRBlocks: 0
; NumSGPRsForWavesPerEU: 4
; NumVGPRsForWavesPerEU: 1
; AccumOffset: 4
; Occupancy: 8
; WaveLimiterHint : 0
; COMPUTE_PGM_RSRC2:SCRATCH_EN: 0
; COMPUTE_PGM_RSRC2:USER_SGPR: 6
; COMPUTE_PGM_RSRC2:TRAP_HANDLER: 0
; COMPUTE_PGM_RSRC2:TGID_X_EN: 1
; COMPUTE_PGM_RSRC2:TGID_Y_EN: 0
; COMPUTE_PGM_RSRC2:TGID_Z_EN: 0
; COMPUTE_PGM_RSRC2:TIDIG_COMP_CNT: 0
; COMPUTE_PGM_RSRC3_GFX90A:ACCUM_OFFSET: 0
; COMPUTE_PGM_RSRC3_GFX90A:TG_SPLIT: 0
	.section	.text._ZN7rocprim17ROCPRIM_400000_NS6detail17trampoline_kernelINS0_14default_configENS1_20scan_config_selectorItEEZZNS1_9scan_implILNS1_25lookback_scan_determinismE0ELb0ELb0ES3_N6thrust23THRUST_200600_302600_NS6detail15normal_iteratorINS9_10device_ptrItEEEENS9_16discard_iteratorINS9_11use_defaultEEEt11max_functorItEtEEDaPvRmT3_T4_T5_mT6_P12ihipStream_tbENKUlT_T0_E_clISt17integral_constantIbLb0EESW_IbLb1EEEEDaSS_ST_EUlSS_E0_NS1_11comp_targetILNS1_3genE2ELNS1_11target_archE906ELNS1_3gpuE6ELNS1_3repE0EEENS1_30default_config_static_selectorELNS0_4arch9wavefront6targetE1EEEvT1_,"axG",@progbits,_ZN7rocprim17ROCPRIM_400000_NS6detail17trampoline_kernelINS0_14default_configENS1_20scan_config_selectorItEEZZNS1_9scan_implILNS1_25lookback_scan_determinismE0ELb0ELb0ES3_N6thrust23THRUST_200600_302600_NS6detail15normal_iteratorINS9_10device_ptrItEEEENS9_16discard_iteratorINS9_11use_defaultEEEt11max_functorItEtEEDaPvRmT3_T4_T5_mT6_P12ihipStream_tbENKUlT_T0_E_clISt17integral_constantIbLb0EESW_IbLb1EEEEDaSS_ST_EUlSS_E0_NS1_11comp_targetILNS1_3genE2ELNS1_11target_archE906ELNS1_3gpuE6ELNS1_3repE0EEENS1_30default_config_static_selectorELNS0_4arch9wavefront6targetE1EEEvT1_,comdat
	.protected	_ZN7rocprim17ROCPRIM_400000_NS6detail17trampoline_kernelINS0_14default_configENS1_20scan_config_selectorItEEZZNS1_9scan_implILNS1_25lookback_scan_determinismE0ELb0ELb0ES3_N6thrust23THRUST_200600_302600_NS6detail15normal_iteratorINS9_10device_ptrItEEEENS9_16discard_iteratorINS9_11use_defaultEEEt11max_functorItEtEEDaPvRmT3_T4_T5_mT6_P12ihipStream_tbENKUlT_T0_E_clISt17integral_constantIbLb0EESW_IbLb1EEEEDaSS_ST_EUlSS_E0_NS1_11comp_targetILNS1_3genE2ELNS1_11target_archE906ELNS1_3gpuE6ELNS1_3repE0EEENS1_30default_config_static_selectorELNS0_4arch9wavefront6targetE1EEEvT1_ ; -- Begin function _ZN7rocprim17ROCPRIM_400000_NS6detail17trampoline_kernelINS0_14default_configENS1_20scan_config_selectorItEEZZNS1_9scan_implILNS1_25lookback_scan_determinismE0ELb0ELb0ES3_N6thrust23THRUST_200600_302600_NS6detail15normal_iteratorINS9_10device_ptrItEEEENS9_16discard_iteratorINS9_11use_defaultEEEt11max_functorItEtEEDaPvRmT3_T4_T5_mT6_P12ihipStream_tbENKUlT_T0_E_clISt17integral_constantIbLb0EESW_IbLb1EEEEDaSS_ST_EUlSS_E0_NS1_11comp_targetILNS1_3genE2ELNS1_11target_archE906ELNS1_3gpuE6ELNS1_3repE0EEENS1_30default_config_static_selectorELNS0_4arch9wavefront6targetE1EEEvT1_
	.globl	_ZN7rocprim17ROCPRIM_400000_NS6detail17trampoline_kernelINS0_14default_configENS1_20scan_config_selectorItEEZZNS1_9scan_implILNS1_25lookback_scan_determinismE0ELb0ELb0ES3_N6thrust23THRUST_200600_302600_NS6detail15normal_iteratorINS9_10device_ptrItEEEENS9_16discard_iteratorINS9_11use_defaultEEEt11max_functorItEtEEDaPvRmT3_T4_T5_mT6_P12ihipStream_tbENKUlT_T0_E_clISt17integral_constantIbLb0EESW_IbLb1EEEEDaSS_ST_EUlSS_E0_NS1_11comp_targetILNS1_3genE2ELNS1_11target_archE906ELNS1_3gpuE6ELNS1_3repE0EEENS1_30default_config_static_selectorELNS0_4arch9wavefront6targetE1EEEvT1_
	.p2align	8
	.type	_ZN7rocprim17ROCPRIM_400000_NS6detail17trampoline_kernelINS0_14default_configENS1_20scan_config_selectorItEEZZNS1_9scan_implILNS1_25lookback_scan_determinismE0ELb0ELb0ES3_N6thrust23THRUST_200600_302600_NS6detail15normal_iteratorINS9_10device_ptrItEEEENS9_16discard_iteratorINS9_11use_defaultEEEt11max_functorItEtEEDaPvRmT3_T4_T5_mT6_P12ihipStream_tbENKUlT_T0_E_clISt17integral_constantIbLb0EESW_IbLb1EEEEDaSS_ST_EUlSS_E0_NS1_11comp_targetILNS1_3genE2ELNS1_11target_archE906ELNS1_3gpuE6ELNS1_3repE0EEENS1_30default_config_static_selectorELNS0_4arch9wavefront6targetE1EEEvT1_,@function
_ZN7rocprim17ROCPRIM_400000_NS6detail17trampoline_kernelINS0_14default_configENS1_20scan_config_selectorItEEZZNS1_9scan_implILNS1_25lookback_scan_determinismE0ELb0ELb0ES3_N6thrust23THRUST_200600_302600_NS6detail15normal_iteratorINS9_10device_ptrItEEEENS9_16discard_iteratorINS9_11use_defaultEEEt11max_functorItEtEEDaPvRmT3_T4_T5_mT6_P12ihipStream_tbENKUlT_T0_E_clISt17integral_constantIbLb0EESW_IbLb1EEEEDaSS_ST_EUlSS_E0_NS1_11comp_targetILNS1_3genE2ELNS1_11target_archE906ELNS1_3gpuE6ELNS1_3repE0EEENS1_30default_config_static_selectorELNS0_4arch9wavefront6targetE1EEEvT1_: ; @_ZN7rocprim17ROCPRIM_400000_NS6detail17trampoline_kernelINS0_14default_configENS1_20scan_config_selectorItEEZZNS1_9scan_implILNS1_25lookback_scan_determinismE0ELb0ELb0ES3_N6thrust23THRUST_200600_302600_NS6detail15normal_iteratorINS9_10device_ptrItEEEENS9_16discard_iteratorINS9_11use_defaultEEEt11max_functorItEtEEDaPvRmT3_T4_T5_mT6_P12ihipStream_tbENKUlT_T0_E_clISt17integral_constantIbLb0EESW_IbLb1EEEEDaSS_ST_EUlSS_E0_NS1_11comp_targetILNS1_3genE2ELNS1_11target_archE906ELNS1_3gpuE6ELNS1_3repE0EEENS1_30default_config_static_selectorELNS0_4arch9wavefront6targetE1EEEvT1_
; %bb.0:
	.section	.rodata,"a",@progbits
	.p2align	6, 0x0
	.amdhsa_kernel _ZN7rocprim17ROCPRIM_400000_NS6detail17trampoline_kernelINS0_14default_configENS1_20scan_config_selectorItEEZZNS1_9scan_implILNS1_25lookback_scan_determinismE0ELb0ELb0ES3_N6thrust23THRUST_200600_302600_NS6detail15normal_iteratorINS9_10device_ptrItEEEENS9_16discard_iteratorINS9_11use_defaultEEEt11max_functorItEtEEDaPvRmT3_T4_T5_mT6_P12ihipStream_tbENKUlT_T0_E_clISt17integral_constantIbLb0EESW_IbLb1EEEEDaSS_ST_EUlSS_E0_NS1_11comp_targetILNS1_3genE2ELNS1_11target_archE906ELNS1_3gpuE6ELNS1_3repE0EEENS1_30default_config_static_selectorELNS0_4arch9wavefront6targetE1EEEvT1_
		.amdhsa_group_segment_fixed_size 0
		.amdhsa_private_segment_fixed_size 0
		.amdhsa_kernarg_size 40
		.amdhsa_user_sgpr_count 6
		.amdhsa_user_sgpr_private_segment_buffer 1
		.amdhsa_user_sgpr_dispatch_ptr 0
		.amdhsa_user_sgpr_queue_ptr 0
		.amdhsa_user_sgpr_kernarg_segment_ptr 1
		.amdhsa_user_sgpr_dispatch_id 0
		.amdhsa_user_sgpr_flat_scratch_init 0
		.amdhsa_user_sgpr_kernarg_preload_length 0
		.amdhsa_user_sgpr_kernarg_preload_offset 0
		.amdhsa_user_sgpr_private_segment_size 0
		.amdhsa_uses_dynamic_stack 0
		.amdhsa_system_sgpr_private_segment_wavefront_offset 0
		.amdhsa_system_sgpr_workgroup_id_x 1
		.amdhsa_system_sgpr_workgroup_id_y 0
		.amdhsa_system_sgpr_workgroup_id_z 0
		.amdhsa_system_sgpr_workgroup_info 0
		.amdhsa_system_vgpr_workitem_id 0
		.amdhsa_next_free_vgpr 1
		.amdhsa_next_free_sgpr 0
		.amdhsa_accum_offset 4
		.amdhsa_reserve_vcc 0
		.amdhsa_reserve_flat_scratch 0
		.amdhsa_float_round_mode_32 0
		.amdhsa_float_round_mode_16_64 0
		.amdhsa_float_denorm_mode_32 3
		.amdhsa_float_denorm_mode_16_64 3
		.amdhsa_dx10_clamp 1
		.amdhsa_ieee_mode 1
		.amdhsa_fp16_overflow 0
		.amdhsa_tg_split 0
		.amdhsa_exception_fp_ieee_invalid_op 0
		.amdhsa_exception_fp_denorm_src 0
		.amdhsa_exception_fp_ieee_div_zero 0
		.amdhsa_exception_fp_ieee_overflow 0
		.amdhsa_exception_fp_ieee_underflow 0
		.amdhsa_exception_fp_ieee_inexact 0
		.amdhsa_exception_int_div_zero 0
	.end_amdhsa_kernel
	.section	.text._ZN7rocprim17ROCPRIM_400000_NS6detail17trampoline_kernelINS0_14default_configENS1_20scan_config_selectorItEEZZNS1_9scan_implILNS1_25lookback_scan_determinismE0ELb0ELb0ES3_N6thrust23THRUST_200600_302600_NS6detail15normal_iteratorINS9_10device_ptrItEEEENS9_16discard_iteratorINS9_11use_defaultEEEt11max_functorItEtEEDaPvRmT3_T4_T5_mT6_P12ihipStream_tbENKUlT_T0_E_clISt17integral_constantIbLb0EESW_IbLb1EEEEDaSS_ST_EUlSS_E0_NS1_11comp_targetILNS1_3genE2ELNS1_11target_archE906ELNS1_3gpuE6ELNS1_3repE0EEENS1_30default_config_static_selectorELNS0_4arch9wavefront6targetE1EEEvT1_,"axG",@progbits,_ZN7rocprim17ROCPRIM_400000_NS6detail17trampoline_kernelINS0_14default_configENS1_20scan_config_selectorItEEZZNS1_9scan_implILNS1_25lookback_scan_determinismE0ELb0ELb0ES3_N6thrust23THRUST_200600_302600_NS6detail15normal_iteratorINS9_10device_ptrItEEEENS9_16discard_iteratorINS9_11use_defaultEEEt11max_functorItEtEEDaPvRmT3_T4_T5_mT6_P12ihipStream_tbENKUlT_T0_E_clISt17integral_constantIbLb0EESW_IbLb1EEEEDaSS_ST_EUlSS_E0_NS1_11comp_targetILNS1_3genE2ELNS1_11target_archE906ELNS1_3gpuE6ELNS1_3repE0EEENS1_30default_config_static_selectorELNS0_4arch9wavefront6targetE1EEEvT1_,comdat
.Lfunc_end3633:
	.size	_ZN7rocprim17ROCPRIM_400000_NS6detail17trampoline_kernelINS0_14default_configENS1_20scan_config_selectorItEEZZNS1_9scan_implILNS1_25lookback_scan_determinismE0ELb0ELb0ES3_N6thrust23THRUST_200600_302600_NS6detail15normal_iteratorINS9_10device_ptrItEEEENS9_16discard_iteratorINS9_11use_defaultEEEt11max_functorItEtEEDaPvRmT3_T4_T5_mT6_P12ihipStream_tbENKUlT_T0_E_clISt17integral_constantIbLb0EESW_IbLb1EEEEDaSS_ST_EUlSS_E0_NS1_11comp_targetILNS1_3genE2ELNS1_11target_archE906ELNS1_3gpuE6ELNS1_3repE0EEENS1_30default_config_static_selectorELNS0_4arch9wavefront6targetE1EEEvT1_, .Lfunc_end3633-_ZN7rocprim17ROCPRIM_400000_NS6detail17trampoline_kernelINS0_14default_configENS1_20scan_config_selectorItEEZZNS1_9scan_implILNS1_25lookback_scan_determinismE0ELb0ELb0ES3_N6thrust23THRUST_200600_302600_NS6detail15normal_iteratorINS9_10device_ptrItEEEENS9_16discard_iteratorINS9_11use_defaultEEEt11max_functorItEtEEDaPvRmT3_T4_T5_mT6_P12ihipStream_tbENKUlT_T0_E_clISt17integral_constantIbLb0EESW_IbLb1EEEEDaSS_ST_EUlSS_E0_NS1_11comp_targetILNS1_3genE2ELNS1_11target_archE906ELNS1_3gpuE6ELNS1_3repE0EEENS1_30default_config_static_selectorELNS0_4arch9wavefront6targetE1EEEvT1_
                                        ; -- End function
	.section	.AMDGPU.csdata,"",@progbits
; Kernel info:
; codeLenInByte = 0
; NumSgprs: 4
; NumVgprs: 0
; NumAgprs: 0
; TotalNumVgprs: 0
; ScratchSize: 0
; MemoryBound: 0
; FloatMode: 240
; IeeeMode: 1
; LDSByteSize: 0 bytes/workgroup (compile time only)
; SGPRBlocks: 0
; VGPRBlocks: 0
; NumSGPRsForWavesPerEU: 4
; NumVGPRsForWavesPerEU: 1
; AccumOffset: 4
; Occupancy: 8
; WaveLimiterHint : 0
; COMPUTE_PGM_RSRC2:SCRATCH_EN: 0
; COMPUTE_PGM_RSRC2:USER_SGPR: 6
; COMPUTE_PGM_RSRC2:TRAP_HANDLER: 0
; COMPUTE_PGM_RSRC2:TGID_X_EN: 1
; COMPUTE_PGM_RSRC2:TGID_Y_EN: 0
; COMPUTE_PGM_RSRC2:TGID_Z_EN: 0
; COMPUTE_PGM_RSRC2:TIDIG_COMP_CNT: 0
; COMPUTE_PGM_RSRC3_GFX90A:ACCUM_OFFSET: 0
; COMPUTE_PGM_RSRC3_GFX90A:TG_SPLIT: 0
	.section	.text._ZN7rocprim17ROCPRIM_400000_NS6detail17trampoline_kernelINS0_14default_configENS1_20scan_config_selectorItEEZZNS1_9scan_implILNS1_25lookback_scan_determinismE0ELb0ELb0ES3_N6thrust23THRUST_200600_302600_NS6detail15normal_iteratorINS9_10device_ptrItEEEENS9_16discard_iteratorINS9_11use_defaultEEEt11max_functorItEtEEDaPvRmT3_T4_T5_mT6_P12ihipStream_tbENKUlT_T0_E_clISt17integral_constantIbLb0EESW_IbLb1EEEEDaSS_ST_EUlSS_E0_NS1_11comp_targetILNS1_3genE10ELNS1_11target_archE1201ELNS1_3gpuE5ELNS1_3repE0EEENS1_30default_config_static_selectorELNS0_4arch9wavefront6targetE1EEEvT1_,"axG",@progbits,_ZN7rocprim17ROCPRIM_400000_NS6detail17trampoline_kernelINS0_14default_configENS1_20scan_config_selectorItEEZZNS1_9scan_implILNS1_25lookback_scan_determinismE0ELb0ELb0ES3_N6thrust23THRUST_200600_302600_NS6detail15normal_iteratorINS9_10device_ptrItEEEENS9_16discard_iteratorINS9_11use_defaultEEEt11max_functorItEtEEDaPvRmT3_T4_T5_mT6_P12ihipStream_tbENKUlT_T0_E_clISt17integral_constantIbLb0EESW_IbLb1EEEEDaSS_ST_EUlSS_E0_NS1_11comp_targetILNS1_3genE10ELNS1_11target_archE1201ELNS1_3gpuE5ELNS1_3repE0EEENS1_30default_config_static_selectorELNS0_4arch9wavefront6targetE1EEEvT1_,comdat
	.protected	_ZN7rocprim17ROCPRIM_400000_NS6detail17trampoline_kernelINS0_14default_configENS1_20scan_config_selectorItEEZZNS1_9scan_implILNS1_25lookback_scan_determinismE0ELb0ELb0ES3_N6thrust23THRUST_200600_302600_NS6detail15normal_iteratorINS9_10device_ptrItEEEENS9_16discard_iteratorINS9_11use_defaultEEEt11max_functorItEtEEDaPvRmT3_T4_T5_mT6_P12ihipStream_tbENKUlT_T0_E_clISt17integral_constantIbLb0EESW_IbLb1EEEEDaSS_ST_EUlSS_E0_NS1_11comp_targetILNS1_3genE10ELNS1_11target_archE1201ELNS1_3gpuE5ELNS1_3repE0EEENS1_30default_config_static_selectorELNS0_4arch9wavefront6targetE1EEEvT1_ ; -- Begin function _ZN7rocprim17ROCPRIM_400000_NS6detail17trampoline_kernelINS0_14default_configENS1_20scan_config_selectorItEEZZNS1_9scan_implILNS1_25lookback_scan_determinismE0ELb0ELb0ES3_N6thrust23THRUST_200600_302600_NS6detail15normal_iteratorINS9_10device_ptrItEEEENS9_16discard_iteratorINS9_11use_defaultEEEt11max_functorItEtEEDaPvRmT3_T4_T5_mT6_P12ihipStream_tbENKUlT_T0_E_clISt17integral_constantIbLb0EESW_IbLb1EEEEDaSS_ST_EUlSS_E0_NS1_11comp_targetILNS1_3genE10ELNS1_11target_archE1201ELNS1_3gpuE5ELNS1_3repE0EEENS1_30default_config_static_selectorELNS0_4arch9wavefront6targetE1EEEvT1_
	.globl	_ZN7rocprim17ROCPRIM_400000_NS6detail17trampoline_kernelINS0_14default_configENS1_20scan_config_selectorItEEZZNS1_9scan_implILNS1_25lookback_scan_determinismE0ELb0ELb0ES3_N6thrust23THRUST_200600_302600_NS6detail15normal_iteratorINS9_10device_ptrItEEEENS9_16discard_iteratorINS9_11use_defaultEEEt11max_functorItEtEEDaPvRmT3_T4_T5_mT6_P12ihipStream_tbENKUlT_T0_E_clISt17integral_constantIbLb0EESW_IbLb1EEEEDaSS_ST_EUlSS_E0_NS1_11comp_targetILNS1_3genE10ELNS1_11target_archE1201ELNS1_3gpuE5ELNS1_3repE0EEENS1_30default_config_static_selectorELNS0_4arch9wavefront6targetE1EEEvT1_
	.p2align	8
	.type	_ZN7rocprim17ROCPRIM_400000_NS6detail17trampoline_kernelINS0_14default_configENS1_20scan_config_selectorItEEZZNS1_9scan_implILNS1_25lookback_scan_determinismE0ELb0ELb0ES3_N6thrust23THRUST_200600_302600_NS6detail15normal_iteratorINS9_10device_ptrItEEEENS9_16discard_iteratorINS9_11use_defaultEEEt11max_functorItEtEEDaPvRmT3_T4_T5_mT6_P12ihipStream_tbENKUlT_T0_E_clISt17integral_constantIbLb0EESW_IbLb1EEEEDaSS_ST_EUlSS_E0_NS1_11comp_targetILNS1_3genE10ELNS1_11target_archE1201ELNS1_3gpuE5ELNS1_3repE0EEENS1_30default_config_static_selectorELNS0_4arch9wavefront6targetE1EEEvT1_,@function
_ZN7rocprim17ROCPRIM_400000_NS6detail17trampoline_kernelINS0_14default_configENS1_20scan_config_selectorItEEZZNS1_9scan_implILNS1_25lookback_scan_determinismE0ELb0ELb0ES3_N6thrust23THRUST_200600_302600_NS6detail15normal_iteratorINS9_10device_ptrItEEEENS9_16discard_iteratorINS9_11use_defaultEEEt11max_functorItEtEEDaPvRmT3_T4_T5_mT6_P12ihipStream_tbENKUlT_T0_E_clISt17integral_constantIbLb0EESW_IbLb1EEEEDaSS_ST_EUlSS_E0_NS1_11comp_targetILNS1_3genE10ELNS1_11target_archE1201ELNS1_3gpuE5ELNS1_3repE0EEENS1_30default_config_static_selectorELNS0_4arch9wavefront6targetE1EEEvT1_: ; @_ZN7rocprim17ROCPRIM_400000_NS6detail17trampoline_kernelINS0_14default_configENS1_20scan_config_selectorItEEZZNS1_9scan_implILNS1_25lookback_scan_determinismE0ELb0ELb0ES3_N6thrust23THRUST_200600_302600_NS6detail15normal_iteratorINS9_10device_ptrItEEEENS9_16discard_iteratorINS9_11use_defaultEEEt11max_functorItEtEEDaPvRmT3_T4_T5_mT6_P12ihipStream_tbENKUlT_T0_E_clISt17integral_constantIbLb0EESW_IbLb1EEEEDaSS_ST_EUlSS_E0_NS1_11comp_targetILNS1_3genE10ELNS1_11target_archE1201ELNS1_3gpuE5ELNS1_3repE0EEENS1_30default_config_static_selectorELNS0_4arch9wavefront6targetE1EEEvT1_
; %bb.0:
	.section	.rodata,"a",@progbits
	.p2align	6, 0x0
	.amdhsa_kernel _ZN7rocprim17ROCPRIM_400000_NS6detail17trampoline_kernelINS0_14default_configENS1_20scan_config_selectorItEEZZNS1_9scan_implILNS1_25lookback_scan_determinismE0ELb0ELb0ES3_N6thrust23THRUST_200600_302600_NS6detail15normal_iteratorINS9_10device_ptrItEEEENS9_16discard_iteratorINS9_11use_defaultEEEt11max_functorItEtEEDaPvRmT3_T4_T5_mT6_P12ihipStream_tbENKUlT_T0_E_clISt17integral_constantIbLb0EESW_IbLb1EEEEDaSS_ST_EUlSS_E0_NS1_11comp_targetILNS1_3genE10ELNS1_11target_archE1201ELNS1_3gpuE5ELNS1_3repE0EEENS1_30default_config_static_selectorELNS0_4arch9wavefront6targetE1EEEvT1_
		.amdhsa_group_segment_fixed_size 0
		.amdhsa_private_segment_fixed_size 0
		.amdhsa_kernarg_size 40
		.amdhsa_user_sgpr_count 6
		.amdhsa_user_sgpr_private_segment_buffer 1
		.amdhsa_user_sgpr_dispatch_ptr 0
		.amdhsa_user_sgpr_queue_ptr 0
		.amdhsa_user_sgpr_kernarg_segment_ptr 1
		.amdhsa_user_sgpr_dispatch_id 0
		.amdhsa_user_sgpr_flat_scratch_init 0
		.amdhsa_user_sgpr_kernarg_preload_length 0
		.amdhsa_user_sgpr_kernarg_preload_offset 0
		.amdhsa_user_sgpr_private_segment_size 0
		.amdhsa_uses_dynamic_stack 0
		.amdhsa_system_sgpr_private_segment_wavefront_offset 0
		.amdhsa_system_sgpr_workgroup_id_x 1
		.amdhsa_system_sgpr_workgroup_id_y 0
		.amdhsa_system_sgpr_workgroup_id_z 0
		.amdhsa_system_sgpr_workgroup_info 0
		.amdhsa_system_vgpr_workitem_id 0
		.amdhsa_next_free_vgpr 1
		.amdhsa_next_free_sgpr 0
		.amdhsa_accum_offset 4
		.amdhsa_reserve_vcc 0
		.amdhsa_reserve_flat_scratch 0
		.amdhsa_float_round_mode_32 0
		.amdhsa_float_round_mode_16_64 0
		.amdhsa_float_denorm_mode_32 3
		.amdhsa_float_denorm_mode_16_64 3
		.amdhsa_dx10_clamp 1
		.amdhsa_ieee_mode 1
		.amdhsa_fp16_overflow 0
		.amdhsa_tg_split 0
		.amdhsa_exception_fp_ieee_invalid_op 0
		.amdhsa_exception_fp_denorm_src 0
		.amdhsa_exception_fp_ieee_div_zero 0
		.amdhsa_exception_fp_ieee_overflow 0
		.amdhsa_exception_fp_ieee_underflow 0
		.amdhsa_exception_fp_ieee_inexact 0
		.amdhsa_exception_int_div_zero 0
	.end_amdhsa_kernel
	.section	.text._ZN7rocprim17ROCPRIM_400000_NS6detail17trampoline_kernelINS0_14default_configENS1_20scan_config_selectorItEEZZNS1_9scan_implILNS1_25lookback_scan_determinismE0ELb0ELb0ES3_N6thrust23THRUST_200600_302600_NS6detail15normal_iteratorINS9_10device_ptrItEEEENS9_16discard_iteratorINS9_11use_defaultEEEt11max_functorItEtEEDaPvRmT3_T4_T5_mT6_P12ihipStream_tbENKUlT_T0_E_clISt17integral_constantIbLb0EESW_IbLb1EEEEDaSS_ST_EUlSS_E0_NS1_11comp_targetILNS1_3genE10ELNS1_11target_archE1201ELNS1_3gpuE5ELNS1_3repE0EEENS1_30default_config_static_selectorELNS0_4arch9wavefront6targetE1EEEvT1_,"axG",@progbits,_ZN7rocprim17ROCPRIM_400000_NS6detail17trampoline_kernelINS0_14default_configENS1_20scan_config_selectorItEEZZNS1_9scan_implILNS1_25lookback_scan_determinismE0ELb0ELb0ES3_N6thrust23THRUST_200600_302600_NS6detail15normal_iteratorINS9_10device_ptrItEEEENS9_16discard_iteratorINS9_11use_defaultEEEt11max_functorItEtEEDaPvRmT3_T4_T5_mT6_P12ihipStream_tbENKUlT_T0_E_clISt17integral_constantIbLb0EESW_IbLb1EEEEDaSS_ST_EUlSS_E0_NS1_11comp_targetILNS1_3genE10ELNS1_11target_archE1201ELNS1_3gpuE5ELNS1_3repE0EEENS1_30default_config_static_selectorELNS0_4arch9wavefront6targetE1EEEvT1_,comdat
.Lfunc_end3634:
	.size	_ZN7rocprim17ROCPRIM_400000_NS6detail17trampoline_kernelINS0_14default_configENS1_20scan_config_selectorItEEZZNS1_9scan_implILNS1_25lookback_scan_determinismE0ELb0ELb0ES3_N6thrust23THRUST_200600_302600_NS6detail15normal_iteratorINS9_10device_ptrItEEEENS9_16discard_iteratorINS9_11use_defaultEEEt11max_functorItEtEEDaPvRmT3_T4_T5_mT6_P12ihipStream_tbENKUlT_T0_E_clISt17integral_constantIbLb0EESW_IbLb1EEEEDaSS_ST_EUlSS_E0_NS1_11comp_targetILNS1_3genE10ELNS1_11target_archE1201ELNS1_3gpuE5ELNS1_3repE0EEENS1_30default_config_static_selectorELNS0_4arch9wavefront6targetE1EEEvT1_, .Lfunc_end3634-_ZN7rocprim17ROCPRIM_400000_NS6detail17trampoline_kernelINS0_14default_configENS1_20scan_config_selectorItEEZZNS1_9scan_implILNS1_25lookback_scan_determinismE0ELb0ELb0ES3_N6thrust23THRUST_200600_302600_NS6detail15normal_iteratorINS9_10device_ptrItEEEENS9_16discard_iteratorINS9_11use_defaultEEEt11max_functorItEtEEDaPvRmT3_T4_T5_mT6_P12ihipStream_tbENKUlT_T0_E_clISt17integral_constantIbLb0EESW_IbLb1EEEEDaSS_ST_EUlSS_E0_NS1_11comp_targetILNS1_3genE10ELNS1_11target_archE1201ELNS1_3gpuE5ELNS1_3repE0EEENS1_30default_config_static_selectorELNS0_4arch9wavefront6targetE1EEEvT1_
                                        ; -- End function
	.section	.AMDGPU.csdata,"",@progbits
; Kernel info:
; codeLenInByte = 0
; NumSgprs: 4
; NumVgprs: 0
; NumAgprs: 0
; TotalNumVgprs: 0
; ScratchSize: 0
; MemoryBound: 0
; FloatMode: 240
; IeeeMode: 1
; LDSByteSize: 0 bytes/workgroup (compile time only)
; SGPRBlocks: 0
; VGPRBlocks: 0
; NumSGPRsForWavesPerEU: 4
; NumVGPRsForWavesPerEU: 1
; AccumOffset: 4
; Occupancy: 8
; WaveLimiterHint : 0
; COMPUTE_PGM_RSRC2:SCRATCH_EN: 0
; COMPUTE_PGM_RSRC2:USER_SGPR: 6
; COMPUTE_PGM_RSRC2:TRAP_HANDLER: 0
; COMPUTE_PGM_RSRC2:TGID_X_EN: 1
; COMPUTE_PGM_RSRC2:TGID_Y_EN: 0
; COMPUTE_PGM_RSRC2:TGID_Z_EN: 0
; COMPUTE_PGM_RSRC2:TIDIG_COMP_CNT: 0
; COMPUTE_PGM_RSRC3_GFX90A:ACCUM_OFFSET: 0
; COMPUTE_PGM_RSRC3_GFX90A:TG_SPLIT: 0
	.section	.text._ZN7rocprim17ROCPRIM_400000_NS6detail17trampoline_kernelINS0_14default_configENS1_20scan_config_selectorItEEZZNS1_9scan_implILNS1_25lookback_scan_determinismE0ELb0ELb0ES3_N6thrust23THRUST_200600_302600_NS6detail15normal_iteratorINS9_10device_ptrItEEEENS9_16discard_iteratorINS9_11use_defaultEEEt11max_functorItEtEEDaPvRmT3_T4_T5_mT6_P12ihipStream_tbENKUlT_T0_E_clISt17integral_constantIbLb0EESW_IbLb1EEEEDaSS_ST_EUlSS_E0_NS1_11comp_targetILNS1_3genE10ELNS1_11target_archE1200ELNS1_3gpuE4ELNS1_3repE0EEENS1_30default_config_static_selectorELNS0_4arch9wavefront6targetE1EEEvT1_,"axG",@progbits,_ZN7rocprim17ROCPRIM_400000_NS6detail17trampoline_kernelINS0_14default_configENS1_20scan_config_selectorItEEZZNS1_9scan_implILNS1_25lookback_scan_determinismE0ELb0ELb0ES3_N6thrust23THRUST_200600_302600_NS6detail15normal_iteratorINS9_10device_ptrItEEEENS9_16discard_iteratorINS9_11use_defaultEEEt11max_functorItEtEEDaPvRmT3_T4_T5_mT6_P12ihipStream_tbENKUlT_T0_E_clISt17integral_constantIbLb0EESW_IbLb1EEEEDaSS_ST_EUlSS_E0_NS1_11comp_targetILNS1_3genE10ELNS1_11target_archE1200ELNS1_3gpuE4ELNS1_3repE0EEENS1_30default_config_static_selectorELNS0_4arch9wavefront6targetE1EEEvT1_,comdat
	.protected	_ZN7rocprim17ROCPRIM_400000_NS6detail17trampoline_kernelINS0_14default_configENS1_20scan_config_selectorItEEZZNS1_9scan_implILNS1_25lookback_scan_determinismE0ELb0ELb0ES3_N6thrust23THRUST_200600_302600_NS6detail15normal_iteratorINS9_10device_ptrItEEEENS9_16discard_iteratorINS9_11use_defaultEEEt11max_functorItEtEEDaPvRmT3_T4_T5_mT6_P12ihipStream_tbENKUlT_T0_E_clISt17integral_constantIbLb0EESW_IbLb1EEEEDaSS_ST_EUlSS_E0_NS1_11comp_targetILNS1_3genE10ELNS1_11target_archE1200ELNS1_3gpuE4ELNS1_3repE0EEENS1_30default_config_static_selectorELNS0_4arch9wavefront6targetE1EEEvT1_ ; -- Begin function _ZN7rocprim17ROCPRIM_400000_NS6detail17trampoline_kernelINS0_14default_configENS1_20scan_config_selectorItEEZZNS1_9scan_implILNS1_25lookback_scan_determinismE0ELb0ELb0ES3_N6thrust23THRUST_200600_302600_NS6detail15normal_iteratorINS9_10device_ptrItEEEENS9_16discard_iteratorINS9_11use_defaultEEEt11max_functorItEtEEDaPvRmT3_T4_T5_mT6_P12ihipStream_tbENKUlT_T0_E_clISt17integral_constantIbLb0EESW_IbLb1EEEEDaSS_ST_EUlSS_E0_NS1_11comp_targetILNS1_3genE10ELNS1_11target_archE1200ELNS1_3gpuE4ELNS1_3repE0EEENS1_30default_config_static_selectorELNS0_4arch9wavefront6targetE1EEEvT1_
	.globl	_ZN7rocprim17ROCPRIM_400000_NS6detail17trampoline_kernelINS0_14default_configENS1_20scan_config_selectorItEEZZNS1_9scan_implILNS1_25lookback_scan_determinismE0ELb0ELb0ES3_N6thrust23THRUST_200600_302600_NS6detail15normal_iteratorINS9_10device_ptrItEEEENS9_16discard_iteratorINS9_11use_defaultEEEt11max_functorItEtEEDaPvRmT3_T4_T5_mT6_P12ihipStream_tbENKUlT_T0_E_clISt17integral_constantIbLb0EESW_IbLb1EEEEDaSS_ST_EUlSS_E0_NS1_11comp_targetILNS1_3genE10ELNS1_11target_archE1200ELNS1_3gpuE4ELNS1_3repE0EEENS1_30default_config_static_selectorELNS0_4arch9wavefront6targetE1EEEvT1_
	.p2align	8
	.type	_ZN7rocprim17ROCPRIM_400000_NS6detail17trampoline_kernelINS0_14default_configENS1_20scan_config_selectorItEEZZNS1_9scan_implILNS1_25lookback_scan_determinismE0ELb0ELb0ES3_N6thrust23THRUST_200600_302600_NS6detail15normal_iteratorINS9_10device_ptrItEEEENS9_16discard_iteratorINS9_11use_defaultEEEt11max_functorItEtEEDaPvRmT3_T4_T5_mT6_P12ihipStream_tbENKUlT_T0_E_clISt17integral_constantIbLb0EESW_IbLb1EEEEDaSS_ST_EUlSS_E0_NS1_11comp_targetILNS1_3genE10ELNS1_11target_archE1200ELNS1_3gpuE4ELNS1_3repE0EEENS1_30default_config_static_selectorELNS0_4arch9wavefront6targetE1EEEvT1_,@function
_ZN7rocprim17ROCPRIM_400000_NS6detail17trampoline_kernelINS0_14default_configENS1_20scan_config_selectorItEEZZNS1_9scan_implILNS1_25lookback_scan_determinismE0ELb0ELb0ES3_N6thrust23THRUST_200600_302600_NS6detail15normal_iteratorINS9_10device_ptrItEEEENS9_16discard_iteratorINS9_11use_defaultEEEt11max_functorItEtEEDaPvRmT3_T4_T5_mT6_P12ihipStream_tbENKUlT_T0_E_clISt17integral_constantIbLb0EESW_IbLb1EEEEDaSS_ST_EUlSS_E0_NS1_11comp_targetILNS1_3genE10ELNS1_11target_archE1200ELNS1_3gpuE4ELNS1_3repE0EEENS1_30default_config_static_selectorELNS0_4arch9wavefront6targetE1EEEvT1_: ; @_ZN7rocprim17ROCPRIM_400000_NS6detail17trampoline_kernelINS0_14default_configENS1_20scan_config_selectorItEEZZNS1_9scan_implILNS1_25lookback_scan_determinismE0ELb0ELb0ES3_N6thrust23THRUST_200600_302600_NS6detail15normal_iteratorINS9_10device_ptrItEEEENS9_16discard_iteratorINS9_11use_defaultEEEt11max_functorItEtEEDaPvRmT3_T4_T5_mT6_P12ihipStream_tbENKUlT_T0_E_clISt17integral_constantIbLb0EESW_IbLb1EEEEDaSS_ST_EUlSS_E0_NS1_11comp_targetILNS1_3genE10ELNS1_11target_archE1200ELNS1_3gpuE4ELNS1_3repE0EEENS1_30default_config_static_selectorELNS0_4arch9wavefront6targetE1EEEvT1_
; %bb.0:
	.section	.rodata,"a",@progbits
	.p2align	6, 0x0
	.amdhsa_kernel _ZN7rocprim17ROCPRIM_400000_NS6detail17trampoline_kernelINS0_14default_configENS1_20scan_config_selectorItEEZZNS1_9scan_implILNS1_25lookback_scan_determinismE0ELb0ELb0ES3_N6thrust23THRUST_200600_302600_NS6detail15normal_iteratorINS9_10device_ptrItEEEENS9_16discard_iteratorINS9_11use_defaultEEEt11max_functorItEtEEDaPvRmT3_T4_T5_mT6_P12ihipStream_tbENKUlT_T0_E_clISt17integral_constantIbLb0EESW_IbLb1EEEEDaSS_ST_EUlSS_E0_NS1_11comp_targetILNS1_3genE10ELNS1_11target_archE1200ELNS1_3gpuE4ELNS1_3repE0EEENS1_30default_config_static_selectorELNS0_4arch9wavefront6targetE1EEEvT1_
		.amdhsa_group_segment_fixed_size 0
		.amdhsa_private_segment_fixed_size 0
		.amdhsa_kernarg_size 40
		.amdhsa_user_sgpr_count 6
		.amdhsa_user_sgpr_private_segment_buffer 1
		.amdhsa_user_sgpr_dispatch_ptr 0
		.amdhsa_user_sgpr_queue_ptr 0
		.amdhsa_user_sgpr_kernarg_segment_ptr 1
		.amdhsa_user_sgpr_dispatch_id 0
		.amdhsa_user_sgpr_flat_scratch_init 0
		.amdhsa_user_sgpr_kernarg_preload_length 0
		.amdhsa_user_sgpr_kernarg_preload_offset 0
		.amdhsa_user_sgpr_private_segment_size 0
		.amdhsa_uses_dynamic_stack 0
		.amdhsa_system_sgpr_private_segment_wavefront_offset 0
		.amdhsa_system_sgpr_workgroup_id_x 1
		.amdhsa_system_sgpr_workgroup_id_y 0
		.amdhsa_system_sgpr_workgroup_id_z 0
		.amdhsa_system_sgpr_workgroup_info 0
		.amdhsa_system_vgpr_workitem_id 0
		.amdhsa_next_free_vgpr 1
		.amdhsa_next_free_sgpr 0
		.amdhsa_accum_offset 4
		.amdhsa_reserve_vcc 0
		.amdhsa_reserve_flat_scratch 0
		.amdhsa_float_round_mode_32 0
		.amdhsa_float_round_mode_16_64 0
		.amdhsa_float_denorm_mode_32 3
		.amdhsa_float_denorm_mode_16_64 3
		.amdhsa_dx10_clamp 1
		.amdhsa_ieee_mode 1
		.amdhsa_fp16_overflow 0
		.amdhsa_tg_split 0
		.amdhsa_exception_fp_ieee_invalid_op 0
		.amdhsa_exception_fp_denorm_src 0
		.amdhsa_exception_fp_ieee_div_zero 0
		.amdhsa_exception_fp_ieee_overflow 0
		.amdhsa_exception_fp_ieee_underflow 0
		.amdhsa_exception_fp_ieee_inexact 0
		.amdhsa_exception_int_div_zero 0
	.end_amdhsa_kernel
	.section	.text._ZN7rocprim17ROCPRIM_400000_NS6detail17trampoline_kernelINS0_14default_configENS1_20scan_config_selectorItEEZZNS1_9scan_implILNS1_25lookback_scan_determinismE0ELb0ELb0ES3_N6thrust23THRUST_200600_302600_NS6detail15normal_iteratorINS9_10device_ptrItEEEENS9_16discard_iteratorINS9_11use_defaultEEEt11max_functorItEtEEDaPvRmT3_T4_T5_mT6_P12ihipStream_tbENKUlT_T0_E_clISt17integral_constantIbLb0EESW_IbLb1EEEEDaSS_ST_EUlSS_E0_NS1_11comp_targetILNS1_3genE10ELNS1_11target_archE1200ELNS1_3gpuE4ELNS1_3repE0EEENS1_30default_config_static_selectorELNS0_4arch9wavefront6targetE1EEEvT1_,"axG",@progbits,_ZN7rocprim17ROCPRIM_400000_NS6detail17trampoline_kernelINS0_14default_configENS1_20scan_config_selectorItEEZZNS1_9scan_implILNS1_25lookback_scan_determinismE0ELb0ELb0ES3_N6thrust23THRUST_200600_302600_NS6detail15normal_iteratorINS9_10device_ptrItEEEENS9_16discard_iteratorINS9_11use_defaultEEEt11max_functorItEtEEDaPvRmT3_T4_T5_mT6_P12ihipStream_tbENKUlT_T0_E_clISt17integral_constantIbLb0EESW_IbLb1EEEEDaSS_ST_EUlSS_E0_NS1_11comp_targetILNS1_3genE10ELNS1_11target_archE1200ELNS1_3gpuE4ELNS1_3repE0EEENS1_30default_config_static_selectorELNS0_4arch9wavefront6targetE1EEEvT1_,comdat
.Lfunc_end3635:
	.size	_ZN7rocprim17ROCPRIM_400000_NS6detail17trampoline_kernelINS0_14default_configENS1_20scan_config_selectorItEEZZNS1_9scan_implILNS1_25lookback_scan_determinismE0ELb0ELb0ES3_N6thrust23THRUST_200600_302600_NS6detail15normal_iteratorINS9_10device_ptrItEEEENS9_16discard_iteratorINS9_11use_defaultEEEt11max_functorItEtEEDaPvRmT3_T4_T5_mT6_P12ihipStream_tbENKUlT_T0_E_clISt17integral_constantIbLb0EESW_IbLb1EEEEDaSS_ST_EUlSS_E0_NS1_11comp_targetILNS1_3genE10ELNS1_11target_archE1200ELNS1_3gpuE4ELNS1_3repE0EEENS1_30default_config_static_selectorELNS0_4arch9wavefront6targetE1EEEvT1_, .Lfunc_end3635-_ZN7rocprim17ROCPRIM_400000_NS6detail17trampoline_kernelINS0_14default_configENS1_20scan_config_selectorItEEZZNS1_9scan_implILNS1_25lookback_scan_determinismE0ELb0ELb0ES3_N6thrust23THRUST_200600_302600_NS6detail15normal_iteratorINS9_10device_ptrItEEEENS9_16discard_iteratorINS9_11use_defaultEEEt11max_functorItEtEEDaPvRmT3_T4_T5_mT6_P12ihipStream_tbENKUlT_T0_E_clISt17integral_constantIbLb0EESW_IbLb1EEEEDaSS_ST_EUlSS_E0_NS1_11comp_targetILNS1_3genE10ELNS1_11target_archE1200ELNS1_3gpuE4ELNS1_3repE0EEENS1_30default_config_static_selectorELNS0_4arch9wavefront6targetE1EEEvT1_
                                        ; -- End function
	.section	.AMDGPU.csdata,"",@progbits
; Kernel info:
; codeLenInByte = 0
; NumSgprs: 4
; NumVgprs: 0
; NumAgprs: 0
; TotalNumVgprs: 0
; ScratchSize: 0
; MemoryBound: 0
; FloatMode: 240
; IeeeMode: 1
; LDSByteSize: 0 bytes/workgroup (compile time only)
; SGPRBlocks: 0
; VGPRBlocks: 0
; NumSGPRsForWavesPerEU: 4
; NumVGPRsForWavesPerEU: 1
; AccumOffset: 4
; Occupancy: 8
; WaveLimiterHint : 0
; COMPUTE_PGM_RSRC2:SCRATCH_EN: 0
; COMPUTE_PGM_RSRC2:USER_SGPR: 6
; COMPUTE_PGM_RSRC2:TRAP_HANDLER: 0
; COMPUTE_PGM_RSRC2:TGID_X_EN: 1
; COMPUTE_PGM_RSRC2:TGID_Y_EN: 0
; COMPUTE_PGM_RSRC2:TGID_Z_EN: 0
; COMPUTE_PGM_RSRC2:TIDIG_COMP_CNT: 0
; COMPUTE_PGM_RSRC3_GFX90A:ACCUM_OFFSET: 0
; COMPUTE_PGM_RSRC3_GFX90A:TG_SPLIT: 0
	.section	.text._ZN7rocprim17ROCPRIM_400000_NS6detail17trampoline_kernelINS0_14default_configENS1_20scan_config_selectorItEEZZNS1_9scan_implILNS1_25lookback_scan_determinismE0ELb0ELb0ES3_N6thrust23THRUST_200600_302600_NS6detail15normal_iteratorINS9_10device_ptrItEEEENS9_16discard_iteratorINS9_11use_defaultEEEt11max_functorItEtEEDaPvRmT3_T4_T5_mT6_P12ihipStream_tbENKUlT_T0_E_clISt17integral_constantIbLb0EESW_IbLb1EEEEDaSS_ST_EUlSS_E0_NS1_11comp_targetILNS1_3genE9ELNS1_11target_archE1100ELNS1_3gpuE3ELNS1_3repE0EEENS1_30default_config_static_selectorELNS0_4arch9wavefront6targetE1EEEvT1_,"axG",@progbits,_ZN7rocprim17ROCPRIM_400000_NS6detail17trampoline_kernelINS0_14default_configENS1_20scan_config_selectorItEEZZNS1_9scan_implILNS1_25lookback_scan_determinismE0ELb0ELb0ES3_N6thrust23THRUST_200600_302600_NS6detail15normal_iteratorINS9_10device_ptrItEEEENS9_16discard_iteratorINS9_11use_defaultEEEt11max_functorItEtEEDaPvRmT3_T4_T5_mT6_P12ihipStream_tbENKUlT_T0_E_clISt17integral_constantIbLb0EESW_IbLb1EEEEDaSS_ST_EUlSS_E0_NS1_11comp_targetILNS1_3genE9ELNS1_11target_archE1100ELNS1_3gpuE3ELNS1_3repE0EEENS1_30default_config_static_selectorELNS0_4arch9wavefront6targetE1EEEvT1_,comdat
	.protected	_ZN7rocprim17ROCPRIM_400000_NS6detail17trampoline_kernelINS0_14default_configENS1_20scan_config_selectorItEEZZNS1_9scan_implILNS1_25lookback_scan_determinismE0ELb0ELb0ES3_N6thrust23THRUST_200600_302600_NS6detail15normal_iteratorINS9_10device_ptrItEEEENS9_16discard_iteratorINS9_11use_defaultEEEt11max_functorItEtEEDaPvRmT3_T4_T5_mT6_P12ihipStream_tbENKUlT_T0_E_clISt17integral_constantIbLb0EESW_IbLb1EEEEDaSS_ST_EUlSS_E0_NS1_11comp_targetILNS1_3genE9ELNS1_11target_archE1100ELNS1_3gpuE3ELNS1_3repE0EEENS1_30default_config_static_selectorELNS0_4arch9wavefront6targetE1EEEvT1_ ; -- Begin function _ZN7rocprim17ROCPRIM_400000_NS6detail17trampoline_kernelINS0_14default_configENS1_20scan_config_selectorItEEZZNS1_9scan_implILNS1_25lookback_scan_determinismE0ELb0ELb0ES3_N6thrust23THRUST_200600_302600_NS6detail15normal_iteratorINS9_10device_ptrItEEEENS9_16discard_iteratorINS9_11use_defaultEEEt11max_functorItEtEEDaPvRmT3_T4_T5_mT6_P12ihipStream_tbENKUlT_T0_E_clISt17integral_constantIbLb0EESW_IbLb1EEEEDaSS_ST_EUlSS_E0_NS1_11comp_targetILNS1_3genE9ELNS1_11target_archE1100ELNS1_3gpuE3ELNS1_3repE0EEENS1_30default_config_static_selectorELNS0_4arch9wavefront6targetE1EEEvT1_
	.globl	_ZN7rocprim17ROCPRIM_400000_NS6detail17trampoline_kernelINS0_14default_configENS1_20scan_config_selectorItEEZZNS1_9scan_implILNS1_25lookback_scan_determinismE0ELb0ELb0ES3_N6thrust23THRUST_200600_302600_NS6detail15normal_iteratorINS9_10device_ptrItEEEENS9_16discard_iteratorINS9_11use_defaultEEEt11max_functorItEtEEDaPvRmT3_T4_T5_mT6_P12ihipStream_tbENKUlT_T0_E_clISt17integral_constantIbLb0EESW_IbLb1EEEEDaSS_ST_EUlSS_E0_NS1_11comp_targetILNS1_3genE9ELNS1_11target_archE1100ELNS1_3gpuE3ELNS1_3repE0EEENS1_30default_config_static_selectorELNS0_4arch9wavefront6targetE1EEEvT1_
	.p2align	8
	.type	_ZN7rocprim17ROCPRIM_400000_NS6detail17trampoline_kernelINS0_14default_configENS1_20scan_config_selectorItEEZZNS1_9scan_implILNS1_25lookback_scan_determinismE0ELb0ELb0ES3_N6thrust23THRUST_200600_302600_NS6detail15normal_iteratorINS9_10device_ptrItEEEENS9_16discard_iteratorINS9_11use_defaultEEEt11max_functorItEtEEDaPvRmT3_T4_T5_mT6_P12ihipStream_tbENKUlT_T0_E_clISt17integral_constantIbLb0EESW_IbLb1EEEEDaSS_ST_EUlSS_E0_NS1_11comp_targetILNS1_3genE9ELNS1_11target_archE1100ELNS1_3gpuE3ELNS1_3repE0EEENS1_30default_config_static_selectorELNS0_4arch9wavefront6targetE1EEEvT1_,@function
_ZN7rocprim17ROCPRIM_400000_NS6detail17trampoline_kernelINS0_14default_configENS1_20scan_config_selectorItEEZZNS1_9scan_implILNS1_25lookback_scan_determinismE0ELb0ELb0ES3_N6thrust23THRUST_200600_302600_NS6detail15normal_iteratorINS9_10device_ptrItEEEENS9_16discard_iteratorINS9_11use_defaultEEEt11max_functorItEtEEDaPvRmT3_T4_T5_mT6_P12ihipStream_tbENKUlT_T0_E_clISt17integral_constantIbLb0EESW_IbLb1EEEEDaSS_ST_EUlSS_E0_NS1_11comp_targetILNS1_3genE9ELNS1_11target_archE1100ELNS1_3gpuE3ELNS1_3repE0EEENS1_30default_config_static_selectorELNS0_4arch9wavefront6targetE1EEEvT1_: ; @_ZN7rocprim17ROCPRIM_400000_NS6detail17trampoline_kernelINS0_14default_configENS1_20scan_config_selectorItEEZZNS1_9scan_implILNS1_25lookback_scan_determinismE0ELb0ELb0ES3_N6thrust23THRUST_200600_302600_NS6detail15normal_iteratorINS9_10device_ptrItEEEENS9_16discard_iteratorINS9_11use_defaultEEEt11max_functorItEtEEDaPvRmT3_T4_T5_mT6_P12ihipStream_tbENKUlT_T0_E_clISt17integral_constantIbLb0EESW_IbLb1EEEEDaSS_ST_EUlSS_E0_NS1_11comp_targetILNS1_3genE9ELNS1_11target_archE1100ELNS1_3gpuE3ELNS1_3repE0EEENS1_30default_config_static_selectorELNS0_4arch9wavefront6targetE1EEEvT1_
; %bb.0:
	.section	.rodata,"a",@progbits
	.p2align	6, 0x0
	.amdhsa_kernel _ZN7rocprim17ROCPRIM_400000_NS6detail17trampoline_kernelINS0_14default_configENS1_20scan_config_selectorItEEZZNS1_9scan_implILNS1_25lookback_scan_determinismE0ELb0ELb0ES3_N6thrust23THRUST_200600_302600_NS6detail15normal_iteratorINS9_10device_ptrItEEEENS9_16discard_iteratorINS9_11use_defaultEEEt11max_functorItEtEEDaPvRmT3_T4_T5_mT6_P12ihipStream_tbENKUlT_T0_E_clISt17integral_constantIbLb0EESW_IbLb1EEEEDaSS_ST_EUlSS_E0_NS1_11comp_targetILNS1_3genE9ELNS1_11target_archE1100ELNS1_3gpuE3ELNS1_3repE0EEENS1_30default_config_static_selectorELNS0_4arch9wavefront6targetE1EEEvT1_
		.amdhsa_group_segment_fixed_size 0
		.amdhsa_private_segment_fixed_size 0
		.amdhsa_kernarg_size 40
		.amdhsa_user_sgpr_count 6
		.amdhsa_user_sgpr_private_segment_buffer 1
		.amdhsa_user_sgpr_dispatch_ptr 0
		.amdhsa_user_sgpr_queue_ptr 0
		.amdhsa_user_sgpr_kernarg_segment_ptr 1
		.amdhsa_user_sgpr_dispatch_id 0
		.amdhsa_user_sgpr_flat_scratch_init 0
		.amdhsa_user_sgpr_kernarg_preload_length 0
		.amdhsa_user_sgpr_kernarg_preload_offset 0
		.amdhsa_user_sgpr_private_segment_size 0
		.amdhsa_uses_dynamic_stack 0
		.amdhsa_system_sgpr_private_segment_wavefront_offset 0
		.amdhsa_system_sgpr_workgroup_id_x 1
		.amdhsa_system_sgpr_workgroup_id_y 0
		.amdhsa_system_sgpr_workgroup_id_z 0
		.amdhsa_system_sgpr_workgroup_info 0
		.amdhsa_system_vgpr_workitem_id 0
		.amdhsa_next_free_vgpr 1
		.amdhsa_next_free_sgpr 0
		.amdhsa_accum_offset 4
		.amdhsa_reserve_vcc 0
		.amdhsa_reserve_flat_scratch 0
		.amdhsa_float_round_mode_32 0
		.amdhsa_float_round_mode_16_64 0
		.amdhsa_float_denorm_mode_32 3
		.amdhsa_float_denorm_mode_16_64 3
		.amdhsa_dx10_clamp 1
		.amdhsa_ieee_mode 1
		.amdhsa_fp16_overflow 0
		.amdhsa_tg_split 0
		.amdhsa_exception_fp_ieee_invalid_op 0
		.amdhsa_exception_fp_denorm_src 0
		.amdhsa_exception_fp_ieee_div_zero 0
		.amdhsa_exception_fp_ieee_overflow 0
		.amdhsa_exception_fp_ieee_underflow 0
		.amdhsa_exception_fp_ieee_inexact 0
		.amdhsa_exception_int_div_zero 0
	.end_amdhsa_kernel
	.section	.text._ZN7rocprim17ROCPRIM_400000_NS6detail17trampoline_kernelINS0_14default_configENS1_20scan_config_selectorItEEZZNS1_9scan_implILNS1_25lookback_scan_determinismE0ELb0ELb0ES3_N6thrust23THRUST_200600_302600_NS6detail15normal_iteratorINS9_10device_ptrItEEEENS9_16discard_iteratorINS9_11use_defaultEEEt11max_functorItEtEEDaPvRmT3_T4_T5_mT6_P12ihipStream_tbENKUlT_T0_E_clISt17integral_constantIbLb0EESW_IbLb1EEEEDaSS_ST_EUlSS_E0_NS1_11comp_targetILNS1_3genE9ELNS1_11target_archE1100ELNS1_3gpuE3ELNS1_3repE0EEENS1_30default_config_static_selectorELNS0_4arch9wavefront6targetE1EEEvT1_,"axG",@progbits,_ZN7rocprim17ROCPRIM_400000_NS6detail17trampoline_kernelINS0_14default_configENS1_20scan_config_selectorItEEZZNS1_9scan_implILNS1_25lookback_scan_determinismE0ELb0ELb0ES3_N6thrust23THRUST_200600_302600_NS6detail15normal_iteratorINS9_10device_ptrItEEEENS9_16discard_iteratorINS9_11use_defaultEEEt11max_functorItEtEEDaPvRmT3_T4_T5_mT6_P12ihipStream_tbENKUlT_T0_E_clISt17integral_constantIbLb0EESW_IbLb1EEEEDaSS_ST_EUlSS_E0_NS1_11comp_targetILNS1_3genE9ELNS1_11target_archE1100ELNS1_3gpuE3ELNS1_3repE0EEENS1_30default_config_static_selectorELNS0_4arch9wavefront6targetE1EEEvT1_,comdat
.Lfunc_end3636:
	.size	_ZN7rocprim17ROCPRIM_400000_NS6detail17trampoline_kernelINS0_14default_configENS1_20scan_config_selectorItEEZZNS1_9scan_implILNS1_25lookback_scan_determinismE0ELb0ELb0ES3_N6thrust23THRUST_200600_302600_NS6detail15normal_iteratorINS9_10device_ptrItEEEENS9_16discard_iteratorINS9_11use_defaultEEEt11max_functorItEtEEDaPvRmT3_T4_T5_mT6_P12ihipStream_tbENKUlT_T0_E_clISt17integral_constantIbLb0EESW_IbLb1EEEEDaSS_ST_EUlSS_E0_NS1_11comp_targetILNS1_3genE9ELNS1_11target_archE1100ELNS1_3gpuE3ELNS1_3repE0EEENS1_30default_config_static_selectorELNS0_4arch9wavefront6targetE1EEEvT1_, .Lfunc_end3636-_ZN7rocprim17ROCPRIM_400000_NS6detail17trampoline_kernelINS0_14default_configENS1_20scan_config_selectorItEEZZNS1_9scan_implILNS1_25lookback_scan_determinismE0ELb0ELb0ES3_N6thrust23THRUST_200600_302600_NS6detail15normal_iteratorINS9_10device_ptrItEEEENS9_16discard_iteratorINS9_11use_defaultEEEt11max_functorItEtEEDaPvRmT3_T4_T5_mT6_P12ihipStream_tbENKUlT_T0_E_clISt17integral_constantIbLb0EESW_IbLb1EEEEDaSS_ST_EUlSS_E0_NS1_11comp_targetILNS1_3genE9ELNS1_11target_archE1100ELNS1_3gpuE3ELNS1_3repE0EEENS1_30default_config_static_selectorELNS0_4arch9wavefront6targetE1EEEvT1_
                                        ; -- End function
	.section	.AMDGPU.csdata,"",@progbits
; Kernel info:
; codeLenInByte = 0
; NumSgprs: 4
; NumVgprs: 0
; NumAgprs: 0
; TotalNumVgprs: 0
; ScratchSize: 0
; MemoryBound: 0
; FloatMode: 240
; IeeeMode: 1
; LDSByteSize: 0 bytes/workgroup (compile time only)
; SGPRBlocks: 0
; VGPRBlocks: 0
; NumSGPRsForWavesPerEU: 4
; NumVGPRsForWavesPerEU: 1
; AccumOffset: 4
; Occupancy: 8
; WaveLimiterHint : 0
; COMPUTE_PGM_RSRC2:SCRATCH_EN: 0
; COMPUTE_PGM_RSRC2:USER_SGPR: 6
; COMPUTE_PGM_RSRC2:TRAP_HANDLER: 0
; COMPUTE_PGM_RSRC2:TGID_X_EN: 1
; COMPUTE_PGM_RSRC2:TGID_Y_EN: 0
; COMPUTE_PGM_RSRC2:TGID_Z_EN: 0
; COMPUTE_PGM_RSRC2:TIDIG_COMP_CNT: 0
; COMPUTE_PGM_RSRC3_GFX90A:ACCUM_OFFSET: 0
; COMPUTE_PGM_RSRC3_GFX90A:TG_SPLIT: 0
	.section	.text._ZN7rocprim17ROCPRIM_400000_NS6detail17trampoline_kernelINS0_14default_configENS1_20scan_config_selectorItEEZZNS1_9scan_implILNS1_25lookback_scan_determinismE0ELb0ELb0ES3_N6thrust23THRUST_200600_302600_NS6detail15normal_iteratorINS9_10device_ptrItEEEENS9_16discard_iteratorINS9_11use_defaultEEEt11max_functorItEtEEDaPvRmT3_T4_T5_mT6_P12ihipStream_tbENKUlT_T0_E_clISt17integral_constantIbLb0EESW_IbLb1EEEEDaSS_ST_EUlSS_E0_NS1_11comp_targetILNS1_3genE8ELNS1_11target_archE1030ELNS1_3gpuE2ELNS1_3repE0EEENS1_30default_config_static_selectorELNS0_4arch9wavefront6targetE1EEEvT1_,"axG",@progbits,_ZN7rocprim17ROCPRIM_400000_NS6detail17trampoline_kernelINS0_14default_configENS1_20scan_config_selectorItEEZZNS1_9scan_implILNS1_25lookback_scan_determinismE0ELb0ELb0ES3_N6thrust23THRUST_200600_302600_NS6detail15normal_iteratorINS9_10device_ptrItEEEENS9_16discard_iteratorINS9_11use_defaultEEEt11max_functorItEtEEDaPvRmT3_T4_T5_mT6_P12ihipStream_tbENKUlT_T0_E_clISt17integral_constantIbLb0EESW_IbLb1EEEEDaSS_ST_EUlSS_E0_NS1_11comp_targetILNS1_3genE8ELNS1_11target_archE1030ELNS1_3gpuE2ELNS1_3repE0EEENS1_30default_config_static_selectorELNS0_4arch9wavefront6targetE1EEEvT1_,comdat
	.protected	_ZN7rocprim17ROCPRIM_400000_NS6detail17trampoline_kernelINS0_14default_configENS1_20scan_config_selectorItEEZZNS1_9scan_implILNS1_25lookback_scan_determinismE0ELb0ELb0ES3_N6thrust23THRUST_200600_302600_NS6detail15normal_iteratorINS9_10device_ptrItEEEENS9_16discard_iteratorINS9_11use_defaultEEEt11max_functorItEtEEDaPvRmT3_T4_T5_mT6_P12ihipStream_tbENKUlT_T0_E_clISt17integral_constantIbLb0EESW_IbLb1EEEEDaSS_ST_EUlSS_E0_NS1_11comp_targetILNS1_3genE8ELNS1_11target_archE1030ELNS1_3gpuE2ELNS1_3repE0EEENS1_30default_config_static_selectorELNS0_4arch9wavefront6targetE1EEEvT1_ ; -- Begin function _ZN7rocprim17ROCPRIM_400000_NS6detail17trampoline_kernelINS0_14default_configENS1_20scan_config_selectorItEEZZNS1_9scan_implILNS1_25lookback_scan_determinismE0ELb0ELb0ES3_N6thrust23THRUST_200600_302600_NS6detail15normal_iteratorINS9_10device_ptrItEEEENS9_16discard_iteratorINS9_11use_defaultEEEt11max_functorItEtEEDaPvRmT3_T4_T5_mT6_P12ihipStream_tbENKUlT_T0_E_clISt17integral_constantIbLb0EESW_IbLb1EEEEDaSS_ST_EUlSS_E0_NS1_11comp_targetILNS1_3genE8ELNS1_11target_archE1030ELNS1_3gpuE2ELNS1_3repE0EEENS1_30default_config_static_selectorELNS0_4arch9wavefront6targetE1EEEvT1_
	.globl	_ZN7rocprim17ROCPRIM_400000_NS6detail17trampoline_kernelINS0_14default_configENS1_20scan_config_selectorItEEZZNS1_9scan_implILNS1_25lookback_scan_determinismE0ELb0ELb0ES3_N6thrust23THRUST_200600_302600_NS6detail15normal_iteratorINS9_10device_ptrItEEEENS9_16discard_iteratorINS9_11use_defaultEEEt11max_functorItEtEEDaPvRmT3_T4_T5_mT6_P12ihipStream_tbENKUlT_T0_E_clISt17integral_constantIbLb0EESW_IbLb1EEEEDaSS_ST_EUlSS_E0_NS1_11comp_targetILNS1_3genE8ELNS1_11target_archE1030ELNS1_3gpuE2ELNS1_3repE0EEENS1_30default_config_static_selectorELNS0_4arch9wavefront6targetE1EEEvT1_
	.p2align	8
	.type	_ZN7rocprim17ROCPRIM_400000_NS6detail17trampoline_kernelINS0_14default_configENS1_20scan_config_selectorItEEZZNS1_9scan_implILNS1_25lookback_scan_determinismE0ELb0ELb0ES3_N6thrust23THRUST_200600_302600_NS6detail15normal_iteratorINS9_10device_ptrItEEEENS9_16discard_iteratorINS9_11use_defaultEEEt11max_functorItEtEEDaPvRmT3_T4_T5_mT6_P12ihipStream_tbENKUlT_T0_E_clISt17integral_constantIbLb0EESW_IbLb1EEEEDaSS_ST_EUlSS_E0_NS1_11comp_targetILNS1_3genE8ELNS1_11target_archE1030ELNS1_3gpuE2ELNS1_3repE0EEENS1_30default_config_static_selectorELNS0_4arch9wavefront6targetE1EEEvT1_,@function
_ZN7rocprim17ROCPRIM_400000_NS6detail17trampoline_kernelINS0_14default_configENS1_20scan_config_selectorItEEZZNS1_9scan_implILNS1_25lookback_scan_determinismE0ELb0ELb0ES3_N6thrust23THRUST_200600_302600_NS6detail15normal_iteratorINS9_10device_ptrItEEEENS9_16discard_iteratorINS9_11use_defaultEEEt11max_functorItEtEEDaPvRmT3_T4_T5_mT6_P12ihipStream_tbENKUlT_T0_E_clISt17integral_constantIbLb0EESW_IbLb1EEEEDaSS_ST_EUlSS_E0_NS1_11comp_targetILNS1_3genE8ELNS1_11target_archE1030ELNS1_3gpuE2ELNS1_3repE0EEENS1_30default_config_static_selectorELNS0_4arch9wavefront6targetE1EEEvT1_: ; @_ZN7rocprim17ROCPRIM_400000_NS6detail17trampoline_kernelINS0_14default_configENS1_20scan_config_selectorItEEZZNS1_9scan_implILNS1_25lookback_scan_determinismE0ELb0ELb0ES3_N6thrust23THRUST_200600_302600_NS6detail15normal_iteratorINS9_10device_ptrItEEEENS9_16discard_iteratorINS9_11use_defaultEEEt11max_functorItEtEEDaPvRmT3_T4_T5_mT6_P12ihipStream_tbENKUlT_T0_E_clISt17integral_constantIbLb0EESW_IbLb1EEEEDaSS_ST_EUlSS_E0_NS1_11comp_targetILNS1_3genE8ELNS1_11target_archE1030ELNS1_3gpuE2ELNS1_3repE0EEENS1_30default_config_static_selectorELNS0_4arch9wavefront6targetE1EEEvT1_
; %bb.0:
	.section	.rodata,"a",@progbits
	.p2align	6, 0x0
	.amdhsa_kernel _ZN7rocprim17ROCPRIM_400000_NS6detail17trampoline_kernelINS0_14default_configENS1_20scan_config_selectorItEEZZNS1_9scan_implILNS1_25lookback_scan_determinismE0ELb0ELb0ES3_N6thrust23THRUST_200600_302600_NS6detail15normal_iteratorINS9_10device_ptrItEEEENS9_16discard_iteratorINS9_11use_defaultEEEt11max_functorItEtEEDaPvRmT3_T4_T5_mT6_P12ihipStream_tbENKUlT_T0_E_clISt17integral_constantIbLb0EESW_IbLb1EEEEDaSS_ST_EUlSS_E0_NS1_11comp_targetILNS1_3genE8ELNS1_11target_archE1030ELNS1_3gpuE2ELNS1_3repE0EEENS1_30default_config_static_selectorELNS0_4arch9wavefront6targetE1EEEvT1_
		.amdhsa_group_segment_fixed_size 0
		.amdhsa_private_segment_fixed_size 0
		.amdhsa_kernarg_size 40
		.amdhsa_user_sgpr_count 6
		.amdhsa_user_sgpr_private_segment_buffer 1
		.amdhsa_user_sgpr_dispatch_ptr 0
		.amdhsa_user_sgpr_queue_ptr 0
		.amdhsa_user_sgpr_kernarg_segment_ptr 1
		.amdhsa_user_sgpr_dispatch_id 0
		.amdhsa_user_sgpr_flat_scratch_init 0
		.amdhsa_user_sgpr_kernarg_preload_length 0
		.amdhsa_user_sgpr_kernarg_preload_offset 0
		.amdhsa_user_sgpr_private_segment_size 0
		.amdhsa_uses_dynamic_stack 0
		.amdhsa_system_sgpr_private_segment_wavefront_offset 0
		.amdhsa_system_sgpr_workgroup_id_x 1
		.amdhsa_system_sgpr_workgroup_id_y 0
		.amdhsa_system_sgpr_workgroup_id_z 0
		.amdhsa_system_sgpr_workgroup_info 0
		.amdhsa_system_vgpr_workitem_id 0
		.amdhsa_next_free_vgpr 1
		.amdhsa_next_free_sgpr 0
		.amdhsa_accum_offset 4
		.amdhsa_reserve_vcc 0
		.amdhsa_reserve_flat_scratch 0
		.amdhsa_float_round_mode_32 0
		.amdhsa_float_round_mode_16_64 0
		.amdhsa_float_denorm_mode_32 3
		.amdhsa_float_denorm_mode_16_64 3
		.amdhsa_dx10_clamp 1
		.amdhsa_ieee_mode 1
		.amdhsa_fp16_overflow 0
		.amdhsa_tg_split 0
		.amdhsa_exception_fp_ieee_invalid_op 0
		.amdhsa_exception_fp_denorm_src 0
		.amdhsa_exception_fp_ieee_div_zero 0
		.amdhsa_exception_fp_ieee_overflow 0
		.amdhsa_exception_fp_ieee_underflow 0
		.amdhsa_exception_fp_ieee_inexact 0
		.amdhsa_exception_int_div_zero 0
	.end_amdhsa_kernel
	.section	.text._ZN7rocprim17ROCPRIM_400000_NS6detail17trampoline_kernelINS0_14default_configENS1_20scan_config_selectorItEEZZNS1_9scan_implILNS1_25lookback_scan_determinismE0ELb0ELb0ES3_N6thrust23THRUST_200600_302600_NS6detail15normal_iteratorINS9_10device_ptrItEEEENS9_16discard_iteratorINS9_11use_defaultEEEt11max_functorItEtEEDaPvRmT3_T4_T5_mT6_P12ihipStream_tbENKUlT_T0_E_clISt17integral_constantIbLb0EESW_IbLb1EEEEDaSS_ST_EUlSS_E0_NS1_11comp_targetILNS1_3genE8ELNS1_11target_archE1030ELNS1_3gpuE2ELNS1_3repE0EEENS1_30default_config_static_selectorELNS0_4arch9wavefront6targetE1EEEvT1_,"axG",@progbits,_ZN7rocprim17ROCPRIM_400000_NS6detail17trampoline_kernelINS0_14default_configENS1_20scan_config_selectorItEEZZNS1_9scan_implILNS1_25lookback_scan_determinismE0ELb0ELb0ES3_N6thrust23THRUST_200600_302600_NS6detail15normal_iteratorINS9_10device_ptrItEEEENS9_16discard_iteratorINS9_11use_defaultEEEt11max_functorItEtEEDaPvRmT3_T4_T5_mT6_P12ihipStream_tbENKUlT_T0_E_clISt17integral_constantIbLb0EESW_IbLb1EEEEDaSS_ST_EUlSS_E0_NS1_11comp_targetILNS1_3genE8ELNS1_11target_archE1030ELNS1_3gpuE2ELNS1_3repE0EEENS1_30default_config_static_selectorELNS0_4arch9wavefront6targetE1EEEvT1_,comdat
.Lfunc_end3637:
	.size	_ZN7rocprim17ROCPRIM_400000_NS6detail17trampoline_kernelINS0_14default_configENS1_20scan_config_selectorItEEZZNS1_9scan_implILNS1_25lookback_scan_determinismE0ELb0ELb0ES3_N6thrust23THRUST_200600_302600_NS6detail15normal_iteratorINS9_10device_ptrItEEEENS9_16discard_iteratorINS9_11use_defaultEEEt11max_functorItEtEEDaPvRmT3_T4_T5_mT6_P12ihipStream_tbENKUlT_T0_E_clISt17integral_constantIbLb0EESW_IbLb1EEEEDaSS_ST_EUlSS_E0_NS1_11comp_targetILNS1_3genE8ELNS1_11target_archE1030ELNS1_3gpuE2ELNS1_3repE0EEENS1_30default_config_static_selectorELNS0_4arch9wavefront6targetE1EEEvT1_, .Lfunc_end3637-_ZN7rocprim17ROCPRIM_400000_NS6detail17trampoline_kernelINS0_14default_configENS1_20scan_config_selectorItEEZZNS1_9scan_implILNS1_25lookback_scan_determinismE0ELb0ELb0ES3_N6thrust23THRUST_200600_302600_NS6detail15normal_iteratorINS9_10device_ptrItEEEENS9_16discard_iteratorINS9_11use_defaultEEEt11max_functorItEtEEDaPvRmT3_T4_T5_mT6_P12ihipStream_tbENKUlT_T0_E_clISt17integral_constantIbLb0EESW_IbLb1EEEEDaSS_ST_EUlSS_E0_NS1_11comp_targetILNS1_3genE8ELNS1_11target_archE1030ELNS1_3gpuE2ELNS1_3repE0EEENS1_30default_config_static_selectorELNS0_4arch9wavefront6targetE1EEEvT1_
                                        ; -- End function
	.section	.AMDGPU.csdata,"",@progbits
; Kernel info:
; codeLenInByte = 0
; NumSgprs: 4
; NumVgprs: 0
; NumAgprs: 0
; TotalNumVgprs: 0
; ScratchSize: 0
; MemoryBound: 0
; FloatMode: 240
; IeeeMode: 1
; LDSByteSize: 0 bytes/workgroup (compile time only)
; SGPRBlocks: 0
; VGPRBlocks: 0
; NumSGPRsForWavesPerEU: 4
; NumVGPRsForWavesPerEU: 1
; AccumOffset: 4
; Occupancy: 8
; WaveLimiterHint : 0
; COMPUTE_PGM_RSRC2:SCRATCH_EN: 0
; COMPUTE_PGM_RSRC2:USER_SGPR: 6
; COMPUTE_PGM_RSRC2:TRAP_HANDLER: 0
; COMPUTE_PGM_RSRC2:TGID_X_EN: 1
; COMPUTE_PGM_RSRC2:TGID_Y_EN: 0
; COMPUTE_PGM_RSRC2:TGID_Z_EN: 0
; COMPUTE_PGM_RSRC2:TIDIG_COMP_CNT: 0
; COMPUTE_PGM_RSRC3_GFX90A:ACCUM_OFFSET: 0
; COMPUTE_PGM_RSRC3_GFX90A:TG_SPLIT: 0
	.section	.text._ZN7rocprim17ROCPRIM_400000_NS6detail17trampoline_kernelINS0_14default_configENS1_20scan_config_selectorItEEZZNS1_9scan_implILNS1_25lookback_scan_determinismE0ELb1ELb1ES3_N6thrust23THRUST_200600_302600_NS6detail15normal_iteratorINS9_10device_ptrItEEEENS9_16discard_iteratorINS9_11use_defaultEEEt11max_functorItEtEEDaPvRmT3_T4_T5_mT6_P12ihipStream_tbENKUlT_T0_E_clISt17integral_constantIbLb0EESX_EEDaSS_ST_EUlSS_E_NS1_11comp_targetILNS1_3genE0ELNS1_11target_archE4294967295ELNS1_3gpuE0ELNS1_3repE0EEENS1_30default_config_static_selectorELNS0_4arch9wavefront6targetE1EEEvT1_,"axG",@progbits,_ZN7rocprim17ROCPRIM_400000_NS6detail17trampoline_kernelINS0_14default_configENS1_20scan_config_selectorItEEZZNS1_9scan_implILNS1_25lookback_scan_determinismE0ELb1ELb1ES3_N6thrust23THRUST_200600_302600_NS6detail15normal_iteratorINS9_10device_ptrItEEEENS9_16discard_iteratorINS9_11use_defaultEEEt11max_functorItEtEEDaPvRmT3_T4_T5_mT6_P12ihipStream_tbENKUlT_T0_E_clISt17integral_constantIbLb0EESX_EEDaSS_ST_EUlSS_E_NS1_11comp_targetILNS1_3genE0ELNS1_11target_archE4294967295ELNS1_3gpuE0ELNS1_3repE0EEENS1_30default_config_static_selectorELNS0_4arch9wavefront6targetE1EEEvT1_,comdat
	.protected	_ZN7rocprim17ROCPRIM_400000_NS6detail17trampoline_kernelINS0_14default_configENS1_20scan_config_selectorItEEZZNS1_9scan_implILNS1_25lookback_scan_determinismE0ELb1ELb1ES3_N6thrust23THRUST_200600_302600_NS6detail15normal_iteratorINS9_10device_ptrItEEEENS9_16discard_iteratorINS9_11use_defaultEEEt11max_functorItEtEEDaPvRmT3_T4_T5_mT6_P12ihipStream_tbENKUlT_T0_E_clISt17integral_constantIbLb0EESX_EEDaSS_ST_EUlSS_E_NS1_11comp_targetILNS1_3genE0ELNS1_11target_archE4294967295ELNS1_3gpuE0ELNS1_3repE0EEENS1_30default_config_static_selectorELNS0_4arch9wavefront6targetE1EEEvT1_ ; -- Begin function _ZN7rocprim17ROCPRIM_400000_NS6detail17trampoline_kernelINS0_14default_configENS1_20scan_config_selectorItEEZZNS1_9scan_implILNS1_25lookback_scan_determinismE0ELb1ELb1ES3_N6thrust23THRUST_200600_302600_NS6detail15normal_iteratorINS9_10device_ptrItEEEENS9_16discard_iteratorINS9_11use_defaultEEEt11max_functorItEtEEDaPvRmT3_T4_T5_mT6_P12ihipStream_tbENKUlT_T0_E_clISt17integral_constantIbLb0EESX_EEDaSS_ST_EUlSS_E_NS1_11comp_targetILNS1_3genE0ELNS1_11target_archE4294967295ELNS1_3gpuE0ELNS1_3repE0EEENS1_30default_config_static_selectorELNS0_4arch9wavefront6targetE1EEEvT1_
	.globl	_ZN7rocprim17ROCPRIM_400000_NS6detail17trampoline_kernelINS0_14default_configENS1_20scan_config_selectorItEEZZNS1_9scan_implILNS1_25lookback_scan_determinismE0ELb1ELb1ES3_N6thrust23THRUST_200600_302600_NS6detail15normal_iteratorINS9_10device_ptrItEEEENS9_16discard_iteratorINS9_11use_defaultEEEt11max_functorItEtEEDaPvRmT3_T4_T5_mT6_P12ihipStream_tbENKUlT_T0_E_clISt17integral_constantIbLb0EESX_EEDaSS_ST_EUlSS_E_NS1_11comp_targetILNS1_3genE0ELNS1_11target_archE4294967295ELNS1_3gpuE0ELNS1_3repE0EEENS1_30default_config_static_selectorELNS0_4arch9wavefront6targetE1EEEvT1_
	.p2align	8
	.type	_ZN7rocprim17ROCPRIM_400000_NS6detail17trampoline_kernelINS0_14default_configENS1_20scan_config_selectorItEEZZNS1_9scan_implILNS1_25lookback_scan_determinismE0ELb1ELb1ES3_N6thrust23THRUST_200600_302600_NS6detail15normal_iteratorINS9_10device_ptrItEEEENS9_16discard_iteratorINS9_11use_defaultEEEt11max_functorItEtEEDaPvRmT3_T4_T5_mT6_P12ihipStream_tbENKUlT_T0_E_clISt17integral_constantIbLb0EESX_EEDaSS_ST_EUlSS_E_NS1_11comp_targetILNS1_3genE0ELNS1_11target_archE4294967295ELNS1_3gpuE0ELNS1_3repE0EEENS1_30default_config_static_selectorELNS0_4arch9wavefront6targetE1EEEvT1_,@function
_ZN7rocprim17ROCPRIM_400000_NS6detail17trampoline_kernelINS0_14default_configENS1_20scan_config_selectorItEEZZNS1_9scan_implILNS1_25lookback_scan_determinismE0ELb1ELb1ES3_N6thrust23THRUST_200600_302600_NS6detail15normal_iteratorINS9_10device_ptrItEEEENS9_16discard_iteratorINS9_11use_defaultEEEt11max_functorItEtEEDaPvRmT3_T4_T5_mT6_P12ihipStream_tbENKUlT_T0_E_clISt17integral_constantIbLb0EESX_EEDaSS_ST_EUlSS_E_NS1_11comp_targetILNS1_3genE0ELNS1_11target_archE4294967295ELNS1_3gpuE0ELNS1_3repE0EEENS1_30default_config_static_selectorELNS0_4arch9wavefront6targetE1EEEvT1_: ; @_ZN7rocprim17ROCPRIM_400000_NS6detail17trampoline_kernelINS0_14default_configENS1_20scan_config_selectorItEEZZNS1_9scan_implILNS1_25lookback_scan_determinismE0ELb1ELb1ES3_N6thrust23THRUST_200600_302600_NS6detail15normal_iteratorINS9_10device_ptrItEEEENS9_16discard_iteratorINS9_11use_defaultEEEt11max_functorItEtEEDaPvRmT3_T4_T5_mT6_P12ihipStream_tbENKUlT_T0_E_clISt17integral_constantIbLb0EESX_EEDaSS_ST_EUlSS_E_NS1_11comp_targetILNS1_3genE0ELNS1_11target_archE4294967295ELNS1_3gpuE0ELNS1_3repE0EEENS1_30default_config_static_selectorELNS0_4arch9wavefront6targetE1EEEvT1_
; %bb.0:
	.section	.rodata,"a",@progbits
	.p2align	6, 0x0
	.amdhsa_kernel _ZN7rocprim17ROCPRIM_400000_NS6detail17trampoline_kernelINS0_14default_configENS1_20scan_config_selectorItEEZZNS1_9scan_implILNS1_25lookback_scan_determinismE0ELb1ELb1ES3_N6thrust23THRUST_200600_302600_NS6detail15normal_iteratorINS9_10device_ptrItEEEENS9_16discard_iteratorINS9_11use_defaultEEEt11max_functorItEtEEDaPvRmT3_T4_T5_mT6_P12ihipStream_tbENKUlT_T0_E_clISt17integral_constantIbLb0EESX_EEDaSS_ST_EUlSS_E_NS1_11comp_targetILNS1_3genE0ELNS1_11target_archE4294967295ELNS1_3gpuE0ELNS1_3repE0EEENS1_30default_config_static_selectorELNS0_4arch9wavefront6targetE1EEEvT1_
		.amdhsa_group_segment_fixed_size 0
		.amdhsa_private_segment_fixed_size 0
		.amdhsa_kernarg_size 104
		.amdhsa_user_sgpr_count 6
		.amdhsa_user_sgpr_private_segment_buffer 1
		.amdhsa_user_sgpr_dispatch_ptr 0
		.amdhsa_user_sgpr_queue_ptr 0
		.amdhsa_user_sgpr_kernarg_segment_ptr 1
		.amdhsa_user_sgpr_dispatch_id 0
		.amdhsa_user_sgpr_flat_scratch_init 0
		.amdhsa_user_sgpr_kernarg_preload_length 0
		.amdhsa_user_sgpr_kernarg_preload_offset 0
		.amdhsa_user_sgpr_private_segment_size 0
		.amdhsa_uses_dynamic_stack 0
		.amdhsa_system_sgpr_private_segment_wavefront_offset 0
		.amdhsa_system_sgpr_workgroup_id_x 1
		.amdhsa_system_sgpr_workgroup_id_y 0
		.amdhsa_system_sgpr_workgroup_id_z 0
		.amdhsa_system_sgpr_workgroup_info 0
		.amdhsa_system_vgpr_workitem_id 0
		.amdhsa_next_free_vgpr 1
		.amdhsa_next_free_sgpr 0
		.amdhsa_accum_offset 4
		.amdhsa_reserve_vcc 0
		.amdhsa_reserve_flat_scratch 0
		.amdhsa_float_round_mode_32 0
		.amdhsa_float_round_mode_16_64 0
		.amdhsa_float_denorm_mode_32 3
		.amdhsa_float_denorm_mode_16_64 3
		.amdhsa_dx10_clamp 1
		.amdhsa_ieee_mode 1
		.amdhsa_fp16_overflow 0
		.amdhsa_tg_split 0
		.amdhsa_exception_fp_ieee_invalid_op 0
		.amdhsa_exception_fp_denorm_src 0
		.amdhsa_exception_fp_ieee_div_zero 0
		.amdhsa_exception_fp_ieee_overflow 0
		.amdhsa_exception_fp_ieee_underflow 0
		.amdhsa_exception_fp_ieee_inexact 0
		.amdhsa_exception_int_div_zero 0
	.end_amdhsa_kernel
	.section	.text._ZN7rocprim17ROCPRIM_400000_NS6detail17trampoline_kernelINS0_14default_configENS1_20scan_config_selectorItEEZZNS1_9scan_implILNS1_25lookback_scan_determinismE0ELb1ELb1ES3_N6thrust23THRUST_200600_302600_NS6detail15normal_iteratorINS9_10device_ptrItEEEENS9_16discard_iteratorINS9_11use_defaultEEEt11max_functorItEtEEDaPvRmT3_T4_T5_mT6_P12ihipStream_tbENKUlT_T0_E_clISt17integral_constantIbLb0EESX_EEDaSS_ST_EUlSS_E_NS1_11comp_targetILNS1_3genE0ELNS1_11target_archE4294967295ELNS1_3gpuE0ELNS1_3repE0EEENS1_30default_config_static_selectorELNS0_4arch9wavefront6targetE1EEEvT1_,"axG",@progbits,_ZN7rocprim17ROCPRIM_400000_NS6detail17trampoline_kernelINS0_14default_configENS1_20scan_config_selectorItEEZZNS1_9scan_implILNS1_25lookback_scan_determinismE0ELb1ELb1ES3_N6thrust23THRUST_200600_302600_NS6detail15normal_iteratorINS9_10device_ptrItEEEENS9_16discard_iteratorINS9_11use_defaultEEEt11max_functorItEtEEDaPvRmT3_T4_T5_mT6_P12ihipStream_tbENKUlT_T0_E_clISt17integral_constantIbLb0EESX_EEDaSS_ST_EUlSS_E_NS1_11comp_targetILNS1_3genE0ELNS1_11target_archE4294967295ELNS1_3gpuE0ELNS1_3repE0EEENS1_30default_config_static_selectorELNS0_4arch9wavefront6targetE1EEEvT1_,comdat
.Lfunc_end3638:
	.size	_ZN7rocprim17ROCPRIM_400000_NS6detail17trampoline_kernelINS0_14default_configENS1_20scan_config_selectorItEEZZNS1_9scan_implILNS1_25lookback_scan_determinismE0ELb1ELb1ES3_N6thrust23THRUST_200600_302600_NS6detail15normal_iteratorINS9_10device_ptrItEEEENS9_16discard_iteratorINS9_11use_defaultEEEt11max_functorItEtEEDaPvRmT3_T4_T5_mT6_P12ihipStream_tbENKUlT_T0_E_clISt17integral_constantIbLb0EESX_EEDaSS_ST_EUlSS_E_NS1_11comp_targetILNS1_3genE0ELNS1_11target_archE4294967295ELNS1_3gpuE0ELNS1_3repE0EEENS1_30default_config_static_selectorELNS0_4arch9wavefront6targetE1EEEvT1_, .Lfunc_end3638-_ZN7rocprim17ROCPRIM_400000_NS6detail17trampoline_kernelINS0_14default_configENS1_20scan_config_selectorItEEZZNS1_9scan_implILNS1_25lookback_scan_determinismE0ELb1ELb1ES3_N6thrust23THRUST_200600_302600_NS6detail15normal_iteratorINS9_10device_ptrItEEEENS9_16discard_iteratorINS9_11use_defaultEEEt11max_functorItEtEEDaPvRmT3_T4_T5_mT6_P12ihipStream_tbENKUlT_T0_E_clISt17integral_constantIbLb0EESX_EEDaSS_ST_EUlSS_E_NS1_11comp_targetILNS1_3genE0ELNS1_11target_archE4294967295ELNS1_3gpuE0ELNS1_3repE0EEENS1_30default_config_static_selectorELNS0_4arch9wavefront6targetE1EEEvT1_
                                        ; -- End function
	.section	.AMDGPU.csdata,"",@progbits
; Kernel info:
; codeLenInByte = 0
; NumSgprs: 4
; NumVgprs: 0
; NumAgprs: 0
; TotalNumVgprs: 0
; ScratchSize: 0
; MemoryBound: 0
; FloatMode: 240
; IeeeMode: 1
; LDSByteSize: 0 bytes/workgroup (compile time only)
; SGPRBlocks: 0
; VGPRBlocks: 0
; NumSGPRsForWavesPerEU: 4
; NumVGPRsForWavesPerEU: 1
; AccumOffset: 4
; Occupancy: 8
; WaveLimiterHint : 0
; COMPUTE_PGM_RSRC2:SCRATCH_EN: 0
; COMPUTE_PGM_RSRC2:USER_SGPR: 6
; COMPUTE_PGM_RSRC2:TRAP_HANDLER: 0
; COMPUTE_PGM_RSRC2:TGID_X_EN: 1
; COMPUTE_PGM_RSRC2:TGID_Y_EN: 0
; COMPUTE_PGM_RSRC2:TGID_Z_EN: 0
; COMPUTE_PGM_RSRC2:TIDIG_COMP_CNT: 0
; COMPUTE_PGM_RSRC3_GFX90A:ACCUM_OFFSET: 0
; COMPUTE_PGM_RSRC3_GFX90A:TG_SPLIT: 0
	.section	.text._ZN7rocprim17ROCPRIM_400000_NS6detail17trampoline_kernelINS0_14default_configENS1_20scan_config_selectorItEEZZNS1_9scan_implILNS1_25lookback_scan_determinismE0ELb1ELb1ES3_N6thrust23THRUST_200600_302600_NS6detail15normal_iteratorINS9_10device_ptrItEEEENS9_16discard_iteratorINS9_11use_defaultEEEt11max_functorItEtEEDaPvRmT3_T4_T5_mT6_P12ihipStream_tbENKUlT_T0_E_clISt17integral_constantIbLb0EESX_EEDaSS_ST_EUlSS_E_NS1_11comp_targetILNS1_3genE5ELNS1_11target_archE942ELNS1_3gpuE9ELNS1_3repE0EEENS1_30default_config_static_selectorELNS0_4arch9wavefront6targetE1EEEvT1_,"axG",@progbits,_ZN7rocprim17ROCPRIM_400000_NS6detail17trampoline_kernelINS0_14default_configENS1_20scan_config_selectorItEEZZNS1_9scan_implILNS1_25lookback_scan_determinismE0ELb1ELb1ES3_N6thrust23THRUST_200600_302600_NS6detail15normal_iteratorINS9_10device_ptrItEEEENS9_16discard_iteratorINS9_11use_defaultEEEt11max_functorItEtEEDaPvRmT3_T4_T5_mT6_P12ihipStream_tbENKUlT_T0_E_clISt17integral_constantIbLb0EESX_EEDaSS_ST_EUlSS_E_NS1_11comp_targetILNS1_3genE5ELNS1_11target_archE942ELNS1_3gpuE9ELNS1_3repE0EEENS1_30default_config_static_selectorELNS0_4arch9wavefront6targetE1EEEvT1_,comdat
	.protected	_ZN7rocprim17ROCPRIM_400000_NS6detail17trampoline_kernelINS0_14default_configENS1_20scan_config_selectorItEEZZNS1_9scan_implILNS1_25lookback_scan_determinismE0ELb1ELb1ES3_N6thrust23THRUST_200600_302600_NS6detail15normal_iteratorINS9_10device_ptrItEEEENS9_16discard_iteratorINS9_11use_defaultEEEt11max_functorItEtEEDaPvRmT3_T4_T5_mT6_P12ihipStream_tbENKUlT_T0_E_clISt17integral_constantIbLb0EESX_EEDaSS_ST_EUlSS_E_NS1_11comp_targetILNS1_3genE5ELNS1_11target_archE942ELNS1_3gpuE9ELNS1_3repE0EEENS1_30default_config_static_selectorELNS0_4arch9wavefront6targetE1EEEvT1_ ; -- Begin function _ZN7rocprim17ROCPRIM_400000_NS6detail17trampoline_kernelINS0_14default_configENS1_20scan_config_selectorItEEZZNS1_9scan_implILNS1_25lookback_scan_determinismE0ELb1ELb1ES3_N6thrust23THRUST_200600_302600_NS6detail15normal_iteratorINS9_10device_ptrItEEEENS9_16discard_iteratorINS9_11use_defaultEEEt11max_functorItEtEEDaPvRmT3_T4_T5_mT6_P12ihipStream_tbENKUlT_T0_E_clISt17integral_constantIbLb0EESX_EEDaSS_ST_EUlSS_E_NS1_11comp_targetILNS1_3genE5ELNS1_11target_archE942ELNS1_3gpuE9ELNS1_3repE0EEENS1_30default_config_static_selectorELNS0_4arch9wavefront6targetE1EEEvT1_
	.globl	_ZN7rocprim17ROCPRIM_400000_NS6detail17trampoline_kernelINS0_14default_configENS1_20scan_config_selectorItEEZZNS1_9scan_implILNS1_25lookback_scan_determinismE0ELb1ELb1ES3_N6thrust23THRUST_200600_302600_NS6detail15normal_iteratorINS9_10device_ptrItEEEENS9_16discard_iteratorINS9_11use_defaultEEEt11max_functorItEtEEDaPvRmT3_T4_T5_mT6_P12ihipStream_tbENKUlT_T0_E_clISt17integral_constantIbLb0EESX_EEDaSS_ST_EUlSS_E_NS1_11comp_targetILNS1_3genE5ELNS1_11target_archE942ELNS1_3gpuE9ELNS1_3repE0EEENS1_30default_config_static_selectorELNS0_4arch9wavefront6targetE1EEEvT1_
	.p2align	8
	.type	_ZN7rocprim17ROCPRIM_400000_NS6detail17trampoline_kernelINS0_14default_configENS1_20scan_config_selectorItEEZZNS1_9scan_implILNS1_25lookback_scan_determinismE0ELb1ELb1ES3_N6thrust23THRUST_200600_302600_NS6detail15normal_iteratorINS9_10device_ptrItEEEENS9_16discard_iteratorINS9_11use_defaultEEEt11max_functorItEtEEDaPvRmT3_T4_T5_mT6_P12ihipStream_tbENKUlT_T0_E_clISt17integral_constantIbLb0EESX_EEDaSS_ST_EUlSS_E_NS1_11comp_targetILNS1_3genE5ELNS1_11target_archE942ELNS1_3gpuE9ELNS1_3repE0EEENS1_30default_config_static_selectorELNS0_4arch9wavefront6targetE1EEEvT1_,@function
_ZN7rocprim17ROCPRIM_400000_NS6detail17trampoline_kernelINS0_14default_configENS1_20scan_config_selectorItEEZZNS1_9scan_implILNS1_25lookback_scan_determinismE0ELb1ELb1ES3_N6thrust23THRUST_200600_302600_NS6detail15normal_iteratorINS9_10device_ptrItEEEENS9_16discard_iteratorINS9_11use_defaultEEEt11max_functorItEtEEDaPvRmT3_T4_T5_mT6_P12ihipStream_tbENKUlT_T0_E_clISt17integral_constantIbLb0EESX_EEDaSS_ST_EUlSS_E_NS1_11comp_targetILNS1_3genE5ELNS1_11target_archE942ELNS1_3gpuE9ELNS1_3repE0EEENS1_30default_config_static_selectorELNS0_4arch9wavefront6targetE1EEEvT1_: ; @_ZN7rocprim17ROCPRIM_400000_NS6detail17trampoline_kernelINS0_14default_configENS1_20scan_config_selectorItEEZZNS1_9scan_implILNS1_25lookback_scan_determinismE0ELb1ELb1ES3_N6thrust23THRUST_200600_302600_NS6detail15normal_iteratorINS9_10device_ptrItEEEENS9_16discard_iteratorINS9_11use_defaultEEEt11max_functorItEtEEDaPvRmT3_T4_T5_mT6_P12ihipStream_tbENKUlT_T0_E_clISt17integral_constantIbLb0EESX_EEDaSS_ST_EUlSS_E_NS1_11comp_targetILNS1_3genE5ELNS1_11target_archE942ELNS1_3gpuE9ELNS1_3repE0EEENS1_30default_config_static_selectorELNS0_4arch9wavefront6targetE1EEEvT1_
; %bb.0:
	.section	.rodata,"a",@progbits
	.p2align	6, 0x0
	.amdhsa_kernel _ZN7rocprim17ROCPRIM_400000_NS6detail17trampoline_kernelINS0_14default_configENS1_20scan_config_selectorItEEZZNS1_9scan_implILNS1_25lookback_scan_determinismE0ELb1ELb1ES3_N6thrust23THRUST_200600_302600_NS6detail15normal_iteratorINS9_10device_ptrItEEEENS9_16discard_iteratorINS9_11use_defaultEEEt11max_functorItEtEEDaPvRmT3_T4_T5_mT6_P12ihipStream_tbENKUlT_T0_E_clISt17integral_constantIbLb0EESX_EEDaSS_ST_EUlSS_E_NS1_11comp_targetILNS1_3genE5ELNS1_11target_archE942ELNS1_3gpuE9ELNS1_3repE0EEENS1_30default_config_static_selectorELNS0_4arch9wavefront6targetE1EEEvT1_
		.amdhsa_group_segment_fixed_size 0
		.amdhsa_private_segment_fixed_size 0
		.amdhsa_kernarg_size 104
		.amdhsa_user_sgpr_count 6
		.amdhsa_user_sgpr_private_segment_buffer 1
		.amdhsa_user_sgpr_dispatch_ptr 0
		.amdhsa_user_sgpr_queue_ptr 0
		.amdhsa_user_sgpr_kernarg_segment_ptr 1
		.amdhsa_user_sgpr_dispatch_id 0
		.amdhsa_user_sgpr_flat_scratch_init 0
		.amdhsa_user_sgpr_kernarg_preload_length 0
		.amdhsa_user_sgpr_kernarg_preload_offset 0
		.amdhsa_user_sgpr_private_segment_size 0
		.amdhsa_uses_dynamic_stack 0
		.amdhsa_system_sgpr_private_segment_wavefront_offset 0
		.amdhsa_system_sgpr_workgroup_id_x 1
		.amdhsa_system_sgpr_workgroup_id_y 0
		.amdhsa_system_sgpr_workgroup_id_z 0
		.amdhsa_system_sgpr_workgroup_info 0
		.amdhsa_system_vgpr_workitem_id 0
		.amdhsa_next_free_vgpr 1
		.amdhsa_next_free_sgpr 0
		.amdhsa_accum_offset 4
		.amdhsa_reserve_vcc 0
		.amdhsa_reserve_flat_scratch 0
		.amdhsa_float_round_mode_32 0
		.amdhsa_float_round_mode_16_64 0
		.amdhsa_float_denorm_mode_32 3
		.amdhsa_float_denorm_mode_16_64 3
		.amdhsa_dx10_clamp 1
		.amdhsa_ieee_mode 1
		.amdhsa_fp16_overflow 0
		.amdhsa_tg_split 0
		.amdhsa_exception_fp_ieee_invalid_op 0
		.amdhsa_exception_fp_denorm_src 0
		.amdhsa_exception_fp_ieee_div_zero 0
		.amdhsa_exception_fp_ieee_overflow 0
		.amdhsa_exception_fp_ieee_underflow 0
		.amdhsa_exception_fp_ieee_inexact 0
		.amdhsa_exception_int_div_zero 0
	.end_amdhsa_kernel
	.section	.text._ZN7rocprim17ROCPRIM_400000_NS6detail17trampoline_kernelINS0_14default_configENS1_20scan_config_selectorItEEZZNS1_9scan_implILNS1_25lookback_scan_determinismE0ELb1ELb1ES3_N6thrust23THRUST_200600_302600_NS6detail15normal_iteratorINS9_10device_ptrItEEEENS9_16discard_iteratorINS9_11use_defaultEEEt11max_functorItEtEEDaPvRmT3_T4_T5_mT6_P12ihipStream_tbENKUlT_T0_E_clISt17integral_constantIbLb0EESX_EEDaSS_ST_EUlSS_E_NS1_11comp_targetILNS1_3genE5ELNS1_11target_archE942ELNS1_3gpuE9ELNS1_3repE0EEENS1_30default_config_static_selectorELNS0_4arch9wavefront6targetE1EEEvT1_,"axG",@progbits,_ZN7rocprim17ROCPRIM_400000_NS6detail17trampoline_kernelINS0_14default_configENS1_20scan_config_selectorItEEZZNS1_9scan_implILNS1_25lookback_scan_determinismE0ELb1ELb1ES3_N6thrust23THRUST_200600_302600_NS6detail15normal_iteratorINS9_10device_ptrItEEEENS9_16discard_iteratorINS9_11use_defaultEEEt11max_functorItEtEEDaPvRmT3_T4_T5_mT6_P12ihipStream_tbENKUlT_T0_E_clISt17integral_constantIbLb0EESX_EEDaSS_ST_EUlSS_E_NS1_11comp_targetILNS1_3genE5ELNS1_11target_archE942ELNS1_3gpuE9ELNS1_3repE0EEENS1_30default_config_static_selectorELNS0_4arch9wavefront6targetE1EEEvT1_,comdat
.Lfunc_end3639:
	.size	_ZN7rocprim17ROCPRIM_400000_NS6detail17trampoline_kernelINS0_14default_configENS1_20scan_config_selectorItEEZZNS1_9scan_implILNS1_25lookback_scan_determinismE0ELb1ELb1ES3_N6thrust23THRUST_200600_302600_NS6detail15normal_iteratorINS9_10device_ptrItEEEENS9_16discard_iteratorINS9_11use_defaultEEEt11max_functorItEtEEDaPvRmT3_T4_T5_mT6_P12ihipStream_tbENKUlT_T0_E_clISt17integral_constantIbLb0EESX_EEDaSS_ST_EUlSS_E_NS1_11comp_targetILNS1_3genE5ELNS1_11target_archE942ELNS1_3gpuE9ELNS1_3repE0EEENS1_30default_config_static_selectorELNS0_4arch9wavefront6targetE1EEEvT1_, .Lfunc_end3639-_ZN7rocprim17ROCPRIM_400000_NS6detail17trampoline_kernelINS0_14default_configENS1_20scan_config_selectorItEEZZNS1_9scan_implILNS1_25lookback_scan_determinismE0ELb1ELb1ES3_N6thrust23THRUST_200600_302600_NS6detail15normal_iteratorINS9_10device_ptrItEEEENS9_16discard_iteratorINS9_11use_defaultEEEt11max_functorItEtEEDaPvRmT3_T4_T5_mT6_P12ihipStream_tbENKUlT_T0_E_clISt17integral_constantIbLb0EESX_EEDaSS_ST_EUlSS_E_NS1_11comp_targetILNS1_3genE5ELNS1_11target_archE942ELNS1_3gpuE9ELNS1_3repE0EEENS1_30default_config_static_selectorELNS0_4arch9wavefront6targetE1EEEvT1_
                                        ; -- End function
	.section	.AMDGPU.csdata,"",@progbits
; Kernel info:
; codeLenInByte = 0
; NumSgprs: 4
; NumVgprs: 0
; NumAgprs: 0
; TotalNumVgprs: 0
; ScratchSize: 0
; MemoryBound: 0
; FloatMode: 240
; IeeeMode: 1
; LDSByteSize: 0 bytes/workgroup (compile time only)
; SGPRBlocks: 0
; VGPRBlocks: 0
; NumSGPRsForWavesPerEU: 4
; NumVGPRsForWavesPerEU: 1
; AccumOffset: 4
; Occupancy: 8
; WaveLimiterHint : 0
; COMPUTE_PGM_RSRC2:SCRATCH_EN: 0
; COMPUTE_PGM_RSRC2:USER_SGPR: 6
; COMPUTE_PGM_RSRC2:TRAP_HANDLER: 0
; COMPUTE_PGM_RSRC2:TGID_X_EN: 1
; COMPUTE_PGM_RSRC2:TGID_Y_EN: 0
; COMPUTE_PGM_RSRC2:TGID_Z_EN: 0
; COMPUTE_PGM_RSRC2:TIDIG_COMP_CNT: 0
; COMPUTE_PGM_RSRC3_GFX90A:ACCUM_OFFSET: 0
; COMPUTE_PGM_RSRC3_GFX90A:TG_SPLIT: 0
	.section	.text._ZN7rocprim17ROCPRIM_400000_NS6detail17trampoline_kernelINS0_14default_configENS1_20scan_config_selectorItEEZZNS1_9scan_implILNS1_25lookback_scan_determinismE0ELb1ELb1ES3_N6thrust23THRUST_200600_302600_NS6detail15normal_iteratorINS9_10device_ptrItEEEENS9_16discard_iteratorINS9_11use_defaultEEEt11max_functorItEtEEDaPvRmT3_T4_T5_mT6_P12ihipStream_tbENKUlT_T0_E_clISt17integral_constantIbLb0EESX_EEDaSS_ST_EUlSS_E_NS1_11comp_targetILNS1_3genE4ELNS1_11target_archE910ELNS1_3gpuE8ELNS1_3repE0EEENS1_30default_config_static_selectorELNS0_4arch9wavefront6targetE1EEEvT1_,"axG",@progbits,_ZN7rocprim17ROCPRIM_400000_NS6detail17trampoline_kernelINS0_14default_configENS1_20scan_config_selectorItEEZZNS1_9scan_implILNS1_25lookback_scan_determinismE0ELb1ELb1ES3_N6thrust23THRUST_200600_302600_NS6detail15normal_iteratorINS9_10device_ptrItEEEENS9_16discard_iteratorINS9_11use_defaultEEEt11max_functorItEtEEDaPvRmT3_T4_T5_mT6_P12ihipStream_tbENKUlT_T0_E_clISt17integral_constantIbLb0EESX_EEDaSS_ST_EUlSS_E_NS1_11comp_targetILNS1_3genE4ELNS1_11target_archE910ELNS1_3gpuE8ELNS1_3repE0EEENS1_30default_config_static_selectorELNS0_4arch9wavefront6targetE1EEEvT1_,comdat
	.protected	_ZN7rocprim17ROCPRIM_400000_NS6detail17trampoline_kernelINS0_14default_configENS1_20scan_config_selectorItEEZZNS1_9scan_implILNS1_25lookback_scan_determinismE0ELb1ELb1ES3_N6thrust23THRUST_200600_302600_NS6detail15normal_iteratorINS9_10device_ptrItEEEENS9_16discard_iteratorINS9_11use_defaultEEEt11max_functorItEtEEDaPvRmT3_T4_T5_mT6_P12ihipStream_tbENKUlT_T0_E_clISt17integral_constantIbLb0EESX_EEDaSS_ST_EUlSS_E_NS1_11comp_targetILNS1_3genE4ELNS1_11target_archE910ELNS1_3gpuE8ELNS1_3repE0EEENS1_30default_config_static_selectorELNS0_4arch9wavefront6targetE1EEEvT1_ ; -- Begin function _ZN7rocprim17ROCPRIM_400000_NS6detail17trampoline_kernelINS0_14default_configENS1_20scan_config_selectorItEEZZNS1_9scan_implILNS1_25lookback_scan_determinismE0ELb1ELb1ES3_N6thrust23THRUST_200600_302600_NS6detail15normal_iteratorINS9_10device_ptrItEEEENS9_16discard_iteratorINS9_11use_defaultEEEt11max_functorItEtEEDaPvRmT3_T4_T5_mT6_P12ihipStream_tbENKUlT_T0_E_clISt17integral_constantIbLb0EESX_EEDaSS_ST_EUlSS_E_NS1_11comp_targetILNS1_3genE4ELNS1_11target_archE910ELNS1_3gpuE8ELNS1_3repE0EEENS1_30default_config_static_selectorELNS0_4arch9wavefront6targetE1EEEvT1_
	.globl	_ZN7rocprim17ROCPRIM_400000_NS6detail17trampoline_kernelINS0_14default_configENS1_20scan_config_selectorItEEZZNS1_9scan_implILNS1_25lookback_scan_determinismE0ELb1ELb1ES3_N6thrust23THRUST_200600_302600_NS6detail15normal_iteratorINS9_10device_ptrItEEEENS9_16discard_iteratorINS9_11use_defaultEEEt11max_functorItEtEEDaPvRmT3_T4_T5_mT6_P12ihipStream_tbENKUlT_T0_E_clISt17integral_constantIbLb0EESX_EEDaSS_ST_EUlSS_E_NS1_11comp_targetILNS1_3genE4ELNS1_11target_archE910ELNS1_3gpuE8ELNS1_3repE0EEENS1_30default_config_static_selectorELNS0_4arch9wavefront6targetE1EEEvT1_
	.p2align	8
	.type	_ZN7rocprim17ROCPRIM_400000_NS6detail17trampoline_kernelINS0_14default_configENS1_20scan_config_selectorItEEZZNS1_9scan_implILNS1_25lookback_scan_determinismE0ELb1ELb1ES3_N6thrust23THRUST_200600_302600_NS6detail15normal_iteratorINS9_10device_ptrItEEEENS9_16discard_iteratorINS9_11use_defaultEEEt11max_functorItEtEEDaPvRmT3_T4_T5_mT6_P12ihipStream_tbENKUlT_T0_E_clISt17integral_constantIbLb0EESX_EEDaSS_ST_EUlSS_E_NS1_11comp_targetILNS1_3genE4ELNS1_11target_archE910ELNS1_3gpuE8ELNS1_3repE0EEENS1_30default_config_static_selectorELNS0_4arch9wavefront6targetE1EEEvT1_,@function
_ZN7rocprim17ROCPRIM_400000_NS6detail17trampoline_kernelINS0_14default_configENS1_20scan_config_selectorItEEZZNS1_9scan_implILNS1_25lookback_scan_determinismE0ELb1ELb1ES3_N6thrust23THRUST_200600_302600_NS6detail15normal_iteratorINS9_10device_ptrItEEEENS9_16discard_iteratorINS9_11use_defaultEEEt11max_functorItEtEEDaPvRmT3_T4_T5_mT6_P12ihipStream_tbENKUlT_T0_E_clISt17integral_constantIbLb0EESX_EEDaSS_ST_EUlSS_E_NS1_11comp_targetILNS1_3genE4ELNS1_11target_archE910ELNS1_3gpuE8ELNS1_3repE0EEENS1_30default_config_static_selectorELNS0_4arch9wavefront6targetE1EEEvT1_: ; @_ZN7rocprim17ROCPRIM_400000_NS6detail17trampoline_kernelINS0_14default_configENS1_20scan_config_selectorItEEZZNS1_9scan_implILNS1_25lookback_scan_determinismE0ELb1ELb1ES3_N6thrust23THRUST_200600_302600_NS6detail15normal_iteratorINS9_10device_ptrItEEEENS9_16discard_iteratorINS9_11use_defaultEEEt11max_functorItEtEEDaPvRmT3_T4_T5_mT6_P12ihipStream_tbENKUlT_T0_E_clISt17integral_constantIbLb0EESX_EEDaSS_ST_EUlSS_E_NS1_11comp_targetILNS1_3genE4ELNS1_11target_archE910ELNS1_3gpuE8ELNS1_3repE0EEENS1_30default_config_static_selectorELNS0_4arch9wavefront6targetE1EEEvT1_
; %bb.0:
	s_load_dwordx4 s[0:3], s[4:5], 0x0
	s_load_dwordx2 s[8:9], s[4:5], 0x20
	s_load_dword s7, s[4:5], 0x38
	v_lshlrev_b32_e32 v1, 1, v0
	s_waitcnt lgkmcnt(0)
	s_lshl_b64 s[2:3], s[2:3], 1
	s_add_u32 s21, s0, s2
	s_addc_u32 s22, s1, s3
	s_add_i32 s2, s7, -1
	s_mul_i32 s3, s2, 0x600
	s_sub_u32 s7, s8, s3
	s_subb_u32 s20, s9, 0
	s_mul_i32 s0, s6, 0x600
	s_mov_b32 s1, 0
	s_cmp_lg_u32 s6, s2
	s_cselect_b64 s[16:17], -1, 0
	s_lshl_b64 s[0:1], s[0:1], 1
	s_add_u32 s0, s21, s0
	s_addc_u32 s1, s22, s1
	s_mov_b64 s[2:3], -1
	s_and_b64 vcc, exec, s[16:17]
	s_cbranch_vccz .LBB3640_2
; %bb.1:
	v_mov_b32_e32 v3, s1
	v_add_co_u32_e32 v2, vcc, s0, v1
	v_addc_co_u32_e32 v3, vcc, 0, v3, vcc
	flat_load_ushort v4, v[2:3]
	flat_load_ushort v5, v[2:3] offset:128
	flat_load_ushort v6, v[2:3] offset:256
	;; [unrolled: 1-line block ×23, first 2 shown]
	s_mov_b64 s[2:3], 0
	s_waitcnt vmcnt(0) lgkmcnt(0)
	ds_write_b16 v1, v4
	ds_write_b16 v1, v5 offset:128
	ds_write_b16 v1, v6 offset:256
	;; [unrolled: 1-line block ×23, first 2 shown]
	s_waitcnt lgkmcnt(0)
	; wave barrier
.LBB3640_2:
	s_load_dwordx2 s[18:19], s[4:5], 0x30
	s_andn2_b64 vcc, exec, s[2:3]
	s_cbranch_vccnz .LBB3640_52
; %bb.3:
	v_pk_mov_b32 v[2:3], s[0:1], s[0:1] op_sel:[0,1]
	flat_load_ushort v2, v[2:3]
	v_cmp_gt_u32_e32 vcc, s7, v0
	s_waitcnt vmcnt(0) lgkmcnt(0)
	v_mov_b32_e32 v3, v2
	s_and_saveexec_b64 s[2:3], vcc
	s_cbranch_execz .LBB3640_5
; %bb.4:
	v_mov_b32_e32 v3, s1
	v_add_co_u32_e32 v4, vcc, s0, v1
	v_addc_co_u32_e32 v5, vcc, 0, v3, vcc
	flat_load_ushort v3, v[4:5]
.LBB3640_5:
	s_or_b64 exec, exec, s[2:3]
	v_or_b32_e32 v4, 64, v0
	v_cmp_gt_u32_e32 vcc, s7, v4
	v_mov_b32_e32 v4, v2
	s_and_saveexec_b64 s[2:3], vcc
	s_cbranch_execz .LBB3640_7
; %bb.6:
	v_mov_b32_e32 v5, s1
	v_add_co_u32_e32 v4, vcc, s0, v1
	v_addc_co_u32_e32 v5, vcc, 0, v5, vcc
	flat_load_ushort v4, v[4:5] offset:128
.LBB3640_7:
	s_or_b64 exec, exec, s[2:3]
	v_or_b32_e32 v5, 0x80, v0
	v_cmp_gt_u32_e32 vcc, s7, v5
	v_mov_b32_e32 v5, v2
	s_and_saveexec_b64 s[2:3], vcc
	s_cbranch_execz .LBB3640_9
; %bb.8:
	v_mov_b32_e32 v5, s1
	v_add_co_u32_e32 v6, vcc, s0, v1
	v_addc_co_u32_e32 v7, vcc, 0, v5, vcc
	flat_load_ushort v5, v[6:7] offset:256
.LBB3640_9:
	;; [unrolled: 12-line block ×22, first 2 shown]
	s_or_b64 exec, exec, s[2:3]
	v_or_b32_e32 v26, 0x5c0, v0
	v_cmp_gt_u32_e32 vcc, s7, v26
	s_and_saveexec_b64 s[2:3], vcc
	s_cbranch_execz .LBB3640_51
; %bb.50:
	v_mov_b32_e32 v2, s1
	v_add_co_u32_e32 v26, vcc, s0, v1
	v_addc_co_u32_e32 v27, vcc, 0, v2, vcc
	flat_load_ushort v2, v[26:27] offset:2944
.LBB3640_51:
	s_or_b64 exec, exec, s[2:3]
	s_waitcnt vmcnt(0) lgkmcnt(0)
	ds_write_b16 v1, v3
	ds_write_b16 v1, v4 offset:128
	ds_write_b16 v1, v5 offset:256
	;; [unrolled: 1-line block ×23, first 2 shown]
	s_waitcnt lgkmcnt(0)
	; wave barrier
.LBB3640_52:
	v_mul_u32_u24_e32 v20, 24, v0
	v_lshlrev_b32_e32 v21, 1, v20
	s_waitcnt lgkmcnt(0)
	ds_read_b128 v[10:13], v21
	ds_read_b128 v[6:9], v21 offset:16
	ds_read_b128 v[2:5], v21 offset:32
	s_cmp_lg_u32 s6, 0
	v_mbcnt_lo_u32_b32 v32, -1, 0
	s_waitcnt lgkmcnt(2)
	v_lshrrev_b32_e32 v30, 16, v11
	v_max_u16_sdwa v14, v10, v10 dst_sel:DWORD dst_unused:UNUSED_PAD src0_sel:DWORD src1_sel:WORD_1
	v_lshrrev_b32_e32 v29, 16, v12
	v_lshrrev_b32_e32 v28, 16, v13
	s_waitcnt lgkmcnt(1)
	v_lshrrev_b32_e32 v27, 16, v6
	v_lshrrev_b32_e32 v26, 16, v7
	;; [unrolled: 1-line block ×4, first 2 shown]
	s_waitcnt lgkmcnt(0)
	v_lshrrev_b32_e32 v23, 16, v2
	v_lshrrev_b32_e32 v22, 16, v3
	;; [unrolled: 1-line block ×4, first 2 shown]
	v_max3_u16 v33, v14, v11, v30
	v_cmp_eq_u32_e32 vcc, 63, v0
	s_waitcnt lgkmcnt(0)
	; wave barrier
	s_cbranch_scc0 .LBB3640_75
; %bb.53:
	v_max3_u16 v14, v33, v12, v29
	v_max3_u16 v14, v14, v13, v28
	;; [unrolled: 1-line block ×10, first 2 shown]
	v_mbcnt_hi_u32_b32 v15, -1, v32
	v_and_b32_e32 v17, 0xffff, v14
	v_and_b32_e32 v16, 15, v15
	v_cmp_eq_u32_e64 s[0:1], 0, v16
	v_mov_b32_dpp v17, v17 row_shr:1 row_mask:0xf bank_mask:0xf
	v_max_u16_e32 v17, v17, v14
	v_cndmask_b32_e64 v14, v17, v14, s[0:1]
	v_and_b32_e32 v17, 0xffff, v14
	v_cmp_lt_u32_e64 s[0:1], 1, v16
	s_nop 0
	v_mov_b32_dpp v17, v17 row_shr:2 row_mask:0xf bank_mask:0xf
	v_max_u16_e32 v17, v17, v14
	v_cndmask_b32_e64 v14, v14, v17, s[0:1]
	v_and_b32_e32 v17, 0xffff, v14
	v_cmp_lt_u32_e64 s[0:1], 3, v16
	s_nop 0
	;; [unrolled: 6-line block ×3, first 2 shown]
	v_mov_b32_dpp v17, v17 row_shr:8 row_mask:0xf bank_mask:0xf
	v_max_u16_e32 v17, v17, v14
	v_cndmask_b32_e64 v14, v14, v17, s[0:1]
	v_and_b32_e32 v16, 0xffff, v14
	v_and_b32_e32 v17, 16, v15
	v_cmp_eq_u32_e64 s[0:1], 0, v17
	v_mov_b32_dpp v16, v16 row_bcast:15 row_mask:0xf bank_mask:0xf
	v_max_u16_e32 v16, v16, v14
	v_cndmask_b32_e64 v14, v16, v14, s[0:1]
	v_and_b32_e32 v16, 0xffff, v14
	v_cmp_lt_u32_e64 s[0:1], 31, v15
	s_nop 0
	v_mov_b32_dpp v16, v16 row_bcast:31 row_mask:0xf bank_mask:0xf
	v_max_u16_e32 v16, v16, v14
	v_cndmask_b32_e64 v14, v14, v16, s[0:1]
	s_and_saveexec_b64 s[0:1], vcc
	s_cbranch_execz .LBB3640_55
; %bb.54:
	v_mov_b32_e32 v16, 0
	ds_write_b16 v16, v14
.LBB3640_55:
	s_or_b64 exec, exec, s[0:1]
	v_add_u32_e32 v16, -1, v15
	v_and_b32_e32 v17, 64, v15
	v_cmp_lt_i32_e32 vcc, v16, v17
	v_cndmask_b32_e32 v16, v16, v15, vcc
	v_and_b32_e32 v14, 0xffff, v14
	v_lshlrev_b32_e32 v16, 2, v16
	ds_bpermute_b32 v34, v16, v14
	v_cmp_gt_u32_e32 vcc, 64, v0
	s_waitcnt lgkmcnt(0)
	; wave barrier
	s_waitcnt lgkmcnt(0)
	s_and_saveexec_b64 s[14:15], vcc
	s_cbranch_execz .LBB3640_74
; %bb.56:
	v_mov_b32_e32 v17, 0
	ds_read_u16 v35, v17
	s_mov_b32 s9, 0
	v_cmp_eq_u32_e64 s[0:1], 0, v15
	s_and_saveexec_b64 s[2:3], s[0:1]
	s_cbranch_execz .LBB3640_58
; %bb.57:
	s_add_i32 s8, s6, 64
	s_lshl_b64 s[8:9], s[8:9], 2
	s_add_u32 s8, s18, s8
	s_waitcnt lgkmcnt(0)
	v_or_b32_e32 v14, 0x10000, v35
	s_addc_u32 s9, s19, s9
	global_store_dword v17, v14, s[8:9]
.LBB3640_58:
	s_or_b64 exec, exec, s[2:3]
	v_xad_u32 v14, v15, -1, s6
	v_add_u32_e32 v16, 64, v14
	v_lshlrev_b64 v[18:19], 2, v[16:17]
	v_mov_b32_e32 v16, s19
	v_add_co_u32_e32 v18, vcc, s18, v18
	v_addc_co_u32_e32 v19, vcc, v16, v19, vcc
	global_load_dword v48, v[18:19], off glc
	s_waitcnt vmcnt(0)
	v_lshrrev_b32_e32 v37, 16, v48
	v_cmp_eq_u16_sdwa s[8:9], v37, v17 src0_sel:BYTE_0 src1_sel:DWORD
	s_and_saveexec_b64 s[2:3], s[8:9]
	s_cbranch_execz .LBB3640_62
; %bb.59:
	s_mov_b64 s[8:9], 0
	v_mov_b32_e32 v16, 0
.LBB3640_60:                            ; =>This Inner Loop Header: Depth=1
	global_load_dword v48, v[18:19], off glc
	s_waitcnt vmcnt(0)
	v_lshrrev_b32_e32 v37, 16, v48
	v_cmp_ne_u16_sdwa s[10:11], v37, v16 src0_sel:BYTE_0 src1_sel:DWORD
	s_or_b64 s[8:9], s[10:11], s[8:9]
	s_andn2_b64 exec, exec, s[8:9]
	s_cbranch_execnz .LBB3640_60
; %bb.61:
	s_or_b64 exec, exec, s[8:9]
.LBB3640_62:
	s_or_b64 exec, exec, s[2:3]
	v_and_b32_e32 v38, 63, v15
	v_cmp_ne_u32_e32 vcc, 63, v38
	v_mov_b32_e32 v36, 2
	v_addc_co_u32_e32 v39, vcc, 0, v15, vcc
	v_cmp_eq_u16_sdwa s[2:3], v37, v36 src0_sel:BYTE_0 src1_sel:DWORD
	v_lshlrev_b64 v[16:17], v15, -1
	v_and_b32_e32 v40, 0xffff, v48
	v_lshlrev_b32_e32 v39, 2, v39
	v_and_b32_e32 v18, s3, v17
	ds_bpermute_b32 v41, v39, v40
	v_or_b32_e32 v18, 0x80000000, v18
	v_and_b32_e32 v19, s2, v16
	v_ffbl_b32_e32 v18, v18
	v_add_u32_e32 v18, 32, v18
	v_ffbl_b32_e32 v19, v19
	v_min_u32_e32 v18, v19, v18
	s_waitcnt lgkmcnt(0)
	v_max_u16_e32 v19, v41, v48
	v_cmp_lt_u32_e32 vcc, v38, v18
	v_cmp_gt_u32_e64 s[2:3], 62, v38
	v_cndmask_b32_e32 v42, v40, v19, vcc
	v_cndmask_b32_e64 v40, 0, 1, s[2:3]
	v_lshlrev_b32_e32 v40, 1, v40
	v_add_lshl_u32 v40, v40, v15, 2
	ds_bpermute_b32 v43, v40, v42
	v_cndmask_b32_e32 v19, v48, v19, vcc
	v_add_u32_e32 v41, 2, v38
	v_cmp_gt_u32_e64 s[2:3], v41, v18
	v_cmp_gt_u32_e64 s[8:9], 60, v38
	s_waitcnt lgkmcnt(0)
	v_max_u16_e32 v43, v43, v19
	v_cndmask_b32_e64 v44, v43, v42, s[2:3]
	v_cndmask_b32_e64 v42, 0, 1, s[8:9]
	v_lshlrev_b32_e32 v42, 2, v42
	v_add_lshl_u32 v42, v42, v15, 2
	ds_bpermute_b32 v45, v42, v44
	v_cndmask_b32_e64 v19, v43, v19, s[2:3]
	v_add_u32_e32 v43, 4, v38
	v_cmp_gt_u32_e64 s[2:3], v43, v18
	v_cmp_gt_u32_e64 s[8:9], 56, v38
	s_waitcnt lgkmcnt(0)
	v_max_u16_e32 v51, v45, v19
	v_cndmask_b32_e64 v46, v51, v44, s[2:3]
	v_cndmask_b32_e64 v44, 0, 1, s[8:9]
	v_lshlrev_b32_e32 v44, 3, v44
	v_add_lshl_u32 v44, v44, v15, 2
	ds_bpermute_b32 v47, v44, v46
	v_cndmask_b32_e64 v49, v51, v19, s[2:3]
	v_add_u32_e32 v45, 8, v38
	v_cmp_gt_u32_e64 s[8:9], v45, v18
	v_cmp_gt_u32_e64 s[10:11], 48, v38
	s_waitcnt lgkmcnt(0)
	v_max_u16_e32 v52, v47, v49
	v_cndmask_b32_e64 v50, v52, v46, s[8:9]
	v_cndmask_b32_e64 v46, 0, 1, s[10:11]
	v_lshlrev_b32_e32 v46, 4, v46
	v_add_lshl_u32 v46, v46, v15, 2
	ds_bpermute_b32 v53, v46, v50
	v_cmp_gt_u32_e64 s[12:13], 32, v38
	v_cndmask_b32_e64 v54, v52, v49, s[8:9]
	v_add_u32_e32 v47, 16, v38
	v_cndmask_b32_e64 v49, 0, 1, s[12:13]
	s_waitcnt lgkmcnt(0)
	v_max_u16_e32 v53, v53, v54
	v_cmp_gt_u32_e64 s[10:11], v47, v18
	v_lshlrev_b32_e32 v49, 5, v49
	v_cndmask_b32_e64 v50, v53, v50, s[10:11]
	v_add_lshl_u32 v49, v49, v15, 2
	ds_bpermute_b32 v15, v49, v50
	v_cndmask_b32_e32 v19, v48, v19, vcc
	v_cndmask_b32_e64 v19, v51, v19, s[2:3]
	v_add_u32_e32 v50, 32, v38
	v_cndmask_b32_e64 v54, v53, v54, s[10:11]
	v_cndmask_b32_e64 v19, v52, v19, s[8:9]
	s_waitcnt lgkmcnt(0)
	v_max_u16_e32 v15, v15, v54
	v_cndmask_b32_e64 v19, v53, v19, s[10:11]
	v_cmp_gt_u32_e32 vcc, v50, v18
	v_cndmask_b32_e32 v18, v15, v19, vcc
	v_mov_b32_e32 v15, 0
	s_branch .LBB3640_64
.LBB3640_63:                            ;   in Loop: Header=BB3640_64 Depth=1
	s_or_b64 exec, exec, s[2:3]
	v_cmp_eq_u16_sdwa s[2:3], v37, v36 src0_sel:BYTE_0 src1_sel:DWORD
	v_and_b32_e32 v52, 0xffff, v51
	v_and_b32_e32 v18, s3, v17
	ds_bpermute_b32 v53, v39, v52
	v_or_b32_e32 v18, 0x80000000, v18
	v_and_b32_e32 v19, s2, v16
	v_ffbl_b32_e32 v18, v18
	v_add_u32_e32 v18, 32, v18
	v_ffbl_b32_e32 v19, v19
	v_min_u32_e32 v18, v19, v18
	s_waitcnt lgkmcnt(0)
	v_max_u16_e32 v19, v53, v51
	v_cmp_lt_u32_e32 vcc, v38, v18
	v_cndmask_b32_e32 v52, v52, v19, vcc
	ds_bpermute_b32 v53, v40, v52
	v_cndmask_b32_e32 v19, v51, v19, vcc
	v_cmp_gt_u32_e64 s[2:3], v41, v18
	v_cmp_gt_u32_e64 s[8:9], v45, v18
	v_subrev_u32_e32 v14, 64, v14
	s_waitcnt lgkmcnt(0)
	v_max_u16_e32 v53, v53, v19
	v_cndmask_b32_e64 v52, v53, v52, s[2:3]
	ds_bpermute_b32 v54, v42, v52
	v_cndmask_b32_e64 v19, v53, v19, s[2:3]
	v_cmp_gt_u32_e64 s[2:3], v43, v18
	s_waitcnt lgkmcnt(0)
	v_max_u16_e32 v53, v54, v19
	v_cndmask_b32_e64 v52, v53, v52, s[2:3]
	ds_bpermute_b32 v54, v44, v52
	v_cndmask_b32_e64 v55, v53, v19, s[2:3]
	v_cndmask_b32_e32 v19, v51, v19, vcc
	v_cmp_gt_u32_e32 vcc, v47, v18
	v_cndmask_b32_e64 v19, v53, v19, s[2:3]
	s_waitcnt lgkmcnt(0)
	v_max_u16_e32 v54, v54, v55
	v_cndmask_b32_e64 v52, v54, v52, s[8:9]
	ds_bpermute_b32 v56, v46, v52
	v_cndmask_b32_e64 v51, v54, v55, s[8:9]
	v_cndmask_b32_e64 v19, v54, v19, s[8:9]
	s_waitcnt lgkmcnt(0)
	v_max_u16_e32 v55, v56, v51
	v_cndmask_b32_e32 v52, v55, v52, vcc
	ds_bpermute_b32 v52, v49, v52
	v_cndmask_b32_e32 v51, v55, v51, vcc
	v_cndmask_b32_e32 v19, v55, v19, vcc
	v_cmp_gt_u32_e32 vcc, v50, v18
	s_waitcnt lgkmcnt(0)
	v_max_u16_e32 v51, v52, v51
	v_cndmask_b32_e32 v18, v51, v19, vcc
	v_max_u16_e32 v18, v18, v48
.LBB3640_64:                            ; =>This Loop Header: Depth=1
                                        ;     Child Loop BB3640_67 Depth 2
	v_cmp_ne_u16_sdwa s[2:3], v37, v36 src0_sel:BYTE_0 src1_sel:DWORD
	v_cndmask_b32_e64 v19, 0, 1, s[2:3]
	;;#ASMSTART
	;;#ASMEND
	v_cmp_ne_u32_e32 vcc, 0, v19
	s_cmp_lg_u64 vcc, exec
	v_mov_b32_e32 v48, v18
	s_cbranch_scc1 .LBB3640_69
; %bb.65:                               ;   in Loop: Header=BB3640_64 Depth=1
	v_lshlrev_b64 v[18:19], 2, v[14:15]
	v_mov_b32_e32 v37, s19
	v_add_co_u32_e32 v18, vcc, s18, v18
	v_addc_co_u32_e32 v19, vcc, v37, v19, vcc
	global_load_dword v51, v[18:19], off glc
	s_waitcnt vmcnt(0)
	v_lshrrev_b32_e32 v37, 16, v51
	v_cmp_eq_u16_sdwa s[8:9], v37, v15 src0_sel:BYTE_0 src1_sel:DWORD
	s_and_saveexec_b64 s[2:3], s[8:9]
	s_cbranch_execz .LBB3640_63
; %bb.66:                               ;   in Loop: Header=BB3640_64 Depth=1
	s_mov_b64 s[8:9], 0
.LBB3640_67:                            ;   Parent Loop BB3640_64 Depth=1
                                        ; =>  This Inner Loop Header: Depth=2
	global_load_dword v51, v[18:19], off glc
	s_waitcnt vmcnt(0)
	v_lshrrev_b32_e32 v37, 16, v51
	v_cmp_ne_u16_sdwa s[10:11], v37, v15 src0_sel:BYTE_0 src1_sel:DWORD
	s_or_b64 s[8:9], s[10:11], s[8:9]
	s_andn2_b64 exec, exec, s[8:9]
	s_cbranch_execnz .LBB3640_67
; %bb.68:                               ;   in Loop: Header=BB3640_64 Depth=1
	s_or_b64 exec, exec, s[8:9]
	s_branch .LBB3640_63
.LBB3640_69:                            ;   in Loop: Header=BB3640_64 Depth=1
                                        ; implicit-def: $vgpr18
                                        ; implicit-def: $vgpr37
	s_cbranch_execz .LBB3640_64
; %bb.70:
	s_and_saveexec_b64 s[2:3], s[0:1]
	s_cbranch_execz .LBB3640_72
; %bb.71:
	s_add_i32 s0, s6, 64
	s_mov_b32 s1, 0
	s_lshl_b64 s[0:1], s[0:1], 2
	v_max_u16_e32 v14, v48, v35
	s_add_u32 s0, s18, s0
	v_or_b32_e32 v14, 0x20000, v14
	s_addc_u32 s1, s19, s1
	v_mov_b32_e32 v15, 0
	global_store_dword v15, v14, s[0:1]
.LBB3640_72:
	s_or_b64 exec, exec, s[2:3]
	v_cmp_eq_u32_e32 vcc, 0, v0
	s_and_b64 exec, exec, vcc
	s_cbranch_execz .LBB3640_74
; %bb.73:
	v_mov_b32_e32 v14, 0
	ds_write_b16 v14, v48
.LBB3640_74:
	s_or_b64 exec, exec, s[14:15]
	v_mov_b32_e32 v14, 0
	s_waitcnt lgkmcnt(0)
	; wave barrier
	s_waitcnt lgkmcnt(0)
	ds_read_u16 v14, v14
	v_cmp_eq_u32_e32 vcc, 0, v0
	s_waitcnt lgkmcnt(0)
	v_max_u16_e32 v15, v14, v34
	v_cndmask_b32_e32 v15, v15, v14, vcc
	v_max_u16_e32 v14, v15, v10
	v_max_u16_sdwa v16, v14, v10 dst_sel:DWORD dst_unused:UNUSED_PAD src0_sel:DWORD src1_sel:WORD_1
	v_max_u16_e32 v17, v16, v11
	v_max_u16_e32 v18, v17, v30
	;; [unrolled: 1-line block ×21, first 2 shown]
	s_load_dwordx8 s[8:15], s[4:5], 0x40
	s_branch .LBB3640_83
.LBB3640_75:
                                        ; implicit-def: $vgpr15
                                        ; implicit-def: $vgpr14
                                        ; implicit-def: $vgpr16
                                        ; implicit-def: $vgpr17
                                        ; implicit-def: $vgpr18
                                        ; implicit-def: $vgpr34
                                        ; implicit-def: $vgpr36
                                        ; implicit-def: $vgpr38
                                        ; implicit-def: $vgpr19
                                        ; implicit-def: $vgpr35
                                        ; implicit-def: $vgpr37
                                        ; implicit-def: $vgpr39
                                        ; implicit-def: $vgpr40
                                        ; implicit-def: $vgpr42
                                        ; implicit-def: $vgpr44
                                        ; implicit-def: $vgpr46
                                        ; implicit-def: $vgpr41
                                        ; implicit-def: $vgpr43
                                        ; implicit-def: $vgpr45
                                        ; implicit-def: $vgpr47
                                        ; implicit-def: $vgpr48
                                        ; implicit-def: $vgpr49
                                        ; implicit-def: $vgpr50
                                        ; implicit-def: $vgpr51
	s_load_dwordx8 s[8:15], s[4:5], 0x40
	s_cbranch_execz .LBB3640_83
; %bb.76:
	s_load_dword s0, s[4:5], 0x28
	s_waitcnt lgkmcnt(0)
	s_cmp_eq_u64 s[12:13], 0
	v_mov_b32_e32 v51, s0
	s_cbranch_scc1 .LBB3640_78
; %bb.77:
	v_mov_b32_e32 v14, 0
	global_load_ushort v16, v14, s[8:9]
	v_mov_b32_e32 v15, s22
	v_add_co_u32_e64 v14, vcc, -2, s21
	v_addc_co_u32_e32 v15, vcc, -1, v15, vcc
	flat_load_ushort v14, v[14:15]
	s_waitcnt vmcnt(0) lgkmcnt(0)
	v_max_u16_e32 v51, v16, v14
.LBB3640_78:
	v_max3_u16 v14, v33, v12, v29
	v_max3_u16 v14, v14, v13, v28
	;; [unrolled: 1-line block ×10, first 2 shown]
	v_mbcnt_hi_u32_b32 v14, -1, v32
	v_and_b32_e32 v17, 0xffff, v15
	v_and_b32_e32 v16, 15, v14
	v_cmp_eq_u32_e32 vcc, 0, v16
	v_mov_b32_dpp v17, v17 row_shr:1 row_mask:0xf bank_mask:0xf
	v_max_u16_e32 v17, v17, v15
	v_cndmask_b32_e32 v15, v17, v15, vcc
	v_and_b32_e32 v17, 0xffff, v15
	v_cmp_lt_u32_e32 vcc, 1, v16
	s_nop 0
	v_mov_b32_dpp v17, v17 row_shr:2 row_mask:0xf bank_mask:0xf
	v_max_u16_e32 v17, v17, v15
	v_cndmask_b32_e32 v15, v15, v17, vcc
	v_and_b32_e32 v17, 0xffff, v15
	v_cmp_lt_u32_e32 vcc, 3, v16
	s_nop 0
	;; [unrolled: 6-line block ×3, first 2 shown]
	v_mov_b32_dpp v17, v17 row_shr:8 row_mask:0xf bank_mask:0xf
	v_max_u16_e32 v17, v17, v15
	v_cndmask_b32_e32 v15, v15, v17, vcc
	v_and_b32_e32 v16, 0xffff, v15
	v_and_b32_e32 v17, 16, v14
	v_cmp_eq_u32_e32 vcc, 0, v17
	v_mov_b32_dpp v16, v16 row_bcast:15 row_mask:0xf bank_mask:0xf
	v_max_u16_e32 v16, v16, v15
	v_cndmask_b32_e32 v15, v16, v15, vcc
	v_and_b32_e32 v16, 0xffff, v15
	v_cmp_lt_u32_e32 vcc, 31, v14
	s_nop 0
	v_mov_b32_dpp v16, v16 row_bcast:31 row_mask:0xf bank_mask:0xf
	v_max_u16_e32 v16, v16, v15
	v_cndmask_b32_e32 v15, v15, v16, vcc
	v_cmp_eq_u32_e32 vcc, 63, v0
	s_and_saveexec_b64 s[0:1], vcc
	s_cbranch_execz .LBB3640_80
; %bb.79:
	v_mov_b32_e32 v16, 0
	ds_write_b16 v16, v15
.LBB3640_80:
	s_or_b64 exec, exec, s[0:1]
	v_add_u32_e32 v16, -1, v14
	v_and_b32_e32 v17, 64, v14
	v_cmp_lt_i32_e32 vcc, v16, v17
	v_cndmask_b32_e32 v16, v16, v14, vcc
	v_max_u16_e32 v15, v51, v15
	v_lshlrev_b32_e32 v16, 2, v16
	ds_bpermute_b32 v15, v16, v15
	v_cmp_eq_u32_e32 vcc, 0, v14
	v_cmp_eq_u32_e64 s[0:1], 0, v0
	s_or_b64 vcc, s[0:1], vcc
	s_waitcnt lgkmcnt(0)
	v_cndmask_b32_e32 v15, v15, v51, vcc
	v_max_u16_e32 v14, v15, v10
	v_max_u16_sdwa v16, v14, v10 dst_sel:DWORD dst_unused:UNUSED_PAD src0_sel:DWORD src1_sel:WORD_1
	v_max_u16_e32 v17, v16, v11
	v_max_u16_e32 v18, v17, v30
	;; [unrolled: 1-line block ×20, first 2 shown]
	; wave barrier
	s_and_saveexec_b64 s[2:3], s[0:1]
	s_cbranch_execz .LBB3640_82
; %bb.81:
	v_mov_b32_e32 v1, 0
	ds_read_u16 v2, v1
	v_mov_b32_e32 v15, v51
	s_waitcnt lgkmcnt(0)
	v_max_u16_e32 v2, v51, v2
	v_or_b32_e32 v2, 0x20000, v2
	global_store_dword v1, v2, s[18:19] offset:256
.LBB3640_82:
	s_or_b64 exec, exec, s[2:3]
	v_max_u16_e32 v51, v50, v5
.LBB3640_83:
	s_mov_b32 s0, 0x5040100
	v_perm_b32 v5, v38, v36, s0
	v_perm_b32 v4, v34, v18, s0
	;; [unrolled: 1-line block ×4, first 2 shown]
	s_waitcnt lgkmcnt(0)
	; wave barrier
	s_waitcnt lgkmcnt(0)
	ds_write_b128 v21, v[2:5]
	v_perm_b32 v5, v46, v44, s0
	v_perm_b32 v4, v42, v40, s0
	;; [unrolled: 1-line block ×4, first 2 shown]
	ds_write_b128 v21, v[2:5] offset:16
	v_perm_b32 v5, v51, v50, s0
	v_perm_b32 v4, v49, v48, s0
	;; [unrolled: 1-line block ×4, first 2 shown]
	s_mov_b64 s[0:1], -1
	s_and_b64 vcc, exec, s[16:17]
	ds_write_b128 v21, v[2:5] offset:32
	s_waitcnt lgkmcnt(0)
	s_cbranch_vccz .LBB3640_85
; %bb.84:
	; wave barrier
	s_mov_b64 s[0:1], 0
.LBB3640_85:
	s_andn2_b64 vcc, exec, s[0:1]
	s_cbranch_vccnz .LBB3640_94
; %bb.86:
	v_cmp_lt_u64_e64 s[0:1], s[14:15], 2
	s_and_b64 vcc, exec, s[0:1]
	; wave barrier
	s_cbranch_vccnz .LBB3640_94
; %bb.87:
	s_add_u32 s0, s7, -1
	s_addc_u32 s1, s20, -1
	s_add_u32 s2, 0, 0xaaaa0000
	s_addc_u32 s3, 0, 42
	s_add_i32 s3, s3, 0xaaaaa80
	s_mul_hi_u32 s7, s2, 0xffffffe8
	s_sub_i32 s7, s7, s2
	s_mul_i32 s8, s3, 0xffffffe8
	s_mul_i32 s4, s2, 0xffffffe8
	s_add_i32 s7, s7, s8
	s_mul_hi_u32 s5, s3, s4
	s_mul_i32 s6, s3, s4
	s_mul_i32 s9, s2, s7
	s_mul_hi_u32 s4, s2, s4
	s_mul_hi_u32 s8, s2, s7
	s_add_u32 s4, s4, s9
	s_addc_u32 s8, 0, s8
	s_add_u32 s4, s4, s6
	s_mul_hi_u32 s9, s3, s7
	s_addc_u32 s4, s8, s5
	s_addc_u32 s5, s9, 0
	s_mul_i32 s6, s3, s7
	s_add_u32 s4, s4, s6
	v_mov_b32_e32 v2, s4
	s_addc_u32 s5, 0, s5
	v_add_co_u32_e32 v2, vcc, s2, v2
	s_cmp_lg_u64 vcc, 0
	s_addc_u32 s2, s3, s5
	v_readfirstlane_b32 s5, v2
	s_mul_i32 s4, s0, s2
	s_mul_hi_u32 s6, s0, s5
	s_mul_hi_u32 s3, s0, s2
	s_add_u32 s4, s6, s4
	s_addc_u32 s3, 0, s3
	s_mul_hi_u32 s7, s1, s5
	s_mul_i32 s5, s1, s5
	s_add_u32 s4, s4, s5
	s_mul_hi_u32 s6, s1, s2
	s_addc_u32 s3, s3, s7
	s_addc_u32 s4, s6, 0
	s_mul_i32 s2, s1, s2
	s_add_u32 s2, s3, s2
	s_addc_u32 s3, 0, s4
	s_add_u32 s4, s2, 1
	s_addc_u32 s5, s3, 0
	s_add_u32 s6, s2, 2
	s_mul_i32 s8, s3, 24
	s_mul_hi_u32 s9, s2, 24
	s_addc_u32 s7, s3, 0
	s_add_i32 s9, s9, s8
	s_mul_i32 s8, s2, 24
	v_mov_b32_e32 v2, s8
	v_sub_co_u32_e32 v2, vcc, s0, v2
	s_cmp_lg_u64 vcc, 0
	s_subb_u32 s8, s1, s9
	v_subrev_co_u32_e32 v3, vcc, 24, v2
	s_cmp_lg_u64 vcc, 0
	s_subb_u32 s9, s8, 0
	v_readfirstlane_b32 s12, v3
	s_cmp_gt_u32 s12, 23
	s_cselect_b32 s12, -1, 0
	s_cmp_eq_u32 s9, 0
	s_cselect_b32 s9, s12, -1
	s_cmp_lg_u32 s9, 0
	s_cselect_b32 s4, s6, s4
	v_readfirstlane_b32 s6, v2
	s_cselect_b32 s5, s7, s5
	s_cmp_gt_u32 s6, 23
	s_cselect_b32 s6, -1, 0
	s_cmp_eq_u32 s8, 0
	s_cselect_b32 s6, s6, -1
	s_cmp_lg_u32 s6, 0
	v_mov_b32_e32 v1, 0
	s_cselect_b32 s3, s5, s3
	s_cselect_b32 s2, s4, s2
	v_cmp_eq_u64_e32 vcc, s[2:3], v[0:1]
	s_and_saveexec_b64 s[2:3], vcc
	s_cbranch_execz .LBB3640_94
; %bb.88:
	s_movk_i32 s2, 0xffd2
	v_mad_i32_i24 v2, v0, s2, v21
	v_mul_hi_u32_u24_e32 v1, 24, v0
	v_mov_b32_e32 v3, s1
	v_sub_co_u32_e32 v0, vcc, s0, v20
	v_subb_co_u32_e32 v1, vcc, v3, v1, vcc
	v_cmp_lt_i64_e32 vcc, 11, v[0:1]
	s_mov_b64 s[0:1], 0
	s_mov_b64 s[8:9], 0
	;; [unrolled: 1-line block ×4, first 2 shown]
                                        ; implicit-def: $vgpr3
                                        ; implicit-def: $vgpr4
                                        ; implicit-def: $vgpr5
	s_and_saveexec_b64 s[2:3], vcc
	s_xor_b64 s[2:3], exec, s[2:3]
	s_cbranch_execnz .LBB3640_95
; %bb.89:
	s_andn2_saveexec_b64 s[2:3], s[2:3]
	s_cbranch_execnz .LBB3640_140
.LBB3640_90:
	s_or_b64 exec, exec, s[2:3]
	s_and_saveexec_b64 s[2:3], s[8:9]
	s_cbranch_execnz .LBB3640_157
.LBB3640_91:
	s_or_b64 exec, exec, s[2:3]
	s_and_saveexec_b64 s[2:3], s[6:7]
	s_cbranch_execnz .LBB3640_158
.LBB3640_92:
	s_or_b64 exec, exec, s[2:3]
	s_and_saveexec_b64 s[2:3], s[4:5]
	s_xor_b64 s[2:3], exec, s[2:3]
	s_cbranch_execnz .LBB3640_159
.LBB3640_93:
	s_or_b64 exec, exec, s[2:3]
	s_and_b64 exec, exec, s[0:1]
	s_cbranch_execnz .LBB3640_160
.LBB3640_94:
	s_endpgm
.LBB3640_95:
	v_cmp_lt_i64_e32 vcc, 17, v[0:1]
                                        ; implicit-def: $vgpr3
                                        ; implicit-def: $vgpr4
                                        ; implicit-def: $vgpr5
	s_and_saveexec_b64 s[12:13], vcc
	s_xor_b64 s[12:13], exec, s[12:13]
	s_cbranch_execz .LBB3640_117
; %bb.96:
	v_cmp_lt_i64_e32 vcc, 20, v[0:1]
                                        ; implicit-def: $vgpr3
                                        ; implicit-def: $vgpr4
	s_and_saveexec_b64 s[14:15], vcc
	s_xor_b64 s[14:15], exec, s[14:15]
	s_cbranch_execz .LBB3640_106
; %bb.97:
	v_cmp_lt_i64_e32 vcc, 21, v[0:1]
	s_mov_b64 s[16:17], 0
                                        ; implicit-def: $vgpr3
	s_and_saveexec_b64 s[4:5], vcc
	s_xor_b64 s[4:5], exec, s[4:5]
	s_cbranch_execz .LBB3640_103
; %bb.98:
	v_cmp_lt_i64_e32 vcc, 22, v[0:1]
	s_and_saveexec_b64 s[16:17], vcc
	s_xor_b64 s[16:17], exec, s[16:17]
	s_cbranch_execz .LBB3640_100
; %bb.99:
	ds_read_u16 v3, v2 offset:2944
	v_mov_b32_e32 v4, 0
	s_waitcnt lgkmcnt(0)
	global_store_short v4, v3, s[10:11]
.LBB3640_100:
	s_or_saveexec_b64 s[16:17], s[16:17]
	s_mov_b64 s[18:19], 0
                                        ; implicit-def: $vgpr3
	s_xor_b64 exec, exec, s[16:17]
	s_cbranch_execz .LBB3640_102
; %bb.101:
	ds_read_u16 v3, v2 offset:2816
	s_mov_b64 s[18:19], exec
.LBB3640_102:
	s_or_b64 exec, exec, s[16:17]
	s_and_b64 s[16:17], s[18:19], exec
.LBB3640_103:
	s_or_saveexec_b64 s[4:5], s[4:5]
                                        ; implicit-def: $vgpr4
	s_xor_b64 exec, exec, s[4:5]
	s_cbranch_execz .LBB3640_105
; %bb.104:
	ds_read_u16 v4, v2 offset:2688
	s_mov_b64 s[6:7], exec
                                        ; implicit-def: $vgpr3
.LBB3640_105:
	s_or_b64 exec, exec, s[4:5]
	s_and_b64 s[4:5], s[16:17], exec
	s_and_b64 s[6:7], s[6:7], exec
.LBB3640_106:
	s_or_saveexec_b64 s[14:15], s[14:15]
                                        ; implicit-def: $vgpr5
	s_xor_b64 exec, exec, s[14:15]
	s_cbranch_execz .LBB3640_116
; %bb.107:
	v_cmp_lt_i64_e32 vcc, 18, v[0:1]
	s_mov_b64 s[16:17], 0
                                        ; implicit-def: $vgpr5
	s_and_saveexec_b64 s[8:9], vcc
	s_xor_b64 s[8:9], exec, s[8:9]
	s_cbranch_execz .LBB3640_113
; %bb.108:
	v_cmp_lt_i64_e32 vcc, 19, v[0:1]
                                        ; implicit-def: $vgpr5
	s_and_saveexec_b64 s[18:19], vcc
	s_xor_b64 s[18:19], exec, s[18:19]
	s_cbranch_execz .LBB3640_110
; %bb.109:
	ds_read_u16 v5, v2 offset:2560
	s_mov_b64 s[16:17], exec
.LBB3640_110:
	s_andn2_saveexec_b64 s[18:19], s[18:19]
	s_cbranch_execz .LBB3640_112
; %bb.111:
	s_waitcnt lgkmcnt(0)
	ds_read_u16 v3, v2 offset:2432
	v_mov_b32_e32 v4, 0
                                        ; implicit-def: $vgpr5
	s_waitcnt lgkmcnt(0)
	global_store_short v4, v3, s[10:11]
.LBB3640_112:
	s_or_b64 exec, exec, s[18:19]
	s_and_b64 s[16:17], s[16:17], exec
.LBB3640_113:
	s_andn2_saveexec_b64 s[8:9], s[8:9]
	s_cbranch_execz .LBB3640_115
; %bb.114:
	s_waitcnt lgkmcnt(0)
	ds_read_u16 v3, v2 offset:2304
	v_mov_b32_e32 v4, 0
                                        ; implicit-def: $vgpr5
	s_waitcnt lgkmcnt(0)
	global_store_short v4, v3, s[10:11]
.LBB3640_115:
	s_or_b64 exec, exec, s[8:9]
	s_and_b64 s[8:9], s[16:17], exec
                                        ; implicit-def: $vgpr3
                                        ; implicit-def: $vgpr4
.LBB3640_116:
	s_or_b64 exec, exec, s[14:15]
	s_and_b64 s[4:5], s[4:5], exec
	s_and_b64 s[6:7], s[6:7], exec
	;; [unrolled: 1-line block ×3, first 2 shown]
.LBB3640_117:
	s_andn2_saveexec_b64 s[12:13], s[12:13]
	s_cbranch_execz .LBB3640_139
; %bb.118:
	v_cmp_lt_i64_e32 vcc, 14, v[0:1]
	s_mov_b64 s[14:15], s[4:5]
                                        ; implicit-def: $vgpr3
	s_and_saveexec_b64 s[16:17], vcc
	s_xor_b64 s[16:17], exec, s[16:17]
	s_cbranch_execz .LBB3640_128
; %bb.119:
	v_cmp_lt_i64_e32 vcc, 15, v[0:1]
	s_and_saveexec_b64 s[14:15], vcc
	s_xor_b64 s[14:15], exec, s[14:15]
	s_cbranch_execz .LBB3640_125
; %bb.120:
	v_cmp_lt_i64_e32 vcc, 16, v[0:1]
	s_and_saveexec_b64 s[18:19], vcc
	s_xor_b64 s[18:19], exec, s[18:19]
	s_cbranch_execz .LBB3640_122
; %bb.121:
	s_waitcnt lgkmcnt(0)
	ds_read_u16 v3, v2 offset:2176
	v_mov_b32_e32 v4, 0
	s_waitcnt lgkmcnt(0)
	global_store_short v4, v3, s[10:11]
.LBB3640_122:
	s_andn2_saveexec_b64 s[18:19], s[18:19]
	s_cbranch_execz .LBB3640_124
; %bb.123:
	s_waitcnt lgkmcnt(0)
	ds_read_u16 v3, v2 offset:2048
	v_mov_b32_e32 v4, 0
	s_waitcnt lgkmcnt(0)
	global_store_short v4, v3, s[10:11]
.LBB3640_124:
	s_or_b64 exec, exec, s[18:19]
.LBB3640_125:
	s_or_saveexec_b64 s[14:15], s[14:15]
	s_mov_b64 s[18:19], s[4:5]
                                        ; implicit-def: $vgpr3
	s_xor_b64 exec, exec, s[14:15]
	s_cbranch_execz .LBB3640_127
; %bb.126:
	s_waitcnt lgkmcnt(0)
	ds_read_u16 v3, v2 offset:1920
	s_or_b64 s[18:19], s[4:5], exec
.LBB3640_127:
	s_or_b64 exec, exec, s[14:15]
	s_andn2_b64 s[14:15], s[4:5], exec
	s_and_b64 s[18:19], s[18:19], exec
	s_or_b64 s[14:15], s[14:15], s[18:19]
.LBB3640_128:
	s_or_saveexec_b64 s[16:17], s[16:17]
	s_mov_b64 s[18:19], s[6:7]
                                        ; implicit-def: $vgpr4
	s_xor_b64 exec, exec, s[16:17]
	s_cbranch_execz .LBB3640_138
; %bb.129:
	v_cmp_lt_i64_e32 vcc, 12, v[0:1]
	s_mov_b64 s[20:21], s[6:7]
	s_mov_b64 s[22:23], s[14:15]
                                        ; implicit-def: $vgpr3
                                        ; implicit-def: $vgpr4
	s_and_saveexec_b64 s[18:19], vcc
	s_xor_b64 s[18:19], exec, s[18:19]
	s_cbranch_execz .LBB3640_135
; %bb.130:
	v_cmp_lt_i64_e32 vcc, 13, v[0:1]
	s_mov_b64 s[20:21], s[14:15]
                                        ; implicit-def: $vgpr3
	s_and_saveexec_b64 s[22:23], vcc
	s_xor_b64 s[22:23], exec, s[22:23]
	s_cbranch_execz .LBB3640_132
; %bb.131:
	s_waitcnt lgkmcnt(0)
	ds_read_u16 v3, v2 offset:1792
	s_or_b64 s[20:21], s[14:15], exec
.LBB3640_132:
	s_or_saveexec_b64 s[22:23], s[22:23]
	s_mov_b64 s[24:25], s[6:7]
                                        ; implicit-def: $vgpr4
	s_xor_b64 exec, exec, s[22:23]
	s_cbranch_execz .LBB3640_134
; %bb.133:
	s_waitcnt lgkmcnt(0)
	ds_read_u16 v4, v2 offset:1664
	s_or_b64 s[24:25], s[6:7], exec
                                        ; implicit-def: $vgpr3
.LBB3640_134:
	s_or_b64 exec, exec, s[22:23]
	s_andn2_b64 s[22:23], s[14:15], exec
	s_and_b64 s[20:21], s[20:21], exec
	s_or_b64 s[22:23], s[22:23], s[20:21]
	s_andn2_b64 s[20:21], s[6:7], exec
	s_and_b64 s[24:25], s[24:25], exec
	s_or_b64 s[20:21], s[20:21], s[24:25]
.LBB3640_135:
	s_andn2_saveexec_b64 s[18:19], s[18:19]
	s_cbranch_execz .LBB3640_137
; %bb.136:
	s_waitcnt lgkmcnt(0)
	ds_read_u16 v4, v2 offset:1536
	s_or_b64 s[20:21], s[20:21], exec
                                        ; implicit-def: $vgpr3
.LBB3640_137:
	s_or_b64 exec, exec, s[18:19]
	s_andn2_b64 s[14:15], s[14:15], exec
	s_and_b64 s[18:19], s[22:23], exec
	s_or_b64 s[14:15], s[14:15], s[18:19]
	s_andn2_b64 s[18:19], s[6:7], exec
	s_and_b64 s[20:21], s[20:21], exec
	s_or_b64 s[18:19], s[18:19], s[20:21]
.LBB3640_138:
	s_or_b64 exec, exec, s[16:17]
	s_andn2_b64 s[4:5], s[4:5], exec
	s_and_b64 s[14:15], s[14:15], exec
	s_or_b64 s[4:5], s[4:5], s[14:15]
	s_andn2_b64 s[6:7], s[6:7], exec
	s_and_b64 s[14:15], s[18:19], exec
	s_or_b64 s[6:7], s[6:7], s[14:15]
                                        ; implicit-def: $vgpr5
.LBB3640_139:
	s_or_b64 exec, exec, s[12:13]
	s_and_b64 s[4:5], s[4:5], exec
	s_and_b64 s[6:7], s[6:7], exec
	;; [unrolled: 1-line block ×3, first 2 shown]
	s_andn2_saveexec_b64 s[2:3], s[2:3]
	s_cbranch_execz .LBB3640_90
.LBB3640_140:
	v_cmp_lt_i64_e32 vcc, 5, v[0:1]
	s_mov_b64 s[14:15], -1
	s_mov_b64 s[12:13], s[8:9]
	s_mov_b64 s[16:17], s[6:7]
	;; [unrolled: 1-line block ×3, first 2 shown]
                                        ; implicit-def: $vgpr3
                                        ; implicit-def: $vgpr4
                                        ; implicit-def: $vgpr5
	s_and_saveexec_b64 s[0:1], vcc
	s_cbranch_execz .LBB3640_156
; %bb.141:
	v_cmp_lt_i64_e32 vcc, 8, v[0:1]
	s_mov_b64 s[12:13], s[8:9]
                                        ; implicit-def: $vgpr5
	s_and_saveexec_b64 s[14:15], vcc
	s_xor_b64 s[14:15], exec, s[14:15]
	s_cbranch_execz .LBB3640_151
; %bb.142:
	v_cmp_lt_i64_e32 vcc, 9, v[0:1]
                                        ; implicit-def: $vgpr5
	s_and_saveexec_b64 s[12:13], vcc
	s_xor_b64 s[12:13], exec, s[12:13]
	s_cbranch_execz .LBB3640_148
; %bb.143:
	v_cmp_lt_i64_e32 vcc, 10, v[0:1]
                                        ; implicit-def: $vgpr5
	s_and_saveexec_b64 s[16:17], vcc
	s_xor_b64 s[16:17], exec, s[16:17]
	s_cbranch_execz .LBB3640_145
; %bb.144:
	s_waitcnt lgkmcnt(0)
	ds_read_u16 v5, v2 offset:1408
.LBB3640_145:
	s_andn2_saveexec_b64 s[16:17], s[16:17]
	s_cbranch_execz .LBB3640_147
; %bb.146:
	s_waitcnt lgkmcnt(0)
	ds_read_u16 v5, v2 offset:1280
.LBB3640_147:
	s_or_b64 exec, exec, s[16:17]
.LBB3640_148:
	s_andn2_saveexec_b64 s[12:13], s[12:13]
	s_cbranch_execz .LBB3640_150
; %bb.149:
	s_waitcnt lgkmcnt(0)
	ds_read_u16 v5, v2 offset:1152
.LBB3640_150:
	s_or_b64 exec, exec, s[12:13]
	s_or_b64 s[12:13], s[8:9], exec
.LBB3640_151:
	s_or_saveexec_b64 s[14:15], s[14:15]
	s_mov_b64 s[16:17], s[6:7]
	s_mov_b64 s[20:21], s[4:5]
                                        ; implicit-def: $vgpr3
                                        ; implicit-def: $vgpr4
	s_xor_b64 exec, exec, s[14:15]
	s_cbranch_execz .LBB3640_155
; %bb.152:
	s_waitcnt lgkmcnt(0)
	ds_read_u16 v3, v2 offset:768
	v_cmp_lt_i64_e32 vcc, 6, v[0:1]
	s_mov_b64 s[20:21], -1
	s_mov_b64 s[18:19], s[12:13]
	s_mov_b64 s[16:17], s[6:7]
                                        ; implicit-def: $vgpr4
                                        ; implicit-def: $vgpr5
	s_and_saveexec_b64 s[22:23], vcc
	s_cbranch_execz .LBB3640_154
; %bb.153:
	ds_read_u16 v4, v2 offset:896
	ds_read_u16 v5, v2 offset:1024
	v_cmp_lt_i64_e32 vcc, 7, v[0:1]
	s_andn2_b64 s[18:19], s[12:13], exec
	s_and_b64 s[24:25], vcc, exec
	s_xor_b64 s[20:21], exec, -1
	s_or_b64 s[16:17], s[6:7], exec
	s_or_b64 s[18:19], s[18:19], s[24:25]
                                        ; implicit-def: $vgpr3
.LBB3640_154:
	s_or_b64 exec, exec, s[22:23]
	s_andn2_b64 s[22:23], s[4:5], exec
	s_and_b64 s[20:21], s[20:21], exec
	s_or_b64 s[20:21], s[22:23], s[20:21]
	s_andn2_b64 s[22:23], s[6:7], exec
	s_and_b64 s[16:17], s[16:17], exec
	s_andn2_b64 s[12:13], s[12:13], exec
	s_and_b64 s[18:19], s[18:19], exec
	s_or_b64 s[16:17], s[22:23], s[16:17]
	s_or_b64 s[12:13], s[12:13], s[18:19]
.LBB3640_155:
	s_or_b64 exec, exec, s[14:15]
	s_andn2_b64 s[18:19], s[4:5], exec
	s_and_b64 s[20:21], s[20:21], exec
	s_or_b64 s[18:19], s[18:19], s[20:21]
	s_andn2_b64 s[20:21], s[6:7], exec
	s_and_b64 s[16:17], s[16:17], exec
	s_or_b64 s[16:17], s[20:21], s[16:17]
	s_andn2_b64 s[20:21], s[8:9], exec
	s_and_b64 s[12:13], s[12:13], exec
	s_xor_b64 s[14:15], exec, -1
	s_or_b64 s[12:13], s[20:21], s[12:13]
.LBB3640_156:
	s_or_b64 exec, exec, s[0:1]
	s_and_b64 s[0:1], s[14:15], exec
	s_andn2_b64 s[4:5], s[4:5], exec
	s_and_b64 s[14:15], s[18:19], exec
	s_or_b64 s[4:5], s[4:5], s[14:15]
	s_andn2_b64 s[6:7], s[6:7], exec
	s_and_b64 s[14:15], s[16:17], exec
	s_andn2_b64 s[8:9], s[8:9], exec
	s_and_b64 s[12:13], s[12:13], exec
	s_or_b64 s[6:7], s[6:7], s[14:15]
	s_or_b64 s[8:9], s[8:9], s[12:13]
	s_or_b64 exec, exec, s[2:3]
	s_and_saveexec_b64 s[2:3], s[8:9]
	s_cbranch_execz .LBB3640_91
.LBB3640_157:
	s_waitcnt lgkmcnt(0)
	v_mov_b32_e32 v3, 0
	s_andn2_b64 s[6:7], s[6:7], exec
	global_store_short v3, v5, s[10:11]
                                        ; implicit-def: $vgpr3
                                        ; implicit-def: $vgpr4
	s_or_b64 exec, exec, s[2:3]
	s_and_saveexec_b64 s[2:3], s[6:7]
	s_cbranch_execz .LBB3640_92
.LBB3640_158:
	s_waitcnt lgkmcnt(0)
	v_mov_b32_e32 v3, 0
	global_store_short v3, v4, s[10:11]
                                        ; implicit-def: $vgpr3
	s_or_b64 exec, exec, s[2:3]
	s_and_saveexec_b64 s[2:3], s[4:5]
	s_xor_b64 s[2:3], exec, s[2:3]
	s_cbranch_execz .LBB3640_93
.LBB3640_159:
	s_waitcnt lgkmcnt(0)
	v_mov_b32_e32 v4, 0
	global_store_short v4, v3, s[10:11]
	s_or_b64 exec, exec, s[2:3]
	s_and_b64 exec, exec, s[0:1]
	s_cbranch_execz .LBB3640_94
.LBB3640_160:
	v_cmp_lt_i64_e32 vcc, 2, v[0:1]
	s_and_saveexec_b64 s[0:1], vcc
	s_xor_b64 s[0:1], exec, s[0:1]
	s_cbranch_execz .LBB3640_170
; %bb.161:
	v_cmp_lt_i64_e32 vcc, 3, v[0:1]
	s_and_saveexec_b64 s[2:3], vcc
	s_xor_b64 s[2:3], exec, s[2:3]
	s_cbranch_execz .LBB3640_167
; %bb.162:
	;; [unrolled: 5-line block ×3, first 2 shown]
	ds_read_u16 v0, v2 offset:640
	v_mov_b32_e32 v1, 0
                                        ; implicit-def: $vgpr2
	s_waitcnt lgkmcnt(0)
	global_store_short v1, v0, s[10:11]
.LBB3640_164:
	s_andn2_saveexec_b64 s[4:5], s[4:5]
	s_cbranch_execz .LBB3640_166
; %bb.165:
	ds_read_u16 v0, v2 offset:512
	v_mov_b32_e32 v1, 0
	s_waitcnt lgkmcnt(0)
	global_store_short v1, v0, s[10:11]
.LBB3640_166:
	s_or_b64 exec, exec, s[4:5]
                                        ; implicit-def: $vgpr2
.LBB3640_167:
	s_andn2_saveexec_b64 s[2:3], s[2:3]
	s_cbranch_execz .LBB3640_169
; %bb.168:
	ds_read_u16 v0, v2 offset:384
	v_mov_b32_e32 v1, 0
	s_waitcnt lgkmcnt(0)
	global_store_short v1, v0, s[10:11]
.LBB3640_169:
	s_or_b64 exec, exec, s[2:3]
                                        ; implicit-def: $vgpr0_vgpr1
                                        ; implicit-def: $vgpr2
.LBB3640_170:
	s_andn2_saveexec_b64 s[0:1], s[0:1]
	s_cbranch_execz .LBB3640_94
; %bb.171:
	v_cmp_lt_i64_e32 vcc, 1, v[0:1]
	s_and_saveexec_b64 s[0:1], vcc
	s_xor_b64 s[0:1], exec, s[0:1]
	s_cbranch_execz .LBB3640_173
; %bb.172:
	ds_read_u16 v0, v2 offset:256
	v_mov_b32_e32 v1, 0
                                        ; implicit-def: $vgpr2
	s_waitcnt lgkmcnt(0)
	global_store_short v1, v0, s[10:11]
                                        ; implicit-def: $vgpr0_vgpr1
.LBB3640_173:
	s_andn2_saveexec_b64 s[0:1], s[0:1]
	s_cbranch_execz .LBB3640_94
; %bb.174:
	v_cmp_ne_u64_e32 vcc, 1, v[0:1]
	s_and_saveexec_b64 s[0:1], vcc
	s_xor_b64 s[0:1], exec, s[0:1]
	s_cbranch_execz .LBB3640_176
; %bb.175:
	ds_read_u16 v0, v2
	v_mov_b32_e32 v1, 0
                                        ; implicit-def: $vgpr2
	s_waitcnt lgkmcnt(0)
	global_store_short v1, v0, s[10:11]
.LBB3640_176:
	s_andn2_saveexec_b64 s[0:1], s[0:1]
	s_cbranch_execz .LBB3640_94
; %bb.177:
	ds_read_u16 v0, v2 offset:128
	v_mov_b32_e32 v1, 0
	s_waitcnt lgkmcnt(0)
	global_store_short v1, v0, s[10:11]
	s_endpgm
	.section	.rodata,"a",@progbits
	.p2align	6, 0x0
	.amdhsa_kernel _ZN7rocprim17ROCPRIM_400000_NS6detail17trampoline_kernelINS0_14default_configENS1_20scan_config_selectorItEEZZNS1_9scan_implILNS1_25lookback_scan_determinismE0ELb1ELb1ES3_N6thrust23THRUST_200600_302600_NS6detail15normal_iteratorINS9_10device_ptrItEEEENS9_16discard_iteratorINS9_11use_defaultEEEt11max_functorItEtEEDaPvRmT3_T4_T5_mT6_P12ihipStream_tbENKUlT_T0_E_clISt17integral_constantIbLb0EESX_EEDaSS_ST_EUlSS_E_NS1_11comp_targetILNS1_3genE4ELNS1_11target_archE910ELNS1_3gpuE8ELNS1_3repE0EEENS1_30default_config_static_selectorELNS0_4arch9wavefront6targetE1EEEvT1_
		.amdhsa_group_segment_fixed_size 3072
		.amdhsa_private_segment_fixed_size 0
		.amdhsa_kernarg_size 104
		.amdhsa_user_sgpr_count 6
		.amdhsa_user_sgpr_private_segment_buffer 1
		.amdhsa_user_sgpr_dispatch_ptr 0
		.amdhsa_user_sgpr_queue_ptr 0
		.amdhsa_user_sgpr_kernarg_segment_ptr 1
		.amdhsa_user_sgpr_dispatch_id 0
		.amdhsa_user_sgpr_flat_scratch_init 0
		.amdhsa_user_sgpr_kernarg_preload_length 0
		.amdhsa_user_sgpr_kernarg_preload_offset 0
		.amdhsa_user_sgpr_private_segment_size 0
		.amdhsa_uses_dynamic_stack 0
		.amdhsa_system_sgpr_private_segment_wavefront_offset 0
		.amdhsa_system_sgpr_workgroup_id_x 1
		.amdhsa_system_sgpr_workgroup_id_y 0
		.amdhsa_system_sgpr_workgroup_id_z 0
		.amdhsa_system_sgpr_workgroup_info 0
		.amdhsa_system_vgpr_workitem_id 0
		.amdhsa_next_free_vgpr 57
		.amdhsa_next_free_sgpr 26
		.amdhsa_accum_offset 60
		.amdhsa_reserve_vcc 1
		.amdhsa_reserve_flat_scratch 0
		.amdhsa_float_round_mode_32 0
		.amdhsa_float_round_mode_16_64 0
		.amdhsa_float_denorm_mode_32 3
		.amdhsa_float_denorm_mode_16_64 3
		.amdhsa_dx10_clamp 1
		.amdhsa_ieee_mode 1
		.amdhsa_fp16_overflow 0
		.amdhsa_tg_split 0
		.amdhsa_exception_fp_ieee_invalid_op 0
		.amdhsa_exception_fp_denorm_src 0
		.amdhsa_exception_fp_ieee_div_zero 0
		.amdhsa_exception_fp_ieee_overflow 0
		.amdhsa_exception_fp_ieee_underflow 0
		.amdhsa_exception_fp_ieee_inexact 0
		.amdhsa_exception_int_div_zero 0
	.end_amdhsa_kernel
	.section	.text._ZN7rocprim17ROCPRIM_400000_NS6detail17trampoline_kernelINS0_14default_configENS1_20scan_config_selectorItEEZZNS1_9scan_implILNS1_25lookback_scan_determinismE0ELb1ELb1ES3_N6thrust23THRUST_200600_302600_NS6detail15normal_iteratorINS9_10device_ptrItEEEENS9_16discard_iteratorINS9_11use_defaultEEEt11max_functorItEtEEDaPvRmT3_T4_T5_mT6_P12ihipStream_tbENKUlT_T0_E_clISt17integral_constantIbLb0EESX_EEDaSS_ST_EUlSS_E_NS1_11comp_targetILNS1_3genE4ELNS1_11target_archE910ELNS1_3gpuE8ELNS1_3repE0EEENS1_30default_config_static_selectorELNS0_4arch9wavefront6targetE1EEEvT1_,"axG",@progbits,_ZN7rocprim17ROCPRIM_400000_NS6detail17trampoline_kernelINS0_14default_configENS1_20scan_config_selectorItEEZZNS1_9scan_implILNS1_25lookback_scan_determinismE0ELb1ELb1ES3_N6thrust23THRUST_200600_302600_NS6detail15normal_iteratorINS9_10device_ptrItEEEENS9_16discard_iteratorINS9_11use_defaultEEEt11max_functorItEtEEDaPvRmT3_T4_T5_mT6_P12ihipStream_tbENKUlT_T0_E_clISt17integral_constantIbLb0EESX_EEDaSS_ST_EUlSS_E_NS1_11comp_targetILNS1_3genE4ELNS1_11target_archE910ELNS1_3gpuE8ELNS1_3repE0EEENS1_30default_config_static_selectorELNS0_4arch9wavefront6targetE1EEEvT1_,comdat
.Lfunc_end3640:
	.size	_ZN7rocprim17ROCPRIM_400000_NS6detail17trampoline_kernelINS0_14default_configENS1_20scan_config_selectorItEEZZNS1_9scan_implILNS1_25lookback_scan_determinismE0ELb1ELb1ES3_N6thrust23THRUST_200600_302600_NS6detail15normal_iteratorINS9_10device_ptrItEEEENS9_16discard_iteratorINS9_11use_defaultEEEt11max_functorItEtEEDaPvRmT3_T4_T5_mT6_P12ihipStream_tbENKUlT_T0_E_clISt17integral_constantIbLb0EESX_EEDaSS_ST_EUlSS_E_NS1_11comp_targetILNS1_3genE4ELNS1_11target_archE910ELNS1_3gpuE8ELNS1_3repE0EEENS1_30default_config_static_selectorELNS0_4arch9wavefront6targetE1EEEvT1_, .Lfunc_end3640-_ZN7rocprim17ROCPRIM_400000_NS6detail17trampoline_kernelINS0_14default_configENS1_20scan_config_selectorItEEZZNS1_9scan_implILNS1_25lookback_scan_determinismE0ELb1ELb1ES3_N6thrust23THRUST_200600_302600_NS6detail15normal_iteratorINS9_10device_ptrItEEEENS9_16discard_iteratorINS9_11use_defaultEEEt11max_functorItEtEEDaPvRmT3_T4_T5_mT6_P12ihipStream_tbENKUlT_T0_E_clISt17integral_constantIbLb0EESX_EEDaSS_ST_EUlSS_E_NS1_11comp_targetILNS1_3genE4ELNS1_11target_archE910ELNS1_3gpuE8ELNS1_3repE0EEENS1_30default_config_static_selectorELNS0_4arch9wavefront6targetE1EEEvT1_
                                        ; -- End function
	.section	.AMDGPU.csdata,"",@progbits
; Kernel info:
; codeLenInByte = 6468
; NumSgprs: 30
; NumVgprs: 57
; NumAgprs: 0
; TotalNumVgprs: 57
; ScratchSize: 0
; MemoryBound: 0
; FloatMode: 240
; IeeeMode: 1
; LDSByteSize: 3072 bytes/workgroup (compile time only)
; SGPRBlocks: 3
; VGPRBlocks: 7
; NumSGPRsForWavesPerEU: 30
; NumVGPRsForWavesPerEU: 57
; AccumOffset: 60
; Occupancy: 6
; WaveLimiterHint : 1
; COMPUTE_PGM_RSRC2:SCRATCH_EN: 0
; COMPUTE_PGM_RSRC2:USER_SGPR: 6
; COMPUTE_PGM_RSRC2:TRAP_HANDLER: 0
; COMPUTE_PGM_RSRC2:TGID_X_EN: 1
; COMPUTE_PGM_RSRC2:TGID_Y_EN: 0
; COMPUTE_PGM_RSRC2:TGID_Z_EN: 0
; COMPUTE_PGM_RSRC2:TIDIG_COMP_CNT: 0
; COMPUTE_PGM_RSRC3_GFX90A:ACCUM_OFFSET: 14
; COMPUTE_PGM_RSRC3_GFX90A:TG_SPLIT: 0
	.section	.text._ZN7rocprim17ROCPRIM_400000_NS6detail17trampoline_kernelINS0_14default_configENS1_20scan_config_selectorItEEZZNS1_9scan_implILNS1_25lookback_scan_determinismE0ELb1ELb1ES3_N6thrust23THRUST_200600_302600_NS6detail15normal_iteratorINS9_10device_ptrItEEEENS9_16discard_iteratorINS9_11use_defaultEEEt11max_functorItEtEEDaPvRmT3_T4_T5_mT6_P12ihipStream_tbENKUlT_T0_E_clISt17integral_constantIbLb0EESX_EEDaSS_ST_EUlSS_E_NS1_11comp_targetILNS1_3genE3ELNS1_11target_archE908ELNS1_3gpuE7ELNS1_3repE0EEENS1_30default_config_static_selectorELNS0_4arch9wavefront6targetE1EEEvT1_,"axG",@progbits,_ZN7rocprim17ROCPRIM_400000_NS6detail17trampoline_kernelINS0_14default_configENS1_20scan_config_selectorItEEZZNS1_9scan_implILNS1_25lookback_scan_determinismE0ELb1ELb1ES3_N6thrust23THRUST_200600_302600_NS6detail15normal_iteratorINS9_10device_ptrItEEEENS9_16discard_iteratorINS9_11use_defaultEEEt11max_functorItEtEEDaPvRmT3_T4_T5_mT6_P12ihipStream_tbENKUlT_T0_E_clISt17integral_constantIbLb0EESX_EEDaSS_ST_EUlSS_E_NS1_11comp_targetILNS1_3genE3ELNS1_11target_archE908ELNS1_3gpuE7ELNS1_3repE0EEENS1_30default_config_static_selectorELNS0_4arch9wavefront6targetE1EEEvT1_,comdat
	.protected	_ZN7rocprim17ROCPRIM_400000_NS6detail17trampoline_kernelINS0_14default_configENS1_20scan_config_selectorItEEZZNS1_9scan_implILNS1_25lookback_scan_determinismE0ELb1ELb1ES3_N6thrust23THRUST_200600_302600_NS6detail15normal_iteratorINS9_10device_ptrItEEEENS9_16discard_iteratorINS9_11use_defaultEEEt11max_functorItEtEEDaPvRmT3_T4_T5_mT6_P12ihipStream_tbENKUlT_T0_E_clISt17integral_constantIbLb0EESX_EEDaSS_ST_EUlSS_E_NS1_11comp_targetILNS1_3genE3ELNS1_11target_archE908ELNS1_3gpuE7ELNS1_3repE0EEENS1_30default_config_static_selectorELNS0_4arch9wavefront6targetE1EEEvT1_ ; -- Begin function _ZN7rocprim17ROCPRIM_400000_NS6detail17trampoline_kernelINS0_14default_configENS1_20scan_config_selectorItEEZZNS1_9scan_implILNS1_25lookback_scan_determinismE0ELb1ELb1ES3_N6thrust23THRUST_200600_302600_NS6detail15normal_iteratorINS9_10device_ptrItEEEENS9_16discard_iteratorINS9_11use_defaultEEEt11max_functorItEtEEDaPvRmT3_T4_T5_mT6_P12ihipStream_tbENKUlT_T0_E_clISt17integral_constantIbLb0EESX_EEDaSS_ST_EUlSS_E_NS1_11comp_targetILNS1_3genE3ELNS1_11target_archE908ELNS1_3gpuE7ELNS1_3repE0EEENS1_30default_config_static_selectorELNS0_4arch9wavefront6targetE1EEEvT1_
	.globl	_ZN7rocprim17ROCPRIM_400000_NS6detail17trampoline_kernelINS0_14default_configENS1_20scan_config_selectorItEEZZNS1_9scan_implILNS1_25lookback_scan_determinismE0ELb1ELb1ES3_N6thrust23THRUST_200600_302600_NS6detail15normal_iteratorINS9_10device_ptrItEEEENS9_16discard_iteratorINS9_11use_defaultEEEt11max_functorItEtEEDaPvRmT3_T4_T5_mT6_P12ihipStream_tbENKUlT_T0_E_clISt17integral_constantIbLb0EESX_EEDaSS_ST_EUlSS_E_NS1_11comp_targetILNS1_3genE3ELNS1_11target_archE908ELNS1_3gpuE7ELNS1_3repE0EEENS1_30default_config_static_selectorELNS0_4arch9wavefront6targetE1EEEvT1_
	.p2align	8
	.type	_ZN7rocprim17ROCPRIM_400000_NS6detail17trampoline_kernelINS0_14default_configENS1_20scan_config_selectorItEEZZNS1_9scan_implILNS1_25lookback_scan_determinismE0ELb1ELb1ES3_N6thrust23THRUST_200600_302600_NS6detail15normal_iteratorINS9_10device_ptrItEEEENS9_16discard_iteratorINS9_11use_defaultEEEt11max_functorItEtEEDaPvRmT3_T4_T5_mT6_P12ihipStream_tbENKUlT_T0_E_clISt17integral_constantIbLb0EESX_EEDaSS_ST_EUlSS_E_NS1_11comp_targetILNS1_3genE3ELNS1_11target_archE908ELNS1_3gpuE7ELNS1_3repE0EEENS1_30default_config_static_selectorELNS0_4arch9wavefront6targetE1EEEvT1_,@function
_ZN7rocprim17ROCPRIM_400000_NS6detail17trampoline_kernelINS0_14default_configENS1_20scan_config_selectorItEEZZNS1_9scan_implILNS1_25lookback_scan_determinismE0ELb1ELb1ES3_N6thrust23THRUST_200600_302600_NS6detail15normal_iteratorINS9_10device_ptrItEEEENS9_16discard_iteratorINS9_11use_defaultEEEt11max_functorItEtEEDaPvRmT3_T4_T5_mT6_P12ihipStream_tbENKUlT_T0_E_clISt17integral_constantIbLb0EESX_EEDaSS_ST_EUlSS_E_NS1_11comp_targetILNS1_3genE3ELNS1_11target_archE908ELNS1_3gpuE7ELNS1_3repE0EEENS1_30default_config_static_selectorELNS0_4arch9wavefront6targetE1EEEvT1_: ; @_ZN7rocprim17ROCPRIM_400000_NS6detail17trampoline_kernelINS0_14default_configENS1_20scan_config_selectorItEEZZNS1_9scan_implILNS1_25lookback_scan_determinismE0ELb1ELb1ES3_N6thrust23THRUST_200600_302600_NS6detail15normal_iteratorINS9_10device_ptrItEEEENS9_16discard_iteratorINS9_11use_defaultEEEt11max_functorItEtEEDaPvRmT3_T4_T5_mT6_P12ihipStream_tbENKUlT_T0_E_clISt17integral_constantIbLb0EESX_EEDaSS_ST_EUlSS_E_NS1_11comp_targetILNS1_3genE3ELNS1_11target_archE908ELNS1_3gpuE7ELNS1_3repE0EEENS1_30default_config_static_selectorELNS0_4arch9wavefront6targetE1EEEvT1_
; %bb.0:
	.section	.rodata,"a",@progbits
	.p2align	6, 0x0
	.amdhsa_kernel _ZN7rocprim17ROCPRIM_400000_NS6detail17trampoline_kernelINS0_14default_configENS1_20scan_config_selectorItEEZZNS1_9scan_implILNS1_25lookback_scan_determinismE0ELb1ELb1ES3_N6thrust23THRUST_200600_302600_NS6detail15normal_iteratorINS9_10device_ptrItEEEENS9_16discard_iteratorINS9_11use_defaultEEEt11max_functorItEtEEDaPvRmT3_T4_T5_mT6_P12ihipStream_tbENKUlT_T0_E_clISt17integral_constantIbLb0EESX_EEDaSS_ST_EUlSS_E_NS1_11comp_targetILNS1_3genE3ELNS1_11target_archE908ELNS1_3gpuE7ELNS1_3repE0EEENS1_30default_config_static_selectorELNS0_4arch9wavefront6targetE1EEEvT1_
		.amdhsa_group_segment_fixed_size 0
		.amdhsa_private_segment_fixed_size 0
		.amdhsa_kernarg_size 104
		.amdhsa_user_sgpr_count 6
		.amdhsa_user_sgpr_private_segment_buffer 1
		.amdhsa_user_sgpr_dispatch_ptr 0
		.amdhsa_user_sgpr_queue_ptr 0
		.amdhsa_user_sgpr_kernarg_segment_ptr 1
		.amdhsa_user_sgpr_dispatch_id 0
		.amdhsa_user_sgpr_flat_scratch_init 0
		.amdhsa_user_sgpr_kernarg_preload_length 0
		.amdhsa_user_sgpr_kernarg_preload_offset 0
		.amdhsa_user_sgpr_private_segment_size 0
		.amdhsa_uses_dynamic_stack 0
		.amdhsa_system_sgpr_private_segment_wavefront_offset 0
		.amdhsa_system_sgpr_workgroup_id_x 1
		.amdhsa_system_sgpr_workgroup_id_y 0
		.amdhsa_system_sgpr_workgroup_id_z 0
		.amdhsa_system_sgpr_workgroup_info 0
		.amdhsa_system_vgpr_workitem_id 0
		.amdhsa_next_free_vgpr 1
		.amdhsa_next_free_sgpr 0
		.amdhsa_accum_offset 4
		.amdhsa_reserve_vcc 0
		.amdhsa_reserve_flat_scratch 0
		.amdhsa_float_round_mode_32 0
		.amdhsa_float_round_mode_16_64 0
		.amdhsa_float_denorm_mode_32 3
		.amdhsa_float_denorm_mode_16_64 3
		.amdhsa_dx10_clamp 1
		.amdhsa_ieee_mode 1
		.amdhsa_fp16_overflow 0
		.amdhsa_tg_split 0
		.amdhsa_exception_fp_ieee_invalid_op 0
		.amdhsa_exception_fp_denorm_src 0
		.amdhsa_exception_fp_ieee_div_zero 0
		.amdhsa_exception_fp_ieee_overflow 0
		.amdhsa_exception_fp_ieee_underflow 0
		.amdhsa_exception_fp_ieee_inexact 0
		.amdhsa_exception_int_div_zero 0
	.end_amdhsa_kernel
	.section	.text._ZN7rocprim17ROCPRIM_400000_NS6detail17trampoline_kernelINS0_14default_configENS1_20scan_config_selectorItEEZZNS1_9scan_implILNS1_25lookback_scan_determinismE0ELb1ELb1ES3_N6thrust23THRUST_200600_302600_NS6detail15normal_iteratorINS9_10device_ptrItEEEENS9_16discard_iteratorINS9_11use_defaultEEEt11max_functorItEtEEDaPvRmT3_T4_T5_mT6_P12ihipStream_tbENKUlT_T0_E_clISt17integral_constantIbLb0EESX_EEDaSS_ST_EUlSS_E_NS1_11comp_targetILNS1_3genE3ELNS1_11target_archE908ELNS1_3gpuE7ELNS1_3repE0EEENS1_30default_config_static_selectorELNS0_4arch9wavefront6targetE1EEEvT1_,"axG",@progbits,_ZN7rocprim17ROCPRIM_400000_NS6detail17trampoline_kernelINS0_14default_configENS1_20scan_config_selectorItEEZZNS1_9scan_implILNS1_25lookback_scan_determinismE0ELb1ELb1ES3_N6thrust23THRUST_200600_302600_NS6detail15normal_iteratorINS9_10device_ptrItEEEENS9_16discard_iteratorINS9_11use_defaultEEEt11max_functorItEtEEDaPvRmT3_T4_T5_mT6_P12ihipStream_tbENKUlT_T0_E_clISt17integral_constantIbLb0EESX_EEDaSS_ST_EUlSS_E_NS1_11comp_targetILNS1_3genE3ELNS1_11target_archE908ELNS1_3gpuE7ELNS1_3repE0EEENS1_30default_config_static_selectorELNS0_4arch9wavefront6targetE1EEEvT1_,comdat
.Lfunc_end3641:
	.size	_ZN7rocprim17ROCPRIM_400000_NS6detail17trampoline_kernelINS0_14default_configENS1_20scan_config_selectorItEEZZNS1_9scan_implILNS1_25lookback_scan_determinismE0ELb1ELb1ES3_N6thrust23THRUST_200600_302600_NS6detail15normal_iteratorINS9_10device_ptrItEEEENS9_16discard_iteratorINS9_11use_defaultEEEt11max_functorItEtEEDaPvRmT3_T4_T5_mT6_P12ihipStream_tbENKUlT_T0_E_clISt17integral_constantIbLb0EESX_EEDaSS_ST_EUlSS_E_NS1_11comp_targetILNS1_3genE3ELNS1_11target_archE908ELNS1_3gpuE7ELNS1_3repE0EEENS1_30default_config_static_selectorELNS0_4arch9wavefront6targetE1EEEvT1_, .Lfunc_end3641-_ZN7rocprim17ROCPRIM_400000_NS6detail17trampoline_kernelINS0_14default_configENS1_20scan_config_selectorItEEZZNS1_9scan_implILNS1_25lookback_scan_determinismE0ELb1ELb1ES3_N6thrust23THRUST_200600_302600_NS6detail15normal_iteratorINS9_10device_ptrItEEEENS9_16discard_iteratorINS9_11use_defaultEEEt11max_functorItEtEEDaPvRmT3_T4_T5_mT6_P12ihipStream_tbENKUlT_T0_E_clISt17integral_constantIbLb0EESX_EEDaSS_ST_EUlSS_E_NS1_11comp_targetILNS1_3genE3ELNS1_11target_archE908ELNS1_3gpuE7ELNS1_3repE0EEENS1_30default_config_static_selectorELNS0_4arch9wavefront6targetE1EEEvT1_
                                        ; -- End function
	.section	.AMDGPU.csdata,"",@progbits
; Kernel info:
; codeLenInByte = 0
; NumSgprs: 4
; NumVgprs: 0
; NumAgprs: 0
; TotalNumVgprs: 0
; ScratchSize: 0
; MemoryBound: 0
; FloatMode: 240
; IeeeMode: 1
; LDSByteSize: 0 bytes/workgroup (compile time only)
; SGPRBlocks: 0
; VGPRBlocks: 0
; NumSGPRsForWavesPerEU: 4
; NumVGPRsForWavesPerEU: 1
; AccumOffset: 4
; Occupancy: 8
; WaveLimiterHint : 0
; COMPUTE_PGM_RSRC2:SCRATCH_EN: 0
; COMPUTE_PGM_RSRC2:USER_SGPR: 6
; COMPUTE_PGM_RSRC2:TRAP_HANDLER: 0
; COMPUTE_PGM_RSRC2:TGID_X_EN: 1
; COMPUTE_PGM_RSRC2:TGID_Y_EN: 0
; COMPUTE_PGM_RSRC2:TGID_Z_EN: 0
; COMPUTE_PGM_RSRC2:TIDIG_COMP_CNT: 0
; COMPUTE_PGM_RSRC3_GFX90A:ACCUM_OFFSET: 0
; COMPUTE_PGM_RSRC3_GFX90A:TG_SPLIT: 0
	.section	.text._ZN7rocprim17ROCPRIM_400000_NS6detail17trampoline_kernelINS0_14default_configENS1_20scan_config_selectorItEEZZNS1_9scan_implILNS1_25lookback_scan_determinismE0ELb1ELb1ES3_N6thrust23THRUST_200600_302600_NS6detail15normal_iteratorINS9_10device_ptrItEEEENS9_16discard_iteratorINS9_11use_defaultEEEt11max_functorItEtEEDaPvRmT3_T4_T5_mT6_P12ihipStream_tbENKUlT_T0_E_clISt17integral_constantIbLb0EESX_EEDaSS_ST_EUlSS_E_NS1_11comp_targetILNS1_3genE2ELNS1_11target_archE906ELNS1_3gpuE6ELNS1_3repE0EEENS1_30default_config_static_selectorELNS0_4arch9wavefront6targetE1EEEvT1_,"axG",@progbits,_ZN7rocprim17ROCPRIM_400000_NS6detail17trampoline_kernelINS0_14default_configENS1_20scan_config_selectorItEEZZNS1_9scan_implILNS1_25lookback_scan_determinismE0ELb1ELb1ES3_N6thrust23THRUST_200600_302600_NS6detail15normal_iteratorINS9_10device_ptrItEEEENS9_16discard_iteratorINS9_11use_defaultEEEt11max_functorItEtEEDaPvRmT3_T4_T5_mT6_P12ihipStream_tbENKUlT_T0_E_clISt17integral_constantIbLb0EESX_EEDaSS_ST_EUlSS_E_NS1_11comp_targetILNS1_3genE2ELNS1_11target_archE906ELNS1_3gpuE6ELNS1_3repE0EEENS1_30default_config_static_selectorELNS0_4arch9wavefront6targetE1EEEvT1_,comdat
	.protected	_ZN7rocprim17ROCPRIM_400000_NS6detail17trampoline_kernelINS0_14default_configENS1_20scan_config_selectorItEEZZNS1_9scan_implILNS1_25lookback_scan_determinismE0ELb1ELb1ES3_N6thrust23THRUST_200600_302600_NS6detail15normal_iteratorINS9_10device_ptrItEEEENS9_16discard_iteratorINS9_11use_defaultEEEt11max_functorItEtEEDaPvRmT3_T4_T5_mT6_P12ihipStream_tbENKUlT_T0_E_clISt17integral_constantIbLb0EESX_EEDaSS_ST_EUlSS_E_NS1_11comp_targetILNS1_3genE2ELNS1_11target_archE906ELNS1_3gpuE6ELNS1_3repE0EEENS1_30default_config_static_selectorELNS0_4arch9wavefront6targetE1EEEvT1_ ; -- Begin function _ZN7rocprim17ROCPRIM_400000_NS6detail17trampoline_kernelINS0_14default_configENS1_20scan_config_selectorItEEZZNS1_9scan_implILNS1_25lookback_scan_determinismE0ELb1ELb1ES3_N6thrust23THRUST_200600_302600_NS6detail15normal_iteratorINS9_10device_ptrItEEEENS9_16discard_iteratorINS9_11use_defaultEEEt11max_functorItEtEEDaPvRmT3_T4_T5_mT6_P12ihipStream_tbENKUlT_T0_E_clISt17integral_constantIbLb0EESX_EEDaSS_ST_EUlSS_E_NS1_11comp_targetILNS1_3genE2ELNS1_11target_archE906ELNS1_3gpuE6ELNS1_3repE0EEENS1_30default_config_static_selectorELNS0_4arch9wavefront6targetE1EEEvT1_
	.globl	_ZN7rocprim17ROCPRIM_400000_NS6detail17trampoline_kernelINS0_14default_configENS1_20scan_config_selectorItEEZZNS1_9scan_implILNS1_25lookback_scan_determinismE0ELb1ELb1ES3_N6thrust23THRUST_200600_302600_NS6detail15normal_iteratorINS9_10device_ptrItEEEENS9_16discard_iteratorINS9_11use_defaultEEEt11max_functorItEtEEDaPvRmT3_T4_T5_mT6_P12ihipStream_tbENKUlT_T0_E_clISt17integral_constantIbLb0EESX_EEDaSS_ST_EUlSS_E_NS1_11comp_targetILNS1_3genE2ELNS1_11target_archE906ELNS1_3gpuE6ELNS1_3repE0EEENS1_30default_config_static_selectorELNS0_4arch9wavefront6targetE1EEEvT1_
	.p2align	8
	.type	_ZN7rocprim17ROCPRIM_400000_NS6detail17trampoline_kernelINS0_14default_configENS1_20scan_config_selectorItEEZZNS1_9scan_implILNS1_25lookback_scan_determinismE0ELb1ELb1ES3_N6thrust23THRUST_200600_302600_NS6detail15normal_iteratorINS9_10device_ptrItEEEENS9_16discard_iteratorINS9_11use_defaultEEEt11max_functorItEtEEDaPvRmT3_T4_T5_mT6_P12ihipStream_tbENKUlT_T0_E_clISt17integral_constantIbLb0EESX_EEDaSS_ST_EUlSS_E_NS1_11comp_targetILNS1_3genE2ELNS1_11target_archE906ELNS1_3gpuE6ELNS1_3repE0EEENS1_30default_config_static_selectorELNS0_4arch9wavefront6targetE1EEEvT1_,@function
_ZN7rocprim17ROCPRIM_400000_NS6detail17trampoline_kernelINS0_14default_configENS1_20scan_config_selectorItEEZZNS1_9scan_implILNS1_25lookback_scan_determinismE0ELb1ELb1ES3_N6thrust23THRUST_200600_302600_NS6detail15normal_iteratorINS9_10device_ptrItEEEENS9_16discard_iteratorINS9_11use_defaultEEEt11max_functorItEtEEDaPvRmT3_T4_T5_mT6_P12ihipStream_tbENKUlT_T0_E_clISt17integral_constantIbLb0EESX_EEDaSS_ST_EUlSS_E_NS1_11comp_targetILNS1_3genE2ELNS1_11target_archE906ELNS1_3gpuE6ELNS1_3repE0EEENS1_30default_config_static_selectorELNS0_4arch9wavefront6targetE1EEEvT1_: ; @_ZN7rocprim17ROCPRIM_400000_NS6detail17trampoline_kernelINS0_14default_configENS1_20scan_config_selectorItEEZZNS1_9scan_implILNS1_25lookback_scan_determinismE0ELb1ELb1ES3_N6thrust23THRUST_200600_302600_NS6detail15normal_iteratorINS9_10device_ptrItEEEENS9_16discard_iteratorINS9_11use_defaultEEEt11max_functorItEtEEDaPvRmT3_T4_T5_mT6_P12ihipStream_tbENKUlT_T0_E_clISt17integral_constantIbLb0EESX_EEDaSS_ST_EUlSS_E_NS1_11comp_targetILNS1_3genE2ELNS1_11target_archE906ELNS1_3gpuE6ELNS1_3repE0EEENS1_30default_config_static_selectorELNS0_4arch9wavefront6targetE1EEEvT1_
; %bb.0:
	.section	.rodata,"a",@progbits
	.p2align	6, 0x0
	.amdhsa_kernel _ZN7rocprim17ROCPRIM_400000_NS6detail17trampoline_kernelINS0_14default_configENS1_20scan_config_selectorItEEZZNS1_9scan_implILNS1_25lookback_scan_determinismE0ELb1ELb1ES3_N6thrust23THRUST_200600_302600_NS6detail15normal_iteratorINS9_10device_ptrItEEEENS9_16discard_iteratorINS9_11use_defaultEEEt11max_functorItEtEEDaPvRmT3_T4_T5_mT6_P12ihipStream_tbENKUlT_T0_E_clISt17integral_constantIbLb0EESX_EEDaSS_ST_EUlSS_E_NS1_11comp_targetILNS1_3genE2ELNS1_11target_archE906ELNS1_3gpuE6ELNS1_3repE0EEENS1_30default_config_static_selectorELNS0_4arch9wavefront6targetE1EEEvT1_
		.amdhsa_group_segment_fixed_size 0
		.amdhsa_private_segment_fixed_size 0
		.amdhsa_kernarg_size 104
		.amdhsa_user_sgpr_count 6
		.amdhsa_user_sgpr_private_segment_buffer 1
		.amdhsa_user_sgpr_dispatch_ptr 0
		.amdhsa_user_sgpr_queue_ptr 0
		.amdhsa_user_sgpr_kernarg_segment_ptr 1
		.amdhsa_user_sgpr_dispatch_id 0
		.amdhsa_user_sgpr_flat_scratch_init 0
		.amdhsa_user_sgpr_kernarg_preload_length 0
		.amdhsa_user_sgpr_kernarg_preload_offset 0
		.amdhsa_user_sgpr_private_segment_size 0
		.amdhsa_uses_dynamic_stack 0
		.amdhsa_system_sgpr_private_segment_wavefront_offset 0
		.amdhsa_system_sgpr_workgroup_id_x 1
		.amdhsa_system_sgpr_workgroup_id_y 0
		.amdhsa_system_sgpr_workgroup_id_z 0
		.amdhsa_system_sgpr_workgroup_info 0
		.amdhsa_system_vgpr_workitem_id 0
		.amdhsa_next_free_vgpr 1
		.amdhsa_next_free_sgpr 0
		.amdhsa_accum_offset 4
		.amdhsa_reserve_vcc 0
		.amdhsa_reserve_flat_scratch 0
		.amdhsa_float_round_mode_32 0
		.amdhsa_float_round_mode_16_64 0
		.amdhsa_float_denorm_mode_32 3
		.amdhsa_float_denorm_mode_16_64 3
		.amdhsa_dx10_clamp 1
		.amdhsa_ieee_mode 1
		.amdhsa_fp16_overflow 0
		.amdhsa_tg_split 0
		.amdhsa_exception_fp_ieee_invalid_op 0
		.amdhsa_exception_fp_denorm_src 0
		.amdhsa_exception_fp_ieee_div_zero 0
		.amdhsa_exception_fp_ieee_overflow 0
		.amdhsa_exception_fp_ieee_underflow 0
		.amdhsa_exception_fp_ieee_inexact 0
		.amdhsa_exception_int_div_zero 0
	.end_amdhsa_kernel
	.section	.text._ZN7rocprim17ROCPRIM_400000_NS6detail17trampoline_kernelINS0_14default_configENS1_20scan_config_selectorItEEZZNS1_9scan_implILNS1_25lookback_scan_determinismE0ELb1ELb1ES3_N6thrust23THRUST_200600_302600_NS6detail15normal_iteratorINS9_10device_ptrItEEEENS9_16discard_iteratorINS9_11use_defaultEEEt11max_functorItEtEEDaPvRmT3_T4_T5_mT6_P12ihipStream_tbENKUlT_T0_E_clISt17integral_constantIbLb0EESX_EEDaSS_ST_EUlSS_E_NS1_11comp_targetILNS1_3genE2ELNS1_11target_archE906ELNS1_3gpuE6ELNS1_3repE0EEENS1_30default_config_static_selectorELNS0_4arch9wavefront6targetE1EEEvT1_,"axG",@progbits,_ZN7rocprim17ROCPRIM_400000_NS6detail17trampoline_kernelINS0_14default_configENS1_20scan_config_selectorItEEZZNS1_9scan_implILNS1_25lookback_scan_determinismE0ELb1ELb1ES3_N6thrust23THRUST_200600_302600_NS6detail15normal_iteratorINS9_10device_ptrItEEEENS9_16discard_iteratorINS9_11use_defaultEEEt11max_functorItEtEEDaPvRmT3_T4_T5_mT6_P12ihipStream_tbENKUlT_T0_E_clISt17integral_constantIbLb0EESX_EEDaSS_ST_EUlSS_E_NS1_11comp_targetILNS1_3genE2ELNS1_11target_archE906ELNS1_3gpuE6ELNS1_3repE0EEENS1_30default_config_static_selectorELNS0_4arch9wavefront6targetE1EEEvT1_,comdat
.Lfunc_end3642:
	.size	_ZN7rocprim17ROCPRIM_400000_NS6detail17trampoline_kernelINS0_14default_configENS1_20scan_config_selectorItEEZZNS1_9scan_implILNS1_25lookback_scan_determinismE0ELb1ELb1ES3_N6thrust23THRUST_200600_302600_NS6detail15normal_iteratorINS9_10device_ptrItEEEENS9_16discard_iteratorINS9_11use_defaultEEEt11max_functorItEtEEDaPvRmT3_T4_T5_mT6_P12ihipStream_tbENKUlT_T0_E_clISt17integral_constantIbLb0EESX_EEDaSS_ST_EUlSS_E_NS1_11comp_targetILNS1_3genE2ELNS1_11target_archE906ELNS1_3gpuE6ELNS1_3repE0EEENS1_30default_config_static_selectorELNS0_4arch9wavefront6targetE1EEEvT1_, .Lfunc_end3642-_ZN7rocprim17ROCPRIM_400000_NS6detail17trampoline_kernelINS0_14default_configENS1_20scan_config_selectorItEEZZNS1_9scan_implILNS1_25lookback_scan_determinismE0ELb1ELb1ES3_N6thrust23THRUST_200600_302600_NS6detail15normal_iteratorINS9_10device_ptrItEEEENS9_16discard_iteratorINS9_11use_defaultEEEt11max_functorItEtEEDaPvRmT3_T4_T5_mT6_P12ihipStream_tbENKUlT_T0_E_clISt17integral_constantIbLb0EESX_EEDaSS_ST_EUlSS_E_NS1_11comp_targetILNS1_3genE2ELNS1_11target_archE906ELNS1_3gpuE6ELNS1_3repE0EEENS1_30default_config_static_selectorELNS0_4arch9wavefront6targetE1EEEvT1_
                                        ; -- End function
	.section	.AMDGPU.csdata,"",@progbits
; Kernel info:
; codeLenInByte = 0
; NumSgprs: 4
; NumVgprs: 0
; NumAgprs: 0
; TotalNumVgprs: 0
; ScratchSize: 0
; MemoryBound: 0
; FloatMode: 240
; IeeeMode: 1
; LDSByteSize: 0 bytes/workgroup (compile time only)
; SGPRBlocks: 0
; VGPRBlocks: 0
; NumSGPRsForWavesPerEU: 4
; NumVGPRsForWavesPerEU: 1
; AccumOffset: 4
; Occupancy: 8
; WaveLimiterHint : 0
; COMPUTE_PGM_RSRC2:SCRATCH_EN: 0
; COMPUTE_PGM_RSRC2:USER_SGPR: 6
; COMPUTE_PGM_RSRC2:TRAP_HANDLER: 0
; COMPUTE_PGM_RSRC2:TGID_X_EN: 1
; COMPUTE_PGM_RSRC2:TGID_Y_EN: 0
; COMPUTE_PGM_RSRC2:TGID_Z_EN: 0
; COMPUTE_PGM_RSRC2:TIDIG_COMP_CNT: 0
; COMPUTE_PGM_RSRC3_GFX90A:ACCUM_OFFSET: 0
; COMPUTE_PGM_RSRC3_GFX90A:TG_SPLIT: 0
	.section	.text._ZN7rocprim17ROCPRIM_400000_NS6detail17trampoline_kernelINS0_14default_configENS1_20scan_config_selectorItEEZZNS1_9scan_implILNS1_25lookback_scan_determinismE0ELb1ELb1ES3_N6thrust23THRUST_200600_302600_NS6detail15normal_iteratorINS9_10device_ptrItEEEENS9_16discard_iteratorINS9_11use_defaultEEEt11max_functorItEtEEDaPvRmT3_T4_T5_mT6_P12ihipStream_tbENKUlT_T0_E_clISt17integral_constantIbLb0EESX_EEDaSS_ST_EUlSS_E_NS1_11comp_targetILNS1_3genE10ELNS1_11target_archE1201ELNS1_3gpuE5ELNS1_3repE0EEENS1_30default_config_static_selectorELNS0_4arch9wavefront6targetE1EEEvT1_,"axG",@progbits,_ZN7rocprim17ROCPRIM_400000_NS6detail17trampoline_kernelINS0_14default_configENS1_20scan_config_selectorItEEZZNS1_9scan_implILNS1_25lookback_scan_determinismE0ELb1ELb1ES3_N6thrust23THRUST_200600_302600_NS6detail15normal_iteratorINS9_10device_ptrItEEEENS9_16discard_iteratorINS9_11use_defaultEEEt11max_functorItEtEEDaPvRmT3_T4_T5_mT6_P12ihipStream_tbENKUlT_T0_E_clISt17integral_constantIbLb0EESX_EEDaSS_ST_EUlSS_E_NS1_11comp_targetILNS1_3genE10ELNS1_11target_archE1201ELNS1_3gpuE5ELNS1_3repE0EEENS1_30default_config_static_selectorELNS0_4arch9wavefront6targetE1EEEvT1_,comdat
	.protected	_ZN7rocprim17ROCPRIM_400000_NS6detail17trampoline_kernelINS0_14default_configENS1_20scan_config_selectorItEEZZNS1_9scan_implILNS1_25lookback_scan_determinismE0ELb1ELb1ES3_N6thrust23THRUST_200600_302600_NS6detail15normal_iteratorINS9_10device_ptrItEEEENS9_16discard_iteratorINS9_11use_defaultEEEt11max_functorItEtEEDaPvRmT3_T4_T5_mT6_P12ihipStream_tbENKUlT_T0_E_clISt17integral_constantIbLb0EESX_EEDaSS_ST_EUlSS_E_NS1_11comp_targetILNS1_3genE10ELNS1_11target_archE1201ELNS1_3gpuE5ELNS1_3repE0EEENS1_30default_config_static_selectorELNS0_4arch9wavefront6targetE1EEEvT1_ ; -- Begin function _ZN7rocprim17ROCPRIM_400000_NS6detail17trampoline_kernelINS0_14default_configENS1_20scan_config_selectorItEEZZNS1_9scan_implILNS1_25lookback_scan_determinismE0ELb1ELb1ES3_N6thrust23THRUST_200600_302600_NS6detail15normal_iteratorINS9_10device_ptrItEEEENS9_16discard_iteratorINS9_11use_defaultEEEt11max_functorItEtEEDaPvRmT3_T4_T5_mT6_P12ihipStream_tbENKUlT_T0_E_clISt17integral_constantIbLb0EESX_EEDaSS_ST_EUlSS_E_NS1_11comp_targetILNS1_3genE10ELNS1_11target_archE1201ELNS1_3gpuE5ELNS1_3repE0EEENS1_30default_config_static_selectorELNS0_4arch9wavefront6targetE1EEEvT1_
	.globl	_ZN7rocprim17ROCPRIM_400000_NS6detail17trampoline_kernelINS0_14default_configENS1_20scan_config_selectorItEEZZNS1_9scan_implILNS1_25lookback_scan_determinismE0ELb1ELb1ES3_N6thrust23THRUST_200600_302600_NS6detail15normal_iteratorINS9_10device_ptrItEEEENS9_16discard_iteratorINS9_11use_defaultEEEt11max_functorItEtEEDaPvRmT3_T4_T5_mT6_P12ihipStream_tbENKUlT_T0_E_clISt17integral_constantIbLb0EESX_EEDaSS_ST_EUlSS_E_NS1_11comp_targetILNS1_3genE10ELNS1_11target_archE1201ELNS1_3gpuE5ELNS1_3repE0EEENS1_30default_config_static_selectorELNS0_4arch9wavefront6targetE1EEEvT1_
	.p2align	8
	.type	_ZN7rocprim17ROCPRIM_400000_NS6detail17trampoline_kernelINS0_14default_configENS1_20scan_config_selectorItEEZZNS1_9scan_implILNS1_25lookback_scan_determinismE0ELb1ELb1ES3_N6thrust23THRUST_200600_302600_NS6detail15normal_iteratorINS9_10device_ptrItEEEENS9_16discard_iteratorINS9_11use_defaultEEEt11max_functorItEtEEDaPvRmT3_T4_T5_mT6_P12ihipStream_tbENKUlT_T0_E_clISt17integral_constantIbLb0EESX_EEDaSS_ST_EUlSS_E_NS1_11comp_targetILNS1_3genE10ELNS1_11target_archE1201ELNS1_3gpuE5ELNS1_3repE0EEENS1_30default_config_static_selectorELNS0_4arch9wavefront6targetE1EEEvT1_,@function
_ZN7rocprim17ROCPRIM_400000_NS6detail17trampoline_kernelINS0_14default_configENS1_20scan_config_selectorItEEZZNS1_9scan_implILNS1_25lookback_scan_determinismE0ELb1ELb1ES3_N6thrust23THRUST_200600_302600_NS6detail15normal_iteratorINS9_10device_ptrItEEEENS9_16discard_iteratorINS9_11use_defaultEEEt11max_functorItEtEEDaPvRmT3_T4_T5_mT6_P12ihipStream_tbENKUlT_T0_E_clISt17integral_constantIbLb0EESX_EEDaSS_ST_EUlSS_E_NS1_11comp_targetILNS1_3genE10ELNS1_11target_archE1201ELNS1_3gpuE5ELNS1_3repE0EEENS1_30default_config_static_selectorELNS0_4arch9wavefront6targetE1EEEvT1_: ; @_ZN7rocprim17ROCPRIM_400000_NS6detail17trampoline_kernelINS0_14default_configENS1_20scan_config_selectorItEEZZNS1_9scan_implILNS1_25lookback_scan_determinismE0ELb1ELb1ES3_N6thrust23THRUST_200600_302600_NS6detail15normal_iteratorINS9_10device_ptrItEEEENS9_16discard_iteratorINS9_11use_defaultEEEt11max_functorItEtEEDaPvRmT3_T4_T5_mT6_P12ihipStream_tbENKUlT_T0_E_clISt17integral_constantIbLb0EESX_EEDaSS_ST_EUlSS_E_NS1_11comp_targetILNS1_3genE10ELNS1_11target_archE1201ELNS1_3gpuE5ELNS1_3repE0EEENS1_30default_config_static_selectorELNS0_4arch9wavefront6targetE1EEEvT1_
; %bb.0:
	.section	.rodata,"a",@progbits
	.p2align	6, 0x0
	.amdhsa_kernel _ZN7rocprim17ROCPRIM_400000_NS6detail17trampoline_kernelINS0_14default_configENS1_20scan_config_selectorItEEZZNS1_9scan_implILNS1_25lookback_scan_determinismE0ELb1ELb1ES3_N6thrust23THRUST_200600_302600_NS6detail15normal_iteratorINS9_10device_ptrItEEEENS9_16discard_iteratorINS9_11use_defaultEEEt11max_functorItEtEEDaPvRmT3_T4_T5_mT6_P12ihipStream_tbENKUlT_T0_E_clISt17integral_constantIbLb0EESX_EEDaSS_ST_EUlSS_E_NS1_11comp_targetILNS1_3genE10ELNS1_11target_archE1201ELNS1_3gpuE5ELNS1_3repE0EEENS1_30default_config_static_selectorELNS0_4arch9wavefront6targetE1EEEvT1_
		.amdhsa_group_segment_fixed_size 0
		.amdhsa_private_segment_fixed_size 0
		.amdhsa_kernarg_size 104
		.amdhsa_user_sgpr_count 6
		.amdhsa_user_sgpr_private_segment_buffer 1
		.amdhsa_user_sgpr_dispatch_ptr 0
		.amdhsa_user_sgpr_queue_ptr 0
		.amdhsa_user_sgpr_kernarg_segment_ptr 1
		.amdhsa_user_sgpr_dispatch_id 0
		.amdhsa_user_sgpr_flat_scratch_init 0
		.amdhsa_user_sgpr_kernarg_preload_length 0
		.amdhsa_user_sgpr_kernarg_preload_offset 0
		.amdhsa_user_sgpr_private_segment_size 0
		.amdhsa_uses_dynamic_stack 0
		.amdhsa_system_sgpr_private_segment_wavefront_offset 0
		.amdhsa_system_sgpr_workgroup_id_x 1
		.amdhsa_system_sgpr_workgroup_id_y 0
		.amdhsa_system_sgpr_workgroup_id_z 0
		.amdhsa_system_sgpr_workgroup_info 0
		.amdhsa_system_vgpr_workitem_id 0
		.amdhsa_next_free_vgpr 1
		.amdhsa_next_free_sgpr 0
		.amdhsa_accum_offset 4
		.amdhsa_reserve_vcc 0
		.amdhsa_reserve_flat_scratch 0
		.amdhsa_float_round_mode_32 0
		.amdhsa_float_round_mode_16_64 0
		.amdhsa_float_denorm_mode_32 3
		.amdhsa_float_denorm_mode_16_64 3
		.amdhsa_dx10_clamp 1
		.amdhsa_ieee_mode 1
		.amdhsa_fp16_overflow 0
		.amdhsa_tg_split 0
		.amdhsa_exception_fp_ieee_invalid_op 0
		.amdhsa_exception_fp_denorm_src 0
		.amdhsa_exception_fp_ieee_div_zero 0
		.amdhsa_exception_fp_ieee_overflow 0
		.amdhsa_exception_fp_ieee_underflow 0
		.amdhsa_exception_fp_ieee_inexact 0
		.amdhsa_exception_int_div_zero 0
	.end_amdhsa_kernel
	.section	.text._ZN7rocprim17ROCPRIM_400000_NS6detail17trampoline_kernelINS0_14default_configENS1_20scan_config_selectorItEEZZNS1_9scan_implILNS1_25lookback_scan_determinismE0ELb1ELb1ES3_N6thrust23THRUST_200600_302600_NS6detail15normal_iteratorINS9_10device_ptrItEEEENS9_16discard_iteratorINS9_11use_defaultEEEt11max_functorItEtEEDaPvRmT3_T4_T5_mT6_P12ihipStream_tbENKUlT_T0_E_clISt17integral_constantIbLb0EESX_EEDaSS_ST_EUlSS_E_NS1_11comp_targetILNS1_3genE10ELNS1_11target_archE1201ELNS1_3gpuE5ELNS1_3repE0EEENS1_30default_config_static_selectorELNS0_4arch9wavefront6targetE1EEEvT1_,"axG",@progbits,_ZN7rocprim17ROCPRIM_400000_NS6detail17trampoline_kernelINS0_14default_configENS1_20scan_config_selectorItEEZZNS1_9scan_implILNS1_25lookback_scan_determinismE0ELb1ELb1ES3_N6thrust23THRUST_200600_302600_NS6detail15normal_iteratorINS9_10device_ptrItEEEENS9_16discard_iteratorINS9_11use_defaultEEEt11max_functorItEtEEDaPvRmT3_T4_T5_mT6_P12ihipStream_tbENKUlT_T0_E_clISt17integral_constantIbLb0EESX_EEDaSS_ST_EUlSS_E_NS1_11comp_targetILNS1_3genE10ELNS1_11target_archE1201ELNS1_3gpuE5ELNS1_3repE0EEENS1_30default_config_static_selectorELNS0_4arch9wavefront6targetE1EEEvT1_,comdat
.Lfunc_end3643:
	.size	_ZN7rocprim17ROCPRIM_400000_NS6detail17trampoline_kernelINS0_14default_configENS1_20scan_config_selectorItEEZZNS1_9scan_implILNS1_25lookback_scan_determinismE0ELb1ELb1ES3_N6thrust23THRUST_200600_302600_NS6detail15normal_iteratorINS9_10device_ptrItEEEENS9_16discard_iteratorINS9_11use_defaultEEEt11max_functorItEtEEDaPvRmT3_T4_T5_mT6_P12ihipStream_tbENKUlT_T0_E_clISt17integral_constantIbLb0EESX_EEDaSS_ST_EUlSS_E_NS1_11comp_targetILNS1_3genE10ELNS1_11target_archE1201ELNS1_3gpuE5ELNS1_3repE0EEENS1_30default_config_static_selectorELNS0_4arch9wavefront6targetE1EEEvT1_, .Lfunc_end3643-_ZN7rocprim17ROCPRIM_400000_NS6detail17trampoline_kernelINS0_14default_configENS1_20scan_config_selectorItEEZZNS1_9scan_implILNS1_25lookback_scan_determinismE0ELb1ELb1ES3_N6thrust23THRUST_200600_302600_NS6detail15normal_iteratorINS9_10device_ptrItEEEENS9_16discard_iteratorINS9_11use_defaultEEEt11max_functorItEtEEDaPvRmT3_T4_T5_mT6_P12ihipStream_tbENKUlT_T0_E_clISt17integral_constantIbLb0EESX_EEDaSS_ST_EUlSS_E_NS1_11comp_targetILNS1_3genE10ELNS1_11target_archE1201ELNS1_3gpuE5ELNS1_3repE0EEENS1_30default_config_static_selectorELNS0_4arch9wavefront6targetE1EEEvT1_
                                        ; -- End function
	.section	.AMDGPU.csdata,"",@progbits
; Kernel info:
; codeLenInByte = 0
; NumSgprs: 4
; NumVgprs: 0
; NumAgprs: 0
; TotalNumVgprs: 0
; ScratchSize: 0
; MemoryBound: 0
; FloatMode: 240
; IeeeMode: 1
; LDSByteSize: 0 bytes/workgroup (compile time only)
; SGPRBlocks: 0
; VGPRBlocks: 0
; NumSGPRsForWavesPerEU: 4
; NumVGPRsForWavesPerEU: 1
; AccumOffset: 4
; Occupancy: 8
; WaveLimiterHint : 0
; COMPUTE_PGM_RSRC2:SCRATCH_EN: 0
; COMPUTE_PGM_RSRC2:USER_SGPR: 6
; COMPUTE_PGM_RSRC2:TRAP_HANDLER: 0
; COMPUTE_PGM_RSRC2:TGID_X_EN: 1
; COMPUTE_PGM_RSRC2:TGID_Y_EN: 0
; COMPUTE_PGM_RSRC2:TGID_Z_EN: 0
; COMPUTE_PGM_RSRC2:TIDIG_COMP_CNT: 0
; COMPUTE_PGM_RSRC3_GFX90A:ACCUM_OFFSET: 0
; COMPUTE_PGM_RSRC3_GFX90A:TG_SPLIT: 0
	.section	.text._ZN7rocprim17ROCPRIM_400000_NS6detail17trampoline_kernelINS0_14default_configENS1_20scan_config_selectorItEEZZNS1_9scan_implILNS1_25lookback_scan_determinismE0ELb1ELb1ES3_N6thrust23THRUST_200600_302600_NS6detail15normal_iteratorINS9_10device_ptrItEEEENS9_16discard_iteratorINS9_11use_defaultEEEt11max_functorItEtEEDaPvRmT3_T4_T5_mT6_P12ihipStream_tbENKUlT_T0_E_clISt17integral_constantIbLb0EESX_EEDaSS_ST_EUlSS_E_NS1_11comp_targetILNS1_3genE10ELNS1_11target_archE1200ELNS1_3gpuE4ELNS1_3repE0EEENS1_30default_config_static_selectorELNS0_4arch9wavefront6targetE1EEEvT1_,"axG",@progbits,_ZN7rocprim17ROCPRIM_400000_NS6detail17trampoline_kernelINS0_14default_configENS1_20scan_config_selectorItEEZZNS1_9scan_implILNS1_25lookback_scan_determinismE0ELb1ELb1ES3_N6thrust23THRUST_200600_302600_NS6detail15normal_iteratorINS9_10device_ptrItEEEENS9_16discard_iteratorINS9_11use_defaultEEEt11max_functorItEtEEDaPvRmT3_T4_T5_mT6_P12ihipStream_tbENKUlT_T0_E_clISt17integral_constantIbLb0EESX_EEDaSS_ST_EUlSS_E_NS1_11comp_targetILNS1_3genE10ELNS1_11target_archE1200ELNS1_3gpuE4ELNS1_3repE0EEENS1_30default_config_static_selectorELNS0_4arch9wavefront6targetE1EEEvT1_,comdat
	.protected	_ZN7rocprim17ROCPRIM_400000_NS6detail17trampoline_kernelINS0_14default_configENS1_20scan_config_selectorItEEZZNS1_9scan_implILNS1_25lookback_scan_determinismE0ELb1ELb1ES3_N6thrust23THRUST_200600_302600_NS6detail15normal_iteratorINS9_10device_ptrItEEEENS9_16discard_iteratorINS9_11use_defaultEEEt11max_functorItEtEEDaPvRmT3_T4_T5_mT6_P12ihipStream_tbENKUlT_T0_E_clISt17integral_constantIbLb0EESX_EEDaSS_ST_EUlSS_E_NS1_11comp_targetILNS1_3genE10ELNS1_11target_archE1200ELNS1_3gpuE4ELNS1_3repE0EEENS1_30default_config_static_selectorELNS0_4arch9wavefront6targetE1EEEvT1_ ; -- Begin function _ZN7rocprim17ROCPRIM_400000_NS6detail17trampoline_kernelINS0_14default_configENS1_20scan_config_selectorItEEZZNS1_9scan_implILNS1_25lookback_scan_determinismE0ELb1ELb1ES3_N6thrust23THRUST_200600_302600_NS6detail15normal_iteratorINS9_10device_ptrItEEEENS9_16discard_iteratorINS9_11use_defaultEEEt11max_functorItEtEEDaPvRmT3_T4_T5_mT6_P12ihipStream_tbENKUlT_T0_E_clISt17integral_constantIbLb0EESX_EEDaSS_ST_EUlSS_E_NS1_11comp_targetILNS1_3genE10ELNS1_11target_archE1200ELNS1_3gpuE4ELNS1_3repE0EEENS1_30default_config_static_selectorELNS0_4arch9wavefront6targetE1EEEvT1_
	.globl	_ZN7rocprim17ROCPRIM_400000_NS6detail17trampoline_kernelINS0_14default_configENS1_20scan_config_selectorItEEZZNS1_9scan_implILNS1_25lookback_scan_determinismE0ELb1ELb1ES3_N6thrust23THRUST_200600_302600_NS6detail15normal_iteratorINS9_10device_ptrItEEEENS9_16discard_iteratorINS9_11use_defaultEEEt11max_functorItEtEEDaPvRmT3_T4_T5_mT6_P12ihipStream_tbENKUlT_T0_E_clISt17integral_constantIbLb0EESX_EEDaSS_ST_EUlSS_E_NS1_11comp_targetILNS1_3genE10ELNS1_11target_archE1200ELNS1_3gpuE4ELNS1_3repE0EEENS1_30default_config_static_selectorELNS0_4arch9wavefront6targetE1EEEvT1_
	.p2align	8
	.type	_ZN7rocprim17ROCPRIM_400000_NS6detail17trampoline_kernelINS0_14default_configENS1_20scan_config_selectorItEEZZNS1_9scan_implILNS1_25lookback_scan_determinismE0ELb1ELb1ES3_N6thrust23THRUST_200600_302600_NS6detail15normal_iteratorINS9_10device_ptrItEEEENS9_16discard_iteratorINS9_11use_defaultEEEt11max_functorItEtEEDaPvRmT3_T4_T5_mT6_P12ihipStream_tbENKUlT_T0_E_clISt17integral_constantIbLb0EESX_EEDaSS_ST_EUlSS_E_NS1_11comp_targetILNS1_3genE10ELNS1_11target_archE1200ELNS1_3gpuE4ELNS1_3repE0EEENS1_30default_config_static_selectorELNS0_4arch9wavefront6targetE1EEEvT1_,@function
_ZN7rocprim17ROCPRIM_400000_NS6detail17trampoline_kernelINS0_14default_configENS1_20scan_config_selectorItEEZZNS1_9scan_implILNS1_25lookback_scan_determinismE0ELb1ELb1ES3_N6thrust23THRUST_200600_302600_NS6detail15normal_iteratorINS9_10device_ptrItEEEENS9_16discard_iteratorINS9_11use_defaultEEEt11max_functorItEtEEDaPvRmT3_T4_T5_mT6_P12ihipStream_tbENKUlT_T0_E_clISt17integral_constantIbLb0EESX_EEDaSS_ST_EUlSS_E_NS1_11comp_targetILNS1_3genE10ELNS1_11target_archE1200ELNS1_3gpuE4ELNS1_3repE0EEENS1_30default_config_static_selectorELNS0_4arch9wavefront6targetE1EEEvT1_: ; @_ZN7rocprim17ROCPRIM_400000_NS6detail17trampoline_kernelINS0_14default_configENS1_20scan_config_selectorItEEZZNS1_9scan_implILNS1_25lookback_scan_determinismE0ELb1ELb1ES3_N6thrust23THRUST_200600_302600_NS6detail15normal_iteratorINS9_10device_ptrItEEEENS9_16discard_iteratorINS9_11use_defaultEEEt11max_functorItEtEEDaPvRmT3_T4_T5_mT6_P12ihipStream_tbENKUlT_T0_E_clISt17integral_constantIbLb0EESX_EEDaSS_ST_EUlSS_E_NS1_11comp_targetILNS1_3genE10ELNS1_11target_archE1200ELNS1_3gpuE4ELNS1_3repE0EEENS1_30default_config_static_selectorELNS0_4arch9wavefront6targetE1EEEvT1_
; %bb.0:
	.section	.rodata,"a",@progbits
	.p2align	6, 0x0
	.amdhsa_kernel _ZN7rocprim17ROCPRIM_400000_NS6detail17trampoline_kernelINS0_14default_configENS1_20scan_config_selectorItEEZZNS1_9scan_implILNS1_25lookback_scan_determinismE0ELb1ELb1ES3_N6thrust23THRUST_200600_302600_NS6detail15normal_iteratorINS9_10device_ptrItEEEENS9_16discard_iteratorINS9_11use_defaultEEEt11max_functorItEtEEDaPvRmT3_T4_T5_mT6_P12ihipStream_tbENKUlT_T0_E_clISt17integral_constantIbLb0EESX_EEDaSS_ST_EUlSS_E_NS1_11comp_targetILNS1_3genE10ELNS1_11target_archE1200ELNS1_3gpuE4ELNS1_3repE0EEENS1_30default_config_static_selectorELNS0_4arch9wavefront6targetE1EEEvT1_
		.amdhsa_group_segment_fixed_size 0
		.amdhsa_private_segment_fixed_size 0
		.amdhsa_kernarg_size 104
		.amdhsa_user_sgpr_count 6
		.amdhsa_user_sgpr_private_segment_buffer 1
		.amdhsa_user_sgpr_dispatch_ptr 0
		.amdhsa_user_sgpr_queue_ptr 0
		.amdhsa_user_sgpr_kernarg_segment_ptr 1
		.amdhsa_user_sgpr_dispatch_id 0
		.amdhsa_user_sgpr_flat_scratch_init 0
		.amdhsa_user_sgpr_kernarg_preload_length 0
		.amdhsa_user_sgpr_kernarg_preload_offset 0
		.amdhsa_user_sgpr_private_segment_size 0
		.amdhsa_uses_dynamic_stack 0
		.amdhsa_system_sgpr_private_segment_wavefront_offset 0
		.amdhsa_system_sgpr_workgroup_id_x 1
		.amdhsa_system_sgpr_workgroup_id_y 0
		.amdhsa_system_sgpr_workgroup_id_z 0
		.amdhsa_system_sgpr_workgroup_info 0
		.amdhsa_system_vgpr_workitem_id 0
		.amdhsa_next_free_vgpr 1
		.amdhsa_next_free_sgpr 0
		.amdhsa_accum_offset 4
		.amdhsa_reserve_vcc 0
		.amdhsa_reserve_flat_scratch 0
		.amdhsa_float_round_mode_32 0
		.amdhsa_float_round_mode_16_64 0
		.amdhsa_float_denorm_mode_32 3
		.amdhsa_float_denorm_mode_16_64 3
		.amdhsa_dx10_clamp 1
		.amdhsa_ieee_mode 1
		.amdhsa_fp16_overflow 0
		.amdhsa_tg_split 0
		.amdhsa_exception_fp_ieee_invalid_op 0
		.amdhsa_exception_fp_denorm_src 0
		.amdhsa_exception_fp_ieee_div_zero 0
		.amdhsa_exception_fp_ieee_overflow 0
		.amdhsa_exception_fp_ieee_underflow 0
		.amdhsa_exception_fp_ieee_inexact 0
		.amdhsa_exception_int_div_zero 0
	.end_amdhsa_kernel
	.section	.text._ZN7rocprim17ROCPRIM_400000_NS6detail17trampoline_kernelINS0_14default_configENS1_20scan_config_selectorItEEZZNS1_9scan_implILNS1_25lookback_scan_determinismE0ELb1ELb1ES3_N6thrust23THRUST_200600_302600_NS6detail15normal_iteratorINS9_10device_ptrItEEEENS9_16discard_iteratorINS9_11use_defaultEEEt11max_functorItEtEEDaPvRmT3_T4_T5_mT6_P12ihipStream_tbENKUlT_T0_E_clISt17integral_constantIbLb0EESX_EEDaSS_ST_EUlSS_E_NS1_11comp_targetILNS1_3genE10ELNS1_11target_archE1200ELNS1_3gpuE4ELNS1_3repE0EEENS1_30default_config_static_selectorELNS0_4arch9wavefront6targetE1EEEvT1_,"axG",@progbits,_ZN7rocprim17ROCPRIM_400000_NS6detail17trampoline_kernelINS0_14default_configENS1_20scan_config_selectorItEEZZNS1_9scan_implILNS1_25lookback_scan_determinismE0ELb1ELb1ES3_N6thrust23THRUST_200600_302600_NS6detail15normal_iteratorINS9_10device_ptrItEEEENS9_16discard_iteratorINS9_11use_defaultEEEt11max_functorItEtEEDaPvRmT3_T4_T5_mT6_P12ihipStream_tbENKUlT_T0_E_clISt17integral_constantIbLb0EESX_EEDaSS_ST_EUlSS_E_NS1_11comp_targetILNS1_3genE10ELNS1_11target_archE1200ELNS1_3gpuE4ELNS1_3repE0EEENS1_30default_config_static_selectorELNS0_4arch9wavefront6targetE1EEEvT1_,comdat
.Lfunc_end3644:
	.size	_ZN7rocprim17ROCPRIM_400000_NS6detail17trampoline_kernelINS0_14default_configENS1_20scan_config_selectorItEEZZNS1_9scan_implILNS1_25lookback_scan_determinismE0ELb1ELb1ES3_N6thrust23THRUST_200600_302600_NS6detail15normal_iteratorINS9_10device_ptrItEEEENS9_16discard_iteratorINS9_11use_defaultEEEt11max_functorItEtEEDaPvRmT3_T4_T5_mT6_P12ihipStream_tbENKUlT_T0_E_clISt17integral_constantIbLb0EESX_EEDaSS_ST_EUlSS_E_NS1_11comp_targetILNS1_3genE10ELNS1_11target_archE1200ELNS1_3gpuE4ELNS1_3repE0EEENS1_30default_config_static_selectorELNS0_4arch9wavefront6targetE1EEEvT1_, .Lfunc_end3644-_ZN7rocprim17ROCPRIM_400000_NS6detail17trampoline_kernelINS0_14default_configENS1_20scan_config_selectorItEEZZNS1_9scan_implILNS1_25lookback_scan_determinismE0ELb1ELb1ES3_N6thrust23THRUST_200600_302600_NS6detail15normal_iteratorINS9_10device_ptrItEEEENS9_16discard_iteratorINS9_11use_defaultEEEt11max_functorItEtEEDaPvRmT3_T4_T5_mT6_P12ihipStream_tbENKUlT_T0_E_clISt17integral_constantIbLb0EESX_EEDaSS_ST_EUlSS_E_NS1_11comp_targetILNS1_3genE10ELNS1_11target_archE1200ELNS1_3gpuE4ELNS1_3repE0EEENS1_30default_config_static_selectorELNS0_4arch9wavefront6targetE1EEEvT1_
                                        ; -- End function
	.section	.AMDGPU.csdata,"",@progbits
; Kernel info:
; codeLenInByte = 0
; NumSgprs: 4
; NumVgprs: 0
; NumAgprs: 0
; TotalNumVgprs: 0
; ScratchSize: 0
; MemoryBound: 0
; FloatMode: 240
; IeeeMode: 1
; LDSByteSize: 0 bytes/workgroup (compile time only)
; SGPRBlocks: 0
; VGPRBlocks: 0
; NumSGPRsForWavesPerEU: 4
; NumVGPRsForWavesPerEU: 1
; AccumOffset: 4
; Occupancy: 8
; WaveLimiterHint : 0
; COMPUTE_PGM_RSRC2:SCRATCH_EN: 0
; COMPUTE_PGM_RSRC2:USER_SGPR: 6
; COMPUTE_PGM_RSRC2:TRAP_HANDLER: 0
; COMPUTE_PGM_RSRC2:TGID_X_EN: 1
; COMPUTE_PGM_RSRC2:TGID_Y_EN: 0
; COMPUTE_PGM_RSRC2:TGID_Z_EN: 0
; COMPUTE_PGM_RSRC2:TIDIG_COMP_CNT: 0
; COMPUTE_PGM_RSRC3_GFX90A:ACCUM_OFFSET: 0
; COMPUTE_PGM_RSRC3_GFX90A:TG_SPLIT: 0
	.section	.text._ZN7rocprim17ROCPRIM_400000_NS6detail17trampoline_kernelINS0_14default_configENS1_20scan_config_selectorItEEZZNS1_9scan_implILNS1_25lookback_scan_determinismE0ELb1ELb1ES3_N6thrust23THRUST_200600_302600_NS6detail15normal_iteratorINS9_10device_ptrItEEEENS9_16discard_iteratorINS9_11use_defaultEEEt11max_functorItEtEEDaPvRmT3_T4_T5_mT6_P12ihipStream_tbENKUlT_T0_E_clISt17integral_constantIbLb0EESX_EEDaSS_ST_EUlSS_E_NS1_11comp_targetILNS1_3genE9ELNS1_11target_archE1100ELNS1_3gpuE3ELNS1_3repE0EEENS1_30default_config_static_selectorELNS0_4arch9wavefront6targetE1EEEvT1_,"axG",@progbits,_ZN7rocprim17ROCPRIM_400000_NS6detail17trampoline_kernelINS0_14default_configENS1_20scan_config_selectorItEEZZNS1_9scan_implILNS1_25lookback_scan_determinismE0ELb1ELb1ES3_N6thrust23THRUST_200600_302600_NS6detail15normal_iteratorINS9_10device_ptrItEEEENS9_16discard_iteratorINS9_11use_defaultEEEt11max_functorItEtEEDaPvRmT3_T4_T5_mT6_P12ihipStream_tbENKUlT_T0_E_clISt17integral_constantIbLb0EESX_EEDaSS_ST_EUlSS_E_NS1_11comp_targetILNS1_3genE9ELNS1_11target_archE1100ELNS1_3gpuE3ELNS1_3repE0EEENS1_30default_config_static_selectorELNS0_4arch9wavefront6targetE1EEEvT1_,comdat
	.protected	_ZN7rocprim17ROCPRIM_400000_NS6detail17trampoline_kernelINS0_14default_configENS1_20scan_config_selectorItEEZZNS1_9scan_implILNS1_25lookback_scan_determinismE0ELb1ELb1ES3_N6thrust23THRUST_200600_302600_NS6detail15normal_iteratorINS9_10device_ptrItEEEENS9_16discard_iteratorINS9_11use_defaultEEEt11max_functorItEtEEDaPvRmT3_T4_T5_mT6_P12ihipStream_tbENKUlT_T0_E_clISt17integral_constantIbLb0EESX_EEDaSS_ST_EUlSS_E_NS1_11comp_targetILNS1_3genE9ELNS1_11target_archE1100ELNS1_3gpuE3ELNS1_3repE0EEENS1_30default_config_static_selectorELNS0_4arch9wavefront6targetE1EEEvT1_ ; -- Begin function _ZN7rocprim17ROCPRIM_400000_NS6detail17trampoline_kernelINS0_14default_configENS1_20scan_config_selectorItEEZZNS1_9scan_implILNS1_25lookback_scan_determinismE0ELb1ELb1ES3_N6thrust23THRUST_200600_302600_NS6detail15normal_iteratorINS9_10device_ptrItEEEENS9_16discard_iteratorINS9_11use_defaultEEEt11max_functorItEtEEDaPvRmT3_T4_T5_mT6_P12ihipStream_tbENKUlT_T0_E_clISt17integral_constantIbLb0EESX_EEDaSS_ST_EUlSS_E_NS1_11comp_targetILNS1_3genE9ELNS1_11target_archE1100ELNS1_3gpuE3ELNS1_3repE0EEENS1_30default_config_static_selectorELNS0_4arch9wavefront6targetE1EEEvT1_
	.globl	_ZN7rocprim17ROCPRIM_400000_NS6detail17trampoline_kernelINS0_14default_configENS1_20scan_config_selectorItEEZZNS1_9scan_implILNS1_25lookback_scan_determinismE0ELb1ELb1ES3_N6thrust23THRUST_200600_302600_NS6detail15normal_iteratorINS9_10device_ptrItEEEENS9_16discard_iteratorINS9_11use_defaultEEEt11max_functorItEtEEDaPvRmT3_T4_T5_mT6_P12ihipStream_tbENKUlT_T0_E_clISt17integral_constantIbLb0EESX_EEDaSS_ST_EUlSS_E_NS1_11comp_targetILNS1_3genE9ELNS1_11target_archE1100ELNS1_3gpuE3ELNS1_3repE0EEENS1_30default_config_static_selectorELNS0_4arch9wavefront6targetE1EEEvT1_
	.p2align	8
	.type	_ZN7rocprim17ROCPRIM_400000_NS6detail17trampoline_kernelINS0_14default_configENS1_20scan_config_selectorItEEZZNS1_9scan_implILNS1_25lookback_scan_determinismE0ELb1ELb1ES3_N6thrust23THRUST_200600_302600_NS6detail15normal_iteratorINS9_10device_ptrItEEEENS9_16discard_iteratorINS9_11use_defaultEEEt11max_functorItEtEEDaPvRmT3_T4_T5_mT6_P12ihipStream_tbENKUlT_T0_E_clISt17integral_constantIbLb0EESX_EEDaSS_ST_EUlSS_E_NS1_11comp_targetILNS1_3genE9ELNS1_11target_archE1100ELNS1_3gpuE3ELNS1_3repE0EEENS1_30default_config_static_selectorELNS0_4arch9wavefront6targetE1EEEvT1_,@function
_ZN7rocprim17ROCPRIM_400000_NS6detail17trampoline_kernelINS0_14default_configENS1_20scan_config_selectorItEEZZNS1_9scan_implILNS1_25lookback_scan_determinismE0ELb1ELb1ES3_N6thrust23THRUST_200600_302600_NS6detail15normal_iteratorINS9_10device_ptrItEEEENS9_16discard_iteratorINS9_11use_defaultEEEt11max_functorItEtEEDaPvRmT3_T4_T5_mT6_P12ihipStream_tbENKUlT_T0_E_clISt17integral_constantIbLb0EESX_EEDaSS_ST_EUlSS_E_NS1_11comp_targetILNS1_3genE9ELNS1_11target_archE1100ELNS1_3gpuE3ELNS1_3repE0EEENS1_30default_config_static_selectorELNS0_4arch9wavefront6targetE1EEEvT1_: ; @_ZN7rocprim17ROCPRIM_400000_NS6detail17trampoline_kernelINS0_14default_configENS1_20scan_config_selectorItEEZZNS1_9scan_implILNS1_25lookback_scan_determinismE0ELb1ELb1ES3_N6thrust23THRUST_200600_302600_NS6detail15normal_iteratorINS9_10device_ptrItEEEENS9_16discard_iteratorINS9_11use_defaultEEEt11max_functorItEtEEDaPvRmT3_T4_T5_mT6_P12ihipStream_tbENKUlT_T0_E_clISt17integral_constantIbLb0EESX_EEDaSS_ST_EUlSS_E_NS1_11comp_targetILNS1_3genE9ELNS1_11target_archE1100ELNS1_3gpuE3ELNS1_3repE0EEENS1_30default_config_static_selectorELNS0_4arch9wavefront6targetE1EEEvT1_
; %bb.0:
	.section	.rodata,"a",@progbits
	.p2align	6, 0x0
	.amdhsa_kernel _ZN7rocprim17ROCPRIM_400000_NS6detail17trampoline_kernelINS0_14default_configENS1_20scan_config_selectorItEEZZNS1_9scan_implILNS1_25lookback_scan_determinismE0ELb1ELb1ES3_N6thrust23THRUST_200600_302600_NS6detail15normal_iteratorINS9_10device_ptrItEEEENS9_16discard_iteratorINS9_11use_defaultEEEt11max_functorItEtEEDaPvRmT3_T4_T5_mT6_P12ihipStream_tbENKUlT_T0_E_clISt17integral_constantIbLb0EESX_EEDaSS_ST_EUlSS_E_NS1_11comp_targetILNS1_3genE9ELNS1_11target_archE1100ELNS1_3gpuE3ELNS1_3repE0EEENS1_30default_config_static_selectorELNS0_4arch9wavefront6targetE1EEEvT1_
		.amdhsa_group_segment_fixed_size 0
		.amdhsa_private_segment_fixed_size 0
		.amdhsa_kernarg_size 104
		.amdhsa_user_sgpr_count 6
		.amdhsa_user_sgpr_private_segment_buffer 1
		.amdhsa_user_sgpr_dispatch_ptr 0
		.amdhsa_user_sgpr_queue_ptr 0
		.amdhsa_user_sgpr_kernarg_segment_ptr 1
		.amdhsa_user_sgpr_dispatch_id 0
		.amdhsa_user_sgpr_flat_scratch_init 0
		.amdhsa_user_sgpr_kernarg_preload_length 0
		.amdhsa_user_sgpr_kernarg_preload_offset 0
		.amdhsa_user_sgpr_private_segment_size 0
		.amdhsa_uses_dynamic_stack 0
		.amdhsa_system_sgpr_private_segment_wavefront_offset 0
		.amdhsa_system_sgpr_workgroup_id_x 1
		.amdhsa_system_sgpr_workgroup_id_y 0
		.amdhsa_system_sgpr_workgroup_id_z 0
		.amdhsa_system_sgpr_workgroup_info 0
		.amdhsa_system_vgpr_workitem_id 0
		.amdhsa_next_free_vgpr 1
		.amdhsa_next_free_sgpr 0
		.amdhsa_accum_offset 4
		.amdhsa_reserve_vcc 0
		.amdhsa_reserve_flat_scratch 0
		.amdhsa_float_round_mode_32 0
		.amdhsa_float_round_mode_16_64 0
		.amdhsa_float_denorm_mode_32 3
		.amdhsa_float_denorm_mode_16_64 3
		.amdhsa_dx10_clamp 1
		.amdhsa_ieee_mode 1
		.amdhsa_fp16_overflow 0
		.amdhsa_tg_split 0
		.amdhsa_exception_fp_ieee_invalid_op 0
		.amdhsa_exception_fp_denorm_src 0
		.amdhsa_exception_fp_ieee_div_zero 0
		.amdhsa_exception_fp_ieee_overflow 0
		.amdhsa_exception_fp_ieee_underflow 0
		.amdhsa_exception_fp_ieee_inexact 0
		.amdhsa_exception_int_div_zero 0
	.end_amdhsa_kernel
	.section	.text._ZN7rocprim17ROCPRIM_400000_NS6detail17trampoline_kernelINS0_14default_configENS1_20scan_config_selectorItEEZZNS1_9scan_implILNS1_25lookback_scan_determinismE0ELb1ELb1ES3_N6thrust23THRUST_200600_302600_NS6detail15normal_iteratorINS9_10device_ptrItEEEENS9_16discard_iteratorINS9_11use_defaultEEEt11max_functorItEtEEDaPvRmT3_T4_T5_mT6_P12ihipStream_tbENKUlT_T0_E_clISt17integral_constantIbLb0EESX_EEDaSS_ST_EUlSS_E_NS1_11comp_targetILNS1_3genE9ELNS1_11target_archE1100ELNS1_3gpuE3ELNS1_3repE0EEENS1_30default_config_static_selectorELNS0_4arch9wavefront6targetE1EEEvT1_,"axG",@progbits,_ZN7rocprim17ROCPRIM_400000_NS6detail17trampoline_kernelINS0_14default_configENS1_20scan_config_selectorItEEZZNS1_9scan_implILNS1_25lookback_scan_determinismE0ELb1ELb1ES3_N6thrust23THRUST_200600_302600_NS6detail15normal_iteratorINS9_10device_ptrItEEEENS9_16discard_iteratorINS9_11use_defaultEEEt11max_functorItEtEEDaPvRmT3_T4_T5_mT6_P12ihipStream_tbENKUlT_T0_E_clISt17integral_constantIbLb0EESX_EEDaSS_ST_EUlSS_E_NS1_11comp_targetILNS1_3genE9ELNS1_11target_archE1100ELNS1_3gpuE3ELNS1_3repE0EEENS1_30default_config_static_selectorELNS0_4arch9wavefront6targetE1EEEvT1_,comdat
.Lfunc_end3645:
	.size	_ZN7rocprim17ROCPRIM_400000_NS6detail17trampoline_kernelINS0_14default_configENS1_20scan_config_selectorItEEZZNS1_9scan_implILNS1_25lookback_scan_determinismE0ELb1ELb1ES3_N6thrust23THRUST_200600_302600_NS6detail15normal_iteratorINS9_10device_ptrItEEEENS9_16discard_iteratorINS9_11use_defaultEEEt11max_functorItEtEEDaPvRmT3_T4_T5_mT6_P12ihipStream_tbENKUlT_T0_E_clISt17integral_constantIbLb0EESX_EEDaSS_ST_EUlSS_E_NS1_11comp_targetILNS1_3genE9ELNS1_11target_archE1100ELNS1_3gpuE3ELNS1_3repE0EEENS1_30default_config_static_selectorELNS0_4arch9wavefront6targetE1EEEvT1_, .Lfunc_end3645-_ZN7rocprim17ROCPRIM_400000_NS6detail17trampoline_kernelINS0_14default_configENS1_20scan_config_selectorItEEZZNS1_9scan_implILNS1_25lookback_scan_determinismE0ELb1ELb1ES3_N6thrust23THRUST_200600_302600_NS6detail15normal_iteratorINS9_10device_ptrItEEEENS9_16discard_iteratorINS9_11use_defaultEEEt11max_functorItEtEEDaPvRmT3_T4_T5_mT6_P12ihipStream_tbENKUlT_T0_E_clISt17integral_constantIbLb0EESX_EEDaSS_ST_EUlSS_E_NS1_11comp_targetILNS1_3genE9ELNS1_11target_archE1100ELNS1_3gpuE3ELNS1_3repE0EEENS1_30default_config_static_selectorELNS0_4arch9wavefront6targetE1EEEvT1_
                                        ; -- End function
	.section	.AMDGPU.csdata,"",@progbits
; Kernel info:
; codeLenInByte = 0
; NumSgprs: 4
; NumVgprs: 0
; NumAgprs: 0
; TotalNumVgprs: 0
; ScratchSize: 0
; MemoryBound: 0
; FloatMode: 240
; IeeeMode: 1
; LDSByteSize: 0 bytes/workgroup (compile time only)
; SGPRBlocks: 0
; VGPRBlocks: 0
; NumSGPRsForWavesPerEU: 4
; NumVGPRsForWavesPerEU: 1
; AccumOffset: 4
; Occupancy: 8
; WaveLimiterHint : 0
; COMPUTE_PGM_RSRC2:SCRATCH_EN: 0
; COMPUTE_PGM_RSRC2:USER_SGPR: 6
; COMPUTE_PGM_RSRC2:TRAP_HANDLER: 0
; COMPUTE_PGM_RSRC2:TGID_X_EN: 1
; COMPUTE_PGM_RSRC2:TGID_Y_EN: 0
; COMPUTE_PGM_RSRC2:TGID_Z_EN: 0
; COMPUTE_PGM_RSRC2:TIDIG_COMP_CNT: 0
; COMPUTE_PGM_RSRC3_GFX90A:ACCUM_OFFSET: 0
; COMPUTE_PGM_RSRC3_GFX90A:TG_SPLIT: 0
	.section	.text._ZN7rocprim17ROCPRIM_400000_NS6detail17trampoline_kernelINS0_14default_configENS1_20scan_config_selectorItEEZZNS1_9scan_implILNS1_25lookback_scan_determinismE0ELb1ELb1ES3_N6thrust23THRUST_200600_302600_NS6detail15normal_iteratorINS9_10device_ptrItEEEENS9_16discard_iteratorINS9_11use_defaultEEEt11max_functorItEtEEDaPvRmT3_T4_T5_mT6_P12ihipStream_tbENKUlT_T0_E_clISt17integral_constantIbLb0EESX_EEDaSS_ST_EUlSS_E_NS1_11comp_targetILNS1_3genE8ELNS1_11target_archE1030ELNS1_3gpuE2ELNS1_3repE0EEENS1_30default_config_static_selectorELNS0_4arch9wavefront6targetE1EEEvT1_,"axG",@progbits,_ZN7rocprim17ROCPRIM_400000_NS6detail17trampoline_kernelINS0_14default_configENS1_20scan_config_selectorItEEZZNS1_9scan_implILNS1_25lookback_scan_determinismE0ELb1ELb1ES3_N6thrust23THRUST_200600_302600_NS6detail15normal_iteratorINS9_10device_ptrItEEEENS9_16discard_iteratorINS9_11use_defaultEEEt11max_functorItEtEEDaPvRmT3_T4_T5_mT6_P12ihipStream_tbENKUlT_T0_E_clISt17integral_constantIbLb0EESX_EEDaSS_ST_EUlSS_E_NS1_11comp_targetILNS1_3genE8ELNS1_11target_archE1030ELNS1_3gpuE2ELNS1_3repE0EEENS1_30default_config_static_selectorELNS0_4arch9wavefront6targetE1EEEvT1_,comdat
	.protected	_ZN7rocprim17ROCPRIM_400000_NS6detail17trampoline_kernelINS0_14default_configENS1_20scan_config_selectorItEEZZNS1_9scan_implILNS1_25lookback_scan_determinismE0ELb1ELb1ES3_N6thrust23THRUST_200600_302600_NS6detail15normal_iteratorINS9_10device_ptrItEEEENS9_16discard_iteratorINS9_11use_defaultEEEt11max_functorItEtEEDaPvRmT3_T4_T5_mT6_P12ihipStream_tbENKUlT_T0_E_clISt17integral_constantIbLb0EESX_EEDaSS_ST_EUlSS_E_NS1_11comp_targetILNS1_3genE8ELNS1_11target_archE1030ELNS1_3gpuE2ELNS1_3repE0EEENS1_30default_config_static_selectorELNS0_4arch9wavefront6targetE1EEEvT1_ ; -- Begin function _ZN7rocprim17ROCPRIM_400000_NS6detail17trampoline_kernelINS0_14default_configENS1_20scan_config_selectorItEEZZNS1_9scan_implILNS1_25lookback_scan_determinismE0ELb1ELb1ES3_N6thrust23THRUST_200600_302600_NS6detail15normal_iteratorINS9_10device_ptrItEEEENS9_16discard_iteratorINS9_11use_defaultEEEt11max_functorItEtEEDaPvRmT3_T4_T5_mT6_P12ihipStream_tbENKUlT_T0_E_clISt17integral_constantIbLb0EESX_EEDaSS_ST_EUlSS_E_NS1_11comp_targetILNS1_3genE8ELNS1_11target_archE1030ELNS1_3gpuE2ELNS1_3repE0EEENS1_30default_config_static_selectorELNS0_4arch9wavefront6targetE1EEEvT1_
	.globl	_ZN7rocprim17ROCPRIM_400000_NS6detail17trampoline_kernelINS0_14default_configENS1_20scan_config_selectorItEEZZNS1_9scan_implILNS1_25lookback_scan_determinismE0ELb1ELb1ES3_N6thrust23THRUST_200600_302600_NS6detail15normal_iteratorINS9_10device_ptrItEEEENS9_16discard_iteratorINS9_11use_defaultEEEt11max_functorItEtEEDaPvRmT3_T4_T5_mT6_P12ihipStream_tbENKUlT_T0_E_clISt17integral_constantIbLb0EESX_EEDaSS_ST_EUlSS_E_NS1_11comp_targetILNS1_3genE8ELNS1_11target_archE1030ELNS1_3gpuE2ELNS1_3repE0EEENS1_30default_config_static_selectorELNS0_4arch9wavefront6targetE1EEEvT1_
	.p2align	8
	.type	_ZN7rocprim17ROCPRIM_400000_NS6detail17trampoline_kernelINS0_14default_configENS1_20scan_config_selectorItEEZZNS1_9scan_implILNS1_25lookback_scan_determinismE0ELb1ELb1ES3_N6thrust23THRUST_200600_302600_NS6detail15normal_iteratorINS9_10device_ptrItEEEENS9_16discard_iteratorINS9_11use_defaultEEEt11max_functorItEtEEDaPvRmT3_T4_T5_mT6_P12ihipStream_tbENKUlT_T0_E_clISt17integral_constantIbLb0EESX_EEDaSS_ST_EUlSS_E_NS1_11comp_targetILNS1_3genE8ELNS1_11target_archE1030ELNS1_3gpuE2ELNS1_3repE0EEENS1_30default_config_static_selectorELNS0_4arch9wavefront6targetE1EEEvT1_,@function
_ZN7rocprim17ROCPRIM_400000_NS6detail17trampoline_kernelINS0_14default_configENS1_20scan_config_selectorItEEZZNS1_9scan_implILNS1_25lookback_scan_determinismE0ELb1ELb1ES3_N6thrust23THRUST_200600_302600_NS6detail15normal_iteratorINS9_10device_ptrItEEEENS9_16discard_iteratorINS9_11use_defaultEEEt11max_functorItEtEEDaPvRmT3_T4_T5_mT6_P12ihipStream_tbENKUlT_T0_E_clISt17integral_constantIbLb0EESX_EEDaSS_ST_EUlSS_E_NS1_11comp_targetILNS1_3genE8ELNS1_11target_archE1030ELNS1_3gpuE2ELNS1_3repE0EEENS1_30default_config_static_selectorELNS0_4arch9wavefront6targetE1EEEvT1_: ; @_ZN7rocprim17ROCPRIM_400000_NS6detail17trampoline_kernelINS0_14default_configENS1_20scan_config_selectorItEEZZNS1_9scan_implILNS1_25lookback_scan_determinismE0ELb1ELb1ES3_N6thrust23THRUST_200600_302600_NS6detail15normal_iteratorINS9_10device_ptrItEEEENS9_16discard_iteratorINS9_11use_defaultEEEt11max_functorItEtEEDaPvRmT3_T4_T5_mT6_P12ihipStream_tbENKUlT_T0_E_clISt17integral_constantIbLb0EESX_EEDaSS_ST_EUlSS_E_NS1_11comp_targetILNS1_3genE8ELNS1_11target_archE1030ELNS1_3gpuE2ELNS1_3repE0EEENS1_30default_config_static_selectorELNS0_4arch9wavefront6targetE1EEEvT1_
; %bb.0:
	.section	.rodata,"a",@progbits
	.p2align	6, 0x0
	.amdhsa_kernel _ZN7rocprim17ROCPRIM_400000_NS6detail17trampoline_kernelINS0_14default_configENS1_20scan_config_selectorItEEZZNS1_9scan_implILNS1_25lookback_scan_determinismE0ELb1ELb1ES3_N6thrust23THRUST_200600_302600_NS6detail15normal_iteratorINS9_10device_ptrItEEEENS9_16discard_iteratorINS9_11use_defaultEEEt11max_functorItEtEEDaPvRmT3_T4_T5_mT6_P12ihipStream_tbENKUlT_T0_E_clISt17integral_constantIbLb0EESX_EEDaSS_ST_EUlSS_E_NS1_11comp_targetILNS1_3genE8ELNS1_11target_archE1030ELNS1_3gpuE2ELNS1_3repE0EEENS1_30default_config_static_selectorELNS0_4arch9wavefront6targetE1EEEvT1_
		.amdhsa_group_segment_fixed_size 0
		.amdhsa_private_segment_fixed_size 0
		.amdhsa_kernarg_size 104
		.amdhsa_user_sgpr_count 6
		.amdhsa_user_sgpr_private_segment_buffer 1
		.amdhsa_user_sgpr_dispatch_ptr 0
		.amdhsa_user_sgpr_queue_ptr 0
		.amdhsa_user_sgpr_kernarg_segment_ptr 1
		.amdhsa_user_sgpr_dispatch_id 0
		.amdhsa_user_sgpr_flat_scratch_init 0
		.amdhsa_user_sgpr_kernarg_preload_length 0
		.amdhsa_user_sgpr_kernarg_preload_offset 0
		.amdhsa_user_sgpr_private_segment_size 0
		.amdhsa_uses_dynamic_stack 0
		.amdhsa_system_sgpr_private_segment_wavefront_offset 0
		.amdhsa_system_sgpr_workgroup_id_x 1
		.amdhsa_system_sgpr_workgroup_id_y 0
		.amdhsa_system_sgpr_workgroup_id_z 0
		.amdhsa_system_sgpr_workgroup_info 0
		.amdhsa_system_vgpr_workitem_id 0
		.amdhsa_next_free_vgpr 1
		.amdhsa_next_free_sgpr 0
		.amdhsa_accum_offset 4
		.amdhsa_reserve_vcc 0
		.amdhsa_reserve_flat_scratch 0
		.amdhsa_float_round_mode_32 0
		.amdhsa_float_round_mode_16_64 0
		.amdhsa_float_denorm_mode_32 3
		.amdhsa_float_denorm_mode_16_64 3
		.amdhsa_dx10_clamp 1
		.amdhsa_ieee_mode 1
		.amdhsa_fp16_overflow 0
		.amdhsa_tg_split 0
		.amdhsa_exception_fp_ieee_invalid_op 0
		.amdhsa_exception_fp_denorm_src 0
		.amdhsa_exception_fp_ieee_div_zero 0
		.amdhsa_exception_fp_ieee_overflow 0
		.amdhsa_exception_fp_ieee_underflow 0
		.amdhsa_exception_fp_ieee_inexact 0
		.amdhsa_exception_int_div_zero 0
	.end_amdhsa_kernel
	.section	.text._ZN7rocprim17ROCPRIM_400000_NS6detail17trampoline_kernelINS0_14default_configENS1_20scan_config_selectorItEEZZNS1_9scan_implILNS1_25lookback_scan_determinismE0ELb1ELb1ES3_N6thrust23THRUST_200600_302600_NS6detail15normal_iteratorINS9_10device_ptrItEEEENS9_16discard_iteratorINS9_11use_defaultEEEt11max_functorItEtEEDaPvRmT3_T4_T5_mT6_P12ihipStream_tbENKUlT_T0_E_clISt17integral_constantIbLb0EESX_EEDaSS_ST_EUlSS_E_NS1_11comp_targetILNS1_3genE8ELNS1_11target_archE1030ELNS1_3gpuE2ELNS1_3repE0EEENS1_30default_config_static_selectorELNS0_4arch9wavefront6targetE1EEEvT1_,"axG",@progbits,_ZN7rocprim17ROCPRIM_400000_NS6detail17trampoline_kernelINS0_14default_configENS1_20scan_config_selectorItEEZZNS1_9scan_implILNS1_25lookback_scan_determinismE0ELb1ELb1ES3_N6thrust23THRUST_200600_302600_NS6detail15normal_iteratorINS9_10device_ptrItEEEENS9_16discard_iteratorINS9_11use_defaultEEEt11max_functorItEtEEDaPvRmT3_T4_T5_mT6_P12ihipStream_tbENKUlT_T0_E_clISt17integral_constantIbLb0EESX_EEDaSS_ST_EUlSS_E_NS1_11comp_targetILNS1_3genE8ELNS1_11target_archE1030ELNS1_3gpuE2ELNS1_3repE0EEENS1_30default_config_static_selectorELNS0_4arch9wavefront6targetE1EEEvT1_,comdat
.Lfunc_end3646:
	.size	_ZN7rocprim17ROCPRIM_400000_NS6detail17trampoline_kernelINS0_14default_configENS1_20scan_config_selectorItEEZZNS1_9scan_implILNS1_25lookback_scan_determinismE0ELb1ELb1ES3_N6thrust23THRUST_200600_302600_NS6detail15normal_iteratorINS9_10device_ptrItEEEENS9_16discard_iteratorINS9_11use_defaultEEEt11max_functorItEtEEDaPvRmT3_T4_T5_mT6_P12ihipStream_tbENKUlT_T0_E_clISt17integral_constantIbLb0EESX_EEDaSS_ST_EUlSS_E_NS1_11comp_targetILNS1_3genE8ELNS1_11target_archE1030ELNS1_3gpuE2ELNS1_3repE0EEENS1_30default_config_static_selectorELNS0_4arch9wavefront6targetE1EEEvT1_, .Lfunc_end3646-_ZN7rocprim17ROCPRIM_400000_NS6detail17trampoline_kernelINS0_14default_configENS1_20scan_config_selectorItEEZZNS1_9scan_implILNS1_25lookback_scan_determinismE0ELb1ELb1ES3_N6thrust23THRUST_200600_302600_NS6detail15normal_iteratorINS9_10device_ptrItEEEENS9_16discard_iteratorINS9_11use_defaultEEEt11max_functorItEtEEDaPvRmT3_T4_T5_mT6_P12ihipStream_tbENKUlT_T0_E_clISt17integral_constantIbLb0EESX_EEDaSS_ST_EUlSS_E_NS1_11comp_targetILNS1_3genE8ELNS1_11target_archE1030ELNS1_3gpuE2ELNS1_3repE0EEENS1_30default_config_static_selectorELNS0_4arch9wavefront6targetE1EEEvT1_
                                        ; -- End function
	.section	.AMDGPU.csdata,"",@progbits
; Kernel info:
; codeLenInByte = 0
; NumSgprs: 4
; NumVgprs: 0
; NumAgprs: 0
; TotalNumVgprs: 0
; ScratchSize: 0
; MemoryBound: 0
; FloatMode: 240
; IeeeMode: 1
; LDSByteSize: 0 bytes/workgroup (compile time only)
; SGPRBlocks: 0
; VGPRBlocks: 0
; NumSGPRsForWavesPerEU: 4
; NumVGPRsForWavesPerEU: 1
; AccumOffset: 4
; Occupancy: 8
; WaveLimiterHint : 0
; COMPUTE_PGM_RSRC2:SCRATCH_EN: 0
; COMPUTE_PGM_RSRC2:USER_SGPR: 6
; COMPUTE_PGM_RSRC2:TRAP_HANDLER: 0
; COMPUTE_PGM_RSRC2:TGID_X_EN: 1
; COMPUTE_PGM_RSRC2:TGID_Y_EN: 0
; COMPUTE_PGM_RSRC2:TGID_Z_EN: 0
; COMPUTE_PGM_RSRC2:TIDIG_COMP_CNT: 0
; COMPUTE_PGM_RSRC3_GFX90A:ACCUM_OFFSET: 0
; COMPUTE_PGM_RSRC3_GFX90A:TG_SPLIT: 0
	.section	.text._ZN7rocprim17ROCPRIM_400000_NS6detail17trampoline_kernelINS0_14default_configENS1_20scan_config_selectorItEEZZNS1_9scan_implILNS1_25lookback_scan_determinismE0ELb1ELb1ES3_N6thrust23THRUST_200600_302600_NS6detail15normal_iteratorINS9_10device_ptrItEEEENS9_16discard_iteratorINS9_11use_defaultEEEt11max_functorItEtEEDaPvRmT3_T4_T5_mT6_P12ihipStream_tbENKUlT_T0_E_clISt17integral_constantIbLb0EESX_EEDaSS_ST_EUlSS_E0_NS1_11comp_targetILNS1_3genE0ELNS1_11target_archE4294967295ELNS1_3gpuE0ELNS1_3repE0EEENS1_30default_config_static_selectorELNS0_4arch9wavefront6targetE1EEEvT1_,"axG",@progbits,_ZN7rocprim17ROCPRIM_400000_NS6detail17trampoline_kernelINS0_14default_configENS1_20scan_config_selectorItEEZZNS1_9scan_implILNS1_25lookback_scan_determinismE0ELb1ELb1ES3_N6thrust23THRUST_200600_302600_NS6detail15normal_iteratorINS9_10device_ptrItEEEENS9_16discard_iteratorINS9_11use_defaultEEEt11max_functorItEtEEDaPvRmT3_T4_T5_mT6_P12ihipStream_tbENKUlT_T0_E_clISt17integral_constantIbLb0EESX_EEDaSS_ST_EUlSS_E0_NS1_11comp_targetILNS1_3genE0ELNS1_11target_archE4294967295ELNS1_3gpuE0ELNS1_3repE0EEENS1_30default_config_static_selectorELNS0_4arch9wavefront6targetE1EEEvT1_,comdat
	.protected	_ZN7rocprim17ROCPRIM_400000_NS6detail17trampoline_kernelINS0_14default_configENS1_20scan_config_selectorItEEZZNS1_9scan_implILNS1_25lookback_scan_determinismE0ELb1ELb1ES3_N6thrust23THRUST_200600_302600_NS6detail15normal_iteratorINS9_10device_ptrItEEEENS9_16discard_iteratorINS9_11use_defaultEEEt11max_functorItEtEEDaPvRmT3_T4_T5_mT6_P12ihipStream_tbENKUlT_T0_E_clISt17integral_constantIbLb0EESX_EEDaSS_ST_EUlSS_E0_NS1_11comp_targetILNS1_3genE0ELNS1_11target_archE4294967295ELNS1_3gpuE0ELNS1_3repE0EEENS1_30default_config_static_selectorELNS0_4arch9wavefront6targetE1EEEvT1_ ; -- Begin function _ZN7rocprim17ROCPRIM_400000_NS6detail17trampoline_kernelINS0_14default_configENS1_20scan_config_selectorItEEZZNS1_9scan_implILNS1_25lookback_scan_determinismE0ELb1ELb1ES3_N6thrust23THRUST_200600_302600_NS6detail15normal_iteratorINS9_10device_ptrItEEEENS9_16discard_iteratorINS9_11use_defaultEEEt11max_functorItEtEEDaPvRmT3_T4_T5_mT6_P12ihipStream_tbENKUlT_T0_E_clISt17integral_constantIbLb0EESX_EEDaSS_ST_EUlSS_E0_NS1_11comp_targetILNS1_3genE0ELNS1_11target_archE4294967295ELNS1_3gpuE0ELNS1_3repE0EEENS1_30default_config_static_selectorELNS0_4arch9wavefront6targetE1EEEvT1_
	.globl	_ZN7rocprim17ROCPRIM_400000_NS6detail17trampoline_kernelINS0_14default_configENS1_20scan_config_selectorItEEZZNS1_9scan_implILNS1_25lookback_scan_determinismE0ELb1ELb1ES3_N6thrust23THRUST_200600_302600_NS6detail15normal_iteratorINS9_10device_ptrItEEEENS9_16discard_iteratorINS9_11use_defaultEEEt11max_functorItEtEEDaPvRmT3_T4_T5_mT6_P12ihipStream_tbENKUlT_T0_E_clISt17integral_constantIbLb0EESX_EEDaSS_ST_EUlSS_E0_NS1_11comp_targetILNS1_3genE0ELNS1_11target_archE4294967295ELNS1_3gpuE0ELNS1_3repE0EEENS1_30default_config_static_selectorELNS0_4arch9wavefront6targetE1EEEvT1_
	.p2align	8
	.type	_ZN7rocprim17ROCPRIM_400000_NS6detail17trampoline_kernelINS0_14default_configENS1_20scan_config_selectorItEEZZNS1_9scan_implILNS1_25lookback_scan_determinismE0ELb1ELb1ES3_N6thrust23THRUST_200600_302600_NS6detail15normal_iteratorINS9_10device_ptrItEEEENS9_16discard_iteratorINS9_11use_defaultEEEt11max_functorItEtEEDaPvRmT3_T4_T5_mT6_P12ihipStream_tbENKUlT_T0_E_clISt17integral_constantIbLb0EESX_EEDaSS_ST_EUlSS_E0_NS1_11comp_targetILNS1_3genE0ELNS1_11target_archE4294967295ELNS1_3gpuE0ELNS1_3repE0EEENS1_30default_config_static_selectorELNS0_4arch9wavefront6targetE1EEEvT1_,@function
_ZN7rocprim17ROCPRIM_400000_NS6detail17trampoline_kernelINS0_14default_configENS1_20scan_config_selectorItEEZZNS1_9scan_implILNS1_25lookback_scan_determinismE0ELb1ELb1ES3_N6thrust23THRUST_200600_302600_NS6detail15normal_iteratorINS9_10device_ptrItEEEENS9_16discard_iteratorINS9_11use_defaultEEEt11max_functorItEtEEDaPvRmT3_T4_T5_mT6_P12ihipStream_tbENKUlT_T0_E_clISt17integral_constantIbLb0EESX_EEDaSS_ST_EUlSS_E0_NS1_11comp_targetILNS1_3genE0ELNS1_11target_archE4294967295ELNS1_3gpuE0ELNS1_3repE0EEENS1_30default_config_static_selectorELNS0_4arch9wavefront6targetE1EEEvT1_: ; @_ZN7rocprim17ROCPRIM_400000_NS6detail17trampoline_kernelINS0_14default_configENS1_20scan_config_selectorItEEZZNS1_9scan_implILNS1_25lookback_scan_determinismE0ELb1ELb1ES3_N6thrust23THRUST_200600_302600_NS6detail15normal_iteratorINS9_10device_ptrItEEEENS9_16discard_iteratorINS9_11use_defaultEEEt11max_functorItEtEEDaPvRmT3_T4_T5_mT6_P12ihipStream_tbENKUlT_T0_E_clISt17integral_constantIbLb0EESX_EEDaSS_ST_EUlSS_E0_NS1_11comp_targetILNS1_3genE0ELNS1_11target_archE4294967295ELNS1_3gpuE0ELNS1_3repE0EEENS1_30default_config_static_selectorELNS0_4arch9wavefront6targetE1EEEvT1_
; %bb.0:
	.section	.rodata,"a",@progbits
	.p2align	6, 0x0
	.amdhsa_kernel _ZN7rocprim17ROCPRIM_400000_NS6detail17trampoline_kernelINS0_14default_configENS1_20scan_config_selectorItEEZZNS1_9scan_implILNS1_25lookback_scan_determinismE0ELb1ELb1ES3_N6thrust23THRUST_200600_302600_NS6detail15normal_iteratorINS9_10device_ptrItEEEENS9_16discard_iteratorINS9_11use_defaultEEEt11max_functorItEtEEDaPvRmT3_T4_T5_mT6_P12ihipStream_tbENKUlT_T0_E_clISt17integral_constantIbLb0EESX_EEDaSS_ST_EUlSS_E0_NS1_11comp_targetILNS1_3genE0ELNS1_11target_archE4294967295ELNS1_3gpuE0ELNS1_3repE0EEENS1_30default_config_static_selectorELNS0_4arch9wavefront6targetE1EEEvT1_
		.amdhsa_group_segment_fixed_size 0
		.amdhsa_private_segment_fixed_size 0
		.amdhsa_kernarg_size 40
		.amdhsa_user_sgpr_count 6
		.amdhsa_user_sgpr_private_segment_buffer 1
		.amdhsa_user_sgpr_dispatch_ptr 0
		.amdhsa_user_sgpr_queue_ptr 0
		.amdhsa_user_sgpr_kernarg_segment_ptr 1
		.amdhsa_user_sgpr_dispatch_id 0
		.amdhsa_user_sgpr_flat_scratch_init 0
		.amdhsa_user_sgpr_kernarg_preload_length 0
		.amdhsa_user_sgpr_kernarg_preload_offset 0
		.amdhsa_user_sgpr_private_segment_size 0
		.amdhsa_uses_dynamic_stack 0
		.amdhsa_system_sgpr_private_segment_wavefront_offset 0
		.amdhsa_system_sgpr_workgroup_id_x 1
		.amdhsa_system_sgpr_workgroup_id_y 0
		.amdhsa_system_sgpr_workgroup_id_z 0
		.amdhsa_system_sgpr_workgroup_info 0
		.amdhsa_system_vgpr_workitem_id 0
		.amdhsa_next_free_vgpr 1
		.amdhsa_next_free_sgpr 0
		.amdhsa_accum_offset 4
		.amdhsa_reserve_vcc 0
		.amdhsa_reserve_flat_scratch 0
		.amdhsa_float_round_mode_32 0
		.amdhsa_float_round_mode_16_64 0
		.amdhsa_float_denorm_mode_32 3
		.amdhsa_float_denorm_mode_16_64 3
		.amdhsa_dx10_clamp 1
		.amdhsa_ieee_mode 1
		.amdhsa_fp16_overflow 0
		.amdhsa_tg_split 0
		.amdhsa_exception_fp_ieee_invalid_op 0
		.amdhsa_exception_fp_denorm_src 0
		.amdhsa_exception_fp_ieee_div_zero 0
		.amdhsa_exception_fp_ieee_overflow 0
		.amdhsa_exception_fp_ieee_underflow 0
		.amdhsa_exception_fp_ieee_inexact 0
		.amdhsa_exception_int_div_zero 0
	.end_amdhsa_kernel
	.section	.text._ZN7rocprim17ROCPRIM_400000_NS6detail17trampoline_kernelINS0_14default_configENS1_20scan_config_selectorItEEZZNS1_9scan_implILNS1_25lookback_scan_determinismE0ELb1ELb1ES3_N6thrust23THRUST_200600_302600_NS6detail15normal_iteratorINS9_10device_ptrItEEEENS9_16discard_iteratorINS9_11use_defaultEEEt11max_functorItEtEEDaPvRmT3_T4_T5_mT6_P12ihipStream_tbENKUlT_T0_E_clISt17integral_constantIbLb0EESX_EEDaSS_ST_EUlSS_E0_NS1_11comp_targetILNS1_3genE0ELNS1_11target_archE4294967295ELNS1_3gpuE0ELNS1_3repE0EEENS1_30default_config_static_selectorELNS0_4arch9wavefront6targetE1EEEvT1_,"axG",@progbits,_ZN7rocprim17ROCPRIM_400000_NS6detail17trampoline_kernelINS0_14default_configENS1_20scan_config_selectorItEEZZNS1_9scan_implILNS1_25lookback_scan_determinismE0ELb1ELb1ES3_N6thrust23THRUST_200600_302600_NS6detail15normal_iteratorINS9_10device_ptrItEEEENS9_16discard_iteratorINS9_11use_defaultEEEt11max_functorItEtEEDaPvRmT3_T4_T5_mT6_P12ihipStream_tbENKUlT_T0_E_clISt17integral_constantIbLb0EESX_EEDaSS_ST_EUlSS_E0_NS1_11comp_targetILNS1_3genE0ELNS1_11target_archE4294967295ELNS1_3gpuE0ELNS1_3repE0EEENS1_30default_config_static_selectorELNS0_4arch9wavefront6targetE1EEEvT1_,comdat
.Lfunc_end3647:
	.size	_ZN7rocprim17ROCPRIM_400000_NS6detail17trampoline_kernelINS0_14default_configENS1_20scan_config_selectorItEEZZNS1_9scan_implILNS1_25lookback_scan_determinismE0ELb1ELb1ES3_N6thrust23THRUST_200600_302600_NS6detail15normal_iteratorINS9_10device_ptrItEEEENS9_16discard_iteratorINS9_11use_defaultEEEt11max_functorItEtEEDaPvRmT3_T4_T5_mT6_P12ihipStream_tbENKUlT_T0_E_clISt17integral_constantIbLb0EESX_EEDaSS_ST_EUlSS_E0_NS1_11comp_targetILNS1_3genE0ELNS1_11target_archE4294967295ELNS1_3gpuE0ELNS1_3repE0EEENS1_30default_config_static_selectorELNS0_4arch9wavefront6targetE1EEEvT1_, .Lfunc_end3647-_ZN7rocprim17ROCPRIM_400000_NS6detail17trampoline_kernelINS0_14default_configENS1_20scan_config_selectorItEEZZNS1_9scan_implILNS1_25lookback_scan_determinismE0ELb1ELb1ES3_N6thrust23THRUST_200600_302600_NS6detail15normal_iteratorINS9_10device_ptrItEEEENS9_16discard_iteratorINS9_11use_defaultEEEt11max_functorItEtEEDaPvRmT3_T4_T5_mT6_P12ihipStream_tbENKUlT_T0_E_clISt17integral_constantIbLb0EESX_EEDaSS_ST_EUlSS_E0_NS1_11comp_targetILNS1_3genE0ELNS1_11target_archE4294967295ELNS1_3gpuE0ELNS1_3repE0EEENS1_30default_config_static_selectorELNS0_4arch9wavefront6targetE1EEEvT1_
                                        ; -- End function
	.section	.AMDGPU.csdata,"",@progbits
; Kernel info:
; codeLenInByte = 0
; NumSgprs: 4
; NumVgprs: 0
; NumAgprs: 0
; TotalNumVgprs: 0
; ScratchSize: 0
; MemoryBound: 0
; FloatMode: 240
; IeeeMode: 1
; LDSByteSize: 0 bytes/workgroup (compile time only)
; SGPRBlocks: 0
; VGPRBlocks: 0
; NumSGPRsForWavesPerEU: 4
; NumVGPRsForWavesPerEU: 1
; AccumOffset: 4
; Occupancy: 8
; WaveLimiterHint : 0
; COMPUTE_PGM_RSRC2:SCRATCH_EN: 0
; COMPUTE_PGM_RSRC2:USER_SGPR: 6
; COMPUTE_PGM_RSRC2:TRAP_HANDLER: 0
; COMPUTE_PGM_RSRC2:TGID_X_EN: 1
; COMPUTE_PGM_RSRC2:TGID_Y_EN: 0
; COMPUTE_PGM_RSRC2:TGID_Z_EN: 0
; COMPUTE_PGM_RSRC2:TIDIG_COMP_CNT: 0
; COMPUTE_PGM_RSRC3_GFX90A:ACCUM_OFFSET: 0
; COMPUTE_PGM_RSRC3_GFX90A:TG_SPLIT: 0
	.section	.text._ZN7rocprim17ROCPRIM_400000_NS6detail17trampoline_kernelINS0_14default_configENS1_20scan_config_selectorItEEZZNS1_9scan_implILNS1_25lookback_scan_determinismE0ELb1ELb1ES3_N6thrust23THRUST_200600_302600_NS6detail15normal_iteratorINS9_10device_ptrItEEEENS9_16discard_iteratorINS9_11use_defaultEEEt11max_functorItEtEEDaPvRmT3_T4_T5_mT6_P12ihipStream_tbENKUlT_T0_E_clISt17integral_constantIbLb0EESX_EEDaSS_ST_EUlSS_E0_NS1_11comp_targetILNS1_3genE5ELNS1_11target_archE942ELNS1_3gpuE9ELNS1_3repE0EEENS1_30default_config_static_selectorELNS0_4arch9wavefront6targetE1EEEvT1_,"axG",@progbits,_ZN7rocprim17ROCPRIM_400000_NS6detail17trampoline_kernelINS0_14default_configENS1_20scan_config_selectorItEEZZNS1_9scan_implILNS1_25lookback_scan_determinismE0ELb1ELb1ES3_N6thrust23THRUST_200600_302600_NS6detail15normal_iteratorINS9_10device_ptrItEEEENS9_16discard_iteratorINS9_11use_defaultEEEt11max_functorItEtEEDaPvRmT3_T4_T5_mT6_P12ihipStream_tbENKUlT_T0_E_clISt17integral_constantIbLb0EESX_EEDaSS_ST_EUlSS_E0_NS1_11comp_targetILNS1_3genE5ELNS1_11target_archE942ELNS1_3gpuE9ELNS1_3repE0EEENS1_30default_config_static_selectorELNS0_4arch9wavefront6targetE1EEEvT1_,comdat
	.protected	_ZN7rocprim17ROCPRIM_400000_NS6detail17trampoline_kernelINS0_14default_configENS1_20scan_config_selectorItEEZZNS1_9scan_implILNS1_25lookback_scan_determinismE0ELb1ELb1ES3_N6thrust23THRUST_200600_302600_NS6detail15normal_iteratorINS9_10device_ptrItEEEENS9_16discard_iteratorINS9_11use_defaultEEEt11max_functorItEtEEDaPvRmT3_T4_T5_mT6_P12ihipStream_tbENKUlT_T0_E_clISt17integral_constantIbLb0EESX_EEDaSS_ST_EUlSS_E0_NS1_11comp_targetILNS1_3genE5ELNS1_11target_archE942ELNS1_3gpuE9ELNS1_3repE0EEENS1_30default_config_static_selectorELNS0_4arch9wavefront6targetE1EEEvT1_ ; -- Begin function _ZN7rocprim17ROCPRIM_400000_NS6detail17trampoline_kernelINS0_14default_configENS1_20scan_config_selectorItEEZZNS1_9scan_implILNS1_25lookback_scan_determinismE0ELb1ELb1ES3_N6thrust23THRUST_200600_302600_NS6detail15normal_iteratorINS9_10device_ptrItEEEENS9_16discard_iteratorINS9_11use_defaultEEEt11max_functorItEtEEDaPvRmT3_T4_T5_mT6_P12ihipStream_tbENKUlT_T0_E_clISt17integral_constantIbLb0EESX_EEDaSS_ST_EUlSS_E0_NS1_11comp_targetILNS1_3genE5ELNS1_11target_archE942ELNS1_3gpuE9ELNS1_3repE0EEENS1_30default_config_static_selectorELNS0_4arch9wavefront6targetE1EEEvT1_
	.globl	_ZN7rocprim17ROCPRIM_400000_NS6detail17trampoline_kernelINS0_14default_configENS1_20scan_config_selectorItEEZZNS1_9scan_implILNS1_25lookback_scan_determinismE0ELb1ELb1ES3_N6thrust23THRUST_200600_302600_NS6detail15normal_iteratorINS9_10device_ptrItEEEENS9_16discard_iteratorINS9_11use_defaultEEEt11max_functorItEtEEDaPvRmT3_T4_T5_mT6_P12ihipStream_tbENKUlT_T0_E_clISt17integral_constantIbLb0EESX_EEDaSS_ST_EUlSS_E0_NS1_11comp_targetILNS1_3genE5ELNS1_11target_archE942ELNS1_3gpuE9ELNS1_3repE0EEENS1_30default_config_static_selectorELNS0_4arch9wavefront6targetE1EEEvT1_
	.p2align	8
	.type	_ZN7rocprim17ROCPRIM_400000_NS6detail17trampoline_kernelINS0_14default_configENS1_20scan_config_selectorItEEZZNS1_9scan_implILNS1_25lookback_scan_determinismE0ELb1ELb1ES3_N6thrust23THRUST_200600_302600_NS6detail15normal_iteratorINS9_10device_ptrItEEEENS9_16discard_iteratorINS9_11use_defaultEEEt11max_functorItEtEEDaPvRmT3_T4_T5_mT6_P12ihipStream_tbENKUlT_T0_E_clISt17integral_constantIbLb0EESX_EEDaSS_ST_EUlSS_E0_NS1_11comp_targetILNS1_3genE5ELNS1_11target_archE942ELNS1_3gpuE9ELNS1_3repE0EEENS1_30default_config_static_selectorELNS0_4arch9wavefront6targetE1EEEvT1_,@function
_ZN7rocprim17ROCPRIM_400000_NS6detail17trampoline_kernelINS0_14default_configENS1_20scan_config_selectorItEEZZNS1_9scan_implILNS1_25lookback_scan_determinismE0ELb1ELb1ES3_N6thrust23THRUST_200600_302600_NS6detail15normal_iteratorINS9_10device_ptrItEEEENS9_16discard_iteratorINS9_11use_defaultEEEt11max_functorItEtEEDaPvRmT3_T4_T5_mT6_P12ihipStream_tbENKUlT_T0_E_clISt17integral_constantIbLb0EESX_EEDaSS_ST_EUlSS_E0_NS1_11comp_targetILNS1_3genE5ELNS1_11target_archE942ELNS1_3gpuE9ELNS1_3repE0EEENS1_30default_config_static_selectorELNS0_4arch9wavefront6targetE1EEEvT1_: ; @_ZN7rocprim17ROCPRIM_400000_NS6detail17trampoline_kernelINS0_14default_configENS1_20scan_config_selectorItEEZZNS1_9scan_implILNS1_25lookback_scan_determinismE0ELb1ELb1ES3_N6thrust23THRUST_200600_302600_NS6detail15normal_iteratorINS9_10device_ptrItEEEENS9_16discard_iteratorINS9_11use_defaultEEEt11max_functorItEtEEDaPvRmT3_T4_T5_mT6_P12ihipStream_tbENKUlT_T0_E_clISt17integral_constantIbLb0EESX_EEDaSS_ST_EUlSS_E0_NS1_11comp_targetILNS1_3genE5ELNS1_11target_archE942ELNS1_3gpuE9ELNS1_3repE0EEENS1_30default_config_static_selectorELNS0_4arch9wavefront6targetE1EEEvT1_
; %bb.0:
	.section	.rodata,"a",@progbits
	.p2align	6, 0x0
	.amdhsa_kernel _ZN7rocprim17ROCPRIM_400000_NS6detail17trampoline_kernelINS0_14default_configENS1_20scan_config_selectorItEEZZNS1_9scan_implILNS1_25lookback_scan_determinismE0ELb1ELb1ES3_N6thrust23THRUST_200600_302600_NS6detail15normal_iteratorINS9_10device_ptrItEEEENS9_16discard_iteratorINS9_11use_defaultEEEt11max_functorItEtEEDaPvRmT3_T4_T5_mT6_P12ihipStream_tbENKUlT_T0_E_clISt17integral_constantIbLb0EESX_EEDaSS_ST_EUlSS_E0_NS1_11comp_targetILNS1_3genE5ELNS1_11target_archE942ELNS1_3gpuE9ELNS1_3repE0EEENS1_30default_config_static_selectorELNS0_4arch9wavefront6targetE1EEEvT1_
		.amdhsa_group_segment_fixed_size 0
		.amdhsa_private_segment_fixed_size 0
		.amdhsa_kernarg_size 40
		.amdhsa_user_sgpr_count 6
		.amdhsa_user_sgpr_private_segment_buffer 1
		.amdhsa_user_sgpr_dispatch_ptr 0
		.amdhsa_user_sgpr_queue_ptr 0
		.amdhsa_user_sgpr_kernarg_segment_ptr 1
		.amdhsa_user_sgpr_dispatch_id 0
		.amdhsa_user_sgpr_flat_scratch_init 0
		.amdhsa_user_sgpr_kernarg_preload_length 0
		.amdhsa_user_sgpr_kernarg_preload_offset 0
		.amdhsa_user_sgpr_private_segment_size 0
		.amdhsa_uses_dynamic_stack 0
		.amdhsa_system_sgpr_private_segment_wavefront_offset 0
		.amdhsa_system_sgpr_workgroup_id_x 1
		.amdhsa_system_sgpr_workgroup_id_y 0
		.amdhsa_system_sgpr_workgroup_id_z 0
		.amdhsa_system_sgpr_workgroup_info 0
		.amdhsa_system_vgpr_workitem_id 0
		.amdhsa_next_free_vgpr 1
		.amdhsa_next_free_sgpr 0
		.amdhsa_accum_offset 4
		.amdhsa_reserve_vcc 0
		.amdhsa_reserve_flat_scratch 0
		.amdhsa_float_round_mode_32 0
		.amdhsa_float_round_mode_16_64 0
		.amdhsa_float_denorm_mode_32 3
		.amdhsa_float_denorm_mode_16_64 3
		.amdhsa_dx10_clamp 1
		.amdhsa_ieee_mode 1
		.amdhsa_fp16_overflow 0
		.amdhsa_tg_split 0
		.amdhsa_exception_fp_ieee_invalid_op 0
		.amdhsa_exception_fp_denorm_src 0
		.amdhsa_exception_fp_ieee_div_zero 0
		.amdhsa_exception_fp_ieee_overflow 0
		.amdhsa_exception_fp_ieee_underflow 0
		.amdhsa_exception_fp_ieee_inexact 0
		.amdhsa_exception_int_div_zero 0
	.end_amdhsa_kernel
	.section	.text._ZN7rocprim17ROCPRIM_400000_NS6detail17trampoline_kernelINS0_14default_configENS1_20scan_config_selectorItEEZZNS1_9scan_implILNS1_25lookback_scan_determinismE0ELb1ELb1ES3_N6thrust23THRUST_200600_302600_NS6detail15normal_iteratorINS9_10device_ptrItEEEENS9_16discard_iteratorINS9_11use_defaultEEEt11max_functorItEtEEDaPvRmT3_T4_T5_mT6_P12ihipStream_tbENKUlT_T0_E_clISt17integral_constantIbLb0EESX_EEDaSS_ST_EUlSS_E0_NS1_11comp_targetILNS1_3genE5ELNS1_11target_archE942ELNS1_3gpuE9ELNS1_3repE0EEENS1_30default_config_static_selectorELNS0_4arch9wavefront6targetE1EEEvT1_,"axG",@progbits,_ZN7rocprim17ROCPRIM_400000_NS6detail17trampoline_kernelINS0_14default_configENS1_20scan_config_selectorItEEZZNS1_9scan_implILNS1_25lookback_scan_determinismE0ELb1ELb1ES3_N6thrust23THRUST_200600_302600_NS6detail15normal_iteratorINS9_10device_ptrItEEEENS9_16discard_iteratorINS9_11use_defaultEEEt11max_functorItEtEEDaPvRmT3_T4_T5_mT6_P12ihipStream_tbENKUlT_T0_E_clISt17integral_constantIbLb0EESX_EEDaSS_ST_EUlSS_E0_NS1_11comp_targetILNS1_3genE5ELNS1_11target_archE942ELNS1_3gpuE9ELNS1_3repE0EEENS1_30default_config_static_selectorELNS0_4arch9wavefront6targetE1EEEvT1_,comdat
.Lfunc_end3648:
	.size	_ZN7rocprim17ROCPRIM_400000_NS6detail17trampoline_kernelINS0_14default_configENS1_20scan_config_selectorItEEZZNS1_9scan_implILNS1_25lookback_scan_determinismE0ELb1ELb1ES3_N6thrust23THRUST_200600_302600_NS6detail15normal_iteratorINS9_10device_ptrItEEEENS9_16discard_iteratorINS9_11use_defaultEEEt11max_functorItEtEEDaPvRmT3_T4_T5_mT6_P12ihipStream_tbENKUlT_T0_E_clISt17integral_constantIbLb0EESX_EEDaSS_ST_EUlSS_E0_NS1_11comp_targetILNS1_3genE5ELNS1_11target_archE942ELNS1_3gpuE9ELNS1_3repE0EEENS1_30default_config_static_selectorELNS0_4arch9wavefront6targetE1EEEvT1_, .Lfunc_end3648-_ZN7rocprim17ROCPRIM_400000_NS6detail17trampoline_kernelINS0_14default_configENS1_20scan_config_selectorItEEZZNS1_9scan_implILNS1_25lookback_scan_determinismE0ELb1ELb1ES3_N6thrust23THRUST_200600_302600_NS6detail15normal_iteratorINS9_10device_ptrItEEEENS9_16discard_iteratorINS9_11use_defaultEEEt11max_functorItEtEEDaPvRmT3_T4_T5_mT6_P12ihipStream_tbENKUlT_T0_E_clISt17integral_constantIbLb0EESX_EEDaSS_ST_EUlSS_E0_NS1_11comp_targetILNS1_3genE5ELNS1_11target_archE942ELNS1_3gpuE9ELNS1_3repE0EEENS1_30default_config_static_selectorELNS0_4arch9wavefront6targetE1EEEvT1_
                                        ; -- End function
	.section	.AMDGPU.csdata,"",@progbits
; Kernel info:
; codeLenInByte = 0
; NumSgprs: 4
; NumVgprs: 0
; NumAgprs: 0
; TotalNumVgprs: 0
; ScratchSize: 0
; MemoryBound: 0
; FloatMode: 240
; IeeeMode: 1
; LDSByteSize: 0 bytes/workgroup (compile time only)
; SGPRBlocks: 0
; VGPRBlocks: 0
; NumSGPRsForWavesPerEU: 4
; NumVGPRsForWavesPerEU: 1
; AccumOffset: 4
; Occupancy: 8
; WaveLimiterHint : 0
; COMPUTE_PGM_RSRC2:SCRATCH_EN: 0
; COMPUTE_PGM_RSRC2:USER_SGPR: 6
; COMPUTE_PGM_RSRC2:TRAP_HANDLER: 0
; COMPUTE_PGM_RSRC2:TGID_X_EN: 1
; COMPUTE_PGM_RSRC2:TGID_Y_EN: 0
; COMPUTE_PGM_RSRC2:TGID_Z_EN: 0
; COMPUTE_PGM_RSRC2:TIDIG_COMP_CNT: 0
; COMPUTE_PGM_RSRC3_GFX90A:ACCUM_OFFSET: 0
; COMPUTE_PGM_RSRC3_GFX90A:TG_SPLIT: 0
	.section	.text._ZN7rocprim17ROCPRIM_400000_NS6detail17trampoline_kernelINS0_14default_configENS1_20scan_config_selectorItEEZZNS1_9scan_implILNS1_25lookback_scan_determinismE0ELb1ELb1ES3_N6thrust23THRUST_200600_302600_NS6detail15normal_iteratorINS9_10device_ptrItEEEENS9_16discard_iteratorINS9_11use_defaultEEEt11max_functorItEtEEDaPvRmT3_T4_T5_mT6_P12ihipStream_tbENKUlT_T0_E_clISt17integral_constantIbLb0EESX_EEDaSS_ST_EUlSS_E0_NS1_11comp_targetILNS1_3genE4ELNS1_11target_archE910ELNS1_3gpuE8ELNS1_3repE0EEENS1_30default_config_static_selectorELNS0_4arch9wavefront6targetE1EEEvT1_,"axG",@progbits,_ZN7rocprim17ROCPRIM_400000_NS6detail17trampoline_kernelINS0_14default_configENS1_20scan_config_selectorItEEZZNS1_9scan_implILNS1_25lookback_scan_determinismE0ELb1ELb1ES3_N6thrust23THRUST_200600_302600_NS6detail15normal_iteratorINS9_10device_ptrItEEEENS9_16discard_iteratorINS9_11use_defaultEEEt11max_functorItEtEEDaPvRmT3_T4_T5_mT6_P12ihipStream_tbENKUlT_T0_E_clISt17integral_constantIbLb0EESX_EEDaSS_ST_EUlSS_E0_NS1_11comp_targetILNS1_3genE4ELNS1_11target_archE910ELNS1_3gpuE8ELNS1_3repE0EEENS1_30default_config_static_selectorELNS0_4arch9wavefront6targetE1EEEvT1_,comdat
	.protected	_ZN7rocprim17ROCPRIM_400000_NS6detail17trampoline_kernelINS0_14default_configENS1_20scan_config_selectorItEEZZNS1_9scan_implILNS1_25lookback_scan_determinismE0ELb1ELb1ES3_N6thrust23THRUST_200600_302600_NS6detail15normal_iteratorINS9_10device_ptrItEEEENS9_16discard_iteratorINS9_11use_defaultEEEt11max_functorItEtEEDaPvRmT3_T4_T5_mT6_P12ihipStream_tbENKUlT_T0_E_clISt17integral_constantIbLb0EESX_EEDaSS_ST_EUlSS_E0_NS1_11comp_targetILNS1_3genE4ELNS1_11target_archE910ELNS1_3gpuE8ELNS1_3repE0EEENS1_30default_config_static_selectorELNS0_4arch9wavefront6targetE1EEEvT1_ ; -- Begin function _ZN7rocprim17ROCPRIM_400000_NS6detail17trampoline_kernelINS0_14default_configENS1_20scan_config_selectorItEEZZNS1_9scan_implILNS1_25lookback_scan_determinismE0ELb1ELb1ES3_N6thrust23THRUST_200600_302600_NS6detail15normal_iteratorINS9_10device_ptrItEEEENS9_16discard_iteratorINS9_11use_defaultEEEt11max_functorItEtEEDaPvRmT3_T4_T5_mT6_P12ihipStream_tbENKUlT_T0_E_clISt17integral_constantIbLb0EESX_EEDaSS_ST_EUlSS_E0_NS1_11comp_targetILNS1_3genE4ELNS1_11target_archE910ELNS1_3gpuE8ELNS1_3repE0EEENS1_30default_config_static_selectorELNS0_4arch9wavefront6targetE1EEEvT1_
	.globl	_ZN7rocprim17ROCPRIM_400000_NS6detail17trampoline_kernelINS0_14default_configENS1_20scan_config_selectorItEEZZNS1_9scan_implILNS1_25lookback_scan_determinismE0ELb1ELb1ES3_N6thrust23THRUST_200600_302600_NS6detail15normal_iteratorINS9_10device_ptrItEEEENS9_16discard_iteratorINS9_11use_defaultEEEt11max_functorItEtEEDaPvRmT3_T4_T5_mT6_P12ihipStream_tbENKUlT_T0_E_clISt17integral_constantIbLb0EESX_EEDaSS_ST_EUlSS_E0_NS1_11comp_targetILNS1_3genE4ELNS1_11target_archE910ELNS1_3gpuE8ELNS1_3repE0EEENS1_30default_config_static_selectorELNS0_4arch9wavefront6targetE1EEEvT1_
	.p2align	8
	.type	_ZN7rocprim17ROCPRIM_400000_NS6detail17trampoline_kernelINS0_14default_configENS1_20scan_config_selectorItEEZZNS1_9scan_implILNS1_25lookback_scan_determinismE0ELb1ELb1ES3_N6thrust23THRUST_200600_302600_NS6detail15normal_iteratorINS9_10device_ptrItEEEENS9_16discard_iteratorINS9_11use_defaultEEEt11max_functorItEtEEDaPvRmT3_T4_T5_mT6_P12ihipStream_tbENKUlT_T0_E_clISt17integral_constantIbLb0EESX_EEDaSS_ST_EUlSS_E0_NS1_11comp_targetILNS1_3genE4ELNS1_11target_archE910ELNS1_3gpuE8ELNS1_3repE0EEENS1_30default_config_static_selectorELNS0_4arch9wavefront6targetE1EEEvT1_,@function
_ZN7rocprim17ROCPRIM_400000_NS6detail17trampoline_kernelINS0_14default_configENS1_20scan_config_selectorItEEZZNS1_9scan_implILNS1_25lookback_scan_determinismE0ELb1ELb1ES3_N6thrust23THRUST_200600_302600_NS6detail15normal_iteratorINS9_10device_ptrItEEEENS9_16discard_iteratorINS9_11use_defaultEEEt11max_functorItEtEEDaPvRmT3_T4_T5_mT6_P12ihipStream_tbENKUlT_T0_E_clISt17integral_constantIbLb0EESX_EEDaSS_ST_EUlSS_E0_NS1_11comp_targetILNS1_3genE4ELNS1_11target_archE910ELNS1_3gpuE8ELNS1_3repE0EEENS1_30default_config_static_selectorELNS0_4arch9wavefront6targetE1EEEvT1_: ; @_ZN7rocprim17ROCPRIM_400000_NS6detail17trampoline_kernelINS0_14default_configENS1_20scan_config_selectorItEEZZNS1_9scan_implILNS1_25lookback_scan_determinismE0ELb1ELb1ES3_N6thrust23THRUST_200600_302600_NS6detail15normal_iteratorINS9_10device_ptrItEEEENS9_16discard_iteratorINS9_11use_defaultEEEt11max_functorItEtEEDaPvRmT3_T4_T5_mT6_P12ihipStream_tbENKUlT_T0_E_clISt17integral_constantIbLb0EESX_EEDaSS_ST_EUlSS_E0_NS1_11comp_targetILNS1_3genE4ELNS1_11target_archE910ELNS1_3gpuE8ELNS1_3repE0EEENS1_30default_config_static_selectorELNS0_4arch9wavefront6targetE1EEEvT1_
; %bb.0:
	s_load_dwordx4 s[0:3], s[4:5], 0x0
	v_mov_b32_e32 v1, 0
	s_waitcnt lgkmcnt(0)
	global_load_ushort v2, v1, s[0:1]
	v_cmp_gt_u32_e32 vcc, s2, v0
	v_lshlrev_b32_e32 v1, 1, v0
	s_waitcnt vmcnt(0)
	v_mov_b32_e32 v3, v2
	s_and_saveexec_b64 s[6:7], vcc
	s_cbranch_execz .LBB3649_2
; %bb.1:
	global_load_ushort v3, v1, s[0:1]
.LBB3649_2:
	s_or_b64 exec, exec, s[6:7]
	v_or_b32_e32 v4, 64, v0
	v_cmp_gt_u32_e32 vcc, s2, v4
	v_mov_b32_e32 v4, v2
	s_and_saveexec_b64 s[6:7], vcc
	s_cbranch_execz .LBB3649_4
; %bb.3:
	global_load_ushort v4, v1, s[0:1] offset:128
.LBB3649_4:
	s_or_b64 exec, exec, s[6:7]
	v_or_b32_e32 v5, 0x80, v0
	v_cmp_gt_u32_e32 vcc, s2, v5
	v_mov_b32_e32 v5, v2
	s_and_saveexec_b64 s[6:7], vcc
	s_cbranch_execz .LBB3649_6
; %bb.5:
	global_load_ushort v5, v1, s[0:1] offset:256
.LBB3649_6:
	;; [unrolled: 9-line block ×22, first 2 shown]
	s_or_b64 exec, exec, s[6:7]
	s_load_dword s4, s[4:5], 0x10
	v_or_b32_e32 v26, 0x5c0, v0
	v_cmp_gt_u32_e32 vcc, s2, v26
	s_and_saveexec_b64 s[2:3], vcc
	s_cbranch_execz .LBB3649_48
; %bb.47:
	global_load_ushort v2, v1, s[0:1] offset:2944
.LBB3649_48:
	s_or_b64 exec, exec, s[2:3]
	s_waitcnt vmcnt(0)
	ds_write_b16 v1, v3
	ds_write_b16 v1, v4 offset:128
	ds_write_b16 v1, v5 offset:256
	;; [unrolled: 1-line block ×23, first 2 shown]
	v_mad_u32_u24 v2, v0, 46, v1
	s_waitcnt lgkmcnt(0)
	; wave barrier
	s_waitcnt lgkmcnt(0)
	ds_read_b128 v[10:13], v2
	ds_read_b128 v[6:9], v2 offset:16
	ds_read_b128 v[2:5], v2 offset:32
	v_mul_u32_u24_e32 v14, 46, v0
	s_waitcnt lgkmcnt(0)
	; wave barrier
	s_waitcnt lgkmcnt(0)
	v_lshrrev_b32_e32 v24, 16, v11
	v_max_u16_sdwa v26, v10, v10 dst_sel:DWORD dst_unused:UNUSED_PAD src0_sel:DWORD src1_sel:WORD_1
	v_lshrrev_b32_e32 v23, 16, v12
	v_max3_u16 v26, v26, v11, v24
	v_lshrrev_b32_e32 v22, 16, v13
	v_max3_u16 v26, v26, v12, v23
	;; [unrolled: 2-line block ×10, first 2 shown]
	v_max3_u16 v26, v26, v5, v25
	v_mbcnt_lo_u32_b32 v25, -1, 0
	v_mbcnt_hi_u32_b32 v25, -1, v25
	v_and_b32_e32 v28, 0xffff, v26
	v_and_b32_e32 v27, 15, v25
	v_cmp_eq_u32_e32 vcc, 0, v27
	v_mov_b32_dpp v28, v28 row_shr:1 row_mask:0xf bank_mask:0xf
	v_max_u16_e32 v28, v28, v26
	v_cndmask_b32_e32 v26, v28, v26, vcc
	v_and_b32_e32 v28, 0xffff, v26
	v_cmp_lt_u32_e32 vcc, 1, v27
	s_nop 0
	v_mov_b32_dpp v28, v28 row_shr:2 row_mask:0xf bank_mask:0xf
	v_max_u16_e32 v28, v28, v26
	v_cndmask_b32_e32 v26, v26, v28, vcc
	v_and_b32_e32 v28, 0xffff, v26
	v_cmp_lt_u32_e32 vcc, 3, v27
	s_nop 0
	;; [unrolled: 6-line block ×3, first 2 shown]
	v_mov_b32_dpp v28, v28 row_shr:8 row_mask:0xf bank_mask:0xf
	v_max_u16_e32 v28, v28, v26
	v_cndmask_b32_e32 v26, v26, v28, vcc
	v_and_b32_e32 v27, 0xffff, v26
	v_and_b32_e32 v28, 16, v25
	v_cmp_eq_u32_e32 vcc, 0, v28
	v_mov_b32_dpp v27, v27 row_bcast:15 row_mask:0xf bank_mask:0xf
	v_max_u16_e32 v27, v27, v26
	v_cndmask_b32_e32 v26, v27, v26, vcc
	v_and_b32_e32 v27, 0xffff, v26
	v_cmp_lt_u32_e32 vcc, 31, v25
	s_nop 0
	v_mov_b32_dpp v27, v27 row_bcast:31 row_mask:0xf bank_mask:0xf
	v_max_u16_e32 v27, v27, v26
	v_cndmask_b32_e32 v26, v26, v27, vcc
	v_cmp_eq_u32_e32 vcc, 63, v0
	s_and_saveexec_b64 s[0:1], vcc
	s_cbranch_execz .LBB3649_50
; %bb.49:
	v_mov_b32_e32 v27, 0
	ds_write_b16 v27, v26
.LBB3649_50:
	s_or_b64 exec, exec, s[0:1]
	v_add_u32_e32 v27, -1, v25
	v_and_b32_e32 v28, 64, v25
	v_cmp_lt_i32_e32 vcc, v27, v28
	v_cndmask_b32_e32 v27, v27, v25, vcc
	v_max_u16_e32 v26, s4, v26
	v_lshlrev_b32_e32 v27, 2, v27
	ds_bpermute_b32 v26, v27, v26
	v_cmp_eq_u32_e32 vcc, 0, v25
	v_cmp_eq_u32_e64 s[0:1], 0, v0
	v_mov_b32_e32 v0, s4
	s_or_b64 vcc, s[0:1], vcc
	s_waitcnt lgkmcnt(0)
	v_cndmask_b32_e32 v0, v26, v0, vcc
	v_max_u16_e32 v25, v0, v10
	v_max_u16_sdwa v10, v25, v10 dst_sel:DWORD dst_unused:UNUSED_PAD src0_sel:DWORD src1_sel:WORD_1
	v_max_u16_e32 v11, v10, v11
	v_max_u16_e32 v24, v11, v24
	;; [unrolled: 1-line block ×19, first 2 shown]
	s_mov_b32 s0, 0x5040100
	v_max_u16_e32 v15, v4, v15
	v_add_u32_e32 v14, v1, v14
	v_perm_b32 v0, v25, v0, s0
	v_perm_b32 v1, v11, v10, s0
	;; [unrolled: 1-line block ×4, first 2 shown]
	s_waitcnt lgkmcnt(0)
	; wave barrier
	v_max_u16_e32 v5, v15, v5
	s_waitcnt lgkmcnt(0)
	; wave barrier
	ds_write_b128 v14, v[0:3]
	v_perm_b32 v0, v6, v22, s0
	v_perm_b32 v1, v7, v21, s0
	;; [unrolled: 1-line block ×4, first 2 shown]
	ds_write_b128 v14, v[0:3] offset:16
	v_perm_b32 v0, v26, v18, s0
	v_perm_b32 v1, v27, v17, s0
	;; [unrolled: 1-line block ×4, first 2 shown]
	ds_write_b128 v14, v[0:3] offset:32
	s_waitcnt lgkmcnt(0)
	; wave barrier
	s_waitcnt lgkmcnt(0)
	s_endpgm
	.section	.rodata,"a",@progbits
	.p2align	6, 0x0
	.amdhsa_kernel _ZN7rocprim17ROCPRIM_400000_NS6detail17trampoline_kernelINS0_14default_configENS1_20scan_config_selectorItEEZZNS1_9scan_implILNS1_25lookback_scan_determinismE0ELb1ELb1ES3_N6thrust23THRUST_200600_302600_NS6detail15normal_iteratorINS9_10device_ptrItEEEENS9_16discard_iteratorINS9_11use_defaultEEEt11max_functorItEtEEDaPvRmT3_T4_T5_mT6_P12ihipStream_tbENKUlT_T0_E_clISt17integral_constantIbLb0EESX_EEDaSS_ST_EUlSS_E0_NS1_11comp_targetILNS1_3genE4ELNS1_11target_archE910ELNS1_3gpuE8ELNS1_3repE0EEENS1_30default_config_static_selectorELNS0_4arch9wavefront6targetE1EEEvT1_
		.amdhsa_group_segment_fixed_size 3072
		.amdhsa_private_segment_fixed_size 0
		.amdhsa_kernarg_size 40
		.amdhsa_user_sgpr_count 6
		.amdhsa_user_sgpr_private_segment_buffer 1
		.amdhsa_user_sgpr_dispatch_ptr 0
		.amdhsa_user_sgpr_queue_ptr 0
		.amdhsa_user_sgpr_kernarg_segment_ptr 1
		.amdhsa_user_sgpr_dispatch_id 0
		.amdhsa_user_sgpr_flat_scratch_init 0
		.amdhsa_user_sgpr_kernarg_preload_length 0
		.amdhsa_user_sgpr_kernarg_preload_offset 0
		.amdhsa_user_sgpr_private_segment_size 0
		.amdhsa_uses_dynamic_stack 0
		.amdhsa_system_sgpr_private_segment_wavefront_offset 0
		.amdhsa_system_sgpr_workgroup_id_x 1
		.amdhsa_system_sgpr_workgroup_id_y 0
		.amdhsa_system_sgpr_workgroup_id_z 0
		.amdhsa_system_sgpr_workgroup_info 0
		.amdhsa_system_vgpr_workitem_id 0
		.amdhsa_next_free_vgpr 29
		.amdhsa_next_free_sgpr 8
		.amdhsa_accum_offset 32
		.amdhsa_reserve_vcc 1
		.amdhsa_reserve_flat_scratch 0
		.amdhsa_float_round_mode_32 0
		.amdhsa_float_round_mode_16_64 0
		.amdhsa_float_denorm_mode_32 3
		.amdhsa_float_denorm_mode_16_64 3
		.amdhsa_dx10_clamp 1
		.amdhsa_ieee_mode 1
		.amdhsa_fp16_overflow 0
		.amdhsa_tg_split 0
		.amdhsa_exception_fp_ieee_invalid_op 0
		.amdhsa_exception_fp_denorm_src 0
		.amdhsa_exception_fp_ieee_div_zero 0
		.amdhsa_exception_fp_ieee_overflow 0
		.amdhsa_exception_fp_ieee_underflow 0
		.amdhsa_exception_fp_ieee_inexact 0
		.amdhsa_exception_int_div_zero 0
	.end_amdhsa_kernel
	.section	.text._ZN7rocprim17ROCPRIM_400000_NS6detail17trampoline_kernelINS0_14default_configENS1_20scan_config_selectorItEEZZNS1_9scan_implILNS1_25lookback_scan_determinismE0ELb1ELb1ES3_N6thrust23THRUST_200600_302600_NS6detail15normal_iteratorINS9_10device_ptrItEEEENS9_16discard_iteratorINS9_11use_defaultEEEt11max_functorItEtEEDaPvRmT3_T4_T5_mT6_P12ihipStream_tbENKUlT_T0_E_clISt17integral_constantIbLb0EESX_EEDaSS_ST_EUlSS_E0_NS1_11comp_targetILNS1_3genE4ELNS1_11target_archE910ELNS1_3gpuE8ELNS1_3repE0EEENS1_30default_config_static_selectorELNS0_4arch9wavefront6targetE1EEEvT1_,"axG",@progbits,_ZN7rocprim17ROCPRIM_400000_NS6detail17trampoline_kernelINS0_14default_configENS1_20scan_config_selectorItEEZZNS1_9scan_implILNS1_25lookback_scan_determinismE0ELb1ELb1ES3_N6thrust23THRUST_200600_302600_NS6detail15normal_iteratorINS9_10device_ptrItEEEENS9_16discard_iteratorINS9_11use_defaultEEEt11max_functorItEtEEDaPvRmT3_T4_T5_mT6_P12ihipStream_tbENKUlT_T0_E_clISt17integral_constantIbLb0EESX_EEDaSS_ST_EUlSS_E0_NS1_11comp_targetILNS1_3genE4ELNS1_11target_archE910ELNS1_3gpuE8ELNS1_3repE0EEENS1_30default_config_static_selectorELNS0_4arch9wavefront6targetE1EEEvT1_,comdat
.Lfunc_end3649:
	.size	_ZN7rocprim17ROCPRIM_400000_NS6detail17trampoline_kernelINS0_14default_configENS1_20scan_config_selectorItEEZZNS1_9scan_implILNS1_25lookback_scan_determinismE0ELb1ELb1ES3_N6thrust23THRUST_200600_302600_NS6detail15normal_iteratorINS9_10device_ptrItEEEENS9_16discard_iteratorINS9_11use_defaultEEEt11max_functorItEtEEDaPvRmT3_T4_T5_mT6_P12ihipStream_tbENKUlT_T0_E_clISt17integral_constantIbLb0EESX_EEDaSS_ST_EUlSS_E0_NS1_11comp_targetILNS1_3genE4ELNS1_11target_archE910ELNS1_3gpuE8ELNS1_3repE0EEENS1_30default_config_static_selectorELNS0_4arch9wavefront6targetE1EEEvT1_, .Lfunc_end3649-_ZN7rocprim17ROCPRIM_400000_NS6detail17trampoline_kernelINS0_14default_configENS1_20scan_config_selectorItEEZZNS1_9scan_implILNS1_25lookback_scan_determinismE0ELb1ELb1ES3_N6thrust23THRUST_200600_302600_NS6detail15normal_iteratorINS9_10device_ptrItEEEENS9_16discard_iteratorINS9_11use_defaultEEEt11max_functorItEtEEDaPvRmT3_T4_T5_mT6_P12ihipStream_tbENKUlT_T0_E_clISt17integral_constantIbLb0EESX_EEDaSS_ST_EUlSS_E0_NS1_11comp_targetILNS1_3genE4ELNS1_11target_archE910ELNS1_3gpuE8ELNS1_3repE0EEENS1_30default_config_static_selectorELNS0_4arch9wavefront6targetE1EEEvT1_
                                        ; -- End function
	.section	.AMDGPU.csdata,"",@progbits
; Kernel info:
; codeLenInByte = 1820
; NumSgprs: 12
; NumVgprs: 29
; NumAgprs: 0
; TotalNumVgprs: 29
; ScratchSize: 0
; MemoryBound: 0
; FloatMode: 240
; IeeeMode: 1
; LDSByteSize: 3072 bytes/workgroup (compile time only)
; SGPRBlocks: 1
; VGPRBlocks: 3
; NumSGPRsForWavesPerEU: 12
; NumVGPRsForWavesPerEU: 29
; AccumOffset: 32
; Occupancy: 6
; WaveLimiterHint : 0
; COMPUTE_PGM_RSRC2:SCRATCH_EN: 0
; COMPUTE_PGM_RSRC2:USER_SGPR: 6
; COMPUTE_PGM_RSRC2:TRAP_HANDLER: 0
; COMPUTE_PGM_RSRC2:TGID_X_EN: 1
; COMPUTE_PGM_RSRC2:TGID_Y_EN: 0
; COMPUTE_PGM_RSRC2:TGID_Z_EN: 0
; COMPUTE_PGM_RSRC2:TIDIG_COMP_CNT: 0
; COMPUTE_PGM_RSRC3_GFX90A:ACCUM_OFFSET: 7
; COMPUTE_PGM_RSRC3_GFX90A:TG_SPLIT: 0
	.section	.text._ZN7rocprim17ROCPRIM_400000_NS6detail17trampoline_kernelINS0_14default_configENS1_20scan_config_selectorItEEZZNS1_9scan_implILNS1_25lookback_scan_determinismE0ELb1ELb1ES3_N6thrust23THRUST_200600_302600_NS6detail15normal_iteratorINS9_10device_ptrItEEEENS9_16discard_iteratorINS9_11use_defaultEEEt11max_functorItEtEEDaPvRmT3_T4_T5_mT6_P12ihipStream_tbENKUlT_T0_E_clISt17integral_constantIbLb0EESX_EEDaSS_ST_EUlSS_E0_NS1_11comp_targetILNS1_3genE3ELNS1_11target_archE908ELNS1_3gpuE7ELNS1_3repE0EEENS1_30default_config_static_selectorELNS0_4arch9wavefront6targetE1EEEvT1_,"axG",@progbits,_ZN7rocprim17ROCPRIM_400000_NS6detail17trampoline_kernelINS0_14default_configENS1_20scan_config_selectorItEEZZNS1_9scan_implILNS1_25lookback_scan_determinismE0ELb1ELb1ES3_N6thrust23THRUST_200600_302600_NS6detail15normal_iteratorINS9_10device_ptrItEEEENS9_16discard_iteratorINS9_11use_defaultEEEt11max_functorItEtEEDaPvRmT3_T4_T5_mT6_P12ihipStream_tbENKUlT_T0_E_clISt17integral_constantIbLb0EESX_EEDaSS_ST_EUlSS_E0_NS1_11comp_targetILNS1_3genE3ELNS1_11target_archE908ELNS1_3gpuE7ELNS1_3repE0EEENS1_30default_config_static_selectorELNS0_4arch9wavefront6targetE1EEEvT1_,comdat
	.protected	_ZN7rocprim17ROCPRIM_400000_NS6detail17trampoline_kernelINS0_14default_configENS1_20scan_config_selectorItEEZZNS1_9scan_implILNS1_25lookback_scan_determinismE0ELb1ELb1ES3_N6thrust23THRUST_200600_302600_NS6detail15normal_iteratorINS9_10device_ptrItEEEENS9_16discard_iteratorINS9_11use_defaultEEEt11max_functorItEtEEDaPvRmT3_T4_T5_mT6_P12ihipStream_tbENKUlT_T0_E_clISt17integral_constantIbLb0EESX_EEDaSS_ST_EUlSS_E0_NS1_11comp_targetILNS1_3genE3ELNS1_11target_archE908ELNS1_3gpuE7ELNS1_3repE0EEENS1_30default_config_static_selectorELNS0_4arch9wavefront6targetE1EEEvT1_ ; -- Begin function _ZN7rocprim17ROCPRIM_400000_NS6detail17trampoline_kernelINS0_14default_configENS1_20scan_config_selectorItEEZZNS1_9scan_implILNS1_25lookback_scan_determinismE0ELb1ELb1ES3_N6thrust23THRUST_200600_302600_NS6detail15normal_iteratorINS9_10device_ptrItEEEENS9_16discard_iteratorINS9_11use_defaultEEEt11max_functorItEtEEDaPvRmT3_T4_T5_mT6_P12ihipStream_tbENKUlT_T0_E_clISt17integral_constantIbLb0EESX_EEDaSS_ST_EUlSS_E0_NS1_11comp_targetILNS1_3genE3ELNS1_11target_archE908ELNS1_3gpuE7ELNS1_3repE0EEENS1_30default_config_static_selectorELNS0_4arch9wavefront6targetE1EEEvT1_
	.globl	_ZN7rocprim17ROCPRIM_400000_NS6detail17trampoline_kernelINS0_14default_configENS1_20scan_config_selectorItEEZZNS1_9scan_implILNS1_25lookback_scan_determinismE0ELb1ELb1ES3_N6thrust23THRUST_200600_302600_NS6detail15normal_iteratorINS9_10device_ptrItEEEENS9_16discard_iteratorINS9_11use_defaultEEEt11max_functorItEtEEDaPvRmT3_T4_T5_mT6_P12ihipStream_tbENKUlT_T0_E_clISt17integral_constantIbLb0EESX_EEDaSS_ST_EUlSS_E0_NS1_11comp_targetILNS1_3genE3ELNS1_11target_archE908ELNS1_3gpuE7ELNS1_3repE0EEENS1_30default_config_static_selectorELNS0_4arch9wavefront6targetE1EEEvT1_
	.p2align	8
	.type	_ZN7rocprim17ROCPRIM_400000_NS6detail17trampoline_kernelINS0_14default_configENS1_20scan_config_selectorItEEZZNS1_9scan_implILNS1_25lookback_scan_determinismE0ELb1ELb1ES3_N6thrust23THRUST_200600_302600_NS6detail15normal_iteratorINS9_10device_ptrItEEEENS9_16discard_iteratorINS9_11use_defaultEEEt11max_functorItEtEEDaPvRmT3_T4_T5_mT6_P12ihipStream_tbENKUlT_T0_E_clISt17integral_constantIbLb0EESX_EEDaSS_ST_EUlSS_E0_NS1_11comp_targetILNS1_3genE3ELNS1_11target_archE908ELNS1_3gpuE7ELNS1_3repE0EEENS1_30default_config_static_selectorELNS0_4arch9wavefront6targetE1EEEvT1_,@function
_ZN7rocprim17ROCPRIM_400000_NS6detail17trampoline_kernelINS0_14default_configENS1_20scan_config_selectorItEEZZNS1_9scan_implILNS1_25lookback_scan_determinismE0ELb1ELb1ES3_N6thrust23THRUST_200600_302600_NS6detail15normal_iteratorINS9_10device_ptrItEEEENS9_16discard_iteratorINS9_11use_defaultEEEt11max_functorItEtEEDaPvRmT3_T4_T5_mT6_P12ihipStream_tbENKUlT_T0_E_clISt17integral_constantIbLb0EESX_EEDaSS_ST_EUlSS_E0_NS1_11comp_targetILNS1_3genE3ELNS1_11target_archE908ELNS1_3gpuE7ELNS1_3repE0EEENS1_30default_config_static_selectorELNS0_4arch9wavefront6targetE1EEEvT1_: ; @_ZN7rocprim17ROCPRIM_400000_NS6detail17trampoline_kernelINS0_14default_configENS1_20scan_config_selectorItEEZZNS1_9scan_implILNS1_25lookback_scan_determinismE0ELb1ELb1ES3_N6thrust23THRUST_200600_302600_NS6detail15normal_iteratorINS9_10device_ptrItEEEENS9_16discard_iteratorINS9_11use_defaultEEEt11max_functorItEtEEDaPvRmT3_T4_T5_mT6_P12ihipStream_tbENKUlT_T0_E_clISt17integral_constantIbLb0EESX_EEDaSS_ST_EUlSS_E0_NS1_11comp_targetILNS1_3genE3ELNS1_11target_archE908ELNS1_3gpuE7ELNS1_3repE0EEENS1_30default_config_static_selectorELNS0_4arch9wavefront6targetE1EEEvT1_
; %bb.0:
	.section	.rodata,"a",@progbits
	.p2align	6, 0x0
	.amdhsa_kernel _ZN7rocprim17ROCPRIM_400000_NS6detail17trampoline_kernelINS0_14default_configENS1_20scan_config_selectorItEEZZNS1_9scan_implILNS1_25lookback_scan_determinismE0ELb1ELb1ES3_N6thrust23THRUST_200600_302600_NS6detail15normal_iteratorINS9_10device_ptrItEEEENS9_16discard_iteratorINS9_11use_defaultEEEt11max_functorItEtEEDaPvRmT3_T4_T5_mT6_P12ihipStream_tbENKUlT_T0_E_clISt17integral_constantIbLb0EESX_EEDaSS_ST_EUlSS_E0_NS1_11comp_targetILNS1_3genE3ELNS1_11target_archE908ELNS1_3gpuE7ELNS1_3repE0EEENS1_30default_config_static_selectorELNS0_4arch9wavefront6targetE1EEEvT1_
		.amdhsa_group_segment_fixed_size 0
		.amdhsa_private_segment_fixed_size 0
		.amdhsa_kernarg_size 40
		.amdhsa_user_sgpr_count 6
		.amdhsa_user_sgpr_private_segment_buffer 1
		.amdhsa_user_sgpr_dispatch_ptr 0
		.amdhsa_user_sgpr_queue_ptr 0
		.amdhsa_user_sgpr_kernarg_segment_ptr 1
		.amdhsa_user_sgpr_dispatch_id 0
		.amdhsa_user_sgpr_flat_scratch_init 0
		.amdhsa_user_sgpr_kernarg_preload_length 0
		.amdhsa_user_sgpr_kernarg_preload_offset 0
		.amdhsa_user_sgpr_private_segment_size 0
		.amdhsa_uses_dynamic_stack 0
		.amdhsa_system_sgpr_private_segment_wavefront_offset 0
		.amdhsa_system_sgpr_workgroup_id_x 1
		.amdhsa_system_sgpr_workgroup_id_y 0
		.amdhsa_system_sgpr_workgroup_id_z 0
		.amdhsa_system_sgpr_workgroup_info 0
		.amdhsa_system_vgpr_workitem_id 0
		.amdhsa_next_free_vgpr 1
		.amdhsa_next_free_sgpr 0
		.amdhsa_accum_offset 4
		.amdhsa_reserve_vcc 0
		.amdhsa_reserve_flat_scratch 0
		.amdhsa_float_round_mode_32 0
		.amdhsa_float_round_mode_16_64 0
		.amdhsa_float_denorm_mode_32 3
		.amdhsa_float_denorm_mode_16_64 3
		.amdhsa_dx10_clamp 1
		.amdhsa_ieee_mode 1
		.amdhsa_fp16_overflow 0
		.amdhsa_tg_split 0
		.amdhsa_exception_fp_ieee_invalid_op 0
		.amdhsa_exception_fp_denorm_src 0
		.amdhsa_exception_fp_ieee_div_zero 0
		.amdhsa_exception_fp_ieee_overflow 0
		.amdhsa_exception_fp_ieee_underflow 0
		.amdhsa_exception_fp_ieee_inexact 0
		.amdhsa_exception_int_div_zero 0
	.end_amdhsa_kernel
	.section	.text._ZN7rocprim17ROCPRIM_400000_NS6detail17trampoline_kernelINS0_14default_configENS1_20scan_config_selectorItEEZZNS1_9scan_implILNS1_25lookback_scan_determinismE0ELb1ELb1ES3_N6thrust23THRUST_200600_302600_NS6detail15normal_iteratorINS9_10device_ptrItEEEENS9_16discard_iteratorINS9_11use_defaultEEEt11max_functorItEtEEDaPvRmT3_T4_T5_mT6_P12ihipStream_tbENKUlT_T0_E_clISt17integral_constantIbLb0EESX_EEDaSS_ST_EUlSS_E0_NS1_11comp_targetILNS1_3genE3ELNS1_11target_archE908ELNS1_3gpuE7ELNS1_3repE0EEENS1_30default_config_static_selectorELNS0_4arch9wavefront6targetE1EEEvT1_,"axG",@progbits,_ZN7rocprim17ROCPRIM_400000_NS6detail17trampoline_kernelINS0_14default_configENS1_20scan_config_selectorItEEZZNS1_9scan_implILNS1_25lookback_scan_determinismE0ELb1ELb1ES3_N6thrust23THRUST_200600_302600_NS6detail15normal_iteratorINS9_10device_ptrItEEEENS9_16discard_iteratorINS9_11use_defaultEEEt11max_functorItEtEEDaPvRmT3_T4_T5_mT6_P12ihipStream_tbENKUlT_T0_E_clISt17integral_constantIbLb0EESX_EEDaSS_ST_EUlSS_E0_NS1_11comp_targetILNS1_3genE3ELNS1_11target_archE908ELNS1_3gpuE7ELNS1_3repE0EEENS1_30default_config_static_selectorELNS0_4arch9wavefront6targetE1EEEvT1_,comdat
.Lfunc_end3650:
	.size	_ZN7rocprim17ROCPRIM_400000_NS6detail17trampoline_kernelINS0_14default_configENS1_20scan_config_selectorItEEZZNS1_9scan_implILNS1_25lookback_scan_determinismE0ELb1ELb1ES3_N6thrust23THRUST_200600_302600_NS6detail15normal_iteratorINS9_10device_ptrItEEEENS9_16discard_iteratorINS9_11use_defaultEEEt11max_functorItEtEEDaPvRmT3_T4_T5_mT6_P12ihipStream_tbENKUlT_T0_E_clISt17integral_constantIbLb0EESX_EEDaSS_ST_EUlSS_E0_NS1_11comp_targetILNS1_3genE3ELNS1_11target_archE908ELNS1_3gpuE7ELNS1_3repE0EEENS1_30default_config_static_selectorELNS0_4arch9wavefront6targetE1EEEvT1_, .Lfunc_end3650-_ZN7rocprim17ROCPRIM_400000_NS6detail17trampoline_kernelINS0_14default_configENS1_20scan_config_selectorItEEZZNS1_9scan_implILNS1_25lookback_scan_determinismE0ELb1ELb1ES3_N6thrust23THRUST_200600_302600_NS6detail15normal_iteratorINS9_10device_ptrItEEEENS9_16discard_iteratorINS9_11use_defaultEEEt11max_functorItEtEEDaPvRmT3_T4_T5_mT6_P12ihipStream_tbENKUlT_T0_E_clISt17integral_constantIbLb0EESX_EEDaSS_ST_EUlSS_E0_NS1_11comp_targetILNS1_3genE3ELNS1_11target_archE908ELNS1_3gpuE7ELNS1_3repE0EEENS1_30default_config_static_selectorELNS0_4arch9wavefront6targetE1EEEvT1_
                                        ; -- End function
	.section	.AMDGPU.csdata,"",@progbits
; Kernel info:
; codeLenInByte = 0
; NumSgprs: 4
; NumVgprs: 0
; NumAgprs: 0
; TotalNumVgprs: 0
; ScratchSize: 0
; MemoryBound: 0
; FloatMode: 240
; IeeeMode: 1
; LDSByteSize: 0 bytes/workgroup (compile time only)
; SGPRBlocks: 0
; VGPRBlocks: 0
; NumSGPRsForWavesPerEU: 4
; NumVGPRsForWavesPerEU: 1
; AccumOffset: 4
; Occupancy: 8
; WaveLimiterHint : 0
; COMPUTE_PGM_RSRC2:SCRATCH_EN: 0
; COMPUTE_PGM_RSRC2:USER_SGPR: 6
; COMPUTE_PGM_RSRC2:TRAP_HANDLER: 0
; COMPUTE_PGM_RSRC2:TGID_X_EN: 1
; COMPUTE_PGM_RSRC2:TGID_Y_EN: 0
; COMPUTE_PGM_RSRC2:TGID_Z_EN: 0
; COMPUTE_PGM_RSRC2:TIDIG_COMP_CNT: 0
; COMPUTE_PGM_RSRC3_GFX90A:ACCUM_OFFSET: 0
; COMPUTE_PGM_RSRC3_GFX90A:TG_SPLIT: 0
	.section	.text._ZN7rocprim17ROCPRIM_400000_NS6detail17trampoline_kernelINS0_14default_configENS1_20scan_config_selectorItEEZZNS1_9scan_implILNS1_25lookback_scan_determinismE0ELb1ELb1ES3_N6thrust23THRUST_200600_302600_NS6detail15normal_iteratorINS9_10device_ptrItEEEENS9_16discard_iteratorINS9_11use_defaultEEEt11max_functorItEtEEDaPvRmT3_T4_T5_mT6_P12ihipStream_tbENKUlT_T0_E_clISt17integral_constantIbLb0EESX_EEDaSS_ST_EUlSS_E0_NS1_11comp_targetILNS1_3genE2ELNS1_11target_archE906ELNS1_3gpuE6ELNS1_3repE0EEENS1_30default_config_static_selectorELNS0_4arch9wavefront6targetE1EEEvT1_,"axG",@progbits,_ZN7rocprim17ROCPRIM_400000_NS6detail17trampoline_kernelINS0_14default_configENS1_20scan_config_selectorItEEZZNS1_9scan_implILNS1_25lookback_scan_determinismE0ELb1ELb1ES3_N6thrust23THRUST_200600_302600_NS6detail15normal_iteratorINS9_10device_ptrItEEEENS9_16discard_iteratorINS9_11use_defaultEEEt11max_functorItEtEEDaPvRmT3_T4_T5_mT6_P12ihipStream_tbENKUlT_T0_E_clISt17integral_constantIbLb0EESX_EEDaSS_ST_EUlSS_E0_NS1_11comp_targetILNS1_3genE2ELNS1_11target_archE906ELNS1_3gpuE6ELNS1_3repE0EEENS1_30default_config_static_selectorELNS0_4arch9wavefront6targetE1EEEvT1_,comdat
	.protected	_ZN7rocprim17ROCPRIM_400000_NS6detail17trampoline_kernelINS0_14default_configENS1_20scan_config_selectorItEEZZNS1_9scan_implILNS1_25lookback_scan_determinismE0ELb1ELb1ES3_N6thrust23THRUST_200600_302600_NS6detail15normal_iteratorINS9_10device_ptrItEEEENS9_16discard_iteratorINS9_11use_defaultEEEt11max_functorItEtEEDaPvRmT3_T4_T5_mT6_P12ihipStream_tbENKUlT_T0_E_clISt17integral_constantIbLb0EESX_EEDaSS_ST_EUlSS_E0_NS1_11comp_targetILNS1_3genE2ELNS1_11target_archE906ELNS1_3gpuE6ELNS1_3repE0EEENS1_30default_config_static_selectorELNS0_4arch9wavefront6targetE1EEEvT1_ ; -- Begin function _ZN7rocprim17ROCPRIM_400000_NS6detail17trampoline_kernelINS0_14default_configENS1_20scan_config_selectorItEEZZNS1_9scan_implILNS1_25lookback_scan_determinismE0ELb1ELb1ES3_N6thrust23THRUST_200600_302600_NS6detail15normal_iteratorINS9_10device_ptrItEEEENS9_16discard_iteratorINS9_11use_defaultEEEt11max_functorItEtEEDaPvRmT3_T4_T5_mT6_P12ihipStream_tbENKUlT_T0_E_clISt17integral_constantIbLb0EESX_EEDaSS_ST_EUlSS_E0_NS1_11comp_targetILNS1_3genE2ELNS1_11target_archE906ELNS1_3gpuE6ELNS1_3repE0EEENS1_30default_config_static_selectorELNS0_4arch9wavefront6targetE1EEEvT1_
	.globl	_ZN7rocprim17ROCPRIM_400000_NS6detail17trampoline_kernelINS0_14default_configENS1_20scan_config_selectorItEEZZNS1_9scan_implILNS1_25lookback_scan_determinismE0ELb1ELb1ES3_N6thrust23THRUST_200600_302600_NS6detail15normal_iteratorINS9_10device_ptrItEEEENS9_16discard_iteratorINS9_11use_defaultEEEt11max_functorItEtEEDaPvRmT3_T4_T5_mT6_P12ihipStream_tbENKUlT_T0_E_clISt17integral_constantIbLb0EESX_EEDaSS_ST_EUlSS_E0_NS1_11comp_targetILNS1_3genE2ELNS1_11target_archE906ELNS1_3gpuE6ELNS1_3repE0EEENS1_30default_config_static_selectorELNS0_4arch9wavefront6targetE1EEEvT1_
	.p2align	8
	.type	_ZN7rocprim17ROCPRIM_400000_NS6detail17trampoline_kernelINS0_14default_configENS1_20scan_config_selectorItEEZZNS1_9scan_implILNS1_25lookback_scan_determinismE0ELb1ELb1ES3_N6thrust23THRUST_200600_302600_NS6detail15normal_iteratorINS9_10device_ptrItEEEENS9_16discard_iteratorINS9_11use_defaultEEEt11max_functorItEtEEDaPvRmT3_T4_T5_mT6_P12ihipStream_tbENKUlT_T0_E_clISt17integral_constantIbLb0EESX_EEDaSS_ST_EUlSS_E0_NS1_11comp_targetILNS1_3genE2ELNS1_11target_archE906ELNS1_3gpuE6ELNS1_3repE0EEENS1_30default_config_static_selectorELNS0_4arch9wavefront6targetE1EEEvT1_,@function
_ZN7rocprim17ROCPRIM_400000_NS6detail17trampoline_kernelINS0_14default_configENS1_20scan_config_selectorItEEZZNS1_9scan_implILNS1_25lookback_scan_determinismE0ELb1ELb1ES3_N6thrust23THRUST_200600_302600_NS6detail15normal_iteratorINS9_10device_ptrItEEEENS9_16discard_iteratorINS9_11use_defaultEEEt11max_functorItEtEEDaPvRmT3_T4_T5_mT6_P12ihipStream_tbENKUlT_T0_E_clISt17integral_constantIbLb0EESX_EEDaSS_ST_EUlSS_E0_NS1_11comp_targetILNS1_3genE2ELNS1_11target_archE906ELNS1_3gpuE6ELNS1_3repE0EEENS1_30default_config_static_selectorELNS0_4arch9wavefront6targetE1EEEvT1_: ; @_ZN7rocprim17ROCPRIM_400000_NS6detail17trampoline_kernelINS0_14default_configENS1_20scan_config_selectorItEEZZNS1_9scan_implILNS1_25lookback_scan_determinismE0ELb1ELb1ES3_N6thrust23THRUST_200600_302600_NS6detail15normal_iteratorINS9_10device_ptrItEEEENS9_16discard_iteratorINS9_11use_defaultEEEt11max_functorItEtEEDaPvRmT3_T4_T5_mT6_P12ihipStream_tbENKUlT_T0_E_clISt17integral_constantIbLb0EESX_EEDaSS_ST_EUlSS_E0_NS1_11comp_targetILNS1_3genE2ELNS1_11target_archE906ELNS1_3gpuE6ELNS1_3repE0EEENS1_30default_config_static_selectorELNS0_4arch9wavefront6targetE1EEEvT1_
; %bb.0:
	.section	.rodata,"a",@progbits
	.p2align	6, 0x0
	.amdhsa_kernel _ZN7rocprim17ROCPRIM_400000_NS6detail17trampoline_kernelINS0_14default_configENS1_20scan_config_selectorItEEZZNS1_9scan_implILNS1_25lookback_scan_determinismE0ELb1ELb1ES3_N6thrust23THRUST_200600_302600_NS6detail15normal_iteratorINS9_10device_ptrItEEEENS9_16discard_iteratorINS9_11use_defaultEEEt11max_functorItEtEEDaPvRmT3_T4_T5_mT6_P12ihipStream_tbENKUlT_T0_E_clISt17integral_constantIbLb0EESX_EEDaSS_ST_EUlSS_E0_NS1_11comp_targetILNS1_3genE2ELNS1_11target_archE906ELNS1_3gpuE6ELNS1_3repE0EEENS1_30default_config_static_selectorELNS0_4arch9wavefront6targetE1EEEvT1_
		.amdhsa_group_segment_fixed_size 0
		.amdhsa_private_segment_fixed_size 0
		.amdhsa_kernarg_size 40
		.amdhsa_user_sgpr_count 6
		.amdhsa_user_sgpr_private_segment_buffer 1
		.amdhsa_user_sgpr_dispatch_ptr 0
		.amdhsa_user_sgpr_queue_ptr 0
		.amdhsa_user_sgpr_kernarg_segment_ptr 1
		.amdhsa_user_sgpr_dispatch_id 0
		.amdhsa_user_sgpr_flat_scratch_init 0
		.amdhsa_user_sgpr_kernarg_preload_length 0
		.amdhsa_user_sgpr_kernarg_preload_offset 0
		.amdhsa_user_sgpr_private_segment_size 0
		.amdhsa_uses_dynamic_stack 0
		.amdhsa_system_sgpr_private_segment_wavefront_offset 0
		.amdhsa_system_sgpr_workgroup_id_x 1
		.amdhsa_system_sgpr_workgroup_id_y 0
		.amdhsa_system_sgpr_workgroup_id_z 0
		.amdhsa_system_sgpr_workgroup_info 0
		.amdhsa_system_vgpr_workitem_id 0
		.amdhsa_next_free_vgpr 1
		.amdhsa_next_free_sgpr 0
		.amdhsa_accum_offset 4
		.amdhsa_reserve_vcc 0
		.amdhsa_reserve_flat_scratch 0
		.amdhsa_float_round_mode_32 0
		.amdhsa_float_round_mode_16_64 0
		.amdhsa_float_denorm_mode_32 3
		.amdhsa_float_denorm_mode_16_64 3
		.amdhsa_dx10_clamp 1
		.amdhsa_ieee_mode 1
		.amdhsa_fp16_overflow 0
		.amdhsa_tg_split 0
		.amdhsa_exception_fp_ieee_invalid_op 0
		.amdhsa_exception_fp_denorm_src 0
		.amdhsa_exception_fp_ieee_div_zero 0
		.amdhsa_exception_fp_ieee_overflow 0
		.amdhsa_exception_fp_ieee_underflow 0
		.amdhsa_exception_fp_ieee_inexact 0
		.amdhsa_exception_int_div_zero 0
	.end_amdhsa_kernel
	.section	.text._ZN7rocprim17ROCPRIM_400000_NS6detail17trampoline_kernelINS0_14default_configENS1_20scan_config_selectorItEEZZNS1_9scan_implILNS1_25lookback_scan_determinismE0ELb1ELb1ES3_N6thrust23THRUST_200600_302600_NS6detail15normal_iteratorINS9_10device_ptrItEEEENS9_16discard_iteratorINS9_11use_defaultEEEt11max_functorItEtEEDaPvRmT3_T4_T5_mT6_P12ihipStream_tbENKUlT_T0_E_clISt17integral_constantIbLb0EESX_EEDaSS_ST_EUlSS_E0_NS1_11comp_targetILNS1_3genE2ELNS1_11target_archE906ELNS1_3gpuE6ELNS1_3repE0EEENS1_30default_config_static_selectorELNS0_4arch9wavefront6targetE1EEEvT1_,"axG",@progbits,_ZN7rocprim17ROCPRIM_400000_NS6detail17trampoline_kernelINS0_14default_configENS1_20scan_config_selectorItEEZZNS1_9scan_implILNS1_25lookback_scan_determinismE0ELb1ELb1ES3_N6thrust23THRUST_200600_302600_NS6detail15normal_iteratorINS9_10device_ptrItEEEENS9_16discard_iteratorINS9_11use_defaultEEEt11max_functorItEtEEDaPvRmT3_T4_T5_mT6_P12ihipStream_tbENKUlT_T0_E_clISt17integral_constantIbLb0EESX_EEDaSS_ST_EUlSS_E0_NS1_11comp_targetILNS1_3genE2ELNS1_11target_archE906ELNS1_3gpuE6ELNS1_3repE0EEENS1_30default_config_static_selectorELNS0_4arch9wavefront6targetE1EEEvT1_,comdat
.Lfunc_end3651:
	.size	_ZN7rocprim17ROCPRIM_400000_NS6detail17trampoline_kernelINS0_14default_configENS1_20scan_config_selectorItEEZZNS1_9scan_implILNS1_25lookback_scan_determinismE0ELb1ELb1ES3_N6thrust23THRUST_200600_302600_NS6detail15normal_iteratorINS9_10device_ptrItEEEENS9_16discard_iteratorINS9_11use_defaultEEEt11max_functorItEtEEDaPvRmT3_T4_T5_mT6_P12ihipStream_tbENKUlT_T0_E_clISt17integral_constantIbLb0EESX_EEDaSS_ST_EUlSS_E0_NS1_11comp_targetILNS1_3genE2ELNS1_11target_archE906ELNS1_3gpuE6ELNS1_3repE0EEENS1_30default_config_static_selectorELNS0_4arch9wavefront6targetE1EEEvT1_, .Lfunc_end3651-_ZN7rocprim17ROCPRIM_400000_NS6detail17trampoline_kernelINS0_14default_configENS1_20scan_config_selectorItEEZZNS1_9scan_implILNS1_25lookback_scan_determinismE0ELb1ELb1ES3_N6thrust23THRUST_200600_302600_NS6detail15normal_iteratorINS9_10device_ptrItEEEENS9_16discard_iteratorINS9_11use_defaultEEEt11max_functorItEtEEDaPvRmT3_T4_T5_mT6_P12ihipStream_tbENKUlT_T0_E_clISt17integral_constantIbLb0EESX_EEDaSS_ST_EUlSS_E0_NS1_11comp_targetILNS1_3genE2ELNS1_11target_archE906ELNS1_3gpuE6ELNS1_3repE0EEENS1_30default_config_static_selectorELNS0_4arch9wavefront6targetE1EEEvT1_
                                        ; -- End function
	.section	.AMDGPU.csdata,"",@progbits
; Kernel info:
; codeLenInByte = 0
; NumSgprs: 4
; NumVgprs: 0
; NumAgprs: 0
; TotalNumVgprs: 0
; ScratchSize: 0
; MemoryBound: 0
; FloatMode: 240
; IeeeMode: 1
; LDSByteSize: 0 bytes/workgroup (compile time only)
; SGPRBlocks: 0
; VGPRBlocks: 0
; NumSGPRsForWavesPerEU: 4
; NumVGPRsForWavesPerEU: 1
; AccumOffset: 4
; Occupancy: 8
; WaveLimiterHint : 0
; COMPUTE_PGM_RSRC2:SCRATCH_EN: 0
; COMPUTE_PGM_RSRC2:USER_SGPR: 6
; COMPUTE_PGM_RSRC2:TRAP_HANDLER: 0
; COMPUTE_PGM_RSRC2:TGID_X_EN: 1
; COMPUTE_PGM_RSRC2:TGID_Y_EN: 0
; COMPUTE_PGM_RSRC2:TGID_Z_EN: 0
; COMPUTE_PGM_RSRC2:TIDIG_COMP_CNT: 0
; COMPUTE_PGM_RSRC3_GFX90A:ACCUM_OFFSET: 0
; COMPUTE_PGM_RSRC3_GFX90A:TG_SPLIT: 0
	.section	.text._ZN7rocprim17ROCPRIM_400000_NS6detail17trampoline_kernelINS0_14default_configENS1_20scan_config_selectorItEEZZNS1_9scan_implILNS1_25lookback_scan_determinismE0ELb1ELb1ES3_N6thrust23THRUST_200600_302600_NS6detail15normal_iteratorINS9_10device_ptrItEEEENS9_16discard_iteratorINS9_11use_defaultEEEt11max_functorItEtEEDaPvRmT3_T4_T5_mT6_P12ihipStream_tbENKUlT_T0_E_clISt17integral_constantIbLb0EESX_EEDaSS_ST_EUlSS_E0_NS1_11comp_targetILNS1_3genE10ELNS1_11target_archE1201ELNS1_3gpuE5ELNS1_3repE0EEENS1_30default_config_static_selectorELNS0_4arch9wavefront6targetE1EEEvT1_,"axG",@progbits,_ZN7rocprim17ROCPRIM_400000_NS6detail17trampoline_kernelINS0_14default_configENS1_20scan_config_selectorItEEZZNS1_9scan_implILNS1_25lookback_scan_determinismE0ELb1ELb1ES3_N6thrust23THRUST_200600_302600_NS6detail15normal_iteratorINS9_10device_ptrItEEEENS9_16discard_iteratorINS9_11use_defaultEEEt11max_functorItEtEEDaPvRmT3_T4_T5_mT6_P12ihipStream_tbENKUlT_T0_E_clISt17integral_constantIbLb0EESX_EEDaSS_ST_EUlSS_E0_NS1_11comp_targetILNS1_3genE10ELNS1_11target_archE1201ELNS1_3gpuE5ELNS1_3repE0EEENS1_30default_config_static_selectorELNS0_4arch9wavefront6targetE1EEEvT1_,comdat
	.protected	_ZN7rocprim17ROCPRIM_400000_NS6detail17trampoline_kernelINS0_14default_configENS1_20scan_config_selectorItEEZZNS1_9scan_implILNS1_25lookback_scan_determinismE0ELb1ELb1ES3_N6thrust23THRUST_200600_302600_NS6detail15normal_iteratorINS9_10device_ptrItEEEENS9_16discard_iteratorINS9_11use_defaultEEEt11max_functorItEtEEDaPvRmT3_T4_T5_mT6_P12ihipStream_tbENKUlT_T0_E_clISt17integral_constantIbLb0EESX_EEDaSS_ST_EUlSS_E0_NS1_11comp_targetILNS1_3genE10ELNS1_11target_archE1201ELNS1_3gpuE5ELNS1_3repE0EEENS1_30default_config_static_selectorELNS0_4arch9wavefront6targetE1EEEvT1_ ; -- Begin function _ZN7rocprim17ROCPRIM_400000_NS6detail17trampoline_kernelINS0_14default_configENS1_20scan_config_selectorItEEZZNS1_9scan_implILNS1_25lookback_scan_determinismE0ELb1ELb1ES3_N6thrust23THRUST_200600_302600_NS6detail15normal_iteratorINS9_10device_ptrItEEEENS9_16discard_iteratorINS9_11use_defaultEEEt11max_functorItEtEEDaPvRmT3_T4_T5_mT6_P12ihipStream_tbENKUlT_T0_E_clISt17integral_constantIbLb0EESX_EEDaSS_ST_EUlSS_E0_NS1_11comp_targetILNS1_3genE10ELNS1_11target_archE1201ELNS1_3gpuE5ELNS1_3repE0EEENS1_30default_config_static_selectorELNS0_4arch9wavefront6targetE1EEEvT1_
	.globl	_ZN7rocprim17ROCPRIM_400000_NS6detail17trampoline_kernelINS0_14default_configENS1_20scan_config_selectorItEEZZNS1_9scan_implILNS1_25lookback_scan_determinismE0ELb1ELb1ES3_N6thrust23THRUST_200600_302600_NS6detail15normal_iteratorINS9_10device_ptrItEEEENS9_16discard_iteratorINS9_11use_defaultEEEt11max_functorItEtEEDaPvRmT3_T4_T5_mT6_P12ihipStream_tbENKUlT_T0_E_clISt17integral_constantIbLb0EESX_EEDaSS_ST_EUlSS_E0_NS1_11comp_targetILNS1_3genE10ELNS1_11target_archE1201ELNS1_3gpuE5ELNS1_3repE0EEENS1_30default_config_static_selectorELNS0_4arch9wavefront6targetE1EEEvT1_
	.p2align	8
	.type	_ZN7rocprim17ROCPRIM_400000_NS6detail17trampoline_kernelINS0_14default_configENS1_20scan_config_selectorItEEZZNS1_9scan_implILNS1_25lookback_scan_determinismE0ELb1ELb1ES3_N6thrust23THRUST_200600_302600_NS6detail15normal_iteratorINS9_10device_ptrItEEEENS9_16discard_iteratorINS9_11use_defaultEEEt11max_functorItEtEEDaPvRmT3_T4_T5_mT6_P12ihipStream_tbENKUlT_T0_E_clISt17integral_constantIbLb0EESX_EEDaSS_ST_EUlSS_E0_NS1_11comp_targetILNS1_3genE10ELNS1_11target_archE1201ELNS1_3gpuE5ELNS1_3repE0EEENS1_30default_config_static_selectorELNS0_4arch9wavefront6targetE1EEEvT1_,@function
_ZN7rocprim17ROCPRIM_400000_NS6detail17trampoline_kernelINS0_14default_configENS1_20scan_config_selectorItEEZZNS1_9scan_implILNS1_25lookback_scan_determinismE0ELb1ELb1ES3_N6thrust23THRUST_200600_302600_NS6detail15normal_iteratorINS9_10device_ptrItEEEENS9_16discard_iteratorINS9_11use_defaultEEEt11max_functorItEtEEDaPvRmT3_T4_T5_mT6_P12ihipStream_tbENKUlT_T0_E_clISt17integral_constantIbLb0EESX_EEDaSS_ST_EUlSS_E0_NS1_11comp_targetILNS1_3genE10ELNS1_11target_archE1201ELNS1_3gpuE5ELNS1_3repE0EEENS1_30default_config_static_selectorELNS0_4arch9wavefront6targetE1EEEvT1_: ; @_ZN7rocprim17ROCPRIM_400000_NS6detail17trampoline_kernelINS0_14default_configENS1_20scan_config_selectorItEEZZNS1_9scan_implILNS1_25lookback_scan_determinismE0ELb1ELb1ES3_N6thrust23THRUST_200600_302600_NS6detail15normal_iteratorINS9_10device_ptrItEEEENS9_16discard_iteratorINS9_11use_defaultEEEt11max_functorItEtEEDaPvRmT3_T4_T5_mT6_P12ihipStream_tbENKUlT_T0_E_clISt17integral_constantIbLb0EESX_EEDaSS_ST_EUlSS_E0_NS1_11comp_targetILNS1_3genE10ELNS1_11target_archE1201ELNS1_3gpuE5ELNS1_3repE0EEENS1_30default_config_static_selectorELNS0_4arch9wavefront6targetE1EEEvT1_
; %bb.0:
	.section	.rodata,"a",@progbits
	.p2align	6, 0x0
	.amdhsa_kernel _ZN7rocprim17ROCPRIM_400000_NS6detail17trampoline_kernelINS0_14default_configENS1_20scan_config_selectorItEEZZNS1_9scan_implILNS1_25lookback_scan_determinismE0ELb1ELb1ES3_N6thrust23THRUST_200600_302600_NS6detail15normal_iteratorINS9_10device_ptrItEEEENS9_16discard_iteratorINS9_11use_defaultEEEt11max_functorItEtEEDaPvRmT3_T4_T5_mT6_P12ihipStream_tbENKUlT_T0_E_clISt17integral_constantIbLb0EESX_EEDaSS_ST_EUlSS_E0_NS1_11comp_targetILNS1_3genE10ELNS1_11target_archE1201ELNS1_3gpuE5ELNS1_3repE0EEENS1_30default_config_static_selectorELNS0_4arch9wavefront6targetE1EEEvT1_
		.amdhsa_group_segment_fixed_size 0
		.amdhsa_private_segment_fixed_size 0
		.amdhsa_kernarg_size 40
		.amdhsa_user_sgpr_count 6
		.amdhsa_user_sgpr_private_segment_buffer 1
		.amdhsa_user_sgpr_dispatch_ptr 0
		.amdhsa_user_sgpr_queue_ptr 0
		.amdhsa_user_sgpr_kernarg_segment_ptr 1
		.amdhsa_user_sgpr_dispatch_id 0
		.amdhsa_user_sgpr_flat_scratch_init 0
		.amdhsa_user_sgpr_kernarg_preload_length 0
		.amdhsa_user_sgpr_kernarg_preload_offset 0
		.amdhsa_user_sgpr_private_segment_size 0
		.amdhsa_uses_dynamic_stack 0
		.amdhsa_system_sgpr_private_segment_wavefront_offset 0
		.amdhsa_system_sgpr_workgroup_id_x 1
		.amdhsa_system_sgpr_workgroup_id_y 0
		.amdhsa_system_sgpr_workgroup_id_z 0
		.amdhsa_system_sgpr_workgroup_info 0
		.amdhsa_system_vgpr_workitem_id 0
		.amdhsa_next_free_vgpr 1
		.amdhsa_next_free_sgpr 0
		.amdhsa_accum_offset 4
		.amdhsa_reserve_vcc 0
		.amdhsa_reserve_flat_scratch 0
		.amdhsa_float_round_mode_32 0
		.amdhsa_float_round_mode_16_64 0
		.amdhsa_float_denorm_mode_32 3
		.amdhsa_float_denorm_mode_16_64 3
		.amdhsa_dx10_clamp 1
		.amdhsa_ieee_mode 1
		.amdhsa_fp16_overflow 0
		.amdhsa_tg_split 0
		.amdhsa_exception_fp_ieee_invalid_op 0
		.amdhsa_exception_fp_denorm_src 0
		.amdhsa_exception_fp_ieee_div_zero 0
		.amdhsa_exception_fp_ieee_overflow 0
		.amdhsa_exception_fp_ieee_underflow 0
		.amdhsa_exception_fp_ieee_inexact 0
		.amdhsa_exception_int_div_zero 0
	.end_amdhsa_kernel
	.section	.text._ZN7rocprim17ROCPRIM_400000_NS6detail17trampoline_kernelINS0_14default_configENS1_20scan_config_selectorItEEZZNS1_9scan_implILNS1_25lookback_scan_determinismE0ELb1ELb1ES3_N6thrust23THRUST_200600_302600_NS6detail15normal_iteratorINS9_10device_ptrItEEEENS9_16discard_iteratorINS9_11use_defaultEEEt11max_functorItEtEEDaPvRmT3_T4_T5_mT6_P12ihipStream_tbENKUlT_T0_E_clISt17integral_constantIbLb0EESX_EEDaSS_ST_EUlSS_E0_NS1_11comp_targetILNS1_3genE10ELNS1_11target_archE1201ELNS1_3gpuE5ELNS1_3repE0EEENS1_30default_config_static_selectorELNS0_4arch9wavefront6targetE1EEEvT1_,"axG",@progbits,_ZN7rocprim17ROCPRIM_400000_NS6detail17trampoline_kernelINS0_14default_configENS1_20scan_config_selectorItEEZZNS1_9scan_implILNS1_25lookback_scan_determinismE0ELb1ELb1ES3_N6thrust23THRUST_200600_302600_NS6detail15normal_iteratorINS9_10device_ptrItEEEENS9_16discard_iteratorINS9_11use_defaultEEEt11max_functorItEtEEDaPvRmT3_T4_T5_mT6_P12ihipStream_tbENKUlT_T0_E_clISt17integral_constantIbLb0EESX_EEDaSS_ST_EUlSS_E0_NS1_11comp_targetILNS1_3genE10ELNS1_11target_archE1201ELNS1_3gpuE5ELNS1_3repE0EEENS1_30default_config_static_selectorELNS0_4arch9wavefront6targetE1EEEvT1_,comdat
.Lfunc_end3652:
	.size	_ZN7rocprim17ROCPRIM_400000_NS6detail17trampoline_kernelINS0_14default_configENS1_20scan_config_selectorItEEZZNS1_9scan_implILNS1_25lookback_scan_determinismE0ELb1ELb1ES3_N6thrust23THRUST_200600_302600_NS6detail15normal_iteratorINS9_10device_ptrItEEEENS9_16discard_iteratorINS9_11use_defaultEEEt11max_functorItEtEEDaPvRmT3_T4_T5_mT6_P12ihipStream_tbENKUlT_T0_E_clISt17integral_constantIbLb0EESX_EEDaSS_ST_EUlSS_E0_NS1_11comp_targetILNS1_3genE10ELNS1_11target_archE1201ELNS1_3gpuE5ELNS1_3repE0EEENS1_30default_config_static_selectorELNS0_4arch9wavefront6targetE1EEEvT1_, .Lfunc_end3652-_ZN7rocprim17ROCPRIM_400000_NS6detail17trampoline_kernelINS0_14default_configENS1_20scan_config_selectorItEEZZNS1_9scan_implILNS1_25lookback_scan_determinismE0ELb1ELb1ES3_N6thrust23THRUST_200600_302600_NS6detail15normal_iteratorINS9_10device_ptrItEEEENS9_16discard_iteratorINS9_11use_defaultEEEt11max_functorItEtEEDaPvRmT3_T4_T5_mT6_P12ihipStream_tbENKUlT_T0_E_clISt17integral_constantIbLb0EESX_EEDaSS_ST_EUlSS_E0_NS1_11comp_targetILNS1_3genE10ELNS1_11target_archE1201ELNS1_3gpuE5ELNS1_3repE0EEENS1_30default_config_static_selectorELNS0_4arch9wavefront6targetE1EEEvT1_
                                        ; -- End function
	.section	.AMDGPU.csdata,"",@progbits
; Kernel info:
; codeLenInByte = 0
; NumSgprs: 4
; NumVgprs: 0
; NumAgprs: 0
; TotalNumVgprs: 0
; ScratchSize: 0
; MemoryBound: 0
; FloatMode: 240
; IeeeMode: 1
; LDSByteSize: 0 bytes/workgroup (compile time only)
; SGPRBlocks: 0
; VGPRBlocks: 0
; NumSGPRsForWavesPerEU: 4
; NumVGPRsForWavesPerEU: 1
; AccumOffset: 4
; Occupancy: 8
; WaveLimiterHint : 0
; COMPUTE_PGM_RSRC2:SCRATCH_EN: 0
; COMPUTE_PGM_RSRC2:USER_SGPR: 6
; COMPUTE_PGM_RSRC2:TRAP_HANDLER: 0
; COMPUTE_PGM_RSRC2:TGID_X_EN: 1
; COMPUTE_PGM_RSRC2:TGID_Y_EN: 0
; COMPUTE_PGM_RSRC2:TGID_Z_EN: 0
; COMPUTE_PGM_RSRC2:TIDIG_COMP_CNT: 0
; COMPUTE_PGM_RSRC3_GFX90A:ACCUM_OFFSET: 0
; COMPUTE_PGM_RSRC3_GFX90A:TG_SPLIT: 0
	.section	.text._ZN7rocprim17ROCPRIM_400000_NS6detail17trampoline_kernelINS0_14default_configENS1_20scan_config_selectorItEEZZNS1_9scan_implILNS1_25lookback_scan_determinismE0ELb1ELb1ES3_N6thrust23THRUST_200600_302600_NS6detail15normal_iteratorINS9_10device_ptrItEEEENS9_16discard_iteratorINS9_11use_defaultEEEt11max_functorItEtEEDaPvRmT3_T4_T5_mT6_P12ihipStream_tbENKUlT_T0_E_clISt17integral_constantIbLb0EESX_EEDaSS_ST_EUlSS_E0_NS1_11comp_targetILNS1_3genE10ELNS1_11target_archE1200ELNS1_3gpuE4ELNS1_3repE0EEENS1_30default_config_static_selectorELNS0_4arch9wavefront6targetE1EEEvT1_,"axG",@progbits,_ZN7rocprim17ROCPRIM_400000_NS6detail17trampoline_kernelINS0_14default_configENS1_20scan_config_selectorItEEZZNS1_9scan_implILNS1_25lookback_scan_determinismE0ELb1ELb1ES3_N6thrust23THRUST_200600_302600_NS6detail15normal_iteratorINS9_10device_ptrItEEEENS9_16discard_iteratorINS9_11use_defaultEEEt11max_functorItEtEEDaPvRmT3_T4_T5_mT6_P12ihipStream_tbENKUlT_T0_E_clISt17integral_constantIbLb0EESX_EEDaSS_ST_EUlSS_E0_NS1_11comp_targetILNS1_3genE10ELNS1_11target_archE1200ELNS1_3gpuE4ELNS1_3repE0EEENS1_30default_config_static_selectorELNS0_4arch9wavefront6targetE1EEEvT1_,comdat
	.protected	_ZN7rocprim17ROCPRIM_400000_NS6detail17trampoline_kernelINS0_14default_configENS1_20scan_config_selectorItEEZZNS1_9scan_implILNS1_25lookback_scan_determinismE0ELb1ELb1ES3_N6thrust23THRUST_200600_302600_NS6detail15normal_iteratorINS9_10device_ptrItEEEENS9_16discard_iteratorINS9_11use_defaultEEEt11max_functorItEtEEDaPvRmT3_T4_T5_mT6_P12ihipStream_tbENKUlT_T0_E_clISt17integral_constantIbLb0EESX_EEDaSS_ST_EUlSS_E0_NS1_11comp_targetILNS1_3genE10ELNS1_11target_archE1200ELNS1_3gpuE4ELNS1_3repE0EEENS1_30default_config_static_selectorELNS0_4arch9wavefront6targetE1EEEvT1_ ; -- Begin function _ZN7rocprim17ROCPRIM_400000_NS6detail17trampoline_kernelINS0_14default_configENS1_20scan_config_selectorItEEZZNS1_9scan_implILNS1_25lookback_scan_determinismE0ELb1ELb1ES3_N6thrust23THRUST_200600_302600_NS6detail15normal_iteratorINS9_10device_ptrItEEEENS9_16discard_iteratorINS9_11use_defaultEEEt11max_functorItEtEEDaPvRmT3_T4_T5_mT6_P12ihipStream_tbENKUlT_T0_E_clISt17integral_constantIbLb0EESX_EEDaSS_ST_EUlSS_E0_NS1_11comp_targetILNS1_3genE10ELNS1_11target_archE1200ELNS1_3gpuE4ELNS1_3repE0EEENS1_30default_config_static_selectorELNS0_4arch9wavefront6targetE1EEEvT1_
	.globl	_ZN7rocprim17ROCPRIM_400000_NS6detail17trampoline_kernelINS0_14default_configENS1_20scan_config_selectorItEEZZNS1_9scan_implILNS1_25lookback_scan_determinismE0ELb1ELb1ES3_N6thrust23THRUST_200600_302600_NS6detail15normal_iteratorINS9_10device_ptrItEEEENS9_16discard_iteratorINS9_11use_defaultEEEt11max_functorItEtEEDaPvRmT3_T4_T5_mT6_P12ihipStream_tbENKUlT_T0_E_clISt17integral_constantIbLb0EESX_EEDaSS_ST_EUlSS_E0_NS1_11comp_targetILNS1_3genE10ELNS1_11target_archE1200ELNS1_3gpuE4ELNS1_3repE0EEENS1_30default_config_static_selectorELNS0_4arch9wavefront6targetE1EEEvT1_
	.p2align	8
	.type	_ZN7rocprim17ROCPRIM_400000_NS6detail17trampoline_kernelINS0_14default_configENS1_20scan_config_selectorItEEZZNS1_9scan_implILNS1_25lookback_scan_determinismE0ELb1ELb1ES3_N6thrust23THRUST_200600_302600_NS6detail15normal_iteratorINS9_10device_ptrItEEEENS9_16discard_iteratorINS9_11use_defaultEEEt11max_functorItEtEEDaPvRmT3_T4_T5_mT6_P12ihipStream_tbENKUlT_T0_E_clISt17integral_constantIbLb0EESX_EEDaSS_ST_EUlSS_E0_NS1_11comp_targetILNS1_3genE10ELNS1_11target_archE1200ELNS1_3gpuE4ELNS1_3repE0EEENS1_30default_config_static_selectorELNS0_4arch9wavefront6targetE1EEEvT1_,@function
_ZN7rocprim17ROCPRIM_400000_NS6detail17trampoline_kernelINS0_14default_configENS1_20scan_config_selectorItEEZZNS1_9scan_implILNS1_25lookback_scan_determinismE0ELb1ELb1ES3_N6thrust23THRUST_200600_302600_NS6detail15normal_iteratorINS9_10device_ptrItEEEENS9_16discard_iteratorINS9_11use_defaultEEEt11max_functorItEtEEDaPvRmT3_T4_T5_mT6_P12ihipStream_tbENKUlT_T0_E_clISt17integral_constantIbLb0EESX_EEDaSS_ST_EUlSS_E0_NS1_11comp_targetILNS1_3genE10ELNS1_11target_archE1200ELNS1_3gpuE4ELNS1_3repE0EEENS1_30default_config_static_selectorELNS0_4arch9wavefront6targetE1EEEvT1_: ; @_ZN7rocprim17ROCPRIM_400000_NS6detail17trampoline_kernelINS0_14default_configENS1_20scan_config_selectorItEEZZNS1_9scan_implILNS1_25lookback_scan_determinismE0ELb1ELb1ES3_N6thrust23THRUST_200600_302600_NS6detail15normal_iteratorINS9_10device_ptrItEEEENS9_16discard_iteratorINS9_11use_defaultEEEt11max_functorItEtEEDaPvRmT3_T4_T5_mT6_P12ihipStream_tbENKUlT_T0_E_clISt17integral_constantIbLb0EESX_EEDaSS_ST_EUlSS_E0_NS1_11comp_targetILNS1_3genE10ELNS1_11target_archE1200ELNS1_3gpuE4ELNS1_3repE0EEENS1_30default_config_static_selectorELNS0_4arch9wavefront6targetE1EEEvT1_
; %bb.0:
	.section	.rodata,"a",@progbits
	.p2align	6, 0x0
	.amdhsa_kernel _ZN7rocprim17ROCPRIM_400000_NS6detail17trampoline_kernelINS0_14default_configENS1_20scan_config_selectorItEEZZNS1_9scan_implILNS1_25lookback_scan_determinismE0ELb1ELb1ES3_N6thrust23THRUST_200600_302600_NS6detail15normal_iteratorINS9_10device_ptrItEEEENS9_16discard_iteratorINS9_11use_defaultEEEt11max_functorItEtEEDaPvRmT3_T4_T5_mT6_P12ihipStream_tbENKUlT_T0_E_clISt17integral_constantIbLb0EESX_EEDaSS_ST_EUlSS_E0_NS1_11comp_targetILNS1_3genE10ELNS1_11target_archE1200ELNS1_3gpuE4ELNS1_3repE0EEENS1_30default_config_static_selectorELNS0_4arch9wavefront6targetE1EEEvT1_
		.amdhsa_group_segment_fixed_size 0
		.amdhsa_private_segment_fixed_size 0
		.amdhsa_kernarg_size 40
		.amdhsa_user_sgpr_count 6
		.amdhsa_user_sgpr_private_segment_buffer 1
		.amdhsa_user_sgpr_dispatch_ptr 0
		.amdhsa_user_sgpr_queue_ptr 0
		.amdhsa_user_sgpr_kernarg_segment_ptr 1
		.amdhsa_user_sgpr_dispatch_id 0
		.amdhsa_user_sgpr_flat_scratch_init 0
		.amdhsa_user_sgpr_kernarg_preload_length 0
		.amdhsa_user_sgpr_kernarg_preload_offset 0
		.amdhsa_user_sgpr_private_segment_size 0
		.amdhsa_uses_dynamic_stack 0
		.amdhsa_system_sgpr_private_segment_wavefront_offset 0
		.amdhsa_system_sgpr_workgroup_id_x 1
		.amdhsa_system_sgpr_workgroup_id_y 0
		.amdhsa_system_sgpr_workgroup_id_z 0
		.amdhsa_system_sgpr_workgroup_info 0
		.amdhsa_system_vgpr_workitem_id 0
		.amdhsa_next_free_vgpr 1
		.amdhsa_next_free_sgpr 0
		.amdhsa_accum_offset 4
		.amdhsa_reserve_vcc 0
		.amdhsa_reserve_flat_scratch 0
		.amdhsa_float_round_mode_32 0
		.amdhsa_float_round_mode_16_64 0
		.amdhsa_float_denorm_mode_32 3
		.amdhsa_float_denorm_mode_16_64 3
		.amdhsa_dx10_clamp 1
		.amdhsa_ieee_mode 1
		.amdhsa_fp16_overflow 0
		.amdhsa_tg_split 0
		.amdhsa_exception_fp_ieee_invalid_op 0
		.amdhsa_exception_fp_denorm_src 0
		.amdhsa_exception_fp_ieee_div_zero 0
		.amdhsa_exception_fp_ieee_overflow 0
		.amdhsa_exception_fp_ieee_underflow 0
		.amdhsa_exception_fp_ieee_inexact 0
		.amdhsa_exception_int_div_zero 0
	.end_amdhsa_kernel
	.section	.text._ZN7rocprim17ROCPRIM_400000_NS6detail17trampoline_kernelINS0_14default_configENS1_20scan_config_selectorItEEZZNS1_9scan_implILNS1_25lookback_scan_determinismE0ELb1ELb1ES3_N6thrust23THRUST_200600_302600_NS6detail15normal_iteratorINS9_10device_ptrItEEEENS9_16discard_iteratorINS9_11use_defaultEEEt11max_functorItEtEEDaPvRmT3_T4_T5_mT6_P12ihipStream_tbENKUlT_T0_E_clISt17integral_constantIbLb0EESX_EEDaSS_ST_EUlSS_E0_NS1_11comp_targetILNS1_3genE10ELNS1_11target_archE1200ELNS1_3gpuE4ELNS1_3repE0EEENS1_30default_config_static_selectorELNS0_4arch9wavefront6targetE1EEEvT1_,"axG",@progbits,_ZN7rocprim17ROCPRIM_400000_NS6detail17trampoline_kernelINS0_14default_configENS1_20scan_config_selectorItEEZZNS1_9scan_implILNS1_25lookback_scan_determinismE0ELb1ELb1ES3_N6thrust23THRUST_200600_302600_NS6detail15normal_iteratorINS9_10device_ptrItEEEENS9_16discard_iteratorINS9_11use_defaultEEEt11max_functorItEtEEDaPvRmT3_T4_T5_mT6_P12ihipStream_tbENKUlT_T0_E_clISt17integral_constantIbLb0EESX_EEDaSS_ST_EUlSS_E0_NS1_11comp_targetILNS1_3genE10ELNS1_11target_archE1200ELNS1_3gpuE4ELNS1_3repE0EEENS1_30default_config_static_selectorELNS0_4arch9wavefront6targetE1EEEvT1_,comdat
.Lfunc_end3653:
	.size	_ZN7rocprim17ROCPRIM_400000_NS6detail17trampoline_kernelINS0_14default_configENS1_20scan_config_selectorItEEZZNS1_9scan_implILNS1_25lookback_scan_determinismE0ELb1ELb1ES3_N6thrust23THRUST_200600_302600_NS6detail15normal_iteratorINS9_10device_ptrItEEEENS9_16discard_iteratorINS9_11use_defaultEEEt11max_functorItEtEEDaPvRmT3_T4_T5_mT6_P12ihipStream_tbENKUlT_T0_E_clISt17integral_constantIbLb0EESX_EEDaSS_ST_EUlSS_E0_NS1_11comp_targetILNS1_3genE10ELNS1_11target_archE1200ELNS1_3gpuE4ELNS1_3repE0EEENS1_30default_config_static_selectorELNS0_4arch9wavefront6targetE1EEEvT1_, .Lfunc_end3653-_ZN7rocprim17ROCPRIM_400000_NS6detail17trampoline_kernelINS0_14default_configENS1_20scan_config_selectorItEEZZNS1_9scan_implILNS1_25lookback_scan_determinismE0ELb1ELb1ES3_N6thrust23THRUST_200600_302600_NS6detail15normal_iteratorINS9_10device_ptrItEEEENS9_16discard_iteratorINS9_11use_defaultEEEt11max_functorItEtEEDaPvRmT3_T4_T5_mT6_P12ihipStream_tbENKUlT_T0_E_clISt17integral_constantIbLb0EESX_EEDaSS_ST_EUlSS_E0_NS1_11comp_targetILNS1_3genE10ELNS1_11target_archE1200ELNS1_3gpuE4ELNS1_3repE0EEENS1_30default_config_static_selectorELNS0_4arch9wavefront6targetE1EEEvT1_
                                        ; -- End function
	.section	.AMDGPU.csdata,"",@progbits
; Kernel info:
; codeLenInByte = 0
; NumSgprs: 4
; NumVgprs: 0
; NumAgprs: 0
; TotalNumVgprs: 0
; ScratchSize: 0
; MemoryBound: 0
; FloatMode: 240
; IeeeMode: 1
; LDSByteSize: 0 bytes/workgroup (compile time only)
; SGPRBlocks: 0
; VGPRBlocks: 0
; NumSGPRsForWavesPerEU: 4
; NumVGPRsForWavesPerEU: 1
; AccumOffset: 4
; Occupancy: 8
; WaveLimiterHint : 0
; COMPUTE_PGM_RSRC2:SCRATCH_EN: 0
; COMPUTE_PGM_RSRC2:USER_SGPR: 6
; COMPUTE_PGM_RSRC2:TRAP_HANDLER: 0
; COMPUTE_PGM_RSRC2:TGID_X_EN: 1
; COMPUTE_PGM_RSRC2:TGID_Y_EN: 0
; COMPUTE_PGM_RSRC2:TGID_Z_EN: 0
; COMPUTE_PGM_RSRC2:TIDIG_COMP_CNT: 0
; COMPUTE_PGM_RSRC3_GFX90A:ACCUM_OFFSET: 0
; COMPUTE_PGM_RSRC3_GFX90A:TG_SPLIT: 0
	.section	.text._ZN7rocprim17ROCPRIM_400000_NS6detail17trampoline_kernelINS0_14default_configENS1_20scan_config_selectorItEEZZNS1_9scan_implILNS1_25lookback_scan_determinismE0ELb1ELb1ES3_N6thrust23THRUST_200600_302600_NS6detail15normal_iteratorINS9_10device_ptrItEEEENS9_16discard_iteratorINS9_11use_defaultEEEt11max_functorItEtEEDaPvRmT3_T4_T5_mT6_P12ihipStream_tbENKUlT_T0_E_clISt17integral_constantIbLb0EESX_EEDaSS_ST_EUlSS_E0_NS1_11comp_targetILNS1_3genE9ELNS1_11target_archE1100ELNS1_3gpuE3ELNS1_3repE0EEENS1_30default_config_static_selectorELNS0_4arch9wavefront6targetE1EEEvT1_,"axG",@progbits,_ZN7rocprim17ROCPRIM_400000_NS6detail17trampoline_kernelINS0_14default_configENS1_20scan_config_selectorItEEZZNS1_9scan_implILNS1_25lookback_scan_determinismE0ELb1ELb1ES3_N6thrust23THRUST_200600_302600_NS6detail15normal_iteratorINS9_10device_ptrItEEEENS9_16discard_iteratorINS9_11use_defaultEEEt11max_functorItEtEEDaPvRmT3_T4_T5_mT6_P12ihipStream_tbENKUlT_T0_E_clISt17integral_constantIbLb0EESX_EEDaSS_ST_EUlSS_E0_NS1_11comp_targetILNS1_3genE9ELNS1_11target_archE1100ELNS1_3gpuE3ELNS1_3repE0EEENS1_30default_config_static_selectorELNS0_4arch9wavefront6targetE1EEEvT1_,comdat
	.protected	_ZN7rocprim17ROCPRIM_400000_NS6detail17trampoline_kernelINS0_14default_configENS1_20scan_config_selectorItEEZZNS1_9scan_implILNS1_25lookback_scan_determinismE0ELb1ELb1ES3_N6thrust23THRUST_200600_302600_NS6detail15normal_iteratorINS9_10device_ptrItEEEENS9_16discard_iteratorINS9_11use_defaultEEEt11max_functorItEtEEDaPvRmT3_T4_T5_mT6_P12ihipStream_tbENKUlT_T0_E_clISt17integral_constantIbLb0EESX_EEDaSS_ST_EUlSS_E0_NS1_11comp_targetILNS1_3genE9ELNS1_11target_archE1100ELNS1_3gpuE3ELNS1_3repE0EEENS1_30default_config_static_selectorELNS0_4arch9wavefront6targetE1EEEvT1_ ; -- Begin function _ZN7rocprim17ROCPRIM_400000_NS6detail17trampoline_kernelINS0_14default_configENS1_20scan_config_selectorItEEZZNS1_9scan_implILNS1_25lookback_scan_determinismE0ELb1ELb1ES3_N6thrust23THRUST_200600_302600_NS6detail15normal_iteratorINS9_10device_ptrItEEEENS9_16discard_iteratorINS9_11use_defaultEEEt11max_functorItEtEEDaPvRmT3_T4_T5_mT6_P12ihipStream_tbENKUlT_T0_E_clISt17integral_constantIbLb0EESX_EEDaSS_ST_EUlSS_E0_NS1_11comp_targetILNS1_3genE9ELNS1_11target_archE1100ELNS1_3gpuE3ELNS1_3repE0EEENS1_30default_config_static_selectorELNS0_4arch9wavefront6targetE1EEEvT1_
	.globl	_ZN7rocprim17ROCPRIM_400000_NS6detail17trampoline_kernelINS0_14default_configENS1_20scan_config_selectorItEEZZNS1_9scan_implILNS1_25lookback_scan_determinismE0ELb1ELb1ES3_N6thrust23THRUST_200600_302600_NS6detail15normal_iteratorINS9_10device_ptrItEEEENS9_16discard_iteratorINS9_11use_defaultEEEt11max_functorItEtEEDaPvRmT3_T4_T5_mT6_P12ihipStream_tbENKUlT_T0_E_clISt17integral_constantIbLb0EESX_EEDaSS_ST_EUlSS_E0_NS1_11comp_targetILNS1_3genE9ELNS1_11target_archE1100ELNS1_3gpuE3ELNS1_3repE0EEENS1_30default_config_static_selectorELNS0_4arch9wavefront6targetE1EEEvT1_
	.p2align	8
	.type	_ZN7rocprim17ROCPRIM_400000_NS6detail17trampoline_kernelINS0_14default_configENS1_20scan_config_selectorItEEZZNS1_9scan_implILNS1_25lookback_scan_determinismE0ELb1ELb1ES3_N6thrust23THRUST_200600_302600_NS6detail15normal_iteratorINS9_10device_ptrItEEEENS9_16discard_iteratorINS9_11use_defaultEEEt11max_functorItEtEEDaPvRmT3_T4_T5_mT6_P12ihipStream_tbENKUlT_T0_E_clISt17integral_constantIbLb0EESX_EEDaSS_ST_EUlSS_E0_NS1_11comp_targetILNS1_3genE9ELNS1_11target_archE1100ELNS1_3gpuE3ELNS1_3repE0EEENS1_30default_config_static_selectorELNS0_4arch9wavefront6targetE1EEEvT1_,@function
_ZN7rocprim17ROCPRIM_400000_NS6detail17trampoline_kernelINS0_14default_configENS1_20scan_config_selectorItEEZZNS1_9scan_implILNS1_25lookback_scan_determinismE0ELb1ELb1ES3_N6thrust23THRUST_200600_302600_NS6detail15normal_iteratorINS9_10device_ptrItEEEENS9_16discard_iteratorINS9_11use_defaultEEEt11max_functorItEtEEDaPvRmT3_T4_T5_mT6_P12ihipStream_tbENKUlT_T0_E_clISt17integral_constantIbLb0EESX_EEDaSS_ST_EUlSS_E0_NS1_11comp_targetILNS1_3genE9ELNS1_11target_archE1100ELNS1_3gpuE3ELNS1_3repE0EEENS1_30default_config_static_selectorELNS0_4arch9wavefront6targetE1EEEvT1_: ; @_ZN7rocprim17ROCPRIM_400000_NS6detail17trampoline_kernelINS0_14default_configENS1_20scan_config_selectorItEEZZNS1_9scan_implILNS1_25lookback_scan_determinismE0ELb1ELb1ES3_N6thrust23THRUST_200600_302600_NS6detail15normal_iteratorINS9_10device_ptrItEEEENS9_16discard_iteratorINS9_11use_defaultEEEt11max_functorItEtEEDaPvRmT3_T4_T5_mT6_P12ihipStream_tbENKUlT_T0_E_clISt17integral_constantIbLb0EESX_EEDaSS_ST_EUlSS_E0_NS1_11comp_targetILNS1_3genE9ELNS1_11target_archE1100ELNS1_3gpuE3ELNS1_3repE0EEENS1_30default_config_static_selectorELNS0_4arch9wavefront6targetE1EEEvT1_
; %bb.0:
	.section	.rodata,"a",@progbits
	.p2align	6, 0x0
	.amdhsa_kernel _ZN7rocprim17ROCPRIM_400000_NS6detail17trampoline_kernelINS0_14default_configENS1_20scan_config_selectorItEEZZNS1_9scan_implILNS1_25lookback_scan_determinismE0ELb1ELb1ES3_N6thrust23THRUST_200600_302600_NS6detail15normal_iteratorINS9_10device_ptrItEEEENS9_16discard_iteratorINS9_11use_defaultEEEt11max_functorItEtEEDaPvRmT3_T4_T5_mT6_P12ihipStream_tbENKUlT_T0_E_clISt17integral_constantIbLb0EESX_EEDaSS_ST_EUlSS_E0_NS1_11comp_targetILNS1_3genE9ELNS1_11target_archE1100ELNS1_3gpuE3ELNS1_3repE0EEENS1_30default_config_static_selectorELNS0_4arch9wavefront6targetE1EEEvT1_
		.amdhsa_group_segment_fixed_size 0
		.amdhsa_private_segment_fixed_size 0
		.amdhsa_kernarg_size 40
		.amdhsa_user_sgpr_count 6
		.amdhsa_user_sgpr_private_segment_buffer 1
		.amdhsa_user_sgpr_dispatch_ptr 0
		.amdhsa_user_sgpr_queue_ptr 0
		.amdhsa_user_sgpr_kernarg_segment_ptr 1
		.amdhsa_user_sgpr_dispatch_id 0
		.amdhsa_user_sgpr_flat_scratch_init 0
		.amdhsa_user_sgpr_kernarg_preload_length 0
		.amdhsa_user_sgpr_kernarg_preload_offset 0
		.amdhsa_user_sgpr_private_segment_size 0
		.amdhsa_uses_dynamic_stack 0
		.amdhsa_system_sgpr_private_segment_wavefront_offset 0
		.amdhsa_system_sgpr_workgroup_id_x 1
		.amdhsa_system_sgpr_workgroup_id_y 0
		.amdhsa_system_sgpr_workgroup_id_z 0
		.amdhsa_system_sgpr_workgroup_info 0
		.amdhsa_system_vgpr_workitem_id 0
		.amdhsa_next_free_vgpr 1
		.amdhsa_next_free_sgpr 0
		.amdhsa_accum_offset 4
		.amdhsa_reserve_vcc 0
		.amdhsa_reserve_flat_scratch 0
		.amdhsa_float_round_mode_32 0
		.amdhsa_float_round_mode_16_64 0
		.amdhsa_float_denorm_mode_32 3
		.amdhsa_float_denorm_mode_16_64 3
		.amdhsa_dx10_clamp 1
		.amdhsa_ieee_mode 1
		.amdhsa_fp16_overflow 0
		.amdhsa_tg_split 0
		.amdhsa_exception_fp_ieee_invalid_op 0
		.amdhsa_exception_fp_denorm_src 0
		.amdhsa_exception_fp_ieee_div_zero 0
		.amdhsa_exception_fp_ieee_overflow 0
		.amdhsa_exception_fp_ieee_underflow 0
		.amdhsa_exception_fp_ieee_inexact 0
		.amdhsa_exception_int_div_zero 0
	.end_amdhsa_kernel
	.section	.text._ZN7rocprim17ROCPRIM_400000_NS6detail17trampoline_kernelINS0_14default_configENS1_20scan_config_selectorItEEZZNS1_9scan_implILNS1_25lookback_scan_determinismE0ELb1ELb1ES3_N6thrust23THRUST_200600_302600_NS6detail15normal_iteratorINS9_10device_ptrItEEEENS9_16discard_iteratorINS9_11use_defaultEEEt11max_functorItEtEEDaPvRmT3_T4_T5_mT6_P12ihipStream_tbENKUlT_T0_E_clISt17integral_constantIbLb0EESX_EEDaSS_ST_EUlSS_E0_NS1_11comp_targetILNS1_3genE9ELNS1_11target_archE1100ELNS1_3gpuE3ELNS1_3repE0EEENS1_30default_config_static_selectorELNS0_4arch9wavefront6targetE1EEEvT1_,"axG",@progbits,_ZN7rocprim17ROCPRIM_400000_NS6detail17trampoline_kernelINS0_14default_configENS1_20scan_config_selectorItEEZZNS1_9scan_implILNS1_25lookback_scan_determinismE0ELb1ELb1ES3_N6thrust23THRUST_200600_302600_NS6detail15normal_iteratorINS9_10device_ptrItEEEENS9_16discard_iteratorINS9_11use_defaultEEEt11max_functorItEtEEDaPvRmT3_T4_T5_mT6_P12ihipStream_tbENKUlT_T0_E_clISt17integral_constantIbLb0EESX_EEDaSS_ST_EUlSS_E0_NS1_11comp_targetILNS1_3genE9ELNS1_11target_archE1100ELNS1_3gpuE3ELNS1_3repE0EEENS1_30default_config_static_selectorELNS0_4arch9wavefront6targetE1EEEvT1_,comdat
.Lfunc_end3654:
	.size	_ZN7rocprim17ROCPRIM_400000_NS6detail17trampoline_kernelINS0_14default_configENS1_20scan_config_selectorItEEZZNS1_9scan_implILNS1_25lookback_scan_determinismE0ELb1ELb1ES3_N6thrust23THRUST_200600_302600_NS6detail15normal_iteratorINS9_10device_ptrItEEEENS9_16discard_iteratorINS9_11use_defaultEEEt11max_functorItEtEEDaPvRmT3_T4_T5_mT6_P12ihipStream_tbENKUlT_T0_E_clISt17integral_constantIbLb0EESX_EEDaSS_ST_EUlSS_E0_NS1_11comp_targetILNS1_3genE9ELNS1_11target_archE1100ELNS1_3gpuE3ELNS1_3repE0EEENS1_30default_config_static_selectorELNS0_4arch9wavefront6targetE1EEEvT1_, .Lfunc_end3654-_ZN7rocprim17ROCPRIM_400000_NS6detail17trampoline_kernelINS0_14default_configENS1_20scan_config_selectorItEEZZNS1_9scan_implILNS1_25lookback_scan_determinismE0ELb1ELb1ES3_N6thrust23THRUST_200600_302600_NS6detail15normal_iteratorINS9_10device_ptrItEEEENS9_16discard_iteratorINS9_11use_defaultEEEt11max_functorItEtEEDaPvRmT3_T4_T5_mT6_P12ihipStream_tbENKUlT_T0_E_clISt17integral_constantIbLb0EESX_EEDaSS_ST_EUlSS_E0_NS1_11comp_targetILNS1_3genE9ELNS1_11target_archE1100ELNS1_3gpuE3ELNS1_3repE0EEENS1_30default_config_static_selectorELNS0_4arch9wavefront6targetE1EEEvT1_
                                        ; -- End function
	.section	.AMDGPU.csdata,"",@progbits
; Kernel info:
; codeLenInByte = 0
; NumSgprs: 4
; NumVgprs: 0
; NumAgprs: 0
; TotalNumVgprs: 0
; ScratchSize: 0
; MemoryBound: 0
; FloatMode: 240
; IeeeMode: 1
; LDSByteSize: 0 bytes/workgroup (compile time only)
; SGPRBlocks: 0
; VGPRBlocks: 0
; NumSGPRsForWavesPerEU: 4
; NumVGPRsForWavesPerEU: 1
; AccumOffset: 4
; Occupancy: 8
; WaveLimiterHint : 0
; COMPUTE_PGM_RSRC2:SCRATCH_EN: 0
; COMPUTE_PGM_RSRC2:USER_SGPR: 6
; COMPUTE_PGM_RSRC2:TRAP_HANDLER: 0
; COMPUTE_PGM_RSRC2:TGID_X_EN: 1
; COMPUTE_PGM_RSRC2:TGID_Y_EN: 0
; COMPUTE_PGM_RSRC2:TGID_Z_EN: 0
; COMPUTE_PGM_RSRC2:TIDIG_COMP_CNT: 0
; COMPUTE_PGM_RSRC3_GFX90A:ACCUM_OFFSET: 0
; COMPUTE_PGM_RSRC3_GFX90A:TG_SPLIT: 0
	.section	.text._ZN7rocprim17ROCPRIM_400000_NS6detail17trampoline_kernelINS0_14default_configENS1_20scan_config_selectorItEEZZNS1_9scan_implILNS1_25lookback_scan_determinismE0ELb1ELb1ES3_N6thrust23THRUST_200600_302600_NS6detail15normal_iteratorINS9_10device_ptrItEEEENS9_16discard_iteratorINS9_11use_defaultEEEt11max_functorItEtEEDaPvRmT3_T4_T5_mT6_P12ihipStream_tbENKUlT_T0_E_clISt17integral_constantIbLb0EESX_EEDaSS_ST_EUlSS_E0_NS1_11comp_targetILNS1_3genE8ELNS1_11target_archE1030ELNS1_3gpuE2ELNS1_3repE0EEENS1_30default_config_static_selectorELNS0_4arch9wavefront6targetE1EEEvT1_,"axG",@progbits,_ZN7rocprim17ROCPRIM_400000_NS6detail17trampoline_kernelINS0_14default_configENS1_20scan_config_selectorItEEZZNS1_9scan_implILNS1_25lookback_scan_determinismE0ELb1ELb1ES3_N6thrust23THRUST_200600_302600_NS6detail15normal_iteratorINS9_10device_ptrItEEEENS9_16discard_iteratorINS9_11use_defaultEEEt11max_functorItEtEEDaPvRmT3_T4_T5_mT6_P12ihipStream_tbENKUlT_T0_E_clISt17integral_constantIbLb0EESX_EEDaSS_ST_EUlSS_E0_NS1_11comp_targetILNS1_3genE8ELNS1_11target_archE1030ELNS1_3gpuE2ELNS1_3repE0EEENS1_30default_config_static_selectorELNS0_4arch9wavefront6targetE1EEEvT1_,comdat
	.protected	_ZN7rocprim17ROCPRIM_400000_NS6detail17trampoline_kernelINS0_14default_configENS1_20scan_config_selectorItEEZZNS1_9scan_implILNS1_25lookback_scan_determinismE0ELb1ELb1ES3_N6thrust23THRUST_200600_302600_NS6detail15normal_iteratorINS9_10device_ptrItEEEENS9_16discard_iteratorINS9_11use_defaultEEEt11max_functorItEtEEDaPvRmT3_T4_T5_mT6_P12ihipStream_tbENKUlT_T0_E_clISt17integral_constantIbLb0EESX_EEDaSS_ST_EUlSS_E0_NS1_11comp_targetILNS1_3genE8ELNS1_11target_archE1030ELNS1_3gpuE2ELNS1_3repE0EEENS1_30default_config_static_selectorELNS0_4arch9wavefront6targetE1EEEvT1_ ; -- Begin function _ZN7rocprim17ROCPRIM_400000_NS6detail17trampoline_kernelINS0_14default_configENS1_20scan_config_selectorItEEZZNS1_9scan_implILNS1_25lookback_scan_determinismE0ELb1ELb1ES3_N6thrust23THRUST_200600_302600_NS6detail15normal_iteratorINS9_10device_ptrItEEEENS9_16discard_iteratorINS9_11use_defaultEEEt11max_functorItEtEEDaPvRmT3_T4_T5_mT6_P12ihipStream_tbENKUlT_T0_E_clISt17integral_constantIbLb0EESX_EEDaSS_ST_EUlSS_E0_NS1_11comp_targetILNS1_3genE8ELNS1_11target_archE1030ELNS1_3gpuE2ELNS1_3repE0EEENS1_30default_config_static_selectorELNS0_4arch9wavefront6targetE1EEEvT1_
	.globl	_ZN7rocprim17ROCPRIM_400000_NS6detail17trampoline_kernelINS0_14default_configENS1_20scan_config_selectorItEEZZNS1_9scan_implILNS1_25lookback_scan_determinismE0ELb1ELb1ES3_N6thrust23THRUST_200600_302600_NS6detail15normal_iteratorINS9_10device_ptrItEEEENS9_16discard_iteratorINS9_11use_defaultEEEt11max_functorItEtEEDaPvRmT3_T4_T5_mT6_P12ihipStream_tbENKUlT_T0_E_clISt17integral_constantIbLb0EESX_EEDaSS_ST_EUlSS_E0_NS1_11comp_targetILNS1_3genE8ELNS1_11target_archE1030ELNS1_3gpuE2ELNS1_3repE0EEENS1_30default_config_static_selectorELNS0_4arch9wavefront6targetE1EEEvT1_
	.p2align	8
	.type	_ZN7rocprim17ROCPRIM_400000_NS6detail17trampoline_kernelINS0_14default_configENS1_20scan_config_selectorItEEZZNS1_9scan_implILNS1_25lookback_scan_determinismE0ELb1ELb1ES3_N6thrust23THRUST_200600_302600_NS6detail15normal_iteratorINS9_10device_ptrItEEEENS9_16discard_iteratorINS9_11use_defaultEEEt11max_functorItEtEEDaPvRmT3_T4_T5_mT6_P12ihipStream_tbENKUlT_T0_E_clISt17integral_constantIbLb0EESX_EEDaSS_ST_EUlSS_E0_NS1_11comp_targetILNS1_3genE8ELNS1_11target_archE1030ELNS1_3gpuE2ELNS1_3repE0EEENS1_30default_config_static_selectorELNS0_4arch9wavefront6targetE1EEEvT1_,@function
_ZN7rocprim17ROCPRIM_400000_NS6detail17trampoline_kernelINS0_14default_configENS1_20scan_config_selectorItEEZZNS1_9scan_implILNS1_25lookback_scan_determinismE0ELb1ELb1ES3_N6thrust23THRUST_200600_302600_NS6detail15normal_iteratorINS9_10device_ptrItEEEENS9_16discard_iteratorINS9_11use_defaultEEEt11max_functorItEtEEDaPvRmT3_T4_T5_mT6_P12ihipStream_tbENKUlT_T0_E_clISt17integral_constantIbLb0EESX_EEDaSS_ST_EUlSS_E0_NS1_11comp_targetILNS1_3genE8ELNS1_11target_archE1030ELNS1_3gpuE2ELNS1_3repE0EEENS1_30default_config_static_selectorELNS0_4arch9wavefront6targetE1EEEvT1_: ; @_ZN7rocprim17ROCPRIM_400000_NS6detail17trampoline_kernelINS0_14default_configENS1_20scan_config_selectorItEEZZNS1_9scan_implILNS1_25lookback_scan_determinismE0ELb1ELb1ES3_N6thrust23THRUST_200600_302600_NS6detail15normal_iteratorINS9_10device_ptrItEEEENS9_16discard_iteratorINS9_11use_defaultEEEt11max_functorItEtEEDaPvRmT3_T4_T5_mT6_P12ihipStream_tbENKUlT_T0_E_clISt17integral_constantIbLb0EESX_EEDaSS_ST_EUlSS_E0_NS1_11comp_targetILNS1_3genE8ELNS1_11target_archE1030ELNS1_3gpuE2ELNS1_3repE0EEENS1_30default_config_static_selectorELNS0_4arch9wavefront6targetE1EEEvT1_
; %bb.0:
	.section	.rodata,"a",@progbits
	.p2align	6, 0x0
	.amdhsa_kernel _ZN7rocprim17ROCPRIM_400000_NS6detail17trampoline_kernelINS0_14default_configENS1_20scan_config_selectorItEEZZNS1_9scan_implILNS1_25lookback_scan_determinismE0ELb1ELb1ES3_N6thrust23THRUST_200600_302600_NS6detail15normal_iteratorINS9_10device_ptrItEEEENS9_16discard_iteratorINS9_11use_defaultEEEt11max_functorItEtEEDaPvRmT3_T4_T5_mT6_P12ihipStream_tbENKUlT_T0_E_clISt17integral_constantIbLb0EESX_EEDaSS_ST_EUlSS_E0_NS1_11comp_targetILNS1_3genE8ELNS1_11target_archE1030ELNS1_3gpuE2ELNS1_3repE0EEENS1_30default_config_static_selectorELNS0_4arch9wavefront6targetE1EEEvT1_
		.amdhsa_group_segment_fixed_size 0
		.amdhsa_private_segment_fixed_size 0
		.amdhsa_kernarg_size 40
		.amdhsa_user_sgpr_count 6
		.amdhsa_user_sgpr_private_segment_buffer 1
		.amdhsa_user_sgpr_dispatch_ptr 0
		.amdhsa_user_sgpr_queue_ptr 0
		.amdhsa_user_sgpr_kernarg_segment_ptr 1
		.amdhsa_user_sgpr_dispatch_id 0
		.amdhsa_user_sgpr_flat_scratch_init 0
		.amdhsa_user_sgpr_kernarg_preload_length 0
		.amdhsa_user_sgpr_kernarg_preload_offset 0
		.amdhsa_user_sgpr_private_segment_size 0
		.amdhsa_uses_dynamic_stack 0
		.amdhsa_system_sgpr_private_segment_wavefront_offset 0
		.amdhsa_system_sgpr_workgroup_id_x 1
		.amdhsa_system_sgpr_workgroup_id_y 0
		.amdhsa_system_sgpr_workgroup_id_z 0
		.amdhsa_system_sgpr_workgroup_info 0
		.amdhsa_system_vgpr_workitem_id 0
		.amdhsa_next_free_vgpr 1
		.amdhsa_next_free_sgpr 0
		.amdhsa_accum_offset 4
		.amdhsa_reserve_vcc 0
		.amdhsa_reserve_flat_scratch 0
		.amdhsa_float_round_mode_32 0
		.amdhsa_float_round_mode_16_64 0
		.amdhsa_float_denorm_mode_32 3
		.amdhsa_float_denorm_mode_16_64 3
		.amdhsa_dx10_clamp 1
		.amdhsa_ieee_mode 1
		.amdhsa_fp16_overflow 0
		.amdhsa_tg_split 0
		.amdhsa_exception_fp_ieee_invalid_op 0
		.amdhsa_exception_fp_denorm_src 0
		.amdhsa_exception_fp_ieee_div_zero 0
		.amdhsa_exception_fp_ieee_overflow 0
		.amdhsa_exception_fp_ieee_underflow 0
		.amdhsa_exception_fp_ieee_inexact 0
		.amdhsa_exception_int_div_zero 0
	.end_amdhsa_kernel
	.section	.text._ZN7rocprim17ROCPRIM_400000_NS6detail17trampoline_kernelINS0_14default_configENS1_20scan_config_selectorItEEZZNS1_9scan_implILNS1_25lookback_scan_determinismE0ELb1ELb1ES3_N6thrust23THRUST_200600_302600_NS6detail15normal_iteratorINS9_10device_ptrItEEEENS9_16discard_iteratorINS9_11use_defaultEEEt11max_functorItEtEEDaPvRmT3_T4_T5_mT6_P12ihipStream_tbENKUlT_T0_E_clISt17integral_constantIbLb0EESX_EEDaSS_ST_EUlSS_E0_NS1_11comp_targetILNS1_3genE8ELNS1_11target_archE1030ELNS1_3gpuE2ELNS1_3repE0EEENS1_30default_config_static_selectorELNS0_4arch9wavefront6targetE1EEEvT1_,"axG",@progbits,_ZN7rocprim17ROCPRIM_400000_NS6detail17trampoline_kernelINS0_14default_configENS1_20scan_config_selectorItEEZZNS1_9scan_implILNS1_25lookback_scan_determinismE0ELb1ELb1ES3_N6thrust23THRUST_200600_302600_NS6detail15normal_iteratorINS9_10device_ptrItEEEENS9_16discard_iteratorINS9_11use_defaultEEEt11max_functorItEtEEDaPvRmT3_T4_T5_mT6_P12ihipStream_tbENKUlT_T0_E_clISt17integral_constantIbLb0EESX_EEDaSS_ST_EUlSS_E0_NS1_11comp_targetILNS1_3genE8ELNS1_11target_archE1030ELNS1_3gpuE2ELNS1_3repE0EEENS1_30default_config_static_selectorELNS0_4arch9wavefront6targetE1EEEvT1_,comdat
.Lfunc_end3655:
	.size	_ZN7rocprim17ROCPRIM_400000_NS6detail17trampoline_kernelINS0_14default_configENS1_20scan_config_selectorItEEZZNS1_9scan_implILNS1_25lookback_scan_determinismE0ELb1ELb1ES3_N6thrust23THRUST_200600_302600_NS6detail15normal_iteratorINS9_10device_ptrItEEEENS9_16discard_iteratorINS9_11use_defaultEEEt11max_functorItEtEEDaPvRmT3_T4_T5_mT6_P12ihipStream_tbENKUlT_T0_E_clISt17integral_constantIbLb0EESX_EEDaSS_ST_EUlSS_E0_NS1_11comp_targetILNS1_3genE8ELNS1_11target_archE1030ELNS1_3gpuE2ELNS1_3repE0EEENS1_30default_config_static_selectorELNS0_4arch9wavefront6targetE1EEEvT1_, .Lfunc_end3655-_ZN7rocprim17ROCPRIM_400000_NS6detail17trampoline_kernelINS0_14default_configENS1_20scan_config_selectorItEEZZNS1_9scan_implILNS1_25lookback_scan_determinismE0ELb1ELb1ES3_N6thrust23THRUST_200600_302600_NS6detail15normal_iteratorINS9_10device_ptrItEEEENS9_16discard_iteratorINS9_11use_defaultEEEt11max_functorItEtEEDaPvRmT3_T4_T5_mT6_P12ihipStream_tbENKUlT_T0_E_clISt17integral_constantIbLb0EESX_EEDaSS_ST_EUlSS_E0_NS1_11comp_targetILNS1_3genE8ELNS1_11target_archE1030ELNS1_3gpuE2ELNS1_3repE0EEENS1_30default_config_static_selectorELNS0_4arch9wavefront6targetE1EEEvT1_
                                        ; -- End function
	.section	.AMDGPU.csdata,"",@progbits
; Kernel info:
; codeLenInByte = 0
; NumSgprs: 4
; NumVgprs: 0
; NumAgprs: 0
; TotalNumVgprs: 0
; ScratchSize: 0
; MemoryBound: 0
; FloatMode: 240
; IeeeMode: 1
; LDSByteSize: 0 bytes/workgroup (compile time only)
; SGPRBlocks: 0
; VGPRBlocks: 0
; NumSGPRsForWavesPerEU: 4
; NumVGPRsForWavesPerEU: 1
; AccumOffset: 4
; Occupancy: 8
; WaveLimiterHint : 0
; COMPUTE_PGM_RSRC2:SCRATCH_EN: 0
; COMPUTE_PGM_RSRC2:USER_SGPR: 6
; COMPUTE_PGM_RSRC2:TRAP_HANDLER: 0
; COMPUTE_PGM_RSRC2:TGID_X_EN: 1
; COMPUTE_PGM_RSRC2:TGID_Y_EN: 0
; COMPUTE_PGM_RSRC2:TGID_Z_EN: 0
; COMPUTE_PGM_RSRC2:TIDIG_COMP_CNT: 0
; COMPUTE_PGM_RSRC3_GFX90A:ACCUM_OFFSET: 0
; COMPUTE_PGM_RSRC3_GFX90A:TG_SPLIT: 0
	.section	.text._ZN7rocprim17ROCPRIM_400000_NS6detail17trampoline_kernelINS0_14default_configENS1_20scan_config_selectorItEEZZNS1_9scan_implILNS1_25lookback_scan_determinismE0ELb1ELb1ES3_N6thrust23THRUST_200600_302600_NS6detail15normal_iteratorINS9_10device_ptrItEEEENS9_16discard_iteratorINS9_11use_defaultEEEt11max_functorItEtEEDaPvRmT3_T4_T5_mT6_P12ihipStream_tbENKUlT_T0_E_clISt17integral_constantIbLb1EESX_EEDaSS_ST_EUlSS_E_NS1_11comp_targetILNS1_3genE0ELNS1_11target_archE4294967295ELNS1_3gpuE0ELNS1_3repE0EEENS1_30default_config_static_selectorELNS0_4arch9wavefront6targetE1EEEvT1_,"axG",@progbits,_ZN7rocprim17ROCPRIM_400000_NS6detail17trampoline_kernelINS0_14default_configENS1_20scan_config_selectorItEEZZNS1_9scan_implILNS1_25lookback_scan_determinismE0ELb1ELb1ES3_N6thrust23THRUST_200600_302600_NS6detail15normal_iteratorINS9_10device_ptrItEEEENS9_16discard_iteratorINS9_11use_defaultEEEt11max_functorItEtEEDaPvRmT3_T4_T5_mT6_P12ihipStream_tbENKUlT_T0_E_clISt17integral_constantIbLb1EESX_EEDaSS_ST_EUlSS_E_NS1_11comp_targetILNS1_3genE0ELNS1_11target_archE4294967295ELNS1_3gpuE0ELNS1_3repE0EEENS1_30default_config_static_selectorELNS0_4arch9wavefront6targetE1EEEvT1_,comdat
	.protected	_ZN7rocprim17ROCPRIM_400000_NS6detail17trampoline_kernelINS0_14default_configENS1_20scan_config_selectorItEEZZNS1_9scan_implILNS1_25lookback_scan_determinismE0ELb1ELb1ES3_N6thrust23THRUST_200600_302600_NS6detail15normal_iteratorINS9_10device_ptrItEEEENS9_16discard_iteratorINS9_11use_defaultEEEt11max_functorItEtEEDaPvRmT3_T4_T5_mT6_P12ihipStream_tbENKUlT_T0_E_clISt17integral_constantIbLb1EESX_EEDaSS_ST_EUlSS_E_NS1_11comp_targetILNS1_3genE0ELNS1_11target_archE4294967295ELNS1_3gpuE0ELNS1_3repE0EEENS1_30default_config_static_selectorELNS0_4arch9wavefront6targetE1EEEvT1_ ; -- Begin function _ZN7rocprim17ROCPRIM_400000_NS6detail17trampoline_kernelINS0_14default_configENS1_20scan_config_selectorItEEZZNS1_9scan_implILNS1_25lookback_scan_determinismE0ELb1ELb1ES3_N6thrust23THRUST_200600_302600_NS6detail15normal_iteratorINS9_10device_ptrItEEEENS9_16discard_iteratorINS9_11use_defaultEEEt11max_functorItEtEEDaPvRmT3_T4_T5_mT6_P12ihipStream_tbENKUlT_T0_E_clISt17integral_constantIbLb1EESX_EEDaSS_ST_EUlSS_E_NS1_11comp_targetILNS1_3genE0ELNS1_11target_archE4294967295ELNS1_3gpuE0ELNS1_3repE0EEENS1_30default_config_static_selectorELNS0_4arch9wavefront6targetE1EEEvT1_
	.globl	_ZN7rocprim17ROCPRIM_400000_NS6detail17trampoline_kernelINS0_14default_configENS1_20scan_config_selectorItEEZZNS1_9scan_implILNS1_25lookback_scan_determinismE0ELb1ELb1ES3_N6thrust23THRUST_200600_302600_NS6detail15normal_iteratorINS9_10device_ptrItEEEENS9_16discard_iteratorINS9_11use_defaultEEEt11max_functorItEtEEDaPvRmT3_T4_T5_mT6_P12ihipStream_tbENKUlT_T0_E_clISt17integral_constantIbLb1EESX_EEDaSS_ST_EUlSS_E_NS1_11comp_targetILNS1_3genE0ELNS1_11target_archE4294967295ELNS1_3gpuE0ELNS1_3repE0EEENS1_30default_config_static_selectorELNS0_4arch9wavefront6targetE1EEEvT1_
	.p2align	8
	.type	_ZN7rocprim17ROCPRIM_400000_NS6detail17trampoline_kernelINS0_14default_configENS1_20scan_config_selectorItEEZZNS1_9scan_implILNS1_25lookback_scan_determinismE0ELb1ELb1ES3_N6thrust23THRUST_200600_302600_NS6detail15normal_iteratorINS9_10device_ptrItEEEENS9_16discard_iteratorINS9_11use_defaultEEEt11max_functorItEtEEDaPvRmT3_T4_T5_mT6_P12ihipStream_tbENKUlT_T0_E_clISt17integral_constantIbLb1EESX_EEDaSS_ST_EUlSS_E_NS1_11comp_targetILNS1_3genE0ELNS1_11target_archE4294967295ELNS1_3gpuE0ELNS1_3repE0EEENS1_30default_config_static_selectorELNS0_4arch9wavefront6targetE1EEEvT1_,@function
_ZN7rocprim17ROCPRIM_400000_NS6detail17trampoline_kernelINS0_14default_configENS1_20scan_config_selectorItEEZZNS1_9scan_implILNS1_25lookback_scan_determinismE0ELb1ELb1ES3_N6thrust23THRUST_200600_302600_NS6detail15normal_iteratorINS9_10device_ptrItEEEENS9_16discard_iteratorINS9_11use_defaultEEEt11max_functorItEtEEDaPvRmT3_T4_T5_mT6_P12ihipStream_tbENKUlT_T0_E_clISt17integral_constantIbLb1EESX_EEDaSS_ST_EUlSS_E_NS1_11comp_targetILNS1_3genE0ELNS1_11target_archE4294967295ELNS1_3gpuE0ELNS1_3repE0EEENS1_30default_config_static_selectorELNS0_4arch9wavefront6targetE1EEEvT1_: ; @_ZN7rocprim17ROCPRIM_400000_NS6detail17trampoline_kernelINS0_14default_configENS1_20scan_config_selectorItEEZZNS1_9scan_implILNS1_25lookback_scan_determinismE0ELb1ELb1ES3_N6thrust23THRUST_200600_302600_NS6detail15normal_iteratorINS9_10device_ptrItEEEENS9_16discard_iteratorINS9_11use_defaultEEEt11max_functorItEtEEDaPvRmT3_T4_T5_mT6_P12ihipStream_tbENKUlT_T0_E_clISt17integral_constantIbLb1EESX_EEDaSS_ST_EUlSS_E_NS1_11comp_targetILNS1_3genE0ELNS1_11target_archE4294967295ELNS1_3gpuE0ELNS1_3repE0EEENS1_30default_config_static_selectorELNS0_4arch9wavefront6targetE1EEEvT1_
; %bb.0:
	.section	.rodata,"a",@progbits
	.p2align	6, 0x0
	.amdhsa_kernel _ZN7rocprim17ROCPRIM_400000_NS6detail17trampoline_kernelINS0_14default_configENS1_20scan_config_selectorItEEZZNS1_9scan_implILNS1_25lookback_scan_determinismE0ELb1ELb1ES3_N6thrust23THRUST_200600_302600_NS6detail15normal_iteratorINS9_10device_ptrItEEEENS9_16discard_iteratorINS9_11use_defaultEEEt11max_functorItEtEEDaPvRmT3_T4_T5_mT6_P12ihipStream_tbENKUlT_T0_E_clISt17integral_constantIbLb1EESX_EEDaSS_ST_EUlSS_E_NS1_11comp_targetILNS1_3genE0ELNS1_11target_archE4294967295ELNS1_3gpuE0ELNS1_3repE0EEENS1_30default_config_static_selectorELNS0_4arch9wavefront6targetE1EEEvT1_
		.amdhsa_group_segment_fixed_size 0
		.amdhsa_private_segment_fixed_size 0
		.amdhsa_kernarg_size 104
		.amdhsa_user_sgpr_count 6
		.amdhsa_user_sgpr_private_segment_buffer 1
		.amdhsa_user_sgpr_dispatch_ptr 0
		.amdhsa_user_sgpr_queue_ptr 0
		.amdhsa_user_sgpr_kernarg_segment_ptr 1
		.amdhsa_user_sgpr_dispatch_id 0
		.amdhsa_user_sgpr_flat_scratch_init 0
		.amdhsa_user_sgpr_kernarg_preload_length 0
		.amdhsa_user_sgpr_kernarg_preload_offset 0
		.amdhsa_user_sgpr_private_segment_size 0
		.amdhsa_uses_dynamic_stack 0
		.amdhsa_system_sgpr_private_segment_wavefront_offset 0
		.amdhsa_system_sgpr_workgroup_id_x 1
		.amdhsa_system_sgpr_workgroup_id_y 0
		.amdhsa_system_sgpr_workgroup_id_z 0
		.amdhsa_system_sgpr_workgroup_info 0
		.amdhsa_system_vgpr_workitem_id 0
		.amdhsa_next_free_vgpr 1
		.amdhsa_next_free_sgpr 0
		.amdhsa_accum_offset 4
		.amdhsa_reserve_vcc 0
		.amdhsa_reserve_flat_scratch 0
		.amdhsa_float_round_mode_32 0
		.amdhsa_float_round_mode_16_64 0
		.amdhsa_float_denorm_mode_32 3
		.amdhsa_float_denorm_mode_16_64 3
		.amdhsa_dx10_clamp 1
		.amdhsa_ieee_mode 1
		.amdhsa_fp16_overflow 0
		.amdhsa_tg_split 0
		.amdhsa_exception_fp_ieee_invalid_op 0
		.amdhsa_exception_fp_denorm_src 0
		.amdhsa_exception_fp_ieee_div_zero 0
		.amdhsa_exception_fp_ieee_overflow 0
		.amdhsa_exception_fp_ieee_underflow 0
		.amdhsa_exception_fp_ieee_inexact 0
		.amdhsa_exception_int_div_zero 0
	.end_amdhsa_kernel
	.section	.text._ZN7rocprim17ROCPRIM_400000_NS6detail17trampoline_kernelINS0_14default_configENS1_20scan_config_selectorItEEZZNS1_9scan_implILNS1_25lookback_scan_determinismE0ELb1ELb1ES3_N6thrust23THRUST_200600_302600_NS6detail15normal_iteratorINS9_10device_ptrItEEEENS9_16discard_iteratorINS9_11use_defaultEEEt11max_functorItEtEEDaPvRmT3_T4_T5_mT6_P12ihipStream_tbENKUlT_T0_E_clISt17integral_constantIbLb1EESX_EEDaSS_ST_EUlSS_E_NS1_11comp_targetILNS1_3genE0ELNS1_11target_archE4294967295ELNS1_3gpuE0ELNS1_3repE0EEENS1_30default_config_static_selectorELNS0_4arch9wavefront6targetE1EEEvT1_,"axG",@progbits,_ZN7rocprim17ROCPRIM_400000_NS6detail17trampoline_kernelINS0_14default_configENS1_20scan_config_selectorItEEZZNS1_9scan_implILNS1_25lookback_scan_determinismE0ELb1ELb1ES3_N6thrust23THRUST_200600_302600_NS6detail15normal_iteratorINS9_10device_ptrItEEEENS9_16discard_iteratorINS9_11use_defaultEEEt11max_functorItEtEEDaPvRmT3_T4_T5_mT6_P12ihipStream_tbENKUlT_T0_E_clISt17integral_constantIbLb1EESX_EEDaSS_ST_EUlSS_E_NS1_11comp_targetILNS1_3genE0ELNS1_11target_archE4294967295ELNS1_3gpuE0ELNS1_3repE0EEENS1_30default_config_static_selectorELNS0_4arch9wavefront6targetE1EEEvT1_,comdat
.Lfunc_end3656:
	.size	_ZN7rocprim17ROCPRIM_400000_NS6detail17trampoline_kernelINS0_14default_configENS1_20scan_config_selectorItEEZZNS1_9scan_implILNS1_25lookback_scan_determinismE0ELb1ELb1ES3_N6thrust23THRUST_200600_302600_NS6detail15normal_iteratorINS9_10device_ptrItEEEENS9_16discard_iteratorINS9_11use_defaultEEEt11max_functorItEtEEDaPvRmT3_T4_T5_mT6_P12ihipStream_tbENKUlT_T0_E_clISt17integral_constantIbLb1EESX_EEDaSS_ST_EUlSS_E_NS1_11comp_targetILNS1_3genE0ELNS1_11target_archE4294967295ELNS1_3gpuE0ELNS1_3repE0EEENS1_30default_config_static_selectorELNS0_4arch9wavefront6targetE1EEEvT1_, .Lfunc_end3656-_ZN7rocprim17ROCPRIM_400000_NS6detail17trampoline_kernelINS0_14default_configENS1_20scan_config_selectorItEEZZNS1_9scan_implILNS1_25lookback_scan_determinismE0ELb1ELb1ES3_N6thrust23THRUST_200600_302600_NS6detail15normal_iteratorINS9_10device_ptrItEEEENS9_16discard_iteratorINS9_11use_defaultEEEt11max_functorItEtEEDaPvRmT3_T4_T5_mT6_P12ihipStream_tbENKUlT_T0_E_clISt17integral_constantIbLb1EESX_EEDaSS_ST_EUlSS_E_NS1_11comp_targetILNS1_3genE0ELNS1_11target_archE4294967295ELNS1_3gpuE0ELNS1_3repE0EEENS1_30default_config_static_selectorELNS0_4arch9wavefront6targetE1EEEvT1_
                                        ; -- End function
	.section	.AMDGPU.csdata,"",@progbits
; Kernel info:
; codeLenInByte = 0
; NumSgprs: 4
; NumVgprs: 0
; NumAgprs: 0
; TotalNumVgprs: 0
; ScratchSize: 0
; MemoryBound: 0
; FloatMode: 240
; IeeeMode: 1
; LDSByteSize: 0 bytes/workgroup (compile time only)
; SGPRBlocks: 0
; VGPRBlocks: 0
; NumSGPRsForWavesPerEU: 4
; NumVGPRsForWavesPerEU: 1
; AccumOffset: 4
; Occupancy: 8
; WaveLimiterHint : 0
; COMPUTE_PGM_RSRC2:SCRATCH_EN: 0
; COMPUTE_PGM_RSRC2:USER_SGPR: 6
; COMPUTE_PGM_RSRC2:TRAP_HANDLER: 0
; COMPUTE_PGM_RSRC2:TGID_X_EN: 1
; COMPUTE_PGM_RSRC2:TGID_Y_EN: 0
; COMPUTE_PGM_RSRC2:TGID_Z_EN: 0
; COMPUTE_PGM_RSRC2:TIDIG_COMP_CNT: 0
; COMPUTE_PGM_RSRC3_GFX90A:ACCUM_OFFSET: 0
; COMPUTE_PGM_RSRC3_GFX90A:TG_SPLIT: 0
	.section	.text._ZN7rocprim17ROCPRIM_400000_NS6detail17trampoline_kernelINS0_14default_configENS1_20scan_config_selectorItEEZZNS1_9scan_implILNS1_25lookback_scan_determinismE0ELb1ELb1ES3_N6thrust23THRUST_200600_302600_NS6detail15normal_iteratorINS9_10device_ptrItEEEENS9_16discard_iteratorINS9_11use_defaultEEEt11max_functorItEtEEDaPvRmT3_T4_T5_mT6_P12ihipStream_tbENKUlT_T0_E_clISt17integral_constantIbLb1EESX_EEDaSS_ST_EUlSS_E_NS1_11comp_targetILNS1_3genE5ELNS1_11target_archE942ELNS1_3gpuE9ELNS1_3repE0EEENS1_30default_config_static_selectorELNS0_4arch9wavefront6targetE1EEEvT1_,"axG",@progbits,_ZN7rocprim17ROCPRIM_400000_NS6detail17trampoline_kernelINS0_14default_configENS1_20scan_config_selectorItEEZZNS1_9scan_implILNS1_25lookback_scan_determinismE0ELb1ELb1ES3_N6thrust23THRUST_200600_302600_NS6detail15normal_iteratorINS9_10device_ptrItEEEENS9_16discard_iteratorINS9_11use_defaultEEEt11max_functorItEtEEDaPvRmT3_T4_T5_mT6_P12ihipStream_tbENKUlT_T0_E_clISt17integral_constantIbLb1EESX_EEDaSS_ST_EUlSS_E_NS1_11comp_targetILNS1_3genE5ELNS1_11target_archE942ELNS1_3gpuE9ELNS1_3repE0EEENS1_30default_config_static_selectorELNS0_4arch9wavefront6targetE1EEEvT1_,comdat
	.protected	_ZN7rocprim17ROCPRIM_400000_NS6detail17trampoline_kernelINS0_14default_configENS1_20scan_config_selectorItEEZZNS1_9scan_implILNS1_25lookback_scan_determinismE0ELb1ELb1ES3_N6thrust23THRUST_200600_302600_NS6detail15normal_iteratorINS9_10device_ptrItEEEENS9_16discard_iteratorINS9_11use_defaultEEEt11max_functorItEtEEDaPvRmT3_T4_T5_mT6_P12ihipStream_tbENKUlT_T0_E_clISt17integral_constantIbLb1EESX_EEDaSS_ST_EUlSS_E_NS1_11comp_targetILNS1_3genE5ELNS1_11target_archE942ELNS1_3gpuE9ELNS1_3repE0EEENS1_30default_config_static_selectorELNS0_4arch9wavefront6targetE1EEEvT1_ ; -- Begin function _ZN7rocprim17ROCPRIM_400000_NS6detail17trampoline_kernelINS0_14default_configENS1_20scan_config_selectorItEEZZNS1_9scan_implILNS1_25lookback_scan_determinismE0ELb1ELb1ES3_N6thrust23THRUST_200600_302600_NS6detail15normal_iteratorINS9_10device_ptrItEEEENS9_16discard_iteratorINS9_11use_defaultEEEt11max_functorItEtEEDaPvRmT3_T4_T5_mT6_P12ihipStream_tbENKUlT_T0_E_clISt17integral_constantIbLb1EESX_EEDaSS_ST_EUlSS_E_NS1_11comp_targetILNS1_3genE5ELNS1_11target_archE942ELNS1_3gpuE9ELNS1_3repE0EEENS1_30default_config_static_selectorELNS0_4arch9wavefront6targetE1EEEvT1_
	.globl	_ZN7rocprim17ROCPRIM_400000_NS6detail17trampoline_kernelINS0_14default_configENS1_20scan_config_selectorItEEZZNS1_9scan_implILNS1_25lookback_scan_determinismE0ELb1ELb1ES3_N6thrust23THRUST_200600_302600_NS6detail15normal_iteratorINS9_10device_ptrItEEEENS9_16discard_iteratorINS9_11use_defaultEEEt11max_functorItEtEEDaPvRmT3_T4_T5_mT6_P12ihipStream_tbENKUlT_T0_E_clISt17integral_constantIbLb1EESX_EEDaSS_ST_EUlSS_E_NS1_11comp_targetILNS1_3genE5ELNS1_11target_archE942ELNS1_3gpuE9ELNS1_3repE0EEENS1_30default_config_static_selectorELNS0_4arch9wavefront6targetE1EEEvT1_
	.p2align	8
	.type	_ZN7rocprim17ROCPRIM_400000_NS6detail17trampoline_kernelINS0_14default_configENS1_20scan_config_selectorItEEZZNS1_9scan_implILNS1_25lookback_scan_determinismE0ELb1ELb1ES3_N6thrust23THRUST_200600_302600_NS6detail15normal_iteratorINS9_10device_ptrItEEEENS9_16discard_iteratorINS9_11use_defaultEEEt11max_functorItEtEEDaPvRmT3_T4_T5_mT6_P12ihipStream_tbENKUlT_T0_E_clISt17integral_constantIbLb1EESX_EEDaSS_ST_EUlSS_E_NS1_11comp_targetILNS1_3genE5ELNS1_11target_archE942ELNS1_3gpuE9ELNS1_3repE0EEENS1_30default_config_static_selectorELNS0_4arch9wavefront6targetE1EEEvT1_,@function
_ZN7rocprim17ROCPRIM_400000_NS6detail17trampoline_kernelINS0_14default_configENS1_20scan_config_selectorItEEZZNS1_9scan_implILNS1_25lookback_scan_determinismE0ELb1ELb1ES3_N6thrust23THRUST_200600_302600_NS6detail15normal_iteratorINS9_10device_ptrItEEEENS9_16discard_iteratorINS9_11use_defaultEEEt11max_functorItEtEEDaPvRmT3_T4_T5_mT6_P12ihipStream_tbENKUlT_T0_E_clISt17integral_constantIbLb1EESX_EEDaSS_ST_EUlSS_E_NS1_11comp_targetILNS1_3genE5ELNS1_11target_archE942ELNS1_3gpuE9ELNS1_3repE0EEENS1_30default_config_static_selectorELNS0_4arch9wavefront6targetE1EEEvT1_: ; @_ZN7rocprim17ROCPRIM_400000_NS6detail17trampoline_kernelINS0_14default_configENS1_20scan_config_selectorItEEZZNS1_9scan_implILNS1_25lookback_scan_determinismE0ELb1ELb1ES3_N6thrust23THRUST_200600_302600_NS6detail15normal_iteratorINS9_10device_ptrItEEEENS9_16discard_iteratorINS9_11use_defaultEEEt11max_functorItEtEEDaPvRmT3_T4_T5_mT6_P12ihipStream_tbENKUlT_T0_E_clISt17integral_constantIbLb1EESX_EEDaSS_ST_EUlSS_E_NS1_11comp_targetILNS1_3genE5ELNS1_11target_archE942ELNS1_3gpuE9ELNS1_3repE0EEENS1_30default_config_static_selectorELNS0_4arch9wavefront6targetE1EEEvT1_
; %bb.0:
	.section	.rodata,"a",@progbits
	.p2align	6, 0x0
	.amdhsa_kernel _ZN7rocprim17ROCPRIM_400000_NS6detail17trampoline_kernelINS0_14default_configENS1_20scan_config_selectorItEEZZNS1_9scan_implILNS1_25lookback_scan_determinismE0ELb1ELb1ES3_N6thrust23THRUST_200600_302600_NS6detail15normal_iteratorINS9_10device_ptrItEEEENS9_16discard_iteratorINS9_11use_defaultEEEt11max_functorItEtEEDaPvRmT3_T4_T5_mT6_P12ihipStream_tbENKUlT_T0_E_clISt17integral_constantIbLb1EESX_EEDaSS_ST_EUlSS_E_NS1_11comp_targetILNS1_3genE5ELNS1_11target_archE942ELNS1_3gpuE9ELNS1_3repE0EEENS1_30default_config_static_selectorELNS0_4arch9wavefront6targetE1EEEvT1_
		.amdhsa_group_segment_fixed_size 0
		.amdhsa_private_segment_fixed_size 0
		.amdhsa_kernarg_size 104
		.amdhsa_user_sgpr_count 6
		.amdhsa_user_sgpr_private_segment_buffer 1
		.amdhsa_user_sgpr_dispatch_ptr 0
		.amdhsa_user_sgpr_queue_ptr 0
		.amdhsa_user_sgpr_kernarg_segment_ptr 1
		.amdhsa_user_sgpr_dispatch_id 0
		.amdhsa_user_sgpr_flat_scratch_init 0
		.amdhsa_user_sgpr_kernarg_preload_length 0
		.amdhsa_user_sgpr_kernarg_preload_offset 0
		.amdhsa_user_sgpr_private_segment_size 0
		.amdhsa_uses_dynamic_stack 0
		.amdhsa_system_sgpr_private_segment_wavefront_offset 0
		.amdhsa_system_sgpr_workgroup_id_x 1
		.amdhsa_system_sgpr_workgroup_id_y 0
		.amdhsa_system_sgpr_workgroup_id_z 0
		.amdhsa_system_sgpr_workgroup_info 0
		.amdhsa_system_vgpr_workitem_id 0
		.amdhsa_next_free_vgpr 1
		.amdhsa_next_free_sgpr 0
		.amdhsa_accum_offset 4
		.amdhsa_reserve_vcc 0
		.amdhsa_reserve_flat_scratch 0
		.amdhsa_float_round_mode_32 0
		.amdhsa_float_round_mode_16_64 0
		.amdhsa_float_denorm_mode_32 3
		.amdhsa_float_denorm_mode_16_64 3
		.amdhsa_dx10_clamp 1
		.amdhsa_ieee_mode 1
		.amdhsa_fp16_overflow 0
		.amdhsa_tg_split 0
		.amdhsa_exception_fp_ieee_invalid_op 0
		.amdhsa_exception_fp_denorm_src 0
		.amdhsa_exception_fp_ieee_div_zero 0
		.amdhsa_exception_fp_ieee_overflow 0
		.amdhsa_exception_fp_ieee_underflow 0
		.amdhsa_exception_fp_ieee_inexact 0
		.amdhsa_exception_int_div_zero 0
	.end_amdhsa_kernel
	.section	.text._ZN7rocprim17ROCPRIM_400000_NS6detail17trampoline_kernelINS0_14default_configENS1_20scan_config_selectorItEEZZNS1_9scan_implILNS1_25lookback_scan_determinismE0ELb1ELb1ES3_N6thrust23THRUST_200600_302600_NS6detail15normal_iteratorINS9_10device_ptrItEEEENS9_16discard_iteratorINS9_11use_defaultEEEt11max_functorItEtEEDaPvRmT3_T4_T5_mT6_P12ihipStream_tbENKUlT_T0_E_clISt17integral_constantIbLb1EESX_EEDaSS_ST_EUlSS_E_NS1_11comp_targetILNS1_3genE5ELNS1_11target_archE942ELNS1_3gpuE9ELNS1_3repE0EEENS1_30default_config_static_selectorELNS0_4arch9wavefront6targetE1EEEvT1_,"axG",@progbits,_ZN7rocprim17ROCPRIM_400000_NS6detail17trampoline_kernelINS0_14default_configENS1_20scan_config_selectorItEEZZNS1_9scan_implILNS1_25lookback_scan_determinismE0ELb1ELb1ES3_N6thrust23THRUST_200600_302600_NS6detail15normal_iteratorINS9_10device_ptrItEEEENS9_16discard_iteratorINS9_11use_defaultEEEt11max_functorItEtEEDaPvRmT3_T4_T5_mT6_P12ihipStream_tbENKUlT_T0_E_clISt17integral_constantIbLb1EESX_EEDaSS_ST_EUlSS_E_NS1_11comp_targetILNS1_3genE5ELNS1_11target_archE942ELNS1_3gpuE9ELNS1_3repE0EEENS1_30default_config_static_selectorELNS0_4arch9wavefront6targetE1EEEvT1_,comdat
.Lfunc_end3657:
	.size	_ZN7rocprim17ROCPRIM_400000_NS6detail17trampoline_kernelINS0_14default_configENS1_20scan_config_selectorItEEZZNS1_9scan_implILNS1_25lookback_scan_determinismE0ELb1ELb1ES3_N6thrust23THRUST_200600_302600_NS6detail15normal_iteratorINS9_10device_ptrItEEEENS9_16discard_iteratorINS9_11use_defaultEEEt11max_functorItEtEEDaPvRmT3_T4_T5_mT6_P12ihipStream_tbENKUlT_T0_E_clISt17integral_constantIbLb1EESX_EEDaSS_ST_EUlSS_E_NS1_11comp_targetILNS1_3genE5ELNS1_11target_archE942ELNS1_3gpuE9ELNS1_3repE0EEENS1_30default_config_static_selectorELNS0_4arch9wavefront6targetE1EEEvT1_, .Lfunc_end3657-_ZN7rocprim17ROCPRIM_400000_NS6detail17trampoline_kernelINS0_14default_configENS1_20scan_config_selectorItEEZZNS1_9scan_implILNS1_25lookback_scan_determinismE0ELb1ELb1ES3_N6thrust23THRUST_200600_302600_NS6detail15normal_iteratorINS9_10device_ptrItEEEENS9_16discard_iteratorINS9_11use_defaultEEEt11max_functorItEtEEDaPvRmT3_T4_T5_mT6_P12ihipStream_tbENKUlT_T0_E_clISt17integral_constantIbLb1EESX_EEDaSS_ST_EUlSS_E_NS1_11comp_targetILNS1_3genE5ELNS1_11target_archE942ELNS1_3gpuE9ELNS1_3repE0EEENS1_30default_config_static_selectorELNS0_4arch9wavefront6targetE1EEEvT1_
                                        ; -- End function
	.section	.AMDGPU.csdata,"",@progbits
; Kernel info:
; codeLenInByte = 0
; NumSgprs: 4
; NumVgprs: 0
; NumAgprs: 0
; TotalNumVgprs: 0
; ScratchSize: 0
; MemoryBound: 0
; FloatMode: 240
; IeeeMode: 1
; LDSByteSize: 0 bytes/workgroup (compile time only)
; SGPRBlocks: 0
; VGPRBlocks: 0
; NumSGPRsForWavesPerEU: 4
; NumVGPRsForWavesPerEU: 1
; AccumOffset: 4
; Occupancy: 8
; WaveLimiterHint : 0
; COMPUTE_PGM_RSRC2:SCRATCH_EN: 0
; COMPUTE_PGM_RSRC2:USER_SGPR: 6
; COMPUTE_PGM_RSRC2:TRAP_HANDLER: 0
; COMPUTE_PGM_RSRC2:TGID_X_EN: 1
; COMPUTE_PGM_RSRC2:TGID_Y_EN: 0
; COMPUTE_PGM_RSRC2:TGID_Z_EN: 0
; COMPUTE_PGM_RSRC2:TIDIG_COMP_CNT: 0
; COMPUTE_PGM_RSRC3_GFX90A:ACCUM_OFFSET: 0
; COMPUTE_PGM_RSRC3_GFX90A:TG_SPLIT: 0
	.section	.text._ZN7rocprim17ROCPRIM_400000_NS6detail17trampoline_kernelINS0_14default_configENS1_20scan_config_selectorItEEZZNS1_9scan_implILNS1_25lookback_scan_determinismE0ELb1ELb1ES3_N6thrust23THRUST_200600_302600_NS6detail15normal_iteratorINS9_10device_ptrItEEEENS9_16discard_iteratorINS9_11use_defaultEEEt11max_functorItEtEEDaPvRmT3_T4_T5_mT6_P12ihipStream_tbENKUlT_T0_E_clISt17integral_constantIbLb1EESX_EEDaSS_ST_EUlSS_E_NS1_11comp_targetILNS1_3genE4ELNS1_11target_archE910ELNS1_3gpuE8ELNS1_3repE0EEENS1_30default_config_static_selectorELNS0_4arch9wavefront6targetE1EEEvT1_,"axG",@progbits,_ZN7rocprim17ROCPRIM_400000_NS6detail17trampoline_kernelINS0_14default_configENS1_20scan_config_selectorItEEZZNS1_9scan_implILNS1_25lookback_scan_determinismE0ELb1ELb1ES3_N6thrust23THRUST_200600_302600_NS6detail15normal_iteratorINS9_10device_ptrItEEEENS9_16discard_iteratorINS9_11use_defaultEEEt11max_functorItEtEEDaPvRmT3_T4_T5_mT6_P12ihipStream_tbENKUlT_T0_E_clISt17integral_constantIbLb1EESX_EEDaSS_ST_EUlSS_E_NS1_11comp_targetILNS1_3genE4ELNS1_11target_archE910ELNS1_3gpuE8ELNS1_3repE0EEENS1_30default_config_static_selectorELNS0_4arch9wavefront6targetE1EEEvT1_,comdat
	.protected	_ZN7rocprim17ROCPRIM_400000_NS6detail17trampoline_kernelINS0_14default_configENS1_20scan_config_selectorItEEZZNS1_9scan_implILNS1_25lookback_scan_determinismE0ELb1ELb1ES3_N6thrust23THRUST_200600_302600_NS6detail15normal_iteratorINS9_10device_ptrItEEEENS9_16discard_iteratorINS9_11use_defaultEEEt11max_functorItEtEEDaPvRmT3_T4_T5_mT6_P12ihipStream_tbENKUlT_T0_E_clISt17integral_constantIbLb1EESX_EEDaSS_ST_EUlSS_E_NS1_11comp_targetILNS1_3genE4ELNS1_11target_archE910ELNS1_3gpuE8ELNS1_3repE0EEENS1_30default_config_static_selectorELNS0_4arch9wavefront6targetE1EEEvT1_ ; -- Begin function _ZN7rocprim17ROCPRIM_400000_NS6detail17trampoline_kernelINS0_14default_configENS1_20scan_config_selectorItEEZZNS1_9scan_implILNS1_25lookback_scan_determinismE0ELb1ELb1ES3_N6thrust23THRUST_200600_302600_NS6detail15normal_iteratorINS9_10device_ptrItEEEENS9_16discard_iteratorINS9_11use_defaultEEEt11max_functorItEtEEDaPvRmT3_T4_T5_mT6_P12ihipStream_tbENKUlT_T0_E_clISt17integral_constantIbLb1EESX_EEDaSS_ST_EUlSS_E_NS1_11comp_targetILNS1_3genE4ELNS1_11target_archE910ELNS1_3gpuE8ELNS1_3repE0EEENS1_30default_config_static_selectorELNS0_4arch9wavefront6targetE1EEEvT1_
	.globl	_ZN7rocprim17ROCPRIM_400000_NS6detail17trampoline_kernelINS0_14default_configENS1_20scan_config_selectorItEEZZNS1_9scan_implILNS1_25lookback_scan_determinismE0ELb1ELb1ES3_N6thrust23THRUST_200600_302600_NS6detail15normal_iteratorINS9_10device_ptrItEEEENS9_16discard_iteratorINS9_11use_defaultEEEt11max_functorItEtEEDaPvRmT3_T4_T5_mT6_P12ihipStream_tbENKUlT_T0_E_clISt17integral_constantIbLb1EESX_EEDaSS_ST_EUlSS_E_NS1_11comp_targetILNS1_3genE4ELNS1_11target_archE910ELNS1_3gpuE8ELNS1_3repE0EEENS1_30default_config_static_selectorELNS0_4arch9wavefront6targetE1EEEvT1_
	.p2align	8
	.type	_ZN7rocprim17ROCPRIM_400000_NS6detail17trampoline_kernelINS0_14default_configENS1_20scan_config_selectorItEEZZNS1_9scan_implILNS1_25lookback_scan_determinismE0ELb1ELb1ES3_N6thrust23THRUST_200600_302600_NS6detail15normal_iteratorINS9_10device_ptrItEEEENS9_16discard_iteratorINS9_11use_defaultEEEt11max_functorItEtEEDaPvRmT3_T4_T5_mT6_P12ihipStream_tbENKUlT_T0_E_clISt17integral_constantIbLb1EESX_EEDaSS_ST_EUlSS_E_NS1_11comp_targetILNS1_3genE4ELNS1_11target_archE910ELNS1_3gpuE8ELNS1_3repE0EEENS1_30default_config_static_selectorELNS0_4arch9wavefront6targetE1EEEvT1_,@function
_ZN7rocprim17ROCPRIM_400000_NS6detail17trampoline_kernelINS0_14default_configENS1_20scan_config_selectorItEEZZNS1_9scan_implILNS1_25lookback_scan_determinismE0ELb1ELb1ES3_N6thrust23THRUST_200600_302600_NS6detail15normal_iteratorINS9_10device_ptrItEEEENS9_16discard_iteratorINS9_11use_defaultEEEt11max_functorItEtEEDaPvRmT3_T4_T5_mT6_P12ihipStream_tbENKUlT_T0_E_clISt17integral_constantIbLb1EESX_EEDaSS_ST_EUlSS_E_NS1_11comp_targetILNS1_3genE4ELNS1_11target_archE910ELNS1_3gpuE8ELNS1_3repE0EEENS1_30default_config_static_selectorELNS0_4arch9wavefront6targetE1EEEvT1_: ; @_ZN7rocprim17ROCPRIM_400000_NS6detail17trampoline_kernelINS0_14default_configENS1_20scan_config_selectorItEEZZNS1_9scan_implILNS1_25lookback_scan_determinismE0ELb1ELb1ES3_N6thrust23THRUST_200600_302600_NS6detail15normal_iteratorINS9_10device_ptrItEEEENS9_16discard_iteratorINS9_11use_defaultEEEt11max_functorItEtEEDaPvRmT3_T4_T5_mT6_P12ihipStream_tbENKUlT_T0_E_clISt17integral_constantIbLb1EESX_EEDaSS_ST_EUlSS_E_NS1_11comp_targetILNS1_3genE4ELNS1_11target_archE910ELNS1_3gpuE8ELNS1_3repE0EEENS1_30default_config_static_selectorELNS0_4arch9wavefront6targetE1EEEvT1_
; %bb.0:
	s_load_dwordx2 s[2:3], s[4:5], 0x20
	s_load_dword s28, s[4:5], 0x28
	s_load_dwordx2 s[22:23], s[4:5], 0x30
	v_cmp_eq_u32_e64 s[0:1], 0, v0
	s_and_saveexec_b64 s[6:7], s[0:1]
	s_cbranch_execz .LBB3658_4
; %bb.1:
	s_mov_b64 s[10:11], exec
	v_mbcnt_lo_u32_b32 v1, s10, 0
	v_mbcnt_hi_u32_b32 v1, s11, v1
	v_cmp_eq_u32_e32 vcc, 0, v1
                                        ; implicit-def: $vgpr2
	s_and_saveexec_b64 s[8:9], vcc
	s_cbranch_execz .LBB3658_3
; %bb.2:
	s_load_dwordx2 s[12:13], s[4:5], 0x60
	s_bcnt1_i32_b64 s10, s[10:11]
	v_mov_b32_e32 v2, 0
	v_mov_b32_e32 v3, s10
	s_waitcnt lgkmcnt(0)
	global_atomic_add v2, v2, v3, s[12:13] glc
.LBB3658_3:
	s_or_b64 exec, exec, s[8:9]
	s_waitcnt vmcnt(0)
	v_readfirstlane_b32 s8, v2
	v_add_u32_e32 v1, s8, v1
	v_mov_b32_e32 v2, 0
	ds_write_b32 v2, v1
.LBB3658_4:
	s_or_b64 exec, exec, s[6:7]
	v_mov_b32_e32 v3, 0
	s_load_dwordx4 s[8:11], s[4:5], 0x0
	s_load_dword s6, s[4:5], 0x38
	s_load_dwordx8 s[12:19], s[4:5], 0x40
	s_waitcnt lgkmcnt(0)
	; wave barrier
	s_waitcnt lgkmcnt(0)
	ds_read_b32 v1, v3
	s_lshl_b64 s[4:5], s[10:11], 1
	s_add_u32 s29, s8, s4
	s_movk_i32 s4, 0x600
	s_addc_u32 s30, s9, s5
	s_waitcnt lgkmcnt(0)
	v_mul_lo_u32 v2, v1, s4
	s_add_i32 s4, s6, -1
	s_mul_i32 s5, s4, 0x600
	s_sub_u32 s26, s2, s5
	v_readfirstlane_b32 s31, v1
	s_subb_u32 s27, s3, 0
	v_lshlrev_b64 v[2:3], 1, v[2:3]
	s_cmp_lg_u32 s31, s4
	v_mov_b32_e32 v1, s30
	v_add_co_u32_e32 v2, vcc, s29, v2
	s_cselect_b64 s[20:21], -1, 0
	v_addc_co_u32_e32 v3, vcc, v1, v3, vcc
	s_mov_b64 s[2:3], -1
	s_and_b64 vcc, exec, s[20:21]
	v_lshlrev_b32_e32 v1, 1, v0
	s_waitcnt lgkmcnt(0)
	; wave barrier
	s_cbranch_vccz .LBB3658_6
; %bb.5:
	v_add_co_u32_e32 v4, vcc, v2, v1
	v_addc_co_u32_e32 v5, vcc, 0, v3, vcc
	flat_load_ushort v6, v[4:5]
	flat_load_ushort v7, v[4:5] offset:128
	flat_load_ushort v8, v[4:5] offset:256
	;; [unrolled: 1-line block ×23, first 2 shown]
	s_mov_b64 s[2:3], 0
	s_waitcnt vmcnt(0) lgkmcnt(0)
	ds_write_b16 v1, v6
	ds_write_b16 v1, v7 offset:128
	ds_write_b16 v1, v8 offset:256
	ds_write_b16 v1, v9 offset:384
	ds_write_b16 v1, v10 offset:512
	ds_write_b16 v1, v11 offset:640
	ds_write_b16 v1, v12 offset:768
	ds_write_b16 v1, v13 offset:896
	ds_write_b16 v1, v14 offset:1024
	ds_write_b16 v1, v15 offset:1152
	ds_write_b16 v1, v16 offset:1280
	ds_write_b16 v1, v17 offset:1408
	ds_write_b16 v1, v18 offset:1536
	ds_write_b16 v1, v19 offset:1664
	ds_write_b16 v1, v20 offset:1792
	ds_write_b16 v1, v21 offset:1920
	ds_write_b16 v1, v22 offset:2048
	ds_write_b16 v1, v23 offset:2176
	ds_write_b16 v1, v24 offset:2304
	ds_write_b16 v1, v25 offset:2432
	ds_write_b16 v1, v26 offset:2560
	ds_write_b16 v1, v27 offset:2688
	ds_write_b16 v1, v28 offset:2816
	ds_write_b16 v1, v29 offset:2944
	s_waitcnt lgkmcnt(0)
	; wave barrier
.LBB3658_6:
	s_andn2_b64 vcc, exec, s[2:3]
	s_cbranch_vccnz .LBB3658_56
; %bb.7:
	flat_load_ushort v4, v[2:3]
	v_cmp_gt_u32_e32 vcc, s26, v0
	s_waitcnt vmcnt(0) lgkmcnt(0)
	v_mov_b32_e32 v5, v4
	s_and_saveexec_b64 s[2:3], vcc
	s_cbranch_execz .LBB3658_9
; %bb.8:
	v_add_co_u32_e32 v6, vcc, v2, v1
	v_addc_co_u32_e32 v7, vcc, 0, v3, vcc
	flat_load_ushort v5, v[6:7]
.LBB3658_9:
	s_or_b64 exec, exec, s[2:3]
	v_or_b32_e32 v6, 64, v0
	v_cmp_gt_u32_e32 vcc, s26, v6
	v_mov_b32_e32 v6, v4
	s_and_saveexec_b64 s[2:3], vcc
	s_cbranch_execz .LBB3658_11
; %bb.10:
	v_add_co_u32_e32 v6, vcc, v2, v1
	v_addc_co_u32_e32 v7, vcc, 0, v3, vcc
	flat_load_ushort v6, v[6:7] offset:128
.LBB3658_11:
	s_or_b64 exec, exec, s[2:3]
	v_or_b32_e32 v7, 0x80, v0
	v_cmp_gt_u32_e32 vcc, s26, v7
	v_mov_b32_e32 v7, v4
	s_and_saveexec_b64 s[2:3], vcc
	s_cbranch_execz .LBB3658_13
; %bb.12:
	v_add_co_u32_e32 v8, vcc, v2, v1
	v_addc_co_u32_e32 v9, vcc, 0, v3, vcc
	flat_load_ushort v7, v[8:9] offset:256
.LBB3658_13:
	;; [unrolled: 11-line block ×22, first 2 shown]
	s_or_b64 exec, exec, s[2:3]
	v_or_b32_e32 v28, 0x5c0, v0
	v_cmp_gt_u32_e32 vcc, s26, v28
	s_and_saveexec_b64 s[2:3], vcc
	s_cbranch_execz .LBB3658_55
; %bb.54:
	v_add_co_u32_e32 v2, vcc, v2, v1
	v_addc_co_u32_e32 v3, vcc, 0, v3, vcc
	flat_load_ushort v4, v[2:3] offset:2944
.LBB3658_55:
	s_or_b64 exec, exec, s[2:3]
	s_waitcnt vmcnt(0) lgkmcnt(0)
	ds_write_b16 v1, v5
	ds_write_b16 v1, v6 offset:128
	ds_write_b16 v1, v7 offset:256
	;; [unrolled: 1-line block ×23, first 2 shown]
	s_waitcnt lgkmcnt(0)
	; wave barrier
.LBB3658_56:
	v_mul_u32_u24_e32 v20, 24, v0
	v_lshlrev_b32_e32 v21, 1, v20
	s_waitcnt lgkmcnt(0)
	ds_read_b128 v[10:13], v21
	ds_read_b128 v[6:9], v21 offset:16
	ds_read_b128 v[2:5], v21 offset:32
	s_cmp_lg_u32 s31, 0
	v_mbcnt_lo_u32_b32 v32, -1, 0
	s_waitcnt lgkmcnt(2)
	v_lshrrev_b32_e32 v30, 16, v11
	v_max_u16_sdwa v14, v10, v10 dst_sel:DWORD dst_unused:UNUSED_PAD src0_sel:DWORD src1_sel:WORD_1
	v_lshrrev_b32_e32 v29, 16, v12
	v_lshrrev_b32_e32 v28, 16, v13
	s_waitcnt lgkmcnt(1)
	v_lshrrev_b32_e32 v27, 16, v6
	v_lshrrev_b32_e32 v26, 16, v7
	;; [unrolled: 1-line block ×4, first 2 shown]
	s_waitcnt lgkmcnt(0)
	v_lshrrev_b32_e32 v23, 16, v2
	v_lshrrev_b32_e32 v22, 16, v3
	;; [unrolled: 1-line block ×4, first 2 shown]
	v_max3_u16 v33, v14, v11, v30
	v_cmp_eq_u32_e32 vcc, 63, v0
	s_waitcnt lgkmcnt(0)
	; wave barrier
	s_cbranch_scc0 .LBB3658_83
; %bb.57:
	v_max3_u16 v14, v33, v12, v29
	v_max3_u16 v14, v14, v13, v28
	;; [unrolled: 1-line block ×10, first 2 shown]
	v_mbcnt_hi_u32_b32 v15, -1, v32
	v_and_b32_e32 v17, 0xffff, v14
	v_and_b32_e32 v16, 15, v15
	v_cmp_eq_u32_e64 s[2:3], 0, v16
	v_mov_b32_dpp v17, v17 row_shr:1 row_mask:0xf bank_mask:0xf
	v_max_u16_e32 v17, v17, v14
	v_cndmask_b32_e64 v14, v17, v14, s[2:3]
	v_and_b32_e32 v17, 0xffff, v14
	v_cmp_lt_u32_e64 s[2:3], 1, v16
	s_nop 0
	v_mov_b32_dpp v17, v17 row_shr:2 row_mask:0xf bank_mask:0xf
	v_max_u16_e32 v17, v17, v14
	v_cndmask_b32_e64 v14, v14, v17, s[2:3]
	v_and_b32_e32 v17, 0xffff, v14
	v_cmp_lt_u32_e64 s[2:3], 3, v16
	s_nop 0
	;; [unrolled: 6-line block ×3, first 2 shown]
	v_mov_b32_dpp v17, v17 row_shr:8 row_mask:0xf bank_mask:0xf
	v_max_u16_e32 v17, v17, v14
	v_cndmask_b32_e64 v14, v14, v17, s[2:3]
	v_and_b32_e32 v16, 0xffff, v14
	v_and_b32_e32 v17, 16, v15
	v_cmp_eq_u32_e64 s[2:3], 0, v17
	v_mov_b32_dpp v16, v16 row_bcast:15 row_mask:0xf bank_mask:0xf
	v_max_u16_e32 v16, v16, v14
	v_cndmask_b32_e64 v14, v16, v14, s[2:3]
	v_and_b32_e32 v16, 0xffff, v14
	v_cmp_lt_u32_e64 s[2:3], 31, v15
	s_nop 0
	v_mov_b32_dpp v16, v16 row_bcast:31 row_mask:0xf bank_mask:0xf
	v_max_u16_e32 v16, v16, v14
	v_cndmask_b32_e64 v14, v14, v16, s[2:3]
	s_and_saveexec_b64 s[2:3], vcc
	s_cbranch_execz .LBB3658_59
; %bb.58:
	v_mov_b32_e32 v16, 0
	ds_write_b16 v16, v14
.LBB3658_59:
	s_or_b64 exec, exec, s[2:3]
	v_add_u32_e32 v16, -1, v15
	v_and_b32_e32 v17, 64, v15
	v_cmp_lt_i32_e32 vcc, v16, v17
	v_cndmask_b32_e32 v16, v16, v15, vcc
	v_and_b32_e32 v14, 0xffff, v14
	v_lshlrev_b32_e32 v16, 2, v16
	ds_bpermute_b32 v34, v16, v14
	v_cmp_gt_u32_e32 vcc, 64, v0
	s_waitcnt lgkmcnt(0)
	; wave barrier
	s_waitcnt lgkmcnt(0)
	s_and_saveexec_b64 s[24:25], vcc
	s_cbranch_execz .LBB3658_82
; %bb.60:
	v_mov_b32_e32 v19, 0
	ds_read_u16 v35, v19
	s_mov_b32 s7, 0
	v_cmp_eq_u32_e64 s[2:3], 0, v15
	s_and_saveexec_b64 s[4:5], s[2:3]
	s_cbranch_execz .LBB3658_62
; %bb.61:
	s_add_i32 s6, s31, 64
	s_lshl_b64 s[6:7], s[6:7], 2
	s_add_u32 s6, s22, s6
	s_waitcnt lgkmcnt(0)
	v_or_b32_e32 v14, 0x10000, v35
	s_addc_u32 s7, s23, s7
	global_store_dword v19, v14, s[6:7]
.LBB3658_62:
	s_or_b64 exec, exec, s[4:5]
	v_xad_u32 v14, v15, -1, s31
	v_add_u32_e32 v18, 64, v14
	v_lshlrev_b64 v[16:17], 2, v[18:19]
	v_mov_b32_e32 v18, s23
	v_add_co_u32_e32 v16, vcc, s22, v16
	v_addc_co_u32_e32 v17, vcc, v18, v17, vcc
	global_load_dword v18, v[16:17], off glc
	s_waitcnt vmcnt(0)
	v_lshrrev_b32_e32 v39, 16, v18
	v_cmp_eq_u16_sdwa s[6:7], v39, v19 src0_sel:BYTE_0 src1_sel:DWORD
	s_and_saveexec_b64 s[4:5], s[6:7]
	s_cbranch_execz .LBB3658_68
; %bb.63:
	s_mov_b32 s8, 1
	s_mov_b64 s[6:7], 0
	v_mov_b32_e32 v19, 0
.LBB3658_64:                            ; =>This Loop Header: Depth=1
                                        ;     Child Loop BB3658_65 Depth 2
	s_max_u32 s9, s8, 1
.LBB3658_65:                            ;   Parent Loop BB3658_64 Depth=1
                                        ; =>  This Inner Loop Header: Depth=2
	s_add_i32 s9, s9, -1
	s_cmp_eq_u32 s9, 0
	s_sleep 1
	s_cbranch_scc0 .LBB3658_65
; %bb.66:                               ;   in Loop: Header=BB3658_64 Depth=1
	global_load_dword v18, v[16:17], off glc
	s_cmp_lt_u32 s8, 32
	s_cselect_b64 s[10:11], -1, 0
	s_cmp_lg_u64 s[10:11], 0
	s_addc_u32 s8, s8, 0
	s_waitcnt vmcnt(0)
	v_lshrrev_b32_e32 v39, 16, v18
	v_cmp_ne_u16_sdwa s[10:11], v39, v19 src0_sel:BYTE_0 src1_sel:DWORD
	s_or_b64 s[6:7], s[10:11], s[6:7]
	s_andn2_b64 exec, exec, s[6:7]
	s_cbranch_execnz .LBB3658_64
; %bb.67:
	s_or_b64 exec, exec, s[6:7]
.LBB3658_68:
	s_or_b64 exec, exec, s[4:5]
	v_and_b32_e32 v37, 63, v15
	v_cmp_ne_u32_e32 vcc, 63, v37
	v_mov_b32_e32 v36, 2
	v_addc_co_u32_e32 v38, vcc, 0, v15, vcc
	v_cmp_eq_u16_sdwa s[4:5], v39, v36 src0_sel:BYTE_0 src1_sel:DWORD
	v_lshlrev_b64 v[16:17], v15, -1
	v_and_b32_e32 v41, 0xffff, v18
	v_lshlrev_b32_e32 v38, 2, v38
	v_and_b32_e32 v19, s5, v17
	ds_bpermute_b32 v42, v38, v41
	v_or_b32_e32 v19, 0x80000000, v19
	v_and_b32_e32 v40, s4, v16
	v_ffbl_b32_e32 v19, v19
	v_add_u32_e32 v19, 32, v19
	v_ffbl_b32_e32 v40, v40
	v_cmp_gt_u32_e64 s[4:5], 62, v37
	v_min_u32_e32 v19, v40, v19
	v_cndmask_b32_e64 v40, 0, 1, s[4:5]
	s_waitcnt lgkmcnt(0)
	v_max_u16_e32 v42, v42, v18
	v_cmp_lt_u32_e32 vcc, v37, v19
	v_lshlrev_b32_e32 v40, 1, v40
	v_cndmask_b32_e32 v43, v41, v42, vcc
	v_add_lshl_u32 v40, v40, v15, 2
	ds_bpermute_b32 v44, v40, v43
	v_cmp_gt_u32_e64 s[6:7], 60, v37
	v_cndmask_b32_e32 v45, v18, v42, vcc
	v_add_u32_e32 v41, 2, v37
	v_cndmask_b32_e64 v42, 0, 1, s[6:7]
	s_waitcnt lgkmcnt(0)
	v_max_u16_e32 v44, v44, v45
	v_cmp_gt_u32_e64 s[4:5], v41, v19
	v_lshlrev_b32_e32 v42, 2, v42
	v_cndmask_b32_e64 v46, v44, v43, s[4:5]
	v_add_lshl_u32 v42, v42, v15, 2
	ds_bpermute_b32 v47, v42, v46
	v_cmp_gt_u32_e64 s[6:7], 56, v37
	v_cndmask_b32_e64 v48, v44, v45, s[4:5]
	v_add_u32_e32 v43, 4, v37
	v_cndmask_b32_e64 v44, 0, 1, s[6:7]
	s_waitcnt lgkmcnt(0)
	v_max_u16_e32 v51, v47, v48
	v_cmp_gt_u32_e64 s[4:5], v43, v19
	v_lshlrev_b32_e32 v44, 3, v44
	v_cndmask_b32_e64 v46, v51, v46, s[4:5]
	v_add_lshl_u32 v44, v44, v15, 2
	ds_bpermute_b32 v47, v44, v46
	v_cndmask_b32_e64 v49, v51, v48, s[4:5]
	v_add_u32_e32 v45, 8, v37
	v_cmp_gt_u32_e64 s[6:7], v45, v19
	v_cmp_gt_u32_e64 s[8:9], 48, v37
	s_waitcnt lgkmcnt(0)
	v_max_u16_e32 v52, v47, v49
	v_cndmask_b32_e64 v50, v52, v46, s[6:7]
	v_cndmask_b32_e64 v46, 0, 1, s[8:9]
	v_lshlrev_b32_e32 v46, 4, v46
	v_add_lshl_u32 v46, v46, v15, 2
	ds_bpermute_b32 v53, v46, v50
	v_cmp_gt_u32_e64 s[10:11], 32, v37
	v_cndmask_b32_e64 v54, v52, v49, s[6:7]
	v_add_u32_e32 v47, 16, v37
	v_cndmask_b32_e64 v49, 0, 1, s[10:11]
	s_waitcnt lgkmcnt(0)
	v_max_u16_e32 v53, v53, v54
	v_cmp_gt_u32_e64 s[8:9], v47, v19
	v_lshlrev_b32_e32 v49, 5, v49
	v_cndmask_b32_e64 v50, v53, v50, s[8:9]
	v_add_lshl_u32 v49, v49, v15, 2
	ds_bpermute_b32 v15, v49, v50
	v_cndmask_b32_e32 v18, v18, v48, vcc
	v_cndmask_b32_e64 v18, v51, v18, s[4:5]
	v_add_u32_e32 v50, 32, v37
	v_cndmask_b32_e64 v54, v53, v54, s[8:9]
	v_cndmask_b32_e64 v18, v52, v18, s[6:7]
	s_waitcnt lgkmcnt(0)
	v_max_u16_e32 v15, v15, v54
	v_cndmask_b32_e64 v18, v53, v18, s[8:9]
	v_cmp_gt_u32_e32 vcc, v50, v19
	v_cndmask_b32_e32 v18, v15, v18, vcc
	v_mov_b32_e32 v15, 0
	s_branch .LBB3658_70
.LBB3658_69:                            ;   in Loop: Header=BB3658_70 Depth=1
	s_or_b64 exec, exec, s[4:5]
	v_cmp_eq_u16_sdwa s[4:5], v39, v36 src0_sel:BYTE_0 src1_sel:DWORD
	v_and_b32_e32 v52, 0xffff, v51
	v_and_b32_e32 v18, s5, v17
	ds_bpermute_b32 v53, v38, v52
	v_or_b32_e32 v18, 0x80000000, v18
	v_and_b32_e32 v19, s4, v16
	v_ffbl_b32_e32 v18, v18
	v_add_u32_e32 v18, 32, v18
	v_ffbl_b32_e32 v19, v19
	v_min_u32_e32 v18, v19, v18
	s_waitcnt lgkmcnt(0)
	v_max_u16_e32 v19, v53, v51
	v_cmp_lt_u32_e32 vcc, v37, v18
	v_cndmask_b32_e32 v52, v52, v19, vcc
	ds_bpermute_b32 v53, v40, v52
	v_cndmask_b32_e32 v19, v51, v19, vcc
	v_cmp_gt_u32_e64 s[4:5], v41, v18
	v_cmp_gt_u32_e64 s[6:7], v45, v18
	v_subrev_u32_e32 v14, 64, v14
	s_waitcnt lgkmcnt(0)
	v_max_u16_e32 v53, v53, v19
	v_cndmask_b32_e64 v52, v53, v52, s[4:5]
	ds_bpermute_b32 v54, v42, v52
	v_cndmask_b32_e64 v19, v53, v19, s[4:5]
	v_cmp_gt_u32_e64 s[4:5], v43, v18
	s_waitcnt lgkmcnt(0)
	v_max_u16_e32 v53, v54, v19
	v_cndmask_b32_e64 v52, v53, v52, s[4:5]
	ds_bpermute_b32 v54, v44, v52
	v_cndmask_b32_e64 v55, v53, v19, s[4:5]
	v_cndmask_b32_e32 v19, v51, v19, vcc
	v_cmp_gt_u32_e32 vcc, v47, v18
	v_cndmask_b32_e64 v19, v53, v19, s[4:5]
	s_waitcnt lgkmcnt(0)
	v_max_u16_e32 v54, v54, v55
	v_cndmask_b32_e64 v52, v54, v52, s[6:7]
	ds_bpermute_b32 v56, v46, v52
	v_cndmask_b32_e64 v51, v54, v55, s[6:7]
	v_cndmask_b32_e64 v19, v54, v19, s[6:7]
	s_waitcnt lgkmcnt(0)
	v_max_u16_e32 v55, v56, v51
	v_cndmask_b32_e32 v52, v55, v52, vcc
	ds_bpermute_b32 v52, v49, v52
	v_cndmask_b32_e32 v51, v55, v51, vcc
	v_cndmask_b32_e32 v19, v55, v19, vcc
	v_cmp_gt_u32_e32 vcc, v50, v18
	s_waitcnt lgkmcnt(0)
	v_max_u16_e32 v51, v52, v51
	v_cndmask_b32_e32 v18, v51, v19, vcc
	v_max_u16_e32 v18, v18, v48
.LBB3658_70:                            ; =>This Loop Header: Depth=1
                                        ;     Child Loop BB3658_73 Depth 2
                                        ;       Child Loop BB3658_74 Depth 3
	v_cmp_ne_u16_sdwa s[4:5], v39, v36 src0_sel:BYTE_0 src1_sel:DWORD
	v_cndmask_b32_e64 v19, 0, 1, s[4:5]
	;;#ASMSTART
	;;#ASMEND
	v_cmp_ne_u32_e32 vcc, 0, v19
	s_cmp_lg_u64 vcc, exec
	v_mov_b32_e32 v48, v18
	s_cbranch_scc1 .LBB3658_77
; %bb.71:                               ;   in Loop: Header=BB3658_70 Depth=1
	v_lshlrev_b64 v[18:19], 2, v[14:15]
	v_mov_b32_e32 v39, s23
	v_add_co_u32_e32 v18, vcc, s22, v18
	v_addc_co_u32_e32 v19, vcc, v39, v19, vcc
	global_load_dword v51, v[18:19], off glc
	s_waitcnt vmcnt(0)
	v_lshrrev_b32_e32 v39, 16, v51
	v_cmp_eq_u16_sdwa s[6:7], v39, v15 src0_sel:BYTE_0 src1_sel:DWORD
	s_and_saveexec_b64 s[4:5], s[6:7]
	s_cbranch_execz .LBB3658_69
; %bb.72:                               ;   in Loop: Header=BB3658_70 Depth=1
	s_mov_b32 s8, 1
	s_mov_b64 s[6:7], 0
.LBB3658_73:                            ;   Parent Loop BB3658_70 Depth=1
                                        ; =>  This Loop Header: Depth=2
                                        ;       Child Loop BB3658_74 Depth 3
	s_max_u32 s9, s8, 1
.LBB3658_74:                            ;   Parent Loop BB3658_70 Depth=1
                                        ;     Parent Loop BB3658_73 Depth=2
                                        ; =>    This Inner Loop Header: Depth=3
	s_add_i32 s9, s9, -1
	s_cmp_eq_u32 s9, 0
	s_sleep 1
	s_cbranch_scc0 .LBB3658_74
; %bb.75:                               ;   in Loop: Header=BB3658_73 Depth=2
	global_load_dword v51, v[18:19], off glc
	s_cmp_lt_u32 s8, 32
	s_cselect_b64 s[10:11], -1, 0
	s_cmp_lg_u64 s[10:11], 0
	s_addc_u32 s8, s8, 0
	s_waitcnt vmcnt(0)
	v_lshrrev_b32_e32 v39, 16, v51
	v_cmp_ne_u16_sdwa s[10:11], v39, v15 src0_sel:BYTE_0 src1_sel:DWORD
	s_or_b64 s[6:7], s[10:11], s[6:7]
	s_andn2_b64 exec, exec, s[6:7]
	s_cbranch_execnz .LBB3658_73
; %bb.76:                               ;   in Loop: Header=BB3658_70 Depth=1
	s_or_b64 exec, exec, s[6:7]
	s_branch .LBB3658_69
.LBB3658_77:                            ;   in Loop: Header=BB3658_70 Depth=1
                                        ; implicit-def: $vgpr18
                                        ; implicit-def: $vgpr39
	s_cbranch_execz .LBB3658_70
; %bb.78:
	s_and_saveexec_b64 s[4:5], s[2:3]
	s_cbranch_execz .LBB3658_80
; %bb.79:
	s_add_i32 s2, s31, 64
	s_mov_b32 s3, 0
	s_lshl_b64 s[2:3], s[2:3], 2
	v_max_u16_e32 v14, v48, v35
	s_add_u32 s2, s22, s2
	v_or_b32_e32 v14, 0x20000, v14
	s_addc_u32 s3, s23, s3
	v_mov_b32_e32 v15, 0
	global_store_dword v15, v14, s[2:3]
.LBB3658_80:
	s_or_b64 exec, exec, s[4:5]
	s_and_b64 exec, exec, s[0:1]
	s_cbranch_execz .LBB3658_82
; %bb.81:
	v_mov_b32_e32 v14, 0
	ds_write_b16 v14, v48
.LBB3658_82:
	s_or_b64 exec, exec, s[24:25]
	v_mov_b32_e32 v14, 0
	s_waitcnt lgkmcnt(0)
	; wave barrier
	s_waitcnt lgkmcnt(0)
	ds_read_u16 v14, v14
	s_waitcnt lgkmcnt(0)
	v_max_u16_e32 v15, v14, v34
	v_cndmask_b32_e64 v15, v15, v14, s[0:1]
	v_max_u16_e32 v14, v15, v10
	v_max_u16_sdwa v16, v14, v10 dst_sel:DWORD dst_unused:UNUSED_PAD src0_sel:DWORD src1_sel:WORD_1
	v_max_u16_e32 v17, v16, v11
	v_max_u16_e32 v18, v17, v30
	;; [unrolled: 1-line block ×21, first 2 shown]
	s_branch .LBB3658_91
.LBB3658_83:
                                        ; implicit-def: $vgpr15
                                        ; implicit-def: $vgpr14
                                        ; implicit-def: $vgpr16
                                        ; implicit-def: $vgpr17
                                        ; implicit-def: $vgpr18
                                        ; implicit-def: $vgpr34
                                        ; implicit-def: $vgpr36
                                        ; implicit-def: $vgpr38
                                        ; implicit-def: $vgpr19
                                        ; implicit-def: $vgpr35
                                        ; implicit-def: $vgpr37
                                        ; implicit-def: $vgpr39
                                        ; implicit-def: $vgpr40
                                        ; implicit-def: $vgpr42
                                        ; implicit-def: $vgpr44
                                        ; implicit-def: $vgpr46
                                        ; implicit-def: $vgpr41
                                        ; implicit-def: $vgpr43
                                        ; implicit-def: $vgpr45
                                        ; implicit-def: $vgpr47
                                        ; implicit-def: $vgpr48
                                        ; implicit-def: $vgpr49
                                        ; implicit-def: $vgpr50
                                        ; implicit-def: $vgpr51
	s_cbranch_execz .LBB3658_91
; %bb.84:
	s_cmp_eq_u64 s[16:17], 0
	v_mov_b32_e32 v51, s28
	s_cbranch_scc1 .LBB3658_86
; %bb.85:
	v_mov_b32_e32 v14, 0
	global_load_ushort v16, v14, s[12:13]
	v_mov_b32_e32 v15, s30
	v_add_co_u32_e64 v14, vcc, -2, s29
	v_addc_co_u32_e32 v15, vcc, -1, v15, vcc
	flat_load_ushort v14, v[14:15]
	s_waitcnt vmcnt(0) lgkmcnt(0)
	v_max_u16_e32 v51, v16, v14
.LBB3658_86:
	v_max3_u16 v14, v33, v12, v29
	v_max3_u16 v14, v14, v13, v28
	;; [unrolled: 1-line block ×10, first 2 shown]
	v_mbcnt_hi_u32_b32 v14, -1, v32
	v_and_b32_e32 v17, 0xffff, v15
	v_and_b32_e32 v16, 15, v14
	v_cmp_eq_u32_e32 vcc, 0, v16
	v_mov_b32_dpp v17, v17 row_shr:1 row_mask:0xf bank_mask:0xf
	v_max_u16_e32 v17, v17, v15
	v_cndmask_b32_e32 v15, v17, v15, vcc
	v_and_b32_e32 v17, 0xffff, v15
	v_cmp_lt_u32_e32 vcc, 1, v16
	s_nop 0
	v_mov_b32_dpp v17, v17 row_shr:2 row_mask:0xf bank_mask:0xf
	v_max_u16_e32 v17, v17, v15
	v_cndmask_b32_e32 v15, v15, v17, vcc
	v_and_b32_e32 v17, 0xffff, v15
	v_cmp_lt_u32_e32 vcc, 3, v16
	s_nop 0
	;; [unrolled: 6-line block ×3, first 2 shown]
	v_mov_b32_dpp v17, v17 row_shr:8 row_mask:0xf bank_mask:0xf
	v_max_u16_e32 v17, v17, v15
	v_cndmask_b32_e32 v15, v15, v17, vcc
	v_and_b32_e32 v16, 0xffff, v15
	v_and_b32_e32 v17, 16, v14
	v_cmp_eq_u32_e32 vcc, 0, v17
	v_mov_b32_dpp v16, v16 row_bcast:15 row_mask:0xf bank_mask:0xf
	v_max_u16_e32 v16, v16, v15
	v_cndmask_b32_e32 v15, v16, v15, vcc
	v_and_b32_e32 v16, 0xffff, v15
	v_cmp_lt_u32_e32 vcc, 31, v14
	s_nop 0
	v_mov_b32_dpp v16, v16 row_bcast:31 row_mask:0xf bank_mask:0xf
	v_max_u16_e32 v16, v16, v15
	v_cndmask_b32_e32 v15, v15, v16, vcc
	v_cmp_eq_u32_e32 vcc, 63, v0
	s_and_saveexec_b64 s[2:3], vcc
	s_cbranch_execz .LBB3658_88
; %bb.87:
	v_mov_b32_e32 v16, 0
	ds_write_b16 v16, v15
.LBB3658_88:
	s_or_b64 exec, exec, s[2:3]
	v_add_u32_e32 v16, -1, v14
	v_and_b32_e32 v17, 64, v14
	v_cmp_lt_i32_e32 vcc, v16, v17
	v_cndmask_b32_e32 v16, v16, v14, vcc
	v_max_u16_e32 v15, v51, v15
	v_lshlrev_b32_e32 v16, 2, v16
	ds_bpermute_b32 v15, v16, v15
	v_cmp_eq_u32_e32 vcc, 0, v14
	s_or_b64 vcc, s[0:1], vcc
	s_waitcnt lgkmcnt(0)
	; wave barrier
	s_waitcnt lgkmcnt(0)
	v_cndmask_b32_e32 v15, v15, v51, vcc
	v_max_u16_e32 v14, v15, v10
	v_max_u16_sdwa v16, v14, v10 dst_sel:DWORD dst_unused:UNUSED_PAD src0_sel:DWORD src1_sel:WORD_1
	v_max_u16_e32 v17, v16, v11
	v_max_u16_e32 v18, v17, v30
	;; [unrolled: 1-line block ×20, first 2 shown]
	s_and_saveexec_b64 s[2:3], s[0:1]
	s_cbranch_execz .LBB3658_90
; %bb.89:
	v_mov_b32_e32 v1, 0
	ds_read_u16 v2, v1
	v_mov_b32_e32 v15, v51
	s_waitcnt lgkmcnt(0)
	v_max_u16_e32 v2, v51, v2
	v_or_b32_e32 v2, 0x20000, v2
	global_store_dword v1, v2, s[22:23] offset:256
.LBB3658_90:
	s_or_b64 exec, exec, s[2:3]
	v_max_u16_e32 v51, v50, v5
.LBB3658_91:
	s_mov_b32 s0, 0x5040100
	v_perm_b32 v5, v38, v36, s0
	v_perm_b32 v4, v34, v18, s0
	;; [unrolled: 1-line block ×4, first 2 shown]
	s_waitcnt lgkmcnt(0)
	; wave barrier
	ds_write_b128 v21, v[2:5]
	v_perm_b32 v5, v46, v44, s0
	v_perm_b32 v4, v42, v40, s0
	;; [unrolled: 1-line block ×4, first 2 shown]
	ds_write_b128 v21, v[2:5] offset:16
	v_perm_b32 v5, v51, v50, s0
	v_perm_b32 v4, v49, v48, s0
	;; [unrolled: 1-line block ×4, first 2 shown]
	s_mov_b64 s[0:1], -1
	s_and_b64 vcc, exec, s[20:21]
	ds_write_b128 v21, v[2:5] offset:32
	s_waitcnt lgkmcnt(0)
	s_cbranch_vccz .LBB3658_93
; %bb.92:
	; wave barrier
	s_mov_b64 s[0:1], 0
.LBB3658_93:
	s_andn2_b64 vcc, exec, s[0:1]
	s_cbranch_vccnz .LBB3658_102
; %bb.94:
	v_cmp_lt_u64_e64 s[0:1], s[18:19], 2
	s_and_b64 vcc, exec, s[0:1]
	; wave barrier
	s_cbranch_vccnz .LBB3658_102
; %bb.95:
	s_add_u32 s0, s26, -1
	s_addc_u32 s1, s27, -1
	s_add_u32 s2, 0, 0xaaaa0000
	s_addc_u32 s3, 0, 42
	s_add_i32 s3, s3, 0xaaaaa80
	s_mul_hi_u32 s7, s2, 0xffffffe8
	s_sub_i32 s7, s7, s2
	s_mul_i32 s8, s3, 0xffffffe8
	s_mul_i32 s4, s2, 0xffffffe8
	s_add_i32 s7, s7, s8
	s_mul_hi_u32 s5, s3, s4
	s_mul_i32 s6, s3, s4
	s_mul_i32 s9, s2, s7
	s_mul_hi_u32 s4, s2, s4
	s_mul_hi_u32 s8, s2, s7
	s_add_u32 s4, s4, s9
	s_addc_u32 s8, 0, s8
	s_add_u32 s4, s4, s6
	s_mul_hi_u32 s9, s3, s7
	s_addc_u32 s4, s8, s5
	s_addc_u32 s5, s9, 0
	s_mul_i32 s6, s3, s7
	s_add_u32 s4, s4, s6
	v_mov_b32_e32 v2, s4
	s_addc_u32 s5, 0, s5
	v_add_co_u32_e32 v2, vcc, s2, v2
	s_cmp_lg_u64 vcc, 0
	s_addc_u32 s2, s3, s5
	v_readfirstlane_b32 s5, v2
	s_mul_i32 s4, s0, s2
	s_mul_hi_u32 s6, s0, s5
	s_mul_hi_u32 s3, s0, s2
	s_add_u32 s4, s6, s4
	s_addc_u32 s3, 0, s3
	s_mul_hi_u32 s7, s1, s5
	s_mul_i32 s5, s1, s5
	s_add_u32 s4, s4, s5
	s_mul_hi_u32 s6, s1, s2
	s_addc_u32 s3, s3, s7
	s_addc_u32 s4, s6, 0
	s_mul_i32 s2, s1, s2
	s_add_u32 s2, s3, s2
	s_addc_u32 s3, 0, s4
	s_add_u32 s4, s2, 1
	s_addc_u32 s5, s3, 0
	s_add_u32 s6, s2, 2
	s_mul_i32 s8, s3, 24
	s_mul_hi_u32 s9, s2, 24
	s_addc_u32 s7, s3, 0
	s_add_i32 s9, s9, s8
	s_mul_i32 s8, s2, 24
	v_mov_b32_e32 v2, s8
	v_sub_co_u32_e32 v2, vcc, s0, v2
	s_cmp_lg_u64 vcc, 0
	s_subb_u32 s8, s1, s9
	v_subrev_co_u32_e32 v3, vcc, 24, v2
	s_cmp_lg_u64 vcc, 0
	s_subb_u32 s9, s8, 0
	v_readfirstlane_b32 s10, v3
	s_cmp_gt_u32 s10, 23
	s_cselect_b32 s10, -1, 0
	s_cmp_eq_u32 s9, 0
	s_cselect_b32 s9, s10, -1
	s_cmp_lg_u32 s9, 0
	s_cselect_b32 s4, s6, s4
	v_readfirstlane_b32 s6, v2
	s_cselect_b32 s5, s7, s5
	s_cmp_gt_u32 s6, 23
	s_cselect_b32 s6, -1, 0
	s_cmp_eq_u32 s8, 0
	s_cselect_b32 s6, s6, -1
	s_cmp_lg_u32 s6, 0
	v_mov_b32_e32 v1, 0
	s_cselect_b32 s3, s5, s3
	s_cselect_b32 s2, s4, s2
	v_cmp_eq_u64_e32 vcc, s[2:3], v[0:1]
	s_and_saveexec_b64 s[2:3], vcc
	s_cbranch_execz .LBB3658_102
; %bb.96:
	s_movk_i32 s2, 0xffd2
	v_mad_i32_i24 v2, v0, s2, v21
	v_mul_hi_u32_u24_e32 v1, 24, v0
	v_mov_b32_e32 v3, s1
	v_sub_co_u32_e32 v0, vcc, s0, v20
	v_subb_co_u32_e32 v1, vcc, v3, v1, vcc
	v_cmp_lt_i64_e32 vcc, 11, v[0:1]
	s_mov_b64 s[0:1], 0
	s_mov_b64 s[8:9], 0
	;; [unrolled: 1-line block ×4, first 2 shown]
                                        ; implicit-def: $vgpr3
                                        ; implicit-def: $vgpr4
                                        ; implicit-def: $vgpr5
	s_and_saveexec_b64 s[2:3], vcc
	s_xor_b64 s[2:3], exec, s[2:3]
	s_cbranch_execnz .LBB3658_103
; %bb.97:
	s_andn2_saveexec_b64 s[2:3], s[2:3]
	s_cbranch_execnz .LBB3658_148
.LBB3658_98:
	s_or_b64 exec, exec, s[2:3]
	s_and_saveexec_b64 s[2:3], s[8:9]
	s_cbranch_execnz .LBB3658_165
.LBB3658_99:
	s_or_b64 exec, exec, s[2:3]
	s_and_saveexec_b64 s[2:3], s[6:7]
	s_cbranch_execnz .LBB3658_166
.LBB3658_100:
	s_or_b64 exec, exec, s[2:3]
	s_and_saveexec_b64 s[2:3], s[4:5]
	s_xor_b64 s[2:3], exec, s[2:3]
	s_cbranch_execnz .LBB3658_167
.LBB3658_101:
	s_or_b64 exec, exec, s[2:3]
	s_and_b64 exec, exec, s[0:1]
	s_cbranch_execnz .LBB3658_168
.LBB3658_102:
	s_endpgm
.LBB3658_103:
	v_cmp_lt_i64_e32 vcc, 17, v[0:1]
                                        ; implicit-def: $vgpr3
                                        ; implicit-def: $vgpr4
                                        ; implicit-def: $vgpr5
	s_and_saveexec_b64 s[10:11], vcc
	s_xor_b64 s[10:11], exec, s[10:11]
	s_cbranch_execz .LBB3658_125
; %bb.104:
	v_cmp_lt_i64_e32 vcc, 20, v[0:1]
                                        ; implicit-def: $vgpr3
                                        ; implicit-def: $vgpr4
	s_and_saveexec_b64 s[12:13], vcc
	s_xor_b64 s[12:13], exec, s[12:13]
	s_cbranch_execz .LBB3658_114
; %bb.105:
	v_cmp_lt_i64_e32 vcc, 21, v[0:1]
	s_mov_b64 s[16:17], 0
                                        ; implicit-def: $vgpr3
	s_and_saveexec_b64 s[4:5], vcc
	s_xor_b64 s[4:5], exec, s[4:5]
	s_cbranch_execz .LBB3658_111
; %bb.106:
	v_cmp_lt_i64_e32 vcc, 22, v[0:1]
	s_and_saveexec_b64 s[16:17], vcc
	s_xor_b64 s[16:17], exec, s[16:17]
	s_cbranch_execz .LBB3658_108
; %bb.107:
	ds_read_u16 v3, v2 offset:2944
	v_mov_b32_e32 v4, 0
	s_waitcnt lgkmcnt(0)
	global_store_short v4, v3, s[14:15]
.LBB3658_108:
	s_or_saveexec_b64 s[16:17], s[16:17]
	s_mov_b64 s[18:19], 0
                                        ; implicit-def: $vgpr3
	s_xor_b64 exec, exec, s[16:17]
	s_cbranch_execz .LBB3658_110
; %bb.109:
	ds_read_u16 v3, v2 offset:2816
	s_mov_b64 s[18:19], exec
.LBB3658_110:
	s_or_b64 exec, exec, s[16:17]
	s_and_b64 s[16:17], s[18:19], exec
.LBB3658_111:
	s_or_saveexec_b64 s[4:5], s[4:5]
                                        ; implicit-def: $vgpr4
	s_xor_b64 exec, exec, s[4:5]
	s_cbranch_execz .LBB3658_113
; %bb.112:
	ds_read_u16 v4, v2 offset:2688
	s_mov_b64 s[6:7], exec
                                        ; implicit-def: $vgpr3
.LBB3658_113:
	s_or_b64 exec, exec, s[4:5]
	s_and_b64 s[4:5], s[16:17], exec
	s_and_b64 s[6:7], s[6:7], exec
.LBB3658_114:
	s_or_saveexec_b64 s[12:13], s[12:13]
                                        ; implicit-def: $vgpr5
	s_xor_b64 exec, exec, s[12:13]
	s_cbranch_execz .LBB3658_124
; %bb.115:
	v_cmp_lt_i64_e32 vcc, 18, v[0:1]
	s_mov_b64 s[16:17], 0
                                        ; implicit-def: $vgpr5
	s_and_saveexec_b64 s[8:9], vcc
	s_xor_b64 s[8:9], exec, s[8:9]
	s_cbranch_execz .LBB3658_121
; %bb.116:
	v_cmp_lt_i64_e32 vcc, 19, v[0:1]
                                        ; implicit-def: $vgpr5
	s_and_saveexec_b64 s[18:19], vcc
	s_xor_b64 s[18:19], exec, s[18:19]
	s_cbranch_execz .LBB3658_118
; %bb.117:
	ds_read_u16 v5, v2 offset:2560
	s_mov_b64 s[16:17], exec
.LBB3658_118:
	s_andn2_saveexec_b64 s[18:19], s[18:19]
	s_cbranch_execz .LBB3658_120
; %bb.119:
	s_waitcnt lgkmcnt(0)
	ds_read_u16 v3, v2 offset:2432
	v_mov_b32_e32 v4, 0
                                        ; implicit-def: $vgpr5
	s_waitcnt lgkmcnt(0)
	global_store_short v4, v3, s[14:15]
.LBB3658_120:
	s_or_b64 exec, exec, s[18:19]
	s_and_b64 s[16:17], s[16:17], exec
.LBB3658_121:
	s_andn2_saveexec_b64 s[8:9], s[8:9]
	s_cbranch_execz .LBB3658_123
; %bb.122:
	s_waitcnt lgkmcnt(0)
	ds_read_u16 v3, v2 offset:2304
	v_mov_b32_e32 v4, 0
                                        ; implicit-def: $vgpr5
	s_waitcnt lgkmcnt(0)
	global_store_short v4, v3, s[14:15]
.LBB3658_123:
	s_or_b64 exec, exec, s[8:9]
	s_and_b64 s[8:9], s[16:17], exec
                                        ; implicit-def: $vgpr3
                                        ; implicit-def: $vgpr4
.LBB3658_124:
	s_or_b64 exec, exec, s[12:13]
	s_and_b64 s[4:5], s[4:5], exec
	s_and_b64 s[6:7], s[6:7], exec
	;; [unrolled: 1-line block ×3, first 2 shown]
.LBB3658_125:
	s_andn2_saveexec_b64 s[10:11], s[10:11]
	s_cbranch_execz .LBB3658_147
; %bb.126:
	v_cmp_lt_i64_e32 vcc, 14, v[0:1]
	s_mov_b64 s[12:13], s[4:5]
                                        ; implicit-def: $vgpr3
	s_and_saveexec_b64 s[16:17], vcc
	s_xor_b64 s[16:17], exec, s[16:17]
	s_cbranch_execz .LBB3658_136
; %bb.127:
	v_cmp_lt_i64_e32 vcc, 15, v[0:1]
	s_and_saveexec_b64 s[12:13], vcc
	s_xor_b64 s[12:13], exec, s[12:13]
	s_cbranch_execz .LBB3658_133
; %bb.128:
	v_cmp_lt_i64_e32 vcc, 16, v[0:1]
	s_and_saveexec_b64 s[18:19], vcc
	s_xor_b64 s[18:19], exec, s[18:19]
	s_cbranch_execz .LBB3658_130
; %bb.129:
	s_waitcnt lgkmcnt(0)
	ds_read_u16 v3, v2 offset:2176
	v_mov_b32_e32 v4, 0
	s_waitcnt lgkmcnt(0)
	global_store_short v4, v3, s[14:15]
.LBB3658_130:
	s_andn2_saveexec_b64 s[18:19], s[18:19]
	s_cbranch_execz .LBB3658_132
; %bb.131:
	s_waitcnt lgkmcnt(0)
	ds_read_u16 v3, v2 offset:2048
	v_mov_b32_e32 v4, 0
	s_waitcnt lgkmcnt(0)
	global_store_short v4, v3, s[14:15]
.LBB3658_132:
	s_or_b64 exec, exec, s[18:19]
.LBB3658_133:
	s_or_saveexec_b64 s[12:13], s[12:13]
	s_mov_b64 s[18:19], s[4:5]
                                        ; implicit-def: $vgpr3
	s_xor_b64 exec, exec, s[12:13]
	s_cbranch_execz .LBB3658_135
; %bb.134:
	s_waitcnt lgkmcnt(0)
	ds_read_u16 v3, v2 offset:1920
	s_or_b64 s[18:19], s[4:5], exec
.LBB3658_135:
	s_or_b64 exec, exec, s[12:13]
	s_andn2_b64 s[12:13], s[4:5], exec
	s_and_b64 s[18:19], s[18:19], exec
	s_or_b64 s[12:13], s[12:13], s[18:19]
.LBB3658_136:
	s_or_saveexec_b64 s[16:17], s[16:17]
	s_mov_b64 s[18:19], s[6:7]
                                        ; implicit-def: $vgpr4
	s_xor_b64 exec, exec, s[16:17]
	s_cbranch_execz .LBB3658_146
; %bb.137:
	v_cmp_lt_i64_e32 vcc, 12, v[0:1]
	s_mov_b64 s[20:21], s[6:7]
	s_mov_b64 s[22:23], s[12:13]
                                        ; implicit-def: $vgpr3
                                        ; implicit-def: $vgpr4
	s_and_saveexec_b64 s[18:19], vcc
	s_xor_b64 s[18:19], exec, s[18:19]
	s_cbranch_execz .LBB3658_143
; %bb.138:
	v_cmp_lt_i64_e32 vcc, 13, v[0:1]
	s_mov_b64 s[20:21], s[12:13]
                                        ; implicit-def: $vgpr3
	s_and_saveexec_b64 s[22:23], vcc
	s_xor_b64 s[22:23], exec, s[22:23]
	s_cbranch_execz .LBB3658_140
; %bb.139:
	s_waitcnt lgkmcnt(0)
	ds_read_u16 v3, v2 offset:1792
	s_or_b64 s[20:21], s[12:13], exec
.LBB3658_140:
	s_or_saveexec_b64 s[22:23], s[22:23]
	s_mov_b64 s[24:25], s[6:7]
                                        ; implicit-def: $vgpr4
	s_xor_b64 exec, exec, s[22:23]
	s_cbranch_execz .LBB3658_142
; %bb.141:
	s_waitcnt lgkmcnt(0)
	ds_read_u16 v4, v2 offset:1664
	s_or_b64 s[24:25], s[6:7], exec
                                        ; implicit-def: $vgpr3
.LBB3658_142:
	s_or_b64 exec, exec, s[22:23]
	s_andn2_b64 s[22:23], s[12:13], exec
	s_and_b64 s[20:21], s[20:21], exec
	s_or_b64 s[22:23], s[22:23], s[20:21]
	s_andn2_b64 s[20:21], s[6:7], exec
	s_and_b64 s[24:25], s[24:25], exec
	s_or_b64 s[20:21], s[20:21], s[24:25]
.LBB3658_143:
	s_andn2_saveexec_b64 s[18:19], s[18:19]
	s_cbranch_execz .LBB3658_145
; %bb.144:
	s_waitcnt lgkmcnt(0)
	ds_read_u16 v4, v2 offset:1536
	s_or_b64 s[20:21], s[20:21], exec
                                        ; implicit-def: $vgpr3
.LBB3658_145:
	s_or_b64 exec, exec, s[18:19]
	s_andn2_b64 s[12:13], s[12:13], exec
	s_and_b64 s[18:19], s[22:23], exec
	s_or_b64 s[12:13], s[12:13], s[18:19]
	s_andn2_b64 s[18:19], s[6:7], exec
	s_and_b64 s[20:21], s[20:21], exec
	s_or_b64 s[18:19], s[18:19], s[20:21]
.LBB3658_146:
	s_or_b64 exec, exec, s[16:17]
	s_andn2_b64 s[4:5], s[4:5], exec
	s_and_b64 s[12:13], s[12:13], exec
	s_or_b64 s[4:5], s[4:5], s[12:13]
	s_andn2_b64 s[6:7], s[6:7], exec
	s_and_b64 s[12:13], s[18:19], exec
	s_or_b64 s[6:7], s[6:7], s[12:13]
                                        ; implicit-def: $vgpr5
.LBB3658_147:
	s_or_b64 exec, exec, s[10:11]
	s_and_b64 s[4:5], s[4:5], exec
	s_and_b64 s[6:7], s[6:7], exec
	;; [unrolled: 1-line block ×3, first 2 shown]
	s_andn2_saveexec_b64 s[2:3], s[2:3]
	s_cbranch_execz .LBB3658_98
.LBB3658_148:
	v_cmp_lt_i64_e32 vcc, 5, v[0:1]
	s_mov_b64 s[12:13], -1
	s_mov_b64 s[10:11], s[8:9]
	s_mov_b64 s[16:17], s[6:7]
	;; [unrolled: 1-line block ×3, first 2 shown]
                                        ; implicit-def: $vgpr3
                                        ; implicit-def: $vgpr4
                                        ; implicit-def: $vgpr5
	s_and_saveexec_b64 s[0:1], vcc
	s_cbranch_execz .LBB3658_164
; %bb.149:
	v_cmp_lt_i64_e32 vcc, 8, v[0:1]
	s_mov_b64 s[10:11], s[8:9]
                                        ; implicit-def: $vgpr5
	s_and_saveexec_b64 s[12:13], vcc
	s_xor_b64 s[12:13], exec, s[12:13]
	s_cbranch_execz .LBB3658_159
; %bb.150:
	v_cmp_lt_i64_e32 vcc, 9, v[0:1]
                                        ; implicit-def: $vgpr5
	s_and_saveexec_b64 s[10:11], vcc
	s_xor_b64 s[10:11], exec, s[10:11]
	s_cbranch_execz .LBB3658_156
; %bb.151:
	v_cmp_lt_i64_e32 vcc, 10, v[0:1]
                                        ; implicit-def: $vgpr5
	s_and_saveexec_b64 s[16:17], vcc
	s_xor_b64 s[16:17], exec, s[16:17]
	s_cbranch_execz .LBB3658_153
; %bb.152:
	s_waitcnt lgkmcnt(0)
	ds_read_u16 v5, v2 offset:1408
.LBB3658_153:
	s_andn2_saveexec_b64 s[16:17], s[16:17]
	s_cbranch_execz .LBB3658_155
; %bb.154:
	s_waitcnt lgkmcnt(0)
	ds_read_u16 v5, v2 offset:1280
.LBB3658_155:
	s_or_b64 exec, exec, s[16:17]
.LBB3658_156:
	s_andn2_saveexec_b64 s[10:11], s[10:11]
	s_cbranch_execz .LBB3658_158
; %bb.157:
	s_waitcnt lgkmcnt(0)
	ds_read_u16 v5, v2 offset:1152
.LBB3658_158:
	s_or_b64 exec, exec, s[10:11]
	s_or_b64 s[10:11], s[8:9], exec
.LBB3658_159:
	s_or_saveexec_b64 s[12:13], s[12:13]
	s_mov_b64 s[16:17], s[6:7]
	s_mov_b64 s[20:21], s[4:5]
                                        ; implicit-def: $vgpr3
                                        ; implicit-def: $vgpr4
	s_xor_b64 exec, exec, s[12:13]
	s_cbranch_execz .LBB3658_163
; %bb.160:
	s_waitcnt lgkmcnt(0)
	ds_read_u16 v3, v2 offset:768
	v_cmp_lt_i64_e32 vcc, 6, v[0:1]
	s_mov_b64 s[20:21], -1
	s_mov_b64 s[18:19], s[10:11]
	s_mov_b64 s[16:17], s[6:7]
                                        ; implicit-def: $vgpr4
                                        ; implicit-def: $vgpr5
	s_and_saveexec_b64 s[22:23], vcc
	s_cbranch_execz .LBB3658_162
; %bb.161:
	ds_read_u16 v4, v2 offset:896
	ds_read_u16 v5, v2 offset:1024
	v_cmp_lt_i64_e32 vcc, 7, v[0:1]
	s_andn2_b64 s[18:19], s[10:11], exec
	s_and_b64 s[24:25], vcc, exec
	s_xor_b64 s[20:21], exec, -1
	s_or_b64 s[16:17], s[6:7], exec
	s_or_b64 s[18:19], s[18:19], s[24:25]
                                        ; implicit-def: $vgpr3
.LBB3658_162:
	s_or_b64 exec, exec, s[22:23]
	s_andn2_b64 s[22:23], s[4:5], exec
	s_and_b64 s[20:21], s[20:21], exec
	s_or_b64 s[20:21], s[22:23], s[20:21]
	s_andn2_b64 s[22:23], s[6:7], exec
	s_and_b64 s[16:17], s[16:17], exec
	s_andn2_b64 s[10:11], s[10:11], exec
	s_and_b64 s[18:19], s[18:19], exec
	s_or_b64 s[16:17], s[22:23], s[16:17]
	s_or_b64 s[10:11], s[10:11], s[18:19]
.LBB3658_163:
	s_or_b64 exec, exec, s[12:13]
	s_andn2_b64 s[18:19], s[4:5], exec
	s_and_b64 s[20:21], s[20:21], exec
	s_or_b64 s[18:19], s[18:19], s[20:21]
	s_andn2_b64 s[20:21], s[6:7], exec
	s_and_b64 s[16:17], s[16:17], exec
	s_or_b64 s[16:17], s[20:21], s[16:17]
	s_andn2_b64 s[20:21], s[8:9], exec
	s_and_b64 s[10:11], s[10:11], exec
	s_xor_b64 s[12:13], exec, -1
	s_or_b64 s[10:11], s[20:21], s[10:11]
.LBB3658_164:
	s_or_b64 exec, exec, s[0:1]
	s_and_b64 s[0:1], s[12:13], exec
	s_andn2_b64 s[4:5], s[4:5], exec
	s_and_b64 s[12:13], s[18:19], exec
	s_or_b64 s[4:5], s[4:5], s[12:13]
	s_andn2_b64 s[6:7], s[6:7], exec
	s_and_b64 s[12:13], s[16:17], exec
	s_andn2_b64 s[8:9], s[8:9], exec
	s_and_b64 s[10:11], s[10:11], exec
	s_or_b64 s[6:7], s[6:7], s[12:13]
	s_or_b64 s[8:9], s[8:9], s[10:11]
	s_or_b64 exec, exec, s[2:3]
	s_and_saveexec_b64 s[2:3], s[8:9]
	s_cbranch_execz .LBB3658_99
.LBB3658_165:
	s_waitcnt lgkmcnt(0)
	v_mov_b32_e32 v3, 0
	s_andn2_b64 s[6:7], s[6:7], exec
	global_store_short v3, v5, s[14:15]
                                        ; implicit-def: $vgpr3
                                        ; implicit-def: $vgpr4
	s_or_b64 exec, exec, s[2:3]
	s_and_saveexec_b64 s[2:3], s[6:7]
	s_cbranch_execz .LBB3658_100
.LBB3658_166:
	s_waitcnt lgkmcnt(0)
	v_mov_b32_e32 v3, 0
	global_store_short v3, v4, s[14:15]
                                        ; implicit-def: $vgpr3
	s_or_b64 exec, exec, s[2:3]
	s_and_saveexec_b64 s[2:3], s[4:5]
	s_xor_b64 s[2:3], exec, s[2:3]
	s_cbranch_execz .LBB3658_101
.LBB3658_167:
	s_waitcnt lgkmcnt(0)
	v_mov_b32_e32 v4, 0
	global_store_short v4, v3, s[14:15]
	s_or_b64 exec, exec, s[2:3]
	s_and_b64 exec, exec, s[0:1]
	s_cbranch_execz .LBB3658_102
.LBB3658_168:
	v_cmp_lt_i64_e32 vcc, 2, v[0:1]
	s_and_saveexec_b64 s[0:1], vcc
	s_xor_b64 s[0:1], exec, s[0:1]
	s_cbranch_execz .LBB3658_178
; %bb.169:
	v_cmp_lt_i64_e32 vcc, 3, v[0:1]
	s_and_saveexec_b64 s[2:3], vcc
	s_xor_b64 s[2:3], exec, s[2:3]
	s_cbranch_execz .LBB3658_175
; %bb.170:
	;; [unrolled: 5-line block ×3, first 2 shown]
	ds_read_u16 v0, v2 offset:640
	v_mov_b32_e32 v1, 0
                                        ; implicit-def: $vgpr2
	s_waitcnt lgkmcnt(0)
	global_store_short v1, v0, s[14:15]
.LBB3658_172:
	s_andn2_saveexec_b64 s[4:5], s[4:5]
	s_cbranch_execz .LBB3658_174
; %bb.173:
	ds_read_u16 v0, v2 offset:512
	v_mov_b32_e32 v1, 0
	s_waitcnt lgkmcnt(0)
	global_store_short v1, v0, s[14:15]
.LBB3658_174:
	s_or_b64 exec, exec, s[4:5]
                                        ; implicit-def: $vgpr2
.LBB3658_175:
	s_andn2_saveexec_b64 s[2:3], s[2:3]
	s_cbranch_execz .LBB3658_177
; %bb.176:
	ds_read_u16 v0, v2 offset:384
	v_mov_b32_e32 v1, 0
	s_waitcnt lgkmcnt(0)
	global_store_short v1, v0, s[14:15]
.LBB3658_177:
	s_or_b64 exec, exec, s[2:3]
                                        ; implicit-def: $vgpr0_vgpr1
                                        ; implicit-def: $vgpr2
.LBB3658_178:
	s_andn2_saveexec_b64 s[0:1], s[0:1]
	s_cbranch_execz .LBB3658_102
; %bb.179:
	v_cmp_lt_i64_e32 vcc, 1, v[0:1]
	s_and_saveexec_b64 s[0:1], vcc
	s_xor_b64 s[0:1], exec, s[0:1]
	s_cbranch_execz .LBB3658_181
; %bb.180:
	ds_read_u16 v0, v2 offset:256
	v_mov_b32_e32 v1, 0
                                        ; implicit-def: $vgpr2
	s_waitcnt lgkmcnt(0)
	global_store_short v1, v0, s[14:15]
                                        ; implicit-def: $vgpr0_vgpr1
.LBB3658_181:
	s_andn2_saveexec_b64 s[0:1], s[0:1]
	s_cbranch_execz .LBB3658_102
; %bb.182:
	v_cmp_ne_u64_e32 vcc, 1, v[0:1]
	s_and_saveexec_b64 s[0:1], vcc
	s_xor_b64 s[0:1], exec, s[0:1]
	s_cbranch_execz .LBB3658_184
; %bb.183:
	ds_read_u16 v0, v2
	v_mov_b32_e32 v1, 0
                                        ; implicit-def: $vgpr2
	s_waitcnt lgkmcnt(0)
	global_store_short v1, v0, s[14:15]
.LBB3658_184:
	s_andn2_saveexec_b64 s[0:1], s[0:1]
	s_cbranch_execz .LBB3658_102
; %bb.185:
	ds_read_u16 v0, v2 offset:128
	v_mov_b32_e32 v1, 0
	s_waitcnt lgkmcnt(0)
	global_store_short v1, v0, s[14:15]
	s_endpgm
	.section	.rodata,"a",@progbits
	.p2align	6, 0x0
	.amdhsa_kernel _ZN7rocprim17ROCPRIM_400000_NS6detail17trampoline_kernelINS0_14default_configENS1_20scan_config_selectorItEEZZNS1_9scan_implILNS1_25lookback_scan_determinismE0ELb1ELb1ES3_N6thrust23THRUST_200600_302600_NS6detail15normal_iteratorINS9_10device_ptrItEEEENS9_16discard_iteratorINS9_11use_defaultEEEt11max_functorItEtEEDaPvRmT3_T4_T5_mT6_P12ihipStream_tbENKUlT_T0_E_clISt17integral_constantIbLb1EESX_EEDaSS_ST_EUlSS_E_NS1_11comp_targetILNS1_3genE4ELNS1_11target_archE910ELNS1_3gpuE8ELNS1_3repE0EEENS1_30default_config_static_selectorELNS0_4arch9wavefront6targetE1EEEvT1_
		.amdhsa_group_segment_fixed_size 3072
		.amdhsa_private_segment_fixed_size 0
		.amdhsa_kernarg_size 104
		.amdhsa_user_sgpr_count 6
		.amdhsa_user_sgpr_private_segment_buffer 1
		.amdhsa_user_sgpr_dispatch_ptr 0
		.amdhsa_user_sgpr_queue_ptr 0
		.amdhsa_user_sgpr_kernarg_segment_ptr 1
		.amdhsa_user_sgpr_dispatch_id 0
		.amdhsa_user_sgpr_flat_scratch_init 0
		.amdhsa_user_sgpr_kernarg_preload_length 0
		.amdhsa_user_sgpr_kernarg_preload_offset 0
		.amdhsa_user_sgpr_private_segment_size 0
		.amdhsa_uses_dynamic_stack 0
		.amdhsa_system_sgpr_private_segment_wavefront_offset 0
		.amdhsa_system_sgpr_workgroup_id_x 1
		.amdhsa_system_sgpr_workgroup_id_y 0
		.amdhsa_system_sgpr_workgroup_id_z 0
		.amdhsa_system_sgpr_workgroup_info 0
		.amdhsa_system_vgpr_workitem_id 0
		.amdhsa_next_free_vgpr 57
		.amdhsa_next_free_sgpr 32
		.amdhsa_accum_offset 60
		.amdhsa_reserve_vcc 1
		.amdhsa_reserve_flat_scratch 0
		.amdhsa_float_round_mode_32 0
		.amdhsa_float_round_mode_16_64 0
		.amdhsa_float_denorm_mode_32 3
		.amdhsa_float_denorm_mode_16_64 3
		.amdhsa_dx10_clamp 1
		.amdhsa_ieee_mode 1
		.amdhsa_fp16_overflow 0
		.amdhsa_tg_split 0
		.amdhsa_exception_fp_ieee_invalid_op 0
		.amdhsa_exception_fp_denorm_src 0
		.amdhsa_exception_fp_ieee_div_zero 0
		.amdhsa_exception_fp_ieee_overflow 0
		.amdhsa_exception_fp_ieee_underflow 0
		.amdhsa_exception_fp_ieee_inexact 0
		.amdhsa_exception_int_div_zero 0
	.end_amdhsa_kernel
	.section	.text._ZN7rocprim17ROCPRIM_400000_NS6detail17trampoline_kernelINS0_14default_configENS1_20scan_config_selectorItEEZZNS1_9scan_implILNS1_25lookback_scan_determinismE0ELb1ELb1ES3_N6thrust23THRUST_200600_302600_NS6detail15normal_iteratorINS9_10device_ptrItEEEENS9_16discard_iteratorINS9_11use_defaultEEEt11max_functorItEtEEDaPvRmT3_T4_T5_mT6_P12ihipStream_tbENKUlT_T0_E_clISt17integral_constantIbLb1EESX_EEDaSS_ST_EUlSS_E_NS1_11comp_targetILNS1_3genE4ELNS1_11target_archE910ELNS1_3gpuE8ELNS1_3repE0EEENS1_30default_config_static_selectorELNS0_4arch9wavefront6targetE1EEEvT1_,"axG",@progbits,_ZN7rocprim17ROCPRIM_400000_NS6detail17trampoline_kernelINS0_14default_configENS1_20scan_config_selectorItEEZZNS1_9scan_implILNS1_25lookback_scan_determinismE0ELb1ELb1ES3_N6thrust23THRUST_200600_302600_NS6detail15normal_iteratorINS9_10device_ptrItEEEENS9_16discard_iteratorINS9_11use_defaultEEEt11max_functorItEtEEDaPvRmT3_T4_T5_mT6_P12ihipStream_tbENKUlT_T0_E_clISt17integral_constantIbLb1EESX_EEDaSS_ST_EUlSS_E_NS1_11comp_targetILNS1_3genE4ELNS1_11target_archE910ELNS1_3gpuE8ELNS1_3repE0EEENS1_30default_config_static_selectorELNS0_4arch9wavefront6targetE1EEEvT1_,comdat
.Lfunc_end3658:
	.size	_ZN7rocprim17ROCPRIM_400000_NS6detail17trampoline_kernelINS0_14default_configENS1_20scan_config_selectorItEEZZNS1_9scan_implILNS1_25lookback_scan_determinismE0ELb1ELb1ES3_N6thrust23THRUST_200600_302600_NS6detail15normal_iteratorINS9_10device_ptrItEEEENS9_16discard_iteratorINS9_11use_defaultEEEt11max_functorItEtEEDaPvRmT3_T4_T5_mT6_P12ihipStream_tbENKUlT_T0_E_clISt17integral_constantIbLb1EESX_EEDaSS_ST_EUlSS_E_NS1_11comp_targetILNS1_3genE4ELNS1_11target_archE910ELNS1_3gpuE8ELNS1_3repE0EEENS1_30default_config_static_selectorELNS0_4arch9wavefront6targetE1EEEvT1_, .Lfunc_end3658-_ZN7rocprim17ROCPRIM_400000_NS6detail17trampoline_kernelINS0_14default_configENS1_20scan_config_selectorItEEZZNS1_9scan_implILNS1_25lookback_scan_determinismE0ELb1ELb1ES3_N6thrust23THRUST_200600_302600_NS6detail15normal_iteratorINS9_10device_ptrItEEEENS9_16discard_iteratorINS9_11use_defaultEEEt11max_functorItEtEEDaPvRmT3_T4_T5_mT6_P12ihipStream_tbENKUlT_T0_E_clISt17integral_constantIbLb1EESX_EEDaSS_ST_EUlSS_E_NS1_11comp_targetILNS1_3genE4ELNS1_11target_archE910ELNS1_3gpuE8ELNS1_3repE0EEENS1_30default_config_static_selectorELNS0_4arch9wavefront6targetE1EEEvT1_
                                        ; -- End function
	.section	.AMDGPU.csdata,"",@progbits
; Kernel info:
; codeLenInByte = 6564
; NumSgprs: 36
; NumVgprs: 57
; NumAgprs: 0
; TotalNumVgprs: 57
; ScratchSize: 0
; MemoryBound: 0
; FloatMode: 240
; IeeeMode: 1
; LDSByteSize: 3072 bytes/workgroup (compile time only)
; SGPRBlocks: 4
; VGPRBlocks: 7
; NumSGPRsForWavesPerEU: 36
; NumVGPRsForWavesPerEU: 57
; AccumOffset: 60
; Occupancy: 6
; WaveLimiterHint : 1
; COMPUTE_PGM_RSRC2:SCRATCH_EN: 0
; COMPUTE_PGM_RSRC2:USER_SGPR: 6
; COMPUTE_PGM_RSRC2:TRAP_HANDLER: 0
; COMPUTE_PGM_RSRC2:TGID_X_EN: 1
; COMPUTE_PGM_RSRC2:TGID_Y_EN: 0
; COMPUTE_PGM_RSRC2:TGID_Z_EN: 0
; COMPUTE_PGM_RSRC2:TIDIG_COMP_CNT: 0
; COMPUTE_PGM_RSRC3_GFX90A:ACCUM_OFFSET: 14
; COMPUTE_PGM_RSRC3_GFX90A:TG_SPLIT: 0
	.section	.text._ZN7rocprim17ROCPRIM_400000_NS6detail17trampoline_kernelINS0_14default_configENS1_20scan_config_selectorItEEZZNS1_9scan_implILNS1_25lookback_scan_determinismE0ELb1ELb1ES3_N6thrust23THRUST_200600_302600_NS6detail15normal_iteratorINS9_10device_ptrItEEEENS9_16discard_iteratorINS9_11use_defaultEEEt11max_functorItEtEEDaPvRmT3_T4_T5_mT6_P12ihipStream_tbENKUlT_T0_E_clISt17integral_constantIbLb1EESX_EEDaSS_ST_EUlSS_E_NS1_11comp_targetILNS1_3genE3ELNS1_11target_archE908ELNS1_3gpuE7ELNS1_3repE0EEENS1_30default_config_static_selectorELNS0_4arch9wavefront6targetE1EEEvT1_,"axG",@progbits,_ZN7rocprim17ROCPRIM_400000_NS6detail17trampoline_kernelINS0_14default_configENS1_20scan_config_selectorItEEZZNS1_9scan_implILNS1_25lookback_scan_determinismE0ELb1ELb1ES3_N6thrust23THRUST_200600_302600_NS6detail15normal_iteratorINS9_10device_ptrItEEEENS9_16discard_iteratorINS9_11use_defaultEEEt11max_functorItEtEEDaPvRmT3_T4_T5_mT6_P12ihipStream_tbENKUlT_T0_E_clISt17integral_constantIbLb1EESX_EEDaSS_ST_EUlSS_E_NS1_11comp_targetILNS1_3genE3ELNS1_11target_archE908ELNS1_3gpuE7ELNS1_3repE0EEENS1_30default_config_static_selectorELNS0_4arch9wavefront6targetE1EEEvT1_,comdat
	.protected	_ZN7rocprim17ROCPRIM_400000_NS6detail17trampoline_kernelINS0_14default_configENS1_20scan_config_selectorItEEZZNS1_9scan_implILNS1_25lookback_scan_determinismE0ELb1ELb1ES3_N6thrust23THRUST_200600_302600_NS6detail15normal_iteratorINS9_10device_ptrItEEEENS9_16discard_iteratorINS9_11use_defaultEEEt11max_functorItEtEEDaPvRmT3_T4_T5_mT6_P12ihipStream_tbENKUlT_T0_E_clISt17integral_constantIbLb1EESX_EEDaSS_ST_EUlSS_E_NS1_11comp_targetILNS1_3genE3ELNS1_11target_archE908ELNS1_3gpuE7ELNS1_3repE0EEENS1_30default_config_static_selectorELNS0_4arch9wavefront6targetE1EEEvT1_ ; -- Begin function _ZN7rocprim17ROCPRIM_400000_NS6detail17trampoline_kernelINS0_14default_configENS1_20scan_config_selectorItEEZZNS1_9scan_implILNS1_25lookback_scan_determinismE0ELb1ELb1ES3_N6thrust23THRUST_200600_302600_NS6detail15normal_iteratorINS9_10device_ptrItEEEENS9_16discard_iteratorINS9_11use_defaultEEEt11max_functorItEtEEDaPvRmT3_T4_T5_mT6_P12ihipStream_tbENKUlT_T0_E_clISt17integral_constantIbLb1EESX_EEDaSS_ST_EUlSS_E_NS1_11comp_targetILNS1_3genE3ELNS1_11target_archE908ELNS1_3gpuE7ELNS1_3repE0EEENS1_30default_config_static_selectorELNS0_4arch9wavefront6targetE1EEEvT1_
	.globl	_ZN7rocprim17ROCPRIM_400000_NS6detail17trampoline_kernelINS0_14default_configENS1_20scan_config_selectorItEEZZNS1_9scan_implILNS1_25lookback_scan_determinismE0ELb1ELb1ES3_N6thrust23THRUST_200600_302600_NS6detail15normal_iteratorINS9_10device_ptrItEEEENS9_16discard_iteratorINS9_11use_defaultEEEt11max_functorItEtEEDaPvRmT3_T4_T5_mT6_P12ihipStream_tbENKUlT_T0_E_clISt17integral_constantIbLb1EESX_EEDaSS_ST_EUlSS_E_NS1_11comp_targetILNS1_3genE3ELNS1_11target_archE908ELNS1_3gpuE7ELNS1_3repE0EEENS1_30default_config_static_selectorELNS0_4arch9wavefront6targetE1EEEvT1_
	.p2align	8
	.type	_ZN7rocprim17ROCPRIM_400000_NS6detail17trampoline_kernelINS0_14default_configENS1_20scan_config_selectorItEEZZNS1_9scan_implILNS1_25lookback_scan_determinismE0ELb1ELb1ES3_N6thrust23THRUST_200600_302600_NS6detail15normal_iteratorINS9_10device_ptrItEEEENS9_16discard_iteratorINS9_11use_defaultEEEt11max_functorItEtEEDaPvRmT3_T4_T5_mT6_P12ihipStream_tbENKUlT_T0_E_clISt17integral_constantIbLb1EESX_EEDaSS_ST_EUlSS_E_NS1_11comp_targetILNS1_3genE3ELNS1_11target_archE908ELNS1_3gpuE7ELNS1_3repE0EEENS1_30default_config_static_selectorELNS0_4arch9wavefront6targetE1EEEvT1_,@function
_ZN7rocprim17ROCPRIM_400000_NS6detail17trampoline_kernelINS0_14default_configENS1_20scan_config_selectorItEEZZNS1_9scan_implILNS1_25lookback_scan_determinismE0ELb1ELb1ES3_N6thrust23THRUST_200600_302600_NS6detail15normal_iteratorINS9_10device_ptrItEEEENS9_16discard_iteratorINS9_11use_defaultEEEt11max_functorItEtEEDaPvRmT3_T4_T5_mT6_P12ihipStream_tbENKUlT_T0_E_clISt17integral_constantIbLb1EESX_EEDaSS_ST_EUlSS_E_NS1_11comp_targetILNS1_3genE3ELNS1_11target_archE908ELNS1_3gpuE7ELNS1_3repE0EEENS1_30default_config_static_selectorELNS0_4arch9wavefront6targetE1EEEvT1_: ; @_ZN7rocprim17ROCPRIM_400000_NS6detail17trampoline_kernelINS0_14default_configENS1_20scan_config_selectorItEEZZNS1_9scan_implILNS1_25lookback_scan_determinismE0ELb1ELb1ES3_N6thrust23THRUST_200600_302600_NS6detail15normal_iteratorINS9_10device_ptrItEEEENS9_16discard_iteratorINS9_11use_defaultEEEt11max_functorItEtEEDaPvRmT3_T4_T5_mT6_P12ihipStream_tbENKUlT_T0_E_clISt17integral_constantIbLb1EESX_EEDaSS_ST_EUlSS_E_NS1_11comp_targetILNS1_3genE3ELNS1_11target_archE908ELNS1_3gpuE7ELNS1_3repE0EEENS1_30default_config_static_selectorELNS0_4arch9wavefront6targetE1EEEvT1_
; %bb.0:
	.section	.rodata,"a",@progbits
	.p2align	6, 0x0
	.amdhsa_kernel _ZN7rocprim17ROCPRIM_400000_NS6detail17trampoline_kernelINS0_14default_configENS1_20scan_config_selectorItEEZZNS1_9scan_implILNS1_25lookback_scan_determinismE0ELb1ELb1ES3_N6thrust23THRUST_200600_302600_NS6detail15normal_iteratorINS9_10device_ptrItEEEENS9_16discard_iteratorINS9_11use_defaultEEEt11max_functorItEtEEDaPvRmT3_T4_T5_mT6_P12ihipStream_tbENKUlT_T0_E_clISt17integral_constantIbLb1EESX_EEDaSS_ST_EUlSS_E_NS1_11comp_targetILNS1_3genE3ELNS1_11target_archE908ELNS1_3gpuE7ELNS1_3repE0EEENS1_30default_config_static_selectorELNS0_4arch9wavefront6targetE1EEEvT1_
		.amdhsa_group_segment_fixed_size 0
		.amdhsa_private_segment_fixed_size 0
		.amdhsa_kernarg_size 104
		.amdhsa_user_sgpr_count 6
		.amdhsa_user_sgpr_private_segment_buffer 1
		.amdhsa_user_sgpr_dispatch_ptr 0
		.amdhsa_user_sgpr_queue_ptr 0
		.amdhsa_user_sgpr_kernarg_segment_ptr 1
		.amdhsa_user_sgpr_dispatch_id 0
		.amdhsa_user_sgpr_flat_scratch_init 0
		.amdhsa_user_sgpr_kernarg_preload_length 0
		.amdhsa_user_sgpr_kernarg_preload_offset 0
		.amdhsa_user_sgpr_private_segment_size 0
		.amdhsa_uses_dynamic_stack 0
		.amdhsa_system_sgpr_private_segment_wavefront_offset 0
		.amdhsa_system_sgpr_workgroup_id_x 1
		.amdhsa_system_sgpr_workgroup_id_y 0
		.amdhsa_system_sgpr_workgroup_id_z 0
		.amdhsa_system_sgpr_workgroup_info 0
		.amdhsa_system_vgpr_workitem_id 0
		.amdhsa_next_free_vgpr 1
		.amdhsa_next_free_sgpr 0
		.amdhsa_accum_offset 4
		.amdhsa_reserve_vcc 0
		.amdhsa_reserve_flat_scratch 0
		.amdhsa_float_round_mode_32 0
		.amdhsa_float_round_mode_16_64 0
		.amdhsa_float_denorm_mode_32 3
		.amdhsa_float_denorm_mode_16_64 3
		.amdhsa_dx10_clamp 1
		.amdhsa_ieee_mode 1
		.amdhsa_fp16_overflow 0
		.amdhsa_tg_split 0
		.amdhsa_exception_fp_ieee_invalid_op 0
		.amdhsa_exception_fp_denorm_src 0
		.amdhsa_exception_fp_ieee_div_zero 0
		.amdhsa_exception_fp_ieee_overflow 0
		.amdhsa_exception_fp_ieee_underflow 0
		.amdhsa_exception_fp_ieee_inexact 0
		.amdhsa_exception_int_div_zero 0
	.end_amdhsa_kernel
	.section	.text._ZN7rocprim17ROCPRIM_400000_NS6detail17trampoline_kernelINS0_14default_configENS1_20scan_config_selectorItEEZZNS1_9scan_implILNS1_25lookback_scan_determinismE0ELb1ELb1ES3_N6thrust23THRUST_200600_302600_NS6detail15normal_iteratorINS9_10device_ptrItEEEENS9_16discard_iteratorINS9_11use_defaultEEEt11max_functorItEtEEDaPvRmT3_T4_T5_mT6_P12ihipStream_tbENKUlT_T0_E_clISt17integral_constantIbLb1EESX_EEDaSS_ST_EUlSS_E_NS1_11comp_targetILNS1_3genE3ELNS1_11target_archE908ELNS1_3gpuE7ELNS1_3repE0EEENS1_30default_config_static_selectorELNS0_4arch9wavefront6targetE1EEEvT1_,"axG",@progbits,_ZN7rocprim17ROCPRIM_400000_NS6detail17trampoline_kernelINS0_14default_configENS1_20scan_config_selectorItEEZZNS1_9scan_implILNS1_25lookback_scan_determinismE0ELb1ELb1ES3_N6thrust23THRUST_200600_302600_NS6detail15normal_iteratorINS9_10device_ptrItEEEENS9_16discard_iteratorINS9_11use_defaultEEEt11max_functorItEtEEDaPvRmT3_T4_T5_mT6_P12ihipStream_tbENKUlT_T0_E_clISt17integral_constantIbLb1EESX_EEDaSS_ST_EUlSS_E_NS1_11comp_targetILNS1_3genE3ELNS1_11target_archE908ELNS1_3gpuE7ELNS1_3repE0EEENS1_30default_config_static_selectorELNS0_4arch9wavefront6targetE1EEEvT1_,comdat
.Lfunc_end3659:
	.size	_ZN7rocprim17ROCPRIM_400000_NS6detail17trampoline_kernelINS0_14default_configENS1_20scan_config_selectorItEEZZNS1_9scan_implILNS1_25lookback_scan_determinismE0ELb1ELb1ES3_N6thrust23THRUST_200600_302600_NS6detail15normal_iteratorINS9_10device_ptrItEEEENS9_16discard_iteratorINS9_11use_defaultEEEt11max_functorItEtEEDaPvRmT3_T4_T5_mT6_P12ihipStream_tbENKUlT_T0_E_clISt17integral_constantIbLb1EESX_EEDaSS_ST_EUlSS_E_NS1_11comp_targetILNS1_3genE3ELNS1_11target_archE908ELNS1_3gpuE7ELNS1_3repE0EEENS1_30default_config_static_selectorELNS0_4arch9wavefront6targetE1EEEvT1_, .Lfunc_end3659-_ZN7rocprim17ROCPRIM_400000_NS6detail17trampoline_kernelINS0_14default_configENS1_20scan_config_selectorItEEZZNS1_9scan_implILNS1_25lookback_scan_determinismE0ELb1ELb1ES3_N6thrust23THRUST_200600_302600_NS6detail15normal_iteratorINS9_10device_ptrItEEEENS9_16discard_iteratorINS9_11use_defaultEEEt11max_functorItEtEEDaPvRmT3_T4_T5_mT6_P12ihipStream_tbENKUlT_T0_E_clISt17integral_constantIbLb1EESX_EEDaSS_ST_EUlSS_E_NS1_11comp_targetILNS1_3genE3ELNS1_11target_archE908ELNS1_3gpuE7ELNS1_3repE0EEENS1_30default_config_static_selectorELNS0_4arch9wavefront6targetE1EEEvT1_
                                        ; -- End function
	.section	.AMDGPU.csdata,"",@progbits
; Kernel info:
; codeLenInByte = 0
; NumSgprs: 4
; NumVgprs: 0
; NumAgprs: 0
; TotalNumVgprs: 0
; ScratchSize: 0
; MemoryBound: 0
; FloatMode: 240
; IeeeMode: 1
; LDSByteSize: 0 bytes/workgroup (compile time only)
; SGPRBlocks: 0
; VGPRBlocks: 0
; NumSGPRsForWavesPerEU: 4
; NumVGPRsForWavesPerEU: 1
; AccumOffset: 4
; Occupancy: 8
; WaveLimiterHint : 0
; COMPUTE_PGM_RSRC2:SCRATCH_EN: 0
; COMPUTE_PGM_RSRC2:USER_SGPR: 6
; COMPUTE_PGM_RSRC2:TRAP_HANDLER: 0
; COMPUTE_PGM_RSRC2:TGID_X_EN: 1
; COMPUTE_PGM_RSRC2:TGID_Y_EN: 0
; COMPUTE_PGM_RSRC2:TGID_Z_EN: 0
; COMPUTE_PGM_RSRC2:TIDIG_COMP_CNT: 0
; COMPUTE_PGM_RSRC3_GFX90A:ACCUM_OFFSET: 0
; COMPUTE_PGM_RSRC3_GFX90A:TG_SPLIT: 0
	.section	.text._ZN7rocprim17ROCPRIM_400000_NS6detail17trampoline_kernelINS0_14default_configENS1_20scan_config_selectorItEEZZNS1_9scan_implILNS1_25lookback_scan_determinismE0ELb1ELb1ES3_N6thrust23THRUST_200600_302600_NS6detail15normal_iteratorINS9_10device_ptrItEEEENS9_16discard_iteratorINS9_11use_defaultEEEt11max_functorItEtEEDaPvRmT3_T4_T5_mT6_P12ihipStream_tbENKUlT_T0_E_clISt17integral_constantIbLb1EESX_EEDaSS_ST_EUlSS_E_NS1_11comp_targetILNS1_3genE2ELNS1_11target_archE906ELNS1_3gpuE6ELNS1_3repE0EEENS1_30default_config_static_selectorELNS0_4arch9wavefront6targetE1EEEvT1_,"axG",@progbits,_ZN7rocprim17ROCPRIM_400000_NS6detail17trampoline_kernelINS0_14default_configENS1_20scan_config_selectorItEEZZNS1_9scan_implILNS1_25lookback_scan_determinismE0ELb1ELb1ES3_N6thrust23THRUST_200600_302600_NS6detail15normal_iteratorINS9_10device_ptrItEEEENS9_16discard_iteratorINS9_11use_defaultEEEt11max_functorItEtEEDaPvRmT3_T4_T5_mT6_P12ihipStream_tbENKUlT_T0_E_clISt17integral_constantIbLb1EESX_EEDaSS_ST_EUlSS_E_NS1_11comp_targetILNS1_3genE2ELNS1_11target_archE906ELNS1_3gpuE6ELNS1_3repE0EEENS1_30default_config_static_selectorELNS0_4arch9wavefront6targetE1EEEvT1_,comdat
	.protected	_ZN7rocprim17ROCPRIM_400000_NS6detail17trampoline_kernelINS0_14default_configENS1_20scan_config_selectorItEEZZNS1_9scan_implILNS1_25lookback_scan_determinismE0ELb1ELb1ES3_N6thrust23THRUST_200600_302600_NS6detail15normal_iteratorINS9_10device_ptrItEEEENS9_16discard_iteratorINS9_11use_defaultEEEt11max_functorItEtEEDaPvRmT3_T4_T5_mT6_P12ihipStream_tbENKUlT_T0_E_clISt17integral_constantIbLb1EESX_EEDaSS_ST_EUlSS_E_NS1_11comp_targetILNS1_3genE2ELNS1_11target_archE906ELNS1_3gpuE6ELNS1_3repE0EEENS1_30default_config_static_selectorELNS0_4arch9wavefront6targetE1EEEvT1_ ; -- Begin function _ZN7rocprim17ROCPRIM_400000_NS6detail17trampoline_kernelINS0_14default_configENS1_20scan_config_selectorItEEZZNS1_9scan_implILNS1_25lookback_scan_determinismE0ELb1ELb1ES3_N6thrust23THRUST_200600_302600_NS6detail15normal_iteratorINS9_10device_ptrItEEEENS9_16discard_iteratorINS9_11use_defaultEEEt11max_functorItEtEEDaPvRmT3_T4_T5_mT6_P12ihipStream_tbENKUlT_T0_E_clISt17integral_constantIbLb1EESX_EEDaSS_ST_EUlSS_E_NS1_11comp_targetILNS1_3genE2ELNS1_11target_archE906ELNS1_3gpuE6ELNS1_3repE0EEENS1_30default_config_static_selectorELNS0_4arch9wavefront6targetE1EEEvT1_
	.globl	_ZN7rocprim17ROCPRIM_400000_NS6detail17trampoline_kernelINS0_14default_configENS1_20scan_config_selectorItEEZZNS1_9scan_implILNS1_25lookback_scan_determinismE0ELb1ELb1ES3_N6thrust23THRUST_200600_302600_NS6detail15normal_iteratorINS9_10device_ptrItEEEENS9_16discard_iteratorINS9_11use_defaultEEEt11max_functorItEtEEDaPvRmT3_T4_T5_mT6_P12ihipStream_tbENKUlT_T0_E_clISt17integral_constantIbLb1EESX_EEDaSS_ST_EUlSS_E_NS1_11comp_targetILNS1_3genE2ELNS1_11target_archE906ELNS1_3gpuE6ELNS1_3repE0EEENS1_30default_config_static_selectorELNS0_4arch9wavefront6targetE1EEEvT1_
	.p2align	8
	.type	_ZN7rocprim17ROCPRIM_400000_NS6detail17trampoline_kernelINS0_14default_configENS1_20scan_config_selectorItEEZZNS1_9scan_implILNS1_25lookback_scan_determinismE0ELb1ELb1ES3_N6thrust23THRUST_200600_302600_NS6detail15normal_iteratorINS9_10device_ptrItEEEENS9_16discard_iteratorINS9_11use_defaultEEEt11max_functorItEtEEDaPvRmT3_T4_T5_mT6_P12ihipStream_tbENKUlT_T0_E_clISt17integral_constantIbLb1EESX_EEDaSS_ST_EUlSS_E_NS1_11comp_targetILNS1_3genE2ELNS1_11target_archE906ELNS1_3gpuE6ELNS1_3repE0EEENS1_30default_config_static_selectorELNS0_4arch9wavefront6targetE1EEEvT1_,@function
_ZN7rocprim17ROCPRIM_400000_NS6detail17trampoline_kernelINS0_14default_configENS1_20scan_config_selectorItEEZZNS1_9scan_implILNS1_25lookback_scan_determinismE0ELb1ELb1ES3_N6thrust23THRUST_200600_302600_NS6detail15normal_iteratorINS9_10device_ptrItEEEENS9_16discard_iteratorINS9_11use_defaultEEEt11max_functorItEtEEDaPvRmT3_T4_T5_mT6_P12ihipStream_tbENKUlT_T0_E_clISt17integral_constantIbLb1EESX_EEDaSS_ST_EUlSS_E_NS1_11comp_targetILNS1_3genE2ELNS1_11target_archE906ELNS1_3gpuE6ELNS1_3repE0EEENS1_30default_config_static_selectorELNS0_4arch9wavefront6targetE1EEEvT1_: ; @_ZN7rocprim17ROCPRIM_400000_NS6detail17trampoline_kernelINS0_14default_configENS1_20scan_config_selectorItEEZZNS1_9scan_implILNS1_25lookback_scan_determinismE0ELb1ELb1ES3_N6thrust23THRUST_200600_302600_NS6detail15normal_iteratorINS9_10device_ptrItEEEENS9_16discard_iteratorINS9_11use_defaultEEEt11max_functorItEtEEDaPvRmT3_T4_T5_mT6_P12ihipStream_tbENKUlT_T0_E_clISt17integral_constantIbLb1EESX_EEDaSS_ST_EUlSS_E_NS1_11comp_targetILNS1_3genE2ELNS1_11target_archE906ELNS1_3gpuE6ELNS1_3repE0EEENS1_30default_config_static_selectorELNS0_4arch9wavefront6targetE1EEEvT1_
; %bb.0:
	.section	.rodata,"a",@progbits
	.p2align	6, 0x0
	.amdhsa_kernel _ZN7rocprim17ROCPRIM_400000_NS6detail17trampoline_kernelINS0_14default_configENS1_20scan_config_selectorItEEZZNS1_9scan_implILNS1_25lookback_scan_determinismE0ELb1ELb1ES3_N6thrust23THRUST_200600_302600_NS6detail15normal_iteratorINS9_10device_ptrItEEEENS9_16discard_iteratorINS9_11use_defaultEEEt11max_functorItEtEEDaPvRmT3_T4_T5_mT6_P12ihipStream_tbENKUlT_T0_E_clISt17integral_constantIbLb1EESX_EEDaSS_ST_EUlSS_E_NS1_11comp_targetILNS1_3genE2ELNS1_11target_archE906ELNS1_3gpuE6ELNS1_3repE0EEENS1_30default_config_static_selectorELNS0_4arch9wavefront6targetE1EEEvT1_
		.amdhsa_group_segment_fixed_size 0
		.amdhsa_private_segment_fixed_size 0
		.amdhsa_kernarg_size 104
		.amdhsa_user_sgpr_count 6
		.amdhsa_user_sgpr_private_segment_buffer 1
		.amdhsa_user_sgpr_dispatch_ptr 0
		.amdhsa_user_sgpr_queue_ptr 0
		.amdhsa_user_sgpr_kernarg_segment_ptr 1
		.amdhsa_user_sgpr_dispatch_id 0
		.amdhsa_user_sgpr_flat_scratch_init 0
		.amdhsa_user_sgpr_kernarg_preload_length 0
		.amdhsa_user_sgpr_kernarg_preload_offset 0
		.amdhsa_user_sgpr_private_segment_size 0
		.amdhsa_uses_dynamic_stack 0
		.amdhsa_system_sgpr_private_segment_wavefront_offset 0
		.amdhsa_system_sgpr_workgroup_id_x 1
		.amdhsa_system_sgpr_workgroup_id_y 0
		.amdhsa_system_sgpr_workgroup_id_z 0
		.amdhsa_system_sgpr_workgroup_info 0
		.amdhsa_system_vgpr_workitem_id 0
		.amdhsa_next_free_vgpr 1
		.amdhsa_next_free_sgpr 0
		.amdhsa_accum_offset 4
		.amdhsa_reserve_vcc 0
		.amdhsa_reserve_flat_scratch 0
		.amdhsa_float_round_mode_32 0
		.amdhsa_float_round_mode_16_64 0
		.amdhsa_float_denorm_mode_32 3
		.amdhsa_float_denorm_mode_16_64 3
		.amdhsa_dx10_clamp 1
		.amdhsa_ieee_mode 1
		.amdhsa_fp16_overflow 0
		.amdhsa_tg_split 0
		.amdhsa_exception_fp_ieee_invalid_op 0
		.amdhsa_exception_fp_denorm_src 0
		.amdhsa_exception_fp_ieee_div_zero 0
		.amdhsa_exception_fp_ieee_overflow 0
		.amdhsa_exception_fp_ieee_underflow 0
		.amdhsa_exception_fp_ieee_inexact 0
		.amdhsa_exception_int_div_zero 0
	.end_amdhsa_kernel
	.section	.text._ZN7rocprim17ROCPRIM_400000_NS6detail17trampoline_kernelINS0_14default_configENS1_20scan_config_selectorItEEZZNS1_9scan_implILNS1_25lookback_scan_determinismE0ELb1ELb1ES3_N6thrust23THRUST_200600_302600_NS6detail15normal_iteratorINS9_10device_ptrItEEEENS9_16discard_iteratorINS9_11use_defaultEEEt11max_functorItEtEEDaPvRmT3_T4_T5_mT6_P12ihipStream_tbENKUlT_T0_E_clISt17integral_constantIbLb1EESX_EEDaSS_ST_EUlSS_E_NS1_11comp_targetILNS1_3genE2ELNS1_11target_archE906ELNS1_3gpuE6ELNS1_3repE0EEENS1_30default_config_static_selectorELNS0_4arch9wavefront6targetE1EEEvT1_,"axG",@progbits,_ZN7rocprim17ROCPRIM_400000_NS6detail17trampoline_kernelINS0_14default_configENS1_20scan_config_selectorItEEZZNS1_9scan_implILNS1_25lookback_scan_determinismE0ELb1ELb1ES3_N6thrust23THRUST_200600_302600_NS6detail15normal_iteratorINS9_10device_ptrItEEEENS9_16discard_iteratorINS9_11use_defaultEEEt11max_functorItEtEEDaPvRmT3_T4_T5_mT6_P12ihipStream_tbENKUlT_T0_E_clISt17integral_constantIbLb1EESX_EEDaSS_ST_EUlSS_E_NS1_11comp_targetILNS1_3genE2ELNS1_11target_archE906ELNS1_3gpuE6ELNS1_3repE0EEENS1_30default_config_static_selectorELNS0_4arch9wavefront6targetE1EEEvT1_,comdat
.Lfunc_end3660:
	.size	_ZN7rocprim17ROCPRIM_400000_NS6detail17trampoline_kernelINS0_14default_configENS1_20scan_config_selectorItEEZZNS1_9scan_implILNS1_25lookback_scan_determinismE0ELb1ELb1ES3_N6thrust23THRUST_200600_302600_NS6detail15normal_iteratorINS9_10device_ptrItEEEENS9_16discard_iteratorINS9_11use_defaultEEEt11max_functorItEtEEDaPvRmT3_T4_T5_mT6_P12ihipStream_tbENKUlT_T0_E_clISt17integral_constantIbLb1EESX_EEDaSS_ST_EUlSS_E_NS1_11comp_targetILNS1_3genE2ELNS1_11target_archE906ELNS1_3gpuE6ELNS1_3repE0EEENS1_30default_config_static_selectorELNS0_4arch9wavefront6targetE1EEEvT1_, .Lfunc_end3660-_ZN7rocprim17ROCPRIM_400000_NS6detail17trampoline_kernelINS0_14default_configENS1_20scan_config_selectorItEEZZNS1_9scan_implILNS1_25lookback_scan_determinismE0ELb1ELb1ES3_N6thrust23THRUST_200600_302600_NS6detail15normal_iteratorINS9_10device_ptrItEEEENS9_16discard_iteratorINS9_11use_defaultEEEt11max_functorItEtEEDaPvRmT3_T4_T5_mT6_P12ihipStream_tbENKUlT_T0_E_clISt17integral_constantIbLb1EESX_EEDaSS_ST_EUlSS_E_NS1_11comp_targetILNS1_3genE2ELNS1_11target_archE906ELNS1_3gpuE6ELNS1_3repE0EEENS1_30default_config_static_selectorELNS0_4arch9wavefront6targetE1EEEvT1_
                                        ; -- End function
	.section	.AMDGPU.csdata,"",@progbits
; Kernel info:
; codeLenInByte = 0
; NumSgprs: 4
; NumVgprs: 0
; NumAgprs: 0
; TotalNumVgprs: 0
; ScratchSize: 0
; MemoryBound: 0
; FloatMode: 240
; IeeeMode: 1
; LDSByteSize: 0 bytes/workgroup (compile time only)
; SGPRBlocks: 0
; VGPRBlocks: 0
; NumSGPRsForWavesPerEU: 4
; NumVGPRsForWavesPerEU: 1
; AccumOffset: 4
; Occupancy: 8
; WaveLimiterHint : 0
; COMPUTE_PGM_RSRC2:SCRATCH_EN: 0
; COMPUTE_PGM_RSRC2:USER_SGPR: 6
; COMPUTE_PGM_RSRC2:TRAP_HANDLER: 0
; COMPUTE_PGM_RSRC2:TGID_X_EN: 1
; COMPUTE_PGM_RSRC2:TGID_Y_EN: 0
; COMPUTE_PGM_RSRC2:TGID_Z_EN: 0
; COMPUTE_PGM_RSRC2:TIDIG_COMP_CNT: 0
; COMPUTE_PGM_RSRC3_GFX90A:ACCUM_OFFSET: 0
; COMPUTE_PGM_RSRC3_GFX90A:TG_SPLIT: 0
	.section	.text._ZN7rocprim17ROCPRIM_400000_NS6detail17trampoline_kernelINS0_14default_configENS1_20scan_config_selectorItEEZZNS1_9scan_implILNS1_25lookback_scan_determinismE0ELb1ELb1ES3_N6thrust23THRUST_200600_302600_NS6detail15normal_iteratorINS9_10device_ptrItEEEENS9_16discard_iteratorINS9_11use_defaultEEEt11max_functorItEtEEDaPvRmT3_T4_T5_mT6_P12ihipStream_tbENKUlT_T0_E_clISt17integral_constantIbLb1EESX_EEDaSS_ST_EUlSS_E_NS1_11comp_targetILNS1_3genE10ELNS1_11target_archE1201ELNS1_3gpuE5ELNS1_3repE0EEENS1_30default_config_static_selectorELNS0_4arch9wavefront6targetE1EEEvT1_,"axG",@progbits,_ZN7rocprim17ROCPRIM_400000_NS6detail17trampoline_kernelINS0_14default_configENS1_20scan_config_selectorItEEZZNS1_9scan_implILNS1_25lookback_scan_determinismE0ELb1ELb1ES3_N6thrust23THRUST_200600_302600_NS6detail15normal_iteratorINS9_10device_ptrItEEEENS9_16discard_iteratorINS9_11use_defaultEEEt11max_functorItEtEEDaPvRmT3_T4_T5_mT6_P12ihipStream_tbENKUlT_T0_E_clISt17integral_constantIbLb1EESX_EEDaSS_ST_EUlSS_E_NS1_11comp_targetILNS1_3genE10ELNS1_11target_archE1201ELNS1_3gpuE5ELNS1_3repE0EEENS1_30default_config_static_selectorELNS0_4arch9wavefront6targetE1EEEvT1_,comdat
	.protected	_ZN7rocprim17ROCPRIM_400000_NS6detail17trampoline_kernelINS0_14default_configENS1_20scan_config_selectorItEEZZNS1_9scan_implILNS1_25lookback_scan_determinismE0ELb1ELb1ES3_N6thrust23THRUST_200600_302600_NS6detail15normal_iteratorINS9_10device_ptrItEEEENS9_16discard_iteratorINS9_11use_defaultEEEt11max_functorItEtEEDaPvRmT3_T4_T5_mT6_P12ihipStream_tbENKUlT_T0_E_clISt17integral_constantIbLb1EESX_EEDaSS_ST_EUlSS_E_NS1_11comp_targetILNS1_3genE10ELNS1_11target_archE1201ELNS1_3gpuE5ELNS1_3repE0EEENS1_30default_config_static_selectorELNS0_4arch9wavefront6targetE1EEEvT1_ ; -- Begin function _ZN7rocprim17ROCPRIM_400000_NS6detail17trampoline_kernelINS0_14default_configENS1_20scan_config_selectorItEEZZNS1_9scan_implILNS1_25lookback_scan_determinismE0ELb1ELb1ES3_N6thrust23THRUST_200600_302600_NS6detail15normal_iteratorINS9_10device_ptrItEEEENS9_16discard_iteratorINS9_11use_defaultEEEt11max_functorItEtEEDaPvRmT3_T4_T5_mT6_P12ihipStream_tbENKUlT_T0_E_clISt17integral_constantIbLb1EESX_EEDaSS_ST_EUlSS_E_NS1_11comp_targetILNS1_3genE10ELNS1_11target_archE1201ELNS1_3gpuE5ELNS1_3repE0EEENS1_30default_config_static_selectorELNS0_4arch9wavefront6targetE1EEEvT1_
	.globl	_ZN7rocprim17ROCPRIM_400000_NS6detail17trampoline_kernelINS0_14default_configENS1_20scan_config_selectorItEEZZNS1_9scan_implILNS1_25lookback_scan_determinismE0ELb1ELb1ES3_N6thrust23THRUST_200600_302600_NS6detail15normal_iteratorINS9_10device_ptrItEEEENS9_16discard_iteratorINS9_11use_defaultEEEt11max_functorItEtEEDaPvRmT3_T4_T5_mT6_P12ihipStream_tbENKUlT_T0_E_clISt17integral_constantIbLb1EESX_EEDaSS_ST_EUlSS_E_NS1_11comp_targetILNS1_3genE10ELNS1_11target_archE1201ELNS1_3gpuE5ELNS1_3repE0EEENS1_30default_config_static_selectorELNS0_4arch9wavefront6targetE1EEEvT1_
	.p2align	8
	.type	_ZN7rocprim17ROCPRIM_400000_NS6detail17trampoline_kernelINS0_14default_configENS1_20scan_config_selectorItEEZZNS1_9scan_implILNS1_25lookback_scan_determinismE0ELb1ELb1ES3_N6thrust23THRUST_200600_302600_NS6detail15normal_iteratorINS9_10device_ptrItEEEENS9_16discard_iteratorINS9_11use_defaultEEEt11max_functorItEtEEDaPvRmT3_T4_T5_mT6_P12ihipStream_tbENKUlT_T0_E_clISt17integral_constantIbLb1EESX_EEDaSS_ST_EUlSS_E_NS1_11comp_targetILNS1_3genE10ELNS1_11target_archE1201ELNS1_3gpuE5ELNS1_3repE0EEENS1_30default_config_static_selectorELNS0_4arch9wavefront6targetE1EEEvT1_,@function
_ZN7rocprim17ROCPRIM_400000_NS6detail17trampoline_kernelINS0_14default_configENS1_20scan_config_selectorItEEZZNS1_9scan_implILNS1_25lookback_scan_determinismE0ELb1ELb1ES3_N6thrust23THRUST_200600_302600_NS6detail15normal_iteratorINS9_10device_ptrItEEEENS9_16discard_iteratorINS9_11use_defaultEEEt11max_functorItEtEEDaPvRmT3_T4_T5_mT6_P12ihipStream_tbENKUlT_T0_E_clISt17integral_constantIbLb1EESX_EEDaSS_ST_EUlSS_E_NS1_11comp_targetILNS1_3genE10ELNS1_11target_archE1201ELNS1_3gpuE5ELNS1_3repE0EEENS1_30default_config_static_selectorELNS0_4arch9wavefront6targetE1EEEvT1_: ; @_ZN7rocprim17ROCPRIM_400000_NS6detail17trampoline_kernelINS0_14default_configENS1_20scan_config_selectorItEEZZNS1_9scan_implILNS1_25lookback_scan_determinismE0ELb1ELb1ES3_N6thrust23THRUST_200600_302600_NS6detail15normal_iteratorINS9_10device_ptrItEEEENS9_16discard_iteratorINS9_11use_defaultEEEt11max_functorItEtEEDaPvRmT3_T4_T5_mT6_P12ihipStream_tbENKUlT_T0_E_clISt17integral_constantIbLb1EESX_EEDaSS_ST_EUlSS_E_NS1_11comp_targetILNS1_3genE10ELNS1_11target_archE1201ELNS1_3gpuE5ELNS1_3repE0EEENS1_30default_config_static_selectorELNS0_4arch9wavefront6targetE1EEEvT1_
; %bb.0:
	.section	.rodata,"a",@progbits
	.p2align	6, 0x0
	.amdhsa_kernel _ZN7rocprim17ROCPRIM_400000_NS6detail17trampoline_kernelINS0_14default_configENS1_20scan_config_selectorItEEZZNS1_9scan_implILNS1_25lookback_scan_determinismE0ELb1ELb1ES3_N6thrust23THRUST_200600_302600_NS6detail15normal_iteratorINS9_10device_ptrItEEEENS9_16discard_iteratorINS9_11use_defaultEEEt11max_functorItEtEEDaPvRmT3_T4_T5_mT6_P12ihipStream_tbENKUlT_T0_E_clISt17integral_constantIbLb1EESX_EEDaSS_ST_EUlSS_E_NS1_11comp_targetILNS1_3genE10ELNS1_11target_archE1201ELNS1_3gpuE5ELNS1_3repE0EEENS1_30default_config_static_selectorELNS0_4arch9wavefront6targetE1EEEvT1_
		.amdhsa_group_segment_fixed_size 0
		.amdhsa_private_segment_fixed_size 0
		.amdhsa_kernarg_size 104
		.amdhsa_user_sgpr_count 6
		.amdhsa_user_sgpr_private_segment_buffer 1
		.amdhsa_user_sgpr_dispatch_ptr 0
		.amdhsa_user_sgpr_queue_ptr 0
		.amdhsa_user_sgpr_kernarg_segment_ptr 1
		.amdhsa_user_sgpr_dispatch_id 0
		.amdhsa_user_sgpr_flat_scratch_init 0
		.amdhsa_user_sgpr_kernarg_preload_length 0
		.amdhsa_user_sgpr_kernarg_preload_offset 0
		.amdhsa_user_sgpr_private_segment_size 0
		.amdhsa_uses_dynamic_stack 0
		.amdhsa_system_sgpr_private_segment_wavefront_offset 0
		.amdhsa_system_sgpr_workgroup_id_x 1
		.amdhsa_system_sgpr_workgroup_id_y 0
		.amdhsa_system_sgpr_workgroup_id_z 0
		.amdhsa_system_sgpr_workgroup_info 0
		.amdhsa_system_vgpr_workitem_id 0
		.amdhsa_next_free_vgpr 1
		.amdhsa_next_free_sgpr 0
		.amdhsa_accum_offset 4
		.amdhsa_reserve_vcc 0
		.amdhsa_reserve_flat_scratch 0
		.amdhsa_float_round_mode_32 0
		.amdhsa_float_round_mode_16_64 0
		.amdhsa_float_denorm_mode_32 3
		.amdhsa_float_denorm_mode_16_64 3
		.amdhsa_dx10_clamp 1
		.amdhsa_ieee_mode 1
		.amdhsa_fp16_overflow 0
		.amdhsa_tg_split 0
		.amdhsa_exception_fp_ieee_invalid_op 0
		.amdhsa_exception_fp_denorm_src 0
		.amdhsa_exception_fp_ieee_div_zero 0
		.amdhsa_exception_fp_ieee_overflow 0
		.amdhsa_exception_fp_ieee_underflow 0
		.amdhsa_exception_fp_ieee_inexact 0
		.amdhsa_exception_int_div_zero 0
	.end_amdhsa_kernel
	.section	.text._ZN7rocprim17ROCPRIM_400000_NS6detail17trampoline_kernelINS0_14default_configENS1_20scan_config_selectorItEEZZNS1_9scan_implILNS1_25lookback_scan_determinismE0ELb1ELb1ES3_N6thrust23THRUST_200600_302600_NS6detail15normal_iteratorINS9_10device_ptrItEEEENS9_16discard_iteratorINS9_11use_defaultEEEt11max_functorItEtEEDaPvRmT3_T4_T5_mT6_P12ihipStream_tbENKUlT_T0_E_clISt17integral_constantIbLb1EESX_EEDaSS_ST_EUlSS_E_NS1_11comp_targetILNS1_3genE10ELNS1_11target_archE1201ELNS1_3gpuE5ELNS1_3repE0EEENS1_30default_config_static_selectorELNS0_4arch9wavefront6targetE1EEEvT1_,"axG",@progbits,_ZN7rocprim17ROCPRIM_400000_NS6detail17trampoline_kernelINS0_14default_configENS1_20scan_config_selectorItEEZZNS1_9scan_implILNS1_25lookback_scan_determinismE0ELb1ELb1ES3_N6thrust23THRUST_200600_302600_NS6detail15normal_iteratorINS9_10device_ptrItEEEENS9_16discard_iteratorINS9_11use_defaultEEEt11max_functorItEtEEDaPvRmT3_T4_T5_mT6_P12ihipStream_tbENKUlT_T0_E_clISt17integral_constantIbLb1EESX_EEDaSS_ST_EUlSS_E_NS1_11comp_targetILNS1_3genE10ELNS1_11target_archE1201ELNS1_3gpuE5ELNS1_3repE0EEENS1_30default_config_static_selectorELNS0_4arch9wavefront6targetE1EEEvT1_,comdat
.Lfunc_end3661:
	.size	_ZN7rocprim17ROCPRIM_400000_NS6detail17trampoline_kernelINS0_14default_configENS1_20scan_config_selectorItEEZZNS1_9scan_implILNS1_25lookback_scan_determinismE0ELb1ELb1ES3_N6thrust23THRUST_200600_302600_NS6detail15normal_iteratorINS9_10device_ptrItEEEENS9_16discard_iteratorINS9_11use_defaultEEEt11max_functorItEtEEDaPvRmT3_T4_T5_mT6_P12ihipStream_tbENKUlT_T0_E_clISt17integral_constantIbLb1EESX_EEDaSS_ST_EUlSS_E_NS1_11comp_targetILNS1_3genE10ELNS1_11target_archE1201ELNS1_3gpuE5ELNS1_3repE0EEENS1_30default_config_static_selectorELNS0_4arch9wavefront6targetE1EEEvT1_, .Lfunc_end3661-_ZN7rocprim17ROCPRIM_400000_NS6detail17trampoline_kernelINS0_14default_configENS1_20scan_config_selectorItEEZZNS1_9scan_implILNS1_25lookback_scan_determinismE0ELb1ELb1ES3_N6thrust23THRUST_200600_302600_NS6detail15normal_iteratorINS9_10device_ptrItEEEENS9_16discard_iteratorINS9_11use_defaultEEEt11max_functorItEtEEDaPvRmT3_T4_T5_mT6_P12ihipStream_tbENKUlT_T0_E_clISt17integral_constantIbLb1EESX_EEDaSS_ST_EUlSS_E_NS1_11comp_targetILNS1_3genE10ELNS1_11target_archE1201ELNS1_3gpuE5ELNS1_3repE0EEENS1_30default_config_static_selectorELNS0_4arch9wavefront6targetE1EEEvT1_
                                        ; -- End function
	.section	.AMDGPU.csdata,"",@progbits
; Kernel info:
; codeLenInByte = 0
; NumSgprs: 4
; NumVgprs: 0
; NumAgprs: 0
; TotalNumVgprs: 0
; ScratchSize: 0
; MemoryBound: 0
; FloatMode: 240
; IeeeMode: 1
; LDSByteSize: 0 bytes/workgroup (compile time only)
; SGPRBlocks: 0
; VGPRBlocks: 0
; NumSGPRsForWavesPerEU: 4
; NumVGPRsForWavesPerEU: 1
; AccumOffset: 4
; Occupancy: 8
; WaveLimiterHint : 0
; COMPUTE_PGM_RSRC2:SCRATCH_EN: 0
; COMPUTE_PGM_RSRC2:USER_SGPR: 6
; COMPUTE_PGM_RSRC2:TRAP_HANDLER: 0
; COMPUTE_PGM_RSRC2:TGID_X_EN: 1
; COMPUTE_PGM_RSRC2:TGID_Y_EN: 0
; COMPUTE_PGM_RSRC2:TGID_Z_EN: 0
; COMPUTE_PGM_RSRC2:TIDIG_COMP_CNT: 0
; COMPUTE_PGM_RSRC3_GFX90A:ACCUM_OFFSET: 0
; COMPUTE_PGM_RSRC3_GFX90A:TG_SPLIT: 0
	.section	.text._ZN7rocprim17ROCPRIM_400000_NS6detail17trampoline_kernelINS0_14default_configENS1_20scan_config_selectorItEEZZNS1_9scan_implILNS1_25lookback_scan_determinismE0ELb1ELb1ES3_N6thrust23THRUST_200600_302600_NS6detail15normal_iteratorINS9_10device_ptrItEEEENS9_16discard_iteratorINS9_11use_defaultEEEt11max_functorItEtEEDaPvRmT3_T4_T5_mT6_P12ihipStream_tbENKUlT_T0_E_clISt17integral_constantIbLb1EESX_EEDaSS_ST_EUlSS_E_NS1_11comp_targetILNS1_3genE10ELNS1_11target_archE1200ELNS1_3gpuE4ELNS1_3repE0EEENS1_30default_config_static_selectorELNS0_4arch9wavefront6targetE1EEEvT1_,"axG",@progbits,_ZN7rocprim17ROCPRIM_400000_NS6detail17trampoline_kernelINS0_14default_configENS1_20scan_config_selectorItEEZZNS1_9scan_implILNS1_25lookback_scan_determinismE0ELb1ELb1ES3_N6thrust23THRUST_200600_302600_NS6detail15normal_iteratorINS9_10device_ptrItEEEENS9_16discard_iteratorINS9_11use_defaultEEEt11max_functorItEtEEDaPvRmT3_T4_T5_mT6_P12ihipStream_tbENKUlT_T0_E_clISt17integral_constantIbLb1EESX_EEDaSS_ST_EUlSS_E_NS1_11comp_targetILNS1_3genE10ELNS1_11target_archE1200ELNS1_3gpuE4ELNS1_3repE0EEENS1_30default_config_static_selectorELNS0_4arch9wavefront6targetE1EEEvT1_,comdat
	.protected	_ZN7rocprim17ROCPRIM_400000_NS6detail17trampoline_kernelINS0_14default_configENS1_20scan_config_selectorItEEZZNS1_9scan_implILNS1_25lookback_scan_determinismE0ELb1ELb1ES3_N6thrust23THRUST_200600_302600_NS6detail15normal_iteratorINS9_10device_ptrItEEEENS9_16discard_iteratorINS9_11use_defaultEEEt11max_functorItEtEEDaPvRmT3_T4_T5_mT6_P12ihipStream_tbENKUlT_T0_E_clISt17integral_constantIbLb1EESX_EEDaSS_ST_EUlSS_E_NS1_11comp_targetILNS1_3genE10ELNS1_11target_archE1200ELNS1_3gpuE4ELNS1_3repE0EEENS1_30default_config_static_selectorELNS0_4arch9wavefront6targetE1EEEvT1_ ; -- Begin function _ZN7rocprim17ROCPRIM_400000_NS6detail17trampoline_kernelINS0_14default_configENS1_20scan_config_selectorItEEZZNS1_9scan_implILNS1_25lookback_scan_determinismE0ELb1ELb1ES3_N6thrust23THRUST_200600_302600_NS6detail15normal_iteratorINS9_10device_ptrItEEEENS9_16discard_iteratorINS9_11use_defaultEEEt11max_functorItEtEEDaPvRmT3_T4_T5_mT6_P12ihipStream_tbENKUlT_T0_E_clISt17integral_constantIbLb1EESX_EEDaSS_ST_EUlSS_E_NS1_11comp_targetILNS1_3genE10ELNS1_11target_archE1200ELNS1_3gpuE4ELNS1_3repE0EEENS1_30default_config_static_selectorELNS0_4arch9wavefront6targetE1EEEvT1_
	.globl	_ZN7rocprim17ROCPRIM_400000_NS6detail17trampoline_kernelINS0_14default_configENS1_20scan_config_selectorItEEZZNS1_9scan_implILNS1_25lookback_scan_determinismE0ELb1ELb1ES3_N6thrust23THRUST_200600_302600_NS6detail15normal_iteratorINS9_10device_ptrItEEEENS9_16discard_iteratorINS9_11use_defaultEEEt11max_functorItEtEEDaPvRmT3_T4_T5_mT6_P12ihipStream_tbENKUlT_T0_E_clISt17integral_constantIbLb1EESX_EEDaSS_ST_EUlSS_E_NS1_11comp_targetILNS1_3genE10ELNS1_11target_archE1200ELNS1_3gpuE4ELNS1_3repE0EEENS1_30default_config_static_selectorELNS0_4arch9wavefront6targetE1EEEvT1_
	.p2align	8
	.type	_ZN7rocprim17ROCPRIM_400000_NS6detail17trampoline_kernelINS0_14default_configENS1_20scan_config_selectorItEEZZNS1_9scan_implILNS1_25lookback_scan_determinismE0ELb1ELb1ES3_N6thrust23THRUST_200600_302600_NS6detail15normal_iteratorINS9_10device_ptrItEEEENS9_16discard_iteratorINS9_11use_defaultEEEt11max_functorItEtEEDaPvRmT3_T4_T5_mT6_P12ihipStream_tbENKUlT_T0_E_clISt17integral_constantIbLb1EESX_EEDaSS_ST_EUlSS_E_NS1_11comp_targetILNS1_3genE10ELNS1_11target_archE1200ELNS1_3gpuE4ELNS1_3repE0EEENS1_30default_config_static_selectorELNS0_4arch9wavefront6targetE1EEEvT1_,@function
_ZN7rocprim17ROCPRIM_400000_NS6detail17trampoline_kernelINS0_14default_configENS1_20scan_config_selectorItEEZZNS1_9scan_implILNS1_25lookback_scan_determinismE0ELb1ELb1ES3_N6thrust23THRUST_200600_302600_NS6detail15normal_iteratorINS9_10device_ptrItEEEENS9_16discard_iteratorINS9_11use_defaultEEEt11max_functorItEtEEDaPvRmT3_T4_T5_mT6_P12ihipStream_tbENKUlT_T0_E_clISt17integral_constantIbLb1EESX_EEDaSS_ST_EUlSS_E_NS1_11comp_targetILNS1_3genE10ELNS1_11target_archE1200ELNS1_3gpuE4ELNS1_3repE0EEENS1_30default_config_static_selectorELNS0_4arch9wavefront6targetE1EEEvT1_: ; @_ZN7rocprim17ROCPRIM_400000_NS6detail17trampoline_kernelINS0_14default_configENS1_20scan_config_selectorItEEZZNS1_9scan_implILNS1_25lookback_scan_determinismE0ELb1ELb1ES3_N6thrust23THRUST_200600_302600_NS6detail15normal_iteratorINS9_10device_ptrItEEEENS9_16discard_iteratorINS9_11use_defaultEEEt11max_functorItEtEEDaPvRmT3_T4_T5_mT6_P12ihipStream_tbENKUlT_T0_E_clISt17integral_constantIbLb1EESX_EEDaSS_ST_EUlSS_E_NS1_11comp_targetILNS1_3genE10ELNS1_11target_archE1200ELNS1_3gpuE4ELNS1_3repE0EEENS1_30default_config_static_selectorELNS0_4arch9wavefront6targetE1EEEvT1_
; %bb.0:
	.section	.rodata,"a",@progbits
	.p2align	6, 0x0
	.amdhsa_kernel _ZN7rocprim17ROCPRIM_400000_NS6detail17trampoline_kernelINS0_14default_configENS1_20scan_config_selectorItEEZZNS1_9scan_implILNS1_25lookback_scan_determinismE0ELb1ELb1ES3_N6thrust23THRUST_200600_302600_NS6detail15normal_iteratorINS9_10device_ptrItEEEENS9_16discard_iteratorINS9_11use_defaultEEEt11max_functorItEtEEDaPvRmT3_T4_T5_mT6_P12ihipStream_tbENKUlT_T0_E_clISt17integral_constantIbLb1EESX_EEDaSS_ST_EUlSS_E_NS1_11comp_targetILNS1_3genE10ELNS1_11target_archE1200ELNS1_3gpuE4ELNS1_3repE0EEENS1_30default_config_static_selectorELNS0_4arch9wavefront6targetE1EEEvT1_
		.amdhsa_group_segment_fixed_size 0
		.amdhsa_private_segment_fixed_size 0
		.amdhsa_kernarg_size 104
		.amdhsa_user_sgpr_count 6
		.amdhsa_user_sgpr_private_segment_buffer 1
		.amdhsa_user_sgpr_dispatch_ptr 0
		.amdhsa_user_sgpr_queue_ptr 0
		.amdhsa_user_sgpr_kernarg_segment_ptr 1
		.amdhsa_user_sgpr_dispatch_id 0
		.amdhsa_user_sgpr_flat_scratch_init 0
		.amdhsa_user_sgpr_kernarg_preload_length 0
		.amdhsa_user_sgpr_kernarg_preload_offset 0
		.amdhsa_user_sgpr_private_segment_size 0
		.amdhsa_uses_dynamic_stack 0
		.amdhsa_system_sgpr_private_segment_wavefront_offset 0
		.amdhsa_system_sgpr_workgroup_id_x 1
		.amdhsa_system_sgpr_workgroup_id_y 0
		.amdhsa_system_sgpr_workgroup_id_z 0
		.amdhsa_system_sgpr_workgroup_info 0
		.amdhsa_system_vgpr_workitem_id 0
		.amdhsa_next_free_vgpr 1
		.amdhsa_next_free_sgpr 0
		.amdhsa_accum_offset 4
		.amdhsa_reserve_vcc 0
		.amdhsa_reserve_flat_scratch 0
		.amdhsa_float_round_mode_32 0
		.amdhsa_float_round_mode_16_64 0
		.amdhsa_float_denorm_mode_32 3
		.amdhsa_float_denorm_mode_16_64 3
		.amdhsa_dx10_clamp 1
		.amdhsa_ieee_mode 1
		.amdhsa_fp16_overflow 0
		.amdhsa_tg_split 0
		.amdhsa_exception_fp_ieee_invalid_op 0
		.amdhsa_exception_fp_denorm_src 0
		.amdhsa_exception_fp_ieee_div_zero 0
		.amdhsa_exception_fp_ieee_overflow 0
		.amdhsa_exception_fp_ieee_underflow 0
		.amdhsa_exception_fp_ieee_inexact 0
		.amdhsa_exception_int_div_zero 0
	.end_amdhsa_kernel
	.section	.text._ZN7rocprim17ROCPRIM_400000_NS6detail17trampoline_kernelINS0_14default_configENS1_20scan_config_selectorItEEZZNS1_9scan_implILNS1_25lookback_scan_determinismE0ELb1ELb1ES3_N6thrust23THRUST_200600_302600_NS6detail15normal_iteratorINS9_10device_ptrItEEEENS9_16discard_iteratorINS9_11use_defaultEEEt11max_functorItEtEEDaPvRmT3_T4_T5_mT6_P12ihipStream_tbENKUlT_T0_E_clISt17integral_constantIbLb1EESX_EEDaSS_ST_EUlSS_E_NS1_11comp_targetILNS1_3genE10ELNS1_11target_archE1200ELNS1_3gpuE4ELNS1_3repE0EEENS1_30default_config_static_selectorELNS0_4arch9wavefront6targetE1EEEvT1_,"axG",@progbits,_ZN7rocprim17ROCPRIM_400000_NS6detail17trampoline_kernelINS0_14default_configENS1_20scan_config_selectorItEEZZNS1_9scan_implILNS1_25lookback_scan_determinismE0ELb1ELb1ES3_N6thrust23THRUST_200600_302600_NS6detail15normal_iteratorINS9_10device_ptrItEEEENS9_16discard_iteratorINS9_11use_defaultEEEt11max_functorItEtEEDaPvRmT3_T4_T5_mT6_P12ihipStream_tbENKUlT_T0_E_clISt17integral_constantIbLb1EESX_EEDaSS_ST_EUlSS_E_NS1_11comp_targetILNS1_3genE10ELNS1_11target_archE1200ELNS1_3gpuE4ELNS1_3repE0EEENS1_30default_config_static_selectorELNS0_4arch9wavefront6targetE1EEEvT1_,comdat
.Lfunc_end3662:
	.size	_ZN7rocprim17ROCPRIM_400000_NS6detail17trampoline_kernelINS0_14default_configENS1_20scan_config_selectorItEEZZNS1_9scan_implILNS1_25lookback_scan_determinismE0ELb1ELb1ES3_N6thrust23THRUST_200600_302600_NS6detail15normal_iteratorINS9_10device_ptrItEEEENS9_16discard_iteratorINS9_11use_defaultEEEt11max_functorItEtEEDaPvRmT3_T4_T5_mT6_P12ihipStream_tbENKUlT_T0_E_clISt17integral_constantIbLb1EESX_EEDaSS_ST_EUlSS_E_NS1_11comp_targetILNS1_3genE10ELNS1_11target_archE1200ELNS1_3gpuE4ELNS1_3repE0EEENS1_30default_config_static_selectorELNS0_4arch9wavefront6targetE1EEEvT1_, .Lfunc_end3662-_ZN7rocprim17ROCPRIM_400000_NS6detail17trampoline_kernelINS0_14default_configENS1_20scan_config_selectorItEEZZNS1_9scan_implILNS1_25lookback_scan_determinismE0ELb1ELb1ES3_N6thrust23THRUST_200600_302600_NS6detail15normal_iteratorINS9_10device_ptrItEEEENS9_16discard_iteratorINS9_11use_defaultEEEt11max_functorItEtEEDaPvRmT3_T4_T5_mT6_P12ihipStream_tbENKUlT_T0_E_clISt17integral_constantIbLb1EESX_EEDaSS_ST_EUlSS_E_NS1_11comp_targetILNS1_3genE10ELNS1_11target_archE1200ELNS1_3gpuE4ELNS1_3repE0EEENS1_30default_config_static_selectorELNS0_4arch9wavefront6targetE1EEEvT1_
                                        ; -- End function
	.section	.AMDGPU.csdata,"",@progbits
; Kernel info:
; codeLenInByte = 0
; NumSgprs: 4
; NumVgprs: 0
; NumAgprs: 0
; TotalNumVgprs: 0
; ScratchSize: 0
; MemoryBound: 0
; FloatMode: 240
; IeeeMode: 1
; LDSByteSize: 0 bytes/workgroup (compile time only)
; SGPRBlocks: 0
; VGPRBlocks: 0
; NumSGPRsForWavesPerEU: 4
; NumVGPRsForWavesPerEU: 1
; AccumOffset: 4
; Occupancy: 8
; WaveLimiterHint : 0
; COMPUTE_PGM_RSRC2:SCRATCH_EN: 0
; COMPUTE_PGM_RSRC2:USER_SGPR: 6
; COMPUTE_PGM_RSRC2:TRAP_HANDLER: 0
; COMPUTE_PGM_RSRC2:TGID_X_EN: 1
; COMPUTE_PGM_RSRC2:TGID_Y_EN: 0
; COMPUTE_PGM_RSRC2:TGID_Z_EN: 0
; COMPUTE_PGM_RSRC2:TIDIG_COMP_CNT: 0
; COMPUTE_PGM_RSRC3_GFX90A:ACCUM_OFFSET: 0
; COMPUTE_PGM_RSRC3_GFX90A:TG_SPLIT: 0
	.section	.text._ZN7rocprim17ROCPRIM_400000_NS6detail17trampoline_kernelINS0_14default_configENS1_20scan_config_selectorItEEZZNS1_9scan_implILNS1_25lookback_scan_determinismE0ELb1ELb1ES3_N6thrust23THRUST_200600_302600_NS6detail15normal_iteratorINS9_10device_ptrItEEEENS9_16discard_iteratorINS9_11use_defaultEEEt11max_functorItEtEEDaPvRmT3_T4_T5_mT6_P12ihipStream_tbENKUlT_T0_E_clISt17integral_constantIbLb1EESX_EEDaSS_ST_EUlSS_E_NS1_11comp_targetILNS1_3genE9ELNS1_11target_archE1100ELNS1_3gpuE3ELNS1_3repE0EEENS1_30default_config_static_selectorELNS0_4arch9wavefront6targetE1EEEvT1_,"axG",@progbits,_ZN7rocprim17ROCPRIM_400000_NS6detail17trampoline_kernelINS0_14default_configENS1_20scan_config_selectorItEEZZNS1_9scan_implILNS1_25lookback_scan_determinismE0ELb1ELb1ES3_N6thrust23THRUST_200600_302600_NS6detail15normal_iteratorINS9_10device_ptrItEEEENS9_16discard_iteratorINS9_11use_defaultEEEt11max_functorItEtEEDaPvRmT3_T4_T5_mT6_P12ihipStream_tbENKUlT_T0_E_clISt17integral_constantIbLb1EESX_EEDaSS_ST_EUlSS_E_NS1_11comp_targetILNS1_3genE9ELNS1_11target_archE1100ELNS1_3gpuE3ELNS1_3repE0EEENS1_30default_config_static_selectorELNS0_4arch9wavefront6targetE1EEEvT1_,comdat
	.protected	_ZN7rocprim17ROCPRIM_400000_NS6detail17trampoline_kernelINS0_14default_configENS1_20scan_config_selectorItEEZZNS1_9scan_implILNS1_25lookback_scan_determinismE0ELb1ELb1ES3_N6thrust23THRUST_200600_302600_NS6detail15normal_iteratorINS9_10device_ptrItEEEENS9_16discard_iteratorINS9_11use_defaultEEEt11max_functorItEtEEDaPvRmT3_T4_T5_mT6_P12ihipStream_tbENKUlT_T0_E_clISt17integral_constantIbLb1EESX_EEDaSS_ST_EUlSS_E_NS1_11comp_targetILNS1_3genE9ELNS1_11target_archE1100ELNS1_3gpuE3ELNS1_3repE0EEENS1_30default_config_static_selectorELNS0_4arch9wavefront6targetE1EEEvT1_ ; -- Begin function _ZN7rocprim17ROCPRIM_400000_NS6detail17trampoline_kernelINS0_14default_configENS1_20scan_config_selectorItEEZZNS1_9scan_implILNS1_25lookback_scan_determinismE0ELb1ELb1ES3_N6thrust23THRUST_200600_302600_NS6detail15normal_iteratorINS9_10device_ptrItEEEENS9_16discard_iteratorINS9_11use_defaultEEEt11max_functorItEtEEDaPvRmT3_T4_T5_mT6_P12ihipStream_tbENKUlT_T0_E_clISt17integral_constantIbLb1EESX_EEDaSS_ST_EUlSS_E_NS1_11comp_targetILNS1_3genE9ELNS1_11target_archE1100ELNS1_3gpuE3ELNS1_3repE0EEENS1_30default_config_static_selectorELNS0_4arch9wavefront6targetE1EEEvT1_
	.globl	_ZN7rocprim17ROCPRIM_400000_NS6detail17trampoline_kernelINS0_14default_configENS1_20scan_config_selectorItEEZZNS1_9scan_implILNS1_25lookback_scan_determinismE0ELb1ELb1ES3_N6thrust23THRUST_200600_302600_NS6detail15normal_iteratorINS9_10device_ptrItEEEENS9_16discard_iteratorINS9_11use_defaultEEEt11max_functorItEtEEDaPvRmT3_T4_T5_mT6_P12ihipStream_tbENKUlT_T0_E_clISt17integral_constantIbLb1EESX_EEDaSS_ST_EUlSS_E_NS1_11comp_targetILNS1_3genE9ELNS1_11target_archE1100ELNS1_3gpuE3ELNS1_3repE0EEENS1_30default_config_static_selectorELNS0_4arch9wavefront6targetE1EEEvT1_
	.p2align	8
	.type	_ZN7rocprim17ROCPRIM_400000_NS6detail17trampoline_kernelINS0_14default_configENS1_20scan_config_selectorItEEZZNS1_9scan_implILNS1_25lookback_scan_determinismE0ELb1ELb1ES3_N6thrust23THRUST_200600_302600_NS6detail15normal_iteratorINS9_10device_ptrItEEEENS9_16discard_iteratorINS9_11use_defaultEEEt11max_functorItEtEEDaPvRmT3_T4_T5_mT6_P12ihipStream_tbENKUlT_T0_E_clISt17integral_constantIbLb1EESX_EEDaSS_ST_EUlSS_E_NS1_11comp_targetILNS1_3genE9ELNS1_11target_archE1100ELNS1_3gpuE3ELNS1_3repE0EEENS1_30default_config_static_selectorELNS0_4arch9wavefront6targetE1EEEvT1_,@function
_ZN7rocprim17ROCPRIM_400000_NS6detail17trampoline_kernelINS0_14default_configENS1_20scan_config_selectorItEEZZNS1_9scan_implILNS1_25lookback_scan_determinismE0ELb1ELb1ES3_N6thrust23THRUST_200600_302600_NS6detail15normal_iteratorINS9_10device_ptrItEEEENS9_16discard_iteratorINS9_11use_defaultEEEt11max_functorItEtEEDaPvRmT3_T4_T5_mT6_P12ihipStream_tbENKUlT_T0_E_clISt17integral_constantIbLb1EESX_EEDaSS_ST_EUlSS_E_NS1_11comp_targetILNS1_3genE9ELNS1_11target_archE1100ELNS1_3gpuE3ELNS1_3repE0EEENS1_30default_config_static_selectorELNS0_4arch9wavefront6targetE1EEEvT1_: ; @_ZN7rocprim17ROCPRIM_400000_NS6detail17trampoline_kernelINS0_14default_configENS1_20scan_config_selectorItEEZZNS1_9scan_implILNS1_25lookback_scan_determinismE0ELb1ELb1ES3_N6thrust23THRUST_200600_302600_NS6detail15normal_iteratorINS9_10device_ptrItEEEENS9_16discard_iteratorINS9_11use_defaultEEEt11max_functorItEtEEDaPvRmT3_T4_T5_mT6_P12ihipStream_tbENKUlT_T0_E_clISt17integral_constantIbLb1EESX_EEDaSS_ST_EUlSS_E_NS1_11comp_targetILNS1_3genE9ELNS1_11target_archE1100ELNS1_3gpuE3ELNS1_3repE0EEENS1_30default_config_static_selectorELNS0_4arch9wavefront6targetE1EEEvT1_
; %bb.0:
	.section	.rodata,"a",@progbits
	.p2align	6, 0x0
	.amdhsa_kernel _ZN7rocprim17ROCPRIM_400000_NS6detail17trampoline_kernelINS0_14default_configENS1_20scan_config_selectorItEEZZNS1_9scan_implILNS1_25lookback_scan_determinismE0ELb1ELb1ES3_N6thrust23THRUST_200600_302600_NS6detail15normal_iteratorINS9_10device_ptrItEEEENS9_16discard_iteratorINS9_11use_defaultEEEt11max_functorItEtEEDaPvRmT3_T4_T5_mT6_P12ihipStream_tbENKUlT_T0_E_clISt17integral_constantIbLb1EESX_EEDaSS_ST_EUlSS_E_NS1_11comp_targetILNS1_3genE9ELNS1_11target_archE1100ELNS1_3gpuE3ELNS1_3repE0EEENS1_30default_config_static_selectorELNS0_4arch9wavefront6targetE1EEEvT1_
		.amdhsa_group_segment_fixed_size 0
		.amdhsa_private_segment_fixed_size 0
		.amdhsa_kernarg_size 104
		.amdhsa_user_sgpr_count 6
		.amdhsa_user_sgpr_private_segment_buffer 1
		.amdhsa_user_sgpr_dispatch_ptr 0
		.amdhsa_user_sgpr_queue_ptr 0
		.amdhsa_user_sgpr_kernarg_segment_ptr 1
		.amdhsa_user_sgpr_dispatch_id 0
		.amdhsa_user_sgpr_flat_scratch_init 0
		.amdhsa_user_sgpr_kernarg_preload_length 0
		.amdhsa_user_sgpr_kernarg_preload_offset 0
		.amdhsa_user_sgpr_private_segment_size 0
		.amdhsa_uses_dynamic_stack 0
		.amdhsa_system_sgpr_private_segment_wavefront_offset 0
		.amdhsa_system_sgpr_workgroup_id_x 1
		.amdhsa_system_sgpr_workgroup_id_y 0
		.amdhsa_system_sgpr_workgroup_id_z 0
		.amdhsa_system_sgpr_workgroup_info 0
		.amdhsa_system_vgpr_workitem_id 0
		.amdhsa_next_free_vgpr 1
		.amdhsa_next_free_sgpr 0
		.amdhsa_accum_offset 4
		.amdhsa_reserve_vcc 0
		.amdhsa_reserve_flat_scratch 0
		.amdhsa_float_round_mode_32 0
		.amdhsa_float_round_mode_16_64 0
		.amdhsa_float_denorm_mode_32 3
		.amdhsa_float_denorm_mode_16_64 3
		.amdhsa_dx10_clamp 1
		.amdhsa_ieee_mode 1
		.amdhsa_fp16_overflow 0
		.amdhsa_tg_split 0
		.amdhsa_exception_fp_ieee_invalid_op 0
		.amdhsa_exception_fp_denorm_src 0
		.amdhsa_exception_fp_ieee_div_zero 0
		.amdhsa_exception_fp_ieee_overflow 0
		.amdhsa_exception_fp_ieee_underflow 0
		.amdhsa_exception_fp_ieee_inexact 0
		.amdhsa_exception_int_div_zero 0
	.end_amdhsa_kernel
	.section	.text._ZN7rocprim17ROCPRIM_400000_NS6detail17trampoline_kernelINS0_14default_configENS1_20scan_config_selectorItEEZZNS1_9scan_implILNS1_25lookback_scan_determinismE0ELb1ELb1ES3_N6thrust23THRUST_200600_302600_NS6detail15normal_iteratorINS9_10device_ptrItEEEENS9_16discard_iteratorINS9_11use_defaultEEEt11max_functorItEtEEDaPvRmT3_T4_T5_mT6_P12ihipStream_tbENKUlT_T0_E_clISt17integral_constantIbLb1EESX_EEDaSS_ST_EUlSS_E_NS1_11comp_targetILNS1_3genE9ELNS1_11target_archE1100ELNS1_3gpuE3ELNS1_3repE0EEENS1_30default_config_static_selectorELNS0_4arch9wavefront6targetE1EEEvT1_,"axG",@progbits,_ZN7rocprim17ROCPRIM_400000_NS6detail17trampoline_kernelINS0_14default_configENS1_20scan_config_selectorItEEZZNS1_9scan_implILNS1_25lookback_scan_determinismE0ELb1ELb1ES3_N6thrust23THRUST_200600_302600_NS6detail15normal_iteratorINS9_10device_ptrItEEEENS9_16discard_iteratorINS9_11use_defaultEEEt11max_functorItEtEEDaPvRmT3_T4_T5_mT6_P12ihipStream_tbENKUlT_T0_E_clISt17integral_constantIbLb1EESX_EEDaSS_ST_EUlSS_E_NS1_11comp_targetILNS1_3genE9ELNS1_11target_archE1100ELNS1_3gpuE3ELNS1_3repE0EEENS1_30default_config_static_selectorELNS0_4arch9wavefront6targetE1EEEvT1_,comdat
.Lfunc_end3663:
	.size	_ZN7rocprim17ROCPRIM_400000_NS6detail17trampoline_kernelINS0_14default_configENS1_20scan_config_selectorItEEZZNS1_9scan_implILNS1_25lookback_scan_determinismE0ELb1ELb1ES3_N6thrust23THRUST_200600_302600_NS6detail15normal_iteratorINS9_10device_ptrItEEEENS9_16discard_iteratorINS9_11use_defaultEEEt11max_functorItEtEEDaPvRmT3_T4_T5_mT6_P12ihipStream_tbENKUlT_T0_E_clISt17integral_constantIbLb1EESX_EEDaSS_ST_EUlSS_E_NS1_11comp_targetILNS1_3genE9ELNS1_11target_archE1100ELNS1_3gpuE3ELNS1_3repE0EEENS1_30default_config_static_selectorELNS0_4arch9wavefront6targetE1EEEvT1_, .Lfunc_end3663-_ZN7rocprim17ROCPRIM_400000_NS6detail17trampoline_kernelINS0_14default_configENS1_20scan_config_selectorItEEZZNS1_9scan_implILNS1_25lookback_scan_determinismE0ELb1ELb1ES3_N6thrust23THRUST_200600_302600_NS6detail15normal_iteratorINS9_10device_ptrItEEEENS9_16discard_iteratorINS9_11use_defaultEEEt11max_functorItEtEEDaPvRmT3_T4_T5_mT6_P12ihipStream_tbENKUlT_T0_E_clISt17integral_constantIbLb1EESX_EEDaSS_ST_EUlSS_E_NS1_11comp_targetILNS1_3genE9ELNS1_11target_archE1100ELNS1_3gpuE3ELNS1_3repE0EEENS1_30default_config_static_selectorELNS0_4arch9wavefront6targetE1EEEvT1_
                                        ; -- End function
	.section	.AMDGPU.csdata,"",@progbits
; Kernel info:
; codeLenInByte = 0
; NumSgprs: 4
; NumVgprs: 0
; NumAgprs: 0
; TotalNumVgprs: 0
; ScratchSize: 0
; MemoryBound: 0
; FloatMode: 240
; IeeeMode: 1
; LDSByteSize: 0 bytes/workgroup (compile time only)
; SGPRBlocks: 0
; VGPRBlocks: 0
; NumSGPRsForWavesPerEU: 4
; NumVGPRsForWavesPerEU: 1
; AccumOffset: 4
; Occupancy: 8
; WaveLimiterHint : 0
; COMPUTE_PGM_RSRC2:SCRATCH_EN: 0
; COMPUTE_PGM_RSRC2:USER_SGPR: 6
; COMPUTE_PGM_RSRC2:TRAP_HANDLER: 0
; COMPUTE_PGM_RSRC2:TGID_X_EN: 1
; COMPUTE_PGM_RSRC2:TGID_Y_EN: 0
; COMPUTE_PGM_RSRC2:TGID_Z_EN: 0
; COMPUTE_PGM_RSRC2:TIDIG_COMP_CNT: 0
; COMPUTE_PGM_RSRC3_GFX90A:ACCUM_OFFSET: 0
; COMPUTE_PGM_RSRC3_GFX90A:TG_SPLIT: 0
	.section	.text._ZN7rocprim17ROCPRIM_400000_NS6detail17trampoline_kernelINS0_14default_configENS1_20scan_config_selectorItEEZZNS1_9scan_implILNS1_25lookback_scan_determinismE0ELb1ELb1ES3_N6thrust23THRUST_200600_302600_NS6detail15normal_iteratorINS9_10device_ptrItEEEENS9_16discard_iteratorINS9_11use_defaultEEEt11max_functorItEtEEDaPvRmT3_T4_T5_mT6_P12ihipStream_tbENKUlT_T0_E_clISt17integral_constantIbLb1EESX_EEDaSS_ST_EUlSS_E_NS1_11comp_targetILNS1_3genE8ELNS1_11target_archE1030ELNS1_3gpuE2ELNS1_3repE0EEENS1_30default_config_static_selectorELNS0_4arch9wavefront6targetE1EEEvT1_,"axG",@progbits,_ZN7rocprim17ROCPRIM_400000_NS6detail17trampoline_kernelINS0_14default_configENS1_20scan_config_selectorItEEZZNS1_9scan_implILNS1_25lookback_scan_determinismE0ELb1ELb1ES3_N6thrust23THRUST_200600_302600_NS6detail15normal_iteratorINS9_10device_ptrItEEEENS9_16discard_iteratorINS9_11use_defaultEEEt11max_functorItEtEEDaPvRmT3_T4_T5_mT6_P12ihipStream_tbENKUlT_T0_E_clISt17integral_constantIbLb1EESX_EEDaSS_ST_EUlSS_E_NS1_11comp_targetILNS1_3genE8ELNS1_11target_archE1030ELNS1_3gpuE2ELNS1_3repE0EEENS1_30default_config_static_selectorELNS0_4arch9wavefront6targetE1EEEvT1_,comdat
	.protected	_ZN7rocprim17ROCPRIM_400000_NS6detail17trampoline_kernelINS0_14default_configENS1_20scan_config_selectorItEEZZNS1_9scan_implILNS1_25lookback_scan_determinismE0ELb1ELb1ES3_N6thrust23THRUST_200600_302600_NS6detail15normal_iteratorINS9_10device_ptrItEEEENS9_16discard_iteratorINS9_11use_defaultEEEt11max_functorItEtEEDaPvRmT3_T4_T5_mT6_P12ihipStream_tbENKUlT_T0_E_clISt17integral_constantIbLb1EESX_EEDaSS_ST_EUlSS_E_NS1_11comp_targetILNS1_3genE8ELNS1_11target_archE1030ELNS1_3gpuE2ELNS1_3repE0EEENS1_30default_config_static_selectorELNS0_4arch9wavefront6targetE1EEEvT1_ ; -- Begin function _ZN7rocprim17ROCPRIM_400000_NS6detail17trampoline_kernelINS0_14default_configENS1_20scan_config_selectorItEEZZNS1_9scan_implILNS1_25lookback_scan_determinismE0ELb1ELb1ES3_N6thrust23THRUST_200600_302600_NS6detail15normal_iteratorINS9_10device_ptrItEEEENS9_16discard_iteratorINS9_11use_defaultEEEt11max_functorItEtEEDaPvRmT3_T4_T5_mT6_P12ihipStream_tbENKUlT_T0_E_clISt17integral_constantIbLb1EESX_EEDaSS_ST_EUlSS_E_NS1_11comp_targetILNS1_3genE8ELNS1_11target_archE1030ELNS1_3gpuE2ELNS1_3repE0EEENS1_30default_config_static_selectorELNS0_4arch9wavefront6targetE1EEEvT1_
	.globl	_ZN7rocprim17ROCPRIM_400000_NS6detail17trampoline_kernelINS0_14default_configENS1_20scan_config_selectorItEEZZNS1_9scan_implILNS1_25lookback_scan_determinismE0ELb1ELb1ES3_N6thrust23THRUST_200600_302600_NS6detail15normal_iteratorINS9_10device_ptrItEEEENS9_16discard_iteratorINS9_11use_defaultEEEt11max_functorItEtEEDaPvRmT3_T4_T5_mT6_P12ihipStream_tbENKUlT_T0_E_clISt17integral_constantIbLb1EESX_EEDaSS_ST_EUlSS_E_NS1_11comp_targetILNS1_3genE8ELNS1_11target_archE1030ELNS1_3gpuE2ELNS1_3repE0EEENS1_30default_config_static_selectorELNS0_4arch9wavefront6targetE1EEEvT1_
	.p2align	8
	.type	_ZN7rocprim17ROCPRIM_400000_NS6detail17trampoline_kernelINS0_14default_configENS1_20scan_config_selectorItEEZZNS1_9scan_implILNS1_25lookback_scan_determinismE0ELb1ELb1ES3_N6thrust23THRUST_200600_302600_NS6detail15normal_iteratorINS9_10device_ptrItEEEENS9_16discard_iteratorINS9_11use_defaultEEEt11max_functorItEtEEDaPvRmT3_T4_T5_mT6_P12ihipStream_tbENKUlT_T0_E_clISt17integral_constantIbLb1EESX_EEDaSS_ST_EUlSS_E_NS1_11comp_targetILNS1_3genE8ELNS1_11target_archE1030ELNS1_3gpuE2ELNS1_3repE0EEENS1_30default_config_static_selectorELNS0_4arch9wavefront6targetE1EEEvT1_,@function
_ZN7rocprim17ROCPRIM_400000_NS6detail17trampoline_kernelINS0_14default_configENS1_20scan_config_selectorItEEZZNS1_9scan_implILNS1_25lookback_scan_determinismE0ELb1ELb1ES3_N6thrust23THRUST_200600_302600_NS6detail15normal_iteratorINS9_10device_ptrItEEEENS9_16discard_iteratorINS9_11use_defaultEEEt11max_functorItEtEEDaPvRmT3_T4_T5_mT6_P12ihipStream_tbENKUlT_T0_E_clISt17integral_constantIbLb1EESX_EEDaSS_ST_EUlSS_E_NS1_11comp_targetILNS1_3genE8ELNS1_11target_archE1030ELNS1_3gpuE2ELNS1_3repE0EEENS1_30default_config_static_selectorELNS0_4arch9wavefront6targetE1EEEvT1_: ; @_ZN7rocprim17ROCPRIM_400000_NS6detail17trampoline_kernelINS0_14default_configENS1_20scan_config_selectorItEEZZNS1_9scan_implILNS1_25lookback_scan_determinismE0ELb1ELb1ES3_N6thrust23THRUST_200600_302600_NS6detail15normal_iteratorINS9_10device_ptrItEEEENS9_16discard_iteratorINS9_11use_defaultEEEt11max_functorItEtEEDaPvRmT3_T4_T5_mT6_P12ihipStream_tbENKUlT_T0_E_clISt17integral_constantIbLb1EESX_EEDaSS_ST_EUlSS_E_NS1_11comp_targetILNS1_3genE8ELNS1_11target_archE1030ELNS1_3gpuE2ELNS1_3repE0EEENS1_30default_config_static_selectorELNS0_4arch9wavefront6targetE1EEEvT1_
; %bb.0:
	.section	.rodata,"a",@progbits
	.p2align	6, 0x0
	.amdhsa_kernel _ZN7rocprim17ROCPRIM_400000_NS6detail17trampoline_kernelINS0_14default_configENS1_20scan_config_selectorItEEZZNS1_9scan_implILNS1_25lookback_scan_determinismE0ELb1ELb1ES3_N6thrust23THRUST_200600_302600_NS6detail15normal_iteratorINS9_10device_ptrItEEEENS9_16discard_iteratorINS9_11use_defaultEEEt11max_functorItEtEEDaPvRmT3_T4_T5_mT6_P12ihipStream_tbENKUlT_T0_E_clISt17integral_constantIbLb1EESX_EEDaSS_ST_EUlSS_E_NS1_11comp_targetILNS1_3genE8ELNS1_11target_archE1030ELNS1_3gpuE2ELNS1_3repE0EEENS1_30default_config_static_selectorELNS0_4arch9wavefront6targetE1EEEvT1_
		.amdhsa_group_segment_fixed_size 0
		.amdhsa_private_segment_fixed_size 0
		.amdhsa_kernarg_size 104
		.amdhsa_user_sgpr_count 6
		.amdhsa_user_sgpr_private_segment_buffer 1
		.amdhsa_user_sgpr_dispatch_ptr 0
		.amdhsa_user_sgpr_queue_ptr 0
		.amdhsa_user_sgpr_kernarg_segment_ptr 1
		.amdhsa_user_sgpr_dispatch_id 0
		.amdhsa_user_sgpr_flat_scratch_init 0
		.amdhsa_user_sgpr_kernarg_preload_length 0
		.amdhsa_user_sgpr_kernarg_preload_offset 0
		.amdhsa_user_sgpr_private_segment_size 0
		.amdhsa_uses_dynamic_stack 0
		.amdhsa_system_sgpr_private_segment_wavefront_offset 0
		.amdhsa_system_sgpr_workgroup_id_x 1
		.amdhsa_system_sgpr_workgroup_id_y 0
		.amdhsa_system_sgpr_workgroup_id_z 0
		.amdhsa_system_sgpr_workgroup_info 0
		.amdhsa_system_vgpr_workitem_id 0
		.amdhsa_next_free_vgpr 1
		.amdhsa_next_free_sgpr 0
		.amdhsa_accum_offset 4
		.amdhsa_reserve_vcc 0
		.amdhsa_reserve_flat_scratch 0
		.amdhsa_float_round_mode_32 0
		.amdhsa_float_round_mode_16_64 0
		.amdhsa_float_denorm_mode_32 3
		.amdhsa_float_denorm_mode_16_64 3
		.amdhsa_dx10_clamp 1
		.amdhsa_ieee_mode 1
		.amdhsa_fp16_overflow 0
		.amdhsa_tg_split 0
		.amdhsa_exception_fp_ieee_invalid_op 0
		.amdhsa_exception_fp_denorm_src 0
		.amdhsa_exception_fp_ieee_div_zero 0
		.amdhsa_exception_fp_ieee_overflow 0
		.amdhsa_exception_fp_ieee_underflow 0
		.amdhsa_exception_fp_ieee_inexact 0
		.amdhsa_exception_int_div_zero 0
	.end_amdhsa_kernel
	.section	.text._ZN7rocprim17ROCPRIM_400000_NS6detail17trampoline_kernelINS0_14default_configENS1_20scan_config_selectorItEEZZNS1_9scan_implILNS1_25lookback_scan_determinismE0ELb1ELb1ES3_N6thrust23THRUST_200600_302600_NS6detail15normal_iteratorINS9_10device_ptrItEEEENS9_16discard_iteratorINS9_11use_defaultEEEt11max_functorItEtEEDaPvRmT3_T4_T5_mT6_P12ihipStream_tbENKUlT_T0_E_clISt17integral_constantIbLb1EESX_EEDaSS_ST_EUlSS_E_NS1_11comp_targetILNS1_3genE8ELNS1_11target_archE1030ELNS1_3gpuE2ELNS1_3repE0EEENS1_30default_config_static_selectorELNS0_4arch9wavefront6targetE1EEEvT1_,"axG",@progbits,_ZN7rocprim17ROCPRIM_400000_NS6detail17trampoline_kernelINS0_14default_configENS1_20scan_config_selectorItEEZZNS1_9scan_implILNS1_25lookback_scan_determinismE0ELb1ELb1ES3_N6thrust23THRUST_200600_302600_NS6detail15normal_iteratorINS9_10device_ptrItEEEENS9_16discard_iteratorINS9_11use_defaultEEEt11max_functorItEtEEDaPvRmT3_T4_T5_mT6_P12ihipStream_tbENKUlT_T0_E_clISt17integral_constantIbLb1EESX_EEDaSS_ST_EUlSS_E_NS1_11comp_targetILNS1_3genE8ELNS1_11target_archE1030ELNS1_3gpuE2ELNS1_3repE0EEENS1_30default_config_static_selectorELNS0_4arch9wavefront6targetE1EEEvT1_,comdat
.Lfunc_end3664:
	.size	_ZN7rocprim17ROCPRIM_400000_NS6detail17trampoline_kernelINS0_14default_configENS1_20scan_config_selectorItEEZZNS1_9scan_implILNS1_25lookback_scan_determinismE0ELb1ELb1ES3_N6thrust23THRUST_200600_302600_NS6detail15normal_iteratorINS9_10device_ptrItEEEENS9_16discard_iteratorINS9_11use_defaultEEEt11max_functorItEtEEDaPvRmT3_T4_T5_mT6_P12ihipStream_tbENKUlT_T0_E_clISt17integral_constantIbLb1EESX_EEDaSS_ST_EUlSS_E_NS1_11comp_targetILNS1_3genE8ELNS1_11target_archE1030ELNS1_3gpuE2ELNS1_3repE0EEENS1_30default_config_static_selectorELNS0_4arch9wavefront6targetE1EEEvT1_, .Lfunc_end3664-_ZN7rocprim17ROCPRIM_400000_NS6detail17trampoline_kernelINS0_14default_configENS1_20scan_config_selectorItEEZZNS1_9scan_implILNS1_25lookback_scan_determinismE0ELb1ELb1ES3_N6thrust23THRUST_200600_302600_NS6detail15normal_iteratorINS9_10device_ptrItEEEENS9_16discard_iteratorINS9_11use_defaultEEEt11max_functorItEtEEDaPvRmT3_T4_T5_mT6_P12ihipStream_tbENKUlT_T0_E_clISt17integral_constantIbLb1EESX_EEDaSS_ST_EUlSS_E_NS1_11comp_targetILNS1_3genE8ELNS1_11target_archE1030ELNS1_3gpuE2ELNS1_3repE0EEENS1_30default_config_static_selectorELNS0_4arch9wavefront6targetE1EEEvT1_
                                        ; -- End function
	.section	.AMDGPU.csdata,"",@progbits
; Kernel info:
; codeLenInByte = 0
; NumSgprs: 4
; NumVgprs: 0
; NumAgprs: 0
; TotalNumVgprs: 0
; ScratchSize: 0
; MemoryBound: 0
; FloatMode: 240
; IeeeMode: 1
; LDSByteSize: 0 bytes/workgroup (compile time only)
; SGPRBlocks: 0
; VGPRBlocks: 0
; NumSGPRsForWavesPerEU: 4
; NumVGPRsForWavesPerEU: 1
; AccumOffset: 4
; Occupancy: 8
; WaveLimiterHint : 0
; COMPUTE_PGM_RSRC2:SCRATCH_EN: 0
; COMPUTE_PGM_RSRC2:USER_SGPR: 6
; COMPUTE_PGM_RSRC2:TRAP_HANDLER: 0
; COMPUTE_PGM_RSRC2:TGID_X_EN: 1
; COMPUTE_PGM_RSRC2:TGID_Y_EN: 0
; COMPUTE_PGM_RSRC2:TGID_Z_EN: 0
; COMPUTE_PGM_RSRC2:TIDIG_COMP_CNT: 0
; COMPUTE_PGM_RSRC3_GFX90A:ACCUM_OFFSET: 0
; COMPUTE_PGM_RSRC3_GFX90A:TG_SPLIT: 0
	.section	.text._ZN7rocprim17ROCPRIM_400000_NS6detail17trampoline_kernelINS0_14default_configENS1_20scan_config_selectorItEEZZNS1_9scan_implILNS1_25lookback_scan_determinismE0ELb1ELb1ES3_N6thrust23THRUST_200600_302600_NS6detail15normal_iteratorINS9_10device_ptrItEEEENS9_16discard_iteratorINS9_11use_defaultEEEt11max_functorItEtEEDaPvRmT3_T4_T5_mT6_P12ihipStream_tbENKUlT_T0_E_clISt17integral_constantIbLb1EESX_EEDaSS_ST_EUlSS_E0_NS1_11comp_targetILNS1_3genE0ELNS1_11target_archE4294967295ELNS1_3gpuE0ELNS1_3repE0EEENS1_30default_config_static_selectorELNS0_4arch9wavefront6targetE1EEEvT1_,"axG",@progbits,_ZN7rocprim17ROCPRIM_400000_NS6detail17trampoline_kernelINS0_14default_configENS1_20scan_config_selectorItEEZZNS1_9scan_implILNS1_25lookback_scan_determinismE0ELb1ELb1ES3_N6thrust23THRUST_200600_302600_NS6detail15normal_iteratorINS9_10device_ptrItEEEENS9_16discard_iteratorINS9_11use_defaultEEEt11max_functorItEtEEDaPvRmT3_T4_T5_mT6_P12ihipStream_tbENKUlT_T0_E_clISt17integral_constantIbLb1EESX_EEDaSS_ST_EUlSS_E0_NS1_11comp_targetILNS1_3genE0ELNS1_11target_archE4294967295ELNS1_3gpuE0ELNS1_3repE0EEENS1_30default_config_static_selectorELNS0_4arch9wavefront6targetE1EEEvT1_,comdat
	.protected	_ZN7rocprim17ROCPRIM_400000_NS6detail17trampoline_kernelINS0_14default_configENS1_20scan_config_selectorItEEZZNS1_9scan_implILNS1_25lookback_scan_determinismE0ELb1ELb1ES3_N6thrust23THRUST_200600_302600_NS6detail15normal_iteratorINS9_10device_ptrItEEEENS9_16discard_iteratorINS9_11use_defaultEEEt11max_functorItEtEEDaPvRmT3_T4_T5_mT6_P12ihipStream_tbENKUlT_T0_E_clISt17integral_constantIbLb1EESX_EEDaSS_ST_EUlSS_E0_NS1_11comp_targetILNS1_3genE0ELNS1_11target_archE4294967295ELNS1_3gpuE0ELNS1_3repE0EEENS1_30default_config_static_selectorELNS0_4arch9wavefront6targetE1EEEvT1_ ; -- Begin function _ZN7rocprim17ROCPRIM_400000_NS6detail17trampoline_kernelINS0_14default_configENS1_20scan_config_selectorItEEZZNS1_9scan_implILNS1_25lookback_scan_determinismE0ELb1ELb1ES3_N6thrust23THRUST_200600_302600_NS6detail15normal_iteratorINS9_10device_ptrItEEEENS9_16discard_iteratorINS9_11use_defaultEEEt11max_functorItEtEEDaPvRmT3_T4_T5_mT6_P12ihipStream_tbENKUlT_T0_E_clISt17integral_constantIbLb1EESX_EEDaSS_ST_EUlSS_E0_NS1_11comp_targetILNS1_3genE0ELNS1_11target_archE4294967295ELNS1_3gpuE0ELNS1_3repE0EEENS1_30default_config_static_selectorELNS0_4arch9wavefront6targetE1EEEvT1_
	.globl	_ZN7rocprim17ROCPRIM_400000_NS6detail17trampoline_kernelINS0_14default_configENS1_20scan_config_selectorItEEZZNS1_9scan_implILNS1_25lookback_scan_determinismE0ELb1ELb1ES3_N6thrust23THRUST_200600_302600_NS6detail15normal_iteratorINS9_10device_ptrItEEEENS9_16discard_iteratorINS9_11use_defaultEEEt11max_functorItEtEEDaPvRmT3_T4_T5_mT6_P12ihipStream_tbENKUlT_T0_E_clISt17integral_constantIbLb1EESX_EEDaSS_ST_EUlSS_E0_NS1_11comp_targetILNS1_3genE0ELNS1_11target_archE4294967295ELNS1_3gpuE0ELNS1_3repE0EEENS1_30default_config_static_selectorELNS0_4arch9wavefront6targetE1EEEvT1_
	.p2align	8
	.type	_ZN7rocprim17ROCPRIM_400000_NS6detail17trampoline_kernelINS0_14default_configENS1_20scan_config_selectorItEEZZNS1_9scan_implILNS1_25lookback_scan_determinismE0ELb1ELb1ES3_N6thrust23THRUST_200600_302600_NS6detail15normal_iteratorINS9_10device_ptrItEEEENS9_16discard_iteratorINS9_11use_defaultEEEt11max_functorItEtEEDaPvRmT3_T4_T5_mT6_P12ihipStream_tbENKUlT_T0_E_clISt17integral_constantIbLb1EESX_EEDaSS_ST_EUlSS_E0_NS1_11comp_targetILNS1_3genE0ELNS1_11target_archE4294967295ELNS1_3gpuE0ELNS1_3repE0EEENS1_30default_config_static_selectorELNS0_4arch9wavefront6targetE1EEEvT1_,@function
_ZN7rocprim17ROCPRIM_400000_NS6detail17trampoline_kernelINS0_14default_configENS1_20scan_config_selectorItEEZZNS1_9scan_implILNS1_25lookback_scan_determinismE0ELb1ELb1ES3_N6thrust23THRUST_200600_302600_NS6detail15normal_iteratorINS9_10device_ptrItEEEENS9_16discard_iteratorINS9_11use_defaultEEEt11max_functorItEtEEDaPvRmT3_T4_T5_mT6_P12ihipStream_tbENKUlT_T0_E_clISt17integral_constantIbLb1EESX_EEDaSS_ST_EUlSS_E0_NS1_11comp_targetILNS1_3genE0ELNS1_11target_archE4294967295ELNS1_3gpuE0ELNS1_3repE0EEENS1_30default_config_static_selectorELNS0_4arch9wavefront6targetE1EEEvT1_: ; @_ZN7rocprim17ROCPRIM_400000_NS6detail17trampoline_kernelINS0_14default_configENS1_20scan_config_selectorItEEZZNS1_9scan_implILNS1_25lookback_scan_determinismE0ELb1ELb1ES3_N6thrust23THRUST_200600_302600_NS6detail15normal_iteratorINS9_10device_ptrItEEEENS9_16discard_iteratorINS9_11use_defaultEEEt11max_functorItEtEEDaPvRmT3_T4_T5_mT6_P12ihipStream_tbENKUlT_T0_E_clISt17integral_constantIbLb1EESX_EEDaSS_ST_EUlSS_E0_NS1_11comp_targetILNS1_3genE0ELNS1_11target_archE4294967295ELNS1_3gpuE0ELNS1_3repE0EEENS1_30default_config_static_selectorELNS0_4arch9wavefront6targetE1EEEvT1_
; %bb.0:
	.section	.rodata,"a",@progbits
	.p2align	6, 0x0
	.amdhsa_kernel _ZN7rocprim17ROCPRIM_400000_NS6detail17trampoline_kernelINS0_14default_configENS1_20scan_config_selectorItEEZZNS1_9scan_implILNS1_25lookback_scan_determinismE0ELb1ELb1ES3_N6thrust23THRUST_200600_302600_NS6detail15normal_iteratorINS9_10device_ptrItEEEENS9_16discard_iteratorINS9_11use_defaultEEEt11max_functorItEtEEDaPvRmT3_T4_T5_mT6_P12ihipStream_tbENKUlT_T0_E_clISt17integral_constantIbLb1EESX_EEDaSS_ST_EUlSS_E0_NS1_11comp_targetILNS1_3genE0ELNS1_11target_archE4294967295ELNS1_3gpuE0ELNS1_3repE0EEENS1_30default_config_static_selectorELNS0_4arch9wavefront6targetE1EEEvT1_
		.amdhsa_group_segment_fixed_size 0
		.amdhsa_private_segment_fixed_size 0
		.amdhsa_kernarg_size 40
		.amdhsa_user_sgpr_count 6
		.amdhsa_user_sgpr_private_segment_buffer 1
		.amdhsa_user_sgpr_dispatch_ptr 0
		.amdhsa_user_sgpr_queue_ptr 0
		.amdhsa_user_sgpr_kernarg_segment_ptr 1
		.amdhsa_user_sgpr_dispatch_id 0
		.amdhsa_user_sgpr_flat_scratch_init 0
		.amdhsa_user_sgpr_kernarg_preload_length 0
		.amdhsa_user_sgpr_kernarg_preload_offset 0
		.amdhsa_user_sgpr_private_segment_size 0
		.amdhsa_uses_dynamic_stack 0
		.amdhsa_system_sgpr_private_segment_wavefront_offset 0
		.amdhsa_system_sgpr_workgroup_id_x 1
		.amdhsa_system_sgpr_workgroup_id_y 0
		.amdhsa_system_sgpr_workgroup_id_z 0
		.amdhsa_system_sgpr_workgroup_info 0
		.amdhsa_system_vgpr_workitem_id 0
		.amdhsa_next_free_vgpr 1
		.amdhsa_next_free_sgpr 0
		.amdhsa_accum_offset 4
		.amdhsa_reserve_vcc 0
		.amdhsa_reserve_flat_scratch 0
		.amdhsa_float_round_mode_32 0
		.amdhsa_float_round_mode_16_64 0
		.amdhsa_float_denorm_mode_32 3
		.amdhsa_float_denorm_mode_16_64 3
		.amdhsa_dx10_clamp 1
		.amdhsa_ieee_mode 1
		.amdhsa_fp16_overflow 0
		.amdhsa_tg_split 0
		.amdhsa_exception_fp_ieee_invalid_op 0
		.amdhsa_exception_fp_denorm_src 0
		.amdhsa_exception_fp_ieee_div_zero 0
		.amdhsa_exception_fp_ieee_overflow 0
		.amdhsa_exception_fp_ieee_underflow 0
		.amdhsa_exception_fp_ieee_inexact 0
		.amdhsa_exception_int_div_zero 0
	.end_amdhsa_kernel
	.section	.text._ZN7rocprim17ROCPRIM_400000_NS6detail17trampoline_kernelINS0_14default_configENS1_20scan_config_selectorItEEZZNS1_9scan_implILNS1_25lookback_scan_determinismE0ELb1ELb1ES3_N6thrust23THRUST_200600_302600_NS6detail15normal_iteratorINS9_10device_ptrItEEEENS9_16discard_iteratorINS9_11use_defaultEEEt11max_functorItEtEEDaPvRmT3_T4_T5_mT6_P12ihipStream_tbENKUlT_T0_E_clISt17integral_constantIbLb1EESX_EEDaSS_ST_EUlSS_E0_NS1_11comp_targetILNS1_3genE0ELNS1_11target_archE4294967295ELNS1_3gpuE0ELNS1_3repE0EEENS1_30default_config_static_selectorELNS0_4arch9wavefront6targetE1EEEvT1_,"axG",@progbits,_ZN7rocprim17ROCPRIM_400000_NS6detail17trampoline_kernelINS0_14default_configENS1_20scan_config_selectorItEEZZNS1_9scan_implILNS1_25lookback_scan_determinismE0ELb1ELb1ES3_N6thrust23THRUST_200600_302600_NS6detail15normal_iteratorINS9_10device_ptrItEEEENS9_16discard_iteratorINS9_11use_defaultEEEt11max_functorItEtEEDaPvRmT3_T4_T5_mT6_P12ihipStream_tbENKUlT_T0_E_clISt17integral_constantIbLb1EESX_EEDaSS_ST_EUlSS_E0_NS1_11comp_targetILNS1_3genE0ELNS1_11target_archE4294967295ELNS1_3gpuE0ELNS1_3repE0EEENS1_30default_config_static_selectorELNS0_4arch9wavefront6targetE1EEEvT1_,comdat
.Lfunc_end3665:
	.size	_ZN7rocprim17ROCPRIM_400000_NS6detail17trampoline_kernelINS0_14default_configENS1_20scan_config_selectorItEEZZNS1_9scan_implILNS1_25lookback_scan_determinismE0ELb1ELb1ES3_N6thrust23THRUST_200600_302600_NS6detail15normal_iteratorINS9_10device_ptrItEEEENS9_16discard_iteratorINS9_11use_defaultEEEt11max_functorItEtEEDaPvRmT3_T4_T5_mT6_P12ihipStream_tbENKUlT_T0_E_clISt17integral_constantIbLb1EESX_EEDaSS_ST_EUlSS_E0_NS1_11comp_targetILNS1_3genE0ELNS1_11target_archE4294967295ELNS1_3gpuE0ELNS1_3repE0EEENS1_30default_config_static_selectorELNS0_4arch9wavefront6targetE1EEEvT1_, .Lfunc_end3665-_ZN7rocprim17ROCPRIM_400000_NS6detail17trampoline_kernelINS0_14default_configENS1_20scan_config_selectorItEEZZNS1_9scan_implILNS1_25lookback_scan_determinismE0ELb1ELb1ES3_N6thrust23THRUST_200600_302600_NS6detail15normal_iteratorINS9_10device_ptrItEEEENS9_16discard_iteratorINS9_11use_defaultEEEt11max_functorItEtEEDaPvRmT3_T4_T5_mT6_P12ihipStream_tbENKUlT_T0_E_clISt17integral_constantIbLb1EESX_EEDaSS_ST_EUlSS_E0_NS1_11comp_targetILNS1_3genE0ELNS1_11target_archE4294967295ELNS1_3gpuE0ELNS1_3repE0EEENS1_30default_config_static_selectorELNS0_4arch9wavefront6targetE1EEEvT1_
                                        ; -- End function
	.section	.AMDGPU.csdata,"",@progbits
; Kernel info:
; codeLenInByte = 0
; NumSgprs: 4
; NumVgprs: 0
; NumAgprs: 0
; TotalNumVgprs: 0
; ScratchSize: 0
; MemoryBound: 0
; FloatMode: 240
; IeeeMode: 1
; LDSByteSize: 0 bytes/workgroup (compile time only)
; SGPRBlocks: 0
; VGPRBlocks: 0
; NumSGPRsForWavesPerEU: 4
; NumVGPRsForWavesPerEU: 1
; AccumOffset: 4
; Occupancy: 8
; WaveLimiterHint : 0
; COMPUTE_PGM_RSRC2:SCRATCH_EN: 0
; COMPUTE_PGM_RSRC2:USER_SGPR: 6
; COMPUTE_PGM_RSRC2:TRAP_HANDLER: 0
; COMPUTE_PGM_RSRC2:TGID_X_EN: 1
; COMPUTE_PGM_RSRC2:TGID_Y_EN: 0
; COMPUTE_PGM_RSRC2:TGID_Z_EN: 0
; COMPUTE_PGM_RSRC2:TIDIG_COMP_CNT: 0
; COMPUTE_PGM_RSRC3_GFX90A:ACCUM_OFFSET: 0
; COMPUTE_PGM_RSRC3_GFX90A:TG_SPLIT: 0
	.section	.text._ZN7rocprim17ROCPRIM_400000_NS6detail17trampoline_kernelINS0_14default_configENS1_20scan_config_selectorItEEZZNS1_9scan_implILNS1_25lookback_scan_determinismE0ELb1ELb1ES3_N6thrust23THRUST_200600_302600_NS6detail15normal_iteratorINS9_10device_ptrItEEEENS9_16discard_iteratorINS9_11use_defaultEEEt11max_functorItEtEEDaPvRmT3_T4_T5_mT6_P12ihipStream_tbENKUlT_T0_E_clISt17integral_constantIbLb1EESX_EEDaSS_ST_EUlSS_E0_NS1_11comp_targetILNS1_3genE5ELNS1_11target_archE942ELNS1_3gpuE9ELNS1_3repE0EEENS1_30default_config_static_selectorELNS0_4arch9wavefront6targetE1EEEvT1_,"axG",@progbits,_ZN7rocprim17ROCPRIM_400000_NS6detail17trampoline_kernelINS0_14default_configENS1_20scan_config_selectorItEEZZNS1_9scan_implILNS1_25lookback_scan_determinismE0ELb1ELb1ES3_N6thrust23THRUST_200600_302600_NS6detail15normal_iteratorINS9_10device_ptrItEEEENS9_16discard_iteratorINS9_11use_defaultEEEt11max_functorItEtEEDaPvRmT3_T4_T5_mT6_P12ihipStream_tbENKUlT_T0_E_clISt17integral_constantIbLb1EESX_EEDaSS_ST_EUlSS_E0_NS1_11comp_targetILNS1_3genE5ELNS1_11target_archE942ELNS1_3gpuE9ELNS1_3repE0EEENS1_30default_config_static_selectorELNS0_4arch9wavefront6targetE1EEEvT1_,comdat
	.protected	_ZN7rocprim17ROCPRIM_400000_NS6detail17trampoline_kernelINS0_14default_configENS1_20scan_config_selectorItEEZZNS1_9scan_implILNS1_25lookback_scan_determinismE0ELb1ELb1ES3_N6thrust23THRUST_200600_302600_NS6detail15normal_iteratorINS9_10device_ptrItEEEENS9_16discard_iteratorINS9_11use_defaultEEEt11max_functorItEtEEDaPvRmT3_T4_T5_mT6_P12ihipStream_tbENKUlT_T0_E_clISt17integral_constantIbLb1EESX_EEDaSS_ST_EUlSS_E0_NS1_11comp_targetILNS1_3genE5ELNS1_11target_archE942ELNS1_3gpuE9ELNS1_3repE0EEENS1_30default_config_static_selectorELNS0_4arch9wavefront6targetE1EEEvT1_ ; -- Begin function _ZN7rocprim17ROCPRIM_400000_NS6detail17trampoline_kernelINS0_14default_configENS1_20scan_config_selectorItEEZZNS1_9scan_implILNS1_25lookback_scan_determinismE0ELb1ELb1ES3_N6thrust23THRUST_200600_302600_NS6detail15normal_iteratorINS9_10device_ptrItEEEENS9_16discard_iteratorINS9_11use_defaultEEEt11max_functorItEtEEDaPvRmT3_T4_T5_mT6_P12ihipStream_tbENKUlT_T0_E_clISt17integral_constantIbLb1EESX_EEDaSS_ST_EUlSS_E0_NS1_11comp_targetILNS1_3genE5ELNS1_11target_archE942ELNS1_3gpuE9ELNS1_3repE0EEENS1_30default_config_static_selectorELNS0_4arch9wavefront6targetE1EEEvT1_
	.globl	_ZN7rocprim17ROCPRIM_400000_NS6detail17trampoline_kernelINS0_14default_configENS1_20scan_config_selectorItEEZZNS1_9scan_implILNS1_25lookback_scan_determinismE0ELb1ELb1ES3_N6thrust23THRUST_200600_302600_NS6detail15normal_iteratorINS9_10device_ptrItEEEENS9_16discard_iteratorINS9_11use_defaultEEEt11max_functorItEtEEDaPvRmT3_T4_T5_mT6_P12ihipStream_tbENKUlT_T0_E_clISt17integral_constantIbLb1EESX_EEDaSS_ST_EUlSS_E0_NS1_11comp_targetILNS1_3genE5ELNS1_11target_archE942ELNS1_3gpuE9ELNS1_3repE0EEENS1_30default_config_static_selectorELNS0_4arch9wavefront6targetE1EEEvT1_
	.p2align	8
	.type	_ZN7rocprim17ROCPRIM_400000_NS6detail17trampoline_kernelINS0_14default_configENS1_20scan_config_selectorItEEZZNS1_9scan_implILNS1_25lookback_scan_determinismE0ELb1ELb1ES3_N6thrust23THRUST_200600_302600_NS6detail15normal_iteratorINS9_10device_ptrItEEEENS9_16discard_iteratorINS9_11use_defaultEEEt11max_functorItEtEEDaPvRmT3_T4_T5_mT6_P12ihipStream_tbENKUlT_T0_E_clISt17integral_constantIbLb1EESX_EEDaSS_ST_EUlSS_E0_NS1_11comp_targetILNS1_3genE5ELNS1_11target_archE942ELNS1_3gpuE9ELNS1_3repE0EEENS1_30default_config_static_selectorELNS0_4arch9wavefront6targetE1EEEvT1_,@function
_ZN7rocprim17ROCPRIM_400000_NS6detail17trampoline_kernelINS0_14default_configENS1_20scan_config_selectorItEEZZNS1_9scan_implILNS1_25lookback_scan_determinismE0ELb1ELb1ES3_N6thrust23THRUST_200600_302600_NS6detail15normal_iteratorINS9_10device_ptrItEEEENS9_16discard_iteratorINS9_11use_defaultEEEt11max_functorItEtEEDaPvRmT3_T4_T5_mT6_P12ihipStream_tbENKUlT_T0_E_clISt17integral_constantIbLb1EESX_EEDaSS_ST_EUlSS_E0_NS1_11comp_targetILNS1_3genE5ELNS1_11target_archE942ELNS1_3gpuE9ELNS1_3repE0EEENS1_30default_config_static_selectorELNS0_4arch9wavefront6targetE1EEEvT1_: ; @_ZN7rocprim17ROCPRIM_400000_NS6detail17trampoline_kernelINS0_14default_configENS1_20scan_config_selectorItEEZZNS1_9scan_implILNS1_25lookback_scan_determinismE0ELb1ELb1ES3_N6thrust23THRUST_200600_302600_NS6detail15normal_iteratorINS9_10device_ptrItEEEENS9_16discard_iteratorINS9_11use_defaultEEEt11max_functorItEtEEDaPvRmT3_T4_T5_mT6_P12ihipStream_tbENKUlT_T0_E_clISt17integral_constantIbLb1EESX_EEDaSS_ST_EUlSS_E0_NS1_11comp_targetILNS1_3genE5ELNS1_11target_archE942ELNS1_3gpuE9ELNS1_3repE0EEENS1_30default_config_static_selectorELNS0_4arch9wavefront6targetE1EEEvT1_
; %bb.0:
	.section	.rodata,"a",@progbits
	.p2align	6, 0x0
	.amdhsa_kernel _ZN7rocprim17ROCPRIM_400000_NS6detail17trampoline_kernelINS0_14default_configENS1_20scan_config_selectorItEEZZNS1_9scan_implILNS1_25lookback_scan_determinismE0ELb1ELb1ES3_N6thrust23THRUST_200600_302600_NS6detail15normal_iteratorINS9_10device_ptrItEEEENS9_16discard_iteratorINS9_11use_defaultEEEt11max_functorItEtEEDaPvRmT3_T4_T5_mT6_P12ihipStream_tbENKUlT_T0_E_clISt17integral_constantIbLb1EESX_EEDaSS_ST_EUlSS_E0_NS1_11comp_targetILNS1_3genE5ELNS1_11target_archE942ELNS1_3gpuE9ELNS1_3repE0EEENS1_30default_config_static_selectorELNS0_4arch9wavefront6targetE1EEEvT1_
		.amdhsa_group_segment_fixed_size 0
		.amdhsa_private_segment_fixed_size 0
		.amdhsa_kernarg_size 40
		.amdhsa_user_sgpr_count 6
		.amdhsa_user_sgpr_private_segment_buffer 1
		.amdhsa_user_sgpr_dispatch_ptr 0
		.amdhsa_user_sgpr_queue_ptr 0
		.amdhsa_user_sgpr_kernarg_segment_ptr 1
		.amdhsa_user_sgpr_dispatch_id 0
		.amdhsa_user_sgpr_flat_scratch_init 0
		.amdhsa_user_sgpr_kernarg_preload_length 0
		.amdhsa_user_sgpr_kernarg_preload_offset 0
		.amdhsa_user_sgpr_private_segment_size 0
		.amdhsa_uses_dynamic_stack 0
		.amdhsa_system_sgpr_private_segment_wavefront_offset 0
		.amdhsa_system_sgpr_workgroup_id_x 1
		.amdhsa_system_sgpr_workgroup_id_y 0
		.amdhsa_system_sgpr_workgroup_id_z 0
		.amdhsa_system_sgpr_workgroup_info 0
		.amdhsa_system_vgpr_workitem_id 0
		.amdhsa_next_free_vgpr 1
		.amdhsa_next_free_sgpr 0
		.amdhsa_accum_offset 4
		.amdhsa_reserve_vcc 0
		.amdhsa_reserve_flat_scratch 0
		.amdhsa_float_round_mode_32 0
		.amdhsa_float_round_mode_16_64 0
		.amdhsa_float_denorm_mode_32 3
		.amdhsa_float_denorm_mode_16_64 3
		.amdhsa_dx10_clamp 1
		.amdhsa_ieee_mode 1
		.amdhsa_fp16_overflow 0
		.amdhsa_tg_split 0
		.amdhsa_exception_fp_ieee_invalid_op 0
		.amdhsa_exception_fp_denorm_src 0
		.amdhsa_exception_fp_ieee_div_zero 0
		.amdhsa_exception_fp_ieee_overflow 0
		.amdhsa_exception_fp_ieee_underflow 0
		.amdhsa_exception_fp_ieee_inexact 0
		.amdhsa_exception_int_div_zero 0
	.end_amdhsa_kernel
	.section	.text._ZN7rocprim17ROCPRIM_400000_NS6detail17trampoline_kernelINS0_14default_configENS1_20scan_config_selectorItEEZZNS1_9scan_implILNS1_25lookback_scan_determinismE0ELb1ELb1ES3_N6thrust23THRUST_200600_302600_NS6detail15normal_iteratorINS9_10device_ptrItEEEENS9_16discard_iteratorINS9_11use_defaultEEEt11max_functorItEtEEDaPvRmT3_T4_T5_mT6_P12ihipStream_tbENKUlT_T0_E_clISt17integral_constantIbLb1EESX_EEDaSS_ST_EUlSS_E0_NS1_11comp_targetILNS1_3genE5ELNS1_11target_archE942ELNS1_3gpuE9ELNS1_3repE0EEENS1_30default_config_static_selectorELNS0_4arch9wavefront6targetE1EEEvT1_,"axG",@progbits,_ZN7rocprim17ROCPRIM_400000_NS6detail17trampoline_kernelINS0_14default_configENS1_20scan_config_selectorItEEZZNS1_9scan_implILNS1_25lookback_scan_determinismE0ELb1ELb1ES3_N6thrust23THRUST_200600_302600_NS6detail15normal_iteratorINS9_10device_ptrItEEEENS9_16discard_iteratorINS9_11use_defaultEEEt11max_functorItEtEEDaPvRmT3_T4_T5_mT6_P12ihipStream_tbENKUlT_T0_E_clISt17integral_constantIbLb1EESX_EEDaSS_ST_EUlSS_E0_NS1_11comp_targetILNS1_3genE5ELNS1_11target_archE942ELNS1_3gpuE9ELNS1_3repE0EEENS1_30default_config_static_selectorELNS0_4arch9wavefront6targetE1EEEvT1_,comdat
.Lfunc_end3666:
	.size	_ZN7rocprim17ROCPRIM_400000_NS6detail17trampoline_kernelINS0_14default_configENS1_20scan_config_selectorItEEZZNS1_9scan_implILNS1_25lookback_scan_determinismE0ELb1ELb1ES3_N6thrust23THRUST_200600_302600_NS6detail15normal_iteratorINS9_10device_ptrItEEEENS9_16discard_iteratorINS9_11use_defaultEEEt11max_functorItEtEEDaPvRmT3_T4_T5_mT6_P12ihipStream_tbENKUlT_T0_E_clISt17integral_constantIbLb1EESX_EEDaSS_ST_EUlSS_E0_NS1_11comp_targetILNS1_3genE5ELNS1_11target_archE942ELNS1_3gpuE9ELNS1_3repE0EEENS1_30default_config_static_selectorELNS0_4arch9wavefront6targetE1EEEvT1_, .Lfunc_end3666-_ZN7rocprim17ROCPRIM_400000_NS6detail17trampoline_kernelINS0_14default_configENS1_20scan_config_selectorItEEZZNS1_9scan_implILNS1_25lookback_scan_determinismE0ELb1ELb1ES3_N6thrust23THRUST_200600_302600_NS6detail15normal_iteratorINS9_10device_ptrItEEEENS9_16discard_iteratorINS9_11use_defaultEEEt11max_functorItEtEEDaPvRmT3_T4_T5_mT6_P12ihipStream_tbENKUlT_T0_E_clISt17integral_constantIbLb1EESX_EEDaSS_ST_EUlSS_E0_NS1_11comp_targetILNS1_3genE5ELNS1_11target_archE942ELNS1_3gpuE9ELNS1_3repE0EEENS1_30default_config_static_selectorELNS0_4arch9wavefront6targetE1EEEvT1_
                                        ; -- End function
	.section	.AMDGPU.csdata,"",@progbits
; Kernel info:
; codeLenInByte = 0
; NumSgprs: 4
; NumVgprs: 0
; NumAgprs: 0
; TotalNumVgprs: 0
; ScratchSize: 0
; MemoryBound: 0
; FloatMode: 240
; IeeeMode: 1
; LDSByteSize: 0 bytes/workgroup (compile time only)
; SGPRBlocks: 0
; VGPRBlocks: 0
; NumSGPRsForWavesPerEU: 4
; NumVGPRsForWavesPerEU: 1
; AccumOffset: 4
; Occupancy: 8
; WaveLimiterHint : 0
; COMPUTE_PGM_RSRC2:SCRATCH_EN: 0
; COMPUTE_PGM_RSRC2:USER_SGPR: 6
; COMPUTE_PGM_RSRC2:TRAP_HANDLER: 0
; COMPUTE_PGM_RSRC2:TGID_X_EN: 1
; COMPUTE_PGM_RSRC2:TGID_Y_EN: 0
; COMPUTE_PGM_RSRC2:TGID_Z_EN: 0
; COMPUTE_PGM_RSRC2:TIDIG_COMP_CNT: 0
; COMPUTE_PGM_RSRC3_GFX90A:ACCUM_OFFSET: 0
; COMPUTE_PGM_RSRC3_GFX90A:TG_SPLIT: 0
	.section	.text._ZN7rocprim17ROCPRIM_400000_NS6detail17trampoline_kernelINS0_14default_configENS1_20scan_config_selectorItEEZZNS1_9scan_implILNS1_25lookback_scan_determinismE0ELb1ELb1ES3_N6thrust23THRUST_200600_302600_NS6detail15normal_iteratorINS9_10device_ptrItEEEENS9_16discard_iteratorINS9_11use_defaultEEEt11max_functorItEtEEDaPvRmT3_T4_T5_mT6_P12ihipStream_tbENKUlT_T0_E_clISt17integral_constantIbLb1EESX_EEDaSS_ST_EUlSS_E0_NS1_11comp_targetILNS1_3genE4ELNS1_11target_archE910ELNS1_3gpuE8ELNS1_3repE0EEENS1_30default_config_static_selectorELNS0_4arch9wavefront6targetE1EEEvT1_,"axG",@progbits,_ZN7rocprim17ROCPRIM_400000_NS6detail17trampoline_kernelINS0_14default_configENS1_20scan_config_selectorItEEZZNS1_9scan_implILNS1_25lookback_scan_determinismE0ELb1ELb1ES3_N6thrust23THRUST_200600_302600_NS6detail15normal_iteratorINS9_10device_ptrItEEEENS9_16discard_iteratorINS9_11use_defaultEEEt11max_functorItEtEEDaPvRmT3_T4_T5_mT6_P12ihipStream_tbENKUlT_T0_E_clISt17integral_constantIbLb1EESX_EEDaSS_ST_EUlSS_E0_NS1_11comp_targetILNS1_3genE4ELNS1_11target_archE910ELNS1_3gpuE8ELNS1_3repE0EEENS1_30default_config_static_selectorELNS0_4arch9wavefront6targetE1EEEvT1_,comdat
	.protected	_ZN7rocprim17ROCPRIM_400000_NS6detail17trampoline_kernelINS0_14default_configENS1_20scan_config_selectorItEEZZNS1_9scan_implILNS1_25lookback_scan_determinismE0ELb1ELb1ES3_N6thrust23THRUST_200600_302600_NS6detail15normal_iteratorINS9_10device_ptrItEEEENS9_16discard_iteratorINS9_11use_defaultEEEt11max_functorItEtEEDaPvRmT3_T4_T5_mT6_P12ihipStream_tbENKUlT_T0_E_clISt17integral_constantIbLb1EESX_EEDaSS_ST_EUlSS_E0_NS1_11comp_targetILNS1_3genE4ELNS1_11target_archE910ELNS1_3gpuE8ELNS1_3repE0EEENS1_30default_config_static_selectorELNS0_4arch9wavefront6targetE1EEEvT1_ ; -- Begin function _ZN7rocprim17ROCPRIM_400000_NS6detail17trampoline_kernelINS0_14default_configENS1_20scan_config_selectorItEEZZNS1_9scan_implILNS1_25lookback_scan_determinismE0ELb1ELb1ES3_N6thrust23THRUST_200600_302600_NS6detail15normal_iteratorINS9_10device_ptrItEEEENS9_16discard_iteratorINS9_11use_defaultEEEt11max_functorItEtEEDaPvRmT3_T4_T5_mT6_P12ihipStream_tbENKUlT_T0_E_clISt17integral_constantIbLb1EESX_EEDaSS_ST_EUlSS_E0_NS1_11comp_targetILNS1_3genE4ELNS1_11target_archE910ELNS1_3gpuE8ELNS1_3repE0EEENS1_30default_config_static_selectorELNS0_4arch9wavefront6targetE1EEEvT1_
	.globl	_ZN7rocprim17ROCPRIM_400000_NS6detail17trampoline_kernelINS0_14default_configENS1_20scan_config_selectorItEEZZNS1_9scan_implILNS1_25lookback_scan_determinismE0ELb1ELb1ES3_N6thrust23THRUST_200600_302600_NS6detail15normal_iteratorINS9_10device_ptrItEEEENS9_16discard_iteratorINS9_11use_defaultEEEt11max_functorItEtEEDaPvRmT3_T4_T5_mT6_P12ihipStream_tbENKUlT_T0_E_clISt17integral_constantIbLb1EESX_EEDaSS_ST_EUlSS_E0_NS1_11comp_targetILNS1_3genE4ELNS1_11target_archE910ELNS1_3gpuE8ELNS1_3repE0EEENS1_30default_config_static_selectorELNS0_4arch9wavefront6targetE1EEEvT1_
	.p2align	8
	.type	_ZN7rocprim17ROCPRIM_400000_NS6detail17trampoline_kernelINS0_14default_configENS1_20scan_config_selectorItEEZZNS1_9scan_implILNS1_25lookback_scan_determinismE0ELb1ELb1ES3_N6thrust23THRUST_200600_302600_NS6detail15normal_iteratorINS9_10device_ptrItEEEENS9_16discard_iteratorINS9_11use_defaultEEEt11max_functorItEtEEDaPvRmT3_T4_T5_mT6_P12ihipStream_tbENKUlT_T0_E_clISt17integral_constantIbLb1EESX_EEDaSS_ST_EUlSS_E0_NS1_11comp_targetILNS1_3genE4ELNS1_11target_archE910ELNS1_3gpuE8ELNS1_3repE0EEENS1_30default_config_static_selectorELNS0_4arch9wavefront6targetE1EEEvT1_,@function
_ZN7rocprim17ROCPRIM_400000_NS6detail17trampoline_kernelINS0_14default_configENS1_20scan_config_selectorItEEZZNS1_9scan_implILNS1_25lookback_scan_determinismE0ELb1ELb1ES3_N6thrust23THRUST_200600_302600_NS6detail15normal_iteratorINS9_10device_ptrItEEEENS9_16discard_iteratorINS9_11use_defaultEEEt11max_functorItEtEEDaPvRmT3_T4_T5_mT6_P12ihipStream_tbENKUlT_T0_E_clISt17integral_constantIbLb1EESX_EEDaSS_ST_EUlSS_E0_NS1_11comp_targetILNS1_3genE4ELNS1_11target_archE910ELNS1_3gpuE8ELNS1_3repE0EEENS1_30default_config_static_selectorELNS0_4arch9wavefront6targetE1EEEvT1_: ; @_ZN7rocprim17ROCPRIM_400000_NS6detail17trampoline_kernelINS0_14default_configENS1_20scan_config_selectorItEEZZNS1_9scan_implILNS1_25lookback_scan_determinismE0ELb1ELb1ES3_N6thrust23THRUST_200600_302600_NS6detail15normal_iteratorINS9_10device_ptrItEEEENS9_16discard_iteratorINS9_11use_defaultEEEt11max_functorItEtEEDaPvRmT3_T4_T5_mT6_P12ihipStream_tbENKUlT_T0_E_clISt17integral_constantIbLb1EESX_EEDaSS_ST_EUlSS_E0_NS1_11comp_targetILNS1_3genE4ELNS1_11target_archE910ELNS1_3gpuE8ELNS1_3repE0EEENS1_30default_config_static_selectorELNS0_4arch9wavefront6targetE1EEEvT1_
; %bb.0:
	s_load_dwordx4 s[0:3], s[4:5], 0x0
	v_mov_b32_e32 v1, 0
	s_waitcnt lgkmcnt(0)
	global_load_ushort v2, v1, s[0:1]
	v_cmp_gt_u32_e32 vcc, s2, v0
	v_lshlrev_b32_e32 v1, 1, v0
	s_waitcnt vmcnt(0)
	v_mov_b32_e32 v3, v2
	s_and_saveexec_b64 s[6:7], vcc
	s_cbranch_execz .LBB3667_2
; %bb.1:
	global_load_ushort v3, v1, s[0:1]
.LBB3667_2:
	s_or_b64 exec, exec, s[6:7]
	v_or_b32_e32 v4, 64, v0
	v_cmp_gt_u32_e32 vcc, s2, v4
	v_mov_b32_e32 v4, v2
	s_and_saveexec_b64 s[6:7], vcc
	s_cbranch_execz .LBB3667_4
; %bb.3:
	global_load_ushort v4, v1, s[0:1] offset:128
.LBB3667_4:
	s_or_b64 exec, exec, s[6:7]
	v_or_b32_e32 v5, 0x80, v0
	v_cmp_gt_u32_e32 vcc, s2, v5
	v_mov_b32_e32 v5, v2
	s_and_saveexec_b64 s[6:7], vcc
	s_cbranch_execz .LBB3667_6
; %bb.5:
	global_load_ushort v5, v1, s[0:1] offset:256
.LBB3667_6:
	;; [unrolled: 9-line block ×22, first 2 shown]
	s_or_b64 exec, exec, s[6:7]
	s_load_dword s4, s[4:5], 0x10
	v_or_b32_e32 v26, 0x5c0, v0
	v_cmp_gt_u32_e32 vcc, s2, v26
	s_and_saveexec_b64 s[2:3], vcc
	s_cbranch_execz .LBB3667_48
; %bb.47:
	global_load_ushort v2, v1, s[0:1] offset:2944
.LBB3667_48:
	s_or_b64 exec, exec, s[2:3]
	s_waitcnt vmcnt(0)
	ds_write_b16 v1, v3
	ds_write_b16 v1, v4 offset:128
	ds_write_b16 v1, v5 offset:256
	ds_write_b16 v1, v6 offset:384
	ds_write_b16 v1, v7 offset:512
	ds_write_b16 v1, v8 offset:640
	ds_write_b16 v1, v9 offset:768
	ds_write_b16 v1, v10 offset:896
	ds_write_b16 v1, v11 offset:1024
	ds_write_b16 v1, v12 offset:1152
	ds_write_b16 v1, v13 offset:1280
	ds_write_b16 v1, v14 offset:1408
	ds_write_b16 v1, v15 offset:1536
	ds_write_b16 v1, v16 offset:1664
	ds_write_b16 v1, v17 offset:1792
	ds_write_b16 v1, v18 offset:1920
	ds_write_b16 v1, v19 offset:2048
	ds_write_b16 v1, v20 offset:2176
	ds_write_b16 v1, v21 offset:2304
	ds_write_b16 v1, v22 offset:2432
	ds_write_b16 v1, v23 offset:2560
	ds_write_b16 v1, v24 offset:2688
	ds_write_b16 v1, v25 offset:2816
	ds_write_b16 v1, v2 offset:2944
	v_mad_u32_u24 v2, v0, 46, v1
	s_waitcnt lgkmcnt(0)
	; wave barrier
	s_waitcnt lgkmcnt(0)
	ds_read_b128 v[10:13], v2
	ds_read_b128 v[6:9], v2 offset:16
	ds_read_b128 v[2:5], v2 offset:32
	v_mul_u32_u24_e32 v14, 46, v0
	s_waitcnt lgkmcnt(0)
	; wave barrier
	s_waitcnt lgkmcnt(0)
	v_lshrrev_b32_e32 v24, 16, v11
	v_max_u16_sdwa v26, v10, v10 dst_sel:DWORD dst_unused:UNUSED_PAD src0_sel:DWORD src1_sel:WORD_1
	v_lshrrev_b32_e32 v23, 16, v12
	v_max3_u16 v26, v26, v11, v24
	v_lshrrev_b32_e32 v22, 16, v13
	v_max3_u16 v26, v26, v12, v23
	;; [unrolled: 2-line block ×10, first 2 shown]
	v_max3_u16 v26, v26, v5, v25
	v_mbcnt_lo_u32_b32 v25, -1, 0
	v_mbcnt_hi_u32_b32 v25, -1, v25
	v_and_b32_e32 v28, 0xffff, v26
	v_and_b32_e32 v27, 15, v25
	v_cmp_eq_u32_e32 vcc, 0, v27
	v_mov_b32_dpp v28, v28 row_shr:1 row_mask:0xf bank_mask:0xf
	v_max_u16_e32 v28, v28, v26
	v_cndmask_b32_e32 v26, v28, v26, vcc
	v_and_b32_e32 v28, 0xffff, v26
	v_cmp_lt_u32_e32 vcc, 1, v27
	s_nop 0
	v_mov_b32_dpp v28, v28 row_shr:2 row_mask:0xf bank_mask:0xf
	v_max_u16_e32 v28, v28, v26
	v_cndmask_b32_e32 v26, v26, v28, vcc
	v_and_b32_e32 v28, 0xffff, v26
	v_cmp_lt_u32_e32 vcc, 3, v27
	s_nop 0
	;; [unrolled: 6-line block ×3, first 2 shown]
	v_mov_b32_dpp v28, v28 row_shr:8 row_mask:0xf bank_mask:0xf
	v_max_u16_e32 v28, v28, v26
	v_cndmask_b32_e32 v26, v26, v28, vcc
	v_and_b32_e32 v27, 0xffff, v26
	v_and_b32_e32 v28, 16, v25
	v_cmp_eq_u32_e32 vcc, 0, v28
	v_mov_b32_dpp v27, v27 row_bcast:15 row_mask:0xf bank_mask:0xf
	v_max_u16_e32 v27, v27, v26
	v_cndmask_b32_e32 v26, v27, v26, vcc
	v_and_b32_e32 v27, 0xffff, v26
	v_cmp_lt_u32_e32 vcc, 31, v25
	s_nop 0
	v_mov_b32_dpp v27, v27 row_bcast:31 row_mask:0xf bank_mask:0xf
	v_max_u16_e32 v27, v27, v26
	v_cndmask_b32_e32 v26, v26, v27, vcc
	v_cmp_eq_u32_e32 vcc, 63, v0
	s_and_saveexec_b64 s[0:1], vcc
	s_cbranch_execz .LBB3667_50
; %bb.49:
	v_mov_b32_e32 v27, 0
	ds_write_b16 v27, v26
.LBB3667_50:
	s_or_b64 exec, exec, s[0:1]
	v_add_u32_e32 v27, -1, v25
	v_and_b32_e32 v28, 64, v25
	v_cmp_lt_i32_e32 vcc, v27, v28
	v_cndmask_b32_e32 v27, v27, v25, vcc
	v_max_u16_e32 v26, s4, v26
	v_lshlrev_b32_e32 v27, 2, v27
	ds_bpermute_b32 v26, v27, v26
	v_cmp_eq_u32_e32 vcc, 0, v25
	v_cmp_eq_u32_e64 s[0:1], 0, v0
	v_mov_b32_e32 v0, s4
	s_or_b64 vcc, s[0:1], vcc
	s_waitcnt lgkmcnt(0)
	v_cndmask_b32_e32 v0, v26, v0, vcc
	v_max_u16_e32 v25, v0, v10
	v_max_u16_sdwa v10, v25, v10 dst_sel:DWORD dst_unused:UNUSED_PAD src0_sel:DWORD src1_sel:WORD_1
	v_max_u16_e32 v11, v10, v11
	v_max_u16_e32 v24, v11, v24
	;; [unrolled: 1-line block ×19, first 2 shown]
	s_mov_b32 s0, 0x5040100
	v_max_u16_e32 v15, v4, v15
	v_add_u32_e32 v14, v1, v14
	v_perm_b32 v0, v25, v0, s0
	v_perm_b32 v1, v11, v10, s0
	;; [unrolled: 1-line block ×4, first 2 shown]
	s_waitcnt lgkmcnt(0)
	; wave barrier
	v_max_u16_e32 v5, v15, v5
	s_waitcnt lgkmcnt(0)
	; wave barrier
	ds_write_b128 v14, v[0:3]
	v_perm_b32 v0, v6, v22, s0
	v_perm_b32 v1, v7, v21, s0
	;; [unrolled: 1-line block ×4, first 2 shown]
	ds_write_b128 v14, v[0:3] offset:16
	v_perm_b32 v0, v26, v18, s0
	v_perm_b32 v1, v27, v17, s0
	v_perm_b32 v2, v4, v16, s0
	v_perm_b32 v3, v5, v15, s0
	ds_write_b128 v14, v[0:3] offset:32
	s_waitcnt lgkmcnt(0)
	; wave barrier
	s_waitcnt lgkmcnt(0)
	s_endpgm
	.section	.rodata,"a",@progbits
	.p2align	6, 0x0
	.amdhsa_kernel _ZN7rocprim17ROCPRIM_400000_NS6detail17trampoline_kernelINS0_14default_configENS1_20scan_config_selectorItEEZZNS1_9scan_implILNS1_25lookback_scan_determinismE0ELb1ELb1ES3_N6thrust23THRUST_200600_302600_NS6detail15normal_iteratorINS9_10device_ptrItEEEENS9_16discard_iteratorINS9_11use_defaultEEEt11max_functorItEtEEDaPvRmT3_T4_T5_mT6_P12ihipStream_tbENKUlT_T0_E_clISt17integral_constantIbLb1EESX_EEDaSS_ST_EUlSS_E0_NS1_11comp_targetILNS1_3genE4ELNS1_11target_archE910ELNS1_3gpuE8ELNS1_3repE0EEENS1_30default_config_static_selectorELNS0_4arch9wavefront6targetE1EEEvT1_
		.amdhsa_group_segment_fixed_size 3072
		.amdhsa_private_segment_fixed_size 0
		.amdhsa_kernarg_size 40
		.amdhsa_user_sgpr_count 6
		.amdhsa_user_sgpr_private_segment_buffer 1
		.amdhsa_user_sgpr_dispatch_ptr 0
		.amdhsa_user_sgpr_queue_ptr 0
		.amdhsa_user_sgpr_kernarg_segment_ptr 1
		.amdhsa_user_sgpr_dispatch_id 0
		.amdhsa_user_sgpr_flat_scratch_init 0
		.amdhsa_user_sgpr_kernarg_preload_length 0
		.amdhsa_user_sgpr_kernarg_preload_offset 0
		.amdhsa_user_sgpr_private_segment_size 0
		.amdhsa_uses_dynamic_stack 0
		.amdhsa_system_sgpr_private_segment_wavefront_offset 0
		.amdhsa_system_sgpr_workgroup_id_x 1
		.amdhsa_system_sgpr_workgroup_id_y 0
		.amdhsa_system_sgpr_workgroup_id_z 0
		.amdhsa_system_sgpr_workgroup_info 0
		.amdhsa_system_vgpr_workitem_id 0
		.amdhsa_next_free_vgpr 29
		.amdhsa_next_free_sgpr 8
		.amdhsa_accum_offset 32
		.amdhsa_reserve_vcc 1
		.amdhsa_reserve_flat_scratch 0
		.amdhsa_float_round_mode_32 0
		.amdhsa_float_round_mode_16_64 0
		.amdhsa_float_denorm_mode_32 3
		.amdhsa_float_denorm_mode_16_64 3
		.amdhsa_dx10_clamp 1
		.amdhsa_ieee_mode 1
		.amdhsa_fp16_overflow 0
		.amdhsa_tg_split 0
		.amdhsa_exception_fp_ieee_invalid_op 0
		.amdhsa_exception_fp_denorm_src 0
		.amdhsa_exception_fp_ieee_div_zero 0
		.amdhsa_exception_fp_ieee_overflow 0
		.amdhsa_exception_fp_ieee_underflow 0
		.amdhsa_exception_fp_ieee_inexact 0
		.amdhsa_exception_int_div_zero 0
	.end_amdhsa_kernel
	.section	.text._ZN7rocprim17ROCPRIM_400000_NS6detail17trampoline_kernelINS0_14default_configENS1_20scan_config_selectorItEEZZNS1_9scan_implILNS1_25lookback_scan_determinismE0ELb1ELb1ES3_N6thrust23THRUST_200600_302600_NS6detail15normal_iteratorINS9_10device_ptrItEEEENS9_16discard_iteratorINS9_11use_defaultEEEt11max_functorItEtEEDaPvRmT3_T4_T5_mT6_P12ihipStream_tbENKUlT_T0_E_clISt17integral_constantIbLb1EESX_EEDaSS_ST_EUlSS_E0_NS1_11comp_targetILNS1_3genE4ELNS1_11target_archE910ELNS1_3gpuE8ELNS1_3repE0EEENS1_30default_config_static_selectorELNS0_4arch9wavefront6targetE1EEEvT1_,"axG",@progbits,_ZN7rocprim17ROCPRIM_400000_NS6detail17trampoline_kernelINS0_14default_configENS1_20scan_config_selectorItEEZZNS1_9scan_implILNS1_25lookback_scan_determinismE0ELb1ELb1ES3_N6thrust23THRUST_200600_302600_NS6detail15normal_iteratorINS9_10device_ptrItEEEENS9_16discard_iteratorINS9_11use_defaultEEEt11max_functorItEtEEDaPvRmT3_T4_T5_mT6_P12ihipStream_tbENKUlT_T0_E_clISt17integral_constantIbLb1EESX_EEDaSS_ST_EUlSS_E0_NS1_11comp_targetILNS1_3genE4ELNS1_11target_archE910ELNS1_3gpuE8ELNS1_3repE0EEENS1_30default_config_static_selectorELNS0_4arch9wavefront6targetE1EEEvT1_,comdat
.Lfunc_end3667:
	.size	_ZN7rocprim17ROCPRIM_400000_NS6detail17trampoline_kernelINS0_14default_configENS1_20scan_config_selectorItEEZZNS1_9scan_implILNS1_25lookback_scan_determinismE0ELb1ELb1ES3_N6thrust23THRUST_200600_302600_NS6detail15normal_iteratorINS9_10device_ptrItEEEENS9_16discard_iteratorINS9_11use_defaultEEEt11max_functorItEtEEDaPvRmT3_T4_T5_mT6_P12ihipStream_tbENKUlT_T0_E_clISt17integral_constantIbLb1EESX_EEDaSS_ST_EUlSS_E0_NS1_11comp_targetILNS1_3genE4ELNS1_11target_archE910ELNS1_3gpuE8ELNS1_3repE0EEENS1_30default_config_static_selectorELNS0_4arch9wavefront6targetE1EEEvT1_, .Lfunc_end3667-_ZN7rocprim17ROCPRIM_400000_NS6detail17trampoline_kernelINS0_14default_configENS1_20scan_config_selectorItEEZZNS1_9scan_implILNS1_25lookback_scan_determinismE0ELb1ELb1ES3_N6thrust23THRUST_200600_302600_NS6detail15normal_iteratorINS9_10device_ptrItEEEENS9_16discard_iteratorINS9_11use_defaultEEEt11max_functorItEtEEDaPvRmT3_T4_T5_mT6_P12ihipStream_tbENKUlT_T0_E_clISt17integral_constantIbLb1EESX_EEDaSS_ST_EUlSS_E0_NS1_11comp_targetILNS1_3genE4ELNS1_11target_archE910ELNS1_3gpuE8ELNS1_3repE0EEENS1_30default_config_static_selectorELNS0_4arch9wavefront6targetE1EEEvT1_
                                        ; -- End function
	.section	.AMDGPU.csdata,"",@progbits
; Kernel info:
; codeLenInByte = 1820
; NumSgprs: 12
; NumVgprs: 29
; NumAgprs: 0
; TotalNumVgprs: 29
; ScratchSize: 0
; MemoryBound: 0
; FloatMode: 240
; IeeeMode: 1
; LDSByteSize: 3072 bytes/workgroup (compile time only)
; SGPRBlocks: 1
; VGPRBlocks: 3
; NumSGPRsForWavesPerEU: 12
; NumVGPRsForWavesPerEU: 29
; AccumOffset: 32
; Occupancy: 6
; WaveLimiterHint : 0
; COMPUTE_PGM_RSRC2:SCRATCH_EN: 0
; COMPUTE_PGM_RSRC2:USER_SGPR: 6
; COMPUTE_PGM_RSRC2:TRAP_HANDLER: 0
; COMPUTE_PGM_RSRC2:TGID_X_EN: 1
; COMPUTE_PGM_RSRC2:TGID_Y_EN: 0
; COMPUTE_PGM_RSRC2:TGID_Z_EN: 0
; COMPUTE_PGM_RSRC2:TIDIG_COMP_CNT: 0
; COMPUTE_PGM_RSRC3_GFX90A:ACCUM_OFFSET: 7
; COMPUTE_PGM_RSRC3_GFX90A:TG_SPLIT: 0
	.section	.text._ZN7rocprim17ROCPRIM_400000_NS6detail17trampoline_kernelINS0_14default_configENS1_20scan_config_selectorItEEZZNS1_9scan_implILNS1_25lookback_scan_determinismE0ELb1ELb1ES3_N6thrust23THRUST_200600_302600_NS6detail15normal_iteratorINS9_10device_ptrItEEEENS9_16discard_iteratorINS9_11use_defaultEEEt11max_functorItEtEEDaPvRmT3_T4_T5_mT6_P12ihipStream_tbENKUlT_T0_E_clISt17integral_constantIbLb1EESX_EEDaSS_ST_EUlSS_E0_NS1_11comp_targetILNS1_3genE3ELNS1_11target_archE908ELNS1_3gpuE7ELNS1_3repE0EEENS1_30default_config_static_selectorELNS0_4arch9wavefront6targetE1EEEvT1_,"axG",@progbits,_ZN7rocprim17ROCPRIM_400000_NS6detail17trampoline_kernelINS0_14default_configENS1_20scan_config_selectorItEEZZNS1_9scan_implILNS1_25lookback_scan_determinismE0ELb1ELb1ES3_N6thrust23THRUST_200600_302600_NS6detail15normal_iteratorINS9_10device_ptrItEEEENS9_16discard_iteratorINS9_11use_defaultEEEt11max_functorItEtEEDaPvRmT3_T4_T5_mT6_P12ihipStream_tbENKUlT_T0_E_clISt17integral_constantIbLb1EESX_EEDaSS_ST_EUlSS_E0_NS1_11comp_targetILNS1_3genE3ELNS1_11target_archE908ELNS1_3gpuE7ELNS1_3repE0EEENS1_30default_config_static_selectorELNS0_4arch9wavefront6targetE1EEEvT1_,comdat
	.protected	_ZN7rocprim17ROCPRIM_400000_NS6detail17trampoline_kernelINS0_14default_configENS1_20scan_config_selectorItEEZZNS1_9scan_implILNS1_25lookback_scan_determinismE0ELb1ELb1ES3_N6thrust23THRUST_200600_302600_NS6detail15normal_iteratorINS9_10device_ptrItEEEENS9_16discard_iteratorINS9_11use_defaultEEEt11max_functorItEtEEDaPvRmT3_T4_T5_mT6_P12ihipStream_tbENKUlT_T0_E_clISt17integral_constantIbLb1EESX_EEDaSS_ST_EUlSS_E0_NS1_11comp_targetILNS1_3genE3ELNS1_11target_archE908ELNS1_3gpuE7ELNS1_3repE0EEENS1_30default_config_static_selectorELNS0_4arch9wavefront6targetE1EEEvT1_ ; -- Begin function _ZN7rocprim17ROCPRIM_400000_NS6detail17trampoline_kernelINS0_14default_configENS1_20scan_config_selectorItEEZZNS1_9scan_implILNS1_25lookback_scan_determinismE0ELb1ELb1ES3_N6thrust23THRUST_200600_302600_NS6detail15normal_iteratorINS9_10device_ptrItEEEENS9_16discard_iteratorINS9_11use_defaultEEEt11max_functorItEtEEDaPvRmT3_T4_T5_mT6_P12ihipStream_tbENKUlT_T0_E_clISt17integral_constantIbLb1EESX_EEDaSS_ST_EUlSS_E0_NS1_11comp_targetILNS1_3genE3ELNS1_11target_archE908ELNS1_3gpuE7ELNS1_3repE0EEENS1_30default_config_static_selectorELNS0_4arch9wavefront6targetE1EEEvT1_
	.globl	_ZN7rocprim17ROCPRIM_400000_NS6detail17trampoline_kernelINS0_14default_configENS1_20scan_config_selectorItEEZZNS1_9scan_implILNS1_25lookback_scan_determinismE0ELb1ELb1ES3_N6thrust23THRUST_200600_302600_NS6detail15normal_iteratorINS9_10device_ptrItEEEENS9_16discard_iteratorINS9_11use_defaultEEEt11max_functorItEtEEDaPvRmT3_T4_T5_mT6_P12ihipStream_tbENKUlT_T0_E_clISt17integral_constantIbLb1EESX_EEDaSS_ST_EUlSS_E0_NS1_11comp_targetILNS1_3genE3ELNS1_11target_archE908ELNS1_3gpuE7ELNS1_3repE0EEENS1_30default_config_static_selectorELNS0_4arch9wavefront6targetE1EEEvT1_
	.p2align	8
	.type	_ZN7rocprim17ROCPRIM_400000_NS6detail17trampoline_kernelINS0_14default_configENS1_20scan_config_selectorItEEZZNS1_9scan_implILNS1_25lookback_scan_determinismE0ELb1ELb1ES3_N6thrust23THRUST_200600_302600_NS6detail15normal_iteratorINS9_10device_ptrItEEEENS9_16discard_iteratorINS9_11use_defaultEEEt11max_functorItEtEEDaPvRmT3_T4_T5_mT6_P12ihipStream_tbENKUlT_T0_E_clISt17integral_constantIbLb1EESX_EEDaSS_ST_EUlSS_E0_NS1_11comp_targetILNS1_3genE3ELNS1_11target_archE908ELNS1_3gpuE7ELNS1_3repE0EEENS1_30default_config_static_selectorELNS0_4arch9wavefront6targetE1EEEvT1_,@function
_ZN7rocprim17ROCPRIM_400000_NS6detail17trampoline_kernelINS0_14default_configENS1_20scan_config_selectorItEEZZNS1_9scan_implILNS1_25lookback_scan_determinismE0ELb1ELb1ES3_N6thrust23THRUST_200600_302600_NS6detail15normal_iteratorINS9_10device_ptrItEEEENS9_16discard_iteratorINS9_11use_defaultEEEt11max_functorItEtEEDaPvRmT3_T4_T5_mT6_P12ihipStream_tbENKUlT_T0_E_clISt17integral_constantIbLb1EESX_EEDaSS_ST_EUlSS_E0_NS1_11comp_targetILNS1_3genE3ELNS1_11target_archE908ELNS1_3gpuE7ELNS1_3repE0EEENS1_30default_config_static_selectorELNS0_4arch9wavefront6targetE1EEEvT1_: ; @_ZN7rocprim17ROCPRIM_400000_NS6detail17trampoline_kernelINS0_14default_configENS1_20scan_config_selectorItEEZZNS1_9scan_implILNS1_25lookback_scan_determinismE0ELb1ELb1ES3_N6thrust23THRUST_200600_302600_NS6detail15normal_iteratorINS9_10device_ptrItEEEENS9_16discard_iteratorINS9_11use_defaultEEEt11max_functorItEtEEDaPvRmT3_T4_T5_mT6_P12ihipStream_tbENKUlT_T0_E_clISt17integral_constantIbLb1EESX_EEDaSS_ST_EUlSS_E0_NS1_11comp_targetILNS1_3genE3ELNS1_11target_archE908ELNS1_3gpuE7ELNS1_3repE0EEENS1_30default_config_static_selectorELNS0_4arch9wavefront6targetE1EEEvT1_
; %bb.0:
	.section	.rodata,"a",@progbits
	.p2align	6, 0x0
	.amdhsa_kernel _ZN7rocprim17ROCPRIM_400000_NS6detail17trampoline_kernelINS0_14default_configENS1_20scan_config_selectorItEEZZNS1_9scan_implILNS1_25lookback_scan_determinismE0ELb1ELb1ES3_N6thrust23THRUST_200600_302600_NS6detail15normal_iteratorINS9_10device_ptrItEEEENS9_16discard_iteratorINS9_11use_defaultEEEt11max_functorItEtEEDaPvRmT3_T4_T5_mT6_P12ihipStream_tbENKUlT_T0_E_clISt17integral_constantIbLb1EESX_EEDaSS_ST_EUlSS_E0_NS1_11comp_targetILNS1_3genE3ELNS1_11target_archE908ELNS1_3gpuE7ELNS1_3repE0EEENS1_30default_config_static_selectorELNS0_4arch9wavefront6targetE1EEEvT1_
		.amdhsa_group_segment_fixed_size 0
		.amdhsa_private_segment_fixed_size 0
		.amdhsa_kernarg_size 40
		.amdhsa_user_sgpr_count 6
		.amdhsa_user_sgpr_private_segment_buffer 1
		.amdhsa_user_sgpr_dispatch_ptr 0
		.amdhsa_user_sgpr_queue_ptr 0
		.amdhsa_user_sgpr_kernarg_segment_ptr 1
		.amdhsa_user_sgpr_dispatch_id 0
		.amdhsa_user_sgpr_flat_scratch_init 0
		.amdhsa_user_sgpr_kernarg_preload_length 0
		.amdhsa_user_sgpr_kernarg_preload_offset 0
		.amdhsa_user_sgpr_private_segment_size 0
		.amdhsa_uses_dynamic_stack 0
		.amdhsa_system_sgpr_private_segment_wavefront_offset 0
		.amdhsa_system_sgpr_workgroup_id_x 1
		.amdhsa_system_sgpr_workgroup_id_y 0
		.amdhsa_system_sgpr_workgroup_id_z 0
		.amdhsa_system_sgpr_workgroup_info 0
		.amdhsa_system_vgpr_workitem_id 0
		.amdhsa_next_free_vgpr 1
		.amdhsa_next_free_sgpr 0
		.amdhsa_accum_offset 4
		.amdhsa_reserve_vcc 0
		.amdhsa_reserve_flat_scratch 0
		.amdhsa_float_round_mode_32 0
		.amdhsa_float_round_mode_16_64 0
		.amdhsa_float_denorm_mode_32 3
		.amdhsa_float_denorm_mode_16_64 3
		.amdhsa_dx10_clamp 1
		.amdhsa_ieee_mode 1
		.amdhsa_fp16_overflow 0
		.amdhsa_tg_split 0
		.amdhsa_exception_fp_ieee_invalid_op 0
		.amdhsa_exception_fp_denorm_src 0
		.amdhsa_exception_fp_ieee_div_zero 0
		.amdhsa_exception_fp_ieee_overflow 0
		.amdhsa_exception_fp_ieee_underflow 0
		.amdhsa_exception_fp_ieee_inexact 0
		.amdhsa_exception_int_div_zero 0
	.end_amdhsa_kernel
	.section	.text._ZN7rocprim17ROCPRIM_400000_NS6detail17trampoline_kernelINS0_14default_configENS1_20scan_config_selectorItEEZZNS1_9scan_implILNS1_25lookback_scan_determinismE0ELb1ELb1ES3_N6thrust23THRUST_200600_302600_NS6detail15normal_iteratorINS9_10device_ptrItEEEENS9_16discard_iteratorINS9_11use_defaultEEEt11max_functorItEtEEDaPvRmT3_T4_T5_mT6_P12ihipStream_tbENKUlT_T0_E_clISt17integral_constantIbLb1EESX_EEDaSS_ST_EUlSS_E0_NS1_11comp_targetILNS1_3genE3ELNS1_11target_archE908ELNS1_3gpuE7ELNS1_3repE0EEENS1_30default_config_static_selectorELNS0_4arch9wavefront6targetE1EEEvT1_,"axG",@progbits,_ZN7rocprim17ROCPRIM_400000_NS6detail17trampoline_kernelINS0_14default_configENS1_20scan_config_selectorItEEZZNS1_9scan_implILNS1_25lookback_scan_determinismE0ELb1ELb1ES3_N6thrust23THRUST_200600_302600_NS6detail15normal_iteratorINS9_10device_ptrItEEEENS9_16discard_iteratorINS9_11use_defaultEEEt11max_functorItEtEEDaPvRmT3_T4_T5_mT6_P12ihipStream_tbENKUlT_T0_E_clISt17integral_constantIbLb1EESX_EEDaSS_ST_EUlSS_E0_NS1_11comp_targetILNS1_3genE3ELNS1_11target_archE908ELNS1_3gpuE7ELNS1_3repE0EEENS1_30default_config_static_selectorELNS0_4arch9wavefront6targetE1EEEvT1_,comdat
.Lfunc_end3668:
	.size	_ZN7rocprim17ROCPRIM_400000_NS6detail17trampoline_kernelINS0_14default_configENS1_20scan_config_selectorItEEZZNS1_9scan_implILNS1_25lookback_scan_determinismE0ELb1ELb1ES3_N6thrust23THRUST_200600_302600_NS6detail15normal_iteratorINS9_10device_ptrItEEEENS9_16discard_iteratorINS9_11use_defaultEEEt11max_functorItEtEEDaPvRmT3_T4_T5_mT6_P12ihipStream_tbENKUlT_T0_E_clISt17integral_constantIbLb1EESX_EEDaSS_ST_EUlSS_E0_NS1_11comp_targetILNS1_3genE3ELNS1_11target_archE908ELNS1_3gpuE7ELNS1_3repE0EEENS1_30default_config_static_selectorELNS0_4arch9wavefront6targetE1EEEvT1_, .Lfunc_end3668-_ZN7rocprim17ROCPRIM_400000_NS6detail17trampoline_kernelINS0_14default_configENS1_20scan_config_selectorItEEZZNS1_9scan_implILNS1_25lookback_scan_determinismE0ELb1ELb1ES3_N6thrust23THRUST_200600_302600_NS6detail15normal_iteratorINS9_10device_ptrItEEEENS9_16discard_iteratorINS9_11use_defaultEEEt11max_functorItEtEEDaPvRmT3_T4_T5_mT6_P12ihipStream_tbENKUlT_T0_E_clISt17integral_constantIbLb1EESX_EEDaSS_ST_EUlSS_E0_NS1_11comp_targetILNS1_3genE3ELNS1_11target_archE908ELNS1_3gpuE7ELNS1_3repE0EEENS1_30default_config_static_selectorELNS0_4arch9wavefront6targetE1EEEvT1_
                                        ; -- End function
	.section	.AMDGPU.csdata,"",@progbits
; Kernel info:
; codeLenInByte = 0
; NumSgprs: 4
; NumVgprs: 0
; NumAgprs: 0
; TotalNumVgprs: 0
; ScratchSize: 0
; MemoryBound: 0
; FloatMode: 240
; IeeeMode: 1
; LDSByteSize: 0 bytes/workgroup (compile time only)
; SGPRBlocks: 0
; VGPRBlocks: 0
; NumSGPRsForWavesPerEU: 4
; NumVGPRsForWavesPerEU: 1
; AccumOffset: 4
; Occupancy: 8
; WaveLimiterHint : 0
; COMPUTE_PGM_RSRC2:SCRATCH_EN: 0
; COMPUTE_PGM_RSRC2:USER_SGPR: 6
; COMPUTE_PGM_RSRC2:TRAP_HANDLER: 0
; COMPUTE_PGM_RSRC2:TGID_X_EN: 1
; COMPUTE_PGM_RSRC2:TGID_Y_EN: 0
; COMPUTE_PGM_RSRC2:TGID_Z_EN: 0
; COMPUTE_PGM_RSRC2:TIDIG_COMP_CNT: 0
; COMPUTE_PGM_RSRC3_GFX90A:ACCUM_OFFSET: 0
; COMPUTE_PGM_RSRC3_GFX90A:TG_SPLIT: 0
	.section	.text._ZN7rocprim17ROCPRIM_400000_NS6detail17trampoline_kernelINS0_14default_configENS1_20scan_config_selectorItEEZZNS1_9scan_implILNS1_25lookback_scan_determinismE0ELb1ELb1ES3_N6thrust23THRUST_200600_302600_NS6detail15normal_iteratorINS9_10device_ptrItEEEENS9_16discard_iteratorINS9_11use_defaultEEEt11max_functorItEtEEDaPvRmT3_T4_T5_mT6_P12ihipStream_tbENKUlT_T0_E_clISt17integral_constantIbLb1EESX_EEDaSS_ST_EUlSS_E0_NS1_11comp_targetILNS1_3genE2ELNS1_11target_archE906ELNS1_3gpuE6ELNS1_3repE0EEENS1_30default_config_static_selectorELNS0_4arch9wavefront6targetE1EEEvT1_,"axG",@progbits,_ZN7rocprim17ROCPRIM_400000_NS6detail17trampoline_kernelINS0_14default_configENS1_20scan_config_selectorItEEZZNS1_9scan_implILNS1_25lookback_scan_determinismE0ELb1ELb1ES3_N6thrust23THRUST_200600_302600_NS6detail15normal_iteratorINS9_10device_ptrItEEEENS9_16discard_iteratorINS9_11use_defaultEEEt11max_functorItEtEEDaPvRmT3_T4_T5_mT6_P12ihipStream_tbENKUlT_T0_E_clISt17integral_constantIbLb1EESX_EEDaSS_ST_EUlSS_E0_NS1_11comp_targetILNS1_3genE2ELNS1_11target_archE906ELNS1_3gpuE6ELNS1_3repE0EEENS1_30default_config_static_selectorELNS0_4arch9wavefront6targetE1EEEvT1_,comdat
	.protected	_ZN7rocprim17ROCPRIM_400000_NS6detail17trampoline_kernelINS0_14default_configENS1_20scan_config_selectorItEEZZNS1_9scan_implILNS1_25lookback_scan_determinismE0ELb1ELb1ES3_N6thrust23THRUST_200600_302600_NS6detail15normal_iteratorINS9_10device_ptrItEEEENS9_16discard_iteratorINS9_11use_defaultEEEt11max_functorItEtEEDaPvRmT3_T4_T5_mT6_P12ihipStream_tbENKUlT_T0_E_clISt17integral_constantIbLb1EESX_EEDaSS_ST_EUlSS_E0_NS1_11comp_targetILNS1_3genE2ELNS1_11target_archE906ELNS1_3gpuE6ELNS1_3repE0EEENS1_30default_config_static_selectorELNS0_4arch9wavefront6targetE1EEEvT1_ ; -- Begin function _ZN7rocprim17ROCPRIM_400000_NS6detail17trampoline_kernelINS0_14default_configENS1_20scan_config_selectorItEEZZNS1_9scan_implILNS1_25lookback_scan_determinismE0ELb1ELb1ES3_N6thrust23THRUST_200600_302600_NS6detail15normal_iteratorINS9_10device_ptrItEEEENS9_16discard_iteratorINS9_11use_defaultEEEt11max_functorItEtEEDaPvRmT3_T4_T5_mT6_P12ihipStream_tbENKUlT_T0_E_clISt17integral_constantIbLb1EESX_EEDaSS_ST_EUlSS_E0_NS1_11comp_targetILNS1_3genE2ELNS1_11target_archE906ELNS1_3gpuE6ELNS1_3repE0EEENS1_30default_config_static_selectorELNS0_4arch9wavefront6targetE1EEEvT1_
	.globl	_ZN7rocprim17ROCPRIM_400000_NS6detail17trampoline_kernelINS0_14default_configENS1_20scan_config_selectorItEEZZNS1_9scan_implILNS1_25lookback_scan_determinismE0ELb1ELb1ES3_N6thrust23THRUST_200600_302600_NS6detail15normal_iteratorINS9_10device_ptrItEEEENS9_16discard_iteratorINS9_11use_defaultEEEt11max_functorItEtEEDaPvRmT3_T4_T5_mT6_P12ihipStream_tbENKUlT_T0_E_clISt17integral_constantIbLb1EESX_EEDaSS_ST_EUlSS_E0_NS1_11comp_targetILNS1_3genE2ELNS1_11target_archE906ELNS1_3gpuE6ELNS1_3repE0EEENS1_30default_config_static_selectorELNS0_4arch9wavefront6targetE1EEEvT1_
	.p2align	8
	.type	_ZN7rocprim17ROCPRIM_400000_NS6detail17trampoline_kernelINS0_14default_configENS1_20scan_config_selectorItEEZZNS1_9scan_implILNS1_25lookback_scan_determinismE0ELb1ELb1ES3_N6thrust23THRUST_200600_302600_NS6detail15normal_iteratorINS9_10device_ptrItEEEENS9_16discard_iteratorINS9_11use_defaultEEEt11max_functorItEtEEDaPvRmT3_T4_T5_mT6_P12ihipStream_tbENKUlT_T0_E_clISt17integral_constantIbLb1EESX_EEDaSS_ST_EUlSS_E0_NS1_11comp_targetILNS1_3genE2ELNS1_11target_archE906ELNS1_3gpuE6ELNS1_3repE0EEENS1_30default_config_static_selectorELNS0_4arch9wavefront6targetE1EEEvT1_,@function
_ZN7rocprim17ROCPRIM_400000_NS6detail17trampoline_kernelINS0_14default_configENS1_20scan_config_selectorItEEZZNS1_9scan_implILNS1_25lookback_scan_determinismE0ELb1ELb1ES3_N6thrust23THRUST_200600_302600_NS6detail15normal_iteratorINS9_10device_ptrItEEEENS9_16discard_iteratorINS9_11use_defaultEEEt11max_functorItEtEEDaPvRmT3_T4_T5_mT6_P12ihipStream_tbENKUlT_T0_E_clISt17integral_constantIbLb1EESX_EEDaSS_ST_EUlSS_E0_NS1_11comp_targetILNS1_3genE2ELNS1_11target_archE906ELNS1_3gpuE6ELNS1_3repE0EEENS1_30default_config_static_selectorELNS0_4arch9wavefront6targetE1EEEvT1_: ; @_ZN7rocprim17ROCPRIM_400000_NS6detail17trampoline_kernelINS0_14default_configENS1_20scan_config_selectorItEEZZNS1_9scan_implILNS1_25lookback_scan_determinismE0ELb1ELb1ES3_N6thrust23THRUST_200600_302600_NS6detail15normal_iteratorINS9_10device_ptrItEEEENS9_16discard_iteratorINS9_11use_defaultEEEt11max_functorItEtEEDaPvRmT3_T4_T5_mT6_P12ihipStream_tbENKUlT_T0_E_clISt17integral_constantIbLb1EESX_EEDaSS_ST_EUlSS_E0_NS1_11comp_targetILNS1_3genE2ELNS1_11target_archE906ELNS1_3gpuE6ELNS1_3repE0EEENS1_30default_config_static_selectorELNS0_4arch9wavefront6targetE1EEEvT1_
; %bb.0:
	.section	.rodata,"a",@progbits
	.p2align	6, 0x0
	.amdhsa_kernel _ZN7rocprim17ROCPRIM_400000_NS6detail17trampoline_kernelINS0_14default_configENS1_20scan_config_selectorItEEZZNS1_9scan_implILNS1_25lookback_scan_determinismE0ELb1ELb1ES3_N6thrust23THRUST_200600_302600_NS6detail15normal_iteratorINS9_10device_ptrItEEEENS9_16discard_iteratorINS9_11use_defaultEEEt11max_functorItEtEEDaPvRmT3_T4_T5_mT6_P12ihipStream_tbENKUlT_T0_E_clISt17integral_constantIbLb1EESX_EEDaSS_ST_EUlSS_E0_NS1_11comp_targetILNS1_3genE2ELNS1_11target_archE906ELNS1_3gpuE6ELNS1_3repE0EEENS1_30default_config_static_selectorELNS0_4arch9wavefront6targetE1EEEvT1_
		.amdhsa_group_segment_fixed_size 0
		.amdhsa_private_segment_fixed_size 0
		.amdhsa_kernarg_size 40
		.amdhsa_user_sgpr_count 6
		.amdhsa_user_sgpr_private_segment_buffer 1
		.amdhsa_user_sgpr_dispatch_ptr 0
		.amdhsa_user_sgpr_queue_ptr 0
		.amdhsa_user_sgpr_kernarg_segment_ptr 1
		.amdhsa_user_sgpr_dispatch_id 0
		.amdhsa_user_sgpr_flat_scratch_init 0
		.amdhsa_user_sgpr_kernarg_preload_length 0
		.amdhsa_user_sgpr_kernarg_preload_offset 0
		.amdhsa_user_sgpr_private_segment_size 0
		.amdhsa_uses_dynamic_stack 0
		.amdhsa_system_sgpr_private_segment_wavefront_offset 0
		.amdhsa_system_sgpr_workgroup_id_x 1
		.amdhsa_system_sgpr_workgroup_id_y 0
		.amdhsa_system_sgpr_workgroup_id_z 0
		.amdhsa_system_sgpr_workgroup_info 0
		.amdhsa_system_vgpr_workitem_id 0
		.amdhsa_next_free_vgpr 1
		.amdhsa_next_free_sgpr 0
		.amdhsa_accum_offset 4
		.amdhsa_reserve_vcc 0
		.amdhsa_reserve_flat_scratch 0
		.amdhsa_float_round_mode_32 0
		.amdhsa_float_round_mode_16_64 0
		.amdhsa_float_denorm_mode_32 3
		.amdhsa_float_denorm_mode_16_64 3
		.amdhsa_dx10_clamp 1
		.amdhsa_ieee_mode 1
		.amdhsa_fp16_overflow 0
		.amdhsa_tg_split 0
		.amdhsa_exception_fp_ieee_invalid_op 0
		.amdhsa_exception_fp_denorm_src 0
		.amdhsa_exception_fp_ieee_div_zero 0
		.amdhsa_exception_fp_ieee_overflow 0
		.amdhsa_exception_fp_ieee_underflow 0
		.amdhsa_exception_fp_ieee_inexact 0
		.amdhsa_exception_int_div_zero 0
	.end_amdhsa_kernel
	.section	.text._ZN7rocprim17ROCPRIM_400000_NS6detail17trampoline_kernelINS0_14default_configENS1_20scan_config_selectorItEEZZNS1_9scan_implILNS1_25lookback_scan_determinismE0ELb1ELb1ES3_N6thrust23THRUST_200600_302600_NS6detail15normal_iteratorINS9_10device_ptrItEEEENS9_16discard_iteratorINS9_11use_defaultEEEt11max_functorItEtEEDaPvRmT3_T4_T5_mT6_P12ihipStream_tbENKUlT_T0_E_clISt17integral_constantIbLb1EESX_EEDaSS_ST_EUlSS_E0_NS1_11comp_targetILNS1_3genE2ELNS1_11target_archE906ELNS1_3gpuE6ELNS1_3repE0EEENS1_30default_config_static_selectorELNS0_4arch9wavefront6targetE1EEEvT1_,"axG",@progbits,_ZN7rocprim17ROCPRIM_400000_NS6detail17trampoline_kernelINS0_14default_configENS1_20scan_config_selectorItEEZZNS1_9scan_implILNS1_25lookback_scan_determinismE0ELb1ELb1ES3_N6thrust23THRUST_200600_302600_NS6detail15normal_iteratorINS9_10device_ptrItEEEENS9_16discard_iteratorINS9_11use_defaultEEEt11max_functorItEtEEDaPvRmT3_T4_T5_mT6_P12ihipStream_tbENKUlT_T0_E_clISt17integral_constantIbLb1EESX_EEDaSS_ST_EUlSS_E0_NS1_11comp_targetILNS1_3genE2ELNS1_11target_archE906ELNS1_3gpuE6ELNS1_3repE0EEENS1_30default_config_static_selectorELNS0_4arch9wavefront6targetE1EEEvT1_,comdat
.Lfunc_end3669:
	.size	_ZN7rocprim17ROCPRIM_400000_NS6detail17trampoline_kernelINS0_14default_configENS1_20scan_config_selectorItEEZZNS1_9scan_implILNS1_25lookback_scan_determinismE0ELb1ELb1ES3_N6thrust23THRUST_200600_302600_NS6detail15normal_iteratorINS9_10device_ptrItEEEENS9_16discard_iteratorINS9_11use_defaultEEEt11max_functorItEtEEDaPvRmT3_T4_T5_mT6_P12ihipStream_tbENKUlT_T0_E_clISt17integral_constantIbLb1EESX_EEDaSS_ST_EUlSS_E0_NS1_11comp_targetILNS1_3genE2ELNS1_11target_archE906ELNS1_3gpuE6ELNS1_3repE0EEENS1_30default_config_static_selectorELNS0_4arch9wavefront6targetE1EEEvT1_, .Lfunc_end3669-_ZN7rocprim17ROCPRIM_400000_NS6detail17trampoline_kernelINS0_14default_configENS1_20scan_config_selectorItEEZZNS1_9scan_implILNS1_25lookback_scan_determinismE0ELb1ELb1ES3_N6thrust23THRUST_200600_302600_NS6detail15normal_iteratorINS9_10device_ptrItEEEENS9_16discard_iteratorINS9_11use_defaultEEEt11max_functorItEtEEDaPvRmT3_T4_T5_mT6_P12ihipStream_tbENKUlT_T0_E_clISt17integral_constantIbLb1EESX_EEDaSS_ST_EUlSS_E0_NS1_11comp_targetILNS1_3genE2ELNS1_11target_archE906ELNS1_3gpuE6ELNS1_3repE0EEENS1_30default_config_static_selectorELNS0_4arch9wavefront6targetE1EEEvT1_
                                        ; -- End function
	.section	.AMDGPU.csdata,"",@progbits
; Kernel info:
; codeLenInByte = 0
; NumSgprs: 4
; NumVgprs: 0
; NumAgprs: 0
; TotalNumVgprs: 0
; ScratchSize: 0
; MemoryBound: 0
; FloatMode: 240
; IeeeMode: 1
; LDSByteSize: 0 bytes/workgroup (compile time only)
; SGPRBlocks: 0
; VGPRBlocks: 0
; NumSGPRsForWavesPerEU: 4
; NumVGPRsForWavesPerEU: 1
; AccumOffset: 4
; Occupancy: 8
; WaveLimiterHint : 0
; COMPUTE_PGM_RSRC2:SCRATCH_EN: 0
; COMPUTE_PGM_RSRC2:USER_SGPR: 6
; COMPUTE_PGM_RSRC2:TRAP_HANDLER: 0
; COMPUTE_PGM_RSRC2:TGID_X_EN: 1
; COMPUTE_PGM_RSRC2:TGID_Y_EN: 0
; COMPUTE_PGM_RSRC2:TGID_Z_EN: 0
; COMPUTE_PGM_RSRC2:TIDIG_COMP_CNT: 0
; COMPUTE_PGM_RSRC3_GFX90A:ACCUM_OFFSET: 0
; COMPUTE_PGM_RSRC3_GFX90A:TG_SPLIT: 0
	.section	.text._ZN7rocprim17ROCPRIM_400000_NS6detail17trampoline_kernelINS0_14default_configENS1_20scan_config_selectorItEEZZNS1_9scan_implILNS1_25lookback_scan_determinismE0ELb1ELb1ES3_N6thrust23THRUST_200600_302600_NS6detail15normal_iteratorINS9_10device_ptrItEEEENS9_16discard_iteratorINS9_11use_defaultEEEt11max_functorItEtEEDaPvRmT3_T4_T5_mT6_P12ihipStream_tbENKUlT_T0_E_clISt17integral_constantIbLb1EESX_EEDaSS_ST_EUlSS_E0_NS1_11comp_targetILNS1_3genE10ELNS1_11target_archE1201ELNS1_3gpuE5ELNS1_3repE0EEENS1_30default_config_static_selectorELNS0_4arch9wavefront6targetE1EEEvT1_,"axG",@progbits,_ZN7rocprim17ROCPRIM_400000_NS6detail17trampoline_kernelINS0_14default_configENS1_20scan_config_selectorItEEZZNS1_9scan_implILNS1_25lookback_scan_determinismE0ELb1ELb1ES3_N6thrust23THRUST_200600_302600_NS6detail15normal_iteratorINS9_10device_ptrItEEEENS9_16discard_iteratorINS9_11use_defaultEEEt11max_functorItEtEEDaPvRmT3_T4_T5_mT6_P12ihipStream_tbENKUlT_T0_E_clISt17integral_constantIbLb1EESX_EEDaSS_ST_EUlSS_E0_NS1_11comp_targetILNS1_3genE10ELNS1_11target_archE1201ELNS1_3gpuE5ELNS1_3repE0EEENS1_30default_config_static_selectorELNS0_4arch9wavefront6targetE1EEEvT1_,comdat
	.protected	_ZN7rocprim17ROCPRIM_400000_NS6detail17trampoline_kernelINS0_14default_configENS1_20scan_config_selectorItEEZZNS1_9scan_implILNS1_25lookback_scan_determinismE0ELb1ELb1ES3_N6thrust23THRUST_200600_302600_NS6detail15normal_iteratorINS9_10device_ptrItEEEENS9_16discard_iteratorINS9_11use_defaultEEEt11max_functorItEtEEDaPvRmT3_T4_T5_mT6_P12ihipStream_tbENKUlT_T0_E_clISt17integral_constantIbLb1EESX_EEDaSS_ST_EUlSS_E0_NS1_11comp_targetILNS1_3genE10ELNS1_11target_archE1201ELNS1_3gpuE5ELNS1_3repE0EEENS1_30default_config_static_selectorELNS0_4arch9wavefront6targetE1EEEvT1_ ; -- Begin function _ZN7rocprim17ROCPRIM_400000_NS6detail17trampoline_kernelINS0_14default_configENS1_20scan_config_selectorItEEZZNS1_9scan_implILNS1_25lookback_scan_determinismE0ELb1ELb1ES3_N6thrust23THRUST_200600_302600_NS6detail15normal_iteratorINS9_10device_ptrItEEEENS9_16discard_iteratorINS9_11use_defaultEEEt11max_functorItEtEEDaPvRmT3_T4_T5_mT6_P12ihipStream_tbENKUlT_T0_E_clISt17integral_constantIbLb1EESX_EEDaSS_ST_EUlSS_E0_NS1_11comp_targetILNS1_3genE10ELNS1_11target_archE1201ELNS1_3gpuE5ELNS1_3repE0EEENS1_30default_config_static_selectorELNS0_4arch9wavefront6targetE1EEEvT1_
	.globl	_ZN7rocprim17ROCPRIM_400000_NS6detail17trampoline_kernelINS0_14default_configENS1_20scan_config_selectorItEEZZNS1_9scan_implILNS1_25lookback_scan_determinismE0ELb1ELb1ES3_N6thrust23THRUST_200600_302600_NS6detail15normal_iteratorINS9_10device_ptrItEEEENS9_16discard_iteratorINS9_11use_defaultEEEt11max_functorItEtEEDaPvRmT3_T4_T5_mT6_P12ihipStream_tbENKUlT_T0_E_clISt17integral_constantIbLb1EESX_EEDaSS_ST_EUlSS_E0_NS1_11comp_targetILNS1_3genE10ELNS1_11target_archE1201ELNS1_3gpuE5ELNS1_3repE0EEENS1_30default_config_static_selectorELNS0_4arch9wavefront6targetE1EEEvT1_
	.p2align	8
	.type	_ZN7rocprim17ROCPRIM_400000_NS6detail17trampoline_kernelINS0_14default_configENS1_20scan_config_selectorItEEZZNS1_9scan_implILNS1_25lookback_scan_determinismE0ELb1ELb1ES3_N6thrust23THRUST_200600_302600_NS6detail15normal_iteratorINS9_10device_ptrItEEEENS9_16discard_iteratorINS9_11use_defaultEEEt11max_functorItEtEEDaPvRmT3_T4_T5_mT6_P12ihipStream_tbENKUlT_T0_E_clISt17integral_constantIbLb1EESX_EEDaSS_ST_EUlSS_E0_NS1_11comp_targetILNS1_3genE10ELNS1_11target_archE1201ELNS1_3gpuE5ELNS1_3repE0EEENS1_30default_config_static_selectorELNS0_4arch9wavefront6targetE1EEEvT1_,@function
_ZN7rocprim17ROCPRIM_400000_NS6detail17trampoline_kernelINS0_14default_configENS1_20scan_config_selectorItEEZZNS1_9scan_implILNS1_25lookback_scan_determinismE0ELb1ELb1ES3_N6thrust23THRUST_200600_302600_NS6detail15normal_iteratorINS9_10device_ptrItEEEENS9_16discard_iteratorINS9_11use_defaultEEEt11max_functorItEtEEDaPvRmT3_T4_T5_mT6_P12ihipStream_tbENKUlT_T0_E_clISt17integral_constantIbLb1EESX_EEDaSS_ST_EUlSS_E0_NS1_11comp_targetILNS1_3genE10ELNS1_11target_archE1201ELNS1_3gpuE5ELNS1_3repE0EEENS1_30default_config_static_selectorELNS0_4arch9wavefront6targetE1EEEvT1_: ; @_ZN7rocprim17ROCPRIM_400000_NS6detail17trampoline_kernelINS0_14default_configENS1_20scan_config_selectorItEEZZNS1_9scan_implILNS1_25lookback_scan_determinismE0ELb1ELb1ES3_N6thrust23THRUST_200600_302600_NS6detail15normal_iteratorINS9_10device_ptrItEEEENS9_16discard_iteratorINS9_11use_defaultEEEt11max_functorItEtEEDaPvRmT3_T4_T5_mT6_P12ihipStream_tbENKUlT_T0_E_clISt17integral_constantIbLb1EESX_EEDaSS_ST_EUlSS_E0_NS1_11comp_targetILNS1_3genE10ELNS1_11target_archE1201ELNS1_3gpuE5ELNS1_3repE0EEENS1_30default_config_static_selectorELNS0_4arch9wavefront6targetE1EEEvT1_
; %bb.0:
	.section	.rodata,"a",@progbits
	.p2align	6, 0x0
	.amdhsa_kernel _ZN7rocprim17ROCPRIM_400000_NS6detail17trampoline_kernelINS0_14default_configENS1_20scan_config_selectorItEEZZNS1_9scan_implILNS1_25lookback_scan_determinismE0ELb1ELb1ES3_N6thrust23THRUST_200600_302600_NS6detail15normal_iteratorINS9_10device_ptrItEEEENS9_16discard_iteratorINS9_11use_defaultEEEt11max_functorItEtEEDaPvRmT3_T4_T5_mT6_P12ihipStream_tbENKUlT_T0_E_clISt17integral_constantIbLb1EESX_EEDaSS_ST_EUlSS_E0_NS1_11comp_targetILNS1_3genE10ELNS1_11target_archE1201ELNS1_3gpuE5ELNS1_3repE0EEENS1_30default_config_static_selectorELNS0_4arch9wavefront6targetE1EEEvT1_
		.amdhsa_group_segment_fixed_size 0
		.amdhsa_private_segment_fixed_size 0
		.amdhsa_kernarg_size 40
		.amdhsa_user_sgpr_count 6
		.amdhsa_user_sgpr_private_segment_buffer 1
		.amdhsa_user_sgpr_dispatch_ptr 0
		.amdhsa_user_sgpr_queue_ptr 0
		.amdhsa_user_sgpr_kernarg_segment_ptr 1
		.amdhsa_user_sgpr_dispatch_id 0
		.amdhsa_user_sgpr_flat_scratch_init 0
		.amdhsa_user_sgpr_kernarg_preload_length 0
		.amdhsa_user_sgpr_kernarg_preload_offset 0
		.amdhsa_user_sgpr_private_segment_size 0
		.amdhsa_uses_dynamic_stack 0
		.amdhsa_system_sgpr_private_segment_wavefront_offset 0
		.amdhsa_system_sgpr_workgroup_id_x 1
		.amdhsa_system_sgpr_workgroup_id_y 0
		.amdhsa_system_sgpr_workgroup_id_z 0
		.amdhsa_system_sgpr_workgroup_info 0
		.amdhsa_system_vgpr_workitem_id 0
		.amdhsa_next_free_vgpr 1
		.amdhsa_next_free_sgpr 0
		.amdhsa_accum_offset 4
		.amdhsa_reserve_vcc 0
		.amdhsa_reserve_flat_scratch 0
		.amdhsa_float_round_mode_32 0
		.amdhsa_float_round_mode_16_64 0
		.amdhsa_float_denorm_mode_32 3
		.amdhsa_float_denorm_mode_16_64 3
		.amdhsa_dx10_clamp 1
		.amdhsa_ieee_mode 1
		.amdhsa_fp16_overflow 0
		.amdhsa_tg_split 0
		.amdhsa_exception_fp_ieee_invalid_op 0
		.amdhsa_exception_fp_denorm_src 0
		.amdhsa_exception_fp_ieee_div_zero 0
		.amdhsa_exception_fp_ieee_overflow 0
		.amdhsa_exception_fp_ieee_underflow 0
		.amdhsa_exception_fp_ieee_inexact 0
		.amdhsa_exception_int_div_zero 0
	.end_amdhsa_kernel
	.section	.text._ZN7rocprim17ROCPRIM_400000_NS6detail17trampoline_kernelINS0_14default_configENS1_20scan_config_selectorItEEZZNS1_9scan_implILNS1_25lookback_scan_determinismE0ELb1ELb1ES3_N6thrust23THRUST_200600_302600_NS6detail15normal_iteratorINS9_10device_ptrItEEEENS9_16discard_iteratorINS9_11use_defaultEEEt11max_functorItEtEEDaPvRmT3_T4_T5_mT6_P12ihipStream_tbENKUlT_T0_E_clISt17integral_constantIbLb1EESX_EEDaSS_ST_EUlSS_E0_NS1_11comp_targetILNS1_3genE10ELNS1_11target_archE1201ELNS1_3gpuE5ELNS1_3repE0EEENS1_30default_config_static_selectorELNS0_4arch9wavefront6targetE1EEEvT1_,"axG",@progbits,_ZN7rocprim17ROCPRIM_400000_NS6detail17trampoline_kernelINS0_14default_configENS1_20scan_config_selectorItEEZZNS1_9scan_implILNS1_25lookback_scan_determinismE0ELb1ELb1ES3_N6thrust23THRUST_200600_302600_NS6detail15normal_iteratorINS9_10device_ptrItEEEENS9_16discard_iteratorINS9_11use_defaultEEEt11max_functorItEtEEDaPvRmT3_T4_T5_mT6_P12ihipStream_tbENKUlT_T0_E_clISt17integral_constantIbLb1EESX_EEDaSS_ST_EUlSS_E0_NS1_11comp_targetILNS1_3genE10ELNS1_11target_archE1201ELNS1_3gpuE5ELNS1_3repE0EEENS1_30default_config_static_selectorELNS0_4arch9wavefront6targetE1EEEvT1_,comdat
.Lfunc_end3670:
	.size	_ZN7rocprim17ROCPRIM_400000_NS6detail17trampoline_kernelINS0_14default_configENS1_20scan_config_selectorItEEZZNS1_9scan_implILNS1_25lookback_scan_determinismE0ELb1ELb1ES3_N6thrust23THRUST_200600_302600_NS6detail15normal_iteratorINS9_10device_ptrItEEEENS9_16discard_iteratorINS9_11use_defaultEEEt11max_functorItEtEEDaPvRmT3_T4_T5_mT6_P12ihipStream_tbENKUlT_T0_E_clISt17integral_constantIbLb1EESX_EEDaSS_ST_EUlSS_E0_NS1_11comp_targetILNS1_3genE10ELNS1_11target_archE1201ELNS1_3gpuE5ELNS1_3repE0EEENS1_30default_config_static_selectorELNS0_4arch9wavefront6targetE1EEEvT1_, .Lfunc_end3670-_ZN7rocprim17ROCPRIM_400000_NS6detail17trampoline_kernelINS0_14default_configENS1_20scan_config_selectorItEEZZNS1_9scan_implILNS1_25lookback_scan_determinismE0ELb1ELb1ES3_N6thrust23THRUST_200600_302600_NS6detail15normal_iteratorINS9_10device_ptrItEEEENS9_16discard_iteratorINS9_11use_defaultEEEt11max_functorItEtEEDaPvRmT3_T4_T5_mT6_P12ihipStream_tbENKUlT_T0_E_clISt17integral_constantIbLb1EESX_EEDaSS_ST_EUlSS_E0_NS1_11comp_targetILNS1_3genE10ELNS1_11target_archE1201ELNS1_3gpuE5ELNS1_3repE0EEENS1_30default_config_static_selectorELNS0_4arch9wavefront6targetE1EEEvT1_
                                        ; -- End function
	.section	.AMDGPU.csdata,"",@progbits
; Kernel info:
; codeLenInByte = 0
; NumSgprs: 4
; NumVgprs: 0
; NumAgprs: 0
; TotalNumVgprs: 0
; ScratchSize: 0
; MemoryBound: 0
; FloatMode: 240
; IeeeMode: 1
; LDSByteSize: 0 bytes/workgroup (compile time only)
; SGPRBlocks: 0
; VGPRBlocks: 0
; NumSGPRsForWavesPerEU: 4
; NumVGPRsForWavesPerEU: 1
; AccumOffset: 4
; Occupancy: 8
; WaveLimiterHint : 0
; COMPUTE_PGM_RSRC2:SCRATCH_EN: 0
; COMPUTE_PGM_RSRC2:USER_SGPR: 6
; COMPUTE_PGM_RSRC2:TRAP_HANDLER: 0
; COMPUTE_PGM_RSRC2:TGID_X_EN: 1
; COMPUTE_PGM_RSRC2:TGID_Y_EN: 0
; COMPUTE_PGM_RSRC2:TGID_Z_EN: 0
; COMPUTE_PGM_RSRC2:TIDIG_COMP_CNT: 0
; COMPUTE_PGM_RSRC3_GFX90A:ACCUM_OFFSET: 0
; COMPUTE_PGM_RSRC3_GFX90A:TG_SPLIT: 0
	.section	.text._ZN7rocprim17ROCPRIM_400000_NS6detail17trampoline_kernelINS0_14default_configENS1_20scan_config_selectorItEEZZNS1_9scan_implILNS1_25lookback_scan_determinismE0ELb1ELb1ES3_N6thrust23THRUST_200600_302600_NS6detail15normal_iteratorINS9_10device_ptrItEEEENS9_16discard_iteratorINS9_11use_defaultEEEt11max_functorItEtEEDaPvRmT3_T4_T5_mT6_P12ihipStream_tbENKUlT_T0_E_clISt17integral_constantIbLb1EESX_EEDaSS_ST_EUlSS_E0_NS1_11comp_targetILNS1_3genE10ELNS1_11target_archE1200ELNS1_3gpuE4ELNS1_3repE0EEENS1_30default_config_static_selectorELNS0_4arch9wavefront6targetE1EEEvT1_,"axG",@progbits,_ZN7rocprim17ROCPRIM_400000_NS6detail17trampoline_kernelINS0_14default_configENS1_20scan_config_selectorItEEZZNS1_9scan_implILNS1_25lookback_scan_determinismE0ELb1ELb1ES3_N6thrust23THRUST_200600_302600_NS6detail15normal_iteratorINS9_10device_ptrItEEEENS9_16discard_iteratorINS9_11use_defaultEEEt11max_functorItEtEEDaPvRmT3_T4_T5_mT6_P12ihipStream_tbENKUlT_T0_E_clISt17integral_constantIbLb1EESX_EEDaSS_ST_EUlSS_E0_NS1_11comp_targetILNS1_3genE10ELNS1_11target_archE1200ELNS1_3gpuE4ELNS1_3repE0EEENS1_30default_config_static_selectorELNS0_4arch9wavefront6targetE1EEEvT1_,comdat
	.protected	_ZN7rocprim17ROCPRIM_400000_NS6detail17trampoline_kernelINS0_14default_configENS1_20scan_config_selectorItEEZZNS1_9scan_implILNS1_25lookback_scan_determinismE0ELb1ELb1ES3_N6thrust23THRUST_200600_302600_NS6detail15normal_iteratorINS9_10device_ptrItEEEENS9_16discard_iteratorINS9_11use_defaultEEEt11max_functorItEtEEDaPvRmT3_T4_T5_mT6_P12ihipStream_tbENKUlT_T0_E_clISt17integral_constantIbLb1EESX_EEDaSS_ST_EUlSS_E0_NS1_11comp_targetILNS1_3genE10ELNS1_11target_archE1200ELNS1_3gpuE4ELNS1_3repE0EEENS1_30default_config_static_selectorELNS0_4arch9wavefront6targetE1EEEvT1_ ; -- Begin function _ZN7rocprim17ROCPRIM_400000_NS6detail17trampoline_kernelINS0_14default_configENS1_20scan_config_selectorItEEZZNS1_9scan_implILNS1_25lookback_scan_determinismE0ELb1ELb1ES3_N6thrust23THRUST_200600_302600_NS6detail15normal_iteratorINS9_10device_ptrItEEEENS9_16discard_iteratorINS9_11use_defaultEEEt11max_functorItEtEEDaPvRmT3_T4_T5_mT6_P12ihipStream_tbENKUlT_T0_E_clISt17integral_constantIbLb1EESX_EEDaSS_ST_EUlSS_E0_NS1_11comp_targetILNS1_3genE10ELNS1_11target_archE1200ELNS1_3gpuE4ELNS1_3repE0EEENS1_30default_config_static_selectorELNS0_4arch9wavefront6targetE1EEEvT1_
	.globl	_ZN7rocprim17ROCPRIM_400000_NS6detail17trampoline_kernelINS0_14default_configENS1_20scan_config_selectorItEEZZNS1_9scan_implILNS1_25lookback_scan_determinismE0ELb1ELb1ES3_N6thrust23THRUST_200600_302600_NS6detail15normal_iteratorINS9_10device_ptrItEEEENS9_16discard_iteratorINS9_11use_defaultEEEt11max_functorItEtEEDaPvRmT3_T4_T5_mT6_P12ihipStream_tbENKUlT_T0_E_clISt17integral_constantIbLb1EESX_EEDaSS_ST_EUlSS_E0_NS1_11comp_targetILNS1_3genE10ELNS1_11target_archE1200ELNS1_3gpuE4ELNS1_3repE0EEENS1_30default_config_static_selectorELNS0_4arch9wavefront6targetE1EEEvT1_
	.p2align	8
	.type	_ZN7rocprim17ROCPRIM_400000_NS6detail17trampoline_kernelINS0_14default_configENS1_20scan_config_selectorItEEZZNS1_9scan_implILNS1_25lookback_scan_determinismE0ELb1ELb1ES3_N6thrust23THRUST_200600_302600_NS6detail15normal_iteratorINS9_10device_ptrItEEEENS9_16discard_iteratorINS9_11use_defaultEEEt11max_functorItEtEEDaPvRmT3_T4_T5_mT6_P12ihipStream_tbENKUlT_T0_E_clISt17integral_constantIbLb1EESX_EEDaSS_ST_EUlSS_E0_NS1_11comp_targetILNS1_3genE10ELNS1_11target_archE1200ELNS1_3gpuE4ELNS1_3repE0EEENS1_30default_config_static_selectorELNS0_4arch9wavefront6targetE1EEEvT1_,@function
_ZN7rocprim17ROCPRIM_400000_NS6detail17trampoline_kernelINS0_14default_configENS1_20scan_config_selectorItEEZZNS1_9scan_implILNS1_25lookback_scan_determinismE0ELb1ELb1ES3_N6thrust23THRUST_200600_302600_NS6detail15normal_iteratorINS9_10device_ptrItEEEENS9_16discard_iteratorINS9_11use_defaultEEEt11max_functorItEtEEDaPvRmT3_T4_T5_mT6_P12ihipStream_tbENKUlT_T0_E_clISt17integral_constantIbLb1EESX_EEDaSS_ST_EUlSS_E0_NS1_11comp_targetILNS1_3genE10ELNS1_11target_archE1200ELNS1_3gpuE4ELNS1_3repE0EEENS1_30default_config_static_selectorELNS0_4arch9wavefront6targetE1EEEvT1_: ; @_ZN7rocprim17ROCPRIM_400000_NS6detail17trampoline_kernelINS0_14default_configENS1_20scan_config_selectorItEEZZNS1_9scan_implILNS1_25lookback_scan_determinismE0ELb1ELb1ES3_N6thrust23THRUST_200600_302600_NS6detail15normal_iteratorINS9_10device_ptrItEEEENS9_16discard_iteratorINS9_11use_defaultEEEt11max_functorItEtEEDaPvRmT3_T4_T5_mT6_P12ihipStream_tbENKUlT_T0_E_clISt17integral_constantIbLb1EESX_EEDaSS_ST_EUlSS_E0_NS1_11comp_targetILNS1_3genE10ELNS1_11target_archE1200ELNS1_3gpuE4ELNS1_3repE0EEENS1_30default_config_static_selectorELNS0_4arch9wavefront6targetE1EEEvT1_
; %bb.0:
	.section	.rodata,"a",@progbits
	.p2align	6, 0x0
	.amdhsa_kernel _ZN7rocprim17ROCPRIM_400000_NS6detail17trampoline_kernelINS0_14default_configENS1_20scan_config_selectorItEEZZNS1_9scan_implILNS1_25lookback_scan_determinismE0ELb1ELb1ES3_N6thrust23THRUST_200600_302600_NS6detail15normal_iteratorINS9_10device_ptrItEEEENS9_16discard_iteratorINS9_11use_defaultEEEt11max_functorItEtEEDaPvRmT3_T4_T5_mT6_P12ihipStream_tbENKUlT_T0_E_clISt17integral_constantIbLb1EESX_EEDaSS_ST_EUlSS_E0_NS1_11comp_targetILNS1_3genE10ELNS1_11target_archE1200ELNS1_3gpuE4ELNS1_3repE0EEENS1_30default_config_static_selectorELNS0_4arch9wavefront6targetE1EEEvT1_
		.amdhsa_group_segment_fixed_size 0
		.amdhsa_private_segment_fixed_size 0
		.amdhsa_kernarg_size 40
		.amdhsa_user_sgpr_count 6
		.amdhsa_user_sgpr_private_segment_buffer 1
		.amdhsa_user_sgpr_dispatch_ptr 0
		.amdhsa_user_sgpr_queue_ptr 0
		.amdhsa_user_sgpr_kernarg_segment_ptr 1
		.amdhsa_user_sgpr_dispatch_id 0
		.amdhsa_user_sgpr_flat_scratch_init 0
		.amdhsa_user_sgpr_kernarg_preload_length 0
		.amdhsa_user_sgpr_kernarg_preload_offset 0
		.amdhsa_user_sgpr_private_segment_size 0
		.amdhsa_uses_dynamic_stack 0
		.amdhsa_system_sgpr_private_segment_wavefront_offset 0
		.amdhsa_system_sgpr_workgroup_id_x 1
		.amdhsa_system_sgpr_workgroup_id_y 0
		.amdhsa_system_sgpr_workgroup_id_z 0
		.amdhsa_system_sgpr_workgroup_info 0
		.amdhsa_system_vgpr_workitem_id 0
		.amdhsa_next_free_vgpr 1
		.amdhsa_next_free_sgpr 0
		.amdhsa_accum_offset 4
		.amdhsa_reserve_vcc 0
		.amdhsa_reserve_flat_scratch 0
		.amdhsa_float_round_mode_32 0
		.amdhsa_float_round_mode_16_64 0
		.amdhsa_float_denorm_mode_32 3
		.amdhsa_float_denorm_mode_16_64 3
		.amdhsa_dx10_clamp 1
		.amdhsa_ieee_mode 1
		.amdhsa_fp16_overflow 0
		.amdhsa_tg_split 0
		.amdhsa_exception_fp_ieee_invalid_op 0
		.amdhsa_exception_fp_denorm_src 0
		.amdhsa_exception_fp_ieee_div_zero 0
		.amdhsa_exception_fp_ieee_overflow 0
		.amdhsa_exception_fp_ieee_underflow 0
		.amdhsa_exception_fp_ieee_inexact 0
		.amdhsa_exception_int_div_zero 0
	.end_amdhsa_kernel
	.section	.text._ZN7rocprim17ROCPRIM_400000_NS6detail17trampoline_kernelINS0_14default_configENS1_20scan_config_selectorItEEZZNS1_9scan_implILNS1_25lookback_scan_determinismE0ELb1ELb1ES3_N6thrust23THRUST_200600_302600_NS6detail15normal_iteratorINS9_10device_ptrItEEEENS9_16discard_iteratorINS9_11use_defaultEEEt11max_functorItEtEEDaPvRmT3_T4_T5_mT6_P12ihipStream_tbENKUlT_T0_E_clISt17integral_constantIbLb1EESX_EEDaSS_ST_EUlSS_E0_NS1_11comp_targetILNS1_3genE10ELNS1_11target_archE1200ELNS1_3gpuE4ELNS1_3repE0EEENS1_30default_config_static_selectorELNS0_4arch9wavefront6targetE1EEEvT1_,"axG",@progbits,_ZN7rocprim17ROCPRIM_400000_NS6detail17trampoline_kernelINS0_14default_configENS1_20scan_config_selectorItEEZZNS1_9scan_implILNS1_25lookback_scan_determinismE0ELb1ELb1ES3_N6thrust23THRUST_200600_302600_NS6detail15normal_iteratorINS9_10device_ptrItEEEENS9_16discard_iteratorINS9_11use_defaultEEEt11max_functorItEtEEDaPvRmT3_T4_T5_mT6_P12ihipStream_tbENKUlT_T0_E_clISt17integral_constantIbLb1EESX_EEDaSS_ST_EUlSS_E0_NS1_11comp_targetILNS1_3genE10ELNS1_11target_archE1200ELNS1_3gpuE4ELNS1_3repE0EEENS1_30default_config_static_selectorELNS0_4arch9wavefront6targetE1EEEvT1_,comdat
.Lfunc_end3671:
	.size	_ZN7rocprim17ROCPRIM_400000_NS6detail17trampoline_kernelINS0_14default_configENS1_20scan_config_selectorItEEZZNS1_9scan_implILNS1_25lookback_scan_determinismE0ELb1ELb1ES3_N6thrust23THRUST_200600_302600_NS6detail15normal_iteratorINS9_10device_ptrItEEEENS9_16discard_iteratorINS9_11use_defaultEEEt11max_functorItEtEEDaPvRmT3_T4_T5_mT6_P12ihipStream_tbENKUlT_T0_E_clISt17integral_constantIbLb1EESX_EEDaSS_ST_EUlSS_E0_NS1_11comp_targetILNS1_3genE10ELNS1_11target_archE1200ELNS1_3gpuE4ELNS1_3repE0EEENS1_30default_config_static_selectorELNS0_4arch9wavefront6targetE1EEEvT1_, .Lfunc_end3671-_ZN7rocprim17ROCPRIM_400000_NS6detail17trampoline_kernelINS0_14default_configENS1_20scan_config_selectorItEEZZNS1_9scan_implILNS1_25lookback_scan_determinismE0ELb1ELb1ES3_N6thrust23THRUST_200600_302600_NS6detail15normal_iteratorINS9_10device_ptrItEEEENS9_16discard_iteratorINS9_11use_defaultEEEt11max_functorItEtEEDaPvRmT3_T4_T5_mT6_P12ihipStream_tbENKUlT_T0_E_clISt17integral_constantIbLb1EESX_EEDaSS_ST_EUlSS_E0_NS1_11comp_targetILNS1_3genE10ELNS1_11target_archE1200ELNS1_3gpuE4ELNS1_3repE0EEENS1_30default_config_static_selectorELNS0_4arch9wavefront6targetE1EEEvT1_
                                        ; -- End function
	.section	.AMDGPU.csdata,"",@progbits
; Kernel info:
; codeLenInByte = 0
; NumSgprs: 4
; NumVgprs: 0
; NumAgprs: 0
; TotalNumVgprs: 0
; ScratchSize: 0
; MemoryBound: 0
; FloatMode: 240
; IeeeMode: 1
; LDSByteSize: 0 bytes/workgroup (compile time only)
; SGPRBlocks: 0
; VGPRBlocks: 0
; NumSGPRsForWavesPerEU: 4
; NumVGPRsForWavesPerEU: 1
; AccumOffset: 4
; Occupancy: 8
; WaveLimiterHint : 0
; COMPUTE_PGM_RSRC2:SCRATCH_EN: 0
; COMPUTE_PGM_RSRC2:USER_SGPR: 6
; COMPUTE_PGM_RSRC2:TRAP_HANDLER: 0
; COMPUTE_PGM_RSRC2:TGID_X_EN: 1
; COMPUTE_PGM_RSRC2:TGID_Y_EN: 0
; COMPUTE_PGM_RSRC2:TGID_Z_EN: 0
; COMPUTE_PGM_RSRC2:TIDIG_COMP_CNT: 0
; COMPUTE_PGM_RSRC3_GFX90A:ACCUM_OFFSET: 0
; COMPUTE_PGM_RSRC3_GFX90A:TG_SPLIT: 0
	.section	.text._ZN7rocprim17ROCPRIM_400000_NS6detail17trampoline_kernelINS0_14default_configENS1_20scan_config_selectorItEEZZNS1_9scan_implILNS1_25lookback_scan_determinismE0ELb1ELb1ES3_N6thrust23THRUST_200600_302600_NS6detail15normal_iteratorINS9_10device_ptrItEEEENS9_16discard_iteratorINS9_11use_defaultEEEt11max_functorItEtEEDaPvRmT3_T4_T5_mT6_P12ihipStream_tbENKUlT_T0_E_clISt17integral_constantIbLb1EESX_EEDaSS_ST_EUlSS_E0_NS1_11comp_targetILNS1_3genE9ELNS1_11target_archE1100ELNS1_3gpuE3ELNS1_3repE0EEENS1_30default_config_static_selectorELNS0_4arch9wavefront6targetE1EEEvT1_,"axG",@progbits,_ZN7rocprim17ROCPRIM_400000_NS6detail17trampoline_kernelINS0_14default_configENS1_20scan_config_selectorItEEZZNS1_9scan_implILNS1_25lookback_scan_determinismE0ELb1ELb1ES3_N6thrust23THRUST_200600_302600_NS6detail15normal_iteratorINS9_10device_ptrItEEEENS9_16discard_iteratorINS9_11use_defaultEEEt11max_functorItEtEEDaPvRmT3_T4_T5_mT6_P12ihipStream_tbENKUlT_T0_E_clISt17integral_constantIbLb1EESX_EEDaSS_ST_EUlSS_E0_NS1_11comp_targetILNS1_3genE9ELNS1_11target_archE1100ELNS1_3gpuE3ELNS1_3repE0EEENS1_30default_config_static_selectorELNS0_4arch9wavefront6targetE1EEEvT1_,comdat
	.protected	_ZN7rocprim17ROCPRIM_400000_NS6detail17trampoline_kernelINS0_14default_configENS1_20scan_config_selectorItEEZZNS1_9scan_implILNS1_25lookback_scan_determinismE0ELb1ELb1ES3_N6thrust23THRUST_200600_302600_NS6detail15normal_iteratorINS9_10device_ptrItEEEENS9_16discard_iteratorINS9_11use_defaultEEEt11max_functorItEtEEDaPvRmT3_T4_T5_mT6_P12ihipStream_tbENKUlT_T0_E_clISt17integral_constantIbLb1EESX_EEDaSS_ST_EUlSS_E0_NS1_11comp_targetILNS1_3genE9ELNS1_11target_archE1100ELNS1_3gpuE3ELNS1_3repE0EEENS1_30default_config_static_selectorELNS0_4arch9wavefront6targetE1EEEvT1_ ; -- Begin function _ZN7rocprim17ROCPRIM_400000_NS6detail17trampoline_kernelINS0_14default_configENS1_20scan_config_selectorItEEZZNS1_9scan_implILNS1_25lookback_scan_determinismE0ELb1ELb1ES3_N6thrust23THRUST_200600_302600_NS6detail15normal_iteratorINS9_10device_ptrItEEEENS9_16discard_iteratorINS9_11use_defaultEEEt11max_functorItEtEEDaPvRmT3_T4_T5_mT6_P12ihipStream_tbENKUlT_T0_E_clISt17integral_constantIbLb1EESX_EEDaSS_ST_EUlSS_E0_NS1_11comp_targetILNS1_3genE9ELNS1_11target_archE1100ELNS1_3gpuE3ELNS1_3repE0EEENS1_30default_config_static_selectorELNS0_4arch9wavefront6targetE1EEEvT1_
	.globl	_ZN7rocprim17ROCPRIM_400000_NS6detail17trampoline_kernelINS0_14default_configENS1_20scan_config_selectorItEEZZNS1_9scan_implILNS1_25lookback_scan_determinismE0ELb1ELb1ES3_N6thrust23THRUST_200600_302600_NS6detail15normal_iteratorINS9_10device_ptrItEEEENS9_16discard_iteratorINS9_11use_defaultEEEt11max_functorItEtEEDaPvRmT3_T4_T5_mT6_P12ihipStream_tbENKUlT_T0_E_clISt17integral_constantIbLb1EESX_EEDaSS_ST_EUlSS_E0_NS1_11comp_targetILNS1_3genE9ELNS1_11target_archE1100ELNS1_3gpuE3ELNS1_3repE0EEENS1_30default_config_static_selectorELNS0_4arch9wavefront6targetE1EEEvT1_
	.p2align	8
	.type	_ZN7rocprim17ROCPRIM_400000_NS6detail17trampoline_kernelINS0_14default_configENS1_20scan_config_selectorItEEZZNS1_9scan_implILNS1_25lookback_scan_determinismE0ELb1ELb1ES3_N6thrust23THRUST_200600_302600_NS6detail15normal_iteratorINS9_10device_ptrItEEEENS9_16discard_iteratorINS9_11use_defaultEEEt11max_functorItEtEEDaPvRmT3_T4_T5_mT6_P12ihipStream_tbENKUlT_T0_E_clISt17integral_constantIbLb1EESX_EEDaSS_ST_EUlSS_E0_NS1_11comp_targetILNS1_3genE9ELNS1_11target_archE1100ELNS1_3gpuE3ELNS1_3repE0EEENS1_30default_config_static_selectorELNS0_4arch9wavefront6targetE1EEEvT1_,@function
_ZN7rocprim17ROCPRIM_400000_NS6detail17trampoline_kernelINS0_14default_configENS1_20scan_config_selectorItEEZZNS1_9scan_implILNS1_25lookback_scan_determinismE0ELb1ELb1ES3_N6thrust23THRUST_200600_302600_NS6detail15normal_iteratorINS9_10device_ptrItEEEENS9_16discard_iteratorINS9_11use_defaultEEEt11max_functorItEtEEDaPvRmT3_T4_T5_mT6_P12ihipStream_tbENKUlT_T0_E_clISt17integral_constantIbLb1EESX_EEDaSS_ST_EUlSS_E0_NS1_11comp_targetILNS1_3genE9ELNS1_11target_archE1100ELNS1_3gpuE3ELNS1_3repE0EEENS1_30default_config_static_selectorELNS0_4arch9wavefront6targetE1EEEvT1_: ; @_ZN7rocprim17ROCPRIM_400000_NS6detail17trampoline_kernelINS0_14default_configENS1_20scan_config_selectorItEEZZNS1_9scan_implILNS1_25lookback_scan_determinismE0ELb1ELb1ES3_N6thrust23THRUST_200600_302600_NS6detail15normal_iteratorINS9_10device_ptrItEEEENS9_16discard_iteratorINS9_11use_defaultEEEt11max_functorItEtEEDaPvRmT3_T4_T5_mT6_P12ihipStream_tbENKUlT_T0_E_clISt17integral_constantIbLb1EESX_EEDaSS_ST_EUlSS_E0_NS1_11comp_targetILNS1_3genE9ELNS1_11target_archE1100ELNS1_3gpuE3ELNS1_3repE0EEENS1_30default_config_static_selectorELNS0_4arch9wavefront6targetE1EEEvT1_
; %bb.0:
	.section	.rodata,"a",@progbits
	.p2align	6, 0x0
	.amdhsa_kernel _ZN7rocprim17ROCPRIM_400000_NS6detail17trampoline_kernelINS0_14default_configENS1_20scan_config_selectorItEEZZNS1_9scan_implILNS1_25lookback_scan_determinismE0ELb1ELb1ES3_N6thrust23THRUST_200600_302600_NS6detail15normal_iteratorINS9_10device_ptrItEEEENS9_16discard_iteratorINS9_11use_defaultEEEt11max_functorItEtEEDaPvRmT3_T4_T5_mT6_P12ihipStream_tbENKUlT_T0_E_clISt17integral_constantIbLb1EESX_EEDaSS_ST_EUlSS_E0_NS1_11comp_targetILNS1_3genE9ELNS1_11target_archE1100ELNS1_3gpuE3ELNS1_3repE0EEENS1_30default_config_static_selectorELNS0_4arch9wavefront6targetE1EEEvT1_
		.amdhsa_group_segment_fixed_size 0
		.amdhsa_private_segment_fixed_size 0
		.amdhsa_kernarg_size 40
		.amdhsa_user_sgpr_count 6
		.amdhsa_user_sgpr_private_segment_buffer 1
		.amdhsa_user_sgpr_dispatch_ptr 0
		.amdhsa_user_sgpr_queue_ptr 0
		.amdhsa_user_sgpr_kernarg_segment_ptr 1
		.amdhsa_user_sgpr_dispatch_id 0
		.amdhsa_user_sgpr_flat_scratch_init 0
		.amdhsa_user_sgpr_kernarg_preload_length 0
		.amdhsa_user_sgpr_kernarg_preload_offset 0
		.amdhsa_user_sgpr_private_segment_size 0
		.amdhsa_uses_dynamic_stack 0
		.amdhsa_system_sgpr_private_segment_wavefront_offset 0
		.amdhsa_system_sgpr_workgroup_id_x 1
		.amdhsa_system_sgpr_workgroup_id_y 0
		.amdhsa_system_sgpr_workgroup_id_z 0
		.amdhsa_system_sgpr_workgroup_info 0
		.amdhsa_system_vgpr_workitem_id 0
		.amdhsa_next_free_vgpr 1
		.amdhsa_next_free_sgpr 0
		.amdhsa_accum_offset 4
		.amdhsa_reserve_vcc 0
		.amdhsa_reserve_flat_scratch 0
		.amdhsa_float_round_mode_32 0
		.amdhsa_float_round_mode_16_64 0
		.amdhsa_float_denorm_mode_32 3
		.amdhsa_float_denorm_mode_16_64 3
		.amdhsa_dx10_clamp 1
		.amdhsa_ieee_mode 1
		.amdhsa_fp16_overflow 0
		.amdhsa_tg_split 0
		.amdhsa_exception_fp_ieee_invalid_op 0
		.amdhsa_exception_fp_denorm_src 0
		.amdhsa_exception_fp_ieee_div_zero 0
		.amdhsa_exception_fp_ieee_overflow 0
		.amdhsa_exception_fp_ieee_underflow 0
		.amdhsa_exception_fp_ieee_inexact 0
		.amdhsa_exception_int_div_zero 0
	.end_amdhsa_kernel
	.section	.text._ZN7rocprim17ROCPRIM_400000_NS6detail17trampoline_kernelINS0_14default_configENS1_20scan_config_selectorItEEZZNS1_9scan_implILNS1_25lookback_scan_determinismE0ELb1ELb1ES3_N6thrust23THRUST_200600_302600_NS6detail15normal_iteratorINS9_10device_ptrItEEEENS9_16discard_iteratorINS9_11use_defaultEEEt11max_functorItEtEEDaPvRmT3_T4_T5_mT6_P12ihipStream_tbENKUlT_T0_E_clISt17integral_constantIbLb1EESX_EEDaSS_ST_EUlSS_E0_NS1_11comp_targetILNS1_3genE9ELNS1_11target_archE1100ELNS1_3gpuE3ELNS1_3repE0EEENS1_30default_config_static_selectorELNS0_4arch9wavefront6targetE1EEEvT1_,"axG",@progbits,_ZN7rocprim17ROCPRIM_400000_NS6detail17trampoline_kernelINS0_14default_configENS1_20scan_config_selectorItEEZZNS1_9scan_implILNS1_25lookback_scan_determinismE0ELb1ELb1ES3_N6thrust23THRUST_200600_302600_NS6detail15normal_iteratorINS9_10device_ptrItEEEENS9_16discard_iteratorINS9_11use_defaultEEEt11max_functorItEtEEDaPvRmT3_T4_T5_mT6_P12ihipStream_tbENKUlT_T0_E_clISt17integral_constantIbLb1EESX_EEDaSS_ST_EUlSS_E0_NS1_11comp_targetILNS1_3genE9ELNS1_11target_archE1100ELNS1_3gpuE3ELNS1_3repE0EEENS1_30default_config_static_selectorELNS0_4arch9wavefront6targetE1EEEvT1_,comdat
.Lfunc_end3672:
	.size	_ZN7rocprim17ROCPRIM_400000_NS6detail17trampoline_kernelINS0_14default_configENS1_20scan_config_selectorItEEZZNS1_9scan_implILNS1_25lookback_scan_determinismE0ELb1ELb1ES3_N6thrust23THRUST_200600_302600_NS6detail15normal_iteratorINS9_10device_ptrItEEEENS9_16discard_iteratorINS9_11use_defaultEEEt11max_functorItEtEEDaPvRmT3_T4_T5_mT6_P12ihipStream_tbENKUlT_T0_E_clISt17integral_constantIbLb1EESX_EEDaSS_ST_EUlSS_E0_NS1_11comp_targetILNS1_3genE9ELNS1_11target_archE1100ELNS1_3gpuE3ELNS1_3repE0EEENS1_30default_config_static_selectorELNS0_4arch9wavefront6targetE1EEEvT1_, .Lfunc_end3672-_ZN7rocprim17ROCPRIM_400000_NS6detail17trampoline_kernelINS0_14default_configENS1_20scan_config_selectorItEEZZNS1_9scan_implILNS1_25lookback_scan_determinismE0ELb1ELb1ES3_N6thrust23THRUST_200600_302600_NS6detail15normal_iteratorINS9_10device_ptrItEEEENS9_16discard_iteratorINS9_11use_defaultEEEt11max_functorItEtEEDaPvRmT3_T4_T5_mT6_P12ihipStream_tbENKUlT_T0_E_clISt17integral_constantIbLb1EESX_EEDaSS_ST_EUlSS_E0_NS1_11comp_targetILNS1_3genE9ELNS1_11target_archE1100ELNS1_3gpuE3ELNS1_3repE0EEENS1_30default_config_static_selectorELNS0_4arch9wavefront6targetE1EEEvT1_
                                        ; -- End function
	.section	.AMDGPU.csdata,"",@progbits
; Kernel info:
; codeLenInByte = 0
; NumSgprs: 4
; NumVgprs: 0
; NumAgprs: 0
; TotalNumVgprs: 0
; ScratchSize: 0
; MemoryBound: 0
; FloatMode: 240
; IeeeMode: 1
; LDSByteSize: 0 bytes/workgroup (compile time only)
; SGPRBlocks: 0
; VGPRBlocks: 0
; NumSGPRsForWavesPerEU: 4
; NumVGPRsForWavesPerEU: 1
; AccumOffset: 4
; Occupancy: 8
; WaveLimiterHint : 0
; COMPUTE_PGM_RSRC2:SCRATCH_EN: 0
; COMPUTE_PGM_RSRC2:USER_SGPR: 6
; COMPUTE_PGM_RSRC2:TRAP_HANDLER: 0
; COMPUTE_PGM_RSRC2:TGID_X_EN: 1
; COMPUTE_PGM_RSRC2:TGID_Y_EN: 0
; COMPUTE_PGM_RSRC2:TGID_Z_EN: 0
; COMPUTE_PGM_RSRC2:TIDIG_COMP_CNT: 0
; COMPUTE_PGM_RSRC3_GFX90A:ACCUM_OFFSET: 0
; COMPUTE_PGM_RSRC3_GFX90A:TG_SPLIT: 0
	.section	.text._ZN7rocprim17ROCPRIM_400000_NS6detail17trampoline_kernelINS0_14default_configENS1_20scan_config_selectorItEEZZNS1_9scan_implILNS1_25lookback_scan_determinismE0ELb1ELb1ES3_N6thrust23THRUST_200600_302600_NS6detail15normal_iteratorINS9_10device_ptrItEEEENS9_16discard_iteratorINS9_11use_defaultEEEt11max_functorItEtEEDaPvRmT3_T4_T5_mT6_P12ihipStream_tbENKUlT_T0_E_clISt17integral_constantIbLb1EESX_EEDaSS_ST_EUlSS_E0_NS1_11comp_targetILNS1_3genE8ELNS1_11target_archE1030ELNS1_3gpuE2ELNS1_3repE0EEENS1_30default_config_static_selectorELNS0_4arch9wavefront6targetE1EEEvT1_,"axG",@progbits,_ZN7rocprim17ROCPRIM_400000_NS6detail17trampoline_kernelINS0_14default_configENS1_20scan_config_selectorItEEZZNS1_9scan_implILNS1_25lookback_scan_determinismE0ELb1ELb1ES3_N6thrust23THRUST_200600_302600_NS6detail15normal_iteratorINS9_10device_ptrItEEEENS9_16discard_iteratorINS9_11use_defaultEEEt11max_functorItEtEEDaPvRmT3_T4_T5_mT6_P12ihipStream_tbENKUlT_T0_E_clISt17integral_constantIbLb1EESX_EEDaSS_ST_EUlSS_E0_NS1_11comp_targetILNS1_3genE8ELNS1_11target_archE1030ELNS1_3gpuE2ELNS1_3repE0EEENS1_30default_config_static_selectorELNS0_4arch9wavefront6targetE1EEEvT1_,comdat
	.protected	_ZN7rocprim17ROCPRIM_400000_NS6detail17trampoline_kernelINS0_14default_configENS1_20scan_config_selectorItEEZZNS1_9scan_implILNS1_25lookback_scan_determinismE0ELb1ELb1ES3_N6thrust23THRUST_200600_302600_NS6detail15normal_iteratorINS9_10device_ptrItEEEENS9_16discard_iteratorINS9_11use_defaultEEEt11max_functorItEtEEDaPvRmT3_T4_T5_mT6_P12ihipStream_tbENKUlT_T0_E_clISt17integral_constantIbLb1EESX_EEDaSS_ST_EUlSS_E0_NS1_11comp_targetILNS1_3genE8ELNS1_11target_archE1030ELNS1_3gpuE2ELNS1_3repE0EEENS1_30default_config_static_selectorELNS0_4arch9wavefront6targetE1EEEvT1_ ; -- Begin function _ZN7rocprim17ROCPRIM_400000_NS6detail17trampoline_kernelINS0_14default_configENS1_20scan_config_selectorItEEZZNS1_9scan_implILNS1_25lookback_scan_determinismE0ELb1ELb1ES3_N6thrust23THRUST_200600_302600_NS6detail15normal_iteratorINS9_10device_ptrItEEEENS9_16discard_iteratorINS9_11use_defaultEEEt11max_functorItEtEEDaPvRmT3_T4_T5_mT6_P12ihipStream_tbENKUlT_T0_E_clISt17integral_constantIbLb1EESX_EEDaSS_ST_EUlSS_E0_NS1_11comp_targetILNS1_3genE8ELNS1_11target_archE1030ELNS1_3gpuE2ELNS1_3repE0EEENS1_30default_config_static_selectorELNS0_4arch9wavefront6targetE1EEEvT1_
	.globl	_ZN7rocprim17ROCPRIM_400000_NS6detail17trampoline_kernelINS0_14default_configENS1_20scan_config_selectorItEEZZNS1_9scan_implILNS1_25lookback_scan_determinismE0ELb1ELb1ES3_N6thrust23THRUST_200600_302600_NS6detail15normal_iteratorINS9_10device_ptrItEEEENS9_16discard_iteratorINS9_11use_defaultEEEt11max_functorItEtEEDaPvRmT3_T4_T5_mT6_P12ihipStream_tbENKUlT_T0_E_clISt17integral_constantIbLb1EESX_EEDaSS_ST_EUlSS_E0_NS1_11comp_targetILNS1_3genE8ELNS1_11target_archE1030ELNS1_3gpuE2ELNS1_3repE0EEENS1_30default_config_static_selectorELNS0_4arch9wavefront6targetE1EEEvT1_
	.p2align	8
	.type	_ZN7rocprim17ROCPRIM_400000_NS6detail17trampoline_kernelINS0_14default_configENS1_20scan_config_selectorItEEZZNS1_9scan_implILNS1_25lookback_scan_determinismE0ELb1ELb1ES3_N6thrust23THRUST_200600_302600_NS6detail15normal_iteratorINS9_10device_ptrItEEEENS9_16discard_iteratorINS9_11use_defaultEEEt11max_functorItEtEEDaPvRmT3_T4_T5_mT6_P12ihipStream_tbENKUlT_T0_E_clISt17integral_constantIbLb1EESX_EEDaSS_ST_EUlSS_E0_NS1_11comp_targetILNS1_3genE8ELNS1_11target_archE1030ELNS1_3gpuE2ELNS1_3repE0EEENS1_30default_config_static_selectorELNS0_4arch9wavefront6targetE1EEEvT1_,@function
_ZN7rocprim17ROCPRIM_400000_NS6detail17trampoline_kernelINS0_14default_configENS1_20scan_config_selectorItEEZZNS1_9scan_implILNS1_25lookback_scan_determinismE0ELb1ELb1ES3_N6thrust23THRUST_200600_302600_NS6detail15normal_iteratorINS9_10device_ptrItEEEENS9_16discard_iteratorINS9_11use_defaultEEEt11max_functorItEtEEDaPvRmT3_T4_T5_mT6_P12ihipStream_tbENKUlT_T0_E_clISt17integral_constantIbLb1EESX_EEDaSS_ST_EUlSS_E0_NS1_11comp_targetILNS1_3genE8ELNS1_11target_archE1030ELNS1_3gpuE2ELNS1_3repE0EEENS1_30default_config_static_selectorELNS0_4arch9wavefront6targetE1EEEvT1_: ; @_ZN7rocprim17ROCPRIM_400000_NS6detail17trampoline_kernelINS0_14default_configENS1_20scan_config_selectorItEEZZNS1_9scan_implILNS1_25lookback_scan_determinismE0ELb1ELb1ES3_N6thrust23THRUST_200600_302600_NS6detail15normal_iteratorINS9_10device_ptrItEEEENS9_16discard_iteratorINS9_11use_defaultEEEt11max_functorItEtEEDaPvRmT3_T4_T5_mT6_P12ihipStream_tbENKUlT_T0_E_clISt17integral_constantIbLb1EESX_EEDaSS_ST_EUlSS_E0_NS1_11comp_targetILNS1_3genE8ELNS1_11target_archE1030ELNS1_3gpuE2ELNS1_3repE0EEENS1_30default_config_static_selectorELNS0_4arch9wavefront6targetE1EEEvT1_
; %bb.0:
	.section	.rodata,"a",@progbits
	.p2align	6, 0x0
	.amdhsa_kernel _ZN7rocprim17ROCPRIM_400000_NS6detail17trampoline_kernelINS0_14default_configENS1_20scan_config_selectorItEEZZNS1_9scan_implILNS1_25lookback_scan_determinismE0ELb1ELb1ES3_N6thrust23THRUST_200600_302600_NS6detail15normal_iteratorINS9_10device_ptrItEEEENS9_16discard_iteratorINS9_11use_defaultEEEt11max_functorItEtEEDaPvRmT3_T4_T5_mT6_P12ihipStream_tbENKUlT_T0_E_clISt17integral_constantIbLb1EESX_EEDaSS_ST_EUlSS_E0_NS1_11comp_targetILNS1_3genE8ELNS1_11target_archE1030ELNS1_3gpuE2ELNS1_3repE0EEENS1_30default_config_static_selectorELNS0_4arch9wavefront6targetE1EEEvT1_
		.amdhsa_group_segment_fixed_size 0
		.amdhsa_private_segment_fixed_size 0
		.amdhsa_kernarg_size 40
		.amdhsa_user_sgpr_count 6
		.amdhsa_user_sgpr_private_segment_buffer 1
		.amdhsa_user_sgpr_dispatch_ptr 0
		.amdhsa_user_sgpr_queue_ptr 0
		.amdhsa_user_sgpr_kernarg_segment_ptr 1
		.amdhsa_user_sgpr_dispatch_id 0
		.amdhsa_user_sgpr_flat_scratch_init 0
		.amdhsa_user_sgpr_kernarg_preload_length 0
		.amdhsa_user_sgpr_kernarg_preload_offset 0
		.amdhsa_user_sgpr_private_segment_size 0
		.amdhsa_uses_dynamic_stack 0
		.amdhsa_system_sgpr_private_segment_wavefront_offset 0
		.amdhsa_system_sgpr_workgroup_id_x 1
		.amdhsa_system_sgpr_workgroup_id_y 0
		.amdhsa_system_sgpr_workgroup_id_z 0
		.amdhsa_system_sgpr_workgroup_info 0
		.amdhsa_system_vgpr_workitem_id 0
		.amdhsa_next_free_vgpr 1
		.amdhsa_next_free_sgpr 0
		.amdhsa_accum_offset 4
		.amdhsa_reserve_vcc 0
		.amdhsa_reserve_flat_scratch 0
		.amdhsa_float_round_mode_32 0
		.amdhsa_float_round_mode_16_64 0
		.amdhsa_float_denorm_mode_32 3
		.amdhsa_float_denorm_mode_16_64 3
		.amdhsa_dx10_clamp 1
		.amdhsa_ieee_mode 1
		.amdhsa_fp16_overflow 0
		.amdhsa_tg_split 0
		.amdhsa_exception_fp_ieee_invalid_op 0
		.amdhsa_exception_fp_denorm_src 0
		.amdhsa_exception_fp_ieee_div_zero 0
		.amdhsa_exception_fp_ieee_overflow 0
		.amdhsa_exception_fp_ieee_underflow 0
		.amdhsa_exception_fp_ieee_inexact 0
		.amdhsa_exception_int_div_zero 0
	.end_amdhsa_kernel
	.section	.text._ZN7rocprim17ROCPRIM_400000_NS6detail17trampoline_kernelINS0_14default_configENS1_20scan_config_selectorItEEZZNS1_9scan_implILNS1_25lookback_scan_determinismE0ELb1ELb1ES3_N6thrust23THRUST_200600_302600_NS6detail15normal_iteratorINS9_10device_ptrItEEEENS9_16discard_iteratorINS9_11use_defaultEEEt11max_functorItEtEEDaPvRmT3_T4_T5_mT6_P12ihipStream_tbENKUlT_T0_E_clISt17integral_constantIbLb1EESX_EEDaSS_ST_EUlSS_E0_NS1_11comp_targetILNS1_3genE8ELNS1_11target_archE1030ELNS1_3gpuE2ELNS1_3repE0EEENS1_30default_config_static_selectorELNS0_4arch9wavefront6targetE1EEEvT1_,"axG",@progbits,_ZN7rocprim17ROCPRIM_400000_NS6detail17trampoline_kernelINS0_14default_configENS1_20scan_config_selectorItEEZZNS1_9scan_implILNS1_25lookback_scan_determinismE0ELb1ELb1ES3_N6thrust23THRUST_200600_302600_NS6detail15normal_iteratorINS9_10device_ptrItEEEENS9_16discard_iteratorINS9_11use_defaultEEEt11max_functorItEtEEDaPvRmT3_T4_T5_mT6_P12ihipStream_tbENKUlT_T0_E_clISt17integral_constantIbLb1EESX_EEDaSS_ST_EUlSS_E0_NS1_11comp_targetILNS1_3genE8ELNS1_11target_archE1030ELNS1_3gpuE2ELNS1_3repE0EEENS1_30default_config_static_selectorELNS0_4arch9wavefront6targetE1EEEvT1_,comdat
.Lfunc_end3673:
	.size	_ZN7rocprim17ROCPRIM_400000_NS6detail17trampoline_kernelINS0_14default_configENS1_20scan_config_selectorItEEZZNS1_9scan_implILNS1_25lookback_scan_determinismE0ELb1ELb1ES3_N6thrust23THRUST_200600_302600_NS6detail15normal_iteratorINS9_10device_ptrItEEEENS9_16discard_iteratorINS9_11use_defaultEEEt11max_functorItEtEEDaPvRmT3_T4_T5_mT6_P12ihipStream_tbENKUlT_T0_E_clISt17integral_constantIbLb1EESX_EEDaSS_ST_EUlSS_E0_NS1_11comp_targetILNS1_3genE8ELNS1_11target_archE1030ELNS1_3gpuE2ELNS1_3repE0EEENS1_30default_config_static_selectorELNS0_4arch9wavefront6targetE1EEEvT1_, .Lfunc_end3673-_ZN7rocprim17ROCPRIM_400000_NS6detail17trampoline_kernelINS0_14default_configENS1_20scan_config_selectorItEEZZNS1_9scan_implILNS1_25lookback_scan_determinismE0ELb1ELb1ES3_N6thrust23THRUST_200600_302600_NS6detail15normal_iteratorINS9_10device_ptrItEEEENS9_16discard_iteratorINS9_11use_defaultEEEt11max_functorItEtEEDaPvRmT3_T4_T5_mT6_P12ihipStream_tbENKUlT_T0_E_clISt17integral_constantIbLb1EESX_EEDaSS_ST_EUlSS_E0_NS1_11comp_targetILNS1_3genE8ELNS1_11target_archE1030ELNS1_3gpuE2ELNS1_3repE0EEENS1_30default_config_static_selectorELNS0_4arch9wavefront6targetE1EEEvT1_
                                        ; -- End function
	.section	.AMDGPU.csdata,"",@progbits
; Kernel info:
; codeLenInByte = 0
; NumSgprs: 4
; NumVgprs: 0
; NumAgprs: 0
; TotalNumVgprs: 0
; ScratchSize: 0
; MemoryBound: 0
; FloatMode: 240
; IeeeMode: 1
; LDSByteSize: 0 bytes/workgroup (compile time only)
; SGPRBlocks: 0
; VGPRBlocks: 0
; NumSGPRsForWavesPerEU: 4
; NumVGPRsForWavesPerEU: 1
; AccumOffset: 4
; Occupancy: 8
; WaveLimiterHint : 0
; COMPUTE_PGM_RSRC2:SCRATCH_EN: 0
; COMPUTE_PGM_RSRC2:USER_SGPR: 6
; COMPUTE_PGM_RSRC2:TRAP_HANDLER: 0
; COMPUTE_PGM_RSRC2:TGID_X_EN: 1
; COMPUTE_PGM_RSRC2:TGID_Y_EN: 0
; COMPUTE_PGM_RSRC2:TGID_Z_EN: 0
; COMPUTE_PGM_RSRC2:TIDIG_COMP_CNT: 0
; COMPUTE_PGM_RSRC3_GFX90A:ACCUM_OFFSET: 0
; COMPUTE_PGM_RSRC3_GFX90A:TG_SPLIT: 0
	.section	.text._ZN7rocprim17ROCPRIM_400000_NS6detail17trampoline_kernelINS0_14default_configENS1_20scan_config_selectorItEEZZNS1_9scan_implILNS1_25lookback_scan_determinismE0ELb1ELb1ES3_N6thrust23THRUST_200600_302600_NS6detail15normal_iteratorINS9_10device_ptrItEEEENS9_16discard_iteratorINS9_11use_defaultEEEt11max_functorItEtEEDaPvRmT3_T4_T5_mT6_P12ihipStream_tbENKUlT_T0_E_clISt17integral_constantIbLb1EESW_IbLb0EEEEDaSS_ST_EUlSS_E_NS1_11comp_targetILNS1_3genE0ELNS1_11target_archE4294967295ELNS1_3gpuE0ELNS1_3repE0EEENS1_30default_config_static_selectorELNS0_4arch9wavefront6targetE1EEEvT1_,"axG",@progbits,_ZN7rocprim17ROCPRIM_400000_NS6detail17trampoline_kernelINS0_14default_configENS1_20scan_config_selectorItEEZZNS1_9scan_implILNS1_25lookback_scan_determinismE0ELb1ELb1ES3_N6thrust23THRUST_200600_302600_NS6detail15normal_iteratorINS9_10device_ptrItEEEENS9_16discard_iteratorINS9_11use_defaultEEEt11max_functorItEtEEDaPvRmT3_T4_T5_mT6_P12ihipStream_tbENKUlT_T0_E_clISt17integral_constantIbLb1EESW_IbLb0EEEEDaSS_ST_EUlSS_E_NS1_11comp_targetILNS1_3genE0ELNS1_11target_archE4294967295ELNS1_3gpuE0ELNS1_3repE0EEENS1_30default_config_static_selectorELNS0_4arch9wavefront6targetE1EEEvT1_,comdat
	.protected	_ZN7rocprim17ROCPRIM_400000_NS6detail17trampoline_kernelINS0_14default_configENS1_20scan_config_selectorItEEZZNS1_9scan_implILNS1_25lookback_scan_determinismE0ELb1ELb1ES3_N6thrust23THRUST_200600_302600_NS6detail15normal_iteratorINS9_10device_ptrItEEEENS9_16discard_iteratorINS9_11use_defaultEEEt11max_functorItEtEEDaPvRmT3_T4_T5_mT6_P12ihipStream_tbENKUlT_T0_E_clISt17integral_constantIbLb1EESW_IbLb0EEEEDaSS_ST_EUlSS_E_NS1_11comp_targetILNS1_3genE0ELNS1_11target_archE4294967295ELNS1_3gpuE0ELNS1_3repE0EEENS1_30default_config_static_selectorELNS0_4arch9wavefront6targetE1EEEvT1_ ; -- Begin function _ZN7rocprim17ROCPRIM_400000_NS6detail17trampoline_kernelINS0_14default_configENS1_20scan_config_selectorItEEZZNS1_9scan_implILNS1_25lookback_scan_determinismE0ELb1ELb1ES3_N6thrust23THRUST_200600_302600_NS6detail15normal_iteratorINS9_10device_ptrItEEEENS9_16discard_iteratorINS9_11use_defaultEEEt11max_functorItEtEEDaPvRmT3_T4_T5_mT6_P12ihipStream_tbENKUlT_T0_E_clISt17integral_constantIbLb1EESW_IbLb0EEEEDaSS_ST_EUlSS_E_NS1_11comp_targetILNS1_3genE0ELNS1_11target_archE4294967295ELNS1_3gpuE0ELNS1_3repE0EEENS1_30default_config_static_selectorELNS0_4arch9wavefront6targetE1EEEvT1_
	.globl	_ZN7rocprim17ROCPRIM_400000_NS6detail17trampoline_kernelINS0_14default_configENS1_20scan_config_selectorItEEZZNS1_9scan_implILNS1_25lookback_scan_determinismE0ELb1ELb1ES3_N6thrust23THRUST_200600_302600_NS6detail15normal_iteratorINS9_10device_ptrItEEEENS9_16discard_iteratorINS9_11use_defaultEEEt11max_functorItEtEEDaPvRmT3_T4_T5_mT6_P12ihipStream_tbENKUlT_T0_E_clISt17integral_constantIbLb1EESW_IbLb0EEEEDaSS_ST_EUlSS_E_NS1_11comp_targetILNS1_3genE0ELNS1_11target_archE4294967295ELNS1_3gpuE0ELNS1_3repE0EEENS1_30default_config_static_selectorELNS0_4arch9wavefront6targetE1EEEvT1_
	.p2align	8
	.type	_ZN7rocprim17ROCPRIM_400000_NS6detail17trampoline_kernelINS0_14default_configENS1_20scan_config_selectorItEEZZNS1_9scan_implILNS1_25lookback_scan_determinismE0ELb1ELb1ES3_N6thrust23THRUST_200600_302600_NS6detail15normal_iteratorINS9_10device_ptrItEEEENS9_16discard_iteratorINS9_11use_defaultEEEt11max_functorItEtEEDaPvRmT3_T4_T5_mT6_P12ihipStream_tbENKUlT_T0_E_clISt17integral_constantIbLb1EESW_IbLb0EEEEDaSS_ST_EUlSS_E_NS1_11comp_targetILNS1_3genE0ELNS1_11target_archE4294967295ELNS1_3gpuE0ELNS1_3repE0EEENS1_30default_config_static_selectorELNS0_4arch9wavefront6targetE1EEEvT1_,@function
_ZN7rocprim17ROCPRIM_400000_NS6detail17trampoline_kernelINS0_14default_configENS1_20scan_config_selectorItEEZZNS1_9scan_implILNS1_25lookback_scan_determinismE0ELb1ELb1ES3_N6thrust23THRUST_200600_302600_NS6detail15normal_iteratorINS9_10device_ptrItEEEENS9_16discard_iteratorINS9_11use_defaultEEEt11max_functorItEtEEDaPvRmT3_T4_T5_mT6_P12ihipStream_tbENKUlT_T0_E_clISt17integral_constantIbLb1EESW_IbLb0EEEEDaSS_ST_EUlSS_E_NS1_11comp_targetILNS1_3genE0ELNS1_11target_archE4294967295ELNS1_3gpuE0ELNS1_3repE0EEENS1_30default_config_static_selectorELNS0_4arch9wavefront6targetE1EEEvT1_: ; @_ZN7rocprim17ROCPRIM_400000_NS6detail17trampoline_kernelINS0_14default_configENS1_20scan_config_selectorItEEZZNS1_9scan_implILNS1_25lookback_scan_determinismE0ELb1ELb1ES3_N6thrust23THRUST_200600_302600_NS6detail15normal_iteratorINS9_10device_ptrItEEEENS9_16discard_iteratorINS9_11use_defaultEEEt11max_functorItEtEEDaPvRmT3_T4_T5_mT6_P12ihipStream_tbENKUlT_T0_E_clISt17integral_constantIbLb1EESW_IbLb0EEEEDaSS_ST_EUlSS_E_NS1_11comp_targetILNS1_3genE0ELNS1_11target_archE4294967295ELNS1_3gpuE0ELNS1_3repE0EEENS1_30default_config_static_selectorELNS0_4arch9wavefront6targetE1EEEvT1_
; %bb.0:
	.section	.rodata,"a",@progbits
	.p2align	6, 0x0
	.amdhsa_kernel _ZN7rocprim17ROCPRIM_400000_NS6detail17trampoline_kernelINS0_14default_configENS1_20scan_config_selectorItEEZZNS1_9scan_implILNS1_25lookback_scan_determinismE0ELb1ELb1ES3_N6thrust23THRUST_200600_302600_NS6detail15normal_iteratorINS9_10device_ptrItEEEENS9_16discard_iteratorINS9_11use_defaultEEEt11max_functorItEtEEDaPvRmT3_T4_T5_mT6_P12ihipStream_tbENKUlT_T0_E_clISt17integral_constantIbLb1EESW_IbLb0EEEEDaSS_ST_EUlSS_E_NS1_11comp_targetILNS1_3genE0ELNS1_11target_archE4294967295ELNS1_3gpuE0ELNS1_3repE0EEENS1_30default_config_static_selectorELNS0_4arch9wavefront6targetE1EEEvT1_
		.amdhsa_group_segment_fixed_size 0
		.amdhsa_private_segment_fixed_size 0
		.amdhsa_kernarg_size 104
		.amdhsa_user_sgpr_count 6
		.amdhsa_user_sgpr_private_segment_buffer 1
		.amdhsa_user_sgpr_dispatch_ptr 0
		.amdhsa_user_sgpr_queue_ptr 0
		.amdhsa_user_sgpr_kernarg_segment_ptr 1
		.amdhsa_user_sgpr_dispatch_id 0
		.amdhsa_user_sgpr_flat_scratch_init 0
		.amdhsa_user_sgpr_kernarg_preload_length 0
		.amdhsa_user_sgpr_kernarg_preload_offset 0
		.amdhsa_user_sgpr_private_segment_size 0
		.amdhsa_uses_dynamic_stack 0
		.amdhsa_system_sgpr_private_segment_wavefront_offset 0
		.amdhsa_system_sgpr_workgroup_id_x 1
		.amdhsa_system_sgpr_workgroup_id_y 0
		.amdhsa_system_sgpr_workgroup_id_z 0
		.amdhsa_system_sgpr_workgroup_info 0
		.amdhsa_system_vgpr_workitem_id 0
		.amdhsa_next_free_vgpr 1
		.amdhsa_next_free_sgpr 0
		.amdhsa_accum_offset 4
		.amdhsa_reserve_vcc 0
		.amdhsa_reserve_flat_scratch 0
		.amdhsa_float_round_mode_32 0
		.amdhsa_float_round_mode_16_64 0
		.amdhsa_float_denorm_mode_32 3
		.amdhsa_float_denorm_mode_16_64 3
		.amdhsa_dx10_clamp 1
		.amdhsa_ieee_mode 1
		.amdhsa_fp16_overflow 0
		.amdhsa_tg_split 0
		.amdhsa_exception_fp_ieee_invalid_op 0
		.amdhsa_exception_fp_denorm_src 0
		.amdhsa_exception_fp_ieee_div_zero 0
		.amdhsa_exception_fp_ieee_overflow 0
		.amdhsa_exception_fp_ieee_underflow 0
		.amdhsa_exception_fp_ieee_inexact 0
		.amdhsa_exception_int_div_zero 0
	.end_amdhsa_kernel
	.section	.text._ZN7rocprim17ROCPRIM_400000_NS6detail17trampoline_kernelINS0_14default_configENS1_20scan_config_selectorItEEZZNS1_9scan_implILNS1_25lookback_scan_determinismE0ELb1ELb1ES3_N6thrust23THRUST_200600_302600_NS6detail15normal_iteratorINS9_10device_ptrItEEEENS9_16discard_iteratorINS9_11use_defaultEEEt11max_functorItEtEEDaPvRmT3_T4_T5_mT6_P12ihipStream_tbENKUlT_T0_E_clISt17integral_constantIbLb1EESW_IbLb0EEEEDaSS_ST_EUlSS_E_NS1_11comp_targetILNS1_3genE0ELNS1_11target_archE4294967295ELNS1_3gpuE0ELNS1_3repE0EEENS1_30default_config_static_selectorELNS0_4arch9wavefront6targetE1EEEvT1_,"axG",@progbits,_ZN7rocprim17ROCPRIM_400000_NS6detail17trampoline_kernelINS0_14default_configENS1_20scan_config_selectorItEEZZNS1_9scan_implILNS1_25lookback_scan_determinismE0ELb1ELb1ES3_N6thrust23THRUST_200600_302600_NS6detail15normal_iteratorINS9_10device_ptrItEEEENS9_16discard_iteratorINS9_11use_defaultEEEt11max_functorItEtEEDaPvRmT3_T4_T5_mT6_P12ihipStream_tbENKUlT_T0_E_clISt17integral_constantIbLb1EESW_IbLb0EEEEDaSS_ST_EUlSS_E_NS1_11comp_targetILNS1_3genE0ELNS1_11target_archE4294967295ELNS1_3gpuE0ELNS1_3repE0EEENS1_30default_config_static_selectorELNS0_4arch9wavefront6targetE1EEEvT1_,comdat
.Lfunc_end3674:
	.size	_ZN7rocprim17ROCPRIM_400000_NS6detail17trampoline_kernelINS0_14default_configENS1_20scan_config_selectorItEEZZNS1_9scan_implILNS1_25lookback_scan_determinismE0ELb1ELb1ES3_N6thrust23THRUST_200600_302600_NS6detail15normal_iteratorINS9_10device_ptrItEEEENS9_16discard_iteratorINS9_11use_defaultEEEt11max_functorItEtEEDaPvRmT3_T4_T5_mT6_P12ihipStream_tbENKUlT_T0_E_clISt17integral_constantIbLb1EESW_IbLb0EEEEDaSS_ST_EUlSS_E_NS1_11comp_targetILNS1_3genE0ELNS1_11target_archE4294967295ELNS1_3gpuE0ELNS1_3repE0EEENS1_30default_config_static_selectorELNS0_4arch9wavefront6targetE1EEEvT1_, .Lfunc_end3674-_ZN7rocprim17ROCPRIM_400000_NS6detail17trampoline_kernelINS0_14default_configENS1_20scan_config_selectorItEEZZNS1_9scan_implILNS1_25lookback_scan_determinismE0ELb1ELb1ES3_N6thrust23THRUST_200600_302600_NS6detail15normal_iteratorINS9_10device_ptrItEEEENS9_16discard_iteratorINS9_11use_defaultEEEt11max_functorItEtEEDaPvRmT3_T4_T5_mT6_P12ihipStream_tbENKUlT_T0_E_clISt17integral_constantIbLb1EESW_IbLb0EEEEDaSS_ST_EUlSS_E_NS1_11comp_targetILNS1_3genE0ELNS1_11target_archE4294967295ELNS1_3gpuE0ELNS1_3repE0EEENS1_30default_config_static_selectorELNS0_4arch9wavefront6targetE1EEEvT1_
                                        ; -- End function
	.section	.AMDGPU.csdata,"",@progbits
; Kernel info:
; codeLenInByte = 0
; NumSgprs: 4
; NumVgprs: 0
; NumAgprs: 0
; TotalNumVgprs: 0
; ScratchSize: 0
; MemoryBound: 0
; FloatMode: 240
; IeeeMode: 1
; LDSByteSize: 0 bytes/workgroup (compile time only)
; SGPRBlocks: 0
; VGPRBlocks: 0
; NumSGPRsForWavesPerEU: 4
; NumVGPRsForWavesPerEU: 1
; AccumOffset: 4
; Occupancy: 8
; WaveLimiterHint : 0
; COMPUTE_PGM_RSRC2:SCRATCH_EN: 0
; COMPUTE_PGM_RSRC2:USER_SGPR: 6
; COMPUTE_PGM_RSRC2:TRAP_HANDLER: 0
; COMPUTE_PGM_RSRC2:TGID_X_EN: 1
; COMPUTE_PGM_RSRC2:TGID_Y_EN: 0
; COMPUTE_PGM_RSRC2:TGID_Z_EN: 0
; COMPUTE_PGM_RSRC2:TIDIG_COMP_CNT: 0
; COMPUTE_PGM_RSRC3_GFX90A:ACCUM_OFFSET: 0
; COMPUTE_PGM_RSRC3_GFX90A:TG_SPLIT: 0
	.section	.text._ZN7rocprim17ROCPRIM_400000_NS6detail17trampoline_kernelINS0_14default_configENS1_20scan_config_selectorItEEZZNS1_9scan_implILNS1_25lookback_scan_determinismE0ELb1ELb1ES3_N6thrust23THRUST_200600_302600_NS6detail15normal_iteratorINS9_10device_ptrItEEEENS9_16discard_iteratorINS9_11use_defaultEEEt11max_functorItEtEEDaPvRmT3_T4_T5_mT6_P12ihipStream_tbENKUlT_T0_E_clISt17integral_constantIbLb1EESW_IbLb0EEEEDaSS_ST_EUlSS_E_NS1_11comp_targetILNS1_3genE5ELNS1_11target_archE942ELNS1_3gpuE9ELNS1_3repE0EEENS1_30default_config_static_selectorELNS0_4arch9wavefront6targetE1EEEvT1_,"axG",@progbits,_ZN7rocprim17ROCPRIM_400000_NS6detail17trampoline_kernelINS0_14default_configENS1_20scan_config_selectorItEEZZNS1_9scan_implILNS1_25lookback_scan_determinismE0ELb1ELb1ES3_N6thrust23THRUST_200600_302600_NS6detail15normal_iteratorINS9_10device_ptrItEEEENS9_16discard_iteratorINS9_11use_defaultEEEt11max_functorItEtEEDaPvRmT3_T4_T5_mT6_P12ihipStream_tbENKUlT_T0_E_clISt17integral_constantIbLb1EESW_IbLb0EEEEDaSS_ST_EUlSS_E_NS1_11comp_targetILNS1_3genE5ELNS1_11target_archE942ELNS1_3gpuE9ELNS1_3repE0EEENS1_30default_config_static_selectorELNS0_4arch9wavefront6targetE1EEEvT1_,comdat
	.protected	_ZN7rocprim17ROCPRIM_400000_NS6detail17trampoline_kernelINS0_14default_configENS1_20scan_config_selectorItEEZZNS1_9scan_implILNS1_25lookback_scan_determinismE0ELb1ELb1ES3_N6thrust23THRUST_200600_302600_NS6detail15normal_iteratorINS9_10device_ptrItEEEENS9_16discard_iteratorINS9_11use_defaultEEEt11max_functorItEtEEDaPvRmT3_T4_T5_mT6_P12ihipStream_tbENKUlT_T0_E_clISt17integral_constantIbLb1EESW_IbLb0EEEEDaSS_ST_EUlSS_E_NS1_11comp_targetILNS1_3genE5ELNS1_11target_archE942ELNS1_3gpuE9ELNS1_3repE0EEENS1_30default_config_static_selectorELNS0_4arch9wavefront6targetE1EEEvT1_ ; -- Begin function _ZN7rocprim17ROCPRIM_400000_NS6detail17trampoline_kernelINS0_14default_configENS1_20scan_config_selectorItEEZZNS1_9scan_implILNS1_25lookback_scan_determinismE0ELb1ELb1ES3_N6thrust23THRUST_200600_302600_NS6detail15normal_iteratorINS9_10device_ptrItEEEENS9_16discard_iteratorINS9_11use_defaultEEEt11max_functorItEtEEDaPvRmT3_T4_T5_mT6_P12ihipStream_tbENKUlT_T0_E_clISt17integral_constantIbLb1EESW_IbLb0EEEEDaSS_ST_EUlSS_E_NS1_11comp_targetILNS1_3genE5ELNS1_11target_archE942ELNS1_3gpuE9ELNS1_3repE0EEENS1_30default_config_static_selectorELNS0_4arch9wavefront6targetE1EEEvT1_
	.globl	_ZN7rocprim17ROCPRIM_400000_NS6detail17trampoline_kernelINS0_14default_configENS1_20scan_config_selectorItEEZZNS1_9scan_implILNS1_25lookback_scan_determinismE0ELb1ELb1ES3_N6thrust23THRUST_200600_302600_NS6detail15normal_iteratorINS9_10device_ptrItEEEENS9_16discard_iteratorINS9_11use_defaultEEEt11max_functorItEtEEDaPvRmT3_T4_T5_mT6_P12ihipStream_tbENKUlT_T0_E_clISt17integral_constantIbLb1EESW_IbLb0EEEEDaSS_ST_EUlSS_E_NS1_11comp_targetILNS1_3genE5ELNS1_11target_archE942ELNS1_3gpuE9ELNS1_3repE0EEENS1_30default_config_static_selectorELNS0_4arch9wavefront6targetE1EEEvT1_
	.p2align	8
	.type	_ZN7rocprim17ROCPRIM_400000_NS6detail17trampoline_kernelINS0_14default_configENS1_20scan_config_selectorItEEZZNS1_9scan_implILNS1_25lookback_scan_determinismE0ELb1ELb1ES3_N6thrust23THRUST_200600_302600_NS6detail15normal_iteratorINS9_10device_ptrItEEEENS9_16discard_iteratorINS9_11use_defaultEEEt11max_functorItEtEEDaPvRmT3_T4_T5_mT6_P12ihipStream_tbENKUlT_T0_E_clISt17integral_constantIbLb1EESW_IbLb0EEEEDaSS_ST_EUlSS_E_NS1_11comp_targetILNS1_3genE5ELNS1_11target_archE942ELNS1_3gpuE9ELNS1_3repE0EEENS1_30default_config_static_selectorELNS0_4arch9wavefront6targetE1EEEvT1_,@function
_ZN7rocprim17ROCPRIM_400000_NS6detail17trampoline_kernelINS0_14default_configENS1_20scan_config_selectorItEEZZNS1_9scan_implILNS1_25lookback_scan_determinismE0ELb1ELb1ES3_N6thrust23THRUST_200600_302600_NS6detail15normal_iteratorINS9_10device_ptrItEEEENS9_16discard_iteratorINS9_11use_defaultEEEt11max_functorItEtEEDaPvRmT3_T4_T5_mT6_P12ihipStream_tbENKUlT_T0_E_clISt17integral_constantIbLb1EESW_IbLb0EEEEDaSS_ST_EUlSS_E_NS1_11comp_targetILNS1_3genE5ELNS1_11target_archE942ELNS1_3gpuE9ELNS1_3repE0EEENS1_30default_config_static_selectorELNS0_4arch9wavefront6targetE1EEEvT1_: ; @_ZN7rocprim17ROCPRIM_400000_NS6detail17trampoline_kernelINS0_14default_configENS1_20scan_config_selectorItEEZZNS1_9scan_implILNS1_25lookback_scan_determinismE0ELb1ELb1ES3_N6thrust23THRUST_200600_302600_NS6detail15normal_iteratorINS9_10device_ptrItEEEENS9_16discard_iteratorINS9_11use_defaultEEEt11max_functorItEtEEDaPvRmT3_T4_T5_mT6_P12ihipStream_tbENKUlT_T0_E_clISt17integral_constantIbLb1EESW_IbLb0EEEEDaSS_ST_EUlSS_E_NS1_11comp_targetILNS1_3genE5ELNS1_11target_archE942ELNS1_3gpuE9ELNS1_3repE0EEENS1_30default_config_static_selectorELNS0_4arch9wavefront6targetE1EEEvT1_
; %bb.0:
	.section	.rodata,"a",@progbits
	.p2align	6, 0x0
	.amdhsa_kernel _ZN7rocprim17ROCPRIM_400000_NS6detail17trampoline_kernelINS0_14default_configENS1_20scan_config_selectorItEEZZNS1_9scan_implILNS1_25lookback_scan_determinismE0ELb1ELb1ES3_N6thrust23THRUST_200600_302600_NS6detail15normal_iteratorINS9_10device_ptrItEEEENS9_16discard_iteratorINS9_11use_defaultEEEt11max_functorItEtEEDaPvRmT3_T4_T5_mT6_P12ihipStream_tbENKUlT_T0_E_clISt17integral_constantIbLb1EESW_IbLb0EEEEDaSS_ST_EUlSS_E_NS1_11comp_targetILNS1_3genE5ELNS1_11target_archE942ELNS1_3gpuE9ELNS1_3repE0EEENS1_30default_config_static_selectorELNS0_4arch9wavefront6targetE1EEEvT1_
		.amdhsa_group_segment_fixed_size 0
		.amdhsa_private_segment_fixed_size 0
		.amdhsa_kernarg_size 104
		.amdhsa_user_sgpr_count 6
		.amdhsa_user_sgpr_private_segment_buffer 1
		.amdhsa_user_sgpr_dispatch_ptr 0
		.amdhsa_user_sgpr_queue_ptr 0
		.amdhsa_user_sgpr_kernarg_segment_ptr 1
		.amdhsa_user_sgpr_dispatch_id 0
		.amdhsa_user_sgpr_flat_scratch_init 0
		.amdhsa_user_sgpr_kernarg_preload_length 0
		.amdhsa_user_sgpr_kernarg_preload_offset 0
		.amdhsa_user_sgpr_private_segment_size 0
		.amdhsa_uses_dynamic_stack 0
		.amdhsa_system_sgpr_private_segment_wavefront_offset 0
		.amdhsa_system_sgpr_workgroup_id_x 1
		.amdhsa_system_sgpr_workgroup_id_y 0
		.amdhsa_system_sgpr_workgroup_id_z 0
		.amdhsa_system_sgpr_workgroup_info 0
		.amdhsa_system_vgpr_workitem_id 0
		.amdhsa_next_free_vgpr 1
		.amdhsa_next_free_sgpr 0
		.amdhsa_accum_offset 4
		.amdhsa_reserve_vcc 0
		.amdhsa_reserve_flat_scratch 0
		.amdhsa_float_round_mode_32 0
		.amdhsa_float_round_mode_16_64 0
		.amdhsa_float_denorm_mode_32 3
		.amdhsa_float_denorm_mode_16_64 3
		.amdhsa_dx10_clamp 1
		.amdhsa_ieee_mode 1
		.amdhsa_fp16_overflow 0
		.amdhsa_tg_split 0
		.amdhsa_exception_fp_ieee_invalid_op 0
		.amdhsa_exception_fp_denorm_src 0
		.amdhsa_exception_fp_ieee_div_zero 0
		.amdhsa_exception_fp_ieee_overflow 0
		.amdhsa_exception_fp_ieee_underflow 0
		.amdhsa_exception_fp_ieee_inexact 0
		.amdhsa_exception_int_div_zero 0
	.end_amdhsa_kernel
	.section	.text._ZN7rocprim17ROCPRIM_400000_NS6detail17trampoline_kernelINS0_14default_configENS1_20scan_config_selectorItEEZZNS1_9scan_implILNS1_25lookback_scan_determinismE0ELb1ELb1ES3_N6thrust23THRUST_200600_302600_NS6detail15normal_iteratorINS9_10device_ptrItEEEENS9_16discard_iteratorINS9_11use_defaultEEEt11max_functorItEtEEDaPvRmT3_T4_T5_mT6_P12ihipStream_tbENKUlT_T0_E_clISt17integral_constantIbLb1EESW_IbLb0EEEEDaSS_ST_EUlSS_E_NS1_11comp_targetILNS1_3genE5ELNS1_11target_archE942ELNS1_3gpuE9ELNS1_3repE0EEENS1_30default_config_static_selectorELNS0_4arch9wavefront6targetE1EEEvT1_,"axG",@progbits,_ZN7rocprim17ROCPRIM_400000_NS6detail17trampoline_kernelINS0_14default_configENS1_20scan_config_selectorItEEZZNS1_9scan_implILNS1_25lookback_scan_determinismE0ELb1ELb1ES3_N6thrust23THRUST_200600_302600_NS6detail15normal_iteratorINS9_10device_ptrItEEEENS9_16discard_iteratorINS9_11use_defaultEEEt11max_functorItEtEEDaPvRmT3_T4_T5_mT6_P12ihipStream_tbENKUlT_T0_E_clISt17integral_constantIbLb1EESW_IbLb0EEEEDaSS_ST_EUlSS_E_NS1_11comp_targetILNS1_3genE5ELNS1_11target_archE942ELNS1_3gpuE9ELNS1_3repE0EEENS1_30default_config_static_selectorELNS0_4arch9wavefront6targetE1EEEvT1_,comdat
.Lfunc_end3675:
	.size	_ZN7rocprim17ROCPRIM_400000_NS6detail17trampoline_kernelINS0_14default_configENS1_20scan_config_selectorItEEZZNS1_9scan_implILNS1_25lookback_scan_determinismE0ELb1ELb1ES3_N6thrust23THRUST_200600_302600_NS6detail15normal_iteratorINS9_10device_ptrItEEEENS9_16discard_iteratorINS9_11use_defaultEEEt11max_functorItEtEEDaPvRmT3_T4_T5_mT6_P12ihipStream_tbENKUlT_T0_E_clISt17integral_constantIbLb1EESW_IbLb0EEEEDaSS_ST_EUlSS_E_NS1_11comp_targetILNS1_3genE5ELNS1_11target_archE942ELNS1_3gpuE9ELNS1_3repE0EEENS1_30default_config_static_selectorELNS0_4arch9wavefront6targetE1EEEvT1_, .Lfunc_end3675-_ZN7rocprim17ROCPRIM_400000_NS6detail17trampoline_kernelINS0_14default_configENS1_20scan_config_selectorItEEZZNS1_9scan_implILNS1_25lookback_scan_determinismE0ELb1ELb1ES3_N6thrust23THRUST_200600_302600_NS6detail15normal_iteratorINS9_10device_ptrItEEEENS9_16discard_iteratorINS9_11use_defaultEEEt11max_functorItEtEEDaPvRmT3_T4_T5_mT6_P12ihipStream_tbENKUlT_T0_E_clISt17integral_constantIbLb1EESW_IbLb0EEEEDaSS_ST_EUlSS_E_NS1_11comp_targetILNS1_3genE5ELNS1_11target_archE942ELNS1_3gpuE9ELNS1_3repE0EEENS1_30default_config_static_selectorELNS0_4arch9wavefront6targetE1EEEvT1_
                                        ; -- End function
	.section	.AMDGPU.csdata,"",@progbits
; Kernel info:
; codeLenInByte = 0
; NumSgprs: 4
; NumVgprs: 0
; NumAgprs: 0
; TotalNumVgprs: 0
; ScratchSize: 0
; MemoryBound: 0
; FloatMode: 240
; IeeeMode: 1
; LDSByteSize: 0 bytes/workgroup (compile time only)
; SGPRBlocks: 0
; VGPRBlocks: 0
; NumSGPRsForWavesPerEU: 4
; NumVGPRsForWavesPerEU: 1
; AccumOffset: 4
; Occupancy: 8
; WaveLimiterHint : 0
; COMPUTE_PGM_RSRC2:SCRATCH_EN: 0
; COMPUTE_PGM_RSRC2:USER_SGPR: 6
; COMPUTE_PGM_RSRC2:TRAP_HANDLER: 0
; COMPUTE_PGM_RSRC2:TGID_X_EN: 1
; COMPUTE_PGM_RSRC2:TGID_Y_EN: 0
; COMPUTE_PGM_RSRC2:TGID_Z_EN: 0
; COMPUTE_PGM_RSRC2:TIDIG_COMP_CNT: 0
; COMPUTE_PGM_RSRC3_GFX90A:ACCUM_OFFSET: 0
; COMPUTE_PGM_RSRC3_GFX90A:TG_SPLIT: 0
	.section	.text._ZN7rocprim17ROCPRIM_400000_NS6detail17trampoline_kernelINS0_14default_configENS1_20scan_config_selectorItEEZZNS1_9scan_implILNS1_25lookback_scan_determinismE0ELb1ELb1ES3_N6thrust23THRUST_200600_302600_NS6detail15normal_iteratorINS9_10device_ptrItEEEENS9_16discard_iteratorINS9_11use_defaultEEEt11max_functorItEtEEDaPvRmT3_T4_T5_mT6_P12ihipStream_tbENKUlT_T0_E_clISt17integral_constantIbLb1EESW_IbLb0EEEEDaSS_ST_EUlSS_E_NS1_11comp_targetILNS1_3genE4ELNS1_11target_archE910ELNS1_3gpuE8ELNS1_3repE0EEENS1_30default_config_static_selectorELNS0_4arch9wavefront6targetE1EEEvT1_,"axG",@progbits,_ZN7rocprim17ROCPRIM_400000_NS6detail17trampoline_kernelINS0_14default_configENS1_20scan_config_selectorItEEZZNS1_9scan_implILNS1_25lookback_scan_determinismE0ELb1ELb1ES3_N6thrust23THRUST_200600_302600_NS6detail15normal_iteratorINS9_10device_ptrItEEEENS9_16discard_iteratorINS9_11use_defaultEEEt11max_functorItEtEEDaPvRmT3_T4_T5_mT6_P12ihipStream_tbENKUlT_T0_E_clISt17integral_constantIbLb1EESW_IbLb0EEEEDaSS_ST_EUlSS_E_NS1_11comp_targetILNS1_3genE4ELNS1_11target_archE910ELNS1_3gpuE8ELNS1_3repE0EEENS1_30default_config_static_selectorELNS0_4arch9wavefront6targetE1EEEvT1_,comdat
	.protected	_ZN7rocprim17ROCPRIM_400000_NS6detail17trampoline_kernelINS0_14default_configENS1_20scan_config_selectorItEEZZNS1_9scan_implILNS1_25lookback_scan_determinismE0ELb1ELb1ES3_N6thrust23THRUST_200600_302600_NS6detail15normal_iteratorINS9_10device_ptrItEEEENS9_16discard_iteratorINS9_11use_defaultEEEt11max_functorItEtEEDaPvRmT3_T4_T5_mT6_P12ihipStream_tbENKUlT_T0_E_clISt17integral_constantIbLb1EESW_IbLb0EEEEDaSS_ST_EUlSS_E_NS1_11comp_targetILNS1_3genE4ELNS1_11target_archE910ELNS1_3gpuE8ELNS1_3repE0EEENS1_30default_config_static_selectorELNS0_4arch9wavefront6targetE1EEEvT1_ ; -- Begin function _ZN7rocprim17ROCPRIM_400000_NS6detail17trampoline_kernelINS0_14default_configENS1_20scan_config_selectorItEEZZNS1_9scan_implILNS1_25lookback_scan_determinismE0ELb1ELb1ES3_N6thrust23THRUST_200600_302600_NS6detail15normal_iteratorINS9_10device_ptrItEEEENS9_16discard_iteratorINS9_11use_defaultEEEt11max_functorItEtEEDaPvRmT3_T4_T5_mT6_P12ihipStream_tbENKUlT_T0_E_clISt17integral_constantIbLb1EESW_IbLb0EEEEDaSS_ST_EUlSS_E_NS1_11comp_targetILNS1_3genE4ELNS1_11target_archE910ELNS1_3gpuE8ELNS1_3repE0EEENS1_30default_config_static_selectorELNS0_4arch9wavefront6targetE1EEEvT1_
	.globl	_ZN7rocprim17ROCPRIM_400000_NS6detail17trampoline_kernelINS0_14default_configENS1_20scan_config_selectorItEEZZNS1_9scan_implILNS1_25lookback_scan_determinismE0ELb1ELb1ES3_N6thrust23THRUST_200600_302600_NS6detail15normal_iteratorINS9_10device_ptrItEEEENS9_16discard_iteratorINS9_11use_defaultEEEt11max_functorItEtEEDaPvRmT3_T4_T5_mT6_P12ihipStream_tbENKUlT_T0_E_clISt17integral_constantIbLb1EESW_IbLb0EEEEDaSS_ST_EUlSS_E_NS1_11comp_targetILNS1_3genE4ELNS1_11target_archE910ELNS1_3gpuE8ELNS1_3repE0EEENS1_30default_config_static_selectorELNS0_4arch9wavefront6targetE1EEEvT1_
	.p2align	8
	.type	_ZN7rocprim17ROCPRIM_400000_NS6detail17trampoline_kernelINS0_14default_configENS1_20scan_config_selectorItEEZZNS1_9scan_implILNS1_25lookback_scan_determinismE0ELb1ELb1ES3_N6thrust23THRUST_200600_302600_NS6detail15normal_iteratorINS9_10device_ptrItEEEENS9_16discard_iteratorINS9_11use_defaultEEEt11max_functorItEtEEDaPvRmT3_T4_T5_mT6_P12ihipStream_tbENKUlT_T0_E_clISt17integral_constantIbLb1EESW_IbLb0EEEEDaSS_ST_EUlSS_E_NS1_11comp_targetILNS1_3genE4ELNS1_11target_archE910ELNS1_3gpuE8ELNS1_3repE0EEENS1_30default_config_static_selectorELNS0_4arch9wavefront6targetE1EEEvT1_,@function
_ZN7rocprim17ROCPRIM_400000_NS6detail17trampoline_kernelINS0_14default_configENS1_20scan_config_selectorItEEZZNS1_9scan_implILNS1_25lookback_scan_determinismE0ELb1ELb1ES3_N6thrust23THRUST_200600_302600_NS6detail15normal_iteratorINS9_10device_ptrItEEEENS9_16discard_iteratorINS9_11use_defaultEEEt11max_functorItEtEEDaPvRmT3_T4_T5_mT6_P12ihipStream_tbENKUlT_T0_E_clISt17integral_constantIbLb1EESW_IbLb0EEEEDaSS_ST_EUlSS_E_NS1_11comp_targetILNS1_3genE4ELNS1_11target_archE910ELNS1_3gpuE8ELNS1_3repE0EEENS1_30default_config_static_selectorELNS0_4arch9wavefront6targetE1EEEvT1_: ; @_ZN7rocprim17ROCPRIM_400000_NS6detail17trampoline_kernelINS0_14default_configENS1_20scan_config_selectorItEEZZNS1_9scan_implILNS1_25lookback_scan_determinismE0ELb1ELb1ES3_N6thrust23THRUST_200600_302600_NS6detail15normal_iteratorINS9_10device_ptrItEEEENS9_16discard_iteratorINS9_11use_defaultEEEt11max_functorItEtEEDaPvRmT3_T4_T5_mT6_P12ihipStream_tbENKUlT_T0_E_clISt17integral_constantIbLb1EESW_IbLb0EEEEDaSS_ST_EUlSS_E_NS1_11comp_targetILNS1_3genE4ELNS1_11target_archE910ELNS1_3gpuE8ELNS1_3repE0EEENS1_30default_config_static_selectorELNS0_4arch9wavefront6targetE1EEEvT1_
; %bb.0:
	s_load_dwordx4 s[0:3], s[4:5], 0x0
	s_load_dwordx2 s[8:9], s[4:5], 0x20
	s_load_dword s7, s[4:5], 0x38
	v_lshlrev_b32_e32 v1, 1, v0
	s_waitcnt lgkmcnt(0)
	s_lshl_b64 s[2:3], s[2:3], 1
	s_add_u32 s21, s0, s2
	s_addc_u32 s22, s1, s3
	s_add_i32 s2, s7, -1
	s_mul_i32 s3, s2, 0x600
	s_sub_u32 s7, s8, s3
	s_subb_u32 s20, s9, 0
	s_mul_i32 s0, s6, 0x600
	s_mov_b32 s1, 0
	s_cmp_lg_u32 s6, s2
	s_cselect_b64 s[16:17], -1, 0
	s_lshl_b64 s[0:1], s[0:1], 1
	s_add_u32 s0, s21, s0
	s_addc_u32 s1, s22, s1
	s_mov_b64 s[2:3], -1
	s_and_b64 vcc, exec, s[16:17]
	s_cbranch_vccz .LBB3676_2
; %bb.1:
	v_mov_b32_e32 v3, s1
	v_add_co_u32_e32 v2, vcc, s0, v1
	v_addc_co_u32_e32 v3, vcc, 0, v3, vcc
	flat_load_ushort v4, v[2:3]
	flat_load_ushort v5, v[2:3] offset:128
	flat_load_ushort v6, v[2:3] offset:256
	;; [unrolled: 1-line block ×23, first 2 shown]
	s_mov_b64 s[2:3], 0
	s_waitcnt vmcnt(0) lgkmcnt(0)
	ds_write_b16 v1, v4
	ds_write_b16 v1, v5 offset:128
	ds_write_b16 v1, v6 offset:256
	ds_write_b16 v1, v7 offset:384
	ds_write_b16 v1, v8 offset:512
	ds_write_b16 v1, v9 offset:640
	ds_write_b16 v1, v10 offset:768
	ds_write_b16 v1, v11 offset:896
	ds_write_b16 v1, v12 offset:1024
	ds_write_b16 v1, v13 offset:1152
	ds_write_b16 v1, v14 offset:1280
	ds_write_b16 v1, v15 offset:1408
	ds_write_b16 v1, v16 offset:1536
	ds_write_b16 v1, v17 offset:1664
	ds_write_b16 v1, v18 offset:1792
	ds_write_b16 v1, v19 offset:1920
	ds_write_b16 v1, v20 offset:2048
	ds_write_b16 v1, v21 offset:2176
	ds_write_b16 v1, v22 offset:2304
	ds_write_b16 v1, v23 offset:2432
	ds_write_b16 v1, v24 offset:2560
	ds_write_b16 v1, v25 offset:2688
	ds_write_b16 v1, v26 offset:2816
	ds_write_b16 v1, v27 offset:2944
	s_waitcnt lgkmcnt(0)
	; wave barrier
.LBB3676_2:
	s_load_dwordx2 s[18:19], s[4:5], 0x30
	s_andn2_b64 vcc, exec, s[2:3]
	s_cbranch_vccnz .LBB3676_52
; %bb.3:
	v_pk_mov_b32 v[2:3], s[0:1], s[0:1] op_sel:[0,1]
	flat_load_ushort v2, v[2:3]
	v_cmp_gt_u32_e32 vcc, s7, v0
	s_waitcnt vmcnt(0) lgkmcnt(0)
	v_mov_b32_e32 v3, v2
	s_and_saveexec_b64 s[2:3], vcc
	s_cbranch_execz .LBB3676_5
; %bb.4:
	v_mov_b32_e32 v3, s1
	v_add_co_u32_e32 v4, vcc, s0, v1
	v_addc_co_u32_e32 v5, vcc, 0, v3, vcc
	flat_load_ushort v3, v[4:5]
.LBB3676_5:
	s_or_b64 exec, exec, s[2:3]
	v_or_b32_e32 v4, 64, v0
	v_cmp_gt_u32_e32 vcc, s7, v4
	v_mov_b32_e32 v4, v2
	s_and_saveexec_b64 s[2:3], vcc
	s_cbranch_execz .LBB3676_7
; %bb.6:
	v_mov_b32_e32 v5, s1
	v_add_co_u32_e32 v4, vcc, s0, v1
	v_addc_co_u32_e32 v5, vcc, 0, v5, vcc
	flat_load_ushort v4, v[4:5] offset:128
.LBB3676_7:
	s_or_b64 exec, exec, s[2:3]
	v_or_b32_e32 v5, 0x80, v0
	v_cmp_gt_u32_e32 vcc, s7, v5
	v_mov_b32_e32 v5, v2
	s_and_saveexec_b64 s[2:3], vcc
	s_cbranch_execz .LBB3676_9
; %bb.8:
	v_mov_b32_e32 v5, s1
	v_add_co_u32_e32 v6, vcc, s0, v1
	v_addc_co_u32_e32 v7, vcc, 0, v5, vcc
	flat_load_ushort v5, v[6:7] offset:256
.LBB3676_9:
	;; [unrolled: 12-line block ×22, first 2 shown]
	s_or_b64 exec, exec, s[2:3]
	v_or_b32_e32 v26, 0x5c0, v0
	v_cmp_gt_u32_e32 vcc, s7, v26
	s_and_saveexec_b64 s[2:3], vcc
	s_cbranch_execz .LBB3676_51
; %bb.50:
	v_mov_b32_e32 v2, s1
	v_add_co_u32_e32 v26, vcc, s0, v1
	v_addc_co_u32_e32 v27, vcc, 0, v2, vcc
	flat_load_ushort v2, v[26:27] offset:2944
.LBB3676_51:
	s_or_b64 exec, exec, s[2:3]
	s_waitcnt vmcnt(0) lgkmcnt(0)
	ds_write_b16 v1, v3
	ds_write_b16 v1, v4 offset:128
	ds_write_b16 v1, v5 offset:256
	;; [unrolled: 1-line block ×23, first 2 shown]
	s_waitcnt lgkmcnt(0)
	; wave barrier
.LBB3676_52:
	v_mul_u32_u24_e32 v20, 24, v0
	v_lshlrev_b32_e32 v21, 1, v20
	s_waitcnt lgkmcnt(0)
	ds_read_b128 v[10:13], v21
	ds_read_b128 v[6:9], v21 offset:16
	ds_read_b128 v[2:5], v21 offset:32
	s_cmp_lg_u32 s6, 0
	v_mbcnt_lo_u32_b32 v32, -1, 0
	s_waitcnt lgkmcnt(2)
	v_lshrrev_b32_e32 v30, 16, v11
	v_max_u16_sdwa v14, v10, v10 dst_sel:DWORD dst_unused:UNUSED_PAD src0_sel:DWORD src1_sel:WORD_1
	v_lshrrev_b32_e32 v29, 16, v12
	v_lshrrev_b32_e32 v28, 16, v13
	s_waitcnt lgkmcnt(1)
	v_lshrrev_b32_e32 v27, 16, v6
	v_lshrrev_b32_e32 v26, 16, v7
	;; [unrolled: 1-line block ×4, first 2 shown]
	s_waitcnt lgkmcnt(0)
	v_lshrrev_b32_e32 v23, 16, v2
	v_lshrrev_b32_e32 v22, 16, v3
	;; [unrolled: 1-line block ×4, first 2 shown]
	v_max3_u16 v33, v14, v11, v30
	v_cmp_eq_u32_e32 vcc, 63, v0
	s_waitcnt lgkmcnt(0)
	; wave barrier
	s_cbranch_scc0 .LBB3676_79
; %bb.53:
	v_max3_u16 v14, v33, v12, v29
	v_max3_u16 v14, v14, v13, v28
	v_max3_u16 v14, v14, v6, v27
	v_max3_u16 v14, v14, v7, v26
	v_max3_u16 v14, v14, v8, v25
	v_max3_u16 v14, v14, v9, v24
	v_max3_u16 v14, v14, v2, v23
	v_max3_u16 v14, v14, v3, v22
	v_max3_u16 v14, v14, v4, v1
	v_max3_u16 v14, v14, v5, v31
	v_mbcnt_hi_u32_b32 v15, -1, v32
	v_and_b32_e32 v17, 0xffff, v14
	v_and_b32_e32 v16, 15, v15
	v_cmp_eq_u32_e64 s[0:1], 0, v16
	v_mov_b32_dpp v17, v17 row_shr:1 row_mask:0xf bank_mask:0xf
	v_max_u16_e32 v17, v17, v14
	v_cndmask_b32_e64 v14, v17, v14, s[0:1]
	v_and_b32_e32 v17, 0xffff, v14
	v_cmp_lt_u32_e64 s[0:1], 1, v16
	s_nop 0
	v_mov_b32_dpp v17, v17 row_shr:2 row_mask:0xf bank_mask:0xf
	v_max_u16_e32 v17, v17, v14
	v_cndmask_b32_e64 v14, v14, v17, s[0:1]
	v_and_b32_e32 v17, 0xffff, v14
	v_cmp_lt_u32_e64 s[0:1], 3, v16
	s_nop 0
	;; [unrolled: 6-line block ×3, first 2 shown]
	v_mov_b32_dpp v17, v17 row_shr:8 row_mask:0xf bank_mask:0xf
	v_max_u16_e32 v17, v17, v14
	v_cndmask_b32_e64 v14, v14, v17, s[0:1]
	v_and_b32_e32 v16, 0xffff, v14
	v_and_b32_e32 v17, 16, v15
	v_cmp_eq_u32_e64 s[0:1], 0, v17
	v_mov_b32_dpp v16, v16 row_bcast:15 row_mask:0xf bank_mask:0xf
	v_max_u16_e32 v16, v16, v14
	v_cndmask_b32_e64 v14, v16, v14, s[0:1]
	v_and_b32_e32 v16, 0xffff, v14
	v_cmp_lt_u32_e64 s[0:1], 31, v15
	s_nop 0
	v_mov_b32_dpp v16, v16 row_bcast:31 row_mask:0xf bank_mask:0xf
	v_max_u16_e32 v16, v16, v14
	v_cndmask_b32_e64 v14, v14, v16, s[0:1]
	s_and_saveexec_b64 s[0:1], vcc
	s_cbranch_execz .LBB3676_55
; %bb.54:
	v_mov_b32_e32 v16, 0
	ds_write_b16 v16, v14
.LBB3676_55:
	s_or_b64 exec, exec, s[0:1]
	v_add_u32_e32 v16, -1, v15
	v_and_b32_e32 v17, 64, v15
	v_cmp_lt_i32_e32 vcc, v16, v17
	v_cndmask_b32_e32 v16, v16, v15, vcc
	v_and_b32_e32 v14, 0xffff, v14
	v_lshlrev_b32_e32 v16, 2, v16
	ds_bpermute_b32 v34, v16, v14
	v_cmp_gt_u32_e32 vcc, 64, v0
	s_waitcnt lgkmcnt(0)
	; wave barrier
	s_waitcnt lgkmcnt(0)
	s_and_saveexec_b64 s[14:15], vcc
	s_cbranch_execz .LBB3676_78
; %bb.56:
	v_mov_b32_e32 v19, 0
	ds_read_u16 v35, v19
	s_mov_b32 s9, 0
	v_cmp_eq_u32_e64 s[0:1], 0, v15
	s_and_saveexec_b64 s[2:3], s[0:1]
	s_cbranch_execz .LBB3676_58
; %bb.57:
	s_add_i32 s8, s6, 64
	s_lshl_b64 s[8:9], s[8:9], 2
	s_add_u32 s8, s18, s8
	s_waitcnt lgkmcnt(0)
	v_or_b32_e32 v14, 0x10000, v35
	s_addc_u32 s9, s19, s9
	global_store_dword v19, v14, s[8:9]
.LBB3676_58:
	s_or_b64 exec, exec, s[2:3]
	v_xad_u32 v14, v15, -1, s6
	v_add_u32_e32 v18, 64, v14
	v_lshlrev_b64 v[16:17], 2, v[18:19]
	v_mov_b32_e32 v18, s19
	v_add_co_u32_e32 v16, vcc, s18, v16
	v_addc_co_u32_e32 v17, vcc, v18, v17, vcc
	global_load_dword v18, v[16:17], off glc
	s_waitcnt vmcnt(0)
	v_lshrrev_b32_e32 v39, 16, v18
	v_cmp_eq_u16_sdwa s[8:9], v39, v19 src0_sel:BYTE_0 src1_sel:DWORD
	s_and_saveexec_b64 s[2:3], s[8:9]
	s_cbranch_execz .LBB3676_64
; %bb.59:
	s_mov_b32 s10, 1
	s_mov_b64 s[8:9], 0
	v_mov_b32_e32 v19, 0
.LBB3676_60:                            ; =>This Loop Header: Depth=1
                                        ;     Child Loop BB3676_61 Depth 2
	s_max_u32 s11, s10, 1
.LBB3676_61:                            ;   Parent Loop BB3676_60 Depth=1
                                        ; =>  This Inner Loop Header: Depth=2
	s_add_i32 s11, s11, -1
	s_cmp_eq_u32 s11, 0
	s_sleep 1
	s_cbranch_scc0 .LBB3676_61
; %bb.62:                               ;   in Loop: Header=BB3676_60 Depth=1
	global_load_dword v18, v[16:17], off glc
	s_cmp_lt_u32 s10, 32
	s_cselect_b64 s[12:13], -1, 0
	s_cmp_lg_u64 s[12:13], 0
	s_addc_u32 s10, s10, 0
	s_waitcnt vmcnt(0)
	v_lshrrev_b32_e32 v39, 16, v18
	v_cmp_ne_u16_sdwa s[12:13], v39, v19 src0_sel:BYTE_0 src1_sel:DWORD
	s_or_b64 s[8:9], s[12:13], s[8:9]
	s_andn2_b64 exec, exec, s[8:9]
	s_cbranch_execnz .LBB3676_60
; %bb.63:
	s_or_b64 exec, exec, s[8:9]
.LBB3676_64:
	s_or_b64 exec, exec, s[2:3]
	v_and_b32_e32 v37, 63, v15
	v_cmp_ne_u32_e32 vcc, 63, v37
	v_mov_b32_e32 v36, 2
	v_addc_co_u32_e32 v38, vcc, 0, v15, vcc
	v_cmp_eq_u16_sdwa s[2:3], v39, v36 src0_sel:BYTE_0 src1_sel:DWORD
	v_lshlrev_b64 v[16:17], v15, -1
	v_and_b32_e32 v41, 0xffff, v18
	v_lshlrev_b32_e32 v38, 2, v38
	v_and_b32_e32 v19, s3, v17
	ds_bpermute_b32 v42, v38, v41
	v_or_b32_e32 v19, 0x80000000, v19
	v_and_b32_e32 v40, s2, v16
	v_ffbl_b32_e32 v19, v19
	v_add_u32_e32 v19, 32, v19
	v_ffbl_b32_e32 v40, v40
	v_cmp_gt_u32_e64 s[2:3], 62, v37
	v_min_u32_e32 v19, v40, v19
	v_cndmask_b32_e64 v40, 0, 1, s[2:3]
	s_waitcnt lgkmcnt(0)
	v_max_u16_e32 v42, v42, v18
	v_cmp_lt_u32_e32 vcc, v37, v19
	v_lshlrev_b32_e32 v40, 1, v40
	v_cndmask_b32_e32 v43, v41, v42, vcc
	v_add_lshl_u32 v40, v40, v15, 2
	ds_bpermute_b32 v44, v40, v43
	v_cmp_gt_u32_e64 s[8:9], 60, v37
	v_cndmask_b32_e32 v45, v18, v42, vcc
	v_add_u32_e32 v41, 2, v37
	v_cndmask_b32_e64 v42, 0, 1, s[8:9]
	s_waitcnt lgkmcnt(0)
	v_max_u16_e32 v44, v44, v45
	v_cmp_gt_u32_e64 s[2:3], v41, v19
	v_lshlrev_b32_e32 v42, 2, v42
	v_cndmask_b32_e64 v46, v44, v43, s[2:3]
	v_add_lshl_u32 v42, v42, v15, 2
	ds_bpermute_b32 v47, v42, v46
	v_cmp_gt_u32_e64 s[8:9], 56, v37
	v_cndmask_b32_e64 v48, v44, v45, s[2:3]
	v_add_u32_e32 v43, 4, v37
	v_cndmask_b32_e64 v44, 0, 1, s[8:9]
	s_waitcnt lgkmcnt(0)
	v_max_u16_e32 v51, v47, v48
	v_cmp_gt_u32_e64 s[2:3], v43, v19
	v_lshlrev_b32_e32 v44, 3, v44
	v_cndmask_b32_e64 v46, v51, v46, s[2:3]
	v_add_lshl_u32 v44, v44, v15, 2
	ds_bpermute_b32 v47, v44, v46
	v_cndmask_b32_e64 v49, v51, v48, s[2:3]
	v_add_u32_e32 v45, 8, v37
	v_cmp_gt_u32_e64 s[8:9], v45, v19
	v_cmp_gt_u32_e64 s[10:11], 48, v37
	s_waitcnt lgkmcnt(0)
	v_max_u16_e32 v52, v47, v49
	v_cndmask_b32_e64 v50, v52, v46, s[8:9]
	v_cndmask_b32_e64 v46, 0, 1, s[10:11]
	v_lshlrev_b32_e32 v46, 4, v46
	v_add_lshl_u32 v46, v46, v15, 2
	ds_bpermute_b32 v53, v46, v50
	v_cmp_gt_u32_e64 s[12:13], 32, v37
	v_cndmask_b32_e64 v54, v52, v49, s[8:9]
	v_add_u32_e32 v47, 16, v37
	v_cndmask_b32_e64 v49, 0, 1, s[12:13]
	s_waitcnt lgkmcnt(0)
	v_max_u16_e32 v53, v53, v54
	v_cmp_gt_u32_e64 s[10:11], v47, v19
	v_lshlrev_b32_e32 v49, 5, v49
	v_cndmask_b32_e64 v50, v53, v50, s[10:11]
	v_add_lshl_u32 v49, v49, v15, 2
	ds_bpermute_b32 v15, v49, v50
	v_cndmask_b32_e32 v18, v18, v48, vcc
	v_cndmask_b32_e64 v18, v51, v18, s[2:3]
	v_add_u32_e32 v50, 32, v37
	v_cndmask_b32_e64 v54, v53, v54, s[10:11]
	v_cndmask_b32_e64 v18, v52, v18, s[8:9]
	s_waitcnt lgkmcnt(0)
	v_max_u16_e32 v15, v15, v54
	v_cndmask_b32_e64 v18, v53, v18, s[10:11]
	v_cmp_gt_u32_e32 vcc, v50, v19
	v_cndmask_b32_e32 v18, v15, v18, vcc
	v_mov_b32_e32 v15, 0
	s_branch .LBB3676_66
.LBB3676_65:                            ;   in Loop: Header=BB3676_66 Depth=1
	s_or_b64 exec, exec, s[2:3]
	v_cmp_eq_u16_sdwa s[2:3], v39, v36 src0_sel:BYTE_0 src1_sel:DWORD
	v_and_b32_e32 v52, 0xffff, v51
	v_and_b32_e32 v18, s3, v17
	ds_bpermute_b32 v53, v38, v52
	v_or_b32_e32 v18, 0x80000000, v18
	v_and_b32_e32 v19, s2, v16
	v_ffbl_b32_e32 v18, v18
	v_add_u32_e32 v18, 32, v18
	v_ffbl_b32_e32 v19, v19
	v_min_u32_e32 v18, v19, v18
	s_waitcnt lgkmcnt(0)
	v_max_u16_e32 v19, v53, v51
	v_cmp_lt_u32_e32 vcc, v37, v18
	v_cndmask_b32_e32 v52, v52, v19, vcc
	ds_bpermute_b32 v53, v40, v52
	v_cndmask_b32_e32 v19, v51, v19, vcc
	v_cmp_gt_u32_e64 s[2:3], v41, v18
	v_cmp_gt_u32_e64 s[8:9], v45, v18
	v_subrev_u32_e32 v14, 64, v14
	s_waitcnt lgkmcnt(0)
	v_max_u16_e32 v53, v53, v19
	v_cndmask_b32_e64 v52, v53, v52, s[2:3]
	ds_bpermute_b32 v54, v42, v52
	v_cndmask_b32_e64 v19, v53, v19, s[2:3]
	v_cmp_gt_u32_e64 s[2:3], v43, v18
	s_waitcnt lgkmcnt(0)
	v_max_u16_e32 v53, v54, v19
	v_cndmask_b32_e64 v52, v53, v52, s[2:3]
	ds_bpermute_b32 v54, v44, v52
	v_cndmask_b32_e64 v55, v53, v19, s[2:3]
	v_cndmask_b32_e32 v19, v51, v19, vcc
	v_cmp_gt_u32_e32 vcc, v47, v18
	v_cndmask_b32_e64 v19, v53, v19, s[2:3]
	s_waitcnt lgkmcnt(0)
	v_max_u16_e32 v54, v54, v55
	v_cndmask_b32_e64 v52, v54, v52, s[8:9]
	ds_bpermute_b32 v56, v46, v52
	v_cndmask_b32_e64 v51, v54, v55, s[8:9]
	v_cndmask_b32_e64 v19, v54, v19, s[8:9]
	s_waitcnt lgkmcnt(0)
	v_max_u16_e32 v55, v56, v51
	v_cndmask_b32_e32 v52, v55, v52, vcc
	ds_bpermute_b32 v52, v49, v52
	v_cndmask_b32_e32 v51, v55, v51, vcc
	v_cndmask_b32_e32 v19, v55, v19, vcc
	v_cmp_gt_u32_e32 vcc, v50, v18
	s_waitcnt lgkmcnt(0)
	v_max_u16_e32 v51, v52, v51
	v_cndmask_b32_e32 v18, v51, v19, vcc
	v_max_u16_e32 v18, v18, v48
.LBB3676_66:                            ; =>This Loop Header: Depth=1
                                        ;     Child Loop BB3676_69 Depth 2
                                        ;       Child Loop BB3676_70 Depth 3
	v_cmp_ne_u16_sdwa s[2:3], v39, v36 src0_sel:BYTE_0 src1_sel:DWORD
	v_cndmask_b32_e64 v19, 0, 1, s[2:3]
	;;#ASMSTART
	;;#ASMEND
	v_cmp_ne_u32_e32 vcc, 0, v19
	s_cmp_lg_u64 vcc, exec
	v_mov_b32_e32 v48, v18
	s_cbranch_scc1 .LBB3676_73
; %bb.67:                               ;   in Loop: Header=BB3676_66 Depth=1
	v_lshlrev_b64 v[18:19], 2, v[14:15]
	v_mov_b32_e32 v39, s19
	v_add_co_u32_e32 v18, vcc, s18, v18
	v_addc_co_u32_e32 v19, vcc, v39, v19, vcc
	global_load_dword v51, v[18:19], off glc
	s_waitcnt vmcnt(0)
	v_lshrrev_b32_e32 v39, 16, v51
	v_cmp_eq_u16_sdwa s[8:9], v39, v15 src0_sel:BYTE_0 src1_sel:DWORD
	s_and_saveexec_b64 s[2:3], s[8:9]
	s_cbranch_execz .LBB3676_65
; %bb.68:                               ;   in Loop: Header=BB3676_66 Depth=1
	s_mov_b32 s10, 1
	s_mov_b64 s[8:9], 0
.LBB3676_69:                            ;   Parent Loop BB3676_66 Depth=1
                                        ; =>  This Loop Header: Depth=2
                                        ;       Child Loop BB3676_70 Depth 3
	s_max_u32 s11, s10, 1
.LBB3676_70:                            ;   Parent Loop BB3676_66 Depth=1
                                        ;     Parent Loop BB3676_69 Depth=2
                                        ; =>    This Inner Loop Header: Depth=3
	s_add_i32 s11, s11, -1
	s_cmp_eq_u32 s11, 0
	s_sleep 1
	s_cbranch_scc0 .LBB3676_70
; %bb.71:                               ;   in Loop: Header=BB3676_69 Depth=2
	global_load_dword v51, v[18:19], off glc
	s_cmp_lt_u32 s10, 32
	s_cselect_b64 s[12:13], -1, 0
	s_cmp_lg_u64 s[12:13], 0
	s_addc_u32 s10, s10, 0
	s_waitcnt vmcnt(0)
	v_lshrrev_b32_e32 v39, 16, v51
	v_cmp_ne_u16_sdwa s[12:13], v39, v15 src0_sel:BYTE_0 src1_sel:DWORD
	s_or_b64 s[8:9], s[12:13], s[8:9]
	s_andn2_b64 exec, exec, s[8:9]
	s_cbranch_execnz .LBB3676_69
; %bb.72:                               ;   in Loop: Header=BB3676_66 Depth=1
	s_or_b64 exec, exec, s[8:9]
	s_branch .LBB3676_65
.LBB3676_73:                            ;   in Loop: Header=BB3676_66 Depth=1
                                        ; implicit-def: $vgpr18
                                        ; implicit-def: $vgpr39
	s_cbranch_execz .LBB3676_66
; %bb.74:
	s_and_saveexec_b64 s[2:3], s[0:1]
	s_cbranch_execz .LBB3676_76
; %bb.75:
	s_add_i32 s0, s6, 64
	s_mov_b32 s1, 0
	s_lshl_b64 s[0:1], s[0:1], 2
	v_max_u16_e32 v14, v48, v35
	s_add_u32 s0, s18, s0
	v_or_b32_e32 v14, 0x20000, v14
	s_addc_u32 s1, s19, s1
	v_mov_b32_e32 v15, 0
	global_store_dword v15, v14, s[0:1]
.LBB3676_76:
	s_or_b64 exec, exec, s[2:3]
	v_cmp_eq_u32_e32 vcc, 0, v0
	s_and_b64 exec, exec, vcc
	s_cbranch_execz .LBB3676_78
; %bb.77:
	v_mov_b32_e32 v14, 0
	ds_write_b16 v14, v48
.LBB3676_78:
	s_or_b64 exec, exec, s[14:15]
	v_mov_b32_e32 v14, 0
	s_waitcnt lgkmcnt(0)
	; wave barrier
	s_waitcnt lgkmcnt(0)
	ds_read_u16 v14, v14
	v_cmp_eq_u32_e32 vcc, 0, v0
	s_waitcnt lgkmcnt(0)
	v_max_u16_e32 v15, v14, v34
	v_cndmask_b32_e32 v15, v15, v14, vcc
	v_max_u16_e32 v14, v15, v10
	v_max_u16_sdwa v16, v14, v10 dst_sel:DWORD dst_unused:UNUSED_PAD src0_sel:DWORD src1_sel:WORD_1
	v_max_u16_e32 v17, v16, v11
	v_max_u16_e32 v18, v17, v30
	;; [unrolled: 1-line block ×21, first 2 shown]
	s_load_dwordx8 s[8:15], s[4:5], 0x40
	s_branch .LBB3676_87
.LBB3676_79:
                                        ; implicit-def: $vgpr15
                                        ; implicit-def: $vgpr14
                                        ; implicit-def: $vgpr16
                                        ; implicit-def: $vgpr17
                                        ; implicit-def: $vgpr18
                                        ; implicit-def: $vgpr34
                                        ; implicit-def: $vgpr36
                                        ; implicit-def: $vgpr38
                                        ; implicit-def: $vgpr19
                                        ; implicit-def: $vgpr35
                                        ; implicit-def: $vgpr37
                                        ; implicit-def: $vgpr39
                                        ; implicit-def: $vgpr40
                                        ; implicit-def: $vgpr42
                                        ; implicit-def: $vgpr44
                                        ; implicit-def: $vgpr46
                                        ; implicit-def: $vgpr41
                                        ; implicit-def: $vgpr43
                                        ; implicit-def: $vgpr45
                                        ; implicit-def: $vgpr47
                                        ; implicit-def: $vgpr48
                                        ; implicit-def: $vgpr49
                                        ; implicit-def: $vgpr50
                                        ; implicit-def: $vgpr51
	s_load_dwordx8 s[8:15], s[4:5], 0x40
	s_cbranch_execz .LBB3676_87
; %bb.80:
	s_load_dword s0, s[4:5], 0x28
	s_waitcnt lgkmcnt(0)
	s_cmp_eq_u64 s[12:13], 0
	v_mov_b32_e32 v51, s0
	s_cbranch_scc1 .LBB3676_82
; %bb.81:
	v_mov_b32_e32 v14, 0
	global_load_ushort v16, v14, s[8:9]
	v_mov_b32_e32 v15, s22
	v_add_co_u32_e64 v14, vcc, -2, s21
	v_addc_co_u32_e32 v15, vcc, -1, v15, vcc
	flat_load_ushort v14, v[14:15]
	s_waitcnt vmcnt(0) lgkmcnt(0)
	v_max_u16_e32 v51, v16, v14
.LBB3676_82:
	v_max3_u16 v14, v33, v12, v29
	v_max3_u16 v14, v14, v13, v28
	;; [unrolled: 1-line block ×10, first 2 shown]
	v_mbcnt_hi_u32_b32 v14, -1, v32
	v_and_b32_e32 v17, 0xffff, v15
	v_and_b32_e32 v16, 15, v14
	v_cmp_eq_u32_e32 vcc, 0, v16
	v_mov_b32_dpp v17, v17 row_shr:1 row_mask:0xf bank_mask:0xf
	v_max_u16_e32 v17, v17, v15
	v_cndmask_b32_e32 v15, v17, v15, vcc
	v_and_b32_e32 v17, 0xffff, v15
	v_cmp_lt_u32_e32 vcc, 1, v16
	s_nop 0
	v_mov_b32_dpp v17, v17 row_shr:2 row_mask:0xf bank_mask:0xf
	v_max_u16_e32 v17, v17, v15
	v_cndmask_b32_e32 v15, v15, v17, vcc
	v_and_b32_e32 v17, 0xffff, v15
	v_cmp_lt_u32_e32 vcc, 3, v16
	s_nop 0
	;; [unrolled: 6-line block ×3, first 2 shown]
	v_mov_b32_dpp v17, v17 row_shr:8 row_mask:0xf bank_mask:0xf
	v_max_u16_e32 v17, v17, v15
	v_cndmask_b32_e32 v15, v15, v17, vcc
	v_and_b32_e32 v16, 0xffff, v15
	v_and_b32_e32 v17, 16, v14
	v_cmp_eq_u32_e32 vcc, 0, v17
	v_mov_b32_dpp v16, v16 row_bcast:15 row_mask:0xf bank_mask:0xf
	v_max_u16_e32 v16, v16, v15
	v_cndmask_b32_e32 v15, v16, v15, vcc
	v_and_b32_e32 v16, 0xffff, v15
	v_cmp_lt_u32_e32 vcc, 31, v14
	s_nop 0
	v_mov_b32_dpp v16, v16 row_bcast:31 row_mask:0xf bank_mask:0xf
	v_max_u16_e32 v16, v16, v15
	v_cndmask_b32_e32 v15, v15, v16, vcc
	v_cmp_eq_u32_e32 vcc, 63, v0
	s_and_saveexec_b64 s[0:1], vcc
	s_cbranch_execz .LBB3676_84
; %bb.83:
	v_mov_b32_e32 v16, 0
	ds_write_b16 v16, v15
.LBB3676_84:
	s_or_b64 exec, exec, s[0:1]
	v_add_u32_e32 v16, -1, v14
	v_and_b32_e32 v17, 64, v14
	v_cmp_lt_i32_e32 vcc, v16, v17
	v_cndmask_b32_e32 v16, v16, v14, vcc
	v_max_u16_e32 v15, v51, v15
	v_lshlrev_b32_e32 v16, 2, v16
	ds_bpermute_b32 v15, v16, v15
	v_cmp_eq_u32_e32 vcc, 0, v14
	v_cmp_eq_u32_e64 s[0:1], 0, v0
	s_or_b64 vcc, s[0:1], vcc
	s_waitcnt lgkmcnt(0)
	v_cndmask_b32_e32 v15, v15, v51, vcc
	v_max_u16_e32 v14, v15, v10
	v_max_u16_sdwa v16, v14, v10 dst_sel:DWORD dst_unused:UNUSED_PAD src0_sel:DWORD src1_sel:WORD_1
	v_max_u16_e32 v17, v16, v11
	v_max_u16_e32 v18, v17, v30
	;; [unrolled: 1-line block ×20, first 2 shown]
	; wave barrier
	s_and_saveexec_b64 s[2:3], s[0:1]
	s_cbranch_execz .LBB3676_86
; %bb.85:
	v_mov_b32_e32 v1, 0
	ds_read_u16 v2, v1
	v_mov_b32_e32 v15, v51
	s_waitcnt lgkmcnt(0)
	v_max_u16_e32 v2, v51, v2
	v_or_b32_e32 v2, 0x20000, v2
	global_store_dword v1, v2, s[18:19] offset:256
.LBB3676_86:
	s_or_b64 exec, exec, s[2:3]
	v_max_u16_e32 v51, v50, v5
.LBB3676_87:
	s_mov_b32 s0, 0x5040100
	v_perm_b32 v5, v38, v36, s0
	v_perm_b32 v4, v34, v18, s0
	;; [unrolled: 1-line block ×4, first 2 shown]
	s_waitcnt lgkmcnt(0)
	; wave barrier
	s_waitcnt lgkmcnt(0)
	ds_write_b128 v21, v[2:5]
	v_perm_b32 v5, v46, v44, s0
	v_perm_b32 v4, v42, v40, s0
	v_perm_b32 v3, v39, v37, s0
	v_perm_b32 v2, v35, v19, s0
	ds_write_b128 v21, v[2:5] offset:16
	v_perm_b32 v5, v51, v50, s0
	v_perm_b32 v4, v49, v48, s0
	;; [unrolled: 1-line block ×4, first 2 shown]
	s_mov_b64 s[0:1], -1
	s_and_b64 vcc, exec, s[16:17]
	ds_write_b128 v21, v[2:5] offset:32
	s_waitcnt lgkmcnt(0)
	s_cbranch_vccz .LBB3676_89
; %bb.88:
	; wave barrier
	s_mov_b64 s[0:1], 0
.LBB3676_89:
	s_andn2_b64 vcc, exec, s[0:1]
	s_cbranch_vccnz .LBB3676_98
; %bb.90:
	v_cmp_lt_u64_e64 s[0:1], s[14:15], 2
	s_and_b64 vcc, exec, s[0:1]
	; wave barrier
	s_cbranch_vccnz .LBB3676_98
; %bb.91:
	s_add_u32 s0, s7, -1
	s_addc_u32 s1, s20, -1
	s_add_u32 s2, 0, 0xaaaa0000
	s_addc_u32 s3, 0, 42
	s_add_i32 s3, s3, 0xaaaaa80
	s_mul_hi_u32 s7, s2, 0xffffffe8
	s_sub_i32 s7, s7, s2
	s_mul_i32 s8, s3, 0xffffffe8
	s_mul_i32 s4, s2, 0xffffffe8
	s_add_i32 s7, s7, s8
	s_mul_hi_u32 s5, s3, s4
	s_mul_i32 s6, s3, s4
	s_mul_i32 s9, s2, s7
	s_mul_hi_u32 s4, s2, s4
	s_mul_hi_u32 s8, s2, s7
	s_add_u32 s4, s4, s9
	s_addc_u32 s8, 0, s8
	s_add_u32 s4, s4, s6
	s_mul_hi_u32 s9, s3, s7
	s_addc_u32 s4, s8, s5
	s_addc_u32 s5, s9, 0
	s_mul_i32 s6, s3, s7
	s_add_u32 s4, s4, s6
	v_mov_b32_e32 v2, s4
	s_addc_u32 s5, 0, s5
	v_add_co_u32_e32 v2, vcc, s2, v2
	s_cmp_lg_u64 vcc, 0
	s_addc_u32 s2, s3, s5
	v_readfirstlane_b32 s5, v2
	s_mul_i32 s4, s0, s2
	s_mul_hi_u32 s6, s0, s5
	s_mul_hi_u32 s3, s0, s2
	s_add_u32 s4, s6, s4
	s_addc_u32 s3, 0, s3
	s_mul_hi_u32 s7, s1, s5
	s_mul_i32 s5, s1, s5
	s_add_u32 s4, s4, s5
	s_mul_hi_u32 s6, s1, s2
	s_addc_u32 s3, s3, s7
	s_addc_u32 s4, s6, 0
	s_mul_i32 s2, s1, s2
	s_add_u32 s2, s3, s2
	s_addc_u32 s3, 0, s4
	s_add_u32 s4, s2, 1
	s_addc_u32 s5, s3, 0
	s_add_u32 s6, s2, 2
	s_mul_i32 s8, s3, 24
	s_mul_hi_u32 s9, s2, 24
	s_addc_u32 s7, s3, 0
	s_add_i32 s9, s9, s8
	s_mul_i32 s8, s2, 24
	v_mov_b32_e32 v2, s8
	v_sub_co_u32_e32 v2, vcc, s0, v2
	s_cmp_lg_u64 vcc, 0
	s_subb_u32 s8, s1, s9
	v_subrev_co_u32_e32 v3, vcc, 24, v2
	s_cmp_lg_u64 vcc, 0
	s_subb_u32 s9, s8, 0
	v_readfirstlane_b32 s12, v3
	s_cmp_gt_u32 s12, 23
	s_cselect_b32 s12, -1, 0
	s_cmp_eq_u32 s9, 0
	s_cselect_b32 s9, s12, -1
	s_cmp_lg_u32 s9, 0
	s_cselect_b32 s4, s6, s4
	v_readfirstlane_b32 s6, v2
	s_cselect_b32 s5, s7, s5
	s_cmp_gt_u32 s6, 23
	s_cselect_b32 s6, -1, 0
	s_cmp_eq_u32 s8, 0
	s_cselect_b32 s6, s6, -1
	s_cmp_lg_u32 s6, 0
	v_mov_b32_e32 v1, 0
	s_cselect_b32 s3, s5, s3
	s_cselect_b32 s2, s4, s2
	v_cmp_eq_u64_e32 vcc, s[2:3], v[0:1]
	s_and_saveexec_b64 s[2:3], vcc
	s_cbranch_execz .LBB3676_98
; %bb.92:
	s_movk_i32 s2, 0xffd2
	v_mad_i32_i24 v2, v0, s2, v21
	v_mul_hi_u32_u24_e32 v1, 24, v0
	v_mov_b32_e32 v3, s1
	v_sub_co_u32_e32 v0, vcc, s0, v20
	v_subb_co_u32_e32 v1, vcc, v3, v1, vcc
	v_cmp_lt_i64_e32 vcc, 11, v[0:1]
	s_mov_b64 s[0:1], 0
	s_mov_b64 s[8:9], 0
	;; [unrolled: 1-line block ×4, first 2 shown]
                                        ; implicit-def: $vgpr3
                                        ; implicit-def: $vgpr4
                                        ; implicit-def: $vgpr5
	s_and_saveexec_b64 s[2:3], vcc
	s_xor_b64 s[2:3], exec, s[2:3]
	s_cbranch_execnz .LBB3676_99
; %bb.93:
	s_andn2_saveexec_b64 s[2:3], s[2:3]
	s_cbranch_execnz .LBB3676_144
.LBB3676_94:
	s_or_b64 exec, exec, s[2:3]
	s_and_saveexec_b64 s[2:3], s[8:9]
	s_cbranch_execnz .LBB3676_161
.LBB3676_95:
	s_or_b64 exec, exec, s[2:3]
	s_and_saveexec_b64 s[2:3], s[6:7]
	s_cbranch_execnz .LBB3676_162
.LBB3676_96:
	s_or_b64 exec, exec, s[2:3]
	s_and_saveexec_b64 s[2:3], s[4:5]
	s_xor_b64 s[2:3], exec, s[2:3]
	s_cbranch_execnz .LBB3676_163
.LBB3676_97:
	s_or_b64 exec, exec, s[2:3]
	s_and_b64 exec, exec, s[0:1]
	s_cbranch_execnz .LBB3676_164
.LBB3676_98:
	s_endpgm
.LBB3676_99:
	v_cmp_lt_i64_e32 vcc, 17, v[0:1]
                                        ; implicit-def: $vgpr3
                                        ; implicit-def: $vgpr4
                                        ; implicit-def: $vgpr5
	s_and_saveexec_b64 s[12:13], vcc
	s_xor_b64 s[12:13], exec, s[12:13]
	s_cbranch_execz .LBB3676_121
; %bb.100:
	v_cmp_lt_i64_e32 vcc, 20, v[0:1]
                                        ; implicit-def: $vgpr3
                                        ; implicit-def: $vgpr4
	s_and_saveexec_b64 s[14:15], vcc
	s_xor_b64 s[14:15], exec, s[14:15]
	s_cbranch_execz .LBB3676_110
; %bb.101:
	v_cmp_lt_i64_e32 vcc, 21, v[0:1]
	s_mov_b64 s[16:17], 0
                                        ; implicit-def: $vgpr3
	s_and_saveexec_b64 s[4:5], vcc
	s_xor_b64 s[4:5], exec, s[4:5]
	s_cbranch_execz .LBB3676_107
; %bb.102:
	v_cmp_lt_i64_e32 vcc, 22, v[0:1]
	s_and_saveexec_b64 s[16:17], vcc
	s_xor_b64 s[16:17], exec, s[16:17]
	s_cbranch_execz .LBB3676_104
; %bb.103:
	ds_read_u16 v3, v2 offset:2944
	v_mov_b32_e32 v4, 0
	s_waitcnt lgkmcnt(0)
	global_store_short v4, v3, s[10:11]
.LBB3676_104:
	s_or_saveexec_b64 s[16:17], s[16:17]
	s_mov_b64 s[18:19], 0
                                        ; implicit-def: $vgpr3
	s_xor_b64 exec, exec, s[16:17]
	s_cbranch_execz .LBB3676_106
; %bb.105:
	ds_read_u16 v3, v2 offset:2816
	s_mov_b64 s[18:19], exec
.LBB3676_106:
	s_or_b64 exec, exec, s[16:17]
	s_and_b64 s[16:17], s[18:19], exec
.LBB3676_107:
	s_or_saveexec_b64 s[4:5], s[4:5]
                                        ; implicit-def: $vgpr4
	s_xor_b64 exec, exec, s[4:5]
	s_cbranch_execz .LBB3676_109
; %bb.108:
	ds_read_u16 v4, v2 offset:2688
	s_mov_b64 s[6:7], exec
                                        ; implicit-def: $vgpr3
.LBB3676_109:
	s_or_b64 exec, exec, s[4:5]
	s_and_b64 s[4:5], s[16:17], exec
	s_and_b64 s[6:7], s[6:7], exec
.LBB3676_110:
	s_or_saveexec_b64 s[14:15], s[14:15]
                                        ; implicit-def: $vgpr5
	s_xor_b64 exec, exec, s[14:15]
	s_cbranch_execz .LBB3676_120
; %bb.111:
	v_cmp_lt_i64_e32 vcc, 18, v[0:1]
	s_mov_b64 s[16:17], 0
                                        ; implicit-def: $vgpr5
	s_and_saveexec_b64 s[8:9], vcc
	s_xor_b64 s[8:9], exec, s[8:9]
	s_cbranch_execz .LBB3676_117
; %bb.112:
	v_cmp_lt_i64_e32 vcc, 19, v[0:1]
                                        ; implicit-def: $vgpr5
	s_and_saveexec_b64 s[18:19], vcc
	s_xor_b64 s[18:19], exec, s[18:19]
	s_cbranch_execz .LBB3676_114
; %bb.113:
	ds_read_u16 v5, v2 offset:2560
	s_mov_b64 s[16:17], exec
.LBB3676_114:
	s_andn2_saveexec_b64 s[18:19], s[18:19]
	s_cbranch_execz .LBB3676_116
; %bb.115:
	s_waitcnt lgkmcnt(0)
	ds_read_u16 v3, v2 offset:2432
	v_mov_b32_e32 v4, 0
                                        ; implicit-def: $vgpr5
	s_waitcnt lgkmcnt(0)
	global_store_short v4, v3, s[10:11]
.LBB3676_116:
	s_or_b64 exec, exec, s[18:19]
	s_and_b64 s[16:17], s[16:17], exec
.LBB3676_117:
	s_andn2_saveexec_b64 s[8:9], s[8:9]
	s_cbranch_execz .LBB3676_119
; %bb.118:
	s_waitcnt lgkmcnt(0)
	ds_read_u16 v3, v2 offset:2304
	v_mov_b32_e32 v4, 0
                                        ; implicit-def: $vgpr5
	s_waitcnt lgkmcnt(0)
	global_store_short v4, v3, s[10:11]
.LBB3676_119:
	s_or_b64 exec, exec, s[8:9]
	s_and_b64 s[8:9], s[16:17], exec
                                        ; implicit-def: $vgpr3
                                        ; implicit-def: $vgpr4
.LBB3676_120:
	s_or_b64 exec, exec, s[14:15]
	s_and_b64 s[4:5], s[4:5], exec
	s_and_b64 s[6:7], s[6:7], exec
	;; [unrolled: 1-line block ×3, first 2 shown]
.LBB3676_121:
	s_andn2_saveexec_b64 s[12:13], s[12:13]
	s_cbranch_execz .LBB3676_143
; %bb.122:
	v_cmp_lt_i64_e32 vcc, 14, v[0:1]
	s_mov_b64 s[14:15], s[4:5]
                                        ; implicit-def: $vgpr3
	s_and_saveexec_b64 s[16:17], vcc
	s_xor_b64 s[16:17], exec, s[16:17]
	s_cbranch_execz .LBB3676_132
; %bb.123:
	v_cmp_lt_i64_e32 vcc, 15, v[0:1]
	s_and_saveexec_b64 s[14:15], vcc
	s_xor_b64 s[14:15], exec, s[14:15]
	s_cbranch_execz .LBB3676_129
; %bb.124:
	v_cmp_lt_i64_e32 vcc, 16, v[0:1]
	s_and_saveexec_b64 s[18:19], vcc
	s_xor_b64 s[18:19], exec, s[18:19]
	s_cbranch_execz .LBB3676_126
; %bb.125:
	s_waitcnt lgkmcnt(0)
	ds_read_u16 v3, v2 offset:2176
	v_mov_b32_e32 v4, 0
	s_waitcnt lgkmcnt(0)
	global_store_short v4, v3, s[10:11]
.LBB3676_126:
	s_andn2_saveexec_b64 s[18:19], s[18:19]
	s_cbranch_execz .LBB3676_128
; %bb.127:
	s_waitcnt lgkmcnt(0)
	ds_read_u16 v3, v2 offset:2048
	v_mov_b32_e32 v4, 0
	s_waitcnt lgkmcnt(0)
	global_store_short v4, v3, s[10:11]
.LBB3676_128:
	s_or_b64 exec, exec, s[18:19]
.LBB3676_129:
	s_or_saveexec_b64 s[14:15], s[14:15]
	s_mov_b64 s[18:19], s[4:5]
                                        ; implicit-def: $vgpr3
	s_xor_b64 exec, exec, s[14:15]
	s_cbranch_execz .LBB3676_131
; %bb.130:
	s_waitcnt lgkmcnt(0)
	ds_read_u16 v3, v2 offset:1920
	s_or_b64 s[18:19], s[4:5], exec
.LBB3676_131:
	s_or_b64 exec, exec, s[14:15]
	s_andn2_b64 s[14:15], s[4:5], exec
	s_and_b64 s[18:19], s[18:19], exec
	s_or_b64 s[14:15], s[14:15], s[18:19]
.LBB3676_132:
	s_or_saveexec_b64 s[16:17], s[16:17]
	s_mov_b64 s[18:19], s[6:7]
                                        ; implicit-def: $vgpr4
	s_xor_b64 exec, exec, s[16:17]
	s_cbranch_execz .LBB3676_142
; %bb.133:
	v_cmp_lt_i64_e32 vcc, 12, v[0:1]
	s_mov_b64 s[20:21], s[6:7]
	s_mov_b64 s[22:23], s[14:15]
                                        ; implicit-def: $vgpr3
                                        ; implicit-def: $vgpr4
	s_and_saveexec_b64 s[18:19], vcc
	s_xor_b64 s[18:19], exec, s[18:19]
	s_cbranch_execz .LBB3676_139
; %bb.134:
	v_cmp_lt_i64_e32 vcc, 13, v[0:1]
	s_mov_b64 s[20:21], s[14:15]
                                        ; implicit-def: $vgpr3
	s_and_saveexec_b64 s[22:23], vcc
	s_xor_b64 s[22:23], exec, s[22:23]
	s_cbranch_execz .LBB3676_136
; %bb.135:
	s_waitcnt lgkmcnt(0)
	ds_read_u16 v3, v2 offset:1792
	s_or_b64 s[20:21], s[14:15], exec
.LBB3676_136:
	s_or_saveexec_b64 s[22:23], s[22:23]
	s_mov_b64 s[24:25], s[6:7]
                                        ; implicit-def: $vgpr4
	s_xor_b64 exec, exec, s[22:23]
	s_cbranch_execz .LBB3676_138
; %bb.137:
	s_waitcnt lgkmcnt(0)
	ds_read_u16 v4, v2 offset:1664
	s_or_b64 s[24:25], s[6:7], exec
                                        ; implicit-def: $vgpr3
.LBB3676_138:
	s_or_b64 exec, exec, s[22:23]
	s_andn2_b64 s[22:23], s[14:15], exec
	s_and_b64 s[20:21], s[20:21], exec
	s_or_b64 s[22:23], s[22:23], s[20:21]
	s_andn2_b64 s[20:21], s[6:7], exec
	s_and_b64 s[24:25], s[24:25], exec
	s_or_b64 s[20:21], s[20:21], s[24:25]
.LBB3676_139:
	s_andn2_saveexec_b64 s[18:19], s[18:19]
	s_cbranch_execz .LBB3676_141
; %bb.140:
	s_waitcnt lgkmcnt(0)
	ds_read_u16 v4, v2 offset:1536
	s_or_b64 s[20:21], s[20:21], exec
                                        ; implicit-def: $vgpr3
.LBB3676_141:
	s_or_b64 exec, exec, s[18:19]
	s_andn2_b64 s[14:15], s[14:15], exec
	s_and_b64 s[18:19], s[22:23], exec
	s_or_b64 s[14:15], s[14:15], s[18:19]
	s_andn2_b64 s[18:19], s[6:7], exec
	s_and_b64 s[20:21], s[20:21], exec
	s_or_b64 s[18:19], s[18:19], s[20:21]
.LBB3676_142:
	s_or_b64 exec, exec, s[16:17]
	s_andn2_b64 s[4:5], s[4:5], exec
	s_and_b64 s[14:15], s[14:15], exec
	s_or_b64 s[4:5], s[4:5], s[14:15]
	s_andn2_b64 s[6:7], s[6:7], exec
	s_and_b64 s[14:15], s[18:19], exec
	s_or_b64 s[6:7], s[6:7], s[14:15]
                                        ; implicit-def: $vgpr5
.LBB3676_143:
	s_or_b64 exec, exec, s[12:13]
	s_and_b64 s[4:5], s[4:5], exec
	s_and_b64 s[6:7], s[6:7], exec
	;; [unrolled: 1-line block ×3, first 2 shown]
	s_andn2_saveexec_b64 s[2:3], s[2:3]
	s_cbranch_execz .LBB3676_94
.LBB3676_144:
	v_cmp_lt_i64_e32 vcc, 5, v[0:1]
	s_mov_b64 s[14:15], -1
	s_mov_b64 s[12:13], s[8:9]
	s_mov_b64 s[16:17], s[6:7]
	;; [unrolled: 1-line block ×3, first 2 shown]
                                        ; implicit-def: $vgpr3
                                        ; implicit-def: $vgpr4
                                        ; implicit-def: $vgpr5
	s_and_saveexec_b64 s[0:1], vcc
	s_cbranch_execz .LBB3676_160
; %bb.145:
	v_cmp_lt_i64_e32 vcc, 8, v[0:1]
	s_mov_b64 s[12:13], s[8:9]
                                        ; implicit-def: $vgpr5
	s_and_saveexec_b64 s[14:15], vcc
	s_xor_b64 s[14:15], exec, s[14:15]
	s_cbranch_execz .LBB3676_155
; %bb.146:
	v_cmp_lt_i64_e32 vcc, 9, v[0:1]
                                        ; implicit-def: $vgpr5
	s_and_saveexec_b64 s[12:13], vcc
	s_xor_b64 s[12:13], exec, s[12:13]
	s_cbranch_execz .LBB3676_152
; %bb.147:
	v_cmp_lt_i64_e32 vcc, 10, v[0:1]
                                        ; implicit-def: $vgpr5
	s_and_saveexec_b64 s[16:17], vcc
	s_xor_b64 s[16:17], exec, s[16:17]
	s_cbranch_execz .LBB3676_149
; %bb.148:
	s_waitcnt lgkmcnt(0)
	ds_read_u16 v5, v2 offset:1408
.LBB3676_149:
	s_andn2_saveexec_b64 s[16:17], s[16:17]
	s_cbranch_execz .LBB3676_151
; %bb.150:
	s_waitcnt lgkmcnt(0)
	ds_read_u16 v5, v2 offset:1280
.LBB3676_151:
	s_or_b64 exec, exec, s[16:17]
.LBB3676_152:
	s_andn2_saveexec_b64 s[12:13], s[12:13]
	s_cbranch_execz .LBB3676_154
; %bb.153:
	s_waitcnt lgkmcnt(0)
	ds_read_u16 v5, v2 offset:1152
.LBB3676_154:
	s_or_b64 exec, exec, s[12:13]
	s_or_b64 s[12:13], s[8:9], exec
.LBB3676_155:
	s_or_saveexec_b64 s[14:15], s[14:15]
	s_mov_b64 s[16:17], s[6:7]
	s_mov_b64 s[20:21], s[4:5]
                                        ; implicit-def: $vgpr3
                                        ; implicit-def: $vgpr4
	s_xor_b64 exec, exec, s[14:15]
	s_cbranch_execz .LBB3676_159
; %bb.156:
	s_waitcnt lgkmcnt(0)
	ds_read_u16 v3, v2 offset:768
	v_cmp_lt_i64_e32 vcc, 6, v[0:1]
	s_mov_b64 s[20:21], -1
	s_mov_b64 s[18:19], s[12:13]
	s_mov_b64 s[16:17], s[6:7]
                                        ; implicit-def: $vgpr4
                                        ; implicit-def: $vgpr5
	s_and_saveexec_b64 s[22:23], vcc
	s_cbranch_execz .LBB3676_158
; %bb.157:
	ds_read_u16 v4, v2 offset:896
	ds_read_u16 v5, v2 offset:1024
	v_cmp_lt_i64_e32 vcc, 7, v[0:1]
	s_andn2_b64 s[18:19], s[12:13], exec
	s_and_b64 s[24:25], vcc, exec
	s_xor_b64 s[20:21], exec, -1
	s_or_b64 s[16:17], s[6:7], exec
	s_or_b64 s[18:19], s[18:19], s[24:25]
                                        ; implicit-def: $vgpr3
.LBB3676_158:
	s_or_b64 exec, exec, s[22:23]
	s_andn2_b64 s[22:23], s[4:5], exec
	s_and_b64 s[20:21], s[20:21], exec
	s_or_b64 s[20:21], s[22:23], s[20:21]
	s_andn2_b64 s[22:23], s[6:7], exec
	s_and_b64 s[16:17], s[16:17], exec
	s_andn2_b64 s[12:13], s[12:13], exec
	s_and_b64 s[18:19], s[18:19], exec
	s_or_b64 s[16:17], s[22:23], s[16:17]
	s_or_b64 s[12:13], s[12:13], s[18:19]
.LBB3676_159:
	s_or_b64 exec, exec, s[14:15]
	s_andn2_b64 s[18:19], s[4:5], exec
	s_and_b64 s[20:21], s[20:21], exec
	s_or_b64 s[18:19], s[18:19], s[20:21]
	s_andn2_b64 s[20:21], s[6:7], exec
	s_and_b64 s[16:17], s[16:17], exec
	s_or_b64 s[16:17], s[20:21], s[16:17]
	s_andn2_b64 s[20:21], s[8:9], exec
	s_and_b64 s[12:13], s[12:13], exec
	s_xor_b64 s[14:15], exec, -1
	s_or_b64 s[12:13], s[20:21], s[12:13]
.LBB3676_160:
	s_or_b64 exec, exec, s[0:1]
	s_and_b64 s[0:1], s[14:15], exec
	s_andn2_b64 s[4:5], s[4:5], exec
	s_and_b64 s[14:15], s[18:19], exec
	s_or_b64 s[4:5], s[4:5], s[14:15]
	s_andn2_b64 s[6:7], s[6:7], exec
	s_and_b64 s[14:15], s[16:17], exec
	s_andn2_b64 s[8:9], s[8:9], exec
	s_and_b64 s[12:13], s[12:13], exec
	s_or_b64 s[6:7], s[6:7], s[14:15]
	s_or_b64 s[8:9], s[8:9], s[12:13]
	s_or_b64 exec, exec, s[2:3]
	s_and_saveexec_b64 s[2:3], s[8:9]
	s_cbranch_execz .LBB3676_95
.LBB3676_161:
	s_waitcnt lgkmcnt(0)
	v_mov_b32_e32 v3, 0
	s_andn2_b64 s[6:7], s[6:7], exec
	global_store_short v3, v5, s[10:11]
                                        ; implicit-def: $vgpr3
                                        ; implicit-def: $vgpr4
	s_or_b64 exec, exec, s[2:3]
	s_and_saveexec_b64 s[2:3], s[6:7]
	s_cbranch_execz .LBB3676_96
.LBB3676_162:
	s_waitcnt lgkmcnt(0)
	v_mov_b32_e32 v3, 0
	global_store_short v3, v4, s[10:11]
                                        ; implicit-def: $vgpr3
	s_or_b64 exec, exec, s[2:3]
	s_and_saveexec_b64 s[2:3], s[4:5]
	s_xor_b64 s[2:3], exec, s[2:3]
	s_cbranch_execz .LBB3676_97
.LBB3676_163:
	s_waitcnt lgkmcnt(0)
	v_mov_b32_e32 v4, 0
	global_store_short v4, v3, s[10:11]
	s_or_b64 exec, exec, s[2:3]
	s_and_b64 exec, exec, s[0:1]
	s_cbranch_execz .LBB3676_98
.LBB3676_164:
	v_cmp_lt_i64_e32 vcc, 2, v[0:1]
	s_and_saveexec_b64 s[0:1], vcc
	s_xor_b64 s[0:1], exec, s[0:1]
	s_cbranch_execz .LBB3676_174
; %bb.165:
	v_cmp_lt_i64_e32 vcc, 3, v[0:1]
	s_and_saveexec_b64 s[2:3], vcc
	s_xor_b64 s[2:3], exec, s[2:3]
	s_cbranch_execz .LBB3676_171
; %bb.166:
	;; [unrolled: 5-line block ×3, first 2 shown]
	ds_read_u16 v0, v2 offset:640
	v_mov_b32_e32 v1, 0
                                        ; implicit-def: $vgpr2
	s_waitcnt lgkmcnt(0)
	global_store_short v1, v0, s[10:11]
.LBB3676_168:
	s_andn2_saveexec_b64 s[4:5], s[4:5]
	s_cbranch_execz .LBB3676_170
; %bb.169:
	ds_read_u16 v0, v2 offset:512
	v_mov_b32_e32 v1, 0
	s_waitcnt lgkmcnt(0)
	global_store_short v1, v0, s[10:11]
.LBB3676_170:
	s_or_b64 exec, exec, s[4:5]
                                        ; implicit-def: $vgpr2
.LBB3676_171:
	s_andn2_saveexec_b64 s[2:3], s[2:3]
	s_cbranch_execz .LBB3676_173
; %bb.172:
	ds_read_u16 v0, v2 offset:384
	v_mov_b32_e32 v1, 0
	s_waitcnt lgkmcnt(0)
	global_store_short v1, v0, s[10:11]
.LBB3676_173:
	s_or_b64 exec, exec, s[2:3]
                                        ; implicit-def: $vgpr0_vgpr1
                                        ; implicit-def: $vgpr2
.LBB3676_174:
	s_andn2_saveexec_b64 s[0:1], s[0:1]
	s_cbranch_execz .LBB3676_98
; %bb.175:
	v_cmp_lt_i64_e32 vcc, 1, v[0:1]
	s_and_saveexec_b64 s[0:1], vcc
	s_xor_b64 s[0:1], exec, s[0:1]
	s_cbranch_execz .LBB3676_177
; %bb.176:
	ds_read_u16 v0, v2 offset:256
	v_mov_b32_e32 v1, 0
                                        ; implicit-def: $vgpr2
	s_waitcnt lgkmcnt(0)
	global_store_short v1, v0, s[10:11]
                                        ; implicit-def: $vgpr0_vgpr1
.LBB3676_177:
	s_andn2_saveexec_b64 s[0:1], s[0:1]
	s_cbranch_execz .LBB3676_98
; %bb.178:
	v_cmp_ne_u64_e32 vcc, 1, v[0:1]
	s_and_saveexec_b64 s[0:1], vcc
	s_xor_b64 s[0:1], exec, s[0:1]
	s_cbranch_execz .LBB3676_180
; %bb.179:
	ds_read_u16 v0, v2
	v_mov_b32_e32 v1, 0
                                        ; implicit-def: $vgpr2
	s_waitcnt lgkmcnt(0)
	global_store_short v1, v0, s[10:11]
.LBB3676_180:
	s_andn2_saveexec_b64 s[0:1], s[0:1]
	s_cbranch_execz .LBB3676_98
; %bb.181:
	ds_read_u16 v0, v2 offset:128
	v_mov_b32_e32 v1, 0
	s_waitcnt lgkmcnt(0)
	global_store_short v1, v0, s[10:11]
	s_endpgm
	.section	.rodata,"a",@progbits
	.p2align	6, 0x0
	.amdhsa_kernel _ZN7rocprim17ROCPRIM_400000_NS6detail17trampoline_kernelINS0_14default_configENS1_20scan_config_selectorItEEZZNS1_9scan_implILNS1_25lookback_scan_determinismE0ELb1ELb1ES3_N6thrust23THRUST_200600_302600_NS6detail15normal_iteratorINS9_10device_ptrItEEEENS9_16discard_iteratorINS9_11use_defaultEEEt11max_functorItEtEEDaPvRmT3_T4_T5_mT6_P12ihipStream_tbENKUlT_T0_E_clISt17integral_constantIbLb1EESW_IbLb0EEEEDaSS_ST_EUlSS_E_NS1_11comp_targetILNS1_3genE4ELNS1_11target_archE910ELNS1_3gpuE8ELNS1_3repE0EEENS1_30default_config_static_selectorELNS0_4arch9wavefront6targetE1EEEvT1_
		.amdhsa_group_segment_fixed_size 3072
		.amdhsa_private_segment_fixed_size 0
		.amdhsa_kernarg_size 104
		.amdhsa_user_sgpr_count 6
		.amdhsa_user_sgpr_private_segment_buffer 1
		.amdhsa_user_sgpr_dispatch_ptr 0
		.amdhsa_user_sgpr_queue_ptr 0
		.amdhsa_user_sgpr_kernarg_segment_ptr 1
		.amdhsa_user_sgpr_dispatch_id 0
		.amdhsa_user_sgpr_flat_scratch_init 0
		.amdhsa_user_sgpr_kernarg_preload_length 0
		.amdhsa_user_sgpr_kernarg_preload_offset 0
		.amdhsa_user_sgpr_private_segment_size 0
		.amdhsa_uses_dynamic_stack 0
		.amdhsa_system_sgpr_private_segment_wavefront_offset 0
		.amdhsa_system_sgpr_workgroup_id_x 1
		.amdhsa_system_sgpr_workgroup_id_y 0
		.amdhsa_system_sgpr_workgroup_id_z 0
		.amdhsa_system_sgpr_workgroup_info 0
		.amdhsa_system_vgpr_workitem_id 0
		.amdhsa_next_free_vgpr 57
		.amdhsa_next_free_sgpr 26
		.amdhsa_accum_offset 60
		.amdhsa_reserve_vcc 1
		.amdhsa_reserve_flat_scratch 0
		.amdhsa_float_round_mode_32 0
		.amdhsa_float_round_mode_16_64 0
		.amdhsa_float_denorm_mode_32 3
		.amdhsa_float_denorm_mode_16_64 3
		.amdhsa_dx10_clamp 1
		.amdhsa_ieee_mode 1
		.amdhsa_fp16_overflow 0
		.amdhsa_tg_split 0
		.amdhsa_exception_fp_ieee_invalid_op 0
		.amdhsa_exception_fp_denorm_src 0
		.amdhsa_exception_fp_ieee_div_zero 0
		.amdhsa_exception_fp_ieee_overflow 0
		.amdhsa_exception_fp_ieee_underflow 0
		.amdhsa_exception_fp_ieee_inexact 0
		.amdhsa_exception_int_div_zero 0
	.end_amdhsa_kernel
	.section	.text._ZN7rocprim17ROCPRIM_400000_NS6detail17trampoline_kernelINS0_14default_configENS1_20scan_config_selectorItEEZZNS1_9scan_implILNS1_25lookback_scan_determinismE0ELb1ELb1ES3_N6thrust23THRUST_200600_302600_NS6detail15normal_iteratorINS9_10device_ptrItEEEENS9_16discard_iteratorINS9_11use_defaultEEEt11max_functorItEtEEDaPvRmT3_T4_T5_mT6_P12ihipStream_tbENKUlT_T0_E_clISt17integral_constantIbLb1EESW_IbLb0EEEEDaSS_ST_EUlSS_E_NS1_11comp_targetILNS1_3genE4ELNS1_11target_archE910ELNS1_3gpuE8ELNS1_3repE0EEENS1_30default_config_static_selectorELNS0_4arch9wavefront6targetE1EEEvT1_,"axG",@progbits,_ZN7rocprim17ROCPRIM_400000_NS6detail17trampoline_kernelINS0_14default_configENS1_20scan_config_selectorItEEZZNS1_9scan_implILNS1_25lookback_scan_determinismE0ELb1ELb1ES3_N6thrust23THRUST_200600_302600_NS6detail15normal_iteratorINS9_10device_ptrItEEEENS9_16discard_iteratorINS9_11use_defaultEEEt11max_functorItEtEEDaPvRmT3_T4_T5_mT6_P12ihipStream_tbENKUlT_T0_E_clISt17integral_constantIbLb1EESW_IbLb0EEEEDaSS_ST_EUlSS_E_NS1_11comp_targetILNS1_3genE4ELNS1_11target_archE910ELNS1_3gpuE8ELNS1_3repE0EEENS1_30default_config_static_selectorELNS0_4arch9wavefront6targetE1EEEvT1_,comdat
.Lfunc_end3676:
	.size	_ZN7rocprim17ROCPRIM_400000_NS6detail17trampoline_kernelINS0_14default_configENS1_20scan_config_selectorItEEZZNS1_9scan_implILNS1_25lookback_scan_determinismE0ELb1ELb1ES3_N6thrust23THRUST_200600_302600_NS6detail15normal_iteratorINS9_10device_ptrItEEEENS9_16discard_iteratorINS9_11use_defaultEEEt11max_functorItEtEEDaPvRmT3_T4_T5_mT6_P12ihipStream_tbENKUlT_T0_E_clISt17integral_constantIbLb1EESW_IbLb0EEEEDaSS_ST_EUlSS_E_NS1_11comp_targetILNS1_3genE4ELNS1_11target_archE910ELNS1_3gpuE8ELNS1_3repE0EEENS1_30default_config_static_selectorELNS0_4arch9wavefront6targetE1EEEvT1_, .Lfunc_end3676-_ZN7rocprim17ROCPRIM_400000_NS6detail17trampoline_kernelINS0_14default_configENS1_20scan_config_selectorItEEZZNS1_9scan_implILNS1_25lookback_scan_determinismE0ELb1ELb1ES3_N6thrust23THRUST_200600_302600_NS6detail15normal_iteratorINS9_10device_ptrItEEEENS9_16discard_iteratorINS9_11use_defaultEEEt11max_functorItEtEEDaPvRmT3_T4_T5_mT6_P12ihipStream_tbENKUlT_T0_E_clISt17integral_constantIbLb1EESW_IbLb0EEEEDaSS_ST_EUlSS_E_NS1_11comp_targetILNS1_3genE4ELNS1_11target_archE910ELNS1_3gpuE8ELNS1_3repE0EEENS1_30default_config_static_selectorELNS0_4arch9wavefront6targetE1EEEvT1_
                                        ; -- End function
	.section	.AMDGPU.csdata,"",@progbits
; Kernel info:
; codeLenInByte = 6548
; NumSgprs: 30
; NumVgprs: 57
; NumAgprs: 0
; TotalNumVgprs: 57
; ScratchSize: 0
; MemoryBound: 0
; FloatMode: 240
; IeeeMode: 1
; LDSByteSize: 3072 bytes/workgroup (compile time only)
; SGPRBlocks: 3
; VGPRBlocks: 7
; NumSGPRsForWavesPerEU: 30
; NumVGPRsForWavesPerEU: 57
; AccumOffset: 60
; Occupancy: 6
; WaveLimiterHint : 1
; COMPUTE_PGM_RSRC2:SCRATCH_EN: 0
; COMPUTE_PGM_RSRC2:USER_SGPR: 6
; COMPUTE_PGM_RSRC2:TRAP_HANDLER: 0
; COMPUTE_PGM_RSRC2:TGID_X_EN: 1
; COMPUTE_PGM_RSRC2:TGID_Y_EN: 0
; COMPUTE_PGM_RSRC2:TGID_Z_EN: 0
; COMPUTE_PGM_RSRC2:TIDIG_COMP_CNT: 0
; COMPUTE_PGM_RSRC3_GFX90A:ACCUM_OFFSET: 14
; COMPUTE_PGM_RSRC3_GFX90A:TG_SPLIT: 0
	.section	.text._ZN7rocprim17ROCPRIM_400000_NS6detail17trampoline_kernelINS0_14default_configENS1_20scan_config_selectorItEEZZNS1_9scan_implILNS1_25lookback_scan_determinismE0ELb1ELb1ES3_N6thrust23THRUST_200600_302600_NS6detail15normal_iteratorINS9_10device_ptrItEEEENS9_16discard_iteratorINS9_11use_defaultEEEt11max_functorItEtEEDaPvRmT3_T4_T5_mT6_P12ihipStream_tbENKUlT_T0_E_clISt17integral_constantIbLb1EESW_IbLb0EEEEDaSS_ST_EUlSS_E_NS1_11comp_targetILNS1_3genE3ELNS1_11target_archE908ELNS1_3gpuE7ELNS1_3repE0EEENS1_30default_config_static_selectorELNS0_4arch9wavefront6targetE1EEEvT1_,"axG",@progbits,_ZN7rocprim17ROCPRIM_400000_NS6detail17trampoline_kernelINS0_14default_configENS1_20scan_config_selectorItEEZZNS1_9scan_implILNS1_25lookback_scan_determinismE0ELb1ELb1ES3_N6thrust23THRUST_200600_302600_NS6detail15normal_iteratorINS9_10device_ptrItEEEENS9_16discard_iteratorINS9_11use_defaultEEEt11max_functorItEtEEDaPvRmT3_T4_T5_mT6_P12ihipStream_tbENKUlT_T0_E_clISt17integral_constantIbLb1EESW_IbLb0EEEEDaSS_ST_EUlSS_E_NS1_11comp_targetILNS1_3genE3ELNS1_11target_archE908ELNS1_3gpuE7ELNS1_3repE0EEENS1_30default_config_static_selectorELNS0_4arch9wavefront6targetE1EEEvT1_,comdat
	.protected	_ZN7rocprim17ROCPRIM_400000_NS6detail17trampoline_kernelINS0_14default_configENS1_20scan_config_selectorItEEZZNS1_9scan_implILNS1_25lookback_scan_determinismE0ELb1ELb1ES3_N6thrust23THRUST_200600_302600_NS6detail15normal_iteratorINS9_10device_ptrItEEEENS9_16discard_iteratorINS9_11use_defaultEEEt11max_functorItEtEEDaPvRmT3_T4_T5_mT6_P12ihipStream_tbENKUlT_T0_E_clISt17integral_constantIbLb1EESW_IbLb0EEEEDaSS_ST_EUlSS_E_NS1_11comp_targetILNS1_3genE3ELNS1_11target_archE908ELNS1_3gpuE7ELNS1_3repE0EEENS1_30default_config_static_selectorELNS0_4arch9wavefront6targetE1EEEvT1_ ; -- Begin function _ZN7rocprim17ROCPRIM_400000_NS6detail17trampoline_kernelINS0_14default_configENS1_20scan_config_selectorItEEZZNS1_9scan_implILNS1_25lookback_scan_determinismE0ELb1ELb1ES3_N6thrust23THRUST_200600_302600_NS6detail15normal_iteratorINS9_10device_ptrItEEEENS9_16discard_iteratorINS9_11use_defaultEEEt11max_functorItEtEEDaPvRmT3_T4_T5_mT6_P12ihipStream_tbENKUlT_T0_E_clISt17integral_constantIbLb1EESW_IbLb0EEEEDaSS_ST_EUlSS_E_NS1_11comp_targetILNS1_3genE3ELNS1_11target_archE908ELNS1_3gpuE7ELNS1_3repE0EEENS1_30default_config_static_selectorELNS0_4arch9wavefront6targetE1EEEvT1_
	.globl	_ZN7rocprim17ROCPRIM_400000_NS6detail17trampoline_kernelINS0_14default_configENS1_20scan_config_selectorItEEZZNS1_9scan_implILNS1_25lookback_scan_determinismE0ELb1ELb1ES3_N6thrust23THRUST_200600_302600_NS6detail15normal_iteratorINS9_10device_ptrItEEEENS9_16discard_iteratorINS9_11use_defaultEEEt11max_functorItEtEEDaPvRmT3_T4_T5_mT6_P12ihipStream_tbENKUlT_T0_E_clISt17integral_constantIbLb1EESW_IbLb0EEEEDaSS_ST_EUlSS_E_NS1_11comp_targetILNS1_3genE3ELNS1_11target_archE908ELNS1_3gpuE7ELNS1_3repE0EEENS1_30default_config_static_selectorELNS0_4arch9wavefront6targetE1EEEvT1_
	.p2align	8
	.type	_ZN7rocprim17ROCPRIM_400000_NS6detail17trampoline_kernelINS0_14default_configENS1_20scan_config_selectorItEEZZNS1_9scan_implILNS1_25lookback_scan_determinismE0ELb1ELb1ES3_N6thrust23THRUST_200600_302600_NS6detail15normal_iteratorINS9_10device_ptrItEEEENS9_16discard_iteratorINS9_11use_defaultEEEt11max_functorItEtEEDaPvRmT3_T4_T5_mT6_P12ihipStream_tbENKUlT_T0_E_clISt17integral_constantIbLb1EESW_IbLb0EEEEDaSS_ST_EUlSS_E_NS1_11comp_targetILNS1_3genE3ELNS1_11target_archE908ELNS1_3gpuE7ELNS1_3repE0EEENS1_30default_config_static_selectorELNS0_4arch9wavefront6targetE1EEEvT1_,@function
_ZN7rocprim17ROCPRIM_400000_NS6detail17trampoline_kernelINS0_14default_configENS1_20scan_config_selectorItEEZZNS1_9scan_implILNS1_25lookback_scan_determinismE0ELb1ELb1ES3_N6thrust23THRUST_200600_302600_NS6detail15normal_iteratorINS9_10device_ptrItEEEENS9_16discard_iteratorINS9_11use_defaultEEEt11max_functorItEtEEDaPvRmT3_T4_T5_mT6_P12ihipStream_tbENKUlT_T0_E_clISt17integral_constantIbLb1EESW_IbLb0EEEEDaSS_ST_EUlSS_E_NS1_11comp_targetILNS1_3genE3ELNS1_11target_archE908ELNS1_3gpuE7ELNS1_3repE0EEENS1_30default_config_static_selectorELNS0_4arch9wavefront6targetE1EEEvT1_: ; @_ZN7rocprim17ROCPRIM_400000_NS6detail17trampoline_kernelINS0_14default_configENS1_20scan_config_selectorItEEZZNS1_9scan_implILNS1_25lookback_scan_determinismE0ELb1ELb1ES3_N6thrust23THRUST_200600_302600_NS6detail15normal_iteratorINS9_10device_ptrItEEEENS9_16discard_iteratorINS9_11use_defaultEEEt11max_functorItEtEEDaPvRmT3_T4_T5_mT6_P12ihipStream_tbENKUlT_T0_E_clISt17integral_constantIbLb1EESW_IbLb0EEEEDaSS_ST_EUlSS_E_NS1_11comp_targetILNS1_3genE3ELNS1_11target_archE908ELNS1_3gpuE7ELNS1_3repE0EEENS1_30default_config_static_selectorELNS0_4arch9wavefront6targetE1EEEvT1_
; %bb.0:
	.section	.rodata,"a",@progbits
	.p2align	6, 0x0
	.amdhsa_kernel _ZN7rocprim17ROCPRIM_400000_NS6detail17trampoline_kernelINS0_14default_configENS1_20scan_config_selectorItEEZZNS1_9scan_implILNS1_25lookback_scan_determinismE0ELb1ELb1ES3_N6thrust23THRUST_200600_302600_NS6detail15normal_iteratorINS9_10device_ptrItEEEENS9_16discard_iteratorINS9_11use_defaultEEEt11max_functorItEtEEDaPvRmT3_T4_T5_mT6_P12ihipStream_tbENKUlT_T0_E_clISt17integral_constantIbLb1EESW_IbLb0EEEEDaSS_ST_EUlSS_E_NS1_11comp_targetILNS1_3genE3ELNS1_11target_archE908ELNS1_3gpuE7ELNS1_3repE0EEENS1_30default_config_static_selectorELNS0_4arch9wavefront6targetE1EEEvT1_
		.amdhsa_group_segment_fixed_size 0
		.amdhsa_private_segment_fixed_size 0
		.amdhsa_kernarg_size 104
		.amdhsa_user_sgpr_count 6
		.amdhsa_user_sgpr_private_segment_buffer 1
		.amdhsa_user_sgpr_dispatch_ptr 0
		.amdhsa_user_sgpr_queue_ptr 0
		.amdhsa_user_sgpr_kernarg_segment_ptr 1
		.amdhsa_user_sgpr_dispatch_id 0
		.amdhsa_user_sgpr_flat_scratch_init 0
		.amdhsa_user_sgpr_kernarg_preload_length 0
		.amdhsa_user_sgpr_kernarg_preload_offset 0
		.amdhsa_user_sgpr_private_segment_size 0
		.amdhsa_uses_dynamic_stack 0
		.amdhsa_system_sgpr_private_segment_wavefront_offset 0
		.amdhsa_system_sgpr_workgroup_id_x 1
		.amdhsa_system_sgpr_workgroup_id_y 0
		.amdhsa_system_sgpr_workgroup_id_z 0
		.amdhsa_system_sgpr_workgroup_info 0
		.amdhsa_system_vgpr_workitem_id 0
		.amdhsa_next_free_vgpr 1
		.amdhsa_next_free_sgpr 0
		.amdhsa_accum_offset 4
		.amdhsa_reserve_vcc 0
		.amdhsa_reserve_flat_scratch 0
		.amdhsa_float_round_mode_32 0
		.amdhsa_float_round_mode_16_64 0
		.amdhsa_float_denorm_mode_32 3
		.amdhsa_float_denorm_mode_16_64 3
		.amdhsa_dx10_clamp 1
		.amdhsa_ieee_mode 1
		.amdhsa_fp16_overflow 0
		.amdhsa_tg_split 0
		.amdhsa_exception_fp_ieee_invalid_op 0
		.amdhsa_exception_fp_denorm_src 0
		.amdhsa_exception_fp_ieee_div_zero 0
		.amdhsa_exception_fp_ieee_overflow 0
		.amdhsa_exception_fp_ieee_underflow 0
		.amdhsa_exception_fp_ieee_inexact 0
		.amdhsa_exception_int_div_zero 0
	.end_amdhsa_kernel
	.section	.text._ZN7rocprim17ROCPRIM_400000_NS6detail17trampoline_kernelINS0_14default_configENS1_20scan_config_selectorItEEZZNS1_9scan_implILNS1_25lookback_scan_determinismE0ELb1ELb1ES3_N6thrust23THRUST_200600_302600_NS6detail15normal_iteratorINS9_10device_ptrItEEEENS9_16discard_iteratorINS9_11use_defaultEEEt11max_functorItEtEEDaPvRmT3_T4_T5_mT6_P12ihipStream_tbENKUlT_T0_E_clISt17integral_constantIbLb1EESW_IbLb0EEEEDaSS_ST_EUlSS_E_NS1_11comp_targetILNS1_3genE3ELNS1_11target_archE908ELNS1_3gpuE7ELNS1_3repE0EEENS1_30default_config_static_selectorELNS0_4arch9wavefront6targetE1EEEvT1_,"axG",@progbits,_ZN7rocprim17ROCPRIM_400000_NS6detail17trampoline_kernelINS0_14default_configENS1_20scan_config_selectorItEEZZNS1_9scan_implILNS1_25lookback_scan_determinismE0ELb1ELb1ES3_N6thrust23THRUST_200600_302600_NS6detail15normal_iteratorINS9_10device_ptrItEEEENS9_16discard_iteratorINS9_11use_defaultEEEt11max_functorItEtEEDaPvRmT3_T4_T5_mT6_P12ihipStream_tbENKUlT_T0_E_clISt17integral_constantIbLb1EESW_IbLb0EEEEDaSS_ST_EUlSS_E_NS1_11comp_targetILNS1_3genE3ELNS1_11target_archE908ELNS1_3gpuE7ELNS1_3repE0EEENS1_30default_config_static_selectorELNS0_4arch9wavefront6targetE1EEEvT1_,comdat
.Lfunc_end3677:
	.size	_ZN7rocprim17ROCPRIM_400000_NS6detail17trampoline_kernelINS0_14default_configENS1_20scan_config_selectorItEEZZNS1_9scan_implILNS1_25lookback_scan_determinismE0ELb1ELb1ES3_N6thrust23THRUST_200600_302600_NS6detail15normal_iteratorINS9_10device_ptrItEEEENS9_16discard_iteratorINS9_11use_defaultEEEt11max_functorItEtEEDaPvRmT3_T4_T5_mT6_P12ihipStream_tbENKUlT_T0_E_clISt17integral_constantIbLb1EESW_IbLb0EEEEDaSS_ST_EUlSS_E_NS1_11comp_targetILNS1_3genE3ELNS1_11target_archE908ELNS1_3gpuE7ELNS1_3repE0EEENS1_30default_config_static_selectorELNS0_4arch9wavefront6targetE1EEEvT1_, .Lfunc_end3677-_ZN7rocprim17ROCPRIM_400000_NS6detail17trampoline_kernelINS0_14default_configENS1_20scan_config_selectorItEEZZNS1_9scan_implILNS1_25lookback_scan_determinismE0ELb1ELb1ES3_N6thrust23THRUST_200600_302600_NS6detail15normal_iteratorINS9_10device_ptrItEEEENS9_16discard_iteratorINS9_11use_defaultEEEt11max_functorItEtEEDaPvRmT3_T4_T5_mT6_P12ihipStream_tbENKUlT_T0_E_clISt17integral_constantIbLb1EESW_IbLb0EEEEDaSS_ST_EUlSS_E_NS1_11comp_targetILNS1_3genE3ELNS1_11target_archE908ELNS1_3gpuE7ELNS1_3repE0EEENS1_30default_config_static_selectorELNS0_4arch9wavefront6targetE1EEEvT1_
                                        ; -- End function
	.section	.AMDGPU.csdata,"",@progbits
; Kernel info:
; codeLenInByte = 0
; NumSgprs: 4
; NumVgprs: 0
; NumAgprs: 0
; TotalNumVgprs: 0
; ScratchSize: 0
; MemoryBound: 0
; FloatMode: 240
; IeeeMode: 1
; LDSByteSize: 0 bytes/workgroup (compile time only)
; SGPRBlocks: 0
; VGPRBlocks: 0
; NumSGPRsForWavesPerEU: 4
; NumVGPRsForWavesPerEU: 1
; AccumOffset: 4
; Occupancy: 8
; WaveLimiterHint : 0
; COMPUTE_PGM_RSRC2:SCRATCH_EN: 0
; COMPUTE_PGM_RSRC2:USER_SGPR: 6
; COMPUTE_PGM_RSRC2:TRAP_HANDLER: 0
; COMPUTE_PGM_RSRC2:TGID_X_EN: 1
; COMPUTE_PGM_RSRC2:TGID_Y_EN: 0
; COMPUTE_PGM_RSRC2:TGID_Z_EN: 0
; COMPUTE_PGM_RSRC2:TIDIG_COMP_CNT: 0
; COMPUTE_PGM_RSRC3_GFX90A:ACCUM_OFFSET: 0
; COMPUTE_PGM_RSRC3_GFX90A:TG_SPLIT: 0
	.section	.text._ZN7rocprim17ROCPRIM_400000_NS6detail17trampoline_kernelINS0_14default_configENS1_20scan_config_selectorItEEZZNS1_9scan_implILNS1_25lookback_scan_determinismE0ELb1ELb1ES3_N6thrust23THRUST_200600_302600_NS6detail15normal_iteratorINS9_10device_ptrItEEEENS9_16discard_iteratorINS9_11use_defaultEEEt11max_functorItEtEEDaPvRmT3_T4_T5_mT6_P12ihipStream_tbENKUlT_T0_E_clISt17integral_constantIbLb1EESW_IbLb0EEEEDaSS_ST_EUlSS_E_NS1_11comp_targetILNS1_3genE2ELNS1_11target_archE906ELNS1_3gpuE6ELNS1_3repE0EEENS1_30default_config_static_selectorELNS0_4arch9wavefront6targetE1EEEvT1_,"axG",@progbits,_ZN7rocprim17ROCPRIM_400000_NS6detail17trampoline_kernelINS0_14default_configENS1_20scan_config_selectorItEEZZNS1_9scan_implILNS1_25lookback_scan_determinismE0ELb1ELb1ES3_N6thrust23THRUST_200600_302600_NS6detail15normal_iteratorINS9_10device_ptrItEEEENS9_16discard_iteratorINS9_11use_defaultEEEt11max_functorItEtEEDaPvRmT3_T4_T5_mT6_P12ihipStream_tbENKUlT_T0_E_clISt17integral_constantIbLb1EESW_IbLb0EEEEDaSS_ST_EUlSS_E_NS1_11comp_targetILNS1_3genE2ELNS1_11target_archE906ELNS1_3gpuE6ELNS1_3repE0EEENS1_30default_config_static_selectorELNS0_4arch9wavefront6targetE1EEEvT1_,comdat
	.protected	_ZN7rocprim17ROCPRIM_400000_NS6detail17trampoline_kernelINS0_14default_configENS1_20scan_config_selectorItEEZZNS1_9scan_implILNS1_25lookback_scan_determinismE0ELb1ELb1ES3_N6thrust23THRUST_200600_302600_NS6detail15normal_iteratorINS9_10device_ptrItEEEENS9_16discard_iteratorINS9_11use_defaultEEEt11max_functorItEtEEDaPvRmT3_T4_T5_mT6_P12ihipStream_tbENKUlT_T0_E_clISt17integral_constantIbLb1EESW_IbLb0EEEEDaSS_ST_EUlSS_E_NS1_11comp_targetILNS1_3genE2ELNS1_11target_archE906ELNS1_3gpuE6ELNS1_3repE0EEENS1_30default_config_static_selectorELNS0_4arch9wavefront6targetE1EEEvT1_ ; -- Begin function _ZN7rocprim17ROCPRIM_400000_NS6detail17trampoline_kernelINS0_14default_configENS1_20scan_config_selectorItEEZZNS1_9scan_implILNS1_25lookback_scan_determinismE0ELb1ELb1ES3_N6thrust23THRUST_200600_302600_NS6detail15normal_iteratorINS9_10device_ptrItEEEENS9_16discard_iteratorINS9_11use_defaultEEEt11max_functorItEtEEDaPvRmT3_T4_T5_mT6_P12ihipStream_tbENKUlT_T0_E_clISt17integral_constantIbLb1EESW_IbLb0EEEEDaSS_ST_EUlSS_E_NS1_11comp_targetILNS1_3genE2ELNS1_11target_archE906ELNS1_3gpuE6ELNS1_3repE0EEENS1_30default_config_static_selectorELNS0_4arch9wavefront6targetE1EEEvT1_
	.globl	_ZN7rocprim17ROCPRIM_400000_NS6detail17trampoline_kernelINS0_14default_configENS1_20scan_config_selectorItEEZZNS1_9scan_implILNS1_25lookback_scan_determinismE0ELb1ELb1ES3_N6thrust23THRUST_200600_302600_NS6detail15normal_iteratorINS9_10device_ptrItEEEENS9_16discard_iteratorINS9_11use_defaultEEEt11max_functorItEtEEDaPvRmT3_T4_T5_mT6_P12ihipStream_tbENKUlT_T0_E_clISt17integral_constantIbLb1EESW_IbLb0EEEEDaSS_ST_EUlSS_E_NS1_11comp_targetILNS1_3genE2ELNS1_11target_archE906ELNS1_3gpuE6ELNS1_3repE0EEENS1_30default_config_static_selectorELNS0_4arch9wavefront6targetE1EEEvT1_
	.p2align	8
	.type	_ZN7rocprim17ROCPRIM_400000_NS6detail17trampoline_kernelINS0_14default_configENS1_20scan_config_selectorItEEZZNS1_9scan_implILNS1_25lookback_scan_determinismE0ELb1ELb1ES3_N6thrust23THRUST_200600_302600_NS6detail15normal_iteratorINS9_10device_ptrItEEEENS9_16discard_iteratorINS9_11use_defaultEEEt11max_functorItEtEEDaPvRmT3_T4_T5_mT6_P12ihipStream_tbENKUlT_T0_E_clISt17integral_constantIbLb1EESW_IbLb0EEEEDaSS_ST_EUlSS_E_NS1_11comp_targetILNS1_3genE2ELNS1_11target_archE906ELNS1_3gpuE6ELNS1_3repE0EEENS1_30default_config_static_selectorELNS0_4arch9wavefront6targetE1EEEvT1_,@function
_ZN7rocprim17ROCPRIM_400000_NS6detail17trampoline_kernelINS0_14default_configENS1_20scan_config_selectorItEEZZNS1_9scan_implILNS1_25lookback_scan_determinismE0ELb1ELb1ES3_N6thrust23THRUST_200600_302600_NS6detail15normal_iteratorINS9_10device_ptrItEEEENS9_16discard_iteratorINS9_11use_defaultEEEt11max_functorItEtEEDaPvRmT3_T4_T5_mT6_P12ihipStream_tbENKUlT_T0_E_clISt17integral_constantIbLb1EESW_IbLb0EEEEDaSS_ST_EUlSS_E_NS1_11comp_targetILNS1_3genE2ELNS1_11target_archE906ELNS1_3gpuE6ELNS1_3repE0EEENS1_30default_config_static_selectorELNS0_4arch9wavefront6targetE1EEEvT1_: ; @_ZN7rocprim17ROCPRIM_400000_NS6detail17trampoline_kernelINS0_14default_configENS1_20scan_config_selectorItEEZZNS1_9scan_implILNS1_25lookback_scan_determinismE0ELb1ELb1ES3_N6thrust23THRUST_200600_302600_NS6detail15normal_iteratorINS9_10device_ptrItEEEENS9_16discard_iteratorINS9_11use_defaultEEEt11max_functorItEtEEDaPvRmT3_T4_T5_mT6_P12ihipStream_tbENKUlT_T0_E_clISt17integral_constantIbLb1EESW_IbLb0EEEEDaSS_ST_EUlSS_E_NS1_11comp_targetILNS1_3genE2ELNS1_11target_archE906ELNS1_3gpuE6ELNS1_3repE0EEENS1_30default_config_static_selectorELNS0_4arch9wavefront6targetE1EEEvT1_
; %bb.0:
	.section	.rodata,"a",@progbits
	.p2align	6, 0x0
	.amdhsa_kernel _ZN7rocprim17ROCPRIM_400000_NS6detail17trampoline_kernelINS0_14default_configENS1_20scan_config_selectorItEEZZNS1_9scan_implILNS1_25lookback_scan_determinismE0ELb1ELb1ES3_N6thrust23THRUST_200600_302600_NS6detail15normal_iteratorINS9_10device_ptrItEEEENS9_16discard_iteratorINS9_11use_defaultEEEt11max_functorItEtEEDaPvRmT3_T4_T5_mT6_P12ihipStream_tbENKUlT_T0_E_clISt17integral_constantIbLb1EESW_IbLb0EEEEDaSS_ST_EUlSS_E_NS1_11comp_targetILNS1_3genE2ELNS1_11target_archE906ELNS1_3gpuE6ELNS1_3repE0EEENS1_30default_config_static_selectorELNS0_4arch9wavefront6targetE1EEEvT1_
		.amdhsa_group_segment_fixed_size 0
		.amdhsa_private_segment_fixed_size 0
		.amdhsa_kernarg_size 104
		.amdhsa_user_sgpr_count 6
		.amdhsa_user_sgpr_private_segment_buffer 1
		.amdhsa_user_sgpr_dispatch_ptr 0
		.amdhsa_user_sgpr_queue_ptr 0
		.amdhsa_user_sgpr_kernarg_segment_ptr 1
		.amdhsa_user_sgpr_dispatch_id 0
		.amdhsa_user_sgpr_flat_scratch_init 0
		.amdhsa_user_sgpr_kernarg_preload_length 0
		.amdhsa_user_sgpr_kernarg_preload_offset 0
		.amdhsa_user_sgpr_private_segment_size 0
		.amdhsa_uses_dynamic_stack 0
		.amdhsa_system_sgpr_private_segment_wavefront_offset 0
		.amdhsa_system_sgpr_workgroup_id_x 1
		.amdhsa_system_sgpr_workgroup_id_y 0
		.amdhsa_system_sgpr_workgroup_id_z 0
		.amdhsa_system_sgpr_workgroup_info 0
		.amdhsa_system_vgpr_workitem_id 0
		.amdhsa_next_free_vgpr 1
		.amdhsa_next_free_sgpr 0
		.amdhsa_accum_offset 4
		.amdhsa_reserve_vcc 0
		.amdhsa_reserve_flat_scratch 0
		.amdhsa_float_round_mode_32 0
		.amdhsa_float_round_mode_16_64 0
		.amdhsa_float_denorm_mode_32 3
		.amdhsa_float_denorm_mode_16_64 3
		.amdhsa_dx10_clamp 1
		.amdhsa_ieee_mode 1
		.amdhsa_fp16_overflow 0
		.amdhsa_tg_split 0
		.amdhsa_exception_fp_ieee_invalid_op 0
		.amdhsa_exception_fp_denorm_src 0
		.amdhsa_exception_fp_ieee_div_zero 0
		.amdhsa_exception_fp_ieee_overflow 0
		.amdhsa_exception_fp_ieee_underflow 0
		.amdhsa_exception_fp_ieee_inexact 0
		.amdhsa_exception_int_div_zero 0
	.end_amdhsa_kernel
	.section	.text._ZN7rocprim17ROCPRIM_400000_NS6detail17trampoline_kernelINS0_14default_configENS1_20scan_config_selectorItEEZZNS1_9scan_implILNS1_25lookback_scan_determinismE0ELb1ELb1ES3_N6thrust23THRUST_200600_302600_NS6detail15normal_iteratorINS9_10device_ptrItEEEENS9_16discard_iteratorINS9_11use_defaultEEEt11max_functorItEtEEDaPvRmT3_T4_T5_mT6_P12ihipStream_tbENKUlT_T0_E_clISt17integral_constantIbLb1EESW_IbLb0EEEEDaSS_ST_EUlSS_E_NS1_11comp_targetILNS1_3genE2ELNS1_11target_archE906ELNS1_3gpuE6ELNS1_3repE0EEENS1_30default_config_static_selectorELNS0_4arch9wavefront6targetE1EEEvT1_,"axG",@progbits,_ZN7rocprim17ROCPRIM_400000_NS6detail17trampoline_kernelINS0_14default_configENS1_20scan_config_selectorItEEZZNS1_9scan_implILNS1_25lookback_scan_determinismE0ELb1ELb1ES3_N6thrust23THRUST_200600_302600_NS6detail15normal_iteratorINS9_10device_ptrItEEEENS9_16discard_iteratorINS9_11use_defaultEEEt11max_functorItEtEEDaPvRmT3_T4_T5_mT6_P12ihipStream_tbENKUlT_T0_E_clISt17integral_constantIbLb1EESW_IbLb0EEEEDaSS_ST_EUlSS_E_NS1_11comp_targetILNS1_3genE2ELNS1_11target_archE906ELNS1_3gpuE6ELNS1_3repE0EEENS1_30default_config_static_selectorELNS0_4arch9wavefront6targetE1EEEvT1_,comdat
.Lfunc_end3678:
	.size	_ZN7rocprim17ROCPRIM_400000_NS6detail17trampoline_kernelINS0_14default_configENS1_20scan_config_selectorItEEZZNS1_9scan_implILNS1_25lookback_scan_determinismE0ELb1ELb1ES3_N6thrust23THRUST_200600_302600_NS6detail15normal_iteratorINS9_10device_ptrItEEEENS9_16discard_iteratorINS9_11use_defaultEEEt11max_functorItEtEEDaPvRmT3_T4_T5_mT6_P12ihipStream_tbENKUlT_T0_E_clISt17integral_constantIbLb1EESW_IbLb0EEEEDaSS_ST_EUlSS_E_NS1_11comp_targetILNS1_3genE2ELNS1_11target_archE906ELNS1_3gpuE6ELNS1_3repE0EEENS1_30default_config_static_selectorELNS0_4arch9wavefront6targetE1EEEvT1_, .Lfunc_end3678-_ZN7rocprim17ROCPRIM_400000_NS6detail17trampoline_kernelINS0_14default_configENS1_20scan_config_selectorItEEZZNS1_9scan_implILNS1_25lookback_scan_determinismE0ELb1ELb1ES3_N6thrust23THRUST_200600_302600_NS6detail15normal_iteratorINS9_10device_ptrItEEEENS9_16discard_iteratorINS9_11use_defaultEEEt11max_functorItEtEEDaPvRmT3_T4_T5_mT6_P12ihipStream_tbENKUlT_T0_E_clISt17integral_constantIbLb1EESW_IbLb0EEEEDaSS_ST_EUlSS_E_NS1_11comp_targetILNS1_3genE2ELNS1_11target_archE906ELNS1_3gpuE6ELNS1_3repE0EEENS1_30default_config_static_selectorELNS0_4arch9wavefront6targetE1EEEvT1_
                                        ; -- End function
	.section	.AMDGPU.csdata,"",@progbits
; Kernel info:
; codeLenInByte = 0
; NumSgprs: 4
; NumVgprs: 0
; NumAgprs: 0
; TotalNumVgprs: 0
; ScratchSize: 0
; MemoryBound: 0
; FloatMode: 240
; IeeeMode: 1
; LDSByteSize: 0 bytes/workgroup (compile time only)
; SGPRBlocks: 0
; VGPRBlocks: 0
; NumSGPRsForWavesPerEU: 4
; NumVGPRsForWavesPerEU: 1
; AccumOffset: 4
; Occupancy: 8
; WaveLimiterHint : 0
; COMPUTE_PGM_RSRC2:SCRATCH_EN: 0
; COMPUTE_PGM_RSRC2:USER_SGPR: 6
; COMPUTE_PGM_RSRC2:TRAP_HANDLER: 0
; COMPUTE_PGM_RSRC2:TGID_X_EN: 1
; COMPUTE_PGM_RSRC2:TGID_Y_EN: 0
; COMPUTE_PGM_RSRC2:TGID_Z_EN: 0
; COMPUTE_PGM_RSRC2:TIDIG_COMP_CNT: 0
; COMPUTE_PGM_RSRC3_GFX90A:ACCUM_OFFSET: 0
; COMPUTE_PGM_RSRC3_GFX90A:TG_SPLIT: 0
	.section	.text._ZN7rocprim17ROCPRIM_400000_NS6detail17trampoline_kernelINS0_14default_configENS1_20scan_config_selectorItEEZZNS1_9scan_implILNS1_25lookback_scan_determinismE0ELb1ELb1ES3_N6thrust23THRUST_200600_302600_NS6detail15normal_iteratorINS9_10device_ptrItEEEENS9_16discard_iteratorINS9_11use_defaultEEEt11max_functorItEtEEDaPvRmT3_T4_T5_mT6_P12ihipStream_tbENKUlT_T0_E_clISt17integral_constantIbLb1EESW_IbLb0EEEEDaSS_ST_EUlSS_E_NS1_11comp_targetILNS1_3genE10ELNS1_11target_archE1201ELNS1_3gpuE5ELNS1_3repE0EEENS1_30default_config_static_selectorELNS0_4arch9wavefront6targetE1EEEvT1_,"axG",@progbits,_ZN7rocprim17ROCPRIM_400000_NS6detail17trampoline_kernelINS0_14default_configENS1_20scan_config_selectorItEEZZNS1_9scan_implILNS1_25lookback_scan_determinismE0ELb1ELb1ES3_N6thrust23THRUST_200600_302600_NS6detail15normal_iteratorINS9_10device_ptrItEEEENS9_16discard_iteratorINS9_11use_defaultEEEt11max_functorItEtEEDaPvRmT3_T4_T5_mT6_P12ihipStream_tbENKUlT_T0_E_clISt17integral_constantIbLb1EESW_IbLb0EEEEDaSS_ST_EUlSS_E_NS1_11comp_targetILNS1_3genE10ELNS1_11target_archE1201ELNS1_3gpuE5ELNS1_3repE0EEENS1_30default_config_static_selectorELNS0_4arch9wavefront6targetE1EEEvT1_,comdat
	.protected	_ZN7rocprim17ROCPRIM_400000_NS6detail17trampoline_kernelINS0_14default_configENS1_20scan_config_selectorItEEZZNS1_9scan_implILNS1_25lookback_scan_determinismE0ELb1ELb1ES3_N6thrust23THRUST_200600_302600_NS6detail15normal_iteratorINS9_10device_ptrItEEEENS9_16discard_iteratorINS9_11use_defaultEEEt11max_functorItEtEEDaPvRmT3_T4_T5_mT6_P12ihipStream_tbENKUlT_T0_E_clISt17integral_constantIbLb1EESW_IbLb0EEEEDaSS_ST_EUlSS_E_NS1_11comp_targetILNS1_3genE10ELNS1_11target_archE1201ELNS1_3gpuE5ELNS1_3repE0EEENS1_30default_config_static_selectorELNS0_4arch9wavefront6targetE1EEEvT1_ ; -- Begin function _ZN7rocprim17ROCPRIM_400000_NS6detail17trampoline_kernelINS0_14default_configENS1_20scan_config_selectorItEEZZNS1_9scan_implILNS1_25lookback_scan_determinismE0ELb1ELb1ES3_N6thrust23THRUST_200600_302600_NS6detail15normal_iteratorINS9_10device_ptrItEEEENS9_16discard_iteratorINS9_11use_defaultEEEt11max_functorItEtEEDaPvRmT3_T4_T5_mT6_P12ihipStream_tbENKUlT_T0_E_clISt17integral_constantIbLb1EESW_IbLb0EEEEDaSS_ST_EUlSS_E_NS1_11comp_targetILNS1_3genE10ELNS1_11target_archE1201ELNS1_3gpuE5ELNS1_3repE0EEENS1_30default_config_static_selectorELNS0_4arch9wavefront6targetE1EEEvT1_
	.globl	_ZN7rocprim17ROCPRIM_400000_NS6detail17trampoline_kernelINS0_14default_configENS1_20scan_config_selectorItEEZZNS1_9scan_implILNS1_25lookback_scan_determinismE0ELb1ELb1ES3_N6thrust23THRUST_200600_302600_NS6detail15normal_iteratorINS9_10device_ptrItEEEENS9_16discard_iteratorINS9_11use_defaultEEEt11max_functorItEtEEDaPvRmT3_T4_T5_mT6_P12ihipStream_tbENKUlT_T0_E_clISt17integral_constantIbLb1EESW_IbLb0EEEEDaSS_ST_EUlSS_E_NS1_11comp_targetILNS1_3genE10ELNS1_11target_archE1201ELNS1_3gpuE5ELNS1_3repE0EEENS1_30default_config_static_selectorELNS0_4arch9wavefront6targetE1EEEvT1_
	.p2align	8
	.type	_ZN7rocprim17ROCPRIM_400000_NS6detail17trampoline_kernelINS0_14default_configENS1_20scan_config_selectorItEEZZNS1_9scan_implILNS1_25lookback_scan_determinismE0ELb1ELb1ES3_N6thrust23THRUST_200600_302600_NS6detail15normal_iteratorINS9_10device_ptrItEEEENS9_16discard_iteratorINS9_11use_defaultEEEt11max_functorItEtEEDaPvRmT3_T4_T5_mT6_P12ihipStream_tbENKUlT_T0_E_clISt17integral_constantIbLb1EESW_IbLb0EEEEDaSS_ST_EUlSS_E_NS1_11comp_targetILNS1_3genE10ELNS1_11target_archE1201ELNS1_3gpuE5ELNS1_3repE0EEENS1_30default_config_static_selectorELNS0_4arch9wavefront6targetE1EEEvT1_,@function
_ZN7rocprim17ROCPRIM_400000_NS6detail17trampoline_kernelINS0_14default_configENS1_20scan_config_selectorItEEZZNS1_9scan_implILNS1_25lookback_scan_determinismE0ELb1ELb1ES3_N6thrust23THRUST_200600_302600_NS6detail15normal_iteratorINS9_10device_ptrItEEEENS9_16discard_iteratorINS9_11use_defaultEEEt11max_functorItEtEEDaPvRmT3_T4_T5_mT6_P12ihipStream_tbENKUlT_T0_E_clISt17integral_constantIbLb1EESW_IbLb0EEEEDaSS_ST_EUlSS_E_NS1_11comp_targetILNS1_3genE10ELNS1_11target_archE1201ELNS1_3gpuE5ELNS1_3repE0EEENS1_30default_config_static_selectorELNS0_4arch9wavefront6targetE1EEEvT1_: ; @_ZN7rocprim17ROCPRIM_400000_NS6detail17trampoline_kernelINS0_14default_configENS1_20scan_config_selectorItEEZZNS1_9scan_implILNS1_25lookback_scan_determinismE0ELb1ELb1ES3_N6thrust23THRUST_200600_302600_NS6detail15normal_iteratorINS9_10device_ptrItEEEENS9_16discard_iteratorINS9_11use_defaultEEEt11max_functorItEtEEDaPvRmT3_T4_T5_mT6_P12ihipStream_tbENKUlT_T0_E_clISt17integral_constantIbLb1EESW_IbLb0EEEEDaSS_ST_EUlSS_E_NS1_11comp_targetILNS1_3genE10ELNS1_11target_archE1201ELNS1_3gpuE5ELNS1_3repE0EEENS1_30default_config_static_selectorELNS0_4arch9wavefront6targetE1EEEvT1_
; %bb.0:
	.section	.rodata,"a",@progbits
	.p2align	6, 0x0
	.amdhsa_kernel _ZN7rocprim17ROCPRIM_400000_NS6detail17trampoline_kernelINS0_14default_configENS1_20scan_config_selectorItEEZZNS1_9scan_implILNS1_25lookback_scan_determinismE0ELb1ELb1ES3_N6thrust23THRUST_200600_302600_NS6detail15normal_iteratorINS9_10device_ptrItEEEENS9_16discard_iteratorINS9_11use_defaultEEEt11max_functorItEtEEDaPvRmT3_T4_T5_mT6_P12ihipStream_tbENKUlT_T0_E_clISt17integral_constantIbLb1EESW_IbLb0EEEEDaSS_ST_EUlSS_E_NS1_11comp_targetILNS1_3genE10ELNS1_11target_archE1201ELNS1_3gpuE5ELNS1_3repE0EEENS1_30default_config_static_selectorELNS0_4arch9wavefront6targetE1EEEvT1_
		.amdhsa_group_segment_fixed_size 0
		.amdhsa_private_segment_fixed_size 0
		.amdhsa_kernarg_size 104
		.amdhsa_user_sgpr_count 6
		.amdhsa_user_sgpr_private_segment_buffer 1
		.amdhsa_user_sgpr_dispatch_ptr 0
		.amdhsa_user_sgpr_queue_ptr 0
		.amdhsa_user_sgpr_kernarg_segment_ptr 1
		.amdhsa_user_sgpr_dispatch_id 0
		.amdhsa_user_sgpr_flat_scratch_init 0
		.amdhsa_user_sgpr_kernarg_preload_length 0
		.amdhsa_user_sgpr_kernarg_preload_offset 0
		.amdhsa_user_sgpr_private_segment_size 0
		.amdhsa_uses_dynamic_stack 0
		.amdhsa_system_sgpr_private_segment_wavefront_offset 0
		.amdhsa_system_sgpr_workgroup_id_x 1
		.amdhsa_system_sgpr_workgroup_id_y 0
		.amdhsa_system_sgpr_workgroup_id_z 0
		.amdhsa_system_sgpr_workgroup_info 0
		.amdhsa_system_vgpr_workitem_id 0
		.amdhsa_next_free_vgpr 1
		.amdhsa_next_free_sgpr 0
		.amdhsa_accum_offset 4
		.amdhsa_reserve_vcc 0
		.amdhsa_reserve_flat_scratch 0
		.amdhsa_float_round_mode_32 0
		.amdhsa_float_round_mode_16_64 0
		.amdhsa_float_denorm_mode_32 3
		.amdhsa_float_denorm_mode_16_64 3
		.amdhsa_dx10_clamp 1
		.amdhsa_ieee_mode 1
		.amdhsa_fp16_overflow 0
		.amdhsa_tg_split 0
		.amdhsa_exception_fp_ieee_invalid_op 0
		.amdhsa_exception_fp_denorm_src 0
		.amdhsa_exception_fp_ieee_div_zero 0
		.amdhsa_exception_fp_ieee_overflow 0
		.amdhsa_exception_fp_ieee_underflow 0
		.amdhsa_exception_fp_ieee_inexact 0
		.amdhsa_exception_int_div_zero 0
	.end_amdhsa_kernel
	.section	.text._ZN7rocprim17ROCPRIM_400000_NS6detail17trampoline_kernelINS0_14default_configENS1_20scan_config_selectorItEEZZNS1_9scan_implILNS1_25lookback_scan_determinismE0ELb1ELb1ES3_N6thrust23THRUST_200600_302600_NS6detail15normal_iteratorINS9_10device_ptrItEEEENS9_16discard_iteratorINS9_11use_defaultEEEt11max_functorItEtEEDaPvRmT3_T4_T5_mT6_P12ihipStream_tbENKUlT_T0_E_clISt17integral_constantIbLb1EESW_IbLb0EEEEDaSS_ST_EUlSS_E_NS1_11comp_targetILNS1_3genE10ELNS1_11target_archE1201ELNS1_3gpuE5ELNS1_3repE0EEENS1_30default_config_static_selectorELNS0_4arch9wavefront6targetE1EEEvT1_,"axG",@progbits,_ZN7rocprim17ROCPRIM_400000_NS6detail17trampoline_kernelINS0_14default_configENS1_20scan_config_selectorItEEZZNS1_9scan_implILNS1_25lookback_scan_determinismE0ELb1ELb1ES3_N6thrust23THRUST_200600_302600_NS6detail15normal_iteratorINS9_10device_ptrItEEEENS9_16discard_iteratorINS9_11use_defaultEEEt11max_functorItEtEEDaPvRmT3_T4_T5_mT6_P12ihipStream_tbENKUlT_T0_E_clISt17integral_constantIbLb1EESW_IbLb0EEEEDaSS_ST_EUlSS_E_NS1_11comp_targetILNS1_3genE10ELNS1_11target_archE1201ELNS1_3gpuE5ELNS1_3repE0EEENS1_30default_config_static_selectorELNS0_4arch9wavefront6targetE1EEEvT1_,comdat
.Lfunc_end3679:
	.size	_ZN7rocprim17ROCPRIM_400000_NS6detail17trampoline_kernelINS0_14default_configENS1_20scan_config_selectorItEEZZNS1_9scan_implILNS1_25lookback_scan_determinismE0ELb1ELb1ES3_N6thrust23THRUST_200600_302600_NS6detail15normal_iteratorINS9_10device_ptrItEEEENS9_16discard_iteratorINS9_11use_defaultEEEt11max_functorItEtEEDaPvRmT3_T4_T5_mT6_P12ihipStream_tbENKUlT_T0_E_clISt17integral_constantIbLb1EESW_IbLb0EEEEDaSS_ST_EUlSS_E_NS1_11comp_targetILNS1_3genE10ELNS1_11target_archE1201ELNS1_3gpuE5ELNS1_3repE0EEENS1_30default_config_static_selectorELNS0_4arch9wavefront6targetE1EEEvT1_, .Lfunc_end3679-_ZN7rocprim17ROCPRIM_400000_NS6detail17trampoline_kernelINS0_14default_configENS1_20scan_config_selectorItEEZZNS1_9scan_implILNS1_25lookback_scan_determinismE0ELb1ELb1ES3_N6thrust23THRUST_200600_302600_NS6detail15normal_iteratorINS9_10device_ptrItEEEENS9_16discard_iteratorINS9_11use_defaultEEEt11max_functorItEtEEDaPvRmT3_T4_T5_mT6_P12ihipStream_tbENKUlT_T0_E_clISt17integral_constantIbLb1EESW_IbLb0EEEEDaSS_ST_EUlSS_E_NS1_11comp_targetILNS1_3genE10ELNS1_11target_archE1201ELNS1_3gpuE5ELNS1_3repE0EEENS1_30default_config_static_selectorELNS0_4arch9wavefront6targetE1EEEvT1_
                                        ; -- End function
	.section	.AMDGPU.csdata,"",@progbits
; Kernel info:
; codeLenInByte = 0
; NumSgprs: 4
; NumVgprs: 0
; NumAgprs: 0
; TotalNumVgprs: 0
; ScratchSize: 0
; MemoryBound: 0
; FloatMode: 240
; IeeeMode: 1
; LDSByteSize: 0 bytes/workgroup (compile time only)
; SGPRBlocks: 0
; VGPRBlocks: 0
; NumSGPRsForWavesPerEU: 4
; NumVGPRsForWavesPerEU: 1
; AccumOffset: 4
; Occupancy: 8
; WaveLimiterHint : 0
; COMPUTE_PGM_RSRC2:SCRATCH_EN: 0
; COMPUTE_PGM_RSRC2:USER_SGPR: 6
; COMPUTE_PGM_RSRC2:TRAP_HANDLER: 0
; COMPUTE_PGM_RSRC2:TGID_X_EN: 1
; COMPUTE_PGM_RSRC2:TGID_Y_EN: 0
; COMPUTE_PGM_RSRC2:TGID_Z_EN: 0
; COMPUTE_PGM_RSRC2:TIDIG_COMP_CNT: 0
; COMPUTE_PGM_RSRC3_GFX90A:ACCUM_OFFSET: 0
; COMPUTE_PGM_RSRC3_GFX90A:TG_SPLIT: 0
	.section	.text._ZN7rocprim17ROCPRIM_400000_NS6detail17trampoline_kernelINS0_14default_configENS1_20scan_config_selectorItEEZZNS1_9scan_implILNS1_25lookback_scan_determinismE0ELb1ELb1ES3_N6thrust23THRUST_200600_302600_NS6detail15normal_iteratorINS9_10device_ptrItEEEENS9_16discard_iteratorINS9_11use_defaultEEEt11max_functorItEtEEDaPvRmT3_T4_T5_mT6_P12ihipStream_tbENKUlT_T0_E_clISt17integral_constantIbLb1EESW_IbLb0EEEEDaSS_ST_EUlSS_E_NS1_11comp_targetILNS1_3genE10ELNS1_11target_archE1200ELNS1_3gpuE4ELNS1_3repE0EEENS1_30default_config_static_selectorELNS0_4arch9wavefront6targetE1EEEvT1_,"axG",@progbits,_ZN7rocprim17ROCPRIM_400000_NS6detail17trampoline_kernelINS0_14default_configENS1_20scan_config_selectorItEEZZNS1_9scan_implILNS1_25lookback_scan_determinismE0ELb1ELb1ES3_N6thrust23THRUST_200600_302600_NS6detail15normal_iteratorINS9_10device_ptrItEEEENS9_16discard_iteratorINS9_11use_defaultEEEt11max_functorItEtEEDaPvRmT3_T4_T5_mT6_P12ihipStream_tbENKUlT_T0_E_clISt17integral_constantIbLb1EESW_IbLb0EEEEDaSS_ST_EUlSS_E_NS1_11comp_targetILNS1_3genE10ELNS1_11target_archE1200ELNS1_3gpuE4ELNS1_3repE0EEENS1_30default_config_static_selectorELNS0_4arch9wavefront6targetE1EEEvT1_,comdat
	.protected	_ZN7rocprim17ROCPRIM_400000_NS6detail17trampoline_kernelINS0_14default_configENS1_20scan_config_selectorItEEZZNS1_9scan_implILNS1_25lookback_scan_determinismE0ELb1ELb1ES3_N6thrust23THRUST_200600_302600_NS6detail15normal_iteratorINS9_10device_ptrItEEEENS9_16discard_iteratorINS9_11use_defaultEEEt11max_functorItEtEEDaPvRmT3_T4_T5_mT6_P12ihipStream_tbENKUlT_T0_E_clISt17integral_constantIbLb1EESW_IbLb0EEEEDaSS_ST_EUlSS_E_NS1_11comp_targetILNS1_3genE10ELNS1_11target_archE1200ELNS1_3gpuE4ELNS1_3repE0EEENS1_30default_config_static_selectorELNS0_4arch9wavefront6targetE1EEEvT1_ ; -- Begin function _ZN7rocprim17ROCPRIM_400000_NS6detail17trampoline_kernelINS0_14default_configENS1_20scan_config_selectorItEEZZNS1_9scan_implILNS1_25lookback_scan_determinismE0ELb1ELb1ES3_N6thrust23THRUST_200600_302600_NS6detail15normal_iteratorINS9_10device_ptrItEEEENS9_16discard_iteratorINS9_11use_defaultEEEt11max_functorItEtEEDaPvRmT3_T4_T5_mT6_P12ihipStream_tbENKUlT_T0_E_clISt17integral_constantIbLb1EESW_IbLb0EEEEDaSS_ST_EUlSS_E_NS1_11comp_targetILNS1_3genE10ELNS1_11target_archE1200ELNS1_3gpuE4ELNS1_3repE0EEENS1_30default_config_static_selectorELNS0_4arch9wavefront6targetE1EEEvT1_
	.globl	_ZN7rocprim17ROCPRIM_400000_NS6detail17trampoline_kernelINS0_14default_configENS1_20scan_config_selectorItEEZZNS1_9scan_implILNS1_25lookback_scan_determinismE0ELb1ELb1ES3_N6thrust23THRUST_200600_302600_NS6detail15normal_iteratorINS9_10device_ptrItEEEENS9_16discard_iteratorINS9_11use_defaultEEEt11max_functorItEtEEDaPvRmT3_T4_T5_mT6_P12ihipStream_tbENKUlT_T0_E_clISt17integral_constantIbLb1EESW_IbLb0EEEEDaSS_ST_EUlSS_E_NS1_11comp_targetILNS1_3genE10ELNS1_11target_archE1200ELNS1_3gpuE4ELNS1_3repE0EEENS1_30default_config_static_selectorELNS0_4arch9wavefront6targetE1EEEvT1_
	.p2align	8
	.type	_ZN7rocprim17ROCPRIM_400000_NS6detail17trampoline_kernelINS0_14default_configENS1_20scan_config_selectorItEEZZNS1_9scan_implILNS1_25lookback_scan_determinismE0ELb1ELb1ES3_N6thrust23THRUST_200600_302600_NS6detail15normal_iteratorINS9_10device_ptrItEEEENS9_16discard_iteratorINS9_11use_defaultEEEt11max_functorItEtEEDaPvRmT3_T4_T5_mT6_P12ihipStream_tbENKUlT_T0_E_clISt17integral_constantIbLb1EESW_IbLb0EEEEDaSS_ST_EUlSS_E_NS1_11comp_targetILNS1_3genE10ELNS1_11target_archE1200ELNS1_3gpuE4ELNS1_3repE0EEENS1_30default_config_static_selectorELNS0_4arch9wavefront6targetE1EEEvT1_,@function
_ZN7rocprim17ROCPRIM_400000_NS6detail17trampoline_kernelINS0_14default_configENS1_20scan_config_selectorItEEZZNS1_9scan_implILNS1_25lookback_scan_determinismE0ELb1ELb1ES3_N6thrust23THRUST_200600_302600_NS6detail15normal_iteratorINS9_10device_ptrItEEEENS9_16discard_iteratorINS9_11use_defaultEEEt11max_functorItEtEEDaPvRmT3_T4_T5_mT6_P12ihipStream_tbENKUlT_T0_E_clISt17integral_constantIbLb1EESW_IbLb0EEEEDaSS_ST_EUlSS_E_NS1_11comp_targetILNS1_3genE10ELNS1_11target_archE1200ELNS1_3gpuE4ELNS1_3repE0EEENS1_30default_config_static_selectorELNS0_4arch9wavefront6targetE1EEEvT1_: ; @_ZN7rocprim17ROCPRIM_400000_NS6detail17trampoline_kernelINS0_14default_configENS1_20scan_config_selectorItEEZZNS1_9scan_implILNS1_25lookback_scan_determinismE0ELb1ELb1ES3_N6thrust23THRUST_200600_302600_NS6detail15normal_iteratorINS9_10device_ptrItEEEENS9_16discard_iteratorINS9_11use_defaultEEEt11max_functorItEtEEDaPvRmT3_T4_T5_mT6_P12ihipStream_tbENKUlT_T0_E_clISt17integral_constantIbLb1EESW_IbLb0EEEEDaSS_ST_EUlSS_E_NS1_11comp_targetILNS1_3genE10ELNS1_11target_archE1200ELNS1_3gpuE4ELNS1_3repE0EEENS1_30default_config_static_selectorELNS0_4arch9wavefront6targetE1EEEvT1_
; %bb.0:
	.section	.rodata,"a",@progbits
	.p2align	6, 0x0
	.amdhsa_kernel _ZN7rocprim17ROCPRIM_400000_NS6detail17trampoline_kernelINS0_14default_configENS1_20scan_config_selectorItEEZZNS1_9scan_implILNS1_25lookback_scan_determinismE0ELb1ELb1ES3_N6thrust23THRUST_200600_302600_NS6detail15normal_iteratorINS9_10device_ptrItEEEENS9_16discard_iteratorINS9_11use_defaultEEEt11max_functorItEtEEDaPvRmT3_T4_T5_mT6_P12ihipStream_tbENKUlT_T0_E_clISt17integral_constantIbLb1EESW_IbLb0EEEEDaSS_ST_EUlSS_E_NS1_11comp_targetILNS1_3genE10ELNS1_11target_archE1200ELNS1_3gpuE4ELNS1_3repE0EEENS1_30default_config_static_selectorELNS0_4arch9wavefront6targetE1EEEvT1_
		.amdhsa_group_segment_fixed_size 0
		.amdhsa_private_segment_fixed_size 0
		.amdhsa_kernarg_size 104
		.amdhsa_user_sgpr_count 6
		.amdhsa_user_sgpr_private_segment_buffer 1
		.amdhsa_user_sgpr_dispatch_ptr 0
		.amdhsa_user_sgpr_queue_ptr 0
		.amdhsa_user_sgpr_kernarg_segment_ptr 1
		.amdhsa_user_sgpr_dispatch_id 0
		.amdhsa_user_sgpr_flat_scratch_init 0
		.amdhsa_user_sgpr_kernarg_preload_length 0
		.amdhsa_user_sgpr_kernarg_preload_offset 0
		.amdhsa_user_sgpr_private_segment_size 0
		.amdhsa_uses_dynamic_stack 0
		.amdhsa_system_sgpr_private_segment_wavefront_offset 0
		.amdhsa_system_sgpr_workgroup_id_x 1
		.amdhsa_system_sgpr_workgroup_id_y 0
		.amdhsa_system_sgpr_workgroup_id_z 0
		.amdhsa_system_sgpr_workgroup_info 0
		.amdhsa_system_vgpr_workitem_id 0
		.amdhsa_next_free_vgpr 1
		.amdhsa_next_free_sgpr 0
		.amdhsa_accum_offset 4
		.amdhsa_reserve_vcc 0
		.amdhsa_reserve_flat_scratch 0
		.amdhsa_float_round_mode_32 0
		.amdhsa_float_round_mode_16_64 0
		.amdhsa_float_denorm_mode_32 3
		.amdhsa_float_denorm_mode_16_64 3
		.amdhsa_dx10_clamp 1
		.amdhsa_ieee_mode 1
		.amdhsa_fp16_overflow 0
		.amdhsa_tg_split 0
		.amdhsa_exception_fp_ieee_invalid_op 0
		.amdhsa_exception_fp_denorm_src 0
		.amdhsa_exception_fp_ieee_div_zero 0
		.amdhsa_exception_fp_ieee_overflow 0
		.amdhsa_exception_fp_ieee_underflow 0
		.amdhsa_exception_fp_ieee_inexact 0
		.amdhsa_exception_int_div_zero 0
	.end_amdhsa_kernel
	.section	.text._ZN7rocprim17ROCPRIM_400000_NS6detail17trampoline_kernelINS0_14default_configENS1_20scan_config_selectorItEEZZNS1_9scan_implILNS1_25lookback_scan_determinismE0ELb1ELb1ES3_N6thrust23THRUST_200600_302600_NS6detail15normal_iteratorINS9_10device_ptrItEEEENS9_16discard_iteratorINS9_11use_defaultEEEt11max_functorItEtEEDaPvRmT3_T4_T5_mT6_P12ihipStream_tbENKUlT_T0_E_clISt17integral_constantIbLb1EESW_IbLb0EEEEDaSS_ST_EUlSS_E_NS1_11comp_targetILNS1_3genE10ELNS1_11target_archE1200ELNS1_3gpuE4ELNS1_3repE0EEENS1_30default_config_static_selectorELNS0_4arch9wavefront6targetE1EEEvT1_,"axG",@progbits,_ZN7rocprim17ROCPRIM_400000_NS6detail17trampoline_kernelINS0_14default_configENS1_20scan_config_selectorItEEZZNS1_9scan_implILNS1_25lookback_scan_determinismE0ELb1ELb1ES3_N6thrust23THRUST_200600_302600_NS6detail15normal_iteratorINS9_10device_ptrItEEEENS9_16discard_iteratorINS9_11use_defaultEEEt11max_functorItEtEEDaPvRmT3_T4_T5_mT6_P12ihipStream_tbENKUlT_T0_E_clISt17integral_constantIbLb1EESW_IbLb0EEEEDaSS_ST_EUlSS_E_NS1_11comp_targetILNS1_3genE10ELNS1_11target_archE1200ELNS1_3gpuE4ELNS1_3repE0EEENS1_30default_config_static_selectorELNS0_4arch9wavefront6targetE1EEEvT1_,comdat
.Lfunc_end3680:
	.size	_ZN7rocprim17ROCPRIM_400000_NS6detail17trampoline_kernelINS0_14default_configENS1_20scan_config_selectorItEEZZNS1_9scan_implILNS1_25lookback_scan_determinismE0ELb1ELb1ES3_N6thrust23THRUST_200600_302600_NS6detail15normal_iteratorINS9_10device_ptrItEEEENS9_16discard_iteratorINS9_11use_defaultEEEt11max_functorItEtEEDaPvRmT3_T4_T5_mT6_P12ihipStream_tbENKUlT_T0_E_clISt17integral_constantIbLb1EESW_IbLb0EEEEDaSS_ST_EUlSS_E_NS1_11comp_targetILNS1_3genE10ELNS1_11target_archE1200ELNS1_3gpuE4ELNS1_3repE0EEENS1_30default_config_static_selectorELNS0_4arch9wavefront6targetE1EEEvT1_, .Lfunc_end3680-_ZN7rocprim17ROCPRIM_400000_NS6detail17trampoline_kernelINS0_14default_configENS1_20scan_config_selectorItEEZZNS1_9scan_implILNS1_25lookback_scan_determinismE0ELb1ELb1ES3_N6thrust23THRUST_200600_302600_NS6detail15normal_iteratorINS9_10device_ptrItEEEENS9_16discard_iteratorINS9_11use_defaultEEEt11max_functorItEtEEDaPvRmT3_T4_T5_mT6_P12ihipStream_tbENKUlT_T0_E_clISt17integral_constantIbLb1EESW_IbLb0EEEEDaSS_ST_EUlSS_E_NS1_11comp_targetILNS1_3genE10ELNS1_11target_archE1200ELNS1_3gpuE4ELNS1_3repE0EEENS1_30default_config_static_selectorELNS0_4arch9wavefront6targetE1EEEvT1_
                                        ; -- End function
	.section	.AMDGPU.csdata,"",@progbits
; Kernel info:
; codeLenInByte = 0
; NumSgprs: 4
; NumVgprs: 0
; NumAgprs: 0
; TotalNumVgprs: 0
; ScratchSize: 0
; MemoryBound: 0
; FloatMode: 240
; IeeeMode: 1
; LDSByteSize: 0 bytes/workgroup (compile time only)
; SGPRBlocks: 0
; VGPRBlocks: 0
; NumSGPRsForWavesPerEU: 4
; NumVGPRsForWavesPerEU: 1
; AccumOffset: 4
; Occupancy: 8
; WaveLimiterHint : 0
; COMPUTE_PGM_RSRC2:SCRATCH_EN: 0
; COMPUTE_PGM_RSRC2:USER_SGPR: 6
; COMPUTE_PGM_RSRC2:TRAP_HANDLER: 0
; COMPUTE_PGM_RSRC2:TGID_X_EN: 1
; COMPUTE_PGM_RSRC2:TGID_Y_EN: 0
; COMPUTE_PGM_RSRC2:TGID_Z_EN: 0
; COMPUTE_PGM_RSRC2:TIDIG_COMP_CNT: 0
; COMPUTE_PGM_RSRC3_GFX90A:ACCUM_OFFSET: 0
; COMPUTE_PGM_RSRC3_GFX90A:TG_SPLIT: 0
	.section	.text._ZN7rocprim17ROCPRIM_400000_NS6detail17trampoline_kernelINS0_14default_configENS1_20scan_config_selectorItEEZZNS1_9scan_implILNS1_25lookback_scan_determinismE0ELb1ELb1ES3_N6thrust23THRUST_200600_302600_NS6detail15normal_iteratorINS9_10device_ptrItEEEENS9_16discard_iteratorINS9_11use_defaultEEEt11max_functorItEtEEDaPvRmT3_T4_T5_mT6_P12ihipStream_tbENKUlT_T0_E_clISt17integral_constantIbLb1EESW_IbLb0EEEEDaSS_ST_EUlSS_E_NS1_11comp_targetILNS1_3genE9ELNS1_11target_archE1100ELNS1_3gpuE3ELNS1_3repE0EEENS1_30default_config_static_selectorELNS0_4arch9wavefront6targetE1EEEvT1_,"axG",@progbits,_ZN7rocprim17ROCPRIM_400000_NS6detail17trampoline_kernelINS0_14default_configENS1_20scan_config_selectorItEEZZNS1_9scan_implILNS1_25lookback_scan_determinismE0ELb1ELb1ES3_N6thrust23THRUST_200600_302600_NS6detail15normal_iteratorINS9_10device_ptrItEEEENS9_16discard_iteratorINS9_11use_defaultEEEt11max_functorItEtEEDaPvRmT3_T4_T5_mT6_P12ihipStream_tbENKUlT_T0_E_clISt17integral_constantIbLb1EESW_IbLb0EEEEDaSS_ST_EUlSS_E_NS1_11comp_targetILNS1_3genE9ELNS1_11target_archE1100ELNS1_3gpuE3ELNS1_3repE0EEENS1_30default_config_static_selectorELNS0_4arch9wavefront6targetE1EEEvT1_,comdat
	.protected	_ZN7rocprim17ROCPRIM_400000_NS6detail17trampoline_kernelINS0_14default_configENS1_20scan_config_selectorItEEZZNS1_9scan_implILNS1_25lookback_scan_determinismE0ELb1ELb1ES3_N6thrust23THRUST_200600_302600_NS6detail15normal_iteratorINS9_10device_ptrItEEEENS9_16discard_iteratorINS9_11use_defaultEEEt11max_functorItEtEEDaPvRmT3_T4_T5_mT6_P12ihipStream_tbENKUlT_T0_E_clISt17integral_constantIbLb1EESW_IbLb0EEEEDaSS_ST_EUlSS_E_NS1_11comp_targetILNS1_3genE9ELNS1_11target_archE1100ELNS1_3gpuE3ELNS1_3repE0EEENS1_30default_config_static_selectorELNS0_4arch9wavefront6targetE1EEEvT1_ ; -- Begin function _ZN7rocprim17ROCPRIM_400000_NS6detail17trampoline_kernelINS0_14default_configENS1_20scan_config_selectorItEEZZNS1_9scan_implILNS1_25lookback_scan_determinismE0ELb1ELb1ES3_N6thrust23THRUST_200600_302600_NS6detail15normal_iteratorINS9_10device_ptrItEEEENS9_16discard_iteratorINS9_11use_defaultEEEt11max_functorItEtEEDaPvRmT3_T4_T5_mT6_P12ihipStream_tbENKUlT_T0_E_clISt17integral_constantIbLb1EESW_IbLb0EEEEDaSS_ST_EUlSS_E_NS1_11comp_targetILNS1_3genE9ELNS1_11target_archE1100ELNS1_3gpuE3ELNS1_3repE0EEENS1_30default_config_static_selectorELNS0_4arch9wavefront6targetE1EEEvT1_
	.globl	_ZN7rocprim17ROCPRIM_400000_NS6detail17trampoline_kernelINS0_14default_configENS1_20scan_config_selectorItEEZZNS1_9scan_implILNS1_25lookback_scan_determinismE0ELb1ELb1ES3_N6thrust23THRUST_200600_302600_NS6detail15normal_iteratorINS9_10device_ptrItEEEENS9_16discard_iteratorINS9_11use_defaultEEEt11max_functorItEtEEDaPvRmT3_T4_T5_mT6_P12ihipStream_tbENKUlT_T0_E_clISt17integral_constantIbLb1EESW_IbLb0EEEEDaSS_ST_EUlSS_E_NS1_11comp_targetILNS1_3genE9ELNS1_11target_archE1100ELNS1_3gpuE3ELNS1_3repE0EEENS1_30default_config_static_selectorELNS0_4arch9wavefront6targetE1EEEvT1_
	.p2align	8
	.type	_ZN7rocprim17ROCPRIM_400000_NS6detail17trampoline_kernelINS0_14default_configENS1_20scan_config_selectorItEEZZNS1_9scan_implILNS1_25lookback_scan_determinismE0ELb1ELb1ES3_N6thrust23THRUST_200600_302600_NS6detail15normal_iteratorINS9_10device_ptrItEEEENS9_16discard_iteratorINS9_11use_defaultEEEt11max_functorItEtEEDaPvRmT3_T4_T5_mT6_P12ihipStream_tbENKUlT_T0_E_clISt17integral_constantIbLb1EESW_IbLb0EEEEDaSS_ST_EUlSS_E_NS1_11comp_targetILNS1_3genE9ELNS1_11target_archE1100ELNS1_3gpuE3ELNS1_3repE0EEENS1_30default_config_static_selectorELNS0_4arch9wavefront6targetE1EEEvT1_,@function
_ZN7rocprim17ROCPRIM_400000_NS6detail17trampoline_kernelINS0_14default_configENS1_20scan_config_selectorItEEZZNS1_9scan_implILNS1_25lookback_scan_determinismE0ELb1ELb1ES3_N6thrust23THRUST_200600_302600_NS6detail15normal_iteratorINS9_10device_ptrItEEEENS9_16discard_iteratorINS9_11use_defaultEEEt11max_functorItEtEEDaPvRmT3_T4_T5_mT6_P12ihipStream_tbENKUlT_T0_E_clISt17integral_constantIbLb1EESW_IbLb0EEEEDaSS_ST_EUlSS_E_NS1_11comp_targetILNS1_3genE9ELNS1_11target_archE1100ELNS1_3gpuE3ELNS1_3repE0EEENS1_30default_config_static_selectorELNS0_4arch9wavefront6targetE1EEEvT1_: ; @_ZN7rocprim17ROCPRIM_400000_NS6detail17trampoline_kernelINS0_14default_configENS1_20scan_config_selectorItEEZZNS1_9scan_implILNS1_25lookback_scan_determinismE0ELb1ELb1ES3_N6thrust23THRUST_200600_302600_NS6detail15normal_iteratorINS9_10device_ptrItEEEENS9_16discard_iteratorINS9_11use_defaultEEEt11max_functorItEtEEDaPvRmT3_T4_T5_mT6_P12ihipStream_tbENKUlT_T0_E_clISt17integral_constantIbLb1EESW_IbLb0EEEEDaSS_ST_EUlSS_E_NS1_11comp_targetILNS1_3genE9ELNS1_11target_archE1100ELNS1_3gpuE3ELNS1_3repE0EEENS1_30default_config_static_selectorELNS0_4arch9wavefront6targetE1EEEvT1_
; %bb.0:
	.section	.rodata,"a",@progbits
	.p2align	6, 0x0
	.amdhsa_kernel _ZN7rocprim17ROCPRIM_400000_NS6detail17trampoline_kernelINS0_14default_configENS1_20scan_config_selectorItEEZZNS1_9scan_implILNS1_25lookback_scan_determinismE0ELb1ELb1ES3_N6thrust23THRUST_200600_302600_NS6detail15normal_iteratorINS9_10device_ptrItEEEENS9_16discard_iteratorINS9_11use_defaultEEEt11max_functorItEtEEDaPvRmT3_T4_T5_mT6_P12ihipStream_tbENKUlT_T0_E_clISt17integral_constantIbLb1EESW_IbLb0EEEEDaSS_ST_EUlSS_E_NS1_11comp_targetILNS1_3genE9ELNS1_11target_archE1100ELNS1_3gpuE3ELNS1_3repE0EEENS1_30default_config_static_selectorELNS0_4arch9wavefront6targetE1EEEvT1_
		.amdhsa_group_segment_fixed_size 0
		.amdhsa_private_segment_fixed_size 0
		.amdhsa_kernarg_size 104
		.amdhsa_user_sgpr_count 6
		.amdhsa_user_sgpr_private_segment_buffer 1
		.amdhsa_user_sgpr_dispatch_ptr 0
		.amdhsa_user_sgpr_queue_ptr 0
		.amdhsa_user_sgpr_kernarg_segment_ptr 1
		.amdhsa_user_sgpr_dispatch_id 0
		.amdhsa_user_sgpr_flat_scratch_init 0
		.amdhsa_user_sgpr_kernarg_preload_length 0
		.amdhsa_user_sgpr_kernarg_preload_offset 0
		.amdhsa_user_sgpr_private_segment_size 0
		.amdhsa_uses_dynamic_stack 0
		.amdhsa_system_sgpr_private_segment_wavefront_offset 0
		.amdhsa_system_sgpr_workgroup_id_x 1
		.amdhsa_system_sgpr_workgroup_id_y 0
		.amdhsa_system_sgpr_workgroup_id_z 0
		.amdhsa_system_sgpr_workgroup_info 0
		.amdhsa_system_vgpr_workitem_id 0
		.amdhsa_next_free_vgpr 1
		.amdhsa_next_free_sgpr 0
		.amdhsa_accum_offset 4
		.amdhsa_reserve_vcc 0
		.amdhsa_reserve_flat_scratch 0
		.amdhsa_float_round_mode_32 0
		.amdhsa_float_round_mode_16_64 0
		.amdhsa_float_denorm_mode_32 3
		.amdhsa_float_denorm_mode_16_64 3
		.amdhsa_dx10_clamp 1
		.amdhsa_ieee_mode 1
		.amdhsa_fp16_overflow 0
		.amdhsa_tg_split 0
		.amdhsa_exception_fp_ieee_invalid_op 0
		.amdhsa_exception_fp_denorm_src 0
		.amdhsa_exception_fp_ieee_div_zero 0
		.amdhsa_exception_fp_ieee_overflow 0
		.amdhsa_exception_fp_ieee_underflow 0
		.amdhsa_exception_fp_ieee_inexact 0
		.amdhsa_exception_int_div_zero 0
	.end_amdhsa_kernel
	.section	.text._ZN7rocprim17ROCPRIM_400000_NS6detail17trampoline_kernelINS0_14default_configENS1_20scan_config_selectorItEEZZNS1_9scan_implILNS1_25lookback_scan_determinismE0ELb1ELb1ES3_N6thrust23THRUST_200600_302600_NS6detail15normal_iteratorINS9_10device_ptrItEEEENS9_16discard_iteratorINS9_11use_defaultEEEt11max_functorItEtEEDaPvRmT3_T4_T5_mT6_P12ihipStream_tbENKUlT_T0_E_clISt17integral_constantIbLb1EESW_IbLb0EEEEDaSS_ST_EUlSS_E_NS1_11comp_targetILNS1_3genE9ELNS1_11target_archE1100ELNS1_3gpuE3ELNS1_3repE0EEENS1_30default_config_static_selectorELNS0_4arch9wavefront6targetE1EEEvT1_,"axG",@progbits,_ZN7rocprim17ROCPRIM_400000_NS6detail17trampoline_kernelINS0_14default_configENS1_20scan_config_selectorItEEZZNS1_9scan_implILNS1_25lookback_scan_determinismE0ELb1ELb1ES3_N6thrust23THRUST_200600_302600_NS6detail15normal_iteratorINS9_10device_ptrItEEEENS9_16discard_iteratorINS9_11use_defaultEEEt11max_functorItEtEEDaPvRmT3_T4_T5_mT6_P12ihipStream_tbENKUlT_T0_E_clISt17integral_constantIbLb1EESW_IbLb0EEEEDaSS_ST_EUlSS_E_NS1_11comp_targetILNS1_3genE9ELNS1_11target_archE1100ELNS1_3gpuE3ELNS1_3repE0EEENS1_30default_config_static_selectorELNS0_4arch9wavefront6targetE1EEEvT1_,comdat
.Lfunc_end3681:
	.size	_ZN7rocprim17ROCPRIM_400000_NS6detail17trampoline_kernelINS0_14default_configENS1_20scan_config_selectorItEEZZNS1_9scan_implILNS1_25lookback_scan_determinismE0ELb1ELb1ES3_N6thrust23THRUST_200600_302600_NS6detail15normal_iteratorINS9_10device_ptrItEEEENS9_16discard_iteratorINS9_11use_defaultEEEt11max_functorItEtEEDaPvRmT3_T4_T5_mT6_P12ihipStream_tbENKUlT_T0_E_clISt17integral_constantIbLb1EESW_IbLb0EEEEDaSS_ST_EUlSS_E_NS1_11comp_targetILNS1_3genE9ELNS1_11target_archE1100ELNS1_3gpuE3ELNS1_3repE0EEENS1_30default_config_static_selectorELNS0_4arch9wavefront6targetE1EEEvT1_, .Lfunc_end3681-_ZN7rocprim17ROCPRIM_400000_NS6detail17trampoline_kernelINS0_14default_configENS1_20scan_config_selectorItEEZZNS1_9scan_implILNS1_25lookback_scan_determinismE0ELb1ELb1ES3_N6thrust23THRUST_200600_302600_NS6detail15normal_iteratorINS9_10device_ptrItEEEENS9_16discard_iteratorINS9_11use_defaultEEEt11max_functorItEtEEDaPvRmT3_T4_T5_mT6_P12ihipStream_tbENKUlT_T0_E_clISt17integral_constantIbLb1EESW_IbLb0EEEEDaSS_ST_EUlSS_E_NS1_11comp_targetILNS1_3genE9ELNS1_11target_archE1100ELNS1_3gpuE3ELNS1_3repE0EEENS1_30default_config_static_selectorELNS0_4arch9wavefront6targetE1EEEvT1_
                                        ; -- End function
	.section	.AMDGPU.csdata,"",@progbits
; Kernel info:
; codeLenInByte = 0
; NumSgprs: 4
; NumVgprs: 0
; NumAgprs: 0
; TotalNumVgprs: 0
; ScratchSize: 0
; MemoryBound: 0
; FloatMode: 240
; IeeeMode: 1
; LDSByteSize: 0 bytes/workgroup (compile time only)
; SGPRBlocks: 0
; VGPRBlocks: 0
; NumSGPRsForWavesPerEU: 4
; NumVGPRsForWavesPerEU: 1
; AccumOffset: 4
; Occupancy: 8
; WaveLimiterHint : 0
; COMPUTE_PGM_RSRC2:SCRATCH_EN: 0
; COMPUTE_PGM_RSRC2:USER_SGPR: 6
; COMPUTE_PGM_RSRC2:TRAP_HANDLER: 0
; COMPUTE_PGM_RSRC2:TGID_X_EN: 1
; COMPUTE_PGM_RSRC2:TGID_Y_EN: 0
; COMPUTE_PGM_RSRC2:TGID_Z_EN: 0
; COMPUTE_PGM_RSRC2:TIDIG_COMP_CNT: 0
; COMPUTE_PGM_RSRC3_GFX90A:ACCUM_OFFSET: 0
; COMPUTE_PGM_RSRC3_GFX90A:TG_SPLIT: 0
	.section	.text._ZN7rocprim17ROCPRIM_400000_NS6detail17trampoline_kernelINS0_14default_configENS1_20scan_config_selectorItEEZZNS1_9scan_implILNS1_25lookback_scan_determinismE0ELb1ELb1ES3_N6thrust23THRUST_200600_302600_NS6detail15normal_iteratorINS9_10device_ptrItEEEENS9_16discard_iteratorINS9_11use_defaultEEEt11max_functorItEtEEDaPvRmT3_T4_T5_mT6_P12ihipStream_tbENKUlT_T0_E_clISt17integral_constantIbLb1EESW_IbLb0EEEEDaSS_ST_EUlSS_E_NS1_11comp_targetILNS1_3genE8ELNS1_11target_archE1030ELNS1_3gpuE2ELNS1_3repE0EEENS1_30default_config_static_selectorELNS0_4arch9wavefront6targetE1EEEvT1_,"axG",@progbits,_ZN7rocprim17ROCPRIM_400000_NS6detail17trampoline_kernelINS0_14default_configENS1_20scan_config_selectorItEEZZNS1_9scan_implILNS1_25lookback_scan_determinismE0ELb1ELb1ES3_N6thrust23THRUST_200600_302600_NS6detail15normal_iteratorINS9_10device_ptrItEEEENS9_16discard_iteratorINS9_11use_defaultEEEt11max_functorItEtEEDaPvRmT3_T4_T5_mT6_P12ihipStream_tbENKUlT_T0_E_clISt17integral_constantIbLb1EESW_IbLb0EEEEDaSS_ST_EUlSS_E_NS1_11comp_targetILNS1_3genE8ELNS1_11target_archE1030ELNS1_3gpuE2ELNS1_3repE0EEENS1_30default_config_static_selectorELNS0_4arch9wavefront6targetE1EEEvT1_,comdat
	.protected	_ZN7rocprim17ROCPRIM_400000_NS6detail17trampoline_kernelINS0_14default_configENS1_20scan_config_selectorItEEZZNS1_9scan_implILNS1_25lookback_scan_determinismE0ELb1ELb1ES3_N6thrust23THRUST_200600_302600_NS6detail15normal_iteratorINS9_10device_ptrItEEEENS9_16discard_iteratorINS9_11use_defaultEEEt11max_functorItEtEEDaPvRmT3_T4_T5_mT6_P12ihipStream_tbENKUlT_T0_E_clISt17integral_constantIbLb1EESW_IbLb0EEEEDaSS_ST_EUlSS_E_NS1_11comp_targetILNS1_3genE8ELNS1_11target_archE1030ELNS1_3gpuE2ELNS1_3repE0EEENS1_30default_config_static_selectorELNS0_4arch9wavefront6targetE1EEEvT1_ ; -- Begin function _ZN7rocprim17ROCPRIM_400000_NS6detail17trampoline_kernelINS0_14default_configENS1_20scan_config_selectorItEEZZNS1_9scan_implILNS1_25lookback_scan_determinismE0ELb1ELb1ES3_N6thrust23THRUST_200600_302600_NS6detail15normal_iteratorINS9_10device_ptrItEEEENS9_16discard_iteratorINS9_11use_defaultEEEt11max_functorItEtEEDaPvRmT3_T4_T5_mT6_P12ihipStream_tbENKUlT_T0_E_clISt17integral_constantIbLb1EESW_IbLb0EEEEDaSS_ST_EUlSS_E_NS1_11comp_targetILNS1_3genE8ELNS1_11target_archE1030ELNS1_3gpuE2ELNS1_3repE0EEENS1_30default_config_static_selectorELNS0_4arch9wavefront6targetE1EEEvT1_
	.globl	_ZN7rocprim17ROCPRIM_400000_NS6detail17trampoline_kernelINS0_14default_configENS1_20scan_config_selectorItEEZZNS1_9scan_implILNS1_25lookback_scan_determinismE0ELb1ELb1ES3_N6thrust23THRUST_200600_302600_NS6detail15normal_iteratorINS9_10device_ptrItEEEENS9_16discard_iteratorINS9_11use_defaultEEEt11max_functorItEtEEDaPvRmT3_T4_T5_mT6_P12ihipStream_tbENKUlT_T0_E_clISt17integral_constantIbLb1EESW_IbLb0EEEEDaSS_ST_EUlSS_E_NS1_11comp_targetILNS1_3genE8ELNS1_11target_archE1030ELNS1_3gpuE2ELNS1_3repE0EEENS1_30default_config_static_selectorELNS0_4arch9wavefront6targetE1EEEvT1_
	.p2align	8
	.type	_ZN7rocprim17ROCPRIM_400000_NS6detail17trampoline_kernelINS0_14default_configENS1_20scan_config_selectorItEEZZNS1_9scan_implILNS1_25lookback_scan_determinismE0ELb1ELb1ES3_N6thrust23THRUST_200600_302600_NS6detail15normal_iteratorINS9_10device_ptrItEEEENS9_16discard_iteratorINS9_11use_defaultEEEt11max_functorItEtEEDaPvRmT3_T4_T5_mT6_P12ihipStream_tbENKUlT_T0_E_clISt17integral_constantIbLb1EESW_IbLb0EEEEDaSS_ST_EUlSS_E_NS1_11comp_targetILNS1_3genE8ELNS1_11target_archE1030ELNS1_3gpuE2ELNS1_3repE0EEENS1_30default_config_static_selectorELNS0_4arch9wavefront6targetE1EEEvT1_,@function
_ZN7rocprim17ROCPRIM_400000_NS6detail17trampoline_kernelINS0_14default_configENS1_20scan_config_selectorItEEZZNS1_9scan_implILNS1_25lookback_scan_determinismE0ELb1ELb1ES3_N6thrust23THRUST_200600_302600_NS6detail15normal_iteratorINS9_10device_ptrItEEEENS9_16discard_iteratorINS9_11use_defaultEEEt11max_functorItEtEEDaPvRmT3_T4_T5_mT6_P12ihipStream_tbENKUlT_T0_E_clISt17integral_constantIbLb1EESW_IbLb0EEEEDaSS_ST_EUlSS_E_NS1_11comp_targetILNS1_3genE8ELNS1_11target_archE1030ELNS1_3gpuE2ELNS1_3repE0EEENS1_30default_config_static_selectorELNS0_4arch9wavefront6targetE1EEEvT1_: ; @_ZN7rocprim17ROCPRIM_400000_NS6detail17trampoline_kernelINS0_14default_configENS1_20scan_config_selectorItEEZZNS1_9scan_implILNS1_25lookback_scan_determinismE0ELb1ELb1ES3_N6thrust23THRUST_200600_302600_NS6detail15normal_iteratorINS9_10device_ptrItEEEENS9_16discard_iteratorINS9_11use_defaultEEEt11max_functorItEtEEDaPvRmT3_T4_T5_mT6_P12ihipStream_tbENKUlT_T0_E_clISt17integral_constantIbLb1EESW_IbLb0EEEEDaSS_ST_EUlSS_E_NS1_11comp_targetILNS1_3genE8ELNS1_11target_archE1030ELNS1_3gpuE2ELNS1_3repE0EEENS1_30default_config_static_selectorELNS0_4arch9wavefront6targetE1EEEvT1_
; %bb.0:
	.section	.rodata,"a",@progbits
	.p2align	6, 0x0
	.amdhsa_kernel _ZN7rocprim17ROCPRIM_400000_NS6detail17trampoline_kernelINS0_14default_configENS1_20scan_config_selectorItEEZZNS1_9scan_implILNS1_25lookback_scan_determinismE0ELb1ELb1ES3_N6thrust23THRUST_200600_302600_NS6detail15normal_iteratorINS9_10device_ptrItEEEENS9_16discard_iteratorINS9_11use_defaultEEEt11max_functorItEtEEDaPvRmT3_T4_T5_mT6_P12ihipStream_tbENKUlT_T0_E_clISt17integral_constantIbLb1EESW_IbLb0EEEEDaSS_ST_EUlSS_E_NS1_11comp_targetILNS1_3genE8ELNS1_11target_archE1030ELNS1_3gpuE2ELNS1_3repE0EEENS1_30default_config_static_selectorELNS0_4arch9wavefront6targetE1EEEvT1_
		.amdhsa_group_segment_fixed_size 0
		.amdhsa_private_segment_fixed_size 0
		.amdhsa_kernarg_size 104
		.amdhsa_user_sgpr_count 6
		.amdhsa_user_sgpr_private_segment_buffer 1
		.amdhsa_user_sgpr_dispatch_ptr 0
		.amdhsa_user_sgpr_queue_ptr 0
		.amdhsa_user_sgpr_kernarg_segment_ptr 1
		.amdhsa_user_sgpr_dispatch_id 0
		.amdhsa_user_sgpr_flat_scratch_init 0
		.amdhsa_user_sgpr_kernarg_preload_length 0
		.amdhsa_user_sgpr_kernarg_preload_offset 0
		.amdhsa_user_sgpr_private_segment_size 0
		.amdhsa_uses_dynamic_stack 0
		.amdhsa_system_sgpr_private_segment_wavefront_offset 0
		.amdhsa_system_sgpr_workgroup_id_x 1
		.amdhsa_system_sgpr_workgroup_id_y 0
		.amdhsa_system_sgpr_workgroup_id_z 0
		.amdhsa_system_sgpr_workgroup_info 0
		.amdhsa_system_vgpr_workitem_id 0
		.amdhsa_next_free_vgpr 1
		.amdhsa_next_free_sgpr 0
		.amdhsa_accum_offset 4
		.amdhsa_reserve_vcc 0
		.amdhsa_reserve_flat_scratch 0
		.amdhsa_float_round_mode_32 0
		.amdhsa_float_round_mode_16_64 0
		.amdhsa_float_denorm_mode_32 3
		.amdhsa_float_denorm_mode_16_64 3
		.amdhsa_dx10_clamp 1
		.amdhsa_ieee_mode 1
		.amdhsa_fp16_overflow 0
		.amdhsa_tg_split 0
		.amdhsa_exception_fp_ieee_invalid_op 0
		.amdhsa_exception_fp_denorm_src 0
		.amdhsa_exception_fp_ieee_div_zero 0
		.amdhsa_exception_fp_ieee_overflow 0
		.amdhsa_exception_fp_ieee_underflow 0
		.amdhsa_exception_fp_ieee_inexact 0
		.amdhsa_exception_int_div_zero 0
	.end_amdhsa_kernel
	.section	.text._ZN7rocprim17ROCPRIM_400000_NS6detail17trampoline_kernelINS0_14default_configENS1_20scan_config_selectorItEEZZNS1_9scan_implILNS1_25lookback_scan_determinismE0ELb1ELb1ES3_N6thrust23THRUST_200600_302600_NS6detail15normal_iteratorINS9_10device_ptrItEEEENS9_16discard_iteratorINS9_11use_defaultEEEt11max_functorItEtEEDaPvRmT3_T4_T5_mT6_P12ihipStream_tbENKUlT_T0_E_clISt17integral_constantIbLb1EESW_IbLb0EEEEDaSS_ST_EUlSS_E_NS1_11comp_targetILNS1_3genE8ELNS1_11target_archE1030ELNS1_3gpuE2ELNS1_3repE0EEENS1_30default_config_static_selectorELNS0_4arch9wavefront6targetE1EEEvT1_,"axG",@progbits,_ZN7rocprim17ROCPRIM_400000_NS6detail17trampoline_kernelINS0_14default_configENS1_20scan_config_selectorItEEZZNS1_9scan_implILNS1_25lookback_scan_determinismE0ELb1ELb1ES3_N6thrust23THRUST_200600_302600_NS6detail15normal_iteratorINS9_10device_ptrItEEEENS9_16discard_iteratorINS9_11use_defaultEEEt11max_functorItEtEEDaPvRmT3_T4_T5_mT6_P12ihipStream_tbENKUlT_T0_E_clISt17integral_constantIbLb1EESW_IbLb0EEEEDaSS_ST_EUlSS_E_NS1_11comp_targetILNS1_3genE8ELNS1_11target_archE1030ELNS1_3gpuE2ELNS1_3repE0EEENS1_30default_config_static_selectorELNS0_4arch9wavefront6targetE1EEEvT1_,comdat
.Lfunc_end3682:
	.size	_ZN7rocprim17ROCPRIM_400000_NS6detail17trampoline_kernelINS0_14default_configENS1_20scan_config_selectorItEEZZNS1_9scan_implILNS1_25lookback_scan_determinismE0ELb1ELb1ES3_N6thrust23THRUST_200600_302600_NS6detail15normal_iteratorINS9_10device_ptrItEEEENS9_16discard_iteratorINS9_11use_defaultEEEt11max_functorItEtEEDaPvRmT3_T4_T5_mT6_P12ihipStream_tbENKUlT_T0_E_clISt17integral_constantIbLb1EESW_IbLb0EEEEDaSS_ST_EUlSS_E_NS1_11comp_targetILNS1_3genE8ELNS1_11target_archE1030ELNS1_3gpuE2ELNS1_3repE0EEENS1_30default_config_static_selectorELNS0_4arch9wavefront6targetE1EEEvT1_, .Lfunc_end3682-_ZN7rocprim17ROCPRIM_400000_NS6detail17trampoline_kernelINS0_14default_configENS1_20scan_config_selectorItEEZZNS1_9scan_implILNS1_25lookback_scan_determinismE0ELb1ELb1ES3_N6thrust23THRUST_200600_302600_NS6detail15normal_iteratorINS9_10device_ptrItEEEENS9_16discard_iteratorINS9_11use_defaultEEEt11max_functorItEtEEDaPvRmT3_T4_T5_mT6_P12ihipStream_tbENKUlT_T0_E_clISt17integral_constantIbLb1EESW_IbLb0EEEEDaSS_ST_EUlSS_E_NS1_11comp_targetILNS1_3genE8ELNS1_11target_archE1030ELNS1_3gpuE2ELNS1_3repE0EEENS1_30default_config_static_selectorELNS0_4arch9wavefront6targetE1EEEvT1_
                                        ; -- End function
	.section	.AMDGPU.csdata,"",@progbits
; Kernel info:
; codeLenInByte = 0
; NumSgprs: 4
; NumVgprs: 0
; NumAgprs: 0
; TotalNumVgprs: 0
; ScratchSize: 0
; MemoryBound: 0
; FloatMode: 240
; IeeeMode: 1
; LDSByteSize: 0 bytes/workgroup (compile time only)
; SGPRBlocks: 0
; VGPRBlocks: 0
; NumSGPRsForWavesPerEU: 4
; NumVGPRsForWavesPerEU: 1
; AccumOffset: 4
; Occupancy: 8
; WaveLimiterHint : 0
; COMPUTE_PGM_RSRC2:SCRATCH_EN: 0
; COMPUTE_PGM_RSRC2:USER_SGPR: 6
; COMPUTE_PGM_RSRC2:TRAP_HANDLER: 0
; COMPUTE_PGM_RSRC2:TGID_X_EN: 1
; COMPUTE_PGM_RSRC2:TGID_Y_EN: 0
; COMPUTE_PGM_RSRC2:TGID_Z_EN: 0
; COMPUTE_PGM_RSRC2:TIDIG_COMP_CNT: 0
; COMPUTE_PGM_RSRC3_GFX90A:ACCUM_OFFSET: 0
; COMPUTE_PGM_RSRC3_GFX90A:TG_SPLIT: 0
	.section	.text._ZN7rocprim17ROCPRIM_400000_NS6detail17trampoline_kernelINS0_14default_configENS1_20scan_config_selectorItEEZZNS1_9scan_implILNS1_25lookback_scan_determinismE0ELb1ELb1ES3_N6thrust23THRUST_200600_302600_NS6detail15normal_iteratorINS9_10device_ptrItEEEENS9_16discard_iteratorINS9_11use_defaultEEEt11max_functorItEtEEDaPvRmT3_T4_T5_mT6_P12ihipStream_tbENKUlT_T0_E_clISt17integral_constantIbLb1EESW_IbLb0EEEEDaSS_ST_EUlSS_E0_NS1_11comp_targetILNS1_3genE0ELNS1_11target_archE4294967295ELNS1_3gpuE0ELNS1_3repE0EEENS1_30default_config_static_selectorELNS0_4arch9wavefront6targetE1EEEvT1_,"axG",@progbits,_ZN7rocprim17ROCPRIM_400000_NS6detail17trampoline_kernelINS0_14default_configENS1_20scan_config_selectorItEEZZNS1_9scan_implILNS1_25lookback_scan_determinismE0ELb1ELb1ES3_N6thrust23THRUST_200600_302600_NS6detail15normal_iteratorINS9_10device_ptrItEEEENS9_16discard_iteratorINS9_11use_defaultEEEt11max_functorItEtEEDaPvRmT3_T4_T5_mT6_P12ihipStream_tbENKUlT_T0_E_clISt17integral_constantIbLb1EESW_IbLb0EEEEDaSS_ST_EUlSS_E0_NS1_11comp_targetILNS1_3genE0ELNS1_11target_archE4294967295ELNS1_3gpuE0ELNS1_3repE0EEENS1_30default_config_static_selectorELNS0_4arch9wavefront6targetE1EEEvT1_,comdat
	.protected	_ZN7rocprim17ROCPRIM_400000_NS6detail17trampoline_kernelINS0_14default_configENS1_20scan_config_selectorItEEZZNS1_9scan_implILNS1_25lookback_scan_determinismE0ELb1ELb1ES3_N6thrust23THRUST_200600_302600_NS6detail15normal_iteratorINS9_10device_ptrItEEEENS9_16discard_iteratorINS9_11use_defaultEEEt11max_functorItEtEEDaPvRmT3_T4_T5_mT6_P12ihipStream_tbENKUlT_T0_E_clISt17integral_constantIbLb1EESW_IbLb0EEEEDaSS_ST_EUlSS_E0_NS1_11comp_targetILNS1_3genE0ELNS1_11target_archE4294967295ELNS1_3gpuE0ELNS1_3repE0EEENS1_30default_config_static_selectorELNS0_4arch9wavefront6targetE1EEEvT1_ ; -- Begin function _ZN7rocprim17ROCPRIM_400000_NS6detail17trampoline_kernelINS0_14default_configENS1_20scan_config_selectorItEEZZNS1_9scan_implILNS1_25lookback_scan_determinismE0ELb1ELb1ES3_N6thrust23THRUST_200600_302600_NS6detail15normal_iteratorINS9_10device_ptrItEEEENS9_16discard_iteratorINS9_11use_defaultEEEt11max_functorItEtEEDaPvRmT3_T4_T5_mT6_P12ihipStream_tbENKUlT_T0_E_clISt17integral_constantIbLb1EESW_IbLb0EEEEDaSS_ST_EUlSS_E0_NS1_11comp_targetILNS1_3genE0ELNS1_11target_archE4294967295ELNS1_3gpuE0ELNS1_3repE0EEENS1_30default_config_static_selectorELNS0_4arch9wavefront6targetE1EEEvT1_
	.globl	_ZN7rocprim17ROCPRIM_400000_NS6detail17trampoline_kernelINS0_14default_configENS1_20scan_config_selectorItEEZZNS1_9scan_implILNS1_25lookback_scan_determinismE0ELb1ELb1ES3_N6thrust23THRUST_200600_302600_NS6detail15normal_iteratorINS9_10device_ptrItEEEENS9_16discard_iteratorINS9_11use_defaultEEEt11max_functorItEtEEDaPvRmT3_T4_T5_mT6_P12ihipStream_tbENKUlT_T0_E_clISt17integral_constantIbLb1EESW_IbLb0EEEEDaSS_ST_EUlSS_E0_NS1_11comp_targetILNS1_3genE0ELNS1_11target_archE4294967295ELNS1_3gpuE0ELNS1_3repE0EEENS1_30default_config_static_selectorELNS0_4arch9wavefront6targetE1EEEvT1_
	.p2align	8
	.type	_ZN7rocprim17ROCPRIM_400000_NS6detail17trampoline_kernelINS0_14default_configENS1_20scan_config_selectorItEEZZNS1_9scan_implILNS1_25lookback_scan_determinismE0ELb1ELb1ES3_N6thrust23THRUST_200600_302600_NS6detail15normal_iteratorINS9_10device_ptrItEEEENS9_16discard_iteratorINS9_11use_defaultEEEt11max_functorItEtEEDaPvRmT3_T4_T5_mT6_P12ihipStream_tbENKUlT_T0_E_clISt17integral_constantIbLb1EESW_IbLb0EEEEDaSS_ST_EUlSS_E0_NS1_11comp_targetILNS1_3genE0ELNS1_11target_archE4294967295ELNS1_3gpuE0ELNS1_3repE0EEENS1_30default_config_static_selectorELNS0_4arch9wavefront6targetE1EEEvT1_,@function
_ZN7rocprim17ROCPRIM_400000_NS6detail17trampoline_kernelINS0_14default_configENS1_20scan_config_selectorItEEZZNS1_9scan_implILNS1_25lookback_scan_determinismE0ELb1ELb1ES3_N6thrust23THRUST_200600_302600_NS6detail15normal_iteratorINS9_10device_ptrItEEEENS9_16discard_iteratorINS9_11use_defaultEEEt11max_functorItEtEEDaPvRmT3_T4_T5_mT6_P12ihipStream_tbENKUlT_T0_E_clISt17integral_constantIbLb1EESW_IbLb0EEEEDaSS_ST_EUlSS_E0_NS1_11comp_targetILNS1_3genE0ELNS1_11target_archE4294967295ELNS1_3gpuE0ELNS1_3repE0EEENS1_30default_config_static_selectorELNS0_4arch9wavefront6targetE1EEEvT1_: ; @_ZN7rocprim17ROCPRIM_400000_NS6detail17trampoline_kernelINS0_14default_configENS1_20scan_config_selectorItEEZZNS1_9scan_implILNS1_25lookback_scan_determinismE0ELb1ELb1ES3_N6thrust23THRUST_200600_302600_NS6detail15normal_iteratorINS9_10device_ptrItEEEENS9_16discard_iteratorINS9_11use_defaultEEEt11max_functorItEtEEDaPvRmT3_T4_T5_mT6_P12ihipStream_tbENKUlT_T0_E_clISt17integral_constantIbLb1EESW_IbLb0EEEEDaSS_ST_EUlSS_E0_NS1_11comp_targetILNS1_3genE0ELNS1_11target_archE4294967295ELNS1_3gpuE0ELNS1_3repE0EEENS1_30default_config_static_selectorELNS0_4arch9wavefront6targetE1EEEvT1_
; %bb.0:
	.section	.rodata,"a",@progbits
	.p2align	6, 0x0
	.amdhsa_kernel _ZN7rocprim17ROCPRIM_400000_NS6detail17trampoline_kernelINS0_14default_configENS1_20scan_config_selectorItEEZZNS1_9scan_implILNS1_25lookback_scan_determinismE0ELb1ELb1ES3_N6thrust23THRUST_200600_302600_NS6detail15normal_iteratorINS9_10device_ptrItEEEENS9_16discard_iteratorINS9_11use_defaultEEEt11max_functorItEtEEDaPvRmT3_T4_T5_mT6_P12ihipStream_tbENKUlT_T0_E_clISt17integral_constantIbLb1EESW_IbLb0EEEEDaSS_ST_EUlSS_E0_NS1_11comp_targetILNS1_3genE0ELNS1_11target_archE4294967295ELNS1_3gpuE0ELNS1_3repE0EEENS1_30default_config_static_selectorELNS0_4arch9wavefront6targetE1EEEvT1_
		.amdhsa_group_segment_fixed_size 0
		.amdhsa_private_segment_fixed_size 0
		.amdhsa_kernarg_size 40
		.amdhsa_user_sgpr_count 6
		.amdhsa_user_sgpr_private_segment_buffer 1
		.amdhsa_user_sgpr_dispatch_ptr 0
		.amdhsa_user_sgpr_queue_ptr 0
		.amdhsa_user_sgpr_kernarg_segment_ptr 1
		.amdhsa_user_sgpr_dispatch_id 0
		.amdhsa_user_sgpr_flat_scratch_init 0
		.amdhsa_user_sgpr_kernarg_preload_length 0
		.amdhsa_user_sgpr_kernarg_preload_offset 0
		.amdhsa_user_sgpr_private_segment_size 0
		.amdhsa_uses_dynamic_stack 0
		.amdhsa_system_sgpr_private_segment_wavefront_offset 0
		.amdhsa_system_sgpr_workgroup_id_x 1
		.amdhsa_system_sgpr_workgroup_id_y 0
		.amdhsa_system_sgpr_workgroup_id_z 0
		.amdhsa_system_sgpr_workgroup_info 0
		.amdhsa_system_vgpr_workitem_id 0
		.amdhsa_next_free_vgpr 1
		.amdhsa_next_free_sgpr 0
		.amdhsa_accum_offset 4
		.amdhsa_reserve_vcc 0
		.amdhsa_reserve_flat_scratch 0
		.amdhsa_float_round_mode_32 0
		.amdhsa_float_round_mode_16_64 0
		.amdhsa_float_denorm_mode_32 3
		.amdhsa_float_denorm_mode_16_64 3
		.amdhsa_dx10_clamp 1
		.amdhsa_ieee_mode 1
		.amdhsa_fp16_overflow 0
		.amdhsa_tg_split 0
		.amdhsa_exception_fp_ieee_invalid_op 0
		.amdhsa_exception_fp_denorm_src 0
		.amdhsa_exception_fp_ieee_div_zero 0
		.amdhsa_exception_fp_ieee_overflow 0
		.amdhsa_exception_fp_ieee_underflow 0
		.amdhsa_exception_fp_ieee_inexact 0
		.amdhsa_exception_int_div_zero 0
	.end_amdhsa_kernel
	.section	.text._ZN7rocprim17ROCPRIM_400000_NS6detail17trampoline_kernelINS0_14default_configENS1_20scan_config_selectorItEEZZNS1_9scan_implILNS1_25lookback_scan_determinismE0ELb1ELb1ES3_N6thrust23THRUST_200600_302600_NS6detail15normal_iteratorINS9_10device_ptrItEEEENS9_16discard_iteratorINS9_11use_defaultEEEt11max_functorItEtEEDaPvRmT3_T4_T5_mT6_P12ihipStream_tbENKUlT_T0_E_clISt17integral_constantIbLb1EESW_IbLb0EEEEDaSS_ST_EUlSS_E0_NS1_11comp_targetILNS1_3genE0ELNS1_11target_archE4294967295ELNS1_3gpuE0ELNS1_3repE0EEENS1_30default_config_static_selectorELNS0_4arch9wavefront6targetE1EEEvT1_,"axG",@progbits,_ZN7rocprim17ROCPRIM_400000_NS6detail17trampoline_kernelINS0_14default_configENS1_20scan_config_selectorItEEZZNS1_9scan_implILNS1_25lookback_scan_determinismE0ELb1ELb1ES3_N6thrust23THRUST_200600_302600_NS6detail15normal_iteratorINS9_10device_ptrItEEEENS9_16discard_iteratorINS9_11use_defaultEEEt11max_functorItEtEEDaPvRmT3_T4_T5_mT6_P12ihipStream_tbENKUlT_T0_E_clISt17integral_constantIbLb1EESW_IbLb0EEEEDaSS_ST_EUlSS_E0_NS1_11comp_targetILNS1_3genE0ELNS1_11target_archE4294967295ELNS1_3gpuE0ELNS1_3repE0EEENS1_30default_config_static_selectorELNS0_4arch9wavefront6targetE1EEEvT1_,comdat
.Lfunc_end3683:
	.size	_ZN7rocprim17ROCPRIM_400000_NS6detail17trampoline_kernelINS0_14default_configENS1_20scan_config_selectorItEEZZNS1_9scan_implILNS1_25lookback_scan_determinismE0ELb1ELb1ES3_N6thrust23THRUST_200600_302600_NS6detail15normal_iteratorINS9_10device_ptrItEEEENS9_16discard_iteratorINS9_11use_defaultEEEt11max_functorItEtEEDaPvRmT3_T4_T5_mT6_P12ihipStream_tbENKUlT_T0_E_clISt17integral_constantIbLb1EESW_IbLb0EEEEDaSS_ST_EUlSS_E0_NS1_11comp_targetILNS1_3genE0ELNS1_11target_archE4294967295ELNS1_3gpuE0ELNS1_3repE0EEENS1_30default_config_static_selectorELNS0_4arch9wavefront6targetE1EEEvT1_, .Lfunc_end3683-_ZN7rocprim17ROCPRIM_400000_NS6detail17trampoline_kernelINS0_14default_configENS1_20scan_config_selectorItEEZZNS1_9scan_implILNS1_25lookback_scan_determinismE0ELb1ELb1ES3_N6thrust23THRUST_200600_302600_NS6detail15normal_iteratorINS9_10device_ptrItEEEENS9_16discard_iteratorINS9_11use_defaultEEEt11max_functorItEtEEDaPvRmT3_T4_T5_mT6_P12ihipStream_tbENKUlT_T0_E_clISt17integral_constantIbLb1EESW_IbLb0EEEEDaSS_ST_EUlSS_E0_NS1_11comp_targetILNS1_3genE0ELNS1_11target_archE4294967295ELNS1_3gpuE0ELNS1_3repE0EEENS1_30default_config_static_selectorELNS0_4arch9wavefront6targetE1EEEvT1_
                                        ; -- End function
	.section	.AMDGPU.csdata,"",@progbits
; Kernel info:
; codeLenInByte = 0
; NumSgprs: 4
; NumVgprs: 0
; NumAgprs: 0
; TotalNumVgprs: 0
; ScratchSize: 0
; MemoryBound: 0
; FloatMode: 240
; IeeeMode: 1
; LDSByteSize: 0 bytes/workgroup (compile time only)
; SGPRBlocks: 0
; VGPRBlocks: 0
; NumSGPRsForWavesPerEU: 4
; NumVGPRsForWavesPerEU: 1
; AccumOffset: 4
; Occupancy: 8
; WaveLimiterHint : 0
; COMPUTE_PGM_RSRC2:SCRATCH_EN: 0
; COMPUTE_PGM_RSRC2:USER_SGPR: 6
; COMPUTE_PGM_RSRC2:TRAP_HANDLER: 0
; COMPUTE_PGM_RSRC2:TGID_X_EN: 1
; COMPUTE_PGM_RSRC2:TGID_Y_EN: 0
; COMPUTE_PGM_RSRC2:TGID_Z_EN: 0
; COMPUTE_PGM_RSRC2:TIDIG_COMP_CNT: 0
; COMPUTE_PGM_RSRC3_GFX90A:ACCUM_OFFSET: 0
; COMPUTE_PGM_RSRC3_GFX90A:TG_SPLIT: 0
	.section	.text._ZN7rocprim17ROCPRIM_400000_NS6detail17trampoline_kernelINS0_14default_configENS1_20scan_config_selectorItEEZZNS1_9scan_implILNS1_25lookback_scan_determinismE0ELb1ELb1ES3_N6thrust23THRUST_200600_302600_NS6detail15normal_iteratorINS9_10device_ptrItEEEENS9_16discard_iteratorINS9_11use_defaultEEEt11max_functorItEtEEDaPvRmT3_T4_T5_mT6_P12ihipStream_tbENKUlT_T0_E_clISt17integral_constantIbLb1EESW_IbLb0EEEEDaSS_ST_EUlSS_E0_NS1_11comp_targetILNS1_3genE5ELNS1_11target_archE942ELNS1_3gpuE9ELNS1_3repE0EEENS1_30default_config_static_selectorELNS0_4arch9wavefront6targetE1EEEvT1_,"axG",@progbits,_ZN7rocprim17ROCPRIM_400000_NS6detail17trampoline_kernelINS0_14default_configENS1_20scan_config_selectorItEEZZNS1_9scan_implILNS1_25lookback_scan_determinismE0ELb1ELb1ES3_N6thrust23THRUST_200600_302600_NS6detail15normal_iteratorINS9_10device_ptrItEEEENS9_16discard_iteratorINS9_11use_defaultEEEt11max_functorItEtEEDaPvRmT3_T4_T5_mT6_P12ihipStream_tbENKUlT_T0_E_clISt17integral_constantIbLb1EESW_IbLb0EEEEDaSS_ST_EUlSS_E0_NS1_11comp_targetILNS1_3genE5ELNS1_11target_archE942ELNS1_3gpuE9ELNS1_3repE0EEENS1_30default_config_static_selectorELNS0_4arch9wavefront6targetE1EEEvT1_,comdat
	.protected	_ZN7rocprim17ROCPRIM_400000_NS6detail17trampoline_kernelINS0_14default_configENS1_20scan_config_selectorItEEZZNS1_9scan_implILNS1_25lookback_scan_determinismE0ELb1ELb1ES3_N6thrust23THRUST_200600_302600_NS6detail15normal_iteratorINS9_10device_ptrItEEEENS9_16discard_iteratorINS9_11use_defaultEEEt11max_functorItEtEEDaPvRmT3_T4_T5_mT6_P12ihipStream_tbENKUlT_T0_E_clISt17integral_constantIbLb1EESW_IbLb0EEEEDaSS_ST_EUlSS_E0_NS1_11comp_targetILNS1_3genE5ELNS1_11target_archE942ELNS1_3gpuE9ELNS1_3repE0EEENS1_30default_config_static_selectorELNS0_4arch9wavefront6targetE1EEEvT1_ ; -- Begin function _ZN7rocprim17ROCPRIM_400000_NS6detail17trampoline_kernelINS0_14default_configENS1_20scan_config_selectorItEEZZNS1_9scan_implILNS1_25lookback_scan_determinismE0ELb1ELb1ES3_N6thrust23THRUST_200600_302600_NS6detail15normal_iteratorINS9_10device_ptrItEEEENS9_16discard_iteratorINS9_11use_defaultEEEt11max_functorItEtEEDaPvRmT3_T4_T5_mT6_P12ihipStream_tbENKUlT_T0_E_clISt17integral_constantIbLb1EESW_IbLb0EEEEDaSS_ST_EUlSS_E0_NS1_11comp_targetILNS1_3genE5ELNS1_11target_archE942ELNS1_3gpuE9ELNS1_3repE0EEENS1_30default_config_static_selectorELNS0_4arch9wavefront6targetE1EEEvT1_
	.globl	_ZN7rocprim17ROCPRIM_400000_NS6detail17trampoline_kernelINS0_14default_configENS1_20scan_config_selectorItEEZZNS1_9scan_implILNS1_25lookback_scan_determinismE0ELb1ELb1ES3_N6thrust23THRUST_200600_302600_NS6detail15normal_iteratorINS9_10device_ptrItEEEENS9_16discard_iteratorINS9_11use_defaultEEEt11max_functorItEtEEDaPvRmT3_T4_T5_mT6_P12ihipStream_tbENKUlT_T0_E_clISt17integral_constantIbLb1EESW_IbLb0EEEEDaSS_ST_EUlSS_E0_NS1_11comp_targetILNS1_3genE5ELNS1_11target_archE942ELNS1_3gpuE9ELNS1_3repE0EEENS1_30default_config_static_selectorELNS0_4arch9wavefront6targetE1EEEvT1_
	.p2align	8
	.type	_ZN7rocprim17ROCPRIM_400000_NS6detail17trampoline_kernelINS0_14default_configENS1_20scan_config_selectorItEEZZNS1_9scan_implILNS1_25lookback_scan_determinismE0ELb1ELb1ES3_N6thrust23THRUST_200600_302600_NS6detail15normal_iteratorINS9_10device_ptrItEEEENS9_16discard_iteratorINS9_11use_defaultEEEt11max_functorItEtEEDaPvRmT3_T4_T5_mT6_P12ihipStream_tbENKUlT_T0_E_clISt17integral_constantIbLb1EESW_IbLb0EEEEDaSS_ST_EUlSS_E0_NS1_11comp_targetILNS1_3genE5ELNS1_11target_archE942ELNS1_3gpuE9ELNS1_3repE0EEENS1_30default_config_static_selectorELNS0_4arch9wavefront6targetE1EEEvT1_,@function
_ZN7rocprim17ROCPRIM_400000_NS6detail17trampoline_kernelINS0_14default_configENS1_20scan_config_selectorItEEZZNS1_9scan_implILNS1_25lookback_scan_determinismE0ELb1ELb1ES3_N6thrust23THRUST_200600_302600_NS6detail15normal_iteratorINS9_10device_ptrItEEEENS9_16discard_iteratorINS9_11use_defaultEEEt11max_functorItEtEEDaPvRmT3_T4_T5_mT6_P12ihipStream_tbENKUlT_T0_E_clISt17integral_constantIbLb1EESW_IbLb0EEEEDaSS_ST_EUlSS_E0_NS1_11comp_targetILNS1_3genE5ELNS1_11target_archE942ELNS1_3gpuE9ELNS1_3repE0EEENS1_30default_config_static_selectorELNS0_4arch9wavefront6targetE1EEEvT1_: ; @_ZN7rocprim17ROCPRIM_400000_NS6detail17trampoline_kernelINS0_14default_configENS1_20scan_config_selectorItEEZZNS1_9scan_implILNS1_25lookback_scan_determinismE0ELb1ELb1ES3_N6thrust23THRUST_200600_302600_NS6detail15normal_iteratorINS9_10device_ptrItEEEENS9_16discard_iteratorINS9_11use_defaultEEEt11max_functorItEtEEDaPvRmT3_T4_T5_mT6_P12ihipStream_tbENKUlT_T0_E_clISt17integral_constantIbLb1EESW_IbLb0EEEEDaSS_ST_EUlSS_E0_NS1_11comp_targetILNS1_3genE5ELNS1_11target_archE942ELNS1_3gpuE9ELNS1_3repE0EEENS1_30default_config_static_selectorELNS0_4arch9wavefront6targetE1EEEvT1_
; %bb.0:
	.section	.rodata,"a",@progbits
	.p2align	6, 0x0
	.amdhsa_kernel _ZN7rocprim17ROCPRIM_400000_NS6detail17trampoline_kernelINS0_14default_configENS1_20scan_config_selectorItEEZZNS1_9scan_implILNS1_25lookback_scan_determinismE0ELb1ELb1ES3_N6thrust23THRUST_200600_302600_NS6detail15normal_iteratorINS9_10device_ptrItEEEENS9_16discard_iteratorINS9_11use_defaultEEEt11max_functorItEtEEDaPvRmT3_T4_T5_mT6_P12ihipStream_tbENKUlT_T0_E_clISt17integral_constantIbLb1EESW_IbLb0EEEEDaSS_ST_EUlSS_E0_NS1_11comp_targetILNS1_3genE5ELNS1_11target_archE942ELNS1_3gpuE9ELNS1_3repE0EEENS1_30default_config_static_selectorELNS0_4arch9wavefront6targetE1EEEvT1_
		.amdhsa_group_segment_fixed_size 0
		.amdhsa_private_segment_fixed_size 0
		.amdhsa_kernarg_size 40
		.amdhsa_user_sgpr_count 6
		.amdhsa_user_sgpr_private_segment_buffer 1
		.amdhsa_user_sgpr_dispatch_ptr 0
		.amdhsa_user_sgpr_queue_ptr 0
		.amdhsa_user_sgpr_kernarg_segment_ptr 1
		.amdhsa_user_sgpr_dispatch_id 0
		.amdhsa_user_sgpr_flat_scratch_init 0
		.amdhsa_user_sgpr_kernarg_preload_length 0
		.amdhsa_user_sgpr_kernarg_preload_offset 0
		.amdhsa_user_sgpr_private_segment_size 0
		.amdhsa_uses_dynamic_stack 0
		.amdhsa_system_sgpr_private_segment_wavefront_offset 0
		.amdhsa_system_sgpr_workgroup_id_x 1
		.amdhsa_system_sgpr_workgroup_id_y 0
		.amdhsa_system_sgpr_workgroup_id_z 0
		.amdhsa_system_sgpr_workgroup_info 0
		.amdhsa_system_vgpr_workitem_id 0
		.amdhsa_next_free_vgpr 1
		.amdhsa_next_free_sgpr 0
		.amdhsa_accum_offset 4
		.amdhsa_reserve_vcc 0
		.amdhsa_reserve_flat_scratch 0
		.amdhsa_float_round_mode_32 0
		.amdhsa_float_round_mode_16_64 0
		.amdhsa_float_denorm_mode_32 3
		.amdhsa_float_denorm_mode_16_64 3
		.amdhsa_dx10_clamp 1
		.amdhsa_ieee_mode 1
		.amdhsa_fp16_overflow 0
		.amdhsa_tg_split 0
		.amdhsa_exception_fp_ieee_invalid_op 0
		.amdhsa_exception_fp_denorm_src 0
		.amdhsa_exception_fp_ieee_div_zero 0
		.amdhsa_exception_fp_ieee_overflow 0
		.amdhsa_exception_fp_ieee_underflow 0
		.amdhsa_exception_fp_ieee_inexact 0
		.amdhsa_exception_int_div_zero 0
	.end_amdhsa_kernel
	.section	.text._ZN7rocprim17ROCPRIM_400000_NS6detail17trampoline_kernelINS0_14default_configENS1_20scan_config_selectorItEEZZNS1_9scan_implILNS1_25lookback_scan_determinismE0ELb1ELb1ES3_N6thrust23THRUST_200600_302600_NS6detail15normal_iteratorINS9_10device_ptrItEEEENS9_16discard_iteratorINS9_11use_defaultEEEt11max_functorItEtEEDaPvRmT3_T4_T5_mT6_P12ihipStream_tbENKUlT_T0_E_clISt17integral_constantIbLb1EESW_IbLb0EEEEDaSS_ST_EUlSS_E0_NS1_11comp_targetILNS1_3genE5ELNS1_11target_archE942ELNS1_3gpuE9ELNS1_3repE0EEENS1_30default_config_static_selectorELNS0_4arch9wavefront6targetE1EEEvT1_,"axG",@progbits,_ZN7rocprim17ROCPRIM_400000_NS6detail17trampoline_kernelINS0_14default_configENS1_20scan_config_selectorItEEZZNS1_9scan_implILNS1_25lookback_scan_determinismE0ELb1ELb1ES3_N6thrust23THRUST_200600_302600_NS6detail15normal_iteratorINS9_10device_ptrItEEEENS9_16discard_iteratorINS9_11use_defaultEEEt11max_functorItEtEEDaPvRmT3_T4_T5_mT6_P12ihipStream_tbENKUlT_T0_E_clISt17integral_constantIbLb1EESW_IbLb0EEEEDaSS_ST_EUlSS_E0_NS1_11comp_targetILNS1_3genE5ELNS1_11target_archE942ELNS1_3gpuE9ELNS1_3repE0EEENS1_30default_config_static_selectorELNS0_4arch9wavefront6targetE1EEEvT1_,comdat
.Lfunc_end3684:
	.size	_ZN7rocprim17ROCPRIM_400000_NS6detail17trampoline_kernelINS0_14default_configENS1_20scan_config_selectorItEEZZNS1_9scan_implILNS1_25lookback_scan_determinismE0ELb1ELb1ES3_N6thrust23THRUST_200600_302600_NS6detail15normal_iteratorINS9_10device_ptrItEEEENS9_16discard_iteratorINS9_11use_defaultEEEt11max_functorItEtEEDaPvRmT3_T4_T5_mT6_P12ihipStream_tbENKUlT_T0_E_clISt17integral_constantIbLb1EESW_IbLb0EEEEDaSS_ST_EUlSS_E0_NS1_11comp_targetILNS1_3genE5ELNS1_11target_archE942ELNS1_3gpuE9ELNS1_3repE0EEENS1_30default_config_static_selectorELNS0_4arch9wavefront6targetE1EEEvT1_, .Lfunc_end3684-_ZN7rocprim17ROCPRIM_400000_NS6detail17trampoline_kernelINS0_14default_configENS1_20scan_config_selectorItEEZZNS1_9scan_implILNS1_25lookback_scan_determinismE0ELb1ELb1ES3_N6thrust23THRUST_200600_302600_NS6detail15normal_iteratorINS9_10device_ptrItEEEENS9_16discard_iteratorINS9_11use_defaultEEEt11max_functorItEtEEDaPvRmT3_T4_T5_mT6_P12ihipStream_tbENKUlT_T0_E_clISt17integral_constantIbLb1EESW_IbLb0EEEEDaSS_ST_EUlSS_E0_NS1_11comp_targetILNS1_3genE5ELNS1_11target_archE942ELNS1_3gpuE9ELNS1_3repE0EEENS1_30default_config_static_selectorELNS0_4arch9wavefront6targetE1EEEvT1_
                                        ; -- End function
	.section	.AMDGPU.csdata,"",@progbits
; Kernel info:
; codeLenInByte = 0
; NumSgprs: 4
; NumVgprs: 0
; NumAgprs: 0
; TotalNumVgprs: 0
; ScratchSize: 0
; MemoryBound: 0
; FloatMode: 240
; IeeeMode: 1
; LDSByteSize: 0 bytes/workgroup (compile time only)
; SGPRBlocks: 0
; VGPRBlocks: 0
; NumSGPRsForWavesPerEU: 4
; NumVGPRsForWavesPerEU: 1
; AccumOffset: 4
; Occupancy: 8
; WaveLimiterHint : 0
; COMPUTE_PGM_RSRC2:SCRATCH_EN: 0
; COMPUTE_PGM_RSRC2:USER_SGPR: 6
; COMPUTE_PGM_RSRC2:TRAP_HANDLER: 0
; COMPUTE_PGM_RSRC2:TGID_X_EN: 1
; COMPUTE_PGM_RSRC2:TGID_Y_EN: 0
; COMPUTE_PGM_RSRC2:TGID_Z_EN: 0
; COMPUTE_PGM_RSRC2:TIDIG_COMP_CNT: 0
; COMPUTE_PGM_RSRC3_GFX90A:ACCUM_OFFSET: 0
; COMPUTE_PGM_RSRC3_GFX90A:TG_SPLIT: 0
	.section	.text._ZN7rocprim17ROCPRIM_400000_NS6detail17trampoline_kernelINS0_14default_configENS1_20scan_config_selectorItEEZZNS1_9scan_implILNS1_25lookback_scan_determinismE0ELb1ELb1ES3_N6thrust23THRUST_200600_302600_NS6detail15normal_iteratorINS9_10device_ptrItEEEENS9_16discard_iteratorINS9_11use_defaultEEEt11max_functorItEtEEDaPvRmT3_T4_T5_mT6_P12ihipStream_tbENKUlT_T0_E_clISt17integral_constantIbLb1EESW_IbLb0EEEEDaSS_ST_EUlSS_E0_NS1_11comp_targetILNS1_3genE4ELNS1_11target_archE910ELNS1_3gpuE8ELNS1_3repE0EEENS1_30default_config_static_selectorELNS0_4arch9wavefront6targetE1EEEvT1_,"axG",@progbits,_ZN7rocprim17ROCPRIM_400000_NS6detail17trampoline_kernelINS0_14default_configENS1_20scan_config_selectorItEEZZNS1_9scan_implILNS1_25lookback_scan_determinismE0ELb1ELb1ES3_N6thrust23THRUST_200600_302600_NS6detail15normal_iteratorINS9_10device_ptrItEEEENS9_16discard_iteratorINS9_11use_defaultEEEt11max_functorItEtEEDaPvRmT3_T4_T5_mT6_P12ihipStream_tbENKUlT_T0_E_clISt17integral_constantIbLb1EESW_IbLb0EEEEDaSS_ST_EUlSS_E0_NS1_11comp_targetILNS1_3genE4ELNS1_11target_archE910ELNS1_3gpuE8ELNS1_3repE0EEENS1_30default_config_static_selectorELNS0_4arch9wavefront6targetE1EEEvT1_,comdat
	.protected	_ZN7rocprim17ROCPRIM_400000_NS6detail17trampoline_kernelINS0_14default_configENS1_20scan_config_selectorItEEZZNS1_9scan_implILNS1_25lookback_scan_determinismE0ELb1ELb1ES3_N6thrust23THRUST_200600_302600_NS6detail15normal_iteratorINS9_10device_ptrItEEEENS9_16discard_iteratorINS9_11use_defaultEEEt11max_functorItEtEEDaPvRmT3_T4_T5_mT6_P12ihipStream_tbENKUlT_T0_E_clISt17integral_constantIbLb1EESW_IbLb0EEEEDaSS_ST_EUlSS_E0_NS1_11comp_targetILNS1_3genE4ELNS1_11target_archE910ELNS1_3gpuE8ELNS1_3repE0EEENS1_30default_config_static_selectorELNS0_4arch9wavefront6targetE1EEEvT1_ ; -- Begin function _ZN7rocprim17ROCPRIM_400000_NS6detail17trampoline_kernelINS0_14default_configENS1_20scan_config_selectorItEEZZNS1_9scan_implILNS1_25lookback_scan_determinismE0ELb1ELb1ES3_N6thrust23THRUST_200600_302600_NS6detail15normal_iteratorINS9_10device_ptrItEEEENS9_16discard_iteratorINS9_11use_defaultEEEt11max_functorItEtEEDaPvRmT3_T4_T5_mT6_P12ihipStream_tbENKUlT_T0_E_clISt17integral_constantIbLb1EESW_IbLb0EEEEDaSS_ST_EUlSS_E0_NS1_11comp_targetILNS1_3genE4ELNS1_11target_archE910ELNS1_3gpuE8ELNS1_3repE0EEENS1_30default_config_static_selectorELNS0_4arch9wavefront6targetE1EEEvT1_
	.globl	_ZN7rocprim17ROCPRIM_400000_NS6detail17trampoline_kernelINS0_14default_configENS1_20scan_config_selectorItEEZZNS1_9scan_implILNS1_25lookback_scan_determinismE0ELb1ELb1ES3_N6thrust23THRUST_200600_302600_NS6detail15normal_iteratorINS9_10device_ptrItEEEENS9_16discard_iteratorINS9_11use_defaultEEEt11max_functorItEtEEDaPvRmT3_T4_T5_mT6_P12ihipStream_tbENKUlT_T0_E_clISt17integral_constantIbLb1EESW_IbLb0EEEEDaSS_ST_EUlSS_E0_NS1_11comp_targetILNS1_3genE4ELNS1_11target_archE910ELNS1_3gpuE8ELNS1_3repE0EEENS1_30default_config_static_selectorELNS0_4arch9wavefront6targetE1EEEvT1_
	.p2align	8
	.type	_ZN7rocprim17ROCPRIM_400000_NS6detail17trampoline_kernelINS0_14default_configENS1_20scan_config_selectorItEEZZNS1_9scan_implILNS1_25lookback_scan_determinismE0ELb1ELb1ES3_N6thrust23THRUST_200600_302600_NS6detail15normal_iteratorINS9_10device_ptrItEEEENS9_16discard_iteratorINS9_11use_defaultEEEt11max_functorItEtEEDaPvRmT3_T4_T5_mT6_P12ihipStream_tbENKUlT_T0_E_clISt17integral_constantIbLb1EESW_IbLb0EEEEDaSS_ST_EUlSS_E0_NS1_11comp_targetILNS1_3genE4ELNS1_11target_archE910ELNS1_3gpuE8ELNS1_3repE0EEENS1_30default_config_static_selectorELNS0_4arch9wavefront6targetE1EEEvT1_,@function
_ZN7rocprim17ROCPRIM_400000_NS6detail17trampoline_kernelINS0_14default_configENS1_20scan_config_selectorItEEZZNS1_9scan_implILNS1_25lookback_scan_determinismE0ELb1ELb1ES3_N6thrust23THRUST_200600_302600_NS6detail15normal_iteratorINS9_10device_ptrItEEEENS9_16discard_iteratorINS9_11use_defaultEEEt11max_functorItEtEEDaPvRmT3_T4_T5_mT6_P12ihipStream_tbENKUlT_T0_E_clISt17integral_constantIbLb1EESW_IbLb0EEEEDaSS_ST_EUlSS_E0_NS1_11comp_targetILNS1_3genE4ELNS1_11target_archE910ELNS1_3gpuE8ELNS1_3repE0EEENS1_30default_config_static_selectorELNS0_4arch9wavefront6targetE1EEEvT1_: ; @_ZN7rocprim17ROCPRIM_400000_NS6detail17trampoline_kernelINS0_14default_configENS1_20scan_config_selectorItEEZZNS1_9scan_implILNS1_25lookback_scan_determinismE0ELb1ELb1ES3_N6thrust23THRUST_200600_302600_NS6detail15normal_iteratorINS9_10device_ptrItEEEENS9_16discard_iteratorINS9_11use_defaultEEEt11max_functorItEtEEDaPvRmT3_T4_T5_mT6_P12ihipStream_tbENKUlT_T0_E_clISt17integral_constantIbLb1EESW_IbLb0EEEEDaSS_ST_EUlSS_E0_NS1_11comp_targetILNS1_3genE4ELNS1_11target_archE910ELNS1_3gpuE8ELNS1_3repE0EEENS1_30default_config_static_selectorELNS0_4arch9wavefront6targetE1EEEvT1_
; %bb.0:
	s_load_dwordx4 s[0:3], s[4:5], 0x0
	v_mov_b32_e32 v1, 0
	s_waitcnt lgkmcnt(0)
	global_load_ushort v2, v1, s[0:1]
	v_cmp_gt_u32_e32 vcc, s2, v0
	v_lshlrev_b32_e32 v1, 1, v0
	s_waitcnt vmcnt(0)
	v_mov_b32_e32 v3, v2
	s_and_saveexec_b64 s[6:7], vcc
	s_cbranch_execz .LBB3685_2
; %bb.1:
	global_load_ushort v3, v1, s[0:1]
.LBB3685_2:
	s_or_b64 exec, exec, s[6:7]
	v_or_b32_e32 v4, 64, v0
	v_cmp_gt_u32_e32 vcc, s2, v4
	v_mov_b32_e32 v4, v2
	s_and_saveexec_b64 s[6:7], vcc
	s_cbranch_execz .LBB3685_4
; %bb.3:
	global_load_ushort v4, v1, s[0:1] offset:128
.LBB3685_4:
	s_or_b64 exec, exec, s[6:7]
	v_or_b32_e32 v5, 0x80, v0
	v_cmp_gt_u32_e32 vcc, s2, v5
	v_mov_b32_e32 v5, v2
	s_and_saveexec_b64 s[6:7], vcc
	s_cbranch_execz .LBB3685_6
; %bb.5:
	global_load_ushort v5, v1, s[0:1] offset:256
.LBB3685_6:
	;; [unrolled: 9-line block ×22, first 2 shown]
	s_or_b64 exec, exec, s[6:7]
	s_load_dword s4, s[4:5], 0x10
	v_or_b32_e32 v26, 0x5c0, v0
	v_cmp_gt_u32_e32 vcc, s2, v26
	s_and_saveexec_b64 s[2:3], vcc
	s_cbranch_execz .LBB3685_48
; %bb.47:
	global_load_ushort v2, v1, s[0:1] offset:2944
.LBB3685_48:
	s_or_b64 exec, exec, s[2:3]
	s_waitcnt vmcnt(0)
	ds_write_b16 v1, v3
	ds_write_b16 v1, v4 offset:128
	ds_write_b16 v1, v5 offset:256
	;; [unrolled: 1-line block ×23, first 2 shown]
	v_mad_u32_u24 v2, v0, 46, v1
	s_waitcnt lgkmcnt(0)
	; wave barrier
	s_waitcnt lgkmcnt(0)
	ds_read_b128 v[10:13], v2
	ds_read_b128 v[6:9], v2 offset:16
	ds_read_b128 v[2:5], v2 offset:32
	v_mul_u32_u24_e32 v14, 46, v0
	s_waitcnt lgkmcnt(0)
	; wave barrier
	s_waitcnt lgkmcnt(0)
	v_lshrrev_b32_e32 v24, 16, v11
	v_max_u16_sdwa v26, v10, v10 dst_sel:DWORD dst_unused:UNUSED_PAD src0_sel:DWORD src1_sel:WORD_1
	v_lshrrev_b32_e32 v23, 16, v12
	v_max3_u16 v26, v26, v11, v24
	v_lshrrev_b32_e32 v22, 16, v13
	v_max3_u16 v26, v26, v12, v23
	;; [unrolled: 2-line block ×10, first 2 shown]
	v_max3_u16 v26, v26, v5, v25
	v_mbcnt_lo_u32_b32 v25, -1, 0
	v_mbcnt_hi_u32_b32 v25, -1, v25
	v_and_b32_e32 v28, 0xffff, v26
	v_and_b32_e32 v27, 15, v25
	v_cmp_eq_u32_e32 vcc, 0, v27
	v_mov_b32_dpp v28, v28 row_shr:1 row_mask:0xf bank_mask:0xf
	v_max_u16_e32 v28, v28, v26
	v_cndmask_b32_e32 v26, v28, v26, vcc
	v_and_b32_e32 v28, 0xffff, v26
	v_cmp_lt_u32_e32 vcc, 1, v27
	s_nop 0
	v_mov_b32_dpp v28, v28 row_shr:2 row_mask:0xf bank_mask:0xf
	v_max_u16_e32 v28, v28, v26
	v_cndmask_b32_e32 v26, v26, v28, vcc
	v_and_b32_e32 v28, 0xffff, v26
	v_cmp_lt_u32_e32 vcc, 3, v27
	s_nop 0
	;; [unrolled: 6-line block ×3, first 2 shown]
	v_mov_b32_dpp v28, v28 row_shr:8 row_mask:0xf bank_mask:0xf
	v_max_u16_e32 v28, v28, v26
	v_cndmask_b32_e32 v26, v26, v28, vcc
	v_and_b32_e32 v27, 0xffff, v26
	v_and_b32_e32 v28, 16, v25
	v_cmp_eq_u32_e32 vcc, 0, v28
	v_mov_b32_dpp v27, v27 row_bcast:15 row_mask:0xf bank_mask:0xf
	v_max_u16_e32 v27, v27, v26
	v_cndmask_b32_e32 v26, v27, v26, vcc
	v_and_b32_e32 v27, 0xffff, v26
	v_cmp_lt_u32_e32 vcc, 31, v25
	s_nop 0
	v_mov_b32_dpp v27, v27 row_bcast:31 row_mask:0xf bank_mask:0xf
	v_max_u16_e32 v27, v27, v26
	v_cndmask_b32_e32 v26, v26, v27, vcc
	v_cmp_eq_u32_e32 vcc, 63, v0
	s_and_saveexec_b64 s[0:1], vcc
	s_cbranch_execz .LBB3685_50
; %bb.49:
	v_mov_b32_e32 v27, 0
	ds_write_b16 v27, v26
.LBB3685_50:
	s_or_b64 exec, exec, s[0:1]
	v_add_u32_e32 v27, -1, v25
	v_and_b32_e32 v28, 64, v25
	v_cmp_lt_i32_e32 vcc, v27, v28
	v_cndmask_b32_e32 v27, v27, v25, vcc
	v_max_u16_e32 v26, s4, v26
	v_lshlrev_b32_e32 v27, 2, v27
	ds_bpermute_b32 v26, v27, v26
	v_cmp_eq_u32_e32 vcc, 0, v25
	v_cmp_eq_u32_e64 s[0:1], 0, v0
	v_mov_b32_e32 v0, s4
	s_or_b64 vcc, s[0:1], vcc
	s_waitcnt lgkmcnt(0)
	v_cndmask_b32_e32 v0, v26, v0, vcc
	v_max_u16_e32 v25, v0, v10
	v_max_u16_sdwa v10, v25, v10 dst_sel:DWORD dst_unused:UNUSED_PAD src0_sel:DWORD src1_sel:WORD_1
	v_max_u16_e32 v11, v10, v11
	v_max_u16_e32 v24, v11, v24
	;; [unrolled: 1-line block ×19, first 2 shown]
	s_mov_b32 s0, 0x5040100
	v_max_u16_e32 v15, v4, v15
	v_add_u32_e32 v14, v1, v14
	v_perm_b32 v0, v25, v0, s0
	v_perm_b32 v1, v11, v10, s0
	;; [unrolled: 1-line block ×4, first 2 shown]
	s_waitcnt lgkmcnt(0)
	; wave barrier
	v_max_u16_e32 v5, v15, v5
	s_waitcnt lgkmcnt(0)
	; wave barrier
	ds_write_b128 v14, v[0:3]
	v_perm_b32 v0, v6, v22, s0
	v_perm_b32 v1, v7, v21, s0
	;; [unrolled: 1-line block ×4, first 2 shown]
	ds_write_b128 v14, v[0:3] offset:16
	v_perm_b32 v0, v26, v18, s0
	v_perm_b32 v1, v27, v17, s0
	v_perm_b32 v2, v4, v16, s0
	v_perm_b32 v3, v5, v15, s0
	ds_write_b128 v14, v[0:3] offset:32
	s_waitcnt lgkmcnt(0)
	; wave barrier
	s_waitcnt lgkmcnt(0)
	s_endpgm
	.section	.rodata,"a",@progbits
	.p2align	6, 0x0
	.amdhsa_kernel _ZN7rocprim17ROCPRIM_400000_NS6detail17trampoline_kernelINS0_14default_configENS1_20scan_config_selectorItEEZZNS1_9scan_implILNS1_25lookback_scan_determinismE0ELb1ELb1ES3_N6thrust23THRUST_200600_302600_NS6detail15normal_iteratorINS9_10device_ptrItEEEENS9_16discard_iteratorINS9_11use_defaultEEEt11max_functorItEtEEDaPvRmT3_T4_T5_mT6_P12ihipStream_tbENKUlT_T0_E_clISt17integral_constantIbLb1EESW_IbLb0EEEEDaSS_ST_EUlSS_E0_NS1_11comp_targetILNS1_3genE4ELNS1_11target_archE910ELNS1_3gpuE8ELNS1_3repE0EEENS1_30default_config_static_selectorELNS0_4arch9wavefront6targetE1EEEvT1_
		.amdhsa_group_segment_fixed_size 3072
		.amdhsa_private_segment_fixed_size 0
		.amdhsa_kernarg_size 40
		.amdhsa_user_sgpr_count 6
		.amdhsa_user_sgpr_private_segment_buffer 1
		.amdhsa_user_sgpr_dispatch_ptr 0
		.amdhsa_user_sgpr_queue_ptr 0
		.amdhsa_user_sgpr_kernarg_segment_ptr 1
		.amdhsa_user_sgpr_dispatch_id 0
		.amdhsa_user_sgpr_flat_scratch_init 0
		.amdhsa_user_sgpr_kernarg_preload_length 0
		.amdhsa_user_sgpr_kernarg_preload_offset 0
		.amdhsa_user_sgpr_private_segment_size 0
		.amdhsa_uses_dynamic_stack 0
		.amdhsa_system_sgpr_private_segment_wavefront_offset 0
		.amdhsa_system_sgpr_workgroup_id_x 1
		.amdhsa_system_sgpr_workgroup_id_y 0
		.amdhsa_system_sgpr_workgroup_id_z 0
		.amdhsa_system_sgpr_workgroup_info 0
		.amdhsa_system_vgpr_workitem_id 0
		.amdhsa_next_free_vgpr 29
		.amdhsa_next_free_sgpr 8
		.amdhsa_accum_offset 32
		.amdhsa_reserve_vcc 1
		.amdhsa_reserve_flat_scratch 0
		.amdhsa_float_round_mode_32 0
		.amdhsa_float_round_mode_16_64 0
		.amdhsa_float_denorm_mode_32 3
		.amdhsa_float_denorm_mode_16_64 3
		.amdhsa_dx10_clamp 1
		.amdhsa_ieee_mode 1
		.amdhsa_fp16_overflow 0
		.amdhsa_tg_split 0
		.amdhsa_exception_fp_ieee_invalid_op 0
		.amdhsa_exception_fp_denorm_src 0
		.amdhsa_exception_fp_ieee_div_zero 0
		.amdhsa_exception_fp_ieee_overflow 0
		.amdhsa_exception_fp_ieee_underflow 0
		.amdhsa_exception_fp_ieee_inexact 0
		.amdhsa_exception_int_div_zero 0
	.end_amdhsa_kernel
	.section	.text._ZN7rocprim17ROCPRIM_400000_NS6detail17trampoline_kernelINS0_14default_configENS1_20scan_config_selectorItEEZZNS1_9scan_implILNS1_25lookback_scan_determinismE0ELb1ELb1ES3_N6thrust23THRUST_200600_302600_NS6detail15normal_iteratorINS9_10device_ptrItEEEENS9_16discard_iteratorINS9_11use_defaultEEEt11max_functorItEtEEDaPvRmT3_T4_T5_mT6_P12ihipStream_tbENKUlT_T0_E_clISt17integral_constantIbLb1EESW_IbLb0EEEEDaSS_ST_EUlSS_E0_NS1_11comp_targetILNS1_3genE4ELNS1_11target_archE910ELNS1_3gpuE8ELNS1_3repE0EEENS1_30default_config_static_selectorELNS0_4arch9wavefront6targetE1EEEvT1_,"axG",@progbits,_ZN7rocprim17ROCPRIM_400000_NS6detail17trampoline_kernelINS0_14default_configENS1_20scan_config_selectorItEEZZNS1_9scan_implILNS1_25lookback_scan_determinismE0ELb1ELb1ES3_N6thrust23THRUST_200600_302600_NS6detail15normal_iteratorINS9_10device_ptrItEEEENS9_16discard_iteratorINS9_11use_defaultEEEt11max_functorItEtEEDaPvRmT3_T4_T5_mT6_P12ihipStream_tbENKUlT_T0_E_clISt17integral_constantIbLb1EESW_IbLb0EEEEDaSS_ST_EUlSS_E0_NS1_11comp_targetILNS1_3genE4ELNS1_11target_archE910ELNS1_3gpuE8ELNS1_3repE0EEENS1_30default_config_static_selectorELNS0_4arch9wavefront6targetE1EEEvT1_,comdat
.Lfunc_end3685:
	.size	_ZN7rocprim17ROCPRIM_400000_NS6detail17trampoline_kernelINS0_14default_configENS1_20scan_config_selectorItEEZZNS1_9scan_implILNS1_25lookback_scan_determinismE0ELb1ELb1ES3_N6thrust23THRUST_200600_302600_NS6detail15normal_iteratorINS9_10device_ptrItEEEENS9_16discard_iteratorINS9_11use_defaultEEEt11max_functorItEtEEDaPvRmT3_T4_T5_mT6_P12ihipStream_tbENKUlT_T0_E_clISt17integral_constantIbLb1EESW_IbLb0EEEEDaSS_ST_EUlSS_E0_NS1_11comp_targetILNS1_3genE4ELNS1_11target_archE910ELNS1_3gpuE8ELNS1_3repE0EEENS1_30default_config_static_selectorELNS0_4arch9wavefront6targetE1EEEvT1_, .Lfunc_end3685-_ZN7rocprim17ROCPRIM_400000_NS6detail17trampoline_kernelINS0_14default_configENS1_20scan_config_selectorItEEZZNS1_9scan_implILNS1_25lookback_scan_determinismE0ELb1ELb1ES3_N6thrust23THRUST_200600_302600_NS6detail15normal_iteratorINS9_10device_ptrItEEEENS9_16discard_iteratorINS9_11use_defaultEEEt11max_functorItEtEEDaPvRmT3_T4_T5_mT6_P12ihipStream_tbENKUlT_T0_E_clISt17integral_constantIbLb1EESW_IbLb0EEEEDaSS_ST_EUlSS_E0_NS1_11comp_targetILNS1_3genE4ELNS1_11target_archE910ELNS1_3gpuE8ELNS1_3repE0EEENS1_30default_config_static_selectorELNS0_4arch9wavefront6targetE1EEEvT1_
                                        ; -- End function
	.section	.AMDGPU.csdata,"",@progbits
; Kernel info:
; codeLenInByte = 1820
; NumSgprs: 12
; NumVgprs: 29
; NumAgprs: 0
; TotalNumVgprs: 29
; ScratchSize: 0
; MemoryBound: 0
; FloatMode: 240
; IeeeMode: 1
; LDSByteSize: 3072 bytes/workgroup (compile time only)
; SGPRBlocks: 1
; VGPRBlocks: 3
; NumSGPRsForWavesPerEU: 12
; NumVGPRsForWavesPerEU: 29
; AccumOffset: 32
; Occupancy: 6
; WaveLimiterHint : 0
; COMPUTE_PGM_RSRC2:SCRATCH_EN: 0
; COMPUTE_PGM_RSRC2:USER_SGPR: 6
; COMPUTE_PGM_RSRC2:TRAP_HANDLER: 0
; COMPUTE_PGM_RSRC2:TGID_X_EN: 1
; COMPUTE_PGM_RSRC2:TGID_Y_EN: 0
; COMPUTE_PGM_RSRC2:TGID_Z_EN: 0
; COMPUTE_PGM_RSRC2:TIDIG_COMP_CNT: 0
; COMPUTE_PGM_RSRC3_GFX90A:ACCUM_OFFSET: 7
; COMPUTE_PGM_RSRC3_GFX90A:TG_SPLIT: 0
	.section	.text._ZN7rocprim17ROCPRIM_400000_NS6detail17trampoline_kernelINS0_14default_configENS1_20scan_config_selectorItEEZZNS1_9scan_implILNS1_25lookback_scan_determinismE0ELb1ELb1ES3_N6thrust23THRUST_200600_302600_NS6detail15normal_iteratorINS9_10device_ptrItEEEENS9_16discard_iteratorINS9_11use_defaultEEEt11max_functorItEtEEDaPvRmT3_T4_T5_mT6_P12ihipStream_tbENKUlT_T0_E_clISt17integral_constantIbLb1EESW_IbLb0EEEEDaSS_ST_EUlSS_E0_NS1_11comp_targetILNS1_3genE3ELNS1_11target_archE908ELNS1_3gpuE7ELNS1_3repE0EEENS1_30default_config_static_selectorELNS0_4arch9wavefront6targetE1EEEvT1_,"axG",@progbits,_ZN7rocprim17ROCPRIM_400000_NS6detail17trampoline_kernelINS0_14default_configENS1_20scan_config_selectorItEEZZNS1_9scan_implILNS1_25lookback_scan_determinismE0ELb1ELb1ES3_N6thrust23THRUST_200600_302600_NS6detail15normal_iteratorINS9_10device_ptrItEEEENS9_16discard_iteratorINS9_11use_defaultEEEt11max_functorItEtEEDaPvRmT3_T4_T5_mT6_P12ihipStream_tbENKUlT_T0_E_clISt17integral_constantIbLb1EESW_IbLb0EEEEDaSS_ST_EUlSS_E0_NS1_11comp_targetILNS1_3genE3ELNS1_11target_archE908ELNS1_3gpuE7ELNS1_3repE0EEENS1_30default_config_static_selectorELNS0_4arch9wavefront6targetE1EEEvT1_,comdat
	.protected	_ZN7rocprim17ROCPRIM_400000_NS6detail17trampoline_kernelINS0_14default_configENS1_20scan_config_selectorItEEZZNS1_9scan_implILNS1_25lookback_scan_determinismE0ELb1ELb1ES3_N6thrust23THRUST_200600_302600_NS6detail15normal_iteratorINS9_10device_ptrItEEEENS9_16discard_iteratorINS9_11use_defaultEEEt11max_functorItEtEEDaPvRmT3_T4_T5_mT6_P12ihipStream_tbENKUlT_T0_E_clISt17integral_constantIbLb1EESW_IbLb0EEEEDaSS_ST_EUlSS_E0_NS1_11comp_targetILNS1_3genE3ELNS1_11target_archE908ELNS1_3gpuE7ELNS1_3repE0EEENS1_30default_config_static_selectorELNS0_4arch9wavefront6targetE1EEEvT1_ ; -- Begin function _ZN7rocprim17ROCPRIM_400000_NS6detail17trampoline_kernelINS0_14default_configENS1_20scan_config_selectorItEEZZNS1_9scan_implILNS1_25lookback_scan_determinismE0ELb1ELb1ES3_N6thrust23THRUST_200600_302600_NS6detail15normal_iteratorINS9_10device_ptrItEEEENS9_16discard_iteratorINS9_11use_defaultEEEt11max_functorItEtEEDaPvRmT3_T4_T5_mT6_P12ihipStream_tbENKUlT_T0_E_clISt17integral_constantIbLb1EESW_IbLb0EEEEDaSS_ST_EUlSS_E0_NS1_11comp_targetILNS1_3genE3ELNS1_11target_archE908ELNS1_3gpuE7ELNS1_3repE0EEENS1_30default_config_static_selectorELNS0_4arch9wavefront6targetE1EEEvT1_
	.globl	_ZN7rocprim17ROCPRIM_400000_NS6detail17trampoline_kernelINS0_14default_configENS1_20scan_config_selectorItEEZZNS1_9scan_implILNS1_25lookback_scan_determinismE0ELb1ELb1ES3_N6thrust23THRUST_200600_302600_NS6detail15normal_iteratorINS9_10device_ptrItEEEENS9_16discard_iteratorINS9_11use_defaultEEEt11max_functorItEtEEDaPvRmT3_T4_T5_mT6_P12ihipStream_tbENKUlT_T0_E_clISt17integral_constantIbLb1EESW_IbLb0EEEEDaSS_ST_EUlSS_E0_NS1_11comp_targetILNS1_3genE3ELNS1_11target_archE908ELNS1_3gpuE7ELNS1_3repE0EEENS1_30default_config_static_selectorELNS0_4arch9wavefront6targetE1EEEvT1_
	.p2align	8
	.type	_ZN7rocprim17ROCPRIM_400000_NS6detail17trampoline_kernelINS0_14default_configENS1_20scan_config_selectorItEEZZNS1_9scan_implILNS1_25lookback_scan_determinismE0ELb1ELb1ES3_N6thrust23THRUST_200600_302600_NS6detail15normal_iteratorINS9_10device_ptrItEEEENS9_16discard_iteratorINS9_11use_defaultEEEt11max_functorItEtEEDaPvRmT3_T4_T5_mT6_P12ihipStream_tbENKUlT_T0_E_clISt17integral_constantIbLb1EESW_IbLb0EEEEDaSS_ST_EUlSS_E0_NS1_11comp_targetILNS1_3genE3ELNS1_11target_archE908ELNS1_3gpuE7ELNS1_3repE0EEENS1_30default_config_static_selectorELNS0_4arch9wavefront6targetE1EEEvT1_,@function
_ZN7rocprim17ROCPRIM_400000_NS6detail17trampoline_kernelINS0_14default_configENS1_20scan_config_selectorItEEZZNS1_9scan_implILNS1_25lookback_scan_determinismE0ELb1ELb1ES3_N6thrust23THRUST_200600_302600_NS6detail15normal_iteratorINS9_10device_ptrItEEEENS9_16discard_iteratorINS9_11use_defaultEEEt11max_functorItEtEEDaPvRmT3_T4_T5_mT6_P12ihipStream_tbENKUlT_T0_E_clISt17integral_constantIbLb1EESW_IbLb0EEEEDaSS_ST_EUlSS_E0_NS1_11comp_targetILNS1_3genE3ELNS1_11target_archE908ELNS1_3gpuE7ELNS1_3repE0EEENS1_30default_config_static_selectorELNS0_4arch9wavefront6targetE1EEEvT1_: ; @_ZN7rocprim17ROCPRIM_400000_NS6detail17trampoline_kernelINS0_14default_configENS1_20scan_config_selectorItEEZZNS1_9scan_implILNS1_25lookback_scan_determinismE0ELb1ELb1ES3_N6thrust23THRUST_200600_302600_NS6detail15normal_iteratorINS9_10device_ptrItEEEENS9_16discard_iteratorINS9_11use_defaultEEEt11max_functorItEtEEDaPvRmT3_T4_T5_mT6_P12ihipStream_tbENKUlT_T0_E_clISt17integral_constantIbLb1EESW_IbLb0EEEEDaSS_ST_EUlSS_E0_NS1_11comp_targetILNS1_3genE3ELNS1_11target_archE908ELNS1_3gpuE7ELNS1_3repE0EEENS1_30default_config_static_selectorELNS0_4arch9wavefront6targetE1EEEvT1_
; %bb.0:
	.section	.rodata,"a",@progbits
	.p2align	6, 0x0
	.amdhsa_kernel _ZN7rocprim17ROCPRIM_400000_NS6detail17trampoline_kernelINS0_14default_configENS1_20scan_config_selectorItEEZZNS1_9scan_implILNS1_25lookback_scan_determinismE0ELb1ELb1ES3_N6thrust23THRUST_200600_302600_NS6detail15normal_iteratorINS9_10device_ptrItEEEENS9_16discard_iteratorINS9_11use_defaultEEEt11max_functorItEtEEDaPvRmT3_T4_T5_mT6_P12ihipStream_tbENKUlT_T0_E_clISt17integral_constantIbLb1EESW_IbLb0EEEEDaSS_ST_EUlSS_E0_NS1_11comp_targetILNS1_3genE3ELNS1_11target_archE908ELNS1_3gpuE7ELNS1_3repE0EEENS1_30default_config_static_selectorELNS0_4arch9wavefront6targetE1EEEvT1_
		.amdhsa_group_segment_fixed_size 0
		.amdhsa_private_segment_fixed_size 0
		.amdhsa_kernarg_size 40
		.amdhsa_user_sgpr_count 6
		.amdhsa_user_sgpr_private_segment_buffer 1
		.amdhsa_user_sgpr_dispatch_ptr 0
		.amdhsa_user_sgpr_queue_ptr 0
		.amdhsa_user_sgpr_kernarg_segment_ptr 1
		.amdhsa_user_sgpr_dispatch_id 0
		.amdhsa_user_sgpr_flat_scratch_init 0
		.amdhsa_user_sgpr_kernarg_preload_length 0
		.amdhsa_user_sgpr_kernarg_preload_offset 0
		.amdhsa_user_sgpr_private_segment_size 0
		.amdhsa_uses_dynamic_stack 0
		.amdhsa_system_sgpr_private_segment_wavefront_offset 0
		.amdhsa_system_sgpr_workgroup_id_x 1
		.amdhsa_system_sgpr_workgroup_id_y 0
		.amdhsa_system_sgpr_workgroup_id_z 0
		.amdhsa_system_sgpr_workgroup_info 0
		.amdhsa_system_vgpr_workitem_id 0
		.amdhsa_next_free_vgpr 1
		.amdhsa_next_free_sgpr 0
		.amdhsa_accum_offset 4
		.amdhsa_reserve_vcc 0
		.amdhsa_reserve_flat_scratch 0
		.amdhsa_float_round_mode_32 0
		.amdhsa_float_round_mode_16_64 0
		.amdhsa_float_denorm_mode_32 3
		.amdhsa_float_denorm_mode_16_64 3
		.amdhsa_dx10_clamp 1
		.amdhsa_ieee_mode 1
		.amdhsa_fp16_overflow 0
		.amdhsa_tg_split 0
		.amdhsa_exception_fp_ieee_invalid_op 0
		.amdhsa_exception_fp_denorm_src 0
		.amdhsa_exception_fp_ieee_div_zero 0
		.amdhsa_exception_fp_ieee_overflow 0
		.amdhsa_exception_fp_ieee_underflow 0
		.amdhsa_exception_fp_ieee_inexact 0
		.amdhsa_exception_int_div_zero 0
	.end_amdhsa_kernel
	.section	.text._ZN7rocprim17ROCPRIM_400000_NS6detail17trampoline_kernelINS0_14default_configENS1_20scan_config_selectorItEEZZNS1_9scan_implILNS1_25lookback_scan_determinismE0ELb1ELb1ES3_N6thrust23THRUST_200600_302600_NS6detail15normal_iteratorINS9_10device_ptrItEEEENS9_16discard_iteratorINS9_11use_defaultEEEt11max_functorItEtEEDaPvRmT3_T4_T5_mT6_P12ihipStream_tbENKUlT_T0_E_clISt17integral_constantIbLb1EESW_IbLb0EEEEDaSS_ST_EUlSS_E0_NS1_11comp_targetILNS1_3genE3ELNS1_11target_archE908ELNS1_3gpuE7ELNS1_3repE0EEENS1_30default_config_static_selectorELNS0_4arch9wavefront6targetE1EEEvT1_,"axG",@progbits,_ZN7rocprim17ROCPRIM_400000_NS6detail17trampoline_kernelINS0_14default_configENS1_20scan_config_selectorItEEZZNS1_9scan_implILNS1_25lookback_scan_determinismE0ELb1ELb1ES3_N6thrust23THRUST_200600_302600_NS6detail15normal_iteratorINS9_10device_ptrItEEEENS9_16discard_iteratorINS9_11use_defaultEEEt11max_functorItEtEEDaPvRmT3_T4_T5_mT6_P12ihipStream_tbENKUlT_T0_E_clISt17integral_constantIbLb1EESW_IbLb0EEEEDaSS_ST_EUlSS_E0_NS1_11comp_targetILNS1_3genE3ELNS1_11target_archE908ELNS1_3gpuE7ELNS1_3repE0EEENS1_30default_config_static_selectorELNS0_4arch9wavefront6targetE1EEEvT1_,comdat
.Lfunc_end3686:
	.size	_ZN7rocprim17ROCPRIM_400000_NS6detail17trampoline_kernelINS0_14default_configENS1_20scan_config_selectorItEEZZNS1_9scan_implILNS1_25lookback_scan_determinismE0ELb1ELb1ES3_N6thrust23THRUST_200600_302600_NS6detail15normal_iteratorINS9_10device_ptrItEEEENS9_16discard_iteratorINS9_11use_defaultEEEt11max_functorItEtEEDaPvRmT3_T4_T5_mT6_P12ihipStream_tbENKUlT_T0_E_clISt17integral_constantIbLb1EESW_IbLb0EEEEDaSS_ST_EUlSS_E0_NS1_11comp_targetILNS1_3genE3ELNS1_11target_archE908ELNS1_3gpuE7ELNS1_3repE0EEENS1_30default_config_static_selectorELNS0_4arch9wavefront6targetE1EEEvT1_, .Lfunc_end3686-_ZN7rocprim17ROCPRIM_400000_NS6detail17trampoline_kernelINS0_14default_configENS1_20scan_config_selectorItEEZZNS1_9scan_implILNS1_25lookback_scan_determinismE0ELb1ELb1ES3_N6thrust23THRUST_200600_302600_NS6detail15normal_iteratorINS9_10device_ptrItEEEENS9_16discard_iteratorINS9_11use_defaultEEEt11max_functorItEtEEDaPvRmT3_T4_T5_mT6_P12ihipStream_tbENKUlT_T0_E_clISt17integral_constantIbLb1EESW_IbLb0EEEEDaSS_ST_EUlSS_E0_NS1_11comp_targetILNS1_3genE3ELNS1_11target_archE908ELNS1_3gpuE7ELNS1_3repE0EEENS1_30default_config_static_selectorELNS0_4arch9wavefront6targetE1EEEvT1_
                                        ; -- End function
	.section	.AMDGPU.csdata,"",@progbits
; Kernel info:
; codeLenInByte = 0
; NumSgprs: 4
; NumVgprs: 0
; NumAgprs: 0
; TotalNumVgprs: 0
; ScratchSize: 0
; MemoryBound: 0
; FloatMode: 240
; IeeeMode: 1
; LDSByteSize: 0 bytes/workgroup (compile time only)
; SGPRBlocks: 0
; VGPRBlocks: 0
; NumSGPRsForWavesPerEU: 4
; NumVGPRsForWavesPerEU: 1
; AccumOffset: 4
; Occupancy: 8
; WaveLimiterHint : 0
; COMPUTE_PGM_RSRC2:SCRATCH_EN: 0
; COMPUTE_PGM_RSRC2:USER_SGPR: 6
; COMPUTE_PGM_RSRC2:TRAP_HANDLER: 0
; COMPUTE_PGM_RSRC2:TGID_X_EN: 1
; COMPUTE_PGM_RSRC2:TGID_Y_EN: 0
; COMPUTE_PGM_RSRC2:TGID_Z_EN: 0
; COMPUTE_PGM_RSRC2:TIDIG_COMP_CNT: 0
; COMPUTE_PGM_RSRC3_GFX90A:ACCUM_OFFSET: 0
; COMPUTE_PGM_RSRC3_GFX90A:TG_SPLIT: 0
	.section	.text._ZN7rocprim17ROCPRIM_400000_NS6detail17trampoline_kernelINS0_14default_configENS1_20scan_config_selectorItEEZZNS1_9scan_implILNS1_25lookback_scan_determinismE0ELb1ELb1ES3_N6thrust23THRUST_200600_302600_NS6detail15normal_iteratorINS9_10device_ptrItEEEENS9_16discard_iteratorINS9_11use_defaultEEEt11max_functorItEtEEDaPvRmT3_T4_T5_mT6_P12ihipStream_tbENKUlT_T0_E_clISt17integral_constantIbLb1EESW_IbLb0EEEEDaSS_ST_EUlSS_E0_NS1_11comp_targetILNS1_3genE2ELNS1_11target_archE906ELNS1_3gpuE6ELNS1_3repE0EEENS1_30default_config_static_selectorELNS0_4arch9wavefront6targetE1EEEvT1_,"axG",@progbits,_ZN7rocprim17ROCPRIM_400000_NS6detail17trampoline_kernelINS0_14default_configENS1_20scan_config_selectorItEEZZNS1_9scan_implILNS1_25lookback_scan_determinismE0ELb1ELb1ES3_N6thrust23THRUST_200600_302600_NS6detail15normal_iteratorINS9_10device_ptrItEEEENS9_16discard_iteratorINS9_11use_defaultEEEt11max_functorItEtEEDaPvRmT3_T4_T5_mT6_P12ihipStream_tbENKUlT_T0_E_clISt17integral_constantIbLb1EESW_IbLb0EEEEDaSS_ST_EUlSS_E0_NS1_11comp_targetILNS1_3genE2ELNS1_11target_archE906ELNS1_3gpuE6ELNS1_3repE0EEENS1_30default_config_static_selectorELNS0_4arch9wavefront6targetE1EEEvT1_,comdat
	.protected	_ZN7rocprim17ROCPRIM_400000_NS6detail17trampoline_kernelINS0_14default_configENS1_20scan_config_selectorItEEZZNS1_9scan_implILNS1_25lookback_scan_determinismE0ELb1ELb1ES3_N6thrust23THRUST_200600_302600_NS6detail15normal_iteratorINS9_10device_ptrItEEEENS9_16discard_iteratorINS9_11use_defaultEEEt11max_functorItEtEEDaPvRmT3_T4_T5_mT6_P12ihipStream_tbENKUlT_T0_E_clISt17integral_constantIbLb1EESW_IbLb0EEEEDaSS_ST_EUlSS_E0_NS1_11comp_targetILNS1_3genE2ELNS1_11target_archE906ELNS1_3gpuE6ELNS1_3repE0EEENS1_30default_config_static_selectorELNS0_4arch9wavefront6targetE1EEEvT1_ ; -- Begin function _ZN7rocprim17ROCPRIM_400000_NS6detail17trampoline_kernelINS0_14default_configENS1_20scan_config_selectorItEEZZNS1_9scan_implILNS1_25lookback_scan_determinismE0ELb1ELb1ES3_N6thrust23THRUST_200600_302600_NS6detail15normal_iteratorINS9_10device_ptrItEEEENS9_16discard_iteratorINS9_11use_defaultEEEt11max_functorItEtEEDaPvRmT3_T4_T5_mT6_P12ihipStream_tbENKUlT_T0_E_clISt17integral_constantIbLb1EESW_IbLb0EEEEDaSS_ST_EUlSS_E0_NS1_11comp_targetILNS1_3genE2ELNS1_11target_archE906ELNS1_3gpuE6ELNS1_3repE0EEENS1_30default_config_static_selectorELNS0_4arch9wavefront6targetE1EEEvT1_
	.globl	_ZN7rocprim17ROCPRIM_400000_NS6detail17trampoline_kernelINS0_14default_configENS1_20scan_config_selectorItEEZZNS1_9scan_implILNS1_25lookback_scan_determinismE0ELb1ELb1ES3_N6thrust23THRUST_200600_302600_NS6detail15normal_iteratorINS9_10device_ptrItEEEENS9_16discard_iteratorINS9_11use_defaultEEEt11max_functorItEtEEDaPvRmT3_T4_T5_mT6_P12ihipStream_tbENKUlT_T0_E_clISt17integral_constantIbLb1EESW_IbLb0EEEEDaSS_ST_EUlSS_E0_NS1_11comp_targetILNS1_3genE2ELNS1_11target_archE906ELNS1_3gpuE6ELNS1_3repE0EEENS1_30default_config_static_selectorELNS0_4arch9wavefront6targetE1EEEvT1_
	.p2align	8
	.type	_ZN7rocprim17ROCPRIM_400000_NS6detail17trampoline_kernelINS0_14default_configENS1_20scan_config_selectorItEEZZNS1_9scan_implILNS1_25lookback_scan_determinismE0ELb1ELb1ES3_N6thrust23THRUST_200600_302600_NS6detail15normal_iteratorINS9_10device_ptrItEEEENS9_16discard_iteratorINS9_11use_defaultEEEt11max_functorItEtEEDaPvRmT3_T4_T5_mT6_P12ihipStream_tbENKUlT_T0_E_clISt17integral_constantIbLb1EESW_IbLb0EEEEDaSS_ST_EUlSS_E0_NS1_11comp_targetILNS1_3genE2ELNS1_11target_archE906ELNS1_3gpuE6ELNS1_3repE0EEENS1_30default_config_static_selectorELNS0_4arch9wavefront6targetE1EEEvT1_,@function
_ZN7rocprim17ROCPRIM_400000_NS6detail17trampoline_kernelINS0_14default_configENS1_20scan_config_selectorItEEZZNS1_9scan_implILNS1_25lookback_scan_determinismE0ELb1ELb1ES3_N6thrust23THRUST_200600_302600_NS6detail15normal_iteratorINS9_10device_ptrItEEEENS9_16discard_iteratorINS9_11use_defaultEEEt11max_functorItEtEEDaPvRmT3_T4_T5_mT6_P12ihipStream_tbENKUlT_T0_E_clISt17integral_constantIbLb1EESW_IbLb0EEEEDaSS_ST_EUlSS_E0_NS1_11comp_targetILNS1_3genE2ELNS1_11target_archE906ELNS1_3gpuE6ELNS1_3repE0EEENS1_30default_config_static_selectorELNS0_4arch9wavefront6targetE1EEEvT1_: ; @_ZN7rocprim17ROCPRIM_400000_NS6detail17trampoline_kernelINS0_14default_configENS1_20scan_config_selectorItEEZZNS1_9scan_implILNS1_25lookback_scan_determinismE0ELb1ELb1ES3_N6thrust23THRUST_200600_302600_NS6detail15normal_iteratorINS9_10device_ptrItEEEENS9_16discard_iteratorINS9_11use_defaultEEEt11max_functorItEtEEDaPvRmT3_T4_T5_mT6_P12ihipStream_tbENKUlT_T0_E_clISt17integral_constantIbLb1EESW_IbLb0EEEEDaSS_ST_EUlSS_E0_NS1_11comp_targetILNS1_3genE2ELNS1_11target_archE906ELNS1_3gpuE6ELNS1_3repE0EEENS1_30default_config_static_selectorELNS0_4arch9wavefront6targetE1EEEvT1_
; %bb.0:
	.section	.rodata,"a",@progbits
	.p2align	6, 0x0
	.amdhsa_kernel _ZN7rocprim17ROCPRIM_400000_NS6detail17trampoline_kernelINS0_14default_configENS1_20scan_config_selectorItEEZZNS1_9scan_implILNS1_25lookback_scan_determinismE0ELb1ELb1ES3_N6thrust23THRUST_200600_302600_NS6detail15normal_iteratorINS9_10device_ptrItEEEENS9_16discard_iteratorINS9_11use_defaultEEEt11max_functorItEtEEDaPvRmT3_T4_T5_mT6_P12ihipStream_tbENKUlT_T0_E_clISt17integral_constantIbLb1EESW_IbLb0EEEEDaSS_ST_EUlSS_E0_NS1_11comp_targetILNS1_3genE2ELNS1_11target_archE906ELNS1_3gpuE6ELNS1_3repE0EEENS1_30default_config_static_selectorELNS0_4arch9wavefront6targetE1EEEvT1_
		.amdhsa_group_segment_fixed_size 0
		.amdhsa_private_segment_fixed_size 0
		.amdhsa_kernarg_size 40
		.amdhsa_user_sgpr_count 6
		.amdhsa_user_sgpr_private_segment_buffer 1
		.amdhsa_user_sgpr_dispatch_ptr 0
		.amdhsa_user_sgpr_queue_ptr 0
		.amdhsa_user_sgpr_kernarg_segment_ptr 1
		.amdhsa_user_sgpr_dispatch_id 0
		.amdhsa_user_sgpr_flat_scratch_init 0
		.amdhsa_user_sgpr_kernarg_preload_length 0
		.amdhsa_user_sgpr_kernarg_preload_offset 0
		.amdhsa_user_sgpr_private_segment_size 0
		.amdhsa_uses_dynamic_stack 0
		.amdhsa_system_sgpr_private_segment_wavefront_offset 0
		.amdhsa_system_sgpr_workgroup_id_x 1
		.amdhsa_system_sgpr_workgroup_id_y 0
		.amdhsa_system_sgpr_workgroup_id_z 0
		.amdhsa_system_sgpr_workgroup_info 0
		.amdhsa_system_vgpr_workitem_id 0
		.amdhsa_next_free_vgpr 1
		.amdhsa_next_free_sgpr 0
		.amdhsa_accum_offset 4
		.amdhsa_reserve_vcc 0
		.amdhsa_reserve_flat_scratch 0
		.amdhsa_float_round_mode_32 0
		.amdhsa_float_round_mode_16_64 0
		.amdhsa_float_denorm_mode_32 3
		.amdhsa_float_denorm_mode_16_64 3
		.amdhsa_dx10_clamp 1
		.amdhsa_ieee_mode 1
		.amdhsa_fp16_overflow 0
		.amdhsa_tg_split 0
		.amdhsa_exception_fp_ieee_invalid_op 0
		.amdhsa_exception_fp_denorm_src 0
		.amdhsa_exception_fp_ieee_div_zero 0
		.amdhsa_exception_fp_ieee_overflow 0
		.amdhsa_exception_fp_ieee_underflow 0
		.amdhsa_exception_fp_ieee_inexact 0
		.amdhsa_exception_int_div_zero 0
	.end_amdhsa_kernel
	.section	.text._ZN7rocprim17ROCPRIM_400000_NS6detail17trampoline_kernelINS0_14default_configENS1_20scan_config_selectorItEEZZNS1_9scan_implILNS1_25lookback_scan_determinismE0ELb1ELb1ES3_N6thrust23THRUST_200600_302600_NS6detail15normal_iteratorINS9_10device_ptrItEEEENS9_16discard_iteratorINS9_11use_defaultEEEt11max_functorItEtEEDaPvRmT3_T4_T5_mT6_P12ihipStream_tbENKUlT_T0_E_clISt17integral_constantIbLb1EESW_IbLb0EEEEDaSS_ST_EUlSS_E0_NS1_11comp_targetILNS1_3genE2ELNS1_11target_archE906ELNS1_3gpuE6ELNS1_3repE0EEENS1_30default_config_static_selectorELNS0_4arch9wavefront6targetE1EEEvT1_,"axG",@progbits,_ZN7rocprim17ROCPRIM_400000_NS6detail17trampoline_kernelINS0_14default_configENS1_20scan_config_selectorItEEZZNS1_9scan_implILNS1_25lookback_scan_determinismE0ELb1ELb1ES3_N6thrust23THRUST_200600_302600_NS6detail15normal_iteratorINS9_10device_ptrItEEEENS9_16discard_iteratorINS9_11use_defaultEEEt11max_functorItEtEEDaPvRmT3_T4_T5_mT6_P12ihipStream_tbENKUlT_T0_E_clISt17integral_constantIbLb1EESW_IbLb0EEEEDaSS_ST_EUlSS_E0_NS1_11comp_targetILNS1_3genE2ELNS1_11target_archE906ELNS1_3gpuE6ELNS1_3repE0EEENS1_30default_config_static_selectorELNS0_4arch9wavefront6targetE1EEEvT1_,comdat
.Lfunc_end3687:
	.size	_ZN7rocprim17ROCPRIM_400000_NS6detail17trampoline_kernelINS0_14default_configENS1_20scan_config_selectorItEEZZNS1_9scan_implILNS1_25lookback_scan_determinismE0ELb1ELb1ES3_N6thrust23THRUST_200600_302600_NS6detail15normal_iteratorINS9_10device_ptrItEEEENS9_16discard_iteratorINS9_11use_defaultEEEt11max_functorItEtEEDaPvRmT3_T4_T5_mT6_P12ihipStream_tbENKUlT_T0_E_clISt17integral_constantIbLb1EESW_IbLb0EEEEDaSS_ST_EUlSS_E0_NS1_11comp_targetILNS1_3genE2ELNS1_11target_archE906ELNS1_3gpuE6ELNS1_3repE0EEENS1_30default_config_static_selectorELNS0_4arch9wavefront6targetE1EEEvT1_, .Lfunc_end3687-_ZN7rocprim17ROCPRIM_400000_NS6detail17trampoline_kernelINS0_14default_configENS1_20scan_config_selectorItEEZZNS1_9scan_implILNS1_25lookback_scan_determinismE0ELb1ELb1ES3_N6thrust23THRUST_200600_302600_NS6detail15normal_iteratorINS9_10device_ptrItEEEENS9_16discard_iteratorINS9_11use_defaultEEEt11max_functorItEtEEDaPvRmT3_T4_T5_mT6_P12ihipStream_tbENKUlT_T0_E_clISt17integral_constantIbLb1EESW_IbLb0EEEEDaSS_ST_EUlSS_E0_NS1_11comp_targetILNS1_3genE2ELNS1_11target_archE906ELNS1_3gpuE6ELNS1_3repE0EEENS1_30default_config_static_selectorELNS0_4arch9wavefront6targetE1EEEvT1_
                                        ; -- End function
	.section	.AMDGPU.csdata,"",@progbits
; Kernel info:
; codeLenInByte = 0
; NumSgprs: 4
; NumVgprs: 0
; NumAgprs: 0
; TotalNumVgprs: 0
; ScratchSize: 0
; MemoryBound: 0
; FloatMode: 240
; IeeeMode: 1
; LDSByteSize: 0 bytes/workgroup (compile time only)
; SGPRBlocks: 0
; VGPRBlocks: 0
; NumSGPRsForWavesPerEU: 4
; NumVGPRsForWavesPerEU: 1
; AccumOffset: 4
; Occupancy: 8
; WaveLimiterHint : 0
; COMPUTE_PGM_RSRC2:SCRATCH_EN: 0
; COMPUTE_PGM_RSRC2:USER_SGPR: 6
; COMPUTE_PGM_RSRC2:TRAP_HANDLER: 0
; COMPUTE_PGM_RSRC2:TGID_X_EN: 1
; COMPUTE_PGM_RSRC2:TGID_Y_EN: 0
; COMPUTE_PGM_RSRC2:TGID_Z_EN: 0
; COMPUTE_PGM_RSRC2:TIDIG_COMP_CNT: 0
; COMPUTE_PGM_RSRC3_GFX90A:ACCUM_OFFSET: 0
; COMPUTE_PGM_RSRC3_GFX90A:TG_SPLIT: 0
	.section	.text._ZN7rocprim17ROCPRIM_400000_NS6detail17trampoline_kernelINS0_14default_configENS1_20scan_config_selectorItEEZZNS1_9scan_implILNS1_25lookback_scan_determinismE0ELb1ELb1ES3_N6thrust23THRUST_200600_302600_NS6detail15normal_iteratorINS9_10device_ptrItEEEENS9_16discard_iteratorINS9_11use_defaultEEEt11max_functorItEtEEDaPvRmT3_T4_T5_mT6_P12ihipStream_tbENKUlT_T0_E_clISt17integral_constantIbLb1EESW_IbLb0EEEEDaSS_ST_EUlSS_E0_NS1_11comp_targetILNS1_3genE10ELNS1_11target_archE1201ELNS1_3gpuE5ELNS1_3repE0EEENS1_30default_config_static_selectorELNS0_4arch9wavefront6targetE1EEEvT1_,"axG",@progbits,_ZN7rocprim17ROCPRIM_400000_NS6detail17trampoline_kernelINS0_14default_configENS1_20scan_config_selectorItEEZZNS1_9scan_implILNS1_25lookback_scan_determinismE0ELb1ELb1ES3_N6thrust23THRUST_200600_302600_NS6detail15normal_iteratorINS9_10device_ptrItEEEENS9_16discard_iteratorINS9_11use_defaultEEEt11max_functorItEtEEDaPvRmT3_T4_T5_mT6_P12ihipStream_tbENKUlT_T0_E_clISt17integral_constantIbLb1EESW_IbLb0EEEEDaSS_ST_EUlSS_E0_NS1_11comp_targetILNS1_3genE10ELNS1_11target_archE1201ELNS1_3gpuE5ELNS1_3repE0EEENS1_30default_config_static_selectorELNS0_4arch9wavefront6targetE1EEEvT1_,comdat
	.protected	_ZN7rocprim17ROCPRIM_400000_NS6detail17trampoline_kernelINS0_14default_configENS1_20scan_config_selectorItEEZZNS1_9scan_implILNS1_25lookback_scan_determinismE0ELb1ELb1ES3_N6thrust23THRUST_200600_302600_NS6detail15normal_iteratorINS9_10device_ptrItEEEENS9_16discard_iteratorINS9_11use_defaultEEEt11max_functorItEtEEDaPvRmT3_T4_T5_mT6_P12ihipStream_tbENKUlT_T0_E_clISt17integral_constantIbLb1EESW_IbLb0EEEEDaSS_ST_EUlSS_E0_NS1_11comp_targetILNS1_3genE10ELNS1_11target_archE1201ELNS1_3gpuE5ELNS1_3repE0EEENS1_30default_config_static_selectorELNS0_4arch9wavefront6targetE1EEEvT1_ ; -- Begin function _ZN7rocprim17ROCPRIM_400000_NS6detail17trampoline_kernelINS0_14default_configENS1_20scan_config_selectorItEEZZNS1_9scan_implILNS1_25lookback_scan_determinismE0ELb1ELb1ES3_N6thrust23THRUST_200600_302600_NS6detail15normal_iteratorINS9_10device_ptrItEEEENS9_16discard_iteratorINS9_11use_defaultEEEt11max_functorItEtEEDaPvRmT3_T4_T5_mT6_P12ihipStream_tbENKUlT_T0_E_clISt17integral_constantIbLb1EESW_IbLb0EEEEDaSS_ST_EUlSS_E0_NS1_11comp_targetILNS1_3genE10ELNS1_11target_archE1201ELNS1_3gpuE5ELNS1_3repE0EEENS1_30default_config_static_selectorELNS0_4arch9wavefront6targetE1EEEvT1_
	.globl	_ZN7rocprim17ROCPRIM_400000_NS6detail17trampoline_kernelINS0_14default_configENS1_20scan_config_selectorItEEZZNS1_9scan_implILNS1_25lookback_scan_determinismE0ELb1ELb1ES3_N6thrust23THRUST_200600_302600_NS6detail15normal_iteratorINS9_10device_ptrItEEEENS9_16discard_iteratorINS9_11use_defaultEEEt11max_functorItEtEEDaPvRmT3_T4_T5_mT6_P12ihipStream_tbENKUlT_T0_E_clISt17integral_constantIbLb1EESW_IbLb0EEEEDaSS_ST_EUlSS_E0_NS1_11comp_targetILNS1_3genE10ELNS1_11target_archE1201ELNS1_3gpuE5ELNS1_3repE0EEENS1_30default_config_static_selectorELNS0_4arch9wavefront6targetE1EEEvT1_
	.p2align	8
	.type	_ZN7rocprim17ROCPRIM_400000_NS6detail17trampoline_kernelINS0_14default_configENS1_20scan_config_selectorItEEZZNS1_9scan_implILNS1_25lookback_scan_determinismE0ELb1ELb1ES3_N6thrust23THRUST_200600_302600_NS6detail15normal_iteratorINS9_10device_ptrItEEEENS9_16discard_iteratorINS9_11use_defaultEEEt11max_functorItEtEEDaPvRmT3_T4_T5_mT6_P12ihipStream_tbENKUlT_T0_E_clISt17integral_constantIbLb1EESW_IbLb0EEEEDaSS_ST_EUlSS_E0_NS1_11comp_targetILNS1_3genE10ELNS1_11target_archE1201ELNS1_3gpuE5ELNS1_3repE0EEENS1_30default_config_static_selectorELNS0_4arch9wavefront6targetE1EEEvT1_,@function
_ZN7rocprim17ROCPRIM_400000_NS6detail17trampoline_kernelINS0_14default_configENS1_20scan_config_selectorItEEZZNS1_9scan_implILNS1_25lookback_scan_determinismE0ELb1ELb1ES3_N6thrust23THRUST_200600_302600_NS6detail15normal_iteratorINS9_10device_ptrItEEEENS9_16discard_iteratorINS9_11use_defaultEEEt11max_functorItEtEEDaPvRmT3_T4_T5_mT6_P12ihipStream_tbENKUlT_T0_E_clISt17integral_constantIbLb1EESW_IbLb0EEEEDaSS_ST_EUlSS_E0_NS1_11comp_targetILNS1_3genE10ELNS1_11target_archE1201ELNS1_3gpuE5ELNS1_3repE0EEENS1_30default_config_static_selectorELNS0_4arch9wavefront6targetE1EEEvT1_: ; @_ZN7rocprim17ROCPRIM_400000_NS6detail17trampoline_kernelINS0_14default_configENS1_20scan_config_selectorItEEZZNS1_9scan_implILNS1_25lookback_scan_determinismE0ELb1ELb1ES3_N6thrust23THRUST_200600_302600_NS6detail15normal_iteratorINS9_10device_ptrItEEEENS9_16discard_iteratorINS9_11use_defaultEEEt11max_functorItEtEEDaPvRmT3_T4_T5_mT6_P12ihipStream_tbENKUlT_T0_E_clISt17integral_constantIbLb1EESW_IbLb0EEEEDaSS_ST_EUlSS_E0_NS1_11comp_targetILNS1_3genE10ELNS1_11target_archE1201ELNS1_3gpuE5ELNS1_3repE0EEENS1_30default_config_static_selectorELNS0_4arch9wavefront6targetE1EEEvT1_
; %bb.0:
	.section	.rodata,"a",@progbits
	.p2align	6, 0x0
	.amdhsa_kernel _ZN7rocprim17ROCPRIM_400000_NS6detail17trampoline_kernelINS0_14default_configENS1_20scan_config_selectorItEEZZNS1_9scan_implILNS1_25lookback_scan_determinismE0ELb1ELb1ES3_N6thrust23THRUST_200600_302600_NS6detail15normal_iteratorINS9_10device_ptrItEEEENS9_16discard_iteratorINS9_11use_defaultEEEt11max_functorItEtEEDaPvRmT3_T4_T5_mT6_P12ihipStream_tbENKUlT_T0_E_clISt17integral_constantIbLb1EESW_IbLb0EEEEDaSS_ST_EUlSS_E0_NS1_11comp_targetILNS1_3genE10ELNS1_11target_archE1201ELNS1_3gpuE5ELNS1_3repE0EEENS1_30default_config_static_selectorELNS0_4arch9wavefront6targetE1EEEvT1_
		.amdhsa_group_segment_fixed_size 0
		.amdhsa_private_segment_fixed_size 0
		.amdhsa_kernarg_size 40
		.amdhsa_user_sgpr_count 6
		.amdhsa_user_sgpr_private_segment_buffer 1
		.amdhsa_user_sgpr_dispatch_ptr 0
		.amdhsa_user_sgpr_queue_ptr 0
		.amdhsa_user_sgpr_kernarg_segment_ptr 1
		.amdhsa_user_sgpr_dispatch_id 0
		.amdhsa_user_sgpr_flat_scratch_init 0
		.amdhsa_user_sgpr_kernarg_preload_length 0
		.amdhsa_user_sgpr_kernarg_preload_offset 0
		.amdhsa_user_sgpr_private_segment_size 0
		.amdhsa_uses_dynamic_stack 0
		.amdhsa_system_sgpr_private_segment_wavefront_offset 0
		.amdhsa_system_sgpr_workgroup_id_x 1
		.amdhsa_system_sgpr_workgroup_id_y 0
		.amdhsa_system_sgpr_workgroup_id_z 0
		.amdhsa_system_sgpr_workgroup_info 0
		.amdhsa_system_vgpr_workitem_id 0
		.amdhsa_next_free_vgpr 1
		.amdhsa_next_free_sgpr 0
		.amdhsa_accum_offset 4
		.amdhsa_reserve_vcc 0
		.amdhsa_reserve_flat_scratch 0
		.amdhsa_float_round_mode_32 0
		.amdhsa_float_round_mode_16_64 0
		.amdhsa_float_denorm_mode_32 3
		.amdhsa_float_denorm_mode_16_64 3
		.amdhsa_dx10_clamp 1
		.amdhsa_ieee_mode 1
		.amdhsa_fp16_overflow 0
		.amdhsa_tg_split 0
		.amdhsa_exception_fp_ieee_invalid_op 0
		.amdhsa_exception_fp_denorm_src 0
		.amdhsa_exception_fp_ieee_div_zero 0
		.amdhsa_exception_fp_ieee_overflow 0
		.amdhsa_exception_fp_ieee_underflow 0
		.amdhsa_exception_fp_ieee_inexact 0
		.amdhsa_exception_int_div_zero 0
	.end_amdhsa_kernel
	.section	.text._ZN7rocprim17ROCPRIM_400000_NS6detail17trampoline_kernelINS0_14default_configENS1_20scan_config_selectorItEEZZNS1_9scan_implILNS1_25lookback_scan_determinismE0ELb1ELb1ES3_N6thrust23THRUST_200600_302600_NS6detail15normal_iteratorINS9_10device_ptrItEEEENS9_16discard_iteratorINS9_11use_defaultEEEt11max_functorItEtEEDaPvRmT3_T4_T5_mT6_P12ihipStream_tbENKUlT_T0_E_clISt17integral_constantIbLb1EESW_IbLb0EEEEDaSS_ST_EUlSS_E0_NS1_11comp_targetILNS1_3genE10ELNS1_11target_archE1201ELNS1_3gpuE5ELNS1_3repE0EEENS1_30default_config_static_selectorELNS0_4arch9wavefront6targetE1EEEvT1_,"axG",@progbits,_ZN7rocprim17ROCPRIM_400000_NS6detail17trampoline_kernelINS0_14default_configENS1_20scan_config_selectorItEEZZNS1_9scan_implILNS1_25lookback_scan_determinismE0ELb1ELb1ES3_N6thrust23THRUST_200600_302600_NS6detail15normal_iteratorINS9_10device_ptrItEEEENS9_16discard_iteratorINS9_11use_defaultEEEt11max_functorItEtEEDaPvRmT3_T4_T5_mT6_P12ihipStream_tbENKUlT_T0_E_clISt17integral_constantIbLb1EESW_IbLb0EEEEDaSS_ST_EUlSS_E0_NS1_11comp_targetILNS1_3genE10ELNS1_11target_archE1201ELNS1_3gpuE5ELNS1_3repE0EEENS1_30default_config_static_selectorELNS0_4arch9wavefront6targetE1EEEvT1_,comdat
.Lfunc_end3688:
	.size	_ZN7rocprim17ROCPRIM_400000_NS6detail17trampoline_kernelINS0_14default_configENS1_20scan_config_selectorItEEZZNS1_9scan_implILNS1_25lookback_scan_determinismE0ELb1ELb1ES3_N6thrust23THRUST_200600_302600_NS6detail15normal_iteratorINS9_10device_ptrItEEEENS9_16discard_iteratorINS9_11use_defaultEEEt11max_functorItEtEEDaPvRmT3_T4_T5_mT6_P12ihipStream_tbENKUlT_T0_E_clISt17integral_constantIbLb1EESW_IbLb0EEEEDaSS_ST_EUlSS_E0_NS1_11comp_targetILNS1_3genE10ELNS1_11target_archE1201ELNS1_3gpuE5ELNS1_3repE0EEENS1_30default_config_static_selectorELNS0_4arch9wavefront6targetE1EEEvT1_, .Lfunc_end3688-_ZN7rocprim17ROCPRIM_400000_NS6detail17trampoline_kernelINS0_14default_configENS1_20scan_config_selectorItEEZZNS1_9scan_implILNS1_25lookback_scan_determinismE0ELb1ELb1ES3_N6thrust23THRUST_200600_302600_NS6detail15normal_iteratorINS9_10device_ptrItEEEENS9_16discard_iteratorINS9_11use_defaultEEEt11max_functorItEtEEDaPvRmT3_T4_T5_mT6_P12ihipStream_tbENKUlT_T0_E_clISt17integral_constantIbLb1EESW_IbLb0EEEEDaSS_ST_EUlSS_E0_NS1_11comp_targetILNS1_3genE10ELNS1_11target_archE1201ELNS1_3gpuE5ELNS1_3repE0EEENS1_30default_config_static_selectorELNS0_4arch9wavefront6targetE1EEEvT1_
                                        ; -- End function
	.section	.AMDGPU.csdata,"",@progbits
; Kernel info:
; codeLenInByte = 0
; NumSgprs: 4
; NumVgprs: 0
; NumAgprs: 0
; TotalNumVgprs: 0
; ScratchSize: 0
; MemoryBound: 0
; FloatMode: 240
; IeeeMode: 1
; LDSByteSize: 0 bytes/workgroup (compile time only)
; SGPRBlocks: 0
; VGPRBlocks: 0
; NumSGPRsForWavesPerEU: 4
; NumVGPRsForWavesPerEU: 1
; AccumOffset: 4
; Occupancy: 8
; WaveLimiterHint : 0
; COMPUTE_PGM_RSRC2:SCRATCH_EN: 0
; COMPUTE_PGM_RSRC2:USER_SGPR: 6
; COMPUTE_PGM_RSRC2:TRAP_HANDLER: 0
; COMPUTE_PGM_RSRC2:TGID_X_EN: 1
; COMPUTE_PGM_RSRC2:TGID_Y_EN: 0
; COMPUTE_PGM_RSRC2:TGID_Z_EN: 0
; COMPUTE_PGM_RSRC2:TIDIG_COMP_CNT: 0
; COMPUTE_PGM_RSRC3_GFX90A:ACCUM_OFFSET: 0
; COMPUTE_PGM_RSRC3_GFX90A:TG_SPLIT: 0
	.section	.text._ZN7rocprim17ROCPRIM_400000_NS6detail17trampoline_kernelINS0_14default_configENS1_20scan_config_selectorItEEZZNS1_9scan_implILNS1_25lookback_scan_determinismE0ELb1ELb1ES3_N6thrust23THRUST_200600_302600_NS6detail15normal_iteratorINS9_10device_ptrItEEEENS9_16discard_iteratorINS9_11use_defaultEEEt11max_functorItEtEEDaPvRmT3_T4_T5_mT6_P12ihipStream_tbENKUlT_T0_E_clISt17integral_constantIbLb1EESW_IbLb0EEEEDaSS_ST_EUlSS_E0_NS1_11comp_targetILNS1_3genE10ELNS1_11target_archE1200ELNS1_3gpuE4ELNS1_3repE0EEENS1_30default_config_static_selectorELNS0_4arch9wavefront6targetE1EEEvT1_,"axG",@progbits,_ZN7rocprim17ROCPRIM_400000_NS6detail17trampoline_kernelINS0_14default_configENS1_20scan_config_selectorItEEZZNS1_9scan_implILNS1_25lookback_scan_determinismE0ELb1ELb1ES3_N6thrust23THRUST_200600_302600_NS6detail15normal_iteratorINS9_10device_ptrItEEEENS9_16discard_iteratorINS9_11use_defaultEEEt11max_functorItEtEEDaPvRmT3_T4_T5_mT6_P12ihipStream_tbENKUlT_T0_E_clISt17integral_constantIbLb1EESW_IbLb0EEEEDaSS_ST_EUlSS_E0_NS1_11comp_targetILNS1_3genE10ELNS1_11target_archE1200ELNS1_3gpuE4ELNS1_3repE0EEENS1_30default_config_static_selectorELNS0_4arch9wavefront6targetE1EEEvT1_,comdat
	.protected	_ZN7rocprim17ROCPRIM_400000_NS6detail17trampoline_kernelINS0_14default_configENS1_20scan_config_selectorItEEZZNS1_9scan_implILNS1_25lookback_scan_determinismE0ELb1ELb1ES3_N6thrust23THRUST_200600_302600_NS6detail15normal_iteratorINS9_10device_ptrItEEEENS9_16discard_iteratorINS9_11use_defaultEEEt11max_functorItEtEEDaPvRmT3_T4_T5_mT6_P12ihipStream_tbENKUlT_T0_E_clISt17integral_constantIbLb1EESW_IbLb0EEEEDaSS_ST_EUlSS_E0_NS1_11comp_targetILNS1_3genE10ELNS1_11target_archE1200ELNS1_3gpuE4ELNS1_3repE0EEENS1_30default_config_static_selectorELNS0_4arch9wavefront6targetE1EEEvT1_ ; -- Begin function _ZN7rocprim17ROCPRIM_400000_NS6detail17trampoline_kernelINS0_14default_configENS1_20scan_config_selectorItEEZZNS1_9scan_implILNS1_25lookback_scan_determinismE0ELb1ELb1ES3_N6thrust23THRUST_200600_302600_NS6detail15normal_iteratorINS9_10device_ptrItEEEENS9_16discard_iteratorINS9_11use_defaultEEEt11max_functorItEtEEDaPvRmT3_T4_T5_mT6_P12ihipStream_tbENKUlT_T0_E_clISt17integral_constantIbLb1EESW_IbLb0EEEEDaSS_ST_EUlSS_E0_NS1_11comp_targetILNS1_3genE10ELNS1_11target_archE1200ELNS1_3gpuE4ELNS1_3repE0EEENS1_30default_config_static_selectorELNS0_4arch9wavefront6targetE1EEEvT1_
	.globl	_ZN7rocprim17ROCPRIM_400000_NS6detail17trampoline_kernelINS0_14default_configENS1_20scan_config_selectorItEEZZNS1_9scan_implILNS1_25lookback_scan_determinismE0ELb1ELb1ES3_N6thrust23THRUST_200600_302600_NS6detail15normal_iteratorINS9_10device_ptrItEEEENS9_16discard_iteratorINS9_11use_defaultEEEt11max_functorItEtEEDaPvRmT3_T4_T5_mT6_P12ihipStream_tbENKUlT_T0_E_clISt17integral_constantIbLb1EESW_IbLb0EEEEDaSS_ST_EUlSS_E0_NS1_11comp_targetILNS1_3genE10ELNS1_11target_archE1200ELNS1_3gpuE4ELNS1_3repE0EEENS1_30default_config_static_selectorELNS0_4arch9wavefront6targetE1EEEvT1_
	.p2align	8
	.type	_ZN7rocprim17ROCPRIM_400000_NS6detail17trampoline_kernelINS0_14default_configENS1_20scan_config_selectorItEEZZNS1_9scan_implILNS1_25lookback_scan_determinismE0ELb1ELb1ES3_N6thrust23THRUST_200600_302600_NS6detail15normal_iteratorINS9_10device_ptrItEEEENS9_16discard_iteratorINS9_11use_defaultEEEt11max_functorItEtEEDaPvRmT3_T4_T5_mT6_P12ihipStream_tbENKUlT_T0_E_clISt17integral_constantIbLb1EESW_IbLb0EEEEDaSS_ST_EUlSS_E0_NS1_11comp_targetILNS1_3genE10ELNS1_11target_archE1200ELNS1_3gpuE4ELNS1_3repE0EEENS1_30default_config_static_selectorELNS0_4arch9wavefront6targetE1EEEvT1_,@function
_ZN7rocprim17ROCPRIM_400000_NS6detail17trampoline_kernelINS0_14default_configENS1_20scan_config_selectorItEEZZNS1_9scan_implILNS1_25lookback_scan_determinismE0ELb1ELb1ES3_N6thrust23THRUST_200600_302600_NS6detail15normal_iteratorINS9_10device_ptrItEEEENS9_16discard_iteratorINS9_11use_defaultEEEt11max_functorItEtEEDaPvRmT3_T4_T5_mT6_P12ihipStream_tbENKUlT_T0_E_clISt17integral_constantIbLb1EESW_IbLb0EEEEDaSS_ST_EUlSS_E0_NS1_11comp_targetILNS1_3genE10ELNS1_11target_archE1200ELNS1_3gpuE4ELNS1_3repE0EEENS1_30default_config_static_selectorELNS0_4arch9wavefront6targetE1EEEvT1_: ; @_ZN7rocprim17ROCPRIM_400000_NS6detail17trampoline_kernelINS0_14default_configENS1_20scan_config_selectorItEEZZNS1_9scan_implILNS1_25lookback_scan_determinismE0ELb1ELb1ES3_N6thrust23THRUST_200600_302600_NS6detail15normal_iteratorINS9_10device_ptrItEEEENS9_16discard_iteratorINS9_11use_defaultEEEt11max_functorItEtEEDaPvRmT3_T4_T5_mT6_P12ihipStream_tbENKUlT_T0_E_clISt17integral_constantIbLb1EESW_IbLb0EEEEDaSS_ST_EUlSS_E0_NS1_11comp_targetILNS1_3genE10ELNS1_11target_archE1200ELNS1_3gpuE4ELNS1_3repE0EEENS1_30default_config_static_selectorELNS0_4arch9wavefront6targetE1EEEvT1_
; %bb.0:
	.section	.rodata,"a",@progbits
	.p2align	6, 0x0
	.amdhsa_kernel _ZN7rocprim17ROCPRIM_400000_NS6detail17trampoline_kernelINS0_14default_configENS1_20scan_config_selectorItEEZZNS1_9scan_implILNS1_25lookback_scan_determinismE0ELb1ELb1ES3_N6thrust23THRUST_200600_302600_NS6detail15normal_iteratorINS9_10device_ptrItEEEENS9_16discard_iteratorINS9_11use_defaultEEEt11max_functorItEtEEDaPvRmT3_T4_T5_mT6_P12ihipStream_tbENKUlT_T0_E_clISt17integral_constantIbLb1EESW_IbLb0EEEEDaSS_ST_EUlSS_E0_NS1_11comp_targetILNS1_3genE10ELNS1_11target_archE1200ELNS1_3gpuE4ELNS1_3repE0EEENS1_30default_config_static_selectorELNS0_4arch9wavefront6targetE1EEEvT1_
		.amdhsa_group_segment_fixed_size 0
		.amdhsa_private_segment_fixed_size 0
		.amdhsa_kernarg_size 40
		.amdhsa_user_sgpr_count 6
		.amdhsa_user_sgpr_private_segment_buffer 1
		.amdhsa_user_sgpr_dispatch_ptr 0
		.amdhsa_user_sgpr_queue_ptr 0
		.amdhsa_user_sgpr_kernarg_segment_ptr 1
		.amdhsa_user_sgpr_dispatch_id 0
		.amdhsa_user_sgpr_flat_scratch_init 0
		.amdhsa_user_sgpr_kernarg_preload_length 0
		.amdhsa_user_sgpr_kernarg_preload_offset 0
		.amdhsa_user_sgpr_private_segment_size 0
		.amdhsa_uses_dynamic_stack 0
		.amdhsa_system_sgpr_private_segment_wavefront_offset 0
		.amdhsa_system_sgpr_workgroup_id_x 1
		.amdhsa_system_sgpr_workgroup_id_y 0
		.amdhsa_system_sgpr_workgroup_id_z 0
		.amdhsa_system_sgpr_workgroup_info 0
		.amdhsa_system_vgpr_workitem_id 0
		.amdhsa_next_free_vgpr 1
		.amdhsa_next_free_sgpr 0
		.amdhsa_accum_offset 4
		.amdhsa_reserve_vcc 0
		.amdhsa_reserve_flat_scratch 0
		.amdhsa_float_round_mode_32 0
		.amdhsa_float_round_mode_16_64 0
		.amdhsa_float_denorm_mode_32 3
		.amdhsa_float_denorm_mode_16_64 3
		.amdhsa_dx10_clamp 1
		.amdhsa_ieee_mode 1
		.amdhsa_fp16_overflow 0
		.amdhsa_tg_split 0
		.amdhsa_exception_fp_ieee_invalid_op 0
		.amdhsa_exception_fp_denorm_src 0
		.amdhsa_exception_fp_ieee_div_zero 0
		.amdhsa_exception_fp_ieee_overflow 0
		.amdhsa_exception_fp_ieee_underflow 0
		.amdhsa_exception_fp_ieee_inexact 0
		.amdhsa_exception_int_div_zero 0
	.end_amdhsa_kernel
	.section	.text._ZN7rocprim17ROCPRIM_400000_NS6detail17trampoline_kernelINS0_14default_configENS1_20scan_config_selectorItEEZZNS1_9scan_implILNS1_25lookback_scan_determinismE0ELb1ELb1ES3_N6thrust23THRUST_200600_302600_NS6detail15normal_iteratorINS9_10device_ptrItEEEENS9_16discard_iteratorINS9_11use_defaultEEEt11max_functorItEtEEDaPvRmT3_T4_T5_mT6_P12ihipStream_tbENKUlT_T0_E_clISt17integral_constantIbLb1EESW_IbLb0EEEEDaSS_ST_EUlSS_E0_NS1_11comp_targetILNS1_3genE10ELNS1_11target_archE1200ELNS1_3gpuE4ELNS1_3repE0EEENS1_30default_config_static_selectorELNS0_4arch9wavefront6targetE1EEEvT1_,"axG",@progbits,_ZN7rocprim17ROCPRIM_400000_NS6detail17trampoline_kernelINS0_14default_configENS1_20scan_config_selectorItEEZZNS1_9scan_implILNS1_25lookback_scan_determinismE0ELb1ELb1ES3_N6thrust23THRUST_200600_302600_NS6detail15normal_iteratorINS9_10device_ptrItEEEENS9_16discard_iteratorINS9_11use_defaultEEEt11max_functorItEtEEDaPvRmT3_T4_T5_mT6_P12ihipStream_tbENKUlT_T0_E_clISt17integral_constantIbLb1EESW_IbLb0EEEEDaSS_ST_EUlSS_E0_NS1_11comp_targetILNS1_3genE10ELNS1_11target_archE1200ELNS1_3gpuE4ELNS1_3repE0EEENS1_30default_config_static_selectorELNS0_4arch9wavefront6targetE1EEEvT1_,comdat
.Lfunc_end3689:
	.size	_ZN7rocprim17ROCPRIM_400000_NS6detail17trampoline_kernelINS0_14default_configENS1_20scan_config_selectorItEEZZNS1_9scan_implILNS1_25lookback_scan_determinismE0ELb1ELb1ES3_N6thrust23THRUST_200600_302600_NS6detail15normal_iteratorINS9_10device_ptrItEEEENS9_16discard_iteratorINS9_11use_defaultEEEt11max_functorItEtEEDaPvRmT3_T4_T5_mT6_P12ihipStream_tbENKUlT_T0_E_clISt17integral_constantIbLb1EESW_IbLb0EEEEDaSS_ST_EUlSS_E0_NS1_11comp_targetILNS1_3genE10ELNS1_11target_archE1200ELNS1_3gpuE4ELNS1_3repE0EEENS1_30default_config_static_selectorELNS0_4arch9wavefront6targetE1EEEvT1_, .Lfunc_end3689-_ZN7rocprim17ROCPRIM_400000_NS6detail17trampoline_kernelINS0_14default_configENS1_20scan_config_selectorItEEZZNS1_9scan_implILNS1_25lookback_scan_determinismE0ELb1ELb1ES3_N6thrust23THRUST_200600_302600_NS6detail15normal_iteratorINS9_10device_ptrItEEEENS9_16discard_iteratorINS9_11use_defaultEEEt11max_functorItEtEEDaPvRmT3_T4_T5_mT6_P12ihipStream_tbENKUlT_T0_E_clISt17integral_constantIbLb1EESW_IbLb0EEEEDaSS_ST_EUlSS_E0_NS1_11comp_targetILNS1_3genE10ELNS1_11target_archE1200ELNS1_3gpuE4ELNS1_3repE0EEENS1_30default_config_static_selectorELNS0_4arch9wavefront6targetE1EEEvT1_
                                        ; -- End function
	.section	.AMDGPU.csdata,"",@progbits
; Kernel info:
; codeLenInByte = 0
; NumSgprs: 4
; NumVgprs: 0
; NumAgprs: 0
; TotalNumVgprs: 0
; ScratchSize: 0
; MemoryBound: 0
; FloatMode: 240
; IeeeMode: 1
; LDSByteSize: 0 bytes/workgroup (compile time only)
; SGPRBlocks: 0
; VGPRBlocks: 0
; NumSGPRsForWavesPerEU: 4
; NumVGPRsForWavesPerEU: 1
; AccumOffset: 4
; Occupancy: 8
; WaveLimiterHint : 0
; COMPUTE_PGM_RSRC2:SCRATCH_EN: 0
; COMPUTE_PGM_RSRC2:USER_SGPR: 6
; COMPUTE_PGM_RSRC2:TRAP_HANDLER: 0
; COMPUTE_PGM_RSRC2:TGID_X_EN: 1
; COMPUTE_PGM_RSRC2:TGID_Y_EN: 0
; COMPUTE_PGM_RSRC2:TGID_Z_EN: 0
; COMPUTE_PGM_RSRC2:TIDIG_COMP_CNT: 0
; COMPUTE_PGM_RSRC3_GFX90A:ACCUM_OFFSET: 0
; COMPUTE_PGM_RSRC3_GFX90A:TG_SPLIT: 0
	.section	.text._ZN7rocprim17ROCPRIM_400000_NS6detail17trampoline_kernelINS0_14default_configENS1_20scan_config_selectorItEEZZNS1_9scan_implILNS1_25lookback_scan_determinismE0ELb1ELb1ES3_N6thrust23THRUST_200600_302600_NS6detail15normal_iteratorINS9_10device_ptrItEEEENS9_16discard_iteratorINS9_11use_defaultEEEt11max_functorItEtEEDaPvRmT3_T4_T5_mT6_P12ihipStream_tbENKUlT_T0_E_clISt17integral_constantIbLb1EESW_IbLb0EEEEDaSS_ST_EUlSS_E0_NS1_11comp_targetILNS1_3genE9ELNS1_11target_archE1100ELNS1_3gpuE3ELNS1_3repE0EEENS1_30default_config_static_selectorELNS0_4arch9wavefront6targetE1EEEvT1_,"axG",@progbits,_ZN7rocprim17ROCPRIM_400000_NS6detail17trampoline_kernelINS0_14default_configENS1_20scan_config_selectorItEEZZNS1_9scan_implILNS1_25lookback_scan_determinismE0ELb1ELb1ES3_N6thrust23THRUST_200600_302600_NS6detail15normal_iteratorINS9_10device_ptrItEEEENS9_16discard_iteratorINS9_11use_defaultEEEt11max_functorItEtEEDaPvRmT3_T4_T5_mT6_P12ihipStream_tbENKUlT_T0_E_clISt17integral_constantIbLb1EESW_IbLb0EEEEDaSS_ST_EUlSS_E0_NS1_11comp_targetILNS1_3genE9ELNS1_11target_archE1100ELNS1_3gpuE3ELNS1_3repE0EEENS1_30default_config_static_selectorELNS0_4arch9wavefront6targetE1EEEvT1_,comdat
	.protected	_ZN7rocprim17ROCPRIM_400000_NS6detail17trampoline_kernelINS0_14default_configENS1_20scan_config_selectorItEEZZNS1_9scan_implILNS1_25lookback_scan_determinismE0ELb1ELb1ES3_N6thrust23THRUST_200600_302600_NS6detail15normal_iteratorINS9_10device_ptrItEEEENS9_16discard_iteratorINS9_11use_defaultEEEt11max_functorItEtEEDaPvRmT3_T4_T5_mT6_P12ihipStream_tbENKUlT_T0_E_clISt17integral_constantIbLb1EESW_IbLb0EEEEDaSS_ST_EUlSS_E0_NS1_11comp_targetILNS1_3genE9ELNS1_11target_archE1100ELNS1_3gpuE3ELNS1_3repE0EEENS1_30default_config_static_selectorELNS0_4arch9wavefront6targetE1EEEvT1_ ; -- Begin function _ZN7rocprim17ROCPRIM_400000_NS6detail17trampoline_kernelINS0_14default_configENS1_20scan_config_selectorItEEZZNS1_9scan_implILNS1_25lookback_scan_determinismE0ELb1ELb1ES3_N6thrust23THRUST_200600_302600_NS6detail15normal_iteratorINS9_10device_ptrItEEEENS9_16discard_iteratorINS9_11use_defaultEEEt11max_functorItEtEEDaPvRmT3_T4_T5_mT6_P12ihipStream_tbENKUlT_T0_E_clISt17integral_constantIbLb1EESW_IbLb0EEEEDaSS_ST_EUlSS_E0_NS1_11comp_targetILNS1_3genE9ELNS1_11target_archE1100ELNS1_3gpuE3ELNS1_3repE0EEENS1_30default_config_static_selectorELNS0_4arch9wavefront6targetE1EEEvT1_
	.globl	_ZN7rocprim17ROCPRIM_400000_NS6detail17trampoline_kernelINS0_14default_configENS1_20scan_config_selectorItEEZZNS1_9scan_implILNS1_25lookback_scan_determinismE0ELb1ELb1ES3_N6thrust23THRUST_200600_302600_NS6detail15normal_iteratorINS9_10device_ptrItEEEENS9_16discard_iteratorINS9_11use_defaultEEEt11max_functorItEtEEDaPvRmT3_T4_T5_mT6_P12ihipStream_tbENKUlT_T0_E_clISt17integral_constantIbLb1EESW_IbLb0EEEEDaSS_ST_EUlSS_E0_NS1_11comp_targetILNS1_3genE9ELNS1_11target_archE1100ELNS1_3gpuE3ELNS1_3repE0EEENS1_30default_config_static_selectorELNS0_4arch9wavefront6targetE1EEEvT1_
	.p2align	8
	.type	_ZN7rocprim17ROCPRIM_400000_NS6detail17trampoline_kernelINS0_14default_configENS1_20scan_config_selectorItEEZZNS1_9scan_implILNS1_25lookback_scan_determinismE0ELb1ELb1ES3_N6thrust23THRUST_200600_302600_NS6detail15normal_iteratorINS9_10device_ptrItEEEENS9_16discard_iteratorINS9_11use_defaultEEEt11max_functorItEtEEDaPvRmT3_T4_T5_mT6_P12ihipStream_tbENKUlT_T0_E_clISt17integral_constantIbLb1EESW_IbLb0EEEEDaSS_ST_EUlSS_E0_NS1_11comp_targetILNS1_3genE9ELNS1_11target_archE1100ELNS1_3gpuE3ELNS1_3repE0EEENS1_30default_config_static_selectorELNS0_4arch9wavefront6targetE1EEEvT1_,@function
_ZN7rocprim17ROCPRIM_400000_NS6detail17trampoline_kernelINS0_14default_configENS1_20scan_config_selectorItEEZZNS1_9scan_implILNS1_25lookback_scan_determinismE0ELb1ELb1ES3_N6thrust23THRUST_200600_302600_NS6detail15normal_iteratorINS9_10device_ptrItEEEENS9_16discard_iteratorINS9_11use_defaultEEEt11max_functorItEtEEDaPvRmT3_T4_T5_mT6_P12ihipStream_tbENKUlT_T0_E_clISt17integral_constantIbLb1EESW_IbLb0EEEEDaSS_ST_EUlSS_E0_NS1_11comp_targetILNS1_3genE9ELNS1_11target_archE1100ELNS1_3gpuE3ELNS1_3repE0EEENS1_30default_config_static_selectorELNS0_4arch9wavefront6targetE1EEEvT1_: ; @_ZN7rocprim17ROCPRIM_400000_NS6detail17trampoline_kernelINS0_14default_configENS1_20scan_config_selectorItEEZZNS1_9scan_implILNS1_25lookback_scan_determinismE0ELb1ELb1ES3_N6thrust23THRUST_200600_302600_NS6detail15normal_iteratorINS9_10device_ptrItEEEENS9_16discard_iteratorINS9_11use_defaultEEEt11max_functorItEtEEDaPvRmT3_T4_T5_mT6_P12ihipStream_tbENKUlT_T0_E_clISt17integral_constantIbLb1EESW_IbLb0EEEEDaSS_ST_EUlSS_E0_NS1_11comp_targetILNS1_3genE9ELNS1_11target_archE1100ELNS1_3gpuE3ELNS1_3repE0EEENS1_30default_config_static_selectorELNS0_4arch9wavefront6targetE1EEEvT1_
; %bb.0:
	.section	.rodata,"a",@progbits
	.p2align	6, 0x0
	.amdhsa_kernel _ZN7rocprim17ROCPRIM_400000_NS6detail17trampoline_kernelINS0_14default_configENS1_20scan_config_selectorItEEZZNS1_9scan_implILNS1_25lookback_scan_determinismE0ELb1ELb1ES3_N6thrust23THRUST_200600_302600_NS6detail15normal_iteratorINS9_10device_ptrItEEEENS9_16discard_iteratorINS9_11use_defaultEEEt11max_functorItEtEEDaPvRmT3_T4_T5_mT6_P12ihipStream_tbENKUlT_T0_E_clISt17integral_constantIbLb1EESW_IbLb0EEEEDaSS_ST_EUlSS_E0_NS1_11comp_targetILNS1_3genE9ELNS1_11target_archE1100ELNS1_3gpuE3ELNS1_3repE0EEENS1_30default_config_static_selectorELNS0_4arch9wavefront6targetE1EEEvT1_
		.amdhsa_group_segment_fixed_size 0
		.amdhsa_private_segment_fixed_size 0
		.amdhsa_kernarg_size 40
		.amdhsa_user_sgpr_count 6
		.amdhsa_user_sgpr_private_segment_buffer 1
		.amdhsa_user_sgpr_dispatch_ptr 0
		.amdhsa_user_sgpr_queue_ptr 0
		.amdhsa_user_sgpr_kernarg_segment_ptr 1
		.amdhsa_user_sgpr_dispatch_id 0
		.amdhsa_user_sgpr_flat_scratch_init 0
		.amdhsa_user_sgpr_kernarg_preload_length 0
		.amdhsa_user_sgpr_kernarg_preload_offset 0
		.amdhsa_user_sgpr_private_segment_size 0
		.amdhsa_uses_dynamic_stack 0
		.amdhsa_system_sgpr_private_segment_wavefront_offset 0
		.amdhsa_system_sgpr_workgroup_id_x 1
		.amdhsa_system_sgpr_workgroup_id_y 0
		.amdhsa_system_sgpr_workgroup_id_z 0
		.amdhsa_system_sgpr_workgroup_info 0
		.amdhsa_system_vgpr_workitem_id 0
		.amdhsa_next_free_vgpr 1
		.amdhsa_next_free_sgpr 0
		.amdhsa_accum_offset 4
		.amdhsa_reserve_vcc 0
		.amdhsa_reserve_flat_scratch 0
		.amdhsa_float_round_mode_32 0
		.amdhsa_float_round_mode_16_64 0
		.amdhsa_float_denorm_mode_32 3
		.amdhsa_float_denorm_mode_16_64 3
		.amdhsa_dx10_clamp 1
		.amdhsa_ieee_mode 1
		.amdhsa_fp16_overflow 0
		.amdhsa_tg_split 0
		.amdhsa_exception_fp_ieee_invalid_op 0
		.amdhsa_exception_fp_denorm_src 0
		.amdhsa_exception_fp_ieee_div_zero 0
		.amdhsa_exception_fp_ieee_overflow 0
		.amdhsa_exception_fp_ieee_underflow 0
		.amdhsa_exception_fp_ieee_inexact 0
		.amdhsa_exception_int_div_zero 0
	.end_amdhsa_kernel
	.section	.text._ZN7rocprim17ROCPRIM_400000_NS6detail17trampoline_kernelINS0_14default_configENS1_20scan_config_selectorItEEZZNS1_9scan_implILNS1_25lookback_scan_determinismE0ELb1ELb1ES3_N6thrust23THRUST_200600_302600_NS6detail15normal_iteratorINS9_10device_ptrItEEEENS9_16discard_iteratorINS9_11use_defaultEEEt11max_functorItEtEEDaPvRmT3_T4_T5_mT6_P12ihipStream_tbENKUlT_T0_E_clISt17integral_constantIbLb1EESW_IbLb0EEEEDaSS_ST_EUlSS_E0_NS1_11comp_targetILNS1_3genE9ELNS1_11target_archE1100ELNS1_3gpuE3ELNS1_3repE0EEENS1_30default_config_static_selectorELNS0_4arch9wavefront6targetE1EEEvT1_,"axG",@progbits,_ZN7rocprim17ROCPRIM_400000_NS6detail17trampoline_kernelINS0_14default_configENS1_20scan_config_selectorItEEZZNS1_9scan_implILNS1_25lookback_scan_determinismE0ELb1ELb1ES3_N6thrust23THRUST_200600_302600_NS6detail15normal_iteratorINS9_10device_ptrItEEEENS9_16discard_iteratorINS9_11use_defaultEEEt11max_functorItEtEEDaPvRmT3_T4_T5_mT6_P12ihipStream_tbENKUlT_T0_E_clISt17integral_constantIbLb1EESW_IbLb0EEEEDaSS_ST_EUlSS_E0_NS1_11comp_targetILNS1_3genE9ELNS1_11target_archE1100ELNS1_3gpuE3ELNS1_3repE0EEENS1_30default_config_static_selectorELNS0_4arch9wavefront6targetE1EEEvT1_,comdat
.Lfunc_end3690:
	.size	_ZN7rocprim17ROCPRIM_400000_NS6detail17trampoline_kernelINS0_14default_configENS1_20scan_config_selectorItEEZZNS1_9scan_implILNS1_25lookback_scan_determinismE0ELb1ELb1ES3_N6thrust23THRUST_200600_302600_NS6detail15normal_iteratorINS9_10device_ptrItEEEENS9_16discard_iteratorINS9_11use_defaultEEEt11max_functorItEtEEDaPvRmT3_T4_T5_mT6_P12ihipStream_tbENKUlT_T0_E_clISt17integral_constantIbLb1EESW_IbLb0EEEEDaSS_ST_EUlSS_E0_NS1_11comp_targetILNS1_3genE9ELNS1_11target_archE1100ELNS1_3gpuE3ELNS1_3repE0EEENS1_30default_config_static_selectorELNS0_4arch9wavefront6targetE1EEEvT1_, .Lfunc_end3690-_ZN7rocprim17ROCPRIM_400000_NS6detail17trampoline_kernelINS0_14default_configENS1_20scan_config_selectorItEEZZNS1_9scan_implILNS1_25lookback_scan_determinismE0ELb1ELb1ES3_N6thrust23THRUST_200600_302600_NS6detail15normal_iteratorINS9_10device_ptrItEEEENS9_16discard_iteratorINS9_11use_defaultEEEt11max_functorItEtEEDaPvRmT3_T4_T5_mT6_P12ihipStream_tbENKUlT_T0_E_clISt17integral_constantIbLb1EESW_IbLb0EEEEDaSS_ST_EUlSS_E0_NS1_11comp_targetILNS1_3genE9ELNS1_11target_archE1100ELNS1_3gpuE3ELNS1_3repE0EEENS1_30default_config_static_selectorELNS0_4arch9wavefront6targetE1EEEvT1_
                                        ; -- End function
	.section	.AMDGPU.csdata,"",@progbits
; Kernel info:
; codeLenInByte = 0
; NumSgprs: 4
; NumVgprs: 0
; NumAgprs: 0
; TotalNumVgprs: 0
; ScratchSize: 0
; MemoryBound: 0
; FloatMode: 240
; IeeeMode: 1
; LDSByteSize: 0 bytes/workgroup (compile time only)
; SGPRBlocks: 0
; VGPRBlocks: 0
; NumSGPRsForWavesPerEU: 4
; NumVGPRsForWavesPerEU: 1
; AccumOffset: 4
; Occupancy: 8
; WaveLimiterHint : 0
; COMPUTE_PGM_RSRC2:SCRATCH_EN: 0
; COMPUTE_PGM_RSRC2:USER_SGPR: 6
; COMPUTE_PGM_RSRC2:TRAP_HANDLER: 0
; COMPUTE_PGM_RSRC2:TGID_X_EN: 1
; COMPUTE_PGM_RSRC2:TGID_Y_EN: 0
; COMPUTE_PGM_RSRC2:TGID_Z_EN: 0
; COMPUTE_PGM_RSRC2:TIDIG_COMP_CNT: 0
; COMPUTE_PGM_RSRC3_GFX90A:ACCUM_OFFSET: 0
; COMPUTE_PGM_RSRC3_GFX90A:TG_SPLIT: 0
	.section	.text._ZN7rocprim17ROCPRIM_400000_NS6detail17trampoline_kernelINS0_14default_configENS1_20scan_config_selectorItEEZZNS1_9scan_implILNS1_25lookback_scan_determinismE0ELb1ELb1ES3_N6thrust23THRUST_200600_302600_NS6detail15normal_iteratorINS9_10device_ptrItEEEENS9_16discard_iteratorINS9_11use_defaultEEEt11max_functorItEtEEDaPvRmT3_T4_T5_mT6_P12ihipStream_tbENKUlT_T0_E_clISt17integral_constantIbLb1EESW_IbLb0EEEEDaSS_ST_EUlSS_E0_NS1_11comp_targetILNS1_3genE8ELNS1_11target_archE1030ELNS1_3gpuE2ELNS1_3repE0EEENS1_30default_config_static_selectorELNS0_4arch9wavefront6targetE1EEEvT1_,"axG",@progbits,_ZN7rocprim17ROCPRIM_400000_NS6detail17trampoline_kernelINS0_14default_configENS1_20scan_config_selectorItEEZZNS1_9scan_implILNS1_25lookback_scan_determinismE0ELb1ELb1ES3_N6thrust23THRUST_200600_302600_NS6detail15normal_iteratorINS9_10device_ptrItEEEENS9_16discard_iteratorINS9_11use_defaultEEEt11max_functorItEtEEDaPvRmT3_T4_T5_mT6_P12ihipStream_tbENKUlT_T0_E_clISt17integral_constantIbLb1EESW_IbLb0EEEEDaSS_ST_EUlSS_E0_NS1_11comp_targetILNS1_3genE8ELNS1_11target_archE1030ELNS1_3gpuE2ELNS1_3repE0EEENS1_30default_config_static_selectorELNS0_4arch9wavefront6targetE1EEEvT1_,comdat
	.protected	_ZN7rocprim17ROCPRIM_400000_NS6detail17trampoline_kernelINS0_14default_configENS1_20scan_config_selectorItEEZZNS1_9scan_implILNS1_25lookback_scan_determinismE0ELb1ELb1ES3_N6thrust23THRUST_200600_302600_NS6detail15normal_iteratorINS9_10device_ptrItEEEENS9_16discard_iteratorINS9_11use_defaultEEEt11max_functorItEtEEDaPvRmT3_T4_T5_mT6_P12ihipStream_tbENKUlT_T0_E_clISt17integral_constantIbLb1EESW_IbLb0EEEEDaSS_ST_EUlSS_E0_NS1_11comp_targetILNS1_3genE8ELNS1_11target_archE1030ELNS1_3gpuE2ELNS1_3repE0EEENS1_30default_config_static_selectorELNS0_4arch9wavefront6targetE1EEEvT1_ ; -- Begin function _ZN7rocprim17ROCPRIM_400000_NS6detail17trampoline_kernelINS0_14default_configENS1_20scan_config_selectorItEEZZNS1_9scan_implILNS1_25lookback_scan_determinismE0ELb1ELb1ES3_N6thrust23THRUST_200600_302600_NS6detail15normal_iteratorINS9_10device_ptrItEEEENS9_16discard_iteratorINS9_11use_defaultEEEt11max_functorItEtEEDaPvRmT3_T4_T5_mT6_P12ihipStream_tbENKUlT_T0_E_clISt17integral_constantIbLb1EESW_IbLb0EEEEDaSS_ST_EUlSS_E0_NS1_11comp_targetILNS1_3genE8ELNS1_11target_archE1030ELNS1_3gpuE2ELNS1_3repE0EEENS1_30default_config_static_selectorELNS0_4arch9wavefront6targetE1EEEvT1_
	.globl	_ZN7rocprim17ROCPRIM_400000_NS6detail17trampoline_kernelINS0_14default_configENS1_20scan_config_selectorItEEZZNS1_9scan_implILNS1_25lookback_scan_determinismE0ELb1ELb1ES3_N6thrust23THRUST_200600_302600_NS6detail15normal_iteratorINS9_10device_ptrItEEEENS9_16discard_iteratorINS9_11use_defaultEEEt11max_functorItEtEEDaPvRmT3_T4_T5_mT6_P12ihipStream_tbENKUlT_T0_E_clISt17integral_constantIbLb1EESW_IbLb0EEEEDaSS_ST_EUlSS_E0_NS1_11comp_targetILNS1_3genE8ELNS1_11target_archE1030ELNS1_3gpuE2ELNS1_3repE0EEENS1_30default_config_static_selectorELNS0_4arch9wavefront6targetE1EEEvT1_
	.p2align	8
	.type	_ZN7rocprim17ROCPRIM_400000_NS6detail17trampoline_kernelINS0_14default_configENS1_20scan_config_selectorItEEZZNS1_9scan_implILNS1_25lookback_scan_determinismE0ELb1ELb1ES3_N6thrust23THRUST_200600_302600_NS6detail15normal_iteratorINS9_10device_ptrItEEEENS9_16discard_iteratorINS9_11use_defaultEEEt11max_functorItEtEEDaPvRmT3_T4_T5_mT6_P12ihipStream_tbENKUlT_T0_E_clISt17integral_constantIbLb1EESW_IbLb0EEEEDaSS_ST_EUlSS_E0_NS1_11comp_targetILNS1_3genE8ELNS1_11target_archE1030ELNS1_3gpuE2ELNS1_3repE0EEENS1_30default_config_static_selectorELNS0_4arch9wavefront6targetE1EEEvT1_,@function
_ZN7rocprim17ROCPRIM_400000_NS6detail17trampoline_kernelINS0_14default_configENS1_20scan_config_selectorItEEZZNS1_9scan_implILNS1_25lookback_scan_determinismE0ELb1ELb1ES3_N6thrust23THRUST_200600_302600_NS6detail15normal_iteratorINS9_10device_ptrItEEEENS9_16discard_iteratorINS9_11use_defaultEEEt11max_functorItEtEEDaPvRmT3_T4_T5_mT6_P12ihipStream_tbENKUlT_T0_E_clISt17integral_constantIbLb1EESW_IbLb0EEEEDaSS_ST_EUlSS_E0_NS1_11comp_targetILNS1_3genE8ELNS1_11target_archE1030ELNS1_3gpuE2ELNS1_3repE0EEENS1_30default_config_static_selectorELNS0_4arch9wavefront6targetE1EEEvT1_: ; @_ZN7rocprim17ROCPRIM_400000_NS6detail17trampoline_kernelINS0_14default_configENS1_20scan_config_selectorItEEZZNS1_9scan_implILNS1_25lookback_scan_determinismE0ELb1ELb1ES3_N6thrust23THRUST_200600_302600_NS6detail15normal_iteratorINS9_10device_ptrItEEEENS9_16discard_iteratorINS9_11use_defaultEEEt11max_functorItEtEEDaPvRmT3_T4_T5_mT6_P12ihipStream_tbENKUlT_T0_E_clISt17integral_constantIbLb1EESW_IbLb0EEEEDaSS_ST_EUlSS_E0_NS1_11comp_targetILNS1_3genE8ELNS1_11target_archE1030ELNS1_3gpuE2ELNS1_3repE0EEENS1_30default_config_static_selectorELNS0_4arch9wavefront6targetE1EEEvT1_
; %bb.0:
	.section	.rodata,"a",@progbits
	.p2align	6, 0x0
	.amdhsa_kernel _ZN7rocprim17ROCPRIM_400000_NS6detail17trampoline_kernelINS0_14default_configENS1_20scan_config_selectorItEEZZNS1_9scan_implILNS1_25lookback_scan_determinismE0ELb1ELb1ES3_N6thrust23THRUST_200600_302600_NS6detail15normal_iteratorINS9_10device_ptrItEEEENS9_16discard_iteratorINS9_11use_defaultEEEt11max_functorItEtEEDaPvRmT3_T4_T5_mT6_P12ihipStream_tbENKUlT_T0_E_clISt17integral_constantIbLb1EESW_IbLb0EEEEDaSS_ST_EUlSS_E0_NS1_11comp_targetILNS1_3genE8ELNS1_11target_archE1030ELNS1_3gpuE2ELNS1_3repE0EEENS1_30default_config_static_selectorELNS0_4arch9wavefront6targetE1EEEvT1_
		.amdhsa_group_segment_fixed_size 0
		.amdhsa_private_segment_fixed_size 0
		.amdhsa_kernarg_size 40
		.amdhsa_user_sgpr_count 6
		.amdhsa_user_sgpr_private_segment_buffer 1
		.amdhsa_user_sgpr_dispatch_ptr 0
		.amdhsa_user_sgpr_queue_ptr 0
		.amdhsa_user_sgpr_kernarg_segment_ptr 1
		.amdhsa_user_sgpr_dispatch_id 0
		.amdhsa_user_sgpr_flat_scratch_init 0
		.amdhsa_user_sgpr_kernarg_preload_length 0
		.amdhsa_user_sgpr_kernarg_preload_offset 0
		.amdhsa_user_sgpr_private_segment_size 0
		.amdhsa_uses_dynamic_stack 0
		.amdhsa_system_sgpr_private_segment_wavefront_offset 0
		.amdhsa_system_sgpr_workgroup_id_x 1
		.amdhsa_system_sgpr_workgroup_id_y 0
		.amdhsa_system_sgpr_workgroup_id_z 0
		.amdhsa_system_sgpr_workgroup_info 0
		.amdhsa_system_vgpr_workitem_id 0
		.amdhsa_next_free_vgpr 1
		.amdhsa_next_free_sgpr 0
		.amdhsa_accum_offset 4
		.amdhsa_reserve_vcc 0
		.amdhsa_reserve_flat_scratch 0
		.amdhsa_float_round_mode_32 0
		.amdhsa_float_round_mode_16_64 0
		.amdhsa_float_denorm_mode_32 3
		.amdhsa_float_denorm_mode_16_64 3
		.amdhsa_dx10_clamp 1
		.amdhsa_ieee_mode 1
		.amdhsa_fp16_overflow 0
		.amdhsa_tg_split 0
		.amdhsa_exception_fp_ieee_invalid_op 0
		.amdhsa_exception_fp_denorm_src 0
		.amdhsa_exception_fp_ieee_div_zero 0
		.amdhsa_exception_fp_ieee_overflow 0
		.amdhsa_exception_fp_ieee_underflow 0
		.amdhsa_exception_fp_ieee_inexact 0
		.amdhsa_exception_int_div_zero 0
	.end_amdhsa_kernel
	.section	.text._ZN7rocprim17ROCPRIM_400000_NS6detail17trampoline_kernelINS0_14default_configENS1_20scan_config_selectorItEEZZNS1_9scan_implILNS1_25lookback_scan_determinismE0ELb1ELb1ES3_N6thrust23THRUST_200600_302600_NS6detail15normal_iteratorINS9_10device_ptrItEEEENS9_16discard_iteratorINS9_11use_defaultEEEt11max_functorItEtEEDaPvRmT3_T4_T5_mT6_P12ihipStream_tbENKUlT_T0_E_clISt17integral_constantIbLb1EESW_IbLb0EEEEDaSS_ST_EUlSS_E0_NS1_11comp_targetILNS1_3genE8ELNS1_11target_archE1030ELNS1_3gpuE2ELNS1_3repE0EEENS1_30default_config_static_selectorELNS0_4arch9wavefront6targetE1EEEvT1_,"axG",@progbits,_ZN7rocprim17ROCPRIM_400000_NS6detail17trampoline_kernelINS0_14default_configENS1_20scan_config_selectorItEEZZNS1_9scan_implILNS1_25lookback_scan_determinismE0ELb1ELb1ES3_N6thrust23THRUST_200600_302600_NS6detail15normal_iteratorINS9_10device_ptrItEEEENS9_16discard_iteratorINS9_11use_defaultEEEt11max_functorItEtEEDaPvRmT3_T4_T5_mT6_P12ihipStream_tbENKUlT_T0_E_clISt17integral_constantIbLb1EESW_IbLb0EEEEDaSS_ST_EUlSS_E0_NS1_11comp_targetILNS1_3genE8ELNS1_11target_archE1030ELNS1_3gpuE2ELNS1_3repE0EEENS1_30default_config_static_selectorELNS0_4arch9wavefront6targetE1EEEvT1_,comdat
.Lfunc_end3691:
	.size	_ZN7rocprim17ROCPRIM_400000_NS6detail17trampoline_kernelINS0_14default_configENS1_20scan_config_selectorItEEZZNS1_9scan_implILNS1_25lookback_scan_determinismE0ELb1ELb1ES3_N6thrust23THRUST_200600_302600_NS6detail15normal_iteratorINS9_10device_ptrItEEEENS9_16discard_iteratorINS9_11use_defaultEEEt11max_functorItEtEEDaPvRmT3_T4_T5_mT6_P12ihipStream_tbENKUlT_T0_E_clISt17integral_constantIbLb1EESW_IbLb0EEEEDaSS_ST_EUlSS_E0_NS1_11comp_targetILNS1_3genE8ELNS1_11target_archE1030ELNS1_3gpuE2ELNS1_3repE0EEENS1_30default_config_static_selectorELNS0_4arch9wavefront6targetE1EEEvT1_, .Lfunc_end3691-_ZN7rocprim17ROCPRIM_400000_NS6detail17trampoline_kernelINS0_14default_configENS1_20scan_config_selectorItEEZZNS1_9scan_implILNS1_25lookback_scan_determinismE0ELb1ELb1ES3_N6thrust23THRUST_200600_302600_NS6detail15normal_iteratorINS9_10device_ptrItEEEENS9_16discard_iteratorINS9_11use_defaultEEEt11max_functorItEtEEDaPvRmT3_T4_T5_mT6_P12ihipStream_tbENKUlT_T0_E_clISt17integral_constantIbLb1EESW_IbLb0EEEEDaSS_ST_EUlSS_E0_NS1_11comp_targetILNS1_3genE8ELNS1_11target_archE1030ELNS1_3gpuE2ELNS1_3repE0EEENS1_30default_config_static_selectorELNS0_4arch9wavefront6targetE1EEEvT1_
                                        ; -- End function
	.section	.AMDGPU.csdata,"",@progbits
; Kernel info:
; codeLenInByte = 0
; NumSgprs: 4
; NumVgprs: 0
; NumAgprs: 0
; TotalNumVgprs: 0
; ScratchSize: 0
; MemoryBound: 0
; FloatMode: 240
; IeeeMode: 1
; LDSByteSize: 0 bytes/workgroup (compile time only)
; SGPRBlocks: 0
; VGPRBlocks: 0
; NumSGPRsForWavesPerEU: 4
; NumVGPRsForWavesPerEU: 1
; AccumOffset: 4
; Occupancy: 8
; WaveLimiterHint : 0
; COMPUTE_PGM_RSRC2:SCRATCH_EN: 0
; COMPUTE_PGM_RSRC2:USER_SGPR: 6
; COMPUTE_PGM_RSRC2:TRAP_HANDLER: 0
; COMPUTE_PGM_RSRC2:TGID_X_EN: 1
; COMPUTE_PGM_RSRC2:TGID_Y_EN: 0
; COMPUTE_PGM_RSRC2:TGID_Z_EN: 0
; COMPUTE_PGM_RSRC2:TIDIG_COMP_CNT: 0
; COMPUTE_PGM_RSRC3_GFX90A:ACCUM_OFFSET: 0
; COMPUTE_PGM_RSRC3_GFX90A:TG_SPLIT: 0
	.section	.text._ZN7rocprim17ROCPRIM_400000_NS6detail17trampoline_kernelINS0_14default_configENS1_20scan_config_selectorItEEZZNS1_9scan_implILNS1_25lookback_scan_determinismE0ELb1ELb1ES3_N6thrust23THRUST_200600_302600_NS6detail15normal_iteratorINS9_10device_ptrItEEEENS9_16discard_iteratorINS9_11use_defaultEEEt11max_functorItEtEEDaPvRmT3_T4_T5_mT6_P12ihipStream_tbENKUlT_T0_E_clISt17integral_constantIbLb0EESW_IbLb1EEEEDaSS_ST_EUlSS_E_NS1_11comp_targetILNS1_3genE0ELNS1_11target_archE4294967295ELNS1_3gpuE0ELNS1_3repE0EEENS1_30default_config_static_selectorELNS0_4arch9wavefront6targetE1EEEvT1_,"axG",@progbits,_ZN7rocprim17ROCPRIM_400000_NS6detail17trampoline_kernelINS0_14default_configENS1_20scan_config_selectorItEEZZNS1_9scan_implILNS1_25lookback_scan_determinismE0ELb1ELb1ES3_N6thrust23THRUST_200600_302600_NS6detail15normal_iteratorINS9_10device_ptrItEEEENS9_16discard_iteratorINS9_11use_defaultEEEt11max_functorItEtEEDaPvRmT3_T4_T5_mT6_P12ihipStream_tbENKUlT_T0_E_clISt17integral_constantIbLb0EESW_IbLb1EEEEDaSS_ST_EUlSS_E_NS1_11comp_targetILNS1_3genE0ELNS1_11target_archE4294967295ELNS1_3gpuE0ELNS1_3repE0EEENS1_30default_config_static_selectorELNS0_4arch9wavefront6targetE1EEEvT1_,comdat
	.protected	_ZN7rocprim17ROCPRIM_400000_NS6detail17trampoline_kernelINS0_14default_configENS1_20scan_config_selectorItEEZZNS1_9scan_implILNS1_25lookback_scan_determinismE0ELb1ELb1ES3_N6thrust23THRUST_200600_302600_NS6detail15normal_iteratorINS9_10device_ptrItEEEENS9_16discard_iteratorINS9_11use_defaultEEEt11max_functorItEtEEDaPvRmT3_T4_T5_mT6_P12ihipStream_tbENKUlT_T0_E_clISt17integral_constantIbLb0EESW_IbLb1EEEEDaSS_ST_EUlSS_E_NS1_11comp_targetILNS1_3genE0ELNS1_11target_archE4294967295ELNS1_3gpuE0ELNS1_3repE0EEENS1_30default_config_static_selectorELNS0_4arch9wavefront6targetE1EEEvT1_ ; -- Begin function _ZN7rocprim17ROCPRIM_400000_NS6detail17trampoline_kernelINS0_14default_configENS1_20scan_config_selectorItEEZZNS1_9scan_implILNS1_25lookback_scan_determinismE0ELb1ELb1ES3_N6thrust23THRUST_200600_302600_NS6detail15normal_iteratorINS9_10device_ptrItEEEENS9_16discard_iteratorINS9_11use_defaultEEEt11max_functorItEtEEDaPvRmT3_T4_T5_mT6_P12ihipStream_tbENKUlT_T0_E_clISt17integral_constantIbLb0EESW_IbLb1EEEEDaSS_ST_EUlSS_E_NS1_11comp_targetILNS1_3genE0ELNS1_11target_archE4294967295ELNS1_3gpuE0ELNS1_3repE0EEENS1_30default_config_static_selectorELNS0_4arch9wavefront6targetE1EEEvT1_
	.globl	_ZN7rocprim17ROCPRIM_400000_NS6detail17trampoline_kernelINS0_14default_configENS1_20scan_config_selectorItEEZZNS1_9scan_implILNS1_25lookback_scan_determinismE0ELb1ELb1ES3_N6thrust23THRUST_200600_302600_NS6detail15normal_iteratorINS9_10device_ptrItEEEENS9_16discard_iteratorINS9_11use_defaultEEEt11max_functorItEtEEDaPvRmT3_T4_T5_mT6_P12ihipStream_tbENKUlT_T0_E_clISt17integral_constantIbLb0EESW_IbLb1EEEEDaSS_ST_EUlSS_E_NS1_11comp_targetILNS1_3genE0ELNS1_11target_archE4294967295ELNS1_3gpuE0ELNS1_3repE0EEENS1_30default_config_static_selectorELNS0_4arch9wavefront6targetE1EEEvT1_
	.p2align	8
	.type	_ZN7rocprim17ROCPRIM_400000_NS6detail17trampoline_kernelINS0_14default_configENS1_20scan_config_selectorItEEZZNS1_9scan_implILNS1_25lookback_scan_determinismE0ELb1ELb1ES3_N6thrust23THRUST_200600_302600_NS6detail15normal_iteratorINS9_10device_ptrItEEEENS9_16discard_iteratorINS9_11use_defaultEEEt11max_functorItEtEEDaPvRmT3_T4_T5_mT6_P12ihipStream_tbENKUlT_T0_E_clISt17integral_constantIbLb0EESW_IbLb1EEEEDaSS_ST_EUlSS_E_NS1_11comp_targetILNS1_3genE0ELNS1_11target_archE4294967295ELNS1_3gpuE0ELNS1_3repE0EEENS1_30default_config_static_selectorELNS0_4arch9wavefront6targetE1EEEvT1_,@function
_ZN7rocprim17ROCPRIM_400000_NS6detail17trampoline_kernelINS0_14default_configENS1_20scan_config_selectorItEEZZNS1_9scan_implILNS1_25lookback_scan_determinismE0ELb1ELb1ES3_N6thrust23THRUST_200600_302600_NS6detail15normal_iteratorINS9_10device_ptrItEEEENS9_16discard_iteratorINS9_11use_defaultEEEt11max_functorItEtEEDaPvRmT3_T4_T5_mT6_P12ihipStream_tbENKUlT_T0_E_clISt17integral_constantIbLb0EESW_IbLb1EEEEDaSS_ST_EUlSS_E_NS1_11comp_targetILNS1_3genE0ELNS1_11target_archE4294967295ELNS1_3gpuE0ELNS1_3repE0EEENS1_30default_config_static_selectorELNS0_4arch9wavefront6targetE1EEEvT1_: ; @_ZN7rocprim17ROCPRIM_400000_NS6detail17trampoline_kernelINS0_14default_configENS1_20scan_config_selectorItEEZZNS1_9scan_implILNS1_25lookback_scan_determinismE0ELb1ELb1ES3_N6thrust23THRUST_200600_302600_NS6detail15normal_iteratorINS9_10device_ptrItEEEENS9_16discard_iteratorINS9_11use_defaultEEEt11max_functorItEtEEDaPvRmT3_T4_T5_mT6_P12ihipStream_tbENKUlT_T0_E_clISt17integral_constantIbLb0EESW_IbLb1EEEEDaSS_ST_EUlSS_E_NS1_11comp_targetILNS1_3genE0ELNS1_11target_archE4294967295ELNS1_3gpuE0ELNS1_3repE0EEENS1_30default_config_static_selectorELNS0_4arch9wavefront6targetE1EEEvT1_
; %bb.0:
	.section	.rodata,"a",@progbits
	.p2align	6, 0x0
	.amdhsa_kernel _ZN7rocprim17ROCPRIM_400000_NS6detail17trampoline_kernelINS0_14default_configENS1_20scan_config_selectorItEEZZNS1_9scan_implILNS1_25lookback_scan_determinismE0ELb1ELb1ES3_N6thrust23THRUST_200600_302600_NS6detail15normal_iteratorINS9_10device_ptrItEEEENS9_16discard_iteratorINS9_11use_defaultEEEt11max_functorItEtEEDaPvRmT3_T4_T5_mT6_P12ihipStream_tbENKUlT_T0_E_clISt17integral_constantIbLb0EESW_IbLb1EEEEDaSS_ST_EUlSS_E_NS1_11comp_targetILNS1_3genE0ELNS1_11target_archE4294967295ELNS1_3gpuE0ELNS1_3repE0EEENS1_30default_config_static_selectorELNS0_4arch9wavefront6targetE1EEEvT1_
		.amdhsa_group_segment_fixed_size 0
		.amdhsa_private_segment_fixed_size 0
		.amdhsa_kernarg_size 104
		.amdhsa_user_sgpr_count 6
		.amdhsa_user_sgpr_private_segment_buffer 1
		.amdhsa_user_sgpr_dispatch_ptr 0
		.amdhsa_user_sgpr_queue_ptr 0
		.amdhsa_user_sgpr_kernarg_segment_ptr 1
		.amdhsa_user_sgpr_dispatch_id 0
		.amdhsa_user_sgpr_flat_scratch_init 0
		.amdhsa_user_sgpr_kernarg_preload_length 0
		.amdhsa_user_sgpr_kernarg_preload_offset 0
		.amdhsa_user_sgpr_private_segment_size 0
		.amdhsa_uses_dynamic_stack 0
		.amdhsa_system_sgpr_private_segment_wavefront_offset 0
		.amdhsa_system_sgpr_workgroup_id_x 1
		.amdhsa_system_sgpr_workgroup_id_y 0
		.amdhsa_system_sgpr_workgroup_id_z 0
		.amdhsa_system_sgpr_workgroup_info 0
		.amdhsa_system_vgpr_workitem_id 0
		.amdhsa_next_free_vgpr 1
		.amdhsa_next_free_sgpr 0
		.amdhsa_accum_offset 4
		.amdhsa_reserve_vcc 0
		.amdhsa_reserve_flat_scratch 0
		.amdhsa_float_round_mode_32 0
		.amdhsa_float_round_mode_16_64 0
		.amdhsa_float_denorm_mode_32 3
		.amdhsa_float_denorm_mode_16_64 3
		.amdhsa_dx10_clamp 1
		.amdhsa_ieee_mode 1
		.amdhsa_fp16_overflow 0
		.amdhsa_tg_split 0
		.amdhsa_exception_fp_ieee_invalid_op 0
		.amdhsa_exception_fp_denorm_src 0
		.amdhsa_exception_fp_ieee_div_zero 0
		.amdhsa_exception_fp_ieee_overflow 0
		.amdhsa_exception_fp_ieee_underflow 0
		.amdhsa_exception_fp_ieee_inexact 0
		.amdhsa_exception_int_div_zero 0
	.end_amdhsa_kernel
	.section	.text._ZN7rocprim17ROCPRIM_400000_NS6detail17trampoline_kernelINS0_14default_configENS1_20scan_config_selectorItEEZZNS1_9scan_implILNS1_25lookback_scan_determinismE0ELb1ELb1ES3_N6thrust23THRUST_200600_302600_NS6detail15normal_iteratorINS9_10device_ptrItEEEENS9_16discard_iteratorINS9_11use_defaultEEEt11max_functorItEtEEDaPvRmT3_T4_T5_mT6_P12ihipStream_tbENKUlT_T0_E_clISt17integral_constantIbLb0EESW_IbLb1EEEEDaSS_ST_EUlSS_E_NS1_11comp_targetILNS1_3genE0ELNS1_11target_archE4294967295ELNS1_3gpuE0ELNS1_3repE0EEENS1_30default_config_static_selectorELNS0_4arch9wavefront6targetE1EEEvT1_,"axG",@progbits,_ZN7rocprim17ROCPRIM_400000_NS6detail17trampoline_kernelINS0_14default_configENS1_20scan_config_selectorItEEZZNS1_9scan_implILNS1_25lookback_scan_determinismE0ELb1ELb1ES3_N6thrust23THRUST_200600_302600_NS6detail15normal_iteratorINS9_10device_ptrItEEEENS9_16discard_iteratorINS9_11use_defaultEEEt11max_functorItEtEEDaPvRmT3_T4_T5_mT6_P12ihipStream_tbENKUlT_T0_E_clISt17integral_constantIbLb0EESW_IbLb1EEEEDaSS_ST_EUlSS_E_NS1_11comp_targetILNS1_3genE0ELNS1_11target_archE4294967295ELNS1_3gpuE0ELNS1_3repE0EEENS1_30default_config_static_selectorELNS0_4arch9wavefront6targetE1EEEvT1_,comdat
.Lfunc_end3692:
	.size	_ZN7rocprim17ROCPRIM_400000_NS6detail17trampoline_kernelINS0_14default_configENS1_20scan_config_selectorItEEZZNS1_9scan_implILNS1_25lookback_scan_determinismE0ELb1ELb1ES3_N6thrust23THRUST_200600_302600_NS6detail15normal_iteratorINS9_10device_ptrItEEEENS9_16discard_iteratorINS9_11use_defaultEEEt11max_functorItEtEEDaPvRmT3_T4_T5_mT6_P12ihipStream_tbENKUlT_T0_E_clISt17integral_constantIbLb0EESW_IbLb1EEEEDaSS_ST_EUlSS_E_NS1_11comp_targetILNS1_3genE0ELNS1_11target_archE4294967295ELNS1_3gpuE0ELNS1_3repE0EEENS1_30default_config_static_selectorELNS0_4arch9wavefront6targetE1EEEvT1_, .Lfunc_end3692-_ZN7rocprim17ROCPRIM_400000_NS6detail17trampoline_kernelINS0_14default_configENS1_20scan_config_selectorItEEZZNS1_9scan_implILNS1_25lookback_scan_determinismE0ELb1ELb1ES3_N6thrust23THRUST_200600_302600_NS6detail15normal_iteratorINS9_10device_ptrItEEEENS9_16discard_iteratorINS9_11use_defaultEEEt11max_functorItEtEEDaPvRmT3_T4_T5_mT6_P12ihipStream_tbENKUlT_T0_E_clISt17integral_constantIbLb0EESW_IbLb1EEEEDaSS_ST_EUlSS_E_NS1_11comp_targetILNS1_3genE0ELNS1_11target_archE4294967295ELNS1_3gpuE0ELNS1_3repE0EEENS1_30default_config_static_selectorELNS0_4arch9wavefront6targetE1EEEvT1_
                                        ; -- End function
	.section	.AMDGPU.csdata,"",@progbits
; Kernel info:
; codeLenInByte = 0
; NumSgprs: 4
; NumVgprs: 0
; NumAgprs: 0
; TotalNumVgprs: 0
; ScratchSize: 0
; MemoryBound: 0
; FloatMode: 240
; IeeeMode: 1
; LDSByteSize: 0 bytes/workgroup (compile time only)
; SGPRBlocks: 0
; VGPRBlocks: 0
; NumSGPRsForWavesPerEU: 4
; NumVGPRsForWavesPerEU: 1
; AccumOffset: 4
; Occupancy: 8
; WaveLimiterHint : 0
; COMPUTE_PGM_RSRC2:SCRATCH_EN: 0
; COMPUTE_PGM_RSRC2:USER_SGPR: 6
; COMPUTE_PGM_RSRC2:TRAP_HANDLER: 0
; COMPUTE_PGM_RSRC2:TGID_X_EN: 1
; COMPUTE_PGM_RSRC2:TGID_Y_EN: 0
; COMPUTE_PGM_RSRC2:TGID_Z_EN: 0
; COMPUTE_PGM_RSRC2:TIDIG_COMP_CNT: 0
; COMPUTE_PGM_RSRC3_GFX90A:ACCUM_OFFSET: 0
; COMPUTE_PGM_RSRC3_GFX90A:TG_SPLIT: 0
	.section	.text._ZN7rocprim17ROCPRIM_400000_NS6detail17trampoline_kernelINS0_14default_configENS1_20scan_config_selectorItEEZZNS1_9scan_implILNS1_25lookback_scan_determinismE0ELb1ELb1ES3_N6thrust23THRUST_200600_302600_NS6detail15normal_iteratorINS9_10device_ptrItEEEENS9_16discard_iteratorINS9_11use_defaultEEEt11max_functorItEtEEDaPvRmT3_T4_T5_mT6_P12ihipStream_tbENKUlT_T0_E_clISt17integral_constantIbLb0EESW_IbLb1EEEEDaSS_ST_EUlSS_E_NS1_11comp_targetILNS1_3genE5ELNS1_11target_archE942ELNS1_3gpuE9ELNS1_3repE0EEENS1_30default_config_static_selectorELNS0_4arch9wavefront6targetE1EEEvT1_,"axG",@progbits,_ZN7rocprim17ROCPRIM_400000_NS6detail17trampoline_kernelINS0_14default_configENS1_20scan_config_selectorItEEZZNS1_9scan_implILNS1_25lookback_scan_determinismE0ELb1ELb1ES3_N6thrust23THRUST_200600_302600_NS6detail15normal_iteratorINS9_10device_ptrItEEEENS9_16discard_iteratorINS9_11use_defaultEEEt11max_functorItEtEEDaPvRmT3_T4_T5_mT6_P12ihipStream_tbENKUlT_T0_E_clISt17integral_constantIbLb0EESW_IbLb1EEEEDaSS_ST_EUlSS_E_NS1_11comp_targetILNS1_3genE5ELNS1_11target_archE942ELNS1_3gpuE9ELNS1_3repE0EEENS1_30default_config_static_selectorELNS0_4arch9wavefront6targetE1EEEvT1_,comdat
	.protected	_ZN7rocprim17ROCPRIM_400000_NS6detail17trampoline_kernelINS0_14default_configENS1_20scan_config_selectorItEEZZNS1_9scan_implILNS1_25lookback_scan_determinismE0ELb1ELb1ES3_N6thrust23THRUST_200600_302600_NS6detail15normal_iteratorINS9_10device_ptrItEEEENS9_16discard_iteratorINS9_11use_defaultEEEt11max_functorItEtEEDaPvRmT3_T4_T5_mT6_P12ihipStream_tbENKUlT_T0_E_clISt17integral_constantIbLb0EESW_IbLb1EEEEDaSS_ST_EUlSS_E_NS1_11comp_targetILNS1_3genE5ELNS1_11target_archE942ELNS1_3gpuE9ELNS1_3repE0EEENS1_30default_config_static_selectorELNS0_4arch9wavefront6targetE1EEEvT1_ ; -- Begin function _ZN7rocprim17ROCPRIM_400000_NS6detail17trampoline_kernelINS0_14default_configENS1_20scan_config_selectorItEEZZNS1_9scan_implILNS1_25lookback_scan_determinismE0ELb1ELb1ES3_N6thrust23THRUST_200600_302600_NS6detail15normal_iteratorINS9_10device_ptrItEEEENS9_16discard_iteratorINS9_11use_defaultEEEt11max_functorItEtEEDaPvRmT3_T4_T5_mT6_P12ihipStream_tbENKUlT_T0_E_clISt17integral_constantIbLb0EESW_IbLb1EEEEDaSS_ST_EUlSS_E_NS1_11comp_targetILNS1_3genE5ELNS1_11target_archE942ELNS1_3gpuE9ELNS1_3repE0EEENS1_30default_config_static_selectorELNS0_4arch9wavefront6targetE1EEEvT1_
	.globl	_ZN7rocprim17ROCPRIM_400000_NS6detail17trampoline_kernelINS0_14default_configENS1_20scan_config_selectorItEEZZNS1_9scan_implILNS1_25lookback_scan_determinismE0ELb1ELb1ES3_N6thrust23THRUST_200600_302600_NS6detail15normal_iteratorINS9_10device_ptrItEEEENS9_16discard_iteratorINS9_11use_defaultEEEt11max_functorItEtEEDaPvRmT3_T4_T5_mT6_P12ihipStream_tbENKUlT_T0_E_clISt17integral_constantIbLb0EESW_IbLb1EEEEDaSS_ST_EUlSS_E_NS1_11comp_targetILNS1_3genE5ELNS1_11target_archE942ELNS1_3gpuE9ELNS1_3repE0EEENS1_30default_config_static_selectorELNS0_4arch9wavefront6targetE1EEEvT1_
	.p2align	8
	.type	_ZN7rocprim17ROCPRIM_400000_NS6detail17trampoline_kernelINS0_14default_configENS1_20scan_config_selectorItEEZZNS1_9scan_implILNS1_25lookback_scan_determinismE0ELb1ELb1ES3_N6thrust23THRUST_200600_302600_NS6detail15normal_iteratorINS9_10device_ptrItEEEENS9_16discard_iteratorINS9_11use_defaultEEEt11max_functorItEtEEDaPvRmT3_T4_T5_mT6_P12ihipStream_tbENKUlT_T0_E_clISt17integral_constantIbLb0EESW_IbLb1EEEEDaSS_ST_EUlSS_E_NS1_11comp_targetILNS1_3genE5ELNS1_11target_archE942ELNS1_3gpuE9ELNS1_3repE0EEENS1_30default_config_static_selectorELNS0_4arch9wavefront6targetE1EEEvT1_,@function
_ZN7rocprim17ROCPRIM_400000_NS6detail17trampoline_kernelINS0_14default_configENS1_20scan_config_selectorItEEZZNS1_9scan_implILNS1_25lookback_scan_determinismE0ELb1ELb1ES3_N6thrust23THRUST_200600_302600_NS6detail15normal_iteratorINS9_10device_ptrItEEEENS9_16discard_iteratorINS9_11use_defaultEEEt11max_functorItEtEEDaPvRmT3_T4_T5_mT6_P12ihipStream_tbENKUlT_T0_E_clISt17integral_constantIbLb0EESW_IbLb1EEEEDaSS_ST_EUlSS_E_NS1_11comp_targetILNS1_3genE5ELNS1_11target_archE942ELNS1_3gpuE9ELNS1_3repE0EEENS1_30default_config_static_selectorELNS0_4arch9wavefront6targetE1EEEvT1_: ; @_ZN7rocprim17ROCPRIM_400000_NS6detail17trampoline_kernelINS0_14default_configENS1_20scan_config_selectorItEEZZNS1_9scan_implILNS1_25lookback_scan_determinismE0ELb1ELb1ES3_N6thrust23THRUST_200600_302600_NS6detail15normal_iteratorINS9_10device_ptrItEEEENS9_16discard_iteratorINS9_11use_defaultEEEt11max_functorItEtEEDaPvRmT3_T4_T5_mT6_P12ihipStream_tbENKUlT_T0_E_clISt17integral_constantIbLb0EESW_IbLb1EEEEDaSS_ST_EUlSS_E_NS1_11comp_targetILNS1_3genE5ELNS1_11target_archE942ELNS1_3gpuE9ELNS1_3repE0EEENS1_30default_config_static_selectorELNS0_4arch9wavefront6targetE1EEEvT1_
; %bb.0:
	.section	.rodata,"a",@progbits
	.p2align	6, 0x0
	.amdhsa_kernel _ZN7rocprim17ROCPRIM_400000_NS6detail17trampoline_kernelINS0_14default_configENS1_20scan_config_selectorItEEZZNS1_9scan_implILNS1_25lookback_scan_determinismE0ELb1ELb1ES3_N6thrust23THRUST_200600_302600_NS6detail15normal_iteratorINS9_10device_ptrItEEEENS9_16discard_iteratorINS9_11use_defaultEEEt11max_functorItEtEEDaPvRmT3_T4_T5_mT6_P12ihipStream_tbENKUlT_T0_E_clISt17integral_constantIbLb0EESW_IbLb1EEEEDaSS_ST_EUlSS_E_NS1_11comp_targetILNS1_3genE5ELNS1_11target_archE942ELNS1_3gpuE9ELNS1_3repE0EEENS1_30default_config_static_selectorELNS0_4arch9wavefront6targetE1EEEvT1_
		.amdhsa_group_segment_fixed_size 0
		.amdhsa_private_segment_fixed_size 0
		.amdhsa_kernarg_size 104
		.amdhsa_user_sgpr_count 6
		.amdhsa_user_sgpr_private_segment_buffer 1
		.amdhsa_user_sgpr_dispatch_ptr 0
		.amdhsa_user_sgpr_queue_ptr 0
		.amdhsa_user_sgpr_kernarg_segment_ptr 1
		.amdhsa_user_sgpr_dispatch_id 0
		.amdhsa_user_sgpr_flat_scratch_init 0
		.amdhsa_user_sgpr_kernarg_preload_length 0
		.amdhsa_user_sgpr_kernarg_preload_offset 0
		.amdhsa_user_sgpr_private_segment_size 0
		.amdhsa_uses_dynamic_stack 0
		.amdhsa_system_sgpr_private_segment_wavefront_offset 0
		.amdhsa_system_sgpr_workgroup_id_x 1
		.amdhsa_system_sgpr_workgroup_id_y 0
		.amdhsa_system_sgpr_workgroup_id_z 0
		.amdhsa_system_sgpr_workgroup_info 0
		.amdhsa_system_vgpr_workitem_id 0
		.amdhsa_next_free_vgpr 1
		.amdhsa_next_free_sgpr 0
		.amdhsa_accum_offset 4
		.amdhsa_reserve_vcc 0
		.amdhsa_reserve_flat_scratch 0
		.amdhsa_float_round_mode_32 0
		.amdhsa_float_round_mode_16_64 0
		.amdhsa_float_denorm_mode_32 3
		.amdhsa_float_denorm_mode_16_64 3
		.amdhsa_dx10_clamp 1
		.amdhsa_ieee_mode 1
		.amdhsa_fp16_overflow 0
		.amdhsa_tg_split 0
		.amdhsa_exception_fp_ieee_invalid_op 0
		.amdhsa_exception_fp_denorm_src 0
		.amdhsa_exception_fp_ieee_div_zero 0
		.amdhsa_exception_fp_ieee_overflow 0
		.amdhsa_exception_fp_ieee_underflow 0
		.amdhsa_exception_fp_ieee_inexact 0
		.amdhsa_exception_int_div_zero 0
	.end_amdhsa_kernel
	.section	.text._ZN7rocprim17ROCPRIM_400000_NS6detail17trampoline_kernelINS0_14default_configENS1_20scan_config_selectorItEEZZNS1_9scan_implILNS1_25lookback_scan_determinismE0ELb1ELb1ES3_N6thrust23THRUST_200600_302600_NS6detail15normal_iteratorINS9_10device_ptrItEEEENS9_16discard_iteratorINS9_11use_defaultEEEt11max_functorItEtEEDaPvRmT3_T4_T5_mT6_P12ihipStream_tbENKUlT_T0_E_clISt17integral_constantIbLb0EESW_IbLb1EEEEDaSS_ST_EUlSS_E_NS1_11comp_targetILNS1_3genE5ELNS1_11target_archE942ELNS1_3gpuE9ELNS1_3repE0EEENS1_30default_config_static_selectorELNS0_4arch9wavefront6targetE1EEEvT1_,"axG",@progbits,_ZN7rocprim17ROCPRIM_400000_NS6detail17trampoline_kernelINS0_14default_configENS1_20scan_config_selectorItEEZZNS1_9scan_implILNS1_25lookback_scan_determinismE0ELb1ELb1ES3_N6thrust23THRUST_200600_302600_NS6detail15normal_iteratorINS9_10device_ptrItEEEENS9_16discard_iteratorINS9_11use_defaultEEEt11max_functorItEtEEDaPvRmT3_T4_T5_mT6_P12ihipStream_tbENKUlT_T0_E_clISt17integral_constantIbLb0EESW_IbLb1EEEEDaSS_ST_EUlSS_E_NS1_11comp_targetILNS1_3genE5ELNS1_11target_archE942ELNS1_3gpuE9ELNS1_3repE0EEENS1_30default_config_static_selectorELNS0_4arch9wavefront6targetE1EEEvT1_,comdat
.Lfunc_end3693:
	.size	_ZN7rocprim17ROCPRIM_400000_NS6detail17trampoline_kernelINS0_14default_configENS1_20scan_config_selectorItEEZZNS1_9scan_implILNS1_25lookback_scan_determinismE0ELb1ELb1ES3_N6thrust23THRUST_200600_302600_NS6detail15normal_iteratorINS9_10device_ptrItEEEENS9_16discard_iteratorINS9_11use_defaultEEEt11max_functorItEtEEDaPvRmT3_T4_T5_mT6_P12ihipStream_tbENKUlT_T0_E_clISt17integral_constantIbLb0EESW_IbLb1EEEEDaSS_ST_EUlSS_E_NS1_11comp_targetILNS1_3genE5ELNS1_11target_archE942ELNS1_3gpuE9ELNS1_3repE0EEENS1_30default_config_static_selectorELNS0_4arch9wavefront6targetE1EEEvT1_, .Lfunc_end3693-_ZN7rocprim17ROCPRIM_400000_NS6detail17trampoline_kernelINS0_14default_configENS1_20scan_config_selectorItEEZZNS1_9scan_implILNS1_25lookback_scan_determinismE0ELb1ELb1ES3_N6thrust23THRUST_200600_302600_NS6detail15normal_iteratorINS9_10device_ptrItEEEENS9_16discard_iteratorINS9_11use_defaultEEEt11max_functorItEtEEDaPvRmT3_T4_T5_mT6_P12ihipStream_tbENKUlT_T0_E_clISt17integral_constantIbLb0EESW_IbLb1EEEEDaSS_ST_EUlSS_E_NS1_11comp_targetILNS1_3genE5ELNS1_11target_archE942ELNS1_3gpuE9ELNS1_3repE0EEENS1_30default_config_static_selectorELNS0_4arch9wavefront6targetE1EEEvT1_
                                        ; -- End function
	.section	.AMDGPU.csdata,"",@progbits
; Kernel info:
; codeLenInByte = 0
; NumSgprs: 4
; NumVgprs: 0
; NumAgprs: 0
; TotalNumVgprs: 0
; ScratchSize: 0
; MemoryBound: 0
; FloatMode: 240
; IeeeMode: 1
; LDSByteSize: 0 bytes/workgroup (compile time only)
; SGPRBlocks: 0
; VGPRBlocks: 0
; NumSGPRsForWavesPerEU: 4
; NumVGPRsForWavesPerEU: 1
; AccumOffset: 4
; Occupancy: 8
; WaveLimiterHint : 0
; COMPUTE_PGM_RSRC2:SCRATCH_EN: 0
; COMPUTE_PGM_RSRC2:USER_SGPR: 6
; COMPUTE_PGM_RSRC2:TRAP_HANDLER: 0
; COMPUTE_PGM_RSRC2:TGID_X_EN: 1
; COMPUTE_PGM_RSRC2:TGID_Y_EN: 0
; COMPUTE_PGM_RSRC2:TGID_Z_EN: 0
; COMPUTE_PGM_RSRC2:TIDIG_COMP_CNT: 0
; COMPUTE_PGM_RSRC3_GFX90A:ACCUM_OFFSET: 0
; COMPUTE_PGM_RSRC3_GFX90A:TG_SPLIT: 0
	.section	.text._ZN7rocprim17ROCPRIM_400000_NS6detail17trampoline_kernelINS0_14default_configENS1_20scan_config_selectorItEEZZNS1_9scan_implILNS1_25lookback_scan_determinismE0ELb1ELb1ES3_N6thrust23THRUST_200600_302600_NS6detail15normal_iteratorINS9_10device_ptrItEEEENS9_16discard_iteratorINS9_11use_defaultEEEt11max_functorItEtEEDaPvRmT3_T4_T5_mT6_P12ihipStream_tbENKUlT_T0_E_clISt17integral_constantIbLb0EESW_IbLb1EEEEDaSS_ST_EUlSS_E_NS1_11comp_targetILNS1_3genE4ELNS1_11target_archE910ELNS1_3gpuE8ELNS1_3repE0EEENS1_30default_config_static_selectorELNS0_4arch9wavefront6targetE1EEEvT1_,"axG",@progbits,_ZN7rocprim17ROCPRIM_400000_NS6detail17trampoline_kernelINS0_14default_configENS1_20scan_config_selectorItEEZZNS1_9scan_implILNS1_25lookback_scan_determinismE0ELb1ELb1ES3_N6thrust23THRUST_200600_302600_NS6detail15normal_iteratorINS9_10device_ptrItEEEENS9_16discard_iteratorINS9_11use_defaultEEEt11max_functorItEtEEDaPvRmT3_T4_T5_mT6_P12ihipStream_tbENKUlT_T0_E_clISt17integral_constantIbLb0EESW_IbLb1EEEEDaSS_ST_EUlSS_E_NS1_11comp_targetILNS1_3genE4ELNS1_11target_archE910ELNS1_3gpuE8ELNS1_3repE0EEENS1_30default_config_static_selectorELNS0_4arch9wavefront6targetE1EEEvT1_,comdat
	.protected	_ZN7rocprim17ROCPRIM_400000_NS6detail17trampoline_kernelINS0_14default_configENS1_20scan_config_selectorItEEZZNS1_9scan_implILNS1_25lookback_scan_determinismE0ELb1ELb1ES3_N6thrust23THRUST_200600_302600_NS6detail15normal_iteratorINS9_10device_ptrItEEEENS9_16discard_iteratorINS9_11use_defaultEEEt11max_functorItEtEEDaPvRmT3_T4_T5_mT6_P12ihipStream_tbENKUlT_T0_E_clISt17integral_constantIbLb0EESW_IbLb1EEEEDaSS_ST_EUlSS_E_NS1_11comp_targetILNS1_3genE4ELNS1_11target_archE910ELNS1_3gpuE8ELNS1_3repE0EEENS1_30default_config_static_selectorELNS0_4arch9wavefront6targetE1EEEvT1_ ; -- Begin function _ZN7rocprim17ROCPRIM_400000_NS6detail17trampoline_kernelINS0_14default_configENS1_20scan_config_selectorItEEZZNS1_9scan_implILNS1_25lookback_scan_determinismE0ELb1ELb1ES3_N6thrust23THRUST_200600_302600_NS6detail15normal_iteratorINS9_10device_ptrItEEEENS9_16discard_iteratorINS9_11use_defaultEEEt11max_functorItEtEEDaPvRmT3_T4_T5_mT6_P12ihipStream_tbENKUlT_T0_E_clISt17integral_constantIbLb0EESW_IbLb1EEEEDaSS_ST_EUlSS_E_NS1_11comp_targetILNS1_3genE4ELNS1_11target_archE910ELNS1_3gpuE8ELNS1_3repE0EEENS1_30default_config_static_selectorELNS0_4arch9wavefront6targetE1EEEvT1_
	.globl	_ZN7rocprim17ROCPRIM_400000_NS6detail17trampoline_kernelINS0_14default_configENS1_20scan_config_selectorItEEZZNS1_9scan_implILNS1_25lookback_scan_determinismE0ELb1ELb1ES3_N6thrust23THRUST_200600_302600_NS6detail15normal_iteratorINS9_10device_ptrItEEEENS9_16discard_iteratorINS9_11use_defaultEEEt11max_functorItEtEEDaPvRmT3_T4_T5_mT6_P12ihipStream_tbENKUlT_T0_E_clISt17integral_constantIbLb0EESW_IbLb1EEEEDaSS_ST_EUlSS_E_NS1_11comp_targetILNS1_3genE4ELNS1_11target_archE910ELNS1_3gpuE8ELNS1_3repE0EEENS1_30default_config_static_selectorELNS0_4arch9wavefront6targetE1EEEvT1_
	.p2align	8
	.type	_ZN7rocprim17ROCPRIM_400000_NS6detail17trampoline_kernelINS0_14default_configENS1_20scan_config_selectorItEEZZNS1_9scan_implILNS1_25lookback_scan_determinismE0ELb1ELb1ES3_N6thrust23THRUST_200600_302600_NS6detail15normal_iteratorINS9_10device_ptrItEEEENS9_16discard_iteratorINS9_11use_defaultEEEt11max_functorItEtEEDaPvRmT3_T4_T5_mT6_P12ihipStream_tbENKUlT_T0_E_clISt17integral_constantIbLb0EESW_IbLb1EEEEDaSS_ST_EUlSS_E_NS1_11comp_targetILNS1_3genE4ELNS1_11target_archE910ELNS1_3gpuE8ELNS1_3repE0EEENS1_30default_config_static_selectorELNS0_4arch9wavefront6targetE1EEEvT1_,@function
_ZN7rocprim17ROCPRIM_400000_NS6detail17trampoline_kernelINS0_14default_configENS1_20scan_config_selectorItEEZZNS1_9scan_implILNS1_25lookback_scan_determinismE0ELb1ELb1ES3_N6thrust23THRUST_200600_302600_NS6detail15normal_iteratorINS9_10device_ptrItEEEENS9_16discard_iteratorINS9_11use_defaultEEEt11max_functorItEtEEDaPvRmT3_T4_T5_mT6_P12ihipStream_tbENKUlT_T0_E_clISt17integral_constantIbLb0EESW_IbLb1EEEEDaSS_ST_EUlSS_E_NS1_11comp_targetILNS1_3genE4ELNS1_11target_archE910ELNS1_3gpuE8ELNS1_3repE0EEENS1_30default_config_static_selectorELNS0_4arch9wavefront6targetE1EEEvT1_: ; @_ZN7rocprim17ROCPRIM_400000_NS6detail17trampoline_kernelINS0_14default_configENS1_20scan_config_selectorItEEZZNS1_9scan_implILNS1_25lookback_scan_determinismE0ELb1ELb1ES3_N6thrust23THRUST_200600_302600_NS6detail15normal_iteratorINS9_10device_ptrItEEEENS9_16discard_iteratorINS9_11use_defaultEEEt11max_functorItEtEEDaPvRmT3_T4_T5_mT6_P12ihipStream_tbENKUlT_T0_E_clISt17integral_constantIbLb0EESW_IbLb1EEEEDaSS_ST_EUlSS_E_NS1_11comp_targetILNS1_3genE4ELNS1_11target_archE910ELNS1_3gpuE8ELNS1_3repE0EEENS1_30default_config_static_selectorELNS0_4arch9wavefront6targetE1EEEvT1_
; %bb.0:
	s_load_dwordx2 s[2:3], s[4:5], 0x20
	s_load_dword s28, s[4:5], 0x28
	s_load_dwordx2 s[22:23], s[4:5], 0x30
	v_cmp_eq_u32_e64 s[0:1], 0, v0
	s_and_saveexec_b64 s[6:7], s[0:1]
	s_cbranch_execz .LBB3694_4
; %bb.1:
	s_mov_b64 s[10:11], exec
	v_mbcnt_lo_u32_b32 v1, s10, 0
	v_mbcnt_hi_u32_b32 v1, s11, v1
	v_cmp_eq_u32_e32 vcc, 0, v1
                                        ; implicit-def: $vgpr2
	s_and_saveexec_b64 s[8:9], vcc
	s_cbranch_execz .LBB3694_3
; %bb.2:
	s_load_dwordx2 s[12:13], s[4:5], 0x60
	s_bcnt1_i32_b64 s10, s[10:11]
	v_mov_b32_e32 v2, 0
	v_mov_b32_e32 v3, s10
	s_waitcnt lgkmcnt(0)
	global_atomic_add v2, v2, v3, s[12:13] glc
.LBB3694_3:
	s_or_b64 exec, exec, s[8:9]
	s_waitcnt vmcnt(0)
	v_readfirstlane_b32 s8, v2
	v_add_u32_e32 v1, s8, v1
	v_mov_b32_e32 v2, 0
	ds_write_b32 v2, v1
.LBB3694_4:
	s_or_b64 exec, exec, s[6:7]
	v_mov_b32_e32 v3, 0
	s_load_dwordx4 s[8:11], s[4:5], 0x0
	s_load_dword s6, s[4:5], 0x38
	s_load_dwordx8 s[12:19], s[4:5], 0x40
	s_waitcnt lgkmcnt(0)
	; wave barrier
	s_waitcnt lgkmcnt(0)
	ds_read_b32 v1, v3
	s_lshl_b64 s[4:5], s[10:11], 1
	s_add_u32 s29, s8, s4
	s_movk_i32 s4, 0x600
	s_addc_u32 s30, s9, s5
	s_waitcnt lgkmcnt(0)
	v_mul_lo_u32 v2, v1, s4
	s_add_i32 s4, s6, -1
	s_mul_i32 s5, s4, 0x600
	s_sub_u32 s26, s2, s5
	v_readfirstlane_b32 s31, v1
	s_subb_u32 s27, s3, 0
	v_lshlrev_b64 v[2:3], 1, v[2:3]
	s_cmp_lg_u32 s31, s4
	v_mov_b32_e32 v1, s30
	v_add_co_u32_e32 v2, vcc, s29, v2
	s_cselect_b64 s[20:21], -1, 0
	v_addc_co_u32_e32 v3, vcc, v1, v3, vcc
	s_mov_b64 s[2:3], -1
	s_and_b64 vcc, exec, s[20:21]
	v_lshlrev_b32_e32 v1, 1, v0
	s_waitcnt lgkmcnt(0)
	; wave barrier
	s_cbranch_vccz .LBB3694_6
; %bb.5:
	v_add_co_u32_e32 v4, vcc, v2, v1
	v_addc_co_u32_e32 v5, vcc, 0, v3, vcc
	flat_load_ushort v6, v[4:5]
	flat_load_ushort v7, v[4:5] offset:128
	flat_load_ushort v8, v[4:5] offset:256
	;; [unrolled: 1-line block ×23, first 2 shown]
	s_mov_b64 s[2:3], 0
	s_waitcnt vmcnt(0) lgkmcnt(0)
	ds_write_b16 v1, v6
	ds_write_b16 v1, v7 offset:128
	ds_write_b16 v1, v8 offset:256
	;; [unrolled: 1-line block ×23, first 2 shown]
	s_waitcnt lgkmcnt(0)
	; wave barrier
.LBB3694_6:
	s_andn2_b64 vcc, exec, s[2:3]
	s_cbranch_vccnz .LBB3694_56
; %bb.7:
	flat_load_ushort v4, v[2:3]
	v_cmp_gt_u32_e32 vcc, s26, v0
	s_waitcnt vmcnt(0) lgkmcnt(0)
	v_mov_b32_e32 v5, v4
	s_and_saveexec_b64 s[2:3], vcc
	s_cbranch_execz .LBB3694_9
; %bb.8:
	v_add_co_u32_e32 v6, vcc, v2, v1
	v_addc_co_u32_e32 v7, vcc, 0, v3, vcc
	flat_load_ushort v5, v[6:7]
.LBB3694_9:
	s_or_b64 exec, exec, s[2:3]
	v_or_b32_e32 v6, 64, v0
	v_cmp_gt_u32_e32 vcc, s26, v6
	v_mov_b32_e32 v6, v4
	s_and_saveexec_b64 s[2:3], vcc
	s_cbranch_execz .LBB3694_11
; %bb.10:
	v_add_co_u32_e32 v6, vcc, v2, v1
	v_addc_co_u32_e32 v7, vcc, 0, v3, vcc
	flat_load_ushort v6, v[6:7] offset:128
.LBB3694_11:
	s_or_b64 exec, exec, s[2:3]
	v_or_b32_e32 v7, 0x80, v0
	v_cmp_gt_u32_e32 vcc, s26, v7
	v_mov_b32_e32 v7, v4
	s_and_saveexec_b64 s[2:3], vcc
	s_cbranch_execz .LBB3694_13
; %bb.12:
	v_add_co_u32_e32 v8, vcc, v2, v1
	v_addc_co_u32_e32 v9, vcc, 0, v3, vcc
	flat_load_ushort v7, v[8:9] offset:256
.LBB3694_13:
	;; [unrolled: 11-line block ×22, first 2 shown]
	s_or_b64 exec, exec, s[2:3]
	v_or_b32_e32 v28, 0x5c0, v0
	v_cmp_gt_u32_e32 vcc, s26, v28
	s_and_saveexec_b64 s[2:3], vcc
	s_cbranch_execz .LBB3694_55
; %bb.54:
	v_add_co_u32_e32 v2, vcc, v2, v1
	v_addc_co_u32_e32 v3, vcc, 0, v3, vcc
	flat_load_ushort v4, v[2:3] offset:2944
.LBB3694_55:
	s_or_b64 exec, exec, s[2:3]
	s_waitcnt vmcnt(0) lgkmcnt(0)
	ds_write_b16 v1, v5
	ds_write_b16 v1, v6 offset:128
	ds_write_b16 v1, v7 offset:256
	ds_write_b16 v1, v8 offset:384
	ds_write_b16 v1, v9 offset:512
	ds_write_b16 v1, v10 offset:640
	ds_write_b16 v1, v11 offset:768
	ds_write_b16 v1, v12 offset:896
	ds_write_b16 v1, v13 offset:1024
	ds_write_b16 v1, v14 offset:1152
	ds_write_b16 v1, v15 offset:1280
	ds_write_b16 v1, v16 offset:1408
	ds_write_b16 v1, v17 offset:1536
	ds_write_b16 v1, v18 offset:1664
	ds_write_b16 v1, v19 offset:1792
	ds_write_b16 v1, v20 offset:1920
	ds_write_b16 v1, v21 offset:2048
	ds_write_b16 v1, v22 offset:2176
	ds_write_b16 v1, v23 offset:2304
	ds_write_b16 v1, v24 offset:2432
	ds_write_b16 v1, v25 offset:2560
	ds_write_b16 v1, v26 offset:2688
	ds_write_b16 v1, v27 offset:2816
	ds_write_b16 v1, v4 offset:2944
	s_waitcnt lgkmcnt(0)
	; wave barrier
.LBB3694_56:
	v_mul_u32_u24_e32 v20, 24, v0
	v_lshlrev_b32_e32 v21, 1, v20
	s_waitcnt lgkmcnt(0)
	ds_read_b128 v[10:13], v21
	ds_read_b128 v[6:9], v21 offset:16
	ds_read_b128 v[2:5], v21 offset:32
	s_cmp_lg_u32 s31, 0
	v_mbcnt_lo_u32_b32 v32, -1, 0
	s_waitcnt lgkmcnt(2)
	v_lshrrev_b32_e32 v30, 16, v11
	v_max_u16_sdwa v14, v10, v10 dst_sel:DWORD dst_unused:UNUSED_PAD src0_sel:DWORD src1_sel:WORD_1
	v_lshrrev_b32_e32 v29, 16, v12
	v_lshrrev_b32_e32 v28, 16, v13
	s_waitcnt lgkmcnt(1)
	v_lshrrev_b32_e32 v27, 16, v6
	v_lshrrev_b32_e32 v26, 16, v7
	;; [unrolled: 1-line block ×4, first 2 shown]
	s_waitcnt lgkmcnt(0)
	v_lshrrev_b32_e32 v23, 16, v2
	v_lshrrev_b32_e32 v22, 16, v3
	;; [unrolled: 1-line block ×4, first 2 shown]
	v_max3_u16 v33, v14, v11, v30
	v_cmp_eq_u32_e32 vcc, 63, v0
	s_waitcnt lgkmcnt(0)
	; wave barrier
	s_cbranch_scc0 .LBB3694_79
; %bb.57:
	v_max3_u16 v14, v33, v12, v29
	v_max3_u16 v14, v14, v13, v28
	;; [unrolled: 1-line block ×10, first 2 shown]
	v_mbcnt_hi_u32_b32 v15, -1, v32
	v_and_b32_e32 v17, 0xffff, v14
	v_and_b32_e32 v16, 15, v15
	v_cmp_eq_u32_e64 s[2:3], 0, v16
	v_mov_b32_dpp v17, v17 row_shr:1 row_mask:0xf bank_mask:0xf
	v_max_u16_e32 v17, v17, v14
	v_cndmask_b32_e64 v14, v17, v14, s[2:3]
	v_and_b32_e32 v17, 0xffff, v14
	v_cmp_lt_u32_e64 s[2:3], 1, v16
	s_nop 0
	v_mov_b32_dpp v17, v17 row_shr:2 row_mask:0xf bank_mask:0xf
	v_max_u16_e32 v17, v17, v14
	v_cndmask_b32_e64 v14, v14, v17, s[2:3]
	v_and_b32_e32 v17, 0xffff, v14
	v_cmp_lt_u32_e64 s[2:3], 3, v16
	s_nop 0
	;; [unrolled: 6-line block ×3, first 2 shown]
	v_mov_b32_dpp v17, v17 row_shr:8 row_mask:0xf bank_mask:0xf
	v_max_u16_e32 v17, v17, v14
	v_cndmask_b32_e64 v14, v14, v17, s[2:3]
	v_and_b32_e32 v16, 0xffff, v14
	v_and_b32_e32 v17, 16, v15
	v_cmp_eq_u32_e64 s[2:3], 0, v17
	v_mov_b32_dpp v16, v16 row_bcast:15 row_mask:0xf bank_mask:0xf
	v_max_u16_e32 v16, v16, v14
	v_cndmask_b32_e64 v14, v16, v14, s[2:3]
	v_and_b32_e32 v16, 0xffff, v14
	v_cmp_lt_u32_e64 s[2:3], 31, v15
	s_nop 0
	v_mov_b32_dpp v16, v16 row_bcast:31 row_mask:0xf bank_mask:0xf
	v_max_u16_e32 v16, v16, v14
	v_cndmask_b32_e64 v14, v14, v16, s[2:3]
	s_and_saveexec_b64 s[2:3], vcc
	s_cbranch_execz .LBB3694_59
; %bb.58:
	v_mov_b32_e32 v16, 0
	ds_write_b16 v16, v14
.LBB3694_59:
	s_or_b64 exec, exec, s[2:3]
	v_add_u32_e32 v16, -1, v15
	v_and_b32_e32 v17, 64, v15
	v_cmp_lt_i32_e32 vcc, v16, v17
	v_cndmask_b32_e32 v16, v16, v15, vcc
	v_and_b32_e32 v14, 0xffff, v14
	v_lshlrev_b32_e32 v16, 2, v16
	ds_bpermute_b32 v34, v16, v14
	v_cmp_gt_u32_e32 vcc, 64, v0
	s_waitcnt lgkmcnt(0)
	; wave barrier
	s_waitcnt lgkmcnt(0)
	s_and_saveexec_b64 s[24:25], vcc
	s_cbranch_execz .LBB3694_78
; %bb.60:
	v_mov_b32_e32 v17, 0
	ds_read_u16 v35, v17
	s_mov_b32 s7, 0
	v_cmp_eq_u32_e64 s[2:3], 0, v15
	s_and_saveexec_b64 s[4:5], s[2:3]
	s_cbranch_execz .LBB3694_62
; %bb.61:
	s_add_i32 s6, s31, 64
	s_lshl_b64 s[6:7], s[6:7], 2
	s_add_u32 s6, s22, s6
	s_waitcnt lgkmcnt(0)
	v_or_b32_e32 v14, 0x10000, v35
	s_addc_u32 s7, s23, s7
	global_store_dword v17, v14, s[6:7]
.LBB3694_62:
	s_or_b64 exec, exec, s[4:5]
	v_xad_u32 v14, v15, -1, s31
	v_add_u32_e32 v16, 64, v14
	v_lshlrev_b64 v[18:19], 2, v[16:17]
	v_mov_b32_e32 v16, s23
	v_add_co_u32_e32 v18, vcc, s22, v18
	v_addc_co_u32_e32 v19, vcc, v16, v19, vcc
	global_load_dword v48, v[18:19], off glc
	s_waitcnt vmcnt(0)
	v_lshrrev_b32_e32 v37, 16, v48
	v_cmp_eq_u16_sdwa s[6:7], v37, v17 src0_sel:BYTE_0 src1_sel:DWORD
	s_and_saveexec_b64 s[4:5], s[6:7]
	s_cbranch_execz .LBB3694_66
; %bb.63:
	s_mov_b64 s[6:7], 0
	v_mov_b32_e32 v16, 0
.LBB3694_64:                            ; =>This Inner Loop Header: Depth=1
	global_load_dword v48, v[18:19], off glc
	s_waitcnt vmcnt(0)
	v_lshrrev_b32_e32 v37, 16, v48
	v_cmp_ne_u16_sdwa s[8:9], v37, v16 src0_sel:BYTE_0 src1_sel:DWORD
	s_or_b64 s[6:7], s[8:9], s[6:7]
	s_andn2_b64 exec, exec, s[6:7]
	s_cbranch_execnz .LBB3694_64
; %bb.65:
	s_or_b64 exec, exec, s[6:7]
.LBB3694_66:
	s_or_b64 exec, exec, s[4:5]
	v_and_b32_e32 v38, 63, v15
	v_cmp_ne_u32_e32 vcc, 63, v38
	v_mov_b32_e32 v36, 2
	v_addc_co_u32_e32 v39, vcc, 0, v15, vcc
	v_cmp_eq_u16_sdwa s[4:5], v37, v36 src0_sel:BYTE_0 src1_sel:DWORD
	v_lshlrev_b64 v[16:17], v15, -1
	v_and_b32_e32 v40, 0xffff, v48
	v_lshlrev_b32_e32 v39, 2, v39
	v_and_b32_e32 v18, s5, v17
	ds_bpermute_b32 v41, v39, v40
	v_or_b32_e32 v18, 0x80000000, v18
	v_and_b32_e32 v19, s4, v16
	v_ffbl_b32_e32 v18, v18
	v_add_u32_e32 v18, 32, v18
	v_ffbl_b32_e32 v19, v19
	v_min_u32_e32 v18, v19, v18
	s_waitcnt lgkmcnt(0)
	v_max_u16_e32 v19, v41, v48
	v_cmp_lt_u32_e32 vcc, v38, v18
	v_cmp_gt_u32_e64 s[4:5], 62, v38
	v_cndmask_b32_e32 v42, v40, v19, vcc
	v_cndmask_b32_e64 v40, 0, 1, s[4:5]
	v_lshlrev_b32_e32 v40, 1, v40
	v_add_lshl_u32 v40, v40, v15, 2
	ds_bpermute_b32 v43, v40, v42
	v_cndmask_b32_e32 v19, v48, v19, vcc
	v_add_u32_e32 v41, 2, v38
	v_cmp_gt_u32_e64 s[4:5], v41, v18
	v_cmp_gt_u32_e64 s[6:7], 60, v38
	s_waitcnt lgkmcnt(0)
	v_max_u16_e32 v43, v43, v19
	v_cndmask_b32_e64 v44, v43, v42, s[4:5]
	v_cndmask_b32_e64 v42, 0, 1, s[6:7]
	v_lshlrev_b32_e32 v42, 2, v42
	v_add_lshl_u32 v42, v42, v15, 2
	ds_bpermute_b32 v45, v42, v44
	v_cndmask_b32_e64 v19, v43, v19, s[4:5]
	v_add_u32_e32 v43, 4, v38
	v_cmp_gt_u32_e64 s[4:5], v43, v18
	v_cmp_gt_u32_e64 s[6:7], 56, v38
	s_waitcnt lgkmcnt(0)
	v_max_u16_e32 v51, v45, v19
	v_cndmask_b32_e64 v46, v51, v44, s[4:5]
	v_cndmask_b32_e64 v44, 0, 1, s[6:7]
	v_lshlrev_b32_e32 v44, 3, v44
	v_add_lshl_u32 v44, v44, v15, 2
	ds_bpermute_b32 v47, v44, v46
	v_cndmask_b32_e64 v49, v51, v19, s[4:5]
	v_add_u32_e32 v45, 8, v38
	v_cmp_gt_u32_e64 s[6:7], v45, v18
	v_cmp_gt_u32_e64 s[8:9], 48, v38
	s_waitcnt lgkmcnt(0)
	v_max_u16_e32 v52, v47, v49
	v_cndmask_b32_e64 v50, v52, v46, s[6:7]
	v_cndmask_b32_e64 v46, 0, 1, s[8:9]
	v_lshlrev_b32_e32 v46, 4, v46
	v_add_lshl_u32 v46, v46, v15, 2
	ds_bpermute_b32 v53, v46, v50
	v_cmp_gt_u32_e64 s[10:11], 32, v38
	v_cndmask_b32_e64 v54, v52, v49, s[6:7]
	v_add_u32_e32 v47, 16, v38
	v_cndmask_b32_e64 v49, 0, 1, s[10:11]
	s_waitcnt lgkmcnt(0)
	v_max_u16_e32 v53, v53, v54
	v_cmp_gt_u32_e64 s[8:9], v47, v18
	v_lshlrev_b32_e32 v49, 5, v49
	v_cndmask_b32_e64 v50, v53, v50, s[8:9]
	v_add_lshl_u32 v49, v49, v15, 2
	ds_bpermute_b32 v15, v49, v50
	v_cndmask_b32_e32 v19, v48, v19, vcc
	v_cndmask_b32_e64 v19, v51, v19, s[4:5]
	v_add_u32_e32 v50, 32, v38
	v_cndmask_b32_e64 v54, v53, v54, s[8:9]
	v_cndmask_b32_e64 v19, v52, v19, s[6:7]
	s_waitcnt lgkmcnt(0)
	v_max_u16_e32 v15, v15, v54
	v_cndmask_b32_e64 v19, v53, v19, s[8:9]
	v_cmp_gt_u32_e32 vcc, v50, v18
	v_cndmask_b32_e32 v18, v15, v19, vcc
	v_mov_b32_e32 v15, 0
	s_branch .LBB3694_68
.LBB3694_67:                            ;   in Loop: Header=BB3694_68 Depth=1
	s_or_b64 exec, exec, s[4:5]
	v_cmp_eq_u16_sdwa s[4:5], v37, v36 src0_sel:BYTE_0 src1_sel:DWORD
	v_and_b32_e32 v52, 0xffff, v51
	v_and_b32_e32 v18, s5, v17
	ds_bpermute_b32 v53, v39, v52
	v_or_b32_e32 v18, 0x80000000, v18
	v_and_b32_e32 v19, s4, v16
	v_ffbl_b32_e32 v18, v18
	v_add_u32_e32 v18, 32, v18
	v_ffbl_b32_e32 v19, v19
	v_min_u32_e32 v18, v19, v18
	s_waitcnt lgkmcnt(0)
	v_max_u16_e32 v19, v53, v51
	v_cmp_lt_u32_e32 vcc, v38, v18
	v_cndmask_b32_e32 v52, v52, v19, vcc
	ds_bpermute_b32 v53, v40, v52
	v_cndmask_b32_e32 v19, v51, v19, vcc
	v_cmp_gt_u32_e64 s[4:5], v41, v18
	v_cmp_gt_u32_e64 s[6:7], v45, v18
	v_subrev_u32_e32 v14, 64, v14
	s_waitcnt lgkmcnt(0)
	v_max_u16_e32 v53, v53, v19
	v_cndmask_b32_e64 v52, v53, v52, s[4:5]
	ds_bpermute_b32 v54, v42, v52
	v_cndmask_b32_e64 v19, v53, v19, s[4:5]
	v_cmp_gt_u32_e64 s[4:5], v43, v18
	s_waitcnt lgkmcnt(0)
	v_max_u16_e32 v53, v54, v19
	v_cndmask_b32_e64 v52, v53, v52, s[4:5]
	ds_bpermute_b32 v54, v44, v52
	v_cndmask_b32_e64 v55, v53, v19, s[4:5]
	v_cndmask_b32_e32 v19, v51, v19, vcc
	v_cmp_gt_u32_e32 vcc, v47, v18
	v_cndmask_b32_e64 v19, v53, v19, s[4:5]
	s_waitcnt lgkmcnt(0)
	v_max_u16_e32 v54, v54, v55
	v_cndmask_b32_e64 v52, v54, v52, s[6:7]
	ds_bpermute_b32 v56, v46, v52
	v_cndmask_b32_e64 v51, v54, v55, s[6:7]
	v_cndmask_b32_e64 v19, v54, v19, s[6:7]
	s_waitcnt lgkmcnt(0)
	v_max_u16_e32 v55, v56, v51
	v_cndmask_b32_e32 v52, v55, v52, vcc
	ds_bpermute_b32 v52, v49, v52
	v_cndmask_b32_e32 v51, v55, v51, vcc
	v_cndmask_b32_e32 v19, v55, v19, vcc
	v_cmp_gt_u32_e32 vcc, v50, v18
	s_waitcnt lgkmcnt(0)
	v_max_u16_e32 v51, v52, v51
	v_cndmask_b32_e32 v18, v51, v19, vcc
	v_max_u16_e32 v18, v18, v48
.LBB3694_68:                            ; =>This Loop Header: Depth=1
                                        ;     Child Loop BB3694_71 Depth 2
	v_cmp_ne_u16_sdwa s[4:5], v37, v36 src0_sel:BYTE_0 src1_sel:DWORD
	v_cndmask_b32_e64 v19, 0, 1, s[4:5]
	;;#ASMSTART
	;;#ASMEND
	v_cmp_ne_u32_e32 vcc, 0, v19
	s_cmp_lg_u64 vcc, exec
	v_mov_b32_e32 v48, v18
	s_cbranch_scc1 .LBB3694_73
; %bb.69:                               ;   in Loop: Header=BB3694_68 Depth=1
	v_lshlrev_b64 v[18:19], 2, v[14:15]
	v_mov_b32_e32 v37, s23
	v_add_co_u32_e32 v18, vcc, s22, v18
	v_addc_co_u32_e32 v19, vcc, v37, v19, vcc
	global_load_dword v51, v[18:19], off glc
	s_waitcnt vmcnt(0)
	v_lshrrev_b32_e32 v37, 16, v51
	v_cmp_eq_u16_sdwa s[6:7], v37, v15 src0_sel:BYTE_0 src1_sel:DWORD
	s_and_saveexec_b64 s[4:5], s[6:7]
	s_cbranch_execz .LBB3694_67
; %bb.70:                               ;   in Loop: Header=BB3694_68 Depth=1
	s_mov_b64 s[6:7], 0
.LBB3694_71:                            ;   Parent Loop BB3694_68 Depth=1
                                        ; =>  This Inner Loop Header: Depth=2
	global_load_dword v51, v[18:19], off glc
	s_waitcnt vmcnt(0)
	v_lshrrev_b32_e32 v37, 16, v51
	v_cmp_ne_u16_sdwa s[8:9], v37, v15 src0_sel:BYTE_0 src1_sel:DWORD
	s_or_b64 s[6:7], s[8:9], s[6:7]
	s_andn2_b64 exec, exec, s[6:7]
	s_cbranch_execnz .LBB3694_71
; %bb.72:                               ;   in Loop: Header=BB3694_68 Depth=1
	s_or_b64 exec, exec, s[6:7]
	s_branch .LBB3694_67
.LBB3694_73:                            ;   in Loop: Header=BB3694_68 Depth=1
                                        ; implicit-def: $vgpr18
                                        ; implicit-def: $vgpr37
	s_cbranch_execz .LBB3694_68
; %bb.74:
	s_and_saveexec_b64 s[4:5], s[2:3]
	s_cbranch_execz .LBB3694_76
; %bb.75:
	s_add_i32 s2, s31, 64
	s_mov_b32 s3, 0
	s_lshl_b64 s[2:3], s[2:3], 2
	v_max_u16_e32 v14, v48, v35
	s_add_u32 s2, s22, s2
	v_or_b32_e32 v14, 0x20000, v14
	s_addc_u32 s3, s23, s3
	v_mov_b32_e32 v15, 0
	global_store_dword v15, v14, s[2:3]
.LBB3694_76:
	s_or_b64 exec, exec, s[4:5]
	s_and_b64 exec, exec, s[0:1]
	s_cbranch_execz .LBB3694_78
; %bb.77:
	v_mov_b32_e32 v14, 0
	ds_write_b16 v14, v48
.LBB3694_78:
	s_or_b64 exec, exec, s[24:25]
	v_mov_b32_e32 v14, 0
	s_waitcnt lgkmcnt(0)
	; wave barrier
	s_waitcnt lgkmcnt(0)
	ds_read_u16 v14, v14
	s_waitcnt lgkmcnt(0)
	v_max_u16_e32 v15, v14, v34
	v_cndmask_b32_e64 v15, v15, v14, s[0:1]
	v_max_u16_e32 v14, v15, v10
	v_max_u16_sdwa v16, v14, v10 dst_sel:DWORD dst_unused:UNUSED_PAD src0_sel:DWORD src1_sel:WORD_1
	v_max_u16_e32 v17, v16, v11
	v_max_u16_e32 v18, v17, v30
	;; [unrolled: 1-line block ×21, first 2 shown]
	s_branch .LBB3694_87
.LBB3694_79:
                                        ; implicit-def: $vgpr15
                                        ; implicit-def: $vgpr14
                                        ; implicit-def: $vgpr16
                                        ; implicit-def: $vgpr17
                                        ; implicit-def: $vgpr18
                                        ; implicit-def: $vgpr34
                                        ; implicit-def: $vgpr36
                                        ; implicit-def: $vgpr38
                                        ; implicit-def: $vgpr19
                                        ; implicit-def: $vgpr35
                                        ; implicit-def: $vgpr37
                                        ; implicit-def: $vgpr39
                                        ; implicit-def: $vgpr40
                                        ; implicit-def: $vgpr42
                                        ; implicit-def: $vgpr44
                                        ; implicit-def: $vgpr46
                                        ; implicit-def: $vgpr41
                                        ; implicit-def: $vgpr43
                                        ; implicit-def: $vgpr45
                                        ; implicit-def: $vgpr47
                                        ; implicit-def: $vgpr48
                                        ; implicit-def: $vgpr49
                                        ; implicit-def: $vgpr50
                                        ; implicit-def: $vgpr51
	s_cbranch_execz .LBB3694_87
; %bb.80:
	s_cmp_eq_u64 s[16:17], 0
	v_mov_b32_e32 v51, s28
	s_cbranch_scc1 .LBB3694_82
; %bb.81:
	v_mov_b32_e32 v14, 0
	global_load_ushort v16, v14, s[12:13]
	v_mov_b32_e32 v15, s30
	v_add_co_u32_e64 v14, vcc, -2, s29
	v_addc_co_u32_e32 v15, vcc, -1, v15, vcc
	flat_load_ushort v14, v[14:15]
	s_waitcnt vmcnt(0) lgkmcnt(0)
	v_max_u16_e32 v51, v16, v14
.LBB3694_82:
	v_max3_u16 v14, v33, v12, v29
	v_max3_u16 v14, v14, v13, v28
	;; [unrolled: 1-line block ×10, first 2 shown]
	v_mbcnt_hi_u32_b32 v14, -1, v32
	v_and_b32_e32 v17, 0xffff, v15
	v_and_b32_e32 v16, 15, v14
	v_cmp_eq_u32_e32 vcc, 0, v16
	v_mov_b32_dpp v17, v17 row_shr:1 row_mask:0xf bank_mask:0xf
	v_max_u16_e32 v17, v17, v15
	v_cndmask_b32_e32 v15, v17, v15, vcc
	v_and_b32_e32 v17, 0xffff, v15
	v_cmp_lt_u32_e32 vcc, 1, v16
	s_nop 0
	v_mov_b32_dpp v17, v17 row_shr:2 row_mask:0xf bank_mask:0xf
	v_max_u16_e32 v17, v17, v15
	v_cndmask_b32_e32 v15, v15, v17, vcc
	v_and_b32_e32 v17, 0xffff, v15
	v_cmp_lt_u32_e32 vcc, 3, v16
	s_nop 0
	;; [unrolled: 6-line block ×3, first 2 shown]
	v_mov_b32_dpp v17, v17 row_shr:8 row_mask:0xf bank_mask:0xf
	v_max_u16_e32 v17, v17, v15
	v_cndmask_b32_e32 v15, v15, v17, vcc
	v_and_b32_e32 v16, 0xffff, v15
	v_and_b32_e32 v17, 16, v14
	v_cmp_eq_u32_e32 vcc, 0, v17
	v_mov_b32_dpp v16, v16 row_bcast:15 row_mask:0xf bank_mask:0xf
	v_max_u16_e32 v16, v16, v15
	v_cndmask_b32_e32 v15, v16, v15, vcc
	v_and_b32_e32 v16, 0xffff, v15
	v_cmp_lt_u32_e32 vcc, 31, v14
	s_nop 0
	v_mov_b32_dpp v16, v16 row_bcast:31 row_mask:0xf bank_mask:0xf
	v_max_u16_e32 v16, v16, v15
	v_cndmask_b32_e32 v15, v15, v16, vcc
	v_cmp_eq_u32_e32 vcc, 63, v0
	s_and_saveexec_b64 s[2:3], vcc
	s_cbranch_execz .LBB3694_84
; %bb.83:
	v_mov_b32_e32 v16, 0
	ds_write_b16 v16, v15
.LBB3694_84:
	s_or_b64 exec, exec, s[2:3]
	v_add_u32_e32 v16, -1, v14
	v_and_b32_e32 v17, 64, v14
	v_cmp_lt_i32_e32 vcc, v16, v17
	v_cndmask_b32_e32 v16, v16, v14, vcc
	v_max_u16_e32 v15, v51, v15
	v_lshlrev_b32_e32 v16, 2, v16
	ds_bpermute_b32 v15, v16, v15
	v_cmp_eq_u32_e32 vcc, 0, v14
	s_or_b64 vcc, s[0:1], vcc
	s_waitcnt lgkmcnt(0)
	; wave barrier
	s_waitcnt lgkmcnt(0)
	v_cndmask_b32_e32 v15, v15, v51, vcc
	v_max_u16_e32 v14, v15, v10
	v_max_u16_sdwa v16, v14, v10 dst_sel:DWORD dst_unused:UNUSED_PAD src0_sel:DWORD src1_sel:WORD_1
	v_max_u16_e32 v17, v16, v11
	v_max_u16_e32 v18, v17, v30
	;; [unrolled: 1-line block ×20, first 2 shown]
	s_and_saveexec_b64 s[2:3], s[0:1]
	s_cbranch_execz .LBB3694_86
; %bb.85:
	v_mov_b32_e32 v1, 0
	ds_read_u16 v2, v1
	v_mov_b32_e32 v15, v51
	s_waitcnt lgkmcnt(0)
	v_max_u16_e32 v2, v51, v2
	v_or_b32_e32 v2, 0x20000, v2
	global_store_dword v1, v2, s[22:23] offset:256
.LBB3694_86:
	s_or_b64 exec, exec, s[2:3]
	v_max_u16_e32 v51, v50, v5
.LBB3694_87:
	s_mov_b32 s0, 0x5040100
	v_perm_b32 v5, v38, v36, s0
	v_perm_b32 v4, v34, v18, s0
	;; [unrolled: 1-line block ×4, first 2 shown]
	s_waitcnt lgkmcnt(0)
	; wave barrier
	ds_write_b128 v21, v[2:5]
	v_perm_b32 v5, v46, v44, s0
	v_perm_b32 v4, v42, v40, s0
	;; [unrolled: 1-line block ×4, first 2 shown]
	ds_write_b128 v21, v[2:5] offset:16
	v_perm_b32 v5, v51, v50, s0
	v_perm_b32 v4, v49, v48, s0
	;; [unrolled: 1-line block ×4, first 2 shown]
	s_mov_b64 s[0:1], -1
	s_and_b64 vcc, exec, s[20:21]
	ds_write_b128 v21, v[2:5] offset:32
	s_waitcnt lgkmcnt(0)
	s_cbranch_vccz .LBB3694_89
; %bb.88:
	; wave barrier
	s_mov_b64 s[0:1], 0
.LBB3694_89:
	s_andn2_b64 vcc, exec, s[0:1]
	s_cbranch_vccnz .LBB3694_98
; %bb.90:
	v_cmp_lt_u64_e64 s[0:1], s[18:19], 2
	s_and_b64 vcc, exec, s[0:1]
	; wave barrier
	s_cbranch_vccnz .LBB3694_98
; %bb.91:
	s_add_u32 s0, s26, -1
	s_addc_u32 s1, s27, -1
	s_add_u32 s2, 0, 0xaaaa0000
	s_addc_u32 s3, 0, 42
	s_add_i32 s3, s3, 0xaaaaa80
	s_mul_hi_u32 s7, s2, 0xffffffe8
	s_sub_i32 s7, s7, s2
	s_mul_i32 s8, s3, 0xffffffe8
	s_mul_i32 s4, s2, 0xffffffe8
	s_add_i32 s7, s7, s8
	s_mul_hi_u32 s5, s3, s4
	s_mul_i32 s6, s3, s4
	s_mul_i32 s9, s2, s7
	s_mul_hi_u32 s4, s2, s4
	s_mul_hi_u32 s8, s2, s7
	s_add_u32 s4, s4, s9
	s_addc_u32 s8, 0, s8
	s_add_u32 s4, s4, s6
	s_mul_hi_u32 s9, s3, s7
	s_addc_u32 s4, s8, s5
	s_addc_u32 s5, s9, 0
	s_mul_i32 s6, s3, s7
	s_add_u32 s4, s4, s6
	v_mov_b32_e32 v2, s4
	s_addc_u32 s5, 0, s5
	v_add_co_u32_e32 v2, vcc, s2, v2
	s_cmp_lg_u64 vcc, 0
	s_addc_u32 s2, s3, s5
	v_readfirstlane_b32 s5, v2
	s_mul_i32 s4, s0, s2
	s_mul_hi_u32 s6, s0, s5
	s_mul_hi_u32 s3, s0, s2
	s_add_u32 s4, s6, s4
	s_addc_u32 s3, 0, s3
	s_mul_hi_u32 s7, s1, s5
	s_mul_i32 s5, s1, s5
	s_add_u32 s4, s4, s5
	s_mul_hi_u32 s6, s1, s2
	s_addc_u32 s3, s3, s7
	s_addc_u32 s4, s6, 0
	s_mul_i32 s2, s1, s2
	s_add_u32 s2, s3, s2
	s_addc_u32 s3, 0, s4
	s_add_u32 s4, s2, 1
	s_addc_u32 s5, s3, 0
	s_add_u32 s6, s2, 2
	s_mul_i32 s8, s3, 24
	s_mul_hi_u32 s9, s2, 24
	s_addc_u32 s7, s3, 0
	s_add_i32 s9, s9, s8
	s_mul_i32 s8, s2, 24
	v_mov_b32_e32 v2, s8
	v_sub_co_u32_e32 v2, vcc, s0, v2
	s_cmp_lg_u64 vcc, 0
	s_subb_u32 s8, s1, s9
	v_subrev_co_u32_e32 v3, vcc, 24, v2
	s_cmp_lg_u64 vcc, 0
	s_subb_u32 s9, s8, 0
	v_readfirstlane_b32 s10, v3
	s_cmp_gt_u32 s10, 23
	s_cselect_b32 s10, -1, 0
	s_cmp_eq_u32 s9, 0
	s_cselect_b32 s9, s10, -1
	s_cmp_lg_u32 s9, 0
	s_cselect_b32 s4, s6, s4
	v_readfirstlane_b32 s6, v2
	s_cselect_b32 s5, s7, s5
	s_cmp_gt_u32 s6, 23
	s_cselect_b32 s6, -1, 0
	s_cmp_eq_u32 s8, 0
	s_cselect_b32 s6, s6, -1
	s_cmp_lg_u32 s6, 0
	v_mov_b32_e32 v1, 0
	s_cselect_b32 s3, s5, s3
	s_cselect_b32 s2, s4, s2
	v_cmp_eq_u64_e32 vcc, s[2:3], v[0:1]
	s_and_saveexec_b64 s[2:3], vcc
	s_cbranch_execz .LBB3694_98
; %bb.92:
	s_movk_i32 s2, 0xffd2
	v_mad_i32_i24 v2, v0, s2, v21
	v_mul_hi_u32_u24_e32 v1, 24, v0
	v_mov_b32_e32 v3, s1
	v_sub_co_u32_e32 v0, vcc, s0, v20
	v_subb_co_u32_e32 v1, vcc, v3, v1, vcc
	v_cmp_lt_i64_e32 vcc, 11, v[0:1]
	s_mov_b64 s[0:1], 0
	s_mov_b64 s[8:9], 0
	;; [unrolled: 1-line block ×4, first 2 shown]
                                        ; implicit-def: $vgpr3
                                        ; implicit-def: $vgpr4
                                        ; implicit-def: $vgpr5
	s_and_saveexec_b64 s[2:3], vcc
	s_xor_b64 s[2:3], exec, s[2:3]
	s_cbranch_execnz .LBB3694_99
; %bb.93:
	s_andn2_saveexec_b64 s[2:3], s[2:3]
	s_cbranch_execnz .LBB3694_144
.LBB3694_94:
	s_or_b64 exec, exec, s[2:3]
	s_and_saveexec_b64 s[2:3], s[8:9]
	s_cbranch_execnz .LBB3694_161
.LBB3694_95:
	s_or_b64 exec, exec, s[2:3]
	s_and_saveexec_b64 s[2:3], s[6:7]
	s_cbranch_execnz .LBB3694_162
.LBB3694_96:
	s_or_b64 exec, exec, s[2:3]
	s_and_saveexec_b64 s[2:3], s[4:5]
	s_xor_b64 s[2:3], exec, s[2:3]
	s_cbranch_execnz .LBB3694_163
.LBB3694_97:
	s_or_b64 exec, exec, s[2:3]
	s_and_b64 exec, exec, s[0:1]
	s_cbranch_execnz .LBB3694_164
.LBB3694_98:
	s_endpgm
.LBB3694_99:
	v_cmp_lt_i64_e32 vcc, 17, v[0:1]
                                        ; implicit-def: $vgpr3
                                        ; implicit-def: $vgpr4
                                        ; implicit-def: $vgpr5
	s_and_saveexec_b64 s[10:11], vcc
	s_xor_b64 s[10:11], exec, s[10:11]
	s_cbranch_execz .LBB3694_121
; %bb.100:
	v_cmp_lt_i64_e32 vcc, 20, v[0:1]
                                        ; implicit-def: $vgpr3
                                        ; implicit-def: $vgpr4
	s_and_saveexec_b64 s[12:13], vcc
	s_xor_b64 s[12:13], exec, s[12:13]
	s_cbranch_execz .LBB3694_110
; %bb.101:
	v_cmp_lt_i64_e32 vcc, 21, v[0:1]
	s_mov_b64 s[16:17], 0
                                        ; implicit-def: $vgpr3
	s_and_saveexec_b64 s[4:5], vcc
	s_xor_b64 s[4:5], exec, s[4:5]
	s_cbranch_execz .LBB3694_107
; %bb.102:
	v_cmp_lt_i64_e32 vcc, 22, v[0:1]
	s_and_saveexec_b64 s[16:17], vcc
	s_xor_b64 s[16:17], exec, s[16:17]
	s_cbranch_execz .LBB3694_104
; %bb.103:
	ds_read_u16 v3, v2 offset:2944
	v_mov_b32_e32 v4, 0
	s_waitcnt lgkmcnt(0)
	global_store_short v4, v3, s[14:15]
.LBB3694_104:
	s_or_saveexec_b64 s[16:17], s[16:17]
	s_mov_b64 s[18:19], 0
                                        ; implicit-def: $vgpr3
	s_xor_b64 exec, exec, s[16:17]
	s_cbranch_execz .LBB3694_106
; %bb.105:
	ds_read_u16 v3, v2 offset:2816
	s_mov_b64 s[18:19], exec
.LBB3694_106:
	s_or_b64 exec, exec, s[16:17]
	s_and_b64 s[16:17], s[18:19], exec
.LBB3694_107:
	s_or_saveexec_b64 s[4:5], s[4:5]
                                        ; implicit-def: $vgpr4
	s_xor_b64 exec, exec, s[4:5]
	s_cbranch_execz .LBB3694_109
; %bb.108:
	ds_read_u16 v4, v2 offset:2688
	s_mov_b64 s[6:7], exec
                                        ; implicit-def: $vgpr3
.LBB3694_109:
	s_or_b64 exec, exec, s[4:5]
	s_and_b64 s[4:5], s[16:17], exec
	s_and_b64 s[6:7], s[6:7], exec
.LBB3694_110:
	s_or_saveexec_b64 s[12:13], s[12:13]
                                        ; implicit-def: $vgpr5
	s_xor_b64 exec, exec, s[12:13]
	s_cbranch_execz .LBB3694_120
; %bb.111:
	v_cmp_lt_i64_e32 vcc, 18, v[0:1]
	s_mov_b64 s[16:17], 0
                                        ; implicit-def: $vgpr5
	s_and_saveexec_b64 s[8:9], vcc
	s_xor_b64 s[8:9], exec, s[8:9]
	s_cbranch_execz .LBB3694_117
; %bb.112:
	v_cmp_lt_i64_e32 vcc, 19, v[0:1]
                                        ; implicit-def: $vgpr5
	s_and_saveexec_b64 s[18:19], vcc
	s_xor_b64 s[18:19], exec, s[18:19]
	s_cbranch_execz .LBB3694_114
; %bb.113:
	ds_read_u16 v5, v2 offset:2560
	s_mov_b64 s[16:17], exec
.LBB3694_114:
	s_andn2_saveexec_b64 s[18:19], s[18:19]
	s_cbranch_execz .LBB3694_116
; %bb.115:
	s_waitcnt lgkmcnt(0)
	ds_read_u16 v3, v2 offset:2432
	v_mov_b32_e32 v4, 0
                                        ; implicit-def: $vgpr5
	s_waitcnt lgkmcnt(0)
	global_store_short v4, v3, s[14:15]
.LBB3694_116:
	s_or_b64 exec, exec, s[18:19]
	s_and_b64 s[16:17], s[16:17], exec
.LBB3694_117:
	s_andn2_saveexec_b64 s[8:9], s[8:9]
	s_cbranch_execz .LBB3694_119
; %bb.118:
	s_waitcnt lgkmcnt(0)
	ds_read_u16 v3, v2 offset:2304
	v_mov_b32_e32 v4, 0
                                        ; implicit-def: $vgpr5
	s_waitcnt lgkmcnt(0)
	global_store_short v4, v3, s[14:15]
.LBB3694_119:
	s_or_b64 exec, exec, s[8:9]
	s_and_b64 s[8:9], s[16:17], exec
                                        ; implicit-def: $vgpr3
                                        ; implicit-def: $vgpr4
.LBB3694_120:
	s_or_b64 exec, exec, s[12:13]
	s_and_b64 s[4:5], s[4:5], exec
	s_and_b64 s[6:7], s[6:7], exec
	;; [unrolled: 1-line block ×3, first 2 shown]
.LBB3694_121:
	s_andn2_saveexec_b64 s[10:11], s[10:11]
	s_cbranch_execz .LBB3694_143
; %bb.122:
	v_cmp_lt_i64_e32 vcc, 14, v[0:1]
	s_mov_b64 s[12:13], s[4:5]
                                        ; implicit-def: $vgpr3
	s_and_saveexec_b64 s[16:17], vcc
	s_xor_b64 s[16:17], exec, s[16:17]
	s_cbranch_execz .LBB3694_132
; %bb.123:
	v_cmp_lt_i64_e32 vcc, 15, v[0:1]
	s_and_saveexec_b64 s[12:13], vcc
	s_xor_b64 s[12:13], exec, s[12:13]
	s_cbranch_execz .LBB3694_129
; %bb.124:
	v_cmp_lt_i64_e32 vcc, 16, v[0:1]
	s_and_saveexec_b64 s[18:19], vcc
	s_xor_b64 s[18:19], exec, s[18:19]
	s_cbranch_execz .LBB3694_126
; %bb.125:
	s_waitcnt lgkmcnt(0)
	ds_read_u16 v3, v2 offset:2176
	v_mov_b32_e32 v4, 0
	s_waitcnt lgkmcnt(0)
	global_store_short v4, v3, s[14:15]
.LBB3694_126:
	s_andn2_saveexec_b64 s[18:19], s[18:19]
	s_cbranch_execz .LBB3694_128
; %bb.127:
	s_waitcnt lgkmcnt(0)
	ds_read_u16 v3, v2 offset:2048
	v_mov_b32_e32 v4, 0
	s_waitcnt lgkmcnt(0)
	global_store_short v4, v3, s[14:15]
.LBB3694_128:
	s_or_b64 exec, exec, s[18:19]
.LBB3694_129:
	s_or_saveexec_b64 s[12:13], s[12:13]
	s_mov_b64 s[18:19], s[4:5]
                                        ; implicit-def: $vgpr3
	s_xor_b64 exec, exec, s[12:13]
	s_cbranch_execz .LBB3694_131
; %bb.130:
	s_waitcnt lgkmcnt(0)
	ds_read_u16 v3, v2 offset:1920
	s_or_b64 s[18:19], s[4:5], exec
.LBB3694_131:
	s_or_b64 exec, exec, s[12:13]
	s_andn2_b64 s[12:13], s[4:5], exec
	s_and_b64 s[18:19], s[18:19], exec
	s_or_b64 s[12:13], s[12:13], s[18:19]
.LBB3694_132:
	s_or_saveexec_b64 s[16:17], s[16:17]
	s_mov_b64 s[18:19], s[6:7]
                                        ; implicit-def: $vgpr4
	s_xor_b64 exec, exec, s[16:17]
	s_cbranch_execz .LBB3694_142
; %bb.133:
	v_cmp_lt_i64_e32 vcc, 12, v[0:1]
	s_mov_b64 s[20:21], s[6:7]
	s_mov_b64 s[22:23], s[12:13]
                                        ; implicit-def: $vgpr3
                                        ; implicit-def: $vgpr4
	s_and_saveexec_b64 s[18:19], vcc
	s_xor_b64 s[18:19], exec, s[18:19]
	s_cbranch_execz .LBB3694_139
; %bb.134:
	v_cmp_lt_i64_e32 vcc, 13, v[0:1]
	s_mov_b64 s[20:21], s[12:13]
                                        ; implicit-def: $vgpr3
	s_and_saveexec_b64 s[22:23], vcc
	s_xor_b64 s[22:23], exec, s[22:23]
	s_cbranch_execz .LBB3694_136
; %bb.135:
	s_waitcnt lgkmcnt(0)
	ds_read_u16 v3, v2 offset:1792
	s_or_b64 s[20:21], s[12:13], exec
.LBB3694_136:
	s_or_saveexec_b64 s[22:23], s[22:23]
	s_mov_b64 s[24:25], s[6:7]
                                        ; implicit-def: $vgpr4
	s_xor_b64 exec, exec, s[22:23]
	s_cbranch_execz .LBB3694_138
; %bb.137:
	s_waitcnt lgkmcnt(0)
	ds_read_u16 v4, v2 offset:1664
	s_or_b64 s[24:25], s[6:7], exec
                                        ; implicit-def: $vgpr3
.LBB3694_138:
	s_or_b64 exec, exec, s[22:23]
	s_andn2_b64 s[22:23], s[12:13], exec
	s_and_b64 s[20:21], s[20:21], exec
	s_or_b64 s[22:23], s[22:23], s[20:21]
	s_andn2_b64 s[20:21], s[6:7], exec
	s_and_b64 s[24:25], s[24:25], exec
	s_or_b64 s[20:21], s[20:21], s[24:25]
.LBB3694_139:
	s_andn2_saveexec_b64 s[18:19], s[18:19]
	s_cbranch_execz .LBB3694_141
; %bb.140:
	s_waitcnt lgkmcnt(0)
	ds_read_u16 v4, v2 offset:1536
	s_or_b64 s[20:21], s[20:21], exec
                                        ; implicit-def: $vgpr3
.LBB3694_141:
	s_or_b64 exec, exec, s[18:19]
	s_andn2_b64 s[12:13], s[12:13], exec
	s_and_b64 s[18:19], s[22:23], exec
	s_or_b64 s[12:13], s[12:13], s[18:19]
	s_andn2_b64 s[18:19], s[6:7], exec
	s_and_b64 s[20:21], s[20:21], exec
	s_or_b64 s[18:19], s[18:19], s[20:21]
.LBB3694_142:
	s_or_b64 exec, exec, s[16:17]
	s_andn2_b64 s[4:5], s[4:5], exec
	s_and_b64 s[12:13], s[12:13], exec
	s_or_b64 s[4:5], s[4:5], s[12:13]
	s_andn2_b64 s[6:7], s[6:7], exec
	s_and_b64 s[12:13], s[18:19], exec
	s_or_b64 s[6:7], s[6:7], s[12:13]
                                        ; implicit-def: $vgpr5
.LBB3694_143:
	s_or_b64 exec, exec, s[10:11]
	s_and_b64 s[4:5], s[4:5], exec
	s_and_b64 s[6:7], s[6:7], exec
	;; [unrolled: 1-line block ×3, first 2 shown]
	s_andn2_saveexec_b64 s[2:3], s[2:3]
	s_cbranch_execz .LBB3694_94
.LBB3694_144:
	v_cmp_lt_i64_e32 vcc, 5, v[0:1]
	s_mov_b64 s[12:13], -1
	s_mov_b64 s[10:11], s[8:9]
	s_mov_b64 s[16:17], s[6:7]
	;; [unrolled: 1-line block ×3, first 2 shown]
                                        ; implicit-def: $vgpr3
                                        ; implicit-def: $vgpr4
                                        ; implicit-def: $vgpr5
	s_and_saveexec_b64 s[0:1], vcc
	s_cbranch_execz .LBB3694_160
; %bb.145:
	v_cmp_lt_i64_e32 vcc, 8, v[0:1]
	s_mov_b64 s[10:11], s[8:9]
                                        ; implicit-def: $vgpr5
	s_and_saveexec_b64 s[12:13], vcc
	s_xor_b64 s[12:13], exec, s[12:13]
	s_cbranch_execz .LBB3694_155
; %bb.146:
	v_cmp_lt_i64_e32 vcc, 9, v[0:1]
                                        ; implicit-def: $vgpr5
	s_and_saveexec_b64 s[10:11], vcc
	s_xor_b64 s[10:11], exec, s[10:11]
	s_cbranch_execz .LBB3694_152
; %bb.147:
	v_cmp_lt_i64_e32 vcc, 10, v[0:1]
                                        ; implicit-def: $vgpr5
	s_and_saveexec_b64 s[16:17], vcc
	s_xor_b64 s[16:17], exec, s[16:17]
	s_cbranch_execz .LBB3694_149
; %bb.148:
	s_waitcnt lgkmcnt(0)
	ds_read_u16 v5, v2 offset:1408
.LBB3694_149:
	s_andn2_saveexec_b64 s[16:17], s[16:17]
	s_cbranch_execz .LBB3694_151
; %bb.150:
	s_waitcnt lgkmcnt(0)
	ds_read_u16 v5, v2 offset:1280
.LBB3694_151:
	s_or_b64 exec, exec, s[16:17]
.LBB3694_152:
	s_andn2_saveexec_b64 s[10:11], s[10:11]
	s_cbranch_execz .LBB3694_154
; %bb.153:
	s_waitcnt lgkmcnt(0)
	ds_read_u16 v5, v2 offset:1152
.LBB3694_154:
	s_or_b64 exec, exec, s[10:11]
	s_or_b64 s[10:11], s[8:9], exec
.LBB3694_155:
	s_or_saveexec_b64 s[12:13], s[12:13]
	s_mov_b64 s[16:17], s[6:7]
	s_mov_b64 s[20:21], s[4:5]
                                        ; implicit-def: $vgpr3
                                        ; implicit-def: $vgpr4
	s_xor_b64 exec, exec, s[12:13]
	s_cbranch_execz .LBB3694_159
; %bb.156:
	s_waitcnt lgkmcnt(0)
	ds_read_u16 v3, v2 offset:768
	v_cmp_lt_i64_e32 vcc, 6, v[0:1]
	s_mov_b64 s[20:21], -1
	s_mov_b64 s[18:19], s[10:11]
	s_mov_b64 s[16:17], s[6:7]
                                        ; implicit-def: $vgpr4
                                        ; implicit-def: $vgpr5
	s_and_saveexec_b64 s[22:23], vcc
	s_cbranch_execz .LBB3694_158
; %bb.157:
	ds_read_u16 v4, v2 offset:896
	ds_read_u16 v5, v2 offset:1024
	v_cmp_lt_i64_e32 vcc, 7, v[0:1]
	s_andn2_b64 s[18:19], s[10:11], exec
	s_and_b64 s[24:25], vcc, exec
	s_xor_b64 s[20:21], exec, -1
	s_or_b64 s[16:17], s[6:7], exec
	s_or_b64 s[18:19], s[18:19], s[24:25]
                                        ; implicit-def: $vgpr3
.LBB3694_158:
	s_or_b64 exec, exec, s[22:23]
	s_andn2_b64 s[22:23], s[4:5], exec
	s_and_b64 s[20:21], s[20:21], exec
	s_or_b64 s[20:21], s[22:23], s[20:21]
	s_andn2_b64 s[22:23], s[6:7], exec
	s_and_b64 s[16:17], s[16:17], exec
	s_andn2_b64 s[10:11], s[10:11], exec
	s_and_b64 s[18:19], s[18:19], exec
	s_or_b64 s[16:17], s[22:23], s[16:17]
	s_or_b64 s[10:11], s[10:11], s[18:19]
.LBB3694_159:
	s_or_b64 exec, exec, s[12:13]
	s_andn2_b64 s[18:19], s[4:5], exec
	s_and_b64 s[20:21], s[20:21], exec
	s_or_b64 s[18:19], s[18:19], s[20:21]
	s_andn2_b64 s[20:21], s[6:7], exec
	s_and_b64 s[16:17], s[16:17], exec
	s_or_b64 s[16:17], s[20:21], s[16:17]
	s_andn2_b64 s[20:21], s[8:9], exec
	s_and_b64 s[10:11], s[10:11], exec
	s_xor_b64 s[12:13], exec, -1
	s_or_b64 s[10:11], s[20:21], s[10:11]
.LBB3694_160:
	s_or_b64 exec, exec, s[0:1]
	s_and_b64 s[0:1], s[12:13], exec
	s_andn2_b64 s[4:5], s[4:5], exec
	s_and_b64 s[12:13], s[18:19], exec
	s_or_b64 s[4:5], s[4:5], s[12:13]
	s_andn2_b64 s[6:7], s[6:7], exec
	s_and_b64 s[12:13], s[16:17], exec
	s_andn2_b64 s[8:9], s[8:9], exec
	s_and_b64 s[10:11], s[10:11], exec
	s_or_b64 s[6:7], s[6:7], s[12:13]
	s_or_b64 s[8:9], s[8:9], s[10:11]
	s_or_b64 exec, exec, s[2:3]
	s_and_saveexec_b64 s[2:3], s[8:9]
	s_cbranch_execz .LBB3694_95
.LBB3694_161:
	s_waitcnt lgkmcnt(0)
	v_mov_b32_e32 v3, 0
	s_andn2_b64 s[6:7], s[6:7], exec
	global_store_short v3, v5, s[14:15]
                                        ; implicit-def: $vgpr3
                                        ; implicit-def: $vgpr4
	s_or_b64 exec, exec, s[2:3]
	s_and_saveexec_b64 s[2:3], s[6:7]
	s_cbranch_execz .LBB3694_96
.LBB3694_162:
	s_waitcnt lgkmcnt(0)
	v_mov_b32_e32 v3, 0
	global_store_short v3, v4, s[14:15]
                                        ; implicit-def: $vgpr3
	s_or_b64 exec, exec, s[2:3]
	s_and_saveexec_b64 s[2:3], s[4:5]
	s_xor_b64 s[2:3], exec, s[2:3]
	s_cbranch_execz .LBB3694_97
.LBB3694_163:
	s_waitcnt lgkmcnt(0)
	v_mov_b32_e32 v4, 0
	global_store_short v4, v3, s[14:15]
	s_or_b64 exec, exec, s[2:3]
	s_and_b64 exec, exec, s[0:1]
	s_cbranch_execz .LBB3694_98
.LBB3694_164:
	v_cmp_lt_i64_e32 vcc, 2, v[0:1]
	s_and_saveexec_b64 s[0:1], vcc
	s_xor_b64 s[0:1], exec, s[0:1]
	s_cbranch_execz .LBB3694_174
; %bb.165:
	v_cmp_lt_i64_e32 vcc, 3, v[0:1]
	s_and_saveexec_b64 s[2:3], vcc
	s_xor_b64 s[2:3], exec, s[2:3]
	s_cbranch_execz .LBB3694_171
; %bb.166:
	;; [unrolled: 5-line block ×3, first 2 shown]
	ds_read_u16 v0, v2 offset:640
	v_mov_b32_e32 v1, 0
                                        ; implicit-def: $vgpr2
	s_waitcnt lgkmcnt(0)
	global_store_short v1, v0, s[14:15]
.LBB3694_168:
	s_andn2_saveexec_b64 s[4:5], s[4:5]
	s_cbranch_execz .LBB3694_170
; %bb.169:
	ds_read_u16 v0, v2 offset:512
	v_mov_b32_e32 v1, 0
	s_waitcnt lgkmcnt(0)
	global_store_short v1, v0, s[14:15]
.LBB3694_170:
	s_or_b64 exec, exec, s[4:5]
                                        ; implicit-def: $vgpr2
.LBB3694_171:
	s_andn2_saveexec_b64 s[2:3], s[2:3]
	s_cbranch_execz .LBB3694_173
; %bb.172:
	ds_read_u16 v0, v2 offset:384
	v_mov_b32_e32 v1, 0
	s_waitcnt lgkmcnt(0)
	global_store_short v1, v0, s[14:15]
.LBB3694_173:
	s_or_b64 exec, exec, s[2:3]
                                        ; implicit-def: $vgpr0_vgpr1
                                        ; implicit-def: $vgpr2
.LBB3694_174:
	s_andn2_saveexec_b64 s[0:1], s[0:1]
	s_cbranch_execz .LBB3694_98
; %bb.175:
	v_cmp_lt_i64_e32 vcc, 1, v[0:1]
	s_and_saveexec_b64 s[0:1], vcc
	s_xor_b64 s[0:1], exec, s[0:1]
	s_cbranch_execz .LBB3694_177
; %bb.176:
	ds_read_u16 v0, v2 offset:256
	v_mov_b32_e32 v1, 0
                                        ; implicit-def: $vgpr2
	s_waitcnt lgkmcnt(0)
	global_store_short v1, v0, s[14:15]
                                        ; implicit-def: $vgpr0_vgpr1
.LBB3694_177:
	s_andn2_saveexec_b64 s[0:1], s[0:1]
	s_cbranch_execz .LBB3694_98
; %bb.178:
	v_cmp_ne_u64_e32 vcc, 1, v[0:1]
	s_and_saveexec_b64 s[0:1], vcc
	s_xor_b64 s[0:1], exec, s[0:1]
	s_cbranch_execz .LBB3694_180
; %bb.179:
	ds_read_u16 v0, v2
	v_mov_b32_e32 v1, 0
                                        ; implicit-def: $vgpr2
	s_waitcnt lgkmcnt(0)
	global_store_short v1, v0, s[14:15]
.LBB3694_180:
	s_andn2_saveexec_b64 s[0:1], s[0:1]
	s_cbranch_execz .LBB3694_98
; %bb.181:
	ds_read_u16 v0, v2 offset:128
	v_mov_b32_e32 v1, 0
	s_waitcnt lgkmcnt(0)
	global_store_short v1, v0, s[14:15]
	s_endpgm
	.section	.rodata,"a",@progbits
	.p2align	6, 0x0
	.amdhsa_kernel _ZN7rocprim17ROCPRIM_400000_NS6detail17trampoline_kernelINS0_14default_configENS1_20scan_config_selectorItEEZZNS1_9scan_implILNS1_25lookback_scan_determinismE0ELb1ELb1ES3_N6thrust23THRUST_200600_302600_NS6detail15normal_iteratorINS9_10device_ptrItEEEENS9_16discard_iteratorINS9_11use_defaultEEEt11max_functorItEtEEDaPvRmT3_T4_T5_mT6_P12ihipStream_tbENKUlT_T0_E_clISt17integral_constantIbLb0EESW_IbLb1EEEEDaSS_ST_EUlSS_E_NS1_11comp_targetILNS1_3genE4ELNS1_11target_archE910ELNS1_3gpuE8ELNS1_3repE0EEENS1_30default_config_static_selectorELNS0_4arch9wavefront6targetE1EEEvT1_
		.amdhsa_group_segment_fixed_size 3072
		.amdhsa_private_segment_fixed_size 0
		.amdhsa_kernarg_size 104
		.amdhsa_user_sgpr_count 6
		.amdhsa_user_sgpr_private_segment_buffer 1
		.amdhsa_user_sgpr_dispatch_ptr 0
		.amdhsa_user_sgpr_queue_ptr 0
		.amdhsa_user_sgpr_kernarg_segment_ptr 1
		.amdhsa_user_sgpr_dispatch_id 0
		.amdhsa_user_sgpr_flat_scratch_init 0
		.amdhsa_user_sgpr_kernarg_preload_length 0
		.amdhsa_user_sgpr_kernarg_preload_offset 0
		.amdhsa_user_sgpr_private_segment_size 0
		.amdhsa_uses_dynamic_stack 0
		.amdhsa_system_sgpr_private_segment_wavefront_offset 0
		.amdhsa_system_sgpr_workgroup_id_x 1
		.amdhsa_system_sgpr_workgroup_id_y 0
		.amdhsa_system_sgpr_workgroup_id_z 0
		.amdhsa_system_sgpr_workgroup_info 0
		.amdhsa_system_vgpr_workitem_id 0
		.amdhsa_next_free_vgpr 57
		.amdhsa_next_free_sgpr 32
		.amdhsa_accum_offset 60
		.amdhsa_reserve_vcc 1
		.amdhsa_reserve_flat_scratch 0
		.amdhsa_float_round_mode_32 0
		.amdhsa_float_round_mode_16_64 0
		.amdhsa_float_denorm_mode_32 3
		.amdhsa_float_denorm_mode_16_64 3
		.amdhsa_dx10_clamp 1
		.amdhsa_ieee_mode 1
		.amdhsa_fp16_overflow 0
		.amdhsa_tg_split 0
		.amdhsa_exception_fp_ieee_invalid_op 0
		.amdhsa_exception_fp_denorm_src 0
		.amdhsa_exception_fp_ieee_div_zero 0
		.amdhsa_exception_fp_ieee_overflow 0
		.amdhsa_exception_fp_ieee_underflow 0
		.amdhsa_exception_fp_ieee_inexact 0
		.amdhsa_exception_int_div_zero 0
	.end_amdhsa_kernel
	.section	.text._ZN7rocprim17ROCPRIM_400000_NS6detail17trampoline_kernelINS0_14default_configENS1_20scan_config_selectorItEEZZNS1_9scan_implILNS1_25lookback_scan_determinismE0ELb1ELb1ES3_N6thrust23THRUST_200600_302600_NS6detail15normal_iteratorINS9_10device_ptrItEEEENS9_16discard_iteratorINS9_11use_defaultEEEt11max_functorItEtEEDaPvRmT3_T4_T5_mT6_P12ihipStream_tbENKUlT_T0_E_clISt17integral_constantIbLb0EESW_IbLb1EEEEDaSS_ST_EUlSS_E_NS1_11comp_targetILNS1_3genE4ELNS1_11target_archE910ELNS1_3gpuE8ELNS1_3repE0EEENS1_30default_config_static_selectorELNS0_4arch9wavefront6targetE1EEEvT1_,"axG",@progbits,_ZN7rocprim17ROCPRIM_400000_NS6detail17trampoline_kernelINS0_14default_configENS1_20scan_config_selectorItEEZZNS1_9scan_implILNS1_25lookback_scan_determinismE0ELb1ELb1ES3_N6thrust23THRUST_200600_302600_NS6detail15normal_iteratorINS9_10device_ptrItEEEENS9_16discard_iteratorINS9_11use_defaultEEEt11max_functorItEtEEDaPvRmT3_T4_T5_mT6_P12ihipStream_tbENKUlT_T0_E_clISt17integral_constantIbLb0EESW_IbLb1EEEEDaSS_ST_EUlSS_E_NS1_11comp_targetILNS1_3genE4ELNS1_11target_archE910ELNS1_3gpuE8ELNS1_3repE0EEENS1_30default_config_static_selectorELNS0_4arch9wavefront6targetE1EEEvT1_,comdat
.Lfunc_end3694:
	.size	_ZN7rocprim17ROCPRIM_400000_NS6detail17trampoline_kernelINS0_14default_configENS1_20scan_config_selectorItEEZZNS1_9scan_implILNS1_25lookback_scan_determinismE0ELb1ELb1ES3_N6thrust23THRUST_200600_302600_NS6detail15normal_iteratorINS9_10device_ptrItEEEENS9_16discard_iteratorINS9_11use_defaultEEEt11max_functorItEtEEDaPvRmT3_T4_T5_mT6_P12ihipStream_tbENKUlT_T0_E_clISt17integral_constantIbLb0EESW_IbLb1EEEEDaSS_ST_EUlSS_E_NS1_11comp_targetILNS1_3genE4ELNS1_11target_archE910ELNS1_3gpuE8ELNS1_3repE0EEENS1_30default_config_static_selectorELNS0_4arch9wavefront6targetE1EEEvT1_, .Lfunc_end3694-_ZN7rocprim17ROCPRIM_400000_NS6detail17trampoline_kernelINS0_14default_configENS1_20scan_config_selectorItEEZZNS1_9scan_implILNS1_25lookback_scan_determinismE0ELb1ELb1ES3_N6thrust23THRUST_200600_302600_NS6detail15normal_iteratorINS9_10device_ptrItEEEENS9_16discard_iteratorINS9_11use_defaultEEEt11max_functorItEtEEDaPvRmT3_T4_T5_mT6_P12ihipStream_tbENKUlT_T0_E_clISt17integral_constantIbLb0EESW_IbLb1EEEEDaSS_ST_EUlSS_E_NS1_11comp_targetILNS1_3genE4ELNS1_11target_archE910ELNS1_3gpuE8ELNS1_3repE0EEENS1_30default_config_static_selectorELNS0_4arch9wavefront6targetE1EEEvT1_
                                        ; -- End function
	.section	.AMDGPU.csdata,"",@progbits
; Kernel info:
; codeLenInByte = 6484
; NumSgprs: 36
; NumVgprs: 57
; NumAgprs: 0
; TotalNumVgprs: 57
; ScratchSize: 0
; MemoryBound: 0
; FloatMode: 240
; IeeeMode: 1
; LDSByteSize: 3072 bytes/workgroup (compile time only)
; SGPRBlocks: 4
; VGPRBlocks: 7
; NumSGPRsForWavesPerEU: 36
; NumVGPRsForWavesPerEU: 57
; AccumOffset: 60
; Occupancy: 6
; WaveLimiterHint : 1
; COMPUTE_PGM_RSRC2:SCRATCH_EN: 0
; COMPUTE_PGM_RSRC2:USER_SGPR: 6
; COMPUTE_PGM_RSRC2:TRAP_HANDLER: 0
; COMPUTE_PGM_RSRC2:TGID_X_EN: 1
; COMPUTE_PGM_RSRC2:TGID_Y_EN: 0
; COMPUTE_PGM_RSRC2:TGID_Z_EN: 0
; COMPUTE_PGM_RSRC2:TIDIG_COMP_CNT: 0
; COMPUTE_PGM_RSRC3_GFX90A:ACCUM_OFFSET: 14
; COMPUTE_PGM_RSRC3_GFX90A:TG_SPLIT: 0
	.section	.text._ZN7rocprim17ROCPRIM_400000_NS6detail17trampoline_kernelINS0_14default_configENS1_20scan_config_selectorItEEZZNS1_9scan_implILNS1_25lookback_scan_determinismE0ELb1ELb1ES3_N6thrust23THRUST_200600_302600_NS6detail15normal_iteratorINS9_10device_ptrItEEEENS9_16discard_iteratorINS9_11use_defaultEEEt11max_functorItEtEEDaPvRmT3_T4_T5_mT6_P12ihipStream_tbENKUlT_T0_E_clISt17integral_constantIbLb0EESW_IbLb1EEEEDaSS_ST_EUlSS_E_NS1_11comp_targetILNS1_3genE3ELNS1_11target_archE908ELNS1_3gpuE7ELNS1_3repE0EEENS1_30default_config_static_selectorELNS0_4arch9wavefront6targetE1EEEvT1_,"axG",@progbits,_ZN7rocprim17ROCPRIM_400000_NS6detail17trampoline_kernelINS0_14default_configENS1_20scan_config_selectorItEEZZNS1_9scan_implILNS1_25lookback_scan_determinismE0ELb1ELb1ES3_N6thrust23THRUST_200600_302600_NS6detail15normal_iteratorINS9_10device_ptrItEEEENS9_16discard_iteratorINS9_11use_defaultEEEt11max_functorItEtEEDaPvRmT3_T4_T5_mT6_P12ihipStream_tbENKUlT_T0_E_clISt17integral_constantIbLb0EESW_IbLb1EEEEDaSS_ST_EUlSS_E_NS1_11comp_targetILNS1_3genE3ELNS1_11target_archE908ELNS1_3gpuE7ELNS1_3repE0EEENS1_30default_config_static_selectorELNS0_4arch9wavefront6targetE1EEEvT1_,comdat
	.protected	_ZN7rocprim17ROCPRIM_400000_NS6detail17trampoline_kernelINS0_14default_configENS1_20scan_config_selectorItEEZZNS1_9scan_implILNS1_25lookback_scan_determinismE0ELb1ELb1ES3_N6thrust23THRUST_200600_302600_NS6detail15normal_iteratorINS9_10device_ptrItEEEENS9_16discard_iteratorINS9_11use_defaultEEEt11max_functorItEtEEDaPvRmT3_T4_T5_mT6_P12ihipStream_tbENKUlT_T0_E_clISt17integral_constantIbLb0EESW_IbLb1EEEEDaSS_ST_EUlSS_E_NS1_11comp_targetILNS1_3genE3ELNS1_11target_archE908ELNS1_3gpuE7ELNS1_3repE0EEENS1_30default_config_static_selectorELNS0_4arch9wavefront6targetE1EEEvT1_ ; -- Begin function _ZN7rocprim17ROCPRIM_400000_NS6detail17trampoline_kernelINS0_14default_configENS1_20scan_config_selectorItEEZZNS1_9scan_implILNS1_25lookback_scan_determinismE0ELb1ELb1ES3_N6thrust23THRUST_200600_302600_NS6detail15normal_iteratorINS9_10device_ptrItEEEENS9_16discard_iteratorINS9_11use_defaultEEEt11max_functorItEtEEDaPvRmT3_T4_T5_mT6_P12ihipStream_tbENKUlT_T0_E_clISt17integral_constantIbLb0EESW_IbLb1EEEEDaSS_ST_EUlSS_E_NS1_11comp_targetILNS1_3genE3ELNS1_11target_archE908ELNS1_3gpuE7ELNS1_3repE0EEENS1_30default_config_static_selectorELNS0_4arch9wavefront6targetE1EEEvT1_
	.globl	_ZN7rocprim17ROCPRIM_400000_NS6detail17trampoline_kernelINS0_14default_configENS1_20scan_config_selectorItEEZZNS1_9scan_implILNS1_25lookback_scan_determinismE0ELb1ELb1ES3_N6thrust23THRUST_200600_302600_NS6detail15normal_iteratorINS9_10device_ptrItEEEENS9_16discard_iteratorINS9_11use_defaultEEEt11max_functorItEtEEDaPvRmT3_T4_T5_mT6_P12ihipStream_tbENKUlT_T0_E_clISt17integral_constantIbLb0EESW_IbLb1EEEEDaSS_ST_EUlSS_E_NS1_11comp_targetILNS1_3genE3ELNS1_11target_archE908ELNS1_3gpuE7ELNS1_3repE0EEENS1_30default_config_static_selectorELNS0_4arch9wavefront6targetE1EEEvT1_
	.p2align	8
	.type	_ZN7rocprim17ROCPRIM_400000_NS6detail17trampoline_kernelINS0_14default_configENS1_20scan_config_selectorItEEZZNS1_9scan_implILNS1_25lookback_scan_determinismE0ELb1ELb1ES3_N6thrust23THRUST_200600_302600_NS6detail15normal_iteratorINS9_10device_ptrItEEEENS9_16discard_iteratorINS9_11use_defaultEEEt11max_functorItEtEEDaPvRmT3_T4_T5_mT6_P12ihipStream_tbENKUlT_T0_E_clISt17integral_constantIbLb0EESW_IbLb1EEEEDaSS_ST_EUlSS_E_NS1_11comp_targetILNS1_3genE3ELNS1_11target_archE908ELNS1_3gpuE7ELNS1_3repE0EEENS1_30default_config_static_selectorELNS0_4arch9wavefront6targetE1EEEvT1_,@function
_ZN7rocprim17ROCPRIM_400000_NS6detail17trampoline_kernelINS0_14default_configENS1_20scan_config_selectorItEEZZNS1_9scan_implILNS1_25lookback_scan_determinismE0ELb1ELb1ES3_N6thrust23THRUST_200600_302600_NS6detail15normal_iteratorINS9_10device_ptrItEEEENS9_16discard_iteratorINS9_11use_defaultEEEt11max_functorItEtEEDaPvRmT3_T4_T5_mT6_P12ihipStream_tbENKUlT_T0_E_clISt17integral_constantIbLb0EESW_IbLb1EEEEDaSS_ST_EUlSS_E_NS1_11comp_targetILNS1_3genE3ELNS1_11target_archE908ELNS1_3gpuE7ELNS1_3repE0EEENS1_30default_config_static_selectorELNS0_4arch9wavefront6targetE1EEEvT1_: ; @_ZN7rocprim17ROCPRIM_400000_NS6detail17trampoline_kernelINS0_14default_configENS1_20scan_config_selectorItEEZZNS1_9scan_implILNS1_25lookback_scan_determinismE0ELb1ELb1ES3_N6thrust23THRUST_200600_302600_NS6detail15normal_iteratorINS9_10device_ptrItEEEENS9_16discard_iteratorINS9_11use_defaultEEEt11max_functorItEtEEDaPvRmT3_T4_T5_mT6_P12ihipStream_tbENKUlT_T0_E_clISt17integral_constantIbLb0EESW_IbLb1EEEEDaSS_ST_EUlSS_E_NS1_11comp_targetILNS1_3genE3ELNS1_11target_archE908ELNS1_3gpuE7ELNS1_3repE0EEENS1_30default_config_static_selectorELNS0_4arch9wavefront6targetE1EEEvT1_
; %bb.0:
	.section	.rodata,"a",@progbits
	.p2align	6, 0x0
	.amdhsa_kernel _ZN7rocprim17ROCPRIM_400000_NS6detail17trampoline_kernelINS0_14default_configENS1_20scan_config_selectorItEEZZNS1_9scan_implILNS1_25lookback_scan_determinismE0ELb1ELb1ES3_N6thrust23THRUST_200600_302600_NS6detail15normal_iteratorINS9_10device_ptrItEEEENS9_16discard_iteratorINS9_11use_defaultEEEt11max_functorItEtEEDaPvRmT3_T4_T5_mT6_P12ihipStream_tbENKUlT_T0_E_clISt17integral_constantIbLb0EESW_IbLb1EEEEDaSS_ST_EUlSS_E_NS1_11comp_targetILNS1_3genE3ELNS1_11target_archE908ELNS1_3gpuE7ELNS1_3repE0EEENS1_30default_config_static_selectorELNS0_4arch9wavefront6targetE1EEEvT1_
		.amdhsa_group_segment_fixed_size 0
		.amdhsa_private_segment_fixed_size 0
		.amdhsa_kernarg_size 104
		.amdhsa_user_sgpr_count 6
		.amdhsa_user_sgpr_private_segment_buffer 1
		.amdhsa_user_sgpr_dispatch_ptr 0
		.amdhsa_user_sgpr_queue_ptr 0
		.amdhsa_user_sgpr_kernarg_segment_ptr 1
		.amdhsa_user_sgpr_dispatch_id 0
		.amdhsa_user_sgpr_flat_scratch_init 0
		.amdhsa_user_sgpr_kernarg_preload_length 0
		.amdhsa_user_sgpr_kernarg_preload_offset 0
		.amdhsa_user_sgpr_private_segment_size 0
		.amdhsa_uses_dynamic_stack 0
		.amdhsa_system_sgpr_private_segment_wavefront_offset 0
		.amdhsa_system_sgpr_workgroup_id_x 1
		.amdhsa_system_sgpr_workgroup_id_y 0
		.amdhsa_system_sgpr_workgroup_id_z 0
		.amdhsa_system_sgpr_workgroup_info 0
		.amdhsa_system_vgpr_workitem_id 0
		.amdhsa_next_free_vgpr 1
		.amdhsa_next_free_sgpr 0
		.amdhsa_accum_offset 4
		.amdhsa_reserve_vcc 0
		.amdhsa_reserve_flat_scratch 0
		.amdhsa_float_round_mode_32 0
		.amdhsa_float_round_mode_16_64 0
		.amdhsa_float_denorm_mode_32 3
		.amdhsa_float_denorm_mode_16_64 3
		.amdhsa_dx10_clamp 1
		.amdhsa_ieee_mode 1
		.amdhsa_fp16_overflow 0
		.amdhsa_tg_split 0
		.amdhsa_exception_fp_ieee_invalid_op 0
		.amdhsa_exception_fp_denorm_src 0
		.amdhsa_exception_fp_ieee_div_zero 0
		.amdhsa_exception_fp_ieee_overflow 0
		.amdhsa_exception_fp_ieee_underflow 0
		.amdhsa_exception_fp_ieee_inexact 0
		.amdhsa_exception_int_div_zero 0
	.end_amdhsa_kernel
	.section	.text._ZN7rocprim17ROCPRIM_400000_NS6detail17trampoline_kernelINS0_14default_configENS1_20scan_config_selectorItEEZZNS1_9scan_implILNS1_25lookback_scan_determinismE0ELb1ELb1ES3_N6thrust23THRUST_200600_302600_NS6detail15normal_iteratorINS9_10device_ptrItEEEENS9_16discard_iteratorINS9_11use_defaultEEEt11max_functorItEtEEDaPvRmT3_T4_T5_mT6_P12ihipStream_tbENKUlT_T0_E_clISt17integral_constantIbLb0EESW_IbLb1EEEEDaSS_ST_EUlSS_E_NS1_11comp_targetILNS1_3genE3ELNS1_11target_archE908ELNS1_3gpuE7ELNS1_3repE0EEENS1_30default_config_static_selectorELNS0_4arch9wavefront6targetE1EEEvT1_,"axG",@progbits,_ZN7rocprim17ROCPRIM_400000_NS6detail17trampoline_kernelINS0_14default_configENS1_20scan_config_selectorItEEZZNS1_9scan_implILNS1_25lookback_scan_determinismE0ELb1ELb1ES3_N6thrust23THRUST_200600_302600_NS6detail15normal_iteratorINS9_10device_ptrItEEEENS9_16discard_iteratorINS9_11use_defaultEEEt11max_functorItEtEEDaPvRmT3_T4_T5_mT6_P12ihipStream_tbENKUlT_T0_E_clISt17integral_constantIbLb0EESW_IbLb1EEEEDaSS_ST_EUlSS_E_NS1_11comp_targetILNS1_3genE3ELNS1_11target_archE908ELNS1_3gpuE7ELNS1_3repE0EEENS1_30default_config_static_selectorELNS0_4arch9wavefront6targetE1EEEvT1_,comdat
.Lfunc_end3695:
	.size	_ZN7rocprim17ROCPRIM_400000_NS6detail17trampoline_kernelINS0_14default_configENS1_20scan_config_selectorItEEZZNS1_9scan_implILNS1_25lookback_scan_determinismE0ELb1ELb1ES3_N6thrust23THRUST_200600_302600_NS6detail15normal_iteratorINS9_10device_ptrItEEEENS9_16discard_iteratorINS9_11use_defaultEEEt11max_functorItEtEEDaPvRmT3_T4_T5_mT6_P12ihipStream_tbENKUlT_T0_E_clISt17integral_constantIbLb0EESW_IbLb1EEEEDaSS_ST_EUlSS_E_NS1_11comp_targetILNS1_3genE3ELNS1_11target_archE908ELNS1_3gpuE7ELNS1_3repE0EEENS1_30default_config_static_selectorELNS0_4arch9wavefront6targetE1EEEvT1_, .Lfunc_end3695-_ZN7rocprim17ROCPRIM_400000_NS6detail17trampoline_kernelINS0_14default_configENS1_20scan_config_selectorItEEZZNS1_9scan_implILNS1_25lookback_scan_determinismE0ELb1ELb1ES3_N6thrust23THRUST_200600_302600_NS6detail15normal_iteratorINS9_10device_ptrItEEEENS9_16discard_iteratorINS9_11use_defaultEEEt11max_functorItEtEEDaPvRmT3_T4_T5_mT6_P12ihipStream_tbENKUlT_T0_E_clISt17integral_constantIbLb0EESW_IbLb1EEEEDaSS_ST_EUlSS_E_NS1_11comp_targetILNS1_3genE3ELNS1_11target_archE908ELNS1_3gpuE7ELNS1_3repE0EEENS1_30default_config_static_selectorELNS0_4arch9wavefront6targetE1EEEvT1_
                                        ; -- End function
	.section	.AMDGPU.csdata,"",@progbits
; Kernel info:
; codeLenInByte = 0
; NumSgprs: 4
; NumVgprs: 0
; NumAgprs: 0
; TotalNumVgprs: 0
; ScratchSize: 0
; MemoryBound: 0
; FloatMode: 240
; IeeeMode: 1
; LDSByteSize: 0 bytes/workgroup (compile time only)
; SGPRBlocks: 0
; VGPRBlocks: 0
; NumSGPRsForWavesPerEU: 4
; NumVGPRsForWavesPerEU: 1
; AccumOffset: 4
; Occupancy: 8
; WaveLimiterHint : 0
; COMPUTE_PGM_RSRC2:SCRATCH_EN: 0
; COMPUTE_PGM_RSRC2:USER_SGPR: 6
; COMPUTE_PGM_RSRC2:TRAP_HANDLER: 0
; COMPUTE_PGM_RSRC2:TGID_X_EN: 1
; COMPUTE_PGM_RSRC2:TGID_Y_EN: 0
; COMPUTE_PGM_RSRC2:TGID_Z_EN: 0
; COMPUTE_PGM_RSRC2:TIDIG_COMP_CNT: 0
; COMPUTE_PGM_RSRC3_GFX90A:ACCUM_OFFSET: 0
; COMPUTE_PGM_RSRC3_GFX90A:TG_SPLIT: 0
	.section	.text._ZN7rocprim17ROCPRIM_400000_NS6detail17trampoline_kernelINS0_14default_configENS1_20scan_config_selectorItEEZZNS1_9scan_implILNS1_25lookback_scan_determinismE0ELb1ELb1ES3_N6thrust23THRUST_200600_302600_NS6detail15normal_iteratorINS9_10device_ptrItEEEENS9_16discard_iteratorINS9_11use_defaultEEEt11max_functorItEtEEDaPvRmT3_T4_T5_mT6_P12ihipStream_tbENKUlT_T0_E_clISt17integral_constantIbLb0EESW_IbLb1EEEEDaSS_ST_EUlSS_E_NS1_11comp_targetILNS1_3genE2ELNS1_11target_archE906ELNS1_3gpuE6ELNS1_3repE0EEENS1_30default_config_static_selectorELNS0_4arch9wavefront6targetE1EEEvT1_,"axG",@progbits,_ZN7rocprim17ROCPRIM_400000_NS6detail17trampoline_kernelINS0_14default_configENS1_20scan_config_selectorItEEZZNS1_9scan_implILNS1_25lookback_scan_determinismE0ELb1ELb1ES3_N6thrust23THRUST_200600_302600_NS6detail15normal_iteratorINS9_10device_ptrItEEEENS9_16discard_iteratorINS9_11use_defaultEEEt11max_functorItEtEEDaPvRmT3_T4_T5_mT6_P12ihipStream_tbENKUlT_T0_E_clISt17integral_constantIbLb0EESW_IbLb1EEEEDaSS_ST_EUlSS_E_NS1_11comp_targetILNS1_3genE2ELNS1_11target_archE906ELNS1_3gpuE6ELNS1_3repE0EEENS1_30default_config_static_selectorELNS0_4arch9wavefront6targetE1EEEvT1_,comdat
	.protected	_ZN7rocprim17ROCPRIM_400000_NS6detail17trampoline_kernelINS0_14default_configENS1_20scan_config_selectorItEEZZNS1_9scan_implILNS1_25lookback_scan_determinismE0ELb1ELb1ES3_N6thrust23THRUST_200600_302600_NS6detail15normal_iteratorINS9_10device_ptrItEEEENS9_16discard_iteratorINS9_11use_defaultEEEt11max_functorItEtEEDaPvRmT3_T4_T5_mT6_P12ihipStream_tbENKUlT_T0_E_clISt17integral_constantIbLb0EESW_IbLb1EEEEDaSS_ST_EUlSS_E_NS1_11comp_targetILNS1_3genE2ELNS1_11target_archE906ELNS1_3gpuE6ELNS1_3repE0EEENS1_30default_config_static_selectorELNS0_4arch9wavefront6targetE1EEEvT1_ ; -- Begin function _ZN7rocprim17ROCPRIM_400000_NS6detail17trampoline_kernelINS0_14default_configENS1_20scan_config_selectorItEEZZNS1_9scan_implILNS1_25lookback_scan_determinismE0ELb1ELb1ES3_N6thrust23THRUST_200600_302600_NS6detail15normal_iteratorINS9_10device_ptrItEEEENS9_16discard_iteratorINS9_11use_defaultEEEt11max_functorItEtEEDaPvRmT3_T4_T5_mT6_P12ihipStream_tbENKUlT_T0_E_clISt17integral_constantIbLb0EESW_IbLb1EEEEDaSS_ST_EUlSS_E_NS1_11comp_targetILNS1_3genE2ELNS1_11target_archE906ELNS1_3gpuE6ELNS1_3repE0EEENS1_30default_config_static_selectorELNS0_4arch9wavefront6targetE1EEEvT1_
	.globl	_ZN7rocprim17ROCPRIM_400000_NS6detail17trampoline_kernelINS0_14default_configENS1_20scan_config_selectorItEEZZNS1_9scan_implILNS1_25lookback_scan_determinismE0ELb1ELb1ES3_N6thrust23THRUST_200600_302600_NS6detail15normal_iteratorINS9_10device_ptrItEEEENS9_16discard_iteratorINS9_11use_defaultEEEt11max_functorItEtEEDaPvRmT3_T4_T5_mT6_P12ihipStream_tbENKUlT_T0_E_clISt17integral_constantIbLb0EESW_IbLb1EEEEDaSS_ST_EUlSS_E_NS1_11comp_targetILNS1_3genE2ELNS1_11target_archE906ELNS1_3gpuE6ELNS1_3repE0EEENS1_30default_config_static_selectorELNS0_4arch9wavefront6targetE1EEEvT1_
	.p2align	8
	.type	_ZN7rocprim17ROCPRIM_400000_NS6detail17trampoline_kernelINS0_14default_configENS1_20scan_config_selectorItEEZZNS1_9scan_implILNS1_25lookback_scan_determinismE0ELb1ELb1ES3_N6thrust23THRUST_200600_302600_NS6detail15normal_iteratorINS9_10device_ptrItEEEENS9_16discard_iteratorINS9_11use_defaultEEEt11max_functorItEtEEDaPvRmT3_T4_T5_mT6_P12ihipStream_tbENKUlT_T0_E_clISt17integral_constantIbLb0EESW_IbLb1EEEEDaSS_ST_EUlSS_E_NS1_11comp_targetILNS1_3genE2ELNS1_11target_archE906ELNS1_3gpuE6ELNS1_3repE0EEENS1_30default_config_static_selectorELNS0_4arch9wavefront6targetE1EEEvT1_,@function
_ZN7rocprim17ROCPRIM_400000_NS6detail17trampoline_kernelINS0_14default_configENS1_20scan_config_selectorItEEZZNS1_9scan_implILNS1_25lookback_scan_determinismE0ELb1ELb1ES3_N6thrust23THRUST_200600_302600_NS6detail15normal_iteratorINS9_10device_ptrItEEEENS9_16discard_iteratorINS9_11use_defaultEEEt11max_functorItEtEEDaPvRmT3_T4_T5_mT6_P12ihipStream_tbENKUlT_T0_E_clISt17integral_constantIbLb0EESW_IbLb1EEEEDaSS_ST_EUlSS_E_NS1_11comp_targetILNS1_3genE2ELNS1_11target_archE906ELNS1_3gpuE6ELNS1_3repE0EEENS1_30default_config_static_selectorELNS0_4arch9wavefront6targetE1EEEvT1_: ; @_ZN7rocprim17ROCPRIM_400000_NS6detail17trampoline_kernelINS0_14default_configENS1_20scan_config_selectorItEEZZNS1_9scan_implILNS1_25lookback_scan_determinismE0ELb1ELb1ES3_N6thrust23THRUST_200600_302600_NS6detail15normal_iteratorINS9_10device_ptrItEEEENS9_16discard_iteratorINS9_11use_defaultEEEt11max_functorItEtEEDaPvRmT3_T4_T5_mT6_P12ihipStream_tbENKUlT_T0_E_clISt17integral_constantIbLb0EESW_IbLb1EEEEDaSS_ST_EUlSS_E_NS1_11comp_targetILNS1_3genE2ELNS1_11target_archE906ELNS1_3gpuE6ELNS1_3repE0EEENS1_30default_config_static_selectorELNS0_4arch9wavefront6targetE1EEEvT1_
; %bb.0:
	.section	.rodata,"a",@progbits
	.p2align	6, 0x0
	.amdhsa_kernel _ZN7rocprim17ROCPRIM_400000_NS6detail17trampoline_kernelINS0_14default_configENS1_20scan_config_selectorItEEZZNS1_9scan_implILNS1_25lookback_scan_determinismE0ELb1ELb1ES3_N6thrust23THRUST_200600_302600_NS6detail15normal_iteratorINS9_10device_ptrItEEEENS9_16discard_iteratorINS9_11use_defaultEEEt11max_functorItEtEEDaPvRmT3_T4_T5_mT6_P12ihipStream_tbENKUlT_T0_E_clISt17integral_constantIbLb0EESW_IbLb1EEEEDaSS_ST_EUlSS_E_NS1_11comp_targetILNS1_3genE2ELNS1_11target_archE906ELNS1_3gpuE6ELNS1_3repE0EEENS1_30default_config_static_selectorELNS0_4arch9wavefront6targetE1EEEvT1_
		.amdhsa_group_segment_fixed_size 0
		.amdhsa_private_segment_fixed_size 0
		.amdhsa_kernarg_size 104
		.amdhsa_user_sgpr_count 6
		.amdhsa_user_sgpr_private_segment_buffer 1
		.amdhsa_user_sgpr_dispatch_ptr 0
		.amdhsa_user_sgpr_queue_ptr 0
		.amdhsa_user_sgpr_kernarg_segment_ptr 1
		.amdhsa_user_sgpr_dispatch_id 0
		.amdhsa_user_sgpr_flat_scratch_init 0
		.amdhsa_user_sgpr_kernarg_preload_length 0
		.amdhsa_user_sgpr_kernarg_preload_offset 0
		.amdhsa_user_sgpr_private_segment_size 0
		.amdhsa_uses_dynamic_stack 0
		.amdhsa_system_sgpr_private_segment_wavefront_offset 0
		.amdhsa_system_sgpr_workgroup_id_x 1
		.amdhsa_system_sgpr_workgroup_id_y 0
		.amdhsa_system_sgpr_workgroup_id_z 0
		.amdhsa_system_sgpr_workgroup_info 0
		.amdhsa_system_vgpr_workitem_id 0
		.amdhsa_next_free_vgpr 1
		.amdhsa_next_free_sgpr 0
		.amdhsa_accum_offset 4
		.amdhsa_reserve_vcc 0
		.amdhsa_reserve_flat_scratch 0
		.amdhsa_float_round_mode_32 0
		.amdhsa_float_round_mode_16_64 0
		.amdhsa_float_denorm_mode_32 3
		.amdhsa_float_denorm_mode_16_64 3
		.amdhsa_dx10_clamp 1
		.amdhsa_ieee_mode 1
		.amdhsa_fp16_overflow 0
		.amdhsa_tg_split 0
		.amdhsa_exception_fp_ieee_invalid_op 0
		.amdhsa_exception_fp_denorm_src 0
		.amdhsa_exception_fp_ieee_div_zero 0
		.amdhsa_exception_fp_ieee_overflow 0
		.amdhsa_exception_fp_ieee_underflow 0
		.amdhsa_exception_fp_ieee_inexact 0
		.amdhsa_exception_int_div_zero 0
	.end_amdhsa_kernel
	.section	.text._ZN7rocprim17ROCPRIM_400000_NS6detail17trampoline_kernelINS0_14default_configENS1_20scan_config_selectorItEEZZNS1_9scan_implILNS1_25lookback_scan_determinismE0ELb1ELb1ES3_N6thrust23THRUST_200600_302600_NS6detail15normal_iteratorINS9_10device_ptrItEEEENS9_16discard_iteratorINS9_11use_defaultEEEt11max_functorItEtEEDaPvRmT3_T4_T5_mT6_P12ihipStream_tbENKUlT_T0_E_clISt17integral_constantIbLb0EESW_IbLb1EEEEDaSS_ST_EUlSS_E_NS1_11comp_targetILNS1_3genE2ELNS1_11target_archE906ELNS1_3gpuE6ELNS1_3repE0EEENS1_30default_config_static_selectorELNS0_4arch9wavefront6targetE1EEEvT1_,"axG",@progbits,_ZN7rocprim17ROCPRIM_400000_NS6detail17trampoline_kernelINS0_14default_configENS1_20scan_config_selectorItEEZZNS1_9scan_implILNS1_25lookback_scan_determinismE0ELb1ELb1ES3_N6thrust23THRUST_200600_302600_NS6detail15normal_iteratorINS9_10device_ptrItEEEENS9_16discard_iteratorINS9_11use_defaultEEEt11max_functorItEtEEDaPvRmT3_T4_T5_mT6_P12ihipStream_tbENKUlT_T0_E_clISt17integral_constantIbLb0EESW_IbLb1EEEEDaSS_ST_EUlSS_E_NS1_11comp_targetILNS1_3genE2ELNS1_11target_archE906ELNS1_3gpuE6ELNS1_3repE0EEENS1_30default_config_static_selectorELNS0_4arch9wavefront6targetE1EEEvT1_,comdat
.Lfunc_end3696:
	.size	_ZN7rocprim17ROCPRIM_400000_NS6detail17trampoline_kernelINS0_14default_configENS1_20scan_config_selectorItEEZZNS1_9scan_implILNS1_25lookback_scan_determinismE0ELb1ELb1ES3_N6thrust23THRUST_200600_302600_NS6detail15normal_iteratorINS9_10device_ptrItEEEENS9_16discard_iteratorINS9_11use_defaultEEEt11max_functorItEtEEDaPvRmT3_T4_T5_mT6_P12ihipStream_tbENKUlT_T0_E_clISt17integral_constantIbLb0EESW_IbLb1EEEEDaSS_ST_EUlSS_E_NS1_11comp_targetILNS1_3genE2ELNS1_11target_archE906ELNS1_3gpuE6ELNS1_3repE0EEENS1_30default_config_static_selectorELNS0_4arch9wavefront6targetE1EEEvT1_, .Lfunc_end3696-_ZN7rocprim17ROCPRIM_400000_NS6detail17trampoline_kernelINS0_14default_configENS1_20scan_config_selectorItEEZZNS1_9scan_implILNS1_25lookback_scan_determinismE0ELb1ELb1ES3_N6thrust23THRUST_200600_302600_NS6detail15normal_iteratorINS9_10device_ptrItEEEENS9_16discard_iteratorINS9_11use_defaultEEEt11max_functorItEtEEDaPvRmT3_T4_T5_mT6_P12ihipStream_tbENKUlT_T0_E_clISt17integral_constantIbLb0EESW_IbLb1EEEEDaSS_ST_EUlSS_E_NS1_11comp_targetILNS1_3genE2ELNS1_11target_archE906ELNS1_3gpuE6ELNS1_3repE0EEENS1_30default_config_static_selectorELNS0_4arch9wavefront6targetE1EEEvT1_
                                        ; -- End function
	.section	.AMDGPU.csdata,"",@progbits
; Kernel info:
; codeLenInByte = 0
; NumSgprs: 4
; NumVgprs: 0
; NumAgprs: 0
; TotalNumVgprs: 0
; ScratchSize: 0
; MemoryBound: 0
; FloatMode: 240
; IeeeMode: 1
; LDSByteSize: 0 bytes/workgroup (compile time only)
; SGPRBlocks: 0
; VGPRBlocks: 0
; NumSGPRsForWavesPerEU: 4
; NumVGPRsForWavesPerEU: 1
; AccumOffset: 4
; Occupancy: 8
; WaveLimiterHint : 0
; COMPUTE_PGM_RSRC2:SCRATCH_EN: 0
; COMPUTE_PGM_RSRC2:USER_SGPR: 6
; COMPUTE_PGM_RSRC2:TRAP_HANDLER: 0
; COMPUTE_PGM_RSRC2:TGID_X_EN: 1
; COMPUTE_PGM_RSRC2:TGID_Y_EN: 0
; COMPUTE_PGM_RSRC2:TGID_Z_EN: 0
; COMPUTE_PGM_RSRC2:TIDIG_COMP_CNT: 0
; COMPUTE_PGM_RSRC3_GFX90A:ACCUM_OFFSET: 0
; COMPUTE_PGM_RSRC3_GFX90A:TG_SPLIT: 0
	.section	.text._ZN7rocprim17ROCPRIM_400000_NS6detail17trampoline_kernelINS0_14default_configENS1_20scan_config_selectorItEEZZNS1_9scan_implILNS1_25lookback_scan_determinismE0ELb1ELb1ES3_N6thrust23THRUST_200600_302600_NS6detail15normal_iteratorINS9_10device_ptrItEEEENS9_16discard_iteratorINS9_11use_defaultEEEt11max_functorItEtEEDaPvRmT3_T4_T5_mT6_P12ihipStream_tbENKUlT_T0_E_clISt17integral_constantIbLb0EESW_IbLb1EEEEDaSS_ST_EUlSS_E_NS1_11comp_targetILNS1_3genE10ELNS1_11target_archE1201ELNS1_3gpuE5ELNS1_3repE0EEENS1_30default_config_static_selectorELNS0_4arch9wavefront6targetE1EEEvT1_,"axG",@progbits,_ZN7rocprim17ROCPRIM_400000_NS6detail17trampoline_kernelINS0_14default_configENS1_20scan_config_selectorItEEZZNS1_9scan_implILNS1_25lookback_scan_determinismE0ELb1ELb1ES3_N6thrust23THRUST_200600_302600_NS6detail15normal_iteratorINS9_10device_ptrItEEEENS9_16discard_iteratorINS9_11use_defaultEEEt11max_functorItEtEEDaPvRmT3_T4_T5_mT6_P12ihipStream_tbENKUlT_T0_E_clISt17integral_constantIbLb0EESW_IbLb1EEEEDaSS_ST_EUlSS_E_NS1_11comp_targetILNS1_3genE10ELNS1_11target_archE1201ELNS1_3gpuE5ELNS1_3repE0EEENS1_30default_config_static_selectorELNS0_4arch9wavefront6targetE1EEEvT1_,comdat
	.protected	_ZN7rocprim17ROCPRIM_400000_NS6detail17trampoline_kernelINS0_14default_configENS1_20scan_config_selectorItEEZZNS1_9scan_implILNS1_25lookback_scan_determinismE0ELb1ELb1ES3_N6thrust23THRUST_200600_302600_NS6detail15normal_iteratorINS9_10device_ptrItEEEENS9_16discard_iteratorINS9_11use_defaultEEEt11max_functorItEtEEDaPvRmT3_T4_T5_mT6_P12ihipStream_tbENKUlT_T0_E_clISt17integral_constantIbLb0EESW_IbLb1EEEEDaSS_ST_EUlSS_E_NS1_11comp_targetILNS1_3genE10ELNS1_11target_archE1201ELNS1_3gpuE5ELNS1_3repE0EEENS1_30default_config_static_selectorELNS0_4arch9wavefront6targetE1EEEvT1_ ; -- Begin function _ZN7rocprim17ROCPRIM_400000_NS6detail17trampoline_kernelINS0_14default_configENS1_20scan_config_selectorItEEZZNS1_9scan_implILNS1_25lookback_scan_determinismE0ELb1ELb1ES3_N6thrust23THRUST_200600_302600_NS6detail15normal_iteratorINS9_10device_ptrItEEEENS9_16discard_iteratorINS9_11use_defaultEEEt11max_functorItEtEEDaPvRmT3_T4_T5_mT6_P12ihipStream_tbENKUlT_T0_E_clISt17integral_constantIbLb0EESW_IbLb1EEEEDaSS_ST_EUlSS_E_NS1_11comp_targetILNS1_3genE10ELNS1_11target_archE1201ELNS1_3gpuE5ELNS1_3repE0EEENS1_30default_config_static_selectorELNS0_4arch9wavefront6targetE1EEEvT1_
	.globl	_ZN7rocprim17ROCPRIM_400000_NS6detail17trampoline_kernelINS0_14default_configENS1_20scan_config_selectorItEEZZNS1_9scan_implILNS1_25lookback_scan_determinismE0ELb1ELb1ES3_N6thrust23THRUST_200600_302600_NS6detail15normal_iteratorINS9_10device_ptrItEEEENS9_16discard_iteratorINS9_11use_defaultEEEt11max_functorItEtEEDaPvRmT3_T4_T5_mT6_P12ihipStream_tbENKUlT_T0_E_clISt17integral_constantIbLb0EESW_IbLb1EEEEDaSS_ST_EUlSS_E_NS1_11comp_targetILNS1_3genE10ELNS1_11target_archE1201ELNS1_3gpuE5ELNS1_3repE0EEENS1_30default_config_static_selectorELNS0_4arch9wavefront6targetE1EEEvT1_
	.p2align	8
	.type	_ZN7rocprim17ROCPRIM_400000_NS6detail17trampoline_kernelINS0_14default_configENS1_20scan_config_selectorItEEZZNS1_9scan_implILNS1_25lookback_scan_determinismE0ELb1ELb1ES3_N6thrust23THRUST_200600_302600_NS6detail15normal_iteratorINS9_10device_ptrItEEEENS9_16discard_iteratorINS9_11use_defaultEEEt11max_functorItEtEEDaPvRmT3_T4_T5_mT6_P12ihipStream_tbENKUlT_T0_E_clISt17integral_constantIbLb0EESW_IbLb1EEEEDaSS_ST_EUlSS_E_NS1_11comp_targetILNS1_3genE10ELNS1_11target_archE1201ELNS1_3gpuE5ELNS1_3repE0EEENS1_30default_config_static_selectorELNS0_4arch9wavefront6targetE1EEEvT1_,@function
_ZN7rocprim17ROCPRIM_400000_NS6detail17trampoline_kernelINS0_14default_configENS1_20scan_config_selectorItEEZZNS1_9scan_implILNS1_25lookback_scan_determinismE0ELb1ELb1ES3_N6thrust23THRUST_200600_302600_NS6detail15normal_iteratorINS9_10device_ptrItEEEENS9_16discard_iteratorINS9_11use_defaultEEEt11max_functorItEtEEDaPvRmT3_T4_T5_mT6_P12ihipStream_tbENKUlT_T0_E_clISt17integral_constantIbLb0EESW_IbLb1EEEEDaSS_ST_EUlSS_E_NS1_11comp_targetILNS1_3genE10ELNS1_11target_archE1201ELNS1_3gpuE5ELNS1_3repE0EEENS1_30default_config_static_selectorELNS0_4arch9wavefront6targetE1EEEvT1_: ; @_ZN7rocprim17ROCPRIM_400000_NS6detail17trampoline_kernelINS0_14default_configENS1_20scan_config_selectorItEEZZNS1_9scan_implILNS1_25lookback_scan_determinismE0ELb1ELb1ES3_N6thrust23THRUST_200600_302600_NS6detail15normal_iteratorINS9_10device_ptrItEEEENS9_16discard_iteratorINS9_11use_defaultEEEt11max_functorItEtEEDaPvRmT3_T4_T5_mT6_P12ihipStream_tbENKUlT_T0_E_clISt17integral_constantIbLb0EESW_IbLb1EEEEDaSS_ST_EUlSS_E_NS1_11comp_targetILNS1_3genE10ELNS1_11target_archE1201ELNS1_3gpuE5ELNS1_3repE0EEENS1_30default_config_static_selectorELNS0_4arch9wavefront6targetE1EEEvT1_
; %bb.0:
	.section	.rodata,"a",@progbits
	.p2align	6, 0x0
	.amdhsa_kernel _ZN7rocprim17ROCPRIM_400000_NS6detail17trampoline_kernelINS0_14default_configENS1_20scan_config_selectorItEEZZNS1_9scan_implILNS1_25lookback_scan_determinismE0ELb1ELb1ES3_N6thrust23THRUST_200600_302600_NS6detail15normal_iteratorINS9_10device_ptrItEEEENS9_16discard_iteratorINS9_11use_defaultEEEt11max_functorItEtEEDaPvRmT3_T4_T5_mT6_P12ihipStream_tbENKUlT_T0_E_clISt17integral_constantIbLb0EESW_IbLb1EEEEDaSS_ST_EUlSS_E_NS1_11comp_targetILNS1_3genE10ELNS1_11target_archE1201ELNS1_3gpuE5ELNS1_3repE0EEENS1_30default_config_static_selectorELNS0_4arch9wavefront6targetE1EEEvT1_
		.amdhsa_group_segment_fixed_size 0
		.amdhsa_private_segment_fixed_size 0
		.amdhsa_kernarg_size 104
		.amdhsa_user_sgpr_count 6
		.amdhsa_user_sgpr_private_segment_buffer 1
		.amdhsa_user_sgpr_dispatch_ptr 0
		.amdhsa_user_sgpr_queue_ptr 0
		.amdhsa_user_sgpr_kernarg_segment_ptr 1
		.amdhsa_user_sgpr_dispatch_id 0
		.amdhsa_user_sgpr_flat_scratch_init 0
		.amdhsa_user_sgpr_kernarg_preload_length 0
		.amdhsa_user_sgpr_kernarg_preload_offset 0
		.amdhsa_user_sgpr_private_segment_size 0
		.amdhsa_uses_dynamic_stack 0
		.amdhsa_system_sgpr_private_segment_wavefront_offset 0
		.amdhsa_system_sgpr_workgroup_id_x 1
		.amdhsa_system_sgpr_workgroup_id_y 0
		.amdhsa_system_sgpr_workgroup_id_z 0
		.amdhsa_system_sgpr_workgroup_info 0
		.amdhsa_system_vgpr_workitem_id 0
		.amdhsa_next_free_vgpr 1
		.amdhsa_next_free_sgpr 0
		.amdhsa_accum_offset 4
		.amdhsa_reserve_vcc 0
		.amdhsa_reserve_flat_scratch 0
		.amdhsa_float_round_mode_32 0
		.amdhsa_float_round_mode_16_64 0
		.amdhsa_float_denorm_mode_32 3
		.amdhsa_float_denorm_mode_16_64 3
		.amdhsa_dx10_clamp 1
		.amdhsa_ieee_mode 1
		.amdhsa_fp16_overflow 0
		.amdhsa_tg_split 0
		.amdhsa_exception_fp_ieee_invalid_op 0
		.amdhsa_exception_fp_denorm_src 0
		.amdhsa_exception_fp_ieee_div_zero 0
		.amdhsa_exception_fp_ieee_overflow 0
		.amdhsa_exception_fp_ieee_underflow 0
		.amdhsa_exception_fp_ieee_inexact 0
		.amdhsa_exception_int_div_zero 0
	.end_amdhsa_kernel
	.section	.text._ZN7rocprim17ROCPRIM_400000_NS6detail17trampoline_kernelINS0_14default_configENS1_20scan_config_selectorItEEZZNS1_9scan_implILNS1_25lookback_scan_determinismE0ELb1ELb1ES3_N6thrust23THRUST_200600_302600_NS6detail15normal_iteratorINS9_10device_ptrItEEEENS9_16discard_iteratorINS9_11use_defaultEEEt11max_functorItEtEEDaPvRmT3_T4_T5_mT6_P12ihipStream_tbENKUlT_T0_E_clISt17integral_constantIbLb0EESW_IbLb1EEEEDaSS_ST_EUlSS_E_NS1_11comp_targetILNS1_3genE10ELNS1_11target_archE1201ELNS1_3gpuE5ELNS1_3repE0EEENS1_30default_config_static_selectorELNS0_4arch9wavefront6targetE1EEEvT1_,"axG",@progbits,_ZN7rocprim17ROCPRIM_400000_NS6detail17trampoline_kernelINS0_14default_configENS1_20scan_config_selectorItEEZZNS1_9scan_implILNS1_25lookback_scan_determinismE0ELb1ELb1ES3_N6thrust23THRUST_200600_302600_NS6detail15normal_iteratorINS9_10device_ptrItEEEENS9_16discard_iteratorINS9_11use_defaultEEEt11max_functorItEtEEDaPvRmT3_T4_T5_mT6_P12ihipStream_tbENKUlT_T0_E_clISt17integral_constantIbLb0EESW_IbLb1EEEEDaSS_ST_EUlSS_E_NS1_11comp_targetILNS1_3genE10ELNS1_11target_archE1201ELNS1_3gpuE5ELNS1_3repE0EEENS1_30default_config_static_selectorELNS0_4arch9wavefront6targetE1EEEvT1_,comdat
.Lfunc_end3697:
	.size	_ZN7rocprim17ROCPRIM_400000_NS6detail17trampoline_kernelINS0_14default_configENS1_20scan_config_selectorItEEZZNS1_9scan_implILNS1_25lookback_scan_determinismE0ELb1ELb1ES3_N6thrust23THRUST_200600_302600_NS6detail15normal_iteratorINS9_10device_ptrItEEEENS9_16discard_iteratorINS9_11use_defaultEEEt11max_functorItEtEEDaPvRmT3_T4_T5_mT6_P12ihipStream_tbENKUlT_T0_E_clISt17integral_constantIbLb0EESW_IbLb1EEEEDaSS_ST_EUlSS_E_NS1_11comp_targetILNS1_3genE10ELNS1_11target_archE1201ELNS1_3gpuE5ELNS1_3repE0EEENS1_30default_config_static_selectorELNS0_4arch9wavefront6targetE1EEEvT1_, .Lfunc_end3697-_ZN7rocprim17ROCPRIM_400000_NS6detail17trampoline_kernelINS0_14default_configENS1_20scan_config_selectorItEEZZNS1_9scan_implILNS1_25lookback_scan_determinismE0ELb1ELb1ES3_N6thrust23THRUST_200600_302600_NS6detail15normal_iteratorINS9_10device_ptrItEEEENS9_16discard_iteratorINS9_11use_defaultEEEt11max_functorItEtEEDaPvRmT3_T4_T5_mT6_P12ihipStream_tbENKUlT_T0_E_clISt17integral_constantIbLb0EESW_IbLb1EEEEDaSS_ST_EUlSS_E_NS1_11comp_targetILNS1_3genE10ELNS1_11target_archE1201ELNS1_3gpuE5ELNS1_3repE0EEENS1_30default_config_static_selectorELNS0_4arch9wavefront6targetE1EEEvT1_
                                        ; -- End function
	.section	.AMDGPU.csdata,"",@progbits
; Kernel info:
; codeLenInByte = 0
; NumSgprs: 4
; NumVgprs: 0
; NumAgprs: 0
; TotalNumVgprs: 0
; ScratchSize: 0
; MemoryBound: 0
; FloatMode: 240
; IeeeMode: 1
; LDSByteSize: 0 bytes/workgroup (compile time only)
; SGPRBlocks: 0
; VGPRBlocks: 0
; NumSGPRsForWavesPerEU: 4
; NumVGPRsForWavesPerEU: 1
; AccumOffset: 4
; Occupancy: 8
; WaveLimiterHint : 0
; COMPUTE_PGM_RSRC2:SCRATCH_EN: 0
; COMPUTE_PGM_RSRC2:USER_SGPR: 6
; COMPUTE_PGM_RSRC2:TRAP_HANDLER: 0
; COMPUTE_PGM_RSRC2:TGID_X_EN: 1
; COMPUTE_PGM_RSRC2:TGID_Y_EN: 0
; COMPUTE_PGM_RSRC2:TGID_Z_EN: 0
; COMPUTE_PGM_RSRC2:TIDIG_COMP_CNT: 0
; COMPUTE_PGM_RSRC3_GFX90A:ACCUM_OFFSET: 0
; COMPUTE_PGM_RSRC3_GFX90A:TG_SPLIT: 0
	.section	.text._ZN7rocprim17ROCPRIM_400000_NS6detail17trampoline_kernelINS0_14default_configENS1_20scan_config_selectorItEEZZNS1_9scan_implILNS1_25lookback_scan_determinismE0ELb1ELb1ES3_N6thrust23THRUST_200600_302600_NS6detail15normal_iteratorINS9_10device_ptrItEEEENS9_16discard_iteratorINS9_11use_defaultEEEt11max_functorItEtEEDaPvRmT3_T4_T5_mT6_P12ihipStream_tbENKUlT_T0_E_clISt17integral_constantIbLb0EESW_IbLb1EEEEDaSS_ST_EUlSS_E_NS1_11comp_targetILNS1_3genE10ELNS1_11target_archE1200ELNS1_3gpuE4ELNS1_3repE0EEENS1_30default_config_static_selectorELNS0_4arch9wavefront6targetE1EEEvT1_,"axG",@progbits,_ZN7rocprim17ROCPRIM_400000_NS6detail17trampoline_kernelINS0_14default_configENS1_20scan_config_selectorItEEZZNS1_9scan_implILNS1_25lookback_scan_determinismE0ELb1ELb1ES3_N6thrust23THRUST_200600_302600_NS6detail15normal_iteratorINS9_10device_ptrItEEEENS9_16discard_iteratorINS9_11use_defaultEEEt11max_functorItEtEEDaPvRmT3_T4_T5_mT6_P12ihipStream_tbENKUlT_T0_E_clISt17integral_constantIbLb0EESW_IbLb1EEEEDaSS_ST_EUlSS_E_NS1_11comp_targetILNS1_3genE10ELNS1_11target_archE1200ELNS1_3gpuE4ELNS1_3repE0EEENS1_30default_config_static_selectorELNS0_4arch9wavefront6targetE1EEEvT1_,comdat
	.protected	_ZN7rocprim17ROCPRIM_400000_NS6detail17trampoline_kernelINS0_14default_configENS1_20scan_config_selectorItEEZZNS1_9scan_implILNS1_25lookback_scan_determinismE0ELb1ELb1ES3_N6thrust23THRUST_200600_302600_NS6detail15normal_iteratorINS9_10device_ptrItEEEENS9_16discard_iteratorINS9_11use_defaultEEEt11max_functorItEtEEDaPvRmT3_T4_T5_mT6_P12ihipStream_tbENKUlT_T0_E_clISt17integral_constantIbLb0EESW_IbLb1EEEEDaSS_ST_EUlSS_E_NS1_11comp_targetILNS1_3genE10ELNS1_11target_archE1200ELNS1_3gpuE4ELNS1_3repE0EEENS1_30default_config_static_selectorELNS0_4arch9wavefront6targetE1EEEvT1_ ; -- Begin function _ZN7rocprim17ROCPRIM_400000_NS6detail17trampoline_kernelINS0_14default_configENS1_20scan_config_selectorItEEZZNS1_9scan_implILNS1_25lookback_scan_determinismE0ELb1ELb1ES3_N6thrust23THRUST_200600_302600_NS6detail15normal_iteratorINS9_10device_ptrItEEEENS9_16discard_iteratorINS9_11use_defaultEEEt11max_functorItEtEEDaPvRmT3_T4_T5_mT6_P12ihipStream_tbENKUlT_T0_E_clISt17integral_constantIbLb0EESW_IbLb1EEEEDaSS_ST_EUlSS_E_NS1_11comp_targetILNS1_3genE10ELNS1_11target_archE1200ELNS1_3gpuE4ELNS1_3repE0EEENS1_30default_config_static_selectorELNS0_4arch9wavefront6targetE1EEEvT1_
	.globl	_ZN7rocprim17ROCPRIM_400000_NS6detail17trampoline_kernelINS0_14default_configENS1_20scan_config_selectorItEEZZNS1_9scan_implILNS1_25lookback_scan_determinismE0ELb1ELb1ES3_N6thrust23THRUST_200600_302600_NS6detail15normal_iteratorINS9_10device_ptrItEEEENS9_16discard_iteratorINS9_11use_defaultEEEt11max_functorItEtEEDaPvRmT3_T4_T5_mT6_P12ihipStream_tbENKUlT_T0_E_clISt17integral_constantIbLb0EESW_IbLb1EEEEDaSS_ST_EUlSS_E_NS1_11comp_targetILNS1_3genE10ELNS1_11target_archE1200ELNS1_3gpuE4ELNS1_3repE0EEENS1_30default_config_static_selectorELNS0_4arch9wavefront6targetE1EEEvT1_
	.p2align	8
	.type	_ZN7rocprim17ROCPRIM_400000_NS6detail17trampoline_kernelINS0_14default_configENS1_20scan_config_selectorItEEZZNS1_9scan_implILNS1_25lookback_scan_determinismE0ELb1ELb1ES3_N6thrust23THRUST_200600_302600_NS6detail15normal_iteratorINS9_10device_ptrItEEEENS9_16discard_iteratorINS9_11use_defaultEEEt11max_functorItEtEEDaPvRmT3_T4_T5_mT6_P12ihipStream_tbENKUlT_T0_E_clISt17integral_constantIbLb0EESW_IbLb1EEEEDaSS_ST_EUlSS_E_NS1_11comp_targetILNS1_3genE10ELNS1_11target_archE1200ELNS1_3gpuE4ELNS1_3repE0EEENS1_30default_config_static_selectorELNS0_4arch9wavefront6targetE1EEEvT1_,@function
_ZN7rocprim17ROCPRIM_400000_NS6detail17trampoline_kernelINS0_14default_configENS1_20scan_config_selectorItEEZZNS1_9scan_implILNS1_25lookback_scan_determinismE0ELb1ELb1ES3_N6thrust23THRUST_200600_302600_NS6detail15normal_iteratorINS9_10device_ptrItEEEENS9_16discard_iteratorINS9_11use_defaultEEEt11max_functorItEtEEDaPvRmT3_T4_T5_mT6_P12ihipStream_tbENKUlT_T0_E_clISt17integral_constantIbLb0EESW_IbLb1EEEEDaSS_ST_EUlSS_E_NS1_11comp_targetILNS1_3genE10ELNS1_11target_archE1200ELNS1_3gpuE4ELNS1_3repE0EEENS1_30default_config_static_selectorELNS0_4arch9wavefront6targetE1EEEvT1_: ; @_ZN7rocprim17ROCPRIM_400000_NS6detail17trampoline_kernelINS0_14default_configENS1_20scan_config_selectorItEEZZNS1_9scan_implILNS1_25lookback_scan_determinismE0ELb1ELb1ES3_N6thrust23THRUST_200600_302600_NS6detail15normal_iteratorINS9_10device_ptrItEEEENS9_16discard_iteratorINS9_11use_defaultEEEt11max_functorItEtEEDaPvRmT3_T4_T5_mT6_P12ihipStream_tbENKUlT_T0_E_clISt17integral_constantIbLb0EESW_IbLb1EEEEDaSS_ST_EUlSS_E_NS1_11comp_targetILNS1_3genE10ELNS1_11target_archE1200ELNS1_3gpuE4ELNS1_3repE0EEENS1_30default_config_static_selectorELNS0_4arch9wavefront6targetE1EEEvT1_
; %bb.0:
	.section	.rodata,"a",@progbits
	.p2align	6, 0x0
	.amdhsa_kernel _ZN7rocprim17ROCPRIM_400000_NS6detail17trampoline_kernelINS0_14default_configENS1_20scan_config_selectorItEEZZNS1_9scan_implILNS1_25lookback_scan_determinismE0ELb1ELb1ES3_N6thrust23THRUST_200600_302600_NS6detail15normal_iteratorINS9_10device_ptrItEEEENS9_16discard_iteratorINS9_11use_defaultEEEt11max_functorItEtEEDaPvRmT3_T4_T5_mT6_P12ihipStream_tbENKUlT_T0_E_clISt17integral_constantIbLb0EESW_IbLb1EEEEDaSS_ST_EUlSS_E_NS1_11comp_targetILNS1_3genE10ELNS1_11target_archE1200ELNS1_3gpuE4ELNS1_3repE0EEENS1_30default_config_static_selectorELNS0_4arch9wavefront6targetE1EEEvT1_
		.amdhsa_group_segment_fixed_size 0
		.amdhsa_private_segment_fixed_size 0
		.amdhsa_kernarg_size 104
		.amdhsa_user_sgpr_count 6
		.amdhsa_user_sgpr_private_segment_buffer 1
		.amdhsa_user_sgpr_dispatch_ptr 0
		.amdhsa_user_sgpr_queue_ptr 0
		.amdhsa_user_sgpr_kernarg_segment_ptr 1
		.amdhsa_user_sgpr_dispatch_id 0
		.amdhsa_user_sgpr_flat_scratch_init 0
		.amdhsa_user_sgpr_kernarg_preload_length 0
		.amdhsa_user_sgpr_kernarg_preload_offset 0
		.amdhsa_user_sgpr_private_segment_size 0
		.amdhsa_uses_dynamic_stack 0
		.amdhsa_system_sgpr_private_segment_wavefront_offset 0
		.amdhsa_system_sgpr_workgroup_id_x 1
		.amdhsa_system_sgpr_workgroup_id_y 0
		.amdhsa_system_sgpr_workgroup_id_z 0
		.amdhsa_system_sgpr_workgroup_info 0
		.amdhsa_system_vgpr_workitem_id 0
		.amdhsa_next_free_vgpr 1
		.amdhsa_next_free_sgpr 0
		.amdhsa_accum_offset 4
		.amdhsa_reserve_vcc 0
		.amdhsa_reserve_flat_scratch 0
		.amdhsa_float_round_mode_32 0
		.amdhsa_float_round_mode_16_64 0
		.amdhsa_float_denorm_mode_32 3
		.amdhsa_float_denorm_mode_16_64 3
		.amdhsa_dx10_clamp 1
		.amdhsa_ieee_mode 1
		.amdhsa_fp16_overflow 0
		.amdhsa_tg_split 0
		.amdhsa_exception_fp_ieee_invalid_op 0
		.amdhsa_exception_fp_denorm_src 0
		.amdhsa_exception_fp_ieee_div_zero 0
		.amdhsa_exception_fp_ieee_overflow 0
		.amdhsa_exception_fp_ieee_underflow 0
		.amdhsa_exception_fp_ieee_inexact 0
		.amdhsa_exception_int_div_zero 0
	.end_amdhsa_kernel
	.section	.text._ZN7rocprim17ROCPRIM_400000_NS6detail17trampoline_kernelINS0_14default_configENS1_20scan_config_selectorItEEZZNS1_9scan_implILNS1_25lookback_scan_determinismE0ELb1ELb1ES3_N6thrust23THRUST_200600_302600_NS6detail15normal_iteratorINS9_10device_ptrItEEEENS9_16discard_iteratorINS9_11use_defaultEEEt11max_functorItEtEEDaPvRmT3_T4_T5_mT6_P12ihipStream_tbENKUlT_T0_E_clISt17integral_constantIbLb0EESW_IbLb1EEEEDaSS_ST_EUlSS_E_NS1_11comp_targetILNS1_3genE10ELNS1_11target_archE1200ELNS1_3gpuE4ELNS1_3repE0EEENS1_30default_config_static_selectorELNS0_4arch9wavefront6targetE1EEEvT1_,"axG",@progbits,_ZN7rocprim17ROCPRIM_400000_NS6detail17trampoline_kernelINS0_14default_configENS1_20scan_config_selectorItEEZZNS1_9scan_implILNS1_25lookback_scan_determinismE0ELb1ELb1ES3_N6thrust23THRUST_200600_302600_NS6detail15normal_iteratorINS9_10device_ptrItEEEENS9_16discard_iteratorINS9_11use_defaultEEEt11max_functorItEtEEDaPvRmT3_T4_T5_mT6_P12ihipStream_tbENKUlT_T0_E_clISt17integral_constantIbLb0EESW_IbLb1EEEEDaSS_ST_EUlSS_E_NS1_11comp_targetILNS1_3genE10ELNS1_11target_archE1200ELNS1_3gpuE4ELNS1_3repE0EEENS1_30default_config_static_selectorELNS0_4arch9wavefront6targetE1EEEvT1_,comdat
.Lfunc_end3698:
	.size	_ZN7rocprim17ROCPRIM_400000_NS6detail17trampoline_kernelINS0_14default_configENS1_20scan_config_selectorItEEZZNS1_9scan_implILNS1_25lookback_scan_determinismE0ELb1ELb1ES3_N6thrust23THRUST_200600_302600_NS6detail15normal_iteratorINS9_10device_ptrItEEEENS9_16discard_iteratorINS9_11use_defaultEEEt11max_functorItEtEEDaPvRmT3_T4_T5_mT6_P12ihipStream_tbENKUlT_T0_E_clISt17integral_constantIbLb0EESW_IbLb1EEEEDaSS_ST_EUlSS_E_NS1_11comp_targetILNS1_3genE10ELNS1_11target_archE1200ELNS1_3gpuE4ELNS1_3repE0EEENS1_30default_config_static_selectorELNS0_4arch9wavefront6targetE1EEEvT1_, .Lfunc_end3698-_ZN7rocprim17ROCPRIM_400000_NS6detail17trampoline_kernelINS0_14default_configENS1_20scan_config_selectorItEEZZNS1_9scan_implILNS1_25lookback_scan_determinismE0ELb1ELb1ES3_N6thrust23THRUST_200600_302600_NS6detail15normal_iteratorINS9_10device_ptrItEEEENS9_16discard_iteratorINS9_11use_defaultEEEt11max_functorItEtEEDaPvRmT3_T4_T5_mT6_P12ihipStream_tbENKUlT_T0_E_clISt17integral_constantIbLb0EESW_IbLb1EEEEDaSS_ST_EUlSS_E_NS1_11comp_targetILNS1_3genE10ELNS1_11target_archE1200ELNS1_3gpuE4ELNS1_3repE0EEENS1_30default_config_static_selectorELNS0_4arch9wavefront6targetE1EEEvT1_
                                        ; -- End function
	.section	.AMDGPU.csdata,"",@progbits
; Kernel info:
; codeLenInByte = 0
; NumSgprs: 4
; NumVgprs: 0
; NumAgprs: 0
; TotalNumVgprs: 0
; ScratchSize: 0
; MemoryBound: 0
; FloatMode: 240
; IeeeMode: 1
; LDSByteSize: 0 bytes/workgroup (compile time only)
; SGPRBlocks: 0
; VGPRBlocks: 0
; NumSGPRsForWavesPerEU: 4
; NumVGPRsForWavesPerEU: 1
; AccumOffset: 4
; Occupancy: 8
; WaveLimiterHint : 0
; COMPUTE_PGM_RSRC2:SCRATCH_EN: 0
; COMPUTE_PGM_RSRC2:USER_SGPR: 6
; COMPUTE_PGM_RSRC2:TRAP_HANDLER: 0
; COMPUTE_PGM_RSRC2:TGID_X_EN: 1
; COMPUTE_PGM_RSRC2:TGID_Y_EN: 0
; COMPUTE_PGM_RSRC2:TGID_Z_EN: 0
; COMPUTE_PGM_RSRC2:TIDIG_COMP_CNT: 0
; COMPUTE_PGM_RSRC3_GFX90A:ACCUM_OFFSET: 0
; COMPUTE_PGM_RSRC3_GFX90A:TG_SPLIT: 0
	.section	.text._ZN7rocprim17ROCPRIM_400000_NS6detail17trampoline_kernelINS0_14default_configENS1_20scan_config_selectorItEEZZNS1_9scan_implILNS1_25lookback_scan_determinismE0ELb1ELb1ES3_N6thrust23THRUST_200600_302600_NS6detail15normal_iteratorINS9_10device_ptrItEEEENS9_16discard_iteratorINS9_11use_defaultEEEt11max_functorItEtEEDaPvRmT3_T4_T5_mT6_P12ihipStream_tbENKUlT_T0_E_clISt17integral_constantIbLb0EESW_IbLb1EEEEDaSS_ST_EUlSS_E_NS1_11comp_targetILNS1_3genE9ELNS1_11target_archE1100ELNS1_3gpuE3ELNS1_3repE0EEENS1_30default_config_static_selectorELNS0_4arch9wavefront6targetE1EEEvT1_,"axG",@progbits,_ZN7rocprim17ROCPRIM_400000_NS6detail17trampoline_kernelINS0_14default_configENS1_20scan_config_selectorItEEZZNS1_9scan_implILNS1_25lookback_scan_determinismE0ELb1ELb1ES3_N6thrust23THRUST_200600_302600_NS6detail15normal_iteratorINS9_10device_ptrItEEEENS9_16discard_iteratorINS9_11use_defaultEEEt11max_functorItEtEEDaPvRmT3_T4_T5_mT6_P12ihipStream_tbENKUlT_T0_E_clISt17integral_constantIbLb0EESW_IbLb1EEEEDaSS_ST_EUlSS_E_NS1_11comp_targetILNS1_3genE9ELNS1_11target_archE1100ELNS1_3gpuE3ELNS1_3repE0EEENS1_30default_config_static_selectorELNS0_4arch9wavefront6targetE1EEEvT1_,comdat
	.protected	_ZN7rocprim17ROCPRIM_400000_NS6detail17trampoline_kernelINS0_14default_configENS1_20scan_config_selectorItEEZZNS1_9scan_implILNS1_25lookback_scan_determinismE0ELb1ELb1ES3_N6thrust23THRUST_200600_302600_NS6detail15normal_iteratorINS9_10device_ptrItEEEENS9_16discard_iteratorINS9_11use_defaultEEEt11max_functorItEtEEDaPvRmT3_T4_T5_mT6_P12ihipStream_tbENKUlT_T0_E_clISt17integral_constantIbLb0EESW_IbLb1EEEEDaSS_ST_EUlSS_E_NS1_11comp_targetILNS1_3genE9ELNS1_11target_archE1100ELNS1_3gpuE3ELNS1_3repE0EEENS1_30default_config_static_selectorELNS0_4arch9wavefront6targetE1EEEvT1_ ; -- Begin function _ZN7rocprim17ROCPRIM_400000_NS6detail17trampoline_kernelINS0_14default_configENS1_20scan_config_selectorItEEZZNS1_9scan_implILNS1_25lookback_scan_determinismE0ELb1ELb1ES3_N6thrust23THRUST_200600_302600_NS6detail15normal_iteratorINS9_10device_ptrItEEEENS9_16discard_iteratorINS9_11use_defaultEEEt11max_functorItEtEEDaPvRmT3_T4_T5_mT6_P12ihipStream_tbENKUlT_T0_E_clISt17integral_constantIbLb0EESW_IbLb1EEEEDaSS_ST_EUlSS_E_NS1_11comp_targetILNS1_3genE9ELNS1_11target_archE1100ELNS1_3gpuE3ELNS1_3repE0EEENS1_30default_config_static_selectorELNS0_4arch9wavefront6targetE1EEEvT1_
	.globl	_ZN7rocprim17ROCPRIM_400000_NS6detail17trampoline_kernelINS0_14default_configENS1_20scan_config_selectorItEEZZNS1_9scan_implILNS1_25lookback_scan_determinismE0ELb1ELb1ES3_N6thrust23THRUST_200600_302600_NS6detail15normal_iteratorINS9_10device_ptrItEEEENS9_16discard_iteratorINS9_11use_defaultEEEt11max_functorItEtEEDaPvRmT3_T4_T5_mT6_P12ihipStream_tbENKUlT_T0_E_clISt17integral_constantIbLb0EESW_IbLb1EEEEDaSS_ST_EUlSS_E_NS1_11comp_targetILNS1_3genE9ELNS1_11target_archE1100ELNS1_3gpuE3ELNS1_3repE0EEENS1_30default_config_static_selectorELNS0_4arch9wavefront6targetE1EEEvT1_
	.p2align	8
	.type	_ZN7rocprim17ROCPRIM_400000_NS6detail17trampoline_kernelINS0_14default_configENS1_20scan_config_selectorItEEZZNS1_9scan_implILNS1_25lookback_scan_determinismE0ELb1ELb1ES3_N6thrust23THRUST_200600_302600_NS6detail15normal_iteratorINS9_10device_ptrItEEEENS9_16discard_iteratorINS9_11use_defaultEEEt11max_functorItEtEEDaPvRmT3_T4_T5_mT6_P12ihipStream_tbENKUlT_T0_E_clISt17integral_constantIbLb0EESW_IbLb1EEEEDaSS_ST_EUlSS_E_NS1_11comp_targetILNS1_3genE9ELNS1_11target_archE1100ELNS1_3gpuE3ELNS1_3repE0EEENS1_30default_config_static_selectorELNS0_4arch9wavefront6targetE1EEEvT1_,@function
_ZN7rocprim17ROCPRIM_400000_NS6detail17trampoline_kernelINS0_14default_configENS1_20scan_config_selectorItEEZZNS1_9scan_implILNS1_25lookback_scan_determinismE0ELb1ELb1ES3_N6thrust23THRUST_200600_302600_NS6detail15normal_iteratorINS9_10device_ptrItEEEENS9_16discard_iteratorINS9_11use_defaultEEEt11max_functorItEtEEDaPvRmT3_T4_T5_mT6_P12ihipStream_tbENKUlT_T0_E_clISt17integral_constantIbLb0EESW_IbLb1EEEEDaSS_ST_EUlSS_E_NS1_11comp_targetILNS1_3genE9ELNS1_11target_archE1100ELNS1_3gpuE3ELNS1_3repE0EEENS1_30default_config_static_selectorELNS0_4arch9wavefront6targetE1EEEvT1_: ; @_ZN7rocprim17ROCPRIM_400000_NS6detail17trampoline_kernelINS0_14default_configENS1_20scan_config_selectorItEEZZNS1_9scan_implILNS1_25lookback_scan_determinismE0ELb1ELb1ES3_N6thrust23THRUST_200600_302600_NS6detail15normal_iteratorINS9_10device_ptrItEEEENS9_16discard_iteratorINS9_11use_defaultEEEt11max_functorItEtEEDaPvRmT3_T4_T5_mT6_P12ihipStream_tbENKUlT_T0_E_clISt17integral_constantIbLb0EESW_IbLb1EEEEDaSS_ST_EUlSS_E_NS1_11comp_targetILNS1_3genE9ELNS1_11target_archE1100ELNS1_3gpuE3ELNS1_3repE0EEENS1_30default_config_static_selectorELNS0_4arch9wavefront6targetE1EEEvT1_
; %bb.0:
	.section	.rodata,"a",@progbits
	.p2align	6, 0x0
	.amdhsa_kernel _ZN7rocprim17ROCPRIM_400000_NS6detail17trampoline_kernelINS0_14default_configENS1_20scan_config_selectorItEEZZNS1_9scan_implILNS1_25lookback_scan_determinismE0ELb1ELb1ES3_N6thrust23THRUST_200600_302600_NS6detail15normal_iteratorINS9_10device_ptrItEEEENS9_16discard_iteratorINS9_11use_defaultEEEt11max_functorItEtEEDaPvRmT3_T4_T5_mT6_P12ihipStream_tbENKUlT_T0_E_clISt17integral_constantIbLb0EESW_IbLb1EEEEDaSS_ST_EUlSS_E_NS1_11comp_targetILNS1_3genE9ELNS1_11target_archE1100ELNS1_3gpuE3ELNS1_3repE0EEENS1_30default_config_static_selectorELNS0_4arch9wavefront6targetE1EEEvT1_
		.amdhsa_group_segment_fixed_size 0
		.amdhsa_private_segment_fixed_size 0
		.amdhsa_kernarg_size 104
		.amdhsa_user_sgpr_count 6
		.amdhsa_user_sgpr_private_segment_buffer 1
		.amdhsa_user_sgpr_dispatch_ptr 0
		.amdhsa_user_sgpr_queue_ptr 0
		.amdhsa_user_sgpr_kernarg_segment_ptr 1
		.amdhsa_user_sgpr_dispatch_id 0
		.amdhsa_user_sgpr_flat_scratch_init 0
		.amdhsa_user_sgpr_kernarg_preload_length 0
		.amdhsa_user_sgpr_kernarg_preload_offset 0
		.amdhsa_user_sgpr_private_segment_size 0
		.amdhsa_uses_dynamic_stack 0
		.amdhsa_system_sgpr_private_segment_wavefront_offset 0
		.amdhsa_system_sgpr_workgroup_id_x 1
		.amdhsa_system_sgpr_workgroup_id_y 0
		.amdhsa_system_sgpr_workgroup_id_z 0
		.amdhsa_system_sgpr_workgroup_info 0
		.amdhsa_system_vgpr_workitem_id 0
		.amdhsa_next_free_vgpr 1
		.amdhsa_next_free_sgpr 0
		.amdhsa_accum_offset 4
		.amdhsa_reserve_vcc 0
		.amdhsa_reserve_flat_scratch 0
		.amdhsa_float_round_mode_32 0
		.amdhsa_float_round_mode_16_64 0
		.amdhsa_float_denorm_mode_32 3
		.amdhsa_float_denorm_mode_16_64 3
		.amdhsa_dx10_clamp 1
		.amdhsa_ieee_mode 1
		.amdhsa_fp16_overflow 0
		.amdhsa_tg_split 0
		.amdhsa_exception_fp_ieee_invalid_op 0
		.amdhsa_exception_fp_denorm_src 0
		.amdhsa_exception_fp_ieee_div_zero 0
		.amdhsa_exception_fp_ieee_overflow 0
		.amdhsa_exception_fp_ieee_underflow 0
		.amdhsa_exception_fp_ieee_inexact 0
		.amdhsa_exception_int_div_zero 0
	.end_amdhsa_kernel
	.section	.text._ZN7rocprim17ROCPRIM_400000_NS6detail17trampoline_kernelINS0_14default_configENS1_20scan_config_selectorItEEZZNS1_9scan_implILNS1_25lookback_scan_determinismE0ELb1ELb1ES3_N6thrust23THRUST_200600_302600_NS6detail15normal_iteratorINS9_10device_ptrItEEEENS9_16discard_iteratorINS9_11use_defaultEEEt11max_functorItEtEEDaPvRmT3_T4_T5_mT6_P12ihipStream_tbENKUlT_T0_E_clISt17integral_constantIbLb0EESW_IbLb1EEEEDaSS_ST_EUlSS_E_NS1_11comp_targetILNS1_3genE9ELNS1_11target_archE1100ELNS1_3gpuE3ELNS1_3repE0EEENS1_30default_config_static_selectorELNS0_4arch9wavefront6targetE1EEEvT1_,"axG",@progbits,_ZN7rocprim17ROCPRIM_400000_NS6detail17trampoline_kernelINS0_14default_configENS1_20scan_config_selectorItEEZZNS1_9scan_implILNS1_25lookback_scan_determinismE0ELb1ELb1ES3_N6thrust23THRUST_200600_302600_NS6detail15normal_iteratorINS9_10device_ptrItEEEENS9_16discard_iteratorINS9_11use_defaultEEEt11max_functorItEtEEDaPvRmT3_T4_T5_mT6_P12ihipStream_tbENKUlT_T0_E_clISt17integral_constantIbLb0EESW_IbLb1EEEEDaSS_ST_EUlSS_E_NS1_11comp_targetILNS1_3genE9ELNS1_11target_archE1100ELNS1_3gpuE3ELNS1_3repE0EEENS1_30default_config_static_selectorELNS0_4arch9wavefront6targetE1EEEvT1_,comdat
.Lfunc_end3699:
	.size	_ZN7rocprim17ROCPRIM_400000_NS6detail17trampoline_kernelINS0_14default_configENS1_20scan_config_selectorItEEZZNS1_9scan_implILNS1_25lookback_scan_determinismE0ELb1ELb1ES3_N6thrust23THRUST_200600_302600_NS6detail15normal_iteratorINS9_10device_ptrItEEEENS9_16discard_iteratorINS9_11use_defaultEEEt11max_functorItEtEEDaPvRmT3_T4_T5_mT6_P12ihipStream_tbENKUlT_T0_E_clISt17integral_constantIbLb0EESW_IbLb1EEEEDaSS_ST_EUlSS_E_NS1_11comp_targetILNS1_3genE9ELNS1_11target_archE1100ELNS1_3gpuE3ELNS1_3repE0EEENS1_30default_config_static_selectorELNS0_4arch9wavefront6targetE1EEEvT1_, .Lfunc_end3699-_ZN7rocprim17ROCPRIM_400000_NS6detail17trampoline_kernelINS0_14default_configENS1_20scan_config_selectorItEEZZNS1_9scan_implILNS1_25lookback_scan_determinismE0ELb1ELb1ES3_N6thrust23THRUST_200600_302600_NS6detail15normal_iteratorINS9_10device_ptrItEEEENS9_16discard_iteratorINS9_11use_defaultEEEt11max_functorItEtEEDaPvRmT3_T4_T5_mT6_P12ihipStream_tbENKUlT_T0_E_clISt17integral_constantIbLb0EESW_IbLb1EEEEDaSS_ST_EUlSS_E_NS1_11comp_targetILNS1_3genE9ELNS1_11target_archE1100ELNS1_3gpuE3ELNS1_3repE0EEENS1_30default_config_static_selectorELNS0_4arch9wavefront6targetE1EEEvT1_
                                        ; -- End function
	.section	.AMDGPU.csdata,"",@progbits
; Kernel info:
; codeLenInByte = 0
; NumSgprs: 4
; NumVgprs: 0
; NumAgprs: 0
; TotalNumVgprs: 0
; ScratchSize: 0
; MemoryBound: 0
; FloatMode: 240
; IeeeMode: 1
; LDSByteSize: 0 bytes/workgroup (compile time only)
; SGPRBlocks: 0
; VGPRBlocks: 0
; NumSGPRsForWavesPerEU: 4
; NumVGPRsForWavesPerEU: 1
; AccumOffset: 4
; Occupancy: 8
; WaveLimiterHint : 0
; COMPUTE_PGM_RSRC2:SCRATCH_EN: 0
; COMPUTE_PGM_RSRC2:USER_SGPR: 6
; COMPUTE_PGM_RSRC2:TRAP_HANDLER: 0
; COMPUTE_PGM_RSRC2:TGID_X_EN: 1
; COMPUTE_PGM_RSRC2:TGID_Y_EN: 0
; COMPUTE_PGM_RSRC2:TGID_Z_EN: 0
; COMPUTE_PGM_RSRC2:TIDIG_COMP_CNT: 0
; COMPUTE_PGM_RSRC3_GFX90A:ACCUM_OFFSET: 0
; COMPUTE_PGM_RSRC3_GFX90A:TG_SPLIT: 0
	.section	.text._ZN7rocprim17ROCPRIM_400000_NS6detail17trampoline_kernelINS0_14default_configENS1_20scan_config_selectorItEEZZNS1_9scan_implILNS1_25lookback_scan_determinismE0ELb1ELb1ES3_N6thrust23THRUST_200600_302600_NS6detail15normal_iteratorINS9_10device_ptrItEEEENS9_16discard_iteratorINS9_11use_defaultEEEt11max_functorItEtEEDaPvRmT3_T4_T5_mT6_P12ihipStream_tbENKUlT_T0_E_clISt17integral_constantIbLb0EESW_IbLb1EEEEDaSS_ST_EUlSS_E_NS1_11comp_targetILNS1_3genE8ELNS1_11target_archE1030ELNS1_3gpuE2ELNS1_3repE0EEENS1_30default_config_static_selectorELNS0_4arch9wavefront6targetE1EEEvT1_,"axG",@progbits,_ZN7rocprim17ROCPRIM_400000_NS6detail17trampoline_kernelINS0_14default_configENS1_20scan_config_selectorItEEZZNS1_9scan_implILNS1_25lookback_scan_determinismE0ELb1ELb1ES3_N6thrust23THRUST_200600_302600_NS6detail15normal_iteratorINS9_10device_ptrItEEEENS9_16discard_iteratorINS9_11use_defaultEEEt11max_functorItEtEEDaPvRmT3_T4_T5_mT6_P12ihipStream_tbENKUlT_T0_E_clISt17integral_constantIbLb0EESW_IbLb1EEEEDaSS_ST_EUlSS_E_NS1_11comp_targetILNS1_3genE8ELNS1_11target_archE1030ELNS1_3gpuE2ELNS1_3repE0EEENS1_30default_config_static_selectorELNS0_4arch9wavefront6targetE1EEEvT1_,comdat
	.protected	_ZN7rocprim17ROCPRIM_400000_NS6detail17trampoline_kernelINS0_14default_configENS1_20scan_config_selectorItEEZZNS1_9scan_implILNS1_25lookback_scan_determinismE0ELb1ELb1ES3_N6thrust23THRUST_200600_302600_NS6detail15normal_iteratorINS9_10device_ptrItEEEENS9_16discard_iteratorINS9_11use_defaultEEEt11max_functorItEtEEDaPvRmT3_T4_T5_mT6_P12ihipStream_tbENKUlT_T0_E_clISt17integral_constantIbLb0EESW_IbLb1EEEEDaSS_ST_EUlSS_E_NS1_11comp_targetILNS1_3genE8ELNS1_11target_archE1030ELNS1_3gpuE2ELNS1_3repE0EEENS1_30default_config_static_selectorELNS0_4arch9wavefront6targetE1EEEvT1_ ; -- Begin function _ZN7rocprim17ROCPRIM_400000_NS6detail17trampoline_kernelINS0_14default_configENS1_20scan_config_selectorItEEZZNS1_9scan_implILNS1_25lookback_scan_determinismE0ELb1ELb1ES3_N6thrust23THRUST_200600_302600_NS6detail15normal_iteratorINS9_10device_ptrItEEEENS9_16discard_iteratorINS9_11use_defaultEEEt11max_functorItEtEEDaPvRmT3_T4_T5_mT6_P12ihipStream_tbENKUlT_T0_E_clISt17integral_constantIbLb0EESW_IbLb1EEEEDaSS_ST_EUlSS_E_NS1_11comp_targetILNS1_3genE8ELNS1_11target_archE1030ELNS1_3gpuE2ELNS1_3repE0EEENS1_30default_config_static_selectorELNS0_4arch9wavefront6targetE1EEEvT1_
	.globl	_ZN7rocprim17ROCPRIM_400000_NS6detail17trampoline_kernelINS0_14default_configENS1_20scan_config_selectorItEEZZNS1_9scan_implILNS1_25lookback_scan_determinismE0ELb1ELb1ES3_N6thrust23THRUST_200600_302600_NS6detail15normal_iteratorINS9_10device_ptrItEEEENS9_16discard_iteratorINS9_11use_defaultEEEt11max_functorItEtEEDaPvRmT3_T4_T5_mT6_P12ihipStream_tbENKUlT_T0_E_clISt17integral_constantIbLb0EESW_IbLb1EEEEDaSS_ST_EUlSS_E_NS1_11comp_targetILNS1_3genE8ELNS1_11target_archE1030ELNS1_3gpuE2ELNS1_3repE0EEENS1_30default_config_static_selectorELNS0_4arch9wavefront6targetE1EEEvT1_
	.p2align	8
	.type	_ZN7rocprim17ROCPRIM_400000_NS6detail17trampoline_kernelINS0_14default_configENS1_20scan_config_selectorItEEZZNS1_9scan_implILNS1_25lookback_scan_determinismE0ELb1ELb1ES3_N6thrust23THRUST_200600_302600_NS6detail15normal_iteratorINS9_10device_ptrItEEEENS9_16discard_iteratorINS9_11use_defaultEEEt11max_functorItEtEEDaPvRmT3_T4_T5_mT6_P12ihipStream_tbENKUlT_T0_E_clISt17integral_constantIbLb0EESW_IbLb1EEEEDaSS_ST_EUlSS_E_NS1_11comp_targetILNS1_3genE8ELNS1_11target_archE1030ELNS1_3gpuE2ELNS1_3repE0EEENS1_30default_config_static_selectorELNS0_4arch9wavefront6targetE1EEEvT1_,@function
_ZN7rocprim17ROCPRIM_400000_NS6detail17trampoline_kernelINS0_14default_configENS1_20scan_config_selectorItEEZZNS1_9scan_implILNS1_25lookback_scan_determinismE0ELb1ELb1ES3_N6thrust23THRUST_200600_302600_NS6detail15normal_iteratorINS9_10device_ptrItEEEENS9_16discard_iteratorINS9_11use_defaultEEEt11max_functorItEtEEDaPvRmT3_T4_T5_mT6_P12ihipStream_tbENKUlT_T0_E_clISt17integral_constantIbLb0EESW_IbLb1EEEEDaSS_ST_EUlSS_E_NS1_11comp_targetILNS1_3genE8ELNS1_11target_archE1030ELNS1_3gpuE2ELNS1_3repE0EEENS1_30default_config_static_selectorELNS0_4arch9wavefront6targetE1EEEvT1_: ; @_ZN7rocprim17ROCPRIM_400000_NS6detail17trampoline_kernelINS0_14default_configENS1_20scan_config_selectorItEEZZNS1_9scan_implILNS1_25lookback_scan_determinismE0ELb1ELb1ES3_N6thrust23THRUST_200600_302600_NS6detail15normal_iteratorINS9_10device_ptrItEEEENS9_16discard_iteratorINS9_11use_defaultEEEt11max_functorItEtEEDaPvRmT3_T4_T5_mT6_P12ihipStream_tbENKUlT_T0_E_clISt17integral_constantIbLb0EESW_IbLb1EEEEDaSS_ST_EUlSS_E_NS1_11comp_targetILNS1_3genE8ELNS1_11target_archE1030ELNS1_3gpuE2ELNS1_3repE0EEENS1_30default_config_static_selectorELNS0_4arch9wavefront6targetE1EEEvT1_
; %bb.0:
	.section	.rodata,"a",@progbits
	.p2align	6, 0x0
	.amdhsa_kernel _ZN7rocprim17ROCPRIM_400000_NS6detail17trampoline_kernelINS0_14default_configENS1_20scan_config_selectorItEEZZNS1_9scan_implILNS1_25lookback_scan_determinismE0ELb1ELb1ES3_N6thrust23THRUST_200600_302600_NS6detail15normal_iteratorINS9_10device_ptrItEEEENS9_16discard_iteratorINS9_11use_defaultEEEt11max_functorItEtEEDaPvRmT3_T4_T5_mT6_P12ihipStream_tbENKUlT_T0_E_clISt17integral_constantIbLb0EESW_IbLb1EEEEDaSS_ST_EUlSS_E_NS1_11comp_targetILNS1_3genE8ELNS1_11target_archE1030ELNS1_3gpuE2ELNS1_3repE0EEENS1_30default_config_static_selectorELNS0_4arch9wavefront6targetE1EEEvT1_
		.amdhsa_group_segment_fixed_size 0
		.amdhsa_private_segment_fixed_size 0
		.amdhsa_kernarg_size 104
		.amdhsa_user_sgpr_count 6
		.amdhsa_user_sgpr_private_segment_buffer 1
		.amdhsa_user_sgpr_dispatch_ptr 0
		.amdhsa_user_sgpr_queue_ptr 0
		.amdhsa_user_sgpr_kernarg_segment_ptr 1
		.amdhsa_user_sgpr_dispatch_id 0
		.amdhsa_user_sgpr_flat_scratch_init 0
		.amdhsa_user_sgpr_kernarg_preload_length 0
		.amdhsa_user_sgpr_kernarg_preload_offset 0
		.amdhsa_user_sgpr_private_segment_size 0
		.amdhsa_uses_dynamic_stack 0
		.amdhsa_system_sgpr_private_segment_wavefront_offset 0
		.amdhsa_system_sgpr_workgroup_id_x 1
		.amdhsa_system_sgpr_workgroup_id_y 0
		.amdhsa_system_sgpr_workgroup_id_z 0
		.amdhsa_system_sgpr_workgroup_info 0
		.amdhsa_system_vgpr_workitem_id 0
		.amdhsa_next_free_vgpr 1
		.amdhsa_next_free_sgpr 0
		.amdhsa_accum_offset 4
		.amdhsa_reserve_vcc 0
		.amdhsa_reserve_flat_scratch 0
		.amdhsa_float_round_mode_32 0
		.amdhsa_float_round_mode_16_64 0
		.amdhsa_float_denorm_mode_32 3
		.amdhsa_float_denorm_mode_16_64 3
		.amdhsa_dx10_clamp 1
		.amdhsa_ieee_mode 1
		.amdhsa_fp16_overflow 0
		.amdhsa_tg_split 0
		.amdhsa_exception_fp_ieee_invalid_op 0
		.amdhsa_exception_fp_denorm_src 0
		.amdhsa_exception_fp_ieee_div_zero 0
		.amdhsa_exception_fp_ieee_overflow 0
		.amdhsa_exception_fp_ieee_underflow 0
		.amdhsa_exception_fp_ieee_inexact 0
		.amdhsa_exception_int_div_zero 0
	.end_amdhsa_kernel
	.section	.text._ZN7rocprim17ROCPRIM_400000_NS6detail17trampoline_kernelINS0_14default_configENS1_20scan_config_selectorItEEZZNS1_9scan_implILNS1_25lookback_scan_determinismE0ELb1ELb1ES3_N6thrust23THRUST_200600_302600_NS6detail15normal_iteratorINS9_10device_ptrItEEEENS9_16discard_iteratorINS9_11use_defaultEEEt11max_functorItEtEEDaPvRmT3_T4_T5_mT6_P12ihipStream_tbENKUlT_T0_E_clISt17integral_constantIbLb0EESW_IbLb1EEEEDaSS_ST_EUlSS_E_NS1_11comp_targetILNS1_3genE8ELNS1_11target_archE1030ELNS1_3gpuE2ELNS1_3repE0EEENS1_30default_config_static_selectorELNS0_4arch9wavefront6targetE1EEEvT1_,"axG",@progbits,_ZN7rocprim17ROCPRIM_400000_NS6detail17trampoline_kernelINS0_14default_configENS1_20scan_config_selectorItEEZZNS1_9scan_implILNS1_25lookback_scan_determinismE0ELb1ELb1ES3_N6thrust23THRUST_200600_302600_NS6detail15normal_iteratorINS9_10device_ptrItEEEENS9_16discard_iteratorINS9_11use_defaultEEEt11max_functorItEtEEDaPvRmT3_T4_T5_mT6_P12ihipStream_tbENKUlT_T0_E_clISt17integral_constantIbLb0EESW_IbLb1EEEEDaSS_ST_EUlSS_E_NS1_11comp_targetILNS1_3genE8ELNS1_11target_archE1030ELNS1_3gpuE2ELNS1_3repE0EEENS1_30default_config_static_selectorELNS0_4arch9wavefront6targetE1EEEvT1_,comdat
.Lfunc_end3700:
	.size	_ZN7rocprim17ROCPRIM_400000_NS6detail17trampoline_kernelINS0_14default_configENS1_20scan_config_selectorItEEZZNS1_9scan_implILNS1_25lookback_scan_determinismE0ELb1ELb1ES3_N6thrust23THRUST_200600_302600_NS6detail15normal_iteratorINS9_10device_ptrItEEEENS9_16discard_iteratorINS9_11use_defaultEEEt11max_functorItEtEEDaPvRmT3_T4_T5_mT6_P12ihipStream_tbENKUlT_T0_E_clISt17integral_constantIbLb0EESW_IbLb1EEEEDaSS_ST_EUlSS_E_NS1_11comp_targetILNS1_3genE8ELNS1_11target_archE1030ELNS1_3gpuE2ELNS1_3repE0EEENS1_30default_config_static_selectorELNS0_4arch9wavefront6targetE1EEEvT1_, .Lfunc_end3700-_ZN7rocprim17ROCPRIM_400000_NS6detail17trampoline_kernelINS0_14default_configENS1_20scan_config_selectorItEEZZNS1_9scan_implILNS1_25lookback_scan_determinismE0ELb1ELb1ES3_N6thrust23THRUST_200600_302600_NS6detail15normal_iteratorINS9_10device_ptrItEEEENS9_16discard_iteratorINS9_11use_defaultEEEt11max_functorItEtEEDaPvRmT3_T4_T5_mT6_P12ihipStream_tbENKUlT_T0_E_clISt17integral_constantIbLb0EESW_IbLb1EEEEDaSS_ST_EUlSS_E_NS1_11comp_targetILNS1_3genE8ELNS1_11target_archE1030ELNS1_3gpuE2ELNS1_3repE0EEENS1_30default_config_static_selectorELNS0_4arch9wavefront6targetE1EEEvT1_
                                        ; -- End function
	.section	.AMDGPU.csdata,"",@progbits
; Kernel info:
; codeLenInByte = 0
; NumSgprs: 4
; NumVgprs: 0
; NumAgprs: 0
; TotalNumVgprs: 0
; ScratchSize: 0
; MemoryBound: 0
; FloatMode: 240
; IeeeMode: 1
; LDSByteSize: 0 bytes/workgroup (compile time only)
; SGPRBlocks: 0
; VGPRBlocks: 0
; NumSGPRsForWavesPerEU: 4
; NumVGPRsForWavesPerEU: 1
; AccumOffset: 4
; Occupancy: 8
; WaveLimiterHint : 0
; COMPUTE_PGM_RSRC2:SCRATCH_EN: 0
; COMPUTE_PGM_RSRC2:USER_SGPR: 6
; COMPUTE_PGM_RSRC2:TRAP_HANDLER: 0
; COMPUTE_PGM_RSRC2:TGID_X_EN: 1
; COMPUTE_PGM_RSRC2:TGID_Y_EN: 0
; COMPUTE_PGM_RSRC2:TGID_Z_EN: 0
; COMPUTE_PGM_RSRC2:TIDIG_COMP_CNT: 0
; COMPUTE_PGM_RSRC3_GFX90A:ACCUM_OFFSET: 0
; COMPUTE_PGM_RSRC3_GFX90A:TG_SPLIT: 0
	.section	.text._ZN7rocprim17ROCPRIM_400000_NS6detail17trampoline_kernelINS0_14default_configENS1_20scan_config_selectorItEEZZNS1_9scan_implILNS1_25lookback_scan_determinismE0ELb1ELb1ES3_N6thrust23THRUST_200600_302600_NS6detail15normal_iteratorINS9_10device_ptrItEEEENS9_16discard_iteratorINS9_11use_defaultEEEt11max_functorItEtEEDaPvRmT3_T4_T5_mT6_P12ihipStream_tbENKUlT_T0_E_clISt17integral_constantIbLb0EESW_IbLb1EEEEDaSS_ST_EUlSS_E0_NS1_11comp_targetILNS1_3genE0ELNS1_11target_archE4294967295ELNS1_3gpuE0ELNS1_3repE0EEENS1_30default_config_static_selectorELNS0_4arch9wavefront6targetE1EEEvT1_,"axG",@progbits,_ZN7rocprim17ROCPRIM_400000_NS6detail17trampoline_kernelINS0_14default_configENS1_20scan_config_selectorItEEZZNS1_9scan_implILNS1_25lookback_scan_determinismE0ELb1ELb1ES3_N6thrust23THRUST_200600_302600_NS6detail15normal_iteratorINS9_10device_ptrItEEEENS9_16discard_iteratorINS9_11use_defaultEEEt11max_functorItEtEEDaPvRmT3_T4_T5_mT6_P12ihipStream_tbENKUlT_T0_E_clISt17integral_constantIbLb0EESW_IbLb1EEEEDaSS_ST_EUlSS_E0_NS1_11comp_targetILNS1_3genE0ELNS1_11target_archE4294967295ELNS1_3gpuE0ELNS1_3repE0EEENS1_30default_config_static_selectorELNS0_4arch9wavefront6targetE1EEEvT1_,comdat
	.protected	_ZN7rocprim17ROCPRIM_400000_NS6detail17trampoline_kernelINS0_14default_configENS1_20scan_config_selectorItEEZZNS1_9scan_implILNS1_25lookback_scan_determinismE0ELb1ELb1ES3_N6thrust23THRUST_200600_302600_NS6detail15normal_iteratorINS9_10device_ptrItEEEENS9_16discard_iteratorINS9_11use_defaultEEEt11max_functorItEtEEDaPvRmT3_T4_T5_mT6_P12ihipStream_tbENKUlT_T0_E_clISt17integral_constantIbLb0EESW_IbLb1EEEEDaSS_ST_EUlSS_E0_NS1_11comp_targetILNS1_3genE0ELNS1_11target_archE4294967295ELNS1_3gpuE0ELNS1_3repE0EEENS1_30default_config_static_selectorELNS0_4arch9wavefront6targetE1EEEvT1_ ; -- Begin function _ZN7rocprim17ROCPRIM_400000_NS6detail17trampoline_kernelINS0_14default_configENS1_20scan_config_selectorItEEZZNS1_9scan_implILNS1_25lookback_scan_determinismE0ELb1ELb1ES3_N6thrust23THRUST_200600_302600_NS6detail15normal_iteratorINS9_10device_ptrItEEEENS9_16discard_iteratorINS9_11use_defaultEEEt11max_functorItEtEEDaPvRmT3_T4_T5_mT6_P12ihipStream_tbENKUlT_T0_E_clISt17integral_constantIbLb0EESW_IbLb1EEEEDaSS_ST_EUlSS_E0_NS1_11comp_targetILNS1_3genE0ELNS1_11target_archE4294967295ELNS1_3gpuE0ELNS1_3repE0EEENS1_30default_config_static_selectorELNS0_4arch9wavefront6targetE1EEEvT1_
	.globl	_ZN7rocprim17ROCPRIM_400000_NS6detail17trampoline_kernelINS0_14default_configENS1_20scan_config_selectorItEEZZNS1_9scan_implILNS1_25lookback_scan_determinismE0ELb1ELb1ES3_N6thrust23THRUST_200600_302600_NS6detail15normal_iteratorINS9_10device_ptrItEEEENS9_16discard_iteratorINS9_11use_defaultEEEt11max_functorItEtEEDaPvRmT3_T4_T5_mT6_P12ihipStream_tbENKUlT_T0_E_clISt17integral_constantIbLb0EESW_IbLb1EEEEDaSS_ST_EUlSS_E0_NS1_11comp_targetILNS1_3genE0ELNS1_11target_archE4294967295ELNS1_3gpuE0ELNS1_3repE0EEENS1_30default_config_static_selectorELNS0_4arch9wavefront6targetE1EEEvT1_
	.p2align	8
	.type	_ZN7rocprim17ROCPRIM_400000_NS6detail17trampoline_kernelINS0_14default_configENS1_20scan_config_selectorItEEZZNS1_9scan_implILNS1_25lookback_scan_determinismE0ELb1ELb1ES3_N6thrust23THRUST_200600_302600_NS6detail15normal_iteratorINS9_10device_ptrItEEEENS9_16discard_iteratorINS9_11use_defaultEEEt11max_functorItEtEEDaPvRmT3_T4_T5_mT6_P12ihipStream_tbENKUlT_T0_E_clISt17integral_constantIbLb0EESW_IbLb1EEEEDaSS_ST_EUlSS_E0_NS1_11comp_targetILNS1_3genE0ELNS1_11target_archE4294967295ELNS1_3gpuE0ELNS1_3repE0EEENS1_30default_config_static_selectorELNS0_4arch9wavefront6targetE1EEEvT1_,@function
_ZN7rocprim17ROCPRIM_400000_NS6detail17trampoline_kernelINS0_14default_configENS1_20scan_config_selectorItEEZZNS1_9scan_implILNS1_25lookback_scan_determinismE0ELb1ELb1ES3_N6thrust23THRUST_200600_302600_NS6detail15normal_iteratorINS9_10device_ptrItEEEENS9_16discard_iteratorINS9_11use_defaultEEEt11max_functorItEtEEDaPvRmT3_T4_T5_mT6_P12ihipStream_tbENKUlT_T0_E_clISt17integral_constantIbLb0EESW_IbLb1EEEEDaSS_ST_EUlSS_E0_NS1_11comp_targetILNS1_3genE0ELNS1_11target_archE4294967295ELNS1_3gpuE0ELNS1_3repE0EEENS1_30default_config_static_selectorELNS0_4arch9wavefront6targetE1EEEvT1_: ; @_ZN7rocprim17ROCPRIM_400000_NS6detail17trampoline_kernelINS0_14default_configENS1_20scan_config_selectorItEEZZNS1_9scan_implILNS1_25lookback_scan_determinismE0ELb1ELb1ES3_N6thrust23THRUST_200600_302600_NS6detail15normal_iteratorINS9_10device_ptrItEEEENS9_16discard_iteratorINS9_11use_defaultEEEt11max_functorItEtEEDaPvRmT3_T4_T5_mT6_P12ihipStream_tbENKUlT_T0_E_clISt17integral_constantIbLb0EESW_IbLb1EEEEDaSS_ST_EUlSS_E0_NS1_11comp_targetILNS1_3genE0ELNS1_11target_archE4294967295ELNS1_3gpuE0ELNS1_3repE0EEENS1_30default_config_static_selectorELNS0_4arch9wavefront6targetE1EEEvT1_
; %bb.0:
	.section	.rodata,"a",@progbits
	.p2align	6, 0x0
	.amdhsa_kernel _ZN7rocprim17ROCPRIM_400000_NS6detail17trampoline_kernelINS0_14default_configENS1_20scan_config_selectorItEEZZNS1_9scan_implILNS1_25lookback_scan_determinismE0ELb1ELb1ES3_N6thrust23THRUST_200600_302600_NS6detail15normal_iteratorINS9_10device_ptrItEEEENS9_16discard_iteratorINS9_11use_defaultEEEt11max_functorItEtEEDaPvRmT3_T4_T5_mT6_P12ihipStream_tbENKUlT_T0_E_clISt17integral_constantIbLb0EESW_IbLb1EEEEDaSS_ST_EUlSS_E0_NS1_11comp_targetILNS1_3genE0ELNS1_11target_archE4294967295ELNS1_3gpuE0ELNS1_3repE0EEENS1_30default_config_static_selectorELNS0_4arch9wavefront6targetE1EEEvT1_
		.amdhsa_group_segment_fixed_size 0
		.amdhsa_private_segment_fixed_size 0
		.amdhsa_kernarg_size 40
		.amdhsa_user_sgpr_count 6
		.amdhsa_user_sgpr_private_segment_buffer 1
		.amdhsa_user_sgpr_dispatch_ptr 0
		.amdhsa_user_sgpr_queue_ptr 0
		.amdhsa_user_sgpr_kernarg_segment_ptr 1
		.amdhsa_user_sgpr_dispatch_id 0
		.amdhsa_user_sgpr_flat_scratch_init 0
		.amdhsa_user_sgpr_kernarg_preload_length 0
		.amdhsa_user_sgpr_kernarg_preload_offset 0
		.amdhsa_user_sgpr_private_segment_size 0
		.amdhsa_uses_dynamic_stack 0
		.amdhsa_system_sgpr_private_segment_wavefront_offset 0
		.amdhsa_system_sgpr_workgroup_id_x 1
		.amdhsa_system_sgpr_workgroup_id_y 0
		.amdhsa_system_sgpr_workgroup_id_z 0
		.amdhsa_system_sgpr_workgroup_info 0
		.amdhsa_system_vgpr_workitem_id 0
		.amdhsa_next_free_vgpr 1
		.amdhsa_next_free_sgpr 0
		.amdhsa_accum_offset 4
		.amdhsa_reserve_vcc 0
		.amdhsa_reserve_flat_scratch 0
		.amdhsa_float_round_mode_32 0
		.amdhsa_float_round_mode_16_64 0
		.amdhsa_float_denorm_mode_32 3
		.amdhsa_float_denorm_mode_16_64 3
		.amdhsa_dx10_clamp 1
		.amdhsa_ieee_mode 1
		.amdhsa_fp16_overflow 0
		.amdhsa_tg_split 0
		.amdhsa_exception_fp_ieee_invalid_op 0
		.amdhsa_exception_fp_denorm_src 0
		.amdhsa_exception_fp_ieee_div_zero 0
		.amdhsa_exception_fp_ieee_overflow 0
		.amdhsa_exception_fp_ieee_underflow 0
		.amdhsa_exception_fp_ieee_inexact 0
		.amdhsa_exception_int_div_zero 0
	.end_amdhsa_kernel
	.section	.text._ZN7rocprim17ROCPRIM_400000_NS6detail17trampoline_kernelINS0_14default_configENS1_20scan_config_selectorItEEZZNS1_9scan_implILNS1_25lookback_scan_determinismE0ELb1ELb1ES3_N6thrust23THRUST_200600_302600_NS6detail15normal_iteratorINS9_10device_ptrItEEEENS9_16discard_iteratorINS9_11use_defaultEEEt11max_functorItEtEEDaPvRmT3_T4_T5_mT6_P12ihipStream_tbENKUlT_T0_E_clISt17integral_constantIbLb0EESW_IbLb1EEEEDaSS_ST_EUlSS_E0_NS1_11comp_targetILNS1_3genE0ELNS1_11target_archE4294967295ELNS1_3gpuE0ELNS1_3repE0EEENS1_30default_config_static_selectorELNS0_4arch9wavefront6targetE1EEEvT1_,"axG",@progbits,_ZN7rocprim17ROCPRIM_400000_NS6detail17trampoline_kernelINS0_14default_configENS1_20scan_config_selectorItEEZZNS1_9scan_implILNS1_25lookback_scan_determinismE0ELb1ELb1ES3_N6thrust23THRUST_200600_302600_NS6detail15normal_iteratorINS9_10device_ptrItEEEENS9_16discard_iteratorINS9_11use_defaultEEEt11max_functorItEtEEDaPvRmT3_T4_T5_mT6_P12ihipStream_tbENKUlT_T0_E_clISt17integral_constantIbLb0EESW_IbLb1EEEEDaSS_ST_EUlSS_E0_NS1_11comp_targetILNS1_3genE0ELNS1_11target_archE4294967295ELNS1_3gpuE0ELNS1_3repE0EEENS1_30default_config_static_selectorELNS0_4arch9wavefront6targetE1EEEvT1_,comdat
.Lfunc_end3701:
	.size	_ZN7rocprim17ROCPRIM_400000_NS6detail17trampoline_kernelINS0_14default_configENS1_20scan_config_selectorItEEZZNS1_9scan_implILNS1_25lookback_scan_determinismE0ELb1ELb1ES3_N6thrust23THRUST_200600_302600_NS6detail15normal_iteratorINS9_10device_ptrItEEEENS9_16discard_iteratorINS9_11use_defaultEEEt11max_functorItEtEEDaPvRmT3_T4_T5_mT6_P12ihipStream_tbENKUlT_T0_E_clISt17integral_constantIbLb0EESW_IbLb1EEEEDaSS_ST_EUlSS_E0_NS1_11comp_targetILNS1_3genE0ELNS1_11target_archE4294967295ELNS1_3gpuE0ELNS1_3repE0EEENS1_30default_config_static_selectorELNS0_4arch9wavefront6targetE1EEEvT1_, .Lfunc_end3701-_ZN7rocprim17ROCPRIM_400000_NS6detail17trampoline_kernelINS0_14default_configENS1_20scan_config_selectorItEEZZNS1_9scan_implILNS1_25lookback_scan_determinismE0ELb1ELb1ES3_N6thrust23THRUST_200600_302600_NS6detail15normal_iteratorINS9_10device_ptrItEEEENS9_16discard_iteratorINS9_11use_defaultEEEt11max_functorItEtEEDaPvRmT3_T4_T5_mT6_P12ihipStream_tbENKUlT_T0_E_clISt17integral_constantIbLb0EESW_IbLb1EEEEDaSS_ST_EUlSS_E0_NS1_11comp_targetILNS1_3genE0ELNS1_11target_archE4294967295ELNS1_3gpuE0ELNS1_3repE0EEENS1_30default_config_static_selectorELNS0_4arch9wavefront6targetE1EEEvT1_
                                        ; -- End function
	.section	.AMDGPU.csdata,"",@progbits
; Kernel info:
; codeLenInByte = 0
; NumSgprs: 4
; NumVgprs: 0
; NumAgprs: 0
; TotalNumVgprs: 0
; ScratchSize: 0
; MemoryBound: 0
; FloatMode: 240
; IeeeMode: 1
; LDSByteSize: 0 bytes/workgroup (compile time only)
; SGPRBlocks: 0
; VGPRBlocks: 0
; NumSGPRsForWavesPerEU: 4
; NumVGPRsForWavesPerEU: 1
; AccumOffset: 4
; Occupancy: 8
; WaveLimiterHint : 0
; COMPUTE_PGM_RSRC2:SCRATCH_EN: 0
; COMPUTE_PGM_RSRC2:USER_SGPR: 6
; COMPUTE_PGM_RSRC2:TRAP_HANDLER: 0
; COMPUTE_PGM_RSRC2:TGID_X_EN: 1
; COMPUTE_PGM_RSRC2:TGID_Y_EN: 0
; COMPUTE_PGM_RSRC2:TGID_Z_EN: 0
; COMPUTE_PGM_RSRC2:TIDIG_COMP_CNT: 0
; COMPUTE_PGM_RSRC3_GFX90A:ACCUM_OFFSET: 0
; COMPUTE_PGM_RSRC3_GFX90A:TG_SPLIT: 0
	.section	.text._ZN7rocprim17ROCPRIM_400000_NS6detail17trampoline_kernelINS0_14default_configENS1_20scan_config_selectorItEEZZNS1_9scan_implILNS1_25lookback_scan_determinismE0ELb1ELb1ES3_N6thrust23THRUST_200600_302600_NS6detail15normal_iteratorINS9_10device_ptrItEEEENS9_16discard_iteratorINS9_11use_defaultEEEt11max_functorItEtEEDaPvRmT3_T4_T5_mT6_P12ihipStream_tbENKUlT_T0_E_clISt17integral_constantIbLb0EESW_IbLb1EEEEDaSS_ST_EUlSS_E0_NS1_11comp_targetILNS1_3genE5ELNS1_11target_archE942ELNS1_3gpuE9ELNS1_3repE0EEENS1_30default_config_static_selectorELNS0_4arch9wavefront6targetE1EEEvT1_,"axG",@progbits,_ZN7rocprim17ROCPRIM_400000_NS6detail17trampoline_kernelINS0_14default_configENS1_20scan_config_selectorItEEZZNS1_9scan_implILNS1_25lookback_scan_determinismE0ELb1ELb1ES3_N6thrust23THRUST_200600_302600_NS6detail15normal_iteratorINS9_10device_ptrItEEEENS9_16discard_iteratorINS9_11use_defaultEEEt11max_functorItEtEEDaPvRmT3_T4_T5_mT6_P12ihipStream_tbENKUlT_T0_E_clISt17integral_constantIbLb0EESW_IbLb1EEEEDaSS_ST_EUlSS_E0_NS1_11comp_targetILNS1_3genE5ELNS1_11target_archE942ELNS1_3gpuE9ELNS1_3repE0EEENS1_30default_config_static_selectorELNS0_4arch9wavefront6targetE1EEEvT1_,comdat
	.protected	_ZN7rocprim17ROCPRIM_400000_NS6detail17trampoline_kernelINS0_14default_configENS1_20scan_config_selectorItEEZZNS1_9scan_implILNS1_25lookback_scan_determinismE0ELb1ELb1ES3_N6thrust23THRUST_200600_302600_NS6detail15normal_iteratorINS9_10device_ptrItEEEENS9_16discard_iteratorINS9_11use_defaultEEEt11max_functorItEtEEDaPvRmT3_T4_T5_mT6_P12ihipStream_tbENKUlT_T0_E_clISt17integral_constantIbLb0EESW_IbLb1EEEEDaSS_ST_EUlSS_E0_NS1_11comp_targetILNS1_3genE5ELNS1_11target_archE942ELNS1_3gpuE9ELNS1_3repE0EEENS1_30default_config_static_selectorELNS0_4arch9wavefront6targetE1EEEvT1_ ; -- Begin function _ZN7rocprim17ROCPRIM_400000_NS6detail17trampoline_kernelINS0_14default_configENS1_20scan_config_selectorItEEZZNS1_9scan_implILNS1_25lookback_scan_determinismE0ELb1ELb1ES3_N6thrust23THRUST_200600_302600_NS6detail15normal_iteratorINS9_10device_ptrItEEEENS9_16discard_iteratorINS9_11use_defaultEEEt11max_functorItEtEEDaPvRmT3_T4_T5_mT6_P12ihipStream_tbENKUlT_T0_E_clISt17integral_constantIbLb0EESW_IbLb1EEEEDaSS_ST_EUlSS_E0_NS1_11comp_targetILNS1_3genE5ELNS1_11target_archE942ELNS1_3gpuE9ELNS1_3repE0EEENS1_30default_config_static_selectorELNS0_4arch9wavefront6targetE1EEEvT1_
	.globl	_ZN7rocprim17ROCPRIM_400000_NS6detail17trampoline_kernelINS0_14default_configENS1_20scan_config_selectorItEEZZNS1_9scan_implILNS1_25lookback_scan_determinismE0ELb1ELb1ES3_N6thrust23THRUST_200600_302600_NS6detail15normal_iteratorINS9_10device_ptrItEEEENS9_16discard_iteratorINS9_11use_defaultEEEt11max_functorItEtEEDaPvRmT3_T4_T5_mT6_P12ihipStream_tbENKUlT_T0_E_clISt17integral_constantIbLb0EESW_IbLb1EEEEDaSS_ST_EUlSS_E0_NS1_11comp_targetILNS1_3genE5ELNS1_11target_archE942ELNS1_3gpuE9ELNS1_3repE0EEENS1_30default_config_static_selectorELNS0_4arch9wavefront6targetE1EEEvT1_
	.p2align	8
	.type	_ZN7rocprim17ROCPRIM_400000_NS6detail17trampoline_kernelINS0_14default_configENS1_20scan_config_selectorItEEZZNS1_9scan_implILNS1_25lookback_scan_determinismE0ELb1ELb1ES3_N6thrust23THRUST_200600_302600_NS6detail15normal_iteratorINS9_10device_ptrItEEEENS9_16discard_iteratorINS9_11use_defaultEEEt11max_functorItEtEEDaPvRmT3_T4_T5_mT6_P12ihipStream_tbENKUlT_T0_E_clISt17integral_constantIbLb0EESW_IbLb1EEEEDaSS_ST_EUlSS_E0_NS1_11comp_targetILNS1_3genE5ELNS1_11target_archE942ELNS1_3gpuE9ELNS1_3repE0EEENS1_30default_config_static_selectorELNS0_4arch9wavefront6targetE1EEEvT1_,@function
_ZN7rocprim17ROCPRIM_400000_NS6detail17trampoline_kernelINS0_14default_configENS1_20scan_config_selectorItEEZZNS1_9scan_implILNS1_25lookback_scan_determinismE0ELb1ELb1ES3_N6thrust23THRUST_200600_302600_NS6detail15normal_iteratorINS9_10device_ptrItEEEENS9_16discard_iteratorINS9_11use_defaultEEEt11max_functorItEtEEDaPvRmT3_T4_T5_mT6_P12ihipStream_tbENKUlT_T0_E_clISt17integral_constantIbLb0EESW_IbLb1EEEEDaSS_ST_EUlSS_E0_NS1_11comp_targetILNS1_3genE5ELNS1_11target_archE942ELNS1_3gpuE9ELNS1_3repE0EEENS1_30default_config_static_selectorELNS0_4arch9wavefront6targetE1EEEvT1_: ; @_ZN7rocprim17ROCPRIM_400000_NS6detail17trampoline_kernelINS0_14default_configENS1_20scan_config_selectorItEEZZNS1_9scan_implILNS1_25lookback_scan_determinismE0ELb1ELb1ES3_N6thrust23THRUST_200600_302600_NS6detail15normal_iteratorINS9_10device_ptrItEEEENS9_16discard_iteratorINS9_11use_defaultEEEt11max_functorItEtEEDaPvRmT3_T4_T5_mT6_P12ihipStream_tbENKUlT_T0_E_clISt17integral_constantIbLb0EESW_IbLb1EEEEDaSS_ST_EUlSS_E0_NS1_11comp_targetILNS1_3genE5ELNS1_11target_archE942ELNS1_3gpuE9ELNS1_3repE0EEENS1_30default_config_static_selectorELNS0_4arch9wavefront6targetE1EEEvT1_
; %bb.0:
	.section	.rodata,"a",@progbits
	.p2align	6, 0x0
	.amdhsa_kernel _ZN7rocprim17ROCPRIM_400000_NS6detail17trampoline_kernelINS0_14default_configENS1_20scan_config_selectorItEEZZNS1_9scan_implILNS1_25lookback_scan_determinismE0ELb1ELb1ES3_N6thrust23THRUST_200600_302600_NS6detail15normal_iteratorINS9_10device_ptrItEEEENS9_16discard_iteratorINS9_11use_defaultEEEt11max_functorItEtEEDaPvRmT3_T4_T5_mT6_P12ihipStream_tbENKUlT_T0_E_clISt17integral_constantIbLb0EESW_IbLb1EEEEDaSS_ST_EUlSS_E0_NS1_11comp_targetILNS1_3genE5ELNS1_11target_archE942ELNS1_3gpuE9ELNS1_3repE0EEENS1_30default_config_static_selectorELNS0_4arch9wavefront6targetE1EEEvT1_
		.amdhsa_group_segment_fixed_size 0
		.amdhsa_private_segment_fixed_size 0
		.amdhsa_kernarg_size 40
		.amdhsa_user_sgpr_count 6
		.amdhsa_user_sgpr_private_segment_buffer 1
		.amdhsa_user_sgpr_dispatch_ptr 0
		.amdhsa_user_sgpr_queue_ptr 0
		.amdhsa_user_sgpr_kernarg_segment_ptr 1
		.amdhsa_user_sgpr_dispatch_id 0
		.amdhsa_user_sgpr_flat_scratch_init 0
		.amdhsa_user_sgpr_kernarg_preload_length 0
		.amdhsa_user_sgpr_kernarg_preload_offset 0
		.amdhsa_user_sgpr_private_segment_size 0
		.amdhsa_uses_dynamic_stack 0
		.amdhsa_system_sgpr_private_segment_wavefront_offset 0
		.amdhsa_system_sgpr_workgroup_id_x 1
		.amdhsa_system_sgpr_workgroup_id_y 0
		.amdhsa_system_sgpr_workgroup_id_z 0
		.amdhsa_system_sgpr_workgroup_info 0
		.amdhsa_system_vgpr_workitem_id 0
		.amdhsa_next_free_vgpr 1
		.amdhsa_next_free_sgpr 0
		.amdhsa_accum_offset 4
		.amdhsa_reserve_vcc 0
		.amdhsa_reserve_flat_scratch 0
		.amdhsa_float_round_mode_32 0
		.amdhsa_float_round_mode_16_64 0
		.amdhsa_float_denorm_mode_32 3
		.amdhsa_float_denorm_mode_16_64 3
		.amdhsa_dx10_clamp 1
		.amdhsa_ieee_mode 1
		.amdhsa_fp16_overflow 0
		.amdhsa_tg_split 0
		.amdhsa_exception_fp_ieee_invalid_op 0
		.amdhsa_exception_fp_denorm_src 0
		.amdhsa_exception_fp_ieee_div_zero 0
		.amdhsa_exception_fp_ieee_overflow 0
		.amdhsa_exception_fp_ieee_underflow 0
		.amdhsa_exception_fp_ieee_inexact 0
		.amdhsa_exception_int_div_zero 0
	.end_amdhsa_kernel
	.section	.text._ZN7rocprim17ROCPRIM_400000_NS6detail17trampoline_kernelINS0_14default_configENS1_20scan_config_selectorItEEZZNS1_9scan_implILNS1_25lookback_scan_determinismE0ELb1ELb1ES3_N6thrust23THRUST_200600_302600_NS6detail15normal_iteratorINS9_10device_ptrItEEEENS9_16discard_iteratorINS9_11use_defaultEEEt11max_functorItEtEEDaPvRmT3_T4_T5_mT6_P12ihipStream_tbENKUlT_T0_E_clISt17integral_constantIbLb0EESW_IbLb1EEEEDaSS_ST_EUlSS_E0_NS1_11comp_targetILNS1_3genE5ELNS1_11target_archE942ELNS1_3gpuE9ELNS1_3repE0EEENS1_30default_config_static_selectorELNS0_4arch9wavefront6targetE1EEEvT1_,"axG",@progbits,_ZN7rocprim17ROCPRIM_400000_NS6detail17trampoline_kernelINS0_14default_configENS1_20scan_config_selectorItEEZZNS1_9scan_implILNS1_25lookback_scan_determinismE0ELb1ELb1ES3_N6thrust23THRUST_200600_302600_NS6detail15normal_iteratorINS9_10device_ptrItEEEENS9_16discard_iteratorINS9_11use_defaultEEEt11max_functorItEtEEDaPvRmT3_T4_T5_mT6_P12ihipStream_tbENKUlT_T0_E_clISt17integral_constantIbLb0EESW_IbLb1EEEEDaSS_ST_EUlSS_E0_NS1_11comp_targetILNS1_3genE5ELNS1_11target_archE942ELNS1_3gpuE9ELNS1_3repE0EEENS1_30default_config_static_selectorELNS0_4arch9wavefront6targetE1EEEvT1_,comdat
.Lfunc_end3702:
	.size	_ZN7rocprim17ROCPRIM_400000_NS6detail17trampoline_kernelINS0_14default_configENS1_20scan_config_selectorItEEZZNS1_9scan_implILNS1_25lookback_scan_determinismE0ELb1ELb1ES3_N6thrust23THRUST_200600_302600_NS6detail15normal_iteratorINS9_10device_ptrItEEEENS9_16discard_iteratorINS9_11use_defaultEEEt11max_functorItEtEEDaPvRmT3_T4_T5_mT6_P12ihipStream_tbENKUlT_T0_E_clISt17integral_constantIbLb0EESW_IbLb1EEEEDaSS_ST_EUlSS_E0_NS1_11comp_targetILNS1_3genE5ELNS1_11target_archE942ELNS1_3gpuE9ELNS1_3repE0EEENS1_30default_config_static_selectorELNS0_4arch9wavefront6targetE1EEEvT1_, .Lfunc_end3702-_ZN7rocprim17ROCPRIM_400000_NS6detail17trampoline_kernelINS0_14default_configENS1_20scan_config_selectorItEEZZNS1_9scan_implILNS1_25lookback_scan_determinismE0ELb1ELb1ES3_N6thrust23THRUST_200600_302600_NS6detail15normal_iteratorINS9_10device_ptrItEEEENS9_16discard_iteratorINS9_11use_defaultEEEt11max_functorItEtEEDaPvRmT3_T4_T5_mT6_P12ihipStream_tbENKUlT_T0_E_clISt17integral_constantIbLb0EESW_IbLb1EEEEDaSS_ST_EUlSS_E0_NS1_11comp_targetILNS1_3genE5ELNS1_11target_archE942ELNS1_3gpuE9ELNS1_3repE0EEENS1_30default_config_static_selectorELNS0_4arch9wavefront6targetE1EEEvT1_
                                        ; -- End function
	.section	.AMDGPU.csdata,"",@progbits
; Kernel info:
; codeLenInByte = 0
; NumSgprs: 4
; NumVgprs: 0
; NumAgprs: 0
; TotalNumVgprs: 0
; ScratchSize: 0
; MemoryBound: 0
; FloatMode: 240
; IeeeMode: 1
; LDSByteSize: 0 bytes/workgroup (compile time only)
; SGPRBlocks: 0
; VGPRBlocks: 0
; NumSGPRsForWavesPerEU: 4
; NumVGPRsForWavesPerEU: 1
; AccumOffset: 4
; Occupancy: 8
; WaveLimiterHint : 0
; COMPUTE_PGM_RSRC2:SCRATCH_EN: 0
; COMPUTE_PGM_RSRC2:USER_SGPR: 6
; COMPUTE_PGM_RSRC2:TRAP_HANDLER: 0
; COMPUTE_PGM_RSRC2:TGID_X_EN: 1
; COMPUTE_PGM_RSRC2:TGID_Y_EN: 0
; COMPUTE_PGM_RSRC2:TGID_Z_EN: 0
; COMPUTE_PGM_RSRC2:TIDIG_COMP_CNT: 0
; COMPUTE_PGM_RSRC3_GFX90A:ACCUM_OFFSET: 0
; COMPUTE_PGM_RSRC3_GFX90A:TG_SPLIT: 0
	.section	.text._ZN7rocprim17ROCPRIM_400000_NS6detail17trampoline_kernelINS0_14default_configENS1_20scan_config_selectorItEEZZNS1_9scan_implILNS1_25lookback_scan_determinismE0ELb1ELb1ES3_N6thrust23THRUST_200600_302600_NS6detail15normal_iteratorINS9_10device_ptrItEEEENS9_16discard_iteratorINS9_11use_defaultEEEt11max_functorItEtEEDaPvRmT3_T4_T5_mT6_P12ihipStream_tbENKUlT_T0_E_clISt17integral_constantIbLb0EESW_IbLb1EEEEDaSS_ST_EUlSS_E0_NS1_11comp_targetILNS1_3genE4ELNS1_11target_archE910ELNS1_3gpuE8ELNS1_3repE0EEENS1_30default_config_static_selectorELNS0_4arch9wavefront6targetE1EEEvT1_,"axG",@progbits,_ZN7rocprim17ROCPRIM_400000_NS6detail17trampoline_kernelINS0_14default_configENS1_20scan_config_selectorItEEZZNS1_9scan_implILNS1_25lookback_scan_determinismE0ELb1ELb1ES3_N6thrust23THRUST_200600_302600_NS6detail15normal_iteratorINS9_10device_ptrItEEEENS9_16discard_iteratorINS9_11use_defaultEEEt11max_functorItEtEEDaPvRmT3_T4_T5_mT6_P12ihipStream_tbENKUlT_T0_E_clISt17integral_constantIbLb0EESW_IbLb1EEEEDaSS_ST_EUlSS_E0_NS1_11comp_targetILNS1_3genE4ELNS1_11target_archE910ELNS1_3gpuE8ELNS1_3repE0EEENS1_30default_config_static_selectorELNS0_4arch9wavefront6targetE1EEEvT1_,comdat
	.protected	_ZN7rocprim17ROCPRIM_400000_NS6detail17trampoline_kernelINS0_14default_configENS1_20scan_config_selectorItEEZZNS1_9scan_implILNS1_25lookback_scan_determinismE0ELb1ELb1ES3_N6thrust23THRUST_200600_302600_NS6detail15normal_iteratorINS9_10device_ptrItEEEENS9_16discard_iteratorINS9_11use_defaultEEEt11max_functorItEtEEDaPvRmT3_T4_T5_mT6_P12ihipStream_tbENKUlT_T0_E_clISt17integral_constantIbLb0EESW_IbLb1EEEEDaSS_ST_EUlSS_E0_NS1_11comp_targetILNS1_3genE4ELNS1_11target_archE910ELNS1_3gpuE8ELNS1_3repE0EEENS1_30default_config_static_selectorELNS0_4arch9wavefront6targetE1EEEvT1_ ; -- Begin function _ZN7rocprim17ROCPRIM_400000_NS6detail17trampoline_kernelINS0_14default_configENS1_20scan_config_selectorItEEZZNS1_9scan_implILNS1_25lookback_scan_determinismE0ELb1ELb1ES3_N6thrust23THRUST_200600_302600_NS6detail15normal_iteratorINS9_10device_ptrItEEEENS9_16discard_iteratorINS9_11use_defaultEEEt11max_functorItEtEEDaPvRmT3_T4_T5_mT6_P12ihipStream_tbENKUlT_T0_E_clISt17integral_constantIbLb0EESW_IbLb1EEEEDaSS_ST_EUlSS_E0_NS1_11comp_targetILNS1_3genE4ELNS1_11target_archE910ELNS1_3gpuE8ELNS1_3repE0EEENS1_30default_config_static_selectorELNS0_4arch9wavefront6targetE1EEEvT1_
	.globl	_ZN7rocprim17ROCPRIM_400000_NS6detail17trampoline_kernelINS0_14default_configENS1_20scan_config_selectorItEEZZNS1_9scan_implILNS1_25lookback_scan_determinismE0ELb1ELb1ES3_N6thrust23THRUST_200600_302600_NS6detail15normal_iteratorINS9_10device_ptrItEEEENS9_16discard_iteratorINS9_11use_defaultEEEt11max_functorItEtEEDaPvRmT3_T4_T5_mT6_P12ihipStream_tbENKUlT_T0_E_clISt17integral_constantIbLb0EESW_IbLb1EEEEDaSS_ST_EUlSS_E0_NS1_11comp_targetILNS1_3genE4ELNS1_11target_archE910ELNS1_3gpuE8ELNS1_3repE0EEENS1_30default_config_static_selectorELNS0_4arch9wavefront6targetE1EEEvT1_
	.p2align	8
	.type	_ZN7rocprim17ROCPRIM_400000_NS6detail17trampoline_kernelINS0_14default_configENS1_20scan_config_selectorItEEZZNS1_9scan_implILNS1_25lookback_scan_determinismE0ELb1ELb1ES3_N6thrust23THRUST_200600_302600_NS6detail15normal_iteratorINS9_10device_ptrItEEEENS9_16discard_iteratorINS9_11use_defaultEEEt11max_functorItEtEEDaPvRmT3_T4_T5_mT6_P12ihipStream_tbENKUlT_T0_E_clISt17integral_constantIbLb0EESW_IbLb1EEEEDaSS_ST_EUlSS_E0_NS1_11comp_targetILNS1_3genE4ELNS1_11target_archE910ELNS1_3gpuE8ELNS1_3repE0EEENS1_30default_config_static_selectorELNS0_4arch9wavefront6targetE1EEEvT1_,@function
_ZN7rocprim17ROCPRIM_400000_NS6detail17trampoline_kernelINS0_14default_configENS1_20scan_config_selectorItEEZZNS1_9scan_implILNS1_25lookback_scan_determinismE0ELb1ELb1ES3_N6thrust23THRUST_200600_302600_NS6detail15normal_iteratorINS9_10device_ptrItEEEENS9_16discard_iteratorINS9_11use_defaultEEEt11max_functorItEtEEDaPvRmT3_T4_T5_mT6_P12ihipStream_tbENKUlT_T0_E_clISt17integral_constantIbLb0EESW_IbLb1EEEEDaSS_ST_EUlSS_E0_NS1_11comp_targetILNS1_3genE4ELNS1_11target_archE910ELNS1_3gpuE8ELNS1_3repE0EEENS1_30default_config_static_selectorELNS0_4arch9wavefront6targetE1EEEvT1_: ; @_ZN7rocprim17ROCPRIM_400000_NS6detail17trampoline_kernelINS0_14default_configENS1_20scan_config_selectorItEEZZNS1_9scan_implILNS1_25lookback_scan_determinismE0ELb1ELb1ES3_N6thrust23THRUST_200600_302600_NS6detail15normal_iteratorINS9_10device_ptrItEEEENS9_16discard_iteratorINS9_11use_defaultEEEt11max_functorItEtEEDaPvRmT3_T4_T5_mT6_P12ihipStream_tbENKUlT_T0_E_clISt17integral_constantIbLb0EESW_IbLb1EEEEDaSS_ST_EUlSS_E0_NS1_11comp_targetILNS1_3genE4ELNS1_11target_archE910ELNS1_3gpuE8ELNS1_3repE0EEENS1_30default_config_static_selectorELNS0_4arch9wavefront6targetE1EEEvT1_
; %bb.0:
	s_load_dwordx4 s[0:3], s[4:5], 0x0
	v_mov_b32_e32 v1, 0
	s_waitcnt lgkmcnt(0)
	global_load_ushort v2, v1, s[0:1]
	v_cmp_gt_u32_e32 vcc, s2, v0
	v_lshlrev_b32_e32 v1, 1, v0
	s_waitcnt vmcnt(0)
	v_mov_b32_e32 v3, v2
	s_and_saveexec_b64 s[6:7], vcc
	s_cbranch_execz .LBB3703_2
; %bb.1:
	global_load_ushort v3, v1, s[0:1]
.LBB3703_2:
	s_or_b64 exec, exec, s[6:7]
	v_or_b32_e32 v4, 64, v0
	v_cmp_gt_u32_e32 vcc, s2, v4
	v_mov_b32_e32 v4, v2
	s_and_saveexec_b64 s[6:7], vcc
	s_cbranch_execz .LBB3703_4
; %bb.3:
	global_load_ushort v4, v1, s[0:1] offset:128
.LBB3703_4:
	s_or_b64 exec, exec, s[6:7]
	v_or_b32_e32 v5, 0x80, v0
	v_cmp_gt_u32_e32 vcc, s2, v5
	v_mov_b32_e32 v5, v2
	s_and_saveexec_b64 s[6:7], vcc
	s_cbranch_execz .LBB3703_6
; %bb.5:
	global_load_ushort v5, v1, s[0:1] offset:256
.LBB3703_6:
	;; [unrolled: 9-line block ×22, first 2 shown]
	s_or_b64 exec, exec, s[6:7]
	s_load_dword s4, s[4:5], 0x10
	v_or_b32_e32 v26, 0x5c0, v0
	v_cmp_gt_u32_e32 vcc, s2, v26
	s_and_saveexec_b64 s[2:3], vcc
	s_cbranch_execz .LBB3703_48
; %bb.47:
	global_load_ushort v2, v1, s[0:1] offset:2944
.LBB3703_48:
	s_or_b64 exec, exec, s[2:3]
	s_waitcnt vmcnt(0)
	ds_write_b16 v1, v3
	ds_write_b16 v1, v4 offset:128
	ds_write_b16 v1, v5 offset:256
	;; [unrolled: 1-line block ×23, first 2 shown]
	v_mad_u32_u24 v2, v0, 46, v1
	s_waitcnt lgkmcnt(0)
	; wave barrier
	s_waitcnt lgkmcnt(0)
	ds_read_b128 v[10:13], v2
	ds_read_b128 v[6:9], v2 offset:16
	ds_read_b128 v[2:5], v2 offset:32
	v_mul_u32_u24_e32 v14, 46, v0
	s_waitcnt lgkmcnt(0)
	; wave barrier
	s_waitcnt lgkmcnt(0)
	v_lshrrev_b32_e32 v24, 16, v11
	v_max_u16_sdwa v26, v10, v10 dst_sel:DWORD dst_unused:UNUSED_PAD src0_sel:DWORD src1_sel:WORD_1
	v_lshrrev_b32_e32 v23, 16, v12
	v_max3_u16 v26, v26, v11, v24
	v_lshrrev_b32_e32 v22, 16, v13
	v_max3_u16 v26, v26, v12, v23
	;; [unrolled: 2-line block ×10, first 2 shown]
	v_max3_u16 v26, v26, v5, v25
	v_mbcnt_lo_u32_b32 v25, -1, 0
	v_mbcnt_hi_u32_b32 v25, -1, v25
	v_and_b32_e32 v28, 0xffff, v26
	v_and_b32_e32 v27, 15, v25
	v_cmp_eq_u32_e32 vcc, 0, v27
	v_mov_b32_dpp v28, v28 row_shr:1 row_mask:0xf bank_mask:0xf
	v_max_u16_e32 v28, v28, v26
	v_cndmask_b32_e32 v26, v28, v26, vcc
	v_and_b32_e32 v28, 0xffff, v26
	v_cmp_lt_u32_e32 vcc, 1, v27
	s_nop 0
	v_mov_b32_dpp v28, v28 row_shr:2 row_mask:0xf bank_mask:0xf
	v_max_u16_e32 v28, v28, v26
	v_cndmask_b32_e32 v26, v26, v28, vcc
	v_and_b32_e32 v28, 0xffff, v26
	v_cmp_lt_u32_e32 vcc, 3, v27
	s_nop 0
	;; [unrolled: 6-line block ×3, first 2 shown]
	v_mov_b32_dpp v28, v28 row_shr:8 row_mask:0xf bank_mask:0xf
	v_max_u16_e32 v28, v28, v26
	v_cndmask_b32_e32 v26, v26, v28, vcc
	v_and_b32_e32 v27, 0xffff, v26
	v_and_b32_e32 v28, 16, v25
	v_cmp_eq_u32_e32 vcc, 0, v28
	v_mov_b32_dpp v27, v27 row_bcast:15 row_mask:0xf bank_mask:0xf
	v_max_u16_e32 v27, v27, v26
	v_cndmask_b32_e32 v26, v27, v26, vcc
	v_and_b32_e32 v27, 0xffff, v26
	v_cmp_lt_u32_e32 vcc, 31, v25
	s_nop 0
	v_mov_b32_dpp v27, v27 row_bcast:31 row_mask:0xf bank_mask:0xf
	v_max_u16_e32 v27, v27, v26
	v_cndmask_b32_e32 v26, v26, v27, vcc
	v_cmp_eq_u32_e32 vcc, 63, v0
	s_and_saveexec_b64 s[0:1], vcc
	s_cbranch_execz .LBB3703_50
; %bb.49:
	v_mov_b32_e32 v27, 0
	ds_write_b16 v27, v26
.LBB3703_50:
	s_or_b64 exec, exec, s[0:1]
	v_add_u32_e32 v27, -1, v25
	v_and_b32_e32 v28, 64, v25
	v_cmp_lt_i32_e32 vcc, v27, v28
	v_cndmask_b32_e32 v27, v27, v25, vcc
	v_max_u16_e32 v26, s4, v26
	v_lshlrev_b32_e32 v27, 2, v27
	ds_bpermute_b32 v26, v27, v26
	v_cmp_eq_u32_e32 vcc, 0, v25
	v_cmp_eq_u32_e64 s[0:1], 0, v0
	v_mov_b32_e32 v0, s4
	s_or_b64 vcc, s[0:1], vcc
	s_waitcnt lgkmcnt(0)
	v_cndmask_b32_e32 v0, v26, v0, vcc
	v_max_u16_e32 v25, v0, v10
	v_max_u16_sdwa v10, v25, v10 dst_sel:DWORD dst_unused:UNUSED_PAD src0_sel:DWORD src1_sel:WORD_1
	v_max_u16_e32 v11, v10, v11
	v_max_u16_e32 v24, v11, v24
	;; [unrolled: 1-line block ×19, first 2 shown]
	s_mov_b32 s0, 0x5040100
	v_max_u16_e32 v15, v4, v15
	v_add_u32_e32 v14, v1, v14
	v_perm_b32 v0, v25, v0, s0
	v_perm_b32 v1, v11, v10, s0
	;; [unrolled: 1-line block ×4, first 2 shown]
	s_waitcnt lgkmcnt(0)
	; wave barrier
	v_max_u16_e32 v5, v15, v5
	s_waitcnt lgkmcnt(0)
	; wave barrier
	ds_write_b128 v14, v[0:3]
	v_perm_b32 v0, v6, v22, s0
	v_perm_b32 v1, v7, v21, s0
	;; [unrolled: 1-line block ×4, first 2 shown]
	ds_write_b128 v14, v[0:3] offset:16
	v_perm_b32 v0, v26, v18, s0
	v_perm_b32 v1, v27, v17, s0
	;; [unrolled: 1-line block ×4, first 2 shown]
	ds_write_b128 v14, v[0:3] offset:32
	s_waitcnt lgkmcnt(0)
	; wave barrier
	s_waitcnt lgkmcnt(0)
	s_endpgm
	.section	.rodata,"a",@progbits
	.p2align	6, 0x0
	.amdhsa_kernel _ZN7rocprim17ROCPRIM_400000_NS6detail17trampoline_kernelINS0_14default_configENS1_20scan_config_selectorItEEZZNS1_9scan_implILNS1_25lookback_scan_determinismE0ELb1ELb1ES3_N6thrust23THRUST_200600_302600_NS6detail15normal_iteratorINS9_10device_ptrItEEEENS9_16discard_iteratorINS9_11use_defaultEEEt11max_functorItEtEEDaPvRmT3_T4_T5_mT6_P12ihipStream_tbENKUlT_T0_E_clISt17integral_constantIbLb0EESW_IbLb1EEEEDaSS_ST_EUlSS_E0_NS1_11comp_targetILNS1_3genE4ELNS1_11target_archE910ELNS1_3gpuE8ELNS1_3repE0EEENS1_30default_config_static_selectorELNS0_4arch9wavefront6targetE1EEEvT1_
		.amdhsa_group_segment_fixed_size 3072
		.amdhsa_private_segment_fixed_size 0
		.amdhsa_kernarg_size 40
		.amdhsa_user_sgpr_count 6
		.amdhsa_user_sgpr_private_segment_buffer 1
		.amdhsa_user_sgpr_dispatch_ptr 0
		.amdhsa_user_sgpr_queue_ptr 0
		.amdhsa_user_sgpr_kernarg_segment_ptr 1
		.amdhsa_user_sgpr_dispatch_id 0
		.amdhsa_user_sgpr_flat_scratch_init 0
		.amdhsa_user_sgpr_kernarg_preload_length 0
		.amdhsa_user_sgpr_kernarg_preload_offset 0
		.amdhsa_user_sgpr_private_segment_size 0
		.amdhsa_uses_dynamic_stack 0
		.amdhsa_system_sgpr_private_segment_wavefront_offset 0
		.amdhsa_system_sgpr_workgroup_id_x 1
		.amdhsa_system_sgpr_workgroup_id_y 0
		.amdhsa_system_sgpr_workgroup_id_z 0
		.amdhsa_system_sgpr_workgroup_info 0
		.amdhsa_system_vgpr_workitem_id 0
		.amdhsa_next_free_vgpr 29
		.amdhsa_next_free_sgpr 8
		.amdhsa_accum_offset 32
		.amdhsa_reserve_vcc 1
		.amdhsa_reserve_flat_scratch 0
		.amdhsa_float_round_mode_32 0
		.amdhsa_float_round_mode_16_64 0
		.amdhsa_float_denorm_mode_32 3
		.amdhsa_float_denorm_mode_16_64 3
		.amdhsa_dx10_clamp 1
		.amdhsa_ieee_mode 1
		.amdhsa_fp16_overflow 0
		.amdhsa_tg_split 0
		.amdhsa_exception_fp_ieee_invalid_op 0
		.amdhsa_exception_fp_denorm_src 0
		.amdhsa_exception_fp_ieee_div_zero 0
		.amdhsa_exception_fp_ieee_overflow 0
		.amdhsa_exception_fp_ieee_underflow 0
		.amdhsa_exception_fp_ieee_inexact 0
		.amdhsa_exception_int_div_zero 0
	.end_amdhsa_kernel
	.section	.text._ZN7rocprim17ROCPRIM_400000_NS6detail17trampoline_kernelINS0_14default_configENS1_20scan_config_selectorItEEZZNS1_9scan_implILNS1_25lookback_scan_determinismE0ELb1ELb1ES3_N6thrust23THRUST_200600_302600_NS6detail15normal_iteratorINS9_10device_ptrItEEEENS9_16discard_iteratorINS9_11use_defaultEEEt11max_functorItEtEEDaPvRmT3_T4_T5_mT6_P12ihipStream_tbENKUlT_T0_E_clISt17integral_constantIbLb0EESW_IbLb1EEEEDaSS_ST_EUlSS_E0_NS1_11comp_targetILNS1_3genE4ELNS1_11target_archE910ELNS1_3gpuE8ELNS1_3repE0EEENS1_30default_config_static_selectorELNS0_4arch9wavefront6targetE1EEEvT1_,"axG",@progbits,_ZN7rocprim17ROCPRIM_400000_NS6detail17trampoline_kernelINS0_14default_configENS1_20scan_config_selectorItEEZZNS1_9scan_implILNS1_25lookback_scan_determinismE0ELb1ELb1ES3_N6thrust23THRUST_200600_302600_NS6detail15normal_iteratorINS9_10device_ptrItEEEENS9_16discard_iteratorINS9_11use_defaultEEEt11max_functorItEtEEDaPvRmT3_T4_T5_mT6_P12ihipStream_tbENKUlT_T0_E_clISt17integral_constantIbLb0EESW_IbLb1EEEEDaSS_ST_EUlSS_E0_NS1_11comp_targetILNS1_3genE4ELNS1_11target_archE910ELNS1_3gpuE8ELNS1_3repE0EEENS1_30default_config_static_selectorELNS0_4arch9wavefront6targetE1EEEvT1_,comdat
.Lfunc_end3703:
	.size	_ZN7rocprim17ROCPRIM_400000_NS6detail17trampoline_kernelINS0_14default_configENS1_20scan_config_selectorItEEZZNS1_9scan_implILNS1_25lookback_scan_determinismE0ELb1ELb1ES3_N6thrust23THRUST_200600_302600_NS6detail15normal_iteratorINS9_10device_ptrItEEEENS9_16discard_iteratorINS9_11use_defaultEEEt11max_functorItEtEEDaPvRmT3_T4_T5_mT6_P12ihipStream_tbENKUlT_T0_E_clISt17integral_constantIbLb0EESW_IbLb1EEEEDaSS_ST_EUlSS_E0_NS1_11comp_targetILNS1_3genE4ELNS1_11target_archE910ELNS1_3gpuE8ELNS1_3repE0EEENS1_30default_config_static_selectorELNS0_4arch9wavefront6targetE1EEEvT1_, .Lfunc_end3703-_ZN7rocprim17ROCPRIM_400000_NS6detail17trampoline_kernelINS0_14default_configENS1_20scan_config_selectorItEEZZNS1_9scan_implILNS1_25lookback_scan_determinismE0ELb1ELb1ES3_N6thrust23THRUST_200600_302600_NS6detail15normal_iteratorINS9_10device_ptrItEEEENS9_16discard_iteratorINS9_11use_defaultEEEt11max_functorItEtEEDaPvRmT3_T4_T5_mT6_P12ihipStream_tbENKUlT_T0_E_clISt17integral_constantIbLb0EESW_IbLb1EEEEDaSS_ST_EUlSS_E0_NS1_11comp_targetILNS1_3genE4ELNS1_11target_archE910ELNS1_3gpuE8ELNS1_3repE0EEENS1_30default_config_static_selectorELNS0_4arch9wavefront6targetE1EEEvT1_
                                        ; -- End function
	.section	.AMDGPU.csdata,"",@progbits
; Kernel info:
; codeLenInByte = 1820
; NumSgprs: 12
; NumVgprs: 29
; NumAgprs: 0
; TotalNumVgprs: 29
; ScratchSize: 0
; MemoryBound: 0
; FloatMode: 240
; IeeeMode: 1
; LDSByteSize: 3072 bytes/workgroup (compile time only)
; SGPRBlocks: 1
; VGPRBlocks: 3
; NumSGPRsForWavesPerEU: 12
; NumVGPRsForWavesPerEU: 29
; AccumOffset: 32
; Occupancy: 6
; WaveLimiterHint : 0
; COMPUTE_PGM_RSRC2:SCRATCH_EN: 0
; COMPUTE_PGM_RSRC2:USER_SGPR: 6
; COMPUTE_PGM_RSRC2:TRAP_HANDLER: 0
; COMPUTE_PGM_RSRC2:TGID_X_EN: 1
; COMPUTE_PGM_RSRC2:TGID_Y_EN: 0
; COMPUTE_PGM_RSRC2:TGID_Z_EN: 0
; COMPUTE_PGM_RSRC2:TIDIG_COMP_CNT: 0
; COMPUTE_PGM_RSRC3_GFX90A:ACCUM_OFFSET: 7
; COMPUTE_PGM_RSRC3_GFX90A:TG_SPLIT: 0
	.section	.text._ZN7rocprim17ROCPRIM_400000_NS6detail17trampoline_kernelINS0_14default_configENS1_20scan_config_selectorItEEZZNS1_9scan_implILNS1_25lookback_scan_determinismE0ELb1ELb1ES3_N6thrust23THRUST_200600_302600_NS6detail15normal_iteratorINS9_10device_ptrItEEEENS9_16discard_iteratorINS9_11use_defaultEEEt11max_functorItEtEEDaPvRmT3_T4_T5_mT6_P12ihipStream_tbENKUlT_T0_E_clISt17integral_constantIbLb0EESW_IbLb1EEEEDaSS_ST_EUlSS_E0_NS1_11comp_targetILNS1_3genE3ELNS1_11target_archE908ELNS1_3gpuE7ELNS1_3repE0EEENS1_30default_config_static_selectorELNS0_4arch9wavefront6targetE1EEEvT1_,"axG",@progbits,_ZN7rocprim17ROCPRIM_400000_NS6detail17trampoline_kernelINS0_14default_configENS1_20scan_config_selectorItEEZZNS1_9scan_implILNS1_25lookback_scan_determinismE0ELb1ELb1ES3_N6thrust23THRUST_200600_302600_NS6detail15normal_iteratorINS9_10device_ptrItEEEENS9_16discard_iteratorINS9_11use_defaultEEEt11max_functorItEtEEDaPvRmT3_T4_T5_mT6_P12ihipStream_tbENKUlT_T0_E_clISt17integral_constantIbLb0EESW_IbLb1EEEEDaSS_ST_EUlSS_E0_NS1_11comp_targetILNS1_3genE3ELNS1_11target_archE908ELNS1_3gpuE7ELNS1_3repE0EEENS1_30default_config_static_selectorELNS0_4arch9wavefront6targetE1EEEvT1_,comdat
	.protected	_ZN7rocprim17ROCPRIM_400000_NS6detail17trampoline_kernelINS0_14default_configENS1_20scan_config_selectorItEEZZNS1_9scan_implILNS1_25lookback_scan_determinismE0ELb1ELb1ES3_N6thrust23THRUST_200600_302600_NS6detail15normal_iteratorINS9_10device_ptrItEEEENS9_16discard_iteratorINS9_11use_defaultEEEt11max_functorItEtEEDaPvRmT3_T4_T5_mT6_P12ihipStream_tbENKUlT_T0_E_clISt17integral_constantIbLb0EESW_IbLb1EEEEDaSS_ST_EUlSS_E0_NS1_11comp_targetILNS1_3genE3ELNS1_11target_archE908ELNS1_3gpuE7ELNS1_3repE0EEENS1_30default_config_static_selectorELNS0_4arch9wavefront6targetE1EEEvT1_ ; -- Begin function _ZN7rocprim17ROCPRIM_400000_NS6detail17trampoline_kernelINS0_14default_configENS1_20scan_config_selectorItEEZZNS1_9scan_implILNS1_25lookback_scan_determinismE0ELb1ELb1ES3_N6thrust23THRUST_200600_302600_NS6detail15normal_iteratorINS9_10device_ptrItEEEENS9_16discard_iteratorINS9_11use_defaultEEEt11max_functorItEtEEDaPvRmT3_T4_T5_mT6_P12ihipStream_tbENKUlT_T0_E_clISt17integral_constantIbLb0EESW_IbLb1EEEEDaSS_ST_EUlSS_E0_NS1_11comp_targetILNS1_3genE3ELNS1_11target_archE908ELNS1_3gpuE7ELNS1_3repE0EEENS1_30default_config_static_selectorELNS0_4arch9wavefront6targetE1EEEvT1_
	.globl	_ZN7rocprim17ROCPRIM_400000_NS6detail17trampoline_kernelINS0_14default_configENS1_20scan_config_selectorItEEZZNS1_9scan_implILNS1_25lookback_scan_determinismE0ELb1ELb1ES3_N6thrust23THRUST_200600_302600_NS6detail15normal_iteratorINS9_10device_ptrItEEEENS9_16discard_iteratorINS9_11use_defaultEEEt11max_functorItEtEEDaPvRmT3_T4_T5_mT6_P12ihipStream_tbENKUlT_T0_E_clISt17integral_constantIbLb0EESW_IbLb1EEEEDaSS_ST_EUlSS_E0_NS1_11comp_targetILNS1_3genE3ELNS1_11target_archE908ELNS1_3gpuE7ELNS1_3repE0EEENS1_30default_config_static_selectorELNS0_4arch9wavefront6targetE1EEEvT1_
	.p2align	8
	.type	_ZN7rocprim17ROCPRIM_400000_NS6detail17trampoline_kernelINS0_14default_configENS1_20scan_config_selectorItEEZZNS1_9scan_implILNS1_25lookback_scan_determinismE0ELb1ELb1ES3_N6thrust23THRUST_200600_302600_NS6detail15normal_iteratorINS9_10device_ptrItEEEENS9_16discard_iteratorINS9_11use_defaultEEEt11max_functorItEtEEDaPvRmT3_T4_T5_mT6_P12ihipStream_tbENKUlT_T0_E_clISt17integral_constantIbLb0EESW_IbLb1EEEEDaSS_ST_EUlSS_E0_NS1_11comp_targetILNS1_3genE3ELNS1_11target_archE908ELNS1_3gpuE7ELNS1_3repE0EEENS1_30default_config_static_selectorELNS0_4arch9wavefront6targetE1EEEvT1_,@function
_ZN7rocprim17ROCPRIM_400000_NS6detail17trampoline_kernelINS0_14default_configENS1_20scan_config_selectorItEEZZNS1_9scan_implILNS1_25lookback_scan_determinismE0ELb1ELb1ES3_N6thrust23THRUST_200600_302600_NS6detail15normal_iteratorINS9_10device_ptrItEEEENS9_16discard_iteratorINS9_11use_defaultEEEt11max_functorItEtEEDaPvRmT3_T4_T5_mT6_P12ihipStream_tbENKUlT_T0_E_clISt17integral_constantIbLb0EESW_IbLb1EEEEDaSS_ST_EUlSS_E0_NS1_11comp_targetILNS1_3genE3ELNS1_11target_archE908ELNS1_3gpuE7ELNS1_3repE0EEENS1_30default_config_static_selectorELNS0_4arch9wavefront6targetE1EEEvT1_: ; @_ZN7rocprim17ROCPRIM_400000_NS6detail17trampoline_kernelINS0_14default_configENS1_20scan_config_selectorItEEZZNS1_9scan_implILNS1_25lookback_scan_determinismE0ELb1ELb1ES3_N6thrust23THRUST_200600_302600_NS6detail15normal_iteratorINS9_10device_ptrItEEEENS9_16discard_iteratorINS9_11use_defaultEEEt11max_functorItEtEEDaPvRmT3_T4_T5_mT6_P12ihipStream_tbENKUlT_T0_E_clISt17integral_constantIbLb0EESW_IbLb1EEEEDaSS_ST_EUlSS_E0_NS1_11comp_targetILNS1_3genE3ELNS1_11target_archE908ELNS1_3gpuE7ELNS1_3repE0EEENS1_30default_config_static_selectorELNS0_4arch9wavefront6targetE1EEEvT1_
; %bb.0:
	.section	.rodata,"a",@progbits
	.p2align	6, 0x0
	.amdhsa_kernel _ZN7rocprim17ROCPRIM_400000_NS6detail17trampoline_kernelINS0_14default_configENS1_20scan_config_selectorItEEZZNS1_9scan_implILNS1_25lookback_scan_determinismE0ELb1ELb1ES3_N6thrust23THRUST_200600_302600_NS6detail15normal_iteratorINS9_10device_ptrItEEEENS9_16discard_iteratorINS9_11use_defaultEEEt11max_functorItEtEEDaPvRmT3_T4_T5_mT6_P12ihipStream_tbENKUlT_T0_E_clISt17integral_constantIbLb0EESW_IbLb1EEEEDaSS_ST_EUlSS_E0_NS1_11comp_targetILNS1_3genE3ELNS1_11target_archE908ELNS1_3gpuE7ELNS1_3repE0EEENS1_30default_config_static_selectorELNS0_4arch9wavefront6targetE1EEEvT1_
		.amdhsa_group_segment_fixed_size 0
		.amdhsa_private_segment_fixed_size 0
		.amdhsa_kernarg_size 40
		.amdhsa_user_sgpr_count 6
		.amdhsa_user_sgpr_private_segment_buffer 1
		.amdhsa_user_sgpr_dispatch_ptr 0
		.amdhsa_user_sgpr_queue_ptr 0
		.amdhsa_user_sgpr_kernarg_segment_ptr 1
		.amdhsa_user_sgpr_dispatch_id 0
		.amdhsa_user_sgpr_flat_scratch_init 0
		.amdhsa_user_sgpr_kernarg_preload_length 0
		.amdhsa_user_sgpr_kernarg_preload_offset 0
		.amdhsa_user_sgpr_private_segment_size 0
		.amdhsa_uses_dynamic_stack 0
		.amdhsa_system_sgpr_private_segment_wavefront_offset 0
		.amdhsa_system_sgpr_workgroup_id_x 1
		.amdhsa_system_sgpr_workgroup_id_y 0
		.amdhsa_system_sgpr_workgroup_id_z 0
		.amdhsa_system_sgpr_workgroup_info 0
		.amdhsa_system_vgpr_workitem_id 0
		.amdhsa_next_free_vgpr 1
		.amdhsa_next_free_sgpr 0
		.amdhsa_accum_offset 4
		.amdhsa_reserve_vcc 0
		.amdhsa_reserve_flat_scratch 0
		.amdhsa_float_round_mode_32 0
		.amdhsa_float_round_mode_16_64 0
		.amdhsa_float_denorm_mode_32 3
		.amdhsa_float_denorm_mode_16_64 3
		.amdhsa_dx10_clamp 1
		.amdhsa_ieee_mode 1
		.amdhsa_fp16_overflow 0
		.amdhsa_tg_split 0
		.amdhsa_exception_fp_ieee_invalid_op 0
		.amdhsa_exception_fp_denorm_src 0
		.amdhsa_exception_fp_ieee_div_zero 0
		.amdhsa_exception_fp_ieee_overflow 0
		.amdhsa_exception_fp_ieee_underflow 0
		.amdhsa_exception_fp_ieee_inexact 0
		.amdhsa_exception_int_div_zero 0
	.end_amdhsa_kernel
	.section	.text._ZN7rocprim17ROCPRIM_400000_NS6detail17trampoline_kernelINS0_14default_configENS1_20scan_config_selectorItEEZZNS1_9scan_implILNS1_25lookback_scan_determinismE0ELb1ELb1ES3_N6thrust23THRUST_200600_302600_NS6detail15normal_iteratorINS9_10device_ptrItEEEENS9_16discard_iteratorINS9_11use_defaultEEEt11max_functorItEtEEDaPvRmT3_T4_T5_mT6_P12ihipStream_tbENKUlT_T0_E_clISt17integral_constantIbLb0EESW_IbLb1EEEEDaSS_ST_EUlSS_E0_NS1_11comp_targetILNS1_3genE3ELNS1_11target_archE908ELNS1_3gpuE7ELNS1_3repE0EEENS1_30default_config_static_selectorELNS0_4arch9wavefront6targetE1EEEvT1_,"axG",@progbits,_ZN7rocprim17ROCPRIM_400000_NS6detail17trampoline_kernelINS0_14default_configENS1_20scan_config_selectorItEEZZNS1_9scan_implILNS1_25lookback_scan_determinismE0ELb1ELb1ES3_N6thrust23THRUST_200600_302600_NS6detail15normal_iteratorINS9_10device_ptrItEEEENS9_16discard_iteratorINS9_11use_defaultEEEt11max_functorItEtEEDaPvRmT3_T4_T5_mT6_P12ihipStream_tbENKUlT_T0_E_clISt17integral_constantIbLb0EESW_IbLb1EEEEDaSS_ST_EUlSS_E0_NS1_11comp_targetILNS1_3genE3ELNS1_11target_archE908ELNS1_3gpuE7ELNS1_3repE0EEENS1_30default_config_static_selectorELNS0_4arch9wavefront6targetE1EEEvT1_,comdat
.Lfunc_end3704:
	.size	_ZN7rocprim17ROCPRIM_400000_NS6detail17trampoline_kernelINS0_14default_configENS1_20scan_config_selectorItEEZZNS1_9scan_implILNS1_25lookback_scan_determinismE0ELb1ELb1ES3_N6thrust23THRUST_200600_302600_NS6detail15normal_iteratorINS9_10device_ptrItEEEENS9_16discard_iteratorINS9_11use_defaultEEEt11max_functorItEtEEDaPvRmT3_T4_T5_mT6_P12ihipStream_tbENKUlT_T0_E_clISt17integral_constantIbLb0EESW_IbLb1EEEEDaSS_ST_EUlSS_E0_NS1_11comp_targetILNS1_3genE3ELNS1_11target_archE908ELNS1_3gpuE7ELNS1_3repE0EEENS1_30default_config_static_selectorELNS0_4arch9wavefront6targetE1EEEvT1_, .Lfunc_end3704-_ZN7rocprim17ROCPRIM_400000_NS6detail17trampoline_kernelINS0_14default_configENS1_20scan_config_selectorItEEZZNS1_9scan_implILNS1_25lookback_scan_determinismE0ELb1ELb1ES3_N6thrust23THRUST_200600_302600_NS6detail15normal_iteratorINS9_10device_ptrItEEEENS9_16discard_iteratorINS9_11use_defaultEEEt11max_functorItEtEEDaPvRmT3_T4_T5_mT6_P12ihipStream_tbENKUlT_T0_E_clISt17integral_constantIbLb0EESW_IbLb1EEEEDaSS_ST_EUlSS_E0_NS1_11comp_targetILNS1_3genE3ELNS1_11target_archE908ELNS1_3gpuE7ELNS1_3repE0EEENS1_30default_config_static_selectorELNS0_4arch9wavefront6targetE1EEEvT1_
                                        ; -- End function
	.section	.AMDGPU.csdata,"",@progbits
; Kernel info:
; codeLenInByte = 0
; NumSgprs: 4
; NumVgprs: 0
; NumAgprs: 0
; TotalNumVgprs: 0
; ScratchSize: 0
; MemoryBound: 0
; FloatMode: 240
; IeeeMode: 1
; LDSByteSize: 0 bytes/workgroup (compile time only)
; SGPRBlocks: 0
; VGPRBlocks: 0
; NumSGPRsForWavesPerEU: 4
; NumVGPRsForWavesPerEU: 1
; AccumOffset: 4
; Occupancy: 8
; WaveLimiterHint : 0
; COMPUTE_PGM_RSRC2:SCRATCH_EN: 0
; COMPUTE_PGM_RSRC2:USER_SGPR: 6
; COMPUTE_PGM_RSRC2:TRAP_HANDLER: 0
; COMPUTE_PGM_RSRC2:TGID_X_EN: 1
; COMPUTE_PGM_RSRC2:TGID_Y_EN: 0
; COMPUTE_PGM_RSRC2:TGID_Z_EN: 0
; COMPUTE_PGM_RSRC2:TIDIG_COMP_CNT: 0
; COMPUTE_PGM_RSRC3_GFX90A:ACCUM_OFFSET: 0
; COMPUTE_PGM_RSRC3_GFX90A:TG_SPLIT: 0
	.section	.text._ZN7rocprim17ROCPRIM_400000_NS6detail17trampoline_kernelINS0_14default_configENS1_20scan_config_selectorItEEZZNS1_9scan_implILNS1_25lookback_scan_determinismE0ELb1ELb1ES3_N6thrust23THRUST_200600_302600_NS6detail15normal_iteratorINS9_10device_ptrItEEEENS9_16discard_iteratorINS9_11use_defaultEEEt11max_functorItEtEEDaPvRmT3_T4_T5_mT6_P12ihipStream_tbENKUlT_T0_E_clISt17integral_constantIbLb0EESW_IbLb1EEEEDaSS_ST_EUlSS_E0_NS1_11comp_targetILNS1_3genE2ELNS1_11target_archE906ELNS1_3gpuE6ELNS1_3repE0EEENS1_30default_config_static_selectorELNS0_4arch9wavefront6targetE1EEEvT1_,"axG",@progbits,_ZN7rocprim17ROCPRIM_400000_NS6detail17trampoline_kernelINS0_14default_configENS1_20scan_config_selectorItEEZZNS1_9scan_implILNS1_25lookback_scan_determinismE0ELb1ELb1ES3_N6thrust23THRUST_200600_302600_NS6detail15normal_iteratorINS9_10device_ptrItEEEENS9_16discard_iteratorINS9_11use_defaultEEEt11max_functorItEtEEDaPvRmT3_T4_T5_mT6_P12ihipStream_tbENKUlT_T0_E_clISt17integral_constantIbLb0EESW_IbLb1EEEEDaSS_ST_EUlSS_E0_NS1_11comp_targetILNS1_3genE2ELNS1_11target_archE906ELNS1_3gpuE6ELNS1_3repE0EEENS1_30default_config_static_selectorELNS0_4arch9wavefront6targetE1EEEvT1_,comdat
	.protected	_ZN7rocprim17ROCPRIM_400000_NS6detail17trampoline_kernelINS0_14default_configENS1_20scan_config_selectorItEEZZNS1_9scan_implILNS1_25lookback_scan_determinismE0ELb1ELb1ES3_N6thrust23THRUST_200600_302600_NS6detail15normal_iteratorINS9_10device_ptrItEEEENS9_16discard_iteratorINS9_11use_defaultEEEt11max_functorItEtEEDaPvRmT3_T4_T5_mT6_P12ihipStream_tbENKUlT_T0_E_clISt17integral_constantIbLb0EESW_IbLb1EEEEDaSS_ST_EUlSS_E0_NS1_11comp_targetILNS1_3genE2ELNS1_11target_archE906ELNS1_3gpuE6ELNS1_3repE0EEENS1_30default_config_static_selectorELNS0_4arch9wavefront6targetE1EEEvT1_ ; -- Begin function _ZN7rocprim17ROCPRIM_400000_NS6detail17trampoline_kernelINS0_14default_configENS1_20scan_config_selectorItEEZZNS1_9scan_implILNS1_25lookback_scan_determinismE0ELb1ELb1ES3_N6thrust23THRUST_200600_302600_NS6detail15normal_iteratorINS9_10device_ptrItEEEENS9_16discard_iteratorINS9_11use_defaultEEEt11max_functorItEtEEDaPvRmT3_T4_T5_mT6_P12ihipStream_tbENKUlT_T0_E_clISt17integral_constantIbLb0EESW_IbLb1EEEEDaSS_ST_EUlSS_E0_NS1_11comp_targetILNS1_3genE2ELNS1_11target_archE906ELNS1_3gpuE6ELNS1_3repE0EEENS1_30default_config_static_selectorELNS0_4arch9wavefront6targetE1EEEvT1_
	.globl	_ZN7rocprim17ROCPRIM_400000_NS6detail17trampoline_kernelINS0_14default_configENS1_20scan_config_selectorItEEZZNS1_9scan_implILNS1_25lookback_scan_determinismE0ELb1ELb1ES3_N6thrust23THRUST_200600_302600_NS6detail15normal_iteratorINS9_10device_ptrItEEEENS9_16discard_iteratorINS9_11use_defaultEEEt11max_functorItEtEEDaPvRmT3_T4_T5_mT6_P12ihipStream_tbENKUlT_T0_E_clISt17integral_constantIbLb0EESW_IbLb1EEEEDaSS_ST_EUlSS_E0_NS1_11comp_targetILNS1_3genE2ELNS1_11target_archE906ELNS1_3gpuE6ELNS1_3repE0EEENS1_30default_config_static_selectorELNS0_4arch9wavefront6targetE1EEEvT1_
	.p2align	8
	.type	_ZN7rocprim17ROCPRIM_400000_NS6detail17trampoline_kernelINS0_14default_configENS1_20scan_config_selectorItEEZZNS1_9scan_implILNS1_25lookback_scan_determinismE0ELb1ELb1ES3_N6thrust23THRUST_200600_302600_NS6detail15normal_iteratorINS9_10device_ptrItEEEENS9_16discard_iteratorINS9_11use_defaultEEEt11max_functorItEtEEDaPvRmT3_T4_T5_mT6_P12ihipStream_tbENKUlT_T0_E_clISt17integral_constantIbLb0EESW_IbLb1EEEEDaSS_ST_EUlSS_E0_NS1_11comp_targetILNS1_3genE2ELNS1_11target_archE906ELNS1_3gpuE6ELNS1_3repE0EEENS1_30default_config_static_selectorELNS0_4arch9wavefront6targetE1EEEvT1_,@function
_ZN7rocprim17ROCPRIM_400000_NS6detail17trampoline_kernelINS0_14default_configENS1_20scan_config_selectorItEEZZNS1_9scan_implILNS1_25lookback_scan_determinismE0ELb1ELb1ES3_N6thrust23THRUST_200600_302600_NS6detail15normal_iteratorINS9_10device_ptrItEEEENS9_16discard_iteratorINS9_11use_defaultEEEt11max_functorItEtEEDaPvRmT3_T4_T5_mT6_P12ihipStream_tbENKUlT_T0_E_clISt17integral_constantIbLb0EESW_IbLb1EEEEDaSS_ST_EUlSS_E0_NS1_11comp_targetILNS1_3genE2ELNS1_11target_archE906ELNS1_3gpuE6ELNS1_3repE0EEENS1_30default_config_static_selectorELNS0_4arch9wavefront6targetE1EEEvT1_: ; @_ZN7rocprim17ROCPRIM_400000_NS6detail17trampoline_kernelINS0_14default_configENS1_20scan_config_selectorItEEZZNS1_9scan_implILNS1_25lookback_scan_determinismE0ELb1ELb1ES3_N6thrust23THRUST_200600_302600_NS6detail15normal_iteratorINS9_10device_ptrItEEEENS9_16discard_iteratorINS9_11use_defaultEEEt11max_functorItEtEEDaPvRmT3_T4_T5_mT6_P12ihipStream_tbENKUlT_T0_E_clISt17integral_constantIbLb0EESW_IbLb1EEEEDaSS_ST_EUlSS_E0_NS1_11comp_targetILNS1_3genE2ELNS1_11target_archE906ELNS1_3gpuE6ELNS1_3repE0EEENS1_30default_config_static_selectorELNS0_4arch9wavefront6targetE1EEEvT1_
; %bb.0:
	.section	.rodata,"a",@progbits
	.p2align	6, 0x0
	.amdhsa_kernel _ZN7rocprim17ROCPRIM_400000_NS6detail17trampoline_kernelINS0_14default_configENS1_20scan_config_selectorItEEZZNS1_9scan_implILNS1_25lookback_scan_determinismE0ELb1ELb1ES3_N6thrust23THRUST_200600_302600_NS6detail15normal_iteratorINS9_10device_ptrItEEEENS9_16discard_iteratorINS9_11use_defaultEEEt11max_functorItEtEEDaPvRmT3_T4_T5_mT6_P12ihipStream_tbENKUlT_T0_E_clISt17integral_constantIbLb0EESW_IbLb1EEEEDaSS_ST_EUlSS_E0_NS1_11comp_targetILNS1_3genE2ELNS1_11target_archE906ELNS1_3gpuE6ELNS1_3repE0EEENS1_30default_config_static_selectorELNS0_4arch9wavefront6targetE1EEEvT1_
		.amdhsa_group_segment_fixed_size 0
		.amdhsa_private_segment_fixed_size 0
		.amdhsa_kernarg_size 40
		.amdhsa_user_sgpr_count 6
		.amdhsa_user_sgpr_private_segment_buffer 1
		.amdhsa_user_sgpr_dispatch_ptr 0
		.amdhsa_user_sgpr_queue_ptr 0
		.amdhsa_user_sgpr_kernarg_segment_ptr 1
		.amdhsa_user_sgpr_dispatch_id 0
		.amdhsa_user_sgpr_flat_scratch_init 0
		.amdhsa_user_sgpr_kernarg_preload_length 0
		.amdhsa_user_sgpr_kernarg_preload_offset 0
		.amdhsa_user_sgpr_private_segment_size 0
		.amdhsa_uses_dynamic_stack 0
		.amdhsa_system_sgpr_private_segment_wavefront_offset 0
		.amdhsa_system_sgpr_workgroup_id_x 1
		.amdhsa_system_sgpr_workgroup_id_y 0
		.amdhsa_system_sgpr_workgroup_id_z 0
		.amdhsa_system_sgpr_workgroup_info 0
		.amdhsa_system_vgpr_workitem_id 0
		.amdhsa_next_free_vgpr 1
		.amdhsa_next_free_sgpr 0
		.amdhsa_accum_offset 4
		.amdhsa_reserve_vcc 0
		.amdhsa_reserve_flat_scratch 0
		.amdhsa_float_round_mode_32 0
		.amdhsa_float_round_mode_16_64 0
		.amdhsa_float_denorm_mode_32 3
		.amdhsa_float_denorm_mode_16_64 3
		.amdhsa_dx10_clamp 1
		.amdhsa_ieee_mode 1
		.amdhsa_fp16_overflow 0
		.amdhsa_tg_split 0
		.amdhsa_exception_fp_ieee_invalid_op 0
		.amdhsa_exception_fp_denorm_src 0
		.amdhsa_exception_fp_ieee_div_zero 0
		.amdhsa_exception_fp_ieee_overflow 0
		.amdhsa_exception_fp_ieee_underflow 0
		.amdhsa_exception_fp_ieee_inexact 0
		.amdhsa_exception_int_div_zero 0
	.end_amdhsa_kernel
	.section	.text._ZN7rocprim17ROCPRIM_400000_NS6detail17trampoline_kernelINS0_14default_configENS1_20scan_config_selectorItEEZZNS1_9scan_implILNS1_25lookback_scan_determinismE0ELb1ELb1ES3_N6thrust23THRUST_200600_302600_NS6detail15normal_iteratorINS9_10device_ptrItEEEENS9_16discard_iteratorINS9_11use_defaultEEEt11max_functorItEtEEDaPvRmT3_T4_T5_mT6_P12ihipStream_tbENKUlT_T0_E_clISt17integral_constantIbLb0EESW_IbLb1EEEEDaSS_ST_EUlSS_E0_NS1_11comp_targetILNS1_3genE2ELNS1_11target_archE906ELNS1_3gpuE6ELNS1_3repE0EEENS1_30default_config_static_selectorELNS0_4arch9wavefront6targetE1EEEvT1_,"axG",@progbits,_ZN7rocprim17ROCPRIM_400000_NS6detail17trampoline_kernelINS0_14default_configENS1_20scan_config_selectorItEEZZNS1_9scan_implILNS1_25lookback_scan_determinismE0ELb1ELb1ES3_N6thrust23THRUST_200600_302600_NS6detail15normal_iteratorINS9_10device_ptrItEEEENS9_16discard_iteratorINS9_11use_defaultEEEt11max_functorItEtEEDaPvRmT3_T4_T5_mT6_P12ihipStream_tbENKUlT_T0_E_clISt17integral_constantIbLb0EESW_IbLb1EEEEDaSS_ST_EUlSS_E0_NS1_11comp_targetILNS1_3genE2ELNS1_11target_archE906ELNS1_3gpuE6ELNS1_3repE0EEENS1_30default_config_static_selectorELNS0_4arch9wavefront6targetE1EEEvT1_,comdat
.Lfunc_end3705:
	.size	_ZN7rocprim17ROCPRIM_400000_NS6detail17trampoline_kernelINS0_14default_configENS1_20scan_config_selectorItEEZZNS1_9scan_implILNS1_25lookback_scan_determinismE0ELb1ELb1ES3_N6thrust23THRUST_200600_302600_NS6detail15normal_iteratorINS9_10device_ptrItEEEENS9_16discard_iteratorINS9_11use_defaultEEEt11max_functorItEtEEDaPvRmT3_T4_T5_mT6_P12ihipStream_tbENKUlT_T0_E_clISt17integral_constantIbLb0EESW_IbLb1EEEEDaSS_ST_EUlSS_E0_NS1_11comp_targetILNS1_3genE2ELNS1_11target_archE906ELNS1_3gpuE6ELNS1_3repE0EEENS1_30default_config_static_selectorELNS0_4arch9wavefront6targetE1EEEvT1_, .Lfunc_end3705-_ZN7rocprim17ROCPRIM_400000_NS6detail17trampoline_kernelINS0_14default_configENS1_20scan_config_selectorItEEZZNS1_9scan_implILNS1_25lookback_scan_determinismE0ELb1ELb1ES3_N6thrust23THRUST_200600_302600_NS6detail15normal_iteratorINS9_10device_ptrItEEEENS9_16discard_iteratorINS9_11use_defaultEEEt11max_functorItEtEEDaPvRmT3_T4_T5_mT6_P12ihipStream_tbENKUlT_T0_E_clISt17integral_constantIbLb0EESW_IbLb1EEEEDaSS_ST_EUlSS_E0_NS1_11comp_targetILNS1_3genE2ELNS1_11target_archE906ELNS1_3gpuE6ELNS1_3repE0EEENS1_30default_config_static_selectorELNS0_4arch9wavefront6targetE1EEEvT1_
                                        ; -- End function
	.section	.AMDGPU.csdata,"",@progbits
; Kernel info:
; codeLenInByte = 0
; NumSgprs: 4
; NumVgprs: 0
; NumAgprs: 0
; TotalNumVgprs: 0
; ScratchSize: 0
; MemoryBound: 0
; FloatMode: 240
; IeeeMode: 1
; LDSByteSize: 0 bytes/workgroup (compile time only)
; SGPRBlocks: 0
; VGPRBlocks: 0
; NumSGPRsForWavesPerEU: 4
; NumVGPRsForWavesPerEU: 1
; AccumOffset: 4
; Occupancy: 8
; WaveLimiterHint : 0
; COMPUTE_PGM_RSRC2:SCRATCH_EN: 0
; COMPUTE_PGM_RSRC2:USER_SGPR: 6
; COMPUTE_PGM_RSRC2:TRAP_HANDLER: 0
; COMPUTE_PGM_RSRC2:TGID_X_EN: 1
; COMPUTE_PGM_RSRC2:TGID_Y_EN: 0
; COMPUTE_PGM_RSRC2:TGID_Z_EN: 0
; COMPUTE_PGM_RSRC2:TIDIG_COMP_CNT: 0
; COMPUTE_PGM_RSRC3_GFX90A:ACCUM_OFFSET: 0
; COMPUTE_PGM_RSRC3_GFX90A:TG_SPLIT: 0
	.section	.text._ZN7rocprim17ROCPRIM_400000_NS6detail17trampoline_kernelINS0_14default_configENS1_20scan_config_selectorItEEZZNS1_9scan_implILNS1_25lookback_scan_determinismE0ELb1ELb1ES3_N6thrust23THRUST_200600_302600_NS6detail15normal_iteratorINS9_10device_ptrItEEEENS9_16discard_iteratorINS9_11use_defaultEEEt11max_functorItEtEEDaPvRmT3_T4_T5_mT6_P12ihipStream_tbENKUlT_T0_E_clISt17integral_constantIbLb0EESW_IbLb1EEEEDaSS_ST_EUlSS_E0_NS1_11comp_targetILNS1_3genE10ELNS1_11target_archE1201ELNS1_3gpuE5ELNS1_3repE0EEENS1_30default_config_static_selectorELNS0_4arch9wavefront6targetE1EEEvT1_,"axG",@progbits,_ZN7rocprim17ROCPRIM_400000_NS6detail17trampoline_kernelINS0_14default_configENS1_20scan_config_selectorItEEZZNS1_9scan_implILNS1_25lookback_scan_determinismE0ELb1ELb1ES3_N6thrust23THRUST_200600_302600_NS6detail15normal_iteratorINS9_10device_ptrItEEEENS9_16discard_iteratorINS9_11use_defaultEEEt11max_functorItEtEEDaPvRmT3_T4_T5_mT6_P12ihipStream_tbENKUlT_T0_E_clISt17integral_constantIbLb0EESW_IbLb1EEEEDaSS_ST_EUlSS_E0_NS1_11comp_targetILNS1_3genE10ELNS1_11target_archE1201ELNS1_3gpuE5ELNS1_3repE0EEENS1_30default_config_static_selectorELNS0_4arch9wavefront6targetE1EEEvT1_,comdat
	.protected	_ZN7rocprim17ROCPRIM_400000_NS6detail17trampoline_kernelINS0_14default_configENS1_20scan_config_selectorItEEZZNS1_9scan_implILNS1_25lookback_scan_determinismE0ELb1ELb1ES3_N6thrust23THRUST_200600_302600_NS6detail15normal_iteratorINS9_10device_ptrItEEEENS9_16discard_iteratorINS9_11use_defaultEEEt11max_functorItEtEEDaPvRmT3_T4_T5_mT6_P12ihipStream_tbENKUlT_T0_E_clISt17integral_constantIbLb0EESW_IbLb1EEEEDaSS_ST_EUlSS_E0_NS1_11comp_targetILNS1_3genE10ELNS1_11target_archE1201ELNS1_3gpuE5ELNS1_3repE0EEENS1_30default_config_static_selectorELNS0_4arch9wavefront6targetE1EEEvT1_ ; -- Begin function _ZN7rocprim17ROCPRIM_400000_NS6detail17trampoline_kernelINS0_14default_configENS1_20scan_config_selectorItEEZZNS1_9scan_implILNS1_25lookback_scan_determinismE0ELb1ELb1ES3_N6thrust23THRUST_200600_302600_NS6detail15normal_iteratorINS9_10device_ptrItEEEENS9_16discard_iteratorINS9_11use_defaultEEEt11max_functorItEtEEDaPvRmT3_T4_T5_mT6_P12ihipStream_tbENKUlT_T0_E_clISt17integral_constantIbLb0EESW_IbLb1EEEEDaSS_ST_EUlSS_E0_NS1_11comp_targetILNS1_3genE10ELNS1_11target_archE1201ELNS1_3gpuE5ELNS1_3repE0EEENS1_30default_config_static_selectorELNS0_4arch9wavefront6targetE1EEEvT1_
	.globl	_ZN7rocprim17ROCPRIM_400000_NS6detail17trampoline_kernelINS0_14default_configENS1_20scan_config_selectorItEEZZNS1_9scan_implILNS1_25lookback_scan_determinismE0ELb1ELb1ES3_N6thrust23THRUST_200600_302600_NS6detail15normal_iteratorINS9_10device_ptrItEEEENS9_16discard_iteratorINS9_11use_defaultEEEt11max_functorItEtEEDaPvRmT3_T4_T5_mT6_P12ihipStream_tbENKUlT_T0_E_clISt17integral_constantIbLb0EESW_IbLb1EEEEDaSS_ST_EUlSS_E0_NS1_11comp_targetILNS1_3genE10ELNS1_11target_archE1201ELNS1_3gpuE5ELNS1_3repE0EEENS1_30default_config_static_selectorELNS0_4arch9wavefront6targetE1EEEvT1_
	.p2align	8
	.type	_ZN7rocprim17ROCPRIM_400000_NS6detail17trampoline_kernelINS0_14default_configENS1_20scan_config_selectorItEEZZNS1_9scan_implILNS1_25lookback_scan_determinismE0ELb1ELb1ES3_N6thrust23THRUST_200600_302600_NS6detail15normal_iteratorINS9_10device_ptrItEEEENS9_16discard_iteratorINS9_11use_defaultEEEt11max_functorItEtEEDaPvRmT3_T4_T5_mT6_P12ihipStream_tbENKUlT_T0_E_clISt17integral_constantIbLb0EESW_IbLb1EEEEDaSS_ST_EUlSS_E0_NS1_11comp_targetILNS1_3genE10ELNS1_11target_archE1201ELNS1_3gpuE5ELNS1_3repE0EEENS1_30default_config_static_selectorELNS0_4arch9wavefront6targetE1EEEvT1_,@function
_ZN7rocprim17ROCPRIM_400000_NS6detail17trampoline_kernelINS0_14default_configENS1_20scan_config_selectorItEEZZNS1_9scan_implILNS1_25lookback_scan_determinismE0ELb1ELb1ES3_N6thrust23THRUST_200600_302600_NS6detail15normal_iteratorINS9_10device_ptrItEEEENS9_16discard_iteratorINS9_11use_defaultEEEt11max_functorItEtEEDaPvRmT3_T4_T5_mT6_P12ihipStream_tbENKUlT_T0_E_clISt17integral_constantIbLb0EESW_IbLb1EEEEDaSS_ST_EUlSS_E0_NS1_11comp_targetILNS1_3genE10ELNS1_11target_archE1201ELNS1_3gpuE5ELNS1_3repE0EEENS1_30default_config_static_selectorELNS0_4arch9wavefront6targetE1EEEvT1_: ; @_ZN7rocprim17ROCPRIM_400000_NS6detail17trampoline_kernelINS0_14default_configENS1_20scan_config_selectorItEEZZNS1_9scan_implILNS1_25lookback_scan_determinismE0ELb1ELb1ES3_N6thrust23THRUST_200600_302600_NS6detail15normal_iteratorINS9_10device_ptrItEEEENS9_16discard_iteratorINS9_11use_defaultEEEt11max_functorItEtEEDaPvRmT3_T4_T5_mT6_P12ihipStream_tbENKUlT_T0_E_clISt17integral_constantIbLb0EESW_IbLb1EEEEDaSS_ST_EUlSS_E0_NS1_11comp_targetILNS1_3genE10ELNS1_11target_archE1201ELNS1_3gpuE5ELNS1_3repE0EEENS1_30default_config_static_selectorELNS0_4arch9wavefront6targetE1EEEvT1_
; %bb.0:
	.section	.rodata,"a",@progbits
	.p2align	6, 0x0
	.amdhsa_kernel _ZN7rocprim17ROCPRIM_400000_NS6detail17trampoline_kernelINS0_14default_configENS1_20scan_config_selectorItEEZZNS1_9scan_implILNS1_25lookback_scan_determinismE0ELb1ELb1ES3_N6thrust23THRUST_200600_302600_NS6detail15normal_iteratorINS9_10device_ptrItEEEENS9_16discard_iteratorINS9_11use_defaultEEEt11max_functorItEtEEDaPvRmT3_T4_T5_mT6_P12ihipStream_tbENKUlT_T0_E_clISt17integral_constantIbLb0EESW_IbLb1EEEEDaSS_ST_EUlSS_E0_NS1_11comp_targetILNS1_3genE10ELNS1_11target_archE1201ELNS1_3gpuE5ELNS1_3repE0EEENS1_30default_config_static_selectorELNS0_4arch9wavefront6targetE1EEEvT1_
		.amdhsa_group_segment_fixed_size 0
		.amdhsa_private_segment_fixed_size 0
		.amdhsa_kernarg_size 40
		.amdhsa_user_sgpr_count 6
		.amdhsa_user_sgpr_private_segment_buffer 1
		.amdhsa_user_sgpr_dispatch_ptr 0
		.amdhsa_user_sgpr_queue_ptr 0
		.amdhsa_user_sgpr_kernarg_segment_ptr 1
		.amdhsa_user_sgpr_dispatch_id 0
		.amdhsa_user_sgpr_flat_scratch_init 0
		.amdhsa_user_sgpr_kernarg_preload_length 0
		.amdhsa_user_sgpr_kernarg_preload_offset 0
		.amdhsa_user_sgpr_private_segment_size 0
		.amdhsa_uses_dynamic_stack 0
		.amdhsa_system_sgpr_private_segment_wavefront_offset 0
		.amdhsa_system_sgpr_workgroup_id_x 1
		.amdhsa_system_sgpr_workgroup_id_y 0
		.amdhsa_system_sgpr_workgroup_id_z 0
		.amdhsa_system_sgpr_workgroup_info 0
		.amdhsa_system_vgpr_workitem_id 0
		.amdhsa_next_free_vgpr 1
		.amdhsa_next_free_sgpr 0
		.amdhsa_accum_offset 4
		.amdhsa_reserve_vcc 0
		.amdhsa_reserve_flat_scratch 0
		.amdhsa_float_round_mode_32 0
		.amdhsa_float_round_mode_16_64 0
		.amdhsa_float_denorm_mode_32 3
		.amdhsa_float_denorm_mode_16_64 3
		.amdhsa_dx10_clamp 1
		.amdhsa_ieee_mode 1
		.amdhsa_fp16_overflow 0
		.amdhsa_tg_split 0
		.amdhsa_exception_fp_ieee_invalid_op 0
		.amdhsa_exception_fp_denorm_src 0
		.amdhsa_exception_fp_ieee_div_zero 0
		.amdhsa_exception_fp_ieee_overflow 0
		.amdhsa_exception_fp_ieee_underflow 0
		.amdhsa_exception_fp_ieee_inexact 0
		.amdhsa_exception_int_div_zero 0
	.end_amdhsa_kernel
	.section	.text._ZN7rocprim17ROCPRIM_400000_NS6detail17trampoline_kernelINS0_14default_configENS1_20scan_config_selectorItEEZZNS1_9scan_implILNS1_25lookback_scan_determinismE0ELb1ELb1ES3_N6thrust23THRUST_200600_302600_NS6detail15normal_iteratorINS9_10device_ptrItEEEENS9_16discard_iteratorINS9_11use_defaultEEEt11max_functorItEtEEDaPvRmT3_T4_T5_mT6_P12ihipStream_tbENKUlT_T0_E_clISt17integral_constantIbLb0EESW_IbLb1EEEEDaSS_ST_EUlSS_E0_NS1_11comp_targetILNS1_3genE10ELNS1_11target_archE1201ELNS1_3gpuE5ELNS1_3repE0EEENS1_30default_config_static_selectorELNS0_4arch9wavefront6targetE1EEEvT1_,"axG",@progbits,_ZN7rocprim17ROCPRIM_400000_NS6detail17trampoline_kernelINS0_14default_configENS1_20scan_config_selectorItEEZZNS1_9scan_implILNS1_25lookback_scan_determinismE0ELb1ELb1ES3_N6thrust23THRUST_200600_302600_NS6detail15normal_iteratorINS9_10device_ptrItEEEENS9_16discard_iteratorINS9_11use_defaultEEEt11max_functorItEtEEDaPvRmT3_T4_T5_mT6_P12ihipStream_tbENKUlT_T0_E_clISt17integral_constantIbLb0EESW_IbLb1EEEEDaSS_ST_EUlSS_E0_NS1_11comp_targetILNS1_3genE10ELNS1_11target_archE1201ELNS1_3gpuE5ELNS1_3repE0EEENS1_30default_config_static_selectorELNS0_4arch9wavefront6targetE1EEEvT1_,comdat
.Lfunc_end3706:
	.size	_ZN7rocprim17ROCPRIM_400000_NS6detail17trampoline_kernelINS0_14default_configENS1_20scan_config_selectorItEEZZNS1_9scan_implILNS1_25lookback_scan_determinismE0ELb1ELb1ES3_N6thrust23THRUST_200600_302600_NS6detail15normal_iteratorINS9_10device_ptrItEEEENS9_16discard_iteratorINS9_11use_defaultEEEt11max_functorItEtEEDaPvRmT3_T4_T5_mT6_P12ihipStream_tbENKUlT_T0_E_clISt17integral_constantIbLb0EESW_IbLb1EEEEDaSS_ST_EUlSS_E0_NS1_11comp_targetILNS1_3genE10ELNS1_11target_archE1201ELNS1_3gpuE5ELNS1_3repE0EEENS1_30default_config_static_selectorELNS0_4arch9wavefront6targetE1EEEvT1_, .Lfunc_end3706-_ZN7rocprim17ROCPRIM_400000_NS6detail17trampoline_kernelINS0_14default_configENS1_20scan_config_selectorItEEZZNS1_9scan_implILNS1_25lookback_scan_determinismE0ELb1ELb1ES3_N6thrust23THRUST_200600_302600_NS6detail15normal_iteratorINS9_10device_ptrItEEEENS9_16discard_iteratorINS9_11use_defaultEEEt11max_functorItEtEEDaPvRmT3_T4_T5_mT6_P12ihipStream_tbENKUlT_T0_E_clISt17integral_constantIbLb0EESW_IbLb1EEEEDaSS_ST_EUlSS_E0_NS1_11comp_targetILNS1_3genE10ELNS1_11target_archE1201ELNS1_3gpuE5ELNS1_3repE0EEENS1_30default_config_static_selectorELNS0_4arch9wavefront6targetE1EEEvT1_
                                        ; -- End function
	.section	.AMDGPU.csdata,"",@progbits
; Kernel info:
; codeLenInByte = 0
; NumSgprs: 4
; NumVgprs: 0
; NumAgprs: 0
; TotalNumVgprs: 0
; ScratchSize: 0
; MemoryBound: 0
; FloatMode: 240
; IeeeMode: 1
; LDSByteSize: 0 bytes/workgroup (compile time only)
; SGPRBlocks: 0
; VGPRBlocks: 0
; NumSGPRsForWavesPerEU: 4
; NumVGPRsForWavesPerEU: 1
; AccumOffset: 4
; Occupancy: 8
; WaveLimiterHint : 0
; COMPUTE_PGM_RSRC2:SCRATCH_EN: 0
; COMPUTE_PGM_RSRC2:USER_SGPR: 6
; COMPUTE_PGM_RSRC2:TRAP_HANDLER: 0
; COMPUTE_PGM_RSRC2:TGID_X_EN: 1
; COMPUTE_PGM_RSRC2:TGID_Y_EN: 0
; COMPUTE_PGM_RSRC2:TGID_Z_EN: 0
; COMPUTE_PGM_RSRC2:TIDIG_COMP_CNT: 0
; COMPUTE_PGM_RSRC3_GFX90A:ACCUM_OFFSET: 0
; COMPUTE_PGM_RSRC3_GFX90A:TG_SPLIT: 0
	.section	.text._ZN7rocprim17ROCPRIM_400000_NS6detail17trampoline_kernelINS0_14default_configENS1_20scan_config_selectorItEEZZNS1_9scan_implILNS1_25lookback_scan_determinismE0ELb1ELb1ES3_N6thrust23THRUST_200600_302600_NS6detail15normal_iteratorINS9_10device_ptrItEEEENS9_16discard_iteratorINS9_11use_defaultEEEt11max_functorItEtEEDaPvRmT3_T4_T5_mT6_P12ihipStream_tbENKUlT_T0_E_clISt17integral_constantIbLb0EESW_IbLb1EEEEDaSS_ST_EUlSS_E0_NS1_11comp_targetILNS1_3genE10ELNS1_11target_archE1200ELNS1_3gpuE4ELNS1_3repE0EEENS1_30default_config_static_selectorELNS0_4arch9wavefront6targetE1EEEvT1_,"axG",@progbits,_ZN7rocprim17ROCPRIM_400000_NS6detail17trampoline_kernelINS0_14default_configENS1_20scan_config_selectorItEEZZNS1_9scan_implILNS1_25lookback_scan_determinismE0ELb1ELb1ES3_N6thrust23THRUST_200600_302600_NS6detail15normal_iteratorINS9_10device_ptrItEEEENS9_16discard_iteratorINS9_11use_defaultEEEt11max_functorItEtEEDaPvRmT3_T4_T5_mT6_P12ihipStream_tbENKUlT_T0_E_clISt17integral_constantIbLb0EESW_IbLb1EEEEDaSS_ST_EUlSS_E0_NS1_11comp_targetILNS1_3genE10ELNS1_11target_archE1200ELNS1_3gpuE4ELNS1_3repE0EEENS1_30default_config_static_selectorELNS0_4arch9wavefront6targetE1EEEvT1_,comdat
	.protected	_ZN7rocprim17ROCPRIM_400000_NS6detail17trampoline_kernelINS0_14default_configENS1_20scan_config_selectorItEEZZNS1_9scan_implILNS1_25lookback_scan_determinismE0ELb1ELb1ES3_N6thrust23THRUST_200600_302600_NS6detail15normal_iteratorINS9_10device_ptrItEEEENS9_16discard_iteratorINS9_11use_defaultEEEt11max_functorItEtEEDaPvRmT3_T4_T5_mT6_P12ihipStream_tbENKUlT_T0_E_clISt17integral_constantIbLb0EESW_IbLb1EEEEDaSS_ST_EUlSS_E0_NS1_11comp_targetILNS1_3genE10ELNS1_11target_archE1200ELNS1_3gpuE4ELNS1_3repE0EEENS1_30default_config_static_selectorELNS0_4arch9wavefront6targetE1EEEvT1_ ; -- Begin function _ZN7rocprim17ROCPRIM_400000_NS6detail17trampoline_kernelINS0_14default_configENS1_20scan_config_selectorItEEZZNS1_9scan_implILNS1_25lookback_scan_determinismE0ELb1ELb1ES3_N6thrust23THRUST_200600_302600_NS6detail15normal_iteratorINS9_10device_ptrItEEEENS9_16discard_iteratorINS9_11use_defaultEEEt11max_functorItEtEEDaPvRmT3_T4_T5_mT6_P12ihipStream_tbENKUlT_T0_E_clISt17integral_constantIbLb0EESW_IbLb1EEEEDaSS_ST_EUlSS_E0_NS1_11comp_targetILNS1_3genE10ELNS1_11target_archE1200ELNS1_3gpuE4ELNS1_3repE0EEENS1_30default_config_static_selectorELNS0_4arch9wavefront6targetE1EEEvT1_
	.globl	_ZN7rocprim17ROCPRIM_400000_NS6detail17trampoline_kernelINS0_14default_configENS1_20scan_config_selectorItEEZZNS1_9scan_implILNS1_25lookback_scan_determinismE0ELb1ELb1ES3_N6thrust23THRUST_200600_302600_NS6detail15normal_iteratorINS9_10device_ptrItEEEENS9_16discard_iteratorINS9_11use_defaultEEEt11max_functorItEtEEDaPvRmT3_T4_T5_mT6_P12ihipStream_tbENKUlT_T0_E_clISt17integral_constantIbLb0EESW_IbLb1EEEEDaSS_ST_EUlSS_E0_NS1_11comp_targetILNS1_3genE10ELNS1_11target_archE1200ELNS1_3gpuE4ELNS1_3repE0EEENS1_30default_config_static_selectorELNS0_4arch9wavefront6targetE1EEEvT1_
	.p2align	8
	.type	_ZN7rocprim17ROCPRIM_400000_NS6detail17trampoline_kernelINS0_14default_configENS1_20scan_config_selectorItEEZZNS1_9scan_implILNS1_25lookback_scan_determinismE0ELb1ELb1ES3_N6thrust23THRUST_200600_302600_NS6detail15normal_iteratorINS9_10device_ptrItEEEENS9_16discard_iteratorINS9_11use_defaultEEEt11max_functorItEtEEDaPvRmT3_T4_T5_mT6_P12ihipStream_tbENKUlT_T0_E_clISt17integral_constantIbLb0EESW_IbLb1EEEEDaSS_ST_EUlSS_E0_NS1_11comp_targetILNS1_3genE10ELNS1_11target_archE1200ELNS1_3gpuE4ELNS1_3repE0EEENS1_30default_config_static_selectorELNS0_4arch9wavefront6targetE1EEEvT1_,@function
_ZN7rocprim17ROCPRIM_400000_NS6detail17trampoline_kernelINS0_14default_configENS1_20scan_config_selectorItEEZZNS1_9scan_implILNS1_25lookback_scan_determinismE0ELb1ELb1ES3_N6thrust23THRUST_200600_302600_NS6detail15normal_iteratorINS9_10device_ptrItEEEENS9_16discard_iteratorINS9_11use_defaultEEEt11max_functorItEtEEDaPvRmT3_T4_T5_mT6_P12ihipStream_tbENKUlT_T0_E_clISt17integral_constantIbLb0EESW_IbLb1EEEEDaSS_ST_EUlSS_E0_NS1_11comp_targetILNS1_3genE10ELNS1_11target_archE1200ELNS1_3gpuE4ELNS1_3repE0EEENS1_30default_config_static_selectorELNS0_4arch9wavefront6targetE1EEEvT1_: ; @_ZN7rocprim17ROCPRIM_400000_NS6detail17trampoline_kernelINS0_14default_configENS1_20scan_config_selectorItEEZZNS1_9scan_implILNS1_25lookback_scan_determinismE0ELb1ELb1ES3_N6thrust23THRUST_200600_302600_NS6detail15normal_iteratorINS9_10device_ptrItEEEENS9_16discard_iteratorINS9_11use_defaultEEEt11max_functorItEtEEDaPvRmT3_T4_T5_mT6_P12ihipStream_tbENKUlT_T0_E_clISt17integral_constantIbLb0EESW_IbLb1EEEEDaSS_ST_EUlSS_E0_NS1_11comp_targetILNS1_3genE10ELNS1_11target_archE1200ELNS1_3gpuE4ELNS1_3repE0EEENS1_30default_config_static_selectorELNS0_4arch9wavefront6targetE1EEEvT1_
; %bb.0:
	.section	.rodata,"a",@progbits
	.p2align	6, 0x0
	.amdhsa_kernel _ZN7rocprim17ROCPRIM_400000_NS6detail17trampoline_kernelINS0_14default_configENS1_20scan_config_selectorItEEZZNS1_9scan_implILNS1_25lookback_scan_determinismE0ELb1ELb1ES3_N6thrust23THRUST_200600_302600_NS6detail15normal_iteratorINS9_10device_ptrItEEEENS9_16discard_iteratorINS9_11use_defaultEEEt11max_functorItEtEEDaPvRmT3_T4_T5_mT6_P12ihipStream_tbENKUlT_T0_E_clISt17integral_constantIbLb0EESW_IbLb1EEEEDaSS_ST_EUlSS_E0_NS1_11comp_targetILNS1_3genE10ELNS1_11target_archE1200ELNS1_3gpuE4ELNS1_3repE0EEENS1_30default_config_static_selectorELNS0_4arch9wavefront6targetE1EEEvT1_
		.amdhsa_group_segment_fixed_size 0
		.amdhsa_private_segment_fixed_size 0
		.amdhsa_kernarg_size 40
		.amdhsa_user_sgpr_count 6
		.amdhsa_user_sgpr_private_segment_buffer 1
		.amdhsa_user_sgpr_dispatch_ptr 0
		.amdhsa_user_sgpr_queue_ptr 0
		.amdhsa_user_sgpr_kernarg_segment_ptr 1
		.amdhsa_user_sgpr_dispatch_id 0
		.amdhsa_user_sgpr_flat_scratch_init 0
		.amdhsa_user_sgpr_kernarg_preload_length 0
		.amdhsa_user_sgpr_kernarg_preload_offset 0
		.amdhsa_user_sgpr_private_segment_size 0
		.amdhsa_uses_dynamic_stack 0
		.amdhsa_system_sgpr_private_segment_wavefront_offset 0
		.amdhsa_system_sgpr_workgroup_id_x 1
		.amdhsa_system_sgpr_workgroup_id_y 0
		.amdhsa_system_sgpr_workgroup_id_z 0
		.amdhsa_system_sgpr_workgroup_info 0
		.amdhsa_system_vgpr_workitem_id 0
		.amdhsa_next_free_vgpr 1
		.amdhsa_next_free_sgpr 0
		.amdhsa_accum_offset 4
		.amdhsa_reserve_vcc 0
		.amdhsa_reserve_flat_scratch 0
		.amdhsa_float_round_mode_32 0
		.amdhsa_float_round_mode_16_64 0
		.amdhsa_float_denorm_mode_32 3
		.amdhsa_float_denorm_mode_16_64 3
		.amdhsa_dx10_clamp 1
		.amdhsa_ieee_mode 1
		.amdhsa_fp16_overflow 0
		.amdhsa_tg_split 0
		.amdhsa_exception_fp_ieee_invalid_op 0
		.amdhsa_exception_fp_denorm_src 0
		.amdhsa_exception_fp_ieee_div_zero 0
		.amdhsa_exception_fp_ieee_overflow 0
		.amdhsa_exception_fp_ieee_underflow 0
		.amdhsa_exception_fp_ieee_inexact 0
		.amdhsa_exception_int_div_zero 0
	.end_amdhsa_kernel
	.section	.text._ZN7rocprim17ROCPRIM_400000_NS6detail17trampoline_kernelINS0_14default_configENS1_20scan_config_selectorItEEZZNS1_9scan_implILNS1_25lookback_scan_determinismE0ELb1ELb1ES3_N6thrust23THRUST_200600_302600_NS6detail15normal_iteratorINS9_10device_ptrItEEEENS9_16discard_iteratorINS9_11use_defaultEEEt11max_functorItEtEEDaPvRmT3_T4_T5_mT6_P12ihipStream_tbENKUlT_T0_E_clISt17integral_constantIbLb0EESW_IbLb1EEEEDaSS_ST_EUlSS_E0_NS1_11comp_targetILNS1_3genE10ELNS1_11target_archE1200ELNS1_3gpuE4ELNS1_3repE0EEENS1_30default_config_static_selectorELNS0_4arch9wavefront6targetE1EEEvT1_,"axG",@progbits,_ZN7rocprim17ROCPRIM_400000_NS6detail17trampoline_kernelINS0_14default_configENS1_20scan_config_selectorItEEZZNS1_9scan_implILNS1_25lookback_scan_determinismE0ELb1ELb1ES3_N6thrust23THRUST_200600_302600_NS6detail15normal_iteratorINS9_10device_ptrItEEEENS9_16discard_iteratorINS9_11use_defaultEEEt11max_functorItEtEEDaPvRmT3_T4_T5_mT6_P12ihipStream_tbENKUlT_T0_E_clISt17integral_constantIbLb0EESW_IbLb1EEEEDaSS_ST_EUlSS_E0_NS1_11comp_targetILNS1_3genE10ELNS1_11target_archE1200ELNS1_3gpuE4ELNS1_3repE0EEENS1_30default_config_static_selectorELNS0_4arch9wavefront6targetE1EEEvT1_,comdat
.Lfunc_end3707:
	.size	_ZN7rocprim17ROCPRIM_400000_NS6detail17trampoline_kernelINS0_14default_configENS1_20scan_config_selectorItEEZZNS1_9scan_implILNS1_25lookback_scan_determinismE0ELb1ELb1ES3_N6thrust23THRUST_200600_302600_NS6detail15normal_iteratorINS9_10device_ptrItEEEENS9_16discard_iteratorINS9_11use_defaultEEEt11max_functorItEtEEDaPvRmT3_T4_T5_mT6_P12ihipStream_tbENKUlT_T0_E_clISt17integral_constantIbLb0EESW_IbLb1EEEEDaSS_ST_EUlSS_E0_NS1_11comp_targetILNS1_3genE10ELNS1_11target_archE1200ELNS1_3gpuE4ELNS1_3repE0EEENS1_30default_config_static_selectorELNS0_4arch9wavefront6targetE1EEEvT1_, .Lfunc_end3707-_ZN7rocprim17ROCPRIM_400000_NS6detail17trampoline_kernelINS0_14default_configENS1_20scan_config_selectorItEEZZNS1_9scan_implILNS1_25lookback_scan_determinismE0ELb1ELb1ES3_N6thrust23THRUST_200600_302600_NS6detail15normal_iteratorINS9_10device_ptrItEEEENS9_16discard_iteratorINS9_11use_defaultEEEt11max_functorItEtEEDaPvRmT3_T4_T5_mT6_P12ihipStream_tbENKUlT_T0_E_clISt17integral_constantIbLb0EESW_IbLb1EEEEDaSS_ST_EUlSS_E0_NS1_11comp_targetILNS1_3genE10ELNS1_11target_archE1200ELNS1_3gpuE4ELNS1_3repE0EEENS1_30default_config_static_selectorELNS0_4arch9wavefront6targetE1EEEvT1_
                                        ; -- End function
	.section	.AMDGPU.csdata,"",@progbits
; Kernel info:
; codeLenInByte = 0
; NumSgprs: 4
; NumVgprs: 0
; NumAgprs: 0
; TotalNumVgprs: 0
; ScratchSize: 0
; MemoryBound: 0
; FloatMode: 240
; IeeeMode: 1
; LDSByteSize: 0 bytes/workgroup (compile time only)
; SGPRBlocks: 0
; VGPRBlocks: 0
; NumSGPRsForWavesPerEU: 4
; NumVGPRsForWavesPerEU: 1
; AccumOffset: 4
; Occupancy: 8
; WaveLimiterHint : 0
; COMPUTE_PGM_RSRC2:SCRATCH_EN: 0
; COMPUTE_PGM_RSRC2:USER_SGPR: 6
; COMPUTE_PGM_RSRC2:TRAP_HANDLER: 0
; COMPUTE_PGM_RSRC2:TGID_X_EN: 1
; COMPUTE_PGM_RSRC2:TGID_Y_EN: 0
; COMPUTE_PGM_RSRC2:TGID_Z_EN: 0
; COMPUTE_PGM_RSRC2:TIDIG_COMP_CNT: 0
; COMPUTE_PGM_RSRC3_GFX90A:ACCUM_OFFSET: 0
; COMPUTE_PGM_RSRC3_GFX90A:TG_SPLIT: 0
	.section	.text._ZN7rocprim17ROCPRIM_400000_NS6detail17trampoline_kernelINS0_14default_configENS1_20scan_config_selectorItEEZZNS1_9scan_implILNS1_25lookback_scan_determinismE0ELb1ELb1ES3_N6thrust23THRUST_200600_302600_NS6detail15normal_iteratorINS9_10device_ptrItEEEENS9_16discard_iteratorINS9_11use_defaultEEEt11max_functorItEtEEDaPvRmT3_T4_T5_mT6_P12ihipStream_tbENKUlT_T0_E_clISt17integral_constantIbLb0EESW_IbLb1EEEEDaSS_ST_EUlSS_E0_NS1_11comp_targetILNS1_3genE9ELNS1_11target_archE1100ELNS1_3gpuE3ELNS1_3repE0EEENS1_30default_config_static_selectorELNS0_4arch9wavefront6targetE1EEEvT1_,"axG",@progbits,_ZN7rocprim17ROCPRIM_400000_NS6detail17trampoline_kernelINS0_14default_configENS1_20scan_config_selectorItEEZZNS1_9scan_implILNS1_25lookback_scan_determinismE0ELb1ELb1ES3_N6thrust23THRUST_200600_302600_NS6detail15normal_iteratorINS9_10device_ptrItEEEENS9_16discard_iteratorINS9_11use_defaultEEEt11max_functorItEtEEDaPvRmT3_T4_T5_mT6_P12ihipStream_tbENKUlT_T0_E_clISt17integral_constantIbLb0EESW_IbLb1EEEEDaSS_ST_EUlSS_E0_NS1_11comp_targetILNS1_3genE9ELNS1_11target_archE1100ELNS1_3gpuE3ELNS1_3repE0EEENS1_30default_config_static_selectorELNS0_4arch9wavefront6targetE1EEEvT1_,comdat
	.protected	_ZN7rocprim17ROCPRIM_400000_NS6detail17trampoline_kernelINS0_14default_configENS1_20scan_config_selectorItEEZZNS1_9scan_implILNS1_25lookback_scan_determinismE0ELb1ELb1ES3_N6thrust23THRUST_200600_302600_NS6detail15normal_iteratorINS9_10device_ptrItEEEENS9_16discard_iteratorINS9_11use_defaultEEEt11max_functorItEtEEDaPvRmT3_T4_T5_mT6_P12ihipStream_tbENKUlT_T0_E_clISt17integral_constantIbLb0EESW_IbLb1EEEEDaSS_ST_EUlSS_E0_NS1_11comp_targetILNS1_3genE9ELNS1_11target_archE1100ELNS1_3gpuE3ELNS1_3repE0EEENS1_30default_config_static_selectorELNS0_4arch9wavefront6targetE1EEEvT1_ ; -- Begin function _ZN7rocprim17ROCPRIM_400000_NS6detail17trampoline_kernelINS0_14default_configENS1_20scan_config_selectorItEEZZNS1_9scan_implILNS1_25lookback_scan_determinismE0ELb1ELb1ES3_N6thrust23THRUST_200600_302600_NS6detail15normal_iteratorINS9_10device_ptrItEEEENS9_16discard_iteratorINS9_11use_defaultEEEt11max_functorItEtEEDaPvRmT3_T4_T5_mT6_P12ihipStream_tbENKUlT_T0_E_clISt17integral_constantIbLb0EESW_IbLb1EEEEDaSS_ST_EUlSS_E0_NS1_11comp_targetILNS1_3genE9ELNS1_11target_archE1100ELNS1_3gpuE3ELNS1_3repE0EEENS1_30default_config_static_selectorELNS0_4arch9wavefront6targetE1EEEvT1_
	.globl	_ZN7rocprim17ROCPRIM_400000_NS6detail17trampoline_kernelINS0_14default_configENS1_20scan_config_selectorItEEZZNS1_9scan_implILNS1_25lookback_scan_determinismE0ELb1ELb1ES3_N6thrust23THRUST_200600_302600_NS6detail15normal_iteratorINS9_10device_ptrItEEEENS9_16discard_iteratorINS9_11use_defaultEEEt11max_functorItEtEEDaPvRmT3_T4_T5_mT6_P12ihipStream_tbENKUlT_T0_E_clISt17integral_constantIbLb0EESW_IbLb1EEEEDaSS_ST_EUlSS_E0_NS1_11comp_targetILNS1_3genE9ELNS1_11target_archE1100ELNS1_3gpuE3ELNS1_3repE0EEENS1_30default_config_static_selectorELNS0_4arch9wavefront6targetE1EEEvT1_
	.p2align	8
	.type	_ZN7rocprim17ROCPRIM_400000_NS6detail17trampoline_kernelINS0_14default_configENS1_20scan_config_selectorItEEZZNS1_9scan_implILNS1_25lookback_scan_determinismE0ELb1ELb1ES3_N6thrust23THRUST_200600_302600_NS6detail15normal_iteratorINS9_10device_ptrItEEEENS9_16discard_iteratorINS9_11use_defaultEEEt11max_functorItEtEEDaPvRmT3_T4_T5_mT6_P12ihipStream_tbENKUlT_T0_E_clISt17integral_constantIbLb0EESW_IbLb1EEEEDaSS_ST_EUlSS_E0_NS1_11comp_targetILNS1_3genE9ELNS1_11target_archE1100ELNS1_3gpuE3ELNS1_3repE0EEENS1_30default_config_static_selectorELNS0_4arch9wavefront6targetE1EEEvT1_,@function
_ZN7rocprim17ROCPRIM_400000_NS6detail17trampoline_kernelINS0_14default_configENS1_20scan_config_selectorItEEZZNS1_9scan_implILNS1_25lookback_scan_determinismE0ELb1ELb1ES3_N6thrust23THRUST_200600_302600_NS6detail15normal_iteratorINS9_10device_ptrItEEEENS9_16discard_iteratorINS9_11use_defaultEEEt11max_functorItEtEEDaPvRmT3_T4_T5_mT6_P12ihipStream_tbENKUlT_T0_E_clISt17integral_constantIbLb0EESW_IbLb1EEEEDaSS_ST_EUlSS_E0_NS1_11comp_targetILNS1_3genE9ELNS1_11target_archE1100ELNS1_3gpuE3ELNS1_3repE0EEENS1_30default_config_static_selectorELNS0_4arch9wavefront6targetE1EEEvT1_: ; @_ZN7rocprim17ROCPRIM_400000_NS6detail17trampoline_kernelINS0_14default_configENS1_20scan_config_selectorItEEZZNS1_9scan_implILNS1_25lookback_scan_determinismE0ELb1ELb1ES3_N6thrust23THRUST_200600_302600_NS6detail15normal_iteratorINS9_10device_ptrItEEEENS9_16discard_iteratorINS9_11use_defaultEEEt11max_functorItEtEEDaPvRmT3_T4_T5_mT6_P12ihipStream_tbENKUlT_T0_E_clISt17integral_constantIbLb0EESW_IbLb1EEEEDaSS_ST_EUlSS_E0_NS1_11comp_targetILNS1_3genE9ELNS1_11target_archE1100ELNS1_3gpuE3ELNS1_3repE0EEENS1_30default_config_static_selectorELNS0_4arch9wavefront6targetE1EEEvT1_
; %bb.0:
	.section	.rodata,"a",@progbits
	.p2align	6, 0x0
	.amdhsa_kernel _ZN7rocprim17ROCPRIM_400000_NS6detail17trampoline_kernelINS0_14default_configENS1_20scan_config_selectorItEEZZNS1_9scan_implILNS1_25lookback_scan_determinismE0ELb1ELb1ES3_N6thrust23THRUST_200600_302600_NS6detail15normal_iteratorINS9_10device_ptrItEEEENS9_16discard_iteratorINS9_11use_defaultEEEt11max_functorItEtEEDaPvRmT3_T4_T5_mT6_P12ihipStream_tbENKUlT_T0_E_clISt17integral_constantIbLb0EESW_IbLb1EEEEDaSS_ST_EUlSS_E0_NS1_11comp_targetILNS1_3genE9ELNS1_11target_archE1100ELNS1_3gpuE3ELNS1_3repE0EEENS1_30default_config_static_selectorELNS0_4arch9wavefront6targetE1EEEvT1_
		.amdhsa_group_segment_fixed_size 0
		.amdhsa_private_segment_fixed_size 0
		.amdhsa_kernarg_size 40
		.amdhsa_user_sgpr_count 6
		.amdhsa_user_sgpr_private_segment_buffer 1
		.amdhsa_user_sgpr_dispatch_ptr 0
		.amdhsa_user_sgpr_queue_ptr 0
		.amdhsa_user_sgpr_kernarg_segment_ptr 1
		.amdhsa_user_sgpr_dispatch_id 0
		.amdhsa_user_sgpr_flat_scratch_init 0
		.amdhsa_user_sgpr_kernarg_preload_length 0
		.amdhsa_user_sgpr_kernarg_preload_offset 0
		.amdhsa_user_sgpr_private_segment_size 0
		.amdhsa_uses_dynamic_stack 0
		.amdhsa_system_sgpr_private_segment_wavefront_offset 0
		.amdhsa_system_sgpr_workgroup_id_x 1
		.amdhsa_system_sgpr_workgroup_id_y 0
		.amdhsa_system_sgpr_workgroup_id_z 0
		.amdhsa_system_sgpr_workgroup_info 0
		.amdhsa_system_vgpr_workitem_id 0
		.amdhsa_next_free_vgpr 1
		.amdhsa_next_free_sgpr 0
		.amdhsa_accum_offset 4
		.amdhsa_reserve_vcc 0
		.amdhsa_reserve_flat_scratch 0
		.amdhsa_float_round_mode_32 0
		.amdhsa_float_round_mode_16_64 0
		.amdhsa_float_denorm_mode_32 3
		.amdhsa_float_denorm_mode_16_64 3
		.amdhsa_dx10_clamp 1
		.amdhsa_ieee_mode 1
		.amdhsa_fp16_overflow 0
		.amdhsa_tg_split 0
		.amdhsa_exception_fp_ieee_invalid_op 0
		.amdhsa_exception_fp_denorm_src 0
		.amdhsa_exception_fp_ieee_div_zero 0
		.amdhsa_exception_fp_ieee_overflow 0
		.amdhsa_exception_fp_ieee_underflow 0
		.amdhsa_exception_fp_ieee_inexact 0
		.amdhsa_exception_int_div_zero 0
	.end_amdhsa_kernel
	.section	.text._ZN7rocprim17ROCPRIM_400000_NS6detail17trampoline_kernelINS0_14default_configENS1_20scan_config_selectorItEEZZNS1_9scan_implILNS1_25lookback_scan_determinismE0ELb1ELb1ES3_N6thrust23THRUST_200600_302600_NS6detail15normal_iteratorINS9_10device_ptrItEEEENS9_16discard_iteratorINS9_11use_defaultEEEt11max_functorItEtEEDaPvRmT3_T4_T5_mT6_P12ihipStream_tbENKUlT_T0_E_clISt17integral_constantIbLb0EESW_IbLb1EEEEDaSS_ST_EUlSS_E0_NS1_11comp_targetILNS1_3genE9ELNS1_11target_archE1100ELNS1_3gpuE3ELNS1_3repE0EEENS1_30default_config_static_selectorELNS0_4arch9wavefront6targetE1EEEvT1_,"axG",@progbits,_ZN7rocprim17ROCPRIM_400000_NS6detail17trampoline_kernelINS0_14default_configENS1_20scan_config_selectorItEEZZNS1_9scan_implILNS1_25lookback_scan_determinismE0ELb1ELb1ES3_N6thrust23THRUST_200600_302600_NS6detail15normal_iteratorINS9_10device_ptrItEEEENS9_16discard_iteratorINS9_11use_defaultEEEt11max_functorItEtEEDaPvRmT3_T4_T5_mT6_P12ihipStream_tbENKUlT_T0_E_clISt17integral_constantIbLb0EESW_IbLb1EEEEDaSS_ST_EUlSS_E0_NS1_11comp_targetILNS1_3genE9ELNS1_11target_archE1100ELNS1_3gpuE3ELNS1_3repE0EEENS1_30default_config_static_selectorELNS0_4arch9wavefront6targetE1EEEvT1_,comdat
.Lfunc_end3708:
	.size	_ZN7rocprim17ROCPRIM_400000_NS6detail17trampoline_kernelINS0_14default_configENS1_20scan_config_selectorItEEZZNS1_9scan_implILNS1_25lookback_scan_determinismE0ELb1ELb1ES3_N6thrust23THRUST_200600_302600_NS6detail15normal_iteratorINS9_10device_ptrItEEEENS9_16discard_iteratorINS9_11use_defaultEEEt11max_functorItEtEEDaPvRmT3_T4_T5_mT6_P12ihipStream_tbENKUlT_T0_E_clISt17integral_constantIbLb0EESW_IbLb1EEEEDaSS_ST_EUlSS_E0_NS1_11comp_targetILNS1_3genE9ELNS1_11target_archE1100ELNS1_3gpuE3ELNS1_3repE0EEENS1_30default_config_static_selectorELNS0_4arch9wavefront6targetE1EEEvT1_, .Lfunc_end3708-_ZN7rocprim17ROCPRIM_400000_NS6detail17trampoline_kernelINS0_14default_configENS1_20scan_config_selectorItEEZZNS1_9scan_implILNS1_25lookback_scan_determinismE0ELb1ELb1ES3_N6thrust23THRUST_200600_302600_NS6detail15normal_iteratorINS9_10device_ptrItEEEENS9_16discard_iteratorINS9_11use_defaultEEEt11max_functorItEtEEDaPvRmT3_T4_T5_mT6_P12ihipStream_tbENKUlT_T0_E_clISt17integral_constantIbLb0EESW_IbLb1EEEEDaSS_ST_EUlSS_E0_NS1_11comp_targetILNS1_3genE9ELNS1_11target_archE1100ELNS1_3gpuE3ELNS1_3repE0EEENS1_30default_config_static_selectorELNS0_4arch9wavefront6targetE1EEEvT1_
                                        ; -- End function
	.section	.AMDGPU.csdata,"",@progbits
; Kernel info:
; codeLenInByte = 0
; NumSgprs: 4
; NumVgprs: 0
; NumAgprs: 0
; TotalNumVgprs: 0
; ScratchSize: 0
; MemoryBound: 0
; FloatMode: 240
; IeeeMode: 1
; LDSByteSize: 0 bytes/workgroup (compile time only)
; SGPRBlocks: 0
; VGPRBlocks: 0
; NumSGPRsForWavesPerEU: 4
; NumVGPRsForWavesPerEU: 1
; AccumOffset: 4
; Occupancy: 8
; WaveLimiterHint : 0
; COMPUTE_PGM_RSRC2:SCRATCH_EN: 0
; COMPUTE_PGM_RSRC2:USER_SGPR: 6
; COMPUTE_PGM_RSRC2:TRAP_HANDLER: 0
; COMPUTE_PGM_RSRC2:TGID_X_EN: 1
; COMPUTE_PGM_RSRC2:TGID_Y_EN: 0
; COMPUTE_PGM_RSRC2:TGID_Z_EN: 0
; COMPUTE_PGM_RSRC2:TIDIG_COMP_CNT: 0
; COMPUTE_PGM_RSRC3_GFX90A:ACCUM_OFFSET: 0
; COMPUTE_PGM_RSRC3_GFX90A:TG_SPLIT: 0
	.section	.text._ZN7rocprim17ROCPRIM_400000_NS6detail17trampoline_kernelINS0_14default_configENS1_20scan_config_selectorItEEZZNS1_9scan_implILNS1_25lookback_scan_determinismE0ELb1ELb1ES3_N6thrust23THRUST_200600_302600_NS6detail15normal_iteratorINS9_10device_ptrItEEEENS9_16discard_iteratorINS9_11use_defaultEEEt11max_functorItEtEEDaPvRmT3_T4_T5_mT6_P12ihipStream_tbENKUlT_T0_E_clISt17integral_constantIbLb0EESW_IbLb1EEEEDaSS_ST_EUlSS_E0_NS1_11comp_targetILNS1_3genE8ELNS1_11target_archE1030ELNS1_3gpuE2ELNS1_3repE0EEENS1_30default_config_static_selectorELNS0_4arch9wavefront6targetE1EEEvT1_,"axG",@progbits,_ZN7rocprim17ROCPRIM_400000_NS6detail17trampoline_kernelINS0_14default_configENS1_20scan_config_selectorItEEZZNS1_9scan_implILNS1_25lookback_scan_determinismE0ELb1ELb1ES3_N6thrust23THRUST_200600_302600_NS6detail15normal_iteratorINS9_10device_ptrItEEEENS9_16discard_iteratorINS9_11use_defaultEEEt11max_functorItEtEEDaPvRmT3_T4_T5_mT6_P12ihipStream_tbENKUlT_T0_E_clISt17integral_constantIbLb0EESW_IbLb1EEEEDaSS_ST_EUlSS_E0_NS1_11comp_targetILNS1_3genE8ELNS1_11target_archE1030ELNS1_3gpuE2ELNS1_3repE0EEENS1_30default_config_static_selectorELNS0_4arch9wavefront6targetE1EEEvT1_,comdat
	.protected	_ZN7rocprim17ROCPRIM_400000_NS6detail17trampoline_kernelINS0_14default_configENS1_20scan_config_selectorItEEZZNS1_9scan_implILNS1_25lookback_scan_determinismE0ELb1ELb1ES3_N6thrust23THRUST_200600_302600_NS6detail15normal_iteratorINS9_10device_ptrItEEEENS9_16discard_iteratorINS9_11use_defaultEEEt11max_functorItEtEEDaPvRmT3_T4_T5_mT6_P12ihipStream_tbENKUlT_T0_E_clISt17integral_constantIbLb0EESW_IbLb1EEEEDaSS_ST_EUlSS_E0_NS1_11comp_targetILNS1_3genE8ELNS1_11target_archE1030ELNS1_3gpuE2ELNS1_3repE0EEENS1_30default_config_static_selectorELNS0_4arch9wavefront6targetE1EEEvT1_ ; -- Begin function _ZN7rocprim17ROCPRIM_400000_NS6detail17trampoline_kernelINS0_14default_configENS1_20scan_config_selectorItEEZZNS1_9scan_implILNS1_25lookback_scan_determinismE0ELb1ELb1ES3_N6thrust23THRUST_200600_302600_NS6detail15normal_iteratorINS9_10device_ptrItEEEENS9_16discard_iteratorINS9_11use_defaultEEEt11max_functorItEtEEDaPvRmT3_T4_T5_mT6_P12ihipStream_tbENKUlT_T0_E_clISt17integral_constantIbLb0EESW_IbLb1EEEEDaSS_ST_EUlSS_E0_NS1_11comp_targetILNS1_3genE8ELNS1_11target_archE1030ELNS1_3gpuE2ELNS1_3repE0EEENS1_30default_config_static_selectorELNS0_4arch9wavefront6targetE1EEEvT1_
	.globl	_ZN7rocprim17ROCPRIM_400000_NS6detail17trampoline_kernelINS0_14default_configENS1_20scan_config_selectorItEEZZNS1_9scan_implILNS1_25lookback_scan_determinismE0ELb1ELb1ES3_N6thrust23THRUST_200600_302600_NS6detail15normal_iteratorINS9_10device_ptrItEEEENS9_16discard_iteratorINS9_11use_defaultEEEt11max_functorItEtEEDaPvRmT3_T4_T5_mT6_P12ihipStream_tbENKUlT_T0_E_clISt17integral_constantIbLb0EESW_IbLb1EEEEDaSS_ST_EUlSS_E0_NS1_11comp_targetILNS1_3genE8ELNS1_11target_archE1030ELNS1_3gpuE2ELNS1_3repE0EEENS1_30default_config_static_selectorELNS0_4arch9wavefront6targetE1EEEvT1_
	.p2align	8
	.type	_ZN7rocprim17ROCPRIM_400000_NS6detail17trampoline_kernelINS0_14default_configENS1_20scan_config_selectorItEEZZNS1_9scan_implILNS1_25lookback_scan_determinismE0ELb1ELb1ES3_N6thrust23THRUST_200600_302600_NS6detail15normal_iteratorINS9_10device_ptrItEEEENS9_16discard_iteratorINS9_11use_defaultEEEt11max_functorItEtEEDaPvRmT3_T4_T5_mT6_P12ihipStream_tbENKUlT_T0_E_clISt17integral_constantIbLb0EESW_IbLb1EEEEDaSS_ST_EUlSS_E0_NS1_11comp_targetILNS1_3genE8ELNS1_11target_archE1030ELNS1_3gpuE2ELNS1_3repE0EEENS1_30default_config_static_selectorELNS0_4arch9wavefront6targetE1EEEvT1_,@function
_ZN7rocprim17ROCPRIM_400000_NS6detail17trampoline_kernelINS0_14default_configENS1_20scan_config_selectorItEEZZNS1_9scan_implILNS1_25lookback_scan_determinismE0ELb1ELb1ES3_N6thrust23THRUST_200600_302600_NS6detail15normal_iteratorINS9_10device_ptrItEEEENS9_16discard_iteratorINS9_11use_defaultEEEt11max_functorItEtEEDaPvRmT3_T4_T5_mT6_P12ihipStream_tbENKUlT_T0_E_clISt17integral_constantIbLb0EESW_IbLb1EEEEDaSS_ST_EUlSS_E0_NS1_11comp_targetILNS1_3genE8ELNS1_11target_archE1030ELNS1_3gpuE2ELNS1_3repE0EEENS1_30default_config_static_selectorELNS0_4arch9wavefront6targetE1EEEvT1_: ; @_ZN7rocprim17ROCPRIM_400000_NS6detail17trampoline_kernelINS0_14default_configENS1_20scan_config_selectorItEEZZNS1_9scan_implILNS1_25lookback_scan_determinismE0ELb1ELb1ES3_N6thrust23THRUST_200600_302600_NS6detail15normal_iteratorINS9_10device_ptrItEEEENS9_16discard_iteratorINS9_11use_defaultEEEt11max_functorItEtEEDaPvRmT3_T4_T5_mT6_P12ihipStream_tbENKUlT_T0_E_clISt17integral_constantIbLb0EESW_IbLb1EEEEDaSS_ST_EUlSS_E0_NS1_11comp_targetILNS1_3genE8ELNS1_11target_archE1030ELNS1_3gpuE2ELNS1_3repE0EEENS1_30default_config_static_selectorELNS0_4arch9wavefront6targetE1EEEvT1_
; %bb.0:
	.section	.rodata,"a",@progbits
	.p2align	6, 0x0
	.amdhsa_kernel _ZN7rocprim17ROCPRIM_400000_NS6detail17trampoline_kernelINS0_14default_configENS1_20scan_config_selectorItEEZZNS1_9scan_implILNS1_25lookback_scan_determinismE0ELb1ELb1ES3_N6thrust23THRUST_200600_302600_NS6detail15normal_iteratorINS9_10device_ptrItEEEENS9_16discard_iteratorINS9_11use_defaultEEEt11max_functorItEtEEDaPvRmT3_T4_T5_mT6_P12ihipStream_tbENKUlT_T0_E_clISt17integral_constantIbLb0EESW_IbLb1EEEEDaSS_ST_EUlSS_E0_NS1_11comp_targetILNS1_3genE8ELNS1_11target_archE1030ELNS1_3gpuE2ELNS1_3repE0EEENS1_30default_config_static_selectorELNS0_4arch9wavefront6targetE1EEEvT1_
		.amdhsa_group_segment_fixed_size 0
		.amdhsa_private_segment_fixed_size 0
		.amdhsa_kernarg_size 40
		.amdhsa_user_sgpr_count 6
		.amdhsa_user_sgpr_private_segment_buffer 1
		.amdhsa_user_sgpr_dispatch_ptr 0
		.amdhsa_user_sgpr_queue_ptr 0
		.amdhsa_user_sgpr_kernarg_segment_ptr 1
		.amdhsa_user_sgpr_dispatch_id 0
		.amdhsa_user_sgpr_flat_scratch_init 0
		.amdhsa_user_sgpr_kernarg_preload_length 0
		.amdhsa_user_sgpr_kernarg_preload_offset 0
		.amdhsa_user_sgpr_private_segment_size 0
		.amdhsa_uses_dynamic_stack 0
		.amdhsa_system_sgpr_private_segment_wavefront_offset 0
		.amdhsa_system_sgpr_workgroup_id_x 1
		.amdhsa_system_sgpr_workgroup_id_y 0
		.amdhsa_system_sgpr_workgroup_id_z 0
		.amdhsa_system_sgpr_workgroup_info 0
		.amdhsa_system_vgpr_workitem_id 0
		.amdhsa_next_free_vgpr 1
		.amdhsa_next_free_sgpr 0
		.amdhsa_accum_offset 4
		.amdhsa_reserve_vcc 0
		.amdhsa_reserve_flat_scratch 0
		.amdhsa_float_round_mode_32 0
		.amdhsa_float_round_mode_16_64 0
		.amdhsa_float_denorm_mode_32 3
		.amdhsa_float_denorm_mode_16_64 3
		.amdhsa_dx10_clamp 1
		.amdhsa_ieee_mode 1
		.amdhsa_fp16_overflow 0
		.amdhsa_tg_split 0
		.amdhsa_exception_fp_ieee_invalid_op 0
		.amdhsa_exception_fp_denorm_src 0
		.amdhsa_exception_fp_ieee_div_zero 0
		.amdhsa_exception_fp_ieee_overflow 0
		.amdhsa_exception_fp_ieee_underflow 0
		.amdhsa_exception_fp_ieee_inexact 0
		.amdhsa_exception_int_div_zero 0
	.end_amdhsa_kernel
	.section	.text._ZN7rocprim17ROCPRIM_400000_NS6detail17trampoline_kernelINS0_14default_configENS1_20scan_config_selectorItEEZZNS1_9scan_implILNS1_25lookback_scan_determinismE0ELb1ELb1ES3_N6thrust23THRUST_200600_302600_NS6detail15normal_iteratorINS9_10device_ptrItEEEENS9_16discard_iteratorINS9_11use_defaultEEEt11max_functorItEtEEDaPvRmT3_T4_T5_mT6_P12ihipStream_tbENKUlT_T0_E_clISt17integral_constantIbLb0EESW_IbLb1EEEEDaSS_ST_EUlSS_E0_NS1_11comp_targetILNS1_3genE8ELNS1_11target_archE1030ELNS1_3gpuE2ELNS1_3repE0EEENS1_30default_config_static_selectorELNS0_4arch9wavefront6targetE1EEEvT1_,"axG",@progbits,_ZN7rocprim17ROCPRIM_400000_NS6detail17trampoline_kernelINS0_14default_configENS1_20scan_config_selectorItEEZZNS1_9scan_implILNS1_25lookback_scan_determinismE0ELb1ELb1ES3_N6thrust23THRUST_200600_302600_NS6detail15normal_iteratorINS9_10device_ptrItEEEENS9_16discard_iteratorINS9_11use_defaultEEEt11max_functorItEtEEDaPvRmT3_T4_T5_mT6_P12ihipStream_tbENKUlT_T0_E_clISt17integral_constantIbLb0EESW_IbLb1EEEEDaSS_ST_EUlSS_E0_NS1_11comp_targetILNS1_3genE8ELNS1_11target_archE1030ELNS1_3gpuE2ELNS1_3repE0EEENS1_30default_config_static_selectorELNS0_4arch9wavefront6targetE1EEEvT1_,comdat
.Lfunc_end3709:
	.size	_ZN7rocprim17ROCPRIM_400000_NS6detail17trampoline_kernelINS0_14default_configENS1_20scan_config_selectorItEEZZNS1_9scan_implILNS1_25lookback_scan_determinismE0ELb1ELb1ES3_N6thrust23THRUST_200600_302600_NS6detail15normal_iteratorINS9_10device_ptrItEEEENS9_16discard_iteratorINS9_11use_defaultEEEt11max_functorItEtEEDaPvRmT3_T4_T5_mT6_P12ihipStream_tbENKUlT_T0_E_clISt17integral_constantIbLb0EESW_IbLb1EEEEDaSS_ST_EUlSS_E0_NS1_11comp_targetILNS1_3genE8ELNS1_11target_archE1030ELNS1_3gpuE2ELNS1_3repE0EEENS1_30default_config_static_selectorELNS0_4arch9wavefront6targetE1EEEvT1_, .Lfunc_end3709-_ZN7rocprim17ROCPRIM_400000_NS6detail17trampoline_kernelINS0_14default_configENS1_20scan_config_selectorItEEZZNS1_9scan_implILNS1_25lookback_scan_determinismE0ELb1ELb1ES3_N6thrust23THRUST_200600_302600_NS6detail15normal_iteratorINS9_10device_ptrItEEEENS9_16discard_iteratorINS9_11use_defaultEEEt11max_functorItEtEEDaPvRmT3_T4_T5_mT6_P12ihipStream_tbENKUlT_T0_E_clISt17integral_constantIbLb0EESW_IbLb1EEEEDaSS_ST_EUlSS_E0_NS1_11comp_targetILNS1_3genE8ELNS1_11target_archE1030ELNS1_3gpuE2ELNS1_3repE0EEENS1_30default_config_static_selectorELNS0_4arch9wavefront6targetE1EEEvT1_
                                        ; -- End function
	.section	.AMDGPU.csdata,"",@progbits
; Kernel info:
; codeLenInByte = 0
; NumSgprs: 4
; NumVgprs: 0
; NumAgprs: 0
; TotalNumVgprs: 0
; ScratchSize: 0
; MemoryBound: 0
; FloatMode: 240
; IeeeMode: 1
; LDSByteSize: 0 bytes/workgroup (compile time only)
; SGPRBlocks: 0
; VGPRBlocks: 0
; NumSGPRsForWavesPerEU: 4
; NumVGPRsForWavesPerEU: 1
; AccumOffset: 4
; Occupancy: 8
; WaveLimiterHint : 0
; COMPUTE_PGM_RSRC2:SCRATCH_EN: 0
; COMPUTE_PGM_RSRC2:USER_SGPR: 6
; COMPUTE_PGM_RSRC2:TRAP_HANDLER: 0
; COMPUTE_PGM_RSRC2:TGID_X_EN: 1
; COMPUTE_PGM_RSRC2:TGID_Y_EN: 0
; COMPUTE_PGM_RSRC2:TGID_Z_EN: 0
; COMPUTE_PGM_RSRC2:TIDIG_COMP_CNT: 0
; COMPUTE_PGM_RSRC3_GFX90A:ACCUM_OFFSET: 0
; COMPUTE_PGM_RSRC3_GFX90A:TG_SPLIT: 0
	.section	.text._ZN7rocprim17ROCPRIM_400000_NS6detail17trampoline_kernelINS0_14default_configENS1_20scan_config_selectorIxEEZZNS1_9scan_implILNS1_25lookback_scan_determinismE0ELb0ELb0ES3_N6thrust23THRUST_200600_302600_NS6detail15normal_iteratorINS9_10device_ptrIxEEEENS9_16discard_iteratorINS9_11use_defaultEEEx11max_functorIxExEEDaPvRmT3_T4_T5_mT6_P12ihipStream_tbENKUlT_T0_E_clISt17integral_constantIbLb0EESX_EEDaSS_ST_EUlSS_E_NS1_11comp_targetILNS1_3genE0ELNS1_11target_archE4294967295ELNS1_3gpuE0ELNS1_3repE0EEENS1_30default_config_static_selectorELNS0_4arch9wavefront6targetE1EEEvT1_,"axG",@progbits,_ZN7rocprim17ROCPRIM_400000_NS6detail17trampoline_kernelINS0_14default_configENS1_20scan_config_selectorIxEEZZNS1_9scan_implILNS1_25lookback_scan_determinismE0ELb0ELb0ES3_N6thrust23THRUST_200600_302600_NS6detail15normal_iteratorINS9_10device_ptrIxEEEENS9_16discard_iteratorINS9_11use_defaultEEEx11max_functorIxExEEDaPvRmT3_T4_T5_mT6_P12ihipStream_tbENKUlT_T0_E_clISt17integral_constantIbLb0EESX_EEDaSS_ST_EUlSS_E_NS1_11comp_targetILNS1_3genE0ELNS1_11target_archE4294967295ELNS1_3gpuE0ELNS1_3repE0EEENS1_30default_config_static_selectorELNS0_4arch9wavefront6targetE1EEEvT1_,comdat
	.protected	_ZN7rocprim17ROCPRIM_400000_NS6detail17trampoline_kernelINS0_14default_configENS1_20scan_config_selectorIxEEZZNS1_9scan_implILNS1_25lookback_scan_determinismE0ELb0ELb0ES3_N6thrust23THRUST_200600_302600_NS6detail15normal_iteratorINS9_10device_ptrIxEEEENS9_16discard_iteratorINS9_11use_defaultEEEx11max_functorIxExEEDaPvRmT3_T4_T5_mT6_P12ihipStream_tbENKUlT_T0_E_clISt17integral_constantIbLb0EESX_EEDaSS_ST_EUlSS_E_NS1_11comp_targetILNS1_3genE0ELNS1_11target_archE4294967295ELNS1_3gpuE0ELNS1_3repE0EEENS1_30default_config_static_selectorELNS0_4arch9wavefront6targetE1EEEvT1_ ; -- Begin function _ZN7rocprim17ROCPRIM_400000_NS6detail17trampoline_kernelINS0_14default_configENS1_20scan_config_selectorIxEEZZNS1_9scan_implILNS1_25lookback_scan_determinismE0ELb0ELb0ES3_N6thrust23THRUST_200600_302600_NS6detail15normal_iteratorINS9_10device_ptrIxEEEENS9_16discard_iteratorINS9_11use_defaultEEEx11max_functorIxExEEDaPvRmT3_T4_T5_mT6_P12ihipStream_tbENKUlT_T0_E_clISt17integral_constantIbLb0EESX_EEDaSS_ST_EUlSS_E_NS1_11comp_targetILNS1_3genE0ELNS1_11target_archE4294967295ELNS1_3gpuE0ELNS1_3repE0EEENS1_30default_config_static_selectorELNS0_4arch9wavefront6targetE1EEEvT1_
	.globl	_ZN7rocprim17ROCPRIM_400000_NS6detail17trampoline_kernelINS0_14default_configENS1_20scan_config_selectorIxEEZZNS1_9scan_implILNS1_25lookback_scan_determinismE0ELb0ELb0ES3_N6thrust23THRUST_200600_302600_NS6detail15normal_iteratorINS9_10device_ptrIxEEEENS9_16discard_iteratorINS9_11use_defaultEEEx11max_functorIxExEEDaPvRmT3_T4_T5_mT6_P12ihipStream_tbENKUlT_T0_E_clISt17integral_constantIbLb0EESX_EEDaSS_ST_EUlSS_E_NS1_11comp_targetILNS1_3genE0ELNS1_11target_archE4294967295ELNS1_3gpuE0ELNS1_3repE0EEENS1_30default_config_static_selectorELNS0_4arch9wavefront6targetE1EEEvT1_
	.p2align	8
	.type	_ZN7rocprim17ROCPRIM_400000_NS6detail17trampoline_kernelINS0_14default_configENS1_20scan_config_selectorIxEEZZNS1_9scan_implILNS1_25lookback_scan_determinismE0ELb0ELb0ES3_N6thrust23THRUST_200600_302600_NS6detail15normal_iteratorINS9_10device_ptrIxEEEENS9_16discard_iteratorINS9_11use_defaultEEEx11max_functorIxExEEDaPvRmT3_T4_T5_mT6_P12ihipStream_tbENKUlT_T0_E_clISt17integral_constantIbLb0EESX_EEDaSS_ST_EUlSS_E_NS1_11comp_targetILNS1_3genE0ELNS1_11target_archE4294967295ELNS1_3gpuE0ELNS1_3repE0EEENS1_30default_config_static_selectorELNS0_4arch9wavefront6targetE1EEEvT1_,@function
_ZN7rocprim17ROCPRIM_400000_NS6detail17trampoline_kernelINS0_14default_configENS1_20scan_config_selectorIxEEZZNS1_9scan_implILNS1_25lookback_scan_determinismE0ELb0ELb0ES3_N6thrust23THRUST_200600_302600_NS6detail15normal_iteratorINS9_10device_ptrIxEEEENS9_16discard_iteratorINS9_11use_defaultEEEx11max_functorIxExEEDaPvRmT3_T4_T5_mT6_P12ihipStream_tbENKUlT_T0_E_clISt17integral_constantIbLb0EESX_EEDaSS_ST_EUlSS_E_NS1_11comp_targetILNS1_3genE0ELNS1_11target_archE4294967295ELNS1_3gpuE0ELNS1_3repE0EEENS1_30default_config_static_selectorELNS0_4arch9wavefront6targetE1EEEvT1_: ; @_ZN7rocprim17ROCPRIM_400000_NS6detail17trampoline_kernelINS0_14default_configENS1_20scan_config_selectorIxEEZZNS1_9scan_implILNS1_25lookback_scan_determinismE0ELb0ELb0ES3_N6thrust23THRUST_200600_302600_NS6detail15normal_iteratorINS9_10device_ptrIxEEEENS9_16discard_iteratorINS9_11use_defaultEEEx11max_functorIxExEEDaPvRmT3_T4_T5_mT6_P12ihipStream_tbENKUlT_T0_E_clISt17integral_constantIbLb0EESX_EEDaSS_ST_EUlSS_E_NS1_11comp_targetILNS1_3genE0ELNS1_11target_archE4294967295ELNS1_3gpuE0ELNS1_3repE0EEENS1_30default_config_static_selectorELNS0_4arch9wavefront6targetE1EEEvT1_
; %bb.0:
	.section	.rodata,"a",@progbits
	.p2align	6, 0x0
	.amdhsa_kernel _ZN7rocprim17ROCPRIM_400000_NS6detail17trampoline_kernelINS0_14default_configENS1_20scan_config_selectorIxEEZZNS1_9scan_implILNS1_25lookback_scan_determinismE0ELb0ELb0ES3_N6thrust23THRUST_200600_302600_NS6detail15normal_iteratorINS9_10device_ptrIxEEEENS9_16discard_iteratorINS9_11use_defaultEEEx11max_functorIxExEEDaPvRmT3_T4_T5_mT6_P12ihipStream_tbENKUlT_T0_E_clISt17integral_constantIbLb0EESX_EEDaSS_ST_EUlSS_E_NS1_11comp_targetILNS1_3genE0ELNS1_11target_archE4294967295ELNS1_3gpuE0ELNS1_3repE0EEENS1_30default_config_static_selectorELNS0_4arch9wavefront6targetE1EEEvT1_
		.amdhsa_group_segment_fixed_size 0
		.amdhsa_private_segment_fixed_size 0
		.amdhsa_kernarg_size 112
		.amdhsa_user_sgpr_count 6
		.amdhsa_user_sgpr_private_segment_buffer 1
		.amdhsa_user_sgpr_dispatch_ptr 0
		.amdhsa_user_sgpr_queue_ptr 0
		.amdhsa_user_sgpr_kernarg_segment_ptr 1
		.amdhsa_user_sgpr_dispatch_id 0
		.amdhsa_user_sgpr_flat_scratch_init 0
		.amdhsa_user_sgpr_kernarg_preload_length 0
		.amdhsa_user_sgpr_kernarg_preload_offset 0
		.amdhsa_user_sgpr_private_segment_size 0
		.amdhsa_uses_dynamic_stack 0
		.amdhsa_system_sgpr_private_segment_wavefront_offset 0
		.amdhsa_system_sgpr_workgroup_id_x 1
		.amdhsa_system_sgpr_workgroup_id_y 0
		.amdhsa_system_sgpr_workgroup_id_z 0
		.amdhsa_system_sgpr_workgroup_info 0
		.amdhsa_system_vgpr_workitem_id 0
		.amdhsa_next_free_vgpr 1
		.amdhsa_next_free_sgpr 0
		.amdhsa_accum_offset 4
		.amdhsa_reserve_vcc 0
		.amdhsa_reserve_flat_scratch 0
		.amdhsa_float_round_mode_32 0
		.amdhsa_float_round_mode_16_64 0
		.amdhsa_float_denorm_mode_32 3
		.amdhsa_float_denorm_mode_16_64 3
		.amdhsa_dx10_clamp 1
		.amdhsa_ieee_mode 1
		.amdhsa_fp16_overflow 0
		.amdhsa_tg_split 0
		.amdhsa_exception_fp_ieee_invalid_op 0
		.amdhsa_exception_fp_denorm_src 0
		.amdhsa_exception_fp_ieee_div_zero 0
		.amdhsa_exception_fp_ieee_overflow 0
		.amdhsa_exception_fp_ieee_underflow 0
		.amdhsa_exception_fp_ieee_inexact 0
		.amdhsa_exception_int_div_zero 0
	.end_amdhsa_kernel
	.section	.text._ZN7rocprim17ROCPRIM_400000_NS6detail17trampoline_kernelINS0_14default_configENS1_20scan_config_selectorIxEEZZNS1_9scan_implILNS1_25lookback_scan_determinismE0ELb0ELb0ES3_N6thrust23THRUST_200600_302600_NS6detail15normal_iteratorINS9_10device_ptrIxEEEENS9_16discard_iteratorINS9_11use_defaultEEEx11max_functorIxExEEDaPvRmT3_T4_T5_mT6_P12ihipStream_tbENKUlT_T0_E_clISt17integral_constantIbLb0EESX_EEDaSS_ST_EUlSS_E_NS1_11comp_targetILNS1_3genE0ELNS1_11target_archE4294967295ELNS1_3gpuE0ELNS1_3repE0EEENS1_30default_config_static_selectorELNS0_4arch9wavefront6targetE1EEEvT1_,"axG",@progbits,_ZN7rocprim17ROCPRIM_400000_NS6detail17trampoline_kernelINS0_14default_configENS1_20scan_config_selectorIxEEZZNS1_9scan_implILNS1_25lookback_scan_determinismE0ELb0ELb0ES3_N6thrust23THRUST_200600_302600_NS6detail15normal_iteratorINS9_10device_ptrIxEEEENS9_16discard_iteratorINS9_11use_defaultEEEx11max_functorIxExEEDaPvRmT3_T4_T5_mT6_P12ihipStream_tbENKUlT_T0_E_clISt17integral_constantIbLb0EESX_EEDaSS_ST_EUlSS_E_NS1_11comp_targetILNS1_3genE0ELNS1_11target_archE4294967295ELNS1_3gpuE0ELNS1_3repE0EEENS1_30default_config_static_selectorELNS0_4arch9wavefront6targetE1EEEvT1_,comdat
.Lfunc_end3710:
	.size	_ZN7rocprim17ROCPRIM_400000_NS6detail17trampoline_kernelINS0_14default_configENS1_20scan_config_selectorIxEEZZNS1_9scan_implILNS1_25lookback_scan_determinismE0ELb0ELb0ES3_N6thrust23THRUST_200600_302600_NS6detail15normal_iteratorINS9_10device_ptrIxEEEENS9_16discard_iteratorINS9_11use_defaultEEEx11max_functorIxExEEDaPvRmT3_T4_T5_mT6_P12ihipStream_tbENKUlT_T0_E_clISt17integral_constantIbLb0EESX_EEDaSS_ST_EUlSS_E_NS1_11comp_targetILNS1_3genE0ELNS1_11target_archE4294967295ELNS1_3gpuE0ELNS1_3repE0EEENS1_30default_config_static_selectorELNS0_4arch9wavefront6targetE1EEEvT1_, .Lfunc_end3710-_ZN7rocprim17ROCPRIM_400000_NS6detail17trampoline_kernelINS0_14default_configENS1_20scan_config_selectorIxEEZZNS1_9scan_implILNS1_25lookback_scan_determinismE0ELb0ELb0ES3_N6thrust23THRUST_200600_302600_NS6detail15normal_iteratorINS9_10device_ptrIxEEEENS9_16discard_iteratorINS9_11use_defaultEEEx11max_functorIxExEEDaPvRmT3_T4_T5_mT6_P12ihipStream_tbENKUlT_T0_E_clISt17integral_constantIbLb0EESX_EEDaSS_ST_EUlSS_E_NS1_11comp_targetILNS1_3genE0ELNS1_11target_archE4294967295ELNS1_3gpuE0ELNS1_3repE0EEENS1_30default_config_static_selectorELNS0_4arch9wavefront6targetE1EEEvT1_
                                        ; -- End function
	.section	.AMDGPU.csdata,"",@progbits
; Kernel info:
; codeLenInByte = 0
; NumSgprs: 4
; NumVgprs: 0
; NumAgprs: 0
; TotalNumVgprs: 0
; ScratchSize: 0
; MemoryBound: 0
; FloatMode: 240
; IeeeMode: 1
; LDSByteSize: 0 bytes/workgroup (compile time only)
; SGPRBlocks: 0
; VGPRBlocks: 0
; NumSGPRsForWavesPerEU: 4
; NumVGPRsForWavesPerEU: 1
; AccumOffset: 4
; Occupancy: 8
; WaveLimiterHint : 0
; COMPUTE_PGM_RSRC2:SCRATCH_EN: 0
; COMPUTE_PGM_RSRC2:USER_SGPR: 6
; COMPUTE_PGM_RSRC2:TRAP_HANDLER: 0
; COMPUTE_PGM_RSRC2:TGID_X_EN: 1
; COMPUTE_PGM_RSRC2:TGID_Y_EN: 0
; COMPUTE_PGM_RSRC2:TGID_Z_EN: 0
; COMPUTE_PGM_RSRC2:TIDIG_COMP_CNT: 0
; COMPUTE_PGM_RSRC3_GFX90A:ACCUM_OFFSET: 0
; COMPUTE_PGM_RSRC3_GFX90A:TG_SPLIT: 0
	.section	.text._ZN7rocprim17ROCPRIM_400000_NS6detail17trampoline_kernelINS0_14default_configENS1_20scan_config_selectorIxEEZZNS1_9scan_implILNS1_25lookback_scan_determinismE0ELb0ELb0ES3_N6thrust23THRUST_200600_302600_NS6detail15normal_iteratorINS9_10device_ptrIxEEEENS9_16discard_iteratorINS9_11use_defaultEEEx11max_functorIxExEEDaPvRmT3_T4_T5_mT6_P12ihipStream_tbENKUlT_T0_E_clISt17integral_constantIbLb0EESX_EEDaSS_ST_EUlSS_E_NS1_11comp_targetILNS1_3genE5ELNS1_11target_archE942ELNS1_3gpuE9ELNS1_3repE0EEENS1_30default_config_static_selectorELNS0_4arch9wavefront6targetE1EEEvT1_,"axG",@progbits,_ZN7rocprim17ROCPRIM_400000_NS6detail17trampoline_kernelINS0_14default_configENS1_20scan_config_selectorIxEEZZNS1_9scan_implILNS1_25lookback_scan_determinismE0ELb0ELb0ES3_N6thrust23THRUST_200600_302600_NS6detail15normal_iteratorINS9_10device_ptrIxEEEENS9_16discard_iteratorINS9_11use_defaultEEEx11max_functorIxExEEDaPvRmT3_T4_T5_mT6_P12ihipStream_tbENKUlT_T0_E_clISt17integral_constantIbLb0EESX_EEDaSS_ST_EUlSS_E_NS1_11comp_targetILNS1_3genE5ELNS1_11target_archE942ELNS1_3gpuE9ELNS1_3repE0EEENS1_30default_config_static_selectorELNS0_4arch9wavefront6targetE1EEEvT1_,comdat
	.protected	_ZN7rocprim17ROCPRIM_400000_NS6detail17trampoline_kernelINS0_14default_configENS1_20scan_config_selectorIxEEZZNS1_9scan_implILNS1_25lookback_scan_determinismE0ELb0ELb0ES3_N6thrust23THRUST_200600_302600_NS6detail15normal_iteratorINS9_10device_ptrIxEEEENS9_16discard_iteratorINS9_11use_defaultEEEx11max_functorIxExEEDaPvRmT3_T4_T5_mT6_P12ihipStream_tbENKUlT_T0_E_clISt17integral_constantIbLb0EESX_EEDaSS_ST_EUlSS_E_NS1_11comp_targetILNS1_3genE5ELNS1_11target_archE942ELNS1_3gpuE9ELNS1_3repE0EEENS1_30default_config_static_selectorELNS0_4arch9wavefront6targetE1EEEvT1_ ; -- Begin function _ZN7rocprim17ROCPRIM_400000_NS6detail17trampoline_kernelINS0_14default_configENS1_20scan_config_selectorIxEEZZNS1_9scan_implILNS1_25lookback_scan_determinismE0ELb0ELb0ES3_N6thrust23THRUST_200600_302600_NS6detail15normal_iteratorINS9_10device_ptrIxEEEENS9_16discard_iteratorINS9_11use_defaultEEEx11max_functorIxExEEDaPvRmT3_T4_T5_mT6_P12ihipStream_tbENKUlT_T0_E_clISt17integral_constantIbLb0EESX_EEDaSS_ST_EUlSS_E_NS1_11comp_targetILNS1_3genE5ELNS1_11target_archE942ELNS1_3gpuE9ELNS1_3repE0EEENS1_30default_config_static_selectorELNS0_4arch9wavefront6targetE1EEEvT1_
	.globl	_ZN7rocprim17ROCPRIM_400000_NS6detail17trampoline_kernelINS0_14default_configENS1_20scan_config_selectorIxEEZZNS1_9scan_implILNS1_25lookback_scan_determinismE0ELb0ELb0ES3_N6thrust23THRUST_200600_302600_NS6detail15normal_iteratorINS9_10device_ptrIxEEEENS9_16discard_iteratorINS9_11use_defaultEEEx11max_functorIxExEEDaPvRmT3_T4_T5_mT6_P12ihipStream_tbENKUlT_T0_E_clISt17integral_constantIbLb0EESX_EEDaSS_ST_EUlSS_E_NS1_11comp_targetILNS1_3genE5ELNS1_11target_archE942ELNS1_3gpuE9ELNS1_3repE0EEENS1_30default_config_static_selectorELNS0_4arch9wavefront6targetE1EEEvT1_
	.p2align	8
	.type	_ZN7rocprim17ROCPRIM_400000_NS6detail17trampoline_kernelINS0_14default_configENS1_20scan_config_selectorIxEEZZNS1_9scan_implILNS1_25lookback_scan_determinismE0ELb0ELb0ES3_N6thrust23THRUST_200600_302600_NS6detail15normal_iteratorINS9_10device_ptrIxEEEENS9_16discard_iteratorINS9_11use_defaultEEEx11max_functorIxExEEDaPvRmT3_T4_T5_mT6_P12ihipStream_tbENKUlT_T0_E_clISt17integral_constantIbLb0EESX_EEDaSS_ST_EUlSS_E_NS1_11comp_targetILNS1_3genE5ELNS1_11target_archE942ELNS1_3gpuE9ELNS1_3repE0EEENS1_30default_config_static_selectorELNS0_4arch9wavefront6targetE1EEEvT1_,@function
_ZN7rocprim17ROCPRIM_400000_NS6detail17trampoline_kernelINS0_14default_configENS1_20scan_config_selectorIxEEZZNS1_9scan_implILNS1_25lookback_scan_determinismE0ELb0ELb0ES3_N6thrust23THRUST_200600_302600_NS6detail15normal_iteratorINS9_10device_ptrIxEEEENS9_16discard_iteratorINS9_11use_defaultEEEx11max_functorIxExEEDaPvRmT3_T4_T5_mT6_P12ihipStream_tbENKUlT_T0_E_clISt17integral_constantIbLb0EESX_EEDaSS_ST_EUlSS_E_NS1_11comp_targetILNS1_3genE5ELNS1_11target_archE942ELNS1_3gpuE9ELNS1_3repE0EEENS1_30default_config_static_selectorELNS0_4arch9wavefront6targetE1EEEvT1_: ; @_ZN7rocprim17ROCPRIM_400000_NS6detail17trampoline_kernelINS0_14default_configENS1_20scan_config_selectorIxEEZZNS1_9scan_implILNS1_25lookback_scan_determinismE0ELb0ELb0ES3_N6thrust23THRUST_200600_302600_NS6detail15normal_iteratorINS9_10device_ptrIxEEEENS9_16discard_iteratorINS9_11use_defaultEEEx11max_functorIxExEEDaPvRmT3_T4_T5_mT6_P12ihipStream_tbENKUlT_T0_E_clISt17integral_constantIbLb0EESX_EEDaSS_ST_EUlSS_E_NS1_11comp_targetILNS1_3genE5ELNS1_11target_archE942ELNS1_3gpuE9ELNS1_3repE0EEENS1_30default_config_static_selectorELNS0_4arch9wavefront6targetE1EEEvT1_
; %bb.0:
	.section	.rodata,"a",@progbits
	.p2align	6, 0x0
	.amdhsa_kernel _ZN7rocprim17ROCPRIM_400000_NS6detail17trampoline_kernelINS0_14default_configENS1_20scan_config_selectorIxEEZZNS1_9scan_implILNS1_25lookback_scan_determinismE0ELb0ELb0ES3_N6thrust23THRUST_200600_302600_NS6detail15normal_iteratorINS9_10device_ptrIxEEEENS9_16discard_iteratorINS9_11use_defaultEEEx11max_functorIxExEEDaPvRmT3_T4_T5_mT6_P12ihipStream_tbENKUlT_T0_E_clISt17integral_constantIbLb0EESX_EEDaSS_ST_EUlSS_E_NS1_11comp_targetILNS1_3genE5ELNS1_11target_archE942ELNS1_3gpuE9ELNS1_3repE0EEENS1_30default_config_static_selectorELNS0_4arch9wavefront6targetE1EEEvT1_
		.amdhsa_group_segment_fixed_size 0
		.amdhsa_private_segment_fixed_size 0
		.amdhsa_kernarg_size 112
		.amdhsa_user_sgpr_count 6
		.amdhsa_user_sgpr_private_segment_buffer 1
		.amdhsa_user_sgpr_dispatch_ptr 0
		.amdhsa_user_sgpr_queue_ptr 0
		.amdhsa_user_sgpr_kernarg_segment_ptr 1
		.amdhsa_user_sgpr_dispatch_id 0
		.amdhsa_user_sgpr_flat_scratch_init 0
		.amdhsa_user_sgpr_kernarg_preload_length 0
		.amdhsa_user_sgpr_kernarg_preload_offset 0
		.amdhsa_user_sgpr_private_segment_size 0
		.amdhsa_uses_dynamic_stack 0
		.amdhsa_system_sgpr_private_segment_wavefront_offset 0
		.amdhsa_system_sgpr_workgroup_id_x 1
		.amdhsa_system_sgpr_workgroup_id_y 0
		.amdhsa_system_sgpr_workgroup_id_z 0
		.amdhsa_system_sgpr_workgroup_info 0
		.amdhsa_system_vgpr_workitem_id 0
		.amdhsa_next_free_vgpr 1
		.amdhsa_next_free_sgpr 0
		.amdhsa_accum_offset 4
		.amdhsa_reserve_vcc 0
		.amdhsa_reserve_flat_scratch 0
		.amdhsa_float_round_mode_32 0
		.amdhsa_float_round_mode_16_64 0
		.amdhsa_float_denorm_mode_32 3
		.amdhsa_float_denorm_mode_16_64 3
		.amdhsa_dx10_clamp 1
		.amdhsa_ieee_mode 1
		.amdhsa_fp16_overflow 0
		.amdhsa_tg_split 0
		.amdhsa_exception_fp_ieee_invalid_op 0
		.amdhsa_exception_fp_denorm_src 0
		.amdhsa_exception_fp_ieee_div_zero 0
		.amdhsa_exception_fp_ieee_overflow 0
		.amdhsa_exception_fp_ieee_underflow 0
		.amdhsa_exception_fp_ieee_inexact 0
		.amdhsa_exception_int_div_zero 0
	.end_amdhsa_kernel
	.section	.text._ZN7rocprim17ROCPRIM_400000_NS6detail17trampoline_kernelINS0_14default_configENS1_20scan_config_selectorIxEEZZNS1_9scan_implILNS1_25lookback_scan_determinismE0ELb0ELb0ES3_N6thrust23THRUST_200600_302600_NS6detail15normal_iteratorINS9_10device_ptrIxEEEENS9_16discard_iteratorINS9_11use_defaultEEEx11max_functorIxExEEDaPvRmT3_T4_T5_mT6_P12ihipStream_tbENKUlT_T0_E_clISt17integral_constantIbLb0EESX_EEDaSS_ST_EUlSS_E_NS1_11comp_targetILNS1_3genE5ELNS1_11target_archE942ELNS1_3gpuE9ELNS1_3repE0EEENS1_30default_config_static_selectorELNS0_4arch9wavefront6targetE1EEEvT1_,"axG",@progbits,_ZN7rocprim17ROCPRIM_400000_NS6detail17trampoline_kernelINS0_14default_configENS1_20scan_config_selectorIxEEZZNS1_9scan_implILNS1_25lookback_scan_determinismE0ELb0ELb0ES3_N6thrust23THRUST_200600_302600_NS6detail15normal_iteratorINS9_10device_ptrIxEEEENS9_16discard_iteratorINS9_11use_defaultEEEx11max_functorIxExEEDaPvRmT3_T4_T5_mT6_P12ihipStream_tbENKUlT_T0_E_clISt17integral_constantIbLb0EESX_EEDaSS_ST_EUlSS_E_NS1_11comp_targetILNS1_3genE5ELNS1_11target_archE942ELNS1_3gpuE9ELNS1_3repE0EEENS1_30default_config_static_selectorELNS0_4arch9wavefront6targetE1EEEvT1_,comdat
.Lfunc_end3711:
	.size	_ZN7rocprim17ROCPRIM_400000_NS6detail17trampoline_kernelINS0_14default_configENS1_20scan_config_selectorIxEEZZNS1_9scan_implILNS1_25lookback_scan_determinismE0ELb0ELb0ES3_N6thrust23THRUST_200600_302600_NS6detail15normal_iteratorINS9_10device_ptrIxEEEENS9_16discard_iteratorINS9_11use_defaultEEEx11max_functorIxExEEDaPvRmT3_T4_T5_mT6_P12ihipStream_tbENKUlT_T0_E_clISt17integral_constantIbLb0EESX_EEDaSS_ST_EUlSS_E_NS1_11comp_targetILNS1_3genE5ELNS1_11target_archE942ELNS1_3gpuE9ELNS1_3repE0EEENS1_30default_config_static_selectorELNS0_4arch9wavefront6targetE1EEEvT1_, .Lfunc_end3711-_ZN7rocprim17ROCPRIM_400000_NS6detail17trampoline_kernelINS0_14default_configENS1_20scan_config_selectorIxEEZZNS1_9scan_implILNS1_25lookback_scan_determinismE0ELb0ELb0ES3_N6thrust23THRUST_200600_302600_NS6detail15normal_iteratorINS9_10device_ptrIxEEEENS9_16discard_iteratorINS9_11use_defaultEEEx11max_functorIxExEEDaPvRmT3_T4_T5_mT6_P12ihipStream_tbENKUlT_T0_E_clISt17integral_constantIbLb0EESX_EEDaSS_ST_EUlSS_E_NS1_11comp_targetILNS1_3genE5ELNS1_11target_archE942ELNS1_3gpuE9ELNS1_3repE0EEENS1_30default_config_static_selectorELNS0_4arch9wavefront6targetE1EEEvT1_
                                        ; -- End function
	.section	.AMDGPU.csdata,"",@progbits
; Kernel info:
; codeLenInByte = 0
; NumSgprs: 4
; NumVgprs: 0
; NumAgprs: 0
; TotalNumVgprs: 0
; ScratchSize: 0
; MemoryBound: 0
; FloatMode: 240
; IeeeMode: 1
; LDSByteSize: 0 bytes/workgroup (compile time only)
; SGPRBlocks: 0
; VGPRBlocks: 0
; NumSGPRsForWavesPerEU: 4
; NumVGPRsForWavesPerEU: 1
; AccumOffset: 4
; Occupancy: 8
; WaveLimiterHint : 0
; COMPUTE_PGM_RSRC2:SCRATCH_EN: 0
; COMPUTE_PGM_RSRC2:USER_SGPR: 6
; COMPUTE_PGM_RSRC2:TRAP_HANDLER: 0
; COMPUTE_PGM_RSRC2:TGID_X_EN: 1
; COMPUTE_PGM_RSRC2:TGID_Y_EN: 0
; COMPUTE_PGM_RSRC2:TGID_Z_EN: 0
; COMPUTE_PGM_RSRC2:TIDIG_COMP_CNT: 0
; COMPUTE_PGM_RSRC3_GFX90A:ACCUM_OFFSET: 0
; COMPUTE_PGM_RSRC3_GFX90A:TG_SPLIT: 0
	.section	.text._ZN7rocprim17ROCPRIM_400000_NS6detail17trampoline_kernelINS0_14default_configENS1_20scan_config_selectorIxEEZZNS1_9scan_implILNS1_25lookback_scan_determinismE0ELb0ELb0ES3_N6thrust23THRUST_200600_302600_NS6detail15normal_iteratorINS9_10device_ptrIxEEEENS9_16discard_iteratorINS9_11use_defaultEEEx11max_functorIxExEEDaPvRmT3_T4_T5_mT6_P12ihipStream_tbENKUlT_T0_E_clISt17integral_constantIbLb0EESX_EEDaSS_ST_EUlSS_E_NS1_11comp_targetILNS1_3genE4ELNS1_11target_archE910ELNS1_3gpuE8ELNS1_3repE0EEENS1_30default_config_static_selectorELNS0_4arch9wavefront6targetE1EEEvT1_,"axG",@progbits,_ZN7rocprim17ROCPRIM_400000_NS6detail17trampoline_kernelINS0_14default_configENS1_20scan_config_selectorIxEEZZNS1_9scan_implILNS1_25lookback_scan_determinismE0ELb0ELb0ES3_N6thrust23THRUST_200600_302600_NS6detail15normal_iteratorINS9_10device_ptrIxEEEENS9_16discard_iteratorINS9_11use_defaultEEEx11max_functorIxExEEDaPvRmT3_T4_T5_mT6_P12ihipStream_tbENKUlT_T0_E_clISt17integral_constantIbLb0EESX_EEDaSS_ST_EUlSS_E_NS1_11comp_targetILNS1_3genE4ELNS1_11target_archE910ELNS1_3gpuE8ELNS1_3repE0EEENS1_30default_config_static_selectorELNS0_4arch9wavefront6targetE1EEEvT1_,comdat
	.protected	_ZN7rocprim17ROCPRIM_400000_NS6detail17trampoline_kernelINS0_14default_configENS1_20scan_config_selectorIxEEZZNS1_9scan_implILNS1_25lookback_scan_determinismE0ELb0ELb0ES3_N6thrust23THRUST_200600_302600_NS6detail15normal_iteratorINS9_10device_ptrIxEEEENS9_16discard_iteratorINS9_11use_defaultEEEx11max_functorIxExEEDaPvRmT3_T4_T5_mT6_P12ihipStream_tbENKUlT_T0_E_clISt17integral_constantIbLb0EESX_EEDaSS_ST_EUlSS_E_NS1_11comp_targetILNS1_3genE4ELNS1_11target_archE910ELNS1_3gpuE8ELNS1_3repE0EEENS1_30default_config_static_selectorELNS0_4arch9wavefront6targetE1EEEvT1_ ; -- Begin function _ZN7rocprim17ROCPRIM_400000_NS6detail17trampoline_kernelINS0_14default_configENS1_20scan_config_selectorIxEEZZNS1_9scan_implILNS1_25lookback_scan_determinismE0ELb0ELb0ES3_N6thrust23THRUST_200600_302600_NS6detail15normal_iteratorINS9_10device_ptrIxEEEENS9_16discard_iteratorINS9_11use_defaultEEEx11max_functorIxExEEDaPvRmT3_T4_T5_mT6_P12ihipStream_tbENKUlT_T0_E_clISt17integral_constantIbLb0EESX_EEDaSS_ST_EUlSS_E_NS1_11comp_targetILNS1_3genE4ELNS1_11target_archE910ELNS1_3gpuE8ELNS1_3repE0EEENS1_30default_config_static_selectorELNS0_4arch9wavefront6targetE1EEEvT1_
	.globl	_ZN7rocprim17ROCPRIM_400000_NS6detail17trampoline_kernelINS0_14default_configENS1_20scan_config_selectorIxEEZZNS1_9scan_implILNS1_25lookback_scan_determinismE0ELb0ELb0ES3_N6thrust23THRUST_200600_302600_NS6detail15normal_iteratorINS9_10device_ptrIxEEEENS9_16discard_iteratorINS9_11use_defaultEEEx11max_functorIxExEEDaPvRmT3_T4_T5_mT6_P12ihipStream_tbENKUlT_T0_E_clISt17integral_constantIbLb0EESX_EEDaSS_ST_EUlSS_E_NS1_11comp_targetILNS1_3genE4ELNS1_11target_archE910ELNS1_3gpuE8ELNS1_3repE0EEENS1_30default_config_static_selectorELNS0_4arch9wavefront6targetE1EEEvT1_
	.p2align	8
	.type	_ZN7rocprim17ROCPRIM_400000_NS6detail17trampoline_kernelINS0_14default_configENS1_20scan_config_selectorIxEEZZNS1_9scan_implILNS1_25lookback_scan_determinismE0ELb0ELb0ES3_N6thrust23THRUST_200600_302600_NS6detail15normal_iteratorINS9_10device_ptrIxEEEENS9_16discard_iteratorINS9_11use_defaultEEEx11max_functorIxExEEDaPvRmT3_T4_T5_mT6_P12ihipStream_tbENKUlT_T0_E_clISt17integral_constantIbLb0EESX_EEDaSS_ST_EUlSS_E_NS1_11comp_targetILNS1_3genE4ELNS1_11target_archE910ELNS1_3gpuE8ELNS1_3repE0EEENS1_30default_config_static_selectorELNS0_4arch9wavefront6targetE1EEEvT1_,@function
_ZN7rocprim17ROCPRIM_400000_NS6detail17trampoline_kernelINS0_14default_configENS1_20scan_config_selectorIxEEZZNS1_9scan_implILNS1_25lookback_scan_determinismE0ELb0ELb0ES3_N6thrust23THRUST_200600_302600_NS6detail15normal_iteratorINS9_10device_ptrIxEEEENS9_16discard_iteratorINS9_11use_defaultEEEx11max_functorIxExEEDaPvRmT3_T4_T5_mT6_P12ihipStream_tbENKUlT_T0_E_clISt17integral_constantIbLb0EESX_EEDaSS_ST_EUlSS_E_NS1_11comp_targetILNS1_3genE4ELNS1_11target_archE910ELNS1_3gpuE8ELNS1_3repE0EEENS1_30default_config_static_selectorELNS0_4arch9wavefront6targetE1EEEvT1_: ; @_ZN7rocprim17ROCPRIM_400000_NS6detail17trampoline_kernelINS0_14default_configENS1_20scan_config_selectorIxEEZZNS1_9scan_implILNS1_25lookback_scan_determinismE0ELb0ELb0ES3_N6thrust23THRUST_200600_302600_NS6detail15normal_iteratorINS9_10device_ptrIxEEEENS9_16discard_iteratorINS9_11use_defaultEEEx11max_functorIxExEEDaPvRmT3_T4_T5_mT6_P12ihipStream_tbENKUlT_T0_E_clISt17integral_constantIbLb0EESX_EEDaSS_ST_EUlSS_E_NS1_11comp_targetILNS1_3genE4ELNS1_11target_archE910ELNS1_3gpuE8ELNS1_3repE0EEENS1_30default_config_static_selectorELNS0_4arch9wavefront6targetE1EEEvT1_
; %bb.0:
	s_load_dwordx4 s[0:3], s[4:5], 0x0
	s_load_dwordx2 s[8:9], s[4:5], 0x20
	s_load_dword s7, s[4:5], 0x40
	v_lshlrev_b32_e32 v1, 3, v0
	s_waitcnt lgkmcnt(0)
	s_lshl_b64 s[2:3], s[2:3], 3
	s_add_u32 s2, s0, s2
	s_addc_u32 s3, s1, s3
	s_add_i32 s7, s7, -1
	s_mul_i32 s10, s7, 0x380
	s_sub_u32 s22, s8, s10
	s_subb_u32 s23, s9, 0
	s_mul_i32 s0, s6, 0x380
	s_mov_b32 s1, 0
	s_cmp_lg_u32 s6, s7
	s_cselect_b64 s[16:17], -1, 0
	s_lshl_b64 s[0:1], s[0:1], 3
	s_add_u32 s0, s2, s0
	s_addc_u32 s1, s3, s1
	s_mov_b64 s[2:3], -1
	s_and_b64 vcc, exec, s[16:17]
	s_cbranch_vccz .LBB3712_2
; %bb.1:
	v_mov_b32_e32 v3, s1
	v_add_co_u32_e32 v2, vcc, s0, v1
	v_addc_co_u32_e32 v3, vcc, 0, v3, vcc
	flat_load_dwordx2 v[4:5], v[2:3]
	flat_load_dwordx2 v[6:7], v[2:3] offset:1024
	flat_load_dwordx2 v[8:9], v[2:3] offset:2048
	;; [unrolled: 1-line block ×3, first 2 shown]
	v_add_co_u32_e32 v2, vcc, 0x1000, v2
	v_addc_co_u32_e32 v3, vcc, 0, v3, vcc
	flat_load_dwordx2 v[12:13], v[2:3]
	flat_load_dwordx2 v[14:15], v[2:3] offset:1024
	flat_load_dwordx2 v[16:17], v[2:3] offset:2048
	s_mov_b64 s[2:3], 0
	s_waitcnt vmcnt(0) lgkmcnt(0)
	ds_write2st64_b64 v1, v[4:5], v[6:7] offset1:2
	ds_write2st64_b64 v1, v[8:9], v[10:11] offset0:4 offset1:6
	ds_write2st64_b64 v1, v[12:13], v[14:15] offset0:8 offset1:10
	ds_write_b64 v1, v[16:17] offset:6144
	s_waitcnt lgkmcnt(0)
	s_barrier
.LBB3712_2:
	s_load_dwordx2 s[18:19], s[4:5], 0x38
	s_andn2_b64 vcc, exec, s[2:3]
	s_cbranch_vccnz .LBB3712_18
; %bb.3:
	v_pk_mov_b32 v[2:3], s[0:1], s[0:1] op_sel:[0,1]
	flat_load_dwordx2 v[2:3], v[2:3]
	v_cmp_gt_u32_e32 vcc, s22, v0
	s_waitcnt vmcnt(0) lgkmcnt(0)
	v_mov_b32_e32 v4, v2
	v_mov_b32_e32 v5, v3
	;; [unrolled: 1-line block ×10, first 2 shown]
	v_pk_mov_b32 v[18:19], v[14:15], v[14:15] op_sel:[0,1]
	v_pk_mov_b32 v[16:17], v[12:13], v[12:13] op_sel:[0,1]
	;; [unrolled: 1-line block ×8, first 2 shown]
	s_and_saveexec_b64 s[2:3], vcc
	s_cbranch_execz .LBB3712_5
; %bb.4:
	v_mov_b32_e32 v5, s1
	v_add_co_u32_e32 v4, vcc, s0, v1
	v_addc_co_u32_e32 v5, vcc, 0, v5, vcc
	flat_load_dwordx2 v[20:21], v[4:5]
	v_mov_b32_e32 v4, v2
	v_mov_b32_e32 v5, v3
	;; [unrolled: 1-line block ×10, first 2 shown]
	v_pk_mov_b32 v[18:19], v[14:15], v[14:15] op_sel:[0,1]
	v_pk_mov_b32 v[16:17], v[12:13], v[12:13] op_sel:[0,1]
	v_pk_mov_b32 v[14:15], v[10:11], v[10:11] op_sel:[0,1]
	v_pk_mov_b32 v[12:13], v[8:9], v[8:9] op_sel:[0,1]
	v_pk_mov_b32 v[10:11], v[6:7], v[6:7] op_sel:[0,1]
	v_pk_mov_b32 v[8:9], v[4:5], v[4:5] op_sel:[0,1]
	v_pk_mov_b32 v[6:7], v[2:3], v[2:3] op_sel:[0,1]
	v_pk_mov_b32 v[4:5], v[0:1], v[0:1] op_sel:[0,1]
	s_waitcnt vmcnt(0) lgkmcnt(0)
	v_pk_mov_b32 v[2:3], v[20:21], v[20:21] op_sel:[0,1]
.LBB3712_5:
	s_or_b64 exec, exec, s[2:3]
	v_or_b32_e32 v4, 0x80, v0
	v_cmp_gt_u32_e32 vcc, s22, v4
	s_and_saveexec_b64 s[2:3], vcc
	s_cbranch_execz .LBB3712_7
; %bb.6:
	v_mov_b32_e32 v5, s1
	v_add_co_u32_e32 v4, vcc, s0, v1
	v_addc_co_u32_e32 v5, vcc, 0, v5, vcc
	flat_load_dwordx2 v[6:7], v[4:5] offset:1024
.LBB3712_7:
	s_or_b64 exec, exec, s[2:3]
	v_or_b32_e32 v4, 0x100, v0
	v_cmp_gt_u32_e32 vcc, s22, v4
	s_and_saveexec_b64 s[2:3], vcc
	s_cbranch_execz .LBB3712_9
; %bb.8:
	v_mov_b32_e32 v5, s1
	v_add_co_u32_e32 v4, vcc, s0, v1
	v_addc_co_u32_e32 v5, vcc, 0, v5, vcc
	flat_load_dwordx2 v[8:9], v[4:5] offset:2048
.LBB3712_9:
	;; [unrolled: 11-line block ×3, first 2 shown]
	s_or_b64 exec, exec, s[2:3]
	v_or_b32_e32 v4, 0x200, v0
	v_cmp_gt_u32_e32 vcc, s22, v4
	s_and_saveexec_b64 s[2:3], vcc
	s_cbranch_execz .LBB3712_13
; %bb.12:
	v_lshlrev_b32_e32 v4, 3, v4
	v_mov_b32_e32 v5, s1
	v_add_co_u32_e32 v4, vcc, s0, v4
	v_addc_co_u32_e32 v5, vcc, 0, v5, vcc
	flat_load_dwordx2 v[12:13], v[4:5]
.LBB3712_13:
	s_or_b64 exec, exec, s[2:3]
	v_or_b32_e32 v4, 0x280, v0
	v_cmp_gt_u32_e32 vcc, s22, v4
	s_and_saveexec_b64 s[2:3], vcc
	s_cbranch_execz .LBB3712_15
; %bb.14:
	v_lshlrev_b32_e32 v4, 3, v4
	v_mov_b32_e32 v5, s1
	v_add_co_u32_e32 v4, vcc, s0, v4
	v_addc_co_u32_e32 v5, vcc, 0, v5, vcc
	flat_load_dwordx2 v[14:15], v[4:5]
.LBB3712_15:
	;; [unrolled: 12-line block ×3, first 2 shown]
	s_or_b64 exec, exec, s[2:3]
	s_waitcnt vmcnt(0) lgkmcnt(0)
	ds_write2st64_b64 v1, v[2:3], v[6:7] offset1:2
	ds_write2st64_b64 v1, v[8:9], v[10:11] offset0:4 offset1:6
	ds_write2st64_b64 v1, v[12:13], v[14:15] offset0:8 offset1:10
	ds_write_b64 v1, v[16:17] offset:6144
	s_waitcnt lgkmcnt(0)
	s_barrier
.LBB3712_18:
	v_mul_u32_u24_e32 v36, 7, v0
	v_lshlrev_b32_e32 v37, 3, v36
	s_waitcnt lgkmcnt(0)
	ds_read2_b64 v[2:5], v37 offset1:1
	ds_read2_b64 v[10:13], v37 offset0:2 offset1:3
	ds_read2_b64 v[6:9], v37 offset0:4 offset1:5
	ds_read_b64 v[28:29], v37 offset:48
	s_cmp_lg_u32 s6, 0
	v_lshrrev_b32_e32 v1, 5, v0
	v_cmp_gt_u32_e32 vcc, 64, v0
	s_waitcnt lgkmcnt(0)
	s_barrier
	s_cbranch_scc0 .LBB3712_45
; %bb.19:
	v_cmp_gt_i64_e64 s[0:1], v[2:3], v[4:5]
	v_cndmask_b32_e64 v15, v5, v3, s[0:1]
	v_cndmask_b32_e64 v14, v4, v2, s[0:1]
	v_cmp_gt_i64_e64 s[0:1], v[14:15], v[10:11]
	v_cndmask_b32_e64 v15, v11, v15, s[0:1]
	v_cndmask_b32_e64 v14, v10, v14, s[0:1]
	;; [unrolled: 3-line block ×6, first 2 shown]
	v_add_lshl_u32 v14, v1, v0, 3
	ds_write_b64 v14, v[22:23]
	s_waitcnt lgkmcnt(0)
	s_barrier
	s_and_saveexec_b64 s[8:9], vcc
	s_cbranch_execz .LBB3712_23
; %bb.20:
	v_lshlrev_b32_e32 v14, 1, v0
	v_lshrrev_b32_e32 v15, 4, v0
	v_add_lshl_u32 v24, v15, v14, 3
	ds_read2_b64 v[14:17], v24 offset1:1
	v_mbcnt_lo_u32_b32 v18, -1, 0
	v_mbcnt_hi_u32_b32 v25, -1, v18
	v_and_b32_e32 v26, 15, v25
	v_and_b32_e32 v30, 16, v25
	s_waitcnt lgkmcnt(0)
	v_cmp_gt_i64_e64 s[0:1], v[14:15], v[16:17]
	v_cndmask_b32_e64 v17, v17, v15, s[0:1]
	v_cndmask_b32_e64 v16, v16, v14, s[0:1]
	v_cmp_ne_u32_e64 s[2:3], 0, v25
	v_mov_b32_dpp v19, v17 row_shr:1 row_mask:0xf bank_mask:0xf
	v_mov_b32_dpp v18, v16 row_shr:1 row_mask:0xf bank_mask:0xf
	v_cmp_gt_i64_e64 s[0:1], v[18:19], v[16:17]
	v_cndmask_b32_e64 v18, v16, v18, s[0:1]
	v_cndmask_b32_e64 v19, v17, v19, s[0:1]
	v_cmp_eq_u32_e64 s[0:1], 0, v26
	v_cndmask_b32_e64 v19, v19, v17, s[0:1]
	v_cndmask_b32_e64 v18, v18, v16, s[0:1]
	s_nop 0
	v_mov_b32_dpp v21, v19 row_shr:2 row_mask:0xf bank_mask:0xf
	v_mov_b32_dpp v20, v18 row_shr:2 row_mask:0xf bank_mask:0xf
	v_cmp_gt_i64_e64 s[0:1], v[20:21], v[18:19]
	v_cndmask_b32_e64 v20, v18, v20, s[0:1]
	v_cndmask_b32_e64 v21, v19, v21, s[0:1]
	v_cmp_lt_u32_e64 s[0:1], 1, v26
	v_cndmask_b32_e64 v19, v19, v21, s[0:1]
	v_cndmask_b32_e64 v18, v18, v20, s[0:1]
	s_nop 0
	v_mov_b32_dpp v21, v19 row_shr:4 row_mask:0xf bank_mask:0xf
	v_mov_b32_dpp v20, v18 row_shr:4 row_mask:0xf bank_mask:0xf
	v_cmp_gt_i64_e64 s[0:1], v[20:21], v[18:19]
	v_cndmask_b32_e64 v20, v18, v20, s[0:1]
	v_cndmask_b32_e64 v21, v19, v21, s[0:1]
	v_cmp_lt_u32_e64 s[0:1], 3, v26
	;; [unrolled: 9-line block ×3, first 2 shown]
	v_cndmask_b32_e64 v19, v19, v21, s[0:1]
	v_cndmask_b32_e64 v18, v18, v20, s[0:1]
	s_nop 0
	v_mov_b32_dpp v21, v19 row_bcast:15 row_mask:0xf bank_mask:0xf
	v_mov_b32_dpp v20, v18 row_bcast:15 row_mask:0xf bank_mask:0xf
	v_cmp_gt_i64_e64 s[0:1], v[20:21], v[18:19]
	v_cndmask_b32_e64 v26, v19, v21, s[0:1]
	v_cndmask_b32_e64 v27, v18, v20, s[0:1]
	v_cmp_eq_u32_e64 s[0:1], 0, v30
	v_cndmask_b32_e64 v21, v26, v19, s[0:1]
	v_cndmask_b32_e64 v20, v27, v18, s[0:1]
	s_nop 0
	v_mov_b32_dpp v21, v21 row_bcast:31 row_mask:0xf bank_mask:0xf
	v_mov_b32_dpp v20, v20 row_bcast:31 row_mask:0xf bank_mask:0xf
	s_and_saveexec_b64 s[10:11], s[2:3]
; %bb.21:
	v_cndmask_b32_e64 v17, v26, v19, s[0:1]
	v_cndmask_b32_e64 v16, v27, v18, s[0:1]
	v_cmp_lt_u32_e64 s[2:3], 31, v25
	v_cmp_gt_i64_e64 s[0:1], v[20:21], v[16:17]
	s_and_b64 s[0:1], s[2:3], s[0:1]
	v_cndmask_b32_e64 v16, v16, v20, s[0:1]
	v_cndmask_b32_e64 v17, v17, v21, s[0:1]
; %bb.22:
	s_or_b64 exec, exec, s[10:11]
	v_add_u32_e32 v18, -1, v25
	v_and_b32_e32 v19, 64, v25
	v_cmp_lt_i32_e64 s[0:1], v18, v19
	v_cndmask_b32_e64 v18, v18, v25, s[0:1]
	v_lshlrev_b32_e32 v18, 2, v18
	ds_bpermute_b32 v16, v18, v16
	ds_bpermute_b32 v17, v18, v17
	; wave barrier
	s_waitcnt lgkmcnt(0)
	v_cmp_gt_i64_e64 s[0:1], v[16:17], v[14:15]
	v_cndmask_b32_e64 v14, v14, v16, s[0:1]
	v_cndmask_b32_e64 v15, v15, v17, s[0:1]
	v_cmp_eq_u32_e64 s[0:1], 0, v0
	v_cndmask_b32_e64 v15, v15, v23, s[0:1]
	v_cndmask_b32_e64 v14, v14, v22, s[0:1]
	ds_write_b64 v24, v[14:15]
	; wave barrier
	ds_read_b64 v[16:17], v24 offset:8
	s_waitcnt lgkmcnt(0)
	v_cmp_gt_i64_e64 s[0:1], v[14:15], v[16:17]
	v_cndmask_b32_e64 v15, v17, v15, s[0:1]
	v_cndmask_b32_e64 v14, v16, v14, s[0:1]
	ds_write_b64 v24, v[14:15] offset:8
.LBB3712_23:
	s_or_b64 exec, exec, s[8:9]
	v_cmp_eq_u32_e64 s[0:1], 0, v0
	v_cmp_ne_u32_e64 s[2:3], 0, v0
	s_waitcnt lgkmcnt(0)
	s_barrier
	s_and_saveexec_b64 s[8:9], s[2:3]
	s_cbranch_execz .LBB3712_25
; %bb.24:
	v_add_u32_e32 v14, -1, v0
	v_lshrrev_b32_e32 v15, 5, v14
	v_add_lshl_u32 v14, v15, v14, 3
	ds_read_b64 v[22:23], v14
.LBB3712_25:
	s_or_b64 exec, exec, s[8:9]
	s_and_saveexec_b64 s[20:21], vcc
	s_cbranch_execz .LBB3712_44
; %bb.26:
	v_mov_b32_e32 v17, 0
	ds_read_b64 v[14:15], v17 offset:1040
	v_mbcnt_lo_u32_b32 v16, -1, 0
	v_mbcnt_hi_u32_b32 v25, -1, v16
	s_mov_b32 s11, 0
	v_cmp_eq_u32_e64 s[2:3], 0, v25
	s_and_saveexec_b64 s[8:9], s[2:3]
	s_cbranch_execz .LBB3712_28
; %bb.27:
	s_add_i32 s10, s6, 64
	s_lshl_b64 s[10:11], s[10:11], 4
	s_add_u32 s10, s18, s10
	s_addc_u32 s11, s19, s11
	v_mov_b32_e32 v16, 1
	v_pk_mov_b32 v[18:19], s[10:11], s[10:11] op_sel:[0,1]
	s_waitcnt lgkmcnt(0)
	;;#ASMSTART
	global_store_dwordx4 v[18:19], v[14:17] off	
s_waitcnt vmcnt(0)
	;;#ASMEND
.LBB3712_28:
	s_or_b64 exec, exec, s[8:9]
	v_xad_u32 v24, v25, -1, s6
	v_add_u32_e32 v16, 64, v24
	v_lshlrev_b64 v[18:19], 4, v[16:17]
	v_mov_b32_e32 v16, s19
	v_add_co_u32_e32 v26, vcc, s18, v18
	v_addc_co_u32_e32 v27, vcc, v16, v19, vcc
	;;#ASMSTART
	global_load_dwordx4 v[18:21], v[26:27] off glc	
s_waitcnt vmcnt(0)
	;;#ASMEND
	v_and_b32_e32 v16, 0xff, v19
	v_and_b32_e32 v21, 0xff00, v19
	v_or3_b32 v16, 0, v16, v21
	v_or3_b32 v18, v18, 0, 0
	v_and_b32_e32 v21, 0xff000000, v19
	v_and_b32_e32 v19, 0xff0000, v19
	v_or3_b32 v19, v16, v19, v21
	v_or3_b32 v18, v18, 0, 0
	v_cmp_eq_u16_sdwa s[10:11], v20, v17 src0_sel:BYTE_0 src1_sel:DWORD
	s_and_saveexec_b64 s[8:9], s[10:11]
	s_cbranch_execz .LBB3712_32
; %bb.29:
	s_mov_b64 s[10:11], 0
	v_mov_b32_e32 v16, 0
.LBB3712_30:                            ; =>This Inner Loop Header: Depth=1
	;;#ASMSTART
	global_load_dwordx4 v[18:21], v[26:27] off glc	
s_waitcnt vmcnt(0)
	;;#ASMEND
	v_cmp_ne_u16_sdwa s[12:13], v20, v16 src0_sel:BYTE_0 src1_sel:DWORD
	s_or_b64 s[10:11], s[12:13], s[10:11]
	s_andn2_b64 exec, exec, s[10:11]
	s_cbranch_execnz .LBB3712_30
; %bb.31:
	s_or_b64 exec, exec, s[10:11]
.LBB3712_32:
	s_or_b64 exec, exec, s[8:9]
	v_and_b32_e32 v33, 63, v25
	v_cmp_ne_u32_e32 vcc, 63, v33
	v_mov_b32_e32 v32, 2
	v_addc_co_u32_e32 v26, vcc, 0, v25, vcc
	v_cmp_eq_u16_sdwa s[8:9], v20, v32 src0_sel:BYTE_0 src1_sel:DWORD
	v_lshlrev_b64 v[16:17], v25, -1
	v_lshlrev_b32_e32 v34, 2, v26
	v_and_b32_e32 v21, s9, v17
	ds_bpermute_b32 v26, v34, v18
	ds_bpermute_b32 v27, v34, v19
	v_or_b32_e32 v21, 0x80000000, v21
	v_and_b32_e32 v30, s8, v16
	v_ffbl_b32_e32 v21, v21
	v_add_u32_e32 v21, 32, v21
	v_ffbl_b32_e32 v30, v30
	v_min_u32_e32 v21, v30, v21
	s_waitcnt lgkmcnt(0)
	v_cmp_gt_i64_e64 s[8:9], v[26:27], v[18:19]
	v_cmp_lt_u32_e32 vcc, v33, v21
	v_cndmask_b32_e64 v26, v18, v26, s[8:9]
	s_and_b64 s[8:9], vcc, s[8:9]
	v_cndmask_b32_e64 v27, v19, v27, s[8:9]
	v_cmp_gt_u32_e64 s[8:9], 62, v33
	v_cndmask_b32_e64 v30, 0, 1, s[8:9]
	v_lshlrev_b32_e32 v30, 1, v30
	v_cndmask_b32_e32 v26, v18, v26, vcc
	v_add_lshl_u32 v35, v30, v25, 2
	ds_bpermute_b32 v30, v35, v26
	ds_bpermute_b32 v31, v35, v27
	v_add_u32_e32 v38, 2, v33
	v_cmp_gt_u32_e64 s[10:11], 56, v33
	v_add_u32_e32 v40, 4, v33
	v_cndmask_b32_e64 v41, 0, 1, s[10:11]
	s_waitcnt lgkmcnt(0)
	v_cmp_gt_i64_e64 s[8:9], v[30:31], v[26:27]
	v_cndmask_b32_e64 v31, v27, v31, s[8:9]
	v_cndmask_b32_e64 v30, v26, v30, s[8:9]
	v_cmp_gt_u32_e64 s[8:9], v38, v21
	v_cndmask_b32_e64 v26, v30, v26, s[8:9]
	v_cndmask_b32_e64 v27, v31, v27, s[8:9]
	v_cmp_gt_u32_e64 s[8:9], 60, v33
	v_cndmask_b32_e64 v30, 0, 1, s[8:9]
	v_lshlrev_b32_e32 v30, 2, v30
	v_add_lshl_u32 v39, v30, v25, 2
	ds_bpermute_b32 v30, v39, v26
	ds_bpermute_b32 v31, v39, v27
	v_lshlrev_b32_e32 v41, 3, v41
	v_add_lshl_u32 v41, v41, v25, 2
	v_cmp_gt_u32_e64 s[12:13], 48, v33
	v_add_u32_e32 v42, 8, v33
	s_waitcnt lgkmcnt(0)
	v_cmp_gt_i64_e64 s[8:9], v[30:31], v[26:27]
	v_cndmask_b32_e64 v50, v27, v31, s[8:9]
	v_cndmask_b32_e64 v51, v26, v30, s[8:9]
	v_cmp_gt_u32_e64 s[8:9], v40, v21
	v_cndmask_b32_e64 v30, v51, v26, s[8:9]
	v_cndmask_b32_e64 v31, v50, v27, s[8:9]
	ds_bpermute_b32 v44, v41, v30
	ds_bpermute_b32 v45, v41, v31
	v_cndmask_b32_e64 v43, 0, 1, s[12:13]
	v_lshlrev_b32_e32 v43, 4, v43
	v_add_lshl_u32 v43, v43, v25, 2
	v_cmp_gt_u32_e64 s[14:15], 32, v33
	s_waitcnt lgkmcnt(0)
	v_cmp_gt_i64_e64 s[10:11], v[44:45], v[30:31]
	v_cndmask_b32_e64 v52, v31, v45, s[10:11]
	v_cndmask_b32_e64 v53, v30, v44, s[10:11]
	v_cmp_gt_u32_e64 s[10:11], v42, v21
	v_cndmask_b32_e64 v30, v53, v30, s[10:11]
	v_cndmask_b32_e64 v31, v52, v31, s[10:11]
	ds_bpermute_b32 v46, v43, v30
	ds_bpermute_b32 v47, v43, v31
	v_add_u32_e32 v44, 16, v33
	v_cndmask_b32_e64 v45, 0, 1, s[14:15]
	v_lshlrev_b32_e32 v45, 5, v45
	v_add_lshl_u32 v45, v45, v25, 2
	s_waitcnt lgkmcnt(0)
	v_cmp_gt_i64_e64 s[12:13], v[46:47], v[30:31]
	v_cndmask_b32_e64 v47, v31, v47, s[12:13]
	v_cndmask_b32_e64 v54, v30, v46, s[12:13]
	v_cmp_gt_u32_e64 s[12:13], v44, v21
	v_cndmask_b32_e64 v30, v54, v30, s[12:13]
	v_cndmask_b32_e64 v31, v47, v31, s[12:13]
	ds_bpermute_b32 v48, v45, v30
	ds_bpermute_b32 v49, v45, v31
	v_cndmask_b32_e32 v19, v19, v27, vcc
	v_cndmask_b32_e32 v18, v18, v26, vcc
	v_cndmask_b32_e64 v18, v51, v18, s[8:9]
	v_cndmask_b32_e64 v19, v50, v19, s[8:9]
	v_add_u32_e32 v46, 32, v33
	s_waitcnt lgkmcnt(0)
	v_cmp_gt_i64_e64 s[14:15], v[48:49], v[30:31]
	v_cndmask_b32_e64 v19, v52, v19, s[10:11]
	v_cndmask_b32_e64 v18, v53, v18, s[10:11]
	;; [unrolled: 1-line block ×6, first 2 shown]
	v_cmp_gt_u32_e32 vcc, v46, v21
	v_cndmask_b32_e32 v19, v30, v19, vcc
	v_cndmask_b32_e32 v18, v25, v18, vcc
	v_mov_b32_e32 v25, 0
	s_branch .LBB3712_34
.LBB3712_33:                            ;   in Loop: Header=BB3712_34 Depth=1
	s_or_b64 exec, exec, s[8:9]
	v_cmp_eq_u16_sdwa s[8:9], v20, v32 src0_sel:BYTE_0 src1_sel:DWORD
	v_and_b32_e32 v21, s9, v17
	ds_bpermute_b32 v30, v34, v18
	ds_bpermute_b32 v31, v34, v19
	v_or_b32_e32 v21, 0x80000000, v21
	v_and_b32_e32 v47, s8, v16
	v_ffbl_b32_e32 v21, v21
	v_add_u32_e32 v21, 32, v21
	v_ffbl_b32_e32 v47, v47
	v_min_u32_e32 v21, v47, v21
	s_waitcnt lgkmcnt(0)
	v_cmp_gt_i64_e32 vcc, v[30:31], v[18:19]
	v_cmp_lt_u32_e64 s[8:9], v33, v21
	v_cndmask_b32_e32 v30, v18, v30, vcc
	s_and_b64 vcc, s[8:9], vcc
	v_cndmask_b32_e64 v30, v18, v30, s[8:9]
	v_cndmask_b32_e32 v31, v19, v31, vcc
	ds_bpermute_b32 v48, v35, v30
	ds_bpermute_b32 v49, v35, v31
	v_subrev_u32_e32 v24, 64, v24
	s_waitcnt lgkmcnt(0)
	v_cmp_gt_i64_e32 vcc, v[48:49], v[30:31]
	v_cndmask_b32_e32 v47, v31, v49, vcc
	v_cndmask_b32_e32 v48, v30, v48, vcc
	v_cmp_gt_u32_e32 vcc, v38, v21
	v_cndmask_b32_e32 v30, v48, v30, vcc
	v_cndmask_b32_e32 v31, v47, v31, vcc
	ds_bpermute_b32 v48, v39, v30
	ds_bpermute_b32 v49, v39, v31
	v_cndmask_b32_e64 v19, v19, v31, s[8:9]
	v_cndmask_b32_e64 v18, v18, v30, s[8:9]
	s_waitcnt lgkmcnt(0)
	v_cmp_gt_i64_e32 vcc, v[48:49], v[30:31]
	v_cndmask_b32_e32 v47, v31, v49, vcc
	v_cndmask_b32_e32 v52, v30, v48, vcc
	v_cmp_gt_u32_e32 vcc, v40, v21
	v_cndmask_b32_e32 v48, v52, v30, vcc
	v_cndmask_b32_e32 v49, v47, v31, vcc
	ds_bpermute_b32 v50, v41, v48
	ds_bpermute_b32 v51, v41, v49
	v_cndmask_b32_e32 v18, v52, v18, vcc
	v_cndmask_b32_e32 v19, v47, v19, vcc
	v_cmp_gt_u32_e32 vcc, v46, v21
	s_waitcnt lgkmcnt(0)
	v_cmp_gt_i64_e64 s[10:11], v[50:51], v[48:49]
	v_cndmask_b32_e64 v53, v49, v51, s[10:11]
	v_cndmask_b32_e64 v54, v48, v50, s[10:11]
	v_cmp_gt_u32_e64 s[10:11], v42, v21
	v_cndmask_b32_e64 v48, v54, v48, s[10:11]
	v_cndmask_b32_e64 v49, v53, v49, s[10:11]
	ds_bpermute_b32 v50, v43, v48
	ds_bpermute_b32 v51, v43, v49
	v_cndmask_b32_e64 v19, v53, v19, s[10:11]
	v_cndmask_b32_e64 v18, v54, v18, s[10:11]
	s_waitcnt lgkmcnt(0)
	v_cmp_gt_i64_e64 s[12:13], v[50:51], v[48:49]
	v_cndmask_b32_e64 v55, v49, v51, s[12:13]
	v_cndmask_b32_e64 v56, v48, v50, s[12:13]
	v_cmp_gt_u32_e64 s[12:13], v44, v21
	v_cndmask_b32_e64 v48, v56, v48, s[12:13]
	v_cndmask_b32_e64 v49, v55, v49, s[12:13]
	ds_bpermute_b32 v50, v45, v48
	ds_bpermute_b32 v51, v45, v49
	v_cndmask_b32_e64 v18, v56, v18, s[12:13]
	v_cndmask_b32_e64 v19, v55, v19, s[12:13]
	s_waitcnt lgkmcnt(0)
	v_cmp_gt_i64_e64 s[14:15], v[50:51], v[48:49]
	v_cndmask_b32_e64 v48, v48, v50, s[14:15]
	v_cndmask_b32_e64 v49, v49, v51, s[14:15]
	v_cndmask_b32_e32 v19, v49, v19, vcc
	v_cndmask_b32_e32 v18, v48, v18, vcc
	v_cmp_gt_i64_e32 vcc, v[18:19], v[26:27]
	v_cndmask_b32_e32 v19, v27, v19, vcc
	v_cndmask_b32_e32 v18, v26, v18, vcc
.LBB3712_34:                            ; =>This Loop Header: Depth=1
                                        ;     Child Loop BB3712_37 Depth 2
	v_cmp_ne_u16_sdwa s[8:9], v20, v32 src0_sel:BYTE_0 src1_sel:DWORD
	v_cndmask_b32_e64 v20, 0, 1, s[8:9]
	;;#ASMSTART
	;;#ASMEND
	v_cmp_ne_u32_e32 vcc, 0, v20
	s_cmp_lg_u64 vcc, exec
	v_pk_mov_b32 v[26:27], v[18:19], v[18:19] op_sel:[0,1]
	s_cbranch_scc1 .LBB3712_39
; %bb.35:                               ;   in Loop: Header=BB3712_34 Depth=1
	v_lshlrev_b64 v[18:19], 4, v[24:25]
	v_mov_b32_e32 v20, s19
	v_add_co_u32_e32 v30, vcc, s18, v18
	v_addc_co_u32_e32 v31, vcc, v20, v19, vcc
	;;#ASMSTART
	global_load_dwordx4 v[18:21], v[30:31] off glc	
s_waitcnt vmcnt(0)
	;;#ASMEND
	v_and_b32_e32 v21, 0xff, v19
	v_and_b32_e32 v47, 0xff00, v19
	v_or3_b32 v21, 0, v21, v47
	v_or3_b32 v18, v18, 0, 0
	v_and_b32_e32 v47, 0xff000000, v19
	v_and_b32_e32 v19, 0xff0000, v19
	v_or3_b32 v19, v21, v19, v47
	v_or3_b32 v18, v18, 0, 0
	v_cmp_eq_u16_sdwa s[10:11], v20, v25 src0_sel:BYTE_0 src1_sel:DWORD
	s_and_saveexec_b64 s[8:9], s[10:11]
	s_cbranch_execz .LBB3712_33
; %bb.36:                               ;   in Loop: Header=BB3712_34 Depth=1
	s_mov_b64 s[10:11], 0
.LBB3712_37:                            ;   Parent Loop BB3712_34 Depth=1
                                        ; =>  This Inner Loop Header: Depth=2
	;;#ASMSTART
	global_load_dwordx4 v[18:21], v[30:31] off glc	
s_waitcnt vmcnt(0)
	;;#ASMEND
	v_cmp_ne_u16_sdwa s[12:13], v20, v25 src0_sel:BYTE_0 src1_sel:DWORD
	s_or_b64 s[10:11], s[12:13], s[10:11]
	s_andn2_b64 exec, exec, s[10:11]
	s_cbranch_execnz .LBB3712_37
; %bb.38:                               ;   in Loop: Header=BB3712_34 Depth=1
	s_or_b64 exec, exec, s[10:11]
	s_branch .LBB3712_33
.LBB3712_39:                            ;   in Loop: Header=BB3712_34 Depth=1
                                        ; implicit-def: $vgpr18_vgpr19
                                        ; implicit-def: $vgpr20
	s_cbranch_execz .LBB3712_34
; %bb.40:
	s_and_saveexec_b64 s[8:9], s[2:3]
	s_cbranch_execz .LBB3712_42
; %bb.41:
	s_add_i32 s2, s6, 64
	s_mov_b32 s3, 0
	s_lshl_b64 s[2:3], s[2:3], 4
	s_add_u32 s2, s18, s2
	v_cmp_gt_i64_e32 vcc, v[26:27], v[14:15]
	s_addc_u32 s3, s19, s3
	v_cndmask_b32_e32 v15, v15, v27, vcc
	v_cndmask_b32_e32 v14, v14, v26, vcc
	v_mov_b32_e32 v16, 2
	v_mov_b32_e32 v17, 0
	v_pk_mov_b32 v[18:19], s[2:3], s[2:3] op_sel:[0,1]
	;;#ASMSTART
	global_store_dwordx4 v[18:19], v[14:17] off	
s_waitcnt vmcnt(0)
	;;#ASMEND
.LBB3712_42:
	s_or_b64 exec, exec, s[8:9]
	s_and_b64 exec, exec, s[0:1]
	s_cbranch_execz .LBB3712_44
; %bb.43:
	v_mov_b32_e32 v14, 0
	ds_write_b64 v14, v[26:27]
.LBB3712_44:
	s_or_b64 exec, exec, s[20:21]
	v_mov_b32_e32 v14, 0
	s_waitcnt lgkmcnt(0)
	s_barrier
	ds_read_b64 v[14:15], v14
	v_cmp_gt_i64_e32 vcc, v[22:23], v[2:3]
	v_cndmask_b32_e32 v16, v2, v22, vcc
	v_cndmask_b32_e32 v17, v3, v23, vcc
	v_cndmask_b32_e64 v17, v17, v3, s[0:1]
	v_cndmask_b32_e64 v16, v16, v2, s[0:1]
	s_waitcnt lgkmcnt(0)
	v_cmp_gt_i64_e32 vcc, v[14:15], v[16:17]
	v_cndmask_b32_e32 v25, v17, v15, vcc
	v_cndmask_b32_e32 v24, v16, v14, vcc
	v_cmp_gt_i64_e32 vcc, v[24:25], v[4:5]
	v_cndmask_b32_e32 v31, v5, v25, vcc
	v_cndmask_b32_e32 v30, v4, v24, vcc
	;; [unrolled: 3-line block ×7, first 2 shown]
	s_load_dwordx8 s[4:11], s[4:5], 0x48
	s_branch .LBB3712_59
.LBB3712_45:
                                        ; implicit-def: $vgpr22_vgpr23
                                        ; implicit-def: $vgpr34_vgpr35
                                        ; implicit-def: $vgpr32_vgpr33
                                        ; implicit-def: $vgpr30_vgpr31
                                        ; implicit-def: $vgpr18_vgpr19_vgpr20_vgpr21
                                        ; implicit-def: $vgpr14_vgpr15_vgpr16_vgpr17
                                        ; implicit-def: $vgpr24_vgpr25_vgpr26_vgpr27
	s_load_dwordx8 s[4:11], s[4:5], 0x48
	s_cbranch_execz .LBB3712_59
; %bb.46:
	s_waitcnt lgkmcnt(0)
	s_cmp_lg_u64 s[8:9], 0
	s_cselect_b64 s[2:3], -1, 0
	v_cmp_eq_u32_e64 s[0:1], 0, v0
	v_cmp_ne_u32_e32 vcc, 0, v0
	s_and_b64 s[2:3], s[0:1], s[2:3]
	s_and_saveexec_b64 s[8:9], s[2:3]
	s_cbranch_execz .LBB3712_48
; %bb.47:
	v_mov_b32_e32 v14, 0
	global_load_dwordx2 v[14:15], v14, s[4:5]
	s_waitcnt vmcnt(0)
	v_cmp_gt_i64_e64 s[2:3], v[14:15], v[2:3]
	v_cndmask_b32_e64 v3, v3, v15, s[2:3]
	v_cndmask_b32_e64 v2, v2, v14, s[2:3]
.LBB3712_48:
	s_or_b64 exec, exec, s[8:9]
	v_cmp_gt_i64_e64 s[2:3], v[2:3], v[4:5]
	v_cndmask_b32_e64 v31, v5, v3, s[2:3]
	v_cndmask_b32_e64 v30, v4, v2, s[2:3]
	v_cmp_gt_i64_e64 s[2:3], v[30:31], v[10:11]
	v_cndmask_b32_e64 v15, v11, v31, s[2:3]
	v_cndmask_b32_e64 v14, v10, v30, s[2:3]
	;; [unrolled: 3-line block ×6, first 2 shown]
	v_add_lshl_u32 v1, v1, v0, 3
	v_cmp_gt_u32_e64 s[2:3], 64, v0
	ds_write_b64 v1, v[22:23]
	s_waitcnt lgkmcnt(0)
	s_barrier
	s_and_saveexec_b64 s[8:9], s[2:3]
	s_cbranch_execz .LBB3712_52
; %bb.49:
	v_lshlrev_b32_e32 v1, 1, v0
	v_lshrrev_b32_e32 v16, 4, v0
	v_add_lshl_u32 v1, v16, v1, 3
	ds_read2_b64 v[24:27], v1 offset1:1
	v_mbcnt_lo_u32_b32 v16, -1, 0
	v_mbcnt_hi_u32_b32 v38, -1, v16
	v_and_b32_e32 v39, 15, v38
	v_and_b32_e32 v41, 16, v38
	s_waitcnt lgkmcnt(0)
	v_cmp_gt_i64_e64 s[2:3], v[24:25], v[26:27]
	v_cndmask_b32_e64 v17, v27, v25, s[2:3]
	v_cndmask_b32_e64 v16, v26, v24, s[2:3]
	v_cmp_ne_u32_e64 s[4:5], 0, v38
	v_mov_b32_dpp v21, v17 row_shr:1 row_mask:0xf bank_mask:0xf
	v_mov_b32_dpp v20, v16 row_shr:1 row_mask:0xf bank_mask:0xf
	v_cmp_gt_i64_e64 s[2:3], v[20:21], v[16:17]
	v_cndmask_b32_e64 v20, v16, v20, s[2:3]
	v_cndmask_b32_e64 v21, v17, v21, s[2:3]
	v_cmp_eq_u32_e64 s[2:3], 0, v39
	v_cndmask_b32_e64 v21, v21, v17, s[2:3]
	v_cndmask_b32_e64 v20, v20, v16, s[2:3]
	s_nop 0
	v_mov_b32_dpp v27, v21 row_shr:2 row_mask:0xf bank_mask:0xf
	v_mov_b32_dpp v26, v20 row_shr:2 row_mask:0xf bank_mask:0xf
	v_cmp_gt_i64_e64 s[2:3], v[26:27], v[20:21]
	v_cndmask_b32_e64 v26, v20, v26, s[2:3]
	v_cndmask_b32_e64 v27, v21, v27, s[2:3]
	v_cmp_lt_u32_e64 s[2:3], 1, v39
	v_cndmask_b32_e64 v21, v21, v27, s[2:3]
	v_cndmask_b32_e64 v20, v20, v26, s[2:3]
	s_nop 0
	v_mov_b32_dpp v27, v21 row_shr:4 row_mask:0xf bank_mask:0xf
	v_mov_b32_dpp v26, v20 row_shr:4 row_mask:0xf bank_mask:0xf
	v_cmp_gt_i64_e64 s[2:3], v[26:27], v[20:21]
	v_cndmask_b32_e64 v26, v20, v26, s[2:3]
	v_cndmask_b32_e64 v27, v21, v27, s[2:3]
	v_cmp_lt_u32_e64 s[2:3], 3, v39
	;; [unrolled: 9-line block ×3, first 2 shown]
	v_cndmask_b32_e64 v21, v21, v27, s[2:3]
	v_cndmask_b32_e64 v20, v20, v26, s[2:3]
	s_nop 0
	v_mov_b32_dpp v27, v21 row_bcast:15 row_mask:0xf bank_mask:0xf
	v_mov_b32_dpp v26, v20 row_bcast:15 row_mask:0xf bank_mask:0xf
	v_cmp_gt_i64_e64 s[2:3], v[26:27], v[20:21]
	v_cndmask_b32_e64 v39, v21, v27, s[2:3]
	v_cndmask_b32_e64 v40, v20, v26, s[2:3]
	v_cmp_eq_u32_e64 s[2:3], 0, v41
	v_cndmask_b32_e64 v27, v39, v21, s[2:3]
	v_cndmask_b32_e64 v26, v40, v20, s[2:3]
	s_nop 0
	v_mov_b32_dpp v27, v27 row_bcast:31 row_mask:0xf bank_mask:0xf
	v_mov_b32_dpp v26, v26 row_bcast:31 row_mask:0xf bank_mask:0xf
	s_and_saveexec_b64 s[12:13], s[4:5]
; %bb.50:
	v_cndmask_b32_e64 v17, v39, v21, s[2:3]
	v_cndmask_b32_e64 v16, v40, v20, s[2:3]
	v_cmp_lt_u32_e64 s[4:5], 31, v38
	v_cmp_gt_i64_e64 s[2:3], v[26:27], v[16:17]
	s_and_b64 s[2:3], s[4:5], s[2:3]
	v_cndmask_b32_e64 v16, v16, v26, s[2:3]
	v_cndmask_b32_e64 v17, v17, v27, s[2:3]
; %bb.51:
	s_or_b64 exec, exec, s[12:13]
	v_add_u32_e32 v20, -1, v38
	v_and_b32_e32 v21, 64, v38
	v_cmp_lt_i32_e64 s[2:3], v20, v21
	v_cndmask_b32_e64 v20, v20, v38, s[2:3]
	v_lshlrev_b32_e32 v20, 2, v20
	ds_bpermute_b32 v16, v20, v16
	ds_bpermute_b32 v17, v20, v17
	; wave barrier
	s_waitcnt lgkmcnt(0)
	v_cmp_gt_i64_e64 s[2:3], v[16:17], v[24:25]
	v_cndmask_b32_e64 v16, v24, v16, s[2:3]
	v_cndmask_b32_e64 v17, v25, v17, s[2:3]
	;; [unrolled: 1-line block ×4, first 2 shown]
	ds_write_b64 v1, v[16:17]
	; wave barrier
	ds_read_b64 v[20:21], v1 offset:8
	s_waitcnt lgkmcnt(0)
	v_cmp_gt_i64_e64 s[0:1], v[16:17], v[20:21]
	v_cndmask_b32_e64 v17, v21, v17, s[0:1]
	v_cndmask_b32_e64 v16, v20, v16, s[0:1]
	ds_write_b64 v1, v[16:17] offset:8
.LBB3712_52:
	s_or_b64 exec, exec, s[8:9]
	v_pk_mov_b32 v[16:17], v[22:23], v[22:23] op_sel:[0,1]
	s_waitcnt lgkmcnt(0)
	s_barrier
	s_and_saveexec_b64 s[0:1], vcc
	s_cbranch_execz .LBB3712_54
; %bb.53:
	v_add_u32_e32 v1, -1, v0
	v_lshrrev_b32_e32 v16, 5, v1
	v_add_lshl_u32 v1, v16, v1, 3
	ds_read_b64 v[16:17], v1
.LBB3712_54:
	s_or_b64 exec, exec, s[0:1]
	s_and_saveexec_b64 s[0:1], vcc
	s_cbranch_execz .LBB3712_56
; %bb.55:
	s_waitcnt lgkmcnt(0)
	v_cmp_gt_i64_e32 vcc, v[16:17], v[2:3]
	v_cndmask_b32_e32 v3, v3, v17, vcc
	v_cndmask_b32_e32 v2, v2, v16, vcc
	v_cmp_gt_i64_e32 vcc, v[2:3], v[4:5]
	v_cndmask_b32_e32 v31, v5, v3, vcc
	v_cndmask_b32_e32 v30, v4, v2, vcc
	;; [unrolled: 3-line block ×7, first 2 shown]
	;;#ASMSTART
	;;#ASMEND
.LBB3712_56:
	s_or_b64 exec, exec, s[0:1]
	s_movk_i32 s0, 0x7f
	v_cmp_eq_u32_e32 vcc, s0, v0
	s_and_saveexec_b64 s[0:1], vcc
	s_cbranch_execz .LBB3712_58
; %bb.57:
	s_add_u32 s2, s18, 0x400
	s_addc_u32 s3, s19, 0
	v_mov_b32_e32 v24, 2
	v_mov_b32_e32 v25, 0
	v_pk_mov_b32 v[4:5], s[2:3], s[2:3] op_sel:[0,1]
	;;#ASMSTART
	global_store_dwordx4 v[4:5], v[22:25] off	
s_waitcnt vmcnt(0)
	;;#ASMEND
.LBB3712_58:
	s_or_b64 exec, exec, s[0:1]
	v_pk_mov_b32 v[24:25], v[2:3], v[2:3] op_sel:[0,1]
.LBB3712_59:
	s_mov_b64 s[0:1], -1
	s_and_b64 vcc, exec, s[16:17]
	s_waitcnt lgkmcnt(0)
	s_barrier
	ds_write2_b64 v37, v[24:25], v[30:31] offset1:1
	ds_write2_b64 v37, v[14:15], v[32:33] offset0:2 offset1:3
	ds_write2_b64 v37, v[18:19], v[34:35] offset0:4 offset1:5
	ds_write_b64 v37, v[22:23] offset:48
	s_waitcnt lgkmcnt(0)
	s_cbranch_vccz .LBB3712_61
; %bb.60:
	s_barrier
	s_mov_b64 s[0:1], 0
.LBB3712_61:
	s_andn2_b64 vcc, exec, s[0:1]
	s_cbranch_vccnz .LBB3712_86
; %bb.62:
	v_cmp_lt_u64_e64 s[0:1], s[10:11], 2
	s_and_b64 vcc, exec, s[0:1]
	s_barrier
	s_cbranch_vccnz .LBB3712_86
; %bb.63:
	s_add_u32 s0, s22, -1
	s_addc_u32 s1, s23, -1
	s_add_u32 s2, 0, 0x92481000
	s_addc_u32 s3, 0, 0x64
	s_add_i32 s3, s3, 0x249248c0
	s_mul_hi_u32 s9, s2, -7
	s_sub_i32 s9, s9, s2
	s_mul_i32 s10, s3, -7
	s_mul_i32 s4, s2, -7
	s_add_i32 s9, s9, s10
	s_mul_hi_u32 s5, s3, s4
	s_mul_i32 s8, s3, s4
	s_mul_i32 s11, s2, s9
	s_mul_hi_u32 s4, s2, s4
	s_mul_hi_u32 s10, s2, s9
	s_add_u32 s4, s4, s11
	s_addc_u32 s10, 0, s10
	s_add_u32 s4, s4, s8
	s_mul_hi_u32 s11, s3, s9
	s_addc_u32 s4, s10, s5
	s_addc_u32 s5, s11, 0
	s_mul_i32 s8, s3, s9
	s_add_u32 s4, s4, s8
	v_mov_b32_e32 v2, s4
	s_addc_u32 s5, 0, s5
	v_add_co_u32_e32 v2, vcc, s2, v2
	s_cmp_lg_u64 vcc, 0
	s_addc_u32 s2, s3, s5
	v_readfirstlane_b32 s5, v2
	s_mul_i32 s4, s0, s2
	s_mul_hi_u32 s8, s0, s5
	s_mul_hi_u32 s3, s0, s2
	s_add_u32 s4, s8, s4
	s_addc_u32 s3, 0, s3
	s_mul_hi_u32 s9, s1, s5
	s_mul_i32 s5, s1, s5
	s_add_u32 s4, s4, s5
	s_mul_hi_u32 s8, s1, s2
	s_addc_u32 s3, s3, s9
	s_addc_u32 s4, s8, 0
	s_mul_i32 s2, s1, s2
	s_add_u32 s2, s3, s2
	s_addc_u32 s3, 0, s4
	s_add_u32 s4, s2, 1
	s_addc_u32 s5, s3, 0
	s_add_u32 s8, s2, 2
	s_mul_i32 s10, s3, 7
	s_mul_hi_u32 s11, s2, 7
	s_addc_u32 s9, s3, 0
	s_add_i32 s11, s11, s10
	s_mul_i32 s10, s2, 7
	v_mov_b32_e32 v2, s10
	v_sub_co_u32_e32 v2, vcc, s0, v2
	s_cmp_lg_u64 vcc, 0
	s_subb_u32 s10, s1, s11
	v_subrev_co_u32_e32 v3, vcc, 7, v2
	s_cmp_lg_u64 vcc, 0
	s_subb_u32 s11, s10, 0
	v_readfirstlane_b32 s12, v3
	s_cmp_gt_u32 s12, 6
	s_cselect_b32 s12, -1, 0
	s_cmp_eq_u32 s11, 0
	s_cselect_b32 s11, s12, -1
	s_cmp_lg_u32 s11, 0
	s_cselect_b32 s4, s8, s4
	v_readfirstlane_b32 s8, v2
	s_cselect_b32 s5, s9, s5
	s_cmp_gt_u32 s8, 6
	s_cselect_b32 s8, -1, 0
	s_cmp_eq_u32 s10, 0
	s_cselect_b32 s8, s8, -1
	s_cmp_lg_u32 s8, 0
	v_mov_b32_e32 v1, 0
	s_cselect_b32 s3, s5, s3
	s_cselect_b32 s2, s4, s2
	v_cmp_eq_u64_e32 vcc, s[2:3], v[0:1]
	s_and_saveexec_b64 s[2:3], vcc
	s_cbranch_execz .LBB3712_86
; %bb.64:
	s_movk_i32 s2, 0xffd0
	v_mad_i32_i24 v2, v0, s2, v37
	v_mul_hi_u32_u24_e32 v1, 7, v0
	v_mov_b32_e32 v3, s1
	v_sub_co_u32_e32 v0, vcc, s0, v36
	v_subb_co_u32_e32 v1, vcc, v3, v1, vcc
	v_cmp_lt_i64_e32 vcc, 3, v[0:1]
	s_and_saveexec_b64 s[0:1], vcc
	s_xor_b64 s[0:1], exec, s[0:1]
	s_cbranch_execz .LBB3712_74
; %bb.65:
	v_cmp_lt_i64_e32 vcc, 4, v[0:1]
	s_and_saveexec_b64 s[2:3], vcc
	s_xor_b64 s[2:3], exec, s[2:3]
	s_cbranch_execz .LBB3712_71
; %bb.66:
	v_cmp_lt_i64_e32 vcc, 5, v[0:1]
	s_and_saveexec_b64 s[4:5], vcc
	s_xor_b64 s[4:5], exec, s[4:5]
	s_cbranch_execz .LBB3712_68
; %bb.67:
	ds_read_b64 v[0:1], v2 offset:6144
	v_mov_b32_e32 v2, 0
	s_waitcnt lgkmcnt(0)
	global_store_dwordx2 v2, v[0:1], s[6:7]
                                        ; implicit-def: $vgpr2
.LBB3712_68:
	s_andn2_saveexec_b64 s[4:5], s[4:5]
	s_cbranch_execz .LBB3712_70
; %bb.69:
	ds_read_b64 v[0:1], v2 offset:5120
	v_mov_b32_e32 v2, 0
	s_waitcnt lgkmcnt(0)
	global_store_dwordx2 v2, v[0:1], s[6:7]
.LBB3712_70:
	s_or_b64 exec, exec, s[4:5]
                                        ; implicit-def: $vgpr2
.LBB3712_71:
	s_andn2_saveexec_b64 s[2:3], s[2:3]
	s_cbranch_execz .LBB3712_73
; %bb.72:
	ds_read_b64 v[0:1], v2 offset:4096
	v_mov_b32_e32 v2, 0
	s_waitcnt lgkmcnt(0)
	global_store_dwordx2 v2, v[0:1], s[6:7]
.LBB3712_73:
	s_or_b64 exec, exec, s[2:3]
                                        ; implicit-def: $vgpr0_vgpr1
                                        ; implicit-def: $vgpr2
.LBB3712_74:
	s_andn2_saveexec_b64 s[0:1], s[0:1]
	s_cbranch_execz .LBB3712_86
; %bb.75:
	v_cmp_lt_i64_e32 vcc, 1, v[0:1]
	s_and_saveexec_b64 s[0:1], vcc
	s_xor_b64 s[0:1], exec, s[0:1]
	s_cbranch_execz .LBB3712_81
; %bb.76:
	v_cmp_lt_i64_e32 vcc, 2, v[0:1]
	s_and_saveexec_b64 s[2:3], vcc
	s_xor_b64 s[2:3], exec, s[2:3]
	s_cbranch_execz .LBB3712_78
; %bb.77:
	ds_read_b64 v[0:1], v2 offset:3072
	v_mov_b32_e32 v2, 0
	s_waitcnt lgkmcnt(0)
	global_store_dwordx2 v2, v[0:1], s[6:7]
                                        ; implicit-def: $vgpr2
.LBB3712_78:
	s_andn2_saveexec_b64 s[2:3], s[2:3]
	s_cbranch_execz .LBB3712_80
; %bb.79:
	ds_read_b64 v[0:1], v2 offset:2048
	v_mov_b32_e32 v2, 0
	s_waitcnt lgkmcnt(0)
	global_store_dwordx2 v2, v[0:1], s[6:7]
.LBB3712_80:
	s_or_b64 exec, exec, s[2:3]
                                        ; implicit-def: $vgpr2
                                        ; implicit-def: $vgpr0_vgpr1
.LBB3712_81:
	s_andn2_saveexec_b64 s[0:1], s[0:1]
	s_cbranch_execz .LBB3712_86
; %bb.82:
	v_cmp_ne_u64_e32 vcc, 1, v[0:1]
	s_and_saveexec_b64 s[0:1], vcc
	s_xor_b64 s[0:1], exec, s[0:1]
	s_cbranch_execz .LBB3712_84
; %bb.83:
	ds_read_b64 v[0:1], v2
	v_mov_b32_e32 v2, 0
	s_waitcnt lgkmcnt(0)
	global_store_dwordx2 v2, v[0:1], s[6:7]
                                        ; implicit-def: $vgpr2
.LBB3712_84:
	s_andn2_saveexec_b64 s[0:1], s[0:1]
	s_cbranch_execz .LBB3712_86
; %bb.85:
	ds_read_b64 v[0:1], v2 offset:1024
	v_mov_b32_e32 v2, 0
	s_waitcnt lgkmcnt(0)
	global_store_dwordx2 v2, v[0:1], s[6:7]
.LBB3712_86:
	s_endpgm
	.section	.rodata,"a",@progbits
	.p2align	6, 0x0
	.amdhsa_kernel _ZN7rocprim17ROCPRIM_400000_NS6detail17trampoline_kernelINS0_14default_configENS1_20scan_config_selectorIxEEZZNS1_9scan_implILNS1_25lookback_scan_determinismE0ELb0ELb0ES3_N6thrust23THRUST_200600_302600_NS6detail15normal_iteratorINS9_10device_ptrIxEEEENS9_16discard_iteratorINS9_11use_defaultEEEx11max_functorIxExEEDaPvRmT3_T4_T5_mT6_P12ihipStream_tbENKUlT_T0_E_clISt17integral_constantIbLb0EESX_EEDaSS_ST_EUlSS_E_NS1_11comp_targetILNS1_3genE4ELNS1_11target_archE910ELNS1_3gpuE8ELNS1_3repE0EEENS1_30default_config_static_selectorELNS0_4arch9wavefront6targetE1EEEvT1_
		.amdhsa_group_segment_fixed_size 7168
		.amdhsa_private_segment_fixed_size 0
		.amdhsa_kernarg_size 112
		.amdhsa_user_sgpr_count 6
		.amdhsa_user_sgpr_private_segment_buffer 1
		.amdhsa_user_sgpr_dispatch_ptr 0
		.amdhsa_user_sgpr_queue_ptr 0
		.amdhsa_user_sgpr_kernarg_segment_ptr 1
		.amdhsa_user_sgpr_dispatch_id 0
		.amdhsa_user_sgpr_flat_scratch_init 0
		.amdhsa_user_sgpr_kernarg_preload_length 0
		.amdhsa_user_sgpr_kernarg_preload_offset 0
		.amdhsa_user_sgpr_private_segment_size 0
		.amdhsa_uses_dynamic_stack 0
		.amdhsa_system_sgpr_private_segment_wavefront_offset 0
		.amdhsa_system_sgpr_workgroup_id_x 1
		.amdhsa_system_sgpr_workgroup_id_y 0
		.amdhsa_system_sgpr_workgroup_id_z 0
		.amdhsa_system_sgpr_workgroup_info 0
		.amdhsa_system_vgpr_workitem_id 0
		.amdhsa_next_free_vgpr 57
		.amdhsa_next_free_sgpr 24
		.amdhsa_accum_offset 60
		.amdhsa_reserve_vcc 1
		.amdhsa_reserve_flat_scratch 0
		.amdhsa_float_round_mode_32 0
		.amdhsa_float_round_mode_16_64 0
		.amdhsa_float_denorm_mode_32 3
		.amdhsa_float_denorm_mode_16_64 3
		.amdhsa_dx10_clamp 1
		.amdhsa_ieee_mode 1
		.amdhsa_fp16_overflow 0
		.amdhsa_tg_split 0
		.amdhsa_exception_fp_ieee_invalid_op 0
		.amdhsa_exception_fp_denorm_src 0
		.amdhsa_exception_fp_ieee_div_zero 0
		.amdhsa_exception_fp_ieee_overflow 0
		.amdhsa_exception_fp_ieee_underflow 0
		.amdhsa_exception_fp_ieee_inexact 0
		.amdhsa_exception_int_div_zero 0
	.end_amdhsa_kernel
	.section	.text._ZN7rocprim17ROCPRIM_400000_NS6detail17trampoline_kernelINS0_14default_configENS1_20scan_config_selectorIxEEZZNS1_9scan_implILNS1_25lookback_scan_determinismE0ELb0ELb0ES3_N6thrust23THRUST_200600_302600_NS6detail15normal_iteratorINS9_10device_ptrIxEEEENS9_16discard_iteratorINS9_11use_defaultEEEx11max_functorIxExEEDaPvRmT3_T4_T5_mT6_P12ihipStream_tbENKUlT_T0_E_clISt17integral_constantIbLb0EESX_EEDaSS_ST_EUlSS_E_NS1_11comp_targetILNS1_3genE4ELNS1_11target_archE910ELNS1_3gpuE8ELNS1_3repE0EEENS1_30default_config_static_selectorELNS0_4arch9wavefront6targetE1EEEvT1_,"axG",@progbits,_ZN7rocprim17ROCPRIM_400000_NS6detail17trampoline_kernelINS0_14default_configENS1_20scan_config_selectorIxEEZZNS1_9scan_implILNS1_25lookback_scan_determinismE0ELb0ELb0ES3_N6thrust23THRUST_200600_302600_NS6detail15normal_iteratorINS9_10device_ptrIxEEEENS9_16discard_iteratorINS9_11use_defaultEEEx11max_functorIxExEEDaPvRmT3_T4_T5_mT6_P12ihipStream_tbENKUlT_T0_E_clISt17integral_constantIbLb0EESX_EEDaSS_ST_EUlSS_E_NS1_11comp_targetILNS1_3genE4ELNS1_11target_archE910ELNS1_3gpuE8ELNS1_3repE0EEENS1_30default_config_static_selectorELNS0_4arch9wavefront6targetE1EEEvT1_,comdat
.Lfunc_end3712:
	.size	_ZN7rocprim17ROCPRIM_400000_NS6detail17trampoline_kernelINS0_14default_configENS1_20scan_config_selectorIxEEZZNS1_9scan_implILNS1_25lookback_scan_determinismE0ELb0ELb0ES3_N6thrust23THRUST_200600_302600_NS6detail15normal_iteratorINS9_10device_ptrIxEEEENS9_16discard_iteratorINS9_11use_defaultEEEx11max_functorIxExEEDaPvRmT3_T4_T5_mT6_P12ihipStream_tbENKUlT_T0_E_clISt17integral_constantIbLb0EESX_EEDaSS_ST_EUlSS_E_NS1_11comp_targetILNS1_3genE4ELNS1_11target_archE910ELNS1_3gpuE8ELNS1_3repE0EEENS1_30default_config_static_selectorELNS0_4arch9wavefront6targetE1EEEvT1_, .Lfunc_end3712-_ZN7rocprim17ROCPRIM_400000_NS6detail17trampoline_kernelINS0_14default_configENS1_20scan_config_selectorIxEEZZNS1_9scan_implILNS1_25lookback_scan_determinismE0ELb0ELb0ES3_N6thrust23THRUST_200600_302600_NS6detail15normal_iteratorINS9_10device_ptrIxEEEENS9_16discard_iteratorINS9_11use_defaultEEEx11max_functorIxExEEDaPvRmT3_T4_T5_mT6_P12ihipStream_tbENKUlT_T0_E_clISt17integral_constantIbLb0EESX_EEDaSS_ST_EUlSS_E_NS1_11comp_targetILNS1_3genE4ELNS1_11target_archE910ELNS1_3gpuE8ELNS1_3repE0EEENS1_30default_config_static_selectorELNS0_4arch9wavefront6targetE1EEEvT1_
                                        ; -- End function
	.section	.AMDGPU.csdata,"",@progbits
; Kernel info:
; codeLenInByte = 5584
; NumSgprs: 28
; NumVgprs: 57
; NumAgprs: 0
; TotalNumVgprs: 57
; ScratchSize: 0
; MemoryBound: 0
; FloatMode: 240
; IeeeMode: 1
; LDSByteSize: 7168 bytes/workgroup (compile time only)
; SGPRBlocks: 3
; VGPRBlocks: 7
; NumSGPRsForWavesPerEU: 28
; NumVGPRsForWavesPerEU: 57
; AccumOffset: 60
; Occupancy: 5
; WaveLimiterHint : 1
; COMPUTE_PGM_RSRC2:SCRATCH_EN: 0
; COMPUTE_PGM_RSRC2:USER_SGPR: 6
; COMPUTE_PGM_RSRC2:TRAP_HANDLER: 0
; COMPUTE_PGM_RSRC2:TGID_X_EN: 1
; COMPUTE_PGM_RSRC2:TGID_Y_EN: 0
; COMPUTE_PGM_RSRC2:TGID_Z_EN: 0
; COMPUTE_PGM_RSRC2:TIDIG_COMP_CNT: 0
; COMPUTE_PGM_RSRC3_GFX90A:ACCUM_OFFSET: 14
; COMPUTE_PGM_RSRC3_GFX90A:TG_SPLIT: 0
	.section	.text._ZN7rocprim17ROCPRIM_400000_NS6detail17trampoline_kernelINS0_14default_configENS1_20scan_config_selectorIxEEZZNS1_9scan_implILNS1_25lookback_scan_determinismE0ELb0ELb0ES3_N6thrust23THRUST_200600_302600_NS6detail15normal_iteratorINS9_10device_ptrIxEEEENS9_16discard_iteratorINS9_11use_defaultEEEx11max_functorIxExEEDaPvRmT3_T4_T5_mT6_P12ihipStream_tbENKUlT_T0_E_clISt17integral_constantIbLb0EESX_EEDaSS_ST_EUlSS_E_NS1_11comp_targetILNS1_3genE3ELNS1_11target_archE908ELNS1_3gpuE7ELNS1_3repE0EEENS1_30default_config_static_selectorELNS0_4arch9wavefront6targetE1EEEvT1_,"axG",@progbits,_ZN7rocprim17ROCPRIM_400000_NS6detail17trampoline_kernelINS0_14default_configENS1_20scan_config_selectorIxEEZZNS1_9scan_implILNS1_25lookback_scan_determinismE0ELb0ELb0ES3_N6thrust23THRUST_200600_302600_NS6detail15normal_iteratorINS9_10device_ptrIxEEEENS9_16discard_iteratorINS9_11use_defaultEEEx11max_functorIxExEEDaPvRmT3_T4_T5_mT6_P12ihipStream_tbENKUlT_T0_E_clISt17integral_constantIbLb0EESX_EEDaSS_ST_EUlSS_E_NS1_11comp_targetILNS1_3genE3ELNS1_11target_archE908ELNS1_3gpuE7ELNS1_3repE0EEENS1_30default_config_static_selectorELNS0_4arch9wavefront6targetE1EEEvT1_,comdat
	.protected	_ZN7rocprim17ROCPRIM_400000_NS6detail17trampoline_kernelINS0_14default_configENS1_20scan_config_selectorIxEEZZNS1_9scan_implILNS1_25lookback_scan_determinismE0ELb0ELb0ES3_N6thrust23THRUST_200600_302600_NS6detail15normal_iteratorINS9_10device_ptrIxEEEENS9_16discard_iteratorINS9_11use_defaultEEEx11max_functorIxExEEDaPvRmT3_T4_T5_mT6_P12ihipStream_tbENKUlT_T0_E_clISt17integral_constantIbLb0EESX_EEDaSS_ST_EUlSS_E_NS1_11comp_targetILNS1_3genE3ELNS1_11target_archE908ELNS1_3gpuE7ELNS1_3repE0EEENS1_30default_config_static_selectorELNS0_4arch9wavefront6targetE1EEEvT1_ ; -- Begin function _ZN7rocprim17ROCPRIM_400000_NS6detail17trampoline_kernelINS0_14default_configENS1_20scan_config_selectorIxEEZZNS1_9scan_implILNS1_25lookback_scan_determinismE0ELb0ELb0ES3_N6thrust23THRUST_200600_302600_NS6detail15normal_iteratorINS9_10device_ptrIxEEEENS9_16discard_iteratorINS9_11use_defaultEEEx11max_functorIxExEEDaPvRmT3_T4_T5_mT6_P12ihipStream_tbENKUlT_T0_E_clISt17integral_constantIbLb0EESX_EEDaSS_ST_EUlSS_E_NS1_11comp_targetILNS1_3genE3ELNS1_11target_archE908ELNS1_3gpuE7ELNS1_3repE0EEENS1_30default_config_static_selectorELNS0_4arch9wavefront6targetE1EEEvT1_
	.globl	_ZN7rocprim17ROCPRIM_400000_NS6detail17trampoline_kernelINS0_14default_configENS1_20scan_config_selectorIxEEZZNS1_9scan_implILNS1_25lookback_scan_determinismE0ELb0ELb0ES3_N6thrust23THRUST_200600_302600_NS6detail15normal_iteratorINS9_10device_ptrIxEEEENS9_16discard_iteratorINS9_11use_defaultEEEx11max_functorIxExEEDaPvRmT3_T4_T5_mT6_P12ihipStream_tbENKUlT_T0_E_clISt17integral_constantIbLb0EESX_EEDaSS_ST_EUlSS_E_NS1_11comp_targetILNS1_3genE3ELNS1_11target_archE908ELNS1_3gpuE7ELNS1_3repE0EEENS1_30default_config_static_selectorELNS0_4arch9wavefront6targetE1EEEvT1_
	.p2align	8
	.type	_ZN7rocprim17ROCPRIM_400000_NS6detail17trampoline_kernelINS0_14default_configENS1_20scan_config_selectorIxEEZZNS1_9scan_implILNS1_25lookback_scan_determinismE0ELb0ELb0ES3_N6thrust23THRUST_200600_302600_NS6detail15normal_iteratorINS9_10device_ptrIxEEEENS9_16discard_iteratorINS9_11use_defaultEEEx11max_functorIxExEEDaPvRmT3_T4_T5_mT6_P12ihipStream_tbENKUlT_T0_E_clISt17integral_constantIbLb0EESX_EEDaSS_ST_EUlSS_E_NS1_11comp_targetILNS1_3genE3ELNS1_11target_archE908ELNS1_3gpuE7ELNS1_3repE0EEENS1_30default_config_static_selectorELNS0_4arch9wavefront6targetE1EEEvT1_,@function
_ZN7rocprim17ROCPRIM_400000_NS6detail17trampoline_kernelINS0_14default_configENS1_20scan_config_selectorIxEEZZNS1_9scan_implILNS1_25lookback_scan_determinismE0ELb0ELb0ES3_N6thrust23THRUST_200600_302600_NS6detail15normal_iteratorINS9_10device_ptrIxEEEENS9_16discard_iteratorINS9_11use_defaultEEEx11max_functorIxExEEDaPvRmT3_T4_T5_mT6_P12ihipStream_tbENKUlT_T0_E_clISt17integral_constantIbLb0EESX_EEDaSS_ST_EUlSS_E_NS1_11comp_targetILNS1_3genE3ELNS1_11target_archE908ELNS1_3gpuE7ELNS1_3repE0EEENS1_30default_config_static_selectorELNS0_4arch9wavefront6targetE1EEEvT1_: ; @_ZN7rocprim17ROCPRIM_400000_NS6detail17trampoline_kernelINS0_14default_configENS1_20scan_config_selectorIxEEZZNS1_9scan_implILNS1_25lookback_scan_determinismE0ELb0ELb0ES3_N6thrust23THRUST_200600_302600_NS6detail15normal_iteratorINS9_10device_ptrIxEEEENS9_16discard_iteratorINS9_11use_defaultEEEx11max_functorIxExEEDaPvRmT3_T4_T5_mT6_P12ihipStream_tbENKUlT_T0_E_clISt17integral_constantIbLb0EESX_EEDaSS_ST_EUlSS_E_NS1_11comp_targetILNS1_3genE3ELNS1_11target_archE908ELNS1_3gpuE7ELNS1_3repE0EEENS1_30default_config_static_selectorELNS0_4arch9wavefront6targetE1EEEvT1_
; %bb.0:
	.section	.rodata,"a",@progbits
	.p2align	6, 0x0
	.amdhsa_kernel _ZN7rocprim17ROCPRIM_400000_NS6detail17trampoline_kernelINS0_14default_configENS1_20scan_config_selectorIxEEZZNS1_9scan_implILNS1_25lookback_scan_determinismE0ELb0ELb0ES3_N6thrust23THRUST_200600_302600_NS6detail15normal_iteratorINS9_10device_ptrIxEEEENS9_16discard_iteratorINS9_11use_defaultEEEx11max_functorIxExEEDaPvRmT3_T4_T5_mT6_P12ihipStream_tbENKUlT_T0_E_clISt17integral_constantIbLb0EESX_EEDaSS_ST_EUlSS_E_NS1_11comp_targetILNS1_3genE3ELNS1_11target_archE908ELNS1_3gpuE7ELNS1_3repE0EEENS1_30default_config_static_selectorELNS0_4arch9wavefront6targetE1EEEvT1_
		.amdhsa_group_segment_fixed_size 0
		.amdhsa_private_segment_fixed_size 0
		.amdhsa_kernarg_size 112
		.amdhsa_user_sgpr_count 6
		.amdhsa_user_sgpr_private_segment_buffer 1
		.amdhsa_user_sgpr_dispatch_ptr 0
		.amdhsa_user_sgpr_queue_ptr 0
		.amdhsa_user_sgpr_kernarg_segment_ptr 1
		.amdhsa_user_sgpr_dispatch_id 0
		.amdhsa_user_sgpr_flat_scratch_init 0
		.amdhsa_user_sgpr_kernarg_preload_length 0
		.amdhsa_user_sgpr_kernarg_preload_offset 0
		.amdhsa_user_sgpr_private_segment_size 0
		.amdhsa_uses_dynamic_stack 0
		.amdhsa_system_sgpr_private_segment_wavefront_offset 0
		.amdhsa_system_sgpr_workgroup_id_x 1
		.amdhsa_system_sgpr_workgroup_id_y 0
		.amdhsa_system_sgpr_workgroup_id_z 0
		.amdhsa_system_sgpr_workgroup_info 0
		.amdhsa_system_vgpr_workitem_id 0
		.amdhsa_next_free_vgpr 1
		.amdhsa_next_free_sgpr 0
		.amdhsa_accum_offset 4
		.amdhsa_reserve_vcc 0
		.amdhsa_reserve_flat_scratch 0
		.amdhsa_float_round_mode_32 0
		.amdhsa_float_round_mode_16_64 0
		.amdhsa_float_denorm_mode_32 3
		.amdhsa_float_denorm_mode_16_64 3
		.amdhsa_dx10_clamp 1
		.amdhsa_ieee_mode 1
		.amdhsa_fp16_overflow 0
		.amdhsa_tg_split 0
		.amdhsa_exception_fp_ieee_invalid_op 0
		.amdhsa_exception_fp_denorm_src 0
		.amdhsa_exception_fp_ieee_div_zero 0
		.amdhsa_exception_fp_ieee_overflow 0
		.amdhsa_exception_fp_ieee_underflow 0
		.amdhsa_exception_fp_ieee_inexact 0
		.amdhsa_exception_int_div_zero 0
	.end_amdhsa_kernel
	.section	.text._ZN7rocprim17ROCPRIM_400000_NS6detail17trampoline_kernelINS0_14default_configENS1_20scan_config_selectorIxEEZZNS1_9scan_implILNS1_25lookback_scan_determinismE0ELb0ELb0ES3_N6thrust23THRUST_200600_302600_NS6detail15normal_iteratorINS9_10device_ptrIxEEEENS9_16discard_iteratorINS9_11use_defaultEEEx11max_functorIxExEEDaPvRmT3_T4_T5_mT6_P12ihipStream_tbENKUlT_T0_E_clISt17integral_constantIbLb0EESX_EEDaSS_ST_EUlSS_E_NS1_11comp_targetILNS1_3genE3ELNS1_11target_archE908ELNS1_3gpuE7ELNS1_3repE0EEENS1_30default_config_static_selectorELNS0_4arch9wavefront6targetE1EEEvT1_,"axG",@progbits,_ZN7rocprim17ROCPRIM_400000_NS6detail17trampoline_kernelINS0_14default_configENS1_20scan_config_selectorIxEEZZNS1_9scan_implILNS1_25lookback_scan_determinismE0ELb0ELb0ES3_N6thrust23THRUST_200600_302600_NS6detail15normal_iteratorINS9_10device_ptrIxEEEENS9_16discard_iteratorINS9_11use_defaultEEEx11max_functorIxExEEDaPvRmT3_T4_T5_mT6_P12ihipStream_tbENKUlT_T0_E_clISt17integral_constantIbLb0EESX_EEDaSS_ST_EUlSS_E_NS1_11comp_targetILNS1_3genE3ELNS1_11target_archE908ELNS1_3gpuE7ELNS1_3repE0EEENS1_30default_config_static_selectorELNS0_4arch9wavefront6targetE1EEEvT1_,comdat
.Lfunc_end3713:
	.size	_ZN7rocprim17ROCPRIM_400000_NS6detail17trampoline_kernelINS0_14default_configENS1_20scan_config_selectorIxEEZZNS1_9scan_implILNS1_25lookback_scan_determinismE0ELb0ELb0ES3_N6thrust23THRUST_200600_302600_NS6detail15normal_iteratorINS9_10device_ptrIxEEEENS9_16discard_iteratorINS9_11use_defaultEEEx11max_functorIxExEEDaPvRmT3_T4_T5_mT6_P12ihipStream_tbENKUlT_T0_E_clISt17integral_constantIbLb0EESX_EEDaSS_ST_EUlSS_E_NS1_11comp_targetILNS1_3genE3ELNS1_11target_archE908ELNS1_3gpuE7ELNS1_3repE0EEENS1_30default_config_static_selectorELNS0_4arch9wavefront6targetE1EEEvT1_, .Lfunc_end3713-_ZN7rocprim17ROCPRIM_400000_NS6detail17trampoline_kernelINS0_14default_configENS1_20scan_config_selectorIxEEZZNS1_9scan_implILNS1_25lookback_scan_determinismE0ELb0ELb0ES3_N6thrust23THRUST_200600_302600_NS6detail15normal_iteratorINS9_10device_ptrIxEEEENS9_16discard_iteratorINS9_11use_defaultEEEx11max_functorIxExEEDaPvRmT3_T4_T5_mT6_P12ihipStream_tbENKUlT_T0_E_clISt17integral_constantIbLb0EESX_EEDaSS_ST_EUlSS_E_NS1_11comp_targetILNS1_3genE3ELNS1_11target_archE908ELNS1_3gpuE7ELNS1_3repE0EEENS1_30default_config_static_selectorELNS0_4arch9wavefront6targetE1EEEvT1_
                                        ; -- End function
	.section	.AMDGPU.csdata,"",@progbits
; Kernel info:
; codeLenInByte = 0
; NumSgprs: 4
; NumVgprs: 0
; NumAgprs: 0
; TotalNumVgprs: 0
; ScratchSize: 0
; MemoryBound: 0
; FloatMode: 240
; IeeeMode: 1
; LDSByteSize: 0 bytes/workgroup (compile time only)
; SGPRBlocks: 0
; VGPRBlocks: 0
; NumSGPRsForWavesPerEU: 4
; NumVGPRsForWavesPerEU: 1
; AccumOffset: 4
; Occupancy: 8
; WaveLimiterHint : 0
; COMPUTE_PGM_RSRC2:SCRATCH_EN: 0
; COMPUTE_PGM_RSRC2:USER_SGPR: 6
; COMPUTE_PGM_RSRC2:TRAP_HANDLER: 0
; COMPUTE_PGM_RSRC2:TGID_X_EN: 1
; COMPUTE_PGM_RSRC2:TGID_Y_EN: 0
; COMPUTE_PGM_RSRC2:TGID_Z_EN: 0
; COMPUTE_PGM_RSRC2:TIDIG_COMP_CNT: 0
; COMPUTE_PGM_RSRC3_GFX90A:ACCUM_OFFSET: 0
; COMPUTE_PGM_RSRC3_GFX90A:TG_SPLIT: 0
	.section	.text._ZN7rocprim17ROCPRIM_400000_NS6detail17trampoline_kernelINS0_14default_configENS1_20scan_config_selectorIxEEZZNS1_9scan_implILNS1_25lookback_scan_determinismE0ELb0ELb0ES3_N6thrust23THRUST_200600_302600_NS6detail15normal_iteratorINS9_10device_ptrIxEEEENS9_16discard_iteratorINS9_11use_defaultEEEx11max_functorIxExEEDaPvRmT3_T4_T5_mT6_P12ihipStream_tbENKUlT_T0_E_clISt17integral_constantIbLb0EESX_EEDaSS_ST_EUlSS_E_NS1_11comp_targetILNS1_3genE2ELNS1_11target_archE906ELNS1_3gpuE6ELNS1_3repE0EEENS1_30default_config_static_selectorELNS0_4arch9wavefront6targetE1EEEvT1_,"axG",@progbits,_ZN7rocprim17ROCPRIM_400000_NS6detail17trampoline_kernelINS0_14default_configENS1_20scan_config_selectorIxEEZZNS1_9scan_implILNS1_25lookback_scan_determinismE0ELb0ELb0ES3_N6thrust23THRUST_200600_302600_NS6detail15normal_iteratorINS9_10device_ptrIxEEEENS9_16discard_iteratorINS9_11use_defaultEEEx11max_functorIxExEEDaPvRmT3_T4_T5_mT6_P12ihipStream_tbENKUlT_T0_E_clISt17integral_constantIbLb0EESX_EEDaSS_ST_EUlSS_E_NS1_11comp_targetILNS1_3genE2ELNS1_11target_archE906ELNS1_3gpuE6ELNS1_3repE0EEENS1_30default_config_static_selectorELNS0_4arch9wavefront6targetE1EEEvT1_,comdat
	.protected	_ZN7rocprim17ROCPRIM_400000_NS6detail17trampoline_kernelINS0_14default_configENS1_20scan_config_selectorIxEEZZNS1_9scan_implILNS1_25lookback_scan_determinismE0ELb0ELb0ES3_N6thrust23THRUST_200600_302600_NS6detail15normal_iteratorINS9_10device_ptrIxEEEENS9_16discard_iteratorINS9_11use_defaultEEEx11max_functorIxExEEDaPvRmT3_T4_T5_mT6_P12ihipStream_tbENKUlT_T0_E_clISt17integral_constantIbLb0EESX_EEDaSS_ST_EUlSS_E_NS1_11comp_targetILNS1_3genE2ELNS1_11target_archE906ELNS1_3gpuE6ELNS1_3repE0EEENS1_30default_config_static_selectorELNS0_4arch9wavefront6targetE1EEEvT1_ ; -- Begin function _ZN7rocprim17ROCPRIM_400000_NS6detail17trampoline_kernelINS0_14default_configENS1_20scan_config_selectorIxEEZZNS1_9scan_implILNS1_25lookback_scan_determinismE0ELb0ELb0ES3_N6thrust23THRUST_200600_302600_NS6detail15normal_iteratorINS9_10device_ptrIxEEEENS9_16discard_iteratorINS9_11use_defaultEEEx11max_functorIxExEEDaPvRmT3_T4_T5_mT6_P12ihipStream_tbENKUlT_T0_E_clISt17integral_constantIbLb0EESX_EEDaSS_ST_EUlSS_E_NS1_11comp_targetILNS1_3genE2ELNS1_11target_archE906ELNS1_3gpuE6ELNS1_3repE0EEENS1_30default_config_static_selectorELNS0_4arch9wavefront6targetE1EEEvT1_
	.globl	_ZN7rocprim17ROCPRIM_400000_NS6detail17trampoline_kernelINS0_14default_configENS1_20scan_config_selectorIxEEZZNS1_9scan_implILNS1_25lookback_scan_determinismE0ELb0ELb0ES3_N6thrust23THRUST_200600_302600_NS6detail15normal_iteratorINS9_10device_ptrIxEEEENS9_16discard_iteratorINS9_11use_defaultEEEx11max_functorIxExEEDaPvRmT3_T4_T5_mT6_P12ihipStream_tbENKUlT_T0_E_clISt17integral_constantIbLb0EESX_EEDaSS_ST_EUlSS_E_NS1_11comp_targetILNS1_3genE2ELNS1_11target_archE906ELNS1_3gpuE6ELNS1_3repE0EEENS1_30default_config_static_selectorELNS0_4arch9wavefront6targetE1EEEvT1_
	.p2align	8
	.type	_ZN7rocprim17ROCPRIM_400000_NS6detail17trampoline_kernelINS0_14default_configENS1_20scan_config_selectorIxEEZZNS1_9scan_implILNS1_25lookback_scan_determinismE0ELb0ELb0ES3_N6thrust23THRUST_200600_302600_NS6detail15normal_iteratorINS9_10device_ptrIxEEEENS9_16discard_iteratorINS9_11use_defaultEEEx11max_functorIxExEEDaPvRmT3_T4_T5_mT6_P12ihipStream_tbENKUlT_T0_E_clISt17integral_constantIbLb0EESX_EEDaSS_ST_EUlSS_E_NS1_11comp_targetILNS1_3genE2ELNS1_11target_archE906ELNS1_3gpuE6ELNS1_3repE0EEENS1_30default_config_static_selectorELNS0_4arch9wavefront6targetE1EEEvT1_,@function
_ZN7rocprim17ROCPRIM_400000_NS6detail17trampoline_kernelINS0_14default_configENS1_20scan_config_selectorIxEEZZNS1_9scan_implILNS1_25lookback_scan_determinismE0ELb0ELb0ES3_N6thrust23THRUST_200600_302600_NS6detail15normal_iteratorINS9_10device_ptrIxEEEENS9_16discard_iteratorINS9_11use_defaultEEEx11max_functorIxExEEDaPvRmT3_T4_T5_mT6_P12ihipStream_tbENKUlT_T0_E_clISt17integral_constantIbLb0EESX_EEDaSS_ST_EUlSS_E_NS1_11comp_targetILNS1_3genE2ELNS1_11target_archE906ELNS1_3gpuE6ELNS1_3repE0EEENS1_30default_config_static_selectorELNS0_4arch9wavefront6targetE1EEEvT1_: ; @_ZN7rocprim17ROCPRIM_400000_NS6detail17trampoline_kernelINS0_14default_configENS1_20scan_config_selectorIxEEZZNS1_9scan_implILNS1_25lookback_scan_determinismE0ELb0ELb0ES3_N6thrust23THRUST_200600_302600_NS6detail15normal_iteratorINS9_10device_ptrIxEEEENS9_16discard_iteratorINS9_11use_defaultEEEx11max_functorIxExEEDaPvRmT3_T4_T5_mT6_P12ihipStream_tbENKUlT_T0_E_clISt17integral_constantIbLb0EESX_EEDaSS_ST_EUlSS_E_NS1_11comp_targetILNS1_3genE2ELNS1_11target_archE906ELNS1_3gpuE6ELNS1_3repE0EEENS1_30default_config_static_selectorELNS0_4arch9wavefront6targetE1EEEvT1_
; %bb.0:
	.section	.rodata,"a",@progbits
	.p2align	6, 0x0
	.amdhsa_kernel _ZN7rocprim17ROCPRIM_400000_NS6detail17trampoline_kernelINS0_14default_configENS1_20scan_config_selectorIxEEZZNS1_9scan_implILNS1_25lookback_scan_determinismE0ELb0ELb0ES3_N6thrust23THRUST_200600_302600_NS6detail15normal_iteratorINS9_10device_ptrIxEEEENS9_16discard_iteratorINS9_11use_defaultEEEx11max_functorIxExEEDaPvRmT3_T4_T5_mT6_P12ihipStream_tbENKUlT_T0_E_clISt17integral_constantIbLb0EESX_EEDaSS_ST_EUlSS_E_NS1_11comp_targetILNS1_3genE2ELNS1_11target_archE906ELNS1_3gpuE6ELNS1_3repE0EEENS1_30default_config_static_selectorELNS0_4arch9wavefront6targetE1EEEvT1_
		.amdhsa_group_segment_fixed_size 0
		.amdhsa_private_segment_fixed_size 0
		.amdhsa_kernarg_size 112
		.amdhsa_user_sgpr_count 6
		.amdhsa_user_sgpr_private_segment_buffer 1
		.amdhsa_user_sgpr_dispatch_ptr 0
		.amdhsa_user_sgpr_queue_ptr 0
		.amdhsa_user_sgpr_kernarg_segment_ptr 1
		.amdhsa_user_sgpr_dispatch_id 0
		.amdhsa_user_sgpr_flat_scratch_init 0
		.amdhsa_user_sgpr_kernarg_preload_length 0
		.amdhsa_user_sgpr_kernarg_preload_offset 0
		.amdhsa_user_sgpr_private_segment_size 0
		.amdhsa_uses_dynamic_stack 0
		.amdhsa_system_sgpr_private_segment_wavefront_offset 0
		.amdhsa_system_sgpr_workgroup_id_x 1
		.amdhsa_system_sgpr_workgroup_id_y 0
		.amdhsa_system_sgpr_workgroup_id_z 0
		.amdhsa_system_sgpr_workgroup_info 0
		.amdhsa_system_vgpr_workitem_id 0
		.amdhsa_next_free_vgpr 1
		.amdhsa_next_free_sgpr 0
		.amdhsa_accum_offset 4
		.amdhsa_reserve_vcc 0
		.amdhsa_reserve_flat_scratch 0
		.amdhsa_float_round_mode_32 0
		.amdhsa_float_round_mode_16_64 0
		.amdhsa_float_denorm_mode_32 3
		.amdhsa_float_denorm_mode_16_64 3
		.amdhsa_dx10_clamp 1
		.amdhsa_ieee_mode 1
		.amdhsa_fp16_overflow 0
		.amdhsa_tg_split 0
		.amdhsa_exception_fp_ieee_invalid_op 0
		.amdhsa_exception_fp_denorm_src 0
		.amdhsa_exception_fp_ieee_div_zero 0
		.amdhsa_exception_fp_ieee_overflow 0
		.amdhsa_exception_fp_ieee_underflow 0
		.amdhsa_exception_fp_ieee_inexact 0
		.amdhsa_exception_int_div_zero 0
	.end_amdhsa_kernel
	.section	.text._ZN7rocprim17ROCPRIM_400000_NS6detail17trampoline_kernelINS0_14default_configENS1_20scan_config_selectorIxEEZZNS1_9scan_implILNS1_25lookback_scan_determinismE0ELb0ELb0ES3_N6thrust23THRUST_200600_302600_NS6detail15normal_iteratorINS9_10device_ptrIxEEEENS9_16discard_iteratorINS9_11use_defaultEEEx11max_functorIxExEEDaPvRmT3_T4_T5_mT6_P12ihipStream_tbENKUlT_T0_E_clISt17integral_constantIbLb0EESX_EEDaSS_ST_EUlSS_E_NS1_11comp_targetILNS1_3genE2ELNS1_11target_archE906ELNS1_3gpuE6ELNS1_3repE0EEENS1_30default_config_static_selectorELNS0_4arch9wavefront6targetE1EEEvT1_,"axG",@progbits,_ZN7rocprim17ROCPRIM_400000_NS6detail17trampoline_kernelINS0_14default_configENS1_20scan_config_selectorIxEEZZNS1_9scan_implILNS1_25lookback_scan_determinismE0ELb0ELb0ES3_N6thrust23THRUST_200600_302600_NS6detail15normal_iteratorINS9_10device_ptrIxEEEENS9_16discard_iteratorINS9_11use_defaultEEEx11max_functorIxExEEDaPvRmT3_T4_T5_mT6_P12ihipStream_tbENKUlT_T0_E_clISt17integral_constantIbLb0EESX_EEDaSS_ST_EUlSS_E_NS1_11comp_targetILNS1_3genE2ELNS1_11target_archE906ELNS1_3gpuE6ELNS1_3repE0EEENS1_30default_config_static_selectorELNS0_4arch9wavefront6targetE1EEEvT1_,comdat
.Lfunc_end3714:
	.size	_ZN7rocprim17ROCPRIM_400000_NS6detail17trampoline_kernelINS0_14default_configENS1_20scan_config_selectorIxEEZZNS1_9scan_implILNS1_25lookback_scan_determinismE0ELb0ELb0ES3_N6thrust23THRUST_200600_302600_NS6detail15normal_iteratorINS9_10device_ptrIxEEEENS9_16discard_iteratorINS9_11use_defaultEEEx11max_functorIxExEEDaPvRmT3_T4_T5_mT6_P12ihipStream_tbENKUlT_T0_E_clISt17integral_constantIbLb0EESX_EEDaSS_ST_EUlSS_E_NS1_11comp_targetILNS1_3genE2ELNS1_11target_archE906ELNS1_3gpuE6ELNS1_3repE0EEENS1_30default_config_static_selectorELNS0_4arch9wavefront6targetE1EEEvT1_, .Lfunc_end3714-_ZN7rocprim17ROCPRIM_400000_NS6detail17trampoline_kernelINS0_14default_configENS1_20scan_config_selectorIxEEZZNS1_9scan_implILNS1_25lookback_scan_determinismE0ELb0ELb0ES3_N6thrust23THRUST_200600_302600_NS6detail15normal_iteratorINS9_10device_ptrIxEEEENS9_16discard_iteratorINS9_11use_defaultEEEx11max_functorIxExEEDaPvRmT3_T4_T5_mT6_P12ihipStream_tbENKUlT_T0_E_clISt17integral_constantIbLb0EESX_EEDaSS_ST_EUlSS_E_NS1_11comp_targetILNS1_3genE2ELNS1_11target_archE906ELNS1_3gpuE6ELNS1_3repE0EEENS1_30default_config_static_selectorELNS0_4arch9wavefront6targetE1EEEvT1_
                                        ; -- End function
	.section	.AMDGPU.csdata,"",@progbits
; Kernel info:
; codeLenInByte = 0
; NumSgprs: 4
; NumVgprs: 0
; NumAgprs: 0
; TotalNumVgprs: 0
; ScratchSize: 0
; MemoryBound: 0
; FloatMode: 240
; IeeeMode: 1
; LDSByteSize: 0 bytes/workgroup (compile time only)
; SGPRBlocks: 0
; VGPRBlocks: 0
; NumSGPRsForWavesPerEU: 4
; NumVGPRsForWavesPerEU: 1
; AccumOffset: 4
; Occupancy: 8
; WaveLimiterHint : 0
; COMPUTE_PGM_RSRC2:SCRATCH_EN: 0
; COMPUTE_PGM_RSRC2:USER_SGPR: 6
; COMPUTE_PGM_RSRC2:TRAP_HANDLER: 0
; COMPUTE_PGM_RSRC2:TGID_X_EN: 1
; COMPUTE_PGM_RSRC2:TGID_Y_EN: 0
; COMPUTE_PGM_RSRC2:TGID_Z_EN: 0
; COMPUTE_PGM_RSRC2:TIDIG_COMP_CNT: 0
; COMPUTE_PGM_RSRC3_GFX90A:ACCUM_OFFSET: 0
; COMPUTE_PGM_RSRC3_GFX90A:TG_SPLIT: 0
	.section	.text._ZN7rocprim17ROCPRIM_400000_NS6detail17trampoline_kernelINS0_14default_configENS1_20scan_config_selectorIxEEZZNS1_9scan_implILNS1_25lookback_scan_determinismE0ELb0ELb0ES3_N6thrust23THRUST_200600_302600_NS6detail15normal_iteratorINS9_10device_ptrIxEEEENS9_16discard_iteratorINS9_11use_defaultEEEx11max_functorIxExEEDaPvRmT3_T4_T5_mT6_P12ihipStream_tbENKUlT_T0_E_clISt17integral_constantIbLb0EESX_EEDaSS_ST_EUlSS_E_NS1_11comp_targetILNS1_3genE10ELNS1_11target_archE1201ELNS1_3gpuE5ELNS1_3repE0EEENS1_30default_config_static_selectorELNS0_4arch9wavefront6targetE1EEEvT1_,"axG",@progbits,_ZN7rocprim17ROCPRIM_400000_NS6detail17trampoline_kernelINS0_14default_configENS1_20scan_config_selectorIxEEZZNS1_9scan_implILNS1_25lookback_scan_determinismE0ELb0ELb0ES3_N6thrust23THRUST_200600_302600_NS6detail15normal_iteratorINS9_10device_ptrIxEEEENS9_16discard_iteratorINS9_11use_defaultEEEx11max_functorIxExEEDaPvRmT3_T4_T5_mT6_P12ihipStream_tbENKUlT_T0_E_clISt17integral_constantIbLb0EESX_EEDaSS_ST_EUlSS_E_NS1_11comp_targetILNS1_3genE10ELNS1_11target_archE1201ELNS1_3gpuE5ELNS1_3repE0EEENS1_30default_config_static_selectorELNS0_4arch9wavefront6targetE1EEEvT1_,comdat
	.protected	_ZN7rocprim17ROCPRIM_400000_NS6detail17trampoline_kernelINS0_14default_configENS1_20scan_config_selectorIxEEZZNS1_9scan_implILNS1_25lookback_scan_determinismE0ELb0ELb0ES3_N6thrust23THRUST_200600_302600_NS6detail15normal_iteratorINS9_10device_ptrIxEEEENS9_16discard_iteratorINS9_11use_defaultEEEx11max_functorIxExEEDaPvRmT3_T4_T5_mT6_P12ihipStream_tbENKUlT_T0_E_clISt17integral_constantIbLb0EESX_EEDaSS_ST_EUlSS_E_NS1_11comp_targetILNS1_3genE10ELNS1_11target_archE1201ELNS1_3gpuE5ELNS1_3repE0EEENS1_30default_config_static_selectorELNS0_4arch9wavefront6targetE1EEEvT1_ ; -- Begin function _ZN7rocprim17ROCPRIM_400000_NS6detail17trampoline_kernelINS0_14default_configENS1_20scan_config_selectorIxEEZZNS1_9scan_implILNS1_25lookback_scan_determinismE0ELb0ELb0ES3_N6thrust23THRUST_200600_302600_NS6detail15normal_iteratorINS9_10device_ptrIxEEEENS9_16discard_iteratorINS9_11use_defaultEEEx11max_functorIxExEEDaPvRmT3_T4_T5_mT6_P12ihipStream_tbENKUlT_T0_E_clISt17integral_constantIbLb0EESX_EEDaSS_ST_EUlSS_E_NS1_11comp_targetILNS1_3genE10ELNS1_11target_archE1201ELNS1_3gpuE5ELNS1_3repE0EEENS1_30default_config_static_selectorELNS0_4arch9wavefront6targetE1EEEvT1_
	.globl	_ZN7rocprim17ROCPRIM_400000_NS6detail17trampoline_kernelINS0_14default_configENS1_20scan_config_selectorIxEEZZNS1_9scan_implILNS1_25lookback_scan_determinismE0ELb0ELb0ES3_N6thrust23THRUST_200600_302600_NS6detail15normal_iteratorINS9_10device_ptrIxEEEENS9_16discard_iteratorINS9_11use_defaultEEEx11max_functorIxExEEDaPvRmT3_T4_T5_mT6_P12ihipStream_tbENKUlT_T0_E_clISt17integral_constantIbLb0EESX_EEDaSS_ST_EUlSS_E_NS1_11comp_targetILNS1_3genE10ELNS1_11target_archE1201ELNS1_3gpuE5ELNS1_3repE0EEENS1_30default_config_static_selectorELNS0_4arch9wavefront6targetE1EEEvT1_
	.p2align	8
	.type	_ZN7rocprim17ROCPRIM_400000_NS6detail17trampoline_kernelINS0_14default_configENS1_20scan_config_selectorIxEEZZNS1_9scan_implILNS1_25lookback_scan_determinismE0ELb0ELb0ES3_N6thrust23THRUST_200600_302600_NS6detail15normal_iteratorINS9_10device_ptrIxEEEENS9_16discard_iteratorINS9_11use_defaultEEEx11max_functorIxExEEDaPvRmT3_T4_T5_mT6_P12ihipStream_tbENKUlT_T0_E_clISt17integral_constantIbLb0EESX_EEDaSS_ST_EUlSS_E_NS1_11comp_targetILNS1_3genE10ELNS1_11target_archE1201ELNS1_3gpuE5ELNS1_3repE0EEENS1_30default_config_static_selectorELNS0_4arch9wavefront6targetE1EEEvT1_,@function
_ZN7rocprim17ROCPRIM_400000_NS6detail17trampoline_kernelINS0_14default_configENS1_20scan_config_selectorIxEEZZNS1_9scan_implILNS1_25lookback_scan_determinismE0ELb0ELb0ES3_N6thrust23THRUST_200600_302600_NS6detail15normal_iteratorINS9_10device_ptrIxEEEENS9_16discard_iteratorINS9_11use_defaultEEEx11max_functorIxExEEDaPvRmT3_T4_T5_mT6_P12ihipStream_tbENKUlT_T0_E_clISt17integral_constantIbLb0EESX_EEDaSS_ST_EUlSS_E_NS1_11comp_targetILNS1_3genE10ELNS1_11target_archE1201ELNS1_3gpuE5ELNS1_3repE0EEENS1_30default_config_static_selectorELNS0_4arch9wavefront6targetE1EEEvT1_: ; @_ZN7rocprim17ROCPRIM_400000_NS6detail17trampoline_kernelINS0_14default_configENS1_20scan_config_selectorIxEEZZNS1_9scan_implILNS1_25lookback_scan_determinismE0ELb0ELb0ES3_N6thrust23THRUST_200600_302600_NS6detail15normal_iteratorINS9_10device_ptrIxEEEENS9_16discard_iteratorINS9_11use_defaultEEEx11max_functorIxExEEDaPvRmT3_T4_T5_mT6_P12ihipStream_tbENKUlT_T0_E_clISt17integral_constantIbLb0EESX_EEDaSS_ST_EUlSS_E_NS1_11comp_targetILNS1_3genE10ELNS1_11target_archE1201ELNS1_3gpuE5ELNS1_3repE0EEENS1_30default_config_static_selectorELNS0_4arch9wavefront6targetE1EEEvT1_
; %bb.0:
	.section	.rodata,"a",@progbits
	.p2align	6, 0x0
	.amdhsa_kernel _ZN7rocprim17ROCPRIM_400000_NS6detail17trampoline_kernelINS0_14default_configENS1_20scan_config_selectorIxEEZZNS1_9scan_implILNS1_25lookback_scan_determinismE0ELb0ELb0ES3_N6thrust23THRUST_200600_302600_NS6detail15normal_iteratorINS9_10device_ptrIxEEEENS9_16discard_iteratorINS9_11use_defaultEEEx11max_functorIxExEEDaPvRmT3_T4_T5_mT6_P12ihipStream_tbENKUlT_T0_E_clISt17integral_constantIbLb0EESX_EEDaSS_ST_EUlSS_E_NS1_11comp_targetILNS1_3genE10ELNS1_11target_archE1201ELNS1_3gpuE5ELNS1_3repE0EEENS1_30default_config_static_selectorELNS0_4arch9wavefront6targetE1EEEvT1_
		.amdhsa_group_segment_fixed_size 0
		.amdhsa_private_segment_fixed_size 0
		.amdhsa_kernarg_size 112
		.amdhsa_user_sgpr_count 6
		.amdhsa_user_sgpr_private_segment_buffer 1
		.amdhsa_user_sgpr_dispatch_ptr 0
		.amdhsa_user_sgpr_queue_ptr 0
		.amdhsa_user_sgpr_kernarg_segment_ptr 1
		.amdhsa_user_sgpr_dispatch_id 0
		.amdhsa_user_sgpr_flat_scratch_init 0
		.amdhsa_user_sgpr_kernarg_preload_length 0
		.amdhsa_user_sgpr_kernarg_preload_offset 0
		.amdhsa_user_sgpr_private_segment_size 0
		.amdhsa_uses_dynamic_stack 0
		.amdhsa_system_sgpr_private_segment_wavefront_offset 0
		.amdhsa_system_sgpr_workgroup_id_x 1
		.amdhsa_system_sgpr_workgroup_id_y 0
		.amdhsa_system_sgpr_workgroup_id_z 0
		.amdhsa_system_sgpr_workgroup_info 0
		.amdhsa_system_vgpr_workitem_id 0
		.amdhsa_next_free_vgpr 1
		.amdhsa_next_free_sgpr 0
		.amdhsa_accum_offset 4
		.amdhsa_reserve_vcc 0
		.amdhsa_reserve_flat_scratch 0
		.amdhsa_float_round_mode_32 0
		.amdhsa_float_round_mode_16_64 0
		.amdhsa_float_denorm_mode_32 3
		.amdhsa_float_denorm_mode_16_64 3
		.amdhsa_dx10_clamp 1
		.amdhsa_ieee_mode 1
		.amdhsa_fp16_overflow 0
		.amdhsa_tg_split 0
		.amdhsa_exception_fp_ieee_invalid_op 0
		.amdhsa_exception_fp_denorm_src 0
		.amdhsa_exception_fp_ieee_div_zero 0
		.amdhsa_exception_fp_ieee_overflow 0
		.amdhsa_exception_fp_ieee_underflow 0
		.amdhsa_exception_fp_ieee_inexact 0
		.amdhsa_exception_int_div_zero 0
	.end_amdhsa_kernel
	.section	.text._ZN7rocprim17ROCPRIM_400000_NS6detail17trampoline_kernelINS0_14default_configENS1_20scan_config_selectorIxEEZZNS1_9scan_implILNS1_25lookback_scan_determinismE0ELb0ELb0ES3_N6thrust23THRUST_200600_302600_NS6detail15normal_iteratorINS9_10device_ptrIxEEEENS9_16discard_iteratorINS9_11use_defaultEEEx11max_functorIxExEEDaPvRmT3_T4_T5_mT6_P12ihipStream_tbENKUlT_T0_E_clISt17integral_constantIbLb0EESX_EEDaSS_ST_EUlSS_E_NS1_11comp_targetILNS1_3genE10ELNS1_11target_archE1201ELNS1_3gpuE5ELNS1_3repE0EEENS1_30default_config_static_selectorELNS0_4arch9wavefront6targetE1EEEvT1_,"axG",@progbits,_ZN7rocprim17ROCPRIM_400000_NS6detail17trampoline_kernelINS0_14default_configENS1_20scan_config_selectorIxEEZZNS1_9scan_implILNS1_25lookback_scan_determinismE0ELb0ELb0ES3_N6thrust23THRUST_200600_302600_NS6detail15normal_iteratorINS9_10device_ptrIxEEEENS9_16discard_iteratorINS9_11use_defaultEEEx11max_functorIxExEEDaPvRmT3_T4_T5_mT6_P12ihipStream_tbENKUlT_T0_E_clISt17integral_constantIbLb0EESX_EEDaSS_ST_EUlSS_E_NS1_11comp_targetILNS1_3genE10ELNS1_11target_archE1201ELNS1_3gpuE5ELNS1_3repE0EEENS1_30default_config_static_selectorELNS0_4arch9wavefront6targetE1EEEvT1_,comdat
.Lfunc_end3715:
	.size	_ZN7rocprim17ROCPRIM_400000_NS6detail17trampoline_kernelINS0_14default_configENS1_20scan_config_selectorIxEEZZNS1_9scan_implILNS1_25lookback_scan_determinismE0ELb0ELb0ES3_N6thrust23THRUST_200600_302600_NS6detail15normal_iteratorINS9_10device_ptrIxEEEENS9_16discard_iteratorINS9_11use_defaultEEEx11max_functorIxExEEDaPvRmT3_T4_T5_mT6_P12ihipStream_tbENKUlT_T0_E_clISt17integral_constantIbLb0EESX_EEDaSS_ST_EUlSS_E_NS1_11comp_targetILNS1_3genE10ELNS1_11target_archE1201ELNS1_3gpuE5ELNS1_3repE0EEENS1_30default_config_static_selectorELNS0_4arch9wavefront6targetE1EEEvT1_, .Lfunc_end3715-_ZN7rocprim17ROCPRIM_400000_NS6detail17trampoline_kernelINS0_14default_configENS1_20scan_config_selectorIxEEZZNS1_9scan_implILNS1_25lookback_scan_determinismE0ELb0ELb0ES3_N6thrust23THRUST_200600_302600_NS6detail15normal_iteratorINS9_10device_ptrIxEEEENS9_16discard_iteratorINS9_11use_defaultEEEx11max_functorIxExEEDaPvRmT3_T4_T5_mT6_P12ihipStream_tbENKUlT_T0_E_clISt17integral_constantIbLb0EESX_EEDaSS_ST_EUlSS_E_NS1_11comp_targetILNS1_3genE10ELNS1_11target_archE1201ELNS1_3gpuE5ELNS1_3repE0EEENS1_30default_config_static_selectorELNS0_4arch9wavefront6targetE1EEEvT1_
                                        ; -- End function
	.section	.AMDGPU.csdata,"",@progbits
; Kernel info:
; codeLenInByte = 0
; NumSgprs: 4
; NumVgprs: 0
; NumAgprs: 0
; TotalNumVgprs: 0
; ScratchSize: 0
; MemoryBound: 0
; FloatMode: 240
; IeeeMode: 1
; LDSByteSize: 0 bytes/workgroup (compile time only)
; SGPRBlocks: 0
; VGPRBlocks: 0
; NumSGPRsForWavesPerEU: 4
; NumVGPRsForWavesPerEU: 1
; AccumOffset: 4
; Occupancy: 8
; WaveLimiterHint : 0
; COMPUTE_PGM_RSRC2:SCRATCH_EN: 0
; COMPUTE_PGM_RSRC2:USER_SGPR: 6
; COMPUTE_PGM_RSRC2:TRAP_HANDLER: 0
; COMPUTE_PGM_RSRC2:TGID_X_EN: 1
; COMPUTE_PGM_RSRC2:TGID_Y_EN: 0
; COMPUTE_PGM_RSRC2:TGID_Z_EN: 0
; COMPUTE_PGM_RSRC2:TIDIG_COMP_CNT: 0
; COMPUTE_PGM_RSRC3_GFX90A:ACCUM_OFFSET: 0
; COMPUTE_PGM_RSRC3_GFX90A:TG_SPLIT: 0
	.section	.text._ZN7rocprim17ROCPRIM_400000_NS6detail17trampoline_kernelINS0_14default_configENS1_20scan_config_selectorIxEEZZNS1_9scan_implILNS1_25lookback_scan_determinismE0ELb0ELb0ES3_N6thrust23THRUST_200600_302600_NS6detail15normal_iteratorINS9_10device_ptrIxEEEENS9_16discard_iteratorINS9_11use_defaultEEEx11max_functorIxExEEDaPvRmT3_T4_T5_mT6_P12ihipStream_tbENKUlT_T0_E_clISt17integral_constantIbLb0EESX_EEDaSS_ST_EUlSS_E_NS1_11comp_targetILNS1_3genE10ELNS1_11target_archE1200ELNS1_3gpuE4ELNS1_3repE0EEENS1_30default_config_static_selectorELNS0_4arch9wavefront6targetE1EEEvT1_,"axG",@progbits,_ZN7rocprim17ROCPRIM_400000_NS6detail17trampoline_kernelINS0_14default_configENS1_20scan_config_selectorIxEEZZNS1_9scan_implILNS1_25lookback_scan_determinismE0ELb0ELb0ES3_N6thrust23THRUST_200600_302600_NS6detail15normal_iteratorINS9_10device_ptrIxEEEENS9_16discard_iteratorINS9_11use_defaultEEEx11max_functorIxExEEDaPvRmT3_T4_T5_mT6_P12ihipStream_tbENKUlT_T0_E_clISt17integral_constantIbLb0EESX_EEDaSS_ST_EUlSS_E_NS1_11comp_targetILNS1_3genE10ELNS1_11target_archE1200ELNS1_3gpuE4ELNS1_3repE0EEENS1_30default_config_static_selectorELNS0_4arch9wavefront6targetE1EEEvT1_,comdat
	.protected	_ZN7rocprim17ROCPRIM_400000_NS6detail17trampoline_kernelINS0_14default_configENS1_20scan_config_selectorIxEEZZNS1_9scan_implILNS1_25lookback_scan_determinismE0ELb0ELb0ES3_N6thrust23THRUST_200600_302600_NS6detail15normal_iteratorINS9_10device_ptrIxEEEENS9_16discard_iteratorINS9_11use_defaultEEEx11max_functorIxExEEDaPvRmT3_T4_T5_mT6_P12ihipStream_tbENKUlT_T0_E_clISt17integral_constantIbLb0EESX_EEDaSS_ST_EUlSS_E_NS1_11comp_targetILNS1_3genE10ELNS1_11target_archE1200ELNS1_3gpuE4ELNS1_3repE0EEENS1_30default_config_static_selectorELNS0_4arch9wavefront6targetE1EEEvT1_ ; -- Begin function _ZN7rocprim17ROCPRIM_400000_NS6detail17trampoline_kernelINS0_14default_configENS1_20scan_config_selectorIxEEZZNS1_9scan_implILNS1_25lookback_scan_determinismE0ELb0ELb0ES3_N6thrust23THRUST_200600_302600_NS6detail15normal_iteratorINS9_10device_ptrIxEEEENS9_16discard_iteratorINS9_11use_defaultEEEx11max_functorIxExEEDaPvRmT3_T4_T5_mT6_P12ihipStream_tbENKUlT_T0_E_clISt17integral_constantIbLb0EESX_EEDaSS_ST_EUlSS_E_NS1_11comp_targetILNS1_3genE10ELNS1_11target_archE1200ELNS1_3gpuE4ELNS1_3repE0EEENS1_30default_config_static_selectorELNS0_4arch9wavefront6targetE1EEEvT1_
	.globl	_ZN7rocprim17ROCPRIM_400000_NS6detail17trampoline_kernelINS0_14default_configENS1_20scan_config_selectorIxEEZZNS1_9scan_implILNS1_25lookback_scan_determinismE0ELb0ELb0ES3_N6thrust23THRUST_200600_302600_NS6detail15normal_iteratorINS9_10device_ptrIxEEEENS9_16discard_iteratorINS9_11use_defaultEEEx11max_functorIxExEEDaPvRmT3_T4_T5_mT6_P12ihipStream_tbENKUlT_T0_E_clISt17integral_constantIbLb0EESX_EEDaSS_ST_EUlSS_E_NS1_11comp_targetILNS1_3genE10ELNS1_11target_archE1200ELNS1_3gpuE4ELNS1_3repE0EEENS1_30default_config_static_selectorELNS0_4arch9wavefront6targetE1EEEvT1_
	.p2align	8
	.type	_ZN7rocprim17ROCPRIM_400000_NS6detail17trampoline_kernelINS0_14default_configENS1_20scan_config_selectorIxEEZZNS1_9scan_implILNS1_25lookback_scan_determinismE0ELb0ELb0ES3_N6thrust23THRUST_200600_302600_NS6detail15normal_iteratorINS9_10device_ptrIxEEEENS9_16discard_iteratorINS9_11use_defaultEEEx11max_functorIxExEEDaPvRmT3_T4_T5_mT6_P12ihipStream_tbENKUlT_T0_E_clISt17integral_constantIbLb0EESX_EEDaSS_ST_EUlSS_E_NS1_11comp_targetILNS1_3genE10ELNS1_11target_archE1200ELNS1_3gpuE4ELNS1_3repE0EEENS1_30default_config_static_selectorELNS0_4arch9wavefront6targetE1EEEvT1_,@function
_ZN7rocprim17ROCPRIM_400000_NS6detail17trampoline_kernelINS0_14default_configENS1_20scan_config_selectorIxEEZZNS1_9scan_implILNS1_25lookback_scan_determinismE0ELb0ELb0ES3_N6thrust23THRUST_200600_302600_NS6detail15normal_iteratorINS9_10device_ptrIxEEEENS9_16discard_iteratorINS9_11use_defaultEEEx11max_functorIxExEEDaPvRmT3_T4_T5_mT6_P12ihipStream_tbENKUlT_T0_E_clISt17integral_constantIbLb0EESX_EEDaSS_ST_EUlSS_E_NS1_11comp_targetILNS1_3genE10ELNS1_11target_archE1200ELNS1_3gpuE4ELNS1_3repE0EEENS1_30default_config_static_selectorELNS0_4arch9wavefront6targetE1EEEvT1_: ; @_ZN7rocprim17ROCPRIM_400000_NS6detail17trampoline_kernelINS0_14default_configENS1_20scan_config_selectorIxEEZZNS1_9scan_implILNS1_25lookback_scan_determinismE0ELb0ELb0ES3_N6thrust23THRUST_200600_302600_NS6detail15normal_iteratorINS9_10device_ptrIxEEEENS9_16discard_iteratorINS9_11use_defaultEEEx11max_functorIxExEEDaPvRmT3_T4_T5_mT6_P12ihipStream_tbENKUlT_T0_E_clISt17integral_constantIbLb0EESX_EEDaSS_ST_EUlSS_E_NS1_11comp_targetILNS1_3genE10ELNS1_11target_archE1200ELNS1_3gpuE4ELNS1_3repE0EEENS1_30default_config_static_selectorELNS0_4arch9wavefront6targetE1EEEvT1_
; %bb.0:
	.section	.rodata,"a",@progbits
	.p2align	6, 0x0
	.amdhsa_kernel _ZN7rocprim17ROCPRIM_400000_NS6detail17trampoline_kernelINS0_14default_configENS1_20scan_config_selectorIxEEZZNS1_9scan_implILNS1_25lookback_scan_determinismE0ELb0ELb0ES3_N6thrust23THRUST_200600_302600_NS6detail15normal_iteratorINS9_10device_ptrIxEEEENS9_16discard_iteratorINS9_11use_defaultEEEx11max_functorIxExEEDaPvRmT3_T4_T5_mT6_P12ihipStream_tbENKUlT_T0_E_clISt17integral_constantIbLb0EESX_EEDaSS_ST_EUlSS_E_NS1_11comp_targetILNS1_3genE10ELNS1_11target_archE1200ELNS1_3gpuE4ELNS1_3repE0EEENS1_30default_config_static_selectorELNS0_4arch9wavefront6targetE1EEEvT1_
		.amdhsa_group_segment_fixed_size 0
		.amdhsa_private_segment_fixed_size 0
		.amdhsa_kernarg_size 112
		.amdhsa_user_sgpr_count 6
		.amdhsa_user_sgpr_private_segment_buffer 1
		.amdhsa_user_sgpr_dispatch_ptr 0
		.amdhsa_user_sgpr_queue_ptr 0
		.amdhsa_user_sgpr_kernarg_segment_ptr 1
		.amdhsa_user_sgpr_dispatch_id 0
		.amdhsa_user_sgpr_flat_scratch_init 0
		.amdhsa_user_sgpr_kernarg_preload_length 0
		.amdhsa_user_sgpr_kernarg_preload_offset 0
		.amdhsa_user_sgpr_private_segment_size 0
		.amdhsa_uses_dynamic_stack 0
		.amdhsa_system_sgpr_private_segment_wavefront_offset 0
		.amdhsa_system_sgpr_workgroup_id_x 1
		.amdhsa_system_sgpr_workgroup_id_y 0
		.amdhsa_system_sgpr_workgroup_id_z 0
		.amdhsa_system_sgpr_workgroup_info 0
		.amdhsa_system_vgpr_workitem_id 0
		.amdhsa_next_free_vgpr 1
		.amdhsa_next_free_sgpr 0
		.amdhsa_accum_offset 4
		.amdhsa_reserve_vcc 0
		.amdhsa_reserve_flat_scratch 0
		.amdhsa_float_round_mode_32 0
		.amdhsa_float_round_mode_16_64 0
		.amdhsa_float_denorm_mode_32 3
		.amdhsa_float_denorm_mode_16_64 3
		.amdhsa_dx10_clamp 1
		.amdhsa_ieee_mode 1
		.amdhsa_fp16_overflow 0
		.amdhsa_tg_split 0
		.amdhsa_exception_fp_ieee_invalid_op 0
		.amdhsa_exception_fp_denorm_src 0
		.amdhsa_exception_fp_ieee_div_zero 0
		.amdhsa_exception_fp_ieee_overflow 0
		.amdhsa_exception_fp_ieee_underflow 0
		.amdhsa_exception_fp_ieee_inexact 0
		.amdhsa_exception_int_div_zero 0
	.end_amdhsa_kernel
	.section	.text._ZN7rocprim17ROCPRIM_400000_NS6detail17trampoline_kernelINS0_14default_configENS1_20scan_config_selectorIxEEZZNS1_9scan_implILNS1_25lookback_scan_determinismE0ELb0ELb0ES3_N6thrust23THRUST_200600_302600_NS6detail15normal_iteratorINS9_10device_ptrIxEEEENS9_16discard_iteratorINS9_11use_defaultEEEx11max_functorIxExEEDaPvRmT3_T4_T5_mT6_P12ihipStream_tbENKUlT_T0_E_clISt17integral_constantIbLb0EESX_EEDaSS_ST_EUlSS_E_NS1_11comp_targetILNS1_3genE10ELNS1_11target_archE1200ELNS1_3gpuE4ELNS1_3repE0EEENS1_30default_config_static_selectorELNS0_4arch9wavefront6targetE1EEEvT1_,"axG",@progbits,_ZN7rocprim17ROCPRIM_400000_NS6detail17trampoline_kernelINS0_14default_configENS1_20scan_config_selectorIxEEZZNS1_9scan_implILNS1_25lookback_scan_determinismE0ELb0ELb0ES3_N6thrust23THRUST_200600_302600_NS6detail15normal_iteratorINS9_10device_ptrIxEEEENS9_16discard_iteratorINS9_11use_defaultEEEx11max_functorIxExEEDaPvRmT3_T4_T5_mT6_P12ihipStream_tbENKUlT_T0_E_clISt17integral_constantIbLb0EESX_EEDaSS_ST_EUlSS_E_NS1_11comp_targetILNS1_3genE10ELNS1_11target_archE1200ELNS1_3gpuE4ELNS1_3repE0EEENS1_30default_config_static_selectorELNS0_4arch9wavefront6targetE1EEEvT1_,comdat
.Lfunc_end3716:
	.size	_ZN7rocprim17ROCPRIM_400000_NS6detail17trampoline_kernelINS0_14default_configENS1_20scan_config_selectorIxEEZZNS1_9scan_implILNS1_25lookback_scan_determinismE0ELb0ELb0ES3_N6thrust23THRUST_200600_302600_NS6detail15normal_iteratorINS9_10device_ptrIxEEEENS9_16discard_iteratorINS9_11use_defaultEEEx11max_functorIxExEEDaPvRmT3_T4_T5_mT6_P12ihipStream_tbENKUlT_T0_E_clISt17integral_constantIbLb0EESX_EEDaSS_ST_EUlSS_E_NS1_11comp_targetILNS1_3genE10ELNS1_11target_archE1200ELNS1_3gpuE4ELNS1_3repE0EEENS1_30default_config_static_selectorELNS0_4arch9wavefront6targetE1EEEvT1_, .Lfunc_end3716-_ZN7rocprim17ROCPRIM_400000_NS6detail17trampoline_kernelINS0_14default_configENS1_20scan_config_selectorIxEEZZNS1_9scan_implILNS1_25lookback_scan_determinismE0ELb0ELb0ES3_N6thrust23THRUST_200600_302600_NS6detail15normal_iteratorINS9_10device_ptrIxEEEENS9_16discard_iteratorINS9_11use_defaultEEEx11max_functorIxExEEDaPvRmT3_T4_T5_mT6_P12ihipStream_tbENKUlT_T0_E_clISt17integral_constantIbLb0EESX_EEDaSS_ST_EUlSS_E_NS1_11comp_targetILNS1_3genE10ELNS1_11target_archE1200ELNS1_3gpuE4ELNS1_3repE0EEENS1_30default_config_static_selectorELNS0_4arch9wavefront6targetE1EEEvT1_
                                        ; -- End function
	.section	.AMDGPU.csdata,"",@progbits
; Kernel info:
; codeLenInByte = 0
; NumSgprs: 4
; NumVgprs: 0
; NumAgprs: 0
; TotalNumVgprs: 0
; ScratchSize: 0
; MemoryBound: 0
; FloatMode: 240
; IeeeMode: 1
; LDSByteSize: 0 bytes/workgroup (compile time only)
; SGPRBlocks: 0
; VGPRBlocks: 0
; NumSGPRsForWavesPerEU: 4
; NumVGPRsForWavesPerEU: 1
; AccumOffset: 4
; Occupancy: 8
; WaveLimiterHint : 0
; COMPUTE_PGM_RSRC2:SCRATCH_EN: 0
; COMPUTE_PGM_RSRC2:USER_SGPR: 6
; COMPUTE_PGM_RSRC2:TRAP_HANDLER: 0
; COMPUTE_PGM_RSRC2:TGID_X_EN: 1
; COMPUTE_PGM_RSRC2:TGID_Y_EN: 0
; COMPUTE_PGM_RSRC2:TGID_Z_EN: 0
; COMPUTE_PGM_RSRC2:TIDIG_COMP_CNT: 0
; COMPUTE_PGM_RSRC3_GFX90A:ACCUM_OFFSET: 0
; COMPUTE_PGM_RSRC3_GFX90A:TG_SPLIT: 0
	.section	.text._ZN7rocprim17ROCPRIM_400000_NS6detail17trampoline_kernelINS0_14default_configENS1_20scan_config_selectorIxEEZZNS1_9scan_implILNS1_25lookback_scan_determinismE0ELb0ELb0ES3_N6thrust23THRUST_200600_302600_NS6detail15normal_iteratorINS9_10device_ptrIxEEEENS9_16discard_iteratorINS9_11use_defaultEEEx11max_functorIxExEEDaPvRmT3_T4_T5_mT6_P12ihipStream_tbENKUlT_T0_E_clISt17integral_constantIbLb0EESX_EEDaSS_ST_EUlSS_E_NS1_11comp_targetILNS1_3genE9ELNS1_11target_archE1100ELNS1_3gpuE3ELNS1_3repE0EEENS1_30default_config_static_selectorELNS0_4arch9wavefront6targetE1EEEvT1_,"axG",@progbits,_ZN7rocprim17ROCPRIM_400000_NS6detail17trampoline_kernelINS0_14default_configENS1_20scan_config_selectorIxEEZZNS1_9scan_implILNS1_25lookback_scan_determinismE0ELb0ELb0ES3_N6thrust23THRUST_200600_302600_NS6detail15normal_iteratorINS9_10device_ptrIxEEEENS9_16discard_iteratorINS9_11use_defaultEEEx11max_functorIxExEEDaPvRmT3_T4_T5_mT6_P12ihipStream_tbENKUlT_T0_E_clISt17integral_constantIbLb0EESX_EEDaSS_ST_EUlSS_E_NS1_11comp_targetILNS1_3genE9ELNS1_11target_archE1100ELNS1_3gpuE3ELNS1_3repE0EEENS1_30default_config_static_selectorELNS0_4arch9wavefront6targetE1EEEvT1_,comdat
	.protected	_ZN7rocprim17ROCPRIM_400000_NS6detail17trampoline_kernelINS0_14default_configENS1_20scan_config_selectorIxEEZZNS1_9scan_implILNS1_25lookback_scan_determinismE0ELb0ELb0ES3_N6thrust23THRUST_200600_302600_NS6detail15normal_iteratorINS9_10device_ptrIxEEEENS9_16discard_iteratorINS9_11use_defaultEEEx11max_functorIxExEEDaPvRmT3_T4_T5_mT6_P12ihipStream_tbENKUlT_T0_E_clISt17integral_constantIbLb0EESX_EEDaSS_ST_EUlSS_E_NS1_11comp_targetILNS1_3genE9ELNS1_11target_archE1100ELNS1_3gpuE3ELNS1_3repE0EEENS1_30default_config_static_selectorELNS0_4arch9wavefront6targetE1EEEvT1_ ; -- Begin function _ZN7rocprim17ROCPRIM_400000_NS6detail17trampoline_kernelINS0_14default_configENS1_20scan_config_selectorIxEEZZNS1_9scan_implILNS1_25lookback_scan_determinismE0ELb0ELb0ES3_N6thrust23THRUST_200600_302600_NS6detail15normal_iteratorINS9_10device_ptrIxEEEENS9_16discard_iteratorINS9_11use_defaultEEEx11max_functorIxExEEDaPvRmT3_T4_T5_mT6_P12ihipStream_tbENKUlT_T0_E_clISt17integral_constantIbLb0EESX_EEDaSS_ST_EUlSS_E_NS1_11comp_targetILNS1_3genE9ELNS1_11target_archE1100ELNS1_3gpuE3ELNS1_3repE0EEENS1_30default_config_static_selectorELNS0_4arch9wavefront6targetE1EEEvT1_
	.globl	_ZN7rocprim17ROCPRIM_400000_NS6detail17trampoline_kernelINS0_14default_configENS1_20scan_config_selectorIxEEZZNS1_9scan_implILNS1_25lookback_scan_determinismE0ELb0ELb0ES3_N6thrust23THRUST_200600_302600_NS6detail15normal_iteratorINS9_10device_ptrIxEEEENS9_16discard_iteratorINS9_11use_defaultEEEx11max_functorIxExEEDaPvRmT3_T4_T5_mT6_P12ihipStream_tbENKUlT_T0_E_clISt17integral_constantIbLb0EESX_EEDaSS_ST_EUlSS_E_NS1_11comp_targetILNS1_3genE9ELNS1_11target_archE1100ELNS1_3gpuE3ELNS1_3repE0EEENS1_30default_config_static_selectorELNS0_4arch9wavefront6targetE1EEEvT1_
	.p2align	8
	.type	_ZN7rocprim17ROCPRIM_400000_NS6detail17trampoline_kernelINS0_14default_configENS1_20scan_config_selectorIxEEZZNS1_9scan_implILNS1_25lookback_scan_determinismE0ELb0ELb0ES3_N6thrust23THRUST_200600_302600_NS6detail15normal_iteratorINS9_10device_ptrIxEEEENS9_16discard_iteratorINS9_11use_defaultEEEx11max_functorIxExEEDaPvRmT3_T4_T5_mT6_P12ihipStream_tbENKUlT_T0_E_clISt17integral_constantIbLb0EESX_EEDaSS_ST_EUlSS_E_NS1_11comp_targetILNS1_3genE9ELNS1_11target_archE1100ELNS1_3gpuE3ELNS1_3repE0EEENS1_30default_config_static_selectorELNS0_4arch9wavefront6targetE1EEEvT1_,@function
_ZN7rocprim17ROCPRIM_400000_NS6detail17trampoline_kernelINS0_14default_configENS1_20scan_config_selectorIxEEZZNS1_9scan_implILNS1_25lookback_scan_determinismE0ELb0ELb0ES3_N6thrust23THRUST_200600_302600_NS6detail15normal_iteratorINS9_10device_ptrIxEEEENS9_16discard_iteratorINS9_11use_defaultEEEx11max_functorIxExEEDaPvRmT3_T4_T5_mT6_P12ihipStream_tbENKUlT_T0_E_clISt17integral_constantIbLb0EESX_EEDaSS_ST_EUlSS_E_NS1_11comp_targetILNS1_3genE9ELNS1_11target_archE1100ELNS1_3gpuE3ELNS1_3repE0EEENS1_30default_config_static_selectorELNS0_4arch9wavefront6targetE1EEEvT1_: ; @_ZN7rocprim17ROCPRIM_400000_NS6detail17trampoline_kernelINS0_14default_configENS1_20scan_config_selectorIxEEZZNS1_9scan_implILNS1_25lookback_scan_determinismE0ELb0ELb0ES3_N6thrust23THRUST_200600_302600_NS6detail15normal_iteratorINS9_10device_ptrIxEEEENS9_16discard_iteratorINS9_11use_defaultEEEx11max_functorIxExEEDaPvRmT3_T4_T5_mT6_P12ihipStream_tbENKUlT_T0_E_clISt17integral_constantIbLb0EESX_EEDaSS_ST_EUlSS_E_NS1_11comp_targetILNS1_3genE9ELNS1_11target_archE1100ELNS1_3gpuE3ELNS1_3repE0EEENS1_30default_config_static_selectorELNS0_4arch9wavefront6targetE1EEEvT1_
; %bb.0:
	.section	.rodata,"a",@progbits
	.p2align	6, 0x0
	.amdhsa_kernel _ZN7rocprim17ROCPRIM_400000_NS6detail17trampoline_kernelINS0_14default_configENS1_20scan_config_selectorIxEEZZNS1_9scan_implILNS1_25lookback_scan_determinismE0ELb0ELb0ES3_N6thrust23THRUST_200600_302600_NS6detail15normal_iteratorINS9_10device_ptrIxEEEENS9_16discard_iteratorINS9_11use_defaultEEEx11max_functorIxExEEDaPvRmT3_T4_T5_mT6_P12ihipStream_tbENKUlT_T0_E_clISt17integral_constantIbLb0EESX_EEDaSS_ST_EUlSS_E_NS1_11comp_targetILNS1_3genE9ELNS1_11target_archE1100ELNS1_3gpuE3ELNS1_3repE0EEENS1_30default_config_static_selectorELNS0_4arch9wavefront6targetE1EEEvT1_
		.amdhsa_group_segment_fixed_size 0
		.amdhsa_private_segment_fixed_size 0
		.amdhsa_kernarg_size 112
		.amdhsa_user_sgpr_count 6
		.amdhsa_user_sgpr_private_segment_buffer 1
		.amdhsa_user_sgpr_dispatch_ptr 0
		.amdhsa_user_sgpr_queue_ptr 0
		.amdhsa_user_sgpr_kernarg_segment_ptr 1
		.amdhsa_user_sgpr_dispatch_id 0
		.amdhsa_user_sgpr_flat_scratch_init 0
		.amdhsa_user_sgpr_kernarg_preload_length 0
		.amdhsa_user_sgpr_kernarg_preload_offset 0
		.amdhsa_user_sgpr_private_segment_size 0
		.amdhsa_uses_dynamic_stack 0
		.amdhsa_system_sgpr_private_segment_wavefront_offset 0
		.amdhsa_system_sgpr_workgroup_id_x 1
		.amdhsa_system_sgpr_workgroup_id_y 0
		.amdhsa_system_sgpr_workgroup_id_z 0
		.amdhsa_system_sgpr_workgroup_info 0
		.amdhsa_system_vgpr_workitem_id 0
		.amdhsa_next_free_vgpr 1
		.amdhsa_next_free_sgpr 0
		.amdhsa_accum_offset 4
		.amdhsa_reserve_vcc 0
		.amdhsa_reserve_flat_scratch 0
		.amdhsa_float_round_mode_32 0
		.amdhsa_float_round_mode_16_64 0
		.amdhsa_float_denorm_mode_32 3
		.amdhsa_float_denorm_mode_16_64 3
		.amdhsa_dx10_clamp 1
		.amdhsa_ieee_mode 1
		.amdhsa_fp16_overflow 0
		.amdhsa_tg_split 0
		.amdhsa_exception_fp_ieee_invalid_op 0
		.amdhsa_exception_fp_denorm_src 0
		.amdhsa_exception_fp_ieee_div_zero 0
		.amdhsa_exception_fp_ieee_overflow 0
		.amdhsa_exception_fp_ieee_underflow 0
		.amdhsa_exception_fp_ieee_inexact 0
		.amdhsa_exception_int_div_zero 0
	.end_amdhsa_kernel
	.section	.text._ZN7rocprim17ROCPRIM_400000_NS6detail17trampoline_kernelINS0_14default_configENS1_20scan_config_selectorIxEEZZNS1_9scan_implILNS1_25lookback_scan_determinismE0ELb0ELb0ES3_N6thrust23THRUST_200600_302600_NS6detail15normal_iteratorINS9_10device_ptrIxEEEENS9_16discard_iteratorINS9_11use_defaultEEEx11max_functorIxExEEDaPvRmT3_T4_T5_mT6_P12ihipStream_tbENKUlT_T0_E_clISt17integral_constantIbLb0EESX_EEDaSS_ST_EUlSS_E_NS1_11comp_targetILNS1_3genE9ELNS1_11target_archE1100ELNS1_3gpuE3ELNS1_3repE0EEENS1_30default_config_static_selectorELNS0_4arch9wavefront6targetE1EEEvT1_,"axG",@progbits,_ZN7rocprim17ROCPRIM_400000_NS6detail17trampoline_kernelINS0_14default_configENS1_20scan_config_selectorIxEEZZNS1_9scan_implILNS1_25lookback_scan_determinismE0ELb0ELb0ES3_N6thrust23THRUST_200600_302600_NS6detail15normal_iteratorINS9_10device_ptrIxEEEENS9_16discard_iteratorINS9_11use_defaultEEEx11max_functorIxExEEDaPvRmT3_T4_T5_mT6_P12ihipStream_tbENKUlT_T0_E_clISt17integral_constantIbLb0EESX_EEDaSS_ST_EUlSS_E_NS1_11comp_targetILNS1_3genE9ELNS1_11target_archE1100ELNS1_3gpuE3ELNS1_3repE0EEENS1_30default_config_static_selectorELNS0_4arch9wavefront6targetE1EEEvT1_,comdat
.Lfunc_end3717:
	.size	_ZN7rocprim17ROCPRIM_400000_NS6detail17trampoline_kernelINS0_14default_configENS1_20scan_config_selectorIxEEZZNS1_9scan_implILNS1_25lookback_scan_determinismE0ELb0ELb0ES3_N6thrust23THRUST_200600_302600_NS6detail15normal_iteratorINS9_10device_ptrIxEEEENS9_16discard_iteratorINS9_11use_defaultEEEx11max_functorIxExEEDaPvRmT3_T4_T5_mT6_P12ihipStream_tbENKUlT_T0_E_clISt17integral_constantIbLb0EESX_EEDaSS_ST_EUlSS_E_NS1_11comp_targetILNS1_3genE9ELNS1_11target_archE1100ELNS1_3gpuE3ELNS1_3repE0EEENS1_30default_config_static_selectorELNS0_4arch9wavefront6targetE1EEEvT1_, .Lfunc_end3717-_ZN7rocprim17ROCPRIM_400000_NS6detail17trampoline_kernelINS0_14default_configENS1_20scan_config_selectorIxEEZZNS1_9scan_implILNS1_25lookback_scan_determinismE0ELb0ELb0ES3_N6thrust23THRUST_200600_302600_NS6detail15normal_iteratorINS9_10device_ptrIxEEEENS9_16discard_iteratorINS9_11use_defaultEEEx11max_functorIxExEEDaPvRmT3_T4_T5_mT6_P12ihipStream_tbENKUlT_T0_E_clISt17integral_constantIbLb0EESX_EEDaSS_ST_EUlSS_E_NS1_11comp_targetILNS1_3genE9ELNS1_11target_archE1100ELNS1_3gpuE3ELNS1_3repE0EEENS1_30default_config_static_selectorELNS0_4arch9wavefront6targetE1EEEvT1_
                                        ; -- End function
	.section	.AMDGPU.csdata,"",@progbits
; Kernel info:
; codeLenInByte = 0
; NumSgprs: 4
; NumVgprs: 0
; NumAgprs: 0
; TotalNumVgprs: 0
; ScratchSize: 0
; MemoryBound: 0
; FloatMode: 240
; IeeeMode: 1
; LDSByteSize: 0 bytes/workgroup (compile time only)
; SGPRBlocks: 0
; VGPRBlocks: 0
; NumSGPRsForWavesPerEU: 4
; NumVGPRsForWavesPerEU: 1
; AccumOffset: 4
; Occupancy: 8
; WaveLimiterHint : 0
; COMPUTE_PGM_RSRC2:SCRATCH_EN: 0
; COMPUTE_PGM_RSRC2:USER_SGPR: 6
; COMPUTE_PGM_RSRC2:TRAP_HANDLER: 0
; COMPUTE_PGM_RSRC2:TGID_X_EN: 1
; COMPUTE_PGM_RSRC2:TGID_Y_EN: 0
; COMPUTE_PGM_RSRC2:TGID_Z_EN: 0
; COMPUTE_PGM_RSRC2:TIDIG_COMP_CNT: 0
; COMPUTE_PGM_RSRC3_GFX90A:ACCUM_OFFSET: 0
; COMPUTE_PGM_RSRC3_GFX90A:TG_SPLIT: 0
	.section	.text._ZN7rocprim17ROCPRIM_400000_NS6detail17trampoline_kernelINS0_14default_configENS1_20scan_config_selectorIxEEZZNS1_9scan_implILNS1_25lookback_scan_determinismE0ELb0ELb0ES3_N6thrust23THRUST_200600_302600_NS6detail15normal_iteratorINS9_10device_ptrIxEEEENS9_16discard_iteratorINS9_11use_defaultEEEx11max_functorIxExEEDaPvRmT3_T4_T5_mT6_P12ihipStream_tbENKUlT_T0_E_clISt17integral_constantIbLb0EESX_EEDaSS_ST_EUlSS_E_NS1_11comp_targetILNS1_3genE8ELNS1_11target_archE1030ELNS1_3gpuE2ELNS1_3repE0EEENS1_30default_config_static_selectorELNS0_4arch9wavefront6targetE1EEEvT1_,"axG",@progbits,_ZN7rocprim17ROCPRIM_400000_NS6detail17trampoline_kernelINS0_14default_configENS1_20scan_config_selectorIxEEZZNS1_9scan_implILNS1_25lookback_scan_determinismE0ELb0ELb0ES3_N6thrust23THRUST_200600_302600_NS6detail15normal_iteratorINS9_10device_ptrIxEEEENS9_16discard_iteratorINS9_11use_defaultEEEx11max_functorIxExEEDaPvRmT3_T4_T5_mT6_P12ihipStream_tbENKUlT_T0_E_clISt17integral_constantIbLb0EESX_EEDaSS_ST_EUlSS_E_NS1_11comp_targetILNS1_3genE8ELNS1_11target_archE1030ELNS1_3gpuE2ELNS1_3repE0EEENS1_30default_config_static_selectorELNS0_4arch9wavefront6targetE1EEEvT1_,comdat
	.protected	_ZN7rocprim17ROCPRIM_400000_NS6detail17trampoline_kernelINS0_14default_configENS1_20scan_config_selectorIxEEZZNS1_9scan_implILNS1_25lookback_scan_determinismE0ELb0ELb0ES3_N6thrust23THRUST_200600_302600_NS6detail15normal_iteratorINS9_10device_ptrIxEEEENS9_16discard_iteratorINS9_11use_defaultEEEx11max_functorIxExEEDaPvRmT3_T4_T5_mT6_P12ihipStream_tbENKUlT_T0_E_clISt17integral_constantIbLb0EESX_EEDaSS_ST_EUlSS_E_NS1_11comp_targetILNS1_3genE8ELNS1_11target_archE1030ELNS1_3gpuE2ELNS1_3repE0EEENS1_30default_config_static_selectorELNS0_4arch9wavefront6targetE1EEEvT1_ ; -- Begin function _ZN7rocprim17ROCPRIM_400000_NS6detail17trampoline_kernelINS0_14default_configENS1_20scan_config_selectorIxEEZZNS1_9scan_implILNS1_25lookback_scan_determinismE0ELb0ELb0ES3_N6thrust23THRUST_200600_302600_NS6detail15normal_iteratorINS9_10device_ptrIxEEEENS9_16discard_iteratorINS9_11use_defaultEEEx11max_functorIxExEEDaPvRmT3_T4_T5_mT6_P12ihipStream_tbENKUlT_T0_E_clISt17integral_constantIbLb0EESX_EEDaSS_ST_EUlSS_E_NS1_11comp_targetILNS1_3genE8ELNS1_11target_archE1030ELNS1_3gpuE2ELNS1_3repE0EEENS1_30default_config_static_selectorELNS0_4arch9wavefront6targetE1EEEvT1_
	.globl	_ZN7rocprim17ROCPRIM_400000_NS6detail17trampoline_kernelINS0_14default_configENS1_20scan_config_selectorIxEEZZNS1_9scan_implILNS1_25lookback_scan_determinismE0ELb0ELb0ES3_N6thrust23THRUST_200600_302600_NS6detail15normal_iteratorINS9_10device_ptrIxEEEENS9_16discard_iteratorINS9_11use_defaultEEEx11max_functorIxExEEDaPvRmT3_T4_T5_mT6_P12ihipStream_tbENKUlT_T0_E_clISt17integral_constantIbLb0EESX_EEDaSS_ST_EUlSS_E_NS1_11comp_targetILNS1_3genE8ELNS1_11target_archE1030ELNS1_3gpuE2ELNS1_3repE0EEENS1_30default_config_static_selectorELNS0_4arch9wavefront6targetE1EEEvT1_
	.p2align	8
	.type	_ZN7rocprim17ROCPRIM_400000_NS6detail17trampoline_kernelINS0_14default_configENS1_20scan_config_selectorIxEEZZNS1_9scan_implILNS1_25lookback_scan_determinismE0ELb0ELb0ES3_N6thrust23THRUST_200600_302600_NS6detail15normal_iteratorINS9_10device_ptrIxEEEENS9_16discard_iteratorINS9_11use_defaultEEEx11max_functorIxExEEDaPvRmT3_T4_T5_mT6_P12ihipStream_tbENKUlT_T0_E_clISt17integral_constantIbLb0EESX_EEDaSS_ST_EUlSS_E_NS1_11comp_targetILNS1_3genE8ELNS1_11target_archE1030ELNS1_3gpuE2ELNS1_3repE0EEENS1_30default_config_static_selectorELNS0_4arch9wavefront6targetE1EEEvT1_,@function
_ZN7rocprim17ROCPRIM_400000_NS6detail17trampoline_kernelINS0_14default_configENS1_20scan_config_selectorIxEEZZNS1_9scan_implILNS1_25lookback_scan_determinismE0ELb0ELb0ES3_N6thrust23THRUST_200600_302600_NS6detail15normal_iteratorINS9_10device_ptrIxEEEENS9_16discard_iteratorINS9_11use_defaultEEEx11max_functorIxExEEDaPvRmT3_T4_T5_mT6_P12ihipStream_tbENKUlT_T0_E_clISt17integral_constantIbLb0EESX_EEDaSS_ST_EUlSS_E_NS1_11comp_targetILNS1_3genE8ELNS1_11target_archE1030ELNS1_3gpuE2ELNS1_3repE0EEENS1_30default_config_static_selectorELNS0_4arch9wavefront6targetE1EEEvT1_: ; @_ZN7rocprim17ROCPRIM_400000_NS6detail17trampoline_kernelINS0_14default_configENS1_20scan_config_selectorIxEEZZNS1_9scan_implILNS1_25lookback_scan_determinismE0ELb0ELb0ES3_N6thrust23THRUST_200600_302600_NS6detail15normal_iteratorINS9_10device_ptrIxEEEENS9_16discard_iteratorINS9_11use_defaultEEEx11max_functorIxExEEDaPvRmT3_T4_T5_mT6_P12ihipStream_tbENKUlT_T0_E_clISt17integral_constantIbLb0EESX_EEDaSS_ST_EUlSS_E_NS1_11comp_targetILNS1_3genE8ELNS1_11target_archE1030ELNS1_3gpuE2ELNS1_3repE0EEENS1_30default_config_static_selectorELNS0_4arch9wavefront6targetE1EEEvT1_
; %bb.0:
	.section	.rodata,"a",@progbits
	.p2align	6, 0x0
	.amdhsa_kernel _ZN7rocprim17ROCPRIM_400000_NS6detail17trampoline_kernelINS0_14default_configENS1_20scan_config_selectorIxEEZZNS1_9scan_implILNS1_25lookback_scan_determinismE0ELb0ELb0ES3_N6thrust23THRUST_200600_302600_NS6detail15normal_iteratorINS9_10device_ptrIxEEEENS9_16discard_iteratorINS9_11use_defaultEEEx11max_functorIxExEEDaPvRmT3_T4_T5_mT6_P12ihipStream_tbENKUlT_T0_E_clISt17integral_constantIbLb0EESX_EEDaSS_ST_EUlSS_E_NS1_11comp_targetILNS1_3genE8ELNS1_11target_archE1030ELNS1_3gpuE2ELNS1_3repE0EEENS1_30default_config_static_selectorELNS0_4arch9wavefront6targetE1EEEvT1_
		.amdhsa_group_segment_fixed_size 0
		.amdhsa_private_segment_fixed_size 0
		.amdhsa_kernarg_size 112
		.amdhsa_user_sgpr_count 6
		.amdhsa_user_sgpr_private_segment_buffer 1
		.amdhsa_user_sgpr_dispatch_ptr 0
		.amdhsa_user_sgpr_queue_ptr 0
		.amdhsa_user_sgpr_kernarg_segment_ptr 1
		.amdhsa_user_sgpr_dispatch_id 0
		.amdhsa_user_sgpr_flat_scratch_init 0
		.amdhsa_user_sgpr_kernarg_preload_length 0
		.amdhsa_user_sgpr_kernarg_preload_offset 0
		.amdhsa_user_sgpr_private_segment_size 0
		.amdhsa_uses_dynamic_stack 0
		.amdhsa_system_sgpr_private_segment_wavefront_offset 0
		.amdhsa_system_sgpr_workgroup_id_x 1
		.amdhsa_system_sgpr_workgroup_id_y 0
		.amdhsa_system_sgpr_workgroup_id_z 0
		.amdhsa_system_sgpr_workgroup_info 0
		.amdhsa_system_vgpr_workitem_id 0
		.amdhsa_next_free_vgpr 1
		.amdhsa_next_free_sgpr 0
		.amdhsa_accum_offset 4
		.amdhsa_reserve_vcc 0
		.amdhsa_reserve_flat_scratch 0
		.amdhsa_float_round_mode_32 0
		.amdhsa_float_round_mode_16_64 0
		.amdhsa_float_denorm_mode_32 3
		.amdhsa_float_denorm_mode_16_64 3
		.amdhsa_dx10_clamp 1
		.amdhsa_ieee_mode 1
		.amdhsa_fp16_overflow 0
		.amdhsa_tg_split 0
		.amdhsa_exception_fp_ieee_invalid_op 0
		.amdhsa_exception_fp_denorm_src 0
		.amdhsa_exception_fp_ieee_div_zero 0
		.amdhsa_exception_fp_ieee_overflow 0
		.amdhsa_exception_fp_ieee_underflow 0
		.amdhsa_exception_fp_ieee_inexact 0
		.amdhsa_exception_int_div_zero 0
	.end_amdhsa_kernel
	.section	.text._ZN7rocprim17ROCPRIM_400000_NS6detail17trampoline_kernelINS0_14default_configENS1_20scan_config_selectorIxEEZZNS1_9scan_implILNS1_25lookback_scan_determinismE0ELb0ELb0ES3_N6thrust23THRUST_200600_302600_NS6detail15normal_iteratorINS9_10device_ptrIxEEEENS9_16discard_iteratorINS9_11use_defaultEEEx11max_functorIxExEEDaPvRmT3_T4_T5_mT6_P12ihipStream_tbENKUlT_T0_E_clISt17integral_constantIbLb0EESX_EEDaSS_ST_EUlSS_E_NS1_11comp_targetILNS1_3genE8ELNS1_11target_archE1030ELNS1_3gpuE2ELNS1_3repE0EEENS1_30default_config_static_selectorELNS0_4arch9wavefront6targetE1EEEvT1_,"axG",@progbits,_ZN7rocprim17ROCPRIM_400000_NS6detail17trampoline_kernelINS0_14default_configENS1_20scan_config_selectorIxEEZZNS1_9scan_implILNS1_25lookback_scan_determinismE0ELb0ELb0ES3_N6thrust23THRUST_200600_302600_NS6detail15normal_iteratorINS9_10device_ptrIxEEEENS9_16discard_iteratorINS9_11use_defaultEEEx11max_functorIxExEEDaPvRmT3_T4_T5_mT6_P12ihipStream_tbENKUlT_T0_E_clISt17integral_constantIbLb0EESX_EEDaSS_ST_EUlSS_E_NS1_11comp_targetILNS1_3genE8ELNS1_11target_archE1030ELNS1_3gpuE2ELNS1_3repE0EEENS1_30default_config_static_selectorELNS0_4arch9wavefront6targetE1EEEvT1_,comdat
.Lfunc_end3718:
	.size	_ZN7rocprim17ROCPRIM_400000_NS6detail17trampoline_kernelINS0_14default_configENS1_20scan_config_selectorIxEEZZNS1_9scan_implILNS1_25lookback_scan_determinismE0ELb0ELb0ES3_N6thrust23THRUST_200600_302600_NS6detail15normal_iteratorINS9_10device_ptrIxEEEENS9_16discard_iteratorINS9_11use_defaultEEEx11max_functorIxExEEDaPvRmT3_T4_T5_mT6_P12ihipStream_tbENKUlT_T0_E_clISt17integral_constantIbLb0EESX_EEDaSS_ST_EUlSS_E_NS1_11comp_targetILNS1_3genE8ELNS1_11target_archE1030ELNS1_3gpuE2ELNS1_3repE0EEENS1_30default_config_static_selectorELNS0_4arch9wavefront6targetE1EEEvT1_, .Lfunc_end3718-_ZN7rocprim17ROCPRIM_400000_NS6detail17trampoline_kernelINS0_14default_configENS1_20scan_config_selectorIxEEZZNS1_9scan_implILNS1_25lookback_scan_determinismE0ELb0ELb0ES3_N6thrust23THRUST_200600_302600_NS6detail15normal_iteratorINS9_10device_ptrIxEEEENS9_16discard_iteratorINS9_11use_defaultEEEx11max_functorIxExEEDaPvRmT3_T4_T5_mT6_P12ihipStream_tbENKUlT_T0_E_clISt17integral_constantIbLb0EESX_EEDaSS_ST_EUlSS_E_NS1_11comp_targetILNS1_3genE8ELNS1_11target_archE1030ELNS1_3gpuE2ELNS1_3repE0EEENS1_30default_config_static_selectorELNS0_4arch9wavefront6targetE1EEEvT1_
                                        ; -- End function
	.section	.AMDGPU.csdata,"",@progbits
; Kernel info:
; codeLenInByte = 0
; NumSgprs: 4
; NumVgprs: 0
; NumAgprs: 0
; TotalNumVgprs: 0
; ScratchSize: 0
; MemoryBound: 0
; FloatMode: 240
; IeeeMode: 1
; LDSByteSize: 0 bytes/workgroup (compile time only)
; SGPRBlocks: 0
; VGPRBlocks: 0
; NumSGPRsForWavesPerEU: 4
; NumVGPRsForWavesPerEU: 1
; AccumOffset: 4
; Occupancy: 8
; WaveLimiterHint : 0
; COMPUTE_PGM_RSRC2:SCRATCH_EN: 0
; COMPUTE_PGM_RSRC2:USER_SGPR: 6
; COMPUTE_PGM_RSRC2:TRAP_HANDLER: 0
; COMPUTE_PGM_RSRC2:TGID_X_EN: 1
; COMPUTE_PGM_RSRC2:TGID_Y_EN: 0
; COMPUTE_PGM_RSRC2:TGID_Z_EN: 0
; COMPUTE_PGM_RSRC2:TIDIG_COMP_CNT: 0
; COMPUTE_PGM_RSRC3_GFX90A:ACCUM_OFFSET: 0
; COMPUTE_PGM_RSRC3_GFX90A:TG_SPLIT: 0
	.section	.text._ZN7rocprim17ROCPRIM_400000_NS6detail17trampoline_kernelINS0_14default_configENS1_20scan_config_selectorIxEEZZNS1_9scan_implILNS1_25lookback_scan_determinismE0ELb0ELb0ES3_N6thrust23THRUST_200600_302600_NS6detail15normal_iteratorINS9_10device_ptrIxEEEENS9_16discard_iteratorINS9_11use_defaultEEEx11max_functorIxExEEDaPvRmT3_T4_T5_mT6_P12ihipStream_tbENKUlT_T0_E_clISt17integral_constantIbLb0EESX_EEDaSS_ST_EUlSS_E0_NS1_11comp_targetILNS1_3genE0ELNS1_11target_archE4294967295ELNS1_3gpuE0ELNS1_3repE0EEENS1_30default_config_static_selectorELNS0_4arch9wavefront6targetE1EEEvT1_,"axG",@progbits,_ZN7rocprim17ROCPRIM_400000_NS6detail17trampoline_kernelINS0_14default_configENS1_20scan_config_selectorIxEEZZNS1_9scan_implILNS1_25lookback_scan_determinismE0ELb0ELb0ES3_N6thrust23THRUST_200600_302600_NS6detail15normal_iteratorINS9_10device_ptrIxEEEENS9_16discard_iteratorINS9_11use_defaultEEEx11max_functorIxExEEDaPvRmT3_T4_T5_mT6_P12ihipStream_tbENKUlT_T0_E_clISt17integral_constantIbLb0EESX_EEDaSS_ST_EUlSS_E0_NS1_11comp_targetILNS1_3genE0ELNS1_11target_archE4294967295ELNS1_3gpuE0ELNS1_3repE0EEENS1_30default_config_static_selectorELNS0_4arch9wavefront6targetE1EEEvT1_,comdat
	.protected	_ZN7rocprim17ROCPRIM_400000_NS6detail17trampoline_kernelINS0_14default_configENS1_20scan_config_selectorIxEEZZNS1_9scan_implILNS1_25lookback_scan_determinismE0ELb0ELb0ES3_N6thrust23THRUST_200600_302600_NS6detail15normal_iteratorINS9_10device_ptrIxEEEENS9_16discard_iteratorINS9_11use_defaultEEEx11max_functorIxExEEDaPvRmT3_T4_T5_mT6_P12ihipStream_tbENKUlT_T0_E_clISt17integral_constantIbLb0EESX_EEDaSS_ST_EUlSS_E0_NS1_11comp_targetILNS1_3genE0ELNS1_11target_archE4294967295ELNS1_3gpuE0ELNS1_3repE0EEENS1_30default_config_static_selectorELNS0_4arch9wavefront6targetE1EEEvT1_ ; -- Begin function _ZN7rocprim17ROCPRIM_400000_NS6detail17trampoline_kernelINS0_14default_configENS1_20scan_config_selectorIxEEZZNS1_9scan_implILNS1_25lookback_scan_determinismE0ELb0ELb0ES3_N6thrust23THRUST_200600_302600_NS6detail15normal_iteratorINS9_10device_ptrIxEEEENS9_16discard_iteratorINS9_11use_defaultEEEx11max_functorIxExEEDaPvRmT3_T4_T5_mT6_P12ihipStream_tbENKUlT_T0_E_clISt17integral_constantIbLb0EESX_EEDaSS_ST_EUlSS_E0_NS1_11comp_targetILNS1_3genE0ELNS1_11target_archE4294967295ELNS1_3gpuE0ELNS1_3repE0EEENS1_30default_config_static_selectorELNS0_4arch9wavefront6targetE1EEEvT1_
	.globl	_ZN7rocprim17ROCPRIM_400000_NS6detail17trampoline_kernelINS0_14default_configENS1_20scan_config_selectorIxEEZZNS1_9scan_implILNS1_25lookback_scan_determinismE0ELb0ELb0ES3_N6thrust23THRUST_200600_302600_NS6detail15normal_iteratorINS9_10device_ptrIxEEEENS9_16discard_iteratorINS9_11use_defaultEEEx11max_functorIxExEEDaPvRmT3_T4_T5_mT6_P12ihipStream_tbENKUlT_T0_E_clISt17integral_constantIbLb0EESX_EEDaSS_ST_EUlSS_E0_NS1_11comp_targetILNS1_3genE0ELNS1_11target_archE4294967295ELNS1_3gpuE0ELNS1_3repE0EEENS1_30default_config_static_selectorELNS0_4arch9wavefront6targetE1EEEvT1_
	.p2align	8
	.type	_ZN7rocprim17ROCPRIM_400000_NS6detail17trampoline_kernelINS0_14default_configENS1_20scan_config_selectorIxEEZZNS1_9scan_implILNS1_25lookback_scan_determinismE0ELb0ELb0ES3_N6thrust23THRUST_200600_302600_NS6detail15normal_iteratorINS9_10device_ptrIxEEEENS9_16discard_iteratorINS9_11use_defaultEEEx11max_functorIxExEEDaPvRmT3_T4_T5_mT6_P12ihipStream_tbENKUlT_T0_E_clISt17integral_constantIbLb0EESX_EEDaSS_ST_EUlSS_E0_NS1_11comp_targetILNS1_3genE0ELNS1_11target_archE4294967295ELNS1_3gpuE0ELNS1_3repE0EEENS1_30default_config_static_selectorELNS0_4arch9wavefront6targetE1EEEvT1_,@function
_ZN7rocprim17ROCPRIM_400000_NS6detail17trampoline_kernelINS0_14default_configENS1_20scan_config_selectorIxEEZZNS1_9scan_implILNS1_25lookback_scan_determinismE0ELb0ELb0ES3_N6thrust23THRUST_200600_302600_NS6detail15normal_iteratorINS9_10device_ptrIxEEEENS9_16discard_iteratorINS9_11use_defaultEEEx11max_functorIxExEEDaPvRmT3_T4_T5_mT6_P12ihipStream_tbENKUlT_T0_E_clISt17integral_constantIbLb0EESX_EEDaSS_ST_EUlSS_E0_NS1_11comp_targetILNS1_3genE0ELNS1_11target_archE4294967295ELNS1_3gpuE0ELNS1_3repE0EEENS1_30default_config_static_selectorELNS0_4arch9wavefront6targetE1EEEvT1_: ; @_ZN7rocprim17ROCPRIM_400000_NS6detail17trampoline_kernelINS0_14default_configENS1_20scan_config_selectorIxEEZZNS1_9scan_implILNS1_25lookback_scan_determinismE0ELb0ELb0ES3_N6thrust23THRUST_200600_302600_NS6detail15normal_iteratorINS9_10device_ptrIxEEEENS9_16discard_iteratorINS9_11use_defaultEEEx11max_functorIxExEEDaPvRmT3_T4_T5_mT6_P12ihipStream_tbENKUlT_T0_E_clISt17integral_constantIbLb0EESX_EEDaSS_ST_EUlSS_E0_NS1_11comp_targetILNS1_3genE0ELNS1_11target_archE4294967295ELNS1_3gpuE0ELNS1_3repE0EEENS1_30default_config_static_selectorELNS0_4arch9wavefront6targetE1EEEvT1_
; %bb.0:
	.section	.rodata,"a",@progbits
	.p2align	6, 0x0
	.amdhsa_kernel _ZN7rocprim17ROCPRIM_400000_NS6detail17trampoline_kernelINS0_14default_configENS1_20scan_config_selectorIxEEZZNS1_9scan_implILNS1_25lookback_scan_determinismE0ELb0ELb0ES3_N6thrust23THRUST_200600_302600_NS6detail15normal_iteratorINS9_10device_ptrIxEEEENS9_16discard_iteratorINS9_11use_defaultEEEx11max_functorIxExEEDaPvRmT3_T4_T5_mT6_P12ihipStream_tbENKUlT_T0_E_clISt17integral_constantIbLb0EESX_EEDaSS_ST_EUlSS_E0_NS1_11comp_targetILNS1_3genE0ELNS1_11target_archE4294967295ELNS1_3gpuE0ELNS1_3repE0EEENS1_30default_config_static_selectorELNS0_4arch9wavefront6targetE1EEEvT1_
		.amdhsa_group_segment_fixed_size 0
		.amdhsa_private_segment_fixed_size 0
		.amdhsa_kernarg_size 48
		.amdhsa_user_sgpr_count 6
		.amdhsa_user_sgpr_private_segment_buffer 1
		.amdhsa_user_sgpr_dispatch_ptr 0
		.amdhsa_user_sgpr_queue_ptr 0
		.amdhsa_user_sgpr_kernarg_segment_ptr 1
		.amdhsa_user_sgpr_dispatch_id 0
		.amdhsa_user_sgpr_flat_scratch_init 0
		.amdhsa_user_sgpr_kernarg_preload_length 0
		.amdhsa_user_sgpr_kernarg_preload_offset 0
		.amdhsa_user_sgpr_private_segment_size 0
		.amdhsa_uses_dynamic_stack 0
		.amdhsa_system_sgpr_private_segment_wavefront_offset 0
		.amdhsa_system_sgpr_workgroup_id_x 1
		.amdhsa_system_sgpr_workgroup_id_y 0
		.amdhsa_system_sgpr_workgroup_id_z 0
		.amdhsa_system_sgpr_workgroup_info 0
		.amdhsa_system_vgpr_workitem_id 0
		.amdhsa_next_free_vgpr 1
		.amdhsa_next_free_sgpr 0
		.amdhsa_accum_offset 4
		.amdhsa_reserve_vcc 0
		.amdhsa_reserve_flat_scratch 0
		.amdhsa_float_round_mode_32 0
		.amdhsa_float_round_mode_16_64 0
		.amdhsa_float_denorm_mode_32 3
		.amdhsa_float_denorm_mode_16_64 3
		.amdhsa_dx10_clamp 1
		.amdhsa_ieee_mode 1
		.amdhsa_fp16_overflow 0
		.amdhsa_tg_split 0
		.amdhsa_exception_fp_ieee_invalid_op 0
		.amdhsa_exception_fp_denorm_src 0
		.amdhsa_exception_fp_ieee_div_zero 0
		.amdhsa_exception_fp_ieee_overflow 0
		.amdhsa_exception_fp_ieee_underflow 0
		.amdhsa_exception_fp_ieee_inexact 0
		.amdhsa_exception_int_div_zero 0
	.end_amdhsa_kernel
	.section	.text._ZN7rocprim17ROCPRIM_400000_NS6detail17trampoline_kernelINS0_14default_configENS1_20scan_config_selectorIxEEZZNS1_9scan_implILNS1_25lookback_scan_determinismE0ELb0ELb0ES3_N6thrust23THRUST_200600_302600_NS6detail15normal_iteratorINS9_10device_ptrIxEEEENS9_16discard_iteratorINS9_11use_defaultEEEx11max_functorIxExEEDaPvRmT3_T4_T5_mT6_P12ihipStream_tbENKUlT_T0_E_clISt17integral_constantIbLb0EESX_EEDaSS_ST_EUlSS_E0_NS1_11comp_targetILNS1_3genE0ELNS1_11target_archE4294967295ELNS1_3gpuE0ELNS1_3repE0EEENS1_30default_config_static_selectorELNS0_4arch9wavefront6targetE1EEEvT1_,"axG",@progbits,_ZN7rocprim17ROCPRIM_400000_NS6detail17trampoline_kernelINS0_14default_configENS1_20scan_config_selectorIxEEZZNS1_9scan_implILNS1_25lookback_scan_determinismE0ELb0ELb0ES3_N6thrust23THRUST_200600_302600_NS6detail15normal_iteratorINS9_10device_ptrIxEEEENS9_16discard_iteratorINS9_11use_defaultEEEx11max_functorIxExEEDaPvRmT3_T4_T5_mT6_P12ihipStream_tbENKUlT_T0_E_clISt17integral_constantIbLb0EESX_EEDaSS_ST_EUlSS_E0_NS1_11comp_targetILNS1_3genE0ELNS1_11target_archE4294967295ELNS1_3gpuE0ELNS1_3repE0EEENS1_30default_config_static_selectorELNS0_4arch9wavefront6targetE1EEEvT1_,comdat
.Lfunc_end3719:
	.size	_ZN7rocprim17ROCPRIM_400000_NS6detail17trampoline_kernelINS0_14default_configENS1_20scan_config_selectorIxEEZZNS1_9scan_implILNS1_25lookback_scan_determinismE0ELb0ELb0ES3_N6thrust23THRUST_200600_302600_NS6detail15normal_iteratorINS9_10device_ptrIxEEEENS9_16discard_iteratorINS9_11use_defaultEEEx11max_functorIxExEEDaPvRmT3_T4_T5_mT6_P12ihipStream_tbENKUlT_T0_E_clISt17integral_constantIbLb0EESX_EEDaSS_ST_EUlSS_E0_NS1_11comp_targetILNS1_3genE0ELNS1_11target_archE4294967295ELNS1_3gpuE0ELNS1_3repE0EEENS1_30default_config_static_selectorELNS0_4arch9wavefront6targetE1EEEvT1_, .Lfunc_end3719-_ZN7rocprim17ROCPRIM_400000_NS6detail17trampoline_kernelINS0_14default_configENS1_20scan_config_selectorIxEEZZNS1_9scan_implILNS1_25lookback_scan_determinismE0ELb0ELb0ES3_N6thrust23THRUST_200600_302600_NS6detail15normal_iteratorINS9_10device_ptrIxEEEENS9_16discard_iteratorINS9_11use_defaultEEEx11max_functorIxExEEDaPvRmT3_T4_T5_mT6_P12ihipStream_tbENKUlT_T0_E_clISt17integral_constantIbLb0EESX_EEDaSS_ST_EUlSS_E0_NS1_11comp_targetILNS1_3genE0ELNS1_11target_archE4294967295ELNS1_3gpuE0ELNS1_3repE0EEENS1_30default_config_static_selectorELNS0_4arch9wavefront6targetE1EEEvT1_
                                        ; -- End function
	.section	.AMDGPU.csdata,"",@progbits
; Kernel info:
; codeLenInByte = 0
; NumSgprs: 4
; NumVgprs: 0
; NumAgprs: 0
; TotalNumVgprs: 0
; ScratchSize: 0
; MemoryBound: 0
; FloatMode: 240
; IeeeMode: 1
; LDSByteSize: 0 bytes/workgroup (compile time only)
; SGPRBlocks: 0
; VGPRBlocks: 0
; NumSGPRsForWavesPerEU: 4
; NumVGPRsForWavesPerEU: 1
; AccumOffset: 4
; Occupancy: 8
; WaveLimiterHint : 0
; COMPUTE_PGM_RSRC2:SCRATCH_EN: 0
; COMPUTE_PGM_RSRC2:USER_SGPR: 6
; COMPUTE_PGM_RSRC2:TRAP_HANDLER: 0
; COMPUTE_PGM_RSRC2:TGID_X_EN: 1
; COMPUTE_PGM_RSRC2:TGID_Y_EN: 0
; COMPUTE_PGM_RSRC2:TGID_Z_EN: 0
; COMPUTE_PGM_RSRC2:TIDIG_COMP_CNT: 0
; COMPUTE_PGM_RSRC3_GFX90A:ACCUM_OFFSET: 0
; COMPUTE_PGM_RSRC3_GFX90A:TG_SPLIT: 0
	.section	.text._ZN7rocprim17ROCPRIM_400000_NS6detail17trampoline_kernelINS0_14default_configENS1_20scan_config_selectorIxEEZZNS1_9scan_implILNS1_25lookback_scan_determinismE0ELb0ELb0ES3_N6thrust23THRUST_200600_302600_NS6detail15normal_iteratorINS9_10device_ptrIxEEEENS9_16discard_iteratorINS9_11use_defaultEEEx11max_functorIxExEEDaPvRmT3_T4_T5_mT6_P12ihipStream_tbENKUlT_T0_E_clISt17integral_constantIbLb0EESX_EEDaSS_ST_EUlSS_E0_NS1_11comp_targetILNS1_3genE5ELNS1_11target_archE942ELNS1_3gpuE9ELNS1_3repE0EEENS1_30default_config_static_selectorELNS0_4arch9wavefront6targetE1EEEvT1_,"axG",@progbits,_ZN7rocprim17ROCPRIM_400000_NS6detail17trampoline_kernelINS0_14default_configENS1_20scan_config_selectorIxEEZZNS1_9scan_implILNS1_25lookback_scan_determinismE0ELb0ELb0ES3_N6thrust23THRUST_200600_302600_NS6detail15normal_iteratorINS9_10device_ptrIxEEEENS9_16discard_iteratorINS9_11use_defaultEEEx11max_functorIxExEEDaPvRmT3_T4_T5_mT6_P12ihipStream_tbENKUlT_T0_E_clISt17integral_constantIbLb0EESX_EEDaSS_ST_EUlSS_E0_NS1_11comp_targetILNS1_3genE5ELNS1_11target_archE942ELNS1_3gpuE9ELNS1_3repE0EEENS1_30default_config_static_selectorELNS0_4arch9wavefront6targetE1EEEvT1_,comdat
	.protected	_ZN7rocprim17ROCPRIM_400000_NS6detail17trampoline_kernelINS0_14default_configENS1_20scan_config_selectorIxEEZZNS1_9scan_implILNS1_25lookback_scan_determinismE0ELb0ELb0ES3_N6thrust23THRUST_200600_302600_NS6detail15normal_iteratorINS9_10device_ptrIxEEEENS9_16discard_iteratorINS9_11use_defaultEEEx11max_functorIxExEEDaPvRmT3_T4_T5_mT6_P12ihipStream_tbENKUlT_T0_E_clISt17integral_constantIbLb0EESX_EEDaSS_ST_EUlSS_E0_NS1_11comp_targetILNS1_3genE5ELNS1_11target_archE942ELNS1_3gpuE9ELNS1_3repE0EEENS1_30default_config_static_selectorELNS0_4arch9wavefront6targetE1EEEvT1_ ; -- Begin function _ZN7rocprim17ROCPRIM_400000_NS6detail17trampoline_kernelINS0_14default_configENS1_20scan_config_selectorIxEEZZNS1_9scan_implILNS1_25lookback_scan_determinismE0ELb0ELb0ES3_N6thrust23THRUST_200600_302600_NS6detail15normal_iteratorINS9_10device_ptrIxEEEENS9_16discard_iteratorINS9_11use_defaultEEEx11max_functorIxExEEDaPvRmT3_T4_T5_mT6_P12ihipStream_tbENKUlT_T0_E_clISt17integral_constantIbLb0EESX_EEDaSS_ST_EUlSS_E0_NS1_11comp_targetILNS1_3genE5ELNS1_11target_archE942ELNS1_3gpuE9ELNS1_3repE0EEENS1_30default_config_static_selectorELNS0_4arch9wavefront6targetE1EEEvT1_
	.globl	_ZN7rocprim17ROCPRIM_400000_NS6detail17trampoline_kernelINS0_14default_configENS1_20scan_config_selectorIxEEZZNS1_9scan_implILNS1_25lookback_scan_determinismE0ELb0ELb0ES3_N6thrust23THRUST_200600_302600_NS6detail15normal_iteratorINS9_10device_ptrIxEEEENS9_16discard_iteratorINS9_11use_defaultEEEx11max_functorIxExEEDaPvRmT3_T4_T5_mT6_P12ihipStream_tbENKUlT_T0_E_clISt17integral_constantIbLb0EESX_EEDaSS_ST_EUlSS_E0_NS1_11comp_targetILNS1_3genE5ELNS1_11target_archE942ELNS1_3gpuE9ELNS1_3repE0EEENS1_30default_config_static_selectorELNS0_4arch9wavefront6targetE1EEEvT1_
	.p2align	8
	.type	_ZN7rocprim17ROCPRIM_400000_NS6detail17trampoline_kernelINS0_14default_configENS1_20scan_config_selectorIxEEZZNS1_9scan_implILNS1_25lookback_scan_determinismE0ELb0ELb0ES3_N6thrust23THRUST_200600_302600_NS6detail15normal_iteratorINS9_10device_ptrIxEEEENS9_16discard_iteratorINS9_11use_defaultEEEx11max_functorIxExEEDaPvRmT3_T4_T5_mT6_P12ihipStream_tbENKUlT_T0_E_clISt17integral_constantIbLb0EESX_EEDaSS_ST_EUlSS_E0_NS1_11comp_targetILNS1_3genE5ELNS1_11target_archE942ELNS1_3gpuE9ELNS1_3repE0EEENS1_30default_config_static_selectorELNS0_4arch9wavefront6targetE1EEEvT1_,@function
_ZN7rocprim17ROCPRIM_400000_NS6detail17trampoline_kernelINS0_14default_configENS1_20scan_config_selectorIxEEZZNS1_9scan_implILNS1_25lookback_scan_determinismE0ELb0ELb0ES3_N6thrust23THRUST_200600_302600_NS6detail15normal_iteratorINS9_10device_ptrIxEEEENS9_16discard_iteratorINS9_11use_defaultEEEx11max_functorIxExEEDaPvRmT3_T4_T5_mT6_P12ihipStream_tbENKUlT_T0_E_clISt17integral_constantIbLb0EESX_EEDaSS_ST_EUlSS_E0_NS1_11comp_targetILNS1_3genE5ELNS1_11target_archE942ELNS1_3gpuE9ELNS1_3repE0EEENS1_30default_config_static_selectorELNS0_4arch9wavefront6targetE1EEEvT1_: ; @_ZN7rocprim17ROCPRIM_400000_NS6detail17trampoline_kernelINS0_14default_configENS1_20scan_config_selectorIxEEZZNS1_9scan_implILNS1_25lookback_scan_determinismE0ELb0ELb0ES3_N6thrust23THRUST_200600_302600_NS6detail15normal_iteratorINS9_10device_ptrIxEEEENS9_16discard_iteratorINS9_11use_defaultEEEx11max_functorIxExEEDaPvRmT3_T4_T5_mT6_P12ihipStream_tbENKUlT_T0_E_clISt17integral_constantIbLb0EESX_EEDaSS_ST_EUlSS_E0_NS1_11comp_targetILNS1_3genE5ELNS1_11target_archE942ELNS1_3gpuE9ELNS1_3repE0EEENS1_30default_config_static_selectorELNS0_4arch9wavefront6targetE1EEEvT1_
; %bb.0:
	.section	.rodata,"a",@progbits
	.p2align	6, 0x0
	.amdhsa_kernel _ZN7rocprim17ROCPRIM_400000_NS6detail17trampoline_kernelINS0_14default_configENS1_20scan_config_selectorIxEEZZNS1_9scan_implILNS1_25lookback_scan_determinismE0ELb0ELb0ES3_N6thrust23THRUST_200600_302600_NS6detail15normal_iteratorINS9_10device_ptrIxEEEENS9_16discard_iteratorINS9_11use_defaultEEEx11max_functorIxExEEDaPvRmT3_T4_T5_mT6_P12ihipStream_tbENKUlT_T0_E_clISt17integral_constantIbLb0EESX_EEDaSS_ST_EUlSS_E0_NS1_11comp_targetILNS1_3genE5ELNS1_11target_archE942ELNS1_3gpuE9ELNS1_3repE0EEENS1_30default_config_static_selectorELNS0_4arch9wavefront6targetE1EEEvT1_
		.amdhsa_group_segment_fixed_size 0
		.amdhsa_private_segment_fixed_size 0
		.amdhsa_kernarg_size 48
		.amdhsa_user_sgpr_count 6
		.amdhsa_user_sgpr_private_segment_buffer 1
		.amdhsa_user_sgpr_dispatch_ptr 0
		.amdhsa_user_sgpr_queue_ptr 0
		.amdhsa_user_sgpr_kernarg_segment_ptr 1
		.amdhsa_user_sgpr_dispatch_id 0
		.amdhsa_user_sgpr_flat_scratch_init 0
		.amdhsa_user_sgpr_kernarg_preload_length 0
		.amdhsa_user_sgpr_kernarg_preload_offset 0
		.amdhsa_user_sgpr_private_segment_size 0
		.amdhsa_uses_dynamic_stack 0
		.amdhsa_system_sgpr_private_segment_wavefront_offset 0
		.amdhsa_system_sgpr_workgroup_id_x 1
		.amdhsa_system_sgpr_workgroup_id_y 0
		.amdhsa_system_sgpr_workgroup_id_z 0
		.amdhsa_system_sgpr_workgroup_info 0
		.amdhsa_system_vgpr_workitem_id 0
		.amdhsa_next_free_vgpr 1
		.amdhsa_next_free_sgpr 0
		.amdhsa_accum_offset 4
		.amdhsa_reserve_vcc 0
		.amdhsa_reserve_flat_scratch 0
		.amdhsa_float_round_mode_32 0
		.amdhsa_float_round_mode_16_64 0
		.amdhsa_float_denorm_mode_32 3
		.amdhsa_float_denorm_mode_16_64 3
		.amdhsa_dx10_clamp 1
		.amdhsa_ieee_mode 1
		.amdhsa_fp16_overflow 0
		.amdhsa_tg_split 0
		.amdhsa_exception_fp_ieee_invalid_op 0
		.amdhsa_exception_fp_denorm_src 0
		.amdhsa_exception_fp_ieee_div_zero 0
		.amdhsa_exception_fp_ieee_overflow 0
		.amdhsa_exception_fp_ieee_underflow 0
		.amdhsa_exception_fp_ieee_inexact 0
		.amdhsa_exception_int_div_zero 0
	.end_amdhsa_kernel
	.section	.text._ZN7rocprim17ROCPRIM_400000_NS6detail17trampoline_kernelINS0_14default_configENS1_20scan_config_selectorIxEEZZNS1_9scan_implILNS1_25lookback_scan_determinismE0ELb0ELb0ES3_N6thrust23THRUST_200600_302600_NS6detail15normal_iteratorINS9_10device_ptrIxEEEENS9_16discard_iteratorINS9_11use_defaultEEEx11max_functorIxExEEDaPvRmT3_T4_T5_mT6_P12ihipStream_tbENKUlT_T0_E_clISt17integral_constantIbLb0EESX_EEDaSS_ST_EUlSS_E0_NS1_11comp_targetILNS1_3genE5ELNS1_11target_archE942ELNS1_3gpuE9ELNS1_3repE0EEENS1_30default_config_static_selectorELNS0_4arch9wavefront6targetE1EEEvT1_,"axG",@progbits,_ZN7rocprim17ROCPRIM_400000_NS6detail17trampoline_kernelINS0_14default_configENS1_20scan_config_selectorIxEEZZNS1_9scan_implILNS1_25lookback_scan_determinismE0ELb0ELb0ES3_N6thrust23THRUST_200600_302600_NS6detail15normal_iteratorINS9_10device_ptrIxEEEENS9_16discard_iteratorINS9_11use_defaultEEEx11max_functorIxExEEDaPvRmT3_T4_T5_mT6_P12ihipStream_tbENKUlT_T0_E_clISt17integral_constantIbLb0EESX_EEDaSS_ST_EUlSS_E0_NS1_11comp_targetILNS1_3genE5ELNS1_11target_archE942ELNS1_3gpuE9ELNS1_3repE0EEENS1_30default_config_static_selectorELNS0_4arch9wavefront6targetE1EEEvT1_,comdat
.Lfunc_end3720:
	.size	_ZN7rocprim17ROCPRIM_400000_NS6detail17trampoline_kernelINS0_14default_configENS1_20scan_config_selectorIxEEZZNS1_9scan_implILNS1_25lookback_scan_determinismE0ELb0ELb0ES3_N6thrust23THRUST_200600_302600_NS6detail15normal_iteratorINS9_10device_ptrIxEEEENS9_16discard_iteratorINS9_11use_defaultEEEx11max_functorIxExEEDaPvRmT3_T4_T5_mT6_P12ihipStream_tbENKUlT_T0_E_clISt17integral_constantIbLb0EESX_EEDaSS_ST_EUlSS_E0_NS1_11comp_targetILNS1_3genE5ELNS1_11target_archE942ELNS1_3gpuE9ELNS1_3repE0EEENS1_30default_config_static_selectorELNS0_4arch9wavefront6targetE1EEEvT1_, .Lfunc_end3720-_ZN7rocprim17ROCPRIM_400000_NS6detail17trampoline_kernelINS0_14default_configENS1_20scan_config_selectorIxEEZZNS1_9scan_implILNS1_25lookback_scan_determinismE0ELb0ELb0ES3_N6thrust23THRUST_200600_302600_NS6detail15normal_iteratorINS9_10device_ptrIxEEEENS9_16discard_iteratorINS9_11use_defaultEEEx11max_functorIxExEEDaPvRmT3_T4_T5_mT6_P12ihipStream_tbENKUlT_T0_E_clISt17integral_constantIbLb0EESX_EEDaSS_ST_EUlSS_E0_NS1_11comp_targetILNS1_3genE5ELNS1_11target_archE942ELNS1_3gpuE9ELNS1_3repE0EEENS1_30default_config_static_selectorELNS0_4arch9wavefront6targetE1EEEvT1_
                                        ; -- End function
	.section	.AMDGPU.csdata,"",@progbits
; Kernel info:
; codeLenInByte = 0
; NumSgprs: 4
; NumVgprs: 0
; NumAgprs: 0
; TotalNumVgprs: 0
; ScratchSize: 0
; MemoryBound: 0
; FloatMode: 240
; IeeeMode: 1
; LDSByteSize: 0 bytes/workgroup (compile time only)
; SGPRBlocks: 0
; VGPRBlocks: 0
; NumSGPRsForWavesPerEU: 4
; NumVGPRsForWavesPerEU: 1
; AccumOffset: 4
; Occupancy: 8
; WaveLimiterHint : 0
; COMPUTE_PGM_RSRC2:SCRATCH_EN: 0
; COMPUTE_PGM_RSRC2:USER_SGPR: 6
; COMPUTE_PGM_RSRC2:TRAP_HANDLER: 0
; COMPUTE_PGM_RSRC2:TGID_X_EN: 1
; COMPUTE_PGM_RSRC2:TGID_Y_EN: 0
; COMPUTE_PGM_RSRC2:TGID_Z_EN: 0
; COMPUTE_PGM_RSRC2:TIDIG_COMP_CNT: 0
; COMPUTE_PGM_RSRC3_GFX90A:ACCUM_OFFSET: 0
; COMPUTE_PGM_RSRC3_GFX90A:TG_SPLIT: 0
	.section	.text._ZN7rocprim17ROCPRIM_400000_NS6detail17trampoline_kernelINS0_14default_configENS1_20scan_config_selectorIxEEZZNS1_9scan_implILNS1_25lookback_scan_determinismE0ELb0ELb0ES3_N6thrust23THRUST_200600_302600_NS6detail15normal_iteratorINS9_10device_ptrIxEEEENS9_16discard_iteratorINS9_11use_defaultEEEx11max_functorIxExEEDaPvRmT3_T4_T5_mT6_P12ihipStream_tbENKUlT_T0_E_clISt17integral_constantIbLb0EESX_EEDaSS_ST_EUlSS_E0_NS1_11comp_targetILNS1_3genE4ELNS1_11target_archE910ELNS1_3gpuE8ELNS1_3repE0EEENS1_30default_config_static_selectorELNS0_4arch9wavefront6targetE1EEEvT1_,"axG",@progbits,_ZN7rocprim17ROCPRIM_400000_NS6detail17trampoline_kernelINS0_14default_configENS1_20scan_config_selectorIxEEZZNS1_9scan_implILNS1_25lookback_scan_determinismE0ELb0ELb0ES3_N6thrust23THRUST_200600_302600_NS6detail15normal_iteratorINS9_10device_ptrIxEEEENS9_16discard_iteratorINS9_11use_defaultEEEx11max_functorIxExEEDaPvRmT3_T4_T5_mT6_P12ihipStream_tbENKUlT_T0_E_clISt17integral_constantIbLb0EESX_EEDaSS_ST_EUlSS_E0_NS1_11comp_targetILNS1_3genE4ELNS1_11target_archE910ELNS1_3gpuE8ELNS1_3repE0EEENS1_30default_config_static_selectorELNS0_4arch9wavefront6targetE1EEEvT1_,comdat
	.protected	_ZN7rocprim17ROCPRIM_400000_NS6detail17trampoline_kernelINS0_14default_configENS1_20scan_config_selectorIxEEZZNS1_9scan_implILNS1_25lookback_scan_determinismE0ELb0ELb0ES3_N6thrust23THRUST_200600_302600_NS6detail15normal_iteratorINS9_10device_ptrIxEEEENS9_16discard_iteratorINS9_11use_defaultEEEx11max_functorIxExEEDaPvRmT3_T4_T5_mT6_P12ihipStream_tbENKUlT_T0_E_clISt17integral_constantIbLb0EESX_EEDaSS_ST_EUlSS_E0_NS1_11comp_targetILNS1_3genE4ELNS1_11target_archE910ELNS1_3gpuE8ELNS1_3repE0EEENS1_30default_config_static_selectorELNS0_4arch9wavefront6targetE1EEEvT1_ ; -- Begin function _ZN7rocprim17ROCPRIM_400000_NS6detail17trampoline_kernelINS0_14default_configENS1_20scan_config_selectorIxEEZZNS1_9scan_implILNS1_25lookback_scan_determinismE0ELb0ELb0ES3_N6thrust23THRUST_200600_302600_NS6detail15normal_iteratorINS9_10device_ptrIxEEEENS9_16discard_iteratorINS9_11use_defaultEEEx11max_functorIxExEEDaPvRmT3_T4_T5_mT6_P12ihipStream_tbENKUlT_T0_E_clISt17integral_constantIbLb0EESX_EEDaSS_ST_EUlSS_E0_NS1_11comp_targetILNS1_3genE4ELNS1_11target_archE910ELNS1_3gpuE8ELNS1_3repE0EEENS1_30default_config_static_selectorELNS0_4arch9wavefront6targetE1EEEvT1_
	.globl	_ZN7rocprim17ROCPRIM_400000_NS6detail17trampoline_kernelINS0_14default_configENS1_20scan_config_selectorIxEEZZNS1_9scan_implILNS1_25lookback_scan_determinismE0ELb0ELb0ES3_N6thrust23THRUST_200600_302600_NS6detail15normal_iteratorINS9_10device_ptrIxEEEENS9_16discard_iteratorINS9_11use_defaultEEEx11max_functorIxExEEDaPvRmT3_T4_T5_mT6_P12ihipStream_tbENKUlT_T0_E_clISt17integral_constantIbLb0EESX_EEDaSS_ST_EUlSS_E0_NS1_11comp_targetILNS1_3genE4ELNS1_11target_archE910ELNS1_3gpuE8ELNS1_3repE0EEENS1_30default_config_static_selectorELNS0_4arch9wavefront6targetE1EEEvT1_
	.p2align	8
	.type	_ZN7rocprim17ROCPRIM_400000_NS6detail17trampoline_kernelINS0_14default_configENS1_20scan_config_selectorIxEEZZNS1_9scan_implILNS1_25lookback_scan_determinismE0ELb0ELb0ES3_N6thrust23THRUST_200600_302600_NS6detail15normal_iteratorINS9_10device_ptrIxEEEENS9_16discard_iteratorINS9_11use_defaultEEEx11max_functorIxExEEDaPvRmT3_T4_T5_mT6_P12ihipStream_tbENKUlT_T0_E_clISt17integral_constantIbLb0EESX_EEDaSS_ST_EUlSS_E0_NS1_11comp_targetILNS1_3genE4ELNS1_11target_archE910ELNS1_3gpuE8ELNS1_3repE0EEENS1_30default_config_static_selectorELNS0_4arch9wavefront6targetE1EEEvT1_,@function
_ZN7rocprim17ROCPRIM_400000_NS6detail17trampoline_kernelINS0_14default_configENS1_20scan_config_selectorIxEEZZNS1_9scan_implILNS1_25lookback_scan_determinismE0ELb0ELb0ES3_N6thrust23THRUST_200600_302600_NS6detail15normal_iteratorINS9_10device_ptrIxEEEENS9_16discard_iteratorINS9_11use_defaultEEEx11max_functorIxExEEDaPvRmT3_T4_T5_mT6_P12ihipStream_tbENKUlT_T0_E_clISt17integral_constantIbLb0EESX_EEDaSS_ST_EUlSS_E0_NS1_11comp_targetILNS1_3genE4ELNS1_11target_archE910ELNS1_3gpuE8ELNS1_3repE0EEENS1_30default_config_static_selectorELNS0_4arch9wavefront6targetE1EEEvT1_: ; @_ZN7rocprim17ROCPRIM_400000_NS6detail17trampoline_kernelINS0_14default_configENS1_20scan_config_selectorIxEEZZNS1_9scan_implILNS1_25lookback_scan_determinismE0ELb0ELb0ES3_N6thrust23THRUST_200600_302600_NS6detail15normal_iteratorINS9_10device_ptrIxEEEENS9_16discard_iteratorINS9_11use_defaultEEEx11max_functorIxExEEDaPvRmT3_T4_T5_mT6_P12ihipStream_tbENKUlT_T0_E_clISt17integral_constantIbLb0EESX_EEDaSS_ST_EUlSS_E0_NS1_11comp_targetILNS1_3genE4ELNS1_11target_archE910ELNS1_3gpuE8ELNS1_3repE0EEENS1_30default_config_static_selectorELNS0_4arch9wavefront6targetE1EEEvT1_
; %bb.0:
	s_load_dwordx4 s[0:3], s[4:5], 0x0
	v_lshlrev_b32_e32 v1, 3, v0
	s_waitcnt lgkmcnt(0)
	s_load_dwordx2 s[4:5], s[0:1], 0x0
	v_cmp_gt_u32_e32 vcc, s2, v0
	s_waitcnt lgkmcnt(0)
	v_pk_mov_b32 v[2:3], s[4:5], s[4:5] op_sel:[0,1]
	s_and_saveexec_b64 s[6:7], vcc
	s_cbranch_execz .LBB3721_2
; %bb.1:
	global_load_dwordx2 v[2:3], v1, s[0:1]
.LBB3721_2:
	s_or_b64 exec, exec, s[6:7]
	v_or_b32_e32 v4, 0x80, v0
	v_cmp_gt_u32_e32 vcc, s2, v4
	v_pk_mov_b32 v[4:5], s[4:5], s[4:5] op_sel:[0,1]
	s_and_saveexec_b64 s[6:7], vcc
	s_cbranch_execz .LBB3721_4
; %bb.3:
	global_load_dwordx2 v[4:5], v1, s[0:1] offset:1024
.LBB3721_4:
	s_or_b64 exec, exec, s[6:7]
	v_or_b32_e32 v6, 0x100, v0
	v_cmp_gt_u32_e32 vcc, s2, v6
	v_pk_mov_b32 v[6:7], s[4:5], s[4:5] op_sel:[0,1]
	s_and_saveexec_b64 s[6:7], vcc
	s_cbranch_execz .LBB3721_6
; %bb.5:
	global_load_dwordx2 v[6:7], v1, s[0:1] offset:2048
.LBB3721_6:
	;; [unrolled: 9-line block ×3, first 2 shown]
	s_or_b64 exec, exec, s[6:7]
	v_or_b32_e32 v12, 0x200, v0
	v_cmp_gt_u32_e32 vcc, s2, v12
	v_pk_mov_b32 v[10:11], s[4:5], s[4:5] op_sel:[0,1]
	s_and_saveexec_b64 s[6:7], vcc
	s_cbranch_execz .LBB3721_10
; %bb.9:
	v_lshlrev_b32_e32 v10, 3, v12
	global_load_dwordx2 v[10:11], v10, s[0:1]
.LBB3721_10:
	s_or_b64 exec, exec, s[6:7]
	v_or_b32_e32 v14, 0x280, v0
	v_cmp_gt_u32_e32 vcc, s2, v14
	v_pk_mov_b32 v[12:13], s[4:5], s[4:5] op_sel:[0,1]
	s_and_saveexec_b64 s[6:7], vcc
	s_cbranch_execz .LBB3721_12
; %bb.11:
	v_lshlrev_b32_e32 v12, 3, v14
	global_load_dwordx2 v[12:13], v12, s[0:1]
.LBB3721_12:
	;; [unrolled: 10-line block ×3, first 2 shown]
	s_or_b64 exec, exec, s[2:3]
	s_waitcnt vmcnt(0)
	ds_write2st64_b64 v1, v[2:3], v[4:5] offset1:2
	ds_write2st64_b64 v1, v[6:7], v[8:9] offset0:4 offset1:6
	ds_write2st64_b64 v1, v[10:11], v[12:13] offset0:8 offset1:10
	ds_write_b64 v1, v[14:15] offset:6144
	v_mad_u32_u24 v14, v0, 48, v1
	s_waitcnt lgkmcnt(0)
	s_barrier
	ds_read2_b64 v[2:5], v14 offset1:1
	ds_read2_b64 v[10:13], v14 offset0:2 offset1:3
	ds_read2_b64 v[6:9], v14 offset0:4 offset1:5
	ds_read_b64 v[26:27], v14 offset:48
	v_lshrrev_b32_e32 v14, 2, v0
	s_waitcnt lgkmcnt(3)
	v_cmp_gt_i64_e32 vcc, v[2:3], v[4:5]
	v_cndmask_b32_e32 v19, v5, v3, vcc
	v_cndmask_b32_e32 v18, v4, v2, vcc
	s_waitcnt lgkmcnt(2)
	v_cmp_gt_i64_e32 vcc, v[18:19], v[10:11]
	v_cndmask_b32_e32 v21, v11, v19, vcc
	v_cndmask_b32_e32 v20, v10, v18, vcc
	v_cmp_gt_i64_e32 vcc, v[20:21], v[12:13]
	v_cndmask_b32_e32 v23, v13, v21, vcc
	v_cndmask_b32_e32 v22, v12, v20, vcc
	s_waitcnt lgkmcnt(1)
	v_cmp_gt_i64_e32 vcc, v[22:23], v[6:7]
	v_cndmask_b32_e32 v25, v7, v23, vcc
	v_cndmask_b32_e32 v24, v6, v22, vcc
	v_cmp_gt_i64_e32 vcc, v[24:25], v[8:9]
	v_cndmask_b32_e32 v29, v9, v25, vcc
	v_cndmask_b32_e32 v28, v8, v24, vcc
	s_waitcnt lgkmcnt(0)
	v_cmp_gt_i64_e32 vcc, v[28:29], v[26:27]
	v_and_b32_e32 v14, 24, v14
	v_cndmask_b32_e32 v31, v27, v29, vcc
	v_cndmask_b32_e32 v30, v26, v28, vcc
	v_add_u32_e32 v14, v1, v14
	v_cmp_gt_u32_e32 vcc, 64, v0
	s_barrier
	ds_write_b64 v14, v[30:31]
	s_waitcnt lgkmcnt(0)
	s_barrier
	s_and_saveexec_b64 s[2:3], vcc
	s_cbranch_execz .LBB3721_18
; %bb.15:
	v_lshlrev_b32_e32 v14, 1, v0
	v_lshrrev_b32_e32 v15, 4, v0
	v_add_lshl_u32 v36, v15, v14, 3
	ds_read2_b64 v[14:17], v36 offset1:1
	v_mbcnt_lo_u32_b32 v32, -1, 0
	v_mbcnt_hi_u32_b32 v37, -1, v32
	v_and_b32_e32 v38, 15, v37
	v_and_b32_e32 v40, 16, v37
	s_waitcnt lgkmcnt(0)
	v_cmp_gt_i64_e32 vcc, v[14:15], v[16:17]
	v_cndmask_b32_e32 v17, v17, v15, vcc
	v_cndmask_b32_e32 v16, v16, v14, vcc
	v_cmp_ne_u32_e64 s[0:1], 0, v37
	v_mov_b32_dpp v33, v17 row_shr:1 row_mask:0xf bank_mask:0xf
	v_mov_b32_dpp v32, v16 row_shr:1 row_mask:0xf bank_mask:0xf
	v_cmp_gt_i64_e32 vcc, v[32:33], v[16:17]
	v_cndmask_b32_e32 v32, v16, v32, vcc
	v_cndmask_b32_e32 v33, v17, v33, vcc
	v_cmp_eq_u32_e32 vcc, 0, v38
	v_cndmask_b32_e32 v33, v33, v17, vcc
	v_cndmask_b32_e32 v32, v32, v16, vcc
	s_nop 0
	v_mov_b32_dpp v35, v33 row_shr:2 row_mask:0xf bank_mask:0xf
	v_mov_b32_dpp v34, v32 row_shr:2 row_mask:0xf bank_mask:0xf
	v_cmp_gt_i64_e32 vcc, v[34:35], v[32:33]
	v_cndmask_b32_e32 v34, v32, v34, vcc
	v_cndmask_b32_e32 v35, v33, v35, vcc
	v_cmp_lt_u32_e32 vcc, 1, v38
	v_cndmask_b32_e32 v33, v33, v35, vcc
	v_cndmask_b32_e32 v32, v32, v34, vcc
	s_nop 0
	v_mov_b32_dpp v35, v33 row_shr:4 row_mask:0xf bank_mask:0xf
	v_mov_b32_dpp v34, v32 row_shr:4 row_mask:0xf bank_mask:0xf
	v_cmp_gt_i64_e32 vcc, v[34:35], v[32:33]
	v_cndmask_b32_e32 v34, v32, v34, vcc
	v_cndmask_b32_e32 v35, v33, v35, vcc
	v_cmp_lt_u32_e32 vcc, 3, v38
	;; [unrolled: 9-line block ×3, first 2 shown]
	v_cndmask_b32_e32 v33, v33, v35, vcc
	v_cndmask_b32_e32 v32, v32, v34, vcc
	s_nop 0
	v_mov_b32_dpp v35, v33 row_bcast:15 row_mask:0xf bank_mask:0xf
	v_mov_b32_dpp v34, v32 row_bcast:15 row_mask:0xf bank_mask:0xf
	v_cmp_gt_i64_e32 vcc, v[34:35], v[32:33]
	v_cndmask_b32_e32 v38, v33, v35, vcc
	v_cndmask_b32_e32 v39, v32, v34, vcc
	v_cmp_eq_u32_e32 vcc, 0, v40
	v_cndmask_b32_e32 v35, v38, v33, vcc
	v_cndmask_b32_e32 v34, v39, v32, vcc
	s_nop 0
	v_mov_b32_dpp v35, v35 row_bcast:31 row_mask:0xf bank_mask:0xf
	v_mov_b32_dpp v34, v34 row_bcast:31 row_mask:0xf bank_mask:0xf
	s_and_saveexec_b64 s[4:5], s[0:1]
; %bb.16:
	v_cndmask_b32_e32 v17, v38, v33, vcc
	v_cndmask_b32_e32 v16, v39, v32, vcc
	v_cmp_lt_u32_e64 s[0:1], 31, v37
	v_cmp_gt_i64_e32 vcc, v[34:35], v[16:17]
	s_and_b64 vcc, s[0:1], vcc
	v_cndmask_b32_e32 v16, v16, v34, vcc
	v_cndmask_b32_e32 v17, v17, v35, vcc
; %bb.17:
	s_or_b64 exec, exec, s[4:5]
	v_add_u32_e32 v32, -1, v37
	v_and_b32_e32 v33, 64, v37
	v_cmp_lt_i32_e32 vcc, v32, v33
	v_cndmask_b32_e32 v32, v32, v37, vcc
	v_lshlrev_b32_e32 v32, 2, v32
	ds_bpermute_b32 v16, v32, v16
	ds_bpermute_b32 v17, v32, v17
	; wave barrier
	s_waitcnt lgkmcnt(0)
	v_cmp_gt_i64_e32 vcc, v[16:17], v[14:15]
	v_cndmask_b32_e32 v14, v14, v16, vcc
	v_cndmask_b32_e32 v15, v15, v17, vcc
	v_cmp_eq_u32_e32 vcc, 0, v0
	v_cndmask_b32_e32 v15, v15, v31, vcc
	v_cndmask_b32_e32 v14, v14, v30, vcc
	ds_write_b64 v36, v[14:15]
	; wave barrier
	ds_read_b64 v[16:17], v36 offset:8
	s_waitcnt lgkmcnt(0)
	v_cmp_gt_i64_e32 vcc, v[14:15], v[16:17]
	v_cndmask_b32_e32 v15, v17, v15, vcc
	v_cndmask_b32_e32 v14, v16, v14, vcc
	ds_write_b64 v36, v[14:15] offset:8
.LBB3721_18:
	s_or_b64 exec, exec, s[2:3]
	v_mul_u32_u24_e32 v16, 48, v0
	v_cmp_ne_u32_e32 vcc, 0, v0
	v_pk_mov_b32 v[14:15], v[30:31], v[30:31] op_sel:[0,1]
	s_waitcnt lgkmcnt(0)
	s_barrier
	s_and_saveexec_b64 s[0:1], vcc
	s_cbranch_execz .LBB3721_20
; %bb.19:
	v_add_u32_e32 v0, -1, v0
	v_lshrrev_b32_e32 v14, 5, v0
	v_add_lshl_u32 v0, v14, v0, 3
	ds_read_b64 v[14:15], v0
.LBB3721_20:
	s_or_b64 exec, exec, s[0:1]
	s_and_saveexec_b64 s[0:1], vcc
	s_cbranch_execz .LBB3721_22
; %bb.21:
	s_waitcnt lgkmcnt(0)
	v_cmp_gt_i64_e32 vcc, v[14:15], v[2:3]
	v_cndmask_b32_e32 v3, v3, v15, vcc
	v_cndmask_b32_e32 v2, v2, v14, vcc
	v_cmp_gt_i64_e32 vcc, v[2:3], v[4:5]
	v_cndmask_b32_e32 v19, v5, v3, vcc
	v_cndmask_b32_e32 v18, v4, v2, vcc
	;; [unrolled: 3-line block ×7, first 2 shown]
	;;#ASMSTART
	;;#ASMEND
.LBB3721_22:
	s_or_b64 exec, exec, s[0:1]
	v_add_u32_e32 v0, v1, v16
	s_waitcnt lgkmcnt(0)
	s_barrier
	ds_write2_b64 v0, v[2:3], v[18:19] offset1:1
	ds_write2_b64 v0, v[20:21], v[22:23] offset0:2 offset1:3
	ds_write2_b64 v0, v[24:25], v[28:29] offset0:4 offset1:5
	ds_write_b64 v0, v[30:31] offset:48
	s_waitcnt lgkmcnt(0)
	s_barrier
	s_endpgm
	.section	.rodata,"a",@progbits
	.p2align	6, 0x0
	.amdhsa_kernel _ZN7rocprim17ROCPRIM_400000_NS6detail17trampoline_kernelINS0_14default_configENS1_20scan_config_selectorIxEEZZNS1_9scan_implILNS1_25lookback_scan_determinismE0ELb0ELb0ES3_N6thrust23THRUST_200600_302600_NS6detail15normal_iteratorINS9_10device_ptrIxEEEENS9_16discard_iteratorINS9_11use_defaultEEEx11max_functorIxExEEDaPvRmT3_T4_T5_mT6_P12ihipStream_tbENKUlT_T0_E_clISt17integral_constantIbLb0EESX_EEDaSS_ST_EUlSS_E0_NS1_11comp_targetILNS1_3genE4ELNS1_11target_archE910ELNS1_3gpuE8ELNS1_3repE0EEENS1_30default_config_static_selectorELNS0_4arch9wavefront6targetE1EEEvT1_
		.amdhsa_group_segment_fixed_size 7168
		.amdhsa_private_segment_fixed_size 0
		.amdhsa_kernarg_size 48
		.amdhsa_user_sgpr_count 6
		.amdhsa_user_sgpr_private_segment_buffer 1
		.amdhsa_user_sgpr_dispatch_ptr 0
		.amdhsa_user_sgpr_queue_ptr 0
		.amdhsa_user_sgpr_kernarg_segment_ptr 1
		.amdhsa_user_sgpr_dispatch_id 0
		.amdhsa_user_sgpr_flat_scratch_init 0
		.amdhsa_user_sgpr_kernarg_preload_length 0
		.amdhsa_user_sgpr_kernarg_preload_offset 0
		.amdhsa_user_sgpr_private_segment_size 0
		.amdhsa_uses_dynamic_stack 0
		.amdhsa_system_sgpr_private_segment_wavefront_offset 0
		.amdhsa_system_sgpr_workgroup_id_x 1
		.amdhsa_system_sgpr_workgroup_id_y 0
		.amdhsa_system_sgpr_workgroup_id_z 0
		.amdhsa_system_sgpr_workgroup_info 0
		.amdhsa_system_vgpr_workitem_id 0
		.amdhsa_next_free_vgpr 41
		.amdhsa_next_free_sgpr 8
		.amdhsa_accum_offset 44
		.amdhsa_reserve_vcc 1
		.amdhsa_reserve_flat_scratch 0
		.amdhsa_float_round_mode_32 0
		.amdhsa_float_round_mode_16_64 0
		.amdhsa_float_denorm_mode_32 3
		.amdhsa_float_denorm_mode_16_64 3
		.amdhsa_dx10_clamp 1
		.amdhsa_ieee_mode 1
		.amdhsa_fp16_overflow 0
		.amdhsa_tg_split 0
		.amdhsa_exception_fp_ieee_invalid_op 0
		.amdhsa_exception_fp_denorm_src 0
		.amdhsa_exception_fp_ieee_div_zero 0
		.amdhsa_exception_fp_ieee_overflow 0
		.amdhsa_exception_fp_ieee_underflow 0
		.amdhsa_exception_fp_ieee_inexact 0
		.amdhsa_exception_int_div_zero 0
	.end_amdhsa_kernel
	.section	.text._ZN7rocprim17ROCPRIM_400000_NS6detail17trampoline_kernelINS0_14default_configENS1_20scan_config_selectorIxEEZZNS1_9scan_implILNS1_25lookback_scan_determinismE0ELb0ELb0ES3_N6thrust23THRUST_200600_302600_NS6detail15normal_iteratorINS9_10device_ptrIxEEEENS9_16discard_iteratorINS9_11use_defaultEEEx11max_functorIxExEEDaPvRmT3_T4_T5_mT6_P12ihipStream_tbENKUlT_T0_E_clISt17integral_constantIbLb0EESX_EEDaSS_ST_EUlSS_E0_NS1_11comp_targetILNS1_3genE4ELNS1_11target_archE910ELNS1_3gpuE8ELNS1_3repE0EEENS1_30default_config_static_selectorELNS0_4arch9wavefront6targetE1EEEvT1_,"axG",@progbits,_ZN7rocprim17ROCPRIM_400000_NS6detail17trampoline_kernelINS0_14default_configENS1_20scan_config_selectorIxEEZZNS1_9scan_implILNS1_25lookback_scan_determinismE0ELb0ELb0ES3_N6thrust23THRUST_200600_302600_NS6detail15normal_iteratorINS9_10device_ptrIxEEEENS9_16discard_iteratorINS9_11use_defaultEEEx11max_functorIxExEEDaPvRmT3_T4_T5_mT6_P12ihipStream_tbENKUlT_T0_E_clISt17integral_constantIbLb0EESX_EEDaSS_ST_EUlSS_E0_NS1_11comp_targetILNS1_3genE4ELNS1_11target_archE910ELNS1_3gpuE8ELNS1_3repE0EEENS1_30default_config_static_selectorELNS0_4arch9wavefront6targetE1EEEvT1_,comdat
.Lfunc_end3721:
	.size	_ZN7rocprim17ROCPRIM_400000_NS6detail17trampoline_kernelINS0_14default_configENS1_20scan_config_selectorIxEEZZNS1_9scan_implILNS1_25lookback_scan_determinismE0ELb0ELb0ES3_N6thrust23THRUST_200600_302600_NS6detail15normal_iteratorINS9_10device_ptrIxEEEENS9_16discard_iteratorINS9_11use_defaultEEEx11max_functorIxExEEDaPvRmT3_T4_T5_mT6_P12ihipStream_tbENKUlT_T0_E_clISt17integral_constantIbLb0EESX_EEDaSS_ST_EUlSS_E0_NS1_11comp_targetILNS1_3genE4ELNS1_11target_archE910ELNS1_3gpuE8ELNS1_3repE0EEENS1_30default_config_static_selectorELNS0_4arch9wavefront6targetE1EEEvT1_, .Lfunc_end3721-_ZN7rocprim17ROCPRIM_400000_NS6detail17trampoline_kernelINS0_14default_configENS1_20scan_config_selectorIxEEZZNS1_9scan_implILNS1_25lookback_scan_determinismE0ELb0ELb0ES3_N6thrust23THRUST_200600_302600_NS6detail15normal_iteratorINS9_10device_ptrIxEEEENS9_16discard_iteratorINS9_11use_defaultEEEx11max_functorIxExEEDaPvRmT3_T4_T5_mT6_P12ihipStream_tbENKUlT_T0_E_clISt17integral_constantIbLb0EESX_EEDaSS_ST_EUlSS_E0_NS1_11comp_targetILNS1_3genE4ELNS1_11target_archE910ELNS1_3gpuE8ELNS1_3repE0EEENS1_30default_config_static_selectorELNS0_4arch9wavefront6targetE1EEEvT1_
                                        ; -- End function
	.section	.AMDGPU.csdata,"",@progbits
; Kernel info:
; codeLenInByte = 1200
; NumSgprs: 12
; NumVgprs: 41
; NumAgprs: 0
; TotalNumVgprs: 41
; ScratchSize: 0
; MemoryBound: 0
; FloatMode: 240
; IeeeMode: 1
; LDSByteSize: 7168 bytes/workgroup (compile time only)
; SGPRBlocks: 1
; VGPRBlocks: 5
; NumSGPRsForWavesPerEU: 12
; NumVGPRsForWavesPerEU: 41
; AccumOffset: 44
; Occupancy: 5
; WaveLimiterHint : 0
; COMPUTE_PGM_RSRC2:SCRATCH_EN: 0
; COMPUTE_PGM_RSRC2:USER_SGPR: 6
; COMPUTE_PGM_RSRC2:TRAP_HANDLER: 0
; COMPUTE_PGM_RSRC2:TGID_X_EN: 1
; COMPUTE_PGM_RSRC2:TGID_Y_EN: 0
; COMPUTE_PGM_RSRC2:TGID_Z_EN: 0
; COMPUTE_PGM_RSRC2:TIDIG_COMP_CNT: 0
; COMPUTE_PGM_RSRC3_GFX90A:ACCUM_OFFSET: 10
; COMPUTE_PGM_RSRC3_GFX90A:TG_SPLIT: 0
	.section	.text._ZN7rocprim17ROCPRIM_400000_NS6detail17trampoline_kernelINS0_14default_configENS1_20scan_config_selectorIxEEZZNS1_9scan_implILNS1_25lookback_scan_determinismE0ELb0ELb0ES3_N6thrust23THRUST_200600_302600_NS6detail15normal_iteratorINS9_10device_ptrIxEEEENS9_16discard_iteratorINS9_11use_defaultEEEx11max_functorIxExEEDaPvRmT3_T4_T5_mT6_P12ihipStream_tbENKUlT_T0_E_clISt17integral_constantIbLb0EESX_EEDaSS_ST_EUlSS_E0_NS1_11comp_targetILNS1_3genE3ELNS1_11target_archE908ELNS1_3gpuE7ELNS1_3repE0EEENS1_30default_config_static_selectorELNS0_4arch9wavefront6targetE1EEEvT1_,"axG",@progbits,_ZN7rocprim17ROCPRIM_400000_NS6detail17trampoline_kernelINS0_14default_configENS1_20scan_config_selectorIxEEZZNS1_9scan_implILNS1_25lookback_scan_determinismE0ELb0ELb0ES3_N6thrust23THRUST_200600_302600_NS6detail15normal_iteratorINS9_10device_ptrIxEEEENS9_16discard_iteratorINS9_11use_defaultEEEx11max_functorIxExEEDaPvRmT3_T4_T5_mT6_P12ihipStream_tbENKUlT_T0_E_clISt17integral_constantIbLb0EESX_EEDaSS_ST_EUlSS_E0_NS1_11comp_targetILNS1_3genE3ELNS1_11target_archE908ELNS1_3gpuE7ELNS1_3repE0EEENS1_30default_config_static_selectorELNS0_4arch9wavefront6targetE1EEEvT1_,comdat
	.protected	_ZN7rocprim17ROCPRIM_400000_NS6detail17trampoline_kernelINS0_14default_configENS1_20scan_config_selectorIxEEZZNS1_9scan_implILNS1_25lookback_scan_determinismE0ELb0ELb0ES3_N6thrust23THRUST_200600_302600_NS6detail15normal_iteratorINS9_10device_ptrIxEEEENS9_16discard_iteratorINS9_11use_defaultEEEx11max_functorIxExEEDaPvRmT3_T4_T5_mT6_P12ihipStream_tbENKUlT_T0_E_clISt17integral_constantIbLb0EESX_EEDaSS_ST_EUlSS_E0_NS1_11comp_targetILNS1_3genE3ELNS1_11target_archE908ELNS1_3gpuE7ELNS1_3repE0EEENS1_30default_config_static_selectorELNS0_4arch9wavefront6targetE1EEEvT1_ ; -- Begin function _ZN7rocprim17ROCPRIM_400000_NS6detail17trampoline_kernelINS0_14default_configENS1_20scan_config_selectorIxEEZZNS1_9scan_implILNS1_25lookback_scan_determinismE0ELb0ELb0ES3_N6thrust23THRUST_200600_302600_NS6detail15normal_iteratorINS9_10device_ptrIxEEEENS9_16discard_iteratorINS9_11use_defaultEEEx11max_functorIxExEEDaPvRmT3_T4_T5_mT6_P12ihipStream_tbENKUlT_T0_E_clISt17integral_constantIbLb0EESX_EEDaSS_ST_EUlSS_E0_NS1_11comp_targetILNS1_3genE3ELNS1_11target_archE908ELNS1_3gpuE7ELNS1_3repE0EEENS1_30default_config_static_selectorELNS0_4arch9wavefront6targetE1EEEvT1_
	.globl	_ZN7rocprim17ROCPRIM_400000_NS6detail17trampoline_kernelINS0_14default_configENS1_20scan_config_selectorIxEEZZNS1_9scan_implILNS1_25lookback_scan_determinismE0ELb0ELb0ES3_N6thrust23THRUST_200600_302600_NS6detail15normal_iteratorINS9_10device_ptrIxEEEENS9_16discard_iteratorINS9_11use_defaultEEEx11max_functorIxExEEDaPvRmT3_T4_T5_mT6_P12ihipStream_tbENKUlT_T0_E_clISt17integral_constantIbLb0EESX_EEDaSS_ST_EUlSS_E0_NS1_11comp_targetILNS1_3genE3ELNS1_11target_archE908ELNS1_3gpuE7ELNS1_3repE0EEENS1_30default_config_static_selectorELNS0_4arch9wavefront6targetE1EEEvT1_
	.p2align	8
	.type	_ZN7rocprim17ROCPRIM_400000_NS6detail17trampoline_kernelINS0_14default_configENS1_20scan_config_selectorIxEEZZNS1_9scan_implILNS1_25lookback_scan_determinismE0ELb0ELb0ES3_N6thrust23THRUST_200600_302600_NS6detail15normal_iteratorINS9_10device_ptrIxEEEENS9_16discard_iteratorINS9_11use_defaultEEEx11max_functorIxExEEDaPvRmT3_T4_T5_mT6_P12ihipStream_tbENKUlT_T0_E_clISt17integral_constantIbLb0EESX_EEDaSS_ST_EUlSS_E0_NS1_11comp_targetILNS1_3genE3ELNS1_11target_archE908ELNS1_3gpuE7ELNS1_3repE0EEENS1_30default_config_static_selectorELNS0_4arch9wavefront6targetE1EEEvT1_,@function
_ZN7rocprim17ROCPRIM_400000_NS6detail17trampoline_kernelINS0_14default_configENS1_20scan_config_selectorIxEEZZNS1_9scan_implILNS1_25lookback_scan_determinismE0ELb0ELb0ES3_N6thrust23THRUST_200600_302600_NS6detail15normal_iteratorINS9_10device_ptrIxEEEENS9_16discard_iteratorINS9_11use_defaultEEEx11max_functorIxExEEDaPvRmT3_T4_T5_mT6_P12ihipStream_tbENKUlT_T0_E_clISt17integral_constantIbLb0EESX_EEDaSS_ST_EUlSS_E0_NS1_11comp_targetILNS1_3genE3ELNS1_11target_archE908ELNS1_3gpuE7ELNS1_3repE0EEENS1_30default_config_static_selectorELNS0_4arch9wavefront6targetE1EEEvT1_: ; @_ZN7rocprim17ROCPRIM_400000_NS6detail17trampoline_kernelINS0_14default_configENS1_20scan_config_selectorIxEEZZNS1_9scan_implILNS1_25lookback_scan_determinismE0ELb0ELb0ES3_N6thrust23THRUST_200600_302600_NS6detail15normal_iteratorINS9_10device_ptrIxEEEENS9_16discard_iteratorINS9_11use_defaultEEEx11max_functorIxExEEDaPvRmT3_T4_T5_mT6_P12ihipStream_tbENKUlT_T0_E_clISt17integral_constantIbLb0EESX_EEDaSS_ST_EUlSS_E0_NS1_11comp_targetILNS1_3genE3ELNS1_11target_archE908ELNS1_3gpuE7ELNS1_3repE0EEENS1_30default_config_static_selectorELNS0_4arch9wavefront6targetE1EEEvT1_
; %bb.0:
	.section	.rodata,"a",@progbits
	.p2align	6, 0x0
	.amdhsa_kernel _ZN7rocprim17ROCPRIM_400000_NS6detail17trampoline_kernelINS0_14default_configENS1_20scan_config_selectorIxEEZZNS1_9scan_implILNS1_25lookback_scan_determinismE0ELb0ELb0ES3_N6thrust23THRUST_200600_302600_NS6detail15normal_iteratorINS9_10device_ptrIxEEEENS9_16discard_iteratorINS9_11use_defaultEEEx11max_functorIxExEEDaPvRmT3_T4_T5_mT6_P12ihipStream_tbENKUlT_T0_E_clISt17integral_constantIbLb0EESX_EEDaSS_ST_EUlSS_E0_NS1_11comp_targetILNS1_3genE3ELNS1_11target_archE908ELNS1_3gpuE7ELNS1_3repE0EEENS1_30default_config_static_selectorELNS0_4arch9wavefront6targetE1EEEvT1_
		.amdhsa_group_segment_fixed_size 0
		.amdhsa_private_segment_fixed_size 0
		.amdhsa_kernarg_size 48
		.amdhsa_user_sgpr_count 6
		.amdhsa_user_sgpr_private_segment_buffer 1
		.amdhsa_user_sgpr_dispatch_ptr 0
		.amdhsa_user_sgpr_queue_ptr 0
		.amdhsa_user_sgpr_kernarg_segment_ptr 1
		.amdhsa_user_sgpr_dispatch_id 0
		.amdhsa_user_sgpr_flat_scratch_init 0
		.amdhsa_user_sgpr_kernarg_preload_length 0
		.amdhsa_user_sgpr_kernarg_preload_offset 0
		.amdhsa_user_sgpr_private_segment_size 0
		.amdhsa_uses_dynamic_stack 0
		.amdhsa_system_sgpr_private_segment_wavefront_offset 0
		.amdhsa_system_sgpr_workgroup_id_x 1
		.amdhsa_system_sgpr_workgroup_id_y 0
		.amdhsa_system_sgpr_workgroup_id_z 0
		.amdhsa_system_sgpr_workgroup_info 0
		.amdhsa_system_vgpr_workitem_id 0
		.amdhsa_next_free_vgpr 1
		.amdhsa_next_free_sgpr 0
		.amdhsa_accum_offset 4
		.amdhsa_reserve_vcc 0
		.amdhsa_reserve_flat_scratch 0
		.amdhsa_float_round_mode_32 0
		.amdhsa_float_round_mode_16_64 0
		.amdhsa_float_denorm_mode_32 3
		.amdhsa_float_denorm_mode_16_64 3
		.amdhsa_dx10_clamp 1
		.amdhsa_ieee_mode 1
		.amdhsa_fp16_overflow 0
		.amdhsa_tg_split 0
		.amdhsa_exception_fp_ieee_invalid_op 0
		.amdhsa_exception_fp_denorm_src 0
		.amdhsa_exception_fp_ieee_div_zero 0
		.amdhsa_exception_fp_ieee_overflow 0
		.amdhsa_exception_fp_ieee_underflow 0
		.amdhsa_exception_fp_ieee_inexact 0
		.amdhsa_exception_int_div_zero 0
	.end_amdhsa_kernel
	.section	.text._ZN7rocprim17ROCPRIM_400000_NS6detail17trampoline_kernelINS0_14default_configENS1_20scan_config_selectorIxEEZZNS1_9scan_implILNS1_25lookback_scan_determinismE0ELb0ELb0ES3_N6thrust23THRUST_200600_302600_NS6detail15normal_iteratorINS9_10device_ptrIxEEEENS9_16discard_iteratorINS9_11use_defaultEEEx11max_functorIxExEEDaPvRmT3_T4_T5_mT6_P12ihipStream_tbENKUlT_T0_E_clISt17integral_constantIbLb0EESX_EEDaSS_ST_EUlSS_E0_NS1_11comp_targetILNS1_3genE3ELNS1_11target_archE908ELNS1_3gpuE7ELNS1_3repE0EEENS1_30default_config_static_selectorELNS0_4arch9wavefront6targetE1EEEvT1_,"axG",@progbits,_ZN7rocprim17ROCPRIM_400000_NS6detail17trampoline_kernelINS0_14default_configENS1_20scan_config_selectorIxEEZZNS1_9scan_implILNS1_25lookback_scan_determinismE0ELb0ELb0ES3_N6thrust23THRUST_200600_302600_NS6detail15normal_iteratorINS9_10device_ptrIxEEEENS9_16discard_iteratorINS9_11use_defaultEEEx11max_functorIxExEEDaPvRmT3_T4_T5_mT6_P12ihipStream_tbENKUlT_T0_E_clISt17integral_constantIbLb0EESX_EEDaSS_ST_EUlSS_E0_NS1_11comp_targetILNS1_3genE3ELNS1_11target_archE908ELNS1_3gpuE7ELNS1_3repE0EEENS1_30default_config_static_selectorELNS0_4arch9wavefront6targetE1EEEvT1_,comdat
.Lfunc_end3722:
	.size	_ZN7rocprim17ROCPRIM_400000_NS6detail17trampoline_kernelINS0_14default_configENS1_20scan_config_selectorIxEEZZNS1_9scan_implILNS1_25lookback_scan_determinismE0ELb0ELb0ES3_N6thrust23THRUST_200600_302600_NS6detail15normal_iteratorINS9_10device_ptrIxEEEENS9_16discard_iteratorINS9_11use_defaultEEEx11max_functorIxExEEDaPvRmT3_T4_T5_mT6_P12ihipStream_tbENKUlT_T0_E_clISt17integral_constantIbLb0EESX_EEDaSS_ST_EUlSS_E0_NS1_11comp_targetILNS1_3genE3ELNS1_11target_archE908ELNS1_3gpuE7ELNS1_3repE0EEENS1_30default_config_static_selectorELNS0_4arch9wavefront6targetE1EEEvT1_, .Lfunc_end3722-_ZN7rocprim17ROCPRIM_400000_NS6detail17trampoline_kernelINS0_14default_configENS1_20scan_config_selectorIxEEZZNS1_9scan_implILNS1_25lookback_scan_determinismE0ELb0ELb0ES3_N6thrust23THRUST_200600_302600_NS6detail15normal_iteratorINS9_10device_ptrIxEEEENS9_16discard_iteratorINS9_11use_defaultEEEx11max_functorIxExEEDaPvRmT3_T4_T5_mT6_P12ihipStream_tbENKUlT_T0_E_clISt17integral_constantIbLb0EESX_EEDaSS_ST_EUlSS_E0_NS1_11comp_targetILNS1_3genE3ELNS1_11target_archE908ELNS1_3gpuE7ELNS1_3repE0EEENS1_30default_config_static_selectorELNS0_4arch9wavefront6targetE1EEEvT1_
                                        ; -- End function
	.section	.AMDGPU.csdata,"",@progbits
; Kernel info:
; codeLenInByte = 0
; NumSgprs: 4
; NumVgprs: 0
; NumAgprs: 0
; TotalNumVgprs: 0
; ScratchSize: 0
; MemoryBound: 0
; FloatMode: 240
; IeeeMode: 1
; LDSByteSize: 0 bytes/workgroup (compile time only)
; SGPRBlocks: 0
; VGPRBlocks: 0
; NumSGPRsForWavesPerEU: 4
; NumVGPRsForWavesPerEU: 1
; AccumOffset: 4
; Occupancy: 8
; WaveLimiterHint : 0
; COMPUTE_PGM_RSRC2:SCRATCH_EN: 0
; COMPUTE_PGM_RSRC2:USER_SGPR: 6
; COMPUTE_PGM_RSRC2:TRAP_HANDLER: 0
; COMPUTE_PGM_RSRC2:TGID_X_EN: 1
; COMPUTE_PGM_RSRC2:TGID_Y_EN: 0
; COMPUTE_PGM_RSRC2:TGID_Z_EN: 0
; COMPUTE_PGM_RSRC2:TIDIG_COMP_CNT: 0
; COMPUTE_PGM_RSRC3_GFX90A:ACCUM_OFFSET: 0
; COMPUTE_PGM_RSRC3_GFX90A:TG_SPLIT: 0
	.section	.text._ZN7rocprim17ROCPRIM_400000_NS6detail17trampoline_kernelINS0_14default_configENS1_20scan_config_selectorIxEEZZNS1_9scan_implILNS1_25lookback_scan_determinismE0ELb0ELb0ES3_N6thrust23THRUST_200600_302600_NS6detail15normal_iteratorINS9_10device_ptrIxEEEENS9_16discard_iteratorINS9_11use_defaultEEEx11max_functorIxExEEDaPvRmT3_T4_T5_mT6_P12ihipStream_tbENKUlT_T0_E_clISt17integral_constantIbLb0EESX_EEDaSS_ST_EUlSS_E0_NS1_11comp_targetILNS1_3genE2ELNS1_11target_archE906ELNS1_3gpuE6ELNS1_3repE0EEENS1_30default_config_static_selectorELNS0_4arch9wavefront6targetE1EEEvT1_,"axG",@progbits,_ZN7rocprim17ROCPRIM_400000_NS6detail17trampoline_kernelINS0_14default_configENS1_20scan_config_selectorIxEEZZNS1_9scan_implILNS1_25lookback_scan_determinismE0ELb0ELb0ES3_N6thrust23THRUST_200600_302600_NS6detail15normal_iteratorINS9_10device_ptrIxEEEENS9_16discard_iteratorINS9_11use_defaultEEEx11max_functorIxExEEDaPvRmT3_T4_T5_mT6_P12ihipStream_tbENKUlT_T0_E_clISt17integral_constantIbLb0EESX_EEDaSS_ST_EUlSS_E0_NS1_11comp_targetILNS1_3genE2ELNS1_11target_archE906ELNS1_3gpuE6ELNS1_3repE0EEENS1_30default_config_static_selectorELNS0_4arch9wavefront6targetE1EEEvT1_,comdat
	.protected	_ZN7rocprim17ROCPRIM_400000_NS6detail17trampoline_kernelINS0_14default_configENS1_20scan_config_selectorIxEEZZNS1_9scan_implILNS1_25lookback_scan_determinismE0ELb0ELb0ES3_N6thrust23THRUST_200600_302600_NS6detail15normal_iteratorINS9_10device_ptrIxEEEENS9_16discard_iteratorINS9_11use_defaultEEEx11max_functorIxExEEDaPvRmT3_T4_T5_mT6_P12ihipStream_tbENKUlT_T0_E_clISt17integral_constantIbLb0EESX_EEDaSS_ST_EUlSS_E0_NS1_11comp_targetILNS1_3genE2ELNS1_11target_archE906ELNS1_3gpuE6ELNS1_3repE0EEENS1_30default_config_static_selectorELNS0_4arch9wavefront6targetE1EEEvT1_ ; -- Begin function _ZN7rocprim17ROCPRIM_400000_NS6detail17trampoline_kernelINS0_14default_configENS1_20scan_config_selectorIxEEZZNS1_9scan_implILNS1_25lookback_scan_determinismE0ELb0ELb0ES3_N6thrust23THRUST_200600_302600_NS6detail15normal_iteratorINS9_10device_ptrIxEEEENS9_16discard_iteratorINS9_11use_defaultEEEx11max_functorIxExEEDaPvRmT3_T4_T5_mT6_P12ihipStream_tbENKUlT_T0_E_clISt17integral_constantIbLb0EESX_EEDaSS_ST_EUlSS_E0_NS1_11comp_targetILNS1_3genE2ELNS1_11target_archE906ELNS1_3gpuE6ELNS1_3repE0EEENS1_30default_config_static_selectorELNS0_4arch9wavefront6targetE1EEEvT1_
	.globl	_ZN7rocprim17ROCPRIM_400000_NS6detail17trampoline_kernelINS0_14default_configENS1_20scan_config_selectorIxEEZZNS1_9scan_implILNS1_25lookback_scan_determinismE0ELb0ELb0ES3_N6thrust23THRUST_200600_302600_NS6detail15normal_iteratorINS9_10device_ptrIxEEEENS9_16discard_iteratorINS9_11use_defaultEEEx11max_functorIxExEEDaPvRmT3_T4_T5_mT6_P12ihipStream_tbENKUlT_T0_E_clISt17integral_constantIbLb0EESX_EEDaSS_ST_EUlSS_E0_NS1_11comp_targetILNS1_3genE2ELNS1_11target_archE906ELNS1_3gpuE6ELNS1_3repE0EEENS1_30default_config_static_selectorELNS0_4arch9wavefront6targetE1EEEvT1_
	.p2align	8
	.type	_ZN7rocprim17ROCPRIM_400000_NS6detail17trampoline_kernelINS0_14default_configENS1_20scan_config_selectorIxEEZZNS1_9scan_implILNS1_25lookback_scan_determinismE0ELb0ELb0ES3_N6thrust23THRUST_200600_302600_NS6detail15normal_iteratorINS9_10device_ptrIxEEEENS9_16discard_iteratorINS9_11use_defaultEEEx11max_functorIxExEEDaPvRmT3_T4_T5_mT6_P12ihipStream_tbENKUlT_T0_E_clISt17integral_constantIbLb0EESX_EEDaSS_ST_EUlSS_E0_NS1_11comp_targetILNS1_3genE2ELNS1_11target_archE906ELNS1_3gpuE6ELNS1_3repE0EEENS1_30default_config_static_selectorELNS0_4arch9wavefront6targetE1EEEvT1_,@function
_ZN7rocprim17ROCPRIM_400000_NS6detail17trampoline_kernelINS0_14default_configENS1_20scan_config_selectorIxEEZZNS1_9scan_implILNS1_25lookback_scan_determinismE0ELb0ELb0ES3_N6thrust23THRUST_200600_302600_NS6detail15normal_iteratorINS9_10device_ptrIxEEEENS9_16discard_iteratorINS9_11use_defaultEEEx11max_functorIxExEEDaPvRmT3_T4_T5_mT6_P12ihipStream_tbENKUlT_T0_E_clISt17integral_constantIbLb0EESX_EEDaSS_ST_EUlSS_E0_NS1_11comp_targetILNS1_3genE2ELNS1_11target_archE906ELNS1_3gpuE6ELNS1_3repE0EEENS1_30default_config_static_selectorELNS0_4arch9wavefront6targetE1EEEvT1_: ; @_ZN7rocprim17ROCPRIM_400000_NS6detail17trampoline_kernelINS0_14default_configENS1_20scan_config_selectorIxEEZZNS1_9scan_implILNS1_25lookback_scan_determinismE0ELb0ELb0ES3_N6thrust23THRUST_200600_302600_NS6detail15normal_iteratorINS9_10device_ptrIxEEEENS9_16discard_iteratorINS9_11use_defaultEEEx11max_functorIxExEEDaPvRmT3_T4_T5_mT6_P12ihipStream_tbENKUlT_T0_E_clISt17integral_constantIbLb0EESX_EEDaSS_ST_EUlSS_E0_NS1_11comp_targetILNS1_3genE2ELNS1_11target_archE906ELNS1_3gpuE6ELNS1_3repE0EEENS1_30default_config_static_selectorELNS0_4arch9wavefront6targetE1EEEvT1_
; %bb.0:
	.section	.rodata,"a",@progbits
	.p2align	6, 0x0
	.amdhsa_kernel _ZN7rocprim17ROCPRIM_400000_NS6detail17trampoline_kernelINS0_14default_configENS1_20scan_config_selectorIxEEZZNS1_9scan_implILNS1_25lookback_scan_determinismE0ELb0ELb0ES3_N6thrust23THRUST_200600_302600_NS6detail15normal_iteratorINS9_10device_ptrIxEEEENS9_16discard_iteratorINS9_11use_defaultEEEx11max_functorIxExEEDaPvRmT3_T4_T5_mT6_P12ihipStream_tbENKUlT_T0_E_clISt17integral_constantIbLb0EESX_EEDaSS_ST_EUlSS_E0_NS1_11comp_targetILNS1_3genE2ELNS1_11target_archE906ELNS1_3gpuE6ELNS1_3repE0EEENS1_30default_config_static_selectorELNS0_4arch9wavefront6targetE1EEEvT1_
		.amdhsa_group_segment_fixed_size 0
		.amdhsa_private_segment_fixed_size 0
		.amdhsa_kernarg_size 48
		.amdhsa_user_sgpr_count 6
		.amdhsa_user_sgpr_private_segment_buffer 1
		.amdhsa_user_sgpr_dispatch_ptr 0
		.amdhsa_user_sgpr_queue_ptr 0
		.amdhsa_user_sgpr_kernarg_segment_ptr 1
		.amdhsa_user_sgpr_dispatch_id 0
		.amdhsa_user_sgpr_flat_scratch_init 0
		.amdhsa_user_sgpr_kernarg_preload_length 0
		.amdhsa_user_sgpr_kernarg_preload_offset 0
		.amdhsa_user_sgpr_private_segment_size 0
		.amdhsa_uses_dynamic_stack 0
		.amdhsa_system_sgpr_private_segment_wavefront_offset 0
		.amdhsa_system_sgpr_workgroup_id_x 1
		.amdhsa_system_sgpr_workgroup_id_y 0
		.amdhsa_system_sgpr_workgroup_id_z 0
		.amdhsa_system_sgpr_workgroup_info 0
		.amdhsa_system_vgpr_workitem_id 0
		.amdhsa_next_free_vgpr 1
		.amdhsa_next_free_sgpr 0
		.amdhsa_accum_offset 4
		.amdhsa_reserve_vcc 0
		.amdhsa_reserve_flat_scratch 0
		.amdhsa_float_round_mode_32 0
		.amdhsa_float_round_mode_16_64 0
		.amdhsa_float_denorm_mode_32 3
		.amdhsa_float_denorm_mode_16_64 3
		.amdhsa_dx10_clamp 1
		.amdhsa_ieee_mode 1
		.amdhsa_fp16_overflow 0
		.amdhsa_tg_split 0
		.amdhsa_exception_fp_ieee_invalid_op 0
		.amdhsa_exception_fp_denorm_src 0
		.amdhsa_exception_fp_ieee_div_zero 0
		.amdhsa_exception_fp_ieee_overflow 0
		.amdhsa_exception_fp_ieee_underflow 0
		.amdhsa_exception_fp_ieee_inexact 0
		.amdhsa_exception_int_div_zero 0
	.end_amdhsa_kernel
	.section	.text._ZN7rocprim17ROCPRIM_400000_NS6detail17trampoline_kernelINS0_14default_configENS1_20scan_config_selectorIxEEZZNS1_9scan_implILNS1_25lookback_scan_determinismE0ELb0ELb0ES3_N6thrust23THRUST_200600_302600_NS6detail15normal_iteratorINS9_10device_ptrIxEEEENS9_16discard_iteratorINS9_11use_defaultEEEx11max_functorIxExEEDaPvRmT3_T4_T5_mT6_P12ihipStream_tbENKUlT_T0_E_clISt17integral_constantIbLb0EESX_EEDaSS_ST_EUlSS_E0_NS1_11comp_targetILNS1_3genE2ELNS1_11target_archE906ELNS1_3gpuE6ELNS1_3repE0EEENS1_30default_config_static_selectorELNS0_4arch9wavefront6targetE1EEEvT1_,"axG",@progbits,_ZN7rocprim17ROCPRIM_400000_NS6detail17trampoline_kernelINS0_14default_configENS1_20scan_config_selectorIxEEZZNS1_9scan_implILNS1_25lookback_scan_determinismE0ELb0ELb0ES3_N6thrust23THRUST_200600_302600_NS6detail15normal_iteratorINS9_10device_ptrIxEEEENS9_16discard_iteratorINS9_11use_defaultEEEx11max_functorIxExEEDaPvRmT3_T4_T5_mT6_P12ihipStream_tbENKUlT_T0_E_clISt17integral_constantIbLb0EESX_EEDaSS_ST_EUlSS_E0_NS1_11comp_targetILNS1_3genE2ELNS1_11target_archE906ELNS1_3gpuE6ELNS1_3repE0EEENS1_30default_config_static_selectorELNS0_4arch9wavefront6targetE1EEEvT1_,comdat
.Lfunc_end3723:
	.size	_ZN7rocprim17ROCPRIM_400000_NS6detail17trampoline_kernelINS0_14default_configENS1_20scan_config_selectorIxEEZZNS1_9scan_implILNS1_25lookback_scan_determinismE0ELb0ELb0ES3_N6thrust23THRUST_200600_302600_NS6detail15normal_iteratorINS9_10device_ptrIxEEEENS9_16discard_iteratorINS9_11use_defaultEEEx11max_functorIxExEEDaPvRmT3_T4_T5_mT6_P12ihipStream_tbENKUlT_T0_E_clISt17integral_constantIbLb0EESX_EEDaSS_ST_EUlSS_E0_NS1_11comp_targetILNS1_3genE2ELNS1_11target_archE906ELNS1_3gpuE6ELNS1_3repE0EEENS1_30default_config_static_selectorELNS0_4arch9wavefront6targetE1EEEvT1_, .Lfunc_end3723-_ZN7rocprim17ROCPRIM_400000_NS6detail17trampoline_kernelINS0_14default_configENS1_20scan_config_selectorIxEEZZNS1_9scan_implILNS1_25lookback_scan_determinismE0ELb0ELb0ES3_N6thrust23THRUST_200600_302600_NS6detail15normal_iteratorINS9_10device_ptrIxEEEENS9_16discard_iteratorINS9_11use_defaultEEEx11max_functorIxExEEDaPvRmT3_T4_T5_mT6_P12ihipStream_tbENKUlT_T0_E_clISt17integral_constantIbLb0EESX_EEDaSS_ST_EUlSS_E0_NS1_11comp_targetILNS1_3genE2ELNS1_11target_archE906ELNS1_3gpuE6ELNS1_3repE0EEENS1_30default_config_static_selectorELNS0_4arch9wavefront6targetE1EEEvT1_
                                        ; -- End function
	.section	.AMDGPU.csdata,"",@progbits
; Kernel info:
; codeLenInByte = 0
; NumSgprs: 4
; NumVgprs: 0
; NumAgprs: 0
; TotalNumVgprs: 0
; ScratchSize: 0
; MemoryBound: 0
; FloatMode: 240
; IeeeMode: 1
; LDSByteSize: 0 bytes/workgroup (compile time only)
; SGPRBlocks: 0
; VGPRBlocks: 0
; NumSGPRsForWavesPerEU: 4
; NumVGPRsForWavesPerEU: 1
; AccumOffset: 4
; Occupancy: 8
; WaveLimiterHint : 0
; COMPUTE_PGM_RSRC2:SCRATCH_EN: 0
; COMPUTE_PGM_RSRC2:USER_SGPR: 6
; COMPUTE_PGM_RSRC2:TRAP_HANDLER: 0
; COMPUTE_PGM_RSRC2:TGID_X_EN: 1
; COMPUTE_PGM_RSRC2:TGID_Y_EN: 0
; COMPUTE_PGM_RSRC2:TGID_Z_EN: 0
; COMPUTE_PGM_RSRC2:TIDIG_COMP_CNT: 0
; COMPUTE_PGM_RSRC3_GFX90A:ACCUM_OFFSET: 0
; COMPUTE_PGM_RSRC3_GFX90A:TG_SPLIT: 0
	.section	.text._ZN7rocprim17ROCPRIM_400000_NS6detail17trampoline_kernelINS0_14default_configENS1_20scan_config_selectorIxEEZZNS1_9scan_implILNS1_25lookback_scan_determinismE0ELb0ELb0ES3_N6thrust23THRUST_200600_302600_NS6detail15normal_iteratorINS9_10device_ptrIxEEEENS9_16discard_iteratorINS9_11use_defaultEEEx11max_functorIxExEEDaPvRmT3_T4_T5_mT6_P12ihipStream_tbENKUlT_T0_E_clISt17integral_constantIbLb0EESX_EEDaSS_ST_EUlSS_E0_NS1_11comp_targetILNS1_3genE10ELNS1_11target_archE1201ELNS1_3gpuE5ELNS1_3repE0EEENS1_30default_config_static_selectorELNS0_4arch9wavefront6targetE1EEEvT1_,"axG",@progbits,_ZN7rocprim17ROCPRIM_400000_NS6detail17trampoline_kernelINS0_14default_configENS1_20scan_config_selectorIxEEZZNS1_9scan_implILNS1_25lookback_scan_determinismE0ELb0ELb0ES3_N6thrust23THRUST_200600_302600_NS6detail15normal_iteratorINS9_10device_ptrIxEEEENS9_16discard_iteratorINS9_11use_defaultEEEx11max_functorIxExEEDaPvRmT3_T4_T5_mT6_P12ihipStream_tbENKUlT_T0_E_clISt17integral_constantIbLb0EESX_EEDaSS_ST_EUlSS_E0_NS1_11comp_targetILNS1_3genE10ELNS1_11target_archE1201ELNS1_3gpuE5ELNS1_3repE0EEENS1_30default_config_static_selectorELNS0_4arch9wavefront6targetE1EEEvT1_,comdat
	.protected	_ZN7rocprim17ROCPRIM_400000_NS6detail17trampoline_kernelINS0_14default_configENS1_20scan_config_selectorIxEEZZNS1_9scan_implILNS1_25lookback_scan_determinismE0ELb0ELb0ES3_N6thrust23THRUST_200600_302600_NS6detail15normal_iteratorINS9_10device_ptrIxEEEENS9_16discard_iteratorINS9_11use_defaultEEEx11max_functorIxExEEDaPvRmT3_T4_T5_mT6_P12ihipStream_tbENKUlT_T0_E_clISt17integral_constantIbLb0EESX_EEDaSS_ST_EUlSS_E0_NS1_11comp_targetILNS1_3genE10ELNS1_11target_archE1201ELNS1_3gpuE5ELNS1_3repE0EEENS1_30default_config_static_selectorELNS0_4arch9wavefront6targetE1EEEvT1_ ; -- Begin function _ZN7rocprim17ROCPRIM_400000_NS6detail17trampoline_kernelINS0_14default_configENS1_20scan_config_selectorIxEEZZNS1_9scan_implILNS1_25lookback_scan_determinismE0ELb0ELb0ES3_N6thrust23THRUST_200600_302600_NS6detail15normal_iteratorINS9_10device_ptrIxEEEENS9_16discard_iteratorINS9_11use_defaultEEEx11max_functorIxExEEDaPvRmT3_T4_T5_mT6_P12ihipStream_tbENKUlT_T0_E_clISt17integral_constantIbLb0EESX_EEDaSS_ST_EUlSS_E0_NS1_11comp_targetILNS1_3genE10ELNS1_11target_archE1201ELNS1_3gpuE5ELNS1_3repE0EEENS1_30default_config_static_selectorELNS0_4arch9wavefront6targetE1EEEvT1_
	.globl	_ZN7rocprim17ROCPRIM_400000_NS6detail17trampoline_kernelINS0_14default_configENS1_20scan_config_selectorIxEEZZNS1_9scan_implILNS1_25lookback_scan_determinismE0ELb0ELb0ES3_N6thrust23THRUST_200600_302600_NS6detail15normal_iteratorINS9_10device_ptrIxEEEENS9_16discard_iteratorINS9_11use_defaultEEEx11max_functorIxExEEDaPvRmT3_T4_T5_mT6_P12ihipStream_tbENKUlT_T0_E_clISt17integral_constantIbLb0EESX_EEDaSS_ST_EUlSS_E0_NS1_11comp_targetILNS1_3genE10ELNS1_11target_archE1201ELNS1_3gpuE5ELNS1_3repE0EEENS1_30default_config_static_selectorELNS0_4arch9wavefront6targetE1EEEvT1_
	.p2align	8
	.type	_ZN7rocprim17ROCPRIM_400000_NS6detail17trampoline_kernelINS0_14default_configENS1_20scan_config_selectorIxEEZZNS1_9scan_implILNS1_25lookback_scan_determinismE0ELb0ELb0ES3_N6thrust23THRUST_200600_302600_NS6detail15normal_iteratorINS9_10device_ptrIxEEEENS9_16discard_iteratorINS9_11use_defaultEEEx11max_functorIxExEEDaPvRmT3_T4_T5_mT6_P12ihipStream_tbENKUlT_T0_E_clISt17integral_constantIbLb0EESX_EEDaSS_ST_EUlSS_E0_NS1_11comp_targetILNS1_3genE10ELNS1_11target_archE1201ELNS1_3gpuE5ELNS1_3repE0EEENS1_30default_config_static_selectorELNS0_4arch9wavefront6targetE1EEEvT1_,@function
_ZN7rocprim17ROCPRIM_400000_NS6detail17trampoline_kernelINS0_14default_configENS1_20scan_config_selectorIxEEZZNS1_9scan_implILNS1_25lookback_scan_determinismE0ELb0ELb0ES3_N6thrust23THRUST_200600_302600_NS6detail15normal_iteratorINS9_10device_ptrIxEEEENS9_16discard_iteratorINS9_11use_defaultEEEx11max_functorIxExEEDaPvRmT3_T4_T5_mT6_P12ihipStream_tbENKUlT_T0_E_clISt17integral_constantIbLb0EESX_EEDaSS_ST_EUlSS_E0_NS1_11comp_targetILNS1_3genE10ELNS1_11target_archE1201ELNS1_3gpuE5ELNS1_3repE0EEENS1_30default_config_static_selectorELNS0_4arch9wavefront6targetE1EEEvT1_: ; @_ZN7rocprim17ROCPRIM_400000_NS6detail17trampoline_kernelINS0_14default_configENS1_20scan_config_selectorIxEEZZNS1_9scan_implILNS1_25lookback_scan_determinismE0ELb0ELb0ES3_N6thrust23THRUST_200600_302600_NS6detail15normal_iteratorINS9_10device_ptrIxEEEENS9_16discard_iteratorINS9_11use_defaultEEEx11max_functorIxExEEDaPvRmT3_T4_T5_mT6_P12ihipStream_tbENKUlT_T0_E_clISt17integral_constantIbLb0EESX_EEDaSS_ST_EUlSS_E0_NS1_11comp_targetILNS1_3genE10ELNS1_11target_archE1201ELNS1_3gpuE5ELNS1_3repE0EEENS1_30default_config_static_selectorELNS0_4arch9wavefront6targetE1EEEvT1_
; %bb.0:
	.section	.rodata,"a",@progbits
	.p2align	6, 0x0
	.amdhsa_kernel _ZN7rocprim17ROCPRIM_400000_NS6detail17trampoline_kernelINS0_14default_configENS1_20scan_config_selectorIxEEZZNS1_9scan_implILNS1_25lookback_scan_determinismE0ELb0ELb0ES3_N6thrust23THRUST_200600_302600_NS6detail15normal_iteratorINS9_10device_ptrIxEEEENS9_16discard_iteratorINS9_11use_defaultEEEx11max_functorIxExEEDaPvRmT3_T4_T5_mT6_P12ihipStream_tbENKUlT_T0_E_clISt17integral_constantIbLb0EESX_EEDaSS_ST_EUlSS_E0_NS1_11comp_targetILNS1_3genE10ELNS1_11target_archE1201ELNS1_3gpuE5ELNS1_3repE0EEENS1_30default_config_static_selectorELNS0_4arch9wavefront6targetE1EEEvT1_
		.amdhsa_group_segment_fixed_size 0
		.amdhsa_private_segment_fixed_size 0
		.amdhsa_kernarg_size 48
		.amdhsa_user_sgpr_count 6
		.amdhsa_user_sgpr_private_segment_buffer 1
		.amdhsa_user_sgpr_dispatch_ptr 0
		.amdhsa_user_sgpr_queue_ptr 0
		.amdhsa_user_sgpr_kernarg_segment_ptr 1
		.amdhsa_user_sgpr_dispatch_id 0
		.amdhsa_user_sgpr_flat_scratch_init 0
		.amdhsa_user_sgpr_kernarg_preload_length 0
		.amdhsa_user_sgpr_kernarg_preload_offset 0
		.amdhsa_user_sgpr_private_segment_size 0
		.amdhsa_uses_dynamic_stack 0
		.amdhsa_system_sgpr_private_segment_wavefront_offset 0
		.amdhsa_system_sgpr_workgroup_id_x 1
		.amdhsa_system_sgpr_workgroup_id_y 0
		.amdhsa_system_sgpr_workgroup_id_z 0
		.amdhsa_system_sgpr_workgroup_info 0
		.amdhsa_system_vgpr_workitem_id 0
		.amdhsa_next_free_vgpr 1
		.amdhsa_next_free_sgpr 0
		.amdhsa_accum_offset 4
		.amdhsa_reserve_vcc 0
		.amdhsa_reserve_flat_scratch 0
		.amdhsa_float_round_mode_32 0
		.amdhsa_float_round_mode_16_64 0
		.amdhsa_float_denorm_mode_32 3
		.amdhsa_float_denorm_mode_16_64 3
		.amdhsa_dx10_clamp 1
		.amdhsa_ieee_mode 1
		.amdhsa_fp16_overflow 0
		.amdhsa_tg_split 0
		.amdhsa_exception_fp_ieee_invalid_op 0
		.amdhsa_exception_fp_denorm_src 0
		.amdhsa_exception_fp_ieee_div_zero 0
		.amdhsa_exception_fp_ieee_overflow 0
		.amdhsa_exception_fp_ieee_underflow 0
		.amdhsa_exception_fp_ieee_inexact 0
		.amdhsa_exception_int_div_zero 0
	.end_amdhsa_kernel
	.section	.text._ZN7rocprim17ROCPRIM_400000_NS6detail17trampoline_kernelINS0_14default_configENS1_20scan_config_selectorIxEEZZNS1_9scan_implILNS1_25lookback_scan_determinismE0ELb0ELb0ES3_N6thrust23THRUST_200600_302600_NS6detail15normal_iteratorINS9_10device_ptrIxEEEENS9_16discard_iteratorINS9_11use_defaultEEEx11max_functorIxExEEDaPvRmT3_T4_T5_mT6_P12ihipStream_tbENKUlT_T0_E_clISt17integral_constantIbLb0EESX_EEDaSS_ST_EUlSS_E0_NS1_11comp_targetILNS1_3genE10ELNS1_11target_archE1201ELNS1_3gpuE5ELNS1_3repE0EEENS1_30default_config_static_selectorELNS0_4arch9wavefront6targetE1EEEvT1_,"axG",@progbits,_ZN7rocprim17ROCPRIM_400000_NS6detail17trampoline_kernelINS0_14default_configENS1_20scan_config_selectorIxEEZZNS1_9scan_implILNS1_25lookback_scan_determinismE0ELb0ELb0ES3_N6thrust23THRUST_200600_302600_NS6detail15normal_iteratorINS9_10device_ptrIxEEEENS9_16discard_iteratorINS9_11use_defaultEEEx11max_functorIxExEEDaPvRmT3_T4_T5_mT6_P12ihipStream_tbENKUlT_T0_E_clISt17integral_constantIbLb0EESX_EEDaSS_ST_EUlSS_E0_NS1_11comp_targetILNS1_3genE10ELNS1_11target_archE1201ELNS1_3gpuE5ELNS1_3repE0EEENS1_30default_config_static_selectorELNS0_4arch9wavefront6targetE1EEEvT1_,comdat
.Lfunc_end3724:
	.size	_ZN7rocprim17ROCPRIM_400000_NS6detail17trampoline_kernelINS0_14default_configENS1_20scan_config_selectorIxEEZZNS1_9scan_implILNS1_25lookback_scan_determinismE0ELb0ELb0ES3_N6thrust23THRUST_200600_302600_NS6detail15normal_iteratorINS9_10device_ptrIxEEEENS9_16discard_iteratorINS9_11use_defaultEEEx11max_functorIxExEEDaPvRmT3_T4_T5_mT6_P12ihipStream_tbENKUlT_T0_E_clISt17integral_constantIbLb0EESX_EEDaSS_ST_EUlSS_E0_NS1_11comp_targetILNS1_3genE10ELNS1_11target_archE1201ELNS1_3gpuE5ELNS1_3repE0EEENS1_30default_config_static_selectorELNS0_4arch9wavefront6targetE1EEEvT1_, .Lfunc_end3724-_ZN7rocprim17ROCPRIM_400000_NS6detail17trampoline_kernelINS0_14default_configENS1_20scan_config_selectorIxEEZZNS1_9scan_implILNS1_25lookback_scan_determinismE0ELb0ELb0ES3_N6thrust23THRUST_200600_302600_NS6detail15normal_iteratorINS9_10device_ptrIxEEEENS9_16discard_iteratorINS9_11use_defaultEEEx11max_functorIxExEEDaPvRmT3_T4_T5_mT6_P12ihipStream_tbENKUlT_T0_E_clISt17integral_constantIbLb0EESX_EEDaSS_ST_EUlSS_E0_NS1_11comp_targetILNS1_3genE10ELNS1_11target_archE1201ELNS1_3gpuE5ELNS1_3repE0EEENS1_30default_config_static_selectorELNS0_4arch9wavefront6targetE1EEEvT1_
                                        ; -- End function
	.section	.AMDGPU.csdata,"",@progbits
; Kernel info:
; codeLenInByte = 0
; NumSgprs: 4
; NumVgprs: 0
; NumAgprs: 0
; TotalNumVgprs: 0
; ScratchSize: 0
; MemoryBound: 0
; FloatMode: 240
; IeeeMode: 1
; LDSByteSize: 0 bytes/workgroup (compile time only)
; SGPRBlocks: 0
; VGPRBlocks: 0
; NumSGPRsForWavesPerEU: 4
; NumVGPRsForWavesPerEU: 1
; AccumOffset: 4
; Occupancy: 8
; WaveLimiterHint : 0
; COMPUTE_PGM_RSRC2:SCRATCH_EN: 0
; COMPUTE_PGM_RSRC2:USER_SGPR: 6
; COMPUTE_PGM_RSRC2:TRAP_HANDLER: 0
; COMPUTE_PGM_RSRC2:TGID_X_EN: 1
; COMPUTE_PGM_RSRC2:TGID_Y_EN: 0
; COMPUTE_PGM_RSRC2:TGID_Z_EN: 0
; COMPUTE_PGM_RSRC2:TIDIG_COMP_CNT: 0
; COMPUTE_PGM_RSRC3_GFX90A:ACCUM_OFFSET: 0
; COMPUTE_PGM_RSRC3_GFX90A:TG_SPLIT: 0
	.section	.text._ZN7rocprim17ROCPRIM_400000_NS6detail17trampoline_kernelINS0_14default_configENS1_20scan_config_selectorIxEEZZNS1_9scan_implILNS1_25lookback_scan_determinismE0ELb0ELb0ES3_N6thrust23THRUST_200600_302600_NS6detail15normal_iteratorINS9_10device_ptrIxEEEENS9_16discard_iteratorINS9_11use_defaultEEEx11max_functorIxExEEDaPvRmT3_T4_T5_mT6_P12ihipStream_tbENKUlT_T0_E_clISt17integral_constantIbLb0EESX_EEDaSS_ST_EUlSS_E0_NS1_11comp_targetILNS1_3genE10ELNS1_11target_archE1200ELNS1_3gpuE4ELNS1_3repE0EEENS1_30default_config_static_selectorELNS0_4arch9wavefront6targetE1EEEvT1_,"axG",@progbits,_ZN7rocprim17ROCPRIM_400000_NS6detail17trampoline_kernelINS0_14default_configENS1_20scan_config_selectorIxEEZZNS1_9scan_implILNS1_25lookback_scan_determinismE0ELb0ELb0ES3_N6thrust23THRUST_200600_302600_NS6detail15normal_iteratorINS9_10device_ptrIxEEEENS9_16discard_iteratorINS9_11use_defaultEEEx11max_functorIxExEEDaPvRmT3_T4_T5_mT6_P12ihipStream_tbENKUlT_T0_E_clISt17integral_constantIbLb0EESX_EEDaSS_ST_EUlSS_E0_NS1_11comp_targetILNS1_3genE10ELNS1_11target_archE1200ELNS1_3gpuE4ELNS1_3repE0EEENS1_30default_config_static_selectorELNS0_4arch9wavefront6targetE1EEEvT1_,comdat
	.protected	_ZN7rocprim17ROCPRIM_400000_NS6detail17trampoline_kernelINS0_14default_configENS1_20scan_config_selectorIxEEZZNS1_9scan_implILNS1_25lookback_scan_determinismE0ELb0ELb0ES3_N6thrust23THRUST_200600_302600_NS6detail15normal_iteratorINS9_10device_ptrIxEEEENS9_16discard_iteratorINS9_11use_defaultEEEx11max_functorIxExEEDaPvRmT3_T4_T5_mT6_P12ihipStream_tbENKUlT_T0_E_clISt17integral_constantIbLb0EESX_EEDaSS_ST_EUlSS_E0_NS1_11comp_targetILNS1_3genE10ELNS1_11target_archE1200ELNS1_3gpuE4ELNS1_3repE0EEENS1_30default_config_static_selectorELNS0_4arch9wavefront6targetE1EEEvT1_ ; -- Begin function _ZN7rocprim17ROCPRIM_400000_NS6detail17trampoline_kernelINS0_14default_configENS1_20scan_config_selectorIxEEZZNS1_9scan_implILNS1_25lookback_scan_determinismE0ELb0ELb0ES3_N6thrust23THRUST_200600_302600_NS6detail15normal_iteratorINS9_10device_ptrIxEEEENS9_16discard_iteratorINS9_11use_defaultEEEx11max_functorIxExEEDaPvRmT3_T4_T5_mT6_P12ihipStream_tbENKUlT_T0_E_clISt17integral_constantIbLb0EESX_EEDaSS_ST_EUlSS_E0_NS1_11comp_targetILNS1_3genE10ELNS1_11target_archE1200ELNS1_3gpuE4ELNS1_3repE0EEENS1_30default_config_static_selectorELNS0_4arch9wavefront6targetE1EEEvT1_
	.globl	_ZN7rocprim17ROCPRIM_400000_NS6detail17trampoline_kernelINS0_14default_configENS1_20scan_config_selectorIxEEZZNS1_9scan_implILNS1_25lookback_scan_determinismE0ELb0ELb0ES3_N6thrust23THRUST_200600_302600_NS6detail15normal_iteratorINS9_10device_ptrIxEEEENS9_16discard_iteratorINS9_11use_defaultEEEx11max_functorIxExEEDaPvRmT3_T4_T5_mT6_P12ihipStream_tbENKUlT_T0_E_clISt17integral_constantIbLb0EESX_EEDaSS_ST_EUlSS_E0_NS1_11comp_targetILNS1_3genE10ELNS1_11target_archE1200ELNS1_3gpuE4ELNS1_3repE0EEENS1_30default_config_static_selectorELNS0_4arch9wavefront6targetE1EEEvT1_
	.p2align	8
	.type	_ZN7rocprim17ROCPRIM_400000_NS6detail17trampoline_kernelINS0_14default_configENS1_20scan_config_selectorIxEEZZNS1_9scan_implILNS1_25lookback_scan_determinismE0ELb0ELb0ES3_N6thrust23THRUST_200600_302600_NS6detail15normal_iteratorINS9_10device_ptrIxEEEENS9_16discard_iteratorINS9_11use_defaultEEEx11max_functorIxExEEDaPvRmT3_T4_T5_mT6_P12ihipStream_tbENKUlT_T0_E_clISt17integral_constantIbLb0EESX_EEDaSS_ST_EUlSS_E0_NS1_11comp_targetILNS1_3genE10ELNS1_11target_archE1200ELNS1_3gpuE4ELNS1_3repE0EEENS1_30default_config_static_selectorELNS0_4arch9wavefront6targetE1EEEvT1_,@function
_ZN7rocprim17ROCPRIM_400000_NS6detail17trampoline_kernelINS0_14default_configENS1_20scan_config_selectorIxEEZZNS1_9scan_implILNS1_25lookback_scan_determinismE0ELb0ELb0ES3_N6thrust23THRUST_200600_302600_NS6detail15normal_iteratorINS9_10device_ptrIxEEEENS9_16discard_iteratorINS9_11use_defaultEEEx11max_functorIxExEEDaPvRmT3_T4_T5_mT6_P12ihipStream_tbENKUlT_T0_E_clISt17integral_constantIbLb0EESX_EEDaSS_ST_EUlSS_E0_NS1_11comp_targetILNS1_3genE10ELNS1_11target_archE1200ELNS1_3gpuE4ELNS1_3repE0EEENS1_30default_config_static_selectorELNS0_4arch9wavefront6targetE1EEEvT1_: ; @_ZN7rocprim17ROCPRIM_400000_NS6detail17trampoline_kernelINS0_14default_configENS1_20scan_config_selectorIxEEZZNS1_9scan_implILNS1_25lookback_scan_determinismE0ELb0ELb0ES3_N6thrust23THRUST_200600_302600_NS6detail15normal_iteratorINS9_10device_ptrIxEEEENS9_16discard_iteratorINS9_11use_defaultEEEx11max_functorIxExEEDaPvRmT3_T4_T5_mT6_P12ihipStream_tbENKUlT_T0_E_clISt17integral_constantIbLb0EESX_EEDaSS_ST_EUlSS_E0_NS1_11comp_targetILNS1_3genE10ELNS1_11target_archE1200ELNS1_3gpuE4ELNS1_3repE0EEENS1_30default_config_static_selectorELNS0_4arch9wavefront6targetE1EEEvT1_
; %bb.0:
	.section	.rodata,"a",@progbits
	.p2align	6, 0x0
	.amdhsa_kernel _ZN7rocprim17ROCPRIM_400000_NS6detail17trampoline_kernelINS0_14default_configENS1_20scan_config_selectorIxEEZZNS1_9scan_implILNS1_25lookback_scan_determinismE0ELb0ELb0ES3_N6thrust23THRUST_200600_302600_NS6detail15normal_iteratorINS9_10device_ptrIxEEEENS9_16discard_iteratorINS9_11use_defaultEEEx11max_functorIxExEEDaPvRmT3_T4_T5_mT6_P12ihipStream_tbENKUlT_T0_E_clISt17integral_constantIbLb0EESX_EEDaSS_ST_EUlSS_E0_NS1_11comp_targetILNS1_3genE10ELNS1_11target_archE1200ELNS1_3gpuE4ELNS1_3repE0EEENS1_30default_config_static_selectorELNS0_4arch9wavefront6targetE1EEEvT1_
		.amdhsa_group_segment_fixed_size 0
		.amdhsa_private_segment_fixed_size 0
		.amdhsa_kernarg_size 48
		.amdhsa_user_sgpr_count 6
		.amdhsa_user_sgpr_private_segment_buffer 1
		.amdhsa_user_sgpr_dispatch_ptr 0
		.amdhsa_user_sgpr_queue_ptr 0
		.amdhsa_user_sgpr_kernarg_segment_ptr 1
		.amdhsa_user_sgpr_dispatch_id 0
		.amdhsa_user_sgpr_flat_scratch_init 0
		.amdhsa_user_sgpr_kernarg_preload_length 0
		.amdhsa_user_sgpr_kernarg_preload_offset 0
		.amdhsa_user_sgpr_private_segment_size 0
		.amdhsa_uses_dynamic_stack 0
		.amdhsa_system_sgpr_private_segment_wavefront_offset 0
		.amdhsa_system_sgpr_workgroup_id_x 1
		.amdhsa_system_sgpr_workgroup_id_y 0
		.amdhsa_system_sgpr_workgroup_id_z 0
		.amdhsa_system_sgpr_workgroup_info 0
		.amdhsa_system_vgpr_workitem_id 0
		.amdhsa_next_free_vgpr 1
		.amdhsa_next_free_sgpr 0
		.amdhsa_accum_offset 4
		.amdhsa_reserve_vcc 0
		.amdhsa_reserve_flat_scratch 0
		.amdhsa_float_round_mode_32 0
		.amdhsa_float_round_mode_16_64 0
		.amdhsa_float_denorm_mode_32 3
		.amdhsa_float_denorm_mode_16_64 3
		.amdhsa_dx10_clamp 1
		.amdhsa_ieee_mode 1
		.amdhsa_fp16_overflow 0
		.amdhsa_tg_split 0
		.amdhsa_exception_fp_ieee_invalid_op 0
		.amdhsa_exception_fp_denorm_src 0
		.amdhsa_exception_fp_ieee_div_zero 0
		.amdhsa_exception_fp_ieee_overflow 0
		.amdhsa_exception_fp_ieee_underflow 0
		.amdhsa_exception_fp_ieee_inexact 0
		.amdhsa_exception_int_div_zero 0
	.end_amdhsa_kernel
	.section	.text._ZN7rocprim17ROCPRIM_400000_NS6detail17trampoline_kernelINS0_14default_configENS1_20scan_config_selectorIxEEZZNS1_9scan_implILNS1_25lookback_scan_determinismE0ELb0ELb0ES3_N6thrust23THRUST_200600_302600_NS6detail15normal_iteratorINS9_10device_ptrIxEEEENS9_16discard_iteratorINS9_11use_defaultEEEx11max_functorIxExEEDaPvRmT3_T4_T5_mT6_P12ihipStream_tbENKUlT_T0_E_clISt17integral_constantIbLb0EESX_EEDaSS_ST_EUlSS_E0_NS1_11comp_targetILNS1_3genE10ELNS1_11target_archE1200ELNS1_3gpuE4ELNS1_3repE0EEENS1_30default_config_static_selectorELNS0_4arch9wavefront6targetE1EEEvT1_,"axG",@progbits,_ZN7rocprim17ROCPRIM_400000_NS6detail17trampoline_kernelINS0_14default_configENS1_20scan_config_selectorIxEEZZNS1_9scan_implILNS1_25lookback_scan_determinismE0ELb0ELb0ES3_N6thrust23THRUST_200600_302600_NS6detail15normal_iteratorINS9_10device_ptrIxEEEENS9_16discard_iteratorINS9_11use_defaultEEEx11max_functorIxExEEDaPvRmT3_T4_T5_mT6_P12ihipStream_tbENKUlT_T0_E_clISt17integral_constantIbLb0EESX_EEDaSS_ST_EUlSS_E0_NS1_11comp_targetILNS1_3genE10ELNS1_11target_archE1200ELNS1_3gpuE4ELNS1_3repE0EEENS1_30default_config_static_selectorELNS0_4arch9wavefront6targetE1EEEvT1_,comdat
.Lfunc_end3725:
	.size	_ZN7rocprim17ROCPRIM_400000_NS6detail17trampoline_kernelINS0_14default_configENS1_20scan_config_selectorIxEEZZNS1_9scan_implILNS1_25lookback_scan_determinismE0ELb0ELb0ES3_N6thrust23THRUST_200600_302600_NS6detail15normal_iteratorINS9_10device_ptrIxEEEENS9_16discard_iteratorINS9_11use_defaultEEEx11max_functorIxExEEDaPvRmT3_T4_T5_mT6_P12ihipStream_tbENKUlT_T0_E_clISt17integral_constantIbLb0EESX_EEDaSS_ST_EUlSS_E0_NS1_11comp_targetILNS1_3genE10ELNS1_11target_archE1200ELNS1_3gpuE4ELNS1_3repE0EEENS1_30default_config_static_selectorELNS0_4arch9wavefront6targetE1EEEvT1_, .Lfunc_end3725-_ZN7rocprim17ROCPRIM_400000_NS6detail17trampoline_kernelINS0_14default_configENS1_20scan_config_selectorIxEEZZNS1_9scan_implILNS1_25lookback_scan_determinismE0ELb0ELb0ES3_N6thrust23THRUST_200600_302600_NS6detail15normal_iteratorINS9_10device_ptrIxEEEENS9_16discard_iteratorINS9_11use_defaultEEEx11max_functorIxExEEDaPvRmT3_T4_T5_mT6_P12ihipStream_tbENKUlT_T0_E_clISt17integral_constantIbLb0EESX_EEDaSS_ST_EUlSS_E0_NS1_11comp_targetILNS1_3genE10ELNS1_11target_archE1200ELNS1_3gpuE4ELNS1_3repE0EEENS1_30default_config_static_selectorELNS0_4arch9wavefront6targetE1EEEvT1_
                                        ; -- End function
	.section	.AMDGPU.csdata,"",@progbits
; Kernel info:
; codeLenInByte = 0
; NumSgprs: 4
; NumVgprs: 0
; NumAgprs: 0
; TotalNumVgprs: 0
; ScratchSize: 0
; MemoryBound: 0
; FloatMode: 240
; IeeeMode: 1
; LDSByteSize: 0 bytes/workgroup (compile time only)
; SGPRBlocks: 0
; VGPRBlocks: 0
; NumSGPRsForWavesPerEU: 4
; NumVGPRsForWavesPerEU: 1
; AccumOffset: 4
; Occupancy: 8
; WaveLimiterHint : 0
; COMPUTE_PGM_RSRC2:SCRATCH_EN: 0
; COMPUTE_PGM_RSRC2:USER_SGPR: 6
; COMPUTE_PGM_RSRC2:TRAP_HANDLER: 0
; COMPUTE_PGM_RSRC2:TGID_X_EN: 1
; COMPUTE_PGM_RSRC2:TGID_Y_EN: 0
; COMPUTE_PGM_RSRC2:TGID_Z_EN: 0
; COMPUTE_PGM_RSRC2:TIDIG_COMP_CNT: 0
; COMPUTE_PGM_RSRC3_GFX90A:ACCUM_OFFSET: 0
; COMPUTE_PGM_RSRC3_GFX90A:TG_SPLIT: 0
	.section	.text._ZN7rocprim17ROCPRIM_400000_NS6detail17trampoline_kernelINS0_14default_configENS1_20scan_config_selectorIxEEZZNS1_9scan_implILNS1_25lookback_scan_determinismE0ELb0ELb0ES3_N6thrust23THRUST_200600_302600_NS6detail15normal_iteratorINS9_10device_ptrIxEEEENS9_16discard_iteratorINS9_11use_defaultEEEx11max_functorIxExEEDaPvRmT3_T4_T5_mT6_P12ihipStream_tbENKUlT_T0_E_clISt17integral_constantIbLb0EESX_EEDaSS_ST_EUlSS_E0_NS1_11comp_targetILNS1_3genE9ELNS1_11target_archE1100ELNS1_3gpuE3ELNS1_3repE0EEENS1_30default_config_static_selectorELNS0_4arch9wavefront6targetE1EEEvT1_,"axG",@progbits,_ZN7rocprim17ROCPRIM_400000_NS6detail17trampoline_kernelINS0_14default_configENS1_20scan_config_selectorIxEEZZNS1_9scan_implILNS1_25lookback_scan_determinismE0ELb0ELb0ES3_N6thrust23THRUST_200600_302600_NS6detail15normal_iteratorINS9_10device_ptrIxEEEENS9_16discard_iteratorINS9_11use_defaultEEEx11max_functorIxExEEDaPvRmT3_T4_T5_mT6_P12ihipStream_tbENKUlT_T0_E_clISt17integral_constantIbLb0EESX_EEDaSS_ST_EUlSS_E0_NS1_11comp_targetILNS1_3genE9ELNS1_11target_archE1100ELNS1_3gpuE3ELNS1_3repE0EEENS1_30default_config_static_selectorELNS0_4arch9wavefront6targetE1EEEvT1_,comdat
	.protected	_ZN7rocprim17ROCPRIM_400000_NS6detail17trampoline_kernelINS0_14default_configENS1_20scan_config_selectorIxEEZZNS1_9scan_implILNS1_25lookback_scan_determinismE0ELb0ELb0ES3_N6thrust23THRUST_200600_302600_NS6detail15normal_iteratorINS9_10device_ptrIxEEEENS9_16discard_iteratorINS9_11use_defaultEEEx11max_functorIxExEEDaPvRmT3_T4_T5_mT6_P12ihipStream_tbENKUlT_T0_E_clISt17integral_constantIbLb0EESX_EEDaSS_ST_EUlSS_E0_NS1_11comp_targetILNS1_3genE9ELNS1_11target_archE1100ELNS1_3gpuE3ELNS1_3repE0EEENS1_30default_config_static_selectorELNS0_4arch9wavefront6targetE1EEEvT1_ ; -- Begin function _ZN7rocprim17ROCPRIM_400000_NS6detail17trampoline_kernelINS0_14default_configENS1_20scan_config_selectorIxEEZZNS1_9scan_implILNS1_25lookback_scan_determinismE0ELb0ELb0ES3_N6thrust23THRUST_200600_302600_NS6detail15normal_iteratorINS9_10device_ptrIxEEEENS9_16discard_iteratorINS9_11use_defaultEEEx11max_functorIxExEEDaPvRmT3_T4_T5_mT6_P12ihipStream_tbENKUlT_T0_E_clISt17integral_constantIbLb0EESX_EEDaSS_ST_EUlSS_E0_NS1_11comp_targetILNS1_3genE9ELNS1_11target_archE1100ELNS1_3gpuE3ELNS1_3repE0EEENS1_30default_config_static_selectorELNS0_4arch9wavefront6targetE1EEEvT1_
	.globl	_ZN7rocprim17ROCPRIM_400000_NS6detail17trampoline_kernelINS0_14default_configENS1_20scan_config_selectorIxEEZZNS1_9scan_implILNS1_25lookback_scan_determinismE0ELb0ELb0ES3_N6thrust23THRUST_200600_302600_NS6detail15normal_iteratorINS9_10device_ptrIxEEEENS9_16discard_iteratorINS9_11use_defaultEEEx11max_functorIxExEEDaPvRmT3_T4_T5_mT6_P12ihipStream_tbENKUlT_T0_E_clISt17integral_constantIbLb0EESX_EEDaSS_ST_EUlSS_E0_NS1_11comp_targetILNS1_3genE9ELNS1_11target_archE1100ELNS1_3gpuE3ELNS1_3repE0EEENS1_30default_config_static_selectorELNS0_4arch9wavefront6targetE1EEEvT1_
	.p2align	8
	.type	_ZN7rocprim17ROCPRIM_400000_NS6detail17trampoline_kernelINS0_14default_configENS1_20scan_config_selectorIxEEZZNS1_9scan_implILNS1_25lookback_scan_determinismE0ELb0ELb0ES3_N6thrust23THRUST_200600_302600_NS6detail15normal_iteratorINS9_10device_ptrIxEEEENS9_16discard_iteratorINS9_11use_defaultEEEx11max_functorIxExEEDaPvRmT3_T4_T5_mT6_P12ihipStream_tbENKUlT_T0_E_clISt17integral_constantIbLb0EESX_EEDaSS_ST_EUlSS_E0_NS1_11comp_targetILNS1_3genE9ELNS1_11target_archE1100ELNS1_3gpuE3ELNS1_3repE0EEENS1_30default_config_static_selectorELNS0_4arch9wavefront6targetE1EEEvT1_,@function
_ZN7rocprim17ROCPRIM_400000_NS6detail17trampoline_kernelINS0_14default_configENS1_20scan_config_selectorIxEEZZNS1_9scan_implILNS1_25lookback_scan_determinismE0ELb0ELb0ES3_N6thrust23THRUST_200600_302600_NS6detail15normal_iteratorINS9_10device_ptrIxEEEENS9_16discard_iteratorINS9_11use_defaultEEEx11max_functorIxExEEDaPvRmT3_T4_T5_mT6_P12ihipStream_tbENKUlT_T0_E_clISt17integral_constantIbLb0EESX_EEDaSS_ST_EUlSS_E0_NS1_11comp_targetILNS1_3genE9ELNS1_11target_archE1100ELNS1_3gpuE3ELNS1_3repE0EEENS1_30default_config_static_selectorELNS0_4arch9wavefront6targetE1EEEvT1_: ; @_ZN7rocprim17ROCPRIM_400000_NS6detail17trampoline_kernelINS0_14default_configENS1_20scan_config_selectorIxEEZZNS1_9scan_implILNS1_25lookback_scan_determinismE0ELb0ELb0ES3_N6thrust23THRUST_200600_302600_NS6detail15normal_iteratorINS9_10device_ptrIxEEEENS9_16discard_iteratorINS9_11use_defaultEEEx11max_functorIxExEEDaPvRmT3_T4_T5_mT6_P12ihipStream_tbENKUlT_T0_E_clISt17integral_constantIbLb0EESX_EEDaSS_ST_EUlSS_E0_NS1_11comp_targetILNS1_3genE9ELNS1_11target_archE1100ELNS1_3gpuE3ELNS1_3repE0EEENS1_30default_config_static_selectorELNS0_4arch9wavefront6targetE1EEEvT1_
; %bb.0:
	.section	.rodata,"a",@progbits
	.p2align	6, 0x0
	.amdhsa_kernel _ZN7rocprim17ROCPRIM_400000_NS6detail17trampoline_kernelINS0_14default_configENS1_20scan_config_selectorIxEEZZNS1_9scan_implILNS1_25lookback_scan_determinismE0ELb0ELb0ES3_N6thrust23THRUST_200600_302600_NS6detail15normal_iteratorINS9_10device_ptrIxEEEENS9_16discard_iteratorINS9_11use_defaultEEEx11max_functorIxExEEDaPvRmT3_T4_T5_mT6_P12ihipStream_tbENKUlT_T0_E_clISt17integral_constantIbLb0EESX_EEDaSS_ST_EUlSS_E0_NS1_11comp_targetILNS1_3genE9ELNS1_11target_archE1100ELNS1_3gpuE3ELNS1_3repE0EEENS1_30default_config_static_selectorELNS0_4arch9wavefront6targetE1EEEvT1_
		.amdhsa_group_segment_fixed_size 0
		.amdhsa_private_segment_fixed_size 0
		.amdhsa_kernarg_size 48
		.amdhsa_user_sgpr_count 6
		.amdhsa_user_sgpr_private_segment_buffer 1
		.amdhsa_user_sgpr_dispatch_ptr 0
		.amdhsa_user_sgpr_queue_ptr 0
		.amdhsa_user_sgpr_kernarg_segment_ptr 1
		.amdhsa_user_sgpr_dispatch_id 0
		.amdhsa_user_sgpr_flat_scratch_init 0
		.amdhsa_user_sgpr_kernarg_preload_length 0
		.amdhsa_user_sgpr_kernarg_preload_offset 0
		.amdhsa_user_sgpr_private_segment_size 0
		.amdhsa_uses_dynamic_stack 0
		.amdhsa_system_sgpr_private_segment_wavefront_offset 0
		.amdhsa_system_sgpr_workgroup_id_x 1
		.amdhsa_system_sgpr_workgroup_id_y 0
		.amdhsa_system_sgpr_workgroup_id_z 0
		.amdhsa_system_sgpr_workgroup_info 0
		.amdhsa_system_vgpr_workitem_id 0
		.amdhsa_next_free_vgpr 1
		.amdhsa_next_free_sgpr 0
		.amdhsa_accum_offset 4
		.amdhsa_reserve_vcc 0
		.amdhsa_reserve_flat_scratch 0
		.amdhsa_float_round_mode_32 0
		.amdhsa_float_round_mode_16_64 0
		.amdhsa_float_denorm_mode_32 3
		.amdhsa_float_denorm_mode_16_64 3
		.amdhsa_dx10_clamp 1
		.amdhsa_ieee_mode 1
		.amdhsa_fp16_overflow 0
		.amdhsa_tg_split 0
		.amdhsa_exception_fp_ieee_invalid_op 0
		.amdhsa_exception_fp_denorm_src 0
		.amdhsa_exception_fp_ieee_div_zero 0
		.amdhsa_exception_fp_ieee_overflow 0
		.amdhsa_exception_fp_ieee_underflow 0
		.amdhsa_exception_fp_ieee_inexact 0
		.amdhsa_exception_int_div_zero 0
	.end_amdhsa_kernel
	.section	.text._ZN7rocprim17ROCPRIM_400000_NS6detail17trampoline_kernelINS0_14default_configENS1_20scan_config_selectorIxEEZZNS1_9scan_implILNS1_25lookback_scan_determinismE0ELb0ELb0ES3_N6thrust23THRUST_200600_302600_NS6detail15normal_iteratorINS9_10device_ptrIxEEEENS9_16discard_iteratorINS9_11use_defaultEEEx11max_functorIxExEEDaPvRmT3_T4_T5_mT6_P12ihipStream_tbENKUlT_T0_E_clISt17integral_constantIbLb0EESX_EEDaSS_ST_EUlSS_E0_NS1_11comp_targetILNS1_3genE9ELNS1_11target_archE1100ELNS1_3gpuE3ELNS1_3repE0EEENS1_30default_config_static_selectorELNS0_4arch9wavefront6targetE1EEEvT1_,"axG",@progbits,_ZN7rocprim17ROCPRIM_400000_NS6detail17trampoline_kernelINS0_14default_configENS1_20scan_config_selectorIxEEZZNS1_9scan_implILNS1_25lookback_scan_determinismE0ELb0ELb0ES3_N6thrust23THRUST_200600_302600_NS6detail15normal_iteratorINS9_10device_ptrIxEEEENS9_16discard_iteratorINS9_11use_defaultEEEx11max_functorIxExEEDaPvRmT3_T4_T5_mT6_P12ihipStream_tbENKUlT_T0_E_clISt17integral_constantIbLb0EESX_EEDaSS_ST_EUlSS_E0_NS1_11comp_targetILNS1_3genE9ELNS1_11target_archE1100ELNS1_3gpuE3ELNS1_3repE0EEENS1_30default_config_static_selectorELNS0_4arch9wavefront6targetE1EEEvT1_,comdat
.Lfunc_end3726:
	.size	_ZN7rocprim17ROCPRIM_400000_NS6detail17trampoline_kernelINS0_14default_configENS1_20scan_config_selectorIxEEZZNS1_9scan_implILNS1_25lookback_scan_determinismE0ELb0ELb0ES3_N6thrust23THRUST_200600_302600_NS6detail15normal_iteratorINS9_10device_ptrIxEEEENS9_16discard_iteratorINS9_11use_defaultEEEx11max_functorIxExEEDaPvRmT3_T4_T5_mT6_P12ihipStream_tbENKUlT_T0_E_clISt17integral_constantIbLb0EESX_EEDaSS_ST_EUlSS_E0_NS1_11comp_targetILNS1_3genE9ELNS1_11target_archE1100ELNS1_3gpuE3ELNS1_3repE0EEENS1_30default_config_static_selectorELNS0_4arch9wavefront6targetE1EEEvT1_, .Lfunc_end3726-_ZN7rocprim17ROCPRIM_400000_NS6detail17trampoline_kernelINS0_14default_configENS1_20scan_config_selectorIxEEZZNS1_9scan_implILNS1_25lookback_scan_determinismE0ELb0ELb0ES3_N6thrust23THRUST_200600_302600_NS6detail15normal_iteratorINS9_10device_ptrIxEEEENS9_16discard_iteratorINS9_11use_defaultEEEx11max_functorIxExEEDaPvRmT3_T4_T5_mT6_P12ihipStream_tbENKUlT_T0_E_clISt17integral_constantIbLb0EESX_EEDaSS_ST_EUlSS_E0_NS1_11comp_targetILNS1_3genE9ELNS1_11target_archE1100ELNS1_3gpuE3ELNS1_3repE0EEENS1_30default_config_static_selectorELNS0_4arch9wavefront6targetE1EEEvT1_
                                        ; -- End function
	.section	.AMDGPU.csdata,"",@progbits
; Kernel info:
; codeLenInByte = 0
; NumSgprs: 4
; NumVgprs: 0
; NumAgprs: 0
; TotalNumVgprs: 0
; ScratchSize: 0
; MemoryBound: 0
; FloatMode: 240
; IeeeMode: 1
; LDSByteSize: 0 bytes/workgroup (compile time only)
; SGPRBlocks: 0
; VGPRBlocks: 0
; NumSGPRsForWavesPerEU: 4
; NumVGPRsForWavesPerEU: 1
; AccumOffset: 4
; Occupancy: 8
; WaveLimiterHint : 0
; COMPUTE_PGM_RSRC2:SCRATCH_EN: 0
; COMPUTE_PGM_RSRC2:USER_SGPR: 6
; COMPUTE_PGM_RSRC2:TRAP_HANDLER: 0
; COMPUTE_PGM_RSRC2:TGID_X_EN: 1
; COMPUTE_PGM_RSRC2:TGID_Y_EN: 0
; COMPUTE_PGM_RSRC2:TGID_Z_EN: 0
; COMPUTE_PGM_RSRC2:TIDIG_COMP_CNT: 0
; COMPUTE_PGM_RSRC3_GFX90A:ACCUM_OFFSET: 0
; COMPUTE_PGM_RSRC3_GFX90A:TG_SPLIT: 0
	.section	.text._ZN7rocprim17ROCPRIM_400000_NS6detail17trampoline_kernelINS0_14default_configENS1_20scan_config_selectorIxEEZZNS1_9scan_implILNS1_25lookback_scan_determinismE0ELb0ELb0ES3_N6thrust23THRUST_200600_302600_NS6detail15normal_iteratorINS9_10device_ptrIxEEEENS9_16discard_iteratorINS9_11use_defaultEEEx11max_functorIxExEEDaPvRmT3_T4_T5_mT6_P12ihipStream_tbENKUlT_T0_E_clISt17integral_constantIbLb0EESX_EEDaSS_ST_EUlSS_E0_NS1_11comp_targetILNS1_3genE8ELNS1_11target_archE1030ELNS1_3gpuE2ELNS1_3repE0EEENS1_30default_config_static_selectorELNS0_4arch9wavefront6targetE1EEEvT1_,"axG",@progbits,_ZN7rocprim17ROCPRIM_400000_NS6detail17trampoline_kernelINS0_14default_configENS1_20scan_config_selectorIxEEZZNS1_9scan_implILNS1_25lookback_scan_determinismE0ELb0ELb0ES3_N6thrust23THRUST_200600_302600_NS6detail15normal_iteratorINS9_10device_ptrIxEEEENS9_16discard_iteratorINS9_11use_defaultEEEx11max_functorIxExEEDaPvRmT3_T4_T5_mT6_P12ihipStream_tbENKUlT_T0_E_clISt17integral_constantIbLb0EESX_EEDaSS_ST_EUlSS_E0_NS1_11comp_targetILNS1_3genE8ELNS1_11target_archE1030ELNS1_3gpuE2ELNS1_3repE0EEENS1_30default_config_static_selectorELNS0_4arch9wavefront6targetE1EEEvT1_,comdat
	.protected	_ZN7rocprim17ROCPRIM_400000_NS6detail17trampoline_kernelINS0_14default_configENS1_20scan_config_selectorIxEEZZNS1_9scan_implILNS1_25lookback_scan_determinismE0ELb0ELb0ES3_N6thrust23THRUST_200600_302600_NS6detail15normal_iteratorINS9_10device_ptrIxEEEENS9_16discard_iteratorINS9_11use_defaultEEEx11max_functorIxExEEDaPvRmT3_T4_T5_mT6_P12ihipStream_tbENKUlT_T0_E_clISt17integral_constantIbLb0EESX_EEDaSS_ST_EUlSS_E0_NS1_11comp_targetILNS1_3genE8ELNS1_11target_archE1030ELNS1_3gpuE2ELNS1_3repE0EEENS1_30default_config_static_selectorELNS0_4arch9wavefront6targetE1EEEvT1_ ; -- Begin function _ZN7rocprim17ROCPRIM_400000_NS6detail17trampoline_kernelINS0_14default_configENS1_20scan_config_selectorIxEEZZNS1_9scan_implILNS1_25lookback_scan_determinismE0ELb0ELb0ES3_N6thrust23THRUST_200600_302600_NS6detail15normal_iteratorINS9_10device_ptrIxEEEENS9_16discard_iteratorINS9_11use_defaultEEEx11max_functorIxExEEDaPvRmT3_T4_T5_mT6_P12ihipStream_tbENKUlT_T0_E_clISt17integral_constantIbLb0EESX_EEDaSS_ST_EUlSS_E0_NS1_11comp_targetILNS1_3genE8ELNS1_11target_archE1030ELNS1_3gpuE2ELNS1_3repE0EEENS1_30default_config_static_selectorELNS0_4arch9wavefront6targetE1EEEvT1_
	.globl	_ZN7rocprim17ROCPRIM_400000_NS6detail17trampoline_kernelINS0_14default_configENS1_20scan_config_selectorIxEEZZNS1_9scan_implILNS1_25lookback_scan_determinismE0ELb0ELb0ES3_N6thrust23THRUST_200600_302600_NS6detail15normal_iteratorINS9_10device_ptrIxEEEENS9_16discard_iteratorINS9_11use_defaultEEEx11max_functorIxExEEDaPvRmT3_T4_T5_mT6_P12ihipStream_tbENKUlT_T0_E_clISt17integral_constantIbLb0EESX_EEDaSS_ST_EUlSS_E0_NS1_11comp_targetILNS1_3genE8ELNS1_11target_archE1030ELNS1_3gpuE2ELNS1_3repE0EEENS1_30default_config_static_selectorELNS0_4arch9wavefront6targetE1EEEvT1_
	.p2align	8
	.type	_ZN7rocprim17ROCPRIM_400000_NS6detail17trampoline_kernelINS0_14default_configENS1_20scan_config_selectorIxEEZZNS1_9scan_implILNS1_25lookback_scan_determinismE0ELb0ELb0ES3_N6thrust23THRUST_200600_302600_NS6detail15normal_iteratorINS9_10device_ptrIxEEEENS9_16discard_iteratorINS9_11use_defaultEEEx11max_functorIxExEEDaPvRmT3_T4_T5_mT6_P12ihipStream_tbENKUlT_T0_E_clISt17integral_constantIbLb0EESX_EEDaSS_ST_EUlSS_E0_NS1_11comp_targetILNS1_3genE8ELNS1_11target_archE1030ELNS1_3gpuE2ELNS1_3repE0EEENS1_30default_config_static_selectorELNS0_4arch9wavefront6targetE1EEEvT1_,@function
_ZN7rocprim17ROCPRIM_400000_NS6detail17trampoline_kernelINS0_14default_configENS1_20scan_config_selectorIxEEZZNS1_9scan_implILNS1_25lookback_scan_determinismE0ELb0ELb0ES3_N6thrust23THRUST_200600_302600_NS6detail15normal_iteratorINS9_10device_ptrIxEEEENS9_16discard_iteratorINS9_11use_defaultEEEx11max_functorIxExEEDaPvRmT3_T4_T5_mT6_P12ihipStream_tbENKUlT_T0_E_clISt17integral_constantIbLb0EESX_EEDaSS_ST_EUlSS_E0_NS1_11comp_targetILNS1_3genE8ELNS1_11target_archE1030ELNS1_3gpuE2ELNS1_3repE0EEENS1_30default_config_static_selectorELNS0_4arch9wavefront6targetE1EEEvT1_: ; @_ZN7rocprim17ROCPRIM_400000_NS6detail17trampoline_kernelINS0_14default_configENS1_20scan_config_selectorIxEEZZNS1_9scan_implILNS1_25lookback_scan_determinismE0ELb0ELb0ES3_N6thrust23THRUST_200600_302600_NS6detail15normal_iteratorINS9_10device_ptrIxEEEENS9_16discard_iteratorINS9_11use_defaultEEEx11max_functorIxExEEDaPvRmT3_T4_T5_mT6_P12ihipStream_tbENKUlT_T0_E_clISt17integral_constantIbLb0EESX_EEDaSS_ST_EUlSS_E0_NS1_11comp_targetILNS1_3genE8ELNS1_11target_archE1030ELNS1_3gpuE2ELNS1_3repE0EEENS1_30default_config_static_selectorELNS0_4arch9wavefront6targetE1EEEvT1_
; %bb.0:
	.section	.rodata,"a",@progbits
	.p2align	6, 0x0
	.amdhsa_kernel _ZN7rocprim17ROCPRIM_400000_NS6detail17trampoline_kernelINS0_14default_configENS1_20scan_config_selectorIxEEZZNS1_9scan_implILNS1_25lookback_scan_determinismE0ELb0ELb0ES3_N6thrust23THRUST_200600_302600_NS6detail15normal_iteratorINS9_10device_ptrIxEEEENS9_16discard_iteratorINS9_11use_defaultEEEx11max_functorIxExEEDaPvRmT3_T4_T5_mT6_P12ihipStream_tbENKUlT_T0_E_clISt17integral_constantIbLb0EESX_EEDaSS_ST_EUlSS_E0_NS1_11comp_targetILNS1_3genE8ELNS1_11target_archE1030ELNS1_3gpuE2ELNS1_3repE0EEENS1_30default_config_static_selectorELNS0_4arch9wavefront6targetE1EEEvT1_
		.amdhsa_group_segment_fixed_size 0
		.amdhsa_private_segment_fixed_size 0
		.amdhsa_kernarg_size 48
		.amdhsa_user_sgpr_count 6
		.amdhsa_user_sgpr_private_segment_buffer 1
		.amdhsa_user_sgpr_dispatch_ptr 0
		.amdhsa_user_sgpr_queue_ptr 0
		.amdhsa_user_sgpr_kernarg_segment_ptr 1
		.amdhsa_user_sgpr_dispatch_id 0
		.amdhsa_user_sgpr_flat_scratch_init 0
		.amdhsa_user_sgpr_kernarg_preload_length 0
		.amdhsa_user_sgpr_kernarg_preload_offset 0
		.amdhsa_user_sgpr_private_segment_size 0
		.amdhsa_uses_dynamic_stack 0
		.amdhsa_system_sgpr_private_segment_wavefront_offset 0
		.amdhsa_system_sgpr_workgroup_id_x 1
		.amdhsa_system_sgpr_workgroup_id_y 0
		.amdhsa_system_sgpr_workgroup_id_z 0
		.amdhsa_system_sgpr_workgroup_info 0
		.amdhsa_system_vgpr_workitem_id 0
		.amdhsa_next_free_vgpr 1
		.amdhsa_next_free_sgpr 0
		.amdhsa_accum_offset 4
		.amdhsa_reserve_vcc 0
		.amdhsa_reserve_flat_scratch 0
		.amdhsa_float_round_mode_32 0
		.amdhsa_float_round_mode_16_64 0
		.amdhsa_float_denorm_mode_32 3
		.amdhsa_float_denorm_mode_16_64 3
		.amdhsa_dx10_clamp 1
		.amdhsa_ieee_mode 1
		.amdhsa_fp16_overflow 0
		.amdhsa_tg_split 0
		.amdhsa_exception_fp_ieee_invalid_op 0
		.amdhsa_exception_fp_denorm_src 0
		.amdhsa_exception_fp_ieee_div_zero 0
		.amdhsa_exception_fp_ieee_overflow 0
		.amdhsa_exception_fp_ieee_underflow 0
		.amdhsa_exception_fp_ieee_inexact 0
		.amdhsa_exception_int_div_zero 0
	.end_amdhsa_kernel
	.section	.text._ZN7rocprim17ROCPRIM_400000_NS6detail17trampoline_kernelINS0_14default_configENS1_20scan_config_selectorIxEEZZNS1_9scan_implILNS1_25lookback_scan_determinismE0ELb0ELb0ES3_N6thrust23THRUST_200600_302600_NS6detail15normal_iteratorINS9_10device_ptrIxEEEENS9_16discard_iteratorINS9_11use_defaultEEEx11max_functorIxExEEDaPvRmT3_T4_T5_mT6_P12ihipStream_tbENKUlT_T0_E_clISt17integral_constantIbLb0EESX_EEDaSS_ST_EUlSS_E0_NS1_11comp_targetILNS1_3genE8ELNS1_11target_archE1030ELNS1_3gpuE2ELNS1_3repE0EEENS1_30default_config_static_selectorELNS0_4arch9wavefront6targetE1EEEvT1_,"axG",@progbits,_ZN7rocprim17ROCPRIM_400000_NS6detail17trampoline_kernelINS0_14default_configENS1_20scan_config_selectorIxEEZZNS1_9scan_implILNS1_25lookback_scan_determinismE0ELb0ELb0ES3_N6thrust23THRUST_200600_302600_NS6detail15normal_iteratorINS9_10device_ptrIxEEEENS9_16discard_iteratorINS9_11use_defaultEEEx11max_functorIxExEEDaPvRmT3_T4_T5_mT6_P12ihipStream_tbENKUlT_T0_E_clISt17integral_constantIbLb0EESX_EEDaSS_ST_EUlSS_E0_NS1_11comp_targetILNS1_3genE8ELNS1_11target_archE1030ELNS1_3gpuE2ELNS1_3repE0EEENS1_30default_config_static_selectorELNS0_4arch9wavefront6targetE1EEEvT1_,comdat
.Lfunc_end3727:
	.size	_ZN7rocprim17ROCPRIM_400000_NS6detail17trampoline_kernelINS0_14default_configENS1_20scan_config_selectorIxEEZZNS1_9scan_implILNS1_25lookback_scan_determinismE0ELb0ELb0ES3_N6thrust23THRUST_200600_302600_NS6detail15normal_iteratorINS9_10device_ptrIxEEEENS9_16discard_iteratorINS9_11use_defaultEEEx11max_functorIxExEEDaPvRmT3_T4_T5_mT6_P12ihipStream_tbENKUlT_T0_E_clISt17integral_constantIbLb0EESX_EEDaSS_ST_EUlSS_E0_NS1_11comp_targetILNS1_3genE8ELNS1_11target_archE1030ELNS1_3gpuE2ELNS1_3repE0EEENS1_30default_config_static_selectorELNS0_4arch9wavefront6targetE1EEEvT1_, .Lfunc_end3727-_ZN7rocprim17ROCPRIM_400000_NS6detail17trampoline_kernelINS0_14default_configENS1_20scan_config_selectorIxEEZZNS1_9scan_implILNS1_25lookback_scan_determinismE0ELb0ELb0ES3_N6thrust23THRUST_200600_302600_NS6detail15normal_iteratorINS9_10device_ptrIxEEEENS9_16discard_iteratorINS9_11use_defaultEEEx11max_functorIxExEEDaPvRmT3_T4_T5_mT6_P12ihipStream_tbENKUlT_T0_E_clISt17integral_constantIbLb0EESX_EEDaSS_ST_EUlSS_E0_NS1_11comp_targetILNS1_3genE8ELNS1_11target_archE1030ELNS1_3gpuE2ELNS1_3repE0EEENS1_30default_config_static_selectorELNS0_4arch9wavefront6targetE1EEEvT1_
                                        ; -- End function
	.section	.AMDGPU.csdata,"",@progbits
; Kernel info:
; codeLenInByte = 0
; NumSgprs: 4
; NumVgprs: 0
; NumAgprs: 0
; TotalNumVgprs: 0
; ScratchSize: 0
; MemoryBound: 0
; FloatMode: 240
; IeeeMode: 1
; LDSByteSize: 0 bytes/workgroup (compile time only)
; SGPRBlocks: 0
; VGPRBlocks: 0
; NumSGPRsForWavesPerEU: 4
; NumVGPRsForWavesPerEU: 1
; AccumOffset: 4
; Occupancy: 8
; WaveLimiterHint : 0
; COMPUTE_PGM_RSRC2:SCRATCH_EN: 0
; COMPUTE_PGM_RSRC2:USER_SGPR: 6
; COMPUTE_PGM_RSRC2:TRAP_HANDLER: 0
; COMPUTE_PGM_RSRC2:TGID_X_EN: 1
; COMPUTE_PGM_RSRC2:TGID_Y_EN: 0
; COMPUTE_PGM_RSRC2:TGID_Z_EN: 0
; COMPUTE_PGM_RSRC2:TIDIG_COMP_CNT: 0
; COMPUTE_PGM_RSRC3_GFX90A:ACCUM_OFFSET: 0
; COMPUTE_PGM_RSRC3_GFX90A:TG_SPLIT: 0
	.section	.text._ZN7rocprim17ROCPRIM_400000_NS6detail17trampoline_kernelINS0_14default_configENS1_20scan_config_selectorIxEEZZNS1_9scan_implILNS1_25lookback_scan_determinismE0ELb0ELb0ES3_N6thrust23THRUST_200600_302600_NS6detail15normal_iteratorINS9_10device_ptrIxEEEENS9_16discard_iteratorINS9_11use_defaultEEEx11max_functorIxExEEDaPvRmT3_T4_T5_mT6_P12ihipStream_tbENKUlT_T0_E_clISt17integral_constantIbLb1EESX_EEDaSS_ST_EUlSS_E_NS1_11comp_targetILNS1_3genE0ELNS1_11target_archE4294967295ELNS1_3gpuE0ELNS1_3repE0EEENS1_30default_config_static_selectorELNS0_4arch9wavefront6targetE1EEEvT1_,"axG",@progbits,_ZN7rocprim17ROCPRIM_400000_NS6detail17trampoline_kernelINS0_14default_configENS1_20scan_config_selectorIxEEZZNS1_9scan_implILNS1_25lookback_scan_determinismE0ELb0ELb0ES3_N6thrust23THRUST_200600_302600_NS6detail15normal_iteratorINS9_10device_ptrIxEEEENS9_16discard_iteratorINS9_11use_defaultEEEx11max_functorIxExEEDaPvRmT3_T4_T5_mT6_P12ihipStream_tbENKUlT_T0_E_clISt17integral_constantIbLb1EESX_EEDaSS_ST_EUlSS_E_NS1_11comp_targetILNS1_3genE0ELNS1_11target_archE4294967295ELNS1_3gpuE0ELNS1_3repE0EEENS1_30default_config_static_selectorELNS0_4arch9wavefront6targetE1EEEvT1_,comdat
	.protected	_ZN7rocprim17ROCPRIM_400000_NS6detail17trampoline_kernelINS0_14default_configENS1_20scan_config_selectorIxEEZZNS1_9scan_implILNS1_25lookback_scan_determinismE0ELb0ELb0ES3_N6thrust23THRUST_200600_302600_NS6detail15normal_iteratorINS9_10device_ptrIxEEEENS9_16discard_iteratorINS9_11use_defaultEEEx11max_functorIxExEEDaPvRmT3_T4_T5_mT6_P12ihipStream_tbENKUlT_T0_E_clISt17integral_constantIbLb1EESX_EEDaSS_ST_EUlSS_E_NS1_11comp_targetILNS1_3genE0ELNS1_11target_archE4294967295ELNS1_3gpuE0ELNS1_3repE0EEENS1_30default_config_static_selectorELNS0_4arch9wavefront6targetE1EEEvT1_ ; -- Begin function _ZN7rocprim17ROCPRIM_400000_NS6detail17trampoline_kernelINS0_14default_configENS1_20scan_config_selectorIxEEZZNS1_9scan_implILNS1_25lookback_scan_determinismE0ELb0ELb0ES3_N6thrust23THRUST_200600_302600_NS6detail15normal_iteratorINS9_10device_ptrIxEEEENS9_16discard_iteratorINS9_11use_defaultEEEx11max_functorIxExEEDaPvRmT3_T4_T5_mT6_P12ihipStream_tbENKUlT_T0_E_clISt17integral_constantIbLb1EESX_EEDaSS_ST_EUlSS_E_NS1_11comp_targetILNS1_3genE0ELNS1_11target_archE4294967295ELNS1_3gpuE0ELNS1_3repE0EEENS1_30default_config_static_selectorELNS0_4arch9wavefront6targetE1EEEvT1_
	.globl	_ZN7rocprim17ROCPRIM_400000_NS6detail17trampoline_kernelINS0_14default_configENS1_20scan_config_selectorIxEEZZNS1_9scan_implILNS1_25lookback_scan_determinismE0ELb0ELb0ES3_N6thrust23THRUST_200600_302600_NS6detail15normal_iteratorINS9_10device_ptrIxEEEENS9_16discard_iteratorINS9_11use_defaultEEEx11max_functorIxExEEDaPvRmT3_T4_T5_mT6_P12ihipStream_tbENKUlT_T0_E_clISt17integral_constantIbLb1EESX_EEDaSS_ST_EUlSS_E_NS1_11comp_targetILNS1_3genE0ELNS1_11target_archE4294967295ELNS1_3gpuE0ELNS1_3repE0EEENS1_30default_config_static_selectorELNS0_4arch9wavefront6targetE1EEEvT1_
	.p2align	8
	.type	_ZN7rocprim17ROCPRIM_400000_NS6detail17trampoline_kernelINS0_14default_configENS1_20scan_config_selectorIxEEZZNS1_9scan_implILNS1_25lookback_scan_determinismE0ELb0ELb0ES3_N6thrust23THRUST_200600_302600_NS6detail15normal_iteratorINS9_10device_ptrIxEEEENS9_16discard_iteratorINS9_11use_defaultEEEx11max_functorIxExEEDaPvRmT3_T4_T5_mT6_P12ihipStream_tbENKUlT_T0_E_clISt17integral_constantIbLb1EESX_EEDaSS_ST_EUlSS_E_NS1_11comp_targetILNS1_3genE0ELNS1_11target_archE4294967295ELNS1_3gpuE0ELNS1_3repE0EEENS1_30default_config_static_selectorELNS0_4arch9wavefront6targetE1EEEvT1_,@function
_ZN7rocprim17ROCPRIM_400000_NS6detail17trampoline_kernelINS0_14default_configENS1_20scan_config_selectorIxEEZZNS1_9scan_implILNS1_25lookback_scan_determinismE0ELb0ELb0ES3_N6thrust23THRUST_200600_302600_NS6detail15normal_iteratorINS9_10device_ptrIxEEEENS9_16discard_iteratorINS9_11use_defaultEEEx11max_functorIxExEEDaPvRmT3_T4_T5_mT6_P12ihipStream_tbENKUlT_T0_E_clISt17integral_constantIbLb1EESX_EEDaSS_ST_EUlSS_E_NS1_11comp_targetILNS1_3genE0ELNS1_11target_archE4294967295ELNS1_3gpuE0ELNS1_3repE0EEENS1_30default_config_static_selectorELNS0_4arch9wavefront6targetE1EEEvT1_: ; @_ZN7rocprim17ROCPRIM_400000_NS6detail17trampoline_kernelINS0_14default_configENS1_20scan_config_selectorIxEEZZNS1_9scan_implILNS1_25lookback_scan_determinismE0ELb0ELb0ES3_N6thrust23THRUST_200600_302600_NS6detail15normal_iteratorINS9_10device_ptrIxEEEENS9_16discard_iteratorINS9_11use_defaultEEEx11max_functorIxExEEDaPvRmT3_T4_T5_mT6_P12ihipStream_tbENKUlT_T0_E_clISt17integral_constantIbLb1EESX_EEDaSS_ST_EUlSS_E_NS1_11comp_targetILNS1_3genE0ELNS1_11target_archE4294967295ELNS1_3gpuE0ELNS1_3repE0EEENS1_30default_config_static_selectorELNS0_4arch9wavefront6targetE1EEEvT1_
; %bb.0:
	.section	.rodata,"a",@progbits
	.p2align	6, 0x0
	.amdhsa_kernel _ZN7rocprim17ROCPRIM_400000_NS6detail17trampoline_kernelINS0_14default_configENS1_20scan_config_selectorIxEEZZNS1_9scan_implILNS1_25lookback_scan_determinismE0ELb0ELb0ES3_N6thrust23THRUST_200600_302600_NS6detail15normal_iteratorINS9_10device_ptrIxEEEENS9_16discard_iteratorINS9_11use_defaultEEEx11max_functorIxExEEDaPvRmT3_T4_T5_mT6_P12ihipStream_tbENKUlT_T0_E_clISt17integral_constantIbLb1EESX_EEDaSS_ST_EUlSS_E_NS1_11comp_targetILNS1_3genE0ELNS1_11target_archE4294967295ELNS1_3gpuE0ELNS1_3repE0EEENS1_30default_config_static_selectorELNS0_4arch9wavefront6targetE1EEEvT1_
		.amdhsa_group_segment_fixed_size 0
		.amdhsa_private_segment_fixed_size 0
		.amdhsa_kernarg_size 112
		.amdhsa_user_sgpr_count 6
		.amdhsa_user_sgpr_private_segment_buffer 1
		.amdhsa_user_sgpr_dispatch_ptr 0
		.amdhsa_user_sgpr_queue_ptr 0
		.amdhsa_user_sgpr_kernarg_segment_ptr 1
		.amdhsa_user_sgpr_dispatch_id 0
		.amdhsa_user_sgpr_flat_scratch_init 0
		.amdhsa_user_sgpr_kernarg_preload_length 0
		.amdhsa_user_sgpr_kernarg_preload_offset 0
		.amdhsa_user_sgpr_private_segment_size 0
		.amdhsa_uses_dynamic_stack 0
		.amdhsa_system_sgpr_private_segment_wavefront_offset 0
		.amdhsa_system_sgpr_workgroup_id_x 1
		.amdhsa_system_sgpr_workgroup_id_y 0
		.amdhsa_system_sgpr_workgroup_id_z 0
		.amdhsa_system_sgpr_workgroup_info 0
		.amdhsa_system_vgpr_workitem_id 0
		.amdhsa_next_free_vgpr 1
		.amdhsa_next_free_sgpr 0
		.amdhsa_accum_offset 4
		.amdhsa_reserve_vcc 0
		.amdhsa_reserve_flat_scratch 0
		.amdhsa_float_round_mode_32 0
		.amdhsa_float_round_mode_16_64 0
		.amdhsa_float_denorm_mode_32 3
		.amdhsa_float_denorm_mode_16_64 3
		.amdhsa_dx10_clamp 1
		.amdhsa_ieee_mode 1
		.amdhsa_fp16_overflow 0
		.amdhsa_tg_split 0
		.amdhsa_exception_fp_ieee_invalid_op 0
		.amdhsa_exception_fp_denorm_src 0
		.amdhsa_exception_fp_ieee_div_zero 0
		.amdhsa_exception_fp_ieee_overflow 0
		.amdhsa_exception_fp_ieee_underflow 0
		.amdhsa_exception_fp_ieee_inexact 0
		.amdhsa_exception_int_div_zero 0
	.end_amdhsa_kernel
	.section	.text._ZN7rocprim17ROCPRIM_400000_NS6detail17trampoline_kernelINS0_14default_configENS1_20scan_config_selectorIxEEZZNS1_9scan_implILNS1_25lookback_scan_determinismE0ELb0ELb0ES3_N6thrust23THRUST_200600_302600_NS6detail15normal_iteratorINS9_10device_ptrIxEEEENS9_16discard_iteratorINS9_11use_defaultEEEx11max_functorIxExEEDaPvRmT3_T4_T5_mT6_P12ihipStream_tbENKUlT_T0_E_clISt17integral_constantIbLb1EESX_EEDaSS_ST_EUlSS_E_NS1_11comp_targetILNS1_3genE0ELNS1_11target_archE4294967295ELNS1_3gpuE0ELNS1_3repE0EEENS1_30default_config_static_selectorELNS0_4arch9wavefront6targetE1EEEvT1_,"axG",@progbits,_ZN7rocprim17ROCPRIM_400000_NS6detail17trampoline_kernelINS0_14default_configENS1_20scan_config_selectorIxEEZZNS1_9scan_implILNS1_25lookback_scan_determinismE0ELb0ELb0ES3_N6thrust23THRUST_200600_302600_NS6detail15normal_iteratorINS9_10device_ptrIxEEEENS9_16discard_iteratorINS9_11use_defaultEEEx11max_functorIxExEEDaPvRmT3_T4_T5_mT6_P12ihipStream_tbENKUlT_T0_E_clISt17integral_constantIbLb1EESX_EEDaSS_ST_EUlSS_E_NS1_11comp_targetILNS1_3genE0ELNS1_11target_archE4294967295ELNS1_3gpuE0ELNS1_3repE0EEENS1_30default_config_static_selectorELNS0_4arch9wavefront6targetE1EEEvT1_,comdat
.Lfunc_end3728:
	.size	_ZN7rocprim17ROCPRIM_400000_NS6detail17trampoline_kernelINS0_14default_configENS1_20scan_config_selectorIxEEZZNS1_9scan_implILNS1_25lookback_scan_determinismE0ELb0ELb0ES3_N6thrust23THRUST_200600_302600_NS6detail15normal_iteratorINS9_10device_ptrIxEEEENS9_16discard_iteratorINS9_11use_defaultEEEx11max_functorIxExEEDaPvRmT3_T4_T5_mT6_P12ihipStream_tbENKUlT_T0_E_clISt17integral_constantIbLb1EESX_EEDaSS_ST_EUlSS_E_NS1_11comp_targetILNS1_3genE0ELNS1_11target_archE4294967295ELNS1_3gpuE0ELNS1_3repE0EEENS1_30default_config_static_selectorELNS0_4arch9wavefront6targetE1EEEvT1_, .Lfunc_end3728-_ZN7rocprim17ROCPRIM_400000_NS6detail17trampoline_kernelINS0_14default_configENS1_20scan_config_selectorIxEEZZNS1_9scan_implILNS1_25lookback_scan_determinismE0ELb0ELb0ES3_N6thrust23THRUST_200600_302600_NS6detail15normal_iteratorINS9_10device_ptrIxEEEENS9_16discard_iteratorINS9_11use_defaultEEEx11max_functorIxExEEDaPvRmT3_T4_T5_mT6_P12ihipStream_tbENKUlT_T0_E_clISt17integral_constantIbLb1EESX_EEDaSS_ST_EUlSS_E_NS1_11comp_targetILNS1_3genE0ELNS1_11target_archE4294967295ELNS1_3gpuE0ELNS1_3repE0EEENS1_30default_config_static_selectorELNS0_4arch9wavefront6targetE1EEEvT1_
                                        ; -- End function
	.section	.AMDGPU.csdata,"",@progbits
; Kernel info:
; codeLenInByte = 0
; NumSgprs: 4
; NumVgprs: 0
; NumAgprs: 0
; TotalNumVgprs: 0
; ScratchSize: 0
; MemoryBound: 0
; FloatMode: 240
; IeeeMode: 1
; LDSByteSize: 0 bytes/workgroup (compile time only)
; SGPRBlocks: 0
; VGPRBlocks: 0
; NumSGPRsForWavesPerEU: 4
; NumVGPRsForWavesPerEU: 1
; AccumOffset: 4
; Occupancy: 8
; WaveLimiterHint : 0
; COMPUTE_PGM_RSRC2:SCRATCH_EN: 0
; COMPUTE_PGM_RSRC2:USER_SGPR: 6
; COMPUTE_PGM_RSRC2:TRAP_HANDLER: 0
; COMPUTE_PGM_RSRC2:TGID_X_EN: 1
; COMPUTE_PGM_RSRC2:TGID_Y_EN: 0
; COMPUTE_PGM_RSRC2:TGID_Z_EN: 0
; COMPUTE_PGM_RSRC2:TIDIG_COMP_CNT: 0
; COMPUTE_PGM_RSRC3_GFX90A:ACCUM_OFFSET: 0
; COMPUTE_PGM_RSRC3_GFX90A:TG_SPLIT: 0
	.section	.text._ZN7rocprim17ROCPRIM_400000_NS6detail17trampoline_kernelINS0_14default_configENS1_20scan_config_selectorIxEEZZNS1_9scan_implILNS1_25lookback_scan_determinismE0ELb0ELb0ES3_N6thrust23THRUST_200600_302600_NS6detail15normal_iteratorINS9_10device_ptrIxEEEENS9_16discard_iteratorINS9_11use_defaultEEEx11max_functorIxExEEDaPvRmT3_T4_T5_mT6_P12ihipStream_tbENKUlT_T0_E_clISt17integral_constantIbLb1EESX_EEDaSS_ST_EUlSS_E_NS1_11comp_targetILNS1_3genE5ELNS1_11target_archE942ELNS1_3gpuE9ELNS1_3repE0EEENS1_30default_config_static_selectorELNS0_4arch9wavefront6targetE1EEEvT1_,"axG",@progbits,_ZN7rocprim17ROCPRIM_400000_NS6detail17trampoline_kernelINS0_14default_configENS1_20scan_config_selectorIxEEZZNS1_9scan_implILNS1_25lookback_scan_determinismE0ELb0ELb0ES3_N6thrust23THRUST_200600_302600_NS6detail15normal_iteratorINS9_10device_ptrIxEEEENS9_16discard_iteratorINS9_11use_defaultEEEx11max_functorIxExEEDaPvRmT3_T4_T5_mT6_P12ihipStream_tbENKUlT_T0_E_clISt17integral_constantIbLb1EESX_EEDaSS_ST_EUlSS_E_NS1_11comp_targetILNS1_3genE5ELNS1_11target_archE942ELNS1_3gpuE9ELNS1_3repE0EEENS1_30default_config_static_selectorELNS0_4arch9wavefront6targetE1EEEvT1_,comdat
	.protected	_ZN7rocprim17ROCPRIM_400000_NS6detail17trampoline_kernelINS0_14default_configENS1_20scan_config_selectorIxEEZZNS1_9scan_implILNS1_25lookback_scan_determinismE0ELb0ELb0ES3_N6thrust23THRUST_200600_302600_NS6detail15normal_iteratorINS9_10device_ptrIxEEEENS9_16discard_iteratorINS9_11use_defaultEEEx11max_functorIxExEEDaPvRmT3_T4_T5_mT6_P12ihipStream_tbENKUlT_T0_E_clISt17integral_constantIbLb1EESX_EEDaSS_ST_EUlSS_E_NS1_11comp_targetILNS1_3genE5ELNS1_11target_archE942ELNS1_3gpuE9ELNS1_3repE0EEENS1_30default_config_static_selectorELNS0_4arch9wavefront6targetE1EEEvT1_ ; -- Begin function _ZN7rocprim17ROCPRIM_400000_NS6detail17trampoline_kernelINS0_14default_configENS1_20scan_config_selectorIxEEZZNS1_9scan_implILNS1_25lookback_scan_determinismE0ELb0ELb0ES3_N6thrust23THRUST_200600_302600_NS6detail15normal_iteratorINS9_10device_ptrIxEEEENS9_16discard_iteratorINS9_11use_defaultEEEx11max_functorIxExEEDaPvRmT3_T4_T5_mT6_P12ihipStream_tbENKUlT_T0_E_clISt17integral_constantIbLb1EESX_EEDaSS_ST_EUlSS_E_NS1_11comp_targetILNS1_3genE5ELNS1_11target_archE942ELNS1_3gpuE9ELNS1_3repE0EEENS1_30default_config_static_selectorELNS0_4arch9wavefront6targetE1EEEvT1_
	.globl	_ZN7rocprim17ROCPRIM_400000_NS6detail17trampoline_kernelINS0_14default_configENS1_20scan_config_selectorIxEEZZNS1_9scan_implILNS1_25lookback_scan_determinismE0ELb0ELb0ES3_N6thrust23THRUST_200600_302600_NS6detail15normal_iteratorINS9_10device_ptrIxEEEENS9_16discard_iteratorINS9_11use_defaultEEEx11max_functorIxExEEDaPvRmT3_T4_T5_mT6_P12ihipStream_tbENKUlT_T0_E_clISt17integral_constantIbLb1EESX_EEDaSS_ST_EUlSS_E_NS1_11comp_targetILNS1_3genE5ELNS1_11target_archE942ELNS1_3gpuE9ELNS1_3repE0EEENS1_30default_config_static_selectorELNS0_4arch9wavefront6targetE1EEEvT1_
	.p2align	8
	.type	_ZN7rocprim17ROCPRIM_400000_NS6detail17trampoline_kernelINS0_14default_configENS1_20scan_config_selectorIxEEZZNS1_9scan_implILNS1_25lookback_scan_determinismE0ELb0ELb0ES3_N6thrust23THRUST_200600_302600_NS6detail15normal_iteratorINS9_10device_ptrIxEEEENS9_16discard_iteratorINS9_11use_defaultEEEx11max_functorIxExEEDaPvRmT3_T4_T5_mT6_P12ihipStream_tbENKUlT_T0_E_clISt17integral_constantIbLb1EESX_EEDaSS_ST_EUlSS_E_NS1_11comp_targetILNS1_3genE5ELNS1_11target_archE942ELNS1_3gpuE9ELNS1_3repE0EEENS1_30default_config_static_selectorELNS0_4arch9wavefront6targetE1EEEvT1_,@function
_ZN7rocprim17ROCPRIM_400000_NS6detail17trampoline_kernelINS0_14default_configENS1_20scan_config_selectorIxEEZZNS1_9scan_implILNS1_25lookback_scan_determinismE0ELb0ELb0ES3_N6thrust23THRUST_200600_302600_NS6detail15normal_iteratorINS9_10device_ptrIxEEEENS9_16discard_iteratorINS9_11use_defaultEEEx11max_functorIxExEEDaPvRmT3_T4_T5_mT6_P12ihipStream_tbENKUlT_T0_E_clISt17integral_constantIbLb1EESX_EEDaSS_ST_EUlSS_E_NS1_11comp_targetILNS1_3genE5ELNS1_11target_archE942ELNS1_3gpuE9ELNS1_3repE0EEENS1_30default_config_static_selectorELNS0_4arch9wavefront6targetE1EEEvT1_: ; @_ZN7rocprim17ROCPRIM_400000_NS6detail17trampoline_kernelINS0_14default_configENS1_20scan_config_selectorIxEEZZNS1_9scan_implILNS1_25lookback_scan_determinismE0ELb0ELb0ES3_N6thrust23THRUST_200600_302600_NS6detail15normal_iteratorINS9_10device_ptrIxEEEENS9_16discard_iteratorINS9_11use_defaultEEEx11max_functorIxExEEDaPvRmT3_T4_T5_mT6_P12ihipStream_tbENKUlT_T0_E_clISt17integral_constantIbLb1EESX_EEDaSS_ST_EUlSS_E_NS1_11comp_targetILNS1_3genE5ELNS1_11target_archE942ELNS1_3gpuE9ELNS1_3repE0EEENS1_30default_config_static_selectorELNS0_4arch9wavefront6targetE1EEEvT1_
; %bb.0:
	.section	.rodata,"a",@progbits
	.p2align	6, 0x0
	.amdhsa_kernel _ZN7rocprim17ROCPRIM_400000_NS6detail17trampoline_kernelINS0_14default_configENS1_20scan_config_selectorIxEEZZNS1_9scan_implILNS1_25lookback_scan_determinismE0ELb0ELb0ES3_N6thrust23THRUST_200600_302600_NS6detail15normal_iteratorINS9_10device_ptrIxEEEENS9_16discard_iteratorINS9_11use_defaultEEEx11max_functorIxExEEDaPvRmT3_T4_T5_mT6_P12ihipStream_tbENKUlT_T0_E_clISt17integral_constantIbLb1EESX_EEDaSS_ST_EUlSS_E_NS1_11comp_targetILNS1_3genE5ELNS1_11target_archE942ELNS1_3gpuE9ELNS1_3repE0EEENS1_30default_config_static_selectorELNS0_4arch9wavefront6targetE1EEEvT1_
		.amdhsa_group_segment_fixed_size 0
		.amdhsa_private_segment_fixed_size 0
		.amdhsa_kernarg_size 112
		.amdhsa_user_sgpr_count 6
		.amdhsa_user_sgpr_private_segment_buffer 1
		.amdhsa_user_sgpr_dispatch_ptr 0
		.amdhsa_user_sgpr_queue_ptr 0
		.amdhsa_user_sgpr_kernarg_segment_ptr 1
		.amdhsa_user_sgpr_dispatch_id 0
		.amdhsa_user_sgpr_flat_scratch_init 0
		.amdhsa_user_sgpr_kernarg_preload_length 0
		.amdhsa_user_sgpr_kernarg_preload_offset 0
		.amdhsa_user_sgpr_private_segment_size 0
		.amdhsa_uses_dynamic_stack 0
		.amdhsa_system_sgpr_private_segment_wavefront_offset 0
		.amdhsa_system_sgpr_workgroup_id_x 1
		.amdhsa_system_sgpr_workgroup_id_y 0
		.amdhsa_system_sgpr_workgroup_id_z 0
		.amdhsa_system_sgpr_workgroup_info 0
		.amdhsa_system_vgpr_workitem_id 0
		.amdhsa_next_free_vgpr 1
		.amdhsa_next_free_sgpr 0
		.amdhsa_accum_offset 4
		.amdhsa_reserve_vcc 0
		.amdhsa_reserve_flat_scratch 0
		.amdhsa_float_round_mode_32 0
		.amdhsa_float_round_mode_16_64 0
		.amdhsa_float_denorm_mode_32 3
		.amdhsa_float_denorm_mode_16_64 3
		.amdhsa_dx10_clamp 1
		.amdhsa_ieee_mode 1
		.amdhsa_fp16_overflow 0
		.amdhsa_tg_split 0
		.amdhsa_exception_fp_ieee_invalid_op 0
		.amdhsa_exception_fp_denorm_src 0
		.amdhsa_exception_fp_ieee_div_zero 0
		.amdhsa_exception_fp_ieee_overflow 0
		.amdhsa_exception_fp_ieee_underflow 0
		.amdhsa_exception_fp_ieee_inexact 0
		.amdhsa_exception_int_div_zero 0
	.end_amdhsa_kernel
	.section	.text._ZN7rocprim17ROCPRIM_400000_NS6detail17trampoline_kernelINS0_14default_configENS1_20scan_config_selectorIxEEZZNS1_9scan_implILNS1_25lookback_scan_determinismE0ELb0ELb0ES3_N6thrust23THRUST_200600_302600_NS6detail15normal_iteratorINS9_10device_ptrIxEEEENS9_16discard_iteratorINS9_11use_defaultEEEx11max_functorIxExEEDaPvRmT3_T4_T5_mT6_P12ihipStream_tbENKUlT_T0_E_clISt17integral_constantIbLb1EESX_EEDaSS_ST_EUlSS_E_NS1_11comp_targetILNS1_3genE5ELNS1_11target_archE942ELNS1_3gpuE9ELNS1_3repE0EEENS1_30default_config_static_selectorELNS0_4arch9wavefront6targetE1EEEvT1_,"axG",@progbits,_ZN7rocprim17ROCPRIM_400000_NS6detail17trampoline_kernelINS0_14default_configENS1_20scan_config_selectorIxEEZZNS1_9scan_implILNS1_25lookback_scan_determinismE0ELb0ELb0ES3_N6thrust23THRUST_200600_302600_NS6detail15normal_iteratorINS9_10device_ptrIxEEEENS9_16discard_iteratorINS9_11use_defaultEEEx11max_functorIxExEEDaPvRmT3_T4_T5_mT6_P12ihipStream_tbENKUlT_T0_E_clISt17integral_constantIbLb1EESX_EEDaSS_ST_EUlSS_E_NS1_11comp_targetILNS1_3genE5ELNS1_11target_archE942ELNS1_3gpuE9ELNS1_3repE0EEENS1_30default_config_static_selectorELNS0_4arch9wavefront6targetE1EEEvT1_,comdat
.Lfunc_end3729:
	.size	_ZN7rocprim17ROCPRIM_400000_NS6detail17trampoline_kernelINS0_14default_configENS1_20scan_config_selectorIxEEZZNS1_9scan_implILNS1_25lookback_scan_determinismE0ELb0ELb0ES3_N6thrust23THRUST_200600_302600_NS6detail15normal_iteratorINS9_10device_ptrIxEEEENS9_16discard_iteratorINS9_11use_defaultEEEx11max_functorIxExEEDaPvRmT3_T4_T5_mT6_P12ihipStream_tbENKUlT_T0_E_clISt17integral_constantIbLb1EESX_EEDaSS_ST_EUlSS_E_NS1_11comp_targetILNS1_3genE5ELNS1_11target_archE942ELNS1_3gpuE9ELNS1_3repE0EEENS1_30default_config_static_selectorELNS0_4arch9wavefront6targetE1EEEvT1_, .Lfunc_end3729-_ZN7rocprim17ROCPRIM_400000_NS6detail17trampoline_kernelINS0_14default_configENS1_20scan_config_selectorIxEEZZNS1_9scan_implILNS1_25lookback_scan_determinismE0ELb0ELb0ES3_N6thrust23THRUST_200600_302600_NS6detail15normal_iteratorINS9_10device_ptrIxEEEENS9_16discard_iteratorINS9_11use_defaultEEEx11max_functorIxExEEDaPvRmT3_T4_T5_mT6_P12ihipStream_tbENKUlT_T0_E_clISt17integral_constantIbLb1EESX_EEDaSS_ST_EUlSS_E_NS1_11comp_targetILNS1_3genE5ELNS1_11target_archE942ELNS1_3gpuE9ELNS1_3repE0EEENS1_30default_config_static_selectorELNS0_4arch9wavefront6targetE1EEEvT1_
                                        ; -- End function
	.section	.AMDGPU.csdata,"",@progbits
; Kernel info:
; codeLenInByte = 0
; NumSgprs: 4
; NumVgprs: 0
; NumAgprs: 0
; TotalNumVgprs: 0
; ScratchSize: 0
; MemoryBound: 0
; FloatMode: 240
; IeeeMode: 1
; LDSByteSize: 0 bytes/workgroup (compile time only)
; SGPRBlocks: 0
; VGPRBlocks: 0
; NumSGPRsForWavesPerEU: 4
; NumVGPRsForWavesPerEU: 1
; AccumOffset: 4
; Occupancy: 8
; WaveLimiterHint : 0
; COMPUTE_PGM_RSRC2:SCRATCH_EN: 0
; COMPUTE_PGM_RSRC2:USER_SGPR: 6
; COMPUTE_PGM_RSRC2:TRAP_HANDLER: 0
; COMPUTE_PGM_RSRC2:TGID_X_EN: 1
; COMPUTE_PGM_RSRC2:TGID_Y_EN: 0
; COMPUTE_PGM_RSRC2:TGID_Z_EN: 0
; COMPUTE_PGM_RSRC2:TIDIG_COMP_CNT: 0
; COMPUTE_PGM_RSRC3_GFX90A:ACCUM_OFFSET: 0
; COMPUTE_PGM_RSRC3_GFX90A:TG_SPLIT: 0
	.section	.text._ZN7rocprim17ROCPRIM_400000_NS6detail17trampoline_kernelINS0_14default_configENS1_20scan_config_selectorIxEEZZNS1_9scan_implILNS1_25lookback_scan_determinismE0ELb0ELb0ES3_N6thrust23THRUST_200600_302600_NS6detail15normal_iteratorINS9_10device_ptrIxEEEENS9_16discard_iteratorINS9_11use_defaultEEEx11max_functorIxExEEDaPvRmT3_T4_T5_mT6_P12ihipStream_tbENKUlT_T0_E_clISt17integral_constantIbLb1EESX_EEDaSS_ST_EUlSS_E_NS1_11comp_targetILNS1_3genE4ELNS1_11target_archE910ELNS1_3gpuE8ELNS1_3repE0EEENS1_30default_config_static_selectorELNS0_4arch9wavefront6targetE1EEEvT1_,"axG",@progbits,_ZN7rocprim17ROCPRIM_400000_NS6detail17trampoline_kernelINS0_14default_configENS1_20scan_config_selectorIxEEZZNS1_9scan_implILNS1_25lookback_scan_determinismE0ELb0ELb0ES3_N6thrust23THRUST_200600_302600_NS6detail15normal_iteratorINS9_10device_ptrIxEEEENS9_16discard_iteratorINS9_11use_defaultEEEx11max_functorIxExEEDaPvRmT3_T4_T5_mT6_P12ihipStream_tbENKUlT_T0_E_clISt17integral_constantIbLb1EESX_EEDaSS_ST_EUlSS_E_NS1_11comp_targetILNS1_3genE4ELNS1_11target_archE910ELNS1_3gpuE8ELNS1_3repE0EEENS1_30default_config_static_selectorELNS0_4arch9wavefront6targetE1EEEvT1_,comdat
	.protected	_ZN7rocprim17ROCPRIM_400000_NS6detail17trampoline_kernelINS0_14default_configENS1_20scan_config_selectorIxEEZZNS1_9scan_implILNS1_25lookback_scan_determinismE0ELb0ELb0ES3_N6thrust23THRUST_200600_302600_NS6detail15normal_iteratorINS9_10device_ptrIxEEEENS9_16discard_iteratorINS9_11use_defaultEEEx11max_functorIxExEEDaPvRmT3_T4_T5_mT6_P12ihipStream_tbENKUlT_T0_E_clISt17integral_constantIbLb1EESX_EEDaSS_ST_EUlSS_E_NS1_11comp_targetILNS1_3genE4ELNS1_11target_archE910ELNS1_3gpuE8ELNS1_3repE0EEENS1_30default_config_static_selectorELNS0_4arch9wavefront6targetE1EEEvT1_ ; -- Begin function _ZN7rocprim17ROCPRIM_400000_NS6detail17trampoline_kernelINS0_14default_configENS1_20scan_config_selectorIxEEZZNS1_9scan_implILNS1_25lookback_scan_determinismE0ELb0ELb0ES3_N6thrust23THRUST_200600_302600_NS6detail15normal_iteratorINS9_10device_ptrIxEEEENS9_16discard_iteratorINS9_11use_defaultEEEx11max_functorIxExEEDaPvRmT3_T4_T5_mT6_P12ihipStream_tbENKUlT_T0_E_clISt17integral_constantIbLb1EESX_EEDaSS_ST_EUlSS_E_NS1_11comp_targetILNS1_3genE4ELNS1_11target_archE910ELNS1_3gpuE8ELNS1_3repE0EEENS1_30default_config_static_selectorELNS0_4arch9wavefront6targetE1EEEvT1_
	.globl	_ZN7rocprim17ROCPRIM_400000_NS6detail17trampoline_kernelINS0_14default_configENS1_20scan_config_selectorIxEEZZNS1_9scan_implILNS1_25lookback_scan_determinismE0ELb0ELb0ES3_N6thrust23THRUST_200600_302600_NS6detail15normal_iteratorINS9_10device_ptrIxEEEENS9_16discard_iteratorINS9_11use_defaultEEEx11max_functorIxExEEDaPvRmT3_T4_T5_mT6_P12ihipStream_tbENKUlT_T0_E_clISt17integral_constantIbLb1EESX_EEDaSS_ST_EUlSS_E_NS1_11comp_targetILNS1_3genE4ELNS1_11target_archE910ELNS1_3gpuE8ELNS1_3repE0EEENS1_30default_config_static_selectorELNS0_4arch9wavefront6targetE1EEEvT1_
	.p2align	8
	.type	_ZN7rocprim17ROCPRIM_400000_NS6detail17trampoline_kernelINS0_14default_configENS1_20scan_config_selectorIxEEZZNS1_9scan_implILNS1_25lookback_scan_determinismE0ELb0ELb0ES3_N6thrust23THRUST_200600_302600_NS6detail15normal_iteratorINS9_10device_ptrIxEEEENS9_16discard_iteratorINS9_11use_defaultEEEx11max_functorIxExEEDaPvRmT3_T4_T5_mT6_P12ihipStream_tbENKUlT_T0_E_clISt17integral_constantIbLb1EESX_EEDaSS_ST_EUlSS_E_NS1_11comp_targetILNS1_3genE4ELNS1_11target_archE910ELNS1_3gpuE8ELNS1_3repE0EEENS1_30default_config_static_selectorELNS0_4arch9wavefront6targetE1EEEvT1_,@function
_ZN7rocprim17ROCPRIM_400000_NS6detail17trampoline_kernelINS0_14default_configENS1_20scan_config_selectorIxEEZZNS1_9scan_implILNS1_25lookback_scan_determinismE0ELb0ELb0ES3_N6thrust23THRUST_200600_302600_NS6detail15normal_iteratorINS9_10device_ptrIxEEEENS9_16discard_iteratorINS9_11use_defaultEEEx11max_functorIxExEEDaPvRmT3_T4_T5_mT6_P12ihipStream_tbENKUlT_T0_E_clISt17integral_constantIbLb1EESX_EEDaSS_ST_EUlSS_E_NS1_11comp_targetILNS1_3genE4ELNS1_11target_archE910ELNS1_3gpuE8ELNS1_3repE0EEENS1_30default_config_static_selectorELNS0_4arch9wavefront6targetE1EEEvT1_: ; @_ZN7rocprim17ROCPRIM_400000_NS6detail17trampoline_kernelINS0_14default_configENS1_20scan_config_selectorIxEEZZNS1_9scan_implILNS1_25lookback_scan_determinismE0ELb0ELb0ES3_N6thrust23THRUST_200600_302600_NS6detail15normal_iteratorINS9_10device_ptrIxEEEENS9_16discard_iteratorINS9_11use_defaultEEEx11max_functorIxExEEDaPvRmT3_T4_T5_mT6_P12ihipStream_tbENKUlT_T0_E_clISt17integral_constantIbLb1EESX_EEDaSS_ST_EUlSS_E_NS1_11comp_targetILNS1_3genE4ELNS1_11target_archE910ELNS1_3gpuE8ELNS1_3repE0EEENS1_30default_config_static_selectorELNS0_4arch9wavefront6targetE1EEEvT1_
; %bb.0:
	s_load_dwordx2 s[6:7], s[4:5], 0x20
	s_load_dwordx2 s[14:15], s[4:5], 0x38
	v_cmp_ne_u32_e64 s[0:1], 0, v0
	v_cmp_eq_u32_e64 s[2:3], 0, v0
	s_and_saveexec_b64 s[8:9], s[2:3]
	s_cbranch_execz .LBB3730_4
; %bb.1:
	s_mov_b64 s[12:13], exec
	v_mbcnt_lo_u32_b32 v1, s12, 0
	v_mbcnt_hi_u32_b32 v1, s13, v1
	v_cmp_eq_u32_e32 vcc, 0, v1
                                        ; implicit-def: $vgpr2
	s_and_saveexec_b64 s[10:11], vcc
	s_cbranch_execz .LBB3730_3
; %bb.2:
	s_load_dwordx2 s[16:17], s[4:5], 0x68
	s_bcnt1_i32_b64 s12, s[12:13]
	v_mov_b32_e32 v2, 0
	v_mov_b32_e32 v3, s12
	s_waitcnt lgkmcnt(0)
	global_atomic_add v2, v2, v3, s[16:17] glc
.LBB3730_3:
	s_or_b64 exec, exec, s[10:11]
	s_waitcnt vmcnt(0)
	v_readfirstlane_b32 s10, v2
	v_add_u32_e32 v1, s10, v1
	v_mov_b32_e32 v2, 0
	ds_write_b32 v2, v1
.LBB3730_4:
	s_or_b64 exec, exec, s[8:9]
	v_mov_b32_e32 v3, 0
	s_load_dwordx4 s[8:11], s[4:5], 0x0
	s_load_dword s12, s[4:5], 0x40
	s_load_dwordx8 s[16:23], s[4:5], 0x48
	s_waitcnt lgkmcnt(0)
	s_barrier
	ds_read_b32 v1, v3
	s_lshl_b64 s[4:5], s[10:11], 3
	s_add_u32 s4, s8, s4
	s_movk_i32 s8, 0x380
	s_addc_u32 s5, s9, s5
	s_waitcnt lgkmcnt(0)
	v_mul_lo_u32 v2, v1, s8
	s_add_i32 s8, s12, -1
	s_mul_i32 s9, s8, 0x380
	s_sub_u32 s28, s6, s9
	v_readfirstlane_b32 s30, v1
	s_subb_u32 s29, s7, 0
	v_lshlrev_b64 v[2:3], 3, v[2:3]
	s_cmp_lg_u32 s30, s8
	v_mov_b32_e32 v1, s5
	v_add_co_u32_e32 v20, vcc, s4, v2
	s_cselect_b64 s[24:25], -1, 0
	v_addc_co_u32_e32 v21, vcc, v1, v3, vcc
	s_mov_b64 s[4:5], -1
	s_and_b64 vcc, exec, s[24:25]
	v_lshlrev_b32_e32 v1, 3, v0
	s_barrier
	s_cbranch_vccz .LBB3730_6
; %bb.5:
	v_add_co_u32_e32 v2, vcc, v20, v1
	v_addc_co_u32_e32 v3, vcc, 0, v21, vcc
	flat_load_dwordx2 v[4:5], v[2:3]
	flat_load_dwordx2 v[6:7], v[2:3] offset:1024
	flat_load_dwordx2 v[8:9], v[2:3] offset:2048
	;; [unrolled: 1-line block ×3, first 2 shown]
	v_add_co_u32_e32 v2, vcc, 0x1000, v2
	v_addc_co_u32_e32 v3, vcc, 0, v3, vcc
	flat_load_dwordx2 v[12:13], v[2:3]
	flat_load_dwordx2 v[14:15], v[2:3] offset:1024
	flat_load_dwordx2 v[16:17], v[2:3] offset:2048
	s_mov_b64 s[4:5], 0
	s_waitcnt vmcnt(0) lgkmcnt(0)
	ds_write2st64_b64 v1, v[4:5], v[6:7] offset1:2
	ds_write2st64_b64 v1, v[8:9], v[10:11] offset0:4 offset1:6
	ds_write2st64_b64 v1, v[12:13], v[14:15] offset0:8 offset1:10
	ds_write_b64 v1, v[16:17] offset:6144
	s_waitcnt lgkmcnt(0)
	s_barrier
.LBB3730_6:
	s_andn2_b64 vcc, exec, s[4:5]
	s_cbranch_vccnz .LBB3730_22
; %bb.7:
	flat_load_dwordx2 v[2:3], v[20:21]
	v_cmp_gt_u32_e32 vcc, s28, v0
	s_waitcnt vmcnt(0) lgkmcnt(0)
	v_mov_b32_e32 v4, v2
	v_mov_b32_e32 v5, v3
	;; [unrolled: 1-line block ×10, first 2 shown]
	v_pk_mov_b32 v[18:19], v[14:15], v[14:15] op_sel:[0,1]
	v_pk_mov_b32 v[16:17], v[12:13], v[12:13] op_sel:[0,1]
	;; [unrolled: 1-line block ×8, first 2 shown]
	s_and_saveexec_b64 s[4:5], vcc
	s_cbranch_execz .LBB3730_9
; %bb.8:
	v_add_co_u32_e32 v4, vcc, v20, v1
	v_addc_co_u32_e32 v5, vcc, 0, v21, vcc
	flat_load_dwordx2 v[22:23], v[4:5]
	v_mov_b32_e32 v4, v2
	v_mov_b32_e32 v5, v3
	;; [unrolled: 1-line block ×10, first 2 shown]
	v_pk_mov_b32 v[18:19], v[14:15], v[14:15] op_sel:[0,1]
	v_pk_mov_b32 v[16:17], v[12:13], v[12:13] op_sel:[0,1]
	;; [unrolled: 1-line block ×8, first 2 shown]
	s_waitcnt vmcnt(0) lgkmcnt(0)
	v_pk_mov_b32 v[2:3], v[22:23], v[22:23] op_sel:[0,1]
.LBB3730_9:
	s_or_b64 exec, exec, s[4:5]
	v_or_b32_e32 v4, 0x80, v0
	v_cmp_gt_u32_e32 vcc, s28, v4
	s_and_saveexec_b64 s[4:5], vcc
	s_cbranch_execz .LBB3730_11
; %bb.10:
	v_add_co_u32_e32 v4, vcc, v20, v1
	v_addc_co_u32_e32 v5, vcc, 0, v21, vcc
	flat_load_dwordx2 v[6:7], v[4:5] offset:1024
.LBB3730_11:
	s_or_b64 exec, exec, s[4:5]
	v_or_b32_e32 v4, 0x100, v0
	v_cmp_gt_u32_e32 vcc, s28, v4
	s_and_saveexec_b64 s[4:5], vcc
	s_cbranch_execz .LBB3730_13
; %bb.12:
	v_add_co_u32_e32 v4, vcc, v20, v1
	v_addc_co_u32_e32 v5, vcc, 0, v21, vcc
	flat_load_dwordx2 v[8:9], v[4:5] offset:2048
.LBB3730_13:
	;; [unrolled: 10-line block ×3, first 2 shown]
	s_or_b64 exec, exec, s[4:5]
	v_or_b32_e32 v4, 0x200, v0
	v_cmp_gt_u32_e32 vcc, s28, v4
	s_and_saveexec_b64 s[4:5], vcc
	s_cbranch_execz .LBB3730_17
; %bb.16:
	v_lshlrev_b32_e32 v4, 3, v4
	v_add_co_u32_e32 v4, vcc, v20, v4
	v_addc_co_u32_e32 v5, vcc, 0, v21, vcc
	flat_load_dwordx2 v[12:13], v[4:5]
.LBB3730_17:
	s_or_b64 exec, exec, s[4:5]
	v_or_b32_e32 v4, 0x280, v0
	v_cmp_gt_u32_e32 vcc, s28, v4
	s_and_saveexec_b64 s[4:5], vcc
	s_cbranch_execz .LBB3730_19
; %bb.18:
	v_lshlrev_b32_e32 v4, 3, v4
	v_add_co_u32_e32 v4, vcc, v20, v4
	v_addc_co_u32_e32 v5, vcc, 0, v21, vcc
	flat_load_dwordx2 v[14:15], v[4:5]
.LBB3730_19:
	;; [unrolled: 11-line block ×3, first 2 shown]
	s_or_b64 exec, exec, s[4:5]
	s_waitcnt vmcnt(0) lgkmcnt(0)
	ds_write2st64_b64 v1, v[2:3], v[6:7] offset1:2
	ds_write2st64_b64 v1, v[8:9], v[10:11] offset0:4 offset1:6
	ds_write2st64_b64 v1, v[12:13], v[14:15] offset0:8 offset1:10
	ds_write_b64 v1, v[16:17] offset:6144
	s_waitcnt lgkmcnt(0)
	s_barrier
.LBB3730_22:
	v_mul_u32_u24_e32 v36, 7, v0
	v_lshlrev_b32_e32 v37, 3, v36
	ds_read2_b64 v[2:5], v37 offset1:1
	ds_read2_b64 v[10:13], v37 offset0:2 offset1:3
	ds_read2_b64 v[6:9], v37 offset0:4 offset1:5
	ds_read_b64 v[28:29], v37 offset:48
	s_cmp_lg_u32 s30, 0
	v_lshrrev_b32_e32 v1, 5, v0
	v_cmp_gt_u32_e32 vcc, 64, v0
	s_waitcnt lgkmcnt(0)
	s_barrier
	s_cbranch_scc0 .LBB3730_53
; %bb.23:
	v_cmp_gt_i64_e64 s[4:5], v[2:3], v[4:5]
	v_cndmask_b32_e64 v15, v5, v3, s[4:5]
	v_cndmask_b32_e64 v14, v4, v2, s[4:5]
	v_cmp_gt_i64_e64 s[4:5], v[14:15], v[10:11]
	v_cndmask_b32_e64 v15, v11, v15, s[4:5]
	v_cndmask_b32_e64 v14, v10, v14, s[4:5]
	v_cmp_gt_i64_e64 s[4:5], v[14:15], v[12:13]
	v_cndmask_b32_e64 v15, v13, v15, s[4:5]
	v_cndmask_b32_e64 v14, v12, v14, s[4:5]
	v_cmp_gt_i64_e64 s[4:5], v[14:15], v[6:7]
	v_cndmask_b32_e64 v15, v7, v15, s[4:5]
	v_cndmask_b32_e64 v14, v6, v14, s[4:5]
	v_cmp_gt_i64_e64 s[4:5], v[14:15], v[8:9]
	v_cndmask_b32_e64 v15, v9, v15, s[4:5]
	v_cndmask_b32_e64 v14, v8, v14, s[4:5]
	v_cmp_gt_i64_e64 s[4:5], v[14:15], v[28:29]
	v_cndmask_b32_e64 v23, v29, v15, s[4:5]
	v_cndmask_b32_e64 v22, v28, v14, s[4:5]
	v_add_lshl_u32 v14, v1, v0, 3
	ds_write_b64 v14, v[22:23]
	s_waitcnt lgkmcnt(0)
	s_barrier
	s_and_saveexec_b64 s[8:9], vcc
	s_cbranch_execz .LBB3730_27
; %bb.24:
	v_lshlrev_b32_e32 v14, 1, v0
	v_lshrrev_b32_e32 v15, 4, v0
	v_add_lshl_u32 v24, v15, v14, 3
	ds_read2_b64 v[14:17], v24 offset1:1
	v_mbcnt_lo_u32_b32 v18, -1, 0
	v_mbcnt_hi_u32_b32 v25, -1, v18
	v_and_b32_e32 v26, 15, v25
	v_and_b32_e32 v30, 16, v25
	s_waitcnt lgkmcnt(0)
	v_cmp_gt_i64_e64 s[4:5], v[14:15], v[16:17]
	v_cndmask_b32_e64 v17, v17, v15, s[4:5]
	v_cndmask_b32_e64 v16, v16, v14, s[4:5]
	v_cmp_ne_u32_e64 s[6:7], 0, v25
	v_mov_b32_dpp v19, v17 row_shr:1 row_mask:0xf bank_mask:0xf
	v_mov_b32_dpp v18, v16 row_shr:1 row_mask:0xf bank_mask:0xf
	v_cmp_gt_i64_e64 s[4:5], v[18:19], v[16:17]
	v_cndmask_b32_e64 v18, v16, v18, s[4:5]
	v_cndmask_b32_e64 v19, v17, v19, s[4:5]
	v_cmp_eq_u32_e64 s[4:5], 0, v26
	v_cndmask_b32_e64 v19, v19, v17, s[4:5]
	v_cndmask_b32_e64 v18, v18, v16, s[4:5]
	s_nop 0
	v_mov_b32_dpp v21, v19 row_shr:2 row_mask:0xf bank_mask:0xf
	v_mov_b32_dpp v20, v18 row_shr:2 row_mask:0xf bank_mask:0xf
	v_cmp_gt_i64_e64 s[4:5], v[20:21], v[18:19]
	v_cndmask_b32_e64 v20, v18, v20, s[4:5]
	v_cndmask_b32_e64 v21, v19, v21, s[4:5]
	v_cmp_lt_u32_e64 s[4:5], 1, v26
	v_cndmask_b32_e64 v19, v19, v21, s[4:5]
	v_cndmask_b32_e64 v18, v18, v20, s[4:5]
	s_nop 0
	v_mov_b32_dpp v21, v19 row_shr:4 row_mask:0xf bank_mask:0xf
	v_mov_b32_dpp v20, v18 row_shr:4 row_mask:0xf bank_mask:0xf
	v_cmp_gt_i64_e64 s[4:5], v[20:21], v[18:19]
	v_cndmask_b32_e64 v20, v18, v20, s[4:5]
	v_cndmask_b32_e64 v21, v19, v21, s[4:5]
	v_cmp_lt_u32_e64 s[4:5], 3, v26
	;; [unrolled: 9-line block ×3, first 2 shown]
	v_cndmask_b32_e64 v19, v19, v21, s[4:5]
	v_cndmask_b32_e64 v18, v18, v20, s[4:5]
	s_nop 0
	v_mov_b32_dpp v21, v19 row_bcast:15 row_mask:0xf bank_mask:0xf
	v_mov_b32_dpp v20, v18 row_bcast:15 row_mask:0xf bank_mask:0xf
	v_cmp_gt_i64_e64 s[4:5], v[20:21], v[18:19]
	v_cndmask_b32_e64 v26, v19, v21, s[4:5]
	v_cndmask_b32_e64 v27, v18, v20, s[4:5]
	v_cmp_eq_u32_e64 s[4:5], 0, v30
	v_cndmask_b32_e64 v21, v26, v19, s[4:5]
	v_cndmask_b32_e64 v20, v27, v18, s[4:5]
	s_nop 0
	v_mov_b32_dpp v21, v21 row_bcast:31 row_mask:0xf bank_mask:0xf
	v_mov_b32_dpp v20, v20 row_bcast:31 row_mask:0xf bank_mask:0xf
	s_and_saveexec_b64 s[10:11], s[6:7]
; %bb.25:
	v_cndmask_b32_e64 v17, v26, v19, s[4:5]
	v_cndmask_b32_e64 v16, v27, v18, s[4:5]
	v_cmp_lt_u32_e64 s[6:7], 31, v25
	v_cmp_gt_i64_e64 s[4:5], v[20:21], v[16:17]
	s_and_b64 s[4:5], s[6:7], s[4:5]
	v_cndmask_b32_e64 v16, v16, v20, s[4:5]
	v_cndmask_b32_e64 v17, v17, v21, s[4:5]
; %bb.26:
	s_or_b64 exec, exec, s[10:11]
	v_add_u32_e32 v18, -1, v25
	v_and_b32_e32 v19, 64, v25
	v_cmp_lt_i32_e64 s[4:5], v18, v19
	v_cndmask_b32_e64 v18, v18, v25, s[4:5]
	v_lshlrev_b32_e32 v18, 2, v18
	ds_bpermute_b32 v16, v18, v16
	ds_bpermute_b32 v17, v18, v17
	; wave barrier
	s_waitcnt lgkmcnt(0)
	v_cmp_gt_i64_e64 s[4:5], v[16:17], v[14:15]
	v_cndmask_b32_e64 v14, v14, v16, s[4:5]
	v_cndmask_b32_e64 v15, v15, v17, s[4:5]
	;; [unrolled: 1-line block ×4, first 2 shown]
	ds_write_b64 v24, v[14:15]
	; wave barrier
	ds_read_b64 v[16:17], v24 offset:8
	s_waitcnt lgkmcnt(0)
	v_cmp_gt_i64_e64 s[4:5], v[14:15], v[16:17]
	v_cndmask_b32_e64 v15, v17, v15, s[4:5]
	v_cndmask_b32_e64 v14, v16, v14, s[4:5]
	ds_write_b64 v24, v[14:15] offset:8
.LBB3730_27:
	s_or_b64 exec, exec, s[8:9]
	s_waitcnt lgkmcnt(0)
	s_barrier
	s_and_saveexec_b64 s[4:5], s[0:1]
	s_cbranch_execz .LBB3730_29
; %bb.28:
	v_add_u32_e32 v14, -1, v0
	v_lshrrev_b32_e32 v15, 5, v14
	v_add_lshl_u32 v14, v15, v14, 3
	ds_read_b64 v[22:23], v14
.LBB3730_29:
	s_or_b64 exec, exec, s[4:5]
	s_and_saveexec_b64 s[26:27], vcc
	s_cbranch_execz .LBB3730_52
; %bb.30:
	v_mov_b32_e32 v17, 0
	ds_read_b64 v[14:15], v17 offset:1040
	v_mbcnt_lo_u32_b32 v16, -1, 0
	v_mbcnt_hi_u32_b32 v25, -1, v16
	s_mov_b32 s9, 0
	v_cmp_eq_u32_e64 s[4:5], 0, v25
	s_and_saveexec_b64 s[6:7], s[4:5]
	s_cbranch_execz .LBB3730_32
; %bb.31:
	s_add_i32 s8, s30, 64
	s_lshl_b64 s[8:9], s[8:9], 4
	s_add_u32 s8, s14, s8
	s_addc_u32 s9, s15, s9
	v_mov_b32_e32 v16, 1
	v_pk_mov_b32 v[18:19], s[8:9], s[8:9] op_sel:[0,1]
	s_waitcnt lgkmcnt(0)
	;;#ASMSTART
	global_store_dwordx4 v[18:19], v[14:17] off	
s_waitcnt vmcnt(0)
	;;#ASMEND
.LBB3730_32:
	s_or_b64 exec, exec, s[6:7]
	v_xad_u32 v24, v25, -1, s30
	v_add_u32_e32 v16, 64, v24
	v_lshlrev_b64 v[18:19], 4, v[16:17]
	v_mov_b32_e32 v16, s15
	v_add_co_u32_e32 v26, vcc, s14, v18
	v_addc_co_u32_e32 v27, vcc, v16, v19, vcc
	;;#ASMSTART
	global_load_dwordx4 v[18:21], v[26:27] off glc	
s_waitcnt vmcnt(0)
	;;#ASMEND
	v_and_b32_e32 v16, 0xff, v19
	v_and_b32_e32 v21, 0xff00, v19
	v_or3_b32 v16, 0, v16, v21
	v_or3_b32 v18, v18, 0, 0
	v_and_b32_e32 v21, 0xff000000, v19
	v_and_b32_e32 v19, 0xff0000, v19
	v_or3_b32 v19, v16, v19, v21
	v_or3_b32 v18, v18, 0, 0
	v_cmp_eq_u16_sdwa s[8:9], v20, v17 src0_sel:BYTE_0 src1_sel:DWORD
	s_and_saveexec_b64 s[6:7], s[8:9]
	s_cbranch_execz .LBB3730_38
; %bb.33:
	s_mov_b32 s10, 1
	s_mov_b64 s[8:9], 0
	v_mov_b32_e32 v16, 0
.LBB3730_34:                            ; =>This Loop Header: Depth=1
                                        ;     Child Loop BB3730_35 Depth 2
	s_max_u32 s11, s10, 1
.LBB3730_35:                            ;   Parent Loop BB3730_34 Depth=1
                                        ; =>  This Inner Loop Header: Depth=2
	s_add_i32 s11, s11, -1
	s_cmp_eq_u32 s11, 0
	s_sleep 1
	s_cbranch_scc0 .LBB3730_35
; %bb.36:                               ;   in Loop: Header=BB3730_34 Depth=1
	s_cmp_lt_u32 s10, 32
	s_cselect_b64 s[12:13], -1, 0
	s_cmp_lg_u64 s[12:13], 0
	s_addc_u32 s10, s10, 0
	;;#ASMSTART
	global_load_dwordx4 v[18:21], v[26:27] off glc	
s_waitcnt vmcnt(0)
	;;#ASMEND
	v_cmp_ne_u16_sdwa s[12:13], v20, v16 src0_sel:BYTE_0 src1_sel:DWORD
	s_or_b64 s[8:9], s[12:13], s[8:9]
	s_andn2_b64 exec, exec, s[8:9]
	s_cbranch_execnz .LBB3730_34
; %bb.37:
	s_or_b64 exec, exec, s[8:9]
.LBB3730_38:
	s_or_b64 exec, exec, s[6:7]
	v_and_b32_e32 v33, 63, v25
	v_cmp_ne_u32_e32 vcc, 63, v33
	v_mov_b32_e32 v32, 2
	v_addc_co_u32_e32 v26, vcc, 0, v25, vcc
	v_cmp_eq_u16_sdwa s[6:7], v20, v32 src0_sel:BYTE_0 src1_sel:DWORD
	v_lshlrev_b64 v[16:17], v25, -1
	v_lshlrev_b32_e32 v34, 2, v26
	v_and_b32_e32 v21, s7, v17
	ds_bpermute_b32 v26, v34, v18
	ds_bpermute_b32 v27, v34, v19
	v_or_b32_e32 v21, 0x80000000, v21
	v_and_b32_e32 v30, s6, v16
	v_ffbl_b32_e32 v21, v21
	v_add_u32_e32 v21, 32, v21
	v_ffbl_b32_e32 v30, v30
	v_min_u32_e32 v21, v30, v21
	s_waitcnt lgkmcnt(0)
	v_cmp_gt_i64_e64 s[6:7], v[26:27], v[18:19]
	v_cmp_lt_u32_e32 vcc, v33, v21
	v_cndmask_b32_e64 v26, v18, v26, s[6:7]
	s_and_b64 s[6:7], vcc, s[6:7]
	v_cndmask_b32_e64 v27, v19, v27, s[6:7]
	v_cmp_gt_u32_e64 s[6:7], 62, v33
	v_cndmask_b32_e64 v30, 0, 1, s[6:7]
	v_lshlrev_b32_e32 v30, 1, v30
	v_cndmask_b32_e32 v26, v18, v26, vcc
	v_add_lshl_u32 v35, v30, v25, 2
	ds_bpermute_b32 v30, v35, v26
	ds_bpermute_b32 v31, v35, v27
	v_add_u32_e32 v38, 2, v33
	v_cmp_gt_u32_e64 s[8:9], 56, v33
	v_add_u32_e32 v40, 4, v33
	v_cndmask_b32_e64 v41, 0, 1, s[8:9]
	s_waitcnt lgkmcnt(0)
	v_cmp_gt_i64_e64 s[6:7], v[30:31], v[26:27]
	v_cndmask_b32_e64 v31, v27, v31, s[6:7]
	v_cndmask_b32_e64 v30, v26, v30, s[6:7]
	v_cmp_gt_u32_e64 s[6:7], v38, v21
	v_cndmask_b32_e64 v26, v30, v26, s[6:7]
	v_cndmask_b32_e64 v27, v31, v27, s[6:7]
	v_cmp_gt_u32_e64 s[6:7], 60, v33
	v_cndmask_b32_e64 v30, 0, 1, s[6:7]
	v_lshlrev_b32_e32 v30, 2, v30
	v_add_lshl_u32 v39, v30, v25, 2
	ds_bpermute_b32 v30, v39, v26
	ds_bpermute_b32 v31, v39, v27
	v_lshlrev_b32_e32 v41, 3, v41
	v_add_lshl_u32 v41, v41, v25, 2
	v_cmp_gt_u32_e64 s[10:11], 48, v33
	v_add_u32_e32 v42, 8, v33
	s_waitcnt lgkmcnt(0)
	v_cmp_gt_i64_e64 s[6:7], v[30:31], v[26:27]
	v_cndmask_b32_e64 v50, v27, v31, s[6:7]
	v_cndmask_b32_e64 v51, v26, v30, s[6:7]
	v_cmp_gt_u32_e64 s[6:7], v40, v21
	v_cndmask_b32_e64 v30, v51, v26, s[6:7]
	v_cndmask_b32_e64 v31, v50, v27, s[6:7]
	ds_bpermute_b32 v44, v41, v30
	ds_bpermute_b32 v45, v41, v31
	v_cndmask_b32_e64 v43, 0, 1, s[10:11]
	v_lshlrev_b32_e32 v43, 4, v43
	v_add_lshl_u32 v43, v43, v25, 2
	v_cmp_gt_u32_e64 s[12:13], 32, v33
	s_waitcnt lgkmcnt(0)
	v_cmp_gt_i64_e64 s[8:9], v[44:45], v[30:31]
	v_cndmask_b32_e64 v52, v31, v45, s[8:9]
	v_cndmask_b32_e64 v53, v30, v44, s[8:9]
	v_cmp_gt_u32_e64 s[8:9], v42, v21
	v_cndmask_b32_e64 v30, v53, v30, s[8:9]
	v_cndmask_b32_e64 v31, v52, v31, s[8:9]
	ds_bpermute_b32 v46, v43, v30
	ds_bpermute_b32 v47, v43, v31
	v_add_u32_e32 v44, 16, v33
	v_cndmask_b32_e64 v45, 0, 1, s[12:13]
	v_lshlrev_b32_e32 v45, 5, v45
	v_add_lshl_u32 v45, v45, v25, 2
	s_waitcnt lgkmcnt(0)
	v_cmp_gt_i64_e64 s[10:11], v[46:47], v[30:31]
	v_cndmask_b32_e64 v47, v31, v47, s[10:11]
	v_cndmask_b32_e64 v54, v30, v46, s[10:11]
	v_cmp_gt_u32_e64 s[10:11], v44, v21
	v_cndmask_b32_e64 v30, v54, v30, s[10:11]
	v_cndmask_b32_e64 v31, v47, v31, s[10:11]
	ds_bpermute_b32 v48, v45, v30
	ds_bpermute_b32 v49, v45, v31
	v_cndmask_b32_e32 v19, v19, v27, vcc
	v_cndmask_b32_e32 v18, v18, v26, vcc
	v_cndmask_b32_e64 v18, v51, v18, s[6:7]
	v_cndmask_b32_e64 v19, v50, v19, s[6:7]
	v_add_u32_e32 v46, 32, v33
	s_waitcnt lgkmcnt(0)
	v_cmp_gt_i64_e64 s[12:13], v[48:49], v[30:31]
	v_cndmask_b32_e64 v19, v52, v19, s[8:9]
	v_cndmask_b32_e64 v18, v53, v18, s[8:9]
	;; [unrolled: 1-line block ×6, first 2 shown]
	v_cmp_gt_u32_e32 vcc, v46, v21
	v_cndmask_b32_e32 v19, v30, v19, vcc
	v_cndmask_b32_e32 v18, v25, v18, vcc
	v_mov_b32_e32 v25, 0
	s_branch .LBB3730_40
.LBB3730_39:                            ;   in Loop: Header=BB3730_40 Depth=1
	s_or_b64 exec, exec, s[6:7]
	v_cmp_eq_u16_sdwa s[6:7], v20, v32 src0_sel:BYTE_0 src1_sel:DWORD
	v_and_b32_e32 v21, s7, v17
	ds_bpermute_b32 v30, v34, v18
	ds_bpermute_b32 v31, v34, v19
	v_or_b32_e32 v21, 0x80000000, v21
	v_and_b32_e32 v47, s6, v16
	v_ffbl_b32_e32 v21, v21
	v_add_u32_e32 v21, 32, v21
	v_ffbl_b32_e32 v47, v47
	v_min_u32_e32 v21, v47, v21
	s_waitcnt lgkmcnt(0)
	v_cmp_gt_i64_e32 vcc, v[30:31], v[18:19]
	v_cmp_lt_u32_e64 s[6:7], v33, v21
	v_cndmask_b32_e32 v30, v18, v30, vcc
	s_and_b64 vcc, s[6:7], vcc
	v_cndmask_b32_e64 v30, v18, v30, s[6:7]
	v_cndmask_b32_e32 v31, v19, v31, vcc
	ds_bpermute_b32 v48, v35, v30
	ds_bpermute_b32 v49, v35, v31
	v_subrev_u32_e32 v24, 64, v24
	s_waitcnt lgkmcnt(0)
	v_cmp_gt_i64_e32 vcc, v[48:49], v[30:31]
	v_cndmask_b32_e32 v47, v31, v49, vcc
	v_cndmask_b32_e32 v48, v30, v48, vcc
	v_cmp_gt_u32_e32 vcc, v38, v21
	v_cndmask_b32_e32 v30, v48, v30, vcc
	v_cndmask_b32_e32 v31, v47, v31, vcc
	ds_bpermute_b32 v48, v39, v30
	ds_bpermute_b32 v49, v39, v31
	v_cndmask_b32_e64 v19, v19, v31, s[6:7]
	v_cndmask_b32_e64 v18, v18, v30, s[6:7]
	s_waitcnt lgkmcnt(0)
	v_cmp_gt_i64_e32 vcc, v[48:49], v[30:31]
	v_cndmask_b32_e32 v47, v31, v49, vcc
	v_cndmask_b32_e32 v52, v30, v48, vcc
	v_cmp_gt_u32_e32 vcc, v40, v21
	v_cndmask_b32_e32 v48, v52, v30, vcc
	v_cndmask_b32_e32 v49, v47, v31, vcc
	ds_bpermute_b32 v50, v41, v48
	ds_bpermute_b32 v51, v41, v49
	v_cndmask_b32_e32 v18, v52, v18, vcc
	v_cndmask_b32_e32 v19, v47, v19, vcc
	v_cmp_gt_u32_e32 vcc, v46, v21
	s_waitcnt lgkmcnt(0)
	v_cmp_gt_i64_e64 s[8:9], v[50:51], v[48:49]
	v_cndmask_b32_e64 v53, v49, v51, s[8:9]
	v_cndmask_b32_e64 v54, v48, v50, s[8:9]
	v_cmp_gt_u32_e64 s[8:9], v42, v21
	v_cndmask_b32_e64 v48, v54, v48, s[8:9]
	v_cndmask_b32_e64 v49, v53, v49, s[8:9]
	ds_bpermute_b32 v50, v43, v48
	ds_bpermute_b32 v51, v43, v49
	v_cndmask_b32_e64 v19, v53, v19, s[8:9]
	v_cndmask_b32_e64 v18, v54, v18, s[8:9]
	s_waitcnt lgkmcnt(0)
	v_cmp_gt_i64_e64 s[10:11], v[50:51], v[48:49]
	v_cndmask_b32_e64 v55, v49, v51, s[10:11]
	v_cndmask_b32_e64 v56, v48, v50, s[10:11]
	v_cmp_gt_u32_e64 s[10:11], v44, v21
	v_cndmask_b32_e64 v48, v56, v48, s[10:11]
	v_cndmask_b32_e64 v49, v55, v49, s[10:11]
	ds_bpermute_b32 v50, v45, v48
	ds_bpermute_b32 v51, v45, v49
	v_cndmask_b32_e64 v18, v56, v18, s[10:11]
	v_cndmask_b32_e64 v19, v55, v19, s[10:11]
	s_waitcnt lgkmcnt(0)
	v_cmp_gt_i64_e64 s[12:13], v[50:51], v[48:49]
	v_cndmask_b32_e64 v48, v48, v50, s[12:13]
	v_cndmask_b32_e64 v49, v49, v51, s[12:13]
	v_cndmask_b32_e32 v19, v49, v19, vcc
	v_cndmask_b32_e32 v18, v48, v18, vcc
	v_cmp_gt_i64_e32 vcc, v[18:19], v[26:27]
	v_cndmask_b32_e32 v19, v27, v19, vcc
	v_cndmask_b32_e32 v18, v26, v18, vcc
.LBB3730_40:                            ; =>This Loop Header: Depth=1
                                        ;     Child Loop BB3730_43 Depth 2
                                        ;       Child Loop BB3730_44 Depth 3
	v_cmp_ne_u16_sdwa s[6:7], v20, v32 src0_sel:BYTE_0 src1_sel:DWORD
	v_cndmask_b32_e64 v20, 0, 1, s[6:7]
	;;#ASMSTART
	;;#ASMEND
	v_cmp_ne_u32_e32 vcc, 0, v20
	s_cmp_lg_u64 vcc, exec
	v_pk_mov_b32 v[26:27], v[18:19], v[18:19] op_sel:[0,1]
	s_cbranch_scc1 .LBB3730_47
; %bb.41:                               ;   in Loop: Header=BB3730_40 Depth=1
	v_lshlrev_b64 v[18:19], 4, v[24:25]
	v_mov_b32_e32 v20, s15
	v_add_co_u32_e32 v30, vcc, s14, v18
	v_addc_co_u32_e32 v31, vcc, v20, v19, vcc
	;;#ASMSTART
	global_load_dwordx4 v[18:21], v[30:31] off glc	
s_waitcnt vmcnt(0)
	;;#ASMEND
	v_and_b32_e32 v21, 0xff, v19
	v_and_b32_e32 v47, 0xff00, v19
	v_or3_b32 v21, 0, v21, v47
	v_or3_b32 v18, v18, 0, 0
	v_and_b32_e32 v47, 0xff000000, v19
	v_and_b32_e32 v19, 0xff0000, v19
	v_or3_b32 v19, v21, v19, v47
	v_or3_b32 v18, v18, 0, 0
	v_cmp_eq_u16_sdwa s[8:9], v20, v25 src0_sel:BYTE_0 src1_sel:DWORD
	s_and_saveexec_b64 s[6:7], s[8:9]
	s_cbranch_execz .LBB3730_39
; %bb.42:                               ;   in Loop: Header=BB3730_40 Depth=1
	s_mov_b32 s10, 1
	s_mov_b64 s[8:9], 0
.LBB3730_43:                            ;   Parent Loop BB3730_40 Depth=1
                                        ; =>  This Loop Header: Depth=2
                                        ;       Child Loop BB3730_44 Depth 3
	s_max_u32 s11, s10, 1
.LBB3730_44:                            ;   Parent Loop BB3730_40 Depth=1
                                        ;     Parent Loop BB3730_43 Depth=2
                                        ; =>    This Inner Loop Header: Depth=3
	s_add_i32 s11, s11, -1
	s_cmp_eq_u32 s11, 0
	s_sleep 1
	s_cbranch_scc0 .LBB3730_44
; %bb.45:                               ;   in Loop: Header=BB3730_43 Depth=2
	s_cmp_lt_u32 s10, 32
	s_cselect_b64 s[12:13], -1, 0
	s_cmp_lg_u64 s[12:13], 0
	s_addc_u32 s10, s10, 0
	;;#ASMSTART
	global_load_dwordx4 v[18:21], v[30:31] off glc	
s_waitcnt vmcnt(0)
	;;#ASMEND
	v_cmp_ne_u16_sdwa s[12:13], v20, v25 src0_sel:BYTE_0 src1_sel:DWORD
	s_or_b64 s[8:9], s[12:13], s[8:9]
	s_andn2_b64 exec, exec, s[8:9]
	s_cbranch_execnz .LBB3730_43
; %bb.46:                               ;   in Loop: Header=BB3730_40 Depth=1
	s_or_b64 exec, exec, s[8:9]
	s_branch .LBB3730_39
.LBB3730_47:                            ;   in Loop: Header=BB3730_40 Depth=1
                                        ; implicit-def: $vgpr18_vgpr19
                                        ; implicit-def: $vgpr20
	s_cbranch_execz .LBB3730_40
; %bb.48:
	s_and_saveexec_b64 s[6:7], s[4:5]
	s_cbranch_execz .LBB3730_50
; %bb.49:
	s_add_i32 s4, s30, 64
	s_mov_b32 s5, 0
	s_lshl_b64 s[4:5], s[4:5], 4
	s_add_u32 s4, s14, s4
	v_cmp_gt_i64_e32 vcc, v[26:27], v[14:15]
	s_addc_u32 s5, s15, s5
	v_cndmask_b32_e32 v15, v15, v27, vcc
	v_cndmask_b32_e32 v14, v14, v26, vcc
	v_mov_b32_e32 v16, 2
	v_mov_b32_e32 v17, 0
	v_pk_mov_b32 v[18:19], s[4:5], s[4:5] op_sel:[0,1]
	;;#ASMSTART
	global_store_dwordx4 v[18:19], v[14:17] off	
s_waitcnt vmcnt(0)
	;;#ASMEND
.LBB3730_50:
	s_or_b64 exec, exec, s[6:7]
	s_and_b64 exec, exec, s[2:3]
	s_cbranch_execz .LBB3730_52
; %bb.51:
	v_mov_b32_e32 v14, 0
	ds_write_b64 v14, v[26:27]
.LBB3730_52:
	s_or_b64 exec, exec, s[26:27]
	v_mov_b32_e32 v14, 0
	s_waitcnt lgkmcnt(0)
	s_barrier
	ds_read_b64 v[14:15], v14
	v_cmp_gt_i64_e32 vcc, v[22:23], v[2:3]
	v_cndmask_b32_e32 v16, v2, v22, vcc
	v_cndmask_b32_e32 v17, v3, v23, vcc
	v_cndmask_b32_e64 v17, v17, v3, s[2:3]
	v_cndmask_b32_e64 v16, v16, v2, s[2:3]
	s_waitcnt lgkmcnt(0)
	v_cmp_gt_i64_e32 vcc, v[14:15], v[16:17]
	v_cndmask_b32_e32 v25, v17, v15, vcc
	v_cndmask_b32_e32 v24, v16, v14, vcc
	v_cmp_gt_i64_e32 vcc, v[24:25], v[4:5]
	v_cndmask_b32_e32 v31, v5, v25, vcc
	v_cndmask_b32_e32 v30, v4, v24, vcc
	;; [unrolled: 3-line block ×7, first 2 shown]
	s_branch .LBB3730_67
.LBB3730_53:
                                        ; implicit-def: $vgpr22_vgpr23
                                        ; implicit-def: $vgpr34_vgpr35
                                        ; implicit-def: $vgpr32_vgpr33
                                        ; implicit-def: $vgpr30_vgpr31
                                        ; implicit-def: $vgpr18_vgpr19_vgpr20_vgpr21
                                        ; implicit-def: $vgpr14_vgpr15_vgpr16_vgpr17
                                        ; implicit-def: $vgpr24_vgpr25_vgpr26_vgpr27
	s_cbranch_execz .LBB3730_67
; %bb.54:
	s_cmp_lg_u64 s[20:21], 0
	s_cselect_b64 s[4:5], -1, 0
	s_and_b64 s[6:7], s[2:3], s[4:5]
	s_and_saveexec_b64 s[4:5], s[6:7]
	s_cbranch_execz .LBB3730_56
; %bb.55:
	v_mov_b32_e32 v14, 0
	global_load_dwordx2 v[14:15], v14, s[16:17]
	s_waitcnt vmcnt(0)
	v_cmp_gt_i64_e32 vcc, v[14:15], v[2:3]
	v_cndmask_b32_e32 v3, v3, v15, vcc
	v_cndmask_b32_e32 v2, v2, v14, vcc
.LBB3730_56:
	s_or_b64 exec, exec, s[4:5]
	v_cmp_gt_i64_e32 vcc, v[2:3], v[4:5]
	v_cndmask_b32_e32 v31, v5, v3, vcc
	v_cndmask_b32_e32 v30, v4, v2, vcc
	v_cmp_gt_i64_e32 vcc, v[30:31], v[10:11]
	v_cndmask_b32_e32 v15, v11, v31, vcc
	v_cndmask_b32_e32 v14, v10, v30, vcc
	v_cmp_gt_i64_e32 vcc, v[14:15], v[12:13]
	v_cndmask_b32_e32 v33, v13, v15, vcc
	v_cndmask_b32_e32 v32, v12, v14, vcc
	v_cmp_gt_i64_e32 vcc, v[32:33], v[6:7]
	v_cndmask_b32_e32 v19, v7, v33, vcc
	v_cndmask_b32_e32 v18, v6, v32, vcc
	v_cmp_gt_i64_e32 vcc, v[18:19], v[8:9]
	v_cndmask_b32_e32 v35, v9, v19, vcc
	v_cndmask_b32_e32 v34, v8, v18, vcc
	v_cmp_gt_i64_e32 vcc, v[34:35], v[28:29]
	v_cndmask_b32_e32 v23, v29, v35, vcc
	v_cndmask_b32_e32 v22, v28, v34, vcc
	v_add_lshl_u32 v1, v1, v0, 3
	v_cmp_gt_u32_e32 vcc, 64, v0
	ds_write_b64 v1, v[22:23]
	s_waitcnt lgkmcnt(0)
	s_barrier
	s_and_saveexec_b64 s[6:7], vcc
	s_cbranch_execz .LBB3730_60
; %bb.57:
	v_lshlrev_b32_e32 v1, 1, v0
	v_lshrrev_b32_e32 v16, 4, v0
	v_add_lshl_u32 v1, v16, v1, 3
	ds_read2_b64 v[24:27], v1 offset1:1
	v_mbcnt_lo_u32_b32 v16, -1, 0
	v_mbcnt_hi_u32_b32 v38, -1, v16
	v_and_b32_e32 v39, 15, v38
	v_and_b32_e32 v41, 16, v38
	s_waitcnt lgkmcnt(0)
	v_cmp_gt_i64_e32 vcc, v[24:25], v[26:27]
	v_cndmask_b32_e32 v17, v27, v25, vcc
	v_cndmask_b32_e32 v16, v26, v24, vcc
	v_cmp_ne_u32_e64 s[4:5], 0, v38
	v_mov_b32_dpp v21, v17 row_shr:1 row_mask:0xf bank_mask:0xf
	v_mov_b32_dpp v20, v16 row_shr:1 row_mask:0xf bank_mask:0xf
	v_cmp_gt_i64_e32 vcc, v[20:21], v[16:17]
	v_cndmask_b32_e32 v20, v16, v20, vcc
	v_cndmask_b32_e32 v21, v17, v21, vcc
	v_cmp_eq_u32_e32 vcc, 0, v39
	v_cndmask_b32_e32 v21, v21, v17, vcc
	v_cndmask_b32_e32 v20, v20, v16, vcc
	s_nop 0
	v_mov_b32_dpp v27, v21 row_shr:2 row_mask:0xf bank_mask:0xf
	v_mov_b32_dpp v26, v20 row_shr:2 row_mask:0xf bank_mask:0xf
	v_cmp_gt_i64_e32 vcc, v[26:27], v[20:21]
	v_cndmask_b32_e32 v26, v20, v26, vcc
	v_cndmask_b32_e32 v27, v21, v27, vcc
	v_cmp_lt_u32_e32 vcc, 1, v39
	v_cndmask_b32_e32 v21, v21, v27, vcc
	v_cndmask_b32_e32 v20, v20, v26, vcc
	s_nop 0
	v_mov_b32_dpp v27, v21 row_shr:4 row_mask:0xf bank_mask:0xf
	v_mov_b32_dpp v26, v20 row_shr:4 row_mask:0xf bank_mask:0xf
	v_cmp_gt_i64_e32 vcc, v[26:27], v[20:21]
	v_cndmask_b32_e32 v26, v20, v26, vcc
	v_cndmask_b32_e32 v27, v21, v27, vcc
	v_cmp_lt_u32_e32 vcc, 3, v39
	;; [unrolled: 9-line block ×3, first 2 shown]
	v_cndmask_b32_e32 v21, v21, v27, vcc
	v_cndmask_b32_e32 v20, v20, v26, vcc
	s_nop 0
	v_mov_b32_dpp v27, v21 row_bcast:15 row_mask:0xf bank_mask:0xf
	v_mov_b32_dpp v26, v20 row_bcast:15 row_mask:0xf bank_mask:0xf
	v_cmp_gt_i64_e32 vcc, v[26:27], v[20:21]
	v_cndmask_b32_e32 v39, v21, v27, vcc
	v_cndmask_b32_e32 v40, v20, v26, vcc
	v_cmp_eq_u32_e32 vcc, 0, v41
	v_cndmask_b32_e32 v27, v39, v21, vcc
	v_cndmask_b32_e32 v26, v40, v20, vcc
	s_nop 0
	v_mov_b32_dpp v27, v27 row_bcast:31 row_mask:0xf bank_mask:0xf
	v_mov_b32_dpp v26, v26 row_bcast:31 row_mask:0xf bank_mask:0xf
	s_and_saveexec_b64 s[8:9], s[4:5]
; %bb.58:
	v_cndmask_b32_e32 v17, v39, v21, vcc
	v_cndmask_b32_e32 v16, v40, v20, vcc
	v_cmp_lt_u32_e64 s[4:5], 31, v38
	v_cmp_gt_i64_e32 vcc, v[26:27], v[16:17]
	s_and_b64 vcc, s[4:5], vcc
	v_cndmask_b32_e32 v16, v16, v26, vcc
	v_cndmask_b32_e32 v17, v17, v27, vcc
; %bb.59:
	s_or_b64 exec, exec, s[8:9]
	v_add_u32_e32 v20, -1, v38
	v_and_b32_e32 v21, 64, v38
	v_cmp_lt_i32_e32 vcc, v20, v21
	v_cndmask_b32_e32 v20, v20, v38, vcc
	v_lshlrev_b32_e32 v20, 2, v20
	ds_bpermute_b32 v16, v20, v16
	ds_bpermute_b32 v17, v20, v17
	; wave barrier
	s_waitcnt lgkmcnt(0)
	v_cmp_gt_i64_e32 vcc, v[16:17], v[24:25]
	v_cndmask_b32_e32 v16, v24, v16, vcc
	v_cndmask_b32_e32 v17, v25, v17, vcc
	v_cndmask_b32_e64 v17, v17, v23, s[2:3]
	v_cndmask_b32_e64 v16, v16, v22, s[2:3]
	ds_write_b64 v1, v[16:17]
	; wave barrier
	ds_read_b64 v[20:21], v1 offset:8
	s_waitcnt lgkmcnt(0)
	v_cmp_gt_i64_e32 vcc, v[16:17], v[20:21]
	v_cndmask_b32_e32 v17, v21, v17, vcc
	v_cndmask_b32_e32 v16, v20, v16, vcc
	ds_write_b64 v1, v[16:17] offset:8
.LBB3730_60:
	s_or_b64 exec, exec, s[6:7]
	v_pk_mov_b32 v[16:17], v[22:23], v[22:23] op_sel:[0,1]
	s_waitcnt lgkmcnt(0)
	s_barrier
	s_and_saveexec_b64 s[2:3], s[0:1]
	s_cbranch_execz .LBB3730_62
; %bb.61:
	v_add_u32_e32 v1, -1, v0
	v_lshrrev_b32_e32 v16, 5, v1
	v_add_lshl_u32 v1, v16, v1, 3
	ds_read_b64 v[16:17], v1
.LBB3730_62:
	s_or_b64 exec, exec, s[2:3]
	s_and_saveexec_b64 s[2:3], s[0:1]
	s_cbranch_execz .LBB3730_64
; %bb.63:
	s_waitcnt lgkmcnt(0)
	v_cmp_gt_i64_e32 vcc, v[16:17], v[2:3]
	v_cndmask_b32_e32 v3, v3, v17, vcc
	v_cndmask_b32_e32 v2, v2, v16, vcc
	v_cmp_gt_i64_e32 vcc, v[2:3], v[4:5]
	v_cndmask_b32_e32 v31, v5, v3, vcc
	v_cndmask_b32_e32 v30, v4, v2, vcc
	;; [unrolled: 3-line block ×7, first 2 shown]
	;;#ASMSTART
	;;#ASMEND
.LBB3730_64:
	s_or_b64 exec, exec, s[2:3]
	s_movk_i32 s0, 0x7f
	v_cmp_eq_u32_e32 vcc, s0, v0
	s_and_saveexec_b64 s[0:1], vcc
	s_cbranch_execz .LBB3730_66
; %bb.65:
	s_add_u32 s2, s14, 0x400
	s_addc_u32 s3, s15, 0
	v_mov_b32_e32 v24, 2
	v_mov_b32_e32 v25, 0
	v_pk_mov_b32 v[4:5], s[2:3], s[2:3] op_sel:[0,1]
	;;#ASMSTART
	global_store_dwordx4 v[4:5], v[22:25] off	
s_waitcnt vmcnt(0)
	;;#ASMEND
.LBB3730_66:
	s_or_b64 exec, exec, s[0:1]
	v_pk_mov_b32 v[24:25], v[2:3], v[2:3] op_sel:[0,1]
.LBB3730_67:
	s_mov_b64 s[0:1], -1
	s_and_b64 vcc, exec, s[24:25]
	s_waitcnt lgkmcnt(0)
	s_barrier
	ds_write2_b64 v37, v[24:25], v[30:31] offset1:1
	ds_write2_b64 v37, v[14:15], v[32:33] offset0:2 offset1:3
	ds_write2_b64 v37, v[18:19], v[34:35] offset0:4 offset1:5
	ds_write_b64 v37, v[22:23] offset:48
	s_waitcnt lgkmcnt(0)
	s_cbranch_vccz .LBB3730_69
; %bb.68:
	s_barrier
	s_mov_b64 s[0:1], 0
.LBB3730_69:
	s_andn2_b64 vcc, exec, s[0:1]
	s_cbranch_vccnz .LBB3730_94
; %bb.70:
	v_cmp_lt_u64_e64 s[0:1], s[22:23], 2
	s_and_b64 vcc, exec, s[0:1]
	s_barrier
	s_cbranch_vccnz .LBB3730_94
; %bb.71:
	s_add_u32 s0, s28, -1
	s_addc_u32 s1, s29, -1
	s_add_u32 s2, 0, 0x92481000
	s_addc_u32 s3, 0, 0x64
	s_add_i32 s3, s3, 0x249248c0
	s_mul_hi_u32 s7, s2, -7
	s_sub_i32 s7, s7, s2
	s_mul_i32 s8, s3, -7
	s_mul_i32 s4, s2, -7
	s_add_i32 s7, s7, s8
	s_mul_hi_u32 s5, s3, s4
	s_mul_i32 s6, s3, s4
	s_mul_i32 s9, s2, s7
	s_mul_hi_u32 s4, s2, s4
	s_mul_hi_u32 s8, s2, s7
	s_add_u32 s4, s4, s9
	s_addc_u32 s8, 0, s8
	s_add_u32 s4, s4, s6
	s_mul_hi_u32 s9, s3, s7
	s_addc_u32 s4, s8, s5
	s_addc_u32 s5, s9, 0
	s_mul_i32 s6, s3, s7
	s_add_u32 s4, s4, s6
	v_mov_b32_e32 v2, s4
	s_addc_u32 s5, 0, s5
	v_add_co_u32_e32 v2, vcc, s2, v2
	s_cmp_lg_u64 vcc, 0
	s_addc_u32 s2, s3, s5
	v_readfirstlane_b32 s5, v2
	s_mul_i32 s4, s0, s2
	s_mul_hi_u32 s6, s0, s5
	s_mul_hi_u32 s3, s0, s2
	s_add_u32 s4, s6, s4
	s_addc_u32 s3, 0, s3
	s_mul_hi_u32 s7, s1, s5
	s_mul_i32 s5, s1, s5
	s_add_u32 s4, s4, s5
	s_mul_hi_u32 s6, s1, s2
	s_addc_u32 s3, s3, s7
	s_addc_u32 s4, s6, 0
	s_mul_i32 s2, s1, s2
	s_add_u32 s2, s3, s2
	s_addc_u32 s3, 0, s4
	s_add_u32 s4, s2, 1
	s_addc_u32 s5, s3, 0
	s_add_u32 s6, s2, 2
	s_mul_i32 s8, s3, 7
	s_mul_hi_u32 s9, s2, 7
	s_addc_u32 s7, s3, 0
	s_add_i32 s9, s9, s8
	s_mul_i32 s8, s2, 7
	v_mov_b32_e32 v2, s8
	v_sub_co_u32_e32 v2, vcc, s0, v2
	s_cmp_lg_u64 vcc, 0
	s_subb_u32 s8, s1, s9
	v_subrev_co_u32_e32 v3, vcc, 7, v2
	s_cmp_lg_u64 vcc, 0
	s_subb_u32 s9, s8, 0
	v_readfirstlane_b32 s10, v3
	s_cmp_gt_u32 s10, 6
	s_cselect_b32 s10, -1, 0
	s_cmp_eq_u32 s9, 0
	s_cselect_b32 s9, s10, -1
	s_cmp_lg_u32 s9, 0
	s_cselect_b32 s4, s6, s4
	v_readfirstlane_b32 s6, v2
	s_cselect_b32 s5, s7, s5
	s_cmp_gt_u32 s6, 6
	s_cselect_b32 s6, -1, 0
	s_cmp_eq_u32 s8, 0
	s_cselect_b32 s6, s6, -1
	s_cmp_lg_u32 s6, 0
	v_mov_b32_e32 v1, 0
	s_cselect_b32 s3, s5, s3
	s_cselect_b32 s2, s4, s2
	v_cmp_eq_u64_e32 vcc, s[2:3], v[0:1]
	s_and_saveexec_b64 s[2:3], vcc
	s_cbranch_execz .LBB3730_94
; %bb.72:
	s_movk_i32 s2, 0xffd0
	v_mad_i32_i24 v2, v0, s2, v37
	v_mul_hi_u32_u24_e32 v1, 7, v0
	v_mov_b32_e32 v3, s1
	v_sub_co_u32_e32 v0, vcc, s0, v36
	v_subb_co_u32_e32 v1, vcc, v3, v1, vcc
	v_cmp_lt_i64_e32 vcc, 3, v[0:1]
	s_and_saveexec_b64 s[0:1], vcc
	s_xor_b64 s[0:1], exec, s[0:1]
	s_cbranch_execz .LBB3730_82
; %bb.73:
	v_cmp_lt_i64_e32 vcc, 4, v[0:1]
	s_and_saveexec_b64 s[2:3], vcc
	s_xor_b64 s[2:3], exec, s[2:3]
	s_cbranch_execz .LBB3730_79
; %bb.74:
	;; [unrolled: 5-line block ×3, first 2 shown]
	ds_read_b64 v[0:1], v2 offset:6144
	v_mov_b32_e32 v2, 0
	s_waitcnt lgkmcnt(0)
	global_store_dwordx2 v2, v[0:1], s[18:19]
                                        ; implicit-def: $vgpr2
.LBB3730_76:
	s_andn2_saveexec_b64 s[4:5], s[4:5]
	s_cbranch_execz .LBB3730_78
; %bb.77:
	ds_read_b64 v[0:1], v2 offset:5120
	v_mov_b32_e32 v2, 0
	s_waitcnt lgkmcnt(0)
	global_store_dwordx2 v2, v[0:1], s[18:19]
.LBB3730_78:
	s_or_b64 exec, exec, s[4:5]
                                        ; implicit-def: $vgpr2
.LBB3730_79:
	s_andn2_saveexec_b64 s[2:3], s[2:3]
	s_cbranch_execz .LBB3730_81
; %bb.80:
	ds_read_b64 v[0:1], v2 offset:4096
	v_mov_b32_e32 v2, 0
	s_waitcnt lgkmcnt(0)
	global_store_dwordx2 v2, v[0:1], s[18:19]
.LBB3730_81:
	s_or_b64 exec, exec, s[2:3]
                                        ; implicit-def: $vgpr0_vgpr1
                                        ; implicit-def: $vgpr2
.LBB3730_82:
	s_andn2_saveexec_b64 s[0:1], s[0:1]
	s_cbranch_execz .LBB3730_94
; %bb.83:
	v_cmp_lt_i64_e32 vcc, 1, v[0:1]
	s_and_saveexec_b64 s[0:1], vcc
	s_xor_b64 s[0:1], exec, s[0:1]
	s_cbranch_execz .LBB3730_89
; %bb.84:
	v_cmp_lt_i64_e32 vcc, 2, v[0:1]
	s_and_saveexec_b64 s[2:3], vcc
	s_xor_b64 s[2:3], exec, s[2:3]
	s_cbranch_execz .LBB3730_86
; %bb.85:
	ds_read_b64 v[0:1], v2 offset:3072
	v_mov_b32_e32 v2, 0
	s_waitcnt lgkmcnt(0)
	global_store_dwordx2 v2, v[0:1], s[18:19]
                                        ; implicit-def: $vgpr2
.LBB3730_86:
	s_andn2_saveexec_b64 s[2:3], s[2:3]
	s_cbranch_execz .LBB3730_88
; %bb.87:
	ds_read_b64 v[0:1], v2 offset:2048
	v_mov_b32_e32 v2, 0
	s_waitcnt lgkmcnt(0)
	global_store_dwordx2 v2, v[0:1], s[18:19]
.LBB3730_88:
	s_or_b64 exec, exec, s[2:3]
                                        ; implicit-def: $vgpr2
                                        ; implicit-def: $vgpr0_vgpr1
.LBB3730_89:
	s_andn2_saveexec_b64 s[0:1], s[0:1]
	s_cbranch_execz .LBB3730_94
; %bb.90:
	v_cmp_ne_u64_e32 vcc, 1, v[0:1]
	s_and_saveexec_b64 s[0:1], vcc
	s_xor_b64 s[0:1], exec, s[0:1]
	s_cbranch_execz .LBB3730_92
; %bb.91:
	ds_read_b64 v[0:1], v2
	v_mov_b32_e32 v2, 0
	s_waitcnt lgkmcnt(0)
	global_store_dwordx2 v2, v[0:1], s[18:19]
                                        ; implicit-def: $vgpr2
.LBB3730_92:
	s_andn2_saveexec_b64 s[0:1], s[0:1]
	s_cbranch_execz .LBB3730_94
; %bb.93:
	ds_read_b64 v[0:1], v2 offset:1024
	v_mov_b32_e32 v2, 0
	s_waitcnt lgkmcnt(0)
	global_store_dwordx2 v2, v[0:1], s[18:19]
.LBB3730_94:
	s_endpgm
	.section	.rodata,"a",@progbits
	.p2align	6, 0x0
	.amdhsa_kernel _ZN7rocprim17ROCPRIM_400000_NS6detail17trampoline_kernelINS0_14default_configENS1_20scan_config_selectorIxEEZZNS1_9scan_implILNS1_25lookback_scan_determinismE0ELb0ELb0ES3_N6thrust23THRUST_200600_302600_NS6detail15normal_iteratorINS9_10device_ptrIxEEEENS9_16discard_iteratorINS9_11use_defaultEEEx11max_functorIxExEEDaPvRmT3_T4_T5_mT6_P12ihipStream_tbENKUlT_T0_E_clISt17integral_constantIbLb1EESX_EEDaSS_ST_EUlSS_E_NS1_11comp_targetILNS1_3genE4ELNS1_11target_archE910ELNS1_3gpuE8ELNS1_3repE0EEENS1_30default_config_static_selectorELNS0_4arch9wavefront6targetE1EEEvT1_
		.amdhsa_group_segment_fixed_size 7168
		.amdhsa_private_segment_fixed_size 0
		.amdhsa_kernarg_size 112
		.amdhsa_user_sgpr_count 6
		.amdhsa_user_sgpr_private_segment_buffer 1
		.amdhsa_user_sgpr_dispatch_ptr 0
		.amdhsa_user_sgpr_queue_ptr 0
		.amdhsa_user_sgpr_kernarg_segment_ptr 1
		.amdhsa_user_sgpr_dispatch_id 0
		.amdhsa_user_sgpr_flat_scratch_init 0
		.amdhsa_user_sgpr_kernarg_preload_length 0
		.amdhsa_user_sgpr_kernarg_preload_offset 0
		.amdhsa_user_sgpr_private_segment_size 0
		.amdhsa_uses_dynamic_stack 0
		.amdhsa_system_sgpr_private_segment_wavefront_offset 0
		.amdhsa_system_sgpr_workgroup_id_x 1
		.amdhsa_system_sgpr_workgroup_id_y 0
		.amdhsa_system_sgpr_workgroup_id_z 0
		.amdhsa_system_sgpr_workgroup_info 0
		.amdhsa_system_vgpr_workitem_id 0
		.amdhsa_next_free_vgpr 57
		.amdhsa_next_free_sgpr 31
		.amdhsa_accum_offset 60
		.amdhsa_reserve_vcc 1
		.amdhsa_reserve_flat_scratch 0
		.amdhsa_float_round_mode_32 0
		.amdhsa_float_round_mode_16_64 0
		.amdhsa_float_denorm_mode_32 3
		.amdhsa_float_denorm_mode_16_64 3
		.amdhsa_dx10_clamp 1
		.amdhsa_ieee_mode 1
		.amdhsa_fp16_overflow 0
		.amdhsa_tg_split 0
		.amdhsa_exception_fp_ieee_invalid_op 0
		.amdhsa_exception_fp_denorm_src 0
		.amdhsa_exception_fp_ieee_div_zero 0
		.amdhsa_exception_fp_ieee_overflow 0
		.amdhsa_exception_fp_ieee_underflow 0
		.amdhsa_exception_fp_ieee_inexact 0
		.amdhsa_exception_int_div_zero 0
	.end_amdhsa_kernel
	.section	.text._ZN7rocprim17ROCPRIM_400000_NS6detail17trampoline_kernelINS0_14default_configENS1_20scan_config_selectorIxEEZZNS1_9scan_implILNS1_25lookback_scan_determinismE0ELb0ELb0ES3_N6thrust23THRUST_200600_302600_NS6detail15normal_iteratorINS9_10device_ptrIxEEEENS9_16discard_iteratorINS9_11use_defaultEEEx11max_functorIxExEEDaPvRmT3_T4_T5_mT6_P12ihipStream_tbENKUlT_T0_E_clISt17integral_constantIbLb1EESX_EEDaSS_ST_EUlSS_E_NS1_11comp_targetILNS1_3genE4ELNS1_11target_archE910ELNS1_3gpuE8ELNS1_3repE0EEENS1_30default_config_static_selectorELNS0_4arch9wavefront6targetE1EEEvT1_,"axG",@progbits,_ZN7rocprim17ROCPRIM_400000_NS6detail17trampoline_kernelINS0_14default_configENS1_20scan_config_selectorIxEEZZNS1_9scan_implILNS1_25lookback_scan_determinismE0ELb0ELb0ES3_N6thrust23THRUST_200600_302600_NS6detail15normal_iteratorINS9_10device_ptrIxEEEENS9_16discard_iteratorINS9_11use_defaultEEEx11max_functorIxExEEDaPvRmT3_T4_T5_mT6_P12ihipStream_tbENKUlT_T0_E_clISt17integral_constantIbLb1EESX_EEDaSS_ST_EUlSS_E_NS1_11comp_targetILNS1_3genE4ELNS1_11target_archE910ELNS1_3gpuE8ELNS1_3repE0EEENS1_30default_config_static_selectorELNS0_4arch9wavefront6targetE1EEEvT1_,comdat
.Lfunc_end3730:
	.size	_ZN7rocprim17ROCPRIM_400000_NS6detail17trampoline_kernelINS0_14default_configENS1_20scan_config_selectorIxEEZZNS1_9scan_implILNS1_25lookback_scan_determinismE0ELb0ELb0ES3_N6thrust23THRUST_200600_302600_NS6detail15normal_iteratorINS9_10device_ptrIxEEEENS9_16discard_iteratorINS9_11use_defaultEEEx11max_functorIxExEEDaPvRmT3_T4_T5_mT6_P12ihipStream_tbENKUlT_T0_E_clISt17integral_constantIbLb1EESX_EEDaSS_ST_EUlSS_E_NS1_11comp_targetILNS1_3genE4ELNS1_11target_archE910ELNS1_3gpuE8ELNS1_3repE0EEENS1_30default_config_static_selectorELNS0_4arch9wavefront6targetE1EEEvT1_, .Lfunc_end3730-_ZN7rocprim17ROCPRIM_400000_NS6detail17trampoline_kernelINS0_14default_configENS1_20scan_config_selectorIxEEZZNS1_9scan_implILNS1_25lookback_scan_determinismE0ELb0ELb0ES3_N6thrust23THRUST_200600_302600_NS6detail15normal_iteratorINS9_10device_ptrIxEEEENS9_16discard_iteratorINS9_11use_defaultEEEx11max_functorIxExEEDaPvRmT3_T4_T5_mT6_P12ihipStream_tbENKUlT_T0_E_clISt17integral_constantIbLb1EESX_EEDaSS_ST_EUlSS_E_NS1_11comp_targetILNS1_3genE4ELNS1_11target_archE910ELNS1_3gpuE8ELNS1_3repE0EEENS1_30default_config_static_selectorELNS0_4arch9wavefront6targetE1EEEvT1_
                                        ; -- End function
	.section	.AMDGPU.csdata,"",@progbits
; Kernel info:
; codeLenInByte = 5456
; NumSgprs: 35
; NumVgprs: 57
; NumAgprs: 0
; TotalNumVgprs: 57
; ScratchSize: 0
; MemoryBound: 0
; FloatMode: 240
; IeeeMode: 1
; LDSByteSize: 7168 bytes/workgroup (compile time only)
; SGPRBlocks: 4
; VGPRBlocks: 7
; NumSGPRsForWavesPerEU: 35
; NumVGPRsForWavesPerEU: 57
; AccumOffset: 60
; Occupancy: 5
; WaveLimiterHint : 1
; COMPUTE_PGM_RSRC2:SCRATCH_EN: 0
; COMPUTE_PGM_RSRC2:USER_SGPR: 6
; COMPUTE_PGM_RSRC2:TRAP_HANDLER: 0
; COMPUTE_PGM_RSRC2:TGID_X_EN: 1
; COMPUTE_PGM_RSRC2:TGID_Y_EN: 0
; COMPUTE_PGM_RSRC2:TGID_Z_EN: 0
; COMPUTE_PGM_RSRC2:TIDIG_COMP_CNT: 0
; COMPUTE_PGM_RSRC3_GFX90A:ACCUM_OFFSET: 14
; COMPUTE_PGM_RSRC3_GFX90A:TG_SPLIT: 0
	.section	.text._ZN7rocprim17ROCPRIM_400000_NS6detail17trampoline_kernelINS0_14default_configENS1_20scan_config_selectorIxEEZZNS1_9scan_implILNS1_25lookback_scan_determinismE0ELb0ELb0ES3_N6thrust23THRUST_200600_302600_NS6detail15normal_iteratorINS9_10device_ptrIxEEEENS9_16discard_iteratorINS9_11use_defaultEEEx11max_functorIxExEEDaPvRmT3_T4_T5_mT6_P12ihipStream_tbENKUlT_T0_E_clISt17integral_constantIbLb1EESX_EEDaSS_ST_EUlSS_E_NS1_11comp_targetILNS1_3genE3ELNS1_11target_archE908ELNS1_3gpuE7ELNS1_3repE0EEENS1_30default_config_static_selectorELNS0_4arch9wavefront6targetE1EEEvT1_,"axG",@progbits,_ZN7rocprim17ROCPRIM_400000_NS6detail17trampoline_kernelINS0_14default_configENS1_20scan_config_selectorIxEEZZNS1_9scan_implILNS1_25lookback_scan_determinismE0ELb0ELb0ES3_N6thrust23THRUST_200600_302600_NS6detail15normal_iteratorINS9_10device_ptrIxEEEENS9_16discard_iteratorINS9_11use_defaultEEEx11max_functorIxExEEDaPvRmT3_T4_T5_mT6_P12ihipStream_tbENKUlT_T0_E_clISt17integral_constantIbLb1EESX_EEDaSS_ST_EUlSS_E_NS1_11comp_targetILNS1_3genE3ELNS1_11target_archE908ELNS1_3gpuE7ELNS1_3repE0EEENS1_30default_config_static_selectorELNS0_4arch9wavefront6targetE1EEEvT1_,comdat
	.protected	_ZN7rocprim17ROCPRIM_400000_NS6detail17trampoline_kernelINS0_14default_configENS1_20scan_config_selectorIxEEZZNS1_9scan_implILNS1_25lookback_scan_determinismE0ELb0ELb0ES3_N6thrust23THRUST_200600_302600_NS6detail15normal_iteratorINS9_10device_ptrIxEEEENS9_16discard_iteratorINS9_11use_defaultEEEx11max_functorIxExEEDaPvRmT3_T4_T5_mT6_P12ihipStream_tbENKUlT_T0_E_clISt17integral_constantIbLb1EESX_EEDaSS_ST_EUlSS_E_NS1_11comp_targetILNS1_3genE3ELNS1_11target_archE908ELNS1_3gpuE7ELNS1_3repE0EEENS1_30default_config_static_selectorELNS0_4arch9wavefront6targetE1EEEvT1_ ; -- Begin function _ZN7rocprim17ROCPRIM_400000_NS6detail17trampoline_kernelINS0_14default_configENS1_20scan_config_selectorIxEEZZNS1_9scan_implILNS1_25lookback_scan_determinismE0ELb0ELb0ES3_N6thrust23THRUST_200600_302600_NS6detail15normal_iteratorINS9_10device_ptrIxEEEENS9_16discard_iteratorINS9_11use_defaultEEEx11max_functorIxExEEDaPvRmT3_T4_T5_mT6_P12ihipStream_tbENKUlT_T0_E_clISt17integral_constantIbLb1EESX_EEDaSS_ST_EUlSS_E_NS1_11comp_targetILNS1_3genE3ELNS1_11target_archE908ELNS1_3gpuE7ELNS1_3repE0EEENS1_30default_config_static_selectorELNS0_4arch9wavefront6targetE1EEEvT1_
	.globl	_ZN7rocprim17ROCPRIM_400000_NS6detail17trampoline_kernelINS0_14default_configENS1_20scan_config_selectorIxEEZZNS1_9scan_implILNS1_25lookback_scan_determinismE0ELb0ELb0ES3_N6thrust23THRUST_200600_302600_NS6detail15normal_iteratorINS9_10device_ptrIxEEEENS9_16discard_iteratorINS9_11use_defaultEEEx11max_functorIxExEEDaPvRmT3_T4_T5_mT6_P12ihipStream_tbENKUlT_T0_E_clISt17integral_constantIbLb1EESX_EEDaSS_ST_EUlSS_E_NS1_11comp_targetILNS1_3genE3ELNS1_11target_archE908ELNS1_3gpuE7ELNS1_3repE0EEENS1_30default_config_static_selectorELNS0_4arch9wavefront6targetE1EEEvT1_
	.p2align	8
	.type	_ZN7rocprim17ROCPRIM_400000_NS6detail17trampoline_kernelINS0_14default_configENS1_20scan_config_selectorIxEEZZNS1_9scan_implILNS1_25lookback_scan_determinismE0ELb0ELb0ES3_N6thrust23THRUST_200600_302600_NS6detail15normal_iteratorINS9_10device_ptrIxEEEENS9_16discard_iteratorINS9_11use_defaultEEEx11max_functorIxExEEDaPvRmT3_T4_T5_mT6_P12ihipStream_tbENKUlT_T0_E_clISt17integral_constantIbLb1EESX_EEDaSS_ST_EUlSS_E_NS1_11comp_targetILNS1_3genE3ELNS1_11target_archE908ELNS1_3gpuE7ELNS1_3repE0EEENS1_30default_config_static_selectorELNS0_4arch9wavefront6targetE1EEEvT1_,@function
_ZN7rocprim17ROCPRIM_400000_NS6detail17trampoline_kernelINS0_14default_configENS1_20scan_config_selectorIxEEZZNS1_9scan_implILNS1_25lookback_scan_determinismE0ELb0ELb0ES3_N6thrust23THRUST_200600_302600_NS6detail15normal_iteratorINS9_10device_ptrIxEEEENS9_16discard_iteratorINS9_11use_defaultEEEx11max_functorIxExEEDaPvRmT3_T4_T5_mT6_P12ihipStream_tbENKUlT_T0_E_clISt17integral_constantIbLb1EESX_EEDaSS_ST_EUlSS_E_NS1_11comp_targetILNS1_3genE3ELNS1_11target_archE908ELNS1_3gpuE7ELNS1_3repE0EEENS1_30default_config_static_selectorELNS0_4arch9wavefront6targetE1EEEvT1_: ; @_ZN7rocprim17ROCPRIM_400000_NS6detail17trampoline_kernelINS0_14default_configENS1_20scan_config_selectorIxEEZZNS1_9scan_implILNS1_25lookback_scan_determinismE0ELb0ELb0ES3_N6thrust23THRUST_200600_302600_NS6detail15normal_iteratorINS9_10device_ptrIxEEEENS9_16discard_iteratorINS9_11use_defaultEEEx11max_functorIxExEEDaPvRmT3_T4_T5_mT6_P12ihipStream_tbENKUlT_T0_E_clISt17integral_constantIbLb1EESX_EEDaSS_ST_EUlSS_E_NS1_11comp_targetILNS1_3genE3ELNS1_11target_archE908ELNS1_3gpuE7ELNS1_3repE0EEENS1_30default_config_static_selectorELNS0_4arch9wavefront6targetE1EEEvT1_
; %bb.0:
	.section	.rodata,"a",@progbits
	.p2align	6, 0x0
	.amdhsa_kernel _ZN7rocprim17ROCPRIM_400000_NS6detail17trampoline_kernelINS0_14default_configENS1_20scan_config_selectorIxEEZZNS1_9scan_implILNS1_25lookback_scan_determinismE0ELb0ELb0ES3_N6thrust23THRUST_200600_302600_NS6detail15normal_iteratorINS9_10device_ptrIxEEEENS9_16discard_iteratorINS9_11use_defaultEEEx11max_functorIxExEEDaPvRmT3_T4_T5_mT6_P12ihipStream_tbENKUlT_T0_E_clISt17integral_constantIbLb1EESX_EEDaSS_ST_EUlSS_E_NS1_11comp_targetILNS1_3genE3ELNS1_11target_archE908ELNS1_3gpuE7ELNS1_3repE0EEENS1_30default_config_static_selectorELNS0_4arch9wavefront6targetE1EEEvT1_
		.amdhsa_group_segment_fixed_size 0
		.amdhsa_private_segment_fixed_size 0
		.amdhsa_kernarg_size 112
		.amdhsa_user_sgpr_count 6
		.amdhsa_user_sgpr_private_segment_buffer 1
		.amdhsa_user_sgpr_dispatch_ptr 0
		.amdhsa_user_sgpr_queue_ptr 0
		.amdhsa_user_sgpr_kernarg_segment_ptr 1
		.amdhsa_user_sgpr_dispatch_id 0
		.amdhsa_user_sgpr_flat_scratch_init 0
		.amdhsa_user_sgpr_kernarg_preload_length 0
		.amdhsa_user_sgpr_kernarg_preload_offset 0
		.amdhsa_user_sgpr_private_segment_size 0
		.amdhsa_uses_dynamic_stack 0
		.amdhsa_system_sgpr_private_segment_wavefront_offset 0
		.amdhsa_system_sgpr_workgroup_id_x 1
		.amdhsa_system_sgpr_workgroup_id_y 0
		.amdhsa_system_sgpr_workgroup_id_z 0
		.amdhsa_system_sgpr_workgroup_info 0
		.amdhsa_system_vgpr_workitem_id 0
		.amdhsa_next_free_vgpr 1
		.amdhsa_next_free_sgpr 0
		.amdhsa_accum_offset 4
		.amdhsa_reserve_vcc 0
		.amdhsa_reserve_flat_scratch 0
		.amdhsa_float_round_mode_32 0
		.amdhsa_float_round_mode_16_64 0
		.amdhsa_float_denorm_mode_32 3
		.amdhsa_float_denorm_mode_16_64 3
		.amdhsa_dx10_clamp 1
		.amdhsa_ieee_mode 1
		.amdhsa_fp16_overflow 0
		.amdhsa_tg_split 0
		.amdhsa_exception_fp_ieee_invalid_op 0
		.amdhsa_exception_fp_denorm_src 0
		.amdhsa_exception_fp_ieee_div_zero 0
		.amdhsa_exception_fp_ieee_overflow 0
		.amdhsa_exception_fp_ieee_underflow 0
		.amdhsa_exception_fp_ieee_inexact 0
		.amdhsa_exception_int_div_zero 0
	.end_amdhsa_kernel
	.section	.text._ZN7rocprim17ROCPRIM_400000_NS6detail17trampoline_kernelINS0_14default_configENS1_20scan_config_selectorIxEEZZNS1_9scan_implILNS1_25lookback_scan_determinismE0ELb0ELb0ES3_N6thrust23THRUST_200600_302600_NS6detail15normal_iteratorINS9_10device_ptrIxEEEENS9_16discard_iteratorINS9_11use_defaultEEEx11max_functorIxExEEDaPvRmT3_T4_T5_mT6_P12ihipStream_tbENKUlT_T0_E_clISt17integral_constantIbLb1EESX_EEDaSS_ST_EUlSS_E_NS1_11comp_targetILNS1_3genE3ELNS1_11target_archE908ELNS1_3gpuE7ELNS1_3repE0EEENS1_30default_config_static_selectorELNS0_4arch9wavefront6targetE1EEEvT1_,"axG",@progbits,_ZN7rocprim17ROCPRIM_400000_NS6detail17trampoline_kernelINS0_14default_configENS1_20scan_config_selectorIxEEZZNS1_9scan_implILNS1_25lookback_scan_determinismE0ELb0ELb0ES3_N6thrust23THRUST_200600_302600_NS6detail15normal_iteratorINS9_10device_ptrIxEEEENS9_16discard_iteratorINS9_11use_defaultEEEx11max_functorIxExEEDaPvRmT3_T4_T5_mT6_P12ihipStream_tbENKUlT_T0_E_clISt17integral_constantIbLb1EESX_EEDaSS_ST_EUlSS_E_NS1_11comp_targetILNS1_3genE3ELNS1_11target_archE908ELNS1_3gpuE7ELNS1_3repE0EEENS1_30default_config_static_selectorELNS0_4arch9wavefront6targetE1EEEvT1_,comdat
.Lfunc_end3731:
	.size	_ZN7rocprim17ROCPRIM_400000_NS6detail17trampoline_kernelINS0_14default_configENS1_20scan_config_selectorIxEEZZNS1_9scan_implILNS1_25lookback_scan_determinismE0ELb0ELb0ES3_N6thrust23THRUST_200600_302600_NS6detail15normal_iteratorINS9_10device_ptrIxEEEENS9_16discard_iteratorINS9_11use_defaultEEEx11max_functorIxExEEDaPvRmT3_T4_T5_mT6_P12ihipStream_tbENKUlT_T0_E_clISt17integral_constantIbLb1EESX_EEDaSS_ST_EUlSS_E_NS1_11comp_targetILNS1_3genE3ELNS1_11target_archE908ELNS1_3gpuE7ELNS1_3repE0EEENS1_30default_config_static_selectorELNS0_4arch9wavefront6targetE1EEEvT1_, .Lfunc_end3731-_ZN7rocprim17ROCPRIM_400000_NS6detail17trampoline_kernelINS0_14default_configENS1_20scan_config_selectorIxEEZZNS1_9scan_implILNS1_25lookback_scan_determinismE0ELb0ELb0ES3_N6thrust23THRUST_200600_302600_NS6detail15normal_iteratorINS9_10device_ptrIxEEEENS9_16discard_iteratorINS9_11use_defaultEEEx11max_functorIxExEEDaPvRmT3_T4_T5_mT6_P12ihipStream_tbENKUlT_T0_E_clISt17integral_constantIbLb1EESX_EEDaSS_ST_EUlSS_E_NS1_11comp_targetILNS1_3genE3ELNS1_11target_archE908ELNS1_3gpuE7ELNS1_3repE0EEENS1_30default_config_static_selectorELNS0_4arch9wavefront6targetE1EEEvT1_
                                        ; -- End function
	.section	.AMDGPU.csdata,"",@progbits
; Kernel info:
; codeLenInByte = 0
; NumSgprs: 4
; NumVgprs: 0
; NumAgprs: 0
; TotalNumVgprs: 0
; ScratchSize: 0
; MemoryBound: 0
; FloatMode: 240
; IeeeMode: 1
; LDSByteSize: 0 bytes/workgroup (compile time only)
; SGPRBlocks: 0
; VGPRBlocks: 0
; NumSGPRsForWavesPerEU: 4
; NumVGPRsForWavesPerEU: 1
; AccumOffset: 4
; Occupancy: 8
; WaveLimiterHint : 0
; COMPUTE_PGM_RSRC2:SCRATCH_EN: 0
; COMPUTE_PGM_RSRC2:USER_SGPR: 6
; COMPUTE_PGM_RSRC2:TRAP_HANDLER: 0
; COMPUTE_PGM_RSRC2:TGID_X_EN: 1
; COMPUTE_PGM_RSRC2:TGID_Y_EN: 0
; COMPUTE_PGM_RSRC2:TGID_Z_EN: 0
; COMPUTE_PGM_RSRC2:TIDIG_COMP_CNT: 0
; COMPUTE_PGM_RSRC3_GFX90A:ACCUM_OFFSET: 0
; COMPUTE_PGM_RSRC3_GFX90A:TG_SPLIT: 0
	.section	.text._ZN7rocprim17ROCPRIM_400000_NS6detail17trampoline_kernelINS0_14default_configENS1_20scan_config_selectorIxEEZZNS1_9scan_implILNS1_25lookback_scan_determinismE0ELb0ELb0ES3_N6thrust23THRUST_200600_302600_NS6detail15normal_iteratorINS9_10device_ptrIxEEEENS9_16discard_iteratorINS9_11use_defaultEEEx11max_functorIxExEEDaPvRmT3_T4_T5_mT6_P12ihipStream_tbENKUlT_T0_E_clISt17integral_constantIbLb1EESX_EEDaSS_ST_EUlSS_E_NS1_11comp_targetILNS1_3genE2ELNS1_11target_archE906ELNS1_3gpuE6ELNS1_3repE0EEENS1_30default_config_static_selectorELNS0_4arch9wavefront6targetE1EEEvT1_,"axG",@progbits,_ZN7rocprim17ROCPRIM_400000_NS6detail17trampoline_kernelINS0_14default_configENS1_20scan_config_selectorIxEEZZNS1_9scan_implILNS1_25lookback_scan_determinismE0ELb0ELb0ES3_N6thrust23THRUST_200600_302600_NS6detail15normal_iteratorINS9_10device_ptrIxEEEENS9_16discard_iteratorINS9_11use_defaultEEEx11max_functorIxExEEDaPvRmT3_T4_T5_mT6_P12ihipStream_tbENKUlT_T0_E_clISt17integral_constantIbLb1EESX_EEDaSS_ST_EUlSS_E_NS1_11comp_targetILNS1_3genE2ELNS1_11target_archE906ELNS1_3gpuE6ELNS1_3repE0EEENS1_30default_config_static_selectorELNS0_4arch9wavefront6targetE1EEEvT1_,comdat
	.protected	_ZN7rocprim17ROCPRIM_400000_NS6detail17trampoline_kernelINS0_14default_configENS1_20scan_config_selectorIxEEZZNS1_9scan_implILNS1_25lookback_scan_determinismE0ELb0ELb0ES3_N6thrust23THRUST_200600_302600_NS6detail15normal_iteratorINS9_10device_ptrIxEEEENS9_16discard_iteratorINS9_11use_defaultEEEx11max_functorIxExEEDaPvRmT3_T4_T5_mT6_P12ihipStream_tbENKUlT_T0_E_clISt17integral_constantIbLb1EESX_EEDaSS_ST_EUlSS_E_NS1_11comp_targetILNS1_3genE2ELNS1_11target_archE906ELNS1_3gpuE6ELNS1_3repE0EEENS1_30default_config_static_selectorELNS0_4arch9wavefront6targetE1EEEvT1_ ; -- Begin function _ZN7rocprim17ROCPRIM_400000_NS6detail17trampoline_kernelINS0_14default_configENS1_20scan_config_selectorIxEEZZNS1_9scan_implILNS1_25lookback_scan_determinismE0ELb0ELb0ES3_N6thrust23THRUST_200600_302600_NS6detail15normal_iteratorINS9_10device_ptrIxEEEENS9_16discard_iteratorINS9_11use_defaultEEEx11max_functorIxExEEDaPvRmT3_T4_T5_mT6_P12ihipStream_tbENKUlT_T0_E_clISt17integral_constantIbLb1EESX_EEDaSS_ST_EUlSS_E_NS1_11comp_targetILNS1_3genE2ELNS1_11target_archE906ELNS1_3gpuE6ELNS1_3repE0EEENS1_30default_config_static_selectorELNS0_4arch9wavefront6targetE1EEEvT1_
	.globl	_ZN7rocprim17ROCPRIM_400000_NS6detail17trampoline_kernelINS0_14default_configENS1_20scan_config_selectorIxEEZZNS1_9scan_implILNS1_25lookback_scan_determinismE0ELb0ELb0ES3_N6thrust23THRUST_200600_302600_NS6detail15normal_iteratorINS9_10device_ptrIxEEEENS9_16discard_iteratorINS9_11use_defaultEEEx11max_functorIxExEEDaPvRmT3_T4_T5_mT6_P12ihipStream_tbENKUlT_T0_E_clISt17integral_constantIbLb1EESX_EEDaSS_ST_EUlSS_E_NS1_11comp_targetILNS1_3genE2ELNS1_11target_archE906ELNS1_3gpuE6ELNS1_3repE0EEENS1_30default_config_static_selectorELNS0_4arch9wavefront6targetE1EEEvT1_
	.p2align	8
	.type	_ZN7rocprim17ROCPRIM_400000_NS6detail17trampoline_kernelINS0_14default_configENS1_20scan_config_selectorIxEEZZNS1_9scan_implILNS1_25lookback_scan_determinismE0ELb0ELb0ES3_N6thrust23THRUST_200600_302600_NS6detail15normal_iteratorINS9_10device_ptrIxEEEENS9_16discard_iteratorINS9_11use_defaultEEEx11max_functorIxExEEDaPvRmT3_T4_T5_mT6_P12ihipStream_tbENKUlT_T0_E_clISt17integral_constantIbLb1EESX_EEDaSS_ST_EUlSS_E_NS1_11comp_targetILNS1_3genE2ELNS1_11target_archE906ELNS1_3gpuE6ELNS1_3repE0EEENS1_30default_config_static_selectorELNS0_4arch9wavefront6targetE1EEEvT1_,@function
_ZN7rocprim17ROCPRIM_400000_NS6detail17trampoline_kernelINS0_14default_configENS1_20scan_config_selectorIxEEZZNS1_9scan_implILNS1_25lookback_scan_determinismE0ELb0ELb0ES3_N6thrust23THRUST_200600_302600_NS6detail15normal_iteratorINS9_10device_ptrIxEEEENS9_16discard_iteratorINS9_11use_defaultEEEx11max_functorIxExEEDaPvRmT3_T4_T5_mT6_P12ihipStream_tbENKUlT_T0_E_clISt17integral_constantIbLb1EESX_EEDaSS_ST_EUlSS_E_NS1_11comp_targetILNS1_3genE2ELNS1_11target_archE906ELNS1_3gpuE6ELNS1_3repE0EEENS1_30default_config_static_selectorELNS0_4arch9wavefront6targetE1EEEvT1_: ; @_ZN7rocprim17ROCPRIM_400000_NS6detail17trampoline_kernelINS0_14default_configENS1_20scan_config_selectorIxEEZZNS1_9scan_implILNS1_25lookback_scan_determinismE0ELb0ELb0ES3_N6thrust23THRUST_200600_302600_NS6detail15normal_iteratorINS9_10device_ptrIxEEEENS9_16discard_iteratorINS9_11use_defaultEEEx11max_functorIxExEEDaPvRmT3_T4_T5_mT6_P12ihipStream_tbENKUlT_T0_E_clISt17integral_constantIbLb1EESX_EEDaSS_ST_EUlSS_E_NS1_11comp_targetILNS1_3genE2ELNS1_11target_archE906ELNS1_3gpuE6ELNS1_3repE0EEENS1_30default_config_static_selectorELNS0_4arch9wavefront6targetE1EEEvT1_
; %bb.0:
	.section	.rodata,"a",@progbits
	.p2align	6, 0x0
	.amdhsa_kernel _ZN7rocprim17ROCPRIM_400000_NS6detail17trampoline_kernelINS0_14default_configENS1_20scan_config_selectorIxEEZZNS1_9scan_implILNS1_25lookback_scan_determinismE0ELb0ELb0ES3_N6thrust23THRUST_200600_302600_NS6detail15normal_iteratorINS9_10device_ptrIxEEEENS9_16discard_iteratorINS9_11use_defaultEEEx11max_functorIxExEEDaPvRmT3_T4_T5_mT6_P12ihipStream_tbENKUlT_T0_E_clISt17integral_constantIbLb1EESX_EEDaSS_ST_EUlSS_E_NS1_11comp_targetILNS1_3genE2ELNS1_11target_archE906ELNS1_3gpuE6ELNS1_3repE0EEENS1_30default_config_static_selectorELNS0_4arch9wavefront6targetE1EEEvT1_
		.amdhsa_group_segment_fixed_size 0
		.amdhsa_private_segment_fixed_size 0
		.amdhsa_kernarg_size 112
		.amdhsa_user_sgpr_count 6
		.amdhsa_user_sgpr_private_segment_buffer 1
		.amdhsa_user_sgpr_dispatch_ptr 0
		.amdhsa_user_sgpr_queue_ptr 0
		.amdhsa_user_sgpr_kernarg_segment_ptr 1
		.amdhsa_user_sgpr_dispatch_id 0
		.amdhsa_user_sgpr_flat_scratch_init 0
		.amdhsa_user_sgpr_kernarg_preload_length 0
		.amdhsa_user_sgpr_kernarg_preload_offset 0
		.amdhsa_user_sgpr_private_segment_size 0
		.amdhsa_uses_dynamic_stack 0
		.amdhsa_system_sgpr_private_segment_wavefront_offset 0
		.amdhsa_system_sgpr_workgroup_id_x 1
		.amdhsa_system_sgpr_workgroup_id_y 0
		.amdhsa_system_sgpr_workgroup_id_z 0
		.amdhsa_system_sgpr_workgroup_info 0
		.amdhsa_system_vgpr_workitem_id 0
		.amdhsa_next_free_vgpr 1
		.amdhsa_next_free_sgpr 0
		.amdhsa_accum_offset 4
		.amdhsa_reserve_vcc 0
		.amdhsa_reserve_flat_scratch 0
		.amdhsa_float_round_mode_32 0
		.amdhsa_float_round_mode_16_64 0
		.amdhsa_float_denorm_mode_32 3
		.amdhsa_float_denorm_mode_16_64 3
		.amdhsa_dx10_clamp 1
		.amdhsa_ieee_mode 1
		.amdhsa_fp16_overflow 0
		.amdhsa_tg_split 0
		.amdhsa_exception_fp_ieee_invalid_op 0
		.amdhsa_exception_fp_denorm_src 0
		.amdhsa_exception_fp_ieee_div_zero 0
		.amdhsa_exception_fp_ieee_overflow 0
		.amdhsa_exception_fp_ieee_underflow 0
		.amdhsa_exception_fp_ieee_inexact 0
		.amdhsa_exception_int_div_zero 0
	.end_amdhsa_kernel
	.section	.text._ZN7rocprim17ROCPRIM_400000_NS6detail17trampoline_kernelINS0_14default_configENS1_20scan_config_selectorIxEEZZNS1_9scan_implILNS1_25lookback_scan_determinismE0ELb0ELb0ES3_N6thrust23THRUST_200600_302600_NS6detail15normal_iteratorINS9_10device_ptrIxEEEENS9_16discard_iteratorINS9_11use_defaultEEEx11max_functorIxExEEDaPvRmT3_T4_T5_mT6_P12ihipStream_tbENKUlT_T0_E_clISt17integral_constantIbLb1EESX_EEDaSS_ST_EUlSS_E_NS1_11comp_targetILNS1_3genE2ELNS1_11target_archE906ELNS1_3gpuE6ELNS1_3repE0EEENS1_30default_config_static_selectorELNS0_4arch9wavefront6targetE1EEEvT1_,"axG",@progbits,_ZN7rocprim17ROCPRIM_400000_NS6detail17trampoline_kernelINS0_14default_configENS1_20scan_config_selectorIxEEZZNS1_9scan_implILNS1_25lookback_scan_determinismE0ELb0ELb0ES3_N6thrust23THRUST_200600_302600_NS6detail15normal_iteratorINS9_10device_ptrIxEEEENS9_16discard_iteratorINS9_11use_defaultEEEx11max_functorIxExEEDaPvRmT3_T4_T5_mT6_P12ihipStream_tbENKUlT_T0_E_clISt17integral_constantIbLb1EESX_EEDaSS_ST_EUlSS_E_NS1_11comp_targetILNS1_3genE2ELNS1_11target_archE906ELNS1_3gpuE6ELNS1_3repE0EEENS1_30default_config_static_selectorELNS0_4arch9wavefront6targetE1EEEvT1_,comdat
.Lfunc_end3732:
	.size	_ZN7rocprim17ROCPRIM_400000_NS6detail17trampoline_kernelINS0_14default_configENS1_20scan_config_selectorIxEEZZNS1_9scan_implILNS1_25lookback_scan_determinismE0ELb0ELb0ES3_N6thrust23THRUST_200600_302600_NS6detail15normal_iteratorINS9_10device_ptrIxEEEENS9_16discard_iteratorINS9_11use_defaultEEEx11max_functorIxExEEDaPvRmT3_T4_T5_mT6_P12ihipStream_tbENKUlT_T0_E_clISt17integral_constantIbLb1EESX_EEDaSS_ST_EUlSS_E_NS1_11comp_targetILNS1_3genE2ELNS1_11target_archE906ELNS1_3gpuE6ELNS1_3repE0EEENS1_30default_config_static_selectorELNS0_4arch9wavefront6targetE1EEEvT1_, .Lfunc_end3732-_ZN7rocprim17ROCPRIM_400000_NS6detail17trampoline_kernelINS0_14default_configENS1_20scan_config_selectorIxEEZZNS1_9scan_implILNS1_25lookback_scan_determinismE0ELb0ELb0ES3_N6thrust23THRUST_200600_302600_NS6detail15normal_iteratorINS9_10device_ptrIxEEEENS9_16discard_iteratorINS9_11use_defaultEEEx11max_functorIxExEEDaPvRmT3_T4_T5_mT6_P12ihipStream_tbENKUlT_T0_E_clISt17integral_constantIbLb1EESX_EEDaSS_ST_EUlSS_E_NS1_11comp_targetILNS1_3genE2ELNS1_11target_archE906ELNS1_3gpuE6ELNS1_3repE0EEENS1_30default_config_static_selectorELNS0_4arch9wavefront6targetE1EEEvT1_
                                        ; -- End function
	.section	.AMDGPU.csdata,"",@progbits
; Kernel info:
; codeLenInByte = 0
; NumSgprs: 4
; NumVgprs: 0
; NumAgprs: 0
; TotalNumVgprs: 0
; ScratchSize: 0
; MemoryBound: 0
; FloatMode: 240
; IeeeMode: 1
; LDSByteSize: 0 bytes/workgroup (compile time only)
; SGPRBlocks: 0
; VGPRBlocks: 0
; NumSGPRsForWavesPerEU: 4
; NumVGPRsForWavesPerEU: 1
; AccumOffset: 4
; Occupancy: 8
; WaveLimiterHint : 0
; COMPUTE_PGM_RSRC2:SCRATCH_EN: 0
; COMPUTE_PGM_RSRC2:USER_SGPR: 6
; COMPUTE_PGM_RSRC2:TRAP_HANDLER: 0
; COMPUTE_PGM_RSRC2:TGID_X_EN: 1
; COMPUTE_PGM_RSRC2:TGID_Y_EN: 0
; COMPUTE_PGM_RSRC2:TGID_Z_EN: 0
; COMPUTE_PGM_RSRC2:TIDIG_COMP_CNT: 0
; COMPUTE_PGM_RSRC3_GFX90A:ACCUM_OFFSET: 0
; COMPUTE_PGM_RSRC3_GFX90A:TG_SPLIT: 0
	.section	.text._ZN7rocprim17ROCPRIM_400000_NS6detail17trampoline_kernelINS0_14default_configENS1_20scan_config_selectorIxEEZZNS1_9scan_implILNS1_25lookback_scan_determinismE0ELb0ELb0ES3_N6thrust23THRUST_200600_302600_NS6detail15normal_iteratorINS9_10device_ptrIxEEEENS9_16discard_iteratorINS9_11use_defaultEEEx11max_functorIxExEEDaPvRmT3_T4_T5_mT6_P12ihipStream_tbENKUlT_T0_E_clISt17integral_constantIbLb1EESX_EEDaSS_ST_EUlSS_E_NS1_11comp_targetILNS1_3genE10ELNS1_11target_archE1201ELNS1_3gpuE5ELNS1_3repE0EEENS1_30default_config_static_selectorELNS0_4arch9wavefront6targetE1EEEvT1_,"axG",@progbits,_ZN7rocprim17ROCPRIM_400000_NS6detail17trampoline_kernelINS0_14default_configENS1_20scan_config_selectorIxEEZZNS1_9scan_implILNS1_25lookback_scan_determinismE0ELb0ELb0ES3_N6thrust23THRUST_200600_302600_NS6detail15normal_iteratorINS9_10device_ptrIxEEEENS9_16discard_iteratorINS9_11use_defaultEEEx11max_functorIxExEEDaPvRmT3_T4_T5_mT6_P12ihipStream_tbENKUlT_T0_E_clISt17integral_constantIbLb1EESX_EEDaSS_ST_EUlSS_E_NS1_11comp_targetILNS1_3genE10ELNS1_11target_archE1201ELNS1_3gpuE5ELNS1_3repE0EEENS1_30default_config_static_selectorELNS0_4arch9wavefront6targetE1EEEvT1_,comdat
	.protected	_ZN7rocprim17ROCPRIM_400000_NS6detail17trampoline_kernelINS0_14default_configENS1_20scan_config_selectorIxEEZZNS1_9scan_implILNS1_25lookback_scan_determinismE0ELb0ELb0ES3_N6thrust23THRUST_200600_302600_NS6detail15normal_iteratorINS9_10device_ptrIxEEEENS9_16discard_iteratorINS9_11use_defaultEEEx11max_functorIxExEEDaPvRmT3_T4_T5_mT6_P12ihipStream_tbENKUlT_T0_E_clISt17integral_constantIbLb1EESX_EEDaSS_ST_EUlSS_E_NS1_11comp_targetILNS1_3genE10ELNS1_11target_archE1201ELNS1_3gpuE5ELNS1_3repE0EEENS1_30default_config_static_selectorELNS0_4arch9wavefront6targetE1EEEvT1_ ; -- Begin function _ZN7rocprim17ROCPRIM_400000_NS6detail17trampoline_kernelINS0_14default_configENS1_20scan_config_selectorIxEEZZNS1_9scan_implILNS1_25lookback_scan_determinismE0ELb0ELb0ES3_N6thrust23THRUST_200600_302600_NS6detail15normal_iteratorINS9_10device_ptrIxEEEENS9_16discard_iteratorINS9_11use_defaultEEEx11max_functorIxExEEDaPvRmT3_T4_T5_mT6_P12ihipStream_tbENKUlT_T0_E_clISt17integral_constantIbLb1EESX_EEDaSS_ST_EUlSS_E_NS1_11comp_targetILNS1_3genE10ELNS1_11target_archE1201ELNS1_3gpuE5ELNS1_3repE0EEENS1_30default_config_static_selectorELNS0_4arch9wavefront6targetE1EEEvT1_
	.globl	_ZN7rocprim17ROCPRIM_400000_NS6detail17trampoline_kernelINS0_14default_configENS1_20scan_config_selectorIxEEZZNS1_9scan_implILNS1_25lookback_scan_determinismE0ELb0ELb0ES3_N6thrust23THRUST_200600_302600_NS6detail15normal_iteratorINS9_10device_ptrIxEEEENS9_16discard_iteratorINS9_11use_defaultEEEx11max_functorIxExEEDaPvRmT3_T4_T5_mT6_P12ihipStream_tbENKUlT_T0_E_clISt17integral_constantIbLb1EESX_EEDaSS_ST_EUlSS_E_NS1_11comp_targetILNS1_3genE10ELNS1_11target_archE1201ELNS1_3gpuE5ELNS1_3repE0EEENS1_30default_config_static_selectorELNS0_4arch9wavefront6targetE1EEEvT1_
	.p2align	8
	.type	_ZN7rocprim17ROCPRIM_400000_NS6detail17trampoline_kernelINS0_14default_configENS1_20scan_config_selectorIxEEZZNS1_9scan_implILNS1_25lookback_scan_determinismE0ELb0ELb0ES3_N6thrust23THRUST_200600_302600_NS6detail15normal_iteratorINS9_10device_ptrIxEEEENS9_16discard_iteratorINS9_11use_defaultEEEx11max_functorIxExEEDaPvRmT3_T4_T5_mT6_P12ihipStream_tbENKUlT_T0_E_clISt17integral_constantIbLb1EESX_EEDaSS_ST_EUlSS_E_NS1_11comp_targetILNS1_3genE10ELNS1_11target_archE1201ELNS1_3gpuE5ELNS1_3repE0EEENS1_30default_config_static_selectorELNS0_4arch9wavefront6targetE1EEEvT1_,@function
_ZN7rocprim17ROCPRIM_400000_NS6detail17trampoline_kernelINS0_14default_configENS1_20scan_config_selectorIxEEZZNS1_9scan_implILNS1_25lookback_scan_determinismE0ELb0ELb0ES3_N6thrust23THRUST_200600_302600_NS6detail15normal_iteratorINS9_10device_ptrIxEEEENS9_16discard_iteratorINS9_11use_defaultEEEx11max_functorIxExEEDaPvRmT3_T4_T5_mT6_P12ihipStream_tbENKUlT_T0_E_clISt17integral_constantIbLb1EESX_EEDaSS_ST_EUlSS_E_NS1_11comp_targetILNS1_3genE10ELNS1_11target_archE1201ELNS1_3gpuE5ELNS1_3repE0EEENS1_30default_config_static_selectorELNS0_4arch9wavefront6targetE1EEEvT1_: ; @_ZN7rocprim17ROCPRIM_400000_NS6detail17trampoline_kernelINS0_14default_configENS1_20scan_config_selectorIxEEZZNS1_9scan_implILNS1_25lookback_scan_determinismE0ELb0ELb0ES3_N6thrust23THRUST_200600_302600_NS6detail15normal_iteratorINS9_10device_ptrIxEEEENS9_16discard_iteratorINS9_11use_defaultEEEx11max_functorIxExEEDaPvRmT3_T4_T5_mT6_P12ihipStream_tbENKUlT_T0_E_clISt17integral_constantIbLb1EESX_EEDaSS_ST_EUlSS_E_NS1_11comp_targetILNS1_3genE10ELNS1_11target_archE1201ELNS1_3gpuE5ELNS1_3repE0EEENS1_30default_config_static_selectorELNS0_4arch9wavefront6targetE1EEEvT1_
; %bb.0:
	.section	.rodata,"a",@progbits
	.p2align	6, 0x0
	.amdhsa_kernel _ZN7rocprim17ROCPRIM_400000_NS6detail17trampoline_kernelINS0_14default_configENS1_20scan_config_selectorIxEEZZNS1_9scan_implILNS1_25lookback_scan_determinismE0ELb0ELb0ES3_N6thrust23THRUST_200600_302600_NS6detail15normal_iteratorINS9_10device_ptrIxEEEENS9_16discard_iteratorINS9_11use_defaultEEEx11max_functorIxExEEDaPvRmT3_T4_T5_mT6_P12ihipStream_tbENKUlT_T0_E_clISt17integral_constantIbLb1EESX_EEDaSS_ST_EUlSS_E_NS1_11comp_targetILNS1_3genE10ELNS1_11target_archE1201ELNS1_3gpuE5ELNS1_3repE0EEENS1_30default_config_static_selectorELNS0_4arch9wavefront6targetE1EEEvT1_
		.amdhsa_group_segment_fixed_size 0
		.amdhsa_private_segment_fixed_size 0
		.amdhsa_kernarg_size 112
		.amdhsa_user_sgpr_count 6
		.amdhsa_user_sgpr_private_segment_buffer 1
		.amdhsa_user_sgpr_dispatch_ptr 0
		.amdhsa_user_sgpr_queue_ptr 0
		.amdhsa_user_sgpr_kernarg_segment_ptr 1
		.amdhsa_user_sgpr_dispatch_id 0
		.amdhsa_user_sgpr_flat_scratch_init 0
		.amdhsa_user_sgpr_kernarg_preload_length 0
		.amdhsa_user_sgpr_kernarg_preload_offset 0
		.amdhsa_user_sgpr_private_segment_size 0
		.amdhsa_uses_dynamic_stack 0
		.amdhsa_system_sgpr_private_segment_wavefront_offset 0
		.amdhsa_system_sgpr_workgroup_id_x 1
		.amdhsa_system_sgpr_workgroup_id_y 0
		.amdhsa_system_sgpr_workgroup_id_z 0
		.amdhsa_system_sgpr_workgroup_info 0
		.amdhsa_system_vgpr_workitem_id 0
		.amdhsa_next_free_vgpr 1
		.amdhsa_next_free_sgpr 0
		.amdhsa_accum_offset 4
		.amdhsa_reserve_vcc 0
		.amdhsa_reserve_flat_scratch 0
		.amdhsa_float_round_mode_32 0
		.amdhsa_float_round_mode_16_64 0
		.amdhsa_float_denorm_mode_32 3
		.amdhsa_float_denorm_mode_16_64 3
		.amdhsa_dx10_clamp 1
		.amdhsa_ieee_mode 1
		.amdhsa_fp16_overflow 0
		.amdhsa_tg_split 0
		.amdhsa_exception_fp_ieee_invalid_op 0
		.amdhsa_exception_fp_denorm_src 0
		.amdhsa_exception_fp_ieee_div_zero 0
		.amdhsa_exception_fp_ieee_overflow 0
		.amdhsa_exception_fp_ieee_underflow 0
		.amdhsa_exception_fp_ieee_inexact 0
		.amdhsa_exception_int_div_zero 0
	.end_amdhsa_kernel
	.section	.text._ZN7rocprim17ROCPRIM_400000_NS6detail17trampoline_kernelINS0_14default_configENS1_20scan_config_selectorIxEEZZNS1_9scan_implILNS1_25lookback_scan_determinismE0ELb0ELb0ES3_N6thrust23THRUST_200600_302600_NS6detail15normal_iteratorINS9_10device_ptrIxEEEENS9_16discard_iteratorINS9_11use_defaultEEEx11max_functorIxExEEDaPvRmT3_T4_T5_mT6_P12ihipStream_tbENKUlT_T0_E_clISt17integral_constantIbLb1EESX_EEDaSS_ST_EUlSS_E_NS1_11comp_targetILNS1_3genE10ELNS1_11target_archE1201ELNS1_3gpuE5ELNS1_3repE0EEENS1_30default_config_static_selectorELNS0_4arch9wavefront6targetE1EEEvT1_,"axG",@progbits,_ZN7rocprim17ROCPRIM_400000_NS6detail17trampoline_kernelINS0_14default_configENS1_20scan_config_selectorIxEEZZNS1_9scan_implILNS1_25lookback_scan_determinismE0ELb0ELb0ES3_N6thrust23THRUST_200600_302600_NS6detail15normal_iteratorINS9_10device_ptrIxEEEENS9_16discard_iteratorINS9_11use_defaultEEEx11max_functorIxExEEDaPvRmT3_T4_T5_mT6_P12ihipStream_tbENKUlT_T0_E_clISt17integral_constantIbLb1EESX_EEDaSS_ST_EUlSS_E_NS1_11comp_targetILNS1_3genE10ELNS1_11target_archE1201ELNS1_3gpuE5ELNS1_3repE0EEENS1_30default_config_static_selectorELNS0_4arch9wavefront6targetE1EEEvT1_,comdat
.Lfunc_end3733:
	.size	_ZN7rocprim17ROCPRIM_400000_NS6detail17trampoline_kernelINS0_14default_configENS1_20scan_config_selectorIxEEZZNS1_9scan_implILNS1_25lookback_scan_determinismE0ELb0ELb0ES3_N6thrust23THRUST_200600_302600_NS6detail15normal_iteratorINS9_10device_ptrIxEEEENS9_16discard_iteratorINS9_11use_defaultEEEx11max_functorIxExEEDaPvRmT3_T4_T5_mT6_P12ihipStream_tbENKUlT_T0_E_clISt17integral_constantIbLb1EESX_EEDaSS_ST_EUlSS_E_NS1_11comp_targetILNS1_3genE10ELNS1_11target_archE1201ELNS1_3gpuE5ELNS1_3repE0EEENS1_30default_config_static_selectorELNS0_4arch9wavefront6targetE1EEEvT1_, .Lfunc_end3733-_ZN7rocprim17ROCPRIM_400000_NS6detail17trampoline_kernelINS0_14default_configENS1_20scan_config_selectorIxEEZZNS1_9scan_implILNS1_25lookback_scan_determinismE0ELb0ELb0ES3_N6thrust23THRUST_200600_302600_NS6detail15normal_iteratorINS9_10device_ptrIxEEEENS9_16discard_iteratorINS9_11use_defaultEEEx11max_functorIxExEEDaPvRmT3_T4_T5_mT6_P12ihipStream_tbENKUlT_T0_E_clISt17integral_constantIbLb1EESX_EEDaSS_ST_EUlSS_E_NS1_11comp_targetILNS1_3genE10ELNS1_11target_archE1201ELNS1_3gpuE5ELNS1_3repE0EEENS1_30default_config_static_selectorELNS0_4arch9wavefront6targetE1EEEvT1_
                                        ; -- End function
	.section	.AMDGPU.csdata,"",@progbits
; Kernel info:
; codeLenInByte = 0
; NumSgprs: 4
; NumVgprs: 0
; NumAgprs: 0
; TotalNumVgprs: 0
; ScratchSize: 0
; MemoryBound: 0
; FloatMode: 240
; IeeeMode: 1
; LDSByteSize: 0 bytes/workgroup (compile time only)
; SGPRBlocks: 0
; VGPRBlocks: 0
; NumSGPRsForWavesPerEU: 4
; NumVGPRsForWavesPerEU: 1
; AccumOffset: 4
; Occupancy: 8
; WaveLimiterHint : 0
; COMPUTE_PGM_RSRC2:SCRATCH_EN: 0
; COMPUTE_PGM_RSRC2:USER_SGPR: 6
; COMPUTE_PGM_RSRC2:TRAP_HANDLER: 0
; COMPUTE_PGM_RSRC2:TGID_X_EN: 1
; COMPUTE_PGM_RSRC2:TGID_Y_EN: 0
; COMPUTE_PGM_RSRC2:TGID_Z_EN: 0
; COMPUTE_PGM_RSRC2:TIDIG_COMP_CNT: 0
; COMPUTE_PGM_RSRC3_GFX90A:ACCUM_OFFSET: 0
; COMPUTE_PGM_RSRC3_GFX90A:TG_SPLIT: 0
	.section	.text._ZN7rocprim17ROCPRIM_400000_NS6detail17trampoline_kernelINS0_14default_configENS1_20scan_config_selectorIxEEZZNS1_9scan_implILNS1_25lookback_scan_determinismE0ELb0ELb0ES3_N6thrust23THRUST_200600_302600_NS6detail15normal_iteratorINS9_10device_ptrIxEEEENS9_16discard_iteratorINS9_11use_defaultEEEx11max_functorIxExEEDaPvRmT3_T4_T5_mT6_P12ihipStream_tbENKUlT_T0_E_clISt17integral_constantIbLb1EESX_EEDaSS_ST_EUlSS_E_NS1_11comp_targetILNS1_3genE10ELNS1_11target_archE1200ELNS1_3gpuE4ELNS1_3repE0EEENS1_30default_config_static_selectorELNS0_4arch9wavefront6targetE1EEEvT1_,"axG",@progbits,_ZN7rocprim17ROCPRIM_400000_NS6detail17trampoline_kernelINS0_14default_configENS1_20scan_config_selectorIxEEZZNS1_9scan_implILNS1_25lookback_scan_determinismE0ELb0ELb0ES3_N6thrust23THRUST_200600_302600_NS6detail15normal_iteratorINS9_10device_ptrIxEEEENS9_16discard_iteratorINS9_11use_defaultEEEx11max_functorIxExEEDaPvRmT3_T4_T5_mT6_P12ihipStream_tbENKUlT_T0_E_clISt17integral_constantIbLb1EESX_EEDaSS_ST_EUlSS_E_NS1_11comp_targetILNS1_3genE10ELNS1_11target_archE1200ELNS1_3gpuE4ELNS1_3repE0EEENS1_30default_config_static_selectorELNS0_4arch9wavefront6targetE1EEEvT1_,comdat
	.protected	_ZN7rocprim17ROCPRIM_400000_NS6detail17trampoline_kernelINS0_14default_configENS1_20scan_config_selectorIxEEZZNS1_9scan_implILNS1_25lookback_scan_determinismE0ELb0ELb0ES3_N6thrust23THRUST_200600_302600_NS6detail15normal_iteratorINS9_10device_ptrIxEEEENS9_16discard_iteratorINS9_11use_defaultEEEx11max_functorIxExEEDaPvRmT3_T4_T5_mT6_P12ihipStream_tbENKUlT_T0_E_clISt17integral_constantIbLb1EESX_EEDaSS_ST_EUlSS_E_NS1_11comp_targetILNS1_3genE10ELNS1_11target_archE1200ELNS1_3gpuE4ELNS1_3repE0EEENS1_30default_config_static_selectorELNS0_4arch9wavefront6targetE1EEEvT1_ ; -- Begin function _ZN7rocprim17ROCPRIM_400000_NS6detail17trampoline_kernelINS0_14default_configENS1_20scan_config_selectorIxEEZZNS1_9scan_implILNS1_25lookback_scan_determinismE0ELb0ELb0ES3_N6thrust23THRUST_200600_302600_NS6detail15normal_iteratorINS9_10device_ptrIxEEEENS9_16discard_iteratorINS9_11use_defaultEEEx11max_functorIxExEEDaPvRmT3_T4_T5_mT6_P12ihipStream_tbENKUlT_T0_E_clISt17integral_constantIbLb1EESX_EEDaSS_ST_EUlSS_E_NS1_11comp_targetILNS1_3genE10ELNS1_11target_archE1200ELNS1_3gpuE4ELNS1_3repE0EEENS1_30default_config_static_selectorELNS0_4arch9wavefront6targetE1EEEvT1_
	.globl	_ZN7rocprim17ROCPRIM_400000_NS6detail17trampoline_kernelINS0_14default_configENS1_20scan_config_selectorIxEEZZNS1_9scan_implILNS1_25lookback_scan_determinismE0ELb0ELb0ES3_N6thrust23THRUST_200600_302600_NS6detail15normal_iteratorINS9_10device_ptrIxEEEENS9_16discard_iteratorINS9_11use_defaultEEEx11max_functorIxExEEDaPvRmT3_T4_T5_mT6_P12ihipStream_tbENKUlT_T0_E_clISt17integral_constantIbLb1EESX_EEDaSS_ST_EUlSS_E_NS1_11comp_targetILNS1_3genE10ELNS1_11target_archE1200ELNS1_3gpuE4ELNS1_3repE0EEENS1_30default_config_static_selectorELNS0_4arch9wavefront6targetE1EEEvT1_
	.p2align	8
	.type	_ZN7rocprim17ROCPRIM_400000_NS6detail17trampoline_kernelINS0_14default_configENS1_20scan_config_selectorIxEEZZNS1_9scan_implILNS1_25lookback_scan_determinismE0ELb0ELb0ES3_N6thrust23THRUST_200600_302600_NS6detail15normal_iteratorINS9_10device_ptrIxEEEENS9_16discard_iteratorINS9_11use_defaultEEEx11max_functorIxExEEDaPvRmT3_T4_T5_mT6_P12ihipStream_tbENKUlT_T0_E_clISt17integral_constantIbLb1EESX_EEDaSS_ST_EUlSS_E_NS1_11comp_targetILNS1_3genE10ELNS1_11target_archE1200ELNS1_3gpuE4ELNS1_3repE0EEENS1_30default_config_static_selectorELNS0_4arch9wavefront6targetE1EEEvT1_,@function
_ZN7rocprim17ROCPRIM_400000_NS6detail17trampoline_kernelINS0_14default_configENS1_20scan_config_selectorIxEEZZNS1_9scan_implILNS1_25lookback_scan_determinismE0ELb0ELb0ES3_N6thrust23THRUST_200600_302600_NS6detail15normal_iteratorINS9_10device_ptrIxEEEENS9_16discard_iteratorINS9_11use_defaultEEEx11max_functorIxExEEDaPvRmT3_T4_T5_mT6_P12ihipStream_tbENKUlT_T0_E_clISt17integral_constantIbLb1EESX_EEDaSS_ST_EUlSS_E_NS1_11comp_targetILNS1_3genE10ELNS1_11target_archE1200ELNS1_3gpuE4ELNS1_3repE0EEENS1_30default_config_static_selectorELNS0_4arch9wavefront6targetE1EEEvT1_: ; @_ZN7rocprim17ROCPRIM_400000_NS6detail17trampoline_kernelINS0_14default_configENS1_20scan_config_selectorIxEEZZNS1_9scan_implILNS1_25lookback_scan_determinismE0ELb0ELb0ES3_N6thrust23THRUST_200600_302600_NS6detail15normal_iteratorINS9_10device_ptrIxEEEENS9_16discard_iteratorINS9_11use_defaultEEEx11max_functorIxExEEDaPvRmT3_T4_T5_mT6_P12ihipStream_tbENKUlT_T0_E_clISt17integral_constantIbLb1EESX_EEDaSS_ST_EUlSS_E_NS1_11comp_targetILNS1_3genE10ELNS1_11target_archE1200ELNS1_3gpuE4ELNS1_3repE0EEENS1_30default_config_static_selectorELNS0_4arch9wavefront6targetE1EEEvT1_
; %bb.0:
	.section	.rodata,"a",@progbits
	.p2align	6, 0x0
	.amdhsa_kernel _ZN7rocprim17ROCPRIM_400000_NS6detail17trampoline_kernelINS0_14default_configENS1_20scan_config_selectorIxEEZZNS1_9scan_implILNS1_25lookback_scan_determinismE0ELb0ELb0ES3_N6thrust23THRUST_200600_302600_NS6detail15normal_iteratorINS9_10device_ptrIxEEEENS9_16discard_iteratorINS9_11use_defaultEEEx11max_functorIxExEEDaPvRmT3_T4_T5_mT6_P12ihipStream_tbENKUlT_T0_E_clISt17integral_constantIbLb1EESX_EEDaSS_ST_EUlSS_E_NS1_11comp_targetILNS1_3genE10ELNS1_11target_archE1200ELNS1_3gpuE4ELNS1_3repE0EEENS1_30default_config_static_selectorELNS0_4arch9wavefront6targetE1EEEvT1_
		.amdhsa_group_segment_fixed_size 0
		.amdhsa_private_segment_fixed_size 0
		.amdhsa_kernarg_size 112
		.amdhsa_user_sgpr_count 6
		.amdhsa_user_sgpr_private_segment_buffer 1
		.amdhsa_user_sgpr_dispatch_ptr 0
		.amdhsa_user_sgpr_queue_ptr 0
		.amdhsa_user_sgpr_kernarg_segment_ptr 1
		.amdhsa_user_sgpr_dispatch_id 0
		.amdhsa_user_sgpr_flat_scratch_init 0
		.amdhsa_user_sgpr_kernarg_preload_length 0
		.amdhsa_user_sgpr_kernarg_preload_offset 0
		.amdhsa_user_sgpr_private_segment_size 0
		.amdhsa_uses_dynamic_stack 0
		.amdhsa_system_sgpr_private_segment_wavefront_offset 0
		.amdhsa_system_sgpr_workgroup_id_x 1
		.amdhsa_system_sgpr_workgroup_id_y 0
		.amdhsa_system_sgpr_workgroup_id_z 0
		.amdhsa_system_sgpr_workgroup_info 0
		.amdhsa_system_vgpr_workitem_id 0
		.amdhsa_next_free_vgpr 1
		.amdhsa_next_free_sgpr 0
		.amdhsa_accum_offset 4
		.amdhsa_reserve_vcc 0
		.amdhsa_reserve_flat_scratch 0
		.amdhsa_float_round_mode_32 0
		.amdhsa_float_round_mode_16_64 0
		.amdhsa_float_denorm_mode_32 3
		.amdhsa_float_denorm_mode_16_64 3
		.amdhsa_dx10_clamp 1
		.amdhsa_ieee_mode 1
		.amdhsa_fp16_overflow 0
		.amdhsa_tg_split 0
		.amdhsa_exception_fp_ieee_invalid_op 0
		.amdhsa_exception_fp_denorm_src 0
		.amdhsa_exception_fp_ieee_div_zero 0
		.amdhsa_exception_fp_ieee_overflow 0
		.amdhsa_exception_fp_ieee_underflow 0
		.amdhsa_exception_fp_ieee_inexact 0
		.amdhsa_exception_int_div_zero 0
	.end_amdhsa_kernel
	.section	.text._ZN7rocprim17ROCPRIM_400000_NS6detail17trampoline_kernelINS0_14default_configENS1_20scan_config_selectorIxEEZZNS1_9scan_implILNS1_25lookback_scan_determinismE0ELb0ELb0ES3_N6thrust23THRUST_200600_302600_NS6detail15normal_iteratorINS9_10device_ptrIxEEEENS9_16discard_iteratorINS9_11use_defaultEEEx11max_functorIxExEEDaPvRmT3_T4_T5_mT6_P12ihipStream_tbENKUlT_T0_E_clISt17integral_constantIbLb1EESX_EEDaSS_ST_EUlSS_E_NS1_11comp_targetILNS1_3genE10ELNS1_11target_archE1200ELNS1_3gpuE4ELNS1_3repE0EEENS1_30default_config_static_selectorELNS0_4arch9wavefront6targetE1EEEvT1_,"axG",@progbits,_ZN7rocprim17ROCPRIM_400000_NS6detail17trampoline_kernelINS0_14default_configENS1_20scan_config_selectorIxEEZZNS1_9scan_implILNS1_25lookback_scan_determinismE0ELb0ELb0ES3_N6thrust23THRUST_200600_302600_NS6detail15normal_iteratorINS9_10device_ptrIxEEEENS9_16discard_iteratorINS9_11use_defaultEEEx11max_functorIxExEEDaPvRmT3_T4_T5_mT6_P12ihipStream_tbENKUlT_T0_E_clISt17integral_constantIbLb1EESX_EEDaSS_ST_EUlSS_E_NS1_11comp_targetILNS1_3genE10ELNS1_11target_archE1200ELNS1_3gpuE4ELNS1_3repE0EEENS1_30default_config_static_selectorELNS0_4arch9wavefront6targetE1EEEvT1_,comdat
.Lfunc_end3734:
	.size	_ZN7rocprim17ROCPRIM_400000_NS6detail17trampoline_kernelINS0_14default_configENS1_20scan_config_selectorIxEEZZNS1_9scan_implILNS1_25lookback_scan_determinismE0ELb0ELb0ES3_N6thrust23THRUST_200600_302600_NS6detail15normal_iteratorINS9_10device_ptrIxEEEENS9_16discard_iteratorINS9_11use_defaultEEEx11max_functorIxExEEDaPvRmT3_T4_T5_mT6_P12ihipStream_tbENKUlT_T0_E_clISt17integral_constantIbLb1EESX_EEDaSS_ST_EUlSS_E_NS1_11comp_targetILNS1_3genE10ELNS1_11target_archE1200ELNS1_3gpuE4ELNS1_3repE0EEENS1_30default_config_static_selectorELNS0_4arch9wavefront6targetE1EEEvT1_, .Lfunc_end3734-_ZN7rocprim17ROCPRIM_400000_NS6detail17trampoline_kernelINS0_14default_configENS1_20scan_config_selectorIxEEZZNS1_9scan_implILNS1_25lookback_scan_determinismE0ELb0ELb0ES3_N6thrust23THRUST_200600_302600_NS6detail15normal_iteratorINS9_10device_ptrIxEEEENS9_16discard_iteratorINS9_11use_defaultEEEx11max_functorIxExEEDaPvRmT3_T4_T5_mT6_P12ihipStream_tbENKUlT_T0_E_clISt17integral_constantIbLb1EESX_EEDaSS_ST_EUlSS_E_NS1_11comp_targetILNS1_3genE10ELNS1_11target_archE1200ELNS1_3gpuE4ELNS1_3repE0EEENS1_30default_config_static_selectorELNS0_4arch9wavefront6targetE1EEEvT1_
                                        ; -- End function
	.section	.AMDGPU.csdata,"",@progbits
; Kernel info:
; codeLenInByte = 0
; NumSgprs: 4
; NumVgprs: 0
; NumAgprs: 0
; TotalNumVgprs: 0
; ScratchSize: 0
; MemoryBound: 0
; FloatMode: 240
; IeeeMode: 1
; LDSByteSize: 0 bytes/workgroup (compile time only)
; SGPRBlocks: 0
; VGPRBlocks: 0
; NumSGPRsForWavesPerEU: 4
; NumVGPRsForWavesPerEU: 1
; AccumOffset: 4
; Occupancy: 8
; WaveLimiterHint : 0
; COMPUTE_PGM_RSRC2:SCRATCH_EN: 0
; COMPUTE_PGM_RSRC2:USER_SGPR: 6
; COMPUTE_PGM_RSRC2:TRAP_HANDLER: 0
; COMPUTE_PGM_RSRC2:TGID_X_EN: 1
; COMPUTE_PGM_RSRC2:TGID_Y_EN: 0
; COMPUTE_PGM_RSRC2:TGID_Z_EN: 0
; COMPUTE_PGM_RSRC2:TIDIG_COMP_CNT: 0
; COMPUTE_PGM_RSRC3_GFX90A:ACCUM_OFFSET: 0
; COMPUTE_PGM_RSRC3_GFX90A:TG_SPLIT: 0
	.section	.text._ZN7rocprim17ROCPRIM_400000_NS6detail17trampoline_kernelINS0_14default_configENS1_20scan_config_selectorIxEEZZNS1_9scan_implILNS1_25lookback_scan_determinismE0ELb0ELb0ES3_N6thrust23THRUST_200600_302600_NS6detail15normal_iteratorINS9_10device_ptrIxEEEENS9_16discard_iteratorINS9_11use_defaultEEEx11max_functorIxExEEDaPvRmT3_T4_T5_mT6_P12ihipStream_tbENKUlT_T0_E_clISt17integral_constantIbLb1EESX_EEDaSS_ST_EUlSS_E_NS1_11comp_targetILNS1_3genE9ELNS1_11target_archE1100ELNS1_3gpuE3ELNS1_3repE0EEENS1_30default_config_static_selectorELNS0_4arch9wavefront6targetE1EEEvT1_,"axG",@progbits,_ZN7rocprim17ROCPRIM_400000_NS6detail17trampoline_kernelINS0_14default_configENS1_20scan_config_selectorIxEEZZNS1_9scan_implILNS1_25lookback_scan_determinismE0ELb0ELb0ES3_N6thrust23THRUST_200600_302600_NS6detail15normal_iteratorINS9_10device_ptrIxEEEENS9_16discard_iteratorINS9_11use_defaultEEEx11max_functorIxExEEDaPvRmT3_T4_T5_mT6_P12ihipStream_tbENKUlT_T0_E_clISt17integral_constantIbLb1EESX_EEDaSS_ST_EUlSS_E_NS1_11comp_targetILNS1_3genE9ELNS1_11target_archE1100ELNS1_3gpuE3ELNS1_3repE0EEENS1_30default_config_static_selectorELNS0_4arch9wavefront6targetE1EEEvT1_,comdat
	.protected	_ZN7rocprim17ROCPRIM_400000_NS6detail17trampoline_kernelINS0_14default_configENS1_20scan_config_selectorIxEEZZNS1_9scan_implILNS1_25lookback_scan_determinismE0ELb0ELb0ES3_N6thrust23THRUST_200600_302600_NS6detail15normal_iteratorINS9_10device_ptrIxEEEENS9_16discard_iteratorINS9_11use_defaultEEEx11max_functorIxExEEDaPvRmT3_T4_T5_mT6_P12ihipStream_tbENKUlT_T0_E_clISt17integral_constantIbLb1EESX_EEDaSS_ST_EUlSS_E_NS1_11comp_targetILNS1_3genE9ELNS1_11target_archE1100ELNS1_3gpuE3ELNS1_3repE0EEENS1_30default_config_static_selectorELNS0_4arch9wavefront6targetE1EEEvT1_ ; -- Begin function _ZN7rocprim17ROCPRIM_400000_NS6detail17trampoline_kernelINS0_14default_configENS1_20scan_config_selectorIxEEZZNS1_9scan_implILNS1_25lookback_scan_determinismE0ELb0ELb0ES3_N6thrust23THRUST_200600_302600_NS6detail15normal_iteratorINS9_10device_ptrIxEEEENS9_16discard_iteratorINS9_11use_defaultEEEx11max_functorIxExEEDaPvRmT3_T4_T5_mT6_P12ihipStream_tbENKUlT_T0_E_clISt17integral_constantIbLb1EESX_EEDaSS_ST_EUlSS_E_NS1_11comp_targetILNS1_3genE9ELNS1_11target_archE1100ELNS1_3gpuE3ELNS1_3repE0EEENS1_30default_config_static_selectorELNS0_4arch9wavefront6targetE1EEEvT1_
	.globl	_ZN7rocprim17ROCPRIM_400000_NS6detail17trampoline_kernelINS0_14default_configENS1_20scan_config_selectorIxEEZZNS1_9scan_implILNS1_25lookback_scan_determinismE0ELb0ELb0ES3_N6thrust23THRUST_200600_302600_NS6detail15normal_iteratorINS9_10device_ptrIxEEEENS9_16discard_iteratorINS9_11use_defaultEEEx11max_functorIxExEEDaPvRmT3_T4_T5_mT6_P12ihipStream_tbENKUlT_T0_E_clISt17integral_constantIbLb1EESX_EEDaSS_ST_EUlSS_E_NS1_11comp_targetILNS1_3genE9ELNS1_11target_archE1100ELNS1_3gpuE3ELNS1_3repE0EEENS1_30default_config_static_selectorELNS0_4arch9wavefront6targetE1EEEvT1_
	.p2align	8
	.type	_ZN7rocprim17ROCPRIM_400000_NS6detail17trampoline_kernelINS0_14default_configENS1_20scan_config_selectorIxEEZZNS1_9scan_implILNS1_25lookback_scan_determinismE0ELb0ELb0ES3_N6thrust23THRUST_200600_302600_NS6detail15normal_iteratorINS9_10device_ptrIxEEEENS9_16discard_iteratorINS9_11use_defaultEEEx11max_functorIxExEEDaPvRmT3_T4_T5_mT6_P12ihipStream_tbENKUlT_T0_E_clISt17integral_constantIbLb1EESX_EEDaSS_ST_EUlSS_E_NS1_11comp_targetILNS1_3genE9ELNS1_11target_archE1100ELNS1_3gpuE3ELNS1_3repE0EEENS1_30default_config_static_selectorELNS0_4arch9wavefront6targetE1EEEvT1_,@function
_ZN7rocprim17ROCPRIM_400000_NS6detail17trampoline_kernelINS0_14default_configENS1_20scan_config_selectorIxEEZZNS1_9scan_implILNS1_25lookback_scan_determinismE0ELb0ELb0ES3_N6thrust23THRUST_200600_302600_NS6detail15normal_iteratorINS9_10device_ptrIxEEEENS9_16discard_iteratorINS9_11use_defaultEEEx11max_functorIxExEEDaPvRmT3_T4_T5_mT6_P12ihipStream_tbENKUlT_T0_E_clISt17integral_constantIbLb1EESX_EEDaSS_ST_EUlSS_E_NS1_11comp_targetILNS1_3genE9ELNS1_11target_archE1100ELNS1_3gpuE3ELNS1_3repE0EEENS1_30default_config_static_selectorELNS0_4arch9wavefront6targetE1EEEvT1_: ; @_ZN7rocprim17ROCPRIM_400000_NS6detail17trampoline_kernelINS0_14default_configENS1_20scan_config_selectorIxEEZZNS1_9scan_implILNS1_25lookback_scan_determinismE0ELb0ELb0ES3_N6thrust23THRUST_200600_302600_NS6detail15normal_iteratorINS9_10device_ptrIxEEEENS9_16discard_iteratorINS9_11use_defaultEEEx11max_functorIxExEEDaPvRmT3_T4_T5_mT6_P12ihipStream_tbENKUlT_T0_E_clISt17integral_constantIbLb1EESX_EEDaSS_ST_EUlSS_E_NS1_11comp_targetILNS1_3genE9ELNS1_11target_archE1100ELNS1_3gpuE3ELNS1_3repE0EEENS1_30default_config_static_selectorELNS0_4arch9wavefront6targetE1EEEvT1_
; %bb.0:
	.section	.rodata,"a",@progbits
	.p2align	6, 0x0
	.amdhsa_kernel _ZN7rocprim17ROCPRIM_400000_NS6detail17trampoline_kernelINS0_14default_configENS1_20scan_config_selectorIxEEZZNS1_9scan_implILNS1_25lookback_scan_determinismE0ELb0ELb0ES3_N6thrust23THRUST_200600_302600_NS6detail15normal_iteratorINS9_10device_ptrIxEEEENS9_16discard_iteratorINS9_11use_defaultEEEx11max_functorIxExEEDaPvRmT3_T4_T5_mT6_P12ihipStream_tbENKUlT_T0_E_clISt17integral_constantIbLb1EESX_EEDaSS_ST_EUlSS_E_NS1_11comp_targetILNS1_3genE9ELNS1_11target_archE1100ELNS1_3gpuE3ELNS1_3repE0EEENS1_30default_config_static_selectorELNS0_4arch9wavefront6targetE1EEEvT1_
		.amdhsa_group_segment_fixed_size 0
		.amdhsa_private_segment_fixed_size 0
		.amdhsa_kernarg_size 112
		.amdhsa_user_sgpr_count 6
		.amdhsa_user_sgpr_private_segment_buffer 1
		.amdhsa_user_sgpr_dispatch_ptr 0
		.amdhsa_user_sgpr_queue_ptr 0
		.amdhsa_user_sgpr_kernarg_segment_ptr 1
		.amdhsa_user_sgpr_dispatch_id 0
		.amdhsa_user_sgpr_flat_scratch_init 0
		.amdhsa_user_sgpr_kernarg_preload_length 0
		.amdhsa_user_sgpr_kernarg_preload_offset 0
		.amdhsa_user_sgpr_private_segment_size 0
		.amdhsa_uses_dynamic_stack 0
		.amdhsa_system_sgpr_private_segment_wavefront_offset 0
		.amdhsa_system_sgpr_workgroup_id_x 1
		.amdhsa_system_sgpr_workgroup_id_y 0
		.amdhsa_system_sgpr_workgroup_id_z 0
		.amdhsa_system_sgpr_workgroup_info 0
		.amdhsa_system_vgpr_workitem_id 0
		.amdhsa_next_free_vgpr 1
		.amdhsa_next_free_sgpr 0
		.amdhsa_accum_offset 4
		.amdhsa_reserve_vcc 0
		.amdhsa_reserve_flat_scratch 0
		.amdhsa_float_round_mode_32 0
		.amdhsa_float_round_mode_16_64 0
		.amdhsa_float_denorm_mode_32 3
		.amdhsa_float_denorm_mode_16_64 3
		.amdhsa_dx10_clamp 1
		.amdhsa_ieee_mode 1
		.amdhsa_fp16_overflow 0
		.amdhsa_tg_split 0
		.amdhsa_exception_fp_ieee_invalid_op 0
		.amdhsa_exception_fp_denorm_src 0
		.amdhsa_exception_fp_ieee_div_zero 0
		.amdhsa_exception_fp_ieee_overflow 0
		.amdhsa_exception_fp_ieee_underflow 0
		.amdhsa_exception_fp_ieee_inexact 0
		.amdhsa_exception_int_div_zero 0
	.end_amdhsa_kernel
	.section	.text._ZN7rocprim17ROCPRIM_400000_NS6detail17trampoline_kernelINS0_14default_configENS1_20scan_config_selectorIxEEZZNS1_9scan_implILNS1_25lookback_scan_determinismE0ELb0ELb0ES3_N6thrust23THRUST_200600_302600_NS6detail15normal_iteratorINS9_10device_ptrIxEEEENS9_16discard_iteratorINS9_11use_defaultEEEx11max_functorIxExEEDaPvRmT3_T4_T5_mT6_P12ihipStream_tbENKUlT_T0_E_clISt17integral_constantIbLb1EESX_EEDaSS_ST_EUlSS_E_NS1_11comp_targetILNS1_3genE9ELNS1_11target_archE1100ELNS1_3gpuE3ELNS1_3repE0EEENS1_30default_config_static_selectorELNS0_4arch9wavefront6targetE1EEEvT1_,"axG",@progbits,_ZN7rocprim17ROCPRIM_400000_NS6detail17trampoline_kernelINS0_14default_configENS1_20scan_config_selectorIxEEZZNS1_9scan_implILNS1_25lookback_scan_determinismE0ELb0ELb0ES3_N6thrust23THRUST_200600_302600_NS6detail15normal_iteratorINS9_10device_ptrIxEEEENS9_16discard_iteratorINS9_11use_defaultEEEx11max_functorIxExEEDaPvRmT3_T4_T5_mT6_P12ihipStream_tbENKUlT_T0_E_clISt17integral_constantIbLb1EESX_EEDaSS_ST_EUlSS_E_NS1_11comp_targetILNS1_3genE9ELNS1_11target_archE1100ELNS1_3gpuE3ELNS1_3repE0EEENS1_30default_config_static_selectorELNS0_4arch9wavefront6targetE1EEEvT1_,comdat
.Lfunc_end3735:
	.size	_ZN7rocprim17ROCPRIM_400000_NS6detail17trampoline_kernelINS0_14default_configENS1_20scan_config_selectorIxEEZZNS1_9scan_implILNS1_25lookback_scan_determinismE0ELb0ELb0ES3_N6thrust23THRUST_200600_302600_NS6detail15normal_iteratorINS9_10device_ptrIxEEEENS9_16discard_iteratorINS9_11use_defaultEEEx11max_functorIxExEEDaPvRmT3_T4_T5_mT6_P12ihipStream_tbENKUlT_T0_E_clISt17integral_constantIbLb1EESX_EEDaSS_ST_EUlSS_E_NS1_11comp_targetILNS1_3genE9ELNS1_11target_archE1100ELNS1_3gpuE3ELNS1_3repE0EEENS1_30default_config_static_selectorELNS0_4arch9wavefront6targetE1EEEvT1_, .Lfunc_end3735-_ZN7rocprim17ROCPRIM_400000_NS6detail17trampoline_kernelINS0_14default_configENS1_20scan_config_selectorIxEEZZNS1_9scan_implILNS1_25lookback_scan_determinismE0ELb0ELb0ES3_N6thrust23THRUST_200600_302600_NS6detail15normal_iteratorINS9_10device_ptrIxEEEENS9_16discard_iteratorINS9_11use_defaultEEEx11max_functorIxExEEDaPvRmT3_T4_T5_mT6_P12ihipStream_tbENKUlT_T0_E_clISt17integral_constantIbLb1EESX_EEDaSS_ST_EUlSS_E_NS1_11comp_targetILNS1_3genE9ELNS1_11target_archE1100ELNS1_3gpuE3ELNS1_3repE0EEENS1_30default_config_static_selectorELNS0_4arch9wavefront6targetE1EEEvT1_
                                        ; -- End function
	.section	.AMDGPU.csdata,"",@progbits
; Kernel info:
; codeLenInByte = 0
; NumSgprs: 4
; NumVgprs: 0
; NumAgprs: 0
; TotalNumVgprs: 0
; ScratchSize: 0
; MemoryBound: 0
; FloatMode: 240
; IeeeMode: 1
; LDSByteSize: 0 bytes/workgroup (compile time only)
; SGPRBlocks: 0
; VGPRBlocks: 0
; NumSGPRsForWavesPerEU: 4
; NumVGPRsForWavesPerEU: 1
; AccumOffset: 4
; Occupancy: 8
; WaveLimiterHint : 0
; COMPUTE_PGM_RSRC2:SCRATCH_EN: 0
; COMPUTE_PGM_RSRC2:USER_SGPR: 6
; COMPUTE_PGM_RSRC2:TRAP_HANDLER: 0
; COMPUTE_PGM_RSRC2:TGID_X_EN: 1
; COMPUTE_PGM_RSRC2:TGID_Y_EN: 0
; COMPUTE_PGM_RSRC2:TGID_Z_EN: 0
; COMPUTE_PGM_RSRC2:TIDIG_COMP_CNT: 0
; COMPUTE_PGM_RSRC3_GFX90A:ACCUM_OFFSET: 0
; COMPUTE_PGM_RSRC3_GFX90A:TG_SPLIT: 0
	.section	.text._ZN7rocprim17ROCPRIM_400000_NS6detail17trampoline_kernelINS0_14default_configENS1_20scan_config_selectorIxEEZZNS1_9scan_implILNS1_25lookback_scan_determinismE0ELb0ELb0ES3_N6thrust23THRUST_200600_302600_NS6detail15normal_iteratorINS9_10device_ptrIxEEEENS9_16discard_iteratorINS9_11use_defaultEEEx11max_functorIxExEEDaPvRmT3_T4_T5_mT6_P12ihipStream_tbENKUlT_T0_E_clISt17integral_constantIbLb1EESX_EEDaSS_ST_EUlSS_E_NS1_11comp_targetILNS1_3genE8ELNS1_11target_archE1030ELNS1_3gpuE2ELNS1_3repE0EEENS1_30default_config_static_selectorELNS0_4arch9wavefront6targetE1EEEvT1_,"axG",@progbits,_ZN7rocprim17ROCPRIM_400000_NS6detail17trampoline_kernelINS0_14default_configENS1_20scan_config_selectorIxEEZZNS1_9scan_implILNS1_25lookback_scan_determinismE0ELb0ELb0ES3_N6thrust23THRUST_200600_302600_NS6detail15normal_iteratorINS9_10device_ptrIxEEEENS9_16discard_iteratorINS9_11use_defaultEEEx11max_functorIxExEEDaPvRmT3_T4_T5_mT6_P12ihipStream_tbENKUlT_T0_E_clISt17integral_constantIbLb1EESX_EEDaSS_ST_EUlSS_E_NS1_11comp_targetILNS1_3genE8ELNS1_11target_archE1030ELNS1_3gpuE2ELNS1_3repE0EEENS1_30default_config_static_selectorELNS0_4arch9wavefront6targetE1EEEvT1_,comdat
	.protected	_ZN7rocprim17ROCPRIM_400000_NS6detail17trampoline_kernelINS0_14default_configENS1_20scan_config_selectorIxEEZZNS1_9scan_implILNS1_25lookback_scan_determinismE0ELb0ELb0ES3_N6thrust23THRUST_200600_302600_NS6detail15normal_iteratorINS9_10device_ptrIxEEEENS9_16discard_iteratorINS9_11use_defaultEEEx11max_functorIxExEEDaPvRmT3_T4_T5_mT6_P12ihipStream_tbENKUlT_T0_E_clISt17integral_constantIbLb1EESX_EEDaSS_ST_EUlSS_E_NS1_11comp_targetILNS1_3genE8ELNS1_11target_archE1030ELNS1_3gpuE2ELNS1_3repE0EEENS1_30default_config_static_selectorELNS0_4arch9wavefront6targetE1EEEvT1_ ; -- Begin function _ZN7rocprim17ROCPRIM_400000_NS6detail17trampoline_kernelINS0_14default_configENS1_20scan_config_selectorIxEEZZNS1_9scan_implILNS1_25lookback_scan_determinismE0ELb0ELb0ES3_N6thrust23THRUST_200600_302600_NS6detail15normal_iteratorINS9_10device_ptrIxEEEENS9_16discard_iteratorINS9_11use_defaultEEEx11max_functorIxExEEDaPvRmT3_T4_T5_mT6_P12ihipStream_tbENKUlT_T0_E_clISt17integral_constantIbLb1EESX_EEDaSS_ST_EUlSS_E_NS1_11comp_targetILNS1_3genE8ELNS1_11target_archE1030ELNS1_3gpuE2ELNS1_3repE0EEENS1_30default_config_static_selectorELNS0_4arch9wavefront6targetE1EEEvT1_
	.globl	_ZN7rocprim17ROCPRIM_400000_NS6detail17trampoline_kernelINS0_14default_configENS1_20scan_config_selectorIxEEZZNS1_9scan_implILNS1_25lookback_scan_determinismE0ELb0ELb0ES3_N6thrust23THRUST_200600_302600_NS6detail15normal_iteratorINS9_10device_ptrIxEEEENS9_16discard_iteratorINS9_11use_defaultEEEx11max_functorIxExEEDaPvRmT3_T4_T5_mT6_P12ihipStream_tbENKUlT_T0_E_clISt17integral_constantIbLb1EESX_EEDaSS_ST_EUlSS_E_NS1_11comp_targetILNS1_3genE8ELNS1_11target_archE1030ELNS1_3gpuE2ELNS1_3repE0EEENS1_30default_config_static_selectorELNS0_4arch9wavefront6targetE1EEEvT1_
	.p2align	8
	.type	_ZN7rocprim17ROCPRIM_400000_NS6detail17trampoline_kernelINS0_14default_configENS1_20scan_config_selectorIxEEZZNS1_9scan_implILNS1_25lookback_scan_determinismE0ELb0ELb0ES3_N6thrust23THRUST_200600_302600_NS6detail15normal_iteratorINS9_10device_ptrIxEEEENS9_16discard_iteratorINS9_11use_defaultEEEx11max_functorIxExEEDaPvRmT3_T4_T5_mT6_P12ihipStream_tbENKUlT_T0_E_clISt17integral_constantIbLb1EESX_EEDaSS_ST_EUlSS_E_NS1_11comp_targetILNS1_3genE8ELNS1_11target_archE1030ELNS1_3gpuE2ELNS1_3repE0EEENS1_30default_config_static_selectorELNS0_4arch9wavefront6targetE1EEEvT1_,@function
_ZN7rocprim17ROCPRIM_400000_NS6detail17trampoline_kernelINS0_14default_configENS1_20scan_config_selectorIxEEZZNS1_9scan_implILNS1_25lookback_scan_determinismE0ELb0ELb0ES3_N6thrust23THRUST_200600_302600_NS6detail15normal_iteratorINS9_10device_ptrIxEEEENS9_16discard_iteratorINS9_11use_defaultEEEx11max_functorIxExEEDaPvRmT3_T4_T5_mT6_P12ihipStream_tbENKUlT_T0_E_clISt17integral_constantIbLb1EESX_EEDaSS_ST_EUlSS_E_NS1_11comp_targetILNS1_3genE8ELNS1_11target_archE1030ELNS1_3gpuE2ELNS1_3repE0EEENS1_30default_config_static_selectorELNS0_4arch9wavefront6targetE1EEEvT1_: ; @_ZN7rocprim17ROCPRIM_400000_NS6detail17trampoline_kernelINS0_14default_configENS1_20scan_config_selectorIxEEZZNS1_9scan_implILNS1_25lookback_scan_determinismE0ELb0ELb0ES3_N6thrust23THRUST_200600_302600_NS6detail15normal_iteratorINS9_10device_ptrIxEEEENS9_16discard_iteratorINS9_11use_defaultEEEx11max_functorIxExEEDaPvRmT3_T4_T5_mT6_P12ihipStream_tbENKUlT_T0_E_clISt17integral_constantIbLb1EESX_EEDaSS_ST_EUlSS_E_NS1_11comp_targetILNS1_3genE8ELNS1_11target_archE1030ELNS1_3gpuE2ELNS1_3repE0EEENS1_30default_config_static_selectorELNS0_4arch9wavefront6targetE1EEEvT1_
; %bb.0:
	.section	.rodata,"a",@progbits
	.p2align	6, 0x0
	.amdhsa_kernel _ZN7rocprim17ROCPRIM_400000_NS6detail17trampoline_kernelINS0_14default_configENS1_20scan_config_selectorIxEEZZNS1_9scan_implILNS1_25lookback_scan_determinismE0ELb0ELb0ES3_N6thrust23THRUST_200600_302600_NS6detail15normal_iteratorINS9_10device_ptrIxEEEENS9_16discard_iteratorINS9_11use_defaultEEEx11max_functorIxExEEDaPvRmT3_T4_T5_mT6_P12ihipStream_tbENKUlT_T0_E_clISt17integral_constantIbLb1EESX_EEDaSS_ST_EUlSS_E_NS1_11comp_targetILNS1_3genE8ELNS1_11target_archE1030ELNS1_3gpuE2ELNS1_3repE0EEENS1_30default_config_static_selectorELNS0_4arch9wavefront6targetE1EEEvT1_
		.amdhsa_group_segment_fixed_size 0
		.amdhsa_private_segment_fixed_size 0
		.amdhsa_kernarg_size 112
		.amdhsa_user_sgpr_count 6
		.amdhsa_user_sgpr_private_segment_buffer 1
		.amdhsa_user_sgpr_dispatch_ptr 0
		.amdhsa_user_sgpr_queue_ptr 0
		.amdhsa_user_sgpr_kernarg_segment_ptr 1
		.amdhsa_user_sgpr_dispatch_id 0
		.amdhsa_user_sgpr_flat_scratch_init 0
		.amdhsa_user_sgpr_kernarg_preload_length 0
		.amdhsa_user_sgpr_kernarg_preload_offset 0
		.amdhsa_user_sgpr_private_segment_size 0
		.amdhsa_uses_dynamic_stack 0
		.amdhsa_system_sgpr_private_segment_wavefront_offset 0
		.amdhsa_system_sgpr_workgroup_id_x 1
		.amdhsa_system_sgpr_workgroup_id_y 0
		.amdhsa_system_sgpr_workgroup_id_z 0
		.amdhsa_system_sgpr_workgroup_info 0
		.amdhsa_system_vgpr_workitem_id 0
		.amdhsa_next_free_vgpr 1
		.amdhsa_next_free_sgpr 0
		.amdhsa_accum_offset 4
		.amdhsa_reserve_vcc 0
		.amdhsa_reserve_flat_scratch 0
		.amdhsa_float_round_mode_32 0
		.amdhsa_float_round_mode_16_64 0
		.amdhsa_float_denorm_mode_32 3
		.amdhsa_float_denorm_mode_16_64 3
		.amdhsa_dx10_clamp 1
		.amdhsa_ieee_mode 1
		.amdhsa_fp16_overflow 0
		.amdhsa_tg_split 0
		.amdhsa_exception_fp_ieee_invalid_op 0
		.amdhsa_exception_fp_denorm_src 0
		.amdhsa_exception_fp_ieee_div_zero 0
		.amdhsa_exception_fp_ieee_overflow 0
		.amdhsa_exception_fp_ieee_underflow 0
		.amdhsa_exception_fp_ieee_inexact 0
		.amdhsa_exception_int_div_zero 0
	.end_amdhsa_kernel
	.section	.text._ZN7rocprim17ROCPRIM_400000_NS6detail17trampoline_kernelINS0_14default_configENS1_20scan_config_selectorIxEEZZNS1_9scan_implILNS1_25lookback_scan_determinismE0ELb0ELb0ES3_N6thrust23THRUST_200600_302600_NS6detail15normal_iteratorINS9_10device_ptrIxEEEENS9_16discard_iteratorINS9_11use_defaultEEEx11max_functorIxExEEDaPvRmT3_T4_T5_mT6_P12ihipStream_tbENKUlT_T0_E_clISt17integral_constantIbLb1EESX_EEDaSS_ST_EUlSS_E_NS1_11comp_targetILNS1_3genE8ELNS1_11target_archE1030ELNS1_3gpuE2ELNS1_3repE0EEENS1_30default_config_static_selectorELNS0_4arch9wavefront6targetE1EEEvT1_,"axG",@progbits,_ZN7rocprim17ROCPRIM_400000_NS6detail17trampoline_kernelINS0_14default_configENS1_20scan_config_selectorIxEEZZNS1_9scan_implILNS1_25lookback_scan_determinismE0ELb0ELb0ES3_N6thrust23THRUST_200600_302600_NS6detail15normal_iteratorINS9_10device_ptrIxEEEENS9_16discard_iteratorINS9_11use_defaultEEEx11max_functorIxExEEDaPvRmT3_T4_T5_mT6_P12ihipStream_tbENKUlT_T0_E_clISt17integral_constantIbLb1EESX_EEDaSS_ST_EUlSS_E_NS1_11comp_targetILNS1_3genE8ELNS1_11target_archE1030ELNS1_3gpuE2ELNS1_3repE0EEENS1_30default_config_static_selectorELNS0_4arch9wavefront6targetE1EEEvT1_,comdat
.Lfunc_end3736:
	.size	_ZN7rocprim17ROCPRIM_400000_NS6detail17trampoline_kernelINS0_14default_configENS1_20scan_config_selectorIxEEZZNS1_9scan_implILNS1_25lookback_scan_determinismE0ELb0ELb0ES3_N6thrust23THRUST_200600_302600_NS6detail15normal_iteratorINS9_10device_ptrIxEEEENS9_16discard_iteratorINS9_11use_defaultEEEx11max_functorIxExEEDaPvRmT3_T4_T5_mT6_P12ihipStream_tbENKUlT_T0_E_clISt17integral_constantIbLb1EESX_EEDaSS_ST_EUlSS_E_NS1_11comp_targetILNS1_3genE8ELNS1_11target_archE1030ELNS1_3gpuE2ELNS1_3repE0EEENS1_30default_config_static_selectorELNS0_4arch9wavefront6targetE1EEEvT1_, .Lfunc_end3736-_ZN7rocprim17ROCPRIM_400000_NS6detail17trampoline_kernelINS0_14default_configENS1_20scan_config_selectorIxEEZZNS1_9scan_implILNS1_25lookback_scan_determinismE0ELb0ELb0ES3_N6thrust23THRUST_200600_302600_NS6detail15normal_iteratorINS9_10device_ptrIxEEEENS9_16discard_iteratorINS9_11use_defaultEEEx11max_functorIxExEEDaPvRmT3_T4_T5_mT6_P12ihipStream_tbENKUlT_T0_E_clISt17integral_constantIbLb1EESX_EEDaSS_ST_EUlSS_E_NS1_11comp_targetILNS1_3genE8ELNS1_11target_archE1030ELNS1_3gpuE2ELNS1_3repE0EEENS1_30default_config_static_selectorELNS0_4arch9wavefront6targetE1EEEvT1_
                                        ; -- End function
	.section	.AMDGPU.csdata,"",@progbits
; Kernel info:
; codeLenInByte = 0
; NumSgprs: 4
; NumVgprs: 0
; NumAgprs: 0
; TotalNumVgprs: 0
; ScratchSize: 0
; MemoryBound: 0
; FloatMode: 240
; IeeeMode: 1
; LDSByteSize: 0 bytes/workgroup (compile time only)
; SGPRBlocks: 0
; VGPRBlocks: 0
; NumSGPRsForWavesPerEU: 4
; NumVGPRsForWavesPerEU: 1
; AccumOffset: 4
; Occupancy: 8
; WaveLimiterHint : 0
; COMPUTE_PGM_RSRC2:SCRATCH_EN: 0
; COMPUTE_PGM_RSRC2:USER_SGPR: 6
; COMPUTE_PGM_RSRC2:TRAP_HANDLER: 0
; COMPUTE_PGM_RSRC2:TGID_X_EN: 1
; COMPUTE_PGM_RSRC2:TGID_Y_EN: 0
; COMPUTE_PGM_RSRC2:TGID_Z_EN: 0
; COMPUTE_PGM_RSRC2:TIDIG_COMP_CNT: 0
; COMPUTE_PGM_RSRC3_GFX90A:ACCUM_OFFSET: 0
; COMPUTE_PGM_RSRC3_GFX90A:TG_SPLIT: 0
	.section	.text._ZN7rocprim17ROCPRIM_400000_NS6detail17trampoline_kernelINS0_14default_configENS1_20scan_config_selectorIxEEZZNS1_9scan_implILNS1_25lookback_scan_determinismE0ELb0ELb0ES3_N6thrust23THRUST_200600_302600_NS6detail15normal_iteratorINS9_10device_ptrIxEEEENS9_16discard_iteratorINS9_11use_defaultEEEx11max_functorIxExEEDaPvRmT3_T4_T5_mT6_P12ihipStream_tbENKUlT_T0_E_clISt17integral_constantIbLb1EESX_EEDaSS_ST_EUlSS_E0_NS1_11comp_targetILNS1_3genE0ELNS1_11target_archE4294967295ELNS1_3gpuE0ELNS1_3repE0EEENS1_30default_config_static_selectorELNS0_4arch9wavefront6targetE1EEEvT1_,"axG",@progbits,_ZN7rocprim17ROCPRIM_400000_NS6detail17trampoline_kernelINS0_14default_configENS1_20scan_config_selectorIxEEZZNS1_9scan_implILNS1_25lookback_scan_determinismE0ELb0ELb0ES3_N6thrust23THRUST_200600_302600_NS6detail15normal_iteratorINS9_10device_ptrIxEEEENS9_16discard_iteratorINS9_11use_defaultEEEx11max_functorIxExEEDaPvRmT3_T4_T5_mT6_P12ihipStream_tbENKUlT_T0_E_clISt17integral_constantIbLb1EESX_EEDaSS_ST_EUlSS_E0_NS1_11comp_targetILNS1_3genE0ELNS1_11target_archE4294967295ELNS1_3gpuE0ELNS1_3repE0EEENS1_30default_config_static_selectorELNS0_4arch9wavefront6targetE1EEEvT1_,comdat
	.protected	_ZN7rocprim17ROCPRIM_400000_NS6detail17trampoline_kernelINS0_14default_configENS1_20scan_config_selectorIxEEZZNS1_9scan_implILNS1_25lookback_scan_determinismE0ELb0ELb0ES3_N6thrust23THRUST_200600_302600_NS6detail15normal_iteratorINS9_10device_ptrIxEEEENS9_16discard_iteratorINS9_11use_defaultEEEx11max_functorIxExEEDaPvRmT3_T4_T5_mT6_P12ihipStream_tbENKUlT_T0_E_clISt17integral_constantIbLb1EESX_EEDaSS_ST_EUlSS_E0_NS1_11comp_targetILNS1_3genE0ELNS1_11target_archE4294967295ELNS1_3gpuE0ELNS1_3repE0EEENS1_30default_config_static_selectorELNS0_4arch9wavefront6targetE1EEEvT1_ ; -- Begin function _ZN7rocprim17ROCPRIM_400000_NS6detail17trampoline_kernelINS0_14default_configENS1_20scan_config_selectorIxEEZZNS1_9scan_implILNS1_25lookback_scan_determinismE0ELb0ELb0ES3_N6thrust23THRUST_200600_302600_NS6detail15normal_iteratorINS9_10device_ptrIxEEEENS9_16discard_iteratorINS9_11use_defaultEEEx11max_functorIxExEEDaPvRmT3_T4_T5_mT6_P12ihipStream_tbENKUlT_T0_E_clISt17integral_constantIbLb1EESX_EEDaSS_ST_EUlSS_E0_NS1_11comp_targetILNS1_3genE0ELNS1_11target_archE4294967295ELNS1_3gpuE0ELNS1_3repE0EEENS1_30default_config_static_selectorELNS0_4arch9wavefront6targetE1EEEvT1_
	.globl	_ZN7rocprim17ROCPRIM_400000_NS6detail17trampoline_kernelINS0_14default_configENS1_20scan_config_selectorIxEEZZNS1_9scan_implILNS1_25lookback_scan_determinismE0ELb0ELb0ES3_N6thrust23THRUST_200600_302600_NS6detail15normal_iteratorINS9_10device_ptrIxEEEENS9_16discard_iteratorINS9_11use_defaultEEEx11max_functorIxExEEDaPvRmT3_T4_T5_mT6_P12ihipStream_tbENKUlT_T0_E_clISt17integral_constantIbLb1EESX_EEDaSS_ST_EUlSS_E0_NS1_11comp_targetILNS1_3genE0ELNS1_11target_archE4294967295ELNS1_3gpuE0ELNS1_3repE0EEENS1_30default_config_static_selectorELNS0_4arch9wavefront6targetE1EEEvT1_
	.p2align	8
	.type	_ZN7rocprim17ROCPRIM_400000_NS6detail17trampoline_kernelINS0_14default_configENS1_20scan_config_selectorIxEEZZNS1_9scan_implILNS1_25lookback_scan_determinismE0ELb0ELb0ES3_N6thrust23THRUST_200600_302600_NS6detail15normal_iteratorINS9_10device_ptrIxEEEENS9_16discard_iteratorINS9_11use_defaultEEEx11max_functorIxExEEDaPvRmT3_T4_T5_mT6_P12ihipStream_tbENKUlT_T0_E_clISt17integral_constantIbLb1EESX_EEDaSS_ST_EUlSS_E0_NS1_11comp_targetILNS1_3genE0ELNS1_11target_archE4294967295ELNS1_3gpuE0ELNS1_3repE0EEENS1_30default_config_static_selectorELNS0_4arch9wavefront6targetE1EEEvT1_,@function
_ZN7rocprim17ROCPRIM_400000_NS6detail17trampoline_kernelINS0_14default_configENS1_20scan_config_selectorIxEEZZNS1_9scan_implILNS1_25lookback_scan_determinismE0ELb0ELb0ES3_N6thrust23THRUST_200600_302600_NS6detail15normal_iteratorINS9_10device_ptrIxEEEENS9_16discard_iteratorINS9_11use_defaultEEEx11max_functorIxExEEDaPvRmT3_T4_T5_mT6_P12ihipStream_tbENKUlT_T0_E_clISt17integral_constantIbLb1EESX_EEDaSS_ST_EUlSS_E0_NS1_11comp_targetILNS1_3genE0ELNS1_11target_archE4294967295ELNS1_3gpuE0ELNS1_3repE0EEENS1_30default_config_static_selectorELNS0_4arch9wavefront6targetE1EEEvT1_: ; @_ZN7rocprim17ROCPRIM_400000_NS6detail17trampoline_kernelINS0_14default_configENS1_20scan_config_selectorIxEEZZNS1_9scan_implILNS1_25lookback_scan_determinismE0ELb0ELb0ES3_N6thrust23THRUST_200600_302600_NS6detail15normal_iteratorINS9_10device_ptrIxEEEENS9_16discard_iteratorINS9_11use_defaultEEEx11max_functorIxExEEDaPvRmT3_T4_T5_mT6_P12ihipStream_tbENKUlT_T0_E_clISt17integral_constantIbLb1EESX_EEDaSS_ST_EUlSS_E0_NS1_11comp_targetILNS1_3genE0ELNS1_11target_archE4294967295ELNS1_3gpuE0ELNS1_3repE0EEENS1_30default_config_static_selectorELNS0_4arch9wavefront6targetE1EEEvT1_
; %bb.0:
	.section	.rodata,"a",@progbits
	.p2align	6, 0x0
	.amdhsa_kernel _ZN7rocprim17ROCPRIM_400000_NS6detail17trampoline_kernelINS0_14default_configENS1_20scan_config_selectorIxEEZZNS1_9scan_implILNS1_25lookback_scan_determinismE0ELb0ELb0ES3_N6thrust23THRUST_200600_302600_NS6detail15normal_iteratorINS9_10device_ptrIxEEEENS9_16discard_iteratorINS9_11use_defaultEEEx11max_functorIxExEEDaPvRmT3_T4_T5_mT6_P12ihipStream_tbENKUlT_T0_E_clISt17integral_constantIbLb1EESX_EEDaSS_ST_EUlSS_E0_NS1_11comp_targetILNS1_3genE0ELNS1_11target_archE4294967295ELNS1_3gpuE0ELNS1_3repE0EEENS1_30default_config_static_selectorELNS0_4arch9wavefront6targetE1EEEvT1_
		.amdhsa_group_segment_fixed_size 0
		.amdhsa_private_segment_fixed_size 0
		.amdhsa_kernarg_size 48
		.amdhsa_user_sgpr_count 6
		.amdhsa_user_sgpr_private_segment_buffer 1
		.amdhsa_user_sgpr_dispatch_ptr 0
		.amdhsa_user_sgpr_queue_ptr 0
		.amdhsa_user_sgpr_kernarg_segment_ptr 1
		.amdhsa_user_sgpr_dispatch_id 0
		.amdhsa_user_sgpr_flat_scratch_init 0
		.amdhsa_user_sgpr_kernarg_preload_length 0
		.amdhsa_user_sgpr_kernarg_preload_offset 0
		.amdhsa_user_sgpr_private_segment_size 0
		.amdhsa_uses_dynamic_stack 0
		.amdhsa_system_sgpr_private_segment_wavefront_offset 0
		.amdhsa_system_sgpr_workgroup_id_x 1
		.amdhsa_system_sgpr_workgroup_id_y 0
		.amdhsa_system_sgpr_workgroup_id_z 0
		.amdhsa_system_sgpr_workgroup_info 0
		.amdhsa_system_vgpr_workitem_id 0
		.amdhsa_next_free_vgpr 1
		.amdhsa_next_free_sgpr 0
		.amdhsa_accum_offset 4
		.amdhsa_reserve_vcc 0
		.amdhsa_reserve_flat_scratch 0
		.amdhsa_float_round_mode_32 0
		.amdhsa_float_round_mode_16_64 0
		.amdhsa_float_denorm_mode_32 3
		.amdhsa_float_denorm_mode_16_64 3
		.amdhsa_dx10_clamp 1
		.amdhsa_ieee_mode 1
		.amdhsa_fp16_overflow 0
		.amdhsa_tg_split 0
		.amdhsa_exception_fp_ieee_invalid_op 0
		.amdhsa_exception_fp_denorm_src 0
		.amdhsa_exception_fp_ieee_div_zero 0
		.amdhsa_exception_fp_ieee_overflow 0
		.amdhsa_exception_fp_ieee_underflow 0
		.amdhsa_exception_fp_ieee_inexact 0
		.amdhsa_exception_int_div_zero 0
	.end_amdhsa_kernel
	.section	.text._ZN7rocprim17ROCPRIM_400000_NS6detail17trampoline_kernelINS0_14default_configENS1_20scan_config_selectorIxEEZZNS1_9scan_implILNS1_25lookback_scan_determinismE0ELb0ELb0ES3_N6thrust23THRUST_200600_302600_NS6detail15normal_iteratorINS9_10device_ptrIxEEEENS9_16discard_iteratorINS9_11use_defaultEEEx11max_functorIxExEEDaPvRmT3_T4_T5_mT6_P12ihipStream_tbENKUlT_T0_E_clISt17integral_constantIbLb1EESX_EEDaSS_ST_EUlSS_E0_NS1_11comp_targetILNS1_3genE0ELNS1_11target_archE4294967295ELNS1_3gpuE0ELNS1_3repE0EEENS1_30default_config_static_selectorELNS0_4arch9wavefront6targetE1EEEvT1_,"axG",@progbits,_ZN7rocprim17ROCPRIM_400000_NS6detail17trampoline_kernelINS0_14default_configENS1_20scan_config_selectorIxEEZZNS1_9scan_implILNS1_25lookback_scan_determinismE0ELb0ELb0ES3_N6thrust23THRUST_200600_302600_NS6detail15normal_iteratorINS9_10device_ptrIxEEEENS9_16discard_iteratorINS9_11use_defaultEEEx11max_functorIxExEEDaPvRmT3_T4_T5_mT6_P12ihipStream_tbENKUlT_T0_E_clISt17integral_constantIbLb1EESX_EEDaSS_ST_EUlSS_E0_NS1_11comp_targetILNS1_3genE0ELNS1_11target_archE4294967295ELNS1_3gpuE0ELNS1_3repE0EEENS1_30default_config_static_selectorELNS0_4arch9wavefront6targetE1EEEvT1_,comdat
.Lfunc_end3737:
	.size	_ZN7rocprim17ROCPRIM_400000_NS6detail17trampoline_kernelINS0_14default_configENS1_20scan_config_selectorIxEEZZNS1_9scan_implILNS1_25lookback_scan_determinismE0ELb0ELb0ES3_N6thrust23THRUST_200600_302600_NS6detail15normal_iteratorINS9_10device_ptrIxEEEENS9_16discard_iteratorINS9_11use_defaultEEEx11max_functorIxExEEDaPvRmT3_T4_T5_mT6_P12ihipStream_tbENKUlT_T0_E_clISt17integral_constantIbLb1EESX_EEDaSS_ST_EUlSS_E0_NS1_11comp_targetILNS1_3genE0ELNS1_11target_archE4294967295ELNS1_3gpuE0ELNS1_3repE0EEENS1_30default_config_static_selectorELNS0_4arch9wavefront6targetE1EEEvT1_, .Lfunc_end3737-_ZN7rocprim17ROCPRIM_400000_NS6detail17trampoline_kernelINS0_14default_configENS1_20scan_config_selectorIxEEZZNS1_9scan_implILNS1_25lookback_scan_determinismE0ELb0ELb0ES3_N6thrust23THRUST_200600_302600_NS6detail15normal_iteratorINS9_10device_ptrIxEEEENS9_16discard_iteratorINS9_11use_defaultEEEx11max_functorIxExEEDaPvRmT3_T4_T5_mT6_P12ihipStream_tbENKUlT_T0_E_clISt17integral_constantIbLb1EESX_EEDaSS_ST_EUlSS_E0_NS1_11comp_targetILNS1_3genE0ELNS1_11target_archE4294967295ELNS1_3gpuE0ELNS1_3repE0EEENS1_30default_config_static_selectorELNS0_4arch9wavefront6targetE1EEEvT1_
                                        ; -- End function
	.section	.AMDGPU.csdata,"",@progbits
; Kernel info:
; codeLenInByte = 0
; NumSgprs: 4
; NumVgprs: 0
; NumAgprs: 0
; TotalNumVgprs: 0
; ScratchSize: 0
; MemoryBound: 0
; FloatMode: 240
; IeeeMode: 1
; LDSByteSize: 0 bytes/workgroup (compile time only)
; SGPRBlocks: 0
; VGPRBlocks: 0
; NumSGPRsForWavesPerEU: 4
; NumVGPRsForWavesPerEU: 1
; AccumOffset: 4
; Occupancy: 8
; WaveLimiterHint : 0
; COMPUTE_PGM_RSRC2:SCRATCH_EN: 0
; COMPUTE_PGM_RSRC2:USER_SGPR: 6
; COMPUTE_PGM_RSRC2:TRAP_HANDLER: 0
; COMPUTE_PGM_RSRC2:TGID_X_EN: 1
; COMPUTE_PGM_RSRC2:TGID_Y_EN: 0
; COMPUTE_PGM_RSRC2:TGID_Z_EN: 0
; COMPUTE_PGM_RSRC2:TIDIG_COMP_CNT: 0
; COMPUTE_PGM_RSRC3_GFX90A:ACCUM_OFFSET: 0
; COMPUTE_PGM_RSRC3_GFX90A:TG_SPLIT: 0
	.section	.text._ZN7rocprim17ROCPRIM_400000_NS6detail17trampoline_kernelINS0_14default_configENS1_20scan_config_selectorIxEEZZNS1_9scan_implILNS1_25lookback_scan_determinismE0ELb0ELb0ES3_N6thrust23THRUST_200600_302600_NS6detail15normal_iteratorINS9_10device_ptrIxEEEENS9_16discard_iteratorINS9_11use_defaultEEEx11max_functorIxExEEDaPvRmT3_T4_T5_mT6_P12ihipStream_tbENKUlT_T0_E_clISt17integral_constantIbLb1EESX_EEDaSS_ST_EUlSS_E0_NS1_11comp_targetILNS1_3genE5ELNS1_11target_archE942ELNS1_3gpuE9ELNS1_3repE0EEENS1_30default_config_static_selectorELNS0_4arch9wavefront6targetE1EEEvT1_,"axG",@progbits,_ZN7rocprim17ROCPRIM_400000_NS6detail17trampoline_kernelINS0_14default_configENS1_20scan_config_selectorIxEEZZNS1_9scan_implILNS1_25lookback_scan_determinismE0ELb0ELb0ES3_N6thrust23THRUST_200600_302600_NS6detail15normal_iteratorINS9_10device_ptrIxEEEENS9_16discard_iteratorINS9_11use_defaultEEEx11max_functorIxExEEDaPvRmT3_T4_T5_mT6_P12ihipStream_tbENKUlT_T0_E_clISt17integral_constantIbLb1EESX_EEDaSS_ST_EUlSS_E0_NS1_11comp_targetILNS1_3genE5ELNS1_11target_archE942ELNS1_3gpuE9ELNS1_3repE0EEENS1_30default_config_static_selectorELNS0_4arch9wavefront6targetE1EEEvT1_,comdat
	.protected	_ZN7rocprim17ROCPRIM_400000_NS6detail17trampoline_kernelINS0_14default_configENS1_20scan_config_selectorIxEEZZNS1_9scan_implILNS1_25lookback_scan_determinismE0ELb0ELb0ES3_N6thrust23THRUST_200600_302600_NS6detail15normal_iteratorINS9_10device_ptrIxEEEENS9_16discard_iteratorINS9_11use_defaultEEEx11max_functorIxExEEDaPvRmT3_T4_T5_mT6_P12ihipStream_tbENKUlT_T0_E_clISt17integral_constantIbLb1EESX_EEDaSS_ST_EUlSS_E0_NS1_11comp_targetILNS1_3genE5ELNS1_11target_archE942ELNS1_3gpuE9ELNS1_3repE0EEENS1_30default_config_static_selectorELNS0_4arch9wavefront6targetE1EEEvT1_ ; -- Begin function _ZN7rocprim17ROCPRIM_400000_NS6detail17trampoline_kernelINS0_14default_configENS1_20scan_config_selectorIxEEZZNS1_9scan_implILNS1_25lookback_scan_determinismE0ELb0ELb0ES3_N6thrust23THRUST_200600_302600_NS6detail15normal_iteratorINS9_10device_ptrIxEEEENS9_16discard_iteratorINS9_11use_defaultEEEx11max_functorIxExEEDaPvRmT3_T4_T5_mT6_P12ihipStream_tbENKUlT_T0_E_clISt17integral_constantIbLb1EESX_EEDaSS_ST_EUlSS_E0_NS1_11comp_targetILNS1_3genE5ELNS1_11target_archE942ELNS1_3gpuE9ELNS1_3repE0EEENS1_30default_config_static_selectorELNS0_4arch9wavefront6targetE1EEEvT1_
	.globl	_ZN7rocprim17ROCPRIM_400000_NS6detail17trampoline_kernelINS0_14default_configENS1_20scan_config_selectorIxEEZZNS1_9scan_implILNS1_25lookback_scan_determinismE0ELb0ELb0ES3_N6thrust23THRUST_200600_302600_NS6detail15normal_iteratorINS9_10device_ptrIxEEEENS9_16discard_iteratorINS9_11use_defaultEEEx11max_functorIxExEEDaPvRmT3_T4_T5_mT6_P12ihipStream_tbENKUlT_T0_E_clISt17integral_constantIbLb1EESX_EEDaSS_ST_EUlSS_E0_NS1_11comp_targetILNS1_3genE5ELNS1_11target_archE942ELNS1_3gpuE9ELNS1_3repE0EEENS1_30default_config_static_selectorELNS0_4arch9wavefront6targetE1EEEvT1_
	.p2align	8
	.type	_ZN7rocprim17ROCPRIM_400000_NS6detail17trampoline_kernelINS0_14default_configENS1_20scan_config_selectorIxEEZZNS1_9scan_implILNS1_25lookback_scan_determinismE0ELb0ELb0ES3_N6thrust23THRUST_200600_302600_NS6detail15normal_iteratorINS9_10device_ptrIxEEEENS9_16discard_iteratorINS9_11use_defaultEEEx11max_functorIxExEEDaPvRmT3_T4_T5_mT6_P12ihipStream_tbENKUlT_T0_E_clISt17integral_constantIbLb1EESX_EEDaSS_ST_EUlSS_E0_NS1_11comp_targetILNS1_3genE5ELNS1_11target_archE942ELNS1_3gpuE9ELNS1_3repE0EEENS1_30default_config_static_selectorELNS0_4arch9wavefront6targetE1EEEvT1_,@function
_ZN7rocprim17ROCPRIM_400000_NS6detail17trampoline_kernelINS0_14default_configENS1_20scan_config_selectorIxEEZZNS1_9scan_implILNS1_25lookback_scan_determinismE0ELb0ELb0ES3_N6thrust23THRUST_200600_302600_NS6detail15normal_iteratorINS9_10device_ptrIxEEEENS9_16discard_iteratorINS9_11use_defaultEEEx11max_functorIxExEEDaPvRmT3_T4_T5_mT6_P12ihipStream_tbENKUlT_T0_E_clISt17integral_constantIbLb1EESX_EEDaSS_ST_EUlSS_E0_NS1_11comp_targetILNS1_3genE5ELNS1_11target_archE942ELNS1_3gpuE9ELNS1_3repE0EEENS1_30default_config_static_selectorELNS0_4arch9wavefront6targetE1EEEvT1_: ; @_ZN7rocprim17ROCPRIM_400000_NS6detail17trampoline_kernelINS0_14default_configENS1_20scan_config_selectorIxEEZZNS1_9scan_implILNS1_25lookback_scan_determinismE0ELb0ELb0ES3_N6thrust23THRUST_200600_302600_NS6detail15normal_iteratorINS9_10device_ptrIxEEEENS9_16discard_iteratorINS9_11use_defaultEEEx11max_functorIxExEEDaPvRmT3_T4_T5_mT6_P12ihipStream_tbENKUlT_T0_E_clISt17integral_constantIbLb1EESX_EEDaSS_ST_EUlSS_E0_NS1_11comp_targetILNS1_3genE5ELNS1_11target_archE942ELNS1_3gpuE9ELNS1_3repE0EEENS1_30default_config_static_selectorELNS0_4arch9wavefront6targetE1EEEvT1_
; %bb.0:
	.section	.rodata,"a",@progbits
	.p2align	6, 0x0
	.amdhsa_kernel _ZN7rocprim17ROCPRIM_400000_NS6detail17trampoline_kernelINS0_14default_configENS1_20scan_config_selectorIxEEZZNS1_9scan_implILNS1_25lookback_scan_determinismE0ELb0ELb0ES3_N6thrust23THRUST_200600_302600_NS6detail15normal_iteratorINS9_10device_ptrIxEEEENS9_16discard_iteratorINS9_11use_defaultEEEx11max_functorIxExEEDaPvRmT3_T4_T5_mT6_P12ihipStream_tbENKUlT_T0_E_clISt17integral_constantIbLb1EESX_EEDaSS_ST_EUlSS_E0_NS1_11comp_targetILNS1_3genE5ELNS1_11target_archE942ELNS1_3gpuE9ELNS1_3repE0EEENS1_30default_config_static_selectorELNS0_4arch9wavefront6targetE1EEEvT1_
		.amdhsa_group_segment_fixed_size 0
		.amdhsa_private_segment_fixed_size 0
		.amdhsa_kernarg_size 48
		.amdhsa_user_sgpr_count 6
		.amdhsa_user_sgpr_private_segment_buffer 1
		.amdhsa_user_sgpr_dispatch_ptr 0
		.amdhsa_user_sgpr_queue_ptr 0
		.amdhsa_user_sgpr_kernarg_segment_ptr 1
		.amdhsa_user_sgpr_dispatch_id 0
		.amdhsa_user_sgpr_flat_scratch_init 0
		.amdhsa_user_sgpr_kernarg_preload_length 0
		.amdhsa_user_sgpr_kernarg_preload_offset 0
		.amdhsa_user_sgpr_private_segment_size 0
		.amdhsa_uses_dynamic_stack 0
		.amdhsa_system_sgpr_private_segment_wavefront_offset 0
		.amdhsa_system_sgpr_workgroup_id_x 1
		.amdhsa_system_sgpr_workgroup_id_y 0
		.amdhsa_system_sgpr_workgroup_id_z 0
		.amdhsa_system_sgpr_workgroup_info 0
		.amdhsa_system_vgpr_workitem_id 0
		.amdhsa_next_free_vgpr 1
		.amdhsa_next_free_sgpr 0
		.amdhsa_accum_offset 4
		.amdhsa_reserve_vcc 0
		.amdhsa_reserve_flat_scratch 0
		.amdhsa_float_round_mode_32 0
		.amdhsa_float_round_mode_16_64 0
		.amdhsa_float_denorm_mode_32 3
		.amdhsa_float_denorm_mode_16_64 3
		.amdhsa_dx10_clamp 1
		.amdhsa_ieee_mode 1
		.amdhsa_fp16_overflow 0
		.amdhsa_tg_split 0
		.amdhsa_exception_fp_ieee_invalid_op 0
		.amdhsa_exception_fp_denorm_src 0
		.amdhsa_exception_fp_ieee_div_zero 0
		.amdhsa_exception_fp_ieee_overflow 0
		.amdhsa_exception_fp_ieee_underflow 0
		.amdhsa_exception_fp_ieee_inexact 0
		.amdhsa_exception_int_div_zero 0
	.end_amdhsa_kernel
	.section	.text._ZN7rocprim17ROCPRIM_400000_NS6detail17trampoline_kernelINS0_14default_configENS1_20scan_config_selectorIxEEZZNS1_9scan_implILNS1_25lookback_scan_determinismE0ELb0ELb0ES3_N6thrust23THRUST_200600_302600_NS6detail15normal_iteratorINS9_10device_ptrIxEEEENS9_16discard_iteratorINS9_11use_defaultEEEx11max_functorIxExEEDaPvRmT3_T4_T5_mT6_P12ihipStream_tbENKUlT_T0_E_clISt17integral_constantIbLb1EESX_EEDaSS_ST_EUlSS_E0_NS1_11comp_targetILNS1_3genE5ELNS1_11target_archE942ELNS1_3gpuE9ELNS1_3repE0EEENS1_30default_config_static_selectorELNS0_4arch9wavefront6targetE1EEEvT1_,"axG",@progbits,_ZN7rocprim17ROCPRIM_400000_NS6detail17trampoline_kernelINS0_14default_configENS1_20scan_config_selectorIxEEZZNS1_9scan_implILNS1_25lookback_scan_determinismE0ELb0ELb0ES3_N6thrust23THRUST_200600_302600_NS6detail15normal_iteratorINS9_10device_ptrIxEEEENS9_16discard_iteratorINS9_11use_defaultEEEx11max_functorIxExEEDaPvRmT3_T4_T5_mT6_P12ihipStream_tbENKUlT_T0_E_clISt17integral_constantIbLb1EESX_EEDaSS_ST_EUlSS_E0_NS1_11comp_targetILNS1_3genE5ELNS1_11target_archE942ELNS1_3gpuE9ELNS1_3repE0EEENS1_30default_config_static_selectorELNS0_4arch9wavefront6targetE1EEEvT1_,comdat
.Lfunc_end3738:
	.size	_ZN7rocprim17ROCPRIM_400000_NS6detail17trampoline_kernelINS0_14default_configENS1_20scan_config_selectorIxEEZZNS1_9scan_implILNS1_25lookback_scan_determinismE0ELb0ELb0ES3_N6thrust23THRUST_200600_302600_NS6detail15normal_iteratorINS9_10device_ptrIxEEEENS9_16discard_iteratorINS9_11use_defaultEEEx11max_functorIxExEEDaPvRmT3_T4_T5_mT6_P12ihipStream_tbENKUlT_T0_E_clISt17integral_constantIbLb1EESX_EEDaSS_ST_EUlSS_E0_NS1_11comp_targetILNS1_3genE5ELNS1_11target_archE942ELNS1_3gpuE9ELNS1_3repE0EEENS1_30default_config_static_selectorELNS0_4arch9wavefront6targetE1EEEvT1_, .Lfunc_end3738-_ZN7rocprim17ROCPRIM_400000_NS6detail17trampoline_kernelINS0_14default_configENS1_20scan_config_selectorIxEEZZNS1_9scan_implILNS1_25lookback_scan_determinismE0ELb0ELb0ES3_N6thrust23THRUST_200600_302600_NS6detail15normal_iteratorINS9_10device_ptrIxEEEENS9_16discard_iteratorINS9_11use_defaultEEEx11max_functorIxExEEDaPvRmT3_T4_T5_mT6_P12ihipStream_tbENKUlT_T0_E_clISt17integral_constantIbLb1EESX_EEDaSS_ST_EUlSS_E0_NS1_11comp_targetILNS1_3genE5ELNS1_11target_archE942ELNS1_3gpuE9ELNS1_3repE0EEENS1_30default_config_static_selectorELNS0_4arch9wavefront6targetE1EEEvT1_
                                        ; -- End function
	.section	.AMDGPU.csdata,"",@progbits
; Kernel info:
; codeLenInByte = 0
; NumSgprs: 4
; NumVgprs: 0
; NumAgprs: 0
; TotalNumVgprs: 0
; ScratchSize: 0
; MemoryBound: 0
; FloatMode: 240
; IeeeMode: 1
; LDSByteSize: 0 bytes/workgroup (compile time only)
; SGPRBlocks: 0
; VGPRBlocks: 0
; NumSGPRsForWavesPerEU: 4
; NumVGPRsForWavesPerEU: 1
; AccumOffset: 4
; Occupancy: 8
; WaveLimiterHint : 0
; COMPUTE_PGM_RSRC2:SCRATCH_EN: 0
; COMPUTE_PGM_RSRC2:USER_SGPR: 6
; COMPUTE_PGM_RSRC2:TRAP_HANDLER: 0
; COMPUTE_PGM_RSRC2:TGID_X_EN: 1
; COMPUTE_PGM_RSRC2:TGID_Y_EN: 0
; COMPUTE_PGM_RSRC2:TGID_Z_EN: 0
; COMPUTE_PGM_RSRC2:TIDIG_COMP_CNT: 0
; COMPUTE_PGM_RSRC3_GFX90A:ACCUM_OFFSET: 0
; COMPUTE_PGM_RSRC3_GFX90A:TG_SPLIT: 0
	.section	.text._ZN7rocprim17ROCPRIM_400000_NS6detail17trampoline_kernelINS0_14default_configENS1_20scan_config_selectorIxEEZZNS1_9scan_implILNS1_25lookback_scan_determinismE0ELb0ELb0ES3_N6thrust23THRUST_200600_302600_NS6detail15normal_iteratorINS9_10device_ptrIxEEEENS9_16discard_iteratorINS9_11use_defaultEEEx11max_functorIxExEEDaPvRmT3_T4_T5_mT6_P12ihipStream_tbENKUlT_T0_E_clISt17integral_constantIbLb1EESX_EEDaSS_ST_EUlSS_E0_NS1_11comp_targetILNS1_3genE4ELNS1_11target_archE910ELNS1_3gpuE8ELNS1_3repE0EEENS1_30default_config_static_selectorELNS0_4arch9wavefront6targetE1EEEvT1_,"axG",@progbits,_ZN7rocprim17ROCPRIM_400000_NS6detail17trampoline_kernelINS0_14default_configENS1_20scan_config_selectorIxEEZZNS1_9scan_implILNS1_25lookback_scan_determinismE0ELb0ELb0ES3_N6thrust23THRUST_200600_302600_NS6detail15normal_iteratorINS9_10device_ptrIxEEEENS9_16discard_iteratorINS9_11use_defaultEEEx11max_functorIxExEEDaPvRmT3_T4_T5_mT6_P12ihipStream_tbENKUlT_T0_E_clISt17integral_constantIbLb1EESX_EEDaSS_ST_EUlSS_E0_NS1_11comp_targetILNS1_3genE4ELNS1_11target_archE910ELNS1_3gpuE8ELNS1_3repE0EEENS1_30default_config_static_selectorELNS0_4arch9wavefront6targetE1EEEvT1_,comdat
	.protected	_ZN7rocprim17ROCPRIM_400000_NS6detail17trampoline_kernelINS0_14default_configENS1_20scan_config_selectorIxEEZZNS1_9scan_implILNS1_25lookback_scan_determinismE0ELb0ELb0ES3_N6thrust23THRUST_200600_302600_NS6detail15normal_iteratorINS9_10device_ptrIxEEEENS9_16discard_iteratorINS9_11use_defaultEEEx11max_functorIxExEEDaPvRmT3_T4_T5_mT6_P12ihipStream_tbENKUlT_T0_E_clISt17integral_constantIbLb1EESX_EEDaSS_ST_EUlSS_E0_NS1_11comp_targetILNS1_3genE4ELNS1_11target_archE910ELNS1_3gpuE8ELNS1_3repE0EEENS1_30default_config_static_selectorELNS0_4arch9wavefront6targetE1EEEvT1_ ; -- Begin function _ZN7rocprim17ROCPRIM_400000_NS6detail17trampoline_kernelINS0_14default_configENS1_20scan_config_selectorIxEEZZNS1_9scan_implILNS1_25lookback_scan_determinismE0ELb0ELb0ES3_N6thrust23THRUST_200600_302600_NS6detail15normal_iteratorINS9_10device_ptrIxEEEENS9_16discard_iteratorINS9_11use_defaultEEEx11max_functorIxExEEDaPvRmT3_T4_T5_mT6_P12ihipStream_tbENKUlT_T0_E_clISt17integral_constantIbLb1EESX_EEDaSS_ST_EUlSS_E0_NS1_11comp_targetILNS1_3genE4ELNS1_11target_archE910ELNS1_3gpuE8ELNS1_3repE0EEENS1_30default_config_static_selectorELNS0_4arch9wavefront6targetE1EEEvT1_
	.globl	_ZN7rocprim17ROCPRIM_400000_NS6detail17trampoline_kernelINS0_14default_configENS1_20scan_config_selectorIxEEZZNS1_9scan_implILNS1_25lookback_scan_determinismE0ELb0ELb0ES3_N6thrust23THRUST_200600_302600_NS6detail15normal_iteratorINS9_10device_ptrIxEEEENS9_16discard_iteratorINS9_11use_defaultEEEx11max_functorIxExEEDaPvRmT3_T4_T5_mT6_P12ihipStream_tbENKUlT_T0_E_clISt17integral_constantIbLb1EESX_EEDaSS_ST_EUlSS_E0_NS1_11comp_targetILNS1_3genE4ELNS1_11target_archE910ELNS1_3gpuE8ELNS1_3repE0EEENS1_30default_config_static_selectorELNS0_4arch9wavefront6targetE1EEEvT1_
	.p2align	8
	.type	_ZN7rocprim17ROCPRIM_400000_NS6detail17trampoline_kernelINS0_14default_configENS1_20scan_config_selectorIxEEZZNS1_9scan_implILNS1_25lookback_scan_determinismE0ELb0ELb0ES3_N6thrust23THRUST_200600_302600_NS6detail15normal_iteratorINS9_10device_ptrIxEEEENS9_16discard_iteratorINS9_11use_defaultEEEx11max_functorIxExEEDaPvRmT3_T4_T5_mT6_P12ihipStream_tbENKUlT_T0_E_clISt17integral_constantIbLb1EESX_EEDaSS_ST_EUlSS_E0_NS1_11comp_targetILNS1_3genE4ELNS1_11target_archE910ELNS1_3gpuE8ELNS1_3repE0EEENS1_30default_config_static_selectorELNS0_4arch9wavefront6targetE1EEEvT1_,@function
_ZN7rocprim17ROCPRIM_400000_NS6detail17trampoline_kernelINS0_14default_configENS1_20scan_config_selectorIxEEZZNS1_9scan_implILNS1_25lookback_scan_determinismE0ELb0ELb0ES3_N6thrust23THRUST_200600_302600_NS6detail15normal_iteratorINS9_10device_ptrIxEEEENS9_16discard_iteratorINS9_11use_defaultEEEx11max_functorIxExEEDaPvRmT3_T4_T5_mT6_P12ihipStream_tbENKUlT_T0_E_clISt17integral_constantIbLb1EESX_EEDaSS_ST_EUlSS_E0_NS1_11comp_targetILNS1_3genE4ELNS1_11target_archE910ELNS1_3gpuE8ELNS1_3repE0EEENS1_30default_config_static_selectorELNS0_4arch9wavefront6targetE1EEEvT1_: ; @_ZN7rocprim17ROCPRIM_400000_NS6detail17trampoline_kernelINS0_14default_configENS1_20scan_config_selectorIxEEZZNS1_9scan_implILNS1_25lookback_scan_determinismE0ELb0ELb0ES3_N6thrust23THRUST_200600_302600_NS6detail15normal_iteratorINS9_10device_ptrIxEEEENS9_16discard_iteratorINS9_11use_defaultEEEx11max_functorIxExEEDaPvRmT3_T4_T5_mT6_P12ihipStream_tbENKUlT_T0_E_clISt17integral_constantIbLb1EESX_EEDaSS_ST_EUlSS_E0_NS1_11comp_targetILNS1_3genE4ELNS1_11target_archE910ELNS1_3gpuE8ELNS1_3repE0EEENS1_30default_config_static_selectorELNS0_4arch9wavefront6targetE1EEEvT1_
; %bb.0:
	s_load_dwordx4 s[0:3], s[4:5], 0x0
	v_lshlrev_b32_e32 v1, 3, v0
	s_waitcnt lgkmcnt(0)
	s_load_dwordx2 s[4:5], s[0:1], 0x0
	v_cmp_gt_u32_e32 vcc, s2, v0
	s_waitcnt lgkmcnt(0)
	v_pk_mov_b32 v[2:3], s[4:5], s[4:5] op_sel:[0,1]
	s_and_saveexec_b64 s[6:7], vcc
	s_cbranch_execz .LBB3739_2
; %bb.1:
	global_load_dwordx2 v[2:3], v1, s[0:1]
.LBB3739_2:
	s_or_b64 exec, exec, s[6:7]
	v_or_b32_e32 v4, 0x80, v0
	v_cmp_gt_u32_e32 vcc, s2, v4
	v_pk_mov_b32 v[4:5], s[4:5], s[4:5] op_sel:[0,1]
	s_and_saveexec_b64 s[6:7], vcc
	s_cbranch_execz .LBB3739_4
; %bb.3:
	global_load_dwordx2 v[4:5], v1, s[0:1] offset:1024
.LBB3739_4:
	s_or_b64 exec, exec, s[6:7]
	v_or_b32_e32 v6, 0x100, v0
	v_cmp_gt_u32_e32 vcc, s2, v6
	v_pk_mov_b32 v[6:7], s[4:5], s[4:5] op_sel:[0,1]
	s_and_saveexec_b64 s[6:7], vcc
	s_cbranch_execz .LBB3739_6
; %bb.5:
	global_load_dwordx2 v[6:7], v1, s[0:1] offset:2048
.LBB3739_6:
	;; [unrolled: 9-line block ×3, first 2 shown]
	s_or_b64 exec, exec, s[6:7]
	v_or_b32_e32 v12, 0x200, v0
	v_cmp_gt_u32_e32 vcc, s2, v12
	v_pk_mov_b32 v[10:11], s[4:5], s[4:5] op_sel:[0,1]
	s_and_saveexec_b64 s[6:7], vcc
	s_cbranch_execz .LBB3739_10
; %bb.9:
	v_lshlrev_b32_e32 v10, 3, v12
	global_load_dwordx2 v[10:11], v10, s[0:1]
.LBB3739_10:
	s_or_b64 exec, exec, s[6:7]
	v_or_b32_e32 v14, 0x280, v0
	v_cmp_gt_u32_e32 vcc, s2, v14
	v_pk_mov_b32 v[12:13], s[4:5], s[4:5] op_sel:[0,1]
	s_and_saveexec_b64 s[6:7], vcc
	s_cbranch_execz .LBB3739_12
; %bb.11:
	v_lshlrev_b32_e32 v12, 3, v14
	global_load_dwordx2 v[12:13], v12, s[0:1]
.LBB3739_12:
	;; [unrolled: 10-line block ×3, first 2 shown]
	s_or_b64 exec, exec, s[2:3]
	s_waitcnt vmcnt(0)
	ds_write2st64_b64 v1, v[2:3], v[4:5] offset1:2
	ds_write2st64_b64 v1, v[6:7], v[8:9] offset0:4 offset1:6
	ds_write2st64_b64 v1, v[10:11], v[12:13] offset0:8 offset1:10
	ds_write_b64 v1, v[14:15] offset:6144
	v_mad_u32_u24 v14, v0, 48, v1
	s_waitcnt lgkmcnt(0)
	s_barrier
	ds_read2_b64 v[2:5], v14 offset1:1
	ds_read2_b64 v[10:13], v14 offset0:2 offset1:3
	ds_read2_b64 v[6:9], v14 offset0:4 offset1:5
	ds_read_b64 v[26:27], v14 offset:48
	v_lshrrev_b32_e32 v14, 2, v0
	s_waitcnt lgkmcnt(3)
	v_cmp_gt_i64_e32 vcc, v[2:3], v[4:5]
	v_cndmask_b32_e32 v19, v5, v3, vcc
	v_cndmask_b32_e32 v18, v4, v2, vcc
	s_waitcnt lgkmcnt(2)
	v_cmp_gt_i64_e32 vcc, v[18:19], v[10:11]
	v_cndmask_b32_e32 v21, v11, v19, vcc
	v_cndmask_b32_e32 v20, v10, v18, vcc
	v_cmp_gt_i64_e32 vcc, v[20:21], v[12:13]
	v_cndmask_b32_e32 v23, v13, v21, vcc
	v_cndmask_b32_e32 v22, v12, v20, vcc
	s_waitcnt lgkmcnt(1)
	v_cmp_gt_i64_e32 vcc, v[22:23], v[6:7]
	v_cndmask_b32_e32 v25, v7, v23, vcc
	v_cndmask_b32_e32 v24, v6, v22, vcc
	v_cmp_gt_i64_e32 vcc, v[24:25], v[8:9]
	v_cndmask_b32_e32 v29, v9, v25, vcc
	v_cndmask_b32_e32 v28, v8, v24, vcc
	s_waitcnt lgkmcnt(0)
	v_cmp_gt_i64_e32 vcc, v[28:29], v[26:27]
	v_and_b32_e32 v14, 24, v14
	v_cndmask_b32_e32 v31, v27, v29, vcc
	v_cndmask_b32_e32 v30, v26, v28, vcc
	v_add_u32_e32 v14, v1, v14
	v_cmp_gt_u32_e32 vcc, 64, v0
	s_barrier
	ds_write_b64 v14, v[30:31]
	s_waitcnt lgkmcnt(0)
	s_barrier
	s_and_saveexec_b64 s[2:3], vcc
	s_cbranch_execz .LBB3739_18
; %bb.15:
	v_lshlrev_b32_e32 v14, 1, v0
	v_lshrrev_b32_e32 v15, 4, v0
	v_add_lshl_u32 v36, v15, v14, 3
	ds_read2_b64 v[14:17], v36 offset1:1
	v_mbcnt_lo_u32_b32 v32, -1, 0
	v_mbcnt_hi_u32_b32 v37, -1, v32
	v_and_b32_e32 v38, 15, v37
	v_and_b32_e32 v40, 16, v37
	s_waitcnt lgkmcnt(0)
	v_cmp_gt_i64_e32 vcc, v[14:15], v[16:17]
	v_cndmask_b32_e32 v17, v17, v15, vcc
	v_cndmask_b32_e32 v16, v16, v14, vcc
	v_cmp_ne_u32_e64 s[0:1], 0, v37
	v_mov_b32_dpp v33, v17 row_shr:1 row_mask:0xf bank_mask:0xf
	v_mov_b32_dpp v32, v16 row_shr:1 row_mask:0xf bank_mask:0xf
	v_cmp_gt_i64_e32 vcc, v[32:33], v[16:17]
	v_cndmask_b32_e32 v32, v16, v32, vcc
	v_cndmask_b32_e32 v33, v17, v33, vcc
	v_cmp_eq_u32_e32 vcc, 0, v38
	v_cndmask_b32_e32 v33, v33, v17, vcc
	v_cndmask_b32_e32 v32, v32, v16, vcc
	s_nop 0
	v_mov_b32_dpp v35, v33 row_shr:2 row_mask:0xf bank_mask:0xf
	v_mov_b32_dpp v34, v32 row_shr:2 row_mask:0xf bank_mask:0xf
	v_cmp_gt_i64_e32 vcc, v[34:35], v[32:33]
	v_cndmask_b32_e32 v34, v32, v34, vcc
	v_cndmask_b32_e32 v35, v33, v35, vcc
	v_cmp_lt_u32_e32 vcc, 1, v38
	v_cndmask_b32_e32 v33, v33, v35, vcc
	v_cndmask_b32_e32 v32, v32, v34, vcc
	s_nop 0
	v_mov_b32_dpp v35, v33 row_shr:4 row_mask:0xf bank_mask:0xf
	v_mov_b32_dpp v34, v32 row_shr:4 row_mask:0xf bank_mask:0xf
	v_cmp_gt_i64_e32 vcc, v[34:35], v[32:33]
	v_cndmask_b32_e32 v34, v32, v34, vcc
	v_cndmask_b32_e32 v35, v33, v35, vcc
	v_cmp_lt_u32_e32 vcc, 3, v38
	;; [unrolled: 9-line block ×3, first 2 shown]
	v_cndmask_b32_e32 v33, v33, v35, vcc
	v_cndmask_b32_e32 v32, v32, v34, vcc
	s_nop 0
	v_mov_b32_dpp v35, v33 row_bcast:15 row_mask:0xf bank_mask:0xf
	v_mov_b32_dpp v34, v32 row_bcast:15 row_mask:0xf bank_mask:0xf
	v_cmp_gt_i64_e32 vcc, v[34:35], v[32:33]
	v_cndmask_b32_e32 v38, v33, v35, vcc
	v_cndmask_b32_e32 v39, v32, v34, vcc
	v_cmp_eq_u32_e32 vcc, 0, v40
	v_cndmask_b32_e32 v35, v38, v33, vcc
	v_cndmask_b32_e32 v34, v39, v32, vcc
	s_nop 0
	v_mov_b32_dpp v35, v35 row_bcast:31 row_mask:0xf bank_mask:0xf
	v_mov_b32_dpp v34, v34 row_bcast:31 row_mask:0xf bank_mask:0xf
	s_and_saveexec_b64 s[4:5], s[0:1]
; %bb.16:
	v_cndmask_b32_e32 v17, v38, v33, vcc
	v_cndmask_b32_e32 v16, v39, v32, vcc
	v_cmp_lt_u32_e64 s[0:1], 31, v37
	v_cmp_gt_i64_e32 vcc, v[34:35], v[16:17]
	s_and_b64 vcc, s[0:1], vcc
	v_cndmask_b32_e32 v16, v16, v34, vcc
	v_cndmask_b32_e32 v17, v17, v35, vcc
; %bb.17:
	s_or_b64 exec, exec, s[4:5]
	v_add_u32_e32 v32, -1, v37
	v_and_b32_e32 v33, 64, v37
	v_cmp_lt_i32_e32 vcc, v32, v33
	v_cndmask_b32_e32 v32, v32, v37, vcc
	v_lshlrev_b32_e32 v32, 2, v32
	ds_bpermute_b32 v16, v32, v16
	ds_bpermute_b32 v17, v32, v17
	; wave barrier
	s_waitcnt lgkmcnt(0)
	v_cmp_gt_i64_e32 vcc, v[16:17], v[14:15]
	v_cndmask_b32_e32 v14, v14, v16, vcc
	v_cndmask_b32_e32 v15, v15, v17, vcc
	v_cmp_eq_u32_e32 vcc, 0, v0
	v_cndmask_b32_e32 v15, v15, v31, vcc
	v_cndmask_b32_e32 v14, v14, v30, vcc
	ds_write_b64 v36, v[14:15]
	; wave barrier
	ds_read_b64 v[16:17], v36 offset:8
	s_waitcnt lgkmcnt(0)
	v_cmp_gt_i64_e32 vcc, v[14:15], v[16:17]
	v_cndmask_b32_e32 v15, v17, v15, vcc
	v_cndmask_b32_e32 v14, v16, v14, vcc
	ds_write_b64 v36, v[14:15] offset:8
.LBB3739_18:
	s_or_b64 exec, exec, s[2:3]
	v_mul_u32_u24_e32 v16, 48, v0
	v_cmp_ne_u32_e32 vcc, 0, v0
	v_pk_mov_b32 v[14:15], v[30:31], v[30:31] op_sel:[0,1]
	s_waitcnt lgkmcnt(0)
	s_barrier
	s_and_saveexec_b64 s[0:1], vcc
	s_cbranch_execz .LBB3739_20
; %bb.19:
	v_add_u32_e32 v0, -1, v0
	v_lshrrev_b32_e32 v14, 5, v0
	v_add_lshl_u32 v0, v14, v0, 3
	ds_read_b64 v[14:15], v0
.LBB3739_20:
	s_or_b64 exec, exec, s[0:1]
	s_and_saveexec_b64 s[0:1], vcc
	s_cbranch_execz .LBB3739_22
; %bb.21:
	s_waitcnt lgkmcnt(0)
	v_cmp_gt_i64_e32 vcc, v[14:15], v[2:3]
	v_cndmask_b32_e32 v3, v3, v15, vcc
	v_cndmask_b32_e32 v2, v2, v14, vcc
	v_cmp_gt_i64_e32 vcc, v[2:3], v[4:5]
	v_cndmask_b32_e32 v19, v5, v3, vcc
	v_cndmask_b32_e32 v18, v4, v2, vcc
	;; [unrolled: 3-line block ×7, first 2 shown]
	;;#ASMSTART
	;;#ASMEND
.LBB3739_22:
	s_or_b64 exec, exec, s[0:1]
	v_add_u32_e32 v0, v1, v16
	s_waitcnt lgkmcnt(0)
	s_barrier
	ds_write2_b64 v0, v[2:3], v[18:19] offset1:1
	ds_write2_b64 v0, v[20:21], v[22:23] offset0:2 offset1:3
	ds_write2_b64 v0, v[24:25], v[28:29] offset0:4 offset1:5
	ds_write_b64 v0, v[30:31] offset:48
	s_waitcnt lgkmcnt(0)
	s_barrier
	s_endpgm
	.section	.rodata,"a",@progbits
	.p2align	6, 0x0
	.amdhsa_kernel _ZN7rocprim17ROCPRIM_400000_NS6detail17trampoline_kernelINS0_14default_configENS1_20scan_config_selectorIxEEZZNS1_9scan_implILNS1_25lookback_scan_determinismE0ELb0ELb0ES3_N6thrust23THRUST_200600_302600_NS6detail15normal_iteratorINS9_10device_ptrIxEEEENS9_16discard_iteratorINS9_11use_defaultEEEx11max_functorIxExEEDaPvRmT3_T4_T5_mT6_P12ihipStream_tbENKUlT_T0_E_clISt17integral_constantIbLb1EESX_EEDaSS_ST_EUlSS_E0_NS1_11comp_targetILNS1_3genE4ELNS1_11target_archE910ELNS1_3gpuE8ELNS1_3repE0EEENS1_30default_config_static_selectorELNS0_4arch9wavefront6targetE1EEEvT1_
		.amdhsa_group_segment_fixed_size 7168
		.amdhsa_private_segment_fixed_size 0
		.amdhsa_kernarg_size 48
		.amdhsa_user_sgpr_count 6
		.amdhsa_user_sgpr_private_segment_buffer 1
		.amdhsa_user_sgpr_dispatch_ptr 0
		.amdhsa_user_sgpr_queue_ptr 0
		.amdhsa_user_sgpr_kernarg_segment_ptr 1
		.amdhsa_user_sgpr_dispatch_id 0
		.amdhsa_user_sgpr_flat_scratch_init 0
		.amdhsa_user_sgpr_kernarg_preload_length 0
		.amdhsa_user_sgpr_kernarg_preload_offset 0
		.amdhsa_user_sgpr_private_segment_size 0
		.amdhsa_uses_dynamic_stack 0
		.amdhsa_system_sgpr_private_segment_wavefront_offset 0
		.amdhsa_system_sgpr_workgroup_id_x 1
		.amdhsa_system_sgpr_workgroup_id_y 0
		.amdhsa_system_sgpr_workgroup_id_z 0
		.amdhsa_system_sgpr_workgroup_info 0
		.amdhsa_system_vgpr_workitem_id 0
		.amdhsa_next_free_vgpr 41
		.amdhsa_next_free_sgpr 8
		.amdhsa_accum_offset 44
		.amdhsa_reserve_vcc 1
		.amdhsa_reserve_flat_scratch 0
		.amdhsa_float_round_mode_32 0
		.amdhsa_float_round_mode_16_64 0
		.amdhsa_float_denorm_mode_32 3
		.amdhsa_float_denorm_mode_16_64 3
		.amdhsa_dx10_clamp 1
		.amdhsa_ieee_mode 1
		.amdhsa_fp16_overflow 0
		.amdhsa_tg_split 0
		.amdhsa_exception_fp_ieee_invalid_op 0
		.amdhsa_exception_fp_denorm_src 0
		.amdhsa_exception_fp_ieee_div_zero 0
		.amdhsa_exception_fp_ieee_overflow 0
		.amdhsa_exception_fp_ieee_underflow 0
		.amdhsa_exception_fp_ieee_inexact 0
		.amdhsa_exception_int_div_zero 0
	.end_amdhsa_kernel
	.section	.text._ZN7rocprim17ROCPRIM_400000_NS6detail17trampoline_kernelINS0_14default_configENS1_20scan_config_selectorIxEEZZNS1_9scan_implILNS1_25lookback_scan_determinismE0ELb0ELb0ES3_N6thrust23THRUST_200600_302600_NS6detail15normal_iteratorINS9_10device_ptrIxEEEENS9_16discard_iteratorINS9_11use_defaultEEEx11max_functorIxExEEDaPvRmT3_T4_T5_mT6_P12ihipStream_tbENKUlT_T0_E_clISt17integral_constantIbLb1EESX_EEDaSS_ST_EUlSS_E0_NS1_11comp_targetILNS1_3genE4ELNS1_11target_archE910ELNS1_3gpuE8ELNS1_3repE0EEENS1_30default_config_static_selectorELNS0_4arch9wavefront6targetE1EEEvT1_,"axG",@progbits,_ZN7rocprim17ROCPRIM_400000_NS6detail17trampoline_kernelINS0_14default_configENS1_20scan_config_selectorIxEEZZNS1_9scan_implILNS1_25lookback_scan_determinismE0ELb0ELb0ES3_N6thrust23THRUST_200600_302600_NS6detail15normal_iteratorINS9_10device_ptrIxEEEENS9_16discard_iteratorINS9_11use_defaultEEEx11max_functorIxExEEDaPvRmT3_T4_T5_mT6_P12ihipStream_tbENKUlT_T0_E_clISt17integral_constantIbLb1EESX_EEDaSS_ST_EUlSS_E0_NS1_11comp_targetILNS1_3genE4ELNS1_11target_archE910ELNS1_3gpuE8ELNS1_3repE0EEENS1_30default_config_static_selectorELNS0_4arch9wavefront6targetE1EEEvT1_,comdat
.Lfunc_end3739:
	.size	_ZN7rocprim17ROCPRIM_400000_NS6detail17trampoline_kernelINS0_14default_configENS1_20scan_config_selectorIxEEZZNS1_9scan_implILNS1_25lookback_scan_determinismE0ELb0ELb0ES3_N6thrust23THRUST_200600_302600_NS6detail15normal_iteratorINS9_10device_ptrIxEEEENS9_16discard_iteratorINS9_11use_defaultEEEx11max_functorIxExEEDaPvRmT3_T4_T5_mT6_P12ihipStream_tbENKUlT_T0_E_clISt17integral_constantIbLb1EESX_EEDaSS_ST_EUlSS_E0_NS1_11comp_targetILNS1_3genE4ELNS1_11target_archE910ELNS1_3gpuE8ELNS1_3repE0EEENS1_30default_config_static_selectorELNS0_4arch9wavefront6targetE1EEEvT1_, .Lfunc_end3739-_ZN7rocprim17ROCPRIM_400000_NS6detail17trampoline_kernelINS0_14default_configENS1_20scan_config_selectorIxEEZZNS1_9scan_implILNS1_25lookback_scan_determinismE0ELb0ELb0ES3_N6thrust23THRUST_200600_302600_NS6detail15normal_iteratorINS9_10device_ptrIxEEEENS9_16discard_iteratorINS9_11use_defaultEEEx11max_functorIxExEEDaPvRmT3_T4_T5_mT6_P12ihipStream_tbENKUlT_T0_E_clISt17integral_constantIbLb1EESX_EEDaSS_ST_EUlSS_E0_NS1_11comp_targetILNS1_3genE4ELNS1_11target_archE910ELNS1_3gpuE8ELNS1_3repE0EEENS1_30default_config_static_selectorELNS0_4arch9wavefront6targetE1EEEvT1_
                                        ; -- End function
	.section	.AMDGPU.csdata,"",@progbits
; Kernel info:
; codeLenInByte = 1200
; NumSgprs: 12
; NumVgprs: 41
; NumAgprs: 0
; TotalNumVgprs: 41
; ScratchSize: 0
; MemoryBound: 0
; FloatMode: 240
; IeeeMode: 1
; LDSByteSize: 7168 bytes/workgroup (compile time only)
; SGPRBlocks: 1
; VGPRBlocks: 5
; NumSGPRsForWavesPerEU: 12
; NumVGPRsForWavesPerEU: 41
; AccumOffset: 44
; Occupancy: 5
; WaveLimiterHint : 0
; COMPUTE_PGM_RSRC2:SCRATCH_EN: 0
; COMPUTE_PGM_RSRC2:USER_SGPR: 6
; COMPUTE_PGM_RSRC2:TRAP_HANDLER: 0
; COMPUTE_PGM_RSRC2:TGID_X_EN: 1
; COMPUTE_PGM_RSRC2:TGID_Y_EN: 0
; COMPUTE_PGM_RSRC2:TGID_Z_EN: 0
; COMPUTE_PGM_RSRC2:TIDIG_COMP_CNT: 0
; COMPUTE_PGM_RSRC3_GFX90A:ACCUM_OFFSET: 10
; COMPUTE_PGM_RSRC3_GFX90A:TG_SPLIT: 0
	.section	.text._ZN7rocprim17ROCPRIM_400000_NS6detail17trampoline_kernelINS0_14default_configENS1_20scan_config_selectorIxEEZZNS1_9scan_implILNS1_25lookback_scan_determinismE0ELb0ELb0ES3_N6thrust23THRUST_200600_302600_NS6detail15normal_iteratorINS9_10device_ptrIxEEEENS9_16discard_iteratorINS9_11use_defaultEEEx11max_functorIxExEEDaPvRmT3_T4_T5_mT6_P12ihipStream_tbENKUlT_T0_E_clISt17integral_constantIbLb1EESX_EEDaSS_ST_EUlSS_E0_NS1_11comp_targetILNS1_3genE3ELNS1_11target_archE908ELNS1_3gpuE7ELNS1_3repE0EEENS1_30default_config_static_selectorELNS0_4arch9wavefront6targetE1EEEvT1_,"axG",@progbits,_ZN7rocprim17ROCPRIM_400000_NS6detail17trampoline_kernelINS0_14default_configENS1_20scan_config_selectorIxEEZZNS1_9scan_implILNS1_25lookback_scan_determinismE0ELb0ELb0ES3_N6thrust23THRUST_200600_302600_NS6detail15normal_iteratorINS9_10device_ptrIxEEEENS9_16discard_iteratorINS9_11use_defaultEEEx11max_functorIxExEEDaPvRmT3_T4_T5_mT6_P12ihipStream_tbENKUlT_T0_E_clISt17integral_constantIbLb1EESX_EEDaSS_ST_EUlSS_E0_NS1_11comp_targetILNS1_3genE3ELNS1_11target_archE908ELNS1_3gpuE7ELNS1_3repE0EEENS1_30default_config_static_selectorELNS0_4arch9wavefront6targetE1EEEvT1_,comdat
	.protected	_ZN7rocprim17ROCPRIM_400000_NS6detail17trampoline_kernelINS0_14default_configENS1_20scan_config_selectorIxEEZZNS1_9scan_implILNS1_25lookback_scan_determinismE0ELb0ELb0ES3_N6thrust23THRUST_200600_302600_NS6detail15normal_iteratorINS9_10device_ptrIxEEEENS9_16discard_iteratorINS9_11use_defaultEEEx11max_functorIxExEEDaPvRmT3_T4_T5_mT6_P12ihipStream_tbENKUlT_T0_E_clISt17integral_constantIbLb1EESX_EEDaSS_ST_EUlSS_E0_NS1_11comp_targetILNS1_3genE3ELNS1_11target_archE908ELNS1_3gpuE7ELNS1_3repE0EEENS1_30default_config_static_selectorELNS0_4arch9wavefront6targetE1EEEvT1_ ; -- Begin function _ZN7rocprim17ROCPRIM_400000_NS6detail17trampoline_kernelINS0_14default_configENS1_20scan_config_selectorIxEEZZNS1_9scan_implILNS1_25lookback_scan_determinismE0ELb0ELb0ES3_N6thrust23THRUST_200600_302600_NS6detail15normal_iteratorINS9_10device_ptrIxEEEENS9_16discard_iteratorINS9_11use_defaultEEEx11max_functorIxExEEDaPvRmT3_T4_T5_mT6_P12ihipStream_tbENKUlT_T0_E_clISt17integral_constantIbLb1EESX_EEDaSS_ST_EUlSS_E0_NS1_11comp_targetILNS1_3genE3ELNS1_11target_archE908ELNS1_3gpuE7ELNS1_3repE0EEENS1_30default_config_static_selectorELNS0_4arch9wavefront6targetE1EEEvT1_
	.globl	_ZN7rocprim17ROCPRIM_400000_NS6detail17trampoline_kernelINS0_14default_configENS1_20scan_config_selectorIxEEZZNS1_9scan_implILNS1_25lookback_scan_determinismE0ELb0ELb0ES3_N6thrust23THRUST_200600_302600_NS6detail15normal_iteratorINS9_10device_ptrIxEEEENS9_16discard_iteratorINS9_11use_defaultEEEx11max_functorIxExEEDaPvRmT3_T4_T5_mT6_P12ihipStream_tbENKUlT_T0_E_clISt17integral_constantIbLb1EESX_EEDaSS_ST_EUlSS_E0_NS1_11comp_targetILNS1_3genE3ELNS1_11target_archE908ELNS1_3gpuE7ELNS1_3repE0EEENS1_30default_config_static_selectorELNS0_4arch9wavefront6targetE1EEEvT1_
	.p2align	8
	.type	_ZN7rocprim17ROCPRIM_400000_NS6detail17trampoline_kernelINS0_14default_configENS1_20scan_config_selectorIxEEZZNS1_9scan_implILNS1_25lookback_scan_determinismE0ELb0ELb0ES3_N6thrust23THRUST_200600_302600_NS6detail15normal_iteratorINS9_10device_ptrIxEEEENS9_16discard_iteratorINS9_11use_defaultEEEx11max_functorIxExEEDaPvRmT3_T4_T5_mT6_P12ihipStream_tbENKUlT_T0_E_clISt17integral_constantIbLb1EESX_EEDaSS_ST_EUlSS_E0_NS1_11comp_targetILNS1_3genE3ELNS1_11target_archE908ELNS1_3gpuE7ELNS1_3repE0EEENS1_30default_config_static_selectorELNS0_4arch9wavefront6targetE1EEEvT1_,@function
_ZN7rocprim17ROCPRIM_400000_NS6detail17trampoline_kernelINS0_14default_configENS1_20scan_config_selectorIxEEZZNS1_9scan_implILNS1_25lookback_scan_determinismE0ELb0ELb0ES3_N6thrust23THRUST_200600_302600_NS6detail15normal_iteratorINS9_10device_ptrIxEEEENS9_16discard_iteratorINS9_11use_defaultEEEx11max_functorIxExEEDaPvRmT3_T4_T5_mT6_P12ihipStream_tbENKUlT_T0_E_clISt17integral_constantIbLb1EESX_EEDaSS_ST_EUlSS_E0_NS1_11comp_targetILNS1_3genE3ELNS1_11target_archE908ELNS1_3gpuE7ELNS1_3repE0EEENS1_30default_config_static_selectorELNS0_4arch9wavefront6targetE1EEEvT1_: ; @_ZN7rocprim17ROCPRIM_400000_NS6detail17trampoline_kernelINS0_14default_configENS1_20scan_config_selectorIxEEZZNS1_9scan_implILNS1_25lookback_scan_determinismE0ELb0ELb0ES3_N6thrust23THRUST_200600_302600_NS6detail15normal_iteratorINS9_10device_ptrIxEEEENS9_16discard_iteratorINS9_11use_defaultEEEx11max_functorIxExEEDaPvRmT3_T4_T5_mT6_P12ihipStream_tbENKUlT_T0_E_clISt17integral_constantIbLb1EESX_EEDaSS_ST_EUlSS_E0_NS1_11comp_targetILNS1_3genE3ELNS1_11target_archE908ELNS1_3gpuE7ELNS1_3repE0EEENS1_30default_config_static_selectorELNS0_4arch9wavefront6targetE1EEEvT1_
; %bb.0:
	.section	.rodata,"a",@progbits
	.p2align	6, 0x0
	.amdhsa_kernel _ZN7rocprim17ROCPRIM_400000_NS6detail17trampoline_kernelINS0_14default_configENS1_20scan_config_selectorIxEEZZNS1_9scan_implILNS1_25lookback_scan_determinismE0ELb0ELb0ES3_N6thrust23THRUST_200600_302600_NS6detail15normal_iteratorINS9_10device_ptrIxEEEENS9_16discard_iteratorINS9_11use_defaultEEEx11max_functorIxExEEDaPvRmT3_T4_T5_mT6_P12ihipStream_tbENKUlT_T0_E_clISt17integral_constantIbLb1EESX_EEDaSS_ST_EUlSS_E0_NS1_11comp_targetILNS1_3genE3ELNS1_11target_archE908ELNS1_3gpuE7ELNS1_3repE0EEENS1_30default_config_static_selectorELNS0_4arch9wavefront6targetE1EEEvT1_
		.amdhsa_group_segment_fixed_size 0
		.amdhsa_private_segment_fixed_size 0
		.amdhsa_kernarg_size 48
		.amdhsa_user_sgpr_count 6
		.amdhsa_user_sgpr_private_segment_buffer 1
		.amdhsa_user_sgpr_dispatch_ptr 0
		.amdhsa_user_sgpr_queue_ptr 0
		.amdhsa_user_sgpr_kernarg_segment_ptr 1
		.amdhsa_user_sgpr_dispatch_id 0
		.amdhsa_user_sgpr_flat_scratch_init 0
		.amdhsa_user_sgpr_kernarg_preload_length 0
		.amdhsa_user_sgpr_kernarg_preload_offset 0
		.amdhsa_user_sgpr_private_segment_size 0
		.amdhsa_uses_dynamic_stack 0
		.amdhsa_system_sgpr_private_segment_wavefront_offset 0
		.amdhsa_system_sgpr_workgroup_id_x 1
		.amdhsa_system_sgpr_workgroup_id_y 0
		.amdhsa_system_sgpr_workgroup_id_z 0
		.amdhsa_system_sgpr_workgroup_info 0
		.amdhsa_system_vgpr_workitem_id 0
		.amdhsa_next_free_vgpr 1
		.amdhsa_next_free_sgpr 0
		.amdhsa_accum_offset 4
		.amdhsa_reserve_vcc 0
		.amdhsa_reserve_flat_scratch 0
		.amdhsa_float_round_mode_32 0
		.amdhsa_float_round_mode_16_64 0
		.amdhsa_float_denorm_mode_32 3
		.amdhsa_float_denorm_mode_16_64 3
		.amdhsa_dx10_clamp 1
		.amdhsa_ieee_mode 1
		.amdhsa_fp16_overflow 0
		.amdhsa_tg_split 0
		.amdhsa_exception_fp_ieee_invalid_op 0
		.amdhsa_exception_fp_denorm_src 0
		.amdhsa_exception_fp_ieee_div_zero 0
		.amdhsa_exception_fp_ieee_overflow 0
		.amdhsa_exception_fp_ieee_underflow 0
		.amdhsa_exception_fp_ieee_inexact 0
		.amdhsa_exception_int_div_zero 0
	.end_amdhsa_kernel
	.section	.text._ZN7rocprim17ROCPRIM_400000_NS6detail17trampoline_kernelINS0_14default_configENS1_20scan_config_selectorIxEEZZNS1_9scan_implILNS1_25lookback_scan_determinismE0ELb0ELb0ES3_N6thrust23THRUST_200600_302600_NS6detail15normal_iteratorINS9_10device_ptrIxEEEENS9_16discard_iteratorINS9_11use_defaultEEEx11max_functorIxExEEDaPvRmT3_T4_T5_mT6_P12ihipStream_tbENKUlT_T0_E_clISt17integral_constantIbLb1EESX_EEDaSS_ST_EUlSS_E0_NS1_11comp_targetILNS1_3genE3ELNS1_11target_archE908ELNS1_3gpuE7ELNS1_3repE0EEENS1_30default_config_static_selectorELNS0_4arch9wavefront6targetE1EEEvT1_,"axG",@progbits,_ZN7rocprim17ROCPRIM_400000_NS6detail17trampoline_kernelINS0_14default_configENS1_20scan_config_selectorIxEEZZNS1_9scan_implILNS1_25lookback_scan_determinismE0ELb0ELb0ES3_N6thrust23THRUST_200600_302600_NS6detail15normal_iteratorINS9_10device_ptrIxEEEENS9_16discard_iteratorINS9_11use_defaultEEEx11max_functorIxExEEDaPvRmT3_T4_T5_mT6_P12ihipStream_tbENKUlT_T0_E_clISt17integral_constantIbLb1EESX_EEDaSS_ST_EUlSS_E0_NS1_11comp_targetILNS1_3genE3ELNS1_11target_archE908ELNS1_3gpuE7ELNS1_3repE0EEENS1_30default_config_static_selectorELNS0_4arch9wavefront6targetE1EEEvT1_,comdat
.Lfunc_end3740:
	.size	_ZN7rocprim17ROCPRIM_400000_NS6detail17trampoline_kernelINS0_14default_configENS1_20scan_config_selectorIxEEZZNS1_9scan_implILNS1_25lookback_scan_determinismE0ELb0ELb0ES3_N6thrust23THRUST_200600_302600_NS6detail15normal_iteratorINS9_10device_ptrIxEEEENS9_16discard_iteratorINS9_11use_defaultEEEx11max_functorIxExEEDaPvRmT3_T4_T5_mT6_P12ihipStream_tbENKUlT_T0_E_clISt17integral_constantIbLb1EESX_EEDaSS_ST_EUlSS_E0_NS1_11comp_targetILNS1_3genE3ELNS1_11target_archE908ELNS1_3gpuE7ELNS1_3repE0EEENS1_30default_config_static_selectorELNS0_4arch9wavefront6targetE1EEEvT1_, .Lfunc_end3740-_ZN7rocprim17ROCPRIM_400000_NS6detail17trampoline_kernelINS0_14default_configENS1_20scan_config_selectorIxEEZZNS1_9scan_implILNS1_25lookback_scan_determinismE0ELb0ELb0ES3_N6thrust23THRUST_200600_302600_NS6detail15normal_iteratorINS9_10device_ptrIxEEEENS9_16discard_iteratorINS9_11use_defaultEEEx11max_functorIxExEEDaPvRmT3_T4_T5_mT6_P12ihipStream_tbENKUlT_T0_E_clISt17integral_constantIbLb1EESX_EEDaSS_ST_EUlSS_E0_NS1_11comp_targetILNS1_3genE3ELNS1_11target_archE908ELNS1_3gpuE7ELNS1_3repE0EEENS1_30default_config_static_selectorELNS0_4arch9wavefront6targetE1EEEvT1_
                                        ; -- End function
	.section	.AMDGPU.csdata,"",@progbits
; Kernel info:
; codeLenInByte = 0
; NumSgprs: 4
; NumVgprs: 0
; NumAgprs: 0
; TotalNumVgprs: 0
; ScratchSize: 0
; MemoryBound: 0
; FloatMode: 240
; IeeeMode: 1
; LDSByteSize: 0 bytes/workgroup (compile time only)
; SGPRBlocks: 0
; VGPRBlocks: 0
; NumSGPRsForWavesPerEU: 4
; NumVGPRsForWavesPerEU: 1
; AccumOffset: 4
; Occupancy: 8
; WaveLimiterHint : 0
; COMPUTE_PGM_RSRC2:SCRATCH_EN: 0
; COMPUTE_PGM_RSRC2:USER_SGPR: 6
; COMPUTE_PGM_RSRC2:TRAP_HANDLER: 0
; COMPUTE_PGM_RSRC2:TGID_X_EN: 1
; COMPUTE_PGM_RSRC2:TGID_Y_EN: 0
; COMPUTE_PGM_RSRC2:TGID_Z_EN: 0
; COMPUTE_PGM_RSRC2:TIDIG_COMP_CNT: 0
; COMPUTE_PGM_RSRC3_GFX90A:ACCUM_OFFSET: 0
; COMPUTE_PGM_RSRC3_GFX90A:TG_SPLIT: 0
	.section	.text._ZN7rocprim17ROCPRIM_400000_NS6detail17trampoline_kernelINS0_14default_configENS1_20scan_config_selectorIxEEZZNS1_9scan_implILNS1_25lookback_scan_determinismE0ELb0ELb0ES3_N6thrust23THRUST_200600_302600_NS6detail15normal_iteratorINS9_10device_ptrIxEEEENS9_16discard_iteratorINS9_11use_defaultEEEx11max_functorIxExEEDaPvRmT3_T4_T5_mT6_P12ihipStream_tbENKUlT_T0_E_clISt17integral_constantIbLb1EESX_EEDaSS_ST_EUlSS_E0_NS1_11comp_targetILNS1_3genE2ELNS1_11target_archE906ELNS1_3gpuE6ELNS1_3repE0EEENS1_30default_config_static_selectorELNS0_4arch9wavefront6targetE1EEEvT1_,"axG",@progbits,_ZN7rocprim17ROCPRIM_400000_NS6detail17trampoline_kernelINS0_14default_configENS1_20scan_config_selectorIxEEZZNS1_9scan_implILNS1_25lookback_scan_determinismE0ELb0ELb0ES3_N6thrust23THRUST_200600_302600_NS6detail15normal_iteratorINS9_10device_ptrIxEEEENS9_16discard_iteratorINS9_11use_defaultEEEx11max_functorIxExEEDaPvRmT3_T4_T5_mT6_P12ihipStream_tbENKUlT_T0_E_clISt17integral_constantIbLb1EESX_EEDaSS_ST_EUlSS_E0_NS1_11comp_targetILNS1_3genE2ELNS1_11target_archE906ELNS1_3gpuE6ELNS1_3repE0EEENS1_30default_config_static_selectorELNS0_4arch9wavefront6targetE1EEEvT1_,comdat
	.protected	_ZN7rocprim17ROCPRIM_400000_NS6detail17trampoline_kernelINS0_14default_configENS1_20scan_config_selectorIxEEZZNS1_9scan_implILNS1_25lookback_scan_determinismE0ELb0ELb0ES3_N6thrust23THRUST_200600_302600_NS6detail15normal_iteratorINS9_10device_ptrIxEEEENS9_16discard_iteratorINS9_11use_defaultEEEx11max_functorIxExEEDaPvRmT3_T4_T5_mT6_P12ihipStream_tbENKUlT_T0_E_clISt17integral_constantIbLb1EESX_EEDaSS_ST_EUlSS_E0_NS1_11comp_targetILNS1_3genE2ELNS1_11target_archE906ELNS1_3gpuE6ELNS1_3repE0EEENS1_30default_config_static_selectorELNS0_4arch9wavefront6targetE1EEEvT1_ ; -- Begin function _ZN7rocprim17ROCPRIM_400000_NS6detail17trampoline_kernelINS0_14default_configENS1_20scan_config_selectorIxEEZZNS1_9scan_implILNS1_25lookback_scan_determinismE0ELb0ELb0ES3_N6thrust23THRUST_200600_302600_NS6detail15normal_iteratorINS9_10device_ptrIxEEEENS9_16discard_iteratorINS9_11use_defaultEEEx11max_functorIxExEEDaPvRmT3_T4_T5_mT6_P12ihipStream_tbENKUlT_T0_E_clISt17integral_constantIbLb1EESX_EEDaSS_ST_EUlSS_E0_NS1_11comp_targetILNS1_3genE2ELNS1_11target_archE906ELNS1_3gpuE6ELNS1_3repE0EEENS1_30default_config_static_selectorELNS0_4arch9wavefront6targetE1EEEvT1_
	.globl	_ZN7rocprim17ROCPRIM_400000_NS6detail17trampoline_kernelINS0_14default_configENS1_20scan_config_selectorIxEEZZNS1_9scan_implILNS1_25lookback_scan_determinismE0ELb0ELb0ES3_N6thrust23THRUST_200600_302600_NS6detail15normal_iteratorINS9_10device_ptrIxEEEENS9_16discard_iteratorINS9_11use_defaultEEEx11max_functorIxExEEDaPvRmT3_T4_T5_mT6_P12ihipStream_tbENKUlT_T0_E_clISt17integral_constantIbLb1EESX_EEDaSS_ST_EUlSS_E0_NS1_11comp_targetILNS1_3genE2ELNS1_11target_archE906ELNS1_3gpuE6ELNS1_3repE0EEENS1_30default_config_static_selectorELNS0_4arch9wavefront6targetE1EEEvT1_
	.p2align	8
	.type	_ZN7rocprim17ROCPRIM_400000_NS6detail17trampoline_kernelINS0_14default_configENS1_20scan_config_selectorIxEEZZNS1_9scan_implILNS1_25lookback_scan_determinismE0ELb0ELb0ES3_N6thrust23THRUST_200600_302600_NS6detail15normal_iteratorINS9_10device_ptrIxEEEENS9_16discard_iteratorINS9_11use_defaultEEEx11max_functorIxExEEDaPvRmT3_T4_T5_mT6_P12ihipStream_tbENKUlT_T0_E_clISt17integral_constantIbLb1EESX_EEDaSS_ST_EUlSS_E0_NS1_11comp_targetILNS1_3genE2ELNS1_11target_archE906ELNS1_3gpuE6ELNS1_3repE0EEENS1_30default_config_static_selectorELNS0_4arch9wavefront6targetE1EEEvT1_,@function
_ZN7rocprim17ROCPRIM_400000_NS6detail17trampoline_kernelINS0_14default_configENS1_20scan_config_selectorIxEEZZNS1_9scan_implILNS1_25lookback_scan_determinismE0ELb0ELb0ES3_N6thrust23THRUST_200600_302600_NS6detail15normal_iteratorINS9_10device_ptrIxEEEENS9_16discard_iteratorINS9_11use_defaultEEEx11max_functorIxExEEDaPvRmT3_T4_T5_mT6_P12ihipStream_tbENKUlT_T0_E_clISt17integral_constantIbLb1EESX_EEDaSS_ST_EUlSS_E0_NS1_11comp_targetILNS1_3genE2ELNS1_11target_archE906ELNS1_3gpuE6ELNS1_3repE0EEENS1_30default_config_static_selectorELNS0_4arch9wavefront6targetE1EEEvT1_: ; @_ZN7rocprim17ROCPRIM_400000_NS6detail17trampoline_kernelINS0_14default_configENS1_20scan_config_selectorIxEEZZNS1_9scan_implILNS1_25lookback_scan_determinismE0ELb0ELb0ES3_N6thrust23THRUST_200600_302600_NS6detail15normal_iteratorINS9_10device_ptrIxEEEENS9_16discard_iteratorINS9_11use_defaultEEEx11max_functorIxExEEDaPvRmT3_T4_T5_mT6_P12ihipStream_tbENKUlT_T0_E_clISt17integral_constantIbLb1EESX_EEDaSS_ST_EUlSS_E0_NS1_11comp_targetILNS1_3genE2ELNS1_11target_archE906ELNS1_3gpuE6ELNS1_3repE0EEENS1_30default_config_static_selectorELNS0_4arch9wavefront6targetE1EEEvT1_
; %bb.0:
	.section	.rodata,"a",@progbits
	.p2align	6, 0x0
	.amdhsa_kernel _ZN7rocprim17ROCPRIM_400000_NS6detail17trampoline_kernelINS0_14default_configENS1_20scan_config_selectorIxEEZZNS1_9scan_implILNS1_25lookback_scan_determinismE0ELb0ELb0ES3_N6thrust23THRUST_200600_302600_NS6detail15normal_iteratorINS9_10device_ptrIxEEEENS9_16discard_iteratorINS9_11use_defaultEEEx11max_functorIxExEEDaPvRmT3_T4_T5_mT6_P12ihipStream_tbENKUlT_T0_E_clISt17integral_constantIbLb1EESX_EEDaSS_ST_EUlSS_E0_NS1_11comp_targetILNS1_3genE2ELNS1_11target_archE906ELNS1_3gpuE6ELNS1_3repE0EEENS1_30default_config_static_selectorELNS0_4arch9wavefront6targetE1EEEvT1_
		.amdhsa_group_segment_fixed_size 0
		.amdhsa_private_segment_fixed_size 0
		.amdhsa_kernarg_size 48
		.amdhsa_user_sgpr_count 6
		.amdhsa_user_sgpr_private_segment_buffer 1
		.amdhsa_user_sgpr_dispatch_ptr 0
		.amdhsa_user_sgpr_queue_ptr 0
		.amdhsa_user_sgpr_kernarg_segment_ptr 1
		.amdhsa_user_sgpr_dispatch_id 0
		.amdhsa_user_sgpr_flat_scratch_init 0
		.amdhsa_user_sgpr_kernarg_preload_length 0
		.amdhsa_user_sgpr_kernarg_preload_offset 0
		.amdhsa_user_sgpr_private_segment_size 0
		.amdhsa_uses_dynamic_stack 0
		.amdhsa_system_sgpr_private_segment_wavefront_offset 0
		.amdhsa_system_sgpr_workgroup_id_x 1
		.amdhsa_system_sgpr_workgroup_id_y 0
		.amdhsa_system_sgpr_workgroup_id_z 0
		.amdhsa_system_sgpr_workgroup_info 0
		.amdhsa_system_vgpr_workitem_id 0
		.amdhsa_next_free_vgpr 1
		.amdhsa_next_free_sgpr 0
		.amdhsa_accum_offset 4
		.amdhsa_reserve_vcc 0
		.amdhsa_reserve_flat_scratch 0
		.amdhsa_float_round_mode_32 0
		.amdhsa_float_round_mode_16_64 0
		.amdhsa_float_denorm_mode_32 3
		.amdhsa_float_denorm_mode_16_64 3
		.amdhsa_dx10_clamp 1
		.amdhsa_ieee_mode 1
		.amdhsa_fp16_overflow 0
		.amdhsa_tg_split 0
		.amdhsa_exception_fp_ieee_invalid_op 0
		.amdhsa_exception_fp_denorm_src 0
		.amdhsa_exception_fp_ieee_div_zero 0
		.amdhsa_exception_fp_ieee_overflow 0
		.amdhsa_exception_fp_ieee_underflow 0
		.amdhsa_exception_fp_ieee_inexact 0
		.amdhsa_exception_int_div_zero 0
	.end_amdhsa_kernel
	.section	.text._ZN7rocprim17ROCPRIM_400000_NS6detail17trampoline_kernelINS0_14default_configENS1_20scan_config_selectorIxEEZZNS1_9scan_implILNS1_25lookback_scan_determinismE0ELb0ELb0ES3_N6thrust23THRUST_200600_302600_NS6detail15normal_iteratorINS9_10device_ptrIxEEEENS9_16discard_iteratorINS9_11use_defaultEEEx11max_functorIxExEEDaPvRmT3_T4_T5_mT6_P12ihipStream_tbENKUlT_T0_E_clISt17integral_constantIbLb1EESX_EEDaSS_ST_EUlSS_E0_NS1_11comp_targetILNS1_3genE2ELNS1_11target_archE906ELNS1_3gpuE6ELNS1_3repE0EEENS1_30default_config_static_selectorELNS0_4arch9wavefront6targetE1EEEvT1_,"axG",@progbits,_ZN7rocprim17ROCPRIM_400000_NS6detail17trampoline_kernelINS0_14default_configENS1_20scan_config_selectorIxEEZZNS1_9scan_implILNS1_25lookback_scan_determinismE0ELb0ELb0ES3_N6thrust23THRUST_200600_302600_NS6detail15normal_iteratorINS9_10device_ptrIxEEEENS9_16discard_iteratorINS9_11use_defaultEEEx11max_functorIxExEEDaPvRmT3_T4_T5_mT6_P12ihipStream_tbENKUlT_T0_E_clISt17integral_constantIbLb1EESX_EEDaSS_ST_EUlSS_E0_NS1_11comp_targetILNS1_3genE2ELNS1_11target_archE906ELNS1_3gpuE6ELNS1_3repE0EEENS1_30default_config_static_selectorELNS0_4arch9wavefront6targetE1EEEvT1_,comdat
.Lfunc_end3741:
	.size	_ZN7rocprim17ROCPRIM_400000_NS6detail17trampoline_kernelINS0_14default_configENS1_20scan_config_selectorIxEEZZNS1_9scan_implILNS1_25lookback_scan_determinismE0ELb0ELb0ES3_N6thrust23THRUST_200600_302600_NS6detail15normal_iteratorINS9_10device_ptrIxEEEENS9_16discard_iteratorINS9_11use_defaultEEEx11max_functorIxExEEDaPvRmT3_T4_T5_mT6_P12ihipStream_tbENKUlT_T0_E_clISt17integral_constantIbLb1EESX_EEDaSS_ST_EUlSS_E0_NS1_11comp_targetILNS1_3genE2ELNS1_11target_archE906ELNS1_3gpuE6ELNS1_3repE0EEENS1_30default_config_static_selectorELNS0_4arch9wavefront6targetE1EEEvT1_, .Lfunc_end3741-_ZN7rocprim17ROCPRIM_400000_NS6detail17trampoline_kernelINS0_14default_configENS1_20scan_config_selectorIxEEZZNS1_9scan_implILNS1_25lookback_scan_determinismE0ELb0ELb0ES3_N6thrust23THRUST_200600_302600_NS6detail15normal_iteratorINS9_10device_ptrIxEEEENS9_16discard_iteratorINS9_11use_defaultEEEx11max_functorIxExEEDaPvRmT3_T4_T5_mT6_P12ihipStream_tbENKUlT_T0_E_clISt17integral_constantIbLb1EESX_EEDaSS_ST_EUlSS_E0_NS1_11comp_targetILNS1_3genE2ELNS1_11target_archE906ELNS1_3gpuE6ELNS1_3repE0EEENS1_30default_config_static_selectorELNS0_4arch9wavefront6targetE1EEEvT1_
                                        ; -- End function
	.section	.AMDGPU.csdata,"",@progbits
; Kernel info:
; codeLenInByte = 0
; NumSgprs: 4
; NumVgprs: 0
; NumAgprs: 0
; TotalNumVgprs: 0
; ScratchSize: 0
; MemoryBound: 0
; FloatMode: 240
; IeeeMode: 1
; LDSByteSize: 0 bytes/workgroup (compile time only)
; SGPRBlocks: 0
; VGPRBlocks: 0
; NumSGPRsForWavesPerEU: 4
; NumVGPRsForWavesPerEU: 1
; AccumOffset: 4
; Occupancy: 8
; WaveLimiterHint : 0
; COMPUTE_PGM_RSRC2:SCRATCH_EN: 0
; COMPUTE_PGM_RSRC2:USER_SGPR: 6
; COMPUTE_PGM_RSRC2:TRAP_HANDLER: 0
; COMPUTE_PGM_RSRC2:TGID_X_EN: 1
; COMPUTE_PGM_RSRC2:TGID_Y_EN: 0
; COMPUTE_PGM_RSRC2:TGID_Z_EN: 0
; COMPUTE_PGM_RSRC2:TIDIG_COMP_CNT: 0
; COMPUTE_PGM_RSRC3_GFX90A:ACCUM_OFFSET: 0
; COMPUTE_PGM_RSRC3_GFX90A:TG_SPLIT: 0
	.section	.text._ZN7rocprim17ROCPRIM_400000_NS6detail17trampoline_kernelINS0_14default_configENS1_20scan_config_selectorIxEEZZNS1_9scan_implILNS1_25lookback_scan_determinismE0ELb0ELb0ES3_N6thrust23THRUST_200600_302600_NS6detail15normal_iteratorINS9_10device_ptrIxEEEENS9_16discard_iteratorINS9_11use_defaultEEEx11max_functorIxExEEDaPvRmT3_T4_T5_mT6_P12ihipStream_tbENKUlT_T0_E_clISt17integral_constantIbLb1EESX_EEDaSS_ST_EUlSS_E0_NS1_11comp_targetILNS1_3genE10ELNS1_11target_archE1201ELNS1_3gpuE5ELNS1_3repE0EEENS1_30default_config_static_selectorELNS0_4arch9wavefront6targetE1EEEvT1_,"axG",@progbits,_ZN7rocprim17ROCPRIM_400000_NS6detail17trampoline_kernelINS0_14default_configENS1_20scan_config_selectorIxEEZZNS1_9scan_implILNS1_25lookback_scan_determinismE0ELb0ELb0ES3_N6thrust23THRUST_200600_302600_NS6detail15normal_iteratorINS9_10device_ptrIxEEEENS9_16discard_iteratorINS9_11use_defaultEEEx11max_functorIxExEEDaPvRmT3_T4_T5_mT6_P12ihipStream_tbENKUlT_T0_E_clISt17integral_constantIbLb1EESX_EEDaSS_ST_EUlSS_E0_NS1_11comp_targetILNS1_3genE10ELNS1_11target_archE1201ELNS1_3gpuE5ELNS1_3repE0EEENS1_30default_config_static_selectorELNS0_4arch9wavefront6targetE1EEEvT1_,comdat
	.protected	_ZN7rocprim17ROCPRIM_400000_NS6detail17trampoline_kernelINS0_14default_configENS1_20scan_config_selectorIxEEZZNS1_9scan_implILNS1_25lookback_scan_determinismE0ELb0ELb0ES3_N6thrust23THRUST_200600_302600_NS6detail15normal_iteratorINS9_10device_ptrIxEEEENS9_16discard_iteratorINS9_11use_defaultEEEx11max_functorIxExEEDaPvRmT3_T4_T5_mT6_P12ihipStream_tbENKUlT_T0_E_clISt17integral_constantIbLb1EESX_EEDaSS_ST_EUlSS_E0_NS1_11comp_targetILNS1_3genE10ELNS1_11target_archE1201ELNS1_3gpuE5ELNS1_3repE0EEENS1_30default_config_static_selectorELNS0_4arch9wavefront6targetE1EEEvT1_ ; -- Begin function _ZN7rocprim17ROCPRIM_400000_NS6detail17trampoline_kernelINS0_14default_configENS1_20scan_config_selectorIxEEZZNS1_9scan_implILNS1_25lookback_scan_determinismE0ELb0ELb0ES3_N6thrust23THRUST_200600_302600_NS6detail15normal_iteratorINS9_10device_ptrIxEEEENS9_16discard_iteratorINS9_11use_defaultEEEx11max_functorIxExEEDaPvRmT3_T4_T5_mT6_P12ihipStream_tbENKUlT_T0_E_clISt17integral_constantIbLb1EESX_EEDaSS_ST_EUlSS_E0_NS1_11comp_targetILNS1_3genE10ELNS1_11target_archE1201ELNS1_3gpuE5ELNS1_3repE0EEENS1_30default_config_static_selectorELNS0_4arch9wavefront6targetE1EEEvT1_
	.globl	_ZN7rocprim17ROCPRIM_400000_NS6detail17trampoline_kernelINS0_14default_configENS1_20scan_config_selectorIxEEZZNS1_9scan_implILNS1_25lookback_scan_determinismE0ELb0ELb0ES3_N6thrust23THRUST_200600_302600_NS6detail15normal_iteratorINS9_10device_ptrIxEEEENS9_16discard_iteratorINS9_11use_defaultEEEx11max_functorIxExEEDaPvRmT3_T4_T5_mT6_P12ihipStream_tbENKUlT_T0_E_clISt17integral_constantIbLb1EESX_EEDaSS_ST_EUlSS_E0_NS1_11comp_targetILNS1_3genE10ELNS1_11target_archE1201ELNS1_3gpuE5ELNS1_3repE0EEENS1_30default_config_static_selectorELNS0_4arch9wavefront6targetE1EEEvT1_
	.p2align	8
	.type	_ZN7rocprim17ROCPRIM_400000_NS6detail17trampoline_kernelINS0_14default_configENS1_20scan_config_selectorIxEEZZNS1_9scan_implILNS1_25lookback_scan_determinismE0ELb0ELb0ES3_N6thrust23THRUST_200600_302600_NS6detail15normal_iteratorINS9_10device_ptrIxEEEENS9_16discard_iteratorINS9_11use_defaultEEEx11max_functorIxExEEDaPvRmT3_T4_T5_mT6_P12ihipStream_tbENKUlT_T0_E_clISt17integral_constantIbLb1EESX_EEDaSS_ST_EUlSS_E0_NS1_11comp_targetILNS1_3genE10ELNS1_11target_archE1201ELNS1_3gpuE5ELNS1_3repE0EEENS1_30default_config_static_selectorELNS0_4arch9wavefront6targetE1EEEvT1_,@function
_ZN7rocprim17ROCPRIM_400000_NS6detail17trampoline_kernelINS0_14default_configENS1_20scan_config_selectorIxEEZZNS1_9scan_implILNS1_25lookback_scan_determinismE0ELb0ELb0ES3_N6thrust23THRUST_200600_302600_NS6detail15normal_iteratorINS9_10device_ptrIxEEEENS9_16discard_iteratorINS9_11use_defaultEEEx11max_functorIxExEEDaPvRmT3_T4_T5_mT6_P12ihipStream_tbENKUlT_T0_E_clISt17integral_constantIbLb1EESX_EEDaSS_ST_EUlSS_E0_NS1_11comp_targetILNS1_3genE10ELNS1_11target_archE1201ELNS1_3gpuE5ELNS1_3repE0EEENS1_30default_config_static_selectorELNS0_4arch9wavefront6targetE1EEEvT1_: ; @_ZN7rocprim17ROCPRIM_400000_NS6detail17trampoline_kernelINS0_14default_configENS1_20scan_config_selectorIxEEZZNS1_9scan_implILNS1_25lookback_scan_determinismE0ELb0ELb0ES3_N6thrust23THRUST_200600_302600_NS6detail15normal_iteratorINS9_10device_ptrIxEEEENS9_16discard_iteratorINS9_11use_defaultEEEx11max_functorIxExEEDaPvRmT3_T4_T5_mT6_P12ihipStream_tbENKUlT_T0_E_clISt17integral_constantIbLb1EESX_EEDaSS_ST_EUlSS_E0_NS1_11comp_targetILNS1_3genE10ELNS1_11target_archE1201ELNS1_3gpuE5ELNS1_3repE0EEENS1_30default_config_static_selectorELNS0_4arch9wavefront6targetE1EEEvT1_
; %bb.0:
	.section	.rodata,"a",@progbits
	.p2align	6, 0x0
	.amdhsa_kernel _ZN7rocprim17ROCPRIM_400000_NS6detail17trampoline_kernelINS0_14default_configENS1_20scan_config_selectorIxEEZZNS1_9scan_implILNS1_25lookback_scan_determinismE0ELb0ELb0ES3_N6thrust23THRUST_200600_302600_NS6detail15normal_iteratorINS9_10device_ptrIxEEEENS9_16discard_iteratorINS9_11use_defaultEEEx11max_functorIxExEEDaPvRmT3_T4_T5_mT6_P12ihipStream_tbENKUlT_T0_E_clISt17integral_constantIbLb1EESX_EEDaSS_ST_EUlSS_E0_NS1_11comp_targetILNS1_3genE10ELNS1_11target_archE1201ELNS1_3gpuE5ELNS1_3repE0EEENS1_30default_config_static_selectorELNS0_4arch9wavefront6targetE1EEEvT1_
		.amdhsa_group_segment_fixed_size 0
		.amdhsa_private_segment_fixed_size 0
		.amdhsa_kernarg_size 48
		.amdhsa_user_sgpr_count 6
		.amdhsa_user_sgpr_private_segment_buffer 1
		.amdhsa_user_sgpr_dispatch_ptr 0
		.amdhsa_user_sgpr_queue_ptr 0
		.amdhsa_user_sgpr_kernarg_segment_ptr 1
		.amdhsa_user_sgpr_dispatch_id 0
		.amdhsa_user_sgpr_flat_scratch_init 0
		.amdhsa_user_sgpr_kernarg_preload_length 0
		.amdhsa_user_sgpr_kernarg_preload_offset 0
		.amdhsa_user_sgpr_private_segment_size 0
		.amdhsa_uses_dynamic_stack 0
		.amdhsa_system_sgpr_private_segment_wavefront_offset 0
		.amdhsa_system_sgpr_workgroup_id_x 1
		.amdhsa_system_sgpr_workgroup_id_y 0
		.amdhsa_system_sgpr_workgroup_id_z 0
		.amdhsa_system_sgpr_workgroup_info 0
		.amdhsa_system_vgpr_workitem_id 0
		.amdhsa_next_free_vgpr 1
		.amdhsa_next_free_sgpr 0
		.amdhsa_accum_offset 4
		.amdhsa_reserve_vcc 0
		.amdhsa_reserve_flat_scratch 0
		.amdhsa_float_round_mode_32 0
		.amdhsa_float_round_mode_16_64 0
		.amdhsa_float_denorm_mode_32 3
		.amdhsa_float_denorm_mode_16_64 3
		.amdhsa_dx10_clamp 1
		.amdhsa_ieee_mode 1
		.amdhsa_fp16_overflow 0
		.amdhsa_tg_split 0
		.amdhsa_exception_fp_ieee_invalid_op 0
		.amdhsa_exception_fp_denorm_src 0
		.amdhsa_exception_fp_ieee_div_zero 0
		.amdhsa_exception_fp_ieee_overflow 0
		.amdhsa_exception_fp_ieee_underflow 0
		.amdhsa_exception_fp_ieee_inexact 0
		.amdhsa_exception_int_div_zero 0
	.end_amdhsa_kernel
	.section	.text._ZN7rocprim17ROCPRIM_400000_NS6detail17trampoline_kernelINS0_14default_configENS1_20scan_config_selectorIxEEZZNS1_9scan_implILNS1_25lookback_scan_determinismE0ELb0ELb0ES3_N6thrust23THRUST_200600_302600_NS6detail15normal_iteratorINS9_10device_ptrIxEEEENS9_16discard_iteratorINS9_11use_defaultEEEx11max_functorIxExEEDaPvRmT3_T4_T5_mT6_P12ihipStream_tbENKUlT_T0_E_clISt17integral_constantIbLb1EESX_EEDaSS_ST_EUlSS_E0_NS1_11comp_targetILNS1_3genE10ELNS1_11target_archE1201ELNS1_3gpuE5ELNS1_3repE0EEENS1_30default_config_static_selectorELNS0_4arch9wavefront6targetE1EEEvT1_,"axG",@progbits,_ZN7rocprim17ROCPRIM_400000_NS6detail17trampoline_kernelINS0_14default_configENS1_20scan_config_selectorIxEEZZNS1_9scan_implILNS1_25lookback_scan_determinismE0ELb0ELb0ES3_N6thrust23THRUST_200600_302600_NS6detail15normal_iteratorINS9_10device_ptrIxEEEENS9_16discard_iteratorINS9_11use_defaultEEEx11max_functorIxExEEDaPvRmT3_T4_T5_mT6_P12ihipStream_tbENKUlT_T0_E_clISt17integral_constantIbLb1EESX_EEDaSS_ST_EUlSS_E0_NS1_11comp_targetILNS1_3genE10ELNS1_11target_archE1201ELNS1_3gpuE5ELNS1_3repE0EEENS1_30default_config_static_selectorELNS0_4arch9wavefront6targetE1EEEvT1_,comdat
.Lfunc_end3742:
	.size	_ZN7rocprim17ROCPRIM_400000_NS6detail17trampoline_kernelINS0_14default_configENS1_20scan_config_selectorIxEEZZNS1_9scan_implILNS1_25lookback_scan_determinismE0ELb0ELb0ES3_N6thrust23THRUST_200600_302600_NS6detail15normal_iteratorINS9_10device_ptrIxEEEENS9_16discard_iteratorINS9_11use_defaultEEEx11max_functorIxExEEDaPvRmT3_T4_T5_mT6_P12ihipStream_tbENKUlT_T0_E_clISt17integral_constantIbLb1EESX_EEDaSS_ST_EUlSS_E0_NS1_11comp_targetILNS1_3genE10ELNS1_11target_archE1201ELNS1_3gpuE5ELNS1_3repE0EEENS1_30default_config_static_selectorELNS0_4arch9wavefront6targetE1EEEvT1_, .Lfunc_end3742-_ZN7rocprim17ROCPRIM_400000_NS6detail17trampoline_kernelINS0_14default_configENS1_20scan_config_selectorIxEEZZNS1_9scan_implILNS1_25lookback_scan_determinismE0ELb0ELb0ES3_N6thrust23THRUST_200600_302600_NS6detail15normal_iteratorINS9_10device_ptrIxEEEENS9_16discard_iteratorINS9_11use_defaultEEEx11max_functorIxExEEDaPvRmT3_T4_T5_mT6_P12ihipStream_tbENKUlT_T0_E_clISt17integral_constantIbLb1EESX_EEDaSS_ST_EUlSS_E0_NS1_11comp_targetILNS1_3genE10ELNS1_11target_archE1201ELNS1_3gpuE5ELNS1_3repE0EEENS1_30default_config_static_selectorELNS0_4arch9wavefront6targetE1EEEvT1_
                                        ; -- End function
	.section	.AMDGPU.csdata,"",@progbits
; Kernel info:
; codeLenInByte = 0
; NumSgprs: 4
; NumVgprs: 0
; NumAgprs: 0
; TotalNumVgprs: 0
; ScratchSize: 0
; MemoryBound: 0
; FloatMode: 240
; IeeeMode: 1
; LDSByteSize: 0 bytes/workgroup (compile time only)
; SGPRBlocks: 0
; VGPRBlocks: 0
; NumSGPRsForWavesPerEU: 4
; NumVGPRsForWavesPerEU: 1
; AccumOffset: 4
; Occupancy: 8
; WaveLimiterHint : 0
; COMPUTE_PGM_RSRC2:SCRATCH_EN: 0
; COMPUTE_PGM_RSRC2:USER_SGPR: 6
; COMPUTE_PGM_RSRC2:TRAP_HANDLER: 0
; COMPUTE_PGM_RSRC2:TGID_X_EN: 1
; COMPUTE_PGM_RSRC2:TGID_Y_EN: 0
; COMPUTE_PGM_RSRC2:TGID_Z_EN: 0
; COMPUTE_PGM_RSRC2:TIDIG_COMP_CNT: 0
; COMPUTE_PGM_RSRC3_GFX90A:ACCUM_OFFSET: 0
; COMPUTE_PGM_RSRC3_GFX90A:TG_SPLIT: 0
	.section	.text._ZN7rocprim17ROCPRIM_400000_NS6detail17trampoline_kernelINS0_14default_configENS1_20scan_config_selectorIxEEZZNS1_9scan_implILNS1_25lookback_scan_determinismE0ELb0ELb0ES3_N6thrust23THRUST_200600_302600_NS6detail15normal_iteratorINS9_10device_ptrIxEEEENS9_16discard_iteratorINS9_11use_defaultEEEx11max_functorIxExEEDaPvRmT3_T4_T5_mT6_P12ihipStream_tbENKUlT_T0_E_clISt17integral_constantIbLb1EESX_EEDaSS_ST_EUlSS_E0_NS1_11comp_targetILNS1_3genE10ELNS1_11target_archE1200ELNS1_3gpuE4ELNS1_3repE0EEENS1_30default_config_static_selectorELNS0_4arch9wavefront6targetE1EEEvT1_,"axG",@progbits,_ZN7rocprim17ROCPRIM_400000_NS6detail17trampoline_kernelINS0_14default_configENS1_20scan_config_selectorIxEEZZNS1_9scan_implILNS1_25lookback_scan_determinismE0ELb0ELb0ES3_N6thrust23THRUST_200600_302600_NS6detail15normal_iteratorINS9_10device_ptrIxEEEENS9_16discard_iteratorINS9_11use_defaultEEEx11max_functorIxExEEDaPvRmT3_T4_T5_mT6_P12ihipStream_tbENKUlT_T0_E_clISt17integral_constantIbLb1EESX_EEDaSS_ST_EUlSS_E0_NS1_11comp_targetILNS1_3genE10ELNS1_11target_archE1200ELNS1_3gpuE4ELNS1_3repE0EEENS1_30default_config_static_selectorELNS0_4arch9wavefront6targetE1EEEvT1_,comdat
	.protected	_ZN7rocprim17ROCPRIM_400000_NS6detail17trampoline_kernelINS0_14default_configENS1_20scan_config_selectorIxEEZZNS1_9scan_implILNS1_25lookback_scan_determinismE0ELb0ELb0ES3_N6thrust23THRUST_200600_302600_NS6detail15normal_iteratorINS9_10device_ptrIxEEEENS9_16discard_iteratorINS9_11use_defaultEEEx11max_functorIxExEEDaPvRmT3_T4_T5_mT6_P12ihipStream_tbENKUlT_T0_E_clISt17integral_constantIbLb1EESX_EEDaSS_ST_EUlSS_E0_NS1_11comp_targetILNS1_3genE10ELNS1_11target_archE1200ELNS1_3gpuE4ELNS1_3repE0EEENS1_30default_config_static_selectorELNS0_4arch9wavefront6targetE1EEEvT1_ ; -- Begin function _ZN7rocprim17ROCPRIM_400000_NS6detail17trampoline_kernelINS0_14default_configENS1_20scan_config_selectorIxEEZZNS1_9scan_implILNS1_25lookback_scan_determinismE0ELb0ELb0ES3_N6thrust23THRUST_200600_302600_NS6detail15normal_iteratorINS9_10device_ptrIxEEEENS9_16discard_iteratorINS9_11use_defaultEEEx11max_functorIxExEEDaPvRmT3_T4_T5_mT6_P12ihipStream_tbENKUlT_T0_E_clISt17integral_constantIbLb1EESX_EEDaSS_ST_EUlSS_E0_NS1_11comp_targetILNS1_3genE10ELNS1_11target_archE1200ELNS1_3gpuE4ELNS1_3repE0EEENS1_30default_config_static_selectorELNS0_4arch9wavefront6targetE1EEEvT1_
	.globl	_ZN7rocprim17ROCPRIM_400000_NS6detail17trampoline_kernelINS0_14default_configENS1_20scan_config_selectorIxEEZZNS1_9scan_implILNS1_25lookback_scan_determinismE0ELb0ELb0ES3_N6thrust23THRUST_200600_302600_NS6detail15normal_iteratorINS9_10device_ptrIxEEEENS9_16discard_iteratorINS9_11use_defaultEEEx11max_functorIxExEEDaPvRmT3_T4_T5_mT6_P12ihipStream_tbENKUlT_T0_E_clISt17integral_constantIbLb1EESX_EEDaSS_ST_EUlSS_E0_NS1_11comp_targetILNS1_3genE10ELNS1_11target_archE1200ELNS1_3gpuE4ELNS1_3repE0EEENS1_30default_config_static_selectorELNS0_4arch9wavefront6targetE1EEEvT1_
	.p2align	8
	.type	_ZN7rocprim17ROCPRIM_400000_NS6detail17trampoline_kernelINS0_14default_configENS1_20scan_config_selectorIxEEZZNS1_9scan_implILNS1_25lookback_scan_determinismE0ELb0ELb0ES3_N6thrust23THRUST_200600_302600_NS6detail15normal_iteratorINS9_10device_ptrIxEEEENS9_16discard_iteratorINS9_11use_defaultEEEx11max_functorIxExEEDaPvRmT3_T4_T5_mT6_P12ihipStream_tbENKUlT_T0_E_clISt17integral_constantIbLb1EESX_EEDaSS_ST_EUlSS_E0_NS1_11comp_targetILNS1_3genE10ELNS1_11target_archE1200ELNS1_3gpuE4ELNS1_3repE0EEENS1_30default_config_static_selectorELNS0_4arch9wavefront6targetE1EEEvT1_,@function
_ZN7rocprim17ROCPRIM_400000_NS6detail17trampoline_kernelINS0_14default_configENS1_20scan_config_selectorIxEEZZNS1_9scan_implILNS1_25lookback_scan_determinismE0ELb0ELb0ES3_N6thrust23THRUST_200600_302600_NS6detail15normal_iteratorINS9_10device_ptrIxEEEENS9_16discard_iteratorINS9_11use_defaultEEEx11max_functorIxExEEDaPvRmT3_T4_T5_mT6_P12ihipStream_tbENKUlT_T0_E_clISt17integral_constantIbLb1EESX_EEDaSS_ST_EUlSS_E0_NS1_11comp_targetILNS1_3genE10ELNS1_11target_archE1200ELNS1_3gpuE4ELNS1_3repE0EEENS1_30default_config_static_selectorELNS0_4arch9wavefront6targetE1EEEvT1_: ; @_ZN7rocprim17ROCPRIM_400000_NS6detail17trampoline_kernelINS0_14default_configENS1_20scan_config_selectorIxEEZZNS1_9scan_implILNS1_25lookback_scan_determinismE0ELb0ELb0ES3_N6thrust23THRUST_200600_302600_NS6detail15normal_iteratorINS9_10device_ptrIxEEEENS9_16discard_iteratorINS9_11use_defaultEEEx11max_functorIxExEEDaPvRmT3_T4_T5_mT6_P12ihipStream_tbENKUlT_T0_E_clISt17integral_constantIbLb1EESX_EEDaSS_ST_EUlSS_E0_NS1_11comp_targetILNS1_3genE10ELNS1_11target_archE1200ELNS1_3gpuE4ELNS1_3repE0EEENS1_30default_config_static_selectorELNS0_4arch9wavefront6targetE1EEEvT1_
; %bb.0:
	.section	.rodata,"a",@progbits
	.p2align	6, 0x0
	.amdhsa_kernel _ZN7rocprim17ROCPRIM_400000_NS6detail17trampoline_kernelINS0_14default_configENS1_20scan_config_selectorIxEEZZNS1_9scan_implILNS1_25lookback_scan_determinismE0ELb0ELb0ES3_N6thrust23THRUST_200600_302600_NS6detail15normal_iteratorINS9_10device_ptrIxEEEENS9_16discard_iteratorINS9_11use_defaultEEEx11max_functorIxExEEDaPvRmT3_T4_T5_mT6_P12ihipStream_tbENKUlT_T0_E_clISt17integral_constantIbLb1EESX_EEDaSS_ST_EUlSS_E0_NS1_11comp_targetILNS1_3genE10ELNS1_11target_archE1200ELNS1_3gpuE4ELNS1_3repE0EEENS1_30default_config_static_selectorELNS0_4arch9wavefront6targetE1EEEvT1_
		.amdhsa_group_segment_fixed_size 0
		.amdhsa_private_segment_fixed_size 0
		.amdhsa_kernarg_size 48
		.amdhsa_user_sgpr_count 6
		.amdhsa_user_sgpr_private_segment_buffer 1
		.amdhsa_user_sgpr_dispatch_ptr 0
		.amdhsa_user_sgpr_queue_ptr 0
		.amdhsa_user_sgpr_kernarg_segment_ptr 1
		.amdhsa_user_sgpr_dispatch_id 0
		.amdhsa_user_sgpr_flat_scratch_init 0
		.amdhsa_user_sgpr_kernarg_preload_length 0
		.amdhsa_user_sgpr_kernarg_preload_offset 0
		.amdhsa_user_sgpr_private_segment_size 0
		.amdhsa_uses_dynamic_stack 0
		.amdhsa_system_sgpr_private_segment_wavefront_offset 0
		.amdhsa_system_sgpr_workgroup_id_x 1
		.amdhsa_system_sgpr_workgroup_id_y 0
		.amdhsa_system_sgpr_workgroup_id_z 0
		.amdhsa_system_sgpr_workgroup_info 0
		.amdhsa_system_vgpr_workitem_id 0
		.amdhsa_next_free_vgpr 1
		.amdhsa_next_free_sgpr 0
		.amdhsa_accum_offset 4
		.amdhsa_reserve_vcc 0
		.amdhsa_reserve_flat_scratch 0
		.amdhsa_float_round_mode_32 0
		.amdhsa_float_round_mode_16_64 0
		.amdhsa_float_denorm_mode_32 3
		.amdhsa_float_denorm_mode_16_64 3
		.amdhsa_dx10_clamp 1
		.amdhsa_ieee_mode 1
		.amdhsa_fp16_overflow 0
		.amdhsa_tg_split 0
		.amdhsa_exception_fp_ieee_invalid_op 0
		.amdhsa_exception_fp_denorm_src 0
		.amdhsa_exception_fp_ieee_div_zero 0
		.amdhsa_exception_fp_ieee_overflow 0
		.amdhsa_exception_fp_ieee_underflow 0
		.amdhsa_exception_fp_ieee_inexact 0
		.amdhsa_exception_int_div_zero 0
	.end_amdhsa_kernel
	.section	.text._ZN7rocprim17ROCPRIM_400000_NS6detail17trampoline_kernelINS0_14default_configENS1_20scan_config_selectorIxEEZZNS1_9scan_implILNS1_25lookback_scan_determinismE0ELb0ELb0ES3_N6thrust23THRUST_200600_302600_NS6detail15normal_iteratorINS9_10device_ptrIxEEEENS9_16discard_iteratorINS9_11use_defaultEEEx11max_functorIxExEEDaPvRmT3_T4_T5_mT6_P12ihipStream_tbENKUlT_T0_E_clISt17integral_constantIbLb1EESX_EEDaSS_ST_EUlSS_E0_NS1_11comp_targetILNS1_3genE10ELNS1_11target_archE1200ELNS1_3gpuE4ELNS1_3repE0EEENS1_30default_config_static_selectorELNS0_4arch9wavefront6targetE1EEEvT1_,"axG",@progbits,_ZN7rocprim17ROCPRIM_400000_NS6detail17trampoline_kernelINS0_14default_configENS1_20scan_config_selectorIxEEZZNS1_9scan_implILNS1_25lookback_scan_determinismE0ELb0ELb0ES3_N6thrust23THRUST_200600_302600_NS6detail15normal_iteratorINS9_10device_ptrIxEEEENS9_16discard_iteratorINS9_11use_defaultEEEx11max_functorIxExEEDaPvRmT3_T4_T5_mT6_P12ihipStream_tbENKUlT_T0_E_clISt17integral_constantIbLb1EESX_EEDaSS_ST_EUlSS_E0_NS1_11comp_targetILNS1_3genE10ELNS1_11target_archE1200ELNS1_3gpuE4ELNS1_3repE0EEENS1_30default_config_static_selectorELNS0_4arch9wavefront6targetE1EEEvT1_,comdat
.Lfunc_end3743:
	.size	_ZN7rocprim17ROCPRIM_400000_NS6detail17trampoline_kernelINS0_14default_configENS1_20scan_config_selectorIxEEZZNS1_9scan_implILNS1_25lookback_scan_determinismE0ELb0ELb0ES3_N6thrust23THRUST_200600_302600_NS6detail15normal_iteratorINS9_10device_ptrIxEEEENS9_16discard_iteratorINS9_11use_defaultEEEx11max_functorIxExEEDaPvRmT3_T4_T5_mT6_P12ihipStream_tbENKUlT_T0_E_clISt17integral_constantIbLb1EESX_EEDaSS_ST_EUlSS_E0_NS1_11comp_targetILNS1_3genE10ELNS1_11target_archE1200ELNS1_3gpuE4ELNS1_3repE0EEENS1_30default_config_static_selectorELNS0_4arch9wavefront6targetE1EEEvT1_, .Lfunc_end3743-_ZN7rocprim17ROCPRIM_400000_NS6detail17trampoline_kernelINS0_14default_configENS1_20scan_config_selectorIxEEZZNS1_9scan_implILNS1_25lookback_scan_determinismE0ELb0ELb0ES3_N6thrust23THRUST_200600_302600_NS6detail15normal_iteratorINS9_10device_ptrIxEEEENS9_16discard_iteratorINS9_11use_defaultEEEx11max_functorIxExEEDaPvRmT3_T4_T5_mT6_P12ihipStream_tbENKUlT_T0_E_clISt17integral_constantIbLb1EESX_EEDaSS_ST_EUlSS_E0_NS1_11comp_targetILNS1_3genE10ELNS1_11target_archE1200ELNS1_3gpuE4ELNS1_3repE0EEENS1_30default_config_static_selectorELNS0_4arch9wavefront6targetE1EEEvT1_
                                        ; -- End function
	.section	.AMDGPU.csdata,"",@progbits
; Kernel info:
; codeLenInByte = 0
; NumSgprs: 4
; NumVgprs: 0
; NumAgprs: 0
; TotalNumVgprs: 0
; ScratchSize: 0
; MemoryBound: 0
; FloatMode: 240
; IeeeMode: 1
; LDSByteSize: 0 bytes/workgroup (compile time only)
; SGPRBlocks: 0
; VGPRBlocks: 0
; NumSGPRsForWavesPerEU: 4
; NumVGPRsForWavesPerEU: 1
; AccumOffset: 4
; Occupancy: 8
; WaveLimiterHint : 0
; COMPUTE_PGM_RSRC2:SCRATCH_EN: 0
; COMPUTE_PGM_RSRC2:USER_SGPR: 6
; COMPUTE_PGM_RSRC2:TRAP_HANDLER: 0
; COMPUTE_PGM_RSRC2:TGID_X_EN: 1
; COMPUTE_PGM_RSRC2:TGID_Y_EN: 0
; COMPUTE_PGM_RSRC2:TGID_Z_EN: 0
; COMPUTE_PGM_RSRC2:TIDIG_COMP_CNT: 0
; COMPUTE_PGM_RSRC3_GFX90A:ACCUM_OFFSET: 0
; COMPUTE_PGM_RSRC3_GFX90A:TG_SPLIT: 0
	.section	.text._ZN7rocprim17ROCPRIM_400000_NS6detail17trampoline_kernelINS0_14default_configENS1_20scan_config_selectorIxEEZZNS1_9scan_implILNS1_25lookback_scan_determinismE0ELb0ELb0ES3_N6thrust23THRUST_200600_302600_NS6detail15normal_iteratorINS9_10device_ptrIxEEEENS9_16discard_iteratorINS9_11use_defaultEEEx11max_functorIxExEEDaPvRmT3_T4_T5_mT6_P12ihipStream_tbENKUlT_T0_E_clISt17integral_constantIbLb1EESX_EEDaSS_ST_EUlSS_E0_NS1_11comp_targetILNS1_3genE9ELNS1_11target_archE1100ELNS1_3gpuE3ELNS1_3repE0EEENS1_30default_config_static_selectorELNS0_4arch9wavefront6targetE1EEEvT1_,"axG",@progbits,_ZN7rocprim17ROCPRIM_400000_NS6detail17trampoline_kernelINS0_14default_configENS1_20scan_config_selectorIxEEZZNS1_9scan_implILNS1_25lookback_scan_determinismE0ELb0ELb0ES3_N6thrust23THRUST_200600_302600_NS6detail15normal_iteratorINS9_10device_ptrIxEEEENS9_16discard_iteratorINS9_11use_defaultEEEx11max_functorIxExEEDaPvRmT3_T4_T5_mT6_P12ihipStream_tbENKUlT_T0_E_clISt17integral_constantIbLb1EESX_EEDaSS_ST_EUlSS_E0_NS1_11comp_targetILNS1_3genE9ELNS1_11target_archE1100ELNS1_3gpuE3ELNS1_3repE0EEENS1_30default_config_static_selectorELNS0_4arch9wavefront6targetE1EEEvT1_,comdat
	.protected	_ZN7rocprim17ROCPRIM_400000_NS6detail17trampoline_kernelINS0_14default_configENS1_20scan_config_selectorIxEEZZNS1_9scan_implILNS1_25lookback_scan_determinismE0ELb0ELb0ES3_N6thrust23THRUST_200600_302600_NS6detail15normal_iteratorINS9_10device_ptrIxEEEENS9_16discard_iteratorINS9_11use_defaultEEEx11max_functorIxExEEDaPvRmT3_T4_T5_mT6_P12ihipStream_tbENKUlT_T0_E_clISt17integral_constantIbLb1EESX_EEDaSS_ST_EUlSS_E0_NS1_11comp_targetILNS1_3genE9ELNS1_11target_archE1100ELNS1_3gpuE3ELNS1_3repE0EEENS1_30default_config_static_selectorELNS0_4arch9wavefront6targetE1EEEvT1_ ; -- Begin function _ZN7rocprim17ROCPRIM_400000_NS6detail17trampoline_kernelINS0_14default_configENS1_20scan_config_selectorIxEEZZNS1_9scan_implILNS1_25lookback_scan_determinismE0ELb0ELb0ES3_N6thrust23THRUST_200600_302600_NS6detail15normal_iteratorINS9_10device_ptrIxEEEENS9_16discard_iteratorINS9_11use_defaultEEEx11max_functorIxExEEDaPvRmT3_T4_T5_mT6_P12ihipStream_tbENKUlT_T0_E_clISt17integral_constantIbLb1EESX_EEDaSS_ST_EUlSS_E0_NS1_11comp_targetILNS1_3genE9ELNS1_11target_archE1100ELNS1_3gpuE3ELNS1_3repE0EEENS1_30default_config_static_selectorELNS0_4arch9wavefront6targetE1EEEvT1_
	.globl	_ZN7rocprim17ROCPRIM_400000_NS6detail17trampoline_kernelINS0_14default_configENS1_20scan_config_selectorIxEEZZNS1_9scan_implILNS1_25lookback_scan_determinismE0ELb0ELb0ES3_N6thrust23THRUST_200600_302600_NS6detail15normal_iteratorINS9_10device_ptrIxEEEENS9_16discard_iteratorINS9_11use_defaultEEEx11max_functorIxExEEDaPvRmT3_T4_T5_mT6_P12ihipStream_tbENKUlT_T0_E_clISt17integral_constantIbLb1EESX_EEDaSS_ST_EUlSS_E0_NS1_11comp_targetILNS1_3genE9ELNS1_11target_archE1100ELNS1_3gpuE3ELNS1_3repE0EEENS1_30default_config_static_selectorELNS0_4arch9wavefront6targetE1EEEvT1_
	.p2align	8
	.type	_ZN7rocprim17ROCPRIM_400000_NS6detail17trampoline_kernelINS0_14default_configENS1_20scan_config_selectorIxEEZZNS1_9scan_implILNS1_25lookback_scan_determinismE0ELb0ELb0ES3_N6thrust23THRUST_200600_302600_NS6detail15normal_iteratorINS9_10device_ptrIxEEEENS9_16discard_iteratorINS9_11use_defaultEEEx11max_functorIxExEEDaPvRmT3_T4_T5_mT6_P12ihipStream_tbENKUlT_T0_E_clISt17integral_constantIbLb1EESX_EEDaSS_ST_EUlSS_E0_NS1_11comp_targetILNS1_3genE9ELNS1_11target_archE1100ELNS1_3gpuE3ELNS1_3repE0EEENS1_30default_config_static_selectorELNS0_4arch9wavefront6targetE1EEEvT1_,@function
_ZN7rocprim17ROCPRIM_400000_NS6detail17trampoline_kernelINS0_14default_configENS1_20scan_config_selectorIxEEZZNS1_9scan_implILNS1_25lookback_scan_determinismE0ELb0ELb0ES3_N6thrust23THRUST_200600_302600_NS6detail15normal_iteratorINS9_10device_ptrIxEEEENS9_16discard_iteratorINS9_11use_defaultEEEx11max_functorIxExEEDaPvRmT3_T4_T5_mT6_P12ihipStream_tbENKUlT_T0_E_clISt17integral_constantIbLb1EESX_EEDaSS_ST_EUlSS_E0_NS1_11comp_targetILNS1_3genE9ELNS1_11target_archE1100ELNS1_3gpuE3ELNS1_3repE0EEENS1_30default_config_static_selectorELNS0_4arch9wavefront6targetE1EEEvT1_: ; @_ZN7rocprim17ROCPRIM_400000_NS6detail17trampoline_kernelINS0_14default_configENS1_20scan_config_selectorIxEEZZNS1_9scan_implILNS1_25lookback_scan_determinismE0ELb0ELb0ES3_N6thrust23THRUST_200600_302600_NS6detail15normal_iteratorINS9_10device_ptrIxEEEENS9_16discard_iteratorINS9_11use_defaultEEEx11max_functorIxExEEDaPvRmT3_T4_T5_mT6_P12ihipStream_tbENKUlT_T0_E_clISt17integral_constantIbLb1EESX_EEDaSS_ST_EUlSS_E0_NS1_11comp_targetILNS1_3genE9ELNS1_11target_archE1100ELNS1_3gpuE3ELNS1_3repE0EEENS1_30default_config_static_selectorELNS0_4arch9wavefront6targetE1EEEvT1_
; %bb.0:
	.section	.rodata,"a",@progbits
	.p2align	6, 0x0
	.amdhsa_kernel _ZN7rocprim17ROCPRIM_400000_NS6detail17trampoline_kernelINS0_14default_configENS1_20scan_config_selectorIxEEZZNS1_9scan_implILNS1_25lookback_scan_determinismE0ELb0ELb0ES3_N6thrust23THRUST_200600_302600_NS6detail15normal_iteratorINS9_10device_ptrIxEEEENS9_16discard_iteratorINS9_11use_defaultEEEx11max_functorIxExEEDaPvRmT3_T4_T5_mT6_P12ihipStream_tbENKUlT_T0_E_clISt17integral_constantIbLb1EESX_EEDaSS_ST_EUlSS_E0_NS1_11comp_targetILNS1_3genE9ELNS1_11target_archE1100ELNS1_3gpuE3ELNS1_3repE0EEENS1_30default_config_static_selectorELNS0_4arch9wavefront6targetE1EEEvT1_
		.amdhsa_group_segment_fixed_size 0
		.amdhsa_private_segment_fixed_size 0
		.amdhsa_kernarg_size 48
		.amdhsa_user_sgpr_count 6
		.amdhsa_user_sgpr_private_segment_buffer 1
		.amdhsa_user_sgpr_dispatch_ptr 0
		.amdhsa_user_sgpr_queue_ptr 0
		.amdhsa_user_sgpr_kernarg_segment_ptr 1
		.amdhsa_user_sgpr_dispatch_id 0
		.amdhsa_user_sgpr_flat_scratch_init 0
		.amdhsa_user_sgpr_kernarg_preload_length 0
		.amdhsa_user_sgpr_kernarg_preload_offset 0
		.amdhsa_user_sgpr_private_segment_size 0
		.amdhsa_uses_dynamic_stack 0
		.amdhsa_system_sgpr_private_segment_wavefront_offset 0
		.amdhsa_system_sgpr_workgroup_id_x 1
		.amdhsa_system_sgpr_workgroup_id_y 0
		.amdhsa_system_sgpr_workgroup_id_z 0
		.amdhsa_system_sgpr_workgroup_info 0
		.amdhsa_system_vgpr_workitem_id 0
		.amdhsa_next_free_vgpr 1
		.amdhsa_next_free_sgpr 0
		.amdhsa_accum_offset 4
		.amdhsa_reserve_vcc 0
		.amdhsa_reserve_flat_scratch 0
		.amdhsa_float_round_mode_32 0
		.amdhsa_float_round_mode_16_64 0
		.amdhsa_float_denorm_mode_32 3
		.amdhsa_float_denorm_mode_16_64 3
		.amdhsa_dx10_clamp 1
		.amdhsa_ieee_mode 1
		.amdhsa_fp16_overflow 0
		.amdhsa_tg_split 0
		.amdhsa_exception_fp_ieee_invalid_op 0
		.amdhsa_exception_fp_denorm_src 0
		.amdhsa_exception_fp_ieee_div_zero 0
		.amdhsa_exception_fp_ieee_overflow 0
		.amdhsa_exception_fp_ieee_underflow 0
		.amdhsa_exception_fp_ieee_inexact 0
		.amdhsa_exception_int_div_zero 0
	.end_amdhsa_kernel
	.section	.text._ZN7rocprim17ROCPRIM_400000_NS6detail17trampoline_kernelINS0_14default_configENS1_20scan_config_selectorIxEEZZNS1_9scan_implILNS1_25lookback_scan_determinismE0ELb0ELb0ES3_N6thrust23THRUST_200600_302600_NS6detail15normal_iteratorINS9_10device_ptrIxEEEENS9_16discard_iteratorINS9_11use_defaultEEEx11max_functorIxExEEDaPvRmT3_T4_T5_mT6_P12ihipStream_tbENKUlT_T0_E_clISt17integral_constantIbLb1EESX_EEDaSS_ST_EUlSS_E0_NS1_11comp_targetILNS1_3genE9ELNS1_11target_archE1100ELNS1_3gpuE3ELNS1_3repE0EEENS1_30default_config_static_selectorELNS0_4arch9wavefront6targetE1EEEvT1_,"axG",@progbits,_ZN7rocprim17ROCPRIM_400000_NS6detail17trampoline_kernelINS0_14default_configENS1_20scan_config_selectorIxEEZZNS1_9scan_implILNS1_25lookback_scan_determinismE0ELb0ELb0ES3_N6thrust23THRUST_200600_302600_NS6detail15normal_iteratorINS9_10device_ptrIxEEEENS9_16discard_iteratorINS9_11use_defaultEEEx11max_functorIxExEEDaPvRmT3_T4_T5_mT6_P12ihipStream_tbENKUlT_T0_E_clISt17integral_constantIbLb1EESX_EEDaSS_ST_EUlSS_E0_NS1_11comp_targetILNS1_3genE9ELNS1_11target_archE1100ELNS1_3gpuE3ELNS1_3repE0EEENS1_30default_config_static_selectorELNS0_4arch9wavefront6targetE1EEEvT1_,comdat
.Lfunc_end3744:
	.size	_ZN7rocprim17ROCPRIM_400000_NS6detail17trampoline_kernelINS0_14default_configENS1_20scan_config_selectorIxEEZZNS1_9scan_implILNS1_25lookback_scan_determinismE0ELb0ELb0ES3_N6thrust23THRUST_200600_302600_NS6detail15normal_iteratorINS9_10device_ptrIxEEEENS9_16discard_iteratorINS9_11use_defaultEEEx11max_functorIxExEEDaPvRmT3_T4_T5_mT6_P12ihipStream_tbENKUlT_T0_E_clISt17integral_constantIbLb1EESX_EEDaSS_ST_EUlSS_E0_NS1_11comp_targetILNS1_3genE9ELNS1_11target_archE1100ELNS1_3gpuE3ELNS1_3repE0EEENS1_30default_config_static_selectorELNS0_4arch9wavefront6targetE1EEEvT1_, .Lfunc_end3744-_ZN7rocprim17ROCPRIM_400000_NS6detail17trampoline_kernelINS0_14default_configENS1_20scan_config_selectorIxEEZZNS1_9scan_implILNS1_25lookback_scan_determinismE0ELb0ELb0ES3_N6thrust23THRUST_200600_302600_NS6detail15normal_iteratorINS9_10device_ptrIxEEEENS9_16discard_iteratorINS9_11use_defaultEEEx11max_functorIxExEEDaPvRmT3_T4_T5_mT6_P12ihipStream_tbENKUlT_T0_E_clISt17integral_constantIbLb1EESX_EEDaSS_ST_EUlSS_E0_NS1_11comp_targetILNS1_3genE9ELNS1_11target_archE1100ELNS1_3gpuE3ELNS1_3repE0EEENS1_30default_config_static_selectorELNS0_4arch9wavefront6targetE1EEEvT1_
                                        ; -- End function
	.section	.AMDGPU.csdata,"",@progbits
; Kernel info:
; codeLenInByte = 0
; NumSgprs: 4
; NumVgprs: 0
; NumAgprs: 0
; TotalNumVgprs: 0
; ScratchSize: 0
; MemoryBound: 0
; FloatMode: 240
; IeeeMode: 1
; LDSByteSize: 0 bytes/workgroup (compile time only)
; SGPRBlocks: 0
; VGPRBlocks: 0
; NumSGPRsForWavesPerEU: 4
; NumVGPRsForWavesPerEU: 1
; AccumOffset: 4
; Occupancy: 8
; WaveLimiterHint : 0
; COMPUTE_PGM_RSRC2:SCRATCH_EN: 0
; COMPUTE_PGM_RSRC2:USER_SGPR: 6
; COMPUTE_PGM_RSRC2:TRAP_HANDLER: 0
; COMPUTE_PGM_RSRC2:TGID_X_EN: 1
; COMPUTE_PGM_RSRC2:TGID_Y_EN: 0
; COMPUTE_PGM_RSRC2:TGID_Z_EN: 0
; COMPUTE_PGM_RSRC2:TIDIG_COMP_CNT: 0
; COMPUTE_PGM_RSRC3_GFX90A:ACCUM_OFFSET: 0
; COMPUTE_PGM_RSRC3_GFX90A:TG_SPLIT: 0
	.section	.text._ZN7rocprim17ROCPRIM_400000_NS6detail17trampoline_kernelINS0_14default_configENS1_20scan_config_selectorIxEEZZNS1_9scan_implILNS1_25lookback_scan_determinismE0ELb0ELb0ES3_N6thrust23THRUST_200600_302600_NS6detail15normal_iteratorINS9_10device_ptrIxEEEENS9_16discard_iteratorINS9_11use_defaultEEEx11max_functorIxExEEDaPvRmT3_T4_T5_mT6_P12ihipStream_tbENKUlT_T0_E_clISt17integral_constantIbLb1EESX_EEDaSS_ST_EUlSS_E0_NS1_11comp_targetILNS1_3genE8ELNS1_11target_archE1030ELNS1_3gpuE2ELNS1_3repE0EEENS1_30default_config_static_selectorELNS0_4arch9wavefront6targetE1EEEvT1_,"axG",@progbits,_ZN7rocprim17ROCPRIM_400000_NS6detail17trampoline_kernelINS0_14default_configENS1_20scan_config_selectorIxEEZZNS1_9scan_implILNS1_25lookback_scan_determinismE0ELb0ELb0ES3_N6thrust23THRUST_200600_302600_NS6detail15normal_iteratorINS9_10device_ptrIxEEEENS9_16discard_iteratorINS9_11use_defaultEEEx11max_functorIxExEEDaPvRmT3_T4_T5_mT6_P12ihipStream_tbENKUlT_T0_E_clISt17integral_constantIbLb1EESX_EEDaSS_ST_EUlSS_E0_NS1_11comp_targetILNS1_3genE8ELNS1_11target_archE1030ELNS1_3gpuE2ELNS1_3repE0EEENS1_30default_config_static_selectorELNS0_4arch9wavefront6targetE1EEEvT1_,comdat
	.protected	_ZN7rocprim17ROCPRIM_400000_NS6detail17trampoline_kernelINS0_14default_configENS1_20scan_config_selectorIxEEZZNS1_9scan_implILNS1_25lookback_scan_determinismE0ELb0ELb0ES3_N6thrust23THRUST_200600_302600_NS6detail15normal_iteratorINS9_10device_ptrIxEEEENS9_16discard_iteratorINS9_11use_defaultEEEx11max_functorIxExEEDaPvRmT3_T4_T5_mT6_P12ihipStream_tbENKUlT_T0_E_clISt17integral_constantIbLb1EESX_EEDaSS_ST_EUlSS_E0_NS1_11comp_targetILNS1_3genE8ELNS1_11target_archE1030ELNS1_3gpuE2ELNS1_3repE0EEENS1_30default_config_static_selectorELNS0_4arch9wavefront6targetE1EEEvT1_ ; -- Begin function _ZN7rocprim17ROCPRIM_400000_NS6detail17trampoline_kernelINS0_14default_configENS1_20scan_config_selectorIxEEZZNS1_9scan_implILNS1_25lookback_scan_determinismE0ELb0ELb0ES3_N6thrust23THRUST_200600_302600_NS6detail15normal_iteratorINS9_10device_ptrIxEEEENS9_16discard_iteratorINS9_11use_defaultEEEx11max_functorIxExEEDaPvRmT3_T4_T5_mT6_P12ihipStream_tbENKUlT_T0_E_clISt17integral_constantIbLb1EESX_EEDaSS_ST_EUlSS_E0_NS1_11comp_targetILNS1_3genE8ELNS1_11target_archE1030ELNS1_3gpuE2ELNS1_3repE0EEENS1_30default_config_static_selectorELNS0_4arch9wavefront6targetE1EEEvT1_
	.globl	_ZN7rocprim17ROCPRIM_400000_NS6detail17trampoline_kernelINS0_14default_configENS1_20scan_config_selectorIxEEZZNS1_9scan_implILNS1_25lookback_scan_determinismE0ELb0ELb0ES3_N6thrust23THRUST_200600_302600_NS6detail15normal_iteratorINS9_10device_ptrIxEEEENS9_16discard_iteratorINS9_11use_defaultEEEx11max_functorIxExEEDaPvRmT3_T4_T5_mT6_P12ihipStream_tbENKUlT_T0_E_clISt17integral_constantIbLb1EESX_EEDaSS_ST_EUlSS_E0_NS1_11comp_targetILNS1_3genE8ELNS1_11target_archE1030ELNS1_3gpuE2ELNS1_3repE0EEENS1_30default_config_static_selectorELNS0_4arch9wavefront6targetE1EEEvT1_
	.p2align	8
	.type	_ZN7rocprim17ROCPRIM_400000_NS6detail17trampoline_kernelINS0_14default_configENS1_20scan_config_selectorIxEEZZNS1_9scan_implILNS1_25lookback_scan_determinismE0ELb0ELb0ES3_N6thrust23THRUST_200600_302600_NS6detail15normal_iteratorINS9_10device_ptrIxEEEENS9_16discard_iteratorINS9_11use_defaultEEEx11max_functorIxExEEDaPvRmT3_T4_T5_mT6_P12ihipStream_tbENKUlT_T0_E_clISt17integral_constantIbLb1EESX_EEDaSS_ST_EUlSS_E0_NS1_11comp_targetILNS1_3genE8ELNS1_11target_archE1030ELNS1_3gpuE2ELNS1_3repE0EEENS1_30default_config_static_selectorELNS0_4arch9wavefront6targetE1EEEvT1_,@function
_ZN7rocprim17ROCPRIM_400000_NS6detail17trampoline_kernelINS0_14default_configENS1_20scan_config_selectorIxEEZZNS1_9scan_implILNS1_25lookback_scan_determinismE0ELb0ELb0ES3_N6thrust23THRUST_200600_302600_NS6detail15normal_iteratorINS9_10device_ptrIxEEEENS9_16discard_iteratorINS9_11use_defaultEEEx11max_functorIxExEEDaPvRmT3_T4_T5_mT6_P12ihipStream_tbENKUlT_T0_E_clISt17integral_constantIbLb1EESX_EEDaSS_ST_EUlSS_E0_NS1_11comp_targetILNS1_3genE8ELNS1_11target_archE1030ELNS1_3gpuE2ELNS1_3repE0EEENS1_30default_config_static_selectorELNS0_4arch9wavefront6targetE1EEEvT1_: ; @_ZN7rocprim17ROCPRIM_400000_NS6detail17trampoline_kernelINS0_14default_configENS1_20scan_config_selectorIxEEZZNS1_9scan_implILNS1_25lookback_scan_determinismE0ELb0ELb0ES3_N6thrust23THRUST_200600_302600_NS6detail15normal_iteratorINS9_10device_ptrIxEEEENS9_16discard_iteratorINS9_11use_defaultEEEx11max_functorIxExEEDaPvRmT3_T4_T5_mT6_P12ihipStream_tbENKUlT_T0_E_clISt17integral_constantIbLb1EESX_EEDaSS_ST_EUlSS_E0_NS1_11comp_targetILNS1_3genE8ELNS1_11target_archE1030ELNS1_3gpuE2ELNS1_3repE0EEENS1_30default_config_static_selectorELNS0_4arch9wavefront6targetE1EEEvT1_
; %bb.0:
	.section	.rodata,"a",@progbits
	.p2align	6, 0x0
	.amdhsa_kernel _ZN7rocprim17ROCPRIM_400000_NS6detail17trampoline_kernelINS0_14default_configENS1_20scan_config_selectorIxEEZZNS1_9scan_implILNS1_25lookback_scan_determinismE0ELb0ELb0ES3_N6thrust23THRUST_200600_302600_NS6detail15normal_iteratorINS9_10device_ptrIxEEEENS9_16discard_iteratorINS9_11use_defaultEEEx11max_functorIxExEEDaPvRmT3_T4_T5_mT6_P12ihipStream_tbENKUlT_T0_E_clISt17integral_constantIbLb1EESX_EEDaSS_ST_EUlSS_E0_NS1_11comp_targetILNS1_3genE8ELNS1_11target_archE1030ELNS1_3gpuE2ELNS1_3repE0EEENS1_30default_config_static_selectorELNS0_4arch9wavefront6targetE1EEEvT1_
		.amdhsa_group_segment_fixed_size 0
		.amdhsa_private_segment_fixed_size 0
		.amdhsa_kernarg_size 48
		.amdhsa_user_sgpr_count 6
		.amdhsa_user_sgpr_private_segment_buffer 1
		.amdhsa_user_sgpr_dispatch_ptr 0
		.amdhsa_user_sgpr_queue_ptr 0
		.amdhsa_user_sgpr_kernarg_segment_ptr 1
		.amdhsa_user_sgpr_dispatch_id 0
		.amdhsa_user_sgpr_flat_scratch_init 0
		.amdhsa_user_sgpr_kernarg_preload_length 0
		.amdhsa_user_sgpr_kernarg_preload_offset 0
		.amdhsa_user_sgpr_private_segment_size 0
		.amdhsa_uses_dynamic_stack 0
		.amdhsa_system_sgpr_private_segment_wavefront_offset 0
		.amdhsa_system_sgpr_workgroup_id_x 1
		.amdhsa_system_sgpr_workgroup_id_y 0
		.amdhsa_system_sgpr_workgroup_id_z 0
		.amdhsa_system_sgpr_workgroup_info 0
		.amdhsa_system_vgpr_workitem_id 0
		.amdhsa_next_free_vgpr 1
		.amdhsa_next_free_sgpr 0
		.amdhsa_accum_offset 4
		.amdhsa_reserve_vcc 0
		.amdhsa_reserve_flat_scratch 0
		.amdhsa_float_round_mode_32 0
		.amdhsa_float_round_mode_16_64 0
		.amdhsa_float_denorm_mode_32 3
		.amdhsa_float_denorm_mode_16_64 3
		.amdhsa_dx10_clamp 1
		.amdhsa_ieee_mode 1
		.amdhsa_fp16_overflow 0
		.amdhsa_tg_split 0
		.amdhsa_exception_fp_ieee_invalid_op 0
		.amdhsa_exception_fp_denorm_src 0
		.amdhsa_exception_fp_ieee_div_zero 0
		.amdhsa_exception_fp_ieee_overflow 0
		.amdhsa_exception_fp_ieee_underflow 0
		.amdhsa_exception_fp_ieee_inexact 0
		.amdhsa_exception_int_div_zero 0
	.end_amdhsa_kernel
	.section	.text._ZN7rocprim17ROCPRIM_400000_NS6detail17trampoline_kernelINS0_14default_configENS1_20scan_config_selectorIxEEZZNS1_9scan_implILNS1_25lookback_scan_determinismE0ELb0ELb0ES3_N6thrust23THRUST_200600_302600_NS6detail15normal_iteratorINS9_10device_ptrIxEEEENS9_16discard_iteratorINS9_11use_defaultEEEx11max_functorIxExEEDaPvRmT3_T4_T5_mT6_P12ihipStream_tbENKUlT_T0_E_clISt17integral_constantIbLb1EESX_EEDaSS_ST_EUlSS_E0_NS1_11comp_targetILNS1_3genE8ELNS1_11target_archE1030ELNS1_3gpuE2ELNS1_3repE0EEENS1_30default_config_static_selectorELNS0_4arch9wavefront6targetE1EEEvT1_,"axG",@progbits,_ZN7rocprim17ROCPRIM_400000_NS6detail17trampoline_kernelINS0_14default_configENS1_20scan_config_selectorIxEEZZNS1_9scan_implILNS1_25lookback_scan_determinismE0ELb0ELb0ES3_N6thrust23THRUST_200600_302600_NS6detail15normal_iteratorINS9_10device_ptrIxEEEENS9_16discard_iteratorINS9_11use_defaultEEEx11max_functorIxExEEDaPvRmT3_T4_T5_mT6_P12ihipStream_tbENKUlT_T0_E_clISt17integral_constantIbLb1EESX_EEDaSS_ST_EUlSS_E0_NS1_11comp_targetILNS1_3genE8ELNS1_11target_archE1030ELNS1_3gpuE2ELNS1_3repE0EEENS1_30default_config_static_selectorELNS0_4arch9wavefront6targetE1EEEvT1_,comdat
.Lfunc_end3745:
	.size	_ZN7rocprim17ROCPRIM_400000_NS6detail17trampoline_kernelINS0_14default_configENS1_20scan_config_selectorIxEEZZNS1_9scan_implILNS1_25lookback_scan_determinismE0ELb0ELb0ES3_N6thrust23THRUST_200600_302600_NS6detail15normal_iteratorINS9_10device_ptrIxEEEENS9_16discard_iteratorINS9_11use_defaultEEEx11max_functorIxExEEDaPvRmT3_T4_T5_mT6_P12ihipStream_tbENKUlT_T0_E_clISt17integral_constantIbLb1EESX_EEDaSS_ST_EUlSS_E0_NS1_11comp_targetILNS1_3genE8ELNS1_11target_archE1030ELNS1_3gpuE2ELNS1_3repE0EEENS1_30default_config_static_selectorELNS0_4arch9wavefront6targetE1EEEvT1_, .Lfunc_end3745-_ZN7rocprim17ROCPRIM_400000_NS6detail17trampoline_kernelINS0_14default_configENS1_20scan_config_selectorIxEEZZNS1_9scan_implILNS1_25lookback_scan_determinismE0ELb0ELb0ES3_N6thrust23THRUST_200600_302600_NS6detail15normal_iteratorINS9_10device_ptrIxEEEENS9_16discard_iteratorINS9_11use_defaultEEEx11max_functorIxExEEDaPvRmT3_T4_T5_mT6_P12ihipStream_tbENKUlT_T0_E_clISt17integral_constantIbLb1EESX_EEDaSS_ST_EUlSS_E0_NS1_11comp_targetILNS1_3genE8ELNS1_11target_archE1030ELNS1_3gpuE2ELNS1_3repE0EEENS1_30default_config_static_selectorELNS0_4arch9wavefront6targetE1EEEvT1_
                                        ; -- End function
	.section	.AMDGPU.csdata,"",@progbits
; Kernel info:
; codeLenInByte = 0
; NumSgprs: 4
; NumVgprs: 0
; NumAgprs: 0
; TotalNumVgprs: 0
; ScratchSize: 0
; MemoryBound: 0
; FloatMode: 240
; IeeeMode: 1
; LDSByteSize: 0 bytes/workgroup (compile time only)
; SGPRBlocks: 0
; VGPRBlocks: 0
; NumSGPRsForWavesPerEU: 4
; NumVGPRsForWavesPerEU: 1
; AccumOffset: 4
; Occupancy: 8
; WaveLimiterHint : 0
; COMPUTE_PGM_RSRC2:SCRATCH_EN: 0
; COMPUTE_PGM_RSRC2:USER_SGPR: 6
; COMPUTE_PGM_RSRC2:TRAP_HANDLER: 0
; COMPUTE_PGM_RSRC2:TGID_X_EN: 1
; COMPUTE_PGM_RSRC2:TGID_Y_EN: 0
; COMPUTE_PGM_RSRC2:TGID_Z_EN: 0
; COMPUTE_PGM_RSRC2:TIDIG_COMP_CNT: 0
; COMPUTE_PGM_RSRC3_GFX90A:ACCUM_OFFSET: 0
; COMPUTE_PGM_RSRC3_GFX90A:TG_SPLIT: 0
	.section	.text._ZN7rocprim17ROCPRIM_400000_NS6detail17trampoline_kernelINS0_14default_configENS1_20scan_config_selectorIxEEZZNS1_9scan_implILNS1_25lookback_scan_determinismE0ELb0ELb0ES3_N6thrust23THRUST_200600_302600_NS6detail15normal_iteratorINS9_10device_ptrIxEEEENS9_16discard_iteratorINS9_11use_defaultEEEx11max_functorIxExEEDaPvRmT3_T4_T5_mT6_P12ihipStream_tbENKUlT_T0_E_clISt17integral_constantIbLb1EESW_IbLb0EEEEDaSS_ST_EUlSS_E_NS1_11comp_targetILNS1_3genE0ELNS1_11target_archE4294967295ELNS1_3gpuE0ELNS1_3repE0EEENS1_30default_config_static_selectorELNS0_4arch9wavefront6targetE1EEEvT1_,"axG",@progbits,_ZN7rocprim17ROCPRIM_400000_NS6detail17trampoline_kernelINS0_14default_configENS1_20scan_config_selectorIxEEZZNS1_9scan_implILNS1_25lookback_scan_determinismE0ELb0ELb0ES3_N6thrust23THRUST_200600_302600_NS6detail15normal_iteratorINS9_10device_ptrIxEEEENS9_16discard_iteratorINS9_11use_defaultEEEx11max_functorIxExEEDaPvRmT3_T4_T5_mT6_P12ihipStream_tbENKUlT_T0_E_clISt17integral_constantIbLb1EESW_IbLb0EEEEDaSS_ST_EUlSS_E_NS1_11comp_targetILNS1_3genE0ELNS1_11target_archE4294967295ELNS1_3gpuE0ELNS1_3repE0EEENS1_30default_config_static_selectorELNS0_4arch9wavefront6targetE1EEEvT1_,comdat
	.protected	_ZN7rocprim17ROCPRIM_400000_NS6detail17trampoline_kernelINS0_14default_configENS1_20scan_config_selectorIxEEZZNS1_9scan_implILNS1_25lookback_scan_determinismE0ELb0ELb0ES3_N6thrust23THRUST_200600_302600_NS6detail15normal_iteratorINS9_10device_ptrIxEEEENS9_16discard_iteratorINS9_11use_defaultEEEx11max_functorIxExEEDaPvRmT3_T4_T5_mT6_P12ihipStream_tbENKUlT_T0_E_clISt17integral_constantIbLb1EESW_IbLb0EEEEDaSS_ST_EUlSS_E_NS1_11comp_targetILNS1_3genE0ELNS1_11target_archE4294967295ELNS1_3gpuE0ELNS1_3repE0EEENS1_30default_config_static_selectorELNS0_4arch9wavefront6targetE1EEEvT1_ ; -- Begin function _ZN7rocprim17ROCPRIM_400000_NS6detail17trampoline_kernelINS0_14default_configENS1_20scan_config_selectorIxEEZZNS1_9scan_implILNS1_25lookback_scan_determinismE0ELb0ELb0ES3_N6thrust23THRUST_200600_302600_NS6detail15normal_iteratorINS9_10device_ptrIxEEEENS9_16discard_iteratorINS9_11use_defaultEEEx11max_functorIxExEEDaPvRmT3_T4_T5_mT6_P12ihipStream_tbENKUlT_T0_E_clISt17integral_constantIbLb1EESW_IbLb0EEEEDaSS_ST_EUlSS_E_NS1_11comp_targetILNS1_3genE0ELNS1_11target_archE4294967295ELNS1_3gpuE0ELNS1_3repE0EEENS1_30default_config_static_selectorELNS0_4arch9wavefront6targetE1EEEvT1_
	.globl	_ZN7rocprim17ROCPRIM_400000_NS6detail17trampoline_kernelINS0_14default_configENS1_20scan_config_selectorIxEEZZNS1_9scan_implILNS1_25lookback_scan_determinismE0ELb0ELb0ES3_N6thrust23THRUST_200600_302600_NS6detail15normal_iteratorINS9_10device_ptrIxEEEENS9_16discard_iteratorINS9_11use_defaultEEEx11max_functorIxExEEDaPvRmT3_T4_T5_mT6_P12ihipStream_tbENKUlT_T0_E_clISt17integral_constantIbLb1EESW_IbLb0EEEEDaSS_ST_EUlSS_E_NS1_11comp_targetILNS1_3genE0ELNS1_11target_archE4294967295ELNS1_3gpuE0ELNS1_3repE0EEENS1_30default_config_static_selectorELNS0_4arch9wavefront6targetE1EEEvT1_
	.p2align	8
	.type	_ZN7rocprim17ROCPRIM_400000_NS6detail17trampoline_kernelINS0_14default_configENS1_20scan_config_selectorIxEEZZNS1_9scan_implILNS1_25lookback_scan_determinismE0ELb0ELb0ES3_N6thrust23THRUST_200600_302600_NS6detail15normal_iteratorINS9_10device_ptrIxEEEENS9_16discard_iteratorINS9_11use_defaultEEEx11max_functorIxExEEDaPvRmT3_T4_T5_mT6_P12ihipStream_tbENKUlT_T0_E_clISt17integral_constantIbLb1EESW_IbLb0EEEEDaSS_ST_EUlSS_E_NS1_11comp_targetILNS1_3genE0ELNS1_11target_archE4294967295ELNS1_3gpuE0ELNS1_3repE0EEENS1_30default_config_static_selectorELNS0_4arch9wavefront6targetE1EEEvT1_,@function
_ZN7rocprim17ROCPRIM_400000_NS6detail17trampoline_kernelINS0_14default_configENS1_20scan_config_selectorIxEEZZNS1_9scan_implILNS1_25lookback_scan_determinismE0ELb0ELb0ES3_N6thrust23THRUST_200600_302600_NS6detail15normal_iteratorINS9_10device_ptrIxEEEENS9_16discard_iteratorINS9_11use_defaultEEEx11max_functorIxExEEDaPvRmT3_T4_T5_mT6_P12ihipStream_tbENKUlT_T0_E_clISt17integral_constantIbLb1EESW_IbLb0EEEEDaSS_ST_EUlSS_E_NS1_11comp_targetILNS1_3genE0ELNS1_11target_archE4294967295ELNS1_3gpuE0ELNS1_3repE0EEENS1_30default_config_static_selectorELNS0_4arch9wavefront6targetE1EEEvT1_: ; @_ZN7rocprim17ROCPRIM_400000_NS6detail17trampoline_kernelINS0_14default_configENS1_20scan_config_selectorIxEEZZNS1_9scan_implILNS1_25lookback_scan_determinismE0ELb0ELb0ES3_N6thrust23THRUST_200600_302600_NS6detail15normal_iteratorINS9_10device_ptrIxEEEENS9_16discard_iteratorINS9_11use_defaultEEEx11max_functorIxExEEDaPvRmT3_T4_T5_mT6_P12ihipStream_tbENKUlT_T0_E_clISt17integral_constantIbLb1EESW_IbLb0EEEEDaSS_ST_EUlSS_E_NS1_11comp_targetILNS1_3genE0ELNS1_11target_archE4294967295ELNS1_3gpuE0ELNS1_3repE0EEENS1_30default_config_static_selectorELNS0_4arch9wavefront6targetE1EEEvT1_
; %bb.0:
	.section	.rodata,"a",@progbits
	.p2align	6, 0x0
	.amdhsa_kernel _ZN7rocprim17ROCPRIM_400000_NS6detail17trampoline_kernelINS0_14default_configENS1_20scan_config_selectorIxEEZZNS1_9scan_implILNS1_25lookback_scan_determinismE0ELb0ELb0ES3_N6thrust23THRUST_200600_302600_NS6detail15normal_iteratorINS9_10device_ptrIxEEEENS9_16discard_iteratorINS9_11use_defaultEEEx11max_functorIxExEEDaPvRmT3_T4_T5_mT6_P12ihipStream_tbENKUlT_T0_E_clISt17integral_constantIbLb1EESW_IbLb0EEEEDaSS_ST_EUlSS_E_NS1_11comp_targetILNS1_3genE0ELNS1_11target_archE4294967295ELNS1_3gpuE0ELNS1_3repE0EEENS1_30default_config_static_selectorELNS0_4arch9wavefront6targetE1EEEvT1_
		.amdhsa_group_segment_fixed_size 0
		.amdhsa_private_segment_fixed_size 0
		.amdhsa_kernarg_size 112
		.amdhsa_user_sgpr_count 6
		.amdhsa_user_sgpr_private_segment_buffer 1
		.amdhsa_user_sgpr_dispatch_ptr 0
		.amdhsa_user_sgpr_queue_ptr 0
		.amdhsa_user_sgpr_kernarg_segment_ptr 1
		.amdhsa_user_sgpr_dispatch_id 0
		.amdhsa_user_sgpr_flat_scratch_init 0
		.amdhsa_user_sgpr_kernarg_preload_length 0
		.amdhsa_user_sgpr_kernarg_preload_offset 0
		.amdhsa_user_sgpr_private_segment_size 0
		.amdhsa_uses_dynamic_stack 0
		.amdhsa_system_sgpr_private_segment_wavefront_offset 0
		.amdhsa_system_sgpr_workgroup_id_x 1
		.amdhsa_system_sgpr_workgroup_id_y 0
		.amdhsa_system_sgpr_workgroup_id_z 0
		.amdhsa_system_sgpr_workgroup_info 0
		.amdhsa_system_vgpr_workitem_id 0
		.amdhsa_next_free_vgpr 1
		.amdhsa_next_free_sgpr 0
		.amdhsa_accum_offset 4
		.amdhsa_reserve_vcc 0
		.amdhsa_reserve_flat_scratch 0
		.amdhsa_float_round_mode_32 0
		.amdhsa_float_round_mode_16_64 0
		.amdhsa_float_denorm_mode_32 3
		.amdhsa_float_denorm_mode_16_64 3
		.amdhsa_dx10_clamp 1
		.amdhsa_ieee_mode 1
		.amdhsa_fp16_overflow 0
		.amdhsa_tg_split 0
		.amdhsa_exception_fp_ieee_invalid_op 0
		.amdhsa_exception_fp_denorm_src 0
		.amdhsa_exception_fp_ieee_div_zero 0
		.amdhsa_exception_fp_ieee_overflow 0
		.amdhsa_exception_fp_ieee_underflow 0
		.amdhsa_exception_fp_ieee_inexact 0
		.amdhsa_exception_int_div_zero 0
	.end_amdhsa_kernel
	.section	.text._ZN7rocprim17ROCPRIM_400000_NS6detail17trampoline_kernelINS0_14default_configENS1_20scan_config_selectorIxEEZZNS1_9scan_implILNS1_25lookback_scan_determinismE0ELb0ELb0ES3_N6thrust23THRUST_200600_302600_NS6detail15normal_iteratorINS9_10device_ptrIxEEEENS9_16discard_iteratorINS9_11use_defaultEEEx11max_functorIxExEEDaPvRmT3_T4_T5_mT6_P12ihipStream_tbENKUlT_T0_E_clISt17integral_constantIbLb1EESW_IbLb0EEEEDaSS_ST_EUlSS_E_NS1_11comp_targetILNS1_3genE0ELNS1_11target_archE4294967295ELNS1_3gpuE0ELNS1_3repE0EEENS1_30default_config_static_selectorELNS0_4arch9wavefront6targetE1EEEvT1_,"axG",@progbits,_ZN7rocprim17ROCPRIM_400000_NS6detail17trampoline_kernelINS0_14default_configENS1_20scan_config_selectorIxEEZZNS1_9scan_implILNS1_25lookback_scan_determinismE0ELb0ELb0ES3_N6thrust23THRUST_200600_302600_NS6detail15normal_iteratorINS9_10device_ptrIxEEEENS9_16discard_iteratorINS9_11use_defaultEEEx11max_functorIxExEEDaPvRmT3_T4_T5_mT6_P12ihipStream_tbENKUlT_T0_E_clISt17integral_constantIbLb1EESW_IbLb0EEEEDaSS_ST_EUlSS_E_NS1_11comp_targetILNS1_3genE0ELNS1_11target_archE4294967295ELNS1_3gpuE0ELNS1_3repE0EEENS1_30default_config_static_selectorELNS0_4arch9wavefront6targetE1EEEvT1_,comdat
.Lfunc_end3746:
	.size	_ZN7rocprim17ROCPRIM_400000_NS6detail17trampoline_kernelINS0_14default_configENS1_20scan_config_selectorIxEEZZNS1_9scan_implILNS1_25lookback_scan_determinismE0ELb0ELb0ES3_N6thrust23THRUST_200600_302600_NS6detail15normal_iteratorINS9_10device_ptrIxEEEENS9_16discard_iteratorINS9_11use_defaultEEEx11max_functorIxExEEDaPvRmT3_T4_T5_mT6_P12ihipStream_tbENKUlT_T0_E_clISt17integral_constantIbLb1EESW_IbLb0EEEEDaSS_ST_EUlSS_E_NS1_11comp_targetILNS1_3genE0ELNS1_11target_archE4294967295ELNS1_3gpuE0ELNS1_3repE0EEENS1_30default_config_static_selectorELNS0_4arch9wavefront6targetE1EEEvT1_, .Lfunc_end3746-_ZN7rocprim17ROCPRIM_400000_NS6detail17trampoline_kernelINS0_14default_configENS1_20scan_config_selectorIxEEZZNS1_9scan_implILNS1_25lookback_scan_determinismE0ELb0ELb0ES3_N6thrust23THRUST_200600_302600_NS6detail15normal_iteratorINS9_10device_ptrIxEEEENS9_16discard_iteratorINS9_11use_defaultEEEx11max_functorIxExEEDaPvRmT3_T4_T5_mT6_P12ihipStream_tbENKUlT_T0_E_clISt17integral_constantIbLb1EESW_IbLb0EEEEDaSS_ST_EUlSS_E_NS1_11comp_targetILNS1_3genE0ELNS1_11target_archE4294967295ELNS1_3gpuE0ELNS1_3repE0EEENS1_30default_config_static_selectorELNS0_4arch9wavefront6targetE1EEEvT1_
                                        ; -- End function
	.section	.AMDGPU.csdata,"",@progbits
; Kernel info:
; codeLenInByte = 0
; NumSgprs: 4
; NumVgprs: 0
; NumAgprs: 0
; TotalNumVgprs: 0
; ScratchSize: 0
; MemoryBound: 0
; FloatMode: 240
; IeeeMode: 1
; LDSByteSize: 0 bytes/workgroup (compile time only)
; SGPRBlocks: 0
; VGPRBlocks: 0
; NumSGPRsForWavesPerEU: 4
; NumVGPRsForWavesPerEU: 1
; AccumOffset: 4
; Occupancy: 8
; WaveLimiterHint : 0
; COMPUTE_PGM_RSRC2:SCRATCH_EN: 0
; COMPUTE_PGM_RSRC2:USER_SGPR: 6
; COMPUTE_PGM_RSRC2:TRAP_HANDLER: 0
; COMPUTE_PGM_RSRC2:TGID_X_EN: 1
; COMPUTE_PGM_RSRC2:TGID_Y_EN: 0
; COMPUTE_PGM_RSRC2:TGID_Z_EN: 0
; COMPUTE_PGM_RSRC2:TIDIG_COMP_CNT: 0
; COMPUTE_PGM_RSRC3_GFX90A:ACCUM_OFFSET: 0
; COMPUTE_PGM_RSRC3_GFX90A:TG_SPLIT: 0
	.section	.text._ZN7rocprim17ROCPRIM_400000_NS6detail17trampoline_kernelINS0_14default_configENS1_20scan_config_selectorIxEEZZNS1_9scan_implILNS1_25lookback_scan_determinismE0ELb0ELb0ES3_N6thrust23THRUST_200600_302600_NS6detail15normal_iteratorINS9_10device_ptrIxEEEENS9_16discard_iteratorINS9_11use_defaultEEEx11max_functorIxExEEDaPvRmT3_T4_T5_mT6_P12ihipStream_tbENKUlT_T0_E_clISt17integral_constantIbLb1EESW_IbLb0EEEEDaSS_ST_EUlSS_E_NS1_11comp_targetILNS1_3genE5ELNS1_11target_archE942ELNS1_3gpuE9ELNS1_3repE0EEENS1_30default_config_static_selectorELNS0_4arch9wavefront6targetE1EEEvT1_,"axG",@progbits,_ZN7rocprim17ROCPRIM_400000_NS6detail17trampoline_kernelINS0_14default_configENS1_20scan_config_selectorIxEEZZNS1_9scan_implILNS1_25lookback_scan_determinismE0ELb0ELb0ES3_N6thrust23THRUST_200600_302600_NS6detail15normal_iteratorINS9_10device_ptrIxEEEENS9_16discard_iteratorINS9_11use_defaultEEEx11max_functorIxExEEDaPvRmT3_T4_T5_mT6_P12ihipStream_tbENKUlT_T0_E_clISt17integral_constantIbLb1EESW_IbLb0EEEEDaSS_ST_EUlSS_E_NS1_11comp_targetILNS1_3genE5ELNS1_11target_archE942ELNS1_3gpuE9ELNS1_3repE0EEENS1_30default_config_static_selectorELNS0_4arch9wavefront6targetE1EEEvT1_,comdat
	.protected	_ZN7rocprim17ROCPRIM_400000_NS6detail17trampoline_kernelINS0_14default_configENS1_20scan_config_selectorIxEEZZNS1_9scan_implILNS1_25lookback_scan_determinismE0ELb0ELb0ES3_N6thrust23THRUST_200600_302600_NS6detail15normal_iteratorINS9_10device_ptrIxEEEENS9_16discard_iteratorINS9_11use_defaultEEEx11max_functorIxExEEDaPvRmT3_T4_T5_mT6_P12ihipStream_tbENKUlT_T0_E_clISt17integral_constantIbLb1EESW_IbLb0EEEEDaSS_ST_EUlSS_E_NS1_11comp_targetILNS1_3genE5ELNS1_11target_archE942ELNS1_3gpuE9ELNS1_3repE0EEENS1_30default_config_static_selectorELNS0_4arch9wavefront6targetE1EEEvT1_ ; -- Begin function _ZN7rocprim17ROCPRIM_400000_NS6detail17trampoline_kernelINS0_14default_configENS1_20scan_config_selectorIxEEZZNS1_9scan_implILNS1_25lookback_scan_determinismE0ELb0ELb0ES3_N6thrust23THRUST_200600_302600_NS6detail15normal_iteratorINS9_10device_ptrIxEEEENS9_16discard_iteratorINS9_11use_defaultEEEx11max_functorIxExEEDaPvRmT3_T4_T5_mT6_P12ihipStream_tbENKUlT_T0_E_clISt17integral_constantIbLb1EESW_IbLb0EEEEDaSS_ST_EUlSS_E_NS1_11comp_targetILNS1_3genE5ELNS1_11target_archE942ELNS1_3gpuE9ELNS1_3repE0EEENS1_30default_config_static_selectorELNS0_4arch9wavefront6targetE1EEEvT1_
	.globl	_ZN7rocprim17ROCPRIM_400000_NS6detail17trampoline_kernelINS0_14default_configENS1_20scan_config_selectorIxEEZZNS1_9scan_implILNS1_25lookback_scan_determinismE0ELb0ELb0ES3_N6thrust23THRUST_200600_302600_NS6detail15normal_iteratorINS9_10device_ptrIxEEEENS9_16discard_iteratorINS9_11use_defaultEEEx11max_functorIxExEEDaPvRmT3_T4_T5_mT6_P12ihipStream_tbENKUlT_T0_E_clISt17integral_constantIbLb1EESW_IbLb0EEEEDaSS_ST_EUlSS_E_NS1_11comp_targetILNS1_3genE5ELNS1_11target_archE942ELNS1_3gpuE9ELNS1_3repE0EEENS1_30default_config_static_selectorELNS0_4arch9wavefront6targetE1EEEvT1_
	.p2align	8
	.type	_ZN7rocprim17ROCPRIM_400000_NS6detail17trampoline_kernelINS0_14default_configENS1_20scan_config_selectorIxEEZZNS1_9scan_implILNS1_25lookback_scan_determinismE0ELb0ELb0ES3_N6thrust23THRUST_200600_302600_NS6detail15normal_iteratorINS9_10device_ptrIxEEEENS9_16discard_iteratorINS9_11use_defaultEEEx11max_functorIxExEEDaPvRmT3_T4_T5_mT6_P12ihipStream_tbENKUlT_T0_E_clISt17integral_constantIbLb1EESW_IbLb0EEEEDaSS_ST_EUlSS_E_NS1_11comp_targetILNS1_3genE5ELNS1_11target_archE942ELNS1_3gpuE9ELNS1_3repE0EEENS1_30default_config_static_selectorELNS0_4arch9wavefront6targetE1EEEvT1_,@function
_ZN7rocprim17ROCPRIM_400000_NS6detail17trampoline_kernelINS0_14default_configENS1_20scan_config_selectorIxEEZZNS1_9scan_implILNS1_25lookback_scan_determinismE0ELb0ELb0ES3_N6thrust23THRUST_200600_302600_NS6detail15normal_iteratorINS9_10device_ptrIxEEEENS9_16discard_iteratorINS9_11use_defaultEEEx11max_functorIxExEEDaPvRmT3_T4_T5_mT6_P12ihipStream_tbENKUlT_T0_E_clISt17integral_constantIbLb1EESW_IbLb0EEEEDaSS_ST_EUlSS_E_NS1_11comp_targetILNS1_3genE5ELNS1_11target_archE942ELNS1_3gpuE9ELNS1_3repE0EEENS1_30default_config_static_selectorELNS0_4arch9wavefront6targetE1EEEvT1_: ; @_ZN7rocprim17ROCPRIM_400000_NS6detail17trampoline_kernelINS0_14default_configENS1_20scan_config_selectorIxEEZZNS1_9scan_implILNS1_25lookback_scan_determinismE0ELb0ELb0ES3_N6thrust23THRUST_200600_302600_NS6detail15normal_iteratorINS9_10device_ptrIxEEEENS9_16discard_iteratorINS9_11use_defaultEEEx11max_functorIxExEEDaPvRmT3_T4_T5_mT6_P12ihipStream_tbENKUlT_T0_E_clISt17integral_constantIbLb1EESW_IbLb0EEEEDaSS_ST_EUlSS_E_NS1_11comp_targetILNS1_3genE5ELNS1_11target_archE942ELNS1_3gpuE9ELNS1_3repE0EEENS1_30default_config_static_selectorELNS0_4arch9wavefront6targetE1EEEvT1_
; %bb.0:
	.section	.rodata,"a",@progbits
	.p2align	6, 0x0
	.amdhsa_kernel _ZN7rocprim17ROCPRIM_400000_NS6detail17trampoline_kernelINS0_14default_configENS1_20scan_config_selectorIxEEZZNS1_9scan_implILNS1_25lookback_scan_determinismE0ELb0ELb0ES3_N6thrust23THRUST_200600_302600_NS6detail15normal_iteratorINS9_10device_ptrIxEEEENS9_16discard_iteratorINS9_11use_defaultEEEx11max_functorIxExEEDaPvRmT3_T4_T5_mT6_P12ihipStream_tbENKUlT_T0_E_clISt17integral_constantIbLb1EESW_IbLb0EEEEDaSS_ST_EUlSS_E_NS1_11comp_targetILNS1_3genE5ELNS1_11target_archE942ELNS1_3gpuE9ELNS1_3repE0EEENS1_30default_config_static_selectorELNS0_4arch9wavefront6targetE1EEEvT1_
		.amdhsa_group_segment_fixed_size 0
		.amdhsa_private_segment_fixed_size 0
		.amdhsa_kernarg_size 112
		.amdhsa_user_sgpr_count 6
		.amdhsa_user_sgpr_private_segment_buffer 1
		.amdhsa_user_sgpr_dispatch_ptr 0
		.amdhsa_user_sgpr_queue_ptr 0
		.amdhsa_user_sgpr_kernarg_segment_ptr 1
		.amdhsa_user_sgpr_dispatch_id 0
		.amdhsa_user_sgpr_flat_scratch_init 0
		.amdhsa_user_sgpr_kernarg_preload_length 0
		.amdhsa_user_sgpr_kernarg_preload_offset 0
		.amdhsa_user_sgpr_private_segment_size 0
		.amdhsa_uses_dynamic_stack 0
		.amdhsa_system_sgpr_private_segment_wavefront_offset 0
		.amdhsa_system_sgpr_workgroup_id_x 1
		.amdhsa_system_sgpr_workgroup_id_y 0
		.amdhsa_system_sgpr_workgroup_id_z 0
		.amdhsa_system_sgpr_workgroup_info 0
		.amdhsa_system_vgpr_workitem_id 0
		.amdhsa_next_free_vgpr 1
		.amdhsa_next_free_sgpr 0
		.amdhsa_accum_offset 4
		.amdhsa_reserve_vcc 0
		.amdhsa_reserve_flat_scratch 0
		.amdhsa_float_round_mode_32 0
		.amdhsa_float_round_mode_16_64 0
		.amdhsa_float_denorm_mode_32 3
		.amdhsa_float_denorm_mode_16_64 3
		.amdhsa_dx10_clamp 1
		.amdhsa_ieee_mode 1
		.amdhsa_fp16_overflow 0
		.amdhsa_tg_split 0
		.amdhsa_exception_fp_ieee_invalid_op 0
		.amdhsa_exception_fp_denorm_src 0
		.amdhsa_exception_fp_ieee_div_zero 0
		.amdhsa_exception_fp_ieee_overflow 0
		.amdhsa_exception_fp_ieee_underflow 0
		.amdhsa_exception_fp_ieee_inexact 0
		.amdhsa_exception_int_div_zero 0
	.end_amdhsa_kernel
	.section	.text._ZN7rocprim17ROCPRIM_400000_NS6detail17trampoline_kernelINS0_14default_configENS1_20scan_config_selectorIxEEZZNS1_9scan_implILNS1_25lookback_scan_determinismE0ELb0ELb0ES3_N6thrust23THRUST_200600_302600_NS6detail15normal_iteratorINS9_10device_ptrIxEEEENS9_16discard_iteratorINS9_11use_defaultEEEx11max_functorIxExEEDaPvRmT3_T4_T5_mT6_P12ihipStream_tbENKUlT_T0_E_clISt17integral_constantIbLb1EESW_IbLb0EEEEDaSS_ST_EUlSS_E_NS1_11comp_targetILNS1_3genE5ELNS1_11target_archE942ELNS1_3gpuE9ELNS1_3repE0EEENS1_30default_config_static_selectorELNS0_4arch9wavefront6targetE1EEEvT1_,"axG",@progbits,_ZN7rocprim17ROCPRIM_400000_NS6detail17trampoline_kernelINS0_14default_configENS1_20scan_config_selectorIxEEZZNS1_9scan_implILNS1_25lookback_scan_determinismE0ELb0ELb0ES3_N6thrust23THRUST_200600_302600_NS6detail15normal_iteratorINS9_10device_ptrIxEEEENS9_16discard_iteratorINS9_11use_defaultEEEx11max_functorIxExEEDaPvRmT3_T4_T5_mT6_P12ihipStream_tbENKUlT_T0_E_clISt17integral_constantIbLb1EESW_IbLb0EEEEDaSS_ST_EUlSS_E_NS1_11comp_targetILNS1_3genE5ELNS1_11target_archE942ELNS1_3gpuE9ELNS1_3repE0EEENS1_30default_config_static_selectorELNS0_4arch9wavefront6targetE1EEEvT1_,comdat
.Lfunc_end3747:
	.size	_ZN7rocprim17ROCPRIM_400000_NS6detail17trampoline_kernelINS0_14default_configENS1_20scan_config_selectorIxEEZZNS1_9scan_implILNS1_25lookback_scan_determinismE0ELb0ELb0ES3_N6thrust23THRUST_200600_302600_NS6detail15normal_iteratorINS9_10device_ptrIxEEEENS9_16discard_iteratorINS9_11use_defaultEEEx11max_functorIxExEEDaPvRmT3_T4_T5_mT6_P12ihipStream_tbENKUlT_T0_E_clISt17integral_constantIbLb1EESW_IbLb0EEEEDaSS_ST_EUlSS_E_NS1_11comp_targetILNS1_3genE5ELNS1_11target_archE942ELNS1_3gpuE9ELNS1_3repE0EEENS1_30default_config_static_selectorELNS0_4arch9wavefront6targetE1EEEvT1_, .Lfunc_end3747-_ZN7rocprim17ROCPRIM_400000_NS6detail17trampoline_kernelINS0_14default_configENS1_20scan_config_selectorIxEEZZNS1_9scan_implILNS1_25lookback_scan_determinismE0ELb0ELb0ES3_N6thrust23THRUST_200600_302600_NS6detail15normal_iteratorINS9_10device_ptrIxEEEENS9_16discard_iteratorINS9_11use_defaultEEEx11max_functorIxExEEDaPvRmT3_T4_T5_mT6_P12ihipStream_tbENKUlT_T0_E_clISt17integral_constantIbLb1EESW_IbLb0EEEEDaSS_ST_EUlSS_E_NS1_11comp_targetILNS1_3genE5ELNS1_11target_archE942ELNS1_3gpuE9ELNS1_3repE0EEENS1_30default_config_static_selectorELNS0_4arch9wavefront6targetE1EEEvT1_
                                        ; -- End function
	.section	.AMDGPU.csdata,"",@progbits
; Kernel info:
; codeLenInByte = 0
; NumSgprs: 4
; NumVgprs: 0
; NumAgprs: 0
; TotalNumVgprs: 0
; ScratchSize: 0
; MemoryBound: 0
; FloatMode: 240
; IeeeMode: 1
; LDSByteSize: 0 bytes/workgroup (compile time only)
; SGPRBlocks: 0
; VGPRBlocks: 0
; NumSGPRsForWavesPerEU: 4
; NumVGPRsForWavesPerEU: 1
; AccumOffset: 4
; Occupancy: 8
; WaveLimiterHint : 0
; COMPUTE_PGM_RSRC2:SCRATCH_EN: 0
; COMPUTE_PGM_RSRC2:USER_SGPR: 6
; COMPUTE_PGM_RSRC2:TRAP_HANDLER: 0
; COMPUTE_PGM_RSRC2:TGID_X_EN: 1
; COMPUTE_PGM_RSRC2:TGID_Y_EN: 0
; COMPUTE_PGM_RSRC2:TGID_Z_EN: 0
; COMPUTE_PGM_RSRC2:TIDIG_COMP_CNT: 0
; COMPUTE_PGM_RSRC3_GFX90A:ACCUM_OFFSET: 0
; COMPUTE_PGM_RSRC3_GFX90A:TG_SPLIT: 0
	.section	.text._ZN7rocprim17ROCPRIM_400000_NS6detail17trampoline_kernelINS0_14default_configENS1_20scan_config_selectorIxEEZZNS1_9scan_implILNS1_25lookback_scan_determinismE0ELb0ELb0ES3_N6thrust23THRUST_200600_302600_NS6detail15normal_iteratorINS9_10device_ptrIxEEEENS9_16discard_iteratorINS9_11use_defaultEEEx11max_functorIxExEEDaPvRmT3_T4_T5_mT6_P12ihipStream_tbENKUlT_T0_E_clISt17integral_constantIbLb1EESW_IbLb0EEEEDaSS_ST_EUlSS_E_NS1_11comp_targetILNS1_3genE4ELNS1_11target_archE910ELNS1_3gpuE8ELNS1_3repE0EEENS1_30default_config_static_selectorELNS0_4arch9wavefront6targetE1EEEvT1_,"axG",@progbits,_ZN7rocprim17ROCPRIM_400000_NS6detail17trampoline_kernelINS0_14default_configENS1_20scan_config_selectorIxEEZZNS1_9scan_implILNS1_25lookback_scan_determinismE0ELb0ELb0ES3_N6thrust23THRUST_200600_302600_NS6detail15normal_iteratorINS9_10device_ptrIxEEEENS9_16discard_iteratorINS9_11use_defaultEEEx11max_functorIxExEEDaPvRmT3_T4_T5_mT6_P12ihipStream_tbENKUlT_T0_E_clISt17integral_constantIbLb1EESW_IbLb0EEEEDaSS_ST_EUlSS_E_NS1_11comp_targetILNS1_3genE4ELNS1_11target_archE910ELNS1_3gpuE8ELNS1_3repE0EEENS1_30default_config_static_selectorELNS0_4arch9wavefront6targetE1EEEvT1_,comdat
	.protected	_ZN7rocprim17ROCPRIM_400000_NS6detail17trampoline_kernelINS0_14default_configENS1_20scan_config_selectorIxEEZZNS1_9scan_implILNS1_25lookback_scan_determinismE0ELb0ELb0ES3_N6thrust23THRUST_200600_302600_NS6detail15normal_iteratorINS9_10device_ptrIxEEEENS9_16discard_iteratorINS9_11use_defaultEEEx11max_functorIxExEEDaPvRmT3_T4_T5_mT6_P12ihipStream_tbENKUlT_T0_E_clISt17integral_constantIbLb1EESW_IbLb0EEEEDaSS_ST_EUlSS_E_NS1_11comp_targetILNS1_3genE4ELNS1_11target_archE910ELNS1_3gpuE8ELNS1_3repE0EEENS1_30default_config_static_selectorELNS0_4arch9wavefront6targetE1EEEvT1_ ; -- Begin function _ZN7rocprim17ROCPRIM_400000_NS6detail17trampoline_kernelINS0_14default_configENS1_20scan_config_selectorIxEEZZNS1_9scan_implILNS1_25lookback_scan_determinismE0ELb0ELb0ES3_N6thrust23THRUST_200600_302600_NS6detail15normal_iteratorINS9_10device_ptrIxEEEENS9_16discard_iteratorINS9_11use_defaultEEEx11max_functorIxExEEDaPvRmT3_T4_T5_mT6_P12ihipStream_tbENKUlT_T0_E_clISt17integral_constantIbLb1EESW_IbLb0EEEEDaSS_ST_EUlSS_E_NS1_11comp_targetILNS1_3genE4ELNS1_11target_archE910ELNS1_3gpuE8ELNS1_3repE0EEENS1_30default_config_static_selectorELNS0_4arch9wavefront6targetE1EEEvT1_
	.globl	_ZN7rocprim17ROCPRIM_400000_NS6detail17trampoline_kernelINS0_14default_configENS1_20scan_config_selectorIxEEZZNS1_9scan_implILNS1_25lookback_scan_determinismE0ELb0ELb0ES3_N6thrust23THRUST_200600_302600_NS6detail15normal_iteratorINS9_10device_ptrIxEEEENS9_16discard_iteratorINS9_11use_defaultEEEx11max_functorIxExEEDaPvRmT3_T4_T5_mT6_P12ihipStream_tbENKUlT_T0_E_clISt17integral_constantIbLb1EESW_IbLb0EEEEDaSS_ST_EUlSS_E_NS1_11comp_targetILNS1_3genE4ELNS1_11target_archE910ELNS1_3gpuE8ELNS1_3repE0EEENS1_30default_config_static_selectorELNS0_4arch9wavefront6targetE1EEEvT1_
	.p2align	8
	.type	_ZN7rocprim17ROCPRIM_400000_NS6detail17trampoline_kernelINS0_14default_configENS1_20scan_config_selectorIxEEZZNS1_9scan_implILNS1_25lookback_scan_determinismE0ELb0ELb0ES3_N6thrust23THRUST_200600_302600_NS6detail15normal_iteratorINS9_10device_ptrIxEEEENS9_16discard_iteratorINS9_11use_defaultEEEx11max_functorIxExEEDaPvRmT3_T4_T5_mT6_P12ihipStream_tbENKUlT_T0_E_clISt17integral_constantIbLb1EESW_IbLb0EEEEDaSS_ST_EUlSS_E_NS1_11comp_targetILNS1_3genE4ELNS1_11target_archE910ELNS1_3gpuE8ELNS1_3repE0EEENS1_30default_config_static_selectorELNS0_4arch9wavefront6targetE1EEEvT1_,@function
_ZN7rocprim17ROCPRIM_400000_NS6detail17trampoline_kernelINS0_14default_configENS1_20scan_config_selectorIxEEZZNS1_9scan_implILNS1_25lookback_scan_determinismE0ELb0ELb0ES3_N6thrust23THRUST_200600_302600_NS6detail15normal_iteratorINS9_10device_ptrIxEEEENS9_16discard_iteratorINS9_11use_defaultEEEx11max_functorIxExEEDaPvRmT3_T4_T5_mT6_P12ihipStream_tbENKUlT_T0_E_clISt17integral_constantIbLb1EESW_IbLb0EEEEDaSS_ST_EUlSS_E_NS1_11comp_targetILNS1_3genE4ELNS1_11target_archE910ELNS1_3gpuE8ELNS1_3repE0EEENS1_30default_config_static_selectorELNS0_4arch9wavefront6targetE1EEEvT1_: ; @_ZN7rocprim17ROCPRIM_400000_NS6detail17trampoline_kernelINS0_14default_configENS1_20scan_config_selectorIxEEZZNS1_9scan_implILNS1_25lookback_scan_determinismE0ELb0ELb0ES3_N6thrust23THRUST_200600_302600_NS6detail15normal_iteratorINS9_10device_ptrIxEEEENS9_16discard_iteratorINS9_11use_defaultEEEx11max_functorIxExEEDaPvRmT3_T4_T5_mT6_P12ihipStream_tbENKUlT_T0_E_clISt17integral_constantIbLb1EESW_IbLb0EEEEDaSS_ST_EUlSS_E_NS1_11comp_targetILNS1_3genE4ELNS1_11target_archE910ELNS1_3gpuE8ELNS1_3repE0EEENS1_30default_config_static_selectorELNS0_4arch9wavefront6targetE1EEEvT1_
; %bb.0:
	s_load_dwordx4 s[0:3], s[4:5], 0x0
	s_load_dwordx2 s[8:9], s[4:5], 0x20
	s_load_dword s7, s[4:5], 0x40
	v_lshlrev_b32_e32 v1, 3, v0
	s_waitcnt lgkmcnt(0)
	s_lshl_b64 s[2:3], s[2:3], 3
	s_add_u32 s2, s0, s2
	s_addc_u32 s3, s1, s3
	s_add_i32 s7, s7, -1
	s_mul_i32 s10, s7, 0x380
	s_sub_u32 s22, s8, s10
	s_subb_u32 s23, s9, 0
	s_mul_i32 s0, s6, 0x380
	s_mov_b32 s1, 0
	s_cmp_lg_u32 s6, s7
	s_cselect_b64 s[16:17], -1, 0
	s_lshl_b64 s[0:1], s[0:1], 3
	s_add_u32 s0, s2, s0
	s_addc_u32 s1, s3, s1
	s_mov_b64 s[2:3], -1
	s_and_b64 vcc, exec, s[16:17]
	s_cbranch_vccz .LBB3748_2
; %bb.1:
	v_mov_b32_e32 v3, s1
	v_add_co_u32_e32 v2, vcc, s0, v1
	v_addc_co_u32_e32 v3, vcc, 0, v3, vcc
	flat_load_dwordx2 v[4:5], v[2:3]
	flat_load_dwordx2 v[6:7], v[2:3] offset:1024
	flat_load_dwordx2 v[8:9], v[2:3] offset:2048
	flat_load_dwordx2 v[10:11], v[2:3] offset:3072
	v_add_co_u32_e32 v2, vcc, 0x1000, v2
	v_addc_co_u32_e32 v3, vcc, 0, v3, vcc
	flat_load_dwordx2 v[12:13], v[2:3]
	flat_load_dwordx2 v[14:15], v[2:3] offset:1024
	flat_load_dwordx2 v[16:17], v[2:3] offset:2048
	s_mov_b64 s[2:3], 0
	s_waitcnt vmcnt(0) lgkmcnt(0)
	ds_write2st64_b64 v1, v[4:5], v[6:7] offset1:2
	ds_write2st64_b64 v1, v[8:9], v[10:11] offset0:4 offset1:6
	ds_write2st64_b64 v1, v[12:13], v[14:15] offset0:8 offset1:10
	ds_write_b64 v1, v[16:17] offset:6144
	s_waitcnt lgkmcnt(0)
	s_barrier
.LBB3748_2:
	s_load_dwordx2 s[18:19], s[4:5], 0x38
	s_andn2_b64 vcc, exec, s[2:3]
	s_cbranch_vccnz .LBB3748_18
; %bb.3:
	v_pk_mov_b32 v[2:3], s[0:1], s[0:1] op_sel:[0,1]
	flat_load_dwordx2 v[2:3], v[2:3]
	v_cmp_gt_u32_e32 vcc, s22, v0
	s_waitcnt vmcnt(0) lgkmcnt(0)
	v_mov_b32_e32 v4, v2
	v_mov_b32_e32 v5, v3
	;; [unrolled: 1-line block ×10, first 2 shown]
	v_pk_mov_b32 v[18:19], v[14:15], v[14:15] op_sel:[0,1]
	v_pk_mov_b32 v[16:17], v[12:13], v[12:13] op_sel:[0,1]
	;; [unrolled: 1-line block ×8, first 2 shown]
	s_and_saveexec_b64 s[2:3], vcc
	s_cbranch_execz .LBB3748_5
; %bb.4:
	v_mov_b32_e32 v5, s1
	v_add_co_u32_e32 v4, vcc, s0, v1
	v_addc_co_u32_e32 v5, vcc, 0, v5, vcc
	flat_load_dwordx2 v[20:21], v[4:5]
	v_mov_b32_e32 v4, v2
	v_mov_b32_e32 v5, v3
	v_mov_b32_e32 v6, v2
	v_mov_b32_e32 v7, v3
	v_mov_b32_e32 v8, v2
	v_mov_b32_e32 v9, v3
	v_mov_b32_e32 v10, v2
	v_mov_b32_e32 v11, v3
	v_mov_b32_e32 v12, v2
	v_mov_b32_e32 v13, v3
	v_pk_mov_b32 v[18:19], v[14:15], v[14:15] op_sel:[0,1]
	v_pk_mov_b32 v[16:17], v[12:13], v[12:13] op_sel:[0,1]
	;; [unrolled: 1-line block ×8, first 2 shown]
	s_waitcnt vmcnt(0) lgkmcnt(0)
	v_pk_mov_b32 v[2:3], v[20:21], v[20:21] op_sel:[0,1]
.LBB3748_5:
	s_or_b64 exec, exec, s[2:3]
	v_or_b32_e32 v4, 0x80, v0
	v_cmp_gt_u32_e32 vcc, s22, v4
	s_and_saveexec_b64 s[2:3], vcc
	s_cbranch_execz .LBB3748_7
; %bb.6:
	v_mov_b32_e32 v5, s1
	v_add_co_u32_e32 v4, vcc, s0, v1
	v_addc_co_u32_e32 v5, vcc, 0, v5, vcc
	flat_load_dwordx2 v[6:7], v[4:5] offset:1024
.LBB3748_7:
	s_or_b64 exec, exec, s[2:3]
	v_or_b32_e32 v4, 0x100, v0
	v_cmp_gt_u32_e32 vcc, s22, v4
	s_and_saveexec_b64 s[2:3], vcc
	s_cbranch_execz .LBB3748_9
; %bb.8:
	v_mov_b32_e32 v5, s1
	v_add_co_u32_e32 v4, vcc, s0, v1
	v_addc_co_u32_e32 v5, vcc, 0, v5, vcc
	flat_load_dwordx2 v[8:9], v[4:5] offset:2048
.LBB3748_9:
	;; [unrolled: 11-line block ×3, first 2 shown]
	s_or_b64 exec, exec, s[2:3]
	v_or_b32_e32 v4, 0x200, v0
	v_cmp_gt_u32_e32 vcc, s22, v4
	s_and_saveexec_b64 s[2:3], vcc
	s_cbranch_execz .LBB3748_13
; %bb.12:
	v_lshlrev_b32_e32 v4, 3, v4
	v_mov_b32_e32 v5, s1
	v_add_co_u32_e32 v4, vcc, s0, v4
	v_addc_co_u32_e32 v5, vcc, 0, v5, vcc
	flat_load_dwordx2 v[12:13], v[4:5]
.LBB3748_13:
	s_or_b64 exec, exec, s[2:3]
	v_or_b32_e32 v4, 0x280, v0
	v_cmp_gt_u32_e32 vcc, s22, v4
	s_and_saveexec_b64 s[2:3], vcc
	s_cbranch_execz .LBB3748_15
; %bb.14:
	v_lshlrev_b32_e32 v4, 3, v4
	v_mov_b32_e32 v5, s1
	v_add_co_u32_e32 v4, vcc, s0, v4
	v_addc_co_u32_e32 v5, vcc, 0, v5, vcc
	flat_load_dwordx2 v[14:15], v[4:5]
.LBB3748_15:
	;; [unrolled: 12-line block ×3, first 2 shown]
	s_or_b64 exec, exec, s[2:3]
	s_waitcnt vmcnt(0) lgkmcnt(0)
	ds_write2st64_b64 v1, v[2:3], v[6:7] offset1:2
	ds_write2st64_b64 v1, v[8:9], v[10:11] offset0:4 offset1:6
	ds_write2st64_b64 v1, v[12:13], v[14:15] offset0:8 offset1:10
	ds_write_b64 v1, v[16:17] offset:6144
	s_waitcnt lgkmcnt(0)
	s_barrier
.LBB3748_18:
	v_mul_u32_u24_e32 v36, 7, v0
	v_lshlrev_b32_e32 v37, 3, v36
	s_waitcnt lgkmcnt(0)
	ds_read2_b64 v[2:5], v37 offset1:1
	ds_read2_b64 v[10:13], v37 offset0:2 offset1:3
	ds_read2_b64 v[6:9], v37 offset0:4 offset1:5
	ds_read_b64 v[28:29], v37 offset:48
	s_cmp_lg_u32 s6, 0
	v_lshrrev_b32_e32 v1, 5, v0
	v_cmp_gt_u32_e32 vcc, 64, v0
	s_waitcnt lgkmcnt(0)
	s_barrier
	s_cbranch_scc0 .LBB3748_49
; %bb.19:
	v_cmp_gt_i64_e64 s[0:1], v[2:3], v[4:5]
	v_cndmask_b32_e64 v15, v5, v3, s[0:1]
	v_cndmask_b32_e64 v14, v4, v2, s[0:1]
	v_cmp_gt_i64_e64 s[0:1], v[14:15], v[10:11]
	v_cndmask_b32_e64 v15, v11, v15, s[0:1]
	v_cndmask_b32_e64 v14, v10, v14, s[0:1]
	;; [unrolled: 3-line block ×6, first 2 shown]
	v_add_lshl_u32 v14, v1, v0, 3
	ds_write_b64 v14, v[22:23]
	s_waitcnt lgkmcnt(0)
	s_barrier
	s_and_saveexec_b64 s[8:9], vcc
	s_cbranch_execz .LBB3748_23
; %bb.20:
	v_lshlrev_b32_e32 v14, 1, v0
	v_lshrrev_b32_e32 v15, 4, v0
	v_add_lshl_u32 v24, v15, v14, 3
	ds_read2_b64 v[14:17], v24 offset1:1
	v_mbcnt_lo_u32_b32 v18, -1, 0
	v_mbcnt_hi_u32_b32 v25, -1, v18
	v_and_b32_e32 v26, 15, v25
	v_and_b32_e32 v30, 16, v25
	s_waitcnt lgkmcnt(0)
	v_cmp_gt_i64_e64 s[0:1], v[14:15], v[16:17]
	v_cndmask_b32_e64 v17, v17, v15, s[0:1]
	v_cndmask_b32_e64 v16, v16, v14, s[0:1]
	v_cmp_ne_u32_e64 s[2:3], 0, v25
	v_mov_b32_dpp v19, v17 row_shr:1 row_mask:0xf bank_mask:0xf
	v_mov_b32_dpp v18, v16 row_shr:1 row_mask:0xf bank_mask:0xf
	v_cmp_gt_i64_e64 s[0:1], v[18:19], v[16:17]
	v_cndmask_b32_e64 v18, v16, v18, s[0:1]
	v_cndmask_b32_e64 v19, v17, v19, s[0:1]
	v_cmp_eq_u32_e64 s[0:1], 0, v26
	v_cndmask_b32_e64 v19, v19, v17, s[0:1]
	v_cndmask_b32_e64 v18, v18, v16, s[0:1]
	s_nop 0
	v_mov_b32_dpp v21, v19 row_shr:2 row_mask:0xf bank_mask:0xf
	v_mov_b32_dpp v20, v18 row_shr:2 row_mask:0xf bank_mask:0xf
	v_cmp_gt_i64_e64 s[0:1], v[20:21], v[18:19]
	v_cndmask_b32_e64 v20, v18, v20, s[0:1]
	v_cndmask_b32_e64 v21, v19, v21, s[0:1]
	v_cmp_lt_u32_e64 s[0:1], 1, v26
	v_cndmask_b32_e64 v19, v19, v21, s[0:1]
	v_cndmask_b32_e64 v18, v18, v20, s[0:1]
	s_nop 0
	v_mov_b32_dpp v21, v19 row_shr:4 row_mask:0xf bank_mask:0xf
	v_mov_b32_dpp v20, v18 row_shr:4 row_mask:0xf bank_mask:0xf
	v_cmp_gt_i64_e64 s[0:1], v[20:21], v[18:19]
	v_cndmask_b32_e64 v20, v18, v20, s[0:1]
	v_cndmask_b32_e64 v21, v19, v21, s[0:1]
	v_cmp_lt_u32_e64 s[0:1], 3, v26
	;; [unrolled: 9-line block ×3, first 2 shown]
	v_cndmask_b32_e64 v19, v19, v21, s[0:1]
	v_cndmask_b32_e64 v18, v18, v20, s[0:1]
	s_nop 0
	v_mov_b32_dpp v21, v19 row_bcast:15 row_mask:0xf bank_mask:0xf
	v_mov_b32_dpp v20, v18 row_bcast:15 row_mask:0xf bank_mask:0xf
	v_cmp_gt_i64_e64 s[0:1], v[20:21], v[18:19]
	v_cndmask_b32_e64 v26, v19, v21, s[0:1]
	v_cndmask_b32_e64 v27, v18, v20, s[0:1]
	v_cmp_eq_u32_e64 s[0:1], 0, v30
	v_cndmask_b32_e64 v21, v26, v19, s[0:1]
	v_cndmask_b32_e64 v20, v27, v18, s[0:1]
	s_nop 0
	v_mov_b32_dpp v21, v21 row_bcast:31 row_mask:0xf bank_mask:0xf
	v_mov_b32_dpp v20, v20 row_bcast:31 row_mask:0xf bank_mask:0xf
	s_and_saveexec_b64 s[10:11], s[2:3]
; %bb.21:
	v_cndmask_b32_e64 v17, v26, v19, s[0:1]
	v_cndmask_b32_e64 v16, v27, v18, s[0:1]
	v_cmp_lt_u32_e64 s[2:3], 31, v25
	v_cmp_gt_i64_e64 s[0:1], v[20:21], v[16:17]
	s_and_b64 s[0:1], s[2:3], s[0:1]
	v_cndmask_b32_e64 v16, v16, v20, s[0:1]
	v_cndmask_b32_e64 v17, v17, v21, s[0:1]
; %bb.22:
	s_or_b64 exec, exec, s[10:11]
	v_add_u32_e32 v18, -1, v25
	v_and_b32_e32 v19, 64, v25
	v_cmp_lt_i32_e64 s[0:1], v18, v19
	v_cndmask_b32_e64 v18, v18, v25, s[0:1]
	v_lshlrev_b32_e32 v18, 2, v18
	ds_bpermute_b32 v16, v18, v16
	ds_bpermute_b32 v17, v18, v17
	; wave barrier
	s_waitcnt lgkmcnt(0)
	v_cmp_gt_i64_e64 s[0:1], v[16:17], v[14:15]
	v_cndmask_b32_e64 v14, v14, v16, s[0:1]
	v_cndmask_b32_e64 v15, v15, v17, s[0:1]
	v_cmp_eq_u32_e64 s[0:1], 0, v0
	v_cndmask_b32_e64 v15, v15, v23, s[0:1]
	v_cndmask_b32_e64 v14, v14, v22, s[0:1]
	ds_write_b64 v24, v[14:15]
	; wave barrier
	ds_read_b64 v[16:17], v24 offset:8
	s_waitcnt lgkmcnt(0)
	v_cmp_gt_i64_e64 s[0:1], v[14:15], v[16:17]
	v_cndmask_b32_e64 v15, v17, v15, s[0:1]
	v_cndmask_b32_e64 v14, v16, v14, s[0:1]
	ds_write_b64 v24, v[14:15] offset:8
.LBB3748_23:
	s_or_b64 exec, exec, s[8:9]
	v_cmp_eq_u32_e64 s[0:1], 0, v0
	v_cmp_ne_u32_e64 s[2:3], 0, v0
	s_waitcnt lgkmcnt(0)
	s_barrier
	s_and_saveexec_b64 s[8:9], s[2:3]
	s_cbranch_execz .LBB3748_25
; %bb.24:
	v_add_u32_e32 v14, -1, v0
	v_lshrrev_b32_e32 v15, 5, v14
	v_add_lshl_u32 v14, v15, v14, 3
	ds_read_b64 v[22:23], v14
.LBB3748_25:
	s_or_b64 exec, exec, s[8:9]
	s_and_saveexec_b64 s[20:21], vcc
	s_cbranch_execz .LBB3748_48
; %bb.26:
	v_mov_b32_e32 v17, 0
	ds_read_b64 v[14:15], v17 offset:1040
	v_mbcnt_lo_u32_b32 v16, -1, 0
	v_mbcnt_hi_u32_b32 v25, -1, v16
	s_mov_b32 s11, 0
	v_cmp_eq_u32_e64 s[2:3], 0, v25
	s_and_saveexec_b64 s[8:9], s[2:3]
	s_cbranch_execz .LBB3748_28
; %bb.27:
	s_add_i32 s10, s6, 64
	s_lshl_b64 s[10:11], s[10:11], 4
	s_add_u32 s10, s18, s10
	s_addc_u32 s11, s19, s11
	v_mov_b32_e32 v16, 1
	v_pk_mov_b32 v[18:19], s[10:11], s[10:11] op_sel:[0,1]
	s_waitcnt lgkmcnt(0)
	;;#ASMSTART
	global_store_dwordx4 v[18:19], v[14:17] off	
s_waitcnt vmcnt(0)
	;;#ASMEND
.LBB3748_28:
	s_or_b64 exec, exec, s[8:9]
	v_xad_u32 v24, v25, -1, s6
	v_add_u32_e32 v16, 64, v24
	v_lshlrev_b64 v[18:19], 4, v[16:17]
	v_mov_b32_e32 v16, s19
	v_add_co_u32_e32 v26, vcc, s18, v18
	v_addc_co_u32_e32 v27, vcc, v16, v19, vcc
	;;#ASMSTART
	global_load_dwordx4 v[18:21], v[26:27] off glc	
s_waitcnt vmcnt(0)
	;;#ASMEND
	v_and_b32_e32 v16, 0xff, v19
	v_and_b32_e32 v21, 0xff00, v19
	v_or3_b32 v16, 0, v16, v21
	v_or3_b32 v18, v18, 0, 0
	v_and_b32_e32 v21, 0xff000000, v19
	v_and_b32_e32 v19, 0xff0000, v19
	v_or3_b32 v19, v16, v19, v21
	v_or3_b32 v18, v18, 0, 0
	v_cmp_eq_u16_sdwa s[10:11], v20, v17 src0_sel:BYTE_0 src1_sel:DWORD
	s_and_saveexec_b64 s[8:9], s[10:11]
	s_cbranch_execz .LBB3748_34
; %bb.29:
	s_mov_b32 s7, 1
	s_mov_b64 s[10:11], 0
	v_mov_b32_e32 v16, 0
.LBB3748_30:                            ; =>This Loop Header: Depth=1
                                        ;     Child Loop BB3748_31 Depth 2
	s_max_u32 s12, s7, 1
.LBB3748_31:                            ;   Parent Loop BB3748_30 Depth=1
                                        ; =>  This Inner Loop Header: Depth=2
	s_add_i32 s12, s12, -1
	s_cmp_eq_u32 s12, 0
	s_sleep 1
	s_cbranch_scc0 .LBB3748_31
; %bb.32:                               ;   in Loop: Header=BB3748_30 Depth=1
	s_cmp_lt_u32 s7, 32
	s_cselect_b64 s[12:13], -1, 0
	s_cmp_lg_u64 s[12:13], 0
	s_addc_u32 s7, s7, 0
	;;#ASMSTART
	global_load_dwordx4 v[18:21], v[26:27] off glc	
s_waitcnt vmcnt(0)
	;;#ASMEND
	v_cmp_ne_u16_sdwa s[12:13], v20, v16 src0_sel:BYTE_0 src1_sel:DWORD
	s_or_b64 s[10:11], s[12:13], s[10:11]
	s_andn2_b64 exec, exec, s[10:11]
	s_cbranch_execnz .LBB3748_30
; %bb.33:
	s_or_b64 exec, exec, s[10:11]
.LBB3748_34:
	s_or_b64 exec, exec, s[8:9]
	v_and_b32_e32 v33, 63, v25
	v_cmp_ne_u32_e32 vcc, 63, v33
	v_mov_b32_e32 v32, 2
	v_addc_co_u32_e32 v26, vcc, 0, v25, vcc
	v_cmp_eq_u16_sdwa s[8:9], v20, v32 src0_sel:BYTE_0 src1_sel:DWORD
	v_lshlrev_b64 v[16:17], v25, -1
	v_lshlrev_b32_e32 v34, 2, v26
	v_and_b32_e32 v21, s9, v17
	ds_bpermute_b32 v26, v34, v18
	ds_bpermute_b32 v27, v34, v19
	v_or_b32_e32 v21, 0x80000000, v21
	v_and_b32_e32 v30, s8, v16
	v_ffbl_b32_e32 v21, v21
	v_add_u32_e32 v21, 32, v21
	v_ffbl_b32_e32 v30, v30
	v_min_u32_e32 v21, v30, v21
	s_waitcnt lgkmcnt(0)
	v_cmp_gt_i64_e64 s[8:9], v[26:27], v[18:19]
	v_cmp_lt_u32_e32 vcc, v33, v21
	v_cndmask_b32_e64 v26, v18, v26, s[8:9]
	s_and_b64 s[8:9], vcc, s[8:9]
	v_cndmask_b32_e64 v27, v19, v27, s[8:9]
	v_cmp_gt_u32_e64 s[8:9], 62, v33
	v_cndmask_b32_e64 v30, 0, 1, s[8:9]
	v_lshlrev_b32_e32 v30, 1, v30
	v_cndmask_b32_e32 v26, v18, v26, vcc
	v_add_lshl_u32 v35, v30, v25, 2
	ds_bpermute_b32 v30, v35, v26
	ds_bpermute_b32 v31, v35, v27
	v_add_u32_e32 v38, 2, v33
	v_cmp_gt_u32_e64 s[10:11], 56, v33
	v_add_u32_e32 v40, 4, v33
	v_cndmask_b32_e64 v41, 0, 1, s[10:11]
	s_waitcnt lgkmcnt(0)
	v_cmp_gt_i64_e64 s[8:9], v[30:31], v[26:27]
	v_cndmask_b32_e64 v31, v27, v31, s[8:9]
	v_cndmask_b32_e64 v30, v26, v30, s[8:9]
	v_cmp_gt_u32_e64 s[8:9], v38, v21
	v_cndmask_b32_e64 v26, v30, v26, s[8:9]
	v_cndmask_b32_e64 v27, v31, v27, s[8:9]
	v_cmp_gt_u32_e64 s[8:9], 60, v33
	v_cndmask_b32_e64 v30, 0, 1, s[8:9]
	v_lshlrev_b32_e32 v30, 2, v30
	v_add_lshl_u32 v39, v30, v25, 2
	ds_bpermute_b32 v30, v39, v26
	ds_bpermute_b32 v31, v39, v27
	v_lshlrev_b32_e32 v41, 3, v41
	v_add_lshl_u32 v41, v41, v25, 2
	v_cmp_gt_u32_e64 s[12:13], 48, v33
	v_add_u32_e32 v42, 8, v33
	s_waitcnt lgkmcnt(0)
	v_cmp_gt_i64_e64 s[8:9], v[30:31], v[26:27]
	v_cndmask_b32_e64 v50, v27, v31, s[8:9]
	v_cndmask_b32_e64 v51, v26, v30, s[8:9]
	v_cmp_gt_u32_e64 s[8:9], v40, v21
	v_cndmask_b32_e64 v30, v51, v26, s[8:9]
	v_cndmask_b32_e64 v31, v50, v27, s[8:9]
	ds_bpermute_b32 v44, v41, v30
	ds_bpermute_b32 v45, v41, v31
	v_cndmask_b32_e64 v43, 0, 1, s[12:13]
	v_lshlrev_b32_e32 v43, 4, v43
	v_add_lshl_u32 v43, v43, v25, 2
	v_cmp_gt_u32_e64 s[14:15], 32, v33
	s_waitcnt lgkmcnt(0)
	v_cmp_gt_i64_e64 s[10:11], v[44:45], v[30:31]
	v_cndmask_b32_e64 v52, v31, v45, s[10:11]
	v_cndmask_b32_e64 v53, v30, v44, s[10:11]
	v_cmp_gt_u32_e64 s[10:11], v42, v21
	v_cndmask_b32_e64 v30, v53, v30, s[10:11]
	v_cndmask_b32_e64 v31, v52, v31, s[10:11]
	ds_bpermute_b32 v46, v43, v30
	ds_bpermute_b32 v47, v43, v31
	v_add_u32_e32 v44, 16, v33
	v_cndmask_b32_e64 v45, 0, 1, s[14:15]
	v_lshlrev_b32_e32 v45, 5, v45
	v_add_lshl_u32 v45, v45, v25, 2
	s_waitcnt lgkmcnt(0)
	v_cmp_gt_i64_e64 s[12:13], v[46:47], v[30:31]
	v_cndmask_b32_e64 v47, v31, v47, s[12:13]
	v_cndmask_b32_e64 v54, v30, v46, s[12:13]
	v_cmp_gt_u32_e64 s[12:13], v44, v21
	v_cndmask_b32_e64 v30, v54, v30, s[12:13]
	v_cndmask_b32_e64 v31, v47, v31, s[12:13]
	ds_bpermute_b32 v48, v45, v30
	ds_bpermute_b32 v49, v45, v31
	v_cndmask_b32_e32 v19, v19, v27, vcc
	v_cndmask_b32_e32 v18, v18, v26, vcc
	v_cndmask_b32_e64 v18, v51, v18, s[8:9]
	v_cndmask_b32_e64 v19, v50, v19, s[8:9]
	v_add_u32_e32 v46, 32, v33
	s_waitcnt lgkmcnt(0)
	v_cmp_gt_i64_e64 s[14:15], v[48:49], v[30:31]
	v_cndmask_b32_e64 v19, v52, v19, s[10:11]
	v_cndmask_b32_e64 v18, v53, v18, s[10:11]
	;; [unrolled: 1-line block ×6, first 2 shown]
	v_cmp_gt_u32_e32 vcc, v46, v21
	v_cndmask_b32_e32 v19, v30, v19, vcc
	v_cndmask_b32_e32 v18, v25, v18, vcc
	v_mov_b32_e32 v25, 0
	s_branch .LBB3748_36
.LBB3748_35:                            ;   in Loop: Header=BB3748_36 Depth=1
	s_or_b64 exec, exec, s[8:9]
	v_cmp_eq_u16_sdwa s[8:9], v20, v32 src0_sel:BYTE_0 src1_sel:DWORD
	v_and_b32_e32 v21, s9, v17
	ds_bpermute_b32 v30, v34, v18
	ds_bpermute_b32 v31, v34, v19
	v_or_b32_e32 v21, 0x80000000, v21
	v_and_b32_e32 v47, s8, v16
	v_ffbl_b32_e32 v21, v21
	v_add_u32_e32 v21, 32, v21
	v_ffbl_b32_e32 v47, v47
	v_min_u32_e32 v21, v47, v21
	s_waitcnt lgkmcnt(0)
	v_cmp_gt_i64_e32 vcc, v[30:31], v[18:19]
	v_cmp_lt_u32_e64 s[8:9], v33, v21
	v_cndmask_b32_e32 v30, v18, v30, vcc
	s_and_b64 vcc, s[8:9], vcc
	v_cndmask_b32_e64 v30, v18, v30, s[8:9]
	v_cndmask_b32_e32 v31, v19, v31, vcc
	ds_bpermute_b32 v48, v35, v30
	ds_bpermute_b32 v49, v35, v31
	v_subrev_u32_e32 v24, 64, v24
	s_waitcnt lgkmcnt(0)
	v_cmp_gt_i64_e32 vcc, v[48:49], v[30:31]
	v_cndmask_b32_e32 v47, v31, v49, vcc
	v_cndmask_b32_e32 v48, v30, v48, vcc
	v_cmp_gt_u32_e32 vcc, v38, v21
	v_cndmask_b32_e32 v30, v48, v30, vcc
	v_cndmask_b32_e32 v31, v47, v31, vcc
	ds_bpermute_b32 v48, v39, v30
	ds_bpermute_b32 v49, v39, v31
	v_cndmask_b32_e64 v19, v19, v31, s[8:9]
	v_cndmask_b32_e64 v18, v18, v30, s[8:9]
	s_waitcnt lgkmcnt(0)
	v_cmp_gt_i64_e32 vcc, v[48:49], v[30:31]
	v_cndmask_b32_e32 v47, v31, v49, vcc
	v_cndmask_b32_e32 v52, v30, v48, vcc
	v_cmp_gt_u32_e32 vcc, v40, v21
	v_cndmask_b32_e32 v48, v52, v30, vcc
	v_cndmask_b32_e32 v49, v47, v31, vcc
	ds_bpermute_b32 v50, v41, v48
	ds_bpermute_b32 v51, v41, v49
	v_cndmask_b32_e32 v18, v52, v18, vcc
	v_cndmask_b32_e32 v19, v47, v19, vcc
	v_cmp_gt_u32_e32 vcc, v46, v21
	s_waitcnt lgkmcnt(0)
	v_cmp_gt_i64_e64 s[10:11], v[50:51], v[48:49]
	v_cndmask_b32_e64 v53, v49, v51, s[10:11]
	v_cndmask_b32_e64 v54, v48, v50, s[10:11]
	v_cmp_gt_u32_e64 s[10:11], v42, v21
	v_cndmask_b32_e64 v48, v54, v48, s[10:11]
	v_cndmask_b32_e64 v49, v53, v49, s[10:11]
	ds_bpermute_b32 v50, v43, v48
	ds_bpermute_b32 v51, v43, v49
	v_cndmask_b32_e64 v19, v53, v19, s[10:11]
	v_cndmask_b32_e64 v18, v54, v18, s[10:11]
	s_waitcnt lgkmcnt(0)
	v_cmp_gt_i64_e64 s[12:13], v[50:51], v[48:49]
	v_cndmask_b32_e64 v55, v49, v51, s[12:13]
	v_cndmask_b32_e64 v56, v48, v50, s[12:13]
	v_cmp_gt_u32_e64 s[12:13], v44, v21
	v_cndmask_b32_e64 v48, v56, v48, s[12:13]
	v_cndmask_b32_e64 v49, v55, v49, s[12:13]
	ds_bpermute_b32 v50, v45, v48
	ds_bpermute_b32 v51, v45, v49
	v_cndmask_b32_e64 v18, v56, v18, s[12:13]
	v_cndmask_b32_e64 v19, v55, v19, s[12:13]
	s_waitcnt lgkmcnt(0)
	v_cmp_gt_i64_e64 s[14:15], v[50:51], v[48:49]
	v_cndmask_b32_e64 v48, v48, v50, s[14:15]
	v_cndmask_b32_e64 v49, v49, v51, s[14:15]
	v_cndmask_b32_e32 v19, v49, v19, vcc
	v_cndmask_b32_e32 v18, v48, v18, vcc
	v_cmp_gt_i64_e32 vcc, v[18:19], v[26:27]
	v_cndmask_b32_e32 v19, v27, v19, vcc
	v_cndmask_b32_e32 v18, v26, v18, vcc
.LBB3748_36:                            ; =>This Loop Header: Depth=1
                                        ;     Child Loop BB3748_39 Depth 2
                                        ;       Child Loop BB3748_40 Depth 3
	v_cmp_ne_u16_sdwa s[8:9], v20, v32 src0_sel:BYTE_0 src1_sel:DWORD
	v_cndmask_b32_e64 v20, 0, 1, s[8:9]
	;;#ASMSTART
	;;#ASMEND
	v_cmp_ne_u32_e32 vcc, 0, v20
	s_cmp_lg_u64 vcc, exec
	v_pk_mov_b32 v[26:27], v[18:19], v[18:19] op_sel:[0,1]
	s_cbranch_scc1 .LBB3748_43
; %bb.37:                               ;   in Loop: Header=BB3748_36 Depth=1
	v_lshlrev_b64 v[18:19], 4, v[24:25]
	v_mov_b32_e32 v20, s19
	v_add_co_u32_e32 v30, vcc, s18, v18
	v_addc_co_u32_e32 v31, vcc, v20, v19, vcc
	;;#ASMSTART
	global_load_dwordx4 v[18:21], v[30:31] off glc	
s_waitcnt vmcnt(0)
	;;#ASMEND
	v_and_b32_e32 v21, 0xff, v19
	v_and_b32_e32 v47, 0xff00, v19
	v_or3_b32 v21, 0, v21, v47
	v_or3_b32 v18, v18, 0, 0
	v_and_b32_e32 v47, 0xff000000, v19
	v_and_b32_e32 v19, 0xff0000, v19
	v_or3_b32 v19, v21, v19, v47
	v_or3_b32 v18, v18, 0, 0
	v_cmp_eq_u16_sdwa s[10:11], v20, v25 src0_sel:BYTE_0 src1_sel:DWORD
	s_and_saveexec_b64 s[8:9], s[10:11]
	s_cbranch_execz .LBB3748_35
; %bb.38:                               ;   in Loop: Header=BB3748_36 Depth=1
	s_mov_b32 s7, 1
	s_mov_b64 s[10:11], 0
.LBB3748_39:                            ;   Parent Loop BB3748_36 Depth=1
                                        ; =>  This Loop Header: Depth=2
                                        ;       Child Loop BB3748_40 Depth 3
	s_max_u32 s12, s7, 1
.LBB3748_40:                            ;   Parent Loop BB3748_36 Depth=1
                                        ;     Parent Loop BB3748_39 Depth=2
                                        ; =>    This Inner Loop Header: Depth=3
	s_add_i32 s12, s12, -1
	s_cmp_eq_u32 s12, 0
	s_sleep 1
	s_cbranch_scc0 .LBB3748_40
; %bb.41:                               ;   in Loop: Header=BB3748_39 Depth=2
	s_cmp_lt_u32 s7, 32
	s_cselect_b64 s[12:13], -1, 0
	s_cmp_lg_u64 s[12:13], 0
	s_addc_u32 s7, s7, 0
	;;#ASMSTART
	global_load_dwordx4 v[18:21], v[30:31] off glc	
s_waitcnt vmcnt(0)
	;;#ASMEND
	v_cmp_ne_u16_sdwa s[12:13], v20, v25 src0_sel:BYTE_0 src1_sel:DWORD
	s_or_b64 s[10:11], s[12:13], s[10:11]
	s_andn2_b64 exec, exec, s[10:11]
	s_cbranch_execnz .LBB3748_39
; %bb.42:                               ;   in Loop: Header=BB3748_36 Depth=1
	s_or_b64 exec, exec, s[10:11]
	s_branch .LBB3748_35
.LBB3748_43:                            ;   in Loop: Header=BB3748_36 Depth=1
                                        ; implicit-def: $vgpr18_vgpr19
                                        ; implicit-def: $vgpr20
	s_cbranch_execz .LBB3748_36
; %bb.44:
	s_and_saveexec_b64 s[8:9], s[2:3]
	s_cbranch_execz .LBB3748_46
; %bb.45:
	s_add_i32 s2, s6, 64
	s_mov_b32 s3, 0
	s_lshl_b64 s[2:3], s[2:3], 4
	s_add_u32 s2, s18, s2
	v_cmp_gt_i64_e32 vcc, v[26:27], v[14:15]
	s_addc_u32 s3, s19, s3
	v_cndmask_b32_e32 v15, v15, v27, vcc
	v_cndmask_b32_e32 v14, v14, v26, vcc
	v_mov_b32_e32 v16, 2
	v_mov_b32_e32 v17, 0
	v_pk_mov_b32 v[18:19], s[2:3], s[2:3] op_sel:[0,1]
	;;#ASMSTART
	global_store_dwordx4 v[18:19], v[14:17] off	
s_waitcnt vmcnt(0)
	;;#ASMEND
.LBB3748_46:
	s_or_b64 exec, exec, s[8:9]
	s_and_b64 exec, exec, s[0:1]
	s_cbranch_execz .LBB3748_48
; %bb.47:
	v_mov_b32_e32 v14, 0
	ds_write_b64 v14, v[26:27]
.LBB3748_48:
	s_or_b64 exec, exec, s[20:21]
	v_mov_b32_e32 v14, 0
	s_waitcnt lgkmcnt(0)
	s_barrier
	ds_read_b64 v[14:15], v14
	v_cmp_gt_i64_e32 vcc, v[22:23], v[2:3]
	v_cndmask_b32_e32 v16, v2, v22, vcc
	v_cndmask_b32_e32 v17, v3, v23, vcc
	v_cndmask_b32_e64 v17, v17, v3, s[0:1]
	v_cndmask_b32_e64 v16, v16, v2, s[0:1]
	s_waitcnt lgkmcnt(0)
	v_cmp_gt_i64_e32 vcc, v[14:15], v[16:17]
	v_cndmask_b32_e32 v25, v17, v15, vcc
	v_cndmask_b32_e32 v24, v16, v14, vcc
	v_cmp_gt_i64_e32 vcc, v[24:25], v[4:5]
	v_cndmask_b32_e32 v31, v5, v25, vcc
	v_cndmask_b32_e32 v30, v4, v24, vcc
	v_cmp_gt_i64_e32 vcc, v[30:31], v[10:11]
	v_cndmask_b32_e32 v15, v11, v31, vcc
	v_cndmask_b32_e32 v14, v10, v30, vcc
	v_cmp_gt_i64_e32 vcc, v[14:15], v[12:13]
	v_cndmask_b32_e32 v33, v13, v15, vcc
	v_cndmask_b32_e32 v32, v12, v14, vcc
	v_cmp_gt_i64_e32 vcc, v[32:33], v[6:7]
	v_cndmask_b32_e32 v19, v7, v33, vcc
	v_cndmask_b32_e32 v18, v6, v32, vcc
	v_cmp_gt_i64_e32 vcc, v[18:19], v[8:9]
	v_cndmask_b32_e32 v35, v9, v19, vcc
	v_cndmask_b32_e32 v34, v8, v18, vcc
	v_cmp_gt_i64_e32 vcc, v[34:35], v[28:29]
	v_cndmask_b32_e32 v23, v29, v35, vcc
	v_cndmask_b32_e32 v22, v28, v34, vcc
	s_load_dwordx8 s[4:11], s[4:5], 0x48
	s_branch .LBB3748_63
.LBB3748_49:
                                        ; implicit-def: $vgpr22_vgpr23
                                        ; implicit-def: $vgpr34_vgpr35
                                        ; implicit-def: $vgpr32_vgpr33
                                        ; implicit-def: $vgpr30_vgpr31
                                        ; implicit-def: $vgpr18_vgpr19_vgpr20_vgpr21
                                        ; implicit-def: $vgpr14_vgpr15_vgpr16_vgpr17
                                        ; implicit-def: $vgpr24_vgpr25_vgpr26_vgpr27
	s_load_dwordx8 s[4:11], s[4:5], 0x48
	s_cbranch_execz .LBB3748_63
; %bb.50:
	s_waitcnt lgkmcnt(0)
	s_cmp_lg_u64 s[8:9], 0
	s_cselect_b64 s[2:3], -1, 0
	v_cmp_eq_u32_e64 s[0:1], 0, v0
	v_cmp_ne_u32_e32 vcc, 0, v0
	s_and_b64 s[2:3], s[0:1], s[2:3]
	s_and_saveexec_b64 s[8:9], s[2:3]
	s_cbranch_execz .LBB3748_52
; %bb.51:
	v_mov_b32_e32 v14, 0
	global_load_dwordx2 v[14:15], v14, s[4:5]
	s_waitcnt vmcnt(0)
	v_cmp_gt_i64_e64 s[2:3], v[14:15], v[2:3]
	v_cndmask_b32_e64 v3, v3, v15, s[2:3]
	v_cndmask_b32_e64 v2, v2, v14, s[2:3]
.LBB3748_52:
	s_or_b64 exec, exec, s[8:9]
	v_cmp_gt_i64_e64 s[2:3], v[2:3], v[4:5]
	v_cndmask_b32_e64 v31, v5, v3, s[2:3]
	v_cndmask_b32_e64 v30, v4, v2, s[2:3]
	v_cmp_gt_i64_e64 s[2:3], v[30:31], v[10:11]
	v_cndmask_b32_e64 v15, v11, v31, s[2:3]
	v_cndmask_b32_e64 v14, v10, v30, s[2:3]
	;; [unrolled: 3-line block ×6, first 2 shown]
	v_add_lshl_u32 v1, v1, v0, 3
	v_cmp_gt_u32_e64 s[2:3], 64, v0
	ds_write_b64 v1, v[22:23]
	s_waitcnt lgkmcnt(0)
	s_barrier
	s_and_saveexec_b64 s[8:9], s[2:3]
	s_cbranch_execz .LBB3748_56
; %bb.53:
	v_lshlrev_b32_e32 v1, 1, v0
	v_lshrrev_b32_e32 v16, 4, v0
	v_add_lshl_u32 v1, v16, v1, 3
	ds_read2_b64 v[24:27], v1 offset1:1
	v_mbcnt_lo_u32_b32 v16, -1, 0
	v_mbcnt_hi_u32_b32 v38, -1, v16
	v_and_b32_e32 v39, 15, v38
	v_and_b32_e32 v41, 16, v38
	s_waitcnt lgkmcnt(0)
	v_cmp_gt_i64_e64 s[2:3], v[24:25], v[26:27]
	v_cndmask_b32_e64 v17, v27, v25, s[2:3]
	v_cndmask_b32_e64 v16, v26, v24, s[2:3]
	v_cmp_ne_u32_e64 s[4:5], 0, v38
	v_mov_b32_dpp v21, v17 row_shr:1 row_mask:0xf bank_mask:0xf
	v_mov_b32_dpp v20, v16 row_shr:1 row_mask:0xf bank_mask:0xf
	v_cmp_gt_i64_e64 s[2:3], v[20:21], v[16:17]
	v_cndmask_b32_e64 v20, v16, v20, s[2:3]
	v_cndmask_b32_e64 v21, v17, v21, s[2:3]
	v_cmp_eq_u32_e64 s[2:3], 0, v39
	v_cndmask_b32_e64 v21, v21, v17, s[2:3]
	v_cndmask_b32_e64 v20, v20, v16, s[2:3]
	s_nop 0
	v_mov_b32_dpp v27, v21 row_shr:2 row_mask:0xf bank_mask:0xf
	v_mov_b32_dpp v26, v20 row_shr:2 row_mask:0xf bank_mask:0xf
	v_cmp_gt_i64_e64 s[2:3], v[26:27], v[20:21]
	v_cndmask_b32_e64 v26, v20, v26, s[2:3]
	v_cndmask_b32_e64 v27, v21, v27, s[2:3]
	v_cmp_lt_u32_e64 s[2:3], 1, v39
	v_cndmask_b32_e64 v21, v21, v27, s[2:3]
	v_cndmask_b32_e64 v20, v20, v26, s[2:3]
	s_nop 0
	v_mov_b32_dpp v27, v21 row_shr:4 row_mask:0xf bank_mask:0xf
	v_mov_b32_dpp v26, v20 row_shr:4 row_mask:0xf bank_mask:0xf
	v_cmp_gt_i64_e64 s[2:3], v[26:27], v[20:21]
	v_cndmask_b32_e64 v26, v20, v26, s[2:3]
	v_cndmask_b32_e64 v27, v21, v27, s[2:3]
	v_cmp_lt_u32_e64 s[2:3], 3, v39
	;; [unrolled: 9-line block ×3, first 2 shown]
	v_cndmask_b32_e64 v21, v21, v27, s[2:3]
	v_cndmask_b32_e64 v20, v20, v26, s[2:3]
	s_nop 0
	v_mov_b32_dpp v27, v21 row_bcast:15 row_mask:0xf bank_mask:0xf
	v_mov_b32_dpp v26, v20 row_bcast:15 row_mask:0xf bank_mask:0xf
	v_cmp_gt_i64_e64 s[2:3], v[26:27], v[20:21]
	v_cndmask_b32_e64 v39, v21, v27, s[2:3]
	v_cndmask_b32_e64 v40, v20, v26, s[2:3]
	v_cmp_eq_u32_e64 s[2:3], 0, v41
	v_cndmask_b32_e64 v27, v39, v21, s[2:3]
	v_cndmask_b32_e64 v26, v40, v20, s[2:3]
	s_nop 0
	v_mov_b32_dpp v27, v27 row_bcast:31 row_mask:0xf bank_mask:0xf
	v_mov_b32_dpp v26, v26 row_bcast:31 row_mask:0xf bank_mask:0xf
	s_and_saveexec_b64 s[12:13], s[4:5]
; %bb.54:
	v_cndmask_b32_e64 v17, v39, v21, s[2:3]
	v_cndmask_b32_e64 v16, v40, v20, s[2:3]
	v_cmp_lt_u32_e64 s[4:5], 31, v38
	v_cmp_gt_i64_e64 s[2:3], v[26:27], v[16:17]
	s_and_b64 s[2:3], s[4:5], s[2:3]
	v_cndmask_b32_e64 v16, v16, v26, s[2:3]
	v_cndmask_b32_e64 v17, v17, v27, s[2:3]
; %bb.55:
	s_or_b64 exec, exec, s[12:13]
	v_add_u32_e32 v20, -1, v38
	v_and_b32_e32 v21, 64, v38
	v_cmp_lt_i32_e64 s[2:3], v20, v21
	v_cndmask_b32_e64 v20, v20, v38, s[2:3]
	v_lshlrev_b32_e32 v20, 2, v20
	ds_bpermute_b32 v16, v20, v16
	ds_bpermute_b32 v17, v20, v17
	; wave barrier
	s_waitcnt lgkmcnt(0)
	v_cmp_gt_i64_e64 s[2:3], v[16:17], v[24:25]
	v_cndmask_b32_e64 v16, v24, v16, s[2:3]
	v_cndmask_b32_e64 v17, v25, v17, s[2:3]
	;; [unrolled: 1-line block ×4, first 2 shown]
	ds_write_b64 v1, v[16:17]
	; wave barrier
	ds_read_b64 v[20:21], v1 offset:8
	s_waitcnt lgkmcnt(0)
	v_cmp_gt_i64_e64 s[0:1], v[16:17], v[20:21]
	v_cndmask_b32_e64 v17, v21, v17, s[0:1]
	v_cndmask_b32_e64 v16, v20, v16, s[0:1]
	ds_write_b64 v1, v[16:17] offset:8
.LBB3748_56:
	s_or_b64 exec, exec, s[8:9]
	v_pk_mov_b32 v[16:17], v[22:23], v[22:23] op_sel:[0,1]
	s_waitcnt lgkmcnt(0)
	s_barrier
	s_and_saveexec_b64 s[0:1], vcc
	s_cbranch_execz .LBB3748_58
; %bb.57:
	v_add_u32_e32 v1, -1, v0
	v_lshrrev_b32_e32 v16, 5, v1
	v_add_lshl_u32 v1, v16, v1, 3
	ds_read_b64 v[16:17], v1
.LBB3748_58:
	s_or_b64 exec, exec, s[0:1]
	s_and_saveexec_b64 s[0:1], vcc
	s_cbranch_execz .LBB3748_60
; %bb.59:
	s_waitcnt lgkmcnt(0)
	v_cmp_gt_i64_e32 vcc, v[16:17], v[2:3]
	v_cndmask_b32_e32 v3, v3, v17, vcc
	v_cndmask_b32_e32 v2, v2, v16, vcc
	v_cmp_gt_i64_e32 vcc, v[2:3], v[4:5]
	v_cndmask_b32_e32 v31, v5, v3, vcc
	v_cndmask_b32_e32 v30, v4, v2, vcc
	v_cmp_gt_i64_e32 vcc, v[30:31], v[10:11]
	v_cndmask_b32_e32 v15, v11, v31, vcc
	v_cndmask_b32_e32 v14, v10, v30, vcc
	v_cmp_gt_i64_e32 vcc, v[14:15], v[12:13]
	v_cndmask_b32_e32 v33, v13, v15, vcc
	v_cndmask_b32_e32 v32, v12, v14, vcc
	v_cmp_gt_i64_e32 vcc, v[32:33], v[6:7]
	v_cndmask_b32_e32 v19, v7, v33, vcc
	v_cndmask_b32_e32 v18, v6, v32, vcc
	v_cmp_gt_i64_e32 vcc, v[18:19], v[8:9]
	v_cndmask_b32_e32 v35, v9, v19, vcc
	v_cndmask_b32_e32 v34, v8, v18, vcc
	v_cmp_gt_i64_e32 vcc, v[34:35], v[28:29]
	v_cndmask_b32_e32 v23, v29, v35, vcc
	v_cndmask_b32_e32 v22, v28, v34, vcc
	;;#ASMSTART
	;;#ASMEND
.LBB3748_60:
	s_or_b64 exec, exec, s[0:1]
	s_movk_i32 s0, 0x7f
	v_cmp_eq_u32_e32 vcc, s0, v0
	s_and_saveexec_b64 s[0:1], vcc
	s_cbranch_execz .LBB3748_62
; %bb.61:
	s_add_u32 s2, s18, 0x400
	s_addc_u32 s3, s19, 0
	v_mov_b32_e32 v24, 2
	v_mov_b32_e32 v25, 0
	v_pk_mov_b32 v[4:5], s[2:3], s[2:3] op_sel:[0,1]
	;;#ASMSTART
	global_store_dwordx4 v[4:5], v[22:25] off	
s_waitcnt vmcnt(0)
	;;#ASMEND
.LBB3748_62:
	s_or_b64 exec, exec, s[0:1]
	v_pk_mov_b32 v[24:25], v[2:3], v[2:3] op_sel:[0,1]
.LBB3748_63:
	s_mov_b64 s[0:1], -1
	s_and_b64 vcc, exec, s[16:17]
	s_waitcnt lgkmcnt(0)
	s_barrier
	ds_write2_b64 v37, v[24:25], v[30:31] offset1:1
	ds_write2_b64 v37, v[14:15], v[32:33] offset0:2 offset1:3
	ds_write2_b64 v37, v[18:19], v[34:35] offset0:4 offset1:5
	ds_write_b64 v37, v[22:23] offset:48
	s_waitcnt lgkmcnt(0)
	s_cbranch_vccz .LBB3748_65
; %bb.64:
	s_barrier
	s_mov_b64 s[0:1], 0
.LBB3748_65:
	s_andn2_b64 vcc, exec, s[0:1]
	s_cbranch_vccnz .LBB3748_90
; %bb.66:
	v_cmp_lt_u64_e64 s[0:1], s[10:11], 2
	s_and_b64 vcc, exec, s[0:1]
	s_barrier
	s_cbranch_vccnz .LBB3748_90
; %bb.67:
	s_add_u32 s0, s22, -1
	s_addc_u32 s1, s23, -1
	s_add_u32 s2, 0, 0x92481000
	s_addc_u32 s3, 0, 0x64
	s_add_i32 s3, s3, 0x249248c0
	s_mul_hi_u32 s9, s2, -7
	s_sub_i32 s9, s9, s2
	s_mul_i32 s10, s3, -7
	s_mul_i32 s4, s2, -7
	s_add_i32 s9, s9, s10
	s_mul_hi_u32 s5, s3, s4
	s_mul_i32 s8, s3, s4
	s_mul_i32 s11, s2, s9
	s_mul_hi_u32 s4, s2, s4
	s_mul_hi_u32 s10, s2, s9
	s_add_u32 s4, s4, s11
	s_addc_u32 s10, 0, s10
	s_add_u32 s4, s4, s8
	s_mul_hi_u32 s11, s3, s9
	s_addc_u32 s4, s10, s5
	s_addc_u32 s5, s11, 0
	s_mul_i32 s8, s3, s9
	s_add_u32 s4, s4, s8
	v_mov_b32_e32 v2, s4
	s_addc_u32 s5, 0, s5
	v_add_co_u32_e32 v2, vcc, s2, v2
	s_cmp_lg_u64 vcc, 0
	s_addc_u32 s2, s3, s5
	v_readfirstlane_b32 s5, v2
	s_mul_i32 s4, s0, s2
	s_mul_hi_u32 s8, s0, s5
	s_mul_hi_u32 s3, s0, s2
	s_add_u32 s4, s8, s4
	s_addc_u32 s3, 0, s3
	s_mul_hi_u32 s9, s1, s5
	s_mul_i32 s5, s1, s5
	s_add_u32 s4, s4, s5
	s_mul_hi_u32 s8, s1, s2
	s_addc_u32 s3, s3, s9
	s_addc_u32 s4, s8, 0
	s_mul_i32 s2, s1, s2
	s_add_u32 s2, s3, s2
	s_addc_u32 s3, 0, s4
	s_add_u32 s4, s2, 1
	s_addc_u32 s5, s3, 0
	s_add_u32 s8, s2, 2
	s_mul_i32 s10, s3, 7
	s_mul_hi_u32 s11, s2, 7
	s_addc_u32 s9, s3, 0
	s_add_i32 s11, s11, s10
	s_mul_i32 s10, s2, 7
	v_mov_b32_e32 v2, s10
	v_sub_co_u32_e32 v2, vcc, s0, v2
	s_cmp_lg_u64 vcc, 0
	s_subb_u32 s10, s1, s11
	v_subrev_co_u32_e32 v3, vcc, 7, v2
	s_cmp_lg_u64 vcc, 0
	s_subb_u32 s11, s10, 0
	v_readfirstlane_b32 s12, v3
	s_cmp_gt_u32 s12, 6
	s_cselect_b32 s12, -1, 0
	s_cmp_eq_u32 s11, 0
	s_cselect_b32 s11, s12, -1
	s_cmp_lg_u32 s11, 0
	s_cselect_b32 s4, s8, s4
	v_readfirstlane_b32 s8, v2
	s_cselect_b32 s5, s9, s5
	s_cmp_gt_u32 s8, 6
	s_cselect_b32 s8, -1, 0
	s_cmp_eq_u32 s10, 0
	s_cselect_b32 s8, s8, -1
	s_cmp_lg_u32 s8, 0
	v_mov_b32_e32 v1, 0
	s_cselect_b32 s3, s5, s3
	s_cselect_b32 s2, s4, s2
	v_cmp_eq_u64_e32 vcc, s[2:3], v[0:1]
	s_and_saveexec_b64 s[2:3], vcc
	s_cbranch_execz .LBB3748_90
; %bb.68:
	s_movk_i32 s2, 0xffd0
	v_mad_i32_i24 v2, v0, s2, v37
	v_mul_hi_u32_u24_e32 v1, 7, v0
	v_mov_b32_e32 v3, s1
	v_sub_co_u32_e32 v0, vcc, s0, v36
	v_subb_co_u32_e32 v1, vcc, v3, v1, vcc
	v_cmp_lt_i64_e32 vcc, 3, v[0:1]
	s_and_saveexec_b64 s[0:1], vcc
	s_xor_b64 s[0:1], exec, s[0:1]
	s_cbranch_execz .LBB3748_78
; %bb.69:
	v_cmp_lt_i64_e32 vcc, 4, v[0:1]
	s_and_saveexec_b64 s[2:3], vcc
	s_xor_b64 s[2:3], exec, s[2:3]
	s_cbranch_execz .LBB3748_75
; %bb.70:
	;; [unrolled: 5-line block ×3, first 2 shown]
	ds_read_b64 v[0:1], v2 offset:6144
	v_mov_b32_e32 v2, 0
	s_waitcnt lgkmcnt(0)
	global_store_dwordx2 v2, v[0:1], s[6:7]
                                        ; implicit-def: $vgpr2
.LBB3748_72:
	s_andn2_saveexec_b64 s[4:5], s[4:5]
	s_cbranch_execz .LBB3748_74
; %bb.73:
	ds_read_b64 v[0:1], v2 offset:5120
	v_mov_b32_e32 v2, 0
	s_waitcnt lgkmcnt(0)
	global_store_dwordx2 v2, v[0:1], s[6:7]
.LBB3748_74:
	s_or_b64 exec, exec, s[4:5]
                                        ; implicit-def: $vgpr2
.LBB3748_75:
	s_andn2_saveexec_b64 s[2:3], s[2:3]
	s_cbranch_execz .LBB3748_77
; %bb.76:
	ds_read_b64 v[0:1], v2 offset:4096
	v_mov_b32_e32 v2, 0
	s_waitcnt lgkmcnt(0)
	global_store_dwordx2 v2, v[0:1], s[6:7]
.LBB3748_77:
	s_or_b64 exec, exec, s[2:3]
                                        ; implicit-def: $vgpr0_vgpr1
                                        ; implicit-def: $vgpr2
.LBB3748_78:
	s_andn2_saveexec_b64 s[0:1], s[0:1]
	s_cbranch_execz .LBB3748_90
; %bb.79:
	v_cmp_lt_i64_e32 vcc, 1, v[0:1]
	s_and_saveexec_b64 s[0:1], vcc
	s_xor_b64 s[0:1], exec, s[0:1]
	s_cbranch_execz .LBB3748_85
; %bb.80:
	v_cmp_lt_i64_e32 vcc, 2, v[0:1]
	s_and_saveexec_b64 s[2:3], vcc
	s_xor_b64 s[2:3], exec, s[2:3]
	s_cbranch_execz .LBB3748_82
; %bb.81:
	ds_read_b64 v[0:1], v2 offset:3072
	v_mov_b32_e32 v2, 0
	s_waitcnt lgkmcnt(0)
	global_store_dwordx2 v2, v[0:1], s[6:7]
                                        ; implicit-def: $vgpr2
.LBB3748_82:
	s_andn2_saveexec_b64 s[2:3], s[2:3]
	s_cbranch_execz .LBB3748_84
; %bb.83:
	ds_read_b64 v[0:1], v2 offset:2048
	v_mov_b32_e32 v2, 0
	s_waitcnt lgkmcnt(0)
	global_store_dwordx2 v2, v[0:1], s[6:7]
.LBB3748_84:
	s_or_b64 exec, exec, s[2:3]
                                        ; implicit-def: $vgpr2
                                        ; implicit-def: $vgpr0_vgpr1
.LBB3748_85:
	s_andn2_saveexec_b64 s[0:1], s[0:1]
	s_cbranch_execz .LBB3748_90
; %bb.86:
	v_cmp_ne_u64_e32 vcc, 1, v[0:1]
	s_and_saveexec_b64 s[0:1], vcc
	s_xor_b64 s[0:1], exec, s[0:1]
	s_cbranch_execz .LBB3748_88
; %bb.87:
	ds_read_b64 v[0:1], v2
	v_mov_b32_e32 v2, 0
	s_waitcnt lgkmcnt(0)
	global_store_dwordx2 v2, v[0:1], s[6:7]
                                        ; implicit-def: $vgpr2
.LBB3748_88:
	s_andn2_saveexec_b64 s[0:1], s[0:1]
	s_cbranch_execz .LBB3748_90
; %bb.89:
	ds_read_b64 v[0:1], v2 offset:1024
	v_mov_b32_e32 v2, 0
	s_waitcnt lgkmcnt(0)
	global_store_dwordx2 v2, v[0:1], s[6:7]
.LBB3748_90:
	s_endpgm
	.section	.rodata,"a",@progbits
	.p2align	6, 0x0
	.amdhsa_kernel _ZN7rocprim17ROCPRIM_400000_NS6detail17trampoline_kernelINS0_14default_configENS1_20scan_config_selectorIxEEZZNS1_9scan_implILNS1_25lookback_scan_determinismE0ELb0ELb0ES3_N6thrust23THRUST_200600_302600_NS6detail15normal_iteratorINS9_10device_ptrIxEEEENS9_16discard_iteratorINS9_11use_defaultEEEx11max_functorIxExEEDaPvRmT3_T4_T5_mT6_P12ihipStream_tbENKUlT_T0_E_clISt17integral_constantIbLb1EESW_IbLb0EEEEDaSS_ST_EUlSS_E_NS1_11comp_targetILNS1_3genE4ELNS1_11target_archE910ELNS1_3gpuE8ELNS1_3repE0EEENS1_30default_config_static_selectorELNS0_4arch9wavefront6targetE1EEEvT1_
		.amdhsa_group_segment_fixed_size 7168
		.amdhsa_private_segment_fixed_size 0
		.amdhsa_kernarg_size 112
		.amdhsa_user_sgpr_count 6
		.amdhsa_user_sgpr_private_segment_buffer 1
		.amdhsa_user_sgpr_dispatch_ptr 0
		.amdhsa_user_sgpr_queue_ptr 0
		.amdhsa_user_sgpr_kernarg_segment_ptr 1
		.amdhsa_user_sgpr_dispatch_id 0
		.amdhsa_user_sgpr_flat_scratch_init 0
		.amdhsa_user_sgpr_kernarg_preload_length 0
		.amdhsa_user_sgpr_kernarg_preload_offset 0
		.amdhsa_user_sgpr_private_segment_size 0
		.amdhsa_uses_dynamic_stack 0
		.amdhsa_system_sgpr_private_segment_wavefront_offset 0
		.amdhsa_system_sgpr_workgroup_id_x 1
		.amdhsa_system_sgpr_workgroup_id_y 0
		.amdhsa_system_sgpr_workgroup_id_z 0
		.amdhsa_system_sgpr_workgroup_info 0
		.amdhsa_system_vgpr_workitem_id 0
		.amdhsa_next_free_vgpr 57
		.amdhsa_next_free_sgpr 24
		.amdhsa_accum_offset 60
		.amdhsa_reserve_vcc 1
		.amdhsa_reserve_flat_scratch 0
		.amdhsa_float_round_mode_32 0
		.amdhsa_float_round_mode_16_64 0
		.amdhsa_float_denorm_mode_32 3
		.amdhsa_float_denorm_mode_16_64 3
		.amdhsa_dx10_clamp 1
		.amdhsa_ieee_mode 1
		.amdhsa_fp16_overflow 0
		.amdhsa_tg_split 0
		.amdhsa_exception_fp_ieee_invalid_op 0
		.amdhsa_exception_fp_denorm_src 0
		.amdhsa_exception_fp_ieee_div_zero 0
		.amdhsa_exception_fp_ieee_overflow 0
		.amdhsa_exception_fp_ieee_underflow 0
		.amdhsa_exception_fp_ieee_inexact 0
		.amdhsa_exception_int_div_zero 0
	.end_amdhsa_kernel
	.section	.text._ZN7rocprim17ROCPRIM_400000_NS6detail17trampoline_kernelINS0_14default_configENS1_20scan_config_selectorIxEEZZNS1_9scan_implILNS1_25lookback_scan_determinismE0ELb0ELb0ES3_N6thrust23THRUST_200600_302600_NS6detail15normal_iteratorINS9_10device_ptrIxEEEENS9_16discard_iteratorINS9_11use_defaultEEEx11max_functorIxExEEDaPvRmT3_T4_T5_mT6_P12ihipStream_tbENKUlT_T0_E_clISt17integral_constantIbLb1EESW_IbLb0EEEEDaSS_ST_EUlSS_E_NS1_11comp_targetILNS1_3genE4ELNS1_11target_archE910ELNS1_3gpuE8ELNS1_3repE0EEENS1_30default_config_static_selectorELNS0_4arch9wavefront6targetE1EEEvT1_,"axG",@progbits,_ZN7rocprim17ROCPRIM_400000_NS6detail17trampoline_kernelINS0_14default_configENS1_20scan_config_selectorIxEEZZNS1_9scan_implILNS1_25lookback_scan_determinismE0ELb0ELb0ES3_N6thrust23THRUST_200600_302600_NS6detail15normal_iteratorINS9_10device_ptrIxEEEENS9_16discard_iteratorINS9_11use_defaultEEEx11max_functorIxExEEDaPvRmT3_T4_T5_mT6_P12ihipStream_tbENKUlT_T0_E_clISt17integral_constantIbLb1EESW_IbLb0EEEEDaSS_ST_EUlSS_E_NS1_11comp_targetILNS1_3genE4ELNS1_11target_archE910ELNS1_3gpuE8ELNS1_3repE0EEENS1_30default_config_static_selectorELNS0_4arch9wavefront6targetE1EEEvT1_,comdat
.Lfunc_end3748:
	.size	_ZN7rocprim17ROCPRIM_400000_NS6detail17trampoline_kernelINS0_14default_configENS1_20scan_config_selectorIxEEZZNS1_9scan_implILNS1_25lookback_scan_determinismE0ELb0ELb0ES3_N6thrust23THRUST_200600_302600_NS6detail15normal_iteratorINS9_10device_ptrIxEEEENS9_16discard_iteratorINS9_11use_defaultEEEx11max_functorIxExEEDaPvRmT3_T4_T5_mT6_P12ihipStream_tbENKUlT_T0_E_clISt17integral_constantIbLb1EESW_IbLb0EEEEDaSS_ST_EUlSS_E_NS1_11comp_targetILNS1_3genE4ELNS1_11target_archE910ELNS1_3gpuE8ELNS1_3repE0EEENS1_30default_config_static_selectorELNS0_4arch9wavefront6targetE1EEEvT1_, .Lfunc_end3748-_ZN7rocprim17ROCPRIM_400000_NS6detail17trampoline_kernelINS0_14default_configENS1_20scan_config_selectorIxEEZZNS1_9scan_implILNS1_25lookback_scan_determinismE0ELb0ELb0ES3_N6thrust23THRUST_200600_302600_NS6detail15normal_iteratorINS9_10device_ptrIxEEEENS9_16discard_iteratorINS9_11use_defaultEEEx11max_functorIxExEEDaPvRmT3_T4_T5_mT6_P12ihipStream_tbENKUlT_T0_E_clISt17integral_constantIbLb1EESW_IbLb0EEEEDaSS_ST_EUlSS_E_NS1_11comp_targetILNS1_3genE4ELNS1_11target_archE910ELNS1_3gpuE8ELNS1_3repE0EEENS1_30default_config_static_selectorELNS0_4arch9wavefront6targetE1EEEvT1_
                                        ; -- End function
	.section	.AMDGPU.csdata,"",@progbits
; Kernel info:
; codeLenInByte = 5664
; NumSgprs: 28
; NumVgprs: 57
; NumAgprs: 0
; TotalNumVgprs: 57
; ScratchSize: 0
; MemoryBound: 0
; FloatMode: 240
; IeeeMode: 1
; LDSByteSize: 7168 bytes/workgroup (compile time only)
; SGPRBlocks: 3
; VGPRBlocks: 7
; NumSGPRsForWavesPerEU: 28
; NumVGPRsForWavesPerEU: 57
; AccumOffset: 60
; Occupancy: 5
; WaveLimiterHint : 1
; COMPUTE_PGM_RSRC2:SCRATCH_EN: 0
; COMPUTE_PGM_RSRC2:USER_SGPR: 6
; COMPUTE_PGM_RSRC2:TRAP_HANDLER: 0
; COMPUTE_PGM_RSRC2:TGID_X_EN: 1
; COMPUTE_PGM_RSRC2:TGID_Y_EN: 0
; COMPUTE_PGM_RSRC2:TGID_Z_EN: 0
; COMPUTE_PGM_RSRC2:TIDIG_COMP_CNT: 0
; COMPUTE_PGM_RSRC3_GFX90A:ACCUM_OFFSET: 14
; COMPUTE_PGM_RSRC3_GFX90A:TG_SPLIT: 0
	.section	.text._ZN7rocprim17ROCPRIM_400000_NS6detail17trampoline_kernelINS0_14default_configENS1_20scan_config_selectorIxEEZZNS1_9scan_implILNS1_25lookback_scan_determinismE0ELb0ELb0ES3_N6thrust23THRUST_200600_302600_NS6detail15normal_iteratorINS9_10device_ptrIxEEEENS9_16discard_iteratorINS9_11use_defaultEEEx11max_functorIxExEEDaPvRmT3_T4_T5_mT6_P12ihipStream_tbENKUlT_T0_E_clISt17integral_constantIbLb1EESW_IbLb0EEEEDaSS_ST_EUlSS_E_NS1_11comp_targetILNS1_3genE3ELNS1_11target_archE908ELNS1_3gpuE7ELNS1_3repE0EEENS1_30default_config_static_selectorELNS0_4arch9wavefront6targetE1EEEvT1_,"axG",@progbits,_ZN7rocprim17ROCPRIM_400000_NS6detail17trampoline_kernelINS0_14default_configENS1_20scan_config_selectorIxEEZZNS1_9scan_implILNS1_25lookback_scan_determinismE0ELb0ELb0ES3_N6thrust23THRUST_200600_302600_NS6detail15normal_iteratorINS9_10device_ptrIxEEEENS9_16discard_iteratorINS9_11use_defaultEEEx11max_functorIxExEEDaPvRmT3_T4_T5_mT6_P12ihipStream_tbENKUlT_T0_E_clISt17integral_constantIbLb1EESW_IbLb0EEEEDaSS_ST_EUlSS_E_NS1_11comp_targetILNS1_3genE3ELNS1_11target_archE908ELNS1_3gpuE7ELNS1_3repE0EEENS1_30default_config_static_selectorELNS0_4arch9wavefront6targetE1EEEvT1_,comdat
	.protected	_ZN7rocprim17ROCPRIM_400000_NS6detail17trampoline_kernelINS0_14default_configENS1_20scan_config_selectorIxEEZZNS1_9scan_implILNS1_25lookback_scan_determinismE0ELb0ELb0ES3_N6thrust23THRUST_200600_302600_NS6detail15normal_iteratorINS9_10device_ptrIxEEEENS9_16discard_iteratorINS9_11use_defaultEEEx11max_functorIxExEEDaPvRmT3_T4_T5_mT6_P12ihipStream_tbENKUlT_T0_E_clISt17integral_constantIbLb1EESW_IbLb0EEEEDaSS_ST_EUlSS_E_NS1_11comp_targetILNS1_3genE3ELNS1_11target_archE908ELNS1_3gpuE7ELNS1_3repE0EEENS1_30default_config_static_selectorELNS0_4arch9wavefront6targetE1EEEvT1_ ; -- Begin function _ZN7rocprim17ROCPRIM_400000_NS6detail17trampoline_kernelINS0_14default_configENS1_20scan_config_selectorIxEEZZNS1_9scan_implILNS1_25lookback_scan_determinismE0ELb0ELb0ES3_N6thrust23THRUST_200600_302600_NS6detail15normal_iteratorINS9_10device_ptrIxEEEENS9_16discard_iteratorINS9_11use_defaultEEEx11max_functorIxExEEDaPvRmT3_T4_T5_mT6_P12ihipStream_tbENKUlT_T0_E_clISt17integral_constantIbLb1EESW_IbLb0EEEEDaSS_ST_EUlSS_E_NS1_11comp_targetILNS1_3genE3ELNS1_11target_archE908ELNS1_3gpuE7ELNS1_3repE0EEENS1_30default_config_static_selectorELNS0_4arch9wavefront6targetE1EEEvT1_
	.globl	_ZN7rocprim17ROCPRIM_400000_NS6detail17trampoline_kernelINS0_14default_configENS1_20scan_config_selectorIxEEZZNS1_9scan_implILNS1_25lookback_scan_determinismE0ELb0ELb0ES3_N6thrust23THRUST_200600_302600_NS6detail15normal_iteratorINS9_10device_ptrIxEEEENS9_16discard_iteratorINS9_11use_defaultEEEx11max_functorIxExEEDaPvRmT3_T4_T5_mT6_P12ihipStream_tbENKUlT_T0_E_clISt17integral_constantIbLb1EESW_IbLb0EEEEDaSS_ST_EUlSS_E_NS1_11comp_targetILNS1_3genE3ELNS1_11target_archE908ELNS1_3gpuE7ELNS1_3repE0EEENS1_30default_config_static_selectorELNS0_4arch9wavefront6targetE1EEEvT1_
	.p2align	8
	.type	_ZN7rocprim17ROCPRIM_400000_NS6detail17trampoline_kernelINS0_14default_configENS1_20scan_config_selectorIxEEZZNS1_9scan_implILNS1_25lookback_scan_determinismE0ELb0ELb0ES3_N6thrust23THRUST_200600_302600_NS6detail15normal_iteratorINS9_10device_ptrIxEEEENS9_16discard_iteratorINS9_11use_defaultEEEx11max_functorIxExEEDaPvRmT3_T4_T5_mT6_P12ihipStream_tbENKUlT_T0_E_clISt17integral_constantIbLb1EESW_IbLb0EEEEDaSS_ST_EUlSS_E_NS1_11comp_targetILNS1_3genE3ELNS1_11target_archE908ELNS1_3gpuE7ELNS1_3repE0EEENS1_30default_config_static_selectorELNS0_4arch9wavefront6targetE1EEEvT1_,@function
_ZN7rocprim17ROCPRIM_400000_NS6detail17trampoline_kernelINS0_14default_configENS1_20scan_config_selectorIxEEZZNS1_9scan_implILNS1_25lookback_scan_determinismE0ELb0ELb0ES3_N6thrust23THRUST_200600_302600_NS6detail15normal_iteratorINS9_10device_ptrIxEEEENS9_16discard_iteratorINS9_11use_defaultEEEx11max_functorIxExEEDaPvRmT3_T4_T5_mT6_P12ihipStream_tbENKUlT_T0_E_clISt17integral_constantIbLb1EESW_IbLb0EEEEDaSS_ST_EUlSS_E_NS1_11comp_targetILNS1_3genE3ELNS1_11target_archE908ELNS1_3gpuE7ELNS1_3repE0EEENS1_30default_config_static_selectorELNS0_4arch9wavefront6targetE1EEEvT1_: ; @_ZN7rocprim17ROCPRIM_400000_NS6detail17trampoline_kernelINS0_14default_configENS1_20scan_config_selectorIxEEZZNS1_9scan_implILNS1_25lookback_scan_determinismE0ELb0ELb0ES3_N6thrust23THRUST_200600_302600_NS6detail15normal_iteratorINS9_10device_ptrIxEEEENS9_16discard_iteratorINS9_11use_defaultEEEx11max_functorIxExEEDaPvRmT3_T4_T5_mT6_P12ihipStream_tbENKUlT_T0_E_clISt17integral_constantIbLb1EESW_IbLb0EEEEDaSS_ST_EUlSS_E_NS1_11comp_targetILNS1_3genE3ELNS1_11target_archE908ELNS1_3gpuE7ELNS1_3repE0EEENS1_30default_config_static_selectorELNS0_4arch9wavefront6targetE1EEEvT1_
; %bb.0:
	.section	.rodata,"a",@progbits
	.p2align	6, 0x0
	.amdhsa_kernel _ZN7rocprim17ROCPRIM_400000_NS6detail17trampoline_kernelINS0_14default_configENS1_20scan_config_selectorIxEEZZNS1_9scan_implILNS1_25lookback_scan_determinismE0ELb0ELb0ES3_N6thrust23THRUST_200600_302600_NS6detail15normal_iteratorINS9_10device_ptrIxEEEENS9_16discard_iteratorINS9_11use_defaultEEEx11max_functorIxExEEDaPvRmT3_T4_T5_mT6_P12ihipStream_tbENKUlT_T0_E_clISt17integral_constantIbLb1EESW_IbLb0EEEEDaSS_ST_EUlSS_E_NS1_11comp_targetILNS1_3genE3ELNS1_11target_archE908ELNS1_3gpuE7ELNS1_3repE0EEENS1_30default_config_static_selectorELNS0_4arch9wavefront6targetE1EEEvT1_
		.amdhsa_group_segment_fixed_size 0
		.amdhsa_private_segment_fixed_size 0
		.amdhsa_kernarg_size 112
		.amdhsa_user_sgpr_count 6
		.amdhsa_user_sgpr_private_segment_buffer 1
		.amdhsa_user_sgpr_dispatch_ptr 0
		.amdhsa_user_sgpr_queue_ptr 0
		.amdhsa_user_sgpr_kernarg_segment_ptr 1
		.amdhsa_user_sgpr_dispatch_id 0
		.amdhsa_user_sgpr_flat_scratch_init 0
		.amdhsa_user_sgpr_kernarg_preload_length 0
		.amdhsa_user_sgpr_kernarg_preload_offset 0
		.amdhsa_user_sgpr_private_segment_size 0
		.amdhsa_uses_dynamic_stack 0
		.amdhsa_system_sgpr_private_segment_wavefront_offset 0
		.amdhsa_system_sgpr_workgroup_id_x 1
		.amdhsa_system_sgpr_workgroup_id_y 0
		.amdhsa_system_sgpr_workgroup_id_z 0
		.amdhsa_system_sgpr_workgroup_info 0
		.amdhsa_system_vgpr_workitem_id 0
		.amdhsa_next_free_vgpr 1
		.amdhsa_next_free_sgpr 0
		.amdhsa_accum_offset 4
		.amdhsa_reserve_vcc 0
		.amdhsa_reserve_flat_scratch 0
		.amdhsa_float_round_mode_32 0
		.amdhsa_float_round_mode_16_64 0
		.amdhsa_float_denorm_mode_32 3
		.amdhsa_float_denorm_mode_16_64 3
		.amdhsa_dx10_clamp 1
		.amdhsa_ieee_mode 1
		.amdhsa_fp16_overflow 0
		.amdhsa_tg_split 0
		.amdhsa_exception_fp_ieee_invalid_op 0
		.amdhsa_exception_fp_denorm_src 0
		.amdhsa_exception_fp_ieee_div_zero 0
		.amdhsa_exception_fp_ieee_overflow 0
		.amdhsa_exception_fp_ieee_underflow 0
		.amdhsa_exception_fp_ieee_inexact 0
		.amdhsa_exception_int_div_zero 0
	.end_amdhsa_kernel
	.section	.text._ZN7rocprim17ROCPRIM_400000_NS6detail17trampoline_kernelINS0_14default_configENS1_20scan_config_selectorIxEEZZNS1_9scan_implILNS1_25lookback_scan_determinismE0ELb0ELb0ES3_N6thrust23THRUST_200600_302600_NS6detail15normal_iteratorINS9_10device_ptrIxEEEENS9_16discard_iteratorINS9_11use_defaultEEEx11max_functorIxExEEDaPvRmT3_T4_T5_mT6_P12ihipStream_tbENKUlT_T0_E_clISt17integral_constantIbLb1EESW_IbLb0EEEEDaSS_ST_EUlSS_E_NS1_11comp_targetILNS1_3genE3ELNS1_11target_archE908ELNS1_3gpuE7ELNS1_3repE0EEENS1_30default_config_static_selectorELNS0_4arch9wavefront6targetE1EEEvT1_,"axG",@progbits,_ZN7rocprim17ROCPRIM_400000_NS6detail17trampoline_kernelINS0_14default_configENS1_20scan_config_selectorIxEEZZNS1_9scan_implILNS1_25lookback_scan_determinismE0ELb0ELb0ES3_N6thrust23THRUST_200600_302600_NS6detail15normal_iteratorINS9_10device_ptrIxEEEENS9_16discard_iteratorINS9_11use_defaultEEEx11max_functorIxExEEDaPvRmT3_T4_T5_mT6_P12ihipStream_tbENKUlT_T0_E_clISt17integral_constantIbLb1EESW_IbLb0EEEEDaSS_ST_EUlSS_E_NS1_11comp_targetILNS1_3genE3ELNS1_11target_archE908ELNS1_3gpuE7ELNS1_3repE0EEENS1_30default_config_static_selectorELNS0_4arch9wavefront6targetE1EEEvT1_,comdat
.Lfunc_end3749:
	.size	_ZN7rocprim17ROCPRIM_400000_NS6detail17trampoline_kernelINS0_14default_configENS1_20scan_config_selectorIxEEZZNS1_9scan_implILNS1_25lookback_scan_determinismE0ELb0ELb0ES3_N6thrust23THRUST_200600_302600_NS6detail15normal_iteratorINS9_10device_ptrIxEEEENS9_16discard_iteratorINS9_11use_defaultEEEx11max_functorIxExEEDaPvRmT3_T4_T5_mT6_P12ihipStream_tbENKUlT_T0_E_clISt17integral_constantIbLb1EESW_IbLb0EEEEDaSS_ST_EUlSS_E_NS1_11comp_targetILNS1_3genE3ELNS1_11target_archE908ELNS1_3gpuE7ELNS1_3repE0EEENS1_30default_config_static_selectorELNS0_4arch9wavefront6targetE1EEEvT1_, .Lfunc_end3749-_ZN7rocprim17ROCPRIM_400000_NS6detail17trampoline_kernelINS0_14default_configENS1_20scan_config_selectorIxEEZZNS1_9scan_implILNS1_25lookback_scan_determinismE0ELb0ELb0ES3_N6thrust23THRUST_200600_302600_NS6detail15normal_iteratorINS9_10device_ptrIxEEEENS9_16discard_iteratorINS9_11use_defaultEEEx11max_functorIxExEEDaPvRmT3_T4_T5_mT6_P12ihipStream_tbENKUlT_T0_E_clISt17integral_constantIbLb1EESW_IbLb0EEEEDaSS_ST_EUlSS_E_NS1_11comp_targetILNS1_3genE3ELNS1_11target_archE908ELNS1_3gpuE7ELNS1_3repE0EEENS1_30default_config_static_selectorELNS0_4arch9wavefront6targetE1EEEvT1_
                                        ; -- End function
	.section	.AMDGPU.csdata,"",@progbits
; Kernel info:
; codeLenInByte = 0
; NumSgprs: 4
; NumVgprs: 0
; NumAgprs: 0
; TotalNumVgprs: 0
; ScratchSize: 0
; MemoryBound: 0
; FloatMode: 240
; IeeeMode: 1
; LDSByteSize: 0 bytes/workgroup (compile time only)
; SGPRBlocks: 0
; VGPRBlocks: 0
; NumSGPRsForWavesPerEU: 4
; NumVGPRsForWavesPerEU: 1
; AccumOffset: 4
; Occupancy: 8
; WaveLimiterHint : 0
; COMPUTE_PGM_RSRC2:SCRATCH_EN: 0
; COMPUTE_PGM_RSRC2:USER_SGPR: 6
; COMPUTE_PGM_RSRC2:TRAP_HANDLER: 0
; COMPUTE_PGM_RSRC2:TGID_X_EN: 1
; COMPUTE_PGM_RSRC2:TGID_Y_EN: 0
; COMPUTE_PGM_RSRC2:TGID_Z_EN: 0
; COMPUTE_PGM_RSRC2:TIDIG_COMP_CNT: 0
; COMPUTE_PGM_RSRC3_GFX90A:ACCUM_OFFSET: 0
; COMPUTE_PGM_RSRC3_GFX90A:TG_SPLIT: 0
	.section	.text._ZN7rocprim17ROCPRIM_400000_NS6detail17trampoline_kernelINS0_14default_configENS1_20scan_config_selectorIxEEZZNS1_9scan_implILNS1_25lookback_scan_determinismE0ELb0ELb0ES3_N6thrust23THRUST_200600_302600_NS6detail15normal_iteratorINS9_10device_ptrIxEEEENS9_16discard_iteratorINS9_11use_defaultEEEx11max_functorIxExEEDaPvRmT3_T4_T5_mT6_P12ihipStream_tbENKUlT_T0_E_clISt17integral_constantIbLb1EESW_IbLb0EEEEDaSS_ST_EUlSS_E_NS1_11comp_targetILNS1_3genE2ELNS1_11target_archE906ELNS1_3gpuE6ELNS1_3repE0EEENS1_30default_config_static_selectorELNS0_4arch9wavefront6targetE1EEEvT1_,"axG",@progbits,_ZN7rocprim17ROCPRIM_400000_NS6detail17trampoline_kernelINS0_14default_configENS1_20scan_config_selectorIxEEZZNS1_9scan_implILNS1_25lookback_scan_determinismE0ELb0ELb0ES3_N6thrust23THRUST_200600_302600_NS6detail15normal_iteratorINS9_10device_ptrIxEEEENS9_16discard_iteratorINS9_11use_defaultEEEx11max_functorIxExEEDaPvRmT3_T4_T5_mT6_P12ihipStream_tbENKUlT_T0_E_clISt17integral_constantIbLb1EESW_IbLb0EEEEDaSS_ST_EUlSS_E_NS1_11comp_targetILNS1_3genE2ELNS1_11target_archE906ELNS1_3gpuE6ELNS1_3repE0EEENS1_30default_config_static_selectorELNS0_4arch9wavefront6targetE1EEEvT1_,comdat
	.protected	_ZN7rocprim17ROCPRIM_400000_NS6detail17trampoline_kernelINS0_14default_configENS1_20scan_config_selectorIxEEZZNS1_9scan_implILNS1_25lookback_scan_determinismE0ELb0ELb0ES3_N6thrust23THRUST_200600_302600_NS6detail15normal_iteratorINS9_10device_ptrIxEEEENS9_16discard_iteratorINS9_11use_defaultEEEx11max_functorIxExEEDaPvRmT3_T4_T5_mT6_P12ihipStream_tbENKUlT_T0_E_clISt17integral_constantIbLb1EESW_IbLb0EEEEDaSS_ST_EUlSS_E_NS1_11comp_targetILNS1_3genE2ELNS1_11target_archE906ELNS1_3gpuE6ELNS1_3repE0EEENS1_30default_config_static_selectorELNS0_4arch9wavefront6targetE1EEEvT1_ ; -- Begin function _ZN7rocprim17ROCPRIM_400000_NS6detail17trampoline_kernelINS0_14default_configENS1_20scan_config_selectorIxEEZZNS1_9scan_implILNS1_25lookback_scan_determinismE0ELb0ELb0ES3_N6thrust23THRUST_200600_302600_NS6detail15normal_iteratorINS9_10device_ptrIxEEEENS9_16discard_iteratorINS9_11use_defaultEEEx11max_functorIxExEEDaPvRmT3_T4_T5_mT6_P12ihipStream_tbENKUlT_T0_E_clISt17integral_constantIbLb1EESW_IbLb0EEEEDaSS_ST_EUlSS_E_NS1_11comp_targetILNS1_3genE2ELNS1_11target_archE906ELNS1_3gpuE6ELNS1_3repE0EEENS1_30default_config_static_selectorELNS0_4arch9wavefront6targetE1EEEvT1_
	.globl	_ZN7rocprim17ROCPRIM_400000_NS6detail17trampoline_kernelINS0_14default_configENS1_20scan_config_selectorIxEEZZNS1_9scan_implILNS1_25lookback_scan_determinismE0ELb0ELb0ES3_N6thrust23THRUST_200600_302600_NS6detail15normal_iteratorINS9_10device_ptrIxEEEENS9_16discard_iteratorINS9_11use_defaultEEEx11max_functorIxExEEDaPvRmT3_T4_T5_mT6_P12ihipStream_tbENKUlT_T0_E_clISt17integral_constantIbLb1EESW_IbLb0EEEEDaSS_ST_EUlSS_E_NS1_11comp_targetILNS1_3genE2ELNS1_11target_archE906ELNS1_3gpuE6ELNS1_3repE0EEENS1_30default_config_static_selectorELNS0_4arch9wavefront6targetE1EEEvT1_
	.p2align	8
	.type	_ZN7rocprim17ROCPRIM_400000_NS6detail17trampoline_kernelINS0_14default_configENS1_20scan_config_selectorIxEEZZNS1_9scan_implILNS1_25lookback_scan_determinismE0ELb0ELb0ES3_N6thrust23THRUST_200600_302600_NS6detail15normal_iteratorINS9_10device_ptrIxEEEENS9_16discard_iteratorINS9_11use_defaultEEEx11max_functorIxExEEDaPvRmT3_T4_T5_mT6_P12ihipStream_tbENKUlT_T0_E_clISt17integral_constantIbLb1EESW_IbLb0EEEEDaSS_ST_EUlSS_E_NS1_11comp_targetILNS1_3genE2ELNS1_11target_archE906ELNS1_3gpuE6ELNS1_3repE0EEENS1_30default_config_static_selectorELNS0_4arch9wavefront6targetE1EEEvT1_,@function
_ZN7rocprim17ROCPRIM_400000_NS6detail17trampoline_kernelINS0_14default_configENS1_20scan_config_selectorIxEEZZNS1_9scan_implILNS1_25lookback_scan_determinismE0ELb0ELb0ES3_N6thrust23THRUST_200600_302600_NS6detail15normal_iteratorINS9_10device_ptrIxEEEENS9_16discard_iteratorINS9_11use_defaultEEEx11max_functorIxExEEDaPvRmT3_T4_T5_mT6_P12ihipStream_tbENKUlT_T0_E_clISt17integral_constantIbLb1EESW_IbLb0EEEEDaSS_ST_EUlSS_E_NS1_11comp_targetILNS1_3genE2ELNS1_11target_archE906ELNS1_3gpuE6ELNS1_3repE0EEENS1_30default_config_static_selectorELNS0_4arch9wavefront6targetE1EEEvT1_: ; @_ZN7rocprim17ROCPRIM_400000_NS6detail17trampoline_kernelINS0_14default_configENS1_20scan_config_selectorIxEEZZNS1_9scan_implILNS1_25lookback_scan_determinismE0ELb0ELb0ES3_N6thrust23THRUST_200600_302600_NS6detail15normal_iteratorINS9_10device_ptrIxEEEENS9_16discard_iteratorINS9_11use_defaultEEEx11max_functorIxExEEDaPvRmT3_T4_T5_mT6_P12ihipStream_tbENKUlT_T0_E_clISt17integral_constantIbLb1EESW_IbLb0EEEEDaSS_ST_EUlSS_E_NS1_11comp_targetILNS1_3genE2ELNS1_11target_archE906ELNS1_3gpuE6ELNS1_3repE0EEENS1_30default_config_static_selectorELNS0_4arch9wavefront6targetE1EEEvT1_
; %bb.0:
	.section	.rodata,"a",@progbits
	.p2align	6, 0x0
	.amdhsa_kernel _ZN7rocprim17ROCPRIM_400000_NS6detail17trampoline_kernelINS0_14default_configENS1_20scan_config_selectorIxEEZZNS1_9scan_implILNS1_25lookback_scan_determinismE0ELb0ELb0ES3_N6thrust23THRUST_200600_302600_NS6detail15normal_iteratorINS9_10device_ptrIxEEEENS9_16discard_iteratorINS9_11use_defaultEEEx11max_functorIxExEEDaPvRmT3_T4_T5_mT6_P12ihipStream_tbENKUlT_T0_E_clISt17integral_constantIbLb1EESW_IbLb0EEEEDaSS_ST_EUlSS_E_NS1_11comp_targetILNS1_3genE2ELNS1_11target_archE906ELNS1_3gpuE6ELNS1_3repE0EEENS1_30default_config_static_selectorELNS0_4arch9wavefront6targetE1EEEvT1_
		.amdhsa_group_segment_fixed_size 0
		.amdhsa_private_segment_fixed_size 0
		.amdhsa_kernarg_size 112
		.amdhsa_user_sgpr_count 6
		.amdhsa_user_sgpr_private_segment_buffer 1
		.amdhsa_user_sgpr_dispatch_ptr 0
		.amdhsa_user_sgpr_queue_ptr 0
		.amdhsa_user_sgpr_kernarg_segment_ptr 1
		.amdhsa_user_sgpr_dispatch_id 0
		.amdhsa_user_sgpr_flat_scratch_init 0
		.amdhsa_user_sgpr_kernarg_preload_length 0
		.amdhsa_user_sgpr_kernarg_preload_offset 0
		.amdhsa_user_sgpr_private_segment_size 0
		.amdhsa_uses_dynamic_stack 0
		.amdhsa_system_sgpr_private_segment_wavefront_offset 0
		.amdhsa_system_sgpr_workgroup_id_x 1
		.amdhsa_system_sgpr_workgroup_id_y 0
		.amdhsa_system_sgpr_workgroup_id_z 0
		.amdhsa_system_sgpr_workgroup_info 0
		.amdhsa_system_vgpr_workitem_id 0
		.amdhsa_next_free_vgpr 1
		.amdhsa_next_free_sgpr 0
		.amdhsa_accum_offset 4
		.amdhsa_reserve_vcc 0
		.amdhsa_reserve_flat_scratch 0
		.amdhsa_float_round_mode_32 0
		.amdhsa_float_round_mode_16_64 0
		.amdhsa_float_denorm_mode_32 3
		.amdhsa_float_denorm_mode_16_64 3
		.amdhsa_dx10_clamp 1
		.amdhsa_ieee_mode 1
		.amdhsa_fp16_overflow 0
		.amdhsa_tg_split 0
		.amdhsa_exception_fp_ieee_invalid_op 0
		.amdhsa_exception_fp_denorm_src 0
		.amdhsa_exception_fp_ieee_div_zero 0
		.amdhsa_exception_fp_ieee_overflow 0
		.amdhsa_exception_fp_ieee_underflow 0
		.amdhsa_exception_fp_ieee_inexact 0
		.amdhsa_exception_int_div_zero 0
	.end_amdhsa_kernel
	.section	.text._ZN7rocprim17ROCPRIM_400000_NS6detail17trampoline_kernelINS0_14default_configENS1_20scan_config_selectorIxEEZZNS1_9scan_implILNS1_25lookback_scan_determinismE0ELb0ELb0ES3_N6thrust23THRUST_200600_302600_NS6detail15normal_iteratorINS9_10device_ptrIxEEEENS9_16discard_iteratorINS9_11use_defaultEEEx11max_functorIxExEEDaPvRmT3_T4_T5_mT6_P12ihipStream_tbENKUlT_T0_E_clISt17integral_constantIbLb1EESW_IbLb0EEEEDaSS_ST_EUlSS_E_NS1_11comp_targetILNS1_3genE2ELNS1_11target_archE906ELNS1_3gpuE6ELNS1_3repE0EEENS1_30default_config_static_selectorELNS0_4arch9wavefront6targetE1EEEvT1_,"axG",@progbits,_ZN7rocprim17ROCPRIM_400000_NS6detail17trampoline_kernelINS0_14default_configENS1_20scan_config_selectorIxEEZZNS1_9scan_implILNS1_25lookback_scan_determinismE0ELb0ELb0ES3_N6thrust23THRUST_200600_302600_NS6detail15normal_iteratorINS9_10device_ptrIxEEEENS9_16discard_iteratorINS9_11use_defaultEEEx11max_functorIxExEEDaPvRmT3_T4_T5_mT6_P12ihipStream_tbENKUlT_T0_E_clISt17integral_constantIbLb1EESW_IbLb0EEEEDaSS_ST_EUlSS_E_NS1_11comp_targetILNS1_3genE2ELNS1_11target_archE906ELNS1_3gpuE6ELNS1_3repE0EEENS1_30default_config_static_selectorELNS0_4arch9wavefront6targetE1EEEvT1_,comdat
.Lfunc_end3750:
	.size	_ZN7rocprim17ROCPRIM_400000_NS6detail17trampoline_kernelINS0_14default_configENS1_20scan_config_selectorIxEEZZNS1_9scan_implILNS1_25lookback_scan_determinismE0ELb0ELb0ES3_N6thrust23THRUST_200600_302600_NS6detail15normal_iteratorINS9_10device_ptrIxEEEENS9_16discard_iteratorINS9_11use_defaultEEEx11max_functorIxExEEDaPvRmT3_T4_T5_mT6_P12ihipStream_tbENKUlT_T0_E_clISt17integral_constantIbLb1EESW_IbLb0EEEEDaSS_ST_EUlSS_E_NS1_11comp_targetILNS1_3genE2ELNS1_11target_archE906ELNS1_3gpuE6ELNS1_3repE0EEENS1_30default_config_static_selectorELNS0_4arch9wavefront6targetE1EEEvT1_, .Lfunc_end3750-_ZN7rocprim17ROCPRIM_400000_NS6detail17trampoline_kernelINS0_14default_configENS1_20scan_config_selectorIxEEZZNS1_9scan_implILNS1_25lookback_scan_determinismE0ELb0ELb0ES3_N6thrust23THRUST_200600_302600_NS6detail15normal_iteratorINS9_10device_ptrIxEEEENS9_16discard_iteratorINS9_11use_defaultEEEx11max_functorIxExEEDaPvRmT3_T4_T5_mT6_P12ihipStream_tbENKUlT_T0_E_clISt17integral_constantIbLb1EESW_IbLb0EEEEDaSS_ST_EUlSS_E_NS1_11comp_targetILNS1_3genE2ELNS1_11target_archE906ELNS1_3gpuE6ELNS1_3repE0EEENS1_30default_config_static_selectorELNS0_4arch9wavefront6targetE1EEEvT1_
                                        ; -- End function
	.section	.AMDGPU.csdata,"",@progbits
; Kernel info:
; codeLenInByte = 0
; NumSgprs: 4
; NumVgprs: 0
; NumAgprs: 0
; TotalNumVgprs: 0
; ScratchSize: 0
; MemoryBound: 0
; FloatMode: 240
; IeeeMode: 1
; LDSByteSize: 0 bytes/workgroup (compile time only)
; SGPRBlocks: 0
; VGPRBlocks: 0
; NumSGPRsForWavesPerEU: 4
; NumVGPRsForWavesPerEU: 1
; AccumOffset: 4
; Occupancy: 8
; WaveLimiterHint : 0
; COMPUTE_PGM_RSRC2:SCRATCH_EN: 0
; COMPUTE_PGM_RSRC2:USER_SGPR: 6
; COMPUTE_PGM_RSRC2:TRAP_HANDLER: 0
; COMPUTE_PGM_RSRC2:TGID_X_EN: 1
; COMPUTE_PGM_RSRC2:TGID_Y_EN: 0
; COMPUTE_PGM_RSRC2:TGID_Z_EN: 0
; COMPUTE_PGM_RSRC2:TIDIG_COMP_CNT: 0
; COMPUTE_PGM_RSRC3_GFX90A:ACCUM_OFFSET: 0
; COMPUTE_PGM_RSRC3_GFX90A:TG_SPLIT: 0
	.section	.text._ZN7rocprim17ROCPRIM_400000_NS6detail17trampoline_kernelINS0_14default_configENS1_20scan_config_selectorIxEEZZNS1_9scan_implILNS1_25lookback_scan_determinismE0ELb0ELb0ES3_N6thrust23THRUST_200600_302600_NS6detail15normal_iteratorINS9_10device_ptrIxEEEENS9_16discard_iteratorINS9_11use_defaultEEEx11max_functorIxExEEDaPvRmT3_T4_T5_mT6_P12ihipStream_tbENKUlT_T0_E_clISt17integral_constantIbLb1EESW_IbLb0EEEEDaSS_ST_EUlSS_E_NS1_11comp_targetILNS1_3genE10ELNS1_11target_archE1201ELNS1_3gpuE5ELNS1_3repE0EEENS1_30default_config_static_selectorELNS0_4arch9wavefront6targetE1EEEvT1_,"axG",@progbits,_ZN7rocprim17ROCPRIM_400000_NS6detail17trampoline_kernelINS0_14default_configENS1_20scan_config_selectorIxEEZZNS1_9scan_implILNS1_25lookback_scan_determinismE0ELb0ELb0ES3_N6thrust23THRUST_200600_302600_NS6detail15normal_iteratorINS9_10device_ptrIxEEEENS9_16discard_iteratorINS9_11use_defaultEEEx11max_functorIxExEEDaPvRmT3_T4_T5_mT6_P12ihipStream_tbENKUlT_T0_E_clISt17integral_constantIbLb1EESW_IbLb0EEEEDaSS_ST_EUlSS_E_NS1_11comp_targetILNS1_3genE10ELNS1_11target_archE1201ELNS1_3gpuE5ELNS1_3repE0EEENS1_30default_config_static_selectorELNS0_4arch9wavefront6targetE1EEEvT1_,comdat
	.protected	_ZN7rocprim17ROCPRIM_400000_NS6detail17trampoline_kernelINS0_14default_configENS1_20scan_config_selectorIxEEZZNS1_9scan_implILNS1_25lookback_scan_determinismE0ELb0ELb0ES3_N6thrust23THRUST_200600_302600_NS6detail15normal_iteratorINS9_10device_ptrIxEEEENS9_16discard_iteratorINS9_11use_defaultEEEx11max_functorIxExEEDaPvRmT3_T4_T5_mT6_P12ihipStream_tbENKUlT_T0_E_clISt17integral_constantIbLb1EESW_IbLb0EEEEDaSS_ST_EUlSS_E_NS1_11comp_targetILNS1_3genE10ELNS1_11target_archE1201ELNS1_3gpuE5ELNS1_3repE0EEENS1_30default_config_static_selectorELNS0_4arch9wavefront6targetE1EEEvT1_ ; -- Begin function _ZN7rocprim17ROCPRIM_400000_NS6detail17trampoline_kernelINS0_14default_configENS1_20scan_config_selectorIxEEZZNS1_9scan_implILNS1_25lookback_scan_determinismE0ELb0ELb0ES3_N6thrust23THRUST_200600_302600_NS6detail15normal_iteratorINS9_10device_ptrIxEEEENS9_16discard_iteratorINS9_11use_defaultEEEx11max_functorIxExEEDaPvRmT3_T4_T5_mT6_P12ihipStream_tbENKUlT_T0_E_clISt17integral_constantIbLb1EESW_IbLb0EEEEDaSS_ST_EUlSS_E_NS1_11comp_targetILNS1_3genE10ELNS1_11target_archE1201ELNS1_3gpuE5ELNS1_3repE0EEENS1_30default_config_static_selectorELNS0_4arch9wavefront6targetE1EEEvT1_
	.globl	_ZN7rocprim17ROCPRIM_400000_NS6detail17trampoline_kernelINS0_14default_configENS1_20scan_config_selectorIxEEZZNS1_9scan_implILNS1_25lookback_scan_determinismE0ELb0ELb0ES3_N6thrust23THRUST_200600_302600_NS6detail15normal_iteratorINS9_10device_ptrIxEEEENS9_16discard_iteratorINS9_11use_defaultEEEx11max_functorIxExEEDaPvRmT3_T4_T5_mT6_P12ihipStream_tbENKUlT_T0_E_clISt17integral_constantIbLb1EESW_IbLb0EEEEDaSS_ST_EUlSS_E_NS1_11comp_targetILNS1_3genE10ELNS1_11target_archE1201ELNS1_3gpuE5ELNS1_3repE0EEENS1_30default_config_static_selectorELNS0_4arch9wavefront6targetE1EEEvT1_
	.p2align	8
	.type	_ZN7rocprim17ROCPRIM_400000_NS6detail17trampoline_kernelINS0_14default_configENS1_20scan_config_selectorIxEEZZNS1_9scan_implILNS1_25lookback_scan_determinismE0ELb0ELb0ES3_N6thrust23THRUST_200600_302600_NS6detail15normal_iteratorINS9_10device_ptrIxEEEENS9_16discard_iteratorINS9_11use_defaultEEEx11max_functorIxExEEDaPvRmT3_T4_T5_mT6_P12ihipStream_tbENKUlT_T0_E_clISt17integral_constantIbLb1EESW_IbLb0EEEEDaSS_ST_EUlSS_E_NS1_11comp_targetILNS1_3genE10ELNS1_11target_archE1201ELNS1_3gpuE5ELNS1_3repE0EEENS1_30default_config_static_selectorELNS0_4arch9wavefront6targetE1EEEvT1_,@function
_ZN7rocprim17ROCPRIM_400000_NS6detail17trampoline_kernelINS0_14default_configENS1_20scan_config_selectorIxEEZZNS1_9scan_implILNS1_25lookback_scan_determinismE0ELb0ELb0ES3_N6thrust23THRUST_200600_302600_NS6detail15normal_iteratorINS9_10device_ptrIxEEEENS9_16discard_iteratorINS9_11use_defaultEEEx11max_functorIxExEEDaPvRmT3_T4_T5_mT6_P12ihipStream_tbENKUlT_T0_E_clISt17integral_constantIbLb1EESW_IbLb0EEEEDaSS_ST_EUlSS_E_NS1_11comp_targetILNS1_3genE10ELNS1_11target_archE1201ELNS1_3gpuE5ELNS1_3repE0EEENS1_30default_config_static_selectorELNS0_4arch9wavefront6targetE1EEEvT1_: ; @_ZN7rocprim17ROCPRIM_400000_NS6detail17trampoline_kernelINS0_14default_configENS1_20scan_config_selectorIxEEZZNS1_9scan_implILNS1_25lookback_scan_determinismE0ELb0ELb0ES3_N6thrust23THRUST_200600_302600_NS6detail15normal_iteratorINS9_10device_ptrIxEEEENS9_16discard_iteratorINS9_11use_defaultEEEx11max_functorIxExEEDaPvRmT3_T4_T5_mT6_P12ihipStream_tbENKUlT_T0_E_clISt17integral_constantIbLb1EESW_IbLb0EEEEDaSS_ST_EUlSS_E_NS1_11comp_targetILNS1_3genE10ELNS1_11target_archE1201ELNS1_3gpuE5ELNS1_3repE0EEENS1_30default_config_static_selectorELNS0_4arch9wavefront6targetE1EEEvT1_
; %bb.0:
	.section	.rodata,"a",@progbits
	.p2align	6, 0x0
	.amdhsa_kernel _ZN7rocprim17ROCPRIM_400000_NS6detail17trampoline_kernelINS0_14default_configENS1_20scan_config_selectorIxEEZZNS1_9scan_implILNS1_25lookback_scan_determinismE0ELb0ELb0ES3_N6thrust23THRUST_200600_302600_NS6detail15normal_iteratorINS9_10device_ptrIxEEEENS9_16discard_iteratorINS9_11use_defaultEEEx11max_functorIxExEEDaPvRmT3_T4_T5_mT6_P12ihipStream_tbENKUlT_T0_E_clISt17integral_constantIbLb1EESW_IbLb0EEEEDaSS_ST_EUlSS_E_NS1_11comp_targetILNS1_3genE10ELNS1_11target_archE1201ELNS1_3gpuE5ELNS1_3repE0EEENS1_30default_config_static_selectorELNS0_4arch9wavefront6targetE1EEEvT1_
		.amdhsa_group_segment_fixed_size 0
		.amdhsa_private_segment_fixed_size 0
		.amdhsa_kernarg_size 112
		.amdhsa_user_sgpr_count 6
		.amdhsa_user_sgpr_private_segment_buffer 1
		.amdhsa_user_sgpr_dispatch_ptr 0
		.amdhsa_user_sgpr_queue_ptr 0
		.amdhsa_user_sgpr_kernarg_segment_ptr 1
		.amdhsa_user_sgpr_dispatch_id 0
		.amdhsa_user_sgpr_flat_scratch_init 0
		.amdhsa_user_sgpr_kernarg_preload_length 0
		.amdhsa_user_sgpr_kernarg_preload_offset 0
		.amdhsa_user_sgpr_private_segment_size 0
		.amdhsa_uses_dynamic_stack 0
		.amdhsa_system_sgpr_private_segment_wavefront_offset 0
		.amdhsa_system_sgpr_workgroup_id_x 1
		.amdhsa_system_sgpr_workgroup_id_y 0
		.amdhsa_system_sgpr_workgroup_id_z 0
		.amdhsa_system_sgpr_workgroup_info 0
		.amdhsa_system_vgpr_workitem_id 0
		.amdhsa_next_free_vgpr 1
		.amdhsa_next_free_sgpr 0
		.amdhsa_accum_offset 4
		.amdhsa_reserve_vcc 0
		.amdhsa_reserve_flat_scratch 0
		.amdhsa_float_round_mode_32 0
		.amdhsa_float_round_mode_16_64 0
		.amdhsa_float_denorm_mode_32 3
		.amdhsa_float_denorm_mode_16_64 3
		.amdhsa_dx10_clamp 1
		.amdhsa_ieee_mode 1
		.amdhsa_fp16_overflow 0
		.amdhsa_tg_split 0
		.amdhsa_exception_fp_ieee_invalid_op 0
		.amdhsa_exception_fp_denorm_src 0
		.amdhsa_exception_fp_ieee_div_zero 0
		.amdhsa_exception_fp_ieee_overflow 0
		.amdhsa_exception_fp_ieee_underflow 0
		.amdhsa_exception_fp_ieee_inexact 0
		.amdhsa_exception_int_div_zero 0
	.end_amdhsa_kernel
	.section	.text._ZN7rocprim17ROCPRIM_400000_NS6detail17trampoline_kernelINS0_14default_configENS1_20scan_config_selectorIxEEZZNS1_9scan_implILNS1_25lookback_scan_determinismE0ELb0ELb0ES3_N6thrust23THRUST_200600_302600_NS6detail15normal_iteratorINS9_10device_ptrIxEEEENS9_16discard_iteratorINS9_11use_defaultEEEx11max_functorIxExEEDaPvRmT3_T4_T5_mT6_P12ihipStream_tbENKUlT_T0_E_clISt17integral_constantIbLb1EESW_IbLb0EEEEDaSS_ST_EUlSS_E_NS1_11comp_targetILNS1_3genE10ELNS1_11target_archE1201ELNS1_3gpuE5ELNS1_3repE0EEENS1_30default_config_static_selectorELNS0_4arch9wavefront6targetE1EEEvT1_,"axG",@progbits,_ZN7rocprim17ROCPRIM_400000_NS6detail17trampoline_kernelINS0_14default_configENS1_20scan_config_selectorIxEEZZNS1_9scan_implILNS1_25lookback_scan_determinismE0ELb0ELb0ES3_N6thrust23THRUST_200600_302600_NS6detail15normal_iteratorINS9_10device_ptrIxEEEENS9_16discard_iteratorINS9_11use_defaultEEEx11max_functorIxExEEDaPvRmT3_T4_T5_mT6_P12ihipStream_tbENKUlT_T0_E_clISt17integral_constantIbLb1EESW_IbLb0EEEEDaSS_ST_EUlSS_E_NS1_11comp_targetILNS1_3genE10ELNS1_11target_archE1201ELNS1_3gpuE5ELNS1_3repE0EEENS1_30default_config_static_selectorELNS0_4arch9wavefront6targetE1EEEvT1_,comdat
.Lfunc_end3751:
	.size	_ZN7rocprim17ROCPRIM_400000_NS6detail17trampoline_kernelINS0_14default_configENS1_20scan_config_selectorIxEEZZNS1_9scan_implILNS1_25lookback_scan_determinismE0ELb0ELb0ES3_N6thrust23THRUST_200600_302600_NS6detail15normal_iteratorINS9_10device_ptrIxEEEENS9_16discard_iteratorINS9_11use_defaultEEEx11max_functorIxExEEDaPvRmT3_T4_T5_mT6_P12ihipStream_tbENKUlT_T0_E_clISt17integral_constantIbLb1EESW_IbLb0EEEEDaSS_ST_EUlSS_E_NS1_11comp_targetILNS1_3genE10ELNS1_11target_archE1201ELNS1_3gpuE5ELNS1_3repE0EEENS1_30default_config_static_selectorELNS0_4arch9wavefront6targetE1EEEvT1_, .Lfunc_end3751-_ZN7rocprim17ROCPRIM_400000_NS6detail17trampoline_kernelINS0_14default_configENS1_20scan_config_selectorIxEEZZNS1_9scan_implILNS1_25lookback_scan_determinismE0ELb0ELb0ES3_N6thrust23THRUST_200600_302600_NS6detail15normal_iteratorINS9_10device_ptrIxEEEENS9_16discard_iteratorINS9_11use_defaultEEEx11max_functorIxExEEDaPvRmT3_T4_T5_mT6_P12ihipStream_tbENKUlT_T0_E_clISt17integral_constantIbLb1EESW_IbLb0EEEEDaSS_ST_EUlSS_E_NS1_11comp_targetILNS1_3genE10ELNS1_11target_archE1201ELNS1_3gpuE5ELNS1_3repE0EEENS1_30default_config_static_selectorELNS0_4arch9wavefront6targetE1EEEvT1_
                                        ; -- End function
	.section	.AMDGPU.csdata,"",@progbits
; Kernel info:
; codeLenInByte = 0
; NumSgprs: 4
; NumVgprs: 0
; NumAgprs: 0
; TotalNumVgprs: 0
; ScratchSize: 0
; MemoryBound: 0
; FloatMode: 240
; IeeeMode: 1
; LDSByteSize: 0 bytes/workgroup (compile time only)
; SGPRBlocks: 0
; VGPRBlocks: 0
; NumSGPRsForWavesPerEU: 4
; NumVGPRsForWavesPerEU: 1
; AccumOffset: 4
; Occupancy: 8
; WaveLimiterHint : 0
; COMPUTE_PGM_RSRC2:SCRATCH_EN: 0
; COMPUTE_PGM_RSRC2:USER_SGPR: 6
; COMPUTE_PGM_RSRC2:TRAP_HANDLER: 0
; COMPUTE_PGM_RSRC2:TGID_X_EN: 1
; COMPUTE_PGM_RSRC2:TGID_Y_EN: 0
; COMPUTE_PGM_RSRC2:TGID_Z_EN: 0
; COMPUTE_PGM_RSRC2:TIDIG_COMP_CNT: 0
; COMPUTE_PGM_RSRC3_GFX90A:ACCUM_OFFSET: 0
; COMPUTE_PGM_RSRC3_GFX90A:TG_SPLIT: 0
	.section	.text._ZN7rocprim17ROCPRIM_400000_NS6detail17trampoline_kernelINS0_14default_configENS1_20scan_config_selectorIxEEZZNS1_9scan_implILNS1_25lookback_scan_determinismE0ELb0ELb0ES3_N6thrust23THRUST_200600_302600_NS6detail15normal_iteratorINS9_10device_ptrIxEEEENS9_16discard_iteratorINS9_11use_defaultEEEx11max_functorIxExEEDaPvRmT3_T4_T5_mT6_P12ihipStream_tbENKUlT_T0_E_clISt17integral_constantIbLb1EESW_IbLb0EEEEDaSS_ST_EUlSS_E_NS1_11comp_targetILNS1_3genE10ELNS1_11target_archE1200ELNS1_3gpuE4ELNS1_3repE0EEENS1_30default_config_static_selectorELNS0_4arch9wavefront6targetE1EEEvT1_,"axG",@progbits,_ZN7rocprim17ROCPRIM_400000_NS6detail17trampoline_kernelINS0_14default_configENS1_20scan_config_selectorIxEEZZNS1_9scan_implILNS1_25lookback_scan_determinismE0ELb0ELb0ES3_N6thrust23THRUST_200600_302600_NS6detail15normal_iteratorINS9_10device_ptrIxEEEENS9_16discard_iteratorINS9_11use_defaultEEEx11max_functorIxExEEDaPvRmT3_T4_T5_mT6_P12ihipStream_tbENKUlT_T0_E_clISt17integral_constantIbLb1EESW_IbLb0EEEEDaSS_ST_EUlSS_E_NS1_11comp_targetILNS1_3genE10ELNS1_11target_archE1200ELNS1_3gpuE4ELNS1_3repE0EEENS1_30default_config_static_selectorELNS0_4arch9wavefront6targetE1EEEvT1_,comdat
	.protected	_ZN7rocprim17ROCPRIM_400000_NS6detail17trampoline_kernelINS0_14default_configENS1_20scan_config_selectorIxEEZZNS1_9scan_implILNS1_25lookback_scan_determinismE0ELb0ELb0ES3_N6thrust23THRUST_200600_302600_NS6detail15normal_iteratorINS9_10device_ptrIxEEEENS9_16discard_iteratorINS9_11use_defaultEEEx11max_functorIxExEEDaPvRmT3_T4_T5_mT6_P12ihipStream_tbENKUlT_T0_E_clISt17integral_constantIbLb1EESW_IbLb0EEEEDaSS_ST_EUlSS_E_NS1_11comp_targetILNS1_3genE10ELNS1_11target_archE1200ELNS1_3gpuE4ELNS1_3repE0EEENS1_30default_config_static_selectorELNS0_4arch9wavefront6targetE1EEEvT1_ ; -- Begin function _ZN7rocprim17ROCPRIM_400000_NS6detail17trampoline_kernelINS0_14default_configENS1_20scan_config_selectorIxEEZZNS1_9scan_implILNS1_25lookback_scan_determinismE0ELb0ELb0ES3_N6thrust23THRUST_200600_302600_NS6detail15normal_iteratorINS9_10device_ptrIxEEEENS9_16discard_iteratorINS9_11use_defaultEEEx11max_functorIxExEEDaPvRmT3_T4_T5_mT6_P12ihipStream_tbENKUlT_T0_E_clISt17integral_constantIbLb1EESW_IbLb0EEEEDaSS_ST_EUlSS_E_NS1_11comp_targetILNS1_3genE10ELNS1_11target_archE1200ELNS1_3gpuE4ELNS1_3repE0EEENS1_30default_config_static_selectorELNS0_4arch9wavefront6targetE1EEEvT1_
	.globl	_ZN7rocprim17ROCPRIM_400000_NS6detail17trampoline_kernelINS0_14default_configENS1_20scan_config_selectorIxEEZZNS1_9scan_implILNS1_25lookback_scan_determinismE0ELb0ELb0ES3_N6thrust23THRUST_200600_302600_NS6detail15normal_iteratorINS9_10device_ptrIxEEEENS9_16discard_iteratorINS9_11use_defaultEEEx11max_functorIxExEEDaPvRmT3_T4_T5_mT6_P12ihipStream_tbENKUlT_T0_E_clISt17integral_constantIbLb1EESW_IbLb0EEEEDaSS_ST_EUlSS_E_NS1_11comp_targetILNS1_3genE10ELNS1_11target_archE1200ELNS1_3gpuE4ELNS1_3repE0EEENS1_30default_config_static_selectorELNS0_4arch9wavefront6targetE1EEEvT1_
	.p2align	8
	.type	_ZN7rocprim17ROCPRIM_400000_NS6detail17trampoline_kernelINS0_14default_configENS1_20scan_config_selectorIxEEZZNS1_9scan_implILNS1_25lookback_scan_determinismE0ELb0ELb0ES3_N6thrust23THRUST_200600_302600_NS6detail15normal_iteratorINS9_10device_ptrIxEEEENS9_16discard_iteratorINS9_11use_defaultEEEx11max_functorIxExEEDaPvRmT3_T4_T5_mT6_P12ihipStream_tbENKUlT_T0_E_clISt17integral_constantIbLb1EESW_IbLb0EEEEDaSS_ST_EUlSS_E_NS1_11comp_targetILNS1_3genE10ELNS1_11target_archE1200ELNS1_3gpuE4ELNS1_3repE0EEENS1_30default_config_static_selectorELNS0_4arch9wavefront6targetE1EEEvT1_,@function
_ZN7rocprim17ROCPRIM_400000_NS6detail17trampoline_kernelINS0_14default_configENS1_20scan_config_selectorIxEEZZNS1_9scan_implILNS1_25lookback_scan_determinismE0ELb0ELb0ES3_N6thrust23THRUST_200600_302600_NS6detail15normal_iteratorINS9_10device_ptrIxEEEENS9_16discard_iteratorINS9_11use_defaultEEEx11max_functorIxExEEDaPvRmT3_T4_T5_mT6_P12ihipStream_tbENKUlT_T0_E_clISt17integral_constantIbLb1EESW_IbLb0EEEEDaSS_ST_EUlSS_E_NS1_11comp_targetILNS1_3genE10ELNS1_11target_archE1200ELNS1_3gpuE4ELNS1_3repE0EEENS1_30default_config_static_selectorELNS0_4arch9wavefront6targetE1EEEvT1_: ; @_ZN7rocprim17ROCPRIM_400000_NS6detail17trampoline_kernelINS0_14default_configENS1_20scan_config_selectorIxEEZZNS1_9scan_implILNS1_25lookback_scan_determinismE0ELb0ELb0ES3_N6thrust23THRUST_200600_302600_NS6detail15normal_iteratorINS9_10device_ptrIxEEEENS9_16discard_iteratorINS9_11use_defaultEEEx11max_functorIxExEEDaPvRmT3_T4_T5_mT6_P12ihipStream_tbENKUlT_T0_E_clISt17integral_constantIbLb1EESW_IbLb0EEEEDaSS_ST_EUlSS_E_NS1_11comp_targetILNS1_3genE10ELNS1_11target_archE1200ELNS1_3gpuE4ELNS1_3repE0EEENS1_30default_config_static_selectorELNS0_4arch9wavefront6targetE1EEEvT1_
; %bb.0:
	.section	.rodata,"a",@progbits
	.p2align	6, 0x0
	.amdhsa_kernel _ZN7rocprim17ROCPRIM_400000_NS6detail17trampoline_kernelINS0_14default_configENS1_20scan_config_selectorIxEEZZNS1_9scan_implILNS1_25lookback_scan_determinismE0ELb0ELb0ES3_N6thrust23THRUST_200600_302600_NS6detail15normal_iteratorINS9_10device_ptrIxEEEENS9_16discard_iteratorINS9_11use_defaultEEEx11max_functorIxExEEDaPvRmT3_T4_T5_mT6_P12ihipStream_tbENKUlT_T0_E_clISt17integral_constantIbLb1EESW_IbLb0EEEEDaSS_ST_EUlSS_E_NS1_11comp_targetILNS1_3genE10ELNS1_11target_archE1200ELNS1_3gpuE4ELNS1_3repE0EEENS1_30default_config_static_selectorELNS0_4arch9wavefront6targetE1EEEvT1_
		.amdhsa_group_segment_fixed_size 0
		.amdhsa_private_segment_fixed_size 0
		.amdhsa_kernarg_size 112
		.amdhsa_user_sgpr_count 6
		.amdhsa_user_sgpr_private_segment_buffer 1
		.amdhsa_user_sgpr_dispatch_ptr 0
		.amdhsa_user_sgpr_queue_ptr 0
		.amdhsa_user_sgpr_kernarg_segment_ptr 1
		.amdhsa_user_sgpr_dispatch_id 0
		.amdhsa_user_sgpr_flat_scratch_init 0
		.amdhsa_user_sgpr_kernarg_preload_length 0
		.amdhsa_user_sgpr_kernarg_preload_offset 0
		.amdhsa_user_sgpr_private_segment_size 0
		.amdhsa_uses_dynamic_stack 0
		.amdhsa_system_sgpr_private_segment_wavefront_offset 0
		.amdhsa_system_sgpr_workgroup_id_x 1
		.amdhsa_system_sgpr_workgroup_id_y 0
		.amdhsa_system_sgpr_workgroup_id_z 0
		.amdhsa_system_sgpr_workgroup_info 0
		.amdhsa_system_vgpr_workitem_id 0
		.amdhsa_next_free_vgpr 1
		.amdhsa_next_free_sgpr 0
		.amdhsa_accum_offset 4
		.amdhsa_reserve_vcc 0
		.amdhsa_reserve_flat_scratch 0
		.amdhsa_float_round_mode_32 0
		.amdhsa_float_round_mode_16_64 0
		.amdhsa_float_denorm_mode_32 3
		.amdhsa_float_denorm_mode_16_64 3
		.amdhsa_dx10_clamp 1
		.amdhsa_ieee_mode 1
		.amdhsa_fp16_overflow 0
		.amdhsa_tg_split 0
		.amdhsa_exception_fp_ieee_invalid_op 0
		.amdhsa_exception_fp_denorm_src 0
		.amdhsa_exception_fp_ieee_div_zero 0
		.amdhsa_exception_fp_ieee_overflow 0
		.amdhsa_exception_fp_ieee_underflow 0
		.amdhsa_exception_fp_ieee_inexact 0
		.amdhsa_exception_int_div_zero 0
	.end_amdhsa_kernel
	.section	.text._ZN7rocprim17ROCPRIM_400000_NS6detail17trampoline_kernelINS0_14default_configENS1_20scan_config_selectorIxEEZZNS1_9scan_implILNS1_25lookback_scan_determinismE0ELb0ELb0ES3_N6thrust23THRUST_200600_302600_NS6detail15normal_iteratorINS9_10device_ptrIxEEEENS9_16discard_iteratorINS9_11use_defaultEEEx11max_functorIxExEEDaPvRmT3_T4_T5_mT6_P12ihipStream_tbENKUlT_T0_E_clISt17integral_constantIbLb1EESW_IbLb0EEEEDaSS_ST_EUlSS_E_NS1_11comp_targetILNS1_3genE10ELNS1_11target_archE1200ELNS1_3gpuE4ELNS1_3repE0EEENS1_30default_config_static_selectorELNS0_4arch9wavefront6targetE1EEEvT1_,"axG",@progbits,_ZN7rocprim17ROCPRIM_400000_NS6detail17trampoline_kernelINS0_14default_configENS1_20scan_config_selectorIxEEZZNS1_9scan_implILNS1_25lookback_scan_determinismE0ELb0ELb0ES3_N6thrust23THRUST_200600_302600_NS6detail15normal_iteratorINS9_10device_ptrIxEEEENS9_16discard_iteratorINS9_11use_defaultEEEx11max_functorIxExEEDaPvRmT3_T4_T5_mT6_P12ihipStream_tbENKUlT_T0_E_clISt17integral_constantIbLb1EESW_IbLb0EEEEDaSS_ST_EUlSS_E_NS1_11comp_targetILNS1_3genE10ELNS1_11target_archE1200ELNS1_3gpuE4ELNS1_3repE0EEENS1_30default_config_static_selectorELNS0_4arch9wavefront6targetE1EEEvT1_,comdat
.Lfunc_end3752:
	.size	_ZN7rocprim17ROCPRIM_400000_NS6detail17trampoline_kernelINS0_14default_configENS1_20scan_config_selectorIxEEZZNS1_9scan_implILNS1_25lookback_scan_determinismE0ELb0ELb0ES3_N6thrust23THRUST_200600_302600_NS6detail15normal_iteratorINS9_10device_ptrIxEEEENS9_16discard_iteratorINS9_11use_defaultEEEx11max_functorIxExEEDaPvRmT3_T4_T5_mT6_P12ihipStream_tbENKUlT_T0_E_clISt17integral_constantIbLb1EESW_IbLb0EEEEDaSS_ST_EUlSS_E_NS1_11comp_targetILNS1_3genE10ELNS1_11target_archE1200ELNS1_3gpuE4ELNS1_3repE0EEENS1_30default_config_static_selectorELNS0_4arch9wavefront6targetE1EEEvT1_, .Lfunc_end3752-_ZN7rocprim17ROCPRIM_400000_NS6detail17trampoline_kernelINS0_14default_configENS1_20scan_config_selectorIxEEZZNS1_9scan_implILNS1_25lookback_scan_determinismE0ELb0ELb0ES3_N6thrust23THRUST_200600_302600_NS6detail15normal_iteratorINS9_10device_ptrIxEEEENS9_16discard_iteratorINS9_11use_defaultEEEx11max_functorIxExEEDaPvRmT3_T4_T5_mT6_P12ihipStream_tbENKUlT_T0_E_clISt17integral_constantIbLb1EESW_IbLb0EEEEDaSS_ST_EUlSS_E_NS1_11comp_targetILNS1_3genE10ELNS1_11target_archE1200ELNS1_3gpuE4ELNS1_3repE0EEENS1_30default_config_static_selectorELNS0_4arch9wavefront6targetE1EEEvT1_
                                        ; -- End function
	.section	.AMDGPU.csdata,"",@progbits
; Kernel info:
; codeLenInByte = 0
; NumSgprs: 4
; NumVgprs: 0
; NumAgprs: 0
; TotalNumVgprs: 0
; ScratchSize: 0
; MemoryBound: 0
; FloatMode: 240
; IeeeMode: 1
; LDSByteSize: 0 bytes/workgroup (compile time only)
; SGPRBlocks: 0
; VGPRBlocks: 0
; NumSGPRsForWavesPerEU: 4
; NumVGPRsForWavesPerEU: 1
; AccumOffset: 4
; Occupancy: 8
; WaveLimiterHint : 0
; COMPUTE_PGM_RSRC2:SCRATCH_EN: 0
; COMPUTE_PGM_RSRC2:USER_SGPR: 6
; COMPUTE_PGM_RSRC2:TRAP_HANDLER: 0
; COMPUTE_PGM_RSRC2:TGID_X_EN: 1
; COMPUTE_PGM_RSRC2:TGID_Y_EN: 0
; COMPUTE_PGM_RSRC2:TGID_Z_EN: 0
; COMPUTE_PGM_RSRC2:TIDIG_COMP_CNT: 0
; COMPUTE_PGM_RSRC3_GFX90A:ACCUM_OFFSET: 0
; COMPUTE_PGM_RSRC3_GFX90A:TG_SPLIT: 0
	.section	.text._ZN7rocprim17ROCPRIM_400000_NS6detail17trampoline_kernelINS0_14default_configENS1_20scan_config_selectorIxEEZZNS1_9scan_implILNS1_25lookback_scan_determinismE0ELb0ELb0ES3_N6thrust23THRUST_200600_302600_NS6detail15normal_iteratorINS9_10device_ptrIxEEEENS9_16discard_iteratorINS9_11use_defaultEEEx11max_functorIxExEEDaPvRmT3_T4_T5_mT6_P12ihipStream_tbENKUlT_T0_E_clISt17integral_constantIbLb1EESW_IbLb0EEEEDaSS_ST_EUlSS_E_NS1_11comp_targetILNS1_3genE9ELNS1_11target_archE1100ELNS1_3gpuE3ELNS1_3repE0EEENS1_30default_config_static_selectorELNS0_4arch9wavefront6targetE1EEEvT1_,"axG",@progbits,_ZN7rocprim17ROCPRIM_400000_NS6detail17trampoline_kernelINS0_14default_configENS1_20scan_config_selectorIxEEZZNS1_9scan_implILNS1_25lookback_scan_determinismE0ELb0ELb0ES3_N6thrust23THRUST_200600_302600_NS6detail15normal_iteratorINS9_10device_ptrIxEEEENS9_16discard_iteratorINS9_11use_defaultEEEx11max_functorIxExEEDaPvRmT3_T4_T5_mT6_P12ihipStream_tbENKUlT_T0_E_clISt17integral_constantIbLb1EESW_IbLb0EEEEDaSS_ST_EUlSS_E_NS1_11comp_targetILNS1_3genE9ELNS1_11target_archE1100ELNS1_3gpuE3ELNS1_3repE0EEENS1_30default_config_static_selectorELNS0_4arch9wavefront6targetE1EEEvT1_,comdat
	.protected	_ZN7rocprim17ROCPRIM_400000_NS6detail17trampoline_kernelINS0_14default_configENS1_20scan_config_selectorIxEEZZNS1_9scan_implILNS1_25lookback_scan_determinismE0ELb0ELb0ES3_N6thrust23THRUST_200600_302600_NS6detail15normal_iteratorINS9_10device_ptrIxEEEENS9_16discard_iteratorINS9_11use_defaultEEEx11max_functorIxExEEDaPvRmT3_T4_T5_mT6_P12ihipStream_tbENKUlT_T0_E_clISt17integral_constantIbLb1EESW_IbLb0EEEEDaSS_ST_EUlSS_E_NS1_11comp_targetILNS1_3genE9ELNS1_11target_archE1100ELNS1_3gpuE3ELNS1_3repE0EEENS1_30default_config_static_selectorELNS0_4arch9wavefront6targetE1EEEvT1_ ; -- Begin function _ZN7rocprim17ROCPRIM_400000_NS6detail17trampoline_kernelINS0_14default_configENS1_20scan_config_selectorIxEEZZNS1_9scan_implILNS1_25lookback_scan_determinismE0ELb0ELb0ES3_N6thrust23THRUST_200600_302600_NS6detail15normal_iteratorINS9_10device_ptrIxEEEENS9_16discard_iteratorINS9_11use_defaultEEEx11max_functorIxExEEDaPvRmT3_T4_T5_mT6_P12ihipStream_tbENKUlT_T0_E_clISt17integral_constantIbLb1EESW_IbLb0EEEEDaSS_ST_EUlSS_E_NS1_11comp_targetILNS1_3genE9ELNS1_11target_archE1100ELNS1_3gpuE3ELNS1_3repE0EEENS1_30default_config_static_selectorELNS0_4arch9wavefront6targetE1EEEvT1_
	.globl	_ZN7rocprim17ROCPRIM_400000_NS6detail17trampoline_kernelINS0_14default_configENS1_20scan_config_selectorIxEEZZNS1_9scan_implILNS1_25lookback_scan_determinismE0ELb0ELb0ES3_N6thrust23THRUST_200600_302600_NS6detail15normal_iteratorINS9_10device_ptrIxEEEENS9_16discard_iteratorINS9_11use_defaultEEEx11max_functorIxExEEDaPvRmT3_T4_T5_mT6_P12ihipStream_tbENKUlT_T0_E_clISt17integral_constantIbLb1EESW_IbLb0EEEEDaSS_ST_EUlSS_E_NS1_11comp_targetILNS1_3genE9ELNS1_11target_archE1100ELNS1_3gpuE3ELNS1_3repE0EEENS1_30default_config_static_selectorELNS0_4arch9wavefront6targetE1EEEvT1_
	.p2align	8
	.type	_ZN7rocprim17ROCPRIM_400000_NS6detail17trampoline_kernelINS0_14default_configENS1_20scan_config_selectorIxEEZZNS1_9scan_implILNS1_25lookback_scan_determinismE0ELb0ELb0ES3_N6thrust23THRUST_200600_302600_NS6detail15normal_iteratorINS9_10device_ptrIxEEEENS9_16discard_iteratorINS9_11use_defaultEEEx11max_functorIxExEEDaPvRmT3_T4_T5_mT6_P12ihipStream_tbENKUlT_T0_E_clISt17integral_constantIbLb1EESW_IbLb0EEEEDaSS_ST_EUlSS_E_NS1_11comp_targetILNS1_3genE9ELNS1_11target_archE1100ELNS1_3gpuE3ELNS1_3repE0EEENS1_30default_config_static_selectorELNS0_4arch9wavefront6targetE1EEEvT1_,@function
_ZN7rocprim17ROCPRIM_400000_NS6detail17trampoline_kernelINS0_14default_configENS1_20scan_config_selectorIxEEZZNS1_9scan_implILNS1_25lookback_scan_determinismE0ELb0ELb0ES3_N6thrust23THRUST_200600_302600_NS6detail15normal_iteratorINS9_10device_ptrIxEEEENS9_16discard_iteratorINS9_11use_defaultEEEx11max_functorIxExEEDaPvRmT3_T4_T5_mT6_P12ihipStream_tbENKUlT_T0_E_clISt17integral_constantIbLb1EESW_IbLb0EEEEDaSS_ST_EUlSS_E_NS1_11comp_targetILNS1_3genE9ELNS1_11target_archE1100ELNS1_3gpuE3ELNS1_3repE0EEENS1_30default_config_static_selectorELNS0_4arch9wavefront6targetE1EEEvT1_: ; @_ZN7rocprim17ROCPRIM_400000_NS6detail17trampoline_kernelINS0_14default_configENS1_20scan_config_selectorIxEEZZNS1_9scan_implILNS1_25lookback_scan_determinismE0ELb0ELb0ES3_N6thrust23THRUST_200600_302600_NS6detail15normal_iteratorINS9_10device_ptrIxEEEENS9_16discard_iteratorINS9_11use_defaultEEEx11max_functorIxExEEDaPvRmT3_T4_T5_mT6_P12ihipStream_tbENKUlT_T0_E_clISt17integral_constantIbLb1EESW_IbLb0EEEEDaSS_ST_EUlSS_E_NS1_11comp_targetILNS1_3genE9ELNS1_11target_archE1100ELNS1_3gpuE3ELNS1_3repE0EEENS1_30default_config_static_selectorELNS0_4arch9wavefront6targetE1EEEvT1_
; %bb.0:
	.section	.rodata,"a",@progbits
	.p2align	6, 0x0
	.amdhsa_kernel _ZN7rocprim17ROCPRIM_400000_NS6detail17trampoline_kernelINS0_14default_configENS1_20scan_config_selectorIxEEZZNS1_9scan_implILNS1_25lookback_scan_determinismE0ELb0ELb0ES3_N6thrust23THRUST_200600_302600_NS6detail15normal_iteratorINS9_10device_ptrIxEEEENS9_16discard_iteratorINS9_11use_defaultEEEx11max_functorIxExEEDaPvRmT3_T4_T5_mT6_P12ihipStream_tbENKUlT_T0_E_clISt17integral_constantIbLb1EESW_IbLb0EEEEDaSS_ST_EUlSS_E_NS1_11comp_targetILNS1_3genE9ELNS1_11target_archE1100ELNS1_3gpuE3ELNS1_3repE0EEENS1_30default_config_static_selectorELNS0_4arch9wavefront6targetE1EEEvT1_
		.amdhsa_group_segment_fixed_size 0
		.amdhsa_private_segment_fixed_size 0
		.amdhsa_kernarg_size 112
		.amdhsa_user_sgpr_count 6
		.amdhsa_user_sgpr_private_segment_buffer 1
		.amdhsa_user_sgpr_dispatch_ptr 0
		.amdhsa_user_sgpr_queue_ptr 0
		.amdhsa_user_sgpr_kernarg_segment_ptr 1
		.amdhsa_user_sgpr_dispatch_id 0
		.amdhsa_user_sgpr_flat_scratch_init 0
		.amdhsa_user_sgpr_kernarg_preload_length 0
		.amdhsa_user_sgpr_kernarg_preload_offset 0
		.amdhsa_user_sgpr_private_segment_size 0
		.amdhsa_uses_dynamic_stack 0
		.amdhsa_system_sgpr_private_segment_wavefront_offset 0
		.amdhsa_system_sgpr_workgroup_id_x 1
		.amdhsa_system_sgpr_workgroup_id_y 0
		.amdhsa_system_sgpr_workgroup_id_z 0
		.amdhsa_system_sgpr_workgroup_info 0
		.amdhsa_system_vgpr_workitem_id 0
		.amdhsa_next_free_vgpr 1
		.amdhsa_next_free_sgpr 0
		.amdhsa_accum_offset 4
		.amdhsa_reserve_vcc 0
		.amdhsa_reserve_flat_scratch 0
		.amdhsa_float_round_mode_32 0
		.amdhsa_float_round_mode_16_64 0
		.amdhsa_float_denorm_mode_32 3
		.amdhsa_float_denorm_mode_16_64 3
		.amdhsa_dx10_clamp 1
		.amdhsa_ieee_mode 1
		.amdhsa_fp16_overflow 0
		.amdhsa_tg_split 0
		.amdhsa_exception_fp_ieee_invalid_op 0
		.amdhsa_exception_fp_denorm_src 0
		.amdhsa_exception_fp_ieee_div_zero 0
		.amdhsa_exception_fp_ieee_overflow 0
		.amdhsa_exception_fp_ieee_underflow 0
		.amdhsa_exception_fp_ieee_inexact 0
		.amdhsa_exception_int_div_zero 0
	.end_amdhsa_kernel
	.section	.text._ZN7rocprim17ROCPRIM_400000_NS6detail17trampoline_kernelINS0_14default_configENS1_20scan_config_selectorIxEEZZNS1_9scan_implILNS1_25lookback_scan_determinismE0ELb0ELb0ES3_N6thrust23THRUST_200600_302600_NS6detail15normal_iteratorINS9_10device_ptrIxEEEENS9_16discard_iteratorINS9_11use_defaultEEEx11max_functorIxExEEDaPvRmT3_T4_T5_mT6_P12ihipStream_tbENKUlT_T0_E_clISt17integral_constantIbLb1EESW_IbLb0EEEEDaSS_ST_EUlSS_E_NS1_11comp_targetILNS1_3genE9ELNS1_11target_archE1100ELNS1_3gpuE3ELNS1_3repE0EEENS1_30default_config_static_selectorELNS0_4arch9wavefront6targetE1EEEvT1_,"axG",@progbits,_ZN7rocprim17ROCPRIM_400000_NS6detail17trampoline_kernelINS0_14default_configENS1_20scan_config_selectorIxEEZZNS1_9scan_implILNS1_25lookback_scan_determinismE0ELb0ELb0ES3_N6thrust23THRUST_200600_302600_NS6detail15normal_iteratorINS9_10device_ptrIxEEEENS9_16discard_iteratorINS9_11use_defaultEEEx11max_functorIxExEEDaPvRmT3_T4_T5_mT6_P12ihipStream_tbENKUlT_T0_E_clISt17integral_constantIbLb1EESW_IbLb0EEEEDaSS_ST_EUlSS_E_NS1_11comp_targetILNS1_3genE9ELNS1_11target_archE1100ELNS1_3gpuE3ELNS1_3repE0EEENS1_30default_config_static_selectorELNS0_4arch9wavefront6targetE1EEEvT1_,comdat
.Lfunc_end3753:
	.size	_ZN7rocprim17ROCPRIM_400000_NS6detail17trampoline_kernelINS0_14default_configENS1_20scan_config_selectorIxEEZZNS1_9scan_implILNS1_25lookback_scan_determinismE0ELb0ELb0ES3_N6thrust23THRUST_200600_302600_NS6detail15normal_iteratorINS9_10device_ptrIxEEEENS9_16discard_iteratorINS9_11use_defaultEEEx11max_functorIxExEEDaPvRmT3_T4_T5_mT6_P12ihipStream_tbENKUlT_T0_E_clISt17integral_constantIbLb1EESW_IbLb0EEEEDaSS_ST_EUlSS_E_NS1_11comp_targetILNS1_3genE9ELNS1_11target_archE1100ELNS1_3gpuE3ELNS1_3repE0EEENS1_30default_config_static_selectorELNS0_4arch9wavefront6targetE1EEEvT1_, .Lfunc_end3753-_ZN7rocprim17ROCPRIM_400000_NS6detail17trampoline_kernelINS0_14default_configENS1_20scan_config_selectorIxEEZZNS1_9scan_implILNS1_25lookback_scan_determinismE0ELb0ELb0ES3_N6thrust23THRUST_200600_302600_NS6detail15normal_iteratorINS9_10device_ptrIxEEEENS9_16discard_iteratorINS9_11use_defaultEEEx11max_functorIxExEEDaPvRmT3_T4_T5_mT6_P12ihipStream_tbENKUlT_T0_E_clISt17integral_constantIbLb1EESW_IbLb0EEEEDaSS_ST_EUlSS_E_NS1_11comp_targetILNS1_3genE9ELNS1_11target_archE1100ELNS1_3gpuE3ELNS1_3repE0EEENS1_30default_config_static_selectorELNS0_4arch9wavefront6targetE1EEEvT1_
                                        ; -- End function
	.section	.AMDGPU.csdata,"",@progbits
; Kernel info:
; codeLenInByte = 0
; NumSgprs: 4
; NumVgprs: 0
; NumAgprs: 0
; TotalNumVgprs: 0
; ScratchSize: 0
; MemoryBound: 0
; FloatMode: 240
; IeeeMode: 1
; LDSByteSize: 0 bytes/workgroup (compile time only)
; SGPRBlocks: 0
; VGPRBlocks: 0
; NumSGPRsForWavesPerEU: 4
; NumVGPRsForWavesPerEU: 1
; AccumOffset: 4
; Occupancy: 8
; WaveLimiterHint : 0
; COMPUTE_PGM_RSRC2:SCRATCH_EN: 0
; COMPUTE_PGM_RSRC2:USER_SGPR: 6
; COMPUTE_PGM_RSRC2:TRAP_HANDLER: 0
; COMPUTE_PGM_RSRC2:TGID_X_EN: 1
; COMPUTE_PGM_RSRC2:TGID_Y_EN: 0
; COMPUTE_PGM_RSRC2:TGID_Z_EN: 0
; COMPUTE_PGM_RSRC2:TIDIG_COMP_CNT: 0
; COMPUTE_PGM_RSRC3_GFX90A:ACCUM_OFFSET: 0
; COMPUTE_PGM_RSRC3_GFX90A:TG_SPLIT: 0
	.section	.text._ZN7rocprim17ROCPRIM_400000_NS6detail17trampoline_kernelINS0_14default_configENS1_20scan_config_selectorIxEEZZNS1_9scan_implILNS1_25lookback_scan_determinismE0ELb0ELb0ES3_N6thrust23THRUST_200600_302600_NS6detail15normal_iteratorINS9_10device_ptrIxEEEENS9_16discard_iteratorINS9_11use_defaultEEEx11max_functorIxExEEDaPvRmT3_T4_T5_mT6_P12ihipStream_tbENKUlT_T0_E_clISt17integral_constantIbLb1EESW_IbLb0EEEEDaSS_ST_EUlSS_E_NS1_11comp_targetILNS1_3genE8ELNS1_11target_archE1030ELNS1_3gpuE2ELNS1_3repE0EEENS1_30default_config_static_selectorELNS0_4arch9wavefront6targetE1EEEvT1_,"axG",@progbits,_ZN7rocprim17ROCPRIM_400000_NS6detail17trampoline_kernelINS0_14default_configENS1_20scan_config_selectorIxEEZZNS1_9scan_implILNS1_25lookback_scan_determinismE0ELb0ELb0ES3_N6thrust23THRUST_200600_302600_NS6detail15normal_iteratorINS9_10device_ptrIxEEEENS9_16discard_iteratorINS9_11use_defaultEEEx11max_functorIxExEEDaPvRmT3_T4_T5_mT6_P12ihipStream_tbENKUlT_T0_E_clISt17integral_constantIbLb1EESW_IbLb0EEEEDaSS_ST_EUlSS_E_NS1_11comp_targetILNS1_3genE8ELNS1_11target_archE1030ELNS1_3gpuE2ELNS1_3repE0EEENS1_30default_config_static_selectorELNS0_4arch9wavefront6targetE1EEEvT1_,comdat
	.protected	_ZN7rocprim17ROCPRIM_400000_NS6detail17trampoline_kernelINS0_14default_configENS1_20scan_config_selectorIxEEZZNS1_9scan_implILNS1_25lookback_scan_determinismE0ELb0ELb0ES3_N6thrust23THRUST_200600_302600_NS6detail15normal_iteratorINS9_10device_ptrIxEEEENS9_16discard_iteratorINS9_11use_defaultEEEx11max_functorIxExEEDaPvRmT3_T4_T5_mT6_P12ihipStream_tbENKUlT_T0_E_clISt17integral_constantIbLb1EESW_IbLb0EEEEDaSS_ST_EUlSS_E_NS1_11comp_targetILNS1_3genE8ELNS1_11target_archE1030ELNS1_3gpuE2ELNS1_3repE0EEENS1_30default_config_static_selectorELNS0_4arch9wavefront6targetE1EEEvT1_ ; -- Begin function _ZN7rocprim17ROCPRIM_400000_NS6detail17trampoline_kernelINS0_14default_configENS1_20scan_config_selectorIxEEZZNS1_9scan_implILNS1_25lookback_scan_determinismE0ELb0ELb0ES3_N6thrust23THRUST_200600_302600_NS6detail15normal_iteratorINS9_10device_ptrIxEEEENS9_16discard_iteratorINS9_11use_defaultEEEx11max_functorIxExEEDaPvRmT3_T4_T5_mT6_P12ihipStream_tbENKUlT_T0_E_clISt17integral_constantIbLb1EESW_IbLb0EEEEDaSS_ST_EUlSS_E_NS1_11comp_targetILNS1_3genE8ELNS1_11target_archE1030ELNS1_3gpuE2ELNS1_3repE0EEENS1_30default_config_static_selectorELNS0_4arch9wavefront6targetE1EEEvT1_
	.globl	_ZN7rocprim17ROCPRIM_400000_NS6detail17trampoline_kernelINS0_14default_configENS1_20scan_config_selectorIxEEZZNS1_9scan_implILNS1_25lookback_scan_determinismE0ELb0ELb0ES3_N6thrust23THRUST_200600_302600_NS6detail15normal_iteratorINS9_10device_ptrIxEEEENS9_16discard_iteratorINS9_11use_defaultEEEx11max_functorIxExEEDaPvRmT3_T4_T5_mT6_P12ihipStream_tbENKUlT_T0_E_clISt17integral_constantIbLb1EESW_IbLb0EEEEDaSS_ST_EUlSS_E_NS1_11comp_targetILNS1_3genE8ELNS1_11target_archE1030ELNS1_3gpuE2ELNS1_3repE0EEENS1_30default_config_static_selectorELNS0_4arch9wavefront6targetE1EEEvT1_
	.p2align	8
	.type	_ZN7rocprim17ROCPRIM_400000_NS6detail17trampoline_kernelINS0_14default_configENS1_20scan_config_selectorIxEEZZNS1_9scan_implILNS1_25lookback_scan_determinismE0ELb0ELb0ES3_N6thrust23THRUST_200600_302600_NS6detail15normal_iteratorINS9_10device_ptrIxEEEENS9_16discard_iteratorINS9_11use_defaultEEEx11max_functorIxExEEDaPvRmT3_T4_T5_mT6_P12ihipStream_tbENKUlT_T0_E_clISt17integral_constantIbLb1EESW_IbLb0EEEEDaSS_ST_EUlSS_E_NS1_11comp_targetILNS1_3genE8ELNS1_11target_archE1030ELNS1_3gpuE2ELNS1_3repE0EEENS1_30default_config_static_selectorELNS0_4arch9wavefront6targetE1EEEvT1_,@function
_ZN7rocprim17ROCPRIM_400000_NS6detail17trampoline_kernelINS0_14default_configENS1_20scan_config_selectorIxEEZZNS1_9scan_implILNS1_25lookback_scan_determinismE0ELb0ELb0ES3_N6thrust23THRUST_200600_302600_NS6detail15normal_iteratorINS9_10device_ptrIxEEEENS9_16discard_iteratorINS9_11use_defaultEEEx11max_functorIxExEEDaPvRmT3_T4_T5_mT6_P12ihipStream_tbENKUlT_T0_E_clISt17integral_constantIbLb1EESW_IbLb0EEEEDaSS_ST_EUlSS_E_NS1_11comp_targetILNS1_3genE8ELNS1_11target_archE1030ELNS1_3gpuE2ELNS1_3repE0EEENS1_30default_config_static_selectorELNS0_4arch9wavefront6targetE1EEEvT1_: ; @_ZN7rocprim17ROCPRIM_400000_NS6detail17trampoline_kernelINS0_14default_configENS1_20scan_config_selectorIxEEZZNS1_9scan_implILNS1_25lookback_scan_determinismE0ELb0ELb0ES3_N6thrust23THRUST_200600_302600_NS6detail15normal_iteratorINS9_10device_ptrIxEEEENS9_16discard_iteratorINS9_11use_defaultEEEx11max_functorIxExEEDaPvRmT3_T4_T5_mT6_P12ihipStream_tbENKUlT_T0_E_clISt17integral_constantIbLb1EESW_IbLb0EEEEDaSS_ST_EUlSS_E_NS1_11comp_targetILNS1_3genE8ELNS1_11target_archE1030ELNS1_3gpuE2ELNS1_3repE0EEENS1_30default_config_static_selectorELNS0_4arch9wavefront6targetE1EEEvT1_
; %bb.0:
	.section	.rodata,"a",@progbits
	.p2align	6, 0x0
	.amdhsa_kernel _ZN7rocprim17ROCPRIM_400000_NS6detail17trampoline_kernelINS0_14default_configENS1_20scan_config_selectorIxEEZZNS1_9scan_implILNS1_25lookback_scan_determinismE0ELb0ELb0ES3_N6thrust23THRUST_200600_302600_NS6detail15normal_iteratorINS9_10device_ptrIxEEEENS9_16discard_iteratorINS9_11use_defaultEEEx11max_functorIxExEEDaPvRmT3_T4_T5_mT6_P12ihipStream_tbENKUlT_T0_E_clISt17integral_constantIbLb1EESW_IbLb0EEEEDaSS_ST_EUlSS_E_NS1_11comp_targetILNS1_3genE8ELNS1_11target_archE1030ELNS1_3gpuE2ELNS1_3repE0EEENS1_30default_config_static_selectorELNS0_4arch9wavefront6targetE1EEEvT1_
		.amdhsa_group_segment_fixed_size 0
		.amdhsa_private_segment_fixed_size 0
		.amdhsa_kernarg_size 112
		.amdhsa_user_sgpr_count 6
		.amdhsa_user_sgpr_private_segment_buffer 1
		.amdhsa_user_sgpr_dispatch_ptr 0
		.amdhsa_user_sgpr_queue_ptr 0
		.amdhsa_user_sgpr_kernarg_segment_ptr 1
		.amdhsa_user_sgpr_dispatch_id 0
		.amdhsa_user_sgpr_flat_scratch_init 0
		.amdhsa_user_sgpr_kernarg_preload_length 0
		.amdhsa_user_sgpr_kernarg_preload_offset 0
		.amdhsa_user_sgpr_private_segment_size 0
		.amdhsa_uses_dynamic_stack 0
		.amdhsa_system_sgpr_private_segment_wavefront_offset 0
		.amdhsa_system_sgpr_workgroup_id_x 1
		.amdhsa_system_sgpr_workgroup_id_y 0
		.amdhsa_system_sgpr_workgroup_id_z 0
		.amdhsa_system_sgpr_workgroup_info 0
		.amdhsa_system_vgpr_workitem_id 0
		.amdhsa_next_free_vgpr 1
		.amdhsa_next_free_sgpr 0
		.amdhsa_accum_offset 4
		.amdhsa_reserve_vcc 0
		.amdhsa_reserve_flat_scratch 0
		.amdhsa_float_round_mode_32 0
		.amdhsa_float_round_mode_16_64 0
		.amdhsa_float_denorm_mode_32 3
		.amdhsa_float_denorm_mode_16_64 3
		.amdhsa_dx10_clamp 1
		.amdhsa_ieee_mode 1
		.amdhsa_fp16_overflow 0
		.amdhsa_tg_split 0
		.amdhsa_exception_fp_ieee_invalid_op 0
		.amdhsa_exception_fp_denorm_src 0
		.amdhsa_exception_fp_ieee_div_zero 0
		.amdhsa_exception_fp_ieee_overflow 0
		.amdhsa_exception_fp_ieee_underflow 0
		.amdhsa_exception_fp_ieee_inexact 0
		.amdhsa_exception_int_div_zero 0
	.end_amdhsa_kernel
	.section	.text._ZN7rocprim17ROCPRIM_400000_NS6detail17trampoline_kernelINS0_14default_configENS1_20scan_config_selectorIxEEZZNS1_9scan_implILNS1_25lookback_scan_determinismE0ELb0ELb0ES3_N6thrust23THRUST_200600_302600_NS6detail15normal_iteratorINS9_10device_ptrIxEEEENS9_16discard_iteratorINS9_11use_defaultEEEx11max_functorIxExEEDaPvRmT3_T4_T5_mT6_P12ihipStream_tbENKUlT_T0_E_clISt17integral_constantIbLb1EESW_IbLb0EEEEDaSS_ST_EUlSS_E_NS1_11comp_targetILNS1_3genE8ELNS1_11target_archE1030ELNS1_3gpuE2ELNS1_3repE0EEENS1_30default_config_static_selectorELNS0_4arch9wavefront6targetE1EEEvT1_,"axG",@progbits,_ZN7rocprim17ROCPRIM_400000_NS6detail17trampoline_kernelINS0_14default_configENS1_20scan_config_selectorIxEEZZNS1_9scan_implILNS1_25lookback_scan_determinismE0ELb0ELb0ES3_N6thrust23THRUST_200600_302600_NS6detail15normal_iteratorINS9_10device_ptrIxEEEENS9_16discard_iteratorINS9_11use_defaultEEEx11max_functorIxExEEDaPvRmT3_T4_T5_mT6_P12ihipStream_tbENKUlT_T0_E_clISt17integral_constantIbLb1EESW_IbLb0EEEEDaSS_ST_EUlSS_E_NS1_11comp_targetILNS1_3genE8ELNS1_11target_archE1030ELNS1_3gpuE2ELNS1_3repE0EEENS1_30default_config_static_selectorELNS0_4arch9wavefront6targetE1EEEvT1_,comdat
.Lfunc_end3754:
	.size	_ZN7rocprim17ROCPRIM_400000_NS6detail17trampoline_kernelINS0_14default_configENS1_20scan_config_selectorIxEEZZNS1_9scan_implILNS1_25lookback_scan_determinismE0ELb0ELb0ES3_N6thrust23THRUST_200600_302600_NS6detail15normal_iteratorINS9_10device_ptrIxEEEENS9_16discard_iteratorINS9_11use_defaultEEEx11max_functorIxExEEDaPvRmT3_T4_T5_mT6_P12ihipStream_tbENKUlT_T0_E_clISt17integral_constantIbLb1EESW_IbLb0EEEEDaSS_ST_EUlSS_E_NS1_11comp_targetILNS1_3genE8ELNS1_11target_archE1030ELNS1_3gpuE2ELNS1_3repE0EEENS1_30default_config_static_selectorELNS0_4arch9wavefront6targetE1EEEvT1_, .Lfunc_end3754-_ZN7rocprim17ROCPRIM_400000_NS6detail17trampoline_kernelINS0_14default_configENS1_20scan_config_selectorIxEEZZNS1_9scan_implILNS1_25lookback_scan_determinismE0ELb0ELb0ES3_N6thrust23THRUST_200600_302600_NS6detail15normal_iteratorINS9_10device_ptrIxEEEENS9_16discard_iteratorINS9_11use_defaultEEEx11max_functorIxExEEDaPvRmT3_T4_T5_mT6_P12ihipStream_tbENKUlT_T0_E_clISt17integral_constantIbLb1EESW_IbLb0EEEEDaSS_ST_EUlSS_E_NS1_11comp_targetILNS1_3genE8ELNS1_11target_archE1030ELNS1_3gpuE2ELNS1_3repE0EEENS1_30default_config_static_selectorELNS0_4arch9wavefront6targetE1EEEvT1_
                                        ; -- End function
	.section	.AMDGPU.csdata,"",@progbits
; Kernel info:
; codeLenInByte = 0
; NumSgprs: 4
; NumVgprs: 0
; NumAgprs: 0
; TotalNumVgprs: 0
; ScratchSize: 0
; MemoryBound: 0
; FloatMode: 240
; IeeeMode: 1
; LDSByteSize: 0 bytes/workgroup (compile time only)
; SGPRBlocks: 0
; VGPRBlocks: 0
; NumSGPRsForWavesPerEU: 4
; NumVGPRsForWavesPerEU: 1
; AccumOffset: 4
; Occupancy: 8
; WaveLimiterHint : 0
; COMPUTE_PGM_RSRC2:SCRATCH_EN: 0
; COMPUTE_PGM_RSRC2:USER_SGPR: 6
; COMPUTE_PGM_RSRC2:TRAP_HANDLER: 0
; COMPUTE_PGM_RSRC2:TGID_X_EN: 1
; COMPUTE_PGM_RSRC2:TGID_Y_EN: 0
; COMPUTE_PGM_RSRC2:TGID_Z_EN: 0
; COMPUTE_PGM_RSRC2:TIDIG_COMP_CNT: 0
; COMPUTE_PGM_RSRC3_GFX90A:ACCUM_OFFSET: 0
; COMPUTE_PGM_RSRC3_GFX90A:TG_SPLIT: 0
	.section	.text._ZN7rocprim17ROCPRIM_400000_NS6detail17trampoline_kernelINS0_14default_configENS1_20scan_config_selectorIxEEZZNS1_9scan_implILNS1_25lookback_scan_determinismE0ELb0ELb0ES3_N6thrust23THRUST_200600_302600_NS6detail15normal_iteratorINS9_10device_ptrIxEEEENS9_16discard_iteratorINS9_11use_defaultEEEx11max_functorIxExEEDaPvRmT3_T4_T5_mT6_P12ihipStream_tbENKUlT_T0_E_clISt17integral_constantIbLb1EESW_IbLb0EEEEDaSS_ST_EUlSS_E0_NS1_11comp_targetILNS1_3genE0ELNS1_11target_archE4294967295ELNS1_3gpuE0ELNS1_3repE0EEENS1_30default_config_static_selectorELNS0_4arch9wavefront6targetE1EEEvT1_,"axG",@progbits,_ZN7rocprim17ROCPRIM_400000_NS6detail17trampoline_kernelINS0_14default_configENS1_20scan_config_selectorIxEEZZNS1_9scan_implILNS1_25lookback_scan_determinismE0ELb0ELb0ES3_N6thrust23THRUST_200600_302600_NS6detail15normal_iteratorINS9_10device_ptrIxEEEENS9_16discard_iteratorINS9_11use_defaultEEEx11max_functorIxExEEDaPvRmT3_T4_T5_mT6_P12ihipStream_tbENKUlT_T0_E_clISt17integral_constantIbLb1EESW_IbLb0EEEEDaSS_ST_EUlSS_E0_NS1_11comp_targetILNS1_3genE0ELNS1_11target_archE4294967295ELNS1_3gpuE0ELNS1_3repE0EEENS1_30default_config_static_selectorELNS0_4arch9wavefront6targetE1EEEvT1_,comdat
	.protected	_ZN7rocprim17ROCPRIM_400000_NS6detail17trampoline_kernelINS0_14default_configENS1_20scan_config_selectorIxEEZZNS1_9scan_implILNS1_25lookback_scan_determinismE0ELb0ELb0ES3_N6thrust23THRUST_200600_302600_NS6detail15normal_iteratorINS9_10device_ptrIxEEEENS9_16discard_iteratorINS9_11use_defaultEEEx11max_functorIxExEEDaPvRmT3_T4_T5_mT6_P12ihipStream_tbENKUlT_T0_E_clISt17integral_constantIbLb1EESW_IbLb0EEEEDaSS_ST_EUlSS_E0_NS1_11comp_targetILNS1_3genE0ELNS1_11target_archE4294967295ELNS1_3gpuE0ELNS1_3repE0EEENS1_30default_config_static_selectorELNS0_4arch9wavefront6targetE1EEEvT1_ ; -- Begin function _ZN7rocprim17ROCPRIM_400000_NS6detail17trampoline_kernelINS0_14default_configENS1_20scan_config_selectorIxEEZZNS1_9scan_implILNS1_25lookback_scan_determinismE0ELb0ELb0ES3_N6thrust23THRUST_200600_302600_NS6detail15normal_iteratorINS9_10device_ptrIxEEEENS9_16discard_iteratorINS9_11use_defaultEEEx11max_functorIxExEEDaPvRmT3_T4_T5_mT6_P12ihipStream_tbENKUlT_T0_E_clISt17integral_constantIbLb1EESW_IbLb0EEEEDaSS_ST_EUlSS_E0_NS1_11comp_targetILNS1_3genE0ELNS1_11target_archE4294967295ELNS1_3gpuE0ELNS1_3repE0EEENS1_30default_config_static_selectorELNS0_4arch9wavefront6targetE1EEEvT1_
	.globl	_ZN7rocprim17ROCPRIM_400000_NS6detail17trampoline_kernelINS0_14default_configENS1_20scan_config_selectorIxEEZZNS1_9scan_implILNS1_25lookback_scan_determinismE0ELb0ELb0ES3_N6thrust23THRUST_200600_302600_NS6detail15normal_iteratorINS9_10device_ptrIxEEEENS9_16discard_iteratorINS9_11use_defaultEEEx11max_functorIxExEEDaPvRmT3_T4_T5_mT6_P12ihipStream_tbENKUlT_T0_E_clISt17integral_constantIbLb1EESW_IbLb0EEEEDaSS_ST_EUlSS_E0_NS1_11comp_targetILNS1_3genE0ELNS1_11target_archE4294967295ELNS1_3gpuE0ELNS1_3repE0EEENS1_30default_config_static_selectorELNS0_4arch9wavefront6targetE1EEEvT1_
	.p2align	8
	.type	_ZN7rocprim17ROCPRIM_400000_NS6detail17trampoline_kernelINS0_14default_configENS1_20scan_config_selectorIxEEZZNS1_9scan_implILNS1_25lookback_scan_determinismE0ELb0ELb0ES3_N6thrust23THRUST_200600_302600_NS6detail15normal_iteratorINS9_10device_ptrIxEEEENS9_16discard_iteratorINS9_11use_defaultEEEx11max_functorIxExEEDaPvRmT3_T4_T5_mT6_P12ihipStream_tbENKUlT_T0_E_clISt17integral_constantIbLb1EESW_IbLb0EEEEDaSS_ST_EUlSS_E0_NS1_11comp_targetILNS1_3genE0ELNS1_11target_archE4294967295ELNS1_3gpuE0ELNS1_3repE0EEENS1_30default_config_static_selectorELNS0_4arch9wavefront6targetE1EEEvT1_,@function
_ZN7rocprim17ROCPRIM_400000_NS6detail17trampoline_kernelINS0_14default_configENS1_20scan_config_selectorIxEEZZNS1_9scan_implILNS1_25lookback_scan_determinismE0ELb0ELb0ES3_N6thrust23THRUST_200600_302600_NS6detail15normal_iteratorINS9_10device_ptrIxEEEENS9_16discard_iteratorINS9_11use_defaultEEEx11max_functorIxExEEDaPvRmT3_T4_T5_mT6_P12ihipStream_tbENKUlT_T0_E_clISt17integral_constantIbLb1EESW_IbLb0EEEEDaSS_ST_EUlSS_E0_NS1_11comp_targetILNS1_3genE0ELNS1_11target_archE4294967295ELNS1_3gpuE0ELNS1_3repE0EEENS1_30default_config_static_selectorELNS0_4arch9wavefront6targetE1EEEvT1_: ; @_ZN7rocprim17ROCPRIM_400000_NS6detail17trampoline_kernelINS0_14default_configENS1_20scan_config_selectorIxEEZZNS1_9scan_implILNS1_25lookback_scan_determinismE0ELb0ELb0ES3_N6thrust23THRUST_200600_302600_NS6detail15normal_iteratorINS9_10device_ptrIxEEEENS9_16discard_iteratorINS9_11use_defaultEEEx11max_functorIxExEEDaPvRmT3_T4_T5_mT6_P12ihipStream_tbENKUlT_T0_E_clISt17integral_constantIbLb1EESW_IbLb0EEEEDaSS_ST_EUlSS_E0_NS1_11comp_targetILNS1_3genE0ELNS1_11target_archE4294967295ELNS1_3gpuE0ELNS1_3repE0EEENS1_30default_config_static_selectorELNS0_4arch9wavefront6targetE1EEEvT1_
; %bb.0:
	.section	.rodata,"a",@progbits
	.p2align	6, 0x0
	.amdhsa_kernel _ZN7rocprim17ROCPRIM_400000_NS6detail17trampoline_kernelINS0_14default_configENS1_20scan_config_selectorIxEEZZNS1_9scan_implILNS1_25lookback_scan_determinismE0ELb0ELb0ES3_N6thrust23THRUST_200600_302600_NS6detail15normal_iteratorINS9_10device_ptrIxEEEENS9_16discard_iteratorINS9_11use_defaultEEEx11max_functorIxExEEDaPvRmT3_T4_T5_mT6_P12ihipStream_tbENKUlT_T0_E_clISt17integral_constantIbLb1EESW_IbLb0EEEEDaSS_ST_EUlSS_E0_NS1_11comp_targetILNS1_3genE0ELNS1_11target_archE4294967295ELNS1_3gpuE0ELNS1_3repE0EEENS1_30default_config_static_selectorELNS0_4arch9wavefront6targetE1EEEvT1_
		.amdhsa_group_segment_fixed_size 0
		.amdhsa_private_segment_fixed_size 0
		.amdhsa_kernarg_size 48
		.amdhsa_user_sgpr_count 6
		.amdhsa_user_sgpr_private_segment_buffer 1
		.amdhsa_user_sgpr_dispatch_ptr 0
		.amdhsa_user_sgpr_queue_ptr 0
		.amdhsa_user_sgpr_kernarg_segment_ptr 1
		.amdhsa_user_sgpr_dispatch_id 0
		.amdhsa_user_sgpr_flat_scratch_init 0
		.amdhsa_user_sgpr_kernarg_preload_length 0
		.amdhsa_user_sgpr_kernarg_preload_offset 0
		.amdhsa_user_sgpr_private_segment_size 0
		.amdhsa_uses_dynamic_stack 0
		.amdhsa_system_sgpr_private_segment_wavefront_offset 0
		.amdhsa_system_sgpr_workgroup_id_x 1
		.amdhsa_system_sgpr_workgroup_id_y 0
		.amdhsa_system_sgpr_workgroup_id_z 0
		.amdhsa_system_sgpr_workgroup_info 0
		.amdhsa_system_vgpr_workitem_id 0
		.amdhsa_next_free_vgpr 1
		.amdhsa_next_free_sgpr 0
		.amdhsa_accum_offset 4
		.amdhsa_reserve_vcc 0
		.amdhsa_reserve_flat_scratch 0
		.amdhsa_float_round_mode_32 0
		.amdhsa_float_round_mode_16_64 0
		.amdhsa_float_denorm_mode_32 3
		.amdhsa_float_denorm_mode_16_64 3
		.amdhsa_dx10_clamp 1
		.amdhsa_ieee_mode 1
		.amdhsa_fp16_overflow 0
		.amdhsa_tg_split 0
		.amdhsa_exception_fp_ieee_invalid_op 0
		.amdhsa_exception_fp_denorm_src 0
		.amdhsa_exception_fp_ieee_div_zero 0
		.amdhsa_exception_fp_ieee_overflow 0
		.amdhsa_exception_fp_ieee_underflow 0
		.amdhsa_exception_fp_ieee_inexact 0
		.amdhsa_exception_int_div_zero 0
	.end_amdhsa_kernel
	.section	.text._ZN7rocprim17ROCPRIM_400000_NS6detail17trampoline_kernelINS0_14default_configENS1_20scan_config_selectorIxEEZZNS1_9scan_implILNS1_25lookback_scan_determinismE0ELb0ELb0ES3_N6thrust23THRUST_200600_302600_NS6detail15normal_iteratorINS9_10device_ptrIxEEEENS9_16discard_iteratorINS9_11use_defaultEEEx11max_functorIxExEEDaPvRmT3_T4_T5_mT6_P12ihipStream_tbENKUlT_T0_E_clISt17integral_constantIbLb1EESW_IbLb0EEEEDaSS_ST_EUlSS_E0_NS1_11comp_targetILNS1_3genE0ELNS1_11target_archE4294967295ELNS1_3gpuE0ELNS1_3repE0EEENS1_30default_config_static_selectorELNS0_4arch9wavefront6targetE1EEEvT1_,"axG",@progbits,_ZN7rocprim17ROCPRIM_400000_NS6detail17trampoline_kernelINS0_14default_configENS1_20scan_config_selectorIxEEZZNS1_9scan_implILNS1_25lookback_scan_determinismE0ELb0ELb0ES3_N6thrust23THRUST_200600_302600_NS6detail15normal_iteratorINS9_10device_ptrIxEEEENS9_16discard_iteratorINS9_11use_defaultEEEx11max_functorIxExEEDaPvRmT3_T4_T5_mT6_P12ihipStream_tbENKUlT_T0_E_clISt17integral_constantIbLb1EESW_IbLb0EEEEDaSS_ST_EUlSS_E0_NS1_11comp_targetILNS1_3genE0ELNS1_11target_archE4294967295ELNS1_3gpuE0ELNS1_3repE0EEENS1_30default_config_static_selectorELNS0_4arch9wavefront6targetE1EEEvT1_,comdat
.Lfunc_end3755:
	.size	_ZN7rocprim17ROCPRIM_400000_NS6detail17trampoline_kernelINS0_14default_configENS1_20scan_config_selectorIxEEZZNS1_9scan_implILNS1_25lookback_scan_determinismE0ELb0ELb0ES3_N6thrust23THRUST_200600_302600_NS6detail15normal_iteratorINS9_10device_ptrIxEEEENS9_16discard_iteratorINS9_11use_defaultEEEx11max_functorIxExEEDaPvRmT3_T4_T5_mT6_P12ihipStream_tbENKUlT_T0_E_clISt17integral_constantIbLb1EESW_IbLb0EEEEDaSS_ST_EUlSS_E0_NS1_11comp_targetILNS1_3genE0ELNS1_11target_archE4294967295ELNS1_3gpuE0ELNS1_3repE0EEENS1_30default_config_static_selectorELNS0_4arch9wavefront6targetE1EEEvT1_, .Lfunc_end3755-_ZN7rocprim17ROCPRIM_400000_NS6detail17trampoline_kernelINS0_14default_configENS1_20scan_config_selectorIxEEZZNS1_9scan_implILNS1_25lookback_scan_determinismE0ELb0ELb0ES3_N6thrust23THRUST_200600_302600_NS6detail15normal_iteratorINS9_10device_ptrIxEEEENS9_16discard_iteratorINS9_11use_defaultEEEx11max_functorIxExEEDaPvRmT3_T4_T5_mT6_P12ihipStream_tbENKUlT_T0_E_clISt17integral_constantIbLb1EESW_IbLb0EEEEDaSS_ST_EUlSS_E0_NS1_11comp_targetILNS1_3genE0ELNS1_11target_archE4294967295ELNS1_3gpuE0ELNS1_3repE0EEENS1_30default_config_static_selectorELNS0_4arch9wavefront6targetE1EEEvT1_
                                        ; -- End function
	.section	.AMDGPU.csdata,"",@progbits
; Kernel info:
; codeLenInByte = 0
; NumSgprs: 4
; NumVgprs: 0
; NumAgprs: 0
; TotalNumVgprs: 0
; ScratchSize: 0
; MemoryBound: 0
; FloatMode: 240
; IeeeMode: 1
; LDSByteSize: 0 bytes/workgroup (compile time only)
; SGPRBlocks: 0
; VGPRBlocks: 0
; NumSGPRsForWavesPerEU: 4
; NumVGPRsForWavesPerEU: 1
; AccumOffset: 4
; Occupancy: 8
; WaveLimiterHint : 0
; COMPUTE_PGM_RSRC2:SCRATCH_EN: 0
; COMPUTE_PGM_RSRC2:USER_SGPR: 6
; COMPUTE_PGM_RSRC2:TRAP_HANDLER: 0
; COMPUTE_PGM_RSRC2:TGID_X_EN: 1
; COMPUTE_PGM_RSRC2:TGID_Y_EN: 0
; COMPUTE_PGM_RSRC2:TGID_Z_EN: 0
; COMPUTE_PGM_RSRC2:TIDIG_COMP_CNT: 0
; COMPUTE_PGM_RSRC3_GFX90A:ACCUM_OFFSET: 0
; COMPUTE_PGM_RSRC3_GFX90A:TG_SPLIT: 0
	.section	.text._ZN7rocprim17ROCPRIM_400000_NS6detail17trampoline_kernelINS0_14default_configENS1_20scan_config_selectorIxEEZZNS1_9scan_implILNS1_25lookback_scan_determinismE0ELb0ELb0ES3_N6thrust23THRUST_200600_302600_NS6detail15normal_iteratorINS9_10device_ptrIxEEEENS9_16discard_iteratorINS9_11use_defaultEEEx11max_functorIxExEEDaPvRmT3_T4_T5_mT6_P12ihipStream_tbENKUlT_T0_E_clISt17integral_constantIbLb1EESW_IbLb0EEEEDaSS_ST_EUlSS_E0_NS1_11comp_targetILNS1_3genE5ELNS1_11target_archE942ELNS1_3gpuE9ELNS1_3repE0EEENS1_30default_config_static_selectorELNS0_4arch9wavefront6targetE1EEEvT1_,"axG",@progbits,_ZN7rocprim17ROCPRIM_400000_NS6detail17trampoline_kernelINS0_14default_configENS1_20scan_config_selectorIxEEZZNS1_9scan_implILNS1_25lookback_scan_determinismE0ELb0ELb0ES3_N6thrust23THRUST_200600_302600_NS6detail15normal_iteratorINS9_10device_ptrIxEEEENS9_16discard_iteratorINS9_11use_defaultEEEx11max_functorIxExEEDaPvRmT3_T4_T5_mT6_P12ihipStream_tbENKUlT_T0_E_clISt17integral_constantIbLb1EESW_IbLb0EEEEDaSS_ST_EUlSS_E0_NS1_11comp_targetILNS1_3genE5ELNS1_11target_archE942ELNS1_3gpuE9ELNS1_3repE0EEENS1_30default_config_static_selectorELNS0_4arch9wavefront6targetE1EEEvT1_,comdat
	.protected	_ZN7rocprim17ROCPRIM_400000_NS6detail17trampoline_kernelINS0_14default_configENS1_20scan_config_selectorIxEEZZNS1_9scan_implILNS1_25lookback_scan_determinismE0ELb0ELb0ES3_N6thrust23THRUST_200600_302600_NS6detail15normal_iteratorINS9_10device_ptrIxEEEENS9_16discard_iteratorINS9_11use_defaultEEEx11max_functorIxExEEDaPvRmT3_T4_T5_mT6_P12ihipStream_tbENKUlT_T0_E_clISt17integral_constantIbLb1EESW_IbLb0EEEEDaSS_ST_EUlSS_E0_NS1_11comp_targetILNS1_3genE5ELNS1_11target_archE942ELNS1_3gpuE9ELNS1_3repE0EEENS1_30default_config_static_selectorELNS0_4arch9wavefront6targetE1EEEvT1_ ; -- Begin function _ZN7rocprim17ROCPRIM_400000_NS6detail17trampoline_kernelINS0_14default_configENS1_20scan_config_selectorIxEEZZNS1_9scan_implILNS1_25lookback_scan_determinismE0ELb0ELb0ES3_N6thrust23THRUST_200600_302600_NS6detail15normal_iteratorINS9_10device_ptrIxEEEENS9_16discard_iteratorINS9_11use_defaultEEEx11max_functorIxExEEDaPvRmT3_T4_T5_mT6_P12ihipStream_tbENKUlT_T0_E_clISt17integral_constantIbLb1EESW_IbLb0EEEEDaSS_ST_EUlSS_E0_NS1_11comp_targetILNS1_3genE5ELNS1_11target_archE942ELNS1_3gpuE9ELNS1_3repE0EEENS1_30default_config_static_selectorELNS0_4arch9wavefront6targetE1EEEvT1_
	.globl	_ZN7rocprim17ROCPRIM_400000_NS6detail17trampoline_kernelINS0_14default_configENS1_20scan_config_selectorIxEEZZNS1_9scan_implILNS1_25lookback_scan_determinismE0ELb0ELb0ES3_N6thrust23THRUST_200600_302600_NS6detail15normal_iteratorINS9_10device_ptrIxEEEENS9_16discard_iteratorINS9_11use_defaultEEEx11max_functorIxExEEDaPvRmT3_T4_T5_mT6_P12ihipStream_tbENKUlT_T0_E_clISt17integral_constantIbLb1EESW_IbLb0EEEEDaSS_ST_EUlSS_E0_NS1_11comp_targetILNS1_3genE5ELNS1_11target_archE942ELNS1_3gpuE9ELNS1_3repE0EEENS1_30default_config_static_selectorELNS0_4arch9wavefront6targetE1EEEvT1_
	.p2align	8
	.type	_ZN7rocprim17ROCPRIM_400000_NS6detail17trampoline_kernelINS0_14default_configENS1_20scan_config_selectorIxEEZZNS1_9scan_implILNS1_25lookback_scan_determinismE0ELb0ELb0ES3_N6thrust23THRUST_200600_302600_NS6detail15normal_iteratorINS9_10device_ptrIxEEEENS9_16discard_iteratorINS9_11use_defaultEEEx11max_functorIxExEEDaPvRmT3_T4_T5_mT6_P12ihipStream_tbENKUlT_T0_E_clISt17integral_constantIbLb1EESW_IbLb0EEEEDaSS_ST_EUlSS_E0_NS1_11comp_targetILNS1_3genE5ELNS1_11target_archE942ELNS1_3gpuE9ELNS1_3repE0EEENS1_30default_config_static_selectorELNS0_4arch9wavefront6targetE1EEEvT1_,@function
_ZN7rocprim17ROCPRIM_400000_NS6detail17trampoline_kernelINS0_14default_configENS1_20scan_config_selectorIxEEZZNS1_9scan_implILNS1_25lookback_scan_determinismE0ELb0ELb0ES3_N6thrust23THRUST_200600_302600_NS6detail15normal_iteratorINS9_10device_ptrIxEEEENS9_16discard_iteratorINS9_11use_defaultEEEx11max_functorIxExEEDaPvRmT3_T4_T5_mT6_P12ihipStream_tbENKUlT_T0_E_clISt17integral_constantIbLb1EESW_IbLb0EEEEDaSS_ST_EUlSS_E0_NS1_11comp_targetILNS1_3genE5ELNS1_11target_archE942ELNS1_3gpuE9ELNS1_3repE0EEENS1_30default_config_static_selectorELNS0_4arch9wavefront6targetE1EEEvT1_: ; @_ZN7rocprim17ROCPRIM_400000_NS6detail17trampoline_kernelINS0_14default_configENS1_20scan_config_selectorIxEEZZNS1_9scan_implILNS1_25lookback_scan_determinismE0ELb0ELb0ES3_N6thrust23THRUST_200600_302600_NS6detail15normal_iteratorINS9_10device_ptrIxEEEENS9_16discard_iteratorINS9_11use_defaultEEEx11max_functorIxExEEDaPvRmT3_T4_T5_mT6_P12ihipStream_tbENKUlT_T0_E_clISt17integral_constantIbLb1EESW_IbLb0EEEEDaSS_ST_EUlSS_E0_NS1_11comp_targetILNS1_3genE5ELNS1_11target_archE942ELNS1_3gpuE9ELNS1_3repE0EEENS1_30default_config_static_selectorELNS0_4arch9wavefront6targetE1EEEvT1_
; %bb.0:
	.section	.rodata,"a",@progbits
	.p2align	6, 0x0
	.amdhsa_kernel _ZN7rocprim17ROCPRIM_400000_NS6detail17trampoline_kernelINS0_14default_configENS1_20scan_config_selectorIxEEZZNS1_9scan_implILNS1_25lookback_scan_determinismE0ELb0ELb0ES3_N6thrust23THRUST_200600_302600_NS6detail15normal_iteratorINS9_10device_ptrIxEEEENS9_16discard_iteratorINS9_11use_defaultEEEx11max_functorIxExEEDaPvRmT3_T4_T5_mT6_P12ihipStream_tbENKUlT_T0_E_clISt17integral_constantIbLb1EESW_IbLb0EEEEDaSS_ST_EUlSS_E0_NS1_11comp_targetILNS1_3genE5ELNS1_11target_archE942ELNS1_3gpuE9ELNS1_3repE0EEENS1_30default_config_static_selectorELNS0_4arch9wavefront6targetE1EEEvT1_
		.amdhsa_group_segment_fixed_size 0
		.amdhsa_private_segment_fixed_size 0
		.amdhsa_kernarg_size 48
		.amdhsa_user_sgpr_count 6
		.amdhsa_user_sgpr_private_segment_buffer 1
		.amdhsa_user_sgpr_dispatch_ptr 0
		.amdhsa_user_sgpr_queue_ptr 0
		.amdhsa_user_sgpr_kernarg_segment_ptr 1
		.amdhsa_user_sgpr_dispatch_id 0
		.amdhsa_user_sgpr_flat_scratch_init 0
		.amdhsa_user_sgpr_kernarg_preload_length 0
		.amdhsa_user_sgpr_kernarg_preload_offset 0
		.amdhsa_user_sgpr_private_segment_size 0
		.amdhsa_uses_dynamic_stack 0
		.amdhsa_system_sgpr_private_segment_wavefront_offset 0
		.amdhsa_system_sgpr_workgroup_id_x 1
		.amdhsa_system_sgpr_workgroup_id_y 0
		.amdhsa_system_sgpr_workgroup_id_z 0
		.amdhsa_system_sgpr_workgroup_info 0
		.amdhsa_system_vgpr_workitem_id 0
		.amdhsa_next_free_vgpr 1
		.amdhsa_next_free_sgpr 0
		.amdhsa_accum_offset 4
		.amdhsa_reserve_vcc 0
		.amdhsa_reserve_flat_scratch 0
		.amdhsa_float_round_mode_32 0
		.amdhsa_float_round_mode_16_64 0
		.amdhsa_float_denorm_mode_32 3
		.amdhsa_float_denorm_mode_16_64 3
		.amdhsa_dx10_clamp 1
		.amdhsa_ieee_mode 1
		.amdhsa_fp16_overflow 0
		.amdhsa_tg_split 0
		.amdhsa_exception_fp_ieee_invalid_op 0
		.amdhsa_exception_fp_denorm_src 0
		.amdhsa_exception_fp_ieee_div_zero 0
		.amdhsa_exception_fp_ieee_overflow 0
		.amdhsa_exception_fp_ieee_underflow 0
		.amdhsa_exception_fp_ieee_inexact 0
		.amdhsa_exception_int_div_zero 0
	.end_amdhsa_kernel
	.section	.text._ZN7rocprim17ROCPRIM_400000_NS6detail17trampoline_kernelINS0_14default_configENS1_20scan_config_selectorIxEEZZNS1_9scan_implILNS1_25lookback_scan_determinismE0ELb0ELb0ES3_N6thrust23THRUST_200600_302600_NS6detail15normal_iteratorINS9_10device_ptrIxEEEENS9_16discard_iteratorINS9_11use_defaultEEEx11max_functorIxExEEDaPvRmT3_T4_T5_mT6_P12ihipStream_tbENKUlT_T0_E_clISt17integral_constantIbLb1EESW_IbLb0EEEEDaSS_ST_EUlSS_E0_NS1_11comp_targetILNS1_3genE5ELNS1_11target_archE942ELNS1_3gpuE9ELNS1_3repE0EEENS1_30default_config_static_selectorELNS0_4arch9wavefront6targetE1EEEvT1_,"axG",@progbits,_ZN7rocprim17ROCPRIM_400000_NS6detail17trampoline_kernelINS0_14default_configENS1_20scan_config_selectorIxEEZZNS1_9scan_implILNS1_25lookback_scan_determinismE0ELb0ELb0ES3_N6thrust23THRUST_200600_302600_NS6detail15normal_iteratorINS9_10device_ptrIxEEEENS9_16discard_iteratorINS9_11use_defaultEEEx11max_functorIxExEEDaPvRmT3_T4_T5_mT6_P12ihipStream_tbENKUlT_T0_E_clISt17integral_constantIbLb1EESW_IbLb0EEEEDaSS_ST_EUlSS_E0_NS1_11comp_targetILNS1_3genE5ELNS1_11target_archE942ELNS1_3gpuE9ELNS1_3repE0EEENS1_30default_config_static_selectorELNS0_4arch9wavefront6targetE1EEEvT1_,comdat
.Lfunc_end3756:
	.size	_ZN7rocprim17ROCPRIM_400000_NS6detail17trampoline_kernelINS0_14default_configENS1_20scan_config_selectorIxEEZZNS1_9scan_implILNS1_25lookback_scan_determinismE0ELb0ELb0ES3_N6thrust23THRUST_200600_302600_NS6detail15normal_iteratorINS9_10device_ptrIxEEEENS9_16discard_iteratorINS9_11use_defaultEEEx11max_functorIxExEEDaPvRmT3_T4_T5_mT6_P12ihipStream_tbENKUlT_T0_E_clISt17integral_constantIbLb1EESW_IbLb0EEEEDaSS_ST_EUlSS_E0_NS1_11comp_targetILNS1_3genE5ELNS1_11target_archE942ELNS1_3gpuE9ELNS1_3repE0EEENS1_30default_config_static_selectorELNS0_4arch9wavefront6targetE1EEEvT1_, .Lfunc_end3756-_ZN7rocprim17ROCPRIM_400000_NS6detail17trampoline_kernelINS0_14default_configENS1_20scan_config_selectorIxEEZZNS1_9scan_implILNS1_25lookback_scan_determinismE0ELb0ELb0ES3_N6thrust23THRUST_200600_302600_NS6detail15normal_iteratorINS9_10device_ptrIxEEEENS9_16discard_iteratorINS9_11use_defaultEEEx11max_functorIxExEEDaPvRmT3_T4_T5_mT6_P12ihipStream_tbENKUlT_T0_E_clISt17integral_constantIbLb1EESW_IbLb0EEEEDaSS_ST_EUlSS_E0_NS1_11comp_targetILNS1_3genE5ELNS1_11target_archE942ELNS1_3gpuE9ELNS1_3repE0EEENS1_30default_config_static_selectorELNS0_4arch9wavefront6targetE1EEEvT1_
                                        ; -- End function
	.section	.AMDGPU.csdata,"",@progbits
; Kernel info:
; codeLenInByte = 0
; NumSgprs: 4
; NumVgprs: 0
; NumAgprs: 0
; TotalNumVgprs: 0
; ScratchSize: 0
; MemoryBound: 0
; FloatMode: 240
; IeeeMode: 1
; LDSByteSize: 0 bytes/workgroup (compile time only)
; SGPRBlocks: 0
; VGPRBlocks: 0
; NumSGPRsForWavesPerEU: 4
; NumVGPRsForWavesPerEU: 1
; AccumOffset: 4
; Occupancy: 8
; WaveLimiterHint : 0
; COMPUTE_PGM_RSRC2:SCRATCH_EN: 0
; COMPUTE_PGM_RSRC2:USER_SGPR: 6
; COMPUTE_PGM_RSRC2:TRAP_HANDLER: 0
; COMPUTE_PGM_RSRC2:TGID_X_EN: 1
; COMPUTE_PGM_RSRC2:TGID_Y_EN: 0
; COMPUTE_PGM_RSRC2:TGID_Z_EN: 0
; COMPUTE_PGM_RSRC2:TIDIG_COMP_CNT: 0
; COMPUTE_PGM_RSRC3_GFX90A:ACCUM_OFFSET: 0
; COMPUTE_PGM_RSRC3_GFX90A:TG_SPLIT: 0
	.section	.text._ZN7rocprim17ROCPRIM_400000_NS6detail17trampoline_kernelINS0_14default_configENS1_20scan_config_selectorIxEEZZNS1_9scan_implILNS1_25lookback_scan_determinismE0ELb0ELb0ES3_N6thrust23THRUST_200600_302600_NS6detail15normal_iteratorINS9_10device_ptrIxEEEENS9_16discard_iteratorINS9_11use_defaultEEEx11max_functorIxExEEDaPvRmT3_T4_T5_mT6_P12ihipStream_tbENKUlT_T0_E_clISt17integral_constantIbLb1EESW_IbLb0EEEEDaSS_ST_EUlSS_E0_NS1_11comp_targetILNS1_3genE4ELNS1_11target_archE910ELNS1_3gpuE8ELNS1_3repE0EEENS1_30default_config_static_selectorELNS0_4arch9wavefront6targetE1EEEvT1_,"axG",@progbits,_ZN7rocprim17ROCPRIM_400000_NS6detail17trampoline_kernelINS0_14default_configENS1_20scan_config_selectorIxEEZZNS1_9scan_implILNS1_25lookback_scan_determinismE0ELb0ELb0ES3_N6thrust23THRUST_200600_302600_NS6detail15normal_iteratorINS9_10device_ptrIxEEEENS9_16discard_iteratorINS9_11use_defaultEEEx11max_functorIxExEEDaPvRmT3_T4_T5_mT6_P12ihipStream_tbENKUlT_T0_E_clISt17integral_constantIbLb1EESW_IbLb0EEEEDaSS_ST_EUlSS_E0_NS1_11comp_targetILNS1_3genE4ELNS1_11target_archE910ELNS1_3gpuE8ELNS1_3repE0EEENS1_30default_config_static_selectorELNS0_4arch9wavefront6targetE1EEEvT1_,comdat
	.protected	_ZN7rocprim17ROCPRIM_400000_NS6detail17trampoline_kernelINS0_14default_configENS1_20scan_config_selectorIxEEZZNS1_9scan_implILNS1_25lookback_scan_determinismE0ELb0ELb0ES3_N6thrust23THRUST_200600_302600_NS6detail15normal_iteratorINS9_10device_ptrIxEEEENS9_16discard_iteratorINS9_11use_defaultEEEx11max_functorIxExEEDaPvRmT3_T4_T5_mT6_P12ihipStream_tbENKUlT_T0_E_clISt17integral_constantIbLb1EESW_IbLb0EEEEDaSS_ST_EUlSS_E0_NS1_11comp_targetILNS1_3genE4ELNS1_11target_archE910ELNS1_3gpuE8ELNS1_3repE0EEENS1_30default_config_static_selectorELNS0_4arch9wavefront6targetE1EEEvT1_ ; -- Begin function _ZN7rocprim17ROCPRIM_400000_NS6detail17trampoline_kernelINS0_14default_configENS1_20scan_config_selectorIxEEZZNS1_9scan_implILNS1_25lookback_scan_determinismE0ELb0ELb0ES3_N6thrust23THRUST_200600_302600_NS6detail15normal_iteratorINS9_10device_ptrIxEEEENS9_16discard_iteratorINS9_11use_defaultEEEx11max_functorIxExEEDaPvRmT3_T4_T5_mT6_P12ihipStream_tbENKUlT_T0_E_clISt17integral_constantIbLb1EESW_IbLb0EEEEDaSS_ST_EUlSS_E0_NS1_11comp_targetILNS1_3genE4ELNS1_11target_archE910ELNS1_3gpuE8ELNS1_3repE0EEENS1_30default_config_static_selectorELNS0_4arch9wavefront6targetE1EEEvT1_
	.globl	_ZN7rocprim17ROCPRIM_400000_NS6detail17trampoline_kernelINS0_14default_configENS1_20scan_config_selectorIxEEZZNS1_9scan_implILNS1_25lookback_scan_determinismE0ELb0ELb0ES3_N6thrust23THRUST_200600_302600_NS6detail15normal_iteratorINS9_10device_ptrIxEEEENS9_16discard_iteratorINS9_11use_defaultEEEx11max_functorIxExEEDaPvRmT3_T4_T5_mT6_P12ihipStream_tbENKUlT_T0_E_clISt17integral_constantIbLb1EESW_IbLb0EEEEDaSS_ST_EUlSS_E0_NS1_11comp_targetILNS1_3genE4ELNS1_11target_archE910ELNS1_3gpuE8ELNS1_3repE0EEENS1_30default_config_static_selectorELNS0_4arch9wavefront6targetE1EEEvT1_
	.p2align	8
	.type	_ZN7rocprim17ROCPRIM_400000_NS6detail17trampoline_kernelINS0_14default_configENS1_20scan_config_selectorIxEEZZNS1_9scan_implILNS1_25lookback_scan_determinismE0ELb0ELb0ES3_N6thrust23THRUST_200600_302600_NS6detail15normal_iteratorINS9_10device_ptrIxEEEENS9_16discard_iteratorINS9_11use_defaultEEEx11max_functorIxExEEDaPvRmT3_T4_T5_mT6_P12ihipStream_tbENKUlT_T0_E_clISt17integral_constantIbLb1EESW_IbLb0EEEEDaSS_ST_EUlSS_E0_NS1_11comp_targetILNS1_3genE4ELNS1_11target_archE910ELNS1_3gpuE8ELNS1_3repE0EEENS1_30default_config_static_selectorELNS0_4arch9wavefront6targetE1EEEvT1_,@function
_ZN7rocprim17ROCPRIM_400000_NS6detail17trampoline_kernelINS0_14default_configENS1_20scan_config_selectorIxEEZZNS1_9scan_implILNS1_25lookback_scan_determinismE0ELb0ELb0ES3_N6thrust23THRUST_200600_302600_NS6detail15normal_iteratorINS9_10device_ptrIxEEEENS9_16discard_iteratorINS9_11use_defaultEEEx11max_functorIxExEEDaPvRmT3_T4_T5_mT6_P12ihipStream_tbENKUlT_T0_E_clISt17integral_constantIbLb1EESW_IbLb0EEEEDaSS_ST_EUlSS_E0_NS1_11comp_targetILNS1_3genE4ELNS1_11target_archE910ELNS1_3gpuE8ELNS1_3repE0EEENS1_30default_config_static_selectorELNS0_4arch9wavefront6targetE1EEEvT1_: ; @_ZN7rocprim17ROCPRIM_400000_NS6detail17trampoline_kernelINS0_14default_configENS1_20scan_config_selectorIxEEZZNS1_9scan_implILNS1_25lookback_scan_determinismE0ELb0ELb0ES3_N6thrust23THRUST_200600_302600_NS6detail15normal_iteratorINS9_10device_ptrIxEEEENS9_16discard_iteratorINS9_11use_defaultEEEx11max_functorIxExEEDaPvRmT3_T4_T5_mT6_P12ihipStream_tbENKUlT_T0_E_clISt17integral_constantIbLb1EESW_IbLb0EEEEDaSS_ST_EUlSS_E0_NS1_11comp_targetILNS1_3genE4ELNS1_11target_archE910ELNS1_3gpuE8ELNS1_3repE0EEENS1_30default_config_static_selectorELNS0_4arch9wavefront6targetE1EEEvT1_
; %bb.0:
	s_load_dwordx4 s[0:3], s[4:5], 0x0
	v_lshlrev_b32_e32 v1, 3, v0
	s_waitcnt lgkmcnt(0)
	s_load_dwordx2 s[4:5], s[0:1], 0x0
	v_cmp_gt_u32_e32 vcc, s2, v0
	s_waitcnt lgkmcnt(0)
	v_pk_mov_b32 v[2:3], s[4:5], s[4:5] op_sel:[0,1]
	s_and_saveexec_b64 s[6:7], vcc
	s_cbranch_execz .LBB3757_2
; %bb.1:
	global_load_dwordx2 v[2:3], v1, s[0:1]
.LBB3757_2:
	s_or_b64 exec, exec, s[6:7]
	v_or_b32_e32 v4, 0x80, v0
	v_cmp_gt_u32_e32 vcc, s2, v4
	v_pk_mov_b32 v[4:5], s[4:5], s[4:5] op_sel:[0,1]
	s_and_saveexec_b64 s[6:7], vcc
	s_cbranch_execz .LBB3757_4
; %bb.3:
	global_load_dwordx2 v[4:5], v1, s[0:1] offset:1024
.LBB3757_4:
	s_or_b64 exec, exec, s[6:7]
	v_or_b32_e32 v6, 0x100, v0
	v_cmp_gt_u32_e32 vcc, s2, v6
	v_pk_mov_b32 v[6:7], s[4:5], s[4:5] op_sel:[0,1]
	s_and_saveexec_b64 s[6:7], vcc
	s_cbranch_execz .LBB3757_6
; %bb.5:
	global_load_dwordx2 v[6:7], v1, s[0:1] offset:2048
.LBB3757_6:
	;; [unrolled: 9-line block ×3, first 2 shown]
	s_or_b64 exec, exec, s[6:7]
	v_or_b32_e32 v12, 0x200, v0
	v_cmp_gt_u32_e32 vcc, s2, v12
	v_pk_mov_b32 v[10:11], s[4:5], s[4:5] op_sel:[0,1]
	s_and_saveexec_b64 s[6:7], vcc
	s_cbranch_execz .LBB3757_10
; %bb.9:
	v_lshlrev_b32_e32 v10, 3, v12
	global_load_dwordx2 v[10:11], v10, s[0:1]
.LBB3757_10:
	s_or_b64 exec, exec, s[6:7]
	v_or_b32_e32 v14, 0x280, v0
	v_cmp_gt_u32_e32 vcc, s2, v14
	v_pk_mov_b32 v[12:13], s[4:5], s[4:5] op_sel:[0,1]
	s_and_saveexec_b64 s[6:7], vcc
	s_cbranch_execz .LBB3757_12
; %bb.11:
	v_lshlrev_b32_e32 v12, 3, v14
	global_load_dwordx2 v[12:13], v12, s[0:1]
.LBB3757_12:
	;; [unrolled: 10-line block ×3, first 2 shown]
	s_or_b64 exec, exec, s[2:3]
	s_waitcnt vmcnt(0)
	ds_write2st64_b64 v1, v[2:3], v[4:5] offset1:2
	ds_write2st64_b64 v1, v[6:7], v[8:9] offset0:4 offset1:6
	ds_write2st64_b64 v1, v[10:11], v[12:13] offset0:8 offset1:10
	ds_write_b64 v1, v[14:15] offset:6144
	v_mad_u32_u24 v14, v0, 48, v1
	s_waitcnt lgkmcnt(0)
	s_barrier
	ds_read2_b64 v[2:5], v14 offset1:1
	ds_read2_b64 v[10:13], v14 offset0:2 offset1:3
	ds_read2_b64 v[6:9], v14 offset0:4 offset1:5
	ds_read_b64 v[26:27], v14 offset:48
	v_lshrrev_b32_e32 v14, 2, v0
	s_waitcnt lgkmcnt(3)
	v_cmp_gt_i64_e32 vcc, v[2:3], v[4:5]
	v_cndmask_b32_e32 v19, v5, v3, vcc
	v_cndmask_b32_e32 v18, v4, v2, vcc
	s_waitcnt lgkmcnt(2)
	v_cmp_gt_i64_e32 vcc, v[18:19], v[10:11]
	v_cndmask_b32_e32 v21, v11, v19, vcc
	v_cndmask_b32_e32 v20, v10, v18, vcc
	v_cmp_gt_i64_e32 vcc, v[20:21], v[12:13]
	v_cndmask_b32_e32 v23, v13, v21, vcc
	v_cndmask_b32_e32 v22, v12, v20, vcc
	s_waitcnt lgkmcnt(1)
	v_cmp_gt_i64_e32 vcc, v[22:23], v[6:7]
	v_cndmask_b32_e32 v25, v7, v23, vcc
	v_cndmask_b32_e32 v24, v6, v22, vcc
	v_cmp_gt_i64_e32 vcc, v[24:25], v[8:9]
	v_cndmask_b32_e32 v29, v9, v25, vcc
	v_cndmask_b32_e32 v28, v8, v24, vcc
	s_waitcnt lgkmcnt(0)
	v_cmp_gt_i64_e32 vcc, v[28:29], v[26:27]
	v_and_b32_e32 v14, 24, v14
	v_cndmask_b32_e32 v31, v27, v29, vcc
	v_cndmask_b32_e32 v30, v26, v28, vcc
	v_add_u32_e32 v14, v1, v14
	v_cmp_gt_u32_e32 vcc, 64, v0
	s_barrier
	ds_write_b64 v14, v[30:31]
	s_waitcnt lgkmcnt(0)
	s_barrier
	s_and_saveexec_b64 s[2:3], vcc
	s_cbranch_execz .LBB3757_18
; %bb.15:
	v_lshlrev_b32_e32 v14, 1, v0
	v_lshrrev_b32_e32 v15, 4, v0
	v_add_lshl_u32 v36, v15, v14, 3
	ds_read2_b64 v[14:17], v36 offset1:1
	v_mbcnt_lo_u32_b32 v32, -1, 0
	v_mbcnt_hi_u32_b32 v37, -1, v32
	v_and_b32_e32 v38, 15, v37
	v_and_b32_e32 v40, 16, v37
	s_waitcnt lgkmcnt(0)
	v_cmp_gt_i64_e32 vcc, v[14:15], v[16:17]
	v_cndmask_b32_e32 v17, v17, v15, vcc
	v_cndmask_b32_e32 v16, v16, v14, vcc
	v_cmp_ne_u32_e64 s[0:1], 0, v37
	v_mov_b32_dpp v33, v17 row_shr:1 row_mask:0xf bank_mask:0xf
	v_mov_b32_dpp v32, v16 row_shr:1 row_mask:0xf bank_mask:0xf
	v_cmp_gt_i64_e32 vcc, v[32:33], v[16:17]
	v_cndmask_b32_e32 v32, v16, v32, vcc
	v_cndmask_b32_e32 v33, v17, v33, vcc
	v_cmp_eq_u32_e32 vcc, 0, v38
	v_cndmask_b32_e32 v33, v33, v17, vcc
	v_cndmask_b32_e32 v32, v32, v16, vcc
	s_nop 0
	v_mov_b32_dpp v35, v33 row_shr:2 row_mask:0xf bank_mask:0xf
	v_mov_b32_dpp v34, v32 row_shr:2 row_mask:0xf bank_mask:0xf
	v_cmp_gt_i64_e32 vcc, v[34:35], v[32:33]
	v_cndmask_b32_e32 v34, v32, v34, vcc
	v_cndmask_b32_e32 v35, v33, v35, vcc
	v_cmp_lt_u32_e32 vcc, 1, v38
	v_cndmask_b32_e32 v33, v33, v35, vcc
	v_cndmask_b32_e32 v32, v32, v34, vcc
	s_nop 0
	v_mov_b32_dpp v35, v33 row_shr:4 row_mask:0xf bank_mask:0xf
	v_mov_b32_dpp v34, v32 row_shr:4 row_mask:0xf bank_mask:0xf
	v_cmp_gt_i64_e32 vcc, v[34:35], v[32:33]
	v_cndmask_b32_e32 v34, v32, v34, vcc
	v_cndmask_b32_e32 v35, v33, v35, vcc
	v_cmp_lt_u32_e32 vcc, 3, v38
	;; [unrolled: 9-line block ×3, first 2 shown]
	v_cndmask_b32_e32 v33, v33, v35, vcc
	v_cndmask_b32_e32 v32, v32, v34, vcc
	s_nop 0
	v_mov_b32_dpp v35, v33 row_bcast:15 row_mask:0xf bank_mask:0xf
	v_mov_b32_dpp v34, v32 row_bcast:15 row_mask:0xf bank_mask:0xf
	v_cmp_gt_i64_e32 vcc, v[34:35], v[32:33]
	v_cndmask_b32_e32 v38, v33, v35, vcc
	v_cndmask_b32_e32 v39, v32, v34, vcc
	v_cmp_eq_u32_e32 vcc, 0, v40
	v_cndmask_b32_e32 v35, v38, v33, vcc
	v_cndmask_b32_e32 v34, v39, v32, vcc
	s_nop 0
	v_mov_b32_dpp v35, v35 row_bcast:31 row_mask:0xf bank_mask:0xf
	v_mov_b32_dpp v34, v34 row_bcast:31 row_mask:0xf bank_mask:0xf
	s_and_saveexec_b64 s[4:5], s[0:1]
; %bb.16:
	v_cndmask_b32_e32 v17, v38, v33, vcc
	v_cndmask_b32_e32 v16, v39, v32, vcc
	v_cmp_lt_u32_e64 s[0:1], 31, v37
	v_cmp_gt_i64_e32 vcc, v[34:35], v[16:17]
	s_and_b64 vcc, s[0:1], vcc
	v_cndmask_b32_e32 v16, v16, v34, vcc
	v_cndmask_b32_e32 v17, v17, v35, vcc
; %bb.17:
	s_or_b64 exec, exec, s[4:5]
	v_add_u32_e32 v32, -1, v37
	v_and_b32_e32 v33, 64, v37
	v_cmp_lt_i32_e32 vcc, v32, v33
	v_cndmask_b32_e32 v32, v32, v37, vcc
	v_lshlrev_b32_e32 v32, 2, v32
	ds_bpermute_b32 v16, v32, v16
	ds_bpermute_b32 v17, v32, v17
	; wave barrier
	s_waitcnt lgkmcnt(0)
	v_cmp_gt_i64_e32 vcc, v[16:17], v[14:15]
	v_cndmask_b32_e32 v14, v14, v16, vcc
	v_cndmask_b32_e32 v15, v15, v17, vcc
	v_cmp_eq_u32_e32 vcc, 0, v0
	v_cndmask_b32_e32 v15, v15, v31, vcc
	v_cndmask_b32_e32 v14, v14, v30, vcc
	ds_write_b64 v36, v[14:15]
	; wave barrier
	ds_read_b64 v[16:17], v36 offset:8
	s_waitcnt lgkmcnt(0)
	v_cmp_gt_i64_e32 vcc, v[14:15], v[16:17]
	v_cndmask_b32_e32 v15, v17, v15, vcc
	v_cndmask_b32_e32 v14, v16, v14, vcc
	ds_write_b64 v36, v[14:15] offset:8
.LBB3757_18:
	s_or_b64 exec, exec, s[2:3]
	v_mul_u32_u24_e32 v16, 48, v0
	v_cmp_ne_u32_e32 vcc, 0, v0
	v_pk_mov_b32 v[14:15], v[30:31], v[30:31] op_sel:[0,1]
	s_waitcnt lgkmcnt(0)
	s_barrier
	s_and_saveexec_b64 s[0:1], vcc
	s_cbranch_execz .LBB3757_20
; %bb.19:
	v_add_u32_e32 v0, -1, v0
	v_lshrrev_b32_e32 v14, 5, v0
	v_add_lshl_u32 v0, v14, v0, 3
	ds_read_b64 v[14:15], v0
.LBB3757_20:
	s_or_b64 exec, exec, s[0:1]
	s_and_saveexec_b64 s[0:1], vcc
	s_cbranch_execz .LBB3757_22
; %bb.21:
	s_waitcnt lgkmcnt(0)
	v_cmp_gt_i64_e32 vcc, v[14:15], v[2:3]
	v_cndmask_b32_e32 v3, v3, v15, vcc
	v_cndmask_b32_e32 v2, v2, v14, vcc
	v_cmp_gt_i64_e32 vcc, v[2:3], v[4:5]
	v_cndmask_b32_e32 v19, v5, v3, vcc
	v_cndmask_b32_e32 v18, v4, v2, vcc
	;; [unrolled: 3-line block ×7, first 2 shown]
	;;#ASMSTART
	;;#ASMEND
.LBB3757_22:
	s_or_b64 exec, exec, s[0:1]
	v_add_u32_e32 v0, v1, v16
	s_waitcnt lgkmcnt(0)
	s_barrier
	ds_write2_b64 v0, v[2:3], v[18:19] offset1:1
	ds_write2_b64 v0, v[20:21], v[22:23] offset0:2 offset1:3
	ds_write2_b64 v0, v[24:25], v[28:29] offset0:4 offset1:5
	ds_write_b64 v0, v[30:31] offset:48
	s_waitcnt lgkmcnt(0)
	s_barrier
	s_endpgm
	.section	.rodata,"a",@progbits
	.p2align	6, 0x0
	.amdhsa_kernel _ZN7rocprim17ROCPRIM_400000_NS6detail17trampoline_kernelINS0_14default_configENS1_20scan_config_selectorIxEEZZNS1_9scan_implILNS1_25lookback_scan_determinismE0ELb0ELb0ES3_N6thrust23THRUST_200600_302600_NS6detail15normal_iteratorINS9_10device_ptrIxEEEENS9_16discard_iteratorINS9_11use_defaultEEEx11max_functorIxExEEDaPvRmT3_T4_T5_mT6_P12ihipStream_tbENKUlT_T0_E_clISt17integral_constantIbLb1EESW_IbLb0EEEEDaSS_ST_EUlSS_E0_NS1_11comp_targetILNS1_3genE4ELNS1_11target_archE910ELNS1_3gpuE8ELNS1_3repE0EEENS1_30default_config_static_selectorELNS0_4arch9wavefront6targetE1EEEvT1_
		.amdhsa_group_segment_fixed_size 7168
		.amdhsa_private_segment_fixed_size 0
		.amdhsa_kernarg_size 48
		.amdhsa_user_sgpr_count 6
		.amdhsa_user_sgpr_private_segment_buffer 1
		.amdhsa_user_sgpr_dispatch_ptr 0
		.amdhsa_user_sgpr_queue_ptr 0
		.amdhsa_user_sgpr_kernarg_segment_ptr 1
		.amdhsa_user_sgpr_dispatch_id 0
		.amdhsa_user_sgpr_flat_scratch_init 0
		.amdhsa_user_sgpr_kernarg_preload_length 0
		.amdhsa_user_sgpr_kernarg_preload_offset 0
		.amdhsa_user_sgpr_private_segment_size 0
		.amdhsa_uses_dynamic_stack 0
		.amdhsa_system_sgpr_private_segment_wavefront_offset 0
		.amdhsa_system_sgpr_workgroup_id_x 1
		.amdhsa_system_sgpr_workgroup_id_y 0
		.amdhsa_system_sgpr_workgroup_id_z 0
		.amdhsa_system_sgpr_workgroup_info 0
		.amdhsa_system_vgpr_workitem_id 0
		.amdhsa_next_free_vgpr 41
		.amdhsa_next_free_sgpr 8
		.amdhsa_accum_offset 44
		.amdhsa_reserve_vcc 1
		.amdhsa_reserve_flat_scratch 0
		.amdhsa_float_round_mode_32 0
		.amdhsa_float_round_mode_16_64 0
		.amdhsa_float_denorm_mode_32 3
		.amdhsa_float_denorm_mode_16_64 3
		.amdhsa_dx10_clamp 1
		.amdhsa_ieee_mode 1
		.amdhsa_fp16_overflow 0
		.amdhsa_tg_split 0
		.amdhsa_exception_fp_ieee_invalid_op 0
		.amdhsa_exception_fp_denorm_src 0
		.amdhsa_exception_fp_ieee_div_zero 0
		.amdhsa_exception_fp_ieee_overflow 0
		.amdhsa_exception_fp_ieee_underflow 0
		.amdhsa_exception_fp_ieee_inexact 0
		.amdhsa_exception_int_div_zero 0
	.end_amdhsa_kernel
	.section	.text._ZN7rocprim17ROCPRIM_400000_NS6detail17trampoline_kernelINS0_14default_configENS1_20scan_config_selectorIxEEZZNS1_9scan_implILNS1_25lookback_scan_determinismE0ELb0ELb0ES3_N6thrust23THRUST_200600_302600_NS6detail15normal_iteratorINS9_10device_ptrIxEEEENS9_16discard_iteratorINS9_11use_defaultEEEx11max_functorIxExEEDaPvRmT3_T4_T5_mT6_P12ihipStream_tbENKUlT_T0_E_clISt17integral_constantIbLb1EESW_IbLb0EEEEDaSS_ST_EUlSS_E0_NS1_11comp_targetILNS1_3genE4ELNS1_11target_archE910ELNS1_3gpuE8ELNS1_3repE0EEENS1_30default_config_static_selectorELNS0_4arch9wavefront6targetE1EEEvT1_,"axG",@progbits,_ZN7rocprim17ROCPRIM_400000_NS6detail17trampoline_kernelINS0_14default_configENS1_20scan_config_selectorIxEEZZNS1_9scan_implILNS1_25lookback_scan_determinismE0ELb0ELb0ES3_N6thrust23THRUST_200600_302600_NS6detail15normal_iteratorINS9_10device_ptrIxEEEENS9_16discard_iteratorINS9_11use_defaultEEEx11max_functorIxExEEDaPvRmT3_T4_T5_mT6_P12ihipStream_tbENKUlT_T0_E_clISt17integral_constantIbLb1EESW_IbLb0EEEEDaSS_ST_EUlSS_E0_NS1_11comp_targetILNS1_3genE4ELNS1_11target_archE910ELNS1_3gpuE8ELNS1_3repE0EEENS1_30default_config_static_selectorELNS0_4arch9wavefront6targetE1EEEvT1_,comdat
.Lfunc_end3757:
	.size	_ZN7rocprim17ROCPRIM_400000_NS6detail17trampoline_kernelINS0_14default_configENS1_20scan_config_selectorIxEEZZNS1_9scan_implILNS1_25lookback_scan_determinismE0ELb0ELb0ES3_N6thrust23THRUST_200600_302600_NS6detail15normal_iteratorINS9_10device_ptrIxEEEENS9_16discard_iteratorINS9_11use_defaultEEEx11max_functorIxExEEDaPvRmT3_T4_T5_mT6_P12ihipStream_tbENKUlT_T0_E_clISt17integral_constantIbLb1EESW_IbLb0EEEEDaSS_ST_EUlSS_E0_NS1_11comp_targetILNS1_3genE4ELNS1_11target_archE910ELNS1_3gpuE8ELNS1_3repE0EEENS1_30default_config_static_selectorELNS0_4arch9wavefront6targetE1EEEvT1_, .Lfunc_end3757-_ZN7rocprim17ROCPRIM_400000_NS6detail17trampoline_kernelINS0_14default_configENS1_20scan_config_selectorIxEEZZNS1_9scan_implILNS1_25lookback_scan_determinismE0ELb0ELb0ES3_N6thrust23THRUST_200600_302600_NS6detail15normal_iteratorINS9_10device_ptrIxEEEENS9_16discard_iteratorINS9_11use_defaultEEEx11max_functorIxExEEDaPvRmT3_T4_T5_mT6_P12ihipStream_tbENKUlT_T0_E_clISt17integral_constantIbLb1EESW_IbLb0EEEEDaSS_ST_EUlSS_E0_NS1_11comp_targetILNS1_3genE4ELNS1_11target_archE910ELNS1_3gpuE8ELNS1_3repE0EEENS1_30default_config_static_selectorELNS0_4arch9wavefront6targetE1EEEvT1_
                                        ; -- End function
	.section	.AMDGPU.csdata,"",@progbits
; Kernel info:
; codeLenInByte = 1200
; NumSgprs: 12
; NumVgprs: 41
; NumAgprs: 0
; TotalNumVgprs: 41
; ScratchSize: 0
; MemoryBound: 0
; FloatMode: 240
; IeeeMode: 1
; LDSByteSize: 7168 bytes/workgroup (compile time only)
; SGPRBlocks: 1
; VGPRBlocks: 5
; NumSGPRsForWavesPerEU: 12
; NumVGPRsForWavesPerEU: 41
; AccumOffset: 44
; Occupancy: 5
; WaveLimiterHint : 0
; COMPUTE_PGM_RSRC2:SCRATCH_EN: 0
; COMPUTE_PGM_RSRC2:USER_SGPR: 6
; COMPUTE_PGM_RSRC2:TRAP_HANDLER: 0
; COMPUTE_PGM_RSRC2:TGID_X_EN: 1
; COMPUTE_PGM_RSRC2:TGID_Y_EN: 0
; COMPUTE_PGM_RSRC2:TGID_Z_EN: 0
; COMPUTE_PGM_RSRC2:TIDIG_COMP_CNT: 0
; COMPUTE_PGM_RSRC3_GFX90A:ACCUM_OFFSET: 10
; COMPUTE_PGM_RSRC3_GFX90A:TG_SPLIT: 0
	.section	.text._ZN7rocprim17ROCPRIM_400000_NS6detail17trampoline_kernelINS0_14default_configENS1_20scan_config_selectorIxEEZZNS1_9scan_implILNS1_25lookback_scan_determinismE0ELb0ELb0ES3_N6thrust23THRUST_200600_302600_NS6detail15normal_iteratorINS9_10device_ptrIxEEEENS9_16discard_iteratorINS9_11use_defaultEEEx11max_functorIxExEEDaPvRmT3_T4_T5_mT6_P12ihipStream_tbENKUlT_T0_E_clISt17integral_constantIbLb1EESW_IbLb0EEEEDaSS_ST_EUlSS_E0_NS1_11comp_targetILNS1_3genE3ELNS1_11target_archE908ELNS1_3gpuE7ELNS1_3repE0EEENS1_30default_config_static_selectorELNS0_4arch9wavefront6targetE1EEEvT1_,"axG",@progbits,_ZN7rocprim17ROCPRIM_400000_NS6detail17trampoline_kernelINS0_14default_configENS1_20scan_config_selectorIxEEZZNS1_9scan_implILNS1_25lookback_scan_determinismE0ELb0ELb0ES3_N6thrust23THRUST_200600_302600_NS6detail15normal_iteratorINS9_10device_ptrIxEEEENS9_16discard_iteratorINS9_11use_defaultEEEx11max_functorIxExEEDaPvRmT3_T4_T5_mT6_P12ihipStream_tbENKUlT_T0_E_clISt17integral_constantIbLb1EESW_IbLb0EEEEDaSS_ST_EUlSS_E0_NS1_11comp_targetILNS1_3genE3ELNS1_11target_archE908ELNS1_3gpuE7ELNS1_3repE0EEENS1_30default_config_static_selectorELNS0_4arch9wavefront6targetE1EEEvT1_,comdat
	.protected	_ZN7rocprim17ROCPRIM_400000_NS6detail17trampoline_kernelINS0_14default_configENS1_20scan_config_selectorIxEEZZNS1_9scan_implILNS1_25lookback_scan_determinismE0ELb0ELb0ES3_N6thrust23THRUST_200600_302600_NS6detail15normal_iteratorINS9_10device_ptrIxEEEENS9_16discard_iteratorINS9_11use_defaultEEEx11max_functorIxExEEDaPvRmT3_T4_T5_mT6_P12ihipStream_tbENKUlT_T0_E_clISt17integral_constantIbLb1EESW_IbLb0EEEEDaSS_ST_EUlSS_E0_NS1_11comp_targetILNS1_3genE3ELNS1_11target_archE908ELNS1_3gpuE7ELNS1_3repE0EEENS1_30default_config_static_selectorELNS0_4arch9wavefront6targetE1EEEvT1_ ; -- Begin function _ZN7rocprim17ROCPRIM_400000_NS6detail17trampoline_kernelINS0_14default_configENS1_20scan_config_selectorIxEEZZNS1_9scan_implILNS1_25lookback_scan_determinismE0ELb0ELb0ES3_N6thrust23THRUST_200600_302600_NS6detail15normal_iteratorINS9_10device_ptrIxEEEENS9_16discard_iteratorINS9_11use_defaultEEEx11max_functorIxExEEDaPvRmT3_T4_T5_mT6_P12ihipStream_tbENKUlT_T0_E_clISt17integral_constantIbLb1EESW_IbLb0EEEEDaSS_ST_EUlSS_E0_NS1_11comp_targetILNS1_3genE3ELNS1_11target_archE908ELNS1_3gpuE7ELNS1_3repE0EEENS1_30default_config_static_selectorELNS0_4arch9wavefront6targetE1EEEvT1_
	.globl	_ZN7rocprim17ROCPRIM_400000_NS6detail17trampoline_kernelINS0_14default_configENS1_20scan_config_selectorIxEEZZNS1_9scan_implILNS1_25lookback_scan_determinismE0ELb0ELb0ES3_N6thrust23THRUST_200600_302600_NS6detail15normal_iteratorINS9_10device_ptrIxEEEENS9_16discard_iteratorINS9_11use_defaultEEEx11max_functorIxExEEDaPvRmT3_T4_T5_mT6_P12ihipStream_tbENKUlT_T0_E_clISt17integral_constantIbLb1EESW_IbLb0EEEEDaSS_ST_EUlSS_E0_NS1_11comp_targetILNS1_3genE3ELNS1_11target_archE908ELNS1_3gpuE7ELNS1_3repE0EEENS1_30default_config_static_selectorELNS0_4arch9wavefront6targetE1EEEvT1_
	.p2align	8
	.type	_ZN7rocprim17ROCPRIM_400000_NS6detail17trampoline_kernelINS0_14default_configENS1_20scan_config_selectorIxEEZZNS1_9scan_implILNS1_25lookback_scan_determinismE0ELb0ELb0ES3_N6thrust23THRUST_200600_302600_NS6detail15normal_iteratorINS9_10device_ptrIxEEEENS9_16discard_iteratorINS9_11use_defaultEEEx11max_functorIxExEEDaPvRmT3_T4_T5_mT6_P12ihipStream_tbENKUlT_T0_E_clISt17integral_constantIbLb1EESW_IbLb0EEEEDaSS_ST_EUlSS_E0_NS1_11comp_targetILNS1_3genE3ELNS1_11target_archE908ELNS1_3gpuE7ELNS1_3repE0EEENS1_30default_config_static_selectorELNS0_4arch9wavefront6targetE1EEEvT1_,@function
_ZN7rocprim17ROCPRIM_400000_NS6detail17trampoline_kernelINS0_14default_configENS1_20scan_config_selectorIxEEZZNS1_9scan_implILNS1_25lookback_scan_determinismE0ELb0ELb0ES3_N6thrust23THRUST_200600_302600_NS6detail15normal_iteratorINS9_10device_ptrIxEEEENS9_16discard_iteratorINS9_11use_defaultEEEx11max_functorIxExEEDaPvRmT3_T4_T5_mT6_P12ihipStream_tbENKUlT_T0_E_clISt17integral_constantIbLb1EESW_IbLb0EEEEDaSS_ST_EUlSS_E0_NS1_11comp_targetILNS1_3genE3ELNS1_11target_archE908ELNS1_3gpuE7ELNS1_3repE0EEENS1_30default_config_static_selectorELNS0_4arch9wavefront6targetE1EEEvT1_: ; @_ZN7rocprim17ROCPRIM_400000_NS6detail17trampoline_kernelINS0_14default_configENS1_20scan_config_selectorIxEEZZNS1_9scan_implILNS1_25lookback_scan_determinismE0ELb0ELb0ES3_N6thrust23THRUST_200600_302600_NS6detail15normal_iteratorINS9_10device_ptrIxEEEENS9_16discard_iteratorINS9_11use_defaultEEEx11max_functorIxExEEDaPvRmT3_T4_T5_mT6_P12ihipStream_tbENKUlT_T0_E_clISt17integral_constantIbLb1EESW_IbLb0EEEEDaSS_ST_EUlSS_E0_NS1_11comp_targetILNS1_3genE3ELNS1_11target_archE908ELNS1_3gpuE7ELNS1_3repE0EEENS1_30default_config_static_selectorELNS0_4arch9wavefront6targetE1EEEvT1_
; %bb.0:
	.section	.rodata,"a",@progbits
	.p2align	6, 0x0
	.amdhsa_kernel _ZN7rocprim17ROCPRIM_400000_NS6detail17trampoline_kernelINS0_14default_configENS1_20scan_config_selectorIxEEZZNS1_9scan_implILNS1_25lookback_scan_determinismE0ELb0ELb0ES3_N6thrust23THRUST_200600_302600_NS6detail15normal_iteratorINS9_10device_ptrIxEEEENS9_16discard_iteratorINS9_11use_defaultEEEx11max_functorIxExEEDaPvRmT3_T4_T5_mT6_P12ihipStream_tbENKUlT_T0_E_clISt17integral_constantIbLb1EESW_IbLb0EEEEDaSS_ST_EUlSS_E0_NS1_11comp_targetILNS1_3genE3ELNS1_11target_archE908ELNS1_3gpuE7ELNS1_3repE0EEENS1_30default_config_static_selectorELNS0_4arch9wavefront6targetE1EEEvT1_
		.amdhsa_group_segment_fixed_size 0
		.amdhsa_private_segment_fixed_size 0
		.amdhsa_kernarg_size 48
		.amdhsa_user_sgpr_count 6
		.amdhsa_user_sgpr_private_segment_buffer 1
		.amdhsa_user_sgpr_dispatch_ptr 0
		.amdhsa_user_sgpr_queue_ptr 0
		.amdhsa_user_sgpr_kernarg_segment_ptr 1
		.amdhsa_user_sgpr_dispatch_id 0
		.amdhsa_user_sgpr_flat_scratch_init 0
		.amdhsa_user_sgpr_kernarg_preload_length 0
		.amdhsa_user_sgpr_kernarg_preload_offset 0
		.amdhsa_user_sgpr_private_segment_size 0
		.amdhsa_uses_dynamic_stack 0
		.amdhsa_system_sgpr_private_segment_wavefront_offset 0
		.amdhsa_system_sgpr_workgroup_id_x 1
		.amdhsa_system_sgpr_workgroup_id_y 0
		.amdhsa_system_sgpr_workgroup_id_z 0
		.amdhsa_system_sgpr_workgroup_info 0
		.amdhsa_system_vgpr_workitem_id 0
		.amdhsa_next_free_vgpr 1
		.amdhsa_next_free_sgpr 0
		.amdhsa_accum_offset 4
		.amdhsa_reserve_vcc 0
		.amdhsa_reserve_flat_scratch 0
		.amdhsa_float_round_mode_32 0
		.amdhsa_float_round_mode_16_64 0
		.amdhsa_float_denorm_mode_32 3
		.amdhsa_float_denorm_mode_16_64 3
		.amdhsa_dx10_clamp 1
		.amdhsa_ieee_mode 1
		.amdhsa_fp16_overflow 0
		.amdhsa_tg_split 0
		.amdhsa_exception_fp_ieee_invalid_op 0
		.amdhsa_exception_fp_denorm_src 0
		.amdhsa_exception_fp_ieee_div_zero 0
		.amdhsa_exception_fp_ieee_overflow 0
		.amdhsa_exception_fp_ieee_underflow 0
		.amdhsa_exception_fp_ieee_inexact 0
		.amdhsa_exception_int_div_zero 0
	.end_amdhsa_kernel
	.section	.text._ZN7rocprim17ROCPRIM_400000_NS6detail17trampoline_kernelINS0_14default_configENS1_20scan_config_selectorIxEEZZNS1_9scan_implILNS1_25lookback_scan_determinismE0ELb0ELb0ES3_N6thrust23THRUST_200600_302600_NS6detail15normal_iteratorINS9_10device_ptrIxEEEENS9_16discard_iteratorINS9_11use_defaultEEEx11max_functorIxExEEDaPvRmT3_T4_T5_mT6_P12ihipStream_tbENKUlT_T0_E_clISt17integral_constantIbLb1EESW_IbLb0EEEEDaSS_ST_EUlSS_E0_NS1_11comp_targetILNS1_3genE3ELNS1_11target_archE908ELNS1_3gpuE7ELNS1_3repE0EEENS1_30default_config_static_selectorELNS0_4arch9wavefront6targetE1EEEvT1_,"axG",@progbits,_ZN7rocprim17ROCPRIM_400000_NS6detail17trampoline_kernelINS0_14default_configENS1_20scan_config_selectorIxEEZZNS1_9scan_implILNS1_25lookback_scan_determinismE0ELb0ELb0ES3_N6thrust23THRUST_200600_302600_NS6detail15normal_iteratorINS9_10device_ptrIxEEEENS9_16discard_iteratorINS9_11use_defaultEEEx11max_functorIxExEEDaPvRmT3_T4_T5_mT6_P12ihipStream_tbENKUlT_T0_E_clISt17integral_constantIbLb1EESW_IbLb0EEEEDaSS_ST_EUlSS_E0_NS1_11comp_targetILNS1_3genE3ELNS1_11target_archE908ELNS1_3gpuE7ELNS1_3repE0EEENS1_30default_config_static_selectorELNS0_4arch9wavefront6targetE1EEEvT1_,comdat
.Lfunc_end3758:
	.size	_ZN7rocprim17ROCPRIM_400000_NS6detail17trampoline_kernelINS0_14default_configENS1_20scan_config_selectorIxEEZZNS1_9scan_implILNS1_25lookback_scan_determinismE0ELb0ELb0ES3_N6thrust23THRUST_200600_302600_NS6detail15normal_iteratorINS9_10device_ptrIxEEEENS9_16discard_iteratorINS9_11use_defaultEEEx11max_functorIxExEEDaPvRmT3_T4_T5_mT6_P12ihipStream_tbENKUlT_T0_E_clISt17integral_constantIbLb1EESW_IbLb0EEEEDaSS_ST_EUlSS_E0_NS1_11comp_targetILNS1_3genE3ELNS1_11target_archE908ELNS1_3gpuE7ELNS1_3repE0EEENS1_30default_config_static_selectorELNS0_4arch9wavefront6targetE1EEEvT1_, .Lfunc_end3758-_ZN7rocprim17ROCPRIM_400000_NS6detail17trampoline_kernelINS0_14default_configENS1_20scan_config_selectorIxEEZZNS1_9scan_implILNS1_25lookback_scan_determinismE0ELb0ELb0ES3_N6thrust23THRUST_200600_302600_NS6detail15normal_iteratorINS9_10device_ptrIxEEEENS9_16discard_iteratorINS9_11use_defaultEEEx11max_functorIxExEEDaPvRmT3_T4_T5_mT6_P12ihipStream_tbENKUlT_T0_E_clISt17integral_constantIbLb1EESW_IbLb0EEEEDaSS_ST_EUlSS_E0_NS1_11comp_targetILNS1_3genE3ELNS1_11target_archE908ELNS1_3gpuE7ELNS1_3repE0EEENS1_30default_config_static_selectorELNS0_4arch9wavefront6targetE1EEEvT1_
                                        ; -- End function
	.section	.AMDGPU.csdata,"",@progbits
; Kernel info:
; codeLenInByte = 0
; NumSgprs: 4
; NumVgprs: 0
; NumAgprs: 0
; TotalNumVgprs: 0
; ScratchSize: 0
; MemoryBound: 0
; FloatMode: 240
; IeeeMode: 1
; LDSByteSize: 0 bytes/workgroup (compile time only)
; SGPRBlocks: 0
; VGPRBlocks: 0
; NumSGPRsForWavesPerEU: 4
; NumVGPRsForWavesPerEU: 1
; AccumOffset: 4
; Occupancy: 8
; WaveLimiterHint : 0
; COMPUTE_PGM_RSRC2:SCRATCH_EN: 0
; COMPUTE_PGM_RSRC2:USER_SGPR: 6
; COMPUTE_PGM_RSRC2:TRAP_HANDLER: 0
; COMPUTE_PGM_RSRC2:TGID_X_EN: 1
; COMPUTE_PGM_RSRC2:TGID_Y_EN: 0
; COMPUTE_PGM_RSRC2:TGID_Z_EN: 0
; COMPUTE_PGM_RSRC2:TIDIG_COMP_CNT: 0
; COMPUTE_PGM_RSRC3_GFX90A:ACCUM_OFFSET: 0
; COMPUTE_PGM_RSRC3_GFX90A:TG_SPLIT: 0
	.section	.text._ZN7rocprim17ROCPRIM_400000_NS6detail17trampoline_kernelINS0_14default_configENS1_20scan_config_selectorIxEEZZNS1_9scan_implILNS1_25lookback_scan_determinismE0ELb0ELb0ES3_N6thrust23THRUST_200600_302600_NS6detail15normal_iteratorINS9_10device_ptrIxEEEENS9_16discard_iteratorINS9_11use_defaultEEEx11max_functorIxExEEDaPvRmT3_T4_T5_mT6_P12ihipStream_tbENKUlT_T0_E_clISt17integral_constantIbLb1EESW_IbLb0EEEEDaSS_ST_EUlSS_E0_NS1_11comp_targetILNS1_3genE2ELNS1_11target_archE906ELNS1_3gpuE6ELNS1_3repE0EEENS1_30default_config_static_selectorELNS0_4arch9wavefront6targetE1EEEvT1_,"axG",@progbits,_ZN7rocprim17ROCPRIM_400000_NS6detail17trampoline_kernelINS0_14default_configENS1_20scan_config_selectorIxEEZZNS1_9scan_implILNS1_25lookback_scan_determinismE0ELb0ELb0ES3_N6thrust23THRUST_200600_302600_NS6detail15normal_iteratorINS9_10device_ptrIxEEEENS9_16discard_iteratorINS9_11use_defaultEEEx11max_functorIxExEEDaPvRmT3_T4_T5_mT6_P12ihipStream_tbENKUlT_T0_E_clISt17integral_constantIbLb1EESW_IbLb0EEEEDaSS_ST_EUlSS_E0_NS1_11comp_targetILNS1_3genE2ELNS1_11target_archE906ELNS1_3gpuE6ELNS1_3repE0EEENS1_30default_config_static_selectorELNS0_4arch9wavefront6targetE1EEEvT1_,comdat
	.protected	_ZN7rocprim17ROCPRIM_400000_NS6detail17trampoline_kernelINS0_14default_configENS1_20scan_config_selectorIxEEZZNS1_9scan_implILNS1_25lookback_scan_determinismE0ELb0ELb0ES3_N6thrust23THRUST_200600_302600_NS6detail15normal_iteratorINS9_10device_ptrIxEEEENS9_16discard_iteratorINS9_11use_defaultEEEx11max_functorIxExEEDaPvRmT3_T4_T5_mT6_P12ihipStream_tbENKUlT_T0_E_clISt17integral_constantIbLb1EESW_IbLb0EEEEDaSS_ST_EUlSS_E0_NS1_11comp_targetILNS1_3genE2ELNS1_11target_archE906ELNS1_3gpuE6ELNS1_3repE0EEENS1_30default_config_static_selectorELNS0_4arch9wavefront6targetE1EEEvT1_ ; -- Begin function _ZN7rocprim17ROCPRIM_400000_NS6detail17trampoline_kernelINS0_14default_configENS1_20scan_config_selectorIxEEZZNS1_9scan_implILNS1_25lookback_scan_determinismE0ELb0ELb0ES3_N6thrust23THRUST_200600_302600_NS6detail15normal_iteratorINS9_10device_ptrIxEEEENS9_16discard_iteratorINS9_11use_defaultEEEx11max_functorIxExEEDaPvRmT3_T4_T5_mT6_P12ihipStream_tbENKUlT_T0_E_clISt17integral_constantIbLb1EESW_IbLb0EEEEDaSS_ST_EUlSS_E0_NS1_11comp_targetILNS1_3genE2ELNS1_11target_archE906ELNS1_3gpuE6ELNS1_3repE0EEENS1_30default_config_static_selectorELNS0_4arch9wavefront6targetE1EEEvT1_
	.globl	_ZN7rocprim17ROCPRIM_400000_NS6detail17trampoline_kernelINS0_14default_configENS1_20scan_config_selectorIxEEZZNS1_9scan_implILNS1_25lookback_scan_determinismE0ELb0ELb0ES3_N6thrust23THRUST_200600_302600_NS6detail15normal_iteratorINS9_10device_ptrIxEEEENS9_16discard_iteratorINS9_11use_defaultEEEx11max_functorIxExEEDaPvRmT3_T4_T5_mT6_P12ihipStream_tbENKUlT_T0_E_clISt17integral_constantIbLb1EESW_IbLb0EEEEDaSS_ST_EUlSS_E0_NS1_11comp_targetILNS1_3genE2ELNS1_11target_archE906ELNS1_3gpuE6ELNS1_3repE0EEENS1_30default_config_static_selectorELNS0_4arch9wavefront6targetE1EEEvT1_
	.p2align	8
	.type	_ZN7rocprim17ROCPRIM_400000_NS6detail17trampoline_kernelINS0_14default_configENS1_20scan_config_selectorIxEEZZNS1_9scan_implILNS1_25lookback_scan_determinismE0ELb0ELb0ES3_N6thrust23THRUST_200600_302600_NS6detail15normal_iteratorINS9_10device_ptrIxEEEENS9_16discard_iteratorINS9_11use_defaultEEEx11max_functorIxExEEDaPvRmT3_T4_T5_mT6_P12ihipStream_tbENKUlT_T0_E_clISt17integral_constantIbLb1EESW_IbLb0EEEEDaSS_ST_EUlSS_E0_NS1_11comp_targetILNS1_3genE2ELNS1_11target_archE906ELNS1_3gpuE6ELNS1_3repE0EEENS1_30default_config_static_selectorELNS0_4arch9wavefront6targetE1EEEvT1_,@function
_ZN7rocprim17ROCPRIM_400000_NS6detail17trampoline_kernelINS0_14default_configENS1_20scan_config_selectorIxEEZZNS1_9scan_implILNS1_25lookback_scan_determinismE0ELb0ELb0ES3_N6thrust23THRUST_200600_302600_NS6detail15normal_iteratorINS9_10device_ptrIxEEEENS9_16discard_iteratorINS9_11use_defaultEEEx11max_functorIxExEEDaPvRmT3_T4_T5_mT6_P12ihipStream_tbENKUlT_T0_E_clISt17integral_constantIbLb1EESW_IbLb0EEEEDaSS_ST_EUlSS_E0_NS1_11comp_targetILNS1_3genE2ELNS1_11target_archE906ELNS1_3gpuE6ELNS1_3repE0EEENS1_30default_config_static_selectorELNS0_4arch9wavefront6targetE1EEEvT1_: ; @_ZN7rocprim17ROCPRIM_400000_NS6detail17trampoline_kernelINS0_14default_configENS1_20scan_config_selectorIxEEZZNS1_9scan_implILNS1_25lookback_scan_determinismE0ELb0ELb0ES3_N6thrust23THRUST_200600_302600_NS6detail15normal_iteratorINS9_10device_ptrIxEEEENS9_16discard_iteratorINS9_11use_defaultEEEx11max_functorIxExEEDaPvRmT3_T4_T5_mT6_P12ihipStream_tbENKUlT_T0_E_clISt17integral_constantIbLb1EESW_IbLb0EEEEDaSS_ST_EUlSS_E0_NS1_11comp_targetILNS1_3genE2ELNS1_11target_archE906ELNS1_3gpuE6ELNS1_3repE0EEENS1_30default_config_static_selectorELNS0_4arch9wavefront6targetE1EEEvT1_
; %bb.0:
	.section	.rodata,"a",@progbits
	.p2align	6, 0x0
	.amdhsa_kernel _ZN7rocprim17ROCPRIM_400000_NS6detail17trampoline_kernelINS0_14default_configENS1_20scan_config_selectorIxEEZZNS1_9scan_implILNS1_25lookback_scan_determinismE0ELb0ELb0ES3_N6thrust23THRUST_200600_302600_NS6detail15normal_iteratorINS9_10device_ptrIxEEEENS9_16discard_iteratorINS9_11use_defaultEEEx11max_functorIxExEEDaPvRmT3_T4_T5_mT6_P12ihipStream_tbENKUlT_T0_E_clISt17integral_constantIbLb1EESW_IbLb0EEEEDaSS_ST_EUlSS_E0_NS1_11comp_targetILNS1_3genE2ELNS1_11target_archE906ELNS1_3gpuE6ELNS1_3repE0EEENS1_30default_config_static_selectorELNS0_4arch9wavefront6targetE1EEEvT1_
		.amdhsa_group_segment_fixed_size 0
		.amdhsa_private_segment_fixed_size 0
		.amdhsa_kernarg_size 48
		.amdhsa_user_sgpr_count 6
		.amdhsa_user_sgpr_private_segment_buffer 1
		.amdhsa_user_sgpr_dispatch_ptr 0
		.amdhsa_user_sgpr_queue_ptr 0
		.amdhsa_user_sgpr_kernarg_segment_ptr 1
		.amdhsa_user_sgpr_dispatch_id 0
		.amdhsa_user_sgpr_flat_scratch_init 0
		.amdhsa_user_sgpr_kernarg_preload_length 0
		.amdhsa_user_sgpr_kernarg_preload_offset 0
		.amdhsa_user_sgpr_private_segment_size 0
		.amdhsa_uses_dynamic_stack 0
		.amdhsa_system_sgpr_private_segment_wavefront_offset 0
		.amdhsa_system_sgpr_workgroup_id_x 1
		.amdhsa_system_sgpr_workgroup_id_y 0
		.amdhsa_system_sgpr_workgroup_id_z 0
		.amdhsa_system_sgpr_workgroup_info 0
		.amdhsa_system_vgpr_workitem_id 0
		.amdhsa_next_free_vgpr 1
		.amdhsa_next_free_sgpr 0
		.amdhsa_accum_offset 4
		.amdhsa_reserve_vcc 0
		.amdhsa_reserve_flat_scratch 0
		.amdhsa_float_round_mode_32 0
		.amdhsa_float_round_mode_16_64 0
		.amdhsa_float_denorm_mode_32 3
		.amdhsa_float_denorm_mode_16_64 3
		.amdhsa_dx10_clamp 1
		.amdhsa_ieee_mode 1
		.amdhsa_fp16_overflow 0
		.amdhsa_tg_split 0
		.amdhsa_exception_fp_ieee_invalid_op 0
		.amdhsa_exception_fp_denorm_src 0
		.amdhsa_exception_fp_ieee_div_zero 0
		.amdhsa_exception_fp_ieee_overflow 0
		.amdhsa_exception_fp_ieee_underflow 0
		.amdhsa_exception_fp_ieee_inexact 0
		.amdhsa_exception_int_div_zero 0
	.end_amdhsa_kernel
	.section	.text._ZN7rocprim17ROCPRIM_400000_NS6detail17trampoline_kernelINS0_14default_configENS1_20scan_config_selectorIxEEZZNS1_9scan_implILNS1_25lookback_scan_determinismE0ELb0ELb0ES3_N6thrust23THRUST_200600_302600_NS6detail15normal_iteratorINS9_10device_ptrIxEEEENS9_16discard_iteratorINS9_11use_defaultEEEx11max_functorIxExEEDaPvRmT3_T4_T5_mT6_P12ihipStream_tbENKUlT_T0_E_clISt17integral_constantIbLb1EESW_IbLb0EEEEDaSS_ST_EUlSS_E0_NS1_11comp_targetILNS1_3genE2ELNS1_11target_archE906ELNS1_3gpuE6ELNS1_3repE0EEENS1_30default_config_static_selectorELNS0_4arch9wavefront6targetE1EEEvT1_,"axG",@progbits,_ZN7rocprim17ROCPRIM_400000_NS6detail17trampoline_kernelINS0_14default_configENS1_20scan_config_selectorIxEEZZNS1_9scan_implILNS1_25lookback_scan_determinismE0ELb0ELb0ES3_N6thrust23THRUST_200600_302600_NS6detail15normal_iteratorINS9_10device_ptrIxEEEENS9_16discard_iteratorINS9_11use_defaultEEEx11max_functorIxExEEDaPvRmT3_T4_T5_mT6_P12ihipStream_tbENKUlT_T0_E_clISt17integral_constantIbLb1EESW_IbLb0EEEEDaSS_ST_EUlSS_E0_NS1_11comp_targetILNS1_3genE2ELNS1_11target_archE906ELNS1_3gpuE6ELNS1_3repE0EEENS1_30default_config_static_selectorELNS0_4arch9wavefront6targetE1EEEvT1_,comdat
.Lfunc_end3759:
	.size	_ZN7rocprim17ROCPRIM_400000_NS6detail17trampoline_kernelINS0_14default_configENS1_20scan_config_selectorIxEEZZNS1_9scan_implILNS1_25lookback_scan_determinismE0ELb0ELb0ES3_N6thrust23THRUST_200600_302600_NS6detail15normal_iteratorINS9_10device_ptrIxEEEENS9_16discard_iteratorINS9_11use_defaultEEEx11max_functorIxExEEDaPvRmT3_T4_T5_mT6_P12ihipStream_tbENKUlT_T0_E_clISt17integral_constantIbLb1EESW_IbLb0EEEEDaSS_ST_EUlSS_E0_NS1_11comp_targetILNS1_3genE2ELNS1_11target_archE906ELNS1_3gpuE6ELNS1_3repE0EEENS1_30default_config_static_selectorELNS0_4arch9wavefront6targetE1EEEvT1_, .Lfunc_end3759-_ZN7rocprim17ROCPRIM_400000_NS6detail17trampoline_kernelINS0_14default_configENS1_20scan_config_selectorIxEEZZNS1_9scan_implILNS1_25lookback_scan_determinismE0ELb0ELb0ES3_N6thrust23THRUST_200600_302600_NS6detail15normal_iteratorINS9_10device_ptrIxEEEENS9_16discard_iteratorINS9_11use_defaultEEEx11max_functorIxExEEDaPvRmT3_T4_T5_mT6_P12ihipStream_tbENKUlT_T0_E_clISt17integral_constantIbLb1EESW_IbLb0EEEEDaSS_ST_EUlSS_E0_NS1_11comp_targetILNS1_3genE2ELNS1_11target_archE906ELNS1_3gpuE6ELNS1_3repE0EEENS1_30default_config_static_selectorELNS0_4arch9wavefront6targetE1EEEvT1_
                                        ; -- End function
	.section	.AMDGPU.csdata,"",@progbits
; Kernel info:
; codeLenInByte = 0
; NumSgprs: 4
; NumVgprs: 0
; NumAgprs: 0
; TotalNumVgprs: 0
; ScratchSize: 0
; MemoryBound: 0
; FloatMode: 240
; IeeeMode: 1
; LDSByteSize: 0 bytes/workgroup (compile time only)
; SGPRBlocks: 0
; VGPRBlocks: 0
; NumSGPRsForWavesPerEU: 4
; NumVGPRsForWavesPerEU: 1
; AccumOffset: 4
; Occupancy: 8
; WaveLimiterHint : 0
; COMPUTE_PGM_RSRC2:SCRATCH_EN: 0
; COMPUTE_PGM_RSRC2:USER_SGPR: 6
; COMPUTE_PGM_RSRC2:TRAP_HANDLER: 0
; COMPUTE_PGM_RSRC2:TGID_X_EN: 1
; COMPUTE_PGM_RSRC2:TGID_Y_EN: 0
; COMPUTE_PGM_RSRC2:TGID_Z_EN: 0
; COMPUTE_PGM_RSRC2:TIDIG_COMP_CNT: 0
; COMPUTE_PGM_RSRC3_GFX90A:ACCUM_OFFSET: 0
; COMPUTE_PGM_RSRC3_GFX90A:TG_SPLIT: 0
	.section	.text._ZN7rocprim17ROCPRIM_400000_NS6detail17trampoline_kernelINS0_14default_configENS1_20scan_config_selectorIxEEZZNS1_9scan_implILNS1_25lookback_scan_determinismE0ELb0ELb0ES3_N6thrust23THRUST_200600_302600_NS6detail15normal_iteratorINS9_10device_ptrIxEEEENS9_16discard_iteratorINS9_11use_defaultEEEx11max_functorIxExEEDaPvRmT3_T4_T5_mT6_P12ihipStream_tbENKUlT_T0_E_clISt17integral_constantIbLb1EESW_IbLb0EEEEDaSS_ST_EUlSS_E0_NS1_11comp_targetILNS1_3genE10ELNS1_11target_archE1201ELNS1_3gpuE5ELNS1_3repE0EEENS1_30default_config_static_selectorELNS0_4arch9wavefront6targetE1EEEvT1_,"axG",@progbits,_ZN7rocprim17ROCPRIM_400000_NS6detail17trampoline_kernelINS0_14default_configENS1_20scan_config_selectorIxEEZZNS1_9scan_implILNS1_25lookback_scan_determinismE0ELb0ELb0ES3_N6thrust23THRUST_200600_302600_NS6detail15normal_iteratorINS9_10device_ptrIxEEEENS9_16discard_iteratorINS9_11use_defaultEEEx11max_functorIxExEEDaPvRmT3_T4_T5_mT6_P12ihipStream_tbENKUlT_T0_E_clISt17integral_constantIbLb1EESW_IbLb0EEEEDaSS_ST_EUlSS_E0_NS1_11comp_targetILNS1_3genE10ELNS1_11target_archE1201ELNS1_3gpuE5ELNS1_3repE0EEENS1_30default_config_static_selectorELNS0_4arch9wavefront6targetE1EEEvT1_,comdat
	.protected	_ZN7rocprim17ROCPRIM_400000_NS6detail17trampoline_kernelINS0_14default_configENS1_20scan_config_selectorIxEEZZNS1_9scan_implILNS1_25lookback_scan_determinismE0ELb0ELb0ES3_N6thrust23THRUST_200600_302600_NS6detail15normal_iteratorINS9_10device_ptrIxEEEENS9_16discard_iteratorINS9_11use_defaultEEEx11max_functorIxExEEDaPvRmT3_T4_T5_mT6_P12ihipStream_tbENKUlT_T0_E_clISt17integral_constantIbLb1EESW_IbLb0EEEEDaSS_ST_EUlSS_E0_NS1_11comp_targetILNS1_3genE10ELNS1_11target_archE1201ELNS1_3gpuE5ELNS1_3repE0EEENS1_30default_config_static_selectorELNS0_4arch9wavefront6targetE1EEEvT1_ ; -- Begin function _ZN7rocprim17ROCPRIM_400000_NS6detail17trampoline_kernelINS0_14default_configENS1_20scan_config_selectorIxEEZZNS1_9scan_implILNS1_25lookback_scan_determinismE0ELb0ELb0ES3_N6thrust23THRUST_200600_302600_NS6detail15normal_iteratorINS9_10device_ptrIxEEEENS9_16discard_iteratorINS9_11use_defaultEEEx11max_functorIxExEEDaPvRmT3_T4_T5_mT6_P12ihipStream_tbENKUlT_T0_E_clISt17integral_constantIbLb1EESW_IbLb0EEEEDaSS_ST_EUlSS_E0_NS1_11comp_targetILNS1_3genE10ELNS1_11target_archE1201ELNS1_3gpuE5ELNS1_3repE0EEENS1_30default_config_static_selectorELNS0_4arch9wavefront6targetE1EEEvT1_
	.globl	_ZN7rocprim17ROCPRIM_400000_NS6detail17trampoline_kernelINS0_14default_configENS1_20scan_config_selectorIxEEZZNS1_9scan_implILNS1_25lookback_scan_determinismE0ELb0ELb0ES3_N6thrust23THRUST_200600_302600_NS6detail15normal_iteratorINS9_10device_ptrIxEEEENS9_16discard_iteratorINS9_11use_defaultEEEx11max_functorIxExEEDaPvRmT3_T4_T5_mT6_P12ihipStream_tbENKUlT_T0_E_clISt17integral_constantIbLb1EESW_IbLb0EEEEDaSS_ST_EUlSS_E0_NS1_11comp_targetILNS1_3genE10ELNS1_11target_archE1201ELNS1_3gpuE5ELNS1_3repE0EEENS1_30default_config_static_selectorELNS0_4arch9wavefront6targetE1EEEvT1_
	.p2align	8
	.type	_ZN7rocprim17ROCPRIM_400000_NS6detail17trampoline_kernelINS0_14default_configENS1_20scan_config_selectorIxEEZZNS1_9scan_implILNS1_25lookback_scan_determinismE0ELb0ELb0ES3_N6thrust23THRUST_200600_302600_NS6detail15normal_iteratorINS9_10device_ptrIxEEEENS9_16discard_iteratorINS9_11use_defaultEEEx11max_functorIxExEEDaPvRmT3_T4_T5_mT6_P12ihipStream_tbENKUlT_T0_E_clISt17integral_constantIbLb1EESW_IbLb0EEEEDaSS_ST_EUlSS_E0_NS1_11comp_targetILNS1_3genE10ELNS1_11target_archE1201ELNS1_3gpuE5ELNS1_3repE0EEENS1_30default_config_static_selectorELNS0_4arch9wavefront6targetE1EEEvT1_,@function
_ZN7rocprim17ROCPRIM_400000_NS6detail17trampoline_kernelINS0_14default_configENS1_20scan_config_selectorIxEEZZNS1_9scan_implILNS1_25lookback_scan_determinismE0ELb0ELb0ES3_N6thrust23THRUST_200600_302600_NS6detail15normal_iteratorINS9_10device_ptrIxEEEENS9_16discard_iteratorINS9_11use_defaultEEEx11max_functorIxExEEDaPvRmT3_T4_T5_mT6_P12ihipStream_tbENKUlT_T0_E_clISt17integral_constantIbLb1EESW_IbLb0EEEEDaSS_ST_EUlSS_E0_NS1_11comp_targetILNS1_3genE10ELNS1_11target_archE1201ELNS1_3gpuE5ELNS1_3repE0EEENS1_30default_config_static_selectorELNS0_4arch9wavefront6targetE1EEEvT1_: ; @_ZN7rocprim17ROCPRIM_400000_NS6detail17trampoline_kernelINS0_14default_configENS1_20scan_config_selectorIxEEZZNS1_9scan_implILNS1_25lookback_scan_determinismE0ELb0ELb0ES3_N6thrust23THRUST_200600_302600_NS6detail15normal_iteratorINS9_10device_ptrIxEEEENS9_16discard_iteratorINS9_11use_defaultEEEx11max_functorIxExEEDaPvRmT3_T4_T5_mT6_P12ihipStream_tbENKUlT_T0_E_clISt17integral_constantIbLb1EESW_IbLb0EEEEDaSS_ST_EUlSS_E0_NS1_11comp_targetILNS1_3genE10ELNS1_11target_archE1201ELNS1_3gpuE5ELNS1_3repE0EEENS1_30default_config_static_selectorELNS0_4arch9wavefront6targetE1EEEvT1_
; %bb.0:
	.section	.rodata,"a",@progbits
	.p2align	6, 0x0
	.amdhsa_kernel _ZN7rocprim17ROCPRIM_400000_NS6detail17trampoline_kernelINS0_14default_configENS1_20scan_config_selectorIxEEZZNS1_9scan_implILNS1_25lookback_scan_determinismE0ELb0ELb0ES3_N6thrust23THRUST_200600_302600_NS6detail15normal_iteratorINS9_10device_ptrIxEEEENS9_16discard_iteratorINS9_11use_defaultEEEx11max_functorIxExEEDaPvRmT3_T4_T5_mT6_P12ihipStream_tbENKUlT_T0_E_clISt17integral_constantIbLb1EESW_IbLb0EEEEDaSS_ST_EUlSS_E0_NS1_11comp_targetILNS1_3genE10ELNS1_11target_archE1201ELNS1_3gpuE5ELNS1_3repE0EEENS1_30default_config_static_selectorELNS0_4arch9wavefront6targetE1EEEvT1_
		.amdhsa_group_segment_fixed_size 0
		.amdhsa_private_segment_fixed_size 0
		.amdhsa_kernarg_size 48
		.amdhsa_user_sgpr_count 6
		.amdhsa_user_sgpr_private_segment_buffer 1
		.amdhsa_user_sgpr_dispatch_ptr 0
		.amdhsa_user_sgpr_queue_ptr 0
		.amdhsa_user_sgpr_kernarg_segment_ptr 1
		.amdhsa_user_sgpr_dispatch_id 0
		.amdhsa_user_sgpr_flat_scratch_init 0
		.amdhsa_user_sgpr_kernarg_preload_length 0
		.amdhsa_user_sgpr_kernarg_preload_offset 0
		.amdhsa_user_sgpr_private_segment_size 0
		.amdhsa_uses_dynamic_stack 0
		.amdhsa_system_sgpr_private_segment_wavefront_offset 0
		.amdhsa_system_sgpr_workgroup_id_x 1
		.amdhsa_system_sgpr_workgroup_id_y 0
		.amdhsa_system_sgpr_workgroup_id_z 0
		.amdhsa_system_sgpr_workgroup_info 0
		.amdhsa_system_vgpr_workitem_id 0
		.amdhsa_next_free_vgpr 1
		.amdhsa_next_free_sgpr 0
		.amdhsa_accum_offset 4
		.amdhsa_reserve_vcc 0
		.amdhsa_reserve_flat_scratch 0
		.amdhsa_float_round_mode_32 0
		.amdhsa_float_round_mode_16_64 0
		.amdhsa_float_denorm_mode_32 3
		.amdhsa_float_denorm_mode_16_64 3
		.amdhsa_dx10_clamp 1
		.amdhsa_ieee_mode 1
		.amdhsa_fp16_overflow 0
		.amdhsa_tg_split 0
		.amdhsa_exception_fp_ieee_invalid_op 0
		.amdhsa_exception_fp_denorm_src 0
		.amdhsa_exception_fp_ieee_div_zero 0
		.amdhsa_exception_fp_ieee_overflow 0
		.amdhsa_exception_fp_ieee_underflow 0
		.amdhsa_exception_fp_ieee_inexact 0
		.amdhsa_exception_int_div_zero 0
	.end_amdhsa_kernel
	.section	.text._ZN7rocprim17ROCPRIM_400000_NS6detail17trampoline_kernelINS0_14default_configENS1_20scan_config_selectorIxEEZZNS1_9scan_implILNS1_25lookback_scan_determinismE0ELb0ELb0ES3_N6thrust23THRUST_200600_302600_NS6detail15normal_iteratorINS9_10device_ptrIxEEEENS9_16discard_iteratorINS9_11use_defaultEEEx11max_functorIxExEEDaPvRmT3_T4_T5_mT6_P12ihipStream_tbENKUlT_T0_E_clISt17integral_constantIbLb1EESW_IbLb0EEEEDaSS_ST_EUlSS_E0_NS1_11comp_targetILNS1_3genE10ELNS1_11target_archE1201ELNS1_3gpuE5ELNS1_3repE0EEENS1_30default_config_static_selectorELNS0_4arch9wavefront6targetE1EEEvT1_,"axG",@progbits,_ZN7rocprim17ROCPRIM_400000_NS6detail17trampoline_kernelINS0_14default_configENS1_20scan_config_selectorIxEEZZNS1_9scan_implILNS1_25lookback_scan_determinismE0ELb0ELb0ES3_N6thrust23THRUST_200600_302600_NS6detail15normal_iteratorINS9_10device_ptrIxEEEENS9_16discard_iteratorINS9_11use_defaultEEEx11max_functorIxExEEDaPvRmT3_T4_T5_mT6_P12ihipStream_tbENKUlT_T0_E_clISt17integral_constantIbLb1EESW_IbLb0EEEEDaSS_ST_EUlSS_E0_NS1_11comp_targetILNS1_3genE10ELNS1_11target_archE1201ELNS1_3gpuE5ELNS1_3repE0EEENS1_30default_config_static_selectorELNS0_4arch9wavefront6targetE1EEEvT1_,comdat
.Lfunc_end3760:
	.size	_ZN7rocprim17ROCPRIM_400000_NS6detail17trampoline_kernelINS0_14default_configENS1_20scan_config_selectorIxEEZZNS1_9scan_implILNS1_25lookback_scan_determinismE0ELb0ELb0ES3_N6thrust23THRUST_200600_302600_NS6detail15normal_iteratorINS9_10device_ptrIxEEEENS9_16discard_iteratorINS9_11use_defaultEEEx11max_functorIxExEEDaPvRmT3_T4_T5_mT6_P12ihipStream_tbENKUlT_T0_E_clISt17integral_constantIbLb1EESW_IbLb0EEEEDaSS_ST_EUlSS_E0_NS1_11comp_targetILNS1_3genE10ELNS1_11target_archE1201ELNS1_3gpuE5ELNS1_3repE0EEENS1_30default_config_static_selectorELNS0_4arch9wavefront6targetE1EEEvT1_, .Lfunc_end3760-_ZN7rocprim17ROCPRIM_400000_NS6detail17trampoline_kernelINS0_14default_configENS1_20scan_config_selectorIxEEZZNS1_9scan_implILNS1_25lookback_scan_determinismE0ELb0ELb0ES3_N6thrust23THRUST_200600_302600_NS6detail15normal_iteratorINS9_10device_ptrIxEEEENS9_16discard_iteratorINS9_11use_defaultEEEx11max_functorIxExEEDaPvRmT3_T4_T5_mT6_P12ihipStream_tbENKUlT_T0_E_clISt17integral_constantIbLb1EESW_IbLb0EEEEDaSS_ST_EUlSS_E0_NS1_11comp_targetILNS1_3genE10ELNS1_11target_archE1201ELNS1_3gpuE5ELNS1_3repE0EEENS1_30default_config_static_selectorELNS0_4arch9wavefront6targetE1EEEvT1_
                                        ; -- End function
	.section	.AMDGPU.csdata,"",@progbits
; Kernel info:
; codeLenInByte = 0
; NumSgprs: 4
; NumVgprs: 0
; NumAgprs: 0
; TotalNumVgprs: 0
; ScratchSize: 0
; MemoryBound: 0
; FloatMode: 240
; IeeeMode: 1
; LDSByteSize: 0 bytes/workgroup (compile time only)
; SGPRBlocks: 0
; VGPRBlocks: 0
; NumSGPRsForWavesPerEU: 4
; NumVGPRsForWavesPerEU: 1
; AccumOffset: 4
; Occupancy: 8
; WaveLimiterHint : 0
; COMPUTE_PGM_RSRC2:SCRATCH_EN: 0
; COMPUTE_PGM_RSRC2:USER_SGPR: 6
; COMPUTE_PGM_RSRC2:TRAP_HANDLER: 0
; COMPUTE_PGM_RSRC2:TGID_X_EN: 1
; COMPUTE_PGM_RSRC2:TGID_Y_EN: 0
; COMPUTE_PGM_RSRC2:TGID_Z_EN: 0
; COMPUTE_PGM_RSRC2:TIDIG_COMP_CNT: 0
; COMPUTE_PGM_RSRC3_GFX90A:ACCUM_OFFSET: 0
; COMPUTE_PGM_RSRC3_GFX90A:TG_SPLIT: 0
	.section	.text._ZN7rocprim17ROCPRIM_400000_NS6detail17trampoline_kernelINS0_14default_configENS1_20scan_config_selectorIxEEZZNS1_9scan_implILNS1_25lookback_scan_determinismE0ELb0ELb0ES3_N6thrust23THRUST_200600_302600_NS6detail15normal_iteratorINS9_10device_ptrIxEEEENS9_16discard_iteratorINS9_11use_defaultEEEx11max_functorIxExEEDaPvRmT3_T4_T5_mT6_P12ihipStream_tbENKUlT_T0_E_clISt17integral_constantIbLb1EESW_IbLb0EEEEDaSS_ST_EUlSS_E0_NS1_11comp_targetILNS1_3genE10ELNS1_11target_archE1200ELNS1_3gpuE4ELNS1_3repE0EEENS1_30default_config_static_selectorELNS0_4arch9wavefront6targetE1EEEvT1_,"axG",@progbits,_ZN7rocprim17ROCPRIM_400000_NS6detail17trampoline_kernelINS0_14default_configENS1_20scan_config_selectorIxEEZZNS1_9scan_implILNS1_25lookback_scan_determinismE0ELb0ELb0ES3_N6thrust23THRUST_200600_302600_NS6detail15normal_iteratorINS9_10device_ptrIxEEEENS9_16discard_iteratorINS9_11use_defaultEEEx11max_functorIxExEEDaPvRmT3_T4_T5_mT6_P12ihipStream_tbENKUlT_T0_E_clISt17integral_constantIbLb1EESW_IbLb0EEEEDaSS_ST_EUlSS_E0_NS1_11comp_targetILNS1_3genE10ELNS1_11target_archE1200ELNS1_3gpuE4ELNS1_3repE0EEENS1_30default_config_static_selectorELNS0_4arch9wavefront6targetE1EEEvT1_,comdat
	.protected	_ZN7rocprim17ROCPRIM_400000_NS6detail17trampoline_kernelINS0_14default_configENS1_20scan_config_selectorIxEEZZNS1_9scan_implILNS1_25lookback_scan_determinismE0ELb0ELb0ES3_N6thrust23THRUST_200600_302600_NS6detail15normal_iteratorINS9_10device_ptrIxEEEENS9_16discard_iteratorINS9_11use_defaultEEEx11max_functorIxExEEDaPvRmT3_T4_T5_mT6_P12ihipStream_tbENKUlT_T0_E_clISt17integral_constantIbLb1EESW_IbLb0EEEEDaSS_ST_EUlSS_E0_NS1_11comp_targetILNS1_3genE10ELNS1_11target_archE1200ELNS1_3gpuE4ELNS1_3repE0EEENS1_30default_config_static_selectorELNS0_4arch9wavefront6targetE1EEEvT1_ ; -- Begin function _ZN7rocprim17ROCPRIM_400000_NS6detail17trampoline_kernelINS0_14default_configENS1_20scan_config_selectorIxEEZZNS1_9scan_implILNS1_25lookback_scan_determinismE0ELb0ELb0ES3_N6thrust23THRUST_200600_302600_NS6detail15normal_iteratorINS9_10device_ptrIxEEEENS9_16discard_iteratorINS9_11use_defaultEEEx11max_functorIxExEEDaPvRmT3_T4_T5_mT6_P12ihipStream_tbENKUlT_T0_E_clISt17integral_constantIbLb1EESW_IbLb0EEEEDaSS_ST_EUlSS_E0_NS1_11comp_targetILNS1_3genE10ELNS1_11target_archE1200ELNS1_3gpuE4ELNS1_3repE0EEENS1_30default_config_static_selectorELNS0_4arch9wavefront6targetE1EEEvT1_
	.globl	_ZN7rocprim17ROCPRIM_400000_NS6detail17trampoline_kernelINS0_14default_configENS1_20scan_config_selectorIxEEZZNS1_9scan_implILNS1_25lookback_scan_determinismE0ELb0ELb0ES3_N6thrust23THRUST_200600_302600_NS6detail15normal_iteratorINS9_10device_ptrIxEEEENS9_16discard_iteratorINS9_11use_defaultEEEx11max_functorIxExEEDaPvRmT3_T4_T5_mT6_P12ihipStream_tbENKUlT_T0_E_clISt17integral_constantIbLb1EESW_IbLb0EEEEDaSS_ST_EUlSS_E0_NS1_11comp_targetILNS1_3genE10ELNS1_11target_archE1200ELNS1_3gpuE4ELNS1_3repE0EEENS1_30default_config_static_selectorELNS0_4arch9wavefront6targetE1EEEvT1_
	.p2align	8
	.type	_ZN7rocprim17ROCPRIM_400000_NS6detail17trampoline_kernelINS0_14default_configENS1_20scan_config_selectorIxEEZZNS1_9scan_implILNS1_25lookback_scan_determinismE0ELb0ELb0ES3_N6thrust23THRUST_200600_302600_NS6detail15normal_iteratorINS9_10device_ptrIxEEEENS9_16discard_iteratorINS9_11use_defaultEEEx11max_functorIxExEEDaPvRmT3_T4_T5_mT6_P12ihipStream_tbENKUlT_T0_E_clISt17integral_constantIbLb1EESW_IbLb0EEEEDaSS_ST_EUlSS_E0_NS1_11comp_targetILNS1_3genE10ELNS1_11target_archE1200ELNS1_3gpuE4ELNS1_3repE0EEENS1_30default_config_static_selectorELNS0_4arch9wavefront6targetE1EEEvT1_,@function
_ZN7rocprim17ROCPRIM_400000_NS6detail17trampoline_kernelINS0_14default_configENS1_20scan_config_selectorIxEEZZNS1_9scan_implILNS1_25lookback_scan_determinismE0ELb0ELb0ES3_N6thrust23THRUST_200600_302600_NS6detail15normal_iteratorINS9_10device_ptrIxEEEENS9_16discard_iteratorINS9_11use_defaultEEEx11max_functorIxExEEDaPvRmT3_T4_T5_mT6_P12ihipStream_tbENKUlT_T0_E_clISt17integral_constantIbLb1EESW_IbLb0EEEEDaSS_ST_EUlSS_E0_NS1_11comp_targetILNS1_3genE10ELNS1_11target_archE1200ELNS1_3gpuE4ELNS1_3repE0EEENS1_30default_config_static_selectorELNS0_4arch9wavefront6targetE1EEEvT1_: ; @_ZN7rocprim17ROCPRIM_400000_NS6detail17trampoline_kernelINS0_14default_configENS1_20scan_config_selectorIxEEZZNS1_9scan_implILNS1_25lookback_scan_determinismE0ELb0ELb0ES3_N6thrust23THRUST_200600_302600_NS6detail15normal_iteratorINS9_10device_ptrIxEEEENS9_16discard_iteratorINS9_11use_defaultEEEx11max_functorIxExEEDaPvRmT3_T4_T5_mT6_P12ihipStream_tbENKUlT_T0_E_clISt17integral_constantIbLb1EESW_IbLb0EEEEDaSS_ST_EUlSS_E0_NS1_11comp_targetILNS1_3genE10ELNS1_11target_archE1200ELNS1_3gpuE4ELNS1_3repE0EEENS1_30default_config_static_selectorELNS0_4arch9wavefront6targetE1EEEvT1_
; %bb.0:
	.section	.rodata,"a",@progbits
	.p2align	6, 0x0
	.amdhsa_kernel _ZN7rocprim17ROCPRIM_400000_NS6detail17trampoline_kernelINS0_14default_configENS1_20scan_config_selectorIxEEZZNS1_9scan_implILNS1_25lookback_scan_determinismE0ELb0ELb0ES3_N6thrust23THRUST_200600_302600_NS6detail15normal_iteratorINS9_10device_ptrIxEEEENS9_16discard_iteratorINS9_11use_defaultEEEx11max_functorIxExEEDaPvRmT3_T4_T5_mT6_P12ihipStream_tbENKUlT_T0_E_clISt17integral_constantIbLb1EESW_IbLb0EEEEDaSS_ST_EUlSS_E0_NS1_11comp_targetILNS1_3genE10ELNS1_11target_archE1200ELNS1_3gpuE4ELNS1_3repE0EEENS1_30default_config_static_selectorELNS0_4arch9wavefront6targetE1EEEvT1_
		.amdhsa_group_segment_fixed_size 0
		.amdhsa_private_segment_fixed_size 0
		.amdhsa_kernarg_size 48
		.amdhsa_user_sgpr_count 6
		.amdhsa_user_sgpr_private_segment_buffer 1
		.amdhsa_user_sgpr_dispatch_ptr 0
		.amdhsa_user_sgpr_queue_ptr 0
		.amdhsa_user_sgpr_kernarg_segment_ptr 1
		.amdhsa_user_sgpr_dispatch_id 0
		.amdhsa_user_sgpr_flat_scratch_init 0
		.amdhsa_user_sgpr_kernarg_preload_length 0
		.amdhsa_user_sgpr_kernarg_preload_offset 0
		.amdhsa_user_sgpr_private_segment_size 0
		.amdhsa_uses_dynamic_stack 0
		.amdhsa_system_sgpr_private_segment_wavefront_offset 0
		.amdhsa_system_sgpr_workgroup_id_x 1
		.amdhsa_system_sgpr_workgroup_id_y 0
		.amdhsa_system_sgpr_workgroup_id_z 0
		.amdhsa_system_sgpr_workgroup_info 0
		.amdhsa_system_vgpr_workitem_id 0
		.amdhsa_next_free_vgpr 1
		.amdhsa_next_free_sgpr 0
		.amdhsa_accum_offset 4
		.amdhsa_reserve_vcc 0
		.amdhsa_reserve_flat_scratch 0
		.amdhsa_float_round_mode_32 0
		.amdhsa_float_round_mode_16_64 0
		.amdhsa_float_denorm_mode_32 3
		.amdhsa_float_denorm_mode_16_64 3
		.amdhsa_dx10_clamp 1
		.amdhsa_ieee_mode 1
		.amdhsa_fp16_overflow 0
		.amdhsa_tg_split 0
		.amdhsa_exception_fp_ieee_invalid_op 0
		.amdhsa_exception_fp_denorm_src 0
		.amdhsa_exception_fp_ieee_div_zero 0
		.amdhsa_exception_fp_ieee_overflow 0
		.amdhsa_exception_fp_ieee_underflow 0
		.amdhsa_exception_fp_ieee_inexact 0
		.amdhsa_exception_int_div_zero 0
	.end_amdhsa_kernel
	.section	.text._ZN7rocprim17ROCPRIM_400000_NS6detail17trampoline_kernelINS0_14default_configENS1_20scan_config_selectorIxEEZZNS1_9scan_implILNS1_25lookback_scan_determinismE0ELb0ELb0ES3_N6thrust23THRUST_200600_302600_NS6detail15normal_iteratorINS9_10device_ptrIxEEEENS9_16discard_iteratorINS9_11use_defaultEEEx11max_functorIxExEEDaPvRmT3_T4_T5_mT6_P12ihipStream_tbENKUlT_T0_E_clISt17integral_constantIbLb1EESW_IbLb0EEEEDaSS_ST_EUlSS_E0_NS1_11comp_targetILNS1_3genE10ELNS1_11target_archE1200ELNS1_3gpuE4ELNS1_3repE0EEENS1_30default_config_static_selectorELNS0_4arch9wavefront6targetE1EEEvT1_,"axG",@progbits,_ZN7rocprim17ROCPRIM_400000_NS6detail17trampoline_kernelINS0_14default_configENS1_20scan_config_selectorIxEEZZNS1_9scan_implILNS1_25lookback_scan_determinismE0ELb0ELb0ES3_N6thrust23THRUST_200600_302600_NS6detail15normal_iteratorINS9_10device_ptrIxEEEENS9_16discard_iteratorINS9_11use_defaultEEEx11max_functorIxExEEDaPvRmT3_T4_T5_mT6_P12ihipStream_tbENKUlT_T0_E_clISt17integral_constantIbLb1EESW_IbLb0EEEEDaSS_ST_EUlSS_E0_NS1_11comp_targetILNS1_3genE10ELNS1_11target_archE1200ELNS1_3gpuE4ELNS1_3repE0EEENS1_30default_config_static_selectorELNS0_4arch9wavefront6targetE1EEEvT1_,comdat
.Lfunc_end3761:
	.size	_ZN7rocprim17ROCPRIM_400000_NS6detail17trampoline_kernelINS0_14default_configENS1_20scan_config_selectorIxEEZZNS1_9scan_implILNS1_25lookback_scan_determinismE0ELb0ELb0ES3_N6thrust23THRUST_200600_302600_NS6detail15normal_iteratorINS9_10device_ptrIxEEEENS9_16discard_iteratorINS9_11use_defaultEEEx11max_functorIxExEEDaPvRmT3_T4_T5_mT6_P12ihipStream_tbENKUlT_T0_E_clISt17integral_constantIbLb1EESW_IbLb0EEEEDaSS_ST_EUlSS_E0_NS1_11comp_targetILNS1_3genE10ELNS1_11target_archE1200ELNS1_3gpuE4ELNS1_3repE0EEENS1_30default_config_static_selectorELNS0_4arch9wavefront6targetE1EEEvT1_, .Lfunc_end3761-_ZN7rocprim17ROCPRIM_400000_NS6detail17trampoline_kernelINS0_14default_configENS1_20scan_config_selectorIxEEZZNS1_9scan_implILNS1_25lookback_scan_determinismE0ELb0ELb0ES3_N6thrust23THRUST_200600_302600_NS6detail15normal_iteratorINS9_10device_ptrIxEEEENS9_16discard_iteratorINS9_11use_defaultEEEx11max_functorIxExEEDaPvRmT3_T4_T5_mT6_P12ihipStream_tbENKUlT_T0_E_clISt17integral_constantIbLb1EESW_IbLb0EEEEDaSS_ST_EUlSS_E0_NS1_11comp_targetILNS1_3genE10ELNS1_11target_archE1200ELNS1_3gpuE4ELNS1_3repE0EEENS1_30default_config_static_selectorELNS0_4arch9wavefront6targetE1EEEvT1_
                                        ; -- End function
	.section	.AMDGPU.csdata,"",@progbits
; Kernel info:
; codeLenInByte = 0
; NumSgprs: 4
; NumVgprs: 0
; NumAgprs: 0
; TotalNumVgprs: 0
; ScratchSize: 0
; MemoryBound: 0
; FloatMode: 240
; IeeeMode: 1
; LDSByteSize: 0 bytes/workgroup (compile time only)
; SGPRBlocks: 0
; VGPRBlocks: 0
; NumSGPRsForWavesPerEU: 4
; NumVGPRsForWavesPerEU: 1
; AccumOffset: 4
; Occupancy: 8
; WaveLimiterHint : 0
; COMPUTE_PGM_RSRC2:SCRATCH_EN: 0
; COMPUTE_PGM_RSRC2:USER_SGPR: 6
; COMPUTE_PGM_RSRC2:TRAP_HANDLER: 0
; COMPUTE_PGM_RSRC2:TGID_X_EN: 1
; COMPUTE_PGM_RSRC2:TGID_Y_EN: 0
; COMPUTE_PGM_RSRC2:TGID_Z_EN: 0
; COMPUTE_PGM_RSRC2:TIDIG_COMP_CNT: 0
; COMPUTE_PGM_RSRC3_GFX90A:ACCUM_OFFSET: 0
; COMPUTE_PGM_RSRC3_GFX90A:TG_SPLIT: 0
	.section	.text._ZN7rocprim17ROCPRIM_400000_NS6detail17trampoline_kernelINS0_14default_configENS1_20scan_config_selectorIxEEZZNS1_9scan_implILNS1_25lookback_scan_determinismE0ELb0ELb0ES3_N6thrust23THRUST_200600_302600_NS6detail15normal_iteratorINS9_10device_ptrIxEEEENS9_16discard_iteratorINS9_11use_defaultEEEx11max_functorIxExEEDaPvRmT3_T4_T5_mT6_P12ihipStream_tbENKUlT_T0_E_clISt17integral_constantIbLb1EESW_IbLb0EEEEDaSS_ST_EUlSS_E0_NS1_11comp_targetILNS1_3genE9ELNS1_11target_archE1100ELNS1_3gpuE3ELNS1_3repE0EEENS1_30default_config_static_selectorELNS0_4arch9wavefront6targetE1EEEvT1_,"axG",@progbits,_ZN7rocprim17ROCPRIM_400000_NS6detail17trampoline_kernelINS0_14default_configENS1_20scan_config_selectorIxEEZZNS1_9scan_implILNS1_25lookback_scan_determinismE0ELb0ELb0ES3_N6thrust23THRUST_200600_302600_NS6detail15normal_iteratorINS9_10device_ptrIxEEEENS9_16discard_iteratorINS9_11use_defaultEEEx11max_functorIxExEEDaPvRmT3_T4_T5_mT6_P12ihipStream_tbENKUlT_T0_E_clISt17integral_constantIbLb1EESW_IbLb0EEEEDaSS_ST_EUlSS_E0_NS1_11comp_targetILNS1_3genE9ELNS1_11target_archE1100ELNS1_3gpuE3ELNS1_3repE0EEENS1_30default_config_static_selectorELNS0_4arch9wavefront6targetE1EEEvT1_,comdat
	.protected	_ZN7rocprim17ROCPRIM_400000_NS6detail17trampoline_kernelINS0_14default_configENS1_20scan_config_selectorIxEEZZNS1_9scan_implILNS1_25lookback_scan_determinismE0ELb0ELb0ES3_N6thrust23THRUST_200600_302600_NS6detail15normal_iteratorINS9_10device_ptrIxEEEENS9_16discard_iteratorINS9_11use_defaultEEEx11max_functorIxExEEDaPvRmT3_T4_T5_mT6_P12ihipStream_tbENKUlT_T0_E_clISt17integral_constantIbLb1EESW_IbLb0EEEEDaSS_ST_EUlSS_E0_NS1_11comp_targetILNS1_3genE9ELNS1_11target_archE1100ELNS1_3gpuE3ELNS1_3repE0EEENS1_30default_config_static_selectorELNS0_4arch9wavefront6targetE1EEEvT1_ ; -- Begin function _ZN7rocprim17ROCPRIM_400000_NS6detail17trampoline_kernelINS0_14default_configENS1_20scan_config_selectorIxEEZZNS1_9scan_implILNS1_25lookback_scan_determinismE0ELb0ELb0ES3_N6thrust23THRUST_200600_302600_NS6detail15normal_iteratorINS9_10device_ptrIxEEEENS9_16discard_iteratorINS9_11use_defaultEEEx11max_functorIxExEEDaPvRmT3_T4_T5_mT6_P12ihipStream_tbENKUlT_T0_E_clISt17integral_constantIbLb1EESW_IbLb0EEEEDaSS_ST_EUlSS_E0_NS1_11comp_targetILNS1_3genE9ELNS1_11target_archE1100ELNS1_3gpuE3ELNS1_3repE0EEENS1_30default_config_static_selectorELNS0_4arch9wavefront6targetE1EEEvT1_
	.globl	_ZN7rocprim17ROCPRIM_400000_NS6detail17trampoline_kernelINS0_14default_configENS1_20scan_config_selectorIxEEZZNS1_9scan_implILNS1_25lookback_scan_determinismE0ELb0ELb0ES3_N6thrust23THRUST_200600_302600_NS6detail15normal_iteratorINS9_10device_ptrIxEEEENS9_16discard_iteratorINS9_11use_defaultEEEx11max_functorIxExEEDaPvRmT3_T4_T5_mT6_P12ihipStream_tbENKUlT_T0_E_clISt17integral_constantIbLb1EESW_IbLb0EEEEDaSS_ST_EUlSS_E0_NS1_11comp_targetILNS1_3genE9ELNS1_11target_archE1100ELNS1_3gpuE3ELNS1_3repE0EEENS1_30default_config_static_selectorELNS0_4arch9wavefront6targetE1EEEvT1_
	.p2align	8
	.type	_ZN7rocprim17ROCPRIM_400000_NS6detail17trampoline_kernelINS0_14default_configENS1_20scan_config_selectorIxEEZZNS1_9scan_implILNS1_25lookback_scan_determinismE0ELb0ELb0ES3_N6thrust23THRUST_200600_302600_NS6detail15normal_iteratorINS9_10device_ptrIxEEEENS9_16discard_iteratorINS9_11use_defaultEEEx11max_functorIxExEEDaPvRmT3_T4_T5_mT6_P12ihipStream_tbENKUlT_T0_E_clISt17integral_constantIbLb1EESW_IbLb0EEEEDaSS_ST_EUlSS_E0_NS1_11comp_targetILNS1_3genE9ELNS1_11target_archE1100ELNS1_3gpuE3ELNS1_3repE0EEENS1_30default_config_static_selectorELNS0_4arch9wavefront6targetE1EEEvT1_,@function
_ZN7rocprim17ROCPRIM_400000_NS6detail17trampoline_kernelINS0_14default_configENS1_20scan_config_selectorIxEEZZNS1_9scan_implILNS1_25lookback_scan_determinismE0ELb0ELb0ES3_N6thrust23THRUST_200600_302600_NS6detail15normal_iteratorINS9_10device_ptrIxEEEENS9_16discard_iteratorINS9_11use_defaultEEEx11max_functorIxExEEDaPvRmT3_T4_T5_mT6_P12ihipStream_tbENKUlT_T0_E_clISt17integral_constantIbLb1EESW_IbLb0EEEEDaSS_ST_EUlSS_E0_NS1_11comp_targetILNS1_3genE9ELNS1_11target_archE1100ELNS1_3gpuE3ELNS1_3repE0EEENS1_30default_config_static_selectorELNS0_4arch9wavefront6targetE1EEEvT1_: ; @_ZN7rocprim17ROCPRIM_400000_NS6detail17trampoline_kernelINS0_14default_configENS1_20scan_config_selectorIxEEZZNS1_9scan_implILNS1_25lookback_scan_determinismE0ELb0ELb0ES3_N6thrust23THRUST_200600_302600_NS6detail15normal_iteratorINS9_10device_ptrIxEEEENS9_16discard_iteratorINS9_11use_defaultEEEx11max_functorIxExEEDaPvRmT3_T4_T5_mT6_P12ihipStream_tbENKUlT_T0_E_clISt17integral_constantIbLb1EESW_IbLb0EEEEDaSS_ST_EUlSS_E0_NS1_11comp_targetILNS1_3genE9ELNS1_11target_archE1100ELNS1_3gpuE3ELNS1_3repE0EEENS1_30default_config_static_selectorELNS0_4arch9wavefront6targetE1EEEvT1_
; %bb.0:
	.section	.rodata,"a",@progbits
	.p2align	6, 0x0
	.amdhsa_kernel _ZN7rocprim17ROCPRIM_400000_NS6detail17trampoline_kernelINS0_14default_configENS1_20scan_config_selectorIxEEZZNS1_9scan_implILNS1_25lookback_scan_determinismE0ELb0ELb0ES3_N6thrust23THRUST_200600_302600_NS6detail15normal_iteratorINS9_10device_ptrIxEEEENS9_16discard_iteratorINS9_11use_defaultEEEx11max_functorIxExEEDaPvRmT3_T4_T5_mT6_P12ihipStream_tbENKUlT_T0_E_clISt17integral_constantIbLb1EESW_IbLb0EEEEDaSS_ST_EUlSS_E0_NS1_11comp_targetILNS1_3genE9ELNS1_11target_archE1100ELNS1_3gpuE3ELNS1_3repE0EEENS1_30default_config_static_selectorELNS0_4arch9wavefront6targetE1EEEvT1_
		.amdhsa_group_segment_fixed_size 0
		.amdhsa_private_segment_fixed_size 0
		.amdhsa_kernarg_size 48
		.amdhsa_user_sgpr_count 6
		.amdhsa_user_sgpr_private_segment_buffer 1
		.amdhsa_user_sgpr_dispatch_ptr 0
		.amdhsa_user_sgpr_queue_ptr 0
		.amdhsa_user_sgpr_kernarg_segment_ptr 1
		.amdhsa_user_sgpr_dispatch_id 0
		.amdhsa_user_sgpr_flat_scratch_init 0
		.amdhsa_user_sgpr_kernarg_preload_length 0
		.amdhsa_user_sgpr_kernarg_preload_offset 0
		.amdhsa_user_sgpr_private_segment_size 0
		.amdhsa_uses_dynamic_stack 0
		.amdhsa_system_sgpr_private_segment_wavefront_offset 0
		.amdhsa_system_sgpr_workgroup_id_x 1
		.amdhsa_system_sgpr_workgroup_id_y 0
		.amdhsa_system_sgpr_workgroup_id_z 0
		.amdhsa_system_sgpr_workgroup_info 0
		.amdhsa_system_vgpr_workitem_id 0
		.amdhsa_next_free_vgpr 1
		.amdhsa_next_free_sgpr 0
		.amdhsa_accum_offset 4
		.amdhsa_reserve_vcc 0
		.amdhsa_reserve_flat_scratch 0
		.amdhsa_float_round_mode_32 0
		.amdhsa_float_round_mode_16_64 0
		.amdhsa_float_denorm_mode_32 3
		.amdhsa_float_denorm_mode_16_64 3
		.amdhsa_dx10_clamp 1
		.amdhsa_ieee_mode 1
		.amdhsa_fp16_overflow 0
		.amdhsa_tg_split 0
		.amdhsa_exception_fp_ieee_invalid_op 0
		.amdhsa_exception_fp_denorm_src 0
		.amdhsa_exception_fp_ieee_div_zero 0
		.amdhsa_exception_fp_ieee_overflow 0
		.amdhsa_exception_fp_ieee_underflow 0
		.amdhsa_exception_fp_ieee_inexact 0
		.amdhsa_exception_int_div_zero 0
	.end_amdhsa_kernel
	.section	.text._ZN7rocprim17ROCPRIM_400000_NS6detail17trampoline_kernelINS0_14default_configENS1_20scan_config_selectorIxEEZZNS1_9scan_implILNS1_25lookback_scan_determinismE0ELb0ELb0ES3_N6thrust23THRUST_200600_302600_NS6detail15normal_iteratorINS9_10device_ptrIxEEEENS9_16discard_iteratorINS9_11use_defaultEEEx11max_functorIxExEEDaPvRmT3_T4_T5_mT6_P12ihipStream_tbENKUlT_T0_E_clISt17integral_constantIbLb1EESW_IbLb0EEEEDaSS_ST_EUlSS_E0_NS1_11comp_targetILNS1_3genE9ELNS1_11target_archE1100ELNS1_3gpuE3ELNS1_3repE0EEENS1_30default_config_static_selectorELNS0_4arch9wavefront6targetE1EEEvT1_,"axG",@progbits,_ZN7rocprim17ROCPRIM_400000_NS6detail17trampoline_kernelINS0_14default_configENS1_20scan_config_selectorIxEEZZNS1_9scan_implILNS1_25lookback_scan_determinismE0ELb0ELb0ES3_N6thrust23THRUST_200600_302600_NS6detail15normal_iteratorINS9_10device_ptrIxEEEENS9_16discard_iteratorINS9_11use_defaultEEEx11max_functorIxExEEDaPvRmT3_T4_T5_mT6_P12ihipStream_tbENKUlT_T0_E_clISt17integral_constantIbLb1EESW_IbLb0EEEEDaSS_ST_EUlSS_E0_NS1_11comp_targetILNS1_3genE9ELNS1_11target_archE1100ELNS1_3gpuE3ELNS1_3repE0EEENS1_30default_config_static_selectorELNS0_4arch9wavefront6targetE1EEEvT1_,comdat
.Lfunc_end3762:
	.size	_ZN7rocprim17ROCPRIM_400000_NS6detail17trampoline_kernelINS0_14default_configENS1_20scan_config_selectorIxEEZZNS1_9scan_implILNS1_25lookback_scan_determinismE0ELb0ELb0ES3_N6thrust23THRUST_200600_302600_NS6detail15normal_iteratorINS9_10device_ptrIxEEEENS9_16discard_iteratorINS9_11use_defaultEEEx11max_functorIxExEEDaPvRmT3_T4_T5_mT6_P12ihipStream_tbENKUlT_T0_E_clISt17integral_constantIbLb1EESW_IbLb0EEEEDaSS_ST_EUlSS_E0_NS1_11comp_targetILNS1_3genE9ELNS1_11target_archE1100ELNS1_3gpuE3ELNS1_3repE0EEENS1_30default_config_static_selectorELNS0_4arch9wavefront6targetE1EEEvT1_, .Lfunc_end3762-_ZN7rocprim17ROCPRIM_400000_NS6detail17trampoline_kernelINS0_14default_configENS1_20scan_config_selectorIxEEZZNS1_9scan_implILNS1_25lookback_scan_determinismE0ELb0ELb0ES3_N6thrust23THRUST_200600_302600_NS6detail15normal_iteratorINS9_10device_ptrIxEEEENS9_16discard_iteratorINS9_11use_defaultEEEx11max_functorIxExEEDaPvRmT3_T4_T5_mT6_P12ihipStream_tbENKUlT_T0_E_clISt17integral_constantIbLb1EESW_IbLb0EEEEDaSS_ST_EUlSS_E0_NS1_11comp_targetILNS1_3genE9ELNS1_11target_archE1100ELNS1_3gpuE3ELNS1_3repE0EEENS1_30default_config_static_selectorELNS0_4arch9wavefront6targetE1EEEvT1_
                                        ; -- End function
	.section	.AMDGPU.csdata,"",@progbits
; Kernel info:
; codeLenInByte = 0
; NumSgprs: 4
; NumVgprs: 0
; NumAgprs: 0
; TotalNumVgprs: 0
; ScratchSize: 0
; MemoryBound: 0
; FloatMode: 240
; IeeeMode: 1
; LDSByteSize: 0 bytes/workgroup (compile time only)
; SGPRBlocks: 0
; VGPRBlocks: 0
; NumSGPRsForWavesPerEU: 4
; NumVGPRsForWavesPerEU: 1
; AccumOffset: 4
; Occupancy: 8
; WaveLimiterHint : 0
; COMPUTE_PGM_RSRC2:SCRATCH_EN: 0
; COMPUTE_PGM_RSRC2:USER_SGPR: 6
; COMPUTE_PGM_RSRC2:TRAP_HANDLER: 0
; COMPUTE_PGM_RSRC2:TGID_X_EN: 1
; COMPUTE_PGM_RSRC2:TGID_Y_EN: 0
; COMPUTE_PGM_RSRC2:TGID_Z_EN: 0
; COMPUTE_PGM_RSRC2:TIDIG_COMP_CNT: 0
; COMPUTE_PGM_RSRC3_GFX90A:ACCUM_OFFSET: 0
; COMPUTE_PGM_RSRC3_GFX90A:TG_SPLIT: 0
	.section	.text._ZN7rocprim17ROCPRIM_400000_NS6detail17trampoline_kernelINS0_14default_configENS1_20scan_config_selectorIxEEZZNS1_9scan_implILNS1_25lookback_scan_determinismE0ELb0ELb0ES3_N6thrust23THRUST_200600_302600_NS6detail15normal_iteratorINS9_10device_ptrIxEEEENS9_16discard_iteratorINS9_11use_defaultEEEx11max_functorIxExEEDaPvRmT3_T4_T5_mT6_P12ihipStream_tbENKUlT_T0_E_clISt17integral_constantIbLb1EESW_IbLb0EEEEDaSS_ST_EUlSS_E0_NS1_11comp_targetILNS1_3genE8ELNS1_11target_archE1030ELNS1_3gpuE2ELNS1_3repE0EEENS1_30default_config_static_selectorELNS0_4arch9wavefront6targetE1EEEvT1_,"axG",@progbits,_ZN7rocprim17ROCPRIM_400000_NS6detail17trampoline_kernelINS0_14default_configENS1_20scan_config_selectorIxEEZZNS1_9scan_implILNS1_25lookback_scan_determinismE0ELb0ELb0ES3_N6thrust23THRUST_200600_302600_NS6detail15normal_iteratorINS9_10device_ptrIxEEEENS9_16discard_iteratorINS9_11use_defaultEEEx11max_functorIxExEEDaPvRmT3_T4_T5_mT6_P12ihipStream_tbENKUlT_T0_E_clISt17integral_constantIbLb1EESW_IbLb0EEEEDaSS_ST_EUlSS_E0_NS1_11comp_targetILNS1_3genE8ELNS1_11target_archE1030ELNS1_3gpuE2ELNS1_3repE0EEENS1_30default_config_static_selectorELNS0_4arch9wavefront6targetE1EEEvT1_,comdat
	.protected	_ZN7rocprim17ROCPRIM_400000_NS6detail17trampoline_kernelINS0_14default_configENS1_20scan_config_selectorIxEEZZNS1_9scan_implILNS1_25lookback_scan_determinismE0ELb0ELb0ES3_N6thrust23THRUST_200600_302600_NS6detail15normal_iteratorINS9_10device_ptrIxEEEENS9_16discard_iteratorINS9_11use_defaultEEEx11max_functorIxExEEDaPvRmT3_T4_T5_mT6_P12ihipStream_tbENKUlT_T0_E_clISt17integral_constantIbLb1EESW_IbLb0EEEEDaSS_ST_EUlSS_E0_NS1_11comp_targetILNS1_3genE8ELNS1_11target_archE1030ELNS1_3gpuE2ELNS1_3repE0EEENS1_30default_config_static_selectorELNS0_4arch9wavefront6targetE1EEEvT1_ ; -- Begin function _ZN7rocprim17ROCPRIM_400000_NS6detail17trampoline_kernelINS0_14default_configENS1_20scan_config_selectorIxEEZZNS1_9scan_implILNS1_25lookback_scan_determinismE0ELb0ELb0ES3_N6thrust23THRUST_200600_302600_NS6detail15normal_iteratorINS9_10device_ptrIxEEEENS9_16discard_iteratorINS9_11use_defaultEEEx11max_functorIxExEEDaPvRmT3_T4_T5_mT6_P12ihipStream_tbENKUlT_T0_E_clISt17integral_constantIbLb1EESW_IbLb0EEEEDaSS_ST_EUlSS_E0_NS1_11comp_targetILNS1_3genE8ELNS1_11target_archE1030ELNS1_3gpuE2ELNS1_3repE0EEENS1_30default_config_static_selectorELNS0_4arch9wavefront6targetE1EEEvT1_
	.globl	_ZN7rocprim17ROCPRIM_400000_NS6detail17trampoline_kernelINS0_14default_configENS1_20scan_config_selectorIxEEZZNS1_9scan_implILNS1_25lookback_scan_determinismE0ELb0ELb0ES3_N6thrust23THRUST_200600_302600_NS6detail15normal_iteratorINS9_10device_ptrIxEEEENS9_16discard_iteratorINS9_11use_defaultEEEx11max_functorIxExEEDaPvRmT3_T4_T5_mT6_P12ihipStream_tbENKUlT_T0_E_clISt17integral_constantIbLb1EESW_IbLb0EEEEDaSS_ST_EUlSS_E0_NS1_11comp_targetILNS1_3genE8ELNS1_11target_archE1030ELNS1_3gpuE2ELNS1_3repE0EEENS1_30default_config_static_selectorELNS0_4arch9wavefront6targetE1EEEvT1_
	.p2align	8
	.type	_ZN7rocprim17ROCPRIM_400000_NS6detail17trampoline_kernelINS0_14default_configENS1_20scan_config_selectorIxEEZZNS1_9scan_implILNS1_25lookback_scan_determinismE0ELb0ELb0ES3_N6thrust23THRUST_200600_302600_NS6detail15normal_iteratorINS9_10device_ptrIxEEEENS9_16discard_iteratorINS9_11use_defaultEEEx11max_functorIxExEEDaPvRmT3_T4_T5_mT6_P12ihipStream_tbENKUlT_T0_E_clISt17integral_constantIbLb1EESW_IbLb0EEEEDaSS_ST_EUlSS_E0_NS1_11comp_targetILNS1_3genE8ELNS1_11target_archE1030ELNS1_3gpuE2ELNS1_3repE0EEENS1_30default_config_static_selectorELNS0_4arch9wavefront6targetE1EEEvT1_,@function
_ZN7rocprim17ROCPRIM_400000_NS6detail17trampoline_kernelINS0_14default_configENS1_20scan_config_selectorIxEEZZNS1_9scan_implILNS1_25lookback_scan_determinismE0ELb0ELb0ES3_N6thrust23THRUST_200600_302600_NS6detail15normal_iteratorINS9_10device_ptrIxEEEENS9_16discard_iteratorINS9_11use_defaultEEEx11max_functorIxExEEDaPvRmT3_T4_T5_mT6_P12ihipStream_tbENKUlT_T0_E_clISt17integral_constantIbLb1EESW_IbLb0EEEEDaSS_ST_EUlSS_E0_NS1_11comp_targetILNS1_3genE8ELNS1_11target_archE1030ELNS1_3gpuE2ELNS1_3repE0EEENS1_30default_config_static_selectorELNS0_4arch9wavefront6targetE1EEEvT1_: ; @_ZN7rocprim17ROCPRIM_400000_NS6detail17trampoline_kernelINS0_14default_configENS1_20scan_config_selectorIxEEZZNS1_9scan_implILNS1_25lookback_scan_determinismE0ELb0ELb0ES3_N6thrust23THRUST_200600_302600_NS6detail15normal_iteratorINS9_10device_ptrIxEEEENS9_16discard_iteratorINS9_11use_defaultEEEx11max_functorIxExEEDaPvRmT3_T4_T5_mT6_P12ihipStream_tbENKUlT_T0_E_clISt17integral_constantIbLb1EESW_IbLb0EEEEDaSS_ST_EUlSS_E0_NS1_11comp_targetILNS1_3genE8ELNS1_11target_archE1030ELNS1_3gpuE2ELNS1_3repE0EEENS1_30default_config_static_selectorELNS0_4arch9wavefront6targetE1EEEvT1_
; %bb.0:
	.section	.rodata,"a",@progbits
	.p2align	6, 0x0
	.amdhsa_kernel _ZN7rocprim17ROCPRIM_400000_NS6detail17trampoline_kernelINS0_14default_configENS1_20scan_config_selectorIxEEZZNS1_9scan_implILNS1_25lookback_scan_determinismE0ELb0ELb0ES3_N6thrust23THRUST_200600_302600_NS6detail15normal_iteratorINS9_10device_ptrIxEEEENS9_16discard_iteratorINS9_11use_defaultEEEx11max_functorIxExEEDaPvRmT3_T4_T5_mT6_P12ihipStream_tbENKUlT_T0_E_clISt17integral_constantIbLb1EESW_IbLb0EEEEDaSS_ST_EUlSS_E0_NS1_11comp_targetILNS1_3genE8ELNS1_11target_archE1030ELNS1_3gpuE2ELNS1_3repE0EEENS1_30default_config_static_selectorELNS0_4arch9wavefront6targetE1EEEvT1_
		.amdhsa_group_segment_fixed_size 0
		.amdhsa_private_segment_fixed_size 0
		.amdhsa_kernarg_size 48
		.amdhsa_user_sgpr_count 6
		.amdhsa_user_sgpr_private_segment_buffer 1
		.amdhsa_user_sgpr_dispatch_ptr 0
		.amdhsa_user_sgpr_queue_ptr 0
		.amdhsa_user_sgpr_kernarg_segment_ptr 1
		.amdhsa_user_sgpr_dispatch_id 0
		.amdhsa_user_sgpr_flat_scratch_init 0
		.amdhsa_user_sgpr_kernarg_preload_length 0
		.amdhsa_user_sgpr_kernarg_preload_offset 0
		.amdhsa_user_sgpr_private_segment_size 0
		.amdhsa_uses_dynamic_stack 0
		.amdhsa_system_sgpr_private_segment_wavefront_offset 0
		.amdhsa_system_sgpr_workgroup_id_x 1
		.amdhsa_system_sgpr_workgroup_id_y 0
		.amdhsa_system_sgpr_workgroup_id_z 0
		.amdhsa_system_sgpr_workgroup_info 0
		.amdhsa_system_vgpr_workitem_id 0
		.amdhsa_next_free_vgpr 1
		.amdhsa_next_free_sgpr 0
		.amdhsa_accum_offset 4
		.amdhsa_reserve_vcc 0
		.amdhsa_reserve_flat_scratch 0
		.amdhsa_float_round_mode_32 0
		.amdhsa_float_round_mode_16_64 0
		.amdhsa_float_denorm_mode_32 3
		.amdhsa_float_denorm_mode_16_64 3
		.amdhsa_dx10_clamp 1
		.amdhsa_ieee_mode 1
		.amdhsa_fp16_overflow 0
		.amdhsa_tg_split 0
		.amdhsa_exception_fp_ieee_invalid_op 0
		.amdhsa_exception_fp_denorm_src 0
		.amdhsa_exception_fp_ieee_div_zero 0
		.amdhsa_exception_fp_ieee_overflow 0
		.amdhsa_exception_fp_ieee_underflow 0
		.amdhsa_exception_fp_ieee_inexact 0
		.amdhsa_exception_int_div_zero 0
	.end_amdhsa_kernel
	.section	.text._ZN7rocprim17ROCPRIM_400000_NS6detail17trampoline_kernelINS0_14default_configENS1_20scan_config_selectorIxEEZZNS1_9scan_implILNS1_25lookback_scan_determinismE0ELb0ELb0ES3_N6thrust23THRUST_200600_302600_NS6detail15normal_iteratorINS9_10device_ptrIxEEEENS9_16discard_iteratorINS9_11use_defaultEEEx11max_functorIxExEEDaPvRmT3_T4_T5_mT6_P12ihipStream_tbENKUlT_T0_E_clISt17integral_constantIbLb1EESW_IbLb0EEEEDaSS_ST_EUlSS_E0_NS1_11comp_targetILNS1_3genE8ELNS1_11target_archE1030ELNS1_3gpuE2ELNS1_3repE0EEENS1_30default_config_static_selectorELNS0_4arch9wavefront6targetE1EEEvT1_,"axG",@progbits,_ZN7rocprim17ROCPRIM_400000_NS6detail17trampoline_kernelINS0_14default_configENS1_20scan_config_selectorIxEEZZNS1_9scan_implILNS1_25lookback_scan_determinismE0ELb0ELb0ES3_N6thrust23THRUST_200600_302600_NS6detail15normal_iteratorINS9_10device_ptrIxEEEENS9_16discard_iteratorINS9_11use_defaultEEEx11max_functorIxExEEDaPvRmT3_T4_T5_mT6_P12ihipStream_tbENKUlT_T0_E_clISt17integral_constantIbLb1EESW_IbLb0EEEEDaSS_ST_EUlSS_E0_NS1_11comp_targetILNS1_3genE8ELNS1_11target_archE1030ELNS1_3gpuE2ELNS1_3repE0EEENS1_30default_config_static_selectorELNS0_4arch9wavefront6targetE1EEEvT1_,comdat
.Lfunc_end3763:
	.size	_ZN7rocprim17ROCPRIM_400000_NS6detail17trampoline_kernelINS0_14default_configENS1_20scan_config_selectorIxEEZZNS1_9scan_implILNS1_25lookback_scan_determinismE0ELb0ELb0ES3_N6thrust23THRUST_200600_302600_NS6detail15normal_iteratorINS9_10device_ptrIxEEEENS9_16discard_iteratorINS9_11use_defaultEEEx11max_functorIxExEEDaPvRmT3_T4_T5_mT6_P12ihipStream_tbENKUlT_T0_E_clISt17integral_constantIbLb1EESW_IbLb0EEEEDaSS_ST_EUlSS_E0_NS1_11comp_targetILNS1_3genE8ELNS1_11target_archE1030ELNS1_3gpuE2ELNS1_3repE0EEENS1_30default_config_static_selectorELNS0_4arch9wavefront6targetE1EEEvT1_, .Lfunc_end3763-_ZN7rocprim17ROCPRIM_400000_NS6detail17trampoline_kernelINS0_14default_configENS1_20scan_config_selectorIxEEZZNS1_9scan_implILNS1_25lookback_scan_determinismE0ELb0ELb0ES3_N6thrust23THRUST_200600_302600_NS6detail15normal_iteratorINS9_10device_ptrIxEEEENS9_16discard_iteratorINS9_11use_defaultEEEx11max_functorIxExEEDaPvRmT3_T4_T5_mT6_P12ihipStream_tbENKUlT_T0_E_clISt17integral_constantIbLb1EESW_IbLb0EEEEDaSS_ST_EUlSS_E0_NS1_11comp_targetILNS1_3genE8ELNS1_11target_archE1030ELNS1_3gpuE2ELNS1_3repE0EEENS1_30default_config_static_selectorELNS0_4arch9wavefront6targetE1EEEvT1_
                                        ; -- End function
	.section	.AMDGPU.csdata,"",@progbits
; Kernel info:
; codeLenInByte = 0
; NumSgprs: 4
; NumVgprs: 0
; NumAgprs: 0
; TotalNumVgprs: 0
; ScratchSize: 0
; MemoryBound: 0
; FloatMode: 240
; IeeeMode: 1
; LDSByteSize: 0 bytes/workgroup (compile time only)
; SGPRBlocks: 0
; VGPRBlocks: 0
; NumSGPRsForWavesPerEU: 4
; NumVGPRsForWavesPerEU: 1
; AccumOffset: 4
; Occupancy: 8
; WaveLimiterHint : 0
; COMPUTE_PGM_RSRC2:SCRATCH_EN: 0
; COMPUTE_PGM_RSRC2:USER_SGPR: 6
; COMPUTE_PGM_RSRC2:TRAP_HANDLER: 0
; COMPUTE_PGM_RSRC2:TGID_X_EN: 1
; COMPUTE_PGM_RSRC2:TGID_Y_EN: 0
; COMPUTE_PGM_RSRC2:TGID_Z_EN: 0
; COMPUTE_PGM_RSRC2:TIDIG_COMP_CNT: 0
; COMPUTE_PGM_RSRC3_GFX90A:ACCUM_OFFSET: 0
; COMPUTE_PGM_RSRC3_GFX90A:TG_SPLIT: 0
	.section	.text._ZN7rocprim17ROCPRIM_400000_NS6detail17trampoline_kernelINS0_14default_configENS1_20scan_config_selectorIxEEZZNS1_9scan_implILNS1_25lookback_scan_determinismE0ELb0ELb0ES3_N6thrust23THRUST_200600_302600_NS6detail15normal_iteratorINS9_10device_ptrIxEEEENS9_16discard_iteratorINS9_11use_defaultEEEx11max_functorIxExEEDaPvRmT3_T4_T5_mT6_P12ihipStream_tbENKUlT_T0_E_clISt17integral_constantIbLb0EESW_IbLb1EEEEDaSS_ST_EUlSS_E_NS1_11comp_targetILNS1_3genE0ELNS1_11target_archE4294967295ELNS1_3gpuE0ELNS1_3repE0EEENS1_30default_config_static_selectorELNS0_4arch9wavefront6targetE1EEEvT1_,"axG",@progbits,_ZN7rocprim17ROCPRIM_400000_NS6detail17trampoline_kernelINS0_14default_configENS1_20scan_config_selectorIxEEZZNS1_9scan_implILNS1_25lookback_scan_determinismE0ELb0ELb0ES3_N6thrust23THRUST_200600_302600_NS6detail15normal_iteratorINS9_10device_ptrIxEEEENS9_16discard_iteratorINS9_11use_defaultEEEx11max_functorIxExEEDaPvRmT3_T4_T5_mT6_P12ihipStream_tbENKUlT_T0_E_clISt17integral_constantIbLb0EESW_IbLb1EEEEDaSS_ST_EUlSS_E_NS1_11comp_targetILNS1_3genE0ELNS1_11target_archE4294967295ELNS1_3gpuE0ELNS1_3repE0EEENS1_30default_config_static_selectorELNS0_4arch9wavefront6targetE1EEEvT1_,comdat
	.protected	_ZN7rocprim17ROCPRIM_400000_NS6detail17trampoline_kernelINS0_14default_configENS1_20scan_config_selectorIxEEZZNS1_9scan_implILNS1_25lookback_scan_determinismE0ELb0ELb0ES3_N6thrust23THRUST_200600_302600_NS6detail15normal_iteratorINS9_10device_ptrIxEEEENS9_16discard_iteratorINS9_11use_defaultEEEx11max_functorIxExEEDaPvRmT3_T4_T5_mT6_P12ihipStream_tbENKUlT_T0_E_clISt17integral_constantIbLb0EESW_IbLb1EEEEDaSS_ST_EUlSS_E_NS1_11comp_targetILNS1_3genE0ELNS1_11target_archE4294967295ELNS1_3gpuE0ELNS1_3repE0EEENS1_30default_config_static_selectorELNS0_4arch9wavefront6targetE1EEEvT1_ ; -- Begin function _ZN7rocprim17ROCPRIM_400000_NS6detail17trampoline_kernelINS0_14default_configENS1_20scan_config_selectorIxEEZZNS1_9scan_implILNS1_25lookback_scan_determinismE0ELb0ELb0ES3_N6thrust23THRUST_200600_302600_NS6detail15normal_iteratorINS9_10device_ptrIxEEEENS9_16discard_iteratorINS9_11use_defaultEEEx11max_functorIxExEEDaPvRmT3_T4_T5_mT6_P12ihipStream_tbENKUlT_T0_E_clISt17integral_constantIbLb0EESW_IbLb1EEEEDaSS_ST_EUlSS_E_NS1_11comp_targetILNS1_3genE0ELNS1_11target_archE4294967295ELNS1_3gpuE0ELNS1_3repE0EEENS1_30default_config_static_selectorELNS0_4arch9wavefront6targetE1EEEvT1_
	.globl	_ZN7rocprim17ROCPRIM_400000_NS6detail17trampoline_kernelINS0_14default_configENS1_20scan_config_selectorIxEEZZNS1_9scan_implILNS1_25lookback_scan_determinismE0ELb0ELb0ES3_N6thrust23THRUST_200600_302600_NS6detail15normal_iteratorINS9_10device_ptrIxEEEENS9_16discard_iteratorINS9_11use_defaultEEEx11max_functorIxExEEDaPvRmT3_T4_T5_mT6_P12ihipStream_tbENKUlT_T0_E_clISt17integral_constantIbLb0EESW_IbLb1EEEEDaSS_ST_EUlSS_E_NS1_11comp_targetILNS1_3genE0ELNS1_11target_archE4294967295ELNS1_3gpuE0ELNS1_3repE0EEENS1_30default_config_static_selectorELNS0_4arch9wavefront6targetE1EEEvT1_
	.p2align	8
	.type	_ZN7rocprim17ROCPRIM_400000_NS6detail17trampoline_kernelINS0_14default_configENS1_20scan_config_selectorIxEEZZNS1_9scan_implILNS1_25lookback_scan_determinismE0ELb0ELb0ES3_N6thrust23THRUST_200600_302600_NS6detail15normal_iteratorINS9_10device_ptrIxEEEENS9_16discard_iteratorINS9_11use_defaultEEEx11max_functorIxExEEDaPvRmT3_T4_T5_mT6_P12ihipStream_tbENKUlT_T0_E_clISt17integral_constantIbLb0EESW_IbLb1EEEEDaSS_ST_EUlSS_E_NS1_11comp_targetILNS1_3genE0ELNS1_11target_archE4294967295ELNS1_3gpuE0ELNS1_3repE0EEENS1_30default_config_static_selectorELNS0_4arch9wavefront6targetE1EEEvT1_,@function
_ZN7rocprim17ROCPRIM_400000_NS6detail17trampoline_kernelINS0_14default_configENS1_20scan_config_selectorIxEEZZNS1_9scan_implILNS1_25lookback_scan_determinismE0ELb0ELb0ES3_N6thrust23THRUST_200600_302600_NS6detail15normal_iteratorINS9_10device_ptrIxEEEENS9_16discard_iteratorINS9_11use_defaultEEEx11max_functorIxExEEDaPvRmT3_T4_T5_mT6_P12ihipStream_tbENKUlT_T0_E_clISt17integral_constantIbLb0EESW_IbLb1EEEEDaSS_ST_EUlSS_E_NS1_11comp_targetILNS1_3genE0ELNS1_11target_archE4294967295ELNS1_3gpuE0ELNS1_3repE0EEENS1_30default_config_static_selectorELNS0_4arch9wavefront6targetE1EEEvT1_: ; @_ZN7rocprim17ROCPRIM_400000_NS6detail17trampoline_kernelINS0_14default_configENS1_20scan_config_selectorIxEEZZNS1_9scan_implILNS1_25lookback_scan_determinismE0ELb0ELb0ES3_N6thrust23THRUST_200600_302600_NS6detail15normal_iteratorINS9_10device_ptrIxEEEENS9_16discard_iteratorINS9_11use_defaultEEEx11max_functorIxExEEDaPvRmT3_T4_T5_mT6_P12ihipStream_tbENKUlT_T0_E_clISt17integral_constantIbLb0EESW_IbLb1EEEEDaSS_ST_EUlSS_E_NS1_11comp_targetILNS1_3genE0ELNS1_11target_archE4294967295ELNS1_3gpuE0ELNS1_3repE0EEENS1_30default_config_static_selectorELNS0_4arch9wavefront6targetE1EEEvT1_
; %bb.0:
	.section	.rodata,"a",@progbits
	.p2align	6, 0x0
	.amdhsa_kernel _ZN7rocprim17ROCPRIM_400000_NS6detail17trampoline_kernelINS0_14default_configENS1_20scan_config_selectorIxEEZZNS1_9scan_implILNS1_25lookback_scan_determinismE0ELb0ELb0ES3_N6thrust23THRUST_200600_302600_NS6detail15normal_iteratorINS9_10device_ptrIxEEEENS9_16discard_iteratorINS9_11use_defaultEEEx11max_functorIxExEEDaPvRmT3_T4_T5_mT6_P12ihipStream_tbENKUlT_T0_E_clISt17integral_constantIbLb0EESW_IbLb1EEEEDaSS_ST_EUlSS_E_NS1_11comp_targetILNS1_3genE0ELNS1_11target_archE4294967295ELNS1_3gpuE0ELNS1_3repE0EEENS1_30default_config_static_selectorELNS0_4arch9wavefront6targetE1EEEvT1_
		.amdhsa_group_segment_fixed_size 0
		.amdhsa_private_segment_fixed_size 0
		.amdhsa_kernarg_size 112
		.amdhsa_user_sgpr_count 6
		.amdhsa_user_sgpr_private_segment_buffer 1
		.amdhsa_user_sgpr_dispatch_ptr 0
		.amdhsa_user_sgpr_queue_ptr 0
		.amdhsa_user_sgpr_kernarg_segment_ptr 1
		.amdhsa_user_sgpr_dispatch_id 0
		.amdhsa_user_sgpr_flat_scratch_init 0
		.amdhsa_user_sgpr_kernarg_preload_length 0
		.amdhsa_user_sgpr_kernarg_preload_offset 0
		.amdhsa_user_sgpr_private_segment_size 0
		.amdhsa_uses_dynamic_stack 0
		.amdhsa_system_sgpr_private_segment_wavefront_offset 0
		.amdhsa_system_sgpr_workgroup_id_x 1
		.amdhsa_system_sgpr_workgroup_id_y 0
		.amdhsa_system_sgpr_workgroup_id_z 0
		.amdhsa_system_sgpr_workgroup_info 0
		.amdhsa_system_vgpr_workitem_id 0
		.amdhsa_next_free_vgpr 1
		.amdhsa_next_free_sgpr 0
		.amdhsa_accum_offset 4
		.amdhsa_reserve_vcc 0
		.amdhsa_reserve_flat_scratch 0
		.amdhsa_float_round_mode_32 0
		.amdhsa_float_round_mode_16_64 0
		.amdhsa_float_denorm_mode_32 3
		.amdhsa_float_denorm_mode_16_64 3
		.amdhsa_dx10_clamp 1
		.amdhsa_ieee_mode 1
		.amdhsa_fp16_overflow 0
		.amdhsa_tg_split 0
		.amdhsa_exception_fp_ieee_invalid_op 0
		.amdhsa_exception_fp_denorm_src 0
		.amdhsa_exception_fp_ieee_div_zero 0
		.amdhsa_exception_fp_ieee_overflow 0
		.amdhsa_exception_fp_ieee_underflow 0
		.amdhsa_exception_fp_ieee_inexact 0
		.amdhsa_exception_int_div_zero 0
	.end_amdhsa_kernel
	.section	.text._ZN7rocprim17ROCPRIM_400000_NS6detail17trampoline_kernelINS0_14default_configENS1_20scan_config_selectorIxEEZZNS1_9scan_implILNS1_25lookback_scan_determinismE0ELb0ELb0ES3_N6thrust23THRUST_200600_302600_NS6detail15normal_iteratorINS9_10device_ptrIxEEEENS9_16discard_iteratorINS9_11use_defaultEEEx11max_functorIxExEEDaPvRmT3_T4_T5_mT6_P12ihipStream_tbENKUlT_T0_E_clISt17integral_constantIbLb0EESW_IbLb1EEEEDaSS_ST_EUlSS_E_NS1_11comp_targetILNS1_3genE0ELNS1_11target_archE4294967295ELNS1_3gpuE0ELNS1_3repE0EEENS1_30default_config_static_selectorELNS0_4arch9wavefront6targetE1EEEvT1_,"axG",@progbits,_ZN7rocprim17ROCPRIM_400000_NS6detail17trampoline_kernelINS0_14default_configENS1_20scan_config_selectorIxEEZZNS1_9scan_implILNS1_25lookback_scan_determinismE0ELb0ELb0ES3_N6thrust23THRUST_200600_302600_NS6detail15normal_iteratorINS9_10device_ptrIxEEEENS9_16discard_iteratorINS9_11use_defaultEEEx11max_functorIxExEEDaPvRmT3_T4_T5_mT6_P12ihipStream_tbENKUlT_T0_E_clISt17integral_constantIbLb0EESW_IbLb1EEEEDaSS_ST_EUlSS_E_NS1_11comp_targetILNS1_3genE0ELNS1_11target_archE4294967295ELNS1_3gpuE0ELNS1_3repE0EEENS1_30default_config_static_selectorELNS0_4arch9wavefront6targetE1EEEvT1_,comdat
.Lfunc_end3764:
	.size	_ZN7rocprim17ROCPRIM_400000_NS6detail17trampoline_kernelINS0_14default_configENS1_20scan_config_selectorIxEEZZNS1_9scan_implILNS1_25lookback_scan_determinismE0ELb0ELb0ES3_N6thrust23THRUST_200600_302600_NS6detail15normal_iteratorINS9_10device_ptrIxEEEENS9_16discard_iteratorINS9_11use_defaultEEEx11max_functorIxExEEDaPvRmT3_T4_T5_mT6_P12ihipStream_tbENKUlT_T0_E_clISt17integral_constantIbLb0EESW_IbLb1EEEEDaSS_ST_EUlSS_E_NS1_11comp_targetILNS1_3genE0ELNS1_11target_archE4294967295ELNS1_3gpuE0ELNS1_3repE0EEENS1_30default_config_static_selectorELNS0_4arch9wavefront6targetE1EEEvT1_, .Lfunc_end3764-_ZN7rocprim17ROCPRIM_400000_NS6detail17trampoline_kernelINS0_14default_configENS1_20scan_config_selectorIxEEZZNS1_9scan_implILNS1_25lookback_scan_determinismE0ELb0ELb0ES3_N6thrust23THRUST_200600_302600_NS6detail15normal_iteratorINS9_10device_ptrIxEEEENS9_16discard_iteratorINS9_11use_defaultEEEx11max_functorIxExEEDaPvRmT3_T4_T5_mT6_P12ihipStream_tbENKUlT_T0_E_clISt17integral_constantIbLb0EESW_IbLb1EEEEDaSS_ST_EUlSS_E_NS1_11comp_targetILNS1_3genE0ELNS1_11target_archE4294967295ELNS1_3gpuE0ELNS1_3repE0EEENS1_30default_config_static_selectorELNS0_4arch9wavefront6targetE1EEEvT1_
                                        ; -- End function
	.section	.AMDGPU.csdata,"",@progbits
; Kernel info:
; codeLenInByte = 0
; NumSgprs: 4
; NumVgprs: 0
; NumAgprs: 0
; TotalNumVgprs: 0
; ScratchSize: 0
; MemoryBound: 0
; FloatMode: 240
; IeeeMode: 1
; LDSByteSize: 0 bytes/workgroup (compile time only)
; SGPRBlocks: 0
; VGPRBlocks: 0
; NumSGPRsForWavesPerEU: 4
; NumVGPRsForWavesPerEU: 1
; AccumOffset: 4
; Occupancy: 8
; WaveLimiterHint : 0
; COMPUTE_PGM_RSRC2:SCRATCH_EN: 0
; COMPUTE_PGM_RSRC2:USER_SGPR: 6
; COMPUTE_PGM_RSRC2:TRAP_HANDLER: 0
; COMPUTE_PGM_RSRC2:TGID_X_EN: 1
; COMPUTE_PGM_RSRC2:TGID_Y_EN: 0
; COMPUTE_PGM_RSRC2:TGID_Z_EN: 0
; COMPUTE_PGM_RSRC2:TIDIG_COMP_CNT: 0
; COMPUTE_PGM_RSRC3_GFX90A:ACCUM_OFFSET: 0
; COMPUTE_PGM_RSRC3_GFX90A:TG_SPLIT: 0
	.section	.text._ZN7rocprim17ROCPRIM_400000_NS6detail17trampoline_kernelINS0_14default_configENS1_20scan_config_selectorIxEEZZNS1_9scan_implILNS1_25lookback_scan_determinismE0ELb0ELb0ES3_N6thrust23THRUST_200600_302600_NS6detail15normal_iteratorINS9_10device_ptrIxEEEENS9_16discard_iteratorINS9_11use_defaultEEEx11max_functorIxExEEDaPvRmT3_T4_T5_mT6_P12ihipStream_tbENKUlT_T0_E_clISt17integral_constantIbLb0EESW_IbLb1EEEEDaSS_ST_EUlSS_E_NS1_11comp_targetILNS1_3genE5ELNS1_11target_archE942ELNS1_3gpuE9ELNS1_3repE0EEENS1_30default_config_static_selectorELNS0_4arch9wavefront6targetE1EEEvT1_,"axG",@progbits,_ZN7rocprim17ROCPRIM_400000_NS6detail17trampoline_kernelINS0_14default_configENS1_20scan_config_selectorIxEEZZNS1_9scan_implILNS1_25lookback_scan_determinismE0ELb0ELb0ES3_N6thrust23THRUST_200600_302600_NS6detail15normal_iteratorINS9_10device_ptrIxEEEENS9_16discard_iteratorINS9_11use_defaultEEEx11max_functorIxExEEDaPvRmT3_T4_T5_mT6_P12ihipStream_tbENKUlT_T0_E_clISt17integral_constantIbLb0EESW_IbLb1EEEEDaSS_ST_EUlSS_E_NS1_11comp_targetILNS1_3genE5ELNS1_11target_archE942ELNS1_3gpuE9ELNS1_3repE0EEENS1_30default_config_static_selectorELNS0_4arch9wavefront6targetE1EEEvT1_,comdat
	.protected	_ZN7rocprim17ROCPRIM_400000_NS6detail17trampoline_kernelINS0_14default_configENS1_20scan_config_selectorIxEEZZNS1_9scan_implILNS1_25lookback_scan_determinismE0ELb0ELb0ES3_N6thrust23THRUST_200600_302600_NS6detail15normal_iteratorINS9_10device_ptrIxEEEENS9_16discard_iteratorINS9_11use_defaultEEEx11max_functorIxExEEDaPvRmT3_T4_T5_mT6_P12ihipStream_tbENKUlT_T0_E_clISt17integral_constantIbLb0EESW_IbLb1EEEEDaSS_ST_EUlSS_E_NS1_11comp_targetILNS1_3genE5ELNS1_11target_archE942ELNS1_3gpuE9ELNS1_3repE0EEENS1_30default_config_static_selectorELNS0_4arch9wavefront6targetE1EEEvT1_ ; -- Begin function _ZN7rocprim17ROCPRIM_400000_NS6detail17trampoline_kernelINS0_14default_configENS1_20scan_config_selectorIxEEZZNS1_9scan_implILNS1_25lookback_scan_determinismE0ELb0ELb0ES3_N6thrust23THRUST_200600_302600_NS6detail15normal_iteratorINS9_10device_ptrIxEEEENS9_16discard_iteratorINS9_11use_defaultEEEx11max_functorIxExEEDaPvRmT3_T4_T5_mT6_P12ihipStream_tbENKUlT_T0_E_clISt17integral_constantIbLb0EESW_IbLb1EEEEDaSS_ST_EUlSS_E_NS1_11comp_targetILNS1_3genE5ELNS1_11target_archE942ELNS1_3gpuE9ELNS1_3repE0EEENS1_30default_config_static_selectorELNS0_4arch9wavefront6targetE1EEEvT1_
	.globl	_ZN7rocprim17ROCPRIM_400000_NS6detail17trampoline_kernelINS0_14default_configENS1_20scan_config_selectorIxEEZZNS1_9scan_implILNS1_25lookback_scan_determinismE0ELb0ELb0ES3_N6thrust23THRUST_200600_302600_NS6detail15normal_iteratorINS9_10device_ptrIxEEEENS9_16discard_iteratorINS9_11use_defaultEEEx11max_functorIxExEEDaPvRmT3_T4_T5_mT6_P12ihipStream_tbENKUlT_T0_E_clISt17integral_constantIbLb0EESW_IbLb1EEEEDaSS_ST_EUlSS_E_NS1_11comp_targetILNS1_3genE5ELNS1_11target_archE942ELNS1_3gpuE9ELNS1_3repE0EEENS1_30default_config_static_selectorELNS0_4arch9wavefront6targetE1EEEvT1_
	.p2align	8
	.type	_ZN7rocprim17ROCPRIM_400000_NS6detail17trampoline_kernelINS0_14default_configENS1_20scan_config_selectorIxEEZZNS1_9scan_implILNS1_25lookback_scan_determinismE0ELb0ELb0ES3_N6thrust23THRUST_200600_302600_NS6detail15normal_iteratorINS9_10device_ptrIxEEEENS9_16discard_iteratorINS9_11use_defaultEEEx11max_functorIxExEEDaPvRmT3_T4_T5_mT6_P12ihipStream_tbENKUlT_T0_E_clISt17integral_constantIbLb0EESW_IbLb1EEEEDaSS_ST_EUlSS_E_NS1_11comp_targetILNS1_3genE5ELNS1_11target_archE942ELNS1_3gpuE9ELNS1_3repE0EEENS1_30default_config_static_selectorELNS0_4arch9wavefront6targetE1EEEvT1_,@function
_ZN7rocprim17ROCPRIM_400000_NS6detail17trampoline_kernelINS0_14default_configENS1_20scan_config_selectorIxEEZZNS1_9scan_implILNS1_25lookback_scan_determinismE0ELb0ELb0ES3_N6thrust23THRUST_200600_302600_NS6detail15normal_iteratorINS9_10device_ptrIxEEEENS9_16discard_iteratorINS9_11use_defaultEEEx11max_functorIxExEEDaPvRmT3_T4_T5_mT6_P12ihipStream_tbENKUlT_T0_E_clISt17integral_constantIbLb0EESW_IbLb1EEEEDaSS_ST_EUlSS_E_NS1_11comp_targetILNS1_3genE5ELNS1_11target_archE942ELNS1_3gpuE9ELNS1_3repE0EEENS1_30default_config_static_selectorELNS0_4arch9wavefront6targetE1EEEvT1_: ; @_ZN7rocprim17ROCPRIM_400000_NS6detail17trampoline_kernelINS0_14default_configENS1_20scan_config_selectorIxEEZZNS1_9scan_implILNS1_25lookback_scan_determinismE0ELb0ELb0ES3_N6thrust23THRUST_200600_302600_NS6detail15normal_iteratorINS9_10device_ptrIxEEEENS9_16discard_iteratorINS9_11use_defaultEEEx11max_functorIxExEEDaPvRmT3_T4_T5_mT6_P12ihipStream_tbENKUlT_T0_E_clISt17integral_constantIbLb0EESW_IbLb1EEEEDaSS_ST_EUlSS_E_NS1_11comp_targetILNS1_3genE5ELNS1_11target_archE942ELNS1_3gpuE9ELNS1_3repE0EEENS1_30default_config_static_selectorELNS0_4arch9wavefront6targetE1EEEvT1_
; %bb.0:
	.section	.rodata,"a",@progbits
	.p2align	6, 0x0
	.amdhsa_kernel _ZN7rocprim17ROCPRIM_400000_NS6detail17trampoline_kernelINS0_14default_configENS1_20scan_config_selectorIxEEZZNS1_9scan_implILNS1_25lookback_scan_determinismE0ELb0ELb0ES3_N6thrust23THRUST_200600_302600_NS6detail15normal_iteratorINS9_10device_ptrIxEEEENS9_16discard_iteratorINS9_11use_defaultEEEx11max_functorIxExEEDaPvRmT3_T4_T5_mT6_P12ihipStream_tbENKUlT_T0_E_clISt17integral_constantIbLb0EESW_IbLb1EEEEDaSS_ST_EUlSS_E_NS1_11comp_targetILNS1_3genE5ELNS1_11target_archE942ELNS1_3gpuE9ELNS1_3repE0EEENS1_30default_config_static_selectorELNS0_4arch9wavefront6targetE1EEEvT1_
		.amdhsa_group_segment_fixed_size 0
		.amdhsa_private_segment_fixed_size 0
		.amdhsa_kernarg_size 112
		.amdhsa_user_sgpr_count 6
		.amdhsa_user_sgpr_private_segment_buffer 1
		.amdhsa_user_sgpr_dispatch_ptr 0
		.amdhsa_user_sgpr_queue_ptr 0
		.amdhsa_user_sgpr_kernarg_segment_ptr 1
		.amdhsa_user_sgpr_dispatch_id 0
		.amdhsa_user_sgpr_flat_scratch_init 0
		.amdhsa_user_sgpr_kernarg_preload_length 0
		.amdhsa_user_sgpr_kernarg_preload_offset 0
		.amdhsa_user_sgpr_private_segment_size 0
		.amdhsa_uses_dynamic_stack 0
		.amdhsa_system_sgpr_private_segment_wavefront_offset 0
		.amdhsa_system_sgpr_workgroup_id_x 1
		.amdhsa_system_sgpr_workgroup_id_y 0
		.amdhsa_system_sgpr_workgroup_id_z 0
		.amdhsa_system_sgpr_workgroup_info 0
		.amdhsa_system_vgpr_workitem_id 0
		.amdhsa_next_free_vgpr 1
		.amdhsa_next_free_sgpr 0
		.amdhsa_accum_offset 4
		.amdhsa_reserve_vcc 0
		.amdhsa_reserve_flat_scratch 0
		.amdhsa_float_round_mode_32 0
		.amdhsa_float_round_mode_16_64 0
		.amdhsa_float_denorm_mode_32 3
		.amdhsa_float_denorm_mode_16_64 3
		.amdhsa_dx10_clamp 1
		.amdhsa_ieee_mode 1
		.amdhsa_fp16_overflow 0
		.amdhsa_tg_split 0
		.amdhsa_exception_fp_ieee_invalid_op 0
		.amdhsa_exception_fp_denorm_src 0
		.amdhsa_exception_fp_ieee_div_zero 0
		.amdhsa_exception_fp_ieee_overflow 0
		.amdhsa_exception_fp_ieee_underflow 0
		.amdhsa_exception_fp_ieee_inexact 0
		.amdhsa_exception_int_div_zero 0
	.end_amdhsa_kernel
	.section	.text._ZN7rocprim17ROCPRIM_400000_NS6detail17trampoline_kernelINS0_14default_configENS1_20scan_config_selectorIxEEZZNS1_9scan_implILNS1_25lookback_scan_determinismE0ELb0ELb0ES3_N6thrust23THRUST_200600_302600_NS6detail15normal_iteratorINS9_10device_ptrIxEEEENS9_16discard_iteratorINS9_11use_defaultEEEx11max_functorIxExEEDaPvRmT3_T4_T5_mT6_P12ihipStream_tbENKUlT_T0_E_clISt17integral_constantIbLb0EESW_IbLb1EEEEDaSS_ST_EUlSS_E_NS1_11comp_targetILNS1_3genE5ELNS1_11target_archE942ELNS1_3gpuE9ELNS1_3repE0EEENS1_30default_config_static_selectorELNS0_4arch9wavefront6targetE1EEEvT1_,"axG",@progbits,_ZN7rocprim17ROCPRIM_400000_NS6detail17trampoline_kernelINS0_14default_configENS1_20scan_config_selectorIxEEZZNS1_9scan_implILNS1_25lookback_scan_determinismE0ELb0ELb0ES3_N6thrust23THRUST_200600_302600_NS6detail15normal_iteratorINS9_10device_ptrIxEEEENS9_16discard_iteratorINS9_11use_defaultEEEx11max_functorIxExEEDaPvRmT3_T4_T5_mT6_P12ihipStream_tbENKUlT_T0_E_clISt17integral_constantIbLb0EESW_IbLb1EEEEDaSS_ST_EUlSS_E_NS1_11comp_targetILNS1_3genE5ELNS1_11target_archE942ELNS1_3gpuE9ELNS1_3repE0EEENS1_30default_config_static_selectorELNS0_4arch9wavefront6targetE1EEEvT1_,comdat
.Lfunc_end3765:
	.size	_ZN7rocprim17ROCPRIM_400000_NS6detail17trampoline_kernelINS0_14default_configENS1_20scan_config_selectorIxEEZZNS1_9scan_implILNS1_25lookback_scan_determinismE0ELb0ELb0ES3_N6thrust23THRUST_200600_302600_NS6detail15normal_iteratorINS9_10device_ptrIxEEEENS9_16discard_iteratorINS9_11use_defaultEEEx11max_functorIxExEEDaPvRmT3_T4_T5_mT6_P12ihipStream_tbENKUlT_T0_E_clISt17integral_constantIbLb0EESW_IbLb1EEEEDaSS_ST_EUlSS_E_NS1_11comp_targetILNS1_3genE5ELNS1_11target_archE942ELNS1_3gpuE9ELNS1_3repE0EEENS1_30default_config_static_selectorELNS0_4arch9wavefront6targetE1EEEvT1_, .Lfunc_end3765-_ZN7rocprim17ROCPRIM_400000_NS6detail17trampoline_kernelINS0_14default_configENS1_20scan_config_selectorIxEEZZNS1_9scan_implILNS1_25lookback_scan_determinismE0ELb0ELb0ES3_N6thrust23THRUST_200600_302600_NS6detail15normal_iteratorINS9_10device_ptrIxEEEENS9_16discard_iteratorINS9_11use_defaultEEEx11max_functorIxExEEDaPvRmT3_T4_T5_mT6_P12ihipStream_tbENKUlT_T0_E_clISt17integral_constantIbLb0EESW_IbLb1EEEEDaSS_ST_EUlSS_E_NS1_11comp_targetILNS1_3genE5ELNS1_11target_archE942ELNS1_3gpuE9ELNS1_3repE0EEENS1_30default_config_static_selectorELNS0_4arch9wavefront6targetE1EEEvT1_
                                        ; -- End function
	.section	.AMDGPU.csdata,"",@progbits
; Kernel info:
; codeLenInByte = 0
; NumSgprs: 4
; NumVgprs: 0
; NumAgprs: 0
; TotalNumVgprs: 0
; ScratchSize: 0
; MemoryBound: 0
; FloatMode: 240
; IeeeMode: 1
; LDSByteSize: 0 bytes/workgroup (compile time only)
; SGPRBlocks: 0
; VGPRBlocks: 0
; NumSGPRsForWavesPerEU: 4
; NumVGPRsForWavesPerEU: 1
; AccumOffset: 4
; Occupancy: 8
; WaveLimiterHint : 0
; COMPUTE_PGM_RSRC2:SCRATCH_EN: 0
; COMPUTE_PGM_RSRC2:USER_SGPR: 6
; COMPUTE_PGM_RSRC2:TRAP_HANDLER: 0
; COMPUTE_PGM_RSRC2:TGID_X_EN: 1
; COMPUTE_PGM_RSRC2:TGID_Y_EN: 0
; COMPUTE_PGM_RSRC2:TGID_Z_EN: 0
; COMPUTE_PGM_RSRC2:TIDIG_COMP_CNT: 0
; COMPUTE_PGM_RSRC3_GFX90A:ACCUM_OFFSET: 0
; COMPUTE_PGM_RSRC3_GFX90A:TG_SPLIT: 0
	.section	.text._ZN7rocprim17ROCPRIM_400000_NS6detail17trampoline_kernelINS0_14default_configENS1_20scan_config_selectorIxEEZZNS1_9scan_implILNS1_25lookback_scan_determinismE0ELb0ELb0ES3_N6thrust23THRUST_200600_302600_NS6detail15normal_iteratorINS9_10device_ptrIxEEEENS9_16discard_iteratorINS9_11use_defaultEEEx11max_functorIxExEEDaPvRmT3_T4_T5_mT6_P12ihipStream_tbENKUlT_T0_E_clISt17integral_constantIbLb0EESW_IbLb1EEEEDaSS_ST_EUlSS_E_NS1_11comp_targetILNS1_3genE4ELNS1_11target_archE910ELNS1_3gpuE8ELNS1_3repE0EEENS1_30default_config_static_selectorELNS0_4arch9wavefront6targetE1EEEvT1_,"axG",@progbits,_ZN7rocprim17ROCPRIM_400000_NS6detail17trampoline_kernelINS0_14default_configENS1_20scan_config_selectorIxEEZZNS1_9scan_implILNS1_25lookback_scan_determinismE0ELb0ELb0ES3_N6thrust23THRUST_200600_302600_NS6detail15normal_iteratorINS9_10device_ptrIxEEEENS9_16discard_iteratorINS9_11use_defaultEEEx11max_functorIxExEEDaPvRmT3_T4_T5_mT6_P12ihipStream_tbENKUlT_T0_E_clISt17integral_constantIbLb0EESW_IbLb1EEEEDaSS_ST_EUlSS_E_NS1_11comp_targetILNS1_3genE4ELNS1_11target_archE910ELNS1_3gpuE8ELNS1_3repE0EEENS1_30default_config_static_selectorELNS0_4arch9wavefront6targetE1EEEvT1_,comdat
	.protected	_ZN7rocprim17ROCPRIM_400000_NS6detail17trampoline_kernelINS0_14default_configENS1_20scan_config_selectorIxEEZZNS1_9scan_implILNS1_25lookback_scan_determinismE0ELb0ELb0ES3_N6thrust23THRUST_200600_302600_NS6detail15normal_iteratorINS9_10device_ptrIxEEEENS9_16discard_iteratorINS9_11use_defaultEEEx11max_functorIxExEEDaPvRmT3_T4_T5_mT6_P12ihipStream_tbENKUlT_T0_E_clISt17integral_constantIbLb0EESW_IbLb1EEEEDaSS_ST_EUlSS_E_NS1_11comp_targetILNS1_3genE4ELNS1_11target_archE910ELNS1_3gpuE8ELNS1_3repE0EEENS1_30default_config_static_selectorELNS0_4arch9wavefront6targetE1EEEvT1_ ; -- Begin function _ZN7rocprim17ROCPRIM_400000_NS6detail17trampoline_kernelINS0_14default_configENS1_20scan_config_selectorIxEEZZNS1_9scan_implILNS1_25lookback_scan_determinismE0ELb0ELb0ES3_N6thrust23THRUST_200600_302600_NS6detail15normal_iteratorINS9_10device_ptrIxEEEENS9_16discard_iteratorINS9_11use_defaultEEEx11max_functorIxExEEDaPvRmT3_T4_T5_mT6_P12ihipStream_tbENKUlT_T0_E_clISt17integral_constantIbLb0EESW_IbLb1EEEEDaSS_ST_EUlSS_E_NS1_11comp_targetILNS1_3genE4ELNS1_11target_archE910ELNS1_3gpuE8ELNS1_3repE0EEENS1_30default_config_static_selectorELNS0_4arch9wavefront6targetE1EEEvT1_
	.globl	_ZN7rocprim17ROCPRIM_400000_NS6detail17trampoline_kernelINS0_14default_configENS1_20scan_config_selectorIxEEZZNS1_9scan_implILNS1_25lookback_scan_determinismE0ELb0ELb0ES3_N6thrust23THRUST_200600_302600_NS6detail15normal_iteratorINS9_10device_ptrIxEEEENS9_16discard_iteratorINS9_11use_defaultEEEx11max_functorIxExEEDaPvRmT3_T4_T5_mT6_P12ihipStream_tbENKUlT_T0_E_clISt17integral_constantIbLb0EESW_IbLb1EEEEDaSS_ST_EUlSS_E_NS1_11comp_targetILNS1_3genE4ELNS1_11target_archE910ELNS1_3gpuE8ELNS1_3repE0EEENS1_30default_config_static_selectorELNS0_4arch9wavefront6targetE1EEEvT1_
	.p2align	8
	.type	_ZN7rocprim17ROCPRIM_400000_NS6detail17trampoline_kernelINS0_14default_configENS1_20scan_config_selectorIxEEZZNS1_9scan_implILNS1_25lookback_scan_determinismE0ELb0ELb0ES3_N6thrust23THRUST_200600_302600_NS6detail15normal_iteratorINS9_10device_ptrIxEEEENS9_16discard_iteratorINS9_11use_defaultEEEx11max_functorIxExEEDaPvRmT3_T4_T5_mT6_P12ihipStream_tbENKUlT_T0_E_clISt17integral_constantIbLb0EESW_IbLb1EEEEDaSS_ST_EUlSS_E_NS1_11comp_targetILNS1_3genE4ELNS1_11target_archE910ELNS1_3gpuE8ELNS1_3repE0EEENS1_30default_config_static_selectorELNS0_4arch9wavefront6targetE1EEEvT1_,@function
_ZN7rocprim17ROCPRIM_400000_NS6detail17trampoline_kernelINS0_14default_configENS1_20scan_config_selectorIxEEZZNS1_9scan_implILNS1_25lookback_scan_determinismE0ELb0ELb0ES3_N6thrust23THRUST_200600_302600_NS6detail15normal_iteratorINS9_10device_ptrIxEEEENS9_16discard_iteratorINS9_11use_defaultEEEx11max_functorIxExEEDaPvRmT3_T4_T5_mT6_P12ihipStream_tbENKUlT_T0_E_clISt17integral_constantIbLb0EESW_IbLb1EEEEDaSS_ST_EUlSS_E_NS1_11comp_targetILNS1_3genE4ELNS1_11target_archE910ELNS1_3gpuE8ELNS1_3repE0EEENS1_30default_config_static_selectorELNS0_4arch9wavefront6targetE1EEEvT1_: ; @_ZN7rocprim17ROCPRIM_400000_NS6detail17trampoline_kernelINS0_14default_configENS1_20scan_config_selectorIxEEZZNS1_9scan_implILNS1_25lookback_scan_determinismE0ELb0ELb0ES3_N6thrust23THRUST_200600_302600_NS6detail15normal_iteratorINS9_10device_ptrIxEEEENS9_16discard_iteratorINS9_11use_defaultEEEx11max_functorIxExEEDaPvRmT3_T4_T5_mT6_P12ihipStream_tbENKUlT_T0_E_clISt17integral_constantIbLb0EESW_IbLb1EEEEDaSS_ST_EUlSS_E_NS1_11comp_targetILNS1_3genE4ELNS1_11target_archE910ELNS1_3gpuE8ELNS1_3repE0EEENS1_30default_config_static_selectorELNS0_4arch9wavefront6targetE1EEEvT1_
; %bb.0:
	s_load_dwordx2 s[6:7], s[4:5], 0x20
	s_load_dwordx2 s[14:15], s[4:5], 0x38
	v_cmp_ne_u32_e64 s[0:1], 0, v0
	v_cmp_eq_u32_e64 s[2:3], 0, v0
	s_and_saveexec_b64 s[8:9], s[2:3]
	s_cbranch_execz .LBB3766_4
; %bb.1:
	s_mov_b64 s[12:13], exec
	v_mbcnt_lo_u32_b32 v1, s12, 0
	v_mbcnt_hi_u32_b32 v1, s13, v1
	v_cmp_eq_u32_e32 vcc, 0, v1
                                        ; implicit-def: $vgpr2
	s_and_saveexec_b64 s[10:11], vcc
	s_cbranch_execz .LBB3766_3
; %bb.2:
	s_load_dwordx2 s[16:17], s[4:5], 0x68
	s_bcnt1_i32_b64 s12, s[12:13]
	v_mov_b32_e32 v2, 0
	v_mov_b32_e32 v3, s12
	s_waitcnt lgkmcnt(0)
	global_atomic_add v2, v2, v3, s[16:17] glc
.LBB3766_3:
	s_or_b64 exec, exec, s[10:11]
	s_waitcnt vmcnt(0)
	v_readfirstlane_b32 s10, v2
	v_add_u32_e32 v1, s10, v1
	v_mov_b32_e32 v2, 0
	ds_write_b32 v2, v1
.LBB3766_4:
	s_or_b64 exec, exec, s[8:9]
	v_mov_b32_e32 v3, 0
	s_load_dwordx4 s[8:11], s[4:5], 0x0
	s_load_dword s12, s[4:5], 0x40
	s_load_dwordx8 s[16:23], s[4:5], 0x48
	s_waitcnt lgkmcnt(0)
	s_barrier
	ds_read_b32 v1, v3
	s_lshl_b64 s[4:5], s[10:11], 3
	s_add_u32 s4, s8, s4
	s_movk_i32 s8, 0x380
	s_addc_u32 s5, s9, s5
	s_waitcnt lgkmcnt(0)
	v_mul_lo_u32 v2, v1, s8
	s_add_i32 s8, s12, -1
	s_mul_i32 s9, s8, 0x380
	s_sub_u32 s28, s6, s9
	v_readfirstlane_b32 s30, v1
	s_subb_u32 s29, s7, 0
	v_lshlrev_b64 v[2:3], 3, v[2:3]
	s_cmp_lg_u32 s30, s8
	v_mov_b32_e32 v1, s5
	v_add_co_u32_e32 v20, vcc, s4, v2
	s_cselect_b64 s[24:25], -1, 0
	v_addc_co_u32_e32 v21, vcc, v1, v3, vcc
	s_mov_b64 s[4:5], -1
	s_and_b64 vcc, exec, s[24:25]
	v_lshlrev_b32_e32 v1, 3, v0
	s_barrier
	s_cbranch_vccz .LBB3766_6
; %bb.5:
	v_add_co_u32_e32 v2, vcc, v20, v1
	v_addc_co_u32_e32 v3, vcc, 0, v21, vcc
	flat_load_dwordx2 v[4:5], v[2:3]
	flat_load_dwordx2 v[6:7], v[2:3] offset:1024
	flat_load_dwordx2 v[8:9], v[2:3] offset:2048
	;; [unrolled: 1-line block ×3, first 2 shown]
	v_add_co_u32_e32 v2, vcc, 0x1000, v2
	v_addc_co_u32_e32 v3, vcc, 0, v3, vcc
	flat_load_dwordx2 v[12:13], v[2:3]
	flat_load_dwordx2 v[14:15], v[2:3] offset:1024
	flat_load_dwordx2 v[16:17], v[2:3] offset:2048
	s_mov_b64 s[4:5], 0
	s_waitcnt vmcnt(0) lgkmcnt(0)
	ds_write2st64_b64 v1, v[4:5], v[6:7] offset1:2
	ds_write2st64_b64 v1, v[8:9], v[10:11] offset0:4 offset1:6
	ds_write2st64_b64 v1, v[12:13], v[14:15] offset0:8 offset1:10
	ds_write_b64 v1, v[16:17] offset:6144
	s_waitcnt lgkmcnt(0)
	s_barrier
.LBB3766_6:
	s_andn2_b64 vcc, exec, s[4:5]
	s_cbranch_vccnz .LBB3766_22
; %bb.7:
	flat_load_dwordx2 v[2:3], v[20:21]
	v_cmp_gt_u32_e32 vcc, s28, v0
	s_waitcnt vmcnt(0) lgkmcnt(0)
	v_mov_b32_e32 v4, v2
	v_mov_b32_e32 v5, v3
	;; [unrolled: 1-line block ×10, first 2 shown]
	v_pk_mov_b32 v[18:19], v[14:15], v[14:15] op_sel:[0,1]
	v_pk_mov_b32 v[16:17], v[12:13], v[12:13] op_sel:[0,1]
	;; [unrolled: 1-line block ×8, first 2 shown]
	s_and_saveexec_b64 s[4:5], vcc
	s_cbranch_execz .LBB3766_9
; %bb.8:
	v_add_co_u32_e32 v4, vcc, v20, v1
	v_addc_co_u32_e32 v5, vcc, 0, v21, vcc
	flat_load_dwordx2 v[22:23], v[4:5]
	v_mov_b32_e32 v4, v2
	v_mov_b32_e32 v5, v3
	v_mov_b32_e32 v6, v2
	v_mov_b32_e32 v7, v3
	v_mov_b32_e32 v8, v2
	v_mov_b32_e32 v9, v3
	v_mov_b32_e32 v10, v2
	v_mov_b32_e32 v11, v3
	v_mov_b32_e32 v12, v2
	v_mov_b32_e32 v13, v3
	v_pk_mov_b32 v[18:19], v[14:15], v[14:15] op_sel:[0,1]
	v_pk_mov_b32 v[16:17], v[12:13], v[12:13] op_sel:[0,1]
	;; [unrolled: 1-line block ×8, first 2 shown]
	s_waitcnt vmcnt(0) lgkmcnt(0)
	v_pk_mov_b32 v[2:3], v[22:23], v[22:23] op_sel:[0,1]
.LBB3766_9:
	s_or_b64 exec, exec, s[4:5]
	v_or_b32_e32 v4, 0x80, v0
	v_cmp_gt_u32_e32 vcc, s28, v4
	s_and_saveexec_b64 s[4:5], vcc
	s_cbranch_execz .LBB3766_11
; %bb.10:
	v_add_co_u32_e32 v4, vcc, v20, v1
	v_addc_co_u32_e32 v5, vcc, 0, v21, vcc
	flat_load_dwordx2 v[6:7], v[4:5] offset:1024
.LBB3766_11:
	s_or_b64 exec, exec, s[4:5]
	v_or_b32_e32 v4, 0x100, v0
	v_cmp_gt_u32_e32 vcc, s28, v4
	s_and_saveexec_b64 s[4:5], vcc
	s_cbranch_execz .LBB3766_13
; %bb.12:
	v_add_co_u32_e32 v4, vcc, v20, v1
	v_addc_co_u32_e32 v5, vcc, 0, v21, vcc
	flat_load_dwordx2 v[8:9], v[4:5] offset:2048
.LBB3766_13:
	s_or_b64 exec, exec, s[4:5]
	v_or_b32_e32 v4, 0x180, v0
	v_cmp_gt_u32_e32 vcc, s28, v4
	s_and_saveexec_b64 s[4:5], vcc
	s_cbranch_execz .LBB3766_15
; %bb.14:
	v_add_co_u32_e32 v4, vcc, v20, v1
	v_addc_co_u32_e32 v5, vcc, 0, v21, vcc
	flat_load_dwordx2 v[10:11], v[4:5] offset:3072
.LBB3766_15:
	s_or_b64 exec, exec, s[4:5]
	v_or_b32_e32 v4, 0x200, v0
	v_cmp_gt_u32_e32 vcc, s28, v4
	s_and_saveexec_b64 s[4:5], vcc
	s_cbranch_execz .LBB3766_17
; %bb.16:
	v_lshlrev_b32_e32 v4, 3, v4
	v_add_co_u32_e32 v4, vcc, v20, v4
	v_addc_co_u32_e32 v5, vcc, 0, v21, vcc
	flat_load_dwordx2 v[12:13], v[4:5]
.LBB3766_17:
	s_or_b64 exec, exec, s[4:5]
	v_or_b32_e32 v4, 0x280, v0
	v_cmp_gt_u32_e32 vcc, s28, v4
	s_and_saveexec_b64 s[4:5], vcc
	s_cbranch_execz .LBB3766_19
; %bb.18:
	v_lshlrev_b32_e32 v4, 3, v4
	v_add_co_u32_e32 v4, vcc, v20, v4
	v_addc_co_u32_e32 v5, vcc, 0, v21, vcc
	flat_load_dwordx2 v[14:15], v[4:5]
.LBB3766_19:
	;; [unrolled: 11-line block ×3, first 2 shown]
	s_or_b64 exec, exec, s[4:5]
	s_waitcnt vmcnt(0) lgkmcnt(0)
	ds_write2st64_b64 v1, v[2:3], v[6:7] offset1:2
	ds_write2st64_b64 v1, v[8:9], v[10:11] offset0:4 offset1:6
	ds_write2st64_b64 v1, v[12:13], v[14:15] offset0:8 offset1:10
	ds_write_b64 v1, v[16:17] offset:6144
	s_waitcnt lgkmcnt(0)
	s_barrier
.LBB3766_22:
	v_mul_u32_u24_e32 v36, 7, v0
	v_lshlrev_b32_e32 v37, 3, v36
	ds_read2_b64 v[2:5], v37 offset1:1
	ds_read2_b64 v[10:13], v37 offset0:2 offset1:3
	ds_read2_b64 v[6:9], v37 offset0:4 offset1:5
	ds_read_b64 v[28:29], v37 offset:48
	s_cmp_lg_u32 s30, 0
	v_lshrrev_b32_e32 v1, 5, v0
	v_cmp_gt_u32_e32 vcc, 64, v0
	s_waitcnt lgkmcnt(0)
	s_barrier
	s_cbranch_scc0 .LBB3766_49
; %bb.23:
	v_cmp_gt_i64_e64 s[4:5], v[2:3], v[4:5]
	v_cndmask_b32_e64 v15, v5, v3, s[4:5]
	v_cndmask_b32_e64 v14, v4, v2, s[4:5]
	v_cmp_gt_i64_e64 s[4:5], v[14:15], v[10:11]
	v_cndmask_b32_e64 v15, v11, v15, s[4:5]
	v_cndmask_b32_e64 v14, v10, v14, s[4:5]
	;; [unrolled: 3-line block ×6, first 2 shown]
	v_add_lshl_u32 v14, v1, v0, 3
	ds_write_b64 v14, v[22:23]
	s_waitcnt lgkmcnt(0)
	s_barrier
	s_and_saveexec_b64 s[8:9], vcc
	s_cbranch_execz .LBB3766_27
; %bb.24:
	v_lshlrev_b32_e32 v14, 1, v0
	v_lshrrev_b32_e32 v15, 4, v0
	v_add_lshl_u32 v24, v15, v14, 3
	ds_read2_b64 v[14:17], v24 offset1:1
	v_mbcnt_lo_u32_b32 v18, -1, 0
	v_mbcnt_hi_u32_b32 v25, -1, v18
	v_and_b32_e32 v26, 15, v25
	v_and_b32_e32 v30, 16, v25
	s_waitcnt lgkmcnt(0)
	v_cmp_gt_i64_e64 s[4:5], v[14:15], v[16:17]
	v_cndmask_b32_e64 v17, v17, v15, s[4:5]
	v_cndmask_b32_e64 v16, v16, v14, s[4:5]
	v_cmp_ne_u32_e64 s[6:7], 0, v25
	v_mov_b32_dpp v19, v17 row_shr:1 row_mask:0xf bank_mask:0xf
	v_mov_b32_dpp v18, v16 row_shr:1 row_mask:0xf bank_mask:0xf
	v_cmp_gt_i64_e64 s[4:5], v[18:19], v[16:17]
	v_cndmask_b32_e64 v18, v16, v18, s[4:5]
	v_cndmask_b32_e64 v19, v17, v19, s[4:5]
	v_cmp_eq_u32_e64 s[4:5], 0, v26
	v_cndmask_b32_e64 v19, v19, v17, s[4:5]
	v_cndmask_b32_e64 v18, v18, v16, s[4:5]
	s_nop 0
	v_mov_b32_dpp v21, v19 row_shr:2 row_mask:0xf bank_mask:0xf
	v_mov_b32_dpp v20, v18 row_shr:2 row_mask:0xf bank_mask:0xf
	v_cmp_gt_i64_e64 s[4:5], v[20:21], v[18:19]
	v_cndmask_b32_e64 v20, v18, v20, s[4:5]
	v_cndmask_b32_e64 v21, v19, v21, s[4:5]
	v_cmp_lt_u32_e64 s[4:5], 1, v26
	v_cndmask_b32_e64 v19, v19, v21, s[4:5]
	v_cndmask_b32_e64 v18, v18, v20, s[4:5]
	s_nop 0
	v_mov_b32_dpp v21, v19 row_shr:4 row_mask:0xf bank_mask:0xf
	v_mov_b32_dpp v20, v18 row_shr:4 row_mask:0xf bank_mask:0xf
	v_cmp_gt_i64_e64 s[4:5], v[20:21], v[18:19]
	v_cndmask_b32_e64 v20, v18, v20, s[4:5]
	v_cndmask_b32_e64 v21, v19, v21, s[4:5]
	v_cmp_lt_u32_e64 s[4:5], 3, v26
	;; [unrolled: 9-line block ×3, first 2 shown]
	v_cndmask_b32_e64 v19, v19, v21, s[4:5]
	v_cndmask_b32_e64 v18, v18, v20, s[4:5]
	s_nop 0
	v_mov_b32_dpp v21, v19 row_bcast:15 row_mask:0xf bank_mask:0xf
	v_mov_b32_dpp v20, v18 row_bcast:15 row_mask:0xf bank_mask:0xf
	v_cmp_gt_i64_e64 s[4:5], v[20:21], v[18:19]
	v_cndmask_b32_e64 v26, v19, v21, s[4:5]
	v_cndmask_b32_e64 v27, v18, v20, s[4:5]
	v_cmp_eq_u32_e64 s[4:5], 0, v30
	v_cndmask_b32_e64 v21, v26, v19, s[4:5]
	v_cndmask_b32_e64 v20, v27, v18, s[4:5]
	s_nop 0
	v_mov_b32_dpp v21, v21 row_bcast:31 row_mask:0xf bank_mask:0xf
	v_mov_b32_dpp v20, v20 row_bcast:31 row_mask:0xf bank_mask:0xf
	s_and_saveexec_b64 s[10:11], s[6:7]
; %bb.25:
	v_cndmask_b32_e64 v17, v26, v19, s[4:5]
	v_cndmask_b32_e64 v16, v27, v18, s[4:5]
	v_cmp_lt_u32_e64 s[6:7], 31, v25
	v_cmp_gt_i64_e64 s[4:5], v[20:21], v[16:17]
	s_and_b64 s[4:5], s[6:7], s[4:5]
	v_cndmask_b32_e64 v16, v16, v20, s[4:5]
	v_cndmask_b32_e64 v17, v17, v21, s[4:5]
; %bb.26:
	s_or_b64 exec, exec, s[10:11]
	v_add_u32_e32 v18, -1, v25
	v_and_b32_e32 v19, 64, v25
	v_cmp_lt_i32_e64 s[4:5], v18, v19
	v_cndmask_b32_e64 v18, v18, v25, s[4:5]
	v_lshlrev_b32_e32 v18, 2, v18
	ds_bpermute_b32 v16, v18, v16
	ds_bpermute_b32 v17, v18, v17
	; wave barrier
	s_waitcnt lgkmcnt(0)
	v_cmp_gt_i64_e64 s[4:5], v[16:17], v[14:15]
	v_cndmask_b32_e64 v14, v14, v16, s[4:5]
	v_cndmask_b32_e64 v15, v15, v17, s[4:5]
	;; [unrolled: 1-line block ×4, first 2 shown]
	ds_write_b64 v24, v[14:15]
	; wave barrier
	ds_read_b64 v[16:17], v24 offset:8
	s_waitcnt lgkmcnt(0)
	v_cmp_gt_i64_e64 s[4:5], v[14:15], v[16:17]
	v_cndmask_b32_e64 v15, v17, v15, s[4:5]
	v_cndmask_b32_e64 v14, v16, v14, s[4:5]
	ds_write_b64 v24, v[14:15] offset:8
.LBB3766_27:
	s_or_b64 exec, exec, s[8:9]
	s_waitcnt lgkmcnt(0)
	s_barrier
	s_and_saveexec_b64 s[4:5], s[0:1]
	s_cbranch_execz .LBB3766_29
; %bb.28:
	v_add_u32_e32 v14, -1, v0
	v_lshrrev_b32_e32 v15, 5, v14
	v_add_lshl_u32 v14, v15, v14, 3
	ds_read_b64 v[22:23], v14
.LBB3766_29:
	s_or_b64 exec, exec, s[4:5]
	s_and_saveexec_b64 s[26:27], vcc
	s_cbranch_execz .LBB3766_48
; %bb.30:
	v_mov_b32_e32 v17, 0
	ds_read_b64 v[14:15], v17 offset:1040
	v_mbcnt_lo_u32_b32 v16, -1, 0
	v_mbcnt_hi_u32_b32 v25, -1, v16
	s_mov_b32 s9, 0
	v_cmp_eq_u32_e64 s[4:5], 0, v25
	s_and_saveexec_b64 s[6:7], s[4:5]
	s_cbranch_execz .LBB3766_32
; %bb.31:
	s_add_i32 s8, s30, 64
	s_lshl_b64 s[8:9], s[8:9], 4
	s_add_u32 s8, s14, s8
	s_addc_u32 s9, s15, s9
	v_mov_b32_e32 v16, 1
	v_pk_mov_b32 v[18:19], s[8:9], s[8:9] op_sel:[0,1]
	s_waitcnt lgkmcnt(0)
	;;#ASMSTART
	global_store_dwordx4 v[18:19], v[14:17] off	
s_waitcnt vmcnt(0)
	;;#ASMEND
.LBB3766_32:
	s_or_b64 exec, exec, s[6:7]
	v_xad_u32 v24, v25, -1, s30
	v_add_u32_e32 v16, 64, v24
	v_lshlrev_b64 v[18:19], 4, v[16:17]
	v_mov_b32_e32 v16, s15
	v_add_co_u32_e32 v26, vcc, s14, v18
	v_addc_co_u32_e32 v27, vcc, v16, v19, vcc
	;;#ASMSTART
	global_load_dwordx4 v[18:21], v[26:27] off glc	
s_waitcnt vmcnt(0)
	;;#ASMEND
	v_and_b32_e32 v16, 0xff, v19
	v_and_b32_e32 v21, 0xff00, v19
	v_or3_b32 v16, 0, v16, v21
	v_or3_b32 v18, v18, 0, 0
	v_and_b32_e32 v21, 0xff000000, v19
	v_and_b32_e32 v19, 0xff0000, v19
	v_or3_b32 v19, v16, v19, v21
	v_or3_b32 v18, v18, 0, 0
	v_cmp_eq_u16_sdwa s[8:9], v20, v17 src0_sel:BYTE_0 src1_sel:DWORD
	s_and_saveexec_b64 s[6:7], s[8:9]
	s_cbranch_execz .LBB3766_36
; %bb.33:
	s_mov_b64 s[8:9], 0
	v_mov_b32_e32 v16, 0
.LBB3766_34:                            ; =>This Inner Loop Header: Depth=1
	;;#ASMSTART
	global_load_dwordx4 v[18:21], v[26:27] off glc	
s_waitcnt vmcnt(0)
	;;#ASMEND
	v_cmp_ne_u16_sdwa s[10:11], v20, v16 src0_sel:BYTE_0 src1_sel:DWORD
	s_or_b64 s[8:9], s[10:11], s[8:9]
	s_andn2_b64 exec, exec, s[8:9]
	s_cbranch_execnz .LBB3766_34
; %bb.35:
	s_or_b64 exec, exec, s[8:9]
.LBB3766_36:
	s_or_b64 exec, exec, s[6:7]
	v_and_b32_e32 v33, 63, v25
	v_cmp_ne_u32_e32 vcc, 63, v33
	v_mov_b32_e32 v32, 2
	v_addc_co_u32_e32 v26, vcc, 0, v25, vcc
	v_cmp_eq_u16_sdwa s[6:7], v20, v32 src0_sel:BYTE_0 src1_sel:DWORD
	v_lshlrev_b64 v[16:17], v25, -1
	v_lshlrev_b32_e32 v34, 2, v26
	v_and_b32_e32 v21, s7, v17
	ds_bpermute_b32 v26, v34, v18
	ds_bpermute_b32 v27, v34, v19
	v_or_b32_e32 v21, 0x80000000, v21
	v_and_b32_e32 v30, s6, v16
	v_ffbl_b32_e32 v21, v21
	v_add_u32_e32 v21, 32, v21
	v_ffbl_b32_e32 v30, v30
	v_min_u32_e32 v21, v30, v21
	s_waitcnt lgkmcnt(0)
	v_cmp_gt_i64_e64 s[6:7], v[26:27], v[18:19]
	v_cmp_lt_u32_e32 vcc, v33, v21
	v_cndmask_b32_e64 v26, v18, v26, s[6:7]
	s_and_b64 s[6:7], vcc, s[6:7]
	v_cndmask_b32_e64 v27, v19, v27, s[6:7]
	v_cmp_gt_u32_e64 s[6:7], 62, v33
	v_cndmask_b32_e64 v30, 0, 1, s[6:7]
	v_lshlrev_b32_e32 v30, 1, v30
	v_cndmask_b32_e32 v26, v18, v26, vcc
	v_add_lshl_u32 v35, v30, v25, 2
	ds_bpermute_b32 v30, v35, v26
	ds_bpermute_b32 v31, v35, v27
	v_add_u32_e32 v38, 2, v33
	v_cmp_gt_u32_e64 s[8:9], 56, v33
	v_add_u32_e32 v40, 4, v33
	v_cndmask_b32_e64 v41, 0, 1, s[8:9]
	s_waitcnt lgkmcnt(0)
	v_cmp_gt_i64_e64 s[6:7], v[30:31], v[26:27]
	v_cndmask_b32_e64 v31, v27, v31, s[6:7]
	v_cndmask_b32_e64 v30, v26, v30, s[6:7]
	v_cmp_gt_u32_e64 s[6:7], v38, v21
	v_cndmask_b32_e64 v26, v30, v26, s[6:7]
	v_cndmask_b32_e64 v27, v31, v27, s[6:7]
	v_cmp_gt_u32_e64 s[6:7], 60, v33
	v_cndmask_b32_e64 v30, 0, 1, s[6:7]
	v_lshlrev_b32_e32 v30, 2, v30
	v_add_lshl_u32 v39, v30, v25, 2
	ds_bpermute_b32 v30, v39, v26
	ds_bpermute_b32 v31, v39, v27
	v_lshlrev_b32_e32 v41, 3, v41
	v_add_lshl_u32 v41, v41, v25, 2
	v_cmp_gt_u32_e64 s[10:11], 48, v33
	v_add_u32_e32 v42, 8, v33
	s_waitcnt lgkmcnt(0)
	v_cmp_gt_i64_e64 s[6:7], v[30:31], v[26:27]
	v_cndmask_b32_e64 v50, v27, v31, s[6:7]
	v_cndmask_b32_e64 v51, v26, v30, s[6:7]
	v_cmp_gt_u32_e64 s[6:7], v40, v21
	v_cndmask_b32_e64 v30, v51, v26, s[6:7]
	v_cndmask_b32_e64 v31, v50, v27, s[6:7]
	ds_bpermute_b32 v44, v41, v30
	ds_bpermute_b32 v45, v41, v31
	v_cndmask_b32_e64 v43, 0, 1, s[10:11]
	v_lshlrev_b32_e32 v43, 4, v43
	v_add_lshl_u32 v43, v43, v25, 2
	v_cmp_gt_u32_e64 s[12:13], 32, v33
	s_waitcnt lgkmcnt(0)
	v_cmp_gt_i64_e64 s[8:9], v[44:45], v[30:31]
	v_cndmask_b32_e64 v52, v31, v45, s[8:9]
	v_cndmask_b32_e64 v53, v30, v44, s[8:9]
	v_cmp_gt_u32_e64 s[8:9], v42, v21
	v_cndmask_b32_e64 v30, v53, v30, s[8:9]
	v_cndmask_b32_e64 v31, v52, v31, s[8:9]
	ds_bpermute_b32 v46, v43, v30
	ds_bpermute_b32 v47, v43, v31
	v_add_u32_e32 v44, 16, v33
	v_cndmask_b32_e64 v45, 0, 1, s[12:13]
	v_lshlrev_b32_e32 v45, 5, v45
	v_add_lshl_u32 v45, v45, v25, 2
	s_waitcnt lgkmcnt(0)
	v_cmp_gt_i64_e64 s[10:11], v[46:47], v[30:31]
	v_cndmask_b32_e64 v47, v31, v47, s[10:11]
	v_cndmask_b32_e64 v54, v30, v46, s[10:11]
	v_cmp_gt_u32_e64 s[10:11], v44, v21
	v_cndmask_b32_e64 v30, v54, v30, s[10:11]
	v_cndmask_b32_e64 v31, v47, v31, s[10:11]
	ds_bpermute_b32 v48, v45, v30
	ds_bpermute_b32 v49, v45, v31
	v_cndmask_b32_e32 v19, v19, v27, vcc
	v_cndmask_b32_e32 v18, v18, v26, vcc
	v_cndmask_b32_e64 v18, v51, v18, s[6:7]
	v_cndmask_b32_e64 v19, v50, v19, s[6:7]
	v_add_u32_e32 v46, 32, v33
	s_waitcnt lgkmcnt(0)
	v_cmp_gt_i64_e64 s[12:13], v[48:49], v[30:31]
	v_cndmask_b32_e64 v19, v52, v19, s[8:9]
	v_cndmask_b32_e64 v18, v53, v18, s[8:9]
	v_cndmask_b32_e64 v25, v30, v48, s[12:13]
	v_cndmask_b32_e64 v30, v31, v49, s[12:13]
	v_cndmask_b32_e64 v18, v54, v18, s[10:11]
	v_cndmask_b32_e64 v19, v47, v19, s[10:11]
	v_cmp_gt_u32_e32 vcc, v46, v21
	v_cndmask_b32_e32 v19, v30, v19, vcc
	v_cndmask_b32_e32 v18, v25, v18, vcc
	v_mov_b32_e32 v25, 0
	s_branch .LBB3766_38
.LBB3766_37:                            ;   in Loop: Header=BB3766_38 Depth=1
	s_or_b64 exec, exec, s[6:7]
	v_cmp_eq_u16_sdwa s[6:7], v20, v32 src0_sel:BYTE_0 src1_sel:DWORD
	v_and_b32_e32 v21, s7, v17
	ds_bpermute_b32 v30, v34, v18
	ds_bpermute_b32 v31, v34, v19
	v_or_b32_e32 v21, 0x80000000, v21
	v_and_b32_e32 v47, s6, v16
	v_ffbl_b32_e32 v21, v21
	v_add_u32_e32 v21, 32, v21
	v_ffbl_b32_e32 v47, v47
	v_min_u32_e32 v21, v47, v21
	s_waitcnt lgkmcnt(0)
	v_cmp_gt_i64_e32 vcc, v[30:31], v[18:19]
	v_cmp_lt_u32_e64 s[6:7], v33, v21
	v_cndmask_b32_e32 v30, v18, v30, vcc
	s_and_b64 vcc, s[6:7], vcc
	v_cndmask_b32_e64 v30, v18, v30, s[6:7]
	v_cndmask_b32_e32 v31, v19, v31, vcc
	ds_bpermute_b32 v48, v35, v30
	ds_bpermute_b32 v49, v35, v31
	v_subrev_u32_e32 v24, 64, v24
	s_waitcnt lgkmcnt(0)
	v_cmp_gt_i64_e32 vcc, v[48:49], v[30:31]
	v_cndmask_b32_e32 v47, v31, v49, vcc
	v_cndmask_b32_e32 v48, v30, v48, vcc
	v_cmp_gt_u32_e32 vcc, v38, v21
	v_cndmask_b32_e32 v30, v48, v30, vcc
	v_cndmask_b32_e32 v31, v47, v31, vcc
	ds_bpermute_b32 v48, v39, v30
	ds_bpermute_b32 v49, v39, v31
	v_cndmask_b32_e64 v19, v19, v31, s[6:7]
	v_cndmask_b32_e64 v18, v18, v30, s[6:7]
	s_waitcnt lgkmcnt(0)
	v_cmp_gt_i64_e32 vcc, v[48:49], v[30:31]
	v_cndmask_b32_e32 v47, v31, v49, vcc
	v_cndmask_b32_e32 v52, v30, v48, vcc
	v_cmp_gt_u32_e32 vcc, v40, v21
	v_cndmask_b32_e32 v48, v52, v30, vcc
	v_cndmask_b32_e32 v49, v47, v31, vcc
	ds_bpermute_b32 v50, v41, v48
	ds_bpermute_b32 v51, v41, v49
	v_cndmask_b32_e32 v18, v52, v18, vcc
	v_cndmask_b32_e32 v19, v47, v19, vcc
	v_cmp_gt_u32_e32 vcc, v46, v21
	s_waitcnt lgkmcnt(0)
	v_cmp_gt_i64_e64 s[8:9], v[50:51], v[48:49]
	v_cndmask_b32_e64 v53, v49, v51, s[8:9]
	v_cndmask_b32_e64 v54, v48, v50, s[8:9]
	v_cmp_gt_u32_e64 s[8:9], v42, v21
	v_cndmask_b32_e64 v48, v54, v48, s[8:9]
	v_cndmask_b32_e64 v49, v53, v49, s[8:9]
	ds_bpermute_b32 v50, v43, v48
	ds_bpermute_b32 v51, v43, v49
	v_cndmask_b32_e64 v19, v53, v19, s[8:9]
	v_cndmask_b32_e64 v18, v54, v18, s[8:9]
	s_waitcnt lgkmcnt(0)
	v_cmp_gt_i64_e64 s[10:11], v[50:51], v[48:49]
	v_cndmask_b32_e64 v55, v49, v51, s[10:11]
	v_cndmask_b32_e64 v56, v48, v50, s[10:11]
	v_cmp_gt_u32_e64 s[10:11], v44, v21
	v_cndmask_b32_e64 v48, v56, v48, s[10:11]
	v_cndmask_b32_e64 v49, v55, v49, s[10:11]
	ds_bpermute_b32 v50, v45, v48
	ds_bpermute_b32 v51, v45, v49
	v_cndmask_b32_e64 v18, v56, v18, s[10:11]
	v_cndmask_b32_e64 v19, v55, v19, s[10:11]
	s_waitcnt lgkmcnt(0)
	v_cmp_gt_i64_e64 s[12:13], v[50:51], v[48:49]
	v_cndmask_b32_e64 v48, v48, v50, s[12:13]
	v_cndmask_b32_e64 v49, v49, v51, s[12:13]
	v_cndmask_b32_e32 v19, v49, v19, vcc
	v_cndmask_b32_e32 v18, v48, v18, vcc
	v_cmp_gt_i64_e32 vcc, v[18:19], v[26:27]
	v_cndmask_b32_e32 v19, v27, v19, vcc
	v_cndmask_b32_e32 v18, v26, v18, vcc
.LBB3766_38:                            ; =>This Loop Header: Depth=1
                                        ;     Child Loop BB3766_41 Depth 2
	v_cmp_ne_u16_sdwa s[6:7], v20, v32 src0_sel:BYTE_0 src1_sel:DWORD
	v_cndmask_b32_e64 v20, 0, 1, s[6:7]
	;;#ASMSTART
	;;#ASMEND
	v_cmp_ne_u32_e32 vcc, 0, v20
	s_cmp_lg_u64 vcc, exec
	v_pk_mov_b32 v[26:27], v[18:19], v[18:19] op_sel:[0,1]
	s_cbranch_scc1 .LBB3766_43
; %bb.39:                               ;   in Loop: Header=BB3766_38 Depth=1
	v_lshlrev_b64 v[18:19], 4, v[24:25]
	v_mov_b32_e32 v20, s15
	v_add_co_u32_e32 v30, vcc, s14, v18
	v_addc_co_u32_e32 v31, vcc, v20, v19, vcc
	;;#ASMSTART
	global_load_dwordx4 v[18:21], v[30:31] off glc	
s_waitcnt vmcnt(0)
	;;#ASMEND
	v_and_b32_e32 v21, 0xff, v19
	v_and_b32_e32 v47, 0xff00, v19
	v_or3_b32 v21, 0, v21, v47
	v_or3_b32 v18, v18, 0, 0
	v_and_b32_e32 v47, 0xff000000, v19
	v_and_b32_e32 v19, 0xff0000, v19
	v_or3_b32 v19, v21, v19, v47
	v_or3_b32 v18, v18, 0, 0
	v_cmp_eq_u16_sdwa s[8:9], v20, v25 src0_sel:BYTE_0 src1_sel:DWORD
	s_and_saveexec_b64 s[6:7], s[8:9]
	s_cbranch_execz .LBB3766_37
; %bb.40:                               ;   in Loop: Header=BB3766_38 Depth=1
	s_mov_b64 s[8:9], 0
.LBB3766_41:                            ;   Parent Loop BB3766_38 Depth=1
                                        ; =>  This Inner Loop Header: Depth=2
	;;#ASMSTART
	global_load_dwordx4 v[18:21], v[30:31] off glc	
s_waitcnt vmcnt(0)
	;;#ASMEND
	v_cmp_ne_u16_sdwa s[10:11], v20, v25 src0_sel:BYTE_0 src1_sel:DWORD
	s_or_b64 s[8:9], s[10:11], s[8:9]
	s_andn2_b64 exec, exec, s[8:9]
	s_cbranch_execnz .LBB3766_41
; %bb.42:                               ;   in Loop: Header=BB3766_38 Depth=1
	s_or_b64 exec, exec, s[8:9]
	s_branch .LBB3766_37
.LBB3766_43:                            ;   in Loop: Header=BB3766_38 Depth=1
                                        ; implicit-def: $vgpr18_vgpr19
                                        ; implicit-def: $vgpr20
	s_cbranch_execz .LBB3766_38
; %bb.44:
	s_and_saveexec_b64 s[6:7], s[4:5]
	s_cbranch_execz .LBB3766_46
; %bb.45:
	s_add_i32 s4, s30, 64
	s_mov_b32 s5, 0
	s_lshl_b64 s[4:5], s[4:5], 4
	s_add_u32 s4, s14, s4
	v_cmp_gt_i64_e32 vcc, v[26:27], v[14:15]
	s_addc_u32 s5, s15, s5
	v_cndmask_b32_e32 v15, v15, v27, vcc
	v_cndmask_b32_e32 v14, v14, v26, vcc
	v_mov_b32_e32 v16, 2
	v_mov_b32_e32 v17, 0
	v_pk_mov_b32 v[18:19], s[4:5], s[4:5] op_sel:[0,1]
	;;#ASMSTART
	global_store_dwordx4 v[18:19], v[14:17] off	
s_waitcnt vmcnt(0)
	;;#ASMEND
.LBB3766_46:
	s_or_b64 exec, exec, s[6:7]
	s_and_b64 exec, exec, s[2:3]
	s_cbranch_execz .LBB3766_48
; %bb.47:
	v_mov_b32_e32 v14, 0
	ds_write_b64 v14, v[26:27]
.LBB3766_48:
	s_or_b64 exec, exec, s[26:27]
	v_mov_b32_e32 v14, 0
	s_waitcnt lgkmcnt(0)
	s_barrier
	ds_read_b64 v[14:15], v14
	v_cmp_gt_i64_e32 vcc, v[22:23], v[2:3]
	v_cndmask_b32_e32 v16, v2, v22, vcc
	v_cndmask_b32_e32 v17, v3, v23, vcc
	v_cndmask_b32_e64 v17, v17, v3, s[2:3]
	v_cndmask_b32_e64 v16, v16, v2, s[2:3]
	s_waitcnt lgkmcnt(0)
	v_cmp_gt_i64_e32 vcc, v[14:15], v[16:17]
	v_cndmask_b32_e32 v25, v17, v15, vcc
	v_cndmask_b32_e32 v24, v16, v14, vcc
	v_cmp_gt_i64_e32 vcc, v[24:25], v[4:5]
	v_cndmask_b32_e32 v31, v5, v25, vcc
	v_cndmask_b32_e32 v30, v4, v24, vcc
	;; [unrolled: 3-line block ×7, first 2 shown]
	s_branch .LBB3766_63
.LBB3766_49:
                                        ; implicit-def: $vgpr22_vgpr23
                                        ; implicit-def: $vgpr34_vgpr35
                                        ; implicit-def: $vgpr32_vgpr33
                                        ; implicit-def: $vgpr30_vgpr31
                                        ; implicit-def: $vgpr18_vgpr19_vgpr20_vgpr21
                                        ; implicit-def: $vgpr14_vgpr15_vgpr16_vgpr17
                                        ; implicit-def: $vgpr24_vgpr25_vgpr26_vgpr27
	s_cbranch_execz .LBB3766_63
; %bb.50:
	s_cmp_lg_u64 s[20:21], 0
	s_cselect_b64 s[4:5], -1, 0
	s_and_b64 s[6:7], s[2:3], s[4:5]
	s_and_saveexec_b64 s[4:5], s[6:7]
	s_cbranch_execz .LBB3766_52
; %bb.51:
	v_mov_b32_e32 v14, 0
	global_load_dwordx2 v[14:15], v14, s[16:17]
	s_waitcnt vmcnt(0)
	v_cmp_gt_i64_e32 vcc, v[14:15], v[2:3]
	v_cndmask_b32_e32 v3, v3, v15, vcc
	v_cndmask_b32_e32 v2, v2, v14, vcc
.LBB3766_52:
	s_or_b64 exec, exec, s[4:5]
	v_cmp_gt_i64_e32 vcc, v[2:3], v[4:5]
	v_cndmask_b32_e32 v31, v5, v3, vcc
	v_cndmask_b32_e32 v30, v4, v2, vcc
	v_cmp_gt_i64_e32 vcc, v[30:31], v[10:11]
	v_cndmask_b32_e32 v15, v11, v31, vcc
	v_cndmask_b32_e32 v14, v10, v30, vcc
	;; [unrolled: 3-line block ×6, first 2 shown]
	v_add_lshl_u32 v1, v1, v0, 3
	v_cmp_gt_u32_e32 vcc, 64, v0
	ds_write_b64 v1, v[22:23]
	s_waitcnt lgkmcnt(0)
	s_barrier
	s_and_saveexec_b64 s[6:7], vcc
	s_cbranch_execz .LBB3766_56
; %bb.53:
	v_lshlrev_b32_e32 v1, 1, v0
	v_lshrrev_b32_e32 v16, 4, v0
	v_add_lshl_u32 v1, v16, v1, 3
	ds_read2_b64 v[24:27], v1 offset1:1
	v_mbcnt_lo_u32_b32 v16, -1, 0
	v_mbcnt_hi_u32_b32 v38, -1, v16
	v_and_b32_e32 v39, 15, v38
	v_and_b32_e32 v41, 16, v38
	s_waitcnt lgkmcnt(0)
	v_cmp_gt_i64_e32 vcc, v[24:25], v[26:27]
	v_cndmask_b32_e32 v17, v27, v25, vcc
	v_cndmask_b32_e32 v16, v26, v24, vcc
	v_cmp_ne_u32_e64 s[4:5], 0, v38
	v_mov_b32_dpp v21, v17 row_shr:1 row_mask:0xf bank_mask:0xf
	v_mov_b32_dpp v20, v16 row_shr:1 row_mask:0xf bank_mask:0xf
	v_cmp_gt_i64_e32 vcc, v[20:21], v[16:17]
	v_cndmask_b32_e32 v20, v16, v20, vcc
	v_cndmask_b32_e32 v21, v17, v21, vcc
	v_cmp_eq_u32_e32 vcc, 0, v39
	v_cndmask_b32_e32 v21, v21, v17, vcc
	v_cndmask_b32_e32 v20, v20, v16, vcc
	s_nop 0
	v_mov_b32_dpp v27, v21 row_shr:2 row_mask:0xf bank_mask:0xf
	v_mov_b32_dpp v26, v20 row_shr:2 row_mask:0xf bank_mask:0xf
	v_cmp_gt_i64_e32 vcc, v[26:27], v[20:21]
	v_cndmask_b32_e32 v26, v20, v26, vcc
	v_cndmask_b32_e32 v27, v21, v27, vcc
	v_cmp_lt_u32_e32 vcc, 1, v39
	v_cndmask_b32_e32 v21, v21, v27, vcc
	v_cndmask_b32_e32 v20, v20, v26, vcc
	s_nop 0
	v_mov_b32_dpp v27, v21 row_shr:4 row_mask:0xf bank_mask:0xf
	v_mov_b32_dpp v26, v20 row_shr:4 row_mask:0xf bank_mask:0xf
	v_cmp_gt_i64_e32 vcc, v[26:27], v[20:21]
	v_cndmask_b32_e32 v26, v20, v26, vcc
	v_cndmask_b32_e32 v27, v21, v27, vcc
	v_cmp_lt_u32_e32 vcc, 3, v39
	;; [unrolled: 9-line block ×3, first 2 shown]
	v_cndmask_b32_e32 v21, v21, v27, vcc
	v_cndmask_b32_e32 v20, v20, v26, vcc
	s_nop 0
	v_mov_b32_dpp v27, v21 row_bcast:15 row_mask:0xf bank_mask:0xf
	v_mov_b32_dpp v26, v20 row_bcast:15 row_mask:0xf bank_mask:0xf
	v_cmp_gt_i64_e32 vcc, v[26:27], v[20:21]
	v_cndmask_b32_e32 v39, v21, v27, vcc
	v_cndmask_b32_e32 v40, v20, v26, vcc
	v_cmp_eq_u32_e32 vcc, 0, v41
	v_cndmask_b32_e32 v27, v39, v21, vcc
	v_cndmask_b32_e32 v26, v40, v20, vcc
	s_nop 0
	v_mov_b32_dpp v27, v27 row_bcast:31 row_mask:0xf bank_mask:0xf
	v_mov_b32_dpp v26, v26 row_bcast:31 row_mask:0xf bank_mask:0xf
	s_and_saveexec_b64 s[8:9], s[4:5]
; %bb.54:
	v_cndmask_b32_e32 v17, v39, v21, vcc
	v_cndmask_b32_e32 v16, v40, v20, vcc
	v_cmp_lt_u32_e64 s[4:5], 31, v38
	v_cmp_gt_i64_e32 vcc, v[26:27], v[16:17]
	s_and_b64 vcc, s[4:5], vcc
	v_cndmask_b32_e32 v16, v16, v26, vcc
	v_cndmask_b32_e32 v17, v17, v27, vcc
; %bb.55:
	s_or_b64 exec, exec, s[8:9]
	v_add_u32_e32 v20, -1, v38
	v_and_b32_e32 v21, 64, v38
	v_cmp_lt_i32_e32 vcc, v20, v21
	v_cndmask_b32_e32 v20, v20, v38, vcc
	v_lshlrev_b32_e32 v20, 2, v20
	ds_bpermute_b32 v16, v20, v16
	ds_bpermute_b32 v17, v20, v17
	; wave barrier
	s_waitcnt lgkmcnt(0)
	v_cmp_gt_i64_e32 vcc, v[16:17], v[24:25]
	v_cndmask_b32_e32 v16, v24, v16, vcc
	v_cndmask_b32_e32 v17, v25, v17, vcc
	v_cndmask_b32_e64 v17, v17, v23, s[2:3]
	v_cndmask_b32_e64 v16, v16, v22, s[2:3]
	ds_write_b64 v1, v[16:17]
	; wave barrier
	ds_read_b64 v[20:21], v1 offset:8
	s_waitcnt lgkmcnt(0)
	v_cmp_gt_i64_e32 vcc, v[16:17], v[20:21]
	v_cndmask_b32_e32 v17, v21, v17, vcc
	v_cndmask_b32_e32 v16, v20, v16, vcc
	ds_write_b64 v1, v[16:17] offset:8
.LBB3766_56:
	s_or_b64 exec, exec, s[6:7]
	v_pk_mov_b32 v[16:17], v[22:23], v[22:23] op_sel:[0,1]
	s_waitcnt lgkmcnt(0)
	s_barrier
	s_and_saveexec_b64 s[2:3], s[0:1]
	s_cbranch_execz .LBB3766_58
; %bb.57:
	v_add_u32_e32 v1, -1, v0
	v_lshrrev_b32_e32 v16, 5, v1
	v_add_lshl_u32 v1, v16, v1, 3
	ds_read_b64 v[16:17], v1
.LBB3766_58:
	s_or_b64 exec, exec, s[2:3]
	s_and_saveexec_b64 s[2:3], s[0:1]
	s_cbranch_execz .LBB3766_60
; %bb.59:
	s_waitcnt lgkmcnt(0)
	v_cmp_gt_i64_e32 vcc, v[16:17], v[2:3]
	v_cndmask_b32_e32 v3, v3, v17, vcc
	v_cndmask_b32_e32 v2, v2, v16, vcc
	v_cmp_gt_i64_e32 vcc, v[2:3], v[4:5]
	v_cndmask_b32_e32 v31, v5, v3, vcc
	v_cndmask_b32_e32 v30, v4, v2, vcc
	;; [unrolled: 3-line block ×7, first 2 shown]
	;;#ASMSTART
	;;#ASMEND
.LBB3766_60:
	s_or_b64 exec, exec, s[2:3]
	s_movk_i32 s0, 0x7f
	v_cmp_eq_u32_e32 vcc, s0, v0
	s_and_saveexec_b64 s[0:1], vcc
	s_cbranch_execz .LBB3766_62
; %bb.61:
	s_add_u32 s2, s14, 0x400
	s_addc_u32 s3, s15, 0
	v_mov_b32_e32 v24, 2
	v_mov_b32_e32 v25, 0
	v_pk_mov_b32 v[4:5], s[2:3], s[2:3] op_sel:[0,1]
	;;#ASMSTART
	global_store_dwordx4 v[4:5], v[22:25] off	
s_waitcnt vmcnt(0)
	;;#ASMEND
.LBB3766_62:
	s_or_b64 exec, exec, s[0:1]
	v_pk_mov_b32 v[24:25], v[2:3], v[2:3] op_sel:[0,1]
.LBB3766_63:
	s_mov_b64 s[0:1], -1
	s_and_b64 vcc, exec, s[24:25]
	s_waitcnt lgkmcnt(0)
	s_barrier
	ds_write2_b64 v37, v[24:25], v[30:31] offset1:1
	ds_write2_b64 v37, v[14:15], v[32:33] offset0:2 offset1:3
	ds_write2_b64 v37, v[18:19], v[34:35] offset0:4 offset1:5
	ds_write_b64 v37, v[22:23] offset:48
	s_waitcnt lgkmcnt(0)
	s_cbranch_vccz .LBB3766_65
; %bb.64:
	s_barrier
	s_mov_b64 s[0:1], 0
.LBB3766_65:
	s_andn2_b64 vcc, exec, s[0:1]
	s_cbranch_vccnz .LBB3766_90
; %bb.66:
	v_cmp_lt_u64_e64 s[0:1], s[22:23], 2
	s_and_b64 vcc, exec, s[0:1]
	s_barrier
	s_cbranch_vccnz .LBB3766_90
; %bb.67:
	s_add_u32 s0, s28, -1
	s_addc_u32 s1, s29, -1
	s_add_u32 s2, 0, 0x92481000
	s_addc_u32 s3, 0, 0x64
	s_add_i32 s3, s3, 0x249248c0
	s_mul_hi_u32 s7, s2, -7
	s_sub_i32 s7, s7, s2
	s_mul_i32 s8, s3, -7
	s_mul_i32 s4, s2, -7
	s_add_i32 s7, s7, s8
	s_mul_hi_u32 s5, s3, s4
	s_mul_i32 s6, s3, s4
	s_mul_i32 s9, s2, s7
	s_mul_hi_u32 s4, s2, s4
	s_mul_hi_u32 s8, s2, s7
	s_add_u32 s4, s4, s9
	s_addc_u32 s8, 0, s8
	s_add_u32 s4, s4, s6
	s_mul_hi_u32 s9, s3, s7
	s_addc_u32 s4, s8, s5
	s_addc_u32 s5, s9, 0
	s_mul_i32 s6, s3, s7
	s_add_u32 s4, s4, s6
	v_mov_b32_e32 v2, s4
	s_addc_u32 s5, 0, s5
	v_add_co_u32_e32 v2, vcc, s2, v2
	s_cmp_lg_u64 vcc, 0
	s_addc_u32 s2, s3, s5
	v_readfirstlane_b32 s5, v2
	s_mul_i32 s4, s0, s2
	s_mul_hi_u32 s6, s0, s5
	s_mul_hi_u32 s3, s0, s2
	s_add_u32 s4, s6, s4
	s_addc_u32 s3, 0, s3
	s_mul_hi_u32 s7, s1, s5
	s_mul_i32 s5, s1, s5
	s_add_u32 s4, s4, s5
	s_mul_hi_u32 s6, s1, s2
	s_addc_u32 s3, s3, s7
	s_addc_u32 s4, s6, 0
	s_mul_i32 s2, s1, s2
	s_add_u32 s2, s3, s2
	s_addc_u32 s3, 0, s4
	s_add_u32 s4, s2, 1
	s_addc_u32 s5, s3, 0
	s_add_u32 s6, s2, 2
	s_mul_i32 s8, s3, 7
	s_mul_hi_u32 s9, s2, 7
	s_addc_u32 s7, s3, 0
	s_add_i32 s9, s9, s8
	s_mul_i32 s8, s2, 7
	v_mov_b32_e32 v2, s8
	v_sub_co_u32_e32 v2, vcc, s0, v2
	s_cmp_lg_u64 vcc, 0
	s_subb_u32 s8, s1, s9
	v_subrev_co_u32_e32 v3, vcc, 7, v2
	s_cmp_lg_u64 vcc, 0
	s_subb_u32 s9, s8, 0
	v_readfirstlane_b32 s10, v3
	s_cmp_gt_u32 s10, 6
	s_cselect_b32 s10, -1, 0
	s_cmp_eq_u32 s9, 0
	s_cselect_b32 s9, s10, -1
	s_cmp_lg_u32 s9, 0
	s_cselect_b32 s4, s6, s4
	v_readfirstlane_b32 s6, v2
	s_cselect_b32 s5, s7, s5
	s_cmp_gt_u32 s6, 6
	s_cselect_b32 s6, -1, 0
	s_cmp_eq_u32 s8, 0
	s_cselect_b32 s6, s6, -1
	s_cmp_lg_u32 s6, 0
	v_mov_b32_e32 v1, 0
	s_cselect_b32 s3, s5, s3
	s_cselect_b32 s2, s4, s2
	v_cmp_eq_u64_e32 vcc, s[2:3], v[0:1]
	s_and_saveexec_b64 s[2:3], vcc
	s_cbranch_execz .LBB3766_90
; %bb.68:
	s_movk_i32 s2, 0xffd0
	v_mad_i32_i24 v2, v0, s2, v37
	v_mul_hi_u32_u24_e32 v1, 7, v0
	v_mov_b32_e32 v3, s1
	v_sub_co_u32_e32 v0, vcc, s0, v36
	v_subb_co_u32_e32 v1, vcc, v3, v1, vcc
	v_cmp_lt_i64_e32 vcc, 3, v[0:1]
	s_and_saveexec_b64 s[0:1], vcc
	s_xor_b64 s[0:1], exec, s[0:1]
	s_cbranch_execz .LBB3766_78
; %bb.69:
	v_cmp_lt_i64_e32 vcc, 4, v[0:1]
	s_and_saveexec_b64 s[2:3], vcc
	s_xor_b64 s[2:3], exec, s[2:3]
	s_cbranch_execz .LBB3766_75
; %bb.70:
	;; [unrolled: 5-line block ×3, first 2 shown]
	ds_read_b64 v[0:1], v2 offset:6144
	v_mov_b32_e32 v2, 0
	s_waitcnt lgkmcnt(0)
	global_store_dwordx2 v2, v[0:1], s[18:19]
                                        ; implicit-def: $vgpr2
.LBB3766_72:
	s_andn2_saveexec_b64 s[4:5], s[4:5]
	s_cbranch_execz .LBB3766_74
; %bb.73:
	ds_read_b64 v[0:1], v2 offset:5120
	v_mov_b32_e32 v2, 0
	s_waitcnt lgkmcnt(0)
	global_store_dwordx2 v2, v[0:1], s[18:19]
.LBB3766_74:
	s_or_b64 exec, exec, s[4:5]
                                        ; implicit-def: $vgpr2
.LBB3766_75:
	s_andn2_saveexec_b64 s[2:3], s[2:3]
	s_cbranch_execz .LBB3766_77
; %bb.76:
	ds_read_b64 v[0:1], v2 offset:4096
	v_mov_b32_e32 v2, 0
	s_waitcnt lgkmcnt(0)
	global_store_dwordx2 v2, v[0:1], s[18:19]
.LBB3766_77:
	s_or_b64 exec, exec, s[2:3]
                                        ; implicit-def: $vgpr0_vgpr1
                                        ; implicit-def: $vgpr2
.LBB3766_78:
	s_andn2_saveexec_b64 s[0:1], s[0:1]
	s_cbranch_execz .LBB3766_90
; %bb.79:
	v_cmp_lt_i64_e32 vcc, 1, v[0:1]
	s_and_saveexec_b64 s[0:1], vcc
	s_xor_b64 s[0:1], exec, s[0:1]
	s_cbranch_execz .LBB3766_85
; %bb.80:
	v_cmp_lt_i64_e32 vcc, 2, v[0:1]
	s_and_saveexec_b64 s[2:3], vcc
	s_xor_b64 s[2:3], exec, s[2:3]
	s_cbranch_execz .LBB3766_82
; %bb.81:
	ds_read_b64 v[0:1], v2 offset:3072
	v_mov_b32_e32 v2, 0
	s_waitcnt lgkmcnt(0)
	global_store_dwordx2 v2, v[0:1], s[18:19]
                                        ; implicit-def: $vgpr2
.LBB3766_82:
	s_andn2_saveexec_b64 s[2:3], s[2:3]
	s_cbranch_execz .LBB3766_84
; %bb.83:
	ds_read_b64 v[0:1], v2 offset:2048
	v_mov_b32_e32 v2, 0
	s_waitcnt lgkmcnt(0)
	global_store_dwordx2 v2, v[0:1], s[18:19]
.LBB3766_84:
	s_or_b64 exec, exec, s[2:3]
                                        ; implicit-def: $vgpr2
                                        ; implicit-def: $vgpr0_vgpr1
.LBB3766_85:
	s_andn2_saveexec_b64 s[0:1], s[0:1]
	s_cbranch_execz .LBB3766_90
; %bb.86:
	v_cmp_ne_u64_e32 vcc, 1, v[0:1]
	s_and_saveexec_b64 s[0:1], vcc
	s_xor_b64 s[0:1], exec, s[0:1]
	s_cbranch_execz .LBB3766_88
; %bb.87:
	ds_read_b64 v[0:1], v2
	v_mov_b32_e32 v2, 0
	s_waitcnt lgkmcnt(0)
	global_store_dwordx2 v2, v[0:1], s[18:19]
                                        ; implicit-def: $vgpr2
.LBB3766_88:
	s_andn2_saveexec_b64 s[0:1], s[0:1]
	s_cbranch_execz .LBB3766_90
; %bb.89:
	ds_read_b64 v[0:1], v2 offset:1024
	v_mov_b32_e32 v2, 0
	s_waitcnt lgkmcnt(0)
	global_store_dwordx2 v2, v[0:1], s[18:19]
.LBB3766_90:
	s_endpgm
	.section	.rodata,"a",@progbits
	.p2align	6, 0x0
	.amdhsa_kernel _ZN7rocprim17ROCPRIM_400000_NS6detail17trampoline_kernelINS0_14default_configENS1_20scan_config_selectorIxEEZZNS1_9scan_implILNS1_25lookback_scan_determinismE0ELb0ELb0ES3_N6thrust23THRUST_200600_302600_NS6detail15normal_iteratorINS9_10device_ptrIxEEEENS9_16discard_iteratorINS9_11use_defaultEEEx11max_functorIxExEEDaPvRmT3_T4_T5_mT6_P12ihipStream_tbENKUlT_T0_E_clISt17integral_constantIbLb0EESW_IbLb1EEEEDaSS_ST_EUlSS_E_NS1_11comp_targetILNS1_3genE4ELNS1_11target_archE910ELNS1_3gpuE8ELNS1_3repE0EEENS1_30default_config_static_selectorELNS0_4arch9wavefront6targetE1EEEvT1_
		.amdhsa_group_segment_fixed_size 7168
		.amdhsa_private_segment_fixed_size 0
		.amdhsa_kernarg_size 112
		.amdhsa_user_sgpr_count 6
		.amdhsa_user_sgpr_private_segment_buffer 1
		.amdhsa_user_sgpr_dispatch_ptr 0
		.amdhsa_user_sgpr_queue_ptr 0
		.amdhsa_user_sgpr_kernarg_segment_ptr 1
		.amdhsa_user_sgpr_dispatch_id 0
		.amdhsa_user_sgpr_flat_scratch_init 0
		.amdhsa_user_sgpr_kernarg_preload_length 0
		.amdhsa_user_sgpr_kernarg_preload_offset 0
		.amdhsa_user_sgpr_private_segment_size 0
		.amdhsa_uses_dynamic_stack 0
		.amdhsa_system_sgpr_private_segment_wavefront_offset 0
		.amdhsa_system_sgpr_workgroup_id_x 1
		.amdhsa_system_sgpr_workgroup_id_y 0
		.amdhsa_system_sgpr_workgroup_id_z 0
		.amdhsa_system_sgpr_workgroup_info 0
		.amdhsa_system_vgpr_workitem_id 0
		.amdhsa_next_free_vgpr 57
		.amdhsa_next_free_sgpr 31
		.amdhsa_accum_offset 60
		.amdhsa_reserve_vcc 1
		.amdhsa_reserve_flat_scratch 0
		.amdhsa_float_round_mode_32 0
		.amdhsa_float_round_mode_16_64 0
		.amdhsa_float_denorm_mode_32 3
		.amdhsa_float_denorm_mode_16_64 3
		.amdhsa_dx10_clamp 1
		.amdhsa_ieee_mode 1
		.amdhsa_fp16_overflow 0
		.amdhsa_tg_split 0
		.amdhsa_exception_fp_ieee_invalid_op 0
		.amdhsa_exception_fp_denorm_src 0
		.amdhsa_exception_fp_ieee_div_zero 0
		.amdhsa_exception_fp_ieee_overflow 0
		.amdhsa_exception_fp_ieee_underflow 0
		.amdhsa_exception_fp_ieee_inexact 0
		.amdhsa_exception_int_div_zero 0
	.end_amdhsa_kernel
	.section	.text._ZN7rocprim17ROCPRIM_400000_NS6detail17trampoline_kernelINS0_14default_configENS1_20scan_config_selectorIxEEZZNS1_9scan_implILNS1_25lookback_scan_determinismE0ELb0ELb0ES3_N6thrust23THRUST_200600_302600_NS6detail15normal_iteratorINS9_10device_ptrIxEEEENS9_16discard_iteratorINS9_11use_defaultEEEx11max_functorIxExEEDaPvRmT3_T4_T5_mT6_P12ihipStream_tbENKUlT_T0_E_clISt17integral_constantIbLb0EESW_IbLb1EEEEDaSS_ST_EUlSS_E_NS1_11comp_targetILNS1_3genE4ELNS1_11target_archE910ELNS1_3gpuE8ELNS1_3repE0EEENS1_30default_config_static_selectorELNS0_4arch9wavefront6targetE1EEEvT1_,"axG",@progbits,_ZN7rocprim17ROCPRIM_400000_NS6detail17trampoline_kernelINS0_14default_configENS1_20scan_config_selectorIxEEZZNS1_9scan_implILNS1_25lookback_scan_determinismE0ELb0ELb0ES3_N6thrust23THRUST_200600_302600_NS6detail15normal_iteratorINS9_10device_ptrIxEEEENS9_16discard_iteratorINS9_11use_defaultEEEx11max_functorIxExEEDaPvRmT3_T4_T5_mT6_P12ihipStream_tbENKUlT_T0_E_clISt17integral_constantIbLb0EESW_IbLb1EEEEDaSS_ST_EUlSS_E_NS1_11comp_targetILNS1_3genE4ELNS1_11target_archE910ELNS1_3gpuE8ELNS1_3repE0EEENS1_30default_config_static_selectorELNS0_4arch9wavefront6targetE1EEEvT1_,comdat
.Lfunc_end3766:
	.size	_ZN7rocprim17ROCPRIM_400000_NS6detail17trampoline_kernelINS0_14default_configENS1_20scan_config_selectorIxEEZZNS1_9scan_implILNS1_25lookback_scan_determinismE0ELb0ELb0ES3_N6thrust23THRUST_200600_302600_NS6detail15normal_iteratorINS9_10device_ptrIxEEEENS9_16discard_iteratorINS9_11use_defaultEEEx11max_functorIxExEEDaPvRmT3_T4_T5_mT6_P12ihipStream_tbENKUlT_T0_E_clISt17integral_constantIbLb0EESW_IbLb1EEEEDaSS_ST_EUlSS_E_NS1_11comp_targetILNS1_3genE4ELNS1_11target_archE910ELNS1_3gpuE8ELNS1_3repE0EEENS1_30default_config_static_selectorELNS0_4arch9wavefront6targetE1EEEvT1_, .Lfunc_end3766-_ZN7rocprim17ROCPRIM_400000_NS6detail17trampoline_kernelINS0_14default_configENS1_20scan_config_selectorIxEEZZNS1_9scan_implILNS1_25lookback_scan_determinismE0ELb0ELb0ES3_N6thrust23THRUST_200600_302600_NS6detail15normal_iteratorINS9_10device_ptrIxEEEENS9_16discard_iteratorINS9_11use_defaultEEEx11max_functorIxExEEDaPvRmT3_T4_T5_mT6_P12ihipStream_tbENKUlT_T0_E_clISt17integral_constantIbLb0EESW_IbLb1EEEEDaSS_ST_EUlSS_E_NS1_11comp_targetILNS1_3genE4ELNS1_11target_archE910ELNS1_3gpuE8ELNS1_3repE0EEENS1_30default_config_static_selectorELNS0_4arch9wavefront6targetE1EEEvT1_
                                        ; -- End function
	.section	.AMDGPU.csdata,"",@progbits
; Kernel info:
; codeLenInByte = 5376
; NumSgprs: 35
; NumVgprs: 57
; NumAgprs: 0
; TotalNumVgprs: 57
; ScratchSize: 0
; MemoryBound: 0
; FloatMode: 240
; IeeeMode: 1
; LDSByteSize: 7168 bytes/workgroup (compile time only)
; SGPRBlocks: 4
; VGPRBlocks: 7
; NumSGPRsForWavesPerEU: 35
; NumVGPRsForWavesPerEU: 57
; AccumOffset: 60
; Occupancy: 5
; WaveLimiterHint : 1
; COMPUTE_PGM_RSRC2:SCRATCH_EN: 0
; COMPUTE_PGM_RSRC2:USER_SGPR: 6
; COMPUTE_PGM_RSRC2:TRAP_HANDLER: 0
; COMPUTE_PGM_RSRC2:TGID_X_EN: 1
; COMPUTE_PGM_RSRC2:TGID_Y_EN: 0
; COMPUTE_PGM_RSRC2:TGID_Z_EN: 0
; COMPUTE_PGM_RSRC2:TIDIG_COMP_CNT: 0
; COMPUTE_PGM_RSRC3_GFX90A:ACCUM_OFFSET: 14
; COMPUTE_PGM_RSRC3_GFX90A:TG_SPLIT: 0
	.section	.text._ZN7rocprim17ROCPRIM_400000_NS6detail17trampoline_kernelINS0_14default_configENS1_20scan_config_selectorIxEEZZNS1_9scan_implILNS1_25lookback_scan_determinismE0ELb0ELb0ES3_N6thrust23THRUST_200600_302600_NS6detail15normal_iteratorINS9_10device_ptrIxEEEENS9_16discard_iteratorINS9_11use_defaultEEEx11max_functorIxExEEDaPvRmT3_T4_T5_mT6_P12ihipStream_tbENKUlT_T0_E_clISt17integral_constantIbLb0EESW_IbLb1EEEEDaSS_ST_EUlSS_E_NS1_11comp_targetILNS1_3genE3ELNS1_11target_archE908ELNS1_3gpuE7ELNS1_3repE0EEENS1_30default_config_static_selectorELNS0_4arch9wavefront6targetE1EEEvT1_,"axG",@progbits,_ZN7rocprim17ROCPRIM_400000_NS6detail17trampoline_kernelINS0_14default_configENS1_20scan_config_selectorIxEEZZNS1_9scan_implILNS1_25lookback_scan_determinismE0ELb0ELb0ES3_N6thrust23THRUST_200600_302600_NS6detail15normal_iteratorINS9_10device_ptrIxEEEENS9_16discard_iteratorINS9_11use_defaultEEEx11max_functorIxExEEDaPvRmT3_T4_T5_mT6_P12ihipStream_tbENKUlT_T0_E_clISt17integral_constantIbLb0EESW_IbLb1EEEEDaSS_ST_EUlSS_E_NS1_11comp_targetILNS1_3genE3ELNS1_11target_archE908ELNS1_3gpuE7ELNS1_3repE0EEENS1_30default_config_static_selectorELNS0_4arch9wavefront6targetE1EEEvT1_,comdat
	.protected	_ZN7rocprim17ROCPRIM_400000_NS6detail17trampoline_kernelINS0_14default_configENS1_20scan_config_selectorIxEEZZNS1_9scan_implILNS1_25lookback_scan_determinismE0ELb0ELb0ES3_N6thrust23THRUST_200600_302600_NS6detail15normal_iteratorINS9_10device_ptrIxEEEENS9_16discard_iteratorINS9_11use_defaultEEEx11max_functorIxExEEDaPvRmT3_T4_T5_mT6_P12ihipStream_tbENKUlT_T0_E_clISt17integral_constantIbLb0EESW_IbLb1EEEEDaSS_ST_EUlSS_E_NS1_11comp_targetILNS1_3genE3ELNS1_11target_archE908ELNS1_3gpuE7ELNS1_3repE0EEENS1_30default_config_static_selectorELNS0_4arch9wavefront6targetE1EEEvT1_ ; -- Begin function _ZN7rocprim17ROCPRIM_400000_NS6detail17trampoline_kernelINS0_14default_configENS1_20scan_config_selectorIxEEZZNS1_9scan_implILNS1_25lookback_scan_determinismE0ELb0ELb0ES3_N6thrust23THRUST_200600_302600_NS6detail15normal_iteratorINS9_10device_ptrIxEEEENS9_16discard_iteratorINS9_11use_defaultEEEx11max_functorIxExEEDaPvRmT3_T4_T5_mT6_P12ihipStream_tbENKUlT_T0_E_clISt17integral_constantIbLb0EESW_IbLb1EEEEDaSS_ST_EUlSS_E_NS1_11comp_targetILNS1_3genE3ELNS1_11target_archE908ELNS1_3gpuE7ELNS1_3repE0EEENS1_30default_config_static_selectorELNS0_4arch9wavefront6targetE1EEEvT1_
	.globl	_ZN7rocprim17ROCPRIM_400000_NS6detail17trampoline_kernelINS0_14default_configENS1_20scan_config_selectorIxEEZZNS1_9scan_implILNS1_25lookback_scan_determinismE0ELb0ELb0ES3_N6thrust23THRUST_200600_302600_NS6detail15normal_iteratorINS9_10device_ptrIxEEEENS9_16discard_iteratorINS9_11use_defaultEEEx11max_functorIxExEEDaPvRmT3_T4_T5_mT6_P12ihipStream_tbENKUlT_T0_E_clISt17integral_constantIbLb0EESW_IbLb1EEEEDaSS_ST_EUlSS_E_NS1_11comp_targetILNS1_3genE3ELNS1_11target_archE908ELNS1_3gpuE7ELNS1_3repE0EEENS1_30default_config_static_selectorELNS0_4arch9wavefront6targetE1EEEvT1_
	.p2align	8
	.type	_ZN7rocprim17ROCPRIM_400000_NS6detail17trampoline_kernelINS0_14default_configENS1_20scan_config_selectorIxEEZZNS1_9scan_implILNS1_25lookback_scan_determinismE0ELb0ELb0ES3_N6thrust23THRUST_200600_302600_NS6detail15normal_iteratorINS9_10device_ptrIxEEEENS9_16discard_iteratorINS9_11use_defaultEEEx11max_functorIxExEEDaPvRmT3_T4_T5_mT6_P12ihipStream_tbENKUlT_T0_E_clISt17integral_constantIbLb0EESW_IbLb1EEEEDaSS_ST_EUlSS_E_NS1_11comp_targetILNS1_3genE3ELNS1_11target_archE908ELNS1_3gpuE7ELNS1_3repE0EEENS1_30default_config_static_selectorELNS0_4arch9wavefront6targetE1EEEvT1_,@function
_ZN7rocprim17ROCPRIM_400000_NS6detail17trampoline_kernelINS0_14default_configENS1_20scan_config_selectorIxEEZZNS1_9scan_implILNS1_25lookback_scan_determinismE0ELb0ELb0ES3_N6thrust23THRUST_200600_302600_NS6detail15normal_iteratorINS9_10device_ptrIxEEEENS9_16discard_iteratorINS9_11use_defaultEEEx11max_functorIxExEEDaPvRmT3_T4_T5_mT6_P12ihipStream_tbENKUlT_T0_E_clISt17integral_constantIbLb0EESW_IbLb1EEEEDaSS_ST_EUlSS_E_NS1_11comp_targetILNS1_3genE3ELNS1_11target_archE908ELNS1_3gpuE7ELNS1_3repE0EEENS1_30default_config_static_selectorELNS0_4arch9wavefront6targetE1EEEvT1_: ; @_ZN7rocprim17ROCPRIM_400000_NS6detail17trampoline_kernelINS0_14default_configENS1_20scan_config_selectorIxEEZZNS1_9scan_implILNS1_25lookback_scan_determinismE0ELb0ELb0ES3_N6thrust23THRUST_200600_302600_NS6detail15normal_iteratorINS9_10device_ptrIxEEEENS9_16discard_iteratorINS9_11use_defaultEEEx11max_functorIxExEEDaPvRmT3_T4_T5_mT6_P12ihipStream_tbENKUlT_T0_E_clISt17integral_constantIbLb0EESW_IbLb1EEEEDaSS_ST_EUlSS_E_NS1_11comp_targetILNS1_3genE3ELNS1_11target_archE908ELNS1_3gpuE7ELNS1_3repE0EEENS1_30default_config_static_selectorELNS0_4arch9wavefront6targetE1EEEvT1_
; %bb.0:
	.section	.rodata,"a",@progbits
	.p2align	6, 0x0
	.amdhsa_kernel _ZN7rocprim17ROCPRIM_400000_NS6detail17trampoline_kernelINS0_14default_configENS1_20scan_config_selectorIxEEZZNS1_9scan_implILNS1_25lookback_scan_determinismE0ELb0ELb0ES3_N6thrust23THRUST_200600_302600_NS6detail15normal_iteratorINS9_10device_ptrIxEEEENS9_16discard_iteratorINS9_11use_defaultEEEx11max_functorIxExEEDaPvRmT3_T4_T5_mT6_P12ihipStream_tbENKUlT_T0_E_clISt17integral_constantIbLb0EESW_IbLb1EEEEDaSS_ST_EUlSS_E_NS1_11comp_targetILNS1_3genE3ELNS1_11target_archE908ELNS1_3gpuE7ELNS1_3repE0EEENS1_30default_config_static_selectorELNS0_4arch9wavefront6targetE1EEEvT1_
		.amdhsa_group_segment_fixed_size 0
		.amdhsa_private_segment_fixed_size 0
		.amdhsa_kernarg_size 112
		.amdhsa_user_sgpr_count 6
		.amdhsa_user_sgpr_private_segment_buffer 1
		.amdhsa_user_sgpr_dispatch_ptr 0
		.amdhsa_user_sgpr_queue_ptr 0
		.amdhsa_user_sgpr_kernarg_segment_ptr 1
		.amdhsa_user_sgpr_dispatch_id 0
		.amdhsa_user_sgpr_flat_scratch_init 0
		.amdhsa_user_sgpr_kernarg_preload_length 0
		.amdhsa_user_sgpr_kernarg_preload_offset 0
		.amdhsa_user_sgpr_private_segment_size 0
		.amdhsa_uses_dynamic_stack 0
		.amdhsa_system_sgpr_private_segment_wavefront_offset 0
		.amdhsa_system_sgpr_workgroup_id_x 1
		.amdhsa_system_sgpr_workgroup_id_y 0
		.amdhsa_system_sgpr_workgroup_id_z 0
		.amdhsa_system_sgpr_workgroup_info 0
		.amdhsa_system_vgpr_workitem_id 0
		.amdhsa_next_free_vgpr 1
		.amdhsa_next_free_sgpr 0
		.amdhsa_accum_offset 4
		.amdhsa_reserve_vcc 0
		.amdhsa_reserve_flat_scratch 0
		.amdhsa_float_round_mode_32 0
		.amdhsa_float_round_mode_16_64 0
		.amdhsa_float_denorm_mode_32 3
		.amdhsa_float_denorm_mode_16_64 3
		.amdhsa_dx10_clamp 1
		.amdhsa_ieee_mode 1
		.amdhsa_fp16_overflow 0
		.amdhsa_tg_split 0
		.amdhsa_exception_fp_ieee_invalid_op 0
		.amdhsa_exception_fp_denorm_src 0
		.amdhsa_exception_fp_ieee_div_zero 0
		.amdhsa_exception_fp_ieee_overflow 0
		.amdhsa_exception_fp_ieee_underflow 0
		.amdhsa_exception_fp_ieee_inexact 0
		.amdhsa_exception_int_div_zero 0
	.end_amdhsa_kernel
	.section	.text._ZN7rocprim17ROCPRIM_400000_NS6detail17trampoline_kernelINS0_14default_configENS1_20scan_config_selectorIxEEZZNS1_9scan_implILNS1_25lookback_scan_determinismE0ELb0ELb0ES3_N6thrust23THRUST_200600_302600_NS6detail15normal_iteratorINS9_10device_ptrIxEEEENS9_16discard_iteratorINS9_11use_defaultEEEx11max_functorIxExEEDaPvRmT3_T4_T5_mT6_P12ihipStream_tbENKUlT_T0_E_clISt17integral_constantIbLb0EESW_IbLb1EEEEDaSS_ST_EUlSS_E_NS1_11comp_targetILNS1_3genE3ELNS1_11target_archE908ELNS1_3gpuE7ELNS1_3repE0EEENS1_30default_config_static_selectorELNS0_4arch9wavefront6targetE1EEEvT1_,"axG",@progbits,_ZN7rocprim17ROCPRIM_400000_NS6detail17trampoline_kernelINS0_14default_configENS1_20scan_config_selectorIxEEZZNS1_9scan_implILNS1_25lookback_scan_determinismE0ELb0ELb0ES3_N6thrust23THRUST_200600_302600_NS6detail15normal_iteratorINS9_10device_ptrIxEEEENS9_16discard_iteratorINS9_11use_defaultEEEx11max_functorIxExEEDaPvRmT3_T4_T5_mT6_P12ihipStream_tbENKUlT_T0_E_clISt17integral_constantIbLb0EESW_IbLb1EEEEDaSS_ST_EUlSS_E_NS1_11comp_targetILNS1_3genE3ELNS1_11target_archE908ELNS1_3gpuE7ELNS1_3repE0EEENS1_30default_config_static_selectorELNS0_4arch9wavefront6targetE1EEEvT1_,comdat
.Lfunc_end3767:
	.size	_ZN7rocprim17ROCPRIM_400000_NS6detail17trampoline_kernelINS0_14default_configENS1_20scan_config_selectorIxEEZZNS1_9scan_implILNS1_25lookback_scan_determinismE0ELb0ELb0ES3_N6thrust23THRUST_200600_302600_NS6detail15normal_iteratorINS9_10device_ptrIxEEEENS9_16discard_iteratorINS9_11use_defaultEEEx11max_functorIxExEEDaPvRmT3_T4_T5_mT6_P12ihipStream_tbENKUlT_T0_E_clISt17integral_constantIbLb0EESW_IbLb1EEEEDaSS_ST_EUlSS_E_NS1_11comp_targetILNS1_3genE3ELNS1_11target_archE908ELNS1_3gpuE7ELNS1_3repE0EEENS1_30default_config_static_selectorELNS0_4arch9wavefront6targetE1EEEvT1_, .Lfunc_end3767-_ZN7rocprim17ROCPRIM_400000_NS6detail17trampoline_kernelINS0_14default_configENS1_20scan_config_selectorIxEEZZNS1_9scan_implILNS1_25lookback_scan_determinismE0ELb0ELb0ES3_N6thrust23THRUST_200600_302600_NS6detail15normal_iteratorINS9_10device_ptrIxEEEENS9_16discard_iteratorINS9_11use_defaultEEEx11max_functorIxExEEDaPvRmT3_T4_T5_mT6_P12ihipStream_tbENKUlT_T0_E_clISt17integral_constantIbLb0EESW_IbLb1EEEEDaSS_ST_EUlSS_E_NS1_11comp_targetILNS1_3genE3ELNS1_11target_archE908ELNS1_3gpuE7ELNS1_3repE0EEENS1_30default_config_static_selectorELNS0_4arch9wavefront6targetE1EEEvT1_
                                        ; -- End function
	.section	.AMDGPU.csdata,"",@progbits
; Kernel info:
; codeLenInByte = 0
; NumSgprs: 4
; NumVgprs: 0
; NumAgprs: 0
; TotalNumVgprs: 0
; ScratchSize: 0
; MemoryBound: 0
; FloatMode: 240
; IeeeMode: 1
; LDSByteSize: 0 bytes/workgroup (compile time only)
; SGPRBlocks: 0
; VGPRBlocks: 0
; NumSGPRsForWavesPerEU: 4
; NumVGPRsForWavesPerEU: 1
; AccumOffset: 4
; Occupancy: 8
; WaveLimiterHint : 0
; COMPUTE_PGM_RSRC2:SCRATCH_EN: 0
; COMPUTE_PGM_RSRC2:USER_SGPR: 6
; COMPUTE_PGM_RSRC2:TRAP_HANDLER: 0
; COMPUTE_PGM_RSRC2:TGID_X_EN: 1
; COMPUTE_PGM_RSRC2:TGID_Y_EN: 0
; COMPUTE_PGM_RSRC2:TGID_Z_EN: 0
; COMPUTE_PGM_RSRC2:TIDIG_COMP_CNT: 0
; COMPUTE_PGM_RSRC3_GFX90A:ACCUM_OFFSET: 0
; COMPUTE_PGM_RSRC3_GFX90A:TG_SPLIT: 0
	.section	.text._ZN7rocprim17ROCPRIM_400000_NS6detail17trampoline_kernelINS0_14default_configENS1_20scan_config_selectorIxEEZZNS1_9scan_implILNS1_25lookback_scan_determinismE0ELb0ELb0ES3_N6thrust23THRUST_200600_302600_NS6detail15normal_iteratorINS9_10device_ptrIxEEEENS9_16discard_iteratorINS9_11use_defaultEEEx11max_functorIxExEEDaPvRmT3_T4_T5_mT6_P12ihipStream_tbENKUlT_T0_E_clISt17integral_constantIbLb0EESW_IbLb1EEEEDaSS_ST_EUlSS_E_NS1_11comp_targetILNS1_3genE2ELNS1_11target_archE906ELNS1_3gpuE6ELNS1_3repE0EEENS1_30default_config_static_selectorELNS0_4arch9wavefront6targetE1EEEvT1_,"axG",@progbits,_ZN7rocprim17ROCPRIM_400000_NS6detail17trampoline_kernelINS0_14default_configENS1_20scan_config_selectorIxEEZZNS1_9scan_implILNS1_25lookback_scan_determinismE0ELb0ELb0ES3_N6thrust23THRUST_200600_302600_NS6detail15normal_iteratorINS9_10device_ptrIxEEEENS9_16discard_iteratorINS9_11use_defaultEEEx11max_functorIxExEEDaPvRmT3_T4_T5_mT6_P12ihipStream_tbENKUlT_T0_E_clISt17integral_constantIbLb0EESW_IbLb1EEEEDaSS_ST_EUlSS_E_NS1_11comp_targetILNS1_3genE2ELNS1_11target_archE906ELNS1_3gpuE6ELNS1_3repE0EEENS1_30default_config_static_selectorELNS0_4arch9wavefront6targetE1EEEvT1_,comdat
	.protected	_ZN7rocprim17ROCPRIM_400000_NS6detail17trampoline_kernelINS0_14default_configENS1_20scan_config_selectorIxEEZZNS1_9scan_implILNS1_25lookback_scan_determinismE0ELb0ELb0ES3_N6thrust23THRUST_200600_302600_NS6detail15normal_iteratorINS9_10device_ptrIxEEEENS9_16discard_iteratorINS9_11use_defaultEEEx11max_functorIxExEEDaPvRmT3_T4_T5_mT6_P12ihipStream_tbENKUlT_T0_E_clISt17integral_constantIbLb0EESW_IbLb1EEEEDaSS_ST_EUlSS_E_NS1_11comp_targetILNS1_3genE2ELNS1_11target_archE906ELNS1_3gpuE6ELNS1_3repE0EEENS1_30default_config_static_selectorELNS0_4arch9wavefront6targetE1EEEvT1_ ; -- Begin function _ZN7rocprim17ROCPRIM_400000_NS6detail17trampoline_kernelINS0_14default_configENS1_20scan_config_selectorIxEEZZNS1_9scan_implILNS1_25lookback_scan_determinismE0ELb0ELb0ES3_N6thrust23THRUST_200600_302600_NS6detail15normal_iteratorINS9_10device_ptrIxEEEENS9_16discard_iteratorINS9_11use_defaultEEEx11max_functorIxExEEDaPvRmT3_T4_T5_mT6_P12ihipStream_tbENKUlT_T0_E_clISt17integral_constantIbLb0EESW_IbLb1EEEEDaSS_ST_EUlSS_E_NS1_11comp_targetILNS1_3genE2ELNS1_11target_archE906ELNS1_3gpuE6ELNS1_3repE0EEENS1_30default_config_static_selectorELNS0_4arch9wavefront6targetE1EEEvT1_
	.globl	_ZN7rocprim17ROCPRIM_400000_NS6detail17trampoline_kernelINS0_14default_configENS1_20scan_config_selectorIxEEZZNS1_9scan_implILNS1_25lookback_scan_determinismE0ELb0ELb0ES3_N6thrust23THRUST_200600_302600_NS6detail15normal_iteratorINS9_10device_ptrIxEEEENS9_16discard_iteratorINS9_11use_defaultEEEx11max_functorIxExEEDaPvRmT3_T4_T5_mT6_P12ihipStream_tbENKUlT_T0_E_clISt17integral_constantIbLb0EESW_IbLb1EEEEDaSS_ST_EUlSS_E_NS1_11comp_targetILNS1_3genE2ELNS1_11target_archE906ELNS1_3gpuE6ELNS1_3repE0EEENS1_30default_config_static_selectorELNS0_4arch9wavefront6targetE1EEEvT1_
	.p2align	8
	.type	_ZN7rocprim17ROCPRIM_400000_NS6detail17trampoline_kernelINS0_14default_configENS1_20scan_config_selectorIxEEZZNS1_9scan_implILNS1_25lookback_scan_determinismE0ELb0ELb0ES3_N6thrust23THRUST_200600_302600_NS6detail15normal_iteratorINS9_10device_ptrIxEEEENS9_16discard_iteratorINS9_11use_defaultEEEx11max_functorIxExEEDaPvRmT3_T4_T5_mT6_P12ihipStream_tbENKUlT_T0_E_clISt17integral_constantIbLb0EESW_IbLb1EEEEDaSS_ST_EUlSS_E_NS1_11comp_targetILNS1_3genE2ELNS1_11target_archE906ELNS1_3gpuE6ELNS1_3repE0EEENS1_30default_config_static_selectorELNS0_4arch9wavefront6targetE1EEEvT1_,@function
_ZN7rocprim17ROCPRIM_400000_NS6detail17trampoline_kernelINS0_14default_configENS1_20scan_config_selectorIxEEZZNS1_9scan_implILNS1_25lookback_scan_determinismE0ELb0ELb0ES3_N6thrust23THRUST_200600_302600_NS6detail15normal_iteratorINS9_10device_ptrIxEEEENS9_16discard_iteratorINS9_11use_defaultEEEx11max_functorIxExEEDaPvRmT3_T4_T5_mT6_P12ihipStream_tbENKUlT_T0_E_clISt17integral_constantIbLb0EESW_IbLb1EEEEDaSS_ST_EUlSS_E_NS1_11comp_targetILNS1_3genE2ELNS1_11target_archE906ELNS1_3gpuE6ELNS1_3repE0EEENS1_30default_config_static_selectorELNS0_4arch9wavefront6targetE1EEEvT1_: ; @_ZN7rocprim17ROCPRIM_400000_NS6detail17trampoline_kernelINS0_14default_configENS1_20scan_config_selectorIxEEZZNS1_9scan_implILNS1_25lookback_scan_determinismE0ELb0ELb0ES3_N6thrust23THRUST_200600_302600_NS6detail15normal_iteratorINS9_10device_ptrIxEEEENS9_16discard_iteratorINS9_11use_defaultEEEx11max_functorIxExEEDaPvRmT3_T4_T5_mT6_P12ihipStream_tbENKUlT_T0_E_clISt17integral_constantIbLb0EESW_IbLb1EEEEDaSS_ST_EUlSS_E_NS1_11comp_targetILNS1_3genE2ELNS1_11target_archE906ELNS1_3gpuE6ELNS1_3repE0EEENS1_30default_config_static_selectorELNS0_4arch9wavefront6targetE1EEEvT1_
; %bb.0:
	.section	.rodata,"a",@progbits
	.p2align	6, 0x0
	.amdhsa_kernel _ZN7rocprim17ROCPRIM_400000_NS6detail17trampoline_kernelINS0_14default_configENS1_20scan_config_selectorIxEEZZNS1_9scan_implILNS1_25lookback_scan_determinismE0ELb0ELb0ES3_N6thrust23THRUST_200600_302600_NS6detail15normal_iteratorINS9_10device_ptrIxEEEENS9_16discard_iteratorINS9_11use_defaultEEEx11max_functorIxExEEDaPvRmT3_T4_T5_mT6_P12ihipStream_tbENKUlT_T0_E_clISt17integral_constantIbLb0EESW_IbLb1EEEEDaSS_ST_EUlSS_E_NS1_11comp_targetILNS1_3genE2ELNS1_11target_archE906ELNS1_3gpuE6ELNS1_3repE0EEENS1_30default_config_static_selectorELNS0_4arch9wavefront6targetE1EEEvT1_
		.amdhsa_group_segment_fixed_size 0
		.amdhsa_private_segment_fixed_size 0
		.amdhsa_kernarg_size 112
		.amdhsa_user_sgpr_count 6
		.amdhsa_user_sgpr_private_segment_buffer 1
		.amdhsa_user_sgpr_dispatch_ptr 0
		.amdhsa_user_sgpr_queue_ptr 0
		.amdhsa_user_sgpr_kernarg_segment_ptr 1
		.amdhsa_user_sgpr_dispatch_id 0
		.amdhsa_user_sgpr_flat_scratch_init 0
		.amdhsa_user_sgpr_kernarg_preload_length 0
		.amdhsa_user_sgpr_kernarg_preload_offset 0
		.amdhsa_user_sgpr_private_segment_size 0
		.amdhsa_uses_dynamic_stack 0
		.amdhsa_system_sgpr_private_segment_wavefront_offset 0
		.amdhsa_system_sgpr_workgroup_id_x 1
		.amdhsa_system_sgpr_workgroup_id_y 0
		.amdhsa_system_sgpr_workgroup_id_z 0
		.amdhsa_system_sgpr_workgroup_info 0
		.amdhsa_system_vgpr_workitem_id 0
		.amdhsa_next_free_vgpr 1
		.amdhsa_next_free_sgpr 0
		.amdhsa_accum_offset 4
		.amdhsa_reserve_vcc 0
		.amdhsa_reserve_flat_scratch 0
		.amdhsa_float_round_mode_32 0
		.amdhsa_float_round_mode_16_64 0
		.amdhsa_float_denorm_mode_32 3
		.amdhsa_float_denorm_mode_16_64 3
		.amdhsa_dx10_clamp 1
		.amdhsa_ieee_mode 1
		.amdhsa_fp16_overflow 0
		.amdhsa_tg_split 0
		.amdhsa_exception_fp_ieee_invalid_op 0
		.amdhsa_exception_fp_denorm_src 0
		.amdhsa_exception_fp_ieee_div_zero 0
		.amdhsa_exception_fp_ieee_overflow 0
		.amdhsa_exception_fp_ieee_underflow 0
		.amdhsa_exception_fp_ieee_inexact 0
		.amdhsa_exception_int_div_zero 0
	.end_amdhsa_kernel
	.section	.text._ZN7rocprim17ROCPRIM_400000_NS6detail17trampoline_kernelINS0_14default_configENS1_20scan_config_selectorIxEEZZNS1_9scan_implILNS1_25lookback_scan_determinismE0ELb0ELb0ES3_N6thrust23THRUST_200600_302600_NS6detail15normal_iteratorINS9_10device_ptrIxEEEENS9_16discard_iteratorINS9_11use_defaultEEEx11max_functorIxExEEDaPvRmT3_T4_T5_mT6_P12ihipStream_tbENKUlT_T0_E_clISt17integral_constantIbLb0EESW_IbLb1EEEEDaSS_ST_EUlSS_E_NS1_11comp_targetILNS1_3genE2ELNS1_11target_archE906ELNS1_3gpuE6ELNS1_3repE0EEENS1_30default_config_static_selectorELNS0_4arch9wavefront6targetE1EEEvT1_,"axG",@progbits,_ZN7rocprim17ROCPRIM_400000_NS6detail17trampoline_kernelINS0_14default_configENS1_20scan_config_selectorIxEEZZNS1_9scan_implILNS1_25lookback_scan_determinismE0ELb0ELb0ES3_N6thrust23THRUST_200600_302600_NS6detail15normal_iteratorINS9_10device_ptrIxEEEENS9_16discard_iteratorINS9_11use_defaultEEEx11max_functorIxExEEDaPvRmT3_T4_T5_mT6_P12ihipStream_tbENKUlT_T0_E_clISt17integral_constantIbLb0EESW_IbLb1EEEEDaSS_ST_EUlSS_E_NS1_11comp_targetILNS1_3genE2ELNS1_11target_archE906ELNS1_3gpuE6ELNS1_3repE0EEENS1_30default_config_static_selectorELNS0_4arch9wavefront6targetE1EEEvT1_,comdat
.Lfunc_end3768:
	.size	_ZN7rocprim17ROCPRIM_400000_NS6detail17trampoline_kernelINS0_14default_configENS1_20scan_config_selectorIxEEZZNS1_9scan_implILNS1_25lookback_scan_determinismE0ELb0ELb0ES3_N6thrust23THRUST_200600_302600_NS6detail15normal_iteratorINS9_10device_ptrIxEEEENS9_16discard_iteratorINS9_11use_defaultEEEx11max_functorIxExEEDaPvRmT3_T4_T5_mT6_P12ihipStream_tbENKUlT_T0_E_clISt17integral_constantIbLb0EESW_IbLb1EEEEDaSS_ST_EUlSS_E_NS1_11comp_targetILNS1_3genE2ELNS1_11target_archE906ELNS1_3gpuE6ELNS1_3repE0EEENS1_30default_config_static_selectorELNS0_4arch9wavefront6targetE1EEEvT1_, .Lfunc_end3768-_ZN7rocprim17ROCPRIM_400000_NS6detail17trampoline_kernelINS0_14default_configENS1_20scan_config_selectorIxEEZZNS1_9scan_implILNS1_25lookback_scan_determinismE0ELb0ELb0ES3_N6thrust23THRUST_200600_302600_NS6detail15normal_iteratorINS9_10device_ptrIxEEEENS9_16discard_iteratorINS9_11use_defaultEEEx11max_functorIxExEEDaPvRmT3_T4_T5_mT6_P12ihipStream_tbENKUlT_T0_E_clISt17integral_constantIbLb0EESW_IbLb1EEEEDaSS_ST_EUlSS_E_NS1_11comp_targetILNS1_3genE2ELNS1_11target_archE906ELNS1_3gpuE6ELNS1_3repE0EEENS1_30default_config_static_selectorELNS0_4arch9wavefront6targetE1EEEvT1_
                                        ; -- End function
	.section	.AMDGPU.csdata,"",@progbits
; Kernel info:
; codeLenInByte = 0
; NumSgprs: 4
; NumVgprs: 0
; NumAgprs: 0
; TotalNumVgprs: 0
; ScratchSize: 0
; MemoryBound: 0
; FloatMode: 240
; IeeeMode: 1
; LDSByteSize: 0 bytes/workgroup (compile time only)
; SGPRBlocks: 0
; VGPRBlocks: 0
; NumSGPRsForWavesPerEU: 4
; NumVGPRsForWavesPerEU: 1
; AccumOffset: 4
; Occupancy: 8
; WaveLimiterHint : 0
; COMPUTE_PGM_RSRC2:SCRATCH_EN: 0
; COMPUTE_PGM_RSRC2:USER_SGPR: 6
; COMPUTE_PGM_RSRC2:TRAP_HANDLER: 0
; COMPUTE_PGM_RSRC2:TGID_X_EN: 1
; COMPUTE_PGM_RSRC2:TGID_Y_EN: 0
; COMPUTE_PGM_RSRC2:TGID_Z_EN: 0
; COMPUTE_PGM_RSRC2:TIDIG_COMP_CNT: 0
; COMPUTE_PGM_RSRC3_GFX90A:ACCUM_OFFSET: 0
; COMPUTE_PGM_RSRC3_GFX90A:TG_SPLIT: 0
	.section	.text._ZN7rocprim17ROCPRIM_400000_NS6detail17trampoline_kernelINS0_14default_configENS1_20scan_config_selectorIxEEZZNS1_9scan_implILNS1_25lookback_scan_determinismE0ELb0ELb0ES3_N6thrust23THRUST_200600_302600_NS6detail15normal_iteratorINS9_10device_ptrIxEEEENS9_16discard_iteratorINS9_11use_defaultEEEx11max_functorIxExEEDaPvRmT3_T4_T5_mT6_P12ihipStream_tbENKUlT_T0_E_clISt17integral_constantIbLb0EESW_IbLb1EEEEDaSS_ST_EUlSS_E_NS1_11comp_targetILNS1_3genE10ELNS1_11target_archE1201ELNS1_3gpuE5ELNS1_3repE0EEENS1_30default_config_static_selectorELNS0_4arch9wavefront6targetE1EEEvT1_,"axG",@progbits,_ZN7rocprim17ROCPRIM_400000_NS6detail17trampoline_kernelINS0_14default_configENS1_20scan_config_selectorIxEEZZNS1_9scan_implILNS1_25lookback_scan_determinismE0ELb0ELb0ES3_N6thrust23THRUST_200600_302600_NS6detail15normal_iteratorINS9_10device_ptrIxEEEENS9_16discard_iteratorINS9_11use_defaultEEEx11max_functorIxExEEDaPvRmT3_T4_T5_mT6_P12ihipStream_tbENKUlT_T0_E_clISt17integral_constantIbLb0EESW_IbLb1EEEEDaSS_ST_EUlSS_E_NS1_11comp_targetILNS1_3genE10ELNS1_11target_archE1201ELNS1_3gpuE5ELNS1_3repE0EEENS1_30default_config_static_selectorELNS0_4arch9wavefront6targetE1EEEvT1_,comdat
	.protected	_ZN7rocprim17ROCPRIM_400000_NS6detail17trampoline_kernelINS0_14default_configENS1_20scan_config_selectorIxEEZZNS1_9scan_implILNS1_25lookback_scan_determinismE0ELb0ELb0ES3_N6thrust23THRUST_200600_302600_NS6detail15normal_iteratorINS9_10device_ptrIxEEEENS9_16discard_iteratorINS9_11use_defaultEEEx11max_functorIxExEEDaPvRmT3_T4_T5_mT6_P12ihipStream_tbENKUlT_T0_E_clISt17integral_constantIbLb0EESW_IbLb1EEEEDaSS_ST_EUlSS_E_NS1_11comp_targetILNS1_3genE10ELNS1_11target_archE1201ELNS1_3gpuE5ELNS1_3repE0EEENS1_30default_config_static_selectorELNS0_4arch9wavefront6targetE1EEEvT1_ ; -- Begin function _ZN7rocprim17ROCPRIM_400000_NS6detail17trampoline_kernelINS0_14default_configENS1_20scan_config_selectorIxEEZZNS1_9scan_implILNS1_25lookback_scan_determinismE0ELb0ELb0ES3_N6thrust23THRUST_200600_302600_NS6detail15normal_iteratorINS9_10device_ptrIxEEEENS9_16discard_iteratorINS9_11use_defaultEEEx11max_functorIxExEEDaPvRmT3_T4_T5_mT6_P12ihipStream_tbENKUlT_T0_E_clISt17integral_constantIbLb0EESW_IbLb1EEEEDaSS_ST_EUlSS_E_NS1_11comp_targetILNS1_3genE10ELNS1_11target_archE1201ELNS1_3gpuE5ELNS1_3repE0EEENS1_30default_config_static_selectorELNS0_4arch9wavefront6targetE1EEEvT1_
	.globl	_ZN7rocprim17ROCPRIM_400000_NS6detail17trampoline_kernelINS0_14default_configENS1_20scan_config_selectorIxEEZZNS1_9scan_implILNS1_25lookback_scan_determinismE0ELb0ELb0ES3_N6thrust23THRUST_200600_302600_NS6detail15normal_iteratorINS9_10device_ptrIxEEEENS9_16discard_iteratorINS9_11use_defaultEEEx11max_functorIxExEEDaPvRmT3_T4_T5_mT6_P12ihipStream_tbENKUlT_T0_E_clISt17integral_constantIbLb0EESW_IbLb1EEEEDaSS_ST_EUlSS_E_NS1_11comp_targetILNS1_3genE10ELNS1_11target_archE1201ELNS1_3gpuE5ELNS1_3repE0EEENS1_30default_config_static_selectorELNS0_4arch9wavefront6targetE1EEEvT1_
	.p2align	8
	.type	_ZN7rocprim17ROCPRIM_400000_NS6detail17trampoline_kernelINS0_14default_configENS1_20scan_config_selectorIxEEZZNS1_9scan_implILNS1_25lookback_scan_determinismE0ELb0ELb0ES3_N6thrust23THRUST_200600_302600_NS6detail15normal_iteratorINS9_10device_ptrIxEEEENS9_16discard_iteratorINS9_11use_defaultEEEx11max_functorIxExEEDaPvRmT3_T4_T5_mT6_P12ihipStream_tbENKUlT_T0_E_clISt17integral_constantIbLb0EESW_IbLb1EEEEDaSS_ST_EUlSS_E_NS1_11comp_targetILNS1_3genE10ELNS1_11target_archE1201ELNS1_3gpuE5ELNS1_3repE0EEENS1_30default_config_static_selectorELNS0_4arch9wavefront6targetE1EEEvT1_,@function
_ZN7rocprim17ROCPRIM_400000_NS6detail17trampoline_kernelINS0_14default_configENS1_20scan_config_selectorIxEEZZNS1_9scan_implILNS1_25lookback_scan_determinismE0ELb0ELb0ES3_N6thrust23THRUST_200600_302600_NS6detail15normal_iteratorINS9_10device_ptrIxEEEENS9_16discard_iteratorINS9_11use_defaultEEEx11max_functorIxExEEDaPvRmT3_T4_T5_mT6_P12ihipStream_tbENKUlT_T0_E_clISt17integral_constantIbLb0EESW_IbLb1EEEEDaSS_ST_EUlSS_E_NS1_11comp_targetILNS1_3genE10ELNS1_11target_archE1201ELNS1_3gpuE5ELNS1_3repE0EEENS1_30default_config_static_selectorELNS0_4arch9wavefront6targetE1EEEvT1_: ; @_ZN7rocprim17ROCPRIM_400000_NS6detail17trampoline_kernelINS0_14default_configENS1_20scan_config_selectorIxEEZZNS1_9scan_implILNS1_25lookback_scan_determinismE0ELb0ELb0ES3_N6thrust23THRUST_200600_302600_NS6detail15normal_iteratorINS9_10device_ptrIxEEEENS9_16discard_iteratorINS9_11use_defaultEEEx11max_functorIxExEEDaPvRmT3_T4_T5_mT6_P12ihipStream_tbENKUlT_T0_E_clISt17integral_constantIbLb0EESW_IbLb1EEEEDaSS_ST_EUlSS_E_NS1_11comp_targetILNS1_3genE10ELNS1_11target_archE1201ELNS1_3gpuE5ELNS1_3repE0EEENS1_30default_config_static_selectorELNS0_4arch9wavefront6targetE1EEEvT1_
; %bb.0:
	.section	.rodata,"a",@progbits
	.p2align	6, 0x0
	.amdhsa_kernel _ZN7rocprim17ROCPRIM_400000_NS6detail17trampoline_kernelINS0_14default_configENS1_20scan_config_selectorIxEEZZNS1_9scan_implILNS1_25lookback_scan_determinismE0ELb0ELb0ES3_N6thrust23THRUST_200600_302600_NS6detail15normal_iteratorINS9_10device_ptrIxEEEENS9_16discard_iteratorINS9_11use_defaultEEEx11max_functorIxExEEDaPvRmT3_T4_T5_mT6_P12ihipStream_tbENKUlT_T0_E_clISt17integral_constantIbLb0EESW_IbLb1EEEEDaSS_ST_EUlSS_E_NS1_11comp_targetILNS1_3genE10ELNS1_11target_archE1201ELNS1_3gpuE5ELNS1_3repE0EEENS1_30default_config_static_selectorELNS0_4arch9wavefront6targetE1EEEvT1_
		.amdhsa_group_segment_fixed_size 0
		.amdhsa_private_segment_fixed_size 0
		.amdhsa_kernarg_size 112
		.amdhsa_user_sgpr_count 6
		.amdhsa_user_sgpr_private_segment_buffer 1
		.amdhsa_user_sgpr_dispatch_ptr 0
		.amdhsa_user_sgpr_queue_ptr 0
		.amdhsa_user_sgpr_kernarg_segment_ptr 1
		.amdhsa_user_sgpr_dispatch_id 0
		.amdhsa_user_sgpr_flat_scratch_init 0
		.amdhsa_user_sgpr_kernarg_preload_length 0
		.amdhsa_user_sgpr_kernarg_preload_offset 0
		.amdhsa_user_sgpr_private_segment_size 0
		.amdhsa_uses_dynamic_stack 0
		.amdhsa_system_sgpr_private_segment_wavefront_offset 0
		.amdhsa_system_sgpr_workgroup_id_x 1
		.amdhsa_system_sgpr_workgroup_id_y 0
		.amdhsa_system_sgpr_workgroup_id_z 0
		.amdhsa_system_sgpr_workgroup_info 0
		.amdhsa_system_vgpr_workitem_id 0
		.amdhsa_next_free_vgpr 1
		.amdhsa_next_free_sgpr 0
		.amdhsa_accum_offset 4
		.amdhsa_reserve_vcc 0
		.amdhsa_reserve_flat_scratch 0
		.amdhsa_float_round_mode_32 0
		.amdhsa_float_round_mode_16_64 0
		.amdhsa_float_denorm_mode_32 3
		.amdhsa_float_denorm_mode_16_64 3
		.amdhsa_dx10_clamp 1
		.amdhsa_ieee_mode 1
		.amdhsa_fp16_overflow 0
		.amdhsa_tg_split 0
		.amdhsa_exception_fp_ieee_invalid_op 0
		.amdhsa_exception_fp_denorm_src 0
		.amdhsa_exception_fp_ieee_div_zero 0
		.amdhsa_exception_fp_ieee_overflow 0
		.amdhsa_exception_fp_ieee_underflow 0
		.amdhsa_exception_fp_ieee_inexact 0
		.amdhsa_exception_int_div_zero 0
	.end_amdhsa_kernel
	.section	.text._ZN7rocprim17ROCPRIM_400000_NS6detail17trampoline_kernelINS0_14default_configENS1_20scan_config_selectorIxEEZZNS1_9scan_implILNS1_25lookback_scan_determinismE0ELb0ELb0ES3_N6thrust23THRUST_200600_302600_NS6detail15normal_iteratorINS9_10device_ptrIxEEEENS9_16discard_iteratorINS9_11use_defaultEEEx11max_functorIxExEEDaPvRmT3_T4_T5_mT6_P12ihipStream_tbENKUlT_T0_E_clISt17integral_constantIbLb0EESW_IbLb1EEEEDaSS_ST_EUlSS_E_NS1_11comp_targetILNS1_3genE10ELNS1_11target_archE1201ELNS1_3gpuE5ELNS1_3repE0EEENS1_30default_config_static_selectorELNS0_4arch9wavefront6targetE1EEEvT1_,"axG",@progbits,_ZN7rocprim17ROCPRIM_400000_NS6detail17trampoline_kernelINS0_14default_configENS1_20scan_config_selectorIxEEZZNS1_9scan_implILNS1_25lookback_scan_determinismE0ELb0ELb0ES3_N6thrust23THRUST_200600_302600_NS6detail15normal_iteratorINS9_10device_ptrIxEEEENS9_16discard_iteratorINS9_11use_defaultEEEx11max_functorIxExEEDaPvRmT3_T4_T5_mT6_P12ihipStream_tbENKUlT_T0_E_clISt17integral_constantIbLb0EESW_IbLb1EEEEDaSS_ST_EUlSS_E_NS1_11comp_targetILNS1_3genE10ELNS1_11target_archE1201ELNS1_3gpuE5ELNS1_3repE0EEENS1_30default_config_static_selectorELNS0_4arch9wavefront6targetE1EEEvT1_,comdat
.Lfunc_end3769:
	.size	_ZN7rocprim17ROCPRIM_400000_NS6detail17trampoline_kernelINS0_14default_configENS1_20scan_config_selectorIxEEZZNS1_9scan_implILNS1_25lookback_scan_determinismE0ELb0ELb0ES3_N6thrust23THRUST_200600_302600_NS6detail15normal_iteratorINS9_10device_ptrIxEEEENS9_16discard_iteratorINS9_11use_defaultEEEx11max_functorIxExEEDaPvRmT3_T4_T5_mT6_P12ihipStream_tbENKUlT_T0_E_clISt17integral_constantIbLb0EESW_IbLb1EEEEDaSS_ST_EUlSS_E_NS1_11comp_targetILNS1_3genE10ELNS1_11target_archE1201ELNS1_3gpuE5ELNS1_3repE0EEENS1_30default_config_static_selectorELNS0_4arch9wavefront6targetE1EEEvT1_, .Lfunc_end3769-_ZN7rocprim17ROCPRIM_400000_NS6detail17trampoline_kernelINS0_14default_configENS1_20scan_config_selectorIxEEZZNS1_9scan_implILNS1_25lookback_scan_determinismE0ELb0ELb0ES3_N6thrust23THRUST_200600_302600_NS6detail15normal_iteratorINS9_10device_ptrIxEEEENS9_16discard_iteratorINS9_11use_defaultEEEx11max_functorIxExEEDaPvRmT3_T4_T5_mT6_P12ihipStream_tbENKUlT_T0_E_clISt17integral_constantIbLb0EESW_IbLb1EEEEDaSS_ST_EUlSS_E_NS1_11comp_targetILNS1_3genE10ELNS1_11target_archE1201ELNS1_3gpuE5ELNS1_3repE0EEENS1_30default_config_static_selectorELNS0_4arch9wavefront6targetE1EEEvT1_
                                        ; -- End function
	.section	.AMDGPU.csdata,"",@progbits
; Kernel info:
; codeLenInByte = 0
; NumSgprs: 4
; NumVgprs: 0
; NumAgprs: 0
; TotalNumVgprs: 0
; ScratchSize: 0
; MemoryBound: 0
; FloatMode: 240
; IeeeMode: 1
; LDSByteSize: 0 bytes/workgroup (compile time only)
; SGPRBlocks: 0
; VGPRBlocks: 0
; NumSGPRsForWavesPerEU: 4
; NumVGPRsForWavesPerEU: 1
; AccumOffset: 4
; Occupancy: 8
; WaveLimiterHint : 0
; COMPUTE_PGM_RSRC2:SCRATCH_EN: 0
; COMPUTE_PGM_RSRC2:USER_SGPR: 6
; COMPUTE_PGM_RSRC2:TRAP_HANDLER: 0
; COMPUTE_PGM_RSRC2:TGID_X_EN: 1
; COMPUTE_PGM_RSRC2:TGID_Y_EN: 0
; COMPUTE_PGM_RSRC2:TGID_Z_EN: 0
; COMPUTE_PGM_RSRC2:TIDIG_COMP_CNT: 0
; COMPUTE_PGM_RSRC3_GFX90A:ACCUM_OFFSET: 0
; COMPUTE_PGM_RSRC3_GFX90A:TG_SPLIT: 0
	.section	.text._ZN7rocprim17ROCPRIM_400000_NS6detail17trampoline_kernelINS0_14default_configENS1_20scan_config_selectorIxEEZZNS1_9scan_implILNS1_25lookback_scan_determinismE0ELb0ELb0ES3_N6thrust23THRUST_200600_302600_NS6detail15normal_iteratorINS9_10device_ptrIxEEEENS9_16discard_iteratorINS9_11use_defaultEEEx11max_functorIxExEEDaPvRmT3_T4_T5_mT6_P12ihipStream_tbENKUlT_T0_E_clISt17integral_constantIbLb0EESW_IbLb1EEEEDaSS_ST_EUlSS_E_NS1_11comp_targetILNS1_3genE10ELNS1_11target_archE1200ELNS1_3gpuE4ELNS1_3repE0EEENS1_30default_config_static_selectorELNS0_4arch9wavefront6targetE1EEEvT1_,"axG",@progbits,_ZN7rocprim17ROCPRIM_400000_NS6detail17trampoline_kernelINS0_14default_configENS1_20scan_config_selectorIxEEZZNS1_9scan_implILNS1_25lookback_scan_determinismE0ELb0ELb0ES3_N6thrust23THRUST_200600_302600_NS6detail15normal_iteratorINS9_10device_ptrIxEEEENS9_16discard_iteratorINS9_11use_defaultEEEx11max_functorIxExEEDaPvRmT3_T4_T5_mT6_P12ihipStream_tbENKUlT_T0_E_clISt17integral_constantIbLb0EESW_IbLb1EEEEDaSS_ST_EUlSS_E_NS1_11comp_targetILNS1_3genE10ELNS1_11target_archE1200ELNS1_3gpuE4ELNS1_3repE0EEENS1_30default_config_static_selectorELNS0_4arch9wavefront6targetE1EEEvT1_,comdat
	.protected	_ZN7rocprim17ROCPRIM_400000_NS6detail17trampoline_kernelINS0_14default_configENS1_20scan_config_selectorIxEEZZNS1_9scan_implILNS1_25lookback_scan_determinismE0ELb0ELb0ES3_N6thrust23THRUST_200600_302600_NS6detail15normal_iteratorINS9_10device_ptrIxEEEENS9_16discard_iteratorINS9_11use_defaultEEEx11max_functorIxExEEDaPvRmT3_T4_T5_mT6_P12ihipStream_tbENKUlT_T0_E_clISt17integral_constantIbLb0EESW_IbLb1EEEEDaSS_ST_EUlSS_E_NS1_11comp_targetILNS1_3genE10ELNS1_11target_archE1200ELNS1_3gpuE4ELNS1_3repE0EEENS1_30default_config_static_selectorELNS0_4arch9wavefront6targetE1EEEvT1_ ; -- Begin function _ZN7rocprim17ROCPRIM_400000_NS6detail17trampoline_kernelINS0_14default_configENS1_20scan_config_selectorIxEEZZNS1_9scan_implILNS1_25lookback_scan_determinismE0ELb0ELb0ES3_N6thrust23THRUST_200600_302600_NS6detail15normal_iteratorINS9_10device_ptrIxEEEENS9_16discard_iteratorINS9_11use_defaultEEEx11max_functorIxExEEDaPvRmT3_T4_T5_mT6_P12ihipStream_tbENKUlT_T0_E_clISt17integral_constantIbLb0EESW_IbLb1EEEEDaSS_ST_EUlSS_E_NS1_11comp_targetILNS1_3genE10ELNS1_11target_archE1200ELNS1_3gpuE4ELNS1_3repE0EEENS1_30default_config_static_selectorELNS0_4arch9wavefront6targetE1EEEvT1_
	.globl	_ZN7rocprim17ROCPRIM_400000_NS6detail17trampoline_kernelINS0_14default_configENS1_20scan_config_selectorIxEEZZNS1_9scan_implILNS1_25lookback_scan_determinismE0ELb0ELb0ES3_N6thrust23THRUST_200600_302600_NS6detail15normal_iteratorINS9_10device_ptrIxEEEENS9_16discard_iteratorINS9_11use_defaultEEEx11max_functorIxExEEDaPvRmT3_T4_T5_mT6_P12ihipStream_tbENKUlT_T0_E_clISt17integral_constantIbLb0EESW_IbLb1EEEEDaSS_ST_EUlSS_E_NS1_11comp_targetILNS1_3genE10ELNS1_11target_archE1200ELNS1_3gpuE4ELNS1_3repE0EEENS1_30default_config_static_selectorELNS0_4arch9wavefront6targetE1EEEvT1_
	.p2align	8
	.type	_ZN7rocprim17ROCPRIM_400000_NS6detail17trampoline_kernelINS0_14default_configENS1_20scan_config_selectorIxEEZZNS1_9scan_implILNS1_25lookback_scan_determinismE0ELb0ELb0ES3_N6thrust23THRUST_200600_302600_NS6detail15normal_iteratorINS9_10device_ptrIxEEEENS9_16discard_iteratorINS9_11use_defaultEEEx11max_functorIxExEEDaPvRmT3_T4_T5_mT6_P12ihipStream_tbENKUlT_T0_E_clISt17integral_constantIbLb0EESW_IbLb1EEEEDaSS_ST_EUlSS_E_NS1_11comp_targetILNS1_3genE10ELNS1_11target_archE1200ELNS1_3gpuE4ELNS1_3repE0EEENS1_30default_config_static_selectorELNS0_4arch9wavefront6targetE1EEEvT1_,@function
_ZN7rocprim17ROCPRIM_400000_NS6detail17trampoline_kernelINS0_14default_configENS1_20scan_config_selectorIxEEZZNS1_9scan_implILNS1_25lookback_scan_determinismE0ELb0ELb0ES3_N6thrust23THRUST_200600_302600_NS6detail15normal_iteratorINS9_10device_ptrIxEEEENS9_16discard_iteratorINS9_11use_defaultEEEx11max_functorIxExEEDaPvRmT3_T4_T5_mT6_P12ihipStream_tbENKUlT_T0_E_clISt17integral_constantIbLb0EESW_IbLb1EEEEDaSS_ST_EUlSS_E_NS1_11comp_targetILNS1_3genE10ELNS1_11target_archE1200ELNS1_3gpuE4ELNS1_3repE0EEENS1_30default_config_static_selectorELNS0_4arch9wavefront6targetE1EEEvT1_: ; @_ZN7rocprim17ROCPRIM_400000_NS6detail17trampoline_kernelINS0_14default_configENS1_20scan_config_selectorIxEEZZNS1_9scan_implILNS1_25lookback_scan_determinismE0ELb0ELb0ES3_N6thrust23THRUST_200600_302600_NS6detail15normal_iteratorINS9_10device_ptrIxEEEENS9_16discard_iteratorINS9_11use_defaultEEEx11max_functorIxExEEDaPvRmT3_T4_T5_mT6_P12ihipStream_tbENKUlT_T0_E_clISt17integral_constantIbLb0EESW_IbLb1EEEEDaSS_ST_EUlSS_E_NS1_11comp_targetILNS1_3genE10ELNS1_11target_archE1200ELNS1_3gpuE4ELNS1_3repE0EEENS1_30default_config_static_selectorELNS0_4arch9wavefront6targetE1EEEvT1_
; %bb.0:
	.section	.rodata,"a",@progbits
	.p2align	6, 0x0
	.amdhsa_kernel _ZN7rocprim17ROCPRIM_400000_NS6detail17trampoline_kernelINS0_14default_configENS1_20scan_config_selectorIxEEZZNS1_9scan_implILNS1_25lookback_scan_determinismE0ELb0ELb0ES3_N6thrust23THRUST_200600_302600_NS6detail15normal_iteratorINS9_10device_ptrIxEEEENS9_16discard_iteratorINS9_11use_defaultEEEx11max_functorIxExEEDaPvRmT3_T4_T5_mT6_P12ihipStream_tbENKUlT_T0_E_clISt17integral_constantIbLb0EESW_IbLb1EEEEDaSS_ST_EUlSS_E_NS1_11comp_targetILNS1_3genE10ELNS1_11target_archE1200ELNS1_3gpuE4ELNS1_3repE0EEENS1_30default_config_static_selectorELNS0_4arch9wavefront6targetE1EEEvT1_
		.amdhsa_group_segment_fixed_size 0
		.amdhsa_private_segment_fixed_size 0
		.amdhsa_kernarg_size 112
		.amdhsa_user_sgpr_count 6
		.amdhsa_user_sgpr_private_segment_buffer 1
		.amdhsa_user_sgpr_dispatch_ptr 0
		.amdhsa_user_sgpr_queue_ptr 0
		.amdhsa_user_sgpr_kernarg_segment_ptr 1
		.amdhsa_user_sgpr_dispatch_id 0
		.amdhsa_user_sgpr_flat_scratch_init 0
		.amdhsa_user_sgpr_kernarg_preload_length 0
		.amdhsa_user_sgpr_kernarg_preload_offset 0
		.amdhsa_user_sgpr_private_segment_size 0
		.amdhsa_uses_dynamic_stack 0
		.amdhsa_system_sgpr_private_segment_wavefront_offset 0
		.amdhsa_system_sgpr_workgroup_id_x 1
		.amdhsa_system_sgpr_workgroup_id_y 0
		.amdhsa_system_sgpr_workgroup_id_z 0
		.amdhsa_system_sgpr_workgroup_info 0
		.amdhsa_system_vgpr_workitem_id 0
		.amdhsa_next_free_vgpr 1
		.amdhsa_next_free_sgpr 0
		.amdhsa_accum_offset 4
		.amdhsa_reserve_vcc 0
		.amdhsa_reserve_flat_scratch 0
		.amdhsa_float_round_mode_32 0
		.amdhsa_float_round_mode_16_64 0
		.amdhsa_float_denorm_mode_32 3
		.amdhsa_float_denorm_mode_16_64 3
		.amdhsa_dx10_clamp 1
		.amdhsa_ieee_mode 1
		.amdhsa_fp16_overflow 0
		.amdhsa_tg_split 0
		.amdhsa_exception_fp_ieee_invalid_op 0
		.amdhsa_exception_fp_denorm_src 0
		.amdhsa_exception_fp_ieee_div_zero 0
		.amdhsa_exception_fp_ieee_overflow 0
		.amdhsa_exception_fp_ieee_underflow 0
		.amdhsa_exception_fp_ieee_inexact 0
		.amdhsa_exception_int_div_zero 0
	.end_amdhsa_kernel
	.section	.text._ZN7rocprim17ROCPRIM_400000_NS6detail17trampoline_kernelINS0_14default_configENS1_20scan_config_selectorIxEEZZNS1_9scan_implILNS1_25lookback_scan_determinismE0ELb0ELb0ES3_N6thrust23THRUST_200600_302600_NS6detail15normal_iteratorINS9_10device_ptrIxEEEENS9_16discard_iteratorINS9_11use_defaultEEEx11max_functorIxExEEDaPvRmT3_T4_T5_mT6_P12ihipStream_tbENKUlT_T0_E_clISt17integral_constantIbLb0EESW_IbLb1EEEEDaSS_ST_EUlSS_E_NS1_11comp_targetILNS1_3genE10ELNS1_11target_archE1200ELNS1_3gpuE4ELNS1_3repE0EEENS1_30default_config_static_selectorELNS0_4arch9wavefront6targetE1EEEvT1_,"axG",@progbits,_ZN7rocprim17ROCPRIM_400000_NS6detail17trampoline_kernelINS0_14default_configENS1_20scan_config_selectorIxEEZZNS1_9scan_implILNS1_25lookback_scan_determinismE0ELb0ELb0ES3_N6thrust23THRUST_200600_302600_NS6detail15normal_iteratorINS9_10device_ptrIxEEEENS9_16discard_iteratorINS9_11use_defaultEEEx11max_functorIxExEEDaPvRmT3_T4_T5_mT6_P12ihipStream_tbENKUlT_T0_E_clISt17integral_constantIbLb0EESW_IbLb1EEEEDaSS_ST_EUlSS_E_NS1_11comp_targetILNS1_3genE10ELNS1_11target_archE1200ELNS1_3gpuE4ELNS1_3repE0EEENS1_30default_config_static_selectorELNS0_4arch9wavefront6targetE1EEEvT1_,comdat
.Lfunc_end3770:
	.size	_ZN7rocprim17ROCPRIM_400000_NS6detail17trampoline_kernelINS0_14default_configENS1_20scan_config_selectorIxEEZZNS1_9scan_implILNS1_25lookback_scan_determinismE0ELb0ELb0ES3_N6thrust23THRUST_200600_302600_NS6detail15normal_iteratorINS9_10device_ptrIxEEEENS9_16discard_iteratorINS9_11use_defaultEEEx11max_functorIxExEEDaPvRmT3_T4_T5_mT6_P12ihipStream_tbENKUlT_T0_E_clISt17integral_constantIbLb0EESW_IbLb1EEEEDaSS_ST_EUlSS_E_NS1_11comp_targetILNS1_3genE10ELNS1_11target_archE1200ELNS1_3gpuE4ELNS1_3repE0EEENS1_30default_config_static_selectorELNS0_4arch9wavefront6targetE1EEEvT1_, .Lfunc_end3770-_ZN7rocprim17ROCPRIM_400000_NS6detail17trampoline_kernelINS0_14default_configENS1_20scan_config_selectorIxEEZZNS1_9scan_implILNS1_25lookback_scan_determinismE0ELb0ELb0ES3_N6thrust23THRUST_200600_302600_NS6detail15normal_iteratorINS9_10device_ptrIxEEEENS9_16discard_iteratorINS9_11use_defaultEEEx11max_functorIxExEEDaPvRmT3_T4_T5_mT6_P12ihipStream_tbENKUlT_T0_E_clISt17integral_constantIbLb0EESW_IbLb1EEEEDaSS_ST_EUlSS_E_NS1_11comp_targetILNS1_3genE10ELNS1_11target_archE1200ELNS1_3gpuE4ELNS1_3repE0EEENS1_30default_config_static_selectorELNS0_4arch9wavefront6targetE1EEEvT1_
                                        ; -- End function
	.section	.AMDGPU.csdata,"",@progbits
; Kernel info:
; codeLenInByte = 0
; NumSgprs: 4
; NumVgprs: 0
; NumAgprs: 0
; TotalNumVgprs: 0
; ScratchSize: 0
; MemoryBound: 0
; FloatMode: 240
; IeeeMode: 1
; LDSByteSize: 0 bytes/workgroup (compile time only)
; SGPRBlocks: 0
; VGPRBlocks: 0
; NumSGPRsForWavesPerEU: 4
; NumVGPRsForWavesPerEU: 1
; AccumOffset: 4
; Occupancy: 8
; WaveLimiterHint : 0
; COMPUTE_PGM_RSRC2:SCRATCH_EN: 0
; COMPUTE_PGM_RSRC2:USER_SGPR: 6
; COMPUTE_PGM_RSRC2:TRAP_HANDLER: 0
; COMPUTE_PGM_RSRC2:TGID_X_EN: 1
; COMPUTE_PGM_RSRC2:TGID_Y_EN: 0
; COMPUTE_PGM_RSRC2:TGID_Z_EN: 0
; COMPUTE_PGM_RSRC2:TIDIG_COMP_CNT: 0
; COMPUTE_PGM_RSRC3_GFX90A:ACCUM_OFFSET: 0
; COMPUTE_PGM_RSRC3_GFX90A:TG_SPLIT: 0
	.section	.text._ZN7rocprim17ROCPRIM_400000_NS6detail17trampoline_kernelINS0_14default_configENS1_20scan_config_selectorIxEEZZNS1_9scan_implILNS1_25lookback_scan_determinismE0ELb0ELb0ES3_N6thrust23THRUST_200600_302600_NS6detail15normal_iteratorINS9_10device_ptrIxEEEENS9_16discard_iteratorINS9_11use_defaultEEEx11max_functorIxExEEDaPvRmT3_T4_T5_mT6_P12ihipStream_tbENKUlT_T0_E_clISt17integral_constantIbLb0EESW_IbLb1EEEEDaSS_ST_EUlSS_E_NS1_11comp_targetILNS1_3genE9ELNS1_11target_archE1100ELNS1_3gpuE3ELNS1_3repE0EEENS1_30default_config_static_selectorELNS0_4arch9wavefront6targetE1EEEvT1_,"axG",@progbits,_ZN7rocprim17ROCPRIM_400000_NS6detail17trampoline_kernelINS0_14default_configENS1_20scan_config_selectorIxEEZZNS1_9scan_implILNS1_25lookback_scan_determinismE0ELb0ELb0ES3_N6thrust23THRUST_200600_302600_NS6detail15normal_iteratorINS9_10device_ptrIxEEEENS9_16discard_iteratorINS9_11use_defaultEEEx11max_functorIxExEEDaPvRmT3_T4_T5_mT6_P12ihipStream_tbENKUlT_T0_E_clISt17integral_constantIbLb0EESW_IbLb1EEEEDaSS_ST_EUlSS_E_NS1_11comp_targetILNS1_3genE9ELNS1_11target_archE1100ELNS1_3gpuE3ELNS1_3repE0EEENS1_30default_config_static_selectorELNS0_4arch9wavefront6targetE1EEEvT1_,comdat
	.protected	_ZN7rocprim17ROCPRIM_400000_NS6detail17trampoline_kernelINS0_14default_configENS1_20scan_config_selectorIxEEZZNS1_9scan_implILNS1_25lookback_scan_determinismE0ELb0ELb0ES3_N6thrust23THRUST_200600_302600_NS6detail15normal_iteratorINS9_10device_ptrIxEEEENS9_16discard_iteratorINS9_11use_defaultEEEx11max_functorIxExEEDaPvRmT3_T4_T5_mT6_P12ihipStream_tbENKUlT_T0_E_clISt17integral_constantIbLb0EESW_IbLb1EEEEDaSS_ST_EUlSS_E_NS1_11comp_targetILNS1_3genE9ELNS1_11target_archE1100ELNS1_3gpuE3ELNS1_3repE0EEENS1_30default_config_static_selectorELNS0_4arch9wavefront6targetE1EEEvT1_ ; -- Begin function _ZN7rocprim17ROCPRIM_400000_NS6detail17trampoline_kernelINS0_14default_configENS1_20scan_config_selectorIxEEZZNS1_9scan_implILNS1_25lookback_scan_determinismE0ELb0ELb0ES3_N6thrust23THRUST_200600_302600_NS6detail15normal_iteratorINS9_10device_ptrIxEEEENS9_16discard_iteratorINS9_11use_defaultEEEx11max_functorIxExEEDaPvRmT3_T4_T5_mT6_P12ihipStream_tbENKUlT_T0_E_clISt17integral_constantIbLb0EESW_IbLb1EEEEDaSS_ST_EUlSS_E_NS1_11comp_targetILNS1_3genE9ELNS1_11target_archE1100ELNS1_3gpuE3ELNS1_3repE0EEENS1_30default_config_static_selectorELNS0_4arch9wavefront6targetE1EEEvT1_
	.globl	_ZN7rocprim17ROCPRIM_400000_NS6detail17trampoline_kernelINS0_14default_configENS1_20scan_config_selectorIxEEZZNS1_9scan_implILNS1_25lookback_scan_determinismE0ELb0ELb0ES3_N6thrust23THRUST_200600_302600_NS6detail15normal_iteratorINS9_10device_ptrIxEEEENS9_16discard_iteratorINS9_11use_defaultEEEx11max_functorIxExEEDaPvRmT3_T4_T5_mT6_P12ihipStream_tbENKUlT_T0_E_clISt17integral_constantIbLb0EESW_IbLb1EEEEDaSS_ST_EUlSS_E_NS1_11comp_targetILNS1_3genE9ELNS1_11target_archE1100ELNS1_3gpuE3ELNS1_3repE0EEENS1_30default_config_static_selectorELNS0_4arch9wavefront6targetE1EEEvT1_
	.p2align	8
	.type	_ZN7rocprim17ROCPRIM_400000_NS6detail17trampoline_kernelINS0_14default_configENS1_20scan_config_selectorIxEEZZNS1_9scan_implILNS1_25lookback_scan_determinismE0ELb0ELb0ES3_N6thrust23THRUST_200600_302600_NS6detail15normal_iteratorINS9_10device_ptrIxEEEENS9_16discard_iteratorINS9_11use_defaultEEEx11max_functorIxExEEDaPvRmT3_T4_T5_mT6_P12ihipStream_tbENKUlT_T0_E_clISt17integral_constantIbLb0EESW_IbLb1EEEEDaSS_ST_EUlSS_E_NS1_11comp_targetILNS1_3genE9ELNS1_11target_archE1100ELNS1_3gpuE3ELNS1_3repE0EEENS1_30default_config_static_selectorELNS0_4arch9wavefront6targetE1EEEvT1_,@function
_ZN7rocprim17ROCPRIM_400000_NS6detail17trampoline_kernelINS0_14default_configENS1_20scan_config_selectorIxEEZZNS1_9scan_implILNS1_25lookback_scan_determinismE0ELb0ELb0ES3_N6thrust23THRUST_200600_302600_NS6detail15normal_iteratorINS9_10device_ptrIxEEEENS9_16discard_iteratorINS9_11use_defaultEEEx11max_functorIxExEEDaPvRmT3_T4_T5_mT6_P12ihipStream_tbENKUlT_T0_E_clISt17integral_constantIbLb0EESW_IbLb1EEEEDaSS_ST_EUlSS_E_NS1_11comp_targetILNS1_3genE9ELNS1_11target_archE1100ELNS1_3gpuE3ELNS1_3repE0EEENS1_30default_config_static_selectorELNS0_4arch9wavefront6targetE1EEEvT1_: ; @_ZN7rocprim17ROCPRIM_400000_NS6detail17trampoline_kernelINS0_14default_configENS1_20scan_config_selectorIxEEZZNS1_9scan_implILNS1_25lookback_scan_determinismE0ELb0ELb0ES3_N6thrust23THRUST_200600_302600_NS6detail15normal_iteratorINS9_10device_ptrIxEEEENS9_16discard_iteratorINS9_11use_defaultEEEx11max_functorIxExEEDaPvRmT3_T4_T5_mT6_P12ihipStream_tbENKUlT_T0_E_clISt17integral_constantIbLb0EESW_IbLb1EEEEDaSS_ST_EUlSS_E_NS1_11comp_targetILNS1_3genE9ELNS1_11target_archE1100ELNS1_3gpuE3ELNS1_3repE0EEENS1_30default_config_static_selectorELNS0_4arch9wavefront6targetE1EEEvT1_
; %bb.0:
	.section	.rodata,"a",@progbits
	.p2align	6, 0x0
	.amdhsa_kernel _ZN7rocprim17ROCPRIM_400000_NS6detail17trampoline_kernelINS0_14default_configENS1_20scan_config_selectorIxEEZZNS1_9scan_implILNS1_25lookback_scan_determinismE0ELb0ELb0ES3_N6thrust23THRUST_200600_302600_NS6detail15normal_iteratorINS9_10device_ptrIxEEEENS9_16discard_iteratorINS9_11use_defaultEEEx11max_functorIxExEEDaPvRmT3_T4_T5_mT6_P12ihipStream_tbENKUlT_T0_E_clISt17integral_constantIbLb0EESW_IbLb1EEEEDaSS_ST_EUlSS_E_NS1_11comp_targetILNS1_3genE9ELNS1_11target_archE1100ELNS1_3gpuE3ELNS1_3repE0EEENS1_30default_config_static_selectorELNS0_4arch9wavefront6targetE1EEEvT1_
		.amdhsa_group_segment_fixed_size 0
		.amdhsa_private_segment_fixed_size 0
		.amdhsa_kernarg_size 112
		.amdhsa_user_sgpr_count 6
		.amdhsa_user_sgpr_private_segment_buffer 1
		.amdhsa_user_sgpr_dispatch_ptr 0
		.amdhsa_user_sgpr_queue_ptr 0
		.amdhsa_user_sgpr_kernarg_segment_ptr 1
		.amdhsa_user_sgpr_dispatch_id 0
		.amdhsa_user_sgpr_flat_scratch_init 0
		.amdhsa_user_sgpr_kernarg_preload_length 0
		.amdhsa_user_sgpr_kernarg_preload_offset 0
		.amdhsa_user_sgpr_private_segment_size 0
		.amdhsa_uses_dynamic_stack 0
		.amdhsa_system_sgpr_private_segment_wavefront_offset 0
		.amdhsa_system_sgpr_workgroup_id_x 1
		.amdhsa_system_sgpr_workgroup_id_y 0
		.amdhsa_system_sgpr_workgroup_id_z 0
		.amdhsa_system_sgpr_workgroup_info 0
		.amdhsa_system_vgpr_workitem_id 0
		.amdhsa_next_free_vgpr 1
		.amdhsa_next_free_sgpr 0
		.amdhsa_accum_offset 4
		.amdhsa_reserve_vcc 0
		.amdhsa_reserve_flat_scratch 0
		.amdhsa_float_round_mode_32 0
		.amdhsa_float_round_mode_16_64 0
		.amdhsa_float_denorm_mode_32 3
		.amdhsa_float_denorm_mode_16_64 3
		.amdhsa_dx10_clamp 1
		.amdhsa_ieee_mode 1
		.amdhsa_fp16_overflow 0
		.amdhsa_tg_split 0
		.amdhsa_exception_fp_ieee_invalid_op 0
		.amdhsa_exception_fp_denorm_src 0
		.amdhsa_exception_fp_ieee_div_zero 0
		.amdhsa_exception_fp_ieee_overflow 0
		.amdhsa_exception_fp_ieee_underflow 0
		.amdhsa_exception_fp_ieee_inexact 0
		.amdhsa_exception_int_div_zero 0
	.end_amdhsa_kernel
	.section	.text._ZN7rocprim17ROCPRIM_400000_NS6detail17trampoline_kernelINS0_14default_configENS1_20scan_config_selectorIxEEZZNS1_9scan_implILNS1_25lookback_scan_determinismE0ELb0ELb0ES3_N6thrust23THRUST_200600_302600_NS6detail15normal_iteratorINS9_10device_ptrIxEEEENS9_16discard_iteratorINS9_11use_defaultEEEx11max_functorIxExEEDaPvRmT3_T4_T5_mT6_P12ihipStream_tbENKUlT_T0_E_clISt17integral_constantIbLb0EESW_IbLb1EEEEDaSS_ST_EUlSS_E_NS1_11comp_targetILNS1_3genE9ELNS1_11target_archE1100ELNS1_3gpuE3ELNS1_3repE0EEENS1_30default_config_static_selectorELNS0_4arch9wavefront6targetE1EEEvT1_,"axG",@progbits,_ZN7rocprim17ROCPRIM_400000_NS6detail17trampoline_kernelINS0_14default_configENS1_20scan_config_selectorIxEEZZNS1_9scan_implILNS1_25lookback_scan_determinismE0ELb0ELb0ES3_N6thrust23THRUST_200600_302600_NS6detail15normal_iteratorINS9_10device_ptrIxEEEENS9_16discard_iteratorINS9_11use_defaultEEEx11max_functorIxExEEDaPvRmT3_T4_T5_mT6_P12ihipStream_tbENKUlT_T0_E_clISt17integral_constantIbLb0EESW_IbLb1EEEEDaSS_ST_EUlSS_E_NS1_11comp_targetILNS1_3genE9ELNS1_11target_archE1100ELNS1_3gpuE3ELNS1_3repE0EEENS1_30default_config_static_selectorELNS0_4arch9wavefront6targetE1EEEvT1_,comdat
.Lfunc_end3771:
	.size	_ZN7rocprim17ROCPRIM_400000_NS6detail17trampoline_kernelINS0_14default_configENS1_20scan_config_selectorIxEEZZNS1_9scan_implILNS1_25lookback_scan_determinismE0ELb0ELb0ES3_N6thrust23THRUST_200600_302600_NS6detail15normal_iteratorINS9_10device_ptrIxEEEENS9_16discard_iteratorINS9_11use_defaultEEEx11max_functorIxExEEDaPvRmT3_T4_T5_mT6_P12ihipStream_tbENKUlT_T0_E_clISt17integral_constantIbLb0EESW_IbLb1EEEEDaSS_ST_EUlSS_E_NS1_11comp_targetILNS1_3genE9ELNS1_11target_archE1100ELNS1_3gpuE3ELNS1_3repE0EEENS1_30default_config_static_selectorELNS0_4arch9wavefront6targetE1EEEvT1_, .Lfunc_end3771-_ZN7rocprim17ROCPRIM_400000_NS6detail17trampoline_kernelINS0_14default_configENS1_20scan_config_selectorIxEEZZNS1_9scan_implILNS1_25lookback_scan_determinismE0ELb0ELb0ES3_N6thrust23THRUST_200600_302600_NS6detail15normal_iteratorINS9_10device_ptrIxEEEENS9_16discard_iteratorINS9_11use_defaultEEEx11max_functorIxExEEDaPvRmT3_T4_T5_mT6_P12ihipStream_tbENKUlT_T0_E_clISt17integral_constantIbLb0EESW_IbLb1EEEEDaSS_ST_EUlSS_E_NS1_11comp_targetILNS1_3genE9ELNS1_11target_archE1100ELNS1_3gpuE3ELNS1_3repE0EEENS1_30default_config_static_selectorELNS0_4arch9wavefront6targetE1EEEvT1_
                                        ; -- End function
	.section	.AMDGPU.csdata,"",@progbits
; Kernel info:
; codeLenInByte = 0
; NumSgprs: 4
; NumVgprs: 0
; NumAgprs: 0
; TotalNumVgprs: 0
; ScratchSize: 0
; MemoryBound: 0
; FloatMode: 240
; IeeeMode: 1
; LDSByteSize: 0 bytes/workgroup (compile time only)
; SGPRBlocks: 0
; VGPRBlocks: 0
; NumSGPRsForWavesPerEU: 4
; NumVGPRsForWavesPerEU: 1
; AccumOffset: 4
; Occupancy: 8
; WaveLimiterHint : 0
; COMPUTE_PGM_RSRC2:SCRATCH_EN: 0
; COMPUTE_PGM_RSRC2:USER_SGPR: 6
; COMPUTE_PGM_RSRC2:TRAP_HANDLER: 0
; COMPUTE_PGM_RSRC2:TGID_X_EN: 1
; COMPUTE_PGM_RSRC2:TGID_Y_EN: 0
; COMPUTE_PGM_RSRC2:TGID_Z_EN: 0
; COMPUTE_PGM_RSRC2:TIDIG_COMP_CNT: 0
; COMPUTE_PGM_RSRC3_GFX90A:ACCUM_OFFSET: 0
; COMPUTE_PGM_RSRC3_GFX90A:TG_SPLIT: 0
	.section	.text._ZN7rocprim17ROCPRIM_400000_NS6detail17trampoline_kernelINS0_14default_configENS1_20scan_config_selectorIxEEZZNS1_9scan_implILNS1_25lookback_scan_determinismE0ELb0ELb0ES3_N6thrust23THRUST_200600_302600_NS6detail15normal_iteratorINS9_10device_ptrIxEEEENS9_16discard_iteratorINS9_11use_defaultEEEx11max_functorIxExEEDaPvRmT3_T4_T5_mT6_P12ihipStream_tbENKUlT_T0_E_clISt17integral_constantIbLb0EESW_IbLb1EEEEDaSS_ST_EUlSS_E_NS1_11comp_targetILNS1_3genE8ELNS1_11target_archE1030ELNS1_3gpuE2ELNS1_3repE0EEENS1_30default_config_static_selectorELNS0_4arch9wavefront6targetE1EEEvT1_,"axG",@progbits,_ZN7rocprim17ROCPRIM_400000_NS6detail17trampoline_kernelINS0_14default_configENS1_20scan_config_selectorIxEEZZNS1_9scan_implILNS1_25lookback_scan_determinismE0ELb0ELb0ES3_N6thrust23THRUST_200600_302600_NS6detail15normal_iteratorINS9_10device_ptrIxEEEENS9_16discard_iteratorINS9_11use_defaultEEEx11max_functorIxExEEDaPvRmT3_T4_T5_mT6_P12ihipStream_tbENKUlT_T0_E_clISt17integral_constantIbLb0EESW_IbLb1EEEEDaSS_ST_EUlSS_E_NS1_11comp_targetILNS1_3genE8ELNS1_11target_archE1030ELNS1_3gpuE2ELNS1_3repE0EEENS1_30default_config_static_selectorELNS0_4arch9wavefront6targetE1EEEvT1_,comdat
	.protected	_ZN7rocprim17ROCPRIM_400000_NS6detail17trampoline_kernelINS0_14default_configENS1_20scan_config_selectorIxEEZZNS1_9scan_implILNS1_25lookback_scan_determinismE0ELb0ELb0ES3_N6thrust23THRUST_200600_302600_NS6detail15normal_iteratorINS9_10device_ptrIxEEEENS9_16discard_iteratorINS9_11use_defaultEEEx11max_functorIxExEEDaPvRmT3_T4_T5_mT6_P12ihipStream_tbENKUlT_T0_E_clISt17integral_constantIbLb0EESW_IbLb1EEEEDaSS_ST_EUlSS_E_NS1_11comp_targetILNS1_3genE8ELNS1_11target_archE1030ELNS1_3gpuE2ELNS1_3repE0EEENS1_30default_config_static_selectorELNS0_4arch9wavefront6targetE1EEEvT1_ ; -- Begin function _ZN7rocprim17ROCPRIM_400000_NS6detail17trampoline_kernelINS0_14default_configENS1_20scan_config_selectorIxEEZZNS1_9scan_implILNS1_25lookback_scan_determinismE0ELb0ELb0ES3_N6thrust23THRUST_200600_302600_NS6detail15normal_iteratorINS9_10device_ptrIxEEEENS9_16discard_iteratorINS9_11use_defaultEEEx11max_functorIxExEEDaPvRmT3_T4_T5_mT6_P12ihipStream_tbENKUlT_T0_E_clISt17integral_constantIbLb0EESW_IbLb1EEEEDaSS_ST_EUlSS_E_NS1_11comp_targetILNS1_3genE8ELNS1_11target_archE1030ELNS1_3gpuE2ELNS1_3repE0EEENS1_30default_config_static_selectorELNS0_4arch9wavefront6targetE1EEEvT1_
	.globl	_ZN7rocprim17ROCPRIM_400000_NS6detail17trampoline_kernelINS0_14default_configENS1_20scan_config_selectorIxEEZZNS1_9scan_implILNS1_25lookback_scan_determinismE0ELb0ELb0ES3_N6thrust23THRUST_200600_302600_NS6detail15normal_iteratorINS9_10device_ptrIxEEEENS9_16discard_iteratorINS9_11use_defaultEEEx11max_functorIxExEEDaPvRmT3_T4_T5_mT6_P12ihipStream_tbENKUlT_T0_E_clISt17integral_constantIbLb0EESW_IbLb1EEEEDaSS_ST_EUlSS_E_NS1_11comp_targetILNS1_3genE8ELNS1_11target_archE1030ELNS1_3gpuE2ELNS1_3repE0EEENS1_30default_config_static_selectorELNS0_4arch9wavefront6targetE1EEEvT1_
	.p2align	8
	.type	_ZN7rocprim17ROCPRIM_400000_NS6detail17trampoline_kernelINS0_14default_configENS1_20scan_config_selectorIxEEZZNS1_9scan_implILNS1_25lookback_scan_determinismE0ELb0ELb0ES3_N6thrust23THRUST_200600_302600_NS6detail15normal_iteratorINS9_10device_ptrIxEEEENS9_16discard_iteratorINS9_11use_defaultEEEx11max_functorIxExEEDaPvRmT3_T4_T5_mT6_P12ihipStream_tbENKUlT_T0_E_clISt17integral_constantIbLb0EESW_IbLb1EEEEDaSS_ST_EUlSS_E_NS1_11comp_targetILNS1_3genE8ELNS1_11target_archE1030ELNS1_3gpuE2ELNS1_3repE0EEENS1_30default_config_static_selectorELNS0_4arch9wavefront6targetE1EEEvT1_,@function
_ZN7rocprim17ROCPRIM_400000_NS6detail17trampoline_kernelINS0_14default_configENS1_20scan_config_selectorIxEEZZNS1_9scan_implILNS1_25lookback_scan_determinismE0ELb0ELb0ES3_N6thrust23THRUST_200600_302600_NS6detail15normal_iteratorINS9_10device_ptrIxEEEENS9_16discard_iteratorINS9_11use_defaultEEEx11max_functorIxExEEDaPvRmT3_T4_T5_mT6_P12ihipStream_tbENKUlT_T0_E_clISt17integral_constantIbLb0EESW_IbLb1EEEEDaSS_ST_EUlSS_E_NS1_11comp_targetILNS1_3genE8ELNS1_11target_archE1030ELNS1_3gpuE2ELNS1_3repE0EEENS1_30default_config_static_selectorELNS0_4arch9wavefront6targetE1EEEvT1_: ; @_ZN7rocprim17ROCPRIM_400000_NS6detail17trampoline_kernelINS0_14default_configENS1_20scan_config_selectorIxEEZZNS1_9scan_implILNS1_25lookback_scan_determinismE0ELb0ELb0ES3_N6thrust23THRUST_200600_302600_NS6detail15normal_iteratorINS9_10device_ptrIxEEEENS9_16discard_iteratorINS9_11use_defaultEEEx11max_functorIxExEEDaPvRmT3_T4_T5_mT6_P12ihipStream_tbENKUlT_T0_E_clISt17integral_constantIbLb0EESW_IbLb1EEEEDaSS_ST_EUlSS_E_NS1_11comp_targetILNS1_3genE8ELNS1_11target_archE1030ELNS1_3gpuE2ELNS1_3repE0EEENS1_30default_config_static_selectorELNS0_4arch9wavefront6targetE1EEEvT1_
; %bb.0:
	.section	.rodata,"a",@progbits
	.p2align	6, 0x0
	.amdhsa_kernel _ZN7rocprim17ROCPRIM_400000_NS6detail17trampoline_kernelINS0_14default_configENS1_20scan_config_selectorIxEEZZNS1_9scan_implILNS1_25lookback_scan_determinismE0ELb0ELb0ES3_N6thrust23THRUST_200600_302600_NS6detail15normal_iteratorINS9_10device_ptrIxEEEENS9_16discard_iteratorINS9_11use_defaultEEEx11max_functorIxExEEDaPvRmT3_T4_T5_mT6_P12ihipStream_tbENKUlT_T0_E_clISt17integral_constantIbLb0EESW_IbLb1EEEEDaSS_ST_EUlSS_E_NS1_11comp_targetILNS1_3genE8ELNS1_11target_archE1030ELNS1_3gpuE2ELNS1_3repE0EEENS1_30default_config_static_selectorELNS0_4arch9wavefront6targetE1EEEvT1_
		.amdhsa_group_segment_fixed_size 0
		.amdhsa_private_segment_fixed_size 0
		.amdhsa_kernarg_size 112
		.amdhsa_user_sgpr_count 6
		.amdhsa_user_sgpr_private_segment_buffer 1
		.amdhsa_user_sgpr_dispatch_ptr 0
		.amdhsa_user_sgpr_queue_ptr 0
		.amdhsa_user_sgpr_kernarg_segment_ptr 1
		.amdhsa_user_sgpr_dispatch_id 0
		.amdhsa_user_sgpr_flat_scratch_init 0
		.amdhsa_user_sgpr_kernarg_preload_length 0
		.amdhsa_user_sgpr_kernarg_preload_offset 0
		.amdhsa_user_sgpr_private_segment_size 0
		.amdhsa_uses_dynamic_stack 0
		.amdhsa_system_sgpr_private_segment_wavefront_offset 0
		.amdhsa_system_sgpr_workgroup_id_x 1
		.amdhsa_system_sgpr_workgroup_id_y 0
		.amdhsa_system_sgpr_workgroup_id_z 0
		.amdhsa_system_sgpr_workgroup_info 0
		.amdhsa_system_vgpr_workitem_id 0
		.amdhsa_next_free_vgpr 1
		.amdhsa_next_free_sgpr 0
		.amdhsa_accum_offset 4
		.amdhsa_reserve_vcc 0
		.amdhsa_reserve_flat_scratch 0
		.amdhsa_float_round_mode_32 0
		.amdhsa_float_round_mode_16_64 0
		.amdhsa_float_denorm_mode_32 3
		.amdhsa_float_denorm_mode_16_64 3
		.amdhsa_dx10_clamp 1
		.amdhsa_ieee_mode 1
		.amdhsa_fp16_overflow 0
		.amdhsa_tg_split 0
		.amdhsa_exception_fp_ieee_invalid_op 0
		.amdhsa_exception_fp_denorm_src 0
		.amdhsa_exception_fp_ieee_div_zero 0
		.amdhsa_exception_fp_ieee_overflow 0
		.amdhsa_exception_fp_ieee_underflow 0
		.amdhsa_exception_fp_ieee_inexact 0
		.amdhsa_exception_int_div_zero 0
	.end_amdhsa_kernel
	.section	.text._ZN7rocprim17ROCPRIM_400000_NS6detail17trampoline_kernelINS0_14default_configENS1_20scan_config_selectorIxEEZZNS1_9scan_implILNS1_25lookback_scan_determinismE0ELb0ELb0ES3_N6thrust23THRUST_200600_302600_NS6detail15normal_iteratorINS9_10device_ptrIxEEEENS9_16discard_iteratorINS9_11use_defaultEEEx11max_functorIxExEEDaPvRmT3_T4_T5_mT6_P12ihipStream_tbENKUlT_T0_E_clISt17integral_constantIbLb0EESW_IbLb1EEEEDaSS_ST_EUlSS_E_NS1_11comp_targetILNS1_3genE8ELNS1_11target_archE1030ELNS1_3gpuE2ELNS1_3repE0EEENS1_30default_config_static_selectorELNS0_4arch9wavefront6targetE1EEEvT1_,"axG",@progbits,_ZN7rocprim17ROCPRIM_400000_NS6detail17trampoline_kernelINS0_14default_configENS1_20scan_config_selectorIxEEZZNS1_9scan_implILNS1_25lookback_scan_determinismE0ELb0ELb0ES3_N6thrust23THRUST_200600_302600_NS6detail15normal_iteratorINS9_10device_ptrIxEEEENS9_16discard_iteratorINS9_11use_defaultEEEx11max_functorIxExEEDaPvRmT3_T4_T5_mT6_P12ihipStream_tbENKUlT_T0_E_clISt17integral_constantIbLb0EESW_IbLb1EEEEDaSS_ST_EUlSS_E_NS1_11comp_targetILNS1_3genE8ELNS1_11target_archE1030ELNS1_3gpuE2ELNS1_3repE0EEENS1_30default_config_static_selectorELNS0_4arch9wavefront6targetE1EEEvT1_,comdat
.Lfunc_end3772:
	.size	_ZN7rocprim17ROCPRIM_400000_NS6detail17trampoline_kernelINS0_14default_configENS1_20scan_config_selectorIxEEZZNS1_9scan_implILNS1_25lookback_scan_determinismE0ELb0ELb0ES3_N6thrust23THRUST_200600_302600_NS6detail15normal_iteratorINS9_10device_ptrIxEEEENS9_16discard_iteratorINS9_11use_defaultEEEx11max_functorIxExEEDaPvRmT3_T4_T5_mT6_P12ihipStream_tbENKUlT_T0_E_clISt17integral_constantIbLb0EESW_IbLb1EEEEDaSS_ST_EUlSS_E_NS1_11comp_targetILNS1_3genE8ELNS1_11target_archE1030ELNS1_3gpuE2ELNS1_3repE0EEENS1_30default_config_static_selectorELNS0_4arch9wavefront6targetE1EEEvT1_, .Lfunc_end3772-_ZN7rocprim17ROCPRIM_400000_NS6detail17trampoline_kernelINS0_14default_configENS1_20scan_config_selectorIxEEZZNS1_9scan_implILNS1_25lookback_scan_determinismE0ELb0ELb0ES3_N6thrust23THRUST_200600_302600_NS6detail15normal_iteratorINS9_10device_ptrIxEEEENS9_16discard_iteratorINS9_11use_defaultEEEx11max_functorIxExEEDaPvRmT3_T4_T5_mT6_P12ihipStream_tbENKUlT_T0_E_clISt17integral_constantIbLb0EESW_IbLb1EEEEDaSS_ST_EUlSS_E_NS1_11comp_targetILNS1_3genE8ELNS1_11target_archE1030ELNS1_3gpuE2ELNS1_3repE0EEENS1_30default_config_static_selectorELNS0_4arch9wavefront6targetE1EEEvT1_
                                        ; -- End function
	.section	.AMDGPU.csdata,"",@progbits
; Kernel info:
; codeLenInByte = 0
; NumSgprs: 4
; NumVgprs: 0
; NumAgprs: 0
; TotalNumVgprs: 0
; ScratchSize: 0
; MemoryBound: 0
; FloatMode: 240
; IeeeMode: 1
; LDSByteSize: 0 bytes/workgroup (compile time only)
; SGPRBlocks: 0
; VGPRBlocks: 0
; NumSGPRsForWavesPerEU: 4
; NumVGPRsForWavesPerEU: 1
; AccumOffset: 4
; Occupancy: 8
; WaveLimiterHint : 0
; COMPUTE_PGM_RSRC2:SCRATCH_EN: 0
; COMPUTE_PGM_RSRC2:USER_SGPR: 6
; COMPUTE_PGM_RSRC2:TRAP_HANDLER: 0
; COMPUTE_PGM_RSRC2:TGID_X_EN: 1
; COMPUTE_PGM_RSRC2:TGID_Y_EN: 0
; COMPUTE_PGM_RSRC2:TGID_Z_EN: 0
; COMPUTE_PGM_RSRC2:TIDIG_COMP_CNT: 0
; COMPUTE_PGM_RSRC3_GFX90A:ACCUM_OFFSET: 0
; COMPUTE_PGM_RSRC3_GFX90A:TG_SPLIT: 0
	.section	.text._ZN7rocprim17ROCPRIM_400000_NS6detail17trampoline_kernelINS0_14default_configENS1_20scan_config_selectorIxEEZZNS1_9scan_implILNS1_25lookback_scan_determinismE0ELb0ELb0ES3_N6thrust23THRUST_200600_302600_NS6detail15normal_iteratorINS9_10device_ptrIxEEEENS9_16discard_iteratorINS9_11use_defaultEEEx11max_functorIxExEEDaPvRmT3_T4_T5_mT6_P12ihipStream_tbENKUlT_T0_E_clISt17integral_constantIbLb0EESW_IbLb1EEEEDaSS_ST_EUlSS_E0_NS1_11comp_targetILNS1_3genE0ELNS1_11target_archE4294967295ELNS1_3gpuE0ELNS1_3repE0EEENS1_30default_config_static_selectorELNS0_4arch9wavefront6targetE1EEEvT1_,"axG",@progbits,_ZN7rocprim17ROCPRIM_400000_NS6detail17trampoline_kernelINS0_14default_configENS1_20scan_config_selectorIxEEZZNS1_9scan_implILNS1_25lookback_scan_determinismE0ELb0ELb0ES3_N6thrust23THRUST_200600_302600_NS6detail15normal_iteratorINS9_10device_ptrIxEEEENS9_16discard_iteratorINS9_11use_defaultEEEx11max_functorIxExEEDaPvRmT3_T4_T5_mT6_P12ihipStream_tbENKUlT_T0_E_clISt17integral_constantIbLb0EESW_IbLb1EEEEDaSS_ST_EUlSS_E0_NS1_11comp_targetILNS1_3genE0ELNS1_11target_archE4294967295ELNS1_3gpuE0ELNS1_3repE0EEENS1_30default_config_static_selectorELNS0_4arch9wavefront6targetE1EEEvT1_,comdat
	.protected	_ZN7rocprim17ROCPRIM_400000_NS6detail17trampoline_kernelINS0_14default_configENS1_20scan_config_selectorIxEEZZNS1_9scan_implILNS1_25lookback_scan_determinismE0ELb0ELb0ES3_N6thrust23THRUST_200600_302600_NS6detail15normal_iteratorINS9_10device_ptrIxEEEENS9_16discard_iteratorINS9_11use_defaultEEEx11max_functorIxExEEDaPvRmT3_T4_T5_mT6_P12ihipStream_tbENKUlT_T0_E_clISt17integral_constantIbLb0EESW_IbLb1EEEEDaSS_ST_EUlSS_E0_NS1_11comp_targetILNS1_3genE0ELNS1_11target_archE4294967295ELNS1_3gpuE0ELNS1_3repE0EEENS1_30default_config_static_selectorELNS0_4arch9wavefront6targetE1EEEvT1_ ; -- Begin function _ZN7rocprim17ROCPRIM_400000_NS6detail17trampoline_kernelINS0_14default_configENS1_20scan_config_selectorIxEEZZNS1_9scan_implILNS1_25lookback_scan_determinismE0ELb0ELb0ES3_N6thrust23THRUST_200600_302600_NS6detail15normal_iteratorINS9_10device_ptrIxEEEENS9_16discard_iteratorINS9_11use_defaultEEEx11max_functorIxExEEDaPvRmT3_T4_T5_mT6_P12ihipStream_tbENKUlT_T0_E_clISt17integral_constantIbLb0EESW_IbLb1EEEEDaSS_ST_EUlSS_E0_NS1_11comp_targetILNS1_3genE0ELNS1_11target_archE4294967295ELNS1_3gpuE0ELNS1_3repE0EEENS1_30default_config_static_selectorELNS0_4arch9wavefront6targetE1EEEvT1_
	.globl	_ZN7rocprim17ROCPRIM_400000_NS6detail17trampoline_kernelINS0_14default_configENS1_20scan_config_selectorIxEEZZNS1_9scan_implILNS1_25lookback_scan_determinismE0ELb0ELb0ES3_N6thrust23THRUST_200600_302600_NS6detail15normal_iteratorINS9_10device_ptrIxEEEENS9_16discard_iteratorINS9_11use_defaultEEEx11max_functorIxExEEDaPvRmT3_T4_T5_mT6_P12ihipStream_tbENKUlT_T0_E_clISt17integral_constantIbLb0EESW_IbLb1EEEEDaSS_ST_EUlSS_E0_NS1_11comp_targetILNS1_3genE0ELNS1_11target_archE4294967295ELNS1_3gpuE0ELNS1_3repE0EEENS1_30default_config_static_selectorELNS0_4arch9wavefront6targetE1EEEvT1_
	.p2align	8
	.type	_ZN7rocprim17ROCPRIM_400000_NS6detail17trampoline_kernelINS0_14default_configENS1_20scan_config_selectorIxEEZZNS1_9scan_implILNS1_25lookback_scan_determinismE0ELb0ELb0ES3_N6thrust23THRUST_200600_302600_NS6detail15normal_iteratorINS9_10device_ptrIxEEEENS9_16discard_iteratorINS9_11use_defaultEEEx11max_functorIxExEEDaPvRmT3_T4_T5_mT6_P12ihipStream_tbENKUlT_T0_E_clISt17integral_constantIbLb0EESW_IbLb1EEEEDaSS_ST_EUlSS_E0_NS1_11comp_targetILNS1_3genE0ELNS1_11target_archE4294967295ELNS1_3gpuE0ELNS1_3repE0EEENS1_30default_config_static_selectorELNS0_4arch9wavefront6targetE1EEEvT1_,@function
_ZN7rocprim17ROCPRIM_400000_NS6detail17trampoline_kernelINS0_14default_configENS1_20scan_config_selectorIxEEZZNS1_9scan_implILNS1_25lookback_scan_determinismE0ELb0ELb0ES3_N6thrust23THRUST_200600_302600_NS6detail15normal_iteratorINS9_10device_ptrIxEEEENS9_16discard_iteratorINS9_11use_defaultEEEx11max_functorIxExEEDaPvRmT3_T4_T5_mT6_P12ihipStream_tbENKUlT_T0_E_clISt17integral_constantIbLb0EESW_IbLb1EEEEDaSS_ST_EUlSS_E0_NS1_11comp_targetILNS1_3genE0ELNS1_11target_archE4294967295ELNS1_3gpuE0ELNS1_3repE0EEENS1_30default_config_static_selectorELNS0_4arch9wavefront6targetE1EEEvT1_: ; @_ZN7rocprim17ROCPRIM_400000_NS6detail17trampoline_kernelINS0_14default_configENS1_20scan_config_selectorIxEEZZNS1_9scan_implILNS1_25lookback_scan_determinismE0ELb0ELb0ES3_N6thrust23THRUST_200600_302600_NS6detail15normal_iteratorINS9_10device_ptrIxEEEENS9_16discard_iteratorINS9_11use_defaultEEEx11max_functorIxExEEDaPvRmT3_T4_T5_mT6_P12ihipStream_tbENKUlT_T0_E_clISt17integral_constantIbLb0EESW_IbLb1EEEEDaSS_ST_EUlSS_E0_NS1_11comp_targetILNS1_3genE0ELNS1_11target_archE4294967295ELNS1_3gpuE0ELNS1_3repE0EEENS1_30default_config_static_selectorELNS0_4arch9wavefront6targetE1EEEvT1_
; %bb.0:
	.section	.rodata,"a",@progbits
	.p2align	6, 0x0
	.amdhsa_kernel _ZN7rocprim17ROCPRIM_400000_NS6detail17trampoline_kernelINS0_14default_configENS1_20scan_config_selectorIxEEZZNS1_9scan_implILNS1_25lookback_scan_determinismE0ELb0ELb0ES3_N6thrust23THRUST_200600_302600_NS6detail15normal_iteratorINS9_10device_ptrIxEEEENS9_16discard_iteratorINS9_11use_defaultEEEx11max_functorIxExEEDaPvRmT3_T4_T5_mT6_P12ihipStream_tbENKUlT_T0_E_clISt17integral_constantIbLb0EESW_IbLb1EEEEDaSS_ST_EUlSS_E0_NS1_11comp_targetILNS1_3genE0ELNS1_11target_archE4294967295ELNS1_3gpuE0ELNS1_3repE0EEENS1_30default_config_static_selectorELNS0_4arch9wavefront6targetE1EEEvT1_
		.amdhsa_group_segment_fixed_size 0
		.amdhsa_private_segment_fixed_size 0
		.amdhsa_kernarg_size 48
		.amdhsa_user_sgpr_count 6
		.amdhsa_user_sgpr_private_segment_buffer 1
		.amdhsa_user_sgpr_dispatch_ptr 0
		.amdhsa_user_sgpr_queue_ptr 0
		.amdhsa_user_sgpr_kernarg_segment_ptr 1
		.amdhsa_user_sgpr_dispatch_id 0
		.amdhsa_user_sgpr_flat_scratch_init 0
		.amdhsa_user_sgpr_kernarg_preload_length 0
		.amdhsa_user_sgpr_kernarg_preload_offset 0
		.amdhsa_user_sgpr_private_segment_size 0
		.amdhsa_uses_dynamic_stack 0
		.amdhsa_system_sgpr_private_segment_wavefront_offset 0
		.amdhsa_system_sgpr_workgroup_id_x 1
		.amdhsa_system_sgpr_workgroup_id_y 0
		.amdhsa_system_sgpr_workgroup_id_z 0
		.amdhsa_system_sgpr_workgroup_info 0
		.amdhsa_system_vgpr_workitem_id 0
		.amdhsa_next_free_vgpr 1
		.amdhsa_next_free_sgpr 0
		.amdhsa_accum_offset 4
		.amdhsa_reserve_vcc 0
		.amdhsa_reserve_flat_scratch 0
		.amdhsa_float_round_mode_32 0
		.amdhsa_float_round_mode_16_64 0
		.amdhsa_float_denorm_mode_32 3
		.amdhsa_float_denorm_mode_16_64 3
		.amdhsa_dx10_clamp 1
		.amdhsa_ieee_mode 1
		.amdhsa_fp16_overflow 0
		.amdhsa_tg_split 0
		.amdhsa_exception_fp_ieee_invalid_op 0
		.amdhsa_exception_fp_denorm_src 0
		.amdhsa_exception_fp_ieee_div_zero 0
		.amdhsa_exception_fp_ieee_overflow 0
		.amdhsa_exception_fp_ieee_underflow 0
		.amdhsa_exception_fp_ieee_inexact 0
		.amdhsa_exception_int_div_zero 0
	.end_amdhsa_kernel
	.section	.text._ZN7rocprim17ROCPRIM_400000_NS6detail17trampoline_kernelINS0_14default_configENS1_20scan_config_selectorIxEEZZNS1_9scan_implILNS1_25lookback_scan_determinismE0ELb0ELb0ES3_N6thrust23THRUST_200600_302600_NS6detail15normal_iteratorINS9_10device_ptrIxEEEENS9_16discard_iteratorINS9_11use_defaultEEEx11max_functorIxExEEDaPvRmT3_T4_T5_mT6_P12ihipStream_tbENKUlT_T0_E_clISt17integral_constantIbLb0EESW_IbLb1EEEEDaSS_ST_EUlSS_E0_NS1_11comp_targetILNS1_3genE0ELNS1_11target_archE4294967295ELNS1_3gpuE0ELNS1_3repE0EEENS1_30default_config_static_selectorELNS0_4arch9wavefront6targetE1EEEvT1_,"axG",@progbits,_ZN7rocprim17ROCPRIM_400000_NS6detail17trampoline_kernelINS0_14default_configENS1_20scan_config_selectorIxEEZZNS1_9scan_implILNS1_25lookback_scan_determinismE0ELb0ELb0ES3_N6thrust23THRUST_200600_302600_NS6detail15normal_iteratorINS9_10device_ptrIxEEEENS9_16discard_iteratorINS9_11use_defaultEEEx11max_functorIxExEEDaPvRmT3_T4_T5_mT6_P12ihipStream_tbENKUlT_T0_E_clISt17integral_constantIbLb0EESW_IbLb1EEEEDaSS_ST_EUlSS_E0_NS1_11comp_targetILNS1_3genE0ELNS1_11target_archE4294967295ELNS1_3gpuE0ELNS1_3repE0EEENS1_30default_config_static_selectorELNS0_4arch9wavefront6targetE1EEEvT1_,comdat
.Lfunc_end3773:
	.size	_ZN7rocprim17ROCPRIM_400000_NS6detail17trampoline_kernelINS0_14default_configENS1_20scan_config_selectorIxEEZZNS1_9scan_implILNS1_25lookback_scan_determinismE0ELb0ELb0ES3_N6thrust23THRUST_200600_302600_NS6detail15normal_iteratorINS9_10device_ptrIxEEEENS9_16discard_iteratorINS9_11use_defaultEEEx11max_functorIxExEEDaPvRmT3_T4_T5_mT6_P12ihipStream_tbENKUlT_T0_E_clISt17integral_constantIbLb0EESW_IbLb1EEEEDaSS_ST_EUlSS_E0_NS1_11comp_targetILNS1_3genE0ELNS1_11target_archE4294967295ELNS1_3gpuE0ELNS1_3repE0EEENS1_30default_config_static_selectorELNS0_4arch9wavefront6targetE1EEEvT1_, .Lfunc_end3773-_ZN7rocprim17ROCPRIM_400000_NS6detail17trampoline_kernelINS0_14default_configENS1_20scan_config_selectorIxEEZZNS1_9scan_implILNS1_25lookback_scan_determinismE0ELb0ELb0ES3_N6thrust23THRUST_200600_302600_NS6detail15normal_iteratorINS9_10device_ptrIxEEEENS9_16discard_iteratorINS9_11use_defaultEEEx11max_functorIxExEEDaPvRmT3_T4_T5_mT6_P12ihipStream_tbENKUlT_T0_E_clISt17integral_constantIbLb0EESW_IbLb1EEEEDaSS_ST_EUlSS_E0_NS1_11comp_targetILNS1_3genE0ELNS1_11target_archE4294967295ELNS1_3gpuE0ELNS1_3repE0EEENS1_30default_config_static_selectorELNS0_4arch9wavefront6targetE1EEEvT1_
                                        ; -- End function
	.section	.AMDGPU.csdata,"",@progbits
; Kernel info:
; codeLenInByte = 0
; NumSgprs: 4
; NumVgprs: 0
; NumAgprs: 0
; TotalNumVgprs: 0
; ScratchSize: 0
; MemoryBound: 0
; FloatMode: 240
; IeeeMode: 1
; LDSByteSize: 0 bytes/workgroup (compile time only)
; SGPRBlocks: 0
; VGPRBlocks: 0
; NumSGPRsForWavesPerEU: 4
; NumVGPRsForWavesPerEU: 1
; AccumOffset: 4
; Occupancy: 8
; WaveLimiterHint : 0
; COMPUTE_PGM_RSRC2:SCRATCH_EN: 0
; COMPUTE_PGM_RSRC2:USER_SGPR: 6
; COMPUTE_PGM_RSRC2:TRAP_HANDLER: 0
; COMPUTE_PGM_RSRC2:TGID_X_EN: 1
; COMPUTE_PGM_RSRC2:TGID_Y_EN: 0
; COMPUTE_PGM_RSRC2:TGID_Z_EN: 0
; COMPUTE_PGM_RSRC2:TIDIG_COMP_CNT: 0
; COMPUTE_PGM_RSRC3_GFX90A:ACCUM_OFFSET: 0
; COMPUTE_PGM_RSRC3_GFX90A:TG_SPLIT: 0
	.section	.text._ZN7rocprim17ROCPRIM_400000_NS6detail17trampoline_kernelINS0_14default_configENS1_20scan_config_selectorIxEEZZNS1_9scan_implILNS1_25lookback_scan_determinismE0ELb0ELb0ES3_N6thrust23THRUST_200600_302600_NS6detail15normal_iteratorINS9_10device_ptrIxEEEENS9_16discard_iteratorINS9_11use_defaultEEEx11max_functorIxExEEDaPvRmT3_T4_T5_mT6_P12ihipStream_tbENKUlT_T0_E_clISt17integral_constantIbLb0EESW_IbLb1EEEEDaSS_ST_EUlSS_E0_NS1_11comp_targetILNS1_3genE5ELNS1_11target_archE942ELNS1_3gpuE9ELNS1_3repE0EEENS1_30default_config_static_selectorELNS0_4arch9wavefront6targetE1EEEvT1_,"axG",@progbits,_ZN7rocprim17ROCPRIM_400000_NS6detail17trampoline_kernelINS0_14default_configENS1_20scan_config_selectorIxEEZZNS1_9scan_implILNS1_25lookback_scan_determinismE0ELb0ELb0ES3_N6thrust23THRUST_200600_302600_NS6detail15normal_iteratorINS9_10device_ptrIxEEEENS9_16discard_iteratorINS9_11use_defaultEEEx11max_functorIxExEEDaPvRmT3_T4_T5_mT6_P12ihipStream_tbENKUlT_T0_E_clISt17integral_constantIbLb0EESW_IbLb1EEEEDaSS_ST_EUlSS_E0_NS1_11comp_targetILNS1_3genE5ELNS1_11target_archE942ELNS1_3gpuE9ELNS1_3repE0EEENS1_30default_config_static_selectorELNS0_4arch9wavefront6targetE1EEEvT1_,comdat
	.protected	_ZN7rocprim17ROCPRIM_400000_NS6detail17trampoline_kernelINS0_14default_configENS1_20scan_config_selectorIxEEZZNS1_9scan_implILNS1_25lookback_scan_determinismE0ELb0ELb0ES3_N6thrust23THRUST_200600_302600_NS6detail15normal_iteratorINS9_10device_ptrIxEEEENS9_16discard_iteratorINS9_11use_defaultEEEx11max_functorIxExEEDaPvRmT3_T4_T5_mT6_P12ihipStream_tbENKUlT_T0_E_clISt17integral_constantIbLb0EESW_IbLb1EEEEDaSS_ST_EUlSS_E0_NS1_11comp_targetILNS1_3genE5ELNS1_11target_archE942ELNS1_3gpuE9ELNS1_3repE0EEENS1_30default_config_static_selectorELNS0_4arch9wavefront6targetE1EEEvT1_ ; -- Begin function _ZN7rocprim17ROCPRIM_400000_NS6detail17trampoline_kernelINS0_14default_configENS1_20scan_config_selectorIxEEZZNS1_9scan_implILNS1_25lookback_scan_determinismE0ELb0ELb0ES3_N6thrust23THRUST_200600_302600_NS6detail15normal_iteratorINS9_10device_ptrIxEEEENS9_16discard_iteratorINS9_11use_defaultEEEx11max_functorIxExEEDaPvRmT3_T4_T5_mT6_P12ihipStream_tbENKUlT_T0_E_clISt17integral_constantIbLb0EESW_IbLb1EEEEDaSS_ST_EUlSS_E0_NS1_11comp_targetILNS1_3genE5ELNS1_11target_archE942ELNS1_3gpuE9ELNS1_3repE0EEENS1_30default_config_static_selectorELNS0_4arch9wavefront6targetE1EEEvT1_
	.globl	_ZN7rocprim17ROCPRIM_400000_NS6detail17trampoline_kernelINS0_14default_configENS1_20scan_config_selectorIxEEZZNS1_9scan_implILNS1_25lookback_scan_determinismE0ELb0ELb0ES3_N6thrust23THRUST_200600_302600_NS6detail15normal_iteratorINS9_10device_ptrIxEEEENS9_16discard_iteratorINS9_11use_defaultEEEx11max_functorIxExEEDaPvRmT3_T4_T5_mT6_P12ihipStream_tbENKUlT_T0_E_clISt17integral_constantIbLb0EESW_IbLb1EEEEDaSS_ST_EUlSS_E0_NS1_11comp_targetILNS1_3genE5ELNS1_11target_archE942ELNS1_3gpuE9ELNS1_3repE0EEENS1_30default_config_static_selectorELNS0_4arch9wavefront6targetE1EEEvT1_
	.p2align	8
	.type	_ZN7rocprim17ROCPRIM_400000_NS6detail17trampoline_kernelINS0_14default_configENS1_20scan_config_selectorIxEEZZNS1_9scan_implILNS1_25lookback_scan_determinismE0ELb0ELb0ES3_N6thrust23THRUST_200600_302600_NS6detail15normal_iteratorINS9_10device_ptrIxEEEENS9_16discard_iteratorINS9_11use_defaultEEEx11max_functorIxExEEDaPvRmT3_T4_T5_mT6_P12ihipStream_tbENKUlT_T0_E_clISt17integral_constantIbLb0EESW_IbLb1EEEEDaSS_ST_EUlSS_E0_NS1_11comp_targetILNS1_3genE5ELNS1_11target_archE942ELNS1_3gpuE9ELNS1_3repE0EEENS1_30default_config_static_selectorELNS0_4arch9wavefront6targetE1EEEvT1_,@function
_ZN7rocprim17ROCPRIM_400000_NS6detail17trampoline_kernelINS0_14default_configENS1_20scan_config_selectorIxEEZZNS1_9scan_implILNS1_25lookback_scan_determinismE0ELb0ELb0ES3_N6thrust23THRUST_200600_302600_NS6detail15normal_iteratorINS9_10device_ptrIxEEEENS9_16discard_iteratorINS9_11use_defaultEEEx11max_functorIxExEEDaPvRmT3_T4_T5_mT6_P12ihipStream_tbENKUlT_T0_E_clISt17integral_constantIbLb0EESW_IbLb1EEEEDaSS_ST_EUlSS_E0_NS1_11comp_targetILNS1_3genE5ELNS1_11target_archE942ELNS1_3gpuE9ELNS1_3repE0EEENS1_30default_config_static_selectorELNS0_4arch9wavefront6targetE1EEEvT1_: ; @_ZN7rocprim17ROCPRIM_400000_NS6detail17trampoline_kernelINS0_14default_configENS1_20scan_config_selectorIxEEZZNS1_9scan_implILNS1_25lookback_scan_determinismE0ELb0ELb0ES3_N6thrust23THRUST_200600_302600_NS6detail15normal_iteratorINS9_10device_ptrIxEEEENS9_16discard_iteratorINS9_11use_defaultEEEx11max_functorIxExEEDaPvRmT3_T4_T5_mT6_P12ihipStream_tbENKUlT_T0_E_clISt17integral_constantIbLb0EESW_IbLb1EEEEDaSS_ST_EUlSS_E0_NS1_11comp_targetILNS1_3genE5ELNS1_11target_archE942ELNS1_3gpuE9ELNS1_3repE0EEENS1_30default_config_static_selectorELNS0_4arch9wavefront6targetE1EEEvT1_
; %bb.0:
	.section	.rodata,"a",@progbits
	.p2align	6, 0x0
	.amdhsa_kernel _ZN7rocprim17ROCPRIM_400000_NS6detail17trampoline_kernelINS0_14default_configENS1_20scan_config_selectorIxEEZZNS1_9scan_implILNS1_25lookback_scan_determinismE0ELb0ELb0ES3_N6thrust23THRUST_200600_302600_NS6detail15normal_iteratorINS9_10device_ptrIxEEEENS9_16discard_iteratorINS9_11use_defaultEEEx11max_functorIxExEEDaPvRmT3_T4_T5_mT6_P12ihipStream_tbENKUlT_T0_E_clISt17integral_constantIbLb0EESW_IbLb1EEEEDaSS_ST_EUlSS_E0_NS1_11comp_targetILNS1_3genE5ELNS1_11target_archE942ELNS1_3gpuE9ELNS1_3repE0EEENS1_30default_config_static_selectorELNS0_4arch9wavefront6targetE1EEEvT1_
		.amdhsa_group_segment_fixed_size 0
		.amdhsa_private_segment_fixed_size 0
		.amdhsa_kernarg_size 48
		.amdhsa_user_sgpr_count 6
		.amdhsa_user_sgpr_private_segment_buffer 1
		.amdhsa_user_sgpr_dispatch_ptr 0
		.amdhsa_user_sgpr_queue_ptr 0
		.amdhsa_user_sgpr_kernarg_segment_ptr 1
		.amdhsa_user_sgpr_dispatch_id 0
		.amdhsa_user_sgpr_flat_scratch_init 0
		.amdhsa_user_sgpr_kernarg_preload_length 0
		.amdhsa_user_sgpr_kernarg_preload_offset 0
		.amdhsa_user_sgpr_private_segment_size 0
		.amdhsa_uses_dynamic_stack 0
		.amdhsa_system_sgpr_private_segment_wavefront_offset 0
		.amdhsa_system_sgpr_workgroup_id_x 1
		.amdhsa_system_sgpr_workgroup_id_y 0
		.amdhsa_system_sgpr_workgroup_id_z 0
		.amdhsa_system_sgpr_workgroup_info 0
		.amdhsa_system_vgpr_workitem_id 0
		.amdhsa_next_free_vgpr 1
		.amdhsa_next_free_sgpr 0
		.amdhsa_accum_offset 4
		.amdhsa_reserve_vcc 0
		.amdhsa_reserve_flat_scratch 0
		.amdhsa_float_round_mode_32 0
		.amdhsa_float_round_mode_16_64 0
		.amdhsa_float_denorm_mode_32 3
		.amdhsa_float_denorm_mode_16_64 3
		.amdhsa_dx10_clamp 1
		.amdhsa_ieee_mode 1
		.amdhsa_fp16_overflow 0
		.amdhsa_tg_split 0
		.amdhsa_exception_fp_ieee_invalid_op 0
		.amdhsa_exception_fp_denorm_src 0
		.amdhsa_exception_fp_ieee_div_zero 0
		.amdhsa_exception_fp_ieee_overflow 0
		.amdhsa_exception_fp_ieee_underflow 0
		.amdhsa_exception_fp_ieee_inexact 0
		.amdhsa_exception_int_div_zero 0
	.end_amdhsa_kernel
	.section	.text._ZN7rocprim17ROCPRIM_400000_NS6detail17trampoline_kernelINS0_14default_configENS1_20scan_config_selectorIxEEZZNS1_9scan_implILNS1_25lookback_scan_determinismE0ELb0ELb0ES3_N6thrust23THRUST_200600_302600_NS6detail15normal_iteratorINS9_10device_ptrIxEEEENS9_16discard_iteratorINS9_11use_defaultEEEx11max_functorIxExEEDaPvRmT3_T4_T5_mT6_P12ihipStream_tbENKUlT_T0_E_clISt17integral_constantIbLb0EESW_IbLb1EEEEDaSS_ST_EUlSS_E0_NS1_11comp_targetILNS1_3genE5ELNS1_11target_archE942ELNS1_3gpuE9ELNS1_3repE0EEENS1_30default_config_static_selectorELNS0_4arch9wavefront6targetE1EEEvT1_,"axG",@progbits,_ZN7rocprim17ROCPRIM_400000_NS6detail17trampoline_kernelINS0_14default_configENS1_20scan_config_selectorIxEEZZNS1_9scan_implILNS1_25lookback_scan_determinismE0ELb0ELb0ES3_N6thrust23THRUST_200600_302600_NS6detail15normal_iteratorINS9_10device_ptrIxEEEENS9_16discard_iteratorINS9_11use_defaultEEEx11max_functorIxExEEDaPvRmT3_T4_T5_mT6_P12ihipStream_tbENKUlT_T0_E_clISt17integral_constantIbLb0EESW_IbLb1EEEEDaSS_ST_EUlSS_E0_NS1_11comp_targetILNS1_3genE5ELNS1_11target_archE942ELNS1_3gpuE9ELNS1_3repE0EEENS1_30default_config_static_selectorELNS0_4arch9wavefront6targetE1EEEvT1_,comdat
.Lfunc_end3774:
	.size	_ZN7rocprim17ROCPRIM_400000_NS6detail17trampoline_kernelINS0_14default_configENS1_20scan_config_selectorIxEEZZNS1_9scan_implILNS1_25lookback_scan_determinismE0ELb0ELb0ES3_N6thrust23THRUST_200600_302600_NS6detail15normal_iteratorINS9_10device_ptrIxEEEENS9_16discard_iteratorINS9_11use_defaultEEEx11max_functorIxExEEDaPvRmT3_T4_T5_mT6_P12ihipStream_tbENKUlT_T0_E_clISt17integral_constantIbLb0EESW_IbLb1EEEEDaSS_ST_EUlSS_E0_NS1_11comp_targetILNS1_3genE5ELNS1_11target_archE942ELNS1_3gpuE9ELNS1_3repE0EEENS1_30default_config_static_selectorELNS0_4arch9wavefront6targetE1EEEvT1_, .Lfunc_end3774-_ZN7rocprim17ROCPRIM_400000_NS6detail17trampoline_kernelINS0_14default_configENS1_20scan_config_selectorIxEEZZNS1_9scan_implILNS1_25lookback_scan_determinismE0ELb0ELb0ES3_N6thrust23THRUST_200600_302600_NS6detail15normal_iteratorINS9_10device_ptrIxEEEENS9_16discard_iteratorINS9_11use_defaultEEEx11max_functorIxExEEDaPvRmT3_T4_T5_mT6_P12ihipStream_tbENKUlT_T0_E_clISt17integral_constantIbLb0EESW_IbLb1EEEEDaSS_ST_EUlSS_E0_NS1_11comp_targetILNS1_3genE5ELNS1_11target_archE942ELNS1_3gpuE9ELNS1_3repE0EEENS1_30default_config_static_selectorELNS0_4arch9wavefront6targetE1EEEvT1_
                                        ; -- End function
	.section	.AMDGPU.csdata,"",@progbits
; Kernel info:
; codeLenInByte = 0
; NumSgprs: 4
; NumVgprs: 0
; NumAgprs: 0
; TotalNumVgprs: 0
; ScratchSize: 0
; MemoryBound: 0
; FloatMode: 240
; IeeeMode: 1
; LDSByteSize: 0 bytes/workgroup (compile time only)
; SGPRBlocks: 0
; VGPRBlocks: 0
; NumSGPRsForWavesPerEU: 4
; NumVGPRsForWavesPerEU: 1
; AccumOffset: 4
; Occupancy: 8
; WaveLimiterHint : 0
; COMPUTE_PGM_RSRC2:SCRATCH_EN: 0
; COMPUTE_PGM_RSRC2:USER_SGPR: 6
; COMPUTE_PGM_RSRC2:TRAP_HANDLER: 0
; COMPUTE_PGM_RSRC2:TGID_X_EN: 1
; COMPUTE_PGM_RSRC2:TGID_Y_EN: 0
; COMPUTE_PGM_RSRC2:TGID_Z_EN: 0
; COMPUTE_PGM_RSRC2:TIDIG_COMP_CNT: 0
; COMPUTE_PGM_RSRC3_GFX90A:ACCUM_OFFSET: 0
; COMPUTE_PGM_RSRC3_GFX90A:TG_SPLIT: 0
	.section	.text._ZN7rocprim17ROCPRIM_400000_NS6detail17trampoline_kernelINS0_14default_configENS1_20scan_config_selectorIxEEZZNS1_9scan_implILNS1_25lookback_scan_determinismE0ELb0ELb0ES3_N6thrust23THRUST_200600_302600_NS6detail15normal_iteratorINS9_10device_ptrIxEEEENS9_16discard_iteratorINS9_11use_defaultEEEx11max_functorIxExEEDaPvRmT3_T4_T5_mT6_P12ihipStream_tbENKUlT_T0_E_clISt17integral_constantIbLb0EESW_IbLb1EEEEDaSS_ST_EUlSS_E0_NS1_11comp_targetILNS1_3genE4ELNS1_11target_archE910ELNS1_3gpuE8ELNS1_3repE0EEENS1_30default_config_static_selectorELNS0_4arch9wavefront6targetE1EEEvT1_,"axG",@progbits,_ZN7rocprim17ROCPRIM_400000_NS6detail17trampoline_kernelINS0_14default_configENS1_20scan_config_selectorIxEEZZNS1_9scan_implILNS1_25lookback_scan_determinismE0ELb0ELb0ES3_N6thrust23THRUST_200600_302600_NS6detail15normal_iteratorINS9_10device_ptrIxEEEENS9_16discard_iteratorINS9_11use_defaultEEEx11max_functorIxExEEDaPvRmT3_T4_T5_mT6_P12ihipStream_tbENKUlT_T0_E_clISt17integral_constantIbLb0EESW_IbLb1EEEEDaSS_ST_EUlSS_E0_NS1_11comp_targetILNS1_3genE4ELNS1_11target_archE910ELNS1_3gpuE8ELNS1_3repE0EEENS1_30default_config_static_selectorELNS0_4arch9wavefront6targetE1EEEvT1_,comdat
	.protected	_ZN7rocprim17ROCPRIM_400000_NS6detail17trampoline_kernelINS0_14default_configENS1_20scan_config_selectorIxEEZZNS1_9scan_implILNS1_25lookback_scan_determinismE0ELb0ELb0ES3_N6thrust23THRUST_200600_302600_NS6detail15normal_iteratorINS9_10device_ptrIxEEEENS9_16discard_iteratorINS9_11use_defaultEEEx11max_functorIxExEEDaPvRmT3_T4_T5_mT6_P12ihipStream_tbENKUlT_T0_E_clISt17integral_constantIbLb0EESW_IbLb1EEEEDaSS_ST_EUlSS_E0_NS1_11comp_targetILNS1_3genE4ELNS1_11target_archE910ELNS1_3gpuE8ELNS1_3repE0EEENS1_30default_config_static_selectorELNS0_4arch9wavefront6targetE1EEEvT1_ ; -- Begin function _ZN7rocprim17ROCPRIM_400000_NS6detail17trampoline_kernelINS0_14default_configENS1_20scan_config_selectorIxEEZZNS1_9scan_implILNS1_25lookback_scan_determinismE0ELb0ELb0ES3_N6thrust23THRUST_200600_302600_NS6detail15normal_iteratorINS9_10device_ptrIxEEEENS9_16discard_iteratorINS9_11use_defaultEEEx11max_functorIxExEEDaPvRmT3_T4_T5_mT6_P12ihipStream_tbENKUlT_T0_E_clISt17integral_constantIbLb0EESW_IbLb1EEEEDaSS_ST_EUlSS_E0_NS1_11comp_targetILNS1_3genE4ELNS1_11target_archE910ELNS1_3gpuE8ELNS1_3repE0EEENS1_30default_config_static_selectorELNS0_4arch9wavefront6targetE1EEEvT1_
	.globl	_ZN7rocprim17ROCPRIM_400000_NS6detail17trampoline_kernelINS0_14default_configENS1_20scan_config_selectorIxEEZZNS1_9scan_implILNS1_25lookback_scan_determinismE0ELb0ELb0ES3_N6thrust23THRUST_200600_302600_NS6detail15normal_iteratorINS9_10device_ptrIxEEEENS9_16discard_iteratorINS9_11use_defaultEEEx11max_functorIxExEEDaPvRmT3_T4_T5_mT6_P12ihipStream_tbENKUlT_T0_E_clISt17integral_constantIbLb0EESW_IbLb1EEEEDaSS_ST_EUlSS_E0_NS1_11comp_targetILNS1_3genE4ELNS1_11target_archE910ELNS1_3gpuE8ELNS1_3repE0EEENS1_30default_config_static_selectorELNS0_4arch9wavefront6targetE1EEEvT1_
	.p2align	8
	.type	_ZN7rocprim17ROCPRIM_400000_NS6detail17trampoline_kernelINS0_14default_configENS1_20scan_config_selectorIxEEZZNS1_9scan_implILNS1_25lookback_scan_determinismE0ELb0ELb0ES3_N6thrust23THRUST_200600_302600_NS6detail15normal_iteratorINS9_10device_ptrIxEEEENS9_16discard_iteratorINS9_11use_defaultEEEx11max_functorIxExEEDaPvRmT3_T4_T5_mT6_P12ihipStream_tbENKUlT_T0_E_clISt17integral_constantIbLb0EESW_IbLb1EEEEDaSS_ST_EUlSS_E0_NS1_11comp_targetILNS1_3genE4ELNS1_11target_archE910ELNS1_3gpuE8ELNS1_3repE0EEENS1_30default_config_static_selectorELNS0_4arch9wavefront6targetE1EEEvT1_,@function
_ZN7rocprim17ROCPRIM_400000_NS6detail17trampoline_kernelINS0_14default_configENS1_20scan_config_selectorIxEEZZNS1_9scan_implILNS1_25lookback_scan_determinismE0ELb0ELb0ES3_N6thrust23THRUST_200600_302600_NS6detail15normal_iteratorINS9_10device_ptrIxEEEENS9_16discard_iteratorINS9_11use_defaultEEEx11max_functorIxExEEDaPvRmT3_T4_T5_mT6_P12ihipStream_tbENKUlT_T0_E_clISt17integral_constantIbLb0EESW_IbLb1EEEEDaSS_ST_EUlSS_E0_NS1_11comp_targetILNS1_3genE4ELNS1_11target_archE910ELNS1_3gpuE8ELNS1_3repE0EEENS1_30default_config_static_selectorELNS0_4arch9wavefront6targetE1EEEvT1_: ; @_ZN7rocprim17ROCPRIM_400000_NS6detail17trampoline_kernelINS0_14default_configENS1_20scan_config_selectorIxEEZZNS1_9scan_implILNS1_25lookback_scan_determinismE0ELb0ELb0ES3_N6thrust23THRUST_200600_302600_NS6detail15normal_iteratorINS9_10device_ptrIxEEEENS9_16discard_iteratorINS9_11use_defaultEEEx11max_functorIxExEEDaPvRmT3_T4_T5_mT6_P12ihipStream_tbENKUlT_T0_E_clISt17integral_constantIbLb0EESW_IbLb1EEEEDaSS_ST_EUlSS_E0_NS1_11comp_targetILNS1_3genE4ELNS1_11target_archE910ELNS1_3gpuE8ELNS1_3repE0EEENS1_30default_config_static_selectorELNS0_4arch9wavefront6targetE1EEEvT1_
; %bb.0:
	s_load_dwordx4 s[0:3], s[4:5], 0x0
	v_lshlrev_b32_e32 v1, 3, v0
	s_waitcnt lgkmcnt(0)
	s_load_dwordx2 s[4:5], s[0:1], 0x0
	v_cmp_gt_u32_e32 vcc, s2, v0
	s_waitcnt lgkmcnt(0)
	v_pk_mov_b32 v[2:3], s[4:5], s[4:5] op_sel:[0,1]
	s_and_saveexec_b64 s[6:7], vcc
	s_cbranch_execz .LBB3775_2
; %bb.1:
	global_load_dwordx2 v[2:3], v1, s[0:1]
.LBB3775_2:
	s_or_b64 exec, exec, s[6:7]
	v_or_b32_e32 v4, 0x80, v0
	v_cmp_gt_u32_e32 vcc, s2, v4
	v_pk_mov_b32 v[4:5], s[4:5], s[4:5] op_sel:[0,1]
	s_and_saveexec_b64 s[6:7], vcc
	s_cbranch_execz .LBB3775_4
; %bb.3:
	global_load_dwordx2 v[4:5], v1, s[0:1] offset:1024
.LBB3775_4:
	s_or_b64 exec, exec, s[6:7]
	v_or_b32_e32 v6, 0x100, v0
	v_cmp_gt_u32_e32 vcc, s2, v6
	v_pk_mov_b32 v[6:7], s[4:5], s[4:5] op_sel:[0,1]
	s_and_saveexec_b64 s[6:7], vcc
	s_cbranch_execz .LBB3775_6
; %bb.5:
	global_load_dwordx2 v[6:7], v1, s[0:1] offset:2048
.LBB3775_6:
	;; [unrolled: 9-line block ×3, first 2 shown]
	s_or_b64 exec, exec, s[6:7]
	v_or_b32_e32 v12, 0x200, v0
	v_cmp_gt_u32_e32 vcc, s2, v12
	v_pk_mov_b32 v[10:11], s[4:5], s[4:5] op_sel:[0,1]
	s_and_saveexec_b64 s[6:7], vcc
	s_cbranch_execz .LBB3775_10
; %bb.9:
	v_lshlrev_b32_e32 v10, 3, v12
	global_load_dwordx2 v[10:11], v10, s[0:1]
.LBB3775_10:
	s_or_b64 exec, exec, s[6:7]
	v_or_b32_e32 v14, 0x280, v0
	v_cmp_gt_u32_e32 vcc, s2, v14
	v_pk_mov_b32 v[12:13], s[4:5], s[4:5] op_sel:[0,1]
	s_and_saveexec_b64 s[6:7], vcc
	s_cbranch_execz .LBB3775_12
; %bb.11:
	v_lshlrev_b32_e32 v12, 3, v14
	global_load_dwordx2 v[12:13], v12, s[0:1]
.LBB3775_12:
	;; [unrolled: 10-line block ×3, first 2 shown]
	s_or_b64 exec, exec, s[2:3]
	s_waitcnt vmcnt(0)
	ds_write2st64_b64 v1, v[2:3], v[4:5] offset1:2
	ds_write2st64_b64 v1, v[6:7], v[8:9] offset0:4 offset1:6
	ds_write2st64_b64 v1, v[10:11], v[12:13] offset0:8 offset1:10
	ds_write_b64 v1, v[14:15] offset:6144
	v_mad_u32_u24 v14, v0, 48, v1
	s_waitcnt lgkmcnt(0)
	s_barrier
	ds_read2_b64 v[2:5], v14 offset1:1
	ds_read2_b64 v[10:13], v14 offset0:2 offset1:3
	ds_read2_b64 v[6:9], v14 offset0:4 offset1:5
	ds_read_b64 v[26:27], v14 offset:48
	v_lshrrev_b32_e32 v14, 2, v0
	s_waitcnt lgkmcnt(3)
	v_cmp_gt_i64_e32 vcc, v[2:3], v[4:5]
	v_cndmask_b32_e32 v19, v5, v3, vcc
	v_cndmask_b32_e32 v18, v4, v2, vcc
	s_waitcnt lgkmcnt(2)
	v_cmp_gt_i64_e32 vcc, v[18:19], v[10:11]
	v_cndmask_b32_e32 v21, v11, v19, vcc
	v_cndmask_b32_e32 v20, v10, v18, vcc
	v_cmp_gt_i64_e32 vcc, v[20:21], v[12:13]
	v_cndmask_b32_e32 v23, v13, v21, vcc
	v_cndmask_b32_e32 v22, v12, v20, vcc
	s_waitcnt lgkmcnt(1)
	v_cmp_gt_i64_e32 vcc, v[22:23], v[6:7]
	v_cndmask_b32_e32 v25, v7, v23, vcc
	v_cndmask_b32_e32 v24, v6, v22, vcc
	v_cmp_gt_i64_e32 vcc, v[24:25], v[8:9]
	v_cndmask_b32_e32 v29, v9, v25, vcc
	v_cndmask_b32_e32 v28, v8, v24, vcc
	s_waitcnt lgkmcnt(0)
	v_cmp_gt_i64_e32 vcc, v[28:29], v[26:27]
	v_and_b32_e32 v14, 24, v14
	v_cndmask_b32_e32 v31, v27, v29, vcc
	v_cndmask_b32_e32 v30, v26, v28, vcc
	v_add_u32_e32 v14, v1, v14
	v_cmp_gt_u32_e32 vcc, 64, v0
	s_barrier
	ds_write_b64 v14, v[30:31]
	s_waitcnt lgkmcnt(0)
	s_barrier
	s_and_saveexec_b64 s[2:3], vcc
	s_cbranch_execz .LBB3775_18
; %bb.15:
	v_lshlrev_b32_e32 v14, 1, v0
	v_lshrrev_b32_e32 v15, 4, v0
	v_add_lshl_u32 v36, v15, v14, 3
	ds_read2_b64 v[14:17], v36 offset1:1
	v_mbcnt_lo_u32_b32 v32, -1, 0
	v_mbcnt_hi_u32_b32 v37, -1, v32
	v_and_b32_e32 v38, 15, v37
	v_and_b32_e32 v40, 16, v37
	s_waitcnt lgkmcnt(0)
	v_cmp_gt_i64_e32 vcc, v[14:15], v[16:17]
	v_cndmask_b32_e32 v17, v17, v15, vcc
	v_cndmask_b32_e32 v16, v16, v14, vcc
	v_cmp_ne_u32_e64 s[0:1], 0, v37
	v_mov_b32_dpp v33, v17 row_shr:1 row_mask:0xf bank_mask:0xf
	v_mov_b32_dpp v32, v16 row_shr:1 row_mask:0xf bank_mask:0xf
	v_cmp_gt_i64_e32 vcc, v[32:33], v[16:17]
	v_cndmask_b32_e32 v32, v16, v32, vcc
	v_cndmask_b32_e32 v33, v17, v33, vcc
	v_cmp_eq_u32_e32 vcc, 0, v38
	v_cndmask_b32_e32 v33, v33, v17, vcc
	v_cndmask_b32_e32 v32, v32, v16, vcc
	s_nop 0
	v_mov_b32_dpp v35, v33 row_shr:2 row_mask:0xf bank_mask:0xf
	v_mov_b32_dpp v34, v32 row_shr:2 row_mask:0xf bank_mask:0xf
	v_cmp_gt_i64_e32 vcc, v[34:35], v[32:33]
	v_cndmask_b32_e32 v34, v32, v34, vcc
	v_cndmask_b32_e32 v35, v33, v35, vcc
	v_cmp_lt_u32_e32 vcc, 1, v38
	v_cndmask_b32_e32 v33, v33, v35, vcc
	v_cndmask_b32_e32 v32, v32, v34, vcc
	s_nop 0
	v_mov_b32_dpp v35, v33 row_shr:4 row_mask:0xf bank_mask:0xf
	v_mov_b32_dpp v34, v32 row_shr:4 row_mask:0xf bank_mask:0xf
	v_cmp_gt_i64_e32 vcc, v[34:35], v[32:33]
	v_cndmask_b32_e32 v34, v32, v34, vcc
	v_cndmask_b32_e32 v35, v33, v35, vcc
	v_cmp_lt_u32_e32 vcc, 3, v38
	v_cndmask_b32_e32 v33, v33, v35, vcc
	v_cndmask_b32_e32 v32, v32, v34, vcc
	s_nop 0
	v_mov_b32_dpp v35, v33 row_shr:8 row_mask:0xf bank_mask:0xf
	v_mov_b32_dpp v34, v32 row_shr:8 row_mask:0xf bank_mask:0xf
	v_cmp_gt_i64_e32 vcc, v[34:35], v[32:33]
	v_cndmask_b32_e32 v34, v32, v34, vcc
	v_cndmask_b32_e32 v35, v33, v35, vcc
	v_cmp_lt_u32_e32 vcc, 7, v38
	v_cndmask_b32_e32 v33, v33, v35, vcc
	v_cndmask_b32_e32 v32, v32, v34, vcc
	s_nop 0
	v_mov_b32_dpp v35, v33 row_bcast:15 row_mask:0xf bank_mask:0xf
	v_mov_b32_dpp v34, v32 row_bcast:15 row_mask:0xf bank_mask:0xf
	v_cmp_gt_i64_e32 vcc, v[34:35], v[32:33]
	v_cndmask_b32_e32 v38, v33, v35, vcc
	v_cndmask_b32_e32 v39, v32, v34, vcc
	v_cmp_eq_u32_e32 vcc, 0, v40
	v_cndmask_b32_e32 v35, v38, v33, vcc
	v_cndmask_b32_e32 v34, v39, v32, vcc
	s_nop 0
	v_mov_b32_dpp v35, v35 row_bcast:31 row_mask:0xf bank_mask:0xf
	v_mov_b32_dpp v34, v34 row_bcast:31 row_mask:0xf bank_mask:0xf
	s_and_saveexec_b64 s[4:5], s[0:1]
; %bb.16:
	v_cndmask_b32_e32 v17, v38, v33, vcc
	v_cndmask_b32_e32 v16, v39, v32, vcc
	v_cmp_lt_u32_e64 s[0:1], 31, v37
	v_cmp_gt_i64_e32 vcc, v[34:35], v[16:17]
	s_and_b64 vcc, s[0:1], vcc
	v_cndmask_b32_e32 v16, v16, v34, vcc
	v_cndmask_b32_e32 v17, v17, v35, vcc
; %bb.17:
	s_or_b64 exec, exec, s[4:5]
	v_add_u32_e32 v32, -1, v37
	v_and_b32_e32 v33, 64, v37
	v_cmp_lt_i32_e32 vcc, v32, v33
	v_cndmask_b32_e32 v32, v32, v37, vcc
	v_lshlrev_b32_e32 v32, 2, v32
	ds_bpermute_b32 v16, v32, v16
	ds_bpermute_b32 v17, v32, v17
	; wave barrier
	s_waitcnt lgkmcnt(0)
	v_cmp_gt_i64_e32 vcc, v[16:17], v[14:15]
	v_cndmask_b32_e32 v14, v14, v16, vcc
	v_cndmask_b32_e32 v15, v15, v17, vcc
	v_cmp_eq_u32_e32 vcc, 0, v0
	v_cndmask_b32_e32 v15, v15, v31, vcc
	v_cndmask_b32_e32 v14, v14, v30, vcc
	ds_write_b64 v36, v[14:15]
	; wave barrier
	ds_read_b64 v[16:17], v36 offset:8
	s_waitcnt lgkmcnt(0)
	v_cmp_gt_i64_e32 vcc, v[14:15], v[16:17]
	v_cndmask_b32_e32 v15, v17, v15, vcc
	v_cndmask_b32_e32 v14, v16, v14, vcc
	ds_write_b64 v36, v[14:15] offset:8
.LBB3775_18:
	s_or_b64 exec, exec, s[2:3]
	v_mul_u32_u24_e32 v16, 48, v0
	v_cmp_ne_u32_e32 vcc, 0, v0
	v_pk_mov_b32 v[14:15], v[30:31], v[30:31] op_sel:[0,1]
	s_waitcnt lgkmcnt(0)
	s_barrier
	s_and_saveexec_b64 s[0:1], vcc
	s_cbranch_execz .LBB3775_20
; %bb.19:
	v_add_u32_e32 v0, -1, v0
	v_lshrrev_b32_e32 v14, 5, v0
	v_add_lshl_u32 v0, v14, v0, 3
	ds_read_b64 v[14:15], v0
.LBB3775_20:
	s_or_b64 exec, exec, s[0:1]
	s_and_saveexec_b64 s[0:1], vcc
	s_cbranch_execz .LBB3775_22
; %bb.21:
	s_waitcnt lgkmcnt(0)
	v_cmp_gt_i64_e32 vcc, v[14:15], v[2:3]
	v_cndmask_b32_e32 v3, v3, v15, vcc
	v_cndmask_b32_e32 v2, v2, v14, vcc
	v_cmp_gt_i64_e32 vcc, v[2:3], v[4:5]
	v_cndmask_b32_e32 v19, v5, v3, vcc
	v_cndmask_b32_e32 v18, v4, v2, vcc
	;; [unrolled: 3-line block ×7, first 2 shown]
	;;#ASMSTART
	;;#ASMEND
.LBB3775_22:
	s_or_b64 exec, exec, s[0:1]
	v_add_u32_e32 v0, v1, v16
	s_waitcnt lgkmcnt(0)
	s_barrier
	ds_write2_b64 v0, v[2:3], v[18:19] offset1:1
	ds_write2_b64 v0, v[20:21], v[22:23] offset0:2 offset1:3
	ds_write2_b64 v0, v[24:25], v[28:29] offset0:4 offset1:5
	ds_write_b64 v0, v[30:31] offset:48
	s_waitcnt lgkmcnt(0)
	s_barrier
	s_endpgm
	.section	.rodata,"a",@progbits
	.p2align	6, 0x0
	.amdhsa_kernel _ZN7rocprim17ROCPRIM_400000_NS6detail17trampoline_kernelINS0_14default_configENS1_20scan_config_selectorIxEEZZNS1_9scan_implILNS1_25lookback_scan_determinismE0ELb0ELb0ES3_N6thrust23THRUST_200600_302600_NS6detail15normal_iteratorINS9_10device_ptrIxEEEENS9_16discard_iteratorINS9_11use_defaultEEEx11max_functorIxExEEDaPvRmT3_T4_T5_mT6_P12ihipStream_tbENKUlT_T0_E_clISt17integral_constantIbLb0EESW_IbLb1EEEEDaSS_ST_EUlSS_E0_NS1_11comp_targetILNS1_3genE4ELNS1_11target_archE910ELNS1_3gpuE8ELNS1_3repE0EEENS1_30default_config_static_selectorELNS0_4arch9wavefront6targetE1EEEvT1_
		.amdhsa_group_segment_fixed_size 7168
		.amdhsa_private_segment_fixed_size 0
		.amdhsa_kernarg_size 48
		.amdhsa_user_sgpr_count 6
		.amdhsa_user_sgpr_private_segment_buffer 1
		.amdhsa_user_sgpr_dispatch_ptr 0
		.amdhsa_user_sgpr_queue_ptr 0
		.amdhsa_user_sgpr_kernarg_segment_ptr 1
		.amdhsa_user_sgpr_dispatch_id 0
		.amdhsa_user_sgpr_flat_scratch_init 0
		.amdhsa_user_sgpr_kernarg_preload_length 0
		.amdhsa_user_sgpr_kernarg_preload_offset 0
		.amdhsa_user_sgpr_private_segment_size 0
		.amdhsa_uses_dynamic_stack 0
		.amdhsa_system_sgpr_private_segment_wavefront_offset 0
		.amdhsa_system_sgpr_workgroup_id_x 1
		.amdhsa_system_sgpr_workgroup_id_y 0
		.amdhsa_system_sgpr_workgroup_id_z 0
		.amdhsa_system_sgpr_workgroup_info 0
		.amdhsa_system_vgpr_workitem_id 0
		.amdhsa_next_free_vgpr 41
		.amdhsa_next_free_sgpr 8
		.amdhsa_accum_offset 44
		.amdhsa_reserve_vcc 1
		.amdhsa_reserve_flat_scratch 0
		.amdhsa_float_round_mode_32 0
		.amdhsa_float_round_mode_16_64 0
		.amdhsa_float_denorm_mode_32 3
		.amdhsa_float_denorm_mode_16_64 3
		.amdhsa_dx10_clamp 1
		.amdhsa_ieee_mode 1
		.amdhsa_fp16_overflow 0
		.amdhsa_tg_split 0
		.amdhsa_exception_fp_ieee_invalid_op 0
		.amdhsa_exception_fp_denorm_src 0
		.amdhsa_exception_fp_ieee_div_zero 0
		.amdhsa_exception_fp_ieee_overflow 0
		.amdhsa_exception_fp_ieee_underflow 0
		.amdhsa_exception_fp_ieee_inexact 0
		.amdhsa_exception_int_div_zero 0
	.end_amdhsa_kernel
	.section	.text._ZN7rocprim17ROCPRIM_400000_NS6detail17trampoline_kernelINS0_14default_configENS1_20scan_config_selectorIxEEZZNS1_9scan_implILNS1_25lookback_scan_determinismE0ELb0ELb0ES3_N6thrust23THRUST_200600_302600_NS6detail15normal_iteratorINS9_10device_ptrIxEEEENS9_16discard_iteratorINS9_11use_defaultEEEx11max_functorIxExEEDaPvRmT3_T4_T5_mT6_P12ihipStream_tbENKUlT_T0_E_clISt17integral_constantIbLb0EESW_IbLb1EEEEDaSS_ST_EUlSS_E0_NS1_11comp_targetILNS1_3genE4ELNS1_11target_archE910ELNS1_3gpuE8ELNS1_3repE0EEENS1_30default_config_static_selectorELNS0_4arch9wavefront6targetE1EEEvT1_,"axG",@progbits,_ZN7rocprim17ROCPRIM_400000_NS6detail17trampoline_kernelINS0_14default_configENS1_20scan_config_selectorIxEEZZNS1_9scan_implILNS1_25lookback_scan_determinismE0ELb0ELb0ES3_N6thrust23THRUST_200600_302600_NS6detail15normal_iteratorINS9_10device_ptrIxEEEENS9_16discard_iteratorINS9_11use_defaultEEEx11max_functorIxExEEDaPvRmT3_T4_T5_mT6_P12ihipStream_tbENKUlT_T0_E_clISt17integral_constantIbLb0EESW_IbLb1EEEEDaSS_ST_EUlSS_E0_NS1_11comp_targetILNS1_3genE4ELNS1_11target_archE910ELNS1_3gpuE8ELNS1_3repE0EEENS1_30default_config_static_selectorELNS0_4arch9wavefront6targetE1EEEvT1_,comdat
.Lfunc_end3775:
	.size	_ZN7rocprim17ROCPRIM_400000_NS6detail17trampoline_kernelINS0_14default_configENS1_20scan_config_selectorIxEEZZNS1_9scan_implILNS1_25lookback_scan_determinismE0ELb0ELb0ES3_N6thrust23THRUST_200600_302600_NS6detail15normal_iteratorINS9_10device_ptrIxEEEENS9_16discard_iteratorINS9_11use_defaultEEEx11max_functorIxExEEDaPvRmT3_T4_T5_mT6_P12ihipStream_tbENKUlT_T0_E_clISt17integral_constantIbLb0EESW_IbLb1EEEEDaSS_ST_EUlSS_E0_NS1_11comp_targetILNS1_3genE4ELNS1_11target_archE910ELNS1_3gpuE8ELNS1_3repE0EEENS1_30default_config_static_selectorELNS0_4arch9wavefront6targetE1EEEvT1_, .Lfunc_end3775-_ZN7rocprim17ROCPRIM_400000_NS6detail17trampoline_kernelINS0_14default_configENS1_20scan_config_selectorIxEEZZNS1_9scan_implILNS1_25lookback_scan_determinismE0ELb0ELb0ES3_N6thrust23THRUST_200600_302600_NS6detail15normal_iteratorINS9_10device_ptrIxEEEENS9_16discard_iteratorINS9_11use_defaultEEEx11max_functorIxExEEDaPvRmT3_T4_T5_mT6_P12ihipStream_tbENKUlT_T0_E_clISt17integral_constantIbLb0EESW_IbLb1EEEEDaSS_ST_EUlSS_E0_NS1_11comp_targetILNS1_3genE4ELNS1_11target_archE910ELNS1_3gpuE8ELNS1_3repE0EEENS1_30default_config_static_selectorELNS0_4arch9wavefront6targetE1EEEvT1_
                                        ; -- End function
	.section	.AMDGPU.csdata,"",@progbits
; Kernel info:
; codeLenInByte = 1200
; NumSgprs: 12
; NumVgprs: 41
; NumAgprs: 0
; TotalNumVgprs: 41
; ScratchSize: 0
; MemoryBound: 0
; FloatMode: 240
; IeeeMode: 1
; LDSByteSize: 7168 bytes/workgroup (compile time only)
; SGPRBlocks: 1
; VGPRBlocks: 5
; NumSGPRsForWavesPerEU: 12
; NumVGPRsForWavesPerEU: 41
; AccumOffset: 44
; Occupancy: 5
; WaveLimiterHint : 0
; COMPUTE_PGM_RSRC2:SCRATCH_EN: 0
; COMPUTE_PGM_RSRC2:USER_SGPR: 6
; COMPUTE_PGM_RSRC2:TRAP_HANDLER: 0
; COMPUTE_PGM_RSRC2:TGID_X_EN: 1
; COMPUTE_PGM_RSRC2:TGID_Y_EN: 0
; COMPUTE_PGM_RSRC2:TGID_Z_EN: 0
; COMPUTE_PGM_RSRC2:TIDIG_COMP_CNT: 0
; COMPUTE_PGM_RSRC3_GFX90A:ACCUM_OFFSET: 10
; COMPUTE_PGM_RSRC3_GFX90A:TG_SPLIT: 0
	.section	.text._ZN7rocprim17ROCPRIM_400000_NS6detail17trampoline_kernelINS0_14default_configENS1_20scan_config_selectorIxEEZZNS1_9scan_implILNS1_25lookback_scan_determinismE0ELb0ELb0ES3_N6thrust23THRUST_200600_302600_NS6detail15normal_iteratorINS9_10device_ptrIxEEEENS9_16discard_iteratorINS9_11use_defaultEEEx11max_functorIxExEEDaPvRmT3_T4_T5_mT6_P12ihipStream_tbENKUlT_T0_E_clISt17integral_constantIbLb0EESW_IbLb1EEEEDaSS_ST_EUlSS_E0_NS1_11comp_targetILNS1_3genE3ELNS1_11target_archE908ELNS1_3gpuE7ELNS1_3repE0EEENS1_30default_config_static_selectorELNS0_4arch9wavefront6targetE1EEEvT1_,"axG",@progbits,_ZN7rocprim17ROCPRIM_400000_NS6detail17trampoline_kernelINS0_14default_configENS1_20scan_config_selectorIxEEZZNS1_9scan_implILNS1_25lookback_scan_determinismE0ELb0ELb0ES3_N6thrust23THRUST_200600_302600_NS6detail15normal_iteratorINS9_10device_ptrIxEEEENS9_16discard_iteratorINS9_11use_defaultEEEx11max_functorIxExEEDaPvRmT3_T4_T5_mT6_P12ihipStream_tbENKUlT_T0_E_clISt17integral_constantIbLb0EESW_IbLb1EEEEDaSS_ST_EUlSS_E0_NS1_11comp_targetILNS1_3genE3ELNS1_11target_archE908ELNS1_3gpuE7ELNS1_3repE0EEENS1_30default_config_static_selectorELNS0_4arch9wavefront6targetE1EEEvT1_,comdat
	.protected	_ZN7rocprim17ROCPRIM_400000_NS6detail17trampoline_kernelINS0_14default_configENS1_20scan_config_selectorIxEEZZNS1_9scan_implILNS1_25lookback_scan_determinismE0ELb0ELb0ES3_N6thrust23THRUST_200600_302600_NS6detail15normal_iteratorINS9_10device_ptrIxEEEENS9_16discard_iteratorINS9_11use_defaultEEEx11max_functorIxExEEDaPvRmT3_T4_T5_mT6_P12ihipStream_tbENKUlT_T0_E_clISt17integral_constantIbLb0EESW_IbLb1EEEEDaSS_ST_EUlSS_E0_NS1_11comp_targetILNS1_3genE3ELNS1_11target_archE908ELNS1_3gpuE7ELNS1_3repE0EEENS1_30default_config_static_selectorELNS0_4arch9wavefront6targetE1EEEvT1_ ; -- Begin function _ZN7rocprim17ROCPRIM_400000_NS6detail17trampoline_kernelINS0_14default_configENS1_20scan_config_selectorIxEEZZNS1_9scan_implILNS1_25lookback_scan_determinismE0ELb0ELb0ES3_N6thrust23THRUST_200600_302600_NS6detail15normal_iteratorINS9_10device_ptrIxEEEENS9_16discard_iteratorINS9_11use_defaultEEEx11max_functorIxExEEDaPvRmT3_T4_T5_mT6_P12ihipStream_tbENKUlT_T0_E_clISt17integral_constantIbLb0EESW_IbLb1EEEEDaSS_ST_EUlSS_E0_NS1_11comp_targetILNS1_3genE3ELNS1_11target_archE908ELNS1_3gpuE7ELNS1_3repE0EEENS1_30default_config_static_selectorELNS0_4arch9wavefront6targetE1EEEvT1_
	.globl	_ZN7rocprim17ROCPRIM_400000_NS6detail17trampoline_kernelINS0_14default_configENS1_20scan_config_selectorIxEEZZNS1_9scan_implILNS1_25lookback_scan_determinismE0ELb0ELb0ES3_N6thrust23THRUST_200600_302600_NS6detail15normal_iteratorINS9_10device_ptrIxEEEENS9_16discard_iteratorINS9_11use_defaultEEEx11max_functorIxExEEDaPvRmT3_T4_T5_mT6_P12ihipStream_tbENKUlT_T0_E_clISt17integral_constantIbLb0EESW_IbLb1EEEEDaSS_ST_EUlSS_E0_NS1_11comp_targetILNS1_3genE3ELNS1_11target_archE908ELNS1_3gpuE7ELNS1_3repE0EEENS1_30default_config_static_selectorELNS0_4arch9wavefront6targetE1EEEvT1_
	.p2align	8
	.type	_ZN7rocprim17ROCPRIM_400000_NS6detail17trampoline_kernelINS0_14default_configENS1_20scan_config_selectorIxEEZZNS1_9scan_implILNS1_25lookback_scan_determinismE0ELb0ELb0ES3_N6thrust23THRUST_200600_302600_NS6detail15normal_iteratorINS9_10device_ptrIxEEEENS9_16discard_iteratorINS9_11use_defaultEEEx11max_functorIxExEEDaPvRmT3_T4_T5_mT6_P12ihipStream_tbENKUlT_T0_E_clISt17integral_constantIbLb0EESW_IbLb1EEEEDaSS_ST_EUlSS_E0_NS1_11comp_targetILNS1_3genE3ELNS1_11target_archE908ELNS1_3gpuE7ELNS1_3repE0EEENS1_30default_config_static_selectorELNS0_4arch9wavefront6targetE1EEEvT1_,@function
_ZN7rocprim17ROCPRIM_400000_NS6detail17trampoline_kernelINS0_14default_configENS1_20scan_config_selectorIxEEZZNS1_9scan_implILNS1_25lookback_scan_determinismE0ELb0ELb0ES3_N6thrust23THRUST_200600_302600_NS6detail15normal_iteratorINS9_10device_ptrIxEEEENS9_16discard_iteratorINS9_11use_defaultEEEx11max_functorIxExEEDaPvRmT3_T4_T5_mT6_P12ihipStream_tbENKUlT_T0_E_clISt17integral_constantIbLb0EESW_IbLb1EEEEDaSS_ST_EUlSS_E0_NS1_11comp_targetILNS1_3genE3ELNS1_11target_archE908ELNS1_3gpuE7ELNS1_3repE0EEENS1_30default_config_static_selectorELNS0_4arch9wavefront6targetE1EEEvT1_: ; @_ZN7rocprim17ROCPRIM_400000_NS6detail17trampoline_kernelINS0_14default_configENS1_20scan_config_selectorIxEEZZNS1_9scan_implILNS1_25lookback_scan_determinismE0ELb0ELb0ES3_N6thrust23THRUST_200600_302600_NS6detail15normal_iteratorINS9_10device_ptrIxEEEENS9_16discard_iteratorINS9_11use_defaultEEEx11max_functorIxExEEDaPvRmT3_T4_T5_mT6_P12ihipStream_tbENKUlT_T0_E_clISt17integral_constantIbLb0EESW_IbLb1EEEEDaSS_ST_EUlSS_E0_NS1_11comp_targetILNS1_3genE3ELNS1_11target_archE908ELNS1_3gpuE7ELNS1_3repE0EEENS1_30default_config_static_selectorELNS0_4arch9wavefront6targetE1EEEvT1_
; %bb.0:
	.section	.rodata,"a",@progbits
	.p2align	6, 0x0
	.amdhsa_kernel _ZN7rocprim17ROCPRIM_400000_NS6detail17trampoline_kernelINS0_14default_configENS1_20scan_config_selectorIxEEZZNS1_9scan_implILNS1_25lookback_scan_determinismE0ELb0ELb0ES3_N6thrust23THRUST_200600_302600_NS6detail15normal_iteratorINS9_10device_ptrIxEEEENS9_16discard_iteratorINS9_11use_defaultEEEx11max_functorIxExEEDaPvRmT3_T4_T5_mT6_P12ihipStream_tbENKUlT_T0_E_clISt17integral_constantIbLb0EESW_IbLb1EEEEDaSS_ST_EUlSS_E0_NS1_11comp_targetILNS1_3genE3ELNS1_11target_archE908ELNS1_3gpuE7ELNS1_3repE0EEENS1_30default_config_static_selectorELNS0_4arch9wavefront6targetE1EEEvT1_
		.amdhsa_group_segment_fixed_size 0
		.amdhsa_private_segment_fixed_size 0
		.amdhsa_kernarg_size 48
		.amdhsa_user_sgpr_count 6
		.amdhsa_user_sgpr_private_segment_buffer 1
		.amdhsa_user_sgpr_dispatch_ptr 0
		.amdhsa_user_sgpr_queue_ptr 0
		.amdhsa_user_sgpr_kernarg_segment_ptr 1
		.amdhsa_user_sgpr_dispatch_id 0
		.amdhsa_user_sgpr_flat_scratch_init 0
		.amdhsa_user_sgpr_kernarg_preload_length 0
		.amdhsa_user_sgpr_kernarg_preload_offset 0
		.amdhsa_user_sgpr_private_segment_size 0
		.amdhsa_uses_dynamic_stack 0
		.amdhsa_system_sgpr_private_segment_wavefront_offset 0
		.amdhsa_system_sgpr_workgroup_id_x 1
		.amdhsa_system_sgpr_workgroup_id_y 0
		.amdhsa_system_sgpr_workgroup_id_z 0
		.amdhsa_system_sgpr_workgroup_info 0
		.amdhsa_system_vgpr_workitem_id 0
		.amdhsa_next_free_vgpr 1
		.amdhsa_next_free_sgpr 0
		.amdhsa_accum_offset 4
		.amdhsa_reserve_vcc 0
		.amdhsa_reserve_flat_scratch 0
		.amdhsa_float_round_mode_32 0
		.amdhsa_float_round_mode_16_64 0
		.amdhsa_float_denorm_mode_32 3
		.amdhsa_float_denorm_mode_16_64 3
		.amdhsa_dx10_clamp 1
		.amdhsa_ieee_mode 1
		.amdhsa_fp16_overflow 0
		.amdhsa_tg_split 0
		.amdhsa_exception_fp_ieee_invalid_op 0
		.amdhsa_exception_fp_denorm_src 0
		.amdhsa_exception_fp_ieee_div_zero 0
		.amdhsa_exception_fp_ieee_overflow 0
		.amdhsa_exception_fp_ieee_underflow 0
		.amdhsa_exception_fp_ieee_inexact 0
		.amdhsa_exception_int_div_zero 0
	.end_amdhsa_kernel
	.section	.text._ZN7rocprim17ROCPRIM_400000_NS6detail17trampoline_kernelINS0_14default_configENS1_20scan_config_selectorIxEEZZNS1_9scan_implILNS1_25lookback_scan_determinismE0ELb0ELb0ES3_N6thrust23THRUST_200600_302600_NS6detail15normal_iteratorINS9_10device_ptrIxEEEENS9_16discard_iteratorINS9_11use_defaultEEEx11max_functorIxExEEDaPvRmT3_T4_T5_mT6_P12ihipStream_tbENKUlT_T0_E_clISt17integral_constantIbLb0EESW_IbLb1EEEEDaSS_ST_EUlSS_E0_NS1_11comp_targetILNS1_3genE3ELNS1_11target_archE908ELNS1_3gpuE7ELNS1_3repE0EEENS1_30default_config_static_selectorELNS0_4arch9wavefront6targetE1EEEvT1_,"axG",@progbits,_ZN7rocprim17ROCPRIM_400000_NS6detail17trampoline_kernelINS0_14default_configENS1_20scan_config_selectorIxEEZZNS1_9scan_implILNS1_25lookback_scan_determinismE0ELb0ELb0ES3_N6thrust23THRUST_200600_302600_NS6detail15normal_iteratorINS9_10device_ptrIxEEEENS9_16discard_iteratorINS9_11use_defaultEEEx11max_functorIxExEEDaPvRmT3_T4_T5_mT6_P12ihipStream_tbENKUlT_T0_E_clISt17integral_constantIbLb0EESW_IbLb1EEEEDaSS_ST_EUlSS_E0_NS1_11comp_targetILNS1_3genE3ELNS1_11target_archE908ELNS1_3gpuE7ELNS1_3repE0EEENS1_30default_config_static_selectorELNS0_4arch9wavefront6targetE1EEEvT1_,comdat
.Lfunc_end3776:
	.size	_ZN7rocprim17ROCPRIM_400000_NS6detail17trampoline_kernelINS0_14default_configENS1_20scan_config_selectorIxEEZZNS1_9scan_implILNS1_25lookback_scan_determinismE0ELb0ELb0ES3_N6thrust23THRUST_200600_302600_NS6detail15normal_iteratorINS9_10device_ptrIxEEEENS9_16discard_iteratorINS9_11use_defaultEEEx11max_functorIxExEEDaPvRmT3_T4_T5_mT6_P12ihipStream_tbENKUlT_T0_E_clISt17integral_constantIbLb0EESW_IbLb1EEEEDaSS_ST_EUlSS_E0_NS1_11comp_targetILNS1_3genE3ELNS1_11target_archE908ELNS1_3gpuE7ELNS1_3repE0EEENS1_30default_config_static_selectorELNS0_4arch9wavefront6targetE1EEEvT1_, .Lfunc_end3776-_ZN7rocprim17ROCPRIM_400000_NS6detail17trampoline_kernelINS0_14default_configENS1_20scan_config_selectorIxEEZZNS1_9scan_implILNS1_25lookback_scan_determinismE0ELb0ELb0ES3_N6thrust23THRUST_200600_302600_NS6detail15normal_iteratorINS9_10device_ptrIxEEEENS9_16discard_iteratorINS9_11use_defaultEEEx11max_functorIxExEEDaPvRmT3_T4_T5_mT6_P12ihipStream_tbENKUlT_T0_E_clISt17integral_constantIbLb0EESW_IbLb1EEEEDaSS_ST_EUlSS_E0_NS1_11comp_targetILNS1_3genE3ELNS1_11target_archE908ELNS1_3gpuE7ELNS1_3repE0EEENS1_30default_config_static_selectorELNS0_4arch9wavefront6targetE1EEEvT1_
                                        ; -- End function
	.section	.AMDGPU.csdata,"",@progbits
; Kernel info:
; codeLenInByte = 0
; NumSgprs: 4
; NumVgprs: 0
; NumAgprs: 0
; TotalNumVgprs: 0
; ScratchSize: 0
; MemoryBound: 0
; FloatMode: 240
; IeeeMode: 1
; LDSByteSize: 0 bytes/workgroup (compile time only)
; SGPRBlocks: 0
; VGPRBlocks: 0
; NumSGPRsForWavesPerEU: 4
; NumVGPRsForWavesPerEU: 1
; AccumOffset: 4
; Occupancy: 8
; WaveLimiterHint : 0
; COMPUTE_PGM_RSRC2:SCRATCH_EN: 0
; COMPUTE_PGM_RSRC2:USER_SGPR: 6
; COMPUTE_PGM_RSRC2:TRAP_HANDLER: 0
; COMPUTE_PGM_RSRC2:TGID_X_EN: 1
; COMPUTE_PGM_RSRC2:TGID_Y_EN: 0
; COMPUTE_PGM_RSRC2:TGID_Z_EN: 0
; COMPUTE_PGM_RSRC2:TIDIG_COMP_CNT: 0
; COMPUTE_PGM_RSRC3_GFX90A:ACCUM_OFFSET: 0
; COMPUTE_PGM_RSRC3_GFX90A:TG_SPLIT: 0
	.section	.text._ZN7rocprim17ROCPRIM_400000_NS6detail17trampoline_kernelINS0_14default_configENS1_20scan_config_selectorIxEEZZNS1_9scan_implILNS1_25lookback_scan_determinismE0ELb0ELb0ES3_N6thrust23THRUST_200600_302600_NS6detail15normal_iteratorINS9_10device_ptrIxEEEENS9_16discard_iteratorINS9_11use_defaultEEEx11max_functorIxExEEDaPvRmT3_T4_T5_mT6_P12ihipStream_tbENKUlT_T0_E_clISt17integral_constantIbLb0EESW_IbLb1EEEEDaSS_ST_EUlSS_E0_NS1_11comp_targetILNS1_3genE2ELNS1_11target_archE906ELNS1_3gpuE6ELNS1_3repE0EEENS1_30default_config_static_selectorELNS0_4arch9wavefront6targetE1EEEvT1_,"axG",@progbits,_ZN7rocprim17ROCPRIM_400000_NS6detail17trampoline_kernelINS0_14default_configENS1_20scan_config_selectorIxEEZZNS1_9scan_implILNS1_25lookback_scan_determinismE0ELb0ELb0ES3_N6thrust23THRUST_200600_302600_NS6detail15normal_iteratorINS9_10device_ptrIxEEEENS9_16discard_iteratorINS9_11use_defaultEEEx11max_functorIxExEEDaPvRmT3_T4_T5_mT6_P12ihipStream_tbENKUlT_T0_E_clISt17integral_constantIbLb0EESW_IbLb1EEEEDaSS_ST_EUlSS_E0_NS1_11comp_targetILNS1_3genE2ELNS1_11target_archE906ELNS1_3gpuE6ELNS1_3repE0EEENS1_30default_config_static_selectorELNS0_4arch9wavefront6targetE1EEEvT1_,comdat
	.protected	_ZN7rocprim17ROCPRIM_400000_NS6detail17trampoline_kernelINS0_14default_configENS1_20scan_config_selectorIxEEZZNS1_9scan_implILNS1_25lookback_scan_determinismE0ELb0ELb0ES3_N6thrust23THRUST_200600_302600_NS6detail15normal_iteratorINS9_10device_ptrIxEEEENS9_16discard_iteratorINS9_11use_defaultEEEx11max_functorIxExEEDaPvRmT3_T4_T5_mT6_P12ihipStream_tbENKUlT_T0_E_clISt17integral_constantIbLb0EESW_IbLb1EEEEDaSS_ST_EUlSS_E0_NS1_11comp_targetILNS1_3genE2ELNS1_11target_archE906ELNS1_3gpuE6ELNS1_3repE0EEENS1_30default_config_static_selectorELNS0_4arch9wavefront6targetE1EEEvT1_ ; -- Begin function _ZN7rocprim17ROCPRIM_400000_NS6detail17trampoline_kernelINS0_14default_configENS1_20scan_config_selectorIxEEZZNS1_9scan_implILNS1_25lookback_scan_determinismE0ELb0ELb0ES3_N6thrust23THRUST_200600_302600_NS6detail15normal_iteratorINS9_10device_ptrIxEEEENS9_16discard_iteratorINS9_11use_defaultEEEx11max_functorIxExEEDaPvRmT3_T4_T5_mT6_P12ihipStream_tbENKUlT_T0_E_clISt17integral_constantIbLb0EESW_IbLb1EEEEDaSS_ST_EUlSS_E0_NS1_11comp_targetILNS1_3genE2ELNS1_11target_archE906ELNS1_3gpuE6ELNS1_3repE0EEENS1_30default_config_static_selectorELNS0_4arch9wavefront6targetE1EEEvT1_
	.globl	_ZN7rocprim17ROCPRIM_400000_NS6detail17trampoline_kernelINS0_14default_configENS1_20scan_config_selectorIxEEZZNS1_9scan_implILNS1_25lookback_scan_determinismE0ELb0ELb0ES3_N6thrust23THRUST_200600_302600_NS6detail15normal_iteratorINS9_10device_ptrIxEEEENS9_16discard_iteratorINS9_11use_defaultEEEx11max_functorIxExEEDaPvRmT3_T4_T5_mT6_P12ihipStream_tbENKUlT_T0_E_clISt17integral_constantIbLb0EESW_IbLb1EEEEDaSS_ST_EUlSS_E0_NS1_11comp_targetILNS1_3genE2ELNS1_11target_archE906ELNS1_3gpuE6ELNS1_3repE0EEENS1_30default_config_static_selectorELNS0_4arch9wavefront6targetE1EEEvT1_
	.p2align	8
	.type	_ZN7rocprim17ROCPRIM_400000_NS6detail17trampoline_kernelINS0_14default_configENS1_20scan_config_selectorIxEEZZNS1_9scan_implILNS1_25lookback_scan_determinismE0ELb0ELb0ES3_N6thrust23THRUST_200600_302600_NS6detail15normal_iteratorINS9_10device_ptrIxEEEENS9_16discard_iteratorINS9_11use_defaultEEEx11max_functorIxExEEDaPvRmT3_T4_T5_mT6_P12ihipStream_tbENKUlT_T0_E_clISt17integral_constantIbLb0EESW_IbLb1EEEEDaSS_ST_EUlSS_E0_NS1_11comp_targetILNS1_3genE2ELNS1_11target_archE906ELNS1_3gpuE6ELNS1_3repE0EEENS1_30default_config_static_selectorELNS0_4arch9wavefront6targetE1EEEvT1_,@function
_ZN7rocprim17ROCPRIM_400000_NS6detail17trampoline_kernelINS0_14default_configENS1_20scan_config_selectorIxEEZZNS1_9scan_implILNS1_25lookback_scan_determinismE0ELb0ELb0ES3_N6thrust23THRUST_200600_302600_NS6detail15normal_iteratorINS9_10device_ptrIxEEEENS9_16discard_iteratorINS9_11use_defaultEEEx11max_functorIxExEEDaPvRmT3_T4_T5_mT6_P12ihipStream_tbENKUlT_T0_E_clISt17integral_constantIbLb0EESW_IbLb1EEEEDaSS_ST_EUlSS_E0_NS1_11comp_targetILNS1_3genE2ELNS1_11target_archE906ELNS1_3gpuE6ELNS1_3repE0EEENS1_30default_config_static_selectorELNS0_4arch9wavefront6targetE1EEEvT1_: ; @_ZN7rocprim17ROCPRIM_400000_NS6detail17trampoline_kernelINS0_14default_configENS1_20scan_config_selectorIxEEZZNS1_9scan_implILNS1_25lookback_scan_determinismE0ELb0ELb0ES3_N6thrust23THRUST_200600_302600_NS6detail15normal_iteratorINS9_10device_ptrIxEEEENS9_16discard_iteratorINS9_11use_defaultEEEx11max_functorIxExEEDaPvRmT3_T4_T5_mT6_P12ihipStream_tbENKUlT_T0_E_clISt17integral_constantIbLb0EESW_IbLb1EEEEDaSS_ST_EUlSS_E0_NS1_11comp_targetILNS1_3genE2ELNS1_11target_archE906ELNS1_3gpuE6ELNS1_3repE0EEENS1_30default_config_static_selectorELNS0_4arch9wavefront6targetE1EEEvT1_
; %bb.0:
	.section	.rodata,"a",@progbits
	.p2align	6, 0x0
	.amdhsa_kernel _ZN7rocprim17ROCPRIM_400000_NS6detail17trampoline_kernelINS0_14default_configENS1_20scan_config_selectorIxEEZZNS1_9scan_implILNS1_25lookback_scan_determinismE0ELb0ELb0ES3_N6thrust23THRUST_200600_302600_NS6detail15normal_iteratorINS9_10device_ptrIxEEEENS9_16discard_iteratorINS9_11use_defaultEEEx11max_functorIxExEEDaPvRmT3_T4_T5_mT6_P12ihipStream_tbENKUlT_T0_E_clISt17integral_constantIbLb0EESW_IbLb1EEEEDaSS_ST_EUlSS_E0_NS1_11comp_targetILNS1_3genE2ELNS1_11target_archE906ELNS1_3gpuE6ELNS1_3repE0EEENS1_30default_config_static_selectorELNS0_4arch9wavefront6targetE1EEEvT1_
		.amdhsa_group_segment_fixed_size 0
		.amdhsa_private_segment_fixed_size 0
		.amdhsa_kernarg_size 48
		.amdhsa_user_sgpr_count 6
		.amdhsa_user_sgpr_private_segment_buffer 1
		.amdhsa_user_sgpr_dispatch_ptr 0
		.amdhsa_user_sgpr_queue_ptr 0
		.amdhsa_user_sgpr_kernarg_segment_ptr 1
		.amdhsa_user_sgpr_dispatch_id 0
		.amdhsa_user_sgpr_flat_scratch_init 0
		.amdhsa_user_sgpr_kernarg_preload_length 0
		.amdhsa_user_sgpr_kernarg_preload_offset 0
		.amdhsa_user_sgpr_private_segment_size 0
		.amdhsa_uses_dynamic_stack 0
		.amdhsa_system_sgpr_private_segment_wavefront_offset 0
		.amdhsa_system_sgpr_workgroup_id_x 1
		.amdhsa_system_sgpr_workgroup_id_y 0
		.amdhsa_system_sgpr_workgroup_id_z 0
		.amdhsa_system_sgpr_workgroup_info 0
		.amdhsa_system_vgpr_workitem_id 0
		.amdhsa_next_free_vgpr 1
		.amdhsa_next_free_sgpr 0
		.amdhsa_accum_offset 4
		.amdhsa_reserve_vcc 0
		.amdhsa_reserve_flat_scratch 0
		.amdhsa_float_round_mode_32 0
		.amdhsa_float_round_mode_16_64 0
		.amdhsa_float_denorm_mode_32 3
		.amdhsa_float_denorm_mode_16_64 3
		.amdhsa_dx10_clamp 1
		.amdhsa_ieee_mode 1
		.amdhsa_fp16_overflow 0
		.amdhsa_tg_split 0
		.amdhsa_exception_fp_ieee_invalid_op 0
		.amdhsa_exception_fp_denorm_src 0
		.amdhsa_exception_fp_ieee_div_zero 0
		.amdhsa_exception_fp_ieee_overflow 0
		.amdhsa_exception_fp_ieee_underflow 0
		.amdhsa_exception_fp_ieee_inexact 0
		.amdhsa_exception_int_div_zero 0
	.end_amdhsa_kernel
	.section	.text._ZN7rocprim17ROCPRIM_400000_NS6detail17trampoline_kernelINS0_14default_configENS1_20scan_config_selectorIxEEZZNS1_9scan_implILNS1_25lookback_scan_determinismE0ELb0ELb0ES3_N6thrust23THRUST_200600_302600_NS6detail15normal_iteratorINS9_10device_ptrIxEEEENS9_16discard_iteratorINS9_11use_defaultEEEx11max_functorIxExEEDaPvRmT3_T4_T5_mT6_P12ihipStream_tbENKUlT_T0_E_clISt17integral_constantIbLb0EESW_IbLb1EEEEDaSS_ST_EUlSS_E0_NS1_11comp_targetILNS1_3genE2ELNS1_11target_archE906ELNS1_3gpuE6ELNS1_3repE0EEENS1_30default_config_static_selectorELNS0_4arch9wavefront6targetE1EEEvT1_,"axG",@progbits,_ZN7rocprim17ROCPRIM_400000_NS6detail17trampoline_kernelINS0_14default_configENS1_20scan_config_selectorIxEEZZNS1_9scan_implILNS1_25lookback_scan_determinismE0ELb0ELb0ES3_N6thrust23THRUST_200600_302600_NS6detail15normal_iteratorINS9_10device_ptrIxEEEENS9_16discard_iteratorINS9_11use_defaultEEEx11max_functorIxExEEDaPvRmT3_T4_T5_mT6_P12ihipStream_tbENKUlT_T0_E_clISt17integral_constantIbLb0EESW_IbLb1EEEEDaSS_ST_EUlSS_E0_NS1_11comp_targetILNS1_3genE2ELNS1_11target_archE906ELNS1_3gpuE6ELNS1_3repE0EEENS1_30default_config_static_selectorELNS0_4arch9wavefront6targetE1EEEvT1_,comdat
.Lfunc_end3777:
	.size	_ZN7rocprim17ROCPRIM_400000_NS6detail17trampoline_kernelINS0_14default_configENS1_20scan_config_selectorIxEEZZNS1_9scan_implILNS1_25lookback_scan_determinismE0ELb0ELb0ES3_N6thrust23THRUST_200600_302600_NS6detail15normal_iteratorINS9_10device_ptrIxEEEENS9_16discard_iteratorINS9_11use_defaultEEEx11max_functorIxExEEDaPvRmT3_T4_T5_mT6_P12ihipStream_tbENKUlT_T0_E_clISt17integral_constantIbLb0EESW_IbLb1EEEEDaSS_ST_EUlSS_E0_NS1_11comp_targetILNS1_3genE2ELNS1_11target_archE906ELNS1_3gpuE6ELNS1_3repE0EEENS1_30default_config_static_selectorELNS0_4arch9wavefront6targetE1EEEvT1_, .Lfunc_end3777-_ZN7rocprim17ROCPRIM_400000_NS6detail17trampoline_kernelINS0_14default_configENS1_20scan_config_selectorIxEEZZNS1_9scan_implILNS1_25lookback_scan_determinismE0ELb0ELb0ES3_N6thrust23THRUST_200600_302600_NS6detail15normal_iteratorINS9_10device_ptrIxEEEENS9_16discard_iteratorINS9_11use_defaultEEEx11max_functorIxExEEDaPvRmT3_T4_T5_mT6_P12ihipStream_tbENKUlT_T0_E_clISt17integral_constantIbLb0EESW_IbLb1EEEEDaSS_ST_EUlSS_E0_NS1_11comp_targetILNS1_3genE2ELNS1_11target_archE906ELNS1_3gpuE6ELNS1_3repE0EEENS1_30default_config_static_selectorELNS0_4arch9wavefront6targetE1EEEvT1_
                                        ; -- End function
	.section	.AMDGPU.csdata,"",@progbits
; Kernel info:
; codeLenInByte = 0
; NumSgprs: 4
; NumVgprs: 0
; NumAgprs: 0
; TotalNumVgprs: 0
; ScratchSize: 0
; MemoryBound: 0
; FloatMode: 240
; IeeeMode: 1
; LDSByteSize: 0 bytes/workgroup (compile time only)
; SGPRBlocks: 0
; VGPRBlocks: 0
; NumSGPRsForWavesPerEU: 4
; NumVGPRsForWavesPerEU: 1
; AccumOffset: 4
; Occupancy: 8
; WaveLimiterHint : 0
; COMPUTE_PGM_RSRC2:SCRATCH_EN: 0
; COMPUTE_PGM_RSRC2:USER_SGPR: 6
; COMPUTE_PGM_RSRC2:TRAP_HANDLER: 0
; COMPUTE_PGM_RSRC2:TGID_X_EN: 1
; COMPUTE_PGM_RSRC2:TGID_Y_EN: 0
; COMPUTE_PGM_RSRC2:TGID_Z_EN: 0
; COMPUTE_PGM_RSRC2:TIDIG_COMP_CNT: 0
; COMPUTE_PGM_RSRC3_GFX90A:ACCUM_OFFSET: 0
; COMPUTE_PGM_RSRC3_GFX90A:TG_SPLIT: 0
	.section	.text._ZN7rocprim17ROCPRIM_400000_NS6detail17trampoline_kernelINS0_14default_configENS1_20scan_config_selectorIxEEZZNS1_9scan_implILNS1_25lookback_scan_determinismE0ELb0ELb0ES3_N6thrust23THRUST_200600_302600_NS6detail15normal_iteratorINS9_10device_ptrIxEEEENS9_16discard_iteratorINS9_11use_defaultEEEx11max_functorIxExEEDaPvRmT3_T4_T5_mT6_P12ihipStream_tbENKUlT_T0_E_clISt17integral_constantIbLb0EESW_IbLb1EEEEDaSS_ST_EUlSS_E0_NS1_11comp_targetILNS1_3genE10ELNS1_11target_archE1201ELNS1_3gpuE5ELNS1_3repE0EEENS1_30default_config_static_selectorELNS0_4arch9wavefront6targetE1EEEvT1_,"axG",@progbits,_ZN7rocprim17ROCPRIM_400000_NS6detail17trampoline_kernelINS0_14default_configENS1_20scan_config_selectorIxEEZZNS1_9scan_implILNS1_25lookback_scan_determinismE0ELb0ELb0ES3_N6thrust23THRUST_200600_302600_NS6detail15normal_iteratorINS9_10device_ptrIxEEEENS9_16discard_iteratorINS9_11use_defaultEEEx11max_functorIxExEEDaPvRmT3_T4_T5_mT6_P12ihipStream_tbENKUlT_T0_E_clISt17integral_constantIbLb0EESW_IbLb1EEEEDaSS_ST_EUlSS_E0_NS1_11comp_targetILNS1_3genE10ELNS1_11target_archE1201ELNS1_3gpuE5ELNS1_3repE0EEENS1_30default_config_static_selectorELNS0_4arch9wavefront6targetE1EEEvT1_,comdat
	.protected	_ZN7rocprim17ROCPRIM_400000_NS6detail17trampoline_kernelINS0_14default_configENS1_20scan_config_selectorIxEEZZNS1_9scan_implILNS1_25lookback_scan_determinismE0ELb0ELb0ES3_N6thrust23THRUST_200600_302600_NS6detail15normal_iteratorINS9_10device_ptrIxEEEENS9_16discard_iteratorINS9_11use_defaultEEEx11max_functorIxExEEDaPvRmT3_T4_T5_mT6_P12ihipStream_tbENKUlT_T0_E_clISt17integral_constantIbLb0EESW_IbLb1EEEEDaSS_ST_EUlSS_E0_NS1_11comp_targetILNS1_3genE10ELNS1_11target_archE1201ELNS1_3gpuE5ELNS1_3repE0EEENS1_30default_config_static_selectorELNS0_4arch9wavefront6targetE1EEEvT1_ ; -- Begin function _ZN7rocprim17ROCPRIM_400000_NS6detail17trampoline_kernelINS0_14default_configENS1_20scan_config_selectorIxEEZZNS1_9scan_implILNS1_25lookback_scan_determinismE0ELb0ELb0ES3_N6thrust23THRUST_200600_302600_NS6detail15normal_iteratorINS9_10device_ptrIxEEEENS9_16discard_iteratorINS9_11use_defaultEEEx11max_functorIxExEEDaPvRmT3_T4_T5_mT6_P12ihipStream_tbENKUlT_T0_E_clISt17integral_constantIbLb0EESW_IbLb1EEEEDaSS_ST_EUlSS_E0_NS1_11comp_targetILNS1_3genE10ELNS1_11target_archE1201ELNS1_3gpuE5ELNS1_3repE0EEENS1_30default_config_static_selectorELNS0_4arch9wavefront6targetE1EEEvT1_
	.globl	_ZN7rocprim17ROCPRIM_400000_NS6detail17trampoline_kernelINS0_14default_configENS1_20scan_config_selectorIxEEZZNS1_9scan_implILNS1_25lookback_scan_determinismE0ELb0ELb0ES3_N6thrust23THRUST_200600_302600_NS6detail15normal_iteratorINS9_10device_ptrIxEEEENS9_16discard_iteratorINS9_11use_defaultEEEx11max_functorIxExEEDaPvRmT3_T4_T5_mT6_P12ihipStream_tbENKUlT_T0_E_clISt17integral_constantIbLb0EESW_IbLb1EEEEDaSS_ST_EUlSS_E0_NS1_11comp_targetILNS1_3genE10ELNS1_11target_archE1201ELNS1_3gpuE5ELNS1_3repE0EEENS1_30default_config_static_selectorELNS0_4arch9wavefront6targetE1EEEvT1_
	.p2align	8
	.type	_ZN7rocprim17ROCPRIM_400000_NS6detail17trampoline_kernelINS0_14default_configENS1_20scan_config_selectorIxEEZZNS1_9scan_implILNS1_25lookback_scan_determinismE0ELb0ELb0ES3_N6thrust23THRUST_200600_302600_NS6detail15normal_iteratorINS9_10device_ptrIxEEEENS9_16discard_iteratorINS9_11use_defaultEEEx11max_functorIxExEEDaPvRmT3_T4_T5_mT6_P12ihipStream_tbENKUlT_T0_E_clISt17integral_constantIbLb0EESW_IbLb1EEEEDaSS_ST_EUlSS_E0_NS1_11comp_targetILNS1_3genE10ELNS1_11target_archE1201ELNS1_3gpuE5ELNS1_3repE0EEENS1_30default_config_static_selectorELNS0_4arch9wavefront6targetE1EEEvT1_,@function
_ZN7rocprim17ROCPRIM_400000_NS6detail17trampoline_kernelINS0_14default_configENS1_20scan_config_selectorIxEEZZNS1_9scan_implILNS1_25lookback_scan_determinismE0ELb0ELb0ES3_N6thrust23THRUST_200600_302600_NS6detail15normal_iteratorINS9_10device_ptrIxEEEENS9_16discard_iteratorINS9_11use_defaultEEEx11max_functorIxExEEDaPvRmT3_T4_T5_mT6_P12ihipStream_tbENKUlT_T0_E_clISt17integral_constantIbLb0EESW_IbLb1EEEEDaSS_ST_EUlSS_E0_NS1_11comp_targetILNS1_3genE10ELNS1_11target_archE1201ELNS1_3gpuE5ELNS1_3repE0EEENS1_30default_config_static_selectorELNS0_4arch9wavefront6targetE1EEEvT1_: ; @_ZN7rocprim17ROCPRIM_400000_NS6detail17trampoline_kernelINS0_14default_configENS1_20scan_config_selectorIxEEZZNS1_9scan_implILNS1_25lookback_scan_determinismE0ELb0ELb0ES3_N6thrust23THRUST_200600_302600_NS6detail15normal_iteratorINS9_10device_ptrIxEEEENS9_16discard_iteratorINS9_11use_defaultEEEx11max_functorIxExEEDaPvRmT3_T4_T5_mT6_P12ihipStream_tbENKUlT_T0_E_clISt17integral_constantIbLb0EESW_IbLb1EEEEDaSS_ST_EUlSS_E0_NS1_11comp_targetILNS1_3genE10ELNS1_11target_archE1201ELNS1_3gpuE5ELNS1_3repE0EEENS1_30default_config_static_selectorELNS0_4arch9wavefront6targetE1EEEvT1_
; %bb.0:
	.section	.rodata,"a",@progbits
	.p2align	6, 0x0
	.amdhsa_kernel _ZN7rocprim17ROCPRIM_400000_NS6detail17trampoline_kernelINS0_14default_configENS1_20scan_config_selectorIxEEZZNS1_9scan_implILNS1_25lookback_scan_determinismE0ELb0ELb0ES3_N6thrust23THRUST_200600_302600_NS6detail15normal_iteratorINS9_10device_ptrIxEEEENS9_16discard_iteratorINS9_11use_defaultEEEx11max_functorIxExEEDaPvRmT3_T4_T5_mT6_P12ihipStream_tbENKUlT_T0_E_clISt17integral_constantIbLb0EESW_IbLb1EEEEDaSS_ST_EUlSS_E0_NS1_11comp_targetILNS1_3genE10ELNS1_11target_archE1201ELNS1_3gpuE5ELNS1_3repE0EEENS1_30default_config_static_selectorELNS0_4arch9wavefront6targetE1EEEvT1_
		.amdhsa_group_segment_fixed_size 0
		.amdhsa_private_segment_fixed_size 0
		.amdhsa_kernarg_size 48
		.amdhsa_user_sgpr_count 6
		.amdhsa_user_sgpr_private_segment_buffer 1
		.amdhsa_user_sgpr_dispatch_ptr 0
		.amdhsa_user_sgpr_queue_ptr 0
		.amdhsa_user_sgpr_kernarg_segment_ptr 1
		.amdhsa_user_sgpr_dispatch_id 0
		.amdhsa_user_sgpr_flat_scratch_init 0
		.amdhsa_user_sgpr_kernarg_preload_length 0
		.amdhsa_user_sgpr_kernarg_preload_offset 0
		.amdhsa_user_sgpr_private_segment_size 0
		.amdhsa_uses_dynamic_stack 0
		.amdhsa_system_sgpr_private_segment_wavefront_offset 0
		.amdhsa_system_sgpr_workgroup_id_x 1
		.amdhsa_system_sgpr_workgroup_id_y 0
		.amdhsa_system_sgpr_workgroup_id_z 0
		.amdhsa_system_sgpr_workgroup_info 0
		.amdhsa_system_vgpr_workitem_id 0
		.amdhsa_next_free_vgpr 1
		.amdhsa_next_free_sgpr 0
		.amdhsa_accum_offset 4
		.amdhsa_reserve_vcc 0
		.amdhsa_reserve_flat_scratch 0
		.amdhsa_float_round_mode_32 0
		.amdhsa_float_round_mode_16_64 0
		.amdhsa_float_denorm_mode_32 3
		.amdhsa_float_denorm_mode_16_64 3
		.amdhsa_dx10_clamp 1
		.amdhsa_ieee_mode 1
		.amdhsa_fp16_overflow 0
		.amdhsa_tg_split 0
		.amdhsa_exception_fp_ieee_invalid_op 0
		.amdhsa_exception_fp_denorm_src 0
		.amdhsa_exception_fp_ieee_div_zero 0
		.amdhsa_exception_fp_ieee_overflow 0
		.amdhsa_exception_fp_ieee_underflow 0
		.amdhsa_exception_fp_ieee_inexact 0
		.amdhsa_exception_int_div_zero 0
	.end_amdhsa_kernel
	.section	.text._ZN7rocprim17ROCPRIM_400000_NS6detail17trampoline_kernelINS0_14default_configENS1_20scan_config_selectorIxEEZZNS1_9scan_implILNS1_25lookback_scan_determinismE0ELb0ELb0ES3_N6thrust23THRUST_200600_302600_NS6detail15normal_iteratorINS9_10device_ptrIxEEEENS9_16discard_iteratorINS9_11use_defaultEEEx11max_functorIxExEEDaPvRmT3_T4_T5_mT6_P12ihipStream_tbENKUlT_T0_E_clISt17integral_constantIbLb0EESW_IbLb1EEEEDaSS_ST_EUlSS_E0_NS1_11comp_targetILNS1_3genE10ELNS1_11target_archE1201ELNS1_3gpuE5ELNS1_3repE0EEENS1_30default_config_static_selectorELNS0_4arch9wavefront6targetE1EEEvT1_,"axG",@progbits,_ZN7rocprim17ROCPRIM_400000_NS6detail17trampoline_kernelINS0_14default_configENS1_20scan_config_selectorIxEEZZNS1_9scan_implILNS1_25lookback_scan_determinismE0ELb0ELb0ES3_N6thrust23THRUST_200600_302600_NS6detail15normal_iteratorINS9_10device_ptrIxEEEENS9_16discard_iteratorINS9_11use_defaultEEEx11max_functorIxExEEDaPvRmT3_T4_T5_mT6_P12ihipStream_tbENKUlT_T0_E_clISt17integral_constantIbLb0EESW_IbLb1EEEEDaSS_ST_EUlSS_E0_NS1_11comp_targetILNS1_3genE10ELNS1_11target_archE1201ELNS1_3gpuE5ELNS1_3repE0EEENS1_30default_config_static_selectorELNS0_4arch9wavefront6targetE1EEEvT1_,comdat
.Lfunc_end3778:
	.size	_ZN7rocprim17ROCPRIM_400000_NS6detail17trampoline_kernelINS0_14default_configENS1_20scan_config_selectorIxEEZZNS1_9scan_implILNS1_25lookback_scan_determinismE0ELb0ELb0ES3_N6thrust23THRUST_200600_302600_NS6detail15normal_iteratorINS9_10device_ptrIxEEEENS9_16discard_iteratorINS9_11use_defaultEEEx11max_functorIxExEEDaPvRmT3_T4_T5_mT6_P12ihipStream_tbENKUlT_T0_E_clISt17integral_constantIbLb0EESW_IbLb1EEEEDaSS_ST_EUlSS_E0_NS1_11comp_targetILNS1_3genE10ELNS1_11target_archE1201ELNS1_3gpuE5ELNS1_3repE0EEENS1_30default_config_static_selectorELNS0_4arch9wavefront6targetE1EEEvT1_, .Lfunc_end3778-_ZN7rocprim17ROCPRIM_400000_NS6detail17trampoline_kernelINS0_14default_configENS1_20scan_config_selectorIxEEZZNS1_9scan_implILNS1_25lookback_scan_determinismE0ELb0ELb0ES3_N6thrust23THRUST_200600_302600_NS6detail15normal_iteratorINS9_10device_ptrIxEEEENS9_16discard_iteratorINS9_11use_defaultEEEx11max_functorIxExEEDaPvRmT3_T4_T5_mT6_P12ihipStream_tbENKUlT_T0_E_clISt17integral_constantIbLb0EESW_IbLb1EEEEDaSS_ST_EUlSS_E0_NS1_11comp_targetILNS1_3genE10ELNS1_11target_archE1201ELNS1_3gpuE5ELNS1_3repE0EEENS1_30default_config_static_selectorELNS0_4arch9wavefront6targetE1EEEvT1_
                                        ; -- End function
	.section	.AMDGPU.csdata,"",@progbits
; Kernel info:
; codeLenInByte = 0
; NumSgprs: 4
; NumVgprs: 0
; NumAgprs: 0
; TotalNumVgprs: 0
; ScratchSize: 0
; MemoryBound: 0
; FloatMode: 240
; IeeeMode: 1
; LDSByteSize: 0 bytes/workgroup (compile time only)
; SGPRBlocks: 0
; VGPRBlocks: 0
; NumSGPRsForWavesPerEU: 4
; NumVGPRsForWavesPerEU: 1
; AccumOffset: 4
; Occupancy: 8
; WaveLimiterHint : 0
; COMPUTE_PGM_RSRC2:SCRATCH_EN: 0
; COMPUTE_PGM_RSRC2:USER_SGPR: 6
; COMPUTE_PGM_RSRC2:TRAP_HANDLER: 0
; COMPUTE_PGM_RSRC2:TGID_X_EN: 1
; COMPUTE_PGM_RSRC2:TGID_Y_EN: 0
; COMPUTE_PGM_RSRC2:TGID_Z_EN: 0
; COMPUTE_PGM_RSRC2:TIDIG_COMP_CNT: 0
; COMPUTE_PGM_RSRC3_GFX90A:ACCUM_OFFSET: 0
; COMPUTE_PGM_RSRC3_GFX90A:TG_SPLIT: 0
	.section	.text._ZN7rocprim17ROCPRIM_400000_NS6detail17trampoline_kernelINS0_14default_configENS1_20scan_config_selectorIxEEZZNS1_9scan_implILNS1_25lookback_scan_determinismE0ELb0ELb0ES3_N6thrust23THRUST_200600_302600_NS6detail15normal_iteratorINS9_10device_ptrIxEEEENS9_16discard_iteratorINS9_11use_defaultEEEx11max_functorIxExEEDaPvRmT3_T4_T5_mT6_P12ihipStream_tbENKUlT_T0_E_clISt17integral_constantIbLb0EESW_IbLb1EEEEDaSS_ST_EUlSS_E0_NS1_11comp_targetILNS1_3genE10ELNS1_11target_archE1200ELNS1_3gpuE4ELNS1_3repE0EEENS1_30default_config_static_selectorELNS0_4arch9wavefront6targetE1EEEvT1_,"axG",@progbits,_ZN7rocprim17ROCPRIM_400000_NS6detail17trampoline_kernelINS0_14default_configENS1_20scan_config_selectorIxEEZZNS1_9scan_implILNS1_25lookback_scan_determinismE0ELb0ELb0ES3_N6thrust23THRUST_200600_302600_NS6detail15normal_iteratorINS9_10device_ptrIxEEEENS9_16discard_iteratorINS9_11use_defaultEEEx11max_functorIxExEEDaPvRmT3_T4_T5_mT6_P12ihipStream_tbENKUlT_T0_E_clISt17integral_constantIbLb0EESW_IbLb1EEEEDaSS_ST_EUlSS_E0_NS1_11comp_targetILNS1_3genE10ELNS1_11target_archE1200ELNS1_3gpuE4ELNS1_3repE0EEENS1_30default_config_static_selectorELNS0_4arch9wavefront6targetE1EEEvT1_,comdat
	.protected	_ZN7rocprim17ROCPRIM_400000_NS6detail17trampoline_kernelINS0_14default_configENS1_20scan_config_selectorIxEEZZNS1_9scan_implILNS1_25lookback_scan_determinismE0ELb0ELb0ES3_N6thrust23THRUST_200600_302600_NS6detail15normal_iteratorINS9_10device_ptrIxEEEENS9_16discard_iteratorINS9_11use_defaultEEEx11max_functorIxExEEDaPvRmT3_T4_T5_mT6_P12ihipStream_tbENKUlT_T0_E_clISt17integral_constantIbLb0EESW_IbLb1EEEEDaSS_ST_EUlSS_E0_NS1_11comp_targetILNS1_3genE10ELNS1_11target_archE1200ELNS1_3gpuE4ELNS1_3repE0EEENS1_30default_config_static_selectorELNS0_4arch9wavefront6targetE1EEEvT1_ ; -- Begin function _ZN7rocprim17ROCPRIM_400000_NS6detail17trampoline_kernelINS0_14default_configENS1_20scan_config_selectorIxEEZZNS1_9scan_implILNS1_25lookback_scan_determinismE0ELb0ELb0ES3_N6thrust23THRUST_200600_302600_NS6detail15normal_iteratorINS9_10device_ptrIxEEEENS9_16discard_iteratorINS9_11use_defaultEEEx11max_functorIxExEEDaPvRmT3_T4_T5_mT6_P12ihipStream_tbENKUlT_T0_E_clISt17integral_constantIbLb0EESW_IbLb1EEEEDaSS_ST_EUlSS_E0_NS1_11comp_targetILNS1_3genE10ELNS1_11target_archE1200ELNS1_3gpuE4ELNS1_3repE0EEENS1_30default_config_static_selectorELNS0_4arch9wavefront6targetE1EEEvT1_
	.globl	_ZN7rocprim17ROCPRIM_400000_NS6detail17trampoline_kernelINS0_14default_configENS1_20scan_config_selectorIxEEZZNS1_9scan_implILNS1_25lookback_scan_determinismE0ELb0ELb0ES3_N6thrust23THRUST_200600_302600_NS6detail15normal_iteratorINS9_10device_ptrIxEEEENS9_16discard_iteratorINS9_11use_defaultEEEx11max_functorIxExEEDaPvRmT3_T4_T5_mT6_P12ihipStream_tbENKUlT_T0_E_clISt17integral_constantIbLb0EESW_IbLb1EEEEDaSS_ST_EUlSS_E0_NS1_11comp_targetILNS1_3genE10ELNS1_11target_archE1200ELNS1_3gpuE4ELNS1_3repE0EEENS1_30default_config_static_selectorELNS0_4arch9wavefront6targetE1EEEvT1_
	.p2align	8
	.type	_ZN7rocprim17ROCPRIM_400000_NS6detail17trampoline_kernelINS0_14default_configENS1_20scan_config_selectorIxEEZZNS1_9scan_implILNS1_25lookback_scan_determinismE0ELb0ELb0ES3_N6thrust23THRUST_200600_302600_NS6detail15normal_iteratorINS9_10device_ptrIxEEEENS9_16discard_iteratorINS9_11use_defaultEEEx11max_functorIxExEEDaPvRmT3_T4_T5_mT6_P12ihipStream_tbENKUlT_T0_E_clISt17integral_constantIbLb0EESW_IbLb1EEEEDaSS_ST_EUlSS_E0_NS1_11comp_targetILNS1_3genE10ELNS1_11target_archE1200ELNS1_3gpuE4ELNS1_3repE0EEENS1_30default_config_static_selectorELNS0_4arch9wavefront6targetE1EEEvT1_,@function
_ZN7rocprim17ROCPRIM_400000_NS6detail17trampoline_kernelINS0_14default_configENS1_20scan_config_selectorIxEEZZNS1_9scan_implILNS1_25lookback_scan_determinismE0ELb0ELb0ES3_N6thrust23THRUST_200600_302600_NS6detail15normal_iteratorINS9_10device_ptrIxEEEENS9_16discard_iteratorINS9_11use_defaultEEEx11max_functorIxExEEDaPvRmT3_T4_T5_mT6_P12ihipStream_tbENKUlT_T0_E_clISt17integral_constantIbLb0EESW_IbLb1EEEEDaSS_ST_EUlSS_E0_NS1_11comp_targetILNS1_3genE10ELNS1_11target_archE1200ELNS1_3gpuE4ELNS1_3repE0EEENS1_30default_config_static_selectorELNS0_4arch9wavefront6targetE1EEEvT1_: ; @_ZN7rocprim17ROCPRIM_400000_NS6detail17trampoline_kernelINS0_14default_configENS1_20scan_config_selectorIxEEZZNS1_9scan_implILNS1_25lookback_scan_determinismE0ELb0ELb0ES3_N6thrust23THRUST_200600_302600_NS6detail15normal_iteratorINS9_10device_ptrIxEEEENS9_16discard_iteratorINS9_11use_defaultEEEx11max_functorIxExEEDaPvRmT3_T4_T5_mT6_P12ihipStream_tbENKUlT_T0_E_clISt17integral_constantIbLb0EESW_IbLb1EEEEDaSS_ST_EUlSS_E0_NS1_11comp_targetILNS1_3genE10ELNS1_11target_archE1200ELNS1_3gpuE4ELNS1_3repE0EEENS1_30default_config_static_selectorELNS0_4arch9wavefront6targetE1EEEvT1_
; %bb.0:
	.section	.rodata,"a",@progbits
	.p2align	6, 0x0
	.amdhsa_kernel _ZN7rocprim17ROCPRIM_400000_NS6detail17trampoline_kernelINS0_14default_configENS1_20scan_config_selectorIxEEZZNS1_9scan_implILNS1_25lookback_scan_determinismE0ELb0ELb0ES3_N6thrust23THRUST_200600_302600_NS6detail15normal_iteratorINS9_10device_ptrIxEEEENS9_16discard_iteratorINS9_11use_defaultEEEx11max_functorIxExEEDaPvRmT3_T4_T5_mT6_P12ihipStream_tbENKUlT_T0_E_clISt17integral_constantIbLb0EESW_IbLb1EEEEDaSS_ST_EUlSS_E0_NS1_11comp_targetILNS1_3genE10ELNS1_11target_archE1200ELNS1_3gpuE4ELNS1_3repE0EEENS1_30default_config_static_selectorELNS0_4arch9wavefront6targetE1EEEvT1_
		.amdhsa_group_segment_fixed_size 0
		.amdhsa_private_segment_fixed_size 0
		.amdhsa_kernarg_size 48
		.amdhsa_user_sgpr_count 6
		.amdhsa_user_sgpr_private_segment_buffer 1
		.amdhsa_user_sgpr_dispatch_ptr 0
		.amdhsa_user_sgpr_queue_ptr 0
		.amdhsa_user_sgpr_kernarg_segment_ptr 1
		.amdhsa_user_sgpr_dispatch_id 0
		.amdhsa_user_sgpr_flat_scratch_init 0
		.amdhsa_user_sgpr_kernarg_preload_length 0
		.amdhsa_user_sgpr_kernarg_preload_offset 0
		.amdhsa_user_sgpr_private_segment_size 0
		.amdhsa_uses_dynamic_stack 0
		.amdhsa_system_sgpr_private_segment_wavefront_offset 0
		.amdhsa_system_sgpr_workgroup_id_x 1
		.amdhsa_system_sgpr_workgroup_id_y 0
		.amdhsa_system_sgpr_workgroup_id_z 0
		.amdhsa_system_sgpr_workgroup_info 0
		.amdhsa_system_vgpr_workitem_id 0
		.amdhsa_next_free_vgpr 1
		.amdhsa_next_free_sgpr 0
		.amdhsa_accum_offset 4
		.amdhsa_reserve_vcc 0
		.amdhsa_reserve_flat_scratch 0
		.amdhsa_float_round_mode_32 0
		.amdhsa_float_round_mode_16_64 0
		.amdhsa_float_denorm_mode_32 3
		.amdhsa_float_denorm_mode_16_64 3
		.amdhsa_dx10_clamp 1
		.amdhsa_ieee_mode 1
		.amdhsa_fp16_overflow 0
		.amdhsa_tg_split 0
		.amdhsa_exception_fp_ieee_invalid_op 0
		.amdhsa_exception_fp_denorm_src 0
		.amdhsa_exception_fp_ieee_div_zero 0
		.amdhsa_exception_fp_ieee_overflow 0
		.amdhsa_exception_fp_ieee_underflow 0
		.amdhsa_exception_fp_ieee_inexact 0
		.amdhsa_exception_int_div_zero 0
	.end_amdhsa_kernel
	.section	.text._ZN7rocprim17ROCPRIM_400000_NS6detail17trampoline_kernelINS0_14default_configENS1_20scan_config_selectorIxEEZZNS1_9scan_implILNS1_25lookback_scan_determinismE0ELb0ELb0ES3_N6thrust23THRUST_200600_302600_NS6detail15normal_iteratorINS9_10device_ptrIxEEEENS9_16discard_iteratorINS9_11use_defaultEEEx11max_functorIxExEEDaPvRmT3_T4_T5_mT6_P12ihipStream_tbENKUlT_T0_E_clISt17integral_constantIbLb0EESW_IbLb1EEEEDaSS_ST_EUlSS_E0_NS1_11comp_targetILNS1_3genE10ELNS1_11target_archE1200ELNS1_3gpuE4ELNS1_3repE0EEENS1_30default_config_static_selectorELNS0_4arch9wavefront6targetE1EEEvT1_,"axG",@progbits,_ZN7rocprim17ROCPRIM_400000_NS6detail17trampoline_kernelINS0_14default_configENS1_20scan_config_selectorIxEEZZNS1_9scan_implILNS1_25lookback_scan_determinismE0ELb0ELb0ES3_N6thrust23THRUST_200600_302600_NS6detail15normal_iteratorINS9_10device_ptrIxEEEENS9_16discard_iteratorINS9_11use_defaultEEEx11max_functorIxExEEDaPvRmT3_T4_T5_mT6_P12ihipStream_tbENKUlT_T0_E_clISt17integral_constantIbLb0EESW_IbLb1EEEEDaSS_ST_EUlSS_E0_NS1_11comp_targetILNS1_3genE10ELNS1_11target_archE1200ELNS1_3gpuE4ELNS1_3repE0EEENS1_30default_config_static_selectorELNS0_4arch9wavefront6targetE1EEEvT1_,comdat
.Lfunc_end3779:
	.size	_ZN7rocprim17ROCPRIM_400000_NS6detail17trampoline_kernelINS0_14default_configENS1_20scan_config_selectorIxEEZZNS1_9scan_implILNS1_25lookback_scan_determinismE0ELb0ELb0ES3_N6thrust23THRUST_200600_302600_NS6detail15normal_iteratorINS9_10device_ptrIxEEEENS9_16discard_iteratorINS9_11use_defaultEEEx11max_functorIxExEEDaPvRmT3_T4_T5_mT6_P12ihipStream_tbENKUlT_T0_E_clISt17integral_constantIbLb0EESW_IbLb1EEEEDaSS_ST_EUlSS_E0_NS1_11comp_targetILNS1_3genE10ELNS1_11target_archE1200ELNS1_3gpuE4ELNS1_3repE0EEENS1_30default_config_static_selectorELNS0_4arch9wavefront6targetE1EEEvT1_, .Lfunc_end3779-_ZN7rocprim17ROCPRIM_400000_NS6detail17trampoline_kernelINS0_14default_configENS1_20scan_config_selectorIxEEZZNS1_9scan_implILNS1_25lookback_scan_determinismE0ELb0ELb0ES3_N6thrust23THRUST_200600_302600_NS6detail15normal_iteratorINS9_10device_ptrIxEEEENS9_16discard_iteratorINS9_11use_defaultEEEx11max_functorIxExEEDaPvRmT3_T4_T5_mT6_P12ihipStream_tbENKUlT_T0_E_clISt17integral_constantIbLb0EESW_IbLb1EEEEDaSS_ST_EUlSS_E0_NS1_11comp_targetILNS1_3genE10ELNS1_11target_archE1200ELNS1_3gpuE4ELNS1_3repE0EEENS1_30default_config_static_selectorELNS0_4arch9wavefront6targetE1EEEvT1_
                                        ; -- End function
	.section	.AMDGPU.csdata,"",@progbits
; Kernel info:
; codeLenInByte = 0
; NumSgprs: 4
; NumVgprs: 0
; NumAgprs: 0
; TotalNumVgprs: 0
; ScratchSize: 0
; MemoryBound: 0
; FloatMode: 240
; IeeeMode: 1
; LDSByteSize: 0 bytes/workgroup (compile time only)
; SGPRBlocks: 0
; VGPRBlocks: 0
; NumSGPRsForWavesPerEU: 4
; NumVGPRsForWavesPerEU: 1
; AccumOffset: 4
; Occupancy: 8
; WaveLimiterHint : 0
; COMPUTE_PGM_RSRC2:SCRATCH_EN: 0
; COMPUTE_PGM_RSRC2:USER_SGPR: 6
; COMPUTE_PGM_RSRC2:TRAP_HANDLER: 0
; COMPUTE_PGM_RSRC2:TGID_X_EN: 1
; COMPUTE_PGM_RSRC2:TGID_Y_EN: 0
; COMPUTE_PGM_RSRC2:TGID_Z_EN: 0
; COMPUTE_PGM_RSRC2:TIDIG_COMP_CNT: 0
; COMPUTE_PGM_RSRC3_GFX90A:ACCUM_OFFSET: 0
; COMPUTE_PGM_RSRC3_GFX90A:TG_SPLIT: 0
	.section	.text._ZN7rocprim17ROCPRIM_400000_NS6detail17trampoline_kernelINS0_14default_configENS1_20scan_config_selectorIxEEZZNS1_9scan_implILNS1_25lookback_scan_determinismE0ELb0ELb0ES3_N6thrust23THRUST_200600_302600_NS6detail15normal_iteratorINS9_10device_ptrIxEEEENS9_16discard_iteratorINS9_11use_defaultEEEx11max_functorIxExEEDaPvRmT3_T4_T5_mT6_P12ihipStream_tbENKUlT_T0_E_clISt17integral_constantIbLb0EESW_IbLb1EEEEDaSS_ST_EUlSS_E0_NS1_11comp_targetILNS1_3genE9ELNS1_11target_archE1100ELNS1_3gpuE3ELNS1_3repE0EEENS1_30default_config_static_selectorELNS0_4arch9wavefront6targetE1EEEvT1_,"axG",@progbits,_ZN7rocprim17ROCPRIM_400000_NS6detail17trampoline_kernelINS0_14default_configENS1_20scan_config_selectorIxEEZZNS1_9scan_implILNS1_25lookback_scan_determinismE0ELb0ELb0ES3_N6thrust23THRUST_200600_302600_NS6detail15normal_iteratorINS9_10device_ptrIxEEEENS9_16discard_iteratorINS9_11use_defaultEEEx11max_functorIxExEEDaPvRmT3_T4_T5_mT6_P12ihipStream_tbENKUlT_T0_E_clISt17integral_constantIbLb0EESW_IbLb1EEEEDaSS_ST_EUlSS_E0_NS1_11comp_targetILNS1_3genE9ELNS1_11target_archE1100ELNS1_3gpuE3ELNS1_3repE0EEENS1_30default_config_static_selectorELNS0_4arch9wavefront6targetE1EEEvT1_,comdat
	.protected	_ZN7rocprim17ROCPRIM_400000_NS6detail17trampoline_kernelINS0_14default_configENS1_20scan_config_selectorIxEEZZNS1_9scan_implILNS1_25lookback_scan_determinismE0ELb0ELb0ES3_N6thrust23THRUST_200600_302600_NS6detail15normal_iteratorINS9_10device_ptrIxEEEENS9_16discard_iteratorINS9_11use_defaultEEEx11max_functorIxExEEDaPvRmT3_T4_T5_mT6_P12ihipStream_tbENKUlT_T0_E_clISt17integral_constantIbLb0EESW_IbLb1EEEEDaSS_ST_EUlSS_E0_NS1_11comp_targetILNS1_3genE9ELNS1_11target_archE1100ELNS1_3gpuE3ELNS1_3repE0EEENS1_30default_config_static_selectorELNS0_4arch9wavefront6targetE1EEEvT1_ ; -- Begin function _ZN7rocprim17ROCPRIM_400000_NS6detail17trampoline_kernelINS0_14default_configENS1_20scan_config_selectorIxEEZZNS1_9scan_implILNS1_25lookback_scan_determinismE0ELb0ELb0ES3_N6thrust23THRUST_200600_302600_NS6detail15normal_iteratorINS9_10device_ptrIxEEEENS9_16discard_iteratorINS9_11use_defaultEEEx11max_functorIxExEEDaPvRmT3_T4_T5_mT6_P12ihipStream_tbENKUlT_T0_E_clISt17integral_constantIbLb0EESW_IbLb1EEEEDaSS_ST_EUlSS_E0_NS1_11comp_targetILNS1_3genE9ELNS1_11target_archE1100ELNS1_3gpuE3ELNS1_3repE0EEENS1_30default_config_static_selectorELNS0_4arch9wavefront6targetE1EEEvT1_
	.globl	_ZN7rocprim17ROCPRIM_400000_NS6detail17trampoline_kernelINS0_14default_configENS1_20scan_config_selectorIxEEZZNS1_9scan_implILNS1_25lookback_scan_determinismE0ELb0ELb0ES3_N6thrust23THRUST_200600_302600_NS6detail15normal_iteratorINS9_10device_ptrIxEEEENS9_16discard_iteratorINS9_11use_defaultEEEx11max_functorIxExEEDaPvRmT3_T4_T5_mT6_P12ihipStream_tbENKUlT_T0_E_clISt17integral_constantIbLb0EESW_IbLb1EEEEDaSS_ST_EUlSS_E0_NS1_11comp_targetILNS1_3genE9ELNS1_11target_archE1100ELNS1_3gpuE3ELNS1_3repE0EEENS1_30default_config_static_selectorELNS0_4arch9wavefront6targetE1EEEvT1_
	.p2align	8
	.type	_ZN7rocprim17ROCPRIM_400000_NS6detail17trampoline_kernelINS0_14default_configENS1_20scan_config_selectorIxEEZZNS1_9scan_implILNS1_25lookback_scan_determinismE0ELb0ELb0ES3_N6thrust23THRUST_200600_302600_NS6detail15normal_iteratorINS9_10device_ptrIxEEEENS9_16discard_iteratorINS9_11use_defaultEEEx11max_functorIxExEEDaPvRmT3_T4_T5_mT6_P12ihipStream_tbENKUlT_T0_E_clISt17integral_constantIbLb0EESW_IbLb1EEEEDaSS_ST_EUlSS_E0_NS1_11comp_targetILNS1_3genE9ELNS1_11target_archE1100ELNS1_3gpuE3ELNS1_3repE0EEENS1_30default_config_static_selectorELNS0_4arch9wavefront6targetE1EEEvT1_,@function
_ZN7rocprim17ROCPRIM_400000_NS6detail17trampoline_kernelINS0_14default_configENS1_20scan_config_selectorIxEEZZNS1_9scan_implILNS1_25lookback_scan_determinismE0ELb0ELb0ES3_N6thrust23THRUST_200600_302600_NS6detail15normal_iteratorINS9_10device_ptrIxEEEENS9_16discard_iteratorINS9_11use_defaultEEEx11max_functorIxExEEDaPvRmT3_T4_T5_mT6_P12ihipStream_tbENKUlT_T0_E_clISt17integral_constantIbLb0EESW_IbLb1EEEEDaSS_ST_EUlSS_E0_NS1_11comp_targetILNS1_3genE9ELNS1_11target_archE1100ELNS1_3gpuE3ELNS1_3repE0EEENS1_30default_config_static_selectorELNS0_4arch9wavefront6targetE1EEEvT1_: ; @_ZN7rocprim17ROCPRIM_400000_NS6detail17trampoline_kernelINS0_14default_configENS1_20scan_config_selectorIxEEZZNS1_9scan_implILNS1_25lookback_scan_determinismE0ELb0ELb0ES3_N6thrust23THRUST_200600_302600_NS6detail15normal_iteratorINS9_10device_ptrIxEEEENS9_16discard_iteratorINS9_11use_defaultEEEx11max_functorIxExEEDaPvRmT3_T4_T5_mT6_P12ihipStream_tbENKUlT_T0_E_clISt17integral_constantIbLb0EESW_IbLb1EEEEDaSS_ST_EUlSS_E0_NS1_11comp_targetILNS1_3genE9ELNS1_11target_archE1100ELNS1_3gpuE3ELNS1_3repE0EEENS1_30default_config_static_selectorELNS0_4arch9wavefront6targetE1EEEvT1_
; %bb.0:
	.section	.rodata,"a",@progbits
	.p2align	6, 0x0
	.amdhsa_kernel _ZN7rocprim17ROCPRIM_400000_NS6detail17trampoline_kernelINS0_14default_configENS1_20scan_config_selectorIxEEZZNS1_9scan_implILNS1_25lookback_scan_determinismE0ELb0ELb0ES3_N6thrust23THRUST_200600_302600_NS6detail15normal_iteratorINS9_10device_ptrIxEEEENS9_16discard_iteratorINS9_11use_defaultEEEx11max_functorIxExEEDaPvRmT3_T4_T5_mT6_P12ihipStream_tbENKUlT_T0_E_clISt17integral_constantIbLb0EESW_IbLb1EEEEDaSS_ST_EUlSS_E0_NS1_11comp_targetILNS1_3genE9ELNS1_11target_archE1100ELNS1_3gpuE3ELNS1_3repE0EEENS1_30default_config_static_selectorELNS0_4arch9wavefront6targetE1EEEvT1_
		.amdhsa_group_segment_fixed_size 0
		.amdhsa_private_segment_fixed_size 0
		.amdhsa_kernarg_size 48
		.amdhsa_user_sgpr_count 6
		.amdhsa_user_sgpr_private_segment_buffer 1
		.amdhsa_user_sgpr_dispatch_ptr 0
		.amdhsa_user_sgpr_queue_ptr 0
		.amdhsa_user_sgpr_kernarg_segment_ptr 1
		.amdhsa_user_sgpr_dispatch_id 0
		.amdhsa_user_sgpr_flat_scratch_init 0
		.amdhsa_user_sgpr_kernarg_preload_length 0
		.amdhsa_user_sgpr_kernarg_preload_offset 0
		.amdhsa_user_sgpr_private_segment_size 0
		.amdhsa_uses_dynamic_stack 0
		.amdhsa_system_sgpr_private_segment_wavefront_offset 0
		.amdhsa_system_sgpr_workgroup_id_x 1
		.amdhsa_system_sgpr_workgroup_id_y 0
		.amdhsa_system_sgpr_workgroup_id_z 0
		.amdhsa_system_sgpr_workgroup_info 0
		.amdhsa_system_vgpr_workitem_id 0
		.amdhsa_next_free_vgpr 1
		.amdhsa_next_free_sgpr 0
		.amdhsa_accum_offset 4
		.amdhsa_reserve_vcc 0
		.amdhsa_reserve_flat_scratch 0
		.amdhsa_float_round_mode_32 0
		.amdhsa_float_round_mode_16_64 0
		.amdhsa_float_denorm_mode_32 3
		.amdhsa_float_denorm_mode_16_64 3
		.amdhsa_dx10_clamp 1
		.amdhsa_ieee_mode 1
		.amdhsa_fp16_overflow 0
		.amdhsa_tg_split 0
		.amdhsa_exception_fp_ieee_invalid_op 0
		.amdhsa_exception_fp_denorm_src 0
		.amdhsa_exception_fp_ieee_div_zero 0
		.amdhsa_exception_fp_ieee_overflow 0
		.amdhsa_exception_fp_ieee_underflow 0
		.amdhsa_exception_fp_ieee_inexact 0
		.amdhsa_exception_int_div_zero 0
	.end_amdhsa_kernel
	.section	.text._ZN7rocprim17ROCPRIM_400000_NS6detail17trampoline_kernelINS0_14default_configENS1_20scan_config_selectorIxEEZZNS1_9scan_implILNS1_25lookback_scan_determinismE0ELb0ELb0ES3_N6thrust23THRUST_200600_302600_NS6detail15normal_iteratorINS9_10device_ptrIxEEEENS9_16discard_iteratorINS9_11use_defaultEEEx11max_functorIxExEEDaPvRmT3_T4_T5_mT6_P12ihipStream_tbENKUlT_T0_E_clISt17integral_constantIbLb0EESW_IbLb1EEEEDaSS_ST_EUlSS_E0_NS1_11comp_targetILNS1_3genE9ELNS1_11target_archE1100ELNS1_3gpuE3ELNS1_3repE0EEENS1_30default_config_static_selectorELNS0_4arch9wavefront6targetE1EEEvT1_,"axG",@progbits,_ZN7rocprim17ROCPRIM_400000_NS6detail17trampoline_kernelINS0_14default_configENS1_20scan_config_selectorIxEEZZNS1_9scan_implILNS1_25lookback_scan_determinismE0ELb0ELb0ES3_N6thrust23THRUST_200600_302600_NS6detail15normal_iteratorINS9_10device_ptrIxEEEENS9_16discard_iteratorINS9_11use_defaultEEEx11max_functorIxExEEDaPvRmT3_T4_T5_mT6_P12ihipStream_tbENKUlT_T0_E_clISt17integral_constantIbLb0EESW_IbLb1EEEEDaSS_ST_EUlSS_E0_NS1_11comp_targetILNS1_3genE9ELNS1_11target_archE1100ELNS1_3gpuE3ELNS1_3repE0EEENS1_30default_config_static_selectorELNS0_4arch9wavefront6targetE1EEEvT1_,comdat
.Lfunc_end3780:
	.size	_ZN7rocprim17ROCPRIM_400000_NS6detail17trampoline_kernelINS0_14default_configENS1_20scan_config_selectorIxEEZZNS1_9scan_implILNS1_25lookback_scan_determinismE0ELb0ELb0ES3_N6thrust23THRUST_200600_302600_NS6detail15normal_iteratorINS9_10device_ptrIxEEEENS9_16discard_iteratorINS9_11use_defaultEEEx11max_functorIxExEEDaPvRmT3_T4_T5_mT6_P12ihipStream_tbENKUlT_T0_E_clISt17integral_constantIbLb0EESW_IbLb1EEEEDaSS_ST_EUlSS_E0_NS1_11comp_targetILNS1_3genE9ELNS1_11target_archE1100ELNS1_3gpuE3ELNS1_3repE0EEENS1_30default_config_static_selectorELNS0_4arch9wavefront6targetE1EEEvT1_, .Lfunc_end3780-_ZN7rocprim17ROCPRIM_400000_NS6detail17trampoline_kernelINS0_14default_configENS1_20scan_config_selectorIxEEZZNS1_9scan_implILNS1_25lookback_scan_determinismE0ELb0ELb0ES3_N6thrust23THRUST_200600_302600_NS6detail15normal_iteratorINS9_10device_ptrIxEEEENS9_16discard_iteratorINS9_11use_defaultEEEx11max_functorIxExEEDaPvRmT3_T4_T5_mT6_P12ihipStream_tbENKUlT_T0_E_clISt17integral_constantIbLb0EESW_IbLb1EEEEDaSS_ST_EUlSS_E0_NS1_11comp_targetILNS1_3genE9ELNS1_11target_archE1100ELNS1_3gpuE3ELNS1_3repE0EEENS1_30default_config_static_selectorELNS0_4arch9wavefront6targetE1EEEvT1_
                                        ; -- End function
	.section	.AMDGPU.csdata,"",@progbits
; Kernel info:
; codeLenInByte = 0
; NumSgprs: 4
; NumVgprs: 0
; NumAgprs: 0
; TotalNumVgprs: 0
; ScratchSize: 0
; MemoryBound: 0
; FloatMode: 240
; IeeeMode: 1
; LDSByteSize: 0 bytes/workgroup (compile time only)
; SGPRBlocks: 0
; VGPRBlocks: 0
; NumSGPRsForWavesPerEU: 4
; NumVGPRsForWavesPerEU: 1
; AccumOffset: 4
; Occupancy: 8
; WaveLimiterHint : 0
; COMPUTE_PGM_RSRC2:SCRATCH_EN: 0
; COMPUTE_PGM_RSRC2:USER_SGPR: 6
; COMPUTE_PGM_RSRC2:TRAP_HANDLER: 0
; COMPUTE_PGM_RSRC2:TGID_X_EN: 1
; COMPUTE_PGM_RSRC2:TGID_Y_EN: 0
; COMPUTE_PGM_RSRC2:TGID_Z_EN: 0
; COMPUTE_PGM_RSRC2:TIDIG_COMP_CNT: 0
; COMPUTE_PGM_RSRC3_GFX90A:ACCUM_OFFSET: 0
; COMPUTE_PGM_RSRC3_GFX90A:TG_SPLIT: 0
	.section	.text._ZN7rocprim17ROCPRIM_400000_NS6detail17trampoline_kernelINS0_14default_configENS1_20scan_config_selectorIxEEZZNS1_9scan_implILNS1_25lookback_scan_determinismE0ELb0ELb0ES3_N6thrust23THRUST_200600_302600_NS6detail15normal_iteratorINS9_10device_ptrIxEEEENS9_16discard_iteratorINS9_11use_defaultEEEx11max_functorIxExEEDaPvRmT3_T4_T5_mT6_P12ihipStream_tbENKUlT_T0_E_clISt17integral_constantIbLb0EESW_IbLb1EEEEDaSS_ST_EUlSS_E0_NS1_11comp_targetILNS1_3genE8ELNS1_11target_archE1030ELNS1_3gpuE2ELNS1_3repE0EEENS1_30default_config_static_selectorELNS0_4arch9wavefront6targetE1EEEvT1_,"axG",@progbits,_ZN7rocprim17ROCPRIM_400000_NS6detail17trampoline_kernelINS0_14default_configENS1_20scan_config_selectorIxEEZZNS1_9scan_implILNS1_25lookback_scan_determinismE0ELb0ELb0ES3_N6thrust23THRUST_200600_302600_NS6detail15normal_iteratorINS9_10device_ptrIxEEEENS9_16discard_iteratorINS9_11use_defaultEEEx11max_functorIxExEEDaPvRmT3_T4_T5_mT6_P12ihipStream_tbENKUlT_T0_E_clISt17integral_constantIbLb0EESW_IbLb1EEEEDaSS_ST_EUlSS_E0_NS1_11comp_targetILNS1_3genE8ELNS1_11target_archE1030ELNS1_3gpuE2ELNS1_3repE0EEENS1_30default_config_static_selectorELNS0_4arch9wavefront6targetE1EEEvT1_,comdat
	.protected	_ZN7rocprim17ROCPRIM_400000_NS6detail17trampoline_kernelINS0_14default_configENS1_20scan_config_selectorIxEEZZNS1_9scan_implILNS1_25lookback_scan_determinismE0ELb0ELb0ES3_N6thrust23THRUST_200600_302600_NS6detail15normal_iteratorINS9_10device_ptrIxEEEENS9_16discard_iteratorINS9_11use_defaultEEEx11max_functorIxExEEDaPvRmT3_T4_T5_mT6_P12ihipStream_tbENKUlT_T0_E_clISt17integral_constantIbLb0EESW_IbLb1EEEEDaSS_ST_EUlSS_E0_NS1_11comp_targetILNS1_3genE8ELNS1_11target_archE1030ELNS1_3gpuE2ELNS1_3repE0EEENS1_30default_config_static_selectorELNS0_4arch9wavefront6targetE1EEEvT1_ ; -- Begin function _ZN7rocprim17ROCPRIM_400000_NS6detail17trampoline_kernelINS0_14default_configENS1_20scan_config_selectorIxEEZZNS1_9scan_implILNS1_25lookback_scan_determinismE0ELb0ELb0ES3_N6thrust23THRUST_200600_302600_NS6detail15normal_iteratorINS9_10device_ptrIxEEEENS9_16discard_iteratorINS9_11use_defaultEEEx11max_functorIxExEEDaPvRmT3_T4_T5_mT6_P12ihipStream_tbENKUlT_T0_E_clISt17integral_constantIbLb0EESW_IbLb1EEEEDaSS_ST_EUlSS_E0_NS1_11comp_targetILNS1_3genE8ELNS1_11target_archE1030ELNS1_3gpuE2ELNS1_3repE0EEENS1_30default_config_static_selectorELNS0_4arch9wavefront6targetE1EEEvT1_
	.globl	_ZN7rocprim17ROCPRIM_400000_NS6detail17trampoline_kernelINS0_14default_configENS1_20scan_config_selectorIxEEZZNS1_9scan_implILNS1_25lookback_scan_determinismE0ELb0ELb0ES3_N6thrust23THRUST_200600_302600_NS6detail15normal_iteratorINS9_10device_ptrIxEEEENS9_16discard_iteratorINS9_11use_defaultEEEx11max_functorIxExEEDaPvRmT3_T4_T5_mT6_P12ihipStream_tbENKUlT_T0_E_clISt17integral_constantIbLb0EESW_IbLb1EEEEDaSS_ST_EUlSS_E0_NS1_11comp_targetILNS1_3genE8ELNS1_11target_archE1030ELNS1_3gpuE2ELNS1_3repE0EEENS1_30default_config_static_selectorELNS0_4arch9wavefront6targetE1EEEvT1_
	.p2align	8
	.type	_ZN7rocprim17ROCPRIM_400000_NS6detail17trampoline_kernelINS0_14default_configENS1_20scan_config_selectorIxEEZZNS1_9scan_implILNS1_25lookback_scan_determinismE0ELb0ELb0ES3_N6thrust23THRUST_200600_302600_NS6detail15normal_iteratorINS9_10device_ptrIxEEEENS9_16discard_iteratorINS9_11use_defaultEEEx11max_functorIxExEEDaPvRmT3_T4_T5_mT6_P12ihipStream_tbENKUlT_T0_E_clISt17integral_constantIbLb0EESW_IbLb1EEEEDaSS_ST_EUlSS_E0_NS1_11comp_targetILNS1_3genE8ELNS1_11target_archE1030ELNS1_3gpuE2ELNS1_3repE0EEENS1_30default_config_static_selectorELNS0_4arch9wavefront6targetE1EEEvT1_,@function
_ZN7rocprim17ROCPRIM_400000_NS6detail17trampoline_kernelINS0_14default_configENS1_20scan_config_selectorIxEEZZNS1_9scan_implILNS1_25lookback_scan_determinismE0ELb0ELb0ES3_N6thrust23THRUST_200600_302600_NS6detail15normal_iteratorINS9_10device_ptrIxEEEENS9_16discard_iteratorINS9_11use_defaultEEEx11max_functorIxExEEDaPvRmT3_T4_T5_mT6_P12ihipStream_tbENKUlT_T0_E_clISt17integral_constantIbLb0EESW_IbLb1EEEEDaSS_ST_EUlSS_E0_NS1_11comp_targetILNS1_3genE8ELNS1_11target_archE1030ELNS1_3gpuE2ELNS1_3repE0EEENS1_30default_config_static_selectorELNS0_4arch9wavefront6targetE1EEEvT1_: ; @_ZN7rocprim17ROCPRIM_400000_NS6detail17trampoline_kernelINS0_14default_configENS1_20scan_config_selectorIxEEZZNS1_9scan_implILNS1_25lookback_scan_determinismE0ELb0ELb0ES3_N6thrust23THRUST_200600_302600_NS6detail15normal_iteratorINS9_10device_ptrIxEEEENS9_16discard_iteratorINS9_11use_defaultEEEx11max_functorIxExEEDaPvRmT3_T4_T5_mT6_P12ihipStream_tbENKUlT_T0_E_clISt17integral_constantIbLb0EESW_IbLb1EEEEDaSS_ST_EUlSS_E0_NS1_11comp_targetILNS1_3genE8ELNS1_11target_archE1030ELNS1_3gpuE2ELNS1_3repE0EEENS1_30default_config_static_selectorELNS0_4arch9wavefront6targetE1EEEvT1_
; %bb.0:
	.section	.rodata,"a",@progbits
	.p2align	6, 0x0
	.amdhsa_kernel _ZN7rocprim17ROCPRIM_400000_NS6detail17trampoline_kernelINS0_14default_configENS1_20scan_config_selectorIxEEZZNS1_9scan_implILNS1_25lookback_scan_determinismE0ELb0ELb0ES3_N6thrust23THRUST_200600_302600_NS6detail15normal_iteratorINS9_10device_ptrIxEEEENS9_16discard_iteratorINS9_11use_defaultEEEx11max_functorIxExEEDaPvRmT3_T4_T5_mT6_P12ihipStream_tbENKUlT_T0_E_clISt17integral_constantIbLb0EESW_IbLb1EEEEDaSS_ST_EUlSS_E0_NS1_11comp_targetILNS1_3genE8ELNS1_11target_archE1030ELNS1_3gpuE2ELNS1_3repE0EEENS1_30default_config_static_selectorELNS0_4arch9wavefront6targetE1EEEvT1_
		.amdhsa_group_segment_fixed_size 0
		.amdhsa_private_segment_fixed_size 0
		.amdhsa_kernarg_size 48
		.amdhsa_user_sgpr_count 6
		.amdhsa_user_sgpr_private_segment_buffer 1
		.amdhsa_user_sgpr_dispatch_ptr 0
		.amdhsa_user_sgpr_queue_ptr 0
		.amdhsa_user_sgpr_kernarg_segment_ptr 1
		.amdhsa_user_sgpr_dispatch_id 0
		.amdhsa_user_sgpr_flat_scratch_init 0
		.amdhsa_user_sgpr_kernarg_preload_length 0
		.amdhsa_user_sgpr_kernarg_preload_offset 0
		.amdhsa_user_sgpr_private_segment_size 0
		.amdhsa_uses_dynamic_stack 0
		.amdhsa_system_sgpr_private_segment_wavefront_offset 0
		.amdhsa_system_sgpr_workgroup_id_x 1
		.amdhsa_system_sgpr_workgroup_id_y 0
		.amdhsa_system_sgpr_workgroup_id_z 0
		.amdhsa_system_sgpr_workgroup_info 0
		.amdhsa_system_vgpr_workitem_id 0
		.amdhsa_next_free_vgpr 1
		.amdhsa_next_free_sgpr 0
		.amdhsa_accum_offset 4
		.amdhsa_reserve_vcc 0
		.amdhsa_reserve_flat_scratch 0
		.amdhsa_float_round_mode_32 0
		.amdhsa_float_round_mode_16_64 0
		.amdhsa_float_denorm_mode_32 3
		.amdhsa_float_denorm_mode_16_64 3
		.amdhsa_dx10_clamp 1
		.amdhsa_ieee_mode 1
		.amdhsa_fp16_overflow 0
		.amdhsa_tg_split 0
		.amdhsa_exception_fp_ieee_invalid_op 0
		.amdhsa_exception_fp_denorm_src 0
		.amdhsa_exception_fp_ieee_div_zero 0
		.amdhsa_exception_fp_ieee_overflow 0
		.amdhsa_exception_fp_ieee_underflow 0
		.amdhsa_exception_fp_ieee_inexact 0
		.amdhsa_exception_int_div_zero 0
	.end_amdhsa_kernel
	.section	.text._ZN7rocprim17ROCPRIM_400000_NS6detail17trampoline_kernelINS0_14default_configENS1_20scan_config_selectorIxEEZZNS1_9scan_implILNS1_25lookback_scan_determinismE0ELb0ELb0ES3_N6thrust23THRUST_200600_302600_NS6detail15normal_iteratorINS9_10device_ptrIxEEEENS9_16discard_iteratorINS9_11use_defaultEEEx11max_functorIxExEEDaPvRmT3_T4_T5_mT6_P12ihipStream_tbENKUlT_T0_E_clISt17integral_constantIbLb0EESW_IbLb1EEEEDaSS_ST_EUlSS_E0_NS1_11comp_targetILNS1_3genE8ELNS1_11target_archE1030ELNS1_3gpuE2ELNS1_3repE0EEENS1_30default_config_static_selectorELNS0_4arch9wavefront6targetE1EEEvT1_,"axG",@progbits,_ZN7rocprim17ROCPRIM_400000_NS6detail17trampoline_kernelINS0_14default_configENS1_20scan_config_selectorIxEEZZNS1_9scan_implILNS1_25lookback_scan_determinismE0ELb0ELb0ES3_N6thrust23THRUST_200600_302600_NS6detail15normal_iteratorINS9_10device_ptrIxEEEENS9_16discard_iteratorINS9_11use_defaultEEEx11max_functorIxExEEDaPvRmT3_T4_T5_mT6_P12ihipStream_tbENKUlT_T0_E_clISt17integral_constantIbLb0EESW_IbLb1EEEEDaSS_ST_EUlSS_E0_NS1_11comp_targetILNS1_3genE8ELNS1_11target_archE1030ELNS1_3gpuE2ELNS1_3repE0EEENS1_30default_config_static_selectorELNS0_4arch9wavefront6targetE1EEEvT1_,comdat
.Lfunc_end3781:
	.size	_ZN7rocprim17ROCPRIM_400000_NS6detail17trampoline_kernelINS0_14default_configENS1_20scan_config_selectorIxEEZZNS1_9scan_implILNS1_25lookback_scan_determinismE0ELb0ELb0ES3_N6thrust23THRUST_200600_302600_NS6detail15normal_iteratorINS9_10device_ptrIxEEEENS9_16discard_iteratorINS9_11use_defaultEEEx11max_functorIxExEEDaPvRmT3_T4_T5_mT6_P12ihipStream_tbENKUlT_T0_E_clISt17integral_constantIbLb0EESW_IbLb1EEEEDaSS_ST_EUlSS_E0_NS1_11comp_targetILNS1_3genE8ELNS1_11target_archE1030ELNS1_3gpuE2ELNS1_3repE0EEENS1_30default_config_static_selectorELNS0_4arch9wavefront6targetE1EEEvT1_, .Lfunc_end3781-_ZN7rocprim17ROCPRIM_400000_NS6detail17trampoline_kernelINS0_14default_configENS1_20scan_config_selectorIxEEZZNS1_9scan_implILNS1_25lookback_scan_determinismE0ELb0ELb0ES3_N6thrust23THRUST_200600_302600_NS6detail15normal_iteratorINS9_10device_ptrIxEEEENS9_16discard_iteratorINS9_11use_defaultEEEx11max_functorIxExEEDaPvRmT3_T4_T5_mT6_P12ihipStream_tbENKUlT_T0_E_clISt17integral_constantIbLb0EESW_IbLb1EEEEDaSS_ST_EUlSS_E0_NS1_11comp_targetILNS1_3genE8ELNS1_11target_archE1030ELNS1_3gpuE2ELNS1_3repE0EEENS1_30default_config_static_selectorELNS0_4arch9wavefront6targetE1EEEvT1_
                                        ; -- End function
	.section	.AMDGPU.csdata,"",@progbits
; Kernel info:
; codeLenInByte = 0
; NumSgprs: 4
; NumVgprs: 0
; NumAgprs: 0
; TotalNumVgprs: 0
; ScratchSize: 0
; MemoryBound: 0
; FloatMode: 240
; IeeeMode: 1
; LDSByteSize: 0 bytes/workgroup (compile time only)
; SGPRBlocks: 0
; VGPRBlocks: 0
; NumSGPRsForWavesPerEU: 4
; NumVGPRsForWavesPerEU: 1
; AccumOffset: 4
; Occupancy: 8
; WaveLimiterHint : 0
; COMPUTE_PGM_RSRC2:SCRATCH_EN: 0
; COMPUTE_PGM_RSRC2:USER_SGPR: 6
; COMPUTE_PGM_RSRC2:TRAP_HANDLER: 0
; COMPUTE_PGM_RSRC2:TGID_X_EN: 1
; COMPUTE_PGM_RSRC2:TGID_Y_EN: 0
; COMPUTE_PGM_RSRC2:TGID_Z_EN: 0
; COMPUTE_PGM_RSRC2:TIDIG_COMP_CNT: 0
; COMPUTE_PGM_RSRC3_GFX90A:ACCUM_OFFSET: 0
; COMPUTE_PGM_RSRC3_GFX90A:TG_SPLIT: 0
	.section	.text._ZN7rocprim17ROCPRIM_400000_NS6detail17trampoline_kernelINS0_14default_configENS1_20scan_config_selectorIxEEZZNS1_9scan_implILNS1_25lookback_scan_determinismE0ELb1ELb1ES3_N6thrust23THRUST_200600_302600_NS6detail15normal_iteratorINS9_10device_ptrIxEEEENS9_16discard_iteratorINS9_11use_defaultEEEx11max_functorIxExEEDaPvRmT3_T4_T5_mT6_P12ihipStream_tbENKUlT_T0_E_clISt17integral_constantIbLb0EESX_EEDaSS_ST_EUlSS_E_NS1_11comp_targetILNS1_3genE0ELNS1_11target_archE4294967295ELNS1_3gpuE0ELNS1_3repE0EEENS1_30default_config_static_selectorELNS0_4arch9wavefront6targetE1EEEvT1_,"axG",@progbits,_ZN7rocprim17ROCPRIM_400000_NS6detail17trampoline_kernelINS0_14default_configENS1_20scan_config_selectorIxEEZZNS1_9scan_implILNS1_25lookback_scan_determinismE0ELb1ELb1ES3_N6thrust23THRUST_200600_302600_NS6detail15normal_iteratorINS9_10device_ptrIxEEEENS9_16discard_iteratorINS9_11use_defaultEEEx11max_functorIxExEEDaPvRmT3_T4_T5_mT6_P12ihipStream_tbENKUlT_T0_E_clISt17integral_constantIbLb0EESX_EEDaSS_ST_EUlSS_E_NS1_11comp_targetILNS1_3genE0ELNS1_11target_archE4294967295ELNS1_3gpuE0ELNS1_3repE0EEENS1_30default_config_static_selectorELNS0_4arch9wavefront6targetE1EEEvT1_,comdat
	.protected	_ZN7rocprim17ROCPRIM_400000_NS6detail17trampoline_kernelINS0_14default_configENS1_20scan_config_selectorIxEEZZNS1_9scan_implILNS1_25lookback_scan_determinismE0ELb1ELb1ES3_N6thrust23THRUST_200600_302600_NS6detail15normal_iteratorINS9_10device_ptrIxEEEENS9_16discard_iteratorINS9_11use_defaultEEEx11max_functorIxExEEDaPvRmT3_T4_T5_mT6_P12ihipStream_tbENKUlT_T0_E_clISt17integral_constantIbLb0EESX_EEDaSS_ST_EUlSS_E_NS1_11comp_targetILNS1_3genE0ELNS1_11target_archE4294967295ELNS1_3gpuE0ELNS1_3repE0EEENS1_30default_config_static_selectorELNS0_4arch9wavefront6targetE1EEEvT1_ ; -- Begin function _ZN7rocprim17ROCPRIM_400000_NS6detail17trampoline_kernelINS0_14default_configENS1_20scan_config_selectorIxEEZZNS1_9scan_implILNS1_25lookback_scan_determinismE0ELb1ELb1ES3_N6thrust23THRUST_200600_302600_NS6detail15normal_iteratorINS9_10device_ptrIxEEEENS9_16discard_iteratorINS9_11use_defaultEEEx11max_functorIxExEEDaPvRmT3_T4_T5_mT6_P12ihipStream_tbENKUlT_T0_E_clISt17integral_constantIbLb0EESX_EEDaSS_ST_EUlSS_E_NS1_11comp_targetILNS1_3genE0ELNS1_11target_archE4294967295ELNS1_3gpuE0ELNS1_3repE0EEENS1_30default_config_static_selectorELNS0_4arch9wavefront6targetE1EEEvT1_
	.globl	_ZN7rocprim17ROCPRIM_400000_NS6detail17trampoline_kernelINS0_14default_configENS1_20scan_config_selectorIxEEZZNS1_9scan_implILNS1_25lookback_scan_determinismE0ELb1ELb1ES3_N6thrust23THRUST_200600_302600_NS6detail15normal_iteratorINS9_10device_ptrIxEEEENS9_16discard_iteratorINS9_11use_defaultEEEx11max_functorIxExEEDaPvRmT3_T4_T5_mT6_P12ihipStream_tbENKUlT_T0_E_clISt17integral_constantIbLb0EESX_EEDaSS_ST_EUlSS_E_NS1_11comp_targetILNS1_3genE0ELNS1_11target_archE4294967295ELNS1_3gpuE0ELNS1_3repE0EEENS1_30default_config_static_selectorELNS0_4arch9wavefront6targetE1EEEvT1_
	.p2align	8
	.type	_ZN7rocprim17ROCPRIM_400000_NS6detail17trampoline_kernelINS0_14default_configENS1_20scan_config_selectorIxEEZZNS1_9scan_implILNS1_25lookback_scan_determinismE0ELb1ELb1ES3_N6thrust23THRUST_200600_302600_NS6detail15normal_iteratorINS9_10device_ptrIxEEEENS9_16discard_iteratorINS9_11use_defaultEEEx11max_functorIxExEEDaPvRmT3_T4_T5_mT6_P12ihipStream_tbENKUlT_T0_E_clISt17integral_constantIbLb0EESX_EEDaSS_ST_EUlSS_E_NS1_11comp_targetILNS1_3genE0ELNS1_11target_archE4294967295ELNS1_3gpuE0ELNS1_3repE0EEENS1_30default_config_static_selectorELNS0_4arch9wavefront6targetE1EEEvT1_,@function
_ZN7rocprim17ROCPRIM_400000_NS6detail17trampoline_kernelINS0_14default_configENS1_20scan_config_selectorIxEEZZNS1_9scan_implILNS1_25lookback_scan_determinismE0ELb1ELb1ES3_N6thrust23THRUST_200600_302600_NS6detail15normal_iteratorINS9_10device_ptrIxEEEENS9_16discard_iteratorINS9_11use_defaultEEEx11max_functorIxExEEDaPvRmT3_T4_T5_mT6_P12ihipStream_tbENKUlT_T0_E_clISt17integral_constantIbLb0EESX_EEDaSS_ST_EUlSS_E_NS1_11comp_targetILNS1_3genE0ELNS1_11target_archE4294967295ELNS1_3gpuE0ELNS1_3repE0EEENS1_30default_config_static_selectorELNS0_4arch9wavefront6targetE1EEEvT1_: ; @_ZN7rocprim17ROCPRIM_400000_NS6detail17trampoline_kernelINS0_14default_configENS1_20scan_config_selectorIxEEZZNS1_9scan_implILNS1_25lookback_scan_determinismE0ELb1ELb1ES3_N6thrust23THRUST_200600_302600_NS6detail15normal_iteratorINS9_10device_ptrIxEEEENS9_16discard_iteratorINS9_11use_defaultEEEx11max_functorIxExEEDaPvRmT3_T4_T5_mT6_P12ihipStream_tbENKUlT_T0_E_clISt17integral_constantIbLb0EESX_EEDaSS_ST_EUlSS_E_NS1_11comp_targetILNS1_3genE0ELNS1_11target_archE4294967295ELNS1_3gpuE0ELNS1_3repE0EEENS1_30default_config_static_selectorELNS0_4arch9wavefront6targetE1EEEvT1_
; %bb.0:
	.section	.rodata,"a",@progbits
	.p2align	6, 0x0
	.amdhsa_kernel _ZN7rocprim17ROCPRIM_400000_NS6detail17trampoline_kernelINS0_14default_configENS1_20scan_config_selectorIxEEZZNS1_9scan_implILNS1_25lookback_scan_determinismE0ELb1ELb1ES3_N6thrust23THRUST_200600_302600_NS6detail15normal_iteratorINS9_10device_ptrIxEEEENS9_16discard_iteratorINS9_11use_defaultEEEx11max_functorIxExEEDaPvRmT3_T4_T5_mT6_P12ihipStream_tbENKUlT_T0_E_clISt17integral_constantIbLb0EESX_EEDaSS_ST_EUlSS_E_NS1_11comp_targetILNS1_3genE0ELNS1_11target_archE4294967295ELNS1_3gpuE0ELNS1_3repE0EEENS1_30default_config_static_selectorELNS0_4arch9wavefront6targetE1EEEvT1_
		.amdhsa_group_segment_fixed_size 0
		.amdhsa_private_segment_fixed_size 0
		.amdhsa_kernarg_size 112
		.amdhsa_user_sgpr_count 6
		.amdhsa_user_sgpr_private_segment_buffer 1
		.amdhsa_user_sgpr_dispatch_ptr 0
		.amdhsa_user_sgpr_queue_ptr 0
		.amdhsa_user_sgpr_kernarg_segment_ptr 1
		.amdhsa_user_sgpr_dispatch_id 0
		.amdhsa_user_sgpr_flat_scratch_init 0
		.amdhsa_user_sgpr_kernarg_preload_length 0
		.amdhsa_user_sgpr_kernarg_preload_offset 0
		.amdhsa_user_sgpr_private_segment_size 0
		.amdhsa_uses_dynamic_stack 0
		.amdhsa_system_sgpr_private_segment_wavefront_offset 0
		.amdhsa_system_sgpr_workgroup_id_x 1
		.amdhsa_system_sgpr_workgroup_id_y 0
		.amdhsa_system_sgpr_workgroup_id_z 0
		.amdhsa_system_sgpr_workgroup_info 0
		.amdhsa_system_vgpr_workitem_id 0
		.amdhsa_next_free_vgpr 1
		.amdhsa_next_free_sgpr 0
		.amdhsa_accum_offset 4
		.amdhsa_reserve_vcc 0
		.amdhsa_reserve_flat_scratch 0
		.amdhsa_float_round_mode_32 0
		.amdhsa_float_round_mode_16_64 0
		.amdhsa_float_denorm_mode_32 3
		.amdhsa_float_denorm_mode_16_64 3
		.amdhsa_dx10_clamp 1
		.amdhsa_ieee_mode 1
		.amdhsa_fp16_overflow 0
		.amdhsa_tg_split 0
		.amdhsa_exception_fp_ieee_invalid_op 0
		.amdhsa_exception_fp_denorm_src 0
		.amdhsa_exception_fp_ieee_div_zero 0
		.amdhsa_exception_fp_ieee_overflow 0
		.amdhsa_exception_fp_ieee_underflow 0
		.amdhsa_exception_fp_ieee_inexact 0
		.amdhsa_exception_int_div_zero 0
	.end_amdhsa_kernel
	.section	.text._ZN7rocprim17ROCPRIM_400000_NS6detail17trampoline_kernelINS0_14default_configENS1_20scan_config_selectorIxEEZZNS1_9scan_implILNS1_25lookback_scan_determinismE0ELb1ELb1ES3_N6thrust23THRUST_200600_302600_NS6detail15normal_iteratorINS9_10device_ptrIxEEEENS9_16discard_iteratorINS9_11use_defaultEEEx11max_functorIxExEEDaPvRmT3_T4_T5_mT6_P12ihipStream_tbENKUlT_T0_E_clISt17integral_constantIbLb0EESX_EEDaSS_ST_EUlSS_E_NS1_11comp_targetILNS1_3genE0ELNS1_11target_archE4294967295ELNS1_3gpuE0ELNS1_3repE0EEENS1_30default_config_static_selectorELNS0_4arch9wavefront6targetE1EEEvT1_,"axG",@progbits,_ZN7rocprim17ROCPRIM_400000_NS6detail17trampoline_kernelINS0_14default_configENS1_20scan_config_selectorIxEEZZNS1_9scan_implILNS1_25lookback_scan_determinismE0ELb1ELb1ES3_N6thrust23THRUST_200600_302600_NS6detail15normal_iteratorINS9_10device_ptrIxEEEENS9_16discard_iteratorINS9_11use_defaultEEEx11max_functorIxExEEDaPvRmT3_T4_T5_mT6_P12ihipStream_tbENKUlT_T0_E_clISt17integral_constantIbLb0EESX_EEDaSS_ST_EUlSS_E_NS1_11comp_targetILNS1_3genE0ELNS1_11target_archE4294967295ELNS1_3gpuE0ELNS1_3repE0EEENS1_30default_config_static_selectorELNS0_4arch9wavefront6targetE1EEEvT1_,comdat
.Lfunc_end3782:
	.size	_ZN7rocprim17ROCPRIM_400000_NS6detail17trampoline_kernelINS0_14default_configENS1_20scan_config_selectorIxEEZZNS1_9scan_implILNS1_25lookback_scan_determinismE0ELb1ELb1ES3_N6thrust23THRUST_200600_302600_NS6detail15normal_iteratorINS9_10device_ptrIxEEEENS9_16discard_iteratorINS9_11use_defaultEEEx11max_functorIxExEEDaPvRmT3_T4_T5_mT6_P12ihipStream_tbENKUlT_T0_E_clISt17integral_constantIbLb0EESX_EEDaSS_ST_EUlSS_E_NS1_11comp_targetILNS1_3genE0ELNS1_11target_archE4294967295ELNS1_3gpuE0ELNS1_3repE0EEENS1_30default_config_static_selectorELNS0_4arch9wavefront6targetE1EEEvT1_, .Lfunc_end3782-_ZN7rocprim17ROCPRIM_400000_NS6detail17trampoline_kernelINS0_14default_configENS1_20scan_config_selectorIxEEZZNS1_9scan_implILNS1_25lookback_scan_determinismE0ELb1ELb1ES3_N6thrust23THRUST_200600_302600_NS6detail15normal_iteratorINS9_10device_ptrIxEEEENS9_16discard_iteratorINS9_11use_defaultEEEx11max_functorIxExEEDaPvRmT3_T4_T5_mT6_P12ihipStream_tbENKUlT_T0_E_clISt17integral_constantIbLb0EESX_EEDaSS_ST_EUlSS_E_NS1_11comp_targetILNS1_3genE0ELNS1_11target_archE4294967295ELNS1_3gpuE0ELNS1_3repE0EEENS1_30default_config_static_selectorELNS0_4arch9wavefront6targetE1EEEvT1_
                                        ; -- End function
	.section	.AMDGPU.csdata,"",@progbits
; Kernel info:
; codeLenInByte = 0
; NumSgprs: 4
; NumVgprs: 0
; NumAgprs: 0
; TotalNumVgprs: 0
; ScratchSize: 0
; MemoryBound: 0
; FloatMode: 240
; IeeeMode: 1
; LDSByteSize: 0 bytes/workgroup (compile time only)
; SGPRBlocks: 0
; VGPRBlocks: 0
; NumSGPRsForWavesPerEU: 4
; NumVGPRsForWavesPerEU: 1
; AccumOffset: 4
; Occupancy: 8
; WaveLimiterHint : 0
; COMPUTE_PGM_RSRC2:SCRATCH_EN: 0
; COMPUTE_PGM_RSRC2:USER_SGPR: 6
; COMPUTE_PGM_RSRC2:TRAP_HANDLER: 0
; COMPUTE_PGM_RSRC2:TGID_X_EN: 1
; COMPUTE_PGM_RSRC2:TGID_Y_EN: 0
; COMPUTE_PGM_RSRC2:TGID_Z_EN: 0
; COMPUTE_PGM_RSRC2:TIDIG_COMP_CNT: 0
; COMPUTE_PGM_RSRC3_GFX90A:ACCUM_OFFSET: 0
; COMPUTE_PGM_RSRC3_GFX90A:TG_SPLIT: 0
	.section	.text._ZN7rocprim17ROCPRIM_400000_NS6detail17trampoline_kernelINS0_14default_configENS1_20scan_config_selectorIxEEZZNS1_9scan_implILNS1_25lookback_scan_determinismE0ELb1ELb1ES3_N6thrust23THRUST_200600_302600_NS6detail15normal_iteratorINS9_10device_ptrIxEEEENS9_16discard_iteratorINS9_11use_defaultEEEx11max_functorIxExEEDaPvRmT3_T4_T5_mT6_P12ihipStream_tbENKUlT_T0_E_clISt17integral_constantIbLb0EESX_EEDaSS_ST_EUlSS_E_NS1_11comp_targetILNS1_3genE5ELNS1_11target_archE942ELNS1_3gpuE9ELNS1_3repE0EEENS1_30default_config_static_selectorELNS0_4arch9wavefront6targetE1EEEvT1_,"axG",@progbits,_ZN7rocprim17ROCPRIM_400000_NS6detail17trampoline_kernelINS0_14default_configENS1_20scan_config_selectorIxEEZZNS1_9scan_implILNS1_25lookback_scan_determinismE0ELb1ELb1ES3_N6thrust23THRUST_200600_302600_NS6detail15normal_iteratorINS9_10device_ptrIxEEEENS9_16discard_iteratorINS9_11use_defaultEEEx11max_functorIxExEEDaPvRmT3_T4_T5_mT6_P12ihipStream_tbENKUlT_T0_E_clISt17integral_constantIbLb0EESX_EEDaSS_ST_EUlSS_E_NS1_11comp_targetILNS1_3genE5ELNS1_11target_archE942ELNS1_3gpuE9ELNS1_3repE0EEENS1_30default_config_static_selectorELNS0_4arch9wavefront6targetE1EEEvT1_,comdat
	.protected	_ZN7rocprim17ROCPRIM_400000_NS6detail17trampoline_kernelINS0_14default_configENS1_20scan_config_selectorIxEEZZNS1_9scan_implILNS1_25lookback_scan_determinismE0ELb1ELb1ES3_N6thrust23THRUST_200600_302600_NS6detail15normal_iteratorINS9_10device_ptrIxEEEENS9_16discard_iteratorINS9_11use_defaultEEEx11max_functorIxExEEDaPvRmT3_T4_T5_mT6_P12ihipStream_tbENKUlT_T0_E_clISt17integral_constantIbLb0EESX_EEDaSS_ST_EUlSS_E_NS1_11comp_targetILNS1_3genE5ELNS1_11target_archE942ELNS1_3gpuE9ELNS1_3repE0EEENS1_30default_config_static_selectorELNS0_4arch9wavefront6targetE1EEEvT1_ ; -- Begin function _ZN7rocprim17ROCPRIM_400000_NS6detail17trampoline_kernelINS0_14default_configENS1_20scan_config_selectorIxEEZZNS1_9scan_implILNS1_25lookback_scan_determinismE0ELb1ELb1ES3_N6thrust23THRUST_200600_302600_NS6detail15normal_iteratorINS9_10device_ptrIxEEEENS9_16discard_iteratorINS9_11use_defaultEEEx11max_functorIxExEEDaPvRmT3_T4_T5_mT6_P12ihipStream_tbENKUlT_T0_E_clISt17integral_constantIbLb0EESX_EEDaSS_ST_EUlSS_E_NS1_11comp_targetILNS1_3genE5ELNS1_11target_archE942ELNS1_3gpuE9ELNS1_3repE0EEENS1_30default_config_static_selectorELNS0_4arch9wavefront6targetE1EEEvT1_
	.globl	_ZN7rocprim17ROCPRIM_400000_NS6detail17trampoline_kernelINS0_14default_configENS1_20scan_config_selectorIxEEZZNS1_9scan_implILNS1_25lookback_scan_determinismE0ELb1ELb1ES3_N6thrust23THRUST_200600_302600_NS6detail15normal_iteratorINS9_10device_ptrIxEEEENS9_16discard_iteratorINS9_11use_defaultEEEx11max_functorIxExEEDaPvRmT3_T4_T5_mT6_P12ihipStream_tbENKUlT_T0_E_clISt17integral_constantIbLb0EESX_EEDaSS_ST_EUlSS_E_NS1_11comp_targetILNS1_3genE5ELNS1_11target_archE942ELNS1_3gpuE9ELNS1_3repE0EEENS1_30default_config_static_selectorELNS0_4arch9wavefront6targetE1EEEvT1_
	.p2align	8
	.type	_ZN7rocprim17ROCPRIM_400000_NS6detail17trampoline_kernelINS0_14default_configENS1_20scan_config_selectorIxEEZZNS1_9scan_implILNS1_25lookback_scan_determinismE0ELb1ELb1ES3_N6thrust23THRUST_200600_302600_NS6detail15normal_iteratorINS9_10device_ptrIxEEEENS9_16discard_iteratorINS9_11use_defaultEEEx11max_functorIxExEEDaPvRmT3_T4_T5_mT6_P12ihipStream_tbENKUlT_T0_E_clISt17integral_constantIbLb0EESX_EEDaSS_ST_EUlSS_E_NS1_11comp_targetILNS1_3genE5ELNS1_11target_archE942ELNS1_3gpuE9ELNS1_3repE0EEENS1_30default_config_static_selectorELNS0_4arch9wavefront6targetE1EEEvT1_,@function
_ZN7rocprim17ROCPRIM_400000_NS6detail17trampoline_kernelINS0_14default_configENS1_20scan_config_selectorIxEEZZNS1_9scan_implILNS1_25lookback_scan_determinismE0ELb1ELb1ES3_N6thrust23THRUST_200600_302600_NS6detail15normal_iteratorINS9_10device_ptrIxEEEENS9_16discard_iteratorINS9_11use_defaultEEEx11max_functorIxExEEDaPvRmT3_T4_T5_mT6_P12ihipStream_tbENKUlT_T0_E_clISt17integral_constantIbLb0EESX_EEDaSS_ST_EUlSS_E_NS1_11comp_targetILNS1_3genE5ELNS1_11target_archE942ELNS1_3gpuE9ELNS1_3repE0EEENS1_30default_config_static_selectorELNS0_4arch9wavefront6targetE1EEEvT1_: ; @_ZN7rocprim17ROCPRIM_400000_NS6detail17trampoline_kernelINS0_14default_configENS1_20scan_config_selectorIxEEZZNS1_9scan_implILNS1_25lookback_scan_determinismE0ELb1ELb1ES3_N6thrust23THRUST_200600_302600_NS6detail15normal_iteratorINS9_10device_ptrIxEEEENS9_16discard_iteratorINS9_11use_defaultEEEx11max_functorIxExEEDaPvRmT3_T4_T5_mT6_P12ihipStream_tbENKUlT_T0_E_clISt17integral_constantIbLb0EESX_EEDaSS_ST_EUlSS_E_NS1_11comp_targetILNS1_3genE5ELNS1_11target_archE942ELNS1_3gpuE9ELNS1_3repE0EEENS1_30default_config_static_selectorELNS0_4arch9wavefront6targetE1EEEvT1_
; %bb.0:
	.section	.rodata,"a",@progbits
	.p2align	6, 0x0
	.amdhsa_kernel _ZN7rocprim17ROCPRIM_400000_NS6detail17trampoline_kernelINS0_14default_configENS1_20scan_config_selectorIxEEZZNS1_9scan_implILNS1_25lookback_scan_determinismE0ELb1ELb1ES3_N6thrust23THRUST_200600_302600_NS6detail15normal_iteratorINS9_10device_ptrIxEEEENS9_16discard_iteratorINS9_11use_defaultEEEx11max_functorIxExEEDaPvRmT3_T4_T5_mT6_P12ihipStream_tbENKUlT_T0_E_clISt17integral_constantIbLb0EESX_EEDaSS_ST_EUlSS_E_NS1_11comp_targetILNS1_3genE5ELNS1_11target_archE942ELNS1_3gpuE9ELNS1_3repE0EEENS1_30default_config_static_selectorELNS0_4arch9wavefront6targetE1EEEvT1_
		.amdhsa_group_segment_fixed_size 0
		.amdhsa_private_segment_fixed_size 0
		.amdhsa_kernarg_size 112
		.amdhsa_user_sgpr_count 6
		.amdhsa_user_sgpr_private_segment_buffer 1
		.amdhsa_user_sgpr_dispatch_ptr 0
		.amdhsa_user_sgpr_queue_ptr 0
		.amdhsa_user_sgpr_kernarg_segment_ptr 1
		.amdhsa_user_sgpr_dispatch_id 0
		.amdhsa_user_sgpr_flat_scratch_init 0
		.amdhsa_user_sgpr_kernarg_preload_length 0
		.amdhsa_user_sgpr_kernarg_preload_offset 0
		.amdhsa_user_sgpr_private_segment_size 0
		.amdhsa_uses_dynamic_stack 0
		.amdhsa_system_sgpr_private_segment_wavefront_offset 0
		.amdhsa_system_sgpr_workgroup_id_x 1
		.amdhsa_system_sgpr_workgroup_id_y 0
		.amdhsa_system_sgpr_workgroup_id_z 0
		.amdhsa_system_sgpr_workgroup_info 0
		.amdhsa_system_vgpr_workitem_id 0
		.amdhsa_next_free_vgpr 1
		.amdhsa_next_free_sgpr 0
		.amdhsa_accum_offset 4
		.amdhsa_reserve_vcc 0
		.amdhsa_reserve_flat_scratch 0
		.amdhsa_float_round_mode_32 0
		.amdhsa_float_round_mode_16_64 0
		.amdhsa_float_denorm_mode_32 3
		.amdhsa_float_denorm_mode_16_64 3
		.amdhsa_dx10_clamp 1
		.amdhsa_ieee_mode 1
		.amdhsa_fp16_overflow 0
		.amdhsa_tg_split 0
		.amdhsa_exception_fp_ieee_invalid_op 0
		.amdhsa_exception_fp_denorm_src 0
		.amdhsa_exception_fp_ieee_div_zero 0
		.amdhsa_exception_fp_ieee_overflow 0
		.amdhsa_exception_fp_ieee_underflow 0
		.amdhsa_exception_fp_ieee_inexact 0
		.amdhsa_exception_int_div_zero 0
	.end_amdhsa_kernel
	.section	.text._ZN7rocprim17ROCPRIM_400000_NS6detail17trampoline_kernelINS0_14default_configENS1_20scan_config_selectorIxEEZZNS1_9scan_implILNS1_25lookback_scan_determinismE0ELb1ELb1ES3_N6thrust23THRUST_200600_302600_NS6detail15normal_iteratorINS9_10device_ptrIxEEEENS9_16discard_iteratorINS9_11use_defaultEEEx11max_functorIxExEEDaPvRmT3_T4_T5_mT6_P12ihipStream_tbENKUlT_T0_E_clISt17integral_constantIbLb0EESX_EEDaSS_ST_EUlSS_E_NS1_11comp_targetILNS1_3genE5ELNS1_11target_archE942ELNS1_3gpuE9ELNS1_3repE0EEENS1_30default_config_static_selectorELNS0_4arch9wavefront6targetE1EEEvT1_,"axG",@progbits,_ZN7rocprim17ROCPRIM_400000_NS6detail17trampoline_kernelINS0_14default_configENS1_20scan_config_selectorIxEEZZNS1_9scan_implILNS1_25lookback_scan_determinismE0ELb1ELb1ES3_N6thrust23THRUST_200600_302600_NS6detail15normal_iteratorINS9_10device_ptrIxEEEENS9_16discard_iteratorINS9_11use_defaultEEEx11max_functorIxExEEDaPvRmT3_T4_T5_mT6_P12ihipStream_tbENKUlT_T0_E_clISt17integral_constantIbLb0EESX_EEDaSS_ST_EUlSS_E_NS1_11comp_targetILNS1_3genE5ELNS1_11target_archE942ELNS1_3gpuE9ELNS1_3repE0EEENS1_30default_config_static_selectorELNS0_4arch9wavefront6targetE1EEEvT1_,comdat
.Lfunc_end3783:
	.size	_ZN7rocprim17ROCPRIM_400000_NS6detail17trampoline_kernelINS0_14default_configENS1_20scan_config_selectorIxEEZZNS1_9scan_implILNS1_25lookback_scan_determinismE0ELb1ELb1ES3_N6thrust23THRUST_200600_302600_NS6detail15normal_iteratorINS9_10device_ptrIxEEEENS9_16discard_iteratorINS9_11use_defaultEEEx11max_functorIxExEEDaPvRmT3_T4_T5_mT6_P12ihipStream_tbENKUlT_T0_E_clISt17integral_constantIbLb0EESX_EEDaSS_ST_EUlSS_E_NS1_11comp_targetILNS1_3genE5ELNS1_11target_archE942ELNS1_3gpuE9ELNS1_3repE0EEENS1_30default_config_static_selectorELNS0_4arch9wavefront6targetE1EEEvT1_, .Lfunc_end3783-_ZN7rocprim17ROCPRIM_400000_NS6detail17trampoline_kernelINS0_14default_configENS1_20scan_config_selectorIxEEZZNS1_9scan_implILNS1_25lookback_scan_determinismE0ELb1ELb1ES3_N6thrust23THRUST_200600_302600_NS6detail15normal_iteratorINS9_10device_ptrIxEEEENS9_16discard_iteratorINS9_11use_defaultEEEx11max_functorIxExEEDaPvRmT3_T4_T5_mT6_P12ihipStream_tbENKUlT_T0_E_clISt17integral_constantIbLb0EESX_EEDaSS_ST_EUlSS_E_NS1_11comp_targetILNS1_3genE5ELNS1_11target_archE942ELNS1_3gpuE9ELNS1_3repE0EEENS1_30default_config_static_selectorELNS0_4arch9wavefront6targetE1EEEvT1_
                                        ; -- End function
	.section	.AMDGPU.csdata,"",@progbits
; Kernel info:
; codeLenInByte = 0
; NumSgprs: 4
; NumVgprs: 0
; NumAgprs: 0
; TotalNumVgprs: 0
; ScratchSize: 0
; MemoryBound: 0
; FloatMode: 240
; IeeeMode: 1
; LDSByteSize: 0 bytes/workgroup (compile time only)
; SGPRBlocks: 0
; VGPRBlocks: 0
; NumSGPRsForWavesPerEU: 4
; NumVGPRsForWavesPerEU: 1
; AccumOffset: 4
; Occupancy: 8
; WaveLimiterHint : 0
; COMPUTE_PGM_RSRC2:SCRATCH_EN: 0
; COMPUTE_PGM_RSRC2:USER_SGPR: 6
; COMPUTE_PGM_RSRC2:TRAP_HANDLER: 0
; COMPUTE_PGM_RSRC2:TGID_X_EN: 1
; COMPUTE_PGM_RSRC2:TGID_Y_EN: 0
; COMPUTE_PGM_RSRC2:TGID_Z_EN: 0
; COMPUTE_PGM_RSRC2:TIDIG_COMP_CNT: 0
; COMPUTE_PGM_RSRC3_GFX90A:ACCUM_OFFSET: 0
; COMPUTE_PGM_RSRC3_GFX90A:TG_SPLIT: 0
	.section	.text._ZN7rocprim17ROCPRIM_400000_NS6detail17trampoline_kernelINS0_14default_configENS1_20scan_config_selectorIxEEZZNS1_9scan_implILNS1_25lookback_scan_determinismE0ELb1ELb1ES3_N6thrust23THRUST_200600_302600_NS6detail15normal_iteratorINS9_10device_ptrIxEEEENS9_16discard_iteratorINS9_11use_defaultEEEx11max_functorIxExEEDaPvRmT3_T4_T5_mT6_P12ihipStream_tbENKUlT_T0_E_clISt17integral_constantIbLb0EESX_EEDaSS_ST_EUlSS_E_NS1_11comp_targetILNS1_3genE4ELNS1_11target_archE910ELNS1_3gpuE8ELNS1_3repE0EEENS1_30default_config_static_selectorELNS0_4arch9wavefront6targetE1EEEvT1_,"axG",@progbits,_ZN7rocprim17ROCPRIM_400000_NS6detail17trampoline_kernelINS0_14default_configENS1_20scan_config_selectorIxEEZZNS1_9scan_implILNS1_25lookback_scan_determinismE0ELb1ELb1ES3_N6thrust23THRUST_200600_302600_NS6detail15normal_iteratorINS9_10device_ptrIxEEEENS9_16discard_iteratorINS9_11use_defaultEEEx11max_functorIxExEEDaPvRmT3_T4_T5_mT6_P12ihipStream_tbENKUlT_T0_E_clISt17integral_constantIbLb0EESX_EEDaSS_ST_EUlSS_E_NS1_11comp_targetILNS1_3genE4ELNS1_11target_archE910ELNS1_3gpuE8ELNS1_3repE0EEENS1_30default_config_static_selectorELNS0_4arch9wavefront6targetE1EEEvT1_,comdat
	.protected	_ZN7rocprim17ROCPRIM_400000_NS6detail17trampoline_kernelINS0_14default_configENS1_20scan_config_selectorIxEEZZNS1_9scan_implILNS1_25lookback_scan_determinismE0ELb1ELb1ES3_N6thrust23THRUST_200600_302600_NS6detail15normal_iteratorINS9_10device_ptrIxEEEENS9_16discard_iteratorINS9_11use_defaultEEEx11max_functorIxExEEDaPvRmT3_T4_T5_mT6_P12ihipStream_tbENKUlT_T0_E_clISt17integral_constantIbLb0EESX_EEDaSS_ST_EUlSS_E_NS1_11comp_targetILNS1_3genE4ELNS1_11target_archE910ELNS1_3gpuE8ELNS1_3repE0EEENS1_30default_config_static_selectorELNS0_4arch9wavefront6targetE1EEEvT1_ ; -- Begin function _ZN7rocprim17ROCPRIM_400000_NS6detail17trampoline_kernelINS0_14default_configENS1_20scan_config_selectorIxEEZZNS1_9scan_implILNS1_25lookback_scan_determinismE0ELb1ELb1ES3_N6thrust23THRUST_200600_302600_NS6detail15normal_iteratorINS9_10device_ptrIxEEEENS9_16discard_iteratorINS9_11use_defaultEEEx11max_functorIxExEEDaPvRmT3_T4_T5_mT6_P12ihipStream_tbENKUlT_T0_E_clISt17integral_constantIbLb0EESX_EEDaSS_ST_EUlSS_E_NS1_11comp_targetILNS1_3genE4ELNS1_11target_archE910ELNS1_3gpuE8ELNS1_3repE0EEENS1_30default_config_static_selectorELNS0_4arch9wavefront6targetE1EEEvT1_
	.globl	_ZN7rocprim17ROCPRIM_400000_NS6detail17trampoline_kernelINS0_14default_configENS1_20scan_config_selectorIxEEZZNS1_9scan_implILNS1_25lookback_scan_determinismE0ELb1ELb1ES3_N6thrust23THRUST_200600_302600_NS6detail15normal_iteratorINS9_10device_ptrIxEEEENS9_16discard_iteratorINS9_11use_defaultEEEx11max_functorIxExEEDaPvRmT3_T4_T5_mT6_P12ihipStream_tbENKUlT_T0_E_clISt17integral_constantIbLb0EESX_EEDaSS_ST_EUlSS_E_NS1_11comp_targetILNS1_3genE4ELNS1_11target_archE910ELNS1_3gpuE8ELNS1_3repE0EEENS1_30default_config_static_selectorELNS0_4arch9wavefront6targetE1EEEvT1_
	.p2align	8
	.type	_ZN7rocprim17ROCPRIM_400000_NS6detail17trampoline_kernelINS0_14default_configENS1_20scan_config_selectorIxEEZZNS1_9scan_implILNS1_25lookback_scan_determinismE0ELb1ELb1ES3_N6thrust23THRUST_200600_302600_NS6detail15normal_iteratorINS9_10device_ptrIxEEEENS9_16discard_iteratorINS9_11use_defaultEEEx11max_functorIxExEEDaPvRmT3_T4_T5_mT6_P12ihipStream_tbENKUlT_T0_E_clISt17integral_constantIbLb0EESX_EEDaSS_ST_EUlSS_E_NS1_11comp_targetILNS1_3genE4ELNS1_11target_archE910ELNS1_3gpuE8ELNS1_3repE0EEENS1_30default_config_static_selectorELNS0_4arch9wavefront6targetE1EEEvT1_,@function
_ZN7rocprim17ROCPRIM_400000_NS6detail17trampoline_kernelINS0_14default_configENS1_20scan_config_selectorIxEEZZNS1_9scan_implILNS1_25lookback_scan_determinismE0ELb1ELb1ES3_N6thrust23THRUST_200600_302600_NS6detail15normal_iteratorINS9_10device_ptrIxEEEENS9_16discard_iteratorINS9_11use_defaultEEEx11max_functorIxExEEDaPvRmT3_T4_T5_mT6_P12ihipStream_tbENKUlT_T0_E_clISt17integral_constantIbLb0EESX_EEDaSS_ST_EUlSS_E_NS1_11comp_targetILNS1_3genE4ELNS1_11target_archE910ELNS1_3gpuE8ELNS1_3repE0EEENS1_30default_config_static_selectorELNS0_4arch9wavefront6targetE1EEEvT1_: ; @_ZN7rocprim17ROCPRIM_400000_NS6detail17trampoline_kernelINS0_14default_configENS1_20scan_config_selectorIxEEZZNS1_9scan_implILNS1_25lookback_scan_determinismE0ELb1ELb1ES3_N6thrust23THRUST_200600_302600_NS6detail15normal_iteratorINS9_10device_ptrIxEEEENS9_16discard_iteratorINS9_11use_defaultEEEx11max_functorIxExEEDaPvRmT3_T4_T5_mT6_P12ihipStream_tbENKUlT_T0_E_clISt17integral_constantIbLb0EESX_EEDaSS_ST_EUlSS_E_NS1_11comp_targetILNS1_3genE4ELNS1_11target_archE910ELNS1_3gpuE8ELNS1_3repE0EEENS1_30default_config_static_selectorELNS0_4arch9wavefront6targetE1EEEvT1_
; %bb.0:
	s_load_dwordx4 s[0:3], s[4:5], 0x0
	s_load_dwordx4 s[16:19], s[4:5], 0x20
	s_load_dword s7, s[4:5], 0x40
	v_lshlrev_b32_e32 v1, 3, v0
	s_waitcnt lgkmcnt(0)
	s_lshl_b64 s[2:3], s[2:3], 3
	s_add_u32 s26, s0, s2
	s_addc_u32 s27, s1, s3
	s_add_i32 s2, s7, -1
	s_mul_i32 s3, s2, 0x380
	s_sub_u32 s24, s16, s3
	s_subb_u32 s25, s17, 0
	s_mul_i32 s0, s6, 0x380
	s_mov_b32 s1, 0
	s_cmp_lg_u32 s6, s2
	s_cselect_b64 s[16:17], -1, 0
	s_lshl_b64 s[0:1], s[0:1], 3
	s_add_u32 s0, s26, s0
	s_addc_u32 s1, s27, s1
	s_mov_b64 s[2:3], -1
	s_and_b64 vcc, exec, s[16:17]
	s_cbranch_vccz .LBB3784_2
; %bb.1:
	v_mov_b32_e32 v3, s1
	v_add_co_u32_e32 v2, vcc, s0, v1
	v_addc_co_u32_e32 v3, vcc, 0, v3, vcc
	flat_load_dwordx2 v[4:5], v[2:3]
	flat_load_dwordx2 v[6:7], v[2:3] offset:1024
	flat_load_dwordx2 v[8:9], v[2:3] offset:2048
	;; [unrolled: 1-line block ×3, first 2 shown]
	v_add_co_u32_e32 v2, vcc, 0x1000, v2
	v_addc_co_u32_e32 v3, vcc, 0, v3, vcc
	flat_load_dwordx2 v[12:13], v[2:3]
	flat_load_dwordx2 v[14:15], v[2:3] offset:1024
	flat_load_dwordx2 v[16:17], v[2:3] offset:2048
	s_mov_b64 s[2:3], 0
	s_waitcnt vmcnt(0) lgkmcnt(0)
	ds_write2st64_b64 v1, v[4:5], v[6:7] offset1:2
	ds_write2st64_b64 v1, v[8:9], v[10:11] offset0:4 offset1:6
	ds_write2st64_b64 v1, v[12:13], v[14:15] offset0:8 offset1:10
	ds_write_b64 v1, v[16:17] offset:6144
	s_waitcnt lgkmcnt(0)
	s_barrier
.LBB3784_2:
	s_load_dwordx2 s[20:21], s[4:5], 0x38
	s_andn2_b64 vcc, exec, s[2:3]
	s_cbranch_vccnz .LBB3784_18
; %bb.3:
	v_pk_mov_b32 v[2:3], s[0:1], s[0:1] op_sel:[0,1]
	flat_load_dwordx2 v[2:3], v[2:3]
	v_cmp_gt_u32_e32 vcc, s24, v0
	s_waitcnt vmcnt(0) lgkmcnt(0)
	v_mov_b32_e32 v4, v2
	v_mov_b32_e32 v5, v3
	;; [unrolled: 1-line block ×10, first 2 shown]
	v_pk_mov_b32 v[18:19], v[14:15], v[14:15] op_sel:[0,1]
	v_pk_mov_b32 v[16:17], v[12:13], v[12:13] op_sel:[0,1]
	;; [unrolled: 1-line block ×8, first 2 shown]
	s_and_saveexec_b64 s[2:3], vcc
	s_cbranch_execz .LBB3784_5
; %bb.4:
	v_mov_b32_e32 v5, s1
	v_add_co_u32_e32 v4, vcc, s0, v1
	v_addc_co_u32_e32 v5, vcc, 0, v5, vcc
	flat_load_dwordx2 v[20:21], v[4:5]
	v_mov_b32_e32 v4, v2
	v_mov_b32_e32 v5, v3
	;; [unrolled: 1-line block ×10, first 2 shown]
	v_pk_mov_b32 v[18:19], v[14:15], v[14:15] op_sel:[0,1]
	v_pk_mov_b32 v[16:17], v[12:13], v[12:13] op_sel:[0,1]
	;; [unrolled: 1-line block ×8, first 2 shown]
	s_waitcnt vmcnt(0) lgkmcnt(0)
	v_pk_mov_b32 v[2:3], v[20:21], v[20:21] op_sel:[0,1]
.LBB3784_5:
	s_or_b64 exec, exec, s[2:3]
	v_or_b32_e32 v4, 0x80, v0
	v_cmp_gt_u32_e32 vcc, s24, v4
	s_and_saveexec_b64 s[2:3], vcc
	s_cbranch_execz .LBB3784_7
; %bb.6:
	v_mov_b32_e32 v5, s1
	v_add_co_u32_e32 v4, vcc, s0, v1
	v_addc_co_u32_e32 v5, vcc, 0, v5, vcc
	flat_load_dwordx2 v[6:7], v[4:5] offset:1024
.LBB3784_7:
	s_or_b64 exec, exec, s[2:3]
	v_or_b32_e32 v4, 0x100, v0
	v_cmp_gt_u32_e32 vcc, s24, v4
	s_and_saveexec_b64 s[2:3], vcc
	s_cbranch_execz .LBB3784_9
; %bb.8:
	v_mov_b32_e32 v5, s1
	v_add_co_u32_e32 v4, vcc, s0, v1
	v_addc_co_u32_e32 v5, vcc, 0, v5, vcc
	flat_load_dwordx2 v[8:9], v[4:5] offset:2048
.LBB3784_9:
	;; [unrolled: 11-line block ×3, first 2 shown]
	s_or_b64 exec, exec, s[2:3]
	v_or_b32_e32 v4, 0x200, v0
	v_cmp_gt_u32_e32 vcc, s24, v4
	s_and_saveexec_b64 s[2:3], vcc
	s_cbranch_execz .LBB3784_13
; %bb.12:
	v_lshlrev_b32_e32 v4, 3, v4
	v_mov_b32_e32 v5, s1
	v_add_co_u32_e32 v4, vcc, s0, v4
	v_addc_co_u32_e32 v5, vcc, 0, v5, vcc
	flat_load_dwordx2 v[12:13], v[4:5]
.LBB3784_13:
	s_or_b64 exec, exec, s[2:3]
	v_or_b32_e32 v4, 0x280, v0
	v_cmp_gt_u32_e32 vcc, s24, v4
	s_and_saveexec_b64 s[2:3], vcc
	s_cbranch_execz .LBB3784_15
; %bb.14:
	v_lshlrev_b32_e32 v4, 3, v4
	v_mov_b32_e32 v5, s1
	v_add_co_u32_e32 v4, vcc, s0, v4
	v_addc_co_u32_e32 v5, vcc, 0, v5, vcc
	flat_load_dwordx2 v[14:15], v[4:5]
.LBB3784_15:
	;; [unrolled: 12-line block ×3, first 2 shown]
	s_or_b64 exec, exec, s[2:3]
	s_waitcnt vmcnt(0) lgkmcnt(0)
	ds_write2st64_b64 v1, v[2:3], v[6:7] offset1:2
	ds_write2st64_b64 v1, v[8:9], v[10:11] offset0:4 offset1:6
	ds_write2st64_b64 v1, v[12:13], v[14:15] offset0:8 offset1:10
	ds_write_b64 v1, v[16:17] offset:6144
	s_waitcnt lgkmcnt(0)
	s_barrier
.LBB3784_18:
	v_mul_u32_u24_e32 v36, 7, v0
	v_lshlrev_b32_e32 v37, 3, v36
	s_waitcnt lgkmcnt(0)
	ds_read2_b64 v[10:13], v37 offset1:1
	ds_read2_b64 v[6:9], v37 offset0:2 offset1:3
	ds_read2_b64 v[2:5], v37 offset0:4 offset1:5
	ds_read_b64 v[26:27], v37 offset:48
	s_cmp_lg_u32 s6, 0
	s_waitcnt lgkmcnt(3)
	v_cmp_gt_i64_e64 s[0:1], v[10:11], v[12:13]
	v_lshrrev_b32_e32 v1, 5, v0
	v_cmp_gt_u32_e32 vcc, 64, v0
	s_waitcnt lgkmcnt(0)
	s_barrier
	s_cbranch_scc0 .LBB3784_45
; %bb.19:
	v_cndmask_b32_e64 v15, v13, v11, s[0:1]
	v_cndmask_b32_e64 v14, v12, v10, s[0:1]
	v_cmp_gt_i64_e64 s[0:1], v[14:15], v[6:7]
	v_cndmask_b32_e64 v15, v7, v15, s[0:1]
	v_cndmask_b32_e64 v14, v6, v14, s[0:1]
	v_cmp_gt_i64_e64 s[0:1], v[14:15], v[8:9]
	;; [unrolled: 3-line block ×5, first 2 shown]
	v_cndmask_b32_e64 v23, v27, v15, s[0:1]
	v_cndmask_b32_e64 v22, v26, v14, s[0:1]
	v_add_lshl_u32 v14, v1, v0, 3
	ds_write_b64 v14, v[22:23]
	s_waitcnt lgkmcnt(0)
	s_barrier
	s_and_saveexec_b64 s[8:9], vcc
	s_cbranch_execz .LBB3784_23
; %bb.20:
	v_lshlrev_b32_e32 v14, 1, v0
	v_lshrrev_b32_e32 v15, 4, v0
	v_add_lshl_u32 v24, v15, v14, 3
	ds_read2_b64 v[14:17], v24 offset1:1
	v_mbcnt_lo_u32_b32 v18, -1, 0
	v_mbcnt_hi_u32_b32 v25, -1, v18
	v_and_b32_e32 v28, 15, v25
	v_and_b32_e32 v30, 16, v25
	s_waitcnt lgkmcnt(0)
	v_cmp_gt_i64_e64 s[0:1], v[14:15], v[16:17]
	v_cndmask_b32_e64 v17, v17, v15, s[0:1]
	v_cndmask_b32_e64 v16, v16, v14, s[0:1]
	v_cmp_ne_u32_e64 s[2:3], 0, v25
	v_mov_b32_dpp v19, v17 row_shr:1 row_mask:0xf bank_mask:0xf
	v_mov_b32_dpp v18, v16 row_shr:1 row_mask:0xf bank_mask:0xf
	v_cmp_gt_i64_e64 s[0:1], v[18:19], v[16:17]
	v_cndmask_b32_e64 v18, v16, v18, s[0:1]
	v_cndmask_b32_e64 v19, v17, v19, s[0:1]
	v_cmp_eq_u32_e64 s[0:1], 0, v28
	v_cndmask_b32_e64 v19, v19, v17, s[0:1]
	v_cndmask_b32_e64 v18, v18, v16, s[0:1]
	s_nop 0
	v_mov_b32_dpp v21, v19 row_shr:2 row_mask:0xf bank_mask:0xf
	v_mov_b32_dpp v20, v18 row_shr:2 row_mask:0xf bank_mask:0xf
	v_cmp_gt_i64_e64 s[0:1], v[20:21], v[18:19]
	v_cndmask_b32_e64 v20, v18, v20, s[0:1]
	v_cndmask_b32_e64 v21, v19, v21, s[0:1]
	v_cmp_lt_u32_e64 s[0:1], 1, v28
	v_cndmask_b32_e64 v19, v19, v21, s[0:1]
	v_cndmask_b32_e64 v18, v18, v20, s[0:1]
	s_nop 0
	v_mov_b32_dpp v21, v19 row_shr:4 row_mask:0xf bank_mask:0xf
	v_mov_b32_dpp v20, v18 row_shr:4 row_mask:0xf bank_mask:0xf
	v_cmp_gt_i64_e64 s[0:1], v[20:21], v[18:19]
	v_cndmask_b32_e64 v20, v18, v20, s[0:1]
	v_cndmask_b32_e64 v21, v19, v21, s[0:1]
	v_cmp_lt_u32_e64 s[0:1], 3, v28
	;; [unrolled: 9-line block ×3, first 2 shown]
	v_cndmask_b32_e64 v19, v19, v21, s[0:1]
	v_cndmask_b32_e64 v18, v18, v20, s[0:1]
	s_nop 0
	v_mov_b32_dpp v21, v19 row_bcast:15 row_mask:0xf bank_mask:0xf
	v_mov_b32_dpp v20, v18 row_bcast:15 row_mask:0xf bank_mask:0xf
	v_cmp_gt_i64_e64 s[0:1], v[20:21], v[18:19]
	v_cndmask_b32_e64 v28, v19, v21, s[0:1]
	v_cndmask_b32_e64 v29, v18, v20, s[0:1]
	v_cmp_eq_u32_e64 s[0:1], 0, v30
	v_cndmask_b32_e64 v21, v28, v19, s[0:1]
	v_cndmask_b32_e64 v20, v29, v18, s[0:1]
	s_nop 0
	v_mov_b32_dpp v21, v21 row_bcast:31 row_mask:0xf bank_mask:0xf
	v_mov_b32_dpp v20, v20 row_bcast:31 row_mask:0xf bank_mask:0xf
	s_and_saveexec_b64 s[10:11], s[2:3]
; %bb.21:
	v_cndmask_b32_e64 v17, v28, v19, s[0:1]
	v_cndmask_b32_e64 v16, v29, v18, s[0:1]
	v_cmp_lt_u32_e64 s[2:3], 31, v25
	v_cmp_gt_i64_e64 s[0:1], v[20:21], v[16:17]
	s_and_b64 s[0:1], s[2:3], s[0:1]
	v_cndmask_b32_e64 v16, v16, v20, s[0:1]
	v_cndmask_b32_e64 v17, v17, v21, s[0:1]
; %bb.22:
	s_or_b64 exec, exec, s[10:11]
	v_add_u32_e32 v18, -1, v25
	v_and_b32_e32 v19, 64, v25
	v_cmp_lt_i32_e64 s[0:1], v18, v19
	v_cndmask_b32_e64 v18, v18, v25, s[0:1]
	v_lshlrev_b32_e32 v18, 2, v18
	ds_bpermute_b32 v16, v18, v16
	ds_bpermute_b32 v17, v18, v17
	; wave barrier
	s_waitcnt lgkmcnt(0)
	v_cmp_gt_i64_e64 s[0:1], v[16:17], v[14:15]
	v_cndmask_b32_e64 v14, v14, v16, s[0:1]
	v_cndmask_b32_e64 v15, v15, v17, s[0:1]
	v_cmp_eq_u32_e64 s[0:1], 0, v0
	v_cndmask_b32_e64 v15, v15, v23, s[0:1]
	v_cndmask_b32_e64 v14, v14, v22, s[0:1]
	ds_write_b64 v24, v[14:15]
	; wave barrier
	ds_read_b64 v[16:17], v24 offset:8
	s_waitcnt lgkmcnt(0)
	v_cmp_gt_i64_e64 s[0:1], v[14:15], v[16:17]
	v_cndmask_b32_e64 v15, v17, v15, s[0:1]
	v_cndmask_b32_e64 v14, v16, v14, s[0:1]
	ds_write_b64 v24, v[14:15] offset:8
.LBB3784_23:
	s_or_b64 exec, exec, s[8:9]
	v_cmp_eq_u32_e64 s[0:1], 0, v0
	v_cmp_ne_u32_e64 s[2:3], 0, v0
	s_waitcnt lgkmcnt(0)
	s_barrier
	s_and_saveexec_b64 s[8:9], s[2:3]
	s_cbranch_execz .LBB3784_25
; %bb.24:
	v_add_u32_e32 v14, -1, v0
	v_lshrrev_b32_e32 v15, 5, v14
	v_add_lshl_u32 v14, v15, v14, 3
	ds_read_b64 v[22:23], v14
.LBB3784_25:
	s_or_b64 exec, exec, s[8:9]
	s_and_saveexec_b64 s[22:23], vcc
	s_cbranch_execz .LBB3784_44
; %bb.26:
	v_mov_b32_e32 v17, 0
	ds_read_b64 v[14:15], v17 offset:1040
	v_mbcnt_lo_u32_b32 v16, -1, 0
	v_mbcnt_hi_u32_b32 v25, -1, v16
	s_mov_b32 s11, 0
	v_cmp_eq_u32_e64 s[2:3], 0, v25
	s_and_saveexec_b64 s[8:9], s[2:3]
	s_cbranch_execz .LBB3784_28
; %bb.27:
	s_add_i32 s10, s6, 64
	s_lshl_b64 s[10:11], s[10:11], 4
	s_add_u32 s10, s20, s10
	s_addc_u32 s11, s21, s11
	v_mov_b32_e32 v16, 1
	v_pk_mov_b32 v[18:19], s[10:11], s[10:11] op_sel:[0,1]
	s_waitcnt lgkmcnt(0)
	;;#ASMSTART
	global_store_dwordx4 v[18:19], v[14:17] off	
s_waitcnt vmcnt(0)
	;;#ASMEND
.LBB3784_28:
	s_or_b64 exec, exec, s[8:9]
	v_xad_u32 v24, v25, -1, s6
	v_add_u32_e32 v16, 64, v24
	v_lshlrev_b64 v[18:19], 4, v[16:17]
	v_mov_b32_e32 v16, s21
	v_add_co_u32_e32 v28, vcc, s20, v18
	v_addc_co_u32_e32 v29, vcc, v16, v19, vcc
	;;#ASMSTART
	global_load_dwordx4 v[18:21], v[28:29] off glc	
s_waitcnt vmcnt(0)
	;;#ASMEND
	v_and_b32_e32 v16, 0xff, v19
	v_and_b32_e32 v21, 0xff00, v19
	v_or3_b32 v16, 0, v16, v21
	v_or3_b32 v18, v18, 0, 0
	v_and_b32_e32 v21, 0xff000000, v19
	v_and_b32_e32 v19, 0xff0000, v19
	v_or3_b32 v19, v16, v19, v21
	v_or3_b32 v18, v18, 0, 0
	v_cmp_eq_u16_sdwa s[10:11], v20, v17 src0_sel:BYTE_0 src1_sel:DWORD
	s_and_saveexec_b64 s[8:9], s[10:11]
	s_cbranch_execz .LBB3784_32
; %bb.29:
	s_mov_b64 s[10:11], 0
	v_mov_b32_e32 v16, 0
.LBB3784_30:                            ; =>This Inner Loop Header: Depth=1
	;;#ASMSTART
	global_load_dwordx4 v[18:21], v[28:29] off glc	
s_waitcnt vmcnt(0)
	;;#ASMEND
	v_cmp_ne_u16_sdwa s[12:13], v20, v16 src0_sel:BYTE_0 src1_sel:DWORD
	s_or_b64 s[10:11], s[12:13], s[10:11]
	s_andn2_b64 exec, exec, s[10:11]
	s_cbranch_execnz .LBB3784_30
; %bb.31:
	s_or_b64 exec, exec, s[10:11]
.LBB3784_32:
	s_or_b64 exec, exec, s[8:9]
	v_and_b32_e32 v33, 63, v25
	v_cmp_ne_u32_e32 vcc, 63, v33
	v_mov_b32_e32 v32, 2
	v_addc_co_u32_e32 v28, vcc, 0, v25, vcc
	v_cmp_eq_u16_sdwa s[8:9], v20, v32 src0_sel:BYTE_0 src1_sel:DWORD
	v_lshlrev_b64 v[16:17], v25, -1
	v_lshlrev_b32_e32 v34, 2, v28
	v_and_b32_e32 v21, s9, v17
	ds_bpermute_b32 v28, v34, v18
	ds_bpermute_b32 v29, v34, v19
	v_or_b32_e32 v21, 0x80000000, v21
	v_and_b32_e32 v30, s8, v16
	v_ffbl_b32_e32 v21, v21
	v_add_u32_e32 v21, 32, v21
	v_ffbl_b32_e32 v30, v30
	v_min_u32_e32 v21, v30, v21
	s_waitcnt lgkmcnt(0)
	v_cmp_gt_i64_e64 s[8:9], v[28:29], v[18:19]
	v_cmp_lt_u32_e32 vcc, v33, v21
	v_cndmask_b32_e64 v28, v18, v28, s[8:9]
	s_and_b64 s[8:9], vcc, s[8:9]
	v_cndmask_b32_e64 v29, v19, v29, s[8:9]
	v_cmp_gt_u32_e64 s[8:9], 62, v33
	v_cndmask_b32_e64 v30, 0, 1, s[8:9]
	v_lshlrev_b32_e32 v30, 1, v30
	v_cndmask_b32_e32 v28, v18, v28, vcc
	v_add_lshl_u32 v35, v30, v25, 2
	ds_bpermute_b32 v30, v35, v28
	ds_bpermute_b32 v31, v35, v29
	v_add_u32_e32 v38, 2, v33
	v_cmp_gt_u32_e64 s[10:11], 56, v33
	v_add_u32_e32 v40, 4, v33
	v_cndmask_b32_e64 v41, 0, 1, s[10:11]
	s_waitcnt lgkmcnt(0)
	v_cmp_gt_i64_e64 s[8:9], v[30:31], v[28:29]
	v_cndmask_b32_e64 v31, v29, v31, s[8:9]
	v_cndmask_b32_e64 v30, v28, v30, s[8:9]
	v_cmp_gt_u32_e64 s[8:9], v38, v21
	v_cndmask_b32_e64 v28, v30, v28, s[8:9]
	v_cndmask_b32_e64 v29, v31, v29, s[8:9]
	v_cmp_gt_u32_e64 s[8:9], 60, v33
	v_cndmask_b32_e64 v30, 0, 1, s[8:9]
	v_lshlrev_b32_e32 v30, 2, v30
	v_add_lshl_u32 v39, v30, v25, 2
	ds_bpermute_b32 v30, v39, v28
	ds_bpermute_b32 v31, v39, v29
	v_lshlrev_b32_e32 v41, 3, v41
	v_add_lshl_u32 v41, v41, v25, 2
	v_cmp_gt_u32_e64 s[12:13], 48, v33
	v_add_u32_e32 v42, 8, v33
	s_waitcnt lgkmcnt(0)
	v_cmp_gt_i64_e64 s[8:9], v[30:31], v[28:29]
	v_cndmask_b32_e64 v50, v29, v31, s[8:9]
	v_cndmask_b32_e64 v51, v28, v30, s[8:9]
	v_cmp_gt_u32_e64 s[8:9], v40, v21
	v_cndmask_b32_e64 v30, v51, v28, s[8:9]
	v_cndmask_b32_e64 v31, v50, v29, s[8:9]
	ds_bpermute_b32 v44, v41, v30
	ds_bpermute_b32 v45, v41, v31
	v_cndmask_b32_e64 v43, 0, 1, s[12:13]
	v_lshlrev_b32_e32 v43, 4, v43
	v_add_lshl_u32 v43, v43, v25, 2
	v_cmp_gt_u32_e64 s[14:15], 32, v33
	s_waitcnt lgkmcnt(0)
	v_cmp_gt_i64_e64 s[10:11], v[44:45], v[30:31]
	v_cndmask_b32_e64 v52, v31, v45, s[10:11]
	v_cndmask_b32_e64 v53, v30, v44, s[10:11]
	v_cmp_gt_u32_e64 s[10:11], v42, v21
	v_cndmask_b32_e64 v30, v53, v30, s[10:11]
	v_cndmask_b32_e64 v31, v52, v31, s[10:11]
	ds_bpermute_b32 v46, v43, v30
	ds_bpermute_b32 v47, v43, v31
	v_add_u32_e32 v44, 16, v33
	v_cndmask_b32_e64 v45, 0, 1, s[14:15]
	v_lshlrev_b32_e32 v45, 5, v45
	v_add_lshl_u32 v45, v45, v25, 2
	s_waitcnt lgkmcnt(0)
	v_cmp_gt_i64_e64 s[12:13], v[46:47], v[30:31]
	v_cndmask_b32_e64 v47, v31, v47, s[12:13]
	v_cndmask_b32_e64 v54, v30, v46, s[12:13]
	v_cmp_gt_u32_e64 s[12:13], v44, v21
	v_cndmask_b32_e64 v30, v54, v30, s[12:13]
	v_cndmask_b32_e64 v31, v47, v31, s[12:13]
	ds_bpermute_b32 v48, v45, v30
	ds_bpermute_b32 v49, v45, v31
	v_cndmask_b32_e32 v19, v19, v29, vcc
	v_cndmask_b32_e32 v18, v18, v28, vcc
	v_cndmask_b32_e64 v18, v51, v18, s[8:9]
	v_cndmask_b32_e64 v19, v50, v19, s[8:9]
	v_add_u32_e32 v46, 32, v33
	s_waitcnt lgkmcnt(0)
	v_cmp_gt_i64_e64 s[14:15], v[48:49], v[30:31]
	v_cndmask_b32_e64 v19, v52, v19, s[10:11]
	v_cndmask_b32_e64 v18, v53, v18, s[10:11]
	;; [unrolled: 1-line block ×6, first 2 shown]
	v_cmp_gt_u32_e32 vcc, v46, v21
	v_cndmask_b32_e32 v19, v30, v19, vcc
	v_cndmask_b32_e32 v18, v25, v18, vcc
	v_mov_b32_e32 v25, 0
	s_branch .LBB3784_34
.LBB3784_33:                            ;   in Loop: Header=BB3784_34 Depth=1
	s_or_b64 exec, exec, s[8:9]
	v_cmp_eq_u16_sdwa s[8:9], v20, v32 src0_sel:BYTE_0 src1_sel:DWORD
	v_and_b32_e32 v21, s9, v17
	ds_bpermute_b32 v30, v34, v18
	ds_bpermute_b32 v31, v34, v19
	v_or_b32_e32 v21, 0x80000000, v21
	v_and_b32_e32 v47, s8, v16
	v_ffbl_b32_e32 v21, v21
	v_add_u32_e32 v21, 32, v21
	v_ffbl_b32_e32 v47, v47
	v_min_u32_e32 v21, v47, v21
	s_waitcnt lgkmcnt(0)
	v_cmp_gt_i64_e32 vcc, v[30:31], v[18:19]
	v_cmp_lt_u32_e64 s[8:9], v33, v21
	v_cndmask_b32_e32 v30, v18, v30, vcc
	s_and_b64 vcc, s[8:9], vcc
	v_cndmask_b32_e64 v30, v18, v30, s[8:9]
	v_cndmask_b32_e32 v31, v19, v31, vcc
	ds_bpermute_b32 v48, v35, v30
	ds_bpermute_b32 v49, v35, v31
	v_subrev_u32_e32 v24, 64, v24
	s_waitcnt lgkmcnt(0)
	v_cmp_gt_i64_e32 vcc, v[48:49], v[30:31]
	v_cndmask_b32_e32 v47, v31, v49, vcc
	v_cndmask_b32_e32 v48, v30, v48, vcc
	v_cmp_gt_u32_e32 vcc, v38, v21
	v_cndmask_b32_e32 v30, v48, v30, vcc
	v_cndmask_b32_e32 v31, v47, v31, vcc
	ds_bpermute_b32 v48, v39, v30
	ds_bpermute_b32 v49, v39, v31
	v_cndmask_b32_e64 v19, v19, v31, s[8:9]
	v_cndmask_b32_e64 v18, v18, v30, s[8:9]
	s_waitcnt lgkmcnt(0)
	v_cmp_gt_i64_e32 vcc, v[48:49], v[30:31]
	v_cndmask_b32_e32 v47, v31, v49, vcc
	v_cndmask_b32_e32 v52, v30, v48, vcc
	v_cmp_gt_u32_e32 vcc, v40, v21
	v_cndmask_b32_e32 v48, v52, v30, vcc
	v_cndmask_b32_e32 v49, v47, v31, vcc
	ds_bpermute_b32 v50, v41, v48
	ds_bpermute_b32 v51, v41, v49
	v_cndmask_b32_e32 v18, v52, v18, vcc
	v_cndmask_b32_e32 v19, v47, v19, vcc
	v_cmp_gt_u32_e32 vcc, v46, v21
	s_waitcnt lgkmcnt(0)
	v_cmp_gt_i64_e64 s[10:11], v[50:51], v[48:49]
	v_cndmask_b32_e64 v53, v49, v51, s[10:11]
	v_cndmask_b32_e64 v54, v48, v50, s[10:11]
	v_cmp_gt_u32_e64 s[10:11], v42, v21
	v_cndmask_b32_e64 v48, v54, v48, s[10:11]
	v_cndmask_b32_e64 v49, v53, v49, s[10:11]
	ds_bpermute_b32 v50, v43, v48
	ds_bpermute_b32 v51, v43, v49
	v_cndmask_b32_e64 v19, v53, v19, s[10:11]
	v_cndmask_b32_e64 v18, v54, v18, s[10:11]
	s_waitcnt lgkmcnt(0)
	v_cmp_gt_i64_e64 s[12:13], v[50:51], v[48:49]
	v_cndmask_b32_e64 v55, v49, v51, s[12:13]
	v_cndmask_b32_e64 v56, v48, v50, s[12:13]
	v_cmp_gt_u32_e64 s[12:13], v44, v21
	v_cndmask_b32_e64 v48, v56, v48, s[12:13]
	v_cndmask_b32_e64 v49, v55, v49, s[12:13]
	ds_bpermute_b32 v50, v45, v48
	ds_bpermute_b32 v51, v45, v49
	v_cndmask_b32_e64 v18, v56, v18, s[12:13]
	v_cndmask_b32_e64 v19, v55, v19, s[12:13]
	s_waitcnt lgkmcnt(0)
	v_cmp_gt_i64_e64 s[14:15], v[50:51], v[48:49]
	v_cndmask_b32_e64 v48, v48, v50, s[14:15]
	v_cndmask_b32_e64 v49, v49, v51, s[14:15]
	v_cndmask_b32_e32 v19, v49, v19, vcc
	v_cndmask_b32_e32 v18, v48, v18, vcc
	v_cmp_gt_i64_e32 vcc, v[18:19], v[28:29]
	v_cndmask_b32_e32 v19, v29, v19, vcc
	v_cndmask_b32_e32 v18, v28, v18, vcc
.LBB3784_34:                            ; =>This Loop Header: Depth=1
                                        ;     Child Loop BB3784_37 Depth 2
	v_cmp_ne_u16_sdwa s[8:9], v20, v32 src0_sel:BYTE_0 src1_sel:DWORD
	v_cndmask_b32_e64 v20, 0, 1, s[8:9]
	;;#ASMSTART
	;;#ASMEND
	v_cmp_ne_u32_e32 vcc, 0, v20
	s_cmp_lg_u64 vcc, exec
	v_pk_mov_b32 v[28:29], v[18:19], v[18:19] op_sel:[0,1]
	s_cbranch_scc1 .LBB3784_39
; %bb.35:                               ;   in Loop: Header=BB3784_34 Depth=1
	v_lshlrev_b64 v[18:19], 4, v[24:25]
	v_mov_b32_e32 v20, s21
	v_add_co_u32_e32 v30, vcc, s20, v18
	v_addc_co_u32_e32 v31, vcc, v20, v19, vcc
	;;#ASMSTART
	global_load_dwordx4 v[18:21], v[30:31] off glc	
s_waitcnt vmcnt(0)
	;;#ASMEND
	v_and_b32_e32 v21, 0xff, v19
	v_and_b32_e32 v47, 0xff00, v19
	v_or3_b32 v21, 0, v21, v47
	v_or3_b32 v18, v18, 0, 0
	v_and_b32_e32 v47, 0xff000000, v19
	v_and_b32_e32 v19, 0xff0000, v19
	v_or3_b32 v19, v21, v19, v47
	v_or3_b32 v18, v18, 0, 0
	v_cmp_eq_u16_sdwa s[10:11], v20, v25 src0_sel:BYTE_0 src1_sel:DWORD
	s_and_saveexec_b64 s[8:9], s[10:11]
	s_cbranch_execz .LBB3784_33
; %bb.36:                               ;   in Loop: Header=BB3784_34 Depth=1
	s_mov_b64 s[10:11], 0
.LBB3784_37:                            ;   Parent Loop BB3784_34 Depth=1
                                        ; =>  This Inner Loop Header: Depth=2
	;;#ASMSTART
	global_load_dwordx4 v[18:21], v[30:31] off glc	
s_waitcnt vmcnt(0)
	;;#ASMEND
	v_cmp_ne_u16_sdwa s[12:13], v20, v25 src0_sel:BYTE_0 src1_sel:DWORD
	s_or_b64 s[10:11], s[12:13], s[10:11]
	s_andn2_b64 exec, exec, s[10:11]
	s_cbranch_execnz .LBB3784_37
; %bb.38:                               ;   in Loop: Header=BB3784_34 Depth=1
	s_or_b64 exec, exec, s[10:11]
	s_branch .LBB3784_33
.LBB3784_39:                            ;   in Loop: Header=BB3784_34 Depth=1
                                        ; implicit-def: $vgpr18_vgpr19
                                        ; implicit-def: $vgpr20
	s_cbranch_execz .LBB3784_34
; %bb.40:
	s_and_saveexec_b64 s[8:9], s[2:3]
	s_cbranch_execz .LBB3784_42
; %bb.41:
	s_add_i32 s2, s6, 64
	s_mov_b32 s3, 0
	s_lshl_b64 s[2:3], s[2:3], 4
	s_add_u32 s2, s20, s2
	v_cmp_gt_i64_e32 vcc, v[28:29], v[14:15]
	s_addc_u32 s3, s21, s3
	v_cndmask_b32_e32 v15, v15, v29, vcc
	v_cndmask_b32_e32 v14, v14, v28, vcc
	v_mov_b32_e32 v16, 2
	v_mov_b32_e32 v17, 0
	v_pk_mov_b32 v[18:19], s[2:3], s[2:3] op_sel:[0,1]
	;;#ASMSTART
	global_store_dwordx4 v[18:19], v[14:17] off	
s_waitcnt vmcnt(0)
	;;#ASMEND
.LBB3784_42:
	s_or_b64 exec, exec, s[8:9]
	s_and_b64 exec, exec, s[0:1]
	s_cbranch_execz .LBB3784_44
; %bb.43:
	v_mov_b32_e32 v14, 0
	ds_write_b64 v14, v[28:29]
.LBB3784_44:
	s_or_b64 exec, exec, s[22:23]
	v_mov_b32_e32 v14, 0
	s_waitcnt lgkmcnt(0)
	s_barrier
	ds_read_b64 v[14:15], v14
	s_waitcnt lgkmcnt(0)
	v_cmp_gt_i64_e32 vcc, v[14:15], v[22:23]
	v_cndmask_b32_e32 v16, v22, v14, vcc
	v_cndmask_b32_e32 v17, v23, v15, vcc
	v_cndmask_b32_e64 v15, v17, v15, s[0:1]
	v_cndmask_b32_e64 v14, v16, v14, s[0:1]
	v_cmp_gt_i64_e32 vcc, v[14:15], v[10:11]
	v_cndmask_b32_e32 v29, v11, v15, vcc
	v_cndmask_b32_e32 v28, v10, v14, vcc
	v_cmp_gt_i64_e32 vcc, v[28:29], v[12:13]
	v_cndmask_b32_e32 v19, v13, v29, vcc
	v_cndmask_b32_e32 v18, v12, v28, vcc
	;; [unrolled: 3-line block ×6, first 2 shown]
	s_load_dwordx8 s[0:7], s[4:5], 0x48
	s_branch .LBB3784_57
.LBB3784_45:
                                        ; implicit-def: $vgpr34_vgpr35
                                        ; implicit-def: $vgpr32_vgpr33
                                        ; implicit-def: $vgpr30_vgpr31
                                        ; implicit-def: $vgpr28_vgpr29
                                        ; implicit-def: $vgpr22_vgpr23_vgpr24_vgpr25
                                        ; implicit-def: $vgpr18_vgpr19_vgpr20_vgpr21
                                        ; implicit-def: $vgpr14_vgpr15_vgpr16_vgpr17
	s_load_dwordx8 s[0:7], s[4:5], 0x48
	s_cbranch_execz .LBB3784_57
; %bb.46:
	s_waitcnt lgkmcnt(0)
	s_cmp_eq_u64 s[4:5], 0
	v_pk_mov_b32 v[20:21], s[18:19], s[18:19] op_sel:[0,1]
	s_cbranch_scc1 .LBB3784_48
; %bb.47:
	v_mov_b32_e32 v17, s27
	v_add_co_u32_e64 v16, vcc, -8, s26
	v_mov_b32_e32 v14, 0
	v_addc_co_u32_e32 v17, vcc, -1, v17, vcc
	global_load_dwordx2 v[14:15], v14, s[0:1]
	s_nop 0
	flat_load_dwordx2 v[16:17], v[16:17]
	s_waitcnt vmcnt(0) lgkmcnt(0)
	v_cmp_gt_i64_e32 vcc, v[14:15], v[16:17]
	v_cndmask_b32_e32 v21, v17, v15, vcc
	v_cndmask_b32_e32 v20, v16, v14, vcc
.LBB3784_48:
	v_cmp_gt_i64_e32 vcc, v[10:11], v[12:13]
	v_cndmask_b32_e32 v15, v13, v11, vcc
	v_cndmask_b32_e32 v14, v12, v10, vcc
	v_cmp_gt_i64_e32 vcc, v[14:15], v[6:7]
	v_cndmask_b32_e32 v15, v7, v15, vcc
	v_cndmask_b32_e32 v14, v6, v14, vcc
	;; [unrolled: 3-line block ×6, first 2 shown]
	v_add_lshl_u32 v1, v1, v0, 3
	v_cmp_gt_u32_e32 vcc, 64, v0
	ds_write_b64 v1, v[18:19]
	s_waitcnt lgkmcnt(0)
	s_barrier
	s_and_saveexec_b64 s[4:5], vcc
	s_cbranch_execz .LBB3784_52
; %bb.49:
	v_lshlrev_b32_e32 v1, 1, v0
	v_lshrrev_b32_e32 v14, 4, v0
	v_add_lshl_u32 v1, v14, v1, 3
	ds_read2_b64 v[14:17], v1 offset1:1
	v_mbcnt_lo_u32_b32 v22, -1, 0
	v_mbcnt_hi_u32_b32 v26, -1, v22
	v_and_b32_e32 v27, 15, v26
	v_and_b32_e32 v29, 16, v26
	s_waitcnt lgkmcnt(0)
	v_cmp_gt_i64_e32 vcc, v[14:15], v[16:17]
	v_cndmask_b32_e32 v17, v17, v15, vcc
	v_cndmask_b32_e32 v16, v16, v14, vcc
	v_cmp_ne_u32_e64 s[0:1], 0, v26
	v_mov_b32_dpp v23, v17 row_shr:1 row_mask:0xf bank_mask:0xf
	v_mov_b32_dpp v22, v16 row_shr:1 row_mask:0xf bank_mask:0xf
	v_cmp_gt_i64_e32 vcc, v[22:23], v[16:17]
	v_cndmask_b32_e32 v22, v16, v22, vcc
	v_cndmask_b32_e32 v23, v17, v23, vcc
	v_cmp_eq_u32_e32 vcc, 0, v27
	v_cndmask_b32_e32 v23, v23, v17, vcc
	v_cndmask_b32_e32 v22, v22, v16, vcc
	s_nop 0
	v_mov_b32_dpp v25, v23 row_shr:2 row_mask:0xf bank_mask:0xf
	v_mov_b32_dpp v24, v22 row_shr:2 row_mask:0xf bank_mask:0xf
	v_cmp_gt_i64_e32 vcc, v[24:25], v[22:23]
	v_cndmask_b32_e32 v24, v22, v24, vcc
	v_cndmask_b32_e32 v25, v23, v25, vcc
	v_cmp_lt_u32_e32 vcc, 1, v27
	v_cndmask_b32_e32 v23, v23, v25, vcc
	v_cndmask_b32_e32 v22, v22, v24, vcc
	s_nop 0
	v_mov_b32_dpp v25, v23 row_shr:4 row_mask:0xf bank_mask:0xf
	v_mov_b32_dpp v24, v22 row_shr:4 row_mask:0xf bank_mask:0xf
	v_cmp_gt_i64_e32 vcc, v[24:25], v[22:23]
	v_cndmask_b32_e32 v24, v22, v24, vcc
	v_cndmask_b32_e32 v25, v23, v25, vcc
	v_cmp_lt_u32_e32 vcc, 3, v27
	;; [unrolled: 9-line block ×3, first 2 shown]
	v_cndmask_b32_e32 v23, v23, v25, vcc
	v_cndmask_b32_e32 v22, v22, v24, vcc
	s_nop 0
	v_mov_b32_dpp v25, v23 row_bcast:15 row_mask:0xf bank_mask:0xf
	v_mov_b32_dpp v24, v22 row_bcast:15 row_mask:0xf bank_mask:0xf
	v_cmp_gt_i64_e32 vcc, v[24:25], v[22:23]
	v_cndmask_b32_e32 v27, v23, v25, vcc
	v_cndmask_b32_e32 v28, v22, v24, vcc
	v_cmp_eq_u32_e32 vcc, 0, v29
	v_cndmask_b32_e32 v25, v27, v23, vcc
	v_cndmask_b32_e32 v24, v28, v22, vcc
	s_nop 0
	v_mov_b32_dpp v25, v25 row_bcast:31 row_mask:0xf bank_mask:0xf
	v_mov_b32_dpp v24, v24 row_bcast:31 row_mask:0xf bank_mask:0xf
	s_and_saveexec_b64 s[8:9], s[0:1]
; %bb.50:
	v_cndmask_b32_e32 v17, v27, v23, vcc
	v_cndmask_b32_e32 v16, v28, v22, vcc
	v_cmp_lt_u32_e64 s[0:1], 31, v26
	v_cmp_gt_i64_e32 vcc, v[24:25], v[16:17]
	s_and_b64 vcc, s[0:1], vcc
	v_cndmask_b32_e32 v16, v16, v24, vcc
	v_cndmask_b32_e32 v17, v17, v25, vcc
; %bb.51:
	s_or_b64 exec, exec, s[8:9]
	v_add_u32_e32 v22, -1, v26
	v_and_b32_e32 v23, 64, v26
	v_cmp_lt_i32_e32 vcc, v22, v23
	v_cndmask_b32_e32 v22, v22, v26, vcc
	v_lshlrev_b32_e32 v22, 2, v22
	ds_bpermute_b32 v16, v22, v16
	ds_bpermute_b32 v17, v22, v17
	; wave barrier
	s_waitcnt lgkmcnt(0)
	v_cmp_gt_i64_e32 vcc, v[16:17], v[14:15]
	v_cndmask_b32_e32 v14, v14, v16, vcc
	v_cndmask_b32_e32 v15, v15, v17, vcc
	v_cmp_eq_u32_e32 vcc, 0, v0
	v_cndmask_b32_e32 v15, v15, v19, vcc
	v_cndmask_b32_e32 v14, v14, v18, vcc
	ds_write_b64 v1, v[14:15]
	; wave barrier
	ds_read_b64 v[16:17], v1 offset:8
	s_waitcnt lgkmcnt(0)
	v_cmp_gt_i64_e32 vcc, v[14:15], v[16:17]
	v_cndmask_b32_e32 v15, v17, v15, vcc
	v_cndmask_b32_e32 v14, v16, v14, vcc
	ds_write_b64 v1, v[14:15] offset:8
.LBB3784_52:
	s_or_b64 exec, exec, s[4:5]
	v_cmp_eq_u32_e32 vcc, 0, v0
	v_cmp_ne_u32_e64 s[0:1], 0, v0
	v_pk_mov_b32 v[14:15], v[20:21], v[20:21] op_sel:[0,1]
	s_waitcnt lgkmcnt(0)
	s_barrier
	s_and_saveexec_b64 s[4:5], s[0:1]
	s_cbranch_execz .LBB3784_54
; %bb.53:
	v_add_u32_e32 v1, -1, v0
	v_lshrrev_b32_e32 v14, 5, v1
	v_add_lshl_u32 v1, v14, v1, 3
	ds_read_b64 v[14:15], v1
	s_waitcnt lgkmcnt(0)
	v_cmp_gt_i64_e64 s[0:1], v[20:21], v[14:15]
	v_cndmask_b32_e64 v15, v15, v21, s[0:1]
	v_cndmask_b32_e64 v14, v14, v20, s[0:1]
.LBB3784_54:
	s_or_b64 exec, exec, s[4:5]
	v_cmp_gt_i64_e64 s[0:1], v[14:15], v[10:11]
	v_cndmask_b32_e64 v29, v11, v15, s[0:1]
	v_cndmask_b32_e64 v28, v10, v14, s[0:1]
	v_cmp_gt_i64_e64 s[0:1], v[28:29], v[12:13]
	v_cndmask_b32_e64 v19, v13, v29, s[0:1]
	v_cndmask_b32_e64 v18, v12, v28, s[0:1]
	;; [unrolled: 3-line block ×6, first 2 shown]
	s_and_saveexec_b64 s[0:1], vcc
	s_cbranch_execz .LBB3784_56
; %bb.55:
	v_mov_b32_e32 v5, 0
	ds_read_b64 v[2:3], v5 offset:1040
	s_add_u32 s4, s20, 0x400
	s_addc_u32 s5, s21, 0
	v_mov_b32_e32 v4, 2
	v_pk_mov_b32 v[6:7], s[4:5], s[4:5] op_sel:[0,1]
	s_waitcnt lgkmcnt(0)
	v_cmp_gt_i64_e32 vcc, v[20:21], v[2:3]
	v_cndmask_b32_e32 v3, v3, v21, vcc
	v_cndmask_b32_e32 v2, v2, v20, vcc
	;;#ASMSTART
	global_store_dwordx4 v[6:7], v[2:5] off	
s_waitcnt vmcnt(0)
	;;#ASMEND
.LBB3784_56:
	s_or_b64 exec, exec, s[0:1]
.LBB3784_57:
	s_waitcnt lgkmcnt(0)
	s_mov_b64 s[0:1], -1
	s_and_b64 vcc, exec, s[16:17]
	s_barrier
	ds_write2_b64 v37, v[14:15], v[28:29] offset1:1
	ds_write2_b64 v37, v[18:19], v[30:31] offset0:2 offset1:3
	ds_write2_b64 v37, v[22:23], v[32:33] offset0:4 offset1:5
	ds_write_b64 v37, v[34:35] offset:48
	s_waitcnt lgkmcnt(0)
	s_cbranch_vccz .LBB3784_59
; %bb.58:
	s_barrier
	s_mov_b64 s[0:1], 0
.LBB3784_59:
	s_andn2_b64 vcc, exec, s[0:1]
	s_cbranch_vccnz .LBB3784_84
; %bb.60:
	v_cmp_lt_u64_e64 s[0:1], s[6:7], 2
	s_and_b64 vcc, exec, s[0:1]
	s_barrier
	s_cbranch_vccnz .LBB3784_84
; %bb.61:
	s_add_u32 s0, s24, -1
	s_addc_u32 s1, s25, -1
	s_add_u32 s4, 0, 0x92481000
	s_addc_u32 s5, 0, 0x64
	s_add_i32 s5, s5, 0x249248c0
	s_mul_hi_u32 s9, s4, -7
	s_sub_i32 s9, s9, s4
	s_mul_i32 s10, s5, -7
	s_mul_i32 s6, s4, -7
	s_add_i32 s9, s9, s10
	s_mul_hi_u32 s7, s5, s6
	s_mul_i32 s8, s5, s6
	s_mul_i32 s11, s4, s9
	s_mul_hi_u32 s6, s4, s6
	s_mul_hi_u32 s10, s4, s9
	s_add_u32 s6, s6, s11
	s_addc_u32 s10, 0, s10
	s_add_u32 s6, s6, s8
	s_mul_hi_u32 s11, s5, s9
	s_addc_u32 s6, s10, s7
	s_addc_u32 s7, s11, 0
	s_mul_i32 s8, s5, s9
	s_add_u32 s6, s6, s8
	v_mov_b32_e32 v2, s6
	s_addc_u32 s7, 0, s7
	v_add_co_u32_e32 v2, vcc, s4, v2
	s_cmp_lg_u64 vcc, 0
	s_addc_u32 s4, s5, s7
	v_readfirstlane_b32 s7, v2
	s_mul_i32 s6, s0, s4
	s_mul_hi_u32 s8, s0, s7
	s_mul_hi_u32 s5, s0, s4
	s_add_u32 s6, s8, s6
	s_addc_u32 s5, 0, s5
	s_mul_hi_u32 s9, s1, s7
	s_mul_i32 s7, s1, s7
	s_add_u32 s6, s6, s7
	s_mul_hi_u32 s8, s1, s4
	s_addc_u32 s5, s5, s9
	s_addc_u32 s6, s8, 0
	s_mul_i32 s4, s1, s4
	s_add_u32 s4, s5, s4
	s_addc_u32 s5, 0, s6
	s_add_u32 s6, s4, 1
	s_addc_u32 s7, s5, 0
	s_add_u32 s8, s4, 2
	s_mul_i32 s10, s5, 7
	s_mul_hi_u32 s11, s4, 7
	s_addc_u32 s9, s5, 0
	s_add_i32 s11, s11, s10
	s_mul_i32 s10, s4, 7
	v_mov_b32_e32 v2, s10
	v_sub_co_u32_e32 v2, vcc, s0, v2
	s_cmp_lg_u64 vcc, 0
	s_subb_u32 s10, s1, s11
	v_subrev_co_u32_e32 v3, vcc, 7, v2
	s_cmp_lg_u64 vcc, 0
	s_subb_u32 s11, s10, 0
	v_readfirstlane_b32 s12, v3
	s_cmp_gt_u32 s12, 6
	s_cselect_b32 s12, -1, 0
	s_cmp_eq_u32 s11, 0
	s_cselect_b32 s11, s12, -1
	s_cmp_lg_u32 s11, 0
	s_cselect_b32 s6, s8, s6
	v_readfirstlane_b32 s8, v2
	s_cselect_b32 s7, s9, s7
	s_cmp_gt_u32 s8, 6
	s_cselect_b32 s8, -1, 0
	s_cmp_eq_u32 s10, 0
	s_cselect_b32 s8, s8, -1
	s_cmp_lg_u32 s8, 0
	v_mov_b32_e32 v1, 0
	s_cselect_b32 s5, s7, s5
	s_cselect_b32 s4, s6, s4
	v_cmp_eq_u64_e32 vcc, s[4:5], v[0:1]
	s_and_saveexec_b64 s[4:5], vcc
	s_cbranch_execz .LBB3784_84
; %bb.62:
	s_movk_i32 s4, 0xffd0
	v_mad_i32_i24 v2, v0, s4, v37
	v_mul_hi_u32_u24_e32 v1, 7, v0
	v_mov_b32_e32 v3, s1
	v_sub_co_u32_e32 v0, vcc, s0, v36
	v_subb_co_u32_e32 v1, vcc, v3, v1, vcc
	v_cmp_lt_i64_e32 vcc, 3, v[0:1]
	s_and_saveexec_b64 s[0:1], vcc
	s_xor_b64 s[0:1], exec, s[0:1]
	s_cbranch_execz .LBB3784_72
; %bb.63:
	v_cmp_lt_i64_e32 vcc, 4, v[0:1]
	s_and_saveexec_b64 s[4:5], vcc
	s_xor_b64 s[4:5], exec, s[4:5]
	s_cbranch_execz .LBB3784_69
; %bb.64:
	;; [unrolled: 5-line block ×3, first 2 shown]
	ds_read_b64 v[0:1], v2 offset:6144
	v_mov_b32_e32 v2, 0
	s_waitcnt lgkmcnt(0)
	global_store_dwordx2 v2, v[0:1], s[2:3]
                                        ; implicit-def: $vgpr2
.LBB3784_66:
	s_andn2_saveexec_b64 s[6:7], s[6:7]
	s_cbranch_execz .LBB3784_68
; %bb.67:
	ds_read_b64 v[0:1], v2 offset:5120
	v_mov_b32_e32 v2, 0
	s_waitcnt lgkmcnt(0)
	global_store_dwordx2 v2, v[0:1], s[2:3]
.LBB3784_68:
	s_or_b64 exec, exec, s[6:7]
                                        ; implicit-def: $vgpr2
.LBB3784_69:
	s_andn2_saveexec_b64 s[4:5], s[4:5]
	s_cbranch_execz .LBB3784_71
; %bb.70:
	ds_read_b64 v[0:1], v2 offset:4096
	v_mov_b32_e32 v2, 0
	s_waitcnt lgkmcnt(0)
	global_store_dwordx2 v2, v[0:1], s[2:3]
.LBB3784_71:
	s_or_b64 exec, exec, s[4:5]
                                        ; implicit-def: $vgpr0_vgpr1
                                        ; implicit-def: $vgpr2
.LBB3784_72:
	s_andn2_saveexec_b64 s[0:1], s[0:1]
	s_cbranch_execz .LBB3784_84
; %bb.73:
	v_cmp_lt_i64_e32 vcc, 1, v[0:1]
	s_and_saveexec_b64 s[0:1], vcc
	s_xor_b64 s[0:1], exec, s[0:1]
	s_cbranch_execz .LBB3784_79
; %bb.74:
	v_cmp_lt_i64_e32 vcc, 2, v[0:1]
	s_and_saveexec_b64 s[4:5], vcc
	s_xor_b64 s[4:5], exec, s[4:5]
	s_cbranch_execz .LBB3784_76
; %bb.75:
	ds_read_b64 v[0:1], v2 offset:3072
	v_mov_b32_e32 v2, 0
	s_waitcnt lgkmcnt(0)
	global_store_dwordx2 v2, v[0:1], s[2:3]
                                        ; implicit-def: $vgpr2
.LBB3784_76:
	s_andn2_saveexec_b64 s[4:5], s[4:5]
	s_cbranch_execz .LBB3784_78
; %bb.77:
	ds_read_b64 v[0:1], v2 offset:2048
	v_mov_b32_e32 v2, 0
	s_waitcnt lgkmcnt(0)
	global_store_dwordx2 v2, v[0:1], s[2:3]
.LBB3784_78:
	s_or_b64 exec, exec, s[4:5]
                                        ; implicit-def: $vgpr2
                                        ; implicit-def: $vgpr0_vgpr1
.LBB3784_79:
	s_andn2_saveexec_b64 s[0:1], s[0:1]
	s_cbranch_execz .LBB3784_84
; %bb.80:
	v_cmp_ne_u64_e32 vcc, 1, v[0:1]
	s_and_saveexec_b64 s[0:1], vcc
	s_xor_b64 s[0:1], exec, s[0:1]
	s_cbranch_execz .LBB3784_82
; %bb.81:
	ds_read_b64 v[0:1], v2
	v_mov_b32_e32 v2, 0
	s_waitcnt lgkmcnt(0)
	global_store_dwordx2 v2, v[0:1], s[2:3]
                                        ; implicit-def: $vgpr2
.LBB3784_82:
	s_andn2_saveexec_b64 s[0:1], s[0:1]
	s_cbranch_execz .LBB3784_84
; %bb.83:
	ds_read_b64 v[0:1], v2 offset:1024
	v_mov_b32_e32 v2, 0
	s_waitcnt lgkmcnt(0)
	global_store_dwordx2 v2, v[0:1], s[2:3]
.LBB3784_84:
	s_endpgm
	.section	.rodata,"a",@progbits
	.p2align	6, 0x0
	.amdhsa_kernel _ZN7rocprim17ROCPRIM_400000_NS6detail17trampoline_kernelINS0_14default_configENS1_20scan_config_selectorIxEEZZNS1_9scan_implILNS1_25lookback_scan_determinismE0ELb1ELb1ES3_N6thrust23THRUST_200600_302600_NS6detail15normal_iteratorINS9_10device_ptrIxEEEENS9_16discard_iteratorINS9_11use_defaultEEEx11max_functorIxExEEDaPvRmT3_T4_T5_mT6_P12ihipStream_tbENKUlT_T0_E_clISt17integral_constantIbLb0EESX_EEDaSS_ST_EUlSS_E_NS1_11comp_targetILNS1_3genE4ELNS1_11target_archE910ELNS1_3gpuE8ELNS1_3repE0EEENS1_30default_config_static_selectorELNS0_4arch9wavefront6targetE1EEEvT1_
		.amdhsa_group_segment_fixed_size 7168
		.amdhsa_private_segment_fixed_size 0
		.amdhsa_kernarg_size 112
		.amdhsa_user_sgpr_count 6
		.amdhsa_user_sgpr_private_segment_buffer 1
		.amdhsa_user_sgpr_dispatch_ptr 0
		.amdhsa_user_sgpr_queue_ptr 0
		.amdhsa_user_sgpr_kernarg_segment_ptr 1
		.amdhsa_user_sgpr_dispatch_id 0
		.amdhsa_user_sgpr_flat_scratch_init 0
		.amdhsa_user_sgpr_kernarg_preload_length 0
		.amdhsa_user_sgpr_kernarg_preload_offset 0
		.amdhsa_user_sgpr_private_segment_size 0
		.amdhsa_uses_dynamic_stack 0
		.amdhsa_system_sgpr_private_segment_wavefront_offset 0
		.amdhsa_system_sgpr_workgroup_id_x 1
		.amdhsa_system_sgpr_workgroup_id_y 0
		.amdhsa_system_sgpr_workgroup_id_z 0
		.amdhsa_system_sgpr_workgroup_info 0
		.amdhsa_system_vgpr_workitem_id 0
		.amdhsa_next_free_vgpr 57
		.amdhsa_next_free_sgpr 28
		.amdhsa_accum_offset 60
		.amdhsa_reserve_vcc 1
		.amdhsa_reserve_flat_scratch 0
		.amdhsa_float_round_mode_32 0
		.amdhsa_float_round_mode_16_64 0
		.amdhsa_float_denorm_mode_32 3
		.amdhsa_float_denorm_mode_16_64 3
		.amdhsa_dx10_clamp 1
		.amdhsa_ieee_mode 1
		.amdhsa_fp16_overflow 0
		.amdhsa_tg_split 0
		.amdhsa_exception_fp_ieee_invalid_op 0
		.amdhsa_exception_fp_denorm_src 0
		.amdhsa_exception_fp_ieee_div_zero 0
		.amdhsa_exception_fp_ieee_overflow 0
		.amdhsa_exception_fp_ieee_underflow 0
		.amdhsa_exception_fp_ieee_inexact 0
		.amdhsa_exception_int_div_zero 0
	.end_amdhsa_kernel
	.section	.text._ZN7rocprim17ROCPRIM_400000_NS6detail17trampoline_kernelINS0_14default_configENS1_20scan_config_selectorIxEEZZNS1_9scan_implILNS1_25lookback_scan_determinismE0ELb1ELb1ES3_N6thrust23THRUST_200600_302600_NS6detail15normal_iteratorINS9_10device_ptrIxEEEENS9_16discard_iteratorINS9_11use_defaultEEEx11max_functorIxExEEDaPvRmT3_T4_T5_mT6_P12ihipStream_tbENKUlT_T0_E_clISt17integral_constantIbLb0EESX_EEDaSS_ST_EUlSS_E_NS1_11comp_targetILNS1_3genE4ELNS1_11target_archE910ELNS1_3gpuE8ELNS1_3repE0EEENS1_30default_config_static_selectorELNS0_4arch9wavefront6targetE1EEEvT1_,"axG",@progbits,_ZN7rocprim17ROCPRIM_400000_NS6detail17trampoline_kernelINS0_14default_configENS1_20scan_config_selectorIxEEZZNS1_9scan_implILNS1_25lookback_scan_determinismE0ELb1ELb1ES3_N6thrust23THRUST_200600_302600_NS6detail15normal_iteratorINS9_10device_ptrIxEEEENS9_16discard_iteratorINS9_11use_defaultEEEx11max_functorIxExEEDaPvRmT3_T4_T5_mT6_P12ihipStream_tbENKUlT_T0_E_clISt17integral_constantIbLb0EESX_EEDaSS_ST_EUlSS_E_NS1_11comp_targetILNS1_3genE4ELNS1_11target_archE910ELNS1_3gpuE8ELNS1_3repE0EEENS1_30default_config_static_selectorELNS0_4arch9wavefront6targetE1EEEvT1_,comdat
.Lfunc_end3784:
	.size	_ZN7rocprim17ROCPRIM_400000_NS6detail17trampoline_kernelINS0_14default_configENS1_20scan_config_selectorIxEEZZNS1_9scan_implILNS1_25lookback_scan_determinismE0ELb1ELb1ES3_N6thrust23THRUST_200600_302600_NS6detail15normal_iteratorINS9_10device_ptrIxEEEENS9_16discard_iteratorINS9_11use_defaultEEEx11max_functorIxExEEDaPvRmT3_T4_T5_mT6_P12ihipStream_tbENKUlT_T0_E_clISt17integral_constantIbLb0EESX_EEDaSS_ST_EUlSS_E_NS1_11comp_targetILNS1_3genE4ELNS1_11target_archE910ELNS1_3gpuE8ELNS1_3repE0EEENS1_30default_config_static_selectorELNS0_4arch9wavefront6targetE1EEEvT1_, .Lfunc_end3784-_ZN7rocprim17ROCPRIM_400000_NS6detail17trampoline_kernelINS0_14default_configENS1_20scan_config_selectorIxEEZZNS1_9scan_implILNS1_25lookback_scan_determinismE0ELb1ELb1ES3_N6thrust23THRUST_200600_302600_NS6detail15normal_iteratorINS9_10device_ptrIxEEEENS9_16discard_iteratorINS9_11use_defaultEEEx11max_functorIxExEEDaPvRmT3_T4_T5_mT6_P12ihipStream_tbENKUlT_T0_E_clISt17integral_constantIbLb0EESX_EEDaSS_ST_EUlSS_E_NS1_11comp_targetILNS1_3genE4ELNS1_11target_archE910ELNS1_3gpuE8ELNS1_3repE0EEENS1_30default_config_static_selectorELNS0_4arch9wavefront6targetE1EEEvT1_
                                        ; -- End function
	.section	.AMDGPU.csdata,"",@progbits
; Kernel info:
; codeLenInByte = 5400
; NumSgprs: 32
; NumVgprs: 57
; NumAgprs: 0
; TotalNumVgprs: 57
; ScratchSize: 0
; MemoryBound: 0
; FloatMode: 240
; IeeeMode: 1
; LDSByteSize: 7168 bytes/workgroup (compile time only)
; SGPRBlocks: 3
; VGPRBlocks: 7
; NumSGPRsForWavesPerEU: 32
; NumVGPRsForWavesPerEU: 57
; AccumOffset: 60
; Occupancy: 5
; WaveLimiterHint : 1
; COMPUTE_PGM_RSRC2:SCRATCH_EN: 0
; COMPUTE_PGM_RSRC2:USER_SGPR: 6
; COMPUTE_PGM_RSRC2:TRAP_HANDLER: 0
; COMPUTE_PGM_RSRC2:TGID_X_EN: 1
; COMPUTE_PGM_RSRC2:TGID_Y_EN: 0
; COMPUTE_PGM_RSRC2:TGID_Z_EN: 0
; COMPUTE_PGM_RSRC2:TIDIG_COMP_CNT: 0
; COMPUTE_PGM_RSRC3_GFX90A:ACCUM_OFFSET: 14
; COMPUTE_PGM_RSRC3_GFX90A:TG_SPLIT: 0
	.section	.text._ZN7rocprim17ROCPRIM_400000_NS6detail17trampoline_kernelINS0_14default_configENS1_20scan_config_selectorIxEEZZNS1_9scan_implILNS1_25lookback_scan_determinismE0ELb1ELb1ES3_N6thrust23THRUST_200600_302600_NS6detail15normal_iteratorINS9_10device_ptrIxEEEENS9_16discard_iteratorINS9_11use_defaultEEEx11max_functorIxExEEDaPvRmT3_T4_T5_mT6_P12ihipStream_tbENKUlT_T0_E_clISt17integral_constantIbLb0EESX_EEDaSS_ST_EUlSS_E_NS1_11comp_targetILNS1_3genE3ELNS1_11target_archE908ELNS1_3gpuE7ELNS1_3repE0EEENS1_30default_config_static_selectorELNS0_4arch9wavefront6targetE1EEEvT1_,"axG",@progbits,_ZN7rocprim17ROCPRIM_400000_NS6detail17trampoline_kernelINS0_14default_configENS1_20scan_config_selectorIxEEZZNS1_9scan_implILNS1_25lookback_scan_determinismE0ELb1ELb1ES3_N6thrust23THRUST_200600_302600_NS6detail15normal_iteratorINS9_10device_ptrIxEEEENS9_16discard_iteratorINS9_11use_defaultEEEx11max_functorIxExEEDaPvRmT3_T4_T5_mT6_P12ihipStream_tbENKUlT_T0_E_clISt17integral_constantIbLb0EESX_EEDaSS_ST_EUlSS_E_NS1_11comp_targetILNS1_3genE3ELNS1_11target_archE908ELNS1_3gpuE7ELNS1_3repE0EEENS1_30default_config_static_selectorELNS0_4arch9wavefront6targetE1EEEvT1_,comdat
	.protected	_ZN7rocprim17ROCPRIM_400000_NS6detail17trampoline_kernelINS0_14default_configENS1_20scan_config_selectorIxEEZZNS1_9scan_implILNS1_25lookback_scan_determinismE0ELb1ELb1ES3_N6thrust23THRUST_200600_302600_NS6detail15normal_iteratorINS9_10device_ptrIxEEEENS9_16discard_iteratorINS9_11use_defaultEEEx11max_functorIxExEEDaPvRmT3_T4_T5_mT6_P12ihipStream_tbENKUlT_T0_E_clISt17integral_constantIbLb0EESX_EEDaSS_ST_EUlSS_E_NS1_11comp_targetILNS1_3genE3ELNS1_11target_archE908ELNS1_3gpuE7ELNS1_3repE0EEENS1_30default_config_static_selectorELNS0_4arch9wavefront6targetE1EEEvT1_ ; -- Begin function _ZN7rocprim17ROCPRIM_400000_NS6detail17trampoline_kernelINS0_14default_configENS1_20scan_config_selectorIxEEZZNS1_9scan_implILNS1_25lookback_scan_determinismE0ELb1ELb1ES3_N6thrust23THRUST_200600_302600_NS6detail15normal_iteratorINS9_10device_ptrIxEEEENS9_16discard_iteratorINS9_11use_defaultEEEx11max_functorIxExEEDaPvRmT3_T4_T5_mT6_P12ihipStream_tbENKUlT_T0_E_clISt17integral_constantIbLb0EESX_EEDaSS_ST_EUlSS_E_NS1_11comp_targetILNS1_3genE3ELNS1_11target_archE908ELNS1_3gpuE7ELNS1_3repE0EEENS1_30default_config_static_selectorELNS0_4arch9wavefront6targetE1EEEvT1_
	.globl	_ZN7rocprim17ROCPRIM_400000_NS6detail17trampoline_kernelINS0_14default_configENS1_20scan_config_selectorIxEEZZNS1_9scan_implILNS1_25lookback_scan_determinismE0ELb1ELb1ES3_N6thrust23THRUST_200600_302600_NS6detail15normal_iteratorINS9_10device_ptrIxEEEENS9_16discard_iteratorINS9_11use_defaultEEEx11max_functorIxExEEDaPvRmT3_T4_T5_mT6_P12ihipStream_tbENKUlT_T0_E_clISt17integral_constantIbLb0EESX_EEDaSS_ST_EUlSS_E_NS1_11comp_targetILNS1_3genE3ELNS1_11target_archE908ELNS1_3gpuE7ELNS1_3repE0EEENS1_30default_config_static_selectorELNS0_4arch9wavefront6targetE1EEEvT1_
	.p2align	8
	.type	_ZN7rocprim17ROCPRIM_400000_NS6detail17trampoline_kernelINS0_14default_configENS1_20scan_config_selectorIxEEZZNS1_9scan_implILNS1_25lookback_scan_determinismE0ELb1ELb1ES3_N6thrust23THRUST_200600_302600_NS6detail15normal_iteratorINS9_10device_ptrIxEEEENS9_16discard_iteratorINS9_11use_defaultEEEx11max_functorIxExEEDaPvRmT3_T4_T5_mT6_P12ihipStream_tbENKUlT_T0_E_clISt17integral_constantIbLb0EESX_EEDaSS_ST_EUlSS_E_NS1_11comp_targetILNS1_3genE3ELNS1_11target_archE908ELNS1_3gpuE7ELNS1_3repE0EEENS1_30default_config_static_selectorELNS0_4arch9wavefront6targetE1EEEvT1_,@function
_ZN7rocprim17ROCPRIM_400000_NS6detail17trampoline_kernelINS0_14default_configENS1_20scan_config_selectorIxEEZZNS1_9scan_implILNS1_25lookback_scan_determinismE0ELb1ELb1ES3_N6thrust23THRUST_200600_302600_NS6detail15normal_iteratorINS9_10device_ptrIxEEEENS9_16discard_iteratorINS9_11use_defaultEEEx11max_functorIxExEEDaPvRmT3_T4_T5_mT6_P12ihipStream_tbENKUlT_T0_E_clISt17integral_constantIbLb0EESX_EEDaSS_ST_EUlSS_E_NS1_11comp_targetILNS1_3genE3ELNS1_11target_archE908ELNS1_3gpuE7ELNS1_3repE0EEENS1_30default_config_static_selectorELNS0_4arch9wavefront6targetE1EEEvT1_: ; @_ZN7rocprim17ROCPRIM_400000_NS6detail17trampoline_kernelINS0_14default_configENS1_20scan_config_selectorIxEEZZNS1_9scan_implILNS1_25lookback_scan_determinismE0ELb1ELb1ES3_N6thrust23THRUST_200600_302600_NS6detail15normal_iteratorINS9_10device_ptrIxEEEENS9_16discard_iteratorINS9_11use_defaultEEEx11max_functorIxExEEDaPvRmT3_T4_T5_mT6_P12ihipStream_tbENKUlT_T0_E_clISt17integral_constantIbLb0EESX_EEDaSS_ST_EUlSS_E_NS1_11comp_targetILNS1_3genE3ELNS1_11target_archE908ELNS1_3gpuE7ELNS1_3repE0EEENS1_30default_config_static_selectorELNS0_4arch9wavefront6targetE1EEEvT1_
; %bb.0:
	.section	.rodata,"a",@progbits
	.p2align	6, 0x0
	.amdhsa_kernel _ZN7rocprim17ROCPRIM_400000_NS6detail17trampoline_kernelINS0_14default_configENS1_20scan_config_selectorIxEEZZNS1_9scan_implILNS1_25lookback_scan_determinismE0ELb1ELb1ES3_N6thrust23THRUST_200600_302600_NS6detail15normal_iteratorINS9_10device_ptrIxEEEENS9_16discard_iteratorINS9_11use_defaultEEEx11max_functorIxExEEDaPvRmT3_T4_T5_mT6_P12ihipStream_tbENKUlT_T0_E_clISt17integral_constantIbLb0EESX_EEDaSS_ST_EUlSS_E_NS1_11comp_targetILNS1_3genE3ELNS1_11target_archE908ELNS1_3gpuE7ELNS1_3repE0EEENS1_30default_config_static_selectorELNS0_4arch9wavefront6targetE1EEEvT1_
		.amdhsa_group_segment_fixed_size 0
		.amdhsa_private_segment_fixed_size 0
		.amdhsa_kernarg_size 112
		.amdhsa_user_sgpr_count 6
		.amdhsa_user_sgpr_private_segment_buffer 1
		.amdhsa_user_sgpr_dispatch_ptr 0
		.amdhsa_user_sgpr_queue_ptr 0
		.amdhsa_user_sgpr_kernarg_segment_ptr 1
		.amdhsa_user_sgpr_dispatch_id 0
		.amdhsa_user_sgpr_flat_scratch_init 0
		.amdhsa_user_sgpr_kernarg_preload_length 0
		.amdhsa_user_sgpr_kernarg_preload_offset 0
		.amdhsa_user_sgpr_private_segment_size 0
		.amdhsa_uses_dynamic_stack 0
		.amdhsa_system_sgpr_private_segment_wavefront_offset 0
		.amdhsa_system_sgpr_workgroup_id_x 1
		.amdhsa_system_sgpr_workgroup_id_y 0
		.amdhsa_system_sgpr_workgroup_id_z 0
		.amdhsa_system_sgpr_workgroup_info 0
		.amdhsa_system_vgpr_workitem_id 0
		.amdhsa_next_free_vgpr 1
		.amdhsa_next_free_sgpr 0
		.amdhsa_accum_offset 4
		.amdhsa_reserve_vcc 0
		.amdhsa_reserve_flat_scratch 0
		.amdhsa_float_round_mode_32 0
		.amdhsa_float_round_mode_16_64 0
		.amdhsa_float_denorm_mode_32 3
		.amdhsa_float_denorm_mode_16_64 3
		.amdhsa_dx10_clamp 1
		.amdhsa_ieee_mode 1
		.amdhsa_fp16_overflow 0
		.amdhsa_tg_split 0
		.amdhsa_exception_fp_ieee_invalid_op 0
		.amdhsa_exception_fp_denorm_src 0
		.amdhsa_exception_fp_ieee_div_zero 0
		.amdhsa_exception_fp_ieee_overflow 0
		.amdhsa_exception_fp_ieee_underflow 0
		.amdhsa_exception_fp_ieee_inexact 0
		.amdhsa_exception_int_div_zero 0
	.end_amdhsa_kernel
	.section	.text._ZN7rocprim17ROCPRIM_400000_NS6detail17trampoline_kernelINS0_14default_configENS1_20scan_config_selectorIxEEZZNS1_9scan_implILNS1_25lookback_scan_determinismE0ELb1ELb1ES3_N6thrust23THRUST_200600_302600_NS6detail15normal_iteratorINS9_10device_ptrIxEEEENS9_16discard_iteratorINS9_11use_defaultEEEx11max_functorIxExEEDaPvRmT3_T4_T5_mT6_P12ihipStream_tbENKUlT_T0_E_clISt17integral_constantIbLb0EESX_EEDaSS_ST_EUlSS_E_NS1_11comp_targetILNS1_3genE3ELNS1_11target_archE908ELNS1_3gpuE7ELNS1_3repE0EEENS1_30default_config_static_selectorELNS0_4arch9wavefront6targetE1EEEvT1_,"axG",@progbits,_ZN7rocprim17ROCPRIM_400000_NS6detail17trampoline_kernelINS0_14default_configENS1_20scan_config_selectorIxEEZZNS1_9scan_implILNS1_25lookback_scan_determinismE0ELb1ELb1ES3_N6thrust23THRUST_200600_302600_NS6detail15normal_iteratorINS9_10device_ptrIxEEEENS9_16discard_iteratorINS9_11use_defaultEEEx11max_functorIxExEEDaPvRmT3_T4_T5_mT6_P12ihipStream_tbENKUlT_T0_E_clISt17integral_constantIbLb0EESX_EEDaSS_ST_EUlSS_E_NS1_11comp_targetILNS1_3genE3ELNS1_11target_archE908ELNS1_3gpuE7ELNS1_3repE0EEENS1_30default_config_static_selectorELNS0_4arch9wavefront6targetE1EEEvT1_,comdat
.Lfunc_end3785:
	.size	_ZN7rocprim17ROCPRIM_400000_NS6detail17trampoline_kernelINS0_14default_configENS1_20scan_config_selectorIxEEZZNS1_9scan_implILNS1_25lookback_scan_determinismE0ELb1ELb1ES3_N6thrust23THRUST_200600_302600_NS6detail15normal_iteratorINS9_10device_ptrIxEEEENS9_16discard_iteratorINS9_11use_defaultEEEx11max_functorIxExEEDaPvRmT3_T4_T5_mT6_P12ihipStream_tbENKUlT_T0_E_clISt17integral_constantIbLb0EESX_EEDaSS_ST_EUlSS_E_NS1_11comp_targetILNS1_3genE3ELNS1_11target_archE908ELNS1_3gpuE7ELNS1_3repE0EEENS1_30default_config_static_selectorELNS0_4arch9wavefront6targetE1EEEvT1_, .Lfunc_end3785-_ZN7rocprim17ROCPRIM_400000_NS6detail17trampoline_kernelINS0_14default_configENS1_20scan_config_selectorIxEEZZNS1_9scan_implILNS1_25lookback_scan_determinismE0ELb1ELb1ES3_N6thrust23THRUST_200600_302600_NS6detail15normal_iteratorINS9_10device_ptrIxEEEENS9_16discard_iteratorINS9_11use_defaultEEEx11max_functorIxExEEDaPvRmT3_T4_T5_mT6_P12ihipStream_tbENKUlT_T0_E_clISt17integral_constantIbLb0EESX_EEDaSS_ST_EUlSS_E_NS1_11comp_targetILNS1_3genE3ELNS1_11target_archE908ELNS1_3gpuE7ELNS1_3repE0EEENS1_30default_config_static_selectorELNS0_4arch9wavefront6targetE1EEEvT1_
                                        ; -- End function
	.section	.AMDGPU.csdata,"",@progbits
; Kernel info:
; codeLenInByte = 0
; NumSgprs: 4
; NumVgprs: 0
; NumAgprs: 0
; TotalNumVgprs: 0
; ScratchSize: 0
; MemoryBound: 0
; FloatMode: 240
; IeeeMode: 1
; LDSByteSize: 0 bytes/workgroup (compile time only)
; SGPRBlocks: 0
; VGPRBlocks: 0
; NumSGPRsForWavesPerEU: 4
; NumVGPRsForWavesPerEU: 1
; AccumOffset: 4
; Occupancy: 8
; WaveLimiterHint : 0
; COMPUTE_PGM_RSRC2:SCRATCH_EN: 0
; COMPUTE_PGM_RSRC2:USER_SGPR: 6
; COMPUTE_PGM_RSRC2:TRAP_HANDLER: 0
; COMPUTE_PGM_RSRC2:TGID_X_EN: 1
; COMPUTE_PGM_RSRC2:TGID_Y_EN: 0
; COMPUTE_PGM_RSRC2:TGID_Z_EN: 0
; COMPUTE_PGM_RSRC2:TIDIG_COMP_CNT: 0
; COMPUTE_PGM_RSRC3_GFX90A:ACCUM_OFFSET: 0
; COMPUTE_PGM_RSRC3_GFX90A:TG_SPLIT: 0
	.section	.text._ZN7rocprim17ROCPRIM_400000_NS6detail17trampoline_kernelINS0_14default_configENS1_20scan_config_selectorIxEEZZNS1_9scan_implILNS1_25lookback_scan_determinismE0ELb1ELb1ES3_N6thrust23THRUST_200600_302600_NS6detail15normal_iteratorINS9_10device_ptrIxEEEENS9_16discard_iteratorINS9_11use_defaultEEEx11max_functorIxExEEDaPvRmT3_T4_T5_mT6_P12ihipStream_tbENKUlT_T0_E_clISt17integral_constantIbLb0EESX_EEDaSS_ST_EUlSS_E_NS1_11comp_targetILNS1_3genE2ELNS1_11target_archE906ELNS1_3gpuE6ELNS1_3repE0EEENS1_30default_config_static_selectorELNS0_4arch9wavefront6targetE1EEEvT1_,"axG",@progbits,_ZN7rocprim17ROCPRIM_400000_NS6detail17trampoline_kernelINS0_14default_configENS1_20scan_config_selectorIxEEZZNS1_9scan_implILNS1_25lookback_scan_determinismE0ELb1ELb1ES3_N6thrust23THRUST_200600_302600_NS6detail15normal_iteratorINS9_10device_ptrIxEEEENS9_16discard_iteratorINS9_11use_defaultEEEx11max_functorIxExEEDaPvRmT3_T4_T5_mT6_P12ihipStream_tbENKUlT_T0_E_clISt17integral_constantIbLb0EESX_EEDaSS_ST_EUlSS_E_NS1_11comp_targetILNS1_3genE2ELNS1_11target_archE906ELNS1_3gpuE6ELNS1_3repE0EEENS1_30default_config_static_selectorELNS0_4arch9wavefront6targetE1EEEvT1_,comdat
	.protected	_ZN7rocprim17ROCPRIM_400000_NS6detail17trampoline_kernelINS0_14default_configENS1_20scan_config_selectorIxEEZZNS1_9scan_implILNS1_25lookback_scan_determinismE0ELb1ELb1ES3_N6thrust23THRUST_200600_302600_NS6detail15normal_iteratorINS9_10device_ptrIxEEEENS9_16discard_iteratorINS9_11use_defaultEEEx11max_functorIxExEEDaPvRmT3_T4_T5_mT6_P12ihipStream_tbENKUlT_T0_E_clISt17integral_constantIbLb0EESX_EEDaSS_ST_EUlSS_E_NS1_11comp_targetILNS1_3genE2ELNS1_11target_archE906ELNS1_3gpuE6ELNS1_3repE0EEENS1_30default_config_static_selectorELNS0_4arch9wavefront6targetE1EEEvT1_ ; -- Begin function _ZN7rocprim17ROCPRIM_400000_NS6detail17trampoline_kernelINS0_14default_configENS1_20scan_config_selectorIxEEZZNS1_9scan_implILNS1_25lookback_scan_determinismE0ELb1ELb1ES3_N6thrust23THRUST_200600_302600_NS6detail15normal_iteratorINS9_10device_ptrIxEEEENS9_16discard_iteratorINS9_11use_defaultEEEx11max_functorIxExEEDaPvRmT3_T4_T5_mT6_P12ihipStream_tbENKUlT_T0_E_clISt17integral_constantIbLb0EESX_EEDaSS_ST_EUlSS_E_NS1_11comp_targetILNS1_3genE2ELNS1_11target_archE906ELNS1_3gpuE6ELNS1_3repE0EEENS1_30default_config_static_selectorELNS0_4arch9wavefront6targetE1EEEvT1_
	.globl	_ZN7rocprim17ROCPRIM_400000_NS6detail17trampoline_kernelINS0_14default_configENS1_20scan_config_selectorIxEEZZNS1_9scan_implILNS1_25lookback_scan_determinismE0ELb1ELb1ES3_N6thrust23THRUST_200600_302600_NS6detail15normal_iteratorINS9_10device_ptrIxEEEENS9_16discard_iteratorINS9_11use_defaultEEEx11max_functorIxExEEDaPvRmT3_T4_T5_mT6_P12ihipStream_tbENKUlT_T0_E_clISt17integral_constantIbLb0EESX_EEDaSS_ST_EUlSS_E_NS1_11comp_targetILNS1_3genE2ELNS1_11target_archE906ELNS1_3gpuE6ELNS1_3repE0EEENS1_30default_config_static_selectorELNS0_4arch9wavefront6targetE1EEEvT1_
	.p2align	8
	.type	_ZN7rocprim17ROCPRIM_400000_NS6detail17trampoline_kernelINS0_14default_configENS1_20scan_config_selectorIxEEZZNS1_9scan_implILNS1_25lookback_scan_determinismE0ELb1ELb1ES3_N6thrust23THRUST_200600_302600_NS6detail15normal_iteratorINS9_10device_ptrIxEEEENS9_16discard_iteratorINS9_11use_defaultEEEx11max_functorIxExEEDaPvRmT3_T4_T5_mT6_P12ihipStream_tbENKUlT_T0_E_clISt17integral_constantIbLb0EESX_EEDaSS_ST_EUlSS_E_NS1_11comp_targetILNS1_3genE2ELNS1_11target_archE906ELNS1_3gpuE6ELNS1_3repE0EEENS1_30default_config_static_selectorELNS0_4arch9wavefront6targetE1EEEvT1_,@function
_ZN7rocprim17ROCPRIM_400000_NS6detail17trampoline_kernelINS0_14default_configENS1_20scan_config_selectorIxEEZZNS1_9scan_implILNS1_25lookback_scan_determinismE0ELb1ELb1ES3_N6thrust23THRUST_200600_302600_NS6detail15normal_iteratorINS9_10device_ptrIxEEEENS9_16discard_iteratorINS9_11use_defaultEEEx11max_functorIxExEEDaPvRmT3_T4_T5_mT6_P12ihipStream_tbENKUlT_T0_E_clISt17integral_constantIbLb0EESX_EEDaSS_ST_EUlSS_E_NS1_11comp_targetILNS1_3genE2ELNS1_11target_archE906ELNS1_3gpuE6ELNS1_3repE0EEENS1_30default_config_static_selectorELNS0_4arch9wavefront6targetE1EEEvT1_: ; @_ZN7rocprim17ROCPRIM_400000_NS6detail17trampoline_kernelINS0_14default_configENS1_20scan_config_selectorIxEEZZNS1_9scan_implILNS1_25lookback_scan_determinismE0ELb1ELb1ES3_N6thrust23THRUST_200600_302600_NS6detail15normal_iteratorINS9_10device_ptrIxEEEENS9_16discard_iteratorINS9_11use_defaultEEEx11max_functorIxExEEDaPvRmT3_T4_T5_mT6_P12ihipStream_tbENKUlT_T0_E_clISt17integral_constantIbLb0EESX_EEDaSS_ST_EUlSS_E_NS1_11comp_targetILNS1_3genE2ELNS1_11target_archE906ELNS1_3gpuE6ELNS1_3repE0EEENS1_30default_config_static_selectorELNS0_4arch9wavefront6targetE1EEEvT1_
; %bb.0:
	.section	.rodata,"a",@progbits
	.p2align	6, 0x0
	.amdhsa_kernel _ZN7rocprim17ROCPRIM_400000_NS6detail17trampoline_kernelINS0_14default_configENS1_20scan_config_selectorIxEEZZNS1_9scan_implILNS1_25lookback_scan_determinismE0ELb1ELb1ES3_N6thrust23THRUST_200600_302600_NS6detail15normal_iteratorINS9_10device_ptrIxEEEENS9_16discard_iteratorINS9_11use_defaultEEEx11max_functorIxExEEDaPvRmT3_T4_T5_mT6_P12ihipStream_tbENKUlT_T0_E_clISt17integral_constantIbLb0EESX_EEDaSS_ST_EUlSS_E_NS1_11comp_targetILNS1_3genE2ELNS1_11target_archE906ELNS1_3gpuE6ELNS1_3repE0EEENS1_30default_config_static_selectorELNS0_4arch9wavefront6targetE1EEEvT1_
		.amdhsa_group_segment_fixed_size 0
		.amdhsa_private_segment_fixed_size 0
		.amdhsa_kernarg_size 112
		.amdhsa_user_sgpr_count 6
		.amdhsa_user_sgpr_private_segment_buffer 1
		.amdhsa_user_sgpr_dispatch_ptr 0
		.amdhsa_user_sgpr_queue_ptr 0
		.amdhsa_user_sgpr_kernarg_segment_ptr 1
		.amdhsa_user_sgpr_dispatch_id 0
		.amdhsa_user_sgpr_flat_scratch_init 0
		.amdhsa_user_sgpr_kernarg_preload_length 0
		.amdhsa_user_sgpr_kernarg_preload_offset 0
		.amdhsa_user_sgpr_private_segment_size 0
		.amdhsa_uses_dynamic_stack 0
		.amdhsa_system_sgpr_private_segment_wavefront_offset 0
		.amdhsa_system_sgpr_workgroup_id_x 1
		.amdhsa_system_sgpr_workgroup_id_y 0
		.amdhsa_system_sgpr_workgroup_id_z 0
		.amdhsa_system_sgpr_workgroup_info 0
		.amdhsa_system_vgpr_workitem_id 0
		.amdhsa_next_free_vgpr 1
		.amdhsa_next_free_sgpr 0
		.amdhsa_accum_offset 4
		.amdhsa_reserve_vcc 0
		.amdhsa_reserve_flat_scratch 0
		.amdhsa_float_round_mode_32 0
		.amdhsa_float_round_mode_16_64 0
		.amdhsa_float_denorm_mode_32 3
		.amdhsa_float_denorm_mode_16_64 3
		.amdhsa_dx10_clamp 1
		.amdhsa_ieee_mode 1
		.amdhsa_fp16_overflow 0
		.amdhsa_tg_split 0
		.amdhsa_exception_fp_ieee_invalid_op 0
		.amdhsa_exception_fp_denorm_src 0
		.amdhsa_exception_fp_ieee_div_zero 0
		.amdhsa_exception_fp_ieee_overflow 0
		.amdhsa_exception_fp_ieee_underflow 0
		.amdhsa_exception_fp_ieee_inexact 0
		.amdhsa_exception_int_div_zero 0
	.end_amdhsa_kernel
	.section	.text._ZN7rocprim17ROCPRIM_400000_NS6detail17trampoline_kernelINS0_14default_configENS1_20scan_config_selectorIxEEZZNS1_9scan_implILNS1_25lookback_scan_determinismE0ELb1ELb1ES3_N6thrust23THRUST_200600_302600_NS6detail15normal_iteratorINS9_10device_ptrIxEEEENS9_16discard_iteratorINS9_11use_defaultEEEx11max_functorIxExEEDaPvRmT3_T4_T5_mT6_P12ihipStream_tbENKUlT_T0_E_clISt17integral_constantIbLb0EESX_EEDaSS_ST_EUlSS_E_NS1_11comp_targetILNS1_3genE2ELNS1_11target_archE906ELNS1_3gpuE6ELNS1_3repE0EEENS1_30default_config_static_selectorELNS0_4arch9wavefront6targetE1EEEvT1_,"axG",@progbits,_ZN7rocprim17ROCPRIM_400000_NS6detail17trampoline_kernelINS0_14default_configENS1_20scan_config_selectorIxEEZZNS1_9scan_implILNS1_25lookback_scan_determinismE0ELb1ELb1ES3_N6thrust23THRUST_200600_302600_NS6detail15normal_iteratorINS9_10device_ptrIxEEEENS9_16discard_iteratorINS9_11use_defaultEEEx11max_functorIxExEEDaPvRmT3_T4_T5_mT6_P12ihipStream_tbENKUlT_T0_E_clISt17integral_constantIbLb0EESX_EEDaSS_ST_EUlSS_E_NS1_11comp_targetILNS1_3genE2ELNS1_11target_archE906ELNS1_3gpuE6ELNS1_3repE0EEENS1_30default_config_static_selectorELNS0_4arch9wavefront6targetE1EEEvT1_,comdat
.Lfunc_end3786:
	.size	_ZN7rocprim17ROCPRIM_400000_NS6detail17trampoline_kernelINS0_14default_configENS1_20scan_config_selectorIxEEZZNS1_9scan_implILNS1_25lookback_scan_determinismE0ELb1ELb1ES3_N6thrust23THRUST_200600_302600_NS6detail15normal_iteratorINS9_10device_ptrIxEEEENS9_16discard_iteratorINS9_11use_defaultEEEx11max_functorIxExEEDaPvRmT3_T4_T5_mT6_P12ihipStream_tbENKUlT_T0_E_clISt17integral_constantIbLb0EESX_EEDaSS_ST_EUlSS_E_NS1_11comp_targetILNS1_3genE2ELNS1_11target_archE906ELNS1_3gpuE6ELNS1_3repE0EEENS1_30default_config_static_selectorELNS0_4arch9wavefront6targetE1EEEvT1_, .Lfunc_end3786-_ZN7rocprim17ROCPRIM_400000_NS6detail17trampoline_kernelINS0_14default_configENS1_20scan_config_selectorIxEEZZNS1_9scan_implILNS1_25lookback_scan_determinismE0ELb1ELb1ES3_N6thrust23THRUST_200600_302600_NS6detail15normal_iteratorINS9_10device_ptrIxEEEENS9_16discard_iteratorINS9_11use_defaultEEEx11max_functorIxExEEDaPvRmT3_T4_T5_mT6_P12ihipStream_tbENKUlT_T0_E_clISt17integral_constantIbLb0EESX_EEDaSS_ST_EUlSS_E_NS1_11comp_targetILNS1_3genE2ELNS1_11target_archE906ELNS1_3gpuE6ELNS1_3repE0EEENS1_30default_config_static_selectorELNS0_4arch9wavefront6targetE1EEEvT1_
                                        ; -- End function
	.section	.AMDGPU.csdata,"",@progbits
; Kernel info:
; codeLenInByte = 0
; NumSgprs: 4
; NumVgprs: 0
; NumAgprs: 0
; TotalNumVgprs: 0
; ScratchSize: 0
; MemoryBound: 0
; FloatMode: 240
; IeeeMode: 1
; LDSByteSize: 0 bytes/workgroup (compile time only)
; SGPRBlocks: 0
; VGPRBlocks: 0
; NumSGPRsForWavesPerEU: 4
; NumVGPRsForWavesPerEU: 1
; AccumOffset: 4
; Occupancy: 8
; WaveLimiterHint : 0
; COMPUTE_PGM_RSRC2:SCRATCH_EN: 0
; COMPUTE_PGM_RSRC2:USER_SGPR: 6
; COMPUTE_PGM_RSRC2:TRAP_HANDLER: 0
; COMPUTE_PGM_RSRC2:TGID_X_EN: 1
; COMPUTE_PGM_RSRC2:TGID_Y_EN: 0
; COMPUTE_PGM_RSRC2:TGID_Z_EN: 0
; COMPUTE_PGM_RSRC2:TIDIG_COMP_CNT: 0
; COMPUTE_PGM_RSRC3_GFX90A:ACCUM_OFFSET: 0
; COMPUTE_PGM_RSRC3_GFX90A:TG_SPLIT: 0
	.section	.text._ZN7rocprim17ROCPRIM_400000_NS6detail17trampoline_kernelINS0_14default_configENS1_20scan_config_selectorIxEEZZNS1_9scan_implILNS1_25lookback_scan_determinismE0ELb1ELb1ES3_N6thrust23THRUST_200600_302600_NS6detail15normal_iteratorINS9_10device_ptrIxEEEENS9_16discard_iteratorINS9_11use_defaultEEEx11max_functorIxExEEDaPvRmT3_T4_T5_mT6_P12ihipStream_tbENKUlT_T0_E_clISt17integral_constantIbLb0EESX_EEDaSS_ST_EUlSS_E_NS1_11comp_targetILNS1_3genE10ELNS1_11target_archE1201ELNS1_3gpuE5ELNS1_3repE0EEENS1_30default_config_static_selectorELNS0_4arch9wavefront6targetE1EEEvT1_,"axG",@progbits,_ZN7rocprim17ROCPRIM_400000_NS6detail17trampoline_kernelINS0_14default_configENS1_20scan_config_selectorIxEEZZNS1_9scan_implILNS1_25lookback_scan_determinismE0ELb1ELb1ES3_N6thrust23THRUST_200600_302600_NS6detail15normal_iteratorINS9_10device_ptrIxEEEENS9_16discard_iteratorINS9_11use_defaultEEEx11max_functorIxExEEDaPvRmT3_T4_T5_mT6_P12ihipStream_tbENKUlT_T0_E_clISt17integral_constantIbLb0EESX_EEDaSS_ST_EUlSS_E_NS1_11comp_targetILNS1_3genE10ELNS1_11target_archE1201ELNS1_3gpuE5ELNS1_3repE0EEENS1_30default_config_static_selectorELNS0_4arch9wavefront6targetE1EEEvT1_,comdat
	.protected	_ZN7rocprim17ROCPRIM_400000_NS6detail17trampoline_kernelINS0_14default_configENS1_20scan_config_selectorIxEEZZNS1_9scan_implILNS1_25lookback_scan_determinismE0ELb1ELb1ES3_N6thrust23THRUST_200600_302600_NS6detail15normal_iteratorINS9_10device_ptrIxEEEENS9_16discard_iteratorINS9_11use_defaultEEEx11max_functorIxExEEDaPvRmT3_T4_T5_mT6_P12ihipStream_tbENKUlT_T0_E_clISt17integral_constantIbLb0EESX_EEDaSS_ST_EUlSS_E_NS1_11comp_targetILNS1_3genE10ELNS1_11target_archE1201ELNS1_3gpuE5ELNS1_3repE0EEENS1_30default_config_static_selectorELNS0_4arch9wavefront6targetE1EEEvT1_ ; -- Begin function _ZN7rocprim17ROCPRIM_400000_NS6detail17trampoline_kernelINS0_14default_configENS1_20scan_config_selectorIxEEZZNS1_9scan_implILNS1_25lookback_scan_determinismE0ELb1ELb1ES3_N6thrust23THRUST_200600_302600_NS6detail15normal_iteratorINS9_10device_ptrIxEEEENS9_16discard_iteratorINS9_11use_defaultEEEx11max_functorIxExEEDaPvRmT3_T4_T5_mT6_P12ihipStream_tbENKUlT_T0_E_clISt17integral_constantIbLb0EESX_EEDaSS_ST_EUlSS_E_NS1_11comp_targetILNS1_3genE10ELNS1_11target_archE1201ELNS1_3gpuE5ELNS1_3repE0EEENS1_30default_config_static_selectorELNS0_4arch9wavefront6targetE1EEEvT1_
	.globl	_ZN7rocprim17ROCPRIM_400000_NS6detail17trampoline_kernelINS0_14default_configENS1_20scan_config_selectorIxEEZZNS1_9scan_implILNS1_25lookback_scan_determinismE0ELb1ELb1ES3_N6thrust23THRUST_200600_302600_NS6detail15normal_iteratorINS9_10device_ptrIxEEEENS9_16discard_iteratorINS9_11use_defaultEEEx11max_functorIxExEEDaPvRmT3_T4_T5_mT6_P12ihipStream_tbENKUlT_T0_E_clISt17integral_constantIbLb0EESX_EEDaSS_ST_EUlSS_E_NS1_11comp_targetILNS1_3genE10ELNS1_11target_archE1201ELNS1_3gpuE5ELNS1_3repE0EEENS1_30default_config_static_selectorELNS0_4arch9wavefront6targetE1EEEvT1_
	.p2align	8
	.type	_ZN7rocprim17ROCPRIM_400000_NS6detail17trampoline_kernelINS0_14default_configENS1_20scan_config_selectorIxEEZZNS1_9scan_implILNS1_25lookback_scan_determinismE0ELb1ELb1ES3_N6thrust23THRUST_200600_302600_NS6detail15normal_iteratorINS9_10device_ptrIxEEEENS9_16discard_iteratorINS9_11use_defaultEEEx11max_functorIxExEEDaPvRmT3_T4_T5_mT6_P12ihipStream_tbENKUlT_T0_E_clISt17integral_constantIbLb0EESX_EEDaSS_ST_EUlSS_E_NS1_11comp_targetILNS1_3genE10ELNS1_11target_archE1201ELNS1_3gpuE5ELNS1_3repE0EEENS1_30default_config_static_selectorELNS0_4arch9wavefront6targetE1EEEvT1_,@function
_ZN7rocprim17ROCPRIM_400000_NS6detail17trampoline_kernelINS0_14default_configENS1_20scan_config_selectorIxEEZZNS1_9scan_implILNS1_25lookback_scan_determinismE0ELb1ELb1ES3_N6thrust23THRUST_200600_302600_NS6detail15normal_iteratorINS9_10device_ptrIxEEEENS9_16discard_iteratorINS9_11use_defaultEEEx11max_functorIxExEEDaPvRmT3_T4_T5_mT6_P12ihipStream_tbENKUlT_T0_E_clISt17integral_constantIbLb0EESX_EEDaSS_ST_EUlSS_E_NS1_11comp_targetILNS1_3genE10ELNS1_11target_archE1201ELNS1_3gpuE5ELNS1_3repE0EEENS1_30default_config_static_selectorELNS0_4arch9wavefront6targetE1EEEvT1_: ; @_ZN7rocprim17ROCPRIM_400000_NS6detail17trampoline_kernelINS0_14default_configENS1_20scan_config_selectorIxEEZZNS1_9scan_implILNS1_25lookback_scan_determinismE0ELb1ELb1ES3_N6thrust23THRUST_200600_302600_NS6detail15normal_iteratorINS9_10device_ptrIxEEEENS9_16discard_iteratorINS9_11use_defaultEEEx11max_functorIxExEEDaPvRmT3_T4_T5_mT6_P12ihipStream_tbENKUlT_T0_E_clISt17integral_constantIbLb0EESX_EEDaSS_ST_EUlSS_E_NS1_11comp_targetILNS1_3genE10ELNS1_11target_archE1201ELNS1_3gpuE5ELNS1_3repE0EEENS1_30default_config_static_selectorELNS0_4arch9wavefront6targetE1EEEvT1_
; %bb.0:
	.section	.rodata,"a",@progbits
	.p2align	6, 0x0
	.amdhsa_kernel _ZN7rocprim17ROCPRIM_400000_NS6detail17trampoline_kernelINS0_14default_configENS1_20scan_config_selectorIxEEZZNS1_9scan_implILNS1_25lookback_scan_determinismE0ELb1ELb1ES3_N6thrust23THRUST_200600_302600_NS6detail15normal_iteratorINS9_10device_ptrIxEEEENS9_16discard_iteratorINS9_11use_defaultEEEx11max_functorIxExEEDaPvRmT3_T4_T5_mT6_P12ihipStream_tbENKUlT_T0_E_clISt17integral_constantIbLb0EESX_EEDaSS_ST_EUlSS_E_NS1_11comp_targetILNS1_3genE10ELNS1_11target_archE1201ELNS1_3gpuE5ELNS1_3repE0EEENS1_30default_config_static_selectorELNS0_4arch9wavefront6targetE1EEEvT1_
		.amdhsa_group_segment_fixed_size 0
		.amdhsa_private_segment_fixed_size 0
		.amdhsa_kernarg_size 112
		.amdhsa_user_sgpr_count 6
		.amdhsa_user_sgpr_private_segment_buffer 1
		.amdhsa_user_sgpr_dispatch_ptr 0
		.amdhsa_user_sgpr_queue_ptr 0
		.amdhsa_user_sgpr_kernarg_segment_ptr 1
		.amdhsa_user_sgpr_dispatch_id 0
		.amdhsa_user_sgpr_flat_scratch_init 0
		.amdhsa_user_sgpr_kernarg_preload_length 0
		.amdhsa_user_sgpr_kernarg_preload_offset 0
		.amdhsa_user_sgpr_private_segment_size 0
		.amdhsa_uses_dynamic_stack 0
		.amdhsa_system_sgpr_private_segment_wavefront_offset 0
		.amdhsa_system_sgpr_workgroup_id_x 1
		.amdhsa_system_sgpr_workgroup_id_y 0
		.amdhsa_system_sgpr_workgroup_id_z 0
		.amdhsa_system_sgpr_workgroup_info 0
		.amdhsa_system_vgpr_workitem_id 0
		.amdhsa_next_free_vgpr 1
		.amdhsa_next_free_sgpr 0
		.amdhsa_accum_offset 4
		.amdhsa_reserve_vcc 0
		.amdhsa_reserve_flat_scratch 0
		.amdhsa_float_round_mode_32 0
		.amdhsa_float_round_mode_16_64 0
		.amdhsa_float_denorm_mode_32 3
		.amdhsa_float_denorm_mode_16_64 3
		.amdhsa_dx10_clamp 1
		.amdhsa_ieee_mode 1
		.amdhsa_fp16_overflow 0
		.amdhsa_tg_split 0
		.amdhsa_exception_fp_ieee_invalid_op 0
		.amdhsa_exception_fp_denorm_src 0
		.amdhsa_exception_fp_ieee_div_zero 0
		.amdhsa_exception_fp_ieee_overflow 0
		.amdhsa_exception_fp_ieee_underflow 0
		.amdhsa_exception_fp_ieee_inexact 0
		.amdhsa_exception_int_div_zero 0
	.end_amdhsa_kernel
	.section	.text._ZN7rocprim17ROCPRIM_400000_NS6detail17trampoline_kernelINS0_14default_configENS1_20scan_config_selectorIxEEZZNS1_9scan_implILNS1_25lookback_scan_determinismE0ELb1ELb1ES3_N6thrust23THRUST_200600_302600_NS6detail15normal_iteratorINS9_10device_ptrIxEEEENS9_16discard_iteratorINS9_11use_defaultEEEx11max_functorIxExEEDaPvRmT3_T4_T5_mT6_P12ihipStream_tbENKUlT_T0_E_clISt17integral_constantIbLb0EESX_EEDaSS_ST_EUlSS_E_NS1_11comp_targetILNS1_3genE10ELNS1_11target_archE1201ELNS1_3gpuE5ELNS1_3repE0EEENS1_30default_config_static_selectorELNS0_4arch9wavefront6targetE1EEEvT1_,"axG",@progbits,_ZN7rocprim17ROCPRIM_400000_NS6detail17trampoline_kernelINS0_14default_configENS1_20scan_config_selectorIxEEZZNS1_9scan_implILNS1_25lookback_scan_determinismE0ELb1ELb1ES3_N6thrust23THRUST_200600_302600_NS6detail15normal_iteratorINS9_10device_ptrIxEEEENS9_16discard_iteratorINS9_11use_defaultEEEx11max_functorIxExEEDaPvRmT3_T4_T5_mT6_P12ihipStream_tbENKUlT_T0_E_clISt17integral_constantIbLb0EESX_EEDaSS_ST_EUlSS_E_NS1_11comp_targetILNS1_3genE10ELNS1_11target_archE1201ELNS1_3gpuE5ELNS1_3repE0EEENS1_30default_config_static_selectorELNS0_4arch9wavefront6targetE1EEEvT1_,comdat
.Lfunc_end3787:
	.size	_ZN7rocprim17ROCPRIM_400000_NS6detail17trampoline_kernelINS0_14default_configENS1_20scan_config_selectorIxEEZZNS1_9scan_implILNS1_25lookback_scan_determinismE0ELb1ELb1ES3_N6thrust23THRUST_200600_302600_NS6detail15normal_iteratorINS9_10device_ptrIxEEEENS9_16discard_iteratorINS9_11use_defaultEEEx11max_functorIxExEEDaPvRmT3_T4_T5_mT6_P12ihipStream_tbENKUlT_T0_E_clISt17integral_constantIbLb0EESX_EEDaSS_ST_EUlSS_E_NS1_11comp_targetILNS1_3genE10ELNS1_11target_archE1201ELNS1_3gpuE5ELNS1_3repE0EEENS1_30default_config_static_selectorELNS0_4arch9wavefront6targetE1EEEvT1_, .Lfunc_end3787-_ZN7rocprim17ROCPRIM_400000_NS6detail17trampoline_kernelINS0_14default_configENS1_20scan_config_selectorIxEEZZNS1_9scan_implILNS1_25lookback_scan_determinismE0ELb1ELb1ES3_N6thrust23THRUST_200600_302600_NS6detail15normal_iteratorINS9_10device_ptrIxEEEENS9_16discard_iteratorINS9_11use_defaultEEEx11max_functorIxExEEDaPvRmT3_T4_T5_mT6_P12ihipStream_tbENKUlT_T0_E_clISt17integral_constantIbLb0EESX_EEDaSS_ST_EUlSS_E_NS1_11comp_targetILNS1_3genE10ELNS1_11target_archE1201ELNS1_3gpuE5ELNS1_3repE0EEENS1_30default_config_static_selectorELNS0_4arch9wavefront6targetE1EEEvT1_
                                        ; -- End function
	.section	.AMDGPU.csdata,"",@progbits
; Kernel info:
; codeLenInByte = 0
; NumSgprs: 4
; NumVgprs: 0
; NumAgprs: 0
; TotalNumVgprs: 0
; ScratchSize: 0
; MemoryBound: 0
; FloatMode: 240
; IeeeMode: 1
; LDSByteSize: 0 bytes/workgroup (compile time only)
; SGPRBlocks: 0
; VGPRBlocks: 0
; NumSGPRsForWavesPerEU: 4
; NumVGPRsForWavesPerEU: 1
; AccumOffset: 4
; Occupancy: 8
; WaveLimiterHint : 0
; COMPUTE_PGM_RSRC2:SCRATCH_EN: 0
; COMPUTE_PGM_RSRC2:USER_SGPR: 6
; COMPUTE_PGM_RSRC2:TRAP_HANDLER: 0
; COMPUTE_PGM_RSRC2:TGID_X_EN: 1
; COMPUTE_PGM_RSRC2:TGID_Y_EN: 0
; COMPUTE_PGM_RSRC2:TGID_Z_EN: 0
; COMPUTE_PGM_RSRC2:TIDIG_COMP_CNT: 0
; COMPUTE_PGM_RSRC3_GFX90A:ACCUM_OFFSET: 0
; COMPUTE_PGM_RSRC3_GFX90A:TG_SPLIT: 0
	.section	.text._ZN7rocprim17ROCPRIM_400000_NS6detail17trampoline_kernelINS0_14default_configENS1_20scan_config_selectorIxEEZZNS1_9scan_implILNS1_25lookback_scan_determinismE0ELb1ELb1ES3_N6thrust23THRUST_200600_302600_NS6detail15normal_iteratorINS9_10device_ptrIxEEEENS9_16discard_iteratorINS9_11use_defaultEEEx11max_functorIxExEEDaPvRmT3_T4_T5_mT6_P12ihipStream_tbENKUlT_T0_E_clISt17integral_constantIbLb0EESX_EEDaSS_ST_EUlSS_E_NS1_11comp_targetILNS1_3genE10ELNS1_11target_archE1200ELNS1_3gpuE4ELNS1_3repE0EEENS1_30default_config_static_selectorELNS0_4arch9wavefront6targetE1EEEvT1_,"axG",@progbits,_ZN7rocprim17ROCPRIM_400000_NS6detail17trampoline_kernelINS0_14default_configENS1_20scan_config_selectorIxEEZZNS1_9scan_implILNS1_25lookback_scan_determinismE0ELb1ELb1ES3_N6thrust23THRUST_200600_302600_NS6detail15normal_iteratorINS9_10device_ptrIxEEEENS9_16discard_iteratorINS9_11use_defaultEEEx11max_functorIxExEEDaPvRmT3_T4_T5_mT6_P12ihipStream_tbENKUlT_T0_E_clISt17integral_constantIbLb0EESX_EEDaSS_ST_EUlSS_E_NS1_11comp_targetILNS1_3genE10ELNS1_11target_archE1200ELNS1_3gpuE4ELNS1_3repE0EEENS1_30default_config_static_selectorELNS0_4arch9wavefront6targetE1EEEvT1_,comdat
	.protected	_ZN7rocprim17ROCPRIM_400000_NS6detail17trampoline_kernelINS0_14default_configENS1_20scan_config_selectorIxEEZZNS1_9scan_implILNS1_25lookback_scan_determinismE0ELb1ELb1ES3_N6thrust23THRUST_200600_302600_NS6detail15normal_iteratorINS9_10device_ptrIxEEEENS9_16discard_iteratorINS9_11use_defaultEEEx11max_functorIxExEEDaPvRmT3_T4_T5_mT6_P12ihipStream_tbENKUlT_T0_E_clISt17integral_constantIbLb0EESX_EEDaSS_ST_EUlSS_E_NS1_11comp_targetILNS1_3genE10ELNS1_11target_archE1200ELNS1_3gpuE4ELNS1_3repE0EEENS1_30default_config_static_selectorELNS0_4arch9wavefront6targetE1EEEvT1_ ; -- Begin function _ZN7rocprim17ROCPRIM_400000_NS6detail17trampoline_kernelINS0_14default_configENS1_20scan_config_selectorIxEEZZNS1_9scan_implILNS1_25lookback_scan_determinismE0ELb1ELb1ES3_N6thrust23THRUST_200600_302600_NS6detail15normal_iteratorINS9_10device_ptrIxEEEENS9_16discard_iteratorINS9_11use_defaultEEEx11max_functorIxExEEDaPvRmT3_T4_T5_mT6_P12ihipStream_tbENKUlT_T0_E_clISt17integral_constantIbLb0EESX_EEDaSS_ST_EUlSS_E_NS1_11comp_targetILNS1_3genE10ELNS1_11target_archE1200ELNS1_3gpuE4ELNS1_3repE0EEENS1_30default_config_static_selectorELNS0_4arch9wavefront6targetE1EEEvT1_
	.globl	_ZN7rocprim17ROCPRIM_400000_NS6detail17trampoline_kernelINS0_14default_configENS1_20scan_config_selectorIxEEZZNS1_9scan_implILNS1_25lookback_scan_determinismE0ELb1ELb1ES3_N6thrust23THRUST_200600_302600_NS6detail15normal_iteratorINS9_10device_ptrIxEEEENS9_16discard_iteratorINS9_11use_defaultEEEx11max_functorIxExEEDaPvRmT3_T4_T5_mT6_P12ihipStream_tbENKUlT_T0_E_clISt17integral_constantIbLb0EESX_EEDaSS_ST_EUlSS_E_NS1_11comp_targetILNS1_3genE10ELNS1_11target_archE1200ELNS1_3gpuE4ELNS1_3repE0EEENS1_30default_config_static_selectorELNS0_4arch9wavefront6targetE1EEEvT1_
	.p2align	8
	.type	_ZN7rocprim17ROCPRIM_400000_NS6detail17trampoline_kernelINS0_14default_configENS1_20scan_config_selectorIxEEZZNS1_9scan_implILNS1_25lookback_scan_determinismE0ELb1ELb1ES3_N6thrust23THRUST_200600_302600_NS6detail15normal_iteratorINS9_10device_ptrIxEEEENS9_16discard_iteratorINS9_11use_defaultEEEx11max_functorIxExEEDaPvRmT3_T4_T5_mT6_P12ihipStream_tbENKUlT_T0_E_clISt17integral_constantIbLb0EESX_EEDaSS_ST_EUlSS_E_NS1_11comp_targetILNS1_3genE10ELNS1_11target_archE1200ELNS1_3gpuE4ELNS1_3repE0EEENS1_30default_config_static_selectorELNS0_4arch9wavefront6targetE1EEEvT1_,@function
_ZN7rocprim17ROCPRIM_400000_NS6detail17trampoline_kernelINS0_14default_configENS1_20scan_config_selectorIxEEZZNS1_9scan_implILNS1_25lookback_scan_determinismE0ELb1ELb1ES3_N6thrust23THRUST_200600_302600_NS6detail15normal_iteratorINS9_10device_ptrIxEEEENS9_16discard_iteratorINS9_11use_defaultEEEx11max_functorIxExEEDaPvRmT3_T4_T5_mT6_P12ihipStream_tbENKUlT_T0_E_clISt17integral_constantIbLb0EESX_EEDaSS_ST_EUlSS_E_NS1_11comp_targetILNS1_3genE10ELNS1_11target_archE1200ELNS1_3gpuE4ELNS1_3repE0EEENS1_30default_config_static_selectorELNS0_4arch9wavefront6targetE1EEEvT1_: ; @_ZN7rocprim17ROCPRIM_400000_NS6detail17trampoline_kernelINS0_14default_configENS1_20scan_config_selectorIxEEZZNS1_9scan_implILNS1_25lookback_scan_determinismE0ELb1ELb1ES3_N6thrust23THRUST_200600_302600_NS6detail15normal_iteratorINS9_10device_ptrIxEEEENS9_16discard_iteratorINS9_11use_defaultEEEx11max_functorIxExEEDaPvRmT3_T4_T5_mT6_P12ihipStream_tbENKUlT_T0_E_clISt17integral_constantIbLb0EESX_EEDaSS_ST_EUlSS_E_NS1_11comp_targetILNS1_3genE10ELNS1_11target_archE1200ELNS1_3gpuE4ELNS1_3repE0EEENS1_30default_config_static_selectorELNS0_4arch9wavefront6targetE1EEEvT1_
; %bb.0:
	.section	.rodata,"a",@progbits
	.p2align	6, 0x0
	.amdhsa_kernel _ZN7rocprim17ROCPRIM_400000_NS6detail17trampoline_kernelINS0_14default_configENS1_20scan_config_selectorIxEEZZNS1_9scan_implILNS1_25lookback_scan_determinismE0ELb1ELb1ES3_N6thrust23THRUST_200600_302600_NS6detail15normal_iteratorINS9_10device_ptrIxEEEENS9_16discard_iteratorINS9_11use_defaultEEEx11max_functorIxExEEDaPvRmT3_T4_T5_mT6_P12ihipStream_tbENKUlT_T0_E_clISt17integral_constantIbLb0EESX_EEDaSS_ST_EUlSS_E_NS1_11comp_targetILNS1_3genE10ELNS1_11target_archE1200ELNS1_3gpuE4ELNS1_3repE0EEENS1_30default_config_static_selectorELNS0_4arch9wavefront6targetE1EEEvT1_
		.amdhsa_group_segment_fixed_size 0
		.amdhsa_private_segment_fixed_size 0
		.amdhsa_kernarg_size 112
		.amdhsa_user_sgpr_count 6
		.amdhsa_user_sgpr_private_segment_buffer 1
		.amdhsa_user_sgpr_dispatch_ptr 0
		.amdhsa_user_sgpr_queue_ptr 0
		.amdhsa_user_sgpr_kernarg_segment_ptr 1
		.amdhsa_user_sgpr_dispatch_id 0
		.amdhsa_user_sgpr_flat_scratch_init 0
		.amdhsa_user_sgpr_kernarg_preload_length 0
		.amdhsa_user_sgpr_kernarg_preload_offset 0
		.amdhsa_user_sgpr_private_segment_size 0
		.amdhsa_uses_dynamic_stack 0
		.amdhsa_system_sgpr_private_segment_wavefront_offset 0
		.amdhsa_system_sgpr_workgroup_id_x 1
		.amdhsa_system_sgpr_workgroup_id_y 0
		.amdhsa_system_sgpr_workgroup_id_z 0
		.amdhsa_system_sgpr_workgroup_info 0
		.amdhsa_system_vgpr_workitem_id 0
		.amdhsa_next_free_vgpr 1
		.amdhsa_next_free_sgpr 0
		.amdhsa_accum_offset 4
		.amdhsa_reserve_vcc 0
		.amdhsa_reserve_flat_scratch 0
		.amdhsa_float_round_mode_32 0
		.amdhsa_float_round_mode_16_64 0
		.amdhsa_float_denorm_mode_32 3
		.amdhsa_float_denorm_mode_16_64 3
		.amdhsa_dx10_clamp 1
		.amdhsa_ieee_mode 1
		.amdhsa_fp16_overflow 0
		.amdhsa_tg_split 0
		.amdhsa_exception_fp_ieee_invalid_op 0
		.amdhsa_exception_fp_denorm_src 0
		.amdhsa_exception_fp_ieee_div_zero 0
		.amdhsa_exception_fp_ieee_overflow 0
		.amdhsa_exception_fp_ieee_underflow 0
		.amdhsa_exception_fp_ieee_inexact 0
		.amdhsa_exception_int_div_zero 0
	.end_amdhsa_kernel
	.section	.text._ZN7rocprim17ROCPRIM_400000_NS6detail17trampoline_kernelINS0_14default_configENS1_20scan_config_selectorIxEEZZNS1_9scan_implILNS1_25lookback_scan_determinismE0ELb1ELb1ES3_N6thrust23THRUST_200600_302600_NS6detail15normal_iteratorINS9_10device_ptrIxEEEENS9_16discard_iteratorINS9_11use_defaultEEEx11max_functorIxExEEDaPvRmT3_T4_T5_mT6_P12ihipStream_tbENKUlT_T0_E_clISt17integral_constantIbLb0EESX_EEDaSS_ST_EUlSS_E_NS1_11comp_targetILNS1_3genE10ELNS1_11target_archE1200ELNS1_3gpuE4ELNS1_3repE0EEENS1_30default_config_static_selectorELNS0_4arch9wavefront6targetE1EEEvT1_,"axG",@progbits,_ZN7rocprim17ROCPRIM_400000_NS6detail17trampoline_kernelINS0_14default_configENS1_20scan_config_selectorIxEEZZNS1_9scan_implILNS1_25lookback_scan_determinismE0ELb1ELb1ES3_N6thrust23THRUST_200600_302600_NS6detail15normal_iteratorINS9_10device_ptrIxEEEENS9_16discard_iteratorINS9_11use_defaultEEEx11max_functorIxExEEDaPvRmT3_T4_T5_mT6_P12ihipStream_tbENKUlT_T0_E_clISt17integral_constantIbLb0EESX_EEDaSS_ST_EUlSS_E_NS1_11comp_targetILNS1_3genE10ELNS1_11target_archE1200ELNS1_3gpuE4ELNS1_3repE0EEENS1_30default_config_static_selectorELNS0_4arch9wavefront6targetE1EEEvT1_,comdat
.Lfunc_end3788:
	.size	_ZN7rocprim17ROCPRIM_400000_NS6detail17trampoline_kernelINS0_14default_configENS1_20scan_config_selectorIxEEZZNS1_9scan_implILNS1_25lookback_scan_determinismE0ELb1ELb1ES3_N6thrust23THRUST_200600_302600_NS6detail15normal_iteratorINS9_10device_ptrIxEEEENS9_16discard_iteratorINS9_11use_defaultEEEx11max_functorIxExEEDaPvRmT3_T4_T5_mT6_P12ihipStream_tbENKUlT_T0_E_clISt17integral_constantIbLb0EESX_EEDaSS_ST_EUlSS_E_NS1_11comp_targetILNS1_3genE10ELNS1_11target_archE1200ELNS1_3gpuE4ELNS1_3repE0EEENS1_30default_config_static_selectorELNS0_4arch9wavefront6targetE1EEEvT1_, .Lfunc_end3788-_ZN7rocprim17ROCPRIM_400000_NS6detail17trampoline_kernelINS0_14default_configENS1_20scan_config_selectorIxEEZZNS1_9scan_implILNS1_25lookback_scan_determinismE0ELb1ELb1ES3_N6thrust23THRUST_200600_302600_NS6detail15normal_iteratorINS9_10device_ptrIxEEEENS9_16discard_iteratorINS9_11use_defaultEEEx11max_functorIxExEEDaPvRmT3_T4_T5_mT6_P12ihipStream_tbENKUlT_T0_E_clISt17integral_constantIbLb0EESX_EEDaSS_ST_EUlSS_E_NS1_11comp_targetILNS1_3genE10ELNS1_11target_archE1200ELNS1_3gpuE4ELNS1_3repE0EEENS1_30default_config_static_selectorELNS0_4arch9wavefront6targetE1EEEvT1_
                                        ; -- End function
	.section	.AMDGPU.csdata,"",@progbits
; Kernel info:
; codeLenInByte = 0
; NumSgprs: 4
; NumVgprs: 0
; NumAgprs: 0
; TotalNumVgprs: 0
; ScratchSize: 0
; MemoryBound: 0
; FloatMode: 240
; IeeeMode: 1
; LDSByteSize: 0 bytes/workgroup (compile time only)
; SGPRBlocks: 0
; VGPRBlocks: 0
; NumSGPRsForWavesPerEU: 4
; NumVGPRsForWavesPerEU: 1
; AccumOffset: 4
; Occupancy: 8
; WaveLimiterHint : 0
; COMPUTE_PGM_RSRC2:SCRATCH_EN: 0
; COMPUTE_PGM_RSRC2:USER_SGPR: 6
; COMPUTE_PGM_RSRC2:TRAP_HANDLER: 0
; COMPUTE_PGM_RSRC2:TGID_X_EN: 1
; COMPUTE_PGM_RSRC2:TGID_Y_EN: 0
; COMPUTE_PGM_RSRC2:TGID_Z_EN: 0
; COMPUTE_PGM_RSRC2:TIDIG_COMP_CNT: 0
; COMPUTE_PGM_RSRC3_GFX90A:ACCUM_OFFSET: 0
; COMPUTE_PGM_RSRC3_GFX90A:TG_SPLIT: 0
	.section	.text._ZN7rocprim17ROCPRIM_400000_NS6detail17trampoline_kernelINS0_14default_configENS1_20scan_config_selectorIxEEZZNS1_9scan_implILNS1_25lookback_scan_determinismE0ELb1ELb1ES3_N6thrust23THRUST_200600_302600_NS6detail15normal_iteratorINS9_10device_ptrIxEEEENS9_16discard_iteratorINS9_11use_defaultEEEx11max_functorIxExEEDaPvRmT3_T4_T5_mT6_P12ihipStream_tbENKUlT_T0_E_clISt17integral_constantIbLb0EESX_EEDaSS_ST_EUlSS_E_NS1_11comp_targetILNS1_3genE9ELNS1_11target_archE1100ELNS1_3gpuE3ELNS1_3repE0EEENS1_30default_config_static_selectorELNS0_4arch9wavefront6targetE1EEEvT1_,"axG",@progbits,_ZN7rocprim17ROCPRIM_400000_NS6detail17trampoline_kernelINS0_14default_configENS1_20scan_config_selectorIxEEZZNS1_9scan_implILNS1_25lookback_scan_determinismE0ELb1ELb1ES3_N6thrust23THRUST_200600_302600_NS6detail15normal_iteratorINS9_10device_ptrIxEEEENS9_16discard_iteratorINS9_11use_defaultEEEx11max_functorIxExEEDaPvRmT3_T4_T5_mT6_P12ihipStream_tbENKUlT_T0_E_clISt17integral_constantIbLb0EESX_EEDaSS_ST_EUlSS_E_NS1_11comp_targetILNS1_3genE9ELNS1_11target_archE1100ELNS1_3gpuE3ELNS1_3repE0EEENS1_30default_config_static_selectorELNS0_4arch9wavefront6targetE1EEEvT1_,comdat
	.protected	_ZN7rocprim17ROCPRIM_400000_NS6detail17trampoline_kernelINS0_14default_configENS1_20scan_config_selectorIxEEZZNS1_9scan_implILNS1_25lookback_scan_determinismE0ELb1ELb1ES3_N6thrust23THRUST_200600_302600_NS6detail15normal_iteratorINS9_10device_ptrIxEEEENS9_16discard_iteratorINS9_11use_defaultEEEx11max_functorIxExEEDaPvRmT3_T4_T5_mT6_P12ihipStream_tbENKUlT_T0_E_clISt17integral_constantIbLb0EESX_EEDaSS_ST_EUlSS_E_NS1_11comp_targetILNS1_3genE9ELNS1_11target_archE1100ELNS1_3gpuE3ELNS1_3repE0EEENS1_30default_config_static_selectorELNS0_4arch9wavefront6targetE1EEEvT1_ ; -- Begin function _ZN7rocprim17ROCPRIM_400000_NS6detail17trampoline_kernelINS0_14default_configENS1_20scan_config_selectorIxEEZZNS1_9scan_implILNS1_25lookback_scan_determinismE0ELb1ELb1ES3_N6thrust23THRUST_200600_302600_NS6detail15normal_iteratorINS9_10device_ptrIxEEEENS9_16discard_iteratorINS9_11use_defaultEEEx11max_functorIxExEEDaPvRmT3_T4_T5_mT6_P12ihipStream_tbENKUlT_T0_E_clISt17integral_constantIbLb0EESX_EEDaSS_ST_EUlSS_E_NS1_11comp_targetILNS1_3genE9ELNS1_11target_archE1100ELNS1_3gpuE3ELNS1_3repE0EEENS1_30default_config_static_selectorELNS0_4arch9wavefront6targetE1EEEvT1_
	.globl	_ZN7rocprim17ROCPRIM_400000_NS6detail17trampoline_kernelINS0_14default_configENS1_20scan_config_selectorIxEEZZNS1_9scan_implILNS1_25lookback_scan_determinismE0ELb1ELb1ES3_N6thrust23THRUST_200600_302600_NS6detail15normal_iteratorINS9_10device_ptrIxEEEENS9_16discard_iteratorINS9_11use_defaultEEEx11max_functorIxExEEDaPvRmT3_T4_T5_mT6_P12ihipStream_tbENKUlT_T0_E_clISt17integral_constantIbLb0EESX_EEDaSS_ST_EUlSS_E_NS1_11comp_targetILNS1_3genE9ELNS1_11target_archE1100ELNS1_3gpuE3ELNS1_3repE0EEENS1_30default_config_static_selectorELNS0_4arch9wavefront6targetE1EEEvT1_
	.p2align	8
	.type	_ZN7rocprim17ROCPRIM_400000_NS6detail17trampoline_kernelINS0_14default_configENS1_20scan_config_selectorIxEEZZNS1_9scan_implILNS1_25lookback_scan_determinismE0ELb1ELb1ES3_N6thrust23THRUST_200600_302600_NS6detail15normal_iteratorINS9_10device_ptrIxEEEENS9_16discard_iteratorINS9_11use_defaultEEEx11max_functorIxExEEDaPvRmT3_T4_T5_mT6_P12ihipStream_tbENKUlT_T0_E_clISt17integral_constantIbLb0EESX_EEDaSS_ST_EUlSS_E_NS1_11comp_targetILNS1_3genE9ELNS1_11target_archE1100ELNS1_3gpuE3ELNS1_3repE0EEENS1_30default_config_static_selectorELNS0_4arch9wavefront6targetE1EEEvT1_,@function
_ZN7rocprim17ROCPRIM_400000_NS6detail17trampoline_kernelINS0_14default_configENS1_20scan_config_selectorIxEEZZNS1_9scan_implILNS1_25lookback_scan_determinismE0ELb1ELb1ES3_N6thrust23THRUST_200600_302600_NS6detail15normal_iteratorINS9_10device_ptrIxEEEENS9_16discard_iteratorINS9_11use_defaultEEEx11max_functorIxExEEDaPvRmT3_T4_T5_mT6_P12ihipStream_tbENKUlT_T0_E_clISt17integral_constantIbLb0EESX_EEDaSS_ST_EUlSS_E_NS1_11comp_targetILNS1_3genE9ELNS1_11target_archE1100ELNS1_3gpuE3ELNS1_3repE0EEENS1_30default_config_static_selectorELNS0_4arch9wavefront6targetE1EEEvT1_: ; @_ZN7rocprim17ROCPRIM_400000_NS6detail17trampoline_kernelINS0_14default_configENS1_20scan_config_selectorIxEEZZNS1_9scan_implILNS1_25lookback_scan_determinismE0ELb1ELb1ES3_N6thrust23THRUST_200600_302600_NS6detail15normal_iteratorINS9_10device_ptrIxEEEENS9_16discard_iteratorINS9_11use_defaultEEEx11max_functorIxExEEDaPvRmT3_T4_T5_mT6_P12ihipStream_tbENKUlT_T0_E_clISt17integral_constantIbLb0EESX_EEDaSS_ST_EUlSS_E_NS1_11comp_targetILNS1_3genE9ELNS1_11target_archE1100ELNS1_3gpuE3ELNS1_3repE0EEENS1_30default_config_static_selectorELNS0_4arch9wavefront6targetE1EEEvT1_
; %bb.0:
	.section	.rodata,"a",@progbits
	.p2align	6, 0x0
	.amdhsa_kernel _ZN7rocprim17ROCPRIM_400000_NS6detail17trampoline_kernelINS0_14default_configENS1_20scan_config_selectorIxEEZZNS1_9scan_implILNS1_25lookback_scan_determinismE0ELb1ELb1ES3_N6thrust23THRUST_200600_302600_NS6detail15normal_iteratorINS9_10device_ptrIxEEEENS9_16discard_iteratorINS9_11use_defaultEEEx11max_functorIxExEEDaPvRmT3_T4_T5_mT6_P12ihipStream_tbENKUlT_T0_E_clISt17integral_constantIbLb0EESX_EEDaSS_ST_EUlSS_E_NS1_11comp_targetILNS1_3genE9ELNS1_11target_archE1100ELNS1_3gpuE3ELNS1_3repE0EEENS1_30default_config_static_selectorELNS0_4arch9wavefront6targetE1EEEvT1_
		.amdhsa_group_segment_fixed_size 0
		.amdhsa_private_segment_fixed_size 0
		.amdhsa_kernarg_size 112
		.amdhsa_user_sgpr_count 6
		.amdhsa_user_sgpr_private_segment_buffer 1
		.amdhsa_user_sgpr_dispatch_ptr 0
		.amdhsa_user_sgpr_queue_ptr 0
		.amdhsa_user_sgpr_kernarg_segment_ptr 1
		.amdhsa_user_sgpr_dispatch_id 0
		.amdhsa_user_sgpr_flat_scratch_init 0
		.amdhsa_user_sgpr_kernarg_preload_length 0
		.amdhsa_user_sgpr_kernarg_preload_offset 0
		.amdhsa_user_sgpr_private_segment_size 0
		.amdhsa_uses_dynamic_stack 0
		.amdhsa_system_sgpr_private_segment_wavefront_offset 0
		.amdhsa_system_sgpr_workgroup_id_x 1
		.amdhsa_system_sgpr_workgroup_id_y 0
		.amdhsa_system_sgpr_workgroup_id_z 0
		.amdhsa_system_sgpr_workgroup_info 0
		.amdhsa_system_vgpr_workitem_id 0
		.amdhsa_next_free_vgpr 1
		.amdhsa_next_free_sgpr 0
		.amdhsa_accum_offset 4
		.amdhsa_reserve_vcc 0
		.amdhsa_reserve_flat_scratch 0
		.amdhsa_float_round_mode_32 0
		.amdhsa_float_round_mode_16_64 0
		.amdhsa_float_denorm_mode_32 3
		.amdhsa_float_denorm_mode_16_64 3
		.amdhsa_dx10_clamp 1
		.amdhsa_ieee_mode 1
		.amdhsa_fp16_overflow 0
		.amdhsa_tg_split 0
		.amdhsa_exception_fp_ieee_invalid_op 0
		.amdhsa_exception_fp_denorm_src 0
		.amdhsa_exception_fp_ieee_div_zero 0
		.amdhsa_exception_fp_ieee_overflow 0
		.amdhsa_exception_fp_ieee_underflow 0
		.amdhsa_exception_fp_ieee_inexact 0
		.amdhsa_exception_int_div_zero 0
	.end_amdhsa_kernel
	.section	.text._ZN7rocprim17ROCPRIM_400000_NS6detail17trampoline_kernelINS0_14default_configENS1_20scan_config_selectorIxEEZZNS1_9scan_implILNS1_25lookback_scan_determinismE0ELb1ELb1ES3_N6thrust23THRUST_200600_302600_NS6detail15normal_iteratorINS9_10device_ptrIxEEEENS9_16discard_iteratorINS9_11use_defaultEEEx11max_functorIxExEEDaPvRmT3_T4_T5_mT6_P12ihipStream_tbENKUlT_T0_E_clISt17integral_constantIbLb0EESX_EEDaSS_ST_EUlSS_E_NS1_11comp_targetILNS1_3genE9ELNS1_11target_archE1100ELNS1_3gpuE3ELNS1_3repE0EEENS1_30default_config_static_selectorELNS0_4arch9wavefront6targetE1EEEvT1_,"axG",@progbits,_ZN7rocprim17ROCPRIM_400000_NS6detail17trampoline_kernelINS0_14default_configENS1_20scan_config_selectorIxEEZZNS1_9scan_implILNS1_25lookback_scan_determinismE0ELb1ELb1ES3_N6thrust23THRUST_200600_302600_NS6detail15normal_iteratorINS9_10device_ptrIxEEEENS9_16discard_iteratorINS9_11use_defaultEEEx11max_functorIxExEEDaPvRmT3_T4_T5_mT6_P12ihipStream_tbENKUlT_T0_E_clISt17integral_constantIbLb0EESX_EEDaSS_ST_EUlSS_E_NS1_11comp_targetILNS1_3genE9ELNS1_11target_archE1100ELNS1_3gpuE3ELNS1_3repE0EEENS1_30default_config_static_selectorELNS0_4arch9wavefront6targetE1EEEvT1_,comdat
.Lfunc_end3789:
	.size	_ZN7rocprim17ROCPRIM_400000_NS6detail17trampoline_kernelINS0_14default_configENS1_20scan_config_selectorIxEEZZNS1_9scan_implILNS1_25lookback_scan_determinismE0ELb1ELb1ES3_N6thrust23THRUST_200600_302600_NS6detail15normal_iteratorINS9_10device_ptrIxEEEENS9_16discard_iteratorINS9_11use_defaultEEEx11max_functorIxExEEDaPvRmT3_T4_T5_mT6_P12ihipStream_tbENKUlT_T0_E_clISt17integral_constantIbLb0EESX_EEDaSS_ST_EUlSS_E_NS1_11comp_targetILNS1_3genE9ELNS1_11target_archE1100ELNS1_3gpuE3ELNS1_3repE0EEENS1_30default_config_static_selectorELNS0_4arch9wavefront6targetE1EEEvT1_, .Lfunc_end3789-_ZN7rocprim17ROCPRIM_400000_NS6detail17trampoline_kernelINS0_14default_configENS1_20scan_config_selectorIxEEZZNS1_9scan_implILNS1_25lookback_scan_determinismE0ELb1ELb1ES3_N6thrust23THRUST_200600_302600_NS6detail15normal_iteratorINS9_10device_ptrIxEEEENS9_16discard_iteratorINS9_11use_defaultEEEx11max_functorIxExEEDaPvRmT3_T4_T5_mT6_P12ihipStream_tbENKUlT_T0_E_clISt17integral_constantIbLb0EESX_EEDaSS_ST_EUlSS_E_NS1_11comp_targetILNS1_3genE9ELNS1_11target_archE1100ELNS1_3gpuE3ELNS1_3repE0EEENS1_30default_config_static_selectorELNS0_4arch9wavefront6targetE1EEEvT1_
                                        ; -- End function
	.section	.AMDGPU.csdata,"",@progbits
; Kernel info:
; codeLenInByte = 0
; NumSgprs: 4
; NumVgprs: 0
; NumAgprs: 0
; TotalNumVgprs: 0
; ScratchSize: 0
; MemoryBound: 0
; FloatMode: 240
; IeeeMode: 1
; LDSByteSize: 0 bytes/workgroup (compile time only)
; SGPRBlocks: 0
; VGPRBlocks: 0
; NumSGPRsForWavesPerEU: 4
; NumVGPRsForWavesPerEU: 1
; AccumOffset: 4
; Occupancy: 8
; WaveLimiterHint : 0
; COMPUTE_PGM_RSRC2:SCRATCH_EN: 0
; COMPUTE_PGM_RSRC2:USER_SGPR: 6
; COMPUTE_PGM_RSRC2:TRAP_HANDLER: 0
; COMPUTE_PGM_RSRC2:TGID_X_EN: 1
; COMPUTE_PGM_RSRC2:TGID_Y_EN: 0
; COMPUTE_PGM_RSRC2:TGID_Z_EN: 0
; COMPUTE_PGM_RSRC2:TIDIG_COMP_CNT: 0
; COMPUTE_PGM_RSRC3_GFX90A:ACCUM_OFFSET: 0
; COMPUTE_PGM_RSRC3_GFX90A:TG_SPLIT: 0
	.section	.text._ZN7rocprim17ROCPRIM_400000_NS6detail17trampoline_kernelINS0_14default_configENS1_20scan_config_selectorIxEEZZNS1_9scan_implILNS1_25lookback_scan_determinismE0ELb1ELb1ES3_N6thrust23THRUST_200600_302600_NS6detail15normal_iteratorINS9_10device_ptrIxEEEENS9_16discard_iteratorINS9_11use_defaultEEEx11max_functorIxExEEDaPvRmT3_T4_T5_mT6_P12ihipStream_tbENKUlT_T0_E_clISt17integral_constantIbLb0EESX_EEDaSS_ST_EUlSS_E_NS1_11comp_targetILNS1_3genE8ELNS1_11target_archE1030ELNS1_3gpuE2ELNS1_3repE0EEENS1_30default_config_static_selectorELNS0_4arch9wavefront6targetE1EEEvT1_,"axG",@progbits,_ZN7rocprim17ROCPRIM_400000_NS6detail17trampoline_kernelINS0_14default_configENS1_20scan_config_selectorIxEEZZNS1_9scan_implILNS1_25lookback_scan_determinismE0ELb1ELb1ES3_N6thrust23THRUST_200600_302600_NS6detail15normal_iteratorINS9_10device_ptrIxEEEENS9_16discard_iteratorINS9_11use_defaultEEEx11max_functorIxExEEDaPvRmT3_T4_T5_mT6_P12ihipStream_tbENKUlT_T0_E_clISt17integral_constantIbLb0EESX_EEDaSS_ST_EUlSS_E_NS1_11comp_targetILNS1_3genE8ELNS1_11target_archE1030ELNS1_3gpuE2ELNS1_3repE0EEENS1_30default_config_static_selectorELNS0_4arch9wavefront6targetE1EEEvT1_,comdat
	.protected	_ZN7rocprim17ROCPRIM_400000_NS6detail17trampoline_kernelINS0_14default_configENS1_20scan_config_selectorIxEEZZNS1_9scan_implILNS1_25lookback_scan_determinismE0ELb1ELb1ES3_N6thrust23THRUST_200600_302600_NS6detail15normal_iteratorINS9_10device_ptrIxEEEENS9_16discard_iteratorINS9_11use_defaultEEEx11max_functorIxExEEDaPvRmT3_T4_T5_mT6_P12ihipStream_tbENKUlT_T0_E_clISt17integral_constantIbLb0EESX_EEDaSS_ST_EUlSS_E_NS1_11comp_targetILNS1_3genE8ELNS1_11target_archE1030ELNS1_3gpuE2ELNS1_3repE0EEENS1_30default_config_static_selectorELNS0_4arch9wavefront6targetE1EEEvT1_ ; -- Begin function _ZN7rocprim17ROCPRIM_400000_NS6detail17trampoline_kernelINS0_14default_configENS1_20scan_config_selectorIxEEZZNS1_9scan_implILNS1_25lookback_scan_determinismE0ELb1ELb1ES3_N6thrust23THRUST_200600_302600_NS6detail15normal_iteratorINS9_10device_ptrIxEEEENS9_16discard_iteratorINS9_11use_defaultEEEx11max_functorIxExEEDaPvRmT3_T4_T5_mT6_P12ihipStream_tbENKUlT_T0_E_clISt17integral_constantIbLb0EESX_EEDaSS_ST_EUlSS_E_NS1_11comp_targetILNS1_3genE8ELNS1_11target_archE1030ELNS1_3gpuE2ELNS1_3repE0EEENS1_30default_config_static_selectorELNS0_4arch9wavefront6targetE1EEEvT1_
	.globl	_ZN7rocprim17ROCPRIM_400000_NS6detail17trampoline_kernelINS0_14default_configENS1_20scan_config_selectorIxEEZZNS1_9scan_implILNS1_25lookback_scan_determinismE0ELb1ELb1ES3_N6thrust23THRUST_200600_302600_NS6detail15normal_iteratorINS9_10device_ptrIxEEEENS9_16discard_iteratorINS9_11use_defaultEEEx11max_functorIxExEEDaPvRmT3_T4_T5_mT6_P12ihipStream_tbENKUlT_T0_E_clISt17integral_constantIbLb0EESX_EEDaSS_ST_EUlSS_E_NS1_11comp_targetILNS1_3genE8ELNS1_11target_archE1030ELNS1_3gpuE2ELNS1_3repE0EEENS1_30default_config_static_selectorELNS0_4arch9wavefront6targetE1EEEvT1_
	.p2align	8
	.type	_ZN7rocprim17ROCPRIM_400000_NS6detail17trampoline_kernelINS0_14default_configENS1_20scan_config_selectorIxEEZZNS1_9scan_implILNS1_25lookback_scan_determinismE0ELb1ELb1ES3_N6thrust23THRUST_200600_302600_NS6detail15normal_iteratorINS9_10device_ptrIxEEEENS9_16discard_iteratorINS9_11use_defaultEEEx11max_functorIxExEEDaPvRmT3_T4_T5_mT6_P12ihipStream_tbENKUlT_T0_E_clISt17integral_constantIbLb0EESX_EEDaSS_ST_EUlSS_E_NS1_11comp_targetILNS1_3genE8ELNS1_11target_archE1030ELNS1_3gpuE2ELNS1_3repE0EEENS1_30default_config_static_selectorELNS0_4arch9wavefront6targetE1EEEvT1_,@function
_ZN7rocprim17ROCPRIM_400000_NS6detail17trampoline_kernelINS0_14default_configENS1_20scan_config_selectorIxEEZZNS1_9scan_implILNS1_25lookback_scan_determinismE0ELb1ELb1ES3_N6thrust23THRUST_200600_302600_NS6detail15normal_iteratorINS9_10device_ptrIxEEEENS9_16discard_iteratorINS9_11use_defaultEEEx11max_functorIxExEEDaPvRmT3_T4_T5_mT6_P12ihipStream_tbENKUlT_T0_E_clISt17integral_constantIbLb0EESX_EEDaSS_ST_EUlSS_E_NS1_11comp_targetILNS1_3genE8ELNS1_11target_archE1030ELNS1_3gpuE2ELNS1_3repE0EEENS1_30default_config_static_selectorELNS0_4arch9wavefront6targetE1EEEvT1_: ; @_ZN7rocprim17ROCPRIM_400000_NS6detail17trampoline_kernelINS0_14default_configENS1_20scan_config_selectorIxEEZZNS1_9scan_implILNS1_25lookback_scan_determinismE0ELb1ELb1ES3_N6thrust23THRUST_200600_302600_NS6detail15normal_iteratorINS9_10device_ptrIxEEEENS9_16discard_iteratorINS9_11use_defaultEEEx11max_functorIxExEEDaPvRmT3_T4_T5_mT6_P12ihipStream_tbENKUlT_T0_E_clISt17integral_constantIbLb0EESX_EEDaSS_ST_EUlSS_E_NS1_11comp_targetILNS1_3genE8ELNS1_11target_archE1030ELNS1_3gpuE2ELNS1_3repE0EEENS1_30default_config_static_selectorELNS0_4arch9wavefront6targetE1EEEvT1_
; %bb.0:
	.section	.rodata,"a",@progbits
	.p2align	6, 0x0
	.amdhsa_kernel _ZN7rocprim17ROCPRIM_400000_NS6detail17trampoline_kernelINS0_14default_configENS1_20scan_config_selectorIxEEZZNS1_9scan_implILNS1_25lookback_scan_determinismE0ELb1ELb1ES3_N6thrust23THRUST_200600_302600_NS6detail15normal_iteratorINS9_10device_ptrIxEEEENS9_16discard_iteratorINS9_11use_defaultEEEx11max_functorIxExEEDaPvRmT3_T4_T5_mT6_P12ihipStream_tbENKUlT_T0_E_clISt17integral_constantIbLb0EESX_EEDaSS_ST_EUlSS_E_NS1_11comp_targetILNS1_3genE8ELNS1_11target_archE1030ELNS1_3gpuE2ELNS1_3repE0EEENS1_30default_config_static_selectorELNS0_4arch9wavefront6targetE1EEEvT1_
		.amdhsa_group_segment_fixed_size 0
		.amdhsa_private_segment_fixed_size 0
		.amdhsa_kernarg_size 112
		.amdhsa_user_sgpr_count 6
		.amdhsa_user_sgpr_private_segment_buffer 1
		.amdhsa_user_sgpr_dispatch_ptr 0
		.amdhsa_user_sgpr_queue_ptr 0
		.amdhsa_user_sgpr_kernarg_segment_ptr 1
		.amdhsa_user_sgpr_dispatch_id 0
		.amdhsa_user_sgpr_flat_scratch_init 0
		.amdhsa_user_sgpr_kernarg_preload_length 0
		.amdhsa_user_sgpr_kernarg_preload_offset 0
		.amdhsa_user_sgpr_private_segment_size 0
		.amdhsa_uses_dynamic_stack 0
		.amdhsa_system_sgpr_private_segment_wavefront_offset 0
		.amdhsa_system_sgpr_workgroup_id_x 1
		.amdhsa_system_sgpr_workgroup_id_y 0
		.amdhsa_system_sgpr_workgroup_id_z 0
		.amdhsa_system_sgpr_workgroup_info 0
		.amdhsa_system_vgpr_workitem_id 0
		.amdhsa_next_free_vgpr 1
		.amdhsa_next_free_sgpr 0
		.amdhsa_accum_offset 4
		.amdhsa_reserve_vcc 0
		.amdhsa_reserve_flat_scratch 0
		.amdhsa_float_round_mode_32 0
		.amdhsa_float_round_mode_16_64 0
		.amdhsa_float_denorm_mode_32 3
		.amdhsa_float_denorm_mode_16_64 3
		.amdhsa_dx10_clamp 1
		.amdhsa_ieee_mode 1
		.amdhsa_fp16_overflow 0
		.amdhsa_tg_split 0
		.amdhsa_exception_fp_ieee_invalid_op 0
		.amdhsa_exception_fp_denorm_src 0
		.amdhsa_exception_fp_ieee_div_zero 0
		.amdhsa_exception_fp_ieee_overflow 0
		.amdhsa_exception_fp_ieee_underflow 0
		.amdhsa_exception_fp_ieee_inexact 0
		.amdhsa_exception_int_div_zero 0
	.end_amdhsa_kernel
	.section	.text._ZN7rocprim17ROCPRIM_400000_NS6detail17trampoline_kernelINS0_14default_configENS1_20scan_config_selectorIxEEZZNS1_9scan_implILNS1_25lookback_scan_determinismE0ELb1ELb1ES3_N6thrust23THRUST_200600_302600_NS6detail15normal_iteratorINS9_10device_ptrIxEEEENS9_16discard_iteratorINS9_11use_defaultEEEx11max_functorIxExEEDaPvRmT3_T4_T5_mT6_P12ihipStream_tbENKUlT_T0_E_clISt17integral_constantIbLb0EESX_EEDaSS_ST_EUlSS_E_NS1_11comp_targetILNS1_3genE8ELNS1_11target_archE1030ELNS1_3gpuE2ELNS1_3repE0EEENS1_30default_config_static_selectorELNS0_4arch9wavefront6targetE1EEEvT1_,"axG",@progbits,_ZN7rocprim17ROCPRIM_400000_NS6detail17trampoline_kernelINS0_14default_configENS1_20scan_config_selectorIxEEZZNS1_9scan_implILNS1_25lookback_scan_determinismE0ELb1ELb1ES3_N6thrust23THRUST_200600_302600_NS6detail15normal_iteratorINS9_10device_ptrIxEEEENS9_16discard_iteratorINS9_11use_defaultEEEx11max_functorIxExEEDaPvRmT3_T4_T5_mT6_P12ihipStream_tbENKUlT_T0_E_clISt17integral_constantIbLb0EESX_EEDaSS_ST_EUlSS_E_NS1_11comp_targetILNS1_3genE8ELNS1_11target_archE1030ELNS1_3gpuE2ELNS1_3repE0EEENS1_30default_config_static_selectorELNS0_4arch9wavefront6targetE1EEEvT1_,comdat
.Lfunc_end3790:
	.size	_ZN7rocprim17ROCPRIM_400000_NS6detail17trampoline_kernelINS0_14default_configENS1_20scan_config_selectorIxEEZZNS1_9scan_implILNS1_25lookback_scan_determinismE0ELb1ELb1ES3_N6thrust23THRUST_200600_302600_NS6detail15normal_iteratorINS9_10device_ptrIxEEEENS9_16discard_iteratorINS9_11use_defaultEEEx11max_functorIxExEEDaPvRmT3_T4_T5_mT6_P12ihipStream_tbENKUlT_T0_E_clISt17integral_constantIbLb0EESX_EEDaSS_ST_EUlSS_E_NS1_11comp_targetILNS1_3genE8ELNS1_11target_archE1030ELNS1_3gpuE2ELNS1_3repE0EEENS1_30default_config_static_selectorELNS0_4arch9wavefront6targetE1EEEvT1_, .Lfunc_end3790-_ZN7rocprim17ROCPRIM_400000_NS6detail17trampoline_kernelINS0_14default_configENS1_20scan_config_selectorIxEEZZNS1_9scan_implILNS1_25lookback_scan_determinismE0ELb1ELb1ES3_N6thrust23THRUST_200600_302600_NS6detail15normal_iteratorINS9_10device_ptrIxEEEENS9_16discard_iteratorINS9_11use_defaultEEEx11max_functorIxExEEDaPvRmT3_T4_T5_mT6_P12ihipStream_tbENKUlT_T0_E_clISt17integral_constantIbLb0EESX_EEDaSS_ST_EUlSS_E_NS1_11comp_targetILNS1_3genE8ELNS1_11target_archE1030ELNS1_3gpuE2ELNS1_3repE0EEENS1_30default_config_static_selectorELNS0_4arch9wavefront6targetE1EEEvT1_
                                        ; -- End function
	.section	.AMDGPU.csdata,"",@progbits
; Kernel info:
; codeLenInByte = 0
; NumSgprs: 4
; NumVgprs: 0
; NumAgprs: 0
; TotalNumVgprs: 0
; ScratchSize: 0
; MemoryBound: 0
; FloatMode: 240
; IeeeMode: 1
; LDSByteSize: 0 bytes/workgroup (compile time only)
; SGPRBlocks: 0
; VGPRBlocks: 0
; NumSGPRsForWavesPerEU: 4
; NumVGPRsForWavesPerEU: 1
; AccumOffset: 4
; Occupancy: 8
; WaveLimiterHint : 0
; COMPUTE_PGM_RSRC2:SCRATCH_EN: 0
; COMPUTE_PGM_RSRC2:USER_SGPR: 6
; COMPUTE_PGM_RSRC2:TRAP_HANDLER: 0
; COMPUTE_PGM_RSRC2:TGID_X_EN: 1
; COMPUTE_PGM_RSRC2:TGID_Y_EN: 0
; COMPUTE_PGM_RSRC2:TGID_Z_EN: 0
; COMPUTE_PGM_RSRC2:TIDIG_COMP_CNT: 0
; COMPUTE_PGM_RSRC3_GFX90A:ACCUM_OFFSET: 0
; COMPUTE_PGM_RSRC3_GFX90A:TG_SPLIT: 0
	.section	.text._ZN7rocprim17ROCPRIM_400000_NS6detail17trampoline_kernelINS0_14default_configENS1_20scan_config_selectorIxEEZZNS1_9scan_implILNS1_25lookback_scan_determinismE0ELb1ELb1ES3_N6thrust23THRUST_200600_302600_NS6detail15normal_iteratorINS9_10device_ptrIxEEEENS9_16discard_iteratorINS9_11use_defaultEEEx11max_functorIxExEEDaPvRmT3_T4_T5_mT6_P12ihipStream_tbENKUlT_T0_E_clISt17integral_constantIbLb0EESX_EEDaSS_ST_EUlSS_E0_NS1_11comp_targetILNS1_3genE0ELNS1_11target_archE4294967295ELNS1_3gpuE0ELNS1_3repE0EEENS1_30default_config_static_selectorELNS0_4arch9wavefront6targetE1EEEvT1_,"axG",@progbits,_ZN7rocprim17ROCPRIM_400000_NS6detail17trampoline_kernelINS0_14default_configENS1_20scan_config_selectorIxEEZZNS1_9scan_implILNS1_25lookback_scan_determinismE0ELb1ELb1ES3_N6thrust23THRUST_200600_302600_NS6detail15normal_iteratorINS9_10device_ptrIxEEEENS9_16discard_iteratorINS9_11use_defaultEEEx11max_functorIxExEEDaPvRmT3_T4_T5_mT6_P12ihipStream_tbENKUlT_T0_E_clISt17integral_constantIbLb0EESX_EEDaSS_ST_EUlSS_E0_NS1_11comp_targetILNS1_3genE0ELNS1_11target_archE4294967295ELNS1_3gpuE0ELNS1_3repE0EEENS1_30default_config_static_selectorELNS0_4arch9wavefront6targetE1EEEvT1_,comdat
	.protected	_ZN7rocprim17ROCPRIM_400000_NS6detail17trampoline_kernelINS0_14default_configENS1_20scan_config_selectorIxEEZZNS1_9scan_implILNS1_25lookback_scan_determinismE0ELb1ELb1ES3_N6thrust23THRUST_200600_302600_NS6detail15normal_iteratorINS9_10device_ptrIxEEEENS9_16discard_iteratorINS9_11use_defaultEEEx11max_functorIxExEEDaPvRmT3_T4_T5_mT6_P12ihipStream_tbENKUlT_T0_E_clISt17integral_constantIbLb0EESX_EEDaSS_ST_EUlSS_E0_NS1_11comp_targetILNS1_3genE0ELNS1_11target_archE4294967295ELNS1_3gpuE0ELNS1_3repE0EEENS1_30default_config_static_selectorELNS0_4arch9wavefront6targetE1EEEvT1_ ; -- Begin function _ZN7rocprim17ROCPRIM_400000_NS6detail17trampoline_kernelINS0_14default_configENS1_20scan_config_selectorIxEEZZNS1_9scan_implILNS1_25lookback_scan_determinismE0ELb1ELb1ES3_N6thrust23THRUST_200600_302600_NS6detail15normal_iteratorINS9_10device_ptrIxEEEENS9_16discard_iteratorINS9_11use_defaultEEEx11max_functorIxExEEDaPvRmT3_T4_T5_mT6_P12ihipStream_tbENKUlT_T0_E_clISt17integral_constantIbLb0EESX_EEDaSS_ST_EUlSS_E0_NS1_11comp_targetILNS1_3genE0ELNS1_11target_archE4294967295ELNS1_3gpuE0ELNS1_3repE0EEENS1_30default_config_static_selectorELNS0_4arch9wavefront6targetE1EEEvT1_
	.globl	_ZN7rocprim17ROCPRIM_400000_NS6detail17trampoline_kernelINS0_14default_configENS1_20scan_config_selectorIxEEZZNS1_9scan_implILNS1_25lookback_scan_determinismE0ELb1ELb1ES3_N6thrust23THRUST_200600_302600_NS6detail15normal_iteratorINS9_10device_ptrIxEEEENS9_16discard_iteratorINS9_11use_defaultEEEx11max_functorIxExEEDaPvRmT3_T4_T5_mT6_P12ihipStream_tbENKUlT_T0_E_clISt17integral_constantIbLb0EESX_EEDaSS_ST_EUlSS_E0_NS1_11comp_targetILNS1_3genE0ELNS1_11target_archE4294967295ELNS1_3gpuE0ELNS1_3repE0EEENS1_30default_config_static_selectorELNS0_4arch9wavefront6targetE1EEEvT1_
	.p2align	8
	.type	_ZN7rocprim17ROCPRIM_400000_NS6detail17trampoline_kernelINS0_14default_configENS1_20scan_config_selectorIxEEZZNS1_9scan_implILNS1_25lookback_scan_determinismE0ELb1ELb1ES3_N6thrust23THRUST_200600_302600_NS6detail15normal_iteratorINS9_10device_ptrIxEEEENS9_16discard_iteratorINS9_11use_defaultEEEx11max_functorIxExEEDaPvRmT3_T4_T5_mT6_P12ihipStream_tbENKUlT_T0_E_clISt17integral_constantIbLb0EESX_EEDaSS_ST_EUlSS_E0_NS1_11comp_targetILNS1_3genE0ELNS1_11target_archE4294967295ELNS1_3gpuE0ELNS1_3repE0EEENS1_30default_config_static_selectorELNS0_4arch9wavefront6targetE1EEEvT1_,@function
_ZN7rocprim17ROCPRIM_400000_NS6detail17trampoline_kernelINS0_14default_configENS1_20scan_config_selectorIxEEZZNS1_9scan_implILNS1_25lookback_scan_determinismE0ELb1ELb1ES3_N6thrust23THRUST_200600_302600_NS6detail15normal_iteratorINS9_10device_ptrIxEEEENS9_16discard_iteratorINS9_11use_defaultEEEx11max_functorIxExEEDaPvRmT3_T4_T5_mT6_P12ihipStream_tbENKUlT_T0_E_clISt17integral_constantIbLb0EESX_EEDaSS_ST_EUlSS_E0_NS1_11comp_targetILNS1_3genE0ELNS1_11target_archE4294967295ELNS1_3gpuE0ELNS1_3repE0EEENS1_30default_config_static_selectorELNS0_4arch9wavefront6targetE1EEEvT1_: ; @_ZN7rocprim17ROCPRIM_400000_NS6detail17trampoline_kernelINS0_14default_configENS1_20scan_config_selectorIxEEZZNS1_9scan_implILNS1_25lookback_scan_determinismE0ELb1ELb1ES3_N6thrust23THRUST_200600_302600_NS6detail15normal_iteratorINS9_10device_ptrIxEEEENS9_16discard_iteratorINS9_11use_defaultEEEx11max_functorIxExEEDaPvRmT3_T4_T5_mT6_P12ihipStream_tbENKUlT_T0_E_clISt17integral_constantIbLb0EESX_EEDaSS_ST_EUlSS_E0_NS1_11comp_targetILNS1_3genE0ELNS1_11target_archE4294967295ELNS1_3gpuE0ELNS1_3repE0EEENS1_30default_config_static_selectorELNS0_4arch9wavefront6targetE1EEEvT1_
; %bb.0:
	.section	.rodata,"a",@progbits
	.p2align	6, 0x0
	.amdhsa_kernel _ZN7rocprim17ROCPRIM_400000_NS6detail17trampoline_kernelINS0_14default_configENS1_20scan_config_selectorIxEEZZNS1_9scan_implILNS1_25lookback_scan_determinismE0ELb1ELb1ES3_N6thrust23THRUST_200600_302600_NS6detail15normal_iteratorINS9_10device_ptrIxEEEENS9_16discard_iteratorINS9_11use_defaultEEEx11max_functorIxExEEDaPvRmT3_T4_T5_mT6_P12ihipStream_tbENKUlT_T0_E_clISt17integral_constantIbLb0EESX_EEDaSS_ST_EUlSS_E0_NS1_11comp_targetILNS1_3genE0ELNS1_11target_archE4294967295ELNS1_3gpuE0ELNS1_3repE0EEENS1_30default_config_static_selectorELNS0_4arch9wavefront6targetE1EEEvT1_
		.amdhsa_group_segment_fixed_size 0
		.amdhsa_private_segment_fixed_size 0
		.amdhsa_kernarg_size 48
		.amdhsa_user_sgpr_count 6
		.amdhsa_user_sgpr_private_segment_buffer 1
		.amdhsa_user_sgpr_dispatch_ptr 0
		.amdhsa_user_sgpr_queue_ptr 0
		.amdhsa_user_sgpr_kernarg_segment_ptr 1
		.amdhsa_user_sgpr_dispatch_id 0
		.amdhsa_user_sgpr_flat_scratch_init 0
		.amdhsa_user_sgpr_kernarg_preload_length 0
		.amdhsa_user_sgpr_kernarg_preload_offset 0
		.amdhsa_user_sgpr_private_segment_size 0
		.amdhsa_uses_dynamic_stack 0
		.amdhsa_system_sgpr_private_segment_wavefront_offset 0
		.amdhsa_system_sgpr_workgroup_id_x 1
		.amdhsa_system_sgpr_workgroup_id_y 0
		.amdhsa_system_sgpr_workgroup_id_z 0
		.amdhsa_system_sgpr_workgroup_info 0
		.amdhsa_system_vgpr_workitem_id 0
		.amdhsa_next_free_vgpr 1
		.amdhsa_next_free_sgpr 0
		.amdhsa_accum_offset 4
		.amdhsa_reserve_vcc 0
		.amdhsa_reserve_flat_scratch 0
		.amdhsa_float_round_mode_32 0
		.amdhsa_float_round_mode_16_64 0
		.amdhsa_float_denorm_mode_32 3
		.amdhsa_float_denorm_mode_16_64 3
		.amdhsa_dx10_clamp 1
		.amdhsa_ieee_mode 1
		.amdhsa_fp16_overflow 0
		.amdhsa_tg_split 0
		.amdhsa_exception_fp_ieee_invalid_op 0
		.amdhsa_exception_fp_denorm_src 0
		.amdhsa_exception_fp_ieee_div_zero 0
		.amdhsa_exception_fp_ieee_overflow 0
		.amdhsa_exception_fp_ieee_underflow 0
		.amdhsa_exception_fp_ieee_inexact 0
		.amdhsa_exception_int_div_zero 0
	.end_amdhsa_kernel
	.section	.text._ZN7rocprim17ROCPRIM_400000_NS6detail17trampoline_kernelINS0_14default_configENS1_20scan_config_selectorIxEEZZNS1_9scan_implILNS1_25lookback_scan_determinismE0ELb1ELb1ES3_N6thrust23THRUST_200600_302600_NS6detail15normal_iteratorINS9_10device_ptrIxEEEENS9_16discard_iteratorINS9_11use_defaultEEEx11max_functorIxExEEDaPvRmT3_T4_T5_mT6_P12ihipStream_tbENKUlT_T0_E_clISt17integral_constantIbLb0EESX_EEDaSS_ST_EUlSS_E0_NS1_11comp_targetILNS1_3genE0ELNS1_11target_archE4294967295ELNS1_3gpuE0ELNS1_3repE0EEENS1_30default_config_static_selectorELNS0_4arch9wavefront6targetE1EEEvT1_,"axG",@progbits,_ZN7rocprim17ROCPRIM_400000_NS6detail17trampoline_kernelINS0_14default_configENS1_20scan_config_selectorIxEEZZNS1_9scan_implILNS1_25lookback_scan_determinismE0ELb1ELb1ES3_N6thrust23THRUST_200600_302600_NS6detail15normal_iteratorINS9_10device_ptrIxEEEENS9_16discard_iteratorINS9_11use_defaultEEEx11max_functorIxExEEDaPvRmT3_T4_T5_mT6_P12ihipStream_tbENKUlT_T0_E_clISt17integral_constantIbLb0EESX_EEDaSS_ST_EUlSS_E0_NS1_11comp_targetILNS1_3genE0ELNS1_11target_archE4294967295ELNS1_3gpuE0ELNS1_3repE0EEENS1_30default_config_static_selectorELNS0_4arch9wavefront6targetE1EEEvT1_,comdat
.Lfunc_end3791:
	.size	_ZN7rocprim17ROCPRIM_400000_NS6detail17trampoline_kernelINS0_14default_configENS1_20scan_config_selectorIxEEZZNS1_9scan_implILNS1_25lookback_scan_determinismE0ELb1ELb1ES3_N6thrust23THRUST_200600_302600_NS6detail15normal_iteratorINS9_10device_ptrIxEEEENS9_16discard_iteratorINS9_11use_defaultEEEx11max_functorIxExEEDaPvRmT3_T4_T5_mT6_P12ihipStream_tbENKUlT_T0_E_clISt17integral_constantIbLb0EESX_EEDaSS_ST_EUlSS_E0_NS1_11comp_targetILNS1_3genE0ELNS1_11target_archE4294967295ELNS1_3gpuE0ELNS1_3repE0EEENS1_30default_config_static_selectorELNS0_4arch9wavefront6targetE1EEEvT1_, .Lfunc_end3791-_ZN7rocprim17ROCPRIM_400000_NS6detail17trampoline_kernelINS0_14default_configENS1_20scan_config_selectorIxEEZZNS1_9scan_implILNS1_25lookback_scan_determinismE0ELb1ELb1ES3_N6thrust23THRUST_200600_302600_NS6detail15normal_iteratorINS9_10device_ptrIxEEEENS9_16discard_iteratorINS9_11use_defaultEEEx11max_functorIxExEEDaPvRmT3_T4_T5_mT6_P12ihipStream_tbENKUlT_T0_E_clISt17integral_constantIbLb0EESX_EEDaSS_ST_EUlSS_E0_NS1_11comp_targetILNS1_3genE0ELNS1_11target_archE4294967295ELNS1_3gpuE0ELNS1_3repE0EEENS1_30default_config_static_selectorELNS0_4arch9wavefront6targetE1EEEvT1_
                                        ; -- End function
	.section	.AMDGPU.csdata,"",@progbits
; Kernel info:
; codeLenInByte = 0
; NumSgprs: 4
; NumVgprs: 0
; NumAgprs: 0
; TotalNumVgprs: 0
; ScratchSize: 0
; MemoryBound: 0
; FloatMode: 240
; IeeeMode: 1
; LDSByteSize: 0 bytes/workgroup (compile time only)
; SGPRBlocks: 0
; VGPRBlocks: 0
; NumSGPRsForWavesPerEU: 4
; NumVGPRsForWavesPerEU: 1
; AccumOffset: 4
; Occupancy: 8
; WaveLimiterHint : 0
; COMPUTE_PGM_RSRC2:SCRATCH_EN: 0
; COMPUTE_PGM_RSRC2:USER_SGPR: 6
; COMPUTE_PGM_RSRC2:TRAP_HANDLER: 0
; COMPUTE_PGM_RSRC2:TGID_X_EN: 1
; COMPUTE_PGM_RSRC2:TGID_Y_EN: 0
; COMPUTE_PGM_RSRC2:TGID_Z_EN: 0
; COMPUTE_PGM_RSRC2:TIDIG_COMP_CNT: 0
; COMPUTE_PGM_RSRC3_GFX90A:ACCUM_OFFSET: 0
; COMPUTE_PGM_RSRC3_GFX90A:TG_SPLIT: 0
	.section	.text._ZN7rocprim17ROCPRIM_400000_NS6detail17trampoline_kernelINS0_14default_configENS1_20scan_config_selectorIxEEZZNS1_9scan_implILNS1_25lookback_scan_determinismE0ELb1ELb1ES3_N6thrust23THRUST_200600_302600_NS6detail15normal_iteratorINS9_10device_ptrIxEEEENS9_16discard_iteratorINS9_11use_defaultEEEx11max_functorIxExEEDaPvRmT3_T4_T5_mT6_P12ihipStream_tbENKUlT_T0_E_clISt17integral_constantIbLb0EESX_EEDaSS_ST_EUlSS_E0_NS1_11comp_targetILNS1_3genE5ELNS1_11target_archE942ELNS1_3gpuE9ELNS1_3repE0EEENS1_30default_config_static_selectorELNS0_4arch9wavefront6targetE1EEEvT1_,"axG",@progbits,_ZN7rocprim17ROCPRIM_400000_NS6detail17trampoline_kernelINS0_14default_configENS1_20scan_config_selectorIxEEZZNS1_9scan_implILNS1_25lookback_scan_determinismE0ELb1ELb1ES3_N6thrust23THRUST_200600_302600_NS6detail15normal_iteratorINS9_10device_ptrIxEEEENS9_16discard_iteratorINS9_11use_defaultEEEx11max_functorIxExEEDaPvRmT3_T4_T5_mT6_P12ihipStream_tbENKUlT_T0_E_clISt17integral_constantIbLb0EESX_EEDaSS_ST_EUlSS_E0_NS1_11comp_targetILNS1_3genE5ELNS1_11target_archE942ELNS1_3gpuE9ELNS1_3repE0EEENS1_30default_config_static_selectorELNS0_4arch9wavefront6targetE1EEEvT1_,comdat
	.protected	_ZN7rocprim17ROCPRIM_400000_NS6detail17trampoline_kernelINS0_14default_configENS1_20scan_config_selectorIxEEZZNS1_9scan_implILNS1_25lookback_scan_determinismE0ELb1ELb1ES3_N6thrust23THRUST_200600_302600_NS6detail15normal_iteratorINS9_10device_ptrIxEEEENS9_16discard_iteratorINS9_11use_defaultEEEx11max_functorIxExEEDaPvRmT3_T4_T5_mT6_P12ihipStream_tbENKUlT_T0_E_clISt17integral_constantIbLb0EESX_EEDaSS_ST_EUlSS_E0_NS1_11comp_targetILNS1_3genE5ELNS1_11target_archE942ELNS1_3gpuE9ELNS1_3repE0EEENS1_30default_config_static_selectorELNS0_4arch9wavefront6targetE1EEEvT1_ ; -- Begin function _ZN7rocprim17ROCPRIM_400000_NS6detail17trampoline_kernelINS0_14default_configENS1_20scan_config_selectorIxEEZZNS1_9scan_implILNS1_25lookback_scan_determinismE0ELb1ELb1ES3_N6thrust23THRUST_200600_302600_NS6detail15normal_iteratorINS9_10device_ptrIxEEEENS9_16discard_iteratorINS9_11use_defaultEEEx11max_functorIxExEEDaPvRmT3_T4_T5_mT6_P12ihipStream_tbENKUlT_T0_E_clISt17integral_constantIbLb0EESX_EEDaSS_ST_EUlSS_E0_NS1_11comp_targetILNS1_3genE5ELNS1_11target_archE942ELNS1_3gpuE9ELNS1_3repE0EEENS1_30default_config_static_selectorELNS0_4arch9wavefront6targetE1EEEvT1_
	.globl	_ZN7rocprim17ROCPRIM_400000_NS6detail17trampoline_kernelINS0_14default_configENS1_20scan_config_selectorIxEEZZNS1_9scan_implILNS1_25lookback_scan_determinismE0ELb1ELb1ES3_N6thrust23THRUST_200600_302600_NS6detail15normal_iteratorINS9_10device_ptrIxEEEENS9_16discard_iteratorINS9_11use_defaultEEEx11max_functorIxExEEDaPvRmT3_T4_T5_mT6_P12ihipStream_tbENKUlT_T0_E_clISt17integral_constantIbLb0EESX_EEDaSS_ST_EUlSS_E0_NS1_11comp_targetILNS1_3genE5ELNS1_11target_archE942ELNS1_3gpuE9ELNS1_3repE0EEENS1_30default_config_static_selectorELNS0_4arch9wavefront6targetE1EEEvT1_
	.p2align	8
	.type	_ZN7rocprim17ROCPRIM_400000_NS6detail17trampoline_kernelINS0_14default_configENS1_20scan_config_selectorIxEEZZNS1_9scan_implILNS1_25lookback_scan_determinismE0ELb1ELb1ES3_N6thrust23THRUST_200600_302600_NS6detail15normal_iteratorINS9_10device_ptrIxEEEENS9_16discard_iteratorINS9_11use_defaultEEEx11max_functorIxExEEDaPvRmT3_T4_T5_mT6_P12ihipStream_tbENKUlT_T0_E_clISt17integral_constantIbLb0EESX_EEDaSS_ST_EUlSS_E0_NS1_11comp_targetILNS1_3genE5ELNS1_11target_archE942ELNS1_3gpuE9ELNS1_3repE0EEENS1_30default_config_static_selectorELNS0_4arch9wavefront6targetE1EEEvT1_,@function
_ZN7rocprim17ROCPRIM_400000_NS6detail17trampoline_kernelINS0_14default_configENS1_20scan_config_selectorIxEEZZNS1_9scan_implILNS1_25lookback_scan_determinismE0ELb1ELb1ES3_N6thrust23THRUST_200600_302600_NS6detail15normal_iteratorINS9_10device_ptrIxEEEENS9_16discard_iteratorINS9_11use_defaultEEEx11max_functorIxExEEDaPvRmT3_T4_T5_mT6_P12ihipStream_tbENKUlT_T0_E_clISt17integral_constantIbLb0EESX_EEDaSS_ST_EUlSS_E0_NS1_11comp_targetILNS1_3genE5ELNS1_11target_archE942ELNS1_3gpuE9ELNS1_3repE0EEENS1_30default_config_static_selectorELNS0_4arch9wavefront6targetE1EEEvT1_: ; @_ZN7rocprim17ROCPRIM_400000_NS6detail17trampoline_kernelINS0_14default_configENS1_20scan_config_selectorIxEEZZNS1_9scan_implILNS1_25lookback_scan_determinismE0ELb1ELb1ES3_N6thrust23THRUST_200600_302600_NS6detail15normal_iteratorINS9_10device_ptrIxEEEENS9_16discard_iteratorINS9_11use_defaultEEEx11max_functorIxExEEDaPvRmT3_T4_T5_mT6_P12ihipStream_tbENKUlT_T0_E_clISt17integral_constantIbLb0EESX_EEDaSS_ST_EUlSS_E0_NS1_11comp_targetILNS1_3genE5ELNS1_11target_archE942ELNS1_3gpuE9ELNS1_3repE0EEENS1_30default_config_static_selectorELNS0_4arch9wavefront6targetE1EEEvT1_
; %bb.0:
	.section	.rodata,"a",@progbits
	.p2align	6, 0x0
	.amdhsa_kernel _ZN7rocprim17ROCPRIM_400000_NS6detail17trampoline_kernelINS0_14default_configENS1_20scan_config_selectorIxEEZZNS1_9scan_implILNS1_25lookback_scan_determinismE0ELb1ELb1ES3_N6thrust23THRUST_200600_302600_NS6detail15normal_iteratorINS9_10device_ptrIxEEEENS9_16discard_iteratorINS9_11use_defaultEEEx11max_functorIxExEEDaPvRmT3_T4_T5_mT6_P12ihipStream_tbENKUlT_T0_E_clISt17integral_constantIbLb0EESX_EEDaSS_ST_EUlSS_E0_NS1_11comp_targetILNS1_3genE5ELNS1_11target_archE942ELNS1_3gpuE9ELNS1_3repE0EEENS1_30default_config_static_selectorELNS0_4arch9wavefront6targetE1EEEvT1_
		.amdhsa_group_segment_fixed_size 0
		.amdhsa_private_segment_fixed_size 0
		.amdhsa_kernarg_size 48
		.amdhsa_user_sgpr_count 6
		.amdhsa_user_sgpr_private_segment_buffer 1
		.amdhsa_user_sgpr_dispatch_ptr 0
		.amdhsa_user_sgpr_queue_ptr 0
		.amdhsa_user_sgpr_kernarg_segment_ptr 1
		.amdhsa_user_sgpr_dispatch_id 0
		.amdhsa_user_sgpr_flat_scratch_init 0
		.amdhsa_user_sgpr_kernarg_preload_length 0
		.amdhsa_user_sgpr_kernarg_preload_offset 0
		.amdhsa_user_sgpr_private_segment_size 0
		.amdhsa_uses_dynamic_stack 0
		.amdhsa_system_sgpr_private_segment_wavefront_offset 0
		.amdhsa_system_sgpr_workgroup_id_x 1
		.amdhsa_system_sgpr_workgroup_id_y 0
		.amdhsa_system_sgpr_workgroup_id_z 0
		.amdhsa_system_sgpr_workgroup_info 0
		.amdhsa_system_vgpr_workitem_id 0
		.amdhsa_next_free_vgpr 1
		.amdhsa_next_free_sgpr 0
		.amdhsa_accum_offset 4
		.amdhsa_reserve_vcc 0
		.amdhsa_reserve_flat_scratch 0
		.amdhsa_float_round_mode_32 0
		.amdhsa_float_round_mode_16_64 0
		.amdhsa_float_denorm_mode_32 3
		.amdhsa_float_denorm_mode_16_64 3
		.amdhsa_dx10_clamp 1
		.amdhsa_ieee_mode 1
		.amdhsa_fp16_overflow 0
		.amdhsa_tg_split 0
		.amdhsa_exception_fp_ieee_invalid_op 0
		.amdhsa_exception_fp_denorm_src 0
		.amdhsa_exception_fp_ieee_div_zero 0
		.amdhsa_exception_fp_ieee_overflow 0
		.amdhsa_exception_fp_ieee_underflow 0
		.amdhsa_exception_fp_ieee_inexact 0
		.amdhsa_exception_int_div_zero 0
	.end_amdhsa_kernel
	.section	.text._ZN7rocprim17ROCPRIM_400000_NS6detail17trampoline_kernelINS0_14default_configENS1_20scan_config_selectorIxEEZZNS1_9scan_implILNS1_25lookback_scan_determinismE0ELb1ELb1ES3_N6thrust23THRUST_200600_302600_NS6detail15normal_iteratorINS9_10device_ptrIxEEEENS9_16discard_iteratorINS9_11use_defaultEEEx11max_functorIxExEEDaPvRmT3_T4_T5_mT6_P12ihipStream_tbENKUlT_T0_E_clISt17integral_constantIbLb0EESX_EEDaSS_ST_EUlSS_E0_NS1_11comp_targetILNS1_3genE5ELNS1_11target_archE942ELNS1_3gpuE9ELNS1_3repE0EEENS1_30default_config_static_selectorELNS0_4arch9wavefront6targetE1EEEvT1_,"axG",@progbits,_ZN7rocprim17ROCPRIM_400000_NS6detail17trampoline_kernelINS0_14default_configENS1_20scan_config_selectorIxEEZZNS1_9scan_implILNS1_25lookback_scan_determinismE0ELb1ELb1ES3_N6thrust23THRUST_200600_302600_NS6detail15normal_iteratorINS9_10device_ptrIxEEEENS9_16discard_iteratorINS9_11use_defaultEEEx11max_functorIxExEEDaPvRmT3_T4_T5_mT6_P12ihipStream_tbENKUlT_T0_E_clISt17integral_constantIbLb0EESX_EEDaSS_ST_EUlSS_E0_NS1_11comp_targetILNS1_3genE5ELNS1_11target_archE942ELNS1_3gpuE9ELNS1_3repE0EEENS1_30default_config_static_selectorELNS0_4arch9wavefront6targetE1EEEvT1_,comdat
.Lfunc_end3792:
	.size	_ZN7rocprim17ROCPRIM_400000_NS6detail17trampoline_kernelINS0_14default_configENS1_20scan_config_selectorIxEEZZNS1_9scan_implILNS1_25lookback_scan_determinismE0ELb1ELb1ES3_N6thrust23THRUST_200600_302600_NS6detail15normal_iteratorINS9_10device_ptrIxEEEENS9_16discard_iteratorINS9_11use_defaultEEEx11max_functorIxExEEDaPvRmT3_T4_T5_mT6_P12ihipStream_tbENKUlT_T0_E_clISt17integral_constantIbLb0EESX_EEDaSS_ST_EUlSS_E0_NS1_11comp_targetILNS1_3genE5ELNS1_11target_archE942ELNS1_3gpuE9ELNS1_3repE0EEENS1_30default_config_static_selectorELNS0_4arch9wavefront6targetE1EEEvT1_, .Lfunc_end3792-_ZN7rocprim17ROCPRIM_400000_NS6detail17trampoline_kernelINS0_14default_configENS1_20scan_config_selectorIxEEZZNS1_9scan_implILNS1_25lookback_scan_determinismE0ELb1ELb1ES3_N6thrust23THRUST_200600_302600_NS6detail15normal_iteratorINS9_10device_ptrIxEEEENS9_16discard_iteratorINS9_11use_defaultEEEx11max_functorIxExEEDaPvRmT3_T4_T5_mT6_P12ihipStream_tbENKUlT_T0_E_clISt17integral_constantIbLb0EESX_EEDaSS_ST_EUlSS_E0_NS1_11comp_targetILNS1_3genE5ELNS1_11target_archE942ELNS1_3gpuE9ELNS1_3repE0EEENS1_30default_config_static_selectorELNS0_4arch9wavefront6targetE1EEEvT1_
                                        ; -- End function
	.section	.AMDGPU.csdata,"",@progbits
; Kernel info:
; codeLenInByte = 0
; NumSgprs: 4
; NumVgprs: 0
; NumAgprs: 0
; TotalNumVgprs: 0
; ScratchSize: 0
; MemoryBound: 0
; FloatMode: 240
; IeeeMode: 1
; LDSByteSize: 0 bytes/workgroup (compile time only)
; SGPRBlocks: 0
; VGPRBlocks: 0
; NumSGPRsForWavesPerEU: 4
; NumVGPRsForWavesPerEU: 1
; AccumOffset: 4
; Occupancy: 8
; WaveLimiterHint : 0
; COMPUTE_PGM_RSRC2:SCRATCH_EN: 0
; COMPUTE_PGM_RSRC2:USER_SGPR: 6
; COMPUTE_PGM_RSRC2:TRAP_HANDLER: 0
; COMPUTE_PGM_RSRC2:TGID_X_EN: 1
; COMPUTE_PGM_RSRC2:TGID_Y_EN: 0
; COMPUTE_PGM_RSRC2:TGID_Z_EN: 0
; COMPUTE_PGM_RSRC2:TIDIG_COMP_CNT: 0
; COMPUTE_PGM_RSRC3_GFX90A:ACCUM_OFFSET: 0
; COMPUTE_PGM_RSRC3_GFX90A:TG_SPLIT: 0
	.section	.text._ZN7rocprim17ROCPRIM_400000_NS6detail17trampoline_kernelINS0_14default_configENS1_20scan_config_selectorIxEEZZNS1_9scan_implILNS1_25lookback_scan_determinismE0ELb1ELb1ES3_N6thrust23THRUST_200600_302600_NS6detail15normal_iteratorINS9_10device_ptrIxEEEENS9_16discard_iteratorINS9_11use_defaultEEEx11max_functorIxExEEDaPvRmT3_T4_T5_mT6_P12ihipStream_tbENKUlT_T0_E_clISt17integral_constantIbLb0EESX_EEDaSS_ST_EUlSS_E0_NS1_11comp_targetILNS1_3genE4ELNS1_11target_archE910ELNS1_3gpuE8ELNS1_3repE0EEENS1_30default_config_static_selectorELNS0_4arch9wavefront6targetE1EEEvT1_,"axG",@progbits,_ZN7rocprim17ROCPRIM_400000_NS6detail17trampoline_kernelINS0_14default_configENS1_20scan_config_selectorIxEEZZNS1_9scan_implILNS1_25lookback_scan_determinismE0ELb1ELb1ES3_N6thrust23THRUST_200600_302600_NS6detail15normal_iteratorINS9_10device_ptrIxEEEENS9_16discard_iteratorINS9_11use_defaultEEEx11max_functorIxExEEDaPvRmT3_T4_T5_mT6_P12ihipStream_tbENKUlT_T0_E_clISt17integral_constantIbLb0EESX_EEDaSS_ST_EUlSS_E0_NS1_11comp_targetILNS1_3genE4ELNS1_11target_archE910ELNS1_3gpuE8ELNS1_3repE0EEENS1_30default_config_static_selectorELNS0_4arch9wavefront6targetE1EEEvT1_,comdat
	.protected	_ZN7rocprim17ROCPRIM_400000_NS6detail17trampoline_kernelINS0_14default_configENS1_20scan_config_selectorIxEEZZNS1_9scan_implILNS1_25lookback_scan_determinismE0ELb1ELb1ES3_N6thrust23THRUST_200600_302600_NS6detail15normal_iteratorINS9_10device_ptrIxEEEENS9_16discard_iteratorINS9_11use_defaultEEEx11max_functorIxExEEDaPvRmT3_T4_T5_mT6_P12ihipStream_tbENKUlT_T0_E_clISt17integral_constantIbLb0EESX_EEDaSS_ST_EUlSS_E0_NS1_11comp_targetILNS1_3genE4ELNS1_11target_archE910ELNS1_3gpuE8ELNS1_3repE0EEENS1_30default_config_static_selectorELNS0_4arch9wavefront6targetE1EEEvT1_ ; -- Begin function _ZN7rocprim17ROCPRIM_400000_NS6detail17trampoline_kernelINS0_14default_configENS1_20scan_config_selectorIxEEZZNS1_9scan_implILNS1_25lookback_scan_determinismE0ELb1ELb1ES3_N6thrust23THRUST_200600_302600_NS6detail15normal_iteratorINS9_10device_ptrIxEEEENS9_16discard_iteratorINS9_11use_defaultEEEx11max_functorIxExEEDaPvRmT3_T4_T5_mT6_P12ihipStream_tbENKUlT_T0_E_clISt17integral_constantIbLb0EESX_EEDaSS_ST_EUlSS_E0_NS1_11comp_targetILNS1_3genE4ELNS1_11target_archE910ELNS1_3gpuE8ELNS1_3repE0EEENS1_30default_config_static_selectorELNS0_4arch9wavefront6targetE1EEEvT1_
	.globl	_ZN7rocprim17ROCPRIM_400000_NS6detail17trampoline_kernelINS0_14default_configENS1_20scan_config_selectorIxEEZZNS1_9scan_implILNS1_25lookback_scan_determinismE0ELb1ELb1ES3_N6thrust23THRUST_200600_302600_NS6detail15normal_iteratorINS9_10device_ptrIxEEEENS9_16discard_iteratorINS9_11use_defaultEEEx11max_functorIxExEEDaPvRmT3_T4_T5_mT6_P12ihipStream_tbENKUlT_T0_E_clISt17integral_constantIbLb0EESX_EEDaSS_ST_EUlSS_E0_NS1_11comp_targetILNS1_3genE4ELNS1_11target_archE910ELNS1_3gpuE8ELNS1_3repE0EEENS1_30default_config_static_selectorELNS0_4arch9wavefront6targetE1EEEvT1_
	.p2align	8
	.type	_ZN7rocprim17ROCPRIM_400000_NS6detail17trampoline_kernelINS0_14default_configENS1_20scan_config_selectorIxEEZZNS1_9scan_implILNS1_25lookback_scan_determinismE0ELb1ELb1ES3_N6thrust23THRUST_200600_302600_NS6detail15normal_iteratorINS9_10device_ptrIxEEEENS9_16discard_iteratorINS9_11use_defaultEEEx11max_functorIxExEEDaPvRmT3_T4_T5_mT6_P12ihipStream_tbENKUlT_T0_E_clISt17integral_constantIbLb0EESX_EEDaSS_ST_EUlSS_E0_NS1_11comp_targetILNS1_3genE4ELNS1_11target_archE910ELNS1_3gpuE8ELNS1_3repE0EEENS1_30default_config_static_selectorELNS0_4arch9wavefront6targetE1EEEvT1_,@function
_ZN7rocprim17ROCPRIM_400000_NS6detail17trampoline_kernelINS0_14default_configENS1_20scan_config_selectorIxEEZZNS1_9scan_implILNS1_25lookback_scan_determinismE0ELb1ELb1ES3_N6thrust23THRUST_200600_302600_NS6detail15normal_iteratorINS9_10device_ptrIxEEEENS9_16discard_iteratorINS9_11use_defaultEEEx11max_functorIxExEEDaPvRmT3_T4_T5_mT6_P12ihipStream_tbENKUlT_T0_E_clISt17integral_constantIbLb0EESX_EEDaSS_ST_EUlSS_E0_NS1_11comp_targetILNS1_3genE4ELNS1_11target_archE910ELNS1_3gpuE8ELNS1_3repE0EEENS1_30default_config_static_selectorELNS0_4arch9wavefront6targetE1EEEvT1_: ; @_ZN7rocprim17ROCPRIM_400000_NS6detail17trampoline_kernelINS0_14default_configENS1_20scan_config_selectorIxEEZZNS1_9scan_implILNS1_25lookback_scan_determinismE0ELb1ELb1ES3_N6thrust23THRUST_200600_302600_NS6detail15normal_iteratorINS9_10device_ptrIxEEEENS9_16discard_iteratorINS9_11use_defaultEEEx11max_functorIxExEEDaPvRmT3_T4_T5_mT6_P12ihipStream_tbENKUlT_T0_E_clISt17integral_constantIbLb0EESX_EEDaSS_ST_EUlSS_E0_NS1_11comp_targetILNS1_3genE4ELNS1_11target_archE910ELNS1_3gpuE8ELNS1_3repE0EEENS1_30default_config_static_selectorELNS0_4arch9wavefront6targetE1EEEvT1_
; %bb.0:
	s_load_dwordx4 s[0:3], s[4:5], 0x0
	v_lshlrev_b32_e32 v1, 3, v0
	s_waitcnt lgkmcnt(0)
	s_load_dwordx2 s[6:7], s[0:1], 0x0
	v_cmp_gt_u32_e32 vcc, s2, v0
	s_waitcnt lgkmcnt(0)
	v_pk_mov_b32 v[2:3], s[6:7], s[6:7] op_sel:[0,1]
	s_and_saveexec_b64 s[8:9], vcc
	s_cbranch_execz .LBB3793_2
; %bb.1:
	global_load_dwordx2 v[2:3], v1, s[0:1]
.LBB3793_2:
	s_or_b64 exec, exec, s[8:9]
	v_or_b32_e32 v4, 0x80, v0
	v_cmp_gt_u32_e32 vcc, s2, v4
	v_pk_mov_b32 v[4:5], s[6:7], s[6:7] op_sel:[0,1]
	s_and_saveexec_b64 s[8:9], vcc
	s_cbranch_execz .LBB3793_4
; %bb.3:
	global_load_dwordx2 v[4:5], v1, s[0:1] offset:1024
.LBB3793_4:
	s_or_b64 exec, exec, s[8:9]
	v_or_b32_e32 v6, 0x100, v0
	v_cmp_gt_u32_e32 vcc, s2, v6
	v_pk_mov_b32 v[6:7], s[6:7], s[6:7] op_sel:[0,1]
	s_and_saveexec_b64 s[8:9], vcc
	s_cbranch_execz .LBB3793_6
; %bb.5:
	global_load_dwordx2 v[6:7], v1, s[0:1] offset:2048
.LBB3793_6:
	s_or_b64 exec, exec, s[8:9]
	v_or_b32_e32 v8, 0x180, v0
	v_cmp_gt_u32_e32 vcc, s2, v8
	v_pk_mov_b32 v[8:9], s[6:7], s[6:7] op_sel:[0,1]
	s_and_saveexec_b64 s[8:9], vcc
	s_cbranch_execz .LBB3793_8
; %bb.7:
	global_load_dwordx2 v[8:9], v1, s[0:1] offset:3072
.LBB3793_8:
	s_or_b64 exec, exec, s[8:9]
	v_or_b32_e32 v12, 0x200, v0
	v_cmp_gt_u32_e32 vcc, s2, v12
	v_pk_mov_b32 v[10:11], s[6:7], s[6:7] op_sel:[0,1]
	s_and_saveexec_b64 s[8:9], vcc
	s_cbranch_execz .LBB3793_10
; %bb.9:
	v_lshlrev_b32_e32 v10, 3, v12
	global_load_dwordx2 v[10:11], v10, s[0:1]
.LBB3793_10:
	s_or_b64 exec, exec, s[8:9]
	v_or_b32_e32 v14, 0x280, v0
	v_cmp_gt_u32_e32 vcc, s2, v14
	v_pk_mov_b32 v[12:13], s[6:7], s[6:7] op_sel:[0,1]
	s_and_saveexec_b64 s[8:9], vcc
	s_cbranch_execz .LBB3793_12
; %bb.11:
	v_lshlrev_b32_e32 v12, 3, v14
	global_load_dwordx2 v[12:13], v12, s[0:1]
.LBB3793_12:
	s_or_b64 exec, exec, s[8:9]
	s_load_dwordx2 s[4:5], s[4:5], 0x10
	v_or_b32_e32 v16, 0x300, v0
	v_cmp_gt_u32_e32 vcc, s2, v16
	v_pk_mov_b32 v[14:15], s[6:7], s[6:7] op_sel:[0,1]
	s_and_saveexec_b64 s[2:3], vcc
	s_cbranch_execz .LBB3793_14
; %bb.13:
	v_lshlrev_b32_e32 v14, 3, v16
	global_load_dwordx2 v[14:15], v14, s[0:1]
.LBB3793_14:
	s_or_b64 exec, exec, s[2:3]
	s_waitcnt vmcnt(0)
	ds_write2st64_b64 v1, v[2:3], v[4:5] offset1:2
	ds_write2st64_b64 v1, v[6:7], v[8:9] offset0:4 offset1:6
	ds_write2st64_b64 v1, v[10:11], v[12:13] offset0:8 offset1:10
	ds_write_b64 v1, v[14:15] offset:6144
	v_mad_u32_u24 v14, v0, 48, v1
	s_waitcnt lgkmcnt(0)
	s_barrier
	ds_read2_b64 v[10:13], v14 offset1:1
	ds_read2_b64 v[6:9], v14 offset0:2 offset1:3
	ds_read2_b64 v[2:5], v14 offset0:4 offset1:5
	ds_read_b64 v[14:15], v14 offset:48
	s_waitcnt lgkmcnt(0)
	v_cmp_gt_i64_e32 vcc, v[10:11], v[12:13]
	v_cndmask_b32_e32 v17, v13, v11, vcc
	v_cndmask_b32_e32 v16, v12, v10, vcc
	v_cmp_gt_i64_e32 vcc, v[16:17], v[6:7]
	v_cndmask_b32_e32 v17, v7, v17, vcc
	v_cndmask_b32_e32 v16, v6, v16, vcc
	;; [unrolled: 3-line block ×5, first 2 shown]
	v_cmp_gt_i64_e32 vcc, v[16:17], v[14:15]
	v_cndmask_b32_e32 v18, v14, v16, vcc
	v_lshrrev_b32_e32 v14, 2, v0
	v_and_b32_e32 v14, 24, v14
	v_cndmask_b32_e32 v19, v15, v17, vcc
	v_add_u32_e32 v14, v1, v14
	v_cmp_gt_u32_e32 vcc, 64, v0
	s_barrier
	ds_write_b64 v14, v[18:19]
	s_waitcnt lgkmcnt(0)
	s_barrier
	s_and_saveexec_b64 s[2:3], vcc
	s_cbranch_execz .LBB3793_18
; %bb.15:
	v_lshlrev_b32_e32 v14, 1, v0
	v_lshrrev_b32_e32 v15, 4, v0
	v_add_lshl_u32 v24, v15, v14, 3
	ds_read2_b64 v[14:17], v24 offset1:1
	v_mbcnt_lo_u32_b32 v20, -1, 0
	v_mbcnt_hi_u32_b32 v25, -1, v20
	v_and_b32_e32 v26, 15, v25
	v_and_b32_e32 v28, 16, v25
	s_waitcnt lgkmcnt(0)
	v_cmp_gt_i64_e32 vcc, v[14:15], v[16:17]
	v_cndmask_b32_e32 v17, v17, v15, vcc
	v_cndmask_b32_e32 v16, v16, v14, vcc
	v_cmp_ne_u32_e64 s[0:1], 0, v25
	v_mov_b32_dpp v21, v17 row_shr:1 row_mask:0xf bank_mask:0xf
	v_mov_b32_dpp v20, v16 row_shr:1 row_mask:0xf bank_mask:0xf
	v_cmp_gt_i64_e32 vcc, v[20:21], v[16:17]
	v_cndmask_b32_e32 v20, v16, v20, vcc
	v_cndmask_b32_e32 v21, v17, v21, vcc
	v_cmp_eq_u32_e32 vcc, 0, v26
	v_cndmask_b32_e32 v21, v21, v17, vcc
	v_cndmask_b32_e32 v20, v20, v16, vcc
	s_nop 0
	v_mov_b32_dpp v23, v21 row_shr:2 row_mask:0xf bank_mask:0xf
	v_mov_b32_dpp v22, v20 row_shr:2 row_mask:0xf bank_mask:0xf
	v_cmp_gt_i64_e32 vcc, v[22:23], v[20:21]
	v_cndmask_b32_e32 v22, v20, v22, vcc
	v_cndmask_b32_e32 v23, v21, v23, vcc
	v_cmp_lt_u32_e32 vcc, 1, v26
	v_cndmask_b32_e32 v21, v21, v23, vcc
	v_cndmask_b32_e32 v20, v20, v22, vcc
	s_nop 0
	v_mov_b32_dpp v23, v21 row_shr:4 row_mask:0xf bank_mask:0xf
	v_mov_b32_dpp v22, v20 row_shr:4 row_mask:0xf bank_mask:0xf
	v_cmp_gt_i64_e32 vcc, v[22:23], v[20:21]
	v_cndmask_b32_e32 v22, v20, v22, vcc
	v_cndmask_b32_e32 v23, v21, v23, vcc
	v_cmp_lt_u32_e32 vcc, 3, v26
	v_cndmask_b32_e32 v21, v21, v23, vcc
	v_cndmask_b32_e32 v20, v20, v22, vcc
	s_nop 0
	v_mov_b32_dpp v23, v21 row_shr:8 row_mask:0xf bank_mask:0xf
	v_mov_b32_dpp v22, v20 row_shr:8 row_mask:0xf bank_mask:0xf
	v_cmp_gt_i64_e32 vcc, v[22:23], v[20:21]
	v_cndmask_b32_e32 v22, v20, v22, vcc
	v_cndmask_b32_e32 v23, v21, v23, vcc
	v_cmp_lt_u32_e32 vcc, 7, v26
	v_cndmask_b32_e32 v21, v21, v23, vcc
	v_cndmask_b32_e32 v20, v20, v22, vcc
	s_nop 0
	v_mov_b32_dpp v23, v21 row_bcast:15 row_mask:0xf bank_mask:0xf
	v_mov_b32_dpp v22, v20 row_bcast:15 row_mask:0xf bank_mask:0xf
	v_cmp_gt_i64_e32 vcc, v[22:23], v[20:21]
	v_cndmask_b32_e32 v26, v21, v23, vcc
	v_cndmask_b32_e32 v27, v20, v22, vcc
	v_cmp_eq_u32_e32 vcc, 0, v28
	v_cndmask_b32_e32 v23, v26, v21, vcc
	v_cndmask_b32_e32 v22, v27, v20, vcc
	s_nop 0
	v_mov_b32_dpp v23, v23 row_bcast:31 row_mask:0xf bank_mask:0xf
	v_mov_b32_dpp v22, v22 row_bcast:31 row_mask:0xf bank_mask:0xf
	s_and_saveexec_b64 s[6:7], s[0:1]
; %bb.16:
	v_cndmask_b32_e32 v17, v26, v21, vcc
	v_cndmask_b32_e32 v16, v27, v20, vcc
	v_cmp_lt_u32_e64 s[0:1], 31, v25
	v_cmp_gt_i64_e32 vcc, v[22:23], v[16:17]
	s_and_b64 vcc, s[0:1], vcc
	v_cndmask_b32_e32 v16, v16, v22, vcc
	v_cndmask_b32_e32 v17, v17, v23, vcc
; %bb.17:
	s_or_b64 exec, exec, s[6:7]
	v_add_u32_e32 v20, -1, v25
	v_and_b32_e32 v21, 64, v25
	v_cmp_lt_i32_e32 vcc, v20, v21
	v_cndmask_b32_e32 v20, v20, v25, vcc
	v_lshlrev_b32_e32 v20, 2, v20
	ds_bpermute_b32 v16, v20, v16
	ds_bpermute_b32 v17, v20, v17
	; wave barrier
	s_waitcnt lgkmcnt(0)
	v_cmp_gt_i64_e32 vcc, v[16:17], v[14:15]
	v_cndmask_b32_e32 v14, v14, v16, vcc
	v_cndmask_b32_e32 v15, v15, v17, vcc
	v_cmp_eq_u32_e32 vcc, 0, v0
	v_cndmask_b32_e32 v15, v15, v19, vcc
	v_cndmask_b32_e32 v14, v14, v18, vcc
	ds_write_b64 v24, v[14:15]
	; wave barrier
	ds_read_b64 v[16:17], v24 offset:8
	s_waitcnt lgkmcnt(0)
	v_cmp_gt_i64_e32 vcc, v[14:15], v[16:17]
	v_cndmask_b32_e32 v15, v17, v15, vcc
	v_cndmask_b32_e32 v14, v16, v14, vcc
	ds_write_b64 v24, v[14:15] offset:8
.LBB3793_18:
	s_or_b64 exec, exec, s[2:3]
	v_mul_u32_u24_e32 v16, 48, v0
	v_cmp_ne_u32_e32 vcc, 0, v0
	v_pk_mov_b32 v[14:15], s[4:5], s[4:5] op_sel:[0,1]
	s_waitcnt lgkmcnt(0)
	s_barrier
	s_and_saveexec_b64 s[0:1], vcc
	s_cbranch_execz .LBB3793_20
; %bb.19:
	v_add_u32_e32 v0, -1, v0
	v_lshrrev_b32_e32 v14, 5, v0
	v_add_lshl_u32 v0, v14, v0, 3
	ds_read_b64 v[14:15], v0
	v_mov_b32_e32 v0, s5
	s_waitcnt lgkmcnt(0)
	v_cmp_gt_i64_e32 vcc, s[4:5], v[14:15]
	v_cndmask_b32_e32 v15, v15, v0, vcc
	v_mov_b32_e32 v0, s4
	v_cndmask_b32_e32 v14, v14, v0, vcc
.LBB3793_20:
	s_or_b64 exec, exec, s[0:1]
	v_cmp_gt_i64_e32 vcc, v[14:15], v[10:11]
	v_cndmask_b32_e32 v11, v11, v15, vcc
	v_cndmask_b32_e32 v10, v10, v14, vcc
	v_cmp_gt_i64_e32 vcc, v[10:11], v[12:13]
	v_cndmask_b32_e32 v13, v13, v11, vcc
	v_cndmask_b32_e32 v12, v12, v10, vcc
	;; [unrolled: 3-line block ×5, first 2 shown]
	v_cmp_gt_i64_e32 vcc, v[2:3], v[4:5]
	v_add_u32_e32 v0, v1, v16
	v_cndmask_b32_e32 v5, v5, v3, vcc
	v_cndmask_b32_e32 v4, v4, v2, vcc
	s_barrier
	ds_write2_b64 v0, v[14:15], v[10:11] offset1:1
	ds_write2_b64 v0, v[12:13], v[6:7] offset0:2 offset1:3
	ds_write2_b64 v0, v[8:9], v[2:3] offset0:4 offset1:5
	ds_write_b64 v0, v[4:5] offset:48
	s_waitcnt lgkmcnt(0)
	s_barrier
	s_endpgm
	.section	.rodata,"a",@progbits
	.p2align	6, 0x0
	.amdhsa_kernel _ZN7rocprim17ROCPRIM_400000_NS6detail17trampoline_kernelINS0_14default_configENS1_20scan_config_selectorIxEEZZNS1_9scan_implILNS1_25lookback_scan_determinismE0ELb1ELb1ES3_N6thrust23THRUST_200600_302600_NS6detail15normal_iteratorINS9_10device_ptrIxEEEENS9_16discard_iteratorINS9_11use_defaultEEEx11max_functorIxExEEDaPvRmT3_T4_T5_mT6_P12ihipStream_tbENKUlT_T0_E_clISt17integral_constantIbLb0EESX_EEDaSS_ST_EUlSS_E0_NS1_11comp_targetILNS1_3genE4ELNS1_11target_archE910ELNS1_3gpuE8ELNS1_3repE0EEENS1_30default_config_static_selectorELNS0_4arch9wavefront6targetE1EEEvT1_
		.amdhsa_group_segment_fixed_size 7168
		.amdhsa_private_segment_fixed_size 0
		.amdhsa_kernarg_size 48
		.amdhsa_user_sgpr_count 6
		.amdhsa_user_sgpr_private_segment_buffer 1
		.amdhsa_user_sgpr_dispatch_ptr 0
		.amdhsa_user_sgpr_queue_ptr 0
		.amdhsa_user_sgpr_kernarg_segment_ptr 1
		.amdhsa_user_sgpr_dispatch_id 0
		.amdhsa_user_sgpr_flat_scratch_init 0
		.amdhsa_user_sgpr_kernarg_preload_length 0
		.amdhsa_user_sgpr_kernarg_preload_offset 0
		.amdhsa_user_sgpr_private_segment_size 0
		.amdhsa_uses_dynamic_stack 0
		.amdhsa_system_sgpr_private_segment_wavefront_offset 0
		.amdhsa_system_sgpr_workgroup_id_x 1
		.amdhsa_system_sgpr_workgroup_id_y 0
		.amdhsa_system_sgpr_workgroup_id_z 0
		.amdhsa_system_sgpr_workgroup_info 0
		.amdhsa_system_vgpr_workitem_id 0
		.amdhsa_next_free_vgpr 29
		.amdhsa_next_free_sgpr 10
		.amdhsa_accum_offset 32
		.amdhsa_reserve_vcc 1
		.amdhsa_reserve_flat_scratch 0
		.amdhsa_float_round_mode_32 0
		.amdhsa_float_round_mode_16_64 0
		.amdhsa_float_denorm_mode_32 3
		.amdhsa_float_denorm_mode_16_64 3
		.amdhsa_dx10_clamp 1
		.amdhsa_ieee_mode 1
		.amdhsa_fp16_overflow 0
		.amdhsa_tg_split 0
		.amdhsa_exception_fp_ieee_invalid_op 0
		.amdhsa_exception_fp_denorm_src 0
		.amdhsa_exception_fp_ieee_div_zero 0
		.amdhsa_exception_fp_ieee_overflow 0
		.amdhsa_exception_fp_ieee_underflow 0
		.amdhsa_exception_fp_ieee_inexact 0
		.amdhsa_exception_int_div_zero 0
	.end_amdhsa_kernel
	.section	.text._ZN7rocprim17ROCPRIM_400000_NS6detail17trampoline_kernelINS0_14default_configENS1_20scan_config_selectorIxEEZZNS1_9scan_implILNS1_25lookback_scan_determinismE0ELb1ELb1ES3_N6thrust23THRUST_200600_302600_NS6detail15normal_iteratorINS9_10device_ptrIxEEEENS9_16discard_iteratorINS9_11use_defaultEEEx11max_functorIxExEEDaPvRmT3_T4_T5_mT6_P12ihipStream_tbENKUlT_T0_E_clISt17integral_constantIbLb0EESX_EEDaSS_ST_EUlSS_E0_NS1_11comp_targetILNS1_3genE4ELNS1_11target_archE910ELNS1_3gpuE8ELNS1_3repE0EEENS1_30default_config_static_selectorELNS0_4arch9wavefront6targetE1EEEvT1_,"axG",@progbits,_ZN7rocprim17ROCPRIM_400000_NS6detail17trampoline_kernelINS0_14default_configENS1_20scan_config_selectorIxEEZZNS1_9scan_implILNS1_25lookback_scan_determinismE0ELb1ELb1ES3_N6thrust23THRUST_200600_302600_NS6detail15normal_iteratorINS9_10device_ptrIxEEEENS9_16discard_iteratorINS9_11use_defaultEEEx11max_functorIxExEEDaPvRmT3_T4_T5_mT6_P12ihipStream_tbENKUlT_T0_E_clISt17integral_constantIbLb0EESX_EEDaSS_ST_EUlSS_E0_NS1_11comp_targetILNS1_3genE4ELNS1_11target_archE910ELNS1_3gpuE8ELNS1_3repE0EEENS1_30default_config_static_selectorELNS0_4arch9wavefront6targetE1EEEvT1_,comdat
.Lfunc_end3793:
	.size	_ZN7rocprim17ROCPRIM_400000_NS6detail17trampoline_kernelINS0_14default_configENS1_20scan_config_selectorIxEEZZNS1_9scan_implILNS1_25lookback_scan_determinismE0ELb1ELb1ES3_N6thrust23THRUST_200600_302600_NS6detail15normal_iteratorINS9_10device_ptrIxEEEENS9_16discard_iteratorINS9_11use_defaultEEEx11max_functorIxExEEDaPvRmT3_T4_T5_mT6_P12ihipStream_tbENKUlT_T0_E_clISt17integral_constantIbLb0EESX_EEDaSS_ST_EUlSS_E0_NS1_11comp_targetILNS1_3genE4ELNS1_11target_archE910ELNS1_3gpuE8ELNS1_3repE0EEENS1_30default_config_static_selectorELNS0_4arch9wavefront6targetE1EEEvT1_, .Lfunc_end3793-_ZN7rocprim17ROCPRIM_400000_NS6detail17trampoline_kernelINS0_14default_configENS1_20scan_config_selectorIxEEZZNS1_9scan_implILNS1_25lookback_scan_determinismE0ELb1ELb1ES3_N6thrust23THRUST_200600_302600_NS6detail15normal_iteratorINS9_10device_ptrIxEEEENS9_16discard_iteratorINS9_11use_defaultEEEx11max_functorIxExEEDaPvRmT3_T4_T5_mT6_P12ihipStream_tbENKUlT_T0_E_clISt17integral_constantIbLb0EESX_EEDaSS_ST_EUlSS_E0_NS1_11comp_targetILNS1_3genE4ELNS1_11target_archE910ELNS1_3gpuE8ELNS1_3repE0EEENS1_30default_config_static_selectorELNS0_4arch9wavefront6targetE1EEEvT1_
                                        ; -- End function
	.section	.AMDGPU.csdata,"",@progbits
; Kernel info:
; codeLenInByte = 1188
; NumSgprs: 14
; NumVgprs: 29
; NumAgprs: 0
; TotalNumVgprs: 29
; ScratchSize: 0
; MemoryBound: 0
; FloatMode: 240
; IeeeMode: 1
; LDSByteSize: 7168 bytes/workgroup (compile time only)
; SGPRBlocks: 1
; VGPRBlocks: 3
; NumSGPRsForWavesPerEU: 14
; NumVGPRsForWavesPerEU: 29
; AccumOffset: 32
; Occupancy: 5
; WaveLimiterHint : 0
; COMPUTE_PGM_RSRC2:SCRATCH_EN: 0
; COMPUTE_PGM_RSRC2:USER_SGPR: 6
; COMPUTE_PGM_RSRC2:TRAP_HANDLER: 0
; COMPUTE_PGM_RSRC2:TGID_X_EN: 1
; COMPUTE_PGM_RSRC2:TGID_Y_EN: 0
; COMPUTE_PGM_RSRC2:TGID_Z_EN: 0
; COMPUTE_PGM_RSRC2:TIDIG_COMP_CNT: 0
; COMPUTE_PGM_RSRC3_GFX90A:ACCUM_OFFSET: 7
; COMPUTE_PGM_RSRC3_GFX90A:TG_SPLIT: 0
	.section	.text._ZN7rocprim17ROCPRIM_400000_NS6detail17trampoline_kernelINS0_14default_configENS1_20scan_config_selectorIxEEZZNS1_9scan_implILNS1_25lookback_scan_determinismE0ELb1ELb1ES3_N6thrust23THRUST_200600_302600_NS6detail15normal_iteratorINS9_10device_ptrIxEEEENS9_16discard_iteratorINS9_11use_defaultEEEx11max_functorIxExEEDaPvRmT3_T4_T5_mT6_P12ihipStream_tbENKUlT_T0_E_clISt17integral_constantIbLb0EESX_EEDaSS_ST_EUlSS_E0_NS1_11comp_targetILNS1_3genE3ELNS1_11target_archE908ELNS1_3gpuE7ELNS1_3repE0EEENS1_30default_config_static_selectorELNS0_4arch9wavefront6targetE1EEEvT1_,"axG",@progbits,_ZN7rocprim17ROCPRIM_400000_NS6detail17trampoline_kernelINS0_14default_configENS1_20scan_config_selectorIxEEZZNS1_9scan_implILNS1_25lookback_scan_determinismE0ELb1ELb1ES3_N6thrust23THRUST_200600_302600_NS6detail15normal_iteratorINS9_10device_ptrIxEEEENS9_16discard_iteratorINS9_11use_defaultEEEx11max_functorIxExEEDaPvRmT3_T4_T5_mT6_P12ihipStream_tbENKUlT_T0_E_clISt17integral_constantIbLb0EESX_EEDaSS_ST_EUlSS_E0_NS1_11comp_targetILNS1_3genE3ELNS1_11target_archE908ELNS1_3gpuE7ELNS1_3repE0EEENS1_30default_config_static_selectorELNS0_4arch9wavefront6targetE1EEEvT1_,comdat
	.protected	_ZN7rocprim17ROCPRIM_400000_NS6detail17trampoline_kernelINS0_14default_configENS1_20scan_config_selectorIxEEZZNS1_9scan_implILNS1_25lookback_scan_determinismE0ELb1ELb1ES3_N6thrust23THRUST_200600_302600_NS6detail15normal_iteratorINS9_10device_ptrIxEEEENS9_16discard_iteratorINS9_11use_defaultEEEx11max_functorIxExEEDaPvRmT3_T4_T5_mT6_P12ihipStream_tbENKUlT_T0_E_clISt17integral_constantIbLb0EESX_EEDaSS_ST_EUlSS_E0_NS1_11comp_targetILNS1_3genE3ELNS1_11target_archE908ELNS1_3gpuE7ELNS1_3repE0EEENS1_30default_config_static_selectorELNS0_4arch9wavefront6targetE1EEEvT1_ ; -- Begin function _ZN7rocprim17ROCPRIM_400000_NS6detail17trampoline_kernelINS0_14default_configENS1_20scan_config_selectorIxEEZZNS1_9scan_implILNS1_25lookback_scan_determinismE0ELb1ELb1ES3_N6thrust23THRUST_200600_302600_NS6detail15normal_iteratorINS9_10device_ptrIxEEEENS9_16discard_iteratorINS9_11use_defaultEEEx11max_functorIxExEEDaPvRmT3_T4_T5_mT6_P12ihipStream_tbENKUlT_T0_E_clISt17integral_constantIbLb0EESX_EEDaSS_ST_EUlSS_E0_NS1_11comp_targetILNS1_3genE3ELNS1_11target_archE908ELNS1_3gpuE7ELNS1_3repE0EEENS1_30default_config_static_selectorELNS0_4arch9wavefront6targetE1EEEvT1_
	.globl	_ZN7rocprim17ROCPRIM_400000_NS6detail17trampoline_kernelINS0_14default_configENS1_20scan_config_selectorIxEEZZNS1_9scan_implILNS1_25lookback_scan_determinismE0ELb1ELb1ES3_N6thrust23THRUST_200600_302600_NS6detail15normal_iteratorINS9_10device_ptrIxEEEENS9_16discard_iteratorINS9_11use_defaultEEEx11max_functorIxExEEDaPvRmT3_T4_T5_mT6_P12ihipStream_tbENKUlT_T0_E_clISt17integral_constantIbLb0EESX_EEDaSS_ST_EUlSS_E0_NS1_11comp_targetILNS1_3genE3ELNS1_11target_archE908ELNS1_3gpuE7ELNS1_3repE0EEENS1_30default_config_static_selectorELNS0_4arch9wavefront6targetE1EEEvT1_
	.p2align	8
	.type	_ZN7rocprim17ROCPRIM_400000_NS6detail17trampoline_kernelINS0_14default_configENS1_20scan_config_selectorIxEEZZNS1_9scan_implILNS1_25lookback_scan_determinismE0ELb1ELb1ES3_N6thrust23THRUST_200600_302600_NS6detail15normal_iteratorINS9_10device_ptrIxEEEENS9_16discard_iteratorINS9_11use_defaultEEEx11max_functorIxExEEDaPvRmT3_T4_T5_mT6_P12ihipStream_tbENKUlT_T0_E_clISt17integral_constantIbLb0EESX_EEDaSS_ST_EUlSS_E0_NS1_11comp_targetILNS1_3genE3ELNS1_11target_archE908ELNS1_3gpuE7ELNS1_3repE0EEENS1_30default_config_static_selectorELNS0_4arch9wavefront6targetE1EEEvT1_,@function
_ZN7rocprim17ROCPRIM_400000_NS6detail17trampoline_kernelINS0_14default_configENS1_20scan_config_selectorIxEEZZNS1_9scan_implILNS1_25lookback_scan_determinismE0ELb1ELb1ES3_N6thrust23THRUST_200600_302600_NS6detail15normal_iteratorINS9_10device_ptrIxEEEENS9_16discard_iteratorINS9_11use_defaultEEEx11max_functorIxExEEDaPvRmT3_T4_T5_mT6_P12ihipStream_tbENKUlT_T0_E_clISt17integral_constantIbLb0EESX_EEDaSS_ST_EUlSS_E0_NS1_11comp_targetILNS1_3genE3ELNS1_11target_archE908ELNS1_3gpuE7ELNS1_3repE0EEENS1_30default_config_static_selectorELNS0_4arch9wavefront6targetE1EEEvT1_: ; @_ZN7rocprim17ROCPRIM_400000_NS6detail17trampoline_kernelINS0_14default_configENS1_20scan_config_selectorIxEEZZNS1_9scan_implILNS1_25lookback_scan_determinismE0ELb1ELb1ES3_N6thrust23THRUST_200600_302600_NS6detail15normal_iteratorINS9_10device_ptrIxEEEENS9_16discard_iteratorINS9_11use_defaultEEEx11max_functorIxExEEDaPvRmT3_T4_T5_mT6_P12ihipStream_tbENKUlT_T0_E_clISt17integral_constantIbLb0EESX_EEDaSS_ST_EUlSS_E0_NS1_11comp_targetILNS1_3genE3ELNS1_11target_archE908ELNS1_3gpuE7ELNS1_3repE0EEENS1_30default_config_static_selectorELNS0_4arch9wavefront6targetE1EEEvT1_
; %bb.0:
	.section	.rodata,"a",@progbits
	.p2align	6, 0x0
	.amdhsa_kernel _ZN7rocprim17ROCPRIM_400000_NS6detail17trampoline_kernelINS0_14default_configENS1_20scan_config_selectorIxEEZZNS1_9scan_implILNS1_25lookback_scan_determinismE0ELb1ELb1ES3_N6thrust23THRUST_200600_302600_NS6detail15normal_iteratorINS9_10device_ptrIxEEEENS9_16discard_iteratorINS9_11use_defaultEEEx11max_functorIxExEEDaPvRmT3_T4_T5_mT6_P12ihipStream_tbENKUlT_T0_E_clISt17integral_constantIbLb0EESX_EEDaSS_ST_EUlSS_E0_NS1_11comp_targetILNS1_3genE3ELNS1_11target_archE908ELNS1_3gpuE7ELNS1_3repE0EEENS1_30default_config_static_selectorELNS0_4arch9wavefront6targetE1EEEvT1_
		.amdhsa_group_segment_fixed_size 0
		.amdhsa_private_segment_fixed_size 0
		.amdhsa_kernarg_size 48
		.amdhsa_user_sgpr_count 6
		.amdhsa_user_sgpr_private_segment_buffer 1
		.amdhsa_user_sgpr_dispatch_ptr 0
		.amdhsa_user_sgpr_queue_ptr 0
		.amdhsa_user_sgpr_kernarg_segment_ptr 1
		.amdhsa_user_sgpr_dispatch_id 0
		.amdhsa_user_sgpr_flat_scratch_init 0
		.amdhsa_user_sgpr_kernarg_preload_length 0
		.amdhsa_user_sgpr_kernarg_preload_offset 0
		.amdhsa_user_sgpr_private_segment_size 0
		.amdhsa_uses_dynamic_stack 0
		.amdhsa_system_sgpr_private_segment_wavefront_offset 0
		.amdhsa_system_sgpr_workgroup_id_x 1
		.amdhsa_system_sgpr_workgroup_id_y 0
		.amdhsa_system_sgpr_workgroup_id_z 0
		.amdhsa_system_sgpr_workgroup_info 0
		.amdhsa_system_vgpr_workitem_id 0
		.amdhsa_next_free_vgpr 1
		.amdhsa_next_free_sgpr 0
		.amdhsa_accum_offset 4
		.amdhsa_reserve_vcc 0
		.amdhsa_reserve_flat_scratch 0
		.amdhsa_float_round_mode_32 0
		.amdhsa_float_round_mode_16_64 0
		.amdhsa_float_denorm_mode_32 3
		.amdhsa_float_denorm_mode_16_64 3
		.amdhsa_dx10_clamp 1
		.amdhsa_ieee_mode 1
		.amdhsa_fp16_overflow 0
		.amdhsa_tg_split 0
		.amdhsa_exception_fp_ieee_invalid_op 0
		.amdhsa_exception_fp_denorm_src 0
		.amdhsa_exception_fp_ieee_div_zero 0
		.amdhsa_exception_fp_ieee_overflow 0
		.amdhsa_exception_fp_ieee_underflow 0
		.amdhsa_exception_fp_ieee_inexact 0
		.amdhsa_exception_int_div_zero 0
	.end_amdhsa_kernel
	.section	.text._ZN7rocprim17ROCPRIM_400000_NS6detail17trampoline_kernelINS0_14default_configENS1_20scan_config_selectorIxEEZZNS1_9scan_implILNS1_25lookback_scan_determinismE0ELb1ELb1ES3_N6thrust23THRUST_200600_302600_NS6detail15normal_iteratorINS9_10device_ptrIxEEEENS9_16discard_iteratorINS9_11use_defaultEEEx11max_functorIxExEEDaPvRmT3_T4_T5_mT6_P12ihipStream_tbENKUlT_T0_E_clISt17integral_constantIbLb0EESX_EEDaSS_ST_EUlSS_E0_NS1_11comp_targetILNS1_3genE3ELNS1_11target_archE908ELNS1_3gpuE7ELNS1_3repE0EEENS1_30default_config_static_selectorELNS0_4arch9wavefront6targetE1EEEvT1_,"axG",@progbits,_ZN7rocprim17ROCPRIM_400000_NS6detail17trampoline_kernelINS0_14default_configENS1_20scan_config_selectorIxEEZZNS1_9scan_implILNS1_25lookback_scan_determinismE0ELb1ELb1ES3_N6thrust23THRUST_200600_302600_NS6detail15normal_iteratorINS9_10device_ptrIxEEEENS9_16discard_iteratorINS9_11use_defaultEEEx11max_functorIxExEEDaPvRmT3_T4_T5_mT6_P12ihipStream_tbENKUlT_T0_E_clISt17integral_constantIbLb0EESX_EEDaSS_ST_EUlSS_E0_NS1_11comp_targetILNS1_3genE3ELNS1_11target_archE908ELNS1_3gpuE7ELNS1_3repE0EEENS1_30default_config_static_selectorELNS0_4arch9wavefront6targetE1EEEvT1_,comdat
.Lfunc_end3794:
	.size	_ZN7rocprim17ROCPRIM_400000_NS6detail17trampoline_kernelINS0_14default_configENS1_20scan_config_selectorIxEEZZNS1_9scan_implILNS1_25lookback_scan_determinismE0ELb1ELb1ES3_N6thrust23THRUST_200600_302600_NS6detail15normal_iteratorINS9_10device_ptrIxEEEENS9_16discard_iteratorINS9_11use_defaultEEEx11max_functorIxExEEDaPvRmT3_T4_T5_mT6_P12ihipStream_tbENKUlT_T0_E_clISt17integral_constantIbLb0EESX_EEDaSS_ST_EUlSS_E0_NS1_11comp_targetILNS1_3genE3ELNS1_11target_archE908ELNS1_3gpuE7ELNS1_3repE0EEENS1_30default_config_static_selectorELNS0_4arch9wavefront6targetE1EEEvT1_, .Lfunc_end3794-_ZN7rocprim17ROCPRIM_400000_NS6detail17trampoline_kernelINS0_14default_configENS1_20scan_config_selectorIxEEZZNS1_9scan_implILNS1_25lookback_scan_determinismE0ELb1ELb1ES3_N6thrust23THRUST_200600_302600_NS6detail15normal_iteratorINS9_10device_ptrIxEEEENS9_16discard_iteratorINS9_11use_defaultEEEx11max_functorIxExEEDaPvRmT3_T4_T5_mT6_P12ihipStream_tbENKUlT_T0_E_clISt17integral_constantIbLb0EESX_EEDaSS_ST_EUlSS_E0_NS1_11comp_targetILNS1_3genE3ELNS1_11target_archE908ELNS1_3gpuE7ELNS1_3repE0EEENS1_30default_config_static_selectorELNS0_4arch9wavefront6targetE1EEEvT1_
                                        ; -- End function
	.section	.AMDGPU.csdata,"",@progbits
; Kernel info:
; codeLenInByte = 0
; NumSgprs: 4
; NumVgprs: 0
; NumAgprs: 0
; TotalNumVgprs: 0
; ScratchSize: 0
; MemoryBound: 0
; FloatMode: 240
; IeeeMode: 1
; LDSByteSize: 0 bytes/workgroup (compile time only)
; SGPRBlocks: 0
; VGPRBlocks: 0
; NumSGPRsForWavesPerEU: 4
; NumVGPRsForWavesPerEU: 1
; AccumOffset: 4
; Occupancy: 8
; WaveLimiterHint : 0
; COMPUTE_PGM_RSRC2:SCRATCH_EN: 0
; COMPUTE_PGM_RSRC2:USER_SGPR: 6
; COMPUTE_PGM_RSRC2:TRAP_HANDLER: 0
; COMPUTE_PGM_RSRC2:TGID_X_EN: 1
; COMPUTE_PGM_RSRC2:TGID_Y_EN: 0
; COMPUTE_PGM_RSRC2:TGID_Z_EN: 0
; COMPUTE_PGM_RSRC2:TIDIG_COMP_CNT: 0
; COMPUTE_PGM_RSRC3_GFX90A:ACCUM_OFFSET: 0
; COMPUTE_PGM_RSRC3_GFX90A:TG_SPLIT: 0
	.section	.text._ZN7rocprim17ROCPRIM_400000_NS6detail17trampoline_kernelINS0_14default_configENS1_20scan_config_selectorIxEEZZNS1_9scan_implILNS1_25lookback_scan_determinismE0ELb1ELb1ES3_N6thrust23THRUST_200600_302600_NS6detail15normal_iteratorINS9_10device_ptrIxEEEENS9_16discard_iteratorINS9_11use_defaultEEEx11max_functorIxExEEDaPvRmT3_T4_T5_mT6_P12ihipStream_tbENKUlT_T0_E_clISt17integral_constantIbLb0EESX_EEDaSS_ST_EUlSS_E0_NS1_11comp_targetILNS1_3genE2ELNS1_11target_archE906ELNS1_3gpuE6ELNS1_3repE0EEENS1_30default_config_static_selectorELNS0_4arch9wavefront6targetE1EEEvT1_,"axG",@progbits,_ZN7rocprim17ROCPRIM_400000_NS6detail17trampoline_kernelINS0_14default_configENS1_20scan_config_selectorIxEEZZNS1_9scan_implILNS1_25lookback_scan_determinismE0ELb1ELb1ES3_N6thrust23THRUST_200600_302600_NS6detail15normal_iteratorINS9_10device_ptrIxEEEENS9_16discard_iteratorINS9_11use_defaultEEEx11max_functorIxExEEDaPvRmT3_T4_T5_mT6_P12ihipStream_tbENKUlT_T0_E_clISt17integral_constantIbLb0EESX_EEDaSS_ST_EUlSS_E0_NS1_11comp_targetILNS1_3genE2ELNS1_11target_archE906ELNS1_3gpuE6ELNS1_3repE0EEENS1_30default_config_static_selectorELNS0_4arch9wavefront6targetE1EEEvT1_,comdat
	.protected	_ZN7rocprim17ROCPRIM_400000_NS6detail17trampoline_kernelINS0_14default_configENS1_20scan_config_selectorIxEEZZNS1_9scan_implILNS1_25lookback_scan_determinismE0ELb1ELb1ES3_N6thrust23THRUST_200600_302600_NS6detail15normal_iteratorINS9_10device_ptrIxEEEENS9_16discard_iteratorINS9_11use_defaultEEEx11max_functorIxExEEDaPvRmT3_T4_T5_mT6_P12ihipStream_tbENKUlT_T0_E_clISt17integral_constantIbLb0EESX_EEDaSS_ST_EUlSS_E0_NS1_11comp_targetILNS1_3genE2ELNS1_11target_archE906ELNS1_3gpuE6ELNS1_3repE0EEENS1_30default_config_static_selectorELNS0_4arch9wavefront6targetE1EEEvT1_ ; -- Begin function _ZN7rocprim17ROCPRIM_400000_NS6detail17trampoline_kernelINS0_14default_configENS1_20scan_config_selectorIxEEZZNS1_9scan_implILNS1_25lookback_scan_determinismE0ELb1ELb1ES3_N6thrust23THRUST_200600_302600_NS6detail15normal_iteratorINS9_10device_ptrIxEEEENS9_16discard_iteratorINS9_11use_defaultEEEx11max_functorIxExEEDaPvRmT3_T4_T5_mT6_P12ihipStream_tbENKUlT_T0_E_clISt17integral_constantIbLb0EESX_EEDaSS_ST_EUlSS_E0_NS1_11comp_targetILNS1_3genE2ELNS1_11target_archE906ELNS1_3gpuE6ELNS1_3repE0EEENS1_30default_config_static_selectorELNS0_4arch9wavefront6targetE1EEEvT1_
	.globl	_ZN7rocprim17ROCPRIM_400000_NS6detail17trampoline_kernelINS0_14default_configENS1_20scan_config_selectorIxEEZZNS1_9scan_implILNS1_25lookback_scan_determinismE0ELb1ELb1ES3_N6thrust23THRUST_200600_302600_NS6detail15normal_iteratorINS9_10device_ptrIxEEEENS9_16discard_iteratorINS9_11use_defaultEEEx11max_functorIxExEEDaPvRmT3_T4_T5_mT6_P12ihipStream_tbENKUlT_T0_E_clISt17integral_constantIbLb0EESX_EEDaSS_ST_EUlSS_E0_NS1_11comp_targetILNS1_3genE2ELNS1_11target_archE906ELNS1_3gpuE6ELNS1_3repE0EEENS1_30default_config_static_selectorELNS0_4arch9wavefront6targetE1EEEvT1_
	.p2align	8
	.type	_ZN7rocprim17ROCPRIM_400000_NS6detail17trampoline_kernelINS0_14default_configENS1_20scan_config_selectorIxEEZZNS1_9scan_implILNS1_25lookback_scan_determinismE0ELb1ELb1ES3_N6thrust23THRUST_200600_302600_NS6detail15normal_iteratorINS9_10device_ptrIxEEEENS9_16discard_iteratorINS9_11use_defaultEEEx11max_functorIxExEEDaPvRmT3_T4_T5_mT6_P12ihipStream_tbENKUlT_T0_E_clISt17integral_constantIbLb0EESX_EEDaSS_ST_EUlSS_E0_NS1_11comp_targetILNS1_3genE2ELNS1_11target_archE906ELNS1_3gpuE6ELNS1_3repE0EEENS1_30default_config_static_selectorELNS0_4arch9wavefront6targetE1EEEvT1_,@function
_ZN7rocprim17ROCPRIM_400000_NS6detail17trampoline_kernelINS0_14default_configENS1_20scan_config_selectorIxEEZZNS1_9scan_implILNS1_25lookback_scan_determinismE0ELb1ELb1ES3_N6thrust23THRUST_200600_302600_NS6detail15normal_iteratorINS9_10device_ptrIxEEEENS9_16discard_iteratorINS9_11use_defaultEEEx11max_functorIxExEEDaPvRmT3_T4_T5_mT6_P12ihipStream_tbENKUlT_T0_E_clISt17integral_constantIbLb0EESX_EEDaSS_ST_EUlSS_E0_NS1_11comp_targetILNS1_3genE2ELNS1_11target_archE906ELNS1_3gpuE6ELNS1_3repE0EEENS1_30default_config_static_selectorELNS0_4arch9wavefront6targetE1EEEvT1_: ; @_ZN7rocprim17ROCPRIM_400000_NS6detail17trampoline_kernelINS0_14default_configENS1_20scan_config_selectorIxEEZZNS1_9scan_implILNS1_25lookback_scan_determinismE0ELb1ELb1ES3_N6thrust23THRUST_200600_302600_NS6detail15normal_iteratorINS9_10device_ptrIxEEEENS9_16discard_iteratorINS9_11use_defaultEEEx11max_functorIxExEEDaPvRmT3_T4_T5_mT6_P12ihipStream_tbENKUlT_T0_E_clISt17integral_constantIbLb0EESX_EEDaSS_ST_EUlSS_E0_NS1_11comp_targetILNS1_3genE2ELNS1_11target_archE906ELNS1_3gpuE6ELNS1_3repE0EEENS1_30default_config_static_selectorELNS0_4arch9wavefront6targetE1EEEvT1_
; %bb.0:
	.section	.rodata,"a",@progbits
	.p2align	6, 0x0
	.amdhsa_kernel _ZN7rocprim17ROCPRIM_400000_NS6detail17trampoline_kernelINS0_14default_configENS1_20scan_config_selectorIxEEZZNS1_9scan_implILNS1_25lookback_scan_determinismE0ELb1ELb1ES3_N6thrust23THRUST_200600_302600_NS6detail15normal_iteratorINS9_10device_ptrIxEEEENS9_16discard_iteratorINS9_11use_defaultEEEx11max_functorIxExEEDaPvRmT3_T4_T5_mT6_P12ihipStream_tbENKUlT_T0_E_clISt17integral_constantIbLb0EESX_EEDaSS_ST_EUlSS_E0_NS1_11comp_targetILNS1_3genE2ELNS1_11target_archE906ELNS1_3gpuE6ELNS1_3repE0EEENS1_30default_config_static_selectorELNS0_4arch9wavefront6targetE1EEEvT1_
		.amdhsa_group_segment_fixed_size 0
		.amdhsa_private_segment_fixed_size 0
		.amdhsa_kernarg_size 48
		.amdhsa_user_sgpr_count 6
		.amdhsa_user_sgpr_private_segment_buffer 1
		.amdhsa_user_sgpr_dispatch_ptr 0
		.amdhsa_user_sgpr_queue_ptr 0
		.amdhsa_user_sgpr_kernarg_segment_ptr 1
		.amdhsa_user_sgpr_dispatch_id 0
		.amdhsa_user_sgpr_flat_scratch_init 0
		.amdhsa_user_sgpr_kernarg_preload_length 0
		.amdhsa_user_sgpr_kernarg_preload_offset 0
		.amdhsa_user_sgpr_private_segment_size 0
		.amdhsa_uses_dynamic_stack 0
		.amdhsa_system_sgpr_private_segment_wavefront_offset 0
		.amdhsa_system_sgpr_workgroup_id_x 1
		.amdhsa_system_sgpr_workgroup_id_y 0
		.amdhsa_system_sgpr_workgroup_id_z 0
		.amdhsa_system_sgpr_workgroup_info 0
		.amdhsa_system_vgpr_workitem_id 0
		.amdhsa_next_free_vgpr 1
		.amdhsa_next_free_sgpr 0
		.amdhsa_accum_offset 4
		.amdhsa_reserve_vcc 0
		.amdhsa_reserve_flat_scratch 0
		.amdhsa_float_round_mode_32 0
		.amdhsa_float_round_mode_16_64 0
		.amdhsa_float_denorm_mode_32 3
		.amdhsa_float_denorm_mode_16_64 3
		.amdhsa_dx10_clamp 1
		.amdhsa_ieee_mode 1
		.amdhsa_fp16_overflow 0
		.amdhsa_tg_split 0
		.amdhsa_exception_fp_ieee_invalid_op 0
		.amdhsa_exception_fp_denorm_src 0
		.amdhsa_exception_fp_ieee_div_zero 0
		.amdhsa_exception_fp_ieee_overflow 0
		.amdhsa_exception_fp_ieee_underflow 0
		.amdhsa_exception_fp_ieee_inexact 0
		.amdhsa_exception_int_div_zero 0
	.end_amdhsa_kernel
	.section	.text._ZN7rocprim17ROCPRIM_400000_NS6detail17trampoline_kernelINS0_14default_configENS1_20scan_config_selectorIxEEZZNS1_9scan_implILNS1_25lookback_scan_determinismE0ELb1ELb1ES3_N6thrust23THRUST_200600_302600_NS6detail15normal_iteratorINS9_10device_ptrIxEEEENS9_16discard_iteratorINS9_11use_defaultEEEx11max_functorIxExEEDaPvRmT3_T4_T5_mT6_P12ihipStream_tbENKUlT_T0_E_clISt17integral_constantIbLb0EESX_EEDaSS_ST_EUlSS_E0_NS1_11comp_targetILNS1_3genE2ELNS1_11target_archE906ELNS1_3gpuE6ELNS1_3repE0EEENS1_30default_config_static_selectorELNS0_4arch9wavefront6targetE1EEEvT1_,"axG",@progbits,_ZN7rocprim17ROCPRIM_400000_NS6detail17trampoline_kernelINS0_14default_configENS1_20scan_config_selectorIxEEZZNS1_9scan_implILNS1_25lookback_scan_determinismE0ELb1ELb1ES3_N6thrust23THRUST_200600_302600_NS6detail15normal_iteratorINS9_10device_ptrIxEEEENS9_16discard_iteratorINS9_11use_defaultEEEx11max_functorIxExEEDaPvRmT3_T4_T5_mT6_P12ihipStream_tbENKUlT_T0_E_clISt17integral_constantIbLb0EESX_EEDaSS_ST_EUlSS_E0_NS1_11comp_targetILNS1_3genE2ELNS1_11target_archE906ELNS1_3gpuE6ELNS1_3repE0EEENS1_30default_config_static_selectorELNS0_4arch9wavefront6targetE1EEEvT1_,comdat
.Lfunc_end3795:
	.size	_ZN7rocprim17ROCPRIM_400000_NS6detail17trampoline_kernelINS0_14default_configENS1_20scan_config_selectorIxEEZZNS1_9scan_implILNS1_25lookback_scan_determinismE0ELb1ELb1ES3_N6thrust23THRUST_200600_302600_NS6detail15normal_iteratorINS9_10device_ptrIxEEEENS9_16discard_iteratorINS9_11use_defaultEEEx11max_functorIxExEEDaPvRmT3_T4_T5_mT6_P12ihipStream_tbENKUlT_T0_E_clISt17integral_constantIbLb0EESX_EEDaSS_ST_EUlSS_E0_NS1_11comp_targetILNS1_3genE2ELNS1_11target_archE906ELNS1_3gpuE6ELNS1_3repE0EEENS1_30default_config_static_selectorELNS0_4arch9wavefront6targetE1EEEvT1_, .Lfunc_end3795-_ZN7rocprim17ROCPRIM_400000_NS6detail17trampoline_kernelINS0_14default_configENS1_20scan_config_selectorIxEEZZNS1_9scan_implILNS1_25lookback_scan_determinismE0ELb1ELb1ES3_N6thrust23THRUST_200600_302600_NS6detail15normal_iteratorINS9_10device_ptrIxEEEENS9_16discard_iteratorINS9_11use_defaultEEEx11max_functorIxExEEDaPvRmT3_T4_T5_mT6_P12ihipStream_tbENKUlT_T0_E_clISt17integral_constantIbLb0EESX_EEDaSS_ST_EUlSS_E0_NS1_11comp_targetILNS1_3genE2ELNS1_11target_archE906ELNS1_3gpuE6ELNS1_3repE0EEENS1_30default_config_static_selectorELNS0_4arch9wavefront6targetE1EEEvT1_
                                        ; -- End function
	.section	.AMDGPU.csdata,"",@progbits
; Kernel info:
; codeLenInByte = 0
; NumSgprs: 4
; NumVgprs: 0
; NumAgprs: 0
; TotalNumVgprs: 0
; ScratchSize: 0
; MemoryBound: 0
; FloatMode: 240
; IeeeMode: 1
; LDSByteSize: 0 bytes/workgroup (compile time only)
; SGPRBlocks: 0
; VGPRBlocks: 0
; NumSGPRsForWavesPerEU: 4
; NumVGPRsForWavesPerEU: 1
; AccumOffset: 4
; Occupancy: 8
; WaveLimiterHint : 0
; COMPUTE_PGM_RSRC2:SCRATCH_EN: 0
; COMPUTE_PGM_RSRC2:USER_SGPR: 6
; COMPUTE_PGM_RSRC2:TRAP_HANDLER: 0
; COMPUTE_PGM_RSRC2:TGID_X_EN: 1
; COMPUTE_PGM_RSRC2:TGID_Y_EN: 0
; COMPUTE_PGM_RSRC2:TGID_Z_EN: 0
; COMPUTE_PGM_RSRC2:TIDIG_COMP_CNT: 0
; COMPUTE_PGM_RSRC3_GFX90A:ACCUM_OFFSET: 0
; COMPUTE_PGM_RSRC3_GFX90A:TG_SPLIT: 0
	.section	.text._ZN7rocprim17ROCPRIM_400000_NS6detail17trampoline_kernelINS0_14default_configENS1_20scan_config_selectorIxEEZZNS1_9scan_implILNS1_25lookback_scan_determinismE0ELb1ELb1ES3_N6thrust23THRUST_200600_302600_NS6detail15normal_iteratorINS9_10device_ptrIxEEEENS9_16discard_iteratorINS9_11use_defaultEEEx11max_functorIxExEEDaPvRmT3_T4_T5_mT6_P12ihipStream_tbENKUlT_T0_E_clISt17integral_constantIbLb0EESX_EEDaSS_ST_EUlSS_E0_NS1_11comp_targetILNS1_3genE10ELNS1_11target_archE1201ELNS1_3gpuE5ELNS1_3repE0EEENS1_30default_config_static_selectorELNS0_4arch9wavefront6targetE1EEEvT1_,"axG",@progbits,_ZN7rocprim17ROCPRIM_400000_NS6detail17trampoline_kernelINS0_14default_configENS1_20scan_config_selectorIxEEZZNS1_9scan_implILNS1_25lookback_scan_determinismE0ELb1ELb1ES3_N6thrust23THRUST_200600_302600_NS6detail15normal_iteratorINS9_10device_ptrIxEEEENS9_16discard_iteratorINS9_11use_defaultEEEx11max_functorIxExEEDaPvRmT3_T4_T5_mT6_P12ihipStream_tbENKUlT_T0_E_clISt17integral_constantIbLb0EESX_EEDaSS_ST_EUlSS_E0_NS1_11comp_targetILNS1_3genE10ELNS1_11target_archE1201ELNS1_3gpuE5ELNS1_3repE0EEENS1_30default_config_static_selectorELNS0_4arch9wavefront6targetE1EEEvT1_,comdat
	.protected	_ZN7rocprim17ROCPRIM_400000_NS6detail17trampoline_kernelINS0_14default_configENS1_20scan_config_selectorIxEEZZNS1_9scan_implILNS1_25lookback_scan_determinismE0ELb1ELb1ES3_N6thrust23THRUST_200600_302600_NS6detail15normal_iteratorINS9_10device_ptrIxEEEENS9_16discard_iteratorINS9_11use_defaultEEEx11max_functorIxExEEDaPvRmT3_T4_T5_mT6_P12ihipStream_tbENKUlT_T0_E_clISt17integral_constantIbLb0EESX_EEDaSS_ST_EUlSS_E0_NS1_11comp_targetILNS1_3genE10ELNS1_11target_archE1201ELNS1_3gpuE5ELNS1_3repE0EEENS1_30default_config_static_selectorELNS0_4arch9wavefront6targetE1EEEvT1_ ; -- Begin function _ZN7rocprim17ROCPRIM_400000_NS6detail17trampoline_kernelINS0_14default_configENS1_20scan_config_selectorIxEEZZNS1_9scan_implILNS1_25lookback_scan_determinismE0ELb1ELb1ES3_N6thrust23THRUST_200600_302600_NS6detail15normal_iteratorINS9_10device_ptrIxEEEENS9_16discard_iteratorINS9_11use_defaultEEEx11max_functorIxExEEDaPvRmT3_T4_T5_mT6_P12ihipStream_tbENKUlT_T0_E_clISt17integral_constantIbLb0EESX_EEDaSS_ST_EUlSS_E0_NS1_11comp_targetILNS1_3genE10ELNS1_11target_archE1201ELNS1_3gpuE5ELNS1_3repE0EEENS1_30default_config_static_selectorELNS0_4arch9wavefront6targetE1EEEvT1_
	.globl	_ZN7rocprim17ROCPRIM_400000_NS6detail17trampoline_kernelINS0_14default_configENS1_20scan_config_selectorIxEEZZNS1_9scan_implILNS1_25lookback_scan_determinismE0ELb1ELb1ES3_N6thrust23THRUST_200600_302600_NS6detail15normal_iteratorINS9_10device_ptrIxEEEENS9_16discard_iteratorINS9_11use_defaultEEEx11max_functorIxExEEDaPvRmT3_T4_T5_mT6_P12ihipStream_tbENKUlT_T0_E_clISt17integral_constantIbLb0EESX_EEDaSS_ST_EUlSS_E0_NS1_11comp_targetILNS1_3genE10ELNS1_11target_archE1201ELNS1_3gpuE5ELNS1_3repE0EEENS1_30default_config_static_selectorELNS0_4arch9wavefront6targetE1EEEvT1_
	.p2align	8
	.type	_ZN7rocprim17ROCPRIM_400000_NS6detail17trampoline_kernelINS0_14default_configENS1_20scan_config_selectorIxEEZZNS1_9scan_implILNS1_25lookback_scan_determinismE0ELb1ELb1ES3_N6thrust23THRUST_200600_302600_NS6detail15normal_iteratorINS9_10device_ptrIxEEEENS9_16discard_iteratorINS9_11use_defaultEEEx11max_functorIxExEEDaPvRmT3_T4_T5_mT6_P12ihipStream_tbENKUlT_T0_E_clISt17integral_constantIbLb0EESX_EEDaSS_ST_EUlSS_E0_NS1_11comp_targetILNS1_3genE10ELNS1_11target_archE1201ELNS1_3gpuE5ELNS1_3repE0EEENS1_30default_config_static_selectorELNS0_4arch9wavefront6targetE1EEEvT1_,@function
_ZN7rocprim17ROCPRIM_400000_NS6detail17trampoline_kernelINS0_14default_configENS1_20scan_config_selectorIxEEZZNS1_9scan_implILNS1_25lookback_scan_determinismE0ELb1ELb1ES3_N6thrust23THRUST_200600_302600_NS6detail15normal_iteratorINS9_10device_ptrIxEEEENS9_16discard_iteratorINS9_11use_defaultEEEx11max_functorIxExEEDaPvRmT3_T4_T5_mT6_P12ihipStream_tbENKUlT_T0_E_clISt17integral_constantIbLb0EESX_EEDaSS_ST_EUlSS_E0_NS1_11comp_targetILNS1_3genE10ELNS1_11target_archE1201ELNS1_3gpuE5ELNS1_3repE0EEENS1_30default_config_static_selectorELNS0_4arch9wavefront6targetE1EEEvT1_: ; @_ZN7rocprim17ROCPRIM_400000_NS6detail17trampoline_kernelINS0_14default_configENS1_20scan_config_selectorIxEEZZNS1_9scan_implILNS1_25lookback_scan_determinismE0ELb1ELb1ES3_N6thrust23THRUST_200600_302600_NS6detail15normal_iteratorINS9_10device_ptrIxEEEENS9_16discard_iteratorINS9_11use_defaultEEEx11max_functorIxExEEDaPvRmT3_T4_T5_mT6_P12ihipStream_tbENKUlT_T0_E_clISt17integral_constantIbLb0EESX_EEDaSS_ST_EUlSS_E0_NS1_11comp_targetILNS1_3genE10ELNS1_11target_archE1201ELNS1_3gpuE5ELNS1_3repE0EEENS1_30default_config_static_selectorELNS0_4arch9wavefront6targetE1EEEvT1_
; %bb.0:
	.section	.rodata,"a",@progbits
	.p2align	6, 0x0
	.amdhsa_kernel _ZN7rocprim17ROCPRIM_400000_NS6detail17trampoline_kernelINS0_14default_configENS1_20scan_config_selectorIxEEZZNS1_9scan_implILNS1_25lookback_scan_determinismE0ELb1ELb1ES3_N6thrust23THRUST_200600_302600_NS6detail15normal_iteratorINS9_10device_ptrIxEEEENS9_16discard_iteratorINS9_11use_defaultEEEx11max_functorIxExEEDaPvRmT3_T4_T5_mT6_P12ihipStream_tbENKUlT_T0_E_clISt17integral_constantIbLb0EESX_EEDaSS_ST_EUlSS_E0_NS1_11comp_targetILNS1_3genE10ELNS1_11target_archE1201ELNS1_3gpuE5ELNS1_3repE0EEENS1_30default_config_static_selectorELNS0_4arch9wavefront6targetE1EEEvT1_
		.amdhsa_group_segment_fixed_size 0
		.amdhsa_private_segment_fixed_size 0
		.amdhsa_kernarg_size 48
		.amdhsa_user_sgpr_count 6
		.amdhsa_user_sgpr_private_segment_buffer 1
		.amdhsa_user_sgpr_dispatch_ptr 0
		.amdhsa_user_sgpr_queue_ptr 0
		.amdhsa_user_sgpr_kernarg_segment_ptr 1
		.amdhsa_user_sgpr_dispatch_id 0
		.amdhsa_user_sgpr_flat_scratch_init 0
		.amdhsa_user_sgpr_kernarg_preload_length 0
		.amdhsa_user_sgpr_kernarg_preload_offset 0
		.amdhsa_user_sgpr_private_segment_size 0
		.amdhsa_uses_dynamic_stack 0
		.amdhsa_system_sgpr_private_segment_wavefront_offset 0
		.amdhsa_system_sgpr_workgroup_id_x 1
		.amdhsa_system_sgpr_workgroup_id_y 0
		.amdhsa_system_sgpr_workgroup_id_z 0
		.amdhsa_system_sgpr_workgroup_info 0
		.amdhsa_system_vgpr_workitem_id 0
		.amdhsa_next_free_vgpr 1
		.amdhsa_next_free_sgpr 0
		.amdhsa_accum_offset 4
		.amdhsa_reserve_vcc 0
		.amdhsa_reserve_flat_scratch 0
		.amdhsa_float_round_mode_32 0
		.amdhsa_float_round_mode_16_64 0
		.amdhsa_float_denorm_mode_32 3
		.amdhsa_float_denorm_mode_16_64 3
		.amdhsa_dx10_clamp 1
		.amdhsa_ieee_mode 1
		.amdhsa_fp16_overflow 0
		.amdhsa_tg_split 0
		.amdhsa_exception_fp_ieee_invalid_op 0
		.amdhsa_exception_fp_denorm_src 0
		.amdhsa_exception_fp_ieee_div_zero 0
		.amdhsa_exception_fp_ieee_overflow 0
		.amdhsa_exception_fp_ieee_underflow 0
		.amdhsa_exception_fp_ieee_inexact 0
		.amdhsa_exception_int_div_zero 0
	.end_amdhsa_kernel
	.section	.text._ZN7rocprim17ROCPRIM_400000_NS6detail17trampoline_kernelINS0_14default_configENS1_20scan_config_selectorIxEEZZNS1_9scan_implILNS1_25lookback_scan_determinismE0ELb1ELb1ES3_N6thrust23THRUST_200600_302600_NS6detail15normal_iteratorINS9_10device_ptrIxEEEENS9_16discard_iteratorINS9_11use_defaultEEEx11max_functorIxExEEDaPvRmT3_T4_T5_mT6_P12ihipStream_tbENKUlT_T0_E_clISt17integral_constantIbLb0EESX_EEDaSS_ST_EUlSS_E0_NS1_11comp_targetILNS1_3genE10ELNS1_11target_archE1201ELNS1_3gpuE5ELNS1_3repE0EEENS1_30default_config_static_selectorELNS0_4arch9wavefront6targetE1EEEvT1_,"axG",@progbits,_ZN7rocprim17ROCPRIM_400000_NS6detail17trampoline_kernelINS0_14default_configENS1_20scan_config_selectorIxEEZZNS1_9scan_implILNS1_25lookback_scan_determinismE0ELb1ELb1ES3_N6thrust23THRUST_200600_302600_NS6detail15normal_iteratorINS9_10device_ptrIxEEEENS9_16discard_iteratorINS9_11use_defaultEEEx11max_functorIxExEEDaPvRmT3_T4_T5_mT6_P12ihipStream_tbENKUlT_T0_E_clISt17integral_constantIbLb0EESX_EEDaSS_ST_EUlSS_E0_NS1_11comp_targetILNS1_3genE10ELNS1_11target_archE1201ELNS1_3gpuE5ELNS1_3repE0EEENS1_30default_config_static_selectorELNS0_4arch9wavefront6targetE1EEEvT1_,comdat
.Lfunc_end3796:
	.size	_ZN7rocprim17ROCPRIM_400000_NS6detail17trampoline_kernelINS0_14default_configENS1_20scan_config_selectorIxEEZZNS1_9scan_implILNS1_25lookback_scan_determinismE0ELb1ELb1ES3_N6thrust23THRUST_200600_302600_NS6detail15normal_iteratorINS9_10device_ptrIxEEEENS9_16discard_iteratorINS9_11use_defaultEEEx11max_functorIxExEEDaPvRmT3_T4_T5_mT6_P12ihipStream_tbENKUlT_T0_E_clISt17integral_constantIbLb0EESX_EEDaSS_ST_EUlSS_E0_NS1_11comp_targetILNS1_3genE10ELNS1_11target_archE1201ELNS1_3gpuE5ELNS1_3repE0EEENS1_30default_config_static_selectorELNS0_4arch9wavefront6targetE1EEEvT1_, .Lfunc_end3796-_ZN7rocprim17ROCPRIM_400000_NS6detail17trampoline_kernelINS0_14default_configENS1_20scan_config_selectorIxEEZZNS1_9scan_implILNS1_25lookback_scan_determinismE0ELb1ELb1ES3_N6thrust23THRUST_200600_302600_NS6detail15normal_iteratorINS9_10device_ptrIxEEEENS9_16discard_iteratorINS9_11use_defaultEEEx11max_functorIxExEEDaPvRmT3_T4_T5_mT6_P12ihipStream_tbENKUlT_T0_E_clISt17integral_constantIbLb0EESX_EEDaSS_ST_EUlSS_E0_NS1_11comp_targetILNS1_3genE10ELNS1_11target_archE1201ELNS1_3gpuE5ELNS1_3repE0EEENS1_30default_config_static_selectorELNS0_4arch9wavefront6targetE1EEEvT1_
                                        ; -- End function
	.section	.AMDGPU.csdata,"",@progbits
; Kernel info:
; codeLenInByte = 0
; NumSgprs: 4
; NumVgprs: 0
; NumAgprs: 0
; TotalNumVgprs: 0
; ScratchSize: 0
; MemoryBound: 0
; FloatMode: 240
; IeeeMode: 1
; LDSByteSize: 0 bytes/workgroup (compile time only)
; SGPRBlocks: 0
; VGPRBlocks: 0
; NumSGPRsForWavesPerEU: 4
; NumVGPRsForWavesPerEU: 1
; AccumOffset: 4
; Occupancy: 8
; WaveLimiterHint : 0
; COMPUTE_PGM_RSRC2:SCRATCH_EN: 0
; COMPUTE_PGM_RSRC2:USER_SGPR: 6
; COMPUTE_PGM_RSRC2:TRAP_HANDLER: 0
; COMPUTE_PGM_RSRC2:TGID_X_EN: 1
; COMPUTE_PGM_RSRC2:TGID_Y_EN: 0
; COMPUTE_PGM_RSRC2:TGID_Z_EN: 0
; COMPUTE_PGM_RSRC2:TIDIG_COMP_CNT: 0
; COMPUTE_PGM_RSRC3_GFX90A:ACCUM_OFFSET: 0
; COMPUTE_PGM_RSRC3_GFX90A:TG_SPLIT: 0
	.section	.text._ZN7rocprim17ROCPRIM_400000_NS6detail17trampoline_kernelINS0_14default_configENS1_20scan_config_selectorIxEEZZNS1_9scan_implILNS1_25lookback_scan_determinismE0ELb1ELb1ES3_N6thrust23THRUST_200600_302600_NS6detail15normal_iteratorINS9_10device_ptrIxEEEENS9_16discard_iteratorINS9_11use_defaultEEEx11max_functorIxExEEDaPvRmT3_T4_T5_mT6_P12ihipStream_tbENKUlT_T0_E_clISt17integral_constantIbLb0EESX_EEDaSS_ST_EUlSS_E0_NS1_11comp_targetILNS1_3genE10ELNS1_11target_archE1200ELNS1_3gpuE4ELNS1_3repE0EEENS1_30default_config_static_selectorELNS0_4arch9wavefront6targetE1EEEvT1_,"axG",@progbits,_ZN7rocprim17ROCPRIM_400000_NS6detail17trampoline_kernelINS0_14default_configENS1_20scan_config_selectorIxEEZZNS1_9scan_implILNS1_25lookback_scan_determinismE0ELb1ELb1ES3_N6thrust23THRUST_200600_302600_NS6detail15normal_iteratorINS9_10device_ptrIxEEEENS9_16discard_iteratorINS9_11use_defaultEEEx11max_functorIxExEEDaPvRmT3_T4_T5_mT6_P12ihipStream_tbENKUlT_T0_E_clISt17integral_constantIbLb0EESX_EEDaSS_ST_EUlSS_E0_NS1_11comp_targetILNS1_3genE10ELNS1_11target_archE1200ELNS1_3gpuE4ELNS1_3repE0EEENS1_30default_config_static_selectorELNS0_4arch9wavefront6targetE1EEEvT1_,comdat
	.protected	_ZN7rocprim17ROCPRIM_400000_NS6detail17trampoline_kernelINS0_14default_configENS1_20scan_config_selectorIxEEZZNS1_9scan_implILNS1_25lookback_scan_determinismE0ELb1ELb1ES3_N6thrust23THRUST_200600_302600_NS6detail15normal_iteratorINS9_10device_ptrIxEEEENS9_16discard_iteratorINS9_11use_defaultEEEx11max_functorIxExEEDaPvRmT3_T4_T5_mT6_P12ihipStream_tbENKUlT_T0_E_clISt17integral_constantIbLb0EESX_EEDaSS_ST_EUlSS_E0_NS1_11comp_targetILNS1_3genE10ELNS1_11target_archE1200ELNS1_3gpuE4ELNS1_3repE0EEENS1_30default_config_static_selectorELNS0_4arch9wavefront6targetE1EEEvT1_ ; -- Begin function _ZN7rocprim17ROCPRIM_400000_NS6detail17trampoline_kernelINS0_14default_configENS1_20scan_config_selectorIxEEZZNS1_9scan_implILNS1_25lookback_scan_determinismE0ELb1ELb1ES3_N6thrust23THRUST_200600_302600_NS6detail15normal_iteratorINS9_10device_ptrIxEEEENS9_16discard_iteratorINS9_11use_defaultEEEx11max_functorIxExEEDaPvRmT3_T4_T5_mT6_P12ihipStream_tbENKUlT_T0_E_clISt17integral_constantIbLb0EESX_EEDaSS_ST_EUlSS_E0_NS1_11comp_targetILNS1_3genE10ELNS1_11target_archE1200ELNS1_3gpuE4ELNS1_3repE0EEENS1_30default_config_static_selectorELNS0_4arch9wavefront6targetE1EEEvT1_
	.globl	_ZN7rocprim17ROCPRIM_400000_NS6detail17trampoline_kernelINS0_14default_configENS1_20scan_config_selectorIxEEZZNS1_9scan_implILNS1_25lookback_scan_determinismE0ELb1ELb1ES3_N6thrust23THRUST_200600_302600_NS6detail15normal_iteratorINS9_10device_ptrIxEEEENS9_16discard_iteratorINS9_11use_defaultEEEx11max_functorIxExEEDaPvRmT3_T4_T5_mT6_P12ihipStream_tbENKUlT_T0_E_clISt17integral_constantIbLb0EESX_EEDaSS_ST_EUlSS_E0_NS1_11comp_targetILNS1_3genE10ELNS1_11target_archE1200ELNS1_3gpuE4ELNS1_3repE0EEENS1_30default_config_static_selectorELNS0_4arch9wavefront6targetE1EEEvT1_
	.p2align	8
	.type	_ZN7rocprim17ROCPRIM_400000_NS6detail17trampoline_kernelINS0_14default_configENS1_20scan_config_selectorIxEEZZNS1_9scan_implILNS1_25lookback_scan_determinismE0ELb1ELb1ES3_N6thrust23THRUST_200600_302600_NS6detail15normal_iteratorINS9_10device_ptrIxEEEENS9_16discard_iteratorINS9_11use_defaultEEEx11max_functorIxExEEDaPvRmT3_T4_T5_mT6_P12ihipStream_tbENKUlT_T0_E_clISt17integral_constantIbLb0EESX_EEDaSS_ST_EUlSS_E0_NS1_11comp_targetILNS1_3genE10ELNS1_11target_archE1200ELNS1_3gpuE4ELNS1_3repE0EEENS1_30default_config_static_selectorELNS0_4arch9wavefront6targetE1EEEvT1_,@function
_ZN7rocprim17ROCPRIM_400000_NS6detail17trampoline_kernelINS0_14default_configENS1_20scan_config_selectorIxEEZZNS1_9scan_implILNS1_25lookback_scan_determinismE0ELb1ELb1ES3_N6thrust23THRUST_200600_302600_NS6detail15normal_iteratorINS9_10device_ptrIxEEEENS9_16discard_iteratorINS9_11use_defaultEEEx11max_functorIxExEEDaPvRmT3_T4_T5_mT6_P12ihipStream_tbENKUlT_T0_E_clISt17integral_constantIbLb0EESX_EEDaSS_ST_EUlSS_E0_NS1_11comp_targetILNS1_3genE10ELNS1_11target_archE1200ELNS1_3gpuE4ELNS1_3repE0EEENS1_30default_config_static_selectorELNS0_4arch9wavefront6targetE1EEEvT1_: ; @_ZN7rocprim17ROCPRIM_400000_NS6detail17trampoline_kernelINS0_14default_configENS1_20scan_config_selectorIxEEZZNS1_9scan_implILNS1_25lookback_scan_determinismE0ELb1ELb1ES3_N6thrust23THRUST_200600_302600_NS6detail15normal_iteratorINS9_10device_ptrIxEEEENS9_16discard_iteratorINS9_11use_defaultEEEx11max_functorIxExEEDaPvRmT3_T4_T5_mT6_P12ihipStream_tbENKUlT_T0_E_clISt17integral_constantIbLb0EESX_EEDaSS_ST_EUlSS_E0_NS1_11comp_targetILNS1_3genE10ELNS1_11target_archE1200ELNS1_3gpuE4ELNS1_3repE0EEENS1_30default_config_static_selectorELNS0_4arch9wavefront6targetE1EEEvT1_
; %bb.0:
	.section	.rodata,"a",@progbits
	.p2align	6, 0x0
	.amdhsa_kernel _ZN7rocprim17ROCPRIM_400000_NS6detail17trampoline_kernelINS0_14default_configENS1_20scan_config_selectorIxEEZZNS1_9scan_implILNS1_25lookback_scan_determinismE0ELb1ELb1ES3_N6thrust23THRUST_200600_302600_NS6detail15normal_iteratorINS9_10device_ptrIxEEEENS9_16discard_iteratorINS9_11use_defaultEEEx11max_functorIxExEEDaPvRmT3_T4_T5_mT6_P12ihipStream_tbENKUlT_T0_E_clISt17integral_constantIbLb0EESX_EEDaSS_ST_EUlSS_E0_NS1_11comp_targetILNS1_3genE10ELNS1_11target_archE1200ELNS1_3gpuE4ELNS1_3repE0EEENS1_30default_config_static_selectorELNS0_4arch9wavefront6targetE1EEEvT1_
		.amdhsa_group_segment_fixed_size 0
		.amdhsa_private_segment_fixed_size 0
		.amdhsa_kernarg_size 48
		.amdhsa_user_sgpr_count 6
		.amdhsa_user_sgpr_private_segment_buffer 1
		.amdhsa_user_sgpr_dispatch_ptr 0
		.amdhsa_user_sgpr_queue_ptr 0
		.amdhsa_user_sgpr_kernarg_segment_ptr 1
		.amdhsa_user_sgpr_dispatch_id 0
		.amdhsa_user_sgpr_flat_scratch_init 0
		.amdhsa_user_sgpr_kernarg_preload_length 0
		.amdhsa_user_sgpr_kernarg_preload_offset 0
		.amdhsa_user_sgpr_private_segment_size 0
		.amdhsa_uses_dynamic_stack 0
		.amdhsa_system_sgpr_private_segment_wavefront_offset 0
		.amdhsa_system_sgpr_workgroup_id_x 1
		.amdhsa_system_sgpr_workgroup_id_y 0
		.amdhsa_system_sgpr_workgroup_id_z 0
		.amdhsa_system_sgpr_workgroup_info 0
		.amdhsa_system_vgpr_workitem_id 0
		.amdhsa_next_free_vgpr 1
		.amdhsa_next_free_sgpr 0
		.amdhsa_accum_offset 4
		.amdhsa_reserve_vcc 0
		.amdhsa_reserve_flat_scratch 0
		.amdhsa_float_round_mode_32 0
		.amdhsa_float_round_mode_16_64 0
		.amdhsa_float_denorm_mode_32 3
		.amdhsa_float_denorm_mode_16_64 3
		.amdhsa_dx10_clamp 1
		.amdhsa_ieee_mode 1
		.amdhsa_fp16_overflow 0
		.amdhsa_tg_split 0
		.amdhsa_exception_fp_ieee_invalid_op 0
		.amdhsa_exception_fp_denorm_src 0
		.amdhsa_exception_fp_ieee_div_zero 0
		.amdhsa_exception_fp_ieee_overflow 0
		.amdhsa_exception_fp_ieee_underflow 0
		.amdhsa_exception_fp_ieee_inexact 0
		.amdhsa_exception_int_div_zero 0
	.end_amdhsa_kernel
	.section	.text._ZN7rocprim17ROCPRIM_400000_NS6detail17trampoline_kernelINS0_14default_configENS1_20scan_config_selectorIxEEZZNS1_9scan_implILNS1_25lookback_scan_determinismE0ELb1ELb1ES3_N6thrust23THRUST_200600_302600_NS6detail15normal_iteratorINS9_10device_ptrIxEEEENS9_16discard_iteratorINS9_11use_defaultEEEx11max_functorIxExEEDaPvRmT3_T4_T5_mT6_P12ihipStream_tbENKUlT_T0_E_clISt17integral_constantIbLb0EESX_EEDaSS_ST_EUlSS_E0_NS1_11comp_targetILNS1_3genE10ELNS1_11target_archE1200ELNS1_3gpuE4ELNS1_3repE0EEENS1_30default_config_static_selectorELNS0_4arch9wavefront6targetE1EEEvT1_,"axG",@progbits,_ZN7rocprim17ROCPRIM_400000_NS6detail17trampoline_kernelINS0_14default_configENS1_20scan_config_selectorIxEEZZNS1_9scan_implILNS1_25lookback_scan_determinismE0ELb1ELb1ES3_N6thrust23THRUST_200600_302600_NS6detail15normal_iteratorINS9_10device_ptrIxEEEENS9_16discard_iteratorINS9_11use_defaultEEEx11max_functorIxExEEDaPvRmT3_T4_T5_mT6_P12ihipStream_tbENKUlT_T0_E_clISt17integral_constantIbLb0EESX_EEDaSS_ST_EUlSS_E0_NS1_11comp_targetILNS1_3genE10ELNS1_11target_archE1200ELNS1_3gpuE4ELNS1_3repE0EEENS1_30default_config_static_selectorELNS0_4arch9wavefront6targetE1EEEvT1_,comdat
.Lfunc_end3797:
	.size	_ZN7rocprim17ROCPRIM_400000_NS6detail17trampoline_kernelINS0_14default_configENS1_20scan_config_selectorIxEEZZNS1_9scan_implILNS1_25lookback_scan_determinismE0ELb1ELb1ES3_N6thrust23THRUST_200600_302600_NS6detail15normal_iteratorINS9_10device_ptrIxEEEENS9_16discard_iteratorINS9_11use_defaultEEEx11max_functorIxExEEDaPvRmT3_T4_T5_mT6_P12ihipStream_tbENKUlT_T0_E_clISt17integral_constantIbLb0EESX_EEDaSS_ST_EUlSS_E0_NS1_11comp_targetILNS1_3genE10ELNS1_11target_archE1200ELNS1_3gpuE4ELNS1_3repE0EEENS1_30default_config_static_selectorELNS0_4arch9wavefront6targetE1EEEvT1_, .Lfunc_end3797-_ZN7rocprim17ROCPRIM_400000_NS6detail17trampoline_kernelINS0_14default_configENS1_20scan_config_selectorIxEEZZNS1_9scan_implILNS1_25lookback_scan_determinismE0ELb1ELb1ES3_N6thrust23THRUST_200600_302600_NS6detail15normal_iteratorINS9_10device_ptrIxEEEENS9_16discard_iteratorINS9_11use_defaultEEEx11max_functorIxExEEDaPvRmT3_T4_T5_mT6_P12ihipStream_tbENKUlT_T0_E_clISt17integral_constantIbLb0EESX_EEDaSS_ST_EUlSS_E0_NS1_11comp_targetILNS1_3genE10ELNS1_11target_archE1200ELNS1_3gpuE4ELNS1_3repE0EEENS1_30default_config_static_selectorELNS0_4arch9wavefront6targetE1EEEvT1_
                                        ; -- End function
	.section	.AMDGPU.csdata,"",@progbits
; Kernel info:
; codeLenInByte = 0
; NumSgprs: 4
; NumVgprs: 0
; NumAgprs: 0
; TotalNumVgprs: 0
; ScratchSize: 0
; MemoryBound: 0
; FloatMode: 240
; IeeeMode: 1
; LDSByteSize: 0 bytes/workgroup (compile time only)
; SGPRBlocks: 0
; VGPRBlocks: 0
; NumSGPRsForWavesPerEU: 4
; NumVGPRsForWavesPerEU: 1
; AccumOffset: 4
; Occupancy: 8
; WaveLimiterHint : 0
; COMPUTE_PGM_RSRC2:SCRATCH_EN: 0
; COMPUTE_PGM_RSRC2:USER_SGPR: 6
; COMPUTE_PGM_RSRC2:TRAP_HANDLER: 0
; COMPUTE_PGM_RSRC2:TGID_X_EN: 1
; COMPUTE_PGM_RSRC2:TGID_Y_EN: 0
; COMPUTE_PGM_RSRC2:TGID_Z_EN: 0
; COMPUTE_PGM_RSRC2:TIDIG_COMP_CNT: 0
; COMPUTE_PGM_RSRC3_GFX90A:ACCUM_OFFSET: 0
; COMPUTE_PGM_RSRC3_GFX90A:TG_SPLIT: 0
	.section	.text._ZN7rocprim17ROCPRIM_400000_NS6detail17trampoline_kernelINS0_14default_configENS1_20scan_config_selectorIxEEZZNS1_9scan_implILNS1_25lookback_scan_determinismE0ELb1ELb1ES3_N6thrust23THRUST_200600_302600_NS6detail15normal_iteratorINS9_10device_ptrIxEEEENS9_16discard_iteratorINS9_11use_defaultEEEx11max_functorIxExEEDaPvRmT3_T4_T5_mT6_P12ihipStream_tbENKUlT_T0_E_clISt17integral_constantIbLb0EESX_EEDaSS_ST_EUlSS_E0_NS1_11comp_targetILNS1_3genE9ELNS1_11target_archE1100ELNS1_3gpuE3ELNS1_3repE0EEENS1_30default_config_static_selectorELNS0_4arch9wavefront6targetE1EEEvT1_,"axG",@progbits,_ZN7rocprim17ROCPRIM_400000_NS6detail17trampoline_kernelINS0_14default_configENS1_20scan_config_selectorIxEEZZNS1_9scan_implILNS1_25lookback_scan_determinismE0ELb1ELb1ES3_N6thrust23THRUST_200600_302600_NS6detail15normal_iteratorINS9_10device_ptrIxEEEENS9_16discard_iteratorINS9_11use_defaultEEEx11max_functorIxExEEDaPvRmT3_T4_T5_mT6_P12ihipStream_tbENKUlT_T0_E_clISt17integral_constantIbLb0EESX_EEDaSS_ST_EUlSS_E0_NS1_11comp_targetILNS1_3genE9ELNS1_11target_archE1100ELNS1_3gpuE3ELNS1_3repE0EEENS1_30default_config_static_selectorELNS0_4arch9wavefront6targetE1EEEvT1_,comdat
	.protected	_ZN7rocprim17ROCPRIM_400000_NS6detail17trampoline_kernelINS0_14default_configENS1_20scan_config_selectorIxEEZZNS1_9scan_implILNS1_25lookback_scan_determinismE0ELb1ELb1ES3_N6thrust23THRUST_200600_302600_NS6detail15normal_iteratorINS9_10device_ptrIxEEEENS9_16discard_iteratorINS9_11use_defaultEEEx11max_functorIxExEEDaPvRmT3_T4_T5_mT6_P12ihipStream_tbENKUlT_T0_E_clISt17integral_constantIbLb0EESX_EEDaSS_ST_EUlSS_E0_NS1_11comp_targetILNS1_3genE9ELNS1_11target_archE1100ELNS1_3gpuE3ELNS1_3repE0EEENS1_30default_config_static_selectorELNS0_4arch9wavefront6targetE1EEEvT1_ ; -- Begin function _ZN7rocprim17ROCPRIM_400000_NS6detail17trampoline_kernelINS0_14default_configENS1_20scan_config_selectorIxEEZZNS1_9scan_implILNS1_25lookback_scan_determinismE0ELb1ELb1ES3_N6thrust23THRUST_200600_302600_NS6detail15normal_iteratorINS9_10device_ptrIxEEEENS9_16discard_iteratorINS9_11use_defaultEEEx11max_functorIxExEEDaPvRmT3_T4_T5_mT6_P12ihipStream_tbENKUlT_T0_E_clISt17integral_constantIbLb0EESX_EEDaSS_ST_EUlSS_E0_NS1_11comp_targetILNS1_3genE9ELNS1_11target_archE1100ELNS1_3gpuE3ELNS1_3repE0EEENS1_30default_config_static_selectorELNS0_4arch9wavefront6targetE1EEEvT1_
	.globl	_ZN7rocprim17ROCPRIM_400000_NS6detail17trampoline_kernelINS0_14default_configENS1_20scan_config_selectorIxEEZZNS1_9scan_implILNS1_25lookback_scan_determinismE0ELb1ELb1ES3_N6thrust23THRUST_200600_302600_NS6detail15normal_iteratorINS9_10device_ptrIxEEEENS9_16discard_iteratorINS9_11use_defaultEEEx11max_functorIxExEEDaPvRmT3_T4_T5_mT6_P12ihipStream_tbENKUlT_T0_E_clISt17integral_constantIbLb0EESX_EEDaSS_ST_EUlSS_E0_NS1_11comp_targetILNS1_3genE9ELNS1_11target_archE1100ELNS1_3gpuE3ELNS1_3repE0EEENS1_30default_config_static_selectorELNS0_4arch9wavefront6targetE1EEEvT1_
	.p2align	8
	.type	_ZN7rocprim17ROCPRIM_400000_NS6detail17trampoline_kernelINS0_14default_configENS1_20scan_config_selectorIxEEZZNS1_9scan_implILNS1_25lookback_scan_determinismE0ELb1ELb1ES3_N6thrust23THRUST_200600_302600_NS6detail15normal_iteratorINS9_10device_ptrIxEEEENS9_16discard_iteratorINS9_11use_defaultEEEx11max_functorIxExEEDaPvRmT3_T4_T5_mT6_P12ihipStream_tbENKUlT_T0_E_clISt17integral_constantIbLb0EESX_EEDaSS_ST_EUlSS_E0_NS1_11comp_targetILNS1_3genE9ELNS1_11target_archE1100ELNS1_3gpuE3ELNS1_3repE0EEENS1_30default_config_static_selectorELNS0_4arch9wavefront6targetE1EEEvT1_,@function
_ZN7rocprim17ROCPRIM_400000_NS6detail17trampoline_kernelINS0_14default_configENS1_20scan_config_selectorIxEEZZNS1_9scan_implILNS1_25lookback_scan_determinismE0ELb1ELb1ES3_N6thrust23THRUST_200600_302600_NS6detail15normal_iteratorINS9_10device_ptrIxEEEENS9_16discard_iteratorINS9_11use_defaultEEEx11max_functorIxExEEDaPvRmT3_T4_T5_mT6_P12ihipStream_tbENKUlT_T0_E_clISt17integral_constantIbLb0EESX_EEDaSS_ST_EUlSS_E0_NS1_11comp_targetILNS1_3genE9ELNS1_11target_archE1100ELNS1_3gpuE3ELNS1_3repE0EEENS1_30default_config_static_selectorELNS0_4arch9wavefront6targetE1EEEvT1_: ; @_ZN7rocprim17ROCPRIM_400000_NS6detail17trampoline_kernelINS0_14default_configENS1_20scan_config_selectorIxEEZZNS1_9scan_implILNS1_25lookback_scan_determinismE0ELb1ELb1ES3_N6thrust23THRUST_200600_302600_NS6detail15normal_iteratorINS9_10device_ptrIxEEEENS9_16discard_iteratorINS9_11use_defaultEEEx11max_functorIxExEEDaPvRmT3_T4_T5_mT6_P12ihipStream_tbENKUlT_T0_E_clISt17integral_constantIbLb0EESX_EEDaSS_ST_EUlSS_E0_NS1_11comp_targetILNS1_3genE9ELNS1_11target_archE1100ELNS1_3gpuE3ELNS1_3repE0EEENS1_30default_config_static_selectorELNS0_4arch9wavefront6targetE1EEEvT1_
; %bb.0:
	.section	.rodata,"a",@progbits
	.p2align	6, 0x0
	.amdhsa_kernel _ZN7rocprim17ROCPRIM_400000_NS6detail17trampoline_kernelINS0_14default_configENS1_20scan_config_selectorIxEEZZNS1_9scan_implILNS1_25lookback_scan_determinismE0ELb1ELb1ES3_N6thrust23THRUST_200600_302600_NS6detail15normal_iteratorINS9_10device_ptrIxEEEENS9_16discard_iteratorINS9_11use_defaultEEEx11max_functorIxExEEDaPvRmT3_T4_T5_mT6_P12ihipStream_tbENKUlT_T0_E_clISt17integral_constantIbLb0EESX_EEDaSS_ST_EUlSS_E0_NS1_11comp_targetILNS1_3genE9ELNS1_11target_archE1100ELNS1_3gpuE3ELNS1_3repE0EEENS1_30default_config_static_selectorELNS0_4arch9wavefront6targetE1EEEvT1_
		.amdhsa_group_segment_fixed_size 0
		.amdhsa_private_segment_fixed_size 0
		.amdhsa_kernarg_size 48
		.amdhsa_user_sgpr_count 6
		.amdhsa_user_sgpr_private_segment_buffer 1
		.amdhsa_user_sgpr_dispatch_ptr 0
		.amdhsa_user_sgpr_queue_ptr 0
		.amdhsa_user_sgpr_kernarg_segment_ptr 1
		.amdhsa_user_sgpr_dispatch_id 0
		.amdhsa_user_sgpr_flat_scratch_init 0
		.amdhsa_user_sgpr_kernarg_preload_length 0
		.amdhsa_user_sgpr_kernarg_preload_offset 0
		.amdhsa_user_sgpr_private_segment_size 0
		.amdhsa_uses_dynamic_stack 0
		.amdhsa_system_sgpr_private_segment_wavefront_offset 0
		.amdhsa_system_sgpr_workgroup_id_x 1
		.amdhsa_system_sgpr_workgroup_id_y 0
		.amdhsa_system_sgpr_workgroup_id_z 0
		.amdhsa_system_sgpr_workgroup_info 0
		.amdhsa_system_vgpr_workitem_id 0
		.amdhsa_next_free_vgpr 1
		.amdhsa_next_free_sgpr 0
		.amdhsa_accum_offset 4
		.amdhsa_reserve_vcc 0
		.amdhsa_reserve_flat_scratch 0
		.amdhsa_float_round_mode_32 0
		.amdhsa_float_round_mode_16_64 0
		.amdhsa_float_denorm_mode_32 3
		.amdhsa_float_denorm_mode_16_64 3
		.amdhsa_dx10_clamp 1
		.amdhsa_ieee_mode 1
		.amdhsa_fp16_overflow 0
		.amdhsa_tg_split 0
		.amdhsa_exception_fp_ieee_invalid_op 0
		.amdhsa_exception_fp_denorm_src 0
		.amdhsa_exception_fp_ieee_div_zero 0
		.amdhsa_exception_fp_ieee_overflow 0
		.amdhsa_exception_fp_ieee_underflow 0
		.amdhsa_exception_fp_ieee_inexact 0
		.amdhsa_exception_int_div_zero 0
	.end_amdhsa_kernel
	.section	.text._ZN7rocprim17ROCPRIM_400000_NS6detail17trampoline_kernelINS0_14default_configENS1_20scan_config_selectorIxEEZZNS1_9scan_implILNS1_25lookback_scan_determinismE0ELb1ELb1ES3_N6thrust23THRUST_200600_302600_NS6detail15normal_iteratorINS9_10device_ptrIxEEEENS9_16discard_iteratorINS9_11use_defaultEEEx11max_functorIxExEEDaPvRmT3_T4_T5_mT6_P12ihipStream_tbENKUlT_T0_E_clISt17integral_constantIbLb0EESX_EEDaSS_ST_EUlSS_E0_NS1_11comp_targetILNS1_3genE9ELNS1_11target_archE1100ELNS1_3gpuE3ELNS1_3repE0EEENS1_30default_config_static_selectorELNS0_4arch9wavefront6targetE1EEEvT1_,"axG",@progbits,_ZN7rocprim17ROCPRIM_400000_NS6detail17trampoline_kernelINS0_14default_configENS1_20scan_config_selectorIxEEZZNS1_9scan_implILNS1_25lookback_scan_determinismE0ELb1ELb1ES3_N6thrust23THRUST_200600_302600_NS6detail15normal_iteratorINS9_10device_ptrIxEEEENS9_16discard_iteratorINS9_11use_defaultEEEx11max_functorIxExEEDaPvRmT3_T4_T5_mT6_P12ihipStream_tbENKUlT_T0_E_clISt17integral_constantIbLb0EESX_EEDaSS_ST_EUlSS_E0_NS1_11comp_targetILNS1_3genE9ELNS1_11target_archE1100ELNS1_3gpuE3ELNS1_3repE0EEENS1_30default_config_static_selectorELNS0_4arch9wavefront6targetE1EEEvT1_,comdat
.Lfunc_end3798:
	.size	_ZN7rocprim17ROCPRIM_400000_NS6detail17trampoline_kernelINS0_14default_configENS1_20scan_config_selectorIxEEZZNS1_9scan_implILNS1_25lookback_scan_determinismE0ELb1ELb1ES3_N6thrust23THRUST_200600_302600_NS6detail15normal_iteratorINS9_10device_ptrIxEEEENS9_16discard_iteratorINS9_11use_defaultEEEx11max_functorIxExEEDaPvRmT3_T4_T5_mT6_P12ihipStream_tbENKUlT_T0_E_clISt17integral_constantIbLb0EESX_EEDaSS_ST_EUlSS_E0_NS1_11comp_targetILNS1_3genE9ELNS1_11target_archE1100ELNS1_3gpuE3ELNS1_3repE0EEENS1_30default_config_static_selectorELNS0_4arch9wavefront6targetE1EEEvT1_, .Lfunc_end3798-_ZN7rocprim17ROCPRIM_400000_NS6detail17trampoline_kernelINS0_14default_configENS1_20scan_config_selectorIxEEZZNS1_9scan_implILNS1_25lookback_scan_determinismE0ELb1ELb1ES3_N6thrust23THRUST_200600_302600_NS6detail15normal_iteratorINS9_10device_ptrIxEEEENS9_16discard_iteratorINS9_11use_defaultEEEx11max_functorIxExEEDaPvRmT3_T4_T5_mT6_P12ihipStream_tbENKUlT_T0_E_clISt17integral_constantIbLb0EESX_EEDaSS_ST_EUlSS_E0_NS1_11comp_targetILNS1_3genE9ELNS1_11target_archE1100ELNS1_3gpuE3ELNS1_3repE0EEENS1_30default_config_static_selectorELNS0_4arch9wavefront6targetE1EEEvT1_
                                        ; -- End function
	.section	.AMDGPU.csdata,"",@progbits
; Kernel info:
; codeLenInByte = 0
; NumSgprs: 4
; NumVgprs: 0
; NumAgprs: 0
; TotalNumVgprs: 0
; ScratchSize: 0
; MemoryBound: 0
; FloatMode: 240
; IeeeMode: 1
; LDSByteSize: 0 bytes/workgroup (compile time only)
; SGPRBlocks: 0
; VGPRBlocks: 0
; NumSGPRsForWavesPerEU: 4
; NumVGPRsForWavesPerEU: 1
; AccumOffset: 4
; Occupancy: 8
; WaveLimiterHint : 0
; COMPUTE_PGM_RSRC2:SCRATCH_EN: 0
; COMPUTE_PGM_RSRC2:USER_SGPR: 6
; COMPUTE_PGM_RSRC2:TRAP_HANDLER: 0
; COMPUTE_PGM_RSRC2:TGID_X_EN: 1
; COMPUTE_PGM_RSRC2:TGID_Y_EN: 0
; COMPUTE_PGM_RSRC2:TGID_Z_EN: 0
; COMPUTE_PGM_RSRC2:TIDIG_COMP_CNT: 0
; COMPUTE_PGM_RSRC3_GFX90A:ACCUM_OFFSET: 0
; COMPUTE_PGM_RSRC3_GFX90A:TG_SPLIT: 0
	.section	.text._ZN7rocprim17ROCPRIM_400000_NS6detail17trampoline_kernelINS0_14default_configENS1_20scan_config_selectorIxEEZZNS1_9scan_implILNS1_25lookback_scan_determinismE0ELb1ELb1ES3_N6thrust23THRUST_200600_302600_NS6detail15normal_iteratorINS9_10device_ptrIxEEEENS9_16discard_iteratorINS9_11use_defaultEEEx11max_functorIxExEEDaPvRmT3_T4_T5_mT6_P12ihipStream_tbENKUlT_T0_E_clISt17integral_constantIbLb0EESX_EEDaSS_ST_EUlSS_E0_NS1_11comp_targetILNS1_3genE8ELNS1_11target_archE1030ELNS1_3gpuE2ELNS1_3repE0EEENS1_30default_config_static_selectorELNS0_4arch9wavefront6targetE1EEEvT1_,"axG",@progbits,_ZN7rocprim17ROCPRIM_400000_NS6detail17trampoline_kernelINS0_14default_configENS1_20scan_config_selectorIxEEZZNS1_9scan_implILNS1_25lookback_scan_determinismE0ELb1ELb1ES3_N6thrust23THRUST_200600_302600_NS6detail15normal_iteratorINS9_10device_ptrIxEEEENS9_16discard_iteratorINS9_11use_defaultEEEx11max_functorIxExEEDaPvRmT3_T4_T5_mT6_P12ihipStream_tbENKUlT_T0_E_clISt17integral_constantIbLb0EESX_EEDaSS_ST_EUlSS_E0_NS1_11comp_targetILNS1_3genE8ELNS1_11target_archE1030ELNS1_3gpuE2ELNS1_3repE0EEENS1_30default_config_static_selectorELNS0_4arch9wavefront6targetE1EEEvT1_,comdat
	.protected	_ZN7rocprim17ROCPRIM_400000_NS6detail17trampoline_kernelINS0_14default_configENS1_20scan_config_selectorIxEEZZNS1_9scan_implILNS1_25lookback_scan_determinismE0ELb1ELb1ES3_N6thrust23THRUST_200600_302600_NS6detail15normal_iteratorINS9_10device_ptrIxEEEENS9_16discard_iteratorINS9_11use_defaultEEEx11max_functorIxExEEDaPvRmT3_T4_T5_mT6_P12ihipStream_tbENKUlT_T0_E_clISt17integral_constantIbLb0EESX_EEDaSS_ST_EUlSS_E0_NS1_11comp_targetILNS1_3genE8ELNS1_11target_archE1030ELNS1_3gpuE2ELNS1_3repE0EEENS1_30default_config_static_selectorELNS0_4arch9wavefront6targetE1EEEvT1_ ; -- Begin function _ZN7rocprim17ROCPRIM_400000_NS6detail17trampoline_kernelINS0_14default_configENS1_20scan_config_selectorIxEEZZNS1_9scan_implILNS1_25lookback_scan_determinismE0ELb1ELb1ES3_N6thrust23THRUST_200600_302600_NS6detail15normal_iteratorINS9_10device_ptrIxEEEENS9_16discard_iteratorINS9_11use_defaultEEEx11max_functorIxExEEDaPvRmT3_T4_T5_mT6_P12ihipStream_tbENKUlT_T0_E_clISt17integral_constantIbLb0EESX_EEDaSS_ST_EUlSS_E0_NS1_11comp_targetILNS1_3genE8ELNS1_11target_archE1030ELNS1_3gpuE2ELNS1_3repE0EEENS1_30default_config_static_selectorELNS0_4arch9wavefront6targetE1EEEvT1_
	.globl	_ZN7rocprim17ROCPRIM_400000_NS6detail17trampoline_kernelINS0_14default_configENS1_20scan_config_selectorIxEEZZNS1_9scan_implILNS1_25lookback_scan_determinismE0ELb1ELb1ES3_N6thrust23THRUST_200600_302600_NS6detail15normal_iteratorINS9_10device_ptrIxEEEENS9_16discard_iteratorINS9_11use_defaultEEEx11max_functorIxExEEDaPvRmT3_T4_T5_mT6_P12ihipStream_tbENKUlT_T0_E_clISt17integral_constantIbLb0EESX_EEDaSS_ST_EUlSS_E0_NS1_11comp_targetILNS1_3genE8ELNS1_11target_archE1030ELNS1_3gpuE2ELNS1_3repE0EEENS1_30default_config_static_selectorELNS0_4arch9wavefront6targetE1EEEvT1_
	.p2align	8
	.type	_ZN7rocprim17ROCPRIM_400000_NS6detail17trampoline_kernelINS0_14default_configENS1_20scan_config_selectorIxEEZZNS1_9scan_implILNS1_25lookback_scan_determinismE0ELb1ELb1ES3_N6thrust23THRUST_200600_302600_NS6detail15normal_iteratorINS9_10device_ptrIxEEEENS9_16discard_iteratorINS9_11use_defaultEEEx11max_functorIxExEEDaPvRmT3_T4_T5_mT6_P12ihipStream_tbENKUlT_T0_E_clISt17integral_constantIbLb0EESX_EEDaSS_ST_EUlSS_E0_NS1_11comp_targetILNS1_3genE8ELNS1_11target_archE1030ELNS1_3gpuE2ELNS1_3repE0EEENS1_30default_config_static_selectorELNS0_4arch9wavefront6targetE1EEEvT1_,@function
_ZN7rocprim17ROCPRIM_400000_NS6detail17trampoline_kernelINS0_14default_configENS1_20scan_config_selectorIxEEZZNS1_9scan_implILNS1_25lookback_scan_determinismE0ELb1ELb1ES3_N6thrust23THRUST_200600_302600_NS6detail15normal_iteratorINS9_10device_ptrIxEEEENS9_16discard_iteratorINS9_11use_defaultEEEx11max_functorIxExEEDaPvRmT3_T4_T5_mT6_P12ihipStream_tbENKUlT_T0_E_clISt17integral_constantIbLb0EESX_EEDaSS_ST_EUlSS_E0_NS1_11comp_targetILNS1_3genE8ELNS1_11target_archE1030ELNS1_3gpuE2ELNS1_3repE0EEENS1_30default_config_static_selectorELNS0_4arch9wavefront6targetE1EEEvT1_: ; @_ZN7rocprim17ROCPRIM_400000_NS6detail17trampoline_kernelINS0_14default_configENS1_20scan_config_selectorIxEEZZNS1_9scan_implILNS1_25lookback_scan_determinismE0ELb1ELb1ES3_N6thrust23THRUST_200600_302600_NS6detail15normal_iteratorINS9_10device_ptrIxEEEENS9_16discard_iteratorINS9_11use_defaultEEEx11max_functorIxExEEDaPvRmT3_T4_T5_mT6_P12ihipStream_tbENKUlT_T0_E_clISt17integral_constantIbLb0EESX_EEDaSS_ST_EUlSS_E0_NS1_11comp_targetILNS1_3genE8ELNS1_11target_archE1030ELNS1_3gpuE2ELNS1_3repE0EEENS1_30default_config_static_selectorELNS0_4arch9wavefront6targetE1EEEvT1_
; %bb.0:
	.section	.rodata,"a",@progbits
	.p2align	6, 0x0
	.amdhsa_kernel _ZN7rocprim17ROCPRIM_400000_NS6detail17trampoline_kernelINS0_14default_configENS1_20scan_config_selectorIxEEZZNS1_9scan_implILNS1_25lookback_scan_determinismE0ELb1ELb1ES3_N6thrust23THRUST_200600_302600_NS6detail15normal_iteratorINS9_10device_ptrIxEEEENS9_16discard_iteratorINS9_11use_defaultEEEx11max_functorIxExEEDaPvRmT3_T4_T5_mT6_P12ihipStream_tbENKUlT_T0_E_clISt17integral_constantIbLb0EESX_EEDaSS_ST_EUlSS_E0_NS1_11comp_targetILNS1_3genE8ELNS1_11target_archE1030ELNS1_3gpuE2ELNS1_3repE0EEENS1_30default_config_static_selectorELNS0_4arch9wavefront6targetE1EEEvT1_
		.amdhsa_group_segment_fixed_size 0
		.amdhsa_private_segment_fixed_size 0
		.amdhsa_kernarg_size 48
		.amdhsa_user_sgpr_count 6
		.amdhsa_user_sgpr_private_segment_buffer 1
		.amdhsa_user_sgpr_dispatch_ptr 0
		.amdhsa_user_sgpr_queue_ptr 0
		.amdhsa_user_sgpr_kernarg_segment_ptr 1
		.amdhsa_user_sgpr_dispatch_id 0
		.amdhsa_user_sgpr_flat_scratch_init 0
		.amdhsa_user_sgpr_kernarg_preload_length 0
		.amdhsa_user_sgpr_kernarg_preload_offset 0
		.amdhsa_user_sgpr_private_segment_size 0
		.amdhsa_uses_dynamic_stack 0
		.amdhsa_system_sgpr_private_segment_wavefront_offset 0
		.amdhsa_system_sgpr_workgroup_id_x 1
		.amdhsa_system_sgpr_workgroup_id_y 0
		.amdhsa_system_sgpr_workgroup_id_z 0
		.amdhsa_system_sgpr_workgroup_info 0
		.amdhsa_system_vgpr_workitem_id 0
		.amdhsa_next_free_vgpr 1
		.amdhsa_next_free_sgpr 0
		.amdhsa_accum_offset 4
		.amdhsa_reserve_vcc 0
		.amdhsa_reserve_flat_scratch 0
		.amdhsa_float_round_mode_32 0
		.amdhsa_float_round_mode_16_64 0
		.amdhsa_float_denorm_mode_32 3
		.amdhsa_float_denorm_mode_16_64 3
		.amdhsa_dx10_clamp 1
		.amdhsa_ieee_mode 1
		.amdhsa_fp16_overflow 0
		.amdhsa_tg_split 0
		.amdhsa_exception_fp_ieee_invalid_op 0
		.amdhsa_exception_fp_denorm_src 0
		.amdhsa_exception_fp_ieee_div_zero 0
		.amdhsa_exception_fp_ieee_overflow 0
		.amdhsa_exception_fp_ieee_underflow 0
		.amdhsa_exception_fp_ieee_inexact 0
		.amdhsa_exception_int_div_zero 0
	.end_amdhsa_kernel
	.section	.text._ZN7rocprim17ROCPRIM_400000_NS6detail17trampoline_kernelINS0_14default_configENS1_20scan_config_selectorIxEEZZNS1_9scan_implILNS1_25lookback_scan_determinismE0ELb1ELb1ES3_N6thrust23THRUST_200600_302600_NS6detail15normal_iteratorINS9_10device_ptrIxEEEENS9_16discard_iteratorINS9_11use_defaultEEEx11max_functorIxExEEDaPvRmT3_T4_T5_mT6_P12ihipStream_tbENKUlT_T0_E_clISt17integral_constantIbLb0EESX_EEDaSS_ST_EUlSS_E0_NS1_11comp_targetILNS1_3genE8ELNS1_11target_archE1030ELNS1_3gpuE2ELNS1_3repE0EEENS1_30default_config_static_selectorELNS0_4arch9wavefront6targetE1EEEvT1_,"axG",@progbits,_ZN7rocprim17ROCPRIM_400000_NS6detail17trampoline_kernelINS0_14default_configENS1_20scan_config_selectorIxEEZZNS1_9scan_implILNS1_25lookback_scan_determinismE0ELb1ELb1ES3_N6thrust23THRUST_200600_302600_NS6detail15normal_iteratorINS9_10device_ptrIxEEEENS9_16discard_iteratorINS9_11use_defaultEEEx11max_functorIxExEEDaPvRmT3_T4_T5_mT6_P12ihipStream_tbENKUlT_T0_E_clISt17integral_constantIbLb0EESX_EEDaSS_ST_EUlSS_E0_NS1_11comp_targetILNS1_3genE8ELNS1_11target_archE1030ELNS1_3gpuE2ELNS1_3repE0EEENS1_30default_config_static_selectorELNS0_4arch9wavefront6targetE1EEEvT1_,comdat
.Lfunc_end3799:
	.size	_ZN7rocprim17ROCPRIM_400000_NS6detail17trampoline_kernelINS0_14default_configENS1_20scan_config_selectorIxEEZZNS1_9scan_implILNS1_25lookback_scan_determinismE0ELb1ELb1ES3_N6thrust23THRUST_200600_302600_NS6detail15normal_iteratorINS9_10device_ptrIxEEEENS9_16discard_iteratorINS9_11use_defaultEEEx11max_functorIxExEEDaPvRmT3_T4_T5_mT6_P12ihipStream_tbENKUlT_T0_E_clISt17integral_constantIbLb0EESX_EEDaSS_ST_EUlSS_E0_NS1_11comp_targetILNS1_3genE8ELNS1_11target_archE1030ELNS1_3gpuE2ELNS1_3repE0EEENS1_30default_config_static_selectorELNS0_4arch9wavefront6targetE1EEEvT1_, .Lfunc_end3799-_ZN7rocprim17ROCPRIM_400000_NS6detail17trampoline_kernelINS0_14default_configENS1_20scan_config_selectorIxEEZZNS1_9scan_implILNS1_25lookback_scan_determinismE0ELb1ELb1ES3_N6thrust23THRUST_200600_302600_NS6detail15normal_iteratorINS9_10device_ptrIxEEEENS9_16discard_iteratorINS9_11use_defaultEEEx11max_functorIxExEEDaPvRmT3_T4_T5_mT6_P12ihipStream_tbENKUlT_T0_E_clISt17integral_constantIbLb0EESX_EEDaSS_ST_EUlSS_E0_NS1_11comp_targetILNS1_3genE8ELNS1_11target_archE1030ELNS1_3gpuE2ELNS1_3repE0EEENS1_30default_config_static_selectorELNS0_4arch9wavefront6targetE1EEEvT1_
                                        ; -- End function
	.section	.AMDGPU.csdata,"",@progbits
; Kernel info:
; codeLenInByte = 0
; NumSgprs: 4
; NumVgprs: 0
; NumAgprs: 0
; TotalNumVgprs: 0
; ScratchSize: 0
; MemoryBound: 0
; FloatMode: 240
; IeeeMode: 1
; LDSByteSize: 0 bytes/workgroup (compile time only)
; SGPRBlocks: 0
; VGPRBlocks: 0
; NumSGPRsForWavesPerEU: 4
; NumVGPRsForWavesPerEU: 1
; AccumOffset: 4
; Occupancy: 8
; WaveLimiterHint : 0
; COMPUTE_PGM_RSRC2:SCRATCH_EN: 0
; COMPUTE_PGM_RSRC2:USER_SGPR: 6
; COMPUTE_PGM_RSRC2:TRAP_HANDLER: 0
; COMPUTE_PGM_RSRC2:TGID_X_EN: 1
; COMPUTE_PGM_RSRC2:TGID_Y_EN: 0
; COMPUTE_PGM_RSRC2:TGID_Z_EN: 0
; COMPUTE_PGM_RSRC2:TIDIG_COMP_CNT: 0
; COMPUTE_PGM_RSRC3_GFX90A:ACCUM_OFFSET: 0
; COMPUTE_PGM_RSRC3_GFX90A:TG_SPLIT: 0
	.section	.text._ZN7rocprim17ROCPRIM_400000_NS6detail17trampoline_kernelINS0_14default_configENS1_20scan_config_selectorIxEEZZNS1_9scan_implILNS1_25lookback_scan_determinismE0ELb1ELb1ES3_N6thrust23THRUST_200600_302600_NS6detail15normal_iteratorINS9_10device_ptrIxEEEENS9_16discard_iteratorINS9_11use_defaultEEEx11max_functorIxExEEDaPvRmT3_T4_T5_mT6_P12ihipStream_tbENKUlT_T0_E_clISt17integral_constantIbLb1EESX_EEDaSS_ST_EUlSS_E_NS1_11comp_targetILNS1_3genE0ELNS1_11target_archE4294967295ELNS1_3gpuE0ELNS1_3repE0EEENS1_30default_config_static_selectorELNS0_4arch9wavefront6targetE1EEEvT1_,"axG",@progbits,_ZN7rocprim17ROCPRIM_400000_NS6detail17trampoline_kernelINS0_14default_configENS1_20scan_config_selectorIxEEZZNS1_9scan_implILNS1_25lookback_scan_determinismE0ELb1ELb1ES3_N6thrust23THRUST_200600_302600_NS6detail15normal_iteratorINS9_10device_ptrIxEEEENS9_16discard_iteratorINS9_11use_defaultEEEx11max_functorIxExEEDaPvRmT3_T4_T5_mT6_P12ihipStream_tbENKUlT_T0_E_clISt17integral_constantIbLb1EESX_EEDaSS_ST_EUlSS_E_NS1_11comp_targetILNS1_3genE0ELNS1_11target_archE4294967295ELNS1_3gpuE0ELNS1_3repE0EEENS1_30default_config_static_selectorELNS0_4arch9wavefront6targetE1EEEvT1_,comdat
	.protected	_ZN7rocprim17ROCPRIM_400000_NS6detail17trampoline_kernelINS0_14default_configENS1_20scan_config_selectorIxEEZZNS1_9scan_implILNS1_25lookback_scan_determinismE0ELb1ELb1ES3_N6thrust23THRUST_200600_302600_NS6detail15normal_iteratorINS9_10device_ptrIxEEEENS9_16discard_iteratorINS9_11use_defaultEEEx11max_functorIxExEEDaPvRmT3_T4_T5_mT6_P12ihipStream_tbENKUlT_T0_E_clISt17integral_constantIbLb1EESX_EEDaSS_ST_EUlSS_E_NS1_11comp_targetILNS1_3genE0ELNS1_11target_archE4294967295ELNS1_3gpuE0ELNS1_3repE0EEENS1_30default_config_static_selectorELNS0_4arch9wavefront6targetE1EEEvT1_ ; -- Begin function _ZN7rocprim17ROCPRIM_400000_NS6detail17trampoline_kernelINS0_14default_configENS1_20scan_config_selectorIxEEZZNS1_9scan_implILNS1_25lookback_scan_determinismE0ELb1ELb1ES3_N6thrust23THRUST_200600_302600_NS6detail15normal_iteratorINS9_10device_ptrIxEEEENS9_16discard_iteratorINS9_11use_defaultEEEx11max_functorIxExEEDaPvRmT3_T4_T5_mT6_P12ihipStream_tbENKUlT_T0_E_clISt17integral_constantIbLb1EESX_EEDaSS_ST_EUlSS_E_NS1_11comp_targetILNS1_3genE0ELNS1_11target_archE4294967295ELNS1_3gpuE0ELNS1_3repE0EEENS1_30default_config_static_selectorELNS0_4arch9wavefront6targetE1EEEvT1_
	.globl	_ZN7rocprim17ROCPRIM_400000_NS6detail17trampoline_kernelINS0_14default_configENS1_20scan_config_selectorIxEEZZNS1_9scan_implILNS1_25lookback_scan_determinismE0ELb1ELb1ES3_N6thrust23THRUST_200600_302600_NS6detail15normal_iteratorINS9_10device_ptrIxEEEENS9_16discard_iteratorINS9_11use_defaultEEEx11max_functorIxExEEDaPvRmT3_T4_T5_mT6_P12ihipStream_tbENKUlT_T0_E_clISt17integral_constantIbLb1EESX_EEDaSS_ST_EUlSS_E_NS1_11comp_targetILNS1_3genE0ELNS1_11target_archE4294967295ELNS1_3gpuE0ELNS1_3repE0EEENS1_30default_config_static_selectorELNS0_4arch9wavefront6targetE1EEEvT1_
	.p2align	8
	.type	_ZN7rocprim17ROCPRIM_400000_NS6detail17trampoline_kernelINS0_14default_configENS1_20scan_config_selectorIxEEZZNS1_9scan_implILNS1_25lookback_scan_determinismE0ELb1ELb1ES3_N6thrust23THRUST_200600_302600_NS6detail15normal_iteratorINS9_10device_ptrIxEEEENS9_16discard_iteratorINS9_11use_defaultEEEx11max_functorIxExEEDaPvRmT3_T4_T5_mT6_P12ihipStream_tbENKUlT_T0_E_clISt17integral_constantIbLb1EESX_EEDaSS_ST_EUlSS_E_NS1_11comp_targetILNS1_3genE0ELNS1_11target_archE4294967295ELNS1_3gpuE0ELNS1_3repE0EEENS1_30default_config_static_selectorELNS0_4arch9wavefront6targetE1EEEvT1_,@function
_ZN7rocprim17ROCPRIM_400000_NS6detail17trampoline_kernelINS0_14default_configENS1_20scan_config_selectorIxEEZZNS1_9scan_implILNS1_25lookback_scan_determinismE0ELb1ELb1ES3_N6thrust23THRUST_200600_302600_NS6detail15normal_iteratorINS9_10device_ptrIxEEEENS9_16discard_iteratorINS9_11use_defaultEEEx11max_functorIxExEEDaPvRmT3_T4_T5_mT6_P12ihipStream_tbENKUlT_T0_E_clISt17integral_constantIbLb1EESX_EEDaSS_ST_EUlSS_E_NS1_11comp_targetILNS1_3genE0ELNS1_11target_archE4294967295ELNS1_3gpuE0ELNS1_3repE0EEENS1_30default_config_static_selectorELNS0_4arch9wavefront6targetE1EEEvT1_: ; @_ZN7rocprim17ROCPRIM_400000_NS6detail17trampoline_kernelINS0_14default_configENS1_20scan_config_selectorIxEEZZNS1_9scan_implILNS1_25lookback_scan_determinismE0ELb1ELb1ES3_N6thrust23THRUST_200600_302600_NS6detail15normal_iteratorINS9_10device_ptrIxEEEENS9_16discard_iteratorINS9_11use_defaultEEEx11max_functorIxExEEDaPvRmT3_T4_T5_mT6_P12ihipStream_tbENKUlT_T0_E_clISt17integral_constantIbLb1EESX_EEDaSS_ST_EUlSS_E_NS1_11comp_targetILNS1_3genE0ELNS1_11target_archE4294967295ELNS1_3gpuE0ELNS1_3repE0EEENS1_30default_config_static_selectorELNS0_4arch9wavefront6targetE1EEEvT1_
; %bb.0:
	.section	.rodata,"a",@progbits
	.p2align	6, 0x0
	.amdhsa_kernel _ZN7rocprim17ROCPRIM_400000_NS6detail17trampoline_kernelINS0_14default_configENS1_20scan_config_selectorIxEEZZNS1_9scan_implILNS1_25lookback_scan_determinismE0ELb1ELb1ES3_N6thrust23THRUST_200600_302600_NS6detail15normal_iteratorINS9_10device_ptrIxEEEENS9_16discard_iteratorINS9_11use_defaultEEEx11max_functorIxExEEDaPvRmT3_T4_T5_mT6_P12ihipStream_tbENKUlT_T0_E_clISt17integral_constantIbLb1EESX_EEDaSS_ST_EUlSS_E_NS1_11comp_targetILNS1_3genE0ELNS1_11target_archE4294967295ELNS1_3gpuE0ELNS1_3repE0EEENS1_30default_config_static_selectorELNS0_4arch9wavefront6targetE1EEEvT1_
		.amdhsa_group_segment_fixed_size 0
		.amdhsa_private_segment_fixed_size 0
		.amdhsa_kernarg_size 112
		.amdhsa_user_sgpr_count 6
		.amdhsa_user_sgpr_private_segment_buffer 1
		.amdhsa_user_sgpr_dispatch_ptr 0
		.amdhsa_user_sgpr_queue_ptr 0
		.amdhsa_user_sgpr_kernarg_segment_ptr 1
		.amdhsa_user_sgpr_dispatch_id 0
		.amdhsa_user_sgpr_flat_scratch_init 0
		.amdhsa_user_sgpr_kernarg_preload_length 0
		.amdhsa_user_sgpr_kernarg_preload_offset 0
		.amdhsa_user_sgpr_private_segment_size 0
		.amdhsa_uses_dynamic_stack 0
		.amdhsa_system_sgpr_private_segment_wavefront_offset 0
		.amdhsa_system_sgpr_workgroup_id_x 1
		.amdhsa_system_sgpr_workgroup_id_y 0
		.amdhsa_system_sgpr_workgroup_id_z 0
		.amdhsa_system_sgpr_workgroup_info 0
		.amdhsa_system_vgpr_workitem_id 0
		.amdhsa_next_free_vgpr 1
		.amdhsa_next_free_sgpr 0
		.amdhsa_accum_offset 4
		.amdhsa_reserve_vcc 0
		.amdhsa_reserve_flat_scratch 0
		.amdhsa_float_round_mode_32 0
		.amdhsa_float_round_mode_16_64 0
		.amdhsa_float_denorm_mode_32 3
		.amdhsa_float_denorm_mode_16_64 3
		.amdhsa_dx10_clamp 1
		.amdhsa_ieee_mode 1
		.amdhsa_fp16_overflow 0
		.amdhsa_tg_split 0
		.amdhsa_exception_fp_ieee_invalid_op 0
		.amdhsa_exception_fp_denorm_src 0
		.amdhsa_exception_fp_ieee_div_zero 0
		.amdhsa_exception_fp_ieee_overflow 0
		.amdhsa_exception_fp_ieee_underflow 0
		.amdhsa_exception_fp_ieee_inexact 0
		.amdhsa_exception_int_div_zero 0
	.end_amdhsa_kernel
	.section	.text._ZN7rocprim17ROCPRIM_400000_NS6detail17trampoline_kernelINS0_14default_configENS1_20scan_config_selectorIxEEZZNS1_9scan_implILNS1_25lookback_scan_determinismE0ELb1ELb1ES3_N6thrust23THRUST_200600_302600_NS6detail15normal_iteratorINS9_10device_ptrIxEEEENS9_16discard_iteratorINS9_11use_defaultEEEx11max_functorIxExEEDaPvRmT3_T4_T5_mT6_P12ihipStream_tbENKUlT_T0_E_clISt17integral_constantIbLb1EESX_EEDaSS_ST_EUlSS_E_NS1_11comp_targetILNS1_3genE0ELNS1_11target_archE4294967295ELNS1_3gpuE0ELNS1_3repE0EEENS1_30default_config_static_selectorELNS0_4arch9wavefront6targetE1EEEvT1_,"axG",@progbits,_ZN7rocprim17ROCPRIM_400000_NS6detail17trampoline_kernelINS0_14default_configENS1_20scan_config_selectorIxEEZZNS1_9scan_implILNS1_25lookback_scan_determinismE0ELb1ELb1ES3_N6thrust23THRUST_200600_302600_NS6detail15normal_iteratorINS9_10device_ptrIxEEEENS9_16discard_iteratorINS9_11use_defaultEEEx11max_functorIxExEEDaPvRmT3_T4_T5_mT6_P12ihipStream_tbENKUlT_T0_E_clISt17integral_constantIbLb1EESX_EEDaSS_ST_EUlSS_E_NS1_11comp_targetILNS1_3genE0ELNS1_11target_archE4294967295ELNS1_3gpuE0ELNS1_3repE0EEENS1_30default_config_static_selectorELNS0_4arch9wavefront6targetE1EEEvT1_,comdat
.Lfunc_end3800:
	.size	_ZN7rocprim17ROCPRIM_400000_NS6detail17trampoline_kernelINS0_14default_configENS1_20scan_config_selectorIxEEZZNS1_9scan_implILNS1_25lookback_scan_determinismE0ELb1ELb1ES3_N6thrust23THRUST_200600_302600_NS6detail15normal_iteratorINS9_10device_ptrIxEEEENS9_16discard_iteratorINS9_11use_defaultEEEx11max_functorIxExEEDaPvRmT3_T4_T5_mT6_P12ihipStream_tbENKUlT_T0_E_clISt17integral_constantIbLb1EESX_EEDaSS_ST_EUlSS_E_NS1_11comp_targetILNS1_3genE0ELNS1_11target_archE4294967295ELNS1_3gpuE0ELNS1_3repE0EEENS1_30default_config_static_selectorELNS0_4arch9wavefront6targetE1EEEvT1_, .Lfunc_end3800-_ZN7rocprim17ROCPRIM_400000_NS6detail17trampoline_kernelINS0_14default_configENS1_20scan_config_selectorIxEEZZNS1_9scan_implILNS1_25lookback_scan_determinismE0ELb1ELb1ES3_N6thrust23THRUST_200600_302600_NS6detail15normal_iteratorINS9_10device_ptrIxEEEENS9_16discard_iteratorINS9_11use_defaultEEEx11max_functorIxExEEDaPvRmT3_T4_T5_mT6_P12ihipStream_tbENKUlT_T0_E_clISt17integral_constantIbLb1EESX_EEDaSS_ST_EUlSS_E_NS1_11comp_targetILNS1_3genE0ELNS1_11target_archE4294967295ELNS1_3gpuE0ELNS1_3repE0EEENS1_30default_config_static_selectorELNS0_4arch9wavefront6targetE1EEEvT1_
                                        ; -- End function
	.section	.AMDGPU.csdata,"",@progbits
; Kernel info:
; codeLenInByte = 0
; NumSgprs: 4
; NumVgprs: 0
; NumAgprs: 0
; TotalNumVgprs: 0
; ScratchSize: 0
; MemoryBound: 0
; FloatMode: 240
; IeeeMode: 1
; LDSByteSize: 0 bytes/workgroup (compile time only)
; SGPRBlocks: 0
; VGPRBlocks: 0
; NumSGPRsForWavesPerEU: 4
; NumVGPRsForWavesPerEU: 1
; AccumOffset: 4
; Occupancy: 8
; WaveLimiterHint : 0
; COMPUTE_PGM_RSRC2:SCRATCH_EN: 0
; COMPUTE_PGM_RSRC2:USER_SGPR: 6
; COMPUTE_PGM_RSRC2:TRAP_HANDLER: 0
; COMPUTE_PGM_RSRC2:TGID_X_EN: 1
; COMPUTE_PGM_RSRC2:TGID_Y_EN: 0
; COMPUTE_PGM_RSRC2:TGID_Z_EN: 0
; COMPUTE_PGM_RSRC2:TIDIG_COMP_CNT: 0
; COMPUTE_PGM_RSRC3_GFX90A:ACCUM_OFFSET: 0
; COMPUTE_PGM_RSRC3_GFX90A:TG_SPLIT: 0
	.section	.text._ZN7rocprim17ROCPRIM_400000_NS6detail17trampoline_kernelINS0_14default_configENS1_20scan_config_selectorIxEEZZNS1_9scan_implILNS1_25lookback_scan_determinismE0ELb1ELb1ES3_N6thrust23THRUST_200600_302600_NS6detail15normal_iteratorINS9_10device_ptrIxEEEENS9_16discard_iteratorINS9_11use_defaultEEEx11max_functorIxExEEDaPvRmT3_T4_T5_mT6_P12ihipStream_tbENKUlT_T0_E_clISt17integral_constantIbLb1EESX_EEDaSS_ST_EUlSS_E_NS1_11comp_targetILNS1_3genE5ELNS1_11target_archE942ELNS1_3gpuE9ELNS1_3repE0EEENS1_30default_config_static_selectorELNS0_4arch9wavefront6targetE1EEEvT1_,"axG",@progbits,_ZN7rocprim17ROCPRIM_400000_NS6detail17trampoline_kernelINS0_14default_configENS1_20scan_config_selectorIxEEZZNS1_9scan_implILNS1_25lookback_scan_determinismE0ELb1ELb1ES3_N6thrust23THRUST_200600_302600_NS6detail15normal_iteratorINS9_10device_ptrIxEEEENS9_16discard_iteratorINS9_11use_defaultEEEx11max_functorIxExEEDaPvRmT3_T4_T5_mT6_P12ihipStream_tbENKUlT_T0_E_clISt17integral_constantIbLb1EESX_EEDaSS_ST_EUlSS_E_NS1_11comp_targetILNS1_3genE5ELNS1_11target_archE942ELNS1_3gpuE9ELNS1_3repE0EEENS1_30default_config_static_selectorELNS0_4arch9wavefront6targetE1EEEvT1_,comdat
	.protected	_ZN7rocprim17ROCPRIM_400000_NS6detail17trampoline_kernelINS0_14default_configENS1_20scan_config_selectorIxEEZZNS1_9scan_implILNS1_25lookback_scan_determinismE0ELb1ELb1ES3_N6thrust23THRUST_200600_302600_NS6detail15normal_iteratorINS9_10device_ptrIxEEEENS9_16discard_iteratorINS9_11use_defaultEEEx11max_functorIxExEEDaPvRmT3_T4_T5_mT6_P12ihipStream_tbENKUlT_T0_E_clISt17integral_constantIbLb1EESX_EEDaSS_ST_EUlSS_E_NS1_11comp_targetILNS1_3genE5ELNS1_11target_archE942ELNS1_3gpuE9ELNS1_3repE0EEENS1_30default_config_static_selectorELNS0_4arch9wavefront6targetE1EEEvT1_ ; -- Begin function _ZN7rocprim17ROCPRIM_400000_NS6detail17trampoline_kernelINS0_14default_configENS1_20scan_config_selectorIxEEZZNS1_9scan_implILNS1_25lookback_scan_determinismE0ELb1ELb1ES3_N6thrust23THRUST_200600_302600_NS6detail15normal_iteratorINS9_10device_ptrIxEEEENS9_16discard_iteratorINS9_11use_defaultEEEx11max_functorIxExEEDaPvRmT3_T4_T5_mT6_P12ihipStream_tbENKUlT_T0_E_clISt17integral_constantIbLb1EESX_EEDaSS_ST_EUlSS_E_NS1_11comp_targetILNS1_3genE5ELNS1_11target_archE942ELNS1_3gpuE9ELNS1_3repE0EEENS1_30default_config_static_selectorELNS0_4arch9wavefront6targetE1EEEvT1_
	.globl	_ZN7rocprim17ROCPRIM_400000_NS6detail17trampoline_kernelINS0_14default_configENS1_20scan_config_selectorIxEEZZNS1_9scan_implILNS1_25lookback_scan_determinismE0ELb1ELb1ES3_N6thrust23THRUST_200600_302600_NS6detail15normal_iteratorINS9_10device_ptrIxEEEENS9_16discard_iteratorINS9_11use_defaultEEEx11max_functorIxExEEDaPvRmT3_T4_T5_mT6_P12ihipStream_tbENKUlT_T0_E_clISt17integral_constantIbLb1EESX_EEDaSS_ST_EUlSS_E_NS1_11comp_targetILNS1_3genE5ELNS1_11target_archE942ELNS1_3gpuE9ELNS1_3repE0EEENS1_30default_config_static_selectorELNS0_4arch9wavefront6targetE1EEEvT1_
	.p2align	8
	.type	_ZN7rocprim17ROCPRIM_400000_NS6detail17trampoline_kernelINS0_14default_configENS1_20scan_config_selectorIxEEZZNS1_9scan_implILNS1_25lookback_scan_determinismE0ELb1ELb1ES3_N6thrust23THRUST_200600_302600_NS6detail15normal_iteratorINS9_10device_ptrIxEEEENS9_16discard_iteratorINS9_11use_defaultEEEx11max_functorIxExEEDaPvRmT3_T4_T5_mT6_P12ihipStream_tbENKUlT_T0_E_clISt17integral_constantIbLb1EESX_EEDaSS_ST_EUlSS_E_NS1_11comp_targetILNS1_3genE5ELNS1_11target_archE942ELNS1_3gpuE9ELNS1_3repE0EEENS1_30default_config_static_selectorELNS0_4arch9wavefront6targetE1EEEvT1_,@function
_ZN7rocprim17ROCPRIM_400000_NS6detail17trampoline_kernelINS0_14default_configENS1_20scan_config_selectorIxEEZZNS1_9scan_implILNS1_25lookback_scan_determinismE0ELb1ELb1ES3_N6thrust23THRUST_200600_302600_NS6detail15normal_iteratorINS9_10device_ptrIxEEEENS9_16discard_iteratorINS9_11use_defaultEEEx11max_functorIxExEEDaPvRmT3_T4_T5_mT6_P12ihipStream_tbENKUlT_T0_E_clISt17integral_constantIbLb1EESX_EEDaSS_ST_EUlSS_E_NS1_11comp_targetILNS1_3genE5ELNS1_11target_archE942ELNS1_3gpuE9ELNS1_3repE0EEENS1_30default_config_static_selectorELNS0_4arch9wavefront6targetE1EEEvT1_: ; @_ZN7rocprim17ROCPRIM_400000_NS6detail17trampoline_kernelINS0_14default_configENS1_20scan_config_selectorIxEEZZNS1_9scan_implILNS1_25lookback_scan_determinismE0ELb1ELb1ES3_N6thrust23THRUST_200600_302600_NS6detail15normal_iteratorINS9_10device_ptrIxEEEENS9_16discard_iteratorINS9_11use_defaultEEEx11max_functorIxExEEDaPvRmT3_T4_T5_mT6_P12ihipStream_tbENKUlT_T0_E_clISt17integral_constantIbLb1EESX_EEDaSS_ST_EUlSS_E_NS1_11comp_targetILNS1_3genE5ELNS1_11target_archE942ELNS1_3gpuE9ELNS1_3repE0EEENS1_30default_config_static_selectorELNS0_4arch9wavefront6targetE1EEEvT1_
; %bb.0:
	.section	.rodata,"a",@progbits
	.p2align	6, 0x0
	.amdhsa_kernel _ZN7rocprim17ROCPRIM_400000_NS6detail17trampoline_kernelINS0_14default_configENS1_20scan_config_selectorIxEEZZNS1_9scan_implILNS1_25lookback_scan_determinismE0ELb1ELb1ES3_N6thrust23THRUST_200600_302600_NS6detail15normal_iteratorINS9_10device_ptrIxEEEENS9_16discard_iteratorINS9_11use_defaultEEEx11max_functorIxExEEDaPvRmT3_T4_T5_mT6_P12ihipStream_tbENKUlT_T0_E_clISt17integral_constantIbLb1EESX_EEDaSS_ST_EUlSS_E_NS1_11comp_targetILNS1_3genE5ELNS1_11target_archE942ELNS1_3gpuE9ELNS1_3repE0EEENS1_30default_config_static_selectorELNS0_4arch9wavefront6targetE1EEEvT1_
		.amdhsa_group_segment_fixed_size 0
		.amdhsa_private_segment_fixed_size 0
		.amdhsa_kernarg_size 112
		.amdhsa_user_sgpr_count 6
		.amdhsa_user_sgpr_private_segment_buffer 1
		.amdhsa_user_sgpr_dispatch_ptr 0
		.amdhsa_user_sgpr_queue_ptr 0
		.amdhsa_user_sgpr_kernarg_segment_ptr 1
		.amdhsa_user_sgpr_dispatch_id 0
		.amdhsa_user_sgpr_flat_scratch_init 0
		.amdhsa_user_sgpr_kernarg_preload_length 0
		.amdhsa_user_sgpr_kernarg_preload_offset 0
		.amdhsa_user_sgpr_private_segment_size 0
		.amdhsa_uses_dynamic_stack 0
		.amdhsa_system_sgpr_private_segment_wavefront_offset 0
		.amdhsa_system_sgpr_workgroup_id_x 1
		.amdhsa_system_sgpr_workgroup_id_y 0
		.amdhsa_system_sgpr_workgroup_id_z 0
		.amdhsa_system_sgpr_workgroup_info 0
		.amdhsa_system_vgpr_workitem_id 0
		.amdhsa_next_free_vgpr 1
		.amdhsa_next_free_sgpr 0
		.amdhsa_accum_offset 4
		.amdhsa_reserve_vcc 0
		.amdhsa_reserve_flat_scratch 0
		.amdhsa_float_round_mode_32 0
		.amdhsa_float_round_mode_16_64 0
		.amdhsa_float_denorm_mode_32 3
		.amdhsa_float_denorm_mode_16_64 3
		.amdhsa_dx10_clamp 1
		.amdhsa_ieee_mode 1
		.amdhsa_fp16_overflow 0
		.amdhsa_tg_split 0
		.amdhsa_exception_fp_ieee_invalid_op 0
		.amdhsa_exception_fp_denorm_src 0
		.amdhsa_exception_fp_ieee_div_zero 0
		.amdhsa_exception_fp_ieee_overflow 0
		.amdhsa_exception_fp_ieee_underflow 0
		.amdhsa_exception_fp_ieee_inexact 0
		.amdhsa_exception_int_div_zero 0
	.end_amdhsa_kernel
	.section	.text._ZN7rocprim17ROCPRIM_400000_NS6detail17trampoline_kernelINS0_14default_configENS1_20scan_config_selectorIxEEZZNS1_9scan_implILNS1_25lookback_scan_determinismE0ELb1ELb1ES3_N6thrust23THRUST_200600_302600_NS6detail15normal_iteratorINS9_10device_ptrIxEEEENS9_16discard_iteratorINS9_11use_defaultEEEx11max_functorIxExEEDaPvRmT3_T4_T5_mT6_P12ihipStream_tbENKUlT_T0_E_clISt17integral_constantIbLb1EESX_EEDaSS_ST_EUlSS_E_NS1_11comp_targetILNS1_3genE5ELNS1_11target_archE942ELNS1_3gpuE9ELNS1_3repE0EEENS1_30default_config_static_selectorELNS0_4arch9wavefront6targetE1EEEvT1_,"axG",@progbits,_ZN7rocprim17ROCPRIM_400000_NS6detail17trampoline_kernelINS0_14default_configENS1_20scan_config_selectorIxEEZZNS1_9scan_implILNS1_25lookback_scan_determinismE0ELb1ELb1ES3_N6thrust23THRUST_200600_302600_NS6detail15normal_iteratorINS9_10device_ptrIxEEEENS9_16discard_iteratorINS9_11use_defaultEEEx11max_functorIxExEEDaPvRmT3_T4_T5_mT6_P12ihipStream_tbENKUlT_T0_E_clISt17integral_constantIbLb1EESX_EEDaSS_ST_EUlSS_E_NS1_11comp_targetILNS1_3genE5ELNS1_11target_archE942ELNS1_3gpuE9ELNS1_3repE0EEENS1_30default_config_static_selectorELNS0_4arch9wavefront6targetE1EEEvT1_,comdat
.Lfunc_end3801:
	.size	_ZN7rocprim17ROCPRIM_400000_NS6detail17trampoline_kernelINS0_14default_configENS1_20scan_config_selectorIxEEZZNS1_9scan_implILNS1_25lookback_scan_determinismE0ELb1ELb1ES3_N6thrust23THRUST_200600_302600_NS6detail15normal_iteratorINS9_10device_ptrIxEEEENS9_16discard_iteratorINS9_11use_defaultEEEx11max_functorIxExEEDaPvRmT3_T4_T5_mT6_P12ihipStream_tbENKUlT_T0_E_clISt17integral_constantIbLb1EESX_EEDaSS_ST_EUlSS_E_NS1_11comp_targetILNS1_3genE5ELNS1_11target_archE942ELNS1_3gpuE9ELNS1_3repE0EEENS1_30default_config_static_selectorELNS0_4arch9wavefront6targetE1EEEvT1_, .Lfunc_end3801-_ZN7rocprim17ROCPRIM_400000_NS6detail17trampoline_kernelINS0_14default_configENS1_20scan_config_selectorIxEEZZNS1_9scan_implILNS1_25lookback_scan_determinismE0ELb1ELb1ES3_N6thrust23THRUST_200600_302600_NS6detail15normal_iteratorINS9_10device_ptrIxEEEENS9_16discard_iteratorINS9_11use_defaultEEEx11max_functorIxExEEDaPvRmT3_T4_T5_mT6_P12ihipStream_tbENKUlT_T0_E_clISt17integral_constantIbLb1EESX_EEDaSS_ST_EUlSS_E_NS1_11comp_targetILNS1_3genE5ELNS1_11target_archE942ELNS1_3gpuE9ELNS1_3repE0EEENS1_30default_config_static_selectorELNS0_4arch9wavefront6targetE1EEEvT1_
                                        ; -- End function
	.section	.AMDGPU.csdata,"",@progbits
; Kernel info:
; codeLenInByte = 0
; NumSgprs: 4
; NumVgprs: 0
; NumAgprs: 0
; TotalNumVgprs: 0
; ScratchSize: 0
; MemoryBound: 0
; FloatMode: 240
; IeeeMode: 1
; LDSByteSize: 0 bytes/workgroup (compile time only)
; SGPRBlocks: 0
; VGPRBlocks: 0
; NumSGPRsForWavesPerEU: 4
; NumVGPRsForWavesPerEU: 1
; AccumOffset: 4
; Occupancy: 8
; WaveLimiterHint : 0
; COMPUTE_PGM_RSRC2:SCRATCH_EN: 0
; COMPUTE_PGM_RSRC2:USER_SGPR: 6
; COMPUTE_PGM_RSRC2:TRAP_HANDLER: 0
; COMPUTE_PGM_RSRC2:TGID_X_EN: 1
; COMPUTE_PGM_RSRC2:TGID_Y_EN: 0
; COMPUTE_PGM_RSRC2:TGID_Z_EN: 0
; COMPUTE_PGM_RSRC2:TIDIG_COMP_CNT: 0
; COMPUTE_PGM_RSRC3_GFX90A:ACCUM_OFFSET: 0
; COMPUTE_PGM_RSRC3_GFX90A:TG_SPLIT: 0
	.section	.text._ZN7rocprim17ROCPRIM_400000_NS6detail17trampoline_kernelINS0_14default_configENS1_20scan_config_selectorIxEEZZNS1_9scan_implILNS1_25lookback_scan_determinismE0ELb1ELb1ES3_N6thrust23THRUST_200600_302600_NS6detail15normal_iteratorINS9_10device_ptrIxEEEENS9_16discard_iteratorINS9_11use_defaultEEEx11max_functorIxExEEDaPvRmT3_T4_T5_mT6_P12ihipStream_tbENKUlT_T0_E_clISt17integral_constantIbLb1EESX_EEDaSS_ST_EUlSS_E_NS1_11comp_targetILNS1_3genE4ELNS1_11target_archE910ELNS1_3gpuE8ELNS1_3repE0EEENS1_30default_config_static_selectorELNS0_4arch9wavefront6targetE1EEEvT1_,"axG",@progbits,_ZN7rocprim17ROCPRIM_400000_NS6detail17trampoline_kernelINS0_14default_configENS1_20scan_config_selectorIxEEZZNS1_9scan_implILNS1_25lookback_scan_determinismE0ELb1ELb1ES3_N6thrust23THRUST_200600_302600_NS6detail15normal_iteratorINS9_10device_ptrIxEEEENS9_16discard_iteratorINS9_11use_defaultEEEx11max_functorIxExEEDaPvRmT3_T4_T5_mT6_P12ihipStream_tbENKUlT_T0_E_clISt17integral_constantIbLb1EESX_EEDaSS_ST_EUlSS_E_NS1_11comp_targetILNS1_3genE4ELNS1_11target_archE910ELNS1_3gpuE8ELNS1_3repE0EEENS1_30default_config_static_selectorELNS0_4arch9wavefront6targetE1EEEvT1_,comdat
	.protected	_ZN7rocprim17ROCPRIM_400000_NS6detail17trampoline_kernelINS0_14default_configENS1_20scan_config_selectorIxEEZZNS1_9scan_implILNS1_25lookback_scan_determinismE0ELb1ELb1ES3_N6thrust23THRUST_200600_302600_NS6detail15normal_iteratorINS9_10device_ptrIxEEEENS9_16discard_iteratorINS9_11use_defaultEEEx11max_functorIxExEEDaPvRmT3_T4_T5_mT6_P12ihipStream_tbENKUlT_T0_E_clISt17integral_constantIbLb1EESX_EEDaSS_ST_EUlSS_E_NS1_11comp_targetILNS1_3genE4ELNS1_11target_archE910ELNS1_3gpuE8ELNS1_3repE0EEENS1_30default_config_static_selectorELNS0_4arch9wavefront6targetE1EEEvT1_ ; -- Begin function _ZN7rocprim17ROCPRIM_400000_NS6detail17trampoline_kernelINS0_14default_configENS1_20scan_config_selectorIxEEZZNS1_9scan_implILNS1_25lookback_scan_determinismE0ELb1ELb1ES3_N6thrust23THRUST_200600_302600_NS6detail15normal_iteratorINS9_10device_ptrIxEEEENS9_16discard_iteratorINS9_11use_defaultEEEx11max_functorIxExEEDaPvRmT3_T4_T5_mT6_P12ihipStream_tbENKUlT_T0_E_clISt17integral_constantIbLb1EESX_EEDaSS_ST_EUlSS_E_NS1_11comp_targetILNS1_3genE4ELNS1_11target_archE910ELNS1_3gpuE8ELNS1_3repE0EEENS1_30default_config_static_selectorELNS0_4arch9wavefront6targetE1EEEvT1_
	.globl	_ZN7rocprim17ROCPRIM_400000_NS6detail17trampoline_kernelINS0_14default_configENS1_20scan_config_selectorIxEEZZNS1_9scan_implILNS1_25lookback_scan_determinismE0ELb1ELb1ES3_N6thrust23THRUST_200600_302600_NS6detail15normal_iteratorINS9_10device_ptrIxEEEENS9_16discard_iteratorINS9_11use_defaultEEEx11max_functorIxExEEDaPvRmT3_T4_T5_mT6_P12ihipStream_tbENKUlT_T0_E_clISt17integral_constantIbLb1EESX_EEDaSS_ST_EUlSS_E_NS1_11comp_targetILNS1_3genE4ELNS1_11target_archE910ELNS1_3gpuE8ELNS1_3repE0EEENS1_30default_config_static_selectorELNS0_4arch9wavefront6targetE1EEEvT1_
	.p2align	8
	.type	_ZN7rocprim17ROCPRIM_400000_NS6detail17trampoline_kernelINS0_14default_configENS1_20scan_config_selectorIxEEZZNS1_9scan_implILNS1_25lookback_scan_determinismE0ELb1ELb1ES3_N6thrust23THRUST_200600_302600_NS6detail15normal_iteratorINS9_10device_ptrIxEEEENS9_16discard_iteratorINS9_11use_defaultEEEx11max_functorIxExEEDaPvRmT3_T4_T5_mT6_P12ihipStream_tbENKUlT_T0_E_clISt17integral_constantIbLb1EESX_EEDaSS_ST_EUlSS_E_NS1_11comp_targetILNS1_3genE4ELNS1_11target_archE910ELNS1_3gpuE8ELNS1_3repE0EEENS1_30default_config_static_selectorELNS0_4arch9wavefront6targetE1EEEvT1_,@function
_ZN7rocprim17ROCPRIM_400000_NS6detail17trampoline_kernelINS0_14default_configENS1_20scan_config_selectorIxEEZZNS1_9scan_implILNS1_25lookback_scan_determinismE0ELb1ELb1ES3_N6thrust23THRUST_200600_302600_NS6detail15normal_iteratorINS9_10device_ptrIxEEEENS9_16discard_iteratorINS9_11use_defaultEEEx11max_functorIxExEEDaPvRmT3_T4_T5_mT6_P12ihipStream_tbENKUlT_T0_E_clISt17integral_constantIbLb1EESX_EEDaSS_ST_EUlSS_E_NS1_11comp_targetILNS1_3genE4ELNS1_11target_archE910ELNS1_3gpuE8ELNS1_3repE0EEENS1_30default_config_static_selectorELNS0_4arch9wavefront6targetE1EEEvT1_: ; @_ZN7rocprim17ROCPRIM_400000_NS6detail17trampoline_kernelINS0_14default_configENS1_20scan_config_selectorIxEEZZNS1_9scan_implILNS1_25lookback_scan_determinismE0ELb1ELb1ES3_N6thrust23THRUST_200600_302600_NS6detail15normal_iteratorINS9_10device_ptrIxEEEENS9_16discard_iteratorINS9_11use_defaultEEEx11max_functorIxExEEDaPvRmT3_T4_T5_mT6_P12ihipStream_tbENKUlT_T0_E_clISt17integral_constantIbLb1EESX_EEDaSS_ST_EUlSS_E_NS1_11comp_targetILNS1_3genE4ELNS1_11target_archE910ELNS1_3gpuE8ELNS1_3repE0EEENS1_30default_config_static_selectorELNS0_4arch9wavefront6targetE1EEEvT1_
; %bb.0:
	s_load_dwordx2 s[26:27], s[4:5], 0x38
	v_cmp_ne_u32_e64 s[2:3], 0, v0
	v_cmp_eq_u32_e64 s[0:1], 0, v0
	s_and_saveexec_b64 s[6:7], s[0:1]
	s_cbranch_execz .LBB3802_4
; %bb.1:
	s_mov_b64 s[10:11], exec
	v_mbcnt_lo_u32_b32 v1, s10, 0
	v_mbcnt_hi_u32_b32 v1, s11, v1
	v_cmp_eq_u32_e32 vcc, 0, v1
                                        ; implicit-def: $vgpr2
	s_and_saveexec_b64 s[8:9], vcc
	s_cbranch_execz .LBB3802_3
; %bb.2:
	s_load_dwordx2 s[12:13], s[4:5], 0x68
	s_bcnt1_i32_b64 s10, s[10:11]
	v_mov_b32_e32 v2, 0
	v_mov_b32_e32 v3, s10
	s_waitcnt lgkmcnt(0)
	global_atomic_add v2, v2, v3, s[12:13] glc
.LBB3802_3:
	s_or_b64 exec, exec, s[8:9]
	s_waitcnt vmcnt(0)
	v_readfirstlane_b32 s8, v2
	v_add_u32_e32 v1, s8, v1
	v_mov_b32_e32 v2, 0
	ds_write_b32 v2, v1
.LBB3802_4:
	s_or_b64 exec, exec, s[6:7]
	v_mov_b32_e32 v3, 0
	s_load_dwordx4 s[8:11], s[4:5], 0x0
	s_load_dwordx4 s[12:15], s[4:5], 0x20
	s_load_dword s6, s[4:5], 0x40
	s_load_dwordx8 s[16:23], s[4:5], 0x48
	s_waitcnt lgkmcnt(0)
	s_barrier
	ds_read_b32 v1, v3
	s_lshl_b64 s[4:5], s[10:11], 3
	s_add_u32 s33, s8, s4
	s_movk_i32 s4, 0x380
	s_addc_u32 s34, s9, s5
	s_waitcnt lgkmcnt(0)
	v_mul_lo_u32 v2, v1, s4
	s_add_i32 s4, s6, -1
	s_mul_i32 s5, s4, 0x380
	s_sub_u32 s30, s12, s5
	v_readfirstlane_b32 s35, v1
	s_subb_u32 s31, s13, 0
	v_lshlrev_b64 v[2:3], 3, v[2:3]
	s_cmp_lg_u32 s35, s4
	v_mov_b32_e32 v1, s34
	v_add_co_u32_e32 v20, vcc, s33, v2
	s_cselect_b64 s[24:25], -1, 0
	v_addc_co_u32_e32 v21, vcc, v1, v3, vcc
	s_mov_b64 s[4:5], -1
	s_and_b64 vcc, exec, s[24:25]
	v_lshlrev_b32_e32 v1, 3, v0
	s_barrier
	s_cbranch_vccz .LBB3802_6
; %bb.5:
	v_add_co_u32_e32 v2, vcc, v20, v1
	v_addc_co_u32_e32 v3, vcc, 0, v21, vcc
	flat_load_dwordx2 v[4:5], v[2:3]
	flat_load_dwordx2 v[6:7], v[2:3] offset:1024
	flat_load_dwordx2 v[8:9], v[2:3] offset:2048
	;; [unrolled: 1-line block ×3, first 2 shown]
	v_add_co_u32_e32 v2, vcc, 0x1000, v2
	v_addc_co_u32_e32 v3, vcc, 0, v3, vcc
	flat_load_dwordx2 v[12:13], v[2:3]
	flat_load_dwordx2 v[14:15], v[2:3] offset:1024
	flat_load_dwordx2 v[16:17], v[2:3] offset:2048
	s_mov_b64 s[4:5], 0
	s_waitcnt vmcnt(0) lgkmcnt(0)
	ds_write2st64_b64 v1, v[4:5], v[6:7] offset1:2
	ds_write2st64_b64 v1, v[8:9], v[10:11] offset0:4 offset1:6
	ds_write2st64_b64 v1, v[12:13], v[14:15] offset0:8 offset1:10
	ds_write_b64 v1, v[16:17] offset:6144
	s_waitcnt lgkmcnt(0)
	s_barrier
.LBB3802_6:
	s_andn2_b64 vcc, exec, s[4:5]
	s_cbranch_vccnz .LBB3802_22
; %bb.7:
	flat_load_dwordx2 v[2:3], v[20:21]
	v_cmp_gt_u32_e32 vcc, s30, v0
	s_waitcnt vmcnt(0) lgkmcnt(0)
	v_mov_b32_e32 v4, v2
	v_mov_b32_e32 v5, v3
	;; [unrolled: 1-line block ×10, first 2 shown]
	v_pk_mov_b32 v[18:19], v[14:15], v[14:15] op_sel:[0,1]
	v_pk_mov_b32 v[16:17], v[12:13], v[12:13] op_sel:[0,1]
	;; [unrolled: 1-line block ×8, first 2 shown]
	s_and_saveexec_b64 s[4:5], vcc
	s_cbranch_execz .LBB3802_9
; %bb.8:
	v_add_co_u32_e32 v4, vcc, v20, v1
	v_addc_co_u32_e32 v5, vcc, 0, v21, vcc
	flat_load_dwordx2 v[22:23], v[4:5]
	v_mov_b32_e32 v4, v2
	v_mov_b32_e32 v5, v3
	;; [unrolled: 1-line block ×10, first 2 shown]
	v_pk_mov_b32 v[18:19], v[14:15], v[14:15] op_sel:[0,1]
	v_pk_mov_b32 v[16:17], v[12:13], v[12:13] op_sel:[0,1]
	;; [unrolled: 1-line block ×8, first 2 shown]
	s_waitcnt vmcnt(0) lgkmcnt(0)
	v_pk_mov_b32 v[2:3], v[22:23], v[22:23] op_sel:[0,1]
.LBB3802_9:
	s_or_b64 exec, exec, s[4:5]
	v_or_b32_e32 v4, 0x80, v0
	v_cmp_gt_u32_e32 vcc, s30, v4
	s_and_saveexec_b64 s[4:5], vcc
	s_cbranch_execz .LBB3802_11
; %bb.10:
	v_add_co_u32_e32 v4, vcc, v20, v1
	v_addc_co_u32_e32 v5, vcc, 0, v21, vcc
	flat_load_dwordx2 v[6:7], v[4:5] offset:1024
.LBB3802_11:
	s_or_b64 exec, exec, s[4:5]
	v_or_b32_e32 v4, 0x100, v0
	v_cmp_gt_u32_e32 vcc, s30, v4
	s_and_saveexec_b64 s[4:5], vcc
	s_cbranch_execz .LBB3802_13
; %bb.12:
	v_add_co_u32_e32 v4, vcc, v20, v1
	v_addc_co_u32_e32 v5, vcc, 0, v21, vcc
	flat_load_dwordx2 v[8:9], v[4:5] offset:2048
.LBB3802_13:
	;; [unrolled: 10-line block ×3, first 2 shown]
	s_or_b64 exec, exec, s[4:5]
	v_or_b32_e32 v4, 0x200, v0
	v_cmp_gt_u32_e32 vcc, s30, v4
	s_and_saveexec_b64 s[4:5], vcc
	s_cbranch_execz .LBB3802_17
; %bb.16:
	v_lshlrev_b32_e32 v4, 3, v4
	v_add_co_u32_e32 v4, vcc, v20, v4
	v_addc_co_u32_e32 v5, vcc, 0, v21, vcc
	flat_load_dwordx2 v[12:13], v[4:5]
.LBB3802_17:
	s_or_b64 exec, exec, s[4:5]
	v_or_b32_e32 v4, 0x280, v0
	v_cmp_gt_u32_e32 vcc, s30, v4
	s_and_saveexec_b64 s[4:5], vcc
	s_cbranch_execz .LBB3802_19
; %bb.18:
	v_lshlrev_b32_e32 v4, 3, v4
	v_add_co_u32_e32 v4, vcc, v20, v4
	v_addc_co_u32_e32 v5, vcc, 0, v21, vcc
	flat_load_dwordx2 v[14:15], v[4:5]
.LBB3802_19:
	;; [unrolled: 11-line block ×3, first 2 shown]
	s_or_b64 exec, exec, s[4:5]
	s_waitcnt vmcnt(0) lgkmcnt(0)
	ds_write2st64_b64 v1, v[2:3], v[6:7] offset1:2
	ds_write2st64_b64 v1, v[8:9], v[10:11] offset0:4 offset1:6
	ds_write2st64_b64 v1, v[12:13], v[14:15] offset0:8 offset1:10
	ds_write_b64 v1, v[16:17] offset:6144
	s_waitcnt lgkmcnt(0)
	s_barrier
.LBB3802_22:
	v_mul_u32_u24_e32 v36, 7, v0
	v_lshlrev_b32_e32 v37, 3, v36
	ds_read2_b64 v[10:13], v37 offset1:1
	ds_read2_b64 v[6:9], v37 offset0:2 offset1:3
	ds_read2_b64 v[2:5], v37 offset0:4 offset1:5
	ds_read_b64 v[26:27], v37 offset:48
	s_cmp_lg_u32 s35, 0
	s_waitcnt lgkmcnt(3)
	v_cmp_gt_i64_e64 s[4:5], v[10:11], v[12:13]
	v_lshrrev_b32_e32 v1, 5, v0
	v_cmp_gt_u32_e32 vcc, 64, v0
	s_waitcnt lgkmcnt(0)
	s_barrier
	s_cbranch_scc0 .LBB3802_53
; %bb.23:
	v_cndmask_b32_e64 v15, v13, v11, s[4:5]
	v_cndmask_b32_e64 v14, v12, v10, s[4:5]
	v_cmp_gt_i64_e64 s[4:5], v[14:15], v[6:7]
	v_cndmask_b32_e64 v15, v7, v15, s[4:5]
	v_cndmask_b32_e64 v14, v6, v14, s[4:5]
	v_cmp_gt_i64_e64 s[4:5], v[14:15], v[8:9]
	;; [unrolled: 3-line block ×5, first 2 shown]
	v_cndmask_b32_e64 v23, v27, v15, s[4:5]
	v_cndmask_b32_e64 v22, v26, v14, s[4:5]
	v_add_lshl_u32 v14, v1, v0, 3
	ds_write_b64 v14, v[22:23]
	s_waitcnt lgkmcnt(0)
	s_barrier
	s_and_saveexec_b64 s[8:9], vcc
	s_cbranch_execz .LBB3802_27
; %bb.24:
	v_lshlrev_b32_e32 v14, 1, v0
	v_lshrrev_b32_e32 v15, 4, v0
	v_add_lshl_u32 v24, v15, v14, 3
	ds_read2_b64 v[14:17], v24 offset1:1
	v_mbcnt_lo_u32_b32 v18, -1, 0
	v_mbcnt_hi_u32_b32 v25, -1, v18
	v_and_b32_e32 v28, 15, v25
	v_and_b32_e32 v30, 16, v25
	s_waitcnt lgkmcnt(0)
	v_cmp_gt_i64_e64 s[4:5], v[14:15], v[16:17]
	v_cndmask_b32_e64 v17, v17, v15, s[4:5]
	v_cndmask_b32_e64 v16, v16, v14, s[4:5]
	v_cmp_ne_u32_e64 s[6:7], 0, v25
	v_mov_b32_dpp v19, v17 row_shr:1 row_mask:0xf bank_mask:0xf
	v_mov_b32_dpp v18, v16 row_shr:1 row_mask:0xf bank_mask:0xf
	v_cmp_gt_i64_e64 s[4:5], v[18:19], v[16:17]
	v_cndmask_b32_e64 v18, v16, v18, s[4:5]
	v_cndmask_b32_e64 v19, v17, v19, s[4:5]
	v_cmp_eq_u32_e64 s[4:5], 0, v28
	v_cndmask_b32_e64 v19, v19, v17, s[4:5]
	v_cndmask_b32_e64 v18, v18, v16, s[4:5]
	s_nop 0
	v_mov_b32_dpp v21, v19 row_shr:2 row_mask:0xf bank_mask:0xf
	v_mov_b32_dpp v20, v18 row_shr:2 row_mask:0xf bank_mask:0xf
	v_cmp_gt_i64_e64 s[4:5], v[20:21], v[18:19]
	v_cndmask_b32_e64 v20, v18, v20, s[4:5]
	v_cndmask_b32_e64 v21, v19, v21, s[4:5]
	v_cmp_lt_u32_e64 s[4:5], 1, v28
	v_cndmask_b32_e64 v19, v19, v21, s[4:5]
	v_cndmask_b32_e64 v18, v18, v20, s[4:5]
	s_nop 0
	v_mov_b32_dpp v21, v19 row_shr:4 row_mask:0xf bank_mask:0xf
	v_mov_b32_dpp v20, v18 row_shr:4 row_mask:0xf bank_mask:0xf
	v_cmp_gt_i64_e64 s[4:5], v[20:21], v[18:19]
	v_cndmask_b32_e64 v20, v18, v20, s[4:5]
	v_cndmask_b32_e64 v21, v19, v21, s[4:5]
	v_cmp_lt_u32_e64 s[4:5], 3, v28
	v_cndmask_b32_e64 v19, v19, v21, s[4:5]
	v_cndmask_b32_e64 v18, v18, v20, s[4:5]
	s_nop 0
	v_mov_b32_dpp v21, v19 row_shr:8 row_mask:0xf bank_mask:0xf
	v_mov_b32_dpp v20, v18 row_shr:8 row_mask:0xf bank_mask:0xf
	v_cmp_gt_i64_e64 s[4:5], v[20:21], v[18:19]
	v_cndmask_b32_e64 v20, v18, v20, s[4:5]
	v_cndmask_b32_e64 v21, v19, v21, s[4:5]
	v_cmp_lt_u32_e64 s[4:5], 7, v28
	v_cndmask_b32_e64 v19, v19, v21, s[4:5]
	v_cndmask_b32_e64 v18, v18, v20, s[4:5]
	s_nop 0
	v_mov_b32_dpp v21, v19 row_bcast:15 row_mask:0xf bank_mask:0xf
	v_mov_b32_dpp v20, v18 row_bcast:15 row_mask:0xf bank_mask:0xf
	v_cmp_gt_i64_e64 s[4:5], v[20:21], v[18:19]
	v_cndmask_b32_e64 v28, v19, v21, s[4:5]
	v_cndmask_b32_e64 v29, v18, v20, s[4:5]
	v_cmp_eq_u32_e64 s[4:5], 0, v30
	v_cndmask_b32_e64 v21, v28, v19, s[4:5]
	v_cndmask_b32_e64 v20, v29, v18, s[4:5]
	s_nop 0
	v_mov_b32_dpp v21, v21 row_bcast:31 row_mask:0xf bank_mask:0xf
	v_mov_b32_dpp v20, v20 row_bcast:31 row_mask:0xf bank_mask:0xf
	s_and_saveexec_b64 s[10:11], s[6:7]
; %bb.25:
	v_cndmask_b32_e64 v17, v28, v19, s[4:5]
	v_cndmask_b32_e64 v16, v29, v18, s[4:5]
	v_cmp_lt_u32_e64 s[6:7], 31, v25
	v_cmp_gt_i64_e64 s[4:5], v[20:21], v[16:17]
	s_and_b64 s[4:5], s[6:7], s[4:5]
	v_cndmask_b32_e64 v16, v16, v20, s[4:5]
	v_cndmask_b32_e64 v17, v17, v21, s[4:5]
; %bb.26:
	s_or_b64 exec, exec, s[10:11]
	v_add_u32_e32 v18, -1, v25
	v_and_b32_e32 v19, 64, v25
	v_cmp_lt_i32_e64 s[4:5], v18, v19
	v_cndmask_b32_e64 v18, v18, v25, s[4:5]
	v_lshlrev_b32_e32 v18, 2, v18
	ds_bpermute_b32 v16, v18, v16
	ds_bpermute_b32 v17, v18, v17
	; wave barrier
	s_waitcnt lgkmcnt(0)
	v_cmp_gt_i64_e64 s[4:5], v[16:17], v[14:15]
	v_cndmask_b32_e64 v14, v14, v16, s[4:5]
	v_cndmask_b32_e64 v15, v15, v17, s[4:5]
	;; [unrolled: 1-line block ×4, first 2 shown]
	ds_write_b64 v24, v[14:15]
	; wave barrier
	ds_read_b64 v[16:17], v24 offset:8
	s_waitcnt lgkmcnt(0)
	v_cmp_gt_i64_e64 s[4:5], v[14:15], v[16:17]
	v_cndmask_b32_e64 v15, v17, v15, s[4:5]
	v_cndmask_b32_e64 v14, v16, v14, s[4:5]
	ds_write_b64 v24, v[14:15] offset:8
.LBB3802_27:
	s_or_b64 exec, exec, s[8:9]
	s_waitcnt lgkmcnt(0)
	s_barrier
	s_and_saveexec_b64 s[4:5], s[2:3]
	s_cbranch_execz .LBB3802_29
; %bb.28:
	v_add_u32_e32 v14, -1, v0
	v_lshrrev_b32_e32 v15, 5, v14
	v_add_lshl_u32 v14, v15, v14, 3
	ds_read_b64 v[22:23], v14
.LBB3802_29:
	s_or_b64 exec, exec, s[4:5]
	s_and_saveexec_b64 s[28:29], vcc
	s_cbranch_execz .LBB3802_52
; %bb.30:
	v_mov_b32_e32 v17, 0
	ds_read_b64 v[14:15], v17 offset:1040
	v_mbcnt_lo_u32_b32 v16, -1, 0
	v_mbcnt_hi_u32_b32 v25, -1, v16
	s_mov_b32 s9, 0
	v_cmp_eq_u32_e64 s[4:5], 0, v25
	s_and_saveexec_b64 s[6:7], s[4:5]
	s_cbranch_execz .LBB3802_32
; %bb.31:
	s_add_i32 s8, s35, 64
	s_lshl_b64 s[8:9], s[8:9], 4
	s_add_u32 s8, s26, s8
	s_addc_u32 s9, s27, s9
	v_mov_b32_e32 v16, 1
	v_pk_mov_b32 v[18:19], s[8:9], s[8:9] op_sel:[0,1]
	s_waitcnt lgkmcnt(0)
	;;#ASMSTART
	global_store_dwordx4 v[18:19], v[14:17] off	
s_waitcnt vmcnt(0)
	;;#ASMEND
.LBB3802_32:
	s_or_b64 exec, exec, s[6:7]
	v_xad_u32 v24, v25, -1, s35
	v_add_u32_e32 v16, 64, v24
	v_lshlrev_b64 v[18:19], 4, v[16:17]
	v_mov_b32_e32 v16, s27
	v_add_co_u32_e32 v28, vcc, s26, v18
	v_addc_co_u32_e32 v29, vcc, v16, v19, vcc
	;;#ASMSTART
	global_load_dwordx4 v[18:21], v[28:29] off glc	
s_waitcnt vmcnt(0)
	;;#ASMEND
	v_and_b32_e32 v16, 0xff, v19
	v_and_b32_e32 v21, 0xff00, v19
	v_or3_b32 v16, 0, v16, v21
	v_or3_b32 v18, v18, 0, 0
	v_and_b32_e32 v21, 0xff000000, v19
	v_and_b32_e32 v19, 0xff0000, v19
	v_or3_b32 v19, v16, v19, v21
	v_or3_b32 v18, v18, 0, 0
	v_cmp_eq_u16_sdwa s[8:9], v20, v17 src0_sel:BYTE_0 src1_sel:DWORD
	s_and_saveexec_b64 s[6:7], s[8:9]
	s_cbranch_execz .LBB3802_38
; %bb.33:
	s_mov_b32 s10, 1
	s_mov_b64 s[8:9], 0
	v_mov_b32_e32 v16, 0
.LBB3802_34:                            ; =>This Loop Header: Depth=1
                                        ;     Child Loop BB3802_35 Depth 2
	s_max_u32 s11, s10, 1
.LBB3802_35:                            ;   Parent Loop BB3802_34 Depth=1
                                        ; =>  This Inner Loop Header: Depth=2
	s_add_i32 s11, s11, -1
	s_cmp_eq_u32 s11, 0
	s_sleep 1
	s_cbranch_scc0 .LBB3802_35
; %bb.36:                               ;   in Loop: Header=BB3802_34 Depth=1
	s_cmp_lt_u32 s10, 32
	s_cselect_b64 s[12:13], -1, 0
	s_cmp_lg_u64 s[12:13], 0
	s_addc_u32 s10, s10, 0
	;;#ASMSTART
	global_load_dwordx4 v[18:21], v[28:29] off glc	
s_waitcnt vmcnt(0)
	;;#ASMEND
	v_cmp_ne_u16_sdwa s[12:13], v20, v16 src0_sel:BYTE_0 src1_sel:DWORD
	s_or_b64 s[8:9], s[12:13], s[8:9]
	s_andn2_b64 exec, exec, s[8:9]
	s_cbranch_execnz .LBB3802_34
; %bb.37:
	s_or_b64 exec, exec, s[8:9]
.LBB3802_38:
	s_or_b64 exec, exec, s[6:7]
	v_and_b32_e32 v33, 63, v25
	v_cmp_ne_u32_e32 vcc, 63, v33
	v_mov_b32_e32 v32, 2
	v_addc_co_u32_e32 v28, vcc, 0, v25, vcc
	v_cmp_eq_u16_sdwa s[6:7], v20, v32 src0_sel:BYTE_0 src1_sel:DWORD
	v_lshlrev_b64 v[16:17], v25, -1
	v_lshlrev_b32_e32 v34, 2, v28
	v_and_b32_e32 v21, s7, v17
	ds_bpermute_b32 v28, v34, v18
	ds_bpermute_b32 v29, v34, v19
	v_or_b32_e32 v21, 0x80000000, v21
	v_and_b32_e32 v30, s6, v16
	v_ffbl_b32_e32 v21, v21
	v_add_u32_e32 v21, 32, v21
	v_ffbl_b32_e32 v30, v30
	v_min_u32_e32 v21, v30, v21
	s_waitcnt lgkmcnt(0)
	v_cmp_gt_i64_e64 s[6:7], v[28:29], v[18:19]
	v_cmp_lt_u32_e32 vcc, v33, v21
	v_cndmask_b32_e64 v28, v18, v28, s[6:7]
	s_and_b64 s[6:7], vcc, s[6:7]
	v_cndmask_b32_e64 v29, v19, v29, s[6:7]
	v_cmp_gt_u32_e64 s[6:7], 62, v33
	v_cndmask_b32_e64 v30, 0, 1, s[6:7]
	v_lshlrev_b32_e32 v30, 1, v30
	v_cndmask_b32_e32 v28, v18, v28, vcc
	v_add_lshl_u32 v35, v30, v25, 2
	ds_bpermute_b32 v30, v35, v28
	ds_bpermute_b32 v31, v35, v29
	v_add_u32_e32 v38, 2, v33
	v_cmp_gt_u32_e64 s[8:9], 56, v33
	v_add_u32_e32 v40, 4, v33
	v_cndmask_b32_e64 v41, 0, 1, s[8:9]
	s_waitcnt lgkmcnt(0)
	v_cmp_gt_i64_e64 s[6:7], v[30:31], v[28:29]
	v_cndmask_b32_e64 v31, v29, v31, s[6:7]
	v_cndmask_b32_e64 v30, v28, v30, s[6:7]
	v_cmp_gt_u32_e64 s[6:7], v38, v21
	v_cndmask_b32_e64 v28, v30, v28, s[6:7]
	v_cndmask_b32_e64 v29, v31, v29, s[6:7]
	v_cmp_gt_u32_e64 s[6:7], 60, v33
	v_cndmask_b32_e64 v30, 0, 1, s[6:7]
	v_lshlrev_b32_e32 v30, 2, v30
	v_add_lshl_u32 v39, v30, v25, 2
	ds_bpermute_b32 v30, v39, v28
	ds_bpermute_b32 v31, v39, v29
	v_lshlrev_b32_e32 v41, 3, v41
	v_add_lshl_u32 v41, v41, v25, 2
	v_cmp_gt_u32_e64 s[10:11], 48, v33
	v_add_u32_e32 v42, 8, v33
	s_waitcnt lgkmcnt(0)
	v_cmp_gt_i64_e64 s[6:7], v[30:31], v[28:29]
	v_cndmask_b32_e64 v50, v29, v31, s[6:7]
	v_cndmask_b32_e64 v51, v28, v30, s[6:7]
	v_cmp_gt_u32_e64 s[6:7], v40, v21
	v_cndmask_b32_e64 v30, v51, v28, s[6:7]
	v_cndmask_b32_e64 v31, v50, v29, s[6:7]
	ds_bpermute_b32 v44, v41, v30
	ds_bpermute_b32 v45, v41, v31
	v_cndmask_b32_e64 v43, 0, 1, s[10:11]
	v_lshlrev_b32_e32 v43, 4, v43
	v_add_lshl_u32 v43, v43, v25, 2
	v_cmp_gt_u32_e64 s[12:13], 32, v33
	s_waitcnt lgkmcnt(0)
	v_cmp_gt_i64_e64 s[8:9], v[44:45], v[30:31]
	v_cndmask_b32_e64 v52, v31, v45, s[8:9]
	v_cndmask_b32_e64 v53, v30, v44, s[8:9]
	v_cmp_gt_u32_e64 s[8:9], v42, v21
	v_cndmask_b32_e64 v30, v53, v30, s[8:9]
	v_cndmask_b32_e64 v31, v52, v31, s[8:9]
	ds_bpermute_b32 v46, v43, v30
	ds_bpermute_b32 v47, v43, v31
	v_add_u32_e32 v44, 16, v33
	v_cndmask_b32_e64 v45, 0, 1, s[12:13]
	v_lshlrev_b32_e32 v45, 5, v45
	v_add_lshl_u32 v45, v45, v25, 2
	s_waitcnt lgkmcnt(0)
	v_cmp_gt_i64_e64 s[10:11], v[46:47], v[30:31]
	v_cndmask_b32_e64 v47, v31, v47, s[10:11]
	v_cndmask_b32_e64 v54, v30, v46, s[10:11]
	v_cmp_gt_u32_e64 s[10:11], v44, v21
	v_cndmask_b32_e64 v30, v54, v30, s[10:11]
	v_cndmask_b32_e64 v31, v47, v31, s[10:11]
	ds_bpermute_b32 v48, v45, v30
	ds_bpermute_b32 v49, v45, v31
	v_cndmask_b32_e32 v19, v19, v29, vcc
	v_cndmask_b32_e32 v18, v18, v28, vcc
	v_cndmask_b32_e64 v18, v51, v18, s[6:7]
	v_cndmask_b32_e64 v19, v50, v19, s[6:7]
	v_add_u32_e32 v46, 32, v33
	s_waitcnt lgkmcnt(0)
	v_cmp_gt_i64_e64 s[12:13], v[48:49], v[30:31]
	v_cndmask_b32_e64 v19, v52, v19, s[8:9]
	v_cndmask_b32_e64 v18, v53, v18, s[8:9]
	;; [unrolled: 1-line block ×6, first 2 shown]
	v_cmp_gt_u32_e32 vcc, v46, v21
	v_cndmask_b32_e32 v19, v30, v19, vcc
	v_cndmask_b32_e32 v18, v25, v18, vcc
	v_mov_b32_e32 v25, 0
	s_branch .LBB3802_40
.LBB3802_39:                            ;   in Loop: Header=BB3802_40 Depth=1
	s_or_b64 exec, exec, s[6:7]
	v_cmp_eq_u16_sdwa s[6:7], v20, v32 src0_sel:BYTE_0 src1_sel:DWORD
	v_and_b32_e32 v21, s7, v17
	ds_bpermute_b32 v30, v34, v18
	ds_bpermute_b32 v31, v34, v19
	v_or_b32_e32 v21, 0x80000000, v21
	v_and_b32_e32 v47, s6, v16
	v_ffbl_b32_e32 v21, v21
	v_add_u32_e32 v21, 32, v21
	v_ffbl_b32_e32 v47, v47
	v_min_u32_e32 v21, v47, v21
	s_waitcnt lgkmcnt(0)
	v_cmp_gt_i64_e32 vcc, v[30:31], v[18:19]
	v_cmp_lt_u32_e64 s[6:7], v33, v21
	v_cndmask_b32_e32 v30, v18, v30, vcc
	s_and_b64 vcc, s[6:7], vcc
	v_cndmask_b32_e64 v30, v18, v30, s[6:7]
	v_cndmask_b32_e32 v31, v19, v31, vcc
	ds_bpermute_b32 v48, v35, v30
	ds_bpermute_b32 v49, v35, v31
	v_subrev_u32_e32 v24, 64, v24
	s_waitcnt lgkmcnt(0)
	v_cmp_gt_i64_e32 vcc, v[48:49], v[30:31]
	v_cndmask_b32_e32 v47, v31, v49, vcc
	v_cndmask_b32_e32 v48, v30, v48, vcc
	v_cmp_gt_u32_e32 vcc, v38, v21
	v_cndmask_b32_e32 v30, v48, v30, vcc
	v_cndmask_b32_e32 v31, v47, v31, vcc
	ds_bpermute_b32 v48, v39, v30
	ds_bpermute_b32 v49, v39, v31
	v_cndmask_b32_e64 v19, v19, v31, s[6:7]
	v_cndmask_b32_e64 v18, v18, v30, s[6:7]
	s_waitcnt lgkmcnt(0)
	v_cmp_gt_i64_e32 vcc, v[48:49], v[30:31]
	v_cndmask_b32_e32 v47, v31, v49, vcc
	v_cndmask_b32_e32 v52, v30, v48, vcc
	v_cmp_gt_u32_e32 vcc, v40, v21
	v_cndmask_b32_e32 v48, v52, v30, vcc
	v_cndmask_b32_e32 v49, v47, v31, vcc
	ds_bpermute_b32 v50, v41, v48
	ds_bpermute_b32 v51, v41, v49
	v_cndmask_b32_e32 v18, v52, v18, vcc
	v_cndmask_b32_e32 v19, v47, v19, vcc
	v_cmp_gt_u32_e32 vcc, v46, v21
	s_waitcnt lgkmcnt(0)
	v_cmp_gt_i64_e64 s[8:9], v[50:51], v[48:49]
	v_cndmask_b32_e64 v53, v49, v51, s[8:9]
	v_cndmask_b32_e64 v54, v48, v50, s[8:9]
	v_cmp_gt_u32_e64 s[8:9], v42, v21
	v_cndmask_b32_e64 v48, v54, v48, s[8:9]
	v_cndmask_b32_e64 v49, v53, v49, s[8:9]
	ds_bpermute_b32 v50, v43, v48
	ds_bpermute_b32 v51, v43, v49
	v_cndmask_b32_e64 v19, v53, v19, s[8:9]
	v_cndmask_b32_e64 v18, v54, v18, s[8:9]
	s_waitcnt lgkmcnt(0)
	v_cmp_gt_i64_e64 s[10:11], v[50:51], v[48:49]
	v_cndmask_b32_e64 v55, v49, v51, s[10:11]
	v_cndmask_b32_e64 v56, v48, v50, s[10:11]
	v_cmp_gt_u32_e64 s[10:11], v44, v21
	v_cndmask_b32_e64 v48, v56, v48, s[10:11]
	v_cndmask_b32_e64 v49, v55, v49, s[10:11]
	ds_bpermute_b32 v50, v45, v48
	ds_bpermute_b32 v51, v45, v49
	v_cndmask_b32_e64 v18, v56, v18, s[10:11]
	v_cndmask_b32_e64 v19, v55, v19, s[10:11]
	s_waitcnt lgkmcnt(0)
	v_cmp_gt_i64_e64 s[12:13], v[50:51], v[48:49]
	v_cndmask_b32_e64 v48, v48, v50, s[12:13]
	v_cndmask_b32_e64 v49, v49, v51, s[12:13]
	v_cndmask_b32_e32 v19, v49, v19, vcc
	v_cndmask_b32_e32 v18, v48, v18, vcc
	v_cmp_gt_i64_e32 vcc, v[18:19], v[28:29]
	v_cndmask_b32_e32 v19, v29, v19, vcc
	v_cndmask_b32_e32 v18, v28, v18, vcc
.LBB3802_40:                            ; =>This Loop Header: Depth=1
                                        ;     Child Loop BB3802_43 Depth 2
                                        ;       Child Loop BB3802_44 Depth 3
	v_cmp_ne_u16_sdwa s[6:7], v20, v32 src0_sel:BYTE_0 src1_sel:DWORD
	v_cndmask_b32_e64 v20, 0, 1, s[6:7]
	;;#ASMSTART
	;;#ASMEND
	v_cmp_ne_u32_e32 vcc, 0, v20
	s_cmp_lg_u64 vcc, exec
	v_pk_mov_b32 v[28:29], v[18:19], v[18:19] op_sel:[0,1]
	s_cbranch_scc1 .LBB3802_47
; %bb.41:                               ;   in Loop: Header=BB3802_40 Depth=1
	v_lshlrev_b64 v[18:19], 4, v[24:25]
	v_mov_b32_e32 v20, s27
	v_add_co_u32_e32 v30, vcc, s26, v18
	v_addc_co_u32_e32 v31, vcc, v20, v19, vcc
	;;#ASMSTART
	global_load_dwordx4 v[18:21], v[30:31] off glc	
s_waitcnt vmcnt(0)
	;;#ASMEND
	v_and_b32_e32 v21, 0xff, v19
	v_and_b32_e32 v47, 0xff00, v19
	v_or3_b32 v21, 0, v21, v47
	v_or3_b32 v18, v18, 0, 0
	v_and_b32_e32 v47, 0xff000000, v19
	v_and_b32_e32 v19, 0xff0000, v19
	v_or3_b32 v19, v21, v19, v47
	v_or3_b32 v18, v18, 0, 0
	v_cmp_eq_u16_sdwa s[8:9], v20, v25 src0_sel:BYTE_0 src1_sel:DWORD
	s_and_saveexec_b64 s[6:7], s[8:9]
	s_cbranch_execz .LBB3802_39
; %bb.42:                               ;   in Loop: Header=BB3802_40 Depth=1
	s_mov_b32 s10, 1
	s_mov_b64 s[8:9], 0
.LBB3802_43:                            ;   Parent Loop BB3802_40 Depth=1
                                        ; =>  This Loop Header: Depth=2
                                        ;       Child Loop BB3802_44 Depth 3
	s_max_u32 s11, s10, 1
.LBB3802_44:                            ;   Parent Loop BB3802_40 Depth=1
                                        ;     Parent Loop BB3802_43 Depth=2
                                        ; =>    This Inner Loop Header: Depth=3
	s_add_i32 s11, s11, -1
	s_cmp_eq_u32 s11, 0
	s_sleep 1
	s_cbranch_scc0 .LBB3802_44
; %bb.45:                               ;   in Loop: Header=BB3802_43 Depth=2
	s_cmp_lt_u32 s10, 32
	s_cselect_b64 s[12:13], -1, 0
	s_cmp_lg_u64 s[12:13], 0
	s_addc_u32 s10, s10, 0
	;;#ASMSTART
	global_load_dwordx4 v[18:21], v[30:31] off glc	
s_waitcnt vmcnt(0)
	;;#ASMEND
	v_cmp_ne_u16_sdwa s[12:13], v20, v25 src0_sel:BYTE_0 src1_sel:DWORD
	s_or_b64 s[8:9], s[12:13], s[8:9]
	s_andn2_b64 exec, exec, s[8:9]
	s_cbranch_execnz .LBB3802_43
; %bb.46:                               ;   in Loop: Header=BB3802_40 Depth=1
	s_or_b64 exec, exec, s[8:9]
	s_branch .LBB3802_39
.LBB3802_47:                            ;   in Loop: Header=BB3802_40 Depth=1
                                        ; implicit-def: $vgpr18_vgpr19
                                        ; implicit-def: $vgpr20
	s_cbranch_execz .LBB3802_40
; %bb.48:
	s_and_saveexec_b64 s[6:7], s[4:5]
	s_cbranch_execz .LBB3802_50
; %bb.49:
	s_add_i32 s4, s35, 64
	s_mov_b32 s5, 0
	s_lshl_b64 s[4:5], s[4:5], 4
	s_add_u32 s4, s26, s4
	v_cmp_gt_i64_e32 vcc, v[28:29], v[14:15]
	s_addc_u32 s5, s27, s5
	v_cndmask_b32_e32 v15, v15, v29, vcc
	v_cndmask_b32_e32 v14, v14, v28, vcc
	v_mov_b32_e32 v16, 2
	v_mov_b32_e32 v17, 0
	v_pk_mov_b32 v[18:19], s[4:5], s[4:5] op_sel:[0,1]
	;;#ASMSTART
	global_store_dwordx4 v[18:19], v[14:17] off	
s_waitcnt vmcnt(0)
	;;#ASMEND
.LBB3802_50:
	s_or_b64 exec, exec, s[6:7]
	s_and_b64 exec, exec, s[0:1]
	s_cbranch_execz .LBB3802_52
; %bb.51:
	v_mov_b32_e32 v14, 0
	ds_write_b64 v14, v[28:29]
.LBB3802_52:
	s_or_b64 exec, exec, s[28:29]
	v_mov_b32_e32 v14, 0
	s_waitcnt lgkmcnt(0)
	s_barrier
	ds_read_b64 v[14:15], v14
	s_waitcnt lgkmcnt(0)
	v_cmp_gt_i64_e32 vcc, v[14:15], v[22:23]
	v_cndmask_b32_e32 v16, v22, v14, vcc
	v_cndmask_b32_e32 v17, v23, v15, vcc
	v_cndmask_b32_e64 v15, v17, v15, s[0:1]
	v_cndmask_b32_e64 v14, v16, v14, s[0:1]
	v_cmp_gt_i64_e32 vcc, v[14:15], v[10:11]
	v_cndmask_b32_e32 v29, v11, v15, vcc
	v_cndmask_b32_e32 v28, v10, v14, vcc
	v_cmp_gt_i64_e32 vcc, v[28:29], v[12:13]
	v_cndmask_b32_e32 v19, v13, v29, vcc
	v_cndmask_b32_e32 v18, v12, v28, vcc
	;; [unrolled: 3-line block ×6, first 2 shown]
	s_branch .LBB3802_65
.LBB3802_53:
                                        ; implicit-def: $vgpr34_vgpr35
                                        ; implicit-def: $vgpr32_vgpr33
                                        ; implicit-def: $vgpr30_vgpr31
                                        ; implicit-def: $vgpr28_vgpr29
                                        ; implicit-def: $vgpr22_vgpr23_vgpr24_vgpr25
                                        ; implicit-def: $vgpr18_vgpr19_vgpr20_vgpr21
                                        ; implicit-def: $vgpr14_vgpr15_vgpr16_vgpr17
	s_cbranch_execz .LBB3802_65
; %bb.54:
	s_cmp_eq_u64 s[20:21], 0
	v_pk_mov_b32 v[20:21], s[14:15], s[14:15] op_sel:[0,1]
	s_cbranch_scc1 .LBB3802_56
; %bb.55:
	v_mov_b32_e32 v17, s34
	v_add_co_u32_e64 v16, vcc, -8, s33
	v_mov_b32_e32 v14, 0
	v_addc_co_u32_e32 v17, vcc, -1, v17, vcc
	global_load_dwordx2 v[14:15], v14, s[16:17]
	s_nop 0
	flat_load_dwordx2 v[16:17], v[16:17]
	s_waitcnt vmcnt(0) lgkmcnt(0)
	v_cmp_gt_i64_e32 vcc, v[14:15], v[16:17]
	v_cndmask_b32_e32 v21, v17, v15, vcc
	v_cndmask_b32_e32 v20, v16, v14, vcc
.LBB3802_56:
	v_cmp_gt_i64_e32 vcc, v[10:11], v[12:13]
	v_cndmask_b32_e32 v15, v13, v11, vcc
	v_cndmask_b32_e32 v14, v12, v10, vcc
	v_cmp_gt_i64_e32 vcc, v[14:15], v[6:7]
	v_cndmask_b32_e32 v15, v7, v15, vcc
	v_cndmask_b32_e32 v14, v6, v14, vcc
	;; [unrolled: 3-line block ×6, first 2 shown]
	v_add_lshl_u32 v1, v1, v0, 3
	v_cmp_gt_u32_e32 vcc, 64, v0
	ds_write_b64 v1, v[18:19]
	s_waitcnt lgkmcnt(0)
	s_barrier
	s_and_saveexec_b64 s[6:7], vcc
	s_cbranch_execz .LBB3802_60
; %bb.57:
	v_lshlrev_b32_e32 v1, 1, v0
	v_lshrrev_b32_e32 v14, 4, v0
	v_add_lshl_u32 v1, v14, v1, 3
	ds_read2_b64 v[14:17], v1 offset1:1
	v_mbcnt_lo_u32_b32 v22, -1, 0
	v_mbcnt_hi_u32_b32 v26, -1, v22
	v_and_b32_e32 v27, 15, v26
	v_and_b32_e32 v29, 16, v26
	s_waitcnt lgkmcnt(0)
	v_cmp_gt_i64_e32 vcc, v[14:15], v[16:17]
	v_cndmask_b32_e32 v17, v17, v15, vcc
	v_cndmask_b32_e32 v16, v16, v14, vcc
	v_cmp_ne_u32_e64 s[4:5], 0, v26
	v_mov_b32_dpp v23, v17 row_shr:1 row_mask:0xf bank_mask:0xf
	v_mov_b32_dpp v22, v16 row_shr:1 row_mask:0xf bank_mask:0xf
	v_cmp_gt_i64_e32 vcc, v[22:23], v[16:17]
	v_cndmask_b32_e32 v22, v16, v22, vcc
	v_cndmask_b32_e32 v23, v17, v23, vcc
	v_cmp_eq_u32_e32 vcc, 0, v27
	v_cndmask_b32_e32 v23, v23, v17, vcc
	v_cndmask_b32_e32 v22, v22, v16, vcc
	s_nop 0
	v_mov_b32_dpp v25, v23 row_shr:2 row_mask:0xf bank_mask:0xf
	v_mov_b32_dpp v24, v22 row_shr:2 row_mask:0xf bank_mask:0xf
	v_cmp_gt_i64_e32 vcc, v[24:25], v[22:23]
	v_cndmask_b32_e32 v24, v22, v24, vcc
	v_cndmask_b32_e32 v25, v23, v25, vcc
	v_cmp_lt_u32_e32 vcc, 1, v27
	v_cndmask_b32_e32 v23, v23, v25, vcc
	v_cndmask_b32_e32 v22, v22, v24, vcc
	s_nop 0
	v_mov_b32_dpp v25, v23 row_shr:4 row_mask:0xf bank_mask:0xf
	v_mov_b32_dpp v24, v22 row_shr:4 row_mask:0xf bank_mask:0xf
	v_cmp_gt_i64_e32 vcc, v[24:25], v[22:23]
	v_cndmask_b32_e32 v24, v22, v24, vcc
	v_cndmask_b32_e32 v25, v23, v25, vcc
	v_cmp_lt_u32_e32 vcc, 3, v27
	;; [unrolled: 9-line block ×3, first 2 shown]
	v_cndmask_b32_e32 v23, v23, v25, vcc
	v_cndmask_b32_e32 v22, v22, v24, vcc
	s_nop 0
	v_mov_b32_dpp v25, v23 row_bcast:15 row_mask:0xf bank_mask:0xf
	v_mov_b32_dpp v24, v22 row_bcast:15 row_mask:0xf bank_mask:0xf
	v_cmp_gt_i64_e32 vcc, v[24:25], v[22:23]
	v_cndmask_b32_e32 v27, v23, v25, vcc
	v_cndmask_b32_e32 v28, v22, v24, vcc
	v_cmp_eq_u32_e32 vcc, 0, v29
	v_cndmask_b32_e32 v25, v27, v23, vcc
	v_cndmask_b32_e32 v24, v28, v22, vcc
	s_nop 0
	v_mov_b32_dpp v25, v25 row_bcast:31 row_mask:0xf bank_mask:0xf
	v_mov_b32_dpp v24, v24 row_bcast:31 row_mask:0xf bank_mask:0xf
	s_and_saveexec_b64 s[8:9], s[4:5]
; %bb.58:
	v_cndmask_b32_e32 v17, v27, v23, vcc
	v_cndmask_b32_e32 v16, v28, v22, vcc
	v_cmp_lt_u32_e64 s[4:5], 31, v26
	v_cmp_gt_i64_e32 vcc, v[24:25], v[16:17]
	s_and_b64 vcc, s[4:5], vcc
	v_cndmask_b32_e32 v16, v16, v24, vcc
	v_cndmask_b32_e32 v17, v17, v25, vcc
; %bb.59:
	s_or_b64 exec, exec, s[8:9]
	v_add_u32_e32 v22, -1, v26
	v_and_b32_e32 v23, 64, v26
	v_cmp_lt_i32_e32 vcc, v22, v23
	v_cndmask_b32_e32 v22, v22, v26, vcc
	v_lshlrev_b32_e32 v22, 2, v22
	ds_bpermute_b32 v16, v22, v16
	ds_bpermute_b32 v17, v22, v17
	; wave barrier
	s_waitcnt lgkmcnt(0)
	v_cmp_gt_i64_e32 vcc, v[16:17], v[14:15]
	v_cndmask_b32_e32 v14, v14, v16, vcc
	v_cndmask_b32_e32 v15, v15, v17, vcc
	v_cndmask_b32_e64 v15, v15, v19, s[0:1]
	v_cndmask_b32_e64 v14, v14, v18, s[0:1]
	ds_write_b64 v1, v[14:15]
	; wave barrier
	ds_read_b64 v[16:17], v1 offset:8
	s_waitcnt lgkmcnt(0)
	v_cmp_gt_i64_e32 vcc, v[14:15], v[16:17]
	v_cndmask_b32_e32 v15, v17, v15, vcc
	v_cndmask_b32_e32 v14, v16, v14, vcc
	ds_write_b64 v1, v[14:15] offset:8
.LBB3802_60:
	s_or_b64 exec, exec, s[6:7]
	v_pk_mov_b32 v[14:15], v[20:21], v[20:21] op_sel:[0,1]
	s_waitcnt lgkmcnt(0)
	s_barrier
	s_and_saveexec_b64 s[4:5], s[2:3]
	s_cbranch_execz .LBB3802_62
; %bb.61:
	v_add_u32_e32 v1, -1, v0
	v_lshrrev_b32_e32 v14, 5, v1
	v_add_lshl_u32 v1, v14, v1, 3
	ds_read_b64 v[14:15], v1
	s_waitcnt lgkmcnt(0)
	v_cmp_gt_i64_e32 vcc, v[20:21], v[14:15]
	v_cndmask_b32_e32 v15, v15, v21, vcc
	v_cndmask_b32_e32 v14, v14, v20, vcc
.LBB3802_62:
	s_or_b64 exec, exec, s[4:5]
	v_cmp_gt_i64_e32 vcc, v[14:15], v[10:11]
	v_cndmask_b32_e32 v29, v11, v15, vcc
	v_cndmask_b32_e32 v28, v10, v14, vcc
	v_cmp_gt_i64_e32 vcc, v[28:29], v[12:13]
	v_cndmask_b32_e32 v19, v13, v29, vcc
	v_cndmask_b32_e32 v18, v12, v28, vcc
	;; [unrolled: 3-line block ×6, first 2 shown]
	s_and_saveexec_b64 s[2:3], s[0:1]
	s_cbranch_execz .LBB3802_64
; %bb.63:
	v_mov_b32_e32 v5, 0
	ds_read_b64 v[2:3], v5 offset:1040
	s_add_u32 s0, s26, 0x400
	s_addc_u32 s1, s27, 0
	v_mov_b32_e32 v4, 2
	v_pk_mov_b32 v[6:7], s[0:1], s[0:1] op_sel:[0,1]
	s_waitcnt lgkmcnt(0)
	v_cmp_gt_i64_e32 vcc, v[20:21], v[2:3]
	v_cndmask_b32_e32 v3, v3, v21, vcc
	v_cndmask_b32_e32 v2, v2, v20, vcc
	;;#ASMSTART
	global_store_dwordx4 v[6:7], v[2:5] off	
s_waitcnt vmcnt(0)
	;;#ASMEND
.LBB3802_64:
	s_or_b64 exec, exec, s[2:3]
.LBB3802_65:
	s_mov_b64 s[0:1], -1
	s_and_b64 vcc, exec, s[24:25]
	s_barrier
	ds_write2_b64 v37, v[14:15], v[28:29] offset1:1
	ds_write2_b64 v37, v[18:19], v[30:31] offset0:2 offset1:3
	ds_write2_b64 v37, v[22:23], v[32:33] offset0:4 offset1:5
	ds_write_b64 v37, v[34:35] offset:48
	s_waitcnt lgkmcnt(0)
	s_cbranch_vccz .LBB3802_67
; %bb.66:
	s_barrier
	s_mov_b64 s[0:1], 0
.LBB3802_67:
	s_andn2_b64 vcc, exec, s[0:1]
	s_cbranch_vccnz .LBB3802_92
; %bb.68:
	v_cmp_lt_u64_e64 s[0:1], s[22:23], 2
	s_and_b64 vcc, exec, s[0:1]
	s_barrier
	s_cbranch_vccnz .LBB3802_92
; %bb.69:
	s_add_u32 s0, s30, -1
	s_addc_u32 s1, s31, -1
	s_add_u32 s2, 0, 0x92481000
	s_addc_u32 s3, 0, 0x64
	s_add_i32 s3, s3, 0x249248c0
	s_mul_hi_u32 s7, s2, -7
	s_sub_i32 s7, s7, s2
	s_mul_i32 s8, s3, -7
	s_mul_i32 s4, s2, -7
	s_add_i32 s7, s7, s8
	s_mul_hi_u32 s5, s3, s4
	s_mul_i32 s6, s3, s4
	s_mul_i32 s9, s2, s7
	s_mul_hi_u32 s4, s2, s4
	s_mul_hi_u32 s8, s2, s7
	s_add_u32 s4, s4, s9
	s_addc_u32 s8, 0, s8
	s_add_u32 s4, s4, s6
	s_mul_hi_u32 s9, s3, s7
	s_addc_u32 s4, s8, s5
	s_addc_u32 s5, s9, 0
	s_mul_i32 s6, s3, s7
	s_add_u32 s4, s4, s6
	v_mov_b32_e32 v2, s4
	s_addc_u32 s5, 0, s5
	v_add_co_u32_e32 v2, vcc, s2, v2
	s_cmp_lg_u64 vcc, 0
	s_addc_u32 s2, s3, s5
	v_readfirstlane_b32 s5, v2
	s_mul_i32 s4, s0, s2
	s_mul_hi_u32 s6, s0, s5
	s_mul_hi_u32 s3, s0, s2
	s_add_u32 s4, s6, s4
	s_addc_u32 s3, 0, s3
	s_mul_hi_u32 s7, s1, s5
	s_mul_i32 s5, s1, s5
	s_add_u32 s4, s4, s5
	s_mul_hi_u32 s6, s1, s2
	s_addc_u32 s3, s3, s7
	s_addc_u32 s4, s6, 0
	s_mul_i32 s2, s1, s2
	s_add_u32 s2, s3, s2
	s_addc_u32 s3, 0, s4
	s_add_u32 s4, s2, 1
	s_addc_u32 s5, s3, 0
	s_add_u32 s6, s2, 2
	s_mul_i32 s8, s3, 7
	s_mul_hi_u32 s9, s2, 7
	s_addc_u32 s7, s3, 0
	s_add_i32 s9, s9, s8
	s_mul_i32 s8, s2, 7
	v_mov_b32_e32 v2, s8
	v_sub_co_u32_e32 v2, vcc, s0, v2
	s_cmp_lg_u64 vcc, 0
	s_subb_u32 s8, s1, s9
	v_subrev_co_u32_e32 v3, vcc, 7, v2
	s_cmp_lg_u64 vcc, 0
	s_subb_u32 s9, s8, 0
	v_readfirstlane_b32 s10, v3
	s_cmp_gt_u32 s10, 6
	s_cselect_b32 s10, -1, 0
	s_cmp_eq_u32 s9, 0
	s_cselect_b32 s9, s10, -1
	s_cmp_lg_u32 s9, 0
	s_cselect_b32 s4, s6, s4
	v_readfirstlane_b32 s6, v2
	s_cselect_b32 s5, s7, s5
	s_cmp_gt_u32 s6, 6
	s_cselect_b32 s6, -1, 0
	s_cmp_eq_u32 s8, 0
	s_cselect_b32 s6, s6, -1
	s_cmp_lg_u32 s6, 0
	v_mov_b32_e32 v1, 0
	s_cselect_b32 s3, s5, s3
	s_cselect_b32 s2, s4, s2
	v_cmp_eq_u64_e32 vcc, s[2:3], v[0:1]
	s_and_saveexec_b64 s[2:3], vcc
	s_cbranch_execz .LBB3802_92
; %bb.70:
	s_movk_i32 s2, 0xffd0
	v_mad_i32_i24 v2, v0, s2, v37
	v_mul_hi_u32_u24_e32 v1, 7, v0
	v_mov_b32_e32 v3, s1
	v_sub_co_u32_e32 v0, vcc, s0, v36
	v_subb_co_u32_e32 v1, vcc, v3, v1, vcc
	v_cmp_lt_i64_e32 vcc, 3, v[0:1]
	s_and_saveexec_b64 s[0:1], vcc
	s_xor_b64 s[0:1], exec, s[0:1]
	s_cbranch_execz .LBB3802_80
; %bb.71:
	v_cmp_lt_i64_e32 vcc, 4, v[0:1]
	s_and_saveexec_b64 s[2:3], vcc
	s_xor_b64 s[2:3], exec, s[2:3]
	s_cbranch_execz .LBB3802_77
; %bb.72:
	;; [unrolled: 5-line block ×3, first 2 shown]
	ds_read_b64 v[0:1], v2 offset:6144
	v_mov_b32_e32 v2, 0
	s_waitcnt lgkmcnt(0)
	global_store_dwordx2 v2, v[0:1], s[18:19]
                                        ; implicit-def: $vgpr2
.LBB3802_74:
	s_andn2_saveexec_b64 s[4:5], s[4:5]
	s_cbranch_execz .LBB3802_76
; %bb.75:
	ds_read_b64 v[0:1], v2 offset:5120
	v_mov_b32_e32 v2, 0
	s_waitcnt lgkmcnt(0)
	global_store_dwordx2 v2, v[0:1], s[18:19]
.LBB3802_76:
	s_or_b64 exec, exec, s[4:5]
                                        ; implicit-def: $vgpr2
.LBB3802_77:
	s_andn2_saveexec_b64 s[2:3], s[2:3]
	s_cbranch_execz .LBB3802_79
; %bb.78:
	ds_read_b64 v[0:1], v2 offset:4096
	v_mov_b32_e32 v2, 0
	s_waitcnt lgkmcnt(0)
	global_store_dwordx2 v2, v[0:1], s[18:19]
.LBB3802_79:
	s_or_b64 exec, exec, s[2:3]
                                        ; implicit-def: $vgpr0_vgpr1
                                        ; implicit-def: $vgpr2
.LBB3802_80:
	s_andn2_saveexec_b64 s[0:1], s[0:1]
	s_cbranch_execz .LBB3802_92
; %bb.81:
	v_cmp_lt_i64_e32 vcc, 1, v[0:1]
	s_and_saveexec_b64 s[0:1], vcc
	s_xor_b64 s[0:1], exec, s[0:1]
	s_cbranch_execz .LBB3802_87
; %bb.82:
	v_cmp_lt_i64_e32 vcc, 2, v[0:1]
	s_and_saveexec_b64 s[2:3], vcc
	s_xor_b64 s[2:3], exec, s[2:3]
	s_cbranch_execz .LBB3802_84
; %bb.83:
	ds_read_b64 v[0:1], v2 offset:3072
	v_mov_b32_e32 v2, 0
	s_waitcnt lgkmcnt(0)
	global_store_dwordx2 v2, v[0:1], s[18:19]
                                        ; implicit-def: $vgpr2
.LBB3802_84:
	s_andn2_saveexec_b64 s[2:3], s[2:3]
	s_cbranch_execz .LBB3802_86
; %bb.85:
	ds_read_b64 v[0:1], v2 offset:2048
	v_mov_b32_e32 v2, 0
	s_waitcnt lgkmcnt(0)
	global_store_dwordx2 v2, v[0:1], s[18:19]
.LBB3802_86:
	s_or_b64 exec, exec, s[2:3]
                                        ; implicit-def: $vgpr2
                                        ; implicit-def: $vgpr0_vgpr1
.LBB3802_87:
	s_andn2_saveexec_b64 s[0:1], s[0:1]
	s_cbranch_execz .LBB3802_92
; %bb.88:
	v_cmp_ne_u64_e32 vcc, 1, v[0:1]
	s_and_saveexec_b64 s[0:1], vcc
	s_xor_b64 s[0:1], exec, s[0:1]
	s_cbranch_execz .LBB3802_90
; %bb.89:
	ds_read_b64 v[0:1], v2
	v_mov_b32_e32 v2, 0
	s_waitcnt lgkmcnt(0)
	global_store_dwordx2 v2, v[0:1], s[18:19]
                                        ; implicit-def: $vgpr2
.LBB3802_90:
	s_andn2_saveexec_b64 s[0:1], s[0:1]
	s_cbranch_execz .LBB3802_92
; %bb.91:
	ds_read_b64 v[0:1], v2 offset:1024
	v_mov_b32_e32 v2, 0
	s_waitcnt lgkmcnt(0)
	global_store_dwordx2 v2, v[0:1], s[18:19]
.LBB3802_92:
	s_endpgm
	.section	.rodata,"a",@progbits
	.p2align	6, 0x0
	.amdhsa_kernel _ZN7rocprim17ROCPRIM_400000_NS6detail17trampoline_kernelINS0_14default_configENS1_20scan_config_selectorIxEEZZNS1_9scan_implILNS1_25lookback_scan_determinismE0ELb1ELb1ES3_N6thrust23THRUST_200600_302600_NS6detail15normal_iteratorINS9_10device_ptrIxEEEENS9_16discard_iteratorINS9_11use_defaultEEEx11max_functorIxExEEDaPvRmT3_T4_T5_mT6_P12ihipStream_tbENKUlT_T0_E_clISt17integral_constantIbLb1EESX_EEDaSS_ST_EUlSS_E_NS1_11comp_targetILNS1_3genE4ELNS1_11target_archE910ELNS1_3gpuE8ELNS1_3repE0EEENS1_30default_config_static_selectorELNS0_4arch9wavefront6targetE1EEEvT1_
		.amdhsa_group_segment_fixed_size 7168
		.amdhsa_private_segment_fixed_size 0
		.amdhsa_kernarg_size 112
		.amdhsa_user_sgpr_count 6
		.amdhsa_user_sgpr_private_segment_buffer 1
		.amdhsa_user_sgpr_dispatch_ptr 0
		.amdhsa_user_sgpr_queue_ptr 0
		.amdhsa_user_sgpr_kernarg_segment_ptr 1
		.amdhsa_user_sgpr_dispatch_id 0
		.amdhsa_user_sgpr_flat_scratch_init 0
		.amdhsa_user_sgpr_kernarg_preload_length 0
		.amdhsa_user_sgpr_kernarg_preload_offset 0
		.amdhsa_user_sgpr_private_segment_size 0
		.amdhsa_uses_dynamic_stack 0
		.amdhsa_system_sgpr_private_segment_wavefront_offset 0
		.amdhsa_system_sgpr_workgroup_id_x 1
		.amdhsa_system_sgpr_workgroup_id_y 0
		.amdhsa_system_sgpr_workgroup_id_z 0
		.amdhsa_system_sgpr_workgroup_info 0
		.amdhsa_system_vgpr_workitem_id 0
		.amdhsa_next_free_vgpr 57
		.amdhsa_next_free_sgpr 36
		.amdhsa_accum_offset 60
		.amdhsa_reserve_vcc 1
		.amdhsa_reserve_flat_scratch 0
		.amdhsa_float_round_mode_32 0
		.amdhsa_float_round_mode_16_64 0
		.amdhsa_float_denorm_mode_32 3
		.amdhsa_float_denorm_mode_16_64 3
		.amdhsa_dx10_clamp 1
		.amdhsa_ieee_mode 1
		.amdhsa_fp16_overflow 0
		.amdhsa_tg_split 0
		.amdhsa_exception_fp_ieee_invalid_op 0
		.amdhsa_exception_fp_denorm_src 0
		.amdhsa_exception_fp_ieee_div_zero 0
		.amdhsa_exception_fp_ieee_overflow 0
		.amdhsa_exception_fp_ieee_underflow 0
		.amdhsa_exception_fp_ieee_inexact 0
		.amdhsa_exception_int_div_zero 0
	.end_amdhsa_kernel
	.section	.text._ZN7rocprim17ROCPRIM_400000_NS6detail17trampoline_kernelINS0_14default_configENS1_20scan_config_selectorIxEEZZNS1_9scan_implILNS1_25lookback_scan_determinismE0ELb1ELb1ES3_N6thrust23THRUST_200600_302600_NS6detail15normal_iteratorINS9_10device_ptrIxEEEENS9_16discard_iteratorINS9_11use_defaultEEEx11max_functorIxExEEDaPvRmT3_T4_T5_mT6_P12ihipStream_tbENKUlT_T0_E_clISt17integral_constantIbLb1EESX_EEDaSS_ST_EUlSS_E_NS1_11comp_targetILNS1_3genE4ELNS1_11target_archE910ELNS1_3gpuE8ELNS1_3repE0EEENS1_30default_config_static_selectorELNS0_4arch9wavefront6targetE1EEEvT1_,"axG",@progbits,_ZN7rocprim17ROCPRIM_400000_NS6detail17trampoline_kernelINS0_14default_configENS1_20scan_config_selectorIxEEZZNS1_9scan_implILNS1_25lookback_scan_determinismE0ELb1ELb1ES3_N6thrust23THRUST_200600_302600_NS6detail15normal_iteratorINS9_10device_ptrIxEEEENS9_16discard_iteratorINS9_11use_defaultEEEx11max_functorIxExEEDaPvRmT3_T4_T5_mT6_P12ihipStream_tbENKUlT_T0_E_clISt17integral_constantIbLb1EESX_EEDaSS_ST_EUlSS_E_NS1_11comp_targetILNS1_3genE4ELNS1_11target_archE910ELNS1_3gpuE8ELNS1_3repE0EEENS1_30default_config_static_selectorELNS0_4arch9wavefront6targetE1EEEvT1_,comdat
.Lfunc_end3802:
	.size	_ZN7rocprim17ROCPRIM_400000_NS6detail17trampoline_kernelINS0_14default_configENS1_20scan_config_selectorIxEEZZNS1_9scan_implILNS1_25lookback_scan_determinismE0ELb1ELb1ES3_N6thrust23THRUST_200600_302600_NS6detail15normal_iteratorINS9_10device_ptrIxEEEENS9_16discard_iteratorINS9_11use_defaultEEEx11max_functorIxExEEDaPvRmT3_T4_T5_mT6_P12ihipStream_tbENKUlT_T0_E_clISt17integral_constantIbLb1EESX_EEDaSS_ST_EUlSS_E_NS1_11comp_targetILNS1_3genE4ELNS1_11target_archE910ELNS1_3gpuE8ELNS1_3repE0EEENS1_30default_config_static_selectorELNS0_4arch9wavefront6targetE1EEEvT1_, .Lfunc_end3802-_ZN7rocprim17ROCPRIM_400000_NS6detail17trampoline_kernelINS0_14default_configENS1_20scan_config_selectorIxEEZZNS1_9scan_implILNS1_25lookback_scan_determinismE0ELb1ELb1ES3_N6thrust23THRUST_200600_302600_NS6detail15normal_iteratorINS9_10device_ptrIxEEEENS9_16discard_iteratorINS9_11use_defaultEEEx11max_functorIxExEEDaPvRmT3_T4_T5_mT6_P12ihipStream_tbENKUlT_T0_E_clISt17integral_constantIbLb1EESX_EEDaSS_ST_EUlSS_E_NS1_11comp_targetILNS1_3genE4ELNS1_11target_archE910ELNS1_3gpuE8ELNS1_3repE0EEENS1_30default_config_static_selectorELNS0_4arch9wavefront6targetE1EEEvT1_
                                        ; -- End function
	.section	.AMDGPU.csdata,"",@progbits
; Kernel info:
; codeLenInByte = 5460
; NumSgprs: 40
; NumVgprs: 57
; NumAgprs: 0
; TotalNumVgprs: 57
; ScratchSize: 0
; MemoryBound: 0
; FloatMode: 240
; IeeeMode: 1
; LDSByteSize: 7168 bytes/workgroup (compile time only)
; SGPRBlocks: 4
; VGPRBlocks: 7
; NumSGPRsForWavesPerEU: 40
; NumVGPRsForWavesPerEU: 57
; AccumOffset: 60
; Occupancy: 5
; WaveLimiterHint : 1
; COMPUTE_PGM_RSRC2:SCRATCH_EN: 0
; COMPUTE_PGM_RSRC2:USER_SGPR: 6
; COMPUTE_PGM_RSRC2:TRAP_HANDLER: 0
; COMPUTE_PGM_RSRC2:TGID_X_EN: 1
; COMPUTE_PGM_RSRC2:TGID_Y_EN: 0
; COMPUTE_PGM_RSRC2:TGID_Z_EN: 0
; COMPUTE_PGM_RSRC2:TIDIG_COMP_CNT: 0
; COMPUTE_PGM_RSRC3_GFX90A:ACCUM_OFFSET: 14
; COMPUTE_PGM_RSRC3_GFX90A:TG_SPLIT: 0
	.section	.text._ZN7rocprim17ROCPRIM_400000_NS6detail17trampoline_kernelINS0_14default_configENS1_20scan_config_selectorIxEEZZNS1_9scan_implILNS1_25lookback_scan_determinismE0ELb1ELb1ES3_N6thrust23THRUST_200600_302600_NS6detail15normal_iteratorINS9_10device_ptrIxEEEENS9_16discard_iteratorINS9_11use_defaultEEEx11max_functorIxExEEDaPvRmT3_T4_T5_mT6_P12ihipStream_tbENKUlT_T0_E_clISt17integral_constantIbLb1EESX_EEDaSS_ST_EUlSS_E_NS1_11comp_targetILNS1_3genE3ELNS1_11target_archE908ELNS1_3gpuE7ELNS1_3repE0EEENS1_30default_config_static_selectorELNS0_4arch9wavefront6targetE1EEEvT1_,"axG",@progbits,_ZN7rocprim17ROCPRIM_400000_NS6detail17trampoline_kernelINS0_14default_configENS1_20scan_config_selectorIxEEZZNS1_9scan_implILNS1_25lookback_scan_determinismE0ELb1ELb1ES3_N6thrust23THRUST_200600_302600_NS6detail15normal_iteratorINS9_10device_ptrIxEEEENS9_16discard_iteratorINS9_11use_defaultEEEx11max_functorIxExEEDaPvRmT3_T4_T5_mT6_P12ihipStream_tbENKUlT_T0_E_clISt17integral_constantIbLb1EESX_EEDaSS_ST_EUlSS_E_NS1_11comp_targetILNS1_3genE3ELNS1_11target_archE908ELNS1_3gpuE7ELNS1_3repE0EEENS1_30default_config_static_selectorELNS0_4arch9wavefront6targetE1EEEvT1_,comdat
	.protected	_ZN7rocprim17ROCPRIM_400000_NS6detail17trampoline_kernelINS0_14default_configENS1_20scan_config_selectorIxEEZZNS1_9scan_implILNS1_25lookback_scan_determinismE0ELb1ELb1ES3_N6thrust23THRUST_200600_302600_NS6detail15normal_iteratorINS9_10device_ptrIxEEEENS9_16discard_iteratorINS9_11use_defaultEEEx11max_functorIxExEEDaPvRmT3_T4_T5_mT6_P12ihipStream_tbENKUlT_T0_E_clISt17integral_constantIbLb1EESX_EEDaSS_ST_EUlSS_E_NS1_11comp_targetILNS1_3genE3ELNS1_11target_archE908ELNS1_3gpuE7ELNS1_3repE0EEENS1_30default_config_static_selectorELNS0_4arch9wavefront6targetE1EEEvT1_ ; -- Begin function _ZN7rocprim17ROCPRIM_400000_NS6detail17trampoline_kernelINS0_14default_configENS1_20scan_config_selectorIxEEZZNS1_9scan_implILNS1_25lookback_scan_determinismE0ELb1ELb1ES3_N6thrust23THRUST_200600_302600_NS6detail15normal_iteratorINS9_10device_ptrIxEEEENS9_16discard_iteratorINS9_11use_defaultEEEx11max_functorIxExEEDaPvRmT3_T4_T5_mT6_P12ihipStream_tbENKUlT_T0_E_clISt17integral_constantIbLb1EESX_EEDaSS_ST_EUlSS_E_NS1_11comp_targetILNS1_3genE3ELNS1_11target_archE908ELNS1_3gpuE7ELNS1_3repE0EEENS1_30default_config_static_selectorELNS0_4arch9wavefront6targetE1EEEvT1_
	.globl	_ZN7rocprim17ROCPRIM_400000_NS6detail17trampoline_kernelINS0_14default_configENS1_20scan_config_selectorIxEEZZNS1_9scan_implILNS1_25lookback_scan_determinismE0ELb1ELb1ES3_N6thrust23THRUST_200600_302600_NS6detail15normal_iteratorINS9_10device_ptrIxEEEENS9_16discard_iteratorINS9_11use_defaultEEEx11max_functorIxExEEDaPvRmT3_T4_T5_mT6_P12ihipStream_tbENKUlT_T0_E_clISt17integral_constantIbLb1EESX_EEDaSS_ST_EUlSS_E_NS1_11comp_targetILNS1_3genE3ELNS1_11target_archE908ELNS1_3gpuE7ELNS1_3repE0EEENS1_30default_config_static_selectorELNS0_4arch9wavefront6targetE1EEEvT1_
	.p2align	8
	.type	_ZN7rocprim17ROCPRIM_400000_NS6detail17trampoline_kernelINS0_14default_configENS1_20scan_config_selectorIxEEZZNS1_9scan_implILNS1_25lookback_scan_determinismE0ELb1ELb1ES3_N6thrust23THRUST_200600_302600_NS6detail15normal_iteratorINS9_10device_ptrIxEEEENS9_16discard_iteratorINS9_11use_defaultEEEx11max_functorIxExEEDaPvRmT3_T4_T5_mT6_P12ihipStream_tbENKUlT_T0_E_clISt17integral_constantIbLb1EESX_EEDaSS_ST_EUlSS_E_NS1_11comp_targetILNS1_3genE3ELNS1_11target_archE908ELNS1_3gpuE7ELNS1_3repE0EEENS1_30default_config_static_selectorELNS0_4arch9wavefront6targetE1EEEvT1_,@function
_ZN7rocprim17ROCPRIM_400000_NS6detail17trampoline_kernelINS0_14default_configENS1_20scan_config_selectorIxEEZZNS1_9scan_implILNS1_25lookback_scan_determinismE0ELb1ELb1ES3_N6thrust23THRUST_200600_302600_NS6detail15normal_iteratorINS9_10device_ptrIxEEEENS9_16discard_iteratorINS9_11use_defaultEEEx11max_functorIxExEEDaPvRmT3_T4_T5_mT6_P12ihipStream_tbENKUlT_T0_E_clISt17integral_constantIbLb1EESX_EEDaSS_ST_EUlSS_E_NS1_11comp_targetILNS1_3genE3ELNS1_11target_archE908ELNS1_3gpuE7ELNS1_3repE0EEENS1_30default_config_static_selectorELNS0_4arch9wavefront6targetE1EEEvT1_: ; @_ZN7rocprim17ROCPRIM_400000_NS6detail17trampoline_kernelINS0_14default_configENS1_20scan_config_selectorIxEEZZNS1_9scan_implILNS1_25lookback_scan_determinismE0ELb1ELb1ES3_N6thrust23THRUST_200600_302600_NS6detail15normal_iteratorINS9_10device_ptrIxEEEENS9_16discard_iteratorINS9_11use_defaultEEEx11max_functorIxExEEDaPvRmT3_T4_T5_mT6_P12ihipStream_tbENKUlT_T0_E_clISt17integral_constantIbLb1EESX_EEDaSS_ST_EUlSS_E_NS1_11comp_targetILNS1_3genE3ELNS1_11target_archE908ELNS1_3gpuE7ELNS1_3repE0EEENS1_30default_config_static_selectorELNS0_4arch9wavefront6targetE1EEEvT1_
; %bb.0:
	.section	.rodata,"a",@progbits
	.p2align	6, 0x0
	.amdhsa_kernel _ZN7rocprim17ROCPRIM_400000_NS6detail17trampoline_kernelINS0_14default_configENS1_20scan_config_selectorIxEEZZNS1_9scan_implILNS1_25lookback_scan_determinismE0ELb1ELb1ES3_N6thrust23THRUST_200600_302600_NS6detail15normal_iteratorINS9_10device_ptrIxEEEENS9_16discard_iteratorINS9_11use_defaultEEEx11max_functorIxExEEDaPvRmT3_T4_T5_mT6_P12ihipStream_tbENKUlT_T0_E_clISt17integral_constantIbLb1EESX_EEDaSS_ST_EUlSS_E_NS1_11comp_targetILNS1_3genE3ELNS1_11target_archE908ELNS1_3gpuE7ELNS1_3repE0EEENS1_30default_config_static_selectorELNS0_4arch9wavefront6targetE1EEEvT1_
		.amdhsa_group_segment_fixed_size 0
		.amdhsa_private_segment_fixed_size 0
		.amdhsa_kernarg_size 112
		.amdhsa_user_sgpr_count 6
		.amdhsa_user_sgpr_private_segment_buffer 1
		.amdhsa_user_sgpr_dispatch_ptr 0
		.amdhsa_user_sgpr_queue_ptr 0
		.amdhsa_user_sgpr_kernarg_segment_ptr 1
		.amdhsa_user_sgpr_dispatch_id 0
		.amdhsa_user_sgpr_flat_scratch_init 0
		.amdhsa_user_sgpr_kernarg_preload_length 0
		.amdhsa_user_sgpr_kernarg_preload_offset 0
		.amdhsa_user_sgpr_private_segment_size 0
		.amdhsa_uses_dynamic_stack 0
		.amdhsa_system_sgpr_private_segment_wavefront_offset 0
		.amdhsa_system_sgpr_workgroup_id_x 1
		.amdhsa_system_sgpr_workgroup_id_y 0
		.amdhsa_system_sgpr_workgroup_id_z 0
		.amdhsa_system_sgpr_workgroup_info 0
		.amdhsa_system_vgpr_workitem_id 0
		.amdhsa_next_free_vgpr 1
		.amdhsa_next_free_sgpr 0
		.amdhsa_accum_offset 4
		.amdhsa_reserve_vcc 0
		.amdhsa_reserve_flat_scratch 0
		.amdhsa_float_round_mode_32 0
		.amdhsa_float_round_mode_16_64 0
		.amdhsa_float_denorm_mode_32 3
		.amdhsa_float_denorm_mode_16_64 3
		.amdhsa_dx10_clamp 1
		.amdhsa_ieee_mode 1
		.amdhsa_fp16_overflow 0
		.amdhsa_tg_split 0
		.amdhsa_exception_fp_ieee_invalid_op 0
		.amdhsa_exception_fp_denorm_src 0
		.amdhsa_exception_fp_ieee_div_zero 0
		.amdhsa_exception_fp_ieee_overflow 0
		.amdhsa_exception_fp_ieee_underflow 0
		.amdhsa_exception_fp_ieee_inexact 0
		.amdhsa_exception_int_div_zero 0
	.end_amdhsa_kernel
	.section	.text._ZN7rocprim17ROCPRIM_400000_NS6detail17trampoline_kernelINS0_14default_configENS1_20scan_config_selectorIxEEZZNS1_9scan_implILNS1_25lookback_scan_determinismE0ELb1ELb1ES3_N6thrust23THRUST_200600_302600_NS6detail15normal_iteratorINS9_10device_ptrIxEEEENS9_16discard_iteratorINS9_11use_defaultEEEx11max_functorIxExEEDaPvRmT3_T4_T5_mT6_P12ihipStream_tbENKUlT_T0_E_clISt17integral_constantIbLb1EESX_EEDaSS_ST_EUlSS_E_NS1_11comp_targetILNS1_3genE3ELNS1_11target_archE908ELNS1_3gpuE7ELNS1_3repE0EEENS1_30default_config_static_selectorELNS0_4arch9wavefront6targetE1EEEvT1_,"axG",@progbits,_ZN7rocprim17ROCPRIM_400000_NS6detail17trampoline_kernelINS0_14default_configENS1_20scan_config_selectorIxEEZZNS1_9scan_implILNS1_25lookback_scan_determinismE0ELb1ELb1ES3_N6thrust23THRUST_200600_302600_NS6detail15normal_iteratorINS9_10device_ptrIxEEEENS9_16discard_iteratorINS9_11use_defaultEEEx11max_functorIxExEEDaPvRmT3_T4_T5_mT6_P12ihipStream_tbENKUlT_T0_E_clISt17integral_constantIbLb1EESX_EEDaSS_ST_EUlSS_E_NS1_11comp_targetILNS1_3genE3ELNS1_11target_archE908ELNS1_3gpuE7ELNS1_3repE0EEENS1_30default_config_static_selectorELNS0_4arch9wavefront6targetE1EEEvT1_,comdat
.Lfunc_end3803:
	.size	_ZN7rocprim17ROCPRIM_400000_NS6detail17trampoline_kernelINS0_14default_configENS1_20scan_config_selectorIxEEZZNS1_9scan_implILNS1_25lookback_scan_determinismE0ELb1ELb1ES3_N6thrust23THRUST_200600_302600_NS6detail15normal_iteratorINS9_10device_ptrIxEEEENS9_16discard_iteratorINS9_11use_defaultEEEx11max_functorIxExEEDaPvRmT3_T4_T5_mT6_P12ihipStream_tbENKUlT_T0_E_clISt17integral_constantIbLb1EESX_EEDaSS_ST_EUlSS_E_NS1_11comp_targetILNS1_3genE3ELNS1_11target_archE908ELNS1_3gpuE7ELNS1_3repE0EEENS1_30default_config_static_selectorELNS0_4arch9wavefront6targetE1EEEvT1_, .Lfunc_end3803-_ZN7rocprim17ROCPRIM_400000_NS6detail17trampoline_kernelINS0_14default_configENS1_20scan_config_selectorIxEEZZNS1_9scan_implILNS1_25lookback_scan_determinismE0ELb1ELb1ES3_N6thrust23THRUST_200600_302600_NS6detail15normal_iteratorINS9_10device_ptrIxEEEENS9_16discard_iteratorINS9_11use_defaultEEEx11max_functorIxExEEDaPvRmT3_T4_T5_mT6_P12ihipStream_tbENKUlT_T0_E_clISt17integral_constantIbLb1EESX_EEDaSS_ST_EUlSS_E_NS1_11comp_targetILNS1_3genE3ELNS1_11target_archE908ELNS1_3gpuE7ELNS1_3repE0EEENS1_30default_config_static_selectorELNS0_4arch9wavefront6targetE1EEEvT1_
                                        ; -- End function
	.section	.AMDGPU.csdata,"",@progbits
; Kernel info:
; codeLenInByte = 0
; NumSgprs: 4
; NumVgprs: 0
; NumAgprs: 0
; TotalNumVgprs: 0
; ScratchSize: 0
; MemoryBound: 0
; FloatMode: 240
; IeeeMode: 1
; LDSByteSize: 0 bytes/workgroup (compile time only)
; SGPRBlocks: 0
; VGPRBlocks: 0
; NumSGPRsForWavesPerEU: 4
; NumVGPRsForWavesPerEU: 1
; AccumOffset: 4
; Occupancy: 8
; WaveLimiterHint : 0
; COMPUTE_PGM_RSRC2:SCRATCH_EN: 0
; COMPUTE_PGM_RSRC2:USER_SGPR: 6
; COMPUTE_PGM_RSRC2:TRAP_HANDLER: 0
; COMPUTE_PGM_RSRC2:TGID_X_EN: 1
; COMPUTE_PGM_RSRC2:TGID_Y_EN: 0
; COMPUTE_PGM_RSRC2:TGID_Z_EN: 0
; COMPUTE_PGM_RSRC2:TIDIG_COMP_CNT: 0
; COMPUTE_PGM_RSRC3_GFX90A:ACCUM_OFFSET: 0
; COMPUTE_PGM_RSRC3_GFX90A:TG_SPLIT: 0
	.section	.text._ZN7rocprim17ROCPRIM_400000_NS6detail17trampoline_kernelINS0_14default_configENS1_20scan_config_selectorIxEEZZNS1_9scan_implILNS1_25lookback_scan_determinismE0ELb1ELb1ES3_N6thrust23THRUST_200600_302600_NS6detail15normal_iteratorINS9_10device_ptrIxEEEENS9_16discard_iteratorINS9_11use_defaultEEEx11max_functorIxExEEDaPvRmT3_T4_T5_mT6_P12ihipStream_tbENKUlT_T0_E_clISt17integral_constantIbLb1EESX_EEDaSS_ST_EUlSS_E_NS1_11comp_targetILNS1_3genE2ELNS1_11target_archE906ELNS1_3gpuE6ELNS1_3repE0EEENS1_30default_config_static_selectorELNS0_4arch9wavefront6targetE1EEEvT1_,"axG",@progbits,_ZN7rocprim17ROCPRIM_400000_NS6detail17trampoline_kernelINS0_14default_configENS1_20scan_config_selectorIxEEZZNS1_9scan_implILNS1_25lookback_scan_determinismE0ELb1ELb1ES3_N6thrust23THRUST_200600_302600_NS6detail15normal_iteratorINS9_10device_ptrIxEEEENS9_16discard_iteratorINS9_11use_defaultEEEx11max_functorIxExEEDaPvRmT3_T4_T5_mT6_P12ihipStream_tbENKUlT_T0_E_clISt17integral_constantIbLb1EESX_EEDaSS_ST_EUlSS_E_NS1_11comp_targetILNS1_3genE2ELNS1_11target_archE906ELNS1_3gpuE6ELNS1_3repE0EEENS1_30default_config_static_selectorELNS0_4arch9wavefront6targetE1EEEvT1_,comdat
	.protected	_ZN7rocprim17ROCPRIM_400000_NS6detail17trampoline_kernelINS0_14default_configENS1_20scan_config_selectorIxEEZZNS1_9scan_implILNS1_25lookback_scan_determinismE0ELb1ELb1ES3_N6thrust23THRUST_200600_302600_NS6detail15normal_iteratorINS9_10device_ptrIxEEEENS9_16discard_iteratorINS9_11use_defaultEEEx11max_functorIxExEEDaPvRmT3_T4_T5_mT6_P12ihipStream_tbENKUlT_T0_E_clISt17integral_constantIbLb1EESX_EEDaSS_ST_EUlSS_E_NS1_11comp_targetILNS1_3genE2ELNS1_11target_archE906ELNS1_3gpuE6ELNS1_3repE0EEENS1_30default_config_static_selectorELNS0_4arch9wavefront6targetE1EEEvT1_ ; -- Begin function _ZN7rocprim17ROCPRIM_400000_NS6detail17trampoline_kernelINS0_14default_configENS1_20scan_config_selectorIxEEZZNS1_9scan_implILNS1_25lookback_scan_determinismE0ELb1ELb1ES3_N6thrust23THRUST_200600_302600_NS6detail15normal_iteratorINS9_10device_ptrIxEEEENS9_16discard_iteratorINS9_11use_defaultEEEx11max_functorIxExEEDaPvRmT3_T4_T5_mT6_P12ihipStream_tbENKUlT_T0_E_clISt17integral_constantIbLb1EESX_EEDaSS_ST_EUlSS_E_NS1_11comp_targetILNS1_3genE2ELNS1_11target_archE906ELNS1_3gpuE6ELNS1_3repE0EEENS1_30default_config_static_selectorELNS0_4arch9wavefront6targetE1EEEvT1_
	.globl	_ZN7rocprim17ROCPRIM_400000_NS6detail17trampoline_kernelINS0_14default_configENS1_20scan_config_selectorIxEEZZNS1_9scan_implILNS1_25lookback_scan_determinismE0ELb1ELb1ES3_N6thrust23THRUST_200600_302600_NS6detail15normal_iteratorINS9_10device_ptrIxEEEENS9_16discard_iteratorINS9_11use_defaultEEEx11max_functorIxExEEDaPvRmT3_T4_T5_mT6_P12ihipStream_tbENKUlT_T0_E_clISt17integral_constantIbLb1EESX_EEDaSS_ST_EUlSS_E_NS1_11comp_targetILNS1_3genE2ELNS1_11target_archE906ELNS1_3gpuE6ELNS1_3repE0EEENS1_30default_config_static_selectorELNS0_4arch9wavefront6targetE1EEEvT1_
	.p2align	8
	.type	_ZN7rocprim17ROCPRIM_400000_NS6detail17trampoline_kernelINS0_14default_configENS1_20scan_config_selectorIxEEZZNS1_9scan_implILNS1_25lookback_scan_determinismE0ELb1ELb1ES3_N6thrust23THRUST_200600_302600_NS6detail15normal_iteratorINS9_10device_ptrIxEEEENS9_16discard_iteratorINS9_11use_defaultEEEx11max_functorIxExEEDaPvRmT3_T4_T5_mT6_P12ihipStream_tbENKUlT_T0_E_clISt17integral_constantIbLb1EESX_EEDaSS_ST_EUlSS_E_NS1_11comp_targetILNS1_3genE2ELNS1_11target_archE906ELNS1_3gpuE6ELNS1_3repE0EEENS1_30default_config_static_selectorELNS0_4arch9wavefront6targetE1EEEvT1_,@function
_ZN7rocprim17ROCPRIM_400000_NS6detail17trampoline_kernelINS0_14default_configENS1_20scan_config_selectorIxEEZZNS1_9scan_implILNS1_25lookback_scan_determinismE0ELb1ELb1ES3_N6thrust23THRUST_200600_302600_NS6detail15normal_iteratorINS9_10device_ptrIxEEEENS9_16discard_iteratorINS9_11use_defaultEEEx11max_functorIxExEEDaPvRmT3_T4_T5_mT6_P12ihipStream_tbENKUlT_T0_E_clISt17integral_constantIbLb1EESX_EEDaSS_ST_EUlSS_E_NS1_11comp_targetILNS1_3genE2ELNS1_11target_archE906ELNS1_3gpuE6ELNS1_3repE0EEENS1_30default_config_static_selectorELNS0_4arch9wavefront6targetE1EEEvT1_: ; @_ZN7rocprim17ROCPRIM_400000_NS6detail17trampoline_kernelINS0_14default_configENS1_20scan_config_selectorIxEEZZNS1_9scan_implILNS1_25lookback_scan_determinismE0ELb1ELb1ES3_N6thrust23THRUST_200600_302600_NS6detail15normal_iteratorINS9_10device_ptrIxEEEENS9_16discard_iteratorINS9_11use_defaultEEEx11max_functorIxExEEDaPvRmT3_T4_T5_mT6_P12ihipStream_tbENKUlT_T0_E_clISt17integral_constantIbLb1EESX_EEDaSS_ST_EUlSS_E_NS1_11comp_targetILNS1_3genE2ELNS1_11target_archE906ELNS1_3gpuE6ELNS1_3repE0EEENS1_30default_config_static_selectorELNS0_4arch9wavefront6targetE1EEEvT1_
; %bb.0:
	.section	.rodata,"a",@progbits
	.p2align	6, 0x0
	.amdhsa_kernel _ZN7rocprim17ROCPRIM_400000_NS6detail17trampoline_kernelINS0_14default_configENS1_20scan_config_selectorIxEEZZNS1_9scan_implILNS1_25lookback_scan_determinismE0ELb1ELb1ES3_N6thrust23THRUST_200600_302600_NS6detail15normal_iteratorINS9_10device_ptrIxEEEENS9_16discard_iteratorINS9_11use_defaultEEEx11max_functorIxExEEDaPvRmT3_T4_T5_mT6_P12ihipStream_tbENKUlT_T0_E_clISt17integral_constantIbLb1EESX_EEDaSS_ST_EUlSS_E_NS1_11comp_targetILNS1_3genE2ELNS1_11target_archE906ELNS1_3gpuE6ELNS1_3repE0EEENS1_30default_config_static_selectorELNS0_4arch9wavefront6targetE1EEEvT1_
		.amdhsa_group_segment_fixed_size 0
		.amdhsa_private_segment_fixed_size 0
		.amdhsa_kernarg_size 112
		.amdhsa_user_sgpr_count 6
		.amdhsa_user_sgpr_private_segment_buffer 1
		.amdhsa_user_sgpr_dispatch_ptr 0
		.amdhsa_user_sgpr_queue_ptr 0
		.amdhsa_user_sgpr_kernarg_segment_ptr 1
		.amdhsa_user_sgpr_dispatch_id 0
		.amdhsa_user_sgpr_flat_scratch_init 0
		.amdhsa_user_sgpr_kernarg_preload_length 0
		.amdhsa_user_sgpr_kernarg_preload_offset 0
		.amdhsa_user_sgpr_private_segment_size 0
		.amdhsa_uses_dynamic_stack 0
		.amdhsa_system_sgpr_private_segment_wavefront_offset 0
		.amdhsa_system_sgpr_workgroup_id_x 1
		.amdhsa_system_sgpr_workgroup_id_y 0
		.amdhsa_system_sgpr_workgroup_id_z 0
		.amdhsa_system_sgpr_workgroup_info 0
		.amdhsa_system_vgpr_workitem_id 0
		.amdhsa_next_free_vgpr 1
		.amdhsa_next_free_sgpr 0
		.amdhsa_accum_offset 4
		.amdhsa_reserve_vcc 0
		.amdhsa_reserve_flat_scratch 0
		.amdhsa_float_round_mode_32 0
		.amdhsa_float_round_mode_16_64 0
		.amdhsa_float_denorm_mode_32 3
		.amdhsa_float_denorm_mode_16_64 3
		.amdhsa_dx10_clamp 1
		.amdhsa_ieee_mode 1
		.amdhsa_fp16_overflow 0
		.amdhsa_tg_split 0
		.amdhsa_exception_fp_ieee_invalid_op 0
		.amdhsa_exception_fp_denorm_src 0
		.amdhsa_exception_fp_ieee_div_zero 0
		.amdhsa_exception_fp_ieee_overflow 0
		.amdhsa_exception_fp_ieee_underflow 0
		.amdhsa_exception_fp_ieee_inexact 0
		.amdhsa_exception_int_div_zero 0
	.end_amdhsa_kernel
	.section	.text._ZN7rocprim17ROCPRIM_400000_NS6detail17trampoline_kernelINS0_14default_configENS1_20scan_config_selectorIxEEZZNS1_9scan_implILNS1_25lookback_scan_determinismE0ELb1ELb1ES3_N6thrust23THRUST_200600_302600_NS6detail15normal_iteratorINS9_10device_ptrIxEEEENS9_16discard_iteratorINS9_11use_defaultEEEx11max_functorIxExEEDaPvRmT3_T4_T5_mT6_P12ihipStream_tbENKUlT_T0_E_clISt17integral_constantIbLb1EESX_EEDaSS_ST_EUlSS_E_NS1_11comp_targetILNS1_3genE2ELNS1_11target_archE906ELNS1_3gpuE6ELNS1_3repE0EEENS1_30default_config_static_selectorELNS0_4arch9wavefront6targetE1EEEvT1_,"axG",@progbits,_ZN7rocprim17ROCPRIM_400000_NS6detail17trampoline_kernelINS0_14default_configENS1_20scan_config_selectorIxEEZZNS1_9scan_implILNS1_25lookback_scan_determinismE0ELb1ELb1ES3_N6thrust23THRUST_200600_302600_NS6detail15normal_iteratorINS9_10device_ptrIxEEEENS9_16discard_iteratorINS9_11use_defaultEEEx11max_functorIxExEEDaPvRmT3_T4_T5_mT6_P12ihipStream_tbENKUlT_T0_E_clISt17integral_constantIbLb1EESX_EEDaSS_ST_EUlSS_E_NS1_11comp_targetILNS1_3genE2ELNS1_11target_archE906ELNS1_3gpuE6ELNS1_3repE0EEENS1_30default_config_static_selectorELNS0_4arch9wavefront6targetE1EEEvT1_,comdat
.Lfunc_end3804:
	.size	_ZN7rocprim17ROCPRIM_400000_NS6detail17trampoline_kernelINS0_14default_configENS1_20scan_config_selectorIxEEZZNS1_9scan_implILNS1_25lookback_scan_determinismE0ELb1ELb1ES3_N6thrust23THRUST_200600_302600_NS6detail15normal_iteratorINS9_10device_ptrIxEEEENS9_16discard_iteratorINS9_11use_defaultEEEx11max_functorIxExEEDaPvRmT3_T4_T5_mT6_P12ihipStream_tbENKUlT_T0_E_clISt17integral_constantIbLb1EESX_EEDaSS_ST_EUlSS_E_NS1_11comp_targetILNS1_3genE2ELNS1_11target_archE906ELNS1_3gpuE6ELNS1_3repE0EEENS1_30default_config_static_selectorELNS0_4arch9wavefront6targetE1EEEvT1_, .Lfunc_end3804-_ZN7rocprim17ROCPRIM_400000_NS6detail17trampoline_kernelINS0_14default_configENS1_20scan_config_selectorIxEEZZNS1_9scan_implILNS1_25lookback_scan_determinismE0ELb1ELb1ES3_N6thrust23THRUST_200600_302600_NS6detail15normal_iteratorINS9_10device_ptrIxEEEENS9_16discard_iteratorINS9_11use_defaultEEEx11max_functorIxExEEDaPvRmT3_T4_T5_mT6_P12ihipStream_tbENKUlT_T0_E_clISt17integral_constantIbLb1EESX_EEDaSS_ST_EUlSS_E_NS1_11comp_targetILNS1_3genE2ELNS1_11target_archE906ELNS1_3gpuE6ELNS1_3repE0EEENS1_30default_config_static_selectorELNS0_4arch9wavefront6targetE1EEEvT1_
                                        ; -- End function
	.section	.AMDGPU.csdata,"",@progbits
; Kernel info:
; codeLenInByte = 0
; NumSgprs: 4
; NumVgprs: 0
; NumAgprs: 0
; TotalNumVgprs: 0
; ScratchSize: 0
; MemoryBound: 0
; FloatMode: 240
; IeeeMode: 1
; LDSByteSize: 0 bytes/workgroup (compile time only)
; SGPRBlocks: 0
; VGPRBlocks: 0
; NumSGPRsForWavesPerEU: 4
; NumVGPRsForWavesPerEU: 1
; AccumOffset: 4
; Occupancy: 8
; WaveLimiterHint : 0
; COMPUTE_PGM_RSRC2:SCRATCH_EN: 0
; COMPUTE_PGM_RSRC2:USER_SGPR: 6
; COMPUTE_PGM_RSRC2:TRAP_HANDLER: 0
; COMPUTE_PGM_RSRC2:TGID_X_EN: 1
; COMPUTE_PGM_RSRC2:TGID_Y_EN: 0
; COMPUTE_PGM_RSRC2:TGID_Z_EN: 0
; COMPUTE_PGM_RSRC2:TIDIG_COMP_CNT: 0
; COMPUTE_PGM_RSRC3_GFX90A:ACCUM_OFFSET: 0
; COMPUTE_PGM_RSRC3_GFX90A:TG_SPLIT: 0
	.section	.text._ZN7rocprim17ROCPRIM_400000_NS6detail17trampoline_kernelINS0_14default_configENS1_20scan_config_selectorIxEEZZNS1_9scan_implILNS1_25lookback_scan_determinismE0ELb1ELb1ES3_N6thrust23THRUST_200600_302600_NS6detail15normal_iteratorINS9_10device_ptrIxEEEENS9_16discard_iteratorINS9_11use_defaultEEEx11max_functorIxExEEDaPvRmT3_T4_T5_mT6_P12ihipStream_tbENKUlT_T0_E_clISt17integral_constantIbLb1EESX_EEDaSS_ST_EUlSS_E_NS1_11comp_targetILNS1_3genE10ELNS1_11target_archE1201ELNS1_3gpuE5ELNS1_3repE0EEENS1_30default_config_static_selectorELNS0_4arch9wavefront6targetE1EEEvT1_,"axG",@progbits,_ZN7rocprim17ROCPRIM_400000_NS6detail17trampoline_kernelINS0_14default_configENS1_20scan_config_selectorIxEEZZNS1_9scan_implILNS1_25lookback_scan_determinismE0ELb1ELb1ES3_N6thrust23THRUST_200600_302600_NS6detail15normal_iteratorINS9_10device_ptrIxEEEENS9_16discard_iteratorINS9_11use_defaultEEEx11max_functorIxExEEDaPvRmT3_T4_T5_mT6_P12ihipStream_tbENKUlT_T0_E_clISt17integral_constantIbLb1EESX_EEDaSS_ST_EUlSS_E_NS1_11comp_targetILNS1_3genE10ELNS1_11target_archE1201ELNS1_3gpuE5ELNS1_3repE0EEENS1_30default_config_static_selectorELNS0_4arch9wavefront6targetE1EEEvT1_,comdat
	.protected	_ZN7rocprim17ROCPRIM_400000_NS6detail17trampoline_kernelINS0_14default_configENS1_20scan_config_selectorIxEEZZNS1_9scan_implILNS1_25lookback_scan_determinismE0ELb1ELb1ES3_N6thrust23THRUST_200600_302600_NS6detail15normal_iteratorINS9_10device_ptrIxEEEENS9_16discard_iteratorINS9_11use_defaultEEEx11max_functorIxExEEDaPvRmT3_T4_T5_mT6_P12ihipStream_tbENKUlT_T0_E_clISt17integral_constantIbLb1EESX_EEDaSS_ST_EUlSS_E_NS1_11comp_targetILNS1_3genE10ELNS1_11target_archE1201ELNS1_3gpuE5ELNS1_3repE0EEENS1_30default_config_static_selectorELNS0_4arch9wavefront6targetE1EEEvT1_ ; -- Begin function _ZN7rocprim17ROCPRIM_400000_NS6detail17trampoline_kernelINS0_14default_configENS1_20scan_config_selectorIxEEZZNS1_9scan_implILNS1_25lookback_scan_determinismE0ELb1ELb1ES3_N6thrust23THRUST_200600_302600_NS6detail15normal_iteratorINS9_10device_ptrIxEEEENS9_16discard_iteratorINS9_11use_defaultEEEx11max_functorIxExEEDaPvRmT3_T4_T5_mT6_P12ihipStream_tbENKUlT_T0_E_clISt17integral_constantIbLb1EESX_EEDaSS_ST_EUlSS_E_NS1_11comp_targetILNS1_3genE10ELNS1_11target_archE1201ELNS1_3gpuE5ELNS1_3repE0EEENS1_30default_config_static_selectorELNS0_4arch9wavefront6targetE1EEEvT1_
	.globl	_ZN7rocprim17ROCPRIM_400000_NS6detail17trampoline_kernelINS0_14default_configENS1_20scan_config_selectorIxEEZZNS1_9scan_implILNS1_25lookback_scan_determinismE0ELb1ELb1ES3_N6thrust23THRUST_200600_302600_NS6detail15normal_iteratorINS9_10device_ptrIxEEEENS9_16discard_iteratorINS9_11use_defaultEEEx11max_functorIxExEEDaPvRmT3_T4_T5_mT6_P12ihipStream_tbENKUlT_T0_E_clISt17integral_constantIbLb1EESX_EEDaSS_ST_EUlSS_E_NS1_11comp_targetILNS1_3genE10ELNS1_11target_archE1201ELNS1_3gpuE5ELNS1_3repE0EEENS1_30default_config_static_selectorELNS0_4arch9wavefront6targetE1EEEvT1_
	.p2align	8
	.type	_ZN7rocprim17ROCPRIM_400000_NS6detail17trampoline_kernelINS0_14default_configENS1_20scan_config_selectorIxEEZZNS1_9scan_implILNS1_25lookback_scan_determinismE0ELb1ELb1ES3_N6thrust23THRUST_200600_302600_NS6detail15normal_iteratorINS9_10device_ptrIxEEEENS9_16discard_iteratorINS9_11use_defaultEEEx11max_functorIxExEEDaPvRmT3_T4_T5_mT6_P12ihipStream_tbENKUlT_T0_E_clISt17integral_constantIbLb1EESX_EEDaSS_ST_EUlSS_E_NS1_11comp_targetILNS1_3genE10ELNS1_11target_archE1201ELNS1_3gpuE5ELNS1_3repE0EEENS1_30default_config_static_selectorELNS0_4arch9wavefront6targetE1EEEvT1_,@function
_ZN7rocprim17ROCPRIM_400000_NS6detail17trampoline_kernelINS0_14default_configENS1_20scan_config_selectorIxEEZZNS1_9scan_implILNS1_25lookback_scan_determinismE0ELb1ELb1ES3_N6thrust23THRUST_200600_302600_NS6detail15normal_iteratorINS9_10device_ptrIxEEEENS9_16discard_iteratorINS9_11use_defaultEEEx11max_functorIxExEEDaPvRmT3_T4_T5_mT6_P12ihipStream_tbENKUlT_T0_E_clISt17integral_constantIbLb1EESX_EEDaSS_ST_EUlSS_E_NS1_11comp_targetILNS1_3genE10ELNS1_11target_archE1201ELNS1_3gpuE5ELNS1_3repE0EEENS1_30default_config_static_selectorELNS0_4arch9wavefront6targetE1EEEvT1_: ; @_ZN7rocprim17ROCPRIM_400000_NS6detail17trampoline_kernelINS0_14default_configENS1_20scan_config_selectorIxEEZZNS1_9scan_implILNS1_25lookback_scan_determinismE0ELb1ELb1ES3_N6thrust23THRUST_200600_302600_NS6detail15normal_iteratorINS9_10device_ptrIxEEEENS9_16discard_iteratorINS9_11use_defaultEEEx11max_functorIxExEEDaPvRmT3_T4_T5_mT6_P12ihipStream_tbENKUlT_T0_E_clISt17integral_constantIbLb1EESX_EEDaSS_ST_EUlSS_E_NS1_11comp_targetILNS1_3genE10ELNS1_11target_archE1201ELNS1_3gpuE5ELNS1_3repE0EEENS1_30default_config_static_selectorELNS0_4arch9wavefront6targetE1EEEvT1_
; %bb.0:
	.section	.rodata,"a",@progbits
	.p2align	6, 0x0
	.amdhsa_kernel _ZN7rocprim17ROCPRIM_400000_NS6detail17trampoline_kernelINS0_14default_configENS1_20scan_config_selectorIxEEZZNS1_9scan_implILNS1_25lookback_scan_determinismE0ELb1ELb1ES3_N6thrust23THRUST_200600_302600_NS6detail15normal_iteratorINS9_10device_ptrIxEEEENS9_16discard_iteratorINS9_11use_defaultEEEx11max_functorIxExEEDaPvRmT3_T4_T5_mT6_P12ihipStream_tbENKUlT_T0_E_clISt17integral_constantIbLb1EESX_EEDaSS_ST_EUlSS_E_NS1_11comp_targetILNS1_3genE10ELNS1_11target_archE1201ELNS1_3gpuE5ELNS1_3repE0EEENS1_30default_config_static_selectorELNS0_4arch9wavefront6targetE1EEEvT1_
		.amdhsa_group_segment_fixed_size 0
		.amdhsa_private_segment_fixed_size 0
		.amdhsa_kernarg_size 112
		.amdhsa_user_sgpr_count 6
		.amdhsa_user_sgpr_private_segment_buffer 1
		.amdhsa_user_sgpr_dispatch_ptr 0
		.amdhsa_user_sgpr_queue_ptr 0
		.amdhsa_user_sgpr_kernarg_segment_ptr 1
		.amdhsa_user_sgpr_dispatch_id 0
		.amdhsa_user_sgpr_flat_scratch_init 0
		.amdhsa_user_sgpr_kernarg_preload_length 0
		.amdhsa_user_sgpr_kernarg_preload_offset 0
		.amdhsa_user_sgpr_private_segment_size 0
		.amdhsa_uses_dynamic_stack 0
		.amdhsa_system_sgpr_private_segment_wavefront_offset 0
		.amdhsa_system_sgpr_workgroup_id_x 1
		.amdhsa_system_sgpr_workgroup_id_y 0
		.amdhsa_system_sgpr_workgroup_id_z 0
		.amdhsa_system_sgpr_workgroup_info 0
		.amdhsa_system_vgpr_workitem_id 0
		.amdhsa_next_free_vgpr 1
		.amdhsa_next_free_sgpr 0
		.amdhsa_accum_offset 4
		.amdhsa_reserve_vcc 0
		.amdhsa_reserve_flat_scratch 0
		.amdhsa_float_round_mode_32 0
		.amdhsa_float_round_mode_16_64 0
		.amdhsa_float_denorm_mode_32 3
		.amdhsa_float_denorm_mode_16_64 3
		.amdhsa_dx10_clamp 1
		.amdhsa_ieee_mode 1
		.amdhsa_fp16_overflow 0
		.amdhsa_tg_split 0
		.amdhsa_exception_fp_ieee_invalid_op 0
		.amdhsa_exception_fp_denorm_src 0
		.amdhsa_exception_fp_ieee_div_zero 0
		.amdhsa_exception_fp_ieee_overflow 0
		.amdhsa_exception_fp_ieee_underflow 0
		.amdhsa_exception_fp_ieee_inexact 0
		.amdhsa_exception_int_div_zero 0
	.end_amdhsa_kernel
	.section	.text._ZN7rocprim17ROCPRIM_400000_NS6detail17trampoline_kernelINS0_14default_configENS1_20scan_config_selectorIxEEZZNS1_9scan_implILNS1_25lookback_scan_determinismE0ELb1ELb1ES3_N6thrust23THRUST_200600_302600_NS6detail15normal_iteratorINS9_10device_ptrIxEEEENS9_16discard_iteratorINS9_11use_defaultEEEx11max_functorIxExEEDaPvRmT3_T4_T5_mT6_P12ihipStream_tbENKUlT_T0_E_clISt17integral_constantIbLb1EESX_EEDaSS_ST_EUlSS_E_NS1_11comp_targetILNS1_3genE10ELNS1_11target_archE1201ELNS1_3gpuE5ELNS1_3repE0EEENS1_30default_config_static_selectorELNS0_4arch9wavefront6targetE1EEEvT1_,"axG",@progbits,_ZN7rocprim17ROCPRIM_400000_NS6detail17trampoline_kernelINS0_14default_configENS1_20scan_config_selectorIxEEZZNS1_9scan_implILNS1_25lookback_scan_determinismE0ELb1ELb1ES3_N6thrust23THRUST_200600_302600_NS6detail15normal_iteratorINS9_10device_ptrIxEEEENS9_16discard_iteratorINS9_11use_defaultEEEx11max_functorIxExEEDaPvRmT3_T4_T5_mT6_P12ihipStream_tbENKUlT_T0_E_clISt17integral_constantIbLb1EESX_EEDaSS_ST_EUlSS_E_NS1_11comp_targetILNS1_3genE10ELNS1_11target_archE1201ELNS1_3gpuE5ELNS1_3repE0EEENS1_30default_config_static_selectorELNS0_4arch9wavefront6targetE1EEEvT1_,comdat
.Lfunc_end3805:
	.size	_ZN7rocprim17ROCPRIM_400000_NS6detail17trampoline_kernelINS0_14default_configENS1_20scan_config_selectorIxEEZZNS1_9scan_implILNS1_25lookback_scan_determinismE0ELb1ELb1ES3_N6thrust23THRUST_200600_302600_NS6detail15normal_iteratorINS9_10device_ptrIxEEEENS9_16discard_iteratorINS9_11use_defaultEEEx11max_functorIxExEEDaPvRmT3_T4_T5_mT6_P12ihipStream_tbENKUlT_T0_E_clISt17integral_constantIbLb1EESX_EEDaSS_ST_EUlSS_E_NS1_11comp_targetILNS1_3genE10ELNS1_11target_archE1201ELNS1_3gpuE5ELNS1_3repE0EEENS1_30default_config_static_selectorELNS0_4arch9wavefront6targetE1EEEvT1_, .Lfunc_end3805-_ZN7rocprim17ROCPRIM_400000_NS6detail17trampoline_kernelINS0_14default_configENS1_20scan_config_selectorIxEEZZNS1_9scan_implILNS1_25lookback_scan_determinismE0ELb1ELb1ES3_N6thrust23THRUST_200600_302600_NS6detail15normal_iteratorINS9_10device_ptrIxEEEENS9_16discard_iteratorINS9_11use_defaultEEEx11max_functorIxExEEDaPvRmT3_T4_T5_mT6_P12ihipStream_tbENKUlT_T0_E_clISt17integral_constantIbLb1EESX_EEDaSS_ST_EUlSS_E_NS1_11comp_targetILNS1_3genE10ELNS1_11target_archE1201ELNS1_3gpuE5ELNS1_3repE0EEENS1_30default_config_static_selectorELNS0_4arch9wavefront6targetE1EEEvT1_
                                        ; -- End function
	.section	.AMDGPU.csdata,"",@progbits
; Kernel info:
; codeLenInByte = 0
; NumSgprs: 4
; NumVgprs: 0
; NumAgprs: 0
; TotalNumVgprs: 0
; ScratchSize: 0
; MemoryBound: 0
; FloatMode: 240
; IeeeMode: 1
; LDSByteSize: 0 bytes/workgroup (compile time only)
; SGPRBlocks: 0
; VGPRBlocks: 0
; NumSGPRsForWavesPerEU: 4
; NumVGPRsForWavesPerEU: 1
; AccumOffset: 4
; Occupancy: 8
; WaveLimiterHint : 0
; COMPUTE_PGM_RSRC2:SCRATCH_EN: 0
; COMPUTE_PGM_RSRC2:USER_SGPR: 6
; COMPUTE_PGM_RSRC2:TRAP_HANDLER: 0
; COMPUTE_PGM_RSRC2:TGID_X_EN: 1
; COMPUTE_PGM_RSRC2:TGID_Y_EN: 0
; COMPUTE_PGM_RSRC2:TGID_Z_EN: 0
; COMPUTE_PGM_RSRC2:TIDIG_COMP_CNT: 0
; COMPUTE_PGM_RSRC3_GFX90A:ACCUM_OFFSET: 0
; COMPUTE_PGM_RSRC3_GFX90A:TG_SPLIT: 0
	.section	.text._ZN7rocprim17ROCPRIM_400000_NS6detail17trampoline_kernelINS0_14default_configENS1_20scan_config_selectorIxEEZZNS1_9scan_implILNS1_25lookback_scan_determinismE0ELb1ELb1ES3_N6thrust23THRUST_200600_302600_NS6detail15normal_iteratorINS9_10device_ptrIxEEEENS9_16discard_iteratorINS9_11use_defaultEEEx11max_functorIxExEEDaPvRmT3_T4_T5_mT6_P12ihipStream_tbENKUlT_T0_E_clISt17integral_constantIbLb1EESX_EEDaSS_ST_EUlSS_E_NS1_11comp_targetILNS1_3genE10ELNS1_11target_archE1200ELNS1_3gpuE4ELNS1_3repE0EEENS1_30default_config_static_selectorELNS0_4arch9wavefront6targetE1EEEvT1_,"axG",@progbits,_ZN7rocprim17ROCPRIM_400000_NS6detail17trampoline_kernelINS0_14default_configENS1_20scan_config_selectorIxEEZZNS1_9scan_implILNS1_25lookback_scan_determinismE0ELb1ELb1ES3_N6thrust23THRUST_200600_302600_NS6detail15normal_iteratorINS9_10device_ptrIxEEEENS9_16discard_iteratorINS9_11use_defaultEEEx11max_functorIxExEEDaPvRmT3_T4_T5_mT6_P12ihipStream_tbENKUlT_T0_E_clISt17integral_constantIbLb1EESX_EEDaSS_ST_EUlSS_E_NS1_11comp_targetILNS1_3genE10ELNS1_11target_archE1200ELNS1_3gpuE4ELNS1_3repE0EEENS1_30default_config_static_selectorELNS0_4arch9wavefront6targetE1EEEvT1_,comdat
	.protected	_ZN7rocprim17ROCPRIM_400000_NS6detail17trampoline_kernelINS0_14default_configENS1_20scan_config_selectorIxEEZZNS1_9scan_implILNS1_25lookback_scan_determinismE0ELb1ELb1ES3_N6thrust23THRUST_200600_302600_NS6detail15normal_iteratorINS9_10device_ptrIxEEEENS9_16discard_iteratorINS9_11use_defaultEEEx11max_functorIxExEEDaPvRmT3_T4_T5_mT6_P12ihipStream_tbENKUlT_T0_E_clISt17integral_constantIbLb1EESX_EEDaSS_ST_EUlSS_E_NS1_11comp_targetILNS1_3genE10ELNS1_11target_archE1200ELNS1_3gpuE4ELNS1_3repE0EEENS1_30default_config_static_selectorELNS0_4arch9wavefront6targetE1EEEvT1_ ; -- Begin function _ZN7rocprim17ROCPRIM_400000_NS6detail17trampoline_kernelINS0_14default_configENS1_20scan_config_selectorIxEEZZNS1_9scan_implILNS1_25lookback_scan_determinismE0ELb1ELb1ES3_N6thrust23THRUST_200600_302600_NS6detail15normal_iteratorINS9_10device_ptrIxEEEENS9_16discard_iteratorINS9_11use_defaultEEEx11max_functorIxExEEDaPvRmT3_T4_T5_mT6_P12ihipStream_tbENKUlT_T0_E_clISt17integral_constantIbLb1EESX_EEDaSS_ST_EUlSS_E_NS1_11comp_targetILNS1_3genE10ELNS1_11target_archE1200ELNS1_3gpuE4ELNS1_3repE0EEENS1_30default_config_static_selectorELNS0_4arch9wavefront6targetE1EEEvT1_
	.globl	_ZN7rocprim17ROCPRIM_400000_NS6detail17trampoline_kernelINS0_14default_configENS1_20scan_config_selectorIxEEZZNS1_9scan_implILNS1_25lookback_scan_determinismE0ELb1ELb1ES3_N6thrust23THRUST_200600_302600_NS6detail15normal_iteratorINS9_10device_ptrIxEEEENS9_16discard_iteratorINS9_11use_defaultEEEx11max_functorIxExEEDaPvRmT3_T4_T5_mT6_P12ihipStream_tbENKUlT_T0_E_clISt17integral_constantIbLb1EESX_EEDaSS_ST_EUlSS_E_NS1_11comp_targetILNS1_3genE10ELNS1_11target_archE1200ELNS1_3gpuE4ELNS1_3repE0EEENS1_30default_config_static_selectorELNS0_4arch9wavefront6targetE1EEEvT1_
	.p2align	8
	.type	_ZN7rocprim17ROCPRIM_400000_NS6detail17trampoline_kernelINS0_14default_configENS1_20scan_config_selectorIxEEZZNS1_9scan_implILNS1_25lookback_scan_determinismE0ELb1ELb1ES3_N6thrust23THRUST_200600_302600_NS6detail15normal_iteratorINS9_10device_ptrIxEEEENS9_16discard_iteratorINS9_11use_defaultEEEx11max_functorIxExEEDaPvRmT3_T4_T5_mT6_P12ihipStream_tbENKUlT_T0_E_clISt17integral_constantIbLb1EESX_EEDaSS_ST_EUlSS_E_NS1_11comp_targetILNS1_3genE10ELNS1_11target_archE1200ELNS1_3gpuE4ELNS1_3repE0EEENS1_30default_config_static_selectorELNS0_4arch9wavefront6targetE1EEEvT1_,@function
_ZN7rocprim17ROCPRIM_400000_NS6detail17trampoline_kernelINS0_14default_configENS1_20scan_config_selectorIxEEZZNS1_9scan_implILNS1_25lookback_scan_determinismE0ELb1ELb1ES3_N6thrust23THRUST_200600_302600_NS6detail15normal_iteratorINS9_10device_ptrIxEEEENS9_16discard_iteratorINS9_11use_defaultEEEx11max_functorIxExEEDaPvRmT3_T4_T5_mT6_P12ihipStream_tbENKUlT_T0_E_clISt17integral_constantIbLb1EESX_EEDaSS_ST_EUlSS_E_NS1_11comp_targetILNS1_3genE10ELNS1_11target_archE1200ELNS1_3gpuE4ELNS1_3repE0EEENS1_30default_config_static_selectorELNS0_4arch9wavefront6targetE1EEEvT1_: ; @_ZN7rocprim17ROCPRIM_400000_NS6detail17trampoline_kernelINS0_14default_configENS1_20scan_config_selectorIxEEZZNS1_9scan_implILNS1_25lookback_scan_determinismE0ELb1ELb1ES3_N6thrust23THRUST_200600_302600_NS6detail15normal_iteratorINS9_10device_ptrIxEEEENS9_16discard_iteratorINS9_11use_defaultEEEx11max_functorIxExEEDaPvRmT3_T4_T5_mT6_P12ihipStream_tbENKUlT_T0_E_clISt17integral_constantIbLb1EESX_EEDaSS_ST_EUlSS_E_NS1_11comp_targetILNS1_3genE10ELNS1_11target_archE1200ELNS1_3gpuE4ELNS1_3repE0EEENS1_30default_config_static_selectorELNS0_4arch9wavefront6targetE1EEEvT1_
; %bb.0:
	.section	.rodata,"a",@progbits
	.p2align	6, 0x0
	.amdhsa_kernel _ZN7rocprim17ROCPRIM_400000_NS6detail17trampoline_kernelINS0_14default_configENS1_20scan_config_selectorIxEEZZNS1_9scan_implILNS1_25lookback_scan_determinismE0ELb1ELb1ES3_N6thrust23THRUST_200600_302600_NS6detail15normal_iteratorINS9_10device_ptrIxEEEENS9_16discard_iteratorINS9_11use_defaultEEEx11max_functorIxExEEDaPvRmT3_T4_T5_mT6_P12ihipStream_tbENKUlT_T0_E_clISt17integral_constantIbLb1EESX_EEDaSS_ST_EUlSS_E_NS1_11comp_targetILNS1_3genE10ELNS1_11target_archE1200ELNS1_3gpuE4ELNS1_3repE0EEENS1_30default_config_static_selectorELNS0_4arch9wavefront6targetE1EEEvT1_
		.amdhsa_group_segment_fixed_size 0
		.amdhsa_private_segment_fixed_size 0
		.amdhsa_kernarg_size 112
		.amdhsa_user_sgpr_count 6
		.amdhsa_user_sgpr_private_segment_buffer 1
		.amdhsa_user_sgpr_dispatch_ptr 0
		.amdhsa_user_sgpr_queue_ptr 0
		.amdhsa_user_sgpr_kernarg_segment_ptr 1
		.amdhsa_user_sgpr_dispatch_id 0
		.amdhsa_user_sgpr_flat_scratch_init 0
		.amdhsa_user_sgpr_kernarg_preload_length 0
		.amdhsa_user_sgpr_kernarg_preload_offset 0
		.amdhsa_user_sgpr_private_segment_size 0
		.amdhsa_uses_dynamic_stack 0
		.amdhsa_system_sgpr_private_segment_wavefront_offset 0
		.amdhsa_system_sgpr_workgroup_id_x 1
		.amdhsa_system_sgpr_workgroup_id_y 0
		.amdhsa_system_sgpr_workgroup_id_z 0
		.amdhsa_system_sgpr_workgroup_info 0
		.amdhsa_system_vgpr_workitem_id 0
		.amdhsa_next_free_vgpr 1
		.amdhsa_next_free_sgpr 0
		.amdhsa_accum_offset 4
		.amdhsa_reserve_vcc 0
		.amdhsa_reserve_flat_scratch 0
		.amdhsa_float_round_mode_32 0
		.amdhsa_float_round_mode_16_64 0
		.amdhsa_float_denorm_mode_32 3
		.amdhsa_float_denorm_mode_16_64 3
		.amdhsa_dx10_clamp 1
		.amdhsa_ieee_mode 1
		.amdhsa_fp16_overflow 0
		.amdhsa_tg_split 0
		.amdhsa_exception_fp_ieee_invalid_op 0
		.amdhsa_exception_fp_denorm_src 0
		.amdhsa_exception_fp_ieee_div_zero 0
		.amdhsa_exception_fp_ieee_overflow 0
		.amdhsa_exception_fp_ieee_underflow 0
		.amdhsa_exception_fp_ieee_inexact 0
		.amdhsa_exception_int_div_zero 0
	.end_amdhsa_kernel
	.section	.text._ZN7rocprim17ROCPRIM_400000_NS6detail17trampoline_kernelINS0_14default_configENS1_20scan_config_selectorIxEEZZNS1_9scan_implILNS1_25lookback_scan_determinismE0ELb1ELb1ES3_N6thrust23THRUST_200600_302600_NS6detail15normal_iteratorINS9_10device_ptrIxEEEENS9_16discard_iteratorINS9_11use_defaultEEEx11max_functorIxExEEDaPvRmT3_T4_T5_mT6_P12ihipStream_tbENKUlT_T0_E_clISt17integral_constantIbLb1EESX_EEDaSS_ST_EUlSS_E_NS1_11comp_targetILNS1_3genE10ELNS1_11target_archE1200ELNS1_3gpuE4ELNS1_3repE0EEENS1_30default_config_static_selectorELNS0_4arch9wavefront6targetE1EEEvT1_,"axG",@progbits,_ZN7rocprim17ROCPRIM_400000_NS6detail17trampoline_kernelINS0_14default_configENS1_20scan_config_selectorIxEEZZNS1_9scan_implILNS1_25lookback_scan_determinismE0ELb1ELb1ES3_N6thrust23THRUST_200600_302600_NS6detail15normal_iteratorINS9_10device_ptrIxEEEENS9_16discard_iteratorINS9_11use_defaultEEEx11max_functorIxExEEDaPvRmT3_T4_T5_mT6_P12ihipStream_tbENKUlT_T0_E_clISt17integral_constantIbLb1EESX_EEDaSS_ST_EUlSS_E_NS1_11comp_targetILNS1_3genE10ELNS1_11target_archE1200ELNS1_3gpuE4ELNS1_3repE0EEENS1_30default_config_static_selectorELNS0_4arch9wavefront6targetE1EEEvT1_,comdat
.Lfunc_end3806:
	.size	_ZN7rocprim17ROCPRIM_400000_NS6detail17trampoline_kernelINS0_14default_configENS1_20scan_config_selectorIxEEZZNS1_9scan_implILNS1_25lookback_scan_determinismE0ELb1ELb1ES3_N6thrust23THRUST_200600_302600_NS6detail15normal_iteratorINS9_10device_ptrIxEEEENS9_16discard_iteratorINS9_11use_defaultEEEx11max_functorIxExEEDaPvRmT3_T4_T5_mT6_P12ihipStream_tbENKUlT_T0_E_clISt17integral_constantIbLb1EESX_EEDaSS_ST_EUlSS_E_NS1_11comp_targetILNS1_3genE10ELNS1_11target_archE1200ELNS1_3gpuE4ELNS1_3repE0EEENS1_30default_config_static_selectorELNS0_4arch9wavefront6targetE1EEEvT1_, .Lfunc_end3806-_ZN7rocprim17ROCPRIM_400000_NS6detail17trampoline_kernelINS0_14default_configENS1_20scan_config_selectorIxEEZZNS1_9scan_implILNS1_25lookback_scan_determinismE0ELb1ELb1ES3_N6thrust23THRUST_200600_302600_NS6detail15normal_iteratorINS9_10device_ptrIxEEEENS9_16discard_iteratorINS9_11use_defaultEEEx11max_functorIxExEEDaPvRmT3_T4_T5_mT6_P12ihipStream_tbENKUlT_T0_E_clISt17integral_constantIbLb1EESX_EEDaSS_ST_EUlSS_E_NS1_11comp_targetILNS1_3genE10ELNS1_11target_archE1200ELNS1_3gpuE4ELNS1_3repE0EEENS1_30default_config_static_selectorELNS0_4arch9wavefront6targetE1EEEvT1_
                                        ; -- End function
	.section	.AMDGPU.csdata,"",@progbits
; Kernel info:
; codeLenInByte = 0
; NumSgprs: 4
; NumVgprs: 0
; NumAgprs: 0
; TotalNumVgprs: 0
; ScratchSize: 0
; MemoryBound: 0
; FloatMode: 240
; IeeeMode: 1
; LDSByteSize: 0 bytes/workgroup (compile time only)
; SGPRBlocks: 0
; VGPRBlocks: 0
; NumSGPRsForWavesPerEU: 4
; NumVGPRsForWavesPerEU: 1
; AccumOffset: 4
; Occupancy: 8
; WaveLimiterHint : 0
; COMPUTE_PGM_RSRC2:SCRATCH_EN: 0
; COMPUTE_PGM_RSRC2:USER_SGPR: 6
; COMPUTE_PGM_RSRC2:TRAP_HANDLER: 0
; COMPUTE_PGM_RSRC2:TGID_X_EN: 1
; COMPUTE_PGM_RSRC2:TGID_Y_EN: 0
; COMPUTE_PGM_RSRC2:TGID_Z_EN: 0
; COMPUTE_PGM_RSRC2:TIDIG_COMP_CNT: 0
; COMPUTE_PGM_RSRC3_GFX90A:ACCUM_OFFSET: 0
; COMPUTE_PGM_RSRC3_GFX90A:TG_SPLIT: 0
	.section	.text._ZN7rocprim17ROCPRIM_400000_NS6detail17trampoline_kernelINS0_14default_configENS1_20scan_config_selectorIxEEZZNS1_9scan_implILNS1_25lookback_scan_determinismE0ELb1ELb1ES3_N6thrust23THRUST_200600_302600_NS6detail15normal_iteratorINS9_10device_ptrIxEEEENS9_16discard_iteratorINS9_11use_defaultEEEx11max_functorIxExEEDaPvRmT3_T4_T5_mT6_P12ihipStream_tbENKUlT_T0_E_clISt17integral_constantIbLb1EESX_EEDaSS_ST_EUlSS_E_NS1_11comp_targetILNS1_3genE9ELNS1_11target_archE1100ELNS1_3gpuE3ELNS1_3repE0EEENS1_30default_config_static_selectorELNS0_4arch9wavefront6targetE1EEEvT1_,"axG",@progbits,_ZN7rocprim17ROCPRIM_400000_NS6detail17trampoline_kernelINS0_14default_configENS1_20scan_config_selectorIxEEZZNS1_9scan_implILNS1_25lookback_scan_determinismE0ELb1ELb1ES3_N6thrust23THRUST_200600_302600_NS6detail15normal_iteratorINS9_10device_ptrIxEEEENS9_16discard_iteratorINS9_11use_defaultEEEx11max_functorIxExEEDaPvRmT3_T4_T5_mT6_P12ihipStream_tbENKUlT_T0_E_clISt17integral_constantIbLb1EESX_EEDaSS_ST_EUlSS_E_NS1_11comp_targetILNS1_3genE9ELNS1_11target_archE1100ELNS1_3gpuE3ELNS1_3repE0EEENS1_30default_config_static_selectorELNS0_4arch9wavefront6targetE1EEEvT1_,comdat
	.protected	_ZN7rocprim17ROCPRIM_400000_NS6detail17trampoline_kernelINS0_14default_configENS1_20scan_config_selectorIxEEZZNS1_9scan_implILNS1_25lookback_scan_determinismE0ELb1ELb1ES3_N6thrust23THRUST_200600_302600_NS6detail15normal_iteratorINS9_10device_ptrIxEEEENS9_16discard_iteratorINS9_11use_defaultEEEx11max_functorIxExEEDaPvRmT3_T4_T5_mT6_P12ihipStream_tbENKUlT_T0_E_clISt17integral_constantIbLb1EESX_EEDaSS_ST_EUlSS_E_NS1_11comp_targetILNS1_3genE9ELNS1_11target_archE1100ELNS1_3gpuE3ELNS1_3repE0EEENS1_30default_config_static_selectorELNS0_4arch9wavefront6targetE1EEEvT1_ ; -- Begin function _ZN7rocprim17ROCPRIM_400000_NS6detail17trampoline_kernelINS0_14default_configENS1_20scan_config_selectorIxEEZZNS1_9scan_implILNS1_25lookback_scan_determinismE0ELb1ELb1ES3_N6thrust23THRUST_200600_302600_NS6detail15normal_iteratorINS9_10device_ptrIxEEEENS9_16discard_iteratorINS9_11use_defaultEEEx11max_functorIxExEEDaPvRmT3_T4_T5_mT6_P12ihipStream_tbENKUlT_T0_E_clISt17integral_constantIbLb1EESX_EEDaSS_ST_EUlSS_E_NS1_11comp_targetILNS1_3genE9ELNS1_11target_archE1100ELNS1_3gpuE3ELNS1_3repE0EEENS1_30default_config_static_selectorELNS0_4arch9wavefront6targetE1EEEvT1_
	.globl	_ZN7rocprim17ROCPRIM_400000_NS6detail17trampoline_kernelINS0_14default_configENS1_20scan_config_selectorIxEEZZNS1_9scan_implILNS1_25lookback_scan_determinismE0ELb1ELb1ES3_N6thrust23THRUST_200600_302600_NS6detail15normal_iteratorINS9_10device_ptrIxEEEENS9_16discard_iteratorINS9_11use_defaultEEEx11max_functorIxExEEDaPvRmT3_T4_T5_mT6_P12ihipStream_tbENKUlT_T0_E_clISt17integral_constantIbLb1EESX_EEDaSS_ST_EUlSS_E_NS1_11comp_targetILNS1_3genE9ELNS1_11target_archE1100ELNS1_3gpuE3ELNS1_3repE0EEENS1_30default_config_static_selectorELNS0_4arch9wavefront6targetE1EEEvT1_
	.p2align	8
	.type	_ZN7rocprim17ROCPRIM_400000_NS6detail17trampoline_kernelINS0_14default_configENS1_20scan_config_selectorIxEEZZNS1_9scan_implILNS1_25lookback_scan_determinismE0ELb1ELb1ES3_N6thrust23THRUST_200600_302600_NS6detail15normal_iteratorINS9_10device_ptrIxEEEENS9_16discard_iteratorINS9_11use_defaultEEEx11max_functorIxExEEDaPvRmT3_T4_T5_mT6_P12ihipStream_tbENKUlT_T0_E_clISt17integral_constantIbLb1EESX_EEDaSS_ST_EUlSS_E_NS1_11comp_targetILNS1_3genE9ELNS1_11target_archE1100ELNS1_3gpuE3ELNS1_3repE0EEENS1_30default_config_static_selectorELNS0_4arch9wavefront6targetE1EEEvT1_,@function
_ZN7rocprim17ROCPRIM_400000_NS6detail17trampoline_kernelINS0_14default_configENS1_20scan_config_selectorIxEEZZNS1_9scan_implILNS1_25lookback_scan_determinismE0ELb1ELb1ES3_N6thrust23THRUST_200600_302600_NS6detail15normal_iteratorINS9_10device_ptrIxEEEENS9_16discard_iteratorINS9_11use_defaultEEEx11max_functorIxExEEDaPvRmT3_T4_T5_mT6_P12ihipStream_tbENKUlT_T0_E_clISt17integral_constantIbLb1EESX_EEDaSS_ST_EUlSS_E_NS1_11comp_targetILNS1_3genE9ELNS1_11target_archE1100ELNS1_3gpuE3ELNS1_3repE0EEENS1_30default_config_static_selectorELNS0_4arch9wavefront6targetE1EEEvT1_: ; @_ZN7rocprim17ROCPRIM_400000_NS6detail17trampoline_kernelINS0_14default_configENS1_20scan_config_selectorIxEEZZNS1_9scan_implILNS1_25lookback_scan_determinismE0ELb1ELb1ES3_N6thrust23THRUST_200600_302600_NS6detail15normal_iteratorINS9_10device_ptrIxEEEENS9_16discard_iteratorINS9_11use_defaultEEEx11max_functorIxExEEDaPvRmT3_T4_T5_mT6_P12ihipStream_tbENKUlT_T0_E_clISt17integral_constantIbLb1EESX_EEDaSS_ST_EUlSS_E_NS1_11comp_targetILNS1_3genE9ELNS1_11target_archE1100ELNS1_3gpuE3ELNS1_3repE0EEENS1_30default_config_static_selectorELNS0_4arch9wavefront6targetE1EEEvT1_
; %bb.0:
	.section	.rodata,"a",@progbits
	.p2align	6, 0x0
	.amdhsa_kernel _ZN7rocprim17ROCPRIM_400000_NS6detail17trampoline_kernelINS0_14default_configENS1_20scan_config_selectorIxEEZZNS1_9scan_implILNS1_25lookback_scan_determinismE0ELb1ELb1ES3_N6thrust23THRUST_200600_302600_NS6detail15normal_iteratorINS9_10device_ptrIxEEEENS9_16discard_iteratorINS9_11use_defaultEEEx11max_functorIxExEEDaPvRmT3_T4_T5_mT6_P12ihipStream_tbENKUlT_T0_E_clISt17integral_constantIbLb1EESX_EEDaSS_ST_EUlSS_E_NS1_11comp_targetILNS1_3genE9ELNS1_11target_archE1100ELNS1_3gpuE3ELNS1_3repE0EEENS1_30default_config_static_selectorELNS0_4arch9wavefront6targetE1EEEvT1_
		.amdhsa_group_segment_fixed_size 0
		.amdhsa_private_segment_fixed_size 0
		.amdhsa_kernarg_size 112
		.amdhsa_user_sgpr_count 6
		.amdhsa_user_sgpr_private_segment_buffer 1
		.amdhsa_user_sgpr_dispatch_ptr 0
		.amdhsa_user_sgpr_queue_ptr 0
		.amdhsa_user_sgpr_kernarg_segment_ptr 1
		.amdhsa_user_sgpr_dispatch_id 0
		.amdhsa_user_sgpr_flat_scratch_init 0
		.amdhsa_user_sgpr_kernarg_preload_length 0
		.amdhsa_user_sgpr_kernarg_preload_offset 0
		.amdhsa_user_sgpr_private_segment_size 0
		.amdhsa_uses_dynamic_stack 0
		.amdhsa_system_sgpr_private_segment_wavefront_offset 0
		.amdhsa_system_sgpr_workgroup_id_x 1
		.amdhsa_system_sgpr_workgroup_id_y 0
		.amdhsa_system_sgpr_workgroup_id_z 0
		.amdhsa_system_sgpr_workgroup_info 0
		.amdhsa_system_vgpr_workitem_id 0
		.amdhsa_next_free_vgpr 1
		.amdhsa_next_free_sgpr 0
		.amdhsa_accum_offset 4
		.amdhsa_reserve_vcc 0
		.amdhsa_reserve_flat_scratch 0
		.amdhsa_float_round_mode_32 0
		.amdhsa_float_round_mode_16_64 0
		.amdhsa_float_denorm_mode_32 3
		.amdhsa_float_denorm_mode_16_64 3
		.amdhsa_dx10_clamp 1
		.amdhsa_ieee_mode 1
		.amdhsa_fp16_overflow 0
		.amdhsa_tg_split 0
		.amdhsa_exception_fp_ieee_invalid_op 0
		.amdhsa_exception_fp_denorm_src 0
		.amdhsa_exception_fp_ieee_div_zero 0
		.amdhsa_exception_fp_ieee_overflow 0
		.amdhsa_exception_fp_ieee_underflow 0
		.amdhsa_exception_fp_ieee_inexact 0
		.amdhsa_exception_int_div_zero 0
	.end_amdhsa_kernel
	.section	.text._ZN7rocprim17ROCPRIM_400000_NS6detail17trampoline_kernelINS0_14default_configENS1_20scan_config_selectorIxEEZZNS1_9scan_implILNS1_25lookback_scan_determinismE0ELb1ELb1ES3_N6thrust23THRUST_200600_302600_NS6detail15normal_iteratorINS9_10device_ptrIxEEEENS9_16discard_iteratorINS9_11use_defaultEEEx11max_functorIxExEEDaPvRmT3_T4_T5_mT6_P12ihipStream_tbENKUlT_T0_E_clISt17integral_constantIbLb1EESX_EEDaSS_ST_EUlSS_E_NS1_11comp_targetILNS1_3genE9ELNS1_11target_archE1100ELNS1_3gpuE3ELNS1_3repE0EEENS1_30default_config_static_selectorELNS0_4arch9wavefront6targetE1EEEvT1_,"axG",@progbits,_ZN7rocprim17ROCPRIM_400000_NS6detail17trampoline_kernelINS0_14default_configENS1_20scan_config_selectorIxEEZZNS1_9scan_implILNS1_25lookback_scan_determinismE0ELb1ELb1ES3_N6thrust23THRUST_200600_302600_NS6detail15normal_iteratorINS9_10device_ptrIxEEEENS9_16discard_iteratorINS9_11use_defaultEEEx11max_functorIxExEEDaPvRmT3_T4_T5_mT6_P12ihipStream_tbENKUlT_T0_E_clISt17integral_constantIbLb1EESX_EEDaSS_ST_EUlSS_E_NS1_11comp_targetILNS1_3genE9ELNS1_11target_archE1100ELNS1_3gpuE3ELNS1_3repE0EEENS1_30default_config_static_selectorELNS0_4arch9wavefront6targetE1EEEvT1_,comdat
.Lfunc_end3807:
	.size	_ZN7rocprim17ROCPRIM_400000_NS6detail17trampoline_kernelINS0_14default_configENS1_20scan_config_selectorIxEEZZNS1_9scan_implILNS1_25lookback_scan_determinismE0ELb1ELb1ES3_N6thrust23THRUST_200600_302600_NS6detail15normal_iteratorINS9_10device_ptrIxEEEENS9_16discard_iteratorINS9_11use_defaultEEEx11max_functorIxExEEDaPvRmT3_T4_T5_mT6_P12ihipStream_tbENKUlT_T0_E_clISt17integral_constantIbLb1EESX_EEDaSS_ST_EUlSS_E_NS1_11comp_targetILNS1_3genE9ELNS1_11target_archE1100ELNS1_3gpuE3ELNS1_3repE0EEENS1_30default_config_static_selectorELNS0_4arch9wavefront6targetE1EEEvT1_, .Lfunc_end3807-_ZN7rocprim17ROCPRIM_400000_NS6detail17trampoline_kernelINS0_14default_configENS1_20scan_config_selectorIxEEZZNS1_9scan_implILNS1_25lookback_scan_determinismE0ELb1ELb1ES3_N6thrust23THRUST_200600_302600_NS6detail15normal_iteratorINS9_10device_ptrIxEEEENS9_16discard_iteratorINS9_11use_defaultEEEx11max_functorIxExEEDaPvRmT3_T4_T5_mT6_P12ihipStream_tbENKUlT_T0_E_clISt17integral_constantIbLb1EESX_EEDaSS_ST_EUlSS_E_NS1_11comp_targetILNS1_3genE9ELNS1_11target_archE1100ELNS1_3gpuE3ELNS1_3repE0EEENS1_30default_config_static_selectorELNS0_4arch9wavefront6targetE1EEEvT1_
                                        ; -- End function
	.section	.AMDGPU.csdata,"",@progbits
; Kernel info:
; codeLenInByte = 0
; NumSgprs: 4
; NumVgprs: 0
; NumAgprs: 0
; TotalNumVgprs: 0
; ScratchSize: 0
; MemoryBound: 0
; FloatMode: 240
; IeeeMode: 1
; LDSByteSize: 0 bytes/workgroup (compile time only)
; SGPRBlocks: 0
; VGPRBlocks: 0
; NumSGPRsForWavesPerEU: 4
; NumVGPRsForWavesPerEU: 1
; AccumOffset: 4
; Occupancy: 8
; WaveLimiterHint : 0
; COMPUTE_PGM_RSRC2:SCRATCH_EN: 0
; COMPUTE_PGM_RSRC2:USER_SGPR: 6
; COMPUTE_PGM_RSRC2:TRAP_HANDLER: 0
; COMPUTE_PGM_RSRC2:TGID_X_EN: 1
; COMPUTE_PGM_RSRC2:TGID_Y_EN: 0
; COMPUTE_PGM_RSRC2:TGID_Z_EN: 0
; COMPUTE_PGM_RSRC2:TIDIG_COMP_CNT: 0
; COMPUTE_PGM_RSRC3_GFX90A:ACCUM_OFFSET: 0
; COMPUTE_PGM_RSRC3_GFX90A:TG_SPLIT: 0
	.section	.text._ZN7rocprim17ROCPRIM_400000_NS6detail17trampoline_kernelINS0_14default_configENS1_20scan_config_selectorIxEEZZNS1_9scan_implILNS1_25lookback_scan_determinismE0ELb1ELb1ES3_N6thrust23THRUST_200600_302600_NS6detail15normal_iteratorINS9_10device_ptrIxEEEENS9_16discard_iteratorINS9_11use_defaultEEEx11max_functorIxExEEDaPvRmT3_T4_T5_mT6_P12ihipStream_tbENKUlT_T0_E_clISt17integral_constantIbLb1EESX_EEDaSS_ST_EUlSS_E_NS1_11comp_targetILNS1_3genE8ELNS1_11target_archE1030ELNS1_3gpuE2ELNS1_3repE0EEENS1_30default_config_static_selectorELNS0_4arch9wavefront6targetE1EEEvT1_,"axG",@progbits,_ZN7rocprim17ROCPRIM_400000_NS6detail17trampoline_kernelINS0_14default_configENS1_20scan_config_selectorIxEEZZNS1_9scan_implILNS1_25lookback_scan_determinismE0ELb1ELb1ES3_N6thrust23THRUST_200600_302600_NS6detail15normal_iteratorINS9_10device_ptrIxEEEENS9_16discard_iteratorINS9_11use_defaultEEEx11max_functorIxExEEDaPvRmT3_T4_T5_mT6_P12ihipStream_tbENKUlT_T0_E_clISt17integral_constantIbLb1EESX_EEDaSS_ST_EUlSS_E_NS1_11comp_targetILNS1_3genE8ELNS1_11target_archE1030ELNS1_3gpuE2ELNS1_3repE0EEENS1_30default_config_static_selectorELNS0_4arch9wavefront6targetE1EEEvT1_,comdat
	.protected	_ZN7rocprim17ROCPRIM_400000_NS6detail17trampoline_kernelINS0_14default_configENS1_20scan_config_selectorIxEEZZNS1_9scan_implILNS1_25lookback_scan_determinismE0ELb1ELb1ES3_N6thrust23THRUST_200600_302600_NS6detail15normal_iteratorINS9_10device_ptrIxEEEENS9_16discard_iteratorINS9_11use_defaultEEEx11max_functorIxExEEDaPvRmT3_T4_T5_mT6_P12ihipStream_tbENKUlT_T0_E_clISt17integral_constantIbLb1EESX_EEDaSS_ST_EUlSS_E_NS1_11comp_targetILNS1_3genE8ELNS1_11target_archE1030ELNS1_3gpuE2ELNS1_3repE0EEENS1_30default_config_static_selectorELNS0_4arch9wavefront6targetE1EEEvT1_ ; -- Begin function _ZN7rocprim17ROCPRIM_400000_NS6detail17trampoline_kernelINS0_14default_configENS1_20scan_config_selectorIxEEZZNS1_9scan_implILNS1_25lookback_scan_determinismE0ELb1ELb1ES3_N6thrust23THRUST_200600_302600_NS6detail15normal_iteratorINS9_10device_ptrIxEEEENS9_16discard_iteratorINS9_11use_defaultEEEx11max_functorIxExEEDaPvRmT3_T4_T5_mT6_P12ihipStream_tbENKUlT_T0_E_clISt17integral_constantIbLb1EESX_EEDaSS_ST_EUlSS_E_NS1_11comp_targetILNS1_3genE8ELNS1_11target_archE1030ELNS1_3gpuE2ELNS1_3repE0EEENS1_30default_config_static_selectorELNS0_4arch9wavefront6targetE1EEEvT1_
	.globl	_ZN7rocprim17ROCPRIM_400000_NS6detail17trampoline_kernelINS0_14default_configENS1_20scan_config_selectorIxEEZZNS1_9scan_implILNS1_25lookback_scan_determinismE0ELb1ELb1ES3_N6thrust23THRUST_200600_302600_NS6detail15normal_iteratorINS9_10device_ptrIxEEEENS9_16discard_iteratorINS9_11use_defaultEEEx11max_functorIxExEEDaPvRmT3_T4_T5_mT6_P12ihipStream_tbENKUlT_T0_E_clISt17integral_constantIbLb1EESX_EEDaSS_ST_EUlSS_E_NS1_11comp_targetILNS1_3genE8ELNS1_11target_archE1030ELNS1_3gpuE2ELNS1_3repE0EEENS1_30default_config_static_selectorELNS0_4arch9wavefront6targetE1EEEvT1_
	.p2align	8
	.type	_ZN7rocprim17ROCPRIM_400000_NS6detail17trampoline_kernelINS0_14default_configENS1_20scan_config_selectorIxEEZZNS1_9scan_implILNS1_25lookback_scan_determinismE0ELb1ELb1ES3_N6thrust23THRUST_200600_302600_NS6detail15normal_iteratorINS9_10device_ptrIxEEEENS9_16discard_iteratorINS9_11use_defaultEEEx11max_functorIxExEEDaPvRmT3_T4_T5_mT6_P12ihipStream_tbENKUlT_T0_E_clISt17integral_constantIbLb1EESX_EEDaSS_ST_EUlSS_E_NS1_11comp_targetILNS1_3genE8ELNS1_11target_archE1030ELNS1_3gpuE2ELNS1_3repE0EEENS1_30default_config_static_selectorELNS0_4arch9wavefront6targetE1EEEvT1_,@function
_ZN7rocprim17ROCPRIM_400000_NS6detail17trampoline_kernelINS0_14default_configENS1_20scan_config_selectorIxEEZZNS1_9scan_implILNS1_25lookback_scan_determinismE0ELb1ELb1ES3_N6thrust23THRUST_200600_302600_NS6detail15normal_iteratorINS9_10device_ptrIxEEEENS9_16discard_iteratorINS9_11use_defaultEEEx11max_functorIxExEEDaPvRmT3_T4_T5_mT6_P12ihipStream_tbENKUlT_T0_E_clISt17integral_constantIbLb1EESX_EEDaSS_ST_EUlSS_E_NS1_11comp_targetILNS1_3genE8ELNS1_11target_archE1030ELNS1_3gpuE2ELNS1_3repE0EEENS1_30default_config_static_selectorELNS0_4arch9wavefront6targetE1EEEvT1_: ; @_ZN7rocprim17ROCPRIM_400000_NS6detail17trampoline_kernelINS0_14default_configENS1_20scan_config_selectorIxEEZZNS1_9scan_implILNS1_25lookback_scan_determinismE0ELb1ELb1ES3_N6thrust23THRUST_200600_302600_NS6detail15normal_iteratorINS9_10device_ptrIxEEEENS9_16discard_iteratorINS9_11use_defaultEEEx11max_functorIxExEEDaPvRmT3_T4_T5_mT6_P12ihipStream_tbENKUlT_T0_E_clISt17integral_constantIbLb1EESX_EEDaSS_ST_EUlSS_E_NS1_11comp_targetILNS1_3genE8ELNS1_11target_archE1030ELNS1_3gpuE2ELNS1_3repE0EEENS1_30default_config_static_selectorELNS0_4arch9wavefront6targetE1EEEvT1_
; %bb.0:
	.section	.rodata,"a",@progbits
	.p2align	6, 0x0
	.amdhsa_kernel _ZN7rocprim17ROCPRIM_400000_NS6detail17trampoline_kernelINS0_14default_configENS1_20scan_config_selectorIxEEZZNS1_9scan_implILNS1_25lookback_scan_determinismE0ELb1ELb1ES3_N6thrust23THRUST_200600_302600_NS6detail15normal_iteratorINS9_10device_ptrIxEEEENS9_16discard_iteratorINS9_11use_defaultEEEx11max_functorIxExEEDaPvRmT3_T4_T5_mT6_P12ihipStream_tbENKUlT_T0_E_clISt17integral_constantIbLb1EESX_EEDaSS_ST_EUlSS_E_NS1_11comp_targetILNS1_3genE8ELNS1_11target_archE1030ELNS1_3gpuE2ELNS1_3repE0EEENS1_30default_config_static_selectorELNS0_4arch9wavefront6targetE1EEEvT1_
		.amdhsa_group_segment_fixed_size 0
		.amdhsa_private_segment_fixed_size 0
		.amdhsa_kernarg_size 112
		.amdhsa_user_sgpr_count 6
		.amdhsa_user_sgpr_private_segment_buffer 1
		.amdhsa_user_sgpr_dispatch_ptr 0
		.amdhsa_user_sgpr_queue_ptr 0
		.amdhsa_user_sgpr_kernarg_segment_ptr 1
		.amdhsa_user_sgpr_dispatch_id 0
		.amdhsa_user_sgpr_flat_scratch_init 0
		.amdhsa_user_sgpr_kernarg_preload_length 0
		.amdhsa_user_sgpr_kernarg_preload_offset 0
		.amdhsa_user_sgpr_private_segment_size 0
		.amdhsa_uses_dynamic_stack 0
		.amdhsa_system_sgpr_private_segment_wavefront_offset 0
		.amdhsa_system_sgpr_workgroup_id_x 1
		.amdhsa_system_sgpr_workgroup_id_y 0
		.amdhsa_system_sgpr_workgroup_id_z 0
		.amdhsa_system_sgpr_workgroup_info 0
		.amdhsa_system_vgpr_workitem_id 0
		.amdhsa_next_free_vgpr 1
		.amdhsa_next_free_sgpr 0
		.amdhsa_accum_offset 4
		.amdhsa_reserve_vcc 0
		.amdhsa_reserve_flat_scratch 0
		.amdhsa_float_round_mode_32 0
		.amdhsa_float_round_mode_16_64 0
		.amdhsa_float_denorm_mode_32 3
		.amdhsa_float_denorm_mode_16_64 3
		.amdhsa_dx10_clamp 1
		.amdhsa_ieee_mode 1
		.amdhsa_fp16_overflow 0
		.amdhsa_tg_split 0
		.amdhsa_exception_fp_ieee_invalid_op 0
		.amdhsa_exception_fp_denorm_src 0
		.amdhsa_exception_fp_ieee_div_zero 0
		.amdhsa_exception_fp_ieee_overflow 0
		.amdhsa_exception_fp_ieee_underflow 0
		.amdhsa_exception_fp_ieee_inexact 0
		.amdhsa_exception_int_div_zero 0
	.end_amdhsa_kernel
	.section	.text._ZN7rocprim17ROCPRIM_400000_NS6detail17trampoline_kernelINS0_14default_configENS1_20scan_config_selectorIxEEZZNS1_9scan_implILNS1_25lookback_scan_determinismE0ELb1ELb1ES3_N6thrust23THRUST_200600_302600_NS6detail15normal_iteratorINS9_10device_ptrIxEEEENS9_16discard_iteratorINS9_11use_defaultEEEx11max_functorIxExEEDaPvRmT3_T4_T5_mT6_P12ihipStream_tbENKUlT_T0_E_clISt17integral_constantIbLb1EESX_EEDaSS_ST_EUlSS_E_NS1_11comp_targetILNS1_3genE8ELNS1_11target_archE1030ELNS1_3gpuE2ELNS1_3repE0EEENS1_30default_config_static_selectorELNS0_4arch9wavefront6targetE1EEEvT1_,"axG",@progbits,_ZN7rocprim17ROCPRIM_400000_NS6detail17trampoline_kernelINS0_14default_configENS1_20scan_config_selectorIxEEZZNS1_9scan_implILNS1_25lookback_scan_determinismE0ELb1ELb1ES3_N6thrust23THRUST_200600_302600_NS6detail15normal_iteratorINS9_10device_ptrIxEEEENS9_16discard_iteratorINS9_11use_defaultEEEx11max_functorIxExEEDaPvRmT3_T4_T5_mT6_P12ihipStream_tbENKUlT_T0_E_clISt17integral_constantIbLb1EESX_EEDaSS_ST_EUlSS_E_NS1_11comp_targetILNS1_3genE8ELNS1_11target_archE1030ELNS1_3gpuE2ELNS1_3repE0EEENS1_30default_config_static_selectorELNS0_4arch9wavefront6targetE1EEEvT1_,comdat
.Lfunc_end3808:
	.size	_ZN7rocprim17ROCPRIM_400000_NS6detail17trampoline_kernelINS0_14default_configENS1_20scan_config_selectorIxEEZZNS1_9scan_implILNS1_25lookback_scan_determinismE0ELb1ELb1ES3_N6thrust23THRUST_200600_302600_NS6detail15normal_iteratorINS9_10device_ptrIxEEEENS9_16discard_iteratorINS9_11use_defaultEEEx11max_functorIxExEEDaPvRmT3_T4_T5_mT6_P12ihipStream_tbENKUlT_T0_E_clISt17integral_constantIbLb1EESX_EEDaSS_ST_EUlSS_E_NS1_11comp_targetILNS1_3genE8ELNS1_11target_archE1030ELNS1_3gpuE2ELNS1_3repE0EEENS1_30default_config_static_selectorELNS0_4arch9wavefront6targetE1EEEvT1_, .Lfunc_end3808-_ZN7rocprim17ROCPRIM_400000_NS6detail17trampoline_kernelINS0_14default_configENS1_20scan_config_selectorIxEEZZNS1_9scan_implILNS1_25lookback_scan_determinismE0ELb1ELb1ES3_N6thrust23THRUST_200600_302600_NS6detail15normal_iteratorINS9_10device_ptrIxEEEENS9_16discard_iteratorINS9_11use_defaultEEEx11max_functorIxExEEDaPvRmT3_T4_T5_mT6_P12ihipStream_tbENKUlT_T0_E_clISt17integral_constantIbLb1EESX_EEDaSS_ST_EUlSS_E_NS1_11comp_targetILNS1_3genE8ELNS1_11target_archE1030ELNS1_3gpuE2ELNS1_3repE0EEENS1_30default_config_static_selectorELNS0_4arch9wavefront6targetE1EEEvT1_
                                        ; -- End function
	.section	.AMDGPU.csdata,"",@progbits
; Kernel info:
; codeLenInByte = 0
; NumSgprs: 4
; NumVgprs: 0
; NumAgprs: 0
; TotalNumVgprs: 0
; ScratchSize: 0
; MemoryBound: 0
; FloatMode: 240
; IeeeMode: 1
; LDSByteSize: 0 bytes/workgroup (compile time only)
; SGPRBlocks: 0
; VGPRBlocks: 0
; NumSGPRsForWavesPerEU: 4
; NumVGPRsForWavesPerEU: 1
; AccumOffset: 4
; Occupancy: 8
; WaveLimiterHint : 0
; COMPUTE_PGM_RSRC2:SCRATCH_EN: 0
; COMPUTE_PGM_RSRC2:USER_SGPR: 6
; COMPUTE_PGM_RSRC2:TRAP_HANDLER: 0
; COMPUTE_PGM_RSRC2:TGID_X_EN: 1
; COMPUTE_PGM_RSRC2:TGID_Y_EN: 0
; COMPUTE_PGM_RSRC2:TGID_Z_EN: 0
; COMPUTE_PGM_RSRC2:TIDIG_COMP_CNT: 0
; COMPUTE_PGM_RSRC3_GFX90A:ACCUM_OFFSET: 0
; COMPUTE_PGM_RSRC3_GFX90A:TG_SPLIT: 0
	.section	.text._ZN7rocprim17ROCPRIM_400000_NS6detail17trampoline_kernelINS0_14default_configENS1_20scan_config_selectorIxEEZZNS1_9scan_implILNS1_25lookback_scan_determinismE0ELb1ELb1ES3_N6thrust23THRUST_200600_302600_NS6detail15normal_iteratorINS9_10device_ptrIxEEEENS9_16discard_iteratorINS9_11use_defaultEEEx11max_functorIxExEEDaPvRmT3_T4_T5_mT6_P12ihipStream_tbENKUlT_T0_E_clISt17integral_constantIbLb1EESX_EEDaSS_ST_EUlSS_E0_NS1_11comp_targetILNS1_3genE0ELNS1_11target_archE4294967295ELNS1_3gpuE0ELNS1_3repE0EEENS1_30default_config_static_selectorELNS0_4arch9wavefront6targetE1EEEvT1_,"axG",@progbits,_ZN7rocprim17ROCPRIM_400000_NS6detail17trampoline_kernelINS0_14default_configENS1_20scan_config_selectorIxEEZZNS1_9scan_implILNS1_25lookback_scan_determinismE0ELb1ELb1ES3_N6thrust23THRUST_200600_302600_NS6detail15normal_iteratorINS9_10device_ptrIxEEEENS9_16discard_iteratorINS9_11use_defaultEEEx11max_functorIxExEEDaPvRmT3_T4_T5_mT6_P12ihipStream_tbENKUlT_T0_E_clISt17integral_constantIbLb1EESX_EEDaSS_ST_EUlSS_E0_NS1_11comp_targetILNS1_3genE0ELNS1_11target_archE4294967295ELNS1_3gpuE0ELNS1_3repE0EEENS1_30default_config_static_selectorELNS0_4arch9wavefront6targetE1EEEvT1_,comdat
	.protected	_ZN7rocprim17ROCPRIM_400000_NS6detail17trampoline_kernelINS0_14default_configENS1_20scan_config_selectorIxEEZZNS1_9scan_implILNS1_25lookback_scan_determinismE0ELb1ELb1ES3_N6thrust23THRUST_200600_302600_NS6detail15normal_iteratorINS9_10device_ptrIxEEEENS9_16discard_iteratorINS9_11use_defaultEEEx11max_functorIxExEEDaPvRmT3_T4_T5_mT6_P12ihipStream_tbENKUlT_T0_E_clISt17integral_constantIbLb1EESX_EEDaSS_ST_EUlSS_E0_NS1_11comp_targetILNS1_3genE0ELNS1_11target_archE4294967295ELNS1_3gpuE0ELNS1_3repE0EEENS1_30default_config_static_selectorELNS0_4arch9wavefront6targetE1EEEvT1_ ; -- Begin function _ZN7rocprim17ROCPRIM_400000_NS6detail17trampoline_kernelINS0_14default_configENS1_20scan_config_selectorIxEEZZNS1_9scan_implILNS1_25lookback_scan_determinismE0ELb1ELb1ES3_N6thrust23THRUST_200600_302600_NS6detail15normal_iteratorINS9_10device_ptrIxEEEENS9_16discard_iteratorINS9_11use_defaultEEEx11max_functorIxExEEDaPvRmT3_T4_T5_mT6_P12ihipStream_tbENKUlT_T0_E_clISt17integral_constantIbLb1EESX_EEDaSS_ST_EUlSS_E0_NS1_11comp_targetILNS1_3genE0ELNS1_11target_archE4294967295ELNS1_3gpuE0ELNS1_3repE0EEENS1_30default_config_static_selectorELNS0_4arch9wavefront6targetE1EEEvT1_
	.globl	_ZN7rocprim17ROCPRIM_400000_NS6detail17trampoline_kernelINS0_14default_configENS1_20scan_config_selectorIxEEZZNS1_9scan_implILNS1_25lookback_scan_determinismE0ELb1ELb1ES3_N6thrust23THRUST_200600_302600_NS6detail15normal_iteratorINS9_10device_ptrIxEEEENS9_16discard_iteratorINS9_11use_defaultEEEx11max_functorIxExEEDaPvRmT3_T4_T5_mT6_P12ihipStream_tbENKUlT_T0_E_clISt17integral_constantIbLb1EESX_EEDaSS_ST_EUlSS_E0_NS1_11comp_targetILNS1_3genE0ELNS1_11target_archE4294967295ELNS1_3gpuE0ELNS1_3repE0EEENS1_30default_config_static_selectorELNS0_4arch9wavefront6targetE1EEEvT1_
	.p2align	8
	.type	_ZN7rocprim17ROCPRIM_400000_NS6detail17trampoline_kernelINS0_14default_configENS1_20scan_config_selectorIxEEZZNS1_9scan_implILNS1_25lookback_scan_determinismE0ELb1ELb1ES3_N6thrust23THRUST_200600_302600_NS6detail15normal_iteratorINS9_10device_ptrIxEEEENS9_16discard_iteratorINS9_11use_defaultEEEx11max_functorIxExEEDaPvRmT3_T4_T5_mT6_P12ihipStream_tbENKUlT_T0_E_clISt17integral_constantIbLb1EESX_EEDaSS_ST_EUlSS_E0_NS1_11comp_targetILNS1_3genE0ELNS1_11target_archE4294967295ELNS1_3gpuE0ELNS1_3repE0EEENS1_30default_config_static_selectorELNS0_4arch9wavefront6targetE1EEEvT1_,@function
_ZN7rocprim17ROCPRIM_400000_NS6detail17trampoline_kernelINS0_14default_configENS1_20scan_config_selectorIxEEZZNS1_9scan_implILNS1_25lookback_scan_determinismE0ELb1ELb1ES3_N6thrust23THRUST_200600_302600_NS6detail15normal_iteratorINS9_10device_ptrIxEEEENS9_16discard_iteratorINS9_11use_defaultEEEx11max_functorIxExEEDaPvRmT3_T4_T5_mT6_P12ihipStream_tbENKUlT_T0_E_clISt17integral_constantIbLb1EESX_EEDaSS_ST_EUlSS_E0_NS1_11comp_targetILNS1_3genE0ELNS1_11target_archE4294967295ELNS1_3gpuE0ELNS1_3repE0EEENS1_30default_config_static_selectorELNS0_4arch9wavefront6targetE1EEEvT1_: ; @_ZN7rocprim17ROCPRIM_400000_NS6detail17trampoline_kernelINS0_14default_configENS1_20scan_config_selectorIxEEZZNS1_9scan_implILNS1_25lookback_scan_determinismE0ELb1ELb1ES3_N6thrust23THRUST_200600_302600_NS6detail15normal_iteratorINS9_10device_ptrIxEEEENS9_16discard_iteratorINS9_11use_defaultEEEx11max_functorIxExEEDaPvRmT3_T4_T5_mT6_P12ihipStream_tbENKUlT_T0_E_clISt17integral_constantIbLb1EESX_EEDaSS_ST_EUlSS_E0_NS1_11comp_targetILNS1_3genE0ELNS1_11target_archE4294967295ELNS1_3gpuE0ELNS1_3repE0EEENS1_30default_config_static_selectorELNS0_4arch9wavefront6targetE1EEEvT1_
; %bb.0:
	.section	.rodata,"a",@progbits
	.p2align	6, 0x0
	.amdhsa_kernel _ZN7rocprim17ROCPRIM_400000_NS6detail17trampoline_kernelINS0_14default_configENS1_20scan_config_selectorIxEEZZNS1_9scan_implILNS1_25lookback_scan_determinismE0ELb1ELb1ES3_N6thrust23THRUST_200600_302600_NS6detail15normal_iteratorINS9_10device_ptrIxEEEENS9_16discard_iteratorINS9_11use_defaultEEEx11max_functorIxExEEDaPvRmT3_T4_T5_mT6_P12ihipStream_tbENKUlT_T0_E_clISt17integral_constantIbLb1EESX_EEDaSS_ST_EUlSS_E0_NS1_11comp_targetILNS1_3genE0ELNS1_11target_archE4294967295ELNS1_3gpuE0ELNS1_3repE0EEENS1_30default_config_static_selectorELNS0_4arch9wavefront6targetE1EEEvT1_
		.amdhsa_group_segment_fixed_size 0
		.amdhsa_private_segment_fixed_size 0
		.amdhsa_kernarg_size 48
		.amdhsa_user_sgpr_count 6
		.amdhsa_user_sgpr_private_segment_buffer 1
		.amdhsa_user_sgpr_dispatch_ptr 0
		.amdhsa_user_sgpr_queue_ptr 0
		.amdhsa_user_sgpr_kernarg_segment_ptr 1
		.amdhsa_user_sgpr_dispatch_id 0
		.amdhsa_user_sgpr_flat_scratch_init 0
		.amdhsa_user_sgpr_kernarg_preload_length 0
		.amdhsa_user_sgpr_kernarg_preload_offset 0
		.amdhsa_user_sgpr_private_segment_size 0
		.amdhsa_uses_dynamic_stack 0
		.amdhsa_system_sgpr_private_segment_wavefront_offset 0
		.amdhsa_system_sgpr_workgroup_id_x 1
		.amdhsa_system_sgpr_workgroup_id_y 0
		.amdhsa_system_sgpr_workgroup_id_z 0
		.amdhsa_system_sgpr_workgroup_info 0
		.amdhsa_system_vgpr_workitem_id 0
		.amdhsa_next_free_vgpr 1
		.amdhsa_next_free_sgpr 0
		.amdhsa_accum_offset 4
		.amdhsa_reserve_vcc 0
		.amdhsa_reserve_flat_scratch 0
		.amdhsa_float_round_mode_32 0
		.amdhsa_float_round_mode_16_64 0
		.amdhsa_float_denorm_mode_32 3
		.amdhsa_float_denorm_mode_16_64 3
		.amdhsa_dx10_clamp 1
		.amdhsa_ieee_mode 1
		.amdhsa_fp16_overflow 0
		.amdhsa_tg_split 0
		.amdhsa_exception_fp_ieee_invalid_op 0
		.amdhsa_exception_fp_denorm_src 0
		.amdhsa_exception_fp_ieee_div_zero 0
		.amdhsa_exception_fp_ieee_overflow 0
		.amdhsa_exception_fp_ieee_underflow 0
		.amdhsa_exception_fp_ieee_inexact 0
		.amdhsa_exception_int_div_zero 0
	.end_amdhsa_kernel
	.section	.text._ZN7rocprim17ROCPRIM_400000_NS6detail17trampoline_kernelINS0_14default_configENS1_20scan_config_selectorIxEEZZNS1_9scan_implILNS1_25lookback_scan_determinismE0ELb1ELb1ES3_N6thrust23THRUST_200600_302600_NS6detail15normal_iteratorINS9_10device_ptrIxEEEENS9_16discard_iteratorINS9_11use_defaultEEEx11max_functorIxExEEDaPvRmT3_T4_T5_mT6_P12ihipStream_tbENKUlT_T0_E_clISt17integral_constantIbLb1EESX_EEDaSS_ST_EUlSS_E0_NS1_11comp_targetILNS1_3genE0ELNS1_11target_archE4294967295ELNS1_3gpuE0ELNS1_3repE0EEENS1_30default_config_static_selectorELNS0_4arch9wavefront6targetE1EEEvT1_,"axG",@progbits,_ZN7rocprim17ROCPRIM_400000_NS6detail17trampoline_kernelINS0_14default_configENS1_20scan_config_selectorIxEEZZNS1_9scan_implILNS1_25lookback_scan_determinismE0ELb1ELb1ES3_N6thrust23THRUST_200600_302600_NS6detail15normal_iteratorINS9_10device_ptrIxEEEENS9_16discard_iteratorINS9_11use_defaultEEEx11max_functorIxExEEDaPvRmT3_T4_T5_mT6_P12ihipStream_tbENKUlT_T0_E_clISt17integral_constantIbLb1EESX_EEDaSS_ST_EUlSS_E0_NS1_11comp_targetILNS1_3genE0ELNS1_11target_archE4294967295ELNS1_3gpuE0ELNS1_3repE0EEENS1_30default_config_static_selectorELNS0_4arch9wavefront6targetE1EEEvT1_,comdat
.Lfunc_end3809:
	.size	_ZN7rocprim17ROCPRIM_400000_NS6detail17trampoline_kernelINS0_14default_configENS1_20scan_config_selectorIxEEZZNS1_9scan_implILNS1_25lookback_scan_determinismE0ELb1ELb1ES3_N6thrust23THRUST_200600_302600_NS6detail15normal_iteratorINS9_10device_ptrIxEEEENS9_16discard_iteratorINS9_11use_defaultEEEx11max_functorIxExEEDaPvRmT3_T4_T5_mT6_P12ihipStream_tbENKUlT_T0_E_clISt17integral_constantIbLb1EESX_EEDaSS_ST_EUlSS_E0_NS1_11comp_targetILNS1_3genE0ELNS1_11target_archE4294967295ELNS1_3gpuE0ELNS1_3repE0EEENS1_30default_config_static_selectorELNS0_4arch9wavefront6targetE1EEEvT1_, .Lfunc_end3809-_ZN7rocprim17ROCPRIM_400000_NS6detail17trampoline_kernelINS0_14default_configENS1_20scan_config_selectorIxEEZZNS1_9scan_implILNS1_25lookback_scan_determinismE0ELb1ELb1ES3_N6thrust23THRUST_200600_302600_NS6detail15normal_iteratorINS9_10device_ptrIxEEEENS9_16discard_iteratorINS9_11use_defaultEEEx11max_functorIxExEEDaPvRmT3_T4_T5_mT6_P12ihipStream_tbENKUlT_T0_E_clISt17integral_constantIbLb1EESX_EEDaSS_ST_EUlSS_E0_NS1_11comp_targetILNS1_3genE0ELNS1_11target_archE4294967295ELNS1_3gpuE0ELNS1_3repE0EEENS1_30default_config_static_selectorELNS0_4arch9wavefront6targetE1EEEvT1_
                                        ; -- End function
	.section	.AMDGPU.csdata,"",@progbits
; Kernel info:
; codeLenInByte = 0
; NumSgprs: 4
; NumVgprs: 0
; NumAgprs: 0
; TotalNumVgprs: 0
; ScratchSize: 0
; MemoryBound: 0
; FloatMode: 240
; IeeeMode: 1
; LDSByteSize: 0 bytes/workgroup (compile time only)
; SGPRBlocks: 0
; VGPRBlocks: 0
; NumSGPRsForWavesPerEU: 4
; NumVGPRsForWavesPerEU: 1
; AccumOffset: 4
; Occupancy: 8
; WaveLimiterHint : 0
; COMPUTE_PGM_RSRC2:SCRATCH_EN: 0
; COMPUTE_PGM_RSRC2:USER_SGPR: 6
; COMPUTE_PGM_RSRC2:TRAP_HANDLER: 0
; COMPUTE_PGM_RSRC2:TGID_X_EN: 1
; COMPUTE_PGM_RSRC2:TGID_Y_EN: 0
; COMPUTE_PGM_RSRC2:TGID_Z_EN: 0
; COMPUTE_PGM_RSRC2:TIDIG_COMP_CNT: 0
; COMPUTE_PGM_RSRC3_GFX90A:ACCUM_OFFSET: 0
; COMPUTE_PGM_RSRC3_GFX90A:TG_SPLIT: 0
	.section	.text._ZN7rocprim17ROCPRIM_400000_NS6detail17trampoline_kernelINS0_14default_configENS1_20scan_config_selectorIxEEZZNS1_9scan_implILNS1_25lookback_scan_determinismE0ELb1ELb1ES3_N6thrust23THRUST_200600_302600_NS6detail15normal_iteratorINS9_10device_ptrIxEEEENS9_16discard_iteratorINS9_11use_defaultEEEx11max_functorIxExEEDaPvRmT3_T4_T5_mT6_P12ihipStream_tbENKUlT_T0_E_clISt17integral_constantIbLb1EESX_EEDaSS_ST_EUlSS_E0_NS1_11comp_targetILNS1_3genE5ELNS1_11target_archE942ELNS1_3gpuE9ELNS1_3repE0EEENS1_30default_config_static_selectorELNS0_4arch9wavefront6targetE1EEEvT1_,"axG",@progbits,_ZN7rocprim17ROCPRIM_400000_NS6detail17trampoline_kernelINS0_14default_configENS1_20scan_config_selectorIxEEZZNS1_9scan_implILNS1_25lookback_scan_determinismE0ELb1ELb1ES3_N6thrust23THRUST_200600_302600_NS6detail15normal_iteratorINS9_10device_ptrIxEEEENS9_16discard_iteratorINS9_11use_defaultEEEx11max_functorIxExEEDaPvRmT3_T4_T5_mT6_P12ihipStream_tbENKUlT_T0_E_clISt17integral_constantIbLb1EESX_EEDaSS_ST_EUlSS_E0_NS1_11comp_targetILNS1_3genE5ELNS1_11target_archE942ELNS1_3gpuE9ELNS1_3repE0EEENS1_30default_config_static_selectorELNS0_4arch9wavefront6targetE1EEEvT1_,comdat
	.protected	_ZN7rocprim17ROCPRIM_400000_NS6detail17trampoline_kernelINS0_14default_configENS1_20scan_config_selectorIxEEZZNS1_9scan_implILNS1_25lookback_scan_determinismE0ELb1ELb1ES3_N6thrust23THRUST_200600_302600_NS6detail15normal_iteratorINS9_10device_ptrIxEEEENS9_16discard_iteratorINS9_11use_defaultEEEx11max_functorIxExEEDaPvRmT3_T4_T5_mT6_P12ihipStream_tbENKUlT_T0_E_clISt17integral_constantIbLb1EESX_EEDaSS_ST_EUlSS_E0_NS1_11comp_targetILNS1_3genE5ELNS1_11target_archE942ELNS1_3gpuE9ELNS1_3repE0EEENS1_30default_config_static_selectorELNS0_4arch9wavefront6targetE1EEEvT1_ ; -- Begin function _ZN7rocprim17ROCPRIM_400000_NS6detail17trampoline_kernelINS0_14default_configENS1_20scan_config_selectorIxEEZZNS1_9scan_implILNS1_25lookback_scan_determinismE0ELb1ELb1ES3_N6thrust23THRUST_200600_302600_NS6detail15normal_iteratorINS9_10device_ptrIxEEEENS9_16discard_iteratorINS9_11use_defaultEEEx11max_functorIxExEEDaPvRmT3_T4_T5_mT6_P12ihipStream_tbENKUlT_T0_E_clISt17integral_constantIbLb1EESX_EEDaSS_ST_EUlSS_E0_NS1_11comp_targetILNS1_3genE5ELNS1_11target_archE942ELNS1_3gpuE9ELNS1_3repE0EEENS1_30default_config_static_selectorELNS0_4arch9wavefront6targetE1EEEvT1_
	.globl	_ZN7rocprim17ROCPRIM_400000_NS6detail17trampoline_kernelINS0_14default_configENS1_20scan_config_selectorIxEEZZNS1_9scan_implILNS1_25lookback_scan_determinismE0ELb1ELb1ES3_N6thrust23THRUST_200600_302600_NS6detail15normal_iteratorINS9_10device_ptrIxEEEENS9_16discard_iteratorINS9_11use_defaultEEEx11max_functorIxExEEDaPvRmT3_T4_T5_mT6_P12ihipStream_tbENKUlT_T0_E_clISt17integral_constantIbLb1EESX_EEDaSS_ST_EUlSS_E0_NS1_11comp_targetILNS1_3genE5ELNS1_11target_archE942ELNS1_3gpuE9ELNS1_3repE0EEENS1_30default_config_static_selectorELNS0_4arch9wavefront6targetE1EEEvT1_
	.p2align	8
	.type	_ZN7rocprim17ROCPRIM_400000_NS6detail17trampoline_kernelINS0_14default_configENS1_20scan_config_selectorIxEEZZNS1_9scan_implILNS1_25lookback_scan_determinismE0ELb1ELb1ES3_N6thrust23THRUST_200600_302600_NS6detail15normal_iteratorINS9_10device_ptrIxEEEENS9_16discard_iteratorINS9_11use_defaultEEEx11max_functorIxExEEDaPvRmT3_T4_T5_mT6_P12ihipStream_tbENKUlT_T0_E_clISt17integral_constantIbLb1EESX_EEDaSS_ST_EUlSS_E0_NS1_11comp_targetILNS1_3genE5ELNS1_11target_archE942ELNS1_3gpuE9ELNS1_3repE0EEENS1_30default_config_static_selectorELNS0_4arch9wavefront6targetE1EEEvT1_,@function
_ZN7rocprim17ROCPRIM_400000_NS6detail17trampoline_kernelINS0_14default_configENS1_20scan_config_selectorIxEEZZNS1_9scan_implILNS1_25lookback_scan_determinismE0ELb1ELb1ES3_N6thrust23THRUST_200600_302600_NS6detail15normal_iteratorINS9_10device_ptrIxEEEENS9_16discard_iteratorINS9_11use_defaultEEEx11max_functorIxExEEDaPvRmT3_T4_T5_mT6_P12ihipStream_tbENKUlT_T0_E_clISt17integral_constantIbLb1EESX_EEDaSS_ST_EUlSS_E0_NS1_11comp_targetILNS1_3genE5ELNS1_11target_archE942ELNS1_3gpuE9ELNS1_3repE0EEENS1_30default_config_static_selectorELNS0_4arch9wavefront6targetE1EEEvT1_: ; @_ZN7rocprim17ROCPRIM_400000_NS6detail17trampoline_kernelINS0_14default_configENS1_20scan_config_selectorIxEEZZNS1_9scan_implILNS1_25lookback_scan_determinismE0ELb1ELb1ES3_N6thrust23THRUST_200600_302600_NS6detail15normal_iteratorINS9_10device_ptrIxEEEENS9_16discard_iteratorINS9_11use_defaultEEEx11max_functorIxExEEDaPvRmT3_T4_T5_mT6_P12ihipStream_tbENKUlT_T0_E_clISt17integral_constantIbLb1EESX_EEDaSS_ST_EUlSS_E0_NS1_11comp_targetILNS1_3genE5ELNS1_11target_archE942ELNS1_3gpuE9ELNS1_3repE0EEENS1_30default_config_static_selectorELNS0_4arch9wavefront6targetE1EEEvT1_
; %bb.0:
	.section	.rodata,"a",@progbits
	.p2align	6, 0x0
	.amdhsa_kernel _ZN7rocprim17ROCPRIM_400000_NS6detail17trampoline_kernelINS0_14default_configENS1_20scan_config_selectorIxEEZZNS1_9scan_implILNS1_25lookback_scan_determinismE0ELb1ELb1ES3_N6thrust23THRUST_200600_302600_NS6detail15normal_iteratorINS9_10device_ptrIxEEEENS9_16discard_iteratorINS9_11use_defaultEEEx11max_functorIxExEEDaPvRmT3_T4_T5_mT6_P12ihipStream_tbENKUlT_T0_E_clISt17integral_constantIbLb1EESX_EEDaSS_ST_EUlSS_E0_NS1_11comp_targetILNS1_3genE5ELNS1_11target_archE942ELNS1_3gpuE9ELNS1_3repE0EEENS1_30default_config_static_selectorELNS0_4arch9wavefront6targetE1EEEvT1_
		.amdhsa_group_segment_fixed_size 0
		.amdhsa_private_segment_fixed_size 0
		.amdhsa_kernarg_size 48
		.amdhsa_user_sgpr_count 6
		.amdhsa_user_sgpr_private_segment_buffer 1
		.amdhsa_user_sgpr_dispatch_ptr 0
		.amdhsa_user_sgpr_queue_ptr 0
		.amdhsa_user_sgpr_kernarg_segment_ptr 1
		.amdhsa_user_sgpr_dispatch_id 0
		.amdhsa_user_sgpr_flat_scratch_init 0
		.amdhsa_user_sgpr_kernarg_preload_length 0
		.amdhsa_user_sgpr_kernarg_preload_offset 0
		.amdhsa_user_sgpr_private_segment_size 0
		.amdhsa_uses_dynamic_stack 0
		.amdhsa_system_sgpr_private_segment_wavefront_offset 0
		.amdhsa_system_sgpr_workgroup_id_x 1
		.amdhsa_system_sgpr_workgroup_id_y 0
		.amdhsa_system_sgpr_workgroup_id_z 0
		.amdhsa_system_sgpr_workgroup_info 0
		.amdhsa_system_vgpr_workitem_id 0
		.amdhsa_next_free_vgpr 1
		.amdhsa_next_free_sgpr 0
		.amdhsa_accum_offset 4
		.amdhsa_reserve_vcc 0
		.amdhsa_reserve_flat_scratch 0
		.amdhsa_float_round_mode_32 0
		.amdhsa_float_round_mode_16_64 0
		.amdhsa_float_denorm_mode_32 3
		.amdhsa_float_denorm_mode_16_64 3
		.amdhsa_dx10_clamp 1
		.amdhsa_ieee_mode 1
		.amdhsa_fp16_overflow 0
		.amdhsa_tg_split 0
		.amdhsa_exception_fp_ieee_invalid_op 0
		.amdhsa_exception_fp_denorm_src 0
		.amdhsa_exception_fp_ieee_div_zero 0
		.amdhsa_exception_fp_ieee_overflow 0
		.amdhsa_exception_fp_ieee_underflow 0
		.amdhsa_exception_fp_ieee_inexact 0
		.amdhsa_exception_int_div_zero 0
	.end_amdhsa_kernel
	.section	.text._ZN7rocprim17ROCPRIM_400000_NS6detail17trampoline_kernelINS0_14default_configENS1_20scan_config_selectorIxEEZZNS1_9scan_implILNS1_25lookback_scan_determinismE0ELb1ELb1ES3_N6thrust23THRUST_200600_302600_NS6detail15normal_iteratorINS9_10device_ptrIxEEEENS9_16discard_iteratorINS9_11use_defaultEEEx11max_functorIxExEEDaPvRmT3_T4_T5_mT6_P12ihipStream_tbENKUlT_T0_E_clISt17integral_constantIbLb1EESX_EEDaSS_ST_EUlSS_E0_NS1_11comp_targetILNS1_3genE5ELNS1_11target_archE942ELNS1_3gpuE9ELNS1_3repE0EEENS1_30default_config_static_selectorELNS0_4arch9wavefront6targetE1EEEvT1_,"axG",@progbits,_ZN7rocprim17ROCPRIM_400000_NS6detail17trampoline_kernelINS0_14default_configENS1_20scan_config_selectorIxEEZZNS1_9scan_implILNS1_25lookback_scan_determinismE0ELb1ELb1ES3_N6thrust23THRUST_200600_302600_NS6detail15normal_iteratorINS9_10device_ptrIxEEEENS9_16discard_iteratorINS9_11use_defaultEEEx11max_functorIxExEEDaPvRmT3_T4_T5_mT6_P12ihipStream_tbENKUlT_T0_E_clISt17integral_constantIbLb1EESX_EEDaSS_ST_EUlSS_E0_NS1_11comp_targetILNS1_3genE5ELNS1_11target_archE942ELNS1_3gpuE9ELNS1_3repE0EEENS1_30default_config_static_selectorELNS0_4arch9wavefront6targetE1EEEvT1_,comdat
.Lfunc_end3810:
	.size	_ZN7rocprim17ROCPRIM_400000_NS6detail17trampoline_kernelINS0_14default_configENS1_20scan_config_selectorIxEEZZNS1_9scan_implILNS1_25lookback_scan_determinismE0ELb1ELb1ES3_N6thrust23THRUST_200600_302600_NS6detail15normal_iteratorINS9_10device_ptrIxEEEENS9_16discard_iteratorINS9_11use_defaultEEEx11max_functorIxExEEDaPvRmT3_T4_T5_mT6_P12ihipStream_tbENKUlT_T0_E_clISt17integral_constantIbLb1EESX_EEDaSS_ST_EUlSS_E0_NS1_11comp_targetILNS1_3genE5ELNS1_11target_archE942ELNS1_3gpuE9ELNS1_3repE0EEENS1_30default_config_static_selectorELNS0_4arch9wavefront6targetE1EEEvT1_, .Lfunc_end3810-_ZN7rocprim17ROCPRIM_400000_NS6detail17trampoline_kernelINS0_14default_configENS1_20scan_config_selectorIxEEZZNS1_9scan_implILNS1_25lookback_scan_determinismE0ELb1ELb1ES3_N6thrust23THRUST_200600_302600_NS6detail15normal_iteratorINS9_10device_ptrIxEEEENS9_16discard_iteratorINS9_11use_defaultEEEx11max_functorIxExEEDaPvRmT3_T4_T5_mT6_P12ihipStream_tbENKUlT_T0_E_clISt17integral_constantIbLb1EESX_EEDaSS_ST_EUlSS_E0_NS1_11comp_targetILNS1_3genE5ELNS1_11target_archE942ELNS1_3gpuE9ELNS1_3repE0EEENS1_30default_config_static_selectorELNS0_4arch9wavefront6targetE1EEEvT1_
                                        ; -- End function
	.section	.AMDGPU.csdata,"",@progbits
; Kernel info:
; codeLenInByte = 0
; NumSgprs: 4
; NumVgprs: 0
; NumAgprs: 0
; TotalNumVgprs: 0
; ScratchSize: 0
; MemoryBound: 0
; FloatMode: 240
; IeeeMode: 1
; LDSByteSize: 0 bytes/workgroup (compile time only)
; SGPRBlocks: 0
; VGPRBlocks: 0
; NumSGPRsForWavesPerEU: 4
; NumVGPRsForWavesPerEU: 1
; AccumOffset: 4
; Occupancy: 8
; WaveLimiterHint : 0
; COMPUTE_PGM_RSRC2:SCRATCH_EN: 0
; COMPUTE_PGM_RSRC2:USER_SGPR: 6
; COMPUTE_PGM_RSRC2:TRAP_HANDLER: 0
; COMPUTE_PGM_RSRC2:TGID_X_EN: 1
; COMPUTE_PGM_RSRC2:TGID_Y_EN: 0
; COMPUTE_PGM_RSRC2:TGID_Z_EN: 0
; COMPUTE_PGM_RSRC2:TIDIG_COMP_CNT: 0
; COMPUTE_PGM_RSRC3_GFX90A:ACCUM_OFFSET: 0
; COMPUTE_PGM_RSRC3_GFX90A:TG_SPLIT: 0
	.section	.text._ZN7rocprim17ROCPRIM_400000_NS6detail17trampoline_kernelINS0_14default_configENS1_20scan_config_selectorIxEEZZNS1_9scan_implILNS1_25lookback_scan_determinismE0ELb1ELb1ES3_N6thrust23THRUST_200600_302600_NS6detail15normal_iteratorINS9_10device_ptrIxEEEENS9_16discard_iteratorINS9_11use_defaultEEEx11max_functorIxExEEDaPvRmT3_T4_T5_mT6_P12ihipStream_tbENKUlT_T0_E_clISt17integral_constantIbLb1EESX_EEDaSS_ST_EUlSS_E0_NS1_11comp_targetILNS1_3genE4ELNS1_11target_archE910ELNS1_3gpuE8ELNS1_3repE0EEENS1_30default_config_static_selectorELNS0_4arch9wavefront6targetE1EEEvT1_,"axG",@progbits,_ZN7rocprim17ROCPRIM_400000_NS6detail17trampoline_kernelINS0_14default_configENS1_20scan_config_selectorIxEEZZNS1_9scan_implILNS1_25lookback_scan_determinismE0ELb1ELb1ES3_N6thrust23THRUST_200600_302600_NS6detail15normal_iteratorINS9_10device_ptrIxEEEENS9_16discard_iteratorINS9_11use_defaultEEEx11max_functorIxExEEDaPvRmT3_T4_T5_mT6_P12ihipStream_tbENKUlT_T0_E_clISt17integral_constantIbLb1EESX_EEDaSS_ST_EUlSS_E0_NS1_11comp_targetILNS1_3genE4ELNS1_11target_archE910ELNS1_3gpuE8ELNS1_3repE0EEENS1_30default_config_static_selectorELNS0_4arch9wavefront6targetE1EEEvT1_,comdat
	.protected	_ZN7rocprim17ROCPRIM_400000_NS6detail17trampoline_kernelINS0_14default_configENS1_20scan_config_selectorIxEEZZNS1_9scan_implILNS1_25lookback_scan_determinismE0ELb1ELb1ES3_N6thrust23THRUST_200600_302600_NS6detail15normal_iteratorINS9_10device_ptrIxEEEENS9_16discard_iteratorINS9_11use_defaultEEEx11max_functorIxExEEDaPvRmT3_T4_T5_mT6_P12ihipStream_tbENKUlT_T0_E_clISt17integral_constantIbLb1EESX_EEDaSS_ST_EUlSS_E0_NS1_11comp_targetILNS1_3genE4ELNS1_11target_archE910ELNS1_3gpuE8ELNS1_3repE0EEENS1_30default_config_static_selectorELNS0_4arch9wavefront6targetE1EEEvT1_ ; -- Begin function _ZN7rocprim17ROCPRIM_400000_NS6detail17trampoline_kernelINS0_14default_configENS1_20scan_config_selectorIxEEZZNS1_9scan_implILNS1_25lookback_scan_determinismE0ELb1ELb1ES3_N6thrust23THRUST_200600_302600_NS6detail15normal_iteratorINS9_10device_ptrIxEEEENS9_16discard_iteratorINS9_11use_defaultEEEx11max_functorIxExEEDaPvRmT3_T4_T5_mT6_P12ihipStream_tbENKUlT_T0_E_clISt17integral_constantIbLb1EESX_EEDaSS_ST_EUlSS_E0_NS1_11comp_targetILNS1_3genE4ELNS1_11target_archE910ELNS1_3gpuE8ELNS1_3repE0EEENS1_30default_config_static_selectorELNS0_4arch9wavefront6targetE1EEEvT1_
	.globl	_ZN7rocprim17ROCPRIM_400000_NS6detail17trampoline_kernelINS0_14default_configENS1_20scan_config_selectorIxEEZZNS1_9scan_implILNS1_25lookback_scan_determinismE0ELb1ELb1ES3_N6thrust23THRUST_200600_302600_NS6detail15normal_iteratorINS9_10device_ptrIxEEEENS9_16discard_iteratorINS9_11use_defaultEEEx11max_functorIxExEEDaPvRmT3_T4_T5_mT6_P12ihipStream_tbENKUlT_T0_E_clISt17integral_constantIbLb1EESX_EEDaSS_ST_EUlSS_E0_NS1_11comp_targetILNS1_3genE4ELNS1_11target_archE910ELNS1_3gpuE8ELNS1_3repE0EEENS1_30default_config_static_selectorELNS0_4arch9wavefront6targetE1EEEvT1_
	.p2align	8
	.type	_ZN7rocprim17ROCPRIM_400000_NS6detail17trampoline_kernelINS0_14default_configENS1_20scan_config_selectorIxEEZZNS1_9scan_implILNS1_25lookback_scan_determinismE0ELb1ELb1ES3_N6thrust23THRUST_200600_302600_NS6detail15normal_iteratorINS9_10device_ptrIxEEEENS9_16discard_iteratorINS9_11use_defaultEEEx11max_functorIxExEEDaPvRmT3_T4_T5_mT6_P12ihipStream_tbENKUlT_T0_E_clISt17integral_constantIbLb1EESX_EEDaSS_ST_EUlSS_E0_NS1_11comp_targetILNS1_3genE4ELNS1_11target_archE910ELNS1_3gpuE8ELNS1_3repE0EEENS1_30default_config_static_selectorELNS0_4arch9wavefront6targetE1EEEvT1_,@function
_ZN7rocprim17ROCPRIM_400000_NS6detail17trampoline_kernelINS0_14default_configENS1_20scan_config_selectorIxEEZZNS1_9scan_implILNS1_25lookback_scan_determinismE0ELb1ELb1ES3_N6thrust23THRUST_200600_302600_NS6detail15normal_iteratorINS9_10device_ptrIxEEEENS9_16discard_iteratorINS9_11use_defaultEEEx11max_functorIxExEEDaPvRmT3_T4_T5_mT6_P12ihipStream_tbENKUlT_T0_E_clISt17integral_constantIbLb1EESX_EEDaSS_ST_EUlSS_E0_NS1_11comp_targetILNS1_3genE4ELNS1_11target_archE910ELNS1_3gpuE8ELNS1_3repE0EEENS1_30default_config_static_selectorELNS0_4arch9wavefront6targetE1EEEvT1_: ; @_ZN7rocprim17ROCPRIM_400000_NS6detail17trampoline_kernelINS0_14default_configENS1_20scan_config_selectorIxEEZZNS1_9scan_implILNS1_25lookback_scan_determinismE0ELb1ELb1ES3_N6thrust23THRUST_200600_302600_NS6detail15normal_iteratorINS9_10device_ptrIxEEEENS9_16discard_iteratorINS9_11use_defaultEEEx11max_functorIxExEEDaPvRmT3_T4_T5_mT6_P12ihipStream_tbENKUlT_T0_E_clISt17integral_constantIbLb1EESX_EEDaSS_ST_EUlSS_E0_NS1_11comp_targetILNS1_3genE4ELNS1_11target_archE910ELNS1_3gpuE8ELNS1_3repE0EEENS1_30default_config_static_selectorELNS0_4arch9wavefront6targetE1EEEvT1_
; %bb.0:
	s_load_dwordx4 s[0:3], s[4:5], 0x0
	v_lshlrev_b32_e32 v1, 3, v0
	s_waitcnt lgkmcnt(0)
	s_load_dwordx2 s[6:7], s[0:1], 0x0
	v_cmp_gt_u32_e32 vcc, s2, v0
	s_waitcnt lgkmcnt(0)
	v_pk_mov_b32 v[2:3], s[6:7], s[6:7] op_sel:[0,1]
	s_and_saveexec_b64 s[8:9], vcc
	s_cbranch_execz .LBB3811_2
; %bb.1:
	global_load_dwordx2 v[2:3], v1, s[0:1]
.LBB3811_2:
	s_or_b64 exec, exec, s[8:9]
	v_or_b32_e32 v4, 0x80, v0
	v_cmp_gt_u32_e32 vcc, s2, v4
	v_pk_mov_b32 v[4:5], s[6:7], s[6:7] op_sel:[0,1]
	s_and_saveexec_b64 s[8:9], vcc
	s_cbranch_execz .LBB3811_4
; %bb.3:
	global_load_dwordx2 v[4:5], v1, s[0:1] offset:1024
.LBB3811_4:
	s_or_b64 exec, exec, s[8:9]
	v_or_b32_e32 v6, 0x100, v0
	v_cmp_gt_u32_e32 vcc, s2, v6
	v_pk_mov_b32 v[6:7], s[6:7], s[6:7] op_sel:[0,1]
	s_and_saveexec_b64 s[8:9], vcc
	s_cbranch_execz .LBB3811_6
; %bb.5:
	global_load_dwordx2 v[6:7], v1, s[0:1] offset:2048
.LBB3811_6:
	s_or_b64 exec, exec, s[8:9]
	v_or_b32_e32 v8, 0x180, v0
	v_cmp_gt_u32_e32 vcc, s2, v8
	v_pk_mov_b32 v[8:9], s[6:7], s[6:7] op_sel:[0,1]
	s_and_saveexec_b64 s[8:9], vcc
	s_cbranch_execz .LBB3811_8
; %bb.7:
	global_load_dwordx2 v[8:9], v1, s[0:1] offset:3072
.LBB3811_8:
	s_or_b64 exec, exec, s[8:9]
	v_or_b32_e32 v12, 0x200, v0
	v_cmp_gt_u32_e32 vcc, s2, v12
	v_pk_mov_b32 v[10:11], s[6:7], s[6:7] op_sel:[0,1]
	s_and_saveexec_b64 s[8:9], vcc
	s_cbranch_execz .LBB3811_10
; %bb.9:
	v_lshlrev_b32_e32 v10, 3, v12
	global_load_dwordx2 v[10:11], v10, s[0:1]
.LBB3811_10:
	s_or_b64 exec, exec, s[8:9]
	v_or_b32_e32 v14, 0x280, v0
	v_cmp_gt_u32_e32 vcc, s2, v14
	v_pk_mov_b32 v[12:13], s[6:7], s[6:7] op_sel:[0,1]
	s_and_saveexec_b64 s[8:9], vcc
	s_cbranch_execz .LBB3811_12
; %bb.11:
	v_lshlrev_b32_e32 v12, 3, v14
	global_load_dwordx2 v[12:13], v12, s[0:1]
.LBB3811_12:
	s_or_b64 exec, exec, s[8:9]
	s_load_dwordx2 s[4:5], s[4:5], 0x10
	v_or_b32_e32 v16, 0x300, v0
	v_cmp_gt_u32_e32 vcc, s2, v16
	v_pk_mov_b32 v[14:15], s[6:7], s[6:7] op_sel:[0,1]
	s_and_saveexec_b64 s[2:3], vcc
	s_cbranch_execz .LBB3811_14
; %bb.13:
	v_lshlrev_b32_e32 v14, 3, v16
	global_load_dwordx2 v[14:15], v14, s[0:1]
.LBB3811_14:
	s_or_b64 exec, exec, s[2:3]
	s_waitcnt vmcnt(0)
	ds_write2st64_b64 v1, v[2:3], v[4:5] offset1:2
	ds_write2st64_b64 v1, v[6:7], v[8:9] offset0:4 offset1:6
	ds_write2st64_b64 v1, v[10:11], v[12:13] offset0:8 offset1:10
	ds_write_b64 v1, v[14:15] offset:6144
	v_mad_u32_u24 v14, v0, 48, v1
	s_waitcnt lgkmcnt(0)
	s_barrier
	ds_read2_b64 v[10:13], v14 offset1:1
	ds_read2_b64 v[6:9], v14 offset0:2 offset1:3
	ds_read2_b64 v[2:5], v14 offset0:4 offset1:5
	ds_read_b64 v[14:15], v14 offset:48
	s_waitcnt lgkmcnt(0)
	v_cmp_gt_i64_e32 vcc, v[10:11], v[12:13]
	v_cndmask_b32_e32 v17, v13, v11, vcc
	v_cndmask_b32_e32 v16, v12, v10, vcc
	v_cmp_gt_i64_e32 vcc, v[16:17], v[6:7]
	v_cndmask_b32_e32 v17, v7, v17, vcc
	v_cndmask_b32_e32 v16, v6, v16, vcc
	;; [unrolled: 3-line block ×5, first 2 shown]
	v_cmp_gt_i64_e32 vcc, v[16:17], v[14:15]
	v_cndmask_b32_e32 v18, v14, v16, vcc
	v_lshrrev_b32_e32 v14, 2, v0
	v_and_b32_e32 v14, 24, v14
	v_cndmask_b32_e32 v19, v15, v17, vcc
	v_add_u32_e32 v14, v1, v14
	v_cmp_gt_u32_e32 vcc, 64, v0
	s_barrier
	ds_write_b64 v14, v[18:19]
	s_waitcnt lgkmcnt(0)
	s_barrier
	s_and_saveexec_b64 s[2:3], vcc
	s_cbranch_execz .LBB3811_18
; %bb.15:
	v_lshlrev_b32_e32 v14, 1, v0
	v_lshrrev_b32_e32 v15, 4, v0
	v_add_lshl_u32 v24, v15, v14, 3
	ds_read2_b64 v[14:17], v24 offset1:1
	v_mbcnt_lo_u32_b32 v20, -1, 0
	v_mbcnt_hi_u32_b32 v25, -1, v20
	v_and_b32_e32 v26, 15, v25
	v_and_b32_e32 v28, 16, v25
	s_waitcnt lgkmcnt(0)
	v_cmp_gt_i64_e32 vcc, v[14:15], v[16:17]
	v_cndmask_b32_e32 v17, v17, v15, vcc
	v_cndmask_b32_e32 v16, v16, v14, vcc
	v_cmp_ne_u32_e64 s[0:1], 0, v25
	v_mov_b32_dpp v21, v17 row_shr:1 row_mask:0xf bank_mask:0xf
	v_mov_b32_dpp v20, v16 row_shr:1 row_mask:0xf bank_mask:0xf
	v_cmp_gt_i64_e32 vcc, v[20:21], v[16:17]
	v_cndmask_b32_e32 v20, v16, v20, vcc
	v_cndmask_b32_e32 v21, v17, v21, vcc
	v_cmp_eq_u32_e32 vcc, 0, v26
	v_cndmask_b32_e32 v21, v21, v17, vcc
	v_cndmask_b32_e32 v20, v20, v16, vcc
	s_nop 0
	v_mov_b32_dpp v23, v21 row_shr:2 row_mask:0xf bank_mask:0xf
	v_mov_b32_dpp v22, v20 row_shr:2 row_mask:0xf bank_mask:0xf
	v_cmp_gt_i64_e32 vcc, v[22:23], v[20:21]
	v_cndmask_b32_e32 v22, v20, v22, vcc
	v_cndmask_b32_e32 v23, v21, v23, vcc
	v_cmp_lt_u32_e32 vcc, 1, v26
	v_cndmask_b32_e32 v21, v21, v23, vcc
	v_cndmask_b32_e32 v20, v20, v22, vcc
	s_nop 0
	v_mov_b32_dpp v23, v21 row_shr:4 row_mask:0xf bank_mask:0xf
	v_mov_b32_dpp v22, v20 row_shr:4 row_mask:0xf bank_mask:0xf
	v_cmp_gt_i64_e32 vcc, v[22:23], v[20:21]
	v_cndmask_b32_e32 v22, v20, v22, vcc
	v_cndmask_b32_e32 v23, v21, v23, vcc
	v_cmp_lt_u32_e32 vcc, 3, v26
	;; [unrolled: 9-line block ×3, first 2 shown]
	v_cndmask_b32_e32 v21, v21, v23, vcc
	v_cndmask_b32_e32 v20, v20, v22, vcc
	s_nop 0
	v_mov_b32_dpp v23, v21 row_bcast:15 row_mask:0xf bank_mask:0xf
	v_mov_b32_dpp v22, v20 row_bcast:15 row_mask:0xf bank_mask:0xf
	v_cmp_gt_i64_e32 vcc, v[22:23], v[20:21]
	v_cndmask_b32_e32 v26, v21, v23, vcc
	v_cndmask_b32_e32 v27, v20, v22, vcc
	v_cmp_eq_u32_e32 vcc, 0, v28
	v_cndmask_b32_e32 v23, v26, v21, vcc
	v_cndmask_b32_e32 v22, v27, v20, vcc
	s_nop 0
	v_mov_b32_dpp v23, v23 row_bcast:31 row_mask:0xf bank_mask:0xf
	v_mov_b32_dpp v22, v22 row_bcast:31 row_mask:0xf bank_mask:0xf
	s_and_saveexec_b64 s[6:7], s[0:1]
; %bb.16:
	v_cndmask_b32_e32 v17, v26, v21, vcc
	v_cndmask_b32_e32 v16, v27, v20, vcc
	v_cmp_lt_u32_e64 s[0:1], 31, v25
	v_cmp_gt_i64_e32 vcc, v[22:23], v[16:17]
	s_and_b64 vcc, s[0:1], vcc
	v_cndmask_b32_e32 v16, v16, v22, vcc
	v_cndmask_b32_e32 v17, v17, v23, vcc
; %bb.17:
	s_or_b64 exec, exec, s[6:7]
	v_add_u32_e32 v20, -1, v25
	v_and_b32_e32 v21, 64, v25
	v_cmp_lt_i32_e32 vcc, v20, v21
	v_cndmask_b32_e32 v20, v20, v25, vcc
	v_lshlrev_b32_e32 v20, 2, v20
	ds_bpermute_b32 v16, v20, v16
	ds_bpermute_b32 v17, v20, v17
	; wave barrier
	s_waitcnt lgkmcnt(0)
	v_cmp_gt_i64_e32 vcc, v[16:17], v[14:15]
	v_cndmask_b32_e32 v14, v14, v16, vcc
	v_cndmask_b32_e32 v15, v15, v17, vcc
	v_cmp_eq_u32_e32 vcc, 0, v0
	v_cndmask_b32_e32 v15, v15, v19, vcc
	v_cndmask_b32_e32 v14, v14, v18, vcc
	ds_write_b64 v24, v[14:15]
	; wave barrier
	ds_read_b64 v[16:17], v24 offset:8
	s_waitcnt lgkmcnt(0)
	v_cmp_gt_i64_e32 vcc, v[14:15], v[16:17]
	v_cndmask_b32_e32 v15, v17, v15, vcc
	v_cndmask_b32_e32 v14, v16, v14, vcc
	ds_write_b64 v24, v[14:15] offset:8
.LBB3811_18:
	s_or_b64 exec, exec, s[2:3]
	v_mul_u32_u24_e32 v16, 48, v0
	v_cmp_ne_u32_e32 vcc, 0, v0
	v_pk_mov_b32 v[14:15], s[4:5], s[4:5] op_sel:[0,1]
	s_waitcnt lgkmcnt(0)
	s_barrier
	s_and_saveexec_b64 s[0:1], vcc
	s_cbranch_execz .LBB3811_20
; %bb.19:
	v_add_u32_e32 v0, -1, v0
	v_lshrrev_b32_e32 v14, 5, v0
	v_add_lshl_u32 v0, v14, v0, 3
	ds_read_b64 v[14:15], v0
	v_mov_b32_e32 v0, s5
	s_waitcnt lgkmcnt(0)
	v_cmp_gt_i64_e32 vcc, s[4:5], v[14:15]
	v_cndmask_b32_e32 v15, v15, v0, vcc
	v_mov_b32_e32 v0, s4
	v_cndmask_b32_e32 v14, v14, v0, vcc
.LBB3811_20:
	s_or_b64 exec, exec, s[0:1]
	v_cmp_gt_i64_e32 vcc, v[14:15], v[10:11]
	v_cndmask_b32_e32 v11, v11, v15, vcc
	v_cndmask_b32_e32 v10, v10, v14, vcc
	v_cmp_gt_i64_e32 vcc, v[10:11], v[12:13]
	v_cndmask_b32_e32 v13, v13, v11, vcc
	v_cndmask_b32_e32 v12, v12, v10, vcc
	;; [unrolled: 3-line block ×5, first 2 shown]
	v_cmp_gt_i64_e32 vcc, v[2:3], v[4:5]
	v_add_u32_e32 v0, v1, v16
	v_cndmask_b32_e32 v5, v5, v3, vcc
	v_cndmask_b32_e32 v4, v4, v2, vcc
	s_barrier
	ds_write2_b64 v0, v[14:15], v[10:11] offset1:1
	ds_write2_b64 v0, v[12:13], v[6:7] offset0:2 offset1:3
	ds_write2_b64 v0, v[8:9], v[2:3] offset0:4 offset1:5
	ds_write_b64 v0, v[4:5] offset:48
	s_waitcnt lgkmcnt(0)
	s_barrier
	s_endpgm
	.section	.rodata,"a",@progbits
	.p2align	6, 0x0
	.amdhsa_kernel _ZN7rocprim17ROCPRIM_400000_NS6detail17trampoline_kernelINS0_14default_configENS1_20scan_config_selectorIxEEZZNS1_9scan_implILNS1_25lookback_scan_determinismE0ELb1ELb1ES3_N6thrust23THRUST_200600_302600_NS6detail15normal_iteratorINS9_10device_ptrIxEEEENS9_16discard_iteratorINS9_11use_defaultEEEx11max_functorIxExEEDaPvRmT3_T4_T5_mT6_P12ihipStream_tbENKUlT_T0_E_clISt17integral_constantIbLb1EESX_EEDaSS_ST_EUlSS_E0_NS1_11comp_targetILNS1_3genE4ELNS1_11target_archE910ELNS1_3gpuE8ELNS1_3repE0EEENS1_30default_config_static_selectorELNS0_4arch9wavefront6targetE1EEEvT1_
		.amdhsa_group_segment_fixed_size 7168
		.amdhsa_private_segment_fixed_size 0
		.amdhsa_kernarg_size 48
		.amdhsa_user_sgpr_count 6
		.amdhsa_user_sgpr_private_segment_buffer 1
		.amdhsa_user_sgpr_dispatch_ptr 0
		.amdhsa_user_sgpr_queue_ptr 0
		.amdhsa_user_sgpr_kernarg_segment_ptr 1
		.amdhsa_user_sgpr_dispatch_id 0
		.amdhsa_user_sgpr_flat_scratch_init 0
		.amdhsa_user_sgpr_kernarg_preload_length 0
		.amdhsa_user_sgpr_kernarg_preload_offset 0
		.amdhsa_user_sgpr_private_segment_size 0
		.amdhsa_uses_dynamic_stack 0
		.amdhsa_system_sgpr_private_segment_wavefront_offset 0
		.amdhsa_system_sgpr_workgroup_id_x 1
		.amdhsa_system_sgpr_workgroup_id_y 0
		.amdhsa_system_sgpr_workgroup_id_z 0
		.amdhsa_system_sgpr_workgroup_info 0
		.amdhsa_system_vgpr_workitem_id 0
		.amdhsa_next_free_vgpr 29
		.amdhsa_next_free_sgpr 10
		.amdhsa_accum_offset 32
		.amdhsa_reserve_vcc 1
		.amdhsa_reserve_flat_scratch 0
		.amdhsa_float_round_mode_32 0
		.amdhsa_float_round_mode_16_64 0
		.amdhsa_float_denorm_mode_32 3
		.amdhsa_float_denorm_mode_16_64 3
		.amdhsa_dx10_clamp 1
		.amdhsa_ieee_mode 1
		.amdhsa_fp16_overflow 0
		.amdhsa_tg_split 0
		.amdhsa_exception_fp_ieee_invalid_op 0
		.amdhsa_exception_fp_denorm_src 0
		.amdhsa_exception_fp_ieee_div_zero 0
		.amdhsa_exception_fp_ieee_overflow 0
		.amdhsa_exception_fp_ieee_underflow 0
		.amdhsa_exception_fp_ieee_inexact 0
		.amdhsa_exception_int_div_zero 0
	.end_amdhsa_kernel
	.section	.text._ZN7rocprim17ROCPRIM_400000_NS6detail17trampoline_kernelINS0_14default_configENS1_20scan_config_selectorIxEEZZNS1_9scan_implILNS1_25lookback_scan_determinismE0ELb1ELb1ES3_N6thrust23THRUST_200600_302600_NS6detail15normal_iteratorINS9_10device_ptrIxEEEENS9_16discard_iteratorINS9_11use_defaultEEEx11max_functorIxExEEDaPvRmT3_T4_T5_mT6_P12ihipStream_tbENKUlT_T0_E_clISt17integral_constantIbLb1EESX_EEDaSS_ST_EUlSS_E0_NS1_11comp_targetILNS1_3genE4ELNS1_11target_archE910ELNS1_3gpuE8ELNS1_3repE0EEENS1_30default_config_static_selectorELNS0_4arch9wavefront6targetE1EEEvT1_,"axG",@progbits,_ZN7rocprim17ROCPRIM_400000_NS6detail17trampoline_kernelINS0_14default_configENS1_20scan_config_selectorIxEEZZNS1_9scan_implILNS1_25lookback_scan_determinismE0ELb1ELb1ES3_N6thrust23THRUST_200600_302600_NS6detail15normal_iteratorINS9_10device_ptrIxEEEENS9_16discard_iteratorINS9_11use_defaultEEEx11max_functorIxExEEDaPvRmT3_T4_T5_mT6_P12ihipStream_tbENKUlT_T0_E_clISt17integral_constantIbLb1EESX_EEDaSS_ST_EUlSS_E0_NS1_11comp_targetILNS1_3genE4ELNS1_11target_archE910ELNS1_3gpuE8ELNS1_3repE0EEENS1_30default_config_static_selectorELNS0_4arch9wavefront6targetE1EEEvT1_,comdat
.Lfunc_end3811:
	.size	_ZN7rocprim17ROCPRIM_400000_NS6detail17trampoline_kernelINS0_14default_configENS1_20scan_config_selectorIxEEZZNS1_9scan_implILNS1_25lookback_scan_determinismE0ELb1ELb1ES3_N6thrust23THRUST_200600_302600_NS6detail15normal_iteratorINS9_10device_ptrIxEEEENS9_16discard_iteratorINS9_11use_defaultEEEx11max_functorIxExEEDaPvRmT3_T4_T5_mT6_P12ihipStream_tbENKUlT_T0_E_clISt17integral_constantIbLb1EESX_EEDaSS_ST_EUlSS_E0_NS1_11comp_targetILNS1_3genE4ELNS1_11target_archE910ELNS1_3gpuE8ELNS1_3repE0EEENS1_30default_config_static_selectorELNS0_4arch9wavefront6targetE1EEEvT1_, .Lfunc_end3811-_ZN7rocprim17ROCPRIM_400000_NS6detail17trampoline_kernelINS0_14default_configENS1_20scan_config_selectorIxEEZZNS1_9scan_implILNS1_25lookback_scan_determinismE0ELb1ELb1ES3_N6thrust23THRUST_200600_302600_NS6detail15normal_iteratorINS9_10device_ptrIxEEEENS9_16discard_iteratorINS9_11use_defaultEEEx11max_functorIxExEEDaPvRmT3_T4_T5_mT6_P12ihipStream_tbENKUlT_T0_E_clISt17integral_constantIbLb1EESX_EEDaSS_ST_EUlSS_E0_NS1_11comp_targetILNS1_3genE4ELNS1_11target_archE910ELNS1_3gpuE8ELNS1_3repE0EEENS1_30default_config_static_selectorELNS0_4arch9wavefront6targetE1EEEvT1_
                                        ; -- End function
	.section	.AMDGPU.csdata,"",@progbits
; Kernel info:
; codeLenInByte = 1188
; NumSgprs: 14
; NumVgprs: 29
; NumAgprs: 0
; TotalNumVgprs: 29
; ScratchSize: 0
; MemoryBound: 0
; FloatMode: 240
; IeeeMode: 1
; LDSByteSize: 7168 bytes/workgroup (compile time only)
; SGPRBlocks: 1
; VGPRBlocks: 3
; NumSGPRsForWavesPerEU: 14
; NumVGPRsForWavesPerEU: 29
; AccumOffset: 32
; Occupancy: 5
; WaveLimiterHint : 0
; COMPUTE_PGM_RSRC2:SCRATCH_EN: 0
; COMPUTE_PGM_RSRC2:USER_SGPR: 6
; COMPUTE_PGM_RSRC2:TRAP_HANDLER: 0
; COMPUTE_PGM_RSRC2:TGID_X_EN: 1
; COMPUTE_PGM_RSRC2:TGID_Y_EN: 0
; COMPUTE_PGM_RSRC2:TGID_Z_EN: 0
; COMPUTE_PGM_RSRC2:TIDIG_COMP_CNT: 0
; COMPUTE_PGM_RSRC3_GFX90A:ACCUM_OFFSET: 7
; COMPUTE_PGM_RSRC3_GFX90A:TG_SPLIT: 0
	.section	.text._ZN7rocprim17ROCPRIM_400000_NS6detail17trampoline_kernelINS0_14default_configENS1_20scan_config_selectorIxEEZZNS1_9scan_implILNS1_25lookback_scan_determinismE0ELb1ELb1ES3_N6thrust23THRUST_200600_302600_NS6detail15normal_iteratorINS9_10device_ptrIxEEEENS9_16discard_iteratorINS9_11use_defaultEEEx11max_functorIxExEEDaPvRmT3_T4_T5_mT6_P12ihipStream_tbENKUlT_T0_E_clISt17integral_constantIbLb1EESX_EEDaSS_ST_EUlSS_E0_NS1_11comp_targetILNS1_3genE3ELNS1_11target_archE908ELNS1_3gpuE7ELNS1_3repE0EEENS1_30default_config_static_selectorELNS0_4arch9wavefront6targetE1EEEvT1_,"axG",@progbits,_ZN7rocprim17ROCPRIM_400000_NS6detail17trampoline_kernelINS0_14default_configENS1_20scan_config_selectorIxEEZZNS1_9scan_implILNS1_25lookback_scan_determinismE0ELb1ELb1ES3_N6thrust23THRUST_200600_302600_NS6detail15normal_iteratorINS9_10device_ptrIxEEEENS9_16discard_iteratorINS9_11use_defaultEEEx11max_functorIxExEEDaPvRmT3_T4_T5_mT6_P12ihipStream_tbENKUlT_T0_E_clISt17integral_constantIbLb1EESX_EEDaSS_ST_EUlSS_E0_NS1_11comp_targetILNS1_3genE3ELNS1_11target_archE908ELNS1_3gpuE7ELNS1_3repE0EEENS1_30default_config_static_selectorELNS0_4arch9wavefront6targetE1EEEvT1_,comdat
	.protected	_ZN7rocprim17ROCPRIM_400000_NS6detail17trampoline_kernelINS0_14default_configENS1_20scan_config_selectorIxEEZZNS1_9scan_implILNS1_25lookback_scan_determinismE0ELb1ELb1ES3_N6thrust23THRUST_200600_302600_NS6detail15normal_iteratorINS9_10device_ptrIxEEEENS9_16discard_iteratorINS9_11use_defaultEEEx11max_functorIxExEEDaPvRmT3_T4_T5_mT6_P12ihipStream_tbENKUlT_T0_E_clISt17integral_constantIbLb1EESX_EEDaSS_ST_EUlSS_E0_NS1_11comp_targetILNS1_3genE3ELNS1_11target_archE908ELNS1_3gpuE7ELNS1_3repE0EEENS1_30default_config_static_selectorELNS0_4arch9wavefront6targetE1EEEvT1_ ; -- Begin function _ZN7rocprim17ROCPRIM_400000_NS6detail17trampoline_kernelINS0_14default_configENS1_20scan_config_selectorIxEEZZNS1_9scan_implILNS1_25lookback_scan_determinismE0ELb1ELb1ES3_N6thrust23THRUST_200600_302600_NS6detail15normal_iteratorINS9_10device_ptrIxEEEENS9_16discard_iteratorINS9_11use_defaultEEEx11max_functorIxExEEDaPvRmT3_T4_T5_mT6_P12ihipStream_tbENKUlT_T0_E_clISt17integral_constantIbLb1EESX_EEDaSS_ST_EUlSS_E0_NS1_11comp_targetILNS1_3genE3ELNS1_11target_archE908ELNS1_3gpuE7ELNS1_3repE0EEENS1_30default_config_static_selectorELNS0_4arch9wavefront6targetE1EEEvT1_
	.globl	_ZN7rocprim17ROCPRIM_400000_NS6detail17trampoline_kernelINS0_14default_configENS1_20scan_config_selectorIxEEZZNS1_9scan_implILNS1_25lookback_scan_determinismE0ELb1ELb1ES3_N6thrust23THRUST_200600_302600_NS6detail15normal_iteratorINS9_10device_ptrIxEEEENS9_16discard_iteratorINS9_11use_defaultEEEx11max_functorIxExEEDaPvRmT3_T4_T5_mT6_P12ihipStream_tbENKUlT_T0_E_clISt17integral_constantIbLb1EESX_EEDaSS_ST_EUlSS_E0_NS1_11comp_targetILNS1_3genE3ELNS1_11target_archE908ELNS1_3gpuE7ELNS1_3repE0EEENS1_30default_config_static_selectorELNS0_4arch9wavefront6targetE1EEEvT1_
	.p2align	8
	.type	_ZN7rocprim17ROCPRIM_400000_NS6detail17trampoline_kernelINS0_14default_configENS1_20scan_config_selectorIxEEZZNS1_9scan_implILNS1_25lookback_scan_determinismE0ELb1ELb1ES3_N6thrust23THRUST_200600_302600_NS6detail15normal_iteratorINS9_10device_ptrIxEEEENS9_16discard_iteratorINS9_11use_defaultEEEx11max_functorIxExEEDaPvRmT3_T4_T5_mT6_P12ihipStream_tbENKUlT_T0_E_clISt17integral_constantIbLb1EESX_EEDaSS_ST_EUlSS_E0_NS1_11comp_targetILNS1_3genE3ELNS1_11target_archE908ELNS1_3gpuE7ELNS1_3repE0EEENS1_30default_config_static_selectorELNS0_4arch9wavefront6targetE1EEEvT1_,@function
_ZN7rocprim17ROCPRIM_400000_NS6detail17trampoline_kernelINS0_14default_configENS1_20scan_config_selectorIxEEZZNS1_9scan_implILNS1_25lookback_scan_determinismE0ELb1ELb1ES3_N6thrust23THRUST_200600_302600_NS6detail15normal_iteratorINS9_10device_ptrIxEEEENS9_16discard_iteratorINS9_11use_defaultEEEx11max_functorIxExEEDaPvRmT3_T4_T5_mT6_P12ihipStream_tbENKUlT_T0_E_clISt17integral_constantIbLb1EESX_EEDaSS_ST_EUlSS_E0_NS1_11comp_targetILNS1_3genE3ELNS1_11target_archE908ELNS1_3gpuE7ELNS1_3repE0EEENS1_30default_config_static_selectorELNS0_4arch9wavefront6targetE1EEEvT1_: ; @_ZN7rocprim17ROCPRIM_400000_NS6detail17trampoline_kernelINS0_14default_configENS1_20scan_config_selectorIxEEZZNS1_9scan_implILNS1_25lookback_scan_determinismE0ELb1ELb1ES3_N6thrust23THRUST_200600_302600_NS6detail15normal_iteratorINS9_10device_ptrIxEEEENS9_16discard_iteratorINS9_11use_defaultEEEx11max_functorIxExEEDaPvRmT3_T4_T5_mT6_P12ihipStream_tbENKUlT_T0_E_clISt17integral_constantIbLb1EESX_EEDaSS_ST_EUlSS_E0_NS1_11comp_targetILNS1_3genE3ELNS1_11target_archE908ELNS1_3gpuE7ELNS1_3repE0EEENS1_30default_config_static_selectorELNS0_4arch9wavefront6targetE1EEEvT1_
; %bb.0:
	.section	.rodata,"a",@progbits
	.p2align	6, 0x0
	.amdhsa_kernel _ZN7rocprim17ROCPRIM_400000_NS6detail17trampoline_kernelINS0_14default_configENS1_20scan_config_selectorIxEEZZNS1_9scan_implILNS1_25lookback_scan_determinismE0ELb1ELb1ES3_N6thrust23THRUST_200600_302600_NS6detail15normal_iteratorINS9_10device_ptrIxEEEENS9_16discard_iteratorINS9_11use_defaultEEEx11max_functorIxExEEDaPvRmT3_T4_T5_mT6_P12ihipStream_tbENKUlT_T0_E_clISt17integral_constantIbLb1EESX_EEDaSS_ST_EUlSS_E0_NS1_11comp_targetILNS1_3genE3ELNS1_11target_archE908ELNS1_3gpuE7ELNS1_3repE0EEENS1_30default_config_static_selectorELNS0_4arch9wavefront6targetE1EEEvT1_
		.amdhsa_group_segment_fixed_size 0
		.amdhsa_private_segment_fixed_size 0
		.amdhsa_kernarg_size 48
		.amdhsa_user_sgpr_count 6
		.amdhsa_user_sgpr_private_segment_buffer 1
		.amdhsa_user_sgpr_dispatch_ptr 0
		.amdhsa_user_sgpr_queue_ptr 0
		.amdhsa_user_sgpr_kernarg_segment_ptr 1
		.amdhsa_user_sgpr_dispatch_id 0
		.amdhsa_user_sgpr_flat_scratch_init 0
		.amdhsa_user_sgpr_kernarg_preload_length 0
		.amdhsa_user_sgpr_kernarg_preload_offset 0
		.amdhsa_user_sgpr_private_segment_size 0
		.amdhsa_uses_dynamic_stack 0
		.amdhsa_system_sgpr_private_segment_wavefront_offset 0
		.amdhsa_system_sgpr_workgroup_id_x 1
		.amdhsa_system_sgpr_workgroup_id_y 0
		.amdhsa_system_sgpr_workgroup_id_z 0
		.amdhsa_system_sgpr_workgroup_info 0
		.amdhsa_system_vgpr_workitem_id 0
		.amdhsa_next_free_vgpr 1
		.amdhsa_next_free_sgpr 0
		.amdhsa_accum_offset 4
		.amdhsa_reserve_vcc 0
		.amdhsa_reserve_flat_scratch 0
		.amdhsa_float_round_mode_32 0
		.amdhsa_float_round_mode_16_64 0
		.amdhsa_float_denorm_mode_32 3
		.amdhsa_float_denorm_mode_16_64 3
		.amdhsa_dx10_clamp 1
		.amdhsa_ieee_mode 1
		.amdhsa_fp16_overflow 0
		.amdhsa_tg_split 0
		.amdhsa_exception_fp_ieee_invalid_op 0
		.amdhsa_exception_fp_denorm_src 0
		.amdhsa_exception_fp_ieee_div_zero 0
		.amdhsa_exception_fp_ieee_overflow 0
		.amdhsa_exception_fp_ieee_underflow 0
		.amdhsa_exception_fp_ieee_inexact 0
		.amdhsa_exception_int_div_zero 0
	.end_amdhsa_kernel
	.section	.text._ZN7rocprim17ROCPRIM_400000_NS6detail17trampoline_kernelINS0_14default_configENS1_20scan_config_selectorIxEEZZNS1_9scan_implILNS1_25lookback_scan_determinismE0ELb1ELb1ES3_N6thrust23THRUST_200600_302600_NS6detail15normal_iteratorINS9_10device_ptrIxEEEENS9_16discard_iteratorINS9_11use_defaultEEEx11max_functorIxExEEDaPvRmT3_T4_T5_mT6_P12ihipStream_tbENKUlT_T0_E_clISt17integral_constantIbLb1EESX_EEDaSS_ST_EUlSS_E0_NS1_11comp_targetILNS1_3genE3ELNS1_11target_archE908ELNS1_3gpuE7ELNS1_3repE0EEENS1_30default_config_static_selectorELNS0_4arch9wavefront6targetE1EEEvT1_,"axG",@progbits,_ZN7rocprim17ROCPRIM_400000_NS6detail17trampoline_kernelINS0_14default_configENS1_20scan_config_selectorIxEEZZNS1_9scan_implILNS1_25lookback_scan_determinismE0ELb1ELb1ES3_N6thrust23THRUST_200600_302600_NS6detail15normal_iteratorINS9_10device_ptrIxEEEENS9_16discard_iteratorINS9_11use_defaultEEEx11max_functorIxExEEDaPvRmT3_T4_T5_mT6_P12ihipStream_tbENKUlT_T0_E_clISt17integral_constantIbLb1EESX_EEDaSS_ST_EUlSS_E0_NS1_11comp_targetILNS1_3genE3ELNS1_11target_archE908ELNS1_3gpuE7ELNS1_3repE0EEENS1_30default_config_static_selectorELNS0_4arch9wavefront6targetE1EEEvT1_,comdat
.Lfunc_end3812:
	.size	_ZN7rocprim17ROCPRIM_400000_NS6detail17trampoline_kernelINS0_14default_configENS1_20scan_config_selectorIxEEZZNS1_9scan_implILNS1_25lookback_scan_determinismE0ELb1ELb1ES3_N6thrust23THRUST_200600_302600_NS6detail15normal_iteratorINS9_10device_ptrIxEEEENS9_16discard_iteratorINS9_11use_defaultEEEx11max_functorIxExEEDaPvRmT3_T4_T5_mT6_P12ihipStream_tbENKUlT_T0_E_clISt17integral_constantIbLb1EESX_EEDaSS_ST_EUlSS_E0_NS1_11comp_targetILNS1_3genE3ELNS1_11target_archE908ELNS1_3gpuE7ELNS1_3repE0EEENS1_30default_config_static_selectorELNS0_4arch9wavefront6targetE1EEEvT1_, .Lfunc_end3812-_ZN7rocprim17ROCPRIM_400000_NS6detail17trampoline_kernelINS0_14default_configENS1_20scan_config_selectorIxEEZZNS1_9scan_implILNS1_25lookback_scan_determinismE0ELb1ELb1ES3_N6thrust23THRUST_200600_302600_NS6detail15normal_iteratorINS9_10device_ptrIxEEEENS9_16discard_iteratorINS9_11use_defaultEEEx11max_functorIxExEEDaPvRmT3_T4_T5_mT6_P12ihipStream_tbENKUlT_T0_E_clISt17integral_constantIbLb1EESX_EEDaSS_ST_EUlSS_E0_NS1_11comp_targetILNS1_3genE3ELNS1_11target_archE908ELNS1_3gpuE7ELNS1_3repE0EEENS1_30default_config_static_selectorELNS0_4arch9wavefront6targetE1EEEvT1_
                                        ; -- End function
	.section	.AMDGPU.csdata,"",@progbits
; Kernel info:
; codeLenInByte = 0
; NumSgprs: 4
; NumVgprs: 0
; NumAgprs: 0
; TotalNumVgprs: 0
; ScratchSize: 0
; MemoryBound: 0
; FloatMode: 240
; IeeeMode: 1
; LDSByteSize: 0 bytes/workgroup (compile time only)
; SGPRBlocks: 0
; VGPRBlocks: 0
; NumSGPRsForWavesPerEU: 4
; NumVGPRsForWavesPerEU: 1
; AccumOffset: 4
; Occupancy: 8
; WaveLimiterHint : 0
; COMPUTE_PGM_RSRC2:SCRATCH_EN: 0
; COMPUTE_PGM_RSRC2:USER_SGPR: 6
; COMPUTE_PGM_RSRC2:TRAP_HANDLER: 0
; COMPUTE_PGM_RSRC2:TGID_X_EN: 1
; COMPUTE_PGM_RSRC2:TGID_Y_EN: 0
; COMPUTE_PGM_RSRC2:TGID_Z_EN: 0
; COMPUTE_PGM_RSRC2:TIDIG_COMP_CNT: 0
; COMPUTE_PGM_RSRC3_GFX90A:ACCUM_OFFSET: 0
; COMPUTE_PGM_RSRC3_GFX90A:TG_SPLIT: 0
	.section	.text._ZN7rocprim17ROCPRIM_400000_NS6detail17trampoline_kernelINS0_14default_configENS1_20scan_config_selectorIxEEZZNS1_9scan_implILNS1_25lookback_scan_determinismE0ELb1ELb1ES3_N6thrust23THRUST_200600_302600_NS6detail15normal_iteratorINS9_10device_ptrIxEEEENS9_16discard_iteratorINS9_11use_defaultEEEx11max_functorIxExEEDaPvRmT3_T4_T5_mT6_P12ihipStream_tbENKUlT_T0_E_clISt17integral_constantIbLb1EESX_EEDaSS_ST_EUlSS_E0_NS1_11comp_targetILNS1_3genE2ELNS1_11target_archE906ELNS1_3gpuE6ELNS1_3repE0EEENS1_30default_config_static_selectorELNS0_4arch9wavefront6targetE1EEEvT1_,"axG",@progbits,_ZN7rocprim17ROCPRIM_400000_NS6detail17trampoline_kernelINS0_14default_configENS1_20scan_config_selectorIxEEZZNS1_9scan_implILNS1_25lookback_scan_determinismE0ELb1ELb1ES3_N6thrust23THRUST_200600_302600_NS6detail15normal_iteratorINS9_10device_ptrIxEEEENS9_16discard_iteratorINS9_11use_defaultEEEx11max_functorIxExEEDaPvRmT3_T4_T5_mT6_P12ihipStream_tbENKUlT_T0_E_clISt17integral_constantIbLb1EESX_EEDaSS_ST_EUlSS_E0_NS1_11comp_targetILNS1_3genE2ELNS1_11target_archE906ELNS1_3gpuE6ELNS1_3repE0EEENS1_30default_config_static_selectorELNS0_4arch9wavefront6targetE1EEEvT1_,comdat
	.protected	_ZN7rocprim17ROCPRIM_400000_NS6detail17trampoline_kernelINS0_14default_configENS1_20scan_config_selectorIxEEZZNS1_9scan_implILNS1_25lookback_scan_determinismE0ELb1ELb1ES3_N6thrust23THRUST_200600_302600_NS6detail15normal_iteratorINS9_10device_ptrIxEEEENS9_16discard_iteratorINS9_11use_defaultEEEx11max_functorIxExEEDaPvRmT3_T4_T5_mT6_P12ihipStream_tbENKUlT_T0_E_clISt17integral_constantIbLb1EESX_EEDaSS_ST_EUlSS_E0_NS1_11comp_targetILNS1_3genE2ELNS1_11target_archE906ELNS1_3gpuE6ELNS1_3repE0EEENS1_30default_config_static_selectorELNS0_4arch9wavefront6targetE1EEEvT1_ ; -- Begin function _ZN7rocprim17ROCPRIM_400000_NS6detail17trampoline_kernelINS0_14default_configENS1_20scan_config_selectorIxEEZZNS1_9scan_implILNS1_25lookback_scan_determinismE0ELb1ELb1ES3_N6thrust23THRUST_200600_302600_NS6detail15normal_iteratorINS9_10device_ptrIxEEEENS9_16discard_iteratorINS9_11use_defaultEEEx11max_functorIxExEEDaPvRmT3_T4_T5_mT6_P12ihipStream_tbENKUlT_T0_E_clISt17integral_constantIbLb1EESX_EEDaSS_ST_EUlSS_E0_NS1_11comp_targetILNS1_3genE2ELNS1_11target_archE906ELNS1_3gpuE6ELNS1_3repE0EEENS1_30default_config_static_selectorELNS0_4arch9wavefront6targetE1EEEvT1_
	.globl	_ZN7rocprim17ROCPRIM_400000_NS6detail17trampoline_kernelINS0_14default_configENS1_20scan_config_selectorIxEEZZNS1_9scan_implILNS1_25lookback_scan_determinismE0ELb1ELb1ES3_N6thrust23THRUST_200600_302600_NS6detail15normal_iteratorINS9_10device_ptrIxEEEENS9_16discard_iteratorINS9_11use_defaultEEEx11max_functorIxExEEDaPvRmT3_T4_T5_mT6_P12ihipStream_tbENKUlT_T0_E_clISt17integral_constantIbLb1EESX_EEDaSS_ST_EUlSS_E0_NS1_11comp_targetILNS1_3genE2ELNS1_11target_archE906ELNS1_3gpuE6ELNS1_3repE0EEENS1_30default_config_static_selectorELNS0_4arch9wavefront6targetE1EEEvT1_
	.p2align	8
	.type	_ZN7rocprim17ROCPRIM_400000_NS6detail17trampoline_kernelINS0_14default_configENS1_20scan_config_selectorIxEEZZNS1_9scan_implILNS1_25lookback_scan_determinismE0ELb1ELb1ES3_N6thrust23THRUST_200600_302600_NS6detail15normal_iteratorINS9_10device_ptrIxEEEENS9_16discard_iteratorINS9_11use_defaultEEEx11max_functorIxExEEDaPvRmT3_T4_T5_mT6_P12ihipStream_tbENKUlT_T0_E_clISt17integral_constantIbLb1EESX_EEDaSS_ST_EUlSS_E0_NS1_11comp_targetILNS1_3genE2ELNS1_11target_archE906ELNS1_3gpuE6ELNS1_3repE0EEENS1_30default_config_static_selectorELNS0_4arch9wavefront6targetE1EEEvT1_,@function
_ZN7rocprim17ROCPRIM_400000_NS6detail17trampoline_kernelINS0_14default_configENS1_20scan_config_selectorIxEEZZNS1_9scan_implILNS1_25lookback_scan_determinismE0ELb1ELb1ES3_N6thrust23THRUST_200600_302600_NS6detail15normal_iteratorINS9_10device_ptrIxEEEENS9_16discard_iteratorINS9_11use_defaultEEEx11max_functorIxExEEDaPvRmT3_T4_T5_mT6_P12ihipStream_tbENKUlT_T0_E_clISt17integral_constantIbLb1EESX_EEDaSS_ST_EUlSS_E0_NS1_11comp_targetILNS1_3genE2ELNS1_11target_archE906ELNS1_3gpuE6ELNS1_3repE0EEENS1_30default_config_static_selectorELNS0_4arch9wavefront6targetE1EEEvT1_: ; @_ZN7rocprim17ROCPRIM_400000_NS6detail17trampoline_kernelINS0_14default_configENS1_20scan_config_selectorIxEEZZNS1_9scan_implILNS1_25lookback_scan_determinismE0ELb1ELb1ES3_N6thrust23THRUST_200600_302600_NS6detail15normal_iteratorINS9_10device_ptrIxEEEENS9_16discard_iteratorINS9_11use_defaultEEEx11max_functorIxExEEDaPvRmT3_T4_T5_mT6_P12ihipStream_tbENKUlT_T0_E_clISt17integral_constantIbLb1EESX_EEDaSS_ST_EUlSS_E0_NS1_11comp_targetILNS1_3genE2ELNS1_11target_archE906ELNS1_3gpuE6ELNS1_3repE0EEENS1_30default_config_static_selectorELNS0_4arch9wavefront6targetE1EEEvT1_
; %bb.0:
	.section	.rodata,"a",@progbits
	.p2align	6, 0x0
	.amdhsa_kernel _ZN7rocprim17ROCPRIM_400000_NS6detail17trampoline_kernelINS0_14default_configENS1_20scan_config_selectorIxEEZZNS1_9scan_implILNS1_25lookback_scan_determinismE0ELb1ELb1ES3_N6thrust23THRUST_200600_302600_NS6detail15normal_iteratorINS9_10device_ptrIxEEEENS9_16discard_iteratorINS9_11use_defaultEEEx11max_functorIxExEEDaPvRmT3_T4_T5_mT6_P12ihipStream_tbENKUlT_T0_E_clISt17integral_constantIbLb1EESX_EEDaSS_ST_EUlSS_E0_NS1_11comp_targetILNS1_3genE2ELNS1_11target_archE906ELNS1_3gpuE6ELNS1_3repE0EEENS1_30default_config_static_selectorELNS0_4arch9wavefront6targetE1EEEvT1_
		.amdhsa_group_segment_fixed_size 0
		.amdhsa_private_segment_fixed_size 0
		.amdhsa_kernarg_size 48
		.amdhsa_user_sgpr_count 6
		.amdhsa_user_sgpr_private_segment_buffer 1
		.amdhsa_user_sgpr_dispatch_ptr 0
		.amdhsa_user_sgpr_queue_ptr 0
		.amdhsa_user_sgpr_kernarg_segment_ptr 1
		.amdhsa_user_sgpr_dispatch_id 0
		.amdhsa_user_sgpr_flat_scratch_init 0
		.amdhsa_user_sgpr_kernarg_preload_length 0
		.amdhsa_user_sgpr_kernarg_preload_offset 0
		.amdhsa_user_sgpr_private_segment_size 0
		.amdhsa_uses_dynamic_stack 0
		.amdhsa_system_sgpr_private_segment_wavefront_offset 0
		.amdhsa_system_sgpr_workgroup_id_x 1
		.amdhsa_system_sgpr_workgroup_id_y 0
		.amdhsa_system_sgpr_workgroup_id_z 0
		.amdhsa_system_sgpr_workgroup_info 0
		.amdhsa_system_vgpr_workitem_id 0
		.amdhsa_next_free_vgpr 1
		.amdhsa_next_free_sgpr 0
		.amdhsa_accum_offset 4
		.amdhsa_reserve_vcc 0
		.amdhsa_reserve_flat_scratch 0
		.amdhsa_float_round_mode_32 0
		.amdhsa_float_round_mode_16_64 0
		.amdhsa_float_denorm_mode_32 3
		.amdhsa_float_denorm_mode_16_64 3
		.amdhsa_dx10_clamp 1
		.amdhsa_ieee_mode 1
		.amdhsa_fp16_overflow 0
		.amdhsa_tg_split 0
		.amdhsa_exception_fp_ieee_invalid_op 0
		.amdhsa_exception_fp_denorm_src 0
		.amdhsa_exception_fp_ieee_div_zero 0
		.amdhsa_exception_fp_ieee_overflow 0
		.amdhsa_exception_fp_ieee_underflow 0
		.amdhsa_exception_fp_ieee_inexact 0
		.amdhsa_exception_int_div_zero 0
	.end_amdhsa_kernel
	.section	.text._ZN7rocprim17ROCPRIM_400000_NS6detail17trampoline_kernelINS0_14default_configENS1_20scan_config_selectorIxEEZZNS1_9scan_implILNS1_25lookback_scan_determinismE0ELb1ELb1ES3_N6thrust23THRUST_200600_302600_NS6detail15normal_iteratorINS9_10device_ptrIxEEEENS9_16discard_iteratorINS9_11use_defaultEEEx11max_functorIxExEEDaPvRmT3_T4_T5_mT6_P12ihipStream_tbENKUlT_T0_E_clISt17integral_constantIbLb1EESX_EEDaSS_ST_EUlSS_E0_NS1_11comp_targetILNS1_3genE2ELNS1_11target_archE906ELNS1_3gpuE6ELNS1_3repE0EEENS1_30default_config_static_selectorELNS0_4arch9wavefront6targetE1EEEvT1_,"axG",@progbits,_ZN7rocprim17ROCPRIM_400000_NS6detail17trampoline_kernelINS0_14default_configENS1_20scan_config_selectorIxEEZZNS1_9scan_implILNS1_25lookback_scan_determinismE0ELb1ELb1ES3_N6thrust23THRUST_200600_302600_NS6detail15normal_iteratorINS9_10device_ptrIxEEEENS9_16discard_iteratorINS9_11use_defaultEEEx11max_functorIxExEEDaPvRmT3_T4_T5_mT6_P12ihipStream_tbENKUlT_T0_E_clISt17integral_constantIbLb1EESX_EEDaSS_ST_EUlSS_E0_NS1_11comp_targetILNS1_3genE2ELNS1_11target_archE906ELNS1_3gpuE6ELNS1_3repE0EEENS1_30default_config_static_selectorELNS0_4arch9wavefront6targetE1EEEvT1_,comdat
.Lfunc_end3813:
	.size	_ZN7rocprim17ROCPRIM_400000_NS6detail17trampoline_kernelINS0_14default_configENS1_20scan_config_selectorIxEEZZNS1_9scan_implILNS1_25lookback_scan_determinismE0ELb1ELb1ES3_N6thrust23THRUST_200600_302600_NS6detail15normal_iteratorINS9_10device_ptrIxEEEENS9_16discard_iteratorINS9_11use_defaultEEEx11max_functorIxExEEDaPvRmT3_T4_T5_mT6_P12ihipStream_tbENKUlT_T0_E_clISt17integral_constantIbLb1EESX_EEDaSS_ST_EUlSS_E0_NS1_11comp_targetILNS1_3genE2ELNS1_11target_archE906ELNS1_3gpuE6ELNS1_3repE0EEENS1_30default_config_static_selectorELNS0_4arch9wavefront6targetE1EEEvT1_, .Lfunc_end3813-_ZN7rocprim17ROCPRIM_400000_NS6detail17trampoline_kernelINS0_14default_configENS1_20scan_config_selectorIxEEZZNS1_9scan_implILNS1_25lookback_scan_determinismE0ELb1ELb1ES3_N6thrust23THRUST_200600_302600_NS6detail15normal_iteratorINS9_10device_ptrIxEEEENS9_16discard_iteratorINS9_11use_defaultEEEx11max_functorIxExEEDaPvRmT3_T4_T5_mT6_P12ihipStream_tbENKUlT_T0_E_clISt17integral_constantIbLb1EESX_EEDaSS_ST_EUlSS_E0_NS1_11comp_targetILNS1_3genE2ELNS1_11target_archE906ELNS1_3gpuE6ELNS1_3repE0EEENS1_30default_config_static_selectorELNS0_4arch9wavefront6targetE1EEEvT1_
                                        ; -- End function
	.section	.AMDGPU.csdata,"",@progbits
; Kernel info:
; codeLenInByte = 0
; NumSgprs: 4
; NumVgprs: 0
; NumAgprs: 0
; TotalNumVgprs: 0
; ScratchSize: 0
; MemoryBound: 0
; FloatMode: 240
; IeeeMode: 1
; LDSByteSize: 0 bytes/workgroup (compile time only)
; SGPRBlocks: 0
; VGPRBlocks: 0
; NumSGPRsForWavesPerEU: 4
; NumVGPRsForWavesPerEU: 1
; AccumOffset: 4
; Occupancy: 8
; WaveLimiterHint : 0
; COMPUTE_PGM_RSRC2:SCRATCH_EN: 0
; COMPUTE_PGM_RSRC2:USER_SGPR: 6
; COMPUTE_PGM_RSRC2:TRAP_HANDLER: 0
; COMPUTE_PGM_RSRC2:TGID_X_EN: 1
; COMPUTE_PGM_RSRC2:TGID_Y_EN: 0
; COMPUTE_PGM_RSRC2:TGID_Z_EN: 0
; COMPUTE_PGM_RSRC2:TIDIG_COMP_CNT: 0
; COMPUTE_PGM_RSRC3_GFX90A:ACCUM_OFFSET: 0
; COMPUTE_PGM_RSRC3_GFX90A:TG_SPLIT: 0
	.section	.text._ZN7rocprim17ROCPRIM_400000_NS6detail17trampoline_kernelINS0_14default_configENS1_20scan_config_selectorIxEEZZNS1_9scan_implILNS1_25lookback_scan_determinismE0ELb1ELb1ES3_N6thrust23THRUST_200600_302600_NS6detail15normal_iteratorINS9_10device_ptrIxEEEENS9_16discard_iteratorINS9_11use_defaultEEEx11max_functorIxExEEDaPvRmT3_T4_T5_mT6_P12ihipStream_tbENKUlT_T0_E_clISt17integral_constantIbLb1EESX_EEDaSS_ST_EUlSS_E0_NS1_11comp_targetILNS1_3genE10ELNS1_11target_archE1201ELNS1_3gpuE5ELNS1_3repE0EEENS1_30default_config_static_selectorELNS0_4arch9wavefront6targetE1EEEvT1_,"axG",@progbits,_ZN7rocprim17ROCPRIM_400000_NS6detail17trampoline_kernelINS0_14default_configENS1_20scan_config_selectorIxEEZZNS1_9scan_implILNS1_25lookback_scan_determinismE0ELb1ELb1ES3_N6thrust23THRUST_200600_302600_NS6detail15normal_iteratorINS9_10device_ptrIxEEEENS9_16discard_iteratorINS9_11use_defaultEEEx11max_functorIxExEEDaPvRmT3_T4_T5_mT6_P12ihipStream_tbENKUlT_T0_E_clISt17integral_constantIbLb1EESX_EEDaSS_ST_EUlSS_E0_NS1_11comp_targetILNS1_3genE10ELNS1_11target_archE1201ELNS1_3gpuE5ELNS1_3repE0EEENS1_30default_config_static_selectorELNS0_4arch9wavefront6targetE1EEEvT1_,comdat
	.protected	_ZN7rocprim17ROCPRIM_400000_NS6detail17trampoline_kernelINS0_14default_configENS1_20scan_config_selectorIxEEZZNS1_9scan_implILNS1_25lookback_scan_determinismE0ELb1ELb1ES3_N6thrust23THRUST_200600_302600_NS6detail15normal_iteratorINS9_10device_ptrIxEEEENS9_16discard_iteratorINS9_11use_defaultEEEx11max_functorIxExEEDaPvRmT3_T4_T5_mT6_P12ihipStream_tbENKUlT_T0_E_clISt17integral_constantIbLb1EESX_EEDaSS_ST_EUlSS_E0_NS1_11comp_targetILNS1_3genE10ELNS1_11target_archE1201ELNS1_3gpuE5ELNS1_3repE0EEENS1_30default_config_static_selectorELNS0_4arch9wavefront6targetE1EEEvT1_ ; -- Begin function _ZN7rocprim17ROCPRIM_400000_NS6detail17trampoline_kernelINS0_14default_configENS1_20scan_config_selectorIxEEZZNS1_9scan_implILNS1_25lookback_scan_determinismE0ELb1ELb1ES3_N6thrust23THRUST_200600_302600_NS6detail15normal_iteratorINS9_10device_ptrIxEEEENS9_16discard_iteratorINS9_11use_defaultEEEx11max_functorIxExEEDaPvRmT3_T4_T5_mT6_P12ihipStream_tbENKUlT_T0_E_clISt17integral_constantIbLb1EESX_EEDaSS_ST_EUlSS_E0_NS1_11comp_targetILNS1_3genE10ELNS1_11target_archE1201ELNS1_3gpuE5ELNS1_3repE0EEENS1_30default_config_static_selectorELNS0_4arch9wavefront6targetE1EEEvT1_
	.globl	_ZN7rocprim17ROCPRIM_400000_NS6detail17trampoline_kernelINS0_14default_configENS1_20scan_config_selectorIxEEZZNS1_9scan_implILNS1_25lookback_scan_determinismE0ELb1ELb1ES3_N6thrust23THRUST_200600_302600_NS6detail15normal_iteratorINS9_10device_ptrIxEEEENS9_16discard_iteratorINS9_11use_defaultEEEx11max_functorIxExEEDaPvRmT3_T4_T5_mT6_P12ihipStream_tbENKUlT_T0_E_clISt17integral_constantIbLb1EESX_EEDaSS_ST_EUlSS_E0_NS1_11comp_targetILNS1_3genE10ELNS1_11target_archE1201ELNS1_3gpuE5ELNS1_3repE0EEENS1_30default_config_static_selectorELNS0_4arch9wavefront6targetE1EEEvT1_
	.p2align	8
	.type	_ZN7rocprim17ROCPRIM_400000_NS6detail17trampoline_kernelINS0_14default_configENS1_20scan_config_selectorIxEEZZNS1_9scan_implILNS1_25lookback_scan_determinismE0ELb1ELb1ES3_N6thrust23THRUST_200600_302600_NS6detail15normal_iteratorINS9_10device_ptrIxEEEENS9_16discard_iteratorINS9_11use_defaultEEEx11max_functorIxExEEDaPvRmT3_T4_T5_mT6_P12ihipStream_tbENKUlT_T0_E_clISt17integral_constantIbLb1EESX_EEDaSS_ST_EUlSS_E0_NS1_11comp_targetILNS1_3genE10ELNS1_11target_archE1201ELNS1_3gpuE5ELNS1_3repE0EEENS1_30default_config_static_selectorELNS0_4arch9wavefront6targetE1EEEvT1_,@function
_ZN7rocprim17ROCPRIM_400000_NS6detail17trampoline_kernelINS0_14default_configENS1_20scan_config_selectorIxEEZZNS1_9scan_implILNS1_25lookback_scan_determinismE0ELb1ELb1ES3_N6thrust23THRUST_200600_302600_NS6detail15normal_iteratorINS9_10device_ptrIxEEEENS9_16discard_iteratorINS9_11use_defaultEEEx11max_functorIxExEEDaPvRmT3_T4_T5_mT6_P12ihipStream_tbENKUlT_T0_E_clISt17integral_constantIbLb1EESX_EEDaSS_ST_EUlSS_E0_NS1_11comp_targetILNS1_3genE10ELNS1_11target_archE1201ELNS1_3gpuE5ELNS1_3repE0EEENS1_30default_config_static_selectorELNS0_4arch9wavefront6targetE1EEEvT1_: ; @_ZN7rocprim17ROCPRIM_400000_NS6detail17trampoline_kernelINS0_14default_configENS1_20scan_config_selectorIxEEZZNS1_9scan_implILNS1_25lookback_scan_determinismE0ELb1ELb1ES3_N6thrust23THRUST_200600_302600_NS6detail15normal_iteratorINS9_10device_ptrIxEEEENS9_16discard_iteratorINS9_11use_defaultEEEx11max_functorIxExEEDaPvRmT3_T4_T5_mT6_P12ihipStream_tbENKUlT_T0_E_clISt17integral_constantIbLb1EESX_EEDaSS_ST_EUlSS_E0_NS1_11comp_targetILNS1_3genE10ELNS1_11target_archE1201ELNS1_3gpuE5ELNS1_3repE0EEENS1_30default_config_static_selectorELNS0_4arch9wavefront6targetE1EEEvT1_
; %bb.0:
	.section	.rodata,"a",@progbits
	.p2align	6, 0x0
	.amdhsa_kernel _ZN7rocprim17ROCPRIM_400000_NS6detail17trampoline_kernelINS0_14default_configENS1_20scan_config_selectorIxEEZZNS1_9scan_implILNS1_25lookback_scan_determinismE0ELb1ELb1ES3_N6thrust23THRUST_200600_302600_NS6detail15normal_iteratorINS9_10device_ptrIxEEEENS9_16discard_iteratorINS9_11use_defaultEEEx11max_functorIxExEEDaPvRmT3_T4_T5_mT6_P12ihipStream_tbENKUlT_T0_E_clISt17integral_constantIbLb1EESX_EEDaSS_ST_EUlSS_E0_NS1_11comp_targetILNS1_3genE10ELNS1_11target_archE1201ELNS1_3gpuE5ELNS1_3repE0EEENS1_30default_config_static_selectorELNS0_4arch9wavefront6targetE1EEEvT1_
		.amdhsa_group_segment_fixed_size 0
		.amdhsa_private_segment_fixed_size 0
		.amdhsa_kernarg_size 48
		.amdhsa_user_sgpr_count 6
		.amdhsa_user_sgpr_private_segment_buffer 1
		.amdhsa_user_sgpr_dispatch_ptr 0
		.amdhsa_user_sgpr_queue_ptr 0
		.amdhsa_user_sgpr_kernarg_segment_ptr 1
		.amdhsa_user_sgpr_dispatch_id 0
		.amdhsa_user_sgpr_flat_scratch_init 0
		.amdhsa_user_sgpr_kernarg_preload_length 0
		.amdhsa_user_sgpr_kernarg_preload_offset 0
		.amdhsa_user_sgpr_private_segment_size 0
		.amdhsa_uses_dynamic_stack 0
		.amdhsa_system_sgpr_private_segment_wavefront_offset 0
		.amdhsa_system_sgpr_workgroup_id_x 1
		.amdhsa_system_sgpr_workgroup_id_y 0
		.amdhsa_system_sgpr_workgroup_id_z 0
		.amdhsa_system_sgpr_workgroup_info 0
		.amdhsa_system_vgpr_workitem_id 0
		.amdhsa_next_free_vgpr 1
		.amdhsa_next_free_sgpr 0
		.amdhsa_accum_offset 4
		.amdhsa_reserve_vcc 0
		.amdhsa_reserve_flat_scratch 0
		.amdhsa_float_round_mode_32 0
		.amdhsa_float_round_mode_16_64 0
		.amdhsa_float_denorm_mode_32 3
		.amdhsa_float_denorm_mode_16_64 3
		.amdhsa_dx10_clamp 1
		.amdhsa_ieee_mode 1
		.amdhsa_fp16_overflow 0
		.amdhsa_tg_split 0
		.amdhsa_exception_fp_ieee_invalid_op 0
		.amdhsa_exception_fp_denorm_src 0
		.amdhsa_exception_fp_ieee_div_zero 0
		.amdhsa_exception_fp_ieee_overflow 0
		.amdhsa_exception_fp_ieee_underflow 0
		.amdhsa_exception_fp_ieee_inexact 0
		.amdhsa_exception_int_div_zero 0
	.end_amdhsa_kernel
	.section	.text._ZN7rocprim17ROCPRIM_400000_NS6detail17trampoline_kernelINS0_14default_configENS1_20scan_config_selectorIxEEZZNS1_9scan_implILNS1_25lookback_scan_determinismE0ELb1ELb1ES3_N6thrust23THRUST_200600_302600_NS6detail15normal_iteratorINS9_10device_ptrIxEEEENS9_16discard_iteratorINS9_11use_defaultEEEx11max_functorIxExEEDaPvRmT3_T4_T5_mT6_P12ihipStream_tbENKUlT_T0_E_clISt17integral_constantIbLb1EESX_EEDaSS_ST_EUlSS_E0_NS1_11comp_targetILNS1_3genE10ELNS1_11target_archE1201ELNS1_3gpuE5ELNS1_3repE0EEENS1_30default_config_static_selectorELNS0_4arch9wavefront6targetE1EEEvT1_,"axG",@progbits,_ZN7rocprim17ROCPRIM_400000_NS6detail17trampoline_kernelINS0_14default_configENS1_20scan_config_selectorIxEEZZNS1_9scan_implILNS1_25lookback_scan_determinismE0ELb1ELb1ES3_N6thrust23THRUST_200600_302600_NS6detail15normal_iteratorINS9_10device_ptrIxEEEENS9_16discard_iteratorINS9_11use_defaultEEEx11max_functorIxExEEDaPvRmT3_T4_T5_mT6_P12ihipStream_tbENKUlT_T0_E_clISt17integral_constantIbLb1EESX_EEDaSS_ST_EUlSS_E0_NS1_11comp_targetILNS1_3genE10ELNS1_11target_archE1201ELNS1_3gpuE5ELNS1_3repE0EEENS1_30default_config_static_selectorELNS0_4arch9wavefront6targetE1EEEvT1_,comdat
.Lfunc_end3814:
	.size	_ZN7rocprim17ROCPRIM_400000_NS6detail17trampoline_kernelINS0_14default_configENS1_20scan_config_selectorIxEEZZNS1_9scan_implILNS1_25lookback_scan_determinismE0ELb1ELb1ES3_N6thrust23THRUST_200600_302600_NS6detail15normal_iteratorINS9_10device_ptrIxEEEENS9_16discard_iteratorINS9_11use_defaultEEEx11max_functorIxExEEDaPvRmT3_T4_T5_mT6_P12ihipStream_tbENKUlT_T0_E_clISt17integral_constantIbLb1EESX_EEDaSS_ST_EUlSS_E0_NS1_11comp_targetILNS1_3genE10ELNS1_11target_archE1201ELNS1_3gpuE5ELNS1_3repE0EEENS1_30default_config_static_selectorELNS0_4arch9wavefront6targetE1EEEvT1_, .Lfunc_end3814-_ZN7rocprim17ROCPRIM_400000_NS6detail17trampoline_kernelINS0_14default_configENS1_20scan_config_selectorIxEEZZNS1_9scan_implILNS1_25lookback_scan_determinismE0ELb1ELb1ES3_N6thrust23THRUST_200600_302600_NS6detail15normal_iteratorINS9_10device_ptrIxEEEENS9_16discard_iteratorINS9_11use_defaultEEEx11max_functorIxExEEDaPvRmT3_T4_T5_mT6_P12ihipStream_tbENKUlT_T0_E_clISt17integral_constantIbLb1EESX_EEDaSS_ST_EUlSS_E0_NS1_11comp_targetILNS1_3genE10ELNS1_11target_archE1201ELNS1_3gpuE5ELNS1_3repE0EEENS1_30default_config_static_selectorELNS0_4arch9wavefront6targetE1EEEvT1_
                                        ; -- End function
	.section	.AMDGPU.csdata,"",@progbits
; Kernel info:
; codeLenInByte = 0
; NumSgprs: 4
; NumVgprs: 0
; NumAgprs: 0
; TotalNumVgprs: 0
; ScratchSize: 0
; MemoryBound: 0
; FloatMode: 240
; IeeeMode: 1
; LDSByteSize: 0 bytes/workgroup (compile time only)
; SGPRBlocks: 0
; VGPRBlocks: 0
; NumSGPRsForWavesPerEU: 4
; NumVGPRsForWavesPerEU: 1
; AccumOffset: 4
; Occupancy: 8
; WaveLimiterHint : 0
; COMPUTE_PGM_RSRC2:SCRATCH_EN: 0
; COMPUTE_PGM_RSRC2:USER_SGPR: 6
; COMPUTE_PGM_RSRC2:TRAP_HANDLER: 0
; COMPUTE_PGM_RSRC2:TGID_X_EN: 1
; COMPUTE_PGM_RSRC2:TGID_Y_EN: 0
; COMPUTE_PGM_RSRC2:TGID_Z_EN: 0
; COMPUTE_PGM_RSRC2:TIDIG_COMP_CNT: 0
; COMPUTE_PGM_RSRC3_GFX90A:ACCUM_OFFSET: 0
; COMPUTE_PGM_RSRC3_GFX90A:TG_SPLIT: 0
	.section	.text._ZN7rocprim17ROCPRIM_400000_NS6detail17trampoline_kernelINS0_14default_configENS1_20scan_config_selectorIxEEZZNS1_9scan_implILNS1_25lookback_scan_determinismE0ELb1ELb1ES3_N6thrust23THRUST_200600_302600_NS6detail15normal_iteratorINS9_10device_ptrIxEEEENS9_16discard_iteratorINS9_11use_defaultEEEx11max_functorIxExEEDaPvRmT3_T4_T5_mT6_P12ihipStream_tbENKUlT_T0_E_clISt17integral_constantIbLb1EESX_EEDaSS_ST_EUlSS_E0_NS1_11comp_targetILNS1_3genE10ELNS1_11target_archE1200ELNS1_3gpuE4ELNS1_3repE0EEENS1_30default_config_static_selectorELNS0_4arch9wavefront6targetE1EEEvT1_,"axG",@progbits,_ZN7rocprim17ROCPRIM_400000_NS6detail17trampoline_kernelINS0_14default_configENS1_20scan_config_selectorIxEEZZNS1_9scan_implILNS1_25lookback_scan_determinismE0ELb1ELb1ES3_N6thrust23THRUST_200600_302600_NS6detail15normal_iteratorINS9_10device_ptrIxEEEENS9_16discard_iteratorINS9_11use_defaultEEEx11max_functorIxExEEDaPvRmT3_T4_T5_mT6_P12ihipStream_tbENKUlT_T0_E_clISt17integral_constantIbLb1EESX_EEDaSS_ST_EUlSS_E0_NS1_11comp_targetILNS1_3genE10ELNS1_11target_archE1200ELNS1_3gpuE4ELNS1_3repE0EEENS1_30default_config_static_selectorELNS0_4arch9wavefront6targetE1EEEvT1_,comdat
	.protected	_ZN7rocprim17ROCPRIM_400000_NS6detail17trampoline_kernelINS0_14default_configENS1_20scan_config_selectorIxEEZZNS1_9scan_implILNS1_25lookback_scan_determinismE0ELb1ELb1ES3_N6thrust23THRUST_200600_302600_NS6detail15normal_iteratorINS9_10device_ptrIxEEEENS9_16discard_iteratorINS9_11use_defaultEEEx11max_functorIxExEEDaPvRmT3_T4_T5_mT6_P12ihipStream_tbENKUlT_T0_E_clISt17integral_constantIbLb1EESX_EEDaSS_ST_EUlSS_E0_NS1_11comp_targetILNS1_3genE10ELNS1_11target_archE1200ELNS1_3gpuE4ELNS1_3repE0EEENS1_30default_config_static_selectorELNS0_4arch9wavefront6targetE1EEEvT1_ ; -- Begin function _ZN7rocprim17ROCPRIM_400000_NS6detail17trampoline_kernelINS0_14default_configENS1_20scan_config_selectorIxEEZZNS1_9scan_implILNS1_25lookback_scan_determinismE0ELb1ELb1ES3_N6thrust23THRUST_200600_302600_NS6detail15normal_iteratorINS9_10device_ptrIxEEEENS9_16discard_iteratorINS9_11use_defaultEEEx11max_functorIxExEEDaPvRmT3_T4_T5_mT6_P12ihipStream_tbENKUlT_T0_E_clISt17integral_constantIbLb1EESX_EEDaSS_ST_EUlSS_E0_NS1_11comp_targetILNS1_3genE10ELNS1_11target_archE1200ELNS1_3gpuE4ELNS1_3repE0EEENS1_30default_config_static_selectorELNS0_4arch9wavefront6targetE1EEEvT1_
	.globl	_ZN7rocprim17ROCPRIM_400000_NS6detail17trampoline_kernelINS0_14default_configENS1_20scan_config_selectorIxEEZZNS1_9scan_implILNS1_25lookback_scan_determinismE0ELb1ELb1ES3_N6thrust23THRUST_200600_302600_NS6detail15normal_iteratorINS9_10device_ptrIxEEEENS9_16discard_iteratorINS9_11use_defaultEEEx11max_functorIxExEEDaPvRmT3_T4_T5_mT6_P12ihipStream_tbENKUlT_T0_E_clISt17integral_constantIbLb1EESX_EEDaSS_ST_EUlSS_E0_NS1_11comp_targetILNS1_3genE10ELNS1_11target_archE1200ELNS1_3gpuE4ELNS1_3repE0EEENS1_30default_config_static_selectorELNS0_4arch9wavefront6targetE1EEEvT1_
	.p2align	8
	.type	_ZN7rocprim17ROCPRIM_400000_NS6detail17trampoline_kernelINS0_14default_configENS1_20scan_config_selectorIxEEZZNS1_9scan_implILNS1_25lookback_scan_determinismE0ELb1ELb1ES3_N6thrust23THRUST_200600_302600_NS6detail15normal_iteratorINS9_10device_ptrIxEEEENS9_16discard_iteratorINS9_11use_defaultEEEx11max_functorIxExEEDaPvRmT3_T4_T5_mT6_P12ihipStream_tbENKUlT_T0_E_clISt17integral_constantIbLb1EESX_EEDaSS_ST_EUlSS_E0_NS1_11comp_targetILNS1_3genE10ELNS1_11target_archE1200ELNS1_3gpuE4ELNS1_3repE0EEENS1_30default_config_static_selectorELNS0_4arch9wavefront6targetE1EEEvT1_,@function
_ZN7rocprim17ROCPRIM_400000_NS6detail17trampoline_kernelINS0_14default_configENS1_20scan_config_selectorIxEEZZNS1_9scan_implILNS1_25lookback_scan_determinismE0ELb1ELb1ES3_N6thrust23THRUST_200600_302600_NS6detail15normal_iteratorINS9_10device_ptrIxEEEENS9_16discard_iteratorINS9_11use_defaultEEEx11max_functorIxExEEDaPvRmT3_T4_T5_mT6_P12ihipStream_tbENKUlT_T0_E_clISt17integral_constantIbLb1EESX_EEDaSS_ST_EUlSS_E0_NS1_11comp_targetILNS1_3genE10ELNS1_11target_archE1200ELNS1_3gpuE4ELNS1_3repE0EEENS1_30default_config_static_selectorELNS0_4arch9wavefront6targetE1EEEvT1_: ; @_ZN7rocprim17ROCPRIM_400000_NS6detail17trampoline_kernelINS0_14default_configENS1_20scan_config_selectorIxEEZZNS1_9scan_implILNS1_25lookback_scan_determinismE0ELb1ELb1ES3_N6thrust23THRUST_200600_302600_NS6detail15normal_iteratorINS9_10device_ptrIxEEEENS9_16discard_iteratorINS9_11use_defaultEEEx11max_functorIxExEEDaPvRmT3_T4_T5_mT6_P12ihipStream_tbENKUlT_T0_E_clISt17integral_constantIbLb1EESX_EEDaSS_ST_EUlSS_E0_NS1_11comp_targetILNS1_3genE10ELNS1_11target_archE1200ELNS1_3gpuE4ELNS1_3repE0EEENS1_30default_config_static_selectorELNS0_4arch9wavefront6targetE1EEEvT1_
; %bb.0:
	.section	.rodata,"a",@progbits
	.p2align	6, 0x0
	.amdhsa_kernel _ZN7rocprim17ROCPRIM_400000_NS6detail17trampoline_kernelINS0_14default_configENS1_20scan_config_selectorIxEEZZNS1_9scan_implILNS1_25lookback_scan_determinismE0ELb1ELb1ES3_N6thrust23THRUST_200600_302600_NS6detail15normal_iteratorINS9_10device_ptrIxEEEENS9_16discard_iteratorINS9_11use_defaultEEEx11max_functorIxExEEDaPvRmT3_T4_T5_mT6_P12ihipStream_tbENKUlT_T0_E_clISt17integral_constantIbLb1EESX_EEDaSS_ST_EUlSS_E0_NS1_11comp_targetILNS1_3genE10ELNS1_11target_archE1200ELNS1_3gpuE4ELNS1_3repE0EEENS1_30default_config_static_selectorELNS0_4arch9wavefront6targetE1EEEvT1_
		.amdhsa_group_segment_fixed_size 0
		.amdhsa_private_segment_fixed_size 0
		.amdhsa_kernarg_size 48
		.amdhsa_user_sgpr_count 6
		.amdhsa_user_sgpr_private_segment_buffer 1
		.amdhsa_user_sgpr_dispatch_ptr 0
		.amdhsa_user_sgpr_queue_ptr 0
		.amdhsa_user_sgpr_kernarg_segment_ptr 1
		.amdhsa_user_sgpr_dispatch_id 0
		.amdhsa_user_sgpr_flat_scratch_init 0
		.amdhsa_user_sgpr_kernarg_preload_length 0
		.amdhsa_user_sgpr_kernarg_preload_offset 0
		.amdhsa_user_sgpr_private_segment_size 0
		.amdhsa_uses_dynamic_stack 0
		.amdhsa_system_sgpr_private_segment_wavefront_offset 0
		.amdhsa_system_sgpr_workgroup_id_x 1
		.amdhsa_system_sgpr_workgroup_id_y 0
		.amdhsa_system_sgpr_workgroup_id_z 0
		.amdhsa_system_sgpr_workgroup_info 0
		.amdhsa_system_vgpr_workitem_id 0
		.amdhsa_next_free_vgpr 1
		.amdhsa_next_free_sgpr 0
		.amdhsa_accum_offset 4
		.amdhsa_reserve_vcc 0
		.amdhsa_reserve_flat_scratch 0
		.amdhsa_float_round_mode_32 0
		.amdhsa_float_round_mode_16_64 0
		.amdhsa_float_denorm_mode_32 3
		.amdhsa_float_denorm_mode_16_64 3
		.amdhsa_dx10_clamp 1
		.amdhsa_ieee_mode 1
		.amdhsa_fp16_overflow 0
		.amdhsa_tg_split 0
		.amdhsa_exception_fp_ieee_invalid_op 0
		.amdhsa_exception_fp_denorm_src 0
		.amdhsa_exception_fp_ieee_div_zero 0
		.amdhsa_exception_fp_ieee_overflow 0
		.amdhsa_exception_fp_ieee_underflow 0
		.amdhsa_exception_fp_ieee_inexact 0
		.amdhsa_exception_int_div_zero 0
	.end_amdhsa_kernel
	.section	.text._ZN7rocprim17ROCPRIM_400000_NS6detail17trampoline_kernelINS0_14default_configENS1_20scan_config_selectorIxEEZZNS1_9scan_implILNS1_25lookback_scan_determinismE0ELb1ELb1ES3_N6thrust23THRUST_200600_302600_NS6detail15normal_iteratorINS9_10device_ptrIxEEEENS9_16discard_iteratorINS9_11use_defaultEEEx11max_functorIxExEEDaPvRmT3_T4_T5_mT6_P12ihipStream_tbENKUlT_T0_E_clISt17integral_constantIbLb1EESX_EEDaSS_ST_EUlSS_E0_NS1_11comp_targetILNS1_3genE10ELNS1_11target_archE1200ELNS1_3gpuE4ELNS1_3repE0EEENS1_30default_config_static_selectorELNS0_4arch9wavefront6targetE1EEEvT1_,"axG",@progbits,_ZN7rocprim17ROCPRIM_400000_NS6detail17trampoline_kernelINS0_14default_configENS1_20scan_config_selectorIxEEZZNS1_9scan_implILNS1_25lookback_scan_determinismE0ELb1ELb1ES3_N6thrust23THRUST_200600_302600_NS6detail15normal_iteratorINS9_10device_ptrIxEEEENS9_16discard_iteratorINS9_11use_defaultEEEx11max_functorIxExEEDaPvRmT3_T4_T5_mT6_P12ihipStream_tbENKUlT_T0_E_clISt17integral_constantIbLb1EESX_EEDaSS_ST_EUlSS_E0_NS1_11comp_targetILNS1_3genE10ELNS1_11target_archE1200ELNS1_3gpuE4ELNS1_3repE0EEENS1_30default_config_static_selectorELNS0_4arch9wavefront6targetE1EEEvT1_,comdat
.Lfunc_end3815:
	.size	_ZN7rocprim17ROCPRIM_400000_NS6detail17trampoline_kernelINS0_14default_configENS1_20scan_config_selectorIxEEZZNS1_9scan_implILNS1_25lookback_scan_determinismE0ELb1ELb1ES3_N6thrust23THRUST_200600_302600_NS6detail15normal_iteratorINS9_10device_ptrIxEEEENS9_16discard_iteratorINS9_11use_defaultEEEx11max_functorIxExEEDaPvRmT3_T4_T5_mT6_P12ihipStream_tbENKUlT_T0_E_clISt17integral_constantIbLb1EESX_EEDaSS_ST_EUlSS_E0_NS1_11comp_targetILNS1_3genE10ELNS1_11target_archE1200ELNS1_3gpuE4ELNS1_3repE0EEENS1_30default_config_static_selectorELNS0_4arch9wavefront6targetE1EEEvT1_, .Lfunc_end3815-_ZN7rocprim17ROCPRIM_400000_NS6detail17trampoline_kernelINS0_14default_configENS1_20scan_config_selectorIxEEZZNS1_9scan_implILNS1_25lookback_scan_determinismE0ELb1ELb1ES3_N6thrust23THRUST_200600_302600_NS6detail15normal_iteratorINS9_10device_ptrIxEEEENS9_16discard_iteratorINS9_11use_defaultEEEx11max_functorIxExEEDaPvRmT3_T4_T5_mT6_P12ihipStream_tbENKUlT_T0_E_clISt17integral_constantIbLb1EESX_EEDaSS_ST_EUlSS_E0_NS1_11comp_targetILNS1_3genE10ELNS1_11target_archE1200ELNS1_3gpuE4ELNS1_3repE0EEENS1_30default_config_static_selectorELNS0_4arch9wavefront6targetE1EEEvT1_
                                        ; -- End function
	.section	.AMDGPU.csdata,"",@progbits
; Kernel info:
; codeLenInByte = 0
; NumSgprs: 4
; NumVgprs: 0
; NumAgprs: 0
; TotalNumVgprs: 0
; ScratchSize: 0
; MemoryBound: 0
; FloatMode: 240
; IeeeMode: 1
; LDSByteSize: 0 bytes/workgroup (compile time only)
; SGPRBlocks: 0
; VGPRBlocks: 0
; NumSGPRsForWavesPerEU: 4
; NumVGPRsForWavesPerEU: 1
; AccumOffset: 4
; Occupancy: 8
; WaveLimiterHint : 0
; COMPUTE_PGM_RSRC2:SCRATCH_EN: 0
; COMPUTE_PGM_RSRC2:USER_SGPR: 6
; COMPUTE_PGM_RSRC2:TRAP_HANDLER: 0
; COMPUTE_PGM_RSRC2:TGID_X_EN: 1
; COMPUTE_PGM_RSRC2:TGID_Y_EN: 0
; COMPUTE_PGM_RSRC2:TGID_Z_EN: 0
; COMPUTE_PGM_RSRC2:TIDIG_COMP_CNT: 0
; COMPUTE_PGM_RSRC3_GFX90A:ACCUM_OFFSET: 0
; COMPUTE_PGM_RSRC3_GFX90A:TG_SPLIT: 0
	.section	.text._ZN7rocprim17ROCPRIM_400000_NS6detail17trampoline_kernelINS0_14default_configENS1_20scan_config_selectorIxEEZZNS1_9scan_implILNS1_25lookback_scan_determinismE0ELb1ELb1ES3_N6thrust23THRUST_200600_302600_NS6detail15normal_iteratorINS9_10device_ptrIxEEEENS9_16discard_iteratorINS9_11use_defaultEEEx11max_functorIxExEEDaPvRmT3_T4_T5_mT6_P12ihipStream_tbENKUlT_T0_E_clISt17integral_constantIbLb1EESX_EEDaSS_ST_EUlSS_E0_NS1_11comp_targetILNS1_3genE9ELNS1_11target_archE1100ELNS1_3gpuE3ELNS1_3repE0EEENS1_30default_config_static_selectorELNS0_4arch9wavefront6targetE1EEEvT1_,"axG",@progbits,_ZN7rocprim17ROCPRIM_400000_NS6detail17trampoline_kernelINS0_14default_configENS1_20scan_config_selectorIxEEZZNS1_9scan_implILNS1_25lookback_scan_determinismE0ELb1ELb1ES3_N6thrust23THRUST_200600_302600_NS6detail15normal_iteratorINS9_10device_ptrIxEEEENS9_16discard_iteratorINS9_11use_defaultEEEx11max_functorIxExEEDaPvRmT3_T4_T5_mT6_P12ihipStream_tbENKUlT_T0_E_clISt17integral_constantIbLb1EESX_EEDaSS_ST_EUlSS_E0_NS1_11comp_targetILNS1_3genE9ELNS1_11target_archE1100ELNS1_3gpuE3ELNS1_3repE0EEENS1_30default_config_static_selectorELNS0_4arch9wavefront6targetE1EEEvT1_,comdat
	.protected	_ZN7rocprim17ROCPRIM_400000_NS6detail17trampoline_kernelINS0_14default_configENS1_20scan_config_selectorIxEEZZNS1_9scan_implILNS1_25lookback_scan_determinismE0ELb1ELb1ES3_N6thrust23THRUST_200600_302600_NS6detail15normal_iteratorINS9_10device_ptrIxEEEENS9_16discard_iteratorINS9_11use_defaultEEEx11max_functorIxExEEDaPvRmT3_T4_T5_mT6_P12ihipStream_tbENKUlT_T0_E_clISt17integral_constantIbLb1EESX_EEDaSS_ST_EUlSS_E0_NS1_11comp_targetILNS1_3genE9ELNS1_11target_archE1100ELNS1_3gpuE3ELNS1_3repE0EEENS1_30default_config_static_selectorELNS0_4arch9wavefront6targetE1EEEvT1_ ; -- Begin function _ZN7rocprim17ROCPRIM_400000_NS6detail17trampoline_kernelINS0_14default_configENS1_20scan_config_selectorIxEEZZNS1_9scan_implILNS1_25lookback_scan_determinismE0ELb1ELb1ES3_N6thrust23THRUST_200600_302600_NS6detail15normal_iteratorINS9_10device_ptrIxEEEENS9_16discard_iteratorINS9_11use_defaultEEEx11max_functorIxExEEDaPvRmT3_T4_T5_mT6_P12ihipStream_tbENKUlT_T0_E_clISt17integral_constantIbLb1EESX_EEDaSS_ST_EUlSS_E0_NS1_11comp_targetILNS1_3genE9ELNS1_11target_archE1100ELNS1_3gpuE3ELNS1_3repE0EEENS1_30default_config_static_selectorELNS0_4arch9wavefront6targetE1EEEvT1_
	.globl	_ZN7rocprim17ROCPRIM_400000_NS6detail17trampoline_kernelINS0_14default_configENS1_20scan_config_selectorIxEEZZNS1_9scan_implILNS1_25lookback_scan_determinismE0ELb1ELb1ES3_N6thrust23THRUST_200600_302600_NS6detail15normal_iteratorINS9_10device_ptrIxEEEENS9_16discard_iteratorINS9_11use_defaultEEEx11max_functorIxExEEDaPvRmT3_T4_T5_mT6_P12ihipStream_tbENKUlT_T0_E_clISt17integral_constantIbLb1EESX_EEDaSS_ST_EUlSS_E0_NS1_11comp_targetILNS1_3genE9ELNS1_11target_archE1100ELNS1_3gpuE3ELNS1_3repE0EEENS1_30default_config_static_selectorELNS0_4arch9wavefront6targetE1EEEvT1_
	.p2align	8
	.type	_ZN7rocprim17ROCPRIM_400000_NS6detail17trampoline_kernelINS0_14default_configENS1_20scan_config_selectorIxEEZZNS1_9scan_implILNS1_25lookback_scan_determinismE0ELb1ELb1ES3_N6thrust23THRUST_200600_302600_NS6detail15normal_iteratorINS9_10device_ptrIxEEEENS9_16discard_iteratorINS9_11use_defaultEEEx11max_functorIxExEEDaPvRmT3_T4_T5_mT6_P12ihipStream_tbENKUlT_T0_E_clISt17integral_constantIbLb1EESX_EEDaSS_ST_EUlSS_E0_NS1_11comp_targetILNS1_3genE9ELNS1_11target_archE1100ELNS1_3gpuE3ELNS1_3repE0EEENS1_30default_config_static_selectorELNS0_4arch9wavefront6targetE1EEEvT1_,@function
_ZN7rocprim17ROCPRIM_400000_NS6detail17trampoline_kernelINS0_14default_configENS1_20scan_config_selectorIxEEZZNS1_9scan_implILNS1_25lookback_scan_determinismE0ELb1ELb1ES3_N6thrust23THRUST_200600_302600_NS6detail15normal_iteratorINS9_10device_ptrIxEEEENS9_16discard_iteratorINS9_11use_defaultEEEx11max_functorIxExEEDaPvRmT3_T4_T5_mT6_P12ihipStream_tbENKUlT_T0_E_clISt17integral_constantIbLb1EESX_EEDaSS_ST_EUlSS_E0_NS1_11comp_targetILNS1_3genE9ELNS1_11target_archE1100ELNS1_3gpuE3ELNS1_3repE0EEENS1_30default_config_static_selectorELNS0_4arch9wavefront6targetE1EEEvT1_: ; @_ZN7rocprim17ROCPRIM_400000_NS6detail17trampoline_kernelINS0_14default_configENS1_20scan_config_selectorIxEEZZNS1_9scan_implILNS1_25lookback_scan_determinismE0ELb1ELb1ES3_N6thrust23THRUST_200600_302600_NS6detail15normal_iteratorINS9_10device_ptrIxEEEENS9_16discard_iteratorINS9_11use_defaultEEEx11max_functorIxExEEDaPvRmT3_T4_T5_mT6_P12ihipStream_tbENKUlT_T0_E_clISt17integral_constantIbLb1EESX_EEDaSS_ST_EUlSS_E0_NS1_11comp_targetILNS1_3genE9ELNS1_11target_archE1100ELNS1_3gpuE3ELNS1_3repE0EEENS1_30default_config_static_selectorELNS0_4arch9wavefront6targetE1EEEvT1_
; %bb.0:
	.section	.rodata,"a",@progbits
	.p2align	6, 0x0
	.amdhsa_kernel _ZN7rocprim17ROCPRIM_400000_NS6detail17trampoline_kernelINS0_14default_configENS1_20scan_config_selectorIxEEZZNS1_9scan_implILNS1_25lookback_scan_determinismE0ELb1ELb1ES3_N6thrust23THRUST_200600_302600_NS6detail15normal_iteratorINS9_10device_ptrIxEEEENS9_16discard_iteratorINS9_11use_defaultEEEx11max_functorIxExEEDaPvRmT3_T4_T5_mT6_P12ihipStream_tbENKUlT_T0_E_clISt17integral_constantIbLb1EESX_EEDaSS_ST_EUlSS_E0_NS1_11comp_targetILNS1_3genE9ELNS1_11target_archE1100ELNS1_3gpuE3ELNS1_3repE0EEENS1_30default_config_static_selectorELNS0_4arch9wavefront6targetE1EEEvT1_
		.amdhsa_group_segment_fixed_size 0
		.amdhsa_private_segment_fixed_size 0
		.amdhsa_kernarg_size 48
		.amdhsa_user_sgpr_count 6
		.amdhsa_user_sgpr_private_segment_buffer 1
		.amdhsa_user_sgpr_dispatch_ptr 0
		.amdhsa_user_sgpr_queue_ptr 0
		.amdhsa_user_sgpr_kernarg_segment_ptr 1
		.amdhsa_user_sgpr_dispatch_id 0
		.amdhsa_user_sgpr_flat_scratch_init 0
		.amdhsa_user_sgpr_kernarg_preload_length 0
		.amdhsa_user_sgpr_kernarg_preload_offset 0
		.amdhsa_user_sgpr_private_segment_size 0
		.amdhsa_uses_dynamic_stack 0
		.amdhsa_system_sgpr_private_segment_wavefront_offset 0
		.amdhsa_system_sgpr_workgroup_id_x 1
		.amdhsa_system_sgpr_workgroup_id_y 0
		.amdhsa_system_sgpr_workgroup_id_z 0
		.amdhsa_system_sgpr_workgroup_info 0
		.amdhsa_system_vgpr_workitem_id 0
		.amdhsa_next_free_vgpr 1
		.amdhsa_next_free_sgpr 0
		.amdhsa_accum_offset 4
		.amdhsa_reserve_vcc 0
		.amdhsa_reserve_flat_scratch 0
		.amdhsa_float_round_mode_32 0
		.amdhsa_float_round_mode_16_64 0
		.amdhsa_float_denorm_mode_32 3
		.amdhsa_float_denorm_mode_16_64 3
		.amdhsa_dx10_clamp 1
		.amdhsa_ieee_mode 1
		.amdhsa_fp16_overflow 0
		.amdhsa_tg_split 0
		.amdhsa_exception_fp_ieee_invalid_op 0
		.amdhsa_exception_fp_denorm_src 0
		.amdhsa_exception_fp_ieee_div_zero 0
		.amdhsa_exception_fp_ieee_overflow 0
		.amdhsa_exception_fp_ieee_underflow 0
		.amdhsa_exception_fp_ieee_inexact 0
		.amdhsa_exception_int_div_zero 0
	.end_amdhsa_kernel
	.section	.text._ZN7rocprim17ROCPRIM_400000_NS6detail17trampoline_kernelINS0_14default_configENS1_20scan_config_selectorIxEEZZNS1_9scan_implILNS1_25lookback_scan_determinismE0ELb1ELb1ES3_N6thrust23THRUST_200600_302600_NS6detail15normal_iteratorINS9_10device_ptrIxEEEENS9_16discard_iteratorINS9_11use_defaultEEEx11max_functorIxExEEDaPvRmT3_T4_T5_mT6_P12ihipStream_tbENKUlT_T0_E_clISt17integral_constantIbLb1EESX_EEDaSS_ST_EUlSS_E0_NS1_11comp_targetILNS1_3genE9ELNS1_11target_archE1100ELNS1_3gpuE3ELNS1_3repE0EEENS1_30default_config_static_selectorELNS0_4arch9wavefront6targetE1EEEvT1_,"axG",@progbits,_ZN7rocprim17ROCPRIM_400000_NS6detail17trampoline_kernelINS0_14default_configENS1_20scan_config_selectorIxEEZZNS1_9scan_implILNS1_25lookback_scan_determinismE0ELb1ELb1ES3_N6thrust23THRUST_200600_302600_NS6detail15normal_iteratorINS9_10device_ptrIxEEEENS9_16discard_iteratorINS9_11use_defaultEEEx11max_functorIxExEEDaPvRmT3_T4_T5_mT6_P12ihipStream_tbENKUlT_T0_E_clISt17integral_constantIbLb1EESX_EEDaSS_ST_EUlSS_E0_NS1_11comp_targetILNS1_3genE9ELNS1_11target_archE1100ELNS1_3gpuE3ELNS1_3repE0EEENS1_30default_config_static_selectorELNS0_4arch9wavefront6targetE1EEEvT1_,comdat
.Lfunc_end3816:
	.size	_ZN7rocprim17ROCPRIM_400000_NS6detail17trampoline_kernelINS0_14default_configENS1_20scan_config_selectorIxEEZZNS1_9scan_implILNS1_25lookback_scan_determinismE0ELb1ELb1ES3_N6thrust23THRUST_200600_302600_NS6detail15normal_iteratorINS9_10device_ptrIxEEEENS9_16discard_iteratorINS9_11use_defaultEEEx11max_functorIxExEEDaPvRmT3_T4_T5_mT6_P12ihipStream_tbENKUlT_T0_E_clISt17integral_constantIbLb1EESX_EEDaSS_ST_EUlSS_E0_NS1_11comp_targetILNS1_3genE9ELNS1_11target_archE1100ELNS1_3gpuE3ELNS1_3repE0EEENS1_30default_config_static_selectorELNS0_4arch9wavefront6targetE1EEEvT1_, .Lfunc_end3816-_ZN7rocprim17ROCPRIM_400000_NS6detail17trampoline_kernelINS0_14default_configENS1_20scan_config_selectorIxEEZZNS1_9scan_implILNS1_25lookback_scan_determinismE0ELb1ELb1ES3_N6thrust23THRUST_200600_302600_NS6detail15normal_iteratorINS9_10device_ptrIxEEEENS9_16discard_iteratorINS9_11use_defaultEEEx11max_functorIxExEEDaPvRmT3_T4_T5_mT6_P12ihipStream_tbENKUlT_T0_E_clISt17integral_constantIbLb1EESX_EEDaSS_ST_EUlSS_E0_NS1_11comp_targetILNS1_3genE9ELNS1_11target_archE1100ELNS1_3gpuE3ELNS1_3repE0EEENS1_30default_config_static_selectorELNS0_4arch9wavefront6targetE1EEEvT1_
                                        ; -- End function
	.section	.AMDGPU.csdata,"",@progbits
; Kernel info:
; codeLenInByte = 0
; NumSgprs: 4
; NumVgprs: 0
; NumAgprs: 0
; TotalNumVgprs: 0
; ScratchSize: 0
; MemoryBound: 0
; FloatMode: 240
; IeeeMode: 1
; LDSByteSize: 0 bytes/workgroup (compile time only)
; SGPRBlocks: 0
; VGPRBlocks: 0
; NumSGPRsForWavesPerEU: 4
; NumVGPRsForWavesPerEU: 1
; AccumOffset: 4
; Occupancy: 8
; WaveLimiterHint : 0
; COMPUTE_PGM_RSRC2:SCRATCH_EN: 0
; COMPUTE_PGM_RSRC2:USER_SGPR: 6
; COMPUTE_PGM_RSRC2:TRAP_HANDLER: 0
; COMPUTE_PGM_RSRC2:TGID_X_EN: 1
; COMPUTE_PGM_RSRC2:TGID_Y_EN: 0
; COMPUTE_PGM_RSRC2:TGID_Z_EN: 0
; COMPUTE_PGM_RSRC2:TIDIG_COMP_CNT: 0
; COMPUTE_PGM_RSRC3_GFX90A:ACCUM_OFFSET: 0
; COMPUTE_PGM_RSRC3_GFX90A:TG_SPLIT: 0
	.section	.text._ZN7rocprim17ROCPRIM_400000_NS6detail17trampoline_kernelINS0_14default_configENS1_20scan_config_selectorIxEEZZNS1_9scan_implILNS1_25lookback_scan_determinismE0ELb1ELb1ES3_N6thrust23THRUST_200600_302600_NS6detail15normal_iteratorINS9_10device_ptrIxEEEENS9_16discard_iteratorINS9_11use_defaultEEEx11max_functorIxExEEDaPvRmT3_T4_T5_mT6_P12ihipStream_tbENKUlT_T0_E_clISt17integral_constantIbLb1EESX_EEDaSS_ST_EUlSS_E0_NS1_11comp_targetILNS1_3genE8ELNS1_11target_archE1030ELNS1_3gpuE2ELNS1_3repE0EEENS1_30default_config_static_selectorELNS0_4arch9wavefront6targetE1EEEvT1_,"axG",@progbits,_ZN7rocprim17ROCPRIM_400000_NS6detail17trampoline_kernelINS0_14default_configENS1_20scan_config_selectorIxEEZZNS1_9scan_implILNS1_25lookback_scan_determinismE0ELb1ELb1ES3_N6thrust23THRUST_200600_302600_NS6detail15normal_iteratorINS9_10device_ptrIxEEEENS9_16discard_iteratorINS9_11use_defaultEEEx11max_functorIxExEEDaPvRmT3_T4_T5_mT6_P12ihipStream_tbENKUlT_T0_E_clISt17integral_constantIbLb1EESX_EEDaSS_ST_EUlSS_E0_NS1_11comp_targetILNS1_3genE8ELNS1_11target_archE1030ELNS1_3gpuE2ELNS1_3repE0EEENS1_30default_config_static_selectorELNS0_4arch9wavefront6targetE1EEEvT1_,comdat
	.protected	_ZN7rocprim17ROCPRIM_400000_NS6detail17trampoline_kernelINS0_14default_configENS1_20scan_config_selectorIxEEZZNS1_9scan_implILNS1_25lookback_scan_determinismE0ELb1ELb1ES3_N6thrust23THRUST_200600_302600_NS6detail15normal_iteratorINS9_10device_ptrIxEEEENS9_16discard_iteratorINS9_11use_defaultEEEx11max_functorIxExEEDaPvRmT3_T4_T5_mT6_P12ihipStream_tbENKUlT_T0_E_clISt17integral_constantIbLb1EESX_EEDaSS_ST_EUlSS_E0_NS1_11comp_targetILNS1_3genE8ELNS1_11target_archE1030ELNS1_3gpuE2ELNS1_3repE0EEENS1_30default_config_static_selectorELNS0_4arch9wavefront6targetE1EEEvT1_ ; -- Begin function _ZN7rocprim17ROCPRIM_400000_NS6detail17trampoline_kernelINS0_14default_configENS1_20scan_config_selectorIxEEZZNS1_9scan_implILNS1_25lookback_scan_determinismE0ELb1ELb1ES3_N6thrust23THRUST_200600_302600_NS6detail15normal_iteratorINS9_10device_ptrIxEEEENS9_16discard_iteratorINS9_11use_defaultEEEx11max_functorIxExEEDaPvRmT3_T4_T5_mT6_P12ihipStream_tbENKUlT_T0_E_clISt17integral_constantIbLb1EESX_EEDaSS_ST_EUlSS_E0_NS1_11comp_targetILNS1_3genE8ELNS1_11target_archE1030ELNS1_3gpuE2ELNS1_3repE0EEENS1_30default_config_static_selectorELNS0_4arch9wavefront6targetE1EEEvT1_
	.globl	_ZN7rocprim17ROCPRIM_400000_NS6detail17trampoline_kernelINS0_14default_configENS1_20scan_config_selectorIxEEZZNS1_9scan_implILNS1_25lookback_scan_determinismE0ELb1ELb1ES3_N6thrust23THRUST_200600_302600_NS6detail15normal_iteratorINS9_10device_ptrIxEEEENS9_16discard_iteratorINS9_11use_defaultEEEx11max_functorIxExEEDaPvRmT3_T4_T5_mT6_P12ihipStream_tbENKUlT_T0_E_clISt17integral_constantIbLb1EESX_EEDaSS_ST_EUlSS_E0_NS1_11comp_targetILNS1_3genE8ELNS1_11target_archE1030ELNS1_3gpuE2ELNS1_3repE0EEENS1_30default_config_static_selectorELNS0_4arch9wavefront6targetE1EEEvT1_
	.p2align	8
	.type	_ZN7rocprim17ROCPRIM_400000_NS6detail17trampoline_kernelINS0_14default_configENS1_20scan_config_selectorIxEEZZNS1_9scan_implILNS1_25lookback_scan_determinismE0ELb1ELb1ES3_N6thrust23THRUST_200600_302600_NS6detail15normal_iteratorINS9_10device_ptrIxEEEENS9_16discard_iteratorINS9_11use_defaultEEEx11max_functorIxExEEDaPvRmT3_T4_T5_mT6_P12ihipStream_tbENKUlT_T0_E_clISt17integral_constantIbLb1EESX_EEDaSS_ST_EUlSS_E0_NS1_11comp_targetILNS1_3genE8ELNS1_11target_archE1030ELNS1_3gpuE2ELNS1_3repE0EEENS1_30default_config_static_selectorELNS0_4arch9wavefront6targetE1EEEvT1_,@function
_ZN7rocprim17ROCPRIM_400000_NS6detail17trampoline_kernelINS0_14default_configENS1_20scan_config_selectorIxEEZZNS1_9scan_implILNS1_25lookback_scan_determinismE0ELb1ELb1ES3_N6thrust23THRUST_200600_302600_NS6detail15normal_iteratorINS9_10device_ptrIxEEEENS9_16discard_iteratorINS9_11use_defaultEEEx11max_functorIxExEEDaPvRmT3_T4_T5_mT6_P12ihipStream_tbENKUlT_T0_E_clISt17integral_constantIbLb1EESX_EEDaSS_ST_EUlSS_E0_NS1_11comp_targetILNS1_3genE8ELNS1_11target_archE1030ELNS1_3gpuE2ELNS1_3repE0EEENS1_30default_config_static_selectorELNS0_4arch9wavefront6targetE1EEEvT1_: ; @_ZN7rocprim17ROCPRIM_400000_NS6detail17trampoline_kernelINS0_14default_configENS1_20scan_config_selectorIxEEZZNS1_9scan_implILNS1_25lookback_scan_determinismE0ELb1ELb1ES3_N6thrust23THRUST_200600_302600_NS6detail15normal_iteratorINS9_10device_ptrIxEEEENS9_16discard_iteratorINS9_11use_defaultEEEx11max_functorIxExEEDaPvRmT3_T4_T5_mT6_P12ihipStream_tbENKUlT_T0_E_clISt17integral_constantIbLb1EESX_EEDaSS_ST_EUlSS_E0_NS1_11comp_targetILNS1_3genE8ELNS1_11target_archE1030ELNS1_3gpuE2ELNS1_3repE0EEENS1_30default_config_static_selectorELNS0_4arch9wavefront6targetE1EEEvT1_
; %bb.0:
	.section	.rodata,"a",@progbits
	.p2align	6, 0x0
	.amdhsa_kernel _ZN7rocprim17ROCPRIM_400000_NS6detail17trampoline_kernelINS0_14default_configENS1_20scan_config_selectorIxEEZZNS1_9scan_implILNS1_25lookback_scan_determinismE0ELb1ELb1ES3_N6thrust23THRUST_200600_302600_NS6detail15normal_iteratorINS9_10device_ptrIxEEEENS9_16discard_iteratorINS9_11use_defaultEEEx11max_functorIxExEEDaPvRmT3_T4_T5_mT6_P12ihipStream_tbENKUlT_T0_E_clISt17integral_constantIbLb1EESX_EEDaSS_ST_EUlSS_E0_NS1_11comp_targetILNS1_3genE8ELNS1_11target_archE1030ELNS1_3gpuE2ELNS1_3repE0EEENS1_30default_config_static_selectorELNS0_4arch9wavefront6targetE1EEEvT1_
		.amdhsa_group_segment_fixed_size 0
		.amdhsa_private_segment_fixed_size 0
		.amdhsa_kernarg_size 48
		.amdhsa_user_sgpr_count 6
		.amdhsa_user_sgpr_private_segment_buffer 1
		.amdhsa_user_sgpr_dispatch_ptr 0
		.amdhsa_user_sgpr_queue_ptr 0
		.amdhsa_user_sgpr_kernarg_segment_ptr 1
		.amdhsa_user_sgpr_dispatch_id 0
		.amdhsa_user_sgpr_flat_scratch_init 0
		.amdhsa_user_sgpr_kernarg_preload_length 0
		.amdhsa_user_sgpr_kernarg_preload_offset 0
		.amdhsa_user_sgpr_private_segment_size 0
		.amdhsa_uses_dynamic_stack 0
		.amdhsa_system_sgpr_private_segment_wavefront_offset 0
		.amdhsa_system_sgpr_workgroup_id_x 1
		.amdhsa_system_sgpr_workgroup_id_y 0
		.amdhsa_system_sgpr_workgroup_id_z 0
		.amdhsa_system_sgpr_workgroup_info 0
		.amdhsa_system_vgpr_workitem_id 0
		.amdhsa_next_free_vgpr 1
		.amdhsa_next_free_sgpr 0
		.amdhsa_accum_offset 4
		.amdhsa_reserve_vcc 0
		.amdhsa_reserve_flat_scratch 0
		.amdhsa_float_round_mode_32 0
		.amdhsa_float_round_mode_16_64 0
		.amdhsa_float_denorm_mode_32 3
		.amdhsa_float_denorm_mode_16_64 3
		.amdhsa_dx10_clamp 1
		.amdhsa_ieee_mode 1
		.amdhsa_fp16_overflow 0
		.amdhsa_tg_split 0
		.amdhsa_exception_fp_ieee_invalid_op 0
		.amdhsa_exception_fp_denorm_src 0
		.amdhsa_exception_fp_ieee_div_zero 0
		.amdhsa_exception_fp_ieee_overflow 0
		.amdhsa_exception_fp_ieee_underflow 0
		.amdhsa_exception_fp_ieee_inexact 0
		.amdhsa_exception_int_div_zero 0
	.end_amdhsa_kernel
	.section	.text._ZN7rocprim17ROCPRIM_400000_NS6detail17trampoline_kernelINS0_14default_configENS1_20scan_config_selectorIxEEZZNS1_9scan_implILNS1_25lookback_scan_determinismE0ELb1ELb1ES3_N6thrust23THRUST_200600_302600_NS6detail15normal_iteratorINS9_10device_ptrIxEEEENS9_16discard_iteratorINS9_11use_defaultEEEx11max_functorIxExEEDaPvRmT3_T4_T5_mT6_P12ihipStream_tbENKUlT_T0_E_clISt17integral_constantIbLb1EESX_EEDaSS_ST_EUlSS_E0_NS1_11comp_targetILNS1_3genE8ELNS1_11target_archE1030ELNS1_3gpuE2ELNS1_3repE0EEENS1_30default_config_static_selectorELNS0_4arch9wavefront6targetE1EEEvT1_,"axG",@progbits,_ZN7rocprim17ROCPRIM_400000_NS6detail17trampoline_kernelINS0_14default_configENS1_20scan_config_selectorIxEEZZNS1_9scan_implILNS1_25lookback_scan_determinismE0ELb1ELb1ES3_N6thrust23THRUST_200600_302600_NS6detail15normal_iteratorINS9_10device_ptrIxEEEENS9_16discard_iteratorINS9_11use_defaultEEEx11max_functorIxExEEDaPvRmT3_T4_T5_mT6_P12ihipStream_tbENKUlT_T0_E_clISt17integral_constantIbLb1EESX_EEDaSS_ST_EUlSS_E0_NS1_11comp_targetILNS1_3genE8ELNS1_11target_archE1030ELNS1_3gpuE2ELNS1_3repE0EEENS1_30default_config_static_selectorELNS0_4arch9wavefront6targetE1EEEvT1_,comdat
.Lfunc_end3817:
	.size	_ZN7rocprim17ROCPRIM_400000_NS6detail17trampoline_kernelINS0_14default_configENS1_20scan_config_selectorIxEEZZNS1_9scan_implILNS1_25lookback_scan_determinismE0ELb1ELb1ES3_N6thrust23THRUST_200600_302600_NS6detail15normal_iteratorINS9_10device_ptrIxEEEENS9_16discard_iteratorINS9_11use_defaultEEEx11max_functorIxExEEDaPvRmT3_T4_T5_mT6_P12ihipStream_tbENKUlT_T0_E_clISt17integral_constantIbLb1EESX_EEDaSS_ST_EUlSS_E0_NS1_11comp_targetILNS1_3genE8ELNS1_11target_archE1030ELNS1_3gpuE2ELNS1_3repE0EEENS1_30default_config_static_selectorELNS0_4arch9wavefront6targetE1EEEvT1_, .Lfunc_end3817-_ZN7rocprim17ROCPRIM_400000_NS6detail17trampoline_kernelINS0_14default_configENS1_20scan_config_selectorIxEEZZNS1_9scan_implILNS1_25lookback_scan_determinismE0ELb1ELb1ES3_N6thrust23THRUST_200600_302600_NS6detail15normal_iteratorINS9_10device_ptrIxEEEENS9_16discard_iteratorINS9_11use_defaultEEEx11max_functorIxExEEDaPvRmT3_T4_T5_mT6_P12ihipStream_tbENKUlT_T0_E_clISt17integral_constantIbLb1EESX_EEDaSS_ST_EUlSS_E0_NS1_11comp_targetILNS1_3genE8ELNS1_11target_archE1030ELNS1_3gpuE2ELNS1_3repE0EEENS1_30default_config_static_selectorELNS0_4arch9wavefront6targetE1EEEvT1_
                                        ; -- End function
	.section	.AMDGPU.csdata,"",@progbits
; Kernel info:
; codeLenInByte = 0
; NumSgprs: 4
; NumVgprs: 0
; NumAgprs: 0
; TotalNumVgprs: 0
; ScratchSize: 0
; MemoryBound: 0
; FloatMode: 240
; IeeeMode: 1
; LDSByteSize: 0 bytes/workgroup (compile time only)
; SGPRBlocks: 0
; VGPRBlocks: 0
; NumSGPRsForWavesPerEU: 4
; NumVGPRsForWavesPerEU: 1
; AccumOffset: 4
; Occupancy: 8
; WaveLimiterHint : 0
; COMPUTE_PGM_RSRC2:SCRATCH_EN: 0
; COMPUTE_PGM_RSRC2:USER_SGPR: 6
; COMPUTE_PGM_RSRC2:TRAP_HANDLER: 0
; COMPUTE_PGM_RSRC2:TGID_X_EN: 1
; COMPUTE_PGM_RSRC2:TGID_Y_EN: 0
; COMPUTE_PGM_RSRC2:TGID_Z_EN: 0
; COMPUTE_PGM_RSRC2:TIDIG_COMP_CNT: 0
; COMPUTE_PGM_RSRC3_GFX90A:ACCUM_OFFSET: 0
; COMPUTE_PGM_RSRC3_GFX90A:TG_SPLIT: 0
	.section	.text._ZN7rocprim17ROCPRIM_400000_NS6detail17trampoline_kernelINS0_14default_configENS1_20scan_config_selectorIxEEZZNS1_9scan_implILNS1_25lookback_scan_determinismE0ELb1ELb1ES3_N6thrust23THRUST_200600_302600_NS6detail15normal_iteratorINS9_10device_ptrIxEEEENS9_16discard_iteratorINS9_11use_defaultEEEx11max_functorIxExEEDaPvRmT3_T4_T5_mT6_P12ihipStream_tbENKUlT_T0_E_clISt17integral_constantIbLb1EESW_IbLb0EEEEDaSS_ST_EUlSS_E_NS1_11comp_targetILNS1_3genE0ELNS1_11target_archE4294967295ELNS1_3gpuE0ELNS1_3repE0EEENS1_30default_config_static_selectorELNS0_4arch9wavefront6targetE1EEEvT1_,"axG",@progbits,_ZN7rocprim17ROCPRIM_400000_NS6detail17trampoline_kernelINS0_14default_configENS1_20scan_config_selectorIxEEZZNS1_9scan_implILNS1_25lookback_scan_determinismE0ELb1ELb1ES3_N6thrust23THRUST_200600_302600_NS6detail15normal_iteratorINS9_10device_ptrIxEEEENS9_16discard_iteratorINS9_11use_defaultEEEx11max_functorIxExEEDaPvRmT3_T4_T5_mT6_P12ihipStream_tbENKUlT_T0_E_clISt17integral_constantIbLb1EESW_IbLb0EEEEDaSS_ST_EUlSS_E_NS1_11comp_targetILNS1_3genE0ELNS1_11target_archE4294967295ELNS1_3gpuE0ELNS1_3repE0EEENS1_30default_config_static_selectorELNS0_4arch9wavefront6targetE1EEEvT1_,comdat
	.protected	_ZN7rocprim17ROCPRIM_400000_NS6detail17trampoline_kernelINS0_14default_configENS1_20scan_config_selectorIxEEZZNS1_9scan_implILNS1_25lookback_scan_determinismE0ELb1ELb1ES3_N6thrust23THRUST_200600_302600_NS6detail15normal_iteratorINS9_10device_ptrIxEEEENS9_16discard_iteratorINS9_11use_defaultEEEx11max_functorIxExEEDaPvRmT3_T4_T5_mT6_P12ihipStream_tbENKUlT_T0_E_clISt17integral_constantIbLb1EESW_IbLb0EEEEDaSS_ST_EUlSS_E_NS1_11comp_targetILNS1_3genE0ELNS1_11target_archE4294967295ELNS1_3gpuE0ELNS1_3repE0EEENS1_30default_config_static_selectorELNS0_4arch9wavefront6targetE1EEEvT1_ ; -- Begin function _ZN7rocprim17ROCPRIM_400000_NS6detail17trampoline_kernelINS0_14default_configENS1_20scan_config_selectorIxEEZZNS1_9scan_implILNS1_25lookback_scan_determinismE0ELb1ELb1ES3_N6thrust23THRUST_200600_302600_NS6detail15normal_iteratorINS9_10device_ptrIxEEEENS9_16discard_iteratorINS9_11use_defaultEEEx11max_functorIxExEEDaPvRmT3_T4_T5_mT6_P12ihipStream_tbENKUlT_T0_E_clISt17integral_constantIbLb1EESW_IbLb0EEEEDaSS_ST_EUlSS_E_NS1_11comp_targetILNS1_3genE0ELNS1_11target_archE4294967295ELNS1_3gpuE0ELNS1_3repE0EEENS1_30default_config_static_selectorELNS0_4arch9wavefront6targetE1EEEvT1_
	.globl	_ZN7rocprim17ROCPRIM_400000_NS6detail17trampoline_kernelINS0_14default_configENS1_20scan_config_selectorIxEEZZNS1_9scan_implILNS1_25lookback_scan_determinismE0ELb1ELb1ES3_N6thrust23THRUST_200600_302600_NS6detail15normal_iteratorINS9_10device_ptrIxEEEENS9_16discard_iteratorINS9_11use_defaultEEEx11max_functorIxExEEDaPvRmT3_T4_T5_mT6_P12ihipStream_tbENKUlT_T0_E_clISt17integral_constantIbLb1EESW_IbLb0EEEEDaSS_ST_EUlSS_E_NS1_11comp_targetILNS1_3genE0ELNS1_11target_archE4294967295ELNS1_3gpuE0ELNS1_3repE0EEENS1_30default_config_static_selectorELNS0_4arch9wavefront6targetE1EEEvT1_
	.p2align	8
	.type	_ZN7rocprim17ROCPRIM_400000_NS6detail17trampoline_kernelINS0_14default_configENS1_20scan_config_selectorIxEEZZNS1_9scan_implILNS1_25lookback_scan_determinismE0ELb1ELb1ES3_N6thrust23THRUST_200600_302600_NS6detail15normal_iteratorINS9_10device_ptrIxEEEENS9_16discard_iteratorINS9_11use_defaultEEEx11max_functorIxExEEDaPvRmT3_T4_T5_mT6_P12ihipStream_tbENKUlT_T0_E_clISt17integral_constantIbLb1EESW_IbLb0EEEEDaSS_ST_EUlSS_E_NS1_11comp_targetILNS1_3genE0ELNS1_11target_archE4294967295ELNS1_3gpuE0ELNS1_3repE0EEENS1_30default_config_static_selectorELNS0_4arch9wavefront6targetE1EEEvT1_,@function
_ZN7rocprim17ROCPRIM_400000_NS6detail17trampoline_kernelINS0_14default_configENS1_20scan_config_selectorIxEEZZNS1_9scan_implILNS1_25lookback_scan_determinismE0ELb1ELb1ES3_N6thrust23THRUST_200600_302600_NS6detail15normal_iteratorINS9_10device_ptrIxEEEENS9_16discard_iteratorINS9_11use_defaultEEEx11max_functorIxExEEDaPvRmT3_T4_T5_mT6_P12ihipStream_tbENKUlT_T0_E_clISt17integral_constantIbLb1EESW_IbLb0EEEEDaSS_ST_EUlSS_E_NS1_11comp_targetILNS1_3genE0ELNS1_11target_archE4294967295ELNS1_3gpuE0ELNS1_3repE0EEENS1_30default_config_static_selectorELNS0_4arch9wavefront6targetE1EEEvT1_: ; @_ZN7rocprim17ROCPRIM_400000_NS6detail17trampoline_kernelINS0_14default_configENS1_20scan_config_selectorIxEEZZNS1_9scan_implILNS1_25lookback_scan_determinismE0ELb1ELb1ES3_N6thrust23THRUST_200600_302600_NS6detail15normal_iteratorINS9_10device_ptrIxEEEENS9_16discard_iteratorINS9_11use_defaultEEEx11max_functorIxExEEDaPvRmT3_T4_T5_mT6_P12ihipStream_tbENKUlT_T0_E_clISt17integral_constantIbLb1EESW_IbLb0EEEEDaSS_ST_EUlSS_E_NS1_11comp_targetILNS1_3genE0ELNS1_11target_archE4294967295ELNS1_3gpuE0ELNS1_3repE0EEENS1_30default_config_static_selectorELNS0_4arch9wavefront6targetE1EEEvT1_
; %bb.0:
	.section	.rodata,"a",@progbits
	.p2align	6, 0x0
	.amdhsa_kernel _ZN7rocprim17ROCPRIM_400000_NS6detail17trampoline_kernelINS0_14default_configENS1_20scan_config_selectorIxEEZZNS1_9scan_implILNS1_25lookback_scan_determinismE0ELb1ELb1ES3_N6thrust23THRUST_200600_302600_NS6detail15normal_iteratorINS9_10device_ptrIxEEEENS9_16discard_iteratorINS9_11use_defaultEEEx11max_functorIxExEEDaPvRmT3_T4_T5_mT6_P12ihipStream_tbENKUlT_T0_E_clISt17integral_constantIbLb1EESW_IbLb0EEEEDaSS_ST_EUlSS_E_NS1_11comp_targetILNS1_3genE0ELNS1_11target_archE4294967295ELNS1_3gpuE0ELNS1_3repE0EEENS1_30default_config_static_selectorELNS0_4arch9wavefront6targetE1EEEvT1_
		.amdhsa_group_segment_fixed_size 0
		.amdhsa_private_segment_fixed_size 0
		.amdhsa_kernarg_size 112
		.amdhsa_user_sgpr_count 6
		.amdhsa_user_sgpr_private_segment_buffer 1
		.amdhsa_user_sgpr_dispatch_ptr 0
		.amdhsa_user_sgpr_queue_ptr 0
		.amdhsa_user_sgpr_kernarg_segment_ptr 1
		.amdhsa_user_sgpr_dispatch_id 0
		.amdhsa_user_sgpr_flat_scratch_init 0
		.amdhsa_user_sgpr_kernarg_preload_length 0
		.amdhsa_user_sgpr_kernarg_preload_offset 0
		.amdhsa_user_sgpr_private_segment_size 0
		.amdhsa_uses_dynamic_stack 0
		.amdhsa_system_sgpr_private_segment_wavefront_offset 0
		.amdhsa_system_sgpr_workgroup_id_x 1
		.amdhsa_system_sgpr_workgroup_id_y 0
		.amdhsa_system_sgpr_workgroup_id_z 0
		.amdhsa_system_sgpr_workgroup_info 0
		.amdhsa_system_vgpr_workitem_id 0
		.amdhsa_next_free_vgpr 1
		.amdhsa_next_free_sgpr 0
		.amdhsa_accum_offset 4
		.amdhsa_reserve_vcc 0
		.amdhsa_reserve_flat_scratch 0
		.amdhsa_float_round_mode_32 0
		.amdhsa_float_round_mode_16_64 0
		.amdhsa_float_denorm_mode_32 3
		.amdhsa_float_denorm_mode_16_64 3
		.amdhsa_dx10_clamp 1
		.amdhsa_ieee_mode 1
		.amdhsa_fp16_overflow 0
		.amdhsa_tg_split 0
		.amdhsa_exception_fp_ieee_invalid_op 0
		.amdhsa_exception_fp_denorm_src 0
		.amdhsa_exception_fp_ieee_div_zero 0
		.amdhsa_exception_fp_ieee_overflow 0
		.amdhsa_exception_fp_ieee_underflow 0
		.amdhsa_exception_fp_ieee_inexact 0
		.amdhsa_exception_int_div_zero 0
	.end_amdhsa_kernel
	.section	.text._ZN7rocprim17ROCPRIM_400000_NS6detail17trampoline_kernelINS0_14default_configENS1_20scan_config_selectorIxEEZZNS1_9scan_implILNS1_25lookback_scan_determinismE0ELb1ELb1ES3_N6thrust23THRUST_200600_302600_NS6detail15normal_iteratorINS9_10device_ptrIxEEEENS9_16discard_iteratorINS9_11use_defaultEEEx11max_functorIxExEEDaPvRmT3_T4_T5_mT6_P12ihipStream_tbENKUlT_T0_E_clISt17integral_constantIbLb1EESW_IbLb0EEEEDaSS_ST_EUlSS_E_NS1_11comp_targetILNS1_3genE0ELNS1_11target_archE4294967295ELNS1_3gpuE0ELNS1_3repE0EEENS1_30default_config_static_selectorELNS0_4arch9wavefront6targetE1EEEvT1_,"axG",@progbits,_ZN7rocprim17ROCPRIM_400000_NS6detail17trampoline_kernelINS0_14default_configENS1_20scan_config_selectorIxEEZZNS1_9scan_implILNS1_25lookback_scan_determinismE0ELb1ELb1ES3_N6thrust23THRUST_200600_302600_NS6detail15normal_iteratorINS9_10device_ptrIxEEEENS9_16discard_iteratorINS9_11use_defaultEEEx11max_functorIxExEEDaPvRmT3_T4_T5_mT6_P12ihipStream_tbENKUlT_T0_E_clISt17integral_constantIbLb1EESW_IbLb0EEEEDaSS_ST_EUlSS_E_NS1_11comp_targetILNS1_3genE0ELNS1_11target_archE4294967295ELNS1_3gpuE0ELNS1_3repE0EEENS1_30default_config_static_selectorELNS0_4arch9wavefront6targetE1EEEvT1_,comdat
.Lfunc_end3818:
	.size	_ZN7rocprim17ROCPRIM_400000_NS6detail17trampoline_kernelINS0_14default_configENS1_20scan_config_selectorIxEEZZNS1_9scan_implILNS1_25lookback_scan_determinismE0ELb1ELb1ES3_N6thrust23THRUST_200600_302600_NS6detail15normal_iteratorINS9_10device_ptrIxEEEENS9_16discard_iteratorINS9_11use_defaultEEEx11max_functorIxExEEDaPvRmT3_T4_T5_mT6_P12ihipStream_tbENKUlT_T0_E_clISt17integral_constantIbLb1EESW_IbLb0EEEEDaSS_ST_EUlSS_E_NS1_11comp_targetILNS1_3genE0ELNS1_11target_archE4294967295ELNS1_3gpuE0ELNS1_3repE0EEENS1_30default_config_static_selectorELNS0_4arch9wavefront6targetE1EEEvT1_, .Lfunc_end3818-_ZN7rocprim17ROCPRIM_400000_NS6detail17trampoline_kernelINS0_14default_configENS1_20scan_config_selectorIxEEZZNS1_9scan_implILNS1_25lookback_scan_determinismE0ELb1ELb1ES3_N6thrust23THRUST_200600_302600_NS6detail15normal_iteratorINS9_10device_ptrIxEEEENS9_16discard_iteratorINS9_11use_defaultEEEx11max_functorIxExEEDaPvRmT3_T4_T5_mT6_P12ihipStream_tbENKUlT_T0_E_clISt17integral_constantIbLb1EESW_IbLb0EEEEDaSS_ST_EUlSS_E_NS1_11comp_targetILNS1_3genE0ELNS1_11target_archE4294967295ELNS1_3gpuE0ELNS1_3repE0EEENS1_30default_config_static_selectorELNS0_4arch9wavefront6targetE1EEEvT1_
                                        ; -- End function
	.section	.AMDGPU.csdata,"",@progbits
; Kernel info:
; codeLenInByte = 0
; NumSgprs: 4
; NumVgprs: 0
; NumAgprs: 0
; TotalNumVgprs: 0
; ScratchSize: 0
; MemoryBound: 0
; FloatMode: 240
; IeeeMode: 1
; LDSByteSize: 0 bytes/workgroup (compile time only)
; SGPRBlocks: 0
; VGPRBlocks: 0
; NumSGPRsForWavesPerEU: 4
; NumVGPRsForWavesPerEU: 1
; AccumOffset: 4
; Occupancy: 8
; WaveLimiterHint : 0
; COMPUTE_PGM_RSRC2:SCRATCH_EN: 0
; COMPUTE_PGM_RSRC2:USER_SGPR: 6
; COMPUTE_PGM_RSRC2:TRAP_HANDLER: 0
; COMPUTE_PGM_RSRC2:TGID_X_EN: 1
; COMPUTE_PGM_RSRC2:TGID_Y_EN: 0
; COMPUTE_PGM_RSRC2:TGID_Z_EN: 0
; COMPUTE_PGM_RSRC2:TIDIG_COMP_CNT: 0
; COMPUTE_PGM_RSRC3_GFX90A:ACCUM_OFFSET: 0
; COMPUTE_PGM_RSRC3_GFX90A:TG_SPLIT: 0
	.section	.text._ZN7rocprim17ROCPRIM_400000_NS6detail17trampoline_kernelINS0_14default_configENS1_20scan_config_selectorIxEEZZNS1_9scan_implILNS1_25lookback_scan_determinismE0ELb1ELb1ES3_N6thrust23THRUST_200600_302600_NS6detail15normal_iteratorINS9_10device_ptrIxEEEENS9_16discard_iteratorINS9_11use_defaultEEEx11max_functorIxExEEDaPvRmT3_T4_T5_mT6_P12ihipStream_tbENKUlT_T0_E_clISt17integral_constantIbLb1EESW_IbLb0EEEEDaSS_ST_EUlSS_E_NS1_11comp_targetILNS1_3genE5ELNS1_11target_archE942ELNS1_3gpuE9ELNS1_3repE0EEENS1_30default_config_static_selectorELNS0_4arch9wavefront6targetE1EEEvT1_,"axG",@progbits,_ZN7rocprim17ROCPRIM_400000_NS6detail17trampoline_kernelINS0_14default_configENS1_20scan_config_selectorIxEEZZNS1_9scan_implILNS1_25lookback_scan_determinismE0ELb1ELb1ES3_N6thrust23THRUST_200600_302600_NS6detail15normal_iteratorINS9_10device_ptrIxEEEENS9_16discard_iteratorINS9_11use_defaultEEEx11max_functorIxExEEDaPvRmT3_T4_T5_mT6_P12ihipStream_tbENKUlT_T0_E_clISt17integral_constantIbLb1EESW_IbLb0EEEEDaSS_ST_EUlSS_E_NS1_11comp_targetILNS1_3genE5ELNS1_11target_archE942ELNS1_3gpuE9ELNS1_3repE0EEENS1_30default_config_static_selectorELNS0_4arch9wavefront6targetE1EEEvT1_,comdat
	.protected	_ZN7rocprim17ROCPRIM_400000_NS6detail17trampoline_kernelINS0_14default_configENS1_20scan_config_selectorIxEEZZNS1_9scan_implILNS1_25lookback_scan_determinismE0ELb1ELb1ES3_N6thrust23THRUST_200600_302600_NS6detail15normal_iteratorINS9_10device_ptrIxEEEENS9_16discard_iteratorINS9_11use_defaultEEEx11max_functorIxExEEDaPvRmT3_T4_T5_mT6_P12ihipStream_tbENKUlT_T0_E_clISt17integral_constantIbLb1EESW_IbLb0EEEEDaSS_ST_EUlSS_E_NS1_11comp_targetILNS1_3genE5ELNS1_11target_archE942ELNS1_3gpuE9ELNS1_3repE0EEENS1_30default_config_static_selectorELNS0_4arch9wavefront6targetE1EEEvT1_ ; -- Begin function _ZN7rocprim17ROCPRIM_400000_NS6detail17trampoline_kernelINS0_14default_configENS1_20scan_config_selectorIxEEZZNS1_9scan_implILNS1_25lookback_scan_determinismE0ELb1ELb1ES3_N6thrust23THRUST_200600_302600_NS6detail15normal_iteratorINS9_10device_ptrIxEEEENS9_16discard_iteratorINS9_11use_defaultEEEx11max_functorIxExEEDaPvRmT3_T4_T5_mT6_P12ihipStream_tbENKUlT_T0_E_clISt17integral_constantIbLb1EESW_IbLb0EEEEDaSS_ST_EUlSS_E_NS1_11comp_targetILNS1_3genE5ELNS1_11target_archE942ELNS1_3gpuE9ELNS1_3repE0EEENS1_30default_config_static_selectorELNS0_4arch9wavefront6targetE1EEEvT1_
	.globl	_ZN7rocprim17ROCPRIM_400000_NS6detail17trampoline_kernelINS0_14default_configENS1_20scan_config_selectorIxEEZZNS1_9scan_implILNS1_25lookback_scan_determinismE0ELb1ELb1ES3_N6thrust23THRUST_200600_302600_NS6detail15normal_iteratorINS9_10device_ptrIxEEEENS9_16discard_iteratorINS9_11use_defaultEEEx11max_functorIxExEEDaPvRmT3_T4_T5_mT6_P12ihipStream_tbENKUlT_T0_E_clISt17integral_constantIbLb1EESW_IbLb0EEEEDaSS_ST_EUlSS_E_NS1_11comp_targetILNS1_3genE5ELNS1_11target_archE942ELNS1_3gpuE9ELNS1_3repE0EEENS1_30default_config_static_selectorELNS0_4arch9wavefront6targetE1EEEvT1_
	.p2align	8
	.type	_ZN7rocprim17ROCPRIM_400000_NS6detail17trampoline_kernelINS0_14default_configENS1_20scan_config_selectorIxEEZZNS1_9scan_implILNS1_25lookback_scan_determinismE0ELb1ELb1ES3_N6thrust23THRUST_200600_302600_NS6detail15normal_iteratorINS9_10device_ptrIxEEEENS9_16discard_iteratorINS9_11use_defaultEEEx11max_functorIxExEEDaPvRmT3_T4_T5_mT6_P12ihipStream_tbENKUlT_T0_E_clISt17integral_constantIbLb1EESW_IbLb0EEEEDaSS_ST_EUlSS_E_NS1_11comp_targetILNS1_3genE5ELNS1_11target_archE942ELNS1_3gpuE9ELNS1_3repE0EEENS1_30default_config_static_selectorELNS0_4arch9wavefront6targetE1EEEvT1_,@function
_ZN7rocprim17ROCPRIM_400000_NS6detail17trampoline_kernelINS0_14default_configENS1_20scan_config_selectorIxEEZZNS1_9scan_implILNS1_25lookback_scan_determinismE0ELb1ELb1ES3_N6thrust23THRUST_200600_302600_NS6detail15normal_iteratorINS9_10device_ptrIxEEEENS9_16discard_iteratorINS9_11use_defaultEEEx11max_functorIxExEEDaPvRmT3_T4_T5_mT6_P12ihipStream_tbENKUlT_T0_E_clISt17integral_constantIbLb1EESW_IbLb0EEEEDaSS_ST_EUlSS_E_NS1_11comp_targetILNS1_3genE5ELNS1_11target_archE942ELNS1_3gpuE9ELNS1_3repE0EEENS1_30default_config_static_selectorELNS0_4arch9wavefront6targetE1EEEvT1_: ; @_ZN7rocprim17ROCPRIM_400000_NS6detail17trampoline_kernelINS0_14default_configENS1_20scan_config_selectorIxEEZZNS1_9scan_implILNS1_25lookback_scan_determinismE0ELb1ELb1ES3_N6thrust23THRUST_200600_302600_NS6detail15normal_iteratorINS9_10device_ptrIxEEEENS9_16discard_iteratorINS9_11use_defaultEEEx11max_functorIxExEEDaPvRmT3_T4_T5_mT6_P12ihipStream_tbENKUlT_T0_E_clISt17integral_constantIbLb1EESW_IbLb0EEEEDaSS_ST_EUlSS_E_NS1_11comp_targetILNS1_3genE5ELNS1_11target_archE942ELNS1_3gpuE9ELNS1_3repE0EEENS1_30default_config_static_selectorELNS0_4arch9wavefront6targetE1EEEvT1_
; %bb.0:
	.section	.rodata,"a",@progbits
	.p2align	6, 0x0
	.amdhsa_kernel _ZN7rocprim17ROCPRIM_400000_NS6detail17trampoline_kernelINS0_14default_configENS1_20scan_config_selectorIxEEZZNS1_9scan_implILNS1_25lookback_scan_determinismE0ELb1ELb1ES3_N6thrust23THRUST_200600_302600_NS6detail15normal_iteratorINS9_10device_ptrIxEEEENS9_16discard_iteratorINS9_11use_defaultEEEx11max_functorIxExEEDaPvRmT3_T4_T5_mT6_P12ihipStream_tbENKUlT_T0_E_clISt17integral_constantIbLb1EESW_IbLb0EEEEDaSS_ST_EUlSS_E_NS1_11comp_targetILNS1_3genE5ELNS1_11target_archE942ELNS1_3gpuE9ELNS1_3repE0EEENS1_30default_config_static_selectorELNS0_4arch9wavefront6targetE1EEEvT1_
		.amdhsa_group_segment_fixed_size 0
		.amdhsa_private_segment_fixed_size 0
		.amdhsa_kernarg_size 112
		.amdhsa_user_sgpr_count 6
		.amdhsa_user_sgpr_private_segment_buffer 1
		.amdhsa_user_sgpr_dispatch_ptr 0
		.amdhsa_user_sgpr_queue_ptr 0
		.amdhsa_user_sgpr_kernarg_segment_ptr 1
		.amdhsa_user_sgpr_dispatch_id 0
		.amdhsa_user_sgpr_flat_scratch_init 0
		.amdhsa_user_sgpr_kernarg_preload_length 0
		.amdhsa_user_sgpr_kernarg_preload_offset 0
		.amdhsa_user_sgpr_private_segment_size 0
		.amdhsa_uses_dynamic_stack 0
		.amdhsa_system_sgpr_private_segment_wavefront_offset 0
		.amdhsa_system_sgpr_workgroup_id_x 1
		.amdhsa_system_sgpr_workgroup_id_y 0
		.amdhsa_system_sgpr_workgroup_id_z 0
		.amdhsa_system_sgpr_workgroup_info 0
		.amdhsa_system_vgpr_workitem_id 0
		.amdhsa_next_free_vgpr 1
		.amdhsa_next_free_sgpr 0
		.amdhsa_accum_offset 4
		.amdhsa_reserve_vcc 0
		.amdhsa_reserve_flat_scratch 0
		.amdhsa_float_round_mode_32 0
		.amdhsa_float_round_mode_16_64 0
		.amdhsa_float_denorm_mode_32 3
		.amdhsa_float_denorm_mode_16_64 3
		.amdhsa_dx10_clamp 1
		.amdhsa_ieee_mode 1
		.amdhsa_fp16_overflow 0
		.amdhsa_tg_split 0
		.amdhsa_exception_fp_ieee_invalid_op 0
		.amdhsa_exception_fp_denorm_src 0
		.amdhsa_exception_fp_ieee_div_zero 0
		.amdhsa_exception_fp_ieee_overflow 0
		.amdhsa_exception_fp_ieee_underflow 0
		.amdhsa_exception_fp_ieee_inexact 0
		.amdhsa_exception_int_div_zero 0
	.end_amdhsa_kernel
	.section	.text._ZN7rocprim17ROCPRIM_400000_NS6detail17trampoline_kernelINS0_14default_configENS1_20scan_config_selectorIxEEZZNS1_9scan_implILNS1_25lookback_scan_determinismE0ELb1ELb1ES3_N6thrust23THRUST_200600_302600_NS6detail15normal_iteratorINS9_10device_ptrIxEEEENS9_16discard_iteratorINS9_11use_defaultEEEx11max_functorIxExEEDaPvRmT3_T4_T5_mT6_P12ihipStream_tbENKUlT_T0_E_clISt17integral_constantIbLb1EESW_IbLb0EEEEDaSS_ST_EUlSS_E_NS1_11comp_targetILNS1_3genE5ELNS1_11target_archE942ELNS1_3gpuE9ELNS1_3repE0EEENS1_30default_config_static_selectorELNS0_4arch9wavefront6targetE1EEEvT1_,"axG",@progbits,_ZN7rocprim17ROCPRIM_400000_NS6detail17trampoline_kernelINS0_14default_configENS1_20scan_config_selectorIxEEZZNS1_9scan_implILNS1_25lookback_scan_determinismE0ELb1ELb1ES3_N6thrust23THRUST_200600_302600_NS6detail15normal_iteratorINS9_10device_ptrIxEEEENS9_16discard_iteratorINS9_11use_defaultEEEx11max_functorIxExEEDaPvRmT3_T4_T5_mT6_P12ihipStream_tbENKUlT_T0_E_clISt17integral_constantIbLb1EESW_IbLb0EEEEDaSS_ST_EUlSS_E_NS1_11comp_targetILNS1_3genE5ELNS1_11target_archE942ELNS1_3gpuE9ELNS1_3repE0EEENS1_30default_config_static_selectorELNS0_4arch9wavefront6targetE1EEEvT1_,comdat
.Lfunc_end3819:
	.size	_ZN7rocprim17ROCPRIM_400000_NS6detail17trampoline_kernelINS0_14default_configENS1_20scan_config_selectorIxEEZZNS1_9scan_implILNS1_25lookback_scan_determinismE0ELb1ELb1ES3_N6thrust23THRUST_200600_302600_NS6detail15normal_iteratorINS9_10device_ptrIxEEEENS9_16discard_iteratorINS9_11use_defaultEEEx11max_functorIxExEEDaPvRmT3_T4_T5_mT6_P12ihipStream_tbENKUlT_T0_E_clISt17integral_constantIbLb1EESW_IbLb0EEEEDaSS_ST_EUlSS_E_NS1_11comp_targetILNS1_3genE5ELNS1_11target_archE942ELNS1_3gpuE9ELNS1_3repE0EEENS1_30default_config_static_selectorELNS0_4arch9wavefront6targetE1EEEvT1_, .Lfunc_end3819-_ZN7rocprim17ROCPRIM_400000_NS6detail17trampoline_kernelINS0_14default_configENS1_20scan_config_selectorIxEEZZNS1_9scan_implILNS1_25lookback_scan_determinismE0ELb1ELb1ES3_N6thrust23THRUST_200600_302600_NS6detail15normal_iteratorINS9_10device_ptrIxEEEENS9_16discard_iteratorINS9_11use_defaultEEEx11max_functorIxExEEDaPvRmT3_T4_T5_mT6_P12ihipStream_tbENKUlT_T0_E_clISt17integral_constantIbLb1EESW_IbLb0EEEEDaSS_ST_EUlSS_E_NS1_11comp_targetILNS1_3genE5ELNS1_11target_archE942ELNS1_3gpuE9ELNS1_3repE0EEENS1_30default_config_static_selectorELNS0_4arch9wavefront6targetE1EEEvT1_
                                        ; -- End function
	.section	.AMDGPU.csdata,"",@progbits
; Kernel info:
; codeLenInByte = 0
; NumSgprs: 4
; NumVgprs: 0
; NumAgprs: 0
; TotalNumVgprs: 0
; ScratchSize: 0
; MemoryBound: 0
; FloatMode: 240
; IeeeMode: 1
; LDSByteSize: 0 bytes/workgroup (compile time only)
; SGPRBlocks: 0
; VGPRBlocks: 0
; NumSGPRsForWavesPerEU: 4
; NumVGPRsForWavesPerEU: 1
; AccumOffset: 4
; Occupancy: 8
; WaveLimiterHint : 0
; COMPUTE_PGM_RSRC2:SCRATCH_EN: 0
; COMPUTE_PGM_RSRC2:USER_SGPR: 6
; COMPUTE_PGM_RSRC2:TRAP_HANDLER: 0
; COMPUTE_PGM_RSRC2:TGID_X_EN: 1
; COMPUTE_PGM_RSRC2:TGID_Y_EN: 0
; COMPUTE_PGM_RSRC2:TGID_Z_EN: 0
; COMPUTE_PGM_RSRC2:TIDIG_COMP_CNT: 0
; COMPUTE_PGM_RSRC3_GFX90A:ACCUM_OFFSET: 0
; COMPUTE_PGM_RSRC3_GFX90A:TG_SPLIT: 0
	.section	.text._ZN7rocprim17ROCPRIM_400000_NS6detail17trampoline_kernelINS0_14default_configENS1_20scan_config_selectorIxEEZZNS1_9scan_implILNS1_25lookback_scan_determinismE0ELb1ELb1ES3_N6thrust23THRUST_200600_302600_NS6detail15normal_iteratorINS9_10device_ptrIxEEEENS9_16discard_iteratorINS9_11use_defaultEEEx11max_functorIxExEEDaPvRmT3_T4_T5_mT6_P12ihipStream_tbENKUlT_T0_E_clISt17integral_constantIbLb1EESW_IbLb0EEEEDaSS_ST_EUlSS_E_NS1_11comp_targetILNS1_3genE4ELNS1_11target_archE910ELNS1_3gpuE8ELNS1_3repE0EEENS1_30default_config_static_selectorELNS0_4arch9wavefront6targetE1EEEvT1_,"axG",@progbits,_ZN7rocprim17ROCPRIM_400000_NS6detail17trampoline_kernelINS0_14default_configENS1_20scan_config_selectorIxEEZZNS1_9scan_implILNS1_25lookback_scan_determinismE0ELb1ELb1ES3_N6thrust23THRUST_200600_302600_NS6detail15normal_iteratorINS9_10device_ptrIxEEEENS9_16discard_iteratorINS9_11use_defaultEEEx11max_functorIxExEEDaPvRmT3_T4_T5_mT6_P12ihipStream_tbENKUlT_T0_E_clISt17integral_constantIbLb1EESW_IbLb0EEEEDaSS_ST_EUlSS_E_NS1_11comp_targetILNS1_3genE4ELNS1_11target_archE910ELNS1_3gpuE8ELNS1_3repE0EEENS1_30default_config_static_selectorELNS0_4arch9wavefront6targetE1EEEvT1_,comdat
	.protected	_ZN7rocprim17ROCPRIM_400000_NS6detail17trampoline_kernelINS0_14default_configENS1_20scan_config_selectorIxEEZZNS1_9scan_implILNS1_25lookback_scan_determinismE0ELb1ELb1ES3_N6thrust23THRUST_200600_302600_NS6detail15normal_iteratorINS9_10device_ptrIxEEEENS9_16discard_iteratorINS9_11use_defaultEEEx11max_functorIxExEEDaPvRmT3_T4_T5_mT6_P12ihipStream_tbENKUlT_T0_E_clISt17integral_constantIbLb1EESW_IbLb0EEEEDaSS_ST_EUlSS_E_NS1_11comp_targetILNS1_3genE4ELNS1_11target_archE910ELNS1_3gpuE8ELNS1_3repE0EEENS1_30default_config_static_selectorELNS0_4arch9wavefront6targetE1EEEvT1_ ; -- Begin function _ZN7rocprim17ROCPRIM_400000_NS6detail17trampoline_kernelINS0_14default_configENS1_20scan_config_selectorIxEEZZNS1_9scan_implILNS1_25lookback_scan_determinismE0ELb1ELb1ES3_N6thrust23THRUST_200600_302600_NS6detail15normal_iteratorINS9_10device_ptrIxEEEENS9_16discard_iteratorINS9_11use_defaultEEEx11max_functorIxExEEDaPvRmT3_T4_T5_mT6_P12ihipStream_tbENKUlT_T0_E_clISt17integral_constantIbLb1EESW_IbLb0EEEEDaSS_ST_EUlSS_E_NS1_11comp_targetILNS1_3genE4ELNS1_11target_archE910ELNS1_3gpuE8ELNS1_3repE0EEENS1_30default_config_static_selectorELNS0_4arch9wavefront6targetE1EEEvT1_
	.globl	_ZN7rocprim17ROCPRIM_400000_NS6detail17trampoline_kernelINS0_14default_configENS1_20scan_config_selectorIxEEZZNS1_9scan_implILNS1_25lookback_scan_determinismE0ELb1ELb1ES3_N6thrust23THRUST_200600_302600_NS6detail15normal_iteratorINS9_10device_ptrIxEEEENS9_16discard_iteratorINS9_11use_defaultEEEx11max_functorIxExEEDaPvRmT3_T4_T5_mT6_P12ihipStream_tbENKUlT_T0_E_clISt17integral_constantIbLb1EESW_IbLb0EEEEDaSS_ST_EUlSS_E_NS1_11comp_targetILNS1_3genE4ELNS1_11target_archE910ELNS1_3gpuE8ELNS1_3repE0EEENS1_30default_config_static_selectorELNS0_4arch9wavefront6targetE1EEEvT1_
	.p2align	8
	.type	_ZN7rocprim17ROCPRIM_400000_NS6detail17trampoline_kernelINS0_14default_configENS1_20scan_config_selectorIxEEZZNS1_9scan_implILNS1_25lookback_scan_determinismE0ELb1ELb1ES3_N6thrust23THRUST_200600_302600_NS6detail15normal_iteratorINS9_10device_ptrIxEEEENS9_16discard_iteratorINS9_11use_defaultEEEx11max_functorIxExEEDaPvRmT3_T4_T5_mT6_P12ihipStream_tbENKUlT_T0_E_clISt17integral_constantIbLb1EESW_IbLb0EEEEDaSS_ST_EUlSS_E_NS1_11comp_targetILNS1_3genE4ELNS1_11target_archE910ELNS1_3gpuE8ELNS1_3repE0EEENS1_30default_config_static_selectorELNS0_4arch9wavefront6targetE1EEEvT1_,@function
_ZN7rocprim17ROCPRIM_400000_NS6detail17trampoline_kernelINS0_14default_configENS1_20scan_config_selectorIxEEZZNS1_9scan_implILNS1_25lookback_scan_determinismE0ELb1ELb1ES3_N6thrust23THRUST_200600_302600_NS6detail15normal_iteratorINS9_10device_ptrIxEEEENS9_16discard_iteratorINS9_11use_defaultEEEx11max_functorIxExEEDaPvRmT3_T4_T5_mT6_P12ihipStream_tbENKUlT_T0_E_clISt17integral_constantIbLb1EESW_IbLb0EEEEDaSS_ST_EUlSS_E_NS1_11comp_targetILNS1_3genE4ELNS1_11target_archE910ELNS1_3gpuE8ELNS1_3repE0EEENS1_30default_config_static_selectorELNS0_4arch9wavefront6targetE1EEEvT1_: ; @_ZN7rocprim17ROCPRIM_400000_NS6detail17trampoline_kernelINS0_14default_configENS1_20scan_config_selectorIxEEZZNS1_9scan_implILNS1_25lookback_scan_determinismE0ELb1ELb1ES3_N6thrust23THRUST_200600_302600_NS6detail15normal_iteratorINS9_10device_ptrIxEEEENS9_16discard_iteratorINS9_11use_defaultEEEx11max_functorIxExEEDaPvRmT3_T4_T5_mT6_P12ihipStream_tbENKUlT_T0_E_clISt17integral_constantIbLb1EESW_IbLb0EEEEDaSS_ST_EUlSS_E_NS1_11comp_targetILNS1_3genE4ELNS1_11target_archE910ELNS1_3gpuE8ELNS1_3repE0EEENS1_30default_config_static_selectorELNS0_4arch9wavefront6targetE1EEEvT1_
; %bb.0:
	s_load_dwordx4 s[0:3], s[4:5], 0x0
	s_load_dwordx4 s[16:19], s[4:5], 0x20
	s_load_dword s7, s[4:5], 0x40
	v_lshlrev_b32_e32 v1, 3, v0
	s_waitcnt lgkmcnt(0)
	s_lshl_b64 s[2:3], s[2:3], 3
	s_add_u32 s26, s0, s2
	s_addc_u32 s27, s1, s3
	s_add_i32 s2, s7, -1
	s_mul_i32 s3, s2, 0x380
	s_sub_u32 s24, s16, s3
	s_subb_u32 s25, s17, 0
	s_mul_i32 s0, s6, 0x380
	s_mov_b32 s1, 0
	s_cmp_lg_u32 s6, s2
	s_cselect_b64 s[16:17], -1, 0
	s_lshl_b64 s[0:1], s[0:1], 3
	s_add_u32 s0, s26, s0
	s_addc_u32 s1, s27, s1
	s_mov_b64 s[2:3], -1
	s_and_b64 vcc, exec, s[16:17]
	s_cbranch_vccz .LBB3820_2
; %bb.1:
	v_mov_b32_e32 v3, s1
	v_add_co_u32_e32 v2, vcc, s0, v1
	v_addc_co_u32_e32 v3, vcc, 0, v3, vcc
	flat_load_dwordx2 v[4:5], v[2:3]
	flat_load_dwordx2 v[6:7], v[2:3] offset:1024
	flat_load_dwordx2 v[8:9], v[2:3] offset:2048
	;; [unrolled: 1-line block ×3, first 2 shown]
	v_add_co_u32_e32 v2, vcc, 0x1000, v2
	v_addc_co_u32_e32 v3, vcc, 0, v3, vcc
	flat_load_dwordx2 v[12:13], v[2:3]
	flat_load_dwordx2 v[14:15], v[2:3] offset:1024
	flat_load_dwordx2 v[16:17], v[2:3] offset:2048
	s_mov_b64 s[2:3], 0
	s_waitcnt vmcnt(0) lgkmcnt(0)
	ds_write2st64_b64 v1, v[4:5], v[6:7] offset1:2
	ds_write2st64_b64 v1, v[8:9], v[10:11] offset0:4 offset1:6
	ds_write2st64_b64 v1, v[12:13], v[14:15] offset0:8 offset1:10
	ds_write_b64 v1, v[16:17] offset:6144
	s_waitcnt lgkmcnt(0)
	s_barrier
.LBB3820_2:
	s_load_dwordx2 s[20:21], s[4:5], 0x38
	s_andn2_b64 vcc, exec, s[2:3]
	s_cbranch_vccnz .LBB3820_18
; %bb.3:
	v_pk_mov_b32 v[2:3], s[0:1], s[0:1] op_sel:[0,1]
	flat_load_dwordx2 v[2:3], v[2:3]
	v_cmp_gt_u32_e32 vcc, s24, v0
	s_waitcnt vmcnt(0) lgkmcnt(0)
	v_mov_b32_e32 v4, v2
	v_mov_b32_e32 v5, v3
	;; [unrolled: 1-line block ×10, first 2 shown]
	v_pk_mov_b32 v[18:19], v[14:15], v[14:15] op_sel:[0,1]
	v_pk_mov_b32 v[16:17], v[12:13], v[12:13] op_sel:[0,1]
	;; [unrolled: 1-line block ×8, first 2 shown]
	s_and_saveexec_b64 s[2:3], vcc
	s_cbranch_execz .LBB3820_5
; %bb.4:
	v_mov_b32_e32 v5, s1
	v_add_co_u32_e32 v4, vcc, s0, v1
	v_addc_co_u32_e32 v5, vcc, 0, v5, vcc
	flat_load_dwordx2 v[20:21], v[4:5]
	v_mov_b32_e32 v4, v2
	v_mov_b32_e32 v5, v3
	;; [unrolled: 1-line block ×10, first 2 shown]
	v_pk_mov_b32 v[18:19], v[14:15], v[14:15] op_sel:[0,1]
	v_pk_mov_b32 v[16:17], v[12:13], v[12:13] op_sel:[0,1]
	;; [unrolled: 1-line block ×8, first 2 shown]
	s_waitcnt vmcnt(0) lgkmcnt(0)
	v_pk_mov_b32 v[2:3], v[20:21], v[20:21] op_sel:[0,1]
.LBB3820_5:
	s_or_b64 exec, exec, s[2:3]
	v_or_b32_e32 v4, 0x80, v0
	v_cmp_gt_u32_e32 vcc, s24, v4
	s_and_saveexec_b64 s[2:3], vcc
	s_cbranch_execz .LBB3820_7
; %bb.6:
	v_mov_b32_e32 v5, s1
	v_add_co_u32_e32 v4, vcc, s0, v1
	v_addc_co_u32_e32 v5, vcc, 0, v5, vcc
	flat_load_dwordx2 v[6:7], v[4:5] offset:1024
.LBB3820_7:
	s_or_b64 exec, exec, s[2:3]
	v_or_b32_e32 v4, 0x100, v0
	v_cmp_gt_u32_e32 vcc, s24, v4
	s_and_saveexec_b64 s[2:3], vcc
	s_cbranch_execz .LBB3820_9
; %bb.8:
	v_mov_b32_e32 v5, s1
	v_add_co_u32_e32 v4, vcc, s0, v1
	v_addc_co_u32_e32 v5, vcc, 0, v5, vcc
	flat_load_dwordx2 v[8:9], v[4:5] offset:2048
.LBB3820_9:
	;; [unrolled: 11-line block ×3, first 2 shown]
	s_or_b64 exec, exec, s[2:3]
	v_or_b32_e32 v4, 0x200, v0
	v_cmp_gt_u32_e32 vcc, s24, v4
	s_and_saveexec_b64 s[2:3], vcc
	s_cbranch_execz .LBB3820_13
; %bb.12:
	v_lshlrev_b32_e32 v4, 3, v4
	v_mov_b32_e32 v5, s1
	v_add_co_u32_e32 v4, vcc, s0, v4
	v_addc_co_u32_e32 v5, vcc, 0, v5, vcc
	flat_load_dwordx2 v[12:13], v[4:5]
.LBB3820_13:
	s_or_b64 exec, exec, s[2:3]
	v_or_b32_e32 v4, 0x280, v0
	v_cmp_gt_u32_e32 vcc, s24, v4
	s_and_saveexec_b64 s[2:3], vcc
	s_cbranch_execz .LBB3820_15
; %bb.14:
	v_lshlrev_b32_e32 v4, 3, v4
	v_mov_b32_e32 v5, s1
	v_add_co_u32_e32 v4, vcc, s0, v4
	v_addc_co_u32_e32 v5, vcc, 0, v5, vcc
	flat_load_dwordx2 v[14:15], v[4:5]
.LBB3820_15:
	;; [unrolled: 12-line block ×3, first 2 shown]
	s_or_b64 exec, exec, s[2:3]
	s_waitcnt vmcnt(0) lgkmcnt(0)
	ds_write2st64_b64 v1, v[2:3], v[6:7] offset1:2
	ds_write2st64_b64 v1, v[8:9], v[10:11] offset0:4 offset1:6
	ds_write2st64_b64 v1, v[12:13], v[14:15] offset0:8 offset1:10
	ds_write_b64 v1, v[16:17] offset:6144
	s_waitcnt lgkmcnt(0)
	s_barrier
.LBB3820_18:
	v_mul_u32_u24_e32 v36, 7, v0
	v_lshlrev_b32_e32 v37, 3, v36
	s_waitcnt lgkmcnt(0)
	ds_read2_b64 v[10:13], v37 offset1:1
	ds_read2_b64 v[6:9], v37 offset0:2 offset1:3
	ds_read2_b64 v[2:5], v37 offset0:4 offset1:5
	ds_read_b64 v[26:27], v37 offset:48
	s_cmp_lg_u32 s6, 0
	s_waitcnt lgkmcnt(3)
	v_cmp_gt_i64_e64 s[0:1], v[10:11], v[12:13]
	v_lshrrev_b32_e32 v1, 5, v0
	v_cmp_gt_u32_e32 vcc, 64, v0
	s_waitcnt lgkmcnt(0)
	s_barrier
	s_cbranch_scc0 .LBB3820_49
; %bb.19:
	v_cndmask_b32_e64 v15, v13, v11, s[0:1]
	v_cndmask_b32_e64 v14, v12, v10, s[0:1]
	v_cmp_gt_i64_e64 s[0:1], v[14:15], v[6:7]
	v_cndmask_b32_e64 v15, v7, v15, s[0:1]
	v_cndmask_b32_e64 v14, v6, v14, s[0:1]
	v_cmp_gt_i64_e64 s[0:1], v[14:15], v[8:9]
	;; [unrolled: 3-line block ×5, first 2 shown]
	v_cndmask_b32_e64 v23, v27, v15, s[0:1]
	v_cndmask_b32_e64 v22, v26, v14, s[0:1]
	v_add_lshl_u32 v14, v1, v0, 3
	ds_write_b64 v14, v[22:23]
	s_waitcnt lgkmcnt(0)
	s_barrier
	s_and_saveexec_b64 s[8:9], vcc
	s_cbranch_execz .LBB3820_23
; %bb.20:
	v_lshlrev_b32_e32 v14, 1, v0
	v_lshrrev_b32_e32 v15, 4, v0
	v_add_lshl_u32 v24, v15, v14, 3
	ds_read2_b64 v[14:17], v24 offset1:1
	v_mbcnt_lo_u32_b32 v18, -1, 0
	v_mbcnt_hi_u32_b32 v25, -1, v18
	v_and_b32_e32 v28, 15, v25
	v_and_b32_e32 v30, 16, v25
	s_waitcnt lgkmcnt(0)
	v_cmp_gt_i64_e64 s[0:1], v[14:15], v[16:17]
	v_cndmask_b32_e64 v17, v17, v15, s[0:1]
	v_cndmask_b32_e64 v16, v16, v14, s[0:1]
	v_cmp_ne_u32_e64 s[2:3], 0, v25
	v_mov_b32_dpp v19, v17 row_shr:1 row_mask:0xf bank_mask:0xf
	v_mov_b32_dpp v18, v16 row_shr:1 row_mask:0xf bank_mask:0xf
	v_cmp_gt_i64_e64 s[0:1], v[18:19], v[16:17]
	v_cndmask_b32_e64 v18, v16, v18, s[0:1]
	v_cndmask_b32_e64 v19, v17, v19, s[0:1]
	v_cmp_eq_u32_e64 s[0:1], 0, v28
	v_cndmask_b32_e64 v19, v19, v17, s[0:1]
	v_cndmask_b32_e64 v18, v18, v16, s[0:1]
	s_nop 0
	v_mov_b32_dpp v21, v19 row_shr:2 row_mask:0xf bank_mask:0xf
	v_mov_b32_dpp v20, v18 row_shr:2 row_mask:0xf bank_mask:0xf
	v_cmp_gt_i64_e64 s[0:1], v[20:21], v[18:19]
	v_cndmask_b32_e64 v20, v18, v20, s[0:1]
	v_cndmask_b32_e64 v21, v19, v21, s[0:1]
	v_cmp_lt_u32_e64 s[0:1], 1, v28
	v_cndmask_b32_e64 v19, v19, v21, s[0:1]
	v_cndmask_b32_e64 v18, v18, v20, s[0:1]
	s_nop 0
	v_mov_b32_dpp v21, v19 row_shr:4 row_mask:0xf bank_mask:0xf
	v_mov_b32_dpp v20, v18 row_shr:4 row_mask:0xf bank_mask:0xf
	v_cmp_gt_i64_e64 s[0:1], v[20:21], v[18:19]
	v_cndmask_b32_e64 v20, v18, v20, s[0:1]
	v_cndmask_b32_e64 v21, v19, v21, s[0:1]
	v_cmp_lt_u32_e64 s[0:1], 3, v28
	;; [unrolled: 9-line block ×3, first 2 shown]
	v_cndmask_b32_e64 v19, v19, v21, s[0:1]
	v_cndmask_b32_e64 v18, v18, v20, s[0:1]
	s_nop 0
	v_mov_b32_dpp v21, v19 row_bcast:15 row_mask:0xf bank_mask:0xf
	v_mov_b32_dpp v20, v18 row_bcast:15 row_mask:0xf bank_mask:0xf
	v_cmp_gt_i64_e64 s[0:1], v[20:21], v[18:19]
	v_cndmask_b32_e64 v28, v19, v21, s[0:1]
	v_cndmask_b32_e64 v29, v18, v20, s[0:1]
	v_cmp_eq_u32_e64 s[0:1], 0, v30
	v_cndmask_b32_e64 v21, v28, v19, s[0:1]
	v_cndmask_b32_e64 v20, v29, v18, s[0:1]
	s_nop 0
	v_mov_b32_dpp v21, v21 row_bcast:31 row_mask:0xf bank_mask:0xf
	v_mov_b32_dpp v20, v20 row_bcast:31 row_mask:0xf bank_mask:0xf
	s_and_saveexec_b64 s[10:11], s[2:3]
; %bb.21:
	v_cndmask_b32_e64 v17, v28, v19, s[0:1]
	v_cndmask_b32_e64 v16, v29, v18, s[0:1]
	v_cmp_lt_u32_e64 s[2:3], 31, v25
	v_cmp_gt_i64_e64 s[0:1], v[20:21], v[16:17]
	s_and_b64 s[0:1], s[2:3], s[0:1]
	v_cndmask_b32_e64 v16, v16, v20, s[0:1]
	v_cndmask_b32_e64 v17, v17, v21, s[0:1]
; %bb.22:
	s_or_b64 exec, exec, s[10:11]
	v_add_u32_e32 v18, -1, v25
	v_and_b32_e32 v19, 64, v25
	v_cmp_lt_i32_e64 s[0:1], v18, v19
	v_cndmask_b32_e64 v18, v18, v25, s[0:1]
	v_lshlrev_b32_e32 v18, 2, v18
	ds_bpermute_b32 v16, v18, v16
	ds_bpermute_b32 v17, v18, v17
	; wave barrier
	s_waitcnt lgkmcnt(0)
	v_cmp_gt_i64_e64 s[0:1], v[16:17], v[14:15]
	v_cndmask_b32_e64 v14, v14, v16, s[0:1]
	v_cndmask_b32_e64 v15, v15, v17, s[0:1]
	v_cmp_eq_u32_e64 s[0:1], 0, v0
	v_cndmask_b32_e64 v15, v15, v23, s[0:1]
	v_cndmask_b32_e64 v14, v14, v22, s[0:1]
	ds_write_b64 v24, v[14:15]
	; wave barrier
	ds_read_b64 v[16:17], v24 offset:8
	s_waitcnt lgkmcnt(0)
	v_cmp_gt_i64_e64 s[0:1], v[14:15], v[16:17]
	v_cndmask_b32_e64 v15, v17, v15, s[0:1]
	v_cndmask_b32_e64 v14, v16, v14, s[0:1]
	ds_write_b64 v24, v[14:15] offset:8
.LBB3820_23:
	s_or_b64 exec, exec, s[8:9]
	v_cmp_eq_u32_e64 s[0:1], 0, v0
	v_cmp_ne_u32_e64 s[2:3], 0, v0
	s_waitcnt lgkmcnt(0)
	s_barrier
	s_and_saveexec_b64 s[8:9], s[2:3]
	s_cbranch_execz .LBB3820_25
; %bb.24:
	v_add_u32_e32 v14, -1, v0
	v_lshrrev_b32_e32 v15, 5, v14
	v_add_lshl_u32 v14, v15, v14, 3
	ds_read_b64 v[22:23], v14
.LBB3820_25:
	s_or_b64 exec, exec, s[8:9]
	s_and_saveexec_b64 s[22:23], vcc
	s_cbranch_execz .LBB3820_48
; %bb.26:
	v_mov_b32_e32 v17, 0
	ds_read_b64 v[14:15], v17 offset:1040
	v_mbcnt_lo_u32_b32 v16, -1, 0
	v_mbcnt_hi_u32_b32 v25, -1, v16
	s_mov_b32 s11, 0
	v_cmp_eq_u32_e64 s[2:3], 0, v25
	s_and_saveexec_b64 s[8:9], s[2:3]
	s_cbranch_execz .LBB3820_28
; %bb.27:
	s_add_i32 s10, s6, 64
	s_lshl_b64 s[10:11], s[10:11], 4
	s_add_u32 s10, s20, s10
	s_addc_u32 s11, s21, s11
	v_mov_b32_e32 v16, 1
	v_pk_mov_b32 v[18:19], s[10:11], s[10:11] op_sel:[0,1]
	s_waitcnt lgkmcnt(0)
	;;#ASMSTART
	global_store_dwordx4 v[18:19], v[14:17] off	
s_waitcnt vmcnt(0)
	;;#ASMEND
.LBB3820_28:
	s_or_b64 exec, exec, s[8:9]
	v_xad_u32 v24, v25, -1, s6
	v_add_u32_e32 v16, 64, v24
	v_lshlrev_b64 v[18:19], 4, v[16:17]
	v_mov_b32_e32 v16, s21
	v_add_co_u32_e32 v28, vcc, s20, v18
	v_addc_co_u32_e32 v29, vcc, v16, v19, vcc
	;;#ASMSTART
	global_load_dwordx4 v[18:21], v[28:29] off glc	
s_waitcnt vmcnt(0)
	;;#ASMEND
	v_and_b32_e32 v16, 0xff, v19
	v_and_b32_e32 v21, 0xff00, v19
	v_or3_b32 v16, 0, v16, v21
	v_or3_b32 v18, v18, 0, 0
	v_and_b32_e32 v21, 0xff000000, v19
	v_and_b32_e32 v19, 0xff0000, v19
	v_or3_b32 v19, v16, v19, v21
	v_or3_b32 v18, v18, 0, 0
	v_cmp_eq_u16_sdwa s[10:11], v20, v17 src0_sel:BYTE_0 src1_sel:DWORD
	s_and_saveexec_b64 s[8:9], s[10:11]
	s_cbranch_execz .LBB3820_34
; %bb.29:
	s_mov_b32 s7, 1
	s_mov_b64 s[10:11], 0
	v_mov_b32_e32 v16, 0
.LBB3820_30:                            ; =>This Loop Header: Depth=1
                                        ;     Child Loop BB3820_31 Depth 2
	s_max_u32 s12, s7, 1
.LBB3820_31:                            ;   Parent Loop BB3820_30 Depth=1
                                        ; =>  This Inner Loop Header: Depth=2
	s_add_i32 s12, s12, -1
	s_cmp_eq_u32 s12, 0
	s_sleep 1
	s_cbranch_scc0 .LBB3820_31
; %bb.32:                               ;   in Loop: Header=BB3820_30 Depth=1
	s_cmp_lt_u32 s7, 32
	s_cselect_b64 s[12:13], -1, 0
	s_cmp_lg_u64 s[12:13], 0
	s_addc_u32 s7, s7, 0
	;;#ASMSTART
	global_load_dwordx4 v[18:21], v[28:29] off glc	
s_waitcnt vmcnt(0)
	;;#ASMEND
	v_cmp_ne_u16_sdwa s[12:13], v20, v16 src0_sel:BYTE_0 src1_sel:DWORD
	s_or_b64 s[10:11], s[12:13], s[10:11]
	s_andn2_b64 exec, exec, s[10:11]
	s_cbranch_execnz .LBB3820_30
; %bb.33:
	s_or_b64 exec, exec, s[10:11]
.LBB3820_34:
	s_or_b64 exec, exec, s[8:9]
	v_and_b32_e32 v33, 63, v25
	v_cmp_ne_u32_e32 vcc, 63, v33
	v_mov_b32_e32 v32, 2
	v_addc_co_u32_e32 v28, vcc, 0, v25, vcc
	v_cmp_eq_u16_sdwa s[8:9], v20, v32 src0_sel:BYTE_0 src1_sel:DWORD
	v_lshlrev_b64 v[16:17], v25, -1
	v_lshlrev_b32_e32 v34, 2, v28
	v_and_b32_e32 v21, s9, v17
	ds_bpermute_b32 v28, v34, v18
	ds_bpermute_b32 v29, v34, v19
	v_or_b32_e32 v21, 0x80000000, v21
	v_and_b32_e32 v30, s8, v16
	v_ffbl_b32_e32 v21, v21
	v_add_u32_e32 v21, 32, v21
	v_ffbl_b32_e32 v30, v30
	v_min_u32_e32 v21, v30, v21
	s_waitcnt lgkmcnt(0)
	v_cmp_gt_i64_e64 s[8:9], v[28:29], v[18:19]
	v_cmp_lt_u32_e32 vcc, v33, v21
	v_cndmask_b32_e64 v28, v18, v28, s[8:9]
	s_and_b64 s[8:9], vcc, s[8:9]
	v_cndmask_b32_e64 v29, v19, v29, s[8:9]
	v_cmp_gt_u32_e64 s[8:9], 62, v33
	v_cndmask_b32_e64 v30, 0, 1, s[8:9]
	v_lshlrev_b32_e32 v30, 1, v30
	v_cndmask_b32_e32 v28, v18, v28, vcc
	v_add_lshl_u32 v35, v30, v25, 2
	ds_bpermute_b32 v30, v35, v28
	ds_bpermute_b32 v31, v35, v29
	v_add_u32_e32 v38, 2, v33
	v_cmp_gt_u32_e64 s[10:11], 56, v33
	v_add_u32_e32 v40, 4, v33
	v_cndmask_b32_e64 v41, 0, 1, s[10:11]
	s_waitcnt lgkmcnt(0)
	v_cmp_gt_i64_e64 s[8:9], v[30:31], v[28:29]
	v_cndmask_b32_e64 v31, v29, v31, s[8:9]
	v_cndmask_b32_e64 v30, v28, v30, s[8:9]
	v_cmp_gt_u32_e64 s[8:9], v38, v21
	v_cndmask_b32_e64 v28, v30, v28, s[8:9]
	v_cndmask_b32_e64 v29, v31, v29, s[8:9]
	v_cmp_gt_u32_e64 s[8:9], 60, v33
	v_cndmask_b32_e64 v30, 0, 1, s[8:9]
	v_lshlrev_b32_e32 v30, 2, v30
	v_add_lshl_u32 v39, v30, v25, 2
	ds_bpermute_b32 v30, v39, v28
	ds_bpermute_b32 v31, v39, v29
	v_lshlrev_b32_e32 v41, 3, v41
	v_add_lshl_u32 v41, v41, v25, 2
	v_cmp_gt_u32_e64 s[12:13], 48, v33
	v_add_u32_e32 v42, 8, v33
	s_waitcnt lgkmcnt(0)
	v_cmp_gt_i64_e64 s[8:9], v[30:31], v[28:29]
	v_cndmask_b32_e64 v50, v29, v31, s[8:9]
	v_cndmask_b32_e64 v51, v28, v30, s[8:9]
	v_cmp_gt_u32_e64 s[8:9], v40, v21
	v_cndmask_b32_e64 v30, v51, v28, s[8:9]
	v_cndmask_b32_e64 v31, v50, v29, s[8:9]
	ds_bpermute_b32 v44, v41, v30
	ds_bpermute_b32 v45, v41, v31
	v_cndmask_b32_e64 v43, 0, 1, s[12:13]
	v_lshlrev_b32_e32 v43, 4, v43
	v_add_lshl_u32 v43, v43, v25, 2
	v_cmp_gt_u32_e64 s[14:15], 32, v33
	s_waitcnt lgkmcnt(0)
	v_cmp_gt_i64_e64 s[10:11], v[44:45], v[30:31]
	v_cndmask_b32_e64 v52, v31, v45, s[10:11]
	v_cndmask_b32_e64 v53, v30, v44, s[10:11]
	v_cmp_gt_u32_e64 s[10:11], v42, v21
	v_cndmask_b32_e64 v30, v53, v30, s[10:11]
	v_cndmask_b32_e64 v31, v52, v31, s[10:11]
	ds_bpermute_b32 v46, v43, v30
	ds_bpermute_b32 v47, v43, v31
	v_add_u32_e32 v44, 16, v33
	v_cndmask_b32_e64 v45, 0, 1, s[14:15]
	v_lshlrev_b32_e32 v45, 5, v45
	v_add_lshl_u32 v45, v45, v25, 2
	s_waitcnt lgkmcnt(0)
	v_cmp_gt_i64_e64 s[12:13], v[46:47], v[30:31]
	v_cndmask_b32_e64 v47, v31, v47, s[12:13]
	v_cndmask_b32_e64 v54, v30, v46, s[12:13]
	v_cmp_gt_u32_e64 s[12:13], v44, v21
	v_cndmask_b32_e64 v30, v54, v30, s[12:13]
	v_cndmask_b32_e64 v31, v47, v31, s[12:13]
	ds_bpermute_b32 v48, v45, v30
	ds_bpermute_b32 v49, v45, v31
	v_cndmask_b32_e32 v19, v19, v29, vcc
	v_cndmask_b32_e32 v18, v18, v28, vcc
	v_cndmask_b32_e64 v18, v51, v18, s[8:9]
	v_cndmask_b32_e64 v19, v50, v19, s[8:9]
	v_add_u32_e32 v46, 32, v33
	s_waitcnt lgkmcnt(0)
	v_cmp_gt_i64_e64 s[14:15], v[48:49], v[30:31]
	v_cndmask_b32_e64 v19, v52, v19, s[10:11]
	v_cndmask_b32_e64 v18, v53, v18, s[10:11]
	v_cndmask_b32_e64 v25, v30, v48, s[14:15]
	v_cndmask_b32_e64 v30, v31, v49, s[14:15]
	v_cndmask_b32_e64 v18, v54, v18, s[12:13]
	v_cndmask_b32_e64 v19, v47, v19, s[12:13]
	v_cmp_gt_u32_e32 vcc, v46, v21
	v_cndmask_b32_e32 v19, v30, v19, vcc
	v_cndmask_b32_e32 v18, v25, v18, vcc
	v_mov_b32_e32 v25, 0
	s_branch .LBB3820_36
.LBB3820_35:                            ;   in Loop: Header=BB3820_36 Depth=1
	s_or_b64 exec, exec, s[8:9]
	v_cmp_eq_u16_sdwa s[8:9], v20, v32 src0_sel:BYTE_0 src1_sel:DWORD
	v_and_b32_e32 v21, s9, v17
	ds_bpermute_b32 v30, v34, v18
	ds_bpermute_b32 v31, v34, v19
	v_or_b32_e32 v21, 0x80000000, v21
	v_and_b32_e32 v47, s8, v16
	v_ffbl_b32_e32 v21, v21
	v_add_u32_e32 v21, 32, v21
	v_ffbl_b32_e32 v47, v47
	v_min_u32_e32 v21, v47, v21
	s_waitcnt lgkmcnt(0)
	v_cmp_gt_i64_e32 vcc, v[30:31], v[18:19]
	v_cmp_lt_u32_e64 s[8:9], v33, v21
	v_cndmask_b32_e32 v30, v18, v30, vcc
	s_and_b64 vcc, s[8:9], vcc
	v_cndmask_b32_e64 v30, v18, v30, s[8:9]
	v_cndmask_b32_e32 v31, v19, v31, vcc
	ds_bpermute_b32 v48, v35, v30
	ds_bpermute_b32 v49, v35, v31
	v_subrev_u32_e32 v24, 64, v24
	s_waitcnt lgkmcnt(0)
	v_cmp_gt_i64_e32 vcc, v[48:49], v[30:31]
	v_cndmask_b32_e32 v47, v31, v49, vcc
	v_cndmask_b32_e32 v48, v30, v48, vcc
	v_cmp_gt_u32_e32 vcc, v38, v21
	v_cndmask_b32_e32 v30, v48, v30, vcc
	v_cndmask_b32_e32 v31, v47, v31, vcc
	ds_bpermute_b32 v48, v39, v30
	ds_bpermute_b32 v49, v39, v31
	v_cndmask_b32_e64 v19, v19, v31, s[8:9]
	v_cndmask_b32_e64 v18, v18, v30, s[8:9]
	s_waitcnt lgkmcnt(0)
	v_cmp_gt_i64_e32 vcc, v[48:49], v[30:31]
	v_cndmask_b32_e32 v47, v31, v49, vcc
	v_cndmask_b32_e32 v52, v30, v48, vcc
	v_cmp_gt_u32_e32 vcc, v40, v21
	v_cndmask_b32_e32 v48, v52, v30, vcc
	v_cndmask_b32_e32 v49, v47, v31, vcc
	ds_bpermute_b32 v50, v41, v48
	ds_bpermute_b32 v51, v41, v49
	v_cndmask_b32_e32 v18, v52, v18, vcc
	v_cndmask_b32_e32 v19, v47, v19, vcc
	v_cmp_gt_u32_e32 vcc, v46, v21
	s_waitcnt lgkmcnt(0)
	v_cmp_gt_i64_e64 s[10:11], v[50:51], v[48:49]
	v_cndmask_b32_e64 v53, v49, v51, s[10:11]
	v_cndmask_b32_e64 v54, v48, v50, s[10:11]
	v_cmp_gt_u32_e64 s[10:11], v42, v21
	v_cndmask_b32_e64 v48, v54, v48, s[10:11]
	v_cndmask_b32_e64 v49, v53, v49, s[10:11]
	ds_bpermute_b32 v50, v43, v48
	ds_bpermute_b32 v51, v43, v49
	v_cndmask_b32_e64 v19, v53, v19, s[10:11]
	v_cndmask_b32_e64 v18, v54, v18, s[10:11]
	s_waitcnt lgkmcnt(0)
	v_cmp_gt_i64_e64 s[12:13], v[50:51], v[48:49]
	v_cndmask_b32_e64 v55, v49, v51, s[12:13]
	v_cndmask_b32_e64 v56, v48, v50, s[12:13]
	v_cmp_gt_u32_e64 s[12:13], v44, v21
	v_cndmask_b32_e64 v48, v56, v48, s[12:13]
	v_cndmask_b32_e64 v49, v55, v49, s[12:13]
	ds_bpermute_b32 v50, v45, v48
	ds_bpermute_b32 v51, v45, v49
	v_cndmask_b32_e64 v18, v56, v18, s[12:13]
	v_cndmask_b32_e64 v19, v55, v19, s[12:13]
	s_waitcnt lgkmcnt(0)
	v_cmp_gt_i64_e64 s[14:15], v[50:51], v[48:49]
	v_cndmask_b32_e64 v48, v48, v50, s[14:15]
	v_cndmask_b32_e64 v49, v49, v51, s[14:15]
	v_cndmask_b32_e32 v19, v49, v19, vcc
	v_cndmask_b32_e32 v18, v48, v18, vcc
	v_cmp_gt_i64_e32 vcc, v[18:19], v[28:29]
	v_cndmask_b32_e32 v19, v29, v19, vcc
	v_cndmask_b32_e32 v18, v28, v18, vcc
.LBB3820_36:                            ; =>This Loop Header: Depth=1
                                        ;     Child Loop BB3820_39 Depth 2
                                        ;       Child Loop BB3820_40 Depth 3
	v_cmp_ne_u16_sdwa s[8:9], v20, v32 src0_sel:BYTE_0 src1_sel:DWORD
	v_cndmask_b32_e64 v20, 0, 1, s[8:9]
	;;#ASMSTART
	;;#ASMEND
	v_cmp_ne_u32_e32 vcc, 0, v20
	s_cmp_lg_u64 vcc, exec
	v_pk_mov_b32 v[28:29], v[18:19], v[18:19] op_sel:[0,1]
	s_cbranch_scc1 .LBB3820_43
; %bb.37:                               ;   in Loop: Header=BB3820_36 Depth=1
	v_lshlrev_b64 v[18:19], 4, v[24:25]
	v_mov_b32_e32 v20, s21
	v_add_co_u32_e32 v30, vcc, s20, v18
	v_addc_co_u32_e32 v31, vcc, v20, v19, vcc
	;;#ASMSTART
	global_load_dwordx4 v[18:21], v[30:31] off glc	
s_waitcnt vmcnt(0)
	;;#ASMEND
	v_and_b32_e32 v21, 0xff, v19
	v_and_b32_e32 v47, 0xff00, v19
	v_or3_b32 v21, 0, v21, v47
	v_or3_b32 v18, v18, 0, 0
	v_and_b32_e32 v47, 0xff000000, v19
	v_and_b32_e32 v19, 0xff0000, v19
	v_or3_b32 v19, v21, v19, v47
	v_or3_b32 v18, v18, 0, 0
	v_cmp_eq_u16_sdwa s[10:11], v20, v25 src0_sel:BYTE_0 src1_sel:DWORD
	s_and_saveexec_b64 s[8:9], s[10:11]
	s_cbranch_execz .LBB3820_35
; %bb.38:                               ;   in Loop: Header=BB3820_36 Depth=1
	s_mov_b32 s7, 1
	s_mov_b64 s[10:11], 0
.LBB3820_39:                            ;   Parent Loop BB3820_36 Depth=1
                                        ; =>  This Loop Header: Depth=2
                                        ;       Child Loop BB3820_40 Depth 3
	s_max_u32 s12, s7, 1
.LBB3820_40:                            ;   Parent Loop BB3820_36 Depth=1
                                        ;     Parent Loop BB3820_39 Depth=2
                                        ; =>    This Inner Loop Header: Depth=3
	s_add_i32 s12, s12, -1
	s_cmp_eq_u32 s12, 0
	s_sleep 1
	s_cbranch_scc0 .LBB3820_40
; %bb.41:                               ;   in Loop: Header=BB3820_39 Depth=2
	s_cmp_lt_u32 s7, 32
	s_cselect_b64 s[12:13], -1, 0
	s_cmp_lg_u64 s[12:13], 0
	s_addc_u32 s7, s7, 0
	;;#ASMSTART
	global_load_dwordx4 v[18:21], v[30:31] off glc	
s_waitcnt vmcnt(0)
	;;#ASMEND
	v_cmp_ne_u16_sdwa s[12:13], v20, v25 src0_sel:BYTE_0 src1_sel:DWORD
	s_or_b64 s[10:11], s[12:13], s[10:11]
	s_andn2_b64 exec, exec, s[10:11]
	s_cbranch_execnz .LBB3820_39
; %bb.42:                               ;   in Loop: Header=BB3820_36 Depth=1
	s_or_b64 exec, exec, s[10:11]
	s_branch .LBB3820_35
.LBB3820_43:                            ;   in Loop: Header=BB3820_36 Depth=1
                                        ; implicit-def: $vgpr18_vgpr19
                                        ; implicit-def: $vgpr20
	s_cbranch_execz .LBB3820_36
; %bb.44:
	s_and_saveexec_b64 s[8:9], s[2:3]
	s_cbranch_execz .LBB3820_46
; %bb.45:
	s_add_i32 s2, s6, 64
	s_mov_b32 s3, 0
	s_lshl_b64 s[2:3], s[2:3], 4
	s_add_u32 s2, s20, s2
	v_cmp_gt_i64_e32 vcc, v[28:29], v[14:15]
	s_addc_u32 s3, s21, s3
	v_cndmask_b32_e32 v15, v15, v29, vcc
	v_cndmask_b32_e32 v14, v14, v28, vcc
	v_mov_b32_e32 v16, 2
	v_mov_b32_e32 v17, 0
	v_pk_mov_b32 v[18:19], s[2:3], s[2:3] op_sel:[0,1]
	;;#ASMSTART
	global_store_dwordx4 v[18:19], v[14:17] off	
s_waitcnt vmcnt(0)
	;;#ASMEND
.LBB3820_46:
	s_or_b64 exec, exec, s[8:9]
	s_and_b64 exec, exec, s[0:1]
	s_cbranch_execz .LBB3820_48
; %bb.47:
	v_mov_b32_e32 v14, 0
	ds_write_b64 v14, v[28:29]
.LBB3820_48:
	s_or_b64 exec, exec, s[22:23]
	v_mov_b32_e32 v14, 0
	s_waitcnt lgkmcnt(0)
	s_barrier
	ds_read_b64 v[14:15], v14
	s_waitcnt lgkmcnt(0)
	v_cmp_gt_i64_e32 vcc, v[14:15], v[22:23]
	v_cndmask_b32_e32 v16, v22, v14, vcc
	v_cndmask_b32_e32 v17, v23, v15, vcc
	v_cndmask_b32_e64 v15, v17, v15, s[0:1]
	v_cndmask_b32_e64 v14, v16, v14, s[0:1]
	v_cmp_gt_i64_e32 vcc, v[14:15], v[10:11]
	v_cndmask_b32_e32 v29, v11, v15, vcc
	v_cndmask_b32_e32 v28, v10, v14, vcc
	v_cmp_gt_i64_e32 vcc, v[28:29], v[12:13]
	v_cndmask_b32_e32 v19, v13, v29, vcc
	v_cndmask_b32_e32 v18, v12, v28, vcc
	;; [unrolled: 3-line block ×6, first 2 shown]
	s_load_dwordx8 s[0:7], s[4:5], 0x48
	s_branch .LBB3820_61
.LBB3820_49:
                                        ; implicit-def: $vgpr34_vgpr35
                                        ; implicit-def: $vgpr32_vgpr33
                                        ; implicit-def: $vgpr30_vgpr31
                                        ; implicit-def: $vgpr28_vgpr29
                                        ; implicit-def: $vgpr22_vgpr23_vgpr24_vgpr25
                                        ; implicit-def: $vgpr18_vgpr19_vgpr20_vgpr21
                                        ; implicit-def: $vgpr14_vgpr15_vgpr16_vgpr17
	s_load_dwordx8 s[0:7], s[4:5], 0x48
	s_cbranch_execz .LBB3820_61
; %bb.50:
	s_waitcnt lgkmcnt(0)
	s_cmp_eq_u64 s[4:5], 0
	v_pk_mov_b32 v[20:21], s[18:19], s[18:19] op_sel:[0,1]
	s_cbranch_scc1 .LBB3820_52
; %bb.51:
	v_mov_b32_e32 v17, s27
	v_add_co_u32_e64 v16, vcc, -8, s26
	v_mov_b32_e32 v14, 0
	v_addc_co_u32_e32 v17, vcc, -1, v17, vcc
	global_load_dwordx2 v[14:15], v14, s[0:1]
	s_nop 0
	flat_load_dwordx2 v[16:17], v[16:17]
	s_waitcnt vmcnt(0) lgkmcnt(0)
	v_cmp_gt_i64_e32 vcc, v[14:15], v[16:17]
	v_cndmask_b32_e32 v21, v17, v15, vcc
	v_cndmask_b32_e32 v20, v16, v14, vcc
.LBB3820_52:
	v_cmp_gt_i64_e32 vcc, v[10:11], v[12:13]
	v_cndmask_b32_e32 v15, v13, v11, vcc
	v_cndmask_b32_e32 v14, v12, v10, vcc
	v_cmp_gt_i64_e32 vcc, v[14:15], v[6:7]
	v_cndmask_b32_e32 v15, v7, v15, vcc
	v_cndmask_b32_e32 v14, v6, v14, vcc
	;; [unrolled: 3-line block ×6, first 2 shown]
	v_add_lshl_u32 v1, v1, v0, 3
	v_cmp_gt_u32_e32 vcc, 64, v0
	ds_write_b64 v1, v[18:19]
	s_waitcnt lgkmcnt(0)
	s_barrier
	s_and_saveexec_b64 s[4:5], vcc
	s_cbranch_execz .LBB3820_56
; %bb.53:
	v_lshlrev_b32_e32 v1, 1, v0
	v_lshrrev_b32_e32 v14, 4, v0
	v_add_lshl_u32 v1, v14, v1, 3
	ds_read2_b64 v[14:17], v1 offset1:1
	v_mbcnt_lo_u32_b32 v22, -1, 0
	v_mbcnt_hi_u32_b32 v26, -1, v22
	v_and_b32_e32 v27, 15, v26
	v_and_b32_e32 v29, 16, v26
	s_waitcnt lgkmcnt(0)
	v_cmp_gt_i64_e32 vcc, v[14:15], v[16:17]
	v_cndmask_b32_e32 v17, v17, v15, vcc
	v_cndmask_b32_e32 v16, v16, v14, vcc
	v_cmp_ne_u32_e64 s[0:1], 0, v26
	v_mov_b32_dpp v23, v17 row_shr:1 row_mask:0xf bank_mask:0xf
	v_mov_b32_dpp v22, v16 row_shr:1 row_mask:0xf bank_mask:0xf
	v_cmp_gt_i64_e32 vcc, v[22:23], v[16:17]
	v_cndmask_b32_e32 v22, v16, v22, vcc
	v_cndmask_b32_e32 v23, v17, v23, vcc
	v_cmp_eq_u32_e32 vcc, 0, v27
	v_cndmask_b32_e32 v23, v23, v17, vcc
	v_cndmask_b32_e32 v22, v22, v16, vcc
	s_nop 0
	v_mov_b32_dpp v25, v23 row_shr:2 row_mask:0xf bank_mask:0xf
	v_mov_b32_dpp v24, v22 row_shr:2 row_mask:0xf bank_mask:0xf
	v_cmp_gt_i64_e32 vcc, v[24:25], v[22:23]
	v_cndmask_b32_e32 v24, v22, v24, vcc
	v_cndmask_b32_e32 v25, v23, v25, vcc
	v_cmp_lt_u32_e32 vcc, 1, v27
	v_cndmask_b32_e32 v23, v23, v25, vcc
	v_cndmask_b32_e32 v22, v22, v24, vcc
	s_nop 0
	v_mov_b32_dpp v25, v23 row_shr:4 row_mask:0xf bank_mask:0xf
	v_mov_b32_dpp v24, v22 row_shr:4 row_mask:0xf bank_mask:0xf
	v_cmp_gt_i64_e32 vcc, v[24:25], v[22:23]
	v_cndmask_b32_e32 v24, v22, v24, vcc
	v_cndmask_b32_e32 v25, v23, v25, vcc
	v_cmp_lt_u32_e32 vcc, 3, v27
	;; [unrolled: 9-line block ×3, first 2 shown]
	v_cndmask_b32_e32 v23, v23, v25, vcc
	v_cndmask_b32_e32 v22, v22, v24, vcc
	s_nop 0
	v_mov_b32_dpp v25, v23 row_bcast:15 row_mask:0xf bank_mask:0xf
	v_mov_b32_dpp v24, v22 row_bcast:15 row_mask:0xf bank_mask:0xf
	v_cmp_gt_i64_e32 vcc, v[24:25], v[22:23]
	v_cndmask_b32_e32 v27, v23, v25, vcc
	v_cndmask_b32_e32 v28, v22, v24, vcc
	v_cmp_eq_u32_e32 vcc, 0, v29
	v_cndmask_b32_e32 v25, v27, v23, vcc
	v_cndmask_b32_e32 v24, v28, v22, vcc
	s_nop 0
	v_mov_b32_dpp v25, v25 row_bcast:31 row_mask:0xf bank_mask:0xf
	v_mov_b32_dpp v24, v24 row_bcast:31 row_mask:0xf bank_mask:0xf
	s_and_saveexec_b64 s[8:9], s[0:1]
; %bb.54:
	v_cndmask_b32_e32 v17, v27, v23, vcc
	v_cndmask_b32_e32 v16, v28, v22, vcc
	v_cmp_lt_u32_e64 s[0:1], 31, v26
	v_cmp_gt_i64_e32 vcc, v[24:25], v[16:17]
	s_and_b64 vcc, s[0:1], vcc
	v_cndmask_b32_e32 v16, v16, v24, vcc
	v_cndmask_b32_e32 v17, v17, v25, vcc
; %bb.55:
	s_or_b64 exec, exec, s[8:9]
	v_add_u32_e32 v22, -1, v26
	v_and_b32_e32 v23, 64, v26
	v_cmp_lt_i32_e32 vcc, v22, v23
	v_cndmask_b32_e32 v22, v22, v26, vcc
	v_lshlrev_b32_e32 v22, 2, v22
	ds_bpermute_b32 v16, v22, v16
	ds_bpermute_b32 v17, v22, v17
	; wave barrier
	s_waitcnt lgkmcnt(0)
	v_cmp_gt_i64_e32 vcc, v[16:17], v[14:15]
	v_cndmask_b32_e32 v14, v14, v16, vcc
	v_cndmask_b32_e32 v15, v15, v17, vcc
	v_cmp_eq_u32_e32 vcc, 0, v0
	v_cndmask_b32_e32 v15, v15, v19, vcc
	v_cndmask_b32_e32 v14, v14, v18, vcc
	ds_write_b64 v1, v[14:15]
	; wave barrier
	ds_read_b64 v[16:17], v1 offset:8
	s_waitcnt lgkmcnt(0)
	v_cmp_gt_i64_e32 vcc, v[14:15], v[16:17]
	v_cndmask_b32_e32 v15, v17, v15, vcc
	v_cndmask_b32_e32 v14, v16, v14, vcc
	ds_write_b64 v1, v[14:15] offset:8
.LBB3820_56:
	s_or_b64 exec, exec, s[4:5]
	v_cmp_eq_u32_e32 vcc, 0, v0
	v_cmp_ne_u32_e64 s[0:1], 0, v0
	v_pk_mov_b32 v[14:15], v[20:21], v[20:21] op_sel:[0,1]
	s_waitcnt lgkmcnt(0)
	s_barrier
	s_and_saveexec_b64 s[4:5], s[0:1]
	s_cbranch_execz .LBB3820_58
; %bb.57:
	v_add_u32_e32 v1, -1, v0
	v_lshrrev_b32_e32 v14, 5, v1
	v_add_lshl_u32 v1, v14, v1, 3
	ds_read_b64 v[14:15], v1
	s_waitcnt lgkmcnt(0)
	v_cmp_gt_i64_e64 s[0:1], v[20:21], v[14:15]
	v_cndmask_b32_e64 v15, v15, v21, s[0:1]
	v_cndmask_b32_e64 v14, v14, v20, s[0:1]
.LBB3820_58:
	s_or_b64 exec, exec, s[4:5]
	v_cmp_gt_i64_e64 s[0:1], v[14:15], v[10:11]
	v_cndmask_b32_e64 v29, v11, v15, s[0:1]
	v_cndmask_b32_e64 v28, v10, v14, s[0:1]
	v_cmp_gt_i64_e64 s[0:1], v[28:29], v[12:13]
	v_cndmask_b32_e64 v19, v13, v29, s[0:1]
	v_cndmask_b32_e64 v18, v12, v28, s[0:1]
	v_cmp_gt_i64_e64 s[0:1], v[18:19], v[6:7]
	v_cndmask_b32_e64 v31, v7, v19, s[0:1]
	v_cndmask_b32_e64 v30, v6, v18, s[0:1]
	v_cmp_gt_i64_e64 s[0:1], v[30:31], v[8:9]
	v_cndmask_b32_e64 v23, v9, v31, s[0:1]
	v_cndmask_b32_e64 v22, v8, v30, s[0:1]
	v_cmp_gt_i64_e64 s[0:1], v[22:23], v[2:3]
	v_cndmask_b32_e64 v33, v3, v23, s[0:1]
	v_cndmask_b32_e64 v32, v2, v22, s[0:1]
	v_cmp_gt_i64_e64 s[0:1], v[32:33], v[4:5]
	v_cndmask_b32_e64 v35, v5, v33, s[0:1]
	v_cndmask_b32_e64 v34, v4, v32, s[0:1]
	s_and_saveexec_b64 s[0:1], vcc
	s_cbranch_execz .LBB3820_60
; %bb.59:
	v_mov_b32_e32 v5, 0
	ds_read_b64 v[2:3], v5 offset:1040
	s_add_u32 s4, s20, 0x400
	s_addc_u32 s5, s21, 0
	v_mov_b32_e32 v4, 2
	v_pk_mov_b32 v[6:7], s[4:5], s[4:5] op_sel:[0,1]
	s_waitcnt lgkmcnt(0)
	v_cmp_gt_i64_e32 vcc, v[20:21], v[2:3]
	v_cndmask_b32_e32 v3, v3, v21, vcc
	v_cndmask_b32_e32 v2, v2, v20, vcc
	;;#ASMSTART
	global_store_dwordx4 v[6:7], v[2:5] off	
s_waitcnt vmcnt(0)
	;;#ASMEND
.LBB3820_60:
	s_or_b64 exec, exec, s[0:1]
.LBB3820_61:
	s_waitcnt lgkmcnt(0)
	s_mov_b64 s[0:1], -1
	s_and_b64 vcc, exec, s[16:17]
	s_barrier
	ds_write2_b64 v37, v[14:15], v[28:29] offset1:1
	ds_write2_b64 v37, v[18:19], v[30:31] offset0:2 offset1:3
	ds_write2_b64 v37, v[22:23], v[32:33] offset0:4 offset1:5
	ds_write_b64 v37, v[34:35] offset:48
	s_waitcnt lgkmcnt(0)
	s_cbranch_vccz .LBB3820_63
; %bb.62:
	s_barrier
	s_mov_b64 s[0:1], 0
.LBB3820_63:
	s_andn2_b64 vcc, exec, s[0:1]
	s_cbranch_vccnz .LBB3820_88
; %bb.64:
	v_cmp_lt_u64_e64 s[0:1], s[6:7], 2
	s_and_b64 vcc, exec, s[0:1]
	s_barrier
	s_cbranch_vccnz .LBB3820_88
; %bb.65:
	s_add_u32 s0, s24, -1
	s_addc_u32 s1, s25, -1
	s_add_u32 s4, 0, 0x92481000
	s_addc_u32 s5, 0, 0x64
	s_add_i32 s5, s5, 0x249248c0
	s_mul_hi_u32 s9, s4, -7
	s_sub_i32 s9, s9, s4
	s_mul_i32 s10, s5, -7
	s_mul_i32 s6, s4, -7
	s_add_i32 s9, s9, s10
	s_mul_hi_u32 s7, s5, s6
	s_mul_i32 s8, s5, s6
	s_mul_i32 s11, s4, s9
	s_mul_hi_u32 s6, s4, s6
	s_mul_hi_u32 s10, s4, s9
	s_add_u32 s6, s6, s11
	s_addc_u32 s10, 0, s10
	s_add_u32 s6, s6, s8
	s_mul_hi_u32 s11, s5, s9
	s_addc_u32 s6, s10, s7
	s_addc_u32 s7, s11, 0
	s_mul_i32 s8, s5, s9
	s_add_u32 s6, s6, s8
	v_mov_b32_e32 v2, s6
	s_addc_u32 s7, 0, s7
	v_add_co_u32_e32 v2, vcc, s4, v2
	s_cmp_lg_u64 vcc, 0
	s_addc_u32 s4, s5, s7
	v_readfirstlane_b32 s7, v2
	s_mul_i32 s6, s0, s4
	s_mul_hi_u32 s8, s0, s7
	s_mul_hi_u32 s5, s0, s4
	s_add_u32 s6, s8, s6
	s_addc_u32 s5, 0, s5
	s_mul_hi_u32 s9, s1, s7
	s_mul_i32 s7, s1, s7
	s_add_u32 s6, s6, s7
	s_mul_hi_u32 s8, s1, s4
	s_addc_u32 s5, s5, s9
	s_addc_u32 s6, s8, 0
	s_mul_i32 s4, s1, s4
	s_add_u32 s4, s5, s4
	s_addc_u32 s5, 0, s6
	s_add_u32 s6, s4, 1
	s_addc_u32 s7, s5, 0
	s_add_u32 s8, s4, 2
	s_mul_i32 s10, s5, 7
	s_mul_hi_u32 s11, s4, 7
	s_addc_u32 s9, s5, 0
	s_add_i32 s11, s11, s10
	s_mul_i32 s10, s4, 7
	v_mov_b32_e32 v2, s10
	v_sub_co_u32_e32 v2, vcc, s0, v2
	s_cmp_lg_u64 vcc, 0
	s_subb_u32 s10, s1, s11
	v_subrev_co_u32_e32 v3, vcc, 7, v2
	s_cmp_lg_u64 vcc, 0
	s_subb_u32 s11, s10, 0
	v_readfirstlane_b32 s12, v3
	s_cmp_gt_u32 s12, 6
	s_cselect_b32 s12, -1, 0
	s_cmp_eq_u32 s11, 0
	s_cselect_b32 s11, s12, -1
	s_cmp_lg_u32 s11, 0
	s_cselect_b32 s6, s8, s6
	v_readfirstlane_b32 s8, v2
	s_cselect_b32 s7, s9, s7
	s_cmp_gt_u32 s8, 6
	s_cselect_b32 s8, -1, 0
	s_cmp_eq_u32 s10, 0
	s_cselect_b32 s8, s8, -1
	s_cmp_lg_u32 s8, 0
	v_mov_b32_e32 v1, 0
	s_cselect_b32 s5, s7, s5
	s_cselect_b32 s4, s6, s4
	v_cmp_eq_u64_e32 vcc, s[4:5], v[0:1]
	s_and_saveexec_b64 s[4:5], vcc
	s_cbranch_execz .LBB3820_88
; %bb.66:
	s_movk_i32 s4, 0xffd0
	v_mad_i32_i24 v2, v0, s4, v37
	v_mul_hi_u32_u24_e32 v1, 7, v0
	v_mov_b32_e32 v3, s1
	v_sub_co_u32_e32 v0, vcc, s0, v36
	v_subb_co_u32_e32 v1, vcc, v3, v1, vcc
	v_cmp_lt_i64_e32 vcc, 3, v[0:1]
	s_and_saveexec_b64 s[0:1], vcc
	s_xor_b64 s[0:1], exec, s[0:1]
	s_cbranch_execz .LBB3820_76
; %bb.67:
	v_cmp_lt_i64_e32 vcc, 4, v[0:1]
	s_and_saveexec_b64 s[4:5], vcc
	s_xor_b64 s[4:5], exec, s[4:5]
	s_cbranch_execz .LBB3820_73
; %bb.68:
	;; [unrolled: 5-line block ×3, first 2 shown]
	ds_read_b64 v[0:1], v2 offset:6144
	v_mov_b32_e32 v2, 0
	s_waitcnt lgkmcnt(0)
	global_store_dwordx2 v2, v[0:1], s[2:3]
                                        ; implicit-def: $vgpr2
.LBB3820_70:
	s_andn2_saveexec_b64 s[6:7], s[6:7]
	s_cbranch_execz .LBB3820_72
; %bb.71:
	ds_read_b64 v[0:1], v2 offset:5120
	v_mov_b32_e32 v2, 0
	s_waitcnt lgkmcnt(0)
	global_store_dwordx2 v2, v[0:1], s[2:3]
.LBB3820_72:
	s_or_b64 exec, exec, s[6:7]
                                        ; implicit-def: $vgpr2
.LBB3820_73:
	s_andn2_saveexec_b64 s[4:5], s[4:5]
	s_cbranch_execz .LBB3820_75
; %bb.74:
	ds_read_b64 v[0:1], v2 offset:4096
	v_mov_b32_e32 v2, 0
	s_waitcnt lgkmcnt(0)
	global_store_dwordx2 v2, v[0:1], s[2:3]
.LBB3820_75:
	s_or_b64 exec, exec, s[4:5]
                                        ; implicit-def: $vgpr0_vgpr1
                                        ; implicit-def: $vgpr2
.LBB3820_76:
	s_andn2_saveexec_b64 s[0:1], s[0:1]
	s_cbranch_execz .LBB3820_88
; %bb.77:
	v_cmp_lt_i64_e32 vcc, 1, v[0:1]
	s_and_saveexec_b64 s[0:1], vcc
	s_xor_b64 s[0:1], exec, s[0:1]
	s_cbranch_execz .LBB3820_83
; %bb.78:
	v_cmp_lt_i64_e32 vcc, 2, v[0:1]
	s_and_saveexec_b64 s[4:5], vcc
	s_xor_b64 s[4:5], exec, s[4:5]
	s_cbranch_execz .LBB3820_80
; %bb.79:
	ds_read_b64 v[0:1], v2 offset:3072
	v_mov_b32_e32 v2, 0
	s_waitcnt lgkmcnt(0)
	global_store_dwordx2 v2, v[0:1], s[2:3]
                                        ; implicit-def: $vgpr2
.LBB3820_80:
	s_andn2_saveexec_b64 s[4:5], s[4:5]
	s_cbranch_execz .LBB3820_82
; %bb.81:
	ds_read_b64 v[0:1], v2 offset:2048
	v_mov_b32_e32 v2, 0
	s_waitcnt lgkmcnt(0)
	global_store_dwordx2 v2, v[0:1], s[2:3]
.LBB3820_82:
	s_or_b64 exec, exec, s[4:5]
                                        ; implicit-def: $vgpr2
                                        ; implicit-def: $vgpr0_vgpr1
.LBB3820_83:
	s_andn2_saveexec_b64 s[0:1], s[0:1]
	s_cbranch_execz .LBB3820_88
; %bb.84:
	v_cmp_ne_u64_e32 vcc, 1, v[0:1]
	s_and_saveexec_b64 s[0:1], vcc
	s_xor_b64 s[0:1], exec, s[0:1]
	s_cbranch_execz .LBB3820_86
; %bb.85:
	ds_read_b64 v[0:1], v2
	v_mov_b32_e32 v2, 0
	s_waitcnt lgkmcnt(0)
	global_store_dwordx2 v2, v[0:1], s[2:3]
                                        ; implicit-def: $vgpr2
.LBB3820_86:
	s_andn2_saveexec_b64 s[0:1], s[0:1]
	s_cbranch_execz .LBB3820_88
; %bb.87:
	ds_read_b64 v[0:1], v2 offset:1024
	v_mov_b32_e32 v2, 0
	s_waitcnt lgkmcnt(0)
	global_store_dwordx2 v2, v[0:1], s[2:3]
.LBB3820_88:
	s_endpgm
	.section	.rodata,"a",@progbits
	.p2align	6, 0x0
	.amdhsa_kernel _ZN7rocprim17ROCPRIM_400000_NS6detail17trampoline_kernelINS0_14default_configENS1_20scan_config_selectorIxEEZZNS1_9scan_implILNS1_25lookback_scan_determinismE0ELb1ELb1ES3_N6thrust23THRUST_200600_302600_NS6detail15normal_iteratorINS9_10device_ptrIxEEEENS9_16discard_iteratorINS9_11use_defaultEEEx11max_functorIxExEEDaPvRmT3_T4_T5_mT6_P12ihipStream_tbENKUlT_T0_E_clISt17integral_constantIbLb1EESW_IbLb0EEEEDaSS_ST_EUlSS_E_NS1_11comp_targetILNS1_3genE4ELNS1_11target_archE910ELNS1_3gpuE8ELNS1_3repE0EEENS1_30default_config_static_selectorELNS0_4arch9wavefront6targetE1EEEvT1_
		.amdhsa_group_segment_fixed_size 7168
		.amdhsa_private_segment_fixed_size 0
		.amdhsa_kernarg_size 112
		.amdhsa_user_sgpr_count 6
		.amdhsa_user_sgpr_private_segment_buffer 1
		.amdhsa_user_sgpr_dispatch_ptr 0
		.amdhsa_user_sgpr_queue_ptr 0
		.amdhsa_user_sgpr_kernarg_segment_ptr 1
		.amdhsa_user_sgpr_dispatch_id 0
		.amdhsa_user_sgpr_flat_scratch_init 0
		.amdhsa_user_sgpr_kernarg_preload_length 0
		.amdhsa_user_sgpr_kernarg_preload_offset 0
		.amdhsa_user_sgpr_private_segment_size 0
		.amdhsa_uses_dynamic_stack 0
		.amdhsa_system_sgpr_private_segment_wavefront_offset 0
		.amdhsa_system_sgpr_workgroup_id_x 1
		.amdhsa_system_sgpr_workgroup_id_y 0
		.amdhsa_system_sgpr_workgroup_id_z 0
		.amdhsa_system_sgpr_workgroup_info 0
		.amdhsa_system_vgpr_workitem_id 0
		.amdhsa_next_free_vgpr 57
		.amdhsa_next_free_sgpr 28
		.amdhsa_accum_offset 60
		.amdhsa_reserve_vcc 1
		.amdhsa_reserve_flat_scratch 0
		.amdhsa_float_round_mode_32 0
		.amdhsa_float_round_mode_16_64 0
		.amdhsa_float_denorm_mode_32 3
		.amdhsa_float_denorm_mode_16_64 3
		.amdhsa_dx10_clamp 1
		.amdhsa_ieee_mode 1
		.amdhsa_fp16_overflow 0
		.amdhsa_tg_split 0
		.amdhsa_exception_fp_ieee_invalid_op 0
		.amdhsa_exception_fp_denorm_src 0
		.amdhsa_exception_fp_ieee_div_zero 0
		.amdhsa_exception_fp_ieee_overflow 0
		.amdhsa_exception_fp_ieee_underflow 0
		.amdhsa_exception_fp_ieee_inexact 0
		.amdhsa_exception_int_div_zero 0
	.end_amdhsa_kernel
	.section	.text._ZN7rocprim17ROCPRIM_400000_NS6detail17trampoline_kernelINS0_14default_configENS1_20scan_config_selectorIxEEZZNS1_9scan_implILNS1_25lookback_scan_determinismE0ELb1ELb1ES3_N6thrust23THRUST_200600_302600_NS6detail15normal_iteratorINS9_10device_ptrIxEEEENS9_16discard_iteratorINS9_11use_defaultEEEx11max_functorIxExEEDaPvRmT3_T4_T5_mT6_P12ihipStream_tbENKUlT_T0_E_clISt17integral_constantIbLb1EESW_IbLb0EEEEDaSS_ST_EUlSS_E_NS1_11comp_targetILNS1_3genE4ELNS1_11target_archE910ELNS1_3gpuE8ELNS1_3repE0EEENS1_30default_config_static_selectorELNS0_4arch9wavefront6targetE1EEEvT1_,"axG",@progbits,_ZN7rocprim17ROCPRIM_400000_NS6detail17trampoline_kernelINS0_14default_configENS1_20scan_config_selectorIxEEZZNS1_9scan_implILNS1_25lookback_scan_determinismE0ELb1ELb1ES3_N6thrust23THRUST_200600_302600_NS6detail15normal_iteratorINS9_10device_ptrIxEEEENS9_16discard_iteratorINS9_11use_defaultEEEx11max_functorIxExEEDaPvRmT3_T4_T5_mT6_P12ihipStream_tbENKUlT_T0_E_clISt17integral_constantIbLb1EESW_IbLb0EEEEDaSS_ST_EUlSS_E_NS1_11comp_targetILNS1_3genE4ELNS1_11target_archE910ELNS1_3gpuE8ELNS1_3repE0EEENS1_30default_config_static_selectorELNS0_4arch9wavefront6targetE1EEEvT1_,comdat
.Lfunc_end3820:
	.size	_ZN7rocprim17ROCPRIM_400000_NS6detail17trampoline_kernelINS0_14default_configENS1_20scan_config_selectorIxEEZZNS1_9scan_implILNS1_25lookback_scan_determinismE0ELb1ELb1ES3_N6thrust23THRUST_200600_302600_NS6detail15normal_iteratorINS9_10device_ptrIxEEEENS9_16discard_iteratorINS9_11use_defaultEEEx11max_functorIxExEEDaPvRmT3_T4_T5_mT6_P12ihipStream_tbENKUlT_T0_E_clISt17integral_constantIbLb1EESW_IbLb0EEEEDaSS_ST_EUlSS_E_NS1_11comp_targetILNS1_3genE4ELNS1_11target_archE910ELNS1_3gpuE8ELNS1_3repE0EEENS1_30default_config_static_selectorELNS0_4arch9wavefront6targetE1EEEvT1_, .Lfunc_end3820-_ZN7rocprim17ROCPRIM_400000_NS6detail17trampoline_kernelINS0_14default_configENS1_20scan_config_selectorIxEEZZNS1_9scan_implILNS1_25lookback_scan_determinismE0ELb1ELb1ES3_N6thrust23THRUST_200600_302600_NS6detail15normal_iteratorINS9_10device_ptrIxEEEENS9_16discard_iteratorINS9_11use_defaultEEEx11max_functorIxExEEDaPvRmT3_T4_T5_mT6_P12ihipStream_tbENKUlT_T0_E_clISt17integral_constantIbLb1EESW_IbLb0EEEEDaSS_ST_EUlSS_E_NS1_11comp_targetILNS1_3genE4ELNS1_11target_archE910ELNS1_3gpuE8ELNS1_3repE0EEENS1_30default_config_static_selectorELNS0_4arch9wavefront6targetE1EEEvT1_
                                        ; -- End function
	.section	.AMDGPU.csdata,"",@progbits
; Kernel info:
; codeLenInByte = 5480
; NumSgprs: 32
; NumVgprs: 57
; NumAgprs: 0
; TotalNumVgprs: 57
; ScratchSize: 0
; MemoryBound: 0
; FloatMode: 240
; IeeeMode: 1
; LDSByteSize: 7168 bytes/workgroup (compile time only)
; SGPRBlocks: 3
; VGPRBlocks: 7
; NumSGPRsForWavesPerEU: 32
; NumVGPRsForWavesPerEU: 57
; AccumOffset: 60
; Occupancy: 5
; WaveLimiterHint : 1
; COMPUTE_PGM_RSRC2:SCRATCH_EN: 0
; COMPUTE_PGM_RSRC2:USER_SGPR: 6
; COMPUTE_PGM_RSRC2:TRAP_HANDLER: 0
; COMPUTE_PGM_RSRC2:TGID_X_EN: 1
; COMPUTE_PGM_RSRC2:TGID_Y_EN: 0
; COMPUTE_PGM_RSRC2:TGID_Z_EN: 0
; COMPUTE_PGM_RSRC2:TIDIG_COMP_CNT: 0
; COMPUTE_PGM_RSRC3_GFX90A:ACCUM_OFFSET: 14
; COMPUTE_PGM_RSRC3_GFX90A:TG_SPLIT: 0
	.section	.text._ZN7rocprim17ROCPRIM_400000_NS6detail17trampoline_kernelINS0_14default_configENS1_20scan_config_selectorIxEEZZNS1_9scan_implILNS1_25lookback_scan_determinismE0ELb1ELb1ES3_N6thrust23THRUST_200600_302600_NS6detail15normal_iteratorINS9_10device_ptrIxEEEENS9_16discard_iteratorINS9_11use_defaultEEEx11max_functorIxExEEDaPvRmT3_T4_T5_mT6_P12ihipStream_tbENKUlT_T0_E_clISt17integral_constantIbLb1EESW_IbLb0EEEEDaSS_ST_EUlSS_E_NS1_11comp_targetILNS1_3genE3ELNS1_11target_archE908ELNS1_3gpuE7ELNS1_3repE0EEENS1_30default_config_static_selectorELNS0_4arch9wavefront6targetE1EEEvT1_,"axG",@progbits,_ZN7rocprim17ROCPRIM_400000_NS6detail17trampoline_kernelINS0_14default_configENS1_20scan_config_selectorIxEEZZNS1_9scan_implILNS1_25lookback_scan_determinismE0ELb1ELb1ES3_N6thrust23THRUST_200600_302600_NS6detail15normal_iteratorINS9_10device_ptrIxEEEENS9_16discard_iteratorINS9_11use_defaultEEEx11max_functorIxExEEDaPvRmT3_T4_T5_mT6_P12ihipStream_tbENKUlT_T0_E_clISt17integral_constantIbLb1EESW_IbLb0EEEEDaSS_ST_EUlSS_E_NS1_11comp_targetILNS1_3genE3ELNS1_11target_archE908ELNS1_3gpuE7ELNS1_3repE0EEENS1_30default_config_static_selectorELNS0_4arch9wavefront6targetE1EEEvT1_,comdat
	.protected	_ZN7rocprim17ROCPRIM_400000_NS6detail17trampoline_kernelINS0_14default_configENS1_20scan_config_selectorIxEEZZNS1_9scan_implILNS1_25lookback_scan_determinismE0ELb1ELb1ES3_N6thrust23THRUST_200600_302600_NS6detail15normal_iteratorINS9_10device_ptrIxEEEENS9_16discard_iteratorINS9_11use_defaultEEEx11max_functorIxExEEDaPvRmT3_T4_T5_mT6_P12ihipStream_tbENKUlT_T0_E_clISt17integral_constantIbLb1EESW_IbLb0EEEEDaSS_ST_EUlSS_E_NS1_11comp_targetILNS1_3genE3ELNS1_11target_archE908ELNS1_3gpuE7ELNS1_3repE0EEENS1_30default_config_static_selectorELNS0_4arch9wavefront6targetE1EEEvT1_ ; -- Begin function _ZN7rocprim17ROCPRIM_400000_NS6detail17trampoline_kernelINS0_14default_configENS1_20scan_config_selectorIxEEZZNS1_9scan_implILNS1_25lookback_scan_determinismE0ELb1ELb1ES3_N6thrust23THRUST_200600_302600_NS6detail15normal_iteratorINS9_10device_ptrIxEEEENS9_16discard_iteratorINS9_11use_defaultEEEx11max_functorIxExEEDaPvRmT3_T4_T5_mT6_P12ihipStream_tbENKUlT_T0_E_clISt17integral_constantIbLb1EESW_IbLb0EEEEDaSS_ST_EUlSS_E_NS1_11comp_targetILNS1_3genE3ELNS1_11target_archE908ELNS1_3gpuE7ELNS1_3repE0EEENS1_30default_config_static_selectorELNS0_4arch9wavefront6targetE1EEEvT1_
	.globl	_ZN7rocprim17ROCPRIM_400000_NS6detail17trampoline_kernelINS0_14default_configENS1_20scan_config_selectorIxEEZZNS1_9scan_implILNS1_25lookback_scan_determinismE0ELb1ELb1ES3_N6thrust23THRUST_200600_302600_NS6detail15normal_iteratorINS9_10device_ptrIxEEEENS9_16discard_iteratorINS9_11use_defaultEEEx11max_functorIxExEEDaPvRmT3_T4_T5_mT6_P12ihipStream_tbENKUlT_T0_E_clISt17integral_constantIbLb1EESW_IbLb0EEEEDaSS_ST_EUlSS_E_NS1_11comp_targetILNS1_3genE3ELNS1_11target_archE908ELNS1_3gpuE7ELNS1_3repE0EEENS1_30default_config_static_selectorELNS0_4arch9wavefront6targetE1EEEvT1_
	.p2align	8
	.type	_ZN7rocprim17ROCPRIM_400000_NS6detail17trampoline_kernelINS0_14default_configENS1_20scan_config_selectorIxEEZZNS1_9scan_implILNS1_25lookback_scan_determinismE0ELb1ELb1ES3_N6thrust23THRUST_200600_302600_NS6detail15normal_iteratorINS9_10device_ptrIxEEEENS9_16discard_iteratorINS9_11use_defaultEEEx11max_functorIxExEEDaPvRmT3_T4_T5_mT6_P12ihipStream_tbENKUlT_T0_E_clISt17integral_constantIbLb1EESW_IbLb0EEEEDaSS_ST_EUlSS_E_NS1_11comp_targetILNS1_3genE3ELNS1_11target_archE908ELNS1_3gpuE7ELNS1_3repE0EEENS1_30default_config_static_selectorELNS0_4arch9wavefront6targetE1EEEvT1_,@function
_ZN7rocprim17ROCPRIM_400000_NS6detail17trampoline_kernelINS0_14default_configENS1_20scan_config_selectorIxEEZZNS1_9scan_implILNS1_25lookback_scan_determinismE0ELb1ELb1ES3_N6thrust23THRUST_200600_302600_NS6detail15normal_iteratorINS9_10device_ptrIxEEEENS9_16discard_iteratorINS9_11use_defaultEEEx11max_functorIxExEEDaPvRmT3_T4_T5_mT6_P12ihipStream_tbENKUlT_T0_E_clISt17integral_constantIbLb1EESW_IbLb0EEEEDaSS_ST_EUlSS_E_NS1_11comp_targetILNS1_3genE3ELNS1_11target_archE908ELNS1_3gpuE7ELNS1_3repE0EEENS1_30default_config_static_selectorELNS0_4arch9wavefront6targetE1EEEvT1_: ; @_ZN7rocprim17ROCPRIM_400000_NS6detail17trampoline_kernelINS0_14default_configENS1_20scan_config_selectorIxEEZZNS1_9scan_implILNS1_25lookback_scan_determinismE0ELb1ELb1ES3_N6thrust23THRUST_200600_302600_NS6detail15normal_iteratorINS9_10device_ptrIxEEEENS9_16discard_iteratorINS9_11use_defaultEEEx11max_functorIxExEEDaPvRmT3_T4_T5_mT6_P12ihipStream_tbENKUlT_T0_E_clISt17integral_constantIbLb1EESW_IbLb0EEEEDaSS_ST_EUlSS_E_NS1_11comp_targetILNS1_3genE3ELNS1_11target_archE908ELNS1_3gpuE7ELNS1_3repE0EEENS1_30default_config_static_selectorELNS0_4arch9wavefront6targetE1EEEvT1_
; %bb.0:
	.section	.rodata,"a",@progbits
	.p2align	6, 0x0
	.amdhsa_kernel _ZN7rocprim17ROCPRIM_400000_NS6detail17trampoline_kernelINS0_14default_configENS1_20scan_config_selectorIxEEZZNS1_9scan_implILNS1_25lookback_scan_determinismE0ELb1ELb1ES3_N6thrust23THRUST_200600_302600_NS6detail15normal_iteratorINS9_10device_ptrIxEEEENS9_16discard_iteratorINS9_11use_defaultEEEx11max_functorIxExEEDaPvRmT3_T4_T5_mT6_P12ihipStream_tbENKUlT_T0_E_clISt17integral_constantIbLb1EESW_IbLb0EEEEDaSS_ST_EUlSS_E_NS1_11comp_targetILNS1_3genE3ELNS1_11target_archE908ELNS1_3gpuE7ELNS1_3repE0EEENS1_30default_config_static_selectorELNS0_4arch9wavefront6targetE1EEEvT1_
		.amdhsa_group_segment_fixed_size 0
		.amdhsa_private_segment_fixed_size 0
		.amdhsa_kernarg_size 112
		.amdhsa_user_sgpr_count 6
		.amdhsa_user_sgpr_private_segment_buffer 1
		.amdhsa_user_sgpr_dispatch_ptr 0
		.amdhsa_user_sgpr_queue_ptr 0
		.amdhsa_user_sgpr_kernarg_segment_ptr 1
		.amdhsa_user_sgpr_dispatch_id 0
		.amdhsa_user_sgpr_flat_scratch_init 0
		.amdhsa_user_sgpr_kernarg_preload_length 0
		.amdhsa_user_sgpr_kernarg_preload_offset 0
		.amdhsa_user_sgpr_private_segment_size 0
		.amdhsa_uses_dynamic_stack 0
		.amdhsa_system_sgpr_private_segment_wavefront_offset 0
		.amdhsa_system_sgpr_workgroup_id_x 1
		.amdhsa_system_sgpr_workgroup_id_y 0
		.amdhsa_system_sgpr_workgroup_id_z 0
		.amdhsa_system_sgpr_workgroup_info 0
		.amdhsa_system_vgpr_workitem_id 0
		.amdhsa_next_free_vgpr 1
		.amdhsa_next_free_sgpr 0
		.amdhsa_accum_offset 4
		.amdhsa_reserve_vcc 0
		.amdhsa_reserve_flat_scratch 0
		.amdhsa_float_round_mode_32 0
		.amdhsa_float_round_mode_16_64 0
		.amdhsa_float_denorm_mode_32 3
		.amdhsa_float_denorm_mode_16_64 3
		.amdhsa_dx10_clamp 1
		.amdhsa_ieee_mode 1
		.amdhsa_fp16_overflow 0
		.amdhsa_tg_split 0
		.amdhsa_exception_fp_ieee_invalid_op 0
		.amdhsa_exception_fp_denorm_src 0
		.amdhsa_exception_fp_ieee_div_zero 0
		.amdhsa_exception_fp_ieee_overflow 0
		.amdhsa_exception_fp_ieee_underflow 0
		.amdhsa_exception_fp_ieee_inexact 0
		.amdhsa_exception_int_div_zero 0
	.end_amdhsa_kernel
	.section	.text._ZN7rocprim17ROCPRIM_400000_NS6detail17trampoline_kernelINS0_14default_configENS1_20scan_config_selectorIxEEZZNS1_9scan_implILNS1_25lookback_scan_determinismE0ELb1ELb1ES3_N6thrust23THRUST_200600_302600_NS6detail15normal_iteratorINS9_10device_ptrIxEEEENS9_16discard_iteratorINS9_11use_defaultEEEx11max_functorIxExEEDaPvRmT3_T4_T5_mT6_P12ihipStream_tbENKUlT_T0_E_clISt17integral_constantIbLb1EESW_IbLb0EEEEDaSS_ST_EUlSS_E_NS1_11comp_targetILNS1_3genE3ELNS1_11target_archE908ELNS1_3gpuE7ELNS1_3repE0EEENS1_30default_config_static_selectorELNS0_4arch9wavefront6targetE1EEEvT1_,"axG",@progbits,_ZN7rocprim17ROCPRIM_400000_NS6detail17trampoline_kernelINS0_14default_configENS1_20scan_config_selectorIxEEZZNS1_9scan_implILNS1_25lookback_scan_determinismE0ELb1ELb1ES3_N6thrust23THRUST_200600_302600_NS6detail15normal_iteratorINS9_10device_ptrIxEEEENS9_16discard_iteratorINS9_11use_defaultEEEx11max_functorIxExEEDaPvRmT3_T4_T5_mT6_P12ihipStream_tbENKUlT_T0_E_clISt17integral_constantIbLb1EESW_IbLb0EEEEDaSS_ST_EUlSS_E_NS1_11comp_targetILNS1_3genE3ELNS1_11target_archE908ELNS1_3gpuE7ELNS1_3repE0EEENS1_30default_config_static_selectorELNS0_4arch9wavefront6targetE1EEEvT1_,comdat
.Lfunc_end3821:
	.size	_ZN7rocprim17ROCPRIM_400000_NS6detail17trampoline_kernelINS0_14default_configENS1_20scan_config_selectorIxEEZZNS1_9scan_implILNS1_25lookback_scan_determinismE0ELb1ELb1ES3_N6thrust23THRUST_200600_302600_NS6detail15normal_iteratorINS9_10device_ptrIxEEEENS9_16discard_iteratorINS9_11use_defaultEEEx11max_functorIxExEEDaPvRmT3_T4_T5_mT6_P12ihipStream_tbENKUlT_T0_E_clISt17integral_constantIbLb1EESW_IbLb0EEEEDaSS_ST_EUlSS_E_NS1_11comp_targetILNS1_3genE3ELNS1_11target_archE908ELNS1_3gpuE7ELNS1_3repE0EEENS1_30default_config_static_selectorELNS0_4arch9wavefront6targetE1EEEvT1_, .Lfunc_end3821-_ZN7rocprim17ROCPRIM_400000_NS6detail17trampoline_kernelINS0_14default_configENS1_20scan_config_selectorIxEEZZNS1_9scan_implILNS1_25lookback_scan_determinismE0ELb1ELb1ES3_N6thrust23THRUST_200600_302600_NS6detail15normal_iteratorINS9_10device_ptrIxEEEENS9_16discard_iteratorINS9_11use_defaultEEEx11max_functorIxExEEDaPvRmT3_T4_T5_mT6_P12ihipStream_tbENKUlT_T0_E_clISt17integral_constantIbLb1EESW_IbLb0EEEEDaSS_ST_EUlSS_E_NS1_11comp_targetILNS1_3genE3ELNS1_11target_archE908ELNS1_3gpuE7ELNS1_3repE0EEENS1_30default_config_static_selectorELNS0_4arch9wavefront6targetE1EEEvT1_
                                        ; -- End function
	.section	.AMDGPU.csdata,"",@progbits
; Kernel info:
; codeLenInByte = 0
; NumSgprs: 4
; NumVgprs: 0
; NumAgprs: 0
; TotalNumVgprs: 0
; ScratchSize: 0
; MemoryBound: 0
; FloatMode: 240
; IeeeMode: 1
; LDSByteSize: 0 bytes/workgroup (compile time only)
; SGPRBlocks: 0
; VGPRBlocks: 0
; NumSGPRsForWavesPerEU: 4
; NumVGPRsForWavesPerEU: 1
; AccumOffset: 4
; Occupancy: 8
; WaveLimiterHint : 0
; COMPUTE_PGM_RSRC2:SCRATCH_EN: 0
; COMPUTE_PGM_RSRC2:USER_SGPR: 6
; COMPUTE_PGM_RSRC2:TRAP_HANDLER: 0
; COMPUTE_PGM_RSRC2:TGID_X_EN: 1
; COMPUTE_PGM_RSRC2:TGID_Y_EN: 0
; COMPUTE_PGM_RSRC2:TGID_Z_EN: 0
; COMPUTE_PGM_RSRC2:TIDIG_COMP_CNT: 0
; COMPUTE_PGM_RSRC3_GFX90A:ACCUM_OFFSET: 0
; COMPUTE_PGM_RSRC3_GFX90A:TG_SPLIT: 0
	.section	.text._ZN7rocprim17ROCPRIM_400000_NS6detail17trampoline_kernelINS0_14default_configENS1_20scan_config_selectorIxEEZZNS1_9scan_implILNS1_25lookback_scan_determinismE0ELb1ELb1ES3_N6thrust23THRUST_200600_302600_NS6detail15normal_iteratorINS9_10device_ptrIxEEEENS9_16discard_iteratorINS9_11use_defaultEEEx11max_functorIxExEEDaPvRmT3_T4_T5_mT6_P12ihipStream_tbENKUlT_T0_E_clISt17integral_constantIbLb1EESW_IbLb0EEEEDaSS_ST_EUlSS_E_NS1_11comp_targetILNS1_3genE2ELNS1_11target_archE906ELNS1_3gpuE6ELNS1_3repE0EEENS1_30default_config_static_selectorELNS0_4arch9wavefront6targetE1EEEvT1_,"axG",@progbits,_ZN7rocprim17ROCPRIM_400000_NS6detail17trampoline_kernelINS0_14default_configENS1_20scan_config_selectorIxEEZZNS1_9scan_implILNS1_25lookback_scan_determinismE0ELb1ELb1ES3_N6thrust23THRUST_200600_302600_NS6detail15normal_iteratorINS9_10device_ptrIxEEEENS9_16discard_iteratorINS9_11use_defaultEEEx11max_functorIxExEEDaPvRmT3_T4_T5_mT6_P12ihipStream_tbENKUlT_T0_E_clISt17integral_constantIbLb1EESW_IbLb0EEEEDaSS_ST_EUlSS_E_NS1_11comp_targetILNS1_3genE2ELNS1_11target_archE906ELNS1_3gpuE6ELNS1_3repE0EEENS1_30default_config_static_selectorELNS0_4arch9wavefront6targetE1EEEvT1_,comdat
	.protected	_ZN7rocprim17ROCPRIM_400000_NS6detail17trampoline_kernelINS0_14default_configENS1_20scan_config_selectorIxEEZZNS1_9scan_implILNS1_25lookback_scan_determinismE0ELb1ELb1ES3_N6thrust23THRUST_200600_302600_NS6detail15normal_iteratorINS9_10device_ptrIxEEEENS9_16discard_iteratorINS9_11use_defaultEEEx11max_functorIxExEEDaPvRmT3_T4_T5_mT6_P12ihipStream_tbENKUlT_T0_E_clISt17integral_constantIbLb1EESW_IbLb0EEEEDaSS_ST_EUlSS_E_NS1_11comp_targetILNS1_3genE2ELNS1_11target_archE906ELNS1_3gpuE6ELNS1_3repE0EEENS1_30default_config_static_selectorELNS0_4arch9wavefront6targetE1EEEvT1_ ; -- Begin function _ZN7rocprim17ROCPRIM_400000_NS6detail17trampoline_kernelINS0_14default_configENS1_20scan_config_selectorIxEEZZNS1_9scan_implILNS1_25lookback_scan_determinismE0ELb1ELb1ES3_N6thrust23THRUST_200600_302600_NS6detail15normal_iteratorINS9_10device_ptrIxEEEENS9_16discard_iteratorINS9_11use_defaultEEEx11max_functorIxExEEDaPvRmT3_T4_T5_mT6_P12ihipStream_tbENKUlT_T0_E_clISt17integral_constantIbLb1EESW_IbLb0EEEEDaSS_ST_EUlSS_E_NS1_11comp_targetILNS1_3genE2ELNS1_11target_archE906ELNS1_3gpuE6ELNS1_3repE0EEENS1_30default_config_static_selectorELNS0_4arch9wavefront6targetE1EEEvT1_
	.globl	_ZN7rocprim17ROCPRIM_400000_NS6detail17trampoline_kernelINS0_14default_configENS1_20scan_config_selectorIxEEZZNS1_9scan_implILNS1_25lookback_scan_determinismE0ELb1ELb1ES3_N6thrust23THRUST_200600_302600_NS6detail15normal_iteratorINS9_10device_ptrIxEEEENS9_16discard_iteratorINS9_11use_defaultEEEx11max_functorIxExEEDaPvRmT3_T4_T5_mT6_P12ihipStream_tbENKUlT_T0_E_clISt17integral_constantIbLb1EESW_IbLb0EEEEDaSS_ST_EUlSS_E_NS1_11comp_targetILNS1_3genE2ELNS1_11target_archE906ELNS1_3gpuE6ELNS1_3repE0EEENS1_30default_config_static_selectorELNS0_4arch9wavefront6targetE1EEEvT1_
	.p2align	8
	.type	_ZN7rocprim17ROCPRIM_400000_NS6detail17trampoline_kernelINS0_14default_configENS1_20scan_config_selectorIxEEZZNS1_9scan_implILNS1_25lookback_scan_determinismE0ELb1ELb1ES3_N6thrust23THRUST_200600_302600_NS6detail15normal_iteratorINS9_10device_ptrIxEEEENS9_16discard_iteratorINS9_11use_defaultEEEx11max_functorIxExEEDaPvRmT3_T4_T5_mT6_P12ihipStream_tbENKUlT_T0_E_clISt17integral_constantIbLb1EESW_IbLb0EEEEDaSS_ST_EUlSS_E_NS1_11comp_targetILNS1_3genE2ELNS1_11target_archE906ELNS1_3gpuE6ELNS1_3repE0EEENS1_30default_config_static_selectorELNS0_4arch9wavefront6targetE1EEEvT1_,@function
_ZN7rocprim17ROCPRIM_400000_NS6detail17trampoline_kernelINS0_14default_configENS1_20scan_config_selectorIxEEZZNS1_9scan_implILNS1_25lookback_scan_determinismE0ELb1ELb1ES3_N6thrust23THRUST_200600_302600_NS6detail15normal_iteratorINS9_10device_ptrIxEEEENS9_16discard_iteratorINS9_11use_defaultEEEx11max_functorIxExEEDaPvRmT3_T4_T5_mT6_P12ihipStream_tbENKUlT_T0_E_clISt17integral_constantIbLb1EESW_IbLb0EEEEDaSS_ST_EUlSS_E_NS1_11comp_targetILNS1_3genE2ELNS1_11target_archE906ELNS1_3gpuE6ELNS1_3repE0EEENS1_30default_config_static_selectorELNS0_4arch9wavefront6targetE1EEEvT1_: ; @_ZN7rocprim17ROCPRIM_400000_NS6detail17trampoline_kernelINS0_14default_configENS1_20scan_config_selectorIxEEZZNS1_9scan_implILNS1_25lookback_scan_determinismE0ELb1ELb1ES3_N6thrust23THRUST_200600_302600_NS6detail15normal_iteratorINS9_10device_ptrIxEEEENS9_16discard_iteratorINS9_11use_defaultEEEx11max_functorIxExEEDaPvRmT3_T4_T5_mT6_P12ihipStream_tbENKUlT_T0_E_clISt17integral_constantIbLb1EESW_IbLb0EEEEDaSS_ST_EUlSS_E_NS1_11comp_targetILNS1_3genE2ELNS1_11target_archE906ELNS1_3gpuE6ELNS1_3repE0EEENS1_30default_config_static_selectorELNS0_4arch9wavefront6targetE1EEEvT1_
; %bb.0:
	.section	.rodata,"a",@progbits
	.p2align	6, 0x0
	.amdhsa_kernel _ZN7rocprim17ROCPRIM_400000_NS6detail17trampoline_kernelINS0_14default_configENS1_20scan_config_selectorIxEEZZNS1_9scan_implILNS1_25lookback_scan_determinismE0ELb1ELb1ES3_N6thrust23THRUST_200600_302600_NS6detail15normal_iteratorINS9_10device_ptrIxEEEENS9_16discard_iteratorINS9_11use_defaultEEEx11max_functorIxExEEDaPvRmT3_T4_T5_mT6_P12ihipStream_tbENKUlT_T0_E_clISt17integral_constantIbLb1EESW_IbLb0EEEEDaSS_ST_EUlSS_E_NS1_11comp_targetILNS1_3genE2ELNS1_11target_archE906ELNS1_3gpuE6ELNS1_3repE0EEENS1_30default_config_static_selectorELNS0_4arch9wavefront6targetE1EEEvT1_
		.amdhsa_group_segment_fixed_size 0
		.amdhsa_private_segment_fixed_size 0
		.amdhsa_kernarg_size 112
		.amdhsa_user_sgpr_count 6
		.amdhsa_user_sgpr_private_segment_buffer 1
		.amdhsa_user_sgpr_dispatch_ptr 0
		.amdhsa_user_sgpr_queue_ptr 0
		.amdhsa_user_sgpr_kernarg_segment_ptr 1
		.amdhsa_user_sgpr_dispatch_id 0
		.amdhsa_user_sgpr_flat_scratch_init 0
		.amdhsa_user_sgpr_kernarg_preload_length 0
		.amdhsa_user_sgpr_kernarg_preload_offset 0
		.amdhsa_user_sgpr_private_segment_size 0
		.amdhsa_uses_dynamic_stack 0
		.amdhsa_system_sgpr_private_segment_wavefront_offset 0
		.amdhsa_system_sgpr_workgroup_id_x 1
		.amdhsa_system_sgpr_workgroup_id_y 0
		.amdhsa_system_sgpr_workgroup_id_z 0
		.amdhsa_system_sgpr_workgroup_info 0
		.amdhsa_system_vgpr_workitem_id 0
		.amdhsa_next_free_vgpr 1
		.amdhsa_next_free_sgpr 0
		.amdhsa_accum_offset 4
		.amdhsa_reserve_vcc 0
		.amdhsa_reserve_flat_scratch 0
		.amdhsa_float_round_mode_32 0
		.amdhsa_float_round_mode_16_64 0
		.amdhsa_float_denorm_mode_32 3
		.amdhsa_float_denorm_mode_16_64 3
		.amdhsa_dx10_clamp 1
		.amdhsa_ieee_mode 1
		.amdhsa_fp16_overflow 0
		.amdhsa_tg_split 0
		.amdhsa_exception_fp_ieee_invalid_op 0
		.amdhsa_exception_fp_denorm_src 0
		.amdhsa_exception_fp_ieee_div_zero 0
		.amdhsa_exception_fp_ieee_overflow 0
		.amdhsa_exception_fp_ieee_underflow 0
		.amdhsa_exception_fp_ieee_inexact 0
		.amdhsa_exception_int_div_zero 0
	.end_amdhsa_kernel
	.section	.text._ZN7rocprim17ROCPRIM_400000_NS6detail17trampoline_kernelINS0_14default_configENS1_20scan_config_selectorIxEEZZNS1_9scan_implILNS1_25lookback_scan_determinismE0ELb1ELb1ES3_N6thrust23THRUST_200600_302600_NS6detail15normal_iteratorINS9_10device_ptrIxEEEENS9_16discard_iteratorINS9_11use_defaultEEEx11max_functorIxExEEDaPvRmT3_T4_T5_mT6_P12ihipStream_tbENKUlT_T0_E_clISt17integral_constantIbLb1EESW_IbLb0EEEEDaSS_ST_EUlSS_E_NS1_11comp_targetILNS1_3genE2ELNS1_11target_archE906ELNS1_3gpuE6ELNS1_3repE0EEENS1_30default_config_static_selectorELNS0_4arch9wavefront6targetE1EEEvT1_,"axG",@progbits,_ZN7rocprim17ROCPRIM_400000_NS6detail17trampoline_kernelINS0_14default_configENS1_20scan_config_selectorIxEEZZNS1_9scan_implILNS1_25lookback_scan_determinismE0ELb1ELb1ES3_N6thrust23THRUST_200600_302600_NS6detail15normal_iteratorINS9_10device_ptrIxEEEENS9_16discard_iteratorINS9_11use_defaultEEEx11max_functorIxExEEDaPvRmT3_T4_T5_mT6_P12ihipStream_tbENKUlT_T0_E_clISt17integral_constantIbLb1EESW_IbLb0EEEEDaSS_ST_EUlSS_E_NS1_11comp_targetILNS1_3genE2ELNS1_11target_archE906ELNS1_3gpuE6ELNS1_3repE0EEENS1_30default_config_static_selectorELNS0_4arch9wavefront6targetE1EEEvT1_,comdat
.Lfunc_end3822:
	.size	_ZN7rocprim17ROCPRIM_400000_NS6detail17trampoline_kernelINS0_14default_configENS1_20scan_config_selectorIxEEZZNS1_9scan_implILNS1_25lookback_scan_determinismE0ELb1ELb1ES3_N6thrust23THRUST_200600_302600_NS6detail15normal_iteratorINS9_10device_ptrIxEEEENS9_16discard_iteratorINS9_11use_defaultEEEx11max_functorIxExEEDaPvRmT3_T4_T5_mT6_P12ihipStream_tbENKUlT_T0_E_clISt17integral_constantIbLb1EESW_IbLb0EEEEDaSS_ST_EUlSS_E_NS1_11comp_targetILNS1_3genE2ELNS1_11target_archE906ELNS1_3gpuE6ELNS1_3repE0EEENS1_30default_config_static_selectorELNS0_4arch9wavefront6targetE1EEEvT1_, .Lfunc_end3822-_ZN7rocprim17ROCPRIM_400000_NS6detail17trampoline_kernelINS0_14default_configENS1_20scan_config_selectorIxEEZZNS1_9scan_implILNS1_25lookback_scan_determinismE0ELb1ELb1ES3_N6thrust23THRUST_200600_302600_NS6detail15normal_iteratorINS9_10device_ptrIxEEEENS9_16discard_iteratorINS9_11use_defaultEEEx11max_functorIxExEEDaPvRmT3_T4_T5_mT6_P12ihipStream_tbENKUlT_T0_E_clISt17integral_constantIbLb1EESW_IbLb0EEEEDaSS_ST_EUlSS_E_NS1_11comp_targetILNS1_3genE2ELNS1_11target_archE906ELNS1_3gpuE6ELNS1_3repE0EEENS1_30default_config_static_selectorELNS0_4arch9wavefront6targetE1EEEvT1_
                                        ; -- End function
	.section	.AMDGPU.csdata,"",@progbits
; Kernel info:
; codeLenInByte = 0
; NumSgprs: 4
; NumVgprs: 0
; NumAgprs: 0
; TotalNumVgprs: 0
; ScratchSize: 0
; MemoryBound: 0
; FloatMode: 240
; IeeeMode: 1
; LDSByteSize: 0 bytes/workgroup (compile time only)
; SGPRBlocks: 0
; VGPRBlocks: 0
; NumSGPRsForWavesPerEU: 4
; NumVGPRsForWavesPerEU: 1
; AccumOffset: 4
; Occupancy: 8
; WaveLimiterHint : 0
; COMPUTE_PGM_RSRC2:SCRATCH_EN: 0
; COMPUTE_PGM_RSRC2:USER_SGPR: 6
; COMPUTE_PGM_RSRC2:TRAP_HANDLER: 0
; COMPUTE_PGM_RSRC2:TGID_X_EN: 1
; COMPUTE_PGM_RSRC2:TGID_Y_EN: 0
; COMPUTE_PGM_RSRC2:TGID_Z_EN: 0
; COMPUTE_PGM_RSRC2:TIDIG_COMP_CNT: 0
; COMPUTE_PGM_RSRC3_GFX90A:ACCUM_OFFSET: 0
; COMPUTE_PGM_RSRC3_GFX90A:TG_SPLIT: 0
	.section	.text._ZN7rocprim17ROCPRIM_400000_NS6detail17trampoline_kernelINS0_14default_configENS1_20scan_config_selectorIxEEZZNS1_9scan_implILNS1_25lookback_scan_determinismE0ELb1ELb1ES3_N6thrust23THRUST_200600_302600_NS6detail15normal_iteratorINS9_10device_ptrIxEEEENS9_16discard_iteratorINS9_11use_defaultEEEx11max_functorIxExEEDaPvRmT3_T4_T5_mT6_P12ihipStream_tbENKUlT_T0_E_clISt17integral_constantIbLb1EESW_IbLb0EEEEDaSS_ST_EUlSS_E_NS1_11comp_targetILNS1_3genE10ELNS1_11target_archE1201ELNS1_3gpuE5ELNS1_3repE0EEENS1_30default_config_static_selectorELNS0_4arch9wavefront6targetE1EEEvT1_,"axG",@progbits,_ZN7rocprim17ROCPRIM_400000_NS6detail17trampoline_kernelINS0_14default_configENS1_20scan_config_selectorIxEEZZNS1_9scan_implILNS1_25lookback_scan_determinismE0ELb1ELb1ES3_N6thrust23THRUST_200600_302600_NS6detail15normal_iteratorINS9_10device_ptrIxEEEENS9_16discard_iteratorINS9_11use_defaultEEEx11max_functorIxExEEDaPvRmT3_T4_T5_mT6_P12ihipStream_tbENKUlT_T0_E_clISt17integral_constantIbLb1EESW_IbLb0EEEEDaSS_ST_EUlSS_E_NS1_11comp_targetILNS1_3genE10ELNS1_11target_archE1201ELNS1_3gpuE5ELNS1_3repE0EEENS1_30default_config_static_selectorELNS0_4arch9wavefront6targetE1EEEvT1_,comdat
	.protected	_ZN7rocprim17ROCPRIM_400000_NS6detail17trampoline_kernelINS0_14default_configENS1_20scan_config_selectorIxEEZZNS1_9scan_implILNS1_25lookback_scan_determinismE0ELb1ELb1ES3_N6thrust23THRUST_200600_302600_NS6detail15normal_iteratorINS9_10device_ptrIxEEEENS9_16discard_iteratorINS9_11use_defaultEEEx11max_functorIxExEEDaPvRmT3_T4_T5_mT6_P12ihipStream_tbENKUlT_T0_E_clISt17integral_constantIbLb1EESW_IbLb0EEEEDaSS_ST_EUlSS_E_NS1_11comp_targetILNS1_3genE10ELNS1_11target_archE1201ELNS1_3gpuE5ELNS1_3repE0EEENS1_30default_config_static_selectorELNS0_4arch9wavefront6targetE1EEEvT1_ ; -- Begin function _ZN7rocprim17ROCPRIM_400000_NS6detail17trampoline_kernelINS0_14default_configENS1_20scan_config_selectorIxEEZZNS1_9scan_implILNS1_25lookback_scan_determinismE0ELb1ELb1ES3_N6thrust23THRUST_200600_302600_NS6detail15normal_iteratorINS9_10device_ptrIxEEEENS9_16discard_iteratorINS9_11use_defaultEEEx11max_functorIxExEEDaPvRmT3_T4_T5_mT6_P12ihipStream_tbENKUlT_T0_E_clISt17integral_constantIbLb1EESW_IbLb0EEEEDaSS_ST_EUlSS_E_NS1_11comp_targetILNS1_3genE10ELNS1_11target_archE1201ELNS1_3gpuE5ELNS1_3repE0EEENS1_30default_config_static_selectorELNS0_4arch9wavefront6targetE1EEEvT1_
	.globl	_ZN7rocprim17ROCPRIM_400000_NS6detail17trampoline_kernelINS0_14default_configENS1_20scan_config_selectorIxEEZZNS1_9scan_implILNS1_25lookback_scan_determinismE0ELb1ELb1ES3_N6thrust23THRUST_200600_302600_NS6detail15normal_iteratorINS9_10device_ptrIxEEEENS9_16discard_iteratorINS9_11use_defaultEEEx11max_functorIxExEEDaPvRmT3_T4_T5_mT6_P12ihipStream_tbENKUlT_T0_E_clISt17integral_constantIbLb1EESW_IbLb0EEEEDaSS_ST_EUlSS_E_NS1_11comp_targetILNS1_3genE10ELNS1_11target_archE1201ELNS1_3gpuE5ELNS1_3repE0EEENS1_30default_config_static_selectorELNS0_4arch9wavefront6targetE1EEEvT1_
	.p2align	8
	.type	_ZN7rocprim17ROCPRIM_400000_NS6detail17trampoline_kernelINS0_14default_configENS1_20scan_config_selectorIxEEZZNS1_9scan_implILNS1_25lookback_scan_determinismE0ELb1ELb1ES3_N6thrust23THRUST_200600_302600_NS6detail15normal_iteratorINS9_10device_ptrIxEEEENS9_16discard_iteratorINS9_11use_defaultEEEx11max_functorIxExEEDaPvRmT3_T4_T5_mT6_P12ihipStream_tbENKUlT_T0_E_clISt17integral_constantIbLb1EESW_IbLb0EEEEDaSS_ST_EUlSS_E_NS1_11comp_targetILNS1_3genE10ELNS1_11target_archE1201ELNS1_3gpuE5ELNS1_3repE0EEENS1_30default_config_static_selectorELNS0_4arch9wavefront6targetE1EEEvT1_,@function
_ZN7rocprim17ROCPRIM_400000_NS6detail17trampoline_kernelINS0_14default_configENS1_20scan_config_selectorIxEEZZNS1_9scan_implILNS1_25lookback_scan_determinismE0ELb1ELb1ES3_N6thrust23THRUST_200600_302600_NS6detail15normal_iteratorINS9_10device_ptrIxEEEENS9_16discard_iteratorINS9_11use_defaultEEEx11max_functorIxExEEDaPvRmT3_T4_T5_mT6_P12ihipStream_tbENKUlT_T0_E_clISt17integral_constantIbLb1EESW_IbLb0EEEEDaSS_ST_EUlSS_E_NS1_11comp_targetILNS1_3genE10ELNS1_11target_archE1201ELNS1_3gpuE5ELNS1_3repE0EEENS1_30default_config_static_selectorELNS0_4arch9wavefront6targetE1EEEvT1_: ; @_ZN7rocprim17ROCPRIM_400000_NS6detail17trampoline_kernelINS0_14default_configENS1_20scan_config_selectorIxEEZZNS1_9scan_implILNS1_25lookback_scan_determinismE0ELb1ELb1ES3_N6thrust23THRUST_200600_302600_NS6detail15normal_iteratorINS9_10device_ptrIxEEEENS9_16discard_iteratorINS9_11use_defaultEEEx11max_functorIxExEEDaPvRmT3_T4_T5_mT6_P12ihipStream_tbENKUlT_T0_E_clISt17integral_constantIbLb1EESW_IbLb0EEEEDaSS_ST_EUlSS_E_NS1_11comp_targetILNS1_3genE10ELNS1_11target_archE1201ELNS1_3gpuE5ELNS1_3repE0EEENS1_30default_config_static_selectorELNS0_4arch9wavefront6targetE1EEEvT1_
; %bb.0:
	.section	.rodata,"a",@progbits
	.p2align	6, 0x0
	.amdhsa_kernel _ZN7rocprim17ROCPRIM_400000_NS6detail17trampoline_kernelINS0_14default_configENS1_20scan_config_selectorIxEEZZNS1_9scan_implILNS1_25lookback_scan_determinismE0ELb1ELb1ES3_N6thrust23THRUST_200600_302600_NS6detail15normal_iteratorINS9_10device_ptrIxEEEENS9_16discard_iteratorINS9_11use_defaultEEEx11max_functorIxExEEDaPvRmT3_T4_T5_mT6_P12ihipStream_tbENKUlT_T0_E_clISt17integral_constantIbLb1EESW_IbLb0EEEEDaSS_ST_EUlSS_E_NS1_11comp_targetILNS1_3genE10ELNS1_11target_archE1201ELNS1_3gpuE5ELNS1_3repE0EEENS1_30default_config_static_selectorELNS0_4arch9wavefront6targetE1EEEvT1_
		.amdhsa_group_segment_fixed_size 0
		.amdhsa_private_segment_fixed_size 0
		.amdhsa_kernarg_size 112
		.amdhsa_user_sgpr_count 6
		.amdhsa_user_sgpr_private_segment_buffer 1
		.amdhsa_user_sgpr_dispatch_ptr 0
		.amdhsa_user_sgpr_queue_ptr 0
		.amdhsa_user_sgpr_kernarg_segment_ptr 1
		.amdhsa_user_sgpr_dispatch_id 0
		.amdhsa_user_sgpr_flat_scratch_init 0
		.amdhsa_user_sgpr_kernarg_preload_length 0
		.amdhsa_user_sgpr_kernarg_preload_offset 0
		.amdhsa_user_sgpr_private_segment_size 0
		.amdhsa_uses_dynamic_stack 0
		.amdhsa_system_sgpr_private_segment_wavefront_offset 0
		.amdhsa_system_sgpr_workgroup_id_x 1
		.amdhsa_system_sgpr_workgroup_id_y 0
		.amdhsa_system_sgpr_workgroup_id_z 0
		.amdhsa_system_sgpr_workgroup_info 0
		.amdhsa_system_vgpr_workitem_id 0
		.amdhsa_next_free_vgpr 1
		.amdhsa_next_free_sgpr 0
		.amdhsa_accum_offset 4
		.amdhsa_reserve_vcc 0
		.amdhsa_reserve_flat_scratch 0
		.amdhsa_float_round_mode_32 0
		.amdhsa_float_round_mode_16_64 0
		.amdhsa_float_denorm_mode_32 3
		.amdhsa_float_denorm_mode_16_64 3
		.amdhsa_dx10_clamp 1
		.amdhsa_ieee_mode 1
		.amdhsa_fp16_overflow 0
		.amdhsa_tg_split 0
		.amdhsa_exception_fp_ieee_invalid_op 0
		.amdhsa_exception_fp_denorm_src 0
		.amdhsa_exception_fp_ieee_div_zero 0
		.amdhsa_exception_fp_ieee_overflow 0
		.amdhsa_exception_fp_ieee_underflow 0
		.amdhsa_exception_fp_ieee_inexact 0
		.amdhsa_exception_int_div_zero 0
	.end_amdhsa_kernel
	.section	.text._ZN7rocprim17ROCPRIM_400000_NS6detail17trampoline_kernelINS0_14default_configENS1_20scan_config_selectorIxEEZZNS1_9scan_implILNS1_25lookback_scan_determinismE0ELb1ELb1ES3_N6thrust23THRUST_200600_302600_NS6detail15normal_iteratorINS9_10device_ptrIxEEEENS9_16discard_iteratorINS9_11use_defaultEEEx11max_functorIxExEEDaPvRmT3_T4_T5_mT6_P12ihipStream_tbENKUlT_T0_E_clISt17integral_constantIbLb1EESW_IbLb0EEEEDaSS_ST_EUlSS_E_NS1_11comp_targetILNS1_3genE10ELNS1_11target_archE1201ELNS1_3gpuE5ELNS1_3repE0EEENS1_30default_config_static_selectorELNS0_4arch9wavefront6targetE1EEEvT1_,"axG",@progbits,_ZN7rocprim17ROCPRIM_400000_NS6detail17trampoline_kernelINS0_14default_configENS1_20scan_config_selectorIxEEZZNS1_9scan_implILNS1_25lookback_scan_determinismE0ELb1ELb1ES3_N6thrust23THRUST_200600_302600_NS6detail15normal_iteratorINS9_10device_ptrIxEEEENS9_16discard_iteratorINS9_11use_defaultEEEx11max_functorIxExEEDaPvRmT3_T4_T5_mT6_P12ihipStream_tbENKUlT_T0_E_clISt17integral_constantIbLb1EESW_IbLb0EEEEDaSS_ST_EUlSS_E_NS1_11comp_targetILNS1_3genE10ELNS1_11target_archE1201ELNS1_3gpuE5ELNS1_3repE0EEENS1_30default_config_static_selectorELNS0_4arch9wavefront6targetE1EEEvT1_,comdat
.Lfunc_end3823:
	.size	_ZN7rocprim17ROCPRIM_400000_NS6detail17trampoline_kernelINS0_14default_configENS1_20scan_config_selectorIxEEZZNS1_9scan_implILNS1_25lookback_scan_determinismE0ELb1ELb1ES3_N6thrust23THRUST_200600_302600_NS6detail15normal_iteratorINS9_10device_ptrIxEEEENS9_16discard_iteratorINS9_11use_defaultEEEx11max_functorIxExEEDaPvRmT3_T4_T5_mT6_P12ihipStream_tbENKUlT_T0_E_clISt17integral_constantIbLb1EESW_IbLb0EEEEDaSS_ST_EUlSS_E_NS1_11comp_targetILNS1_3genE10ELNS1_11target_archE1201ELNS1_3gpuE5ELNS1_3repE0EEENS1_30default_config_static_selectorELNS0_4arch9wavefront6targetE1EEEvT1_, .Lfunc_end3823-_ZN7rocprim17ROCPRIM_400000_NS6detail17trampoline_kernelINS0_14default_configENS1_20scan_config_selectorIxEEZZNS1_9scan_implILNS1_25lookback_scan_determinismE0ELb1ELb1ES3_N6thrust23THRUST_200600_302600_NS6detail15normal_iteratorINS9_10device_ptrIxEEEENS9_16discard_iteratorINS9_11use_defaultEEEx11max_functorIxExEEDaPvRmT3_T4_T5_mT6_P12ihipStream_tbENKUlT_T0_E_clISt17integral_constantIbLb1EESW_IbLb0EEEEDaSS_ST_EUlSS_E_NS1_11comp_targetILNS1_3genE10ELNS1_11target_archE1201ELNS1_3gpuE5ELNS1_3repE0EEENS1_30default_config_static_selectorELNS0_4arch9wavefront6targetE1EEEvT1_
                                        ; -- End function
	.section	.AMDGPU.csdata,"",@progbits
; Kernel info:
; codeLenInByte = 0
; NumSgprs: 4
; NumVgprs: 0
; NumAgprs: 0
; TotalNumVgprs: 0
; ScratchSize: 0
; MemoryBound: 0
; FloatMode: 240
; IeeeMode: 1
; LDSByteSize: 0 bytes/workgroup (compile time only)
; SGPRBlocks: 0
; VGPRBlocks: 0
; NumSGPRsForWavesPerEU: 4
; NumVGPRsForWavesPerEU: 1
; AccumOffset: 4
; Occupancy: 8
; WaveLimiterHint : 0
; COMPUTE_PGM_RSRC2:SCRATCH_EN: 0
; COMPUTE_PGM_RSRC2:USER_SGPR: 6
; COMPUTE_PGM_RSRC2:TRAP_HANDLER: 0
; COMPUTE_PGM_RSRC2:TGID_X_EN: 1
; COMPUTE_PGM_RSRC2:TGID_Y_EN: 0
; COMPUTE_PGM_RSRC2:TGID_Z_EN: 0
; COMPUTE_PGM_RSRC2:TIDIG_COMP_CNT: 0
; COMPUTE_PGM_RSRC3_GFX90A:ACCUM_OFFSET: 0
; COMPUTE_PGM_RSRC3_GFX90A:TG_SPLIT: 0
	.section	.text._ZN7rocprim17ROCPRIM_400000_NS6detail17trampoline_kernelINS0_14default_configENS1_20scan_config_selectorIxEEZZNS1_9scan_implILNS1_25lookback_scan_determinismE0ELb1ELb1ES3_N6thrust23THRUST_200600_302600_NS6detail15normal_iteratorINS9_10device_ptrIxEEEENS9_16discard_iteratorINS9_11use_defaultEEEx11max_functorIxExEEDaPvRmT3_T4_T5_mT6_P12ihipStream_tbENKUlT_T0_E_clISt17integral_constantIbLb1EESW_IbLb0EEEEDaSS_ST_EUlSS_E_NS1_11comp_targetILNS1_3genE10ELNS1_11target_archE1200ELNS1_3gpuE4ELNS1_3repE0EEENS1_30default_config_static_selectorELNS0_4arch9wavefront6targetE1EEEvT1_,"axG",@progbits,_ZN7rocprim17ROCPRIM_400000_NS6detail17trampoline_kernelINS0_14default_configENS1_20scan_config_selectorIxEEZZNS1_9scan_implILNS1_25lookback_scan_determinismE0ELb1ELb1ES3_N6thrust23THRUST_200600_302600_NS6detail15normal_iteratorINS9_10device_ptrIxEEEENS9_16discard_iteratorINS9_11use_defaultEEEx11max_functorIxExEEDaPvRmT3_T4_T5_mT6_P12ihipStream_tbENKUlT_T0_E_clISt17integral_constantIbLb1EESW_IbLb0EEEEDaSS_ST_EUlSS_E_NS1_11comp_targetILNS1_3genE10ELNS1_11target_archE1200ELNS1_3gpuE4ELNS1_3repE0EEENS1_30default_config_static_selectorELNS0_4arch9wavefront6targetE1EEEvT1_,comdat
	.protected	_ZN7rocprim17ROCPRIM_400000_NS6detail17trampoline_kernelINS0_14default_configENS1_20scan_config_selectorIxEEZZNS1_9scan_implILNS1_25lookback_scan_determinismE0ELb1ELb1ES3_N6thrust23THRUST_200600_302600_NS6detail15normal_iteratorINS9_10device_ptrIxEEEENS9_16discard_iteratorINS9_11use_defaultEEEx11max_functorIxExEEDaPvRmT3_T4_T5_mT6_P12ihipStream_tbENKUlT_T0_E_clISt17integral_constantIbLb1EESW_IbLb0EEEEDaSS_ST_EUlSS_E_NS1_11comp_targetILNS1_3genE10ELNS1_11target_archE1200ELNS1_3gpuE4ELNS1_3repE0EEENS1_30default_config_static_selectorELNS0_4arch9wavefront6targetE1EEEvT1_ ; -- Begin function _ZN7rocprim17ROCPRIM_400000_NS6detail17trampoline_kernelINS0_14default_configENS1_20scan_config_selectorIxEEZZNS1_9scan_implILNS1_25lookback_scan_determinismE0ELb1ELb1ES3_N6thrust23THRUST_200600_302600_NS6detail15normal_iteratorINS9_10device_ptrIxEEEENS9_16discard_iteratorINS9_11use_defaultEEEx11max_functorIxExEEDaPvRmT3_T4_T5_mT6_P12ihipStream_tbENKUlT_T0_E_clISt17integral_constantIbLb1EESW_IbLb0EEEEDaSS_ST_EUlSS_E_NS1_11comp_targetILNS1_3genE10ELNS1_11target_archE1200ELNS1_3gpuE4ELNS1_3repE0EEENS1_30default_config_static_selectorELNS0_4arch9wavefront6targetE1EEEvT1_
	.globl	_ZN7rocprim17ROCPRIM_400000_NS6detail17trampoline_kernelINS0_14default_configENS1_20scan_config_selectorIxEEZZNS1_9scan_implILNS1_25lookback_scan_determinismE0ELb1ELb1ES3_N6thrust23THRUST_200600_302600_NS6detail15normal_iteratorINS9_10device_ptrIxEEEENS9_16discard_iteratorINS9_11use_defaultEEEx11max_functorIxExEEDaPvRmT3_T4_T5_mT6_P12ihipStream_tbENKUlT_T0_E_clISt17integral_constantIbLb1EESW_IbLb0EEEEDaSS_ST_EUlSS_E_NS1_11comp_targetILNS1_3genE10ELNS1_11target_archE1200ELNS1_3gpuE4ELNS1_3repE0EEENS1_30default_config_static_selectorELNS0_4arch9wavefront6targetE1EEEvT1_
	.p2align	8
	.type	_ZN7rocprim17ROCPRIM_400000_NS6detail17trampoline_kernelINS0_14default_configENS1_20scan_config_selectorIxEEZZNS1_9scan_implILNS1_25lookback_scan_determinismE0ELb1ELb1ES3_N6thrust23THRUST_200600_302600_NS6detail15normal_iteratorINS9_10device_ptrIxEEEENS9_16discard_iteratorINS9_11use_defaultEEEx11max_functorIxExEEDaPvRmT3_T4_T5_mT6_P12ihipStream_tbENKUlT_T0_E_clISt17integral_constantIbLb1EESW_IbLb0EEEEDaSS_ST_EUlSS_E_NS1_11comp_targetILNS1_3genE10ELNS1_11target_archE1200ELNS1_3gpuE4ELNS1_3repE0EEENS1_30default_config_static_selectorELNS0_4arch9wavefront6targetE1EEEvT1_,@function
_ZN7rocprim17ROCPRIM_400000_NS6detail17trampoline_kernelINS0_14default_configENS1_20scan_config_selectorIxEEZZNS1_9scan_implILNS1_25lookback_scan_determinismE0ELb1ELb1ES3_N6thrust23THRUST_200600_302600_NS6detail15normal_iteratorINS9_10device_ptrIxEEEENS9_16discard_iteratorINS9_11use_defaultEEEx11max_functorIxExEEDaPvRmT3_T4_T5_mT6_P12ihipStream_tbENKUlT_T0_E_clISt17integral_constantIbLb1EESW_IbLb0EEEEDaSS_ST_EUlSS_E_NS1_11comp_targetILNS1_3genE10ELNS1_11target_archE1200ELNS1_3gpuE4ELNS1_3repE0EEENS1_30default_config_static_selectorELNS0_4arch9wavefront6targetE1EEEvT1_: ; @_ZN7rocprim17ROCPRIM_400000_NS6detail17trampoline_kernelINS0_14default_configENS1_20scan_config_selectorIxEEZZNS1_9scan_implILNS1_25lookback_scan_determinismE0ELb1ELb1ES3_N6thrust23THRUST_200600_302600_NS6detail15normal_iteratorINS9_10device_ptrIxEEEENS9_16discard_iteratorINS9_11use_defaultEEEx11max_functorIxExEEDaPvRmT3_T4_T5_mT6_P12ihipStream_tbENKUlT_T0_E_clISt17integral_constantIbLb1EESW_IbLb0EEEEDaSS_ST_EUlSS_E_NS1_11comp_targetILNS1_3genE10ELNS1_11target_archE1200ELNS1_3gpuE4ELNS1_3repE0EEENS1_30default_config_static_selectorELNS0_4arch9wavefront6targetE1EEEvT1_
; %bb.0:
	.section	.rodata,"a",@progbits
	.p2align	6, 0x0
	.amdhsa_kernel _ZN7rocprim17ROCPRIM_400000_NS6detail17trampoline_kernelINS0_14default_configENS1_20scan_config_selectorIxEEZZNS1_9scan_implILNS1_25lookback_scan_determinismE0ELb1ELb1ES3_N6thrust23THRUST_200600_302600_NS6detail15normal_iteratorINS9_10device_ptrIxEEEENS9_16discard_iteratorINS9_11use_defaultEEEx11max_functorIxExEEDaPvRmT3_T4_T5_mT6_P12ihipStream_tbENKUlT_T0_E_clISt17integral_constantIbLb1EESW_IbLb0EEEEDaSS_ST_EUlSS_E_NS1_11comp_targetILNS1_3genE10ELNS1_11target_archE1200ELNS1_3gpuE4ELNS1_3repE0EEENS1_30default_config_static_selectorELNS0_4arch9wavefront6targetE1EEEvT1_
		.amdhsa_group_segment_fixed_size 0
		.amdhsa_private_segment_fixed_size 0
		.amdhsa_kernarg_size 112
		.amdhsa_user_sgpr_count 6
		.amdhsa_user_sgpr_private_segment_buffer 1
		.amdhsa_user_sgpr_dispatch_ptr 0
		.amdhsa_user_sgpr_queue_ptr 0
		.amdhsa_user_sgpr_kernarg_segment_ptr 1
		.amdhsa_user_sgpr_dispatch_id 0
		.amdhsa_user_sgpr_flat_scratch_init 0
		.amdhsa_user_sgpr_kernarg_preload_length 0
		.amdhsa_user_sgpr_kernarg_preload_offset 0
		.amdhsa_user_sgpr_private_segment_size 0
		.amdhsa_uses_dynamic_stack 0
		.amdhsa_system_sgpr_private_segment_wavefront_offset 0
		.amdhsa_system_sgpr_workgroup_id_x 1
		.amdhsa_system_sgpr_workgroup_id_y 0
		.amdhsa_system_sgpr_workgroup_id_z 0
		.amdhsa_system_sgpr_workgroup_info 0
		.amdhsa_system_vgpr_workitem_id 0
		.amdhsa_next_free_vgpr 1
		.amdhsa_next_free_sgpr 0
		.amdhsa_accum_offset 4
		.amdhsa_reserve_vcc 0
		.amdhsa_reserve_flat_scratch 0
		.amdhsa_float_round_mode_32 0
		.amdhsa_float_round_mode_16_64 0
		.amdhsa_float_denorm_mode_32 3
		.amdhsa_float_denorm_mode_16_64 3
		.amdhsa_dx10_clamp 1
		.amdhsa_ieee_mode 1
		.amdhsa_fp16_overflow 0
		.amdhsa_tg_split 0
		.amdhsa_exception_fp_ieee_invalid_op 0
		.amdhsa_exception_fp_denorm_src 0
		.amdhsa_exception_fp_ieee_div_zero 0
		.amdhsa_exception_fp_ieee_overflow 0
		.amdhsa_exception_fp_ieee_underflow 0
		.amdhsa_exception_fp_ieee_inexact 0
		.amdhsa_exception_int_div_zero 0
	.end_amdhsa_kernel
	.section	.text._ZN7rocprim17ROCPRIM_400000_NS6detail17trampoline_kernelINS0_14default_configENS1_20scan_config_selectorIxEEZZNS1_9scan_implILNS1_25lookback_scan_determinismE0ELb1ELb1ES3_N6thrust23THRUST_200600_302600_NS6detail15normal_iteratorINS9_10device_ptrIxEEEENS9_16discard_iteratorINS9_11use_defaultEEEx11max_functorIxExEEDaPvRmT3_T4_T5_mT6_P12ihipStream_tbENKUlT_T0_E_clISt17integral_constantIbLb1EESW_IbLb0EEEEDaSS_ST_EUlSS_E_NS1_11comp_targetILNS1_3genE10ELNS1_11target_archE1200ELNS1_3gpuE4ELNS1_3repE0EEENS1_30default_config_static_selectorELNS0_4arch9wavefront6targetE1EEEvT1_,"axG",@progbits,_ZN7rocprim17ROCPRIM_400000_NS6detail17trampoline_kernelINS0_14default_configENS1_20scan_config_selectorIxEEZZNS1_9scan_implILNS1_25lookback_scan_determinismE0ELb1ELb1ES3_N6thrust23THRUST_200600_302600_NS6detail15normal_iteratorINS9_10device_ptrIxEEEENS9_16discard_iteratorINS9_11use_defaultEEEx11max_functorIxExEEDaPvRmT3_T4_T5_mT6_P12ihipStream_tbENKUlT_T0_E_clISt17integral_constantIbLb1EESW_IbLb0EEEEDaSS_ST_EUlSS_E_NS1_11comp_targetILNS1_3genE10ELNS1_11target_archE1200ELNS1_3gpuE4ELNS1_3repE0EEENS1_30default_config_static_selectorELNS0_4arch9wavefront6targetE1EEEvT1_,comdat
.Lfunc_end3824:
	.size	_ZN7rocprim17ROCPRIM_400000_NS6detail17trampoline_kernelINS0_14default_configENS1_20scan_config_selectorIxEEZZNS1_9scan_implILNS1_25lookback_scan_determinismE0ELb1ELb1ES3_N6thrust23THRUST_200600_302600_NS6detail15normal_iteratorINS9_10device_ptrIxEEEENS9_16discard_iteratorINS9_11use_defaultEEEx11max_functorIxExEEDaPvRmT3_T4_T5_mT6_P12ihipStream_tbENKUlT_T0_E_clISt17integral_constantIbLb1EESW_IbLb0EEEEDaSS_ST_EUlSS_E_NS1_11comp_targetILNS1_3genE10ELNS1_11target_archE1200ELNS1_3gpuE4ELNS1_3repE0EEENS1_30default_config_static_selectorELNS0_4arch9wavefront6targetE1EEEvT1_, .Lfunc_end3824-_ZN7rocprim17ROCPRIM_400000_NS6detail17trampoline_kernelINS0_14default_configENS1_20scan_config_selectorIxEEZZNS1_9scan_implILNS1_25lookback_scan_determinismE0ELb1ELb1ES3_N6thrust23THRUST_200600_302600_NS6detail15normal_iteratorINS9_10device_ptrIxEEEENS9_16discard_iteratorINS9_11use_defaultEEEx11max_functorIxExEEDaPvRmT3_T4_T5_mT6_P12ihipStream_tbENKUlT_T0_E_clISt17integral_constantIbLb1EESW_IbLb0EEEEDaSS_ST_EUlSS_E_NS1_11comp_targetILNS1_3genE10ELNS1_11target_archE1200ELNS1_3gpuE4ELNS1_3repE0EEENS1_30default_config_static_selectorELNS0_4arch9wavefront6targetE1EEEvT1_
                                        ; -- End function
	.section	.AMDGPU.csdata,"",@progbits
; Kernel info:
; codeLenInByte = 0
; NumSgprs: 4
; NumVgprs: 0
; NumAgprs: 0
; TotalNumVgprs: 0
; ScratchSize: 0
; MemoryBound: 0
; FloatMode: 240
; IeeeMode: 1
; LDSByteSize: 0 bytes/workgroup (compile time only)
; SGPRBlocks: 0
; VGPRBlocks: 0
; NumSGPRsForWavesPerEU: 4
; NumVGPRsForWavesPerEU: 1
; AccumOffset: 4
; Occupancy: 8
; WaveLimiterHint : 0
; COMPUTE_PGM_RSRC2:SCRATCH_EN: 0
; COMPUTE_PGM_RSRC2:USER_SGPR: 6
; COMPUTE_PGM_RSRC2:TRAP_HANDLER: 0
; COMPUTE_PGM_RSRC2:TGID_X_EN: 1
; COMPUTE_PGM_RSRC2:TGID_Y_EN: 0
; COMPUTE_PGM_RSRC2:TGID_Z_EN: 0
; COMPUTE_PGM_RSRC2:TIDIG_COMP_CNT: 0
; COMPUTE_PGM_RSRC3_GFX90A:ACCUM_OFFSET: 0
; COMPUTE_PGM_RSRC3_GFX90A:TG_SPLIT: 0
	.section	.text._ZN7rocprim17ROCPRIM_400000_NS6detail17trampoline_kernelINS0_14default_configENS1_20scan_config_selectorIxEEZZNS1_9scan_implILNS1_25lookback_scan_determinismE0ELb1ELb1ES3_N6thrust23THRUST_200600_302600_NS6detail15normal_iteratorINS9_10device_ptrIxEEEENS9_16discard_iteratorINS9_11use_defaultEEEx11max_functorIxExEEDaPvRmT3_T4_T5_mT6_P12ihipStream_tbENKUlT_T0_E_clISt17integral_constantIbLb1EESW_IbLb0EEEEDaSS_ST_EUlSS_E_NS1_11comp_targetILNS1_3genE9ELNS1_11target_archE1100ELNS1_3gpuE3ELNS1_3repE0EEENS1_30default_config_static_selectorELNS0_4arch9wavefront6targetE1EEEvT1_,"axG",@progbits,_ZN7rocprim17ROCPRIM_400000_NS6detail17trampoline_kernelINS0_14default_configENS1_20scan_config_selectorIxEEZZNS1_9scan_implILNS1_25lookback_scan_determinismE0ELb1ELb1ES3_N6thrust23THRUST_200600_302600_NS6detail15normal_iteratorINS9_10device_ptrIxEEEENS9_16discard_iteratorINS9_11use_defaultEEEx11max_functorIxExEEDaPvRmT3_T4_T5_mT6_P12ihipStream_tbENKUlT_T0_E_clISt17integral_constantIbLb1EESW_IbLb0EEEEDaSS_ST_EUlSS_E_NS1_11comp_targetILNS1_3genE9ELNS1_11target_archE1100ELNS1_3gpuE3ELNS1_3repE0EEENS1_30default_config_static_selectorELNS0_4arch9wavefront6targetE1EEEvT1_,comdat
	.protected	_ZN7rocprim17ROCPRIM_400000_NS6detail17trampoline_kernelINS0_14default_configENS1_20scan_config_selectorIxEEZZNS1_9scan_implILNS1_25lookback_scan_determinismE0ELb1ELb1ES3_N6thrust23THRUST_200600_302600_NS6detail15normal_iteratorINS9_10device_ptrIxEEEENS9_16discard_iteratorINS9_11use_defaultEEEx11max_functorIxExEEDaPvRmT3_T4_T5_mT6_P12ihipStream_tbENKUlT_T0_E_clISt17integral_constantIbLb1EESW_IbLb0EEEEDaSS_ST_EUlSS_E_NS1_11comp_targetILNS1_3genE9ELNS1_11target_archE1100ELNS1_3gpuE3ELNS1_3repE0EEENS1_30default_config_static_selectorELNS0_4arch9wavefront6targetE1EEEvT1_ ; -- Begin function _ZN7rocprim17ROCPRIM_400000_NS6detail17trampoline_kernelINS0_14default_configENS1_20scan_config_selectorIxEEZZNS1_9scan_implILNS1_25lookback_scan_determinismE0ELb1ELb1ES3_N6thrust23THRUST_200600_302600_NS6detail15normal_iteratorINS9_10device_ptrIxEEEENS9_16discard_iteratorINS9_11use_defaultEEEx11max_functorIxExEEDaPvRmT3_T4_T5_mT6_P12ihipStream_tbENKUlT_T0_E_clISt17integral_constantIbLb1EESW_IbLb0EEEEDaSS_ST_EUlSS_E_NS1_11comp_targetILNS1_3genE9ELNS1_11target_archE1100ELNS1_3gpuE3ELNS1_3repE0EEENS1_30default_config_static_selectorELNS0_4arch9wavefront6targetE1EEEvT1_
	.globl	_ZN7rocprim17ROCPRIM_400000_NS6detail17trampoline_kernelINS0_14default_configENS1_20scan_config_selectorIxEEZZNS1_9scan_implILNS1_25lookback_scan_determinismE0ELb1ELb1ES3_N6thrust23THRUST_200600_302600_NS6detail15normal_iteratorINS9_10device_ptrIxEEEENS9_16discard_iteratorINS9_11use_defaultEEEx11max_functorIxExEEDaPvRmT3_T4_T5_mT6_P12ihipStream_tbENKUlT_T0_E_clISt17integral_constantIbLb1EESW_IbLb0EEEEDaSS_ST_EUlSS_E_NS1_11comp_targetILNS1_3genE9ELNS1_11target_archE1100ELNS1_3gpuE3ELNS1_3repE0EEENS1_30default_config_static_selectorELNS0_4arch9wavefront6targetE1EEEvT1_
	.p2align	8
	.type	_ZN7rocprim17ROCPRIM_400000_NS6detail17trampoline_kernelINS0_14default_configENS1_20scan_config_selectorIxEEZZNS1_9scan_implILNS1_25lookback_scan_determinismE0ELb1ELb1ES3_N6thrust23THRUST_200600_302600_NS6detail15normal_iteratorINS9_10device_ptrIxEEEENS9_16discard_iteratorINS9_11use_defaultEEEx11max_functorIxExEEDaPvRmT3_T4_T5_mT6_P12ihipStream_tbENKUlT_T0_E_clISt17integral_constantIbLb1EESW_IbLb0EEEEDaSS_ST_EUlSS_E_NS1_11comp_targetILNS1_3genE9ELNS1_11target_archE1100ELNS1_3gpuE3ELNS1_3repE0EEENS1_30default_config_static_selectorELNS0_4arch9wavefront6targetE1EEEvT1_,@function
_ZN7rocprim17ROCPRIM_400000_NS6detail17trampoline_kernelINS0_14default_configENS1_20scan_config_selectorIxEEZZNS1_9scan_implILNS1_25lookback_scan_determinismE0ELb1ELb1ES3_N6thrust23THRUST_200600_302600_NS6detail15normal_iteratorINS9_10device_ptrIxEEEENS9_16discard_iteratorINS9_11use_defaultEEEx11max_functorIxExEEDaPvRmT3_T4_T5_mT6_P12ihipStream_tbENKUlT_T0_E_clISt17integral_constantIbLb1EESW_IbLb0EEEEDaSS_ST_EUlSS_E_NS1_11comp_targetILNS1_3genE9ELNS1_11target_archE1100ELNS1_3gpuE3ELNS1_3repE0EEENS1_30default_config_static_selectorELNS0_4arch9wavefront6targetE1EEEvT1_: ; @_ZN7rocprim17ROCPRIM_400000_NS6detail17trampoline_kernelINS0_14default_configENS1_20scan_config_selectorIxEEZZNS1_9scan_implILNS1_25lookback_scan_determinismE0ELb1ELb1ES3_N6thrust23THRUST_200600_302600_NS6detail15normal_iteratorINS9_10device_ptrIxEEEENS9_16discard_iteratorINS9_11use_defaultEEEx11max_functorIxExEEDaPvRmT3_T4_T5_mT6_P12ihipStream_tbENKUlT_T0_E_clISt17integral_constantIbLb1EESW_IbLb0EEEEDaSS_ST_EUlSS_E_NS1_11comp_targetILNS1_3genE9ELNS1_11target_archE1100ELNS1_3gpuE3ELNS1_3repE0EEENS1_30default_config_static_selectorELNS0_4arch9wavefront6targetE1EEEvT1_
; %bb.0:
	.section	.rodata,"a",@progbits
	.p2align	6, 0x0
	.amdhsa_kernel _ZN7rocprim17ROCPRIM_400000_NS6detail17trampoline_kernelINS0_14default_configENS1_20scan_config_selectorIxEEZZNS1_9scan_implILNS1_25lookback_scan_determinismE0ELb1ELb1ES3_N6thrust23THRUST_200600_302600_NS6detail15normal_iteratorINS9_10device_ptrIxEEEENS9_16discard_iteratorINS9_11use_defaultEEEx11max_functorIxExEEDaPvRmT3_T4_T5_mT6_P12ihipStream_tbENKUlT_T0_E_clISt17integral_constantIbLb1EESW_IbLb0EEEEDaSS_ST_EUlSS_E_NS1_11comp_targetILNS1_3genE9ELNS1_11target_archE1100ELNS1_3gpuE3ELNS1_3repE0EEENS1_30default_config_static_selectorELNS0_4arch9wavefront6targetE1EEEvT1_
		.amdhsa_group_segment_fixed_size 0
		.amdhsa_private_segment_fixed_size 0
		.amdhsa_kernarg_size 112
		.amdhsa_user_sgpr_count 6
		.amdhsa_user_sgpr_private_segment_buffer 1
		.amdhsa_user_sgpr_dispatch_ptr 0
		.amdhsa_user_sgpr_queue_ptr 0
		.amdhsa_user_sgpr_kernarg_segment_ptr 1
		.amdhsa_user_sgpr_dispatch_id 0
		.amdhsa_user_sgpr_flat_scratch_init 0
		.amdhsa_user_sgpr_kernarg_preload_length 0
		.amdhsa_user_sgpr_kernarg_preload_offset 0
		.amdhsa_user_sgpr_private_segment_size 0
		.amdhsa_uses_dynamic_stack 0
		.amdhsa_system_sgpr_private_segment_wavefront_offset 0
		.amdhsa_system_sgpr_workgroup_id_x 1
		.amdhsa_system_sgpr_workgroup_id_y 0
		.amdhsa_system_sgpr_workgroup_id_z 0
		.amdhsa_system_sgpr_workgroup_info 0
		.amdhsa_system_vgpr_workitem_id 0
		.amdhsa_next_free_vgpr 1
		.amdhsa_next_free_sgpr 0
		.amdhsa_accum_offset 4
		.amdhsa_reserve_vcc 0
		.amdhsa_reserve_flat_scratch 0
		.amdhsa_float_round_mode_32 0
		.amdhsa_float_round_mode_16_64 0
		.amdhsa_float_denorm_mode_32 3
		.amdhsa_float_denorm_mode_16_64 3
		.amdhsa_dx10_clamp 1
		.amdhsa_ieee_mode 1
		.amdhsa_fp16_overflow 0
		.amdhsa_tg_split 0
		.amdhsa_exception_fp_ieee_invalid_op 0
		.amdhsa_exception_fp_denorm_src 0
		.amdhsa_exception_fp_ieee_div_zero 0
		.amdhsa_exception_fp_ieee_overflow 0
		.amdhsa_exception_fp_ieee_underflow 0
		.amdhsa_exception_fp_ieee_inexact 0
		.amdhsa_exception_int_div_zero 0
	.end_amdhsa_kernel
	.section	.text._ZN7rocprim17ROCPRIM_400000_NS6detail17trampoline_kernelINS0_14default_configENS1_20scan_config_selectorIxEEZZNS1_9scan_implILNS1_25lookback_scan_determinismE0ELb1ELb1ES3_N6thrust23THRUST_200600_302600_NS6detail15normal_iteratorINS9_10device_ptrIxEEEENS9_16discard_iteratorINS9_11use_defaultEEEx11max_functorIxExEEDaPvRmT3_T4_T5_mT6_P12ihipStream_tbENKUlT_T0_E_clISt17integral_constantIbLb1EESW_IbLb0EEEEDaSS_ST_EUlSS_E_NS1_11comp_targetILNS1_3genE9ELNS1_11target_archE1100ELNS1_3gpuE3ELNS1_3repE0EEENS1_30default_config_static_selectorELNS0_4arch9wavefront6targetE1EEEvT1_,"axG",@progbits,_ZN7rocprim17ROCPRIM_400000_NS6detail17trampoline_kernelINS0_14default_configENS1_20scan_config_selectorIxEEZZNS1_9scan_implILNS1_25lookback_scan_determinismE0ELb1ELb1ES3_N6thrust23THRUST_200600_302600_NS6detail15normal_iteratorINS9_10device_ptrIxEEEENS9_16discard_iteratorINS9_11use_defaultEEEx11max_functorIxExEEDaPvRmT3_T4_T5_mT6_P12ihipStream_tbENKUlT_T0_E_clISt17integral_constantIbLb1EESW_IbLb0EEEEDaSS_ST_EUlSS_E_NS1_11comp_targetILNS1_3genE9ELNS1_11target_archE1100ELNS1_3gpuE3ELNS1_3repE0EEENS1_30default_config_static_selectorELNS0_4arch9wavefront6targetE1EEEvT1_,comdat
.Lfunc_end3825:
	.size	_ZN7rocprim17ROCPRIM_400000_NS6detail17trampoline_kernelINS0_14default_configENS1_20scan_config_selectorIxEEZZNS1_9scan_implILNS1_25lookback_scan_determinismE0ELb1ELb1ES3_N6thrust23THRUST_200600_302600_NS6detail15normal_iteratorINS9_10device_ptrIxEEEENS9_16discard_iteratorINS9_11use_defaultEEEx11max_functorIxExEEDaPvRmT3_T4_T5_mT6_P12ihipStream_tbENKUlT_T0_E_clISt17integral_constantIbLb1EESW_IbLb0EEEEDaSS_ST_EUlSS_E_NS1_11comp_targetILNS1_3genE9ELNS1_11target_archE1100ELNS1_3gpuE3ELNS1_3repE0EEENS1_30default_config_static_selectorELNS0_4arch9wavefront6targetE1EEEvT1_, .Lfunc_end3825-_ZN7rocprim17ROCPRIM_400000_NS6detail17trampoline_kernelINS0_14default_configENS1_20scan_config_selectorIxEEZZNS1_9scan_implILNS1_25lookback_scan_determinismE0ELb1ELb1ES3_N6thrust23THRUST_200600_302600_NS6detail15normal_iteratorINS9_10device_ptrIxEEEENS9_16discard_iteratorINS9_11use_defaultEEEx11max_functorIxExEEDaPvRmT3_T4_T5_mT6_P12ihipStream_tbENKUlT_T0_E_clISt17integral_constantIbLb1EESW_IbLb0EEEEDaSS_ST_EUlSS_E_NS1_11comp_targetILNS1_3genE9ELNS1_11target_archE1100ELNS1_3gpuE3ELNS1_3repE0EEENS1_30default_config_static_selectorELNS0_4arch9wavefront6targetE1EEEvT1_
                                        ; -- End function
	.section	.AMDGPU.csdata,"",@progbits
; Kernel info:
; codeLenInByte = 0
; NumSgprs: 4
; NumVgprs: 0
; NumAgprs: 0
; TotalNumVgprs: 0
; ScratchSize: 0
; MemoryBound: 0
; FloatMode: 240
; IeeeMode: 1
; LDSByteSize: 0 bytes/workgroup (compile time only)
; SGPRBlocks: 0
; VGPRBlocks: 0
; NumSGPRsForWavesPerEU: 4
; NumVGPRsForWavesPerEU: 1
; AccumOffset: 4
; Occupancy: 8
; WaveLimiterHint : 0
; COMPUTE_PGM_RSRC2:SCRATCH_EN: 0
; COMPUTE_PGM_RSRC2:USER_SGPR: 6
; COMPUTE_PGM_RSRC2:TRAP_HANDLER: 0
; COMPUTE_PGM_RSRC2:TGID_X_EN: 1
; COMPUTE_PGM_RSRC2:TGID_Y_EN: 0
; COMPUTE_PGM_RSRC2:TGID_Z_EN: 0
; COMPUTE_PGM_RSRC2:TIDIG_COMP_CNT: 0
; COMPUTE_PGM_RSRC3_GFX90A:ACCUM_OFFSET: 0
; COMPUTE_PGM_RSRC3_GFX90A:TG_SPLIT: 0
	.section	.text._ZN7rocprim17ROCPRIM_400000_NS6detail17trampoline_kernelINS0_14default_configENS1_20scan_config_selectorIxEEZZNS1_9scan_implILNS1_25lookback_scan_determinismE0ELb1ELb1ES3_N6thrust23THRUST_200600_302600_NS6detail15normal_iteratorINS9_10device_ptrIxEEEENS9_16discard_iteratorINS9_11use_defaultEEEx11max_functorIxExEEDaPvRmT3_T4_T5_mT6_P12ihipStream_tbENKUlT_T0_E_clISt17integral_constantIbLb1EESW_IbLb0EEEEDaSS_ST_EUlSS_E_NS1_11comp_targetILNS1_3genE8ELNS1_11target_archE1030ELNS1_3gpuE2ELNS1_3repE0EEENS1_30default_config_static_selectorELNS0_4arch9wavefront6targetE1EEEvT1_,"axG",@progbits,_ZN7rocprim17ROCPRIM_400000_NS6detail17trampoline_kernelINS0_14default_configENS1_20scan_config_selectorIxEEZZNS1_9scan_implILNS1_25lookback_scan_determinismE0ELb1ELb1ES3_N6thrust23THRUST_200600_302600_NS6detail15normal_iteratorINS9_10device_ptrIxEEEENS9_16discard_iteratorINS9_11use_defaultEEEx11max_functorIxExEEDaPvRmT3_T4_T5_mT6_P12ihipStream_tbENKUlT_T0_E_clISt17integral_constantIbLb1EESW_IbLb0EEEEDaSS_ST_EUlSS_E_NS1_11comp_targetILNS1_3genE8ELNS1_11target_archE1030ELNS1_3gpuE2ELNS1_3repE0EEENS1_30default_config_static_selectorELNS0_4arch9wavefront6targetE1EEEvT1_,comdat
	.protected	_ZN7rocprim17ROCPRIM_400000_NS6detail17trampoline_kernelINS0_14default_configENS1_20scan_config_selectorIxEEZZNS1_9scan_implILNS1_25lookback_scan_determinismE0ELb1ELb1ES3_N6thrust23THRUST_200600_302600_NS6detail15normal_iteratorINS9_10device_ptrIxEEEENS9_16discard_iteratorINS9_11use_defaultEEEx11max_functorIxExEEDaPvRmT3_T4_T5_mT6_P12ihipStream_tbENKUlT_T0_E_clISt17integral_constantIbLb1EESW_IbLb0EEEEDaSS_ST_EUlSS_E_NS1_11comp_targetILNS1_3genE8ELNS1_11target_archE1030ELNS1_3gpuE2ELNS1_3repE0EEENS1_30default_config_static_selectorELNS0_4arch9wavefront6targetE1EEEvT1_ ; -- Begin function _ZN7rocprim17ROCPRIM_400000_NS6detail17trampoline_kernelINS0_14default_configENS1_20scan_config_selectorIxEEZZNS1_9scan_implILNS1_25lookback_scan_determinismE0ELb1ELb1ES3_N6thrust23THRUST_200600_302600_NS6detail15normal_iteratorINS9_10device_ptrIxEEEENS9_16discard_iteratorINS9_11use_defaultEEEx11max_functorIxExEEDaPvRmT3_T4_T5_mT6_P12ihipStream_tbENKUlT_T0_E_clISt17integral_constantIbLb1EESW_IbLb0EEEEDaSS_ST_EUlSS_E_NS1_11comp_targetILNS1_3genE8ELNS1_11target_archE1030ELNS1_3gpuE2ELNS1_3repE0EEENS1_30default_config_static_selectorELNS0_4arch9wavefront6targetE1EEEvT1_
	.globl	_ZN7rocprim17ROCPRIM_400000_NS6detail17trampoline_kernelINS0_14default_configENS1_20scan_config_selectorIxEEZZNS1_9scan_implILNS1_25lookback_scan_determinismE0ELb1ELb1ES3_N6thrust23THRUST_200600_302600_NS6detail15normal_iteratorINS9_10device_ptrIxEEEENS9_16discard_iteratorINS9_11use_defaultEEEx11max_functorIxExEEDaPvRmT3_T4_T5_mT6_P12ihipStream_tbENKUlT_T0_E_clISt17integral_constantIbLb1EESW_IbLb0EEEEDaSS_ST_EUlSS_E_NS1_11comp_targetILNS1_3genE8ELNS1_11target_archE1030ELNS1_3gpuE2ELNS1_3repE0EEENS1_30default_config_static_selectorELNS0_4arch9wavefront6targetE1EEEvT1_
	.p2align	8
	.type	_ZN7rocprim17ROCPRIM_400000_NS6detail17trampoline_kernelINS0_14default_configENS1_20scan_config_selectorIxEEZZNS1_9scan_implILNS1_25lookback_scan_determinismE0ELb1ELb1ES3_N6thrust23THRUST_200600_302600_NS6detail15normal_iteratorINS9_10device_ptrIxEEEENS9_16discard_iteratorINS9_11use_defaultEEEx11max_functorIxExEEDaPvRmT3_T4_T5_mT6_P12ihipStream_tbENKUlT_T0_E_clISt17integral_constantIbLb1EESW_IbLb0EEEEDaSS_ST_EUlSS_E_NS1_11comp_targetILNS1_3genE8ELNS1_11target_archE1030ELNS1_3gpuE2ELNS1_3repE0EEENS1_30default_config_static_selectorELNS0_4arch9wavefront6targetE1EEEvT1_,@function
_ZN7rocprim17ROCPRIM_400000_NS6detail17trampoline_kernelINS0_14default_configENS1_20scan_config_selectorIxEEZZNS1_9scan_implILNS1_25lookback_scan_determinismE0ELb1ELb1ES3_N6thrust23THRUST_200600_302600_NS6detail15normal_iteratorINS9_10device_ptrIxEEEENS9_16discard_iteratorINS9_11use_defaultEEEx11max_functorIxExEEDaPvRmT3_T4_T5_mT6_P12ihipStream_tbENKUlT_T0_E_clISt17integral_constantIbLb1EESW_IbLb0EEEEDaSS_ST_EUlSS_E_NS1_11comp_targetILNS1_3genE8ELNS1_11target_archE1030ELNS1_3gpuE2ELNS1_3repE0EEENS1_30default_config_static_selectorELNS0_4arch9wavefront6targetE1EEEvT1_: ; @_ZN7rocprim17ROCPRIM_400000_NS6detail17trampoline_kernelINS0_14default_configENS1_20scan_config_selectorIxEEZZNS1_9scan_implILNS1_25lookback_scan_determinismE0ELb1ELb1ES3_N6thrust23THRUST_200600_302600_NS6detail15normal_iteratorINS9_10device_ptrIxEEEENS9_16discard_iteratorINS9_11use_defaultEEEx11max_functorIxExEEDaPvRmT3_T4_T5_mT6_P12ihipStream_tbENKUlT_T0_E_clISt17integral_constantIbLb1EESW_IbLb0EEEEDaSS_ST_EUlSS_E_NS1_11comp_targetILNS1_3genE8ELNS1_11target_archE1030ELNS1_3gpuE2ELNS1_3repE0EEENS1_30default_config_static_selectorELNS0_4arch9wavefront6targetE1EEEvT1_
; %bb.0:
	.section	.rodata,"a",@progbits
	.p2align	6, 0x0
	.amdhsa_kernel _ZN7rocprim17ROCPRIM_400000_NS6detail17trampoline_kernelINS0_14default_configENS1_20scan_config_selectorIxEEZZNS1_9scan_implILNS1_25lookback_scan_determinismE0ELb1ELb1ES3_N6thrust23THRUST_200600_302600_NS6detail15normal_iteratorINS9_10device_ptrIxEEEENS9_16discard_iteratorINS9_11use_defaultEEEx11max_functorIxExEEDaPvRmT3_T4_T5_mT6_P12ihipStream_tbENKUlT_T0_E_clISt17integral_constantIbLb1EESW_IbLb0EEEEDaSS_ST_EUlSS_E_NS1_11comp_targetILNS1_3genE8ELNS1_11target_archE1030ELNS1_3gpuE2ELNS1_3repE0EEENS1_30default_config_static_selectorELNS0_4arch9wavefront6targetE1EEEvT1_
		.amdhsa_group_segment_fixed_size 0
		.amdhsa_private_segment_fixed_size 0
		.amdhsa_kernarg_size 112
		.amdhsa_user_sgpr_count 6
		.amdhsa_user_sgpr_private_segment_buffer 1
		.amdhsa_user_sgpr_dispatch_ptr 0
		.amdhsa_user_sgpr_queue_ptr 0
		.amdhsa_user_sgpr_kernarg_segment_ptr 1
		.amdhsa_user_sgpr_dispatch_id 0
		.amdhsa_user_sgpr_flat_scratch_init 0
		.amdhsa_user_sgpr_kernarg_preload_length 0
		.amdhsa_user_sgpr_kernarg_preload_offset 0
		.amdhsa_user_sgpr_private_segment_size 0
		.amdhsa_uses_dynamic_stack 0
		.amdhsa_system_sgpr_private_segment_wavefront_offset 0
		.amdhsa_system_sgpr_workgroup_id_x 1
		.amdhsa_system_sgpr_workgroup_id_y 0
		.amdhsa_system_sgpr_workgroup_id_z 0
		.amdhsa_system_sgpr_workgroup_info 0
		.amdhsa_system_vgpr_workitem_id 0
		.amdhsa_next_free_vgpr 1
		.amdhsa_next_free_sgpr 0
		.amdhsa_accum_offset 4
		.amdhsa_reserve_vcc 0
		.amdhsa_reserve_flat_scratch 0
		.amdhsa_float_round_mode_32 0
		.amdhsa_float_round_mode_16_64 0
		.amdhsa_float_denorm_mode_32 3
		.amdhsa_float_denorm_mode_16_64 3
		.amdhsa_dx10_clamp 1
		.amdhsa_ieee_mode 1
		.amdhsa_fp16_overflow 0
		.amdhsa_tg_split 0
		.amdhsa_exception_fp_ieee_invalid_op 0
		.amdhsa_exception_fp_denorm_src 0
		.amdhsa_exception_fp_ieee_div_zero 0
		.amdhsa_exception_fp_ieee_overflow 0
		.amdhsa_exception_fp_ieee_underflow 0
		.amdhsa_exception_fp_ieee_inexact 0
		.amdhsa_exception_int_div_zero 0
	.end_amdhsa_kernel
	.section	.text._ZN7rocprim17ROCPRIM_400000_NS6detail17trampoline_kernelINS0_14default_configENS1_20scan_config_selectorIxEEZZNS1_9scan_implILNS1_25lookback_scan_determinismE0ELb1ELb1ES3_N6thrust23THRUST_200600_302600_NS6detail15normal_iteratorINS9_10device_ptrIxEEEENS9_16discard_iteratorINS9_11use_defaultEEEx11max_functorIxExEEDaPvRmT3_T4_T5_mT6_P12ihipStream_tbENKUlT_T0_E_clISt17integral_constantIbLb1EESW_IbLb0EEEEDaSS_ST_EUlSS_E_NS1_11comp_targetILNS1_3genE8ELNS1_11target_archE1030ELNS1_3gpuE2ELNS1_3repE0EEENS1_30default_config_static_selectorELNS0_4arch9wavefront6targetE1EEEvT1_,"axG",@progbits,_ZN7rocprim17ROCPRIM_400000_NS6detail17trampoline_kernelINS0_14default_configENS1_20scan_config_selectorIxEEZZNS1_9scan_implILNS1_25lookback_scan_determinismE0ELb1ELb1ES3_N6thrust23THRUST_200600_302600_NS6detail15normal_iteratorINS9_10device_ptrIxEEEENS9_16discard_iteratorINS9_11use_defaultEEEx11max_functorIxExEEDaPvRmT3_T4_T5_mT6_P12ihipStream_tbENKUlT_T0_E_clISt17integral_constantIbLb1EESW_IbLb0EEEEDaSS_ST_EUlSS_E_NS1_11comp_targetILNS1_3genE8ELNS1_11target_archE1030ELNS1_3gpuE2ELNS1_3repE0EEENS1_30default_config_static_selectorELNS0_4arch9wavefront6targetE1EEEvT1_,comdat
.Lfunc_end3826:
	.size	_ZN7rocprim17ROCPRIM_400000_NS6detail17trampoline_kernelINS0_14default_configENS1_20scan_config_selectorIxEEZZNS1_9scan_implILNS1_25lookback_scan_determinismE0ELb1ELb1ES3_N6thrust23THRUST_200600_302600_NS6detail15normal_iteratorINS9_10device_ptrIxEEEENS9_16discard_iteratorINS9_11use_defaultEEEx11max_functorIxExEEDaPvRmT3_T4_T5_mT6_P12ihipStream_tbENKUlT_T0_E_clISt17integral_constantIbLb1EESW_IbLb0EEEEDaSS_ST_EUlSS_E_NS1_11comp_targetILNS1_3genE8ELNS1_11target_archE1030ELNS1_3gpuE2ELNS1_3repE0EEENS1_30default_config_static_selectorELNS0_4arch9wavefront6targetE1EEEvT1_, .Lfunc_end3826-_ZN7rocprim17ROCPRIM_400000_NS6detail17trampoline_kernelINS0_14default_configENS1_20scan_config_selectorIxEEZZNS1_9scan_implILNS1_25lookback_scan_determinismE0ELb1ELb1ES3_N6thrust23THRUST_200600_302600_NS6detail15normal_iteratorINS9_10device_ptrIxEEEENS9_16discard_iteratorINS9_11use_defaultEEEx11max_functorIxExEEDaPvRmT3_T4_T5_mT6_P12ihipStream_tbENKUlT_T0_E_clISt17integral_constantIbLb1EESW_IbLb0EEEEDaSS_ST_EUlSS_E_NS1_11comp_targetILNS1_3genE8ELNS1_11target_archE1030ELNS1_3gpuE2ELNS1_3repE0EEENS1_30default_config_static_selectorELNS0_4arch9wavefront6targetE1EEEvT1_
                                        ; -- End function
	.section	.AMDGPU.csdata,"",@progbits
; Kernel info:
; codeLenInByte = 0
; NumSgprs: 4
; NumVgprs: 0
; NumAgprs: 0
; TotalNumVgprs: 0
; ScratchSize: 0
; MemoryBound: 0
; FloatMode: 240
; IeeeMode: 1
; LDSByteSize: 0 bytes/workgroup (compile time only)
; SGPRBlocks: 0
; VGPRBlocks: 0
; NumSGPRsForWavesPerEU: 4
; NumVGPRsForWavesPerEU: 1
; AccumOffset: 4
; Occupancy: 8
; WaveLimiterHint : 0
; COMPUTE_PGM_RSRC2:SCRATCH_EN: 0
; COMPUTE_PGM_RSRC2:USER_SGPR: 6
; COMPUTE_PGM_RSRC2:TRAP_HANDLER: 0
; COMPUTE_PGM_RSRC2:TGID_X_EN: 1
; COMPUTE_PGM_RSRC2:TGID_Y_EN: 0
; COMPUTE_PGM_RSRC2:TGID_Z_EN: 0
; COMPUTE_PGM_RSRC2:TIDIG_COMP_CNT: 0
; COMPUTE_PGM_RSRC3_GFX90A:ACCUM_OFFSET: 0
; COMPUTE_PGM_RSRC3_GFX90A:TG_SPLIT: 0
	.section	.text._ZN7rocprim17ROCPRIM_400000_NS6detail17trampoline_kernelINS0_14default_configENS1_20scan_config_selectorIxEEZZNS1_9scan_implILNS1_25lookback_scan_determinismE0ELb1ELb1ES3_N6thrust23THRUST_200600_302600_NS6detail15normal_iteratorINS9_10device_ptrIxEEEENS9_16discard_iteratorINS9_11use_defaultEEEx11max_functorIxExEEDaPvRmT3_T4_T5_mT6_P12ihipStream_tbENKUlT_T0_E_clISt17integral_constantIbLb1EESW_IbLb0EEEEDaSS_ST_EUlSS_E0_NS1_11comp_targetILNS1_3genE0ELNS1_11target_archE4294967295ELNS1_3gpuE0ELNS1_3repE0EEENS1_30default_config_static_selectorELNS0_4arch9wavefront6targetE1EEEvT1_,"axG",@progbits,_ZN7rocprim17ROCPRIM_400000_NS6detail17trampoline_kernelINS0_14default_configENS1_20scan_config_selectorIxEEZZNS1_9scan_implILNS1_25lookback_scan_determinismE0ELb1ELb1ES3_N6thrust23THRUST_200600_302600_NS6detail15normal_iteratorINS9_10device_ptrIxEEEENS9_16discard_iteratorINS9_11use_defaultEEEx11max_functorIxExEEDaPvRmT3_T4_T5_mT6_P12ihipStream_tbENKUlT_T0_E_clISt17integral_constantIbLb1EESW_IbLb0EEEEDaSS_ST_EUlSS_E0_NS1_11comp_targetILNS1_3genE0ELNS1_11target_archE4294967295ELNS1_3gpuE0ELNS1_3repE0EEENS1_30default_config_static_selectorELNS0_4arch9wavefront6targetE1EEEvT1_,comdat
	.protected	_ZN7rocprim17ROCPRIM_400000_NS6detail17trampoline_kernelINS0_14default_configENS1_20scan_config_selectorIxEEZZNS1_9scan_implILNS1_25lookback_scan_determinismE0ELb1ELb1ES3_N6thrust23THRUST_200600_302600_NS6detail15normal_iteratorINS9_10device_ptrIxEEEENS9_16discard_iteratorINS9_11use_defaultEEEx11max_functorIxExEEDaPvRmT3_T4_T5_mT6_P12ihipStream_tbENKUlT_T0_E_clISt17integral_constantIbLb1EESW_IbLb0EEEEDaSS_ST_EUlSS_E0_NS1_11comp_targetILNS1_3genE0ELNS1_11target_archE4294967295ELNS1_3gpuE0ELNS1_3repE0EEENS1_30default_config_static_selectorELNS0_4arch9wavefront6targetE1EEEvT1_ ; -- Begin function _ZN7rocprim17ROCPRIM_400000_NS6detail17trampoline_kernelINS0_14default_configENS1_20scan_config_selectorIxEEZZNS1_9scan_implILNS1_25lookback_scan_determinismE0ELb1ELb1ES3_N6thrust23THRUST_200600_302600_NS6detail15normal_iteratorINS9_10device_ptrIxEEEENS9_16discard_iteratorINS9_11use_defaultEEEx11max_functorIxExEEDaPvRmT3_T4_T5_mT6_P12ihipStream_tbENKUlT_T0_E_clISt17integral_constantIbLb1EESW_IbLb0EEEEDaSS_ST_EUlSS_E0_NS1_11comp_targetILNS1_3genE0ELNS1_11target_archE4294967295ELNS1_3gpuE0ELNS1_3repE0EEENS1_30default_config_static_selectorELNS0_4arch9wavefront6targetE1EEEvT1_
	.globl	_ZN7rocprim17ROCPRIM_400000_NS6detail17trampoline_kernelINS0_14default_configENS1_20scan_config_selectorIxEEZZNS1_9scan_implILNS1_25lookback_scan_determinismE0ELb1ELb1ES3_N6thrust23THRUST_200600_302600_NS6detail15normal_iteratorINS9_10device_ptrIxEEEENS9_16discard_iteratorINS9_11use_defaultEEEx11max_functorIxExEEDaPvRmT3_T4_T5_mT6_P12ihipStream_tbENKUlT_T0_E_clISt17integral_constantIbLb1EESW_IbLb0EEEEDaSS_ST_EUlSS_E0_NS1_11comp_targetILNS1_3genE0ELNS1_11target_archE4294967295ELNS1_3gpuE0ELNS1_3repE0EEENS1_30default_config_static_selectorELNS0_4arch9wavefront6targetE1EEEvT1_
	.p2align	8
	.type	_ZN7rocprim17ROCPRIM_400000_NS6detail17trampoline_kernelINS0_14default_configENS1_20scan_config_selectorIxEEZZNS1_9scan_implILNS1_25lookback_scan_determinismE0ELb1ELb1ES3_N6thrust23THRUST_200600_302600_NS6detail15normal_iteratorINS9_10device_ptrIxEEEENS9_16discard_iteratorINS9_11use_defaultEEEx11max_functorIxExEEDaPvRmT3_T4_T5_mT6_P12ihipStream_tbENKUlT_T0_E_clISt17integral_constantIbLb1EESW_IbLb0EEEEDaSS_ST_EUlSS_E0_NS1_11comp_targetILNS1_3genE0ELNS1_11target_archE4294967295ELNS1_3gpuE0ELNS1_3repE0EEENS1_30default_config_static_selectorELNS0_4arch9wavefront6targetE1EEEvT1_,@function
_ZN7rocprim17ROCPRIM_400000_NS6detail17trampoline_kernelINS0_14default_configENS1_20scan_config_selectorIxEEZZNS1_9scan_implILNS1_25lookback_scan_determinismE0ELb1ELb1ES3_N6thrust23THRUST_200600_302600_NS6detail15normal_iteratorINS9_10device_ptrIxEEEENS9_16discard_iteratorINS9_11use_defaultEEEx11max_functorIxExEEDaPvRmT3_T4_T5_mT6_P12ihipStream_tbENKUlT_T0_E_clISt17integral_constantIbLb1EESW_IbLb0EEEEDaSS_ST_EUlSS_E0_NS1_11comp_targetILNS1_3genE0ELNS1_11target_archE4294967295ELNS1_3gpuE0ELNS1_3repE0EEENS1_30default_config_static_selectorELNS0_4arch9wavefront6targetE1EEEvT1_: ; @_ZN7rocprim17ROCPRIM_400000_NS6detail17trampoline_kernelINS0_14default_configENS1_20scan_config_selectorIxEEZZNS1_9scan_implILNS1_25lookback_scan_determinismE0ELb1ELb1ES3_N6thrust23THRUST_200600_302600_NS6detail15normal_iteratorINS9_10device_ptrIxEEEENS9_16discard_iteratorINS9_11use_defaultEEEx11max_functorIxExEEDaPvRmT3_T4_T5_mT6_P12ihipStream_tbENKUlT_T0_E_clISt17integral_constantIbLb1EESW_IbLb0EEEEDaSS_ST_EUlSS_E0_NS1_11comp_targetILNS1_3genE0ELNS1_11target_archE4294967295ELNS1_3gpuE0ELNS1_3repE0EEENS1_30default_config_static_selectorELNS0_4arch9wavefront6targetE1EEEvT1_
; %bb.0:
	.section	.rodata,"a",@progbits
	.p2align	6, 0x0
	.amdhsa_kernel _ZN7rocprim17ROCPRIM_400000_NS6detail17trampoline_kernelINS0_14default_configENS1_20scan_config_selectorIxEEZZNS1_9scan_implILNS1_25lookback_scan_determinismE0ELb1ELb1ES3_N6thrust23THRUST_200600_302600_NS6detail15normal_iteratorINS9_10device_ptrIxEEEENS9_16discard_iteratorINS9_11use_defaultEEEx11max_functorIxExEEDaPvRmT3_T4_T5_mT6_P12ihipStream_tbENKUlT_T0_E_clISt17integral_constantIbLb1EESW_IbLb0EEEEDaSS_ST_EUlSS_E0_NS1_11comp_targetILNS1_3genE0ELNS1_11target_archE4294967295ELNS1_3gpuE0ELNS1_3repE0EEENS1_30default_config_static_selectorELNS0_4arch9wavefront6targetE1EEEvT1_
		.amdhsa_group_segment_fixed_size 0
		.amdhsa_private_segment_fixed_size 0
		.amdhsa_kernarg_size 48
		.amdhsa_user_sgpr_count 6
		.amdhsa_user_sgpr_private_segment_buffer 1
		.amdhsa_user_sgpr_dispatch_ptr 0
		.amdhsa_user_sgpr_queue_ptr 0
		.amdhsa_user_sgpr_kernarg_segment_ptr 1
		.amdhsa_user_sgpr_dispatch_id 0
		.amdhsa_user_sgpr_flat_scratch_init 0
		.amdhsa_user_sgpr_kernarg_preload_length 0
		.amdhsa_user_sgpr_kernarg_preload_offset 0
		.amdhsa_user_sgpr_private_segment_size 0
		.amdhsa_uses_dynamic_stack 0
		.amdhsa_system_sgpr_private_segment_wavefront_offset 0
		.amdhsa_system_sgpr_workgroup_id_x 1
		.amdhsa_system_sgpr_workgroup_id_y 0
		.amdhsa_system_sgpr_workgroup_id_z 0
		.amdhsa_system_sgpr_workgroup_info 0
		.amdhsa_system_vgpr_workitem_id 0
		.amdhsa_next_free_vgpr 1
		.amdhsa_next_free_sgpr 0
		.amdhsa_accum_offset 4
		.amdhsa_reserve_vcc 0
		.amdhsa_reserve_flat_scratch 0
		.amdhsa_float_round_mode_32 0
		.amdhsa_float_round_mode_16_64 0
		.amdhsa_float_denorm_mode_32 3
		.amdhsa_float_denorm_mode_16_64 3
		.amdhsa_dx10_clamp 1
		.amdhsa_ieee_mode 1
		.amdhsa_fp16_overflow 0
		.amdhsa_tg_split 0
		.amdhsa_exception_fp_ieee_invalid_op 0
		.amdhsa_exception_fp_denorm_src 0
		.amdhsa_exception_fp_ieee_div_zero 0
		.amdhsa_exception_fp_ieee_overflow 0
		.amdhsa_exception_fp_ieee_underflow 0
		.amdhsa_exception_fp_ieee_inexact 0
		.amdhsa_exception_int_div_zero 0
	.end_amdhsa_kernel
	.section	.text._ZN7rocprim17ROCPRIM_400000_NS6detail17trampoline_kernelINS0_14default_configENS1_20scan_config_selectorIxEEZZNS1_9scan_implILNS1_25lookback_scan_determinismE0ELb1ELb1ES3_N6thrust23THRUST_200600_302600_NS6detail15normal_iteratorINS9_10device_ptrIxEEEENS9_16discard_iteratorINS9_11use_defaultEEEx11max_functorIxExEEDaPvRmT3_T4_T5_mT6_P12ihipStream_tbENKUlT_T0_E_clISt17integral_constantIbLb1EESW_IbLb0EEEEDaSS_ST_EUlSS_E0_NS1_11comp_targetILNS1_3genE0ELNS1_11target_archE4294967295ELNS1_3gpuE0ELNS1_3repE0EEENS1_30default_config_static_selectorELNS0_4arch9wavefront6targetE1EEEvT1_,"axG",@progbits,_ZN7rocprim17ROCPRIM_400000_NS6detail17trampoline_kernelINS0_14default_configENS1_20scan_config_selectorIxEEZZNS1_9scan_implILNS1_25lookback_scan_determinismE0ELb1ELb1ES3_N6thrust23THRUST_200600_302600_NS6detail15normal_iteratorINS9_10device_ptrIxEEEENS9_16discard_iteratorINS9_11use_defaultEEEx11max_functorIxExEEDaPvRmT3_T4_T5_mT6_P12ihipStream_tbENKUlT_T0_E_clISt17integral_constantIbLb1EESW_IbLb0EEEEDaSS_ST_EUlSS_E0_NS1_11comp_targetILNS1_3genE0ELNS1_11target_archE4294967295ELNS1_3gpuE0ELNS1_3repE0EEENS1_30default_config_static_selectorELNS0_4arch9wavefront6targetE1EEEvT1_,comdat
.Lfunc_end3827:
	.size	_ZN7rocprim17ROCPRIM_400000_NS6detail17trampoline_kernelINS0_14default_configENS1_20scan_config_selectorIxEEZZNS1_9scan_implILNS1_25lookback_scan_determinismE0ELb1ELb1ES3_N6thrust23THRUST_200600_302600_NS6detail15normal_iteratorINS9_10device_ptrIxEEEENS9_16discard_iteratorINS9_11use_defaultEEEx11max_functorIxExEEDaPvRmT3_T4_T5_mT6_P12ihipStream_tbENKUlT_T0_E_clISt17integral_constantIbLb1EESW_IbLb0EEEEDaSS_ST_EUlSS_E0_NS1_11comp_targetILNS1_3genE0ELNS1_11target_archE4294967295ELNS1_3gpuE0ELNS1_3repE0EEENS1_30default_config_static_selectorELNS0_4arch9wavefront6targetE1EEEvT1_, .Lfunc_end3827-_ZN7rocprim17ROCPRIM_400000_NS6detail17trampoline_kernelINS0_14default_configENS1_20scan_config_selectorIxEEZZNS1_9scan_implILNS1_25lookback_scan_determinismE0ELb1ELb1ES3_N6thrust23THRUST_200600_302600_NS6detail15normal_iteratorINS9_10device_ptrIxEEEENS9_16discard_iteratorINS9_11use_defaultEEEx11max_functorIxExEEDaPvRmT3_T4_T5_mT6_P12ihipStream_tbENKUlT_T0_E_clISt17integral_constantIbLb1EESW_IbLb0EEEEDaSS_ST_EUlSS_E0_NS1_11comp_targetILNS1_3genE0ELNS1_11target_archE4294967295ELNS1_3gpuE0ELNS1_3repE0EEENS1_30default_config_static_selectorELNS0_4arch9wavefront6targetE1EEEvT1_
                                        ; -- End function
	.section	.AMDGPU.csdata,"",@progbits
; Kernel info:
; codeLenInByte = 0
; NumSgprs: 4
; NumVgprs: 0
; NumAgprs: 0
; TotalNumVgprs: 0
; ScratchSize: 0
; MemoryBound: 0
; FloatMode: 240
; IeeeMode: 1
; LDSByteSize: 0 bytes/workgroup (compile time only)
; SGPRBlocks: 0
; VGPRBlocks: 0
; NumSGPRsForWavesPerEU: 4
; NumVGPRsForWavesPerEU: 1
; AccumOffset: 4
; Occupancy: 8
; WaveLimiterHint : 0
; COMPUTE_PGM_RSRC2:SCRATCH_EN: 0
; COMPUTE_PGM_RSRC2:USER_SGPR: 6
; COMPUTE_PGM_RSRC2:TRAP_HANDLER: 0
; COMPUTE_PGM_RSRC2:TGID_X_EN: 1
; COMPUTE_PGM_RSRC2:TGID_Y_EN: 0
; COMPUTE_PGM_RSRC2:TGID_Z_EN: 0
; COMPUTE_PGM_RSRC2:TIDIG_COMP_CNT: 0
; COMPUTE_PGM_RSRC3_GFX90A:ACCUM_OFFSET: 0
; COMPUTE_PGM_RSRC3_GFX90A:TG_SPLIT: 0
	.section	.text._ZN7rocprim17ROCPRIM_400000_NS6detail17trampoline_kernelINS0_14default_configENS1_20scan_config_selectorIxEEZZNS1_9scan_implILNS1_25lookback_scan_determinismE0ELb1ELb1ES3_N6thrust23THRUST_200600_302600_NS6detail15normal_iteratorINS9_10device_ptrIxEEEENS9_16discard_iteratorINS9_11use_defaultEEEx11max_functorIxExEEDaPvRmT3_T4_T5_mT6_P12ihipStream_tbENKUlT_T0_E_clISt17integral_constantIbLb1EESW_IbLb0EEEEDaSS_ST_EUlSS_E0_NS1_11comp_targetILNS1_3genE5ELNS1_11target_archE942ELNS1_3gpuE9ELNS1_3repE0EEENS1_30default_config_static_selectorELNS0_4arch9wavefront6targetE1EEEvT1_,"axG",@progbits,_ZN7rocprim17ROCPRIM_400000_NS6detail17trampoline_kernelINS0_14default_configENS1_20scan_config_selectorIxEEZZNS1_9scan_implILNS1_25lookback_scan_determinismE0ELb1ELb1ES3_N6thrust23THRUST_200600_302600_NS6detail15normal_iteratorINS9_10device_ptrIxEEEENS9_16discard_iteratorINS9_11use_defaultEEEx11max_functorIxExEEDaPvRmT3_T4_T5_mT6_P12ihipStream_tbENKUlT_T0_E_clISt17integral_constantIbLb1EESW_IbLb0EEEEDaSS_ST_EUlSS_E0_NS1_11comp_targetILNS1_3genE5ELNS1_11target_archE942ELNS1_3gpuE9ELNS1_3repE0EEENS1_30default_config_static_selectorELNS0_4arch9wavefront6targetE1EEEvT1_,comdat
	.protected	_ZN7rocprim17ROCPRIM_400000_NS6detail17trampoline_kernelINS0_14default_configENS1_20scan_config_selectorIxEEZZNS1_9scan_implILNS1_25lookback_scan_determinismE0ELb1ELb1ES3_N6thrust23THRUST_200600_302600_NS6detail15normal_iteratorINS9_10device_ptrIxEEEENS9_16discard_iteratorINS9_11use_defaultEEEx11max_functorIxExEEDaPvRmT3_T4_T5_mT6_P12ihipStream_tbENKUlT_T0_E_clISt17integral_constantIbLb1EESW_IbLb0EEEEDaSS_ST_EUlSS_E0_NS1_11comp_targetILNS1_3genE5ELNS1_11target_archE942ELNS1_3gpuE9ELNS1_3repE0EEENS1_30default_config_static_selectorELNS0_4arch9wavefront6targetE1EEEvT1_ ; -- Begin function _ZN7rocprim17ROCPRIM_400000_NS6detail17trampoline_kernelINS0_14default_configENS1_20scan_config_selectorIxEEZZNS1_9scan_implILNS1_25lookback_scan_determinismE0ELb1ELb1ES3_N6thrust23THRUST_200600_302600_NS6detail15normal_iteratorINS9_10device_ptrIxEEEENS9_16discard_iteratorINS9_11use_defaultEEEx11max_functorIxExEEDaPvRmT3_T4_T5_mT6_P12ihipStream_tbENKUlT_T0_E_clISt17integral_constantIbLb1EESW_IbLb0EEEEDaSS_ST_EUlSS_E0_NS1_11comp_targetILNS1_3genE5ELNS1_11target_archE942ELNS1_3gpuE9ELNS1_3repE0EEENS1_30default_config_static_selectorELNS0_4arch9wavefront6targetE1EEEvT1_
	.globl	_ZN7rocprim17ROCPRIM_400000_NS6detail17trampoline_kernelINS0_14default_configENS1_20scan_config_selectorIxEEZZNS1_9scan_implILNS1_25lookback_scan_determinismE0ELb1ELb1ES3_N6thrust23THRUST_200600_302600_NS6detail15normal_iteratorINS9_10device_ptrIxEEEENS9_16discard_iteratorINS9_11use_defaultEEEx11max_functorIxExEEDaPvRmT3_T4_T5_mT6_P12ihipStream_tbENKUlT_T0_E_clISt17integral_constantIbLb1EESW_IbLb0EEEEDaSS_ST_EUlSS_E0_NS1_11comp_targetILNS1_3genE5ELNS1_11target_archE942ELNS1_3gpuE9ELNS1_3repE0EEENS1_30default_config_static_selectorELNS0_4arch9wavefront6targetE1EEEvT1_
	.p2align	8
	.type	_ZN7rocprim17ROCPRIM_400000_NS6detail17trampoline_kernelINS0_14default_configENS1_20scan_config_selectorIxEEZZNS1_9scan_implILNS1_25lookback_scan_determinismE0ELb1ELb1ES3_N6thrust23THRUST_200600_302600_NS6detail15normal_iteratorINS9_10device_ptrIxEEEENS9_16discard_iteratorINS9_11use_defaultEEEx11max_functorIxExEEDaPvRmT3_T4_T5_mT6_P12ihipStream_tbENKUlT_T0_E_clISt17integral_constantIbLb1EESW_IbLb0EEEEDaSS_ST_EUlSS_E0_NS1_11comp_targetILNS1_3genE5ELNS1_11target_archE942ELNS1_3gpuE9ELNS1_3repE0EEENS1_30default_config_static_selectorELNS0_4arch9wavefront6targetE1EEEvT1_,@function
_ZN7rocprim17ROCPRIM_400000_NS6detail17trampoline_kernelINS0_14default_configENS1_20scan_config_selectorIxEEZZNS1_9scan_implILNS1_25lookback_scan_determinismE0ELb1ELb1ES3_N6thrust23THRUST_200600_302600_NS6detail15normal_iteratorINS9_10device_ptrIxEEEENS9_16discard_iteratorINS9_11use_defaultEEEx11max_functorIxExEEDaPvRmT3_T4_T5_mT6_P12ihipStream_tbENKUlT_T0_E_clISt17integral_constantIbLb1EESW_IbLb0EEEEDaSS_ST_EUlSS_E0_NS1_11comp_targetILNS1_3genE5ELNS1_11target_archE942ELNS1_3gpuE9ELNS1_3repE0EEENS1_30default_config_static_selectorELNS0_4arch9wavefront6targetE1EEEvT1_: ; @_ZN7rocprim17ROCPRIM_400000_NS6detail17trampoline_kernelINS0_14default_configENS1_20scan_config_selectorIxEEZZNS1_9scan_implILNS1_25lookback_scan_determinismE0ELb1ELb1ES3_N6thrust23THRUST_200600_302600_NS6detail15normal_iteratorINS9_10device_ptrIxEEEENS9_16discard_iteratorINS9_11use_defaultEEEx11max_functorIxExEEDaPvRmT3_T4_T5_mT6_P12ihipStream_tbENKUlT_T0_E_clISt17integral_constantIbLb1EESW_IbLb0EEEEDaSS_ST_EUlSS_E0_NS1_11comp_targetILNS1_3genE5ELNS1_11target_archE942ELNS1_3gpuE9ELNS1_3repE0EEENS1_30default_config_static_selectorELNS0_4arch9wavefront6targetE1EEEvT1_
; %bb.0:
	.section	.rodata,"a",@progbits
	.p2align	6, 0x0
	.amdhsa_kernel _ZN7rocprim17ROCPRIM_400000_NS6detail17trampoline_kernelINS0_14default_configENS1_20scan_config_selectorIxEEZZNS1_9scan_implILNS1_25lookback_scan_determinismE0ELb1ELb1ES3_N6thrust23THRUST_200600_302600_NS6detail15normal_iteratorINS9_10device_ptrIxEEEENS9_16discard_iteratorINS9_11use_defaultEEEx11max_functorIxExEEDaPvRmT3_T4_T5_mT6_P12ihipStream_tbENKUlT_T0_E_clISt17integral_constantIbLb1EESW_IbLb0EEEEDaSS_ST_EUlSS_E0_NS1_11comp_targetILNS1_3genE5ELNS1_11target_archE942ELNS1_3gpuE9ELNS1_3repE0EEENS1_30default_config_static_selectorELNS0_4arch9wavefront6targetE1EEEvT1_
		.amdhsa_group_segment_fixed_size 0
		.amdhsa_private_segment_fixed_size 0
		.amdhsa_kernarg_size 48
		.amdhsa_user_sgpr_count 6
		.amdhsa_user_sgpr_private_segment_buffer 1
		.amdhsa_user_sgpr_dispatch_ptr 0
		.amdhsa_user_sgpr_queue_ptr 0
		.amdhsa_user_sgpr_kernarg_segment_ptr 1
		.amdhsa_user_sgpr_dispatch_id 0
		.amdhsa_user_sgpr_flat_scratch_init 0
		.amdhsa_user_sgpr_kernarg_preload_length 0
		.amdhsa_user_sgpr_kernarg_preload_offset 0
		.amdhsa_user_sgpr_private_segment_size 0
		.amdhsa_uses_dynamic_stack 0
		.amdhsa_system_sgpr_private_segment_wavefront_offset 0
		.amdhsa_system_sgpr_workgroup_id_x 1
		.amdhsa_system_sgpr_workgroup_id_y 0
		.amdhsa_system_sgpr_workgroup_id_z 0
		.amdhsa_system_sgpr_workgroup_info 0
		.amdhsa_system_vgpr_workitem_id 0
		.amdhsa_next_free_vgpr 1
		.amdhsa_next_free_sgpr 0
		.amdhsa_accum_offset 4
		.amdhsa_reserve_vcc 0
		.amdhsa_reserve_flat_scratch 0
		.amdhsa_float_round_mode_32 0
		.amdhsa_float_round_mode_16_64 0
		.amdhsa_float_denorm_mode_32 3
		.amdhsa_float_denorm_mode_16_64 3
		.amdhsa_dx10_clamp 1
		.amdhsa_ieee_mode 1
		.amdhsa_fp16_overflow 0
		.amdhsa_tg_split 0
		.amdhsa_exception_fp_ieee_invalid_op 0
		.amdhsa_exception_fp_denorm_src 0
		.amdhsa_exception_fp_ieee_div_zero 0
		.amdhsa_exception_fp_ieee_overflow 0
		.amdhsa_exception_fp_ieee_underflow 0
		.amdhsa_exception_fp_ieee_inexact 0
		.amdhsa_exception_int_div_zero 0
	.end_amdhsa_kernel
	.section	.text._ZN7rocprim17ROCPRIM_400000_NS6detail17trampoline_kernelINS0_14default_configENS1_20scan_config_selectorIxEEZZNS1_9scan_implILNS1_25lookback_scan_determinismE0ELb1ELb1ES3_N6thrust23THRUST_200600_302600_NS6detail15normal_iteratorINS9_10device_ptrIxEEEENS9_16discard_iteratorINS9_11use_defaultEEEx11max_functorIxExEEDaPvRmT3_T4_T5_mT6_P12ihipStream_tbENKUlT_T0_E_clISt17integral_constantIbLb1EESW_IbLb0EEEEDaSS_ST_EUlSS_E0_NS1_11comp_targetILNS1_3genE5ELNS1_11target_archE942ELNS1_3gpuE9ELNS1_3repE0EEENS1_30default_config_static_selectorELNS0_4arch9wavefront6targetE1EEEvT1_,"axG",@progbits,_ZN7rocprim17ROCPRIM_400000_NS6detail17trampoline_kernelINS0_14default_configENS1_20scan_config_selectorIxEEZZNS1_9scan_implILNS1_25lookback_scan_determinismE0ELb1ELb1ES3_N6thrust23THRUST_200600_302600_NS6detail15normal_iteratorINS9_10device_ptrIxEEEENS9_16discard_iteratorINS9_11use_defaultEEEx11max_functorIxExEEDaPvRmT3_T4_T5_mT6_P12ihipStream_tbENKUlT_T0_E_clISt17integral_constantIbLb1EESW_IbLb0EEEEDaSS_ST_EUlSS_E0_NS1_11comp_targetILNS1_3genE5ELNS1_11target_archE942ELNS1_3gpuE9ELNS1_3repE0EEENS1_30default_config_static_selectorELNS0_4arch9wavefront6targetE1EEEvT1_,comdat
.Lfunc_end3828:
	.size	_ZN7rocprim17ROCPRIM_400000_NS6detail17trampoline_kernelINS0_14default_configENS1_20scan_config_selectorIxEEZZNS1_9scan_implILNS1_25lookback_scan_determinismE0ELb1ELb1ES3_N6thrust23THRUST_200600_302600_NS6detail15normal_iteratorINS9_10device_ptrIxEEEENS9_16discard_iteratorINS9_11use_defaultEEEx11max_functorIxExEEDaPvRmT3_T4_T5_mT6_P12ihipStream_tbENKUlT_T0_E_clISt17integral_constantIbLb1EESW_IbLb0EEEEDaSS_ST_EUlSS_E0_NS1_11comp_targetILNS1_3genE5ELNS1_11target_archE942ELNS1_3gpuE9ELNS1_3repE0EEENS1_30default_config_static_selectorELNS0_4arch9wavefront6targetE1EEEvT1_, .Lfunc_end3828-_ZN7rocprim17ROCPRIM_400000_NS6detail17trampoline_kernelINS0_14default_configENS1_20scan_config_selectorIxEEZZNS1_9scan_implILNS1_25lookback_scan_determinismE0ELb1ELb1ES3_N6thrust23THRUST_200600_302600_NS6detail15normal_iteratorINS9_10device_ptrIxEEEENS9_16discard_iteratorINS9_11use_defaultEEEx11max_functorIxExEEDaPvRmT3_T4_T5_mT6_P12ihipStream_tbENKUlT_T0_E_clISt17integral_constantIbLb1EESW_IbLb0EEEEDaSS_ST_EUlSS_E0_NS1_11comp_targetILNS1_3genE5ELNS1_11target_archE942ELNS1_3gpuE9ELNS1_3repE0EEENS1_30default_config_static_selectorELNS0_4arch9wavefront6targetE1EEEvT1_
                                        ; -- End function
	.section	.AMDGPU.csdata,"",@progbits
; Kernel info:
; codeLenInByte = 0
; NumSgprs: 4
; NumVgprs: 0
; NumAgprs: 0
; TotalNumVgprs: 0
; ScratchSize: 0
; MemoryBound: 0
; FloatMode: 240
; IeeeMode: 1
; LDSByteSize: 0 bytes/workgroup (compile time only)
; SGPRBlocks: 0
; VGPRBlocks: 0
; NumSGPRsForWavesPerEU: 4
; NumVGPRsForWavesPerEU: 1
; AccumOffset: 4
; Occupancy: 8
; WaveLimiterHint : 0
; COMPUTE_PGM_RSRC2:SCRATCH_EN: 0
; COMPUTE_PGM_RSRC2:USER_SGPR: 6
; COMPUTE_PGM_RSRC2:TRAP_HANDLER: 0
; COMPUTE_PGM_RSRC2:TGID_X_EN: 1
; COMPUTE_PGM_RSRC2:TGID_Y_EN: 0
; COMPUTE_PGM_RSRC2:TGID_Z_EN: 0
; COMPUTE_PGM_RSRC2:TIDIG_COMP_CNT: 0
; COMPUTE_PGM_RSRC3_GFX90A:ACCUM_OFFSET: 0
; COMPUTE_PGM_RSRC3_GFX90A:TG_SPLIT: 0
	.section	.text._ZN7rocprim17ROCPRIM_400000_NS6detail17trampoline_kernelINS0_14default_configENS1_20scan_config_selectorIxEEZZNS1_9scan_implILNS1_25lookback_scan_determinismE0ELb1ELb1ES3_N6thrust23THRUST_200600_302600_NS6detail15normal_iteratorINS9_10device_ptrIxEEEENS9_16discard_iteratorINS9_11use_defaultEEEx11max_functorIxExEEDaPvRmT3_T4_T5_mT6_P12ihipStream_tbENKUlT_T0_E_clISt17integral_constantIbLb1EESW_IbLb0EEEEDaSS_ST_EUlSS_E0_NS1_11comp_targetILNS1_3genE4ELNS1_11target_archE910ELNS1_3gpuE8ELNS1_3repE0EEENS1_30default_config_static_selectorELNS0_4arch9wavefront6targetE1EEEvT1_,"axG",@progbits,_ZN7rocprim17ROCPRIM_400000_NS6detail17trampoline_kernelINS0_14default_configENS1_20scan_config_selectorIxEEZZNS1_9scan_implILNS1_25lookback_scan_determinismE0ELb1ELb1ES3_N6thrust23THRUST_200600_302600_NS6detail15normal_iteratorINS9_10device_ptrIxEEEENS9_16discard_iteratorINS9_11use_defaultEEEx11max_functorIxExEEDaPvRmT3_T4_T5_mT6_P12ihipStream_tbENKUlT_T0_E_clISt17integral_constantIbLb1EESW_IbLb0EEEEDaSS_ST_EUlSS_E0_NS1_11comp_targetILNS1_3genE4ELNS1_11target_archE910ELNS1_3gpuE8ELNS1_3repE0EEENS1_30default_config_static_selectorELNS0_4arch9wavefront6targetE1EEEvT1_,comdat
	.protected	_ZN7rocprim17ROCPRIM_400000_NS6detail17trampoline_kernelINS0_14default_configENS1_20scan_config_selectorIxEEZZNS1_9scan_implILNS1_25lookback_scan_determinismE0ELb1ELb1ES3_N6thrust23THRUST_200600_302600_NS6detail15normal_iteratorINS9_10device_ptrIxEEEENS9_16discard_iteratorINS9_11use_defaultEEEx11max_functorIxExEEDaPvRmT3_T4_T5_mT6_P12ihipStream_tbENKUlT_T0_E_clISt17integral_constantIbLb1EESW_IbLb0EEEEDaSS_ST_EUlSS_E0_NS1_11comp_targetILNS1_3genE4ELNS1_11target_archE910ELNS1_3gpuE8ELNS1_3repE0EEENS1_30default_config_static_selectorELNS0_4arch9wavefront6targetE1EEEvT1_ ; -- Begin function _ZN7rocprim17ROCPRIM_400000_NS6detail17trampoline_kernelINS0_14default_configENS1_20scan_config_selectorIxEEZZNS1_9scan_implILNS1_25lookback_scan_determinismE0ELb1ELb1ES3_N6thrust23THRUST_200600_302600_NS6detail15normal_iteratorINS9_10device_ptrIxEEEENS9_16discard_iteratorINS9_11use_defaultEEEx11max_functorIxExEEDaPvRmT3_T4_T5_mT6_P12ihipStream_tbENKUlT_T0_E_clISt17integral_constantIbLb1EESW_IbLb0EEEEDaSS_ST_EUlSS_E0_NS1_11comp_targetILNS1_3genE4ELNS1_11target_archE910ELNS1_3gpuE8ELNS1_3repE0EEENS1_30default_config_static_selectorELNS0_4arch9wavefront6targetE1EEEvT1_
	.globl	_ZN7rocprim17ROCPRIM_400000_NS6detail17trampoline_kernelINS0_14default_configENS1_20scan_config_selectorIxEEZZNS1_9scan_implILNS1_25lookback_scan_determinismE0ELb1ELb1ES3_N6thrust23THRUST_200600_302600_NS6detail15normal_iteratorINS9_10device_ptrIxEEEENS9_16discard_iteratorINS9_11use_defaultEEEx11max_functorIxExEEDaPvRmT3_T4_T5_mT6_P12ihipStream_tbENKUlT_T0_E_clISt17integral_constantIbLb1EESW_IbLb0EEEEDaSS_ST_EUlSS_E0_NS1_11comp_targetILNS1_3genE4ELNS1_11target_archE910ELNS1_3gpuE8ELNS1_3repE0EEENS1_30default_config_static_selectorELNS0_4arch9wavefront6targetE1EEEvT1_
	.p2align	8
	.type	_ZN7rocprim17ROCPRIM_400000_NS6detail17trampoline_kernelINS0_14default_configENS1_20scan_config_selectorIxEEZZNS1_9scan_implILNS1_25lookback_scan_determinismE0ELb1ELb1ES3_N6thrust23THRUST_200600_302600_NS6detail15normal_iteratorINS9_10device_ptrIxEEEENS9_16discard_iteratorINS9_11use_defaultEEEx11max_functorIxExEEDaPvRmT3_T4_T5_mT6_P12ihipStream_tbENKUlT_T0_E_clISt17integral_constantIbLb1EESW_IbLb0EEEEDaSS_ST_EUlSS_E0_NS1_11comp_targetILNS1_3genE4ELNS1_11target_archE910ELNS1_3gpuE8ELNS1_3repE0EEENS1_30default_config_static_selectorELNS0_4arch9wavefront6targetE1EEEvT1_,@function
_ZN7rocprim17ROCPRIM_400000_NS6detail17trampoline_kernelINS0_14default_configENS1_20scan_config_selectorIxEEZZNS1_9scan_implILNS1_25lookback_scan_determinismE0ELb1ELb1ES3_N6thrust23THRUST_200600_302600_NS6detail15normal_iteratorINS9_10device_ptrIxEEEENS9_16discard_iteratorINS9_11use_defaultEEEx11max_functorIxExEEDaPvRmT3_T4_T5_mT6_P12ihipStream_tbENKUlT_T0_E_clISt17integral_constantIbLb1EESW_IbLb0EEEEDaSS_ST_EUlSS_E0_NS1_11comp_targetILNS1_3genE4ELNS1_11target_archE910ELNS1_3gpuE8ELNS1_3repE0EEENS1_30default_config_static_selectorELNS0_4arch9wavefront6targetE1EEEvT1_: ; @_ZN7rocprim17ROCPRIM_400000_NS6detail17trampoline_kernelINS0_14default_configENS1_20scan_config_selectorIxEEZZNS1_9scan_implILNS1_25lookback_scan_determinismE0ELb1ELb1ES3_N6thrust23THRUST_200600_302600_NS6detail15normal_iteratorINS9_10device_ptrIxEEEENS9_16discard_iteratorINS9_11use_defaultEEEx11max_functorIxExEEDaPvRmT3_T4_T5_mT6_P12ihipStream_tbENKUlT_T0_E_clISt17integral_constantIbLb1EESW_IbLb0EEEEDaSS_ST_EUlSS_E0_NS1_11comp_targetILNS1_3genE4ELNS1_11target_archE910ELNS1_3gpuE8ELNS1_3repE0EEENS1_30default_config_static_selectorELNS0_4arch9wavefront6targetE1EEEvT1_
; %bb.0:
	s_load_dwordx4 s[0:3], s[4:5], 0x0
	v_lshlrev_b32_e32 v1, 3, v0
	s_waitcnt lgkmcnt(0)
	s_load_dwordx2 s[6:7], s[0:1], 0x0
	v_cmp_gt_u32_e32 vcc, s2, v0
	s_waitcnt lgkmcnt(0)
	v_pk_mov_b32 v[2:3], s[6:7], s[6:7] op_sel:[0,1]
	s_and_saveexec_b64 s[8:9], vcc
	s_cbranch_execz .LBB3829_2
; %bb.1:
	global_load_dwordx2 v[2:3], v1, s[0:1]
.LBB3829_2:
	s_or_b64 exec, exec, s[8:9]
	v_or_b32_e32 v4, 0x80, v0
	v_cmp_gt_u32_e32 vcc, s2, v4
	v_pk_mov_b32 v[4:5], s[6:7], s[6:7] op_sel:[0,1]
	s_and_saveexec_b64 s[8:9], vcc
	s_cbranch_execz .LBB3829_4
; %bb.3:
	global_load_dwordx2 v[4:5], v1, s[0:1] offset:1024
.LBB3829_4:
	s_or_b64 exec, exec, s[8:9]
	v_or_b32_e32 v6, 0x100, v0
	v_cmp_gt_u32_e32 vcc, s2, v6
	v_pk_mov_b32 v[6:7], s[6:7], s[6:7] op_sel:[0,1]
	s_and_saveexec_b64 s[8:9], vcc
	s_cbranch_execz .LBB3829_6
; %bb.5:
	global_load_dwordx2 v[6:7], v1, s[0:1] offset:2048
.LBB3829_6:
	;; [unrolled: 9-line block ×3, first 2 shown]
	s_or_b64 exec, exec, s[8:9]
	v_or_b32_e32 v12, 0x200, v0
	v_cmp_gt_u32_e32 vcc, s2, v12
	v_pk_mov_b32 v[10:11], s[6:7], s[6:7] op_sel:[0,1]
	s_and_saveexec_b64 s[8:9], vcc
	s_cbranch_execz .LBB3829_10
; %bb.9:
	v_lshlrev_b32_e32 v10, 3, v12
	global_load_dwordx2 v[10:11], v10, s[0:1]
.LBB3829_10:
	s_or_b64 exec, exec, s[8:9]
	v_or_b32_e32 v14, 0x280, v0
	v_cmp_gt_u32_e32 vcc, s2, v14
	v_pk_mov_b32 v[12:13], s[6:7], s[6:7] op_sel:[0,1]
	s_and_saveexec_b64 s[8:9], vcc
	s_cbranch_execz .LBB3829_12
; %bb.11:
	v_lshlrev_b32_e32 v12, 3, v14
	global_load_dwordx2 v[12:13], v12, s[0:1]
.LBB3829_12:
	s_or_b64 exec, exec, s[8:9]
	s_load_dwordx2 s[4:5], s[4:5], 0x10
	v_or_b32_e32 v16, 0x300, v0
	v_cmp_gt_u32_e32 vcc, s2, v16
	v_pk_mov_b32 v[14:15], s[6:7], s[6:7] op_sel:[0,1]
	s_and_saveexec_b64 s[2:3], vcc
	s_cbranch_execz .LBB3829_14
; %bb.13:
	v_lshlrev_b32_e32 v14, 3, v16
	global_load_dwordx2 v[14:15], v14, s[0:1]
.LBB3829_14:
	s_or_b64 exec, exec, s[2:3]
	s_waitcnt vmcnt(0)
	ds_write2st64_b64 v1, v[2:3], v[4:5] offset1:2
	ds_write2st64_b64 v1, v[6:7], v[8:9] offset0:4 offset1:6
	ds_write2st64_b64 v1, v[10:11], v[12:13] offset0:8 offset1:10
	ds_write_b64 v1, v[14:15] offset:6144
	v_mad_u32_u24 v14, v0, 48, v1
	s_waitcnt lgkmcnt(0)
	s_barrier
	ds_read2_b64 v[10:13], v14 offset1:1
	ds_read2_b64 v[6:9], v14 offset0:2 offset1:3
	ds_read2_b64 v[2:5], v14 offset0:4 offset1:5
	ds_read_b64 v[14:15], v14 offset:48
	s_waitcnt lgkmcnt(0)
	v_cmp_gt_i64_e32 vcc, v[10:11], v[12:13]
	v_cndmask_b32_e32 v17, v13, v11, vcc
	v_cndmask_b32_e32 v16, v12, v10, vcc
	v_cmp_gt_i64_e32 vcc, v[16:17], v[6:7]
	v_cndmask_b32_e32 v17, v7, v17, vcc
	v_cndmask_b32_e32 v16, v6, v16, vcc
	;; [unrolled: 3-line block ×5, first 2 shown]
	v_cmp_gt_i64_e32 vcc, v[16:17], v[14:15]
	v_cndmask_b32_e32 v18, v14, v16, vcc
	v_lshrrev_b32_e32 v14, 2, v0
	v_and_b32_e32 v14, 24, v14
	v_cndmask_b32_e32 v19, v15, v17, vcc
	v_add_u32_e32 v14, v1, v14
	v_cmp_gt_u32_e32 vcc, 64, v0
	s_barrier
	ds_write_b64 v14, v[18:19]
	s_waitcnt lgkmcnt(0)
	s_barrier
	s_and_saveexec_b64 s[2:3], vcc
	s_cbranch_execz .LBB3829_18
; %bb.15:
	v_lshlrev_b32_e32 v14, 1, v0
	v_lshrrev_b32_e32 v15, 4, v0
	v_add_lshl_u32 v24, v15, v14, 3
	ds_read2_b64 v[14:17], v24 offset1:1
	v_mbcnt_lo_u32_b32 v20, -1, 0
	v_mbcnt_hi_u32_b32 v25, -1, v20
	v_and_b32_e32 v26, 15, v25
	v_and_b32_e32 v28, 16, v25
	s_waitcnt lgkmcnt(0)
	v_cmp_gt_i64_e32 vcc, v[14:15], v[16:17]
	v_cndmask_b32_e32 v17, v17, v15, vcc
	v_cndmask_b32_e32 v16, v16, v14, vcc
	v_cmp_ne_u32_e64 s[0:1], 0, v25
	v_mov_b32_dpp v21, v17 row_shr:1 row_mask:0xf bank_mask:0xf
	v_mov_b32_dpp v20, v16 row_shr:1 row_mask:0xf bank_mask:0xf
	v_cmp_gt_i64_e32 vcc, v[20:21], v[16:17]
	v_cndmask_b32_e32 v20, v16, v20, vcc
	v_cndmask_b32_e32 v21, v17, v21, vcc
	v_cmp_eq_u32_e32 vcc, 0, v26
	v_cndmask_b32_e32 v21, v21, v17, vcc
	v_cndmask_b32_e32 v20, v20, v16, vcc
	s_nop 0
	v_mov_b32_dpp v23, v21 row_shr:2 row_mask:0xf bank_mask:0xf
	v_mov_b32_dpp v22, v20 row_shr:2 row_mask:0xf bank_mask:0xf
	v_cmp_gt_i64_e32 vcc, v[22:23], v[20:21]
	v_cndmask_b32_e32 v22, v20, v22, vcc
	v_cndmask_b32_e32 v23, v21, v23, vcc
	v_cmp_lt_u32_e32 vcc, 1, v26
	v_cndmask_b32_e32 v21, v21, v23, vcc
	v_cndmask_b32_e32 v20, v20, v22, vcc
	s_nop 0
	v_mov_b32_dpp v23, v21 row_shr:4 row_mask:0xf bank_mask:0xf
	v_mov_b32_dpp v22, v20 row_shr:4 row_mask:0xf bank_mask:0xf
	v_cmp_gt_i64_e32 vcc, v[22:23], v[20:21]
	v_cndmask_b32_e32 v22, v20, v22, vcc
	v_cndmask_b32_e32 v23, v21, v23, vcc
	v_cmp_lt_u32_e32 vcc, 3, v26
	;; [unrolled: 9-line block ×3, first 2 shown]
	v_cndmask_b32_e32 v21, v21, v23, vcc
	v_cndmask_b32_e32 v20, v20, v22, vcc
	s_nop 0
	v_mov_b32_dpp v23, v21 row_bcast:15 row_mask:0xf bank_mask:0xf
	v_mov_b32_dpp v22, v20 row_bcast:15 row_mask:0xf bank_mask:0xf
	v_cmp_gt_i64_e32 vcc, v[22:23], v[20:21]
	v_cndmask_b32_e32 v26, v21, v23, vcc
	v_cndmask_b32_e32 v27, v20, v22, vcc
	v_cmp_eq_u32_e32 vcc, 0, v28
	v_cndmask_b32_e32 v23, v26, v21, vcc
	v_cndmask_b32_e32 v22, v27, v20, vcc
	s_nop 0
	v_mov_b32_dpp v23, v23 row_bcast:31 row_mask:0xf bank_mask:0xf
	v_mov_b32_dpp v22, v22 row_bcast:31 row_mask:0xf bank_mask:0xf
	s_and_saveexec_b64 s[6:7], s[0:1]
; %bb.16:
	v_cndmask_b32_e32 v17, v26, v21, vcc
	v_cndmask_b32_e32 v16, v27, v20, vcc
	v_cmp_lt_u32_e64 s[0:1], 31, v25
	v_cmp_gt_i64_e32 vcc, v[22:23], v[16:17]
	s_and_b64 vcc, s[0:1], vcc
	v_cndmask_b32_e32 v16, v16, v22, vcc
	v_cndmask_b32_e32 v17, v17, v23, vcc
; %bb.17:
	s_or_b64 exec, exec, s[6:7]
	v_add_u32_e32 v20, -1, v25
	v_and_b32_e32 v21, 64, v25
	v_cmp_lt_i32_e32 vcc, v20, v21
	v_cndmask_b32_e32 v20, v20, v25, vcc
	v_lshlrev_b32_e32 v20, 2, v20
	ds_bpermute_b32 v16, v20, v16
	ds_bpermute_b32 v17, v20, v17
	; wave barrier
	s_waitcnt lgkmcnt(0)
	v_cmp_gt_i64_e32 vcc, v[16:17], v[14:15]
	v_cndmask_b32_e32 v14, v14, v16, vcc
	v_cndmask_b32_e32 v15, v15, v17, vcc
	v_cmp_eq_u32_e32 vcc, 0, v0
	v_cndmask_b32_e32 v15, v15, v19, vcc
	v_cndmask_b32_e32 v14, v14, v18, vcc
	ds_write_b64 v24, v[14:15]
	; wave barrier
	ds_read_b64 v[16:17], v24 offset:8
	s_waitcnt lgkmcnt(0)
	v_cmp_gt_i64_e32 vcc, v[14:15], v[16:17]
	v_cndmask_b32_e32 v15, v17, v15, vcc
	v_cndmask_b32_e32 v14, v16, v14, vcc
	ds_write_b64 v24, v[14:15] offset:8
.LBB3829_18:
	s_or_b64 exec, exec, s[2:3]
	v_mul_u32_u24_e32 v16, 48, v0
	v_cmp_ne_u32_e32 vcc, 0, v0
	v_pk_mov_b32 v[14:15], s[4:5], s[4:5] op_sel:[0,1]
	s_waitcnt lgkmcnt(0)
	s_barrier
	s_and_saveexec_b64 s[0:1], vcc
	s_cbranch_execz .LBB3829_20
; %bb.19:
	v_add_u32_e32 v0, -1, v0
	v_lshrrev_b32_e32 v14, 5, v0
	v_add_lshl_u32 v0, v14, v0, 3
	ds_read_b64 v[14:15], v0
	v_mov_b32_e32 v0, s5
	s_waitcnt lgkmcnt(0)
	v_cmp_gt_i64_e32 vcc, s[4:5], v[14:15]
	v_cndmask_b32_e32 v15, v15, v0, vcc
	v_mov_b32_e32 v0, s4
	v_cndmask_b32_e32 v14, v14, v0, vcc
.LBB3829_20:
	s_or_b64 exec, exec, s[0:1]
	v_cmp_gt_i64_e32 vcc, v[14:15], v[10:11]
	v_cndmask_b32_e32 v11, v11, v15, vcc
	v_cndmask_b32_e32 v10, v10, v14, vcc
	v_cmp_gt_i64_e32 vcc, v[10:11], v[12:13]
	v_cndmask_b32_e32 v13, v13, v11, vcc
	v_cndmask_b32_e32 v12, v12, v10, vcc
	;; [unrolled: 3-line block ×5, first 2 shown]
	v_cmp_gt_i64_e32 vcc, v[2:3], v[4:5]
	v_add_u32_e32 v0, v1, v16
	v_cndmask_b32_e32 v5, v5, v3, vcc
	v_cndmask_b32_e32 v4, v4, v2, vcc
	s_barrier
	ds_write2_b64 v0, v[14:15], v[10:11] offset1:1
	ds_write2_b64 v0, v[12:13], v[6:7] offset0:2 offset1:3
	ds_write2_b64 v0, v[8:9], v[2:3] offset0:4 offset1:5
	ds_write_b64 v0, v[4:5] offset:48
	s_waitcnt lgkmcnt(0)
	s_barrier
	s_endpgm
	.section	.rodata,"a",@progbits
	.p2align	6, 0x0
	.amdhsa_kernel _ZN7rocprim17ROCPRIM_400000_NS6detail17trampoline_kernelINS0_14default_configENS1_20scan_config_selectorIxEEZZNS1_9scan_implILNS1_25lookback_scan_determinismE0ELb1ELb1ES3_N6thrust23THRUST_200600_302600_NS6detail15normal_iteratorINS9_10device_ptrIxEEEENS9_16discard_iteratorINS9_11use_defaultEEEx11max_functorIxExEEDaPvRmT3_T4_T5_mT6_P12ihipStream_tbENKUlT_T0_E_clISt17integral_constantIbLb1EESW_IbLb0EEEEDaSS_ST_EUlSS_E0_NS1_11comp_targetILNS1_3genE4ELNS1_11target_archE910ELNS1_3gpuE8ELNS1_3repE0EEENS1_30default_config_static_selectorELNS0_4arch9wavefront6targetE1EEEvT1_
		.amdhsa_group_segment_fixed_size 7168
		.amdhsa_private_segment_fixed_size 0
		.amdhsa_kernarg_size 48
		.amdhsa_user_sgpr_count 6
		.amdhsa_user_sgpr_private_segment_buffer 1
		.amdhsa_user_sgpr_dispatch_ptr 0
		.amdhsa_user_sgpr_queue_ptr 0
		.amdhsa_user_sgpr_kernarg_segment_ptr 1
		.amdhsa_user_sgpr_dispatch_id 0
		.amdhsa_user_sgpr_flat_scratch_init 0
		.amdhsa_user_sgpr_kernarg_preload_length 0
		.amdhsa_user_sgpr_kernarg_preload_offset 0
		.amdhsa_user_sgpr_private_segment_size 0
		.amdhsa_uses_dynamic_stack 0
		.amdhsa_system_sgpr_private_segment_wavefront_offset 0
		.amdhsa_system_sgpr_workgroup_id_x 1
		.amdhsa_system_sgpr_workgroup_id_y 0
		.amdhsa_system_sgpr_workgroup_id_z 0
		.amdhsa_system_sgpr_workgroup_info 0
		.amdhsa_system_vgpr_workitem_id 0
		.amdhsa_next_free_vgpr 29
		.amdhsa_next_free_sgpr 10
		.amdhsa_accum_offset 32
		.amdhsa_reserve_vcc 1
		.amdhsa_reserve_flat_scratch 0
		.amdhsa_float_round_mode_32 0
		.amdhsa_float_round_mode_16_64 0
		.amdhsa_float_denorm_mode_32 3
		.amdhsa_float_denorm_mode_16_64 3
		.amdhsa_dx10_clamp 1
		.amdhsa_ieee_mode 1
		.amdhsa_fp16_overflow 0
		.amdhsa_tg_split 0
		.amdhsa_exception_fp_ieee_invalid_op 0
		.amdhsa_exception_fp_denorm_src 0
		.amdhsa_exception_fp_ieee_div_zero 0
		.amdhsa_exception_fp_ieee_overflow 0
		.amdhsa_exception_fp_ieee_underflow 0
		.amdhsa_exception_fp_ieee_inexact 0
		.amdhsa_exception_int_div_zero 0
	.end_amdhsa_kernel
	.section	.text._ZN7rocprim17ROCPRIM_400000_NS6detail17trampoline_kernelINS0_14default_configENS1_20scan_config_selectorIxEEZZNS1_9scan_implILNS1_25lookback_scan_determinismE0ELb1ELb1ES3_N6thrust23THRUST_200600_302600_NS6detail15normal_iteratorINS9_10device_ptrIxEEEENS9_16discard_iteratorINS9_11use_defaultEEEx11max_functorIxExEEDaPvRmT3_T4_T5_mT6_P12ihipStream_tbENKUlT_T0_E_clISt17integral_constantIbLb1EESW_IbLb0EEEEDaSS_ST_EUlSS_E0_NS1_11comp_targetILNS1_3genE4ELNS1_11target_archE910ELNS1_3gpuE8ELNS1_3repE0EEENS1_30default_config_static_selectorELNS0_4arch9wavefront6targetE1EEEvT1_,"axG",@progbits,_ZN7rocprim17ROCPRIM_400000_NS6detail17trampoline_kernelINS0_14default_configENS1_20scan_config_selectorIxEEZZNS1_9scan_implILNS1_25lookback_scan_determinismE0ELb1ELb1ES3_N6thrust23THRUST_200600_302600_NS6detail15normal_iteratorINS9_10device_ptrIxEEEENS9_16discard_iteratorINS9_11use_defaultEEEx11max_functorIxExEEDaPvRmT3_T4_T5_mT6_P12ihipStream_tbENKUlT_T0_E_clISt17integral_constantIbLb1EESW_IbLb0EEEEDaSS_ST_EUlSS_E0_NS1_11comp_targetILNS1_3genE4ELNS1_11target_archE910ELNS1_3gpuE8ELNS1_3repE0EEENS1_30default_config_static_selectorELNS0_4arch9wavefront6targetE1EEEvT1_,comdat
.Lfunc_end3829:
	.size	_ZN7rocprim17ROCPRIM_400000_NS6detail17trampoline_kernelINS0_14default_configENS1_20scan_config_selectorIxEEZZNS1_9scan_implILNS1_25lookback_scan_determinismE0ELb1ELb1ES3_N6thrust23THRUST_200600_302600_NS6detail15normal_iteratorINS9_10device_ptrIxEEEENS9_16discard_iteratorINS9_11use_defaultEEEx11max_functorIxExEEDaPvRmT3_T4_T5_mT6_P12ihipStream_tbENKUlT_T0_E_clISt17integral_constantIbLb1EESW_IbLb0EEEEDaSS_ST_EUlSS_E0_NS1_11comp_targetILNS1_3genE4ELNS1_11target_archE910ELNS1_3gpuE8ELNS1_3repE0EEENS1_30default_config_static_selectorELNS0_4arch9wavefront6targetE1EEEvT1_, .Lfunc_end3829-_ZN7rocprim17ROCPRIM_400000_NS6detail17trampoline_kernelINS0_14default_configENS1_20scan_config_selectorIxEEZZNS1_9scan_implILNS1_25lookback_scan_determinismE0ELb1ELb1ES3_N6thrust23THRUST_200600_302600_NS6detail15normal_iteratorINS9_10device_ptrIxEEEENS9_16discard_iteratorINS9_11use_defaultEEEx11max_functorIxExEEDaPvRmT3_T4_T5_mT6_P12ihipStream_tbENKUlT_T0_E_clISt17integral_constantIbLb1EESW_IbLb0EEEEDaSS_ST_EUlSS_E0_NS1_11comp_targetILNS1_3genE4ELNS1_11target_archE910ELNS1_3gpuE8ELNS1_3repE0EEENS1_30default_config_static_selectorELNS0_4arch9wavefront6targetE1EEEvT1_
                                        ; -- End function
	.section	.AMDGPU.csdata,"",@progbits
; Kernel info:
; codeLenInByte = 1188
; NumSgprs: 14
; NumVgprs: 29
; NumAgprs: 0
; TotalNumVgprs: 29
; ScratchSize: 0
; MemoryBound: 0
; FloatMode: 240
; IeeeMode: 1
; LDSByteSize: 7168 bytes/workgroup (compile time only)
; SGPRBlocks: 1
; VGPRBlocks: 3
; NumSGPRsForWavesPerEU: 14
; NumVGPRsForWavesPerEU: 29
; AccumOffset: 32
; Occupancy: 5
; WaveLimiterHint : 0
; COMPUTE_PGM_RSRC2:SCRATCH_EN: 0
; COMPUTE_PGM_RSRC2:USER_SGPR: 6
; COMPUTE_PGM_RSRC2:TRAP_HANDLER: 0
; COMPUTE_PGM_RSRC2:TGID_X_EN: 1
; COMPUTE_PGM_RSRC2:TGID_Y_EN: 0
; COMPUTE_PGM_RSRC2:TGID_Z_EN: 0
; COMPUTE_PGM_RSRC2:TIDIG_COMP_CNT: 0
; COMPUTE_PGM_RSRC3_GFX90A:ACCUM_OFFSET: 7
; COMPUTE_PGM_RSRC3_GFX90A:TG_SPLIT: 0
	.section	.text._ZN7rocprim17ROCPRIM_400000_NS6detail17trampoline_kernelINS0_14default_configENS1_20scan_config_selectorIxEEZZNS1_9scan_implILNS1_25lookback_scan_determinismE0ELb1ELb1ES3_N6thrust23THRUST_200600_302600_NS6detail15normal_iteratorINS9_10device_ptrIxEEEENS9_16discard_iteratorINS9_11use_defaultEEEx11max_functorIxExEEDaPvRmT3_T4_T5_mT6_P12ihipStream_tbENKUlT_T0_E_clISt17integral_constantIbLb1EESW_IbLb0EEEEDaSS_ST_EUlSS_E0_NS1_11comp_targetILNS1_3genE3ELNS1_11target_archE908ELNS1_3gpuE7ELNS1_3repE0EEENS1_30default_config_static_selectorELNS0_4arch9wavefront6targetE1EEEvT1_,"axG",@progbits,_ZN7rocprim17ROCPRIM_400000_NS6detail17trampoline_kernelINS0_14default_configENS1_20scan_config_selectorIxEEZZNS1_9scan_implILNS1_25lookback_scan_determinismE0ELb1ELb1ES3_N6thrust23THRUST_200600_302600_NS6detail15normal_iteratorINS9_10device_ptrIxEEEENS9_16discard_iteratorINS9_11use_defaultEEEx11max_functorIxExEEDaPvRmT3_T4_T5_mT6_P12ihipStream_tbENKUlT_T0_E_clISt17integral_constantIbLb1EESW_IbLb0EEEEDaSS_ST_EUlSS_E0_NS1_11comp_targetILNS1_3genE3ELNS1_11target_archE908ELNS1_3gpuE7ELNS1_3repE0EEENS1_30default_config_static_selectorELNS0_4arch9wavefront6targetE1EEEvT1_,comdat
	.protected	_ZN7rocprim17ROCPRIM_400000_NS6detail17trampoline_kernelINS0_14default_configENS1_20scan_config_selectorIxEEZZNS1_9scan_implILNS1_25lookback_scan_determinismE0ELb1ELb1ES3_N6thrust23THRUST_200600_302600_NS6detail15normal_iteratorINS9_10device_ptrIxEEEENS9_16discard_iteratorINS9_11use_defaultEEEx11max_functorIxExEEDaPvRmT3_T4_T5_mT6_P12ihipStream_tbENKUlT_T0_E_clISt17integral_constantIbLb1EESW_IbLb0EEEEDaSS_ST_EUlSS_E0_NS1_11comp_targetILNS1_3genE3ELNS1_11target_archE908ELNS1_3gpuE7ELNS1_3repE0EEENS1_30default_config_static_selectorELNS0_4arch9wavefront6targetE1EEEvT1_ ; -- Begin function _ZN7rocprim17ROCPRIM_400000_NS6detail17trampoline_kernelINS0_14default_configENS1_20scan_config_selectorIxEEZZNS1_9scan_implILNS1_25lookback_scan_determinismE0ELb1ELb1ES3_N6thrust23THRUST_200600_302600_NS6detail15normal_iteratorINS9_10device_ptrIxEEEENS9_16discard_iteratorINS9_11use_defaultEEEx11max_functorIxExEEDaPvRmT3_T4_T5_mT6_P12ihipStream_tbENKUlT_T0_E_clISt17integral_constantIbLb1EESW_IbLb0EEEEDaSS_ST_EUlSS_E0_NS1_11comp_targetILNS1_3genE3ELNS1_11target_archE908ELNS1_3gpuE7ELNS1_3repE0EEENS1_30default_config_static_selectorELNS0_4arch9wavefront6targetE1EEEvT1_
	.globl	_ZN7rocprim17ROCPRIM_400000_NS6detail17trampoline_kernelINS0_14default_configENS1_20scan_config_selectorIxEEZZNS1_9scan_implILNS1_25lookback_scan_determinismE0ELb1ELb1ES3_N6thrust23THRUST_200600_302600_NS6detail15normal_iteratorINS9_10device_ptrIxEEEENS9_16discard_iteratorINS9_11use_defaultEEEx11max_functorIxExEEDaPvRmT3_T4_T5_mT6_P12ihipStream_tbENKUlT_T0_E_clISt17integral_constantIbLb1EESW_IbLb0EEEEDaSS_ST_EUlSS_E0_NS1_11comp_targetILNS1_3genE3ELNS1_11target_archE908ELNS1_3gpuE7ELNS1_3repE0EEENS1_30default_config_static_selectorELNS0_4arch9wavefront6targetE1EEEvT1_
	.p2align	8
	.type	_ZN7rocprim17ROCPRIM_400000_NS6detail17trampoline_kernelINS0_14default_configENS1_20scan_config_selectorIxEEZZNS1_9scan_implILNS1_25lookback_scan_determinismE0ELb1ELb1ES3_N6thrust23THRUST_200600_302600_NS6detail15normal_iteratorINS9_10device_ptrIxEEEENS9_16discard_iteratorINS9_11use_defaultEEEx11max_functorIxExEEDaPvRmT3_T4_T5_mT6_P12ihipStream_tbENKUlT_T0_E_clISt17integral_constantIbLb1EESW_IbLb0EEEEDaSS_ST_EUlSS_E0_NS1_11comp_targetILNS1_3genE3ELNS1_11target_archE908ELNS1_3gpuE7ELNS1_3repE0EEENS1_30default_config_static_selectorELNS0_4arch9wavefront6targetE1EEEvT1_,@function
_ZN7rocprim17ROCPRIM_400000_NS6detail17trampoline_kernelINS0_14default_configENS1_20scan_config_selectorIxEEZZNS1_9scan_implILNS1_25lookback_scan_determinismE0ELb1ELb1ES3_N6thrust23THRUST_200600_302600_NS6detail15normal_iteratorINS9_10device_ptrIxEEEENS9_16discard_iteratorINS9_11use_defaultEEEx11max_functorIxExEEDaPvRmT3_T4_T5_mT6_P12ihipStream_tbENKUlT_T0_E_clISt17integral_constantIbLb1EESW_IbLb0EEEEDaSS_ST_EUlSS_E0_NS1_11comp_targetILNS1_3genE3ELNS1_11target_archE908ELNS1_3gpuE7ELNS1_3repE0EEENS1_30default_config_static_selectorELNS0_4arch9wavefront6targetE1EEEvT1_: ; @_ZN7rocprim17ROCPRIM_400000_NS6detail17trampoline_kernelINS0_14default_configENS1_20scan_config_selectorIxEEZZNS1_9scan_implILNS1_25lookback_scan_determinismE0ELb1ELb1ES3_N6thrust23THRUST_200600_302600_NS6detail15normal_iteratorINS9_10device_ptrIxEEEENS9_16discard_iteratorINS9_11use_defaultEEEx11max_functorIxExEEDaPvRmT3_T4_T5_mT6_P12ihipStream_tbENKUlT_T0_E_clISt17integral_constantIbLb1EESW_IbLb0EEEEDaSS_ST_EUlSS_E0_NS1_11comp_targetILNS1_3genE3ELNS1_11target_archE908ELNS1_3gpuE7ELNS1_3repE0EEENS1_30default_config_static_selectorELNS0_4arch9wavefront6targetE1EEEvT1_
; %bb.0:
	.section	.rodata,"a",@progbits
	.p2align	6, 0x0
	.amdhsa_kernel _ZN7rocprim17ROCPRIM_400000_NS6detail17trampoline_kernelINS0_14default_configENS1_20scan_config_selectorIxEEZZNS1_9scan_implILNS1_25lookback_scan_determinismE0ELb1ELb1ES3_N6thrust23THRUST_200600_302600_NS6detail15normal_iteratorINS9_10device_ptrIxEEEENS9_16discard_iteratorINS9_11use_defaultEEEx11max_functorIxExEEDaPvRmT3_T4_T5_mT6_P12ihipStream_tbENKUlT_T0_E_clISt17integral_constantIbLb1EESW_IbLb0EEEEDaSS_ST_EUlSS_E0_NS1_11comp_targetILNS1_3genE3ELNS1_11target_archE908ELNS1_3gpuE7ELNS1_3repE0EEENS1_30default_config_static_selectorELNS0_4arch9wavefront6targetE1EEEvT1_
		.amdhsa_group_segment_fixed_size 0
		.amdhsa_private_segment_fixed_size 0
		.amdhsa_kernarg_size 48
		.amdhsa_user_sgpr_count 6
		.amdhsa_user_sgpr_private_segment_buffer 1
		.amdhsa_user_sgpr_dispatch_ptr 0
		.amdhsa_user_sgpr_queue_ptr 0
		.amdhsa_user_sgpr_kernarg_segment_ptr 1
		.amdhsa_user_sgpr_dispatch_id 0
		.amdhsa_user_sgpr_flat_scratch_init 0
		.amdhsa_user_sgpr_kernarg_preload_length 0
		.amdhsa_user_sgpr_kernarg_preload_offset 0
		.amdhsa_user_sgpr_private_segment_size 0
		.amdhsa_uses_dynamic_stack 0
		.amdhsa_system_sgpr_private_segment_wavefront_offset 0
		.amdhsa_system_sgpr_workgroup_id_x 1
		.amdhsa_system_sgpr_workgroup_id_y 0
		.amdhsa_system_sgpr_workgroup_id_z 0
		.amdhsa_system_sgpr_workgroup_info 0
		.amdhsa_system_vgpr_workitem_id 0
		.amdhsa_next_free_vgpr 1
		.amdhsa_next_free_sgpr 0
		.amdhsa_accum_offset 4
		.amdhsa_reserve_vcc 0
		.amdhsa_reserve_flat_scratch 0
		.amdhsa_float_round_mode_32 0
		.amdhsa_float_round_mode_16_64 0
		.amdhsa_float_denorm_mode_32 3
		.amdhsa_float_denorm_mode_16_64 3
		.amdhsa_dx10_clamp 1
		.amdhsa_ieee_mode 1
		.amdhsa_fp16_overflow 0
		.amdhsa_tg_split 0
		.amdhsa_exception_fp_ieee_invalid_op 0
		.amdhsa_exception_fp_denorm_src 0
		.amdhsa_exception_fp_ieee_div_zero 0
		.amdhsa_exception_fp_ieee_overflow 0
		.amdhsa_exception_fp_ieee_underflow 0
		.amdhsa_exception_fp_ieee_inexact 0
		.amdhsa_exception_int_div_zero 0
	.end_amdhsa_kernel
	.section	.text._ZN7rocprim17ROCPRIM_400000_NS6detail17trampoline_kernelINS0_14default_configENS1_20scan_config_selectorIxEEZZNS1_9scan_implILNS1_25lookback_scan_determinismE0ELb1ELb1ES3_N6thrust23THRUST_200600_302600_NS6detail15normal_iteratorINS9_10device_ptrIxEEEENS9_16discard_iteratorINS9_11use_defaultEEEx11max_functorIxExEEDaPvRmT3_T4_T5_mT6_P12ihipStream_tbENKUlT_T0_E_clISt17integral_constantIbLb1EESW_IbLb0EEEEDaSS_ST_EUlSS_E0_NS1_11comp_targetILNS1_3genE3ELNS1_11target_archE908ELNS1_3gpuE7ELNS1_3repE0EEENS1_30default_config_static_selectorELNS0_4arch9wavefront6targetE1EEEvT1_,"axG",@progbits,_ZN7rocprim17ROCPRIM_400000_NS6detail17trampoline_kernelINS0_14default_configENS1_20scan_config_selectorIxEEZZNS1_9scan_implILNS1_25lookback_scan_determinismE0ELb1ELb1ES3_N6thrust23THRUST_200600_302600_NS6detail15normal_iteratorINS9_10device_ptrIxEEEENS9_16discard_iteratorINS9_11use_defaultEEEx11max_functorIxExEEDaPvRmT3_T4_T5_mT6_P12ihipStream_tbENKUlT_T0_E_clISt17integral_constantIbLb1EESW_IbLb0EEEEDaSS_ST_EUlSS_E0_NS1_11comp_targetILNS1_3genE3ELNS1_11target_archE908ELNS1_3gpuE7ELNS1_3repE0EEENS1_30default_config_static_selectorELNS0_4arch9wavefront6targetE1EEEvT1_,comdat
.Lfunc_end3830:
	.size	_ZN7rocprim17ROCPRIM_400000_NS6detail17trampoline_kernelINS0_14default_configENS1_20scan_config_selectorIxEEZZNS1_9scan_implILNS1_25lookback_scan_determinismE0ELb1ELb1ES3_N6thrust23THRUST_200600_302600_NS6detail15normal_iteratorINS9_10device_ptrIxEEEENS9_16discard_iteratorINS9_11use_defaultEEEx11max_functorIxExEEDaPvRmT3_T4_T5_mT6_P12ihipStream_tbENKUlT_T0_E_clISt17integral_constantIbLb1EESW_IbLb0EEEEDaSS_ST_EUlSS_E0_NS1_11comp_targetILNS1_3genE3ELNS1_11target_archE908ELNS1_3gpuE7ELNS1_3repE0EEENS1_30default_config_static_selectorELNS0_4arch9wavefront6targetE1EEEvT1_, .Lfunc_end3830-_ZN7rocprim17ROCPRIM_400000_NS6detail17trampoline_kernelINS0_14default_configENS1_20scan_config_selectorIxEEZZNS1_9scan_implILNS1_25lookback_scan_determinismE0ELb1ELb1ES3_N6thrust23THRUST_200600_302600_NS6detail15normal_iteratorINS9_10device_ptrIxEEEENS9_16discard_iteratorINS9_11use_defaultEEEx11max_functorIxExEEDaPvRmT3_T4_T5_mT6_P12ihipStream_tbENKUlT_T0_E_clISt17integral_constantIbLb1EESW_IbLb0EEEEDaSS_ST_EUlSS_E0_NS1_11comp_targetILNS1_3genE3ELNS1_11target_archE908ELNS1_3gpuE7ELNS1_3repE0EEENS1_30default_config_static_selectorELNS0_4arch9wavefront6targetE1EEEvT1_
                                        ; -- End function
	.section	.AMDGPU.csdata,"",@progbits
; Kernel info:
; codeLenInByte = 0
; NumSgprs: 4
; NumVgprs: 0
; NumAgprs: 0
; TotalNumVgprs: 0
; ScratchSize: 0
; MemoryBound: 0
; FloatMode: 240
; IeeeMode: 1
; LDSByteSize: 0 bytes/workgroup (compile time only)
; SGPRBlocks: 0
; VGPRBlocks: 0
; NumSGPRsForWavesPerEU: 4
; NumVGPRsForWavesPerEU: 1
; AccumOffset: 4
; Occupancy: 8
; WaveLimiterHint : 0
; COMPUTE_PGM_RSRC2:SCRATCH_EN: 0
; COMPUTE_PGM_RSRC2:USER_SGPR: 6
; COMPUTE_PGM_RSRC2:TRAP_HANDLER: 0
; COMPUTE_PGM_RSRC2:TGID_X_EN: 1
; COMPUTE_PGM_RSRC2:TGID_Y_EN: 0
; COMPUTE_PGM_RSRC2:TGID_Z_EN: 0
; COMPUTE_PGM_RSRC2:TIDIG_COMP_CNT: 0
; COMPUTE_PGM_RSRC3_GFX90A:ACCUM_OFFSET: 0
; COMPUTE_PGM_RSRC3_GFX90A:TG_SPLIT: 0
	.section	.text._ZN7rocprim17ROCPRIM_400000_NS6detail17trampoline_kernelINS0_14default_configENS1_20scan_config_selectorIxEEZZNS1_9scan_implILNS1_25lookback_scan_determinismE0ELb1ELb1ES3_N6thrust23THRUST_200600_302600_NS6detail15normal_iteratorINS9_10device_ptrIxEEEENS9_16discard_iteratorINS9_11use_defaultEEEx11max_functorIxExEEDaPvRmT3_T4_T5_mT6_P12ihipStream_tbENKUlT_T0_E_clISt17integral_constantIbLb1EESW_IbLb0EEEEDaSS_ST_EUlSS_E0_NS1_11comp_targetILNS1_3genE2ELNS1_11target_archE906ELNS1_3gpuE6ELNS1_3repE0EEENS1_30default_config_static_selectorELNS0_4arch9wavefront6targetE1EEEvT1_,"axG",@progbits,_ZN7rocprim17ROCPRIM_400000_NS6detail17trampoline_kernelINS0_14default_configENS1_20scan_config_selectorIxEEZZNS1_9scan_implILNS1_25lookback_scan_determinismE0ELb1ELb1ES3_N6thrust23THRUST_200600_302600_NS6detail15normal_iteratorINS9_10device_ptrIxEEEENS9_16discard_iteratorINS9_11use_defaultEEEx11max_functorIxExEEDaPvRmT3_T4_T5_mT6_P12ihipStream_tbENKUlT_T0_E_clISt17integral_constantIbLb1EESW_IbLb0EEEEDaSS_ST_EUlSS_E0_NS1_11comp_targetILNS1_3genE2ELNS1_11target_archE906ELNS1_3gpuE6ELNS1_3repE0EEENS1_30default_config_static_selectorELNS0_4arch9wavefront6targetE1EEEvT1_,comdat
	.protected	_ZN7rocprim17ROCPRIM_400000_NS6detail17trampoline_kernelINS0_14default_configENS1_20scan_config_selectorIxEEZZNS1_9scan_implILNS1_25lookback_scan_determinismE0ELb1ELb1ES3_N6thrust23THRUST_200600_302600_NS6detail15normal_iteratorINS9_10device_ptrIxEEEENS9_16discard_iteratorINS9_11use_defaultEEEx11max_functorIxExEEDaPvRmT3_T4_T5_mT6_P12ihipStream_tbENKUlT_T0_E_clISt17integral_constantIbLb1EESW_IbLb0EEEEDaSS_ST_EUlSS_E0_NS1_11comp_targetILNS1_3genE2ELNS1_11target_archE906ELNS1_3gpuE6ELNS1_3repE0EEENS1_30default_config_static_selectorELNS0_4arch9wavefront6targetE1EEEvT1_ ; -- Begin function _ZN7rocprim17ROCPRIM_400000_NS6detail17trampoline_kernelINS0_14default_configENS1_20scan_config_selectorIxEEZZNS1_9scan_implILNS1_25lookback_scan_determinismE0ELb1ELb1ES3_N6thrust23THRUST_200600_302600_NS6detail15normal_iteratorINS9_10device_ptrIxEEEENS9_16discard_iteratorINS9_11use_defaultEEEx11max_functorIxExEEDaPvRmT3_T4_T5_mT6_P12ihipStream_tbENKUlT_T0_E_clISt17integral_constantIbLb1EESW_IbLb0EEEEDaSS_ST_EUlSS_E0_NS1_11comp_targetILNS1_3genE2ELNS1_11target_archE906ELNS1_3gpuE6ELNS1_3repE0EEENS1_30default_config_static_selectorELNS0_4arch9wavefront6targetE1EEEvT1_
	.globl	_ZN7rocprim17ROCPRIM_400000_NS6detail17trampoline_kernelINS0_14default_configENS1_20scan_config_selectorIxEEZZNS1_9scan_implILNS1_25lookback_scan_determinismE0ELb1ELb1ES3_N6thrust23THRUST_200600_302600_NS6detail15normal_iteratorINS9_10device_ptrIxEEEENS9_16discard_iteratorINS9_11use_defaultEEEx11max_functorIxExEEDaPvRmT3_T4_T5_mT6_P12ihipStream_tbENKUlT_T0_E_clISt17integral_constantIbLb1EESW_IbLb0EEEEDaSS_ST_EUlSS_E0_NS1_11comp_targetILNS1_3genE2ELNS1_11target_archE906ELNS1_3gpuE6ELNS1_3repE0EEENS1_30default_config_static_selectorELNS0_4arch9wavefront6targetE1EEEvT1_
	.p2align	8
	.type	_ZN7rocprim17ROCPRIM_400000_NS6detail17trampoline_kernelINS0_14default_configENS1_20scan_config_selectorIxEEZZNS1_9scan_implILNS1_25lookback_scan_determinismE0ELb1ELb1ES3_N6thrust23THRUST_200600_302600_NS6detail15normal_iteratorINS9_10device_ptrIxEEEENS9_16discard_iteratorINS9_11use_defaultEEEx11max_functorIxExEEDaPvRmT3_T4_T5_mT6_P12ihipStream_tbENKUlT_T0_E_clISt17integral_constantIbLb1EESW_IbLb0EEEEDaSS_ST_EUlSS_E0_NS1_11comp_targetILNS1_3genE2ELNS1_11target_archE906ELNS1_3gpuE6ELNS1_3repE0EEENS1_30default_config_static_selectorELNS0_4arch9wavefront6targetE1EEEvT1_,@function
_ZN7rocprim17ROCPRIM_400000_NS6detail17trampoline_kernelINS0_14default_configENS1_20scan_config_selectorIxEEZZNS1_9scan_implILNS1_25lookback_scan_determinismE0ELb1ELb1ES3_N6thrust23THRUST_200600_302600_NS6detail15normal_iteratorINS9_10device_ptrIxEEEENS9_16discard_iteratorINS9_11use_defaultEEEx11max_functorIxExEEDaPvRmT3_T4_T5_mT6_P12ihipStream_tbENKUlT_T0_E_clISt17integral_constantIbLb1EESW_IbLb0EEEEDaSS_ST_EUlSS_E0_NS1_11comp_targetILNS1_3genE2ELNS1_11target_archE906ELNS1_3gpuE6ELNS1_3repE0EEENS1_30default_config_static_selectorELNS0_4arch9wavefront6targetE1EEEvT1_: ; @_ZN7rocprim17ROCPRIM_400000_NS6detail17trampoline_kernelINS0_14default_configENS1_20scan_config_selectorIxEEZZNS1_9scan_implILNS1_25lookback_scan_determinismE0ELb1ELb1ES3_N6thrust23THRUST_200600_302600_NS6detail15normal_iteratorINS9_10device_ptrIxEEEENS9_16discard_iteratorINS9_11use_defaultEEEx11max_functorIxExEEDaPvRmT3_T4_T5_mT6_P12ihipStream_tbENKUlT_T0_E_clISt17integral_constantIbLb1EESW_IbLb0EEEEDaSS_ST_EUlSS_E0_NS1_11comp_targetILNS1_3genE2ELNS1_11target_archE906ELNS1_3gpuE6ELNS1_3repE0EEENS1_30default_config_static_selectorELNS0_4arch9wavefront6targetE1EEEvT1_
; %bb.0:
	.section	.rodata,"a",@progbits
	.p2align	6, 0x0
	.amdhsa_kernel _ZN7rocprim17ROCPRIM_400000_NS6detail17trampoline_kernelINS0_14default_configENS1_20scan_config_selectorIxEEZZNS1_9scan_implILNS1_25lookback_scan_determinismE0ELb1ELb1ES3_N6thrust23THRUST_200600_302600_NS6detail15normal_iteratorINS9_10device_ptrIxEEEENS9_16discard_iteratorINS9_11use_defaultEEEx11max_functorIxExEEDaPvRmT3_T4_T5_mT6_P12ihipStream_tbENKUlT_T0_E_clISt17integral_constantIbLb1EESW_IbLb0EEEEDaSS_ST_EUlSS_E0_NS1_11comp_targetILNS1_3genE2ELNS1_11target_archE906ELNS1_3gpuE6ELNS1_3repE0EEENS1_30default_config_static_selectorELNS0_4arch9wavefront6targetE1EEEvT1_
		.amdhsa_group_segment_fixed_size 0
		.amdhsa_private_segment_fixed_size 0
		.amdhsa_kernarg_size 48
		.amdhsa_user_sgpr_count 6
		.amdhsa_user_sgpr_private_segment_buffer 1
		.amdhsa_user_sgpr_dispatch_ptr 0
		.amdhsa_user_sgpr_queue_ptr 0
		.amdhsa_user_sgpr_kernarg_segment_ptr 1
		.amdhsa_user_sgpr_dispatch_id 0
		.amdhsa_user_sgpr_flat_scratch_init 0
		.amdhsa_user_sgpr_kernarg_preload_length 0
		.amdhsa_user_sgpr_kernarg_preload_offset 0
		.amdhsa_user_sgpr_private_segment_size 0
		.amdhsa_uses_dynamic_stack 0
		.amdhsa_system_sgpr_private_segment_wavefront_offset 0
		.amdhsa_system_sgpr_workgroup_id_x 1
		.amdhsa_system_sgpr_workgroup_id_y 0
		.amdhsa_system_sgpr_workgroup_id_z 0
		.amdhsa_system_sgpr_workgroup_info 0
		.amdhsa_system_vgpr_workitem_id 0
		.amdhsa_next_free_vgpr 1
		.amdhsa_next_free_sgpr 0
		.amdhsa_accum_offset 4
		.amdhsa_reserve_vcc 0
		.amdhsa_reserve_flat_scratch 0
		.amdhsa_float_round_mode_32 0
		.amdhsa_float_round_mode_16_64 0
		.amdhsa_float_denorm_mode_32 3
		.amdhsa_float_denorm_mode_16_64 3
		.amdhsa_dx10_clamp 1
		.amdhsa_ieee_mode 1
		.amdhsa_fp16_overflow 0
		.amdhsa_tg_split 0
		.amdhsa_exception_fp_ieee_invalid_op 0
		.amdhsa_exception_fp_denorm_src 0
		.amdhsa_exception_fp_ieee_div_zero 0
		.amdhsa_exception_fp_ieee_overflow 0
		.amdhsa_exception_fp_ieee_underflow 0
		.amdhsa_exception_fp_ieee_inexact 0
		.amdhsa_exception_int_div_zero 0
	.end_amdhsa_kernel
	.section	.text._ZN7rocprim17ROCPRIM_400000_NS6detail17trampoline_kernelINS0_14default_configENS1_20scan_config_selectorIxEEZZNS1_9scan_implILNS1_25lookback_scan_determinismE0ELb1ELb1ES3_N6thrust23THRUST_200600_302600_NS6detail15normal_iteratorINS9_10device_ptrIxEEEENS9_16discard_iteratorINS9_11use_defaultEEEx11max_functorIxExEEDaPvRmT3_T4_T5_mT6_P12ihipStream_tbENKUlT_T0_E_clISt17integral_constantIbLb1EESW_IbLb0EEEEDaSS_ST_EUlSS_E0_NS1_11comp_targetILNS1_3genE2ELNS1_11target_archE906ELNS1_3gpuE6ELNS1_3repE0EEENS1_30default_config_static_selectorELNS0_4arch9wavefront6targetE1EEEvT1_,"axG",@progbits,_ZN7rocprim17ROCPRIM_400000_NS6detail17trampoline_kernelINS0_14default_configENS1_20scan_config_selectorIxEEZZNS1_9scan_implILNS1_25lookback_scan_determinismE0ELb1ELb1ES3_N6thrust23THRUST_200600_302600_NS6detail15normal_iteratorINS9_10device_ptrIxEEEENS9_16discard_iteratorINS9_11use_defaultEEEx11max_functorIxExEEDaPvRmT3_T4_T5_mT6_P12ihipStream_tbENKUlT_T0_E_clISt17integral_constantIbLb1EESW_IbLb0EEEEDaSS_ST_EUlSS_E0_NS1_11comp_targetILNS1_3genE2ELNS1_11target_archE906ELNS1_3gpuE6ELNS1_3repE0EEENS1_30default_config_static_selectorELNS0_4arch9wavefront6targetE1EEEvT1_,comdat
.Lfunc_end3831:
	.size	_ZN7rocprim17ROCPRIM_400000_NS6detail17trampoline_kernelINS0_14default_configENS1_20scan_config_selectorIxEEZZNS1_9scan_implILNS1_25lookback_scan_determinismE0ELb1ELb1ES3_N6thrust23THRUST_200600_302600_NS6detail15normal_iteratorINS9_10device_ptrIxEEEENS9_16discard_iteratorINS9_11use_defaultEEEx11max_functorIxExEEDaPvRmT3_T4_T5_mT6_P12ihipStream_tbENKUlT_T0_E_clISt17integral_constantIbLb1EESW_IbLb0EEEEDaSS_ST_EUlSS_E0_NS1_11comp_targetILNS1_3genE2ELNS1_11target_archE906ELNS1_3gpuE6ELNS1_3repE0EEENS1_30default_config_static_selectorELNS0_4arch9wavefront6targetE1EEEvT1_, .Lfunc_end3831-_ZN7rocprim17ROCPRIM_400000_NS6detail17trampoline_kernelINS0_14default_configENS1_20scan_config_selectorIxEEZZNS1_9scan_implILNS1_25lookback_scan_determinismE0ELb1ELb1ES3_N6thrust23THRUST_200600_302600_NS6detail15normal_iteratorINS9_10device_ptrIxEEEENS9_16discard_iteratorINS9_11use_defaultEEEx11max_functorIxExEEDaPvRmT3_T4_T5_mT6_P12ihipStream_tbENKUlT_T0_E_clISt17integral_constantIbLb1EESW_IbLb0EEEEDaSS_ST_EUlSS_E0_NS1_11comp_targetILNS1_3genE2ELNS1_11target_archE906ELNS1_3gpuE6ELNS1_3repE0EEENS1_30default_config_static_selectorELNS0_4arch9wavefront6targetE1EEEvT1_
                                        ; -- End function
	.section	.AMDGPU.csdata,"",@progbits
; Kernel info:
; codeLenInByte = 0
; NumSgprs: 4
; NumVgprs: 0
; NumAgprs: 0
; TotalNumVgprs: 0
; ScratchSize: 0
; MemoryBound: 0
; FloatMode: 240
; IeeeMode: 1
; LDSByteSize: 0 bytes/workgroup (compile time only)
; SGPRBlocks: 0
; VGPRBlocks: 0
; NumSGPRsForWavesPerEU: 4
; NumVGPRsForWavesPerEU: 1
; AccumOffset: 4
; Occupancy: 8
; WaveLimiterHint : 0
; COMPUTE_PGM_RSRC2:SCRATCH_EN: 0
; COMPUTE_PGM_RSRC2:USER_SGPR: 6
; COMPUTE_PGM_RSRC2:TRAP_HANDLER: 0
; COMPUTE_PGM_RSRC2:TGID_X_EN: 1
; COMPUTE_PGM_RSRC2:TGID_Y_EN: 0
; COMPUTE_PGM_RSRC2:TGID_Z_EN: 0
; COMPUTE_PGM_RSRC2:TIDIG_COMP_CNT: 0
; COMPUTE_PGM_RSRC3_GFX90A:ACCUM_OFFSET: 0
; COMPUTE_PGM_RSRC3_GFX90A:TG_SPLIT: 0
	.section	.text._ZN7rocprim17ROCPRIM_400000_NS6detail17trampoline_kernelINS0_14default_configENS1_20scan_config_selectorIxEEZZNS1_9scan_implILNS1_25lookback_scan_determinismE0ELb1ELb1ES3_N6thrust23THRUST_200600_302600_NS6detail15normal_iteratorINS9_10device_ptrIxEEEENS9_16discard_iteratorINS9_11use_defaultEEEx11max_functorIxExEEDaPvRmT3_T4_T5_mT6_P12ihipStream_tbENKUlT_T0_E_clISt17integral_constantIbLb1EESW_IbLb0EEEEDaSS_ST_EUlSS_E0_NS1_11comp_targetILNS1_3genE10ELNS1_11target_archE1201ELNS1_3gpuE5ELNS1_3repE0EEENS1_30default_config_static_selectorELNS0_4arch9wavefront6targetE1EEEvT1_,"axG",@progbits,_ZN7rocprim17ROCPRIM_400000_NS6detail17trampoline_kernelINS0_14default_configENS1_20scan_config_selectorIxEEZZNS1_9scan_implILNS1_25lookback_scan_determinismE0ELb1ELb1ES3_N6thrust23THRUST_200600_302600_NS6detail15normal_iteratorINS9_10device_ptrIxEEEENS9_16discard_iteratorINS9_11use_defaultEEEx11max_functorIxExEEDaPvRmT3_T4_T5_mT6_P12ihipStream_tbENKUlT_T0_E_clISt17integral_constantIbLb1EESW_IbLb0EEEEDaSS_ST_EUlSS_E0_NS1_11comp_targetILNS1_3genE10ELNS1_11target_archE1201ELNS1_3gpuE5ELNS1_3repE0EEENS1_30default_config_static_selectorELNS0_4arch9wavefront6targetE1EEEvT1_,comdat
	.protected	_ZN7rocprim17ROCPRIM_400000_NS6detail17trampoline_kernelINS0_14default_configENS1_20scan_config_selectorIxEEZZNS1_9scan_implILNS1_25lookback_scan_determinismE0ELb1ELb1ES3_N6thrust23THRUST_200600_302600_NS6detail15normal_iteratorINS9_10device_ptrIxEEEENS9_16discard_iteratorINS9_11use_defaultEEEx11max_functorIxExEEDaPvRmT3_T4_T5_mT6_P12ihipStream_tbENKUlT_T0_E_clISt17integral_constantIbLb1EESW_IbLb0EEEEDaSS_ST_EUlSS_E0_NS1_11comp_targetILNS1_3genE10ELNS1_11target_archE1201ELNS1_3gpuE5ELNS1_3repE0EEENS1_30default_config_static_selectorELNS0_4arch9wavefront6targetE1EEEvT1_ ; -- Begin function _ZN7rocprim17ROCPRIM_400000_NS6detail17trampoline_kernelINS0_14default_configENS1_20scan_config_selectorIxEEZZNS1_9scan_implILNS1_25lookback_scan_determinismE0ELb1ELb1ES3_N6thrust23THRUST_200600_302600_NS6detail15normal_iteratorINS9_10device_ptrIxEEEENS9_16discard_iteratorINS9_11use_defaultEEEx11max_functorIxExEEDaPvRmT3_T4_T5_mT6_P12ihipStream_tbENKUlT_T0_E_clISt17integral_constantIbLb1EESW_IbLb0EEEEDaSS_ST_EUlSS_E0_NS1_11comp_targetILNS1_3genE10ELNS1_11target_archE1201ELNS1_3gpuE5ELNS1_3repE0EEENS1_30default_config_static_selectorELNS0_4arch9wavefront6targetE1EEEvT1_
	.globl	_ZN7rocprim17ROCPRIM_400000_NS6detail17trampoline_kernelINS0_14default_configENS1_20scan_config_selectorIxEEZZNS1_9scan_implILNS1_25lookback_scan_determinismE0ELb1ELb1ES3_N6thrust23THRUST_200600_302600_NS6detail15normal_iteratorINS9_10device_ptrIxEEEENS9_16discard_iteratorINS9_11use_defaultEEEx11max_functorIxExEEDaPvRmT3_T4_T5_mT6_P12ihipStream_tbENKUlT_T0_E_clISt17integral_constantIbLb1EESW_IbLb0EEEEDaSS_ST_EUlSS_E0_NS1_11comp_targetILNS1_3genE10ELNS1_11target_archE1201ELNS1_3gpuE5ELNS1_3repE0EEENS1_30default_config_static_selectorELNS0_4arch9wavefront6targetE1EEEvT1_
	.p2align	8
	.type	_ZN7rocprim17ROCPRIM_400000_NS6detail17trampoline_kernelINS0_14default_configENS1_20scan_config_selectorIxEEZZNS1_9scan_implILNS1_25lookback_scan_determinismE0ELb1ELb1ES3_N6thrust23THRUST_200600_302600_NS6detail15normal_iteratorINS9_10device_ptrIxEEEENS9_16discard_iteratorINS9_11use_defaultEEEx11max_functorIxExEEDaPvRmT3_T4_T5_mT6_P12ihipStream_tbENKUlT_T0_E_clISt17integral_constantIbLb1EESW_IbLb0EEEEDaSS_ST_EUlSS_E0_NS1_11comp_targetILNS1_3genE10ELNS1_11target_archE1201ELNS1_3gpuE5ELNS1_3repE0EEENS1_30default_config_static_selectorELNS0_4arch9wavefront6targetE1EEEvT1_,@function
_ZN7rocprim17ROCPRIM_400000_NS6detail17trampoline_kernelINS0_14default_configENS1_20scan_config_selectorIxEEZZNS1_9scan_implILNS1_25lookback_scan_determinismE0ELb1ELb1ES3_N6thrust23THRUST_200600_302600_NS6detail15normal_iteratorINS9_10device_ptrIxEEEENS9_16discard_iteratorINS9_11use_defaultEEEx11max_functorIxExEEDaPvRmT3_T4_T5_mT6_P12ihipStream_tbENKUlT_T0_E_clISt17integral_constantIbLb1EESW_IbLb0EEEEDaSS_ST_EUlSS_E0_NS1_11comp_targetILNS1_3genE10ELNS1_11target_archE1201ELNS1_3gpuE5ELNS1_3repE0EEENS1_30default_config_static_selectorELNS0_4arch9wavefront6targetE1EEEvT1_: ; @_ZN7rocprim17ROCPRIM_400000_NS6detail17trampoline_kernelINS0_14default_configENS1_20scan_config_selectorIxEEZZNS1_9scan_implILNS1_25lookback_scan_determinismE0ELb1ELb1ES3_N6thrust23THRUST_200600_302600_NS6detail15normal_iteratorINS9_10device_ptrIxEEEENS9_16discard_iteratorINS9_11use_defaultEEEx11max_functorIxExEEDaPvRmT3_T4_T5_mT6_P12ihipStream_tbENKUlT_T0_E_clISt17integral_constantIbLb1EESW_IbLb0EEEEDaSS_ST_EUlSS_E0_NS1_11comp_targetILNS1_3genE10ELNS1_11target_archE1201ELNS1_3gpuE5ELNS1_3repE0EEENS1_30default_config_static_selectorELNS0_4arch9wavefront6targetE1EEEvT1_
; %bb.0:
	.section	.rodata,"a",@progbits
	.p2align	6, 0x0
	.amdhsa_kernel _ZN7rocprim17ROCPRIM_400000_NS6detail17trampoline_kernelINS0_14default_configENS1_20scan_config_selectorIxEEZZNS1_9scan_implILNS1_25lookback_scan_determinismE0ELb1ELb1ES3_N6thrust23THRUST_200600_302600_NS6detail15normal_iteratorINS9_10device_ptrIxEEEENS9_16discard_iteratorINS9_11use_defaultEEEx11max_functorIxExEEDaPvRmT3_T4_T5_mT6_P12ihipStream_tbENKUlT_T0_E_clISt17integral_constantIbLb1EESW_IbLb0EEEEDaSS_ST_EUlSS_E0_NS1_11comp_targetILNS1_3genE10ELNS1_11target_archE1201ELNS1_3gpuE5ELNS1_3repE0EEENS1_30default_config_static_selectorELNS0_4arch9wavefront6targetE1EEEvT1_
		.amdhsa_group_segment_fixed_size 0
		.amdhsa_private_segment_fixed_size 0
		.amdhsa_kernarg_size 48
		.amdhsa_user_sgpr_count 6
		.amdhsa_user_sgpr_private_segment_buffer 1
		.amdhsa_user_sgpr_dispatch_ptr 0
		.amdhsa_user_sgpr_queue_ptr 0
		.amdhsa_user_sgpr_kernarg_segment_ptr 1
		.amdhsa_user_sgpr_dispatch_id 0
		.amdhsa_user_sgpr_flat_scratch_init 0
		.amdhsa_user_sgpr_kernarg_preload_length 0
		.amdhsa_user_sgpr_kernarg_preload_offset 0
		.amdhsa_user_sgpr_private_segment_size 0
		.amdhsa_uses_dynamic_stack 0
		.amdhsa_system_sgpr_private_segment_wavefront_offset 0
		.amdhsa_system_sgpr_workgroup_id_x 1
		.amdhsa_system_sgpr_workgroup_id_y 0
		.amdhsa_system_sgpr_workgroup_id_z 0
		.amdhsa_system_sgpr_workgroup_info 0
		.amdhsa_system_vgpr_workitem_id 0
		.amdhsa_next_free_vgpr 1
		.amdhsa_next_free_sgpr 0
		.amdhsa_accum_offset 4
		.amdhsa_reserve_vcc 0
		.amdhsa_reserve_flat_scratch 0
		.amdhsa_float_round_mode_32 0
		.amdhsa_float_round_mode_16_64 0
		.amdhsa_float_denorm_mode_32 3
		.amdhsa_float_denorm_mode_16_64 3
		.amdhsa_dx10_clamp 1
		.amdhsa_ieee_mode 1
		.amdhsa_fp16_overflow 0
		.amdhsa_tg_split 0
		.amdhsa_exception_fp_ieee_invalid_op 0
		.amdhsa_exception_fp_denorm_src 0
		.amdhsa_exception_fp_ieee_div_zero 0
		.amdhsa_exception_fp_ieee_overflow 0
		.amdhsa_exception_fp_ieee_underflow 0
		.amdhsa_exception_fp_ieee_inexact 0
		.amdhsa_exception_int_div_zero 0
	.end_amdhsa_kernel
	.section	.text._ZN7rocprim17ROCPRIM_400000_NS6detail17trampoline_kernelINS0_14default_configENS1_20scan_config_selectorIxEEZZNS1_9scan_implILNS1_25lookback_scan_determinismE0ELb1ELb1ES3_N6thrust23THRUST_200600_302600_NS6detail15normal_iteratorINS9_10device_ptrIxEEEENS9_16discard_iteratorINS9_11use_defaultEEEx11max_functorIxExEEDaPvRmT3_T4_T5_mT6_P12ihipStream_tbENKUlT_T0_E_clISt17integral_constantIbLb1EESW_IbLb0EEEEDaSS_ST_EUlSS_E0_NS1_11comp_targetILNS1_3genE10ELNS1_11target_archE1201ELNS1_3gpuE5ELNS1_3repE0EEENS1_30default_config_static_selectorELNS0_4arch9wavefront6targetE1EEEvT1_,"axG",@progbits,_ZN7rocprim17ROCPRIM_400000_NS6detail17trampoline_kernelINS0_14default_configENS1_20scan_config_selectorIxEEZZNS1_9scan_implILNS1_25lookback_scan_determinismE0ELb1ELb1ES3_N6thrust23THRUST_200600_302600_NS6detail15normal_iteratorINS9_10device_ptrIxEEEENS9_16discard_iteratorINS9_11use_defaultEEEx11max_functorIxExEEDaPvRmT3_T4_T5_mT6_P12ihipStream_tbENKUlT_T0_E_clISt17integral_constantIbLb1EESW_IbLb0EEEEDaSS_ST_EUlSS_E0_NS1_11comp_targetILNS1_3genE10ELNS1_11target_archE1201ELNS1_3gpuE5ELNS1_3repE0EEENS1_30default_config_static_selectorELNS0_4arch9wavefront6targetE1EEEvT1_,comdat
.Lfunc_end3832:
	.size	_ZN7rocprim17ROCPRIM_400000_NS6detail17trampoline_kernelINS0_14default_configENS1_20scan_config_selectorIxEEZZNS1_9scan_implILNS1_25lookback_scan_determinismE0ELb1ELb1ES3_N6thrust23THRUST_200600_302600_NS6detail15normal_iteratorINS9_10device_ptrIxEEEENS9_16discard_iteratorINS9_11use_defaultEEEx11max_functorIxExEEDaPvRmT3_T4_T5_mT6_P12ihipStream_tbENKUlT_T0_E_clISt17integral_constantIbLb1EESW_IbLb0EEEEDaSS_ST_EUlSS_E0_NS1_11comp_targetILNS1_3genE10ELNS1_11target_archE1201ELNS1_3gpuE5ELNS1_3repE0EEENS1_30default_config_static_selectorELNS0_4arch9wavefront6targetE1EEEvT1_, .Lfunc_end3832-_ZN7rocprim17ROCPRIM_400000_NS6detail17trampoline_kernelINS0_14default_configENS1_20scan_config_selectorIxEEZZNS1_9scan_implILNS1_25lookback_scan_determinismE0ELb1ELb1ES3_N6thrust23THRUST_200600_302600_NS6detail15normal_iteratorINS9_10device_ptrIxEEEENS9_16discard_iteratorINS9_11use_defaultEEEx11max_functorIxExEEDaPvRmT3_T4_T5_mT6_P12ihipStream_tbENKUlT_T0_E_clISt17integral_constantIbLb1EESW_IbLb0EEEEDaSS_ST_EUlSS_E0_NS1_11comp_targetILNS1_3genE10ELNS1_11target_archE1201ELNS1_3gpuE5ELNS1_3repE0EEENS1_30default_config_static_selectorELNS0_4arch9wavefront6targetE1EEEvT1_
                                        ; -- End function
	.section	.AMDGPU.csdata,"",@progbits
; Kernel info:
; codeLenInByte = 0
; NumSgprs: 4
; NumVgprs: 0
; NumAgprs: 0
; TotalNumVgprs: 0
; ScratchSize: 0
; MemoryBound: 0
; FloatMode: 240
; IeeeMode: 1
; LDSByteSize: 0 bytes/workgroup (compile time only)
; SGPRBlocks: 0
; VGPRBlocks: 0
; NumSGPRsForWavesPerEU: 4
; NumVGPRsForWavesPerEU: 1
; AccumOffset: 4
; Occupancy: 8
; WaveLimiterHint : 0
; COMPUTE_PGM_RSRC2:SCRATCH_EN: 0
; COMPUTE_PGM_RSRC2:USER_SGPR: 6
; COMPUTE_PGM_RSRC2:TRAP_HANDLER: 0
; COMPUTE_PGM_RSRC2:TGID_X_EN: 1
; COMPUTE_PGM_RSRC2:TGID_Y_EN: 0
; COMPUTE_PGM_RSRC2:TGID_Z_EN: 0
; COMPUTE_PGM_RSRC2:TIDIG_COMP_CNT: 0
; COMPUTE_PGM_RSRC3_GFX90A:ACCUM_OFFSET: 0
; COMPUTE_PGM_RSRC3_GFX90A:TG_SPLIT: 0
	.section	.text._ZN7rocprim17ROCPRIM_400000_NS6detail17trampoline_kernelINS0_14default_configENS1_20scan_config_selectorIxEEZZNS1_9scan_implILNS1_25lookback_scan_determinismE0ELb1ELb1ES3_N6thrust23THRUST_200600_302600_NS6detail15normal_iteratorINS9_10device_ptrIxEEEENS9_16discard_iteratorINS9_11use_defaultEEEx11max_functorIxExEEDaPvRmT3_T4_T5_mT6_P12ihipStream_tbENKUlT_T0_E_clISt17integral_constantIbLb1EESW_IbLb0EEEEDaSS_ST_EUlSS_E0_NS1_11comp_targetILNS1_3genE10ELNS1_11target_archE1200ELNS1_3gpuE4ELNS1_3repE0EEENS1_30default_config_static_selectorELNS0_4arch9wavefront6targetE1EEEvT1_,"axG",@progbits,_ZN7rocprim17ROCPRIM_400000_NS6detail17trampoline_kernelINS0_14default_configENS1_20scan_config_selectorIxEEZZNS1_9scan_implILNS1_25lookback_scan_determinismE0ELb1ELb1ES3_N6thrust23THRUST_200600_302600_NS6detail15normal_iteratorINS9_10device_ptrIxEEEENS9_16discard_iteratorINS9_11use_defaultEEEx11max_functorIxExEEDaPvRmT3_T4_T5_mT6_P12ihipStream_tbENKUlT_T0_E_clISt17integral_constantIbLb1EESW_IbLb0EEEEDaSS_ST_EUlSS_E0_NS1_11comp_targetILNS1_3genE10ELNS1_11target_archE1200ELNS1_3gpuE4ELNS1_3repE0EEENS1_30default_config_static_selectorELNS0_4arch9wavefront6targetE1EEEvT1_,comdat
	.protected	_ZN7rocprim17ROCPRIM_400000_NS6detail17trampoline_kernelINS0_14default_configENS1_20scan_config_selectorIxEEZZNS1_9scan_implILNS1_25lookback_scan_determinismE0ELb1ELb1ES3_N6thrust23THRUST_200600_302600_NS6detail15normal_iteratorINS9_10device_ptrIxEEEENS9_16discard_iteratorINS9_11use_defaultEEEx11max_functorIxExEEDaPvRmT3_T4_T5_mT6_P12ihipStream_tbENKUlT_T0_E_clISt17integral_constantIbLb1EESW_IbLb0EEEEDaSS_ST_EUlSS_E0_NS1_11comp_targetILNS1_3genE10ELNS1_11target_archE1200ELNS1_3gpuE4ELNS1_3repE0EEENS1_30default_config_static_selectorELNS0_4arch9wavefront6targetE1EEEvT1_ ; -- Begin function _ZN7rocprim17ROCPRIM_400000_NS6detail17trampoline_kernelINS0_14default_configENS1_20scan_config_selectorIxEEZZNS1_9scan_implILNS1_25lookback_scan_determinismE0ELb1ELb1ES3_N6thrust23THRUST_200600_302600_NS6detail15normal_iteratorINS9_10device_ptrIxEEEENS9_16discard_iteratorINS9_11use_defaultEEEx11max_functorIxExEEDaPvRmT3_T4_T5_mT6_P12ihipStream_tbENKUlT_T0_E_clISt17integral_constantIbLb1EESW_IbLb0EEEEDaSS_ST_EUlSS_E0_NS1_11comp_targetILNS1_3genE10ELNS1_11target_archE1200ELNS1_3gpuE4ELNS1_3repE0EEENS1_30default_config_static_selectorELNS0_4arch9wavefront6targetE1EEEvT1_
	.globl	_ZN7rocprim17ROCPRIM_400000_NS6detail17trampoline_kernelINS0_14default_configENS1_20scan_config_selectorIxEEZZNS1_9scan_implILNS1_25lookback_scan_determinismE0ELb1ELb1ES3_N6thrust23THRUST_200600_302600_NS6detail15normal_iteratorINS9_10device_ptrIxEEEENS9_16discard_iteratorINS9_11use_defaultEEEx11max_functorIxExEEDaPvRmT3_T4_T5_mT6_P12ihipStream_tbENKUlT_T0_E_clISt17integral_constantIbLb1EESW_IbLb0EEEEDaSS_ST_EUlSS_E0_NS1_11comp_targetILNS1_3genE10ELNS1_11target_archE1200ELNS1_3gpuE4ELNS1_3repE0EEENS1_30default_config_static_selectorELNS0_4arch9wavefront6targetE1EEEvT1_
	.p2align	8
	.type	_ZN7rocprim17ROCPRIM_400000_NS6detail17trampoline_kernelINS0_14default_configENS1_20scan_config_selectorIxEEZZNS1_9scan_implILNS1_25lookback_scan_determinismE0ELb1ELb1ES3_N6thrust23THRUST_200600_302600_NS6detail15normal_iteratorINS9_10device_ptrIxEEEENS9_16discard_iteratorINS9_11use_defaultEEEx11max_functorIxExEEDaPvRmT3_T4_T5_mT6_P12ihipStream_tbENKUlT_T0_E_clISt17integral_constantIbLb1EESW_IbLb0EEEEDaSS_ST_EUlSS_E0_NS1_11comp_targetILNS1_3genE10ELNS1_11target_archE1200ELNS1_3gpuE4ELNS1_3repE0EEENS1_30default_config_static_selectorELNS0_4arch9wavefront6targetE1EEEvT1_,@function
_ZN7rocprim17ROCPRIM_400000_NS6detail17trampoline_kernelINS0_14default_configENS1_20scan_config_selectorIxEEZZNS1_9scan_implILNS1_25lookback_scan_determinismE0ELb1ELb1ES3_N6thrust23THRUST_200600_302600_NS6detail15normal_iteratorINS9_10device_ptrIxEEEENS9_16discard_iteratorINS9_11use_defaultEEEx11max_functorIxExEEDaPvRmT3_T4_T5_mT6_P12ihipStream_tbENKUlT_T0_E_clISt17integral_constantIbLb1EESW_IbLb0EEEEDaSS_ST_EUlSS_E0_NS1_11comp_targetILNS1_3genE10ELNS1_11target_archE1200ELNS1_3gpuE4ELNS1_3repE0EEENS1_30default_config_static_selectorELNS0_4arch9wavefront6targetE1EEEvT1_: ; @_ZN7rocprim17ROCPRIM_400000_NS6detail17trampoline_kernelINS0_14default_configENS1_20scan_config_selectorIxEEZZNS1_9scan_implILNS1_25lookback_scan_determinismE0ELb1ELb1ES3_N6thrust23THRUST_200600_302600_NS6detail15normal_iteratorINS9_10device_ptrIxEEEENS9_16discard_iteratorINS9_11use_defaultEEEx11max_functorIxExEEDaPvRmT3_T4_T5_mT6_P12ihipStream_tbENKUlT_T0_E_clISt17integral_constantIbLb1EESW_IbLb0EEEEDaSS_ST_EUlSS_E0_NS1_11comp_targetILNS1_3genE10ELNS1_11target_archE1200ELNS1_3gpuE4ELNS1_3repE0EEENS1_30default_config_static_selectorELNS0_4arch9wavefront6targetE1EEEvT1_
; %bb.0:
	.section	.rodata,"a",@progbits
	.p2align	6, 0x0
	.amdhsa_kernel _ZN7rocprim17ROCPRIM_400000_NS6detail17trampoline_kernelINS0_14default_configENS1_20scan_config_selectorIxEEZZNS1_9scan_implILNS1_25lookback_scan_determinismE0ELb1ELb1ES3_N6thrust23THRUST_200600_302600_NS6detail15normal_iteratorINS9_10device_ptrIxEEEENS9_16discard_iteratorINS9_11use_defaultEEEx11max_functorIxExEEDaPvRmT3_T4_T5_mT6_P12ihipStream_tbENKUlT_T0_E_clISt17integral_constantIbLb1EESW_IbLb0EEEEDaSS_ST_EUlSS_E0_NS1_11comp_targetILNS1_3genE10ELNS1_11target_archE1200ELNS1_3gpuE4ELNS1_3repE0EEENS1_30default_config_static_selectorELNS0_4arch9wavefront6targetE1EEEvT1_
		.amdhsa_group_segment_fixed_size 0
		.amdhsa_private_segment_fixed_size 0
		.amdhsa_kernarg_size 48
		.amdhsa_user_sgpr_count 6
		.amdhsa_user_sgpr_private_segment_buffer 1
		.amdhsa_user_sgpr_dispatch_ptr 0
		.amdhsa_user_sgpr_queue_ptr 0
		.amdhsa_user_sgpr_kernarg_segment_ptr 1
		.amdhsa_user_sgpr_dispatch_id 0
		.amdhsa_user_sgpr_flat_scratch_init 0
		.amdhsa_user_sgpr_kernarg_preload_length 0
		.amdhsa_user_sgpr_kernarg_preload_offset 0
		.amdhsa_user_sgpr_private_segment_size 0
		.amdhsa_uses_dynamic_stack 0
		.amdhsa_system_sgpr_private_segment_wavefront_offset 0
		.amdhsa_system_sgpr_workgroup_id_x 1
		.amdhsa_system_sgpr_workgroup_id_y 0
		.amdhsa_system_sgpr_workgroup_id_z 0
		.amdhsa_system_sgpr_workgroup_info 0
		.amdhsa_system_vgpr_workitem_id 0
		.amdhsa_next_free_vgpr 1
		.amdhsa_next_free_sgpr 0
		.amdhsa_accum_offset 4
		.amdhsa_reserve_vcc 0
		.amdhsa_reserve_flat_scratch 0
		.amdhsa_float_round_mode_32 0
		.amdhsa_float_round_mode_16_64 0
		.amdhsa_float_denorm_mode_32 3
		.amdhsa_float_denorm_mode_16_64 3
		.amdhsa_dx10_clamp 1
		.amdhsa_ieee_mode 1
		.amdhsa_fp16_overflow 0
		.amdhsa_tg_split 0
		.amdhsa_exception_fp_ieee_invalid_op 0
		.amdhsa_exception_fp_denorm_src 0
		.amdhsa_exception_fp_ieee_div_zero 0
		.amdhsa_exception_fp_ieee_overflow 0
		.amdhsa_exception_fp_ieee_underflow 0
		.amdhsa_exception_fp_ieee_inexact 0
		.amdhsa_exception_int_div_zero 0
	.end_amdhsa_kernel
	.section	.text._ZN7rocprim17ROCPRIM_400000_NS6detail17trampoline_kernelINS0_14default_configENS1_20scan_config_selectorIxEEZZNS1_9scan_implILNS1_25lookback_scan_determinismE0ELb1ELb1ES3_N6thrust23THRUST_200600_302600_NS6detail15normal_iteratorINS9_10device_ptrIxEEEENS9_16discard_iteratorINS9_11use_defaultEEEx11max_functorIxExEEDaPvRmT3_T4_T5_mT6_P12ihipStream_tbENKUlT_T0_E_clISt17integral_constantIbLb1EESW_IbLb0EEEEDaSS_ST_EUlSS_E0_NS1_11comp_targetILNS1_3genE10ELNS1_11target_archE1200ELNS1_3gpuE4ELNS1_3repE0EEENS1_30default_config_static_selectorELNS0_4arch9wavefront6targetE1EEEvT1_,"axG",@progbits,_ZN7rocprim17ROCPRIM_400000_NS6detail17trampoline_kernelINS0_14default_configENS1_20scan_config_selectorIxEEZZNS1_9scan_implILNS1_25lookback_scan_determinismE0ELb1ELb1ES3_N6thrust23THRUST_200600_302600_NS6detail15normal_iteratorINS9_10device_ptrIxEEEENS9_16discard_iteratorINS9_11use_defaultEEEx11max_functorIxExEEDaPvRmT3_T4_T5_mT6_P12ihipStream_tbENKUlT_T0_E_clISt17integral_constantIbLb1EESW_IbLb0EEEEDaSS_ST_EUlSS_E0_NS1_11comp_targetILNS1_3genE10ELNS1_11target_archE1200ELNS1_3gpuE4ELNS1_3repE0EEENS1_30default_config_static_selectorELNS0_4arch9wavefront6targetE1EEEvT1_,comdat
.Lfunc_end3833:
	.size	_ZN7rocprim17ROCPRIM_400000_NS6detail17trampoline_kernelINS0_14default_configENS1_20scan_config_selectorIxEEZZNS1_9scan_implILNS1_25lookback_scan_determinismE0ELb1ELb1ES3_N6thrust23THRUST_200600_302600_NS6detail15normal_iteratorINS9_10device_ptrIxEEEENS9_16discard_iteratorINS9_11use_defaultEEEx11max_functorIxExEEDaPvRmT3_T4_T5_mT6_P12ihipStream_tbENKUlT_T0_E_clISt17integral_constantIbLb1EESW_IbLb0EEEEDaSS_ST_EUlSS_E0_NS1_11comp_targetILNS1_3genE10ELNS1_11target_archE1200ELNS1_3gpuE4ELNS1_3repE0EEENS1_30default_config_static_selectorELNS0_4arch9wavefront6targetE1EEEvT1_, .Lfunc_end3833-_ZN7rocprim17ROCPRIM_400000_NS6detail17trampoline_kernelINS0_14default_configENS1_20scan_config_selectorIxEEZZNS1_9scan_implILNS1_25lookback_scan_determinismE0ELb1ELb1ES3_N6thrust23THRUST_200600_302600_NS6detail15normal_iteratorINS9_10device_ptrIxEEEENS9_16discard_iteratorINS9_11use_defaultEEEx11max_functorIxExEEDaPvRmT3_T4_T5_mT6_P12ihipStream_tbENKUlT_T0_E_clISt17integral_constantIbLb1EESW_IbLb0EEEEDaSS_ST_EUlSS_E0_NS1_11comp_targetILNS1_3genE10ELNS1_11target_archE1200ELNS1_3gpuE4ELNS1_3repE0EEENS1_30default_config_static_selectorELNS0_4arch9wavefront6targetE1EEEvT1_
                                        ; -- End function
	.section	.AMDGPU.csdata,"",@progbits
; Kernel info:
; codeLenInByte = 0
; NumSgprs: 4
; NumVgprs: 0
; NumAgprs: 0
; TotalNumVgprs: 0
; ScratchSize: 0
; MemoryBound: 0
; FloatMode: 240
; IeeeMode: 1
; LDSByteSize: 0 bytes/workgroup (compile time only)
; SGPRBlocks: 0
; VGPRBlocks: 0
; NumSGPRsForWavesPerEU: 4
; NumVGPRsForWavesPerEU: 1
; AccumOffset: 4
; Occupancy: 8
; WaveLimiterHint : 0
; COMPUTE_PGM_RSRC2:SCRATCH_EN: 0
; COMPUTE_PGM_RSRC2:USER_SGPR: 6
; COMPUTE_PGM_RSRC2:TRAP_HANDLER: 0
; COMPUTE_PGM_RSRC2:TGID_X_EN: 1
; COMPUTE_PGM_RSRC2:TGID_Y_EN: 0
; COMPUTE_PGM_RSRC2:TGID_Z_EN: 0
; COMPUTE_PGM_RSRC2:TIDIG_COMP_CNT: 0
; COMPUTE_PGM_RSRC3_GFX90A:ACCUM_OFFSET: 0
; COMPUTE_PGM_RSRC3_GFX90A:TG_SPLIT: 0
	.section	.text._ZN7rocprim17ROCPRIM_400000_NS6detail17trampoline_kernelINS0_14default_configENS1_20scan_config_selectorIxEEZZNS1_9scan_implILNS1_25lookback_scan_determinismE0ELb1ELb1ES3_N6thrust23THRUST_200600_302600_NS6detail15normal_iteratorINS9_10device_ptrIxEEEENS9_16discard_iteratorINS9_11use_defaultEEEx11max_functorIxExEEDaPvRmT3_T4_T5_mT6_P12ihipStream_tbENKUlT_T0_E_clISt17integral_constantIbLb1EESW_IbLb0EEEEDaSS_ST_EUlSS_E0_NS1_11comp_targetILNS1_3genE9ELNS1_11target_archE1100ELNS1_3gpuE3ELNS1_3repE0EEENS1_30default_config_static_selectorELNS0_4arch9wavefront6targetE1EEEvT1_,"axG",@progbits,_ZN7rocprim17ROCPRIM_400000_NS6detail17trampoline_kernelINS0_14default_configENS1_20scan_config_selectorIxEEZZNS1_9scan_implILNS1_25lookback_scan_determinismE0ELb1ELb1ES3_N6thrust23THRUST_200600_302600_NS6detail15normal_iteratorINS9_10device_ptrIxEEEENS9_16discard_iteratorINS9_11use_defaultEEEx11max_functorIxExEEDaPvRmT3_T4_T5_mT6_P12ihipStream_tbENKUlT_T0_E_clISt17integral_constantIbLb1EESW_IbLb0EEEEDaSS_ST_EUlSS_E0_NS1_11comp_targetILNS1_3genE9ELNS1_11target_archE1100ELNS1_3gpuE3ELNS1_3repE0EEENS1_30default_config_static_selectorELNS0_4arch9wavefront6targetE1EEEvT1_,comdat
	.protected	_ZN7rocprim17ROCPRIM_400000_NS6detail17trampoline_kernelINS0_14default_configENS1_20scan_config_selectorIxEEZZNS1_9scan_implILNS1_25lookback_scan_determinismE0ELb1ELb1ES3_N6thrust23THRUST_200600_302600_NS6detail15normal_iteratorINS9_10device_ptrIxEEEENS9_16discard_iteratorINS9_11use_defaultEEEx11max_functorIxExEEDaPvRmT3_T4_T5_mT6_P12ihipStream_tbENKUlT_T0_E_clISt17integral_constantIbLb1EESW_IbLb0EEEEDaSS_ST_EUlSS_E0_NS1_11comp_targetILNS1_3genE9ELNS1_11target_archE1100ELNS1_3gpuE3ELNS1_3repE0EEENS1_30default_config_static_selectorELNS0_4arch9wavefront6targetE1EEEvT1_ ; -- Begin function _ZN7rocprim17ROCPRIM_400000_NS6detail17trampoline_kernelINS0_14default_configENS1_20scan_config_selectorIxEEZZNS1_9scan_implILNS1_25lookback_scan_determinismE0ELb1ELb1ES3_N6thrust23THRUST_200600_302600_NS6detail15normal_iteratorINS9_10device_ptrIxEEEENS9_16discard_iteratorINS9_11use_defaultEEEx11max_functorIxExEEDaPvRmT3_T4_T5_mT6_P12ihipStream_tbENKUlT_T0_E_clISt17integral_constantIbLb1EESW_IbLb0EEEEDaSS_ST_EUlSS_E0_NS1_11comp_targetILNS1_3genE9ELNS1_11target_archE1100ELNS1_3gpuE3ELNS1_3repE0EEENS1_30default_config_static_selectorELNS0_4arch9wavefront6targetE1EEEvT1_
	.globl	_ZN7rocprim17ROCPRIM_400000_NS6detail17trampoline_kernelINS0_14default_configENS1_20scan_config_selectorIxEEZZNS1_9scan_implILNS1_25lookback_scan_determinismE0ELb1ELb1ES3_N6thrust23THRUST_200600_302600_NS6detail15normal_iteratorINS9_10device_ptrIxEEEENS9_16discard_iteratorINS9_11use_defaultEEEx11max_functorIxExEEDaPvRmT3_T4_T5_mT6_P12ihipStream_tbENKUlT_T0_E_clISt17integral_constantIbLb1EESW_IbLb0EEEEDaSS_ST_EUlSS_E0_NS1_11comp_targetILNS1_3genE9ELNS1_11target_archE1100ELNS1_3gpuE3ELNS1_3repE0EEENS1_30default_config_static_selectorELNS0_4arch9wavefront6targetE1EEEvT1_
	.p2align	8
	.type	_ZN7rocprim17ROCPRIM_400000_NS6detail17trampoline_kernelINS0_14default_configENS1_20scan_config_selectorIxEEZZNS1_9scan_implILNS1_25lookback_scan_determinismE0ELb1ELb1ES3_N6thrust23THRUST_200600_302600_NS6detail15normal_iteratorINS9_10device_ptrIxEEEENS9_16discard_iteratorINS9_11use_defaultEEEx11max_functorIxExEEDaPvRmT3_T4_T5_mT6_P12ihipStream_tbENKUlT_T0_E_clISt17integral_constantIbLb1EESW_IbLb0EEEEDaSS_ST_EUlSS_E0_NS1_11comp_targetILNS1_3genE9ELNS1_11target_archE1100ELNS1_3gpuE3ELNS1_3repE0EEENS1_30default_config_static_selectorELNS0_4arch9wavefront6targetE1EEEvT1_,@function
_ZN7rocprim17ROCPRIM_400000_NS6detail17trampoline_kernelINS0_14default_configENS1_20scan_config_selectorIxEEZZNS1_9scan_implILNS1_25lookback_scan_determinismE0ELb1ELb1ES3_N6thrust23THRUST_200600_302600_NS6detail15normal_iteratorINS9_10device_ptrIxEEEENS9_16discard_iteratorINS9_11use_defaultEEEx11max_functorIxExEEDaPvRmT3_T4_T5_mT6_P12ihipStream_tbENKUlT_T0_E_clISt17integral_constantIbLb1EESW_IbLb0EEEEDaSS_ST_EUlSS_E0_NS1_11comp_targetILNS1_3genE9ELNS1_11target_archE1100ELNS1_3gpuE3ELNS1_3repE0EEENS1_30default_config_static_selectorELNS0_4arch9wavefront6targetE1EEEvT1_: ; @_ZN7rocprim17ROCPRIM_400000_NS6detail17trampoline_kernelINS0_14default_configENS1_20scan_config_selectorIxEEZZNS1_9scan_implILNS1_25lookback_scan_determinismE0ELb1ELb1ES3_N6thrust23THRUST_200600_302600_NS6detail15normal_iteratorINS9_10device_ptrIxEEEENS9_16discard_iteratorINS9_11use_defaultEEEx11max_functorIxExEEDaPvRmT3_T4_T5_mT6_P12ihipStream_tbENKUlT_T0_E_clISt17integral_constantIbLb1EESW_IbLb0EEEEDaSS_ST_EUlSS_E0_NS1_11comp_targetILNS1_3genE9ELNS1_11target_archE1100ELNS1_3gpuE3ELNS1_3repE0EEENS1_30default_config_static_selectorELNS0_4arch9wavefront6targetE1EEEvT1_
; %bb.0:
	.section	.rodata,"a",@progbits
	.p2align	6, 0x0
	.amdhsa_kernel _ZN7rocprim17ROCPRIM_400000_NS6detail17trampoline_kernelINS0_14default_configENS1_20scan_config_selectorIxEEZZNS1_9scan_implILNS1_25lookback_scan_determinismE0ELb1ELb1ES3_N6thrust23THRUST_200600_302600_NS6detail15normal_iteratorINS9_10device_ptrIxEEEENS9_16discard_iteratorINS9_11use_defaultEEEx11max_functorIxExEEDaPvRmT3_T4_T5_mT6_P12ihipStream_tbENKUlT_T0_E_clISt17integral_constantIbLb1EESW_IbLb0EEEEDaSS_ST_EUlSS_E0_NS1_11comp_targetILNS1_3genE9ELNS1_11target_archE1100ELNS1_3gpuE3ELNS1_3repE0EEENS1_30default_config_static_selectorELNS0_4arch9wavefront6targetE1EEEvT1_
		.amdhsa_group_segment_fixed_size 0
		.amdhsa_private_segment_fixed_size 0
		.amdhsa_kernarg_size 48
		.amdhsa_user_sgpr_count 6
		.amdhsa_user_sgpr_private_segment_buffer 1
		.amdhsa_user_sgpr_dispatch_ptr 0
		.amdhsa_user_sgpr_queue_ptr 0
		.amdhsa_user_sgpr_kernarg_segment_ptr 1
		.amdhsa_user_sgpr_dispatch_id 0
		.amdhsa_user_sgpr_flat_scratch_init 0
		.amdhsa_user_sgpr_kernarg_preload_length 0
		.amdhsa_user_sgpr_kernarg_preload_offset 0
		.amdhsa_user_sgpr_private_segment_size 0
		.amdhsa_uses_dynamic_stack 0
		.amdhsa_system_sgpr_private_segment_wavefront_offset 0
		.amdhsa_system_sgpr_workgroup_id_x 1
		.amdhsa_system_sgpr_workgroup_id_y 0
		.amdhsa_system_sgpr_workgroup_id_z 0
		.amdhsa_system_sgpr_workgroup_info 0
		.amdhsa_system_vgpr_workitem_id 0
		.amdhsa_next_free_vgpr 1
		.amdhsa_next_free_sgpr 0
		.amdhsa_accum_offset 4
		.amdhsa_reserve_vcc 0
		.amdhsa_reserve_flat_scratch 0
		.amdhsa_float_round_mode_32 0
		.amdhsa_float_round_mode_16_64 0
		.amdhsa_float_denorm_mode_32 3
		.amdhsa_float_denorm_mode_16_64 3
		.amdhsa_dx10_clamp 1
		.amdhsa_ieee_mode 1
		.amdhsa_fp16_overflow 0
		.amdhsa_tg_split 0
		.amdhsa_exception_fp_ieee_invalid_op 0
		.amdhsa_exception_fp_denorm_src 0
		.amdhsa_exception_fp_ieee_div_zero 0
		.amdhsa_exception_fp_ieee_overflow 0
		.amdhsa_exception_fp_ieee_underflow 0
		.amdhsa_exception_fp_ieee_inexact 0
		.amdhsa_exception_int_div_zero 0
	.end_amdhsa_kernel
	.section	.text._ZN7rocprim17ROCPRIM_400000_NS6detail17trampoline_kernelINS0_14default_configENS1_20scan_config_selectorIxEEZZNS1_9scan_implILNS1_25lookback_scan_determinismE0ELb1ELb1ES3_N6thrust23THRUST_200600_302600_NS6detail15normal_iteratorINS9_10device_ptrIxEEEENS9_16discard_iteratorINS9_11use_defaultEEEx11max_functorIxExEEDaPvRmT3_T4_T5_mT6_P12ihipStream_tbENKUlT_T0_E_clISt17integral_constantIbLb1EESW_IbLb0EEEEDaSS_ST_EUlSS_E0_NS1_11comp_targetILNS1_3genE9ELNS1_11target_archE1100ELNS1_3gpuE3ELNS1_3repE0EEENS1_30default_config_static_selectorELNS0_4arch9wavefront6targetE1EEEvT1_,"axG",@progbits,_ZN7rocprim17ROCPRIM_400000_NS6detail17trampoline_kernelINS0_14default_configENS1_20scan_config_selectorIxEEZZNS1_9scan_implILNS1_25lookback_scan_determinismE0ELb1ELb1ES3_N6thrust23THRUST_200600_302600_NS6detail15normal_iteratorINS9_10device_ptrIxEEEENS9_16discard_iteratorINS9_11use_defaultEEEx11max_functorIxExEEDaPvRmT3_T4_T5_mT6_P12ihipStream_tbENKUlT_T0_E_clISt17integral_constantIbLb1EESW_IbLb0EEEEDaSS_ST_EUlSS_E0_NS1_11comp_targetILNS1_3genE9ELNS1_11target_archE1100ELNS1_3gpuE3ELNS1_3repE0EEENS1_30default_config_static_selectorELNS0_4arch9wavefront6targetE1EEEvT1_,comdat
.Lfunc_end3834:
	.size	_ZN7rocprim17ROCPRIM_400000_NS6detail17trampoline_kernelINS0_14default_configENS1_20scan_config_selectorIxEEZZNS1_9scan_implILNS1_25lookback_scan_determinismE0ELb1ELb1ES3_N6thrust23THRUST_200600_302600_NS6detail15normal_iteratorINS9_10device_ptrIxEEEENS9_16discard_iteratorINS9_11use_defaultEEEx11max_functorIxExEEDaPvRmT3_T4_T5_mT6_P12ihipStream_tbENKUlT_T0_E_clISt17integral_constantIbLb1EESW_IbLb0EEEEDaSS_ST_EUlSS_E0_NS1_11comp_targetILNS1_3genE9ELNS1_11target_archE1100ELNS1_3gpuE3ELNS1_3repE0EEENS1_30default_config_static_selectorELNS0_4arch9wavefront6targetE1EEEvT1_, .Lfunc_end3834-_ZN7rocprim17ROCPRIM_400000_NS6detail17trampoline_kernelINS0_14default_configENS1_20scan_config_selectorIxEEZZNS1_9scan_implILNS1_25lookback_scan_determinismE0ELb1ELb1ES3_N6thrust23THRUST_200600_302600_NS6detail15normal_iteratorINS9_10device_ptrIxEEEENS9_16discard_iteratorINS9_11use_defaultEEEx11max_functorIxExEEDaPvRmT3_T4_T5_mT6_P12ihipStream_tbENKUlT_T0_E_clISt17integral_constantIbLb1EESW_IbLb0EEEEDaSS_ST_EUlSS_E0_NS1_11comp_targetILNS1_3genE9ELNS1_11target_archE1100ELNS1_3gpuE3ELNS1_3repE0EEENS1_30default_config_static_selectorELNS0_4arch9wavefront6targetE1EEEvT1_
                                        ; -- End function
	.section	.AMDGPU.csdata,"",@progbits
; Kernel info:
; codeLenInByte = 0
; NumSgprs: 4
; NumVgprs: 0
; NumAgprs: 0
; TotalNumVgprs: 0
; ScratchSize: 0
; MemoryBound: 0
; FloatMode: 240
; IeeeMode: 1
; LDSByteSize: 0 bytes/workgroup (compile time only)
; SGPRBlocks: 0
; VGPRBlocks: 0
; NumSGPRsForWavesPerEU: 4
; NumVGPRsForWavesPerEU: 1
; AccumOffset: 4
; Occupancy: 8
; WaveLimiterHint : 0
; COMPUTE_PGM_RSRC2:SCRATCH_EN: 0
; COMPUTE_PGM_RSRC2:USER_SGPR: 6
; COMPUTE_PGM_RSRC2:TRAP_HANDLER: 0
; COMPUTE_PGM_RSRC2:TGID_X_EN: 1
; COMPUTE_PGM_RSRC2:TGID_Y_EN: 0
; COMPUTE_PGM_RSRC2:TGID_Z_EN: 0
; COMPUTE_PGM_RSRC2:TIDIG_COMP_CNT: 0
; COMPUTE_PGM_RSRC3_GFX90A:ACCUM_OFFSET: 0
; COMPUTE_PGM_RSRC3_GFX90A:TG_SPLIT: 0
	.section	.text._ZN7rocprim17ROCPRIM_400000_NS6detail17trampoline_kernelINS0_14default_configENS1_20scan_config_selectorIxEEZZNS1_9scan_implILNS1_25lookback_scan_determinismE0ELb1ELb1ES3_N6thrust23THRUST_200600_302600_NS6detail15normal_iteratorINS9_10device_ptrIxEEEENS9_16discard_iteratorINS9_11use_defaultEEEx11max_functorIxExEEDaPvRmT3_T4_T5_mT6_P12ihipStream_tbENKUlT_T0_E_clISt17integral_constantIbLb1EESW_IbLb0EEEEDaSS_ST_EUlSS_E0_NS1_11comp_targetILNS1_3genE8ELNS1_11target_archE1030ELNS1_3gpuE2ELNS1_3repE0EEENS1_30default_config_static_selectorELNS0_4arch9wavefront6targetE1EEEvT1_,"axG",@progbits,_ZN7rocprim17ROCPRIM_400000_NS6detail17trampoline_kernelINS0_14default_configENS1_20scan_config_selectorIxEEZZNS1_9scan_implILNS1_25lookback_scan_determinismE0ELb1ELb1ES3_N6thrust23THRUST_200600_302600_NS6detail15normal_iteratorINS9_10device_ptrIxEEEENS9_16discard_iteratorINS9_11use_defaultEEEx11max_functorIxExEEDaPvRmT3_T4_T5_mT6_P12ihipStream_tbENKUlT_T0_E_clISt17integral_constantIbLb1EESW_IbLb0EEEEDaSS_ST_EUlSS_E0_NS1_11comp_targetILNS1_3genE8ELNS1_11target_archE1030ELNS1_3gpuE2ELNS1_3repE0EEENS1_30default_config_static_selectorELNS0_4arch9wavefront6targetE1EEEvT1_,comdat
	.protected	_ZN7rocprim17ROCPRIM_400000_NS6detail17trampoline_kernelINS0_14default_configENS1_20scan_config_selectorIxEEZZNS1_9scan_implILNS1_25lookback_scan_determinismE0ELb1ELb1ES3_N6thrust23THRUST_200600_302600_NS6detail15normal_iteratorINS9_10device_ptrIxEEEENS9_16discard_iteratorINS9_11use_defaultEEEx11max_functorIxExEEDaPvRmT3_T4_T5_mT6_P12ihipStream_tbENKUlT_T0_E_clISt17integral_constantIbLb1EESW_IbLb0EEEEDaSS_ST_EUlSS_E0_NS1_11comp_targetILNS1_3genE8ELNS1_11target_archE1030ELNS1_3gpuE2ELNS1_3repE0EEENS1_30default_config_static_selectorELNS0_4arch9wavefront6targetE1EEEvT1_ ; -- Begin function _ZN7rocprim17ROCPRIM_400000_NS6detail17trampoline_kernelINS0_14default_configENS1_20scan_config_selectorIxEEZZNS1_9scan_implILNS1_25lookback_scan_determinismE0ELb1ELb1ES3_N6thrust23THRUST_200600_302600_NS6detail15normal_iteratorINS9_10device_ptrIxEEEENS9_16discard_iteratorINS9_11use_defaultEEEx11max_functorIxExEEDaPvRmT3_T4_T5_mT6_P12ihipStream_tbENKUlT_T0_E_clISt17integral_constantIbLb1EESW_IbLb0EEEEDaSS_ST_EUlSS_E0_NS1_11comp_targetILNS1_3genE8ELNS1_11target_archE1030ELNS1_3gpuE2ELNS1_3repE0EEENS1_30default_config_static_selectorELNS0_4arch9wavefront6targetE1EEEvT1_
	.globl	_ZN7rocprim17ROCPRIM_400000_NS6detail17trampoline_kernelINS0_14default_configENS1_20scan_config_selectorIxEEZZNS1_9scan_implILNS1_25lookback_scan_determinismE0ELb1ELb1ES3_N6thrust23THRUST_200600_302600_NS6detail15normal_iteratorINS9_10device_ptrIxEEEENS9_16discard_iteratorINS9_11use_defaultEEEx11max_functorIxExEEDaPvRmT3_T4_T5_mT6_P12ihipStream_tbENKUlT_T0_E_clISt17integral_constantIbLb1EESW_IbLb0EEEEDaSS_ST_EUlSS_E0_NS1_11comp_targetILNS1_3genE8ELNS1_11target_archE1030ELNS1_3gpuE2ELNS1_3repE0EEENS1_30default_config_static_selectorELNS0_4arch9wavefront6targetE1EEEvT1_
	.p2align	8
	.type	_ZN7rocprim17ROCPRIM_400000_NS6detail17trampoline_kernelINS0_14default_configENS1_20scan_config_selectorIxEEZZNS1_9scan_implILNS1_25lookback_scan_determinismE0ELb1ELb1ES3_N6thrust23THRUST_200600_302600_NS6detail15normal_iteratorINS9_10device_ptrIxEEEENS9_16discard_iteratorINS9_11use_defaultEEEx11max_functorIxExEEDaPvRmT3_T4_T5_mT6_P12ihipStream_tbENKUlT_T0_E_clISt17integral_constantIbLb1EESW_IbLb0EEEEDaSS_ST_EUlSS_E0_NS1_11comp_targetILNS1_3genE8ELNS1_11target_archE1030ELNS1_3gpuE2ELNS1_3repE0EEENS1_30default_config_static_selectorELNS0_4arch9wavefront6targetE1EEEvT1_,@function
_ZN7rocprim17ROCPRIM_400000_NS6detail17trampoline_kernelINS0_14default_configENS1_20scan_config_selectorIxEEZZNS1_9scan_implILNS1_25lookback_scan_determinismE0ELb1ELb1ES3_N6thrust23THRUST_200600_302600_NS6detail15normal_iteratorINS9_10device_ptrIxEEEENS9_16discard_iteratorINS9_11use_defaultEEEx11max_functorIxExEEDaPvRmT3_T4_T5_mT6_P12ihipStream_tbENKUlT_T0_E_clISt17integral_constantIbLb1EESW_IbLb0EEEEDaSS_ST_EUlSS_E0_NS1_11comp_targetILNS1_3genE8ELNS1_11target_archE1030ELNS1_3gpuE2ELNS1_3repE0EEENS1_30default_config_static_selectorELNS0_4arch9wavefront6targetE1EEEvT1_: ; @_ZN7rocprim17ROCPRIM_400000_NS6detail17trampoline_kernelINS0_14default_configENS1_20scan_config_selectorIxEEZZNS1_9scan_implILNS1_25lookback_scan_determinismE0ELb1ELb1ES3_N6thrust23THRUST_200600_302600_NS6detail15normal_iteratorINS9_10device_ptrIxEEEENS9_16discard_iteratorINS9_11use_defaultEEEx11max_functorIxExEEDaPvRmT3_T4_T5_mT6_P12ihipStream_tbENKUlT_T0_E_clISt17integral_constantIbLb1EESW_IbLb0EEEEDaSS_ST_EUlSS_E0_NS1_11comp_targetILNS1_3genE8ELNS1_11target_archE1030ELNS1_3gpuE2ELNS1_3repE0EEENS1_30default_config_static_selectorELNS0_4arch9wavefront6targetE1EEEvT1_
; %bb.0:
	.section	.rodata,"a",@progbits
	.p2align	6, 0x0
	.amdhsa_kernel _ZN7rocprim17ROCPRIM_400000_NS6detail17trampoline_kernelINS0_14default_configENS1_20scan_config_selectorIxEEZZNS1_9scan_implILNS1_25lookback_scan_determinismE0ELb1ELb1ES3_N6thrust23THRUST_200600_302600_NS6detail15normal_iteratorINS9_10device_ptrIxEEEENS9_16discard_iteratorINS9_11use_defaultEEEx11max_functorIxExEEDaPvRmT3_T4_T5_mT6_P12ihipStream_tbENKUlT_T0_E_clISt17integral_constantIbLb1EESW_IbLb0EEEEDaSS_ST_EUlSS_E0_NS1_11comp_targetILNS1_3genE8ELNS1_11target_archE1030ELNS1_3gpuE2ELNS1_3repE0EEENS1_30default_config_static_selectorELNS0_4arch9wavefront6targetE1EEEvT1_
		.amdhsa_group_segment_fixed_size 0
		.amdhsa_private_segment_fixed_size 0
		.amdhsa_kernarg_size 48
		.amdhsa_user_sgpr_count 6
		.amdhsa_user_sgpr_private_segment_buffer 1
		.amdhsa_user_sgpr_dispatch_ptr 0
		.amdhsa_user_sgpr_queue_ptr 0
		.amdhsa_user_sgpr_kernarg_segment_ptr 1
		.amdhsa_user_sgpr_dispatch_id 0
		.amdhsa_user_sgpr_flat_scratch_init 0
		.amdhsa_user_sgpr_kernarg_preload_length 0
		.amdhsa_user_sgpr_kernarg_preload_offset 0
		.amdhsa_user_sgpr_private_segment_size 0
		.amdhsa_uses_dynamic_stack 0
		.amdhsa_system_sgpr_private_segment_wavefront_offset 0
		.amdhsa_system_sgpr_workgroup_id_x 1
		.amdhsa_system_sgpr_workgroup_id_y 0
		.amdhsa_system_sgpr_workgroup_id_z 0
		.amdhsa_system_sgpr_workgroup_info 0
		.amdhsa_system_vgpr_workitem_id 0
		.amdhsa_next_free_vgpr 1
		.amdhsa_next_free_sgpr 0
		.amdhsa_accum_offset 4
		.amdhsa_reserve_vcc 0
		.amdhsa_reserve_flat_scratch 0
		.amdhsa_float_round_mode_32 0
		.amdhsa_float_round_mode_16_64 0
		.amdhsa_float_denorm_mode_32 3
		.amdhsa_float_denorm_mode_16_64 3
		.amdhsa_dx10_clamp 1
		.amdhsa_ieee_mode 1
		.amdhsa_fp16_overflow 0
		.amdhsa_tg_split 0
		.amdhsa_exception_fp_ieee_invalid_op 0
		.amdhsa_exception_fp_denorm_src 0
		.amdhsa_exception_fp_ieee_div_zero 0
		.amdhsa_exception_fp_ieee_overflow 0
		.amdhsa_exception_fp_ieee_underflow 0
		.amdhsa_exception_fp_ieee_inexact 0
		.amdhsa_exception_int_div_zero 0
	.end_amdhsa_kernel
	.section	.text._ZN7rocprim17ROCPRIM_400000_NS6detail17trampoline_kernelINS0_14default_configENS1_20scan_config_selectorIxEEZZNS1_9scan_implILNS1_25lookback_scan_determinismE0ELb1ELb1ES3_N6thrust23THRUST_200600_302600_NS6detail15normal_iteratorINS9_10device_ptrIxEEEENS9_16discard_iteratorINS9_11use_defaultEEEx11max_functorIxExEEDaPvRmT3_T4_T5_mT6_P12ihipStream_tbENKUlT_T0_E_clISt17integral_constantIbLb1EESW_IbLb0EEEEDaSS_ST_EUlSS_E0_NS1_11comp_targetILNS1_3genE8ELNS1_11target_archE1030ELNS1_3gpuE2ELNS1_3repE0EEENS1_30default_config_static_selectorELNS0_4arch9wavefront6targetE1EEEvT1_,"axG",@progbits,_ZN7rocprim17ROCPRIM_400000_NS6detail17trampoline_kernelINS0_14default_configENS1_20scan_config_selectorIxEEZZNS1_9scan_implILNS1_25lookback_scan_determinismE0ELb1ELb1ES3_N6thrust23THRUST_200600_302600_NS6detail15normal_iteratorINS9_10device_ptrIxEEEENS9_16discard_iteratorINS9_11use_defaultEEEx11max_functorIxExEEDaPvRmT3_T4_T5_mT6_P12ihipStream_tbENKUlT_T0_E_clISt17integral_constantIbLb1EESW_IbLb0EEEEDaSS_ST_EUlSS_E0_NS1_11comp_targetILNS1_3genE8ELNS1_11target_archE1030ELNS1_3gpuE2ELNS1_3repE0EEENS1_30default_config_static_selectorELNS0_4arch9wavefront6targetE1EEEvT1_,comdat
.Lfunc_end3835:
	.size	_ZN7rocprim17ROCPRIM_400000_NS6detail17trampoline_kernelINS0_14default_configENS1_20scan_config_selectorIxEEZZNS1_9scan_implILNS1_25lookback_scan_determinismE0ELb1ELb1ES3_N6thrust23THRUST_200600_302600_NS6detail15normal_iteratorINS9_10device_ptrIxEEEENS9_16discard_iteratorINS9_11use_defaultEEEx11max_functorIxExEEDaPvRmT3_T4_T5_mT6_P12ihipStream_tbENKUlT_T0_E_clISt17integral_constantIbLb1EESW_IbLb0EEEEDaSS_ST_EUlSS_E0_NS1_11comp_targetILNS1_3genE8ELNS1_11target_archE1030ELNS1_3gpuE2ELNS1_3repE0EEENS1_30default_config_static_selectorELNS0_4arch9wavefront6targetE1EEEvT1_, .Lfunc_end3835-_ZN7rocprim17ROCPRIM_400000_NS6detail17trampoline_kernelINS0_14default_configENS1_20scan_config_selectorIxEEZZNS1_9scan_implILNS1_25lookback_scan_determinismE0ELb1ELb1ES3_N6thrust23THRUST_200600_302600_NS6detail15normal_iteratorINS9_10device_ptrIxEEEENS9_16discard_iteratorINS9_11use_defaultEEEx11max_functorIxExEEDaPvRmT3_T4_T5_mT6_P12ihipStream_tbENKUlT_T0_E_clISt17integral_constantIbLb1EESW_IbLb0EEEEDaSS_ST_EUlSS_E0_NS1_11comp_targetILNS1_3genE8ELNS1_11target_archE1030ELNS1_3gpuE2ELNS1_3repE0EEENS1_30default_config_static_selectorELNS0_4arch9wavefront6targetE1EEEvT1_
                                        ; -- End function
	.section	.AMDGPU.csdata,"",@progbits
; Kernel info:
; codeLenInByte = 0
; NumSgprs: 4
; NumVgprs: 0
; NumAgprs: 0
; TotalNumVgprs: 0
; ScratchSize: 0
; MemoryBound: 0
; FloatMode: 240
; IeeeMode: 1
; LDSByteSize: 0 bytes/workgroup (compile time only)
; SGPRBlocks: 0
; VGPRBlocks: 0
; NumSGPRsForWavesPerEU: 4
; NumVGPRsForWavesPerEU: 1
; AccumOffset: 4
; Occupancy: 8
; WaveLimiterHint : 0
; COMPUTE_PGM_RSRC2:SCRATCH_EN: 0
; COMPUTE_PGM_RSRC2:USER_SGPR: 6
; COMPUTE_PGM_RSRC2:TRAP_HANDLER: 0
; COMPUTE_PGM_RSRC2:TGID_X_EN: 1
; COMPUTE_PGM_RSRC2:TGID_Y_EN: 0
; COMPUTE_PGM_RSRC2:TGID_Z_EN: 0
; COMPUTE_PGM_RSRC2:TIDIG_COMP_CNT: 0
; COMPUTE_PGM_RSRC3_GFX90A:ACCUM_OFFSET: 0
; COMPUTE_PGM_RSRC3_GFX90A:TG_SPLIT: 0
	.section	.text._ZN7rocprim17ROCPRIM_400000_NS6detail17trampoline_kernelINS0_14default_configENS1_20scan_config_selectorIxEEZZNS1_9scan_implILNS1_25lookback_scan_determinismE0ELb1ELb1ES3_N6thrust23THRUST_200600_302600_NS6detail15normal_iteratorINS9_10device_ptrIxEEEENS9_16discard_iteratorINS9_11use_defaultEEEx11max_functorIxExEEDaPvRmT3_T4_T5_mT6_P12ihipStream_tbENKUlT_T0_E_clISt17integral_constantIbLb0EESW_IbLb1EEEEDaSS_ST_EUlSS_E_NS1_11comp_targetILNS1_3genE0ELNS1_11target_archE4294967295ELNS1_3gpuE0ELNS1_3repE0EEENS1_30default_config_static_selectorELNS0_4arch9wavefront6targetE1EEEvT1_,"axG",@progbits,_ZN7rocprim17ROCPRIM_400000_NS6detail17trampoline_kernelINS0_14default_configENS1_20scan_config_selectorIxEEZZNS1_9scan_implILNS1_25lookback_scan_determinismE0ELb1ELb1ES3_N6thrust23THRUST_200600_302600_NS6detail15normal_iteratorINS9_10device_ptrIxEEEENS9_16discard_iteratorINS9_11use_defaultEEEx11max_functorIxExEEDaPvRmT3_T4_T5_mT6_P12ihipStream_tbENKUlT_T0_E_clISt17integral_constantIbLb0EESW_IbLb1EEEEDaSS_ST_EUlSS_E_NS1_11comp_targetILNS1_3genE0ELNS1_11target_archE4294967295ELNS1_3gpuE0ELNS1_3repE0EEENS1_30default_config_static_selectorELNS0_4arch9wavefront6targetE1EEEvT1_,comdat
	.protected	_ZN7rocprim17ROCPRIM_400000_NS6detail17trampoline_kernelINS0_14default_configENS1_20scan_config_selectorIxEEZZNS1_9scan_implILNS1_25lookback_scan_determinismE0ELb1ELb1ES3_N6thrust23THRUST_200600_302600_NS6detail15normal_iteratorINS9_10device_ptrIxEEEENS9_16discard_iteratorINS9_11use_defaultEEEx11max_functorIxExEEDaPvRmT3_T4_T5_mT6_P12ihipStream_tbENKUlT_T0_E_clISt17integral_constantIbLb0EESW_IbLb1EEEEDaSS_ST_EUlSS_E_NS1_11comp_targetILNS1_3genE0ELNS1_11target_archE4294967295ELNS1_3gpuE0ELNS1_3repE0EEENS1_30default_config_static_selectorELNS0_4arch9wavefront6targetE1EEEvT1_ ; -- Begin function _ZN7rocprim17ROCPRIM_400000_NS6detail17trampoline_kernelINS0_14default_configENS1_20scan_config_selectorIxEEZZNS1_9scan_implILNS1_25lookback_scan_determinismE0ELb1ELb1ES3_N6thrust23THRUST_200600_302600_NS6detail15normal_iteratorINS9_10device_ptrIxEEEENS9_16discard_iteratorINS9_11use_defaultEEEx11max_functorIxExEEDaPvRmT3_T4_T5_mT6_P12ihipStream_tbENKUlT_T0_E_clISt17integral_constantIbLb0EESW_IbLb1EEEEDaSS_ST_EUlSS_E_NS1_11comp_targetILNS1_3genE0ELNS1_11target_archE4294967295ELNS1_3gpuE0ELNS1_3repE0EEENS1_30default_config_static_selectorELNS0_4arch9wavefront6targetE1EEEvT1_
	.globl	_ZN7rocprim17ROCPRIM_400000_NS6detail17trampoline_kernelINS0_14default_configENS1_20scan_config_selectorIxEEZZNS1_9scan_implILNS1_25lookback_scan_determinismE0ELb1ELb1ES3_N6thrust23THRUST_200600_302600_NS6detail15normal_iteratorINS9_10device_ptrIxEEEENS9_16discard_iteratorINS9_11use_defaultEEEx11max_functorIxExEEDaPvRmT3_T4_T5_mT6_P12ihipStream_tbENKUlT_T0_E_clISt17integral_constantIbLb0EESW_IbLb1EEEEDaSS_ST_EUlSS_E_NS1_11comp_targetILNS1_3genE0ELNS1_11target_archE4294967295ELNS1_3gpuE0ELNS1_3repE0EEENS1_30default_config_static_selectorELNS0_4arch9wavefront6targetE1EEEvT1_
	.p2align	8
	.type	_ZN7rocprim17ROCPRIM_400000_NS6detail17trampoline_kernelINS0_14default_configENS1_20scan_config_selectorIxEEZZNS1_9scan_implILNS1_25lookback_scan_determinismE0ELb1ELb1ES3_N6thrust23THRUST_200600_302600_NS6detail15normal_iteratorINS9_10device_ptrIxEEEENS9_16discard_iteratorINS9_11use_defaultEEEx11max_functorIxExEEDaPvRmT3_T4_T5_mT6_P12ihipStream_tbENKUlT_T0_E_clISt17integral_constantIbLb0EESW_IbLb1EEEEDaSS_ST_EUlSS_E_NS1_11comp_targetILNS1_3genE0ELNS1_11target_archE4294967295ELNS1_3gpuE0ELNS1_3repE0EEENS1_30default_config_static_selectorELNS0_4arch9wavefront6targetE1EEEvT1_,@function
_ZN7rocprim17ROCPRIM_400000_NS6detail17trampoline_kernelINS0_14default_configENS1_20scan_config_selectorIxEEZZNS1_9scan_implILNS1_25lookback_scan_determinismE0ELb1ELb1ES3_N6thrust23THRUST_200600_302600_NS6detail15normal_iteratorINS9_10device_ptrIxEEEENS9_16discard_iteratorINS9_11use_defaultEEEx11max_functorIxExEEDaPvRmT3_T4_T5_mT6_P12ihipStream_tbENKUlT_T0_E_clISt17integral_constantIbLb0EESW_IbLb1EEEEDaSS_ST_EUlSS_E_NS1_11comp_targetILNS1_3genE0ELNS1_11target_archE4294967295ELNS1_3gpuE0ELNS1_3repE0EEENS1_30default_config_static_selectorELNS0_4arch9wavefront6targetE1EEEvT1_: ; @_ZN7rocprim17ROCPRIM_400000_NS6detail17trampoline_kernelINS0_14default_configENS1_20scan_config_selectorIxEEZZNS1_9scan_implILNS1_25lookback_scan_determinismE0ELb1ELb1ES3_N6thrust23THRUST_200600_302600_NS6detail15normal_iteratorINS9_10device_ptrIxEEEENS9_16discard_iteratorINS9_11use_defaultEEEx11max_functorIxExEEDaPvRmT3_T4_T5_mT6_P12ihipStream_tbENKUlT_T0_E_clISt17integral_constantIbLb0EESW_IbLb1EEEEDaSS_ST_EUlSS_E_NS1_11comp_targetILNS1_3genE0ELNS1_11target_archE4294967295ELNS1_3gpuE0ELNS1_3repE0EEENS1_30default_config_static_selectorELNS0_4arch9wavefront6targetE1EEEvT1_
; %bb.0:
	.section	.rodata,"a",@progbits
	.p2align	6, 0x0
	.amdhsa_kernel _ZN7rocprim17ROCPRIM_400000_NS6detail17trampoline_kernelINS0_14default_configENS1_20scan_config_selectorIxEEZZNS1_9scan_implILNS1_25lookback_scan_determinismE0ELb1ELb1ES3_N6thrust23THRUST_200600_302600_NS6detail15normal_iteratorINS9_10device_ptrIxEEEENS9_16discard_iteratorINS9_11use_defaultEEEx11max_functorIxExEEDaPvRmT3_T4_T5_mT6_P12ihipStream_tbENKUlT_T0_E_clISt17integral_constantIbLb0EESW_IbLb1EEEEDaSS_ST_EUlSS_E_NS1_11comp_targetILNS1_3genE0ELNS1_11target_archE4294967295ELNS1_3gpuE0ELNS1_3repE0EEENS1_30default_config_static_selectorELNS0_4arch9wavefront6targetE1EEEvT1_
		.amdhsa_group_segment_fixed_size 0
		.amdhsa_private_segment_fixed_size 0
		.amdhsa_kernarg_size 112
		.amdhsa_user_sgpr_count 6
		.amdhsa_user_sgpr_private_segment_buffer 1
		.amdhsa_user_sgpr_dispatch_ptr 0
		.amdhsa_user_sgpr_queue_ptr 0
		.amdhsa_user_sgpr_kernarg_segment_ptr 1
		.amdhsa_user_sgpr_dispatch_id 0
		.amdhsa_user_sgpr_flat_scratch_init 0
		.amdhsa_user_sgpr_kernarg_preload_length 0
		.amdhsa_user_sgpr_kernarg_preload_offset 0
		.amdhsa_user_sgpr_private_segment_size 0
		.amdhsa_uses_dynamic_stack 0
		.amdhsa_system_sgpr_private_segment_wavefront_offset 0
		.amdhsa_system_sgpr_workgroup_id_x 1
		.amdhsa_system_sgpr_workgroup_id_y 0
		.amdhsa_system_sgpr_workgroup_id_z 0
		.amdhsa_system_sgpr_workgroup_info 0
		.amdhsa_system_vgpr_workitem_id 0
		.amdhsa_next_free_vgpr 1
		.amdhsa_next_free_sgpr 0
		.amdhsa_accum_offset 4
		.amdhsa_reserve_vcc 0
		.amdhsa_reserve_flat_scratch 0
		.amdhsa_float_round_mode_32 0
		.amdhsa_float_round_mode_16_64 0
		.amdhsa_float_denorm_mode_32 3
		.amdhsa_float_denorm_mode_16_64 3
		.amdhsa_dx10_clamp 1
		.amdhsa_ieee_mode 1
		.amdhsa_fp16_overflow 0
		.amdhsa_tg_split 0
		.amdhsa_exception_fp_ieee_invalid_op 0
		.amdhsa_exception_fp_denorm_src 0
		.amdhsa_exception_fp_ieee_div_zero 0
		.amdhsa_exception_fp_ieee_overflow 0
		.amdhsa_exception_fp_ieee_underflow 0
		.amdhsa_exception_fp_ieee_inexact 0
		.amdhsa_exception_int_div_zero 0
	.end_amdhsa_kernel
	.section	.text._ZN7rocprim17ROCPRIM_400000_NS6detail17trampoline_kernelINS0_14default_configENS1_20scan_config_selectorIxEEZZNS1_9scan_implILNS1_25lookback_scan_determinismE0ELb1ELb1ES3_N6thrust23THRUST_200600_302600_NS6detail15normal_iteratorINS9_10device_ptrIxEEEENS9_16discard_iteratorINS9_11use_defaultEEEx11max_functorIxExEEDaPvRmT3_T4_T5_mT6_P12ihipStream_tbENKUlT_T0_E_clISt17integral_constantIbLb0EESW_IbLb1EEEEDaSS_ST_EUlSS_E_NS1_11comp_targetILNS1_3genE0ELNS1_11target_archE4294967295ELNS1_3gpuE0ELNS1_3repE0EEENS1_30default_config_static_selectorELNS0_4arch9wavefront6targetE1EEEvT1_,"axG",@progbits,_ZN7rocprim17ROCPRIM_400000_NS6detail17trampoline_kernelINS0_14default_configENS1_20scan_config_selectorIxEEZZNS1_9scan_implILNS1_25lookback_scan_determinismE0ELb1ELb1ES3_N6thrust23THRUST_200600_302600_NS6detail15normal_iteratorINS9_10device_ptrIxEEEENS9_16discard_iteratorINS9_11use_defaultEEEx11max_functorIxExEEDaPvRmT3_T4_T5_mT6_P12ihipStream_tbENKUlT_T0_E_clISt17integral_constantIbLb0EESW_IbLb1EEEEDaSS_ST_EUlSS_E_NS1_11comp_targetILNS1_3genE0ELNS1_11target_archE4294967295ELNS1_3gpuE0ELNS1_3repE0EEENS1_30default_config_static_selectorELNS0_4arch9wavefront6targetE1EEEvT1_,comdat
.Lfunc_end3836:
	.size	_ZN7rocprim17ROCPRIM_400000_NS6detail17trampoline_kernelINS0_14default_configENS1_20scan_config_selectorIxEEZZNS1_9scan_implILNS1_25lookback_scan_determinismE0ELb1ELb1ES3_N6thrust23THRUST_200600_302600_NS6detail15normal_iteratorINS9_10device_ptrIxEEEENS9_16discard_iteratorINS9_11use_defaultEEEx11max_functorIxExEEDaPvRmT3_T4_T5_mT6_P12ihipStream_tbENKUlT_T0_E_clISt17integral_constantIbLb0EESW_IbLb1EEEEDaSS_ST_EUlSS_E_NS1_11comp_targetILNS1_3genE0ELNS1_11target_archE4294967295ELNS1_3gpuE0ELNS1_3repE0EEENS1_30default_config_static_selectorELNS0_4arch9wavefront6targetE1EEEvT1_, .Lfunc_end3836-_ZN7rocprim17ROCPRIM_400000_NS6detail17trampoline_kernelINS0_14default_configENS1_20scan_config_selectorIxEEZZNS1_9scan_implILNS1_25lookback_scan_determinismE0ELb1ELb1ES3_N6thrust23THRUST_200600_302600_NS6detail15normal_iteratorINS9_10device_ptrIxEEEENS9_16discard_iteratorINS9_11use_defaultEEEx11max_functorIxExEEDaPvRmT3_T4_T5_mT6_P12ihipStream_tbENKUlT_T0_E_clISt17integral_constantIbLb0EESW_IbLb1EEEEDaSS_ST_EUlSS_E_NS1_11comp_targetILNS1_3genE0ELNS1_11target_archE4294967295ELNS1_3gpuE0ELNS1_3repE0EEENS1_30default_config_static_selectorELNS0_4arch9wavefront6targetE1EEEvT1_
                                        ; -- End function
	.section	.AMDGPU.csdata,"",@progbits
; Kernel info:
; codeLenInByte = 0
; NumSgprs: 4
; NumVgprs: 0
; NumAgprs: 0
; TotalNumVgprs: 0
; ScratchSize: 0
; MemoryBound: 0
; FloatMode: 240
; IeeeMode: 1
; LDSByteSize: 0 bytes/workgroup (compile time only)
; SGPRBlocks: 0
; VGPRBlocks: 0
; NumSGPRsForWavesPerEU: 4
; NumVGPRsForWavesPerEU: 1
; AccumOffset: 4
; Occupancy: 8
; WaveLimiterHint : 0
; COMPUTE_PGM_RSRC2:SCRATCH_EN: 0
; COMPUTE_PGM_RSRC2:USER_SGPR: 6
; COMPUTE_PGM_RSRC2:TRAP_HANDLER: 0
; COMPUTE_PGM_RSRC2:TGID_X_EN: 1
; COMPUTE_PGM_RSRC2:TGID_Y_EN: 0
; COMPUTE_PGM_RSRC2:TGID_Z_EN: 0
; COMPUTE_PGM_RSRC2:TIDIG_COMP_CNT: 0
; COMPUTE_PGM_RSRC3_GFX90A:ACCUM_OFFSET: 0
; COMPUTE_PGM_RSRC3_GFX90A:TG_SPLIT: 0
	.section	.text._ZN7rocprim17ROCPRIM_400000_NS6detail17trampoline_kernelINS0_14default_configENS1_20scan_config_selectorIxEEZZNS1_9scan_implILNS1_25lookback_scan_determinismE0ELb1ELb1ES3_N6thrust23THRUST_200600_302600_NS6detail15normal_iteratorINS9_10device_ptrIxEEEENS9_16discard_iteratorINS9_11use_defaultEEEx11max_functorIxExEEDaPvRmT3_T4_T5_mT6_P12ihipStream_tbENKUlT_T0_E_clISt17integral_constantIbLb0EESW_IbLb1EEEEDaSS_ST_EUlSS_E_NS1_11comp_targetILNS1_3genE5ELNS1_11target_archE942ELNS1_3gpuE9ELNS1_3repE0EEENS1_30default_config_static_selectorELNS0_4arch9wavefront6targetE1EEEvT1_,"axG",@progbits,_ZN7rocprim17ROCPRIM_400000_NS6detail17trampoline_kernelINS0_14default_configENS1_20scan_config_selectorIxEEZZNS1_9scan_implILNS1_25lookback_scan_determinismE0ELb1ELb1ES3_N6thrust23THRUST_200600_302600_NS6detail15normal_iteratorINS9_10device_ptrIxEEEENS9_16discard_iteratorINS9_11use_defaultEEEx11max_functorIxExEEDaPvRmT3_T4_T5_mT6_P12ihipStream_tbENKUlT_T0_E_clISt17integral_constantIbLb0EESW_IbLb1EEEEDaSS_ST_EUlSS_E_NS1_11comp_targetILNS1_3genE5ELNS1_11target_archE942ELNS1_3gpuE9ELNS1_3repE0EEENS1_30default_config_static_selectorELNS0_4arch9wavefront6targetE1EEEvT1_,comdat
	.protected	_ZN7rocprim17ROCPRIM_400000_NS6detail17trampoline_kernelINS0_14default_configENS1_20scan_config_selectorIxEEZZNS1_9scan_implILNS1_25lookback_scan_determinismE0ELb1ELb1ES3_N6thrust23THRUST_200600_302600_NS6detail15normal_iteratorINS9_10device_ptrIxEEEENS9_16discard_iteratorINS9_11use_defaultEEEx11max_functorIxExEEDaPvRmT3_T4_T5_mT6_P12ihipStream_tbENKUlT_T0_E_clISt17integral_constantIbLb0EESW_IbLb1EEEEDaSS_ST_EUlSS_E_NS1_11comp_targetILNS1_3genE5ELNS1_11target_archE942ELNS1_3gpuE9ELNS1_3repE0EEENS1_30default_config_static_selectorELNS0_4arch9wavefront6targetE1EEEvT1_ ; -- Begin function _ZN7rocprim17ROCPRIM_400000_NS6detail17trampoline_kernelINS0_14default_configENS1_20scan_config_selectorIxEEZZNS1_9scan_implILNS1_25lookback_scan_determinismE0ELb1ELb1ES3_N6thrust23THRUST_200600_302600_NS6detail15normal_iteratorINS9_10device_ptrIxEEEENS9_16discard_iteratorINS9_11use_defaultEEEx11max_functorIxExEEDaPvRmT3_T4_T5_mT6_P12ihipStream_tbENKUlT_T0_E_clISt17integral_constantIbLb0EESW_IbLb1EEEEDaSS_ST_EUlSS_E_NS1_11comp_targetILNS1_3genE5ELNS1_11target_archE942ELNS1_3gpuE9ELNS1_3repE0EEENS1_30default_config_static_selectorELNS0_4arch9wavefront6targetE1EEEvT1_
	.globl	_ZN7rocprim17ROCPRIM_400000_NS6detail17trampoline_kernelINS0_14default_configENS1_20scan_config_selectorIxEEZZNS1_9scan_implILNS1_25lookback_scan_determinismE0ELb1ELb1ES3_N6thrust23THRUST_200600_302600_NS6detail15normal_iteratorINS9_10device_ptrIxEEEENS9_16discard_iteratorINS9_11use_defaultEEEx11max_functorIxExEEDaPvRmT3_T4_T5_mT6_P12ihipStream_tbENKUlT_T0_E_clISt17integral_constantIbLb0EESW_IbLb1EEEEDaSS_ST_EUlSS_E_NS1_11comp_targetILNS1_3genE5ELNS1_11target_archE942ELNS1_3gpuE9ELNS1_3repE0EEENS1_30default_config_static_selectorELNS0_4arch9wavefront6targetE1EEEvT1_
	.p2align	8
	.type	_ZN7rocprim17ROCPRIM_400000_NS6detail17trampoline_kernelINS0_14default_configENS1_20scan_config_selectorIxEEZZNS1_9scan_implILNS1_25lookback_scan_determinismE0ELb1ELb1ES3_N6thrust23THRUST_200600_302600_NS6detail15normal_iteratorINS9_10device_ptrIxEEEENS9_16discard_iteratorINS9_11use_defaultEEEx11max_functorIxExEEDaPvRmT3_T4_T5_mT6_P12ihipStream_tbENKUlT_T0_E_clISt17integral_constantIbLb0EESW_IbLb1EEEEDaSS_ST_EUlSS_E_NS1_11comp_targetILNS1_3genE5ELNS1_11target_archE942ELNS1_3gpuE9ELNS1_3repE0EEENS1_30default_config_static_selectorELNS0_4arch9wavefront6targetE1EEEvT1_,@function
_ZN7rocprim17ROCPRIM_400000_NS6detail17trampoline_kernelINS0_14default_configENS1_20scan_config_selectorIxEEZZNS1_9scan_implILNS1_25lookback_scan_determinismE0ELb1ELb1ES3_N6thrust23THRUST_200600_302600_NS6detail15normal_iteratorINS9_10device_ptrIxEEEENS9_16discard_iteratorINS9_11use_defaultEEEx11max_functorIxExEEDaPvRmT3_T4_T5_mT6_P12ihipStream_tbENKUlT_T0_E_clISt17integral_constantIbLb0EESW_IbLb1EEEEDaSS_ST_EUlSS_E_NS1_11comp_targetILNS1_3genE5ELNS1_11target_archE942ELNS1_3gpuE9ELNS1_3repE0EEENS1_30default_config_static_selectorELNS0_4arch9wavefront6targetE1EEEvT1_: ; @_ZN7rocprim17ROCPRIM_400000_NS6detail17trampoline_kernelINS0_14default_configENS1_20scan_config_selectorIxEEZZNS1_9scan_implILNS1_25lookback_scan_determinismE0ELb1ELb1ES3_N6thrust23THRUST_200600_302600_NS6detail15normal_iteratorINS9_10device_ptrIxEEEENS9_16discard_iteratorINS9_11use_defaultEEEx11max_functorIxExEEDaPvRmT3_T4_T5_mT6_P12ihipStream_tbENKUlT_T0_E_clISt17integral_constantIbLb0EESW_IbLb1EEEEDaSS_ST_EUlSS_E_NS1_11comp_targetILNS1_3genE5ELNS1_11target_archE942ELNS1_3gpuE9ELNS1_3repE0EEENS1_30default_config_static_selectorELNS0_4arch9wavefront6targetE1EEEvT1_
; %bb.0:
	.section	.rodata,"a",@progbits
	.p2align	6, 0x0
	.amdhsa_kernel _ZN7rocprim17ROCPRIM_400000_NS6detail17trampoline_kernelINS0_14default_configENS1_20scan_config_selectorIxEEZZNS1_9scan_implILNS1_25lookback_scan_determinismE0ELb1ELb1ES3_N6thrust23THRUST_200600_302600_NS6detail15normal_iteratorINS9_10device_ptrIxEEEENS9_16discard_iteratorINS9_11use_defaultEEEx11max_functorIxExEEDaPvRmT3_T4_T5_mT6_P12ihipStream_tbENKUlT_T0_E_clISt17integral_constantIbLb0EESW_IbLb1EEEEDaSS_ST_EUlSS_E_NS1_11comp_targetILNS1_3genE5ELNS1_11target_archE942ELNS1_3gpuE9ELNS1_3repE0EEENS1_30default_config_static_selectorELNS0_4arch9wavefront6targetE1EEEvT1_
		.amdhsa_group_segment_fixed_size 0
		.amdhsa_private_segment_fixed_size 0
		.amdhsa_kernarg_size 112
		.amdhsa_user_sgpr_count 6
		.amdhsa_user_sgpr_private_segment_buffer 1
		.amdhsa_user_sgpr_dispatch_ptr 0
		.amdhsa_user_sgpr_queue_ptr 0
		.amdhsa_user_sgpr_kernarg_segment_ptr 1
		.amdhsa_user_sgpr_dispatch_id 0
		.amdhsa_user_sgpr_flat_scratch_init 0
		.amdhsa_user_sgpr_kernarg_preload_length 0
		.amdhsa_user_sgpr_kernarg_preload_offset 0
		.amdhsa_user_sgpr_private_segment_size 0
		.amdhsa_uses_dynamic_stack 0
		.amdhsa_system_sgpr_private_segment_wavefront_offset 0
		.amdhsa_system_sgpr_workgroup_id_x 1
		.amdhsa_system_sgpr_workgroup_id_y 0
		.amdhsa_system_sgpr_workgroup_id_z 0
		.amdhsa_system_sgpr_workgroup_info 0
		.amdhsa_system_vgpr_workitem_id 0
		.amdhsa_next_free_vgpr 1
		.amdhsa_next_free_sgpr 0
		.amdhsa_accum_offset 4
		.amdhsa_reserve_vcc 0
		.amdhsa_reserve_flat_scratch 0
		.amdhsa_float_round_mode_32 0
		.amdhsa_float_round_mode_16_64 0
		.amdhsa_float_denorm_mode_32 3
		.amdhsa_float_denorm_mode_16_64 3
		.amdhsa_dx10_clamp 1
		.amdhsa_ieee_mode 1
		.amdhsa_fp16_overflow 0
		.amdhsa_tg_split 0
		.amdhsa_exception_fp_ieee_invalid_op 0
		.amdhsa_exception_fp_denorm_src 0
		.amdhsa_exception_fp_ieee_div_zero 0
		.amdhsa_exception_fp_ieee_overflow 0
		.amdhsa_exception_fp_ieee_underflow 0
		.amdhsa_exception_fp_ieee_inexact 0
		.amdhsa_exception_int_div_zero 0
	.end_amdhsa_kernel
	.section	.text._ZN7rocprim17ROCPRIM_400000_NS6detail17trampoline_kernelINS0_14default_configENS1_20scan_config_selectorIxEEZZNS1_9scan_implILNS1_25lookback_scan_determinismE0ELb1ELb1ES3_N6thrust23THRUST_200600_302600_NS6detail15normal_iteratorINS9_10device_ptrIxEEEENS9_16discard_iteratorINS9_11use_defaultEEEx11max_functorIxExEEDaPvRmT3_T4_T5_mT6_P12ihipStream_tbENKUlT_T0_E_clISt17integral_constantIbLb0EESW_IbLb1EEEEDaSS_ST_EUlSS_E_NS1_11comp_targetILNS1_3genE5ELNS1_11target_archE942ELNS1_3gpuE9ELNS1_3repE0EEENS1_30default_config_static_selectorELNS0_4arch9wavefront6targetE1EEEvT1_,"axG",@progbits,_ZN7rocprim17ROCPRIM_400000_NS6detail17trampoline_kernelINS0_14default_configENS1_20scan_config_selectorIxEEZZNS1_9scan_implILNS1_25lookback_scan_determinismE0ELb1ELb1ES3_N6thrust23THRUST_200600_302600_NS6detail15normal_iteratorINS9_10device_ptrIxEEEENS9_16discard_iteratorINS9_11use_defaultEEEx11max_functorIxExEEDaPvRmT3_T4_T5_mT6_P12ihipStream_tbENKUlT_T0_E_clISt17integral_constantIbLb0EESW_IbLb1EEEEDaSS_ST_EUlSS_E_NS1_11comp_targetILNS1_3genE5ELNS1_11target_archE942ELNS1_3gpuE9ELNS1_3repE0EEENS1_30default_config_static_selectorELNS0_4arch9wavefront6targetE1EEEvT1_,comdat
.Lfunc_end3837:
	.size	_ZN7rocprim17ROCPRIM_400000_NS6detail17trampoline_kernelINS0_14default_configENS1_20scan_config_selectorIxEEZZNS1_9scan_implILNS1_25lookback_scan_determinismE0ELb1ELb1ES3_N6thrust23THRUST_200600_302600_NS6detail15normal_iteratorINS9_10device_ptrIxEEEENS9_16discard_iteratorINS9_11use_defaultEEEx11max_functorIxExEEDaPvRmT3_T4_T5_mT6_P12ihipStream_tbENKUlT_T0_E_clISt17integral_constantIbLb0EESW_IbLb1EEEEDaSS_ST_EUlSS_E_NS1_11comp_targetILNS1_3genE5ELNS1_11target_archE942ELNS1_3gpuE9ELNS1_3repE0EEENS1_30default_config_static_selectorELNS0_4arch9wavefront6targetE1EEEvT1_, .Lfunc_end3837-_ZN7rocprim17ROCPRIM_400000_NS6detail17trampoline_kernelINS0_14default_configENS1_20scan_config_selectorIxEEZZNS1_9scan_implILNS1_25lookback_scan_determinismE0ELb1ELb1ES3_N6thrust23THRUST_200600_302600_NS6detail15normal_iteratorINS9_10device_ptrIxEEEENS9_16discard_iteratorINS9_11use_defaultEEEx11max_functorIxExEEDaPvRmT3_T4_T5_mT6_P12ihipStream_tbENKUlT_T0_E_clISt17integral_constantIbLb0EESW_IbLb1EEEEDaSS_ST_EUlSS_E_NS1_11comp_targetILNS1_3genE5ELNS1_11target_archE942ELNS1_3gpuE9ELNS1_3repE0EEENS1_30default_config_static_selectorELNS0_4arch9wavefront6targetE1EEEvT1_
                                        ; -- End function
	.section	.AMDGPU.csdata,"",@progbits
; Kernel info:
; codeLenInByte = 0
; NumSgprs: 4
; NumVgprs: 0
; NumAgprs: 0
; TotalNumVgprs: 0
; ScratchSize: 0
; MemoryBound: 0
; FloatMode: 240
; IeeeMode: 1
; LDSByteSize: 0 bytes/workgroup (compile time only)
; SGPRBlocks: 0
; VGPRBlocks: 0
; NumSGPRsForWavesPerEU: 4
; NumVGPRsForWavesPerEU: 1
; AccumOffset: 4
; Occupancy: 8
; WaveLimiterHint : 0
; COMPUTE_PGM_RSRC2:SCRATCH_EN: 0
; COMPUTE_PGM_RSRC2:USER_SGPR: 6
; COMPUTE_PGM_RSRC2:TRAP_HANDLER: 0
; COMPUTE_PGM_RSRC2:TGID_X_EN: 1
; COMPUTE_PGM_RSRC2:TGID_Y_EN: 0
; COMPUTE_PGM_RSRC2:TGID_Z_EN: 0
; COMPUTE_PGM_RSRC2:TIDIG_COMP_CNT: 0
; COMPUTE_PGM_RSRC3_GFX90A:ACCUM_OFFSET: 0
; COMPUTE_PGM_RSRC3_GFX90A:TG_SPLIT: 0
	.section	.text._ZN7rocprim17ROCPRIM_400000_NS6detail17trampoline_kernelINS0_14default_configENS1_20scan_config_selectorIxEEZZNS1_9scan_implILNS1_25lookback_scan_determinismE0ELb1ELb1ES3_N6thrust23THRUST_200600_302600_NS6detail15normal_iteratorINS9_10device_ptrIxEEEENS9_16discard_iteratorINS9_11use_defaultEEEx11max_functorIxExEEDaPvRmT3_T4_T5_mT6_P12ihipStream_tbENKUlT_T0_E_clISt17integral_constantIbLb0EESW_IbLb1EEEEDaSS_ST_EUlSS_E_NS1_11comp_targetILNS1_3genE4ELNS1_11target_archE910ELNS1_3gpuE8ELNS1_3repE0EEENS1_30default_config_static_selectorELNS0_4arch9wavefront6targetE1EEEvT1_,"axG",@progbits,_ZN7rocprim17ROCPRIM_400000_NS6detail17trampoline_kernelINS0_14default_configENS1_20scan_config_selectorIxEEZZNS1_9scan_implILNS1_25lookback_scan_determinismE0ELb1ELb1ES3_N6thrust23THRUST_200600_302600_NS6detail15normal_iteratorINS9_10device_ptrIxEEEENS9_16discard_iteratorINS9_11use_defaultEEEx11max_functorIxExEEDaPvRmT3_T4_T5_mT6_P12ihipStream_tbENKUlT_T0_E_clISt17integral_constantIbLb0EESW_IbLb1EEEEDaSS_ST_EUlSS_E_NS1_11comp_targetILNS1_3genE4ELNS1_11target_archE910ELNS1_3gpuE8ELNS1_3repE0EEENS1_30default_config_static_selectorELNS0_4arch9wavefront6targetE1EEEvT1_,comdat
	.protected	_ZN7rocprim17ROCPRIM_400000_NS6detail17trampoline_kernelINS0_14default_configENS1_20scan_config_selectorIxEEZZNS1_9scan_implILNS1_25lookback_scan_determinismE0ELb1ELb1ES3_N6thrust23THRUST_200600_302600_NS6detail15normal_iteratorINS9_10device_ptrIxEEEENS9_16discard_iteratorINS9_11use_defaultEEEx11max_functorIxExEEDaPvRmT3_T4_T5_mT6_P12ihipStream_tbENKUlT_T0_E_clISt17integral_constantIbLb0EESW_IbLb1EEEEDaSS_ST_EUlSS_E_NS1_11comp_targetILNS1_3genE4ELNS1_11target_archE910ELNS1_3gpuE8ELNS1_3repE0EEENS1_30default_config_static_selectorELNS0_4arch9wavefront6targetE1EEEvT1_ ; -- Begin function _ZN7rocprim17ROCPRIM_400000_NS6detail17trampoline_kernelINS0_14default_configENS1_20scan_config_selectorIxEEZZNS1_9scan_implILNS1_25lookback_scan_determinismE0ELb1ELb1ES3_N6thrust23THRUST_200600_302600_NS6detail15normal_iteratorINS9_10device_ptrIxEEEENS9_16discard_iteratorINS9_11use_defaultEEEx11max_functorIxExEEDaPvRmT3_T4_T5_mT6_P12ihipStream_tbENKUlT_T0_E_clISt17integral_constantIbLb0EESW_IbLb1EEEEDaSS_ST_EUlSS_E_NS1_11comp_targetILNS1_3genE4ELNS1_11target_archE910ELNS1_3gpuE8ELNS1_3repE0EEENS1_30default_config_static_selectorELNS0_4arch9wavefront6targetE1EEEvT1_
	.globl	_ZN7rocprim17ROCPRIM_400000_NS6detail17trampoline_kernelINS0_14default_configENS1_20scan_config_selectorIxEEZZNS1_9scan_implILNS1_25lookback_scan_determinismE0ELb1ELb1ES3_N6thrust23THRUST_200600_302600_NS6detail15normal_iteratorINS9_10device_ptrIxEEEENS9_16discard_iteratorINS9_11use_defaultEEEx11max_functorIxExEEDaPvRmT3_T4_T5_mT6_P12ihipStream_tbENKUlT_T0_E_clISt17integral_constantIbLb0EESW_IbLb1EEEEDaSS_ST_EUlSS_E_NS1_11comp_targetILNS1_3genE4ELNS1_11target_archE910ELNS1_3gpuE8ELNS1_3repE0EEENS1_30default_config_static_selectorELNS0_4arch9wavefront6targetE1EEEvT1_
	.p2align	8
	.type	_ZN7rocprim17ROCPRIM_400000_NS6detail17trampoline_kernelINS0_14default_configENS1_20scan_config_selectorIxEEZZNS1_9scan_implILNS1_25lookback_scan_determinismE0ELb1ELb1ES3_N6thrust23THRUST_200600_302600_NS6detail15normal_iteratorINS9_10device_ptrIxEEEENS9_16discard_iteratorINS9_11use_defaultEEEx11max_functorIxExEEDaPvRmT3_T4_T5_mT6_P12ihipStream_tbENKUlT_T0_E_clISt17integral_constantIbLb0EESW_IbLb1EEEEDaSS_ST_EUlSS_E_NS1_11comp_targetILNS1_3genE4ELNS1_11target_archE910ELNS1_3gpuE8ELNS1_3repE0EEENS1_30default_config_static_selectorELNS0_4arch9wavefront6targetE1EEEvT1_,@function
_ZN7rocprim17ROCPRIM_400000_NS6detail17trampoline_kernelINS0_14default_configENS1_20scan_config_selectorIxEEZZNS1_9scan_implILNS1_25lookback_scan_determinismE0ELb1ELb1ES3_N6thrust23THRUST_200600_302600_NS6detail15normal_iteratorINS9_10device_ptrIxEEEENS9_16discard_iteratorINS9_11use_defaultEEEx11max_functorIxExEEDaPvRmT3_T4_T5_mT6_P12ihipStream_tbENKUlT_T0_E_clISt17integral_constantIbLb0EESW_IbLb1EEEEDaSS_ST_EUlSS_E_NS1_11comp_targetILNS1_3genE4ELNS1_11target_archE910ELNS1_3gpuE8ELNS1_3repE0EEENS1_30default_config_static_selectorELNS0_4arch9wavefront6targetE1EEEvT1_: ; @_ZN7rocprim17ROCPRIM_400000_NS6detail17trampoline_kernelINS0_14default_configENS1_20scan_config_selectorIxEEZZNS1_9scan_implILNS1_25lookback_scan_determinismE0ELb1ELb1ES3_N6thrust23THRUST_200600_302600_NS6detail15normal_iteratorINS9_10device_ptrIxEEEENS9_16discard_iteratorINS9_11use_defaultEEEx11max_functorIxExEEDaPvRmT3_T4_T5_mT6_P12ihipStream_tbENKUlT_T0_E_clISt17integral_constantIbLb0EESW_IbLb1EEEEDaSS_ST_EUlSS_E_NS1_11comp_targetILNS1_3genE4ELNS1_11target_archE910ELNS1_3gpuE8ELNS1_3repE0EEENS1_30default_config_static_selectorELNS0_4arch9wavefront6targetE1EEEvT1_
; %bb.0:
	s_load_dwordx2 s[26:27], s[4:5], 0x38
	v_cmp_ne_u32_e64 s[2:3], 0, v0
	v_cmp_eq_u32_e64 s[0:1], 0, v0
	s_and_saveexec_b64 s[6:7], s[0:1]
	s_cbranch_execz .LBB3838_4
; %bb.1:
	s_mov_b64 s[10:11], exec
	v_mbcnt_lo_u32_b32 v1, s10, 0
	v_mbcnt_hi_u32_b32 v1, s11, v1
	v_cmp_eq_u32_e32 vcc, 0, v1
                                        ; implicit-def: $vgpr2
	s_and_saveexec_b64 s[8:9], vcc
	s_cbranch_execz .LBB3838_3
; %bb.2:
	s_load_dwordx2 s[12:13], s[4:5], 0x68
	s_bcnt1_i32_b64 s10, s[10:11]
	v_mov_b32_e32 v2, 0
	v_mov_b32_e32 v3, s10
	s_waitcnt lgkmcnt(0)
	global_atomic_add v2, v2, v3, s[12:13] glc
.LBB3838_3:
	s_or_b64 exec, exec, s[8:9]
	s_waitcnt vmcnt(0)
	v_readfirstlane_b32 s8, v2
	v_add_u32_e32 v1, s8, v1
	v_mov_b32_e32 v2, 0
	ds_write_b32 v2, v1
.LBB3838_4:
	s_or_b64 exec, exec, s[6:7]
	v_mov_b32_e32 v3, 0
	s_load_dwordx4 s[8:11], s[4:5], 0x0
	s_load_dwordx4 s[12:15], s[4:5], 0x20
	s_load_dword s6, s[4:5], 0x40
	s_load_dwordx8 s[16:23], s[4:5], 0x48
	s_waitcnt lgkmcnt(0)
	s_barrier
	ds_read_b32 v1, v3
	s_lshl_b64 s[4:5], s[10:11], 3
	s_add_u32 s33, s8, s4
	s_movk_i32 s4, 0x380
	s_addc_u32 s34, s9, s5
	s_waitcnt lgkmcnt(0)
	v_mul_lo_u32 v2, v1, s4
	s_add_i32 s4, s6, -1
	s_mul_i32 s5, s4, 0x380
	s_sub_u32 s30, s12, s5
	v_readfirstlane_b32 s35, v1
	s_subb_u32 s31, s13, 0
	v_lshlrev_b64 v[2:3], 3, v[2:3]
	s_cmp_lg_u32 s35, s4
	v_mov_b32_e32 v1, s34
	v_add_co_u32_e32 v20, vcc, s33, v2
	s_cselect_b64 s[24:25], -1, 0
	v_addc_co_u32_e32 v21, vcc, v1, v3, vcc
	s_mov_b64 s[4:5], -1
	s_and_b64 vcc, exec, s[24:25]
	v_lshlrev_b32_e32 v1, 3, v0
	s_barrier
	s_cbranch_vccz .LBB3838_6
; %bb.5:
	v_add_co_u32_e32 v2, vcc, v20, v1
	v_addc_co_u32_e32 v3, vcc, 0, v21, vcc
	flat_load_dwordx2 v[4:5], v[2:3]
	flat_load_dwordx2 v[6:7], v[2:3] offset:1024
	flat_load_dwordx2 v[8:9], v[2:3] offset:2048
	flat_load_dwordx2 v[10:11], v[2:3] offset:3072
	v_add_co_u32_e32 v2, vcc, 0x1000, v2
	v_addc_co_u32_e32 v3, vcc, 0, v3, vcc
	flat_load_dwordx2 v[12:13], v[2:3]
	flat_load_dwordx2 v[14:15], v[2:3] offset:1024
	flat_load_dwordx2 v[16:17], v[2:3] offset:2048
	s_mov_b64 s[4:5], 0
	s_waitcnt vmcnt(0) lgkmcnt(0)
	ds_write2st64_b64 v1, v[4:5], v[6:7] offset1:2
	ds_write2st64_b64 v1, v[8:9], v[10:11] offset0:4 offset1:6
	ds_write2st64_b64 v1, v[12:13], v[14:15] offset0:8 offset1:10
	ds_write_b64 v1, v[16:17] offset:6144
	s_waitcnt lgkmcnt(0)
	s_barrier
.LBB3838_6:
	s_andn2_b64 vcc, exec, s[4:5]
	s_cbranch_vccnz .LBB3838_22
; %bb.7:
	flat_load_dwordx2 v[2:3], v[20:21]
	v_cmp_gt_u32_e32 vcc, s30, v0
	s_waitcnt vmcnt(0) lgkmcnt(0)
	v_mov_b32_e32 v4, v2
	v_mov_b32_e32 v5, v3
	;; [unrolled: 1-line block ×10, first 2 shown]
	v_pk_mov_b32 v[18:19], v[14:15], v[14:15] op_sel:[0,1]
	v_pk_mov_b32 v[16:17], v[12:13], v[12:13] op_sel:[0,1]
	;; [unrolled: 1-line block ×8, first 2 shown]
	s_and_saveexec_b64 s[4:5], vcc
	s_cbranch_execz .LBB3838_9
; %bb.8:
	v_add_co_u32_e32 v4, vcc, v20, v1
	v_addc_co_u32_e32 v5, vcc, 0, v21, vcc
	flat_load_dwordx2 v[22:23], v[4:5]
	v_mov_b32_e32 v4, v2
	v_mov_b32_e32 v5, v3
	;; [unrolled: 1-line block ×10, first 2 shown]
	v_pk_mov_b32 v[18:19], v[14:15], v[14:15] op_sel:[0,1]
	v_pk_mov_b32 v[16:17], v[12:13], v[12:13] op_sel:[0,1]
	;; [unrolled: 1-line block ×8, first 2 shown]
	s_waitcnt vmcnt(0) lgkmcnt(0)
	v_pk_mov_b32 v[2:3], v[22:23], v[22:23] op_sel:[0,1]
.LBB3838_9:
	s_or_b64 exec, exec, s[4:5]
	v_or_b32_e32 v4, 0x80, v0
	v_cmp_gt_u32_e32 vcc, s30, v4
	s_and_saveexec_b64 s[4:5], vcc
	s_cbranch_execz .LBB3838_11
; %bb.10:
	v_add_co_u32_e32 v4, vcc, v20, v1
	v_addc_co_u32_e32 v5, vcc, 0, v21, vcc
	flat_load_dwordx2 v[6:7], v[4:5] offset:1024
.LBB3838_11:
	s_or_b64 exec, exec, s[4:5]
	v_or_b32_e32 v4, 0x100, v0
	v_cmp_gt_u32_e32 vcc, s30, v4
	s_and_saveexec_b64 s[4:5], vcc
	s_cbranch_execz .LBB3838_13
; %bb.12:
	v_add_co_u32_e32 v4, vcc, v20, v1
	v_addc_co_u32_e32 v5, vcc, 0, v21, vcc
	flat_load_dwordx2 v[8:9], v[4:5] offset:2048
.LBB3838_13:
	;; [unrolled: 10-line block ×3, first 2 shown]
	s_or_b64 exec, exec, s[4:5]
	v_or_b32_e32 v4, 0x200, v0
	v_cmp_gt_u32_e32 vcc, s30, v4
	s_and_saveexec_b64 s[4:5], vcc
	s_cbranch_execz .LBB3838_17
; %bb.16:
	v_lshlrev_b32_e32 v4, 3, v4
	v_add_co_u32_e32 v4, vcc, v20, v4
	v_addc_co_u32_e32 v5, vcc, 0, v21, vcc
	flat_load_dwordx2 v[12:13], v[4:5]
.LBB3838_17:
	s_or_b64 exec, exec, s[4:5]
	v_or_b32_e32 v4, 0x280, v0
	v_cmp_gt_u32_e32 vcc, s30, v4
	s_and_saveexec_b64 s[4:5], vcc
	s_cbranch_execz .LBB3838_19
; %bb.18:
	v_lshlrev_b32_e32 v4, 3, v4
	v_add_co_u32_e32 v4, vcc, v20, v4
	v_addc_co_u32_e32 v5, vcc, 0, v21, vcc
	flat_load_dwordx2 v[14:15], v[4:5]
.LBB3838_19:
	;; [unrolled: 11-line block ×3, first 2 shown]
	s_or_b64 exec, exec, s[4:5]
	s_waitcnt vmcnt(0) lgkmcnt(0)
	ds_write2st64_b64 v1, v[2:3], v[6:7] offset1:2
	ds_write2st64_b64 v1, v[8:9], v[10:11] offset0:4 offset1:6
	ds_write2st64_b64 v1, v[12:13], v[14:15] offset0:8 offset1:10
	ds_write_b64 v1, v[16:17] offset:6144
	s_waitcnt lgkmcnt(0)
	s_barrier
.LBB3838_22:
	v_mul_u32_u24_e32 v36, 7, v0
	v_lshlrev_b32_e32 v37, 3, v36
	ds_read2_b64 v[10:13], v37 offset1:1
	ds_read2_b64 v[6:9], v37 offset0:2 offset1:3
	ds_read2_b64 v[2:5], v37 offset0:4 offset1:5
	ds_read_b64 v[26:27], v37 offset:48
	s_cmp_lg_u32 s35, 0
	s_waitcnt lgkmcnt(3)
	v_cmp_gt_i64_e64 s[4:5], v[10:11], v[12:13]
	v_lshrrev_b32_e32 v1, 5, v0
	v_cmp_gt_u32_e32 vcc, 64, v0
	s_waitcnt lgkmcnt(0)
	s_barrier
	s_cbranch_scc0 .LBB3838_49
; %bb.23:
	v_cndmask_b32_e64 v15, v13, v11, s[4:5]
	v_cndmask_b32_e64 v14, v12, v10, s[4:5]
	v_cmp_gt_i64_e64 s[4:5], v[14:15], v[6:7]
	v_cndmask_b32_e64 v15, v7, v15, s[4:5]
	v_cndmask_b32_e64 v14, v6, v14, s[4:5]
	v_cmp_gt_i64_e64 s[4:5], v[14:15], v[8:9]
	;; [unrolled: 3-line block ×5, first 2 shown]
	v_cndmask_b32_e64 v23, v27, v15, s[4:5]
	v_cndmask_b32_e64 v22, v26, v14, s[4:5]
	v_add_lshl_u32 v14, v1, v0, 3
	ds_write_b64 v14, v[22:23]
	s_waitcnt lgkmcnt(0)
	s_barrier
	s_and_saveexec_b64 s[8:9], vcc
	s_cbranch_execz .LBB3838_27
; %bb.24:
	v_lshlrev_b32_e32 v14, 1, v0
	v_lshrrev_b32_e32 v15, 4, v0
	v_add_lshl_u32 v24, v15, v14, 3
	ds_read2_b64 v[14:17], v24 offset1:1
	v_mbcnt_lo_u32_b32 v18, -1, 0
	v_mbcnt_hi_u32_b32 v25, -1, v18
	v_and_b32_e32 v28, 15, v25
	v_and_b32_e32 v30, 16, v25
	s_waitcnt lgkmcnt(0)
	v_cmp_gt_i64_e64 s[4:5], v[14:15], v[16:17]
	v_cndmask_b32_e64 v17, v17, v15, s[4:5]
	v_cndmask_b32_e64 v16, v16, v14, s[4:5]
	v_cmp_ne_u32_e64 s[6:7], 0, v25
	v_mov_b32_dpp v19, v17 row_shr:1 row_mask:0xf bank_mask:0xf
	v_mov_b32_dpp v18, v16 row_shr:1 row_mask:0xf bank_mask:0xf
	v_cmp_gt_i64_e64 s[4:5], v[18:19], v[16:17]
	v_cndmask_b32_e64 v18, v16, v18, s[4:5]
	v_cndmask_b32_e64 v19, v17, v19, s[4:5]
	v_cmp_eq_u32_e64 s[4:5], 0, v28
	v_cndmask_b32_e64 v19, v19, v17, s[4:5]
	v_cndmask_b32_e64 v18, v18, v16, s[4:5]
	s_nop 0
	v_mov_b32_dpp v21, v19 row_shr:2 row_mask:0xf bank_mask:0xf
	v_mov_b32_dpp v20, v18 row_shr:2 row_mask:0xf bank_mask:0xf
	v_cmp_gt_i64_e64 s[4:5], v[20:21], v[18:19]
	v_cndmask_b32_e64 v20, v18, v20, s[4:5]
	v_cndmask_b32_e64 v21, v19, v21, s[4:5]
	v_cmp_lt_u32_e64 s[4:5], 1, v28
	v_cndmask_b32_e64 v19, v19, v21, s[4:5]
	v_cndmask_b32_e64 v18, v18, v20, s[4:5]
	s_nop 0
	v_mov_b32_dpp v21, v19 row_shr:4 row_mask:0xf bank_mask:0xf
	v_mov_b32_dpp v20, v18 row_shr:4 row_mask:0xf bank_mask:0xf
	v_cmp_gt_i64_e64 s[4:5], v[20:21], v[18:19]
	v_cndmask_b32_e64 v20, v18, v20, s[4:5]
	v_cndmask_b32_e64 v21, v19, v21, s[4:5]
	v_cmp_lt_u32_e64 s[4:5], 3, v28
	;; [unrolled: 9-line block ×3, first 2 shown]
	v_cndmask_b32_e64 v19, v19, v21, s[4:5]
	v_cndmask_b32_e64 v18, v18, v20, s[4:5]
	s_nop 0
	v_mov_b32_dpp v21, v19 row_bcast:15 row_mask:0xf bank_mask:0xf
	v_mov_b32_dpp v20, v18 row_bcast:15 row_mask:0xf bank_mask:0xf
	v_cmp_gt_i64_e64 s[4:5], v[20:21], v[18:19]
	v_cndmask_b32_e64 v28, v19, v21, s[4:5]
	v_cndmask_b32_e64 v29, v18, v20, s[4:5]
	v_cmp_eq_u32_e64 s[4:5], 0, v30
	v_cndmask_b32_e64 v21, v28, v19, s[4:5]
	v_cndmask_b32_e64 v20, v29, v18, s[4:5]
	s_nop 0
	v_mov_b32_dpp v21, v21 row_bcast:31 row_mask:0xf bank_mask:0xf
	v_mov_b32_dpp v20, v20 row_bcast:31 row_mask:0xf bank_mask:0xf
	s_and_saveexec_b64 s[10:11], s[6:7]
; %bb.25:
	v_cndmask_b32_e64 v17, v28, v19, s[4:5]
	v_cndmask_b32_e64 v16, v29, v18, s[4:5]
	v_cmp_lt_u32_e64 s[6:7], 31, v25
	v_cmp_gt_i64_e64 s[4:5], v[20:21], v[16:17]
	s_and_b64 s[4:5], s[6:7], s[4:5]
	v_cndmask_b32_e64 v16, v16, v20, s[4:5]
	v_cndmask_b32_e64 v17, v17, v21, s[4:5]
; %bb.26:
	s_or_b64 exec, exec, s[10:11]
	v_add_u32_e32 v18, -1, v25
	v_and_b32_e32 v19, 64, v25
	v_cmp_lt_i32_e64 s[4:5], v18, v19
	v_cndmask_b32_e64 v18, v18, v25, s[4:5]
	v_lshlrev_b32_e32 v18, 2, v18
	ds_bpermute_b32 v16, v18, v16
	ds_bpermute_b32 v17, v18, v17
	; wave barrier
	s_waitcnt lgkmcnt(0)
	v_cmp_gt_i64_e64 s[4:5], v[16:17], v[14:15]
	v_cndmask_b32_e64 v14, v14, v16, s[4:5]
	v_cndmask_b32_e64 v15, v15, v17, s[4:5]
	;; [unrolled: 1-line block ×4, first 2 shown]
	ds_write_b64 v24, v[14:15]
	; wave barrier
	ds_read_b64 v[16:17], v24 offset:8
	s_waitcnt lgkmcnt(0)
	v_cmp_gt_i64_e64 s[4:5], v[14:15], v[16:17]
	v_cndmask_b32_e64 v15, v17, v15, s[4:5]
	v_cndmask_b32_e64 v14, v16, v14, s[4:5]
	ds_write_b64 v24, v[14:15] offset:8
.LBB3838_27:
	s_or_b64 exec, exec, s[8:9]
	s_waitcnt lgkmcnt(0)
	s_barrier
	s_and_saveexec_b64 s[4:5], s[2:3]
	s_cbranch_execz .LBB3838_29
; %bb.28:
	v_add_u32_e32 v14, -1, v0
	v_lshrrev_b32_e32 v15, 5, v14
	v_add_lshl_u32 v14, v15, v14, 3
	ds_read_b64 v[22:23], v14
.LBB3838_29:
	s_or_b64 exec, exec, s[4:5]
	s_and_saveexec_b64 s[28:29], vcc
	s_cbranch_execz .LBB3838_48
; %bb.30:
	v_mov_b32_e32 v17, 0
	ds_read_b64 v[14:15], v17 offset:1040
	v_mbcnt_lo_u32_b32 v16, -1, 0
	v_mbcnt_hi_u32_b32 v25, -1, v16
	s_mov_b32 s9, 0
	v_cmp_eq_u32_e64 s[4:5], 0, v25
	s_and_saveexec_b64 s[6:7], s[4:5]
	s_cbranch_execz .LBB3838_32
; %bb.31:
	s_add_i32 s8, s35, 64
	s_lshl_b64 s[8:9], s[8:9], 4
	s_add_u32 s8, s26, s8
	s_addc_u32 s9, s27, s9
	v_mov_b32_e32 v16, 1
	v_pk_mov_b32 v[18:19], s[8:9], s[8:9] op_sel:[0,1]
	s_waitcnt lgkmcnt(0)
	;;#ASMSTART
	global_store_dwordx4 v[18:19], v[14:17] off	
s_waitcnt vmcnt(0)
	;;#ASMEND
.LBB3838_32:
	s_or_b64 exec, exec, s[6:7]
	v_xad_u32 v24, v25, -1, s35
	v_add_u32_e32 v16, 64, v24
	v_lshlrev_b64 v[18:19], 4, v[16:17]
	v_mov_b32_e32 v16, s27
	v_add_co_u32_e32 v28, vcc, s26, v18
	v_addc_co_u32_e32 v29, vcc, v16, v19, vcc
	;;#ASMSTART
	global_load_dwordx4 v[18:21], v[28:29] off glc	
s_waitcnt vmcnt(0)
	;;#ASMEND
	v_and_b32_e32 v16, 0xff, v19
	v_and_b32_e32 v21, 0xff00, v19
	v_or3_b32 v16, 0, v16, v21
	v_or3_b32 v18, v18, 0, 0
	v_and_b32_e32 v21, 0xff000000, v19
	v_and_b32_e32 v19, 0xff0000, v19
	v_or3_b32 v19, v16, v19, v21
	v_or3_b32 v18, v18, 0, 0
	v_cmp_eq_u16_sdwa s[8:9], v20, v17 src0_sel:BYTE_0 src1_sel:DWORD
	s_and_saveexec_b64 s[6:7], s[8:9]
	s_cbranch_execz .LBB3838_36
; %bb.33:
	s_mov_b64 s[8:9], 0
	v_mov_b32_e32 v16, 0
.LBB3838_34:                            ; =>This Inner Loop Header: Depth=1
	;;#ASMSTART
	global_load_dwordx4 v[18:21], v[28:29] off glc	
s_waitcnt vmcnt(0)
	;;#ASMEND
	v_cmp_ne_u16_sdwa s[10:11], v20, v16 src0_sel:BYTE_0 src1_sel:DWORD
	s_or_b64 s[8:9], s[10:11], s[8:9]
	s_andn2_b64 exec, exec, s[8:9]
	s_cbranch_execnz .LBB3838_34
; %bb.35:
	s_or_b64 exec, exec, s[8:9]
.LBB3838_36:
	s_or_b64 exec, exec, s[6:7]
	v_and_b32_e32 v33, 63, v25
	v_cmp_ne_u32_e32 vcc, 63, v33
	v_mov_b32_e32 v32, 2
	v_addc_co_u32_e32 v28, vcc, 0, v25, vcc
	v_cmp_eq_u16_sdwa s[6:7], v20, v32 src0_sel:BYTE_0 src1_sel:DWORD
	v_lshlrev_b64 v[16:17], v25, -1
	v_lshlrev_b32_e32 v34, 2, v28
	v_and_b32_e32 v21, s7, v17
	ds_bpermute_b32 v28, v34, v18
	ds_bpermute_b32 v29, v34, v19
	v_or_b32_e32 v21, 0x80000000, v21
	v_and_b32_e32 v30, s6, v16
	v_ffbl_b32_e32 v21, v21
	v_add_u32_e32 v21, 32, v21
	v_ffbl_b32_e32 v30, v30
	v_min_u32_e32 v21, v30, v21
	s_waitcnt lgkmcnt(0)
	v_cmp_gt_i64_e64 s[6:7], v[28:29], v[18:19]
	v_cmp_lt_u32_e32 vcc, v33, v21
	v_cndmask_b32_e64 v28, v18, v28, s[6:7]
	s_and_b64 s[6:7], vcc, s[6:7]
	v_cndmask_b32_e64 v29, v19, v29, s[6:7]
	v_cmp_gt_u32_e64 s[6:7], 62, v33
	v_cndmask_b32_e64 v30, 0, 1, s[6:7]
	v_lshlrev_b32_e32 v30, 1, v30
	v_cndmask_b32_e32 v28, v18, v28, vcc
	v_add_lshl_u32 v35, v30, v25, 2
	ds_bpermute_b32 v30, v35, v28
	ds_bpermute_b32 v31, v35, v29
	v_add_u32_e32 v38, 2, v33
	v_cmp_gt_u32_e64 s[8:9], 56, v33
	v_add_u32_e32 v40, 4, v33
	v_cndmask_b32_e64 v41, 0, 1, s[8:9]
	s_waitcnt lgkmcnt(0)
	v_cmp_gt_i64_e64 s[6:7], v[30:31], v[28:29]
	v_cndmask_b32_e64 v31, v29, v31, s[6:7]
	v_cndmask_b32_e64 v30, v28, v30, s[6:7]
	v_cmp_gt_u32_e64 s[6:7], v38, v21
	v_cndmask_b32_e64 v28, v30, v28, s[6:7]
	v_cndmask_b32_e64 v29, v31, v29, s[6:7]
	v_cmp_gt_u32_e64 s[6:7], 60, v33
	v_cndmask_b32_e64 v30, 0, 1, s[6:7]
	v_lshlrev_b32_e32 v30, 2, v30
	v_add_lshl_u32 v39, v30, v25, 2
	ds_bpermute_b32 v30, v39, v28
	ds_bpermute_b32 v31, v39, v29
	v_lshlrev_b32_e32 v41, 3, v41
	v_add_lshl_u32 v41, v41, v25, 2
	v_cmp_gt_u32_e64 s[10:11], 48, v33
	v_add_u32_e32 v42, 8, v33
	s_waitcnt lgkmcnt(0)
	v_cmp_gt_i64_e64 s[6:7], v[30:31], v[28:29]
	v_cndmask_b32_e64 v50, v29, v31, s[6:7]
	v_cndmask_b32_e64 v51, v28, v30, s[6:7]
	v_cmp_gt_u32_e64 s[6:7], v40, v21
	v_cndmask_b32_e64 v30, v51, v28, s[6:7]
	v_cndmask_b32_e64 v31, v50, v29, s[6:7]
	ds_bpermute_b32 v44, v41, v30
	ds_bpermute_b32 v45, v41, v31
	v_cndmask_b32_e64 v43, 0, 1, s[10:11]
	v_lshlrev_b32_e32 v43, 4, v43
	v_add_lshl_u32 v43, v43, v25, 2
	v_cmp_gt_u32_e64 s[12:13], 32, v33
	s_waitcnt lgkmcnt(0)
	v_cmp_gt_i64_e64 s[8:9], v[44:45], v[30:31]
	v_cndmask_b32_e64 v52, v31, v45, s[8:9]
	v_cndmask_b32_e64 v53, v30, v44, s[8:9]
	v_cmp_gt_u32_e64 s[8:9], v42, v21
	v_cndmask_b32_e64 v30, v53, v30, s[8:9]
	v_cndmask_b32_e64 v31, v52, v31, s[8:9]
	ds_bpermute_b32 v46, v43, v30
	ds_bpermute_b32 v47, v43, v31
	v_add_u32_e32 v44, 16, v33
	v_cndmask_b32_e64 v45, 0, 1, s[12:13]
	v_lshlrev_b32_e32 v45, 5, v45
	v_add_lshl_u32 v45, v45, v25, 2
	s_waitcnt lgkmcnt(0)
	v_cmp_gt_i64_e64 s[10:11], v[46:47], v[30:31]
	v_cndmask_b32_e64 v47, v31, v47, s[10:11]
	v_cndmask_b32_e64 v54, v30, v46, s[10:11]
	v_cmp_gt_u32_e64 s[10:11], v44, v21
	v_cndmask_b32_e64 v30, v54, v30, s[10:11]
	v_cndmask_b32_e64 v31, v47, v31, s[10:11]
	ds_bpermute_b32 v48, v45, v30
	ds_bpermute_b32 v49, v45, v31
	v_cndmask_b32_e32 v19, v19, v29, vcc
	v_cndmask_b32_e32 v18, v18, v28, vcc
	v_cndmask_b32_e64 v18, v51, v18, s[6:7]
	v_cndmask_b32_e64 v19, v50, v19, s[6:7]
	v_add_u32_e32 v46, 32, v33
	s_waitcnt lgkmcnt(0)
	v_cmp_gt_i64_e64 s[12:13], v[48:49], v[30:31]
	v_cndmask_b32_e64 v19, v52, v19, s[8:9]
	v_cndmask_b32_e64 v18, v53, v18, s[8:9]
	;; [unrolled: 1-line block ×6, first 2 shown]
	v_cmp_gt_u32_e32 vcc, v46, v21
	v_cndmask_b32_e32 v19, v30, v19, vcc
	v_cndmask_b32_e32 v18, v25, v18, vcc
	v_mov_b32_e32 v25, 0
	s_branch .LBB3838_38
.LBB3838_37:                            ;   in Loop: Header=BB3838_38 Depth=1
	s_or_b64 exec, exec, s[6:7]
	v_cmp_eq_u16_sdwa s[6:7], v20, v32 src0_sel:BYTE_0 src1_sel:DWORD
	v_and_b32_e32 v21, s7, v17
	ds_bpermute_b32 v30, v34, v18
	ds_bpermute_b32 v31, v34, v19
	v_or_b32_e32 v21, 0x80000000, v21
	v_and_b32_e32 v47, s6, v16
	v_ffbl_b32_e32 v21, v21
	v_add_u32_e32 v21, 32, v21
	v_ffbl_b32_e32 v47, v47
	v_min_u32_e32 v21, v47, v21
	s_waitcnt lgkmcnt(0)
	v_cmp_gt_i64_e32 vcc, v[30:31], v[18:19]
	v_cmp_lt_u32_e64 s[6:7], v33, v21
	v_cndmask_b32_e32 v30, v18, v30, vcc
	s_and_b64 vcc, s[6:7], vcc
	v_cndmask_b32_e64 v30, v18, v30, s[6:7]
	v_cndmask_b32_e32 v31, v19, v31, vcc
	ds_bpermute_b32 v48, v35, v30
	ds_bpermute_b32 v49, v35, v31
	v_subrev_u32_e32 v24, 64, v24
	s_waitcnt lgkmcnt(0)
	v_cmp_gt_i64_e32 vcc, v[48:49], v[30:31]
	v_cndmask_b32_e32 v47, v31, v49, vcc
	v_cndmask_b32_e32 v48, v30, v48, vcc
	v_cmp_gt_u32_e32 vcc, v38, v21
	v_cndmask_b32_e32 v30, v48, v30, vcc
	v_cndmask_b32_e32 v31, v47, v31, vcc
	ds_bpermute_b32 v48, v39, v30
	ds_bpermute_b32 v49, v39, v31
	v_cndmask_b32_e64 v19, v19, v31, s[6:7]
	v_cndmask_b32_e64 v18, v18, v30, s[6:7]
	s_waitcnt lgkmcnt(0)
	v_cmp_gt_i64_e32 vcc, v[48:49], v[30:31]
	v_cndmask_b32_e32 v47, v31, v49, vcc
	v_cndmask_b32_e32 v52, v30, v48, vcc
	v_cmp_gt_u32_e32 vcc, v40, v21
	v_cndmask_b32_e32 v48, v52, v30, vcc
	v_cndmask_b32_e32 v49, v47, v31, vcc
	ds_bpermute_b32 v50, v41, v48
	ds_bpermute_b32 v51, v41, v49
	v_cndmask_b32_e32 v18, v52, v18, vcc
	v_cndmask_b32_e32 v19, v47, v19, vcc
	v_cmp_gt_u32_e32 vcc, v46, v21
	s_waitcnt lgkmcnt(0)
	v_cmp_gt_i64_e64 s[8:9], v[50:51], v[48:49]
	v_cndmask_b32_e64 v53, v49, v51, s[8:9]
	v_cndmask_b32_e64 v54, v48, v50, s[8:9]
	v_cmp_gt_u32_e64 s[8:9], v42, v21
	v_cndmask_b32_e64 v48, v54, v48, s[8:9]
	v_cndmask_b32_e64 v49, v53, v49, s[8:9]
	ds_bpermute_b32 v50, v43, v48
	ds_bpermute_b32 v51, v43, v49
	v_cndmask_b32_e64 v19, v53, v19, s[8:9]
	v_cndmask_b32_e64 v18, v54, v18, s[8:9]
	s_waitcnt lgkmcnt(0)
	v_cmp_gt_i64_e64 s[10:11], v[50:51], v[48:49]
	v_cndmask_b32_e64 v55, v49, v51, s[10:11]
	v_cndmask_b32_e64 v56, v48, v50, s[10:11]
	v_cmp_gt_u32_e64 s[10:11], v44, v21
	v_cndmask_b32_e64 v48, v56, v48, s[10:11]
	v_cndmask_b32_e64 v49, v55, v49, s[10:11]
	ds_bpermute_b32 v50, v45, v48
	ds_bpermute_b32 v51, v45, v49
	v_cndmask_b32_e64 v18, v56, v18, s[10:11]
	v_cndmask_b32_e64 v19, v55, v19, s[10:11]
	s_waitcnt lgkmcnt(0)
	v_cmp_gt_i64_e64 s[12:13], v[50:51], v[48:49]
	v_cndmask_b32_e64 v48, v48, v50, s[12:13]
	v_cndmask_b32_e64 v49, v49, v51, s[12:13]
	v_cndmask_b32_e32 v19, v49, v19, vcc
	v_cndmask_b32_e32 v18, v48, v18, vcc
	v_cmp_gt_i64_e32 vcc, v[18:19], v[28:29]
	v_cndmask_b32_e32 v19, v29, v19, vcc
	v_cndmask_b32_e32 v18, v28, v18, vcc
.LBB3838_38:                            ; =>This Loop Header: Depth=1
                                        ;     Child Loop BB3838_41 Depth 2
	v_cmp_ne_u16_sdwa s[6:7], v20, v32 src0_sel:BYTE_0 src1_sel:DWORD
	v_cndmask_b32_e64 v20, 0, 1, s[6:7]
	;;#ASMSTART
	;;#ASMEND
	v_cmp_ne_u32_e32 vcc, 0, v20
	s_cmp_lg_u64 vcc, exec
	v_pk_mov_b32 v[28:29], v[18:19], v[18:19] op_sel:[0,1]
	s_cbranch_scc1 .LBB3838_43
; %bb.39:                               ;   in Loop: Header=BB3838_38 Depth=1
	v_lshlrev_b64 v[18:19], 4, v[24:25]
	v_mov_b32_e32 v20, s27
	v_add_co_u32_e32 v30, vcc, s26, v18
	v_addc_co_u32_e32 v31, vcc, v20, v19, vcc
	;;#ASMSTART
	global_load_dwordx4 v[18:21], v[30:31] off glc	
s_waitcnt vmcnt(0)
	;;#ASMEND
	v_and_b32_e32 v21, 0xff, v19
	v_and_b32_e32 v47, 0xff00, v19
	v_or3_b32 v21, 0, v21, v47
	v_or3_b32 v18, v18, 0, 0
	v_and_b32_e32 v47, 0xff000000, v19
	v_and_b32_e32 v19, 0xff0000, v19
	v_or3_b32 v19, v21, v19, v47
	v_or3_b32 v18, v18, 0, 0
	v_cmp_eq_u16_sdwa s[8:9], v20, v25 src0_sel:BYTE_0 src1_sel:DWORD
	s_and_saveexec_b64 s[6:7], s[8:9]
	s_cbranch_execz .LBB3838_37
; %bb.40:                               ;   in Loop: Header=BB3838_38 Depth=1
	s_mov_b64 s[8:9], 0
.LBB3838_41:                            ;   Parent Loop BB3838_38 Depth=1
                                        ; =>  This Inner Loop Header: Depth=2
	;;#ASMSTART
	global_load_dwordx4 v[18:21], v[30:31] off glc	
s_waitcnt vmcnt(0)
	;;#ASMEND
	v_cmp_ne_u16_sdwa s[10:11], v20, v25 src0_sel:BYTE_0 src1_sel:DWORD
	s_or_b64 s[8:9], s[10:11], s[8:9]
	s_andn2_b64 exec, exec, s[8:9]
	s_cbranch_execnz .LBB3838_41
; %bb.42:                               ;   in Loop: Header=BB3838_38 Depth=1
	s_or_b64 exec, exec, s[8:9]
	s_branch .LBB3838_37
.LBB3838_43:                            ;   in Loop: Header=BB3838_38 Depth=1
                                        ; implicit-def: $vgpr18_vgpr19
                                        ; implicit-def: $vgpr20
	s_cbranch_execz .LBB3838_38
; %bb.44:
	s_and_saveexec_b64 s[6:7], s[4:5]
	s_cbranch_execz .LBB3838_46
; %bb.45:
	s_add_i32 s4, s35, 64
	s_mov_b32 s5, 0
	s_lshl_b64 s[4:5], s[4:5], 4
	s_add_u32 s4, s26, s4
	v_cmp_gt_i64_e32 vcc, v[28:29], v[14:15]
	s_addc_u32 s5, s27, s5
	v_cndmask_b32_e32 v15, v15, v29, vcc
	v_cndmask_b32_e32 v14, v14, v28, vcc
	v_mov_b32_e32 v16, 2
	v_mov_b32_e32 v17, 0
	v_pk_mov_b32 v[18:19], s[4:5], s[4:5] op_sel:[0,1]
	;;#ASMSTART
	global_store_dwordx4 v[18:19], v[14:17] off	
s_waitcnt vmcnt(0)
	;;#ASMEND
.LBB3838_46:
	s_or_b64 exec, exec, s[6:7]
	s_and_b64 exec, exec, s[0:1]
	s_cbranch_execz .LBB3838_48
; %bb.47:
	v_mov_b32_e32 v14, 0
	ds_write_b64 v14, v[28:29]
.LBB3838_48:
	s_or_b64 exec, exec, s[28:29]
	v_mov_b32_e32 v14, 0
	s_waitcnt lgkmcnt(0)
	s_barrier
	ds_read_b64 v[14:15], v14
	s_waitcnt lgkmcnt(0)
	v_cmp_gt_i64_e32 vcc, v[14:15], v[22:23]
	v_cndmask_b32_e32 v16, v22, v14, vcc
	v_cndmask_b32_e32 v17, v23, v15, vcc
	v_cndmask_b32_e64 v15, v17, v15, s[0:1]
	v_cndmask_b32_e64 v14, v16, v14, s[0:1]
	v_cmp_gt_i64_e32 vcc, v[14:15], v[10:11]
	v_cndmask_b32_e32 v29, v11, v15, vcc
	v_cndmask_b32_e32 v28, v10, v14, vcc
	v_cmp_gt_i64_e32 vcc, v[28:29], v[12:13]
	v_cndmask_b32_e32 v19, v13, v29, vcc
	v_cndmask_b32_e32 v18, v12, v28, vcc
	;; [unrolled: 3-line block ×6, first 2 shown]
	s_branch .LBB3838_61
.LBB3838_49:
                                        ; implicit-def: $vgpr34_vgpr35
                                        ; implicit-def: $vgpr32_vgpr33
                                        ; implicit-def: $vgpr30_vgpr31
                                        ; implicit-def: $vgpr28_vgpr29
                                        ; implicit-def: $vgpr22_vgpr23_vgpr24_vgpr25
                                        ; implicit-def: $vgpr18_vgpr19_vgpr20_vgpr21
                                        ; implicit-def: $vgpr14_vgpr15_vgpr16_vgpr17
	s_cbranch_execz .LBB3838_61
; %bb.50:
	s_cmp_eq_u64 s[20:21], 0
	v_pk_mov_b32 v[20:21], s[14:15], s[14:15] op_sel:[0,1]
	s_cbranch_scc1 .LBB3838_52
; %bb.51:
	v_mov_b32_e32 v17, s34
	v_add_co_u32_e64 v16, vcc, -8, s33
	v_mov_b32_e32 v14, 0
	v_addc_co_u32_e32 v17, vcc, -1, v17, vcc
	global_load_dwordx2 v[14:15], v14, s[16:17]
	s_nop 0
	flat_load_dwordx2 v[16:17], v[16:17]
	s_waitcnt vmcnt(0) lgkmcnt(0)
	v_cmp_gt_i64_e32 vcc, v[14:15], v[16:17]
	v_cndmask_b32_e32 v21, v17, v15, vcc
	v_cndmask_b32_e32 v20, v16, v14, vcc
.LBB3838_52:
	v_cmp_gt_i64_e32 vcc, v[10:11], v[12:13]
	v_cndmask_b32_e32 v15, v13, v11, vcc
	v_cndmask_b32_e32 v14, v12, v10, vcc
	v_cmp_gt_i64_e32 vcc, v[14:15], v[6:7]
	v_cndmask_b32_e32 v15, v7, v15, vcc
	v_cndmask_b32_e32 v14, v6, v14, vcc
	;; [unrolled: 3-line block ×6, first 2 shown]
	v_add_lshl_u32 v1, v1, v0, 3
	v_cmp_gt_u32_e32 vcc, 64, v0
	ds_write_b64 v1, v[18:19]
	s_waitcnt lgkmcnt(0)
	s_barrier
	s_and_saveexec_b64 s[6:7], vcc
	s_cbranch_execz .LBB3838_56
; %bb.53:
	v_lshlrev_b32_e32 v1, 1, v0
	v_lshrrev_b32_e32 v14, 4, v0
	v_add_lshl_u32 v1, v14, v1, 3
	ds_read2_b64 v[14:17], v1 offset1:1
	v_mbcnt_lo_u32_b32 v22, -1, 0
	v_mbcnt_hi_u32_b32 v26, -1, v22
	v_and_b32_e32 v27, 15, v26
	v_and_b32_e32 v29, 16, v26
	s_waitcnt lgkmcnt(0)
	v_cmp_gt_i64_e32 vcc, v[14:15], v[16:17]
	v_cndmask_b32_e32 v17, v17, v15, vcc
	v_cndmask_b32_e32 v16, v16, v14, vcc
	v_cmp_ne_u32_e64 s[4:5], 0, v26
	v_mov_b32_dpp v23, v17 row_shr:1 row_mask:0xf bank_mask:0xf
	v_mov_b32_dpp v22, v16 row_shr:1 row_mask:0xf bank_mask:0xf
	v_cmp_gt_i64_e32 vcc, v[22:23], v[16:17]
	v_cndmask_b32_e32 v22, v16, v22, vcc
	v_cndmask_b32_e32 v23, v17, v23, vcc
	v_cmp_eq_u32_e32 vcc, 0, v27
	v_cndmask_b32_e32 v23, v23, v17, vcc
	v_cndmask_b32_e32 v22, v22, v16, vcc
	s_nop 0
	v_mov_b32_dpp v25, v23 row_shr:2 row_mask:0xf bank_mask:0xf
	v_mov_b32_dpp v24, v22 row_shr:2 row_mask:0xf bank_mask:0xf
	v_cmp_gt_i64_e32 vcc, v[24:25], v[22:23]
	v_cndmask_b32_e32 v24, v22, v24, vcc
	v_cndmask_b32_e32 v25, v23, v25, vcc
	v_cmp_lt_u32_e32 vcc, 1, v27
	v_cndmask_b32_e32 v23, v23, v25, vcc
	v_cndmask_b32_e32 v22, v22, v24, vcc
	s_nop 0
	v_mov_b32_dpp v25, v23 row_shr:4 row_mask:0xf bank_mask:0xf
	v_mov_b32_dpp v24, v22 row_shr:4 row_mask:0xf bank_mask:0xf
	v_cmp_gt_i64_e32 vcc, v[24:25], v[22:23]
	v_cndmask_b32_e32 v24, v22, v24, vcc
	v_cndmask_b32_e32 v25, v23, v25, vcc
	v_cmp_lt_u32_e32 vcc, 3, v27
	;; [unrolled: 9-line block ×3, first 2 shown]
	v_cndmask_b32_e32 v23, v23, v25, vcc
	v_cndmask_b32_e32 v22, v22, v24, vcc
	s_nop 0
	v_mov_b32_dpp v25, v23 row_bcast:15 row_mask:0xf bank_mask:0xf
	v_mov_b32_dpp v24, v22 row_bcast:15 row_mask:0xf bank_mask:0xf
	v_cmp_gt_i64_e32 vcc, v[24:25], v[22:23]
	v_cndmask_b32_e32 v27, v23, v25, vcc
	v_cndmask_b32_e32 v28, v22, v24, vcc
	v_cmp_eq_u32_e32 vcc, 0, v29
	v_cndmask_b32_e32 v25, v27, v23, vcc
	v_cndmask_b32_e32 v24, v28, v22, vcc
	s_nop 0
	v_mov_b32_dpp v25, v25 row_bcast:31 row_mask:0xf bank_mask:0xf
	v_mov_b32_dpp v24, v24 row_bcast:31 row_mask:0xf bank_mask:0xf
	s_and_saveexec_b64 s[8:9], s[4:5]
; %bb.54:
	v_cndmask_b32_e32 v17, v27, v23, vcc
	v_cndmask_b32_e32 v16, v28, v22, vcc
	v_cmp_lt_u32_e64 s[4:5], 31, v26
	v_cmp_gt_i64_e32 vcc, v[24:25], v[16:17]
	s_and_b64 vcc, s[4:5], vcc
	v_cndmask_b32_e32 v16, v16, v24, vcc
	v_cndmask_b32_e32 v17, v17, v25, vcc
; %bb.55:
	s_or_b64 exec, exec, s[8:9]
	v_add_u32_e32 v22, -1, v26
	v_and_b32_e32 v23, 64, v26
	v_cmp_lt_i32_e32 vcc, v22, v23
	v_cndmask_b32_e32 v22, v22, v26, vcc
	v_lshlrev_b32_e32 v22, 2, v22
	ds_bpermute_b32 v16, v22, v16
	ds_bpermute_b32 v17, v22, v17
	; wave barrier
	s_waitcnt lgkmcnt(0)
	v_cmp_gt_i64_e32 vcc, v[16:17], v[14:15]
	v_cndmask_b32_e32 v14, v14, v16, vcc
	v_cndmask_b32_e32 v15, v15, v17, vcc
	v_cndmask_b32_e64 v15, v15, v19, s[0:1]
	v_cndmask_b32_e64 v14, v14, v18, s[0:1]
	ds_write_b64 v1, v[14:15]
	; wave barrier
	ds_read_b64 v[16:17], v1 offset:8
	s_waitcnt lgkmcnt(0)
	v_cmp_gt_i64_e32 vcc, v[14:15], v[16:17]
	v_cndmask_b32_e32 v15, v17, v15, vcc
	v_cndmask_b32_e32 v14, v16, v14, vcc
	ds_write_b64 v1, v[14:15] offset:8
.LBB3838_56:
	s_or_b64 exec, exec, s[6:7]
	v_pk_mov_b32 v[14:15], v[20:21], v[20:21] op_sel:[0,1]
	s_waitcnt lgkmcnt(0)
	s_barrier
	s_and_saveexec_b64 s[4:5], s[2:3]
	s_cbranch_execz .LBB3838_58
; %bb.57:
	v_add_u32_e32 v1, -1, v0
	v_lshrrev_b32_e32 v14, 5, v1
	v_add_lshl_u32 v1, v14, v1, 3
	ds_read_b64 v[14:15], v1
	s_waitcnt lgkmcnt(0)
	v_cmp_gt_i64_e32 vcc, v[20:21], v[14:15]
	v_cndmask_b32_e32 v15, v15, v21, vcc
	v_cndmask_b32_e32 v14, v14, v20, vcc
.LBB3838_58:
	s_or_b64 exec, exec, s[4:5]
	v_cmp_gt_i64_e32 vcc, v[14:15], v[10:11]
	v_cndmask_b32_e32 v29, v11, v15, vcc
	v_cndmask_b32_e32 v28, v10, v14, vcc
	v_cmp_gt_i64_e32 vcc, v[28:29], v[12:13]
	v_cndmask_b32_e32 v19, v13, v29, vcc
	v_cndmask_b32_e32 v18, v12, v28, vcc
	;; [unrolled: 3-line block ×6, first 2 shown]
	s_and_saveexec_b64 s[2:3], s[0:1]
	s_cbranch_execz .LBB3838_60
; %bb.59:
	v_mov_b32_e32 v5, 0
	ds_read_b64 v[2:3], v5 offset:1040
	s_add_u32 s0, s26, 0x400
	s_addc_u32 s1, s27, 0
	v_mov_b32_e32 v4, 2
	v_pk_mov_b32 v[6:7], s[0:1], s[0:1] op_sel:[0,1]
	s_waitcnt lgkmcnt(0)
	v_cmp_gt_i64_e32 vcc, v[20:21], v[2:3]
	v_cndmask_b32_e32 v3, v3, v21, vcc
	v_cndmask_b32_e32 v2, v2, v20, vcc
	;;#ASMSTART
	global_store_dwordx4 v[6:7], v[2:5] off	
s_waitcnt vmcnt(0)
	;;#ASMEND
.LBB3838_60:
	s_or_b64 exec, exec, s[2:3]
.LBB3838_61:
	s_mov_b64 s[0:1], -1
	s_and_b64 vcc, exec, s[24:25]
	s_barrier
	ds_write2_b64 v37, v[14:15], v[28:29] offset1:1
	ds_write2_b64 v37, v[18:19], v[30:31] offset0:2 offset1:3
	ds_write2_b64 v37, v[22:23], v[32:33] offset0:4 offset1:5
	ds_write_b64 v37, v[34:35] offset:48
	s_waitcnt lgkmcnt(0)
	s_cbranch_vccz .LBB3838_63
; %bb.62:
	s_barrier
	s_mov_b64 s[0:1], 0
.LBB3838_63:
	s_andn2_b64 vcc, exec, s[0:1]
	s_cbranch_vccnz .LBB3838_88
; %bb.64:
	v_cmp_lt_u64_e64 s[0:1], s[22:23], 2
	s_and_b64 vcc, exec, s[0:1]
	s_barrier
	s_cbranch_vccnz .LBB3838_88
; %bb.65:
	s_add_u32 s0, s30, -1
	s_addc_u32 s1, s31, -1
	s_add_u32 s2, 0, 0x92481000
	s_addc_u32 s3, 0, 0x64
	s_add_i32 s3, s3, 0x249248c0
	s_mul_hi_u32 s7, s2, -7
	s_sub_i32 s7, s7, s2
	s_mul_i32 s8, s3, -7
	s_mul_i32 s4, s2, -7
	s_add_i32 s7, s7, s8
	s_mul_hi_u32 s5, s3, s4
	s_mul_i32 s6, s3, s4
	s_mul_i32 s9, s2, s7
	s_mul_hi_u32 s4, s2, s4
	s_mul_hi_u32 s8, s2, s7
	s_add_u32 s4, s4, s9
	s_addc_u32 s8, 0, s8
	s_add_u32 s4, s4, s6
	s_mul_hi_u32 s9, s3, s7
	s_addc_u32 s4, s8, s5
	s_addc_u32 s5, s9, 0
	s_mul_i32 s6, s3, s7
	s_add_u32 s4, s4, s6
	v_mov_b32_e32 v2, s4
	s_addc_u32 s5, 0, s5
	v_add_co_u32_e32 v2, vcc, s2, v2
	s_cmp_lg_u64 vcc, 0
	s_addc_u32 s2, s3, s5
	v_readfirstlane_b32 s5, v2
	s_mul_i32 s4, s0, s2
	s_mul_hi_u32 s6, s0, s5
	s_mul_hi_u32 s3, s0, s2
	s_add_u32 s4, s6, s4
	s_addc_u32 s3, 0, s3
	s_mul_hi_u32 s7, s1, s5
	s_mul_i32 s5, s1, s5
	s_add_u32 s4, s4, s5
	s_mul_hi_u32 s6, s1, s2
	s_addc_u32 s3, s3, s7
	s_addc_u32 s4, s6, 0
	s_mul_i32 s2, s1, s2
	s_add_u32 s2, s3, s2
	s_addc_u32 s3, 0, s4
	s_add_u32 s4, s2, 1
	s_addc_u32 s5, s3, 0
	s_add_u32 s6, s2, 2
	s_mul_i32 s8, s3, 7
	s_mul_hi_u32 s9, s2, 7
	s_addc_u32 s7, s3, 0
	s_add_i32 s9, s9, s8
	s_mul_i32 s8, s2, 7
	v_mov_b32_e32 v2, s8
	v_sub_co_u32_e32 v2, vcc, s0, v2
	s_cmp_lg_u64 vcc, 0
	s_subb_u32 s8, s1, s9
	v_subrev_co_u32_e32 v3, vcc, 7, v2
	s_cmp_lg_u64 vcc, 0
	s_subb_u32 s9, s8, 0
	v_readfirstlane_b32 s10, v3
	s_cmp_gt_u32 s10, 6
	s_cselect_b32 s10, -1, 0
	s_cmp_eq_u32 s9, 0
	s_cselect_b32 s9, s10, -1
	s_cmp_lg_u32 s9, 0
	s_cselect_b32 s4, s6, s4
	v_readfirstlane_b32 s6, v2
	s_cselect_b32 s5, s7, s5
	s_cmp_gt_u32 s6, 6
	s_cselect_b32 s6, -1, 0
	s_cmp_eq_u32 s8, 0
	s_cselect_b32 s6, s6, -1
	s_cmp_lg_u32 s6, 0
	v_mov_b32_e32 v1, 0
	s_cselect_b32 s3, s5, s3
	s_cselect_b32 s2, s4, s2
	v_cmp_eq_u64_e32 vcc, s[2:3], v[0:1]
	s_and_saveexec_b64 s[2:3], vcc
	s_cbranch_execz .LBB3838_88
; %bb.66:
	s_movk_i32 s2, 0xffd0
	v_mad_i32_i24 v2, v0, s2, v37
	v_mul_hi_u32_u24_e32 v1, 7, v0
	v_mov_b32_e32 v3, s1
	v_sub_co_u32_e32 v0, vcc, s0, v36
	v_subb_co_u32_e32 v1, vcc, v3, v1, vcc
	v_cmp_lt_i64_e32 vcc, 3, v[0:1]
	s_and_saveexec_b64 s[0:1], vcc
	s_xor_b64 s[0:1], exec, s[0:1]
	s_cbranch_execz .LBB3838_76
; %bb.67:
	v_cmp_lt_i64_e32 vcc, 4, v[0:1]
	s_and_saveexec_b64 s[2:3], vcc
	s_xor_b64 s[2:3], exec, s[2:3]
	s_cbranch_execz .LBB3838_73
; %bb.68:
	;; [unrolled: 5-line block ×3, first 2 shown]
	ds_read_b64 v[0:1], v2 offset:6144
	v_mov_b32_e32 v2, 0
	s_waitcnt lgkmcnt(0)
	global_store_dwordx2 v2, v[0:1], s[18:19]
                                        ; implicit-def: $vgpr2
.LBB3838_70:
	s_andn2_saveexec_b64 s[4:5], s[4:5]
	s_cbranch_execz .LBB3838_72
; %bb.71:
	ds_read_b64 v[0:1], v2 offset:5120
	v_mov_b32_e32 v2, 0
	s_waitcnt lgkmcnt(0)
	global_store_dwordx2 v2, v[0:1], s[18:19]
.LBB3838_72:
	s_or_b64 exec, exec, s[4:5]
                                        ; implicit-def: $vgpr2
.LBB3838_73:
	s_andn2_saveexec_b64 s[2:3], s[2:3]
	s_cbranch_execz .LBB3838_75
; %bb.74:
	ds_read_b64 v[0:1], v2 offset:4096
	v_mov_b32_e32 v2, 0
	s_waitcnt lgkmcnt(0)
	global_store_dwordx2 v2, v[0:1], s[18:19]
.LBB3838_75:
	s_or_b64 exec, exec, s[2:3]
                                        ; implicit-def: $vgpr0_vgpr1
                                        ; implicit-def: $vgpr2
.LBB3838_76:
	s_andn2_saveexec_b64 s[0:1], s[0:1]
	s_cbranch_execz .LBB3838_88
; %bb.77:
	v_cmp_lt_i64_e32 vcc, 1, v[0:1]
	s_and_saveexec_b64 s[0:1], vcc
	s_xor_b64 s[0:1], exec, s[0:1]
	s_cbranch_execz .LBB3838_83
; %bb.78:
	v_cmp_lt_i64_e32 vcc, 2, v[0:1]
	s_and_saveexec_b64 s[2:3], vcc
	s_xor_b64 s[2:3], exec, s[2:3]
	s_cbranch_execz .LBB3838_80
; %bb.79:
	ds_read_b64 v[0:1], v2 offset:3072
	v_mov_b32_e32 v2, 0
	s_waitcnt lgkmcnt(0)
	global_store_dwordx2 v2, v[0:1], s[18:19]
                                        ; implicit-def: $vgpr2
.LBB3838_80:
	s_andn2_saveexec_b64 s[2:3], s[2:3]
	s_cbranch_execz .LBB3838_82
; %bb.81:
	ds_read_b64 v[0:1], v2 offset:2048
	v_mov_b32_e32 v2, 0
	s_waitcnt lgkmcnt(0)
	global_store_dwordx2 v2, v[0:1], s[18:19]
.LBB3838_82:
	s_or_b64 exec, exec, s[2:3]
                                        ; implicit-def: $vgpr2
                                        ; implicit-def: $vgpr0_vgpr1
.LBB3838_83:
	s_andn2_saveexec_b64 s[0:1], s[0:1]
	s_cbranch_execz .LBB3838_88
; %bb.84:
	v_cmp_ne_u64_e32 vcc, 1, v[0:1]
	s_and_saveexec_b64 s[0:1], vcc
	s_xor_b64 s[0:1], exec, s[0:1]
	s_cbranch_execz .LBB3838_86
; %bb.85:
	ds_read_b64 v[0:1], v2
	v_mov_b32_e32 v2, 0
	s_waitcnt lgkmcnt(0)
	global_store_dwordx2 v2, v[0:1], s[18:19]
                                        ; implicit-def: $vgpr2
.LBB3838_86:
	s_andn2_saveexec_b64 s[0:1], s[0:1]
	s_cbranch_execz .LBB3838_88
; %bb.87:
	ds_read_b64 v[0:1], v2 offset:1024
	v_mov_b32_e32 v2, 0
	s_waitcnt lgkmcnt(0)
	global_store_dwordx2 v2, v[0:1], s[18:19]
.LBB3838_88:
	s_endpgm
	.section	.rodata,"a",@progbits
	.p2align	6, 0x0
	.amdhsa_kernel _ZN7rocprim17ROCPRIM_400000_NS6detail17trampoline_kernelINS0_14default_configENS1_20scan_config_selectorIxEEZZNS1_9scan_implILNS1_25lookback_scan_determinismE0ELb1ELb1ES3_N6thrust23THRUST_200600_302600_NS6detail15normal_iteratorINS9_10device_ptrIxEEEENS9_16discard_iteratorINS9_11use_defaultEEEx11max_functorIxExEEDaPvRmT3_T4_T5_mT6_P12ihipStream_tbENKUlT_T0_E_clISt17integral_constantIbLb0EESW_IbLb1EEEEDaSS_ST_EUlSS_E_NS1_11comp_targetILNS1_3genE4ELNS1_11target_archE910ELNS1_3gpuE8ELNS1_3repE0EEENS1_30default_config_static_selectorELNS0_4arch9wavefront6targetE1EEEvT1_
		.amdhsa_group_segment_fixed_size 7168
		.amdhsa_private_segment_fixed_size 0
		.amdhsa_kernarg_size 112
		.amdhsa_user_sgpr_count 6
		.amdhsa_user_sgpr_private_segment_buffer 1
		.amdhsa_user_sgpr_dispatch_ptr 0
		.amdhsa_user_sgpr_queue_ptr 0
		.amdhsa_user_sgpr_kernarg_segment_ptr 1
		.amdhsa_user_sgpr_dispatch_id 0
		.amdhsa_user_sgpr_flat_scratch_init 0
		.amdhsa_user_sgpr_kernarg_preload_length 0
		.amdhsa_user_sgpr_kernarg_preload_offset 0
		.amdhsa_user_sgpr_private_segment_size 0
		.amdhsa_uses_dynamic_stack 0
		.amdhsa_system_sgpr_private_segment_wavefront_offset 0
		.amdhsa_system_sgpr_workgroup_id_x 1
		.amdhsa_system_sgpr_workgroup_id_y 0
		.amdhsa_system_sgpr_workgroup_id_z 0
		.amdhsa_system_sgpr_workgroup_info 0
		.amdhsa_system_vgpr_workitem_id 0
		.amdhsa_next_free_vgpr 57
		.amdhsa_next_free_sgpr 36
		.amdhsa_accum_offset 60
		.amdhsa_reserve_vcc 1
		.amdhsa_reserve_flat_scratch 0
		.amdhsa_float_round_mode_32 0
		.amdhsa_float_round_mode_16_64 0
		.amdhsa_float_denorm_mode_32 3
		.amdhsa_float_denorm_mode_16_64 3
		.amdhsa_dx10_clamp 1
		.amdhsa_ieee_mode 1
		.amdhsa_fp16_overflow 0
		.amdhsa_tg_split 0
		.amdhsa_exception_fp_ieee_invalid_op 0
		.amdhsa_exception_fp_denorm_src 0
		.amdhsa_exception_fp_ieee_div_zero 0
		.amdhsa_exception_fp_ieee_overflow 0
		.amdhsa_exception_fp_ieee_underflow 0
		.amdhsa_exception_fp_ieee_inexact 0
		.amdhsa_exception_int_div_zero 0
	.end_amdhsa_kernel
	.section	.text._ZN7rocprim17ROCPRIM_400000_NS6detail17trampoline_kernelINS0_14default_configENS1_20scan_config_selectorIxEEZZNS1_9scan_implILNS1_25lookback_scan_determinismE0ELb1ELb1ES3_N6thrust23THRUST_200600_302600_NS6detail15normal_iteratorINS9_10device_ptrIxEEEENS9_16discard_iteratorINS9_11use_defaultEEEx11max_functorIxExEEDaPvRmT3_T4_T5_mT6_P12ihipStream_tbENKUlT_T0_E_clISt17integral_constantIbLb0EESW_IbLb1EEEEDaSS_ST_EUlSS_E_NS1_11comp_targetILNS1_3genE4ELNS1_11target_archE910ELNS1_3gpuE8ELNS1_3repE0EEENS1_30default_config_static_selectorELNS0_4arch9wavefront6targetE1EEEvT1_,"axG",@progbits,_ZN7rocprim17ROCPRIM_400000_NS6detail17trampoline_kernelINS0_14default_configENS1_20scan_config_selectorIxEEZZNS1_9scan_implILNS1_25lookback_scan_determinismE0ELb1ELb1ES3_N6thrust23THRUST_200600_302600_NS6detail15normal_iteratorINS9_10device_ptrIxEEEENS9_16discard_iteratorINS9_11use_defaultEEEx11max_functorIxExEEDaPvRmT3_T4_T5_mT6_P12ihipStream_tbENKUlT_T0_E_clISt17integral_constantIbLb0EESW_IbLb1EEEEDaSS_ST_EUlSS_E_NS1_11comp_targetILNS1_3genE4ELNS1_11target_archE910ELNS1_3gpuE8ELNS1_3repE0EEENS1_30default_config_static_selectorELNS0_4arch9wavefront6targetE1EEEvT1_,comdat
.Lfunc_end3838:
	.size	_ZN7rocprim17ROCPRIM_400000_NS6detail17trampoline_kernelINS0_14default_configENS1_20scan_config_selectorIxEEZZNS1_9scan_implILNS1_25lookback_scan_determinismE0ELb1ELb1ES3_N6thrust23THRUST_200600_302600_NS6detail15normal_iteratorINS9_10device_ptrIxEEEENS9_16discard_iteratorINS9_11use_defaultEEEx11max_functorIxExEEDaPvRmT3_T4_T5_mT6_P12ihipStream_tbENKUlT_T0_E_clISt17integral_constantIbLb0EESW_IbLb1EEEEDaSS_ST_EUlSS_E_NS1_11comp_targetILNS1_3genE4ELNS1_11target_archE910ELNS1_3gpuE8ELNS1_3repE0EEENS1_30default_config_static_selectorELNS0_4arch9wavefront6targetE1EEEvT1_, .Lfunc_end3838-_ZN7rocprim17ROCPRIM_400000_NS6detail17trampoline_kernelINS0_14default_configENS1_20scan_config_selectorIxEEZZNS1_9scan_implILNS1_25lookback_scan_determinismE0ELb1ELb1ES3_N6thrust23THRUST_200600_302600_NS6detail15normal_iteratorINS9_10device_ptrIxEEEENS9_16discard_iteratorINS9_11use_defaultEEEx11max_functorIxExEEDaPvRmT3_T4_T5_mT6_P12ihipStream_tbENKUlT_T0_E_clISt17integral_constantIbLb0EESW_IbLb1EEEEDaSS_ST_EUlSS_E_NS1_11comp_targetILNS1_3genE4ELNS1_11target_archE910ELNS1_3gpuE8ELNS1_3repE0EEENS1_30default_config_static_selectorELNS0_4arch9wavefront6targetE1EEEvT1_
                                        ; -- End function
	.section	.AMDGPU.csdata,"",@progbits
; Kernel info:
; codeLenInByte = 5380
; NumSgprs: 40
; NumVgprs: 57
; NumAgprs: 0
; TotalNumVgprs: 57
; ScratchSize: 0
; MemoryBound: 0
; FloatMode: 240
; IeeeMode: 1
; LDSByteSize: 7168 bytes/workgroup (compile time only)
; SGPRBlocks: 4
; VGPRBlocks: 7
; NumSGPRsForWavesPerEU: 40
; NumVGPRsForWavesPerEU: 57
; AccumOffset: 60
; Occupancy: 5
; WaveLimiterHint : 1
; COMPUTE_PGM_RSRC2:SCRATCH_EN: 0
; COMPUTE_PGM_RSRC2:USER_SGPR: 6
; COMPUTE_PGM_RSRC2:TRAP_HANDLER: 0
; COMPUTE_PGM_RSRC2:TGID_X_EN: 1
; COMPUTE_PGM_RSRC2:TGID_Y_EN: 0
; COMPUTE_PGM_RSRC2:TGID_Z_EN: 0
; COMPUTE_PGM_RSRC2:TIDIG_COMP_CNT: 0
; COMPUTE_PGM_RSRC3_GFX90A:ACCUM_OFFSET: 14
; COMPUTE_PGM_RSRC3_GFX90A:TG_SPLIT: 0
	.section	.text._ZN7rocprim17ROCPRIM_400000_NS6detail17trampoline_kernelINS0_14default_configENS1_20scan_config_selectorIxEEZZNS1_9scan_implILNS1_25lookback_scan_determinismE0ELb1ELb1ES3_N6thrust23THRUST_200600_302600_NS6detail15normal_iteratorINS9_10device_ptrIxEEEENS9_16discard_iteratorINS9_11use_defaultEEEx11max_functorIxExEEDaPvRmT3_T4_T5_mT6_P12ihipStream_tbENKUlT_T0_E_clISt17integral_constantIbLb0EESW_IbLb1EEEEDaSS_ST_EUlSS_E_NS1_11comp_targetILNS1_3genE3ELNS1_11target_archE908ELNS1_3gpuE7ELNS1_3repE0EEENS1_30default_config_static_selectorELNS0_4arch9wavefront6targetE1EEEvT1_,"axG",@progbits,_ZN7rocprim17ROCPRIM_400000_NS6detail17trampoline_kernelINS0_14default_configENS1_20scan_config_selectorIxEEZZNS1_9scan_implILNS1_25lookback_scan_determinismE0ELb1ELb1ES3_N6thrust23THRUST_200600_302600_NS6detail15normal_iteratorINS9_10device_ptrIxEEEENS9_16discard_iteratorINS9_11use_defaultEEEx11max_functorIxExEEDaPvRmT3_T4_T5_mT6_P12ihipStream_tbENKUlT_T0_E_clISt17integral_constantIbLb0EESW_IbLb1EEEEDaSS_ST_EUlSS_E_NS1_11comp_targetILNS1_3genE3ELNS1_11target_archE908ELNS1_3gpuE7ELNS1_3repE0EEENS1_30default_config_static_selectorELNS0_4arch9wavefront6targetE1EEEvT1_,comdat
	.protected	_ZN7rocprim17ROCPRIM_400000_NS6detail17trampoline_kernelINS0_14default_configENS1_20scan_config_selectorIxEEZZNS1_9scan_implILNS1_25lookback_scan_determinismE0ELb1ELb1ES3_N6thrust23THRUST_200600_302600_NS6detail15normal_iteratorINS9_10device_ptrIxEEEENS9_16discard_iteratorINS9_11use_defaultEEEx11max_functorIxExEEDaPvRmT3_T4_T5_mT6_P12ihipStream_tbENKUlT_T0_E_clISt17integral_constantIbLb0EESW_IbLb1EEEEDaSS_ST_EUlSS_E_NS1_11comp_targetILNS1_3genE3ELNS1_11target_archE908ELNS1_3gpuE7ELNS1_3repE0EEENS1_30default_config_static_selectorELNS0_4arch9wavefront6targetE1EEEvT1_ ; -- Begin function _ZN7rocprim17ROCPRIM_400000_NS6detail17trampoline_kernelINS0_14default_configENS1_20scan_config_selectorIxEEZZNS1_9scan_implILNS1_25lookback_scan_determinismE0ELb1ELb1ES3_N6thrust23THRUST_200600_302600_NS6detail15normal_iteratorINS9_10device_ptrIxEEEENS9_16discard_iteratorINS9_11use_defaultEEEx11max_functorIxExEEDaPvRmT3_T4_T5_mT6_P12ihipStream_tbENKUlT_T0_E_clISt17integral_constantIbLb0EESW_IbLb1EEEEDaSS_ST_EUlSS_E_NS1_11comp_targetILNS1_3genE3ELNS1_11target_archE908ELNS1_3gpuE7ELNS1_3repE0EEENS1_30default_config_static_selectorELNS0_4arch9wavefront6targetE1EEEvT1_
	.globl	_ZN7rocprim17ROCPRIM_400000_NS6detail17trampoline_kernelINS0_14default_configENS1_20scan_config_selectorIxEEZZNS1_9scan_implILNS1_25lookback_scan_determinismE0ELb1ELb1ES3_N6thrust23THRUST_200600_302600_NS6detail15normal_iteratorINS9_10device_ptrIxEEEENS9_16discard_iteratorINS9_11use_defaultEEEx11max_functorIxExEEDaPvRmT3_T4_T5_mT6_P12ihipStream_tbENKUlT_T0_E_clISt17integral_constantIbLb0EESW_IbLb1EEEEDaSS_ST_EUlSS_E_NS1_11comp_targetILNS1_3genE3ELNS1_11target_archE908ELNS1_3gpuE7ELNS1_3repE0EEENS1_30default_config_static_selectorELNS0_4arch9wavefront6targetE1EEEvT1_
	.p2align	8
	.type	_ZN7rocprim17ROCPRIM_400000_NS6detail17trampoline_kernelINS0_14default_configENS1_20scan_config_selectorIxEEZZNS1_9scan_implILNS1_25lookback_scan_determinismE0ELb1ELb1ES3_N6thrust23THRUST_200600_302600_NS6detail15normal_iteratorINS9_10device_ptrIxEEEENS9_16discard_iteratorINS9_11use_defaultEEEx11max_functorIxExEEDaPvRmT3_T4_T5_mT6_P12ihipStream_tbENKUlT_T0_E_clISt17integral_constantIbLb0EESW_IbLb1EEEEDaSS_ST_EUlSS_E_NS1_11comp_targetILNS1_3genE3ELNS1_11target_archE908ELNS1_3gpuE7ELNS1_3repE0EEENS1_30default_config_static_selectorELNS0_4arch9wavefront6targetE1EEEvT1_,@function
_ZN7rocprim17ROCPRIM_400000_NS6detail17trampoline_kernelINS0_14default_configENS1_20scan_config_selectorIxEEZZNS1_9scan_implILNS1_25lookback_scan_determinismE0ELb1ELb1ES3_N6thrust23THRUST_200600_302600_NS6detail15normal_iteratorINS9_10device_ptrIxEEEENS9_16discard_iteratorINS9_11use_defaultEEEx11max_functorIxExEEDaPvRmT3_T4_T5_mT6_P12ihipStream_tbENKUlT_T0_E_clISt17integral_constantIbLb0EESW_IbLb1EEEEDaSS_ST_EUlSS_E_NS1_11comp_targetILNS1_3genE3ELNS1_11target_archE908ELNS1_3gpuE7ELNS1_3repE0EEENS1_30default_config_static_selectorELNS0_4arch9wavefront6targetE1EEEvT1_: ; @_ZN7rocprim17ROCPRIM_400000_NS6detail17trampoline_kernelINS0_14default_configENS1_20scan_config_selectorIxEEZZNS1_9scan_implILNS1_25lookback_scan_determinismE0ELb1ELb1ES3_N6thrust23THRUST_200600_302600_NS6detail15normal_iteratorINS9_10device_ptrIxEEEENS9_16discard_iteratorINS9_11use_defaultEEEx11max_functorIxExEEDaPvRmT3_T4_T5_mT6_P12ihipStream_tbENKUlT_T0_E_clISt17integral_constantIbLb0EESW_IbLb1EEEEDaSS_ST_EUlSS_E_NS1_11comp_targetILNS1_3genE3ELNS1_11target_archE908ELNS1_3gpuE7ELNS1_3repE0EEENS1_30default_config_static_selectorELNS0_4arch9wavefront6targetE1EEEvT1_
; %bb.0:
	.section	.rodata,"a",@progbits
	.p2align	6, 0x0
	.amdhsa_kernel _ZN7rocprim17ROCPRIM_400000_NS6detail17trampoline_kernelINS0_14default_configENS1_20scan_config_selectorIxEEZZNS1_9scan_implILNS1_25lookback_scan_determinismE0ELb1ELb1ES3_N6thrust23THRUST_200600_302600_NS6detail15normal_iteratorINS9_10device_ptrIxEEEENS9_16discard_iteratorINS9_11use_defaultEEEx11max_functorIxExEEDaPvRmT3_T4_T5_mT6_P12ihipStream_tbENKUlT_T0_E_clISt17integral_constantIbLb0EESW_IbLb1EEEEDaSS_ST_EUlSS_E_NS1_11comp_targetILNS1_3genE3ELNS1_11target_archE908ELNS1_3gpuE7ELNS1_3repE0EEENS1_30default_config_static_selectorELNS0_4arch9wavefront6targetE1EEEvT1_
		.amdhsa_group_segment_fixed_size 0
		.amdhsa_private_segment_fixed_size 0
		.amdhsa_kernarg_size 112
		.amdhsa_user_sgpr_count 6
		.amdhsa_user_sgpr_private_segment_buffer 1
		.amdhsa_user_sgpr_dispatch_ptr 0
		.amdhsa_user_sgpr_queue_ptr 0
		.amdhsa_user_sgpr_kernarg_segment_ptr 1
		.amdhsa_user_sgpr_dispatch_id 0
		.amdhsa_user_sgpr_flat_scratch_init 0
		.amdhsa_user_sgpr_kernarg_preload_length 0
		.amdhsa_user_sgpr_kernarg_preload_offset 0
		.amdhsa_user_sgpr_private_segment_size 0
		.amdhsa_uses_dynamic_stack 0
		.amdhsa_system_sgpr_private_segment_wavefront_offset 0
		.amdhsa_system_sgpr_workgroup_id_x 1
		.amdhsa_system_sgpr_workgroup_id_y 0
		.amdhsa_system_sgpr_workgroup_id_z 0
		.amdhsa_system_sgpr_workgroup_info 0
		.amdhsa_system_vgpr_workitem_id 0
		.amdhsa_next_free_vgpr 1
		.amdhsa_next_free_sgpr 0
		.amdhsa_accum_offset 4
		.amdhsa_reserve_vcc 0
		.amdhsa_reserve_flat_scratch 0
		.amdhsa_float_round_mode_32 0
		.amdhsa_float_round_mode_16_64 0
		.amdhsa_float_denorm_mode_32 3
		.amdhsa_float_denorm_mode_16_64 3
		.amdhsa_dx10_clamp 1
		.amdhsa_ieee_mode 1
		.amdhsa_fp16_overflow 0
		.amdhsa_tg_split 0
		.amdhsa_exception_fp_ieee_invalid_op 0
		.amdhsa_exception_fp_denorm_src 0
		.amdhsa_exception_fp_ieee_div_zero 0
		.amdhsa_exception_fp_ieee_overflow 0
		.amdhsa_exception_fp_ieee_underflow 0
		.amdhsa_exception_fp_ieee_inexact 0
		.amdhsa_exception_int_div_zero 0
	.end_amdhsa_kernel
	.section	.text._ZN7rocprim17ROCPRIM_400000_NS6detail17trampoline_kernelINS0_14default_configENS1_20scan_config_selectorIxEEZZNS1_9scan_implILNS1_25lookback_scan_determinismE0ELb1ELb1ES3_N6thrust23THRUST_200600_302600_NS6detail15normal_iteratorINS9_10device_ptrIxEEEENS9_16discard_iteratorINS9_11use_defaultEEEx11max_functorIxExEEDaPvRmT3_T4_T5_mT6_P12ihipStream_tbENKUlT_T0_E_clISt17integral_constantIbLb0EESW_IbLb1EEEEDaSS_ST_EUlSS_E_NS1_11comp_targetILNS1_3genE3ELNS1_11target_archE908ELNS1_3gpuE7ELNS1_3repE0EEENS1_30default_config_static_selectorELNS0_4arch9wavefront6targetE1EEEvT1_,"axG",@progbits,_ZN7rocprim17ROCPRIM_400000_NS6detail17trampoline_kernelINS0_14default_configENS1_20scan_config_selectorIxEEZZNS1_9scan_implILNS1_25lookback_scan_determinismE0ELb1ELb1ES3_N6thrust23THRUST_200600_302600_NS6detail15normal_iteratorINS9_10device_ptrIxEEEENS9_16discard_iteratorINS9_11use_defaultEEEx11max_functorIxExEEDaPvRmT3_T4_T5_mT6_P12ihipStream_tbENKUlT_T0_E_clISt17integral_constantIbLb0EESW_IbLb1EEEEDaSS_ST_EUlSS_E_NS1_11comp_targetILNS1_3genE3ELNS1_11target_archE908ELNS1_3gpuE7ELNS1_3repE0EEENS1_30default_config_static_selectorELNS0_4arch9wavefront6targetE1EEEvT1_,comdat
.Lfunc_end3839:
	.size	_ZN7rocprim17ROCPRIM_400000_NS6detail17trampoline_kernelINS0_14default_configENS1_20scan_config_selectorIxEEZZNS1_9scan_implILNS1_25lookback_scan_determinismE0ELb1ELb1ES3_N6thrust23THRUST_200600_302600_NS6detail15normal_iteratorINS9_10device_ptrIxEEEENS9_16discard_iteratorINS9_11use_defaultEEEx11max_functorIxExEEDaPvRmT3_T4_T5_mT6_P12ihipStream_tbENKUlT_T0_E_clISt17integral_constantIbLb0EESW_IbLb1EEEEDaSS_ST_EUlSS_E_NS1_11comp_targetILNS1_3genE3ELNS1_11target_archE908ELNS1_3gpuE7ELNS1_3repE0EEENS1_30default_config_static_selectorELNS0_4arch9wavefront6targetE1EEEvT1_, .Lfunc_end3839-_ZN7rocprim17ROCPRIM_400000_NS6detail17trampoline_kernelINS0_14default_configENS1_20scan_config_selectorIxEEZZNS1_9scan_implILNS1_25lookback_scan_determinismE0ELb1ELb1ES3_N6thrust23THRUST_200600_302600_NS6detail15normal_iteratorINS9_10device_ptrIxEEEENS9_16discard_iteratorINS9_11use_defaultEEEx11max_functorIxExEEDaPvRmT3_T4_T5_mT6_P12ihipStream_tbENKUlT_T0_E_clISt17integral_constantIbLb0EESW_IbLb1EEEEDaSS_ST_EUlSS_E_NS1_11comp_targetILNS1_3genE3ELNS1_11target_archE908ELNS1_3gpuE7ELNS1_3repE0EEENS1_30default_config_static_selectorELNS0_4arch9wavefront6targetE1EEEvT1_
                                        ; -- End function
	.section	.AMDGPU.csdata,"",@progbits
; Kernel info:
; codeLenInByte = 0
; NumSgprs: 4
; NumVgprs: 0
; NumAgprs: 0
; TotalNumVgprs: 0
; ScratchSize: 0
; MemoryBound: 0
; FloatMode: 240
; IeeeMode: 1
; LDSByteSize: 0 bytes/workgroup (compile time only)
; SGPRBlocks: 0
; VGPRBlocks: 0
; NumSGPRsForWavesPerEU: 4
; NumVGPRsForWavesPerEU: 1
; AccumOffset: 4
; Occupancy: 8
; WaveLimiterHint : 0
; COMPUTE_PGM_RSRC2:SCRATCH_EN: 0
; COMPUTE_PGM_RSRC2:USER_SGPR: 6
; COMPUTE_PGM_RSRC2:TRAP_HANDLER: 0
; COMPUTE_PGM_RSRC2:TGID_X_EN: 1
; COMPUTE_PGM_RSRC2:TGID_Y_EN: 0
; COMPUTE_PGM_RSRC2:TGID_Z_EN: 0
; COMPUTE_PGM_RSRC2:TIDIG_COMP_CNT: 0
; COMPUTE_PGM_RSRC3_GFX90A:ACCUM_OFFSET: 0
; COMPUTE_PGM_RSRC3_GFX90A:TG_SPLIT: 0
	.section	.text._ZN7rocprim17ROCPRIM_400000_NS6detail17trampoline_kernelINS0_14default_configENS1_20scan_config_selectorIxEEZZNS1_9scan_implILNS1_25lookback_scan_determinismE0ELb1ELb1ES3_N6thrust23THRUST_200600_302600_NS6detail15normal_iteratorINS9_10device_ptrIxEEEENS9_16discard_iteratorINS9_11use_defaultEEEx11max_functorIxExEEDaPvRmT3_T4_T5_mT6_P12ihipStream_tbENKUlT_T0_E_clISt17integral_constantIbLb0EESW_IbLb1EEEEDaSS_ST_EUlSS_E_NS1_11comp_targetILNS1_3genE2ELNS1_11target_archE906ELNS1_3gpuE6ELNS1_3repE0EEENS1_30default_config_static_selectorELNS0_4arch9wavefront6targetE1EEEvT1_,"axG",@progbits,_ZN7rocprim17ROCPRIM_400000_NS6detail17trampoline_kernelINS0_14default_configENS1_20scan_config_selectorIxEEZZNS1_9scan_implILNS1_25lookback_scan_determinismE0ELb1ELb1ES3_N6thrust23THRUST_200600_302600_NS6detail15normal_iteratorINS9_10device_ptrIxEEEENS9_16discard_iteratorINS9_11use_defaultEEEx11max_functorIxExEEDaPvRmT3_T4_T5_mT6_P12ihipStream_tbENKUlT_T0_E_clISt17integral_constantIbLb0EESW_IbLb1EEEEDaSS_ST_EUlSS_E_NS1_11comp_targetILNS1_3genE2ELNS1_11target_archE906ELNS1_3gpuE6ELNS1_3repE0EEENS1_30default_config_static_selectorELNS0_4arch9wavefront6targetE1EEEvT1_,comdat
	.protected	_ZN7rocprim17ROCPRIM_400000_NS6detail17trampoline_kernelINS0_14default_configENS1_20scan_config_selectorIxEEZZNS1_9scan_implILNS1_25lookback_scan_determinismE0ELb1ELb1ES3_N6thrust23THRUST_200600_302600_NS6detail15normal_iteratorINS9_10device_ptrIxEEEENS9_16discard_iteratorINS9_11use_defaultEEEx11max_functorIxExEEDaPvRmT3_T4_T5_mT6_P12ihipStream_tbENKUlT_T0_E_clISt17integral_constantIbLb0EESW_IbLb1EEEEDaSS_ST_EUlSS_E_NS1_11comp_targetILNS1_3genE2ELNS1_11target_archE906ELNS1_3gpuE6ELNS1_3repE0EEENS1_30default_config_static_selectorELNS0_4arch9wavefront6targetE1EEEvT1_ ; -- Begin function _ZN7rocprim17ROCPRIM_400000_NS6detail17trampoline_kernelINS0_14default_configENS1_20scan_config_selectorIxEEZZNS1_9scan_implILNS1_25lookback_scan_determinismE0ELb1ELb1ES3_N6thrust23THRUST_200600_302600_NS6detail15normal_iteratorINS9_10device_ptrIxEEEENS9_16discard_iteratorINS9_11use_defaultEEEx11max_functorIxExEEDaPvRmT3_T4_T5_mT6_P12ihipStream_tbENKUlT_T0_E_clISt17integral_constantIbLb0EESW_IbLb1EEEEDaSS_ST_EUlSS_E_NS1_11comp_targetILNS1_3genE2ELNS1_11target_archE906ELNS1_3gpuE6ELNS1_3repE0EEENS1_30default_config_static_selectorELNS0_4arch9wavefront6targetE1EEEvT1_
	.globl	_ZN7rocprim17ROCPRIM_400000_NS6detail17trampoline_kernelINS0_14default_configENS1_20scan_config_selectorIxEEZZNS1_9scan_implILNS1_25lookback_scan_determinismE0ELb1ELb1ES3_N6thrust23THRUST_200600_302600_NS6detail15normal_iteratorINS9_10device_ptrIxEEEENS9_16discard_iteratorINS9_11use_defaultEEEx11max_functorIxExEEDaPvRmT3_T4_T5_mT6_P12ihipStream_tbENKUlT_T0_E_clISt17integral_constantIbLb0EESW_IbLb1EEEEDaSS_ST_EUlSS_E_NS1_11comp_targetILNS1_3genE2ELNS1_11target_archE906ELNS1_3gpuE6ELNS1_3repE0EEENS1_30default_config_static_selectorELNS0_4arch9wavefront6targetE1EEEvT1_
	.p2align	8
	.type	_ZN7rocprim17ROCPRIM_400000_NS6detail17trampoline_kernelINS0_14default_configENS1_20scan_config_selectorIxEEZZNS1_9scan_implILNS1_25lookback_scan_determinismE0ELb1ELb1ES3_N6thrust23THRUST_200600_302600_NS6detail15normal_iteratorINS9_10device_ptrIxEEEENS9_16discard_iteratorINS9_11use_defaultEEEx11max_functorIxExEEDaPvRmT3_T4_T5_mT6_P12ihipStream_tbENKUlT_T0_E_clISt17integral_constantIbLb0EESW_IbLb1EEEEDaSS_ST_EUlSS_E_NS1_11comp_targetILNS1_3genE2ELNS1_11target_archE906ELNS1_3gpuE6ELNS1_3repE0EEENS1_30default_config_static_selectorELNS0_4arch9wavefront6targetE1EEEvT1_,@function
_ZN7rocprim17ROCPRIM_400000_NS6detail17trampoline_kernelINS0_14default_configENS1_20scan_config_selectorIxEEZZNS1_9scan_implILNS1_25lookback_scan_determinismE0ELb1ELb1ES3_N6thrust23THRUST_200600_302600_NS6detail15normal_iteratorINS9_10device_ptrIxEEEENS9_16discard_iteratorINS9_11use_defaultEEEx11max_functorIxExEEDaPvRmT3_T4_T5_mT6_P12ihipStream_tbENKUlT_T0_E_clISt17integral_constantIbLb0EESW_IbLb1EEEEDaSS_ST_EUlSS_E_NS1_11comp_targetILNS1_3genE2ELNS1_11target_archE906ELNS1_3gpuE6ELNS1_3repE0EEENS1_30default_config_static_selectorELNS0_4arch9wavefront6targetE1EEEvT1_: ; @_ZN7rocprim17ROCPRIM_400000_NS6detail17trampoline_kernelINS0_14default_configENS1_20scan_config_selectorIxEEZZNS1_9scan_implILNS1_25lookback_scan_determinismE0ELb1ELb1ES3_N6thrust23THRUST_200600_302600_NS6detail15normal_iteratorINS9_10device_ptrIxEEEENS9_16discard_iteratorINS9_11use_defaultEEEx11max_functorIxExEEDaPvRmT3_T4_T5_mT6_P12ihipStream_tbENKUlT_T0_E_clISt17integral_constantIbLb0EESW_IbLb1EEEEDaSS_ST_EUlSS_E_NS1_11comp_targetILNS1_3genE2ELNS1_11target_archE906ELNS1_3gpuE6ELNS1_3repE0EEENS1_30default_config_static_selectorELNS0_4arch9wavefront6targetE1EEEvT1_
; %bb.0:
	.section	.rodata,"a",@progbits
	.p2align	6, 0x0
	.amdhsa_kernel _ZN7rocprim17ROCPRIM_400000_NS6detail17trampoline_kernelINS0_14default_configENS1_20scan_config_selectorIxEEZZNS1_9scan_implILNS1_25lookback_scan_determinismE0ELb1ELb1ES3_N6thrust23THRUST_200600_302600_NS6detail15normal_iteratorINS9_10device_ptrIxEEEENS9_16discard_iteratorINS9_11use_defaultEEEx11max_functorIxExEEDaPvRmT3_T4_T5_mT6_P12ihipStream_tbENKUlT_T0_E_clISt17integral_constantIbLb0EESW_IbLb1EEEEDaSS_ST_EUlSS_E_NS1_11comp_targetILNS1_3genE2ELNS1_11target_archE906ELNS1_3gpuE6ELNS1_3repE0EEENS1_30default_config_static_selectorELNS0_4arch9wavefront6targetE1EEEvT1_
		.amdhsa_group_segment_fixed_size 0
		.amdhsa_private_segment_fixed_size 0
		.amdhsa_kernarg_size 112
		.amdhsa_user_sgpr_count 6
		.amdhsa_user_sgpr_private_segment_buffer 1
		.amdhsa_user_sgpr_dispatch_ptr 0
		.amdhsa_user_sgpr_queue_ptr 0
		.amdhsa_user_sgpr_kernarg_segment_ptr 1
		.amdhsa_user_sgpr_dispatch_id 0
		.amdhsa_user_sgpr_flat_scratch_init 0
		.amdhsa_user_sgpr_kernarg_preload_length 0
		.amdhsa_user_sgpr_kernarg_preload_offset 0
		.amdhsa_user_sgpr_private_segment_size 0
		.amdhsa_uses_dynamic_stack 0
		.amdhsa_system_sgpr_private_segment_wavefront_offset 0
		.amdhsa_system_sgpr_workgroup_id_x 1
		.amdhsa_system_sgpr_workgroup_id_y 0
		.amdhsa_system_sgpr_workgroup_id_z 0
		.amdhsa_system_sgpr_workgroup_info 0
		.amdhsa_system_vgpr_workitem_id 0
		.amdhsa_next_free_vgpr 1
		.amdhsa_next_free_sgpr 0
		.amdhsa_accum_offset 4
		.amdhsa_reserve_vcc 0
		.amdhsa_reserve_flat_scratch 0
		.amdhsa_float_round_mode_32 0
		.amdhsa_float_round_mode_16_64 0
		.amdhsa_float_denorm_mode_32 3
		.amdhsa_float_denorm_mode_16_64 3
		.amdhsa_dx10_clamp 1
		.amdhsa_ieee_mode 1
		.amdhsa_fp16_overflow 0
		.amdhsa_tg_split 0
		.amdhsa_exception_fp_ieee_invalid_op 0
		.amdhsa_exception_fp_denorm_src 0
		.amdhsa_exception_fp_ieee_div_zero 0
		.amdhsa_exception_fp_ieee_overflow 0
		.amdhsa_exception_fp_ieee_underflow 0
		.amdhsa_exception_fp_ieee_inexact 0
		.amdhsa_exception_int_div_zero 0
	.end_amdhsa_kernel
	.section	.text._ZN7rocprim17ROCPRIM_400000_NS6detail17trampoline_kernelINS0_14default_configENS1_20scan_config_selectorIxEEZZNS1_9scan_implILNS1_25lookback_scan_determinismE0ELb1ELb1ES3_N6thrust23THRUST_200600_302600_NS6detail15normal_iteratorINS9_10device_ptrIxEEEENS9_16discard_iteratorINS9_11use_defaultEEEx11max_functorIxExEEDaPvRmT3_T4_T5_mT6_P12ihipStream_tbENKUlT_T0_E_clISt17integral_constantIbLb0EESW_IbLb1EEEEDaSS_ST_EUlSS_E_NS1_11comp_targetILNS1_3genE2ELNS1_11target_archE906ELNS1_3gpuE6ELNS1_3repE0EEENS1_30default_config_static_selectorELNS0_4arch9wavefront6targetE1EEEvT1_,"axG",@progbits,_ZN7rocprim17ROCPRIM_400000_NS6detail17trampoline_kernelINS0_14default_configENS1_20scan_config_selectorIxEEZZNS1_9scan_implILNS1_25lookback_scan_determinismE0ELb1ELb1ES3_N6thrust23THRUST_200600_302600_NS6detail15normal_iteratorINS9_10device_ptrIxEEEENS9_16discard_iteratorINS9_11use_defaultEEEx11max_functorIxExEEDaPvRmT3_T4_T5_mT6_P12ihipStream_tbENKUlT_T0_E_clISt17integral_constantIbLb0EESW_IbLb1EEEEDaSS_ST_EUlSS_E_NS1_11comp_targetILNS1_3genE2ELNS1_11target_archE906ELNS1_3gpuE6ELNS1_3repE0EEENS1_30default_config_static_selectorELNS0_4arch9wavefront6targetE1EEEvT1_,comdat
.Lfunc_end3840:
	.size	_ZN7rocprim17ROCPRIM_400000_NS6detail17trampoline_kernelINS0_14default_configENS1_20scan_config_selectorIxEEZZNS1_9scan_implILNS1_25lookback_scan_determinismE0ELb1ELb1ES3_N6thrust23THRUST_200600_302600_NS6detail15normal_iteratorINS9_10device_ptrIxEEEENS9_16discard_iteratorINS9_11use_defaultEEEx11max_functorIxExEEDaPvRmT3_T4_T5_mT6_P12ihipStream_tbENKUlT_T0_E_clISt17integral_constantIbLb0EESW_IbLb1EEEEDaSS_ST_EUlSS_E_NS1_11comp_targetILNS1_3genE2ELNS1_11target_archE906ELNS1_3gpuE6ELNS1_3repE0EEENS1_30default_config_static_selectorELNS0_4arch9wavefront6targetE1EEEvT1_, .Lfunc_end3840-_ZN7rocprim17ROCPRIM_400000_NS6detail17trampoline_kernelINS0_14default_configENS1_20scan_config_selectorIxEEZZNS1_9scan_implILNS1_25lookback_scan_determinismE0ELb1ELb1ES3_N6thrust23THRUST_200600_302600_NS6detail15normal_iteratorINS9_10device_ptrIxEEEENS9_16discard_iteratorINS9_11use_defaultEEEx11max_functorIxExEEDaPvRmT3_T4_T5_mT6_P12ihipStream_tbENKUlT_T0_E_clISt17integral_constantIbLb0EESW_IbLb1EEEEDaSS_ST_EUlSS_E_NS1_11comp_targetILNS1_3genE2ELNS1_11target_archE906ELNS1_3gpuE6ELNS1_3repE0EEENS1_30default_config_static_selectorELNS0_4arch9wavefront6targetE1EEEvT1_
                                        ; -- End function
	.section	.AMDGPU.csdata,"",@progbits
; Kernel info:
; codeLenInByte = 0
; NumSgprs: 4
; NumVgprs: 0
; NumAgprs: 0
; TotalNumVgprs: 0
; ScratchSize: 0
; MemoryBound: 0
; FloatMode: 240
; IeeeMode: 1
; LDSByteSize: 0 bytes/workgroup (compile time only)
; SGPRBlocks: 0
; VGPRBlocks: 0
; NumSGPRsForWavesPerEU: 4
; NumVGPRsForWavesPerEU: 1
; AccumOffset: 4
; Occupancy: 8
; WaveLimiterHint : 0
; COMPUTE_PGM_RSRC2:SCRATCH_EN: 0
; COMPUTE_PGM_RSRC2:USER_SGPR: 6
; COMPUTE_PGM_RSRC2:TRAP_HANDLER: 0
; COMPUTE_PGM_RSRC2:TGID_X_EN: 1
; COMPUTE_PGM_RSRC2:TGID_Y_EN: 0
; COMPUTE_PGM_RSRC2:TGID_Z_EN: 0
; COMPUTE_PGM_RSRC2:TIDIG_COMP_CNT: 0
; COMPUTE_PGM_RSRC3_GFX90A:ACCUM_OFFSET: 0
; COMPUTE_PGM_RSRC3_GFX90A:TG_SPLIT: 0
	.section	.text._ZN7rocprim17ROCPRIM_400000_NS6detail17trampoline_kernelINS0_14default_configENS1_20scan_config_selectorIxEEZZNS1_9scan_implILNS1_25lookback_scan_determinismE0ELb1ELb1ES3_N6thrust23THRUST_200600_302600_NS6detail15normal_iteratorINS9_10device_ptrIxEEEENS9_16discard_iteratorINS9_11use_defaultEEEx11max_functorIxExEEDaPvRmT3_T4_T5_mT6_P12ihipStream_tbENKUlT_T0_E_clISt17integral_constantIbLb0EESW_IbLb1EEEEDaSS_ST_EUlSS_E_NS1_11comp_targetILNS1_3genE10ELNS1_11target_archE1201ELNS1_3gpuE5ELNS1_3repE0EEENS1_30default_config_static_selectorELNS0_4arch9wavefront6targetE1EEEvT1_,"axG",@progbits,_ZN7rocprim17ROCPRIM_400000_NS6detail17trampoline_kernelINS0_14default_configENS1_20scan_config_selectorIxEEZZNS1_9scan_implILNS1_25lookback_scan_determinismE0ELb1ELb1ES3_N6thrust23THRUST_200600_302600_NS6detail15normal_iteratorINS9_10device_ptrIxEEEENS9_16discard_iteratorINS9_11use_defaultEEEx11max_functorIxExEEDaPvRmT3_T4_T5_mT6_P12ihipStream_tbENKUlT_T0_E_clISt17integral_constantIbLb0EESW_IbLb1EEEEDaSS_ST_EUlSS_E_NS1_11comp_targetILNS1_3genE10ELNS1_11target_archE1201ELNS1_3gpuE5ELNS1_3repE0EEENS1_30default_config_static_selectorELNS0_4arch9wavefront6targetE1EEEvT1_,comdat
	.protected	_ZN7rocprim17ROCPRIM_400000_NS6detail17trampoline_kernelINS0_14default_configENS1_20scan_config_selectorIxEEZZNS1_9scan_implILNS1_25lookback_scan_determinismE0ELb1ELb1ES3_N6thrust23THRUST_200600_302600_NS6detail15normal_iteratorINS9_10device_ptrIxEEEENS9_16discard_iteratorINS9_11use_defaultEEEx11max_functorIxExEEDaPvRmT3_T4_T5_mT6_P12ihipStream_tbENKUlT_T0_E_clISt17integral_constantIbLb0EESW_IbLb1EEEEDaSS_ST_EUlSS_E_NS1_11comp_targetILNS1_3genE10ELNS1_11target_archE1201ELNS1_3gpuE5ELNS1_3repE0EEENS1_30default_config_static_selectorELNS0_4arch9wavefront6targetE1EEEvT1_ ; -- Begin function _ZN7rocprim17ROCPRIM_400000_NS6detail17trampoline_kernelINS0_14default_configENS1_20scan_config_selectorIxEEZZNS1_9scan_implILNS1_25lookback_scan_determinismE0ELb1ELb1ES3_N6thrust23THRUST_200600_302600_NS6detail15normal_iteratorINS9_10device_ptrIxEEEENS9_16discard_iteratorINS9_11use_defaultEEEx11max_functorIxExEEDaPvRmT3_T4_T5_mT6_P12ihipStream_tbENKUlT_T0_E_clISt17integral_constantIbLb0EESW_IbLb1EEEEDaSS_ST_EUlSS_E_NS1_11comp_targetILNS1_3genE10ELNS1_11target_archE1201ELNS1_3gpuE5ELNS1_3repE0EEENS1_30default_config_static_selectorELNS0_4arch9wavefront6targetE1EEEvT1_
	.globl	_ZN7rocprim17ROCPRIM_400000_NS6detail17trampoline_kernelINS0_14default_configENS1_20scan_config_selectorIxEEZZNS1_9scan_implILNS1_25lookback_scan_determinismE0ELb1ELb1ES3_N6thrust23THRUST_200600_302600_NS6detail15normal_iteratorINS9_10device_ptrIxEEEENS9_16discard_iteratorINS9_11use_defaultEEEx11max_functorIxExEEDaPvRmT3_T4_T5_mT6_P12ihipStream_tbENKUlT_T0_E_clISt17integral_constantIbLb0EESW_IbLb1EEEEDaSS_ST_EUlSS_E_NS1_11comp_targetILNS1_3genE10ELNS1_11target_archE1201ELNS1_3gpuE5ELNS1_3repE0EEENS1_30default_config_static_selectorELNS0_4arch9wavefront6targetE1EEEvT1_
	.p2align	8
	.type	_ZN7rocprim17ROCPRIM_400000_NS6detail17trampoline_kernelINS0_14default_configENS1_20scan_config_selectorIxEEZZNS1_9scan_implILNS1_25lookback_scan_determinismE0ELb1ELb1ES3_N6thrust23THRUST_200600_302600_NS6detail15normal_iteratorINS9_10device_ptrIxEEEENS9_16discard_iteratorINS9_11use_defaultEEEx11max_functorIxExEEDaPvRmT3_T4_T5_mT6_P12ihipStream_tbENKUlT_T0_E_clISt17integral_constantIbLb0EESW_IbLb1EEEEDaSS_ST_EUlSS_E_NS1_11comp_targetILNS1_3genE10ELNS1_11target_archE1201ELNS1_3gpuE5ELNS1_3repE0EEENS1_30default_config_static_selectorELNS0_4arch9wavefront6targetE1EEEvT1_,@function
_ZN7rocprim17ROCPRIM_400000_NS6detail17trampoline_kernelINS0_14default_configENS1_20scan_config_selectorIxEEZZNS1_9scan_implILNS1_25lookback_scan_determinismE0ELb1ELb1ES3_N6thrust23THRUST_200600_302600_NS6detail15normal_iteratorINS9_10device_ptrIxEEEENS9_16discard_iteratorINS9_11use_defaultEEEx11max_functorIxExEEDaPvRmT3_T4_T5_mT6_P12ihipStream_tbENKUlT_T0_E_clISt17integral_constantIbLb0EESW_IbLb1EEEEDaSS_ST_EUlSS_E_NS1_11comp_targetILNS1_3genE10ELNS1_11target_archE1201ELNS1_3gpuE5ELNS1_3repE0EEENS1_30default_config_static_selectorELNS0_4arch9wavefront6targetE1EEEvT1_: ; @_ZN7rocprim17ROCPRIM_400000_NS6detail17trampoline_kernelINS0_14default_configENS1_20scan_config_selectorIxEEZZNS1_9scan_implILNS1_25lookback_scan_determinismE0ELb1ELb1ES3_N6thrust23THRUST_200600_302600_NS6detail15normal_iteratorINS9_10device_ptrIxEEEENS9_16discard_iteratorINS9_11use_defaultEEEx11max_functorIxExEEDaPvRmT3_T4_T5_mT6_P12ihipStream_tbENKUlT_T0_E_clISt17integral_constantIbLb0EESW_IbLb1EEEEDaSS_ST_EUlSS_E_NS1_11comp_targetILNS1_3genE10ELNS1_11target_archE1201ELNS1_3gpuE5ELNS1_3repE0EEENS1_30default_config_static_selectorELNS0_4arch9wavefront6targetE1EEEvT1_
; %bb.0:
	.section	.rodata,"a",@progbits
	.p2align	6, 0x0
	.amdhsa_kernel _ZN7rocprim17ROCPRIM_400000_NS6detail17trampoline_kernelINS0_14default_configENS1_20scan_config_selectorIxEEZZNS1_9scan_implILNS1_25lookback_scan_determinismE0ELb1ELb1ES3_N6thrust23THRUST_200600_302600_NS6detail15normal_iteratorINS9_10device_ptrIxEEEENS9_16discard_iteratorINS9_11use_defaultEEEx11max_functorIxExEEDaPvRmT3_T4_T5_mT6_P12ihipStream_tbENKUlT_T0_E_clISt17integral_constantIbLb0EESW_IbLb1EEEEDaSS_ST_EUlSS_E_NS1_11comp_targetILNS1_3genE10ELNS1_11target_archE1201ELNS1_3gpuE5ELNS1_3repE0EEENS1_30default_config_static_selectorELNS0_4arch9wavefront6targetE1EEEvT1_
		.amdhsa_group_segment_fixed_size 0
		.amdhsa_private_segment_fixed_size 0
		.amdhsa_kernarg_size 112
		.amdhsa_user_sgpr_count 6
		.amdhsa_user_sgpr_private_segment_buffer 1
		.amdhsa_user_sgpr_dispatch_ptr 0
		.amdhsa_user_sgpr_queue_ptr 0
		.amdhsa_user_sgpr_kernarg_segment_ptr 1
		.amdhsa_user_sgpr_dispatch_id 0
		.amdhsa_user_sgpr_flat_scratch_init 0
		.amdhsa_user_sgpr_kernarg_preload_length 0
		.amdhsa_user_sgpr_kernarg_preload_offset 0
		.amdhsa_user_sgpr_private_segment_size 0
		.amdhsa_uses_dynamic_stack 0
		.amdhsa_system_sgpr_private_segment_wavefront_offset 0
		.amdhsa_system_sgpr_workgroup_id_x 1
		.amdhsa_system_sgpr_workgroup_id_y 0
		.amdhsa_system_sgpr_workgroup_id_z 0
		.amdhsa_system_sgpr_workgroup_info 0
		.amdhsa_system_vgpr_workitem_id 0
		.amdhsa_next_free_vgpr 1
		.amdhsa_next_free_sgpr 0
		.amdhsa_accum_offset 4
		.amdhsa_reserve_vcc 0
		.amdhsa_reserve_flat_scratch 0
		.amdhsa_float_round_mode_32 0
		.amdhsa_float_round_mode_16_64 0
		.amdhsa_float_denorm_mode_32 3
		.amdhsa_float_denorm_mode_16_64 3
		.amdhsa_dx10_clamp 1
		.amdhsa_ieee_mode 1
		.amdhsa_fp16_overflow 0
		.amdhsa_tg_split 0
		.amdhsa_exception_fp_ieee_invalid_op 0
		.amdhsa_exception_fp_denorm_src 0
		.amdhsa_exception_fp_ieee_div_zero 0
		.amdhsa_exception_fp_ieee_overflow 0
		.amdhsa_exception_fp_ieee_underflow 0
		.amdhsa_exception_fp_ieee_inexact 0
		.amdhsa_exception_int_div_zero 0
	.end_amdhsa_kernel
	.section	.text._ZN7rocprim17ROCPRIM_400000_NS6detail17trampoline_kernelINS0_14default_configENS1_20scan_config_selectorIxEEZZNS1_9scan_implILNS1_25lookback_scan_determinismE0ELb1ELb1ES3_N6thrust23THRUST_200600_302600_NS6detail15normal_iteratorINS9_10device_ptrIxEEEENS9_16discard_iteratorINS9_11use_defaultEEEx11max_functorIxExEEDaPvRmT3_T4_T5_mT6_P12ihipStream_tbENKUlT_T0_E_clISt17integral_constantIbLb0EESW_IbLb1EEEEDaSS_ST_EUlSS_E_NS1_11comp_targetILNS1_3genE10ELNS1_11target_archE1201ELNS1_3gpuE5ELNS1_3repE0EEENS1_30default_config_static_selectorELNS0_4arch9wavefront6targetE1EEEvT1_,"axG",@progbits,_ZN7rocprim17ROCPRIM_400000_NS6detail17trampoline_kernelINS0_14default_configENS1_20scan_config_selectorIxEEZZNS1_9scan_implILNS1_25lookback_scan_determinismE0ELb1ELb1ES3_N6thrust23THRUST_200600_302600_NS6detail15normal_iteratorINS9_10device_ptrIxEEEENS9_16discard_iteratorINS9_11use_defaultEEEx11max_functorIxExEEDaPvRmT3_T4_T5_mT6_P12ihipStream_tbENKUlT_T0_E_clISt17integral_constantIbLb0EESW_IbLb1EEEEDaSS_ST_EUlSS_E_NS1_11comp_targetILNS1_3genE10ELNS1_11target_archE1201ELNS1_3gpuE5ELNS1_3repE0EEENS1_30default_config_static_selectorELNS0_4arch9wavefront6targetE1EEEvT1_,comdat
.Lfunc_end3841:
	.size	_ZN7rocprim17ROCPRIM_400000_NS6detail17trampoline_kernelINS0_14default_configENS1_20scan_config_selectorIxEEZZNS1_9scan_implILNS1_25lookback_scan_determinismE0ELb1ELb1ES3_N6thrust23THRUST_200600_302600_NS6detail15normal_iteratorINS9_10device_ptrIxEEEENS9_16discard_iteratorINS9_11use_defaultEEEx11max_functorIxExEEDaPvRmT3_T4_T5_mT6_P12ihipStream_tbENKUlT_T0_E_clISt17integral_constantIbLb0EESW_IbLb1EEEEDaSS_ST_EUlSS_E_NS1_11comp_targetILNS1_3genE10ELNS1_11target_archE1201ELNS1_3gpuE5ELNS1_3repE0EEENS1_30default_config_static_selectorELNS0_4arch9wavefront6targetE1EEEvT1_, .Lfunc_end3841-_ZN7rocprim17ROCPRIM_400000_NS6detail17trampoline_kernelINS0_14default_configENS1_20scan_config_selectorIxEEZZNS1_9scan_implILNS1_25lookback_scan_determinismE0ELb1ELb1ES3_N6thrust23THRUST_200600_302600_NS6detail15normal_iteratorINS9_10device_ptrIxEEEENS9_16discard_iteratorINS9_11use_defaultEEEx11max_functorIxExEEDaPvRmT3_T4_T5_mT6_P12ihipStream_tbENKUlT_T0_E_clISt17integral_constantIbLb0EESW_IbLb1EEEEDaSS_ST_EUlSS_E_NS1_11comp_targetILNS1_3genE10ELNS1_11target_archE1201ELNS1_3gpuE5ELNS1_3repE0EEENS1_30default_config_static_selectorELNS0_4arch9wavefront6targetE1EEEvT1_
                                        ; -- End function
	.section	.AMDGPU.csdata,"",@progbits
; Kernel info:
; codeLenInByte = 0
; NumSgprs: 4
; NumVgprs: 0
; NumAgprs: 0
; TotalNumVgprs: 0
; ScratchSize: 0
; MemoryBound: 0
; FloatMode: 240
; IeeeMode: 1
; LDSByteSize: 0 bytes/workgroup (compile time only)
; SGPRBlocks: 0
; VGPRBlocks: 0
; NumSGPRsForWavesPerEU: 4
; NumVGPRsForWavesPerEU: 1
; AccumOffset: 4
; Occupancy: 8
; WaveLimiterHint : 0
; COMPUTE_PGM_RSRC2:SCRATCH_EN: 0
; COMPUTE_PGM_RSRC2:USER_SGPR: 6
; COMPUTE_PGM_RSRC2:TRAP_HANDLER: 0
; COMPUTE_PGM_RSRC2:TGID_X_EN: 1
; COMPUTE_PGM_RSRC2:TGID_Y_EN: 0
; COMPUTE_PGM_RSRC2:TGID_Z_EN: 0
; COMPUTE_PGM_RSRC2:TIDIG_COMP_CNT: 0
; COMPUTE_PGM_RSRC3_GFX90A:ACCUM_OFFSET: 0
; COMPUTE_PGM_RSRC3_GFX90A:TG_SPLIT: 0
	.section	.text._ZN7rocprim17ROCPRIM_400000_NS6detail17trampoline_kernelINS0_14default_configENS1_20scan_config_selectorIxEEZZNS1_9scan_implILNS1_25lookback_scan_determinismE0ELb1ELb1ES3_N6thrust23THRUST_200600_302600_NS6detail15normal_iteratorINS9_10device_ptrIxEEEENS9_16discard_iteratorINS9_11use_defaultEEEx11max_functorIxExEEDaPvRmT3_T4_T5_mT6_P12ihipStream_tbENKUlT_T0_E_clISt17integral_constantIbLb0EESW_IbLb1EEEEDaSS_ST_EUlSS_E_NS1_11comp_targetILNS1_3genE10ELNS1_11target_archE1200ELNS1_3gpuE4ELNS1_3repE0EEENS1_30default_config_static_selectorELNS0_4arch9wavefront6targetE1EEEvT1_,"axG",@progbits,_ZN7rocprim17ROCPRIM_400000_NS6detail17trampoline_kernelINS0_14default_configENS1_20scan_config_selectorIxEEZZNS1_9scan_implILNS1_25lookback_scan_determinismE0ELb1ELb1ES3_N6thrust23THRUST_200600_302600_NS6detail15normal_iteratorINS9_10device_ptrIxEEEENS9_16discard_iteratorINS9_11use_defaultEEEx11max_functorIxExEEDaPvRmT3_T4_T5_mT6_P12ihipStream_tbENKUlT_T0_E_clISt17integral_constantIbLb0EESW_IbLb1EEEEDaSS_ST_EUlSS_E_NS1_11comp_targetILNS1_3genE10ELNS1_11target_archE1200ELNS1_3gpuE4ELNS1_3repE0EEENS1_30default_config_static_selectorELNS0_4arch9wavefront6targetE1EEEvT1_,comdat
	.protected	_ZN7rocprim17ROCPRIM_400000_NS6detail17trampoline_kernelINS0_14default_configENS1_20scan_config_selectorIxEEZZNS1_9scan_implILNS1_25lookback_scan_determinismE0ELb1ELb1ES3_N6thrust23THRUST_200600_302600_NS6detail15normal_iteratorINS9_10device_ptrIxEEEENS9_16discard_iteratorINS9_11use_defaultEEEx11max_functorIxExEEDaPvRmT3_T4_T5_mT6_P12ihipStream_tbENKUlT_T0_E_clISt17integral_constantIbLb0EESW_IbLb1EEEEDaSS_ST_EUlSS_E_NS1_11comp_targetILNS1_3genE10ELNS1_11target_archE1200ELNS1_3gpuE4ELNS1_3repE0EEENS1_30default_config_static_selectorELNS0_4arch9wavefront6targetE1EEEvT1_ ; -- Begin function _ZN7rocprim17ROCPRIM_400000_NS6detail17trampoline_kernelINS0_14default_configENS1_20scan_config_selectorIxEEZZNS1_9scan_implILNS1_25lookback_scan_determinismE0ELb1ELb1ES3_N6thrust23THRUST_200600_302600_NS6detail15normal_iteratorINS9_10device_ptrIxEEEENS9_16discard_iteratorINS9_11use_defaultEEEx11max_functorIxExEEDaPvRmT3_T4_T5_mT6_P12ihipStream_tbENKUlT_T0_E_clISt17integral_constantIbLb0EESW_IbLb1EEEEDaSS_ST_EUlSS_E_NS1_11comp_targetILNS1_3genE10ELNS1_11target_archE1200ELNS1_3gpuE4ELNS1_3repE0EEENS1_30default_config_static_selectorELNS0_4arch9wavefront6targetE1EEEvT1_
	.globl	_ZN7rocprim17ROCPRIM_400000_NS6detail17trampoline_kernelINS0_14default_configENS1_20scan_config_selectorIxEEZZNS1_9scan_implILNS1_25lookback_scan_determinismE0ELb1ELb1ES3_N6thrust23THRUST_200600_302600_NS6detail15normal_iteratorINS9_10device_ptrIxEEEENS9_16discard_iteratorINS9_11use_defaultEEEx11max_functorIxExEEDaPvRmT3_T4_T5_mT6_P12ihipStream_tbENKUlT_T0_E_clISt17integral_constantIbLb0EESW_IbLb1EEEEDaSS_ST_EUlSS_E_NS1_11comp_targetILNS1_3genE10ELNS1_11target_archE1200ELNS1_3gpuE4ELNS1_3repE0EEENS1_30default_config_static_selectorELNS0_4arch9wavefront6targetE1EEEvT1_
	.p2align	8
	.type	_ZN7rocprim17ROCPRIM_400000_NS6detail17trampoline_kernelINS0_14default_configENS1_20scan_config_selectorIxEEZZNS1_9scan_implILNS1_25lookback_scan_determinismE0ELb1ELb1ES3_N6thrust23THRUST_200600_302600_NS6detail15normal_iteratorINS9_10device_ptrIxEEEENS9_16discard_iteratorINS9_11use_defaultEEEx11max_functorIxExEEDaPvRmT3_T4_T5_mT6_P12ihipStream_tbENKUlT_T0_E_clISt17integral_constantIbLb0EESW_IbLb1EEEEDaSS_ST_EUlSS_E_NS1_11comp_targetILNS1_3genE10ELNS1_11target_archE1200ELNS1_3gpuE4ELNS1_3repE0EEENS1_30default_config_static_selectorELNS0_4arch9wavefront6targetE1EEEvT1_,@function
_ZN7rocprim17ROCPRIM_400000_NS6detail17trampoline_kernelINS0_14default_configENS1_20scan_config_selectorIxEEZZNS1_9scan_implILNS1_25lookback_scan_determinismE0ELb1ELb1ES3_N6thrust23THRUST_200600_302600_NS6detail15normal_iteratorINS9_10device_ptrIxEEEENS9_16discard_iteratorINS9_11use_defaultEEEx11max_functorIxExEEDaPvRmT3_T4_T5_mT6_P12ihipStream_tbENKUlT_T0_E_clISt17integral_constantIbLb0EESW_IbLb1EEEEDaSS_ST_EUlSS_E_NS1_11comp_targetILNS1_3genE10ELNS1_11target_archE1200ELNS1_3gpuE4ELNS1_3repE0EEENS1_30default_config_static_selectorELNS0_4arch9wavefront6targetE1EEEvT1_: ; @_ZN7rocprim17ROCPRIM_400000_NS6detail17trampoline_kernelINS0_14default_configENS1_20scan_config_selectorIxEEZZNS1_9scan_implILNS1_25lookback_scan_determinismE0ELb1ELb1ES3_N6thrust23THRUST_200600_302600_NS6detail15normal_iteratorINS9_10device_ptrIxEEEENS9_16discard_iteratorINS9_11use_defaultEEEx11max_functorIxExEEDaPvRmT3_T4_T5_mT6_P12ihipStream_tbENKUlT_T0_E_clISt17integral_constantIbLb0EESW_IbLb1EEEEDaSS_ST_EUlSS_E_NS1_11comp_targetILNS1_3genE10ELNS1_11target_archE1200ELNS1_3gpuE4ELNS1_3repE0EEENS1_30default_config_static_selectorELNS0_4arch9wavefront6targetE1EEEvT1_
; %bb.0:
	.section	.rodata,"a",@progbits
	.p2align	6, 0x0
	.amdhsa_kernel _ZN7rocprim17ROCPRIM_400000_NS6detail17trampoline_kernelINS0_14default_configENS1_20scan_config_selectorIxEEZZNS1_9scan_implILNS1_25lookback_scan_determinismE0ELb1ELb1ES3_N6thrust23THRUST_200600_302600_NS6detail15normal_iteratorINS9_10device_ptrIxEEEENS9_16discard_iteratorINS9_11use_defaultEEEx11max_functorIxExEEDaPvRmT3_T4_T5_mT6_P12ihipStream_tbENKUlT_T0_E_clISt17integral_constantIbLb0EESW_IbLb1EEEEDaSS_ST_EUlSS_E_NS1_11comp_targetILNS1_3genE10ELNS1_11target_archE1200ELNS1_3gpuE4ELNS1_3repE0EEENS1_30default_config_static_selectorELNS0_4arch9wavefront6targetE1EEEvT1_
		.amdhsa_group_segment_fixed_size 0
		.amdhsa_private_segment_fixed_size 0
		.amdhsa_kernarg_size 112
		.amdhsa_user_sgpr_count 6
		.amdhsa_user_sgpr_private_segment_buffer 1
		.amdhsa_user_sgpr_dispatch_ptr 0
		.amdhsa_user_sgpr_queue_ptr 0
		.amdhsa_user_sgpr_kernarg_segment_ptr 1
		.amdhsa_user_sgpr_dispatch_id 0
		.amdhsa_user_sgpr_flat_scratch_init 0
		.amdhsa_user_sgpr_kernarg_preload_length 0
		.amdhsa_user_sgpr_kernarg_preload_offset 0
		.amdhsa_user_sgpr_private_segment_size 0
		.amdhsa_uses_dynamic_stack 0
		.amdhsa_system_sgpr_private_segment_wavefront_offset 0
		.amdhsa_system_sgpr_workgroup_id_x 1
		.amdhsa_system_sgpr_workgroup_id_y 0
		.amdhsa_system_sgpr_workgroup_id_z 0
		.amdhsa_system_sgpr_workgroup_info 0
		.amdhsa_system_vgpr_workitem_id 0
		.amdhsa_next_free_vgpr 1
		.amdhsa_next_free_sgpr 0
		.amdhsa_accum_offset 4
		.amdhsa_reserve_vcc 0
		.amdhsa_reserve_flat_scratch 0
		.amdhsa_float_round_mode_32 0
		.amdhsa_float_round_mode_16_64 0
		.amdhsa_float_denorm_mode_32 3
		.amdhsa_float_denorm_mode_16_64 3
		.amdhsa_dx10_clamp 1
		.amdhsa_ieee_mode 1
		.amdhsa_fp16_overflow 0
		.amdhsa_tg_split 0
		.amdhsa_exception_fp_ieee_invalid_op 0
		.amdhsa_exception_fp_denorm_src 0
		.amdhsa_exception_fp_ieee_div_zero 0
		.amdhsa_exception_fp_ieee_overflow 0
		.amdhsa_exception_fp_ieee_underflow 0
		.amdhsa_exception_fp_ieee_inexact 0
		.amdhsa_exception_int_div_zero 0
	.end_amdhsa_kernel
	.section	.text._ZN7rocprim17ROCPRIM_400000_NS6detail17trampoline_kernelINS0_14default_configENS1_20scan_config_selectorIxEEZZNS1_9scan_implILNS1_25lookback_scan_determinismE0ELb1ELb1ES3_N6thrust23THRUST_200600_302600_NS6detail15normal_iteratorINS9_10device_ptrIxEEEENS9_16discard_iteratorINS9_11use_defaultEEEx11max_functorIxExEEDaPvRmT3_T4_T5_mT6_P12ihipStream_tbENKUlT_T0_E_clISt17integral_constantIbLb0EESW_IbLb1EEEEDaSS_ST_EUlSS_E_NS1_11comp_targetILNS1_3genE10ELNS1_11target_archE1200ELNS1_3gpuE4ELNS1_3repE0EEENS1_30default_config_static_selectorELNS0_4arch9wavefront6targetE1EEEvT1_,"axG",@progbits,_ZN7rocprim17ROCPRIM_400000_NS6detail17trampoline_kernelINS0_14default_configENS1_20scan_config_selectorIxEEZZNS1_9scan_implILNS1_25lookback_scan_determinismE0ELb1ELb1ES3_N6thrust23THRUST_200600_302600_NS6detail15normal_iteratorINS9_10device_ptrIxEEEENS9_16discard_iteratorINS9_11use_defaultEEEx11max_functorIxExEEDaPvRmT3_T4_T5_mT6_P12ihipStream_tbENKUlT_T0_E_clISt17integral_constantIbLb0EESW_IbLb1EEEEDaSS_ST_EUlSS_E_NS1_11comp_targetILNS1_3genE10ELNS1_11target_archE1200ELNS1_3gpuE4ELNS1_3repE0EEENS1_30default_config_static_selectorELNS0_4arch9wavefront6targetE1EEEvT1_,comdat
.Lfunc_end3842:
	.size	_ZN7rocprim17ROCPRIM_400000_NS6detail17trampoline_kernelINS0_14default_configENS1_20scan_config_selectorIxEEZZNS1_9scan_implILNS1_25lookback_scan_determinismE0ELb1ELb1ES3_N6thrust23THRUST_200600_302600_NS6detail15normal_iteratorINS9_10device_ptrIxEEEENS9_16discard_iteratorINS9_11use_defaultEEEx11max_functorIxExEEDaPvRmT3_T4_T5_mT6_P12ihipStream_tbENKUlT_T0_E_clISt17integral_constantIbLb0EESW_IbLb1EEEEDaSS_ST_EUlSS_E_NS1_11comp_targetILNS1_3genE10ELNS1_11target_archE1200ELNS1_3gpuE4ELNS1_3repE0EEENS1_30default_config_static_selectorELNS0_4arch9wavefront6targetE1EEEvT1_, .Lfunc_end3842-_ZN7rocprim17ROCPRIM_400000_NS6detail17trampoline_kernelINS0_14default_configENS1_20scan_config_selectorIxEEZZNS1_9scan_implILNS1_25lookback_scan_determinismE0ELb1ELb1ES3_N6thrust23THRUST_200600_302600_NS6detail15normal_iteratorINS9_10device_ptrIxEEEENS9_16discard_iteratorINS9_11use_defaultEEEx11max_functorIxExEEDaPvRmT3_T4_T5_mT6_P12ihipStream_tbENKUlT_T0_E_clISt17integral_constantIbLb0EESW_IbLb1EEEEDaSS_ST_EUlSS_E_NS1_11comp_targetILNS1_3genE10ELNS1_11target_archE1200ELNS1_3gpuE4ELNS1_3repE0EEENS1_30default_config_static_selectorELNS0_4arch9wavefront6targetE1EEEvT1_
                                        ; -- End function
	.section	.AMDGPU.csdata,"",@progbits
; Kernel info:
; codeLenInByte = 0
; NumSgprs: 4
; NumVgprs: 0
; NumAgprs: 0
; TotalNumVgprs: 0
; ScratchSize: 0
; MemoryBound: 0
; FloatMode: 240
; IeeeMode: 1
; LDSByteSize: 0 bytes/workgroup (compile time only)
; SGPRBlocks: 0
; VGPRBlocks: 0
; NumSGPRsForWavesPerEU: 4
; NumVGPRsForWavesPerEU: 1
; AccumOffset: 4
; Occupancy: 8
; WaveLimiterHint : 0
; COMPUTE_PGM_RSRC2:SCRATCH_EN: 0
; COMPUTE_PGM_RSRC2:USER_SGPR: 6
; COMPUTE_PGM_RSRC2:TRAP_HANDLER: 0
; COMPUTE_PGM_RSRC2:TGID_X_EN: 1
; COMPUTE_PGM_RSRC2:TGID_Y_EN: 0
; COMPUTE_PGM_RSRC2:TGID_Z_EN: 0
; COMPUTE_PGM_RSRC2:TIDIG_COMP_CNT: 0
; COMPUTE_PGM_RSRC3_GFX90A:ACCUM_OFFSET: 0
; COMPUTE_PGM_RSRC3_GFX90A:TG_SPLIT: 0
	.section	.text._ZN7rocprim17ROCPRIM_400000_NS6detail17trampoline_kernelINS0_14default_configENS1_20scan_config_selectorIxEEZZNS1_9scan_implILNS1_25lookback_scan_determinismE0ELb1ELb1ES3_N6thrust23THRUST_200600_302600_NS6detail15normal_iteratorINS9_10device_ptrIxEEEENS9_16discard_iteratorINS9_11use_defaultEEEx11max_functorIxExEEDaPvRmT3_T4_T5_mT6_P12ihipStream_tbENKUlT_T0_E_clISt17integral_constantIbLb0EESW_IbLb1EEEEDaSS_ST_EUlSS_E_NS1_11comp_targetILNS1_3genE9ELNS1_11target_archE1100ELNS1_3gpuE3ELNS1_3repE0EEENS1_30default_config_static_selectorELNS0_4arch9wavefront6targetE1EEEvT1_,"axG",@progbits,_ZN7rocprim17ROCPRIM_400000_NS6detail17trampoline_kernelINS0_14default_configENS1_20scan_config_selectorIxEEZZNS1_9scan_implILNS1_25lookback_scan_determinismE0ELb1ELb1ES3_N6thrust23THRUST_200600_302600_NS6detail15normal_iteratorINS9_10device_ptrIxEEEENS9_16discard_iteratorINS9_11use_defaultEEEx11max_functorIxExEEDaPvRmT3_T4_T5_mT6_P12ihipStream_tbENKUlT_T0_E_clISt17integral_constantIbLb0EESW_IbLb1EEEEDaSS_ST_EUlSS_E_NS1_11comp_targetILNS1_3genE9ELNS1_11target_archE1100ELNS1_3gpuE3ELNS1_3repE0EEENS1_30default_config_static_selectorELNS0_4arch9wavefront6targetE1EEEvT1_,comdat
	.protected	_ZN7rocprim17ROCPRIM_400000_NS6detail17trampoline_kernelINS0_14default_configENS1_20scan_config_selectorIxEEZZNS1_9scan_implILNS1_25lookback_scan_determinismE0ELb1ELb1ES3_N6thrust23THRUST_200600_302600_NS6detail15normal_iteratorINS9_10device_ptrIxEEEENS9_16discard_iteratorINS9_11use_defaultEEEx11max_functorIxExEEDaPvRmT3_T4_T5_mT6_P12ihipStream_tbENKUlT_T0_E_clISt17integral_constantIbLb0EESW_IbLb1EEEEDaSS_ST_EUlSS_E_NS1_11comp_targetILNS1_3genE9ELNS1_11target_archE1100ELNS1_3gpuE3ELNS1_3repE0EEENS1_30default_config_static_selectorELNS0_4arch9wavefront6targetE1EEEvT1_ ; -- Begin function _ZN7rocprim17ROCPRIM_400000_NS6detail17trampoline_kernelINS0_14default_configENS1_20scan_config_selectorIxEEZZNS1_9scan_implILNS1_25lookback_scan_determinismE0ELb1ELb1ES3_N6thrust23THRUST_200600_302600_NS6detail15normal_iteratorINS9_10device_ptrIxEEEENS9_16discard_iteratorINS9_11use_defaultEEEx11max_functorIxExEEDaPvRmT3_T4_T5_mT6_P12ihipStream_tbENKUlT_T0_E_clISt17integral_constantIbLb0EESW_IbLb1EEEEDaSS_ST_EUlSS_E_NS1_11comp_targetILNS1_3genE9ELNS1_11target_archE1100ELNS1_3gpuE3ELNS1_3repE0EEENS1_30default_config_static_selectorELNS0_4arch9wavefront6targetE1EEEvT1_
	.globl	_ZN7rocprim17ROCPRIM_400000_NS6detail17trampoline_kernelINS0_14default_configENS1_20scan_config_selectorIxEEZZNS1_9scan_implILNS1_25lookback_scan_determinismE0ELb1ELb1ES3_N6thrust23THRUST_200600_302600_NS6detail15normal_iteratorINS9_10device_ptrIxEEEENS9_16discard_iteratorINS9_11use_defaultEEEx11max_functorIxExEEDaPvRmT3_T4_T5_mT6_P12ihipStream_tbENKUlT_T0_E_clISt17integral_constantIbLb0EESW_IbLb1EEEEDaSS_ST_EUlSS_E_NS1_11comp_targetILNS1_3genE9ELNS1_11target_archE1100ELNS1_3gpuE3ELNS1_3repE0EEENS1_30default_config_static_selectorELNS0_4arch9wavefront6targetE1EEEvT1_
	.p2align	8
	.type	_ZN7rocprim17ROCPRIM_400000_NS6detail17trampoline_kernelINS0_14default_configENS1_20scan_config_selectorIxEEZZNS1_9scan_implILNS1_25lookback_scan_determinismE0ELb1ELb1ES3_N6thrust23THRUST_200600_302600_NS6detail15normal_iteratorINS9_10device_ptrIxEEEENS9_16discard_iteratorINS9_11use_defaultEEEx11max_functorIxExEEDaPvRmT3_T4_T5_mT6_P12ihipStream_tbENKUlT_T0_E_clISt17integral_constantIbLb0EESW_IbLb1EEEEDaSS_ST_EUlSS_E_NS1_11comp_targetILNS1_3genE9ELNS1_11target_archE1100ELNS1_3gpuE3ELNS1_3repE0EEENS1_30default_config_static_selectorELNS0_4arch9wavefront6targetE1EEEvT1_,@function
_ZN7rocprim17ROCPRIM_400000_NS6detail17trampoline_kernelINS0_14default_configENS1_20scan_config_selectorIxEEZZNS1_9scan_implILNS1_25lookback_scan_determinismE0ELb1ELb1ES3_N6thrust23THRUST_200600_302600_NS6detail15normal_iteratorINS9_10device_ptrIxEEEENS9_16discard_iteratorINS9_11use_defaultEEEx11max_functorIxExEEDaPvRmT3_T4_T5_mT6_P12ihipStream_tbENKUlT_T0_E_clISt17integral_constantIbLb0EESW_IbLb1EEEEDaSS_ST_EUlSS_E_NS1_11comp_targetILNS1_3genE9ELNS1_11target_archE1100ELNS1_3gpuE3ELNS1_3repE0EEENS1_30default_config_static_selectorELNS0_4arch9wavefront6targetE1EEEvT1_: ; @_ZN7rocprim17ROCPRIM_400000_NS6detail17trampoline_kernelINS0_14default_configENS1_20scan_config_selectorIxEEZZNS1_9scan_implILNS1_25lookback_scan_determinismE0ELb1ELb1ES3_N6thrust23THRUST_200600_302600_NS6detail15normal_iteratorINS9_10device_ptrIxEEEENS9_16discard_iteratorINS9_11use_defaultEEEx11max_functorIxExEEDaPvRmT3_T4_T5_mT6_P12ihipStream_tbENKUlT_T0_E_clISt17integral_constantIbLb0EESW_IbLb1EEEEDaSS_ST_EUlSS_E_NS1_11comp_targetILNS1_3genE9ELNS1_11target_archE1100ELNS1_3gpuE3ELNS1_3repE0EEENS1_30default_config_static_selectorELNS0_4arch9wavefront6targetE1EEEvT1_
; %bb.0:
	.section	.rodata,"a",@progbits
	.p2align	6, 0x0
	.amdhsa_kernel _ZN7rocprim17ROCPRIM_400000_NS6detail17trampoline_kernelINS0_14default_configENS1_20scan_config_selectorIxEEZZNS1_9scan_implILNS1_25lookback_scan_determinismE0ELb1ELb1ES3_N6thrust23THRUST_200600_302600_NS6detail15normal_iteratorINS9_10device_ptrIxEEEENS9_16discard_iteratorINS9_11use_defaultEEEx11max_functorIxExEEDaPvRmT3_T4_T5_mT6_P12ihipStream_tbENKUlT_T0_E_clISt17integral_constantIbLb0EESW_IbLb1EEEEDaSS_ST_EUlSS_E_NS1_11comp_targetILNS1_3genE9ELNS1_11target_archE1100ELNS1_3gpuE3ELNS1_3repE0EEENS1_30default_config_static_selectorELNS0_4arch9wavefront6targetE1EEEvT1_
		.amdhsa_group_segment_fixed_size 0
		.amdhsa_private_segment_fixed_size 0
		.amdhsa_kernarg_size 112
		.amdhsa_user_sgpr_count 6
		.amdhsa_user_sgpr_private_segment_buffer 1
		.amdhsa_user_sgpr_dispatch_ptr 0
		.amdhsa_user_sgpr_queue_ptr 0
		.amdhsa_user_sgpr_kernarg_segment_ptr 1
		.amdhsa_user_sgpr_dispatch_id 0
		.amdhsa_user_sgpr_flat_scratch_init 0
		.amdhsa_user_sgpr_kernarg_preload_length 0
		.amdhsa_user_sgpr_kernarg_preload_offset 0
		.amdhsa_user_sgpr_private_segment_size 0
		.amdhsa_uses_dynamic_stack 0
		.amdhsa_system_sgpr_private_segment_wavefront_offset 0
		.amdhsa_system_sgpr_workgroup_id_x 1
		.amdhsa_system_sgpr_workgroup_id_y 0
		.amdhsa_system_sgpr_workgroup_id_z 0
		.amdhsa_system_sgpr_workgroup_info 0
		.amdhsa_system_vgpr_workitem_id 0
		.amdhsa_next_free_vgpr 1
		.amdhsa_next_free_sgpr 0
		.amdhsa_accum_offset 4
		.amdhsa_reserve_vcc 0
		.amdhsa_reserve_flat_scratch 0
		.amdhsa_float_round_mode_32 0
		.amdhsa_float_round_mode_16_64 0
		.amdhsa_float_denorm_mode_32 3
		.amdhsa_float_denorm_mode_16_64 3
		.amdhsa_dx10_clamp 1
		.amdhsa_ieee_mode 1
		.amdhsa_fp16_overflow 0
		.amdhsa_tg_split 0
		.amdhsa_exception_fp_ieee_invalid_op 0
		.amdhsa_exception_fp_denorm_src 0
		.amdhsa_exception_fp_ieee_div_zero 0
		.amdhsa_exception_fp_ieee_overflow 0
		.amdhsa_exception_fp_ieee_underflow 0
		.amdhsa_exception_fp_ieee_inexact 0
		.amdhsa_exception_int_div_zero 0
	.end_amdhsa_kernel
	.section	.text._ZN7rocprim17ROCPRIM_400000_NS6detail17trampoline_kernelINS0_14default_configENS1_20scan_config_selectorIxEEZZNS1_9scan_implILNS1_25lookback_scan_determinismE0ELb1ELb1ES3_N6thrust23THRUST_200600_302600_NS6detail15normal_iteratorINS9_10device_ptrIxEEEENS9_16discard_iteratorINS9_11use_defaultEEEx11max_functorIxExEEDaPvRmT3_T4_T5_mT6_P12ihipStream_tbENKUlT_T0_E_clISt17integral_constantIbLb0EESW_IbLb1EEEEDaSS_ST_EUlSS_E_NS1_11comp_targetILNS1_3genE9ELNS1_11target_archE1100ELNS1_3gpuE3ELNS1_3repE0EEENS1_30default_config_static_selectorELNS0_4arch9wavefront6targetE1EEEvT1_,"axG",@progbits,_ZN7rocprim17ROCPRIM_400000_NS6detail17trampoline_kernelINS0_14default_configENS1_20scan_config_selectorIxEEZZNS1_9scan_implILNS1_25lookback_scan_determinismE0ELb1ELb1ES3_N6thrust23THRUST_200600_302600_NS6detail15normal_iteratorINS9_10device_ptrIxEEEENS9_16discard_iteratorINS9_11use_defaultEEEx11max_functorIxExEEDaPvRmT3_T4_T5_mT6_P12ihipStream_tbENKUlT_T0_E_clISt17integral_constantIbLb0EESW_IbLb1EEEEDaSS_ST_EUlSS_E_NS1_11comp_targetILNS1_3genE9ELNS1_11target_archE1100ELNS1_3gpuE3ELNS1_3repE0EEENS1_30default_config_static_selectorELNS0_4arch9wavefront6targetE1EEEvT1_,comdat
.Lfunc_end3843:
	.size	_ZN7rocprim17ROCPRIM_400000_NS6detail17trampoline_kernelINS0_14default_configENS1_20scan_config_selectorIxEEZZNS1_9scan_implILNS1_25lookback_scan_determinismE0ELb1ELb1ES3_N6thrust23THRUST_200600_302600_NS6detail15normal_iteratorINS9_10device_ptrIxEEEENS9_16discard_iteratorINS9_11use_defaultEEEx11max_functorIxExEEDaPvRmT3_T4_T5_mT6_P12ihipStream_tbENKUlT_T0_E_clISt17integral_constantIbLb0EESW_IbLb1EEEEDaSS_ST_EUlSS_E_NS1_11comp_targetILNS1_3genE9ELNS1_11target_archE1100ELNS1_3gpuE3ELNS1_3repE0EEENS1_30default_config_static_selectorELNS0_4arch9wavefront6targetE1EEEvT1_, .Lfunc_end3843-_ZN7rocprim17ROCPRIM_400000_NS6detail17trampoline_kernelINS0_14default_configENS1_20scan_config_selectorIxEEZZNS1_9scan_implILNS1_25lookback_scan_determinismE0ELb1ELb1ES3_N6thrust23THRUST_200600_302600_NS6detail15normal_iteratorINS9_10device_ptrIxEEEENS9_16discard_iteratorINS9_11use_defaultEEEx11max_functorIxExEEDaPvRmT3_T4_T5_mT6_P12ihipStream_tbENKUlT_T0_E_clISt17integral_constantIbLb0EESW_IbLb1EEEEDaSS_ST_EUlSS_E_NS1_11comp_targetILNS1_3genE9ELNS1_11target_archE1100ELNS1_3gpuE3ELNS1_3repE0EEENS1_30default_config_static_selectorELNS0_4arch9wavefront6targetE1EEEvT1_
                                        ; -- End function
	.section	.AMDGPU.csdata,"",@progbits
; Kernel info:
; codeLenInByte = 0
; NumSgprs: 4
; NumVgprs: 0
; NumAgprs: 0
; TotalNumVgprs: 0
; ScratchSize: 0
; MemoryBound: 0
; FloatMode: 240
; IeeeMode: 1
; LDSByteSize: 0 bytes/workgroup (compile time only)
; SGPRBlocks: 0
; VGPRBlocks: 0
; NumSGPRsForWavesPerEU: 4
; NumVGPRsForWavesPerEU: 1
; AccumOffset: 4
; Occupancy: 8
; WaveLimiterHint : 0
; COMPUTE_PGM_RSRC2:SCRATCH_EN: 0
; COMPUTE_PGM_RSRC2:USER_SGPR: 6
; COMPUTE_PGM_RSRC2:TRAP_HANDLER: 0
; COMPUTE_PGM_RSRC2:TGID_X_EN: 1
; COMPUTE_PGM_RSRC2:TGID_Y_EN: 0
; COMPUTE_PGM_RSRC2:TGID_Z_EN: 0
; COMPUTE_PGM_RSRC2:TIDIG_COMP_CNT: 0
; COMPUTE_PGM_RSRC3_GFX90A:ACCUM_OFFSET: 0
; COMPUTE_PGM_RSRC3_GFX90A:TG_SPLIT: 0
	.section	.text._ZN7rocprim17ROCPRIM_400000_NS6detail17trampoline_kernelINS0_14default_configENS1_20scan_config_selectorIxEEZZNS1_9scan_implILNS1_25lookback_scan_determinismE0ELb1ELb1ES3_N6thrust23THRUST_200600_302600_NS6detail15normal_iteratorINS9_10device_ptrIxEEEENS9_16discard_iteratorINS9_11use_defaultEEEx11max_functorIxExEEDaPvRmT3_T4_T5_mT6_P12ihipStream_tbENKUlT_T0_E_clISt17integral_constantIbLb0EESW_IbLb1EEEEDaSS_ST_EUlSS_E_NS1_11comp_targetILNS1_3genE8ELNS1_11target_archE1030ELNS1_3gpuE2ELNS1_3repE0EEENS1_30default_config_static_selectorELNS0_4arch9wavefront6targetE1EEEvT1_,"axG",@progbits,_ZN7rocprim17ROCPRIM_400000_NS6detail17trampoline_kernelINS0_14default_configENS1_20scan_config_selectorIxEEZZNS1_9scan_implILNS1_25lookback_scan_determinismE0ELb1ELb1ES3_N6thrust23THRUST_200600_302600_NS6detail15normal_iteratorINS9_10device_ptrIxEEEENS9_16discard_iteratorINS9_11use_defaultEEEx11max_functorIxExEEDaPvRmT3_T4_T5_mT6_P12ihipStream_tbENKUlT_T0_E_clISt17integral_constantIbLb0EESW_IbLb1EEEEDaSS_ST_EUlSS_E_NS1_11comp_targetILNS1_3genE8ELNS1_11target_archE1030ELNS1_3gpuE2ELNS1_3repE0EEENS1_30default_config_static_selectorELNS0_4arch9wavefront6targetE1EEEvT1_,comdat
	.protected	_ZN7rocprim17ROCPRIM_400000_NS6detail17trampoline_kernelINS0_14default_configENS1_20scan_config_selectorIxEEZZNS1_9scan_implILNS1_25lookback_scan_determinismE0ELb1ELb1ES3_N6thrust23THRUST_200600_302600_NS6detail15normal_iteratorINS9_10device_ptrIxEEEENS9_16discard_iteratorINS9_11use_defaultEEEx11max_functorIxExEEDaPvRmT3_T4_T5_mT6_P12ihipStream_tbENKUlT_T0_E_clISt17integral_constantIbLb0EESW_IbLb1EEEEDaSS_ST_EUlSS_E_NS1_11comp_targetILNS1_3genE8ELNS1_11target_archE1030ELNS1_3gpuE2ELNS1_3repE0EEENS1_30default_config_static_selectorELNS0_4arch9wavefront6targetE1EEEvT1_ ; -- Begin function _ZN7rocprim17ROCPRIM_400000_NS6detail17trampoline_kernelINS0_14default_configENS1_20scan_config_selectorIxEEZZNS1_9scan_implILNS1_25lookback_scan_determinismE0ELb1ELb1ES3_N6thrust23THRUST_200600_302600_NS6detail15normal_iteratorINS9_10device_ptrIxEEEENS9_16discard_iteratorINS9_11use_defaultEEEx11max_functorIxExEEDaPvRmT3_T4_T5_mT6_P12ihipStream_tbENKUlT_T0_E_clISt17integral_constantIbLb0EESW_IbLb1EEEEDaSS_ST_EUlSS_E_NS1_11comp_targetILNS1_3genE8ELNS1_11target_archE1030ELNS1_3gpuE2ELNS1_3repE0EEENS1_30default_config_static_selectorELNS0_4arch9wavefront6targetE1EEEvT1_
	.globl	_ZN7rocprim17ROCPRIM_400000_NS6detail17trampoline_kernelINS0_14default_configENS1_20scan_config_selectorIxEEZZNS1_9scan_implILNS1_25lookback_scan_determinismE0ELb1ELb1ES3_N6thrust23THRUST_200600_302600_NS6detail15normal_iteratorINS9_10device_ptrIxEEEENS9_16discard_iteratorINS9_11use_defaultEEEx11max_functorIxExEEDaPvRmT3_T4_T5_mT6_P12ihipStream_tbENKUlT_T0_E_clISt17integral_constantIbLb0EESW_IbLb1EEEEDaSS_ST_EUlSS_E_NS1_11comp_targetILNS1_3genE8ELNS1_11target_archE1030ELNS1_3gpuE2ELNS1_3repE0EEENS1_30default_config_static_selectorELNS0_4arch9wavefront6targetE1EEEvT1_
	.p2align	8
	.type	_ZN7rocprim17ROCPRIM_400000_NS6detail17trampoline_kernelINS0_14default_configENS1_20scan_config_selectorIxEEZZNS1_9scan_implILNS1_25lookback_scan_determinismE0ELb1ELb1ES3_N6thrust23THRUST_200600_302600_NS6detail15normal_iteratorINS9_10device_ptrIxEEEENS9_16discard_iteratorINS9_11use_defaultEEEx11max_functorIxExEEDaPvRmT3_T4_T5_mT6_P12ihipStream_tbENKUlT_T0_E_clISt17integral_constantIbLb0EESW_IbLb1EEEEDaSS_ST_EUlSS_E_NS1_11comp_targetILNS1_3genE8ELNS1_11target_archE1030ELNS1_3gpuE2ELNS1_3repE0EEENS1_30default_config_static_selectorELNS0_4arch9wavefront6targetE1EEEvT1_,@function
_ZN7rocprim17ROCPRIM_400000_NS6detail17trampoline_kernelINS0_14default_configENS1_20scan_config_selectorIxEEZZNS1_9scan_implILNS1_25lookback_scan_determinismE0ELb1ELb1ES3_N6thrust23THRUST_200600_302600_NS6detail15normal_iteratorINS9_10device_ptrIxEEEENS9_16discard_iteratorINS9_11use_defaultEEEx11max_functorIxExEEDaPvRmT3_T4_T5_mT6_P12ihipStream_tbENKUlT_T0_E_clISt17integral_constantIbLb0EESW_IbLb1EEEEDaSS_ST_EUlSS_E_NS1_11comp_targetILNS1_3genE8ELNS1_11target_archE1030ELNS1_3gpuE2ELNS1_3repE0EEENS1_30default_config_static_selectorELNS0_4arch9wavefront6targetE1EEEvT1_: ; @_ZN7rocprim17ROCPRIM_400000_NS6detail17trampoline_kernelINS0_14default_configENS1_20scan_config_selectorIxEEZZNS1_9scan_implILNS1_25lookback_scan_determinismE0ELb1ELb1ES3_N6thrust23THRUST_200600_302600_NS6detail15normal_iteratorINS9_10device_ptrIxEEEENS9_16discard_iteratorINS9_11use_defaultEEEx11max_functorIxExEEDaPvRmT3_T4_T5_mT6_P12ihipStream_tbENKUlT_T0_E_clISt17integral_constantIbLb0EESW_IbLb1EEEEDaSS_ST_EUlSS_E_NS1_11comp_targetILNS1_3genE8ELNS1_11target_archE1030ELNS1_3gpuE2ELNS1_3repE0EEENS1_30default_config_static_selectorELNS0_4arch9wavefront6targetE1EEEvT1_
; %bb.0:
	.section	.rodata,"a",@progbits
	.p2align	6, 0x0
	.amdhsa_kernel _ZN7rocprim17ROCPRIM_400000_NS6detail17trampoline_kernelINS0_14default_configENS1_20scan_config_selectorIxEEZZNS1_9scan_implILNS1_25lookback_scan_determinismE0ELb1ELb1ES3_N6thrust23THRUST_200600_302600_NS6detail15normal_iteratorINS9_10device_ptrIxEEEENS9_16discard_iteratorINS9_11use_defaultEEEx11max_functorIxExEEDaPvRmT3_T4_T5_mT6_P12ihipStream_tbENKUlT_T0_E_clISt17integral_constantIbLb0EESW_IbLb1EEEEDaSS_ST_EUlSS_E_NS1_11comp_targetILNS1_3genE8ELNS1_11target_archE1030ELNS1_3gpuE2ELNS1_3repE0EEENS1_30default_config_static_selectorELNS0_4arch9wavefront6targetE1EEEvT1_
		.amdhsa_group_segment_fixed_size 0
		.amdhsa_private_segment_fixed_size 0
		.amdhsa_kernarg_size 112
		.amdhsa_user_sgpr_count 6
		.amdhsa_user_sgpr_private_segment_buffer 1
		.amdhsa_user_sgpr_dispatch_ptr 0
		.amdhsa_user_sgpr_queue_ptr 0
		.amdhsa_user_sgpr_kernarg_segment_ptr 1
		.amdhsa_user_sgpr_dispatch_id 0
		.amdhsa_user_sgpr_flat_scratch_init 0
		.amdhsa_user_sgpr_kernarg_preload_length 0
		.amdhsa_user_sgpr_kernarg_preload_offset 0
		.amdhsa_user_sgpr_private_segment_size 0
		.amdhsa_uses_dynamic_stack 0
		.amdhsa_system_sgpr_private_segment_wavefront_offset 0
		.amdhsa_system_sgpr_workgroup_id_x 1
		.amdhsa_system_sgpr_workgroup_id_y 0
		.amdhsa_system_sgpr_workgroup_id_z 0
		.amdhsa_system_sgpr_workgroup_info 0
		.amdhsa_system_vgpr_workitem_id 0
		.amdhsa_next_free_vgpr 1
		.amdhsa_next_free_sgpr 0
		.amdhsa_accum_offset 4
		.amdhsa_reserve_vcc 0
		.amdhsa_reserve_flat_scratch 0
		.amdhsa_float_round_mode_32 0
		.amdhsa_float_round_mode_16_64 0
		.amdhsa_float_denorm_mode_32 3
		.amdhsa_float_denorm_mode_16_64 3
		.amdhsa_dx10_clamp 1
		.amdhsa_ieee_mode 1
		.amdhsa_fp16_overflow 0
		.amdhsa_tg_split 0
		.amdhsa_exception_fp_ieee_invalid_op 0
		.amdhsa_exception_fp_denorm_src 0
		.amdhsa_exception_fp_ieee_div_zero 0
		.amdhsa_exception_fp_ieee_overflow 0
		.amdhsa_exception_fp_ieee_underflow 0
		.amdhsa_exception_fp_ieee_inexact 0
		.amdhsa_exception_int_div_zero 0
	.end_amdhsa_kernel
	.section	.text._ZN7rocprim17ROCPRIM_400000_NS6detail17trampoline_kernelINS0_14default_configENS1_20scan_config_selectorIxEEZZNS1_9scan_implILNS1_25lookback_scan_determinismE0ELb1ELb1ES3_N6thrust23THRUST_200600_302600_NS6detail15normal_iteratorINS9_10device_ptrIxEEEENS9_16discard_iteratorINS9_11use_defaultEEEx11max_functorIxExEEDaPvRmT3_T4_T5_mT6_P12ihipStream_tbENKUlT_T0_E_clISt17integral_constantIbLb0EESW_IbLb1EEEEDaSS_ST_EUlSS_E_NS1_11comp_targetILNS1_3genE8ELNS1_11target_archE1030ELNS1_3gpuE2ELNS1_3repE0EEENS1_30default_config_static_selectorELNS0_4arch9wavefront6targetE1EEEvT1_,"axG",@progbits,_ZN7rocprim17ROCPRIM_400000_NS6detail17trampoline_kernelINS0_14default_configENS1_20scan_config_selectorIxEEZZNS1_9scan_implILNS1_25lookback_scan_determinismE0ELb1ELb1ES3_N6thrust23THRUST_200600_302600_NS6detail15normal_iteratorINS9_10device_ptrIxEEEENS9_16discard_iteratorINS9_11use_defaultEEEx11max_functorIxExEEDaPvRmT3_T4_T5_mT6_P12ihipStream_tbENKUlT_T0_E_clISt17integral_constantIbLb0EESW_IbLb1EEEEDaSS_ST_EUlSS_E_NS1_11comp_targetILNS1_3genE8ELNS1_11target_archE1030ELNS1_3gpuE2ELNS1_3repE0EEENS1_30default_config_static_selectorELNS0_4arch9wavefront6targetE1EEEvT1_,comdat
.Lfunc_end3844:
	.size	_ZN7rocprim17ROCPRIM_400000_NS6detail17trampoline_kernelINS0_14default_configENS1_20scan_config_selectorIxEEZZNS1_9scan_implILNS1_25lookback_scan_determinismE0ELb1ELb1ES3_N6thrust23THRUST_200600_302600_NS6detail15normal_iteratorINS9_10device_ptrIxEEEENS9_16discard_iteratorINS9_11use_defaultEEEx11max_functorIxExEEDaPvRmT3_T4_T5_mT6_P12ihipStream_tbENKUlT_T0_E_clISt17integral_constantIbLb0EESW_IbLb1EEEEDaSS_ST_EUlSS_E_NS1_11comp_targetILNS1_3genE8ELNS1_11target_archE1030ELNS1_3gpuE2ELNS1_3repE0EEENS1_30default_config_static_selectorELNS0_4arch9wavefront6targetE1EEEvT1_, .Lfunc_end3844-_ZN7rocprim17ROCPRIM_400000_NS6detail17trampoline_kernelINS0_14default_configENS1_20scan_config_selectorIxEEZZNS1_9scan_implILNS1_25lookback_scan_determinismE0ELb1ELb1ES3_N6thrust23THRUST_200600_302600_NS6detail15normal_iteratorINS9_10device_ptrIxEEEENS9_16discard_iteratorINS9_11use_defaultEEEx11max_functorIxExEEDaPvRmT3_T4_T5_mT6_P12ihipStream_tbENKUlT_T0_E_clISt17integral_constantIbLb0EESW_IbLb1EEEEDaSS_ST_EUlSS_E_NS1_11comp_targetILNS1_3genE8ELNS1_11target_archE1030ELNS1_3gpuE2ELNS1_3repE0EEENS1_30default_config_static_selectorELNS0_4arch9wavefront6targetE1EEEvT1_
                                        ; -- End function
	.section	.AMDGPU.csdata,"",@progbits
; Kernel info:
; codeLenInByte = 0
; NumSgprs: 4
; NumVgprs: 0
; NumAgprs: 0
; TotalNumVgprs: 0
; ScratchSize: 0
; MemoryBound: 0
; FloatMode: 240
; IeeeMode: 1
; LDSByteSize: 0 bytes/workgroup (compile time only)
; SGPRBlocks: 0
; VGPRBlocks: 0
; NumSGPRsForWavesPerEU: 4
; NumVGPRsForWavesPerEU: 1
; AccumOffset: 4
; Occupancy: 8
; WaveLimiterHint : 0
; COMPUTE_PGM_RSRC2:SCRATCH_EN: 0
; COMPUTE_PGM_RSRC2:USER_SGPR: 6
; COMPUTE_PGM_RSRC2:TRAP_HANDLER: 0
; COMPUTE_PGM_RSRC2:TGID_X_EN: 1
; COMPUTE_PGM_RSRC2:TGID_Y_EN: 0
; COMPUTE_PGM_RSRC2:TGID_Z_EN: 0
; COMPUTE_PGM_RSRC2:TIDIG_COMP_CNT: 0
; COMPUTE_PGM_RSRC3_GFX90A:ACCUM_OFFSET: 0
; COMPUTE_PGM_RSRC3_GFX90A:TG_SPLIT: 0
	.section	.text._ZN7rocprim17ROCPRIM_400000_NS6detail17trampoline_kernelINS0_14default_configENS1_20scan_config_selectorIxEEZZNS1_9scan_implILNS1_25lookback_scan_determinismE0ELb1ELb1ES3_N6thrust23THRUST_200600_302600_NS6detail15normal_iteratorINS9_10device_ptrIxEEEENS9_16discard_iteratorINS9_11use_defaultEEEx11max_functorIxExEEDaPvRmT3_T4_T5_mT6_P12ihipStream_tbENKUlT_T0_E_clISt17integral_constantIbLb0EESW_IbLb1EEEEDaSS_ST_EUlSS_E0_NS1_11comp_targetILNS1_3genE0ELNS1_11target_archE4294967295ELNS1_3gpuE0ELNS1_3repE0EEENS1_30default_config_static_selectorELNS0_4arch9wavefront6targetE1EEEvT1_,"axG",@progbits,_ZN7rocprim17ROCPRIM_400000_NS6detail17trampoline_kernelINS0_14default_configENS1_20scan_config_selectorIxEEZZNS1_9scan_implILNS1_25lookback_scan_determinismE0ELb1ELb1ES3_N6thrust23THRUST_200600_302600_NS6detail15normal_iteratorINS9_10device_ptrIxEEEENS9_16discard_iteratorINS9_11use_defaultEEEx11max_functorIxExEEDaPvRmT3_T4_T5_mT6_P12ihipStream_tbENKUlT_T0_E_clISt17integral_constantIbLb0EESW_IbLb1EEEEDaSS_ST_EUlSS_E0_NS1_11comp_targetILNS1_3genE0ELNS1_11target_archE4294967295ELNS1_3gpuE0ELNS1_3repE0EEENS1_30default_config_static_selectorELNS0_4arch9wavefront6targetE1EEEvT1_,comdat
	.protected	_ZN7rocprim17ROCPRIM_400000_NS6detail17trampoline_kernelINS0_14default_configENS1_20scan_config_selectorIxEEZZNS1_9scan_implILNS1_25lookback_scan_determinismE0ELb1ELb1ES3_N6thrust23THRUST_200600_302600_NS6detail15normal_iteratorINS9_10device_ptrIxEEEENS9_16discard_iteratorINS9_11use_defaultEEEx11max_functorIxExEEDaPvRmT3_T4_T5_mT6_P12ihipStream_tbENKUlT_T0_E_clISt17integral_constantIbLb0EESW_IbLb1EEEEDaSS_ST_EUlSS_E0_NS1_11comp_targetILNS1_3genE0ELNS1_11target_archE4294967295ELNS1_3gpuE0ELNS1_3repE0EEENS1_30default_config_static_selectorELNS0_4arch9wavefront6targetE1EEEvT1_ ; -- Begin function _ZN7rocprim17ROCPRIM_400000_NS6detail17trampoline_kernelINS0_14default_configENS1_20scan_config_selectorIxEEZZNS1_9scan_implILNS1_25lookback_scan_determinismE0ELb1ELb1ES3_N6thrust23THRUST_200600_302600_NS6detail15normal_iteratorINS9_10device_ptrIxEEEENS9_16discard_iteratorINS9_11use_defaultEEEx11max_functorIxExEEDaPvRmT3_T4_T5_mT6_P12ihipStream_tbENKUlT_T0_E_clISt17integral_constantIbLb0EESW_IbLb1EEEEDaSS_ST_EUlSS_E0_NS1_11comp_targetILNS1_3genE0ELNS1_11target_archE4294967295ELNS1_3gpuE0ELNS1_3repE0EEENS1_30default_config_static_selectorELNS0_4arch9wavefront6targetE1EEEvT1_
	.globl	_ZN7rocprim17ROCPRIM_400000_NS6detail17trampoline_kernelINS0_14default_configENS1_20scan_config_selectorIxEEZZNS1_9scan_implILNS1_25lookback_scan_determinismE0ELb1ELb1ES3_N6thrust23THRUST_200600_302600_NS6detail15normal_iteratorINS9_10device_ptrIxEEEENS9_16discard_iteratorINS9_11use_defaultEEEx11max_functorIxExEEDaPvRmT3_T4_T5_mT6_P12ihipStream_tbENKUlT_T0_E_clISt17integral_constantIbLb0EESW_IbLb1EEEEDaSS_ST_EUlSS_E0_NS1_11comp_targetILNS1_3genE0ELNS1_11target_archE4294967295ELNS1_3gpuE0ELNS1_3repE0EEENS1_30default_config_static_selectorELNS0_4arch9wavefront6targetE1EEEvT1_
	.p2align	8
	.type	_ZN7rocprim17ROCPRIM_400000_NS6detail17trampoline_kernelINS0_14default_configENS1_20scan_config_selectorIxEEZZNS1_9scan_implILNS1_25lookback_scan_determinismE0ELb1ELb1ES3_N6thrust23THRUST_200600_302600_NS6detail15normal_iteratorINS9_10device_ptrIxEEEENS9_16discard_iteratorINS9_11use_defaultEEEx11max_functorIxExEEDaPvRmT3_T4_T5_mT6_P12ihipStream_tbENKUlT_T0_E_clISt17integral_constantIbLb0EESW_IbLb1EEEEDaSS_ST_EUlSS_E0_NS1_11comp_targetILNS1_3genE0ELNS1_11target_archE4294967295ELNS1_3gpuE0ELNS1_3repE0EEENS1_30default_config_static_selectorELNS0_4arch9wavefront6targetE1EEEvT1_,@function
_ZN7rocprim17ROCPRIM_400000_NS6detail17trampoline_kernelINS0_14default_configENS1_20scan_config_selectorIxEEZZNS1_9scan_implILNS1_25lookback_scan_determinismE0ELb1ELb1ES3_N6thrust23THRUST_200600_302600_NS6detail15normal_iteratorINS9_10device_ptrIxEEEENS9_16discard_iteratorINS9_11use_defaultEEEx11max_functorIxExEEDaPvRmT3_T4_T5_mT6_P12ihipStream_tbENKUlT_T0_E_clISt17integral_constantIbLb0EESW_IbLb1EEEEDaSS_ST_EUlSS_E0_NS1_11comp_targetILNS1_3genE0ELNS1_11target_archE4294967295ELNS1_3gpuE0ELNS1_3repE0EEENS1_30default_config_static_selectorELNS0_4arch9wavefront6targetE1EEEvT1_: ; @_ZN7rocprim17ROCPRIM_400000_NS6detail17trampoline_kernelINS0_14default_configENS1_20scan_config_selectorIxEEZZNS1_9scan_implILNS1_25lookback_scan_determinismE0ELb1ELb1ES3_N6thrust23THRUST_200600_302600_NS6detail15normal_iteratorINS9_10device_ptrIxEEEENS9_16discard_iteratorINS9_11use_defaultEEEx11max_functorIxExEEDaPvRmT3_T4_T5_mT6_P12ihipStream_tbENKUlT_T0_E_clISt17integral_constantIbLb0EESW_IbLb1EEEEDaSS_ST_EUlSS_E0_NS1_11comp_targetILNS1_3genE0ELNS1_11target_archE4294967295ELNS1_3gpuE0ELNS1_3repE0EEENS1_30default_config_static_selectorELNS0_4arch9wavefront6targetE1EEEvT1_
; %bb.0:
	.section	.rodata,"a",@progbits
	.p2align	6, 0x0
	.amdhsa_kernel _ZN7rocprim17ROCPRIM_400000_NS6detail17trampoline_kernelINS0_14default_configENS1_20scan_config_selectorIxEEZZNS1_9scan_implILNS1_25lookback_scan_determinismE0ELb1ELb1ES3_N6thrust23THRUST_200600_302600_NS6detail15normal_iteratorINS9_10device_ptrIxEEEENS9_16discard_iteratorINS9_11use_defaultEEEx11max_functorIxExEEDaPvRmT3_T4_T5_mT6_P12ihipStream_tbENKUlT_T0_E_clISt17integral_constantIbLb0EESW_IbLb1EEEEDaSS_ST_EUlSS_E0_NS1_11comp_targetILNS1_3genE0ELNS1_11target_archE4294967295ELNS1_3gpuE0ELNS1_3repE0EEENS1_30default_config_static_selectorELNS0_4arch9wavefront6targetE1EEEvT1_
		.amdhsa_group_segment_fixed_size 0
		.amdhsa_private_segment_fixed_size 0
		.amdhsa_kernarg_size 48
		.amdhsa_user_sgpr_count 6
		.amdhsa_user_sgpr_private_segment_buffer 1
		.amdhsa_user_sgpr_dispatch_ptr 0
		.amdhsa_user_sgpr_queue_ptr 0
		.amdhsa_user_sgpr_kernarg_segment_ptr 1
		.amdhsa_user_sgpr_dispatch_id 0
		.amdhsa_user_sgpr_flat_scratch_init 0
		.amdhsa_user_sgpr_kernarg_preload_length 0
		.amdhsa_user_sgpr_kernarg_preload_offset 0
		.amdhsa_user_sgpr_private_segment_size 0
		.amdhsa_uses_dynamic_stack 0
		.amdhsa_system_sgpr_private_segment_wavefront_offset 0
		.amdhsa_system_sgpr_workgroup_id_x 1
		.amdhsa_system_sgpr_workgroup_id_y 0
		.amdhsa_system_sgpr_workgroup_id_z 0
		.amdhsa_system_sgpr_workgroup_info 0
		.amdhsa_system_vgpr_workitem_id 0
		.amdhsa_next_free_vgpr 1
		.amdhsa_next_free_sgpr 0
		.amdhsa_accum_offset 4
		.amdhsa_reserve_vcc 0
		.amdhsa_reserve_flat_scratch 0
		.amdhsa_float_round_mode_32 0
		.amdhsa_float_round_mode_16_64 0
		.amdhsa_float_denorm_mode_32 3
		.amdhsa_float_denorm_mode_16_64 3
		.amdhsa_dx10_clamp 1
		.amdhsa_ieee_mode 1
		.amdhsa_fp16_overflow 0
		.amdhsa_tg_split 0
		.amdhsa_exception_fp_ieee_invalid_op 0
		.amdhsa_exception_fp_denorm_src 0
		.amdhsa_exception_fp_ieee_div_zero 0
		.amdhsa_exception_fp_ieee_overflow 0
		.amdhsa_exception_fp_ieee_underflow 0
		.amdhsa_exception_fp_ieee_inexact 0
		.amdhsa_exception_int_div_zero 0
	.end_amdhsa_kernel
	.section	.text._ZN7rocprim17ROCPRIM_400000_NS6detail17trampoline_kernelINS0_14default_configENS1_20scan_config_selectorIxEEZZNS1_9scan_implILNS1_25lookback_scan_determinismE0ELb1ELb1ES3_N6thrust23THRUST_200600_302600_NS6detail15normal_iteratorINS9_10device_ptrIxEEEENS9_16discard_iteratorINS9_11use_defaultEEEx11max_functorIxExEEDaPvRmT3_T4_T5_mT6_P12ihipStream_tbENKUlT_T0_E_clISt17integral_constantIbLb0EESW_IbLb1EEEEDaSS_ST_EUlSS_E0_NS1_11comp_targetILNS1_3genE0ELNS1_11target_archE4294967295ELNS1_3gpuE0ELNS1_3repE0EEENS1_30default_config_static_selectorELNS0_4arch9wavefront6targetE1EEEvT1_,"axG",@progbits,_ZN7rocprim17ROCPRIM_400000_NS6detail17trampoline_kernelINS0_14default_configENS1_20scan_config_selectorIxEEZZNS1_9scan_implILNS1_25lookback_scan_determinismE0ELb1ELb1ES3_N6thrust23THRUST_200600_302600_NS6detail15normal_iteratorINS9_10device_ptrIxEEEENS9_16discard_iteratorINS9_11use_defaultEEEx11max_functorIxExEEDaPvRmT3_T4_T5_mT6_P12ihipStream_tbENKUlT_T0_E_clISt17integral_constantIbLb0EESW_IbLb1EEEEDaSS_ST_EUlSS_E0_NS1_11comp_targetILNS1_3genE0ELNS1_11target_archE4294967295ELNS1_3gpuE0ELNS1_3repE0EEENS1_30default_config_static_selectorELNS0_4arch9wavefront6targetE1EEEvT1_,comdat
.Lfunc_end3845:
	.size	_ZN7rocprim17ROCPRIM_400000_NS6detail17trampoline_kernelINS0_14default_configENS1_20scan_config_selectorIxEEZZNS1_9scan_implILNS1_25lookback_scan_determinismE0ELb1ELb1ES3_N6thrust23THRUST_200600_302600_NS6detail15normal_iteratorINS9_10device_ptrIxEEEENS9_16discard_iteratorINS9_11use_defaultEEEx11max_functorIxExEEDaPvRmT3_T4_T5_mT6_P12ihipStream_tbENKUlT_T0_E_clISt17integral_constantIbLb0EESW_IbLb1EEEEDaSS_ST_EUlSS_E0_NS1_11comp_targetILNS1_3genE0ELNS1_11target_archE4294967295ELNS1_3gpuE0ELNS1_3repE0EEENS1_30default_config_static_selectorELNS0_4arch9wavefront6targetE1EEEvT1_, .Lfunc_end3845-_ZN7rocprim17ROCPRIM_400000_NS6detail17trampoline_kernelINS0_14default_configENS1_20scan_config_selectorIxEEZZNS1_9scan_implILNS1_25lookback_scan_determinismE0ELb1ELb1ES3_N6thrust23THRUST_200600_302600_NS6detail15normal_iteratorINS9_10device_ptrIxEEEENS9_16discard_iteratorINS9_11use_defaultEEEx11max_functorIxExEEDaPvRmT3_T4_T5_mT6_P12ihipStream_tbENKUlT_T0_E_clISt17integral_constantIbLb0EESW_IbLb1EEEEDaSS_ST_EUlSS_E0_NS1_11comp_targetILNS1_3genE0ELNS1_11target_archE4294967295ELNS1_3gpuE0ELNS1_3repE0EEENS1_30default_config_static_selectorELNS0_4arch9wavefront6targetE1EEEvT1_
                                        ; -- End function
	.section	.AMDGPU.csdata,"",@progbits
; Kernel info:
; codeLenInByte = 0
; NumSgprs: 4
; NumVgprs: 0
; NumAgprs: 0
; TotalNumVgprs: 0
; ScratchSize: 0
; MemoryBound: 0
; FloatMode: 240
; IeeeMode: 1
; LDSByteSize: 0 bytes/workgroup (compile time only)
; SGPRBlocks: 0
; VGPRBlocks: 0
; NumSGPRsForWavesPerEU: 4
; NumVGPRsForWavesPerEU: 1
; AccumOffset: 4
; Occupancy: 8
; WaveLimiterHint : 0
; COMPUTE_PGM_RSRC2:SCRATCH_EN: 0
; COMPUTE_PGM_RSRC2:USER_SGPR: 6
; COMPUTE_PGM_RSRC2:TRAP_HANDLER: 0
; COMPUTE_PGM_RSRC2:TGID_X_EN: 1
; COMPUTE_PGM_RSRC2:TGID_Y_EN: 0
; COMPUTE_PGM_RSRC2:TGID_Z_EN: 0
; COMPUTE_PGM_RSRC2:TIDIG_COMP_CNT: 0
; COMPUTE_PGM_RSRC3_GFX90A:ACCUM_OFFSET: 0
; COMPUTE_PGM_RSRC3_GFX90A:TG_SPLIT: 0
	.section	.text._ZN7rocprim17ROCPRIM_400000_NS6detail17trampoline_kernelINS0_14default_configENS1_20scan_config_selectorIxEEZZNS1_9scan_implILNS1_25lookback_scan_determinismE0ELb1ELb1ES3_N6thrust23THRUST_200600_302600_NS6detail15normal_iteratorINS9_10device_ptrIxEEEENS9_16discard_iteratorINS9_11use_defaultEEEx11max_functorIxExEEDaPvRmT3_T4_T5_mT6_P12ihipStream_tbENKUlT_T0_E_clISt17integral_constantIbLb0EESW_IbLb1EEEEDaSS_ST_EUlSS_E0_NS1_11comp_targetILNS1_3genE5ELNS1_11target_archE942ELNS1_3gpuE9ELNS1_3repE0EEENS1_30default_config_static_selectorELNS0_4arch9wavefront6targetE1EEEvT1_,"axG",@progbits,_ZN7rocprim17ROCPRIM_400000_NS6detail17trampoline_kernelINS0_14default_configENS1_20scan_config_selectorIxEEZZNS1_9scan_implILNS1_25lookback_scan_determinismE0ELb1ELb1ES3_N6thrust23THRUST_200600_302600_NS6detail15normal_iteratorINS9_10device_ptrIxEEEENS9_16discard_iteratorINS9_11use_defaultEEEx11max_functorIxExEEDaPvRmT3_T4_T5_mT6_P12ihipStream_tbENKUlT_T0_E_clISt17integral_constantIbLb0EESW_IbLb1EEEEDaSS_ST_EUlSS_E0_NS1_11comp_targetILNS1_3genE5ELNS1_11target_archE942ELNS1_3gpuE9ELNS1_3repE0EEENS1_30default_config_static_selectorELNS0_4arch9wavefront6targetE1EEEvT1_,comdat
	.protected	_ZN7rocprim17ROCPRIM_400000_NS6detail17trampoline_kernelINS0_14default_configENS1_20scan_config_selectorIxEEZZNS1_9scan_implILNS1_25lookback_scan_determinismE0ELb1ELb1ES3_N6thrust23THRUST_200600_302600_NS6detail15normal_iteratorINS9_10device_ptrIxEEEENS9_16discard_iteratorINS9_11use_defaultEEEx11max_functorIxExEEDaPvRmT3_T4_T5_mT6_P12ihipStream_tbENKUlT_T0_E_clISt17integral_constantIbLb0EESW_IbLb1EEEEDaSS_ST_EUlSS_E0_NS1_11comp_targetILNS1_3genE5ELNS1_11target_archE942ELNS1_3gpuE9ELNS1_3repE0EEENS1_30default_config_static_selectorELNS0_4arch9wavefront6targetE1EEEvT1_ ; -- Begin function _ZN7rocprim17ROCPRIM_400000_NS6detail17trampoline_kernelINS0_14default_configENS1_20scan_config_selectorIxEEZZNS1_9scan_implILNS1_25lookback_scan_determinismE0ELb1ELb1ES3_N6thrust23THRUST_200600_302600_NS6detail15normal_iteratorINS9_10device_ptrIxEEEENS9_16discard_iteratorINS9_11use_defaultEEEx11max_functorIxExEEDaPvRmT3_T4_T5_mT6_P12ihipStream_tbENKUlT_T0_E_clISt17integral_constantIbLb0EESW_IbLb1EEEEDaSS_ST_EUlSS_E0_NS1_11comp_targetILNS1_3genE5ELNS1_11target_archE942ELNS1_3gpuE9ELNS1_3repE0EEENS1_30default_config_static_selectorELNS0_4arch9wavefront6targetE1EEEvT1_
	.globl	_ZN7rocprim17ROCPRIM_400000_NS6detail17trampoline_kernelINS0_14default_configENS1_20scan_config_selectorIxEEZZNS1_9scan_implILNS1_25lookback_scan_determinismE0ELb1ELb1ES3_N6thrust23THRUST_200600_302600_NS6detail15normal_iteratorINS9_10device_ptrIxEEEENS9_16discard_iteratorINS9_11use_defaultEEEx11max_functorIxExEEDaPvRmT3_T4_T5_mT6_P12ihipStream_tbENKUlT_T0_E_clISt17integral_constantIbLb0EESW_IbLb1EEEEDaSS_ST_EUlSS_E0_NS1_11comp_targetILNS1_3genE5ELNS1_11target_archE942ELNS1_3gpuE9ELNS1_3repE0EEENS1_30default_config_static_selectorELNS0_4arch9wavefront6targetE1EEEvT1_
	.p2align	8
	.type	_ZN7rocprim17ROCPRIM_400000_NS6detail17trampoline_kernelINS0_14default_configENS1_20scan_config_selectorIxEEZZNS1_9scan_implILNS1_25lookback_scan_determinismE0ELb1ELb1ES3_N6thrust23THRUST_200600_302600_NS6detail15normal_iteratorINS9_10device_ptrIxEEEENS9_16discard_iteratorINS9_11use_defaultEEEx11max_functorIxExEEDaPvRmT3_T4_T5_mT6_P12ihipStream_tbENKUlT_T0_E_clISt17integral_constantIbLb0EESW_IbLb1EEEEDaSS_ST_EUlSS_E0_NS1_11comp_targetILNS1_3genE5ELNS1_11target_archE942ELNS1_3gpuE9ELNS1_3repE0EEENS1_30default_config_static_selectorELNS0_4arch9wavefront6targetE1EEEvT1_,@function
_ZN7rocprim17ROCPRIM_400000_NS6detail17trampoline_kernelINS0_14default_configENS1_20scan_config_selectorIxEEZZNS1_9scan_implILNS1_25lookback_scan_determinismE0ELb1ELb1ES3_N6thrust23THRUST_200600_302600_NS6detail15normal_iteratorINS9_10device_ptrIxEEEENS9_16discard_iteratorINS9_11use_defaultEEEx11max_functorIxExEEDaPvRmT3_T4_T5_mT6_P12ihipStream_tbENKUlT_T0_E_clISt17integral_constantIbLb0EESW_IbLb1EEEEDaSS_ST_EUlSS_E0_NS1_11comp_targetILNS1_3genE5ELNS1_11target_archE942ELNS1_3gpuE9ELNS1_3repE0EEENS1_30default_config_static_selectorELNS0_4arch9wavefront6targetE1EEEvT1_: ; @_ZN7rocprim17ROCPRIM_400000_NS6detail17trampoline_kernelINS0_14default_configENS1_20scan_config_selectorIxEEZZNS1_9scan_implILNS1_25lookback_scan_determinismE0ELb1ELb1ES3_N6thrust23THRUST_200600_302600_NS6detail15normal_iteratorINS9_10device_ptrIxEEEENS9_16discard_iteratorINS9_11use_defaultEEEx11max_functorIxExEEDaPvRmT3_T4_T5_mT6_P12ihipStream_tbENKUlT_T0_E_clISt17integral_constantIbLb0EESW_IbLb1EEEEDaSS_ST_EUlSS_E0_NS1_11comp_targetILNS1_3genE5ELNS1_11target_archE942ELNS1_3gpuE9ELNS1_3repE0EEENS1_30default_config_static_selectorELNS0_4arch9wavefront6targetE1EEEvT1_
; %bb.0:
	.section	.rodata,"a",@progbits
	.p2align	6, 0x0
	.amdhsa_kernel _ZN7rocprim17ROCPRIM_400000_NS6detail17trampoline_kernelINS0_14default_configENS1_20scan_config_selectorIxEEZZNS1_9scan_implILNS1_25lookback_scan_determinismE0ELb1ELb1ES3_N6thrust23THRUST_200600_302600_NS6detail15normal_iteratorINS9_10device_ptrIxEEEENS9_16discard_iteratorINS9_11use_defaultEEEx11max_functorIxExEEDaPvRmT3_T4_T5_mT6_P12ihipStream_tbENKUlT_T0_E_clISt17integral_constantIbLb0EESW_IbLb1EEEEDaSS_ST_EUlSS_E0_NS1_11comp_targetILNS1_3genE5ELNS1_11target_archE942ELNS1_3gpuE9ELNS1_3repE0EEENS1_30default_config_static_selectorELNS0_4arch9wavefront6targetE1EEEvT1_
		.amdhsa_group_segment_fixed_size 0
		.amdhsa_private_segment_fixed_size 0
		.amdhsa_kernarg_size 48
		.amdhsa_user_sgpr_count 6
		.amdhsa_user_sgpr_private_segment_buffer 1
		.amdhsa_user_sgpr_dispatch_ptr 0
		.amdhsa_user_sgpr_queue_ptr 0
		.amdhsa_user_sgpr_kernarg_segment_ptr 1
		.amdhsa_user_sgpr_dispatch_id 0
		.amdhsa_user_sgpr_flat_scratch_init 0
		.amdhsa_user_sgpr_kernarg_preload_length 0
		.amdhsa_user_sgpr_kernarg_preload_offset 0
		.amdhsa_user_sgpr_private_segment_size 0
		.amdhsa_uses_dynamic_stack 0
		.amdhsa_system_sgpr_private_segment_wavefront_offset 0
		.amdhsa_system_sgpr_workgroup_id_x 1
		.amdhsa_system_sgpr_workgroup_id_y 0
		.amdhsa_system_sgpr_workgroup_id_z 0
		.amdhsa_system_sgpr_workgroup_info 0
		.amdhsa_system_vgpr_workitem_id 0
		.amdhsa_next_free_vgpr 1
		.amdhsa_next_free_sgpr 0
		.amdhsa_accum_offset 4
		.amdhsa_reserve_vcc 0
		.amdhsa_reserve_flat_scratch 0
		.amdhsa_float_round_mode_32 0
		.amdhsa_float_round_mode_16_64 0
		.amdhsa_float_denorm_mode_32 3
		.amdhsa_float_denorm_mode_16_64 3
		.amdhsa_dx10_clamp 1
		.amdhsa_ieee_mode 1
		.amdhsa_fp16_overflow 0
		.amdhsa_tg_split 0
		.amdhsa_exception_fp_ieee_invalid_op 0
		.amdhsa_exception_fp_denorm_src 0
		.amdhsa_exception_fp_ieee_div_zero 0
		.amdhsa_exception_fp_ieee_overflow 0
		.amdhsa_exception_fp_ieee_underflow 0
		.amdhsa_exception_fp_ieee_inexact 0
		.amdhsa_exception_int_div_zero 0
	.end_amdhsa_kernel
	.section	.text._ZN7rocprim17ROCPRIM_400000_NS6detail17trampoline_kernelINS0_14default_configENS1_20scan_config_selectorIxEEZZNS1_9scan_implILNS1_25lookback_scan_determinismE0ELb1ELb1ES3_N6thrust23THRUST_200600_302600_NS6detail15normal_iteratorINS9_10device_ptrIxEEEENS9_16discard_iteratorINS9_11use_defaultEEEx11max_functorIxExEEDaPvRmT3_T4_T5_mT6_P12ihipStream_tbENKUlT_T0_E_clISt17integral_constantIbLb0EESW_IbLb1EEEEDaSS_ST_EUlSS_E0_NS1_11comp_targetILNS1_3genE5ELNS1_11target_archE942ELNS1_3gpuE9ELNS1_3repE0EEENS1_30default_config_static_selectorELNS0_4arch9wavefront6targetE1EEEvT1_,"axG",@progbits,_ZN7rocprim17ROCPRIM_400000_NS6detail17trampoline_kernelINS0_14default_configENS1_20scan_config_selectorIxEEZZNS1_9scan_implILNS1_25lookback_scan_determinismE0ELb1ELb1ES3_N6thrust23THRUST_200600_302600_NS6detail15normal_iteratorINS9_10device_ptrIxEEEENS9_16discard_iteratorINS9_11use_defaultEEEx11max_functorIxExEEDaPvRmT3_T4_T5_mT6_P12ihipStream_tbENKUlT_T0_E_clISt17integral_constantIbLb0EESW_IbLb1EEEEDaSS_ST_EUlSS_E0_NS1_11comp_targetILNS1_3genE5ELNS1_11target_archE942ELNS1_3gpuE9ELNS1_3repE0EEENS1_30default_config_static_selectorELNS0_4arch9wavefront6targetE1EEEvT1_,comdat
.Lfunc_end3846:
	.size	_ZN7rocprim17ROCPRIM_400000_NS6detail17trampoline_kernelINS0_14default_configENS1_20scan_config_selectorIxEEZZNS1_9scan_implILNS1_25lookback_scan_determinismE0ELb1ELb1ES3_N6thrust23THRUST_200600_302600_NS6detail15normal_iteratorINS9_10device_ptrIxEEEENS9_16discard_iteratorINS9_11use_defaultEEEx11max_functorIxExEEDaPvRmT3_T4_T5_mT6_P12ihipStream_tbENKUlT_T0_E_clISt17integral_constantIbLb0EESW_IbLb1EEEEDaSS_ST_EUlSS_E0_NS1_11comp_targetILNS1_3genE5ELNS1_11target_archE942ELNS1_3gpuE9ELNS1_3repE0EEENS1_30default_config_static_selectorELNS0_4arch9wavefront6targetE1EEEvT1_, .Lfunc_end3846-_ZN7rocprim17ROCPRIM_400000_NS6detail17trampoline_kernelINS0_14default_configENS1_20scan_config_selectorIxEEZZNS1_9scan_implILNS1_25lookback_scan_determinismE0ELb1ELb1ES3_N6thrust23THRUST_200600_302600_NS6detail15normal_iteratorINS9_10device_ptrIxEEEENS9_16discard_iteratorINS9_11use_defaultEEEx11max_functorIxExEEDaPvRmT3_T4_T5_mT6_P12ihipStream_tbENKUlT_T0_E_clISt17integral_constantIbLb0EESW_IbLb1EEEEDaSS_ST_EUlSS_E0_NS1_11comp_targetILNS1_3genE5ELNS1_11target_archE942ELNS1_3gpuE9ELNS1_3repE0EEENS1_30default_config_static_selectorELNS0_4arch9wavefront6targetE1EEEvT1_
                                        ; -- End function
	.section	.AMDGPU.csdata,"",@progbits
; Kernel info:
; codeLenInByte = 0
; NumSgprs: 4
; NumVgprs: 0
; NumAgprs: 0
; TotalNumVgprs: 0
; ScratchSize: 0
; MemoryBound: 0
; FloatMode: 240
; IeeeMode: 1
; LDSByteSize: 0 bytes/workgroup (compile time only)
; SGPRBlocks: 0
; VGPRBlocks: 0
; NumSGPRsForWavesPerEU: 4
; NumVGPRsForWavesPerEU: 1
; AccumOffset: 4
; Occupancy: 8
; WaveLimiterHint : 0
; COMPUTE_PGM_RSRC2:SCRATCH_EN: 0
; COMPUTE_PGM_RSRC2:USER_SGPR: 6
; COMPUTE_PGM_RSRC2:TRAP_HANDLER: 0
; COMPUTE_PGM_RSRC2:TGID_X_EN: 1
; COMPUTE_PGM_RSRC2:TGID_Y_EN: 0
; COMPUTE_PGM_RSRC2:TGID_Z_EN: 0
; COMPUTE_PGM_RSRC2:TIDIG_COMP_CNT: 0
; COMPUTE_PGM_RSRC3_GFX90A:ACCUM_OFFSET: 0
; COMPUTE_PGM_RSRC3_GFX90A:TG_SPLIT: 0
	.section	.text._ZN7rocprim17ROCPRIM_400000_NS6detail17trampoline_kernelINS0_14default_configENS1_20scan_config_selectorIxEEZZNS1_9scan_implILNS1_25lookback_scan_determinismE0ELb1ELb1ES3_N6thrust23THRUST_200600_302600_NS6detail15normal_iteratorINS9_10device_ptrIxEEEENS9_16discard_iteratorINS9_11use_defaultEEEx11max_functorIxExEEDaPvRmT3_T4_T5_mT6_P12ihipStream_tbENKUlT_T0_E_clISt17integral_constantIbLb0EESW_IbLb1EEEEDaSS_ST_EUlSS_E0_NS1_11comp_targetILNS1_3genE4ELNS1_11target_archE910ELNS1_3gpuE8ELNS1_3repE0EEENS1_30default_config_static_selectorELNS0_4arch9wavefront6targetE1EEEvT1_,"axG",@progbits,_ZN7rocprim17ROCPRIM_400000_NS6detail17trampoline_kernelINS0_14default_configENS1_20scan_config_selectorIxEEZZNS1_9scan_implILNS1_25lookback_scan_determinismE0ELb1ELb1ES3_N6thrust23THRUST_200600_302600_NS6detail15normal_iteratorINS9_10device_ptrIxEEEENS9_16discard_iteratorINS9_11use_defaultEEEx11max_functorIxExEEDaPvRmT3_T4_T5_mT6_P12ihipStream_tbENKUlT_T0_E_clISt17integral_constantIbLb0EESW_IbLb1EEEEDaSS_ST_EUlSS_E0_NS1_11comp_targetILNS1_3genE4ELNS1_11target_archE910ELNS1_3gpuE8ELNS1_3repE0EEENS1_30default_config_static_selectorELNS0_4arch9wavefront6targetE1EEEvT1_,comdat
	.protected	_ZN7rocprim17ROCPRIM_400000_NS6detail17trampoline_kernelINS0_14default_configENS1_20scan_config_selectorIxEEZZNS1_9scan_implILNS1_25lookback_scan_determinismE0ELb1ELb1ES3_N6thrust23THRUST_200600_302600_NS6detail15normal_iteratorINS9_10device_ptrIxEEEENS9_16discard_iteratorINS9_11use_defaultEEEx11max_functorIxExEEDaPvRmT3_T4_T5_mT6_P12ihipStream_tbENKUlT_T0_E_clISt17integral_constantIbLb0EESW_IbLb1EEEEDaSS_ST_EUlSS_E0_NS1_11comp_targetILNS1_3genE4ELNS1_11target_archE910ELNS1_3gpuE8ELNS1_3repE0EEENS1_30default_config_static_selectorELNS0_4arch9wavefront6targetE1EEEvT1_ ; -- Begin function _ZN7rocprim17ROCPRIM_400000_NS6detail17trampoline_kernelINS0_14default_configENS1_20scan_config_selectorIxEEZZNS1_9scan_implILNS1_25lookback_scan_determinismE0ELb1ELb1ES3_N6thrust23THRUST_200600_302600_NS6detail15normal_iteratorINS9_10device_ptrIxEEEENS9_16discard_iteratorINS9_11use_defaultEEEx11max_functorIxExEEDaPvRmT3_T4_T5_mT6_P12ihipStream_tbENKUlT_T0_E_clISt17integral_constantIbLb0EESW_IbLb1EEEEDaSS_ST_EUlSS_E0_NS1_11comp_targetILNS1_3genE4ELNS1_11target_archE910ELNS1_3gpuE8ELNS1_3repE0EEENS1_30default_config_static_selectorELNS0_4arch9wavefront6targetE1EEEvT1_
	.globl	_ZN7rocprim17ROCPRIM_400000_NS6detail17trampoline_kernelINS0_14default_configENS1_20scan_config_selectorIxEEZZNS1_9scan_implILNS1_25lookback_scan_determinismE0ELb1ELb1ES3_N6thrust23THRUST_200600_302600_NS6detail15normal_iteratorINS9_10device_ptrIxEEEENS9_16discard_iteratorINS9_11use_defaultEEEx11max_functorIxExEEDaPvRmT3_T4_T5_mT6_P12ihipStream_tbENKUlT_T0_E_clISt17integral_constantIbLb0EESW_IbLb1EEEEDaSS_ST_EUlSS_E0_NS1_11comp_targetILNS1_3genE4ELNS1_11target_archE910ELNS1_3gpuE8ELNS1_3repE0EEENS1_30default_config_static_selectorELNS0_4arch9wavefront6targetE1EEEvT1_
	.p2align	8
	.type	_ZN7rocprim17ROCPRIM_400000_NS6detail17trampoline_kernelINS0_14default_configENS1_20scan_config_selectorIxEEZZNS1_9scan_implILNS1_25lookback_scan_determinismE0ELb1ELb1ES3_N6thrust23THRUST_200600_302600_NS6detail15normal_iteratorINS9_10device_ptrIxEEEENS9_16discard_iteratorINS9_11use_defaultEEEx11max_functorIxExEEDaPvRmT3_T4_T5_mT6_P12ihipStream_tbENKUlT_T0_E_clISt17integral_constantIbLb0EESW_IbLb1EEEEDaSS_ST_EUlSS_E0_NS1_11comp_targetILNS1_3genE4ELNS1_11target_archE910ELNS1_3gpuE8ELNS1_3repE0EEENS1_30default_config_static_selectorELNS0_4arch9wavefront6targetE1EEEvT1_,@function
_ZN7rocprim17ROCPRIM_400000_NS6detail17trampoline_kernelINS0_14default_configENS1_20scan_config_selectorIxEEZZNS1_9scan_implILNS1_25lookback_scan_determinismE0ELb1ELb1ES3_N6thrust23THRUST_200600_302600_NS6detail15normal_iteratorINS9_10device_ptrIxEEEENS9_16discard_iteratorINS9_11use_defaultEEEx11max_functorIxExEEDaPvRmT3_T4_T5_mT6_P12ihipStream_tbENKUlT_T0_E_clISt17integral_constantIbLb0EESW_IbLb1EEEEDaSS_ST_EUlSS_E0_NS1_11comp_targetILNS1_3genE4ELNS1_11target_archE910ELNS1_3gpuE8ELNS1_3repE0EEENS1_30default_config_static_selectorELNS0_4arch9wavefront6targetE1EEEvT1_: ; @_ZN7rocprim17ROCPRIM_400000_NS6detail17trampoline_kernelINS0_14default_configENS1_20scan_config_selectorIxEEZZNS1_9scan_implILNS1_25lookback_scan_determinismE0ELb1ELb1ES3_N6thrust23THRUST_200600_302600_NS6detail15normal_iteratorINS9_10device_ptrIxEEEENS9_16discard_iteratorINS9_11use_defaultEEEx11max_functorIxExEEDaPvRmT3_T4_T5_mT6_P12ihipStream_tbENKUlT_T0_E_clISt17integral_constantIbLb0EESW_IbLb1EEEEDaSS_ST_EUlSS_E0_NS1_11comp_targetILNS1_3genE4ELNS1_11target_archE910ELNS1_3gpuE8ELNS1_3repE0EEENS1_30default_config_static_selectorELNS0_4arch9wavefront6targetE1EEEvT1_
; %bb.0:
	s_load_dwordx4 s[0:3], s[4:5], 0x0
	v_lshlrev_b32_e32 v1, 3, v0
	s_waitcnt lgkmcnt(0)
	s_load_dwordx2 s[6:7], s[0:1], 0x0
	v_cmp_gt_u32_e32 vcc, s2, v0
	s_waitcnt lgkmcnt(0)
	v_pk_mov_b32 v[2:3], s[6:7], s[6:7] op_sel:[0,1]
	s_and_saveexec_b64 s[8:9], vcc
	s_cbranch_execz .LBB3847_2
; %bb.1:
	global_load_dwordx2 v[2:3], v1, s[0:1]
.LBB3847_2:
	s_or_b64 exec, exec, s[8:9]
	v_or_b32_e32 v4, 0x80, v0
	v_cmp_gt_u32_e32 vcc, s2, v4
	v_pk_mov_b32 v[4:5], s[6:7], s[6:7] op_sel:[0,1]
	s_and_saveexec_b64 s[8:9], vcc
	s_cbranch_execz .LBB3847_4
; %bb.3:
	global_load_dwordx2 v[4:5], v1, s[0:1] offset:1024
.LBB3847_4:
	s_or_b64 exec, exec, s[8:9]
	v_or_b32_e32 v6, 0x100, v0
	v_cmp_gt_u32_e32 vcc, s2, v6
	v_pk_mov_b32 v[6:7], s[6:7], s[6:7] op_sel:[0,1]
	s_and_saveexec_b64 s[8:9], vcc
	s_cbranch_execz .LBB3847_6
; %bb.5:
	global_load_dwordx2 v[6:7], v1, s[0:1] offset:2048
.LBB3847_6:
	;; [unrolled: 9-line block ×3, first 2 shown]
	s_or_b64 exec, exec, s[8:9]
	v_or_b32_e32 v12, 0x200, v0
	v_cmp_gt_u32_e32 vcc, s2, v12
	v_pk_mov_b32 v[10:11], s[6:7], s[6:7] op_sel:[0,1]
	s_and_saveexec_b64 s[8:9], vcc
	s_cbranch_execz .LBB3847_10
; %bb.9:
	v_lshlrev_b32_e32 v10, 3, v12
	global_load_dwordx2 v[10:11], v10, s[0:1]
.LBB3847_10:
	s_or_b64 exec, exec, s[8:9]
	v_or_b32_e32 v14, 0x280, v0
	v_cmp_gt_u32_e32 vcc, s2, v14
	v_pk_mov_b32 v[12:13], s[6:7], s[6:7] op_sel:[0,1]
	s_and_saveexec_b64 s[8:9], vcc
	s_cbranch_execz .LBB3847_12
; %bb.11:
	v_lshlrev_b32_e32 v12, 3, v14
	global_load_dwordx2 v[12:13], v12, s[0:1]
.LBB3847_12:
	s_or_b64 exec, exec, s[8:9]
	s_load_dwordx2 s[4:5], s[4:5], 0x10
	v_or_b32_e32 v16, 0x300, v0
	v_cmp_gt_u32_e32 vcc, s2, v16
	v_pk_mov_b32 v[14:15], s[6:7], s[6:7] op_sel:[0,1]
	s_and_saveexec_b64 s[2:3], vcc
	s_cbranch_execz .LBB3847_14
; %bb.13:
	v_lshlrev_b32_e32 v14, 3, v16
	global_load_dwordx2 v[14:15], v14, s[0:1]
.LBB3847_14:
	s_or_b64 exec, exec, s[2:3]
	s_waitcnt vmcnt(0)
	ds_write2st64_b64 v1, v[2:3], v[4:5] offset1:2
	ds_write2st64_b64 v1, v[6:7], v[8:9] offset0:4 offset1:6
	ds_write2st64_b64 v1, v[10:11], v[12:13] offset0:8 offset1:10
	ds_write_b64 v1, v[14:15] offset:6144
	v_mad_u32_u24 v14, v0, 48, v1
	s_waitcnt lgkmcnt(0)
	s_barrier
	ds_read2_b64 v[10:13], v14 offset1:1
	ds_read2_b64 v[6:9], v14 offset0:2 offset1:3
	ds_read2_b64 v[2:5], v14 offset0:4 offset1:5
	ds_read_b64 v[14:15], v14 offset:48
	s_waitcnt lgkmcnt(0)
	v_cmp_gt_i64_e32 vcc, v[10:11], v[12:13]
	v_cndmask_b32_e32 v17, v13, v11, vcc
	v_cndmask_b32_e32 v16, v12, v10, vcc
	v_cmp_gt_i64_e32 vcc, v[16:17], v[6:7]
	v_cndmask_b32_e32 v17, v7, v17, vcc
	v_cndmask_b32_e32 v16, v6, v16, vcc
	;; [unrolled: 3-line block ×5, first 2 shown]
	v_cmp_gt_i64_e32 vcc, v[16:17], v[14:15]
	v_cndmask_b32_e32 v18, v14, v16, vcc
	v_lshrrev_b32_e32 v14, 2, v0
	v_and_b32_e32 v14, 24, v14
	v_cndmask_b32_e32 v19, v15, v17, vcc
	v_add_u32_e32 v14, v1, v14
	v_cmp_gt_u32_e32 vcc, 64, v0
	s_barrier
	ds_write_b64 v14, v[18:19]
	s_waitcnt lgkmcnt(0)
	s_barrier
	s_and_saveexec_b64 s[2:3], vcc
	s_cbranch_execz .LBB3847_18
; %bb.15:
	v_lshlrev_b32_e32 v14, 1, v0
	v_lshrrev_b32_e32 v15, 4, v0
	v_add_lshl_u32 v24, v15, v14, 3
	ds_read2_b64 v[14:17], v24 offset1:1
	v_mbcnt_lo_u32_b32 v20, -1, 0
	v_mbcnt_hi_u32_b32 v25, -1, v20
	v_and_b32_e32 v26, 15, v25
	v_and_b32_e32 v28, 16, v25
	s_waitcnt lgkmcnt(0)
	v_cmp_gt_i64_e32 vcc, v[14:15], v[16:17]
	v_cndmask_b32_e32 v17, v17, v15, vcc
	v_cndmask_b32_e32 v16, v16, v14, vcc
	v_cmp_ne_u32_e64 s[0:1], 0, v25
	v_mov_b32_dpp v21, v17 row_shr:1 row_mask:0xf bank_mask:0xf
	v_mov_b32_dpp v20, v16 row_shr:1 row_mask:0xf bank_mask:0xf
	v_cmp_gt_i64_e32 vcc, v[20:21], v[16:17]
	v_cndmask_b32_e32 v20, v16, v20, vcc
	v_cndmask_b32_e32 v21, v17, v21, vcc
	v_cmp_eq_u32_e32 vcc, 0, v26
	v_cndmask_b32_e32 v21, v21, v17, vcc
	v_cndmask_b32_e32 v20, v20, v16, vcc
	s_nop 0
	v_mov_b32_dpp v23, v21 row_shr:2 row_mask:0xf bank_mask:0xf
	v_mov_b32_dpp v22, v20 row_shr:2 row_mask:0xf bank_mask:0xf
	v_cmp_gt_i64_e32 vcc, v[22:23], v[20:21]
	v_cndmask_b32_e32 v22, v20, v22, vcc
	v_cndmask_b32_e32 v23, v21, v23, vcc
	v_cmp_lt_u32_e32 vcc, 1, v26
	v_cndmask_b32_e32 v21, v21, v23, vcc
	v_cndmask_b32_e32 v20, v20, v22, vcc
	s_nop 0
	v_mov_b32_dpp v23, v21 row_shr:4 row_mask:0xf bank_mask:0xf
	v_mov_b32_dpp v22, v20 row_shr:4 row_mask:0xf bank_mask:0xf
	v_cmp_gt_i64_e32 vcc, v[22:23], v[20:21]
	v_cndmask_b32_e32 v22, v20, v22, vcc
	v_cndmask_b32_e32 v23, v21, v23, vcc
	v_cmp_lt_u32_e32 vcc, 3, v26
	;; [unrolled: 9-line block ×3, first 2 shown]
	v_cndmask_b32_e32 v21, v21, v23, vcc
	v_cndmask_b32_e32 v20, v20, v22, vcc
	s_nop 0
	v_mov_b32_dpp v23, v21 row_bcast:15 row_mask:0xf bank_mask:0xf
	v_mov_b32_dpp v22, v20 row_bcast:15 row_mask:0xf bank_mask:0xf
	v_cmp_gt_i64_e32 vcc, v[22:23], v[20:21]
	v_cndmask_b32_e32 v26, v21, v23, vcc
	v_cndmask_b32_e32 v27, v20, v22, vcc
	v_cmp_eq_u32_e32 vcc, 0, v28
	v_cndmask_b32_e32 v23, v26, v21, vcc
	v_cndmask_b32_e32 v22, v27, v20, vcc
	s_nop 0
	v_mov_b32_dpp v23, v23 row_bcast:31 row_mask:0xf bank_mask:0xf
	v_mov_b32_dpp v22, v22 row_bcast:31 row_mask:0xf bank_mask:0xf
	s_and_saveexec_b64 s[6:7], s[0:1]
; %bb.16:
	v_cndmask_b32_e32 v17, v26, v21, vcc
	v_cndmask_b32_e32 v16, v27, v20, vcc
	v_cmp_lt_u32_e64 s[0:1], 31, v25
	v_cmp_gt_i64_e32 vcc, v[22:23], v[16:17]
	s_and_b64 vcc, s[0:1], vcc
	v_cndmask_b32_e32 v16, v16, v22, vcc
	v_cndmask_b32_e32 v17, v17, v23, vcc
; %bb.17:
	s_or_b64 exec, exec, s[6:7]
	v_add_u32_e32 v20, -1, v25
	v_and_b32_e32 v21, 64, v25
	v_cmp_lt_i32_e32 vcc, v20, v21
	v_cndmask_b32_e32 v20, v20, v25, vcc
	v_lshlrev_b32_e32 v20, 2, v20
	ds_bpermute_b32 v16, v20, v16
	ds_bpermute_b32 v17, v20, v17
	; wave barrier
	s_waitcnt lgkmcnt(0)
	v_cmp_gt_i64_e32 vcc, v[16:17], v[14:15]
	v_cndmask_b32_e32 v14, v14, v16, vcc
	v_cndmask_b32_e32 v15, v15, v17, vcc
	v_cmp_eq_u32_e32 vcc, 0, v0
	v_cndmask_b32_e32 v15, v15, v19, vcc
	v_cndmask_b32_e32 v14, v14, v18, vcc
	ds_write_b64 v24, v[14:15]
	; wave barrier
	ds_read_b64 v[16:17], v24 offset:8
	s_waitcnt lgkmcnt(0)
	v_cmp_gt_i64_e32 vcc, v[14:15], v[16:17]
	v_cndmask_b32_e32 v15, v17, v15, vcc
	v_cndmask_b32_e32 v14, v16, v14, vcc
	ds_write_b64 v24, v[14:15] offset:8
.LBB3847_18:
	s_or_b64 exec, exec, s[2:3]
	v_mul_u32_u24_e32 v16, 48, v0
	v_cmp_ne_u32_e32 vcc, 0, v0
	v_pk_mov_b32 v[14:15], s[4:5], s[4:5] op_sel:[0,1]
	s_waitcnt lgkmcnt(0)
	s_barrier
	s_and_saveexec_b64 s[0:1], vcc
	s_cbranch_execz .LBB3847_20
; %bb.19:
	v_add_u32_e32 v0, -1, v0
	v_lshrrev_b32_e32 v14, 5, v0
	v_add_lshl_u32 v0, v14, v0, 3
	ds_read_b64 v[14:15], v0
	v_mov_b32_e32 v0, s5
	s_waitcnt lgkmcnt(0)
	v_cmp_gt_i64_e32 vcc, s[4:5], v[14:15]
	v_cndmask_b32_e32 v15, v15, v0, vcc
	v_mov_b32_e32 v0, s4
	v_cndmask_b32_e32 v14, v14, v0, vcc
.LBB3847_20:
	s_or_b64 exec, exec, s[0:1]
	v_cmp_gt_i64_e32 vcc, v[14:15], v[10:11]
	v_cndmask_b32_e32 v11, v11, v15, vcc
	v_cndmask_b32_e32 v10, v10, v14, vcc
	v_cmp_gt_i64_e32 vcc, v[10:11], v[12:13]
	v_cndmask_b32_e32 v13, v13, v11, vcc
	v_cndmask_b32_e32 v12, v12, v10, vcc
	;; [unrolled: 3-line block ×5, first 2 shown]
	v_cmp_gt_i64_e32 vcc, v[2:3], v[4:5]
	v_add_u32_e32 v0, v1, v16
	v_cndmask_b32_e32 v5, v5, v3, vcc
	v_cndmask_b32_e32 v4, v4, v2, vcc
	s_barrier
	ds_write2_b64 v0, v[14:15], v[10:11] offset1:1
	ds_write2_b64 v0, v[12:13], v[6:7] offset0:2 offset1:3
	ds_write2_b64 v0, v[8:9], v[2:3] offset0:4 offset1:5
	ds_write_b64 v0, v[4:5] offset:48
	s_waitcnt lgkmcnt(0)
	s_barrier
	s_endpgm
	.section	.rodata,"a",@progbits
	.p2align	6, 0x0
	.amdhsa_kernel _ZN7rocprim17ROCPRIM_400000_NS6detail17trampoline_kernelINS0_14default_configENS1_20scan_config_selectorIxEEZZNS1_9scan_implILNS1_25lookback_scan_determinismE0ELb1ELb1ES3_N6thrust23THRUST_200600_302600_NS6detail15normal_iteratorINS9_10device_ptrIxEEEENS9_16discard_iteratorINS9_11use_defaultEEEx11max_functorIxExEEDaPvRmT3_T4_T5_mT6_P12ihipStream_tbENKUlT_T0_E_clISt17integral_constantIbLb0EESW_IbLb1EEEEDaSS_ST_EUlSS_E0_NS1_11comp_targetILNS1_3genE4ELNS1_11target_archE910ELNS1_3gpuE8ELNS1_3repE0EEENS1_30default_config_static_selectorELNS0_4arch9wavefront6targetE1EEEvT1_
		.amdhsa_group_segment_fixed_size 7168
		.amdhsa_private_segment_fixed_size 0
		.amdhsa_kernarg_size 48
		.amdhsa_user_sgpr_count 6
		.amdhsa_user_sgpr_private_segment_buffer 1
		.amdhsa_user_sgpr_dispatch_ptr 0
		.amdhsa_user_sgpr_queue_ptr 0
		.amdhsa_user_sgpr_kernarg_segment_ptr 1
		.amdhsa_user_sgpr_dispatch_id 0
		.amdhsa_user_sgpr_flat_scratch_init 0
		.amdhsa_user_sgpr_kernarg_preload_length 0
		.amdhsa_user_sgpr_kernarg_preload_offset 0
		.amdhsa_user_sgpr_private_segment_size 0
		.amdhsa_uses_dynamic_stack 0
		.amdhsa_system_sgpr_private_segment_wavefront_offset 0
		.amdhsa_system_sgpr_workgroup_id_x 1
		.amdhsa_system_sgpr_workgroup_id_y 0
		.amdhsa_system_sgpr_workgroup_id_z 0
		.amdhsa_system_sgpr_workgroup_info 0
		.amdhsa_system_vgpr_workitem_id 0
		.amdhsa_next_free_vgpr 29
		.amdhsa_next_free_sgpr 10
		.amdhsa_accum_offset 32
		.amdhsa_reserve_vcc 1
		.amdhsa_reserve_flat_scratch 0
		.amdhsa_float_round_mode_32 0
		.amdhsa_float_round_mode_16_64 0
		.amdhsa_float_denorm_mode_32 3
		.amdhsa_float_denorm_mode_16_64 3
		.amdhsa_dx10_clamp 1
		.amdhsa_ieee_mode 1
		.amdhsa_fp16_overflow 0
		.amdhsa_tg_split 0
		.amdhsa_exception_fp_ieee_invalid_op 0
		.amdhsa_exception_fp_denorm_src 0
		.amdhsa_exception_fp_ieee_div_zero 0
		.amdhsa_exception_fp_ieee_overflow 0
		.amdhsa_exception_fp_ieee_underflow 0
		.amdhsa_exception_fp_ieee_inexact 0
		.amdhsa_exception_int_div_zero 0
	.end_amdhsa_kernel
	.section	.text._ZN7rocprim17ROCPRIM_400000_NS6detail17trampoline_kernelINS0_14default_configENS1_20scan_config_selectorIxEEZZNS1_9scan_implILNS1_25lookback_scan_determinismE0ELb1ELb1ES3_N6thrust23THRUST_200600_302600_NS6detail15normal_iteratorINS9_10device_ptrIxEEEENS9_16discard_iteratorINS9_11use_defaultEEEx11max_functorIxExEEDaPvRmT3_T4_T5_mT6_P12ihipStream_tbENKUlT_T0_E_clISt17integral_constantIbLb0EESW_IbLb1EEEEDaSS_ST_EUlSS_E0_NS1_11comp_targetILNS1_3genE4ELNS1_11target_archE910ELNS1_3gpuE8ELNS1_3repE0EEENS1_30default_config_static_selectorELNS0_4arch9wavefront6targetE1EEEvT1_,"axG",@progbits,_ZN7rocprim17ROCPRIM_400000_NS6detail17trampoline_kernelINS0_14default_configENS1_20scan_config_selectorIxEEZZNS1_9scan_implILNS1_25lookback_scan_determinismE0ELb1ELb1ES3_N6thrust23THRUST_200600_302600_NS6detail15normal_iteratorINS9_10device_ptrIxEEEENS9_16discard_iteratorINS9_11use_defaultEEEx11max_functorIxExEEDaPvRmT3_T4_T5_mT6_P12ihipStream_tbENKUlT_T0_E_clISt17integral_constantIbLb0EESW_IbLb1EEEEDaSS_ST_EUlSS_E0_NS1_11comp_targetILNS1_3genE4ELNS1_11target_archE910ELNS1_3gpuE8ELNS1_3repE0EEENS1_30default_config_static_selectorELNS0_4arch9wavefront6targetE1EEEvT1_,comdat
.Lfunc_end3847:
	.size	_ZN7rocprim17ROCPRIM_400000_NS6detail17trampoline_kernelINS0_14default_configENS1_20scan_config_selectorIxEEZZNS1_9scan_implILNS1_25lookback_scan_determinismE0ELb1ELb1ES3_N6thrust23THRUST_200600_302600_NS6detail15normal_iteratorINS9_10device_ptrIxEEEENS9_16discard_iteratorINS9_11use_defaultEEEx11max_functorIxExEEDaPvRmT3_T4_T5_mT6_P12ihipStream_tbENKUlT_T0_E_clISt17integral_constantIbLb0EESW_IbLb1EEEEDaSS_ST_EUlSS_E0_NS1_11comp_targetILNS1_3genE4ELNS1_11target_archE910ELNS1_3gpuE8ELNS1_3repE0EEENS1_30default_config_static_selectorELNS0_4arch9wavefront6targetE1EEEvT1_, .Lfunc_end3847-_ZN7rocprim17ROCPRIM_400000_NS6detail17trampoline_kernelINS0_14default_configENS1_20scan_config_selectorIxEEZZNS1_9scan_implILNS1_25lookback_scan_determinismE0ELb1ELb1ES3_N6thrust23THRUST_200600_302600_NS6detail15normal_iteratorINS9_10device_ptrIxEEEENS9_16discard_iteratorINS9_11use_defaultEEEx11max_functorIxExEEDaPvRmT3_T4_T5_mT6_P12ihipStream_tbENKUlT_T0_E_clISt17integral_constantIbLb0EESW_IbLb1EEEEDaSS_ST_EUlSS_E0_NS1_11comp_targetILNS1_3genE4ELNS1_11target_archE910ELNS1_3gpuE8ELNS1_3repE0EEENS1_30default_config_static_selectorELNS0_4arch9wavefront6targetE1EEEvT1_
                                        ; -- End function
	.section	.AMDGPU.csdata,"",@progbits
; Kernel info:
; codeLenInByte = 1188
; NumSgprs: 14
; NumVgprs: 29
; NumAgprs: 0
; TotalNumVgprs: 29
; ScratchSize: 0
; MemoryBound: 0
; FloatMode: 240
; IeeeMode: 1
; LDSByteSize: 7168 bytes/workgroup (compile time only)
; SGPRBlocks: 1
; VGPRBlocks: 3
; NumSGPRsForWavesPerEU: 14
; NumVGPRsForWavesPerEU: 29
; AccumOffset: 32
; Occupancy: 5
; WaveLimiterHint : 0
; COMPUTE_PGM_RSRC2:SCRATCH_EN: 0
; COMPUTE_PGM_RSRC2:USER_SGPR: 6
; COMPUTE_PGM_RSRC2:TRAP_HANDLER: 0
; COMPUTE_PGM_RSRC2:TGID_X_EN: 1
; COMPUTE_PGM_RSRC2:TGID_Y_EN: 0
; COMPUTE_PGM_RSRC2:TGID_Z_EN: 0
; COMPUTE_PGM_RSRC2:TIDIG_COMP_CNT: 0
; COMPUTE_PGM_RSRC3_GFX90A:ACCUM_OFFSET: 7
; COMPUTE_PGM_RSRC3_GFX90A:TG_SPLIT: 0
	.section	.text._ZN7rocprim17ROCPRIM_400000_NS6detail17trampoline_kernelINS0_14default_configENS1_20scan_config_selectorIxEEZZNS1_9scan_implILNS1_25lookback_scan_determinismE0ELb1ELb1ES3_N6thrust23THRUST_200600_302600_NS6detail15normal_iteratorINS9_10device_ptrIxEEEENS9_16discard_iteratorINS9_11use_defaultEEEx11max_functorIxExEEDaPvRmT3_T4_T5_mT6_P12ihipStream_tbENKUlT_T0_E_clISt17integral_constantIbLb0EESW_IbLb1EEEEDaSS_ST_EUlSS_E0_NS1_11comp_targetILNS1_3genE3ELNS1_11target_archE908ELNS1_3gpuE7ELNS1_3repE0EEENS1_30default_config_static_selectorELNS0_4arch9wavefront6targetE1EEEvT1_,"axG",@progbits,_ZN7rocprim17ROCPRIM_400000_NS6detail17trampoline_kernelINS0_14default_configENS1_20scan_config_selectorIxEEZZNS1_9scan_implILNS1_25lookback_scan_determinismE0ELb1ELb1ES3_N6thrust23THRUST_200600_302600_NS6detail15normal_iteratorINS9_10device_ptrIxEEEENS9_16discard_iteratorINS9_11use_defaultEEEx11max_functorIxExEEDaPvRmT3_T4_T5_mT6_P12ihipStream_tbENKUlT_T0_E_clISt17integral_constantIbLb0EESW_IbLb1EEEEDaSS_ST_EUlSS_E0_NS1_11comp_targetILNS1_3genE3ELNS1_11target_archE908ELNS1_3gpuE7ELNS1_3repE0EEENS1_30default_config_static_selectorELNS0_4arch9wavefront6targetE1EEEvT1_,comdat
	.protected	_ZN7rocprim17ROCPRIM_400000_NS6detail17trampoline_kernelINS0_14default_configENS1_20scan_config_selectorIxEEZZNS1_9scan_implILNS1_25lookback_scan_determinismE0ELb1ELb1ES3_N6thrust23THRUST_200600_302600_NS6detail15normal_iteratorINS9_10device_ptrIxEEEENS9_16discard_iteratorINS9_11use_defaultEEEx11max_functorIxExEEDaPvRmT3_T4_T5_mT6_P12ihipStream_tbENKUlT_T0_E_clISt17integral_constantIbLb0EESW_IbLb1EEEEDaSS_ST_EUlSS_E0_NS1_11comp_targetILNS1_3genE3ELNS1_11target_archE908ELNS1_3gpuE7ELNS1_3repE0EEENS1_30default_config_static_selectorELNS0_4arch9wavefront6targetE1EEEvT1_ ; -- Begin function _ZN7rocprim17ROCPRIM_400000_NS6detail17trampoline_kernelINS0_14default_configENS1_20scan_config_selectorIxEEZZNS1_9scan_implILNS1_25lookback_scan_determinismE0ELb1ELb1ES3_N6thrust23THRUST_200600_302600_NS6detail15normal_iteratorINS9_10device_ptrIxEEEENS9_16discard_iteratorINS9_11use_defaultEEEx11max_functorIxExEEDaPvRmT3_T4_T5_mT6_P12ihipStream_tbENKUlT_T0_E_clISt17integral_constantIbLb0EESW_IbLb1EEEEDaSS_ST_EUlSS_E0_NS1_11comp_targetILNS1_3genE3ELNS1_11target_archE908ELNS1_3gpuE7ELNS1_3repE0EEENS1_30default_config_static_selectorELNS0_4arch9wavefront6targetE1EEEvT1_
	.globl	_ZN7rocprim17ROCPRIM_400000_NS6detail17trampoline_kernelINS0_14default_configENS1_20scan_config_selectorIxEEZZNS1_9scan_implILNS1_25lookback_scan_determinismE0ELb1ELb1ES3_N6thrust23THRUST_200600_302600_NS6detail15normal_iteratorINS9_10device_ptrIxEEEENS9_16discard_iteratorINS9_11use_defaultEEEx11max_functorIxExEEDaPvRmT3_T4_T5_mT6_P12ihipStream_tbENKUlT_T0_E_clISt17integral_constantIbLb0EESW_IbLb1EEEEDaSS_ST_EUlSS_E0_NS1_11comp_targetILNS1_3genE3ELNS1_11target_archE908ELNS1_3gpuE7ELNS1_3repE0EEENS1_30default_config_static_selectorELNS0_4arch9wavefront6targetE1EEEvT1_
	.p2align	8
	.type	_ZN7rocprim17ROCPRIM_400000_NS6detail17trampoline_kernelINS0_14default_configENS1_20scan_config_selectorIxEEZZNS1_9scan_implILNS1_25lookback_scan_determinismE0ELb1ELb1ES3_N6thrust23THRUST_200600_302600_NS6detail15normal_iteratorINS9_10device_ptrIxEEEENS9_16discard_iteratorINS9_11use_defaultEEEx11max_functorIxExEEDaPvRmT3_T4_T5_mT6_P12ihipStream_tbENKUlT_T0_E_clISt17integral_constantIbLb0EESW_IbLb1EEEEDaSS_ST_EUlSS_E0_NS1_11comp_targetILNS1_3genE3ELNS1_11target_archE908ELNS1_3gpuE7ELNS1_3repE0EEENS1_30default_config_static_selectorELNS0_4arch9wavefront6targetE1EEEvT1_,@function
_ZN7rocprim17ROCPRIM_400000_NS6detail17trampoline_kernelINS0_14default_configENS1_20scan_config_selectorIxEEZZNS1_9scan_implILNS1_25lookback_scan_determinismE0ELb1ELb1ES3_N6thrust23THRUST_200600_302600_NS6detail15normal_iteratorINS9_10device_ptrIxEEEENS9_16discard_iteratorINS9_11use_defaultEEEx11max_functorIxExEEDaPvRmT3_T4_T5_mT6_P12ihipStream_tbENKUlT_T0_E_clISt17integral_constantIbLb0EESW_IbLb1EEEEDaSS_ST_EUlSS_E0_NS1_11comp_targetILNS1_3genE3ELNS1_11target_archE908ELNS1_3gpuE7ELNS1_3repE0EEENS1_30default_config_static_selectorELNS0_4arch9wavefront6targetE1EEEvT1_: ; @_ZN7rocprim17ROCPRIM_400000_NS6detail17trampoline_kernelINS0_14default_configENS1_20scan_config_selectorIxEEZZNS1_9scan_implILNS1_25lookback_scan_determinismE0ELb1ELb1ES3_N6thrust23THRUST_200600_302600_NS6detail15normal_iteratorINS9_10device_ptrIxEEEENS9_16discard_iteratorINS9_11use_defaultEEEx11max_functorIxExEEDaPvRmT3_T4_T5_mT6_P12ihipStream_tbENKUlT_T0_E_clISt17integral_constantIbLb0EESW_IbLb1EEEEDaSS_ST_EUlSS_E0_NS1_11comp_targetILNS1_3genE3ELNS1_11target_archE908ELNS1_3gpuE7ELNS1_3repE0EEENS1_30default_config_static_selectorELNS0_4arch9wavefront6targetE1EEEvT1_
; %bb.0:
	.section	.rodata,"a",@progbits
	.p2align	6, 0x0
	.amdhsa_kernel _ZN7rocprim17ROCPRIM_400000_NS6detail17trampoline_kernelINS0_14default_configENS1_20scan_config_selectorIxEEZZNS1_9scan_implILNS1_25lookback_scan_determinismE0ELb1ELb1ES3_N6thrust23THRUST_200600_302600_NS6detail15normal_iteratorINS9_10device_ptrIxEEEENS9_16discard_iteratorINS9_11use_defaultEEEx11max_functorIxExEEDaPvRmT3_T4_T5_mT6_P12ihipStream_tbENKUlT_T0_E_clISt17integral_constantIbLb0EESW_IbLb1EEEEDaSS_ST_EUlSS_E0_NS1_11comp_targetILNS1_3genE3ELNS1_11target_archE908ELNS1_3gpuE7ELNS1_3repE0EEENS1_30default_config_static_selectorELNS0_4arch9wavefront6targetE1EEEvT1_
		.amdhsa_group_segment_fixed_size 0
		.amdhsa_private_segment_fixed_size 0
		.amdhsa_kernarg_size 48
		.amdhsa_user_sgpr_count 6
		.amdhsa_user_sgpr_private_segment_buffer 1
		.amdhsa_user_sgpr_dispatch_ptr 0
		.amdhsa_user_sgpr_queue_ptr 0
		.amdhsa_user_sgpr_kernarg_segment_ptr 1
		.amdhsa_user_sgpr_dispatch_id 0
		.amdhsa_user_sgpr_flat_scratch_init 0
		.amdhsa_user_sgpr_kernarg_preload_length 0
		.amdhsa_user_sgpr_kernarg_preload_offset 0
		.amdhsa_user_sgpr_private_segment_size 0
		.amdhsa_uses_dynamic_stack 0
		.amdhsa_system_sgpr_private_segment_wavefront_offset 0
		.amdhsa_system_sgpr_workgroup_id_x 1
		.amdhsa_system_sgpr_workgroup_id_y 0
		.amdhsa_system_sgpr_workgroup_id_z 0
		.amdhsa_system_sgpr_workgroup_info 0
		.amdhsa_system_vgpr_workitem_id 0
		.amdhsa_next_free_vgpr 1
		.amdhsa_next_free_sgpr 0
		.amdhsa_accum_offset 4
		.amdhsa_reserve_vcc 0
		.amdhsa_reserve_flat_scratch 0
		.amdhsa_float_round_mode_32 0
		.amdhsa_float_round_mode_16_64 0
		.amdhsa_float_denorm_mode_32 3
		.amdhsa_float_denorm_mode_16_64 3
		.amdhsa_dx10_clamp 1
		.amdhsa_ieee_mode 1
		.amdhsa_fp16_overflow 0
		.amdhsa_tg_split 0
		.amdhsa_exception_fp_ieee_invalid_op 0
		.amdhsa_exception_fp_denorm_src 0
		.amdhsa_exception_fp_ieee_div_zero 0
		.amdhsa_exception_fp_ieee_overflow 0
		.amdhsa_exception_fp_ieee_underflow 0
		.amdhsa_exception_fp_ieee_inexact 0
		.amdhsa_exception_int_div_zero 0
	.end_amdhsa_kernel
	.section	.text._ZN7rocprim17ROCPRIM_400000_NS6detail17trampoline_kernelINS0_14default_configENS1_20scan_config_selectorIxEEZZNS1_9scan_implILNS1_25lookback_scan_determinismE0ELb1ELb1ES3_N6thrust23THRUST_200600_302600_NS6detail15normal_iteratorINS9_10device_ptrIxEEEENS9_16discard_iteratorINS9_11use_defaultEEEx11max_functorIxExEEDaPvRmT3_T4_T5_mT6_P12ihipStream_tbENKUlT_T0_E_clISt17integral_constantIbLb0EESW_IbLb1EEEEDaSS_ST_EUlSS_E0_NS1_11comp_targetILNS1_3genE3ELNS1_11target_archE908ELNS1_3gpuE7ELNS1_3repE0EEENS1_30default_config_static_selectorELNS0_4arch9wavefront6targetE1EEEvT1_,"axG",@progbits,_ZN7rocprim17ROCPRIM_400000_NS6detail17trampoline_kernelINS0_14default_configENS1_20scan_config_selectorIxEEZZNS1_9scan_implILNS1_25lookback_scan_determinismE0ELb1ELb1ES3_N6thrust23THRUST_200600_302600_NS6detail15normal_iteratorINS9_10device_ptrIxEEEENS9_16discard_iteratorINS9_11use_defaultEEEx11max_functorIxExEEDaPvRmT3_T4_T5_mT6_P12ihipStream_tbENKUlT_T0_E_clISt17integral_constantIbLb0EESW_IbLb1EEEEDaSS_ST_EUlSS_E0_NS1_11comp_targetILNS1_3genE3ELNS1_11target_archE908ELNS1_3gpuE7ELNS1_3repE0EEENS1_30default_config_static_selectorELNS0_4arch9wavefront6targetE1EEEvT1_,comdat
.Lfunc_end3848:
	.size	_ZN7rocprim17ROCPRIM_400000_NS6detail17trampoline_kernelINS0_14default_configENS1_20scan_config_selectorIxEEZZNS1_9scan_implILNS1_25lookback_scan_determinismE0ELb1ELb1ES3_N6thrust23THRUST_200600_302600_NS6detail15normal_iteratorINS9_10device_ptrIxEEEENS9_16discard_iteratorINS9_11use_defaultEEEx11max_functorIxExEEDaPvRmT3_T4_T5_mT6_P12ihipStream_tbENKUlT_T0_E_clISt17integral_constantIbLb0EESW_IbLb1EEEEDaSS_ST_EUlSS_E0_NS1_11comp_targetILNS1_3genE3ELNS1_11target_archE908ELNS1_3gpuE7ELNS1_3repE0EEENS1_30default_config_static_selectorELNS0_4arch9wavefront6targetE1EEEvT1_, .Lfunc_end3848-_ZN7rocprim17ROCPRIM_400000_NS6detail17trampoline_kernelINS0_14default_configENS1_20scan_config_selectorIxEEZZNS1_9scan_implILNS1_25lookback_scan_determinismE0ELb1ELb1ES3_N6thrust23THRUST_200600_302600_NS6detail15normal_iteratorINS9_10device_ptrIxEEEENS9_16discard_iteratorINS9_11use_defaultEEEx11max_functorIxExEEDaPvRmT3_T4_T5_mT6_P12ihipStream_tbENKUlT_T0_E_clISt17integral_constantIbLb0EESW_IbLb1EEEEDaSS_ST_EUlSS_E0_NS1_11comp_targetILNS1_3genE3ELNS1_11target_archE908ELNS1_3gpuE7ELNS1_3repE0EEENS1_30default_config_static_selectorELNS0_4arch9wavefront6targetE1EEEvT1_
                                        ; -- End function
	.section	.AMDGPU.csdata,"",@progbits
; Kernel info:
; codeLenInByte = 0
; NumSgprs: 4
; NumVgprs: 0
; NumAgprs: 0
; TotalNumVgprs: 0
; ScratchSize: 0
; MemoryBound: 0
; FloatMode: 240
; IeeeMode: 1
; LDSByteSize: 0 bytes/workgroup (compile time only)
; SGPRBlocks: 0
; VGPRBlocks: 0
; NumSGPRsForWavesPerEU: 4
; NumVGPRsForWavesPerEU: 1
; AccumOffset: 4
; Occupancy: 8
; WaveLimiterHint : 0
; COMPUTE_PGM_RSRC2:SCRATCH_EN: 0
; COMPUTE_PGM_RSRC2:USER_SGPR: 6
; COMPUTE_PGM_RSRC2:TRAP_HANDLER: 0
; COMPUTE_PGM_RSRC2:TGID_X_EN: 1
; COMPUTE_PGM_RSRC2:TGID_Y_EN: 0
; COMPUTE_PGM_RSRC2:TGID_Z_EN: 0
; COMPUTE_PGM_RSRC2:TIDIG_COMP_CNT: 0
; COMPUTE_PGM_RSRC3_GFX90A:ACCUM_OFFSET: 0
; COMPUTE_PGM_RSRC3_GFX90A:TG_SPLIT: 0
	.section	.text._ZN7rocprim17ROCPRIM_400000_NS6detail17trampoline_kernelINS0_14default_configENS1_20scan_config_selectorIxEEZZNS1_9scan_implILNS1_25lookback_scan_determinismE0ELb1ELb1ES3_N6thrust23THRUST_200600_302600_NS6detail15normal_iteratorINS9_10device_ptrIxEEEENS9_16discard_iteratorINS9_11use_defaultEEEx11max_functorIxExEEDaPvRmT3_T4_T5_mT6_P12ihipStream_tbENKUlT_T0_E_clISt17integral_constantIbLb0EESW_IbLb1EEEEDaSS_ST_EUlSS_E0_NS1_11comp_targetILNS1_3genE2ELNS1_11target_archE906ELNS1_3gpuE6ELNS1_3repE0EEENS1_30default_config_static_selectorELNS0_4arch9wavefront6targetE1EEEvT1_,"axG",@progbits,_ZN7rocprim17ROCPRIM_400000_NS6detail17trampoline_kernelINS0_14default_configENS1_20scan_config_selectorIxEEZZNS1_9scan_implILNS1_25lookback_scan_determinismE0ELb1ELb1ES3_N6thrust23THRUST_200600_302600_NS6detail15normal_iteratorINS9_10device_ptrIxEEEENS9_16discard_iteratorINS9_11use_defaultEEEx11max_functorIxExEEDaPvRmT3_T4_T5_mT6_P12ihipStream_tbENKUlT_T0_E_clISt17integral_constantIbLb0EESW_IbLb1EEEEDaSS_ST_EUlSS_E0_NS1_11comp_targetILNS1_3genE2ELNS1_11target_archE906ELNS1_3gpuE6ELNS1_3repE0EEENS1_30default_config_static_selectorELNS0_4arch9wavefront6targetE1EEEvT1_,comdat
	.protected	_ZN7rocprim17ROCPRIM_400000_NS6detail17trampoline_kernelINS0_14default_configENS1_20scan_config_selectorIxEEZZNS1_9scan_implILNS1_25lookback_scan_determinismE0ELb1ELb1ES3_N6thrust23THRUST_200600_302600_NS6detail15normal_iteratorINS9_10device_ptrIxEEEENS9_16discard_iteratorINS9_11use_defaultEEEx11max_functorIxExEEDaPvRmT3_T4_T5_mT6_P12ihipStream_tbENKUlT_T0_E_clISt17integral_constantIbLb0EESW_IbLb1EEEEDaSS_ST_EUlSS_E0_NS1_11comp_targetILNS1_3genE2ELNS1_11target_archE906ELNS1_3gpuE6ELNS1_3repE0EEENS1_30default_config_static_selectorELNS0_4arch9wavefront6targetE1EEEvT1_ ; -- Begin function _ZN7rocprim17ROCPRIM_400000_NS6detail17trampoline_kernelINS0_14default_configENS1_20scan_config_selectorIxEEZZNS1_9scan_implILNS1_25lookback_scan_determinismE0ELb1ELb1ES3_N6thrust23THRUST_200600_302600_NS6detail15normal_iteratorINS9_10device_ptrIxEEEENS9_16discard_iteratorINS9_11use_defaultEEEx11max_functorIxExEEDaPvRmT3_T4_T5_mT6_P12ihipStream_tbENKUlT_T0_E_clISt17integral_constantIbLb0EESW_IbLb1EEEEDaSS_ST_EUlSS_E0_NS1_11comp_targetILNS1_3genE2ELNS1_11target_archE906ELNS1_3gpuE6ELNS1_3repE0EEENS1_30default_config_static_selectorELNS0_4arch9wavefront6targetE1EEEvT1_
	.globl	_ZN7rocprim17ROCPRIM_400000_NS6detail17trampoline_kernelINS0_14default_configENS1_20scan_config_selectorIxEEZZNS1_9scan_implILNS1_25lookback_scan_determinismE0ELb1ELb1ES3_N6thrust23THRUST_200600_302600_NS6detail15normal_iteratorINS9_10device_ptrIxEEEENS9_16discard_iteratorINS9_11use_defaultEEEx11max_functorIxExEEDaPvRmT3_T4_T5_mT6_P12ihipStream_tbENKUlT_T0_E_clISt17integral_constantIbLb0EESW_IbLb1EEEEDaSS_ST_EUlSS_E0_NS1_11comp_targetILNS1_3genE2ELNS1_11target_archE906ELNS1_3gpuE6ELNS1_3repE0EEENS1_30default_config_static_selectorELNS0_4arch9wavefront6targetE1EEEvT1_
	.p2align	8
	.type	_ZN7rocprim17ROCPRIM_400000_NS6detail17trampoline_kernelINS0_14default_configENS1_20scan_config_selectorIxEEZZNS1_9scan_implILNS1_25lookback_scan_determinismE0ELb1ELb1ES3_N6thrust23THRUST_200600_302600_NS6detail15normal_iteratorINS9_10device_ptrIxEEEENS9_16discard_iteratorINS9_11use_defaultEEEx11max_functorIxExEEDaPvRmT3_T4_T5_mT6_P12ihipStream_tbENKUlT_T0_E_clISt17integral_constantIbLb0EESW_IbLb1EEEEDaSS_ST_EUlSS_E0_NS1_11comp_targetILNS1_3genE2ELNS1_11target_archE906ELNS1_3gpuE6ELNS1_3repE0EEENS1_30default_config_static_selectorELNS0_4arch9wavefront6targetE1EEEvT1_,@function
_ZN7rocprim17ROCPRIM_400000_NS6detail17trampoline_kernelINS0_14default_configENS1_20scan_config_selectorIxEEZZNS1_9scan_implILNS1_25lookback_scan_determinismE0ELb1ELb1ES3_N6thrust23THRUST_200600_302600_NS6detail15normal_iteratorINS9_10device_ptrIxEEEENS9_16discard_iteratorINS9_11use_defaultEEEx11max_functorIxExEEDaPvRmT3_T4_T5_mT6_P12ihipStream_tbENKUlT_T0_E_clISt17integral_constantIbLb0EESW_IbLb1EEEEDaSS_ST_EUlSS_E0_NS1_11comp_targetILNS1_3genE2ELNS1_11target_archE906ELNS1_3gpuE6ELNS1_3repE0EEENS1_30default_config_static_selectorELNS0_4arch9wavefront6targetE1EEEvT1_: ; @_ZN7rocprim17ROCPRIM_400000_NS6detail17trampoline_kernelINS0_14default_configENS1_20scan_config_selectorIxEEZZNS1_9scan_implILNS1_25lookback_scan_determinismE0ELb1ELb1ES3_N6thrust23THRUST_200600_302600_NS6detail15normal_iteratorINS9_10device_ptrIxEEEENS9_16discard_iteratorINS9_11use_defaultEEEx11max_functorIxExEEDaPvRmT3_T4_T5_mT6_P12ihipStream_tbENKUlT_T0_E_clISt17integral_constantIbLb0EESW_IbLb1EEEEDaSS_ST_EUlSS_E0_NS1_11comp_targetILNS1_3genE2ELNS1_11target_archE906ELNS1_3gpuE6ELNS1_3repE0EEENS1_30default_config_static_selectorELNS0_4arch9wavefront6targetE1EEEvT1_
; %bb.0:
	.section	.rodata,"a",@progbits
	.p2align	6, 0x0
	.amdhsa_kernel _ZN7rocprim17ROCPRIM_400000_NS6detail17trampoline_kernelINS0_14default_configENS1_20scan_config_selectorIxEEZZNS1_9scan_implILNS1_25lookback_scan_determinismE0ELb1ELb1ES3_N6thrust23THRUST_200600_302600_NS6detail15normal_iteratorINS9_10device_ptrIxEEEENS9_16discard_iteratorINS9_11use_defaultEEEx11max_functorIxExEEDaPvRmT3_T4_T5_mT6_P12ihipStream_tbENKUlT_T0_E_clISt17integral_constantIbLb0EESW_IbLb1EEEEDaSS_ST_EUlSS_E0_NS1_11comp_targetILNS1_3genE2ELNS1_11target_archE906ELNS1_3gpuE6ELNS1_3repE0EEENS1_30default_config_static_selectorELNS0_4arch9wavefront6targetE1EEEvT1_
		.amdhsa_group_segment_fixed_size 0
		.amdhsa_private_segment_fixed_size 0
		.amdhsa_kernarg_size 48
		.amdhsa_user_sgpr_count 6
		.amdhsa_user_sgpr_private_segment_buffer 1
		.amdhsa_user_sgpr_dispatch_ptr 0
		.amdhsa_user_sgpr_queue_ptr 0
		.amdhsa_user_sgpr_kernarg_segment_ptr 1
		.amdhsa_user_sgpr_dispatch_id 0
		.amdhsa_user_sgpr_flat_scratch_init 0
		.amdhsa_user_sgpr_kernarg_preload_length 0
		.amdhsa_user_sgpr_kernarg_preload_offset 0
		.amdhsa_user_sgpr_private_segment_size 0
		.amdhsa_uses_dynamic_stack 0
		.amdhsa_system_sgpr_private_segment_wavefront_offset 0
		.amdhsa_system_sgpr_workgroup_id_x 1
		.amdhsa_system_sgpr_workgroup_id_y 0
		.amdhsa_system_sgpr_workgroup_id_z 0
		.amdhsa_system_sgpr_workgroup_info 0
		.amdhsa_system_vgpr_workitem_id 0
		.amdhsa_next_free_vgpr 1
		.amdhsa_next_free_sgpr 0
		.amdhsa_accum_offset 4
		.amdhsa_reserve_vcc 0
		.amdhsa_reserve_flat_scratch 0
		.amdhsa_float_round_mode_32 0
		.amdhsa_float_round_mode_16_64 0
		.amdhsa_float_denorm_mode_32 3
		.amdhsa_float_denorm_mode_16_64 3
		.amdhsa_dx10_clamp 1
		.amdhsa_ieee_mode 1
		.amdhsa_fp16_overflow 0
		.amdhsa_tg_split 0
		.amdhsa_exception_fp_ieee_invalid_op 0
		.amdhsa_exception_fp_denorm_src 0
		.amdhsa_exception_fp_ieee_div_zero 0
		.amdhsa_exception_fp_ieee_overflow 0
		.amdhsa_exception_fp_ieee_underflow 0
		.amdhsa_exception_fp_ieee_inexact 0
		.amdhsa_exception_int_div_zero 0
	.end_amdhsa_kernel
	.section	.text._ZN7rocprim17ROCPRIM_400000_NS6detail17trampoline_kernelINS0_14default_configENS1_20scan_config_selectorIxEEZZNS1_9scan_implILNS1_25lookback_scan_determinismE0ELb1ELb1ES3_N6thrust23THRUST_200600_302600_NS6detail15normal_iteratorINS9_10device_ptrIxEEEENS9_16discard_iteratorINS9_11use_defaultEEEx11max_functorIxExEEDaPvRmT3_T4_T5_mT6_P12ihipStream_tbENKUlT_T0_E_clISt17integral_constantIbLb0EESW_IbLb1EEEEDaSS_ST_EUlSS_E0_NS1_11comp_targetILNS1_3genE2ELNS1_11target_archE906ELNS1_3gpuE6ELNS1_3repE0EEENS1_30default_config_static_selectorELNS0_4arch9wavefront6targetE1EEEvT1_,"axG",@progbits,_ZN7rocprim17ROCPRIM_400000_NS6detail17trampoline_kernelINS0_14default_configENS1_20scan_config_selectorIxEEZZNS1_9scan_implILNS1_25lookback_scan_determinismE0ELb1ELb1ES3_N6thrust23THRUST_200600_302600_NS6detail15normal_iteratorINS9_10device_ptrIxEEEENS9_16discard_iteratorINS9_11use_defaultEEEx11max_functorIxExEEDaPvRmT3_T4_T5_mT6_P12ihipStream_tbENKUlT_T0_E_clISt17integral_constantIbLb0EESW_IbLb1EEEEDaSS_ST_EUlSS_E0_NS1_11comp_targetILNS1_3genE2ELNS1_11target_archE906ELNS1_3gpuE6ELNS1_3repE0EEENS1_30default_config_static_selectorELNS0_4arch9wavefront6targetE1EEEvT1_,comdat
.Lfunc_end3849:
	.size	_ZN7rocprim17ROCPRIM_400000_NS6detail17trampoline_kernelINS0_14default_configENS1_20scan_config_selectorIxEEZZNS1_9scan_implILNS1_25lookback_scan_determinismE0ELb1ELb1ES3_N6thrust23THRUST_200600_302600_NS6detail15normal_iteratorINS9_10device_ptrIxEEEENS9_16discard_iteratorINS9_11use_defaultEEEx11max_functorIxExEEDaPvRmT3_T4_T5_mT6_P12ihipStream_tbENKUlT_T0_E_clISt17integral_constantIbLb0EESW_IbLb1EEEEDaSS_ST_EUlSS_E0_NS1_11comp_targetILNS1_3genE2ELNS1_11target_archE906ELNS1_3gpuE6ELNS1_3repE0EEENS1_30default_config_static_selectorELNS0_4arch9wavefront6targetE1EEEvT1_, .Lfunc_end3849-_ZN7rocprim17ROCPRIM_400000_NS6detail17trampoline_kernelINS0_14default_configENS1_20scan_config_selectorIxEEZZNS1_9scan_implILNS1_25lookback_scan_determinismE0ELb1ELb1ES3_N6thrust23THRUST_200600_302600_NS6detail15normal_iteratorINS9_10device_ptrIxEEEENS9_16discard_iteratorINS9_11use_defaultEEEx11max_functorIxExEEDaPvRmT3_T4_T5_mT6_P12ihipStream_tbENKUlT_T0_E_clISt17integral_constantIbLb0EESW_IbLb1EEEEDaSS_ST_EUlSS_E0_NS1_11comp_targetILNS1_3genE2ELNS1_11target_archE906ELNS1_3gpuE6ELNS1_3repE0EEENS1_30default_config_static_selectorELNS0_4arch9wavefront6targetE1EEEvT1_
                                        ; -- End function
	.section	.AMDGPU.csdata,"",@progbits
; Kernel info:
; codeLenInByte = 0
; NumSgprs: 4
; NumVgprs: 0
; NumAgprs: 0
; TotalNumVgprs: 0
; ScratchSize: 0
; MemoryBound: 0
; FloatMode: 240
; IeeeMode: 1
; LDSByteSize: 0 bytes/workgroup (compile time only)
; SGPRBlocks: 0
; VGPRBlocks: 0
; NumSGPRsForWavesPerEU: 4
; NumVGPRsForWavesPerEU: 1
; AccumOffset: 4
; Occupancy: 8
; WaveLimiterHint : 0
; COMPUTE_PGM_RSRC2:SCRATCH_EN: 0
; COMPUTE_PGM_RSRC2:USER_SGPR: 6
; COMPUTE_PGM_RSRC2:TRAP_HANDLER: 0
; COMPUTE_PGM_RSRC2:TGID_X_EN: 1
; COMPUTE_PGM_RSRC2:TGID_Y_EN: 0
; COMPUTE_PGM_RSRC2:TGID_Z_EN: 0
; COMPUTE_PGM_RSRC2:TIDIG_COMP_CNT: 0
; COMPUTE_PGM_RSRC3_GFX90A:ACCUM_OFFSET: 0
; COMPUTE_PGM_RSRC3_GFX90A:TG_SPLIT: 0
	.section	.text._ZN7rocprim17ROCPRIM_400000_NS6detail17trampoline_kernelINS0_14default_configENS1_20scan_config_selectorIxEEZZNS1_9scan_implILNS1_25lookback_scan_determinismE0ELb1ELb1ES3_N6thrust23THRUST_200600_302600_NS6detail15normal_iteratorINS9_10device_ptrIxEEEENS9_16discard_iteratorINS9_11use_defaultEEEx11max_functorIxExEEDaPvRmT3_T4_T5_mT6_P12ihipStream_tbENKUlT_T0_E_clISt17integral_constantIbLb0EESW_IbLb1EEEEDaSS_ST_EUlSS_E0_NS1_11comp_targetILNS1_3genE10ELNS1_11target_archE1201ELNS1_3gpuE5ELNS1_3repE0EEENS1_30default_config_static_selectorELNS0_4arch9wavefront6targetE1EEEvT1_,"axG",@progbits,_ZN7rocprim17ROCPRIM_400000_NS6detail17trampoline_kernelINS0_14default_configENS1_20scan_config_selectorIxEEZZNS1_9scan_implILNS1_25lookback_scan_determinismE0ELb1ELb1ES3_N6thrust23THRUST_200600_302600_NS6detail15normal_iteratorINS9_10device_ptrIxEEEENS9_16discard_iteratorINS9_11use_defaultEEEx11max_functorIxExEEDaPvRmT3_T4_T5_mT6_P12ihipStream_tbENKUlT_T0_E_clISt17integral_constantIbLb0EESW_IbLb1EEEEDaSS_ST_EUlSS_E0_NS1_11comp_targetILNS1_3genE10ELNS1_11target_archE1201ELNS1_3gpuE5ELNS1_3repE0EEENS1_30default_config_static_selectorELNS0_4arch9wavefront6targetE1EEEvT1_,comdat
	.protected	_ZN7rocprim17ROCPRIM_400000_NS6detail17trampoline_kernelINS0_14default_configENS1_20scan_config_selectorIxEEZZNS1_9scan_implILNS1_25lookback_scan_determinismE0ELb1ELb1ES3_N6thrust23THRUST_200600_302600_NS6detail15normal_iteratorINS9_10device_ptrIxEEEENS9_16discard_iteratorINS9_11use_defaultEEEx11max_functorIxExEEDaPvRmT3_T4_T5_mT6_P12ihipStream_tbENKUlT_T0_E_clISt17integral_constantIbLb0EESW_IbLb1EEEEDaSS_ST_EUlSS_E0_NS1_11comp_targetILNS1_3genE10ELNS1_11target_archE1201ELNS1_3gpuE5ELNS1_3repE0EEENS1_30default_config_static_selectorELNS0_4arch9wavefront6targetE1EEEvT1_ ; -- Begin function _ZN7rocprim17ROCPRIM_400000_NS6detail17trampoline_kernelINS0_14default_configENS1_20scan_config_selectorIxEEZZNS1_9scan_implILNS1_25lookback_scan_determinismE0ELb1ELb1ES3_N6thrust23THRUST_200600_302600_NS6detail15normal_iteratorINS9_10device_ptrIxEEEENS9_16discard_iteratorINS9_11use_defaultEEEx11max_functorIxExEEDaPvRmT3_T4_T5_mT6_P12ihipStream_tbENKUlT_T0_E_clISt17integral_constantIbLb0EESW_IbLb1EEEEDaSS_ST_EUlSS_E0_NS1_11comp_targetILNS1_3genE10ELNS1_11target_archE1201ELNS1_3gpuE5ELNS1_3repE0EEENS1_30default_config_static_selectorELNS0_4arch9wavefront6targetE1EEEvT1_
	.globl	_ZN7rocprim17ROCPRIM_400000_NS6detail17trampoline_kernelINS0_14default_configENS1_20scan_config_selectorIxEEZZNS1_9scan_implILNS1_25lookback_scan_determinismE0ELb1ELb1ES3_N6thrust23THRUST_200600_302600_NS6detail15normal_iteratorINS9_10device_ptrIxEEEENS9_16discard_iteratorINS9_11use_defaultEEEx11max_functorIxExEEDaPvRmT3_T4_T5_mT6_P12ihipStream_tbENKUlT_T0_E_clISt17integral_constantIbLb0EESW_IbLb1EEEEDaSS_ST_EUlSS_E0_NS1_11comp_targetILNS1_3genE10ELNS1_11target_archE1201ELNS1_3gpuE5ELNS1_3repE0EEENS1_30default_config_static_selectorELNS0_4arch9wavefront6targetE1EEEvT1_
	.p2align	8
	.type	_ZN7rocprim17ROCPRIM_400000_NS6detail17trampoline_kernelINS0_14default_configENS1_20scan_config_selectorIxEEZZNS1_9scan_implILNS1_25lookback_scan_determinismE0ELb1ELb1ES3_N6thrust23THRUST_200600_302600_NS6detail15normal_iteratorINS9_10device_ptrIxEEEENS9_16discard_iteratorINS9_11use_defaultEEEx11max_functorIxExEEDaPvRmT3_T4_T5_mT6_P12ihipStream_tbENKUlT_T0_E_clISt17integral_constantIbLb0EESW_IbLb1EEEEDaSS_ST_EUlSS_E0_NS1_11comp_targetILNS1_3genE10ELNS1_11target_archE1201ELNS1_3gpuE5ELNS1_3repE0EEENS1_30default_config_static_selectorELNS0_4arch9wavefront6targetE1EEEvT1_,@function
_ZN7rocprim17ROCPRIM_400000_NS6detail17trampoline_kernelINS0_14default_configENS1_20scan_config_selectorIxEEZZNS1_9scan_implILNS1_25lookback_scan_determinismE0ELb1ELb1ES3_N6thrust23THRUST_200600_302600_NS6detail15normal_iteratorINS9_10device_ptrIxEEEENS9_16discard_iteratorINS9_11use_defaultEEEx11max_functorIxExEEDaPvRmT3_T4_T5_mT6_P12ihipStream_tbENKUlT_T0_E_clISt17integral_constantIbLb0EESW_IbLb1EEEEDaSS_ST_EUlSS_E0_NS1_11comp_targetILNS1_3genE10ELNS1_11target_archE1201ELNS1_3gpuE5ELNS1_3repE0EEENS1_30default_config_static_selectorELNS0_4arch9wavefront6targetE1EEEvT1_: ; @_ZN7rocprim17ROCPRIM_400000_NS6detail17trampoline_kernelINS0_14default_configENS1_20scan_config_selectorIxEEZZNS1_9scan_implILNS1_25lookback_scan_determinismE0ELb1ELb1ES3_N6thrust23THRUST_200600_302600_NS6detail15normal_iteratorINS9_10device_ptrIxEEEENS9_16discard_iteratorINS9_11use_defaultEEEx11max_functorIxExEEDaPvRmT3_T4_T5_mT6_P12ihipStream_tbENKUlT_T0_E_clISt17integral_constantIbLb0EESW_IbLb1EEEEDaSS_ST_EUlSS_E0_NS1_11comp_targetILNS1_3genE10ELNS1_11target_archE1201ELNS1_3gpuE5ELNS1_3repE0EEENS1_30default_config_static_selectorELNS0_4arch9wavefront6targetE1EEEvT1_
; %bb.0:
	.section	.rodata,"a",@progbits
	.p2align	6, 0x0
	.amdhsa_kernel _ZN7rocprim17ROCPRIM_400000_NS6detail17trampoline_kernelINS0_14default_configENS1_20scan_config_selectorIxEEZZNS1_9scan_implILNS1_25lookback_scan_determinismE0ELb1ELb1ES3_N6thrust23THRUST_200600_302600_NS6detail15normal_iteratorINS9_10device_ptrIxEEEENS9_16discard_iteratorINS9_11use_defaultEEEx11max_functorIxExEEDaPvRmT3_T4_T5_mT6_P12ihipStream_tbENKUlT_T0_E_clISt17integral_constantIbLb0EESW_IbLb1EEEEDaSS_ST_EUlSS_E0_NS1_11comp_targetILNS1_3genE10ELNS1_11target_archE1201ELNS1_3gpuE5ELNS1_3repE0EEENS1_30default_config_static_selectorELNS0_4arch9wavefront6targetE1EEEvT1_
		.amdhsa_group_segment_fixed_size 0
		.amdhsa_private_segment_fixed_size 0
		.amdhsa_kernarg_size 48
		.amdhsa_user_sgpr_count 6
		.amdhsa_user_sgpr_private_segment_buffer 1
		.amdhsa_user_sgpr_dispatch_ptr 0
		.amdhsa_user_sgpr_queue_ptr 0
		.amdhsa_user_sgpr_kernarg_segment_ptr 1
		.amdhsa_user_sgpr_dispatch_id 0
		.amdhsa_user_sgpr_flat_scratch_init 0
		.amdhsa_user_sgpr_kernarg_preload_length 0
		.amdhsa_user_sgpr_kernarg_preload_offset 0
		.amdhsa_user_sgpr_private_segment_size 0
		.amdhsa_uses_dynamic_stack 0
		.amdhsa_system_sgpr_private_segment_wavefront_offset 0
		.amdhsa_system_sgpr_workgroup_id_x 1
		.amdhsa_system_sgpr_workgroup_id_y 0
		.amdhsa_system_sgpr_workgroup_id_z 0
		.amdhsa_system_sgpr_workgroup_info 0
		.amdhsa_system_vgpr_workitem_id 0
		.amdhsa_next_free_vgpr 1
		.amdhsa_next_free_sgpr 0
		.amdhsa_accum_offset 4
		.amdhsa_reserve_vcc 0
		.amdhsa_reserve_flat_scratch 0
		.amdhsa_float_round_mode_32 0
		.amdhsa_float_round_mode_16_64 0
		.amdhsa_float_denorm_mode_32 3
		.amdhsa_float_denorm_mode_16_64 3
		.amdhsa_dx10_clamp 1
		.amdhsa_ieee_mode 1
		.amdhsa_fp16_overflow 0
		.amdhsa_tg_split 0
		.amdhsa_exception_fp_ieee_invalid_op 0
		.amdhsa_exception_fp_denorm_src 0
		.amdhsa_exception_fp_ieee_div_zero 0
		.amdhsa_exception_fp_ieee_overflow 0
		.amdhsa_exception_fp_ieee_underflow 0
		.amdhsa_exception_fp_ieee_inexact 0
		.amdhsa_exception_int_div_zero 0
	.end_amdhsa_kernel
	.section	.text._ZN7rocprim17ROCPRIM_400000_NS6detail17trampoline_kernelINS0_14default_configENS1_20scan_config_selectorIxEEZZNS1_9scan_implILNS1_25lookback_scan_determinismE0ELb1ELb1ES3_N6thrust23THRUST_200600_302600_NS6detail15normal_iteratorINS9_10device_ptrIxEEEENS9_16discard_iteratorINS9_11use_defaultEEEx11max_functorIxExEEDaPvRmT3_T4_T5_mT6_P12ihipStream_tbENKUlT_T0_E_clISt17integral_constantIbLb0EESW_IbLb1EEEEDaSS_ST_EUlSS_E0_NS1_11comp_targetILNS1_3genE10ELNS1_11target_archE1201ELNS1_3gpuE5ELNS1_3repE0EEENS1_30default_config_static_selectorELNS0_4arch9wavefront6targetE1EEEvT1_,"axG",@progbits,_ZN7rocprim17ROCPRIM_400000_NS6detail17trampoline_kernelINS0_14default_configENS1_20scan_config_selectorIxEEZZNS1_9scan_implILNS1_25lookback_scan_determinismE0ELb1ELb1ES3_N6thrust23THRUST_200600_302600_NS6detail15normal_iteratorINS9_10device_ptrIxEEEENS9_16discard_iteratorINS9_11use_defaultEEEx11max_functorIxExEEDaPvRmT3_T4_T5_mT6_P12ihipStream_tbENKUlT_T0_E_clISt17integral_constantIbLb0EESW_IbLb1EEEEDaSS_ST_EUlSS_E0_NS1_11comp_targetILNS1_3genE10ELNS1_11target_archE1201ELNS1_3gpuE5ELNS1_3repE0EEENS1_30default_config_static_selectorELNS0_4arch9wavefront6targetE1EEEvT1_,comdat
.Lfunc_end3850:
	.size	_ZN7rocprim17ROCPRIM_400000_NS6detail17trampoline_kernelINS0_14default_configENS1_20scan_config_selectorIxEEZZNS1_9scan_implILNS1_25lookback_scan_determinismE0ELb1ELb1ES3_N6thrust23THRUST_200600_302600_NS6detail15normal_iteratorINS9_10device_ptrIxEEEENS9_16discard_iteratorINS9_11use_defaultEEEx11max_functorIxExEEDaPvRmT3_T4_T5_mT6_P12ihipStream_tbENKUlT_T0_E_clISt17integral_constantIbLb0EESW_IbLb1EEEEDaSS_ST_EUlSS_E0_NS1_11comp_targetILNS1_3genE10ELNS1_11target_archE1201ELNS1_3gpuE5ELNS1_3repE0EEENS1_30default_config_static_selectorELNS0_4arch9wavefront6targetE1EEEvT1_, .Lfunc_end3850-_ZN7rocprim17ROCPRIM_400000_NS6detail17trampoline_kernelINS0_14default_configENS1_20scan_config_selectorIxEEZZNS1_9scan_implILNS1_25lookback_scan_determinismE0ELb1ELb1ES3_N6thrust23THRUST_200600_302600_NS6detail15normal_iteratorINS9_10device_ptrIxEEEENS9_16discard_iteratorINS9_11use_defaultEEEx11max_functorIxExEEDaPvRmT3_T4_T5_mT6_P12ihipStream_tbENKUlT_T0_E_clISt17integral_constantIbLb0EESW_IbLb1EEEEDaSS_ST_EUlSS_E0_NS1_11comp_targetILNS1_3genE10ELNS1_11target_archE1201ELNS1_3gpuE5ELNS1_3repE0EEENS1_30default_config_static_selectorELNS0_4arch9wavefront6targetE1EEEvT1_
                                        ; -- End function
	.section	.AMDGPU.csdata,"",@progbits
; Kernel info:
; codeLenInByte = 0
; NumSgprs: 4
; NumVgprs: 0
; NumAgprs: 0
; TotalNumVgprs: 0
; ScratchSize: 0
; MemoryBound: 0
; FloatMode: 240
; IeeeMode: 1
; LDSByteSize: 0 bytes/workgroup (compile time only)
; SGPRBlocks: 0
; VGPRBlocks: 0
; NumSGPRsForWavesPerEU: 4
; NumVGPRsForWavesPerEU: 1
; AccumOffset: 4
; Occupancy: 8
; WaveLimiterHint : 0
; COMPUTE_PGM_RSRC2:SCRATCH_EN: 0
; COMPUTE_PGM_RSRC2:USER_SGPR: 6
; COMPUTE_PGM_RSRC2:TRAP_HANDLER: 0
; COMPUTE_PGM_RSRC2:TGID_X_EN: 1
; COMPUTE_PGM_RSRC2:TGID_Y_EN: 0
; COMPUTE_PGM_RSRC2:TGID_Z_EN: 0
; COMPUTE_PGM_RSRC2:TIDIG_COMP_CNT: 0
; COMPUTE_PGM_RSRC3_GFX90A:ACCUM_OFFSET: 0
; COMPUTE_PGM_RSRC3_GFX90A:TG_SPLIT: 0
	.section	.text._ZN7rocprim17ROCPRIM_400000_NS6detail17trampoline_kernelINS0_14default_configENS1_20scan_config_selectorIxEEZZNS1_9scan_implILNS1_25lookback_scan_determinismE0ELb1ELb1ES3_N6thrust23THRUST_200600_302600_NS6detail15normal_iteratorINS9_10device_ptrIxEEEENS9_16discard_iteratorINS9_11use_defaultEEEx11max_functorIxExEEDaPvRmT3_T4_T5_mT6_P12ihipStream_tbENKUlT_T0_E_clISt17integral_constantIbLb0EESW_IbLb1EEEEDaSS_ST_EUlSS_E0_NS1_11comp_targetILNS1_3genE10ELNS1_11target_archE1200ELNS1_3gpuE4ELNS1_3repE0EEENS1_30default_config_static_selectorELNS0_4arch9wavefront6targetE1EEEvT1_,"axG",@progbits,_ZN7rocprim17ROCPRIM_400000_NS6detail17trampoline_kernelINS0_14default_configENS1_20scan_config_selectorIxEEZZNS1_9scan_implILNS1_25lookback_scan_determinismE0ELb1ELb1ES3_N6thrust23THRUST_200600_302600_NS6detail15normal_iteratorINS9_10device_ptrIxEEEENS9_16discard_iteratorINS9_11use_defaultEEEx11max_functorIxExEEDaPvRmT3_T4_T5_mT6_P12ihipStream_tbENKUlT_T0_E_clISt17integral_constantIbLb0EESW_IbLb1EEEEDaSS_ST_EUlSS_E0_NS1_11comp_targetILNS1_3genE10ELNS1_11target_archE1200ELNS1_3gpuE4ELNS1_3repE0EEENS1_30default_config_static_selectorELNS0_4arch9wavefront6targetE1EEEvT1_,comdat
	.protected	_ZN7rocprim17ROCPRIM_400000_NS6detail17trampoline_kernelINS0_14default_configENS1_20scan_config_selectorIxEEZZNS1_9scan_implILNS1_25lookback_scan_determinismE0ELb1ELb1ES3_N6thrust23THRUST_200600_302600_NS6detail15normal_iteratorINS9_10device_ptrIxEEEENS9_16discard_iteratorINS9_11use_defaultEEEx11max_functorIxExEEDaPvRmT3_T4_T5_mT6_P12ihipStream_tbENKUlT_T0_E_clISt17integral_constantIbLb0EESW_IbLb1EEEEDaSS_ST_EUlSS_E0_NS1_11comp_targetILNS1_3genE10ELNS1_11target_archE1200ELNS1_3gpuE4ELNS1_3repE0EEENS1_30default_config_static_selectorELNS0_4arch9wavefront6targetE1EEEvT1_ ; -- Begin function _ZN7rocprim17ROCPRIM_400000_NS6detail17trampoline_kernelINS0_14default_configENS1_20scan_config_selectorIxEEZZNS1_9scan_implILNS1_25lookback_scan_determinismE0ELb1ELb1ES3_N6thrust23THRUST_200600_302600_NS6detail15normal_iteratorINS9_10device_ptrIxEEEENS9_16discard_iteratorINS9_11use_defaultEEEx11max_functorIxExEEDaPvRmT3_T4_T5_mT6_P12ihipStream_tbENKUlT_T0_E_clISt17integral_constantIbLb0EESW_IbLb1EEEEDaSS_ST_EUlSS_E0_NS1_11comp_targetILNS1_3genE10ELNS1_11target_archE1200ELNS1_3gpuE4ELNS1_3repE0EEENS1_30default_config_static_selectorELNS0_4arch9wavefront6targetE1EEEvT1_
	.globl	_ZN7rocprim17ROCPRIM_400000_NS6detail17trampoline_kernelINS0_14default_configENS1_20scan_config_selectorIxEEZZNS1_9scan_implILNS1_25lookback_scan_determinismE0ELb1ELb1ES3_N6thrust23THRUST_200600_302600_NS6detail15normal_iteratorINS9_10device_ptrIxEEEENS9_16discard_iteratorINS9_11use_defaultEEEx11max_functorIxExEEDaPvRmT3_T4_T5_mT6_P12ihipStream_tbENKUlT_T0_E_clISt17integral_constantIbLb0EESW_IbLb1EEEEDaSS_ST_EUlSS_E0_NS1_11comp_targetILNS1_3genE10ELNS1_11target_archE1200ELNS1_3gpuE4ELNS1_3repE0EEENS1_30default_config_static_selectorELNS0_4arch9wavefront6targetE1EEEvT1_
	.p2align	8
	.type	_ZN7rocprim17ROCPRIM_400000_NS6detail17trampoline_kernelINS0_14default_configENS1_20scan_config_selectorIxEEZZNS1_9scan_implILNS1_25lookback_scan_determinismE0ELb1ELb1ES3_N6thrust23THRUST_200600_302600_NS6detail15normal_iteratorINS9_10device_ptrIxEEEENS9_16discard_iteratorINS9_11use_defaultEEEx11max_functorIxExEEDaPvRmT3_T4_T5_mT6_P12ihipStream_tbENKUlT_T0_E_clISt17integral_constantIbLb0EESW_IbLb1EEEEDaSS_ST_EUlSS_E0_NS1_11comp_targetILNS1_3genE10ELNS1_11target_archE1200ELNS1_3gpuE4ELNS1_3repE0EEENS1_30default_config_static_selectorELNS0_4arch9wavefront6targetE1EEEvT1_,@function
_ZN7rocprim17ROCPRIM_400000_NS6detail17trampoline_kernelINS0_14default_configENS1_20scan_config_selectorIxEEZZNS1_9scan_implILNS1_25lookback_scan_determinismE0ELb1ELb1ES3_N6thrust23THRUST_200600_302600_NS6detail15normal_iteratorINS9_10device_ptrIxEEEENS9_16discard_iteratorINS9_11use_defaultEEEx11max_functorIxExEEDaPvRmT3_T4_T5_mT6_P12ihipStream_tbENKUlT_T0_E_clISt17integral_constantIbLb0EESW_IbLb1EEEEDaSS_ST_EUlSS_E0_NS1_11comp_targetILNS1_3genE10ELNS1_11target_archE1200ELNS1_3gpuE4ELNS1_3repE0EEENS1_30default_config_static_selectorELNS0_4arch9wavefront6targetE1EEEvT1_: ; @_ZN7rocprim17ROCPRIM_400000_NS6detail17trampoline_kernelINS0_14default_configENS1_20scan_config_selectorIxEEZZNS1_9scan_implILNS1_25lookback_scan_determinismE0ELb1ELb1ES3_N6thrust23THRUST_200600_302600_NS6detail15normal_iteratorINS9_10device_ptrIxEEEENS9_16discard_iteratorINS9_11use_defaultEEEx11max_functorIxExEEDaPvRmT3_T4_T5_mT6_P12ihipStream_tbENKUlT_T0_E_clISt17integral_constantIbLb0EESW_IbLb1EEEEDaSS_ST_EUlSS_E0_NS1_11comp_targetILNS1_3genE10ELNS1_11target_archE1200ELNS1_3gpuE4ELNS1_3repE0EEENS1_30default_config_static_selectorELNS0_4arch9wavefront6targetE1EEEvT1_
; %bb.0:
	.section	.rodata,"a",@progbits
	.p2align	6, 0x0
	.amdhsa_kernel _ZN7rocprim17ROCPRIM_400000_NS6detail17trampoline_kernelINS0_14default_configENS1_20scan_config_selectorIxEEZZNS1_9scan_implILNS1_25lookback_scan_determinismE0ELb1ELb1ES3_N6thrust23THRUST_200600_302600_NS6detail15normal_iteratorINS9_10device_ptrIxEEEENS9_16discard_iteratorINS9_11use_defaultEEEx11max_functorIxExEEDaPvRmT3_T4_T5_mT6_P12ihipStream_tbENKUlT_T0_E_clISt17integral_constantIbLb0EESW_IbLb1EEEEDaSS_ST_EUlSS_E0_NS1_11comp_targetILNS1_3genE10ELNS1_11target_archE1200ELNS1_3gpuE4ELNS1_3repE0EEENS1_30default_config_static_selectorELNS0_4arch9wavefront6targetE1EEEvT1_
		.amdhsa_group_segment_fixed_size 0
		.amdhsa_private_segment_fixed_size 0
		.amdhsa_kernarg_size 48
		.amdhsa_user_sgpr_count 6
		.amdhsa_user_sgpr_private_segment_buffer 1
		.amdhsa_user_sgpr_dispatch_ptr 0
		.amdhsa_user_sgpr_queue_ptr 0
		.amdhsa_user_sgpr_kernarg_segment_ptr 1
		.amdhsa_user_sgpr_dispatch_id 0
		.amdhsa_user_sgpr_flat_scratch_init 0
		.amdhsa_user_sgpr_kernarg_preload_length 0
		.amdhsa_user_sgpr_kernarg_preload_offset 0
		.amdhsa_user_sgpr_private_segment_size 0
		.amdhsa_uses_dynamic_stack 0
		.amdhsa_system_sgpr_private_segment_wavefront_offset 0
		.amdhsa_system_sgpr_workgroup_id_x 1
		.amdhsa_system_sgpr_workgroup_id_y 0
		.amdhsa_system_sgpr_workgroup_id_z 0
		.amdhsa_system_sgpr_workgroup_info 0
		.amdhsa_system_vgpr_workitem_id 0
		.amdhsa_next_free_vgpr 1
		.amdhsa_next_free_sgpr 0
		.amdhsa_accum_offset 4
		.amdhsa_reserve_vcc 0
		.amdhsa_reserve_flat_scratch 0
		.amdhsa_float_round_mode_32 0
		.amdhsa_float_round_mode_16_64 0
		.amdhsa_float_denorm_mode_32 3
		.amdhsa_float_denorm_mode_16_64 3
		.amdhsa_dx10_clamp 1
		.amdhsa_ieee_mode 1
		.amdhsa_fp16_overflow 0
		.amdhsa_tg_split 0
		.amdhsa_exception_fp_ieee_invalid_op 0
		.amdhsa_exception_fp_denorm_src 0
		.amdhsa_exception_fp_ieee_div_zero 0
		.amdhsa_exception_fp_ieee_overflow 0
		.amdhsa_exception_fp_ieee_underflow 0
		.amdhsa_exception_fp_ieee_inexact 0
		.amdhsa_exception_int_div_zero 0
	.end_amdhsa_kernel
	.section	.text._ZN7rocprim17ROCPRIM_400000_NS6detail17trampoline_kernelINS0_14default_configENS1_20scan_config_selectorIxEEZZNS1_9scan_implILNS1_25lookback_scan_determinismE0ELb1ELb1ES3_N6thrust23THRUST_200600_302600_NS6detail15normal_iteratorINS9_10device_ptrIxEEEENS9_16discard_iteratorINS9_11use_defaultEEEx11max_functorIxExEEDaPvRmT3_T4_T5_mT6_P12ihipStream_tbENKUlT_T0_E_clISt17integral_constantIbLb0EESW_IbLb1EEEEDaSS_ST_EUlSS_E0_NS1_11comp_targetILNS1_3genE10ELNS1_11target_archE1200ELNS1_3gpuE4ELNS1_3repE0EEENS1_30default_config_static_selectorELNS0_4arch9wavefront6targetE1EEEvT1_,"axG",@progbits,_ZN7rocprim17ROCPRIM_400000_NS6detail17trampoline_kernelINS0_14default_configENS1_20scan_config_selectorIxEEZZNS1_9scan_implILNS1_25lookback_scan_determinismE0ELb1ELb1ES3_N6thrust23THRUST_200600_302600_NS6detail15normal_iteratorINS9_10device_ptrIxEEEENS9_16discard_iteratorINS9_11use_defaultEEEx11max_functorIxExEEDaPvRmT3_T4_T5_mT6_P12ihipStream_tbENKUlT_T0_E_clISt17integral_constantIbLb0EESW_IbLb1EEEEDaSS_ST_EUlSS_E0_NS1_11comp_targetILNS1_3genE10ELNS1_11target_archE1200ELNS1_3gpuE4ELNS1_3repE0EEENS1_30default_config_static_selectorELNS0_4arch9wavefront6targetE1EEEvT1_,comdat
.Lfunc_end3851:
	.size	_ZN7rocprim17ROCPRIM_400000_NS6detail17trampoline_kernelINS0_14default_configENS1_20scan_config_selectorIxEEZZNS1_9scan_implILNS1_25lookback_scan_determinismE0ELb1ELb1ES3_N6thrust23THRUST_200600_302600_NS6detail15normal_iteratorINS9_10device_ptrIxEEEENS9_16discard_iteratorINS9_11use_defaultEEEx11max_functorIxExEEDaPvRmT3_T4_T5_mT6_P12ihipStream_tbENKUlT_T0_E_clISt17integral_constantIbLb0EESW_IbLb1EEEEDaSS_ST_EUlSS_E0_NS1_11comp_targetILNS1_3genE10ELNS1_11target_archE1200ELNS1_3gpuE4ELNS1_3repE0EEENS1_30default_config_static_selectorELNS0_4arch9wavefront6targetE1EEEvT1_, .Lfunc_end3851-_ZN7rocprim17ROCPRIM_400000_NS6detail17trampoline_kernelINS0_14default_configENS1_20scan_config_selectorIxEEZZNS1_9scan_implILNS1_25lookback_scan_determinismE0ELb1ELb1ES3_N6thrust23THRUST_200600_302600_NS6detail15normal_iteratorINS9_10device_ptrIxEEEENS9_16discard_iteratorINS9_11use_defaultEEEx11max_functorIxExEEDaPvRmT3_T4_T5_mT6_P12ihipStream_tbENKUlT_T0_E_clISt17integral_constantIbLb0EESW_IbLb1EEEEDaSS_ST_EUlSS_E0_NS1_11comp_targetILNS1_3genE10ELNS1_11target_archE1200ELNS1_3gpuE4ELNS1_3repE0EEENS1_30default_config_static_selectorELNS0_4arch9wavefront6targetE1EEEvT1_
                                        ; -- End function
	.section	.AMDGPU.csdata,"",@progbits
; Kernel info:
; codeLenInByte = 0
; NumSgprs: 4
; NumVgprs: 0
; NumAgprs: 0
; TotalNumVgprs: 0
; ScratchSize: 0
; MemoryBound: 0
; FloatMode: 240
; IeeeMode: 1
; LDSByteSize: 0 bytes/workgroup (compile time only)
; SGPRBlocks: 0
; VGPRBlocks: 0
; NumSGPRsForWavesPerEU: 4
; NumVGPRsForWavesPerEU: 1
; AccumOffset: 4
; Occupancy: 8
; WaveLimiterHint : 0
; COMPUTE_PGM_RSRC2:SCRATCH_EN: 0
; COMPUTE_PGM_RSRC2:USER_SGPR: 6
; COMPUTE_PGM_RSRC2:TRAP_HANDLER: 0
; COMPUTE_PGM_RSRC2:TGID_X_EN: 1
; COMPUTE_PGM_RSRC2:TGID_Y_EN: 0
; COMPUTE_PGM_RSRC2:TGID_Z_EN: 0
; COMPUTE_PGM_RSRC2:TIDIG_COMP_CNT: 0
; COMPUTE_PGM_RSRC3_GFX90A:ACCUM_OFFSET: 0
; COMPUTE_PGM_RSRC3_GFX90A:TG_SPLIT: 0
	.section	.text._ZN7rocprim17ROCPRIM_400000_NS6detail17trampoline_kernelINS0_14default_configENS1_20scan_config_selectorIxEEZZNS1_9scan_implILNS1_25lookback_scan_determinismE0ELb1ELb1ES3_N6thrust23THRUST_200600_302600_NS6detail15normal_iteratorINS9_10device_ptrIxEEEENS9_16discard_iteratorINS9_11use_defaultEEEx11max_functorIxExEEDaPvRmT3_T4_T5_mT6_P12ihipStream_tbENKUlT_T0_E_clISt17integral_constantIbLb0EESW_IbLb1EEEEDaSS_ST_EUlSS_E0_NS1_11comp_targetILNS1_3genE9ELNS1_11target_archE1100ELNS1_3gpuE3ELNS1_3repE0EEENS1_30default_config_static_selectorELNS0_4arch9wavefront6targetE1EEEvT1_,"axG",@progbits,_ZN7rocprim17ROCPRIM_400000_NS6detail17trampoline_kernelINS0_14default_configENS1_20scan_config_selectorIxEEZZNS1_9scan_implILNS1_25lookback_scan_determinismE0ELb1ELb1ES3_N6thrust23THRUST_200600_302600_NS6detail15normal_iteratorINS9_10device_ptrIxEEEENS9_16discard_iteratorINS9_11use_defaultEEEx11max_functorIxExEEDaPvRmT3_T4_T5_mT6_P12ihipStream_tbENKUlT_T0_E_clISt17integral_constantIbLb0EESW_IbLb1EEEEDaSS_ST_EUlSS_E0_NS1_11comp_targetILNS1_3genE9ELNS1_11target_archE1100ELNS1_3gpuE3ELNS1_3repE0EEENS1_30default_config_static_selectorELNS0_4arch9wavefront6targetE1EEEvT1_,comdat
	.protected	_ZN7rocprim17ROCPRIM_400000_NS6detail17trampoline_kernelINS0_14default_configENS1_20scan_config_selectorIxEEZZNS1_9scan_implILNS1_25lookback_scan_determinismE0ELb1ELb1ES3_N6thrust23THRUST_200600_302600_NS6detail15normal_iteratorINS9_10device_ptrIxEEEENS9_16discard_iteratorINS9_11use_defaultEEEx11max_functorIxExEEDaPvRmT3_T4_T5_mT6_P12ihipStream_tbENKUlT_T0_E_clISt17integral_constantIbLb0EESW_IbLb1EEEEDaSS_ST_EUlSS_E0_NS1_11comp_targetILNS1_3genE9ELNS1_11target_archE1100ELNS1_3gpuE3ELNS1_3repE0EEENS1_30default_config_static_selectorELNS0_4arch9wavefront6targetE1EEEvT1_ ; -- Begin function _ZN7rocprim17ROCPRIM_400000_NS6detail17trampoline_kernelINS0_14default_configENS1_20scan_config_selectorIxEEZZNS1_9scan_implILNS1_25lookback_scan_determinismE0ELb1ELb1ES3_N6thrust23THRUST_200600_302600_NS6detail15normal_iteratorINS9_10device_ptrIxEEEENS9_16discard_iteratorINS9_11use_defaultEEEx11max_functorIxExEEDaPvRmT3_T4_T5_mT6_P12ihipStream_tbENKUlT_T0_E_clISt17integral_constantIbLb0EESW_IbLb1EEEEDaSS_ST_EUlSS_E0_NS1_11comp_targetILNS1_3genE9ELNS1_11target_archE1100ELNS1_3gpuE3ELNS1_3repE0EEENS1_30default_config_static_selectorELNS0_4arch9wavefront6targetE1EEEvT1_
	.globl	_ZN7rocprim17ROCPRIM_400000_NS6detail17trampoline_kernelINS0_14default_configENS1_20scan_config_selectorIxEEZZNS1_9scan_implILNS1_25lookback_scan_determinismE0ELb1ELb1ES3_N6thrust23THRUST_200600_302600_NS6detail15normal_iteratorINS9_10device_ptrIxEEEENS9_16discard_iteratorINS9_11use_defaultEEEx11max_functorIxExEEDaPvRmT3_T4_T5_mT6_P12ihipStream_tbENKUlT_T0_E_clISt17integral_constantIbLb0EESW_IbLb1EEEEDaSS_ST_EUlSS_E0_NS1_11comp_targetILNS1_3genE9ELNS1_11target_archE1100ELNS1_3gpuE3ELNS1_3repE0EEENS1_30default_config_static_selectorELNS0_4arch9wavefront6targetE1EEEvT1_
	.p2align	8
	.type	_ZN7rocprim17ROCPRIM_400000_NS6detail17trampoline_kernelINS0_14default_configENS1_20scan_config_selectorIxEEZZNS1_9scan_implILNS1_25lookback_scan_determinismE0ELb1ELb1ES3_N6thrust23THRUST_200600_302600_NS6detail15normal_iteratorINS9_10device_ptrIxEEEENS9_16discard_iteratorINS9_11use_defaultEEEx11max_functorIxExEEDaPvRmT3_T4_T5_mT6_P12ihipStream_tbENKUlT_T0_E_clISt17integral_constantIbLb0EESW_IbLb1EEEEDaSS_ST_EUlSS_E0_NS1_11comp_targetILNS1_3genE9ELNS1_11target_archE1100ELNS1_3gpuE3ELNS1_3repE0EEENS1_30default_config_static_selectorELNS0_4arch9wavefront6targetE1EEEvT1_,@function
_ZN7rocprim17ROCPRIM_400000_NS6detail17trampoline_kernelINS0_14default_configENS1_20scan_config_selectorIxEEZZNS1_9scan_implILNS1_25lookback_scan_determinismE0ELb1ELb1ES3_N6thrust23THRUST_200600_302600_NS6detail15normal_iteratorINS9_10device_ptrIxEEEENS9_16discard_iteratorINS9_11use_defaultEEEx11max_functorIxExEEDaPvRmT3_T4_T5_mT6_P12ihipStream_tbENKUlT_T0_E_clISt17integral_constantIbLb0EESW_IbLb1EEEEDaSS_ST_EUlSS_E0_NS1_11comp_targetILNS1_3genE9ELNS1_11target_archE1100ELNS1_3gpuE3ELNS1_3repE0EEENS1_30default_config_static_selectorELNS0_4arch9wavefront6targetE1EEEvT1_: ; @_ZN7rocprim17ROCPRIM_400000_NS6detail17trampoline_kernelINS0_14default_configENS1_20scan_config_selectorIxEEZZNS1_9scan_implILNS1_25lookback_scan_determinismE0ELb1ELb1ES3_N6thrust23THRUST_200600_302600_NS6detail15normal_iteratorINS9_10device_ptrIxEEEENS9_16discard_iteratorINS9_11use_defaultEEEx11max_functorIxExEEDaPvRmT3_T4_T5_mT6_P12ihipStream_tbENKUlT_T0_E_clISt17integral_constantIbLb0EESW_IbLb1EEEEDaSS_ST_EUlSS_E0_NS1_11comp_targetILNS1_3genE9ELNS1_11target_archE1100ELNS1_3gpuE3ELNS1_3repE0EEENS1_30default_config_static_selectorELNS0_4arch9wavefront6targetE1EEEvT1_
; %bb.0:
	.section	.rodata,"a",@progbits
	.p2align	6, 0x0
	.amdhsa_kernel _ZN7rocprim17ROCPRIM_400000_NS6detail17trampoline_kernelINS0_14default_configENS1_20scan_config_selectorIxEEZZNS1_9scan_implILNS1_25lookback_scan_determinismE0ELb1ELb1ES3_N6thrust23THRUST_200600_302600_NS6detail15normal_iteratorINS9_10device_ptrIxEEEENS9_16discard_iteratorINS9_11use_defaultEEEx11max_functorIxExEEDaPvRmT3_T4_T5_mT6_P12ihipStream_tbENKUlT_T0_E_clISt17integral_constantIbLb0EESW_IbLb1EEEEDaSS_ST_EUlSS_E0_NS1_11comp_targetILNS1_3genE9ELNS1_11target_archE1100ELNS1_3gpuE3ELNS1_3repE0EEENS1_30default_config_static_selectorELNS0_4arch9wavefront6targetE1EEEvT1_
		.amdhsa_group_segment_fixed_size 0
		.amdhsa_private_segment_fixed_size 0
		.amdhsa_kernarg_size 48
		.amdhsa_user_sgpr_count 6
		.amdhsa_user_sgpr_private_segment_buffer 1
		.amdhsa_user_sgpr_dispatch_ptr 0
		.amdhsa_user_sgpr_queue_ptr 0
		.amdhsa_user_sgpr_kernarg_segment_ptr 1
		.amdhsa_user_sgpr_dispatch_id 0
		.amdhsa_user_sgpr_flat_scratch_init 0
		.amdhsa_user_sgpr_kernarg_preload_length 0
		.amdhsa_user_sgpr_kernarg_preload_offset 0
		.amdhsa_user_sgpr_private_segment_size 0
		.amdhsa_uses_dynamic_stack 0
		.amdhsa_system_sgpr_private_segment_wavefront_offset 0
		.amdhsa_system_sgpr_workgroup_id_x 1
		.amdhsa_system_sgpr_workgroup_id_y 0
		.amdhsa_system_sgpr_workgroup_id_z 0
		.amdhsa_system_sgpr_workgroup_info 0
		.amdhsa_system_vgpr_workitem_id 0
		.amdhsa_next_free_vgpr 1
		.amdhsa_next_free_sgpr 0
		.amdhsa_accum_offset 4
		.amdhsa_reserve_vcc 0
		.amdhsa_reserve_flat_scratch 0
		.amdhsa_float_round_mode_32 0
		.amdhsa_float_round_mode_16_64 0
		.amdhsa_float_denorm_mode_32 3
		.amdhsa_float_denorm_mode_16_64 3
		.amdhsa_dx10_clamp 1
		.amdhsa_ieee_mode 1
		.amdhsa_fp16_overflow 0
		.amdhsa_tg_split 0
		.amdhsa_exception_fp_ieee_invalid_op 0
		.amdhsa_exception_fp_denorm_src 0
		.amdhsa_exception_fp_ieee_div_zero 0
		.amdhsa_exception_fp_ieee_overflow 0
		.amdhsa_exception_fp_ieee_underflow 0
		.amdhsa_exception_fp_ieee_inexact 0
		.amdhsa_exception_int_div_zero 0
	.end_amdhsa_kernel
	.section	.text._ZN7rocprim17ROCPRIM_400000_NS6detail17trampoline_kernelINS0_14default_configENS1_20scan_config_selectorIxEEZZNS1_9scan_implILNS1_25lookback_scan_determinismE0ELb1ELb1ES3_N6thrust23THRUST_200600_302600_NS6detail15normal_iteratorINS9_10device_ptrIxEEEENS9_16discard_iteratorINS9_11use_defaultEEEx11max_functorIxExEEDaPvRmT3_T4_T5_mT6_P12ihipStream_tbENKUlT_T0_E_clISt17integral_constantIbLb0EESW_IbLb1EEEEDaSS_ST_EUlSS_E0_NS1_11comp_targetILNS1_3genE9ELNS1_11target_archE1100ELNS1_3gpuE3ELNS1_3repE0EEENS1_30default_config_static_selectorELNS0_4arch9wavefront6targetE1EEEvT1_,"axG",@progbits,_ZN7rocprim17ROCPRIM_400000_NS6detail17trampoline_kernelINS0_14default_configENS1_20scan_config_selectorIxEEZZNS1_9scan_implILNS1_25lookback_scan_determinismE0ELb1ELb1ES3_N6thrust23THRUST_200600_302600_NS6detail15normal_iteratorINS9_10device_ptrIxEEEENS9_16discard_iteratorINS9_11use_defaultEEEx11max_functorIxExEEDaPvRmT3_T4_T5_mT6_P12ihipStream_tbENKUlT_T0_E_clISt17integral_constantIbLb0EESW_IbLb1EEEEDaSS_ST_EUlSS_E0_NS1_11comp_targetILNS1_3genE9ELNS1_11target_archE1100ELNS1_3gpuE3ELNS1_3repE0EEENS1_30default_config_static_selectorELNS0_4arch9wavefront6targetE1EEEvT1_,comdat
.Lfunc_end3852:
	.size	_ZN7rocprim17ROCPRIM_400000_NS6detail17trampoline_kernelINS0_14default_configENS1_20scan_config_selectorIxEEZZNS1_9scan_implILNS1_25lookback_scan_determinismE0ELb1ELb1ES3_N6thrust23THRUST_200600_302600_NS6detail15normal_iteratorINS9_10device_ptrIxEEEENS9_16discard_iteratorINS9_11use_defaultEEEx11max_functorIxExEEDaPvRmT3_T4_T5_mT6_P12ihipStream_tbENKUlT_T0_E_clISt17integral_constantIbLb0EESW_IbLb1EEEEDaSS_ST_EUlSS_E0_NS1_11comp_targetILNS1_3genE9ELNS1_11target_archE1100ELNS1_3gpuE3ELNS1_3repE0EEENS1_30default_config_static_selectorELNS0_4arch9wavefront6targetE1EEEvT1_, .Lfunc_end3852-_ZN7rocprim17ROCPRIM_400000_NS6detail17trampoline_kernelINS0_14default_configENS1_20scan_config_selectorIxEEZZNS1_9scan_implILNS1_25lookback_scan_determinismE0ELb1ELb1ES3_N6thrust23THRUST_200600_302600_NS6detail15normal_iteratorINS9_10device_ptrIxEEEENS9_16discard_iteratorINS9_11use_defaultEEEx11max_functorIxExEEDaPvRmT3_T4_T5_mT6_P12ihipStream_tbENKUlT_T0_E_clISt17integral_constantIbLb0EESW_IbLb1EEEEDaSS_ST_EUlSS_E0_NS1_11comp_targetILNS1_3genE9ELNS1_11target_archE1100ELNS1_3gpuE3ELNS1_3repE0EEENS1_30default_config_static_selectorELNS0_4arch9wavefront6targetE1EEEvT1_
                                        ; -- End function
	.section	.AMDGPU.csdata,"",@progbits
; Kernel info:
; codeLenInByte = 0
; NumSgprs: 4
; NumVgprs: 0
; NumAgprs: 0
; TotalNumVgprs: 0
; ScratchSize: 0
; MemoryBound: 0
; FloatMode: 240
; IeeeMode: 1
; LDSByteSize: 0 bytes/workgroup (compile time only)
; SGPRBlocks: 0
; VGPRBlocks: 0
; NumSGPRsForWavesPerEU: 4
; NumVGPRsForWavesPerEU: 1
; AccumOffset: 4
; Occupancy: 8
; WaveLimiterHint : 0
; COMPUTE_PGM_RSRC2:SCRATCH_EN: 0
; COMPUTE_PGM_RSRC2:USER_SGPR: 6
; COMPUTE_PGM_RSRC2:TRAP_HANDLER: 0
; COMPUTE_PGM_RSRC2:TGID_X_EN: 1
; COMPUTE_PGM_RSRC2:TGID_Y_EN: 0
; COMPUTE_PGM_RSRC2:TGID_Z_EN: 0
; COMPUTE_PGM_RSRC2:TIDIG_COMP_CNT: 0
; COMPUTE_PGM_RSRC3_GFX90A:ACCUM_OFFSET: 0
; COMPUTE_PGM_RSRC3_GFX90A:TG_SPLIT: 0
	.section	.text._ZN7rocprim17ROCPRIM_400000_NS6detail17trampoline_kernelINS0_14default_configENS1_20scan_config_selectorIxEEZZNS1_9scan_implILNS1_25lookback_scan_determinismE0ELb1ELb1ES3_N6thrust23THRUST_200600_302600_NS6detail15normal_iteratorINS9_10device_ptrIxEEEENS9_16discard_iteratorINS9_11use_defaultEEEx11max_functorIxExEEDaPvRmT3_T4_T5_mT6_P12ihipStream_tbENKUlT_T0_E_clISt17integral_constantIbLb0EESW_IbLb1EEEEDaSS_ST_EUlSS_E0_NS1_11comp_targetILNS1_3genE8ELNS1_11target_archE1030ELNS1_3gpuE2ELNS1_3repE0EEENS1_30default_config_static_selectorELNS0_4arch9wavefront6targetE1EEEvT1_,"axG",@progbits,_ZN7rocprim17ROCPRIM_400000_NS6detail17trampoline_kernelINS0_14default_configENS1_20scan_config_selectorIxEEZZNS1_9scan_implILNS1_25lookback_scan_determinismE0ELb1ELb1ES3_N6thrust23THRUST_200600_302600_NS6detail15normal_iteratorINS9_10device_ptrIxEEEENS9_16discard_iteratorINS9_11use_defaultEEEx11max_functorIxExEEDaPvRmT3_T4_T5_mT6_P12ihipStream_tbENKUlT_T0_E_clISt17integral_constantIbLb0EESW_IbLb1EEEEDaSS_ST_EUlSS_E0_NS1_11comp_targetILNS1_3genE8ELNS1_11target_archE1030ELNS1_3gpuE2ELNS1_3repE0EEENS1_30default_config_static_selectorELNS0_4arch9wavefront6targetE1EEEvT1_,comdat
	.protected	_ZN7rocprim17ROCPRIM_400000_NS6detail17trampoline_kernelINS0_14default_configENS1_20scan_config_selectorIxEEZZNS1_9scan_implILNS1_25lookback_scan_determinismE0ELb1ELb1ES3_N6thrust23THRUST_200600_302600_NS6detail15normal_iteratorINS9_10device_ptrIxEEEENS9_16discard_iteratorINS9_11use_defaultEEEx11max_functorIxExEEDaPvRmT3_T4_T5_mT6_P12ihipStream_tbENKUlT_T0_E_clISt17integral_constantIbLb0EESW_IbLb1EEEEDaSS_ST_EUlSS_E0_NS1_11comp_targetILNS1_3genE8ELNS1_11target_archE1030ELNS1_3gpuE2ELNS1_3repE0EEENS1_30default_config_static_selectorELNS0_4arch9wavefront6targetE1EEEvT1_ ; -- Begin function _ZN7rocprim17ROCPRIM_400000_NS6detail17trampoline_kernelINS0_14default_configENS1_20scan_config_selectorIxEEZZNS1_9scan_implILNS1_25lookback_scan_determinismE0ELb1ELb1ES3_N6thrust23THRUST_200600_302600_NS6detail15normal_iteratorINS9_10device_ptrIxEEEENS9_16discard_iteratorINS9_11use_defaultEEEx11max_functorIxExEEDaPvRmT3_T4_T5_mT6_P12ihipStream_tbENKUlT_T0_E_clISt17integral_constantIbLb0EESW_IbLb1EEEEDaSS_ST_EUlSS_E0_NS1_11comp_targetILNS1_3genE8ELNS1_11target_archE1030ELNS1_3gpuE2ELNS1_3repE0EEENS1_30default_config_static_selectorELNS0_4arch9wavefront6targetE1EEEvT1_
	.globl	_ZN7rocprim17ROCPRIM_400000_NS6detail17trampoline_kernelINS0_14default_configENS1_20scan_config_selectorIxEEZZNS1_9scan_implILNS1_25lookback_scan_determinismE0ELb1ELb1ES3_N6thrust23THRUST_200600_302600_NS6detail15normal_iteratorINS9_10device_ptrIxEEEENS9_16discard_iteratorINS9_11use_defaultEEEx11max_functorIxExEEDaPvRmT3_T4_T5_mT6_P12ihipStream_tbENKUlT_T0_E_clISt17integral_constantIbLb0EESW_IbLb1EEEEDaSS_ST_EUlSS_E0_NS1_11comp_targetILNS1_3genE8ELNS1_11target_archE1030ELNS1_3gpuE2ELNS1_3repE0EEENS1_30default_config_static_selectorELNS0_4arch9wavefront6targetE1EEEvT1_
	.p2align	8
	.type	_ZN7rocprim17ROCPRIM_400000_NS6detail17trampoline_kernelINS0_14default_configENS1_20scan_config_selectorIxEEZZNS1_9scan_implILNS1_25lookback_scan_determinismE0ELb1ELb1ES3_N6thrust23THRUST_200600_302600_NS6detail15normal_iteratorINS9_10device_ptrIxEEEENS9_16discard_iteratorINS9_11use_defaultEEEx11max_functorIxExEEDaPvRmT3_T4_T5_mT6_P12ihipStream_tbENKUlT_T0_E_clISt17integral_constantIbLb0EESW_IbLb1EEEEDaSS_ST_EUlSS_E0_NS1_11comp_targetILNS1_3genE8ELNS1_11target_archE1030ELNS1_3gpuE2ELNS1_3repE0EEENS1_30default_config_static_selectorELNS0_4arch9wavefront6targetE1EEEvT1_,@function
_ZN7rocprim17ROCPRIM_400000_NS6detail17trampoline_kernelINS0_14default_configENS1_20scan_config_selectorIxEEZZNS1_9scan_implILNS1_25lookback_scan_determinismE0ELb1ELb1ES3_N6thrust23THRUST_200600_302600_NS6detail15normal_iteratorINS9_10device_ptrIxEEEENS9_16discard_iteratorINS9_11use_defaultEEEx11max_functorIxExEEDaPvRmT3_T4_T5_mT6_P12ihipStream_tbENKUlT_T0_E_clISt17integral_constantIbLb0EESW_IbLb1EEEEDaSS_ST_EUlSS_E0_NS1_11comp_targetILNS1_3genE8ELNS1_11target_archE1030ELNS1_3gpuE2ELNS1_3repE0EEENS1_30default_config_static_selectorELNS0_4arch9wavefront6targetE1EEEvT1_: ; @_ZN7rocprim17ROCPRIM_400000_NS6detail17trampoline_kernelINS0_14default_configENS1_20scan_config_selectorIxEEZZNS1_9scan_implILNS1_25lookback_scan_determinismE0ELb1ELb1ES3_N6thrust23THRUST_200600_302600_NS6detail15normal_iteratorINS9_10device_ptrIxEEEENS9_16discard_iteratorINS9_11use_defaultEEEx11max_functorIxExEEDaPvRmT3_T4_T5_mT6_P12ihipStream_tbENKUlT_T0_E_clISt17integral_constantIbLb0EESW_IbLb1EEEEDaSS_ST_EUlSS_E0_NS1_11comp_targetILNS1_3genE8ELNS1_11target_archE1030ELNS1_3gpuE2ELNS1_3repE0EEENS1_30default_config_static_selectorELNS0_4arch9wavefront6targetE1EEEvT1_
; %bb.0:
	.section	.rodata,"a",@progbits
	.p2align	6, 0x0
	.amdhsa_kernel _ZN7rocprim17ROCPRIM_400000_NS6detail17trampoline_kernelINS0_14default_configENS1_20scan_config_selectorIxEEZZNS1_9scan_implILNS1_25lookback_scan_determinismE0ELb1ELb1ES3_N6thrust23THRUST_200600_302600_NS6detail15normal_iteratorINS9_10device_ptrIxEEEENS9_16discard_iteratorINS9_11use_defaultEEEx11max_functorIxExEEDaPvRmT3_T4_T5_mT6_P12ihipStream_tbENKUlT_T0_E_clISt17integral_constantIbLb0EESW_IbLb1EEEEDaSS_ST_EUlSS_E0_NS1_11comp_targetILNS1_3genE8ELNS1_11target_archE1030ELNS1_3gpuE2ELNS1_3repE0EEENS1_30default_config_static_selectorELNS0_4arch9wavefront6targetE1EEEvT1_
		.amdhsa_group_segment_fixed_size 0
		.amdhsa_private_segment_fixed_size 0
		.amdhsa_kernarg_size 48
		.amdhsa_user_sgpr_count 6
		.amdhsa_user_sgpr_private_segment_buffer 1
		.amdhsa_user_sgpr_dispatch_ptr 0
		.amdhsa_user_sgpr_queue_ptr 0
		.amdhsa_user_sgpr_kernarg_segment_ptr 1
		.amdhsa_user_sgpr_dispatch_id 0
		.amdhsa_user_sgpr_flat_scratch_init 0
		.amdhsa_user_sgpr_kernarg_preload_length 0
		.amdhsa_user_sgpr_kernarg_preload_offset 0
		.amdhsa_user_sgpr_private_segment_size 0
		.amdhsa_uses_dynamic_stack 0
		.amdhsa_system_sgpr_private_segment_wavefront_offset 0
		.amdhsa_system_sgpr_workgroup_id_x 1
		.amdhsa_system_sgpr_workgroup_id_y 0
		.amdhsa_system_sgpr_workgroup_id_z 0
		.amdhsa_system_sgpr_workgroup_info 0
		.amdhsa_system_vgpr_workitem_id 0
		.amdhsa_next_free_vgpr 1
		.amdhsa_next_free_sgpr 0
		.amdhsa_accum_offset 4
		.amdhsa_reserve_vcc 0
		.amdhsa_reserve_flat_scratch 0
		.amdhsa_float_round_mode_32 0
		.amdhsa_float_round_mode_16_64 0
		.amdhsa_float_denorm_mode_32 3
		.amdhsa_float_denorm_mode_16_64 3
		.amdhsa_dx10_clamp 1
		.amdhsa_ieee_mode 1
		.amdhsa_fp16_overflow 0
		.amdhsa_tg_split 0
		.amdhsa_exception_fp_ieee_invalid_op 0
		.amdhsa_exception_fp_denorm_src 0
		.amdhsa_exception_fp_ieee_div_zero 0
		.amdhsa_exception_fp_ieee_overflow 0
		.amdhsa_exception_fp_ieee_underflow 0
		.amdhsa_exception_fp_ieee_inexact 0
		.amdhsa_exception_int_div_zero 0
	.end_amdhsa_kernel
	.section	.text._ZN7rocprim17ROCPRIM_400000_NS6detail17trampoline_kernelINS0_14default_configENS1_20scan_config_selectorIxEEZZNS1_9scan_implILNS1_25lookback_scan_determinismE0ELb1ELb1ES3_N6thrust23THRUST_200600_302600_NS6detail15normal_iteratorINS9_10device_ptrIxEEEENS9_16discard_iteratorINS9_11use_defaultEEEx11max_functorIxExEEDaPvRmT3_T4_T5_mT6_P12ihipStream_tbENKUlT_T0_E_clISt17integral_constantIbLb0EESW_IbLb1EEEEDaSS_ST_EUlSS_E0_NS1_11comp_targetILNS1_3genE8ELNS1_11target_archE1030ELNS1_3gpuE2ELNS1_3repE0EEENS1_30default_config_static_selectorELNS0_4arch9wavefront6targetE1EEEvT1_,"axG",@progbits,_ZN7rocprim17ROCPRIM_400000_NS6detail17trampoline_kernelINS0_14default_configENS1_20scan_config_selectorIxEEZZNS1_9scan_implILNS1_25lookback_scan_determinismE0ELb1ELb1ES3_N6thrust23THRUST_200600_302600_NS6detail15normal_iteratorINS9_10device_ptrIxEEEENS9_16discard_iteratorINS9_11use_defaultEEEx11max_functorIxExEEDaPvRmT3_T4_T5_mT6_P12ihipStream_tbENKUlT_T0_E_clISt17integral_constantIbLb0EESW_IbLb1EEEEDaSS_ST_EUlSS_E0_NS1_11comp_targetILNS1_3genE8ELNS1_11target_archE1030ELNS1_3gpuE2ELNS1_3repE0EEENS1_30default_config_static_selectorELNS0_4arch9wavefront6targetE1EEEvT1_,comdat
.Lfunc_end3853:
	.size	_ZN7rocprim17ROCPRIM_400000_NS6detail17trampoline_kernelINS0_14default_configENS1_20scan_config_selectorIxEEZZNS1_9scan_implILNS1_25lookback_scan_determinismE0ELb1ELb1ES3_N6thrust23THRUST_200600_302600_NS6detail15normal_iteratorINS9_10device_ptrIxEEEENS9_16discard_iteratorINS9_11use_defaultEEEx11max_functorIxExEEDaPvRmT3_T4_T5_mT6_P12ihipStream_tbENKUlT_T0_E_clISt17integral_constantIbLb0EESW_IbLb1EEEEDaSS_ST_EUlSS_E0_NS1_11comp_targetILNS1_3genE8ELNS1_11target_archE1030ELNS1_3gpuE2ELNS1_3repE0EEENS1_30default_config_static_selectorELNS0_4arch9wavefront6targetE1EEEvT1_, .Lfunc_end3853-_ZN7rocprim17ROCPRIM_400000_NS6detail17trampoline_kernelINS0_14default_configENS1_20scan_config_selectorIxEEZZNS1_9scan_implILNS1_25lookback_scan_determinismE0ELb1ELb1ES3_N6thrust23THRUST_200600_302600_NS6detail15normal_iteratorINS9_10device_ptrIxEEEENS9_16discard_iteratorINS9_11use_defaultEEEx11max_functorIxExEEDaPvRmT3_T4_T5_mT6_P12ihipStream_tbENKUlT_T0_E_clISt17integral_constantIbLb0EESW_IbLb1EEEEDaSS_ST_EUlSS_E0_NS1_11comp_targetILNS1_3genE8ELNS1_11target_archE1030ELNS1_3gpuE2ELNS1_3repE0EEENS1_30default_config_static_selectorELNS0_4arch9wavefront6targetE1EEEvT1_
                                        ; -- End function
	.section	.AMDGPU.csdata,"",@progbits
; Kernel info:
; codeLenInByte = 0
; NumSgprs: 4
; NumVgprs: 0
; NumAgprs: 0
; TotalNumVgprs: 0
; ScratchSize: 0
; MemoryBound: 0
; FloatMode: 240
; IeeeMode: 1
; LDSByteSize: 0 bytes/workgroup (compile time only)
; SGPRBlocks: 0
; VGPRBlocks: 0
; NumSGPRsForWavesPerEU: 4
; NumVGPRsForWavesPerEU: 1
; AccumOffset: 4
; Occupancy: 8
; WaveLimiterHint : 0
; COMPUTE_PGM_RSRC2:SCRATCH_EN: 0
; COMPUTE_PGM_RSRC2:USER_SGPR: 6
; COMPUTE_PGM_RSRC2:TRAP_HANDLER: 0
; COMPUTE_PGM_RSRC2:TGID_X_EN: 1
; COMPUTE_PGM_RSRC2:TGID_Y_EN: 0
; COMPUTE_PGM_RSRC2:TGID_Z_EN: 0
; COMPUTE_PGM_RSRC2:TIDIG_COMP_CNT: 0
; COMPUTE_PGM_RSRC3_GFX90A:ACCUM_OFFSET: 0
; COMPUTE_PGM_RSRC3_GFX90A:TG_SPLIT: 0
	.section	.text._ZN7rocprim17ROCPRIM_400000_NS6detail17trampoline_kernelINS0_14default_configENS1_20scan_config_selectorIiEEZZNS1_9scan_implILNS1_25lookback_scan_determinismE0ELb0ELb0ES3_N6thrust23THRUST_200600_302600_NS6detail15normal_iteratorINS9_10device_ptrIiEEEENS9_16discard_iteratorINS9_11use_defaultEEEi11max_functorIiEiEEDaPvRmT3_T4_T5_mT6_P12ihipStream_tbENKUlT_T0_E_clISt17integral_constantIbLb0EESX_EEDaSS_ST_EUlSS_E_NS1_11comp_targetILNS1_3genE0ELNS1_11target_archE4294967295ELNS1_3gpuE0ELNS1_3repE0EEENS1_30default_config_static_selectorELNS0_4arch9wavefront6targetE1EEEvT1_,"axG",@progbits,_ZN7rocprim17ROCPRIM_400000_NS6detail17trampoline_kernelINS0_14default_configENS1_20scan_config_selectorIiEEZZNS1_9scan_implILNS1_25lookback_scan_determinismE0ELb0ELb0ES3_N6thrust23THRUST_200600_302600_NS6detail15normal_iteratorINS9_10device_ptrIiEEEENS9_16discard_iteratorINS9_11use_defaultEEEi11max_functorIiEiEEDaPvRmT3_T4_T5_mT6_P12ihipStream_tbENKUlT_T0_E_clISt17integral_constantIbLb0EESX_EEDaSS_ST_EUlSS_E_NS1_11comp_targetILNS1_3genE0ELNS1_11target_archE4294967295ELNS1_3gpuE0ELNS1_3repE0EEENS1_30default_config_static_selectorELNS0_4arch9wavefront6targetE1EEEvT1_,comdat
	.protected	_ZN7rocprim17ROCPRIM_400000_NS6detail17trampoline_kernelINS0_14default_configENS1_20scan_config_selectorIiEEZZNS1_9scan_implILNS1_25lookback_scan_determinismE0ELb0ELb0ES3_N6thrust23THRUST_200600_302600_NS6detail15normal_iteratorINS9_10device_ptrIiEEEENS9_16discard_iteratorINS9_11use_defaultEEEi11max_functorIiEiEEDaPvRmT3_T4_T5_mT6_P12ihipStream_tbENKUlT_T0_E_clISt17integral_constantIbLb0EESX_EEDaSS_ST_EUlSS_E_NS1_11comp_targetILNS1_3genE0ELNS1_11target_archE4294967295ELNS1_3gpuE0ELNS1_3repE0EEENS1_30default_config_static_selectorELNS0_4arch9wavefront6targetE1EEEvT1_ ; -- Begin function _ZN7rocprim17ROCPRIM_400000_NS6detail17trampoline_kernelINS0_14default_configENS1_20scan_config_selectorIiEEZZNS1_9scan_implILNS1_25lookback_scan_determinismE0ELb0ELb0ES3_N6thrust23THRUST_200600_302600_NS6detail15normal_iteratorINS9_10device_ptrIiEEEENS9_16discard_iteratorINS9_11use_defaultEEEi11max_functorIiEiEEDaPvRmT3_T4_T5_mT6_P12ihipStream_tbENKUlT_T0_E_clISt17integral_constantIbLb0EESX_EEDaSS_ST_EUlSS_E_NS1_11comp_targetILNS1_3genE0ELNS1_11target_archE4294967295ELNS1_3gpuE0ELNS1_3repE0EEENS1_30default_config_static_selectorELNS0_4arch9wavefront6targetE1EEEvT1_
	.globl	_ZN7rocprim17ROCPRIM_400000_NS6detail17trampoline_kernelINS0_14default_configENS1_20scan_config_selectorIiEEZZNS1_9scan_implILNS1_25lookback_scan_determinismE0ELb0ELb0ES3_N6thrust23THRUST_200600_302600_NS6detail15normal_iteratorINS9_10device_ptrIiEEEENS9_16discard_iteratorINS9_11use_defaultEEEi11max_functorIiEiEEDaPvRmT3_T4_T5_mT6_P12ihipStream_tbENKUlT_T0_E_clISt17integral_constantIbLb0EESX_EEDaSS_ST_EUlSS_E_NS1_11comp_targetILNS1_3genE0ELNS1_11target_archE4294967295ELNS1_3gpuE0ELNS1_3repE0EEENS1_30default_config_static_selectorELNS0_4arch9wavefront6targetE1EEEvT1_
	.p2align	8
	.type	_ZN7rocprim17ROCPRIM_400000_NS6detail17trampoline_kernelINS0_14default_configENS1_20scan_config_selectorIiEEZZNS1_9scan_implILNS1_25lookback_scan_determinismE0ELb0ELb0ES3_N6thrust23THRUST_200600_302600_NS6detail15normal_iteratorINS9_10device_ptrIiEEEENS9_16discard_iteratorINS9_11use_defaultEEEi11max_functorIiEiEEDaPvRmT3_T4_T5_mT6_P12ihipStream_tbENKUlT_T0_E_clISt17integral_constantIbLb0EESX_EEDaSS_ST_EUlSS_E_NS1_11comp_targetILNS1_3genE0ELNS1_11target_archE4294967295ELNS1_3gpuE0ELNS1_3repE0EEENS1_30default_config_static_selectorELNS0_4arch9wavefront6targetE1EEEvT1_,@function
_ZN7rocprim17ROCPRIM_400000_NS6detail17trampoline_kernelINS0_14default_configENS1_20scan_config_selectorIiEEZZNS1_9scan_implILNS1_25lookback_scan_determinismE0ELb0ELb0ES3_N6thrust23THRUST_200600_302600_NS6detail15normal_iteratorINS9_10device_ptrIiEEEENS9_16discard_iteratorINS9_11use_defaultEEEi11max_functorIiEiEEDaPvRmT3_T4_T5_mT6_P12ihipStream_tbENKUlT_T0_E_clISt17integral_constantIbLb0EESX_EEDaSS_ST_EUlSS_E_NS1_11comp_targetILNS1_3genE0ELNS1_11target_archE4294967295ELNS1_3gpuE0ELNS1_3repE0EEENS1_30default_config_static_selectorELNS0_4arch9wavefront6targetE1EEEvT1_: ; @_ZN7rocprim17ROCPRIM_400000_NS6detail17trampoline_kernelINS0_14default_configENS1_20scan_config_selectorIiEEZZNS1_9scan_implILNS1_25lookback_scan_determinismE0ELb0ELb0ES3_N6thrust23THRUST_200600_302600_NS6detail15normal_iteratorINS9_10device_ptrIiEEEENS9_16discard_iteratorINS9_11use_defaultEEEi11max_functorIiEiEEDaPvRmT3_T4_T5_mT6_P12ihipStream_tbENKUlT_T0_E_clISt17integral_constantIbLb0EESX_EEDaSS_ST_EUlSS_E_NS1_11comp_targetILNS1_3genE0ELNS1_11target_archE4294967295ELNS1_3gpuE0ELNS1_3repE0EEENS1_30default_config_static_selectorELNS0_4arch9wavefront6targetE1EEEvT1_
; %bb.0:
	.section	.rodata,"a",@progbits
	.p2align	6, 0x0
	.amdhsa_kernel _ZN7rocprim17ROCPRIM_400000_NS6detail17trampoline_kernelINS0_14default_configENS1_20scan_config_selectorIiEEZZNS1_9scan_implILNS1_25lookback_scan_determinismE0ELb0ELb0ES3_N6thrust23THRUST_200600_302600_NS6detail15normal_iteratorINS9_10device_ptrIiEEEENS9_16discard_iteratorINS9_11use_defaultEEEi11max_functorIiEiEEDaPvRmT3_T4_T5_mT6_P12ihipStream_tbENKUlT_T0_E_clISt17integral_constantIbLb0EESX_EEDaSS_ST_EUlSS_E_NS1_11comp_targetILNS1_3genE0ELNS1_11target_archE4294967295ELNS1_3gpuE0ELNS1_3repE0EEENS1_30default_config_static_selectorELNS0_4arch9wavefront6targetE1EEEvT1_
		.amdhsa_group_segment_fixed_size 0
		.amdhsa_private_segment_fixed_size 0
		.amdhsa_kernarg_size 104
		.amdhsa_user_sgpr_count 6
		.amdhsa_user_sgpr_private_segment_buffer 1
		.amdhsa_user_sgpr_dispatch_ptr 0
		.amdhsa_user_sgpr_queue_ptr 0
		.amdhsa_user_sgpr_kernarg_segment_ptr 1
		.amdhsa_user_sgpr_dispatch_id 0
		.amdhsa_user_sgpr_flat_scratch_init 0
		.amdhsa_user_sgpr_kernarg_preload_length 0
		.amdhsa_user_sgpr_kernarg_preload_offset 0
		.amdhsa_user_sgpr_private_segment_size 0
		.amdhsa_uses_dynamic_stack 0
		.amdhsa_system_sgpr_private_segment_wavefront_offset 0
		.amdhsa_system_sgpr_workgroup_id_x 1
		.amdhsa_system_sgpr_workgroup_id_y 0
		.amdhsa_system_sgpr_workgroup_id_z 0
		.amdhsa_system_sgpr_workgroup_info 0
		.amdhsa_system_vgpr_workitem_id 0
		.amdhsa_next_free_vgpr 1
		.amdhsa_next_free_sgpr 0
		.amdhsa_accum_offset 4
		.amdhsa_reserve_vcc 0
		.amdhsa_reserve_flat_scratch 0
		.amdhsa_float_round_mode_32 0
		.amdhsa_float_round_mode_16_64 0
		.amdhsa_float_denorm_mode_32 3
		.amdhsa_float_denorm_mode_16_64 3
		.amdhsa_dx10_clamp 1
		.amdhsa_ieee_mode 1
		.amdhsa_fp16_overflow 0
		.amdhsa_tg_split 0
		.amdhsa_exception_fp_ieee_invalid_op 0
		.amdhsa_exception_fp_denorm_src 0
		.amdhsa_exception_fp_ieee_div_zero 0
		.amdhsa_exception_fp_ieee_overflow 0
		.amdhsa_exception_fp_ieee_underflow 0
		.amdhsa_exception_fp_ieee_inexact 0
		.amdhsa_exception_int_div_zero 0
	.end_amdhsa_kernel
	.section	.text._ZN7rocprim17ROCPRIM_400000_NS6detail17trampoline_kernelINS0_14default_configENS1_20scan_config_selectorIiEEZZNS1_9scan_implILNS1_25lookback_scan_determinismE0ELb0ELb0ES3_N6thrust23THRUST_200600_302600_NS6detail15normal_iteratorINS9_10device_ptrIiEEEENS9_16discard_iteratorINS9_11use_defaultEEEi11max_functorIiEiEEDaPvRmT3_T4_T5_mT6_P12ihipStream_tbENKUlT_T0_E_clISt17integral_constantIbLb0EESX_EEDaSS_ST_EUlSS_E_NS1_11comp_targetILNS1_3genE0ELNS1_11target_archE4294967295ELNS1_3gpuE0ELNS1_3repE0EEENS1_30default_config_static_selectorELNS0_4arch9wavefront6targetE1EEEvT1_,"axG",@progbits,_ZN7rocprim17ROCPRIM_400000_NS6detail17trampoline_kernelINS0_14default_configENS1_20scan_config_selectorIiEEZZNS1_9scan_implILNS1_25lookback_scan_determinismE0ELb0ELb0ES3_N6thrust23THRUST_200600_302600_NS6detail15normal_iteratorINS9_10device_ptrIiEEEENS9_16discard_iteratorINS9_11use_defaultEEEi11max_functorIiEiEEDaPvRmT3_T4_T5_mT6_P12ihipStream_tbENKUlT_T0_E_clISt17integral_constantIbLb0EESX_EEDaSS_ST_EUlSS_E_NS1_11comp_targetILNS1_3genE0ELNS1_11target_archE4294967295ELNS1_3gpuE0ELNS1_3repE0EEENS1_30default_config_static_selectorELNS0_4arch9wavefront6targetE1EEEvT1_,comdat
.Lfunc_end3854:
	.size	_ZN7rocprim17ROCPRIM_400000_NS6detail17trampoline_kernelINS0_14default_configENS1_20scan_config_selectorIiEEZZNS1_9scan_implILNS1_25lookback_scan_determinismE0ELb0ELb0ES3_N6thrust23THRUST_200600_302600_NS6detail15normal_iteratorINS9_10device_ptrIiEEEENS9_16discard_iteratorINS9_11use_defaultEEEi11max_functorIiEiEEDaPvRmT3_T4_T5_mT6_P12ihipStream_tbENKUlT_T0_E_clISt17integral_constantIbLb0EESX_EEDaSS_ST_EUlSS_E_NS1_11comp_targetILNS1_3genE0ELNS1_11target_archE4294967295ELNS1_3gpuE0ELNS1_3repE0EEENS1_30default_config_static_selectorELNS0_4arch9wavefront6targetE1EEEvT1_, .Lfunc_end3854-_ZN7rocprim17ROCPRIM_400000_NS6detail17trampoline_kernelINS0_14default_configENS1_20scan_config_selectorIiEEZZNS1_9scan_implILNS1_25lookback_scan_determinismE0ELb0ELb0ES3_N6thrust23THRUST_200600_302600_NS6detail15normal_iteratorINS9_10device_ptrIiEEEENS9_16discard_iteratorINS9_11use_defaultEEEi11max_functorIiEiEEDaPvRmT3_T4_T5_mT6_P12ihipStream_tbENKUlT_T0_E_clISt17integral_constantIbLb0EESX_EEDaSS_ST_EUlSS_E_NS1_11comp_targetILNS1_3genE0ELNS1_11target_archE4294967295ELNS1_3gpuE0ELNS1_3repE0EEENS1_30default_config_static_selectorELNS0_4arch9wavefront6targetE1EEEvT1_
                                        ; -- End function
	.section	.AMDGPU.csdata,"",@progbits
; Kernel info:
; codeLenInByte = 0
; NumSgprs: 4
; NumVgprs: 0
; NumAgprs: 0
; TotalNumVgprs: 0
; ScratchSize: 0
; MemoryBound: 0
; FloatMode: 240
; IeeeMode: 1
; LDSByteSize: 0 bytes/workgroup (compile time only)
; SGPRBlocks: 0
; VGPRBlocks: 0
; NumSGPRsForWavesPerEU: 4
; NumVGPRsForWavesPerEU: 1
; AccumOffset: 4
; Occupancy: 8
; WaveLimiterHint : 0
; COMPUTE_PGM_RSRC2:SCRATCH_EN: 0
; COMPUTE_PGM_RSRC2:USER_SGPR: 6
; COMPUTE_PGM_RSRC2:TRAP_HANDLER: 0
; COMPUTE_PGM_RSRC2:TGID_X_EN: 1
; COMPUTE_PGM_RSRC2:TGID_Y_EN: 0
; COMPUTE_PGM_RSRC2:TGID_Z_EN: 0
; COMPUTE_PGM_RSRC2:TIDIG_COMP_CNT: 0
; COMPUTE_PGM_RSRC3_GFX90A:ACCUM_OFFSET: 0
; COMPUTE_PGM_RSRC3_GFX90A:TG_SPLIT: 0
	.section	.text._ZN7rocprim17ROCPRIM_400000_NS6detail17trampoline_kernelINS0_14default_configENS1_20scan_config_selectorIiEEZZNS1_9scan_implILNS1_25lookback_scan_determinismE0ELb0ELb0ES3_N6thrust23THRUST_200600_302600_NS6detail15normal_iteratorINS9_10device_ptrIiEEEENS9_16discard_iteratorINS9_11use_defaultEEEi11max_functorIiEiEEDaPvRmT3_T4_T5_mT6_P12ihipStream_tbENKUlT_T0_E_clISt17integral_constantIbLb0EESX_EEDaSS_ST_EUlSS_E_NS1_11comp_targetILNS1_3genE5ELNS1_11target_archE942ELNS1_3gpuE9ELNS1_3repE0EEENS1_30default_config_static_selectorELNS0_4arch9wavefront6targetE1EEEvT1_,"axG",@progbits,_ZN7rocprim17ROCPRIM_400000_NS6detail17trampoline_kernelINS0_14default_configENS1_20scan_config_selectorIiEEZZNS1_9scan_implILNS1_25lookback_scan_determinismE0ELb0ELb0ES3_N6thrust23THRUST_200600_302600_NS6detail15normal_iteratorINS9_10device_ptrIiEEEENS9_16discard_iteratorINS9_11use_defaultEEEi11max_functorIiEiEEDaPvRmT3_T4_T5_mT6_P12ihipStream_tbENKUlT_T0_E_clISt17integral_constantIbLb0EESX_EEDaSS_ST_EUlSS_E_NS1_11comp_targetILNS1_3genE5ELNS1_11target_archE942ELNS1_3gpuE9ELNS1_3repE0EEENS1_30default_config_static_selectorELNS0_4arch9wavefront6targetE1EEEvT1_,comdat
	.protected	_ZN7rocprim17ROCPRIM_400000_NS6detail17trampoline_kernelINS0_14default_configENS1_20scan_config_selectorIiEEZZNS1_9scan_implILNS1_25lookback_scan_determinismE0ELb0ELb0ES3_N6thrust23THRUST_200600_302600_NS6detail15normal_iteratorINS9_10device_ptrIiEEEENS9_16discard_iteratorINS9_11use_defaultEEEi11max_functorIiEiEEDaPvRmT3_T4_T5_mT6_P12ihipStream_tbENKUlT_T0_E_clISt17integral_constantIbLb0EESX_EEDaSS_ST_EUlSS_E_NS1_11comp_targetILNS1_3genE5ELNS1_11target_archE942ELNS1_3gpuE9ELNS1_3repE0EEENS1_30default_config_static_selectorELNS0_4arch9wavefront6targetE1EEEvT1_ ; -- Begin function _ZN7rocprim17ROCPRIM_400000_NS6detail17trampoline_kernelINS0_14default_configENS1_20scan_config_selectorIiEEZZNS1_9scan_implILNS1_25lookback_scan_determinismE0ELb0ELb0ES3_N6thrust23THRUST_200600_302600_NS6detail15normal_iteratorINS9_10device_ptrIiEEEENS9_16discard_iteratorINS9_11use_defaultEEEi11max_functorIiEiEEDaPvRmT3_T4_T5_mT6_P12ihipStream_tbENKUlT_T0_E_clISt17integral_constantIbLb0EESX_EEDaSS_ST_EUlSS_E_NS1_11comp_targetILNS1_3genE5ELNS1_11target_archE942ELNS1_3gpuE9ELNS1_3repE0EEENS1_30default_config_static_selectorELNS0_4arch9wavefront6targetE1EEEvT1_
	.globl	_ZN7rocprim17ROCPRIM_400000_NS6detail17trampoline_kernelINS0_14default_configENS1_20scan_config_selectorIiEEZZNS1_9scan_implILNS1_25lookback_scan_determinismE0ELb0ELb0ES3_N6thrust23THRUST_200600_302600_NS6detail15normal_iteratorINS9_10device_ptrIiEEEENS9_16discard_iteratorINS9_11use_defaultEEEi11max_functorIiEiEEDaPvRmT3_T4_T5_mT6_P12ihipStream_tbENKUlT_T0_E_clISt17integral_constantIbLb0EESX_EEDaSS_ST_EUlSS_E_NS1_11comp_targetILNS1_3genE5ELNS1_11target_archE942ELNS1_3gpuE9ELNS1_3repE0EEENS1_30default_config_static_selectorELNS0_4arch9wavefront6targetE1EEEvT1_
	.p2align	8
	.type	_ZN7rocprim17ROCPRIM_400000_NS6detail17trampoline_kernelINS0_14default_configENS1_20scan_config_selectorIiEEZZNS1_9scan_implILNS1_25lookback_scan_determinismE0ELb0ELb0ES3_N6thrust23THRUST_200600_302600_NS6detail15normal_iteratorINS9_10device_ptrIiEEEENS9_16discard_iteratorINS9_11use_defaultEEEi11max_functorIiEiEEDaPvRmT3_T4_T5_mT6_P12ihipStream_tbENKUlT_T0_E_clISt17integral_constantIbLb0EESX_EEDaSS_ST_EUlSS_E_NS1_11comp_targetILNS1_3genE5ELNS1_11target_archE942ELNS1_3gpuE9ELNS1_3repE0EEENS1_30default_config_static_selectorELNS0_4arch9wavefront6targetE1EEEvT1_,@function
_ZN7rocprim17ROCPRIM_400000_NS6detail17trampoline_kernelINS0_14default_configENS1_20scan_config_selectorIiEEZZNS1_9scan_implILNS1_25lookback_scan_determinismE0ELb0ELb0ES3_N6thrust23THRUST_200600_302600_NS6detail15normal_iteratorINS9_10device_ptrIiEEEENS9_16discard_iteratorINS9_11use_defaultEEEi11max_functorIiEiEEDaPvRmT3_T4_T5_mT6_P12ihipStream_tbENKUlT_T0_E_clISt17integral_constantIbLb0EESX_EEDaSS_ST_EUlSS_E_NS1_11comp_targetILNS1_3genE5ELNS1_11target_archE942ELNS1_3gpuE9ELNS1_3repE0EEENS1_30default_config_static_selectorELNS0_4arch9wavefront6targetE1EEEvT1_: ; @_ZN7rocprim17ROCPRIM_400000_NS6detail17trampoline_kernelINS0_14default_configENS1_20scan_config_selectorIiEEZZNS1_9scan_implILNS1_25lookback_scan_determinismE0ELb0ELb0ES3_N6thrust23THRUST_200600_302600_NS6detail15normal_iteratorINS9_10device_ptrIiEEEENS9_16discard_iteratorINS9_11use_defaultEEEi11max_functorIiEiEEDaPvRmT3_T4_T5_mT6_P12ihipStream_tbENKUlT_T0_E_clISt17integral_constantIbLb0EESX_EEDaSS_ST_EUlSS_E_NS1_11comp_targetILNS1_3genE5ELNS1_11target_archE942ELNS1_3gpuE9ELNS1_3repE0EEENS1_30default_config_static_selectorELNS0_4arch9wavefront6targetE1EEEvT1_
; %bb.0:
	.section	.rodata,"a",@progbits
	.p2align	6, 0x0
	.amdhsa_kernel _ZN7rocprim17ROCPRIM_400000_NS6detail17trampoline_kernelINS0_14default_configENS1_20scan_config_selectorIiEEZZNS1_9scan_implILNS1_25lookback_scan_determinismE0ELb0ELb0ES3_N6thrust23THRUST_200600_302600_NS6detail15normal_iteratorINS9_10device_ptrIiEEEENS9_16discard_iteratorINS9_11use_defaultEEEi11max_functorIiEiEEDaPvRmT3_T4_T5_mT6_P12ihipStream_tbENKUlT_T0_E_clISt17integral_constantIbLb0EESX_EEDaSS_ST_EUlSS_E_NS1_11comp_targetILNS1_3genE5ELNS1_11target_archE942ELNS1_3gpuE9ELNS1_3repE0EEENS1_30default_config_static_selectorELNS0_4arch9wavefront6targetE1EEEvT1_
		.amdhsa_group_segment_fixed_size 0
		.amdhsa_private_segment_fixed_size 0
		.amdhsa_kernarg_size 104
		.amdhsa_user_sgpr_count 6
		.amdhsa_user_sgpr_private_segment_buffer 1
		.amdhsa_user_sgpr_dispatch_ptr 0
		.amdhsa_user_sgpr_queue_ptr 0
		.amdhsa_user_sgpr_kernarg_segment_ptr 1
		.amdhsa_user_sgpr_dispatch_id 0
		.amdhsa_user_sgpr_flat_scratch_init 0
		.amdhsa_user_sgpr_kernarg_preload_length 0
		.amdhsa_user_sgpr_kernarg_preload_offset 0
		.amdhsa_user_sgpr_private_segment_size 0
		.amdhsa_uses_dynamic_stack 0
		.amdhsa_system_sgpr_private_segment_wavefront_offset 0
		.amdhsa_system_sgpr_workgroup_id_x 1
		.amdhsa_system_sgpr_workgroup_id_y 0
		.amdhsa_system_sgpr_workgroup_id_z 0
		.amdhsa_system_sgpr_workgroup_info 0
		.amdhsa_system_vgpr_workitem_id 0
		.amdhsa_next_free_vgpr 1
		.amdhsa_next_free_sgpr 0
		.amdhsa_accum_offset 4
		.amdhsa_reserve_vcc 0
		.amdhsa_reserve_flat_scratch 0
		.amdhsa_float_round_mode_32 0
		.amdhsa_float_round_mode_16_64 0
		.amdhsa_float_denorm_mode_32 3
		.amdhsa_float_denorm_mode_16_64 3
		.amdhsa_dx10_clamp 1
		.amdhsa_ieee_mode 1
		.amdhsa_fp16_overflow 0
		.amdhsa_tg_split 0
		.amdhsa_exception_fp_ieee_invalid_op 0
		.amdhsa_exception_fp_denorm_src 0
		.amdhsa_exception_fp_ieee_div_zero 0
		.amdhsa_exception_fp_ieee_overflow 0
		.amdhsa_exception_fp_ieee_underflow 0
		.amdhsa_exception_fp_ieee_inexact 0
		.amdhsa_exception_int_div_zero 0
	.end_amdhsa_kernel
	.section	.text._ZN7rocprim17ROCPRIM_400000_NS6detail17trampoline_kernelINS0_14default_configENS1_20scan_config_selectorIiEEZZNS1_9scan_implILNS1_25lookback_scan_determinismE0ELb0ELb0ES3_N6thrust23THRUST_200600_302600_NS6detail15normal_iteratorINS9_10device_ptrIiEEEENS9_16discard_iteratorINS9_11use_defaultEEEi11max_functorIiEiEEDaPvRmT3_T4_T5_mT6_P12ihipStream_tbENKUlT_T0_E_clISt17integral_constantIbLb0EESX_EEDaSS_ST_EUlSS_E_NS1_11comp_targetILNS1_3genE5ELNS1_11target_archE942ELNS1_3gpuE9ELNS1_3repE0EEENS1_30default_config_static_selectorELNS0_4arch9wavefront6targetE1EEEvT1_,"axG",@progbits,_ZN7rocprim17ROCPRIM_400000_NS6detail17trampoline_kernelINS0_14default_configENS1_20scan_config_selectorIiEEZZNS1_9scan_implILNS1_25lookback_scan_determinismE0ELb0ELb0ES3_N6thrust23THRUST_200600_302600_NS6detail15normal_iteratorINS9_10device_ptrIiEEEENS9_16discard_iteratorINS9_11use_defaultEEEi11max_functorIiEiEEDaPvRmT3_T4_T5_mT6_P12ihipStream_tbENKUlT_T0_E_clISt17integral_constantIbLb0EESX_EEDaSS_ST_EUlSS_E_NS1_11comp_targetILNS1_3genE5ELNS1_11target_archE942ELNS1_3gpuE9ELNS1_3repE0EEENS1_30default_config_static_selectorELNS0_4arch9wavefront6targetE1EEEvT1_,comdat
.Lfunc_end3855:
	.size	_ZN7rocprim17ROCPRIM_400000_NS6detail17trampoline_kernelINS0_14default_configENS1_20scan_config_selectorIiEEZZNS1_9scan_implILNS1_25lookback_scan_determinismE0ELb0ELb0ES3_N6thrust23THRUST_200600_302600_NS6detail15normal_iteratorINS9_10device_ptrIiEEEENS9_16discard_iteratorINS9_11use_defaultEEEi11max_functorIiEiEEDaPvRmT3_T4_T5_mT6_P12ihipStream_tbENKUlT_T0_E_clISt17integral_constantIbLb0EESX_EEDaSS_ST_EUlSS_E_NS1_11comp_targetILNS1_3genE5ELNS1_11target_archE942ELNS1_3gpuE9ELNS1_3repE0EEENS1_30default_config_static_selectorELNS0_4arch9wavefront6targetE1EEEvT1_, .Lfunc_end3855-_ZN7rocprim17ROCPRIM_400000_NS6detail17trampoline_kernelINS0_14default_configENS1_20scan_config_selectorIiEEZZNS1_9scan_implILNS1_25lookback_scan_determinismE0ELb0ELb0ES3_N6thrust23THRUST_200600_302600_NS6detail15normal_iteratorINS9_10device_ptrIiEEEENS9_16discard_iteratorINS9_11use_defaultEEEi11max_functorIiEiEEDaPvRmT3_T4_T5_mT6_P12ihipStream_tbENKUlT_T0_E_clISt17integral_constantIbLb0EESX_EEDaSS_ST_EUlSS_E_NS1_11comp_targetILNS1_3genE5ELNS1_11target_archE942ELNS1_3gpuE9ELNS1_3repE0EEENS1_30default_config_static_selectorELNS0_4arch9wavefront6targetE1EEEvT1_
                                        ; -- End function
	.section	.AMDGPU.csdata,"",@progbits
; Kernel info:
; codeLenInByte = 0
; NumSgprs: 4
; NumVgprs: 0
; NumAgprs: 0
; TotalNumVgprs: 0
; ScratchSize: 0
; MemoryBound: 0
; FloatMode: 240
; IeeeMode: 1
; LDSByteSize: 0 bytes/workgroup (compile time only)
; SGPRBlocks: 0
; VGPRBlocks: 0
; NumSGPRsForWavesPerEU: 4
; NumVGPRsForWavesPerEU: 1
; AccumOffset: 4
; Occupancy: 8
; WaveLimiterHint : 0
; COMPUTE_PGM_RSRC2:SCRATCH_EN: 0
; COMPUTE_PGM_RSRC2:USER_SGPR: 6
; COMPUTE_PGM_RSRC2:TRAP_HANDLER: 0
; COMPUTE_PGM_RSRC2:TGID_X_EN: 1
; COMPUTE_PGM_RSRC2:TGID_Y_EN: 0
; COMPUTE_PGM_RSRC2:TGID_Z_EN: 0
; COMPUTE_PGM_RSRC2:TIDIG_COMP_CNT: 0
; COMPUTE_PGM_RSRC3_GFX90A:ACCUM_OFFSET: 0
; COMPUTE_PGM_RSRC3_GFX90A:TG_SPLIT: 0
	.section	.text._ZN7rocprim17ROCPRIM_400000_NS6detail17trampoline_kernelINS0_14default_configENS1_20scan_config_selectorIiEEZZNS1_9scan_implILNS1_25lookback_scan_determinismE0ELb0ELb0ES3_N6thrust23THRUST_200600_302600_NS6detail15normal_iteratorINS9_10device_ptrIiEEEENS9_16discard_iteratorINS9_11use_defaultEEEi11max_functorIiEiEEDaPvRmT3_T4_T5_mT6_P12ihipStream_tbENKUlT_T0_E_clISt17integral_constantIbLb0EESX_EEDaSS_ST_EUlSS_E_NS1_11comp_targetILNS1_3genE4ELNS1_11target_archE910ELNS1_3gpuE8ELNS1_3repE0EEENS1_30default_config_static_selectorELNS0_4arch9wavefront6targetE1EEEvT1_,"axG",@progbits,_ZN7rocprim17ROCPRIM_400000_NS6detail17trampoline_kernelINS0_14default_configENS1_20scan_config_selectorIiEEZZNS1_9scan_implILNS1_25lookback_scan_determinismE0ELb0ELb0ES3_N6thrust23THRUST_200600_302600_NS6detail15normal_iteratorINS9_10device_ptrIiEEEENS9_16discard_iteratorINS9_11use_defaultEEEi11max_functorIiEiEEDaPvRmT3_T4_T5_mT6_P12ihipStream_tbENKUlT_T0_E_clISt17integral_constantIbLb0EESX_EEDaSS_ST_EUlSS_E_NS1_11comp_targetILNS1_3genE4ELNS1_11target_archE910ELNS1_3gpuE8ELNS1_3repE0EEENS1_30default_config_static_selectorELNS0_4arch9wavefront6targetE1EEEvT1_,comdat
	.protected	_ZN7rocprim17ROCPRIM_400000_NS6detail17trampoline_kernelINS0_14default_configENS1_20scan_config_selectorIiEEZZNS1_9scan_implILNS1_25lookback_scan_determinismE0ELb0ELb0ES3_N6thrust23THRUST_200600_302600_NS6detail15normal_iteratorINS9_10device_ptrIiEEEENS9_16discard_iteratorINS9_11use_defaultEEEi11max_functorIiEiEEDaPvRmT3_T4_T5_mT6_P12ihipStream_tbENKUlT_T0_E_clISt17integral_constantIbLb0EESX_EEDaSS_ST_EUlSS_E_NS1_11comp_targetILNS1_3genE4ELNS1_11target_archE910ELNS1_3gpuE8ELNS1_3repE0EEENS1_30default_config_static_selectorELNS0_4arch9wavefront6targetE1EEEvT1_ ; -- Begin function _ZN7rocprim17ROCPRIM_400000_NS6detail17trampoline_kernelINS0_14default_configENS1_20scan_config_selectorIiEEZZNS1_9scan_implILNS1_25lookback_scan_determinismE0ELb0ELb0ES3_N6thrust23THRUST_200600_302600_NS6detail15normal_iteratorINS9_10device_ptrIiEEEENS9_16discard_iteratorINS9_11use_defaultEEEi11max_functorIiEiEEDaPvRmT3_T4_T5_mT6_P12ihipStream_tbENKUlT_T0_E_clISt17integral_constantIbLb0EESX_EEDaSS_ST_EUlSS_E_NS1_11comp_targetILNS1_3genE4ELNS1_11target_archE910ELNS1_3gpuE8ELNS1_3repE0EEENS1_30default_config_static_selectorELNS0_4arch9wavefront6targetE1EEEvT1_
	.globl	_ZN7rocprim17ROCPRIM_400000_NS6detail17trampoline_kernelINS0_14default_configENS1_20scan_config_selectorIiEEZZNS1_9scan_implILNS1_25lookback_scan_determinismE0ELb0ELb0ES3_N6thrust23THRUST_200600_302600_NS6detail15normal_iteratorINS9_10device_ptrIiEEEENS9_16discard_iteratorINS9_11use_defaultEEEi11max_functorIiEiEEDaPvRmT3_T4_T5_mT6_P12ihipStream_tbENKUlT_T0_E_clISt17integral_constantIbLb0EESX_EEDaSS_ST_EUlSS_E_NS1_11comp_targetILNS1_3genE4ELNS1_11target_archE910ELNS1_3gpuE8ELNS1_3repE0EEENS1_30default_config_static_selectorELNS0_4arch9wavefront6targetE1EEEvT1_
	.p2align	8
	.type	_ZN7rocprim17ROCPRIM_400000_NS6detail17trampoline_kernelINS0_14default_configENS1_20scan_config_selectorIiEEZZNS1_9scan_implILNS1_25lookback_scan_determinismE0ELb0ELb0ES3_N6thrust23THRUST_200600_302600_NS6detail15normal_iteratorINS9_10device_ptrIiEEEENS9_16discard_iteratorINS9_11use_defaultEEEi11max_functorIiEiEEDaPvRmT3_T4_T5_mT6_P12ihipStream_tbENKUlT_T0_E_clISt17integral_constantIbLb0EESX_EEDaSS_ST_EUlSS_E_NS1_11comp_targetILNS1_3genE4ELNS1_11target_archE910ELNS1_3gpuE8ELNS1_3repE0EEENS1_30default_config_static_selectorELNS0_4arch9wavefront6targetE1EEEvT1_,@function
_ZN7rocprim17ROCPRIM_400000_NS6detail17trampoline_kernelINS0_14default_configENS1_20scan_config_selectorIiEEZZNS1_9scan_implILNS1_25lookback_scan_determinismE0ELb0ELb0ES3_N6thrust23THRUST_200600_302600_NS6detail15normal_iteratorINS9_10device_ptrIiEEEENS9_16discard_iteratorINS9_11use_defaultEEEi11max_functorIiEiEEDaPvRmT3_T4_T5_mT6_P12ihipStream_tbENKUlT_T0_E_clISt17integral_constantIbLb0EESX_EEDaSS_ST_EUlSS_E_NS1_11comp_targetILNS1_3genE4ELNS1_11target_archE910ELNS1_3gpuE8ELNS1_3repE0EEENS1_30default_config_static_selectorELNS0_4arch9wavefront6targetE1EEEvT1_: ; @_ZN7rocprim17ROCPRIM_400000_NS6detail17trampoline_kernelINS0_14default_configENS1_20scan_config_selectorIiEEZZNS1_9scan_implILNS1_25lookback_scan_determinismE0ELb0ELb0ES3_N6thrust23THRUST_200600_302600_NS6detail15normal_iteratorINS9_10device_ptrIiEEEENS9_16discard_iteratorINS9_11use_defaultEEEi11max_functorIiEiEEDaPvRmT3_T4_T5_mT6_P12ihipStream_tbENKUlT_T0_E_clISt17integral_constantIbLb0EESX_EEDaSS_ST_EUlSS_E_NS1_11comp_targetILNS1_3genE4ELNS1_11target_archE910ELNS1_3gpuE8ELNS1_3repE0EEENS1_30default_config_static_selectorELNS0_4arch9wavefront6targetE1EEEvT1_
; %bb.0:
	s_load_dwordx4 s[0:3], s[4:5], 0x0
	s_load_dwordx2 s[8:9], s[4:5], 0x20
	s_load_dword s7, s[4:5], 0x38
	v_lshlrev_b32_e32 v11, 2, v0
	s_waitcnt lgkmcnt(0)
	s_lshl_b64 s[2:3], s[2:3], 2
	s_add_u32 s2, s0, s2
	s_addc_u32 s3, s1, s3
	s_add_i32 s7, s7, -1
	s_mul_i32 s10, s7, 0x500
	s_sub_u32 s18, s8, s10
	s_subb_u32 s19, s9, 0
	s_mul_i32 s0, s6, 0x500
	s_mov_b32 s1, 0
	s_cmp_lg_u32 s6, s7
	s_cselect_b64 s[12:13], -1, 0
	s_lshl_b64 s[0:1], s[0:1], 2
	s_add_u32 s0, s2, s0
	s_addc_u32 s1, s3, s1
	s_mov_b64 s[2:3], -1
	s_and_b64 vcc, exec, s[12:13]
	s_cbranch_vccz .LBB3856_2
; %bb.1:
	v_mov_b32_e32 v1, s1
	v_add_co_u32_e32 v2, vcc, s0, v11
	v_addc_co_u32_e32 v3, vcc, 0, v1, vcc
	flat_load_dword v1, v[2:3]
	flat_load_dword v4, v[2:3] offset:512
	flat_load_dword v5, v[2:3] offset:1024
	;; [unrolled: 1-line block ×7, first 2 shown]
	v_add_co_u32_e32 v2, vcc, 0x1000, v2
	v_addc_co_u32_e32 v3, vcc, 0, v3, vcc
	flat_load_dword v12, v[2:3]
	flat_load_dword v13, v[2:3] offset:512
	s_mov_b64 s[2:3], 0
	s_waitcnt vmcnt(0) lgkmcnt(0)
	ds_write2st64_b32 v11, v1, v4 offset1:2
	ds_write2st64_b32 v11, v5, v6 offset0:4 offset1:6
	ds_write2st64_b32 v11, v7, v8 offset0:8 offset1:10
	;; [unrolled: 1-line block ×4, first 2 shown]
	s_waitcnt lgkmcnt(0)
	s_barrier
.LBB3856_2:
	s_load_dwordx2 s[14:15], s[4:5], 0x30
	s_andn2_b64 vcc, exec, s[2:3]
	s_cbranch_vccnz .LBB3856_24
; %bb.3:
	v_pk_mov_b32 v[2:3], s[0:1], s[0:1] op_sel:[0,1]
	flat_load_dword v1, v[2:3]
	v_cmp_gt_u32_e32 vcc, s18, v0
	s_waitcnt vmcnt(0) lgkmcnt(0)
	v_mov_b32_e32 v2, v1
	v_mov_b32_e32 v3, v1
	v_mov_b32_e32 v4, v1
	v_mov_b32_e32 v5, v1
	v_mov_b32_e32 v6, v1
	v_mov_b32_e32 v7, v1
	v_mov_b32_e32 v8, v1
	v_mov_b32_e32 v9, v1
	v_mov_b32_e32 v10, v1
	s_and_saveexec_b64 s[2:3], vcc
	s_cbranch_execz .LBB3856_5
; %bb.4:
	v_mov_b32_e32 v10, s1
	v_add_co_u32_e32 v12, vcc, s0, v11
	v_addc_co_u32_e32 v13, vcc, 0, v10, vcc
	flat_load_dword v10, v[12:13]
.LBB3856_5:
	s_or_b64 exec, exec, s[2:3]
	v_or_b32_e32 v12, 0x80, v0
	v_cmp_gt_u32_e32 vcc, s18, v12
	s_and_saveexec_b64 s[2:3], vcc
	s_cbranch_execz .LBB3856_7
; %bb.6:
	v_mov_b32_e32 v1, s1
	v_add_co_u32_e32 v12, vcc, s0, v11
	v_addc_co_u32_e32 v13, vcc, 0, v1, vcc
	flat_load_dword v1, v[12:13] offset:512
.LBB3856_7:
	s_or_b64 exec, exec, s[2:3]
	v_or_b32_e32 v12, 0x100, v0
	v_cmp_gt_u32_e32 vcc, s18, v12
	s_and_saveexec_b64 s[2:3], vcc
	s_cbranch_execz .LBB3856_9
; %bb.8:
	v_mov_b32_e32 v2, s1
	v_add_co_u32_e32 v12, vcc, s0, v11
	v_addc_co_u32_e32 v13, vcc, 0, v2, vcc
	flat_load_dword v2, v[12:13] offset:1024
.LBB3856_9:
	;; [unrolled: 11-line block ×7, first 2 shown]
	s_or_b64 exec, exec, s[2:3]
	v_or_b32_e32 v12, 0x400, v0
	v_cmp_gt_u32_e32 vcc, s18, v12
	s_and_saveexec_b64 s[2:3], vcc
	s_cbranch_execz .LBB3856_21
; %bb.20:
	v_lshlrev_b32_e32 v8, 2, v12
	v_mov_b32_e32 v13, s1
	v_add_co_u32_e32 v12, vcc, s0, v8
	v_addc_co_u32_e32 v13, vcc, 0, v13, vcc
	flat_load_dword v8, v[12:13]
.LBB3856_21:
	s_or_b64 exec, exec, s[2:3]
	v_or_b32_e32 v12, 0x480, v0
	v_cmp_gt_u32_e32 vcc, s18, v12
	s_and_saveexec_b64 s[2:3], vcc
	s_cbranch_execz .LBB3856_23
; %bb.22:
	v_lshlrev_b32_e32 v9, 2, v12
	v_mov_b32_e32 v13, s1
	v_add_co_u32_e32 v12, vcc, s0, v9
	v_addc_co_u32_e32 v13, vcc, 0, v13, vcc
	flat_load_dword v9, v[12:13]
.LBB3856_23:
	s_or_b64 exec, exec, s[2:3]
	s_waitcnt vmcnt(0) lgkmcnt(0)
	ds_write2st64_b32 v11, v10, v1 offset1:2
	ds_write2st64_b32 v11, v2, v3 offset0:4 offset1:6
	ds_write2st64_b32 v11, v4, v5 offset0:8 offset1:10
	;; [unrolled: 1-line block ×4, first 2 shown]
	s_waitcnt lgkmcnt(0)
	s_barrier
.LBB3856_24:
	v_mul_u32_u24_e32 v22, 10, v0
	v_lshlrev_b32_e32 v23, 2, v22
	s_waitcnt lgkmcnt(0)
	ds_read2_b64 v[2:5], v23 offset1:1
	ds_read2_b64 v[16:19], v23 offset0:2 offset1:3
	ds_read_b64 v[20:21], v23 offset:32
	s_cmp_lg_u32 s6, 0
	v_lshrrev_b32_e32 v1, 5, v0
	v_cmp_gt_u32_e32 vcc, 64, v0
	s_waitcnt lgkmcnt(0)
	s_barrier
	s_cbranch_scc0 .LBB3856_49
; %bb.25:
	v_max_i32_e32 v6, v2, v3
	v_max3_i32 v6, v6, v4, v5
	v_max3_i32 v6, v6, v16, v17
	;; [unrolled: 1-line block ×4, first 2 shown]
	v_add_lshl_u32 v6, v1, v0, 2
	ds_write_b32 v6, v24
	s_waitcnt lgkmcnt(0)
	s_barrier
	s_and_saveexec_b64 s[2:3], vcc
	s_cbranch_execz .LBB3856_27
; %bb.26:
	v_lshlrev_b32_e32 v6, 1, v0
	v_lshrrev_b32_e32 v7, 4, v0
	v_add_lshl_u32 v8, v7, v6, 2
	ds_read2_b32 v[6:7], v8 offset1:1
	v_mbcnt_lo_u32_b32 v9, -1, 0
	v_mbcnt_hi_u32_b32 v9, -1, v9
	v_and_b32_e32 v10, 15, v9
	v_cmp_eq_u32_e64 s[0:1], 0, v10
	s_waitcnt lgkmcnt(0)
	v_max_i32_e32 v7, v6, v7
	; wave barrier
	s_nop 1
	v_mov_b32_dpp v11, v7 row_shr:1 row_mask:0xf bank_mask:0xf
	v_max_i32_e32 v11, v11, v7
	v_cndmask_b32_e64 v7, v11, v7, s[0:1]
	v_cmp_lt_u32_e64 s[0:1], 1, v10
	s_nop 0
	v_mov_b32_dpp v11, v7 row_shr:2 row_mask:0xf bank_mask:0xf
	v_max_i32_e32 v11, v11, v7
	v_cndmask_b32_e64 v7, v7, v11, s[0:1]
	v_cmp_lt_u32_e64 s[0:1], 3, v10
	;; [unrolled: 5-line block ×3, first 2 shown]
	s_nop 0
	v_mov_b32_dpp v11, v7 row_shr:8 row_mask:0xf bank_mask:0xf
	v_max_i32_e32 v11, v11, v7
	v_cndmask_b32_e64 v7, v7, v11, s[0:1]
	v_and_b32_e32 v11, 16, v9
	v_cmp_eq_u32_e64 s[0:1], 0, v11
	v_mov_b32_dpp v10, v7 row_bcast:15 row_mask:0xf bank_mask:0xf
	v_max_i32_e32 v10, v10, v7
	v_cndmask_b32_e64 v7, v10, v7, s[0:1]
	v_cmp_lt_u32_e64 s[0:1], 31, v9
	v_and_b32_e32 v11, 64, v9
	v_mov_b32_dpp v10, v7 row_bcast:31 row_mask:0xf bank_mask:0xf
	v_max_i32_e32 v10, v10, v7
	v_cndmask_b32_e64 v7, v7, v10, s[0:1]
	v_add_u32_e32 v10, -1, v9
	v_cmp_lt_i32_e64 s[0:1], v10, v11
	v_cndmask_b32_e64 v9, v10, v9, s[0:1]
	v_lshlrev_b32_e32 v9, 2, v9
	ds_bpermute_b32 v7, v9, v7
	v_cmp_eq_u32_e64 s[0:1], 0, v0
	s_waitcnt lgkmcnt(0)
	v_max_i32_e32 v6, v7, v6
	v_cndmask_b32_e64 v6, v6, v24, s[0:1]
	ds_write_b32 v8, v6
	; wave barrier
	ds_read_b32 v7, v8 offset:4
	s_waitcnt lgkmcnt(0)
	v_max_i32_e32 v6, v6, v7
	ds_write_b32 v8, v6 offset:4
.LBB3856_27:
	s_or_b64 exec, exec, s[2:3]
	v_cmp_eq_u32_e64 s[0:1], 0, v0
	v_cmp_ne_u32_e64 s[2:3], 0, v0
	s_waitcnt lgkmcnt(0)
	s_barrier
	s_and_saveexec_b64 s[8:9], s[2:3]
	s_cbranch_execz .LBB3856_29
; %bb.28:
	v_add_u32_e32 v6, -1, v0
	v_lshrrev_b32_e32 v7, 5, v6
	v_add_lshl_u32 v6, v7, v6, 2
	ds_read_b32 v24, v6
.LBB3856_29:
	s_or_b64 exec, exec, s[8:9]
	s_and_saveexec_b64 s[8:9], vcc
	s_cbranch_execz .LBB3856_48
; %bb.30:
	v_mov_b32_e32 v13, 0
	ds_read_b32 v6, v13 offset:520
	v_mbcnt_lo_u32_b32 v7, -1, 0
	v_mbcnt_hi_u32_b32 v9, -1, v7
	s_mov_b32 s17, 0
	v_cmp_eq_u32_e64 s[2:3], 0, v9
	s_and_saveexec_b64 s[10:11], s[2:3]
	s_cbranch_execz .LBB3856_32
; %bb.31:
	s_add_i32 s16, s6, 64
	s_lshl_b64 s[16:17], s[16:17], 3
	s_add_u32 s16, s14, s16
	v_mov_b32_e32 v7, 1
	s_addc_u32 s17, s15, s17
	s_waitcnt lgkmcnt(0)
	global_store_dwordx2 v13, v[6:7], s[16:17]
.LBB3856_32:
	s_or_b64 exec, exec, s[10:11]
	v_xad_u32 v8, v9, -1, s6
	v_add_u32_e32 v12, 64, v8
	v_lshlrev_b64 v[10:11], 3, v[12:13]
	v_mov_b32_e32 v7, s15
	v_add_co_u32_e32 v14, vcc, s14, v10
	v_addc_co_u32_e32 v15, vcc, v7, v11, vcc
	global_load_dwordx2 v[10:11], v[14:15], off glc
	s_waitcnt vmcnt(0)
	v_cmp_eq_u16_sdwa s[16:17], v11, v13 src0_sel:BYTE_0 src1_sel:DWORD
	s_and_saveexec_b64 s[10:11], s[16:17]
	s_cbranch_execz .LBB3856_36
; %bb.33:
	s_mov_b64 s[16:17], 0
	v_mov_b32_e32 v7, 0
.LBB3856_34:                            ; =>This Inner Loop Header: Depth=1
	global_load_dwordx2 v[10:11], v[14:15], off glc
	s_waitcnt vmcnt(0)
	v_cmp_ne_u16_sdwa s[20:21], v11, v7 src0_sel:BYTE_0 src1_sel:DWORD
	s_or_b64 s[16:17], s[20:21], s[16:17]
	s_andn2_b64 exec, exec, s[16:17]
	s_cbranch_execnz .LBB3856_34
; %bb.35:
	s_or_b64 exec, exec, s[16:17]
.LBB3856_36:
	s_or_b64 exec, exec, s[10:11]
	v_and_b32_e32 v25, 63, v9
	v_cmp_ne_u32_e32 vcc, 63, v25
	v_mov_b32_e32 v7, 2
	v_addc_co_u32_e32 v26, vcc, 0, v9, vcc
	v_cmp_eq_u16_sdwa s[10:11], v11, v7 src0_sel:BYTE_0 src1_sel:DWORD
	v_lshlrev_b64 v[12:13], v9, -1
	v_lshlrev_b32_e32 v26, 2, v26
	v_and_b32_e32 v14, s11, v13
	ds_bpermute_b32 v27, v26, v10
	v_or_b32_e32 v14, 0x80000000, v14
	v_and_b32_e32 v15, s10, v12
	v_ffbl_b32_e32 v14, v14
	v_add_u32_e32 v14, 32, v14
	v_ffbl_b32_e32 v15, v15
	v_min_u32_e32 v14, v15, v14
	s_waitcnt lgkmcnt(0)
	v_max_i32_e32 v15, v27, v10
	v_cmp_lt_u32_e32 vcc, v25, v14
	v_cndmask_b32_e32 v10, v10, v15, vcc
	v_cmp_gt_u32_e32 vcc, 62, v25
	v_cndmask_b32_e64 v15, 0, 1, vcc
	v_lshlrev_b32_e32 v15, 1, v15
	v_add_lshl_u32 v27, v15, v9, 2
	ds_bpermute_b32 v15, v27, v10
	v_add_u32_e32 v28, 2, v25
	v_cmp_gt_u32_e32 vcc, v28, v14
	v_add_u32_e32 v30, 4, v25
	v_add_u32_e32 v32, 8, v25
	s_waitcnt lgkmcnt(0)
	v_max_i32_e32 v15, v15, v10
	v_cndmask_b32_e32 v10, v15, v10, vcc
	v_cmp_gt_u32_e32 vcc, 60, v25
	v_cndmask_b32_e64 v15, 0, 1, vcc
	v_lshlrev_b32_e32 v15, 2, v15
	v_add_lshl_u32 v29, v15, v9, 2
	ds_bpermute_b32 v15, v29, v10
	v_cmp_gt_u32_e32 vcc, v30, v14
	v_add_u32_e32 v35, 16, v25
	v_add_u32_e32 v37, 32, v25
	s_waitcnt lgkmcnt(0)
	v_max_i32_e32 v15, v15, v10
	v_cndmask_b32_e32 v10, v15, v10, vcc
	v_cmp_gt_u32_e32 vcc, 56, v25
	v_cndmask_b32_e64 v15, 0, 1, vcc
	v_lshlrev_b32_e32 v15, 3, v15
	v_add_lshl_u32 v31, v15, v9, 2
	ds_bpermute_b32 v15, v31, v10
	v_cmp_gt_u32_e32 vcc, v32, v14
	s_waitcnt lgkmcnt(0)
	v_max_i32_e32 v15, v15, v10
	v_cndmask_b32_e32 v10, v15, v10, vcc
	v_cmp_gt_u32_e32 vcc, 48, v25
	v_cndmask_b32_e64 v15, 0, 1, vcc
	v_lshlrev_b32_e32 v15, 4, v15
	v_add_lshl_u32 v33, v15, v9, 2
	ds_bpermute_b32 v15, v33, v10
	v_cmp_gt_u32_e32 vcc, v35, v14
	;; [unrolled: 9-line block ×3, first 2 shown]
	s_waitcnt lgkmcnt(0)
	v_max_i32_e32 v9, v9, v10
	v_cndmask_b32_e32 v10, v9, v10, vcc
	v_mov_b32_e32 v9, 0
	s_branch .LBB3856_38
.LBB3856_37:                            ;   in Loop: Header=BB3856_38 Depth=1
	s_or_b64 exec, exec, s[10:11]
	v_cmp_eq_u16_sdwa s[10:11], v11, v7 src0_sel:BYTE_0 src1_sel:DWORD
	v_and_b32_e32 v14, s11, v13
	ds_bpermute_b32 v38, v26, v10
	v_or_b32_e32 v14, 0x80000000, v14
	v_and_b32_e32 v15, s10, v12
	v_ffbl_b32_e32 v14, v14
	v_add_u32_e32 v14, 32, v14
	v_ffbl_b32_e32 v15, v15
	v_min_u32_e32 v14, v15, v14
	s_waitcnt lgkmcnt(0)
	v_max_i32_e32 v15, v38, v10
	v_cmp_lt_u32_e32 vcc, v25, v14
	v_cndmask_b32_e32 v10, v10, v15, vcc
	ds_bpermute_b32 v15, v27, v10
	v_cmp_gt_u32_e32 vcc, v28, v14
	v_subrev_u32_e32 v8, 64, v8
	s_waitcnt lgkmcnt(0)
	v_max_i32_e32 v15, v15, v10
	v_cndmask_b32_e32 v10, v15, v10, vcc
	ds_bpermute_b32 v15, v29, v10
	v_cmp_gt_u32_e32 vcc, v30, v14
	s_waitcnt lgkmcnt(0)
	v_max_i32_e32 v15, v15, v10
	v_cndmask_b32_e32 v10, v15, v10, vcc
	ds_bpermute_b32 v15, v31, v10
	v_cmp_gt_u32_e32 vcc, v32, v14
	;; [unrolled: 5-line block ×4, first 2 shown]
	s_waitcnt lgkmcnt(0)
	v_max_i32_e32 v15, v15, v10
	v_cndmask_b32_e32 v10, v15, v10, vcc
	v_max_i32_e32 v10, v10, v34
.LBB3856_38:                            ; =>This Loop Header: Depth=1
                                        ;     Child Loop BB3856_41 Depth 2
	v_cmp_ne_u16_sdwa s[10:11], v11, v7 src0_sel:BYTE_0 src1_sel:DWORD
	v_cndmask_b32_e64 v11, 0, 1, s[10:11]
	;;#ASMSTART
	;;#ASMEND
	v_cmp_ne_u32_e32 vcc, 0, v11
	s_cmp_lg_u64 vcc, exec
	v_mov_b32_e32 v34, v10
	s_cbranch_scc1 .LBB3856_43
; %bb.39:                               ;   in Loop: Header=BB3856_38 Depth=1
	v_lshlrev_b64 v[10:11], 3, v[8:9]
	v_mov_b32_e32 v15, s15
	v_add_co_u32_e32 v14, vcc, s14, v10
	v_addc_co_u32_e32 v15, vcc, v15, v11, vcc
	global_load_dwordx2 v[10:11], v[14:15], off glc
	s_waitcnt vmcnt(0)
	v_cmp_eq_u16_sdwa s[16:17], v11, v9 src0_sel:BYTE_0 src1_sel:DWORD
	s_and_saveexec_b64 s[10:11], s[16:17]
	s_cbranch_execz .LBB3856_37
; %bb.40:                               ;   in Loop: Header=BB3856_38 Depth=1
	s_mov_b64 s[16:17], 0
.LBB3856_41:                            ;   Parent Loop BB3856_38 Depth=1
                                        ; =>  This Inner Loop Header: Depth=2
	global_load_dwordx2 v[10:11], v[14:15], off glc
	s_waitcnt vmcnt(0)
	v_cmp_ne_u16_sdwa s[20:21], v11, v9 src0_sel:BYTE_0 src1_sel:DWORD
	s_or_b64 s[16:17], s[20:21], s[16:17]
	s_andn2_b64 exec, exec, s[16:17]
	s_cbranch_execnz .LBB3856_41
; %bb.42:                               ;   in Loop: Header=BB3856_38 Depth=1
	s_or_b64 exec, exec, s[16:17]
	s_branch .LBB3856_37
.LBB3856_43:                            ;   in Loop: Header=BB3856_38 Depth=1
                                        ; implicit-def: $vgpr10
                                        ; implicit-def: $vgpr11
	s_cbranch_execz .LBB3856_38
; %bb.44:
	s_and_saveexec_b64 s[10:11], s[2:3]
	s_cbranch_execz .LBB3856_46
; %bb.45:
	s_add_i32 s2, s6, 64
	s_mov_b32 s3, 0
	s_lshl_b64 s[2:3], s[2:3], 3
	s_add_u32 s2, s14, s2
	v_max_i32_e32 v6, v34, v6
	v_mov_b32_e32 v7, 2
	s_addc_u32 s3, s15, s3
	v_mov_b32_e32 v8, 0
	global_store_dwordx2 v8, v[6:7], s[2:3]
.LBB3856_46:
	s_or_b64 exec, exec, s[10:11]
	s_and_b64 exec, exec, s[0:1]
	s_cbranch_execz .LBB3856_48
; %bb.47:
	v_mov_b32_e32 v6, 0
	ds_write_b32 v6, v34
.LBB3856_48:
	s_or_b64 exec, exec, s[8:9]
	v_mov_b32_e32 v6, 0
	s_waitcnt lgkmcnt(0)
	s_barrier
	ds_read_b32 v6, v6
	v_max_i32_e32 v7, v24, v2
	v_cndmask_b32_e64 v7, v7, v2, s[0:1]
	s_waitcnt lgkmcnt(0)
	v_max_i32_e32 v6, v6, v7
	v_max_i32_e32 v7, v6, v3
	;; [unrolled: 1-line block ×10, first 2 shown]
	s_load_dwordx8 s[4:11], s[4:5], 0x40
	s_branch .LBB3856_61
.LBB3856_49:
                                        ; implicit-def: $vgpr6_vgpr7_vgpr8_vgpr9_vgpr10_vgpr11_vgpr12_vgpr13_vgpr14_vgpr15
	s_load_dwordx8 s[4:11], s[4:5], 0x40
	s_cbranch_execz .LBB3856_61
; %bb.50:
	s_waitcnt lgkmcnt(0)
	s_cmp_lg_u64 s[8:9], 0
	s_cselect_b64 s[2:3], -1, 0
	v_cmp_eq_u32_e64 s[0:1], 0, v0
	v_cmp_ne_u32_e32 vcc, 0, v0
	s_and_b64 s[8:9], s[0:1], s[2:3]
	v_mov_b32_e32 v12, v3
	v_mov_b32_e32 v13, v4
	;; [unrolled: 1-line block ×3, first 2 shown]
	s_and_saveexec_b64 s[2:3], s[8:9]
	s_cbranch_execz .LBB3856_52
; %bb.51:
	v_mov_b32_e32 v6, 0
	global_load_dword v6, v6, s[4:5]
	v_mov_b32_e32 v12, v3
	v_mov_b32_e32 v13, v4
	;; [unrolled: 1-line block ×3, first 2 shown]
	s_waitcnt vmcnt(0)
	v_max_i32_e32 v2, v6, v2
.LBB3856_52:
	s_or_b64 exec, exec, s[2:3]
	v_max_i32_e32 v3, v2, v12
	v_max_i32_e32 v4, v3, v13
	v_max_i32_e32 v5, v4, v14
	v_max_i32_e32 v6, v5, v16
	v_max_i32_e32 v7, v6, v17
	v_max_i32_e32 v8, v7, v18
	v_max_i32_e32 v9, v8, v19
	v_max_i32_e32 v10, v9, v20
	v_max_i32_e32 v11, v10, v21
	v_add_lshl_u32 v1, v1, v0, 2
	v_cmp_gt_u32_e64 s[2:3], 64, v0
	ds_write_b32 v1, v11
	s_waitcnt lgkmcnt(0)
	s_barrier
	s_and_saveexec_b64 s[4:5], s[2:3]
	s_cbranch_execz .LBB3856_54
; %bb.53:
	v_lshlrev_b32_e32 v1, 1, v0
	v_lshrrev_b32_e32 v15, 4, v0
	v_add_lshl_u32 v1, v15, v1, 2
	ds_read2_b32 v[24:25], v1 offset1:1
	v_mbcnt_lo_u32_b32 v15, -1, 0
	v_mbcnt_hi_u32_b32 v15, -1, v15
	v_and_b32_e32 v26, 15, v15
	v_cmp_eq_u32_e64 s[2:3], 0, v26
	s_waitcnt lgkmcnt(0)
	v_max_i32_e32 v25, v24, v25
	; wave barrier
	s_nop 1
	v_mov_b32_dpp v27, v25 row_shr:1 row_mask:0xf bank_mask:0xf
	v_max_i32_e32 v27, v27, v25
	v_cndmask_b32_e64 v25, v27, v25, s[2:3]
	v_cmp_lt_u32_e64 s[2:3], 1, v26
	s_nop 0
	v_mov_b32_dpp v27, v25 row_shr:2 row_mask:0xf bank_mask:0xf
	v_max_i32_e32 v27, v27, v25
	v_cndmask_b32_e64 v25, v25, v27, s[2:3]
	v_cmp_lt_u32_e64 s[2:3], 3, v26
	;; [unrolled: 5-line block ×3, first 2 shown]
	s_nop 0
	v_mov_b32_dpp v27, v25 row_shr:8 row_mask:0xf bank_mask:0xf
	v_max_i32_e32 v27, v27, v25
	v_cndmask_b32_e64 v25, v25, v27, s[2:3]
	v_and_b32_e32 v27, 16, v15
	v_cmp_eq_u32_e64 s[2:3], 0, v27
	v_mov_b32_dpp v26, v25 row_bcast:15 row_mask:0xf bank_mask:0xf
	v_max_i32_e32 v26, v26, v25
	v_cndmask_b32_e64 v25, v26, v25, s[2:3]
	v_cmp_lt_u32_e64 s[2:3], 31, v15
	v_and_b32_e32 v27, 64, v15
	v_mov_b32_dpp v26, v25 row_bcast:31 row_mask:0xf bank_mask:0xf
	v_max_i32_e32 v26, v26, v25
	v_cndmask_b32_e64 v25, v25, v26, s[2:3]
	v_add_u32_e32 v26, -1, v15
	v_cmp_lt_i32_e64 s[2:3], v26, v27
	v_cndmask_b32_e64 v15, v26, v15, s[2:3]
	v_lshlrev_b32_e32 v15, 2, v15
	ds_bpermute_b32 v15, v15, v25
	s_waitcnt lgkmcnt(0)
	v_max_i32_e32 v15, v15, v24
	v_cndmask_b32_e64 v15, v15, v11, s[0:1]
	ds_write_b32 v1, v15
	; wave barrier
	ds_read_b32 v24, v1 offset:4
	s_waitcnt lgkmcnt(0)
	v_max_i32_e32 v15, v15, v24
	ds_write_b32 v1, v15 offset:4
.LBB3856_54:
	s_or_b64 exec, exec, s[4:5]
	v_mov_b32_e32 v1, v11
	s_waitcnt lgkmcnt(0)
	s_barrier
	s_and_saveexec_b64 s[0:1], vcc
	s_cbranch_execz .LBB3856_56
; %bb.55:
	v_add_u32_e32 v1, -1, v0
	v_lshrrev_b32_e32 v15, 5, v1
	v_add_lshl_u32 v1, v15, v1, 2
	ds_read_b32 v1, v1
.LBB3856_56:
	s_or_b64 exec, exec, s[0:1]
	s_and_saveexec_b64 s[0:1], vcc
	s_cbranch_execz .LBB3856_58
; %bb.57:
	s_waitcnt lgkmcnt(0)
	v_max_i32_e32 v2, v1, v2
	v_max_i32_e32 v3, v2, v12
	;; [unrolled: 1-line block ×10, first 2 shown]
	;;#ASMSTART
	;;#ASMEND
.LBB3856_58:
	s_or_b64 exec, exec, s[0:1]
	s_movk_i32 s0, 0x7f
	v_cmp_eq_u32_e32 vcc, s0, v0
	s_and_saveexec_b64 s[0:1], vcc
	s_cbranch_execz .LBB3856_60
; %bb.59:
	s_waitcnt lgkmcnt(0)
	v_mov_b32_e32 v1, 0
	v_mov_b32_e32 v13, 2
	;; [unrolled: 1-line block ×3, first 2 shown]
	global_store_dwordx2 v1, v[12:13], s[14:15] offset:512
.LBB3856_60:
	s_or_b64 exec, exec, s[0:1]
	v_pk_mov_b32 v[14:15], v[10:11], v[10:11] op_sel:[0,1]
	v_pk_mov_b32 v[12:13], v[8:9], v[8:9] op_sel:[0,1]
	v_pk_mov_b32 v[10:11], v[6:7], v[6:7] op_sel:[0,1]
	v_pk_mov_b32 v[8:9], v[4:5], v[4:5] op_sel:[0,1]
	v_pk_mov_b32 v[6:7], v[2:3], v[2:3] op_sel:[0,1]
.LBB3856_61:
	s_mov_b64 s[0:1], -1
	s_and_b64 vcc, exec, s[12:13]
	s_waitcnt lgkmcnt(0)
	s_barrier
	ds_write2_b64 v23, v[6:7], v[8:9] offset1:1
	ds_write2_b64 v23, v[10:11], v[12:13] offset0:2 offset1:3
	ds_write_b64 v23, v[14:15] offset:32
	s_waitcnt lgkmcnt(0)
	s_cbranch_vccz .LBB3856_63
; %bb.62:
	s_barrier
	s_mov_b64 s[0:1], 0
.LBB3856_63:
	s_andn2_b64 vcc, exec, s[0:1]
	s_cbranch_vccnz .LBB3856_99
; %bb.64:
	v_cmp_lt_u64_e64 s[0:1], s[10:11], 2
	s_and_b64 vcc, exec, s[0:1]
	s_barrier
	s_cbranch_vccnz .LBB3856_99
; %bb.65:
	s_add_u32 s0, s18, -1
	s_addc_u32 s1, s19, -1
	s_add_u32 s2, 0, 0x99986000
	s_addc_u32 s3, 0, 0x59
	s_add_i32 s3, s3, 0x19999940
	s_mul_hi_u32 s9, s2, -10
	s_sub_i32 s9, s9, s2
	s_mul_i32 s10, s3, -10
	s_mul_i32 s4, s2, -10
	s_add_i32 s9, s9, s10
	s_mul_hi_u32 s5, s3, s4
	s_mul_i32 s8, s3, s4
	s_mul_i32 s11, s2, s9
	s_mul_hi_u32 s4, s2, s4
	s_mul_hi_u32 s10, s2, s9
	s_add_u32 s4, s4, s11
	s_addc_u32 s10, 0, s10
	s_add_u32 s4, s4, s8
	s_mul_hi_u32 s11, s3, s9
	s_addc_u32 s4, s10, s5
	s_addc_u32 s5, s11, 0
	s_mul_i32 s8, s3, s9
	s_add_u32 s4, s4, s8
	v_mov_b32_e32 v2, s4
	s_addc_u32 s5, 0, s5
	v_add_co_u32_e32 v2, vcc, s2, v2
	s_cmp_lg_u64 vcc, 0
	s_addc_u32 s2, s3, s5
	v_readfirstlane_b32 s5, v2
	s_mul_i32 s4, s0, s2
	s_mul_hi_u32 s8, s0, s5
	s_mul_hi_u32 s3, s0, s2
	s_add_u32 s4, s8, s4
	s_addc_u32 s3, 0, s3
	s_mul_hi_u32 s9, s1, s5
	s_mul_i32 s5, s1, s5
	s_add_u32 s4, s4, s5
	s_mul_hi_u32 s8, s1, s2
	s_addc_u32 s3, s3, s9
	s_addc_u32 s4, s8, 0
	s_mul_i32 s2, s1, s2
	s_add_u32 s2, s3, s2
	s_addc_u32 s3, 0, s4
	s_add_u32 s4, s2, 1
	s_addc_u32 s5, s3, 0
	s_add_u32 s8, s2, 2
	s_mul_i32 s10, s3, 10
	s_mul_hi_u32 s11, s2, 10
	s_addc_u32 s9, s3, 0
	s_add_i32 s11, s11, s10
	s_mul_i32 s10, s2, 10
	v_mov_b32_e32 v2, s10
	v_sub_co_u32_e32 v2, vcc, s0, v2
	s_cmp_lg_u64 vcc, 0
	s_subb_u32 s10, s1, s11
	v_subrev_co_u32_e32 v3, vcc, 10, v2
	s_cmp_lg_u64 vcc, 0
	s_subb_u32 s11, s10, 0
	v_readfirstlane_b32 s12, v3
	s_cmp_gt_u32 s12, 9
	s_cselect_b32 s12, -1, 0
	s_cmp_eq_u32 s11, 0
	s_cselect_b32 s11, s12, -1
	s_cmp_lg_u32 s11, 0
	s_cselect_b32 s4, s8, s4
	v_readfirstlane_b32 s8, v2
	s_cselect_b32 s5, s9, s5
	s_cmp_gt_u32 s8, 9
	s_cselect_b32 s8, -1, 0
	s_cmp_eq_u32 s10, 0
	s_cselect_b32 s8, s8, -1
	s_cmp_lg_u32 s8, 0
	v_mov_b32_e32 v1, 0
	s_cselect_b32 s3, s5, s3
	s_cselect_b32 s2, s4, s2
	v_cmp_eq_u64_e32 vcc, s[2:3], v[0:1]
	s_and_saveexec_b64 s[2:3], vcc
	s_cbranch_execz .LBB3856_99
; %bb.66:
	s_movk_i32 s2, 0xffdc
	v_mad_i32_i24 v2, v0, s2, v23
	v_mul_hi_u32_u24_e32 v1, 10, v0
	v_mov_b32_e32 v3, s1
	v_sub_co_u32_e32 v0, vcc, s0, v22
	v_subb_co_u32_e32 v1, vcc, v3, v1, vcc
	v_cmp_lt_i64_e32 vcc, 4, v[0:1]
	s_and_saveexec_b64 s[0:1], vcc
	s_xor_b64 s[0:1], exec, s[0:1]
	s_cbranch_execz .LBB3856_84
; %bb.67:
	v_cmp_lt_i64_e32 vcc, 6, v[0:1]
	s_and_saveexec_b64 s[2:3], vcc
	s_xor_b64 s[2:3], exec, s[2:3]
	s_cbranch_execz .LBB3856_77
; %bb.68:
	;; [unrolled: 5-line block ×4, first 2 shown]
	ds_read_b32 v0, v2 offset:4608
	v_mov_b32_e32 v1, 0
                                        ; implicit-def: $vgpr2
	s_waitcnt lgkmcnt(0)
	global_store_dword v1, v0, s[6:7]
.LBB3856_71:
	s_andn2_saveexec_b64 s[8:9], s[8:9]
	s_cbranch_execz .LBB3856_73
; %bb.72:
	ds_read_b32 v0, v2 offset:4096
	v_mov_b32_e32 v1, 0
	s_waitcnt lgkmcnt(0)
	global_store_dword v1, v0, s[6:7]
.LBB3856_73:
	s_or_b64 exec, exec, s[8:9]
                                        ; implicit-def: $vgpr2
.LBB3856_74:
	s_andn2_saveexec_b64 s[4:5], s[4:5]
	s_cbranch_execz .LBB3856_76
; %bb.75:
	ds_read_b32 v0, v2 offset:3584
	v_mov_b32_e32 v1, 0
	s_waitcnt lgkmcnt(0)
	global_store_dword v1, v0, s[6:7]
.LBB3856_76:
	s_or_b64 exec, exec, s[4:5]
                                        ; implicit-def: $vgpr2
                                        ; implicit-def: $vgpr0_vgpr1
.LBB3856_77:
	s_andn2_saveexec_b64 s[2:3], s[2:3]
	s_cbranch_execz .LBB3856_83
; %bb.78:
	v_cmp_lt_i64_e32 vcc, 5, v[0:1]
	s_and_saveexec_b64 s[4:5], vcc
	s_xor_b64 s[4:5], exec, s[4:5]
	s_cbranch_execz .LBB3856_80
; %bb.79:
	ds_read_b32 v0, v2 offset:3072
	v_mov_b32_e32 v1, 0
                                        ; implicit-def: $vgpr2
	s_waitcnt lgkmcnt(0)
	global_store_dword v1, v0, s[6:7]
.LBB3856_80:
	s_andn2_saveexec_b64 s[4:5], s[4:5]
	s_cbranch_execz .LBB3856_82
; %bb.81:
	ds_read_b32 v0, v2 offset:2560
	v_mov_b32_e32 v1, 0
	s_waitcnt lgkmcnt(0)
	global_store_dword v1, v0, s[6:7]
.LBB3856_82:
	s_or_b64 exec, exec, s[4:5]
.LBB3856_83:
	s_or_b64 exec, exec, s[2:3]
                                        ; implicit-def: $vgpr0_vgpr1
                                        ; implicit-def: $vgpr2
.LBB3856_84:
	s_andn2_saveexec_b64 s[0:1], s[0:1]
	s_cbranch_execz .LBB3856_99
; %bb.85:
	v_cmp_lt_i64_e32 vcc, 2, v[0:1]
	s_and_saveexec_b64 s[0:1], vcc
	s_xor_b64 s[0:1], exec, s[0:1]
	s_cbranch_execz .LBB3856_91
; %bb.86:
	v_cmp_lt_i64_e32 vcc, 3, v[0:1]
	s_and_saveexec_b64 s[2:3], vcc
	s_xor_b64 s[2:3], exec, s[2:3]
	s_cbranch_execz .LBB3856_88
; %bb.87:
	ds_read_b32 v0, v2 offset:2048
	v_mov_b32_e32 v1, 0
                                        ; implicit-def: $vgpr2
	s_waitcnt lgkmcnt(0)
	global_store_dword v1, v0, s[6:7]
.LBB3856_88:
	s_andn2_saveexec_b64 s[2:3], s[2:3]
	s_cbranch_execz .LBB3856_90
; %bb.89:
	ds_read_b32 v0, v2 offset:1536
	v_mov_b32_e32 v1, 0
	s_waitcnt lgkmcnt(0)
	global_store_dword v1, v0, s[6:7]
.LBB3856_90:
	s_or_b64 exec, exec, s[2:3]
                                        ; implicit-def: $vgpr0_vgpr1
                                        ; implicit-def: $vgpr2
.LBB3856_91:
	s_andn2_saveexec_b64 s[0:1], s[0:1]
	s_cbranch_execz .LBB3856_99
; %bb.92:
	v_cmp_lt_i64_e32 vcc, 1, v[0:1]
	s_and_saveexec_b64 s[0:1], vcc
	s_xor_b64 s[0:1], exec, s[0:1]
	s_cbranch_execz .LBB3856_94
; %bb.93:
	ds_read_b32 v0, v2 offset:1024
	v_mov_b32_e32 v1, 0
                                        ; implicit-def: $vgpr2
	s_waitcnt lgkmcnt(0)
	global_store_dword v1, v0, s[6:7]
                                        ; implicit-def: $vgpr0_vgpr1
.LBB3856_94:
	s_andn2_saveexec_b64 s[0:1], s[0:1]
	s_cbranch_execz .LBB3856_99
; %bb.95:
	v_cmp_ne_u64_e32 vcc, 1, v[0:1]
	s_and_saveexec_b64 s[0:1], vcc
	s_xor_b64 s[0:1], exec, s[0:1]
	s_cbranch_execz .LBB3856_97
; %bb.96:
	ds_read_b32 v0, v2
	v_mov_b32_e32 v1, 0
                                        ; implicit-def: $vgpr2
	s_waitcnt lgkmcnt(0)
	global_store_dword v1, v0, s[6:7]
.LBB3856_97:
	s_andn2_saveexec_b64 s[0:1], s[0:1]
	s_cbranch_execz .LBB3856_99
; %bb.98:
	ds_read_b32 v0, v2 offset:512
	v_mov_b32_e32 v1, 0
	s_waitcnt lgkmcnt(0)
	global_store_dword v1, v0, s[6:7]
.LBB3856_99:
	s_endpgm
	.section	.rodata,"a",@progbits
	.p2align	6, 0x0
	.amdhsa_kernel _ZN7rocprim17ROCPRIM_400000_NS6detail17trampoline_kernelINS0_14default_configENS1_20scan_config_selectorIiEEZZNS1_9scan_implILNS1_25lookback_scan_determinismE0ELb0ELb0ES3_N6thrust23THRUST_200600_302600_NS6detail15normal_iteratorINS9_10device_ptrIiEEEENS9_16discard_iteratorINS9_11use_defaultEEEi11max_functorIiEiEEDaPvRmT3_T4_T5_mT6_P12ihipStream_tbENKUlT_T0_E_clISt17integral_constantIbLb0EESX_EEDaSS_ST_EUlSS_E_NS1_11comp_targetILNS1_3genE4ELNS1_11target_archE910ELNS1_3gpuE8ELNS1_3repE0EEENS1_30default_config_static_selectorELNS0_4arch9wavefront6targetE1EEEvT1_
		.amdhsa_group_segment_fixed_size 5120
		.amdhsa_private_segment_fixed_size 0
		.amdhsa_kernarg_size 104
		.amdhsa_user_sgpr_count 6
		.amdhsa_user_sgpr_private_segment_buffer 1
		.amdhsa_user_sgpr_dispatch_ptr 0
		.amdhsa_user_sgpr_queue_ptr 0
		.amdhsa_user_sgpr_kernarg_segment_ptr 1
		.amdhsa_user_sgpr_dispatch_id 0
		.amdhsa_user_sgpr_flat_scratch_init 0
		.amdhsa_user_sgpr_kernarg_preload_length 0
		.amdhsa_user_sgpr_kernarg_preload_offset 0
		.amdhsa_user_sgpr_private_segment_size 0
		.amdhsa_uses_dynamic_stack 0
		.amdhsa_system_sgpr_private_segment_wavefront_offset 0
		.amdhsa_system_sgpr_workgroup_id_x 1
		.amdhsa_system_sgpr_workgroup_id_y 0
		.amdhsa_system_sgpr_workgroup_id_z 0
		.amdhsa_system_sgpr_workgroup_info 0
		.amdhsa_system_vgpr_workitem_id 0
		.amdhsa_next_free_vgpr 39
		.amdhsa_next_free_sgpr 22
		.amdhsa_accum_offset 40
		.amdhsa_reserve_vcc 1
		.amdhsa_reserve_flat_scratch 0
		.amdhsa_float_round_mode_32 0
		.amdhsa_float_round_mode_16_64 0
		.amdhsa_float_denorm_mode_32 3
		.amdhsa_float_denorm_mode_16_64 3
		.amdhsa_dx10_clamp 1
		.amdhsa_ieee_mode 1
		.amdhsa_fp16_overflow 0
		.amdhsa_tg_split 0
		.amdhsa_exception_fp_ieee_invalid_op 0
		.amdhsa_exception_fp_denorm_src 0
		.amdhsa_exception_fp_ieee_div_zero 0
		.amdhsa_exception_fp_ieee_overflow 0
		.amdhsa_exception_fp_ieee_underflow 0
		.amdhsa_exception_fp_ieee_inexact 0
		.amdhsa_exception_int_div_zero 0
	.end_amdhsa_kernel
	.section	.text._ZN7rocprim17ROCPRIM_400000_NS6detail17trampoline_kernelINS0_14default_configENS1_20scan_config_selectorIiEEZZNS1_9scan_implILNS1_25lookback_scan_determinismE0ELb0ELb0ES3_N6thrust23THRUST_200600_302600_NS6detail15normal_iteratorINS9_10device_ptrIiEEEENS9_16discard_iteratorINS9_11use_defaultEEEi11max_functorIiEiEEDaPvRmT3_T4_T5_mT6_P12ihipStream_tbENKUlT_T0_E_clISt17integral_constantIbLb0EESX_EEDaSS_ST_EUlSS_E_NS1_11comp_targetILNS1_3genE4ELNS1_11target_archE910ELNS1_3gpuE8ELNS1_3repE0EEENS1_30default_config_static_selectorELNS0_4arch9wavefront6targetE1EEEvT1_,"axG",@progbits,_ZN7rocprim17ROCPRIM_400000_NS6detail17trampoline_kernelINS0_14default_configENS1_20scan_config_selectorIiEEZZNS1_9scan_implILNS1_25lookback_scan_determinismE0ELb0ELb0ES3_N6thrust23THRUST_200600_302600_NS6detail15normal_iteratorINS9_10device_ptrIiEEEENS9_16discard_iteratorINS9_11use_defaultEEEi11max_functorIiEiEEDaPvRmT3_T4_T5_mT6_P12ihipStream_tbENKUlT_T0_E_clISt17integral_constantIbLb0EESX_EEDaSS_ST_EUlSS_E_NS1_11comp_targetILNS1_3genE4ELNS1_11target_archE910ELNS1_3gpuE8ELNS1_3repE0EEENS1_30default_config_static_selectorELNS0_4arch9wavefront6targetE1EEEvT1_,comdat
.Lfunc_end3856:
	.size	_ZN7rocprim17ROCPRIM_400000_NS6detail17trampoline_kernelINS0_14default_configENS1_20scan_config_selectorIiEEZZNS1_9scan_implILNS1_25lookback_scan_determinismE0ELb0ELb0ES3_N6thrust23THRUST_200600_302600_NS6detail15normal_iteratorINS9_10device_ptrIiEEEENS9_16discard_iteratorINS9_11use_defaultEEEi11max_functorIiEiEEDaPvRmT3_T4_T5_mT6_P12ihipStream_tbENKUlT_T0_E_clISt17integral_constantIbLb0EESX_EEDaSS_ST_EUlSS_E_NS1_11comp_targetILNS1_3genE4ELNS1_11target_archE910ELNS1_3gpuE8ELNS1_3repE0EEENS1_30default_config_static_selectorELNS0_4arch9wavefront6targetE1EEEvT1_, .Lfunc_end3856-_ZN7rocprim17ROCPRIM_400000_NS6detail17trampoline_kernelINS0_14default_configENS1_20scan_config_selectorIiEEZZNS1_9scan_implILNS1_25lookback_scan_determinismE0ELb0ELb0ES3_N6thrust23THRUST_200600_302600_NS6detail15normal_iteratorINS9_10device_ptrIiEEEENS9_16discard_iteratorINS9_11use_defaultEEEi11max_functorIiEiEEDaPvRmT3_T4_T5_mT6_P12ihipStream_tbENKUlT_T0_E_clISt17integral_constantIbLb0EESX_EEDaSS_ST_EUlSS_E_NS1_11comp_targetILNS1_3genE4ELNS1_11target_archE910ELNS1_3gpuE8ELNS1_3repE0EEENS1_30default_config_static_selectorELNS0_4arch9wavefront6targetE1EEEvT1_
                                        ; -- End function
	.section	.AMDGPU.csdata,"",@progbits
; Kernel info:
; codeLenInByte = 4008
; NumSgprs: 26
; NumVgprs: 39
; NumAgprs: 0
; TotalNumVgprs: 39
; ScratchSize: 0
; MemoryBound: 0
; FloatMode: 240
; IeeeMode: 1
; LDSByteSize: 5120 bytes/workgroup (compile time only)
; SGPRBlocks: 3
; VGPRBlocks: 4
; NumSGPRsForWavesPerEU: 26
; NumVGPRsForWavesPerEU: 39
; AccumOffset: 40
; Occupancy: 6
; WaveLimiterHint : 1
; COMPUTE_PGM_RSRC2:SCRATCH_EN: 0
; COMPUTE_PGM_RSRC2:USER_SGPR: 6
; COMPUTE_PGM_RSRC2:TRAP_HANDLER: 0
; COMPUTE_PGM_RSRC2:TGID_X_EN: 1
; COMPUTE_PGM_RSRC2:TGID_Y_EN: 0
; COMPUTE_PGM_RSRC2:TGID_Z_EN: 0
; COMPUTE_PGM_RSRC2:TIDIG_COMP_CNT: 0
; COMPUTE_PGM_RSRC3_GFX90A:ACCUM_OFFSET: 9
; COMPUTE_PGM_RSRC3_GFX90A:TG_SPLIT: 0
	.section	.text._ZN7rocprim17ROCPRIM_400000_NS6detail17trampoline_kernelINS0_14default_configENS1_20scan_config_selectorIiEEZZNS1_9scan_implILNS1_25lookback_scan_determinismE0ELb0ELb0ES3_N6thrust23THRUST_200600_302600_NS6detail15normal_iteratorINS9_10device_ptrIiEEEENS9_16discard_iteratorINS9_11use_defaultEEEi11max_functorIiEiEEDaPvRmT3_T4_T5_mT6_P12ihipStream_tbENKUlT_T0_E_clISt17integral_constantIbLb0EESX_EEDaSS_ST_EUlSS_E_NS1_11comp_targetILNS1_3genE3ELNS1_11target_archE908ELNS1_3gpuE7ELNS1_3repE0EEENS1_30default_config_static_selectorELNS0_4arch9wavefront6targetE1EEEvT1_,"axG",@progbits,_ZN7rocprim17ROCPRIM_400000_NS6detail17trampoline_kernelINS0_14default_configENS1_20scan_config_selectorIiEEZZNS1_9scan_implILNS1_25lookback_scan_determinismE0ELb0ELb0ES3_N6thrust23THRUST_200600_302600_NS6detail15normal_iteratorINS9_10device_ptrIiEEEENS9_16discard_iteratorINS9_11use_defaultEEEi11max_functorIiEiEEDaPvRmT3_T4_T5_mT6_P12ihipStream_tbENKUlT_T0_E_clISt17integral_constantIbLb0EESX_EEDaSS_ST_EUlSS_E_NS1_11comp_targetILNS1_3genE3ELNS1_11target_archE908ELNS1_3gpuE7ELNS1_3repE0EEENS1_30default_config_static_selectorELNS0_4arch9wavefront6targetE1EEEvT1_,comdat
	.protected	_ZN7rocprim17ROCPRIM_400000_NS6detail17trampoline_kernelINS0_14default_configENS1_20scan_config_selectorIiEEZZNS1_9scan_implILNS1_25lookback_scan_determinismE0ELb0ELb0ES3_N6thrust23THRUST_200600_302600_NS6detail15normal_iteratorINS9_10device_ptrIiEEEENS9_16discard_iteratorINS9_11use_defaultEEEi11max_functorIiEiEEDaPvRmT3_T4_T5_mT6_P12ihipStream_tbENKUlT_T0_E_clISt17integral_constantIbLb0EESX_EEDaSS_ST_EUlSS_E_NS1_11comp_targetILNS1_3genE3ELNS1_11target_archE908ELNS1_3gpuE7ELNS1_3repE0EEENS1_30default_config_static_selectorELNS0_4arch9wavefront6targetE1EEEvT1_ ; -- Begin function _ZN7rocprim17ROCPRIM_400000_NS6detail17trampoline_kernelINS0_14default_configENS1_20scan_config_selectorIiEEZZNS1_9scan_implILNS1_25lookback_scan_determinismE0ELb0ELb0ES3_N6thrust23THRUST_200600_302600_NS6detail15normal_iteratorINS9_10device_ptrIiEEEENS9_16discard_iteratorINS9_11use_defaultEEEi11max_functorIiEiEEDaPvRmT3_T4_T5_mT6_P12ihipStream_tbENKUlT_T0_E_clISt17integral_constantIbLb0EESX_EEDaSS_ST_EUlSS_E_NS1_11comp_targetILNS1_3genE3ELNS1_11target_archE908ELNS1_3gpuE7ELNS1_3repE0EEENS1_30default_config_static_selectorELNS0_4arch9wavefront6targetE1EEEvT1_
	.globl	_ZN7rocprim17ROCPRIM_400000_NS6detail17trampoline_kernelINS0_14default_configENS1_20scan_config_selectorIiEEZZNS1_9scan_implILNS1_25lookback_scan_determinismE0ELb0ELb0ES3_N6thrust23THRUST_200600_302600_NS6detail15normal_iteratorINS9_10device_ptrIiEEEENS9_16discard_iteratorINS9_11use_defaultEEEi11max_functorIiEiEEDaPvRmT3_T4_T5_mT6_P12ihipStream_tbENKUlT_T0_E_clISt17integral_constantIbLb0EESX_EEDaSS_ST_EUlSS_E_NS1_11comp_targetILNS1_3genE3ELNS1_11target_archE908ELNS1_3gpuE7ELNS1_3repE0EEENS1_30default_config_static_selectorELNS0_4arch9wavefront6targetE1EEEvT1_
	.p2align	8
	.type	_ZN7rocprim17ROCPRIM_400000_NS6detail17trampoline_kernelINS0_14default_configENS1_20scan_config_selectorIiEEZZNS1_9scan_implILNS1_25lookback_scan_determinismE0ELb0ELb0ES3_N6thrust23THRUST_200600_302600_NS6detail15normal_iteratorINS9_10device_ptrIiEEEENS9_16discard_iteratorINS9_11use_defaultEEEi11max_functorIiEiEEDaPvRmT3_T4_T5_mT6_P12ihipStream_tbENKUlT_T0_E_clISt17integral_constantIbLb0EESX_EEDaSS_ST_EUlSS_E_NS1_11comp_targetILNS1_3genE3ELNS1_11target_archE908ELNS1_3gpuE7ELNS1_3repE0EEENS1_30default_config_static_selectorELNS0_4arch9wavefront6targetE1EEEvT1_,@function
_ZN7rocprim17ROCPRIM_400000_NS6detail17trampoline_kernelINS0_14default_configENS1_20scan_config_selectorIiEEZZNS1_9scan_implILNS1_25lookback_scan_determinismE0ELb0ELb0ES3_N6thrust23THRUST_200600_302600_NS6detail15normal_iteratorINS9_10device_ptrIiEEEENS9_16discard_iteratorINS9_11use_defaultEEEi11max_functorIiEiEEDaPvRmT3_T4_T5_mT6_P12ihipStream_tbENKUlT_T0_E_clISt17integral_constantIbLb0EESX_EEDaSS_ST_EUlSS_E_NS1_11comp_targetILNS1_3genE3ELNS1_11target_archE908ELNS1_3gpuE7ELNS1_3repE0EEENS1_30default_config_static_selectorELNS0_4arch9wavefront6targetE1EEEvT1_: ; @_ZN7rocprim17ROCPRIM_400000_NS6detail17trampoline_kernelINS0_14default_configENS1_20scan_config_selectorIiEEZZNS1_9scan_implILNS1_25lookback_scan_determinismE0ELb0ELb0ES3_N6thrust23THRUST_200600_302600_NS6detail15normal_iteratorINS9_10device_ptrIiEEEENS9_16discard_iteratorINS9_11use_defaultEEEi11max_functorIiEiEEDaPvRmT3_T4_T5_mT6_P12ihipStream_tbENKUlT_T0_E_clISt17integral_constantIbLb0EESX_EEDaSS_ST_EUlSS_E_NS1_11comp_targetILNS1_3genE3ELNS1_11target_archE908ELNS1_3gpuE7ELNS1_3repE0EEENS1_30default_config_static_selectorELNS0_4arch9wavefront6targetE1EEEvT1_
; %bb.0:
	.section	.rodata,"a",@progbits
	.p2align	6, 0x0
	.amdhsa_kernel _ZN7rocprim17ROCPRIM_400000_NS6detail17trampoline_kernelINS0_14default_configENS1_20scan_config_selectorIiEEZZNS1_9scan_implILNS1_25lookback_scan_determinismE0ELb0ELb0ES3_N6thrust23THRUST_200600_302600_NS6detail15normal_iteratorINS9_10device_ptrIiEEEENS9_16discard_iteratorINS9_11use_defaultEEEi11max_functorIiEiEEDaPvRmT3_T4_T5_mT6_P12ihipStream_tbENKUlT_T0_E_clISt17integral_constantIbLb0EESX_EEDaSS_ST_EUlSS_E_NS1_11comp_targetILNS1_3genE3ELNS1_11target_archE908ELNS1_3gpuE7ELNS1_3repE0EEENS1_30default_config_static_selectorELNS0_4arch9wavefront6targetE1EEEvT1_
		.amdhsa_group_segment_fixed_size 0
		.amdhsa_private_segment_fixed_size 0
		.amdhsa_kernarg_size 104
		.amdhsa_user_sgpr_count 6
		.amdhsa_user_sgpr_private_segment_buffer 1
		.amdhsa_user_sgpr_dispatch_ptr 0
		.amdhsa_user_sgpr_queue_ptr 0
		.amdhsa_user_sgpr_kernarg_segment_ptr 1
		.amdhsa_user_sgpr_dispatch_id 0
		.amdhsa_user_sgpr_flat_scratch_init 0
		.amdhsa_user_sgpr_kernarg_preload_length 0
		.amdhsa_user_sgpr_kernarg_preload_offset 0
		.amdhsa_user_sgpr_private_segment_size 0
		.amdhsa_uses_dynamic_stack 0
		.amdhsa_system_sgpr_private_segment_wavefront_offset 0
		.amdhsa_system_sgpr_workgroup_id_x 1
		.amdhsa_system_sgpr_workgroup_id_y 0
		.amdhsa_system_sgpr_workgroup_id_z 0
		.amdhsa_system_sgpr_workgroup_info 0
		.amdhsa_system_vgpr_workitem_id 0
		.amdhsa_next_free_vgpr 1
		.amdhsa_next_free_sgpr 0
		.amdhsa_accum_offset 4
		.amdhsa_reserve_vcc 0
		.amdhsa_reserve_flat_scratch 0
		.amdhsa_float_round_mode_32 0
		.amdhsa_float_round_mode_16_64 0
		.amdhsa_float_denorm_mode_32 3
		.amdhsa_float_denorm_mode_16_64 3
		.amdhsa_dx10_clamp 1
		.amdhsa_ieee_mode 1
		.amdhsa_fp16_overflow 0
		.amdhsa_tg_split 0
		.amdhsa_exception_fp_ieee_invalid_op 0
		.amdhsa_exception_fp_denorm_src 0
		.amdhsa_exception_fp_ieee_div_zero 0
		.amdhsa_exception_fp_ieee_overflow 0
		.amdhsa_exception_fp_ieee_underflow 0
		.amdhsa_exception_fp_ieee_inexact 0
		.amdhsa_exception_int_div_zero 0
	.end_amdhsa_kernel
	.section	.text._ZN7rocprim17ROCPRIM_400000_NS6detail17trampoline_kernelINS0_14default_configENS1_20scan_config_selectorIiEEZZNS1_9scan_implILNS1_25lookback_scan_determinismE0ELb0ELb0ES3_N6thrust23THRUST_200600_302600_NS6detail15normal_iteratorINS9_10device_ptrIiEEEENS9_16discard_iteratorINS9_11use_defaultEEEi11max_functorIiEiEEDaPvRmT3_T4_T5_mT6_P12ihipStream_tbENKUlT_T0_E_clISt17integral_constantIbLb0EESX_EEDaSS_ST_EUlSS_E_NS1_11comp_targetILNS1_3genE3ELNS1_11target_archE908ELNS1_3gpuE7ELNS1_3repE0EEENS1_30default_config_static_selectorELNS0_4arch9wavefront6targetE1EEEvT1_,"axG",@progbits,_ZN7rocprim17ROCPRIM_400000_NS6detail17trampoline_kernelINS0_14default_configENS1_20scan_config_selectorIiEEZZNS1_9scan_implILNS1_25lookback_scan_determinismE0ELb0ELb0ES3_N6thrust23THRUST_200600_302600_NS6detail15normal_iteratorINS9_10device_ptrIiEEEENS9_16discard_iteratorINS9_11use_defaultEEEi11max_functorIiEiEEDaPvRmT3_T4_T5_mT6_P12ihipStream_tbENKUlT_T0_E_clISt17integral_constantIbLb0EESX_EEDaSS_ST_EUlSS_E_NS1_11comp_targetILNS1_3genE3ELNS1_11target_archE908ELNS1_3gpuE7ELNS1_3repE0EEENS1_30default_config_static_selectorELNS0_4arch9wavefront6targetE1EEEvT1_,comdat
.Lfunc_end3857:
	.size	_ZN7rocprim17ROCPRIM_400000_NS6detail17trampoline_kernelINS0_14default_configENS1_20scan_config_selectorIiEEZZNS1_9scan_implILNS1_25lookback_scan_determinismE0ELb0ELb0ES3_N6thrust23THRUST_200600_302600_NS6detail15normal_iteratorINS9_10device_ptrIiEEEENS9_16discard_iteratorINS9_11use_defaultEEEi11max_functorIiEiEEDaPvRmT3_T4_T5_mT6_P12ihipStream_tbENKUlT_T0_E_clISt17integral_constantIbLb0EESX_EEDaSS_ST_EUlSS_E_NS1_11comp_targetILNS1_3genE3ELNS1_11target_archE908ELNS1_3gpuE7ELNS1_3repE0EEENS1_30default_config_static_selectorELNS0_4arch9wavefront6targetE1EEEvT1_, .Lfunc_end3857-_ZN7rocprim17ROCPRIM_400000_NS6detail17trampoline_kernelINS0_14default_configENS1_20scan_config_selectorIiEEZZNS1_9scan_implILNS1_25lookback_scan_determinismE0ELb0ELb0ES3_N6thrust23THRUST_200600_302600_NS6detail15normal_iteratorINS9_10device_ptrIiEEEENS9_16discard_iteratorINS9_11use_defaultEEEi11max_functorIiEiEEDaPvRmT3_T4_T5_mT6_P12ihipStream_tbENKUlT_T0_E_clISt17integral_constantIbLb0EESX_EEDaSS_ST_EUlSS_E_NS1_11comp_targetILNS1_3genE3ELNS1_11target_archE908ELNS1_3gpuE7ELNS1_3repE0EEENS1_30default_config_static_selectorELNS0_4arch9wavefront6targetE1EEEvT1_
                                        ; -- End function
	.section	.AMDGPU.csdata,"",@progbits
; Kernel info:
; codeLenInByte = 0
; NumSgprs: 4
; NumVgprs: 0
; NumAgprs: 0
; TotalNumVgprs: 0
; ScratchSize: 0
; MemoryBound: 0
; FloatMode: 240
; IeeeMode: 1
; LDSByteSize: 0 bytes/workgroup (compile time only)
; SGPRBlocks: 0
; VGPRBlocks: 0
; NumSGPRsForWavesPerEU: 4
; NumVGPRsForWavesPerEU: 1
; AccumOffset: 4
; Occupancy: 8
; WaveLimiterHint : 0
; COMPUTE_PGM_RSRC2:SCRATCH_EN: 0
; COMPUTE_PGM_RSRC2:USER_SGPR: 6
; COMPUTE_PGM_RSRC2:TRAP_HANDLER: 0
; COMPUTE_PGM_RSRC2:TGID_X_EN: 1
; COMPUTE_PGM_RSRC2:TGID_Y_EN: 0
; COMPUTE_PGM_RSRC2:TGID_Z_EN: 0
; COMPUTE_PGM_RSRC2:TIDIG_COMP_CNT: 0
; COMPUTE_PGM_RSRC3_GFX90A:ACCUM_OFFSET: 0
; COMPUTE_PGM_RSRC3_GFX90A:TG_SPLIT: 0
	.section	.text._ZN7rocprim17ROCPRIM_400000_NS6detail17trampoline_kernelINS0_14default_configENS1_20scan_config_selectorIiEEZZNS1_9scan_implILNS1_25lookback_scan_determinismE0ELb0ELb0ES3_N6thrust23THRUST_200600_302600_NS6detail15normal_iteratorINS9_10device_ptrIiEEEENS9_16discard_iteratorINS9_11use_defaultEEEi11max_functorIiEiEEDaPvRmT3_T4_T5_mT6_P12ihipStream_tbENKUlT_T0_E_clISt17integral_constantIbLb0EESX_EEDaSS_ST_EUlSS_E_NS1_11comp_targetILNS1_3genE2ELNS1_11target_archE906ELNS1_3gpuE6ELNS1_3repE0EEENS1_30default_config_static_selectorELNS0_4arch9wavefront6targetE1EEEvT1_,"axG",@progbits,_ZN7rocprim17ROCPRIM_400000_NS6detail17trampoline_kernelINS0_14default_configENS1_20scan_config_selectorIiEEZZNS1_9scan_implILNS1_25lookback_scan_determinismE0ELb0ELb0ES3_N6thrust23THRUST_200600_302600_NS6detail15normal_iteratorINS9_10device_ptrIiEEEENS9_16discard_iteratorINS9_11use_defaultEEEi11max_functorIiEiEEDaPvRmT3_T4_T5_mT6_P12ihipStream_tbENKUlT_T0_E_clISt17integral_constantIbLb0EESX_EEDaSS_ST_EUlSS_E_NS1_11comp_targetILNS1_3genE2ELNS1_11target_archE906ELNS1_3gpuE6ELNS1_3repE0EEENS1_30default_config_static_selectorELNS0_4arch9wavefront6targetE1EEEvT1_,comdat
	.protected	_ZN7rocprim17ROCPRIM_400000_NS6detail17trampoline_kernelINS0_14default_configENS1_20scan_config_selectorIiEEZZNS1_9scan_implILNS1_25lookback_scan_determinismE0ELb0ELb0ES3_N6thrust23THRUST_200600_302600_NS6detail15normal_iteratorINS9_10device_ptrIiEEEENS9_16discard_iteratorINS9_11use_defaultEEEi11max_functorIiEiEEDaPvRmT3_T4_T5_mT6_P12ihipStream_tbENKUlT_T0_E_clISt17integral_constantIbLb0EESX_EEDaSS_ST_EUlSS_E_NS1_11comp_targetILNS1_3genE2ELNS1_11target_archE906ELNS1_3gpuE6ELNS1_3repE0EEENS1_30default_config_static_selectorELNS0_4arch9wavefront6targetE1EEEvT1_ ; -- Begin function _ZN7rocprim17ROCPRIM_400000_NS6detail17trampoline_kernelINS0_14default_configENS1_20scan_config_selectorIiEEZZNS1_9scan_implILNS1_25lookback_scan_determinismE0ELb0ELb0ES3_N6thrust23THRUST_200600_302600_NS6detail15normal_iteratorINS9_10device_ptrIiEEEENS9_16discard_iteratorINS9_11use_defaultEEEi11max_functorIiEiEEDaPvRmT3_T4_T5_mT6_P12ihipStream_tbENKUlT_T0_E_clISt17integral_constantIbLb0EESX_EEDaSS_ST_EUlSS_E_NS1_11comp_targetILNS1_3genE2ELNS1_11target_archE906ELNS1_3gpuE6ELNS1_3repE0EEENS1_30default_config_static_selectorELNS0_4arch9wavefront6targetE1EEEvT1_
	.globl	_ZN7rocprim17ROCPRIM_400000_NS6detail17trampoline_kernelINS0_14default_configENS1_20scan_config_selectorIiEEZZNS1_9scan_implILNS1_25lookback_scan_determinismE0ELb0ELb0ES3_N6thrust23THRUST_200600_302600_NS6detail15normal_iteratorINS9_10device_ptrIiEEEENS9_16discard_iteratorINS9_11use_defaultEEEi11max_functorIiEiEEDaPvRmT3_T4_T5_mT6_P12ihipStream_tbENKUlT_T0_E_clISt17integral_constantIbLb0EESX_EEDaSS_ST_EUlSS_E_NS1_11comp_targetILNS1_3genE2ELNS1_11target_archE906ELNS1_3gpuE6ELNS1_3repE0EEENS1_30default_config_static_selectorELNS0_4arch9wavefront6targetE1EEEvT1_
	.p2align	8
	.type	_ZN7rocprim17ROCPRIM_400000_NS6detail17trampoline_kernelINS0_14default_configENS1_20scan_config_selectorIiEEZZNS1_9scan_implILNS1_25lookback_scan_determinismE0ELb0ELb0ES3_N6thrust23THRUST_200600_302600_NS6detail15normal_iteratorINS9_10device_ptrIiEEEENS9_16discard_iteratorINS9_11use_defaultEEEi11max_functorIiEiEEDaPvRmT3_T4_T5_mT6_P12ihipStream_tbENKUlT_T0_E_clISt17integral_constantIbLb0EESX_EEDaSS_ST_EUlSS_E_NS1_11comp_targetILNS1_3genE2ELNS1_11target_archE906ELNS1_3gpuE6ELNS1_3repE0EEENS1_30default_config_static_selectorELNS0_4arch9wavefront6targetE1EEEvT1_,@function
_ZN7rocprim17ROCPRIM_400000_NS6detail17trampoline_kernelINS0_14default_configENS1_20scan_config_selectorIiEEZZNS1_9scan_implILNS1_25lookback_scan_determinismE0ELb0ELb0ES3_N6thrust23THRUST_200600_302600_NS6detail15normal_iteratorINS9_10device_ptrIiEEEENS9_16discard_iteratorINS9_11use_defaultEEEi11max_functorIiEiEEDaPvRmT3_T4_T5_mT6_P12ihipStream_tbENKUlT_T0_E_clISt17integral_constantIbLb0EESX_EEDaSS_ST_EUlSS_E_NS1_11comp_targetILNS1_3genE2ELNS1_11target_archE906ELNS1_3gpuE6ELNS1_3repE0EEENS1_30default_config_static_selectorELNS0_4arch9wavefront6targetE1EEEvT1_: ; @_ZN7rocprim17ROCPRIM_400000_NS6detail17trampoline_kernelINS0_14default_configENS1_20scan_config_selectorIiEEZZNS1_9scan_implILNS1_25lookback_scan_determinismE0ELb0ELb0ES3_N6thrust23THRUST_200600_302600_NS6detail15normal_iteratorINS9_10device_ptrIiEEEENS9_16discard_iteratorINS9_11use_defaultEEEi11max_functorIiEiEEDaPvRmT3_T4_T5_mT6_P12ihipStream_tbENKUlT_T0_E_clISt17integral_constantIbLb0EESX_EEDaSS_ST_EUlSS_E_NS1_11comp_targetILNS1_3genE2ELNS1_11target_archE906ELNS1_3gpuE6ELNS1_3repE0EEENS1_30default_config_static_selectorELNS0_4arch9wavefront6targetE1EEEvT1_
; %bb.0:
	.section	.rodata,"a",@progbits
	.p2align	6, 0x0
	.amdhsa_kernel _ZN7rocprim17ROCPRIM_400000_NS6detail17trampoline_kernelINS0_14default_configENS1_20scan_config_selectorIiEEZZNS1_9scan_implILNS1_25lookback_scan_determinismE0ELb0ELb0ES3_N6thrust23THRUST_200600_302600_NS6detail15normal_iteratorINS9_10device_ptrIiEEEENS9_16discard_iteratorINS9_11use_defaultEEEi11max_functorIiEiEEDaPvRmT3_T4_T5_mT6_P12ihipStream_tbENKUlT_T0_E_clISt17integral_constantIbLb0EESX_EEDaSS_ST_EUlSS_E_NS1_11comp_targetILNS1_3genE2ELNS1_11target_archE906ELNS1_3gpuE6ELNS1_3repE0EEENS1_30default_config_static_selectorELNS0_4arch9wavefront6targetE1EEEvT1_
		.amdhsa_group_segment_fixed_size 0
		.amdhsa_private_segment_fixed_size 0
		.amdhsa_kernarg_size 104
		.amdhsa_user_sgpr_count 6
		.amdhsa_user_sgpr_private_segment_buffer 1
		.amdhsa_user_sgpr_dispatch_ptr 0
		.amdhsa_user_sgpr_queue_ptr 0
		.amdhsa_user_sgpr_kernarg_segment_ptr 1
		.amdhsa_user_sgpr_dispatch_id 0
		.amdhsa_user_sgpr_flat_scratch_init 0
		.amdhsa_user_sgpr_kernarg_preload_length 0
		.amdhsa_user_sgpr_kernarg_preload_offset 0
		.amdhsa_user_sgpr_private_segment_size 0
		.amdhsa_uses_dynamic_stack 0
		.amdhsa_system_sgpr_private_segment_wavefront_offset 0
		.amdhsa_system_sgpr_workgroup_id_x 1
		.amdhsa_system_sgpr_workgroup_id_y 0
		.amdhsa_system_sgpr_workgroup_id_z 0
		.amdhsa_system_sgpr_workgroup_info 0
		.amdhsa_system_vgpr_workitem_id 0
		.amdhsa_next_free_vgpr 1
		.amdhsa_next_free_sgpr 0
		.amdhsa_accum_offset 4
		.amdhsa_reserve_vcc 0
		.amdhsa_reserve_flat_scratch 0
		.amdhsa_float_round_mode_32 0
		.amdhsa_float_round_mode_16_64 0
		.amdhsa_float_denorm_mode_32 3
		.amdhsa_float_denorm_mode_16_64 3
		.amdhsa_dx10_clamp 1
		.amdhsa_ieee_mode 1
		.amdhsa_fp16_overflow 0
		.amdhsa_tg_split 0
		.amdhsa_exception_fp_ieee_invalid_op 0
		.amdhsa_exception_fp_denorm_src 0
		.amdhsa_exception_fp_ieee_div_zero 0
		.amdhsa_exception_fp_ieee_overflow 0
		.amdhsa_exception_fp_ieee_underflow 0
		.amdhsa_exception_fp_ieee_inexact 0
		.amdhsa_exception_int_div_zero 0
	.end_amdhsa_kernel
	.section	.text._ZN7rocprim17ROCPRIM_400000_NS6detail17trampoline_kernelINS0_14default_configENS1_20scan_config_selectorIiEEZZNS1_9scan_implILNS1_25lookback_scan_determinismE0ELb0ELb0ES3_N6thrust23THRUST_200600_302600_NS6detail15normal_iteratorINS9_10device_ptrIiEEEENS9_16discard_iteratorINS9_11use_defaultEEEi11max_functorIiEiEEDaPvRmT3_T4_T5_mT6_P12ihipStream_tbENKUlT_T0_E_clISt17integral_constantIbLb0EESX_EEDaSS_ST_EUlSS_E_NS1_11comp_targetILNS1_3genE2ELNS1_11target_archE906ELNS1_3gpuE6ELNS1_3repE0EEENS1_30default_config_static_selectorELNS0_4arch9wavefront6targetE1EEEvT1_,"axG",@progbits,_ZN7rocprim17ROCPRIM_400000_NS6detail17trampoline_kernelINS0_14default_configENS1_20scan_config_selectorIiEEZZNS1_9scan_implILNS1_25lookback_scan_determinismE0ELb0ELb0ES3_N6thrust23THRUST_200600_302600_NS6detail15normal_iteratorINS9_10device_ptrIiEEEENS9_16discard_iteratorINS9_11use_defaultEEEi11max_functorIiEiEEDaPvRmT3_T4_T5_mT6_P12ihipStream_tbENKUlT_T0_E_clISt17integral_constantIbLb0EESX_EEDaSS_ST_EUlSS_E_NS1_11comp_targetILNS1_3genE2ELNS1_11target_archE906ELNS1_3gpuE6ELNS1_3repE0EEENS1_30default_config_static_selectorELNS0_4arch9wavefront6targetE1EEEvT1_,comdat
.Lfunc_end3858:
	.size	_ZN7rocprim17ROCPRIM_400000_NS6detail17trampoline_kernelINS0_14default_configENS1_20scan_config_selectorIiEEZZNS1_9scan_implILNS1_25lookback_scan_determinismE0ELb0ELb0ES3_N6thrust23THRUST_200600_302600_NS6detail15normal_iteratorINS9_10device_ptrIiEEEENS9_16discard_iteratorINS9_11use_defaultEEEi11max_functorIiEiEEDaPvRmT3_T4_T5_mT6_P12ihipStream_tbENKUlT_T0_E_clISt17integral_constantIbLb0EESX_EEDaSS_ST_EUlSS_E_NS1_11comp_targetILNS1_3genE2ELNS1_11target_archE906ELNS1_3gpuE6ELNS1_3repE0EEENS1_30default_config_static_selectorELNS0_4arch9wavefront6targetE1EEEvT1_, .Lfunc_end3858-_ZN7rocprim17ROCPRIM_400000_NS6detail17trampoline_kernelINS0_14default_configENS1_20scan_config_selectorIiEEZZNS1_9scan_implILNS1_25lookback_scan_determinismE0ELb0ELb0ES3_N6thrust23THRUST_200600_302600_NS6detail15normal_iteratorINS9_10device_ptrIiEEEENS9_16discard_iteratorINS9_11use_defaultEEEi11max_functorIiEiEEDaPvRmT3_T4_T5_mT6_P12ihipStream_tbENKUlT_T0_E_clISt17integral_constantIbLb0EESX_EEDaSS_ST_EUlSS_E_NS1_11comp_targetILNS1_3genE2ELNS1_11target_archE906ELNS1_3gpuE6ELNS1_3repE0EEENS1_30default_config_static_selectorELNS0_4arch9wavefront6targetE1EEEvT1_
                                        ; -- End function
	.section	.AMDGPU.csdata,"",@progbits
; Kernel info:
; codeLenInByte = 0
; NumSgprs: 4
; NumVgprs: 0
; NumAgprs: 0
; TotalNumVgprs: 0
; ScratchSize: 0
; MemoryBound: 0
; FloatMode: 240
; IeeeMode: 1
; LDSByteSize: 0 bytes/workgroup (compile time only)
; SGPRBlocks: 0
; VGPRBlocks: 0
; NumSGPRsForWavesPerEU: 4
; NumVGPRsForWavesPerEU: 1
; AccumOffset: 4
; Occupancy: 8
; WaveLimiterHint : 0
; COMPUTE_PGM_RSRC2:SCRATCH_EN: 0
; COMPUTE_PGM_RSRC2:USER_SGPR: 6
; COMPUTE_PGM_RSRC2:TRAP_HANDLER: 0
; COMPUTE_PGM_RSRC2:TGID_X_EN: 1
; COMPUTE_PGM_RSRC2:TGID_Y_EN: 0
; COMPUTE_PGM_RSRC2:TGID_Z_EN: 0
; COMPUTE_PGM_RSRC2:TIDIG_COMP_CNT: 0
; COMPUTE_PGM_RSRC3_GFX90A:ACCUM_OFFSET: 0
; COMPUTE_PGM_RSRC3_GFX90A:TG_SPLIT: 0
	.section	.text._ZN7rocprim17ROCPRIM_400000_NS6detail17trampoline_kernelINS0_14default_configENS1_20scan_config_selectorIiEEZZNS1_9scan_implILNS1_25lookback_scan_determinismE0ELb0ELb0ES3_N6thrust23THRUST_200600_302600_NS6detail15normal_iteratorINS9_10device_ptrIiEEEENS9_16discard_iteratorINS9_11use_defaultEEEi11max_functorIiEiEEDaPvRmT3_T4_T5_mT6_P12ihipStream_tbENKUlT_T0_E_clISt17integral_constantIbLb0EESX_EEDaSS_ST_EUlSS_E_NS1_11comp_targetILNS1_3genE10ELNS1_11target_archE1201ELNS1_3gpuE5ELNS1_3repE0EEENS1_30default_config_static_selectorELNS0_4arch9wavefront6targetE1EEEvT1_,"axG",@progbits,_ZN7rocprim17ROCPRIM_400000_NS6detail17trampoline_kernelINS0_14default_configENS1_20scan_config_selectorIiEEZZNS1_9scan_implILNS1_25lookback_scan_determinismE0ELb0ELb0ES3_N6thrust23THRUST_200600_302600_NS6detail15normal_iteratorINS9_10device_ptrIiEEEENS9_16discard_iteratorINS9_11use_defaultEEEi11max_functorIiEiEEDaPvRmT3_T4_T5_mT6_P12ihipStream_tbENKUlT_T0_E_clISt17integral_constantIbLb0EESX_EEDaSS_ST_EUlSS_E_NS1_11comp_targetILNS1_3genE10ELNS1_11target_archE1201ELNS1_3gpuE5ELNS1_3repE0EEENS1_30default_config_static_selectorELNS0_4arch9wavefront6targetE1EEEvT1_,comdat
	.protected	_ZN7rocprim17ROCPRIM_400000_NS6detail17trampoline_kernelINS0_14default_configENS1_20scan_config_selectorIiEEZZNS1_9scan_implILNS1_25lookback_scan_determinismE0ELb0ELb0ES3_N6thrust23THRUST_200600_302600_NS6detail15normal_iteratorINS9_10device_ptrIiEEEENS9_16discard_iteratorINS9_11use_defaultEEEi11max_functorIiEiEEDaPvRmT3_T4_T5_mT6_P12ihipStream_tbENKUlT_T0_E_clISt17integral_constantIbLb0EESX_EEDaSS_ST_EUlSS_E_NS1_11comp_targetILNS1_3genE10ELNS1_11target_archE1201ELNS1_3gpuE5ELNS1_3repE0EEENS1_30default_config_static_selectorELNS0_4arch9wavefront6targetE1EEEvT1_ ; -- Begin function _ZN7rocprim17ROCPRIM_400000_NS6detail17trampoline_kernelINS0_14default_configENS1_20scan_config_selectorIiEEZZNS1_9scan_implILNS1_25lookback_scan_determinismE0ELb0ELb0ES3_N6thrust23THRUST_200600_302600_NS6detail15normal_iteratorINS9_10device_ptrIiEEEENS9_16discard_iteratorINS9_11use_defaultEEEi11max_functorIiEiEEDaPvRmT3_T4_T5_mT6_P12ihipStream_tbENKUlT_T0_E_clISt17integral_constantIbLb0EESX_EEDaSS_ST_EUlSS_E_NS1_11comp_targetILNS1_3genE10ELNS1_11target_archE1201ELNS1_3gpuE5ELNS1_3repE0EEENS1_30default_config_static_selectorELNS0_4arch9wavefront6targetE1EEEvT1_
	.globl	_ZN7rocprim17ROCPRIM_400000_NS6detail17trampoline_kernelINS0_14default_configENS1_20scan_config_selectorIiEEZZNS1_9scan_implILNS1_25lookback_scan_determinismE0ELb0ELb0ES3_N6thrust23THRUST_200600_302600_NS6detail15normal_iteratorINS9_10device_ptrIiEEEENS9_16discard_iteratorINS9_11use_defaultEEEi11max_functorIiEiEEDaPvRmT3_T4_T5_mT6_P12ihipStream_tbENKUlT_T0_E_clISt17integral_constantIbLb0EESX_EEDaSS_ST_EUlSS_E_NS1_11comp_targetILNS1_3genE10ELNS1_11target_archE1201ELNS1_3gpuE5ELNS1_3repE0EEENS1_30default_config_static_selectorELNS0_4arch9wavefront6targetE1EEEvT1_
	.p2align	8
	.type	_ZN7rocprim17ROCPRIM_400000_NS6detail17trampoline_kernelINS0_14default_configENS1_20scan_config_selectorIiEEZZNS1_9scan_implILNS1_25lookback_scan_determinismE0ELb0ELb0ES3_N6thrust23THRUST_200600_302600_NS6detail15normal_iteratorINS9_10device_ptrIiEEEENS9_16discard_iteratorINS9_11use_defaultEEEi11max_functorIiEiEEDaPvRmT3_T4_T5_mT6_P12ihipStream_tbENKUlT_T0_E_clISt17integral_constantIbLb0EESX_EEDaSS_ST_EUlSS_E_NS1_11comp_targetILNS1_3genE10ELNS1_11target_archE1201ELNS1_3gpuE5ELNS1_3repE0EEENS1_30default_config_static_selectorELNS0_4arch9wavefront6targetE1EEEvT1_,@function
_ZN7rocprim17ROCPRIM_400000_NS6detail17trampoline_kernelINS0_14default_configENS1_20scan_config_selectorIiEEZZNS1_9scan_implILNS1_25lookback_scan_determinismE0ELb0ELb0ES3_N6thrust23THRUST_200600_302600_NS6detail15normal_iteratorINS9_10device_ptrIiEEEENS9_16discard_iteratorINS9_11use_defaultEEEi11max_functorIiEiEEDaPvRmT3_T4_T5_mT6_P12ihipStream_tbENKUlT_T0_E_clISt17integral_constantIbLb0EESX_EEDaSS_ST_EUlSS_E_NS1_11comp_targetILNS1_3genE10ELNS1_11target_archE1201ELNS1_3gpuE5ELNS1_3repE0EEENS1_30default_config_static_selectorELNS0_4arch9wavefront6targetE1EEEvT1_: ; @_ZN7rocprim17ROCPRIM_400000_NS6detail17trampoline_kernelINS0_14default_configENS1_20scan_config_selectorIiEEZZNS1_9scan_implILNS1_25lookback_scan_determinismE0ELb0ELb0ES3_N6thrust23THRUST_200600_302600_NS6detail15normal_iteratorINS9_10device_ptrIiEEEENS9_16discard_iteratorINS9_11use_defaultEEEi11max_functorIiEiEEDaPvRmT3_T4_T5_mT6_P12ihipStream_tbENKUlT_T0_E_clISt17integral_constantIbLb0EESX_EEDaSS_ST_EUlSS_E_NS1_11comp_targetILNS1_3genE10ELNS1_11target_archE1201ELNS1_3gpuE5ELNS1_3repE0EEENS1_30default_config_static_selectorELNS0_4arch9wavefront6targetE1EEEvT1_
; %bb.0:
	.section	.rodata,"a",@progbits
	.p2align	6, 0x0
	.amdhsa_kernel _ZN7rocprim17ROCPRIM_400000_NS6detail17trampoline_kernelINS0_14default_configENS1_20scan_config_selectorIiEEZZNS1_9scan_implILNS1_25lookback_scan_determinismE0ELb0ELb0ES3_N6thrust23THRUST_200600_302600_NS6detail15normal_iteratorINS9_10device_ptrIiEEEENS9_16discard_iteratorINS9_11use_defaultEEEi11max_functorIiEiEEDaPvRmT3_T4_T5_mT6_P12ihipStream_tbENKUlT_T0_E_clISt17integral_constantIbLb0EESX_EEDaSS_ST_EUlSS_E_NS1_11comp_targetILNS1_3genE10ELNS1_11target_archE1201ELNS1_3gpuE5ELNS1_3repE0EEENS1_30default_config_static_selectorELNS0_4arch9wavefront6targetE1EEEvT1_
		.amdhsa_group_segment_fixed_size 0
		.amdhsa_private_segment_fixed_size 0
		.amdhsa_kernarg_size 104
		.amdhsa_user_sgpr_count 6
		.amdhsa_user_sgpr_private_segment_buffer 1
		.amdhsa_user_sgpr_dispatch_ptr 0
		.amdhsa_user_sgpr_queue_ptr 0
		.amdhsa_user_sgpr_kernarg_segment_ptr 1
		.amdhsa_user_sgpr_dispatch_id 0
		.amdhsa_user_sgpr_flat_scratch_init 0
		.amdhsa_user_sgpr_kernarg_preload_length 0
		.amdhsa_user_sgpr_kernarg_preload_offset 0
		.amdhsa_user_sgpr_private_segment_size 0
		.amdhsa_uses_dynamic_stack 0
		.amdhsa_system_sgpr_private_segment_wavefront_offset 0
		.amdhsa_system_sgpr_workgroup_id_x 1
		.amdhsa_system_sgpr_workgroup_id_y 0
		.amdhsa_system_sgpr_workgroup_id_z 0
		.amdhsa_system_sgpr_workgroup_info 0
		.amdhsa_system_vgpr_workitem_id 0
		.amdhsa_next_free_vgpr 1
		.amdhsa_next_free_sgpr 0
		.amdhsa_accum_offset 4
		.amdhsa_reserve_vcc 0
		.amdhsa_reserve_flat_scratch 0
		.amdhsa_float_round_mode_32 0
		.amdhsa_float_round_mode_16_64 0
		.amdhsa_float_denorm_mode_32 3
		.amdhsa_float_denorm_mode_16_64 3
		.amdhsa_dx10_clamp 1
		.amdhsa_ieee_mode 1
		.amdhsa_fp16_overflow 0
		.amdhsa_tg_split 0
		.amdhsa_exception_fp_ieee_invalid_op 0
		.amdhsa_exception_fp_denorm_src 0
		.amdhsa_exception_fp_ieee_div_zero 0
		.amdhsa_exception_fp_ieee_overflow 0
		.amdhsa_exception_fp_ieee_underflow 0
		.amdhsa_exception_fp_ieee_inexact 0
		.amdhsa_exception_int_div_zero 0
	.end_amdhsa_kernel
	.section	.text._ZN7rocprim17ROCPRIM_400000_NS6detail17trampoline_kernelINS0_14default_configENS1_20scan_config_selectorIiEEZZNS1_9scan_implILNS1_25lookback_scan_determinismE0ELb0ELb0ES3_N6thrust23THRUST_200600_302600_NS6detail15normal_iteratorINS9_10device_ptrIiEEEENS9_16discard_iteratorINS9_11use_defaultEEEi11max_functorIiEiEEDaPvRmT3_T4_T5_mT6_P12ihipStream_tbENKUlT_T0_E_clISt17integral_constantIbLb0EESX_EEDaSS_ST_EUlSS_E_NS1_11comp_targetILNS1_3genE10ELNS1_11target_archE1201ELNS1_3gpuE5ELNS1_3repE0EEENS1_30default_config_static_selectorELNS0_4arch9wavefront6targetE1EEEvT1_,"axG",@progbits,_ZN7rocprim17ROCPRIM_400000_NS6detail17trampoline_kernelINS0_14default_configENS1_20scan_config_selectorIiEEZZNS1_9scan_implILNS1_25lookback_scan_determinismE0ELb0ELb0ES3_N6thrust23THRUST_200600_302600_NS6detail15normal_iteratorINS9_10device_ptrIiEEEENS9_16discard_iteratorINS9_11use_defaultEEEi11max_functorIiEiEEDaPvRmT3_T4_T5_mT6_P12ihipStream_tbENKUlT_T0_E_clISt17integral_constantIbLb0EESX_EEDaSS_ST_EUlSS_E_NS1_11comp_targetILNS1_3genE10ELNS1_11target_archE1201ELNS1_3gpuE5ELNS1_3repE0EEENS1_30default_config_static_selectorELNS0_4arch9wavefront6targetE1EEEvT1_,comdat
.Lfunc_end3859:
	.size	_ZN7rocprim17ROCPRIM_400000_NS6detail17trampoline_kernelINS0_14default_configENS1_20scan_config_selectorIiEEZZNS1_9scan_implILNS1_25lookback_scan_determinismE0ELb0ELb0ES3_N6thrust23THRUST_200600_302600_NS6detail15normal_iteratorINS9_10device_ptrIiEEEENS9_16discard_iteratorINS9_11use_defaultEEEi11max_functorIiEiEEDaPvRmT3_T4_T5_mT6_P12ihipStream_tbENKUlT_T0_E_clISt17integral_constantIbLb0EESX_EEDaSS_ST_EUlSS_E_NS1_11comp_targetILNS1_3genE10ELNS1_11target_archE1201ELNS1_3gpuE5ELNS1_3repE0EEENS1_30default_config_static_selectorELNS0_4arch9wavefront6targetE1EEEvT1_, .Lfunc_end3859-_ZN7rocprim17ROCPRIM_400000_NS6detail17trampoline_kernelINS0_14default_configENS1_20scan_config_selectorIiEEZZNS1_9scan_implILNS1_25lookback_scan_determinismE0ELb0ELb0ES3_N6thrust23THRUST_200600_302600_NS6detail15normal_iteratorINS9_10device_ptrIiEEEENS9_16discard_iteratorINS9_11use_defaultEEEi11max_functorIiEiEEDaPvRmT3_T4_T5_mT6_P12ihipStream_tbENKUlT_T0_E_clISt17integral_constantIbLb0EESX_EEDaSS_ST_EUlSS_E_NS1_11comp_targetILNS1_3genE10ELNS1_11target_archE1201ELNS1_3gpuE5ELNS1_3repE0EEENS1_30default_config_static_selectorELNS0_4arch9wavefront6targetE1EEEvT1_
                                        ; -- End function
	.section	.AMDGPU.csdata,"",@progbits
; Kernel info:
; codeLenInByte = 0
; NumSgprs: 4
; NumVgprs: 0
; NumAgprs: 0
; TotalNumVgprs: 0
; ScratchSize: 0
; MemoryBound: 0
; FloatMode: 240
; IeeeMode: 1
; LDSByteSize: 0 bytes/workgroup (compile time only)
; SGPRBlocks: 0
; VGPRBlocks: 0
; NumSGPRsForWavesPerEU: 4
; NumVGPRsForWavesPerEU: 1
; AccumOffset: 4
; Occupancy: 8
; WaveLimiterHint : 0
; COMPUTE_PGM_RSRC2:SCRATCH_EN: 0
; COMPUTE_PGM_RSRC2:USER_SGPR: 6
; COMPUTE_PGM_RSRC2:TRAP_HANDLER: 0
; COMPUTE_PGM_RSRC2:TGID_X_EN: 1
; COMPUTE_PGM_RSRC2:TGID_Y_EN: 0
; COMPUTE_PGM_RSRC2:TGID_Z_EN: 0
; COMPUTE_PGM_RSRC2:TIDIG_COMP_CNT: 0
; COMPUTE_PGM_RSRC3_GFX90A:ACCUM_OFFSET: 0
; COMPUTE_PGM_RSRC3_GFX90A:TG_SPLIT: 0
	.section	.text._ZN7rocprim17ROCPRIM_400000_NS6detail17trampoline_kernelINS0_14default_configENS1_20scan_config_selectorIiEEZZNS1_9scan_implILNS1_25lookback_scan_determinismE0ELb0ELb0ES3_N6thrust23THRUST_200600_302600_NS6detail15normal_iteratorINS9_10device_ptrIiEEEENS9_16discard_iteratorINS9_11use_defaultEEEi11max_functorIiEiEEDaPvRmT3_T4_T5_mT6_P12ihipStream_tbENKUlT_T0_E_clISt17integral_constantIbLb0EESX_EEDaSS_ST_EUlSS_E_NS1_11comp_targetILNS1_3genE10ELNS1_11target_archE1200ELNS1_3gpuE4ELNS1_3repE0EEENS1_30default_config_static_selectorELNS0_4arch9wavefront6targetE1EEEvT1_,"axG",@progbits,_ZN7rocprim17ROCPRIM_400000_NS6detail17trampoline_kernelINS0_14default_configENS1_20scan_config_selectorIiEEZZNS1_9scan_implILNS1_25lookback_scan_determinismE0ELb0ELb0ES3_N6thrust23THRUST_200600_302600_NS6detail15normal_iteratorINS9_10device_ptrIiEEEENS9_16discard_iteratorINS9_11use_defaultEEEi11max_functorIiEiEEDaPvRmT3_T4_T5_mT6_P12ihipStream_tbENKUlT_T0_E_clISt17integral_constantIbLb0EESX_EEDaSS_ST_EUlSS_E_NS1_11comp_targetILNS1_3genE10ELNS1_11target_archE1200ELNS1_3gpuE4ELNS1_3repE0EEENS1_30default_config_static_selectorELNS0_4arch9wavefront6targetE1EEEvT1_,comdat
	.protected	_ZN7rocprim17ROCPRIM_400000_NS6detail17trampoline_kernelINS0_14default_configENS1_20scan_config_selectorIiEEZZNS1_9scan_implILNS1_25lookback_scan_determinismE0ELb0ELb0ES3_N6thrust23THRUST_200600_302600_NS6detail15normal_iteratorINS9_10device_ptrIiEEEENS9_16discard_iteratorINS9_11use_defaultEEEi11max_functorIiEiEEDaPvRmT3_T4_T5_mT6_P12ihipStream_tbENKUlT_T0_E_clISt17integral_constantIbLb0EESX_EEDaSS_ST_EUlSS_E_NS1_11comp_targetILNS1_3genE10ELNS1_11target_archE1200ELNS1_3gpuE4ELNS1_3repE0EEENS1_30default_config_static_selectorELNS0_4arch9wavefront6targetE1EEEvT1_ ; -- Begin function _ZN7rocprim17ROCPRIM_400000_NS6detail17trampoline_kernelINS0_14default_configENS1_20scan_config_selectorIiEEZZNS1_9scan_implILNS1_25lookback_scan_determinismE0ELb0ELb0ES3_N6thrust23THRUST_200600_302600_NS6detail15normal_iteratorINS9_10device_ptrIiEEEENS9_16discard_iteratorINS9_11use_defaultEEEi11max_functorIiEiEEDaPvRmT3_T4_T5_mT6_P12ihipStream_tbENKUlT_T0_E_clISt17integral_constantIbLb0EESX_EEDaSS_ST_EUlSS_E_NS1_11comp_targetILNS1_3genE10ELNS1_11target_archE1200ELNS1_3gpuE4ELNS1_3repE0EEENS1_30default_config_static_selectorELNS0_4arch9wavefront6targetE1EEEvT1_
	.globl	_ZN7rocprim17ROCPRIM_400000_NS6detail17trampoline_kernelINS0_14default_configENS1_20scan_config_selectorIiEEZZNS1_9scan_implILNS1_25lookback_scan_determinismE0ELb0ELb0ES3_N6thrust23THRUST_200600_302600_NS6detail15normal_iteratorINS9_10device_ptrIiEEEENS9_16discard_iteratorINS9_11use_defaultEEEi11max_functorIiEiEEDaPvRmT3_T4_T5_mT6_P12ihipStream_tbENKUlT_T0_E_clISt17integral_constantIbLb0EESX_EEDaSS_ST_EUlSS_E_NS1_11comp_targetILNS1_3genE10ELNS1_11target_archE1200ELNS1_3gpuE4ELNS1_3repE0EEENS1_30default_config_static_selectorELNS0_4arch9wavefront6targetE1EEEvT1_
	.p2align	8
	.type	_ZN7rocprim17ROCPRIM_400000_NS6detail17trampoline_kernelINS0_14default_configENS1_20scan_config_selectorIiEEZZNS1_9scan_implILNS1_25lookback_scan_determinismE0ELb0ELb0ES3_N6thrust23THRUST_200600_302600_NS6detail15normal_iteratorINS9_10device_ptrIiEEEENS9_16discard_iteratorINS9_11use_defaultEEEi11max_functorIiEiEEDaPvRmT3_T4_T5_mT6_P12ihipStream_tbENKUlT_T0_E_clISt17integral_constantIbLb0EESX_EEDaSS_ST_EUlSS_E_NS1_11comp_targetILNS1_3genE10ELNS1_11target_archE1200ELNS1_3gpuE4ELNS1_3repE0EEENS1_30default_config_static_selectorELNS0_4arch9wavefront6targetE1EEEvT1_,@function
_ZN7rocprim17ROCPRIM_400000_NS6detail17trampoline_kernelINS0_14default_configENS1_20scan_config_selectorIiEEZZNS1_9scan_implILNS1_25lookback_scan_determinismE0ELb0ELb0ES3_N6thrust23THRUST_200600_302600_NS6detail15normal_iteratorINS9_10device_ptrIiEEEENS9_16discard_iteratorINS9_11use_defaultEEEi11max_functorIiEiEEDaPvRmT3_T4_T5_mT6_P12ihipStream_tbENKUlT_T0_E_clISt17integral_constantIbLb0EESX_EEDaSS_ST_EUlSS_E_NS1_11comp_targetILNS1_3genE10ELNS1_11target_archE1200ELNS1_3gpuE4ELNS1_3repE0EEENS1_30default_config_static_selectorELNS0_4arch9wavefront6targetE1EEEvT1_: ; @_ZN7rocprim17ROCPRIM_400000_NS6detail17trampoline_kernelINS0_14default_configENS1_20scan_config_selectorIiEEZZNS1_9scan_implILNS1_25lookback_scan_determinismE0ELb0ELb0ES3_N6thrust23THRUST_200600_302600_NS6detail15normal_iteratorINS9_10device_ptrIiEEEENS9_16discard_iteratorINS9_11use_defaultEEEi11max_functorIiEiEEDaPvRmT3_T4_T5_mT6_P12ihipStream_tbENKUlT_T0_E_clISt17integral_constantIbLb0EESX_EEDaSS_ST_EUlSS_E_NS1_11comp_targetILNS1_3genE10ELNS1_11target_archE1200ELNS1_3gpuE4ELNS1_3repE0EEENS1_30default_config_static_selectorELNS0_4arch9wavefront6targetE1EEEvT1_
; %bb.0:
	.section	.rodata,"a",@progbits
	.p2align	6, 0x0
	.amdhsa_kernel _ZN7rocprim17ROCPRIM_400000_NS6detail17trampoline_kernelINS0_14default_configENS1_20scan_config_selectorIiEEZZNS1_9scan_implILNS1_25lookback_scan_determinismE0ELb0ELb0ES3_N6thrust23THRUST_200600_302600_NS6detail15normal_iteratorINS9_10device_ptrIiEEEENS9_16discard_iteratorINS9_11use_defaultEEEi11max_functorIiEiEEDaPvRmT3_T4_T5_mT6_P12ihipStream_tbENKUlT_T0_E_clISt17integral_constantIbLb0EESX_EEDaSS_ST_EUlSS_E_NS1_11comp_targetILNS1_3genE10ELNS1_11target_archE1200ELNS1_3gpuE4ELNS1_3repE0EEENS1_30default_config_static_selectorELNS0_4arch9wavefront6targetE1EEEvT1_
		.amdhsa_group_segment_fixed_size 0
		.amdhsa_private_segment_fixed_size 0
		.amdhsa_kernarg_size 104
		.amdhsa_user_sgpr_count 6
		.amdhsa_user_sgpr_private_segment_buffer 1
		.amdhsa_user_sgpr_dispatch_ptr 0
		.amdhsa_user_sgpr_queue_ptr 0
		.amdhsa_user_sgpr_kernarg_segment_ptr 1
		.amdhsa_user_sgpr_dispatch_id 0
		.amdhsa_user_sgpr_flat_scratch_init 0
		.amdhsa_user_sgpr_kernarg_preload_length 0
		.amdhsa_user_sgpr_kernarg_preload_offset 0
		.amdhsa_user_sgpr_private_segment_size 0
		.amdhsa_uses_dynamic_stack 0
		.amdhsa_system_sgpr_private_segment_wavefront_offset 0
		.amdhsa_system_sgpr_workgroup_id_x 1
		.amdhsa_system_sgpr_workgroup_id_y 0
		.amdhsa_system_sgpr_workgroup_id_z 0
		.amdhsa_system_sgpr_workgroup_info 0
		.amdhsa_system_vgpr_workitem_id 0
		.amdhsa_next_free_vgpr 1
		.amdhsa_next_free_sgpr 0
		.amdhsa_accum_offset 4
		.amdhsa_reserve_vcc 0
		.amdhsa_reserve_flat_scratch 0
		.amdhsa_float_round_mode_32 0
		.amdhsa_float_round_mode_16_64 0
		.amdhsa_float_denorm_mode_32 3
		.amdhsa_float_denorm_mode_16_64 3
		.amdhsa_dx10_clamp 1
		.amdhsa_ieee_mode 1
		.amdhsa_fp16_overflow 0
		.amdhsa_tg_split 0
		.amdhsa_exception_fp_ieee_invalid_op 0
		.amdhsa_exception_fp_denorm_src 0
		.amdhsa_exception_fp_ieee_div_zero 0
		.amdhsa_exception_fp_ieee_overflow 0
		.amdhsa_exception_fp_ieee_underflow 0
		.amdhsa_exception_fp_ieee_inexact 0
		.amdhsa_exception_int_div_zero 0
	.end_amdhsa_kernel
	.section	.text._ZN7rocprim17ROCPRIM_400000_NS6detail17trampoline_kernelINS0_14default_configENS1_20scan_config_selectorIiEEZZNS1_9scan_implILNS1_25lookback_scan_determinismE0ELb0ELb0ES3_N6thrust23THRUST_200600_302600_NS6detail15normal_iteratorINS9_10device_ptrIiEEEENS9_16discard_iteratorINS9_11use_defaultEEEi11max_functorIiEiEEDaPvRmT3_T4_T5_mT6_P12ihipStream_tbENKUlT_T0_E_clISt17integral_constantIbLb0EESX_EEDaSS_ST_EUlSS_E_NS1_11comp_targetILNS1_3genE10ELNS1_11target_archE1200ELNS1_3gpuE4ELNS1_3repE0EEENS1_30default_config_static_selectorELNS0_4arch9wavefront6targetE1EEEvT1_,"axG",@progbits,_ZN7rocprim17ROCPRIM_400000_NS6detail17trampoline_kernelINS0_14default_configENS1_20scan_config_selectorIiEEZZNS1_9scan_implILNS1_25lookback_scan_determinismE0ELb0ELb0ES3_N6thrust23THRUST_200600_302600_NS6detail15normal_iteratorINS9_10device_ptrIiEEEENS9_16discard_iteratorINS9_11use_defaultEEEi11max_functorIiEiEEDaPvRmT3_T4_T5_mT6_P12ihipStream_tbENKUlT_T0_E_clISt17integral_constantIbLb0EESX_EEDaSS_ST_EUlSS_E_NS1_11comp_targetILNS1_3genE10ELNS1_11target_archE1200ELNS1_3gpuE4ELNS1_3repE0EEENS1_30default_config_static_selectorELNS0_4arch9wavefront6targetE1EEEvT1_,comdat
.Lfunc_end3860:
	.size	_ZN7rocprim17ROCPRIM_400000_NS6detail17trampoline_kernelINS0_14default_configENS1_20scan_config_selectorIiEEZZNS1_9scan_implILNS1_25lookback_scan_determinismE0ELb0ELb0ES3_N6thrust23THRUST_200600_302600_NS6detail15normal_iteratorINS9_10device_ptrIiEEEENS9_16discard_iteratorINS9_11use_defaultEEEi11max_functorIiEiEEDaPvRmT3_T4_T5_mT6_P12ihipStream_tbENKUlT_T0_E_clISt17integral_constantIbLb0EESX_EEDaSS_ST_EUlSS_E_NS1_11comp_targetILNS1_3genE10ELNS1_11target_archE1200ELNS1_3gpuE4ELNS1_3repE0EEENS1_30default_config_static_selectorELNS0_4arch9wavefront6targetE1EEEvT1_, .Lfunc_end3860-_ZN7rocprim17ROCPRIM_400000_NS6detail17trampoline_kernelINS0_14default_configENS1_20scan_config_selectorIiEEZZNS1_9scan_implILNS1_25lookback_scan_determinismE0ELb0ELb0ES3_N6thrust23THRUST_200600_302600_NS6detail15normal_iteratorINS9_10device_ptrIiEEEENS9_16discard_iteratorINS9_11use_defaultEEEi11max_functorIiEiEEDaPvRmT3_T4_T5_mT6_P12ihipStream_tbENKUlT_T0_E_clISt17integral_constantIbLb0EESX_EEDaSS_ST_EUlSS_E_NS1_11comp_targetILNS1_3genE10ELNS1_11target_archE1200ELNS1_3gpuE4ELNS1_3repE0EEENS1_30default_config_static_selectorELNS0_4arch9wavefront6targetE1EEEvT1_
                                        ; -- End function
	.section	.AMDGPU.csdata,"",@progbits
; Kernel info:
; codeLenInByte = 0
; NumSgprs: 4
; NumVgprs: 0
; NumAgprs: 0
; TotalNumVgprs: 0
; ScratchSize: 0
; MemoryBound: 0
; FloatMode: 240
; IeeeMode: 1
; LDSByteSize: 0 bytes/workgroup (compile time only)
; SGPRBlocks: 0
; VGPRBlocks: 0
; NumSGPRsForWavesPerEU: 4
; NumVGPRsForWavesPerEU: 1
; AccumOffset: 4
; Occupancy: 8
; WaveLimiterHint : 0
; COMPUTE_PGM_RSRC2:SCRATCH_EN: 0
; COMPUTE_PGM_RSRC2:USER_SGPR: 6
; COMPUTE_PGM_RSRC2:TRAP_HANDLER: 0
; COMPUTE_PGM_RSRC2:TGID_X_EN: 1
; COMPUTE_PGM_RSRC2:TGID_Y_EN: 0
; COMPUTE_PGM_RSRC2:TGID_Z_EN: 0
; COMPUTE_PGM_RSRC2:TIDIG_COMP_CNT: 0
; COMPUTE_PGM_RSRC3_GFX90A:ACCUM_OFFSET: 0
; COMPUTE_PGM_RSRC3_GFX90A:TG_SPLIT: 0
	.section	.text._ZN7rocprim17ROCPRIM_400000_NS6detail17trampoline_kernelINS0_14default_configENS1_20scan_config_selectorIiEEZZNS1_9scan_implILNS1_25lookback_scan_determinismE0ELb0ELb0ES3_N6thrust23THRUST_200600_302600_NS6detail15normal_iteratorINS9_10device_ptrIiEEEENS9_16discard_iteratorINS9_11use_defaultEEEi11max_functorIiEiEEDaPvRmT3_T4_T5_mT6_P12ihipStream_tbENKUlT_T0_E_clISt17integral_constantIbLb0EESX_EEDaSS_ST_EUlSS_E_NS1_11comp_targetILNS1_3genE9ELNS1_11target_archE1100ELNS1_3gpuE3ELNS1_3repE0EEENS1_30default_config_static_selectorELNS0_4arch9wavefront6targetE1EEEvT1_,"axG",@progbits,_ZN7rocprim17ROCPRIM_400000_NS6detail17trampoline_kernelINS0_14default_configENS1_20scan_config_selectorIiEEZZNS1_9scan_implILNS1_25lookback_scan_determinismE0ELb0ELb0ES3_N6thrust23THRUST_200600_302600_NS6detail15normal_iteratorINS9_10device_ptrIiEEEENS9_16discard_iteratorINS9_11use_defaultEEEi11max_functorIiEiEEDaPvRmT3_T4_T5_mT6_P12ihipStream_tbENKUlT_T0_E_clISt17integral_constantIbLb0EESX_EEDaSS_ST_EUlSS_E_NS1_11comp_targetILNS1_3genE9ELNS1_11target_archE1100ELNS1_3gpuE3ELNS1_3repE0EEENS1_30default_config_static_selectorELNS0_4arch9wavefront6targetE1EEEvT1_,comdat
	.protected	_ZN7rocprim17ROCPRIM_400000_NS6detail17trampoline_kernelINS0_14default_configENS1_20scan_config_selectorIiEEZZNS1_9scan_implILNS1_25lookback_scan_determinismE0ELb0ELb0ES3_N6thrust23THRUST_200600_302600_NS6detail15normal_iteratorINS9_10device_ptrIiEEEENS9_16discard_iteratorINS9_11use_defaultEEEi11max_functorIiEiEEDaPvRmT3_T4_T5_mT6_P12ihipStream_tbENKUlT_T0_E_clISt17integral_constantIbLb0EESX_EEDaSS_ST_EUlSS_E_NS1_11comp_targetILNS1_3genE9ELNS1_11target_archE1100ELNS1_3gpuE3ELNS1_3repE0EEENS1_30default_config_static_selectorELNS0_4arch9wavefront6targetE1EEEvT1_ ; -- Begin function _ZN7rocprim17ROCPRIM_400000_NS6detail17trampoline_kernelINS0_14default_configENS1_20scan_config_selectorIiEEZZNS1_9scan_implILNS1_25lookback_scan_determinismE0ELb0ELb0ES3_N6thrust23THRUST_200600_302600_NS6detail15normal_iteratorINS9_10device_ptrIiEEEENS9_16discard_iteratorINS9_11use_defaultEEEi11max_functorIiEiEEDaPvRmT3_T4_T5_mT6_P12ihipStream_tbENKUlT_T0_E_clISt17integral_constantIbLb0EESX_EEDaSS_ST_EUlSS_E_NS1_11comp_targetILNS1_3genE9ELNS1_11target_archE1100ELNS1_3gpuE3ELNS1_3repE0EEENS1_30default_config_static_selectorELNS0_4arch9wavefront6targetE1EEEvT1_
	.globl	_ZN7rocprim17ROCPRIM_400000_NS6detail17trampoline_kernelINS0_14default_configENS1_20scan_config_selectorIiEEZZNS1_9scan_implILNS1_25lookback_scan_determinismE0ELb0ELb0ES3_N6thrust23THRUST_200600_302600_NS6detail15normal_iteratorINS9_10device_ptrIiEEEENS9_16discard_iteratorINS9_11use_defaultEEEi11max_functorIiEiEEDaPvRmT3_T4_T5_mT6_P12ihipStream_tbENKUlT_T0_E_clISt17integral_constantIbLb0EESX_EEDaSS_ST_EUlSS_E_NS1_11comp_targetILNS1_3genE9ELNS1_11target_archE1100ELNS1_3gpuE3ELNS1_3repE0EEENS1_30default_config_static_selectorELNS0_4arch9wavefront6targetE1EEEvT1_
	.p2align	8
	.type	_ZN7rocprim17ROCPRIM_400000_NS6detail17trampoline_kernelINS0_14default_configENS1_20scan_config_selectorIiEEZZNS1_9scan_implILNS1_25lookback_scan_determinismE0ELb0ELb0ES3_N6thrust23THRUST_200600_302600_NS6detail15normal_iteratorINS9_10device_ptrIiEEEENS9_16discard_iteratorINS9_11use_defaultEEEi11max_functorIiEiEEDaPvRmT3_T4_T5_mT6_P12ihipStream_tbENKUlT_T0_E_clISt17integral_constantIbLb0EESX_EEDaSS_ST_EUlSS_E_NS1_11comp_targetILNS1_3genE9ELNS1_11target_archE1100ELNS1_3gpuE3ELNS1_3repE0EEENS1_30default_config_static_selectorELNS0_4arch9wavefront6targetE1EEEvT1_,@function
_ZN7rocprim17ROCPRIM_400000_NS6detail17trampoline_kernelINS0_14default_configENS1_20scan_config_selectorIiEEZZNS1_9scan_implILNS1_25lookback_scan_determinismE0ELb0ELb0ES3_N6thrust23THRUST_200600_302600_NS6detail15normal_iteratorINS9_10device_ptrIiEEEENS9_16discard_iteratorINS9_11use_defaultEEEi11max_functorIiEiEEDaPvRmT3_T4_T5_mT6_P12ihipStream_tbENKUlT_T0_E_clISt17integral_constantIbLb0EESX_EEDaSS_ST_EUlSS_E_NS1_11comp_targetILNS1_3genE9ELNS1_11target_archE1100ELNS1_3gpuE3ELNS1_3repE0EEENS1_30default_config_static_selectorELNS0_4arch9wavefront6targetE1EEEvT1_: ; @_ZN7rocprim17ROCPRIM_400000_NS6detail17trampoline_kernelINS0_14default_configENS1_20scan_config_selectorIiEEZZNS1_9scan_implILNS1_25lookback_scan_determinismE0ELb0ELb0ES3_N6thrust23THRUST_200600_302600_NS6detail15normal_iteratorINS9_10device_ptrIiEEEENS9_16discard_iteratorINS9_11use_defaultEEEi11max_functorIiEiEEDaPvRmT3_T4_T5_mT6_P12ihipStream_tbENKUlT_T0_E_clISt17integral_constantIbLb0EESX_EEDaSS_ST_EUlSS_E_NS1_11comp_targetILNS1_3genE9ELNS1_11target_archE1100ELNS1_3gpuE3ELNS1_3repE0EEENS1_30default_config_static_selectorELNS0_4arch9wavefront6targetE1EEEvT1_
; %bb.0:
	.section	.rodata,"a",@progbits
	.p2align	6, 0x0
	.amdhsa_kernel _ZN7rocprim17ROCPRIM_400000_NS6detail17trampoline_kernelINS0_14default_configENS1_20scan_config_selectorIiEEZZNS1_9scan_implILNS1_25lookback_scan_determinismE0ELb0ELb0ES3_N6thrust23THRUST_200600_302600_NS6detail15normal_iteratorINS9_10device_ptrIiEEEENS9_16discard_iteratorINS9_11use_defaultEEEi11max_functorIiEiEEDaPvRmT3_T4_T5_mT6_P12ihipStream_tbENKUlT_T0_E_clISt17integral_constantIbLb0EESX_EEDaSS_ST_EUlSS_E_NS1_11comp_targetILNS1_3genE9ELNS1_11target_archE1100ELNS1_3gpuE3ELNS1_3repE0EEENS1_30default_config_static_selectorELNS0_4arch9wavefront6targetE1EEEvT1_
		.amdhsa_group_segment_fixed_size 0
		.amdhsa_private_segment_fixed_size 0
		.amdhsa_kernarg_size 104
		.amdhsa_user_sgpr_count 6
		.amdhsa_user_sgpr_private_segment_buffer 1
		.amdhsa_user_sgpr_dispatch_ptr 0
		.amdhsa_user_sgpr_queue_ptr 0
		.amdhsa_user_sgpr_kernarg_segment_ptr 1
		.amdhsa_user_sgpr_dispatch_id 0
		.amdhsa_user_sgpr_flat_scratch_init 0
		.amdhsa_user_sgpr_kernarg_preload_length 0
		.amdhsa_user_sgpr_kernarg_preload_offset 0
		.amdhsa_user_sgpr_private_segment_size 0
		.amdhsa_uses_dynamic_stack 0
		.amdhsa_system_sgpr_private_segment_wavefront_offset 0
		.amdhsa_system_sgpr_workgroup_id_x 1
		.amdhsa_system_sgpr_workgroup_id_y 0
		.amdhsa_system_sgpr_workgroup_id_z 0
		.amdhsa_system_sgpr_workgroup_info 0
		.amdhsa_system_vgpr_workitem_id 0
		.amdhsa_next_free_vgpr 1
		.amdhsa_next_free_sgpr 0
		.amdhsa_accum_offset 4
		.amdhsa_reserve_vcc 0
		.amdhsa_reserve_flat_scratch 0
		.amdhsa_float_round_mode_32 0
		.amdhsa_float_round_mode_16_64 0
		.amdhsa_float_denorm_mode_32 3
		.amdhsa_float_denorm_mode_16_64 3
		.amdhsa_dx10_clamp 1
		.amdhsa_ieee_mode 1
		.amdhsa_fp16_overflow 0
		.amdhsa_tg_split 0
		.amdhsa_exception_fp_ieee_invalid_op 0
		.amdhsa_exception_fp_denorm_src 0
		.amdhsa_exception_fp_ieee_div_zero 0
		.amdhsa_exception_fp_ieee_overflow 0
		.amdhsa_exception_fp_ieee_underflow 0
		.amdhsa_exception_fp_ieee_inexact 0
		.amdhsa_exception_int_div_zero 0
	.end_amdhsa_kernel
	.section	.text._ZN7rocprim17ROCPRIM_400000_NS6detail17trampoline_kernelINS0_14default_configENS1_20scan_config_selectorIiEEZZNS1_9scan_implILNS1_25lookback_scan_determinismE0ELb0ELb0ES3_N6thrust23THRUST_200600_302600_NS6detail15normal_iteratorINS9_10device_ptrIiEEEENS9_16discard_iteratorINS9_11use_defaultEEEi11max_functorIiEiEEDaPvRmT3_T4_T5_mT6_P12ihipStream_tbENKUlT_T0_E_clISt17integral_constantIbLb0EESX_EEDaSS_ST_EUlSS_E_NS1_11comp_targetILNS1_3genE9ELNS1_11target_archE1100ELNS1_3gpuE3ELNS1_3repE0EEENS1_30default_config_static_selectorELNS0_4arch9wavefront6targetE1EEEvT1_,"axG",@progbits,_ZN7rocprim17ROCPRIM_400000_NS6detail17trampoline_kernelINS0_14default_configENS1_20scan_config_selectorIiEEZZNS1_9scan_implILNS1_25lookback_scan_determinismE0ELb0ELb0ES3_N6thrust23THRUST_200600_302600_NS6detail15normal_iteratorINS9_10device_ptrIiEEEENS9_16discard_iteratorINS9_11use_defaultEEEi11max_functorIiEiEEDaPvRmT3_T4_T5_mT6_P12ihipStream_tbENKUlT_T0_E_clISt17integral_constantIbLb0EESX_EEDaSS_ST_EUlSS_E_NS1_11comp_targetILNS1_3genE9ELNS1_11target_archE1100ELNS1_3gpuE3ELNS1_3repE0EEENS1_30default_config_static_selectorELNS0_4arch9wavefront6targetE1EEEvT1_,comdat
.Lfunc_end3861:
	.size	_ZN7rocprim17ROCPRIM_400000_NS6detail17trampoline_kernelINS0_14default_configENS1_20scan_config_selectorIiEEZZNS1_9scan_implILNS1_25lookback_scan_determinismE0ELb0ELb0ES3_N6thrust23THRUST_200600_302600_NS6detail15normal_iteratorINS9_10device_ptrIiEEEENS9_16discard_iteratorINS9_11use_defaultEEEi11max_functorIiEiEEDaPvRmT3_T4_T5_mT6_P12ihipStream_tbENKUlT_T0_E_clISt17integral_constantIbLb0EESX_EEDaSS_ST_EUlSS_E_NS1_11comp_targetILNS1_3genE9ELNS1_11target_archE1100ELNS1_3gpuE3ELNS1_3repE0EEENS1_30default_config_static_selectorELNS0_4arch9wavefront6targetE1EEEvT1_, .Lfunc_end3861-_ZN7rocprim17ROCPRIM_400000_NS6detail17trampoline_kernelINS0_14default_configENS1_20scan_config_selectorIiEEZZNS1_9scan_implILNS1_25lookback_scan_determinismE0ELb0ELb0ES3_N6thrust23THRUST_200600_302600_NS6detail15normal_iteratorINS9_10device_ptrIiEEEENS9_16discard_iteratorINS9_11use_defaultEEEi11max_functorIiEiEEDaPvRmT3_T4_T5_mT6_P12ihipStream_tbENKUlT_T0_E_clISt17integral_constantIbLb0EESX_EEDaSS_ST_EUlSS_E_NS1_11comp_targetILNS1_3genE9ELNS1_11target_archE1100ELNS1_3gpuE3ELNS1_3repE0EEENS1_30default_config_static_selectorELNS0_4arch9wavefront6targetE1EEEvT1_
                                        ; -- End function
	.section	.AMDGPU.csdata,"",@progbits
; Kernel info:
; codeLenInByte = 0
; NumSgprs: 4
; NumVgprs: 0
; NumAgprs: 0
; TotalNumVgprs: 0
; ScratchSize: 0
; MemoryBound: 0
; FloatMode: 240
; IeeeMode: 1
; LDSByteSize: 0 bytes/workgroup (compile time only)
; SGPRBlocks: 0
; VGPRBlocks: 0
; NumSGPRsForWavesPerEU: 4
; NumVGPRsForWavesPerEU: 1
; AccumOffset: 4
; Occupancy: 8
; WaveLimiterHint : 0
; COMPUTE_PGM_RSRC2:SCRATCH_EN: 0
; COMPUTE_PGM_RSRC2:USER_SGPR: 6
; COMPUTE_PGM_RSRC2:TRAP_HANDLER: 0
; COMPUTE_PGM_RSRC2:TGID_X_EN: 1
; COMPUTE_PGM_RSRC2:TGID_Y_EN: 0
; COMPUTE_PGM_RSRC2:TGID_Z_EN: 0
; COMPUTE_PGM_RSRC2:TIDIG_COMP_CNT: 0
; COMPUTE_PGM_RSRC3_GFX90A:ACCUM_OFFSET: 0
; COMPUTE_PGM_RSRC3_GFX90A:TG_SPLIT: 0
	.section	.text._ZN7rocprim17ROCPRIM_400000_NS6detail17trampoline_kernelINS0_14default_configENS1_20scan_config_selectorIiEEZZNS1_9scan_implILNS1_25lookback_scan_determinismE0ELb0ELb0ES3_N6thrust23THRUST_200600_302600_NS6detail15normal_iteratorINS9_10device_ptrIiEEEENS9_16discard_iteratorINS9_11use_defaultEEEi11max_functorIiEiEEDaPvRmT3_T4_T5_mT6_P12ihipStream_tbENKUlT_T0_E_clISt17integral_constantIbLb0EESX_EEDaSS_ST_EUlSS_E_NS1_11comp_targetILNS1_3genE8ELNS1_11target_archE1030ELNS1_3gpuE2ELNS1_3repE0EEENS1_30default_config_static_selectorELNS0_4arch9wavefront6targetE1EEEvT1_,"axG",@progbits,_ZN7rocprim17ROCPRIM_400000_NS6detail17trampoline_kernelINS0_14default_configENS1_20scan_config_selectorIiEEZZNS1_9scan_implILNS1_25lookback_scan_determinismE0ELb0ELb0ES3_N6thrust23THRUST_200600_302600_NS6detail15normal_iteratorINS9_10device_ptrIiEEEENS9_16discard_iteratorINS9_11use_defaultEEEi11max_functorIiEiEEDaPvRmT3_T4_T5_mT6_P12ihipStream_tbENKUlT_T0_E_clISt17integral_constantIbLb0EESX_EEDaSS_ST_EUlSS_E_NS1_11comp_targetILNS1_3genE8ELNS1_11target_archE1030ELNS1_3gpuE2ELNS1_3repE0EEENS1_30default_config_static_selectorELNS0_4arch9wavefront6targetE1EEEvT1_,comdat
	.protected	_ZN7rocprim17ROCPRIM_400000_NS6detail17trampoline_kernelINS0_14default_configENS1_20scan_config_selectorIiEEZZNS1_9scan_implILNS1_25lookback_scan_determinismE0ELb0ELb0ES3_N6thrust23THRUST_200600_302600_NS6detail15normal_iteratorINS9_10device_ptrIiEEEENS9_16discard_iteratorINS9_11use_defaultEEEi11max_functorIiEiEEDaPvRmT3_T4_T5_mT6_P12ihipStream_tbENKUlT_T0_E_clISt17integral_constantIbLb0EESX_EEDaSS_ST_EUlSS_E_NS1_11comp_targetILNS1_3genE8ELNS1_11target_archE1030ELNS1_3gpuE2ELNS1_3repE0EEENS1_30default_config_static_selectorELNS0_4arch9wavefront6targetE1EEEvT1_ ; -- Begin function _ZN7rocprim17ROCPRIM_400000_NS6detail17trampoline_kernelINS0_14default_configENS1_20scan_config_selectorIiEEZZNS1_9scan_implILNS1_25lookback_scan_determinismE0ELb0ELb0ES3_N6thrust23THRUST_200600_302600_NS6detail15normal_iteratorINS9_10device_ptrIiEEEENS9_16discard_iteratorINS9_11use_defaultEEEi11max_functorIiEiEEDaPvRmT3_T4_T5_mT6_P12ihipStream_tbENKUlT_T0_E_clISt17integral_constantIbLb0EESX_EEDaSS_ST_EUlSS_E_NS1_11comp_targetILNS1_3genE8ELNS1_11target_archE1030ELNS1_3gpuE2ELNS1_3repE0EEENS1_30default_config_static_selectorELNS0_4arch9wavefront6targetE1EEEvT1_
	.globl	_ZN7rocprim17ROCPRIM_400000_NS6detail17trampoline_kernelINS0_14default_configENS1_20scan_config_selectorIiEEZZNS1_9scan_implILNS1_25lookback_scan_determinismE0ELb0ELb0ES3_N6thrust23THRUST_200600_302600_NS6detail15normal_iteratorINS9_10device_ptrIiEEEENS9_16discard_iteratorINS9_11use_defaultEEEi11max_functorIiEiEEDaPvRmT3_T4_T5_mT6_P12ihipStream_tbENKUlT_T0_E_clISt17integral_constantIbLb0EESX_EEDaSS_ST_EUlSS_E_NS1_11comp_targetILNS1_3genE8ELNS1_11target_archE1030ELNS1_3gpuE2ELNS1_3repE0EEENS1_30default_config_static_selectorELNS0_4arch9wavefront6targetE1EEEvT1_
	.p2align	8
	.type	_ZN7rocprim17ROCPRIM_400000_NS6detail17trampoline_kernelINS0_14default_configENS1_20scan_config_selectorIiEEZZNS1_9scan_implILNS1_25lookback_scan_determinismE0ELb0ELb0ES3_N6thrust23THRUST_200600_302600_NS6detail15normal_iteratorINS9_10device_ptrIiEEEENS9_16discard_iteratorINS9_11use_defaultEEEi11max_functorIiEiEEDaPvRmT3_T4_T5_mT6_P12ihipStream_tbENKUlT_T0_E_clISt17integral_constantIbLb0EESX_EEDaSS_ST_EUlSS_E_NS1_11comp_targetILNS1_3genE8ELNS1_11target_archE1030ELNS1_3gpuE2ELNS1_3repE0EEENS1_30default_config_static_selectorELNS0_4arch9wavefront6targetE1EEEvT1_,@function
_ZN7rocprim17ROCPRIM_400000_NS6detail17trampoline_kernelINS0_14default_configENS1_20scan_config_selectorIiEEZZNS1_9scan_implILNS1_25lookback_scan_determinismE0ELb0ELb0ES3_N6thrust23THRUST_200600_302600_NS6detail15normal_iteratorINS9_10device_ptrIiEEEENS9_16discard_iteratorINS9_11use_defaultEEEi11max_functorIiEiEEDaPvRmT3_T4_T5_mT6_P12ihipStream_tbENKUlT_T0_E_clISt17integral_constantIbLb0EESX_EEDaSS_ST_EUlSS_E_NS1_11comp_targetILNS1_3genE8ELNS1_11target_archE1030ELNS1_3gpuE2ELNS1_3repE0EEENS1_30default_config_static_selectorELNS0_4arch9wavefront6targetE1EEEvT1_: ; @_ZN7rocprim17ROCPRIM_400000_NS6detail17trampoline_kernelINS0_14default_configENS1_20scan_config_selectorIiEEZZNS1_9scan_implILNS1_25lookback_scan_determinismE0ELb0ELb0ES3_N6thrust23THRUST_200600_302600_NS6detail15normal_iteratorINS9_10device_ptrIiEEEENS9_16discard_iteratorINS9_11use_defaultEEEi11max_functorIiEiEEDaPvRmT3_T4_T5_mT6_P12ihipStream_tbENKUlT_T0_E_clISt17integral_constantIbLb0EESX_EEDaSS_ST_EUlSS_E_NS1_11comp_targetILNS1_3genE8ELNS1_11target_archE1030ELNS1_3gpuE2ELNS1_3repE0EEENS1_30default_config_static_selectorELNS0_4arch9wavefront6targetE1EEEvT1_
; %bb.0:
	.section	.rodata,"a",@progbits
	.p2align	6, 0x0
	.amdhsa_kernel _ZN7rocprim17ROCPRIM_400000_NS6detail17trampoline_kernelINS0_14default_configENS1_20scan_config_selectorIiEEZZNS1_9scan_implILNS1_25lookback_scan_determinismE0ELb0ELb0ES3_N6thrust23THRUST_200600_302600_NS6detail15normal_iteratorINS9_10device_ptrIiEEEENS9_16discard_iteratorINS9_11use_defaultEEEi11max_functorIiEiEEDaPvRmT3_T4_T5_mT6_P12ihipStream_tbENKUlT_T0_E_clISt17integral_constantIbLb0EESX_EEDaSS_ST_EUlSS_E_NS1_11comp_targetILNS1_3genE8ELNS1_11target_archE1030ELNS1_3gpuE2ELNS1_3repE0EEENS1_30default_config_static_selectorELNS0_4arch9wavefront6targetE1EEEvT1_
		.amdhsa_group_segment_fixed_size 0
		.amdhsa_private_segment_fixed_size 0
		.amdhsa_kernarg_size 104
		.amdhsa_user_sgpr_count 6
		.amdhsa_user_sgpr_private_segment_buffer 1
		.amdhsa_user_sgpr_dispatch_ptr 0
		.amdhsa_user_sgpr_queue_ptr 0
		.amdhsa_user_sgpr_kernarg_segment_ptr 1
		.amdhsa_user_sgpr_dispatch_id 0
		.amdhsa_user_sgpr_flat_scratch_init 0
		.amdhsa_user_sgpr_kernarg_preload_length 0
		.amdhsa_user_sgpr_kernarg_preload_offset 0
		.amdhsa_user_sgpr_private_segment_size 0
		.amdhsa_uses_dynamic_stack 0
		.amdhsa_system_sgpr_private_segment_wavefront_offset 0
		.amdhsa_system_sgpr_workgroup_id_x 1
		.amdhsa_system_sgpr_workgroup_id_y 0
		.amdhsa_system_sgpr_workgroup_id_z 0
		.amdhsa_system_sgpr_workgroup_info 0
		.amdhsa_system_vgpr_workitem_id 0
		.amdhsa_next_free_vgpr 1
		.amdhsa_next_free_sgpr 0
		.amdhsa_accum_offset 4
		.amdhsa_reserve_vcc 0
		.amdhsa_reserve_flat_scratch 0
		.amdhsa_float_round_mode_32 0
		.amdhsa_float_round_mode_16_64 0
		.amdhsa_float_denorm_mode_32 3
		.amdhsa_float_denorm_mode_16_64 3
		.amdhsa_dx10_clamp 1
		.amdhsa_ieee_mode 1
		.amdhsa_fp16_overflow 0
		.amdhsa_tg_split 0
		.amdhsa_exception_fp_ieee_invalid_op 0
		.amdhsa_exception_fp_denorm_src 0
		.amdhsa_exception_fp_ieee_div_zero 0
		.amdhsa_exception_fp_ieee_overflow 0
		.amdhsa_exception_fp_ieee_underflow 0
		.amdhsa_exception_fp_ieee_inexact 0
		.amdhsa_exception_int_div_zero 0
	.end_amdhsa_kernel
	.section	.text._ZN7rocprim17ROCPRIM_400000_NS6detail17trampoline_kernelINS0_14default_configENS1_20scan_config_selectorIiEEZZNS1_9scan_implILNS1_25lookback_scan_determinismE0ELb0ELb0ES3_N6thrust23THRUST_200600_302600_NS6detail15normal_iteratorINS9_10device_ptrIiEEEENS9_16discard_iteratorINS9_11use_defaultEEEi11max_functorIiEiEEDaPvRmT3_T4_T5_mT6_P12ihipStream_tbENKUlT_T0_E_clISt17integral_constantIbLb0EESX_EEDaSS_ST_EUlSS_E_NS1_11comp_targetILNS1_3genE8ELNS1_11target_archE1030ELNS1_3gpuE2ELNS1_3repE0EEENS1_30default_config_static_selectorELNS0_4arch9wavefront6targetE1EEEvT1_,"axG",@progbits,_ZN7rocprim17ROCPRIM_400000_NS6detail17trampoline_kernelINS0_14default_configENS1_20scan_config_selectorIiEEZZNS1_9scan_implILNS1_25lookback_scan_determinismE0ELb0ELb0ES3_N6thrust23THRUST_200600_302600_NS6detail15normal_iteratorINS9_10device_ptrIiEEEENS9_16discard_iteratorINS9_11use_defaultEEEi11max_functorIiEiEEDaPvRmT3_T4_T5_mT6_P12ihipStream_tbENKUlT_T0_E_clISt17integral_constantIbLb0EESX_EEDaSS_ST_EUlSS_E_NS1_11comp_targetILNS1_3genE8ELNS1_11target_archE1030ELNS1_3gpuE2ELNS1_3repE0EEENS1_30default_config_static_selectorELNS0_4arch9wavefront6targetE1EEEvT1_,comdat
.Lfunc_end3862:
	.size	_ZN7rocprim17ROCPRIM_400000_NS6detail17trampoline_kernelINS0_14default_configENS1_20scan_config_selectorIiEEZZNS1_9scan_implILNS1_25lookback_scan_determinismE0ELb0ELb0ES3_N6thrust23THRUST_200600_302600_NS6detail15normal_iteratorINS9_10device_ptrIiEEEENS9_16discard_iteratorINS9_11use_defaultEEEi11max_functorIiEiEEDaPvRmT3_T4_T5_mT6_P12ihipStream_tbENKUlT_T0_E_clISt17integral_constantIbLb0EESX_EEDaSS_ST_EUlSS_E_NS1_11comp_targetILNS1_3genE8ELNS1_11target_archE1030ELNS1_3gpuE2ELNS1_3repE0EEENS1_30default_config_static_selectorELNS0_4arch9wavefront6targetE1EEEvT1_, .Lfunc_end3862-_ZN7rocprim17ROCPRIM_400000_NS6detail17trampoline_kernelINS0_14default_configENS1_20scan_config_selectorIiEEZZNS1_9scan_implILNS1_25lookback_scan_determinismE0ELb0ELb0ES3_N6thrust23THRUST_200600_302600_NS6detail15normal_iteratorINS9_10device_ptrIiEEEENS9_16discard_iteratorINS9_11use_defaultEEEi11max_functorIiEiEEDaPvRmT3_T4_T5_mT6_P12ihipStream_tbENKUlT_T0_E_clISt17integral_constantIbLb0EESX_EEDaSS_ST_EUlSS_E_NS1_11comp_targetILNS1_3genE8ELNS1_11target_archE1030ELNS1_3gpuE2ELNS1_3repE0EEENS1_30default_config_static_selectorELNS0_4arch9wavefront6targetE1EEEvT1_
                                        ; -- End function
	.section	.AMDGPU.csdata,"",@progbits
; Kernel info:
; codeLenInByte = 0
; NumSgprs: 4
; NumVgprs: 0
; NumAgprs: 0
; TotalNumVgprs: 0
; ScratchSize: 0
; MemoryBound: 0
; FloatMode: 240
; IeeeMode: 1
; LDSByteSize: 0 bytes/workgroup (compile time only)
; SGPRBlocks: 0
; VGPRBlocks: 0
; NumSGPRsForWavesPerEU: 4
; NumVGPRsForWavesPerEU: 1
; AccumOffset: 4
; Occupancy: 8
; WaveLimiterHint : 0
; COMPUTE_PGM_RSRC2:SCRATCH_EN: 0
; COMPUTE_PGM_RSRC2:USER_SGPR: 6
; COMPUTE_PGM_RSRC2:TRAP_HANDLER: 0
; COMPUTE_PGM_RSRC2:TGID_X_EN: 1
; COMPUTE_PGM_RSRC2:TGID_Y_EN: 0
; COMPUTE_PGM_RSRC2:TGID_Z_EN: 0
; COMPUTE_PGM_RSRC2:TIDIG_COMP_CNT: 0
; COMPUTE_PGM_RSRC3_GFX90A:ACCUM_OFFSET: 0
; COMPUTE_PGM_RSRC3_GFX90A:TG_SPLIT: 0
	.section	.text._ZN7rocprim17ROCPRIM_400000_NS6detail17trampoline_kernelINS0_14default_configENS1_20scan_config_selectorIiEEZZNS1_9scan_implILNS1_25lookback_scan_determinismE0ELb0ELb0ES3_N6thrust23THRUST_200600_302600_NS6detail15normal_iteratorINS9_10device_ptrIiEEEENS9_16discard_iteratorINS9_11use_defaultEEEi11max_functorIiEiEEDaPvRmT3_T4_T5_mT6_P12ihipStream_tbENKUlT_T0_E_clISt17integral_constantIbLb0EESX_EEDaSS_ST_EUlSS_E0_NS1_11comp_targetILNS1_3genE0ELNS1_11target_archE4294967295ELNS1_3gpuE0ELNS1_3repE0EEENS1_30default_config_static_selectorELNS0_4arch9wavefront6targetE1EEEvT1_,"axG",@progbits,_ZN7rocprim17ROCPRIM_400000_NS6detail17trampoline_kernelINS0_14default_configENS1_20scan_config_selectorIiEEZZNS1_9scan_implILNS1_25lookback_scan_determinismE0ELb0ELb0ES3_N6thrust23THRUST_200600_302600_NS6detail15normal_iteratorINS9_10device_ptrIiEEEENS9_16discard_iteratorINS9_11use_defaultEEEi11max_functorIiEiEEDaPvRmT3_T4_T5_mT6_P12ihipStream_tbENKUlT_T0_E_clISt17integral_constantIbLb0EESX_EEDaSS_ST_EUlSS_E0_NS1_11comp_targetILNS1_3genE0ELNS1_11target_archE4294967295ELNS1_3gpuE0ELNS1_3repE0EEENS1_30default_config_static_selectorELNS0_4arch9wavefront6targetE1EEEvT1_,comdat
	.protected	_ZN7rocprim17ROCPRIM_400000_NS6detail17trampoline_kernelINS0_14default_configENS1_20scan_config_selectorIiEEZZNS1_9scan_implILNS1_25lookback_scan_determinismE0ELb0ELb0ES3_N6thrust23THRUST_200600_302600_NS6detail15normal_iteratorINS9_10device_ptrIiEEEENS9_16discard_iteratorINS9_11use_defaultEEEi11max_functorIiEiEEDaPvRmT3_T4_T5_mT6_P12ihipStream_tbENKUlT_T0_E_clISt17integral_constantIbLb0EESX_EEDaSS_ST_EUlSS_E0_NS1_11comp_targetILNS1_3genE0ELNS1_11target_archE4294967295ELNS1_3gpuE0ELNS1_3repE0EEENS1_30default_config_static_selectorELNS0_4arch9wavefront6targetE1EEEvT1_ ; -- Begin function _ZN7rocprim17ROCPRIM_400000_NS6detail17trampoline_kernelINS0_14default_configENS1_20scan_config_selectorIiEEZZNS1_9scan_implILNS1_25lookback_scan_determinismE0ELb0ELb0ES3_N6thrust23THRUST_200600_302600_NS6detail15normal_iteratorINS9_10device_ptrIiEEEENS9_16discard_iteratorINS9_11use_defaultEEEi11max_functorIiEiEEDaPvRmT3_T4_T5_mT6_P12ihipStream_tbENKUlT_T0_E_clISt17integral_constantIbLb0EESX_EEDaSS_ST_EUlSS_E0_NS1_11comp_targetILNS1_3genE0ELNS1_11target_archE4294967295ELNS1_3gpuE0ELNS1_3repE0EEENS1_30default_config_static_selectorELNS0_4arch9wavefront6targetE1EEEvT1_
	.globl	_ZN7rocprim17ROCPRIM_400000_NS6detail17trampoline_kernelINS0_14default_configENS1_20scan_config_selectorIiEEZZNS1_9scan_implILNS1_25lookback_scan_determinismE0ELb0ELb0ES3_N6thrust23THRUST_200600_302600_NS6detail15normal_iteratorINS9_10device_ptrIiEEEENS9_16discard_iteratorINS9_11use_defaultEEEi11max_functorIiEiEEDaPvRmT3_T4_T5_mT6_P12ihipStream_tbENKUlT_T0_E_clISt17integral_constantIbLb0EESX_EEDaSS_ST_EUlSS_E0_NS1_11comp_targetILNS1_3genE0ELNS1_11target_archE4294967295ELNS1_3gpuE0ELNS1_3repE0EEENS1_30default_config_static_selectorELNS0_4arch9wavefront6targetE1EEEvT1_
	.p2align	8
	.type	_ZN7rocprim17ROCPRIM_400000_NS6detail17trampoline_kernelINS0_14default_configENS1_20scan_config_selectorIiEEZZNS1_9scan_implILNS1_25lookback_scan_determinismE0ELb0ELb0ES3_N6thrust23THRUST_200600_302600_NS6detail15normal_iteratorINS9_10device_ptrIiEEEENS9_16discard_iteratorINS9_11use_defaultEEEi11max_functorIiEiEEDaPvRmT3_T4_T5_mT6_P12ihipStream_tbENKUlT_T0_E_clISt17integral_constantIbLb0EESX_EEDaSS_ST_EUlSS_E0_NS1_11comp_targetILNS1_3genE0ELNS1_11target_archE4294967295ELNS1_3gpuE0ELNS1_3repE0EEENS1_30default_config_static_selectorELNS0_4arch9wavefront6targetE1EEEvT1_,@function
_ZN7rocprim17ROCPRIM_400000_NS6detail17trampoline_kernelINS0_14default_configENS1_20scan_config_selectorIiEEZZNS1_9scan_implILNS1_25lookback_scan_determinismE0ELb0ELb0ES3_N6thrust23THRUST_200600_302600_NS6detail15normal_iteratorINS9_10device_ptrIiEEEENS9_16discard_iteratorINS9_11use_defaultEEEi11max_functorIiEiEEDaPvRmT3_T4_T5_mT6_P12ihipStream_tbENKUlT_T0_E_clISt17integral_constantIbLb0EESX_EEDaSS_ST_EUlSS_E0_NS1_11comp_targetILNS1_3genE0ELNS1_11target_archE4294967295ELNS1_3gpuE0ELNS1_3repE0EEENS1_30default_config_static_selectorELNS0_4arch9wavefront6targetE1EEEvT1_: ; @_ZN7rocprim17ROCPRIM_400000_NS6detail17trampoline_kernelINS0_14default_configENS1_20scan_config_selectorIiEEZZNS1_9scan_implILNS1_25lookback_scan_determinismE0ELb0ELb0ES3_N6thrust23THRUST_200600_302600_NS6detail15normal_iteratorINS9_10device_ptrIiEEEENS9_16discard_iteratorINS9_11use_defaultEEEi11max_functorIiEiEEDaPvRmT3_T4_T5_mT6_P12ihipStream_tbENKUlT_T0_E_clISt17integral_constantIbLb0EESX_EEDaSS_ST_EUlSS_E0_NS1_11comp_targetILNS1_3genE0ELNS1_11target_archE4294967295ELNS1_3gpuE0ELNS1_3repE0EEENS1_30default_config_static_selectorELNS0_4arch9wavefront6targetE1EEEvT1_
; %bb.0:
	.section	.rodata,"a",@progbits
	.p2align	6, 0x0
	.amdhsa_kernel _ZN7rocprim17ROCPRIM_400000_NS6detail17trampoline_kernelINS0_14default_configENS1_20scan_config_selectorIiEEZZNS1_9scan_implILNS1_25lookback_scan_determinismE0ELb0ELb0ES3_N6thrust23THRUST_200600_302600_NS6detail15normal_iteratorINS9_10device_ptrIiEEEENS9_16discard_iteratorINS9_11use_defaultEEEi11max_functorIiEiEEDaPvRmT3_T4_T5_mT6_P12ihipStream_tbENKUlT_T0_E_clISt17integral_constantIbLb0EESX_EEDaSS_ST_EUlSS_E0_NS1_11comp_targetILNS1_3genE0ELNS1_11target_archE4294967295ELNS1_3gpuE0ELNS1_3repE0EEENS1_30default_config_static_selectorELNS0_4arch9wavefront6targetE1EEEvT1_
		.amdhsa_group_segment_fixed_size 0
		.amdhsa_private_segment_fixed_size 0
		.amdhsa_kernarg_size 40
		.amdhsa_user_sgpr_count 6
		.amdhsa_user_sgpr_private_segment_buffer 1
		.amdhsa_user_sgpr_dispatch_ptr 0
		.amdhsa_user_sgpr_queue_ptr 0
		.amdhsa_user_sgpr_kernarg_segment_ptr 1
		.amdhsa_user_sgpr_dispatch_id 0
		.amdhsa_user_sgpr_flat_scratch_init 0
		.amdhsa_user_sgpr_kernarg_preload_length 0
		.amdhsa_user_sgpr_kernarg_preload_offset 0
		.amdhsa_user_sgpr_private_segment_size 0
		.amdhsa_uses_dynamic_stack 0
		.amdhsa_system_sgpr_private_segment_wavefront_offset 0
		.amdhsa_system_sgpr_workgroup_id_x 1
		.amdhsa_system_sgpr_workgroup_id_y 0
		.amdhsa_system_sgpr_workgroup_id_z 0
		.amdhsa_system_sgpr_workgroup_info 0
		.amdhsa_system_vgpr_workitem_id 0
		.amdhsa_next_free_vgpr 1
		.amdhsa_next_free_sgpr 0
		.amdhsa_accum_offset 4
		.amdhsa_reserve_vcc 0
		.amdhsa_reserve_flat_scratch 0
		.amdhsa_float_round_mode_32 0
		.amdhsa_float_round_mode_16_64 0
		.amdhsa_float_denorm_mode_32 3
		.amdhsa_float_denorm_mode_16_64 3
		.amdhsa_dx10_clamp 1
		.amdhsa_ieee_mode 1
		.amdhsa_fp16_overflow 0
		.amdhsa_tg_split 0
		.amdhsa_exception_fp_ieee_invalid_op 0
		.amdhsa_exception_fp_denorm_src 0
		.amdhsa_exception_fp_ieee_div_zero 0
		.amdhsa_exception_fp_ieee_overflow 0
		.amdhsa_exception_fp_ieee_underflow 0
		.amdhsa_exception_fp_ieee_inexact 0
		.amdhsa_exception_int_div_zero 0
	.end_amdhsa_kernel
	.section	.text._ZN7rocprim17ROCPRIM_400000_NS6detail17trampoline_kernelINS0_14default_configENS1_20scan_config_selectorIiEEZZNS1_9scan_implILNS1_25lookback_scan_determinismE0ELb0ELb0ES3_N6thrust23THRUST_200600_302600_NS6detail15normal_iteratorINS9_10device_ptrIiEEEENS9_16discard_iteratorINS9_11use_defaultEEEi11max_functorIiEiEEDaPvRmT3_T4_T5_mT6_P12ihipStream_tbENKUlT_T0_E_clISt17integral_constantIbLb0EESX_EEDaSS_ST_EUlSS_E0_NS1_11comp_targetILNS1_3genE0ELNS1_11target_archE4294967295ELNS1_3gpuE0ELNS1_3repE0EEENS1_30default_config_static_selectorELNS0_4arch9wavefront6targetE1EEEvT1_,"axG",@progbits,_ZN7rocprim17ROCPRIM_400000_NS6detail17trampoline_kernelINS0_14default_configENS1_20scan_config_selectorIiEEZZNS1_9scan_implILNS1_25lookback_scan_determinismE0ELb0ELb0ES3_N6thrust23THRUST_200600_302600_NS6detail15normal_iteratorINS9_10device_ptrIiEEEENS9_16discard_iteratorINS9_11use_defaultEEEi11max_functorIiEiEEDaPvRmT3_T4_T5_mT6_P12ihipStream_tbENKUlT_T0_E_clISt17integral_constantIbLb0EESX_EEDaSS_ST_EUlSS_E0_NS1_11comp_targetILNS1_3genE0ELNS1_11target_archE4294967295ELNS1_3gpuE0ELNS1_3repE0EEENS1_30default_config_static_selectorELNS0_4arch9wavefront6targetE1EEEvT1_,comdat
.Lfunc_end3863:
	.size	_ZN7rocprim17ROCPRIM_400000_NS6detail17trampoline_kernelINS0_14default_configENS1_20scan_config_selectorIiEEZZNS1_9scan_implILNS1_25lookback_scan_determinismE0ELb0ELb0ES3_N6thrust23THRUST_200600_302600_NS6detail15normal_iteratorINS9_10device_ptrIiEEEENS9_16discard_iteratorINS9_11use_defaultEEEi11max_functorIiEiEEDaPvRmT3_T4_T5_mT6_P12ihipStream_tbENKUlT_T0_E_clISt17integral_constantIbLb0EESX_EEDaSS_ST_EUlSS_E0_NS1_11comp_targetILNS1_3genE0ELNS1_11target_archE4294967295ELNS1_3gpuE0ELNS1_3repE0EEENS1_30default_config_static_selectorELNS0_4arch9wavefront6targetE1EEEvT1_, .Lfunc_end3863-_ZN7rocprim17ROCPRIM_400000_NS6detail17trampoline_kernelINS0_14default_configENS1_20scan_config_selectorIiEEZZNS1_9scan_implILNS1_25lookback_scan_determinismE0ELb0ELb0ES3_N6thrust23THRUST_200600_302600_NS6detail15normal_iteratorINS9_10device_ptrIiEEEENS9_16discard_iteratorINS9_11use_defaultEEEi11max_functorIiEiEEDaPvRmT3_T4_T5_mT6_P12ihipStream_tbENKUlT_T0_E_clISt17integral_constantIbLb0EESX_EEDaSS_ST_EUlSS_E0_NS1_11comp_targetILNS1_3genE0ELNS1_11target_archE4294967295ELNS1_3gpuE0ELNS1_3repE0EEENS1_30default_config_static_selectorELNS0_4arch9wavefront6targetE1EEEvT1_
                                        ; -- End function
	.section	.AMDGPU.csdata,"",@progbits
; Kernel info:
; codeLenInByte = 0
; NumSgprs: 4
; NumVgprs: 0
; NumAgprs: 0
; TotalNumVgprs: 0
; ScratchSize: 0
; MemoryBound: 0
; FloatMode: 240
; IeeeMode: 1
; LDSByteSize: 0 bytes/workgroup (compile time only)
; SGPRBlocks: 0
; VGPRBlocks: 0
; NumSGPRsForWavesPerEU: 4
; NumVGPRsForWavesPerEU: 1
; AccumOffset: 4
; Occupancy: 8
; WaveLimiterHint : 0
; COMPUTE_PGM_RSRC2:SCRATCH_EN: 0
; COMPUTE_PGM_RSRC2:USER_SGPR: 6
; COMPUTE_PGM_RSRC2:TRAP_HANDLER: 0
; COMPUTE_PGM_RSRC2:TGID_X_EN: 1
; COMPUTE_PGM_RSRC2:TGID_Y_EN: 0
; COMPUTE_PGM_RSRC2:TGID_Z_EN: 0
; COMPUTE_PGM_RSRC2:TIDIG_COMP_CNT: 0
; COMPUTE_PGM_RSRC3_GFX90A:ACCUM_OFFSET: 0
; COMPUTE_PGM_RSRC3_GFX90A:TG_SPLIT: 0
	.section	.text._ZN7rocprim17ROCPRIM_400000_NS6detail17trampoline_kernelINS0_14default_configENS1_20scan_config_selectorIiEEZZNS1_9scan_implILNS1_25lookback_scan_determinismE0ELb0ELb0ES3_N6thrust23THRUST_200600_302600_NS6detail15normal_iteratorINS9_10device_ptrIiEEEENS9_16discard_iteratorINS9_11use_defaultEEEi11max_functorIiEiEEDaPvRmT3_T4_T5_mT6_P12ihipStream_tbENKUlT_T0_E_clISt17integral_constantIbLb0EESX_EEDaSS_ST_EUlSS_E0_NS1_11comp_targetILNS1_3genE5ELNS1_11target_archE942ELNS1_3gpuE9ELNS1_3repE0EEENS1_30default_config_static_selectorELNS0_4arch9wavefront6targetE1EEEvT1_,"axG",@progbits,_ZN7rocprim17ROCPRIM_400000_NS6detail17trampoline_kernelINS0_14default_configENS1_20scan_config_selectorIiEEZZNS1_9scan_implILNS1_25lookback_scan_determinismE0ELb0ELb0ES3_N6thrust23THRUST_200600_302600_NS6detail15normal_iteratorINS9_10device_ptrIiEEEENS9_16discard_iteratorINS9_11use_defaultEEEi11max_functorIiEiEEDaPvRmT3_T4_T5_mT6_P12ihipStream_tbENKUlT_T0_E_clISt17integral_constantIbLb0EESX_EEDaSS_ST_EUlSS_E0_NS1_11comp_targetILNS1_3genE5ELNS1_11target_archE942ELNS1_3gpuE9ELNS1_3repE0EEENS1_30default_config_static_selectorELNS0_4arch9wavefront6targetE1EEEvT1_,comdat
	.protected	_ZN7rocprim17ROCPRIM_400000_NS6detail17trampoline_kernelINS0_14default_configENS1_20scan_config_selectorIiEEZZNS1_9scan_implILNS1_25lookback_scan_determinismE0ELb0ELb0ES3_N6thrust23THRUST_200600_302600_NS6detail15normal_iteratorINS9_10device_ptrIiEEEENS9_16discard_iteratorINS9_11use_defaultEEEi11max_functorIiEiEEDaPvRmT3_T4_T5_mT6_P12ihipStream_tbENKUlT_T0_E_clISt17integral_constantIbLb0EESX_EEDaSS_ST_EUlSS_E0_NS1_11comp_targetILNS1_3genE5ELNS1_11target_archE942ELNS1_3gpuE9ELNS1_3repE0EEENS1_30default_config_static_selectorELNS0_4arch9wavefront6targetE1EEEvT1_ ; -- Begin function _ZN7rocprim17ROCPRIM_400000_NS6detail17trampoline_kernelINS0_14default_configENS1_20scan_config_selectorIiEEZZNS1_9scan_implILNS1_25lookback_scan_determinismE0ELb0ELb0ES3_N6thrust23THRUST_200600_302600_NS6detail15normal_iteratorINS9_10device_ptrIiEEEENS9_16discard_iteratorINS9_11use_defaultEEEi11max_functorIiEiEEDaPvRmT3_T4_T5_mT6_P12ihipStream_tbENKUlT_T0_E_clISt17integral_constantIbLb0EESX_EEDaSS_ST_EUlSS_E0_NS1_11comp_targetILNS1_3genE5ELNS1_11target_archE942ELNS1_3gpuE9ELNS1_3repE0EEENS1_30default_config_static_selectorELNS0_4arch9wavefront6targetE1EEEvT1_
	.globl	_ZN7rocprim17ROCPRIM_400000_NS6detail17trampoline_kernelINS0_14default_configENS1_20scan_config_selectorIiEEZZNS1_9scan_implILNS1_25lookback_scan_determinismE0ELb0ELb0ES3_N6thrust23THRUST_200600_302600_NS6detail15normal_iteratorINS9_10device_ptrIiEEEENS9_16discard_iteratorINS9_11use_defaultEEEi11max_functorIiEiEEDaPvRmT3_T4_T5_mT6_P12ihipStream_tbENKUlT_T0_E_clISt17integral_constantIbLb0EESX_EEDaSS_ST_EUlSS_E0_NS1_11comp_targetILNS1_3genE5ELNS1_11target_archE942ELNS1_3gpuE9ELNS1_3repE0EEENS1_30default_config_static_selectorELNS0_4arch9wavefront6targetE1EEEvT1_
	.p2align	8
	.type	_ZN7rocprim17ROCPRIM_400000_NS6detail17trampoline_kernelINS0_14default_configENS1_20scan_config_selectorIiEEZZNS1_9scan_implILNS1_25lookback_scan_determinismE0ELb0ELb0ES3_N6thrust23THRUST_200600_302600_NS6detail15normal_iteratorINS9_10device_ptrIiEEEENS9_16discard_iteratorINS9_11use_defaultEEEi11max_functorIiEiEEDaPvRmT3_T4_T5_mT6_P12ihipStream_tbENKUlT_T0_E_clISt17integral_constantIbLb0EESX_EEDaSS_ST_EUlSS_E0_NS1_11comp_targetILNS1_3genE5ELNS1_11target_archE942ELNS1_3gpuE9ELNS1_3repE0EEENS1_30default_config_static_selectorELNS0_4arch9wavefront6targetE1EEEvT1_,@function
_ZN7rocprim17ROCPRIM_400000_NS6detail17trampoline_kernelINS0_14default_configENS1_20scan_config_selectorIiEEZZNS1_9scan_implILNS1_25lookback_scan_determinismE0ELb0ELb0ES3_N6thrust23THRUST_200600_302600_NS6detail15normal_iteratorINS9_10device_ptrIiEEEENS9_16discard_iteratorINS9_11use_defaultEEEi11max_functorIiEiEEDaPvRmT3_T4_T5_mT6_P12ihipStream_tbENKUlT_T0_E_clISt17integral_constantIbLb0EESX_EEDaSS_ST_EUlSS_E0_NS1_11comp_targetILNS1_3genE5ELNS1_11target_archE942ELNS1_3gpuE9ELNS1_3repE0EEENS1_30default_config_static_selectorELNS0_4arch9wavefront6targetE1EEEvT1_: ; @_ZN7rocprim17ROCPRIM_400000_NS6detail17trampoline_kernelINS0_14default_configENS1_20scan_config_selectorIiEEZZNS1_9scan_implILNS1_25lookback_scan_determinismE0ELb0ELb0ES3_N6thrust23THRUST_200600_302600_NS6detail15normal_iteratorINS9_10device_ptrIiEEEENS9_16discard_iteratorINS9_11use_defaultEEEi11max_functorIiEiEEDaPvRmT3_T4_T5_mT6_P12ihipStream_tbENKUlT_T0_E_clISt17integral_constantIbLb0EESX_EEDaSS_ST_EUlSS_E0_NS1_11comp_targetILNS1_3genE5ELNS1_11target_archE942ELNS1_3gpuE9ELNS1_3repE0EEENS1_30default_config_static_selectorELNS0_4arch9wavefront6targetE1EEEvT1_
; %bb.0:
	.section	.rodata,"a",@progbits
	.p2align	6, 0x0
	.amdhsa_kernel _ZN7rocprim17ROCPRIM_400000_NS6detail17trampoline_kernelINS0_14default_configENS1_20scan_config_selectorIiEEZZNS1_9scan_implILNS1_25lookback_scan_determinismE0ELb0ELb0ES3_N6thrust23THRUST_200600_302600_NS6detail15normal_iteratorINS9_10device_ptrIiEEEENS9_16discard_iteratorINS9_11use_defaultEEEi11max_functorIiEiEEDaPvRmT3_T4_T5_mT6_P12ihipStream_tbENKUlT_T0_E_clISt17integral_constantIbLb0EESX_EEDaSS_ST_EUlSS_E0_NS1_11comp_targetILNS1_3genE5ELNS1_11target_archE942ELNS1_3gpuE9ELNS1_3repE0EEENS1_30default_config_static_selectorELNS0_4arch9wavefront6targetE1EEEvT1_
		.amdhsa_group_segment_fixed_size 0
		.amdhsa_private_segment_fixed_size 0
		.amdhsa_kernarg_size 40
		.amdhsa_user_sgpr_count 6
		.amdhsa_user_sgpr_private_segment_buffer 1
		.amdhsa_user_sgpr_dispatch_ptr 0
		.amdhsa_user_sgpr_queue_ptr 0
		.amdhsa_user_sgpr_kernarg_segment_ptr 1
		.amdhsa_user_sgpr_dispatch_id 0
		.amdhsa_user_sgpr_flat_scratch_init 0
		.amdhsa_user_sgpr_kernarg_preload_length 0
		.amdhsa_user_sgpr_kernarg_preload_offset 0
		.amdhsa_user_sgpr_private_segment_size 0
		.amdhsa_uses_dynamic_stack 0
		.amdhsa_system_sgpr_private_segment_wavefront_offset 0
		.amdhsa_system_sgpr_workgroup_id_x 1
		.amdhsa_system_sgpr_workgroup_id_y 0
		.amdhsa_system_sgpr_workgroup_id_z 0
		.amdhsa_system_sgpr_workgroup_info 0
		.amdhsa_system_vgpr_workitem_id 0
		.amdhsa_next_free_vgpr 1
		.amdhsa_next_free_sgpr 0
		.amdhsa_accum_offset 4
		.amdhsa_reserve_vcc 0
		.amdhsa_reserve_flat_scratch 0
		.amdhsa_float_round_mode_32 0
		.amdhsa_float_round_mode_16_64 0
		.amdhsa_float_denorm_mode_32 3
		.amdhsa_float_denorm_mode_16_64 3
		.amdhsa_dx10_clamp 1
		.amdhsa_ieee_mode 1
		.amdhsa_fp16_overflow 0
		.amdhsa_tg_split 0
		.amdhsa_exception_fp_ieee_invalid_op 0
		.amdhsa_exception_fp_denorm_src 0
		.amdhsa_exception_fp_ieee_div_zero 0
		.amdhsa_exception_fp_ieee_overflow 0
		.amdhsa_exception_fp_ieee_underflow 0
		.amdhsa_exception_fp_ieee_inexact 0
		.amdhsa_exception_int_div_zero 0
	.end_amdhsa_kernel
	.section	.text._ZN7rocprim17ROCPRIM_400000_NS6detail17trampoline_kernelINS0_14default_configENS1_20scan_config_selectorIiEEZZNS1_9scan_implILNS1_25lookback_scan_determinismE0ELb0ELb0ES3_N6thrust23THRUST_200600_302600_NS6detail15normal_iteratorINS9_10device_ptrIiEEEENS9_16discard_iteratorINS9_11use_defaultEEEi11max_functorIiEiEEDaPvRmT3_T4_T5_mT6_P12ihipStream_tbENKUlT_T0_E_clISt17integral_constantIbLb0EESX_EEDaSS_ST_EUlSS_E0_NS1_11comp_targetILNS1_3genE5ELNS1_11target_archE942ELNS1_3gpuE9ELNS1_3repE0EEENS1_30default_config_static_selectorELNS0_4arch9wavefront6targetE1EEEvT1_,"axG",@progbits,_ZN7rocprim17ROCPRIM_400000_NS6detail17trampoline_kernelINS0_14default_configENS1_20scan_config_selectorIiEEZZNS1_9scan_implILNS1_25lookback_scan_determinismE0ELb0ELb0ES3_N6thrust23THRUST_200600_302600_NS6detail15normal_iteratorINS9_10device_ptrIiEEEENS9_16discard_iteratorINS9_11use_defaultEEEi11max_functorIiEiEEDaPvRmT3_T4_T5_mT6_P12ihipStream_tbENKUlT_T0_E_clISt17integral_constantIbLb0EESX_EEDaSS_ST_EUlSS_E0_NS1_11comp_targetILNS1_3genE5ELNS1_11target_archE942ELNS1_3gpuE9ELNS1_3repE0EEENS1_30default_config_static_selectorELNS0_4arch9wavefront6targetE1EEEvT1_,comdat
.Lfunc_end3864:
	.size	_ZN7rocprim17ROCPRIM_400000_NS6detail17trampoline_kernelINS0_14default_configENS1_20scan_config_selectorIiEEZZNS1_9scan_implILNS1_25lookback_scan_determinismE0ELb0ELb0ES3_N6thrust23THRUST_200600_302600_NS6detail15normal_iteratorINS9_10device_ptrIiEEEENS9_16discard_iteratorINS9_11use_defaultEEEi11max_functorIiEiEEDaPvRmT3_T4_T5_mT6_P12ihipStream_tbENKUlT_T0_E_clISt17integral_constantIbLb0EESX_EEDaSS_ST_EUlSS_E0_NS1_11comp_targetILNS1_3genE5ELNS1_11target_archE942ELNS1_3gpuE9ELNS1_3repE0EEENS1_30default_config_static_selectorELNS0_4arch9wavefront6targetE1EEEvT1_, .Lfunc_end3864-_ZN7rocprim17ROCPRIM_400000_NS6detail17trampoline_kernelINS0_14default_configENS1_20scan_config_selectorIiEEZZNS1_9scan_implILNS1_25lookback_scan_determinismE0ELb0ELb0ES3_N6thrust23THRUST_200600_302600_NS6detail15normal_iteratorINS9_10device_ptrIiEEEENS9_16discard_iteratorINS9_11use_defaultEEEi11max_functorIiEiEEDaPvRmT3_T4_T5_mT6_P12ihipStream_tbENKUlT_T0_E_clISt17integral_constantIbLb0EESX_EEDaSS_ST_EUlSS_E0_NS1_11comp_targetILNS1_3genE5ELNS1_11target_archE942ELNS1_3gpuE9ELNS1_3repE0EEENS1_30default_config_static_selectorELNS0_4arch9wavefront6targetE1EEEvT1_
                                        ; -- End function
	.section	.AMDGPU.csdata,"",@progbits
; Kernel info:
; codeLenInByte = 0
; NumSgprs: 4
; NumVgprs: 0
; NumAgprs: 0
; TotalNumVgprs: 0
; ScratchSize: 0
; MemoryBound: 0
; FloatMode: 240
; IeeeMode: 1
; LDSByteSize: 0 bytes/workgroup (compile time only)
; SGPRBlocks: 0
; VGPRBlocks: 0
; NumSGPRsForWavesPerEU: 4
; NumVGPRsForWavesPerEU: 1
; AccumOffset: 4
; Occupancy: 8
; WaveLimiterHint : 0
; COMPUTE_PGM_RSRC2:SCRATCH_EN: 0
; COMPUTE_PGM_RSRC2:USER_SGPR: 6
; COMPUTE_PGM_RSRC2:TRAP_HANDLER: 0
; COMPUTE_PGM_RSRC2:TGID_X_EN: 1
; COMPUTE_PGM_RSRC2:TGID_Y_EN: 0
; COMPUTE_PGM_RSRC2:TGID_Z_EN: 0
; COMPUTE_PGM_RSRC2:TIDIG_COMP_CNT: 0
; COMPUTE_PGM_RSRC3_GFX90A:ACCUM_OFFSET: 0
; COMPUTE_PGM_RSRC3_GFX90A:TG_SPLIT: 0
	.section	.text._ZN7rocprim17ROCPRIM_400000_NS6detail17trampoline_kernelINS0_14default_configENS1_20scan_config_selectorIiEEZZNS1_9scan_implILNS1_25lookback_scan_determinismE0ELb0ELb0ES3_N6thrust23THRUST_200600_302600_NS6detail15normal_iteratorINS9_10device_ptrIiEEEENS9_16discard_iteratorINS9_11use_defaultEEEi11max_functorIiEiEEDaPvRmT3_T4_T5_mT6_P12ihipStream_tbENKUlT_T0_E_clISt17integral_constantIbLb0EESX_EEDaSS_ST_EUlSS_E0_NS1_11comp_targetILNS1_3genE4ELNS1_11target_archE910ELNS1_3gpuE8ELNS1_3repE0EEENS1_30default_config_static_selectorELNS0_4arch9wavefront6targetE1EEEvT1_,"axG",@progbits,_ZN7rocprim17ROCPRIM_400000_NS6detail17trampoline_kernelINS0_14default_configENS1_20scan_config_selectorIiEEZZNS1_9scan_implILNS1_25lookback_scan_determinismE0ELb0ELb0ES3_N6thrust23THRUST_200600_302600_NS6detail15normal_iteratorINS9_10device_ptrIiEEEENS9_16discard_iteratorINS9_11use_defaultEEEi11max_functorIiEiEEDaPvRmT3_T4_T5_mT6_P12ihipStream_tbENKUlT_T0_E_clISt17integral_constantIbLb0EESX_EEDaSS_ST_EUlSS_E0_NS1_11comp_targetILNS1_3genE4ELNS1_11target_archE910ELNS1_3gpuE8ELNS1_3repE0EEENS1_30default_config_static_selectorELNS0_4arch9wavefront6targetE1EEEvT1_,comdat
	.protected	_ZN7rocprim17ROCPRIM_400000_NS6detail17trampoline_kernelINS0_14default_configENS1_20scan_config_selectorIiEEZZNS1_9scan_implILNS1_25lookback_scan_determinismE0ELb0ELb0ES3_N6thrust23THRUST_200600_302600_NS6detail15normal_iteratorINS9_10device_ptrIiEEEENS9_16discard_iteratorINS9_11use_defaultEEEi11max_functorIiEiEEDaPvRmT3_T4_T5_mT6_P12ihipStream_tbENKUlT_T0_E_clISt17integral_constantIbLb0EESX_EEDaSS_ST_EUlSS_E0_NS1_11comp_targetILNS1_3genE4ELNS1_11target_archE910ELNS1_3gpuE8ELNS1_3repE0EEENS1_30default_config_static_selectorELNS0_4arch9wavefront6targetE1EEEvT1_ ; -- Begin function _ZN7rocprim17ROCPRIM_400000_NS6detail17trampoline_kernelINS0_14default_configENS1_20scan_config_selectorIiEEZZNS1_9scan_implILNS1_25lookback_scan_determinismE0ELb0ELb0ES3_N6thrust23THRUST_200600_302600_NS6detail15normal_iteratorINS9_10device_ptrIiEEEENS9_16discard_iteratorINS9_11use_defaultEEEi11max_functorIiEiEEDaPvRmT3_T4_T5_mT6_P12ihipStream_tbENKUlT_T0_E_clISt17integral_constantIbLb0EESX_EEDaSS_ST_EUlSS_E0_NS1_11comp_targetILNS1_3genE4ELNS1_11target_archE910ELNS1_3gpuE8ELNS1_3repE0EEENS1_30default_config_static_selectorELNS0_4arch9wavefront6targetE1EEEvT1_
	.globl	_ZN7rocprim17ROCPRIM_400000_NS6detail17trampoline_kernelINS0_14default_configENS1_20scan_config_selectorIiEEZZNS1_9scan_implILNS1_25lookback_scan_determinismE0ELb0ELb0ES3_N6thrust23THRUST_200600_302600_NS6detail15normal_iteratorINS9_10device_ptrIiEEEENS9_16discard_iteratorINS9_11use_defaultEEEi11max_functorIiEiEEDaPvRmT3_T4_T5_mT6_P12ihipStream_tbENKUlT_T0_E_clISt17integral_constantIbLb0EESX_EEDaSS_ST_EUlSS_E0_NS1_11comp_targetILNS1_3genE4ELNS1_11target_archE910ELNS1_3gpuE8ELNS1_3repE0EEENS1_30default_config_static_selectorELNS0_4arch9wavefront6targetE1EEEvT1_
	.p2align	8
	.type	_ZN7rocprim17ROCPRIM_400000_NS6detail17trampoline_kernelINS0_14default_configENS1_20scan_config_selectorIiEEZZNS1_9scan_implILNS1_25lookback_scan_determinismE0ELb0ELb0ES3_N6thrust23THRUST_200600_302600_NS6detail15normal_iteratorINS9_10device_ptrIiEEEENS9_16discard_iteratorINS9_11use_defaultEEEi11max_functorIiEiEEDaPvRmT3_T4_T5_mT6_P12ihipStream_tbENKUlT_T0_E_clISt17integral_constantIbLb0EESX_EEDaSS_ST_EUlSS_E0_NS1_11comp_targetILNS1_3genE4ELNS1_11target_archE910ELNS1_3gpuE8ELNS1_3repE0EEENS1_30default_config_static_selectorELNS0_4arch9wavefront6targetE1EEEvT1_,@function
_ZN7rocprim17ROCPRIM_400000_NS6detail17trampoline_kernelINS0_14default_configENS1_20scan_config_selectorIiEEZZNS1_9scan_implILNS1_25lookback_scan_determinismE0ELb0ELb0ES3_N6thrust23THRUST_200600_302600_NS6detail15normal_iteratorINS9_10device_ptrIiEEEENS9_16discard_iteratorINS9_11use_defaultEEEi11max_functorIiEiEEDaPvRmT3_T4_T5_mT6_P12ihipStream_tbENKUlT_T0_E_clISt17integral_constantIbLb0EESX_EEDaSS_ST_EUlSS_E0_NS1_11comp_targetILNS1_3genE4ELNS1_11target_archE910ELNS1_3gpuE8ELNS1_3repE0EEENS1_30default_config_static_selectorELNS0_4arch9wavefront6targetE1EEEvT1_: ; @_ZN7rocprim17ROCPRIM_400000_NS6detail17trampoline_kernelINS0_14default_configENS1_20scan_config_selectorIiEEZZNS1_9scan_implILNS1_25lookback_scan_determinismE0ELb0ELb0ES3_N6thrust23THRUST_200600_302600_NS6detail15normal_iteratorINS9_10device_ptrIiEEEENS9_16discard_iteratorINS9_11use_defaultEEEi11max_functorIiEiEEDaPvRmT3_T4_T5_mT6_P12ihipStream_tbENKUlT_T0_E_clISt17integral_constantIbLb0EESX_EEDaSS_ST_EUlSS_E0_NS1_11comp_targetILNS1_3genE4ELNS1_11target_archE910ELNS1_3gpuE8ELNS1_3repE0EEENS1_30default_config_static_selectorELNS0_4arch9wavefront6targetE1EEEvT1_
; %bb.0:
	s_load_dwordx4 s[0:3], s[4:5], 0x0
	v_lshlrev_b32_e32 v20, 2, v0
	s_waitcnt lgkmcnt(0)
	s_load_dword s3, s[0:1], 0x0
	v_cmp_gt_u32_e32 vcc, s2, v0
	s_waitcnt lgkmcnt(0)
	v_mov_b32_e32 v1, s3
	s_and_saveexec_b64 s[4:5], vcc
	s_cbranch_execz .LBB3865_2
; %bb.1:
	global_load_dword v1, v20, s[0:1]
.LBB3865_2:
	s_or_b64 exec, exec, s[4:5]
	v_or_b32_e32 v2, 0x80, v0
	v_cmp_gt_u32_e32 vcc, s2, v2
	v_mov_b32_e32 v2, s3
	s_and_saveexec_b64 s[4:5], vcc
	s_cbranch_execz .LBB3865_4
; %bb.3:
	global_load_dword v2, v20, s[0:1] offset:512
.LBB3865_4:
	s_or_b64 exec, exec, s[4:5]
	v_or_b32_e32 v3, 0x100, v0
	v_cmp_gt_u32_e32 vcc, s2, v3
	v_mov_b32_e32 v3, s3
	s_and_saveexec_b64 s[4:5], vcc
	s_cbranch_execz .LBB3865_6
; %bb.5:
	global_load_dword v3, v20, s[0:1] offset:1024
.LBB3865_6:
	;; [unrolled: 9-line block ×7, first 2 shown]
	s_or_b64 exec, exec, s[4:5]
	v_or_b32_e32 v10, 0x400, v0
	v_cmp_gt_u32_e32 vcc, s2, v10
	v_mov_b32_e32 v9, s3
	s_and_saveexec_b64 s[4:5], vcc
	s_cbranch_execz .LBB3865_18
; %bb.17:
	v_lshlrev_b32_e32 v9, 2, v10
	global_load_dword v9, v9, s[0:1]
.LBB3865_18:
	s_or_b64 exec, exec, s[4:5]
	v_or_b32_e32 v11, 0x480, v0
	v_cmp_gt_u32_e32 vcc, s2, v11
	v_mov_b32_e32 v10, s3
	s_and_saveexec_b64 s[2:3], vcc
	s_cbranch_execz .LBB3865_20
; %bb.19:
	v_lshlrev_b32_e32 v10, 2, v11
	global_load_dword v10, v10, s[0:1]
.LBB3865_20:
	s_or_b64 exec, exec, s[2:3]
	s_waitcnt vmcnt(0)
	ds_write2st64_b32 v20, v1, v2 offset1:2
	ds_write2st64_b32 v20, v3, v4 offset0:4 offset1:6
	ds_write2st64_b32 v20, v5, v6 offset0:8 offset1:10
	;; [unrolled: 1-line block ×4, first 2 shown]
	v_mad_u32_u24 v1, v0, 36, v20
	s_waitcnt lgkmcnt(0)
	s_barrier
	ds_read2_b64 v[6:9], v1 offset1:1
	ds_read2_b64 v[2:5], v1 offset0:2 offset1:3
	ds_read_b64 v[18:19], v1 offset:32
	v_lshrrev_b32_e32 v21, 3, v0
	v_and_b32_e32 v21, 12, v21
	s_waitcnt lgkmcnt(2)
	v_max_i32_e32 v1, v6, v7
	v_max_i32_e32 v14, v1, v8
	;; [unrolled: 1-line block ×3, first 2 shown]
	s_waitcnt lgkmcnt(1)
	v_max_i32_e32 v10, v15, v2
	v_max_i32_e32 v11, v10, v3
	;; [unrolled: 1-line block ×4, first 2 shown]
	s_waitcnt lgkmcnt(0)
	v_max_i32_e32 v16, v13, v18
	v_max_i32_e32 v17, v16, v19
	v_add_u32_e32 v21, v20, v21
	v_cmp_gt_u32_e32 vcc, 64, v0
	s_barrier
	ds_write_b32 v21, v17
	s_waitcnt lgkmcnt(0)
	s_barrier
	s_and_saveexec_b64 s[0:1], vcc
	s_cbranch_execz .LBB3865_22
; %bb.21:
	v_lshlrev_b32_e32 v21, 1, v0
	v_lshrrev_b32_e32 v22, 4, v0
	v_add_lshl_u32 v21, v22, v21, 2
	ds_read2_b32 v[22:23], v21 offset1:1
	v_mbcnt_lo_u32_b32 v24, -1, 0
	v_mbcnt_hi_u32_b32 v24, -1, v24
	v_and_b32_e32 v25, 15, v24
	v_cmp_eq_u32_e32 vcc, 0, v25
	s_waitcnt lgkmcnt(0)
	v_max_i32_e32 v23, v22, v23
	; wave barrier
	s_nop 1
	v_mov_b32_dpp v26, v23 row_shr:1 row_mask:0xf bank_mask:0xf
	v_max_i32_e32 v26, v26, v23
	v_cndmask_b32_e32 v23, v26, v23, vcc
	v_cmp_lt_u32_e32 vcc, 1, v25
	s_nop 0
	v_mov_b32_dpp v26, v23 row_shr:2 row_mask:0xf bank_mask:0xf
	v_max_i32_e32 v26, v26, v23
	v_cndmask_b32_e32 v23, v23, v26, vcc
	v_cmp_lt_u32_e32 vcc, 3, v25
	;; [unrolled: 5-line block ×3, first 2 shown]
	s_nop 0
	v_mov_b32_dpp v26, v23 row_shr:8 row_mask:0xf bank_mask:0xf
	v_max_i32_e32 v26, v26, v23
	v_cndmask_b32_e32 v23, v23, v26, vcc
	v_and_b32_e32 v26, 16, v24
	v_cmp_eq_u32_e32 vcc, 0, v26
	v_mov_b32_dpp v25, v23 row_bcast:15 row_mask:0xf bank_mask:0xf
	v_max_i32_e32 v25, v25, v23
	v_cndmask_b32_e32 v23, v25, v23, vcc
	v_cmp_lt_u32_e32 vcc, 31, v24
	v_and_b32_e32 v26, 64, v24
	v_mov_b32_dpp v25, v23 row_bcast:31 row_mask:0xf bank_mask:0xf
	v_max_i32_e32 v25, v25, v23
	v_cndmask_b32_e32 v23, v23, v25, vcc
	v_add_u32_e32 v25, -1, v24
	v_cmp_lt_i32_e32 vcc, v25, v26
	v_cndmask_b32_e32 v24, v25, v24, vcc
	v_lshlrev_b32_e32 v24, 2, v24
	ds_bpermute_b32 v23, v24, v23
	v_cmp_eq_u32_e32 vcc, 0, v0
	s_waitcnt lgkmcnt(0)
	v_max_i32_e32 v22, v23, v22
	v_cndmask_b32_e32 v22, v22, v17, vcc
	ds_write_b32 v21, v22
	; wave barrier
	ds_read_b32 v23, v21 offset:4
	s_waitcnt lgkmcnt(0)
	v_max_i32_e32 v22, v22, v23
	ds_write_b32 v21, v22 offset:4
.LBB3865_22:
	s_or_b64 exec, exec, s[0:1]
	v_cmp_ne_u32_e32 vcc, 0, v0
	v_mov_b32_e32 v22, v17
	s_waitcnt lgkmcnt(0)
	s_barrier
	s_and_saveexec_b64 s[0:1], vcc
	s_cbranch_execz .LBB3865_24
; %bb.23:
	v_add_u32_e32 v21, -1, v0
	v_lshrrev_b32_e32 v22, 5, v21
	v_add_lshl_u32 v21, v22, v21, 2
	ds_read_b32 v22, v21
.LBB3865_24:
	s_or_b64 exec, exec, s[0:1]
	v_mul_u32_u24_e32 v21, 36, v0
	v_mov_b32_e32 v0, v6
	s_and_saveexec_b64 s[0:1], vcc
	s_cbranch_execz .LBB3865_26
; %bb.25:
	s_waitcnt lgkmcnt(0)
	v_max_i32_e32 v0, v22, v6
	v_max_i32_e32 v1, v0, v7
	;; [unrolled: 1-line block ×10, first 2 shown]
	;;#ASMSTART
	;;#ASMEND
.LBB3865_26:
	s_or_b64 exec, exec, s[0:1]
	v_add_u32_e32 v2, v20, v21
	s_waitcnt lgkmcnt(0)
	s_barrier
	ds_write2_b64 v2, v[0:1], v[14:15] offset1:1
	ds_write2_b64 v2, v[10:11], v[12:13] offset0:2 offset1:3
	ds_write_b64 v2, v[16:17] offset:32
	s_waitcnt lgkmcnt(0)
	s_barrier
	s_endpgm
	.section	.rodata,"a",@progbits
	.p2align	6, 0x0
	.amdhsa_kernel _ZN7rocprim17ROCPRIM_400000_NS6detail17trampoline_kernelINS0_14default_configENS1_20scan_config_selectorIiEEZZNS1_9scan_implILNS1_25lookback_scan_determinismE0ELb0ELb0ES3_N6thrust23THRUST_200600_302600_NS6detail15normal_iteratorINS9_10device_ptrIiEEEENS9_16discard_iteratorINS9_11use_defaultEEEi11max_functorIiEiEEDaPvRmT3_T4_T5_mT6_P12ihipStream_tbENKUlT_T0_E_clISt17integral_constantIbLb0EESX_EEDaSS_ST_EUlSS_E0_NS1_11comp_targetILNS1_3genE4ELNS1_11target_archE910ELNS1_3gpuE8ELNS1_3repE0EEENS1_30default_config_static_selectorELNS0_4arch9wavefront6targetE1EEEvT1_
		.amdhsa_group_segment_fixed_size 5120
		.amdhsa_private_segment_fixed_size 0
		.amdhsa_kernarg_size 40
		.amdhsa_user_sgpr_count 6
		.amdhsa_user_sgpr_private_segment_buffer 1
		.amdhsa_user_sgpr_dispatch_ptr 0
		.amdhsa_user_sgpr_queue_ptr 0
		.amdhsa_user_sgpr_kernarg_segment_ptr 1
		.amdhsa_user_sgpr_dispatch_id 0
		.amdhsa_user_sgpr_flat_scratch_init 0
		.amdhsa_user_sgpr_kernarg_preload_length 0
		.amdhsa_user_sgpr_kernarg_preload_offset 0
		.amdhsa_user_sgpr_private_segment_size 0
		.amdhsa_uses_dynamic_stack 0
		.amdhsa_system_sgpr_private_segment_wavefront_offset 0
		.amdhsa_system_sgpr_workgroup_id_x 1
		.amdhsa_system_sgpr_workgroup_id_y 0
		.amdhsa_system_sgpr_workgroup_id_z 0
		.amdhsa_system_sgpr_workgroup_info 0
		.amdhsa_system_vgpr_workitem_id 0
		.amdhsa_next_free_vgpr 27
		.amdhsa_next_free_sgpr 6
		.amdhsa_accum_offset 28
		.amdhsa_reserve_vcc 1
		.amdhsa_reserve_flat_scratch 0
		.amdhsa_float_round_mode_32 0
		.amdhsa_float_round_mode_16_64 0
		.amdhsa_float_denorm_mode_32 3
		.amdhsa_float_denorm_mode_16_64 3
		.amdhsa_dx10_clamp 1
		.amdhsa_ieee_mode 1
		.amdhsa_fp16_overflow 0
		.amdhsa_tg_split 0
		.amdhsa_exception_fp_ieee_invalid_op 0
		.amdhsa_exception_fp_denorm_src 0
		.amdhsa_exception_fp_ieee_div_zero 0
		.amdhsa_exception_fp_ieee_overflow 0
		.amdhsa_exception_fp_ieee_underflow 0
		.amdhsa_exception_fp_ieee_inexact 0
		.amdhsa_exception_int_div_zero 0
	.end_amdhsa_kernel
	.section	.text._ZN7rocprim17ROCPRIM_400000_NS6detail17trampoline_kernelINS0_14default_configENS1_20scan_config_selectorIiEEZZNS1_9scan_implILNS1_25lookback_scan_determinismE0ELb0ELb0ES3_N6thrust23THRUST_200600_302600_NS6detail15normal_iteratorINS9_10device_ptrIiEEEENS9_16discard_iteratorINS9_11use_defaultEEEi11max_functorIiEiEEDaPvRmT3_T4_T5_mT6_P12ihipStream_tbENKUlT_T0_E_clISt17integral_constantIbLb0EESX_EEDaSS_ST_EUlSS_E0_NS1_11comp_targetILNS1_3genE4ELNS1_11target_archE910ELNS1_3gpuE8ELNS1_3repE0EEENS1_30default_config_static_selectorELNS0_4arch9wavefront6targetE1EEEvT1_,"axG",@progbits,_ZN7rocprim17ROCPRIM_400000_NS6detail17trampoline_kernelINS0_14default_configENS1_20scan_config_selectorIiEEZZNS1_9scan_implILNS1_25lookback_scan_determinismE0ELb0ELb0ES3_N6thrust23THRUST_200600_302600_NS6detail15normal_iteratorINS9_10device_ptrIiEEEENS9_16discard_iteratorINS9_11use_defaultEEEi11max_functorIiEiEEDaPvRmT3_T4_T5_mT6_P12ihipStream_tbENKUlT_T0_E_clISt17integral_constantIbLb0EESX_EEDaSS_ST_EUlSS_E0_NS1_11comp_targetILNS1_3genE4ELNS1_11target_archE910ELNS1_3gpuE8ELNS1_3repE0EEENS1_30default_config_static_selectorELNS0_4arch9wavefront6targetE1EEEvT1_,comdat
.Lfunc_end3865:
	.size	_ZN7rocprim17ROCPRIM_400000_NS6detail17trampoline_kernelINS0_14default_configENS1_20scan_config_selectorIiEEZZNS1_9scan_implILNS1_25lookback_scan_determinismE0ELb0ELb0ES3_N6thrust23THRUST_200600_302600_NS6detail15normal_iteratorINS9_10device_ptrIiEEEENS9_16discard_iteratorINS9_11use_defaultEEEi11max_functorIiEiEEDaPvRmT3_T4_T5_mT6_P12ihipStream_tbENKUlT_T0_E_clISt17integral_constantIbLb0EESX_EEDaSS_ST_EUlSS_E0_NS1_11comp_targetILNS1_3genE4ELNS1_11target_archE910ELNS1_3gpuE8ELNS1_3repE0EEENS1_30default_config_static_selectorELNS0_4arch9wavefront6targetE1EEEvT1_, .Lfunc_end3865-_ZN7rocprim17ROCPRIM_400000_NS6detail17trampoline_kernelINS0_14default_configENS1_20scan_config_selectorIiEEZZNS1_9scan_implILNS1_25lookback_scan_determinismE0ELb0ELb0ES3_N6thrust23THRUST_200600_302600_NS6detail15normal_iteratorINS9_10device_ptrIiEEEENS9_16discard_iteratorINS9_11use_defaultEEEi11max_functorIiEiEEDaPvRmT3_T4_T5_mT6_P12ihipStream_tbENKUlT_T0_E_clISt17integral_constantIbLb0EESX_EEDaSS_ST_EUlSS_E0_NS1_11comp_targetILNS1_3genE4ELNS1_11target_archE910ELNS1_3gpuE8ELNS1_3repE0EEENS1_30default_config_static_selectorELNS0_4arch9wavefront6targetE1EEEvT1_
                                        ; -- End function
	.section	.AMDGPU.csdata,"",@progbits
; Kernel info:
; codeLenInByte = 1000
; NumSgprs: 10
; NumVgprs: 27
; NumAgprs: 0
; TotalNumVgprs: 27
; ScratchSize: 0
; MemoryBound: 0
; FloatMode: 240
; IeeeMode: 1
; LDSByteSize: 5120 bytes/workgroup (compile time only)
; SGPRBlocks: 1
; VGPRBlocks: 3
; NumSGPRsForWavesPerEU: 10
; NumVGPRsForWavesPerEU: 27
; AccumOffset: 28
; Occupancy: 6
; WaveLimiterHint : 0
; COMPUTE_PGM_RSRC2:SCRATCH_EN: 0
; COMPUTE_PGM_RSRC2:USER_SGPR: 6
; COMPUTE_PGM_RSRC2:TRAP_HANDLER: 0
; COMPUTE_PGM_RSRC2:TGID_X_EN: 1
; COMPUTE_PGM_RSRC2:TGID_Y_EN: 0
; COMPUTE_PGM_RSRC2:TGID_Z_EN: 0
; COMPUTE_PGM_RSRC2:TIDIG_COMP_CNT: 0
; COMPUTE_PGM_RSRC3_GFX90A:ACCUM_OFFSET: 6
; COMPUTE_PGM_RSRC3_GFX90A:TG_SPLIT: 0
	.section	.text._ZN7rocprim17ROCPRIM_400000_NS6detail17trampoline_kernelINS0_14default_configENS1_20scan_config_selectorIiEEZZNS1_9scan_implILNS1_25lookback_scan_determinismE0ELb0ELb0ES3_N6thrust23THRUST_200600_302600_NS6detail15normal_iteratorINS9_10device_ptrIiEEEENS9_16discard_iteratorINS9_11use_defaultEEEi11max_functorIiEiEEDaPvRmT3_T4_T5_mT6_P12ihipStream_tbENKUlT_T0_E_clISt17integral_constantIbLb0EESX_EEDaSS_ST_EUlSS_E0_NS1_11comp_targetILNS1_3genE3ELNS1_11target_archE908ELNS1_3gpuE7ELNS1_3repE0EEENS1_30default_config_static_selectorELNS0_4arch9wavefront6targetE1EEEvT1_,"axG",@progbits,_ZN7rocprim17ROCPRIM_400000_NS6detail17trampoline_kernelINS0_14default_configENS1_20scan_config_selectorIiEEZZNS1_9scan_implILNS1_25lookback_scan_determinismE0ELb0ELb0ES3_N6thrust23THRUST_200600_302600_NS6detail15normal_iteratorINS9_10device_ptrIiEEEENS9_16discard_iteratorINS9_11use_defaultEEEi11max_functorIiEiEEDaPvRmT3_T4_T5_mT6_P12ihipStream_tbENKUlT_T0_E_clISt17integral_constantIbLb0EESX_EEDaSS_ST_EUlSS_E0_NS1_11comp_targetILNS1_3genE3ELNS1_11target_archE908ELNS1_3gpuE7ELNS1_3repE0EEENS1_30default_config_static_selectorELNS0_4arch9wavefront6targetE1EEEvT1_,comdat
	.protected	_ZN7rocprim17ROCPRIM_400000_NS6detail17trampoline_kernelINS0_14default_configENS1_20scan_config_selectorIiEEZZNS1_9scan_implILNS1_25lookback_scan_determinismE0ELb0ELb0ES3_N6thrust23THRUST_200600_302600_NS6detail15normal_iteratorINS9_10device_ptrIiEEEENS9_16discard_iteratorINS9_11use_defaultEEEi11max_functorIiEiEEDaPvRmT3_T4_T5_mT6_P12ihipStream_tbENKUlT_T0_E_clISt17integral_constantIbLb0EESX_EEDaSS_ST_EUlSS_E0_NS1_11comp_targetILNS1_3genE3ELNS1_11target_archE908ELNS1_3gpuE7ELNS1_3repE0EEENS1_30default_config_static_selectorELNS0_4arch9wavefront6targetE1EEEvT1_ ; -- Begin function _ZN7rocprim17ROCPRIM_400000_NS6detail17trampoline_kernelINS0_14default_configENS1_20scan_config_selectorIiEEZZNS1_9scan_implILNS1_25lookback_scan_determinismE0ELb0ELb0ES3_N6thrust23THRUST_200600_302600_NS6detail15normal_iteratorINS9_10device_ptrIiEEEENS9_16discard_iteratorINS9_11use_defaultEEEi11max_functorIiEiEEDaPvRmT3_T4_T5_mT6_P12ihipStream_tbENKUlT_T0_E_clISt17integral_constantIbLb0EESX_EEDaSS_ST_EUlSS_E0_NS1_11comp_targetILNS1_3genE3ELNS1_11target_archE908ELNS1_3gpuE7ELNS1_3repE0EEENS1_30default_config_static_selectorELNS0_4arch9wavefront6targetE1EEEvT1_
	.globl	_ZN7rocprim17ROCPRIM_400000_NS6detail17trampoline_kernelINS0_14default_configENS1_20scan_config_selectorIiEEZZNS1_9scan_implILNS1_25lookback_scan_determinismE0ELb0ELb0ES3_N6thrust23THRUST_200600_302600_NS6detail15normal_iteratorINS9_10device_ptrIiEEEENS9_16discard_iteratorINS9_11use_defaultEEEi11max_functorIiEiEEDaPvRmT3_T4_T5_mT6_P12ihipStream_tbENKUlT_T0_E_clISt17integral_constantIbLb0EESX_EEDaSS_ST_EUlSS_E0_NS1_11comp_targetILNS1_3genE3ELNS1_11target_archE908ELNS1_3gpuE7ELNS1_3repE0EEENS1_30default_config_static_selectorELNS0_4arch9wavefront6targetE1EEEvT1_
	.p2align	8
	.type	_ZN7rocprim17ROCPRIM_400000_NS6detail17trampoline_kernelINS0_14default_configENS1_20scan_config_selectorIiEEZZNS1_9scan_implILNS1_25lookback_scan_determinismE0ELb0ELb0ES3_N6thrust23THRUST_200600_302600_NS6detail15normal_iteratorINS9_10device_ptrIiEEEENS9_16discard_iteratorINS9_11use_defaultEEEi11max_functorIiEiEEDaPvRmT3_T4_T5_mT6_P12ihipStream_tbENKUlT_T0_E_clISt17integral_constantIbLb0EESX_EEDaSS_ST_EUlSS_E0_NS1_11comp_targetILNS1_3genE3ELNS1_11target_archE908ELNS1_3gpuE7ELNS1_3repE0EEENS1_30default_config_static_selectorELNS0_4arch9wavefront6targetE1EEEvT1_,@function
_ZN7rocprim17ROCPRIM_400000_NS6detail17trampoline_kernelINS0_14default_configENS1_20scan_config_selectorIiEEZZNS1_9scan_implILNS1_25lookback_scan_determinismE0ELb0ELb0ES3_N6thrust23THRUST_200600_302600_NS6detail15normal_iteratorINS9_10device_ptrIiEEEENS9_16discard_iteratorINS9_11use_defaultEEEi11max_functorIiEiEEDaPvRmT3_T4_T5_mT6_P12ihipStream_tbENKUlT_T0_E_clISt17integral_constantIbLb0EESX_EEDaSS_ST_EUlSS_E0_NS1_11comp_targetILNS1_3genE3ELNS1_11target_archE908ELNS1_3gpuE7ELNS1_3repE0EEENS1_30default_config_static_selectorELNS0_4arch9wavefront6targetE1EEEvT1_: ; @_ZN7rocprim17ROCPRIM_400000_NS6detail17trampoline_kernelINS0_14default_configENS1_20scan_config_selectorIiEEZZNS1_9scan_implILNS1_25lookback_scan_determinismE0ELb0ELb0ES3_N6thrust23THRUST_200600_302600_NS6detail15normal_iteratorINS9_10device_ptrIiEEEENS9_16discard_iteratorINS9_11use_defaultEEEi11max_functorIiEiEEDaPvRmT3_T4_T5_mT6_P12ihipStream_tbENKUlT_T0_E_clISt17integral_constantIbLb0EESX_EEDaSS_ST_EUlSS_E0_NS1_11comp_targetILNS1_3genE3ELNS1_11target_archE908ELNS1_3gpuE7ELNS1_3repE0EEENS1_30default_config_static_selectorELNS0_4arch9wavefront6targetE1EEEvT1_
; %bb.0:
	.section	.rodata,"a",@progbits
	.p2align	6, 0x0
	.amdhsa_kernel _ZN7rocprim17ROCPRIM_400000_NS6detail17trampoline_kernelINS0_14default_configENS1_20scan_config_selectorIiEEZZNS1_9scan_implILNS1_25lookback_scan_determinismE0ELb0ELb0ES3_N6thrust23THRUST_200600_302600_NS6detail15normal_iteratorINS9_10device_ptrIiEEEENS9_16discard_iteratorINS9_11use_defaultEEEi11max_functorIiEiEEDaPvRmT3_T4_T5_mT6_P12ihipStream_tbENKUlT_T0_E_clISt17integral_constantIbLb0EESX_EEDaSS_ST_EUlSS_E0_NS1_11comp_targetILNS1_3genE3ELNS1_11target_archE908ELNS1_3gpuE7ELNS1_3repE0EEENS1_30default_config_static_selectorELNS0_4arch9wavefront6targetE1EEEvT1_
		.amdhsa_group_segment_fixed_size 0
		.amdhsa_private_segment_fixed_size 0
		.amdhsa_kernarg_size 40
		.amdhsa_user_sgpr_count 6
		.amdhsa_user_sgpr_private_segment_buffer 1
		.amdhsa_user_sgpr_dispatch_ptr 0
		.amdhsa_user_sgpr_queue_ptr 0
		.amdhsa_user_sgpr_kernarg_segment_ptr 1
		.amdhsa_user_sgpr_dispatch_id 0
		.amdhsa_user_sgpr_flat_scratch_init 0
		.amdhsa_user_sgpr_kernarg_preload_length 0
		.amdhsa_user_sgpr_kernarg_preload_offset 0
		.amdhsa_user_sgpr_private_segment_size 0
		.amdhsa_uses_dynamic_stack 0
		.amdhsa_system_sgpr_private_segment_wavefront_offset 0
		.amdhsa_system_sgpr_workgroup_id_x 1
		.amdhsa_system_sgpr_workgroup_id_y 0
		.amdhsa_system_sgpr_workgroup_id_z 0
		.amdhsa_system_sgpr_workgroup_info 0
		.amdhsa_system_vgpr_workitem_id 0
		.amdhsa_next_free_vgpr 1
		.amdhsa_next_free_sgpr 0
		.amdhsa_accum_offset 4
		.amdhsa_reserve_vcc 0
		.amdhsa_reserve_flat_scratch 0
		.amdhsa_float_round_mode_32 0
		.amdhsa_float_round_mode_16_64 0
		.amdhsa_float_denorm_mode_32 3
		.amdhsa_float_denorm_mode_16_64 3
		.amdhsa_dx10_clamp 1
		.amdhsa_ieee_mode 1
		.amdhsa_fp16_overflow 0
		.amdhsa_tg_split 0
		.amdhsa_exception_fp_ieee_invalid_op 0
		.amdhsa_exception_fp_denorm_src 0
		.amdhsa_exception_fp_ieee_div_zero 0
		.amdhsa_exception_fp_ieee_overflow 0
		.amdhsa_exception_fp_ieee_underflow 0
		.amdhsa_exception_fp_ieee_inexact 0
		.amdhsa_exception_int_div_zero 0
	.end_amdhsa_kernel
	.section	.text._ZN7rocprim17ROCPRIM_400000_NS6detail17trampoline_kernelINS0_14default_configENS1_20scan_config_selectorIiEEZZNS1_9scan_implILNS1_25lookback_scan_determinismE0ELb0ELb0ES3_N6thrust23THRUST_200600_302600_NS6detail15normal_iteratorINS9_10device_ptrIiEEEENS9_16discard_iteratorINS9_11use_defaultEEEi11max_functorIiEiEEDaPvRmT3_T4_T5_mT6_P12ihipStream_tbENKUlT_T0_E_clISt17integral_constantIbLb0EESX_EEDaSS_ST_EUlSS_E0_NS1_11comp_targetILNS1_3genE3ELNS1_11target_archE908ELNS1_3gpuE7ELNS1_3repE0EEENS1_30default_config_static_selectorELNS0_4arch9wavefront6targetE1EEEvT1_,"axG",@progbits,_ZN7rocprim17ROCPRIM_400000_NS6detail17trampoline_kernelINS0_14default_configENS1_20scan_config_selectorIiEEZZNS1_9scan_implILNS1_25lookback_scan_determinismE0ELb0ELb0ES3_N6thrust23THRUST_200600_302600_NS6detail15normal_iteratorINS9_10device_ptrIiEEEENS9_16discard_iteratorINS9_11use_defaultEEEi11max_functorIiEiEEDaPvRmT3_T4_T5_mT6_P12ihipStream_tbENKUlT_T0_E_clISt17integral_constantIbLb0EESX_EEDaSS_ST_EUlSS_E0_NS1_11comp_targetILNS1_3genE3ELNS1_11target_archE908ELNS1_3gpuE7ELNS1_3repE0EEENS1_30default_config_static_selectorELNS0_4arch9wavefront6targetE1EEEvT1_,comdat
.Lfunc_end3866:
	.size	_ZN7rocprim17ROCPRIM_400000_NS6detail17trampoline_kernelINS0_14default_configENS1_20scan_config_selectorIiEEZZNS1_9scan_implILNS1_25lookback_scan_determinismE0ELb0ELb0ES3_N6thrust23THRUST_200600_302600_NS6detail15normal_iteratorINS9_10device_ptrIiEEEENS9_16discard_iteratorINS9_11use_defaultEEEi11max_functorIiEiEEDaPvRmT3_T4_T5_mT6_P12ihipStream_tbENKUlT_T0_E_clISt17integral_constantIbLb0EESX_EEDaSS_ST_EUlSS_E0_NS1_11comp_targetILNS1_3genE3ELNS1_11target_archE908ELNS1_3gpuE7ELNS1_3repE0EEENS1_30default_config_static_selectorELNS0_4arch9wavefront6targetE1EEEvT1_, .Lfunc_end3866-_ZN7rocprim17ROCPRIM_400000_NS6detail17trampoline_kernelINS0_14default_configENS1_20scan_config_selectorIiEEZZNS1_9scan_implILNS1_25lookback_scan_determinismE0ELb0ELb0ES3_N6thrust23THRUST_200600_302600_NS6detail15normal_iteratorINS9_10device_ptrIiEEEENS9_16discard_iteratorINS9_11use_defaultEEEi11max_functorIiEiEEDaPvRmT3_T4_T5_mT6_P12ihipStream_tbENKUlT_T0_E_clISt17integral_constantIbLb0EESX_EEDaSS_ST_EUlSS_E0_NS1_11comp_targetILNS1_3genE3ELNS1_11target_archE908ELNS1_3gpuE7ELNS1_3repE0EEENS1_30default_config_static_selectorELNS0_4arch9wavefront6targetE1EEEvT1_
                                        ; -- End function
	.section	.AMDGPU.csdata,"",@progbits
; Kernel info:
; codeLenInByte = 0
; NumSgprs: 4
; NumVgprs: 0
; NumAgprs: 0
; TotalNumVgprs: 0
; ScratchSize: 0
; MemoryBound: 0
; FloatMode: 240
; IeeeMode: 1
; LDSByteSize: 0 bytes/workgroup (compile time only)
; SGPRBlocks: 0
; VGPRBlocks: 0
; NumSGPRsForWavesPerEU: 4
; NumVGPRsForWavesPerEU: 1
; AccumOffset: 4
; Occupancy: 8
; WaveLimiterHint : 0
; COMPUTE_PGM_RSRC2:SCRATCH_EN: 0
; COMPUTE_PGM_RSRC2:USER_SGPR: 6
; COMPUTE_PGM_RSRC2:TRAP_HANDLER: 0
; COMPUTE_PGM_RSRC2:TGID_X_EN: 1
; COMPUTE_PGM_RSRC2:TGID_Y_EN: 0
; COMPUTE_PGM_RSRC2:TGID_Z_EN: 0
; COMPUTE_PGM_RSRC2:TIDIG_COMP_CNT: 0
; COMPUTE_PGM_RSRC3_GFX90A:ACCUM_OFFSET: 0
; COMPUTE_PGM_RSRC3_GFX90A:TG_SPLIT: 0
	.section	.text._ZN7rocprim17ROCPRIM_400000_NS6detail17trampoline_kernelINS0_14default_configENS1_20scan_config_selectorIiEEZZNS1_9scan_implILNS1_25lookback_scan_determinismE0ELb0ELb0ES3_N6thrust23THRUST_200600_302600_NS6detail15normal_iteratorINS9_10device_ptrIiEEEENS9_16discard_iteratorINS9_11use_defaultEEEi11max_functorIiEiEEDaPvRmT3_T4_T5_mT6_P12ihipStream_tbENKUlT_T0_E_clISt17integral_constantIbLb0EESX_EEDaSS_ST_EUlSS_E0_NS1_11comp_targetILNS1_3genE2ELNS1_11target_archE906ELNS1_3gpuE6ELNS1_3repE0EEENS1_30default_config_static_selectorELNS0_4arch9wavefront6targetE1EEEvT1_,"axG",@progbits,_ZN7rocprim17ROCPRIM_400000_NS6detail17trampoline_kernelINS0_14default_configENS1_20scan_config_selectorIiEEZZNS1_9scan_implILNS1_25lookback_scan_determinismE0ELb0ELb0ES3_N6thrust23THRUST_200600_302600_NS6detail15normal_iteratorINS9_10device_ptrIiEEEENS9_16discard_iteratorINS9_11use_defaultEEEi11max_functorIiEiEEDaPvRmT3_T4_T5_mT6_P12ihipStream_tbENKUlT_T0_E_clISt17integral_constantIbLb0EESX_EEDaSS_ST_EUlSS_E0_NS1_11comp_targetILNS1_3genE2ELNS1_11target_archE906ELNS1_3gpuE6ELNS1_3repE0EEENS1_30default_config_static_selectorELNS0_4arch9wavefront6targetE1EEEvT1_,comdat
	.protected	_ZN7rocprim17ROCPRIM_400000_NS6detail17trampoline_kernelINS0_14default_configENS1_20scan_config_selectorIiEEZZNS1_9scan_implILNS1_25lookback_scan_determinismE0ELb0ELb0ES3_N6thrust23THRUST_200600_302600_NS6detail15normal_iteratorINS9_10device_ptrIiEEEENS9_16discard_iteratorINS9_11use_defaultEEEi11max_functorIiEiEEDaPvRmT3_T4_T5_mT6_P12ihipStream_tbENKUlT_T0_E_clISt17integral_constantIbLb0EESX_EEDaSS_ST_EUlSS_E0_NS1_11comp_targetILNS1_3genE2ELNS1_11target_archE906ELNS1_3gpuE6ELNS1_3repE0EEENS1_30default_config_static_selectorELNS0_4arch9wavefront6targetE1EEEvT1_ ; -- Begin function _ZN7rocprim17ROCPRIM_400000_NS6detail17trampoline_kernelINS0_14default_configENS1_20scan_config_selectorIiEEZZNS1_9scan_implILNS1_25lookback_scan_determinismE0ELb0ELb0ES3_N6thrust23THRUST_200600_302600_NS6detail15normal_iteratorINS9_10device_ptrIiEEEENS9_16discard_iteratorINS9_11use_defaultEEEi11max_functorIiEiEEDaPvRmT3_T4_T5_mT6_P12ihipStream_tbENKUlT_T0_E_clISt17integral_constantIbLb0EESX_EEDaSS_ST_EUlSS_E0_NS1_11comp_targetILNS1_3genE2ELNS1_11target_archE906ELNS1_3gpuE6ELNS1_3repE0EEENS1_30default_config_static_selectorELNS0_4arch9wavefront6targetE1EEEvT1_
	.globl	_ZN7rocprim17ROCPRIM_400000_NS6detail17trampoline_kernelINS0_14default_configENS1_20scan_config_selectorIiEEZZNS1_9scan_implILNS1_25lookback_scan_determinismE0ELb0ELb0ES3_N6thrust23THRUST_200600_302600_NS6detail15normal_iteratorINS9_10device_ptrIiEEEENS9_16discard_iteratorINS9_11use_defaultEEEi11max_functorIiEiEEDaPvRmT3_T4_T5_mT6_P12ihipStream_tbENKUlT_T0_E_clISt17integral_constantIbLb0EESX_EEDaSS_ST_EUlSS_E0_NS1_11comp_targetILNS1_3genE2ELNS1_11target_archE906ELNS1_3gpuE6ELNS1_3repE0EEENS1_30default_config_static_selectorELNS0_4arch9wavefront6targetE1EEEvT1_
	.p2align	8
	.type	_ZN7rocprim17ROCPRIM_400000_NS6detail17trampoline_kernelINS0_14default_configENS1_20scan_config_selectorIiEEZZNS1_9scan_implILNS1_25lookback_scan_determinismE0ELb0ELb0ES3_N6thrust23THRUST_200600_302600_NS6detail15normal_iteratorINS9_10device_ptrIiEEEENS9_16discard_iteratorINS9_11use_defaultEEEi11max_functorIiEiEEDaPvRmT3_T4_T5_mT6_P12ihipStream_tbENKUlT_T0_E_clISt17integral_constantIbLb0EESX_EEDaSS_ST_EUlSS_E0_NS1_11comp_targetILNS1_3genE2ELNS1_11target_archE906ELNS1_3gpuE6ELNS1_3repE0EEENS1_30default_config_static_selectorELNS0_4arch9wavefront6targetE1EEEvT1_,@function
_ZN7rocprim17ROCPRIM_400000_NS6detail17trampoline_kernelINS0_14default_configENS1_20scan_config_selectorIiEEZZNS1_9scan_implILNS1_25lookback_scan_determinismE0ELb0ELb0ES3_N6thrust23THRUST_200600_302600_NS6detail15normal_iteratorINS9_10device_ptrIiEEEENS9_16discard_iteratorINS9_11use_defaultEEEi11max_functorIiEiEEDaPvRmT3_T4_T5_mT6_P12ihipStream_tbENKUlT_T0_E_clISt17integral_constantIbLb0EESX_EEDaSS_ST_EUlSS_E0_NS1_11comp_targetILNS1_3genE2ELNS1_11target_archE906ELNS1_3gpuE6ELNS1_3repE0EEENS1_30default_config_static_selectorELNS0_4arch9wavefront6targetE1EEEvT1_: ; @_ZN7rocprim17ROCPRIM_400000_NS6detail17trampoline_kernelINS0_14default_configENS1_20scan_config_selectorIiEEZZNS1_9scan_implILNS1_25lookback_scan_determinismE0ELb0ELb0ES3_N6thrust23THRUST_200600_302600_NS6detail15normal_iteratorINS9_10device_ptrIiEEEENS9_16discard_iteratorINS9_11use_defaultEEEi11max_functorIiEiEEDaPvRmT3_T4_T5_mT6_P12ihipStream_tbENKUlT_T0_E_clISt17integral_constantIbLb0EESX_EEDaSS_ST_EUlSS_E0_NS1_11comp_targetILNS1_3genE2ELNS1_11target_archE906ELNS1_3gpuE6ELNS1_3repE0EEENS1_30default_config_static_selectorELNS0_4arch9wavefront6targetE1EEEvT1_
; %bb.0:
	.section	.rodata,"a",@progbits
	.p2align	6, 0x0
	.amdhsa_kernel _ZN7rocprim17ROCPRIM_400000_NS6detail17trampoline_kernelINS0_14default_configENS1_20scan_config_selectorIiEEZZNS1_9scan_implILNS1_25lookback_scan_determinismE0ELb0ELb0ES3_N6thrust23THRUST_200600_302600_NS6detail15normal_iteratorINS9_10device_ptrIiEEEENS9_16discard_iteratorINS9_11use_defaultEEEi11max_functorIiEiEEDaPvRmT3_T4_T5_mT6_P12ihipStream_tbENKUlT_T0_E_clISt17integral_constantIbLb0EESX_EEDaSS_ST_EUlSS_E0_NS1_11comp_targetILNS1_3genE2ELNS1_11target_archE906ELNS1_3gpuE6ELNS1_3repE0EEENS1_30default_config_static_selectorELNS0_4arch9wavefront6targetE1EEEvT1_
		.amdhsa_group_segment_fixed_size 0
		.amdhsa_private_segment_fixed_size 0
		.amdhsa_kernarg_size 40
		.amdhsa_user_sgpr_count 6
		.amdhsa_user_sgpr_private_segment_buffer 1
		.amdhsa_user_sgpr_dispatch_ptr 0
		.amdhsa_user_sgpr_queue_ptr 0
		.amdhsa_user_sgpr_kernarg_segment_ptr 1
		.amdhsa_user_sgpr_dispatch_id 0
		.amdhsa_user_sgpr_flat_scratch_init 0
		.amdhsa_user_sgpr_kernarg_preload_length 0
		.amdhsa_user_sgpr_kernarg_preload_offset 0
		.amdhsa_user_sgpr_private_segment_size 0
		.amdhsa_uses_dynamic_stack 0
		.amdhsa_system_sgpr_private_segment_wavefront_offset 0
		.amdhsa_system_sgpr_workgroup_id_x 1
		.amdhsa_system_sgpr_workgroup_id_y 0
		.amdhsa_system_sgpr_workgroup_id_z 0
		.amdhsa_system_sgpr_workgroup_info 0
		.amdhsa_system_vgpr_workitem_id 0
		.amdhsa_next_free_vgpr 1
		.amdhsa_next_free_sgpr 0
		.amdhsa_accum_offset 4
		.amdhsa_reserve_vcc 0
		.amdhsa_reserve_flat_scratch 0
		.amdhsa_float_round_mode_32 0
		.amdhsa_float_round_mode_16_64 0
		.amdhsa_float_denorm_mode_32 3
		.amdhsa_float_denorm_mode_16_64 3
		.amdhsa_dx10_clamp 1
		.amdhsa_ieee_mode 1
		.amdhsa_fp16_overflow 0
		.amdhsa_tg_split 0
		.amdhsa_exception_fp_ieee_invalid_op 0
		.amdhsa_exception_fp_denorm_src 0
		.amdhsa_exception_fp_ieee_div_zero 0
		.amdhsa_exception_fp_ieee_overflow 0
		.amdhsa_exception_fp_ieee_underflow 0
		.amdhsa_exception_fp_ieee_inexact 0
		.amdhsa_exception_int_div_zero 0
	.end_amdhsa_kernel
	.section	.text._ZN7rocprim17ROCPRIM_400000_NS6detail17trampoline_kernelINS0_14default_configENS1_20scan_config_selectorIiEEZZNS1_9scan_implILNS1_25lookback_scan_determinismE0ELb0ELb0ES3_N6thrust23THRUST_200600_302600_NS6detail15normal_iteratorINS9_10device_ptrIiEEEENS9_16discard_iteratorINS9_11use_defaultEEEi11max_functorIiEiEEDaPvRmT3_T4_T5_mT6_P12ihipStream_tbENKUlT_T0_E_clISt17integral_constantIbLb0EESX_EEDaSS_ST_EUlSS_E0_NS1_11comp_targetILNS1_3genE2ELNS1_11target_archE906ELNS1_3gpuE6ELNS1_3repE0EEENS1_30default_config_static_selectorELNS0_4arch9wavefront6targetE1EEEvT1_,"axG",@progbits,_ZN7rocprim17ROCPRIM_400000_NS6detail17trampoline_kernelINS0_14default_configENS1_20scan_config_selectorIiEEZZNS1_9scan_implILNS1_25lookback_scan_determinismE0ELb0ELb0ES3_N6thrust23THRUST_200600_302600_NS6detail15normal_iteratorINS9_10device_ptrIiEEEENS9_16discard_iteratorINS9_11use_defaultEEEi11max_functorIiEiEEDaPvRmT3_T4_T5_mT6_P12ihipStream_tbENKUlT_T0_E_clISt17integral_constantIbLb0EESX_EEDaSS_ST_EUlSS_E0_NS1_11comp_targetILNS1_3genE2ELNS1_11target_archE906ELNS1_3gpuE6ELNS1_3repE0EEENS1_30default_config_static_selectorELNS0_4arch9wavefront6targetE1EEEvT1_,comdat
.Lfunc_end3867:
	.size	_ZN7rocprim17ROCPRIM_400000_NS6detail17trampoline_kernelINS0_14default_configENS1_20scan_config_selectorIiEEZZNS1_9scan_implILNS1_25lookback_scan_determinismE0ELb0ELb0ES3_N6thrust23THRUST_200600_302600_NS6detail15normal_iteratorINS9_10device_ptrIiEEEENS9_16discard_iteratorINS9_11use_defaultEEEi11max_functorIiEiEEDaPvRmT3_T4_T5_mT6_P12ihipStream_tbENKUlT_T0_E_clISt17integral_constantIbLb0EESX_EEDaSS_ST_EUlSS_E0_NS1_11comp_targetILNS1_3genE2ELNS1_11target_archE906ELNS1_3gpuE6ELNS1_3repE0EEENS1_30default_config_static_selectorELNS0_4arch9wavefront6targetE1EEEvT1_, .Lfunc_end3867-_ZN7rocprim17ROCPRIM_400000_NS6detail17trampoline_kernelINS0_14default_configENS1_20scan_config_selectorIiEEZZNS1_9scan_implILNS1_25lookback_scan_determinismE0ELb0ELb0ES3_N6thrust23THRUST_200600_302600_NS6detail15normal_iteratorINS9_10device_ptrIiEEEENS9_16discard_iteratorINS9_11use_defaultEEEi11max_functorIiEiEEDaPvRmT3_T4_T5_mT6_P12ihipStream_tbENKUlT_T0_E_clISt17integral_constantIbLb0EESX_EEDaSS_ST_EUlSS_E0_NS1_11comp_targetILNS1_3genE2ELNS1_11target_archE906ELNS1_3gpuE6ELNS1_3repE0EEENS1_30default_config_static_selectorELNS0_4arch9wavefront6targetE1EEEvT1_
                                        ; -- End function
	.section	.AMDGPU.csdata,"",@progbits
; Kernel info:
; codeLenInByte = 0
; NumSgprs: 4
; NumVgprs: 0
; NumAgprs: 0
; TotalNumVgprs: 0
; ScratchSize: 0
; MemoryBound: 0
; FloatMode: 240
; IeeeMode: 1
; LDSByteSize: 0 bytes/workgroup (compile time only)
; SGPRBlocks: 0
; VGPRBlocks: 0
; NumSGPRsForWavesPerEU: 4
; NumVGPRsForWavesPerEU: 1
; AccumOffset: 4
; Occupancy: 8
; WaveLimiterHint : 0
; COMPUTE_PGM_RSRC2:SCRATCH_EN: 0
; COMPUTE_PGM_RSRC2:USER_SGPR: 6
; COMPUTE_PGM_RSRC2:TRAP_HANDLER: 0
; COMPUTE_PGM_RSRC2:TGID_X_EN: 1
; COMPUTE_PGM_RSRC2:TGID_Y_EN: 0
; COMPUTE_PGM_RSRC2:TGID_Z_EN: 0
; COMPUTE_PGM_RSRC2:TIDIG_COMP_CNT: 0
; COMPUTE_PGM_RSRC3_GFX90A:ACCUM_OFFSET: 0
; COMPUTE_PGM_RSRC3_GFX90A:TG_SPLIT: 0
	.section	.text._ZN7rocprim17ROCPRIM_400000_NS6detail17trampoline_kernelINS0_14default_configENS1_20scan_config_selectorIiEEZZNS1_9scan_implILNS1_25lookback_scan_determinismE0ELb0ELb0ES3_N6thrust23THRUST_200600_302600_NS6detail15normal_iteratorINS9_10device_ptrIiEEEENS9_16discard_iteratorINS9_11use_defaultEEEi11max_functorIiEiEEDaPvRmT3_T4_T5_mT6_P12ihipStream_tbENKUlT_T0_E_clISt17integral_constantIbLb0EESX_EEDaSS_ST_EUlSS_E0_NS1_11comp_targetILNS1_3genE10ELNS1_11target_archE1201ELNS1_3gpuE5ELNS1_3repE0EEENS1_30default_config_static_selectorELNS0_4arch9wavefront6targetE1EEEvT1_,"axG",@progbits,_ZN7rocprim17ROCPRIM_400000_NS6detail17trampoline_kernelINS0_14default_configENS1_20scan_config_selectorIiEEZZNS1_9scan_implILNS1_25lookback_scan_determinismE0ELb0ELb0ES3_N6thrust23THRUST_200600_302600_NS6detail15normal_iteratorINS9_10device_ptrIiEEEENS9_16discard_iteratorINS9_11use_defaultEEEi11max_functorIiEiEEDaPvRmT3_T4_T5_mT6_P12ihipStream_tbENKUlT_T0_E_clISt17integral_constantIbLb0EESX_EEDaSS_ST_EUlSS_E0_NS1_11comp_targetILNS1_3genE10ELNS1_11target_archE1201ELNS1_3gpuE5ELNS1_3repE0EEENS1_30default_config_static_selectorELNS0_4arch9wavefront6targetE1EEEvT1_,comdat
	.protected	_ZN7rocprim17ROCPRIM_400000_NS6detail17trampoline_kernelINS0_14default_configENS1_20scan_config_selectorIiEEZZNS1_9scan_implILNS1_25lookback_scan_determinismE0ELb0ELb0ES3_N6thrust23THRUST_200600_302600_NS6detail15normal_iteratorINS9_10device_ptrIiEEEENS9_16discard_iteratorINS9_11use_defaultEEEi11max_functorIiEiEEDaPvRmT3_T4_T5_mT6_P12ihipStream_tbENKUlT_T0_E_clISt17integral_constantIbLb0EESX_EEDaSS_ST_EUlSS_E0_NS1_11comp_targetILNS1_3genE10ELNS1_11target_archE1201ELNS1_3gpuE5ELNS1_3repE0EEENS1_30default_config_static_selectorELNS0_4arch9wavefront6targetE1EEEvT1_ ; -- Begin function _ZN7rocprim17ROCPRIM_400000_NS6detail17trampoline_kernelINS0_14default_configENS1_20scan_config_selectorIiEEZZNS1_9scan_implILNS1_25lookback_scan_determinismE0ELb0ELb0ES3_N6thrust23THRUST_200600_302600_NS6detail15normal_iteratorINS9_10device_ptrIiEEEENS9_16discard_iteratorINS9_11use_defaultEEEi11max_functorIiEiEEDaPvRmT3_T4_T5_mT6_P12ihipStream_tbENKUlT_T0_E_clISt17integral_constantIbLb0EESX_EEDaSS_ST_EUlSS_E0_NS1_11comp_targetILNS1_3genE10ELNS1_11target_archE1201ELNS1_3gpuE5ELNS1_3repE0EEENS1_30default_config_static_selectorELNS0_4arch9wavefront6targetE1EEEvT1_
	.globl	_ZN7rocprim17ROCPRIM_400000_NS6detail17trampoline_kernelINS0_14default_configENS1_20scan_config_selectorIiEEZZNS1_9scan_implILNS1_25lookback_scan_determinismE0ELb0ELb0ES3_N6thrust23THRUST_200600_302600_NS6detail15normal_iteratorINS9_10device_ptrIiEEEENS9_16discard_iteratorINS9_11use_defaultEEEi11max_functorIiEiEEDaPvRmT3_T4_T5_mT6_P12ihipStream_tbENKUlT_T0_E_clISt17integral_constantIbLb0EESX_EEDaSS_ST_EUlSS_E0_NS1_11comp_targetILNS1_3genE10ELNS1_11target_archE1201ELNS1_3gpuE5ELNS1_3repE0EEENS1_30default_config_static_selectorELNS0_4arch9wavefront6targetE1EEEvT1_
	.p2align	8
	.type	_ZN7rocprim17ROCPRIM_400000_NS6detail17trampoline_kernelINS0_14default_configENS1_20scan_config_selectorIiEEZZNS1_9scan_implILNS1_25lookback_scan_determinismE0ELb0ELb0ES3_N6thrust23THRUST_200600_302600_NS6detail15normal_iteratorINS9_10device_ptrIiEEEENS9_16discard_iteratorINS9_11use_defaultEEEi11max_functorIiEiEEDaPvRmT3_T4_T5_mT6_P12ihipStream_tbENKUlT_T0_E_clISt17integral_constantIbLb0EESX_EEDaSS_ST_EUlSS_E0_NS1_11comp_targetILNS1_3genE10ELNS1_11target_archE1201ELNS1_3gpuE5ELNS1_3repE0EEENS1_30default_config_static_selectorELNS0_4arch9wavefront6targetE1EEEvT1_,@function
_ZN7rocprim17ROCPRIM_400000_NS6detail17trampoline_kernelINS0_14default_configENS1_20scan_config_selectorIiEEZZNS1_9scan_implILNS1_25lookback_scan_determinismE0ELb0ELb0ES3_N6thrust23THRUST_200600_302600_NS6detail15normal_iteratorINS9_10device_ptrIiEEEENS9_16discard_iteratorINS9_11use_defaultEEEi11max_functorIiEiEEDaPvRmT3_T4_T5_mT6_P12ihipStream_tbENKUlT_T0_E_clISt17integral_constantIbLb0EESX_EEDaSS_ST_EUlSS_E0_NS1_11comp_targetILNS1_3genE10ELNS1_11target_archE1201ELNS1_3gpuE5ELNS1_3repE0EEENS1_30default_config_static_selectorELNS0_4arch9wavefront6targetE1EEEvT1_: ; @_ZN7rocprim17ROCPRIM_400000_NS6detail17trampoline_kernelINS0_14default_configENS1_20scan_config_selectorIiEEZZNS1_9scan_implILNS1_25lookback_scan_determinismE0ELb0ELb0ES3_N6thrust23THRUST_200600_302600_NS6detail15normal_iteratorINS9_10device_ptrIiEEEENS9_16discard_iteratorINS9_11use_defaultEEEi11max_functorIiEiEEDaPvRmT3_T4_T5_mT6_P12ihipStream_tbENKUlT_T0_E_clISt17integral_constantIbLb0EESX_EEDaSS_ST_EUlSS_E0_NS1_11comp_targetILNS1_3genE10ELNS1_11target_archE1201ELNS1_3gpuE5ELNS1_3repE0EEENS1_30default_config_static_selectorELNS0_4arch9wavefront6targetE1EEEvT1_
; %bb.0:
	.section	.rodata,"a",@progbits
	.p2align	6, 0x0
	.amdhsa_kernel _ZN7rocprim17ROCPRIM_400000_NS6detail17trampoline_kernelINS0_14default_configENS1_20scan_config_selectorIiEEZZNS1_9scan_implILNS1_25lookback_scan_determinismE0ELb0ELb0ES3_N6thrust23THRUST_200600_302600_NS6detail15normal_iteratorINS9_10device_ptrIiEEEENS9_16discard_iteratorINS9_11use_defaultEEEi11max_functorIiEiEEDaPvRmT3_T4_T5_mT6_P12ihipStream_tbENKUlT_T0_E_clISt17integral_constantIbLb0EESX_EEDaSS_ST_EUlSS_E0_NS1_11comp_targetILNS1_3genE10ELNS1_11target_archE1201ELNS1_3gpuE5ELNS1_3repE0EEENS1_30default_config_static_selectorELNS0_4arch9wavefront6targetE1EEEvT1_
		.amdhsa_group_segment_fixed_size 0
		.amdhsa_private_segment_fixed_size 0
		.amdhsa_kernarg_size 40
		.amdhsa_user_sgpr_count 6
		.amdhsa_user_sgpr_private_segment_buffer 1
		.amdhsa_user_sgpr_dispatch_ptr 0
		.amdhsa_user_sgpr_queue_ptr 0
		.amdhsa_user_sgpr_kernarg_segment_ptr 1
		.amdhsa_user_sgpr_dispatch_id 0
		.amdhsa_user_sgpr_flat_scratch_init 0
		.amdhsa_user_sgpr_kernarg_preload_length 0
		.amdhsa_user_sgpr_kernarg_preload_offset 0
		.amdhsa_user_sgpr_private_segment_size 0
		.amdhsa_uses_dynamic_stack 0
		.amdhsa_system_sgpr_private_segment_wavefront_offset 0
		.amdhsa_system_sgpr_workgroup_id_x 1
		.amdhsa_system_sgpr_workgroup_id_y 0
		.amdhsa_system_sgpr_workgroup_id_z 0
		.amdhsa_system_sgpr_workgroup_info 0
		.amdhsa_system_vgpr_workitem_id 0
		.amdhsa_next_free_vgpr 1
		.amdhsa_next_free_sgpr 0
		.amdhsa_accum_offset 4
		.amdhsa_reserve_vcc 0
		.amdhsa_reserve_flat_scratch 0
		.amdhsa_float_round_mode_32 0
		.amdhsa_float_round_mode_16_64 0
		.amdhsa_float_denorm_mode_32 3
		.amdhsa_float_denorm_mode_16_64 3
		.amdhsa_dx10_clamp 1
		.amdhsa_ieee_mode 1
		.amdhsa_fp16_overflow 0
		.amdhsa_tg_split 0
		.amdhsa_exception_fp_ieee_invalid_op 0
		.amdhsa_exception_fp_denorm_src 0
		.amdhsa_exception_fp_ieee_div_zero 0
		.amdhsa_exception_fp_ieee_overflow 0
		.amdhsa_exception_fp_ieee_underflow 0
		.amdhsa_exception_fp_ieee_inexact 0
		.amdhsa_exception_int_div_zero 0
	.end_amdhsa_kernel
	.section	.text._ZN7rocprim17ROCPRIM_400000_NS6detail17trampoline_kernelINS0_14default_configENS1_20scan_config_selectorIiEEZZNS1_9scan_implILNS1_25lookback_scan_determinismE0ELb0ELb0ES3_N6thrust23THRUST_200600_302600_NS6detail15normal_iteratorINS9_10device_ptrIiEEEENS9_16discard_iteratorINS9_11use_defaultEEEi11max_functorIiEiEEDaPvRmT3_T4_T5_mT6_P12ihipStream_tbENKUlT_T0_E_clISt17integral_constantIbLb0EESX_EEDaSS_ST_EUlSS_E0_NS1_11comp_targetILNS1_3genE10ELNS1_11target_archE1201ELNS1_3gpuE5ELNS1_3repE0EEENS1_30default_config_static_selectorELNS0_4arch9wavefront6targetE1EEEvT1_,"axG",@progbits,_ZN7rocprim17ROCPRIM_400000_NS6detail17trampoline_kernelINS0_14default_configENS1_20scan_config_selectorIiEEZZNS1_9scan_implILNS1_25lookback_scan_determinismE0ELb0ELb0ES3_N6thrust23THRUST_200600_302600_NS6detail15normal_iteratorINS9_10device_ptrIiEEEENS9_16discard_iteratorINS9_11use_defaultEEEi11max_functorIiEiEEDaPvRmT3_T4_T5_mT6_P12ihipStream_tbENKUlT_T0_E_clISt17integral_constantIbLb0EESX_EEDaSS_ST_EUlSS_E0_NS1_11comp_targetILNS1_3genE10ELNS1_11target_archE1201ELNS1_3gpuE5ELNS1_3repE0EEENS1_30default_config_static_selectorELNS0_4arch9wavefront6targetE1EEEvT1_,comdat
.Lfunc_end3868:
	.size	_ZN7rocprim17ROCPRIM_400000_NS6detail17trampoline_kernelINS0_14default_configENS1_20scan_config_selectorIiEEZZNS1_9scan_implILNS1_25lookback_scan_determinismE0ELb0ELb0ES3_N6thrust23THRUST_200600_302600_NS6detail15normal_iteratorINS9_10device_ptrIiEEEENS9_16discard_iteratorINS9_11use_defaultEEEi11max_functorIiEiEEDaPvRmT3_T4_T5_mT6_P12ihipStream_tbENKUlT_T0_E_clISt17integral_constantIbLb0EESX_EEDaSS_ST_EUlSS_E0_NS1_11comp_targetILNS1_3genE10ELNS1_11target_archE1201ELNS1_3gpuE5ELNS1_3repE0EEENS1_30default_config_static_selectorELNS0_4arch9wavefront6targetE1EEEvT1_, .Lfunc_end3868-_ZN7rocprim17ROCPRIM_400000_NS6detail17trampoline_kernelINS0_14default_configENS1_20scan_config_selectorIiEEZZNS1_9scan_implILNS1_25lookback_scan_determinismE0ELb0ELb0ES3_N6thrust23THRUST_200600_302600_NS6detail15normal_iteratorINS9_10device_ptrIiEEEENS9_16discard_iteratorINS9_11use_defaultEEEi11max_functorIiEiEEDaPvRmT3_T4_T5_mT6_P12ihipStream_tbENKUlT_T0_E_clISt17integral_constantIbLb0EESX_EEDaSS_ST_EUlSS_E0_NS1_11comp_targetILNS1_3genE10ELNS1_11target_archE1201ELNS1_3gpuE5ELNS1_3repE0EEENS1_30default_config_static_selectorELNS0_4arch9wavefront6targetE1EEEvT1_
                                        ; -- End function
	.section	.AMDGPU.csdata,"",@progbits
; Kernel info:
; codeLenInByte = 0
; NumSgprs: 4
; NumVgprs: 0
; NumAgprs: 0
; TotalNumVgprs: 0
; ScratchSize: 0
; MemoryBound: 0
; FloatMode: 240
; IeeeMode: 1
; LDSByteSize: 0 bytes/workgroup (compile time only)
; SGPRBlocks: 0
; VGPRBlocks: 0
; NumSGPRsForWavesPerEU: 4
; NumVGPRsForWavesPerEU: 1
; AccumOffset: 4
; Occupancy: 8
; WaveLimiterHint : 0
; COMPUTE_PGM_RSRC2:SCRATCH_EN: 0
; COMPUTE_PGM_RSRC2:USER_SGPR: 6
; COMPUTE_PGM_RSRC2:TRAP_HANDLER: 0
; COMPUTE_PGM_RSRC2:TGID_X_EN: 1
; COMPUTE_PGM_RSRC2:TGID_Y_EN: 0
; COMPUTE_PGM_RSRC2:TGID_Z_EN: 0
; COMPUTE_PGM_RSRC2:TIDIG_COMP_CNT: 0
; COMPUTE_PGM_RSRC3_GFX90A:ACCUM_OFFSET: 0
; COMPUTE_PGM_RSRC3_GFX90A:TG_SPLIT: 0
	.section	.text._ZN7rocprim17ROCPRIM_400000_NS6detail17trampoline_kernelINS0_14default_configENS1_20scan_config_selectorIiEEZZNS1_9scan_implILNS1_25lookback_scan_determinismE0ELb0ELb0ES3_N6thrust23THRUST_200600_302600_NS6detail15normal_iteratorINS9_10device_ptrIiEEEENS9_16discard_iteratorINS9_11use_defaultEEEi11max_functorIiEiEEDaPvRmT3_T4_T5_mT6_P12ihipStream_tbENKUlT_T0_E_clISt17integral_constantIbLb0EESX_EEDaSS_ST_EUlSS_E0_NS1_11comp_targetILNS1_3genE10ELNS1_11target_archE1200ELNS1_3gpuE4ELNS1_3repE0EEENS1_30default_config_static_selectorELNS0_4arch9wavefront6targetE1EEEvT1_,"axG",@progbits,_ZN7rocprim17ROCPRIM_400000_NS6detail17trampoline_kernelINS0_14default_configENS1_20scan_config_selectorIiEEZZNS1_9scan_implILNS1_25lookback_scan_determinismE0ELb0ELb0ES3_N6thrust23THRUST_200600_302600_NS6detail15normal_iteratorINS9_10device_ptrIiEEEENS9_16discard_iteratorINS9_11use_defaultEEEi11max_functorIiEiEEDaPvRmT3_T4_T5_mT6_P12ihipStream_tbENKUlT_T0_E_clISt17integral_constantIbLb0EESX_EEDaSS_ST_EUlSS_E0_NS1_11comp_targetILNS1_3genE10ELNS1_11target_archE1200ELNS1_3gpuE4ELNS1_3repE0EEENS1_30default_config_static_selectorELNS0_4arch9wavefront6targetE1EEEvT1_,comdat
	.protected	_ZN7rocprim17ROCPRIM_400000_NS6detail17trampoline_kernelINS0_14default_configENS1_20scan_config_selectorIiEEZZNS1_9scan_implILNS1_25lookback_scan_determinismE0ELb0ELb0ES3_N6thrust23THRUST_200600_302600_NS6detail15normal_iteratorINS9_10device_ptrIiEEEENS9_16discard_iteratorINS9_11use_defaultEEEi11max_functorIiEiEEDaPvRmT3_T4_T5_mT6_P12ihipStream_tbENKUlT_T0_E_clISt17integral_constantIbLb0EESX_EEDaSS_ST_EUlSS_E0_NS1_11comp_targetILNS1_3genE10ELNS1_11target_archE1200ELNS1_3gpuE4ELNS1_3repE0EEENS1_30default_config_static_selectorELNS0_4arch9wavefront6targetE1EEEvT1_ ; -- Begin function _ZN7rocprim17ROCPRIM_400000_NS6detail17trampoline_kernelINS0_14default_configENS1_20scan_config_selectorIiEEZZNS1_9scan_implILNS1_25lookback_scan_determinismE0ELb0ELb0ES3_N6thrust23THRUST_200600_302600_NS6detail15normal_iteratorINS9_10device_ptrIiEEEENS9_16discard_iteratorINS9_11use_defaultEEEi11max_functorIiEiEEDaPvRmT3_T4_T5_mT6_P12ihipStream_tbENKUlT_T0_E_clISt17integral_constantIbLb0EESX_EEDaSS_ST_EUlSS_E0_NS1_11comp_targetILNS1_3genE10ELNS1_11target_archE1200ELNS1_3gpuE4ELNS1_3repE0EEENS1_30default_config_static_selectorELNS0_4arch9wavefront6targetE1EEEvT1_
	.globl	_ZN7rocprim17ROCPRIM_400000_NS6detail17trampoline_kernelINS0_14default_configENS1_20scan_config_selectorIiEEZZNS1_9scan_implILNS1_25lookback_scan_determinismE0ELb0ELb0ES3_N6thrust23THRUST_200600_302600_NS6detail15normal_iteratorINS9_10device_ptrIiEEEENS9_16discard_iteratorINS9_11use_defaultEEEi11max_functorIiEiEEDaPvRmT3_T4_T5_mT6_P12ihipStream_tbENKUlT_T0_E_clISt17integral_constantIbLb0EESX_EEDaSS_ST_EUlSS_E0_NS1_11comp_targetILNS1_3genE10ELNS1_11target_archE1200ELNS1_3gpuE4ELNS1_3repE0EEENS1_30default_config_static_selectorELNS0_4arch9wavefront6targetE1EEEvT1_
	.p2align	8
	.type	_ZN7rocprim17ROCPRIM_400000_NS6detail17trampoline_kernelINS0_14default_configENS1_20scan_config_selectorIiEEZZNS1_9scan_implILNS1_25lookback_scan_determinismE0ELb0ELb0ES3_N6thrust23THRUST_200600_302600_NS6detail15normal_iteratorINS9_10device_ptrIiEEEENS9_16discard_iteratorINS9_11use_defaultEEEi11max_functorIiEiEEDaPvRmT3_T4_T5_mT6_P12ihipStream_tbENKUlT_T0_E_clISt17integral_constantIbLb0EESX_EEDaSS_ST_EUlSS_E0_NS1_11comp_targetILNS1_3genE10ELNS1_11target_archE1200ELNS1_3gpuE4ELNS1_3repE0EEENS1_30default_config_static_selectorELNS0_4arch9wavefront6targetE1EEEvT1_,@function
_ZN7rocprim17ROCPRIM_400000_NS6detail17trampoline_kernelINS0_14default_configENS1_20scan_config_selectorIiEEZZNS1_9scan_implILNS1_25lookback_scan_determinismE0ELb0ELb0ES3_N6thrust23THRUST_200600_302600_NS6detail15normal_iteratorINS9_10device_ptrIiEEEENS9_16discard_iteratorINS9_11use_defaultEEEi11max_functorIiEiEEDaPvRmT3_T4_T5_mT6_P12ihipStream_tbENKUlT_T0_E_clISt17integral_constantIbLb0EESX_EEDaSS_ST_EUlSS_E0_NS1_11comp_targetILNS1_3genE10ELNS1_11target_archE1200ELNS1_3gpuE4ELNS1_3repE0EEENS1_30default_config_static_selectorELNS0_4arch9wavefront6targetE1EEEvT1_: ; @_ZN7rocprim17ROCPRIM_400000_NS6detail17trampoline_kernelINS0_14default_configENS1_20scan_config_selectorIiEEZZNS1_9scan_implILNS1_25lookback_scan_determinismE0ELb0ELb0ES3_N6thrust23THRUST_200600_302600_NS6detail15normal_iteratorINS9_10device_ptrIiEEEENS9_16discard_iteratorINS9_11use_defaultEEEi11max_functorIiEiEEDaPvRmT3_T4_T5_mT6_P12ihipStream_tbENKUlT_T0_E_clISt17integral_constantIbLb0EESX_EEDaSS_ST_EUlSS_E0_NS1_11comp_targetILNS1_3genE10ELNS1_11target_archE1200ELNS1_3gpuE4ELNS1_3repE0EEENS1_30default_config_static_selectorELNS0_4arch9wavefront6targetE1EEEvT1_
; %bb.0:
	.section	.rodata,"a",@progbits
	.p2align	6, 0x0
	.amdhsa_kernel _ZN7rocprim17ROCPRIM_400000_NS6detail17trampoline_kernelINS0_14default_configENS1_20scan_config_selectorIiEEZZNS1_9scan_implILNS1_25lookback_scan_determinismE0ELb0ELb0ES3_N6thrust23THRUST_200600_302600_NS6detail15normal_iteratorINS9_10device_ptrIiEEEENS9_16discard_iteratorINS9_11use_defaultEEEi11max_functorIiEiEEDaPvRmT3_T4_T5_mT6_P12ihipStream_tbENKUlT_T0_E_clISt17integral_constantIbLb0EESX_EEDaSS_ST_EUlSS_E0_NS1_11comp_targetILNS1_3genE10ELNS1_11target_archE1200ELNS1_3gpuE4ELNS1_3repE0EEENS1_30default_config_static_selectorELNS0_4arch9wavefront6targetE1EEEvT1_
		.amdhsa_group_segment_fixed_size 0
		.amdhsa_private_segment_fixed_size 0
		.amdhsa_kernarg_size 40
		.amdhsa_user_sgpr_count 6
		.amdhsa_user_sgpr_private_segment_buffer 1
		.amdhsa_user_sgpr_dispatch_ptr 0
		.amdhsa_user_sgpr_queue_ptr 0
		.amdhsa_user_sgpr_kernarg_segment_ptr 1
		.amdhsa_user_sgpr_dispatch_id 0
		.amdhsa_user_sgpr_flat_scratch_init 0
		.amdhsa_user_sgpr_kernarg_preload_length 0
		.amdhsa_user_sgpr_kernarg_preload_offset 0
		.amdhsa_user_sgpr_private_segment_size 0
		.amdhsa_uses_dynamic_stack 0
		.amdhsa_system_sgpr_private_segment_wavefront_offset 0
		.amdhsa_system_sgpr_workgroup_id_x 1
		.amdhsa_system_sgpr_workgroup_id_y 0
		.amdhsa_system_sgpr_workgroup_id_z 0
		.amdhsa_system_sgpr_workgroup_info 0
		.amdhsa_system_vgpr_workitem_id 0
		.amdhsa_next_free_vgpr 1
		.amdhsa_next_free_sgpr 0
		.amdhsa_accum_offset 4
		.amdhsa_reserve_vcc 0
		.amdhsa_reserve_flat_scratch 0
		.amdhsa_float_round_mode_32 0
		.amdhsa_float_round_mode_16_64 0
		.amdhsa_float_denorm_mode_32 3
		.amdhsa_float_denorm_mode_16_64 3
		.amdhsa_dx10_clamp 1
		.amdhsa_ieee_mode 1
		.amdhsa_fp16_overflow 0
		.amdhsa_tg_split 0
		.amdhsa_exception_fp_ieee_invalid_op 0
		.amdhsa_exception_fp_denorm_src 0
		.amdhsa_exception_fp_ieee_div_zero 0
		.amdhsa_exception_fp_ieee_overflow 0
		.amdhsa_exception_fp_ieee_underflow 0
		.amdhsa_exception_fp_ieee_inexact 0
		.amdhsa_exception_int_div_zero 0
	.end_amdhsa_kernel
	.section	.text._ZN7rocprim17ROCPRIM_400000_NS6detail17trampoline_kernelINS0_14default_configENS1_20scan_config_selectorIiEEZZNS1_9scan_implILNS1_25lookback_scan_determinismE0ELb0ELb0ES3_N6thrust23THRUST_200600_302600_NS6detail15normal_iteratorINS9_10device_ptrIiEEEENS9_16discard_iteratorINS9_11use_defaultEEEi11max_functorIiEiEEDaPvRmT3_T4_T5_mT6_P12ihipStream_tbENKUlT_T0_E_clISt17integral_constantIbLb0EESX_EEDaSS_ST_EUlSS_E0_NS1_11comp_targetILNS1_3genE10ELNS1_11target_archE1200ELNS1_3gpuE4ELNS1_3repE0EEENS1_30default_config_static_selectorELNS0_4arch9wavefront6targetE1EEEvT1_,"axG",@progbits,_ZN7rocprim17ROCPRIM_400000_NS6detail17trampoline_kernelINS0_14default_configENS1_20scan_config_selectorIiEEZZNS1_9scan_implILNS1_25lookback_scan_determinismE0ELb0ELb0ES3_N6thrust23THRUST_200600_302600_NS6detail15normal_iteratorINS9_10device_ptrIiEEEENS9_16discard_iteratorINS9_11use_defaultEEEi11max_functorIiEiEEDaPvRmT3_T4_T5_mT6_P12ihipStream_tbENKUlT_T0_E_clISt17integral_constantIbLb0EESX_EEDaSS_ST_EUlSS_E0_NS1_11comp_targetILNS1_3genE10ELNS1_11target_archE1200ELNS1_3gpuE4ELNS1_3repE0EEENS1_30default_config_static_selectorELNS0_4arch9wavefront6targetE1EEEvT1_,comdat
.Lfunc_end3869:
	.size	_ZN7rocprim17ROCPRIM_400000_NS6detail17trampoline_kernelINS0_14default_configENS1_20scan_config_selectorIiEEZZNS1_9scan_implILNS1_25lookback_scan_determinismE0ELb0ELb0ES3_N6thrust23THRUST_200600_302600_NS6detail15normal_iteratorINS9_10device_ptrIiEEEENS9_16discard_iteratorINS9_11use_defaultEEEi11max_functorIiEiEEDaPvRmT3_T4_T5_mT6_P12ihipStream_tbENKUlT_T0_E_clISt17integral_constantIbLb0EESX_EEDaSS_ST_EUlSS_E0_NS1_11comp_targetILNS1_3genE10ELNS1_11target_archE1200ELNS1_3gpuE4ELNS1_3repE0EEENS1_30default_config_static_selectorELNS0_4arch9wavefront6targetE1EEEvT1_, .Lfunc_end3869-_ZN7rocprim17ROCPRIM_400000_NS6detail17trampoline_kernelINS0_14default_configENS1_20scan_config_selectorIiEEZZNS1_9scan_implILNS1_25lookback_scan_determinismE0ELb0ELb0ES3_N6thrust23THRUST_200600_302600_NS6detail15normal_iteratorINS9_10device_ptrIiEEEENS9_16discard_iteratorINS9_11use_defaultEEEi11max_functorIiEiEEDaPvRmT3_T4_T5_mT6_P12ihipStream_tbENKUlT_T0_E_clISt17integral_constantIbLb0EESX_EEDaSS_ST_EUlSS_E0_NS1_11comp_targetILNS1_3genE10ELNS1_11target_archE1200ELNS1_3gpuE4ELNS1_3repE0EEENS1_30default_config_static_selectorELNS0_4arch9wavefront6targetE1EEEvT1_
                                        ; -- End function
	.section	.AMDGPU.csdata,"",@progbits
; Kernel info:
; codeLenInByte = 0
; NumSgprs: 4
; NumVgprs: 0
; NumAgprs: 0
; TotalNumVgprs: 0
; ScratchSize: 0
; MemoryBound: 0
; FloatMode: 240
; IeeeMode: 1
; LDSByteSize: 0 bytes/workgroup (compile time only)
; SGPRBlocks: 0
; VGPRBlocks: 0
; NumSGPRsForWavesPerEU: 4
; NumVGPRsForWavesPerEU: 1
; AccumOffset: 4
; Occupancy: 8
; WaveLimiterHint : 0
; COMPUTE_PGM_RSRC2:SCRATCH_EN: 0
; COMPUTE_PGM_RSRC2:USER_SGPR: 6
; COMPUTE_PGM_RSRC2:TRAP_HANDLER: 0
; COMPUTE_PGM_RSRC2:TGID_X_EN: 1
; COMPUTE_PGM_RSRC2:TGID_Y_EN: 0
; COMPUTE_PGM_RSRC2:TGID_Z_EN: 0
; COMPUTE_PGM_RSRC2:TIDIG_COMP_CNT: 0
; COMPUTE_PGM_RSRC3_GFX90A:ACCUM_OFFSET: 0
; COMPUTE_PGM_RSRC3_GFX90A:TG_SPLIT: 0
	.section	.text._ZN7rocprim17ROCPRIM_400000_NS6detail17trampoline_kernelINS0_14default_configENS1_20scan_config_selectorIiEEZZNS1_9scan_implILNS1_25lookback_scan_determinismE0ELb0ELb0ES3_N6thrust23THRUST_200600_302600_NS6detail15normal_iteratorINS9_10device_ptrIiEEEENS9_16discard_iteratorINS9_11use_defaultEEEi11max_functorIiEiEEDaPvRmT3_T4_T5_mT6_P12ihipStream_tbENKUlT_T0_E_clISt17integral_constantIbLb0EESX_EEDaSS_ST_EUlSS_E0_NS1_11comp_targetILNS1_3genE9ELNS1_11target_archE1100ELNS1_3gpuE3ELNS1_3repE0EEENS1_30default_config_static_selectorELNS0_4arch9wavefront6targetE1EEEvT1_,"axG",@progbits,_ZN7rocprim17ROCPRIM_400000_NS6detail17trampoline_kernelINS0_14default_configENS1_20scan_config_selectorIiEEZZNS1_9scan_implILNS1_25lookback_scan_determinismE0ELb0ELb0ES3_N6thrust23THRUST_200600_302600_NS6detail15normal_iteratorINS9_10device_ptrIiEEEENS9_16discard_iteratorINS9_11use_defaultEEEi11max_functorIiEiEEDaPvRmT3_T4_T5_mT6_P12ihipStream_tbENKUlT_T0_E_clISt17integral_constantIbLb0EESX_EEDaSS_ST_EUlSS_E0_NS1_11comp_targetILNS1_3genE9ELNS1_11target_archE1100ELNS1_3gpuE3ELNS1_3repE0EEENS1_30default_config_static_selectorELNS0_4arch9wavefront6targetE1EEEvT1_,comdat
	.protected	_ZN7rocprim17ROCPRIM_400000_NS6detail17trampoline_kernelINS0_14default_configENS1_20scan_config_selectorIiEEZZNS1_9scan_implILNS1_25lookback_scan_determinismE0ELb0ELb0ES3_N6thrust23THRUST_200600_302600_NS6detail15normal_iteratorINS9_10device_ptrIiEEEENS9_16discard_iteratorINS9_11use_defaultEEEi11max_functorIiEiEEDaPvRmT3_T4_T5_mT6_P12ihipStream_tbENKUlT_T0_E_clISt17integral_constantIbLb0EESX_EEDaSS_ST_EUlSS_E0_NS1_11comp_targetILNS1_3genE9ELNS1_11target_archE1100ELNS1_3gpuE3ELNS1_3repE0EEENS1_30default_config_static_selectorELNS0_4arch9wavefront6targetE1EEEvT1_ ; -- Begin function _ZN7rocprim17ROCPRIM_400000_NS6detail17trampoline_kernelINS0_14default_configENS1_20scan_config_selectorIiEEZZNS1_9scan_implILNS1_25lookback_scan_determinismE0ELb0ELb0ES3_N6thrust23THRUST_200600_302600_NS6detail15normal_iteratorINS9_10device_ptrIiEEEENS9_16discard_iteratorINS9_11use_defaultEEEi11max_functorIiEiEEDaPvRmT3_T4_T5_mT6_P12ihipStream_tbENKUlT_T0_E_clISt17integral_constantIbLb0EESX_EEDaSS_ST_EUlSS_E0_NS1_11comp_targetILNS1_3genE9ELNS1_11target_archE1100ELNS1_3gpuE3ELNS1_3repE0EEENS1_30default_config_static_selectorELNS0_4arch9wavefront6targetE1EEEvT1_
	.globl	_ZN7rocprim17ROCPRIM_400000_NS6detail17trampoline_kernelINS0_14default_configENS1_20scan_config_selectorIiEEZZNS1_9scan_implILNS1_25lookback_scan_determinismE0ELb0ELb0ES3_N6thrust23THRUST_200600_302600_NS6detail15normal_iteratorINS9_10device_ptrIiEEEENS9_16discard_iteratorINS9_11use_defaultEEEi11max_functorIiEiEEDaPvRmT3_T4_T5_mT6_P12ihipStream_tbENKUlT_T0_E_clISt17integral_constantIbLb0EESX_EEDaSS_ST_EUlSS_E0_NS1_11comp_targetILNS1_3genE9ELNS1_11target_archE1100ELNS1_3gpuE3ELNS1_3repE0EEENS1_30default_config_static_selectorELNS0_4arch9wavefront6targetE1EEEvT1_
	.p2align	8
	.type	_ZN7rocprim17ROCPRIM_400000_NS6detail17trampoline_kernelINS0_14default_configENS1_20scan_config_selectorIiEEZZNS1_9scan_implILNS1_25lookback_scan_determinismE0ELb0ELb0ES3_N6thrust23THRUST_200600_302600_NS6detail15normal_iteratorINS9_10device_ptrIiEEEENS9_16discard_iteratorINS9_11use_defaultEEEi11max_functorIiEiEEDaPvRmT3_T4_T5_mT6_P12ihipStream_tbENKUlT_T0_E_clISt17integral_constantIbLb0EESX_EEDaSS_ST_EUlSS_E0_NS1_11comp_targetILNS1_3genE9ELNS1_11target_archE1100ELNS1_3gpuE3ELNS1_3repE0EEENS1_30default_config_static_selectorELNS0_4arch9wavefront6targetE1EEEvT1_,@function
_ZN7rocprim17ROCPRIM_400000_NS6detail17trampoline_kernelINS0_14default_configENS1_20scan_config_selectorIiEEZZNS1_9scan_implILNS1_25lookback_scan_determinismE0ELb0ELb0ES3_N6thrust23THRUST_200600_302600_NS6detail15normal_iteratorINS9_10device_ptrIiEEEENS9_16discard_iteratorINS9_11use_defaultEEEi11max_functorIiEiEEDaPvRmT3_T4_T5_mT6_P12ihipStream_tbENKUlT_T0_E_clISt17integral_constantIbLb0EESX_EEDaSS_ST_EUlSS_E0_NS1_11comp_targetILNS1_3genE9ELNS1_11target_archE1100ELNS1_3gpuE3ELNS1_3repE0EEENS1_30default_config_static_selectorELNS0_4arch9wavefront6targetE1EEEvT1_: ; @_ZN7rocprim17ROCPRIM_400000_NS6detail17trampoline_kernelINS0_14default_configENS1_20scan_config_selectorIiEEZZNS1_9scan_implILNS1_25lookback_scan_determinismE0ELb0ELb0ES3_N6thrust23THRUST_200600_302600_NS6detail15normal_iteratorINS9_10device_ptrIiEEEENS9_16discard_iteratorINS9_11use_defaultEEEi11max_functorIiEiEEDaPvRmT3_T4_T5_mT6_P12ihipStream_tbENKUlT_T0_E_clISt17integral_constantIbLb0EESX_EEDaSS_ST_EUlSS_E0_NS1_11comp_targetILNS1_3genE9ELNS1_11target_archE1100ELNS1_3gpuE3ELNS1_3repE0EEENS1_30default_config_static_selectorELNS0_4arch9wavefront6targetE1EEEvT1_
; %bb.0:
	.section	.rodata,"a",@progbits
	.p2align	6, 0x0
	.amdhsa_kernel _ZN7rocprim17ROCPRIM_400000_NS6detail17trampoline_kernelINS0_14default_configENS1_20scan_config_selectorIiEEZZNS1_9scan_implILNS1_25lookback_scan_determinismE0ELb0ELb0ES3_N6thrust23THRUST_200600_302600_NS6detail15normal_iteratorINS9_10device_ptrIiEEEENS9_16discard_iteratorINS9_11use_defaultEEEi11max_functorIiEiEEDaPvRmT3_T4_T5_mT6_P12ihipStream_tbENKUlT_T0_E_clISt17integral_constantIbLb0EESX_EEDaSS_ST_EUlSS_E0_NS1_11comp_targetILNS1_3genE9ELNS1_11target_archE1100ELNS1_3gpuE3ELNS1_3repE0EEENS1_30default_config_static_selectorELNS0_4arch9wavefront6targetE1EEEvT1_
		.amdhsa_group_segment_fixed_size 0
		.amdhsa_private_segment_fixed_size 0
		.amdhsa_kernarg_size 40
		.amdhsa_user_sgpr_count 6
		.amdhsa_user_sgpr_private_segment_buffer 1
		.amdhsa_user_sgpr_dispatch_ptr 0
		.amdhsa_user_sgpr_queue_ptr 0
		.amdhsa_user_sgpr_kernarg_segment_ptr 1
		.amdhsa_user_sgpr_dispatch_id 0
		.amdhsa_user_sgpr_flat_scratch_init 0
		.amdhsa_user_sgpr_kernarg_preload_length 0
		.amdhsa_user_sgpr_kernarg_preload_offset 0
		.amdhsa_user_sgpr_private_segment_size 0
		.amdhsa_uses_dynamic_stack 0
		.amdhsa_system_sgpr_private_segment_wavefront_offset 0
		.amdhsa_system_sgpr_workgroup_id_x 1
		.amdhsa_system_sgpr_workgroup_id_y 0
		.amdhsa_system_sgpr_workgroup_id_z 0
		.amdhsa_system_sgpr_workgroup_info 0
		.amdhsa_system_vgpr_workitem_id 0
		.amdhsa_next_free_vgpr 1
		.amdhsa_next_free_sgpr 0
		.amdhsa_accum_offset 4
		.amdhsa_reserve_vcc 0
		.amdhsa_reserve_flat_scratch 0
		.amdhsa_float_round_mode_32 0
		.amdhsa_float_round_mode_16_64 0
		.amdhsa_float_denorm_mode_32 3
		.amdhsa_float_denorm_mode_16_64 3
		.amdhsa_dx10_clamp 1
		.amdhsa_ieee_mode 1
		.amdhsa_fp16_overflow 0
		.amdhsa_tg_split 0
		.amdhsa_exception_fp_ieee_invalid_op 0
		.amdhsa_exception_fp_denorm_src 0
		.amdhsa_exception_fp_ieee_div_zero 0
		.amdhsa_exception_fp_ieee_overflow 0
		.amdhsa_exception_fp_ieee_underflow 0
		.amdhsa_exception_fp_ieee_inexact 0
		.amdhsa_exception_int_div_zero 0
	.end_amdhsa_kernel
	.section	.text._ZN7rocprim17ROCPRIM_400000_NS6detail17trampoline_kernelINS0_14default_configENS1_20scan_config_selectorIiEEZZNS1_9scan_implILNS1_25lookback_scan_determinismE0ELb0ELb0ES3_N6thrust23THRUST_200600_302600_NS6detail15normal_iteratorINS9_10device_ptrIiEEEENS9_16discard_iteratorINS9_11use_defaultEEEi11max_functorIiEiEEDaPvRmT3_T4_T5_mT6_P12ihipStream_tbENKUlT_T0_E_clISt17integral_constantIbLb0EESX_EEDaSS_ST_EUlSS_E0_NS1_11comp_targetILNS1_3genE9ELNS1_11target_archE1100ELNS1_3gpuE3ELNS1_3repE0EEENS1_30default_config_static_selectorELNS0_4arch9wavefront6targetE1EEEvT1_,"axG",@progbits,_ZN7rocprim17ROCPRIM_400000_NS6detail17trampoline_kernelINS0_14default_configENS1_20scan_config_selectorIiEEZZNS1_9scan_implILNS1_25lookback_scan_determinismE0ELb0ELb0ES3_N6thrust23THRUST_200600_302600_NS6detail15normal_iteratorINS9_10device_ptrIiEEEENS9_16discard_iteratorINS9_11use_defaultEEEi11max_functorIiEiEEDaPvRmT3_T4_T5_mT6_P12ihipStream_tbENKUlT_T0_E_clISt17integral_constantIbLb0EESX_EEDaSS_ST_EUlSS_E0_NS1_11comp_targetILNS1_3genE9ELNS1_11target_archE1100ELNS1_3gpuE3ELNS1_3repE0EEENS1_30default_config_static_selectorELNS0_4arch9wavefront6targetE1EEEvT1_,comdat
.Lfunc_end3870:
	.size	_ZN7rocprim17ROCPRIM_400000_NS6detail17trampoline_kernelINS0_14default_configENS1_20scan_config_selectorIiEEZZNS1_9scan_implILNS1_25lookback_scan_determinismE0ELb0ELb0ES3_N6thrust23THRUST_200600_302600_NS6detail15normal_iteratorINS9_10device_ptrIiEEEENS9_16discard_iteratorINS9_11use_defaultEEEi11max_functorIiEiEEDaPvRmT3_T4_T5_mT6_P12ihipStream_tbENKUlT_T0_E_clISt17integral_constantIbLb0EESX_EEDaSS_ST_EUlSS_E0_NS1_11comp_targetILNS1_3genE9ELNS1_11target_archE1100ELNS1_3gpuE3ELNS1_3repE0EEENS1_30default_config_static_selectorELNS0_4arch9wavefront6targetE1EEEvT1_, .Lfunc_end3870-_ZN7rocprim17ROCPRIM_400000_NS6detail17trampoline_kernelINS0_14default_configENS1_20scan_config_selectorIiEEZZNS1_9scan_implILNS1_25lookback_scan_determinismE0ELb0ELb0ES3_N6thrust23THRUST_200600_302600_NS6detail15normal_iteratorINS9_10device_ptrIiEEEENS9_16discard_iteratorINS9_11use_defaultEEEi11max_functorIiEiEEDaPvRmT3_T4_T5_mT6_P12ihipStream_tbENKUlT_T0_E_clISt17integral_constantIbLb0EESX_EEDaSS_ST_EUlSS_E0_NS1_11comp_targetILNS1_3genE9ELNS1_11target_archE1100ELNS1_3gpuE3ELNS1_3repE0EEENS1_30default_config_static_selectorELNS0_4arch9wavefront6targetE1EEEvT1_
                                        ; -- End function
	.section	.AMDGPU.csdata,"",@progbits
; Kernel info:
; codeLenInByte = 0
; NumSgprs: 4
; NumVgprs: 0
; NumAgprs: 0
; TotalNumVgprs: 0
; ScratchSize: 0
; MemoryBound: 0
; FloatMode: 240
; IeeeMode: 1
; LDSByteSize: 0 bytes/workgroup (compile time only)
; SGPRBlocks: 0
; VGPRBlocks: 0
; NumSGPRsForWavesPerEU: 4
; NumVGPRsForWavesPerEU: 1
; AccumOffset: 4
; Occupancy: 8
; WaveLimiterHint : 0
; COMPUTE_PGM_RSRC2:SCRATCH_EN: 0
; COMPUTE_PGM_RSRC2:USER_SGPR: 6
; COMPUTE_PGM_RSRC2:TRAP_HANDLER: 0
; COMPUTE_PGM_RSRC2:TGID_X_EN: 1
; COMPUTE_PGM_RSRC2:TGID_Y_EN: 0
; COMPUTE_PGM_RSRC2:TGID_Z_EN: 0
; COMPUTE_PGM_RSRC2:TIDIG_COMP_CNT: 0
; COMPUTE_PGM_RSRC3_GFX90A:ACCUM_OFFSET: 0
; COMPUTE_PGM_RSRC3_GFX90A:TG_SPLIT: 0
	.section	.text._ZN7rocprim17ROCPRIM_400000_NS6detail17trampoline_kernelINS0_14default_configENS1_20scan_config_selectorIiEEZZNS1_9scan_implILNS1_25lookback_scan_determinismE0ELb0ELb0ES3_N6thrust23THRUST_200600_302600_NS6detail15normal_iteratorINS9_10device_ptrIiEEEENS9_16discard_iteratorINS9_11use_defaultEEEi11max_functorIiEiEEDaPvRmT3_T4_T5_mT6_P12ihipStream_tbENKUlT_T0_E_clISt17integral_constantIbLb0EESX_EEDaSS_ST_EUlSS_E0_NS1_11comp_targetILNS1_3genE8ELNS1_11target_archE1030ELNS1_3gpuE2ELNS1_3repE0EEENS1_30default_config_static_selectorELNS0_4arch9wavefront6targetE1EEEvT1_,"axG",@progbits,_ZN7rocprim17ROCPRIM_400000_NS6detail17trampoline_kernelINS0_14default_configENS1_20scan_config_selectorIiEEZZNS1_9scan_implILNS1_25lookback_scan_determinismE0ELb0ELb0ES3_N6thrust23THRUST_200600_302600_NS6detail15normal_iteratorINS9_10device_ptrIiEEEENS9_16discard_iteratorINS9_11use_defaultEEEi11max_functorIiEiEEDaPvRmT3_T4_T5_mT6_P12ihipStream_tbENKUlT_T0_E_clISt17integral_constantIbLb0EESX_EEDaSS_ST_EUlSS_E0_NS1_11comp_targetILNS1_3genE8ELNS1_11target_archE1030ELNS1_3gpuE2ELNS1_3repE0EEENS1_30default_config_static_selectorELNS0_4arch9wavefront6targetE1EEEvT1_,comdat
	.protected	_ZN7rocprim17ROCPRIM_400000_NS6detail17trampoline_kernelINS0_14default_configENS1_20scan_config_selectorIiEEZZNS1_9scan_implILNS1_25lookback_scan_determinismE0ELb0ELb0ES3_N6thrust23THRUST_200600_302600_NS6detail15normal_iteratorINS9_10device_ptrIiEEEENS9_16discard_iteratorINS9_11use_defaultEEEi11max_functorIiEiEEDaPvRmT3_T4_T5_mT6_P12ihipStream_tbENKUlT_T0_E_clISt17integral_constantIbLb0EESX_EEDaSS_ST_EUlSS_E0_NS1_11comp_targetILNS1_3genE8ELNS1_11target_archE1030ELNS1_3gpuE2ELNS1_3repE0EEENS1_30default_config_static_selectorELNS0_4arch9wavefront6targetE1EEEvT1_ ; -- Begin function _ZN7rocprim17ROCPRIM_400000_NS6detail17trampoline_kernelINS0_14default_configENS1_20scan_config_selectorIiEEZZNS1_9scan_implILNS1_25lookback_scan_determinismE0ELb0ELb0ES3_N6thrust23THRUST_200600_302600_NS6detail15normal_iteratorINS9_10device_ptrIiEEEENS9_16discard_iteratorINS9_11use_defaultEEEi11max_functorIiEiEEDaPvRmT3_T4_T5_mT6_P12ihipStream_tbENKUlT_T0_E_clISt17integral_constantIbLb0EESX_EEDaSS_ST_EUlSS_E0_NS1_11comp_targetILNS1_3genE8ELNS1_11target_archE1030ELNS1_3gpuE2ELNS1_3repE0EEENS1_30default_config_static_selectorELNS0_4arch9wavefront6targetE1EEEvT1_
	.globl	_ZN7rocprim17ROCPRIM_400000_NS6detail17trampoline_kernelINS0_14default_configENS1_20scan_config_selectorIiEEZZNS1_9scan_implILNS1_25lookback_scan_determinismE0ELb0ELb0ES3_N6thrust23THRUST_200600_302600_NS6detail15normal_iteratorINS9_10device_ptrIiEEEENS9_16discard_iteratorINS9_11use_defaultEEEi11max_functorIiEiEEDaPvRmT3_T4_T5_mT6_P12ihipStream_tbENKUlT_T0_E_clISt17integral_constantIbLb0EESX_EEDaSS_ST_EUlSS_E0_NS1_11comp_targetILNS1_3genE8ELNS1_11target_archE1030ELNS1_3gpuE2ELNS1_3repE0EEENS1_30default_config_static_selectorELNS0_4arch9wavefront6targetE1EEEvT1_
	.p2align	8
	.type	_ZN7rocprim17ROCPRIM_400000_NS6detail17trampoline_kernelINS0_14default_configENS1_20scan_config_selectorIiEEZZNS1_9scan_implILNS1_25lookback_scan_determinismE0ELb0ELb0ES3_N6thrust23THRUST_200600_302600_NS6detail15normal_iteratorINS9_10device_ptrIiEEEENS9_16discard_iteratorINS9_11use_defaultEEEi11max_functorIiEiEEDaPvRmT3_T4_T5_mT6_P12ihipStream_tbENKUlT_T0_E_clISt17integral_constantIbLb0EESX_EEDaSS_ST_EUlSS_E0_NS1_11comp_targetILNS1_3genE8ELNS1_11target_archE1030ELNS1_3gpuE2ELNS1_3repE0EEENS1_30default_config_static_selectorELNS0_4arch9wavefront6targetE1EEEvT1_,@function
_ZN7rocprim17ROCPRIM_400000_NS6detail17trampoline_kernelINS0_14default_configENS1_20scan_config_selectorIiEEZZNS1_9scan_implILNS1_25lookback_scan_determinismE0ELb0ELb0ES3_N6thrust23THRUST_200600_302600_NS6detail15normal_iteratorINS9_10device_ptrIiEEEENS9_16discard_iteratorINS9_11use_defaultEEEi11max_functorIiEiEEDaPvRmT3_T4_T5_mT6_P12ihipStream_tbENKUlT_T0_E_clISt17integral_constantIbLb0EESX_EEDaSS_ST_EUlSS_E0_NS1_11comp_targetILNS1_3genE8ELNS1_11target_archE1030ELNS1_3gpuE2ELNS1_3repE0EEENS1_30default_config_static_selectorELNS0_4arch9wavefront6targetE1EEEvT1_: ; @_ZN7rocprim17ROCPRIM_400000_NS6detail17trampoline_kernelINS0_14default_configENS1_20scan_config_selectorIiEEZZNS1_9scan_implILNS1_25lookback_scan_determinismE0ELb0ELb0ES3_N6thrust23THRUST_200600_302600_NS6detail15normal_iteratorINS9_10device_ptrIiEEEENS9_16discard_iteratorINS9_11use_defaultEEEi11max_functorIiEiEEDaPvRmT3_T4_T5_mT6_P12ihipStream_tbENKUlT_T0_E_clISt17integral_constantIbLb0EESX_EEDaSS_ST_EUlSS_E0_NS1_11comp_targetILNS1_3genE8ELNS1_11target_archE1030ELNS1_3gpuE2ELNS1_3repE0EEENS1_30default_config_static_selectorELNS0_4arch9wavefront6targetE1EEEvT1_
; %bb.0:
	.section	.rodata,"a",@progbits
	.p2align	6, 0x0
	.amdhsa_kernel _ZN7rocprim17ROCPRIM_400000_NS6detail17trampoline_kernelINS0_14default_configENS1_20scan_config_selectorIiEEZZNS1_9scan_implILNS1_25lookback_scan_determinismE0ELb0ELb0ES3_N6thrust23THRUST_200600_302600_NS6detail15normal_iteratorINS9_10device_ptrIiEEEENS9_16discard_iteratorINS9_11use_defaultEEEi11max_functorIiEiEEDaPvRmT3_T4_T5_mT6_P12ihipStream_tbENKUlT_T0_E_clISt17integral_constantIbLb0EESX_EEDaSS_ST_EUlSS_E0_NS1_11comp_targetILNS1_3genE8ELNS1_11target_archE1030ELNS1_3gpuE2ELNS1_3repE0EEENS1_30default_config_static_selectorELNS0_4arch9wavefront6targetE1EEEvT1_
		.amdhsa_group_segment_fixed_size 0
		.amdhsa_private_segment_fixed_size 0
		.amdhsa_kernarg_size 40
		.amdhsa_user_sgpr_count 6
		.amdhsa_user_sgpr_private_segment_buffer 1
		.amdhsa_user_sgpr_dispatch_ptr 0
		.amdhsa_user_sgpr_queue_ptr 0
		.amdhsa_user_sgpr_kernarg_segment_ptr 1
		.amdhsa_user_sgpr_dispatch_id 0
		.amdhsa_user_sgpr_flat_scratch_init 0
		.amdhsa_user_sgpr_kernarg_preload_length 0
		.amdhsa_user_sgpr_kernarg_preload_offset 0
		.amdhsa_user_sgpr_private_segment_size 0
		.amdhsa_uses_dynamic_stack 0
		.amdhsa_system_sgpr_private_segment_wavefront_offset 0
		.amdhsa_system_sgpr_workgroup_id_x 1
		.amdhsa_system_sgpr_workgroup_id_y 0
		.amdhsa_system_sgpr_workgroup_id_z 0
		.amdhsa_system_sgpr_workgroup_info 0
		.amdhsa_system_vgpr_workitem_id 0
		.amdhsa_next_free_vgpr 1
		.amdhsa_next_free_sgpr 0
		.amdhsa_accum_offset 4
		.amdhsa_reserve_vcc 0
		.amdhsa_reserve_flat_scratch 0
		.amdhsa_float_round_mode_32 0
		.amdhsa_float_round_mode_16_64 0
		.amdhsa_float_denorm_mode_32 3
		.amdhsa_float_denorm_mode_16_64 3
		.amdhsa_dx10_clamp 1
		.amdhsa_ieee_mode 1
		.amdhsa_fp16_overflow 0
		.amdhsa_tg_split 0
		.amdhsa_exception_fp_ieee_invalid_op 0
		.amdhsa_exception_fp_denorm_src 0
		.amdhsa_exception_fp_ieee_div_zero 0
		.amdhsa_exception_fp_ieee_overflow 0
		.amdhsa_exception_fp_ieee_underflow 0
		.amdhsa_exception_fp_ieee_inexact 0
		.amdhsa_exception_int_div_zero 0
	.end_amdhsa_kernel
	.section	.text._ZN7rocprim17ROCPRIM_400000_NS6detail17trampoline_kernelINS0_14default_configENS1_20scan_config_selectorIiEEZZNS1_9scan_implILNS1_25lookback_scan_determinismE0ELb0ELb0ES3_N6thrust23THRUST_200600_302600_NS6detail15normal_iteratorINS9_10device_ptrIiEEEENS9_16discard_iteratorINS9_11use_defaultEEEi11max_functorIiEiEEDaPvRmT3_T4_T5_mT6_P12ihipStream_tbENKUlT_T0_E_clISt17integral_constantIbLb0EESX_EEDaSS_ST_EUlSS_E0_NS1_11comp_targetILNS1_3genE8ELNS1_11target_archE1030ELNS1_3gpuE2ELNS1_3repE0EEENS1_30default_config_static_selectorELNS0_4arch9wavefront6targetE1EEEvT1_,"axG",@progbits,_ZN7rocprim17ROCPRIM_400000_NS6detail17trampoline_kernelINS0_14default_configENS1_20scan_config_selectorIiEEZZNS1_9scan_implILNS1_25lookback_scan_determinismE0ELb0ELb0ES3_N6thrust23THRUST_200600_302600_NS6detail15normal_iteratorINS9_10device_ptrIiEEEENS9_16discard_iteratorINS9_11use_defaultEEEi11max_functorIiEiEEDaPvRmT3_T4_T5_mT6_P12ihipStream_tbENKUlT_T0_E_clISt17integral_constantIbLb0EESX_EEDaSS_ST_EUlSS_E0_NS1_11comp_targetILNS1_3genE8ELNS1_11target_archE1030ELNS1_3gpuE2ELNS1_3repE0EEENS1_30default_config_static_selectorELNS0_4arch9wavefront6targetE1EEEvT1_,comdat
.Lfunc_end3871:
	.size	_ZN7rocprim17ROCPRIM_400000_NS6detail17trampoline_kernelINS0_14default_configENS1_20scan_config_selectorIiEEZZNS1_9scan_implILNS1_25lookback_scan_determinismE0ELb0ELb0ES3_N6thrust23THRUST_200600_302600_NS6detail15normal_iteratorINS9_10device_ptrIiEEEENS9_16discard_iteratorINS9_11use_defaultEEEi11max_functorIiEiEEDaPvRmT3_T4_T5_mT6_P12ihipStream_tbENKUlT_T0_E_clISt17integral_constantIbLb0EESX_EEDaSS_ST_EUlSS_E0_NS1_11comp_targetILNS1_3genE8ELNS1_11target_archE1030ELNS1_3gpuE2ELNS1_3repE0EEENS1_30default_config_static_selectorELNS0_4arch9wavefront6targetE1EEEvT1_, .Lfunc_end3871-_ZN7rocprim17ROCPRIM_400000_NS6detail17trampoline_kernelINS0_14default_configENS1_20scan_config_selectorIiEEZZNS1_9scan_implILNS1_25lookback_scan_determinismE0ELb0ELb0ES3_N6thrust23THRUST_200600_302600_NS6detail15normal_iteratorINS9_10device_ptrIiEEEENS9_16discard_iteratorINS9_11use_defaultEEEi11max_functorIiEiEEDaPvRmT3_T4_T5_mT6_P12ihipStream_tbENKUlT_T0_E_clISt17integral_constantIbLb0EESX_EEDaSS_ST_EUlSS_E0_NS1_11comp_targetILNS1_3genE8ELNS1_11target_archE1030ELNS1_3gpuE2ELNS1_3repE0EEENS1_30default_config_static_selectorELNS0_4arch9wavefront6targetE1EEEvT1_
                                        ; -- End function
	.section	.AMDGPU.csdata,"",@progbits
; Kernel info:
; codeLenInByte = 0
; NumSgprs: 4
; NumVgprs: 0
; NumAgprs: 0
; TotalNumVgprs: 0
; ScratchSize: 0
; MemoryBound: 0
; FloatMode: 240
; IeeeMode: 1
; LDSByteSize: 0 bytes/workgroup (compile time only)
; SGPRBlocks: 0
; VGPRBlocks: 0
; NumSGPRsForWavesPerEU: 4
; NumVGPRsForWavesPerEU: 1
; AccumOffset: 4
; Occupancy: 8
; WaveLimiterHint : 0
; COMPUTE_PGM_RSRC2:SCRATCH_EN: 0
; COMPUTE_PGM_RSRC2:USER_SGPR: 6
; COMPUTE_PGM_RSRC2:TRAP_HANDLER: 0
; COMPUTE_PGM_RSRC2:TGID_X_EN: 1
; COMPUTE_PGM_RSRC2:TGID_Y_EN: 0
; COMPUTE_PGM_RSRC2:TGID_Z_EN: 0
; COMPUTE_PGM_RSRC2:TIDIG_COMP_CNT: 0
; COMPUTE_PGM_RSRC3_GFX90A:ACCUM_OFFSET: 0
; COMPUTE_PGM_RSRC3_GFX90A:TG_SPLIT: 0
	.section	.text._ZN7rocprim17ROCPRIM_400000_NS6detail17trampoline_kernelINS0_14default_configENS1_20scan_config_selectorIiEEZZNS1_9scan_implILNS1_25lookback_scan_determinismE0ELb0ELb0ES3_N6thrust23THRUST_200600_302600_NS6detail15normal_iteratorINS9_10device_ptrIiEEEENS9_16discard_iteratorINS9_11use_defaultEEEi11max_functorIiEiEEDaPvRmT3_T4_T5_mT6_P12ihipStream_tbENKUlT_T0_E_clISt17integral_constantIbLb1EESX_EEDaSS_ST_EUlSS_E_NS1_11comp_targetILNS1_3genE0ELNS1_11target_archE4294967295ELNS1_3gpuE0ELNS1_3repE0EEENS1_30default_config_static_selectorELNS0_4arch9wavefront6targetE1EEEvT1_,"axG",@progbits,_ZN7rocprim17ROCPRIM_400000_NS6detail17trampoline_kernelINS0_14default_configENS1_20scan_config_selectorIiEEZZNS1_9scan_implILNS1_25lookback_scan_determinismE0ELb0ELb0ES3_N6thrust23THRUST_200600_302600_NS6detail15normal_iteratorINS9_10device_ptrIiEEEENS9_16discard_iteratorINS9_11use_defaultEEEi11max_functorIiEiEEDaPvRmT3_T4_T5_mT6_P12ihipStream_tbENKUlT_T0_E_clISt17integral_constantIbLb1EESX_EEDaSS_ST_EUlSS_E_NS1_11comp_targetILNS1_3genE0ELNS1_11target_archE4294967295ELNS1_3gpuE0ELNS1_3repE0EEENS1_30default_config_static_selectorELNS0_4arch9wavefront6targetE1EEEvT1_,comdat
	.protected	_ZN7rocprim17ROCPRIM_400000_NS6detail17trampoline_kernelINS0_14default_configENS1_20scan_config_selectorIiEEZZNS1_9scan_implILNS1_25lookback_scan_determinismE0ELb0ELb0ES3_N6thrust23THRUST_200600_302600_NS6detail15normal_iteratorINS9_10device_ptrIiEEEENS9_16discard_iteratorINS9_11use_defaultEEEi11max_functorIiEiEEDaPvRmT3_T4_T5_mT6_P12ihipStream_tbENKUlT_T0_E_clISt17integral_constantIbLb1EESX_EEDaSS_ST_EUlSS_E_NS1_11comp_targetILNS1_3genE0ELNS1_11target_archE4294967295ELNS1_3gpuE0ELNS1_3repE0EEENS1_30default_config_static_selectorELNS0_4arch9wavefront6targetE1EEEvT1_ ; -- Begin function _ZN7rocprim17ROCPRIM_400000_NS6detail17trampoline_kernelINS0_14default_configENS1_20scan_config_selectorIiEEZZNS1_9scan_implILNS1_25lookback_scan_determinismE0ELb0ELb0ES3_N6thrust23THRUST_200600_302600_NS6detail15normal_iteratorINS9_10device_ptrIiEEEENS9_16discard_iteratorINS9_11use_defaultEEEi11max_functorIiEiEEDaPvRmT3_T4_T5_mT6_P12ihipStream_tbENKUlT_T0_E_clISt17integral_constantIbLb1EESX_EEDaSS_ST_EUlSS_E_NS1_11comp_targetILNS1_3genE0ELNS1_11target_archE4294967295ELNS1_3gpuE0ELNS1_3repE0EEENS1_30default_config_static_selectorELNS0_4arch9wavefront6targetE1EEEvT1_
	.globl	_ZN7rocprim17ROCPRIM_400000_NS6detail17trampoline_kernelINS0_14default_configENS1_20scan_config_selectorIiEEZZNS1_9scan_implILNS1_25lookback_scan_determinismE0ELb0ELb0ES3_N6thrust23THRUST_200600_302600_NS6detail15normal_iteratorINS9_10device_ptrIiEEEENS9_16discard_iteratorINS9_11use_defaultEEEi11max_functorIiEiEEDaPvRmT3_T4_T5_mT6_P12ihipStream_tbENKUlT_T0_E_clISt17integral_constantIbLb1EESX_EEDaSS_ST_EUlSS_E_NS1_11comp_targetILNS1_3genE0ELNS1_11target_archE4294967295ELNS1_3gpuE0ELNS1_3repE0EEENS1_30default_config_static_selectorELNS0_4arch9wavefront6targetE1EEEvT1_
	.p2align	8
	.type	_ZN7rocprim17ROCPRIM_400000_NS6detail17trampoline_kernelINS0_14default_configENS1_20scan_config_selectorIiEEZZNS1_9scan_implILNS1_25lookback_scan_determinismE0ELb0ELb0ES3_N6thrust23THRUST_200600_302600_NS6detail15normal_iteratorINS9_10device_ptrIiEEEENS9_16discard_iteratorINS9_11use_defaultEEEi11max_functorIiEiEEDaPvRmT3_T4_T5_mT6_P12ihipStream_tbENKUlT_T0_E_clISt17integral_constantIbLb1EESX_EEDaSS_ST_EUlSS_E_NS1_11comp_targetILNS1_3genE0ELNS1_11target_archE4294967295ELNS1_3gpuE0ELNS1_3repE0EEENS1_30default_config_static_selectorELNS0_4arch9wavefront6targetE1EEEvT1_,@function
_ZN7rocprim17ROCPRIM_400000_NS6detail17trampoline_kernelINS0_14default_configENS1_20scan_config_selectorIiEEZZNS1_9scan_implILNS1_25lookback_scan_determinismE0ELb0ELb0ES3_N6thrust23THRUST_200600_302600_NS6detail15normal_iteratorINS9_10device_ptrIiEEEENS9_16discard_iteratorINS9_11use_defaultEEEi11max_functorIiEiEEDaPvRmT3_T4_T5_mT6_P12ihipStream_tbENKUlT_T0_E_clISt17integral_constantIbLb1EESX_EEDaSS_ST_EUlSS_E_NS1_11comp_targetILNS1_3genE0ELNS1_11target_archE4294967295ELNS1_3gpuE0ELNS1_3repE0EEENS1_30default_config_static_selectorELNS0_4arch9wavefront6targetE1EEEvT1_: ; @_ZN7rocprim17ROCPRIM_400000_NS6detail17trampoline_kernelINS0_14default_configENS1_20scan_config_selectorIiEEZZNS1_9scan_implILNS1_25lookback_scan_determinismE0ELb0ELb0ES3_N6thrust23THRUST_200600_302600_NS6detail15normal_iteratorINS9_10device_ptrIiEEEENS9_16discard_iteratorINS9_11use_defaultEEEi11max_functorIiEiEEDaPvRmT3_T4_T5_mT6_P12ihipStream_tbENKUlT_T0_E_clISt17integral_constantIbLb1EESX_EEDaSS_ST_EUlSS_E_NS1_11comp_targetILNS1_3genE0ELNS1_11target_archE4294967295ELNS1_3gpuE0ELNS1_3repE0EEENS1_30default_config_static_selectorELNS0_4arch9wavefront6targetE1EEEvT1_
; %bb.0:
	.section	.rodata,"a",@progbits
	.p2align	6, 0x0
	.amdhsa_kernel _ZN7rocprim17ROCPRIM_400000_NS6detail17trampoline_kernelINS0_14default_configENS1_20scan_config_selectorIiEEZZNS1_9scan_implILNS1_25lookback_scan_determinismE0ELb0ELb0ES3_N6thrust23THRUST_200600_302600_NS6detail15normal_iteratorINS9_10device_ptrIiEEEENS9_16discard_iteratorINS9_11use_defaultEEEi11max_functorIiEiEEDaPvRmT3_T4_T5_mT6_P12ihipStream_tbENKUlT_T0_E_clISt17integral_constantIbLb1EESX_EEDaSS_ST_EUlSS_E_NS1_11comp_targetILNS1_3genE0ELNS1_11target_archE4294967295ELNS1_3gpuE0ELNS1_3repE0EEENS1_30default_config_static_selectorELNS0_4arch9wavefront6targetE1EEEvT1_
		.amdhsa_group_segment_fixed_size 0
		.amdhsa_private_segment_fixed_size 0
		.amdhsa_kernarg_size 104
		.amdhsa_user_sgpr_count 6
		.amdhsa_user_sgpr_private_segment_buffer 1
		.amdhsa_user_sgpr_dispatch_ptr 0
		.amdhsa_user_sgpr_queue_ptr 0
		.amdhsa_user_sgpr_kernarg_segment_ptr 1
		.amdhsa_user_sgpr_dispatch_id 0
		.amdhsa_user_sgpr_flat_scratch_init 0
		.amdhsa_user_sgpr_kernarg_preload_length 0
		.amdhsa_user_sgpr_kernarg_preload_offset 0
		.amdhsa_user_sgpr_private_segment_size 0
		.amdhsa_uses_dynamic_stack 0
		.amdhsa_system_sgpr_private_segment_wavefront_offset 0
		.amdhsa_system_sgpr_workgroup_id_x 1
		.amdhsa_system_sgpr_workgroup_id_y 0
		.amdhsa_system_sgpr_workgroup_id_z 0
		.amdhsa_system_sgpr_workgroup_info 0
		.amdhsa_system_vgpr_workitem_id 0
		.amdhsa_next_free_vgpr 1
		.amdhsa_next_free_sgpr 0
		.amdhsa_accum_offset 4
		.amdhsa_reserve_vcc 0
		.amdhsa_reserve_flat_scratch 0
		.amdhsa_float_round_mode_32 0
		.amdhsa_float_round_mode_16_64 0
		.amdhsa_float_denorm_mode_32 3
		.amdhsa_float_denorm_mode_16_64 3
		.amdhsa_dx10_clamp 1
		.amdhsa_ieee_mode 1
		.amdhsa_fp16_overflow 0
		.amdhsa_tg_split 0
		.amdhsa_exception_fp_ieee_invalid_op 0
		.amdhsa_exception_fp_denorm_src 0
		.amdhsa_exception_fp_ieee_div_zero 0
		.amdhsa_exception_fp_ieee_overflow 0
		.amdhsa_exception_fp_ieee_underflow 0
		.amdhsa_exception_fp_ieee_inexact 0
		.amdhsa_exception_int_div_zero 0
	.end_amdhsa_kernel
	.section	.text._ZN7rocprim17ROCPRIM_400000_NS6detail17trampoline_kernelINS0_14default_configENS1_20scan_config_selectorIiEEZZNS1_9scan_implILNS1_25lookback_scan_determinismE0ELb0ELb0ES3_N6thrust23THRUST_200600_302600_NS6detail15normal_iteratorINS9_10device_ptrIiEEEENS9_16discard_iteratorINS9_11use_defaultEEEi11max_functorIiEiEEDaPvRmT3_T4_T5_mT6_P12ihipStream_tbENKUlT_T0_E_clISt17integral_constantIbLb1EESX_EEDaSS_ST_EUlSS_E_NS1_11comp_targetILNS1_3genE0ELNS1_11target_archE4294967295ELNS1_3gpuE0ELNS1_3repE0EEENS1_30default_config_static_selectorELNS0_4arch9wavefront6targetE1EEEvT1_,"axG",@progbits,_ZN7rocprim17ROCPRIM_400000_NS6detail17trampoline_kernelINS0_14default_configENS1_20scan_config_selectorIiEEZZNS1_9scan_implILNS1_25lookback_scan_determinismE0ELb0ELb0ES3_N6thrust23THRUST_200600_302600_NS6detail15normal_iteratorINS9_10device_ptrIiEEEENS9_16discard_iteratorINS9_11use_defaultEEEi11max_functorIiEiEEDaPvRmT3_T4_T5_mT6_P12ihipStream_tbENKUlT_T0_E_clISt17integral_constantIbLb1EESX_EEDaSS_ST_EUlSS_E_NS1_11comp_targetILNS1_3genE0ELNS1_11target_archE4294967295ELNS1_3gpuE0ELNS1_3repE0EEENS1_30default_config_static_selectorELNS0_4arch9wavefront6targetE1EEEvT1_,comdat
.Lfunc_end3872:
	.size	_ZN7rocprim17ROCPRIM_400000_NS6detail17trampoline_kernelINS0_14default_configENS1_20scan_config_selectorIiEEZZNS1_9scan_implILNS1_25lookback_scan_determinismE0ELb0ELb0ES3_N6thrust23THRUST_200600_302600_NS6detail15normal_iteratorINS9_10device_ptrIiEEEENS9_16discard_iteratorINS9_11use_defaultEEEi11max_functorIiEiEEDaPvRmT3_T4_T5_mT6_P12ihipStream_tbENKUlT_T0_E_clISt17integral_constantIbLb1EESX_EEDaSS_ST_EUlSS_E_NS1_11comp_targetILNS1_3genE0ELNS1_11target_archE4294967295ELNS1_3gpuE0ELNS1_3repE0EEENS1_30default_config_static_selectorELNS0_4arch9wavefront6targetE1EEEvT1_, .Lfunc_end3872-_ZN7rocprim17ROCPRIM_400000_NS6detail17trampoline_kernelINS0_14default_configENS1_20scan_config_selectorIiEEZZNS1_9scan_implILNS1_25lookback_scan_determinismE0ELb0ELb0ES3_N6thrust23THRUST_200600_302600_NS6detail15normal_iteratorINS9_10device_ptrIiEEEENS9_16discard_iteratorINS9_11use_defaultEEEi11max_functorIiEiEEDaPvRmT3_T4_T5_mT6_P12ihipStream_tbENKUlT_T0_E_clISt17integral_constantIbLb1EESX_EEDaSS_ST_EUlSS_E_NS1_11comp_targetILNS1_3genE0ELNS1_11target_archE4294967295ELNS1_3gpuE0ELNS1_3repE0EEENS1_30default_config_static_selectorELNS0_4arch9wavefront6targetE1EEEvT1_
                                        ; -- End function
	.section	.AMDGPU.csdata,"",@progbits
; Kernel info:
; codeLenInByte = 0
; NumSgprs: 4
; NumVgprs: 0
; NumAgprs: 0
; TotalNumVgprs: 0
; ScratchSize: 0
; MemoryBound: 0
; FloatMode: 240
; IeeeMode: 1
; LDSByteSize: 0 bytes/workgroup (compile time only)
; SGPRBlocks: 0
; VGPRBlocks: 0
; NumSGPRsForWavesPerEU: 4
; NumVGPRsForWavesPerEU: 1
; AccumOffset: 4
; Occupancy: 8
; WaveLimiterHint : 0
; COMPUTE_PGM_RSRC2:SCRATCH_EN: 0
; COMPUTE_PGM_RSRC2:USER_SGPR: 6
; COMPUTE_PGM_RSRC2:TRAP_HANDLER: 0
; COMPUTE_PGM_RSRC2:TGID_X_EN: 1
; COMPUTE_PGM_RSRC2:TGID_Y_EN: 0
; COMPUTE_PGM_RSRC2:TGID_Z_EN: 0
; COMPUTE_PGM_RSRC2:TIDIG_COMP_CNT: 0
; COMPUTE_PGM_RSRC3_GFX90A:ACCUM_OFFSET: 0
; COMPUTE_PGM_RSRC3_GFX90A:TG_SPLIT: 0
	.section	.text._ZN7rocprim17ROCPRIM_400000_NS6detail17trampoline_kernelINS0_14default_configENS1_20scan_config_selectorIiEEZZNS1_9scan_implILNS1_25lookback_scan_determinismE0ELb0ELb0ES3_N6thrust23THRUST_200600_302600_NS6detail15normal_iteratorINS9_10device_ptrIiEEEENS9_16discard_iteratorINS9_11use_defaultEEEi11max_functorIiEiEEDaPvRmT3_T4_T5_mT6_P12ihipStream_tbENKUlT_T0_E_clISt17integral_constantIbLb1EESX_EEDaSS_ST_EUlSS_E_NS1_11comp_targetILNS1_3genE5ELNS1_11target_archE942ELNS1_3gpuE9ELNS1_3repE0EEENS1_30default_config_static_selectorELNS0_4arch9wavefront6targetE1EEEvT1_,"axG",@progbits,_ZN7rocprim17ROCPRIM_400000_NS6detail17trampoline_kernelINS0_14default_configENS1_20scan_config_selectorIiEEZZNS1_9scan_implILNS1_25lookback_scan_determinismE0ELb0ELb0ES3_N6thrust23THRUST_200600_302600_NS6detail15normal_iteratorINS9_10device_ptrIiEEEENS9_16discard_iteratorINS9_11use_defaultEEEi11max_functorIiEiEEDaPvRmT3_T4_T5_mT6_P12ihipStream_tbENKUlT_T0_E_clISt17integral_constantIbLb1EESX_EEDaSS_ST_EUlSS_E_NS1_11comp_targetILNS1_3genE5ELNS1_11target_archE942ELNS1_3gpuE9ELNS1_3repE0EEENS1_30default_config_static_selectorELNS0_4arch9wavefront6targetE1EEEvT1_,comdat
	.protected	_ZN7rocprim17ROCPRIM_400000_NS6detail17trampoline_kernelINS0_14default_configENS1_20scan_config_selectorIiEEZZNS1_9scan_implILNS1_25lookback_scan_determinismE0ELb0ELb0ES3_N6thrust23THRUST_200600_302600_NS6detail15normal_iteratorINS9_10device_ptrIiEEEENS9_16discard_iteratorINS9_11use_defaultEEEi11max_functorIiEiEEDaPvRmT3_T4_T5_mT6_P12ihipStream_tbENKUlT_T0_E_clISt17integral_constantIbLb1EESX_EEDaSS_ST_EUlSS_E_NS1_11comp_targetILNS1_3genE5ELNS1_11target_archE942ELNS1_3gpuE9ELNS1_3repE0EEENS1_30default_config_static_selectorELNS0_4arch9wavefront6targetE1EEEvT1_ ; -- Begin function _ZN7rocprim17ROCPRIM_400000_NS6detail17trampoline_kernelINS0_14default_configENS1_20scan_config_selectorIiEEZZNS1_9scan_implILNS1_25lookback_scan_determinismE0ELb0ELb0ES3_N6thrust23THRUST_200600_302600_NS6detail15normal_iteratorINS9_10device_ptrIiEEEENS9_16discard_iteratorINS9_11use_defaultEEEi11max_functorIiEiEEDaPvRmT3_T4_T5_mT6_P12ihipStream_tbENKUlT_T0_E_clISt17integral_constantIbLb1EESX_EEDaSS_ST_EUlSS_E_NS1_11comp_targetILNS1_3genE5ELNS1_11target_archE942ELNS1_3gpuE9ELNS1_3repE0EEENS1_30default_config_static_selectorELNS0_4arch9wavefront6targetE1EEEvT1_
	.globl	_ZN7rocprim17ROCPRIM_400000_NS6detail17trampoline_kernelINS0_14default_configENS1_20scan_config_selectorIiEEZZNS1_9scan_implILNS1_25lookback_scan_determinismE0ELb0ELb0ES3_N6thrust23THRUST_200600_302600_NS6detail15normal_iteratorINS9_10device_ptrIiEEEENS9_16discard_iteratorINS9_11use_defaultEEEi11max_functorIiEiEEDaPvRmT3_T4_T5_mT6_P12ihipStream_tbENKUlT_T0_E_clISt17integral_constantIbLb1EESX_EEDaSS_ST_EUlSS_E_NS1_11comp_targetILNS1_3genE5ELNS1_11target_archE942ELNS1_3gpuE9ELNS1_3repE0EEENS1_30default_config_static_selectorELNS0_4arch9wavefront6targetE1EEEvT1_
	.p2align	8
	.type	_ZN7rocprim17ROCPRIM_400000_NS6detail17trampoline_kernelINS0_14default_configENS1_20scan_config_selectorIiEEZZNS1_9scan_implILNS1_25lookback_scan_determinismE0ELb0ELb0ES3_N6thrust23THRUST_200600_302600_NS6detail15normal_iteratorINS9_10device_ptrIiEEEENS9_16discard_iteratorINS9_11use_defaultEEEi11max_functorIiEiEEDaPvRmT3_T4_T5_mT6_P12ihipStream_tbENKUlT_T0_E_clISt17integral_constantIbLb1EESX_EEDaSS_ST_EUlSS_E_NS1_11comp_targetILNS1_3genE5ELNS1_11target_archE942ELNS1_3gpuE9ELNS1_3repE0EEENS1_30default_config_static_selectorELNS0_4arch9wavefront6targetE1EEEvT1_,@function
_ZN7rocprim17ROCPRIM_400000_NS6detail17trampoline_kernelINS0_14default_configENS1_20scan_config_selectorIiEEZZNS1_9scan_implILNS1_25lookback_scan_determinismE0ELb0ELb0ES3_N6thrust23THRUST_200600_302600_NS6detail15normal_iteratorINS9_10device_ptrIiEEEENS9_16discard_iteratorINS9_11use_defaultEEEi11max_functorIiEiEEDaPvRmT3_T4_T5_mT6_P12ihipStream_tbENKUlT_T0_E_clISt17integral_constantIbLb1EESX_EEDaSS_ST_EUlSS_E_NS1_11comp_targetILNS1_3genE5ELNS1_11target_archE942ELNS1_3gpuE9ELNS1_3repE0EEENS1_30default_config_static_selectorELNS0_4arch9wavefront6targetE1EEEvT1_: ; @_ZN7rocprim17ROCPRIM_400000_NS6detail17trampoline_kernelINS0_14default_configENS1_20scan_config_selectorIiEEZZNS1_9scan_implILNS1_25lookback_scan_determinismE0ELb0ELb0ES3_N6thrust23THRUST_200600_302600_NS6detail15normal_iteratorINS9_10device_ptrIiEEEENS9_16discard_iteratorINS9_11use_defaultEEEi11max_functorIiEiEEDaPvRmT3_T4_T5_mT6_P12ihipStream_tbENKUlT_T0_E_clISt17integral_constantIbLb1EESX_EEDaSS_ST_EUlSS_E_NS1_11comp_targetILNS1_3genE5ELNS1_11target_archE942ELNS1_3gpuE9ELNS1_3repE0EEENS1_30default_config_static_selectorELNS0_4arch9wavefront6targetE1EEEvT1_
; %bb.0:
	.section	.rodata,"a",@progbits
	.p2align	6, 0x0
	.amdhsa_kernel _ZN7rocprim17ROCPRIM_400000_NS6detail17trampoline_kernelINS0_14default_configENS1_20scan_config_selectorIiEEZZNS1_9scan_implILNS1_25lookback_scan_determinismE0ELb0ELb0ES3_N6thrust23THRUST_200600_302600_NS6detail15normal_iteratorINS9_10device_ptrIiEEEENS9_16discard_iteratorINS9_11use_defaultEEEi11max_functorIiEiEEDaPvRmT3_T4_T5_mT6_P12ihipStream_tbENKUlT_T0_E_clISt17integral_constantIbLb1EESX_EEDaSS_ST_EUlSS_E_NS1_11comp_targetILNS1_3genE5ELNS1_11target_archE942ELNS1_3gpuE9ELNS1_3repE0EEENS1_30default_config_static_selectorELNS0_4arch9wavefront6targetE1EEEvT1_
		.amdhsa_group_segment_fixed_size 0
		.amdhsa_private_segment_fixed_size 0
		.amdhsa_kernarg_size 104
		.amdhsa_user_sgpr_count 6
		.amdhsa_user_sgpr_private_segment_buffer 1
		.amdhsa_user_sgpr_dispatch_ptr 0
		.amdhsa_user_sgpr_queue_ptr 0
		.amdhsa_user_sgpr_kernarg_segment_ptr 1
		.amdhsa_user_sgpr_dispatch_id 0
		.amdhsa_user_sgpr_flat_scratch_init 0
		.amdhsa_user_sgpr_kernarg_preload_length 0
		.amdhsa_user_sgpr_kernarg_preload_offset 0
		.amdhsa_user_sgpr_private_segment_size 0
		.amdhsa_uses_dynamic_stack 0
		.amdhsa_system_sgpr_private_segment_wavefront_offset 0
		.amdhsa_system_sgpr_workgroup_id_x 1
		.amdhsa_system_sgpr_workgroup_id_y 0
		.amdhsa_system_sgpr_workgroup_id_z 0
		.amdhsa_system_sgpr_workgroup_info 0
		.amdhsa_system_vgpr_workitem_id 0
		.amdhsa_next_free_vgpr 1
		.amdhsa_next_free_sgpr 0
		.amdhsa_accum_offset 4
		.amdhsa_reserve_vcc 0
		.amdhsa_reserve_flat_scratch 0
		.amdhsa_float_round_mode_32 0
		.amdhsa_float_round_mode_16_64 0
		.amdhsa_float_denorm_mode_32 3
		.amdhsa_float_denorm_mode_16_64 3
		.amdhsa_dx10_clamp 1
		.amdhsa_ieee_mode 1
		.amdhsa_fp16_overflow 0
		.amdhsa_tg_split 0
		.amdhsa_exception_fp_ieee_invalid_op 0
		.amdhsa_exception_fp_denorm_src 0
		.amdhsa_exception_fp_ieee_div_zero 0
		.amdhsa_exception_fp_ieee_overflow 0
		.amdhsa_exception_fp_ieee_underflow 0
		.amdhsa_exception_fp_ieee_inexact 0
		.amdhsa_exception_int_div_zero 0
	.end_amdhsa_kernel
	.section	.text._ZN7rocprim17ROCPRIM_400000_NS6detail17trampoline_kernelINS0_14default_configENS1_20scan_config_selectorIiEEZZNS1_9scan_implILNS1_25lookback_scan_determinismE0ELb0ELb0ES3_N6thrust23THRUST_200600_302600_NS6detail15normal_iteratorINS9_10device_ptrIiEEEENS9_16discard_iteratorINS9_11use_defaultEEEi11max_functorIiEiEEDaPvRmT3_T4_T5_mT6_P12ihipStream_tbENKUlT_T0_E_clISt17integral_constantIbLb1EESX_EEDaSS_ST_EUlSS_E_NS1_11comp_targetILNS1_3genE5ELNS1_11target_archE942ELNS1_3gpuE9ELNS1_3repE0EEENS1_30default_config_static_selectorELNS0_4arch9wavefront6targetE1EEEvT1_,"axG",@progbits,_ZN7rocprim17ROCPRIM_400000_NS6detail17trampoline_kernelINS0_14default_configENS1_20scan_config_selectorIiEEZZNS1_9scan_implILNS1_25lookback_scan_determinismE0ELb0ELb0ES3_N6thrust23THRUST_200600_302600_NS6detail15normal_iteratorINS9_10device_ptrIiEEEENS9_16discard_iteratorINS9_11use_defaultEEEi11max_functorIiEiEEDaPvRmT3_T4_T5_mT6_P12ihipStream_tbENKUlT_T0_E_clISt17integral_constantIbLb1EESX_EEDaSS_ST_EUlSS_E_NS1_11comp_targetILNS1_3genE5ELNS1_11target_archE942ELNS1_3gpuE9ELNS1_3repE0EEENS1_30default_config_static_selectorELNS0_4arch9wavefront6targetE1EEEvT1_,comdat
.Lfunc_end3873:
	.size	_ZN7rocprim17ROCPRIM_400000_NS6detail17trampoline_kernelINS0_14default_configENS1_20scan_config_selectorIiEEZZNS1_9scan_implILNS1_25lookback_scan_determinismE0ELb0ELb0ES3_N6thrust23THRUST_200600_302600_NS6detail15normal_iteratorINS9_10device_ptrIiEEEENS9_16discard_iteratorINS9_11use_defaultEEEi11max_functorIiEiEEDaPvRmT3_T4_T5_mT6_P12ihipStream_tbENKUlT_T0_E_clISt17integral_constantIbLb1EESX_EEDaSS_ST_EUlSS_E_NS1_11comp_targetILNS1_3genE5ELNS1_11target_archE942ELNS1_3gpuE9ELNS1_3repE0EEENS1_30default_config_static_selectorELNS0_4arch9wavefront6targetE1EEEvT1_, .Lfunc_end3873-_ZN7rocprim17ROCPRIM_400000_NS6detail17trampoline_kernelINS0_14default_configENS1_20scan_config_selectorIiEEZZNS1_9scan_implILNS1_25lookback_scan_determinismE0ELb0ELb0ES3_N6thrust23THRUST_200600_302600_NS6detail15normal_iteratorINS9_10device_ptrIiEEEENS9_16discard_iteratorINS9_11use_defaultEEEi11max_functorIiEiEEDaPvRmT3_T4_T5_mT6_P12ihipStream_tbENKUlT_T0_E_clISt17integral_constantIbLb1EESX_EEDaSS_ST_EUlSS_E_NS1_11comp_targetILNS1_3genE5ELNS1_11target_archE942ELNS1_3gpuE9ELNS1_3repE0EEENS1_30default_config_static_selectorELNS0_4arch9wavefront6targetE1EEEvT1_
                                        ; -- End function
	.section	.AMDGPU.csdata,"",@progbits
; Kernel info:
; codeLenInByte = 0
; NumSgprs: 4
; NumVgprs: 0
; NumAgprs: 0
; TotalNumVgprs: 0
; ScratchSize: 0
; MemoryBound: 0
; FloatMode: 240
; IeeeMode: 1
; LDSByteSize: 0 bytes/workgroup (compile time only)
; SGPRBlocks: 0
; VGPRBlocks: 0
; NumSGPRsForWavesPerEU: 4
; NumVGPRsForWavesPerEU: 1
; AccumOffset: 4
; Occupancy: 8
; WaveLimiterHint : 0
; COMPUTE_PGM_RSRC2:SCRATCH_EN: 0
; COMPUTE_PGM_RSRC2:USER_SGPR: 6
; COMPUTE_PGM_RSRC2:TRAP_HANDLER: 0
; COMPUTE_PGM_RSRC2:TGID_X_EN: 1
; COMPUTE_PGM_RSRC2:TGID_Y_EN: 0
; COMPUTE_PGM_RSRC2:TGID_Z_EN: 0
; COMPUTE_PGM_RSRC2:TIDIG_COMP_CNT: 0
; COMPUTE_PGM_RSRC3_GFX90A:ACCUM_OFFSET: 0
; COMPUTE_PGM_RSRC3_GFX90A:TG_SPLIT: 0
	.section	.text._ZN7rocprim17ROCPRIM_400000_NS6detail17trampoline_kernelINS0_14default_configENS1_20scan_config_selectorIiEEZZNS1_9scan_implILNS1_25lookback_scan_determinismE0ELb0ELb0ES3_N6thrust23THRUST_200600_302600_NS6detail15normal_iteratorINS9_10device_ptrIiEEEENS9_16discard_iteratorINS9_11use_defaultEEEi11max_functorIiEiEEDaPvRmT3_T4_T5_mT6_P12ihipStream_tbENKUlT_T0_E_clISt17integral_constantIbLb1EESX_EEDaSS_ST_EUlSS_E_NS1_11comp_targetILNS1_3genE4ELNS1_11target_archE910ELNS1_3gpuE8ELNS1_3repE0EEENS1_30default_config_static_selectorELNS0_4arch9wavefront6targetE1EEEvT1_,"axG",@progbits,_ZN7rocprim17ROCPRIM_400000_NS6detail17trampoline_kernelINS0_14default_configENS1_20scan_config_selectorIiEEZZNS1_9scan_implILNS1_25lookback_scan_determinismE0ELb0ELb0ES3_N6thrust23THRUST_200600_302600_NS6detail15normal_iteratorINS9_10device_ptrIiEEEENS9_16discard_iteratorINS9_11use_defaultEEEi11max_functorIiEiEEDaPvRmT3_T4_T5_mT6_P12ihipStream_tbENKUlT_T0_E_clISt17integral_constantIbLb1EESX_EEDaSS_ST_EUlSS_E_NS1_11comp_targetILNS1_3genE4ELNS1_11target_archE910ELNS1_3gpuE8ELNS1_3repE0EEENS1_30default_config_static_selectorELNS0_4arch9wavefront6targetE1EEEvT1_,comdat
	.protected	_ZN7rocprim17ROCPRIM_400000_NS6detail17trampoline_kernelINS0_14default_configENS1_20scan_config_selectorIiEEZZNS1_9scan_implILNS1_25lookback_scan_determinismE0ELb0ELb0ES3_N6thrust23THRUST_200600_302600_NS6detail15normal_iteratorINS9_10device_ptrIiEEEENS9_16discard_iteratorINS9_11use_defaultEEEi11max_functorIiEiEEDaPvRmT3_T4_T5_mT6_P12ihipStream_tbENKUlT_T0_E_clISt17integral_constantIbLb1EESX_EEDaSS_ST_EUlSS_E_NS1_11comp_targetILNS1_3genE4ELNS1_11target_archE910ELNS1_3gpuE8ELNS1_3repE0EEENS1_30default_config_static_selectorELNS0_4arch9wavefront6targetE1EEEvT1_ ; -- Begin function _ZN7rocprim17ROCPRIM_400000_NS6detail17trampoline_kernelINS0_14default_configENS1_20scan_config_selectorIiEEZZNS1_9scan_implILNS1_25lookback_scan_determinismE0ELb0ELb0ES3_N6thrust23THRUST_200600_302600_NS6detail15normal_iteratorINS9_10device_ptrIiEEEENS9_16discard_iteratorINS9_11use_defaultEEEi11max_functorIiEiEEDaPvRmT3_T4_T5_mT6_P12ihipStream_tbENKUlT_T0_E_clISt17integral_constantIbLb1EESX_EEDaSS_ST_EUlSS_E_NS1_11comp_targetILNS1_3genE4ELNS1_11target_archE910ELNS1_3gpuE8ELNS1_3repE0EEENS1_30default_config_static_selectorELNS0_4arch9wavefront6targetE1EEEvT1_
	.globl	_ZN7rocprim17ROCPRIM_400000_NS6detail17trampoline_kernelINS0_14default_configENS1_20scan_config_selectorIiEEZZNS1_9scan_implILNS1_25lookback_scan_determinismE0ELb0ELb0ES3_N6thrust23THRUST_200600_302600_NS6detail15normal_iteratorINS9_10device_ptrIiEEEENS9_16discard_iteratorINS9_11use_defaultEEEi11max_functorIiEiEEDaPvRmT3_T4_T5_mT6_P12ihipStream_tbENKUlT_T0_E_clISt17integral_constantIbLb1EESX_EEDaSS_ST_EUlSS_E_NS1_11comp_targetILNS1_3genE4ELNS1_11target_archE910ELNS1_3gpuE8ELNS1_3repE0EEENS1_30default_config_static_selectorELNS0_4arch9wavefront6targetE1EEEvT1_
	.p2align	8
	.type	_ZN7rocprim17ROCPRIM_400000_NS6detail17trampoline_kernelINS0_14default_configENS1_20scan_config_selectorIiEEZZNS1_9scan_implILNS1_25lookback_scan_determinismE0ELb0ELb0ES3_N6thrust23THRUST_200600_302600_NS6detail15normal_iteratorINS9_10device_ptrIiEEEENS9_16discard_iteratorINS9_11use_defaultEEEi11max_functorIiEiEEDaPvRmT3_T4_T5_mT6_P12ihipStream_tbENKUlT_T0_E_clISt17integral_constantIbLb1EESX_EEDaSS_ST_EUlSS_E_NS1_11comp_targetILNS1_3genE4ELNS1_11target_archE910ELNS1_3gpuE8ELNS1_3repE0EEENS1_30default_config_static_selectorELNS0_4arch9wavefront6targetE1EEEvT1_,@function
_ZN7rocprim17ROCPRIM_400000_NS6detail17trampoline_kernelINS0_14default_configENS1_20scan_config_selectorIiEEZZNS1_9scan_implILNS1_25lookback_scan_determinismE0ELb0ELb0ES3_N6thrust23THRUST_200600_302600_NS6detail15normal_iteratorINS9_10device_ptrIiEEEENS9_16discard_iteratorINS9_11use_defaultEEEi11max_functorIiEiEEDaPvRmT3_T4_T5_mT6_P12ihipStream_tbENKUlT_T0_E_clISt17integral_constantIbLb1EESX_EEDaSS_ST_EUlSS_E_NS1_11comp_targetILNS1_3genE4ELNS1_11target_archE910ELNS1_3gpuE8ELNS1_3repE0EEENS1_30default_config_static_selectorELNS0_4arch9wavefront6targetE1EEEvT1_: ; @_ZN7rocprim17ROCPRIM_400000_NS6detail17trampoline_kernelINS0_14default_configENS1_20scan_config_selectorIiEEZZNS1_9scan_implILNS1_25lookback_scan_determinismE0ELb0ELb0ES3_N6thrust23THRUST_200600_302600_NS6detail15normal_iteratorINS9_10device_ptrIiEEEENS9_16discard_iteratorINS9_11use_defaultEEEi11max_functorIiEiEEDaPvRmT3_T4_T5_mT6_P12ihipStream_tbENKUlT_T0_E_clISt17integral_constantIbLb1EESX_EEDaSS_ST_EUlSS_E_NS1_11comp_targetILNS1_3genE4ELNS1_11target_archE910ELNS1_3gpuE8ELNS1_3repE0EEENS1_30default_config_static_selectorELNS0_4arch9wavefront6targetE1EEEvT1_
; %bb.0:
	s_load_dwordx2 s[20:21], s[4:5], 0x20
	s_load_dwordx2 s[6:7], s[4:5], 0x30
	v_cmp_ne_u32_e64 s[0:1], 0, v0
	v_cmp_eq_u32_e64 s[2:3], 0, v0
	s_and_saveexec_b64 s[8:9], s[2:3]
	s_cbranch_execz .LBB3874_4
; %bb.1:
	s_mov_b64 s[12:13], exec
	v_mbcnt_lo_u32_b32 v1, s12, 0
	v_mbcnt_hi_u32_b32 v1, s13, v1
	v_cmp_eq_u32_e32 vcc, 0, v1
                                        ; implicit-def: $vgpr2
	s_and_saveexec_b64 s[10:11], vcc
	s_cbranch_execz .LBB3874_3
; %bb.2:
	s_load_dwordx2 s[14:15], s[4:5], 0x60
	s_bcnt1_i32_b64 s12, s[12:13]
	v_mov_b32_e32 v2, 0
	v_mov_b32_e32 v3, s12
	s_waitcnt lgkmcnt(0)
	global_atomic_add v2, v2, v3, s[14:15] glc
.LBB3874_3:
	s_or_b64 exec, exec, s[10:11]
	s_waitcnt vmcnt(0)
	v_readfirstlane_b32 s10, v2
	v_add_u32_e32 v1, s10, v1
	v_mov_b32_e32 v2, 0
	ds_write_b32 v2, v1
.LBB3874_4:
	s_or_b64 exec, exec, s[8:9]
	v_mov_b32_e32 v3, 0
	s_load_dwordx4 s[16:19], s[4:5], 0x0
	s_load_dword s22, s[4:5], 0x38
	s_load_dwordx8 s[8:15], s[4:5], 0x40
	s_waitcnt lgkmcnt(0)
	s_barrier
	ds_read_b32 v1, v3
	s_lshl_b64 s[4:5], s[18:19], 2
	s_add_u32 s4, s16, s4
	s_movk_i32 s16, 0x500
	s_addc_u32 s5, s17, s5
	s_waitcnt lgkmcnt(0)
	v_mul_lo_u32 v2, v1, s16
	s_add_i32 s16, s22, -1
	s_mul_i32 s17, s16, 0x500
	s_sub_u32 s24, s20, s17
	v_readfirstlane_b32 s26, v1
	s_subb_u32 s25, s21, 0
	v_lshlrev_b64 v[2:3], 2, v[2:3]
	s_cmp_lg_u32 s26, s16
	v_mov_b32_e32 v1, s5
	v_add_co_u32_e32 v12, vcc, s4, v2
	s_cselect_b64 s[16:17], -1, 0
	v_addc_co_u32_e32 v13, vcc, v1, v3, vcc
	s_mov_b64 s[4:5], -1
	s_and_b64 vcc, exec, s[16:17]
	v_lshlrev_b32_e32 v11, 2, v0
	s_barrier
	s_cbranch_vccz .LBB3874_6
; %bb.5:
	v_add_co_u32_e32 v2, vcc, v12, v11
	v_addc_co_u32_e32 v3, vcc, 0, v13, vcc
	flat_load_dword v1, v[2:3]
	flat_load_dword v4, v[2:3] offset:512
	flat_load_dword v5, v[2:3] offset:1024
	;; [unrolled: 1-line block ×7, first 2 shown]
	v_add_co_u32_e32 v2, vcc, 0x1000, v2
	v_addc_co_u32_e32 v3, vcc, 0, v3, vcc
	flat_load_dword v14, v[2:3]
	flat_load_dword v15, v[2:3] offset:512
	s_mov_b64 s[4:5], 0
	s_waitcnt vmcnt(0) lgkmcnt(0)
	ds_write2st64_b32 v11, v1, v4 offset1:2
	ds_write2st64_b32 v11, v5, v6 offset0:4 offset1:6
	ds_write2st64_b32 v11, v7, v8 offset0:8 offset1:10
	ds_write2st64_b32 v11, v9, v10 offset0:12 offset1:14
	ds_write2st64_b32 v11, v14, v15 offset0:16 offset1:18
	s_waitcnt lgkmcnt(0)
	s_barrier
.LBB3874_6:
	s_andn2_b64 vcc, exec, s[4:5]
	s_cbranch_vccnz .LBB3874_28
; %bb.7:
	flat_load_dword v1, v[12:13]
	v_cmp_gt_u32_e32 vcc, s24, v0
	s_waitcnt vmcnt(0) lgkmcnt(0)
	v_mov_b32_e32 v2, v1
	v_mov_b32_e32 v3, v1
	;; [unrolled: 1-line block ×9, first 2 shown]
	s_and_saveexec_b64 s[4:5], vcc
	s_cbranch_execz .LBB3874_9
; %bb.8:
	v_add_co_u32_e32 v14, vcc, v12, v11
	v_addc_co_u32_e32 v15, vcc, 0, v13, vcc
	flat_load_dword v10, v[14:15]
.LBB3874_9:
	s_or_b64 exec, exec, s[4:5]
	v_or_b32_e32 v14, 0x80, v0
	v_cmp_gt_u32_e32 vcc, s24, v14
	s_and_saveexec_b64 s[4:5], vcc
	s_cbranch_execz .LBB3874_11
; %bb.10:
	v_add_co_u32_e32 v14, vcc, v12, v11
	v_addc_co_u32_e32 v15, vcc, 0, v13, vcc
	flat_load_dword v1, v[14:15] offset:512
.LBB3874_11:
	s_or_b64 exec, exec, s[4:5]
	v_or_b32_e32 v14, 0x100, v0
	v_cmp_gt_u32_e32 vcc, s24, v14
	s_and_saveexec_b64 s[4:5], vcc
	s_cbranch_execz .LBB3874_13
; %bb.12:
	v_add_co_u32_e32 v14, vcc, v12, v11
	v_addc_co_u32_e32 v15, vcc, 0, v13, vcc
	flat_load_dword v2, v[14:15] offset:1024
.LBB3874_13:
	;; [unrolled: 10-line block ×7, first 2 shown]
	s_or_b64 exec, exec, s[4:5]
	v_or_b32_e32 v14, 0x400, v0
	v_cmp_gt_u32_e32 vcc, s24, v14
	s_and_saveexec_b64 s[4:5], vcc
	s_cbranch_execz .LBB3874_25
; %bb.24:
	v_lshlrev_b32_e32 v8, 2, v14
	v_add_co_u32_e32 v14, vcc, v12, v8
	v_addc_co_u32_e32 v15, vcc, 0, v13, vcc
	flat_load_dword v8, v[14:15]
.LBB3874_25:
	s_or_b64 exec, exec, s[4:5]
	v_or_b32_e32 v14, 0x480, v0
	v_cmp_gt_u32_e32 vcc, s24, v14
	s_and_saveexec_b64 s[4:5], vcc
	s_cbranch_execz .LBB3874_27
; %bb.26:
	v_lshlrev_b32_e32 v9, 2, v14
	v_add_co_u32_e32 v12, vcc, v12, v9
	v_addc_co_u32_e32 v13, vcc, 0, v13, vcc
	flat_load_dword v9, v[12:13]
.LBB3874_27:
	s_or_b64 exec, exec, s[4:5]
	s_waitcnt vmcnt(0) lgkmcnt(0)
	ds_write2st64_b32 v11, v10, v1 offset1:2
	ds_write2st64_b32 v11, v2, v3 offset0:4 offset1:6
	ds_write2st64_b32 v11, v4, v5 offset0:8 offset1:10
	;; [unrolled: 1-line block ×4, first 2 shown]
	s_waitcnt lgkmcnt(0)
	s_barrier
.LBB3874_28:
	v_mul_u32_u24_e32 v22, 10, v0
	v_lshlrev_b32_e32 v23, 2, v22
	ds_read2_b64 v[2:5], v23 offset1:1
	ds_read2_b64 v[16:19], v23 offset0:2 offset1:3
	ds_read_b64 v[20:21], v23 offset:32
	s_cmp_lg_u32 s26, 0
	v_lshrrev_b32_e32 v1, 5, v0
	v_cmp_gt_u32_e32 vcc, 64, v0
	s_waitcnt lgkmcnt(0)
	s_barrier
	s_cbranch_scc0 .LBB3874_57
; %bb.29:
	v_max_i32_e32 v6, v2, v3
	v_max3_i32 v6, v6, v4, v5
	v_max3_i32 v6, v6, v16, v17
	;; [unrolled: 1-line block ×4, first 2 shown]
	v_add_lshl_u32 v6, v1, v0, 2
	ds_write_b32 v6, v24
	s_waitcnt lgkmcnt(0)
	s_barrier
	s_and_saveexec_b64 s[18:19], vcc
	s_cbranch_execz .LBB3874_31
; %bb.30:
	v_lshlrev_b32_e32 v6, 1, v0
	v_lshrrev_b32_e32 v7, 4, v0
	v_add_lshl_u32 v8, v7, v6, 2
	ds_read2_b32 v[6:7], v8 offset1:1
	v_mbcnt_lo_u32_b32 v9, -1, 0
	v_mbcnt_hi_u32_b32 v9, -1, v9
	v_and_b32_e32 v10, 15, v9
	v_cmp_eq_u32_e64 s[4:5], 0, v10
	s_waitcnt lgkmcnt(0)
	v_max_i32_e32 v7, v6, v7
	; wave barrier
	s_nop 1
	v_mov_b32_dpp v11, v7 row_shr:1 row_mask:0xf bank_mask:0xf
	v_max_i32_e32 v11, v11, v7
	v_cndmask_b32_e64 v7, v11, v7, s[4:5]
	v_cmp_lt_u32_e64 s[4:5], 1, v10
	s_nop 0
	v_mov_b32_dpp v11, v7 row_shr:2 row_mask:0xf bank_mask:0xf
	v_max_i32_e32 v11, v11, v7
	v_cndmask_b32_e64 v7, v7, v11, s[4:5]
	v_cmp_lt_u32_e64 s[4:5], 3, v10
	;; [unrolled: 5-line block ×3, first 2 shown]
	s_nop 0
	v_mov_b32_dpp v11, v7 row_shr:8 row_mask:0xf bank_mask:0xf
	v_max_i32_e32 v11, v11, v7
	v_cndmask_b32_e64 v7, v7, v11, s[4:5]
	v_and_b32_e32 v11, 16, v9
	v_cmp_eq_u32_e64 s[4:5], 0, v11
	v_mov_b32_dpp v10, v7 row_bcast:15 row_mask:0xf bank_mask:0xf
	v_max_i32_e32 v10, v10, v7
	v_cndmask_b32_e64 v7, v10, v7, s[4:5]
	v_cmp_lt_u32_e64 s[4:5], 31, v9
	v_and_b32_e32 v11, 64, v9
	v_mov_b32_dpp v10, v7 row_bcast:31 row_mask:0xf bank_mask:0xf
	v_max_i32_e32 v10, v10, v7
	v_cndmask_b32_e64 v7, v7, v10, s[4:5]
	v_add_u32_e32 v10, -1, v9
	v_cmp_lt_i32_e64 s[4:5], v10, v11
	v_cndmask_b32_e64 v9, v10, v9, s[4:5]
	v_lshlrev_b32_e32 v9, 2, v9
	ds_bpermute_b32 v7, v9, v7
	s_waitcnt lgkmcnt(0)
	v_max_i32_e32 v6, v7, v6
	v_cndmask_b32_e64 v6, v6, v24, s[2:3]
	ds_write_b32 v8, v6
	; wave barrier
	ds_read_b32 v7, v8 offset:4
	s_waitcnt lgkmcnt(0)
	v_max_i32_e32 v6, v6, v7
	ds_write_b32 v8, v6 offset:4
.LBB3874_31:
	s_or_b64 exec, exec, s[18:19]
	s_waitcnt lgkmcnt(0)
	s_barrier
	s_and_saveexec_b64 s[4:5], s[0:1]
	s_cbranch_execz .LBB3874_33
; %bb.32:
	v_add_u32_e32 v6, -1, v0
	v_lshrrev_b32_e32 v7, 5, v6
	v_add_lshl_u32 v6, v7, v6, 2
	ds_read_b32 v24, v6
.LBB3874_33:
	s_or_b64 exec, exec, s[4:5]
	s_and_saveexec_b64 s[18:19], vcc
	s_cbranch_execz .LBB3874_56
; %bb.34:
	v_mov_b32_e32 v15, 0
	ds_read_b32 v6, v15 offset:520
	v_mbcnt_lo_u32_b32 v7, -1, 0
	v_mbcnt_hi_u32_b32 v9, -1, v7
	s_mov_b32 s23, 0
	v_cmp_eq_u32_e64 s[4:5], 0, v9
	s_and_saveexec_b64 s[20:21], s[4:5]
	s_cbranch_execz .LBB3874_36
; %bb.35:
	s_add_i32 s22, s26, 64
	s_lshl_b64 s[22:23], s[22:23], 3
	s_add_u32 s22, s6, s22
	v_mov_b32_e32 v7, 1
	s_addc_u32 s23, s7, s23
	s_waitcnt lgkmcnt(0)
	global_store_dwordx2 v15, v[6:7], s[22:23]
.LBB3874_36:
	s_or_b64 exec, exec, s[20:21]
	v_xad_u32 v8, v9, -1, s26
	v_add_u32_e32 v14, 64, v8
	v_lshlrev_b64 v[10:11], 3, v[14:15]
	v_mov_b32_e32 v7, s7
	v_add_co_u32_e32 v10, vcc, s6, v10
	v_addc_co_u32_e32 v11, vcc, v7, v11, vcc
	global_load_dwordx2 v[12:13], v[10:11], off glc
	s_waitcnt vmcnt(0)
	v_cmp_eq_u16_sdwa s[22:23], v13, v15 src0_sel:BYTE_0 src1_sel:DWORD
	s_and_saveexec_b64 s[20:21], s[22:23]
	s_cbranch_execz .LBB3874_42
; %bb.37:
	s_mov_b32 s27, 1
	s_mov_b64 s[22:23], 0
	v_mov_b32_e32 v7, 0
.LBB3874_38:                            ; =>This Loop Header: Depth=1
                                        ;     Child Loop BB3874_39 Depth 2
	s_max_u32 s28, s27, 1
.LBB3874_39:                            ;   Parent Loop BB3874_38 Depth=1
                                        ; =>  This Inner Loop Header: Depth=2
	s_add_i32 s28, s28, -1
	s_cmp_eq_u32 s28, 0
	s_sleep 1
	s_cbranch_scc0 .LBB3874_39
; %bb.40:                               ;   in Loop: Header=BB3874_38 Depth=1
	global_load_dwordx2 v[12:13], v[10:11], off glc
	s_cmp_lt_u32 s27, 32
	s_cselect_b64 s[28:29], -1, 0
	s_cmp_lg_u64 s[28:29], 0
	s_addc_u32 s27, s27, 0
	s_waitcnt vmcnt(0)
	v_cmp_ne_u16_sdwa s[28:29], v13, v7 src0_sel:BYTE_0 src1_sel:DWORD
	s_or_b64 s[22:23], s[28:29], s[22:23]
	s_andn2_b64 exec, exec, s[22:23]
	s_cbranch_execnz .LBB3874_38
; %bb.41:
	s_or_b64 exec, exec, s[22:23]
.LBB3874_42:
	s_or_b64 exec, exec, s[20:21]
	v_and_b32_e32 v25, 63, v9
	v_cmp_ne_u32_e32 vcc, 63, v25
	v_mov_b32_e32 v7, 2
	v_addc_co_u32_e32 v26, vcc, 0, v9, vcc
	v_cmp_eq_u16_sdwa s[20:21], v13, v7 src0_sel:BYTE_0 src1_sel:DWORD
	v_lshlrev_b64 v[10:11], v9, -1
	v_lshlrev_b32_e32 v26, 2, v26
	v_and_b32_e32 v14, s21, v11
	ds_bpermute_b32 v27, v26, v12
	v_or_b32_e32 v14, 0x80000000, v14
	v_and_b32_e32 v15, s20, v10
	v_ffbl_b32_e32 v14, v14
	v_add_u32_e32 v14, 32, v14
	v_ffbl_b32_e32 v15, v15
	v_min_u32_e32 v14, v15, v14
	s_waitcnt lgkmcnt(0)
	v_max_i32_e32 v15, v27, v12
	v_cmp_lt_u32_e32 vcc, v25, v14
	v_cndmask_b32_e32 v12, v12, v15, vcc
	v_cmp_gt_u32_e32 vcc, 62, v25
	v_cndmask_b32_e64 v15, 0, 1, vcc
	v_lshlrev_b32_e32 v15, 1, v15
	v_add_lshl_u32 v27, v15, v9, 2
	ds_bpermute_b32 v15, v27, v12
	v_add_u32_e32 v28, 2, v25
	v_cmp_gt_u32_e32 vcc, v28, v14
	v_add_u32_e32 v30, 4, v25
	v_add_u32_e32 v32, 8, v25
	s_waitcnt lgkmcnt(0)
	v_max_i32_e32 v15, v15, v12
	v_cndmask_b32_e32 v12, v15, v12, vcc
	v_cmp_gt_u32_e32 vcc, 60, v25
	v_cndmask_b32_e64 v15, 0, 1, vcc
	v_lshlrev_b32_e32 v15, 2, v15
	v_add_lshl_u32 v29, v15, v9, 2
	ds_bpermute_b32 v15, v29, v12
	v_cmp_gt_u32_e32 vcc, v30, v14
	v_add_u32_e32 v35, 16, v25
	v_add_u32_e32 v37, 32, v25
	s_waitcnt lgkmcnt(0)
	v_max_i32_e32 v15, v15, v12
	v_cndmask_b32_e32 v12, v15, v12, vcc
	v_cmp_gt_u32_e32 vcc, 56, v25
	v_cndmask_b32_e64 v15, 0, 1, vcc
	v_lshlrev_b32_e32 v15, 3, v15
	v_add_lshl_u32 v31, v15, v9, 2
	ds_bpermute_b32 v15, v31, v12
	v_cmp_gt_u32_e32 vcc, v32, v14
	s_waitcnt lgkmcnt(0)
	v_max_i32_e32 v15, v15, v12
	v_cndmask_b32_e32 v12, v15, v12, vcc
	v_cmp_gt_u32_e32 vcc, 48, v25
	v_cndmask_b32_e64 v15, 0, 1, vcc
	v_lshlrev_b32_e32 v15, 4, v15
	v_add_lshl_u32 v33, v15, v9, 2
	ds_bpermute_b32 v15, v33, v12
	v_cmp_gt_u32_e32 vcc, v35, v14
	;; [unrolled: 9-line block ×3, first 2 shown]
	s_waitcnt lgkmcnt(0)
	v_max_i32_e32 v9, v9, v12
	v_cndmask_b32_e32 v12, v9, v12, vcc
	v_mov_b32_e32 v9, 0
	s_branch .LBB3874_44
.LBB3874_43:                            ;   in Loop: Header=BB3874_44 Depth=1
	s_or_b64 exec, exec, s[20:21]
	v_cmp_eq_u16_sdwa s[20:21], v13, v7 src0_sel:BYTE_0 src1_sel:DWORD
	v_and_b32_e32 v14, s21, v11
	ds_bpermute_b32 v38, v26, v12
	v_or_b32_e32 v14, 0x80000000, v14
	v_and_b32_e32 v15, s20, v10
	v_ffbl_b32_e32 v14, v14
	v_add_u32_e32 v14, 32, v14
	v_ffbl_b32_e32 v15, v15
	v_min_u32_e32 v14, v15, v14
	s_waitcnt lgkmcnt(0)
	v_max_i32_e32 v15, v38, v12
	v_cmp_lt_u32_e32 vcc, v25, v14
	v_cndmask_b32_e32 v12, v12, v15, vcc
	ds_bpermute_b32 v15, v27, v12
	v_cmp_gt_u32_e32 vcc, v28, v14
	v_subrev_u32_e32 v8, 64, v8
	s_waitcnt lgkmcnt(0)
	v_max_i32_e32 v15, v15, v12
	v_cndmask_b32_e32 v12, v15, v12, vcc
	ds_bpermute_b32 v15, v29, v12
	v_cmp_gt_u32_e32 vcc, v30, v14
	s_waitcnt lgkmcnt(0)
	v_max_i32_e32 v15, v15, v12
	v_cndmask_b32_e32 v12, v15, v12, vcc
	ds_bpermute_b32 v15, v31, v12
	v_cmp_gt_u32_e32 vcc, v32, v14
	;; [unrolled: 5-line block ×4, first 2 shown]
	s_waitcnt lgkmcnt(0)
	v_max_i32_e32 v15, v15, v12
	v_cndmask_b32_e32 v12, v15, v12, vcc
	v_max_i32_e32 v12, v12, v34
.LBB3874_44:                            ; =>This Loop Header: Depth=1
                                        ;     Child Loop BB3874_47 Depth 2
                                        ;       Child Loop BB3874_48 Depth 3
	v_cmp_ne_u16_sdwa s[20:21], v13, v7 src0_sel:BYTE_0 src1_sel:DWORD
	v_cndmask_b32_e64 v13, 0, 1, s[20:21]
	;;#ASMSTART
	;;#ASMEND
	v_cmp_ne_u32_e32 vcc, 0, v13
	s_cmp_lg_u64 vcc, exec
	v_mov_b32_e32 v34, v12
	s_cbranch_scc1 .LBB3874_51
; %bb.45:                               ;   in Loop: Header=BB3874_44 Depth=1
	v_lshlrev_b64 v[12:13], 3, v[8:9]
	v_mov_b32_e32 v15, s7
	v_add_co_u32_e32 v14, vcc, s6, v12
	v_addc_co_u32_e32 v15, vcc, v15, v13, vcc
	global_load_dwordx2 v[12:13], v[14:15], off glc
	s_waitcnt vmcnt(0)
	v_cmp_eq_u16_sdwa s[22:23], v13, v9 src0_sel:BYTE_0 src1_sel:DWORD
	s_and_saveexec_b64 s[20:21], s[22:23]
	s_cbranch_execz .LBB3874_43
; %bb.46:                               ;   in Loop: Header=BB3874_44 Depth=1
	s_mov_b32 s27, 1
	s_mov_b64 s[22:23], 0
.LBB3874_47:                            ;   Parent Loop BB3874_44 Depth=1
                                        ; =>  This Loop Header: Depth=2
                                        ;       Child Loop BB3874_48 Depth 3
	s_max_u32 s28, s27, 1
.LBB3874_48:                            ;   Parent Loop BB3874_44 Depth=1
                                        ;     Parent Loop BB3874_47 Depth=2
                                        ; =>    This Inner Loop Header: Depth=3
	s_add_i32 s28, s28, -1
	s_cmp_eq_u32 s28, 0
	s_sleep 1
	s_cbranch_scc0 .LBB3874_48
; %bb.49:                               ;   in Loop: Header=BB3874_47 Depth=2
	global_load_dwordx2 v[12:13], v[14:15], off glc
	s_cmp_lt_u32 s27, 32
	s_cselect_b64 s[28:29], -1, 0
	s_cmp_lg_u64 s[28:29], 0
	s_addc_u32 s27, s27, 0
	s_waitcnt vmcnt(0)
	v_cmp_ne_u16_sdwa s[28:29], v13, v9 src0_sel:BYTE_0 src1_sel:DWORD
	s_or_b64 s[22:23], s[28:29], s[22:23]
	s_andn2_b64 exec, exec, s[22:23]
	s_cbranch_execnz .LBB3874_47
; %bb.50:                               ;   in Loop: Header=BB3874_44 Depth=1
	s_or_b64 exec, exec, s[22:23]
	s_branch .LBB3874_43
.LBB3874_51:                            ;   in Loop: Header=BB3874_44 Depth=1
                                        ; implicit-def: $vgpr12
                                        ; implicit-def: $vgpr13
	s_cbranch_execz .LBB3874_44
; %bb.52:
	s_and_saveexec_b64 s[20:21], s[4:5]
	s_cbranch_execz .LBB3874_54
; %bb.53:
	s_add_i32 s4, s26, 64
	s_mov_b32 s5, 0
	s_lshl_b64 s[4:5], s[4:5], 3
	s_add_u32 s4, s6, s4
	v_max_i32_e32 v6, v34, v6
	v_mov_b32_e32 v7, 2
	s_addc_u32 s5, s7, s5
	v_mov_b32_e32 v8, 0
	global_store_dwordx2 v8, v[6:7], s[4:5]
.LBB3874_54:
	s_or_b64 exec, exec, s[20:21]
	s_and_b64 exec, exec, s[2:3]
	s_cbranch_execz .LBB3874_56
; %bb.55:
	v_mov_b32_e32 v6, 0
	ds_write_b32 v6, v34
.LBB3874_56:
	s_or_b64 exec, exec, s[18:19]
	v_mov_b32_e32 v6, 0
	s_waitcnt lgkmcnt(0)
	s_barrier
	ds_read_b32 v6, v6
	v_max_i32_e32 v7, v24, v2
	v_cndmask_b32_e64 v7, v7, v2, s[2:3]
	s_waitcnt lgkmcnt(0)
	v_max_i32_e32 v6, v6, v7
	v_max_i32_e32 v7, v6, v3
	;; [unrolled: 1-line block ×10, first 2 shown]
	s_branch .LBB3874_69
.LBB3874_57:
                                        ; implicit-def: $vgpr6_vgpr7_vgpr8_vgpr9_vgpr10_vgpr11_vgpr12_vgpr13_vgpr14_vgpr15
	s_cbranch_execz .LBB3874_69
; %bb.58:
	s_cmp_lg_u64 s[12:13], 0
	s_cselect_b64 s[4:5], -1, 0
	s_and_b64 s[12:13], s[2:3], s[4:5]
	v_mov_b32_e32 v12, v3
	v_mov_b32_e32 v13, v4
	v_mov_b32_e32 v14, v5
	s_and_saveexec_b64 s[4:5], s[12:13]
	s_cbranch_execz .LBB3874_60
; %bb.59:
	v_mov_b32_e32 v6, 0
	global_load_dword v6, v6, s[8:9]
	v_mov_b32_e32 v12, v3
	v_mov_b32_e32 v13, v4
	;; [unrolled: 1-line block ×3, first 2 shown]
	s_waitcnt vmcnt(0)
	v_max_i32_e32 v2, v6, v2
.LBB3874_60:
	s_or_b64 exec, exec, s[4:5]
	v_max_i32_e32 v3, v2, v12
	v_max_i32_e32 v4, v3, v13
	;; [unrolled: 1-line block ×9, first 2 shown]
	v_add_lshl_u32 v1, v1, v0, 2
	v_cmp_gt_u32_e32 vcc, 64, v0
	ds_write_b32 v1, v11
	s_waitcnt lgkmcnt(0)
	s_barrier
	s_and_saveexec_b64 s[4:5], vcc
	s_cbranch_execz .LBB3874_62
; %bb.61:
	v_lshlrev_b32_e32 v1, 1, v0
	v_lshrrev_b32_e32 v15, 4, v0
	v_add_lshl_u32 v1, v15, v1, 2
	ds_read2_b32 v[24:25], v1 offset1:1
	v_mbcnt_lo_u32_b32 v15, -1, 0
	v_mbcnt_hi_u32_b32 v15, -1, v15
	v_and_b32_e32 v26, 15, v15
	v_cmp_eq_u32_e32 vcc, 0, v26
	s_waitcnt lgkmcnt(0)
	v_max_i32_e32 v25, v24, v25
	; wave barrier
	s_nop 1
	v_mov_b32_dpp v27, v25 row_shr:1 row_mask:0xf bank_mask:0xf
	v_max_i32_e32 v27, v27, v25
	v_cndmask_b32_e32 v25, v27, v25, vcc
	v_cmp_lt_u32_e32 vcc, 1, v26
	s_nop 0
	v_mov_b32_dpp v27, v25 row_shr:2 row_mask:0xf bank_mask:0xf
	v_max_i32_e32 v27, v27, v25
	v_cndmask_b32_e32 v25, v25, v27, vcc
	v_cmp_lt_u32_e32 vcc, 3, v26
	;; [unrolled: 5-line block ×3, first 2 shown]
	s_nop 0
	v_mov_b32_dpp v27, v25 row_shr:8 row_mask:0xf bank_mask:0xf
	v_max_i32_e32 v27, v27, v25
	v_cndmask_b32_e32 v25, v25, v27, vcc
	v_and_b32_e32 v27, 16, v15
	v_cmp_eq_u32_e32 vcc, 0, v27
	v_mov_b32_dpp v26, v25 row_bcast:15 row_mask:0xf bank_mask:0xf
	v_max_i32_e32 v26, v26, v25
	v_cndmask_b32_e32 v25, v26, v25, vcc
	v_cmp_lt_u32_e32 vcc, 31, v15
	v_and_b32_e32 v27, 64, v15
	v_mov_b32_dpp v26, v25 row_bcast:31 row_mask:0xf bank_mask:0xf
	v_max_i32_e32 v26, v26, v25
	v_cndmask_b32_e32 v25, v25, v26, vcc
	v_add_u32_e32 v26, -1, v15
	v_cmp_lt_i32_e32 vcc, v26, v27
	v_cndmask_b32_e32 v15, v26, v15, vcc
	v_lshlrev_b32_e32 v15, 2, v15
	ds_bpermute_b32 v15, v15, v25
	s_waitcnt lgkmcnt(0)
	v_max_i32_e32 v15, v15, v24
	v_cndmask_b32_e64 v15, v15, v11, s[2:3]
	ds_write_b32 v1, v15
	; wave barrier
	ds_read_b32 v24, v1 offset:4
	s_waitcnt lgkmcnt(0)
	v_max_i32_e32 v15, v15, v24
	ds_write_b32 v1, v15 offset:4
.LBB3874_62:
	s_or_b64 exec, exec, s[4:5]
	v_mov_b32_e32 v1, v11
	s_waitcnt lgkmcnt(0)
	s_barrier
	s_and_saveexec_b64 s[2:3], s[0:1]
	s_cbranch_execz .LBB3874_64
; %bb.63:
	v_add_u32_e32 v1, -1, v0
	v_lshrrev_b32_e32 v15, 5, v1
	v_add_lshl_u32 v1, v15, v1, 2
	ds_read_b32 v1, v1
.LBB3874_64:
	s_or_b64 exec, exec, s[2:3]
	s_and_saveexec_b64 s[2:3], s[0:1]
	s_cbranch_execz .LBB3874_66
; %bb.65:
	s_waitcnt lgkmcnt(0)
	v_max_i32_e32 v2, v1, v2
	v_max_i32_e32 v3, v2, v12
	v_max_i32_e32 v4, v3, v13
	v_max_i32_e32 v5, v4, v14
	v_max_i32_e32 v6, v5, v16
	v_max_i32_e32 v7, v6, v17
	v_max_i32_e32 v8, v7, v18
	v_max_i32_e32 v9, v8, v19
	v_max_i32_e32 v10, v9, v20
	v_max_i32_e32 v11, v10, v21
	;;#ASMSTART
	;;#ASMEND
.LBB3874_66:
	s_or_b64 exec, exec, s[2:3]
	s_movk_i32 s0, 0x7f
	v_cmp_eq_u32_e32 vcc, s0, v0
	s_and_saveexec_b64 s[0:1], vcc
	s_cbranch_execz .LBB3874_68
; %bb.67:
	s_waitcnt lgkmcnt(0)
	v_mov_b32_e32 v1, 0
	v_mov_b32_e32 v13, 2
	;; [unrolled: 1-line block ×3, first 2 shown]
	global_store_dwordx2 v1, v[12:13], s[6:7] offset:512
.LBB3874_68:
	s_or_b64 exec, exec, s[0:1]
	v_pk_mov_b32 v[14:15], v[10:11], v[10:11] op_sel:[0,1]
	v_pk_mov_b32 v[12:13], v[8:9], v[8:9] op_sel:[0,1]
	;; [unrolled: 1-line block ×5, first 2 shown]
.LBB3874_69:
	s_mov_b64 s[0:1], -1
	s_and_b64 vcc, exec, s[16:17]
	s_waitcnt lgkmcnt(0)
	s_barrier
	ds_write2_b64 v23, v[6:7], v[8:9] offset1:1
	ds_write2_b64 v23, v[10:11], v[12:13] offset0:2 offset1:3
	ds_write_b64 v23, v[14:15] offset:32
	s_waitcnt lgkmcnt(0)
	s_cbranch_vccz .LBB3874_71
; %bb.70:
	s_barrier
	s_mov_b64 s[0:1], 0
.LBB3874_71:
	s_andn2_b64 vcc, exec, s[0:1]
	s_cbranch_vccnz .LBB3874_107
; %bb.72:
	v_cmp_lt_u64_e64 s[0:1], s[14:15], 2
	s_and_b64 vcc, exec, s[0:1]
	s_barrier
	s_cbranch_vccnz .LBB3874_107
; %bb.73:
	s_add_u32 s0, s24, -1
	s_addc_u32 s1, s25, -1
	s_add_u32 s2, 0, 0x99986000
	s_addc_u32 s3, 0, 0x59
	s_add_i32 s3, s3, 0x19999940
	s_mul_hi_u32 s7, s2, -10
	s_sub_i32 s7, s7, s2
	s_mul_i32 s8, s3, -10
	s_mul_i32 s4, s2, -10
	s_add_i32 s7, s7, s8
	s_mul_hi_u32 s5, s3, s4
	s_mul_i32 s6, s3, s4
	s_mul_i32 s9, s2, s7
	s_mul_hi_u32 s4, s2, s4
	s_mul_hi_u32 s8, s2, s7
	s_add_u32 s4, s4, s9
	s_addc_u32 s8, 0, s8
	s_add_u32 s4, s4, s6
	s_mul_hi_u32 s9, s3, s7
	s_addc_u32 s4, s8, s5
	s_addc_u32 s5, s9, 0
	s_mul_i32 s6, s3, s7
	s_add_u32 s4, s4, s6
	v_mov_b32_e32 v2, s4
	s_addc_u32 s5, 0, s5
	v_add_co_u32_e32 v2, vcc, s2, v2
	s_cmp_lg_u64 vcc, 0
	s_addc_u32 s2, s3, s5
	v_readfirstlane_b32 s5, v2
	s_mul_i32 s4, s0, s2
	s_mul_hi_u32 s6, s0, s5
	s_mul_hi_u32 s3, s0, s2
	s_add_u32 s4, s6, s4
	s_addc_u32 s3, 0, s3
	s_mul_hi_u32 s7, s1, s5
	s_mul_i32 s5, s1, s5
	s_add_u32 s4, s4, s5
	s_mul_hi_u32 s6, s1, s2
	s_addc_u32 s3, s3, s7
	s_addc_u32 s4, s6, 0
	s_mul_i32 s2, s1, s2
	s_add_u32 s2, s3, s2
	s_addc_u32 s3, 0, s4
	s_add_u32 s4, s2, 1
	s_addc_u32 s5, s3, 0
	s_add_u32 s6, s2, 2
	s_mul_i32 s8, s3, 10
	s_mul_hi_u32 s9, s2, 10
	s_addc_u32 s7, s3, 0
	s_add_i32 s9, s9, s8
	s_mul_i32 s8, s2, 10
	v_mov_b32_e32 v2, s8
	v_sub_co_u32_e32 v2, vcc, s0, v2
	s_cmp_lg_u64 vcc, 0
	s_subb_u32 s8, s1, s9
	v_subrev_co_u32_e32 v3, vcc, 10, v2
	s_cmp_lg_u64 vcc, 0
	s_subb_u32 s9, s8, 0
	v_readfirstlane_b32 s12, v3
	s_cmp_gt_u32 s12, 9
	s_cselect_b32 s12, -1, 0
	s_cmp_eq_u32 s9, 0
	s_cselect_b32 s9, s12, -1
	s_cmp_lg_u32 s9, 0
	s_cselect_b32 s4, s6, s4
	v_readfirstlane_b32 s6, v2
	s_cselect_b32 s5, s7, s5
	s_cmp_gt_u32 s6, 9
	s_cselect_b32 s6, -1, 0
	s_cmp_eq_u32 s8, 0
	s_cselect_b32 s6, s6, -1
	s_cmp_lg_u32 s6, 0
	v_mov_b32_e32 v1, 0
	s_cselect_b32 s3, s5, s3
	s_cselect_b32 s2, s4, s2
	v_cmp_eq_u64_e32 vcc, s[2:3], v[0:1]
	s_and_saveexec_b64 s[2:3], vcc
	s_cbranch_execz .LBB3874_107
; %bb.74:
	s_movk_i32 s2, 0xffdc
	v_mad_i32_i24 v2, v0, s2, v23
	v_mul_hi_u32_u24_e32 v1, 10, v0
	v_mov_b32_e32 v3, s1
	v_sub_co_u32_e32 v0, vcc, s0, v22
	v_subb_co_u32_e32 v1, vcc, v3, v1, vcc
	v_cmp_lt_i64_e32 vcc, 4, v[0:1]
	s_and_saveexec_b64 s[0:1], vcc
	s_xor_b64 s[0:1], exec, s[0:1]
	s_cbranch_execz .LBB3874_92
; %bb.75:
	v_cmp_lt_i64_e32 vcc, 6, v[0:1]
	s_and_saveexec_b64 s[2:3], vcc
	s_xor_b64 s[2:3], exec, s[2:3]
	s_cbranch_execz .LBB3874_85
; %bb.76:
	;; [unrolled: 5-line block ×4, first 2 shown]
	ds_read_b32 v0, v2 offset:4608
	v_mov_b32_e32 v1, 0
                                        ; implicit-def: $vgpr2
	s_waitcnt lgkmcnt(0)
	global_store_dword v1, v0, s[10:11]
.LBB3874_79:
	s_andn2_saveexec_b64 s[6:7], s[6:7]
	s_cbranch_execz .LBB3874_81
; %bb.80:
	ds_read_b32 v0, v2 offset:4096
	v_mov_b32_e32 v1, 0
	s_waitcnt lgkmcnt(0)
	global_store_dword v1, v0, s[10:11]
.LBB3874_81:
	s_or_b64 exec, exec, s[6:7]
                                        ; implicit-def: $vgpr2
.LBB3874_82:
	s_andn2_saveexec_b64 s[4:5], s[4:5]
	s_cbranch_execz .LBB3874_84
; %bb.83:
	ds_read_b32 v0, v2 offset:3584
	v_mov_b32_e32 v1, 0
	s_waitcnt lgkmcnt(0)
	global_store_dword v1, v0, s[10:11]
.LBB3874_84:
	s_or_b64 exec, exec, s[4:5]
                                        ; implicit-def: $vgpr2
                                        ; implicit-def: $vgpr0_vgpr1
.LBB3874_85:
	s_andn2_saveexec_b64 s[2:3], s[2:3]
	s_cbranch_execz .LBB3874_91
; %bb.86:
	v_cmp_lt_i64_e32 vcc, 5, v[0:1]
	s_and_saveexec_b64 s[4:5], vcc
	s_xor_b64 s[4:5], exec, s[4:5]
	s_cbranch_execz .LBB3874_88
; %bb.87:
	ds_read_b32 v0, v2 offset:3072
	v_mov_b32_e32 v1, 0
                                        ; implicit-def: $vgpr2
	s_waitcnt lgkmcnt(0)
	global_store_dword v1, v0, s[10:11]
.LBB3874_88:
	s_andn2_saveexec_b64 s[4:5], s[4:5]
	s_cbranch_execz .LBB3874_90
; %bb.89:
	ds_read_b32 v0, v2 offset:2560
	v_mov_b32_e32 v1, 0
	s_waitcnt lgkmcnt(0)
	global_store_dword v1, v0, s[10:11]
.LBB3874_90:
	s_or_b64 exec, exec, s[4:5]
.LBB3874_91:
	s_or_b64 exec, exec, s[2:3]
                                        ; implicit-def: $vgpr0_vgpr1
                                        ; implicit-def: $vgpr2
.LBB3874_92:
	s_andn2_saveexec_b64 s[0:1], s[0:1]
	s_cbranch_execz .LBB3874_107
; %bb.93:
	v_cmp_lt_i64_e32 vcc, 2, v[0:1]
	s_and_saveexec_b64 s[0:1], vcc
	s_xor_b64 s[0:1], exec, s[0:1]
	s_cbranch_execz .LBB3874_99
; %bb.94:
	v_cmp_lt_i64_e32 vcc, 3, v[0:1]
	s_and_saveexec_b64 s[2:3], vcc
	s_xor_b64 s[2:3], exec, s[2:3]
	s_cbranch_execz .LBB3874_96
; %bb.95:
	ds_read_b32 v0, v2 offset:2048
	v_mov_b32_e32 v1, 0
                                        ; implicit-def: $vgpr2
	s_waitcnt lgkmcnt(0)
	global_store_dword v1, v0, s[10:11]
.LBB3874_96:
	s_andn2_saveexec_b64 s[2:3], s[2:3]
	s_cbranch_execz .LBB3874_98
; %bb.97:
	ds_read_b32 v0, v2 offset:1536
	v_mov_b32_e32 v1, 0
	s_waitcnt lgkmcnt(0)
	global_store_dword v1, v0, s[10:11]
.LBB3874_98:
	s_or_b64 exec, exec, s[2:3]
                                        ; implicit-def: $vgpr0_vgpr1
                                        ; implicit-def: $vgpr2
.LBB3874_99:
	s_andn2_saveexec_b64 s[0:1], s[0:1]
	s_cbranch_execz .LBB3874_107
; %bb.100:
	v_cmp_lt_i64_e32 vcc, 1, v[0:1]
	s_and_saveexec_b64 s[0:1], vcc
	s_xor_b64 s[0:1], exec, s[0:1]
	s_cbranch_execz .LBB3874_102
; %bb.101:
	ds_read_b32 v0, v2 offset:1024
	v_mov_b32_e32 v1, 0
                                        ; implicit-def: $vgpr2
	s_waitcnt lgkmcnt(0)
	global_store_dword v1, v0, s[10:11]
                                        ; implicit-def: $vgpr0_vgpr1
.LBB3874_102:
	s_andn2_saveexec_b64 s[0:1], s[0:1]
	s_cbranch_execz .LBB3874_107
; %bb.103:
	v_cmp_ne_u64_e32 vcc, 1, v[0:1]
	s_and_saveexec_b64 s[0:1], vcc
	s_xor_b64 s[0:1], exec, s[0:1]
	s_cbranch_execz .LBB3874_105
; %bb.104:
	ds_read_b32 v0, v2
	v_mov_b32_e32 v1, 0
                                        ; implicit-def: $vgpr2
	s_waitcnt lgkmcnt(0)
	global_store_dword v1, v0, s[10:11]
.LBB3874_105:
	s_andn2_saveexec_b64 s[0:1], s[0:1]
	s_cbranch_execz .LBB3874_107
; %bb.106:
	ds_read_b32 v0, v2 offset:512
	v_mov_b32_e32 v1, 0
	s_waitcnt lgkmcnt(0)
	global_store_dword v1, v0, s[10:11]
.LBB3874_107:
	s_endpgm
	.section	.rodata,"a",@progbits
	.p2align	6, 0x0
	.amdhsa_kernel _ZN7rocprim17ROCPRIM_400000_NS6detail17trampoline_kernelINS0_14default_configENS1_20scan_config_selectorIiEEZZNS1_9scan_implILNS1_25lookback_scan_determinismE0ELb0ELb0ES3_N6thrust23THRUST_200600_302600_NS6detail15normal_iteratorINS9_10device_ptrIiEEEENS9_16discard_iteratorINS9_11use_defaultEEEi11max_functorIiEiEEDaPvRmT3_T4_T5_mT6_P12ihipStream_tbENKUlT_T0_E_clISt17integral_constantIbLb1EESX_EEDaSS_ST_EUlSS_E_NS1_11comp_targetILNS1_3genE4ELNS1_11target_archE910ELNS1_3gpuE8ELNS1_3repE0EEENS1_30default_config_static_selectorELNS0_4arch9wavefront6targetE1EEEvT1_
		.amdhsa_group_segment_fixed_size 5120
		.amdhsa_private_segment_fixed_size 0
		.amdhsa_kernarg_size 104
		.amdhsa_user_sgpr_count 6
		.amdhsa_user_sgpr_private_segment_buffer 1
		.amdhsa_user_sgpr_dispatch_ptr 0
		.amdhsa_user_sgpr_queue_ptr 0
		.amdhsa_user_sgpr_kernarg_segment_ptr 1
		.amdhsa_user_sgpr_dispatch_id 0
		.amdhsa_user_sgpr_flat_scratch_init 0
		.amdhsa_user_sgpr_kernarg_preload_length 0
		.amdhsa_user_sgpr_kernarg_preload_offset 0
		.amdhsa_user_sgpr_private_segment_size 0
		.amdhsa_uses_dynamic_stack 0
		.amdhsa_system_sgpr_private_segment_wavefront_offset 0
		.amdhsa_system_sgpr_workgroup_id_x 1
		.amdhsa_system_sgpr_workgroup_id_y 0
		.amdhsa_system_sgpr_workgroup_id_z 0
		.amdhsa_system_sgpr_workgroup_info 0
		.amdhsa_system_vgpr_workitem_id 0
		.amdhsa_next_free_vgpr 39
		.amdhsa_next_free_sgpr 30
		.amdhsa_accum_offset 40
		.amdhsa_reserve_vcc 1
		.amdhsa_reserve_flat_scratch 0
		.amdhsa_float_round_mode_32 0
		.amdhsa_float_round_mode_16_64 0
		.amdhsa_float_denorm_mode_32 3
		.amdhsa_float_denorm_mode_16_64 3
		.amdhsa_dx10_clamp 1
		.amdhsa_ieee_mode 1
		.amdhsa_fp16_overflow 0
		.amdhsa_tg_split 0
		.amdhsa_exception_fp_ieee_invalid_op 0
		.amdhsa_exception_fp_denorm_src 0
		.amdhsa_exception_fp_ieee_div_zero 0
		.amdhsa_exception_fp_ieee_overflow 0
		.amdhsa_exception_fp_ieee_underflow 0
		.amdhsa_exception_fp_ieee_inexact 0
		.amdhsa_exception_int_div_zero 0
	.end_amdhsa_kernel
	.section	.text._ZN7rocprim17ROCPRIM_400000_NS6detail17trampoline_kernelINS0_14default_configENS1_20scan_config_selectorIiEEZZNS1_9scan_implILNS1_25lookback_scan_determinismE0ELb0ELb0ES3_N6thrust23THRUST_200600_302600_NS6detail15normal_iteratorINS9_10device_ptrIiEEEENS9_16discard_iteratorINS9_11use_defaultEEEi11max_functorIiEiEEDaPvRmT3_T4_T5_mT6_P12ihipStream_tbENKUlT_T0_E_clISt17integral_constantIbLb1EESX_EEDaSS_ST_EUlSS_E_NS1_11comp_targetILNS1_3genE4ELNS1_11target_archE910ELNS1_3gpuE8ELNS1_3repE0EEENS1_30default_config_static_selectorELNS0_4arch9wavefront6targetE1EEEvT1_,"axG",@progbits,_ZN7rocprim17ROCPRIM_400000_NS6detail17trampoline_kernelINS0_14default_configENS1_20scan_config_selectorIiEEZZNS1_9scan_implILNS1_25lookback_scan_determinismE0ELb0ELb0ES3_N6thrust23THRUST_200600_302600_NS6detail15normal_iteratorINS9_10device_ptrIiEEEENS9_16discard_iteratorINS9_11use_defaultEEEi11max_functorIiEiEEDaPvRmT3_T4_T5_mT6_P12ihipStream_tbENKUlT_T0_E_clISt17integral_constantIbLb1EESX_EEDaSS_ST_EUlSS_E_NS1_11comp_targetILNS1_3genE4ELNS1_11target_archE910ELNS1_3gpuE8ELNS1_3repE0EEENS1_30default_config_static_selectorELNS0_4arch9wavefront6targetE1EEEvT1_,comdat
.Lfunc_end3874:
	.size	_ZN7rocprim17ROCPRIM_400000_NS6detail17trampoline_kernelINS0_14default_configENS1_20scan_config_selectorIiEEZZNS1_9scan_implILNS1_25lookback_scan_determinismE0ELb0ELb0ES3_N6thrust23THRUST_200600_302600_NS6detail15normal_iteratorINS9_10device_ptrIiEEEENS9_16discard_iteratorINS9_11use_defaultEEEi11max_functorIiEiEEDaPvRmT3_T4_T5_mT6_P12ihipStream_tbENKUlT_T0_E_clISt17integral_constantIbLb1EESX_EEDaSS_ST_EUlSS_E_NS1_11comp_targetILNS1_3genE4ELNS1_11target_archE910ELNS1_3gpuE8ELNS1_3repE0EEENS1_30default_config_static_selectorELNS0_4arch9wavefront6targetE1EEEvT1_, .Lfunc_end3874-_ZN7rocprim17ROCPRIM_400000_NS6detail17trampoline_kernelINS0_14default_configENS1_20scan_config_selectorIiEEZZNS1_9scan_implILNS1_25lookback_scan_determinismE0ELb0ELb0ES3_N6thrust23THRUST_200600_302600_NS6detail15normal_iteratorINS9_10device_ptrIiEEEENS9_16discard_iteratorINS9_11use_defaultEEEi11max_functorIiEiEEDaPvRmT3_T4_T5_mT6_P12ihipStream_tbENKUlT_T0_E_clISt17integral_constantIbLb1EESX_EEDaSS_ST_EUlSS_E_NS1_11comp_targetILNS1_3genE4ELNS1_11target_archE910ELNS1_3gpuE8ELNS1_3repE0EEENS1_30default_config_static_selectorELNS0_4arch9wavefront6targetE1EEEvT1_
                                        ; -- End function
	.section	.AMDGPU.csdata,"",@progbits
; Kernel info:
; codeLenInByte = 4080
; NumSgprs: 34
; NumVgprs: 39
; NumAgprs: 0
; TotalNumVgprs: 39
; ScratchSize: 0
; MemoryBound: 0
; FloatMode: 240
; IeeeMode: 1
; LDSByteSize: 5120 bytes/workgroup (compile time only)
; SGPRBlocks: 4
; VGPRBlocks: 4
; NumSGPRsForWavesPerEU: 34
; NumVGPRsForWavesPerEU: 39
; AccumOffset: 40
; Occupancy: 6
; WaveLimiterHint : 1
; COMPUTE_PGM_RSRC2:SCRATCH_EN: 0
; COMPUTE_PGM_RSRC2:USER_SGPR: 6
; COMPUTE_PGM_RSRC2:TRAP_HANDLER: 0
; COMPUTE_PGM_RSRC2:TGID_X_EN: 1
; COMPUTE_PGM_RSRC2:TGID_Y_EN: 0
; COMPUTE_PGM_RSRC2:TGID_Z_EN: 0
; COMPUTE_PGM_RSRC2:TIDIG_COMP_CNT: 0
; COMPUTE_PGM_RSRC3_GFX90A:ACCUM_OFFSET: 9
; COMPUTE_PGM_RSRC3_GFX90A:TG_SPLIT: 0
	.section	.text._ZN7rocprim17ROCPRIM_400000_NS6detail17trampoline_kernelINS0_14default_configENS1_20scan_config_selectorIiEEZZNS1_9scan_implILNS1_25lookback_scan_determinismE0ELb0ELb0ES3_N6thrust23THRUST_200600_302600_NS6detail15normal_iteratorINS9_10device_ptrIiEEEENS9_16discard_iteratorINS9_11use_defaultEEEi11max_functorIiEiEEDaPvRmT3_T4_T5_mT6_P12ihipStream_tbENKUlT_T0_E_clISt17integral_constantIbLb1EESX_EEDaSS_ST_EUlSS_E_NS1_11comp_targetILNS1_3genE3ELNS1_11target_archE908ELNS1_3gpuE7ELNS1_3repE0EEENS1_30default_config_static_selectorELNS0_4arch9wavefront6targetE1EEEvT1_,"axG",@progbits,_ZN7rocprim17ROCPRIM_400000_NS6detail17trampoline_kernelINS0_14default_configENS1_20scan_config_selectorIiEEZZNS1_9scan_implILNS1_25lookback_scan_determinismE0ELb0ELb0ES3_N6thrust23THRUST_200600_302600_NS6detail15normal_iteratorINS9_10device_ptrIiEEEENS9_16discard_iteratorINS9_11use_defaultEEEi11max_functorIiEiEEDaPvRmT3_T4_T5_mT6_P12ihipStream_tbENKUlT_T0_E_clISt17integral_constantIbLb1EESX_EEDaSS_ST_EUlSS_E_NS1_11comp_targetILNS1_3genE3ELNS1_11target_archE908ELNS1_3gpuE7ELNS1_3repE0EEENS1_30default_config_static_selectorELNS0_4arch9wavefront6targetE1EEEvT1_,comdat
	.protected	_ZN7rocprim17ROCPRIM_400000_NS6detail17trampoline_kernelINS0_14default_configENS1_20scan_config_selectorIiEEZZNS1_9scan_implILNS1_25lookback_scan_determinismE0ELb0ELb0ES3_N6thrust23THRUST_200600_302600_NS6detail15normal_iteratorINS9_10device_ptrIiEEEENS9_16discard_iteratorINS9_11use_defaultEEEi11max_functorIiEiEEDaPvRmT3_T4_T5_mT6_P12ihipStream_tbENKUlT_T0_E_clISt17integral_constantIbLb1EESX_EEDaSS_ST_EUlSS_E_NS1_11comp_targetILNS1_3genE3ELNS1_11target_archE908ELNS1_3gpuE7ELNS1_3repE0EEENS1_30default_config_static_selectorELNS0_4arch9wavefront6targetE1EEEvT1_ ; -- Begin function _ZN7rocprim17ROCPRIM_400000_NS6detail17trampoline_kernelINS0_14default_configENS1_20scan_config_selectorIiEEZZNS1_9scan_implILNS1_25lookback_scan_determinismE0ELb0ELb0ES3_N6thrust23THRUST_200600_302600_NS6detail15normal_iteratorINS9_10device_ptrIiEEEENS9_16discard_iteratorINS9_11use_defaultEEEi11max_functorIiEiEEDaPvRmT3_T4_T5_mT6_P12ihipStream_tbENKUlT_T0_E_clISt17integral_constantIbLb1EESX_EEDaSS_ST_EUlSS_E_NS1_11comp_targetILNS1_3genE3ELNS1_11target_archE908ELNS1_3gpuE7ELNS1_3repE0EEENS1_30default_config_static_selectorELNS0_4arch9wavefront6targetE1EEEvT1_
	.globl	_ZN7rocprim17ROCPRIM_400000_NS6detail17trampoline_kernelINS0_14default_configENS1_20scan_config_selectorIiEEZZNS1_9scan_implILNS1_25lookback_scan_determinismE0ELb0ELb0ES3_N6thrust23THRUST_200600_302600_NS6detail15normal_iteratorINS9_10device_ptrIiEEEENS9_16discard_iteratorINS9_11use_defaultEEEi11max_functorIiEiEEDaPvRmT3_T4_T5_mT6_P12ihipStream_tbENKUlT_T0_E_clISt17integral_constantIbLb1EESX_EEDaSS_ST_EUlSS_E_NS1_11comp_targetILNS1_3genE3ELNS1_11target_archE908ELNS1_3gpuE7ELNS1_3repE0EEENS1_30default_config_static_selectorELNS0_4arch9wavefront6targetE1EEEvT1_
	.p2align	8
	.type	_ZN7rocprim17ROCPRIM_400000_NS6detail17trampoline_kernelINS0_14default_configENS1_20scan_config_selectorIiEEZZNS1_9scan_implILNS1_25lookback_scan_determinismE0ELb0ELb0ES3_N6thrust23THRUST_200600_302600_NS6detail15normal_iteratorINS9_10device_ptrIiEEEENS9_16discard_iteratorINS9_11use_defaultEEEi11max_functorIiEiEEDaPvRmT3_T4_T5_mT6_P12ihipStream_tbENKUlT_T0_E_clISt17integral_constantIbLb1EESX_EEDaSS_ST_EUlSS_E_NS1_11comp_targetILNS1_3genE3ELNS1_11target_archE908ELNS1_3gpuE7ELNS1_3repE0EEENS1_30default_config_static_selectorELNS0_4arch9wavefront6targetE1EEEvT1_,@function
_ZN7rocprim17ROCPRIM_400000_NS6detail17trampoline_kernelINS0_14default_configENS1_20scan_config_selectorIiEEZZNS1_9scan_implILNS1_25lookback_scan_determinismE0ELb0ELb0ES3_N6thrust23THRUST_200600_302600_NS6detail15normal_iteratorINS9_10device_ptrIiEEEENS9_16discard_iteratorINS9_11use_defaultEEEi11max_functorIiEiEEDaPvRmT3_T4_T5_mT6_P12ihipStream_tbENKUlT_T0_E_clISt17integral_constantIbLb1EESX_EEDaSS_ST_EUlSS_E_NS1_11comp_targetILNS1_3genE3ELNS1_11target_archE908ELNS1_3gpuE7ELNS1_3repE0EEENS1_30default_config_static_selectorELNS0_4arch9wavefront6targetE1EEEvT1_: ; @_ZN7rocprim17ROCPRIM_400000_NS6detail17trampoline_kernelINS0_14default_configENS1_20scan_config_selectorIiEEZZNS1_9scan_implILNS1_25lookback_scan_determinismE0ELb0ELb0ES3_N6thrust23THRUST_200600_302600_NS6detail15normal_iteratorINS9_10device_ptrIiEEEENS9_16discard_iteratorINS9_11use_defaultEEEi11max_functorIiEiEEDaPvRmT3_T4_T5_mT6_P12ihipStream_tbENKUlT_T0_E_clISt17integral_constantIbLb1EESX_EEDaSS_ST_EUlSS_E_NS1_11comp_targetILNS1_3genE3ELNS1_11target_archE908ELNS1_3gpuE7ELNS1_3repE0EEENS1_30default_config_static_selectorELNS0_4arch9wavefront6targetE1EEEvT1_
; %bb.0:
	.section	.rodata,"a",@progbits
	.p2align	6, 0x0
	.amdhsa_kernel _ZN7rocprim17ROCPRIM_400000_NS6detail17trampoline_kernelINS0_14default_configENS1_20scan_config_selectorIiEEZZNS1_9scan_implILNS1_25lookback_scan_determinismE0ELb0ELb0ES3_N6thrust23THRUST_200600_302600_NS6detail15normal_iteratorINS9_10device_ptrIiEEEENS9_16discard_iteratorINS9_11use_defaultEEEi11max_functorIiEiEEDaPvRmT3_T4_T5_mT6_P12ihipStream_tbENKUlT_T0_E_clISt17integral_constantIbLb1EESX_EEDaSS_ST_EUlSS_E_NS1_11comp_targetILNS1_3genE3ELNS1_11target_archE908ELNS1_3gpuE7ELNS1_3repE0EEENS1_30default_config_static_selectorELNS0_4arch9wavefront6targetE1EEEvT1_
		.amdhsa_group_segment_fixed_size 0
		.amdhsa_private_segment_fixed_size 0
		.amdhsa_kernarg_size 104
		.amdhsa_user_sgpr_count 6
		.amdhsa_user_sgpr_private_segment_buffer 1
		.amdhsa_user_sgpr_dispatch_ptr 0
		.amdhsa_user_sgpr_queue_ptr 0
		.amdhsa_user_sgpr_kernarg_segment_ptr 1
		.amdhsa_user_sgpr_dispatch_id 0
		.amdhsa_user_sgpr_flat_scratch_init 0
		.amdhsa_user_sgpr_kernarg_preload_length 0
		.amdhsa_user_sgpr_kernarg_preload_offset 0
		.amdhsa_user_sgpr_private_segment_size 0
		.amdhsa_uses_dynamic_stack 0
		.amdhsa_system_sgpr_private_segment_wavefront_offset 0
		.amdhsa_system_sgpr_workgroup_id_x 1
		.amdhsa_system_sgpr_workgroup_id_y 0
		.amdhsa_system_sgpr_workgroup_id_z 0
		.amdhsa_system_sgpr_workgroup_info 0
		.amdhsa_system_vgpr_workitem_id 0
		.amdhsa_next_free_vgpr 1
		.amdhsa_next_free_sgpr 0
		.amdhsa_accum_offset 4
		.amdhsa_reserve_vcc 0
		.amdhsa_reserve_flat_scratch 0
		.amdhsa_float_round_mode_32 0
		.amdhsa_float_round_mode_16_64 0
		.amdhsa_float_denorm_mode_32 3
		.amdhsa_float_denorm_mode_16_64 3
		.amdhsa_dx10_clamp 1
		.amdhsa_ieee_mode 1
		.amdhsa_fp16_overflow 0
		.amdhsa_tg_split 0
		.amdhsa_exception_fp_ieee_invalid_op 0
		.amdhsa_exception_fp_denorm_src 0
		.amdhsa_exception_fp_ieee_div_zero 0
		.amdhsa_exception_fp_ieee_overflow 0
		.amdhsa_exception_fp_ieee_underflow 0
		.amdhsa_exception_fp_ieee_inexact 0
		.amdhsa_exception_int_div_zero 0
	.end_amdhsa_kernel
	.section	.text._ZN7rocprim17ROCPRIM_400000_NS6detail17trampoline_kernelINS0_14default_configENS1_20scan_config_selectorIiEEZZNS1_9scan_implILNS1_25lookback_scan_determinismE0ELb0ELb0ES3_N6thrust23THRUST_200600_302600_NS6detail15normal_iteratorINS9_10device_ptrIiEEEENS9_16discard_iteratorINS9_11use_defaultEEEi11max_functorIiEiEEDaPvRmT3_T4_T5_mT6_P12ihipStream_tbENKUlT_T0_E_clISt17integral_constantIbLb1EESX_EEDaSS_ST_EUlSS_E_NS1_11comp_targetILNS1_3genE3ELNS1_11target_archE908ELNS1_3gpuE7ELNS1_3repE0EEENS1_30default_config_static_selectorELNS0_4arch9wavefront6targetE1EEEvT1_,"axG",@progbits,_ZN7rocprim17ROCPRIM_400000_NS6detail17trampoline_kernelINS0_14default_configENS1_20scan_config_selectorIiEEZZNS1_9scan_implILNS1_25lookback_scan_determinismE0ELb0ELb0ES3_N6thrust23THRUST_200600_302600_NS6detail15normal_iteratorINS9_10device_ptrIiEEEENS9_16discard_iteratorINS9_11use_defaultEEEi11max_functorIiEiEEDaPvRmT3_T4_T5_mT6_P12ihipStream_tbENKUlT_T0_E_clISt17integral_constantIbLb1EESX_EEDaSS_ST_EUlSS_E_NS1_11comp_targetILNS1_3genE3ELNS1_11target_archE908ELNS1_3gpuE7ELNS1_3repE0EEENS1_30default_config_static_selectorELNS0_4arch9wavefront6targetE1EEEvT1_,comdat
.Lfunc_end3875:
	.size	_ZN7rocprim17ROCPRIM_400000_NS6detail17trampoline_kernelINS0_14default_configENS1_20scan_config_selectorIiEEZZNS1_9scan_implILNS1_25lookback_scan_determinismE0ELb0ELb0ES3_N6thrust23THRUST_200600_302600_NS6detail15normal_iteratorINS9_10device_ptrIiEEEENS9_16discard_iteratorINS9_11use_defaultEEEi11max_functorIiEiEEDaPvRmT3_T4_T5_mT6_P12ihipStream_tbENKUlT_T0_E_clISt17integral_constantIbLb1EESX_EEDaSS_ST_EUlSS_E_NS1_11comp_targetILNS1_3genE3ELNS1_11target_archE908ELNS1_3gpuE7ELNS1_3repE0EEENS1_30default_config_static_selectorELNS0_4arch9wavefront6targetE1EEEvT1_, .Lfunc_end3875-_ZN7rocprim17ROCPRIM_400000_NS6detail17trampoline_kernelINS0_14default_configENS1_20scan_config_selectorIiEEZZNS1_9scan_implILNS1_25lookback_scan_determinismE0ELb0ELb0ES3_N6thrust23THRUST_200600_302600_NS6detail15normal_iteratorINS9_10device_ptrIiEEEENS9_16discard_iteratorINS9_11use_defaultEEEi11max_functorIiEiEEDaPvRmT3_T4_T5_mT6_P12ihipStream_tbENKUlT_T0_E_clISt17integral_constantIbLb1EESX_EEDaSS_ST_EUlSS_E_NS1_11comp_targetILNS1_3genE3ELNS1_11target_archE908ELNS1_3gpuE7ELNS1_3repE0EEENS1_30default_config_static_selectorELNS0_4arch9wavefront6targetE1EEEvT1_
                                        ; -- End function
	.section	.AMDGPU.csdata,"",@progbits
; Kernel info:
; codeLenInByte = 0
; NumSgprs: 4
; NumVgprs: 0
; NumAgprs: 0
; TotalNumVgprs: 0
; ScratchSize: 0
; MemoryBound: 0
; FloatMode: 240
; IeeeMode: 1
; LDSByteSize: 0 bytes/workgroup (compile time only)
; SGPRBlocks: 0
; VGPRBlocks: 0
; NumSGPRsForWavesPerEU: 4
; NumVGPRsForWavesPerEU: 1
; AccumOffset: 4
; Occupancy: 8
; WaveLimiterHint : 0
; COMPUTE_PGM_RSRC2:SCRATCH_EN: 0
; COMPUTE_PGM_RSRC2:USER_SGPR: 6
; COMPUTE_PGM_RSRC2:TRAP_HANDLER: 0
; COMPUTE_PGM_RSRC2:TGID_X_EN: 1
; COMPUTE_PGM_RSRC2:TGID_Y_EN: 0
; COMPUTE_PGM_RSRC2:TGID_Z_EN: 0
; COMPUTE_PGM_RSRC2:TIDIG_COMP_CNT: 0
; COMPUTE_PGM_RSRC3_GFX90A:ACCUM_OFFSET: 0
; COMPUTE_PGM_RSRC3_GFX90A:TG_SPLIT: 0
	.section	.text._ZN7rocprim17ROCPRIM_400000_NS6detail17trampoline_kernelINS0_14default_configENS1_20scan_config_selectorIiEEZZNS1_9scan_implILNS1_25lookback_scan_determinismE0ELb0ELb0ES3_N6thrust23THRUST_200600_302600_NS6detail15normal_iteratorINS9_10device_ptrIiEEEENS9_16discard_iteratorINS9_11use_defaultEEEi11max_functorIiEiEEDaPvRmT3_T4_T5_mT6_P12ihipStream_tbENKUlT_T0_E_clISt17integral_constantIbLb1EESX_EEDaSS_ST_EUlSS_E_NS1_11comp_targetILNS1_3genE2ELNS1_11target_archE906ELNS1_3gpuE6ELNS1_3repE0EEENS1_30default_config_static_selectorELNS0_4arch9wavefront6targetE1EEEvT1_,"axG",@progbits,_ZN7rocprim17ROCPRIM_400000_NS6detail17trampoline_kernelINS0_14default_configENS1_20scan_config_selectorIiEEZZNS1_9scan_implILNS1_25lookback_scan_determinismE0ELb0ELb0ES3_N6thrust23THRUST_200600_302600_NS6detail15normal_iteratorINS9_10device_ptrIiEEEENS9_16discard_iteratorINS9_11use_defaultEEEi11max_functorIiEiEEDaPvRmT3_T4_T5_mT6_P12ihipStream_tbENKUlT_T0_E_clISt17integral_constantIbLb1EESX_EEDaSS_ST_EUlSS_E_NS1_11comp_targetILNS1_3genE2ELNS1_11target_archE906ELNS1_3gpuE6ELNS1_3repE0EEENS1_30default_config_static_selectorELNS0_4arch9wavefront6targetE1EEEvT1_,comdat
	.protected	_ZN7rocprim17ROCPRIM_400000_NS6detail17trampoline_kernelINS0_14default_configENS1_20scan_config_selectorIiEEZZNS1_9scan_implILNS1_25lookback_scan_determinismE0ELb0ELb0ES3_N6thrust23THRUST_200600_302600_NS6detail15normal_iteratorINS9_10device_ptrIiEEEENS9_16discard_iteratorINS9_11use_defaultEEEi11max_functorIiEiEEDaPvRmT3_T4_T5_mT6_P12ihipStream_tbENKUlT_T0_E_clISt17integral_constantIbLb1EESX_EEDaSS_ST_EUlSS_E_NS1_11comp_targetILNS1_3genE2ELNS1_11target_archE906ELNS1_3gpuE6ELNS1_3repE0EEENS1_30default_config_static_selectorELNS0_4arch9wavefront6targetE1EEEvT1_ ; -- Begin function _ZN7rocprim17ROCPRIM_400000_NS6detail17trampoline_kernelINS0_14default_configENS1_20scan_config_selectorIiEEZZNS1_9scan_implILNS1_25lookback_scan_determinismE0ELb0ELb0ES3_N6thrust23THRUST_200600_302600_NS6detail15normal_iteratorINS9_10device_ptrIiEEEENS9_16discard_iteratorINS9_11use_defaultEEEi11max_functorIiEiEEDaPvRmT3_T4_T5_mT6_P12ihipStream_tbENKUlT_T0_E_clISt17integral_constantIbLb1EESX_EEDaSS_ST_EUlSS_E_NS1_11comp_targetILNS1_3genE2ELNS1_11target_archE906ELNS1_3gpuE6ELNS1_3repE0EEENS1_30default_config_static_selectorELNS0_4arch9wavefront6targetE1EEEvT1_
	.globl	_ZN7rocprim17ROCPRIM_400000_NS6detail17trampoline_kernelINS0_14default_configENS1_20scan_config_selectorIiEEZZNS1_9scan_implILNS1_25lookback_scan_determinismE0ELb0ELb0ES3_N6thrust23THRUST_200600_302600_NS6detail15normal_iteratorINS9_10device_ptrIiEEEENS9_16discard_iteratorINS9_11use_defaultEEEi11max_functorIiEiEEDaPvRmT3_T4_T5_mT6_P12ihipStream_tbENKUlT_T0_E_clISt17integral_constantIbLb1EESX_EEDaSS_ST_EUlSS_E_NS1_11comp_targetILNS1_3genE2ELNS1_11target_archE906ELNS1_3gpuE6ELNS1_3repE0EEENS1_30default_config_static_selectorELNS0_4arch9wavefront6targetE1EEEvT1_
	.p2align	8
	.type	_ZN7rocprim17ROCPRIM_400000_NS6detail17trampoline_kernelINS0_14default_configENS1_20scan_config_selectorIiEEZZNS1_9scan_implILNS1_25lookback_scan_determinismE0ELb0ELb0ES3_N6thrust23THRUST_200600_302600_NS6detail15normal_iteratorINS9_10device_ptrIiEEEENS9_16discard_iteratorINS9_11use_defaultEEEi11max_functorIiEiEEDaPvRmT3_T4_T5_mT6_P12ihipStream_tbENKUlT_T0_E_clISt17integral_constantIbLb1EESX_EEDaSS_ST_EUlSS_E_NS1_11comp_targetILNS1_3genE2ELNS1_11target_archE906ELNS1_3gpuE6ELNS1_3repE0EEENS1_30default_config_static_selectorELNS0_4arch9wavefront6targetE1EEEvT1_,@function
_ZN7rocprim17ROCPRIM_400000_NS6detail17trampoline_kernelINS0_14default_configENS1_20scan_config_selectorIiEEZZNS1_9scan_implILNS1_25lookback_scan_determinismE0ELb0ELb0ES3_N6thrust23THRUST_200600_302600_NS6detail15normal_iteratorINS9_10device_ptrIiEEEENS9_16discard_iteratorINS9_11use_defaultEEEi11max_functorIiEiEEDaPvRmT3_T4_T5_mT6_P12ihipStream_tbENKUlT_T0_E_clISt17integral_constantIbLb1EESX_EEDaSS_ST_EUlSS_E_NS1_11comp_targetILNS1_3genE2ELNS1_11target_archE906ELNS1_3gpuE6ELNS1_3repE0EEENS1_30default_config_static_selectorELNS0_4arch9wavefront6targetE1EEEvT1_: ; @_ZN7rocprim17ROCPRIM_400000_NS6detail17trampoline_kernelINS0_14default_configENS1_20scan_config_selectorIiEEZZNS1_9scan_implILNS1_25lookback_scan_determinismE0ELb0ELb0ES3_N6thrust23THRUST_200600_302600_NS6detail15normal_iteratorINS9_10device_ptrIiEEEENS9_16discard_iteratorINS9_11use_defaultEEEi11max_functorIiEiEEDaPvRmT3_T4_T5_mT6_P12ihipStream_tbENKUlT_T0_E_clISt17integral_constantIbLb1EESX_EEDaSS_ST_EUlSS_E_NS1_11comp_targetILNS1_3genE2ELNS1_11target_archE906ELNS1_3gpuE6ELNS1_3repE0EEENS1_30default_config_static_selectorELNS0_4arch9wavefront6targetE1EEEvT1_
; %bb.0:
	.section	.rodata,"a",@progbits
	.p2align	6, 0x0
	.amdhsa_kernel _ZN7rocprim17ROCPRIM_400000_NS6detail17trampoline_kernelINS0_14default_configENS1_20scan_config_selectorIiEEZZNS1_9scan_implILNS1_25lookback_scan_determinismE0ELb0ELb0ES3_N6thrust23THRUST_200600_302600_NS6detail15normal_iteratorINS9_10device_ptrIiEEEENS9_16discard_iteratorINS9_11use_defaultEEEi11max_functorIiEiEEDaPvRmT3_T4_T5_mT6_P12ihipStream_tbENKUlT_T0_E_clISt17integral_constantIbLb1EESX_EEDaSS_ST_EUlSS_E_NS1_11comp_targetILNS1_3genE2ELNS1_11target_archE906ELNS1_3gpuE6ELNS1_3repE0EEENS1_30default_config_static_selectorELNS0_4arch9wavefront6targetE1EEEvT1_
		.amdhsa_group_segment_fixed_size 0
		.amdhsa_private_segment_fixed_size 0
		.amdhsa_kernarg_size 104
		.amdhsa_user_sgpr_count 6
		.amdhsa_user_sgpr_private_segment_buffer 1
		.amdhsa_user_sgpr_dispatch_ptr 0
		.amdhsa_user_sgpr_queue_ptr 0
		.amdhsa_user_sgpr_kernarg_segment_ptr 1
		.amdhsa_user_sgpr_dispatch_id 0
		.amdhsa_user_sgpr_flat_scratch_init 0
		.amdhsa_user_sgpr_kernarg_preload_length 0
		.amdhsa_user_sgpr_kernarg_preload_offset 0
		.amdhsa_user_sgpr_private_segment_size 0
		.amdhsa_uses_dynamic_stack 0
		.amdhsa_system_sgpr_private_segment_wavefront_offset 0
		.amdhsa_system_sgpr_workgroup_id_x 1
		.amdhsa_system_sgpr_workgroup_id_y 0
		.amdhsa_system_sgpr_workgroup_id_z 0
		.amdhsa_system_sgpr_workgroup_info 0
		.amdhsa_system_vgpr_workitem_id 0
		.amdhsa_next_free_vgpr 1
		.amdhsa_next_free_sgpr 0
		.amdhsa_accum_offset 4
		.amdhsa_reserve_vcc 0
		.amdhsa_reserve_flat_scratch 0
		.amdhsa_float_round_mode_32 0
		.amdhsa_float_round_mode_16_64 0
		.amdhsa_float_denorm_mode_32 3
		.amdhsa_float_denorm_mode_16_64 3
		.amdhsa_dx10_clamp 1
		.amdhsa_ieee_mode 1
		.amdhsa_fp16_overflow 0
		.amdhsa_tg_split 0
		.amdhsa_exception_fp_ieee_invalid_op 0
		.amdhsa_exception_fp_denorm_src 0
		.amdhsa_exception_fp_ieee_div_zero 0
		.amdhsa_exception_fp_ieee_overflow 0
		.amdhsa_exception_fp_ieee_underflow 0
		.amdhsa_exception_fp_ieee_inexact 0
		.amdhsa_exception_int_div_zero 0
	.end_amdhsa_kernel
	.section	.text._ZN7rocprim17ROCPRIM_400000_NS6detail17trampoline_kernelINS0_14default_configENS1_20scan_config_selectorIiEEZZNS1_9scan_implILNS1_25lookback_scan_determinismE0ELb0ELb0ES3_N6thrust23THRUST_200600_302600_NS6detail15normal_iteratorINS9_10device_ptrIiEEEENS9_16discard_iteratorINS9_11use_defaultEEEi11max_functorIiEiEEDaPvRmT3_T4_T5_mT6_P12ihipStream_tbENKUlT_T0_E_clISt17integral_constantIbLb1EESX_EEDaSS_ST_EUlSS_E_NS1_11comp_targetILNS1_3genE2ELNS1_11target_archE906ELNS1_3gpuE6ELNS1_3repE0EEENS1_30default_config_static_selectorELNS0_4arch9wavefront6targetE1EEEvT1_,"axG",@progbits,_ZN7rocprim17ROCPRIM_400000_NS6detail17trampoline_kernelINS0_14default_configENS1_20scan_config_selectorIiEEZZNS1_9scan_implILNS1_25lookback_scan_determinismE0ELb0ELb0ES3_N6thrust23THRUST_200600_302600_NS6detail15normal_iteratorINS9_10device_ptrIiEEEENS9_16discard_iteratorINS9_11use_defaultEEEi11max_functorIiEiEEDaPvRmT3_T4_T5_mT6_P12ihipStream_tbENKUlT_T0_E_clISt17integral_constantIbLb1EESX_EEDaSS_ST_EUlSS_E_NS1_11comp_targetILNS1_3genE2ELNS1_11target_archE906ELNS1_3gpuE6ELNS1_3repE0EEENS1_30default_config_static_selectorELNS0_4arch9wavefront6targetE1EEEvT1_,comdat
.Lfunc_end3876:
	.size	_ZN7rocprim17ROCPRIM_400000_NS6detail17trampoline_kernelINS0_14default_configENS1_20scan_config_selectorIiEEZZNS1_9scan_implILNS1_25lookback_scan_determinismE0ELb0ELb0ES3_N6thrust23THRUST_200600_302600_NS6detail15normal_iteratorINS9_10device_ptrIiEEEENS9_16discard_iteratorINS9_11use_defaultEEEi11max_functorIiEiEEDaPvRmT3_T4_T5_mT6_P12ihipStream_tbENKUlT_T0_E_clISt17integral_constantIbLb1EESX_EEDaSS_ST_EUlSS_E_NS1_11comp_targetILNS1_3genE2ELNS1_11target_archE906ELNS1_3gpuE6ELNS1_3repE0EEENS1_30default_config_static_selectorELNS0_4arch9wavefront6targetE1EEEvT1_, .Lfunc_end3876-_ZN7rocprim17ROCPRIM_400000_NS6detail17trampoline_kernelINS0_14default_configENS1_20scan_config_selectorIiEEZZNS1_9scan_implILNS1_25lookback_scan_determinismE0ELb0ELb0ES3_N6thrust23THRUST_200600_302600_NS6detail15normal_iteratorINS9_10device_ptrIiEEEENS9_16discard_iteratorINS9_11use_defaultEEEi11max_functorIiEiEEDaPvRmT3_T4_T5_mT6_P12ihipStream_tbENKUlT_T0_E_clISt17integral_constantIbLb1EESX_EEDaSS_ST_EUlSS_E_NS1_11comp_targetILNS1_3genE2ELNS1_11target_archE906ELNS1_3gpuE6ELNS1_3repE0EEENS1_30default_config_static_selectorELNS0_4arch9wavefront6targetE1EEEvT1_
                                        ; -- End function
	.section	.AMDGPU.csdata,"",@progbits
; Kernel info:
; codeLenInByte = 0
; NumSgprs: 4
; NumVgprs: 0
; NumAgprs: 0
; TotalNumVgprs: 0
; ScratchSize: 0
; MemoryBound: 0
; FloatMode: 240
; IeeeMode: 1
; LDSByteSize: 0 bytes/workgroup (compile time only)
; SGPRBlocks: 0
; VGPRBlocks: 0
; NumSGPRsForWavesPerEU: 4
; NumVGPRsForWavesPerEU: 1
; AccumOffset: 4
; Occupancy: 8
; WaveLimiterHint : 0
; COMPUTE_PGM_RSRC2:SCRATCH_EN: 0
; COMPUTE_PGM_RSRC2:USER_SGPR: 6
; COMPUTE_PGM_RSRC2:TRAP_HANDLER: 0
; COMPUTE_PGM_RSRC2:TGID_X_EN: 1
; COMPUTE_PGM_RSRC2:TGID_Y_EN: 0
; COMPUTE_PGM_RSRC2:TGID_Z_EN: 0
; COMPUTE_PGM_RSRC2:TIDIG_COMP_CNT: 0
; COMPUTE_PGM_RSRC3_GFX90A:ACCUM_OFFSET: 0
; COMPUTE_PGM_RSRC3_GFX90A:TG_SPLIT: 0
	.section	.text._ZN7rocprim17ROCPRIM_400000_NS6detail17trampoline_kernelINS0_14default_configENS1_20scan_config_selectorIiEEZZNS1_9scan_implILNS1_25lookback_scan_determinismE0ELb0ELb0ES3_N6thrust23THRUST_200600_302600_NS6detail15normal_iteratorINS9_10device_ptrIiEEEENS9_16discard_iteratorINS9_11use_defaultEEEi11max_functorIiEiEEDaPvRmT3_T4_T5_mT6_P12ihipStream_tbENKUlT_T0_E_clISt17integral_constantIbLb1EESX_EEDaSS_ST_EUlSS_E_NS1_11comp_targetILNS1_3genE10ELNS1_11target_archE1201ELNS1_3gpuE5ELNS1_3repE0EEENS1_30default_config_static_selectorELNS0_4arch9wavefront6targetE1EEEvT1_,"axG",@progbits,_ZN7rocprim17ROCPRIM_400000_NS6detail17trampoline_kernelINS0_14default_configENS1_20scan_config_selectorIiEEZZNS1_9scan_implILNS1_25lookback_scan_determinismE0ELb0ELb0ES3_N6thrust23THRUST_200600_302600_NS6detail15normal_iteratorINS9_10device_ptrIiEEEENS9_16discard_iteratorINS9_11use_defaultEEEi11max_functorIiEiEEDaPvRmT3_T4_T5_mT6_P12ihipStream_tbENKUlT_T0_E_clISt17integral_constantIbLb1EESX_EEDaSS_ST_EUlSS_E_NS1_11comp_targetILNS1_3genE10ELNS1_11target_archE1201ELNS1_3gpuE5ELNS1_3repE0EEENS1_30default_config_static_selectorELNS0_4arch9wavefront6targetE1EEEvT1_,comdat
	.protected	_ZN7rocprim17ROCPRIM_400000_NS6detail17trampoline_kernelINS0_14default_configENS1_20scan_config_selectorIiEEZZNS1_9scan_implILNS1_25lookback_scan_determinismE0ELb0ELb0ES3_N6thrust23THRUST_200600_302600_NS6detail15normal_iteratorINS9_10device_ptrIiEEEENS9_16discard_iteratorINS9_11use_defaultEEEi11max_functorIiEiEEDaPvRmT3_T4_T5_mT6_P12ihipStream_tbENKUlT_T0_E_clISt17integral_constantIbLb1EESX_EEDaSS_ST_EUlSS_E_NS1_11comp_targetILNS1_3genE10ELNS1_11target_archE1201ELNS1_3gpuE5ELNS1_3repE0EEENS1_30default_config_static_selectorELNS0_4arch9wavefront6targetE1EEEvT1_ ; -- Begin function _ZN7rocprim17ROCPRIM_400000_NS6detail17trampoline_kernelINS0_14default_configENS1_20scan_config_selectorIiEEZZNS1_9scan_implILNS1_25lookback_scan_determinismE0ELb0ELb0ES3_N6thrust23THRUST_200600_302600_NS6detail15normal_iteratorINS9_10device_ptrIiEEEENS9_16discard_iteratorINS9_11use_defaultEEEi11max_functorIiEiEEDaPvRmT3_T4_T5_mT6_P12ihipStream_tbENKUlT_T0_E_clISt17integral_constantIbLb1EESX_EEDaSS_ST_EUlSS_E_NS1_11comp_targetILNS1_3genE10ELNS1_11target_archE1201ELNS1_3gpuE5ELNS1_3repE0EEENS1_30default_config_static_selectorELNS0_4arch9wavefront6targetE1EEEvT1_
	.globl	_ZN7rocprim17ROCPRIM_400000_NS6detail17trampoline_kernelINS0_14default_configENS1_20scan_config_selectorIiEEZZNS1_9scan_implILNS1_25lookback_scan_determinismE0ELb0ELb0ES3_N6thrust23THRUST_200600_302600_NS6detail15normal_iteratorINS9_10device_ptrIiEEEENS9_16discard_iteratorINS9_11use_defaultEEEi11max_functorIiEiEEDaPvRmT3_T4_T5_mT6_P12ihipStream_tbENKUlT_T0_E_clISt17integral_constantIbLb1EESX_EEDaSS_ST_EUlSS_E_NS1_11comp_targetILNS1_3genE10ELNS1_11target_archE1201ELNS1_3gpuE5ELNS1_3repE0EEENS1_30default_config_static_selectorELNS0_4arch9wavefront6targetE1EEEvT1_
	.p2align	8
	.type	_ZN7rocprim17ROCPRIM_400000_NS6detail17trampoline_kernelINS0_14default_configENS1_20scan_config_selectorIiEEZZNS1_9scan_implILNS1_25lookback_scan_determinismE0ELb0ELb0ES3_N6thrust23THRUST_200600_302600_NS6detail15normal_iteratorINS9_10device_ptrIiEEEENS9_16discard_iteratorINS9_11use_defaultEEEi11max_functorIiEiEEDaPvRmT3_T4_T5_mT6_P12ihipStream_tbENKUlT_T0_E_clISt17integral_constantIbLb1EESX_EEDaSS_ST_EUlSS_E_NS1_11comp_targetILNS1_3genE10ELNS1_11target_archE1201ELNS1_3gpuE5ELNS1_3repE0EEENS1_30default_config_static_selectorELNS0_4arch9wavefront6targetE1EEEvT1_,@function
_ZN7rocprim17ROCPRIM_400000_NS6detail17trampoline_kernelINS0_14default_configENS1_20scan_config_selectorIiEEZZNS1_9scan_implILNS1_25lookback_scan_determinismE0ELb0ELb0ES3_N6thrust23THRUST_200600_302600_NS6detail15normal_iteratorINS9_10device_ptrIiEEEENS9_16discard_iteratorINS9_11use_defaultEEEi11max_functorIiEiEEDaPvRmT3_T4_T5_mT6_P12ihipStream_tbENKUlT_T0_E_clISt17integral_constantIbLb1EESX_EEDaSS_ST_EUlSS_E_NS1_11comp_targetILNS1_3genE10ELNS1_11target_archE1201ELNS1_3gpuE5ELNS1_3repE0EEENS1_30default_config_static_selectorELNS0_4arch9wavefront6targetE1EEEvT1_: ; @_ZN7rocprim17ROCPRIM_400000_NS6detail17trampoline_kernelINS0_14default_configENS1_20scan_config_selectorIiEEZZNS1_9scan_implILNS1_25lookback_scan_determinismE0ELb0ELb0ES3_N6thrust23THRUST_200600_302600_NS6detail15normal_iteratorINS9_10device_ptrIiEEEENS9_16discard_iteratorINS9_11use_defaultEEEi11max_functorIiEiEEDaPvRmT3_T4_T5_mT6_P12ihipStream_tbENKUlT_T0_E_clISt17integral_constantIbLb1EESX_EEDaSS_ST_EUlSS_E_NS1_11comp_targetILNS1_3genE10ELNS1_11target_archE1201ELNS1_3gpuE5ELNS1_3repE0EEENS1_30default_config_static_selectorELNS0_4arch9wavefront6targetE1EEEvT1_
; %bb.0:
	.section	.rodata,"a",@progbits
	.p2align	6, 0x0
	.amdhsa_kernel _ZN7rocprim17ROCPRIM_400000_NS6detail17trampoline_kernelINS0_14default_configENS1_20scan_config_selectorIiEEZZNS1_9scan_implILNS1_25lookback_scan_determinismE0ELb0ELb0ES3_N6thrust23THRUST_200600_302600_NS6detail15normal_iteratorINS9_10device_ptrIiEEEENS9_16discard_iteratorINS9_11use_defaultEEEi11max_functorIiEiEEDaPvRmT3_T4_T5_mT6_P12ihipStream_tbENKUlT_T0_E_clISt17integral_constantIbLb1EESX_EEDaSS_ST_EUlSS_E_NS1_11comp_targetILNS1_3genE10ELNS1_11target_archE1201ELNS1_3gpuE5ELNS1_3repE0EEENS1_30default_config_static_selectorELNS0_4arch9wavefront6targetE1EEEvT1_
		.amdhsa_group_segment_fixed_size 0
		.amdhsa_private_segment_fixed_size 0
		.amdhsa_kernarg_size 104
		.amdhsa_user_sgpr_count 6
		.amdhsa_user_sgpr_private_segment_buffer 1
		.amdhsa_user_sgpr_dispatch_ptr 0
		.amdhsa_user_sgpr_queue_ptr 0
		.amdhsa_user_sgpr_kernarg_segment_ptr 1
		.amdhsa_user_sgpr_dispatch_id 0
		.amdhsa_user_sgpr_flat_scratch_init 0
		.amdhsa_user_sgpr_kernarg_preload_length 0
		.amdhsa_user_sgpr_kernarg_preload_offset 0
		.amdhsa_user_sgpr_private_segment_size 0
		.amdhsa_uses_dynamic_stack 0
		.amdhsa_system_sgpr_private_segment_wavefront_offset 0
		.amdhsa_system_sgpr_workgroup_id_x 1
		.amdhsa_system_sgpr_workgroup_id_y 0
		.amdhsa_system_sgpr_workgroup_id_z 0
		.amdhsa_system_sgpr_workgroup_info 0
		.amdhsa_system_vgpr_workitem_id 0
		.amdhsa_next_free_vgpr 1
		.amdhsa_next_free_sgpr 0
		.amdhsa_accum_offset 4
		.amdhsa_reserve_vcc 0
		.amdhsa_reserve_flat_scratch 0
		.amdhsa_float_round_mode_32 0
		.amdhsa_float_round_mode_16_64 0
		.amdhsa_float_denorm_mode_32 3
		.amdhsa_float_denorm_mode_16_64 3
		.amdhsa_dx10_clamp 1
		.amdhsa_ieee_mode 1
		.amdhsa_fp16_overflow 0
		.amdhsa_tg_split 0
		.amdhsa_exception_fp_ieee_invalid_op 0
		.amdhsa_exception_fp_denorm_src 0
		.amdhsa_exception_fp_ieee_div_zero 0
		.amdhsa_exception_fp_ieee_overflow 0
		.amdhsa_exception_fp_ieee_underflow 0
		.amdhsa_exception_fp_ieee_inexact 0
		.amdhsa_exception_int_div_zero 0
	.end_amdhsa_kernel
	.section	.text._ZN7rocprim17ROCPRIM_400000_NS6detail17trampoline_kernelINS0_14default_configENS1_20scan_config_selectorIiEEZZNS1_9scan_implILNS1_25lookback_scan_determinismE0ELb0ELb0ES3_N6thrust23THRUST_200600_302600_NS6detail15normal_iteratorINS9_10device_ptrIiEEEENS9_16discard_iteratorINS9_11use_defaultEEEi11max_functorIiEiEEDaPvRmT3_T4_T5_mT6_P12ihipStream_tbENKUlT_T0_E_clISt17integral_constantIbLb1EESX_EEDaSS_ST_EUlSS_E_NS1_11comp_targetILNS1_3genE10ELNS1_11target_archE1201ELNS1_3gpuE5ELNS1_3repE0EEENS1_30default_config_static_selectorELNS0_4arch9wavefront6targetE1EEEvT1_,"axG",@progbits,_ZN7rocprim17ROCPRIM_400000_NS6detail17trampoline_kernelINS0_14default_configENS1_20scan_config_selectorIiEEZZNS1_9scan_implILNS1_25lookback_scan_determinismE0ELb0ELb0ES3_N6thrust23THRUST_200600_302600_NS6detail15normal_iteratorINS9_10device_ptrIiEEEENS9_16discard_iteratorINS9_11use_defaultEEEi11max_functorIiEiEEDaPvRmT3_T4_T5_mT6_P12ihipStream_tbENKUlT_T0_E_clISt17integral_constantIbLb1EESX_EEDaSS_ST_EUlSS_E_NS1_11comp_targetILNS1_3genE10ELNS1_11target_archE1201ELNS1_3gpuE5ELNS1_3repE0EEENS1_30default_config_static_selectorELNS0_4arch9wavefront6targetE1EEEvT1_,comdat
.Lfunc_end3877:
	.size	_ZN7rocprim17ROCPRIM_400000_NS6detail17trampoline_kernelINS0_14default_configENS1_20scan_config_selectorIiEEZZNS1_9scan_implILNS1_25lookback_scan_determinismE0ELb0ELb0ES3_N6thrust23THRUST_200600_302600_NS6detail15normal_iteratorINS9_10device_ptrIiEEEENS9_16discard_iteratorINS9_11use_defaultEEEi11max_functorIiEiEEDaPvRmT3_T4_T5_mT6_P12ihipStream_tbENKUlT_T0_E_clISt17integral_constantIbLb1EESX_EEDaSS_ST_EUlSS_E_NS1_11comp_targetILNS1_3genE10ELNS1_11target_archE1201ELNS1_3gpuE5ELNS1_3repE0EEENS1_30default_config_static_selectorELNS0_4arch9wavefront6targetE1EEEvT1_, .Lfunc_end3877-_ZN7rocprim17ROCPRIM_400000_NS6detail17trampoline_kernelINS0_14default_configENS1_20scan_config_selectorIiEEZZNS1_9scan_implILNS1_25lookback_scan_determinismE0ELb0ELb0ES3_N6thrust23THRUST_200600_302600_NS6detail15normal_iteratorINS9_10device_ptrIiEEEENS9_16discard_iteratorINS9_11use_defaultEEEi11max_functorIiEiEEDaPvRmT3_T4_T5_mT6_P12ihipStream_tbENKUlT_T0_E_clISt17integral_constantIbLb1EESX_EEDaSS_ST_EUlSS_E_NS1_11comp_targetILNS1_3genE10ELNS1_11target_archE1201ELNS1_3gpuE5ELNS1_3repE0EEENS1_30default_config_static_selectorELNS0_4arch9wavefront6targetE1EEEvT1_
                                        ; -- End function
	.section	.AMDGPU.csdata,"",@progbits
; Kernel info:
; codeLenInByte = 0
; NumSgprs: 4
; NumVgprs: 0
; NumAgprs: 0
; TotalNumVgprs: 0
; ScratchSize: 0
; MemoryBound: 0
; FloatMode: 240
; IeeeMode: 1
; LDSByteSize: 0 bytes/workgroup (compile time only)
; SGPRBlocks: 0
; VGPRBlocks: 0
; NumSGPRsForWavesPerEU: 4
; NumVGPRsForWavesPerEU: 1
; AccumOffset: 4
; Occupancy: 8
; WaveLimiterHint : 0
; COMPUTE_PGM_RSRC2:SCRATCH_EN: 0
; COMPUTE_PGM_RSRC2:USER_SGPR: 6
; COMPUTE_PGM_RSRC2:TRAP_HANDLER: 0
; COMPUTE_PGM_RSRC2:TGID_X_EN: 1
; COMPUTE_PGM_RSRC2:TGID_Y_EN: 0
; COMPUTE_PGM_RSRC2:TGID_Z_EN: 0
; COMPUTE_PGM_RSRC2:TIDIG_COMP_CNT: 0
; COMPUTE_PGM_RSRC3_GFX90A:ACCUM_OFFSET: 0
; COMPUTE_PGM_RSRC3_GFX90A:TG_SPLIT: 0
	.section	.text._ZN7rocprim17ROCPRIM_400000_NS6detail17trampoline_kernelINS0_14default_configENS1_20scan_config_selectorIiEEZZNS1_9scan_implILNS1_25lookback_scan_determinismE0ELb0ELb0ES3_N6thrust23THRUST_200600_302600_NS6detail15normal_iteratorINS9_10device_ptrIiEEEENS9_16discard_iteratorINS9_11use_defaultEEEi11max_functorIiEiEEDaPvRmT3_T4_T5_mT6_P12ihipStream_tbENKUlT_T0_E_clISt17integral_constantIbLb1EESX_EEDaSS_ST_EUlSS_E_NS1_11comp_targetILNS1_3genE10ELNS1_11target_archE1200ELNS1_3gpuE4ELNS1_3repE0EEENS1_30default_config_static_selectorELNS0_4arch9wavefront6targetE1EEEvT1_,"axG",@progbits,_ZN7rocprim17ROCPRIM_400000_NS6detail17trampoline_kernelINS0_14default_configENS1_20scan_config_selectorIiEEZZNS1_9scan_implILNS1_25lookback_scan_determinismE0ELb0ELb0ES3_N6thrust23THRUST_200600_302600_NS6detail15normal_iteratorINS9_10device_ptrIiEEEENS9_16discard_iteratorINS9_11use_defaultEEEi11max_functorIiEiEEDaPvRmT3_T4_T5_mT6_P12ihipStream_tbENKUlT_T0_E_clISt17integral_constantIbLb1EESX_EEDaSS_ST_EUlSS_E_NS1_11comp_targetILNS1_3genE10ELNS1_11target_archE1200ELNS1_3gpuE4ELNS1_3repE0EEENS1_30default_config_static_selectorELNS0_4arch9wavefront6targetE1EEEvT1_,comdat
	.protected	_ZN7rocprim17ROCPRIM_400000_NS6detail17trampoline_kernelINS0_14default_configENS1_20scan_config_selectorIiEEZZNS1_9scan_implILNS1_25lookback_scan_determinismE0ELb0ELb0ES3_N6thrust23THRUST_200600_302600_NS6detail15normal_iteratorINS9_10device_ptrIiEEEENS9_16discard_iteratorINS9_11use_defaultEEEi11max_functorIiEiEEDaPvRmT3_T4_T5_mT6_P12ihipStream_tbENKUlT_T0_E_clISt17integral_constantIbLb1EESX_EEDaSS_ST_EUlSS_E_NS1_11comp_targetILNS1_3genE10ELNS1_11target_archE1200ELNS1_3gpuE4ELNS1_3repE0EEENS1_30default_config_static_selectorELNS0_4arch9wavefront6targetE1EEEvT1_ ; -- Begin function _ZN7rocprim17ROCPRIM_400000_NS6detail17trampoline_kernelINS0_14default_configENS1_20scan_config_selectorIiEEZZNS1_9scan_implILNS1_25lookback_scan_determinismE0ELb0ELb0ES3_N6thrust23THRUST_200600_302600_NS6detail15normal_iteratorINS9_10device_ptrIiEEEENS9_16discard_iteratorINS9_11use_defaultEEEi11max_functorIiEiEEDaPvRmT3_T4_T5_mT6_P12ihipStream_tbENKUlT_T0_E_clISt17integral_constantIbLb1EESX_EEDaSS_ST_EUlSS_E_NS1_11comp_targetILNS1_3genE10ELNS1_11target_archE1200ELNS1_3gpuE4ELNS1_3repE0EEENS1_30default_config_static_selectorELNS0_4arch9wavefront6targetE1EEEvT1_
	.globl	_ZN7rocprim17ROCPRIM_400000_NS6detail17trampoline_kernelINS0_14default_configENS1_20scan_config_selectorIiEEZZNS1_9scan_implILNS1_25lookback_scan_determinismE0ELb0ELb0ES3_N6thrust23THRUST_200600_302600_NS6detail15normal_iteratorINS9_10device_ptrIiEEEENS9_16discard_iteratorINS9_11use_defaultEEEi11max_functorIiEiEEDaPvRmT3_T4_T5_mT6_P12ihipStream_tbENKUlT_T0_E_clISt17integral_constantIbLb1EESX_EEDaSS_ST_EUlSS_E_NS1_11comp_targetILNS1_3genE10ELNS1_11target_archE1200ELNS1_3gpuE4ELNS1_3repE0EEENS1_30default_config_static_selectorELNS0_4arch9wavefront6targetE1EEEvT1_
	.p2align	8
	.type	_ZN7rocprim17ROCPRIM_400000_NS6detail17trampoline_kernelINS0_14default_configENS1_20scan_config_selectorIiEEZZNS1_9scan_implILNS1_25lookback_scan_determinismE0ELb0ELb0ES3_N6thrust23THRUST_200600_302600_NS6detail15normal_iteratorINS9_10device_ptrIiEEEENS9_16discard_iteratorINS9_11use_defaultEEEi11max_functorIiEiEEDaPvRmT3_T4_T5_mT6_P12ihipStream_tbENKUlT_T0_E_clISt17integral_constantIbLb1EESX_EEDaSS_ST_EUlSS_E_NS1_11comp_targetILNS1_3genE10ELNS1_11target_archE1200ELNS1_3gpuE4ELNS1_3repE0EEENS1_30default_config_static_selectorELNS0_4arch9wavefront6targetE1EEEvT1_,@function
_ZN7rocprim17ROCPRIM_400000_NS6detail17trampoline_kernelINS0_14default_configENS1_20scan_config_selectorIiEEZZNS1_9scan_implILNS1_25lookback_scan_determinismE0ELb0ELb0ES3_N6thrust23THRUST_200600_302600_NS6detail15normal_iteratorINS9_10device_ptrIiEEEENS9_16discard_iteratorINS9_11use_defaultEEEi11max_functorIiEiEEDaPvRmT3_T4_T5_mT6_P12ihipStream_tbENKUlT_T0_E_clISt17integral_constantIbLb1EESX_EEDaSS_ST_EUlSS_E_NS1_11comp_targetILNS1_3genE10ELNS1_11target_archE1200ELNS1_3gpuE4ELNS1_3repE0EEENS1_30default_config_static_selectorELNS0_4arch9wavefront6targetE1EEEvT1_: ; @_ZN7rocprim17ROCPRIM_400000_NS6detail17trampoline_kernelINS0_14default_configENS1_20scan_config_selectorIiEEZZNS1_9scan_implILNS1_25lookback_scan_determinismE0ELb0ELb0ES3_N6thrust23THRUST_200600_302600_NS6detail15normal_iteratorINS9_10device_ptrIiEEEENS9_16discard_iteratorINS9_11use_defaultEEEi11max_functorIiEiEEDaPvRmT3_T4_T5_mT6_P12ihipStream_tbENKUlT_T0_E_clISt17integral_constantIbLb1EESX_EEDaSS_ST_EUlSS_E_NS1_11comp_targetILNS1_3genE10ELNS1_11target_archE1200ELNS1_3gpuE4ELNS1_3repE0EEENS1_30default_config_static_selectorELNS0_4arch9wavefront6targetE1EEEvT1_
; %bb.0:
	.section	.rodata,"a",@progbits
	.p2align	6, 0x0
	.amdhsa_kernel _ZN7rocprim17ROCPRIM_400000_NS6detail17trampoline_kernelINS0_14default_configENS1_20scan_config_selectorIiEEZZNS1_9scan_implILNS1_25lookback_scan_determinismE0ELb0ELb0ES3_N6thrust23THRUST_200600_302600_NS6detail15normal_iteratorINS9_10device_ptrIiEEEENS9_16discard_iteratorINS9_11use_defaultEEEi11max_functorIiEiEEDaPvRmT3_T4_T5_mT6_P12ihipStream_tbENKUlT_T0_E_clISt17integral_constantIbLb1EESX_EEDaSS_ST_EUlSS_E_NS1_11comp_targetILNS1_3genE10ELNS1_11target_archE1200ELNS1_3gpuE4ELNS1_3repE0EEENS1_30default_config_static_selectorELNS0_4arch9wavefront6targetE1EEEvT1_
		.amdhsa_group_segment_fixed_size 0
		.amdhsa_private_segment_fixed_size 0
		.amdhsa_kernarg_size 104
		.amdhsa_user_sgpr_count 6
		.amdhsa_user_sgpr_private_segment_buffer 1
		.amdhsa_user_sgpr_dispatch_ptr 0
		.amdhsa_user_sgpr_queue_ptr 0
		.amdhsa_user_sgpr_kernarg_segment_ptr 1
		.amdhsa_user_sgpr_dispatch_id 0
		.amdhsa_user_sgpr_flat_scratch_init 0
		.amdhsa_user_sgpr_kernarg_preload_length 0
		.amdhsa_user_sgpr_kernarg_preload_offset 0
		.amdhsa_user_sgpr_private_segment_size 0
		.amdhsa_uses_dynamic_stack 0
		.amdhsa_system_sgpr_private_segment_wavefront_offset 0
		.amdhsa_system_sgpr_workgroup_id_x 1
		.amdhsa_system_sgpr_workgroup_id_y 0
		.amdhsa_system_sgpr_workgroup_id_z 0
		.amdhsa_system_sgpr_workgroup_info 0
		.amdhsa_system_vgpr_workitem_id 0
		.amdhsa_next_free_vgpr 1
		.amdhsa_next_free_sgpr 0
		.amdhsa_accum_offset 4
		.amdhsa_reserve_vcc 0
		.amdhsa_reserve_flat_scratch 0
		.amdhsa_float_round_mode_32 0
		.amdhsa_float_round_mode_16_64 0
		.amdhsa_float_denorm_mode_32 3
		.amdhsa_float_denorm_mode_16_64 3
		.amdhsa_dx10_clamp 1
		.amdhsa_ieee_mode 1
		.amdhsa_fp16_overflow 0
		.amdhsa_tg_split 0
		.amdhsa_exception_fp_ieee_invalid_op 0
		.amdhsa_exception_fp_denorm_src 0
		.amdhsa_exception_fp_ieee_div_zero 0
		.amdhsa_exception_fp_ieee_overflow 0
		.amdhsa_exception_fp_ieee_underflow 0
		.amdhsa_exception_fp_ieee_inexact 0
		.amdhsa_exception_int_div_zero 0
	.end_amdhsa_kernel
	.section	.text._ZN7rocprim17ROCPRIM_400000_NS6detail17trampoline_kernelINS0_14default_configENS1_20scan_config_selectorIiEEZZNS1_9scan_implILNS1_25lookback_scan_determinismE0ELb0ELb0ES3_N6thrust23THRUST_200600_302600_NS6detail15normal_iteratorINS9_10device_ptrIiEEEENS9_16discard_iteratorINS9_11use_defaultEEEi11max_functorIiEiEEDaPvRmT3_T4_T5_mT6_P12ihipStream_tbENKUlT_T0_E_clISt17integral_constantIbLb1EESX_EEDaSS_ST_EUlSS_E_NS1_11comp_targetILNS1_3genE10ELNS1_11target_archE1200ELNS1_3gpuE4ELNS1_3repE0EEENS1_30default_config_static_selectorELNS0_4arch9wavefront6targetE1EEEvT1_,"axG",@progbits,_ZN7rocprim17ROCPRIM_400000_NS6detail17trampoline_kernelINS0_14default_configENS1_20scan_config_selectorIiEEZZNS1_9scan_implILNS1_25lookback_scan_determinismE0ELb0ELb0ES3_N6thrust23THRUST_200600_302600_NS6detail15normal_iteratorINS9_10device_ptrIiEEEENS9_16discard_iteratorINS9_11use_defaultEEEi11max_functorIiEiEEDaPvRmT3_T4_T5_mT6_P12ihipStream_tbENKUlT_T0_E_clISt17integral_constantIbLb1EESX_EEDaSS_ST_EUlSS_E_NS1_11comp_targetILNS1_3genE10ELNS1_11target_archE1200ELNS1_3gpuE4ELNS1_3repE0EEENS1_30default_config_static_selectorELNS0_4arch9wavefront6targetE1EEEvT1_,comdat
.Lfunc_end3878:
	.size	_ZN7rocprim17ROCPRIM_400000_NS6detail17trampoline_kernelINS0_14default_configENS1_20scan_config_selectorIiEEZZNS1_9scan_implILNS1_25lookback_scan_determinismE0ELb0ELb0ES3_N6thrust23THRUST_200600_302600_NS6detail15normal_iteratorINS9_10device_ptrIiEEEENS9_16discard_iteratorINS9_11use_defaultEEEi11max_functorIiEiEEDaPvRmT3_T4_T5_mT6_P12ihipStream_tbENKUlT_T0_E_clISt17integral_constantIbLb1EESX_EEDaSS_ST_EUlSS_E_NS1_11comp_targetILNS1_3genE10ELNS1_11target_archE1200ELNS1_3gpuE4ELNS1_3repE0EEENS1_30default_config_static_selectorELNS0_4arch9wavefront6targetE1EEEvT1_, .Lfunc_end3878-_ZN7rocprim17ROCPRIM_400000_NS6detail17trampoline_kernelINS0_14default_configENS1_20scan_config_selectorIiEEZZNS1_9scan_implILNS1_25lookback_scan_determinismE0ELb0ELb0ES3_N6thrust23THRUST_200600_302600_NS6detail15normal_iteratorINS9_10device_ptrIiEEEENS9_16discard_iteratorINS9_11use_defaultEEEi11max_functorIiEiEEDaPvRmT3_T4_T5_mT6_P12ihipStream_tbENKUlT_T0_E_clISt17integral_constantIbLb1EESX_EEDaSS_ST_EUlSS_E_NS1_11comp_targetILNS1_3genE10ELNS1_11target_archE1200ELNS1_3gpuE4ELNS1_3repE0EEENS1_30default_config_static_selectorELNS0_4arch9wavefront6targetE1EEEvT1_
                                        ; -- End function
	.section	.AMDGPU.csdata,"",@progbits
; Kernel info:
; codeLenInByte = 0
; NumSgprs: 4
; NumVgprs: 0
; NumAgprs: 0
; TotalNumVgprs: 0
; ScratchSize: 0
; MemoryBound: 0
; FloatMode: 240
; IeeeMode: 1
; LDSByteSize: 0 bytes/workgroup (compile time only)
; SGPRBlocks: 0
; VGPRBlocks: 0
; NumSGPRsForWavesPerEU: 4
; NumVGPRsForWavesPerEU: 1
; AccumOffset: 4
; Occupancy: 8
; WaveLimiterHint : 0
; COMPUTE_PGM_RSRC2:SCRATCH_EN: 0
; COMPUTE_PGM_RSRC2:USER_SGPR: 6
; COMPUTE_PGM_RSRC2:TRAP_HANDLER: 0
; COMPUTE_PGM_RSRC2:TGID_X_EN: 1
; COMPUTE_PGM_RSRC2:TGID_Y_EN: 0
; COMPUTE_PGM_RSRC2:TGID_Z_EN: 0
; COMPUTE_PGM_RSRC2:TIDIG_COMP_CNT: 0
; COMPUTE_PGM_RSRC3_GFX90A:ACCUM_OFFSET: 0
; COMPUTE_PGM_RSRC3_GFX90A:TG_SPLIT: 0
	.section	.text._ZN7rocprim17ROCPRIM_400000_NS6detail17trampoline_kernelINS0_14default_configENS1_20scan_config_selectorIiEEZZNS1_9scan_implILNS1_25lookback_scan_determinismE0ELb0ELb0ES3_N6thrust23THRUST_200600_302600_NS6detail15normal_iteratorINS9_10device_ptrIiEEEENS9_16discard_iteratorINS9_11use_defaultEEEi11max_functorIiEiEEDaPvRmT3_T4_T5_mT6_P12ihipStream_tbENKUlT_T0_E_clISt17integral_constantIbLb1EESX_EEDaSS_ST_EUlSS_E_NS1_11comp_targetILNS1_3genE9ELNS1_11target_archE1100ELNS1_3gpuE3ELNS1_3repE0EEENS1_30default_config_static_selectorELNS0_4arch9wavefront6targetE1EEEvT1_,"axG",@progbits,_ZN7rocprim17ROCPRIM_400000_NS6detail17trampoline_kernelINS0_14default_configENS1_20scan_config_selectorIiEEZZNS1_9scan_implILNS1_25lookback_scan_determinismE0ELb0ELb0ES3_N6thrust23THRUST_200600_302600_NS6detail15normal_iteratorINS9_10device_ptrIiEEEENS9_16discard_iteratorINS9_11use_defaultEEEi11max_functorIiEiEEDaPvRmT3_T4_T5_mT6_P12ihipStream_tbENKUlT_T0_E_clISt17integral_constantIbLb1EESX_EEDaSS_ST_EUlSS_E_NS1_11comp_targetILNS1_3genE9ELNS1_11target_archE1100ELNS1_3gpuE3ELNS1_3repE0EEENS1_30default_config_static_selectorELNS0_4arch9wavefront6targetE1EEEvT1_,comdat
	.protected	_ZN7rocprim17ROCPRIM_400000_NS6detail17trampoline_kernelINS0_14default_configENS1_20scan_config_selectorIiEEZZNS1_9scan_implILNS1_25lookback_scan_determinismE0ELb0ELb0ES3_N6thrust23THRUST_200600_302600_NS6detail15normal_iteratorINS9_10device_ptrIiEEEENS9_16discard_iteratorINS9_11use_defaultEEEi11max_functorIiEiEEDaPvRmT3_T4_T5_mT6_P12ihipStream_tbENKUlT_T0_E_clISt17integral_constantIbLb1EESX_EEDaSS_ST_EUlSS_E_NS1_11comp_targetILNS1_3genE9ELNS1_11target_archE1100ELNS1_3gpuE3ELNS1_3repE0EEENS1_30default_config_static_selectorELNS0_4arch9wavefront6targetE1EEEvT1_ ; -- Begin function _ZN7rocprim17ROCPRIM_400000_NS6detail17trampoline_kernelINS0_14default_configENS1_20scan_config_selectorIiEEZZNS1_9scan_implILNS1_25lookback_scan_determinismE0ELb0ELb0ES3_N6thrust23THRUST_200600_302600_NS6detail15normal_iteratorINS9_10device_ptrIiEEEENS9_16discard_iteratorINS9_11use_defaultEEEi11max_functorIiEiEEDaPvRmT3_T4_T5_mT6_P12ihipStream_tbENKUlT_T0_E_clISt17integral_constantIbLb1EESX_EEDaSS_ST_EUlSS_E_NS1_11comp_targetILNS1_3genE9ELNS1_11target_archE1100ELNS1_3gpuE3ELNS1_3repE0EEENS1_30default_config_static_selectorELNS0_4arch9wavefront6targetE1EEEvT1_
	.globl	_ZN7rocprim17ROCPRIM_400000_NS6detail17trampoline_kernelINS0_14default_configENS1_20scan_config_selectorIiEEZZNS1_9scan_implILNS1_25lookback_scan_determinismE0ELb0ELb0ES3_N6thrust23THRUST_200600_302600_NS6detail15normal_iteratorINS9_10device_ptrIiEEEENS9_16discard_iteratorINS9_11use_defaultEEEi11max_functorIiEiEEDaPvRmT3_T4_T5_mT6_P12ihipStream_tbENKUlT_T0_E_clISt17integral_constantIbLb1EESX_EEDaSS_ST_EUlSS_E_NS1_11comp_targetILNS1_3genE9ELNS1_11target_archE1100ELNS1_3gpuE3ELNS1_3repE0EEENS1_30default_config_static_selectorELNS0_4arch9wavefront6targetE1EEEvT1_
	.p2align	8
	.type	_ZN7rocprim17ROCPRIM_400000_NS6detail17trampoline_kernelINS0_14default_configENS1_20scan_config_selectorIiEEZZNS1_9scan_implILNS1_25lookback_scan_determinismE0ELb0ELb0ES3_N6thrust23THRUST_200600_302600_NS6detail15normal_iteratorINS9_10device_ptrIiEEEENS9_16discard_iteratorINS9_11use_defaultEEEi11max_functorIiEiEEDaPvRmT3_T4_T5_mT6_P12ihipStream_tbENKUlT_T0_E_clISt17integral_constantIbLb1EESX_EEDaSS_ST_EUlSS_E_NS1_11comp_targetILNS1_3genE9ELNS1_11target_archE1100ELNS1_3gpuE3ELNS1_3repE0EEENS1_30default_config_static_selectorELNS0_4arch9wavefront6targetE1EEEvT1_,@function
_ZN7rocprim17ROCPRIM_400000_NS6detail17trampoline_kernelINS0_14default_configENS1_20scan_config_selectorIiEEZZNS1_9scan_implILNS1_25lookback_scan_determinismE0ELb0ELb0ES3_N6thrust23THRUST_200600_302600_NS6detail15normal_iteratorINS9_10device_ptrIiEEEENS9_16discard_iteratorINS9_11use_defaultEEEi11max_functorIiEiEEDaPvRmT3_T4_T5_mT6_P12ihipStream_tbENKUlT_T0_E_clISt17integral_constantIbLb1EESX_EEDaSS_ST_EUlSS_E_NS1_11comp_targetILNS1_3genE9ELNS1_11target_archE1100ELNS1_3gpuE3ELNS1_3repE0EEENS1_30default_config_static_selectorELNS0_4arch9wavefront6targetE1EEEvT1_: ; @_ZN7rocprim17ROCPRIM_400000_NS6detail17trampoline_kernelINS0_14default_configENS1_20scan_config_selectorIiEEZZNS1_9scan_implILNS1_25lookback_scan_determinismE0ELb0ELb0ES3_N6thrust23THRUST_200600_302600_NS6detail15normal_iteratorINS9_10device_ptrIiEEEENS9_16discard_iteratorINS9_11use_defaultEEEi11max_functorIiEiEEDaPvRmT3_T4_T5_mT6_P12ihipStream_tbENKUlT_T0_E_clISt17integral_constantIbLb1EESX_EEDaSS_ST_EUlSS_E_NS1_11comp_targetILNS1_3genE9ELNS1_11target_archE1100ELNS1_3gpuE3ELNS1_3repE0EEENS1_30default_config_static_selectorELNS0_4arch9wavefront6targetE1EEEvT1_
; %bb.0:
	.section	.rodata,"a",@progbits
	.p2align	6, 0x0
	.amdhsa_kernel _ZN7rocprim17ROCPRIM_400000_NS6detail17trampoline_kernelINS0_14default_configENS1_20scan_config_selectorIiEEZZNS1_9scan_implILNS1_25lookback_scan_determinismE0ELb0ELb0ES3_N6thrust23THRUST_200600_302600_NS6detail15normal_iteratorINS9_10device_ptrIiEEEENS9_16discard_iteratorINS9_11use_defaultEEEi11max_functorIiEiEEDaPvRmT3_T4_T5_mT6_P12ihipStream_tbENKUlT_T0_E_clISt17integral_constantIbLb1EESX_EEDaSS_ST_EUlSS_E_NS1_11comp_targetILNS1_3genE9ELNS1_11target_archE1100ELNS1_3gpuE3ELNS1_3repE0EEENS1_30default_config_static_selectorELNS0_4arch9wavefront6targetE1EEEvT1_
		.amdhsa_group_segment_fixed_size 0
		.amdhsa_private_segment_fixed_size 0
		.amdhsa_kernarg_size 104
		.amdhsa_user_sgpr_count 6
		.amdhsa_user_sgpr_private_segment_buffer 1
		.amdhsa_user_sgpr_dispatch_ptr 0
		.amdhsa_user_sgpr_queue_ptr 0
		.amdhsa_user_sgpr_kernarg_segment_ptr 1
		.amdhsa_user_sgpr_dispatch_id 0
		.amdhsa_user_sgpr_flat_scratch_init 0
		.amdhsa_user_sgpr_kernarg_preload_length 0
		.amdhsa_user_sgpr_kernarg_preload_offset 0
		.amdhsa_user_sgpr_private_segment_size 0
		.amdhsa_uses_dynamic_stack 0
		.amdhsa_system_sgpr_private_segment_wavefront_offset 0
		.amdhsa_system_sgpr_workgroup_id_x 1
		.amdhsa_system_sgpr_workgroup_id_y 0
		.amdhsa_system_sgpr_workgroup_id_z 0
		.amdhsa_system_sgpr_workgroup_info 0
		.amdhsa_system_vgpr_workitem_id 0
		.amdhsa_next_free_vgpr 1
		.amdhsa_next_free_sgpr 0
		.amdhsa_accum_offset 4
		.amdhsa_reserve_vcc 0
		.amdhsa_reserve_flat_scratch 0
		.amdhsa_float_round_mode_32 0
		.amdhsa_float_round_mode_16_64 0
		.amdhsa_float_denorm_mode_32 3
		.amdhsa_float_denorm_mode_16_64 3
		.amdhsa_dx10_clamp 1
		.amdhsa_ieee_mode 1
		.amdhsa_fp16_overflow 0
		.amdhsa_tg_split 0
		.amdhsa_exception_fp_ieee_invalid_op 0
		.amdhsa_exception_fp_denorm_src 0
		.amdhsa_exception_fp_ieee_div_zero 0
		.amdhsa_exception_fp_ieee_overflow 0
		.amdhsa_exception_fp_ieee_underflow 0
		.amdhsa_exception_fp_ieee_inexact 0
		.amdhsa_exception_int_div_zero 0
	.end_amdhsa_kernel
	.section	.text._ZN7rocprim17ROCPRIM_400000_NS6detail17trampoline_kernelINS0_14default_configENS1_20scan_config_selectorIiEEZZNS1_9scan_implILNS1_25lookback_scan_determinismE0ELb0ELb0ES3_N6thrust23THRUST_200600_302600_NS6detail15normal_iteratorINS9_10device_ptrIiEEEENS9_16discard_iteratorINS9_11use_defaultEEEi11max_functorIiEiEEDaPvRmT3_T4_T5_mT6_P12ihipStream_tbENKUlT_T0_E_clISt17integral_constantIbLb1EESX_EEDaSS_ST_EUlSS_E_NS1_11comp_targetILNS1_3genE9ELNS1_11target_archE1100ELNS1_3gpuE3ELNS1_3repE0EEENS1_30default_config_static_selectorELNS0_4arch9wavefront6targetE1EEEvT1_,"axG",@progbits,_ZN7rocprim17ROCPRIM_400000_NS6detail17trampoline_kernelINS0_14default_configENS1_20scan_config_selectorIiEEZZNS1_9scan_implILNS1_25lookback_scan_determinismE0ELb0ELb0ES3_N6thrust23THRUST_200600_302600_NS6detail15normal_iteratorINS9_10device_ptrIiEEEENS9_16discard_iteratorINS9_11use_defaultEEEi11max_functorIiEiEEDaPvRmT3_T4_T5_mT6_P12ihipStream_tbENKUlT_T0_E_clISt17integral_constantIbLb1EESX_EEDaSS_ST_EUlSS_E_NS1_11comp_targetILNS1_3genE9ELNS1_11target_archE1100ELNS1_3gpuE3ELNS1_3repE0EEENS1_30default_config_static_selectorELNS0_4arch9wavefront6targetE1EEEvT1_,comdat
.Lfunc_end3879:
	.size	_ZN7rocprim17ROCPRIM_400000_NS6detail17trampoline_kernelINS0_14default_configENS1_20scan_config_selectorIiEEZZNS1_9scan_implILNS1_25lookback_scan_determinismE0ELb0ELb0ES3_N6thrust23THRUST_200600_302600_NS6detail15normal_iteratorINS9_10device_ptrIiEEEENS9_16discard_iteratorINS9_11use_defaultEEEi11max_functorIiEiEEDaPvRmT3_T4_T5_mT6_P12ihipStream_tbENKUlT_T0_E_clISt17integral_constantIbLb1EESX_EEDaSS_ST_EUlSS_E_NS1_11comp_targetILNS1_3genE9ELNS1_11target_archE1100ELNS1_3gpuE3ELNS1_3repE0EEENS1_30default_config_static_selectorELNS0_4arch9wavefront6targetE1EEEvT1_, .Lfunc_end3879-_ZN7rocprim17ROCPRIM_400000_NS6detail17trampoline_kernelINS0_14default_configENS1_20scan_config_selectorIiEEZZNS1_9scan_implILNS1_25lookback_scan_determinismE0ELb0ELb0ES3_N6thrust23THRUST_200600_302600_NS6detail15normal_iteratorINS9_10device_ptrIiEEEENS9_16discard_iteratorINS9_11use_defaultEEEi11max_functorIiEiEEDaPvRmT3_T4_T5_mT6_P12ihipStream_tbENKUlT_T0_E_clISt17integral_constantIbLb1EESX_EEDaSS_ST_EUlSS_E_NS1_11comp_targetILNS1_3genE9ELNS1_11target_archE1100ELNS1_3gpuE3ELNS1_3repE0EEENS1_30default_config_static_selectorELNS0_4arch9wavefront6targetE1EEEvT1_
                                        ; -- End function
	.section	.AMDGPU.csdata,"",@progbits
; Kernel info:
; codeLenInByte = 0
; NumSgprs: 4
; NumVgprs: 0
; NumAgprs: 0
; TotalNumVgprs: 0
; ScratchSize: 0
; MemoryBound: 0
; FloatMode: 240
; IeeeMode: 1
; LDSByteSize: 0 bytes/workgroup (compile time only)
; SGPRBlocks: 0
; VGPRBlocks: 0
; NumSGPRsForWavesPerEU: 4
; NumVGPRsForWavesPerEU: 1
; AccumOffset: 4
; Occupancy: 8
; WaveLimiterHint : 0
; COMPUTE_PGM_RSRC2:SCRATCH_EN: 0
; COMPUTE_PGM_RSRC2:USER_SGPR: 6
; COMPUTE_PGM_RSRC2:TRAP_HANDLER: 0
; COMPUTE_PGM_RSRC2:TGID_X_EN: 1
; COMPUTE_PGM_RSRC2:TGID_Y_EN: 0
; COMPUTE_PGM_RSRC2:TGID_Z_EN: 0
; COMPUTE_PGM_RSRC2:TIDIG_COMP_CNT: 0
; COMPUTE_PGM_RSRC3_GFX90A:ACCUM_OFFSET: 0
; COMPUTE_PGM_RSRC3_GFX90A:TG_SPLIT: 0
	.section	.text._ZN7rocprim17ROCPRIM_400000_NS6detail17trampoline_kernelINS0_14default_configENS1_20scan_config_selectorIiEEZZNS1_9scan_implILNS1_25lookback_scan_determinismE0ELb0ELb0ES3_N6thrust23THRUST_200600_302600_NS6detail15normal_iteratorINS9_10device_ptrIiEEEENS9_16discard_iteratorINS9_11use_defaultEEEi11max_functorIiEiEEDaPvRmT3_T4_T5_mT6_P12ihipStream_tbENKUlT_T0_E_clISt17integral_constantIbLb1EESX_EEDaSS_ST_EUlSS_E_NS1_11comp_targetILNS1_3genE8ELNS1_11target_archE1030ELNS1_3gpuE2ELNS1_3repE0EEENS1_30default_config_static_selectorELNS0_4arch9wavefront6targetE1EEEvT1_,"axG",@progbits,_ZN7rocprim17ROCPRIM_400000_NS6detail17trampoline_kernelINS0_14default_configENS1_20scan_config_selectorIiEEZZNS1_9scan_implILNS1_25lookback_scan_determinismE0ELb0ELb0ES3_N6thrust23THRUST_200600_302600_NS6detail15normal_iteratorINS9_10device_ptrIiEEEENS9_16discard_iteratorINS9_11use_defaultEEEi11max_functorIiEiEEDaPvRmT3_T4_T5_mT6_P12ihipStream_tbENKUlT_T0_E_clISt17integral_constantIbLb1EESX_EEDaSS_ST_EUlSS_E_NS1_11comp_targetILNS1_3genE8ELNS1_11target_archE1030ELNS1_3gpuE2ELNS1_3repE0EEENS1_30default_config_static_selectorELNS0_4arch9wavefront6targetE1EEEvT1_,comdat
	.protected	_ZN7rocprim17ROCPRIM_400000_NS6detail17trampoline_kernelINS0_14default_configENS1_20scan_config_selectorIiEEZZNS1_9scan_implILNS1_25lookback_scan_determinismE0ELb0ELb0ES3_N6thrust23THRUST_200600_302600_NS6detail15normal_iteratorINS9_10device_ptrIiEEEENS9_16discard_iteratorINS9_11use_defaultEEEi11max_functorIiEiEEDaPvRmT3_T4_T5_mT6_P12ihipStream_tbENKUlT_T0_E_clISt17integral_constantIbLb1EESX_EEDaSS_ST_EUlSS_E_NS1_11comp_targetILNS1_3genE8ELNS1_11target_archE1030ELNS1_3gpuE2ELNS1_3repE0EEENS1_30default_config_static_selectorELNS0_4arch9wavefront6targetE1EEEvT1_ ; -- Begin function _ZN7rocprim17ROCPRIM_400000_NS6detail17trampoline_kernelINS0_14default_configENS1_20scan_config_selectorIiEEZZNS1_9scan_implILNS1_25lookback_scan_determinismE0ELb0ELb0ES3_N6thrust23THRUST_200600_302600_NS6detail15normal_iteratorINS9_10device_ptrIiEEEENS9_16discard_iteratorINS9_11use_defaultEEEi11max_functorIiEiEEDaPvRmT3_T4_T5_mT6_P12ihipStream_tbENKUlT_T0_E_clISt17integral_constantIbLb1EESX_EEDaSS_ST_EUlSS_E_NS1_11comp_targetILNS1_3genE8ELNS1_11target_archE1030ELNS1_3gpuE2ELNS1_3repE0EEENS1_30default_config_static_selectorELNS0_4arch9wavefront6targetE1EEEvT1_
	.globl	_ZN7rocprim17ROCPRIM_400000_NS6detail17trampoline_kernelINS0_14default_configENS1_20scan_config_selectorIiEEZZNS1_9scan_implILNS1_25lookback_scan_determinismE0ELb0ELb0ES3_N6thrust23THRUST_200600_302600_NS6detail15normal_iteratorINS9_10device_ptrIiEEEENS9_16discard_iteratorINS9_11use_defaultEEEi11max_functorIiEiEEDaPvRmT3_T4_T5_mT6_P12ihipStream_tbENKUlT_T0_E_clISt17integral_constantIbLb1EESX_EEDaSS_ST_EUlSS_E_NS1_11comp_targetILNS1_3genE8ELNS1_11target_archE1030ELNS1_3gpuE2ELNS1_3repE0EEENS1_30default_config_static_selectorELNS0_4arch9wavefront6targetE1EEEvT1_
	.p2align	8
	.type	_ZN7rocprim17ROCPRIM_400000_NS6detail17trampoline_kernelINS0_14default_configENS1_20scan_config_selectorIiEEZZNS1_9scan_implILNS1_25lookback_scan_determinismE0ELb0ELb0ES3_N6thrust23THRUST_200600_302600_NS6detail15normal_iteratorINS9_10device_ptrIiEEEENS9_16discard_iteratorINS9_11use_defaultEEEi11max_functorIiEiEEDaPvRmT3_T4_T5_mT6_P12ihipStream_tbENKUlT_T0_E_clISt17integral_constantIbLb1EESX_EEDaSS_ST_EUlSS_E_NS1_11comp_targetILNS1_3genE8ELNS1_11target_archE1030ELNS1_3gpuE2ELNS1_3repE0EEENS1_30default_config_static_selectorELNS0_4arch9wavefront6targetE1EEEvT1_,@function
_ZN7rocprim17ROCPRIM_400000_NS6detail17trampoline_kernelINS0_14default_configENS1_20scan_config_selectorIiEEZZNS1_9scan_implILNS1_25lookback_scan_determinismE0ELb0ELb0ES3_N6thrust23THRUST_200600_302600_NS6detail15normal_iteratorINS9_10device_ptrIiEEEENS9_16discard_iteratorINS9_11use_defaultEEEi11max_functorIiEiEEDaPvRmT3_T4_T5_mT6_P12ihipStream_tbENKUlT_T0_E_clISt17integral_constantIbLb1EESX_EEDaSS_ST_EUlSS_E_NS1_11comp_targetILNS1_3genE8ELNS1_11target_archE1030ELNS1_3gpuE2ELNS1_3repE0EEENS1_30default_config_static_selectorELNS0_4arch9wavefront6targetE1EEEvT1_: ; @_ZN7rocprim17ROCPRIM_400000_NS6detail17trampoline_kernelINS0_14default_configENS1_20scan_config_selectorIiEEZZNS1_9scan_implILNS1_25lookback_scan_determinismE0ELb0ELb0ES3_N6thrust23THRUST_200600_302600_NS6detail15normal_iteratorINS9_10device_ptrIiEEEENS9_16discard_iteratorINS9_11use_defaultEEEi11max_functorIiEiEEDaPvRmT3_T4_T5_mT6_P12ihipStream_tbENKUlT_T0_E_clISt17integral_constantIbLb1EESX_EEDaSS_ST_EUlSS_E_NS1_11comp_targetILNS1_3genE8ELNS1_11target_archE1030ELNS1_3gpuE2ELNS1_3repE0EEENS1_30default_config_static_selectorELNS0_4arch9wavefront6targetE1EEEvT1_
; %bb.0:
	.section	.rodata,"a",@progbits
	.p2align	6, 0x0
	.amdhsa_kernel _ZN7rocprim17ROCPRIM_400000_NS6detail17trampoline_kernelINS0_14default_configENS1_20scan_config_selectorIiEEZZNS1_9scan_implILNS1_25lookback_scan_determinismE0ELb0ELb0ES3_N6thrust23THRUST_200600_302600_NS6detail15normal_iteratorINS9_10device_ptrIiEEEENS9_16discard_iteratorINS9_11use_defaultEEEi11max_functorIiEiEEDaPvRmT3_T4_T5_mT6_P12ihipStream_tbENKUlT_T0_E_clISt17integral_constantIbLb1EESX_EEDaSS_ST_EUlSS_E_NS1_11comp_targetILNS1_3genE8ELNS1_11target_archE1030ELNS1_3gpuE2ELNS1_3repE0EEENS1_30default_config_static_selectorELNS0_4arch9wavefront6targetE1EEEvT1_
		.amdhsa_group_segment_fixed_size 0
		.amdhsa_private_segment_fixed_size 0
		.amdhsa_kernarg_size 104
		.amdhsa_user_sgpr_count 6
		.amdhsa_user_sgpr_private_segment_buffer 1
		.amdhsa_user_sgpr_dispatch_ptr 0
		.amdhsa_user_sgpr_queue_ptr 0
		.amdhsa_user_sgpr_kernarg_segment_ptr 1
		.amdhsa_user_sgpr_dispatch_id 0
		.amdhsa_user_sgpr_flat_scratch_init 0
		.amdhsa_user_sgpr_kernarg_preload_length 0
		.amdhsa_user_sgpr_kernarg_preload_offset 0
		.amdhsa_user_sgpr_private_segment_size 0
		.amdhsa_uses_dynamic_stack 0
		.amdhsa_system_sgpr_private_segment_wavefront_offset 0
		.amdhsa_system_sgpr_workgroup_id_x 1
		.amdhsa_system_sgpr_workgroup_id_y 0
		.amdhsa_system_sgpr_workgroup_id_z 0
		.amdhsa_system_sgpr_workgroup_info 0
		.amdhsa_system_vgpr_workitem_id 0
		.amdhsa_next_free_vgpr 1
		.amdhsa_next_free_sgpr 0
		.amdhsa_accum_offset 4
		.amdhsa_reserve_vcc 0
		.amdhsa_reserve_flat_scratch 0
		.amdhsa_float_round_mode_32 0
		.amdhsa_float_round_mode_16_64 0
		.amdhsa_float_denorm_mode_32 3
		.amdhsa_float_denorm_mode_16_64 3
		.amdhsa_dx10_clamp 1
		.amdhsa_ieee_mode 1
		.amdhsa_fp16_overflow 0
		.amdhsa_tg_split 0
		.amdhsa_exception_fp_ieee_invalid_op 0
		.amdhsa_exception_fp_denorm_src 0
		.amdhsa_exception_fp_ieee_div_zero 0
		.amdhsa_exception_fp_ieee_overflow 0
		.amdhsa_exception_fp_ieee_underflow 0
		.amdhsa_exception_fp_ieee_inexact 0
		.amdhsa_exception_int_div_zero 0
	.end_amdhsa_kernel
	.section	.text._ZN7rocprim17ROCPRIM_400000_NS6detail17trampoline_kernelINS0_14default_configENS1_20scan_config_selectorIiEEZZNS1_9scan_implILNS1_25lookback_scan_determinismE0ELb0ELb0ES3_N6thrust23THRUST_200600_302600_NS6detail15normal_iteratorINS9_10device_ptrIiEEEENS9_16discard_iteratorINS9_11use_defaultEEEi11max_functorIiEiEEDaPvRmT3_T4_T5_mT6_P12ihipStream_tbENKUlT_T0_E_clISt17integral_constantIbLb1EESX_EEDaSS_ST_EUlSS_E_NS1_11comp_targetILNS1_3genE8ELNS1_11target_archE1030ELNS1_3gpuE2ELNS1_3repE0EEENS1_30default_config_static_selectorELNS0_4arch9wavefront6targetE1EEEvT1_,"axG",@progbits,_ZN7rocprim17ROCPRIM_400000_NS6detail17trampoline_kernelINS0_14default_configENS1_20scan_config_selectorIiEEZZNS1_9scan_implILNS1_25lookback_scan_determinismE0ELb0ELb0ES3_N6thrust23THRUST_200600_302600_NS6detail15normal_iteratorINS9_10device_ptrIiEEEENS9_16discard_iteratorINS9_11use_defaultEEEi11max_functorIiEiEEDaPvRmT3_T4_T5_mT6_P12ihipStream_tbENKUlT_T0_E_clISt17integral_constantIbLb1EESX_EEDaSS_ST_EUlSS_E_NS1_11comp_targetILNS1_3genE8ELNS1_11target_archE1030ELNS1_3gpuE2ELNS1_3repE0EEENS1_30default_config_static_selectorELNS0_4arch9wavefront6targetE1EEEvT1_,comdat
.Lfunc_end3880:
	.size	_ZN7rocprim17ROCPRIM_400000_NS6detail17trampoline_kernelINS0_14default_configENS1_20scan_config_selectorIiEEZZNS1_9scan_implILNS1_25lookback_scan_determinismE0ELb0ELb0ES3_N6thrust23THRUST_200600_302600_NS6detail15normal_iteratorINS9_10device_ptrIiEEEENS9_16discard_iteratorINS9_11use_defaultEEEi11max_functorIiEiEEDaPvRmT3_T4_T5_mT6_P12ihipStream_tbENKUlT_T0_E_clISt17integral_constantIbLb1EESX_EEDaSS_ST_EUlSS_E_NS1_11comp_targetILNS1_3genE8ELNS1_11target_archE1030ELNS1_3gpuE2ELNS1_3repE0EEENS1_30default_config_static_selectorELNS0_4arch9wavefront6targetE1EEEvT1_, .Lfunc_end3880-_ZN7rocprim17ROCPRIM_400000_NS6detail17trampoline_kernelINS0_14default_configENS1_20scan_config_selectorIiEEZZNS1_9scan_implILNS1_25lookback_scan_determinismE0ELb0ELb0ES3_N6thrust23THRUST_200600_302600_NS6detail15normal_iteratorINS9_10device_ptrIiEEEENS9_16discard_iteratorINS9_11use_defaultEEEi11max_functorIiEiEEDaPvRmT3_T4_T5_mT6_P12ihipStream_tbENKUlT_T0_E_clISt17integral_constantIbLb1EESX_EEDaSS_ST_EUlSS_E_NS1_11comp_targetILNS1_3genE8ELNS1_11target_archE1030ELNS1_3gpuE2ELNS1_3repE0EEENS1_30default_config_static_selectorELNS0_4arch9wavefront6targetE1EEEvT1_
                                        ; -- End function
	.section	.AMDGPU.csdata,"",@progbits
; Kernel info:
; codeLenInByte = 0
; NumSgprs: 4
; NumVgprs: 0
; NumAgprs: 0
; TotalNumVgprs: 0
; ScratchSize: 0
; MemoryBound: 0
; FloatMode: 240
; IeeeMode: 1
; LDSByteSize: 0 bytes/workgroup (compile time only)
; SGPRBlocks: 0
; VGPRBlocks: 0
; NumSGPRsForWavesPerEU: 4
; NumVGPRsForWavesPerEU: 1
; AccumOffset: 4
; Occupancy: 8
; WaveLimiterHint : 0
; COMPUTE_PGM_RSRC2:SCRATCH_EN: 0
; COMPUTE_PGM_RSRC2:USER_SGPR: 6
; COMPUTE_PGM_RSRC2:TRAP_HANDLER: 0
; COMPUTE_PGM_RSRC2:TGID_X_EN: 1
; COMPUTE_PGM_RSRC2:TGID_Y_EN: 0
; COMPUTE_PGM_RSRC2:TGID_Z_EN: 0
; COMPUTE_PGM_RSRC2:TIDIG_COMP_CNT: 0
; COMPUTE_PGM_RSRC3_GFX90A:ACCUM_OFFSET: 0
; COMPUTE_PGM_RSRC3_GFX90A:TG_SPLIT: 0
	.section	.text._ZN7rocprim17ROCPRIM_400000_NS6detail17trampoline_kernelINS0_14default_configENS1_20scan_config_selectorIiEEZZNS1_9scan_implILNS1_25lookback_scan_determinismE0ELb0ELb0ES3_N6thrust23THRUST_200600_302600_NS6detail15normal_iteratorINS9_10device_ptrIiEEEENS9_16discard_iteratorINS9_11use_defaultEEEi11max_functorIiEiEEDaPvRmT3_T4_T5_mT6_P12ihipStream_tbENKUlT_T0_E_clISt17integral_constantIbLb1EESX_EEDaSS_ST_EUlSS_E0_NS1_11comp_targetILNS1_3genE0ELNS1_11target_archE4294967295ELNS1_3gpuE0ELNS1_3repE0EEENS1_30default_config_static_selectorELNS0_4arch9wavefront6targetE1EEEvT1_,"axG",@progbits,_ZN7rocprim17ROCPRIM_400000_NS6detail17trampoline_kernelINS0_14default_configENS1_20scan_config_selectorIiEEZZNS1_9scan_implILNS1_25lookback_scan_determinismE0ELb0ELb0ES3_N6thrust23THRUST_200600_302600_NS6detail15normal_iteratorINS9_10device_ptrIiEEEENS9_16discard_iteratorINS9_11use_defaultEEEi11max_functorIiEiEEDaPvRmT3_T4_T5_mT6_P12ihipStream_tbENKUlT_T0_E_clISt17integral_constantIbLb1EESX_EEDaSS_ST_EUlSS_E0_NS1_11comp_targetILNS1_3genE0ELNS1_11target_archE4294967295ELNS1_3gpuE0ELNS1_3repE0EEENS1_30default_config_static_selectorELNS0_4arch9wavefront6targetE1EEEvT1_,comdat
	.protected	_ZN7rocprim17ROCPRIM_400000_NS6detail17trampoline_kernelINS0_14default_configENS1_20scan_config_selectorIiEEZZNS1_9scan_implILNS1_25lookback_scan_determinismE0ELb0ELb0ES3_N6thrust23THRUST_200600_302600_NS6detail15normal_iteratorINS9_10device_ptrIiEEEENS9_16discard_iteratorINS9_11use_defaultEEEi11max_functorIiEiEEDaPvRmT3_T4_T5_mT6_P12ihipStream_tbENKUlT_T0_E_clISt17integral_constantIbLb1EESX_EEDaSS_ST_EUlSS_E0_NS1_11comp_targetILNS1_3genE0ELNS1_11target_archE4294967295ELNS1_3gpuE0ELNS1_3repE0EEENS1_30default_config_static_selectorELNS0_4arch9wavefront6targetE1EEEvT1_ ; -- Begin function _ZN7rocprim17ROCPRIM_400000_NS6detail17trampoline_kernelINS0_14default_configENS1_20scan_config_selectorIiEEZZNS1_9scan_implILNS1_25lookback_scan_determinismE0ELb0ELb0ES3_N6thrust23THRUST_200600_302600_NS6detail15normal_iteratorINS9_10device_ptrIiEEEENS9_16discard_iteratorINS9_11use_defaultEEEi11max_functorIiEiEEDaPvRmT3_T4_T5_mT6_P12ihipStream_tbENKUlT_T0_E_clISt17integral_constantIbLb1EESX_EEDaSS_ST_EUlSS_E0_NS1_11comp_targetILNS1_3genE0ELNS1_11target_archE4294967295ELNS1_3gpuE0ELNS1_3repE0EEENS1_30default_config_static_selectorELNS0_4arch9wavefront6targetE1EEEvT1_
	.globl	_ZN7rocprim17ROCPRIM_400000_NS6detail17trampoline_kernelINS0_14default_configENS1_20scan_config_selectorIiEEZZNS1_9scan_implILNS1_25lookback_scan_determinismE0ELb0ELb0ES3_N6thrust23THRUST_200600_302600_NS6detail15normal_iteratorINS9_10device_ptrIiEEEENS9_16discard_iteratorINS9_11use_defaultEEEi11max_functorIiEiEEDaPvRmT3_T4_T5_mT6_P12ihipStream_tbENKUlT_T0_E_clISt17integral_constantIbLb1EESX_EEDaSS_ST_EUlSS_E0_NS1_11comp_targetILNS1_3genE0ELNS1_11target_archE4294967295ELNS1_3gpuE0ELNS1_3repE0EEENS1_30default_config_static_selectorELNS0_4arch9wavefront6targetE1EEEvT1_
	.p2align	8
	.type	_ZN7rocprim17ROCPRIM_400000_NS6detail17trampoline_kernelINS0_14default_configENS1_20scan_config_selectorIiEEZZNS1_9scan_implILNS1_25lookback_scan_determinismE0ELb0ELb0ES3_N6thrust23THRUST_200600_302600_NS6detail15normal_iteratorINS9_10device_ptrIiEEEENS9_16discard_iteratorINS9_11use_defaultEEEi11max_functorIiEiEEDaPvRmT3_T4_T5_mT6_P12ihipStream_tbENKUlT_T0_E_clISt17integral_constantIbLb1EESX_EEDaSS_ST_EUlSS_E0_NS1_11comp_targetILNS1_3genE0ELNS1_11target_archE4294967295ELNS1_3gpuE0ELNS1_3repE0EEENS1_30default_config_static_selectorELNS0_4arch9wavefront6targetE1EEEvT1_,@function
_ZN7rocprim17ROCPRIM_400000_NS6detail17trampoline_kernelINS0_14default_configENS1_20scan_config_selectorIiEEZZNS1_9scan_implILNS1_25lookback_scan_determinismE0ELb0ELb0ES3_N6thrust23THRUST_200600_302600_NS6detail15normal_iteratorINS9_10device_ptrIiEEEENS9_16discard_iteratorINS9_11use_defaultEEEi11max_functorIiEiEEDaPvRmT3_T4_T5_mT6_P12ihipStream_tbENKUlT_T0_E_clISt17integral_constantIbLb1EESX_EEDaSS_ST_EUlSS_E0_NS1_11comp_targetILNS1_3genE0ELNS1_11target_archE4294967295ELNS1_3gpuE0ELNS1_3repE0EEENS1_30default_config_static_selectorELNS0_4arch9wavefront6targetE1EEEvT1_: ; @_ZN7rocprim17ROCPRIM_400000_NS6detail17trampoline_kernelINS0_14default_configENS1_20scan_config_selectorIiEEZZNS1_9scan_implILNS1_25lookback_scan_determinismE0ELb0ELb0ES3_N6thrust23THRUST_200600_302600_NS6detail15normal_iteratorINS9_10device_ptrIiEEEENS9_16discard_iteratorINS9_11use_defaultEEEi11max_functorIiEiEEDaPvRmT3_T4_T5_mT6_P12ihipStream_tbENKUlT_T0_E_clISt17integral_constantIbLb1EESX_EEDaSS_ST_EUlSS_E0_NS1_11comp_targetILNS1_3genE0ELNS1_11target_archE4294967295ELNS1_3gpuE0ELNS1_3repE0EEENS1_30default_config_static_selectorELNS0_4arch9wavefront6targetE1EEEvT1_
; %bb.0:
	.section	.rodata,"a",@progbits
	.p2align	6, 0x0
	.amdhsa_kernel _ZN7rocprim17ROCPRIM_400000_NS6detail17trampoline_kernelINS0_14default_configENS1_20scan_config_selectorIiEEZZNS1_9scan_implILNS1_25lookback_scan_determinismE0ELb0ELb0ES3_N6thrust23THRUST_200600_302600_NS6detail15normal_iteratorINS9_10device_ptrIiEEEENS9_16discard_iteratorINS9_11use_defaultEEEi11max_functorIiEiEEDaPvRmT3_T4_T5_mT6_P12ihipStream_tbENKUlT_T0_E_clISt17integral_constantIbLb1EESX_EEDaSS_ST_EUlSS_E0_NS1_11comp_targetILNS1_3genE0ELNS1_11target_archE4294967295ELNS1_3gpuE0ELNS1_3repE0EEENS1_30default_config_static_selectorELNS0_4arch9wavefront6targetE1EEEvT1_
		.amdhsa_group_segment_fixed_size 0
		.amdhsa_private_segment_fixed_size 0
		.amdhsa_kernarg_size 40
		.amdhsa_user_sgpr_count 6
		.amdhsa_user_sgpr_private_segment_buffer 1
		.amdhsa_user_sgpr_dispatch_ptr 0
		.amdhsa_user_sgpr_queue_ptr 0
		.amdhsa_user_sgpr_kernarg_segment_ptr 1
		.amdhsa_user_sgpr_dispatch_id 0
		.amdhsa_user_sgpr_flat_scratch_init 0
		.amdhsa_user_sgpr_kernarg_preload_length 0
		.amdhsa_user_sgpr_kernarg_preload_offset 0
		.amdhsa_user_sgpr_private_segment_size 0
		.amdhsa_uses_dynamic_stack 0
		.amdhsa_system_sgpr_private_segment_wavefront_offset 0
		.amdhsa_system_sgpr_workgroup_id_x 1
		.amdhsa_system_sgpr_workgroup_id_y 0
		.amdhsa_system_sgpr_workgroup_id_z 0
		.amdhsa_system_sgpr_workgroup_info 0
		.amdhsa_system_vgpr_workitem_id 0
		.amdhsa_next_free_vgpr 1
		.amdhsa_next_free_sgpr 0
		.amdhsa_accum_offset 4
		.amdhsa_reserve_vcc 0
		.amdhsa_reserve_flat_scratch 0
		.amdhsa_float_round_mode_32 0
		.amdhsa_float_round_mode_16_64 0
		.amdhsa_float_denorm_mode_32 3
		.amdhsa_float_denorm_mode_16_64 3
		.amdhsa_dx10_clamp 1
		.amdhsa_ieee_mode 1
		.amdhsa_fp16_overflow 0
		.amdhsa_tg_split 0
		.amdhsa_exception_fp_ieee_invalid_op 0
		.amdhsa_exception_fp_denorm_src 0
		.amdhsa_exception_fp_ieee_div_zero 0
		.amdhsa_exception_fp_ieee_overflow 0
		.amdhsa_exception_fp_ieee_underflow 0
		.amdhsa_exception_fp_ieee_inexact 0
		.amdhsa_exception_int_div_zero 0
	.end_amdhsa_kernel
	.section	.text._ZN7rocprim17ROCPRIM_400000_NS6detail17trampoline_kernelINS0_14default_configENS1_20scan_config_selectorIiEEZZNS1_9scan_implILNS1_25lookback_scan_determinismE0ELb0ELb0ES3_N6thrust23THRUST_200600_302600_NS6detail15normal_iteratorINS9_10device_ptrIiEEEENS9_16discard_iteratorINS9_11use_defaultEEEi11max_functorIiEiEEDaPvRmT3_T4_T5_mT6_P12ihipStream_tbENKUlT_T0_E_clISt17integral_constantIbLb1EESX_EEDaSS_ST_EUlSS_E0_NS1_11comp_targetILNS1_3genE0ELNS1_11target_archE4294967295ELNS1_3gpuE0ELNS1_3repE0EEENS1_30default_config_static_selectorELNS0_4arch9wavefront6targetE1EEEvT1_,"axG",@progbits,_ZN7rocprim17ROCPRIM_400000_NS6detail17trampoline_kernelINS0_14default_configENS1_20scan_config_selectorIiEEZZNS1_9scan_implILNS1_25lookback_scan_determinismE0ELb0ELb0ES3_N6thrust23THRUST_200600_302600_NS6detail15normal_iteratorINS9_10device_ptrIiEEEENS9_16discard_iteratorINS9_11use_defaultEEEi11max_functorIiEiEEDaPvRmT3_T4_T5_mT6_P12ihipStream_tbENKUlT_T0_E_clISt17integral_constantIbLb1EESX_EEDaSS_ST_EUlSS_E0_NS1_11comp_targetILNS1_3genE0ELNS1_11target_archE4294967295ELNS1_3gpuE0ELNS1_3repE0EEENS1_30default_config_static_selectorELNS0_4arch9wavefront6targetE1EEEvT1_,comdat
.Lfunc_end3881:
	.size	_ZN7rocprim17ROCPRIM_400000_NS6detail17trampoline_kernelINS0_14default_configENS1_20scan_config_selectorIiEEZZNS1_9scan_implILNS1_25lookback_scan_determinismE0ELb0ELb0ES3_N6thrust23THRUST_200600_302600_NS6detail15normal_iteratorINS9_10device_ptrIiEEEENS9_16discard_iteratorINS9_11use_defaultEEEi11max_functorIiEiEEDaPvRmT3_T4_T5_mT6_P12ihipStream_tbENKUlT_T0_E_clISt17integral_constantIbLb1EESX_EEDaSS_ST_EUlSS_E0_NS1_11comp_targetILNS1_3genE0ELNS1_11target_archE4294967295ELNS1_3gpuE0ELNS1_3repE0EEENS1_30default_config_static_selectorELNS0_4arch9wavefront6targetE1EEEvT1_, .Lfunc_end3881-_ZN7rocprim17ROCPRIM_400000_NS6detail17trampoline_kernelINS0_14default_configENS1_20scan_config_selectorIiEEZZNS1_9scan_implILNS1_25lookback_scan_determinismE0ELb0ELb0ES3_N6thrust23THRUST_200600_302600_NS6detail15normal_iteratorINS9_10device_ptrIiEEEENS9_16discard_iteratorINS9_11use_defaultEEEi11max_functorIiEiEEDaPvRmT3_T4_T5_mT6_P12ihipStream_tbENKUlT_T0_E_clISt17integral_constantIbLb1EESX_EEDaSS_ST_EUlSS_E0_NS1_11comp_targetILNS1_3genE0ELNS1_11target_archE4294967295ELNS1_3gpuE0ELNS1_3repE0EEENS1_30default_config_static_selectorELNS0_4arch9wavefront6targetE1EEEvT1_
                                        ; -- End function
	.section	.AMDGPU.csdata,"",@progbits
; Kernel info:
; codeLenInByte = 0
; NumSgprs: 4
; NumVgprs: 0
; NumAgprs: 0
; TotalNumVgprs: 0
; ScratchSize: 0
; MemoryBound: 0
; FloatMode: 240
; IeeeMode: 1
; LDSByteSize: 0 bytes/workgroup (compile time only)
; SGPRBlocks: 0
; VGPRBlocks: 0
; NumSGPRsForWavesPerEU: 4
; NumVGPRsForWavesPerEU: 1
; AccumOffset: 4
; Occupancy: 8
; WaveLimiterHint : 0
; COMPUTE_PGM_RSRC2:SCRATCH_EN: 0
; COMPUTE_PGM_RSRC2:USER_SGPR: 6
; COMPUTE_PGM_RSRC2:TRAP_HANDLER: 0
; COMPUTE_PGM_RSRC2:TGID_X_EN: 1
; COMPUTE_PGM_RSRC2:TGID_Y_EN: 0
; COMPUTE_PGM_RSRC2:TGID_Z_EN: 0
; COMPUTE_PGM_RSRC2:TIDIG_COMP_CNT: 0
; COMPUTE_PGM_RSRC3_GFX90A:ACCUM_OFFSET: 0
; COMPUTE_PGM_RSRC3_GFX90A:TG_SPLIT: 0
	.section	.text._ZN7rocprim17ROCPRIM_400000_NS6detail17trampoline_kernelINS0_14default_configENS1_20scan_config_selectorIiEEZZNS1_9scan_implILNS1_25lookback_scan_determinismE0ELb0ELb0ES3_N6thrust23THRUST_200600_302600_NS6detail15normal_iteratorINS9_10device_ptrIiEEEENS9_16discard_iteratorINS9_11use_defaultEEEi11max_functorIiEiEEDaPvRmT3_T4_T5_mT6_P12ihipStream_tbENKUlT_T0_E_clISt17integral_constantIbLb1EESX_EEDaSS_ST_EUlSS_E0_NS1_11comp_targetILNS1_3genE5ELNS1_11target_archE942ELNS1_3gpuE9ELNS1_3repE0EEENS1_30default_config_static_selectorELNS0_4arch9wavefront6targetE1EEEvT1_,"axG",@progbits,_ZN7rocprim17ROCPRIM_400000_NS6detail17trampoline_kernelINS0_14default_configENS1_20scan_config_selectorIiEEZZNS1_9scan_implILNS1_25lookback_scan_determinismE0ELb0ELb0ES3_N6thrust23THRUST_200600_302600_NS6detail15normal_iteratorINS9_10device_ptrIiEEEENS9_16discard_iteratorINS9_11use_defaultEEEi11max_functorIiEiEEDaPvRmT3_T4_T5_mT6_P12ihipStream_tbENKUlT_T0_E_clISt17integral_constantIbLb1EESX_EEDaSS_ST_EUlSS_E0_NS1_11comp_targetILNS1_3genE5ELNS1_11target_archE942ELNS1_3gpuE9ELNS1_3repE0EEENS1_30default_config_static_selectorELNS0_4arch9wavefront6targetE1EEEvT1_,comdat
	.protected	_ZN7rocprim17ROCPRIM_400000_NS6detail17trampoline_kernelINS0_14default_configENS1_20scan_config_selectorIiEEZZNS1_9scan_implILNS1_25lookback_scan_determinismE0ELb0ELb0ES3_N6thrust23THRUST_200600_302600_NS6detail15normal_iteratorINS9_10device_ptrIiEEEENS9_16discard_iteratorINS9_11use_defaultEEEi11max_functorIiEiEEDaPvRmT3_T4_T5_mT6_P12ihipStream_tbENKUlT_T0_E_clISt17integral_constantIbLb1EESX_EEDaSS_ST_EUlSS_E0_NS1_11comp_targetILNS1_3genE5ELNS1_11target_archE942ELNS1_3gpuE9ELNS1_3repE0EEENS1_30default_config_static_selectorELNS0_4arch9wavefront6targetE1EEEvT1_ ; -- Begin function _ZN7rocprim17ROCPRIM_400000_NS6detail17trampoline_kernelINS0_14default_configENS1_20scan_config_selectorIiEEZZNS1_9scan_implILNS1_25lookback_scan_determinismE0ELb0ELb0ES3_N6thrust23THRUST_200600_302600_NS6detail15normal_iteratorINS9_10device_ptrIiEEEENS9_16discard_iteratorINS9_11use_defaultEEEi11max_functorIiEiEEDaPvRmT3_T4_T5_mT6_P12ihipStream_tbENKUlT_T0_E_clISt17integral_constantIbLb1EESX_EEDaSS_ST_EUlSS_E0_NS1_11comp_targetILNS1_3genE5ELNS1_11target_archE942ELNS1_3gpuE9ELNS1_3repE0EEENS1_30default_config_static_selectorELNS0_4arch9wavefront6targetE1EEEvT1_
	.globl	_ZN7rocprim17ROCPRIM_400000_NS6detail17trampoline_kernelINS0_14default_configENS1_20scan_config_selectorIiEEZZNS1_9scan_implILNS1_25lookback_scan_determinismE0ELb0ELb0ES3_N6thrust23THRUST_200600_302600_NS6detail15normal_iteratorINS9_10device_ptrIiEEEENS9_16discard_iteratorINS9_11use_defaultEEEi11max_functorIiEiEEDaPvRmT3_T4_T5_mT6_P12ihipStream_tbENKUlT_T0_E_clISt17integral_constantIbLb1EESX_EEDaSS_ST_EUlSS_E0_NS1_11comp_targetILNS1_3genE5ELNS1_11target_archE942ELNS1_3gpuE9ELNS1_3repE0EEENS1_30default_config_static_selectorELNS0_4arch9wavefront6targetE1EEEvT1_
	.p2align	8
	.type	_ZN7rocprim17ROCPRIM_400000_NS6detail17trampoline_kernelINS0_14default_configENS1_20scan_config_selectorIiEEZZNS1_9scan_implILNS1_25lookback_scan_determinismE0ELb0ELb0ES3_N6thrust23THRUST_200600_302600_NS6detail15normal_iteratorINS9_10device_ptrIiEEEENS9_16discard_iteratorINS9_11use_defaultEEEi11max_functorIiEiEEDaPvRmT3_T4_T5_mT6_P12ihipStream_tbENKUlT_T0_E_clISt17integral_constantIbLb1EESX_EEDaSS_ST_EUlSS_E0_NS1_11comp_targetILNS1_3genE5ELNS1_11target_archE942ELNS1_3gpuE9ELNS1_3repE0EEENS1_30default_config_static_selectorELNS0_4arch9wavefront6targetE1EEEvT1_,@function
_ZN7rocprim17ROCPRIM_400000_NS6detail17trampoline_kernelINS0_14default_configENS1_20scan_config_selectorIiEEZZNS1_9scan_implILNS1_25lookback_scan_determinismE0ELb0ELb0ES3_N6thrust23THRUST_200600_302600_NS6detail15normal_iteratorINS9_10device_ptrIiEEEENS9_16discard_iteratorINS9_11use_defaultEEEi11max_functorIiEiEEDaPvRmT3_T4_T5_mT6_P12ihipStream_tbENKUlT_T0_E_clISt17integral_constantIbLb1EESX_EEDaSS_ST_EUlSS_E0_NS1_11comp_targetILNS1_3genE5ELNS1_11target_archE942ELNS1_3gpuE9ELNS1_3repE0EEENS1_30default_config_static_selectorELNS0_4arch9wavefront6targetE1EEEvT1_: ; @_ZN7rocprim17ROCPRIM_400000_NS6detail17trampoline_kernelINS0_14default_configENS1_20scan_config_selectorIiEEZZNS1_9scan_implILNS1_25lookback_scan_determinismE0ELb0ELb0ES3_N6thrust23THRUST_200600_302600_NS6detail15normal_iteratorINS9_10device_ptrIiEEEENS9_16discard_iteratorINS9_11use_defaultEEEi11max_functorIiEiEEDaPvRmT3_T4_T5_mT6_P12ihipStream_tbENKUlT_T0_E_clISt17integral_constantIbLb1EESX_EEDaSS_ST_EUlSS_E0_NS1_11comp_targetILNS1_3genE5ELNS1_11target_archE942ELNS1_3gpuE9ELNS1_3repE0EEENS1_30default_config_static_selectorELNS0_4arch9wavefront6targetE1EEEvT1_
; %bb.0:
	.section	.rodata,"a",@progbits
	.p2align	6, 0x0
	.amdhsa_kernel _ZN7rocprim17ROCPRIM_400000_NS6detail17trampoline_kernelINS0_14default_configENS1_20scan_config_selectorIiEEZZNS1_9scan_implILNS1_25lookback_scan_determinismE0ELb0ELb0ES3_N6thrust23THRUST_200600_302600_NS6detail15normal_iteratorINS9_10device_ptrIiEEEENS9_16discard_iteratorINS9_11use_defaultEEEi11max_functorIiEiEEDaPvRmT3_T4_T5_mT6_P12ihipStream_tbENKUlT_T0_E_clISt17integral_constantIbLb1EESX_EEDaSS_ST_EUlSS_E0_NS1_11comp_targetILNS1_3genE5ELNS1_11target_archE942ELNS1_3gpuE9ELNS1_3repE0EEENS1_30default_config_static_selectorELNS0_4arch9wavefront6targetE1EEEvT1_
		.amdhsa_group_segment_fixed_size 0
		.amdhsa_private_segment_fixed_size 0
		.amdhsa_kernarg_size 40
		.amdhsa_user_sgpr_count 6
		.amdhsa_user_sgpr_private_segment_buffer 1
		.amdhsa_user_sgpr_dispatch_ptr 0
		.amdhsa_user_sgpr_queue_ptr 0
		.amdhsa_user_sgpr_kernarg_segment_ptr 1
		.amdhsa_user_sgpr_dispatch_id 0
		.amdhsa_user_sgpr_flat_scratch_init 0
		.amdhsa_user_sgpr_kernarg_preload_length 0
		.amdhsa_user_sgpr_kernarg_preload_offset 0
		.amdhsa_user_sgpr_private_segment_size 0
		.amdhsa_uses_dynamic_stack 0
		.amdhsa_system_sgpr_private_segment_wavefront_offset 0
		.amdhsa_system_sgpr_workgroup_id_x 1
		.amdhsa_system_sgpr_workgroup_id_y 0
		.amdhsa_system_sgpr_workgroup_id_z 0
		.amdhsa_system_sgpr_workgroup_info 0
		.amdhsa_system_vgpr_workitem_id 0
		.amdhsa_next_free_vgpr 1
		.amdhsa_next_free_sgpr 0
		.amdhsa_accum_offset 4
		.amdhsa_reserve_vcc 0
		.amdhsa_reserve_flat_scratch 0
		.amdhsa_float_round_mode_32 0
		.amdhsa_float_round_mode_16_64 0
		.amdhsa_float_denorm_mode_32 3
		.amdhsa_float_denorm_mode_16_64 3
		.amdhsa_dx10_clamp 1
		.amdhsa_ieee_mode 1
		.amdhsa_fp16_overflow 0
		.amdhsa_tg_split 0
		.amdhsa_exception_fp_ieee_invalid_op 0
		.amdhsa_exception_fp_denorm_src 0
		.amdhsa_exception_fp_ieee_div_zero 0
		.amdhsa_exception_fp_ieee_overflow 0
		.amdhsa_exception_fp_ieee_underflow 0
		.amdhsa_exception_fp_ieee_inexact 0
		.amdhsa_exception_int_div_zero 0
	.end_amdhsa_kernel
	.section	.text._ZN7rocprim17ROCPRIM_400000_NS6detail17trampoline_kernelINS0_14default_configENS1_20scan_config_selectorIiEEZZNS1_9scan_implILNS1_25lookback_scan_determinismE0ELb0ELb0ES3_N6thrust23THRUST_200600_302600_NS6detail15normal_iteratorINS9_10device_ptrIiEEEENS9_16discard_iteratorINS9_11use_defaultEEEi11max_functorIiEiEEDaPvRmT3_T4_T5_mT6_P12ihipStream_tbENKUlT_T0_E_clISt17integral_constantIbLb1EESX_EEDaSS_ST_EUlSS_E0_NS1_11comp_targetILNS1_3genE5ELNS1_11target_archE942ELNS1_3gpuE9ELNS1_3repE0EEENS1_30default_config_static_selectorELNS0_4arch9wavefront6targetE1EEEvT1_,"axG",@progbits,_ZN7rocprim17ROCPRIM_400000_NS6detail17trampoline_kernelINS0_14default_configENS1_20scan_config_selectorIiEEZZNS1_9scan_implILNS1_25lookback_scan_determinismE0ELb0ELb0ES3_N6thrust23THRUST_200600_302600_NS6detail15normal_iteratorINS9_10device_ptrIiEEEENS9_16discard_iteratorINS9_11use_defaultEEEi11max_functorIiEiEEDaPvRmT3_T4_T5_mT6_P12ihipStream_tbENKUlT_T0_E_clISt17integral_constantIbLb1EESX_EEDaSS_ST_EUlSS_E0_NS1_11comp_targetILNS1_3genE5ELNS1_11target_archE942ELNS1_3gpuE9ELNS1_3repE0EEENS1_30default_config_static_selectorELNS0_4arch9wavefront6targetE1EEEvT1_,comdat
.Lfunc_end3882:
	.size	_ZN7rocprim17ROCPRIM_400000_NS6detail17trampoline_kernelINS0_14default_configENS1_20scan_config_selectorIiEEZZNS1_9scan_implILNS1_25lookback_scan_determinismE0ELb0ELb0ES3_N6thrust23THRUST_200600_302600_NS6detail15normal_iteratorINS9_10device_ptrIiEEEENS9_16discard_iteratorINS9_11use_defaultEEEi11max_functorIiEiEEDaPvRmT3_T4_T5_mT6_P12ihipStream_tbENKUlT_T0_E_clISt17integral_constantIbLb1EESX_EEDaSS_ST_EUlSS_E0_NS1_11comp_targetILNS1_3genE5ELNS1_11target_archE942ELNS1_3gpuE9ELNS1_3repE0EEENS1_30default_config_static_selectorELNS0_4arch9wavefront6targetE1EEEvT1_, .Lfunc_end3882-_ZN7rocprim17ROCPRIM_400000_NS6detail17trampoline_kernelINS0_14default_configENS1_20scan_config_selectorIiEEZZNS1_9scan_implILNS1_25lookback_scan_determinismE0ELb0ELb0ES3_N6thrust23THRUST_200600_302600_NS6detail15normal_iteratorINS9_10device_ptrIiEEEENS9_16discard_iteratorINS9_11use_defaultEEEi11max_functorIiEiEEDaPvRmT3_T4_T5_mT6_P12ihipStream_tbENKUlT_T0_E_clISt17integral_constantIbLb1EESX_EEDaSS_ST_EUlSS_E0_NS1_11comp_targetILNS1_3genE5ELNS1_11target_archE942ELNS1_3gpuE9ELNS1_3repE0EEENS1_30default_config_static_selectorELNS0_4arch9wavefront6targetE1EEEvT1_
                                        ; -- End function
	.section	.AMDGPU.csdata,"",@progbits
; Kernel info:
; codeLenInByte = 0
; NumSgprs: 4
; NumVgprs: 0
; NumAgprs: 0
; TotalNumVgprs: 0
; ScratchSize: 0
; MemoryBound: 0
; FloatMode: 240
; IeeeMode: 1
; LDSByteSize: 0 bytes/workgroup (compile time only)
; SGPRBlocks: 0
; VGPRBlocks: 0
; NumSGPRsForWavesPerEU: 4
; NumVGPRsForWavesPerEU: 1
; AccumOffset: 4
; Occupancy: 8
; WaveLimiterHint : 0
; COMPUTE_PGM_RSRC2:SCRATCH_EN: 0
; COMPUTE_PGM_RSRC2:USER_SGPR: 6
; COMPUTE_PGM_RSRC2:TRAP_HANDLER: 0
; COMPUTE_PGM_RSRC2:TGID_X_EN: 1
; COMPUTE_PGM_RSRC2:TGID_Y_EN: 0
; COMPUTE_PGM_RSRC2:TGID_Z_EN: 0
; COMPUTE_PGM_RSRC2:TIDIG_COMP_CNT: 0
; COMPUTE_PGM_RSRC3_GFX90A:ACCUM_OFFSET: 0
; COMPUTE_PGM_RSRC3_GFX90A:TG_SPLIT: 0
	.section	.text._ZN7rocprim17ROCPRIM_400000_NS6detail17trampoline_kernelINS0_14default_configENS1_20scan_config_selectorIiEEZZNS1_9scan_implILNS1_25lookback_scan_determinismE0ELb0ELb0ES3_N6thrust23THRUST_200600_302600_NS6detail15normal_iteratorINS9_10device_ptrIiEEEENS9_16discard_iteratorINS9_11use_defaultEEEi11max_functorIiEiEEDaPvRmT3_T4_T5_mT6_P12ihipStream_tbENKUlT_T0_E_clISt17integral_constantIbLb1EESX_EEDaSS_ST_EUlSS_E0_NS1_11comp_targetILNS1_3genE4ELNS1_11target_archE910ELNS1_3gpuE8ELNS1_3repE0EEENS1_30default_config_static_selectorELNS0_4arch9wavefront6targetE1EEEvT1_,"axG",@progbits,_ZN7rocprim17ROCPRIM_400000_NS6detail17trampoline_kernelINS0_14default_configENS1_20scan_config_selectorIiEEZZNS1_9scan_implILNS1_25lookback_scan_determinismE0ELb0ELb0ES3_N6thrust23THRUST_200600_302600_NS6detail15normal_iteratorINS9_10device_ptrIiEEEENS9_16discard_iteratorINS9_11use_defaultEEEi11max_functorIiEiEEDaPvRmT3_T4_T5_mT6_P12ihipStream_tbENKUlT_T0_E_clISt17integral_constantIbLb1EESX_EEDaSS_ST_EUlSS_E0_NS1_11comp_targetILNS1_3genE4ELNS1_11target_archE910ELNS1_3gpuE8ELNS1_3repE0EEENS1_30default_config_static_selectorELNS0_4arch9wavefront6targetE1EEEvT1_,comdat
	.protected	_ZN7rocprim17ROCPRIM_400000_NS6detail17trampoline_kernelINS0_14default_configENS1_20scan_config_selectorIiEEZZNS1_9scan_implILNS1_25lookback_scan_determinismE0ELb0ELb0ES3_N6thrust23THRUST_200600_302600_NS6detail15normal_iteratorINS9_10device_ptrIiEEEENS9_16discard_iteratorINS9_11use_defaultEEEi11max_functorIiEiEEDaPvRmT3_T4_T5_mT6_P12ihipStream_tbENKUlT_T0_E_clISt17integral_constantIbLb1EESX_EEDaSS_ST_EUlSS_E0_NS1_11comp_targetILNS1_3genE4ELNS1_11target_archE910ELNS1_3gpuE8ELNS1_3repE0EEENS1_30default_config_static_selectorELNS0_4arch9wavefront6targetE1EEEvT1_ ; -- Begin function _ZN7rocprim17ROCPRIM_400000_NS6detail17trampoline_kernelINS0_14default_configENS1_20scan_config_selectorIiEEZZNS1_9scan_implILNS1_25lookback_scan_determinismE0ELb0ELb0ES3_N6thrust23THRUST_200600_302600_NS6detail15normal_iteratorINS9_10device_ptrIiEEEENS9_16discard_iteratorINS9_11use_defaultEEEi11max_functorIiEiEEDaPvRmT3_T4_T5_mT6_P12ihipStream_tbENKUlT_T0_E_clISt17integral_constantIbLb1EESX_EEDaSS_ST_EUlSS_E0_NS1_11comp_targetILNS1_3genE4ELNS1_11target_archE910ELNS1_3gpuE8ELNS1_3repE0EEENS1_30default_config_static_selectorELNS0_4arch9wavefront6targetE1EEEvT1_
	.globl	_ZN7rocprim17ROCPRIM_400000_NS6detail17trampoline_kernelINS0_14default_configENS1_20scan_config_selectorIiEEZZNS1_9scan_implILNS1_25lookback_scan_determinismE0ELb0ELb0ES3_N6thrust23THRUST_200600_302600_NS6detail15normal_iteratorINS9_10device_ptrIiEEEENS9_16discard_iteratorINS9_11use_defaultEEEi11max_functorIiEiEEDaPvRmT3_T4_T5_mT6_P12ihipStream_tbENKUlT_T0_E_clISt17integral_constantIbLb1EESX_EEDaSS_ST_EUlSS_E0_NS1_11comp_targetILNS1_3genE4ELNS1_11target_archE910ELNS1_3gpuE8ELNS1_3repE0EEENS1_30default_config_static_selectorELNS0_4arch9wavefront6targetE1EEEvT1_
	.p2align	8
	.type	_ZN7rocprim17ROCPRIM_400000_NS6detail17trampoline_kernelINS0_14default_configENS1_20scan_config_selectorIiEEZZNS1_9scan_implILNS1_25lookback_scan_determinismE0ELb0ELb0ES3_N6thrust23THRUST_200600_302600_NS6detail15normal_iteratorINS9_10device_ptrIiEEEENS9_16discard_iteratorINS9_11use_defaultEEEi11max_functorIiEiEEDaPvRmT3_T4_T5_mT6_P12ihipStream_tbENKUlT_T0_E_clISt17integral_constantIbLb1EESX_EEDaSS_ST_EUlSS_E0_NS1_11comp_targetILNS1_3genE4ELNS1_11target_archE910ELNS1_3gpuE8ELNS1_3repE0EEENS1_30default_config_static_selectorELNS0_4arch9wavefront6targetE1EEEvT1_,@function
_ZN7rocprim17ROCPRIM_400000_NS6detail17trampoline_kernelINS0_14default_configENS1_20scan_config_selectorIiEEZZNS1_9scan_implILNS1_25lookback_scan_determinismE0ELb0ELb0ES3_N6thrust23THRUST_200600_302600_NS6detail15normal_iteratorINS9_10device_ptrIiEEEENS9_16discard_iteratorINS9_11use_defaultEEEi11max_functorIiEiEEDaPvRmT3_T4_T5_mT6_P12ihipStream_tbENKUlT_T0_E_clISt17integral_constantIbLb1EESX_EEDaSS_ST_EUlSS_E0_NS1_11comp_targetILNS1_3genE4ELNS1_11target_archE910ELNS1_3gpuE8ELNS1_3repE0EEENS1_30default_config_static_selectorELNS0_4arch9wavefront6targetE1EEEvT1_: ; @_ZN7rocprim17ROCPRIM_400000_NS6detail17trampoline_kernelINS0_14default_configENS1_20scan_config_selectorIiEEZZNS1_9scan_implILNS1_25lookback_scan_determinismE0ELb0ELb0ES3_N6thrust23THRUST_200600_302600_NS6detail15normal_iteratorINS9_10device_ptrIiEEEENS9_16discard_iteratorINS9_11use_defaultEEEi11max_functorIiEiEEDaPvRmT3_T4_T5_mT6_P12ihipStream_tbENKUlT_T0_E_clISt17integral_constantIbLb1EESX_EEDaSS_ST_EUlSS_E0_NS1_11comp_targetILNS1_3genE4ELNS1_11target_archE910ELNS1_3gpuE8ELNS1_3repE0EEENS1_30default_config_static_selectorELNS0_4arch9wavefront6targetE1EEEvT1_
; %bb.0:
	s_load_dwordx4 s[0:3], s[4:5], 0x0
	v_lshlrev_b32_e32 v20, 2, v0
	s_waitcnt lgkmcnt(0)
	s_load_dword s3, s[0:1], 0x0
	v_cmp_gt_u32_e32 vcc, s2, v0
	s_waitcnt lgkmcnt(0)
	v_mov_b32_e32 v1, s3
	s_and_saveexec_b64 s[4:5], vcc
	s_cbranch_execz .LBB3883_2
; %bb.1:
	global_load_dword v1, v20, s[0:1]
.LBB3883_2:
	s_or_b64 exec, exec, s[4:5]
	v_or_b32_e32 v2, 0x80, v0
	v_cmp_gt_u32_e32 vcc, s2, v2
	v_mov_b32_e32 v2, s3
	s_and_saveexec_b64 s[4:5], vcc
	s_cbranch_execz .LBB3883_4
; %bb.3:
	global_load_dword v2, v20, s[0:1] offset:512
.LBB3883_4:
	s_or_b64 exec, exec, s[4:5]
	v_or_b32_e32 v3, 0x100, v0
	v_cmp_gt_u32_e32 vcc, s2, v3
	v_mov_b32_e32 v3, s3
	s_and_saveexec_b64 s[4:5], vcc
	s_cbranch_execz .LBB3883_6
; %bb.5:
	global_load_dword v3, v20, s[0:1] offset:1024
.LBB3883_6:
	s_or_b64 exec, exec, s[4:5]
	v_or_b32_e32 v4, 0x180, v0
	v_cmp_gt_u32_e32 vcc, s2, v4
	v_mov_b32_e32 v4, s3
	s_and_saveexec_b64 s[4:5], vcc
	s_cbranch_execz .LBB3883_8
; %bb.7:
	global_load_dword v4, v20, s[0:1] offset:1536
.LBB3883_8:
	s_or_b64 exec, exec, s[4:5]
	v_or_b32_e32 v5, 0x200, v0
	v_cmp_gt_u32_e32 vcc, s2, v5
	v_mov_b32_e32 v5, s3
	s_and_saveexec_b64 s[4:5], vcc
	s_cbranch_execz .LBB3883_10
; %bb.9:
	global_load_dword v5, v20, s[0:1] offset:2048
.LBB3883_10:
	s_or_b64 exec, exec, s[4:5]
	v_or_b32_e32 v6, 0x280, v0
	v_cmp_gt_u32_e32 vcc, s2, v6
	v_mov_b32_e32 v6, s3
	s_and_saveexec_b64 s[4:5], vcc
	s_cbranch_execz .LBB3883_12
; %bb.11:
	global_load_dword v6, v20, s[0:1] offset:2560
.LBB3883_12:
	s_or_b64 exec, exec, s[4:5]
	v_or_b32_e32 v7, 0x300, v0
	v_cmp_gt_u32_e32 vcc, s2, v7
	v_mov_b32_e32 v7, s3
	s_and_saveexec_b64 s[4:5], vcc
	s_cbranch_execz .LBB3883_14
; %bb.13:
	global_load_dword v7, v20, s[0:1] offset:3072
.LBB3883_14:
	s_or_b64 exec, exec, s[4:5]
	v_or_b32_e32 v8, 0x380, v0
	v_cmp_gt_u32_e32 vcc, s2, v8
	v_mov_b32_e32 v8, s3
	s_and_saveexec_b64 s[4:5], vcc
	s_cbranch_execz .LBB3883_16
; %bb.15:
	global_load_dword v8, v20, s[0:1] offset:3584
.LBB3883_16:
	s_or_b64 exec, exec, s[4:5]
	v_or_b32_e32 v10, 0x400, v0
	v_cmp_gt_u32_e32 vcc, s2, v10
	v_mov_b32_e32 v9, s3
	s_and_saveexec_b64 s[4:5], vcc
	s_cbranch_execz .LBB3883_18
; %bb.17:
	v_lshlrev_b32_e32 v9, 2, v10
	global_load_dword v9, v9, s[0:1]
.LBB3883_18:
	s_or_b64 exec, exec, s[4:5]
	v_or_b32_e32 v11, 0x480, v0
	v_cmp_gt_u32_e32 vcc, s2, v11
	v_mov_b32_e32 v10, s3
	s_and_saveexec_b64 s[2:3], vcc
	s_cbranch_execz .LBB3883_20
; %bb.19:
	v_lshlrev_b32_e32 v10, 2, v11
	global_load_dword v10, v10, s[0:1]
.LBB3883_20:
	s_or_b64 exec, exec, s[2:3]
	s_waitcnt vmcnt(0)
	ds_write2st64_b32 v20, v1, v2 offset1:2
	ds_write2st64_b32 v20, v3, v4 offset0:4 offset1:6
	ds_write2st64_b32 v20, v5, v6 offset0:8 offset1:10
	;; [unrolled: 1-line block ×4, first 2 shown]
	v_mad_u32_u24 v1, v0, 36, v20
	s_waitcnt lgkmcnt(0)
	s_barrier
	ds_read2_b64 v[6:9], v1 offset1:1
	ds_read2_b64 v[2:5], v1 offset0:2 offset1:3
	ds_read_b64 v[18:19], v1 offset:32
	v_lshrrev_b32_e32 v21, 3, v0
	v_and_b32_e32 v21, 12, v21
	s_waitcnt lgkmcnt(2)
	v_max_i32_e32 v1, v6, v7
	v_max_i32_e32 v14, v1, v8
	v_max_i32_e32 v15, v14, v9
	s_waitcnt lgkmcnt(1)
	v_max_i32_e32 v10, v15, v2
	v_max_i32_e32 v11, v10, v3
	;; [unrolled: 1-line block ×4, first 2 shown]
	s_waitcnt lgkmcnt(0)
	v_max_i32_e32 v16, v13, v18
	v_max_i32_e32 v17, v16, v19
	v_add_u32_e32 v21, v20, v21
	v_cmp_gt_u32_e32 vcc, 64, v0
	s_barrier
	ds_write_b32 v21, v17
	s_waitcnt lgkmcnt(0)
	s_barrier
	s_and_saveexec_b64 s[0:1], vcc
	s_cbranch_execz .LBB3883_22
; %bb.21:
	v_lshlrev_b32_e32 v21, 1, v0
	v_lshrrev_b32_e32 v22, 4, v0
	v_add_lshl_u32 v21, v22, v21, 2
	ds_read2_b32 v[22:23], v21 offset1:1
	v_mbcnt_lo_u32_b32 v24, -1, 0
	v_mbcnt_hi_u32_b32 v24, -1, v24
	v_and_b32_e32 v25, 15, v24
	v_cmp_eq_u32_e32 vcc, 0, v25
	s_waitcnt lgkmcnt(0)
	v_max_i32_e32 v23, v22, v23
	; wave barrier
	s_nop 1
	v_mov_b32_dpp v26, v23 row_shr:1 row_mask:0xf bank_mask:0xf
	v_max_i32_e32 v26, v26, v23
	v_cndmask_b32_e32 v23, v26, v23, vcc
	v_cmp_lt_u32_e32 vcc, 1, v25
	s_nop 0
	v_mov_b32_dpp v26, v23 row_shr:2 row_mask:0xf bank_mask:0xf
	v_max_i32_e32 v26, v26, v23
	v_cndmask_b32_e32 v23, v23, v26, vcc
	v_cmp_lt_u32_e32 vcc, 3, v25
	;; [unrolled: 5-line block ×3, first 2 shown]
	s_nop 0
	v_mov_b32_dpp v26, v23 row_shr:8 row_mask:0xf bank_mask:0xf
	v_max_i32_e32 v26, v26, v23
	v_cndmask_b32_e32 v23, v23, v26, vcc
	v_and_b32_e32 v26, 16, v24
	v_cmp_eq_u32_e32 vcc, 0, v26
	v_mov_b32_dpp v25, v23 row_bcast:15 row_mask:0xf bank_mask:0xf
	v_max_i32_e32 v25, v25, v23
	v_cndmask_b32_e32 v23, v25, v23, vcc
	v_cmp_lt_u32_e32 vcc, 31, v24
	v_and_b32_e32 v26, 64, v24
	v_mov_b32_dpp v25, v23 row_bcast:31 row_mask:0xf bank_mask:0xf
	v_max_i32_e32 v25, v25, v23
	v_cndmask_b32_e32 v23, v23, v25, vcc
	v_add_u32_e32 v25, -1, v24
	v_cmp_lt_i32_e32 vcc, v25, v26
	v_cndmask_b32_e32 v24, v25, v24, vcc
	v_lshlrev_b32_e32 v24, 2, v24
	ds_bpermute_b32 v23, v24, v23
	v_cmp_eq_u32_e32 vcc, 0, v0
	s_waitcnt lgkmcnt(0)
	v_max_i32_e32 v22, v23, v22
	v_cndmask_b32_e32 v22, v22, v17, vcc
	ds_write_b32 v21, v22
	; wave barrier
	ds_read_b32 v23, v21 offset:4
	s_waitcnt lgkmcnt(0)
	v_max_i32_e32 v22, v22, v23
	ds_write_b32 v21, v22 offset:4
.LBB3883_22:
	s_or_b64 exec, exec, s[0:1]
	v_cmp_ne_u32_e32 vcc, 0, v0
	v_mov_b32_e32 v22, v17
	s_waitcnt lgkmcnt(0)
	s_barrier
	s_and_saveexec_b64 s[0:1], vcc
	s_cbranch_execz .LBB3883_24
; %bb.23:
	v_add_u32_e32 v21, -1, v0
	v_lshrrev_b32_e32 v22, 5, v21
	v_add_lshl_u32 v21, v22, v21, 2
	ds_read_b32 v22, v21
.LBB3883_24:
	s_or_b64 exec, exec, s[0:1]
	v_mul_u32_u24_e32 v21, 36, v0
	v_mov_b32_e32 v0, v6
	s_and_saveexec_b64 s[0:1], vcc
	s_cbranch_execz .LBB3883_26
; %bb.25:
	s_waitcnt lgkmcnt(0)
	v_max_i32_e32 v0, v22, v6
	v_max_i32_e32 v1, v0, v7
	;; [unrolled: 1-line block ×10, first 2 shown]
	;;#ASMSTART
	;;#ASMEND
.LBB3883_26:
	s_or_b64 exec, exec, s[0:1]
	v_add_u32_e32 v2, v20, v21
	s_waitcnt lgkmcnt(0)
	s_barrier
	ds_write2_b64 v2, v[0:1], v[14:15] offset1:1
	ds_write2_b64 v2, v[10:11], v[12:13] offset0:2 offset1:3
	ds_write_b64 v2, v[16:17] offset:32
	s_waitcnt lgkmcnt(0)
	s_barrier
	s_endpgm
	.section	.rodata,"a",@progbits
	.p2align	6, 0x0
	.amdhsa_kernel _ZN7rocprim17ROCPRIM_400000_NS6detail17trampoline_kernelINS0_14default_configENS1_20scan_config_selectorIiEEZZNS1_9scan_implILNS1_25lookback_scan_determinismE0ELb0ELb0ES3_N6thrust23THRUST_200600_302600_NS6detail15normal_iteratorINS9_10device_ptrIiEEEENS9_16discard_iteratorINS9_11use_defaultEEEi11max_functorIiEiEEDaPvRmT3_T4_T5_mT6_P12ihipStream_tbENKUlT_T0_E_clISt17integral_constantIbLb1EESX_EEDaSS_ST_EUlSS_E0_NS1_11comp_targetILNS1_3genE4ELNS1_11target_archE910ELNS1_3gpuE8ELNS1_3repE0EEENS1_30default_config_static_selectorELNS0_4arch9wavefront6targetE1EEEvT1_
		.amdhsa_group_segment_fixed_size 5120
		.amdhsa_private_segment_fixed_size 0
		.amdhsa_kernarg_size 40
		.amdhsa_user_sgpr_count 6
		.amdhsa_user_sgpr_private_segment_buffer 1
		.amdhsa_user_sgpr_dispatch_ptr 0
		.amdhsa_user_sgpr_queue_ptr 0
		.amdhsa_user_sgpr_kernarg_segment_ptr 1
		.amdhsa_user_sgpr_dispatch_id 0
		.amdhsa_user_sgpr_flat_scratch_init 0
		.amdhsa_user_sgpr_kernarg_preload_length 0
		.amdhsa_user_sgpr_kernarg_preload_offset 0
		.amdhsa_user_sgpr_private_segment_size 0
		.amdhsa_uses_dynamic_stack 0
		.amdhsa_system_sgpr_private_segment_wavefront_offset 0
		.amdhsa_system_sgpr_workgroup_id_x 1
		.amdhsa_system_sgpr_workgroup_id_y 0
		.amdhsa_system_sgpr_workgroup_id_z 0
		.amdhsa_system_sgpr_workgroup_info 0
		.amdhsa_system_vgpr_workitem_id 0
		.amdhsa_next_free_vgpr 27
		.amdhsa_next_free_sgpr 6
		.amdhsa_accum_offset 28
		.amdhsa_reserve_vcc 1
		.amdhsa_reserve_flat_scratch 0
		.amdhsa_float_round_mode_32 0
		.amdhsa_float_round_mode_16_64 0
		.amdhsa_float_denorm_mode_32 3
		.amdhsa_float_denorm_mode_16_64 3
		.amdhsa_dx10_clamp 1
		.amdhsa_ieee_mode 1
		.amdhsa_fp16_overflow 0
		.amdhsa_tg_split 0
		.amdhsa_exception_fp_ieee_invalid_op 0
		.amdhsa_exception_fp_denorm_src 0
		.amdhsa_exception_fp_ieee_div_zero 0
		.amdhsa_exception_fp_ieee_overflow 0
		.amdhsa_exception_fp_ieee_underflow 0
		.amdhsa_exception_fp_ieee_inexact 0
		.amdhsa_exception_int_div_zero 0
	.end_amdhsa_kernel
	.section	.text._ZN7rocprim17ROCPRIM_400000_NS6detail17trampoline_kernelINS0_14default_configENS1_20scan_config_selectorIiEEZZNS1_9scan_implILNS1_25lookback_scan_determinismE0ELb0ELb0ES3_N6thrust23THRUST_200600_302600_NS6detail15normal_iteratorINS9_10device_ptrIiEEEENS9_16discard_iteratorINS9_11use_defaultEEEi11max_functorIiEiEEDaPvRmT3_T4_T5_mT6_P12ihipStream_tbENKUlT_T0_E_clISt17integral_constantIbLb1EESX_EEDaSS_ST_EUlSS_E0_NS1_11comp_targetILNS1_3genE4ELNS1_11target_archE910ELNS1_3gpuE8ELNS1_3repE0EEENS1_30default_config_static_selectorELNS0_4arch9wavefront6targetE1EEEvT1_,"axG",@progbits,_ZN7rocprim17ROCPRIM_400000_NS6detail17trampoline_kernelINS0_14default_configENS1_20scan_config_selectorIiEEZZNS1_9scan_implILNS1_25lookback_scan_determinismE0ELb0ELb0ES3_N6thrust23THRUST_200600_302600_NS6detail15normal_iteratorINS9_10device_ptrIiEEEENS9_16discard_iteratorINS9_11use_defaultEEEi11max_functorIiEiEEDaPvRmT3_T4_T5_mT6_P12ihipStream_tbENKUlT_T0_E_clISt17integral_constantIbLb1EESX_EEDaSS_ST_EUlSS_E0_NS1_11comp_targetILNS1_3genE4ELNS1_11target_archE910ELNS1_3gpuE8ELNS1_3repE0EEENS1_30default_config_static_selectorELNS0_4arch9wavefront6targetE1EEEvT1_,comdat
.Lfunc_end3883:
	.size	_ZN7rocprim17ROCPRIM_400000_NS6detail17trampoline_kernelINS0_14default_configENS1_20scan_config_selectorIiEEZZNS1_9scan_implILNS1_25lookback_scan_determinismE0ELb0ELb0ES3_N6thrust23THRUST_200600_302600_NS6detail15normal_iteratorINS9_10device_ptrIiEEEENS9_16discard_iteratorINS9_11use_defaultEEEi11max_functorIiEiEEDaPvRmT3_T4_T5_mT6_P12ihipStream_tbENKUlT_T0_E_clISt17integral_constantIbLb1EESX_EEDaSS_ST_EUlSS_E0_NS1_11comp_targetILNS1_3genE4ELNS1_11target_archE910ELNS1_3gpuE8ELNS1_3repE0EEENS1_30default_config_static_selectorELNS0_4arch9wavefront6targetE1EEEvT1_, .Lfunc_end3883-_ZN7rocprim17ROCPRIM_400000_NS6detail17trampoline_kernelINS0_14default_configENS1_20scan_config_selectorIiEEZZNS1_9scan_implILNS1_25lookback_scan_determinismE0ELb0ELb0ES3_N6thrust23THRUST_200600_302600_NS6detail15normal_iteratorINS9_10device_ptrIiEEEENS9_16discard_iteratorINS9_11use_defaultEEEi11max_functorIiEiEEDaPvRmT3_T4_T5_mT6_P12ihipStream_tbENKUlT_T0_E_clISt17integral_constantIbLb1EESX_EEDaSS_ST_EUlSS_E0_NS1_11comp_targetILNS1_3genE4ELNS1_11target_archE910ELNS1_3gpuE8ELNS1_3repE0EEENS1_30default_config_static_selectorELNS0_4arch9wavefront6targetE1EEEvT1_
                                        ; -- End function
	.section	.AMDGPU.csdata,"",@progbits
; Kernel info:
; codeLenInByte = 1000
; NumSgprs: 10
; NumVgprs: 27
; NumAgprs: 0
; TotalNumVgprs: 27
; ScratchSize: 0
; MemoryBound: 0
; FloatMode: 240
; IeeeMode: 1
; LDSByteSize: 5120 bytes/workgroup (compile time only)
; SGPRBlocks: 1
; VGPRBlocks: 3
; NumSGPRsForWavesPerEU: 10
; NumVGPRsForWavesPerEU: 27
; AccumOffset: 28
; Occupancy: 6
; WaveLimiterHint : 0
; COMPUTE_PGM_RSRC2:SCRATCH_EN: 0
; COMPUTE_PGM_RSRC2:USER_SGPR: 6
; COMPUTE_PGM_RSRC2:TRAP_HANDLER: 0
; COMPUTE_PGM_RSRC2:TGID_X_EN: 1
; COMPUTE_PGM_RSRC2:TGID_Y_EN: 0
; COMPUTE_PGM_RSRC2:TGID_Z_EN: 0
; COMPUTE_PGM_RSRC2:TIDIG_COMP_CNT: 0
; COMPUTE_PGM_RSRC3_GFX90A:ACCUM_OFFSET: 6
; COMPUTE_PGM_RSRC3_GFX90A:TG_SPLIT: 0
	.section	.text._ZN7rocprim17ROCPRIM_400000_NS6detail17trampoline_kernelINS0_14default_configENS1_20scan_config_selectorIiEEZZNS1_9scan_implILNS1_25lookback_scan_determinismE0ELb0ELb0ES3_N6thrust23THRUST_200600_302600_NS6detail15normal_iteratorINS9_10device_ptrIiEEEENS9_16discard_iteratorINS9_11use_defaultEEEi11max_functorIiEiEEDaPvRmT3_T4_T5_mT6_P12ihipStream_tbENKUlT_T0_E_clISt17integral_constantIbLb1EESX_EEDaSS_ST_EUlSS_E0_NS1_11comp_targetILNS1_3genE3ELNS1_11target_archE908ELNS1_3gpuE7ELNS1_3repE0EEENS1_30default_config_static_selectorELNS0_4arch9wavefront6targetE1EEEvT1_,"axG",@progbits,_ZN7rocprim17ROCPRIM_400000_NS6detail17trampoline_kernelINS0_14default_configENS1_20scan_config_selectorIiEEZZNS1_9scan_implILNS1_25lookback_scan_determinismE0ELb0ELb0ES3_N6thrust23THRUST_200600_302600_NS6detail15normal_iteratorINS9_10device_ptrIiEEEENS9_16discard_iteratorINS9_11use_defaultEEEi11max_functorIiEiEEDaPvRmT3_T4_T5_mT6_P12ihipStream_tbENKUlT_T0_E_clISt17integral_constantIbLb1EESX_EEDaSS_ST_EUlSS_E0_NS1_11comp_targetILNS1_3genE3ELNS1_11target_archE908ELNS1_3gpuE7ELNS1_3repE0EEENS1_30default_config_static_selectorELNS0_4arch9wavefront6targetE1EEEvT1_,comdat
	.protected	_ZN7rocprim17ROCPRIM_400000_NS6detail17trampoline_kernelINS0_14default_configENS1_20scan_config_selectorIiEEZZNS1_9scan_implILNS1_25lookback_scan_determinismE0ELb0ELb0ES3_N6thrust23THRUST_200600_302600_NS6detail15normal_iteratorINS9_10device_ptrIiEEEENS9_16discard_iteratorINS9_11use_defaultEEEi11max_functorIiEiEEDaPvRmT3_T4_T5_mT6_P12ihipStream_tbENKUlT_T0_E_clISt17integral_constantIbLb1EESX_EEDaSS_ST_EUlSS_E0_NS1_11comp_targetILNS1_3genE3ELNS1_11target_archE908ELNS1_3gpuE7ELNS1_3repE0EEENS1_30default_config_static_selectorELNS0_4arch9wavefront6targetE1EEEvT1_ ; -- Begin function _ZN7rocprim17ROCPRIM_400000_NS6detail17trampoline_kernelINS0_14default_configENS1_20scan_config_selectorIiEEZZNS1_9scan_implILNS1_25lookback_scan_determinismE0ELb0ELb0ES3_N6thrust23THRUST_200600_302600_NS6detail15normal_iteratorINS9_10device_ptrIiEEEENS9_16discard_iteratorINS9_11use_defaultEEEi11max_functorIiEiEEDaPvRmT3_T4_T5_mT6_P12ihipStream_tbENKUlT_T0_E_clISt17integral_constantIbLb1EESX_EEDaSS_ST_EUlSS_E0_NS1_11comp_targetILNS1_3genE3ELNS1_11target_archE908ELNS1_3gpuE7ELNS1_3repE0EEENS1_30default_config_static_selectorELNS0_4arch9wavefront6targetE1EEEvT1_
	.globl	_ZN7rocprim17ROCPRIM_400000_NS6detail17trampoline_kernelINS0_14default_configENS1_20scan_config_selectorIiEEZZNS1_9scan_implILNS1_25lookback_scan_determinismE0ELb0ELb0ES3_N6thrust23THRUST_200600_302600_NS6detail15normal_iteratorINS9_10device_ptrIiEEEENS9_16discard_iteratorINS9_11use_defaultEEEi11max_functorIiEiEEDaPvRmT3_T4_T5_mT6_P12ihipStream_tbENKUlT_T0_E_clISt17integral_constantIbLb1EESX_EEDaSS_ST_EUlSS_E0_NS1_11comp_targetILNS1_3genE3ELNS1_11target_archE908ELNS1_3gpuE7ELNS1_3repE0EEENS1_30default_config_static_selectorELNS0_4arch9wavefront6targetE1EEEvT1_
	.p2align	8
	.type	_ZN7rocprim17ROCPRIM_400000_NS6detail17trampoline_kernelINS0_14default_configENS1_20scan_config_selectorIiEEZZNS1_9scan_implILNS1_25lookback_scan_determinismE0ELb0ELb0ES3_N6thrust23THRUST_200600_302600_NS6detail15normal_iteratorINS9_10device_ptrIiEEEENS9_16discard_iteratorINS9_11use_defaultEEEi11max_functorIiEiEEDaPvRmT3_T4_T5_mT6_P12ihipStream_tbENKUlT_T0_E_clISt17integral_constantIbLb1EESX_EEDaSS_ST_EUlSS_E0_NS1_11comp_targetILNS1_3genE3ELNS1_11target_archE908ELNS1_3gpuE7ELNS1_3repE0EEENS1_30default_config_static_selectorELNS0_4arch9wavefront6targetE1EEEvT1_,@function
_ZN7rocprim17ROCPRIM_400000_NS6detail17trampoline_kernelINS0_14default_configENS1_20scan_config_selectorIiEEZZNS1_9scan_implILNS1_25lookback_scan_determinismE0ELb0ELb0ES3_N6thrust23THRUST_200600_302600_NS6detail15normal_iteratorINS9_10device_ptrIiEEEENS9_16discard_iteratorINS9_11use_defaultEEEi11max_functorIiEiEEDaPvRmT3_T4_T5_mT6_P12ihipStream_tbENKUlT_T0_E_clISt17integral_constantIbLb1EESX_EEDaSS_ST_EUlSS_E0_NS1_11comp_targetILNS1_3genE3ELNS1_11target_archE908ELNS1_3gpuE7ELNS1_3repE0EEENS1_30default_config_static_selectorELNS0_4arch9wavefront6targetE1EEEvT1_: ; @_ZN7rocprim17ROCPRIM_400000_NS6detail17trampoline_kernelINS0_14default_configENS1_20scan_config_selectorIiEEZZNS1_9scan_implILNS1_25lookback_scan_determinismE0ELb0ELb0ES3_N6thrust23THRUST_200600_302600_NS6detail15normal_iteratorINS9_10device_ptrIiEEEENS9_16discard_iteratorINS9_11use_defaultEEEi11max_functorIiEiEEDaPvRmT3_T4_T5_mT6_P12ihipStream_tbENKUlT_T0_E_clISt17integral_constantIbLb1EESX_EEDaSS_ST_EUlSS_E0_NS1_11comp_targetILNS1_3genE3ELNS1_11target_archE908ELNS1_3gpuE7ELNS1_3repE0EEENS1_30default_config_static_selectorELNS0_4arch9wavefront6targetE1EEEvT1_
; %bb.0:
	.section	.rodata,"a",@progbits
	.p2align	6, 0x0
	.amdhsa_kernel _ZN7rocprim17ROCPRIM_400000_NS6detail17trampoline_kernelINS0_14default_configENS1_20scan_config_selectorIiEEZZNS1_9scan_implILNS1_25lookback_scan_determinismE0ELb0ELb0ES3_N6thrust23THRUST_200600_302600_NS6detail15normal_iteratorINS9_10device_ptrIiEEEENS9_16discard_iteratorINS9_11use_defaultEEEi11max_functorIiEiEEDaPvRmT3_T4_T5_mT6_P12ihipStream_tbENKUlT_T0_E_clISt17integral_constantIbLb1EESX_EEDaSS_ST_EUlSS_E0_NS1_11comp_targetILNS1_3genE3ELNS1_11target_archE908ELNS1_3gpuE7ELNS1_3repE0EEENS1_30default_config_static_selectorELNS0_4arch9wavefront6targetE1EEEvT1_
		.amdhsa_group_segment_fixed_size 0
		.amdhsa_private_segment_fixed_size 0
		.amdhsa_kernarg_size 40
		.amdhsa_user_sgpr_count 6
		.amdhsa_user_sgpr_private_segment_buffer 1
		.amdhsa_user_sgpr_dispatch_ptr 0
		.amdhsa_user_sgpr_queue_ptr 0
		.amdhsa_user_sgpr_kernarg_segment_ptr 1
		.amdhsa_user_sgpr_dispatch_id 0
		.amdhsa_user_sgpr_flat_scratch_init 0
		.amdhsa_user_sgpr_kernarg_preload_length 0
		.amdhsa_user_sgpr_kernarg_preload_offset 0
		.amdhsa_user_sgpr_private_segment_size 0
		.amdhsa_uses_dynamic_stack 0
		.amdhsa_system_sgpr_private_segment_wavefront_offset 0
		.amdhsa_system_sgpr_workgroup_id_x 1
		.amdhsa_system_sgpr_workgroup_id_y 0
		.amdhsa_system_sgpr_workgroup_id_z 0
		.amdhsa_system_sgpr_workgroup_info 0
		.amdhsa_system_vgpr_workitem_id 0
		.amdhsa_next_free_vgpr 1
		.amdhsa_next_free_sgpr 0
		.amdhsa_accum_offset 4
		.amdhsa_reserve_vcc 0
		.amdhsa_reserve_flat_scratch 0
		.amdhsa_float_round_mode_32 0
		.amdhsa_float_round_mode_16_64 0
		.amdhsa_float_denorm_mode_32 3
		.amdhsa_float_denorm_mode_16_64 3
		.amdhsa_dx10_clamp 1
		.amdhsa_ieee_mode 1
		.amdhsa_fp16_overflow 0
		.amdhsa_tg_split 0
		.amdhsa_exception_fp_ieee_invalid_op 0
		.amdhsa_exception_fp_denorm_src 0
		.amdhsa_exception_fp_ieee_div_zero 0
		.amdhsa_exception_fp_ieee_overflow 0
		.amdhsa_exception_fp_ieee_underflow 0
		.amdhsa_exception_fp_ieee_inexact 0
		.amdhsa_exception_int_div_zero 0
	.end_amdhsa_kernel
	.section	.text._ZN7rocprim17ROCPRIM_400000_NS6detail17trampoline_kernelINS0_14default_configENS1_20scan_config_selectorIiEEZZNS1_9scan_implILNS1_25lookback_scan_determinismE0ELb0ELb0ES3_N6thrust23THRUST_200600_302600_NS6detail15normal_iteratorINS9_10device_ptrIiEEEENS9_16discard_iteratorINS9_11use_defaultEEEi11max_functorIiEiEEDaPvRmT3_T4_T5_mT6_P12ihipStream_tbENKUlT_T0_E_clISt17integral_constantIbLb1EESX_EEDaSS_ST_EUlSS_E0_NS1_11comp_targetILNS1_3genE3ELNS1_11target_archE908ELNS1_3gpuE7ELNS1_3repE0EEENS1_30default_config_static_selectorELNS0_4arch9wavefront6targetE1EEEvT1_,"axG",@progbits,_ZN7rocprim17ROCPRIM_400000_NS6detail17trampoline_kernelINS0_14default_configENS1_20scan_config_selectorIiEEZZNS1_9scan_implILNS1_25lookback_scan_determinismE0ELb0ELb0ES3_N6thrust23THRUST_200600_302600_NS6detail15normal_iteratorINS9_10device_ptrIiEEEENS9_16discard_iteratorINS9_11use_defaultEEEi11max_functorIiEiEEDaPvRmT3_T4_T5_mT6_P12ihipStream_tbENKUlT_T0_E_clISt17integral_constantIbLb1EESX_EEDaSS_ST_EUlSS_E0_NS1_11comp_targetILNS1_3genE3ELNS1_11target_archE908ELNS1_3gpuE7ELNS1_3repE0EEENS1_30default_config_static_selectorELNS0_4arch9wavefront6targetE1EEEvT1_,comdat
.Lfunc_end3884:
	.size	_ZN7rocprim17ROCPRIM_400000_NS6detail17trampoline_kernelINS0_14default_configENS1_20scan_config_selectorIiEEZZNS1_9scan_implILNS1_25lookback_scan_determinismE0ELb0ELb0ES3_N6thrust23THRUST_200600_302600_NS6detail15normal_iteratorINS9_10device_ptrIiEEEENS9_16discard_iteratorINS9_11use_defaultEEEi11max_functorIiEiEEDaPvRmT3_T4_T5_mT6_P12ihipStream_tbENKUlT_T0_E_clISt17integral_constantIbLb1EESX_EEDaSS_ST_EUlSS_E0_NS1_11comp_targetILNS1_3genE3ELNS1_11target_archE908ELNS1_3gpuE7ELNS1_3repE0EEENS1_30default_config_static_selectorELNS0_4arch9wavefront6targetE1EEEvT1_, .Lfunc_end3884-_ZN7rocprim17ROCPRIM_400000_NS6detail17trampoline_kernelINS0_14default_configENS1_20scan_config_selectorIiEEZZNS1_9scan_implILNS1_25lookback_scan_determinismE0ELb0ELb0ES3_N6thrust23THRUST_200600_302600_NS6detail15normal_iteratorINS9_10device_ptrIiEEEENS9_16discard_iteratorINS9_11use_defaultEEEi11max_functorIiEiEEDaPvRmT3_T4_T5_mT6_P12ihipStream_tbENKUlT_T0_E_clISt17integral_constantIbLb1EESX_EEDaSS_ST_EUlSS_E0_NS1_11comp_targetILNS1_3genE3ELNS1_11target_archE908ELNS1_3gpuE7ELNS1_3repE0EEENS1_30default_config_static_selectorELNS0_4arch9wavefront6targetE1EEEvT1_
                                        ; -- End function
	.section	.AMDGPU.csdata,"",@progbits
; Kernel info:
; codeLenInByte = 0
; NumSgprs: 4
; NumVgprs: 0
; NumAgprs: 0
; TotalNumVgprs: 0
; ScratchSize: 0
; MemoryBound: 0
; FloatMode: 240
; IeeeMode: 1
; LDSByteSize: 0 bytes/workgroup (compile time only)
; SGPRBlocks: 0
; VGPRBlocks: 0
; NumSGPRsForWavesPerEU: 4
; NumVGPRsForWavesPerEU: 1
; AccumOffset: 4
; Occupancy: 8
; WaveLimiterHint : 0
; COMPUTE_PGM_RSRC2:SCRATCH_EN: 0
; COMPUTE_PGM_RSRC2:USER_SGPR: 6
; COMPUTE_PGM_RSRC2:TRAP_HANDLER: 0
; COMPUTE_PGM_RSRC2:TGID_X_EN: 1
; COMPUTE_PGM_RSRC2:TGID_Y_EN: 0
; COMPUTE_PGM_RSRC2:TGID_Z_EN: 0
; COMPUTE_PGM_RSRC2:TIDIG_COMP_CNT: 0
; COMPUTE_PGM_RSRC3_GFX90A:ACCUM_OFFSET: 0
; COMPUTE_PGM_RSRC3_GFX90A:TG_SPLIT: 0
	.section	.text._ZN7rocprim17ROCPRIM_400000_NS6detail17trampoline_kernelINS0_14default_configENS1_20scan_config_selectorIiEEZZNS1_9scan_implILNS1_25lookback_scan_determinismE0ELb0ELb0ES3_N6thrust23THRUST_200600_302600_NS6detail15normal_iteratorINS9_10device_ptrIiEEEENS9_16discard_iteratorINS9_11use_defaultEEEi11max_functorIiEiEEDaPvRmT3_T4_T5_mT6_P12ihipStream_tbENKUlT_T0_E_clISt17integral_constantIbLb1EESX_EEDaSS_ST_EUlSS_E0_NS1_11comp_targetILNS1_3genE2ELNS1_11target_archE906ELNS1_3gpuE6ELNS1_3repE0EEENS1_30default_config_static_selectorELNS0_4arch9wavefront6targetE1EEEvT1_,"axG",@progbits,_ZN7rocprim17ROCPRIM_400000_NS6detail17trampoline_kernelINS0_14default_configENS1_20scan_config_selectorIiEEZZNS1_9scan_implILNS1_25lookback_scan_determinismE0ELb0ELb0ES3_N6thrust23THRUST_200600_302600_NS6detail15normal_iteratorINS9_10device_ptrIiEEEENS9_16discard_iteratorINS9_11use_defaultEEEi11max_functorIiEiEEDaPvRmT3_T4_T5_mT6_P12ihipStream_tbENKUlT_T0_E_clISt17integral_constantIbLb1EESX_EEDaSS_ST_EUlSS_E0_NS1_11comp_targetILNS1_3genE2ELNS1_11target_archE906ELNS1_3gpuE6ELNS1_3repE0EEENS1_30default_config_static_selectorELNS0_4arch9wavefront6targetE1EEEvT1_,comdat
	.protected	_ZN7rocprim17ROCPRIM_400000_NS6detail17trampoline_kernelINS0_14default_configENS1_20scan_config_selectorIiEEZZNS1_9scan_implILNS1_25lookback_scan_determinismE0ELb0ELb0ES3_N6thrust23THRUST_200600_302600_NS6detail15normal_iteratorINS9_10device_ptrIiEEEENS9_16discard_iteratorINS9_11use_defaultEEEi11max_functorIiEiEEDaPvRmT3_T4_T5_mT6_P12ihipStream_tbENKUlT_T0_E_clISt17integral_constantIbLb1EESX_EEDaSS_ST_EUlSS_E0_NS1_11comp_targetILNS1_3genE2ELNS1_11target_archE906ELNS1_3gpuE6ELNS1_3repE0EEENS1_30default_config_static_selectorELNS0_4arch9wavefront6targetE1EEEvT1_ ; -- Begin function _ZN7rocprim17ROCPRIM_400000_NS6detail17trampoline_kernelINS0_14default_configENS1_20scan_config_selectorIiEEZZNS1_9scan_implILNS1_25lookback_scan_determinismE0ELb0ELb0ES3_N6thrust23THRUST_200600_302600_NS6detail15normal_iteratorINS9_10device_ptrIiEEEENS9_16discard_iteratorINS9_11use_defaultEEEi11max_functorIiEiEEDaPvRmT3_T4_T5_mT6_P12ihipStream_tbENKUlT_T0_E_clISt17integral_constantIbLb1EESX_EEDaSS_ST_EUlSS_E0_NS1_11comp_targetILNS1_3genE2ELNS1_11target_archE906ELNS1_3gpuE6ELNS1_3repE0EEENS1_30default_config_static_selectorELNS0_4arch9wavefront6targetE1EEEvT1_
	.globl	_ZN7rocprim17ROCPRIM_400000_NS6detail17trampoline_kernelINS0_14default_configENS1_20scan_config_selectorIiEEZZNS1_9scan_implILNS1_25lookback_scan_determinismE0ELb0ELb0ES3_N6thrust23THRUST_200600_302600_NS6detail15normal_iteratorINS9_10device_ptrIiEEEENS9_16discard_iteratorINS9_11use_defaultEEEi11max_functorIiEiEEDaPvRmT3_T4_T5_mT6_P12ihipStream_tbENKUlT_T0_E_clISt17integral_constantIbLb1EESX_EEDaSS_ST_EUlSS_E0_NS1_11comp_targetILNS1_3genE2ELNS1_11target_archE906ELNS1_3gpuE6ELNS1_3repE0EEENS1_30default_config_static_selectorELNS0_4arch9wavefront6targetE1EEEvT1_
	.p2align	8
	.type	_ZN7rocprim17ROCPRIM_400000_NS6detail17trampoline_kernelINS0_14default_configENS1_20scan_config_selectorIiEEZZNS1_9scan_implILNS1_25lookback_scan_determinismE0ELb0ELb0ES3_N6thrust23THRUST_200600_302600_NS6detail15normal_iteratorINS9_10device_ptrIiEEEENS9_16discard_iteratorINS9_11use_defaultEEEi11max_functorIiEiEEDaPvRmT3_T4_T5_mT6_P12ihipStream_tbENKUlT_T0_E_clISt17integral_constantIbLb1EESX_EEDaSS_ST_EUlSS_E0_NS1_11comp_targetILNS1_3genE2ELNS1_11target_archE906ELNS1_3gpuE6ELNS1_3repE0EEENS1_30default_config_static_selectorELNS0_4arch9wavefront6targetE1EEEvT1_,@function
_ZN7rocprim17ROCPRIM_400000_NS6detail17trampoline_kernelINS0_14default_configENS1_20scan_config_selectorIiEEZZNS1_9scan_implILNS1_25lookback_scan_determinismE0ELb0ELb0ES3_N6thrust23THRUST_200600_302600_NS6detail15normal_iteratorINS9_10device_ptrIiEEEENS9_16discard_iteratorINS9_11use_defaultEEEi11max_functorIiEiEEDaPvRmT3_T4_T5_mT6_P12ihipStream_tbENKUlT_T0_E_clISt17integral_constantIbLb1EESX_EEDaSS_ST_EUlSS_E0_NS1_11comp_targetILNS1_3genE2ELNS1_11target_archE906ELNS1_3gpuE6ELNS1_3repE0EEENS1_30default_config_static_selectorELNS0_4arch9wavefront6targetE1EEEvT1_: ; @_ZN7rocprim17ROCPRIM_400000_NS6detail17trampoline_kernelINS0_14default_configENS1_20scan_config_selectorIiEEZZNS1_9scan_implILNS1_25lookback_scan_determinismE0ELb0ELb0ES3_N6thrust23THRUST_200600_302600_NS6detail15normal_iteratorINS9_10device_ptrIiEEEENS9_16discard_iteratorINS9_11use_defaultEEEi11max_functorIiEiEEDaPvRmT3_T4_T5_mT6_P12ihipStream_tbENKUlT_T0_E_clISt17integral_constantIbLb1EESX_EEDaSS_ST_EUlSS_E0_NS1_11comp_targetILNS1_3genE2ELNS1_11target_archE906ELNS1_3gpuE6ELNS1_3repE0EEENS1_30default_config_static_selectorELNS0_4arch9wavefront6targetE1EEEvT1_
; %bb.0:
	.section	.rodata,"a",@progbits
	.p2align	6, 0x0
	.amdhsa_kernel _ZN7rocprim17ROCPRIM_400000_NS6detail17trampoline_kernelINS0_14default_configENS1_20scan_config_selectorIiEEZZNS1_9scan_implILNS1_25lookback_scan_determinismE0ELb0ELb0ES3_N6thrust23THRUST_200600_302600_NS6detail15normal_iteratorINS9_10device_ptrIiEEEENS9_16discard_iteratorINS9_11use_defaultEEEi11max_functorIiEiEEDaPvRmT3_T4_T5_mT6_P12ihipStream_tbENKUlT_T0_E_clISt17integral_constantIbLb1EESX_EEDaSS_ST_EUlSS_E0_NS1_11comp_targetILNS1_3genE2ELNS1_11target_archE906ELNS1_3gpuE6ELNS1_3repE0EEENS1_30default_config_static_selectorELNS0_4arch9wavefront6targetE1EEEvT1_
		.amdhsa_group_segment_fixed_size 0
		.amdhsa_private_segment_fixed_size 0
		.amdhsa_kernarg_size 40
		.amdhsa_user_sgpr_count 6
		.amdhsa_user_sgpr_private_segment_buffer 1
		.amdhsa_user_sgpr_dispatch_ptr 0
		.amdhsa_user_sgpr_queue_ptr 0
		.amdhsa_user_sgpr_kernarg_segment_ptr 1
		.amdhsa_user_sgpr_dispatch_id 0
		.amdhsa_user_sgpr_flat_scratch_init 0
		.amdhsa_user_sgpr_kernarg_preload_length 0
		.amdhsa_user_sgpr_kernarg_preload_offset 0
		.amdhsa_user_sgpr_private_segment_size 0
		.amdhsa_uses_dynamic_stack 0
		.amdhsa_system_sgpr_private_segment_wavefront_offset 0
		.amdhsa_system_sgpr_workgroup_id_x 1
		.amdhsa_system_sgpr_workgroup_id_y 0
		.amdhsa_system_sgpr_workgroup_id_z 0
		.amdhsa_system_sgpr_workgroup_info 0
		.amdhsa_system_vgpr_workitem_id 0
		.amdhsa_next_free_vgpr 1
		.amdhsa_next_free_sgpr 0
		.amdhsa_accum_offset 4
		.amdhsa_reserve_vcc 0
		.amdhsa_reserve_flat_scratch 0
		.amdhsa_float_round_mode_32 0
		.amdhsa_float_round_mode_16_64 0
		.amdhsa_float_denorm_mode_32 3
		.amdhsa_float_denorm_mode_16_64 3
		.amdhsa_dx10_clamp 1
		.amdhsa_ieee_mode 1
		.amdhsa_fp16_overflow 0
		.amdhsa_tg_split 0
		.amdhsa_exception_fp_ieee_invalid_op 0
		.amdhsa_exception_fp_denorm_src 0
		.amdhsa_exception_fp_ieee_div_zero 0
		.amdhsa_exception_fp_ieee_overflow 0
		.amdhsa_exception_fp_ieee_underflow 0
		.amdhsa_exception_fp_ieee_inexact 0
		.amdhsa_exception_int_div_zero 0
	.end_amdhsa_kernel
	.section	.text._ZN7rocprim17ROCPRIM_400000_NS6detail17trampoline_kernelINS0_14default_configENS1_20scan_config_selectorIiEEZZNS1_9scan_implILNS1_25lookback_scan_determinismE0ELb0ELb0ES3_N6thrust23THRUST_200600_302600_NS6detail15normal_iteratorINS9_10device_ptrIiEEEENS9_16discard_iteratorINS9_11use_defaultEEEi11max_functorIiEiEEDaPvRmT3_T4_T5_mT6_P12ihipStream_tbENKUlT_T0_E_clISt17integral_constantIbLb1EESX_EEDaSS_ST_EUlSS_E0_NS1_11comp_targetILNS1_3genE2ELNS1_11target_archE906ELNS1_3gpuE6ELNS1_3repE0EEENS1_30default_config_static_selectorELNS0_4arch9wavefront6targetE1EEEvT1_,"axG",@progbits,_ZN7rocprim17ROCPRIM_400000_NS6detail17trampoline_kernelINS0_14default_configENS1_20scan_config_selectorIiEEZZNS1_9scan_implILNS1_25lookback_scan_determinismE0ELb0ELb0ES3_N6thrust23THRUST_200600_302600_NS6detail15normal_iteratorINS9_10device_ptrIiEEEENS9_16discard_iteratorINS9_11use_defaultEEEi11max_functorIiEiEEDaPvRmT3_T4_T5_mT6_P12ihipStream_tbENKUlT_T0_E_clISt17integral_constantIbLb1EESX_EEDaSS_ST_EUlSS_E0_NS1_11comp_targetILNS1_3genE2ELNS1_11target_archE906ELNS1_3gpuE6ELNS1_3repE0EEENS1_30default_config_static_selectorELNS0_4arch9wavefront6targetE1EEEvT1_,comdat
.Lfunc_end3885:
	.size	_ZN7rocprim17ROCPRIM_400000_NS6detail17trampoline_kernelINS0_14default_configENS1_20scan_config_selectorIiEEZZNS1_9scan_implILNS1_25lookback_scan_determinismE0ELb0ELb0ES3_N6thrust23THRUST_200600_302600_NS6detail15normal_iteratorINS9_10device_ptrIiEEEENS9_16discard_iteratorINS9_11use_defaultEEEi11max_functorIiEiEEDaPvRmT3_T4_T5_mT6_P12ihipStream_tbENKUlT_T0_E_clISt17integral_constantIbLb1EESX_EEDaSS_ST_EUlSS_E0_NS1_11comp_targetILNS1_3genE2ELNS1_11target_archE906ELNS1_3gpuE6ELNS1_3repE0EEENS1_30default_config_static_selectorELNS0_4arch9wavefront6targetE1EEEvT1_, .Lfunc_end3885-_ZN7rocprim17ROCPRIM_400000_NS6detail17trampoline_kernelINS0_14default_configENS1_20scan_config_selectorIiEEZZNS1_9scan_implILNS1_25lookback_scan_determinismE0ELb0ELb0ES3_N6thrust23THRUST_200600_302600_NS6detail15normal_iteratorINS9_10device_ptrIiEEEENS9_16discard_iteratorINS9_11use_defaultEEEi11max_functorIiEiEEDaPvRmT3_T4_T5_mT6_P12ihipStream_tbENKUlT_T0_E_clISt17integral_constantIbLb1EESX_EEDaSS_ST_EUlSS_E0_NS1_11comp_targetILNS1_3genE2ELNS1_11target_archE906ELNS1_3gpuE6ELNS1_3repE0EEENS1_30default_config_static_selectorELNS0_4arch9wavefront6targetE1EEEvT1_
                                        ; -- End function
	.section	.AMDGPU.csdata,"",@progbits
; Kernel info:
; codeLenInByte = 0
; NumSgprs: 4
; NumVgprs: 0
; NumAgprs: 0
; TotalNumVgprs: 0
; ScratchSize: 0
; MemoryBound: 0
; FloatMode: 240
; IeeeMode: 1
; LDSByteSize: 0 bytes/workgroup (compile time only)
; SGPRBlocks: 0
; VGPRBlocks: 0
; NumSGPRsForWavesPerEU: 4
; NumVGPRsForWavesPerEU: 1
; AccumOffset: 4
; Occupancy: 8
; WaveLimiterHint : 0
; COMPUTE_PGM_RSRC2:SCRATCH_EN: 0
; COMPUTE_PGM_RSRC2:USER_SGPR: 6
; COMPUTE_PGM_RSRC2:TRAP_HANDLER: 0
; COMPUTE_PGM_RSRC2:TGID_X_EN: 1
; COMPUTE_PGM_RSRC2:TGID_Y_EN: 0
; COMPUTE_PGM_RSRC2:TGID_Z_EN: 0
; COMPUTE_PGM_RSRC2:TIDIG_COMP_CNT: 0
; COMPUTE_PGM_RSRC3_GFX90A:ACCUM_OFFSET: 0
; COMPUTE_PGM_RSRC3_GFX90A:TG_SPLIT: 0
	.section	.text._ZN7rocprim17ROCPRIM_400000_NS6detail17trampoline_kernelINS0_14default_configENS1_20scan_config_selectorIiEEZZNS1_9scan_implILNS1_25lookback_scan_determinismE0ELb0ELb0ES3_N6thrust23THRUST_200600_302600_NS6detail15normal_iteratorINS9_10device_ptrIiEEEENS9_16discard_iteratorINS9_11use_defaultEEEi11max_functorIiEiEEDaPvRmT3_T4_T5_mT6_P12ihipStream_tbENKUlT_T0_E_clISt17integral_constantIbLb1EESX_EEDaSS_ST_EUlSS_E0_NS1_11comp_targetILNS1_3genE10ELNS1_11target_archE1201ELNS1_3gpuE5ELNS1_3repE0EEENS1_30default_config_static_selectorELNS0_4arch9wavefront6targetE1EEEvT1_,"axG",@progbits,_ZN7rocprim17ROCPRIM_400000_NS6detail17trampoline_kernelINS0_14default_configENS1_20scan_config_selectorIiEEZZNS1_9scan_implILNS1_25lookback_scan_determinismE0ELb0ELb0ES3_N6thrust23THRUST_200600_302600_NS6detail15normal_iteratorINS9_10device_ptrIiEEEENS9_16discard_iteratorINS9_11use_defaultEEEi11max_functorIiEiEEDaPvRmT3_T4_T5_mT6_P12ihipStream_tbENKUlT_T0_E_clISt17integral_constantIbLb1EESX_EEDaSS_ST_EUlSS_E0_NS1_11comp_targetILNS1_3genE10ELNS1_11target_archE1201ELNS1_3gpuE5ELNS1_3repE0EEENS1_30default_config_static_selectorELNS0_4arch9wavefront6targetE1EEEvT1_,comdat
	.protected	_ZN7rocprim17ROCPRIM_400000_NS6detail17trampoline_kernelINS0_14default_configENS1_20scan_config_selectorIiEEZZNS1_9scan_implILNS1_25lookback_scan_determinismE0ELb0ELb0ES3_N6thrust23THRUST_200600_302600_NS6detail15normal_iteratorINS9_10device_ptrIiEEEENS9_16discard_iteratorINS9_11use_defaultEEEi11max_functorIiEiEEDaPvRmT3_T4_T5_mT6_P12ihipStream_tbENKUlT_T0_E_clISt17integral_constantIbLb1EESX_EEDaSS_ST_EUlSS_E0_NS1_11comp_targetILNS1_3genE10ELNS1_11target_archE1201ELNS1_3gpuE5ELNS1_3repE0EEENS1_30default_config_static_selectorELNS0_4arch9wavefront6targetE1EEEvT1_ ; -- Begin function _ZN7rocprim17ROCPRIM_400000_NS6detail17trampoline_kernelINS0_14default_configENS1_20scan_config_selectorIiEEZZNS1_9scan_implILNS1_25lookback_scan_determinismE0ELb0ELb0ES3_N6thrust23THRUST_200600_302600_NS6detail15normal_iteratorINS9_10device_ptrIiEEEENS9_16discard_iteratorINS9_11use_defaultEEEi11max_functorIiEiEEDaPvRmT3_T4_T5_mT6_P12ihipStream_tbENKUlT_T0_E_clISt17integral_constantIbLb1EESX_EEDaSS_ST_EUlSS_E0_NS1_11comp_targetILNS1_3genE10ELNS1_11target_archE1201ELNS1_3gpuE5ELNS1_3repE0EEENS1_30default_config_static_selectorELNS0_4arch9wavefront6targetE1EEEvT1_
	.globl	_ZN7rocprim17ROCPRIM_400000_NS6detail17trampoline_kernelINS0_14default_configENS1_20scan_config_selectorIiEEZZNS1_9scan_implILNS1_25lookback_scan_determinismE0ELb0ELb0ES3_N6thrust23THRUST_200600_302600_NS6detail15normal_iteratorINS9_10device_ptrIiEEEENS9_16discard_iteratorINS9_11use_defaultEEEi11max_functorIiEiEEDaPvRmT3_T4_T5_mT6_P12ihipStream_tbENKUlT_T0_E_clISt17integral_constantIbLb1EESX_EEDaSS_ST_EUlSS_E0_NS1_11comp_targetILNS1_3genE10ELNS1_11target_archE1201ELNS1_3gpuE5ELNS1_3repE0EEENS1_30default_config_static_selectorELNS0_4arch9wavefront6targetE1EEEvT1_
	.p2align	8
	.type	_ZN7rocprim17ROCPRIM_400000_NS6detail17trampoline_kernelINS0_14default_configENS1_20scan_config_selectorIiEEZZNS1_9scan_implILNS1_25lookback_scan_determinismE0ELb0ELb0ES3_N6thrust23THRUST_200600_302600_NS6detail15normal_iteratorINS9_10device_ptrIiEEEENS9_16discard_iteratorINS9_11use_defaultEEEi11max_functorIiEiEEDaPvRmT3_T4_T5_mT6_P12ihipStream_tbENKUlT_T0_E_clISt17integral_constantIbLb1EESX_EEDaSS_ST_EUlSS_E0_NS1_11comp_targetILNS1_3genE10ELNS1_11target_archE1201ELNS1_3gpuE5ELNS1_3repE0EEENS1_30default_config_static_selectorELNS0_4arch9wavefront6targetE1EEEvT1_,@function
_ZN7rocprim17ROCPRIM_400000_NS6detail17trampoline_kernelINS0_14default_configENS1_20scan_config_selectorIiEEZZNS1_9scan_implILNS1_25lookback_scan_determinismE0ELb0ELb0ES3_N6thrust23THRUST_200600_302600_NS6detail15normal_iteratorINS9_10device_ptrIiEEEENS9_16discard_iteratorINS9_11use_defaultEEEi11max_functorIiEiEEDaPvRmT3_T4_T5_mT6_P12ihipStream_tbENKUlT_T0_E_clISt17integral_constantIbLb1EESX_EEDaSS_ST_EUlSS_E0_NS1_11comp_targetILNS1_3genE10ELNS1_11target_archE1201ELNS1_3gpuE5ELNS1_3repE0EEENS1_30default_config_static_selectorELNS0_4arch9wavefront6targetE1EEEvT1_: ; @_ZN7rocprim17ROCPRIM_400000_NS6detail17trampoline_kernelINS0_14default_configENS1_20scan_config_selectorIiEEZZNS1_9scan_implILNS1_25lookback_scan_determinismE0ELb0ELb0ES3_N6thrust23THRUST_200600_302600_NS6detail15normal_iteratorINS9_10device_ptrIiEEEENS9_16discard_iteratorINS9_11use_defaultEEEi11max_functorIiEiEEDaPvRmT3_T4_T5_mT6_P12ihipStream_tbENKUlT_T0_E_clISt17integral_constantIbLb1EESX_EEDaSS_ST_EUlSS_E0_NS1_11comp_targetILNS1_3genE10ELNS1_11target_archE1201ELNS1_3gpuE5ELNS1_3repE0EEENS1_30default_config_static_selectorELNS0_4arch9wavefront6targetE1EEEvT1_
; %bb.0:
	.section	.rodata,"a",@progbits
	.p2align	6, 0x0
	.amdhsa_kernel _ZN7rocprim17ROCPRIM_400000_NS6detail17trampoline_kernelINS0_14default_configENS1_20scan_config_selectorIiEEZZNS1_9scan_implILNS1_25lookback_scan_determinismE0ELb0ELb0ES3_N6thrust23THRUST_200600_302600_NS6detail15normal_iteratorINS9_10device_ptrIiEEEENS9_16discard_iteratorINS9_11use_defaultEEEi11max_functorIiEiEEDaPvRmT3_T4_T5_mT6_P12ihipStream_tbENKUlT_T0_E_clISt17integral_constantIbLb1EESX_EEDaSS_ST_EUlSS_E0_NS1_11comp_targetILNS1_3genE10ELNS1_11target_archE1201ELNS1_3gpuE5ELNS1_3repE0EEENS1_30default_config_static_selectorELNS0_4arch9wavefront6targetE1EEEvT1_
		.amdhsa_group_segment_fixed_size 0
		.amdhsa_private_segment_fixed_size 0
		.amdhsa_kernarg_size 40
		.amdhsa_user_sgpr_count 6
		.amdhsa_user_sgpr_private_segment_buffer 1
		.amdhsa_user_sgpr_dispatch_ptr 0
		.amdhsa_user_sgpr_queue_ptr 0
		.amdhsa_user_sgpr_kernarg_segment_ptr 1
		.amdhsa_user_sgpr_dispatch_id 0
		.amdhsa_user_sgpr_flat_scratch_init 0
		.amdhsa_user_sgpr_kernarg_preload_length 0
		.amdhsa_user_sgpr_kernarg_preload_offset 0
		.amdhsa_user_sgpr_private_segment_size 0
		.amdhsa_uses_dynamic_stack 0
		.amdhsa_system_sgpr_private_segment_wavefront_offset 0
		.amdhsa_system_sgpr_workgroup_id_x 1
		.amdhsa_system_sgpr_workgroup_id_y 0
		.amdhsa_system_sgpr_workgroup_id_z 0
		.amdhsa_system_sgpr_workgroup_info 0
		.amdhsa_system_vgpr_workitem_id 0
		.amdhsa_next_free_vgpr 1
		.amdhsa_next_free_sgpr 0
		.amdhsa_accum_offset 4
		.amdhsa_reserve_vcc 0
		.amdhsa_reserve_flat_scratch 0
		.amdhsa_float_round_mode_32 0
		.amdhsa_float_round_mode_16_64 0
		.amdhsa_float_denorm_mode_32 3
		.amdhsa_float_denorm_mode_16_64 3
		.amdhsa_dx10_clamp 1
		.amdhsa_ieee_mode 1
		.amdhsa_fp16_overflow 0
		.amdhsa_tg_split 0
		.amdhsa_exception_fp_ieee_invalid_op 0
		.amdhsa_exception_fp_denorm_src 0
		.amdhsa_exception_fp_ieee_div_zero 0
		.amdhsa_exception_fp_ieee_overflow 0
		.amdhsa_exception_fp_ieee_underflow 0
		.amdhsa_exception_fp_ieee_inexact 0
		.amdhsa_exception_int_div_zero 0
	.end_amdhsa_kernel
	.section	.text._ZN7rocprim17ROCPRIM_400000_NS6detail17trampoline_kernelINS0_14default_configENS1_20scan_config_selectorIiEEZZNS1_9scan_implILNS1_25lookback_scan_determinismE0ELb0ELb0ES3_N6thrust23THRUST_200600_302600_NS6detail15normal_iteratorINS9_10device_ptrIiEEEENS9_16discard_iteratorINS9_11use_defaultEEEi11max_functorIiEiEEDaPvRmT3_T4_T5_mT6_P12ihipStream_tbENKUlT_T0_E_clISt17integral_constantIbLb1EESX_EEDaSS_ST_EUlSS_E0_NS1_11comp_targetILNS1_3genE10ELNS1_11target_archE1201ELNS1_3gpuE5ELNS1_3repE0EEENS1_30default_config_static_selectorELNS0_4arch9wavefront6targetE1EEEvT1_,"axG",@progbits,_ZN7rocprim17ROCPRIM_400000_NS6detail17trampoline_kernelINS0_14default_configENS1_20scan_config_selectorIiEEZZNS1_9scan_implILNS1_25lookback_scan_determinismE0ELb0ELb0ES3_N6thrust23THRUST_200600_302600_NS6detail15normal_iteratorINS9_10device_ptrIiEEEENS9_16discard_iteratorINS9_11use_defaultEEEi11max_functorIiEiEEDaPvRmT3_T4_T5_mT6_P12ihipStream_tbENKUlT_T0_E_clISt17integral_constantIbLb1EESX_EEDaSS_ST_EUlSS_E0_NS1_11comp_targetILNS1_3genE10ELNS1_11target_archE1201ELNS1_3gpuE5ELNS1_3repE0EEENS1_30default_config_static_selectorELNS0_4arch9wavefront6targetE1EEEvT1_,comdat
.Lfunc_end3886:
	.size	_ZN7rocprim17ROCPRIM_400000_NS6detail17trampoline_kernelINS0_14default_configENS1_20scan_config_selectorIiEEZZNS1_9scan_implILNS1_25lookback_scan_determinismE0ELb0ELb0ES3_N6thrust23THRUST_200600_302600_NS6detail15normal_iteratorINS9_10device_ptrIiEEEENS9_16discard_iteratorINS9_11use_defaultEEEi11max_functorIiEiEEDaPvRmT3_T4_T5_mT6_P12ihipStream_tbENKUlT_T0_E_clISt17integral_constantIbLb1EESX_EEDaSS_ST_EUlSS_E0_NS1_11comp_targetILNS1_3genE10ELNS1_11target_archE1201ELNS1_3gpuE5ELNS1_3repE0EEENS1_30default_config_static_selectorELNS0_4arch9wavefront6targetE1EEEvT1_, .Lfunc_end3886-_ZN7rocprim17ROCPRIM_400000_NS6detail17trampoline_kernelINS0_14default_configENS1_20scan_config_selectorIiEEZZNS1_9scan_implILNS1_25lookback_scan_determinismE0ELb0ELb0ES3_N6thrust23THRUST_200600_302600_NS6detail15normal_iteratorINS9_10device_ptrIiEEEENS9_16discard_iteratorINS9_11use_defaultEEEi11max_functorIiEiEEDaPvRmT3_T4_T5_mT6_P12ihipStream_tbENKUlT_T0_E_clISt17integral_constantIbLb1EESX_EEDaSS_ST_EUlSS_E0_NS1_11comp_targetILNS1_3genE10ELNS1_11target_archE1201ELNS1_3gpuE5ELNS1_3repE0EEENS1_30default_config_static_selectorELNS0_4arch9wavefront6targetE1EEEvT1_
                                        ; -- End function
	.section	.AMDGPU.csdata,"",@progbits
; Kernel info:
; codeLenInByte = 0
; NumSgprs: 4
; NumVgprs: 0
; NumAgprs: 0
; TotalNumVgprs: 0
; ScratchSize: 0
; MemoryBound: 0
; FloatMode: 240
; IeeeMode: 1
; LDSByteSize: 0 bytes/workgroup (compile time only)
; SGPRBlocks: 0
; VGPRBlocks: 0
; NumSGPRsForWavesPerEU: 4
; NumVGPRsForWavesPerEU: 1
; AccumOffset: 4
; Occupancy: 8
; WaveLimiterHint : 0
; COMPUTE_PGM_RSRC2:SCRATCH_EN: 0
; COMPUTE_PGM_RSRC2:USER_SGPR: 6
; COMPUTE_PGM_RSRC2:TRAP_HANDLER: 0
; COMPUTE_PGM_RSRC2:TGID_X_EN: 1
; COMPUTE_PGM_RSRC2:TGID_Y_EN: 0
; COMPUTE_PGM_RSRC2:TGID_Z_EN: 0
; COMPUTE_PGM_RSRC2:TIDIG_COMP_CNT: 0
; COMPUTE_PGM_RSRC3_GFX90A:ACCUM_OFFSET: 0
; COMPUTE_PGM_RSRC3_GFX90A:TG_SPLIT: 0
	.section	.text._ZN7rocprim17ROCPRIM_400000_NS6detail17trampoline_kernelINS0_14default_configENS1_20scan_config_selectorIiEEZZNS1_9scan_implILNS1_25lookback_scan_determinismE0ELb0ELb0ES3_N6thrust23THRUST_200600_302600_NS6detail15normal_iteratorINS9_10device_ptrIiEEEENS9_16discard_iteratorINS9_11use_defaultEEEi11max_functorIiEiEEDaPvRmT3_T4_T5_mT6_P12ihipStream_tbENKUlT_T0_E_clISt17integral_constantIbLb1EESX_EEDaSS_ST_EUlSS_E0_NS1_11comp_targetILNS1_3genE10ELNS1_11target_archE1200ELNS1_3gpuE4ELNS1_3repE0EEENS1_30default_config_static_selectorELNS0_4arch9wavefront6targetE1EEEvT1_,"axG",@progbits,_ZN7rocprim17ROCPRIM_400000_NS6detail17trampoline_kernelINS0_14default_configENS1_20scan_config_selectorIiEEZZNS1_9scan_implILNS1_25lookback_scan_determinismE0ELb0ELb0ES3_N6thrust23THRUST_200600_302600_NS6detail15normal_iteratorINS9_10device_ptrIiEEEENS9_16discard_iteratorINS9_11use_defaultEEEi11max_functorIiEiEEDaPvRmT3_T4_T5_mT6_P12ihipStream_tbENKUlT_T0_E_clISt17integral_constantIbLb1EESX_EEDaSS_ST_EUlSS_E0_NS1_11comp_targetILNS1_3genE10ELNS1_11target_archE1200ELNS1_3gpuE4ELNS1_3repE0EEENS1_30default_config_static_selectorELNS0_4arch9wavefront6targetE1EEEvT1_,comdat
	.protected	_ZN7rocprim17ROCPRIM_400000_NS6detail17trampoline_kernelINS0_14default_configENS1_20scan_config_selectorIiEEZZNS1_9scan_implILNS1_25lookback_scan_determinismE0ELb0ELb0ES3_N6thrust23THRUST_200600_302600_NS6detail15normal_iteratorINS9_10device_ptrIiEEEENS9_16discard_iteratorINS9_11use_defaultEEEi11max_functorIiEiEEDaPvRmT3_T4_T5_mT6_P12ihipStream_tbENKUlT_T0_E_clISt17integral_constantIbLb1EESX_EEDaSS_ST_EUlSS_E0_NS1_11comp_targetILNS1_3genE10ELNS1_11target_archE1200ELNS1_3gpuE4ELNS1_3repE0EEENS1_30default_config_static_selectorELNS0_4arch9wavefront6targetE1EEEvT1_ ; -- Begin function _ZN7rocprim17ROCPRIM_400000_NS6detail17trampoline_kernelINS0_14default_configENS1_20scan_config_selectorIiEEZZNS1_9scan_implILNS1_25lookback_scan_determinismE0ELb0ELb0ES3_N6thrust23THRUST_200600_302600_NS6detail15normal_iteratorINS9_10device_ptrIiEEEENS9_16discard_iteratorINS9_11use_defaultEEEi11max_functorIiEiEEDaPvRmT3_T4_T5_mT6_P12ihipStream_tbENKUlT_T0_E_clISt17integral_constantIbLb1EESX_EEDaSS_ST_EUlSS_E0_NS1_11comp_targetILNS1_3genE10ELNS1_11target_archE1200ELNS1_3gpuE4ELNS1_3repE0EEENS1_30default_config_static_selectorELNS0_4arch9wavefront6targetE1EEEvT1_
	.globl	_ZN7rocprim17ROCPRIM_400000_NS6detail17trampoline_kernelINS0_14default_configENS1_20scan_config_selectorIiEEZZNS1_9scan_implILNS1_25lookback_scan_determinismE0ELb0ELb0ES3_N6thrust23THRUST_200600_302600_NS6detail15normal_iteratorINS9_10device_ptrIiEEEENS9_16discard_iteratorINS9_11use_defaultEEEi11max_functorIiEiEEDaPvRmT3_T4_T5_mT6_P12ihipStream_tbENKUlT_T0_E_clISt17integral_constantIbLb1EESX_EEDaSS_ST_EUlSS_E0_NS1_11comp_targetILNS1_3genE10ELNS1_11target_archE1200ELNS1_3gpuE4ELNS1_3repE0EEENS1_30default_config_static_selectorELNS0_4arch9wavefront6targetE1EEEvT1_
	.p2align	8
	.type	_ZN7rocprim17ROCPRIM_400000_NS6detail17trampoline_kernelINS0_14default_configENS1_20scan_config_selectorIiEEZZNS1_9scan_implILNS1_25lookback_scan_determinismE0ELb0ELb0ES3_N6thrust23THRUST_200600_302600_NS6detail15normal_iteratorINS9_10device_ptrIiEEEENS9_16discard_iteratorINS9_11use_defaultEEEi11max_functorIiEiEEDaPvRmT3_T4_T5_mT6_P12ihipStream_tbENKUlT_T0_E_clISt17integral_constantIbLb1EESX_EEDaSS_ST_EUlSS_E0_NS1_11comp_targetILNS1_3genE10ELNS1_11target_archE1200ELNS1_3gpuE4ELNS1_3repE0EEENS1_30default_config_static_selectorELNS0_4arch9wavefront6targetE1EEEvT1_,@function
_ZN7rocprim17ROCPRIM_400000_NS6detail17trampoline_kernelINS0_14default_configENS1_20scan_config_selectorIiEEZZNS1_9scan_implILNS1_25lookback_scan_determinismE0ELb0ELb0ES3_N6thrust23THRUST_200600_302600_NS6detail15normal_iteratorINS9_10device_ptrIiEEEENS9_16discard_iteratorINS9_11use_defaultEEEi11max_functorIiEiEEDaPvRmT3_T4_T5_mT6_P12ihipStream_tbENKUlT_T0_E_clISt17integral_constantIbLb1EESX_EEDaSS_ST_EUlSS_E0_NS1_11comp_targetILNS1_3genE10ELNS1_11target_archE1200ELNS1_3gpuE4ELNS1_3repE0EEENS1_30default_config_static_selectorELNS0_4arch9wavefront6targetE1EEEvT1_: ; @_ZN7rocprim17ROCPRIM_400000_NS6detail17trampoline_kernelINS0_14default_configENS1_20scan_config_selectorIiEEZZNS1_9scan_implILNS1_25lookback_scan_determinismE0ELb0ELb0ES3_N6thrust23THRUST_200600_302600_NS6detail15normal_iteratorINS9_10device_ptrIiEEEENS9_16discard_iteratorINS9_11use_defaultEEEi11max_functorIiEiEEDaPvRmT3_T4_T5_mT6_P12ihipStream_tbENKUlT_T0_E_clISt17integral_constantIbLb1EESX_EEDaSS_ST_EUlSS_E0_NS1_11comp_targetILNS1_3genE10ELNS1_11target_archE1200ELNS1_3gpuE4ELNS1_3repE0EEENS1_30default_config_static_selectorELNS0_4arch9wavefront6targetE1EEEvT1_
; %bb.0:
	.section	.rodata,"a",@progbits
	.p2align	6, 0x0
	.amdhsa_kernel _ZN7rocprim17ROCPRIM_400000_NS6detail17trampoline_kernelINS0_14default_configENS1_20scan_config_selectorIiEEZZNS1_9scan_implILNS1_25lookback_scan_determinismE0ELb0ELb0ES3_N6thrust23THRUST_200600_302600_NS6detail15normal_iteratorINS9_10device_ptrIiEEEENS9_16discard_iteratorINS9_11use_defaultEEEi11max_functorIiEiEEDaPvRmT3_T4_T5_mT6_P12ihipStream_tbENKUlT_T0_E_clISt17integral_constantIbLb1EESX_EEDaSS_ST_EUlSS_E0_NS1_11comp_targetILNS1_3genE10ELNS1_11target_archE1200ELNS1_3gpuE4ELNS1_3repE0EEENS1_30default_config_static_selectorELNS0_4arch9wavefront6targetE1EEEvT1_
		.amdhsa_group_segment_fixed_size 0
		.amdhsa_private_segment_fixed_size 0
		.amdhsa_kernarg_size 40
		.amdhsa_user_sgpr_count 6
		.amdhsa_user_sgpr_private_segment_buffer 1
		.amdhsa_user_sgpr_dispatch_ptr 0
		.amdhsa_user_sgpr_queue_ptr 0
		.amdhsa_user_sgpr_kernarg_segment_ptr 1
		.amdhsa_user_sgpr_dispatch_id 0
		.amdhsa_user_sgpr_flat_scratch_init 0
		.amdhsa_user_sgpr_kernarg_preload_length 0
		.amdhsa_user_sgpr_kernarg_preload_offset 0
		.amdhsa_user_sgpr_private_segment_size 0
		.amdhsa_uses_dynamic_stack 0
		.amdhsa_system_sgpr_private_segment_wavefront_offset 0
		.amdhsa_system_sgpr_workgroup_id_x 1
		.amdhsa_system_sgpr_workgroup_id_y 0
		.amdhsa_system_sgpr_workgroup_id_z 0
		.amdhsa_system_sgpr_workgroup_info 0
		.amdhsa_system_vgpr_workitem_id 0
		.amdhsa_next_free_vgpr 1
		.amdhsa_next_free_sgpr 0
		.amdhsa_accum_offset 4
		.amdhsa_reserve_vcc 0
		.amdhsa_reserve_flat_scratch 0
		.amdhsa_float_round_mode_32 0
		.amdhsa_float_round_mode_16_64 0
		.amdhsa_float_denorm_mode_32 3
		.amdhsa_float_denorm_mode_16_64 3
		.amdhsa_dx10_clamp 1
		.amdhsa_ieee_mode 1
		.amdhsa_fp16_overflow 0
		.amdhsa_tg_split 0
		.amdhsa_exception_fp_ieee_invalid_op 0
		.amdhsa_exception_fp_denorm_src 0
		.amdhsa_exception_fp_ieee_div_zero 0
		.amdhsa_exception_fp_ieee_overflow 0
		.amdhsa_exception_fp_ieee_underflow 0
		.amdhsa_exception_fp_ieee_inexact 0
		.amdhsa_exception_int_div_zero 0
	.end_amdhsa_kernel
	.section	.text._ZN7rocprim17ROCPRIM_400000_NS6detail17trampoline_kernelINS0_14default_configENS1_20scan_config_selectorIiEEZZNS1_9scan_implILNS1_25lookback_scan_determinismE0ELb0ELb0ES3_N6thrust23THRUST_200600_302600_NS6detail15normal_iteratorINS9_10device_ptrIiEEEENS9_16discard_iteratorINS9_11use_defaultEEEi11max_functorIiEiEEDaPvRmT3_T4_T5_mT6_P12ihipStream_tbENKUlT_T0_E_clISt17integral_constantIbLb1EESX_EEDaSS_ST_EUlSS_E0_NS1_11comp_targetILNS1_3genE10ELNS1_11target_archE1200ELNS1_3gpuE4ELNS1_3repE0EEENS1_30default_config_static_selectorELNS0_4arch9wavefront6targetE1EEEvT1_,"axG",@progbits,_ZN7rocprim17ROCPRIM_400000_NS6detail17trampoline_kernelINS0_14default_configENS1_20scan_config_selectorIiEEZZNS1_9scan_implILNS1_25lookback_scan_determinismE0ELb0ELb0ES3_N6thrust23THRUST_200600_302600_NS6detail15normal_iteratorINS9_10device_ptrIiEEEENS9_16discard_iteratorINS9_11use_defaultEEEi11max_functorIiEiEEDaPvRmT3_T4_T5_mT6_P12ihipStream_tbENKUlT_T0_E_clISt17integral_constantIbLb1EESX_EEDaSS_ST_EUlSS_E0_NS1_11comp_targetILNS1_3genE10ELNS1_11target_archE1200ELNS1_3gpuE4ELNS1_3repE0EEENS1_30default_config_static_selectorELNS0_4arch9wavefront6targetE1EEEvT1_,comdat
.Lfunc_end3887:
	.size	_ZN7rocprim17ROCPRIM_400000_NS6detail17trampoline_kernelINS0_14default_configENS1_20scan_config_selectorIiEEZZNS1_9scan_implILNS1_25lookback_scan_determinismE0ELb0ELb0ES3_N6thrust23THRUST_200600_302600_NS6detail15normal_iteratorINS9_10device_ptrIiEEEENS9_16discard_iteratorINS9_11use_defaultEEEi11max_functorIiEiEEDaPvRmT3_T4_T5_mT6_P12ihipStream_tbENKUlT_T0_E_clISt17integral_constantIbLb1EESX_EEDaSS_ST_EUlSS_E0_NS1_11comp_targetILNS1_3genE10ELNS1_11target_archE1200ELNS1_3gpuE4ELNS1_3repE0EEENS1_30default_config_static_selectorELNS0_4arch9wavefront6targetE1EEEvT1_, .Lfunc_end3887-_ZN7rocprim17ROCPRIM_400000_NS6detail17trampoline_kernelINS0_14default_configENS1_20scan_config_selectorIiEEZZNS1_9scan_implILNS1_25lookback_scan_determinismE0ELb0ELb0ES3_N6thrust23THRUST_200600_302600_NS6detail15normal_iteratorINS9_10device_ptrIiEEEENS9_16discard_iteratorINS9_11use_defaultEEEi11max_functorIiEiEEDaPvRmT3_T4_T5_mT6_P12ihipStream_tbENKUlT_T0_E_clISt17integral_constantIbLb1EESX_EEDaSS_ST_EUlSS_E0_NS1_11comp_targetILNS1_3genE10ELNS1_11target_archE1200ELNS1_3gpuE4ELNS1_3repE0EEENS1_30default_config_static_selectorELNS0_4arch9wavefront6targetE1EEEvT1_
                                        ; -- End function
	.section	.AMDGPU.csdata,"",@progbits
; Kernel info:
; codeLenInByte = 0
; NumSgprs: 4
; NumVgprs: 0
; NumAgprs: 0
; TotalNumVgprs: 0
; ScratchSize: 0
; MemoryBound: 0
; FloatMode: 240
; IeeeMode: 1
; LDSByteSize: 0 bytes/workgroup (compile time only)
; SGPRBlocks: 0
; VGPRBlocks: 0
; NumSGPRsForWavesPerEU: 4
; NumVGPRsForWavesPerEU: 1
; AccumOffset: 4
; Occupancy: 8
; WaveLimiterHint : 0
; COMPUTE_PGM_RSRC2:SCRATCH_EN: 0
; COMPUTE_PGM_RSRC2:USER_SGPR: 6
; COMPUTE_PGM_RSRC2:TRAP_HANDLER: 0
; COMPUTE_PGM_RSRC2:TGID_X_EN: 1
; COMPUTE_PGM_RSRC2:TGID_Y_EN: 0
; COMPUTE_PGM_RSRC2:TGID_Z_EN: 0
; COMPUTE_PGM_RSRC2:TIDIG_COMP_CNT: 0
; COMPUTE_PGM_RSRC3_GFX90A:ACCUM_OFFSET: 0
; COMPUTE_PGM_RSRC3_GFX90A:TG_SPLIT: 0
	.section	.text._ZN7rocprim17ROCPRIM_400000_NS6detail17trampoline_kernelINS0_14default_configENS1_20scan_config_selectorIiEEZZNS1_9scan_implILNS1_25lookback_scan_determinismE0ELb0ELb0ES3_N6thrust23THRUST_200600_302600_NS6detail15normal_iteratorINS9_10device_ptrIiEEEENS9_16discard_iteratorINS9_11use_defaultEEEi11max_functorIiEiEEDaPvRmT3_T4_T5_mT6_P12ihipStream_tbENKUlT_T0_E_clISt17integral_constantIbLb1EESX_EEDaSS_ST_EUlSS_E0_NS1_11comp_targetILNS1_3genE9ELNS1_11target_archE1100ELNS1_3gpuE3ELNS1_3repE0EEENS1_30default_config_static_selectorELNS0_4arch9wavefront6targetE1EEEvT1_,"axG",@progbits,_ZN7rocprim17ROCPRIM_400000_NS6detail17trampoline_kernelINS0_14default_configENS1_20scan_config_selectorIiEEZZNS1_9scan_implILNS1_25lookback_scan_determinismE0ELb0ELb0ES3_N6thrust23THRUST_200600_302600_NS6detail15normal_iteratorINS9_10device_ptrIiEEEENS9_16discard_iteratorINS9_11use_defaultEEEi11max_functorIiEiEEDaPvRmT3_T4_T5_mT6_P12ihipStream_tbENKUlT_T0_E_clISt17integral_constantIbLb1EESX_EEDaSS_ST_EUlSS_E0_NS1_11comp_targetILNS1_3genE9ELNS1_11target_archE1100ELNS1_3gpuE3ELNS1_3repE0EEENS1_30default_config_static_selectorELNS0_4arch9wavefront6targetE1EEEvT1_,comdat
	.protected	_ZN7rocprim17ROCPRIM_400000_NS6detail17trampoline_kernelINS0_14default_configENS1_20scan_config_selectorIiEEZZNS1_9scan_implILNS1_25lookback_scan_determinismE0ELb0ELb0ES3_N6thrust23THRUST_200600_302600_NS6detail15normal_iteratorINS9_10device_ptrIiEEEENS9_16discard_iteratorINS9_11use_defaultEEEi11max_functorIiEiEEDaPvRmT3_T4_T5_mT6_P12ihipStream_tbENKUlT_T0_E_clISt17integral_constantIbLb1EESX_EEDaSS_ST_EUlSS_E0_NS1_11comp_targetILNS1_3genE9ELNS1_11target_archE1100ELNS1_3gpuE3ELNS1_3repE0EEENS1_30default_config_static_selectorELNS0_4arch9wavefront6targetE1EEEvT1_ ; -- Begin function _ZN7rocprim17ROCPRIM_400000_NS6detail17trampoline_kernelINS0_14default_configENS1_20scan_config_selectorIiEEZZNS1_9scan_implILNS1_25lookback_scan_determinismE0ELb0ELb0ES3_N6thrust23THRUST_200600_302600_NS6detail15normal_iteratorINS9_10device_ptrIiEEEENS9_16discard_iteratorINS9_11use_defaultEEEi11max_functorIiEiEEDaPvRmT3_T4_T5_mT6_P12ihipStream_tbENKUlT_T0_E_clISt17integral_constantIbLb1EESX_EEDaSS_ST_EUlSS_E0_NS1_11comp_targetILNS1_3genE9ELNS1_11target_archE1100ELNS1_3gpuE3ELNS1_3repE0EEENS1_30default_config_static_selectorELNS0_4arch9wavefront6targetE1EEEvT1_
	.globl	_ZN7rocprim17ROCPRIM_400000_NS6detail17trampoline_kernelINS0_14default_configENS1_20scan_config_selectorIiEEZZNS1_9scan_implILNS1_25lookback_scan_determinismE0ELb0ELb0ES3_N6thrust23THRUST_200600_302600_NS6detail15normal_iteratorINS9_10device_ptrIiEEEENS9_16discard_iteratorINS9_11use_defaultEEEi11max_functorIiEiEEDaPvRmT3_T4_T5_mT6_P12ihipStream_tbENKUlT_T0_E_clISt17integral_constantIbLb1EESX_EEDaSS_ST_EUlSS_E0_NS1_11comp_targetILNS1_3genE9ELNS1_11target_archE1100ELNS1_3gpuE3ELNS1_3repE0EEENS1_30default_config_static_selectorELNS0_4arch9wavefront6targetE1EEEvT1_
	.p2align	8
	.type	_ZN7rocprim17ROCPRIM_400000_NS6detail17trampoline_kernelINS0_14default_configENS1_20scan_config_selectorIiEEZZNS1_9scan_implILNS1_25lookback_scan_determinismE0ELb0ELb0ES3_N6thrust23THRUST_200600_302600_NS6detail15normal_iteratorINS9_10device_ptrIiEEEENS9_16discard_iteratorINS9_11use_defaultEEEi11max_functorIiEiEEDaPvRmT3_T4_T5_mT6_P12ihipStream_tbENKUlT_T0_E_clISt17integral_constantIbLb1EESX_EEDaSS_ST_EUlSS_E0_NS1_11comp_targetILNS1_3genE9ELNS1_11target_archE1100ELNS1_3gpuE3ELNS1_3repE0EEENS1_30default_config_static_selectorELNS0_4arch9wavefront6targetE1EEEvT1_,@function
_ZN7rocprim17ROCPRIM_400000_NS6detail17trampoline_kernelINS0_14default_configENS1_20scan_config_selectorIiEEZZNS1_9scan_implILNS1_25lookback_scan_determinismE0ELb0ELb0ES3_N6thrust23THRUST_200600_302600_NS6detail15normal_iteratorINS9_10device_ptrIiEEEENS9_16discard_iteratorINS9_11use_defaultEEEi11max_functorIiEiEEDaPvRmT3_T4_T5_mT6_P12ihipStream_tbENKUlT_T0_E_clISt17integral_constantIbLb1EESX_EEDaSS_ST_EUlSS_E0_NS1_11comp_targetILNS1_3genE9ELNS1_11target_archE1100ELNS1_3gpuE3ELNS1_3repE0EEENS1_30default_config_static_selectorELNS0_4arch9wavefront6targetE1EEEvT1_: ; @_ZN7rocprim17ROCPRIM_400000_NS6detail17trampoline_kernelINS0_14default_configENS1_20scan_config_selectorIiEEZZNS1_9scan_implILNS1_25lookback_scan_determinismE0ELb0ELb0ES3_N6thrust23THRUST_200600_302600_NS6detail15normal_iteratorINS9_10device_ptrIiEEEENS9_16discard_iteratorINS9_11use_defaultEEEi11max_functorIiEiEEDaPvRmT3_T4_T5_mT6_P12ihipStream_tbENKUlT_T0_E_clISt17integral_constantIbLb1EESX_EEDaSS_ST_EUlSS_E0_NS1_11comp_targetILNS1_3genE9ELNS1_11target_archE1100ELNS1_3gpuE3ELNS1_3repE0EEENS1_30default_config_static_selectorELNS0_4arch9wavefront6targetE1EEEvT1_
; %bb.0:
	.section	.rodata,"a",@progbits
	.p2align	6, 0x0
	.amdhsa_kernel _ZN7rocprim17ROCPRIM_400000_NS6detail17trampoline_kernelINS0_14default_configENS1_20scan_config_selectorIiEEZZNS1_9scan_implILNS1_25lookback_scan_determinismE0ELb0ELb0ES3_N6thrust23THRUST_200600_302600_NS6detail15normal_iteratorINS9_10device_ptrIiEEEENS9_16discard_iteratorINS9_11use_defaultEEEi11max_functorIiEiEEDaPvRmT3_T4_T5_mT6_P12ihipStream_tbENKUlT_T0_E_clISt17integral_constantIbLb1EESX_EEDaSS_ST_EUlSS_E0_NS1_11comp_targetILNS1_3genE9ELNS1_11target_archE1100ELNS1_3gpuE3ELNS1_3repE0EEENS1_30default_config_static_selectorELNS0_4arch9wavefront6targetE1EEEvT1_
		.amdhsa_group_segment_fixed_size 0
		.amdhsa_private_segment_fixed_size 0
		.amdhsa_kernarg_size 40
		.amdhsa_user_sgpr_count 6
		.amdhsa_user_sgpr_private_segment_buffer 1
		.amdhsa_user_sgpr_dispatch_ptr 0
		.amdhsa_user_sgpr_queue_ptr 0
		.amdhsa_user_sgpr_kernarg_segment_ptr 1
		.amdhsa_user_sgpr_dispatch_id 0
		.amdhsa_user_sgpr_flat_scratch_init 0
		.amdhsa_user_sgpr_kernarg_preload_length 0
		.amdhsa_user_sgpr_kernarg_preload_offset 0
		.amdhsa_user_sgpr_private_segment_size 0
		.amdhsa_uses_dynamic_stack 0
		.amdhsa_system_sgpr_private_segment_wavefront_offset 0
		.amdhsa_system_sgpr_workgroup_id_x 1
		.amdhsa_system_sgpr_workgroup_id_y 0
		.amdhsa_system_sgpr_workgroup_id_z 0
		.amdhsa_system_sgpr_workgroup_info 0
		.amdhsa_system_vgpr_workitem_id 0
		.amdhsa_next_free_vgpr 1
		.amdhsa_next_free_sgpr 0
		.amdhsa_accum_offset 4
		.amdhsa_reserve_vcc 0
		.amdhsa_reserve_flat_scratch 0
		.amdhsa_float_round_mode_32 0
		.amdhsa_float_round_mode_16_64 0
		.amdhsa_float_denorm_mode_32 3
		.amdhsa_float_denorm_mode_16_64 3
		.amdhsa_dx10_clamp 1
		.amdhsa_ieee_mode 1
		.amdhsa_fp16_overflow 0
		.amdhsa_tg_split 0
		.amdhsa_exception_fp_ieee_invalid_op 0
		.amdhsa_exception_fp_denorm_src 0
		.amdhsa_exception_fp_ieee_div_zero 0
		.amdhsa_exception_fp_ieee_overflow 0
		.amdhsa_exception_fp_ieee_underflow 0
		.amdhsa_exception_fp_ieee_inexact 0
		.amdhsa_exception_int_div_zero 0
	.end_amdhsa_kernel
	.section	.text._ZN7rocprim17ROCPRIM_400000_NS6detail17trampoline_kernelINS0_14default_configENS1_20scan_config_selectorIiEEZZNS1_9scan_implILNS1_25lookback_scan_determinismE0ELb0ELb0ES3_N6thrust23THRUST_200600_302600_NS6detail15normal_iteratorINS9_10device_ptrIiEEEENS9_16discard_iteratorINS9_11use_defaultEEEi11max_functorIiEiEEDaPvRmT3_T4_T5_mT6_P12ihipStream_tbENKUlT_T0_E_clISt17integral_constantIbLb1EESX_EEDaSS_ST_EUlSS_E0_NS1_11comp_targetILNS1_3genE9ELNS1_11target_archE1100ELNS1_3gpuE3ELNS1_3repE0EEENS1_30default_config_static_selectorELNS0_4arch9wavefront6targetE1EEEvT1_,"axG",@progbits,_ZN7rocprim17ROCPRIM_400000_NS6detail17trampoline_kernelINS0_14default_configENS1_20scan_config_selectorIiEEZZNS1_9scan_implILNS1_25lookback_scan_determinismE0ELb0ELb0ES3_N6thrust23THRUST_200600_302600_NS6detail15normal_iteratorINS9_10device_ptrIiEEEENS9_16discard_iteratorINS9_11use_defaultEEEi11max_functorIiEiEEDaPvRmT3_T4_T5_mT6_P12ihipStream_tbENKUlT_T0_E_clISt17integral_constantIbLb1EESX_EEDaSS_ST_EUlSS_E0_NS1_11comp_targetILNS1_3genE9ELNS1_11target_archE1100ELNS1_3gpuE3ELNS1_3repE0EEENS1_30default_config_static_selectorELNS0_4arch9wavefront6targetE1EEEvT1_,comdat
.Lfunc_end3888:
	.size	_ZN7rocprim17ROCPRIM_400000_NS6detail17trampoline_kernelINS0_14default_configENS1_20scan_config_selectorIiEEZZNS1_9scan_implILNS1_25lookback_scan_determinismE0ELb0ELb0ES3_N6thrust23THRUST_200600_302600_NS6detail15normal_iteratorINS9_10device_ptrIiEEEENS9_16discard_iteratorINS9_11use_defaultEEEi11max_functorIiEiEEDaPvRmT3_T4_T5_mT6_P12ihipStream_tbENKUlT_T0_E_clISt17integral_constantIbLb1EESX_EEDaSS_ST_EUlSS_E0_NS1_11comp_targetILNS1_3genE9ELNS1_11target_archE1100ELNS1_3gpuE3ELNS1_3repE0EEENS1_30default_config_static_selectorELNS0_4arch9wavefront6targetE1EEEvT1_, .Lfunc_end3888-_ZN7rocprim17ROCPRIM_400000_NS6detail17trampoline_kernelINS0_14default_configENS1_20scan_config_selectorIiEEZZNS1_9scan_implILNS1_25lookback_scan_determinismE0ELb0ELb0ES3_N6thrust23THRUST_200600_302600_NS6detail15normal_iteratorINS9_10device_ptrIiEEEENS9_16discard_iteratorINS9_11use_defaultEEEi11max_functorIiEiEEDaPvRmT3_T4_T5_mT6_P12ihipStream_tbENKUlT_T0_E_clISt17integral_constantIbLb1EESX_EEDaSS_ST_EUlSS_E0_NS1_11comp_targetILNS1_3genE9ELNS1_11target_archE1100ELNS1_3gpuE3ELNS1_3repE0EEENS1_30default_config_static_selectorELNS0_4arch9wavefront6targetE1EEEvT1_
                                        ; -- End function
	.section	.AMDGPU.csdata,"",@progbits
; Kernel info:
; codeLenInByte = 0
; NumSgprs: 4
; NumVgprs: 0
; NumAgprs: 0
; TotalNumVgprs: 0
; ScratchSize: 0
; MemoryBound: 0
; FloatMode: 240
; IeeeMode: 1
; LDSByteSize: 0 bytes/workgroup (compile time only)
; SGPRBlocks: 0
; VGPRBlocks: 0
; NumSGPRsForWavesPerEU: 4
; NumVGPRsForWavesPerEU: 1
; AccumOffset: 4
; Occupancy: 8
; WaveLimiterHint : 0
; COMPUTE_PGM_RSRC2:SCRATCH_EN: 0
; COMPUTE_PGM_RSRC2:USER_SGPR: 6
; COMPUTE_PGM_RSRC2:TRAP_HANDLER: 0
; COMPUTE_PGM_RSRC2:TGID_X_EN: 1
; COMPUTE_PGM_RSRC2:TGID_Y_EN: 0
; COMPUTE_PGM_RSRC2:TGID_Z_EN: 0
; COMPUTE_PGM_RSRC2:TIDIG_COMP_CNT: 0
; COMPUTE_PGM_RSRC3_GFX90A:ACCUM_OFFSET: 0
; COMPUTE_PGM_RSRC3_GFX90A:TG_SPLIT: 0
	.section	.text._ZN7rocprim17ROCPRIM_400000_NS6detail17trampoline_kernelINS0_14default_configENS1_20scan_config_selectorIiEEZZNS1_9scan_implILNS1_25lookback_scan_determinismE0ELb0ELb0ES3_N6thrust23THRUST_200600_302600_NS6detail15normal_iteratorINS9_10device_ptrIiEEEENS9_16discard_iteratorINS9_11use_defaultEEEi11max_functorIiEiEEDaPvRmT3_T4_T5_mT6_P12ihipStream_tbENKUlT_T0_E_clISt17integral_constantIbLb1EESX_EEDaSS_ST_EUlSS_E0_NS1_11comp_targetILNS1_3genE8ELNS1_11target_archE1030ELNS1_3gpuE2ELNS1_3repE0EEENS1_30default_config_static_selectorELNS0_4arch9wavefront6targetE1EEEvT1_,"axG",@progbits,_ZN7rocprim17ROCPRIM_400000_NS6detail17trampoline_kernelINS0_14default_configENS1_20scan_config_selectorIiEEZZNS1_9scan_implILNS1_25lookback_scan_determinismE0ELb0ELb0ES3_N6thrust23THRUST_200600_302600_NS6detail15normal_iteratorINS9_10device_ptrIiEEEENS9_16discard_iteratorINS9_11use_defaultEEEi11max_functorIiEiEEDaPvRmT3_T4_T5_mT6_P12ihipStream_tbENKUlT_T0_E_clISt17integral_constantIbLb1EESX_EEDaSS_ST_EUlSS_E0_NS1_11comp_targetILNS1_3genE8ELNS1_11target_archE1030ELNS1_3gpuE2ELNS1_3repE0EEENS1_30default_config_static_selectorELNS0_4arch9wavefront6targetE1EEEvT1_,comdat
	.protected	_ZN7rocprim17ROCPRIM_400000_NS6detail17trampoline_kernelINS0_14default_configENS1_20scan_config_selectorIiEEZZNS1_9scan_implILNS1_25lookback_scan_determinismE0ELb0ELb0ES3_N6thrust23THRUST_200600_302600_NS6detail15normal_iteratorINS9_10device_ptrIiEEEENS9_16discard_iteratorINS9_11use_defaultEEEi11max_functorIiEiEEDaPvRmT3_T4_T5_mT6_P12ihipStream_tbENKUlT_T0_E_clISt17integral_constantIbLb1EESX_EEDaSS_ST_EUlSS_E0_NS1_11comp_targetILNS1_3genE8ELNS1_11target_archE1030ELNS1_3gpuE2ELNS1_3repE0EEENS1_30default_config_static_selectorELNS0_4arch9wavefront6targetE1EEEvT1_ ; -- Begin function _ZN7rocprim17ROCPRIM_400000_NS6detail17trampoline_kernelINS0_14default_configENS1_20scan_config_selectorIiEEZZNS1_9scan_implILNS1_25lookback_scan_determinismE0ELb0ELb0ES3_N6thrust23THRUST_200600_302600_NS6detail15normal_iteratorINS9_10device_ptrIiEEEENS9_16discard_iteratorINS9_11use_defaultEEEi11max_functorIiEiEEDaPvRmT3_T4_T5_mT6_P12ihipStream_tbENKUlT_T0_E_clISt17integral_constantIbLb1EESX_EEDaSS_ST_EUlSS_E0_NS1_11comp_targetILNS1_3genE8ELNS1_11target_archE1030ELNS1_3gpuE2ELNS1_3repE0EEENS1_30default_config_static_selectorELNS0_4arch9wavefront6targetE1EEEvT1_
	.globl	_ZN7rocprim17ROCPRIM_400000_NS6detail17trampoline_kernelINS0_14default_configENS1_20scan_config_selectorIiEEZZNS1_9scan_implILNS1_25lookback_scan_determinismE0ELb0ELb0ES3_N6thrust23THRUST_200600_302600_NS6detail15normal_iteratorINS9_10device_ptrIiEEEENS9_16discard_iteratorINS9_11use_defaultEEEi11max_functorIiEiEEDaPvRmT3_T4_T5_mT6_P12ihipStream_tbENKUlT_T0_E_clISt17integral_constantIbLb1EESX_EEDaSS_ST_EUlSS_E0_NS1_11comp_targetILNS1_3genE8ELNS1_11target_archE1030ELNS1_3gpuE2ELNS1_3repE0EEENS1_30default_config_static_selectorELNS0_4arch9wavefront6targetE1EEEvT1_
	.p2align	8
	.type	_ZN7rocprim17ROCPRIM_400000_NS6detail17trampoline_kernelINS0_14default_configENS1_20scan_config_selectorIiEEZZNS1_9scan_implILNS1_25lookback_scan_determinismE0ELb0ELb0ES3_N6thrust23THRUST_200600_302600_NS6detail15normal_iteratorINS9_10device_ptrIiEEEENS9_16discard_iteratorINS9_11use_defaultEEEi11max_functorIiEiEEDaPvRmT3_T4_T5_mT6_P12ihipStream_tbENKUlT_T0_E_clISt17integral_constantIbLb1EESX_EEDaSS_ST_EUlSS_E0_NS1_11comp_targetILNS1_3genE8ELNS1_11target_archE1030ELNS1_3gpuE2ELNS1_3repE0EEENS1_30default_config_static_selectorELNS0_4arch9wavefront6targetE1EEEvT1_,@function
_ZN7rocprim17ROCPRIM_400000_NS6detail17trampoline_kernelINS0_14default_configENS1_20scan_config_selectorIiEEZZNS1_9scan_implILNS1_25lookback_scan_determinismE0ELb0ELb0ES3_N6thrust23THRUST_200600_302600_NS6detail15normal_iteratorINS9_10device_ptrIiEEEENS9_16discard_iteratorINS9_11use_defaultEEEi11max_functorIiEiEEDaPvRmT3_T4_T5_mT6_P12ihipStream_tbENKUlT_T0_E_clISt17integral_constantIbLb1EESX_EEDaSS_ST_EUlSS_E0_NS1_11comp_targetILNS1_3genE8ELNS1_11target_archE1030ELNS1_3gpuE2ELNS1_3repE0EEENS1_30default_config_static_selectorELNS0_4arch9wavefront6targetE1EEEvT1_: ; @_ZN7rocprim17ROCPRIM_400000_NS6detail17trampoline_kernelINS0_14default_configENS1_20scan_config_selectorIiEEZZNS1_9scan_implILNS1_25lookback_scan_determinismE0ELb0ELb0ES3_N6thrust23THRUST_200600_302600_NS6detail15normal_iteratorINS9_10device_ptrIiEEEENS9_16discard_iteratorINS9_11use_defaultEEEi11max_functorIiEiEEDaPvRmT3_T4_T5_mT6_P12ihipStream_tbENKUlT_T0_E_clISt17integral_constantIbLb1EESX_EEDaSS_ST_EUlSS_E0_NS1_11comp_targetILNS1_3genE8ELNS1_11target_archE1030ELNS1_3gpuE2ELNS1_3repE0EEENS1_30default_config_static_selectorELNS0_4arch9wavefront6targetE1EEEvT1_
; %bb.0:
	.section	.rodata,"a",@progbits
	.p2align	6, 0x0
	.amdhsa_kernel _ZN7rocprim17ROCPRIM_400000_NS6detail17trampoline_kernelINS0_14default_configENS1_20scan_config_selectorIiEEZZNS1_9scan_implILNS1_25lookback_scan_determinismE0ELb0ELb0ES3_N6thrust23THRUST_200600_302600_NS6detail15normal_iteratorINS9_10device_ptrIiEEEENS9_16discard_iteratorINS9_11use_defaultEEEi11max_functorIiEiEEDaPvRmT3_T4_T5_mT6_P12ihipStream_tbENKUlT_T0_E_clISt17integral_constantIbLb1EESX_EEDaSS_ST_EUlSS_E0_NS1_11comp_targetILNS1_3genE8ELNS1_11target_archE1030ELNS1_3gpuE2ELNS1_3repE0EEENS1_30default_config_static_selectorELNS0_4arch9wavefront6targetE1EEEvT1_
		.amdhsa_group_segment_fixed_size 0
		.amdhsa_private_segment_fixed_size 0
		.amdhsa_kernarg_size 40
		.amdhsa_user_sgpr_count 6
		.amdhsa_user_sgpr_private_segment_buffer 1
		.amdhsa_user_sgpr_dispatch_ptr 0
		.amdhsa_user_sgpr_queue_ptr 0
		.amdhsa_user_sgpr_kernarg_segment_ptr 1
		.amdhsa_user_sgpr_dispatch_id 0
		.amdhsa_user_sgpr_flat_scratch_init 0
		.amdhsa_user_sgpr_kernarg_preload_length 0
		.amdhsa_user_sgpr_kernarg_preload_offset 0
		.amdhsa_user_sgpr_private_segment_size 0
		.amdhsa_uses_dynamic_stack 0
		.amdhsa_system_sgpr_private_segment_wavefront_offset 0
		.amdhsa_system_sgpr_workgroup_id_x 1
		.amdhsa_system_sgpr_workgroup_id_y 0
		.amdhsa_system_sgpr_workgroup_id_z 0
		.amdhsa_system_sgpr_workgroup_info 0
		.amdhsa_system_vgpr_workitem_id 0
		.amdhsa_next_free_vgpr 1
		.amdhsa_next_free_sgpr 0
		.amdhsa_accum_offset 4
		.amdhsa_reserve_vcc 0
		.amdhsa_reserve_flat_scratch 0
		.amdhsa_float_round_mode_32 0
		.amdhsa_float_round_mode_16_64 0
		.amdhsa_float_denorm_mode_32 3
		.amdhsa_float_denorm_mode_16_64 3
		.amdhsa_dx10_clamp 1
		.amdhsa_ieee_mode 1
		.amdhsa_fp16_overflow 0
		.amdhsa_tg_split 0
		.amdhsa_exception_fp_ieee_invalid_op 0
		.amdhsa_exception_fp_denorm_src 0
		.amdhsa_exception_fp_ieee_div_zero 0
		.amdhsa_exception_fp_ieee_overflow 0
		.amdhsa_exception_fp_ieee_underflow 0
		.amdhsa_exception_fp_ieee_inexact 0
		.amdhsa_exception_int_div_zero 0
	.end_amdhsa_kernel
	.section	.text._ZN7rocprim17ROCPRIM_400000_NS6detail17trampoline_kernelINS0_14default_configENS1_20scan_config_selectorIiEEZZNS1_9scan_implILNS1_25lookback_scan_determinismE0ELb0ELb0ES3_N6thrust23THRUST_200600_302600_NS6detail15normal_iteratorINS9_10device_ptrIiEEEENS9_16discard_iteratorINS9_11use_defaultEEEi11max_functorIiEiEEDaPvRmT3_T4_T5_mT6_P12ihipStream_tbENKUlT_T0_E_clISt17integral_constantIbLb1EESX_EEDaSS_ST_EUlSS_E0_NS1_11comp_targetILNS1_3genE8ELNS1_11target_archE1030ELNS1_3gpuE2ELNS1_3repE0EEENS1_30default_config_static_selectorELNS0_4arch9wavefront6targetE1EEEvT1_,"axG",@progbits,_ZN7rocprim17ROCPRIM_400000_NS6detail17trampoline_kernelINS0_14default_configENS1_20scan_config_selectorIiEEZZNS1_9scan_implILNS1_25lookback_scan_determinismE0ELb0ELb0ES3_N6thrust23THRUST_200600_302600_NS6detail15normal_iteratorINS9_10device_ptrIiEEEENS9_16discard_iteratorINS9_11use_defaultEEEi11max_functorIiEiEEDaPvRmT3_T4_T5_mT6_P12ihipStream_tbENKUlT_T0_E_clISt17integral_constantIbLb1EESX_EEDaSS_ST_EUlSS_E0_NS1_11comp_targetILNS1_3genE8ELNS1_11target_archE1030ELNS1_3gpuE2ELNS1_3repE0EEENS1_30default_config_static_selectorELNS0_4arch9wavefront6targetE1EEEvT1_,comdat
.Lfunc_end3889:
	.size	_ZN7rocprim17ROCPRIM_400000_NS6detail17trampoline_kernelINS0_14default_configENS1_20scan_config_selectorIiEEZZNS1_9scan_implILNS1_25lookback_scan_determinismE0ELb0ELb0ES3_N6thrust23THRUST_200600_302600_NS6detail15normal_iteratorINS9_10device_ptrIiEEEENS9_16discard_iteratorINS9_11use_defaultEEEi11max_functorIiEiEEDaPvRmT3_T4_T5_mT6_P12ihipStream_tbENKUlT_T0_E_clISt17integral_constantIbLb1EESX_EEDaSS_ST_EUlSS_E0_NS1_11comp_targetILNS1_3genE8ELNS1_11target_archE1030ELNS1_3gpuE2ELNS1_3repE0EEENS1_30default_config_static_selectorELNS0_4arch9wavefront6targetE1EEEvT1_, .Lfunc_end3889-_ZN7rocprim17ROCPRIM_400000_NS6detail17trampoline_kernelINS0_14default_configENS1_20scan_config_selectorIiEEZZNS1_9scan_implILNS1_25lookback_scan_determinismE0ELb0ELb0ES3_N6thrust23THRUST_200600_302600_NS6detail15normal_iteratorINS9_10device_ptrIiEEEENS9_16discard_iteratorINS9_11use_defaultEEEi11max_functorIiEiEEDaPvRmT3_T4_T5_mT6_P12ihipStream_tbENKUlT_T0_E_clISt17integral_constantIbLb1EESX_EEDaSS_ST_EUlSS_E0_NS1_11comp_targetILNS1_3genE8ELNS1_11target_archE1030ELNS1_3gpuE2ELNS1_3repE0EEENS1_30default_config_static_selectorELNS0_4arch9wavefront6targetE1EEEvT1_
                                        ; -- End function
	.section	.AMDGPU.csdata,"",@progbits
; Kernel info:
; codeLenInByte = 0
; NumSgprs: 4
; NumVgprs: 0
; NumAgprs: 0
; TotalNumVgprs: 0
; ScratchSize: 0
; MemoryBound: 0
; FloatMode: 240
; IeeeMode: 1
; LDSByteSize: 0 bytes/workgroup (compile time only)
; SGPRBlocks: 0
; VGPRBlocks: 0
; NumSGPRsForWavesPerEU: 4
; NumVGPRsForWavesPerEU: 1
; AccumOffset: 4
; Occupancy: 8
; WaveLimiterHint : 0
; COMPUTE_PGM_RSRC2:SCRATCH_EN: 0
; COMPUTE_PGM_RSRC2:USER_SGPR: 6
; COMPUTE_PGM_RSRC2:TRAP_HANDLER: 0
; COMPUTE_PGM_RSRC2:TGID_X_EN: 1
; COMPUTE_PGM_RSRC2:TGID_Y_EN: 0
; COMPUTE_PGM_RSRC2:TGID_Z_EN: 0
; COMPUTE_PGM_RSRC2:TIDIG_COMP_CNT: 0
; COMPUTE_PGM_RSRC3_GFX90A:ACCUM_OFFSET: 0
; COMPUTE_PGM_RSRC3_GFX90A:TG_SPLIT: 0
	.section	.text._ZN7rocprim17ROCPRIM_400000_NS6detail17trampoline_kernelINS0_14default_configENS1_20scan_config_selectorIiEEZZNS1_9scan_implILNS1_25lookback_scan_determinismE0ELb0ELb0ES3_N6thrust23THRUST_200600_302600_NS6detail15normal_iteratorINS9_10device_ptrIiEEEENS9_16discard_iteratorINS9_11use_defaultEEEi11max_functorIiEiEEDaPvRmT3_T4_T5_mT6_P12ihipStream_tbENKUlT_T0_E_clISt17integral_constantIbLb1EESW_IbLb0EEEEDaSS_ST_EUlSS_E_NS1_11comp_targetILNS1_3genE0ELNS1_11target_archE4294967295ELNS1_3gpuE0ELNS1_3repE0EEENS1_30default_config_static_selectorELNS0_4arch9wavefront6targetE1EEEvT1_,"axG",@progbits,_ZN7rocprim17ROCPRIM_400000_NS6detail17trampoline_kernelINS0_14default_configENS1_20scan_config_selectorIiEEZZNS1_9scan_implILNS1_25lookback_scan_determinismE0ELb0ELb0ES3_N6thrust23THRUST_200600_302600_NS6detail15normal_iteratorINS9_10device_ptrIiEEEENS9_16discard_iteratorINS9_11use_defaultEEEi11max_functorIiEiEEDaPvRmT3_T4_T5_mT6_P12ihipStream_tbENKUlT_T0_E_clISt17integral_constantIbLb1EESW_IbLb0EEEEDaSS_ST_EUlSS_E_NS1_11comp_targetILNS1_3genE0ELNS1_11target_archE4294967295ELNS1_3gpuE0ELNS1_3repE0EEENS1_30default_config_static_selectorELNS0_4arch9wavefront6targetE1EEEvT1_,comdat
	.protected	_ZN7rocprim17ROCPRIM_400000_NS6detail17trampoline_kernelINS0_14default_configENS1_20scan_config_selectorIiEEZZNS1_9scan_implILNS1_25lookback_scan_determinismE0ELb0ELb0ES3_N6thrust23THRUST_200600_302600_NS6detail15normal_iteratorINS9_10device_ptrIiEEEENS9_16discard_iteratorINS9_11use_defaultEEEi11max_functorIiEiEEDaPvRmT3_T4_T5_mT6_P12ihipStream_tbENKUlT_T0_E_clISt17integral_constantIbLb1EESW_IbLb0EEEEDaSS_ST_EUlSS_E_NS1_11comp_targetILNS1_3genE0ELNS1_11target_archE4294967295ELNS1_3gpuE0ELNS1_3repE0EEENS1_30default_config_static_selectorELNS0_4arch9wavefront6targetE1EEEvT1_ ; -- Begin function _ZN7rocprim17ROCPRIM_400000_NS6detail17trampoline_kernelINS0_14default_configENS1_20scan_config_selectorIiEEZZNS1_9scan_implILNS1_25lookback_scan_determinismE0ELb0ELb0ES3_N6thrust23THRUST_200600_302600_NS6detail15normal_iteratorINS9_10device_ptrIiEEEENS9_16discard_iteratorINS9_11use_defaultEEEi11max_functorIiEiEEDaPvRmT3_T4_T5_mT6_P12ihipStream_tbENKUlT_T0_E_clISt17integral_constantIbLb1EESW_IbLb0EEEEDaSS_ST_EUlSS_E_NS1_11comp_targetILNS1_3genE0ELNS1_11target_archE4294967295ELNS1_3gpuE0ELNS1_3repE0EEENS1_30default_config_static_selectorELNS0_4arch9wavefront6targetE1EEEvT1_
	.globl	_ZN7rocprim17ROCPRIM_400000_NS6detail17trampoline_kernelINS0_14default_configENS1_20scan_config_selectorIiEEZZNS1_9scan_implILNS1_25lookback_scan_determinismE0ELb0ELb0ES3_N6thrust23THRUST_200600_302600_NS6detail15normal_iteratorINS9_10device_ptrIiEEEENS9_16discard_iteratorINS9_11use_defaultEEEi11max_functorIiEiEEDaPvRmT3_T4_T5_mT6_P12ihipStream_tbENKUlT_T0_E_clISt17integral_constantIbLb1EESW_IbLb0EEEEDaSS_ST_EUlSS_E_NS1_11comp_targetILNS1_3genE0ELNS1_11target_archE4294967295ELNS1_3gpuE0ELNS1_3repE0EEENS1_30default_config_static_selectorELNS0_4arch9wavefront6targetE1EEEvT1_
	.p2align	8
	.type	_ZN7rocprim17ROCPRIM_400000_NS6detail17trampoline_kernelINS0_14default_configENS1_20scan_config_selectorIiEEZZNS1_9scan_implILNS1_25lookback_scan_determinismE0ELb0ELb0ES3_N6thrust23THRUST_200600_302600_NS6detail15normal_iteratorINS9_10device_ptrIiEEEENS9_16discard_iteratorINS9_11use_defaultEEEi11max_functorIiEiEEDaPvRmT3_T4_T5_mT6_P12ihipStream_tbENKUlT_T0_E_clISt17integral_constantIbLb1EESW_IbLb0EEEEDaSS_ST_EUlSS_E_NS1_11comp_targetILNS1_3genE0ELNS1_11target_archE4294967295ELNS1_3gpuE0ELNS1_3repE0EEENS1_30default_config_static_selectorELNS0_4arch9wavefront6targetE1EEEvT1_,@function
_ZN7rocprim17ROCPRIM_400000_NS6detail17trampoline_kernelINS0_14default_configENS1_20scan_config_selectorIiEEZZNS1_9scan_implILNS1_25lookback_scan_determinismE0ELb0ELb0ES3_N6thrust23THRUST_200600_302600_NS6detail15normal_iteratorINS9_10device_ptrIiEEEENS9_16discard_iteratorINS9_11use_defaultEEEi11max_functorIiEiEEDaPvRmT3_T4_T5_mT6_P12ihipStream_tbENKUlT_T0_E_clISt17integral_constantIbLb1EESW_IbLb0EEEEDaSS_ST_EUlSS_E_NS1_11comp_targetILNS1_3genE0ELNS1_11target_archE4294967295ELNS1_3gpuE0ELNS1_3repE0EEENS1_30default_config_static_selectorELNS0_4arch9wavefront6targetE1EEEvT1_: ; @_ZN7rocprim17ROCPRIM_400000_NS6detail17trampoline_kernelINS0_14default_configENS1_20scan_config_selectorIiEEZZNS1_9scan_implILNS1_25lookback_scan_determinismE0ELb0ELb0ES3_N6thrust23THRUST_200600_302600_NS6detail15normal_iteratorINS9_10device_ptrIiEEEENS9_16discard_iteratorINS9_11use_defaultEEEi11max_functorIiEiEEDaPvRmT3_T4_T5_mT6_P12ihipStream_tbENKUlT_T0_E_clISt17integral_constantIbLb1EESW_IbLb0EEEEDaSS_ST_EUlSS_E_NS1_11comp_targetILNS1_3genE0ELNS1_11target_archE4294967295ELNS1_3gpuE0ELNS1_3repE0EEENS1_30default_config_static_selectorELNS0_4arch9wavefront6targetE1EEEvT1_
; %bb.0:
	.section	.rodata,"a",@progbits
	.p2align	6, 0x0
	.amdhsa_kernel _ZN7rocprim17ROCPRIM_400000_NS6detail17trampoline_kernelINS0_14default_configENS1_20scan_config_selectorIiEEZZNS1_9scan_implILNS1_25lookback_scan_determinismE0ELb0ELb0ES3_N6thrust23THRUST_200600_302600_NS6detail15normal_iteratorINS9_10device_ptrIiEEEENS9_16discard_iteratorINS9_11use_defaultEEEi11max_functorIiEiEEDaPvRmT3_T4_T5_mT6_P12ihipStream_tbENKUlT_T0_E_clISt17integral_constantIbLb1EESW_IbLb0EEEEDaSS_ST_EUlSS_E_NS1_11comp_targetILNS1_3genE0ELNS1_11target_archE4294967295ELNS1_3gpuE0ELNS1_3repE0EEENS1_30default_config_static_selectorELNS0_4arch9wavefront6targetE1EEEvT1_
		.amdhsa_group_segment_fixed_size 0
		.amdhsa_private_segment_fixed_size 0
		.amdhsa_kernarg_size 104
		.amdhsa_user_sgpr_count 6
		.amdhsa_user_sgpr_private_segment_buffer 1
		.amdhsa_user_sgpr_dispatch_ptr 0
		.amdhsa_user_sgpr_queue_ptr 0
		.amdhsa_user_sgpr_kernarg_segment_ptr 1
		.amdhsa_user_sgpr_dispatch_id 0
		.amdhsa_user_sgpr_flat_scratch_init 0
		.amdhsa_user_sgpr_kernarg_preload_length 0
		.amdhsa_user_sgpr_kernarg_preload_offset 0
		.amdhsa_user_sgpr_private_segment_size 0
		.amdhsa_uses_dynamic_stack 0
		.amdhsa_system_sgpr_private_segment_wavefront_offset 0
		.amdhsa_system_sgpr_workgroup_id_x 1
		.amdhsa_system_sgpr_workgroup_id_y 0
		.amdhsa_system_sgpr_workgroup_id_z 0
		.amdhsa_system_sgpr_workgroup_info 0
		.amdhsa_system_vgpr_workitem_id 0
		.amdhsa_next_free_vgpr 1
		.amdhsa_next_free_sgpr 0
		.amdhsa_accum_offset 4
		.amdhsa_reserve_vcc 0
		.amdhsa_reserve_flat_scratch 0
		.amdhsa_float_round_mode_32 0
		.amdhsa_float_round_mode_16_64 0
		.amdhsa_float_denorm_mode_32 3
		.amdhsa_float_denorm_mode_16_64 3
		.amdhsa_dx10_clamp 1
		.amdhsa_ieee_mode 1
		.amdhsa_fp16_overflow 0
		.amdhsa_tg_split 0
		.amdhsa_exception_fp_ieee_invalid_op 0
		.amdhsa_exception_fp_denorm_src 0
		.amdhsa_exception_fp_ieee_div_zero 0
		.amdhsa_exception_fp_ieee_overflow 0
		.amdhsa_exception_fp_ieee_underflow 0
		.amdhsa_exception_fp_ieee_inexact 0
		.amdhsa_exception_int_div_zero 0
	.end_amdhsa_kernel
	.section	.text._ZN7rocprim17ROCPRIM_400000_NS6detail17trampoline_kernelINS0_14default_configENS1_20scan_config_selectorIiEEZZNS1_9scan_implILNS1_25lookback_scan_determinismE0ELb0ELb0ES3_N6thrust23THRUST_200600_302600_NS6detail15normal_iteratorINS9_10device_ptrIiEEEENS9_16discard_iteratorINS9_11use_defaultEEEi11max_functorIiEiEEDaPvRmT3_T4_T5_mT6_P12ihipStream_tbENKUlT_T0_E_clISt17integral_constantIbLb1EESW_IbLb0EEEEDaSS_ST_EUlSS_E_NS1_11comp_targetILNS1_3genE0ELNS1_11target_archE4294967295ELNS1_3gpuE0ELNS1_3repE0EEENS1_30default_config_static_selectorELNS0_4arch9wavefront6targetE1EEEvT1_,"axG",@progbits,_ZN7rocprim17ROCPRIM_400000_NS6detail17trampoline_kernelINS0_14default_configENS1_20scan_config_selectorIiEEZZNS1_9scan_implILNS1_25lookback_scan_determinismE0ELb0ELb0ES3_N6thrust23THRUST_200600_302600_NS6detail15normal_iteratorINS9_10device_ptrIiEEEENS9_16discard_iteratorINS9_11use_defaultEEEi11max_functorIiEiEEDaPvRmT3_T4_T5_mT6_P12ihipStream_tbENKUlT_T0_E_clISt17integral_constantIbLb1EESW_IbLb0EEEEDaSS_ST_EUlSS_E_NS1_11comp_targetILNS1_3genE0ELNS1_11target_archE4294967295ELNS1_3gpuE0ELNS1_3repE0EEENS1_30default_config_static_selectorELNS0_4arch9wavefront6targetE1EEEvT1_,comdat
.Lfunc_end3890:
	.size	_ZN7rocprim17ROCPRIM_400000_NS6detail17trampoline_kernelINS0_14default_configENS1_20scan_config_selectorIiEEZZNS1_9scan_implILNS1_25lookback_scan_determinismE0ELb0ELb0ES3_N6thrust23THRUST_200600_302600_NS6detail15normal_iteratorINS9_10device_ptrIiEEEENS9_16discard_iteratorINS9_11use_defaultEEEi11max_functorIiEiEEDaPvRmT3_T4_T5_mT6_P12ihipStream_tbENKUlT_T0_E_clISt17integral_constantIbLb1EESW_IbLb0EEEEDaSS_ST_EUlSS_E_NS1_11comp_targetILNS1_3genE0ELNS1_11target_archE4294967295ELNS1_3gpuE0ELNS1_3repE0EEENS1_30default_config_static_selectorELNS0_4arch9wavefront6targetE1EEEvT1_, .Lfunc_end3890-_ZN7rocprim17ROCPRIM_400000_NS6detail17trampoline_kernelINS0_14default_configENS1_20scan_config_selectorIiEEZZNS1_9scan_implILNS1_25lookback_scan_determinismE0ELb0ELb0ES3_N6thrust23THRUST_200600_302600_NS6detail15normal_iteratorINS9_10device_ptrIiEEEENS9_16discard_iteratorINS9_11use_defaultEEEi11max_functorIiEiEEDaPvRmT3_T4_T5_mT6_P12ihipStream_tbENKUlT_T0_E_clISt17integral_constantIbLb1EESW_IbLb0EEEEDaSS_ST_EUlSS_E_NS1_11comp_targetILNS1_3genE0ELNS1_11target_archE4294967295ELNS1_3gpuE0ELNS1_3repE0EEENS1_30default_config_static_selectorELNS0_4arch9wavefront6targetE1EEEvT1_
                                        ; -- End function
	.section	.AMDGPU.csdata,"",@progbits
; Kernel info:
; codeLenInByte = 0
; NumSgprs: 4
; NumVgprs: 0
; NumAgprs: 0
; TotalNumVgprs: 0
; ScratchSize: 0
; MemoryBound: 0
; FloatMode: 240
; IeeeMode: 1
; LDSByteSize: 0 bytes/workgroup (compile time only)
; SGPRBlocks: 0
; VGPRBlocks: 0
; NumSGPRsForWavesPerEU: 4
; NumVGPRsForWavesPerEU: 1
; AccumOffset: 4
; Occupancy: 8
; WaveLimiterHint : 0
; COMPUTE_PGM_RSRC2:SCRATCH_EN: 0
; COMPUTE_PGM_RSRC2:USER_SGPR: 6
; COMPUTE_PGM_RSRC2:TRAP_HANDLER: 0
; COMPUTE_PGM_RSRC2:TGID_X_EN: 1
; COMPUTE_PGM_RSRC2:TGID_Y_EN: 0
; COMPUTE_PGM_RSRC2:TGID_Z_EN: 0
; COMPUTE_PGM_RSRC2:TIDIG_COMP_CNT: 0
; COMPUTE_PGM_RSRC3_GFX90A:ACCUM_OFFSET: 0
; COMPUTE_PGM_RSRC3_GFX90A:TG_SPLIT: 0
	.section	.text._ZN7rocprim17ROCPRIM_400000_NS6detail17trampoline_kernelINS0_14default_configENS1_20scan_config_selectorIiEEZZNS1_9scan_implILNS1_25lookback_scan_determinismE0ELb0ELb0ES3_N6thrust23THRUST_200600_302600_NS6detail15normal_iteratorINS9_10device_ptrIiEEEENS9_16discard_iteratorINS9_11use_defaultEEEi11max_functorIiEiEEDaPvRmT3_T4_T5_mT6_P12ihipStream_tbENKUlT_T0_E_clISt17integral_constantIbLb1EESW_IbLb0EEEEDaSS_ST_EUlSS_E_NS1_11comp_targetILNS1_3genE5ELNS1_11target_archE942ELNS1_3gpuE9ELNS1_3repE0EEENS1_30default_config_static_selectorELNS0_4arch9wavefront6targetE1EEEvT1_,"axG",@progbits,_ZN7rocprim17ROCPRIM_400000_NS6detail17trampoline_kernelINS0_14default_configENS1_20scan_config_selectorIiEEZZNS1_9scan_implILNS1_25lookback_scan_determinismE0ELb0ELb0ES3_N6thrust23THRUST_200600_302600_NS6detail15normal_iteratorINS9_10device_ptrIiEEEENS9_16discard_iteratorINS9_11use_defaultEEEi11max_functorIiEiEEDaPvRmT3_T4_T5_mT6_P12ihipStream_tbENKUlT_T0_E_clISt17integral_constantIbLb1EESW_IbLb0EEEEDaSS_ST_EUlSS_E_NS1_11comp_targetILNS1_3genE5ELNS1_11target_archE942ELNS1_3gpuE9ELNS1_3repE0EEENS1_30default_config_static_selectorELNS0_4arch9wavefront6targetE1EEEvT1_,comdat
	.protected	_ZN7rocprim17ROCPRIM_400000_NS6detail17trampoline_kernelINS0_14default_configENS1_20scan_config_selectorIiEEZZNS1_9scan_implILNS1_25lookback_scan_determinismE0ELb0ELb0ES3_N6thrust23THRUST_200600_302600_NS6detail15normal_iteratorINS9_10device_ptrIiEEEENS9_16discard_iteratorINS9_11use_defaultEEEi11max_functorIiEiEEDaPvRmT3_T4_T5_mT6_P12ihipStream_tbENKUlT_T0_E_clISt17integral_constantIbLb1EESW_IbLb0EEEEDaSS_ST_EUlSS_E_NS1_11comp_targetILNS1_3genE5ELNS1_11target_archE942ELNS1_3gpuE9ELNS1_3repE0EEENS1_30default_config_static_selectorELNS0_4arch9wavefront6targetE1EEEvT1_ ; -- Begin function _ZN7rocprim17ROCPRIM_400000_NS6detail17trampoline_kernelINS0_14default_configENS1_20scan_config_selectorIiEEZZNS1_9scan_implILNS1_25lookback_scan_determinismE0ELb0ELb0ES3_N6thrust23THRUST_200600_302600_NS6detail15normal_iteratorINS9_10device_ptrIiEEEENS9_16discard_iteratorINS9_11use_defaultEEEi11max_functorIiEiEEDaPvRmT3_T4_T5_mT6_P12ihipStream_tbENKUlT_T0_E_clISt17integral_constantIbLb1EESW_IbLb0EEEEDaSS_ST_EUlSS_E_NS1_11comp_targetILNS1_3genE5ELNS1_11target_archE942ELNS1_3gpuE9ELNS1_3repE0EEENS1_30default_config_static_selectorELNS0_4arch9wavefront6targetE1EEEvT1_
	.globl	_ZN7rocprim17ROCPRIM_400000_NS6detail17trampoline_kernelINS0_14default_configENS1_20scan_config_selectorIiEEZZNS1_9scan_implILNS1_25lookback_scan_determinismE0ELb0ELb0ES3_N6thrust23THRUST_200600_302600_NS6detail15normal_iteratorINS9_10device_ptrIiEEEENS9_16discard_iteratorINS9_11use_defaultEEEi11max_functorIiEiEEDaPvRmT3_T4_T5_mT6_P12ihipStream_tbENKUlT_T0_E_clISt17integral_constantIbLb1EESW_IbLb0EEEEDaSS_ST_EUlSS_E_NS1_11comp_targetILNS1_3genE5ELNS1_11target_archE942ELNS1_3gpuE9ELNS1_3repE0EEENS1_30default_config_static_selectorELNS0_4arch9wavefront6targetE1EEEvT1_
	.p2align	8
	.type	_ZN7rocprim17ROCPRIM_400000_NS6detail17trampoline_kernelINS0_14default_configENS1_20scan_config_selectorIiEEZZNS1_9scan_implILNS1_25lookback_scan_determinismE0ELb0ELb0ES3_N6thrust23THRUST_200600_302600_NS6detail15normal_iteratorINS9_10device_ptrIiEEEENS9_16discard_iteratorINS9_11use_defaultEEEi11max_functorIiEiEEDaPvRmT3_T4_T5_mT6_P12ihipStream_tbENKUlT_T0_E_clISt17integral_constantIbLb1EESW_IbLb0EEEEDaSS_ST_EUlSS_E_NS1_11comp_targetILNS1_3genE5ELNS1_11target_archE942ELNS1_3gpuE9ELNS1_3repE0EEENS1_30default_config_static_selectorELNS0_4arch9wavefront6targetE1EEEvT1_,@function
_ZN7rocprim17ROCPRIM_400000_NS6detail17trampoline_kernelINS0_14default_configENS1_20scan_config_selectorIiEEZZNS1_9scan_implILNS1_25lookback_scan_determinismE0ELb0ELb0ES3_N6thrust23THRUST_200600_302600_NS6detail15normal_iteratorINS9_10device_ptrIiEEEENS9_16discard_iteratorINS9_11use_defaultEEEi11max_functorIiEiEEDaPvRmT3_T4_T5_mT6_P12ihipStream_tbENKUlT_T0_E_clISt17integral_constantIbLb1EESW_IbLb0EEEEDaSS_ST_EUlSS_E_NS1_11comp_targetILNS1_3genE5ELNS1_11target_archE942ELNS1_3gpuE9ELNS1_3repE0EEENS1_30default_config_static_selectorELNS0_4arch9wavefront6targetE1EEEvT1_: ; @_ZN7rocprim17ROCPRIM_400000_NS6detail17trampoline_kernelINS0_14default_configENS1_20scan_config_selectorIiEEZZNS1_9scan_implILNS1_25lookback_scan_determinismE0ELb0ELb0ES3_N6thrust23THRUST_200600_302600_NS6detail15normal_iteratorINS9_10device_ptrIiEEEENS9_16discard_iteratorINS9_11use_defaultEEEi11max_functorIiEiEEDaPvRmT3_T4_T5_mT6_P12ihipStream_tbENKUlT_T0_E_clISt17integral_constantIbLb1EESW_IbLb0EEEEDaSS_ST_EUlSS_E_NS1_11comp_targetILNS1_3genE5ELNS1_11target_archE942ELNS1_3gpuE9ELNS1_3repE0EEENS1_30default_config_static_selectorELNS0_4arch9wavefront6targetE1EEEvT1_
; %bb.0:
	.section	.rodata,"a",@progbits
	.p2align	6, 0x0
	.amdhsa_kernel _ZN7rocprim17ROCPRIM_400000_NS6detail17trampoline_kernelINS0_14default_configENS1_20scan_config_selectorIiEEZZNS1_9scan_implILNS1_25lookback_scan_determinismE0ELb0ELb0ES3_N6thrust23THRUST_200600_302600_NS6detail15normal_iteratorINS9_10device_ptrIiEEEENS9_16discard_iteratorINS9_11use_defaultEEEi11max_functorIiEiEEDaPvRmT3_T4_T5_mT6_P12ihipStream_tbENKUlT_T0_E_clISt17integral_constantIbLb1EESW_IbLb0EEEEDaSS_ST_EUlSS_E_NS1_11comp_targetILNS1_3genE5ELNS1_11target_archE942ELNS1_3gpuE9ELNS1_3repE0EEENS1_30default_config_static_selectorELNS0_4arch9wavefront6targetE1EEEvT1_
		.amdhsa_group_segment_fixed_size 0
		.amdhsa_private_segment_fixed_size 0
		.amdhsa_kernarg_size 104
		.amdhsa_user_sgpr_count 6
		.amdhsa_user_sgpr_private_segment_buffer 1
		.amdhsa_user_sgpr_dispatch_ptr 0
		.amdhsa_user_sgpr_queue_ptr 0
		.amdhsa_user_sgpr_kernarg_segment_ptr 1
		.amdhsa_user_sgpr_dispatch_id 0
		.amdhsa_user_sgpr_flat_scratch_init 0
		.amdhsa_user_sgpr_kernarg_preload_length 0
		.amdhsa_user_sgpr_kernarg_preload_offset 0
		.amdhsa_user_sgpr_private_segment_size 0
		.amdhsa_uses_dynamic_stack 0
		.amdhsa_system_sgpr_private_segment_wavefront_offset 0
		.amdhsa_system_sgpr_workgroup_id_x 1
		.amdhsa_system_sgpr_workgroup_id_y 0
		.amdhsa_system_sgpr_workgroup_id_z 0
		.amdhsa_system_sgpr_workgroup_info 0
		.amdhsa_system_vgpr_workitem_id 0
		.amdhsa_next_free_vgpr 1
		.amdhsa_next_free_sgpr 0
		.amdhsa_accum_offset 4
		.amdhsa_reserve_vcc 0
		.amdhsa_reserve_flat_scratch 0
		.amdhsa_float_round_mode_32 0
		.amdhsa_float_round_mode_16_64 0
		.amdhsa_float_denorm_mode_32 3
		.amdhsa_float_denorm_mode_16_64 3
		.amdhsa_dx10_clamp 1
		.amdhsa_ieee_mode 1
		.amdhsa_fp16_overflow 0
		.amdhsa_tg_split 0
		.amdhsa_exception_fp_ieee_invalid_op 0
		.amdhsa_exception_fp_denorm_src 0
		.amdhsa_exception_fp_ieee_div_zero 0
		.amdhsa_exception_fp_ieee_overflow 0
		.amdhsa_exception_fp_ieee_underflow 0
		.amdhsa_exception_fp_ieee_inexact 0
		.amdhsa_exception_int_div_zero 0
	.end_amdhsa_kernel
	.section	.text._ZN7rocprim17ROCPRIM_400000_NS6detail17trampoline_kernelINS0_14default_configENS1_20scan_config_selectorIiEEZZNS1_9scan_implILNS1_25lookback_scan_determinismE0ELb0ELb0ES3_N6thrust23THRUST_200600_302600_NS6detail15normal_iteratorINS9_10device_ptrIiEEEENS9_16discard_iteratorINS9_11use_defaultEEEi11max_functorIiEiEEDaPvRmT3_T4_T5_mT6_P12ihipStream_tbENKUlT_T0_E_clISt17integral_constantIbLb1EESW_IbLb0EEEEDaSS_ST_EUlSS_E_NS1_11comp_targetILNS1_3genE5ELNS1_11target_archE942ELNS1_3gpuE9ELNS1_3repE0EEENS1_30default_config_static_selectorELNS0_4arch9wavefront6targetE1EEEvT1_,"axG",@progbits,_ZN7rocprim17ROCPRIM_400000_NS6detail17trampoline_kernelINS0_14default_configENS1_20scan_config_selectorIiEEZZNS1_9scan_implILNS1_25lookback_scan_determinismE0ELb0ELb0ES3_N6thrust23THRUST_200600_302600_NS6detail15normal_iteratorINS9_10device_ptrIiEEEENS9_16discard_iteratorINS9_11use_defaultEEEi11max_functorIiEiEEDaPvRmT3_T4_T5_mT6_P12ihipStream_tbENKUlT_T0_E_clISt17integral_constantIbLb1EESW_IbLb0EEEEDaSS_ST_EUlSS_E_NS1_11comp_targetILNS1_3genE5ELNS1_11target_archE942ELNS1_3gpuE9ELNS1_3repE0EEENS1_30default_config_static_selectorELNS0_4arch9wavefront6targetE1EEEvT1_,comdat
.Lfunc_end3891:
	.size	_ZN7rocprim17ROCPRIM_400000_NS6detail17trampoline_kernelINS0_14default_configENS1_20scan_config_selectorIiEEZZNS1_9scan_implILNS1_25lookback_scan_determinismE0ELb0ELb0ES3_N6thrust23THRUST_200600_302600_NS6detail15normal_iteratorINS9_10device_ptrIiEEEENS9_16discard_iteratorINS9_11use_defaultEEEi11max_functorIiEiEEDaPvRmT3_T4_T5_mT6_P12ihipStream_tbENKUlT_T0_E_clISt17integral_constantIbLb1EESW_IbLb0EEEEDaSS_ST_EUlSS_E_NS1_11comp_targetILNS1_3genE5ELNS1_11target_archE942ELNS1_3gpuE9ELNS1_3repE0EEENS1_30default_config_static_selectorELNS0_4arch9wavefront6targetE1EEEvT1_, .Lfunc_end3891-_ZN7rocprim17ROCPRIM_400000_NS6detail17trampoline_kernelINS0_14default_configENS1_20scan_config_selectorIiEEZZNS1_9scan_implILNS1_25lookback_scan_determinismE0ELb0ELb0ES3_N6thrust23THRUST_200600_302600_NS6detail15normal_iteratorINS9_10device_ptrIiEEEENS9_16discard_iteratorINS9_11use_defaultEEEi11max_functorIiEiEEDaPvRmT3_T4_T5_mT6_P12ihipStream_tbENKUlT_T0_E_clISt17integral_constantIbLb1EESW_IbLb0EEEEDaSS_ST_EUlSS_E_NS1_11comp_targetILNS1_3genE5ELNS1_11target_archE942ELNS1_3gpuE9ELNS1_3repE0EEENS1_30default_config_static_selectorELNS0_4arch9wavefront6targetE1EEEvT1_
                                        ; -- End function
	.section	.AMDGPU.csdata,"",@progbits
; Kernel info:
; codeLenInByte = 0
; NumSgprs: 4
; NumVgprs: 0
; NumAgprs: 0
; TotalNumVgprs: 0
; ScratchSize: 0
; MemoryBound: 0
; FloatMode: 240
; IeeeMode: 1
; LDSByteSize: 0 bytes/workgroup (compile time only)
; SGPRBlocks: 0
; VGPRBlocks: 0
; NumSGPRsForWavesPerEU: 4
; NumVGPRsForWavesPerEU: 1
; AccumOffset: 4
; Occupancy: 8
; WaveLimiterHint : 0
; COMPUTE_PGM_RSRC2:SCRATCH_EN: 0
; COMPUTE_PGM_RSRC2:USER_SGPR: 6
; COMPUTE_PGM_RSRC2:TRAP_HANDLER: 0
; COMPUTE_PGM_RSRC2:TGID_X_EN: 1
; COMPUTE_PGM_RSRC2:TGID_Y_EN: 0
; COMPUTE_PGM_RSRC2:TGID_Z_EN: 0
; COMPUTE_PGM_RSRC2:TIDIG_COMP_CNT: 0
; COMPUTE_PGM_RSRC3_GFX90A:ACCUM_OFFSET: 0
; COMPUTE_PGM_RSRC3_GFX90A:TG_SPLIT: 0
	.section	.text._ZN7rocprim17ROCPRIM_400000_NS6detail17trampoline_kernelINS0_14default_configENS1_20scan_config_selectorIiEEZZNS1_9scan_implILNS1_25lookback_scan_determinismE0ELb0ELb0ES3_N6thrust23THRUST_200600_302600_NS6detail15normal_iteratorINS9_10device_ptrIiEEEENS9_16discard_iteratorINS9_11use_defaultEEEi11max_functorIiEiEEDaPvRmT3_T4_T5_mT6_P12ihipStream_tbENKUlT_T0_E_clISt17integral_constantIbLb1EESW_IbLb0EEEEDaSS_ST_EUlSS_E_NS1_11comp_targetILNS1_3genE4ELNS1_11target_archE910ELNS1_3gpuE8ELNS1_3repE0EEENS1_30default_config_static_selectorELNS0_4arch9wavefront6targetE1EEEvT1_,"axG",@progbits,_ZN7rocprim17ROCPRIM_400000_NS6detail17trampoline_kernelINS0_14default_configENS1_20scan_config_selectorIiEEZZNS1_9scan_implILNS1_25lookback_scan_determinismE0ELb0ELb0ES3_N6thrust23THRUST_200600_302600_NS6detail15normal_iteratorINS9_10device_ptrIiEEEENS9_16discard_iteratorINS9_11use_defaultEEEi11max_functorIiEiEEDaPvRmT3_T4_T5_mT6_P12ihipStream_tbENKUlT_T0_E_clISt17integral_constantIbLb1EESW_IbLb0EEEEDaSS_ST_EUlSS_E_NS1_11comp_targetILNS1_3genE4ELNS1_11target_archE910ELNS1_3gpuE8ELNS1_3repE0EEENS1_30default_config_static_selectorELNS0_4arch9wavefront6targetE1EEEvT1_,comdat
	.protected	_ZN7rocprim17ROCPRIM_400000_NS6detail17trampoline_kernelINS0_14default_configENS1_20scan_config_selectorIiEEZZNS1_9scan_implILNS1_25lookback_scan_determinismE0ELb0ELb0ES3_N6thrust23THRUST_200600_302600_NS6detail15normal_iteratorINS9_10device_ptrIiEEEENS9_16discard_iteratorINS9_11use_defaultEEEi11max_functorIiEiEEDaPvRmT3_T4_T5_mT6_P12ihipStream_tbENKUlT_T0_E_clISt17integral_constantIbLb1EESW_IbLb0EEEEDaSS_ST_EUlSS_E_NS1_11comp_targetILNS1_3genE4ELNS1_11target_archE910ELNS1_3gpuE8ELNS1_3repE0EEENS1_30default_config_static_selectorELNS0_4arch9wavefront6targetE1EEEvT1_ ; -- Begin function _ZN7rocprim17ROCPRIM_400000_NS6detail17trampoline_kernelINS0_14default_configENS1_20scan_config_selectorIiEEZZNS1_9scan_implILNS1_25lookback_scan_determinismE0ELb0ELb0ES3_N6thrust23THRUST_200600_302600_NS6detail15normal_iteratorINS9_10device_ptrIiEEEENS9_16discard_iteratorINS9_11use_defaultEEEi11max_functorIiEiEEDaPvRmT3_T4_T5_mT6_P12ihipStream_tbENKUlT_T0_E_clISt17integral_constantIbLb1EESW_IbLb0EEEEDaSS_ST_EUlSS_E_NS1_11comp_targetILNS1_3genE4ELNS1_11target_archE910ELNS1_3gpuE8ELNS1_3repE0EEENS1_30default_config_static_selectorELNS0_4arch9wavefront6targetE1EEEvT1_
	.globl	_ZN7rocprim17ROCPRIM_400000_NS6detail17trampoline_kernelINS0_14default_configENS1_20scan_config_selectorIiEEZZNS1_9scan_implILNS1_25lookback_scan_determinismE0ELb0ELb0ES3_N6thrust23THRUST_200600_302600_NS6detail15normal_iteratorINS9_10device_ptrIiEEEENS9_16discard_iteratorINS9_11use_defaultEEEi11max_functorIiEiEEDaPvRmT3_T4_T5_mT6_P12ihipStream_tbENKUlT_T0_E_clISt17integral_constantIbLb1EESW_IbLb0EEEEDaSS_ST_EUlSS_E_NS1_11comp_targetILNS1_3genE4ELNS1_11target_archE910ELNS1_3gpuE8ELNS1_3repE0EEENS1_30default_config_static_selectorELNS0_4arch9wavefront6targetE1EEEvT1_
	.p2align	8
	.type	_ZN7rocprim17ROCPRIM_400000_NS6detail17trampoline_kernelINS0_14default_configENS1_20scan_config_selectorIiEEZZNS1_9scan_implILNS1_25lookback_scan_determinismE0ELb0ELb0ES3_N6thrust23THRUST_200600_302600_NS6detail15normal_iteratorINS9_10device_ptrIiEEEENS9_16discard_iteratorINS9_11use_defaultEEEi11max_functorIiEiEEDaPvRmT3_T4_T5_mT6_P12ihipStream_tbENKUlT_T0_E_clISt17integral_constantIbLb1EESW_IbLb0EEEEDaSS_ST_EUlSS_E_NS1_11comp_targetILNS1_3genE4ELNS1_11target_archE910ELNS1_3gpuE8ELNS1_3repE0EEENS1_30default_config_static_selectorELNS0_4arch9wavefront6targetE1EEEvT1_,@function
_ZN7rocprim17ROCPRIM_400000_NS6detail17trampoline_kernelINS0_14default_configENS1_20scan_config_selectorIiEEZZNS1_9scan_implILNS1_25lookback_scan_determinismE0ELb0ELb0ES3_N6thrust23THRUST_200600_302600_NS6detail15normal_iteratorINS9_10device_ptrIiEEEENS9_16discard_iteratorINS9_11use_defaultEEEi11max_functorIiEiEEDaPvRmT3_T4_T5_mT6_P12ihipStream_tbENKUlT_T0_E_clISt17integral_constantIbLb1EESW_IbLb0EEEEDaSS_ST_EUlSS_E_NS1_11comp_targetILNS1_3genE4ELNS1_11target_archE910ELNS1_3gpuE8ELNS1_3repE0EEENS1_30default_config_static_selectorELNS0_4arch9wavefront6targetE1EEEvT1_: ; @_ZN7rocprim17ROCPRIM_400000_NS6detail17trampoline_kernelINS0_14default_configENS1_20scan_config_selectorIiEEZZNS1_9scan_implILNS1_25lookback_scan_determinismE0ELb0ELb0ES3_N6thrust23THRUST_200600_302600_NS6detail15normal_iteratorINS9_10device_ptrIiEEEENS9_16discard_iteratorINS9_11use_defaultEEEi11max_functorIiEiEEDaPvRmT3_T4_T5_mT6_P12ihipStream_tbENKUlT_T0_E_clISt17integral_constantIbLb1EESW_IbLb0EEEEDaSS_ST_EUlSS_E_NS1_11comp_targetILNS1_3genE4ELNS1_11target_archE910ELNS1_3gpuE8ELNS1_3repE0EEENS1_30default_config_static_selectorELNS0_4arch9wavefront6targetE1EEEvT1_
; %bb.0:
	s_load_dwordx4 s[0:3], s[4:5], 0x0
	s_load_dwordx2 s[8:9], s[4:5], 0x20
	s_load_dword s7, s[4:5], 0x38
	v_lshlrev_b32_e32 v11, 2, v0
	s_waitcnt lgkmcnt(0)
	s_lshl_b64 s[2:3], s[2:3], 2
	s_add_u32 s2, s0, s2
	s_addc_u32 s3, s1, s3
	s_add_i32 s7, s7, -1
	s_mul_i32 s10, s7, 0x500
	s_sub_u32 s18, s8, s10
	s_subb_u32 s19, s9, 0
	s_mul_i32 s0, s6, 0x500
	s_mov_b32 s1, 0
	s_cmp_lg_u32 s6, s7
	s_cselect_b64 s[12:13], -1, 0
	s_lshl_b64 s[0:1], s[0:1], 2
	s_add_u32 s0, s2, s0
	s_addc_u32 s1, s3, s1
	s_mov_b64 s[2:3], -1
	s_and_b64 vcc, exec, s[12:13]
	s_cbranch_vccz .LBB3892_2
; %bb.1:
	v_mov_b32_e32 v1, s1
	v_add_co_u32_e32 v2, vcc, s0, v11
	v_addc_co_u32_e32 v3, vcc, 0, v1, vcc
	flat_load_dword v1, v[2:3]
	flat_load_dword v4, v[2:3] offset:512
	flat_load_dword v5, v[2:3] offset:1024
	;; [unrolled: 1-line block ×7, first 2 shown]
	v_add_co_u32_e32 v2, vcc, 0x1000, v2
	v_addc_co_u32_e32 v3, vcc, 0, v3, vcc
	flat_load_dword v12, v[2:3]
	flat_load_dword v13, v[2:3] offset:512
	s_mov_b64 s[2:3], 0
	s_waitcnt vmcnt(0) lgkmcnt(0)
	ds_write2st64_b32 v11, v1, v4 offset1:2
	ds_write2st64_b32 v11, v5, v6 offset0:4 offset1:6
	ds_write2st64_b32 v11, v7, v8 offset0:8 offset1:10
	;; [unrolled: 1-line block ×4, first 2 shown]
	s_waitcnt lgkmcnt(0)
	s_barrier
.LBB3892_2:
	s_load_dwordx2 s[14:15], s[4:5], 0x30
	s_andn2_b64 vcc, exec, s[2:3]
	s_cbranch_vccnz .LBB3892_24
; %bb.3:
	v_pk_mov_b32 v[2:3], s[0:1], s[0:1] op_sel:[0,1]
	flat_load_dword v1, v[2:3]
	v_cmp_gt_u32_e32 vcc, s18, v0
	s_waitcnt vmcnt(0) lgkmcnt(0)
	v_mov_b32_e32 v2, v1
	v_mov_b32_e32 v3, v1
	;; [unrolled: 1-line block ×9, first 2 shown]
	s_and_saveexec_b64 s[2:3], vcc
	s_cbranch_execz .LBB3892_5
; %bb.4:
	v_mov_b32_e32 v10, s1
	v_add_co_u32_e32 v12, vcc, s0, v11
	v_addc_co_u32_e32 v13, vcc, 0, v10, vcc
	flat_load_dword v10, v[12:13]
.LBB3892_5:
	s_or_b64 exec, exec, s[2:3]
	v_or_b32_e32 v12, 0x80, v0
	v_cmp_gt_u32_e32 vcc, s18, v12
	s_and_saveexec_b64 s[2:3], vcc
	s_cbranch_execz .LBB3892_7
; %bb.6:
	v_mov_b32_e32 v1, s1
	v_add_co_u32_e32 v12, vcc, s0, v11
	v_addc_co_u32_e32 v13, vcc, 0, v1, vcc
	flat_load_dword v1, v[12:13] offset:512
.LBB3892_7:
	s_or_b64 exec, exec, s[2:3]
	v_or_b32_e32 v12, 0x100, v0
	v_cmp_gt_u32_e32 vcc, s18, v12
	s_and_saveexec_b64 s[2:3], vcc
	s_cbranch_execz .LBB3892_9
; %bb.8:
	v_mov_b32_e32 v2, s1
	v_add_co_u32_e32 v12, vcc, s0, v11
	v_addc_co_u32_e32 v13, vcc, 0, v2, vcc
	flat_load_dword v2, v[12:13] offset:1024
.LBB3892_9:
	s_or_b64 exec, exec, s[2:3]
	v_or_b32_e32 v12, 0x180, v0
	v_cmp_gt_u32_e32 vcc, s18, v12
	s_and_saveexec_b64 s[2:3], vcc
	s_cbranch_execz .LBB3892_11
; %bb.10:
	v_mov_b32_e32 v3, s1
	v_add_co_u32_e32 v12, vcc, s0, v11
	v_addc_co_u32_e32 v13, vcc, 0, v3, vcc
	flat_load_dword v3, v[12:13] offset:1536
.LBB3892_11:
	s_or_b64 exec, exec, s[2:3]
	v_or_b32_e32 v12, 0x200, v0
	v_cmp_gt_u32_e32 vcc, s18, v12
	s_and_saveexec_b64 s[2:3], vcc
	s_cbranch_execz .LBB3892_13
; %bb.12:
	v_mov_b32_e32 v4, s1
	v_add_co_u32_e32 v12, vcc, s0, v11
	v_addc_co_u32_e32 v13, vcc, 0, v4, vcc
	flat_load_dword v4, v[12:13] offset:2048
.LBB3892_13:
	s_or_b64 exec, exec, s[2:3]
	v_or_b32_e32 v12, 0x280, v0
	v_cmp_gt_u32_e32 vcc, s18, v12
	s_and_saveexec_b64 s[2:3], vcc
	s_cbranch_execz .LBB3892_15
; %bb.14:
	v_mov_b32_e32 v5, s1
	v_add_co_u32_e32 v12, vcc, s0, v11
	v_addc_co_u32_e32 v13, vcc, 0, v5, vcc
	flat_load_dword v5, v[12:13] offset:2560
.LBB3892_15:
	s_or_b64 exec, exec, s[2:3]
	v_or_b32_e32 v12, 0x300, v0
	v_cmp_gt_u32_e32 vcc, s18, v12
	s_and_saveexec_b64 s[2:3], vcc
	s_cbranch_execz .LBB3892_17
; %bb.16:
	v_mov_b32_e32 v6, s1
	v_add_co_u32_e32 v12, vcc, s0, v11
	v_addc_co_u32_e32 v13, vcc, 0, v6, vcc
	flat_load_dword v6, v[12:13] offset:3072
.LBB3892_17:
	s_or_b64 exec, exec, s[2:3]
	v_or_b32_e32 v12, 0x380, v0
	v_cmp_gt_u32_e32 vcc, s18, v12
	s_and_saveexec_b64 s[2:3], vcc
	s_cbranch_execz .LBB3892_19
; %bb.18:
	v_mov_b32_e32 v7, s1
	v_add_co_u32_e32 v12, vcc, s0, v11
	v_addc_co_u32_e32 v13, vcc, 0, v7, vcc
	flat_load_dword v7, v[12:13] offset:3584
.LBB3892_19:
	s_or_b64 exec, exec, s[2:3]
	v_or_b32_e32 v12, 0x400, v0
	v_cmp_gt_u32_e32 vcc, s18, v12
	s_and_saveexec_b64 s[2:3], vcc
	s_cbranch_execz .LBB3892_21
; %bb.20:
	v_lshlrev_b32_e32 v8, 2, v12
	v_mov_b32_e32 v13, s1
	v_add_co_u32_e32 v12, vcc, s0, v8
	v_addc_co_u32_e32 v13, vcc, 0, v13, vcc
	flat_load_dword v8, v[12:13]
.LBB3892_21:
	s_or_b64 exec, exec, s[2:3]
	v_or_b32_e32 v12, 0x480, v0
	v_cmp_gt_u32_e32 vcc, s18, v12
	s_and_saveexec_b64 s[2:3], vcc
	s_cbranch_execz .LBB3892_23
; %bb.22:
	v_lshlrev_b32_e32 v9, 2, v12
	v_mov_b32_e32 v13, s1
	v_add_co_u32_e32 v12, vcc, s0, v9
	v_addc_co_u32_e32 v13, vcc, 0, v13, vcc
	flat_load_dword v9, v[12:13]
.LBB3892_23:
	s_or_b64 exec, exec, s[2:3]
	s_waitcnt vmcnt(0) lgkmcnt(0)
	ds_write2st64_b32 v11, v10, v1 offset1:2
	ds_write2st64_b32 v11, v2, v3 offset0:4 offset1:6
	ds_write2st64_b32 v11, v4, v5 offset0:8 offset1:10
	;; [unrolled: 1-line block ×4, first 2 shown]
	s_waitcnt lgkmcnt(0)
	s_barrier
.LBB3892_24:
	v_mul_u32_u24_e32 v22, 10, v0
	v_lshlrev_b32_e32 v23, 2, v22
	s_waitcnt lgkmcnt(0)
	ds_read2_b64 v[2:5], v23 offset1:1
	ds_read2_b64 v[16:19], v23 offset0:2 offset1:3
	ds_read_b64 v[20:21], v23 offset:32
	s_cmp_lg_u32 s6, 0
	v_lshrrev_b32_e32 v1, 5, v0
	v_cmp_gt_u32_e32 vcc, 64, v0
	s_waitcnt lgkmcnt(0)
	s_barrier
	s_cbranch_scc0 .LBB3892_53
; %bb.25:
	v_max_i32_e32 v6, v2, v3
	v_max3_i32 v6, v6, v4, v5
	v_max3_i32 v6, v6, v16, v17
	;; [unrolled: 1-line block ×4, first 2 shown]
	v_add_lshl_u32 v6, v1, v0, 2
	ds_write_b32 v6, v24
	s_waitcnt lgkmcnt(0)
	s_barrier
	s_and_saveexec_b64 s[2:3], vcc
	s_cbranch_execz .LBB3892_27
; %bb.26:
	v_lshlrev_b32_e32 v6, 1, v0
	v_lshrrev_b32_e32 v7, 4, v0
	v_add_lshl_u32 v8, v7, v6, 2
	ds_read2_b32 v[6:7], v8 offset1:1
	v_mbcnt_lo_u32_b32 v9, -1, 0
	v_mbcnt_hi_u32_b32 v9, -1, v9
	v_and_b32_e32 v10, 15, v9
	v_cmp_eq_u32_e64 s[0:1], 0, v10
	s_waitcnt lgkmcnt(0)
	v_max_i32_e32 v7, v6, v7
	; wave barrier
	s_nop 1
	v_mov_b32_dpp v11, v7 row_shr:1 row_mask:0xf bank_mask:0xf
	v_max_i32_e32 v11, v11, v7
	v_cndmask_b32_e64 v7, v11, v7, s[0:1]
	v_cmp_lt_u32_e64 s[0:1], 1, v10
	s_nop 0
	v_mov_b32_dpp v11, v7 row_shr:2 row_mask:0xf bank_mask:0xf
	v_max_i32_e32 v11, v11, v7
	v_cndmask_b32_e64 v7, v7, v11, s[0:1]
	v_cmp_lt_u32_e64 s[0:1], 3, v10
	;; [unrolled: 5-line block ×3, first 2 shown]
	s_nop 0
	v_mov_b32_dpp v11, v7 row_shr:8 row_mask:0xf bank_mask:0xf
	v_max_i32_e32 v11, v11, v7
	v_cndmask_b32_e64 v7, v7, v11, s[0:1]
	v_and_b32_e32 v11, 16, v9
	v_cmp_eq_u32_e64 s[0:1], 0, v11
	v_mov_b32_dpp v10, v7 row_bcast:15 row_mask:0xf bank_mask:0xf
	v_max_i32_e32 v10, v10, v7
	v_cndmask_b32_e64 v7, v10, v7, s[0:1]
	v_cmp_lt_u32_e64 s[0:1], 31, v9
	v_and_b32_e32 v11, 64, v9
	v_mov_b32_dpp v10, v7 row_bcast:31 row_mask:0xf bank_mask:0xf
	v_max_i32_e32 v10, v10, v7
	v_cndmask_b32_e64 v7, v7, v10, s[0:1]
	v_add_u32_e32 v10, -1, v9
	v_cmp_lt_i32_e64 s[0:1], v10, v11
	v_cndmask_b32_e64 v9, v10, v9, s[0:1]
	v_lshlrev_b32_e32 v9, 2, v9
	ds_bpermute_b32 v7, v9, v7
	v_cmp_eq_u32_e64 s[0:1], 0, v0
	s_waitcnt lgkmcnt(0)
	v_max_i32_e32 v6, v7, v6
	v_cndmask_b32_e64 v6, v6, v24, s[0:1]
	ds_write_b32 v8, v6
	; wave barrier
	ds_read_b32 v7, v8 offset:4
	s_waitcnt lgkmcnt(0)
	v_max_i32_e32 v6, v6, v7
	ds_write_b32 v8, v6 offset:4
.LBB3892_27:
	s_or_b64 exec, exec, s[2:3]
	v_cmp_eq_u32_e64 s[0:1], 0, v0
	v_cmp_ne_u32_e64 s[2:3], 0, v0
	s_waitcnt lgkmcnt(0)
	s_barrier
	s_and_saveexec_b64 s[8:9], s[2:3]
	s_cbranch_execz .LBB3892_29
; %bb.28:
	v_add_u32_e32 v6, -1, v0
	v_lshrrev_b32_e32 v7, 5, v6
	v_add_lshl_u32 v6, v7, v6, 2
	ds_read_b32 v24, v6
.LBB3892_29:
	s_or_b64 exec, exec, s[8:9]
	s_and_saveexec_b64 s[8:9], vcc
	s_cbranch_execz .LBB3892_52
; %bb.30:
	v_mov_b32_e32 v15, 0
	ds_read_b32 v6, v15 offset:520
	v_mbcnt_lo_u32_b32 v7, -1, 0
	v_mbcnt_hi_u32_b32 v9, -1, v7
	s_mov_b32 s17, 0
	v_cmp_eq_u32_e64 s[2:3], 0, v9
	s_and_saveexec_b64 s[10:11], s[2:3]
	s_cbranch_execz .LBB3892_32
; %bb.31:
	s_add_i32 s16, s6, 64
	s_lshl_b64 s[16:17], s[16:17], 3
	s_add_u32 s16, s14, s16
	v_mov_b32_e32 v7, 1
	s_addc_u32 s17, s15, s17
	s_waitcnt lgkmcnt(0)
	global_store_dwordx2 v15, v[6:7], s[16:17]
.LBB3892_32:
	s_or_b64 exec, exec, s[10:11]
	v_xad_u32 v8, v9, -1, s6
	v_add_u32_e32 v14, 64, v8
	v_lshlrev_b64 v[10:11], 3, v[14:15]
	v_mov_b32_e32 v7, s15
	v_add_co_u32_e32 v10, vcc, s14, v10
	v_addc_co_u32_e32 v11, vcc, v7, v11, vcc
	global_load_dwordx2 v[12:13], v[10:11], off glc
	s_waitcnt vmcnt(0)
	v_cmp_eq_u16_sdwa s[16:17], v13, v15 src0_sel:BYTE_0 src1_sel:DWORD
	s_and_saveexec_b64 s[10:11], s[16:17]
	s_cbranch_execz .LBB3892_38
; %bb.33:
	s_mov_b32 s7, 1
	s_mov_b64 s[16:17], 0
	v_mov_b32_e32 v7, 0
.LBB3892_34:                            ; =>This Loop Header: Depth=1
                                        ;     Child Loop BB3892_35 Depth 2
	s_max_u32 s20, s7, 1
.LBB3892_35:                            ;   Parent Loop BB3892_34 Depth=1
                                        ; =>  This Inner Loop Header: Depth=2
	s_add_i32 s20, s20, -1
	s_cmp_eq_u32 s20, 0
	s_sleep 1
	s_cbranch_scc0 .LBB3892_35
; %bb.36:                               ;   in Loop: Header=BB3892_34 Depth=1
	global_load_dwordx2 v[12:13], v[10:11], off glc
	s_cmp_lt_u32 s7, 32
	s_cselect_b64 s[20:21], -1, 0
	s_cmp_lg_u64 s[20:21], 0
	s_addc_u32 s7, s7, 0
	s_waitcnt vmcnt(0)
	v_cmp_ne_u16_sdwa s[20:21], v13, v7 src0_sel:BYTE_0 src1_sel:DWORD
	s_or_b64 s[16:17], s[20:21], s[16:17]
	s_andn2_b64 exec, exec, s[16:17]
	s_cbranch_execnz .LBB3892_34
; %bb.37:
	s_or_b64 exec, exec, s[16:17]
.LBB3892_38:
	s_or_b64 exec, exec, s[10:11]
	v_and_b32_e32 v25, 63, v9
	v_cmp_ne_u32_e32 vcc, 63, v25
	v_mov_b32_e32 v7, 2
	v_addc_co_u32_e32 v26, vcc, 0, v9, vcc
	v_cmp_eq_u16_sdwa s[10:11], v13, v7 src0_sel:BYTE_0 src1_sel:DWORD
	v_lshlrev_b64 v[10:11], v9, -1
	v_lshlrev_b32_e32 v26, 2, v26
	v_and_b32_e32 v14, s11, v11
	ds_bpermute_b32 v27, v26, v12
	v_or_b32_e32 v14, 0x80000000, v14
	v_and_b32_e32 v15, s10, v10
	v_ffbl_b32_e32 v14, v14
	v_add_u32_e32 v14, 32, v14
	v_ffbl_b32_e32 v15, v15
	v_min_u32_e32 v14, v15, v14
	s_waitcnt lgkmcnt(0)
	v_max_i32_e32 v15, v27, v12
	v_cmp_lt_u32_e32 vcc, v25, v14
	v_cndmask_b32_e32 v12, v12, v15, vcc
	v_cmp_gt_u32_e32 vcc, 62, v25
	v_cndmask_b32_e64 v15, 0, 1, vcc
	v_lshlrev_b32_e32 v15, 1, v15
	v_add_lshl_u32 v27, v15, v9, 2
	ds_bpermute_b32 v15, v27, v12
	v_add_u32_e32 v28, 2, v25
	v_cmp_gt_u32_e32 vcc, v28, v14
	v_add_u32_e32 v30, 4, v25
	v_add_u32_e32 v32, 8, v25
	s_waitcnt lgkmcnt(0)
	v_max_i32_e32 v15, v15, v12
	v_cndmask_b32_e32 v12, v15, v12, vcc
	v_cmp_gt_u32_e32 vcc, 60, v25
	v_cndmask_b32_e64 v15, 0, 1, vcc
	v_lshlrev_b32_e32 v15, 2, v15
	v_add_lshl_u32 v29, v15, v9, 2
	ds_bpermute_b32 v15, v29, v12
	v_cmp_gt_u32_e32 vcc, v30, v14
	v_add_u32_e32 v35, 16, v25
	v_add_u32_e32 v37, 32, v25
	s_waitcnt lgkmcnt(0)
	v_max_i32_e32 v15, v15, v12
	v_cndmask_b32_e32 v12, v15, v12, vcc
	v_cmp_gt_u32_e32 vcc, 56, v25
	v_cndmask_b32_e64 v15, 0, 1, vcc
	v_lshlrev_b32_e32 v15, 3, v15
	v_add_lshl_u32 v31, v15, v9, 2
	ds_bpermute_b32 v15, v31, v12
	v_cmp_gt_u32_e32 vcc, v32, v14
	s_waitcnt lgkmcnt(0)
	v_max_i32_e32 v15, v15, v12
	v_cndmask_b32_e32 v12, v15, v12, vcc
	v_cmp_gt_u32_e32 vcc, 48, v25
	v_cndmask_b32_e64 v15, 0, 1, vcc
	v_lshlrev_b32_e32 v15, 4, v15
	v_add_lshl_u32 v33, v15, v9, 2
	ds_bpermute_b32 v15, v33, v12
	v_cmp_gt_u32_e32 vcc, v35, v14
	;; [unrolled: 9-line block ×3, first 2 shown]
	s_waitcnt lgkmcnt(0)
	v_max_i32_e32 v9, v9, v12
	v_cndmask_b32_e32 v12, v9, v12, vcc
	v_mov_b32_e32 v9, 0
	s_branch .LBB3892_40
.LBB3892_39:                            ;   in Loop: Header=BB3892_40 Depth=1
	s_or_b64 exec, exec, s[10:11]
	v_cmp_eq_u16_sdwa s[10:11], v13, v7 src0_sel:BYTE_0 src1_sel:DWORD
	v_and_b32_e32 v14, s11, v11
	ds_bpermute_b32 v38, v26, v12
	v_or_b32_e32 v14, 0x80000000, v14
	v_and_b32_e32 v15, s10, v10
	v_ffbl_b32_e32 v14, v14
	v_add_u32_e32 v14, 32, v14
	v_ffbl_b32_e32 v15, v15
	v_min_u32_e32 v14, v15, v14
	s_waitcnt lgkmcnt(0)
	v_max_i32_e32 v15, v38, v12
	v_cmp_lt_u32_e32 vcc, v25, v14
	v_cndmask_b32_e32 v12, v12, v15, vcc
	ds_bpermute_b32 v15, v27, v12
	v_cmp_gt_u32_e32 vcc, v28, v14
	v_subrev_u32_e32 v8, 64, v8
	s_waitcnt lgkmcnt(0)
	v_max_i32_e32 v15, v15, v12
	v_cndmask_b32_e32 v12, v15, v12, vcc
	ds_bpermute_b32 v15, v29, v12
	v_cmp_gt_u32_e32 vcc, v30, v14
	s_waitcnt lgkmcnt(0)
	v_max_i32_e32 v15, v15, v12
	v_cndmask_b32_e32 v12, v15, v12, vcc
	ds_bpermute_b32 v15, v31, v12
	v_cmp_gt_u32_e32 vcc, v32, v14
	;; [unrolled: 5-line block ×4, first 2 shown]
	s_waitcnt lgkmcnt(0)
	v_max_i32_e32 v15, v15, v12
	v_cndmask_b32_e32 v12, v15, v12, vcc
	v_max_i32_e32 v12, v12, v34
.LBB3892_40:                            ; =>This Loop Header: Depth=1
                                        ;     Child Loop BB3892_43 Depth 2
                                        ;       Child Loop BB3892_44 Depth 3
	v_cmp_ne_u16_sdwa s[10:11], v13, v7 src0_sel:BYTE_0 src1_sel:DWORD
	v_cndmask_b32_e64 v13, 0, 1, s[10:11]
	;;#ASMSTART
	;;#ASMEND
	v_cmp_ne_u32_e32 vcc, 0, v13
	s_cmp_lg_u64 vcc, exec
	v_mov_b32_e32 v34, v12
	s_cbranch_scc1 .LBB3892_47
; %bb.41:                               ;   in Loop: Header=BB3892_40 Depth=1
	v_lshlrev_b64 v[12:13], 3, v[8:9]
	v_mov_b32_e32 v15, s15
	v_add_co_u32_e32 v14, vcc, s14, v12
	v_addc_co_u32_e32 v15, vcc, v15, v13, vcc
	global_load_dwordx2 v[12:13], v[14:15], off glc
	s_waitcnt vmcnt(0)
	v_cmp_eq_u16_sdwa s[16:17], v13, v9 src0_sel:BYTE_0 src1_sel:DWORD
	s_and_saveexec_b64 s[10:11], s[16:17]
	s_cbranch_execz .LBB3892_39
; %bb.42:                               ;   in Loop: Header=BB3892_40 Depth=1
	s_mov_b32 s7, 1
	s_mov_b64 s[16:17], 0
.LBB3892_43:                            ;   Parent Loop BB3892_40 Depth=1
                                        ; =>  This Loop Header: Depth=2
                                        ;       Child Loop BB3892_44 Depth 3
	s_max_u32 s20, s7, 1
.LBB3892_44:                            ;   Parent Loop BB3892_40 Depth=1
                                        ;     Parent Loop BB3892_43 Depth=2
                                        ; =>    This Inner Loop Header: Depth=3
	s_add_i32 s20, s20, -1
	s_cmp_eq_u32 s20, 0
	s_sleep 1
	s_cbranch_scc0 .LBB3892_44
; %bb.45:                               ;   in Loop: Header=BB3892_43 Depth=2
	global_load_dwordx2 v[12:13], v[14:15], off glc
	s_cmp_lt_u32 s7, 32
	s_cselect_b64 s[20:21], -1, 0
	s_cmp_lg_u64 s[20:21], 0
	s_addc_u32 s7, s7, 0
	s_waitcnt vmcnt(0)
	v_cmp_ne_u16_sdwa s[20:21], v13, v9 src0_sel:BYTE_0 src1_sel:DWORD
	s_or_b64 s[16:17], s[20:21], s[16:17]
	s_andn2_b64 exec, exec, s[16:17]
	s_cbranch_execnz .LBB3892_43
; %bb.46:                               ;   in Loop: Header=BB3892_40 Depth=1
	s_or_b64 exec, exec, s[16:17]
	s_branch .LBB3892_39
.LBB3892_47:                            ;   in Loop: Header=BB3892_40 Depth=1
                                        ; implicit-def: $vgpr12
                                        ; implicit-def: $vgpr13
	s_cbranch_execz .LBB3892_40
; %bb.48:
	s_and_saveexec_b64 s[10:11], s[2:3]
	s_cbranch_execz .LBB3892_50
; %bb.49:
	s_add_i32 s2, s6, 64
	s_mov_b32 s3, 0
	s_lshl_b64 s[2:3], s[2:3], 3
	s_add_u32 s2, s14, s2
	v_max_i32_e32 v6, v34, v6
	v_mov_b32_e32 v7, 2
	s_addc_u32 s3, s15, s3
	v_mov_b32_e32 v8, 0
	global_store_dwordx2 v8, v[6:7], s[2:3]
.LBB3892_50:
	s_or_b64 exec, exec, s[10:11]
	s_and_b64 exec, exec, s[0:1]
	s_cbranch_execz .LBB3892_52
; %bb.51:
	v_mov_b32_e32 v6, 0
	ds_write_b32 v6, v34
.LBB3892_52:
	s_or_b64 exec, exec, s[8:9]
	v_mov_b32_e32 v6, 0
	s_waitcnt lgkmcnt(0)
	s_barrier
	ds_read_b32 v6, v6
	v_max_i32_e32 v7, v24, v2
	v_cndmask_b32_e64 v7, v7, v2, s[0:1]
	s_waitcnt lgkmcnt(0)
	v_max_i32_e32 v6, v6, v7
	v_max_i32_e32 v7, v6, v3
	;; [unrolled: 1-line block ×10, first 2 shown]
	s_load_dwordx8 s[4:11], s[4:5], 0x40
	s_branch .LBB3892_65
.LBB3892_53:
                                        ; implicit-def: $vgpr6_vgpr7_vgpr8_vgpr9_vgpr10_vgpr11_vgpr12_vgpr13_vgpr14_vgpr15
	s_load_dwordx8 s[4:11], s[4:5], 0x40
	s_cbranch_execz .LBB3892_65
; %bb.54:
	s_waitcnt lgkmcnt(0)
	s_cmp_lg_u64 s[8:9], 0
	s_cselect_b64 s[2:3], -1, 0
	v_cmp_eq_u32_e64 s[0:1], 0, v0
	v_cmp_ne_u32_e32 vcc, 0, v0
	s_and_b64 s[8:9], s[0:1], s[2:3]
	v_mov_b32_e32 v12, v3
	v_mov_b32_e32 v13, v4
	;; [unrolled: 1-line block ×3, first 2 shown]
	s_and_saveexec_b64 s[2:3], s[8:9]
	s_cbranch_execz .LBB3892_56
; %bb.55:
	v_mov_b32_e32 v6, 0
	global_load_dword v6, v6, s[4:5]
	v_mov_b32_e32 v12, v3
	v_mov_b32_e32 v13, v4
	v_mov_b32_e32 v14, v5
	s_waitcnt vmcnt(0)
	v_max_i32_e32 v2, v6, v2
.LBB3892_56:
	s_or_b64 exec, exec, s[2:3]
	v_max_i32_e32 v3, v2, v12
	v_max_i32_e32 v4, v3, v13
	;; [unrolled: 1-line block ×9, first 2 shown]
	v_add_lshl_u32 v1, v1, v0, 2
	v_cmp_gt_u32_e64 s[2:3], 64, v0
	ds_write_b32 v1, v11
	s_waitcnt lgkmcnt(0)
	s_barrier
	s_and_saveexec_b64 s[4:5], s[2:3]
	s_cbranch_execz .LBB3892_58
; %bb.57:
	v_lshlrev_b32_e32 v1, 1, v0
	v_lshrrev_b32_e32 v15, 4, v0
	v_add_lshl_u32 v1, v15, v1, 2
	ds_read2_b32 v[24:25], v1 offset1:1
	v_mbcnt_lo_u32_b32 v15, -1, 0
	v_mbcnt_hi_u32_b32 v15, -1, v15
	v_and_b32_e32 v26, 15, v15
	v_cmp_eq_u32_e64 s[2:3], 0, v26
	s_waitcnt lgkmcnt(0)
	v_max_i32_e32 v25, v24, v25
	; wave barrier
	s_nop 1
	v_mov_b32_dpp v27, v25 row_shr:1 row_mask:0xf bank_mask:0xf
	v_max_i32_e32 v27, v27, v25
	v_cndmask_b32_e64 v25, v27, v25, s[2:3]
	v_cmp_lt_u32_e64 s[2:3], 1, v26
	s_nop 0
	v_mov_b32_dpp v27, v25 row_shr:2 row_mask:0xf bank_mask:0xf
	v_max_i32_e32 v27, v27, v25
	v_cndmask_b32_e64 v25, v25, v27, s[2:3]
	v_cmp_lt_u32_e64 s[2:3], 3, v26
	;; [unrolled: 5-line block ×3, first 2 shown]
	s_nop 0
	v_mov_b32_dpp v27, v25 row_shr:8 row_mask:0xf bank_mask:0xf
	v_max_i32_e32 v27, v27, v25
	v_cndmask_b32_e64 v25, v25, v27, s[2:3]
	v_and_b32_e32 v27, 16, v15
	v_cmp_eq_u32_e64 s[2:3], 0, v27
	v_mov_b32_dpp v26, v25 row_bcast:15 row_mask:0xf bank_mask:0xf
	v_max_i32_e32 v26, v26, v25
	v_cndmask_b32_e64 v25, v26, v25, s[2:3]
	v_cmp_lt_u32_e64 s[2:3], 31, v15
	v_and_b32_e32 v27, 64, v15
	v_mov_b32_dpp v26, v25 row_bcast:31 row_mask:0xf bank_mask:0xf
	v_max_i32_e32 v26, v26, v25
	v_cndmask_b32_e64 v25, v25, v26, s[2:3]
	v_add_u32_e32 v26, -1, v15
	v_cmp_lt_i32_e64 s[2:3], v26, v27
	v_cndmask_b32_e64 v15, v26, v15, s[2:3]
	v_lshlrev_b32_e32 v15, 2, v15
	ds_bpermute_b32 v15, v15, v25
	s_waitcnt lgkmcnt(0)
	v_max_i32_e32 v15, v15, v24
	v_cndmask_b32_e64 v15, v15, v11, s[0:1]
	ds_write_b32 v1, v15
	; wave barrier
	ds_read_b32 v24, v1 offset:4
	s_waitcnt lgkmcnt(0)
	v_max_i32_e32 v15, v15, v24
	ds_write_b32 v1, v15 offset:4
.LBB3892_58:
	s_or_b64 exec, exec, s[4:5]
	v_mov_b32_e32 v1, v11
	s_waitcnt lgkmcnt(0)
	s_barrier
	s_and_saveexec_b64 s[0:1], vcc
	s_cbranch_execz .LBB3892_60
; %bb.59:
	v_add_u32_e32 v1, -1, v0
	v_lshrrev_b32_e32 v15, 5, v1
	v_add_lshl_u32 v1, v15, v1, 2
	ds_read_b32 v1, v1
.LBB3892_60:
	s_or_b64 exec, exec, s[0:1]
	s_and_saveexec_b64 s[0:1], vcc
	s_cbranch_execz .LBB3892_62
; %bb.61:
	s_waitcnt lgkmcnt(0)
	v_max_i32_e32 v2, v1, v2
	v_max_i32_e32 v3, v2, v12
	v_max_i32_e32 v4, v3, v13
	v_max_i32_e32 v5, v4, v14
	v_max_i32_e32 v6, v5, v16
	v_max_i32_e32 v7, v6, v17
	v_max_i32_e32 v8, v7, v18
	v_max_i32_e32 v9, v8, v19
	v_max_i32_e32 v10, v9, v20
	v_max_i32_e32 v11, v10, v21
	;;#ASMSTART
	;;#ASMEND
.LBB3892_62:
	s_or_b64 exec, exec, s[0:1]
	s_movk_i32 s0, 0x7f
	v_cmp_eq_u32_e32 vcc, s0, v0
	s_and_saveexec_b64 s[0:1], vcc
	s_cbranch_execz .LBB3892_64
; %bb.63:
	s_waitcnt lgkmcnt(0)
	v_mov_b32_e32 v1, 0
	v_mov_b32_e32 v13, 2
	v_mov_b32_e32 v12, v11
	global_store_dwordx2 v1, v[12:13], s[14:15] offset:512
.LBB3892_64:
	s_or_b64 exec, exec, s[0:1]
	v_pk_mov_b32 v[14:15], v[10:11], v[10:11] op_sel:[0,1]
	v_pk_mov_b32 v[12:13], v[8:9], v[8:9] op_sel:[0,1]
	;; [unrolled: 1-line block ×5, first 2 shown]
.LBB3892_65:
	s_mov_b64 s[0:1], -1
	s_and_b64 vcc, exec, s[12:13]
	s_waitcnt lgkmcnt(0)
	s_barrier
	ds_write2_b64 v23, v[6:7], v[8:9] offset1:1
	ds_write2_b64 v23, v[10:11], v[12:13] offset0:2 offset1:3
	ds_write_b64 v23, v[14:15] offset:32
	s_waitcnt lgkmcnt(0)
	s_cbranch_vccz .LBB3892_67
; %bb.66:
	s_barrier
	s_mov_b64 s[0:1], 0
.LBB3892_67:
	s_andn2_b64 vcc, exec, s[0:1]
	s_cbranch_vccnz .LBB3892_103
; %bb.68:
	v_cmp_lt_u64_e64 s[0:1], s[10:11], 2
	s_and_b64 vcc, exec, s[0:1]
	s_barrier
	s_cbranch_vccnz .LBB3892_103
; %bb.69:
	s_add_u32 s0, s18, -1
	s_addc_u32 s1, s19, -1
	s_add_u32 s2, 0, 0x99986000
	s_addc_u32 s3, 0, 0x59
	s_add_i32 s3, s3, 0x19999940
	s_mul_hi_u32 s9, s2, -10
	s_sub_i32 s9, s9, s2
	s_mul_i32 s10, s3, -10
	s_mul_i32 s4, s2, -10
	s_add_i32 s9, s9, s10
	s_mul_hi_u32 s5, s3, s4
	s_mul_i32 s8, s3, s4
	s_mul_i32 s11, s2, s9
	s_mul_hi_u32 s4, s2, s4
	s_mul_hi_u32 s10, s2, s9
	s_add_u32 s4, s4, s11
	s_addc_u32 s10, 0, s10
	s_add_u32 s4, s4, s8
	s_mul_hi_u32 s11, s3, s9
	s_addc_u32 s4, s10, s5
	s_addc_u32 s5, s11, 0
	s_mul_i32 s8, s3, s9
	s_add_u32 s4, s4, s8
	v_mov_b32_e32 v2, s4
	s_addc_u32 s5, 0, s5
	v_add_co_u32_e32 v2, vcc, s2, v2
	s_cmp_lg_u64 vcc, 0
	s_addc_u32 s2, s3, s5
	v_readfirstlane_b32 s5, v2
	s_mul_i32 s4, s0, s2
	s_mul_hi_u32 s8, s0, s5
	s_mul_hi_u32 s3, s0, s2
	s_add_u32 s4, s8, s4
	s_addc_u32 s3, 0, s3
	s_mul_hi_u32 s9, s1, s5
	s_mul_i32 s5, s1, s5
	s_add_u32 s4, s4, s5
	s_mul_hi_u32 s8, s1, s2
	s_addc_u32 s3, s3, s9
	s_addc_u32 s4, s8, 0
	s_mul_i32 s2, s1, s2
	s_add_u32 s2, s3, s2
	s_addc_u32 s3, 0, s4
	s_add_u32 s4, s2, 1
	s_addc_u32 s5, s3, 0
	s_add_u32 s8, s2, 2
	s_mul_i32 s10, s3, 10
	s_mul_hi_u32 s11, s2, 10
	s_addc_u32 s9, s3, 0
	s_add_i32 s11, s11, s10
	s_mul_i32 s10, s2, 10
	v_mov_b32_e32 v2, s10
	v_sub_co_u32_e32 v2, vcc, s0, v2
	s_cmp_lg_u64 vcc, 0
	s_subb_u32 s10, s1, s11
	v_subrev_co_u32_e32 v3, vcc, 10, v2
	s_cmp_lg_u64 vcc, 0
	s_subb_u32 s11, s10, 0
	v_readfirstlane_b32 s12, v3
	s_cmp_gt_u32 s12, 9
	s_cselect_b32 s12, -1, 0
	s_cmp_eq_u32 s11, 0
	s_cselect_b32 s11, s12, -1
	s_cmp_lg_u32 s11, 0
	s_cselect_b32 s4, s8, s4
	v_readfirstlane_b32 s8, v2
	s_cselect_b32 s5, s9, s5
	s_cmp_gt_u32 s8, 9
	s_cselect_b32 s8, -1, 0
	s_cmp_eq_u32 s10, 0
	s_cselect_b32 s8, s8, -1
	s_cmp_lg_u32 s8, 0
	v_mov_b32_e32 v1, 0
	s_cselect_b32 s3, s5, s3
	s_cselect_b32 s2, s4, s2
	v_cmp_eq_u64_e32 vcc, s[2:3], v[0:1]
	s_and_saveexec_b64 s[2:3], vcc
	s_cbranch_execz .LBB3892_103
; %bb.70:
	s_movk_i32 s2, 0xffdc
	v_mad_i32_i24 v2, v0, s2, v23
	v_mul_hi_u32_u24_e32 v1, 10, v0
	v_mov_b32_e32 v3, s1
	v_sub_co_u32_e32 v0, vcc, s0, v22
	v_subb_co_u32_e32 v1, vcc, v3, v1, vcc
	v_cmp_lt_i64_e32 vcc, 4, v[0:1]
	s_and_saveexec_b64 s[0:1], vcc
	s_xor_b64 s[0:1], exec, s[0:1]
	s_cbranch_execz .LBB3892_88
; %bb.71:
	v_cmp_lt_i64_e32 vcc, 6, v[0:1]
	s_and_saveexec_b64 s[2:3], vcc
	s_xor_b64 s[2:3], exec, s[2:3]
	s_cbranch_execz .LBB3892_81
; %bb.72:
	;; [unrolled: 5-line block ×4, first 2 shown]
	ds_read_b32 v0, v2 offset:4608
	v_mov_b32_e32 v1, 0
                                        ; implicit-def: $vgpr2
	s_waitcnt lgkmcnt(0)
	global_store_dword v1, v0, s[6:7]
.LBB3892_75:
	s_andn2_saveexec_b64 s[8:9], s[8:9]
	s_cbranch_execz .LBB3892_77
; %bb.76:
	ds_read_b32 v0, v2 offset:4096
	v_mov_b32_e32 v1, 0
	s_waitcnt lgkmcnt(0)
	global_store_dword v1, v0, s[6:7]
.LBB3892_77:
	s_or_b64 exec, exec, s[8:9]
                                        ; implicit-def: $vgpr2
.LBB3892_78:
	s_andn2_saveexec_b64 s[4:5], s[4:5]
	s_cbranch_execz .LBB3892_80
; %bb.79:
	ds_read_b32 v0, v2 offset:3584
	v_mov_b32_e32 v1, 0
	s_waitcnt lgkmcnt(0)
	global_store_dword v1, v0, s[6:7]
.LBB3892_80:
	s_or_b64 exec, exec, s[4:5]
                                        ; implicit-def: $vgpr2
                                        ; implicit-def: $vgpr0_vgpr1
.LBB3892_81:
	s_andn2_saveexec_b64 s[2:3], s[2:3]
	s_cbranch_execz .LBB3892_87
; %bb.82:
	v_cmp_lt_i64_e32 vcc, 5, v[0:1]
	s_and_saveexec_b64 s[4:5], vcc
	s_xor_b64 s[4:5], exec, s[4:5]
	s_cbranch_execz .LBB3892_84
; %bb.83:
	ds_read_b32 v0, v2 offset:3072
	v_mov_b32_e32 v1, 0
                                        ; implicit-def: $vgpr2
	s_waitcnt lgkmcnt(0)
	global_store_dword v1, v0, s[6:7]
.LBB3892_84:
	s_andn2_saveexec_b64 s[4:5], s[4:5]
	s_cbranch_execz .LBB3892_86
; %bb.85:
	ds_read_b32 v0, v2 offset:2560
	v_mov_b32_e32 v1, 0
	s_waitcnt lgkmcnt(0)
	global_store_dword v1, v0, s[6:7]
.LBB3892_86:
	s_or_b64 exec, exec, s[4:5]
.LBB3892_87:
	s_or_b64 exec, exec, s[2:3]
                                        ; implicit-def: $vgpr0_vgpr1
                                        ; implicit-def: $vgpr2
.LBB3892_88:
	s_andn2_saveexec_b64 s[0:1], s[0:1]
	s_cbranch_execz .LBB3892_103
; %bb.89:
	v_cmp_lt_i64_e32 vcc, 2, v[0:1]
	s_and_saveexec_b64 s[0:1], vcc
	s_xor_b64 s[0:1], exec, s[0:1]
	s_cbranch_execz .LBB3892_95
; %bb.90:
	v_cmp_lt_i64_e32 vcc, 3, v[0:1]
	s_and_saveexec_b64 s[2:3], vcc
	s_xor_b64 s[2:3], exec, s[2:3]
	s_cbranch_execz .LBB3892_92
; %bb.91:
	ds_read_b32 v0, v2 offset:2048
	v_mov_b32_e32 v1, 0
                                        ; implicit-def: $vgpr2
	s_waitcnt lgkmcnt(0)
	global_store_dword v1, v0, s[6:7]
.LBB3892_92:
	s_andn2_saveexec_b64 s[2:3], s[2:3]
	s_cbranch_execz .LBB3892_94
; %bb.93:
	ds_read_b32 v0, v2 offset:1536
	v_mov_b32_e32 v1, 0
	s_waitcnt lgkmcnt(0)
	global_store_dword v1, v0, s[6:7]
.LBB3892_94:
	s_or_b64 exec, exec, s[2:3]
                                        ; implicit-def: $vgpr0_vgpr1
                                        ; implicit-def: $vgpr2
.LBB3892_95:
	s_andn2_saveexec_b64 s[0:1], s[0:1]
	s_cbranch_execz .LBB3892_103
; %bb.96:
	v_cmp_lt_i64_e32 vcc, 1, v[0:1]
	s_and_saveexec_b64 s[0:1], vcc
	s_xor_b64 s[0:1], exec, s[0:1]
	s_cbranch_execz .LBB3892_98
; %bb.97:
	ds_read_b32 v0, v2 offset:1024
	v_mov_b32_e32 v1, 0
                                        ; implicit-def: $vgpr2
	s_waitcnt lgkmcnt(0)
	global_store_dword v1, v0, s[6:7]
                                        ; implicit-def: $vgpr0_vgpr1
.LBB3892_98:
	s_andn2_saveexec_b64 s[0:1], s[0:1]
	s_cbranch_execz .LBB3892_103
; %bb.99:
	v_cmp_ne_u64_e32 vcc, 1, v[0:1]
	s_and_saveexec_b64 s[0:1], vcc
	s_xor_b64 s[0:1], exec, s[0:1]
	s_cbranch_execz .LBB3892_101
; %bb.100:
	ds_read_b32 v0, v2
	v_mov_b32_e32 v1, 0
                                        ; implicit-def: $vgpr2
	s_waitcnt lgkmcnt(0)
	global_store_dword v1, v0, s[6:7]
.LBB3892_101:
	s_andn2_saveexec_b64 s[0:1], s[0:1]
	s_cbranch_execz .LBB3892_103
; %bb.102:
	ds_read_b32 v0, v2 offset:512
	v_mov_b32_e32 v1, 0
	s_waitcnt lgkmcnt(0)
	global_store_dword v1, v0, s[6:7]
.LBB3892_103:
	s_endpgm
	.section	.rodata,"a",@progbits
	.p2align	6, 0x0
	.amdhsa_kernel _ZN7rocprim17ROCPRIM_400000_NS6detail17trampoline_kernelINS0_14default_configENS1_20scan_config_selectorIiEEZZNS1_9scan_implILNS1_25lookback_scan_determinismE0ELb0ELb0ES3_N6thrust23THRUST_200600_302600_NS6detail15normal_iteratorINS9_10device_ptrIiEEEENS9_16discard_iteratorINS9_11use_defaultEEEi11max_functorIiEiEEDaPvRmT3_T4_T5_mT6_P12ihipStream_tbENKUlT_T0_E_clISt17integral_constantIbLb1EESW_IbLb0EEEEDaSS_ST_EUlSS_E_NS1_11comp_targetILNS1_3genE4ELNS1_11target_archE910ELNS1_3gpuE8ELNS1_3repE0EEENS1_30default_config_static_selectorELNS0_4arch9wavefront6targetE1EEEvT1_
		.amdhsa_group_segment_fixed_size 5120
		.amdhsa_private_segment_fixed_size 0
		.amdhsa_kernarg_size 104
		.amdhsa_user_sgpr_count 6
		.amdhsa_user_sgpr_private_segment_buffer 1
		.amdhsa_user_sgpr_dispatch_ptr 0
		.amdhsa_user_sgpr_queue_ptr 0
		.amdhsa_user_sgpr_kernarg_segment_ptr 1
		.amdhsa_user_sgpr_dispatch_id 0
		.amdhsa_user_sgpr_flat_scratch_init 0
		.amdhsa_user_sgpr_kernarg_preload_length 0
		.amdhsa_user_sgpr_kernarg_preload_offset 0
		.amdhsa_user_sgpr_private_segment_size 0
		.amdhsa_uses_dynamic_stack 0
		.amdhsa_system_sgpr_private_segment_wavefront_offset 0
		.amdhsa_system_sgpr_workgroup_id_x 1
		.amdhsa_system_sgpr_workgroup_id_y 0
		.amdhsa_system_sgpr_workgroup_id_z 0
		.amdhsa_system_sgpr_workgroup_info 0
		.amdhsa_system_vgpr_workitem_id 0
		.amdhsa_next_free_vgpr 39
		.amdhsa_next_free_sgpr 22
		.amdhsa_accum_offset 40
		.amdhsa_reserve_vcc 1
		.amdhsa_reserve_flat_scratch 0
		.amdhsa_float_round_mode_32 0
		.amdhsa_float_round_mode_16_64 0
		.amdhsa_float_denorm_mode_32 3
		.amdhsa_float_denorm_mode_16_64 3
		.amdhsa_dx10_clamp 1
		.amdhsa_ieee_mode 1
		.amdhsa_fp16_overflow 0
		.amdhsa_tg_split 0
		.amdhsa_exception_fp_ieee_invalid_op 0
		.amdhsa_exception_fp_denorm_src 0
		.amdhsa_exception_fp_ieee_div_zero 0
		.amdhsa_exception_fp_ieee_overflow 0
		.amdhsa_exception_fp_ieee_underflow 0
		.amdhsa_exception_fp_ieee_inexact 0
		.amdhsa_exception_int_div_zero 0
	.end_amdhsa_kernel
	.section	.text._ZN7rocprim17ROCPRIM_400000_NS6detail17trampoline_kernelINS0_14default_configENS1_20scan_config_selectorIiEEZZNS1_9scan_implILNS1_25lookback_scan_determinismE0ELb0ELb0ES3_N6thrust23THRUST_200600_302600_NS6detail15normal_iteratorINS9_10device_ptrIiEEEENS9_16discard_iteratorINS9_11use_defaultEEEi11max_functorIiEiEEDaPvRmT3_T4_T5_mT6_P12ihipStream_tbENKUlT_T0_E_clISt17integral_constantIbLb1EESW_IbLb0EEEEDaSS_ST_EUlSS_E_NS1_11comp_targetILNS1_3genE4ELNS1_11target_archE910ELNS1_3gpuE8ELNS1_3repE0EEENS1_30default_config_static_selectorELNS0_4arch9wavefront6targetE1EEEvT1_,"axG",@progbits,_ZN7rocprim17ROCPRIM_400000_NS6detail17trampoline_kernelINS0_14default_configENS1_20scan_config_selectorIiEEZZNS1_9scan_implILNS1_25lookback_scan_determinismE0ELb0ELb0ES3_N6thrust23THRUST_200600_302600_NS6detail15normal_iteratorINS9_10device_ptrIiEEEENS9_16discard_iteratorINS9_11use_defaultEEEi11max_functorIiEiEEDaPvRmT3_T4_T5_mT6_P12ihipStream_tbENKUlT_T0_E_clISt17integral_constantIbLb1EESW_IbLb0EEEEDaSS_ST_EUlSS_E_NS1_11comp_targetILNS1_3genE4ELNS1_11target_archE910ELNS1_3gpuE8ELNS1_3repE0EEENS1_30default_config_static_selectorELNS0_4arch9wavefront6targetE1EEEvT1_,comdat
.Lfunc_end3892:
	.size	_ZN7rocprim17ROCPRIM_400000_NS6detail17trampoline_kernelINS0_14default_configENS1_20scan_config_selectorIiEEZZNS1_9scan_implILNS1_25lookback_scan_determinismE0ELb0ELb0ES3_N6thrust23THRUST_200600_302600_NS6detail15normal_iteratorINS9_10device_ptrIiEEEENS9_16discard_iteratorINS9_11use_defaultEEEi11max_functorIiEiEEDaPvRmT3_T4_T5_mT6_P12ihipStream_tbENKUlT_T0_E_clISt17integral_constantIbLb1EESW_IbLb0EEEEDaSS_ST_EUlSS_E_NS1_11comp_targetILNS1_3genE4ELNS1_11target_archE910ELNS1_3gpuE8ELNS1_3repE0EEENS1_30default_config_static_selectorELNS0_4arch9wavefront6targetE1EEEvT1_, .Lfunc_end3892-_ZN7rocprim17ROCPRIM_400000_NS6detail17trampoline_kernelINS0_14default_configENS1_20scan_config_selectorIiEEZZNS1_9scan_implILNS1_25lookback_scan_determinismE0ELb0ELb0ES3_N6thrust23THRUST_200600_302600_NS6detail15normal_iteratorINS9_10device_ptrIiEEEENS9_16discard_iteratorINS9_11use_defaultEEEi11max_functorIiEiEEDaPvRmT3_T4_T5_mT6_P12ihipStream_tbENKUlT_T0_E_clISt17integral_constantIbLb1EESW_IbLb0EEEEDaSS_ST_EUlSS_E_NS1_11comp_targetILNS1_3genE4ELNS1_11target_archE910ELNS1_3gpuE8ELNS1_3repE0EEENS1_30default_config_static_selectorELNS0_4arch9wavefront6targetE1EEEvT1_
                                        ; -- End function
	.section	.AMDGPU.csdata,"",@progbits
; Kernel info:
; codeLenInByte = 4088
; NumSgprs: 26
; NumVgprs: 39
; NumAgprs: 0
; TotalNumVgprs: 39
; ScratchSize: 0
; MemoryBound: 0
; FloatMode: 240
; IeeeMode: 1
; LDSByteSize: 5120 bytes/workgroup (compile time only)
; SGPRBlocks: 3
; VGPRBlocks: 4
; NumSGPRsForWavesPerEU: 26
; NumVGPRsForWavesPerEU: 39
; AccumOffset: 40
; Occupancy: 6
; WaveLimiterHint : 1
; COMPUTE_PGM_RSRC2:SCRATCH_EN: 0
; COMPUTE_PGM_RSRC2:USER_SGPR: 6
; COMPUTE_PGM_RSRC2:TRAP_HANDLER: 0
; COMPUTE_PGM_RSRC2:TGID_X_EN: 1
; COMPUTE_PGM_RSRC2:TGID_Y_EN: 0
; COMPUTE_PGM_RSRC2:TGID_Z_EN: 0
; COMPUTE_PGM_RSRC2:TIDIG_COMP_CNT: 0
; COMPUTE_PGM_RSRC3_GFX90A:ACCUM_OFFSET: 9
; COMPUTE_PGM_RSRC3_GFX90A:TG_SPLIT: 0
	.section	.text._ZN7rocprim17ROCPRIM_400000_NS6detail17trampoline_kernelINS0_14default_configENS1_20scan_config_selectorIiEEZZNS1_9scan_implILNS1_25lookback_scan_determinismE0ELb0ELb0ES3_N6thrust23THRUST_200600_302600_NS6detail15normal_iteratorINS9_10device_ptrIiEEEENS9_16discard_iteratorINS9_11use_defaultEEEi11max_functorIiEiEEDaPvRmT3_T4_T5_mT6_P12ihipStream_tbENKUlT_T0_E_clISt17integral_constantIbLb1EESW_IbLb0EEEEDaSS_ST_EUlSS_E_NS1_11comp_targetILNS1_3genE3ELNS1_11target_archE908ELNS1_3gpuE7ELNS1_3repE0EEENS1_30default_config_static_selectorELNS0_4arch9wavefront6targetE1EEEvT1_,"axG",@progbits,_ZN7rocprim17ROCPRIM_400000_NS6detail17trampoline_kernelINS0_14default_configENS1_20scan_config_selectorIiEEZZNS1_9scan_implILNS1_25lookback_scan_determinismE0ELb0ELb0ES3_N6thrust23THRUST_200600_302600_NS6detail15normal_iteratorINS9_10device_ptrIiEEEENS9_16discard_iteratorINS9_11use_defaultEEEi11max_functorIiEiEEDaPvRmT3_T4_T5_mT6_P12ihipStream_tbENKUlT_T0_E_clISt17integral_constantIbLb1EESW_IbLb0EEEEDaSS_ST_EUlSS_E_NS1_11comp_targetILNS1_3genE3ELNS1_11target_archE908ELNS1_3gpuE7ELNS1_3repE0EEENS1_30default_config_static_selectorELNS0_4arch9wavefront6targetE1EEEvT1_,comdat
	.protected	_ZN7rocprim17ROCPRIM_400000_NS6detail17trampoline_kernelINS0_14default_configENS1_20scan_config_selectorIiEEZZNS1_9scan_implILNS1_25lookback_scan_determinismE0ELb0ELb0ES3_N6thrust23THRUST_200600_302600_NS6detail15normal_iteratorINS9_10device_ptrIiEEEENS9_16discard_iteratorINS9_11use_defaultEEEi11max_functorIiEiEEDaPvRmT3_T4_T5_mT6_P12ihipStream_tbENKUlT_T0_E_clISt17integral_constantIbLb1EESW_IbLb0EEEEDaSS_ST_EUlSS_E_NS1_11comp_targetILNS1_3genE3ELNS1_11target_archE908ELNS1_3gpuE7ELNS1_3repE0EEENS1_30default_config_static_selectorELNS0_4arch9wavefront6targetE1EEEvT1_ ; -- Begin function _ZN7rocprim17ROCPRIM_400000_NS6detail17trampoline_kernelINS0_14default_configENS1_20scan_config_selectorIiEEZZNS1_9scan_implILNS1_25lookback_scan_determinismE0ELb0ELb0ES3_N6thrust23THRUST_200600_302600_NS6detail15normal_iteratorINS9_10device_ptrIiEEEENS9_16discard_iteratorINS9_11use_defaultEEEi11max_functorIiEiEEDaPvRmT3_T4_T5_mT6_P12ihipStream_tbENKUlT_T0_E_clISt17integral_constantIbLb1EESW_IbLb0EEEEDaSS_ST_EUlSS_E_NS1_11comp_targetILNS1_3genE3ELNS1_11target_archE908ELNS1_3gpuE7ELNS1_3repE0EEENS1_30default_config_static_selectorELNS0_4arch9wavefront6targetE1EEEvT1_
	.globl	_ZN7rocprim17ROCPRIM_400000_NS6detail17trampoline_kernelINS0_14default_configENS1_20scan_config_selectorIiEEZZNS1_9scan_implILNS1_25lookback_scan_determinismE0ELb0ELb0ES3_N6thrust23THRUST_200600_302600_NS6detail15normal_iteratorINS9_10device_ptrIiEEEENS9_16discard_iteratorINS9_11use_defaultEEEi11max_functorIiEiEEDaPvRmT3_T4_T5_mT6_P12ihipStream_tbENKUlT_T0_E_clISt17integral_constantIbLb1EESW_IbLb0EEEEDaSS_ST_EUlSS_E_NS1_11comp_targetILNS1_3genE3ELNS1_11target_archE908ELNS1_3gpuE7ELNS1_3repE0EEENS1_30default_config_static_selectorELNS0_4arch9wavefront6targetE1EEEvT1_
	.p2align	8
	.type	_ZN7rocprim17ROCPRIM_400000_NS6detail17trampoline_kernelINS0_14default_configENS1_20scan_config_selectorIiEEZZNS1_9scan_implILNS1_25lookback_scan_determinismE0ELb0ELb0ES3_N6thrust23THRUST_200600_302600_NS6detail15normal_iteratorINS9_10device_ptrIiEEEENS9_16discard_iteratorINS9_11use_defaultEEEi11max_functorIiEiEEDaPvRmT3_T4_T5_mT6_P12ihipStream_tbENKUlT_T0_E_clISt17integral_constantIbLb1EESW_IbLb0EEEEDaSS_ST_EUlSS_E_NS1_11comp_targetILNS1_3genE3ELNS1_11target_archE908ELNS1_3gpuE7ELNS1_3repE0EEENS1_30default_config_static_selectorELNS0_4arch9wavefront6targetE1EEEvT1_,@function
_ZN7rocprim17ROCPRIM_400000_NS6detail17trampoline_kernelINS0_14default_configENS1_20scan_config_selectorIiEEZZNS1_9scan_implILNS1_25lookback_scan_determinismE0ELb0ELb0ES3_N6thrust23THRUST_200600_302600_NS6detail15normal_iteratorINS9_10device_ptrIiEEEENS9_16discard_iteratorINS9_11use_defaultEEEi11max_functorIiEiEEDaPvRmT3_T4_T5_mT6_P12ihipStream_tbENKUlT_T0_E_clISt17integral_constantIbLb1EESW_IbLb0EEEEDaSS_ST_EUlSS_E_NS1_11comp_targetILNS1_3genE3ELNS1_11target_archE908ELNS1_3gpuE7ELNS1_3repE0EEENS1_30default_config_static_selectorELNS0_4arch9wavefront6targetE1EEEvT1_: ; @_ZN7rocprim17ROCPRIM_400000_NS6detail17trampoline_kernelINS0_14default_configENS1_20scan_config_selectorIiEEZZNS1_9scan_implILNS1_25lookback_scan_determinismE0ELb0ELb0ES3_N6thrust23THRUST_200600_302600_NS6detail15normal_iteratorINS9_10device_ptrIiEEEENS9_16discard_iteratorINS9_11use_defaultEEEi11max_functorIiEiEEDaPvRmT3_T4_T5_mT6_P12ihipStream_tbENKUlT_T0_E_clISt17integral_constantIbLb1EESW_IbLb0EEEEDaSS_ST_EUlSS_E_NS1_11comp_targetILNS1_3genE3ELNS1_11target_archE908ELNS1_3gpuE7ELNS1_3repE0EEENS1_30default_config_static_selectorELNS0_4arch9wavefront6targetE1EEEvT1_
; %bb.0:
	.section	.rodata,"a",@progbits
	.p2align	6, 0x0
	.amdhsa_kernel _ZN7rocprim17ROCPRIM_400000_NS6detail17trampoline_kernelINS0_14default_configENS1_20scan_config_selectorIiEEZZNS1_9scan_implILNS1_25lookback_scan_determinismE0ELb0ELb0ES3_N6thrust23THRUST_200600_302600_NS6detail15normal_iteratorINS9_10device_ptrIiEEEENS9_16discard_iteratorINS9_11use_defaultEEEi11max_functorIiEiEEDaPvRmT3_T4_T5_mT6_P12ihipStream_tbENKUlT_T0_E_clISt17integral_constantIbLb1EESW_IbLb0EEEEDaSS_ST_EUlSS_E_NS1_11comp_targetILNS1_3genE3ELNS1_11target_archE908ELNS1_3gpuE7ELNS1_3repE0EEENS1_30default_config_static_selectorELNS0_4arch9wavefront6targetE1EEEvT1_
		.amdhsa_group_segment_fixed_size 0
		.amdhsa_private_segment_fixed_size 0
		.amdhsa_kernarg_size 104
		.amdhsa_user_sgpr_count 6
		.amdhsa_user_sgpr_private_segment_buffer 1
		.amdhsa_user_sgpr_dispatch_ptr 0
		.amdhsa_user_sgpr_queue_ptr 0
		.amdhsa_user_sgpr_kernarg_segment_ptr 1
		.amdhsa_user_sgpr_dispatch_id 0
		.amdhsa_user_sgpr_flat_scratch_init 0
		.amdhsa_user_sgpr_kernarg_preload_length 0
		.amdhsa_user_sgpr_kernarg_preload_offset 0
		.amdhsa_user_sgpr_private_segment_size 0
		.amdhsa_uses_dynamic_stack 0
		.amdhsa_system_sgpr_private_segment_wavefront_offset 0
		.amdhsa_system_sgpr_workgroup_id_x 1
		.amdhsa_system_sgpr_workgroup_id_y 0
		.amdhsa_system_sgpr_workgroup_id_z 0
		.amdhsa_system_sgpr_workgroup_info 0
		.amdhsa_system_vgpr_workitem_id 0
		.amdhsa_next_free_vgpr 1
		.amdhsa_next_free_sgpr 0
		.amdhsa_accum_offset 4
		.amdhsa_reserve_vcc 0
		.amdhsa_reserve_flat_scratch 0
		.amdhsa_float_round_mode_32 0
		.amdhsa_float_round_mode_16_64 0
		.amdhsa_float_denorm_mode_32 3
		.amdhsa_float_denorm_mode_16_64 3
		.amdhsa_dx10_clamp 1
		.amdhsa_ieee_mode 1
		.amdhsa_fp16_overflow 0
		.amdhsa_tg_split 0
		.amdhsa_exception_fp_ieee_invalid_op 0
		.amdhsa_exception_fp_denorm_src 0
		.amdhsa_exception_fp_ieee_div_zero 0
		.amdhsa_exception_fp_ieee_overflow 0
		.amdhsa_exception_fp_ieee_underflow 0
		.amdhsa_exception_fp_ieee_inexact 0
		.amdhsa_exception_int_div_zero 0
	.end_amdhsa_kernel
	.section	.text._ZN7rocprim17ROCPRIM_400000_NS6detail17trampoline_kernelINS0_14default_configENS1_20scan_config_selectorIiEEZZNS1_9scan_implILNS1_25lookback_scan_determinismE0ELb0ELb0ES3_N6thrust23THRUST_200600_302600_NS6detail15normal_iteratorINS9_10device_ptrIiEEEENS9_16discard_iteratorINS9_11use_defaultEEEi11max_functorIiEiEEDaPvRmT3_T4_T5_mT6_P12ihipStream_tbENKUlT_T0_E_clISt17integral_constantIbLb1EESW_IbLb0EEEEDaSS_ST_EUlSS_E_NS1_11comp_targetILNS1_3genE3ELNS1_11target_archE908ELNS1_3gpuE7ELNS1_3repE0EEENS1_30default_config_static_selectorELNS0_4arch9wavefront6targetE1EEEvT1_,"axG",@progbits,_ZN7rocprim17ROCPRIM_400000_NS6detail17trampoline_kernelINS0_14default_configENS1_20scan_config_selectorIiEEZZNS1_9scan_implILNS1_25lookback_scan_determinismE0ELb0ELb0ES3_N6thrust23THRUST_200600_302600_NS6detail15normal_iteratorINS9_10device_ptrIiEEEENS9_16discard_iteratorINS9_11use_defaultEEEi11max_functorIiEiEEDaPvRmT3_T4_T5_mT6_P12ihipStream_tbENKUlT_T0_E_clISt17integral_constantIbLb1EESW_IbLb0EEEEDaSS_ST_EUlSS_E_NS1_11comp_targetILNS1_3genE3ELNS1_11target_archE908ELNS1_3gpuE7ELNS1_3repE0EEENS1_30default_config_static_selectorELNS0_4arch9wavefront6targetE1EEEvT1_,comdat
.Lfunc_end3893:
	.size	_ZN7rocprim17ROCPRIM_400000_NS6detail17trampoline_kernelINS0_14default_configENS1_20scan_config_selectorIiEEZZNS1_9scan_implILNS1_25lookback_scan_determinismE0ELb0ELb0ES3_N6thrust23THRUST_200600_302600_NS6detail15normal_iteratorINS9_10device_ptrIiEEEENS9_16discard_iteratorINS9_11use_defaultEEEi11max_functorIiEiEEDaPvRmT3_T4_T5_mT6_P12ihipStream_tbENKUlT_T0_E_clISt17integral_constantIbLb1EESW_IbLb0EEEEDaSS_ST_EUlSS_E_NS1_11comp_targetILNS1_3genE3ELNS1_11target_archE908ELNS1_3gpuE7ELNS1_3repE0EEENS1_30default_config_static_selectorELNS0_4arch9wavefront6targetE1EEEvT1_, .Lfunc_end3893-_ZN7rocprim17ROCPRIM_400000_NS6detail17trampoline_kernelINS0_14default_configENS1_20scan_config_selectorIiEEZZNS1_9scan_implILNS1_25lookback_scan_determinismE0ELb0ELb0ES3_N6thrust23THRUST_200600_302600_NS6detail15normal_iteratorINS9_10device_ptrIiEEEENS9_16discard_iteratorINS9_11use_defaultEEEi11max_functorIiEiEEDaPvRmT3_T4_T5_mT6_P12ihipStream_tbENKUlT_T0_E_clISt17integral_constantIbLb1EESW_IbLb0EEEEDaSS_ST_EUlSS_E_NS1_11comp_targetILNS1_3genE3ELNS1_11target_archE908ELNS1_3gpuE7ELNS1_3repE0EEENS1_30default_config_static_selectorELNS0_4arch9wavefront6targetE1EEEvT1_
                                        ; -- End function
	.section	.AMDGPU.csdata,"",@progbits
; Kernel info:
; codeLenInByte = 0
; NumSgprs: 4
; NumVgprs: 0
; NumAgprs: 0
; TotalNumVgprs: 0
; ScratchSize: 0
; MemoryBound: 0
; FloatMode: 240
; IeeeMode: 1
; LDSByteSize: 0 bytes/workgroup (compile time only)
; SGPRBlocks: 0
; VGPRBlocks: 0
; NumSGPRsForWavesPerEU: 4
; NumVGPRsForWavesPerEU: 1
; AccumOffset: 4
; Occupancy: 8
; WaveLimiterHint : 0
; COMPUTE_PGM_RSRC2:SCRATCH_EN: 0
; COMPUTE_PGM_RSRC2:USER_SGPR: 6
; COMPUTE_PGM_RSRC2:TRAP_HANDLER: 0
; COMPUTE_PGM_RSRC2:TGID_X_EN: 1
; COMPUTE_PGM_RSRC2:TGID_Y_EN: 0
; COMPUTE_PGM_RSRC2:TGID_Z_EN: 0
; COMPUTE_PGM_RSRC2:TIDIG_COMP_CNT: 0
; COMPUTE_PGM_RSRC3_GFX90A:ACCUM_OFFSET: 0
; COMPUTE_PGM_RSRC3_GFX90A:TG_SPLIT: 0
	.section	.text._ZN7rocprim17ROCPRIM_400000_NS6detail17trampoline_kernelINS0_14default_configENS1_20scan_config_selectorIiEEZZNS1_9scan_implILNS1_25lookback_scan_determinismE0ELb0ELb0ES3_N6thrust23THRUST_200600_302600_NS6detail15normal_iteratorINS9_10device_ptrIiEEEENS9_16discard_iteratorINS9_11use_defaultEEEi11max_functorIiEiEEDaPvRmT3_T4_T5_mT6_P12ihipStream_tbENKUlT_T0_E_clISt17integral_constantIbLb1EESW_IbLb0EEEEDaSS_ST_EUlSS_E_NS1_11comp_targetILNS1_3genE2ELNS1_11target_archE906ELNS1_3gpuE6ELNS1_3repE0EEENS1_30default_config_static_selectorELNS0_4arch9wavefront6targetE1EEEvT1_,"axG",@progbits,_ZN7rocprim17ROCPRIM_400000_NS6detail17trampoline_kernelINS0_14default_configENS1_20scan_config_selectorIiEEZZNS1_9scan_implILNS1_25lookback_scan_determinismE0ELb0ELb0ES3_N6thrust23THRUST_200600_302600_NS6detail15normal_iteratorINS9_10device_ptrIiEEEENS9_16discard_iteratorINS9_11use_defaultEEEi11max_functorIiEiEEDaPvRmT3_T4_T5_mT6_P12ihipStream_tbENKUlT_T0_E_clISt17integral_constantIbLb1EESW_IbLb0EEEEDaSS_ST_EUlSS_E_NS1_11comp_targetILNS1_3genE2ELNS1_11target_archE906ELNS1_3gpuE6ELNS1_3repE0EEENS1_30default_config_static_selectorELNS0_4arch9wavefront6targetE1EEEvT1_,comdat
	.protected	_ZN7rocprim17ROCPRIM_400000_NS6detail17trampoline_kernelINS0_14default_configENS1_20scan_config_selectorIiEEZZNS1_9scan_implILNS1_25lookback_scan_determinismE0ELb0ELb0ES3_N6thrust23THRUST_200600_302600_NS6detail15normal_iteratorINS9_10device_ptrIiEEEENS9_16discard_iteratorINS9_11use_defaultEEEi11max_functorIiEiEEDaPvRmT3_T4_T5_mT6_P12ihipStream_tbENKUlT_T0_E_clISt17integral_constantIbLb1EESW_IbLb0EEEEDaSS_ST_EUlSS_E_NS1_11comp_targetILNS1_3genE2ELNS1_11target_archE906ELNS1_3gpuE6ELNS1_3repE0EEENS1_30default_config_static_selectorELNS0_4arch9wavefront6targetE1EEEvT1_ ; -- Begin function _ZN7rocprim17ROCPRIM_400000_NS6detail17trampoline_kernelINS0_14default_configENS1_20scan_config_selectorIiEEZZNS1_9scan_implILNS1_25lookback_scan_determinismE0ELb0ELb0ES3_N6thrust23THRUST_200600_302600_NS6detail15normal_iteratorINS9_10device_ptrIiEEEENS9_16discard_iteratorINS9_11use_defaultEEEi11max_functorIiEiEEDaPvRmT3_T4_T5_mT6_P12ihipStream_tbENKUlT_T0_E_clISt17integral_constantIbLb1EESW_IbLb0EEEEDaSS_ST_EUlSS_E_NS1_11comp_targetILNS1_3genE2ELNS1_11target_archE906ELNS1_3gpuE6ELNS1_3repE0EEENS1_30default_config_static_selectorELNS0_4arch9wavefront6targetE1EEEvT1_
	.globl	_ZN7rocprim17ROCPRIM_400000_NS6detail17trampoline_kernelINS0_14default_configENS1_20scan_config_selectorIiEEZZNS1_9scan_implILNS1_25lookback_scan_determinismE0ELb0ELb0ES3_N6thrust23THRUST_200600_302600_NS6detail15normal_iteratorINS9_10device_ptrIiEEEENS9_16discard_iteratorINS9_11use_defaultEEEi11max_functorIiEiEEDaPvRmT3_T4_T5_mT6_P12ihipStream_tbENKUlT_T0_E_clISt17integral_constantIbLb1EESW_IbLb0EEEEDaSS_ST_EUlSS_E_NS1_11comp_targetILNS1_3genE2ELNS1_11target_archE906ELNS1_3gpuE6ELNS1_3repE0EEENS1_30default_config_static_selectorELNS0_4arch9wavefront6targetE1EEEvT1_
	.p2align	8
	.type	_ZN7rocprim17ROCPRIM_400000_NS6detail17trampoline_kernelINS0_14default_configENS1_20scan_config_selectorIiEEZZNS1_9scan_implILNS1_25lookback_scan_determinismE0ELb0ELb0ES3_N6thrust23THRUST_200600_302600_NS6detail15normal_iteratorINS9_10device_ptrIiEEEENS9_16discard_iteratorINS9_11use_defaultEEEi11max_functorIiEiEEDaPvRmT3_T4_T5_mT6_P12ihipStream_tbENKUlT_T0_E_clISt17integral_constantIbLb1EESW_IbLb0EEEEDaSS_ST_EUlSS_E_NS1_11comp_targetILNS1_3genE2ELNS1_11target_archE906ELNS1_3gpuE6ELNS1_3repE0EEENS1_30default_config_static_selectorELNS0_4arch9wavefront6targetE1EEEvT1_,@function
_ZN7rocprim17ROCPRIM_400000_NS6detail17trampoline_kernelINS0_14default_configENS1_20scan_config_selectorIiEEZZNS1_9scan_implILNS1_25lookback_scan_determinismE0ELb0ELb0ES3_N6thrust23THRUST_200600_302600_NS6detail15normal_iteratorINS9_10device_ptrIiEEEENS9_16discard_iteratorINS9_11use_defaultEEEi11max_functorIiEiEEDaPvRmT3_T4_T5_mT6_P12ihipStream_tbENKUlT_T0_E_clISt17integral_constantIbLb1EESW_IbLb0EEEEDaSS_ST_EUlSS_E_NS1_11comp_targetILNS1_3genE2ELNS1_11target_archE906ELNS1_3gpuE6ELNS1_3repE0EEENS1_30default_config_static_selectorELNS0_4arch9wavefront6targetE1EEEvT1_: ; @_ZN7rocprim17ROCPRIM_400000_NS6detail17trampoline_kernelINS0_14default_configENS1_20scan_config_selectorIiEEZZNS1_9scan_implILNS1_25lookback_scan_determinismE0ELb0ELb0ES3_N6thrust23THRUST_200600_302600_NS6detail15normal_iteratorINS9_10device_ptrIiEEEENS9_16discard_iteratorINS9_11use_defaultEEEi11max_functorIiEiEEDaPvRmT3_T4_T5_mT6_P12ihipStream_tbENKUlT_T0_E_clISt17integral_constantIbLb1EESW_IbLb0EEEEDaSS_ST_EUlSS_E_NS1_11comp_targetILNS1_3genE2ELNS1_11target_archE906ELNS1_3gpuE6ELNS1_3repE0EEENS1_30default_config_static_selectorELNS0_4arch9wavefront6targetE1EEEvT1_
; %bb.0:
	.section	.rodata,"a",@progbits
	.p2align	6, 0x0
	.amdhsa_kernel _ZN7rocprim17ROCPRIM_400000_NS6detail17trampoline_kernelINS0_14default_configENS1_20scan_config_selectorIiEEZZNS1_9scan_implILNS1_25lookback_scan_determinismE0ELb0ELb0ES3_N6thrust23THRUST_200600_302600_NS6detail15normal_iteratorINS9_10device_ptrIiEEEENS9_16discard_iteratorINS9_11use_defaultEEEi11max_functorIiEiEEDaPvRmT3_T4_T5_mT6_P12ihipStream_tbENKUlT_T0_E_clISt17integral_constantIbLb1EESW_IbLb0EEEEDaSS_ST_EUlSS_E_NS1_11comp_targetILNS1_3genE2ELNS1_11target_archE906ELNS1_3gpuE6ELNS1_3repE0EEENS1_30default_config_static_selectorELNS0_4arch9wavefront6targetE1EEEvT1_
		.amdhsa_group_segment_fixed_size 0
		.amdhsa_private_segment_fixed_size 0
		.amdhsa_kernarg_size 104
		.amdhsa_user_sgpr_count 6
		.amdhsa_user_sgpr_private_segment_buffer 1
		.amdhsa_user_sgpr_dispatch_ptr 0
		.amdhsa_user_sgpr_queue_ptr 0
		.amdhsa_user_sgpr_kernarg_segment_ptr 1
		.amdhsa_user_sgpr_dispatch_id 0
		.amdhsa_user_sgpr_flat_scratch_init 0
		.amdhsa_user_sgpr_kernarg_preload_length 0
		.amdhsa_user_sgpr_kernarg_preload_offset 0
		.amdhsa_user_sgpr_private_segment_size 0
		.amdhsa_uses_dynamic_stack 0
		.amdhsa_system_sgpr_private_segment_wavefront_offset 0
		.amdhsa_system_sgpr_workgroup_id_x 1
		.amdhsa_system_sgpr_workgroup_id_y 0
		.amdhsa_system_sgpr_workgroup_id_z 0
		.amdhsa_system_sgpr_workgroup_info 0
		.amdhsa_system_vgpr_workitem_id 0
		.amdhsa_next_free_vgpr 1
		.amdhsa_next_free_sgpr 0
		.amdhsa_accum_offset 4
		.amdhsa_reserve_vcc 0
		.amdhsa_reserve_flat_scratch 0
		.amdhsa_float_round_mode_32 0
		.amdhsa_float_round_mode_16_64 0
		.amdhsa_float_denorm_mode_32 3
		.amdhsa_float_denorm_mode_16_64 3
		.amdhsa_dx10_clamp 1
		.amdhsa_ieee_mode 1
		.amdhsa_fp16_overflow 0
		.amdhsa_tg_split 0
		.amdhsa_exception_fp_ieee_invalid_op 0
		.amdhsa_exception_fp_denorm_src 0
		.amdhsa_exception_fp_ieee_div_zero 0
		.amdhsa_exception_fp_ieee_overflow 0
		.amdhsa_exception_fp_ieee_underflow 0
		.amdhsa_exception_fp_ieee_inexact 0
		.amdhsa_exception_int_div_zero 0
	.end_amdhsa_kernel
	.section	.text._ZN7rocprim17ROCPRIM_400000_NS6detail17trampoline_kernelINS0_14default_configENS1_20scan_config_selectorIiEEZZNS1_9scan_implILNS1_25lookback_scan_determinismE0ELb0ELb0ES3_N6thrust23THRUST_200600_302600_NS6detail15normal_iteratorINS9_10device_ptrIiEEEENS9_16discard_iteratorINS9_11use_defaultEEEi11max_functorIiEiEEDaPvRmT3_T4_T5_mT6_P12ihipStream_tbENKUlT_T0_E_clISt17integral_constantIbLb1EESW_IbLb0EEEEDaSS_ST_EUlSS_E_NS1_11comp_targetILNS1_3genE2ELNS1_11target_archE906ELNS1_3gpuE6ELNS1_3repE0EEENS1_30default_config_static_selectorELNS0_4arch9wavefront6targetE1EEEvT1_,"axG",@progbits,_ZN7rocprim17ROCPRIM_400000_NS6detail17trampoline_kernelINS0_14default_configENS1_20scan_config_selectorIiEEZZNS1_9scan_implILNS1_25lookback_scan_determinismE0ELb0ELb0ES3_N6thrust23THRUST_200600_302600_NS6detail15normal_iteratorINS9_10device_ptrIiEEEENS9_16discard_iteratorINS9_11use_defaultEEEi11max_functorIiEiEEDaPvRmT3_T4_T5_mT6_P12ihipStream_tbENKUlT_T0_E_clISt17integral_constantIbLb1EESW_IbLb0EEEEDaSS_ST_EUlSS_E_NS1_11comp_targetILNS1_3genE2ELNS1_11target_archE906ELNS1_3gpuE6ELNS1_3repE0EEENS1_30default_config_static_selectorELNS0_4arch9wavefront6targetE1EEEvT1_,comdat
.Lfunc_end3894:
	.size	_ZN7rocprim17ROCPRIM_400000_NS6detail17trampoline_kernelINS0_14default_configENS1_20scan_config_selectorIiEEZZNS1_9scan_implILNS1_25lookback_scan_determinismE0ELb0ELb0ES3_N6thrust23THRUST_200600_302600_NS6detail15normal_iteratorINS9_10device_ptrIiEEEENS9_16discard_iteratorINS9_11use_defaultEEEi11max_functorIiEiEEDaPvRmT3_T4_T5_mT6_P12ihipStream_tbENKUlT_T0_E_clISt17integral_constantIbLb1EESW_IbLb0EEEEDaSS_ST_EUlSS_E_NS1_11comp_targetILNS1_3genE2ELNS1_11target_archE906ELNS1_3gpuE6ELNS1_3repE0EEENS1_30default_config_static_selectorELNS0_4arch9wavefront6targetE1EEEvT1_, .Lfunc_end3894-_ZN7rocprim17ROCPRIM_400000_NS6detail17trampoline_kernelINS0_14default_configENS1_20scan_config_selectorIiEEZZNS1_9scan_implILNS1_25lookback_scan_determinismE0ELb0ELb0ES3_N6thrust23THRUST_200600_302600_NS6detail15normal_iteratorINS9_10device_ptrIiEEEENS9_16discard_iteratorINS9_11use_defaultEEEi11max_functorIiEiEEDaPvRmT3_T4_T5_mT6_P12ihipStream_tbENKUlT_T0_E_clISt17integral_constantIbLb1EESW_IbLb0EEEEDaSS_ST_EUlSS_E_NS1_11comp_targetILNS1_3genE2ELNS1_11target_archE906ELNS1_3gpuE6ELNS1_3repE0EEENS1_30default_config_static_selectorELNS0_4arch9wavefront6targetE1EEEvT1_
                                        ; -- End function
	.section	.AMDGPU.csdata,"",@progbits
; Kernel info:
; codeLenInByte = 0
; NumSgprs: 4
; NumVgprs: 0
; NumAgprs: 0
; TotalNumVgprs: 0
; ScratchSize: 0
; MemoryBound: 0
; FloatMode: 240
; IeeeMode: 1
; LDSByteSize: 0 bytes/workgroup (compile time only)
; SGPRBlocks: 0
; VGPRBlocks: 0
; NumSGPRsForWavesPerEU: 4
; NumVGPRsForWavesPerEU: 1
; AccumOffset: 4
; Occupancy: 8
; WaveLimiterHint : 0
; COMPUTE_PGM_RSRC2:SCRATCH_EN: 0
; COMPUTE_PGM_RSRC2:USER_SGPR: 6
; COMPUTE_PGM_RSRC2:TRAP_HANDLER: 0
; COMPUTE_PGM_RSRC2:TGID_X_EN: 1
; COMPUTE_PGM_RSRC2:TGID_Y_EN: 0
; COMPUTE_PGM_RSRC2:TGID_Z_EN: 0
; COMPUTE_PGM_RSRC2:TIDIG_COMP_CNT: 0
; COMPUTE_PGM_RSRC3_GFX90A:ACCUM_OFFSET: 0
; COMPUTE_PGM_RSRC3_GFX90A:TG_SPLIT: 0
	.section	.text._ZN7rocprim17ROCPRIM_400000_NS6detail17trampoline_kernelINS0_14default_configENS1_20scan_config_selectorIiEEZZNS1_9scan_implILNS1_25lookback_scan_determinismE0ELb0ELb0ES3_N6thrust23THRUST_200600_302600_NS6detail15normal_iteratorINS9_10device_ptrIiEEEENS9_16discard_iteratorINS9_11use_defaultEEEi11max_functorIiEiEEDaPvRmT3_T4_T5_mT6_P12ihipStream_tbENKUlT_T0_E_clISt17integral_constantIbLb1EESW_IbLb0EEEEDaSS_ST_EUlSS_E_NS1_11comp_targetILNS1_3genE10ELNS1_11target_archE1201ELNS1_3gpuE5ELNS1_3repE0EEENS1_30default_config_static_selectorELNS0_4arch9wavefront6targetE1EEEvT1_,"axG",@progbits,_ZN7rocprim17ROCPRIM_400000_NS6detail17trampoline_kernelINS0_14default_configENS1_20scan_config_selectorIiEEZZNS1_9scan_implILNS1_25lookback_scan_determinismE0ELb0ELb0ES3_N6thrust23THRUST_200600_302600_NS6detail15normal_iteratorINS9_10device_ptrIiEEEENS9_16discard_iteratorINS9_11use_defaultEEEi11max_functorIiEiEEDaPvRmT3_T4_T5_mT6_P12ihipStream_tbENKUlT_T0_E_clISt17integral_constantIbLb1EESW_IbLb0EEEEDaSS_ST_EUlSS_E_NS1_11comp_targetILNS1_3genE10ELNS1_11target_archE1201ELNS1_3gpuE5ELNS1_3repE0EEENS1_30default_config_static_selectorELNS0_4arch9wavefront6targetE1EEEvT1_,comdat
	.protected	_ZN7rocprim17ROCPRIM_400000_NS6detail17trampoline_kernelINS0_14default_configENS1_20scan_config_selectorIiEEZZNS1_9scan_implILNS1_25lookback_scan_determinismE0ELb0ELb0ES3_N6thrust23THRUST_200600_302600_NS6detail15normal_iteratorINS9_10device_ptrIiEEEENS9_16discard_iteratorINS9_11use_defaultEEEi11max_functorIiEiEEDaPvRmT3_T4_T5_mT6_P12ihipStream_tbENKUlT_T0_E_clISt17integral_constantIbLb1EESW_IbLb0EEEEDaSS_ST_EUlSS_E_NS1_11comp_targetILNS1_3genE10ELNS1_11target_archE1201ELNS1_3gpuE5ELNS1_3repE0EEENS1_30default_config_static_selectorELNS0_4arch9wavefront6targetE1EEEvT1_ ; -- Begin function _ZN7rocprim17ROCPRIM_400000_NS6detail17trampoline_kernelINS0_14default_configENS1_20scan_config_selectorIiEEZZNS1_9scan_implILNS1_25lookback_scan_determinismE0ELb0ELb0ES3_N6thrust23THRUST_200600_302600_NS6detail15normal_iteratorINS9_10device_ptrIiEEEENS9_16discard_iteratorINS9_11use_defaultEEEi11max_functorIiEiEEDaPvRmT3_T4_T5_mT6_P12ihipStream_tbENKUlT_T0_E_clISt17integral_constantIbLb1EESW_IbLb0EEEEDaSS_ST_EUlSS_E_NS1_11comp_targetILNS1_3genE10ELNS1_11target_archE1201ELNS1_3gpuE5ELNS1_3repE0EEENS1_30default_config_static_selectorELNS0_4arch9wavefront6targetE1EEEvT1_
	.globl	_ZN7rocprim17ROCPRIM_400000_NS6detail17trampoline_kernelINS0_14default_configENS1_20scan_config_selectorIiEEZZNS1_9scan_implILNS1_25lookback_scan_determinismE0ELb0ELb0ES3_N6thrust23THRUST_200600_302600_NS6detail15normal_iteratorINS9_10device_ptrIiEEEENS9_16discard_iteratorINS9_11use_defaultEEEi11max_functorIiEiEEDaPvRmT3_T4_T5_mT6_P12ihipStream_tbENKUlT_T0_E_clISt17integral_constantIbLb1EESW_IbLb0EEEEDaSS_ST_EUlSS_E_NS1_11comp_targetILNS1_3genE10ELNS1_11target_archE1201ELNS1_3gpuE5ELNS1_3repE0EEENS1_30default_config_static_selectorELNS0_4arch9wavefront6targetE1EEEvT1_
	.p2align	8
	.type	_ZN7rocprim17ROCPRIM_400000_NS6detail17trampoline_kernelINS0_14default_configENS1_20scan_config_selectorIiEEZZNS1_9scan_implILNS1_25lookback_scan_determinismE0ELb0ELb0ES3_N6thrust23THRUST_200600_302600_NS6detail15normal_iteratorINS9_10device_ptrIiEEEENS9_16discard_iteratorINS9_11use_defaultEEEi11max_functorIiEiEEDaPvRmT3_T4_T5_mT6_P12ihipStream_tbENKUlT_T0_E_clISt17integral_constantIbLb1EESW_IbLb0EEEEDaSS_ST_EUlSS_E_NS1_11comp_targetILNS1_3genE10ELNS1_11target_archE1201ELNS1_3gpuE5ELNS1_3repE0EEENS1_30default_config_static_selectorELNS0_4arch9wavefront6targetE1EEEvT1_,@function
_ZN7rocprim17ROCPRIM_400000_NS6detail17trampoline_kernelINS0_14default_configENS1_20scan_config_selectorIiEEZZNS1_9scan_implILNS1_25lookback_scan_determinismE0ELb0ELb0ES3_N6thrust23THRUST_200600_302600_NS6detail15normal_iteratorINS9_10device_ptrIiEEEENS9_16discard_iteratorINS9_11use_defaultEEEi11max_functorIiEiEEDaPvRmT3_T4_T5_mT6_P12ihipStream_tbENKUlT_T0_E_clISt17integral_constantIbLb1EESW_IbLb0EEEEDaSS_ST_EUlSS_E_NS1_11comp_targetILNS1_3genE10ELNS1_11target_archE1201ELNS1_3gpuE5ELNS1_3repE0EEENS1_30default_config_static_selectorELNS0_4arch9wavefront6targetE1EEEvT1_: ; @_ZN7rocprim17ROCPRIM_400000_NS6detail17trampoline_kernelINS0_14default_configENS1_20scan_config_selectorIiEEZZNS1_9scan_implILNS1_25lookback_scan_determinismE0ELb0ELb0ES3_N6thrust23THRUST_200600_302600_NS6detail15normal_iteratorINS9_10device_ptrIiEEEENS9_16discard_iteratorINS9_11use_defaultEEEi11max_functorIiEiEEDaPvRmT3_T4_T5_mT6_P12ihipStream_tbENKUlT_T0_E_clISt17integral_constantIbLb1EESW_IbLb0EEEEDaSS_ST_EUlSS_E_NS1_11comp_targetILNS1_3genE10ELNS1_11target_archE1201ELNS1_3gpuE5ELNS1_3repE0EEENS1_30default_config_static_selectorELNS0_4arch9wavefront6targetE1EEEvT1_
; %bb.0:
	.section	.rodata,"a",@progbits
	.p2align	6, 0x0
	.amdhsa_kernel _ZN7rocprim17ROCPRIM_400000_NS6detail17trampoline_kernelINS0_14default_configENS1_20scan_config_selectorIiEEZZNS1_9scan_implILNS1_25lookback_scan_determinismE0ELb0ELb0ES3_N6thrust23THRUST_200600_302600_NS6detail15normal_iteratorINS9_10device_ptrIiEEEENS9_16discard_iteratorINS9_11use_defaultEEEi11max_functorIiEiEEDaPvRmT3_T4_T5_mT6_P12ihipStream_tbENKUlT_T0_E_clISt17integral_constantIbLb1EESW_IbLb0EEEEDaSS_ST_EUlSS_E_NS1_11comp_targetILNS1_3genE10ELNS1_11target_archE1201ELNS1_3gpuE5ELNS1_3repE0EEENS1_30default_config_static_selectorELNS0_4arch9wavefront6targetE1EEEvT1_
		.amdhsa_group_segment_fixed_size 0
		.amdhsa_private_segment_fixed_size 0
		.amdhsa_kernarg_size 104
		.amdhsa_user_sgpr_count 6
		.amdhsa_user_sgpr_private_segment_buffer 1
		.amdhsa_user_sgpr_dispatch_ptr 0
		.amdhsa_user_sgpr_queue_ptr 0
		.amdhsa_user_sgpr_kernarg_segment_ptr 1
		.amdhsa_user_sgpr_dispatch_id 0
		.amdhsa_user_sgpr_flat_scratch_init 0
		.amdhsa_user_sgpr_kernarg_preload_length 0
		.amdhsa_user_sgpr_kernarg_preload_offset 0
		.amdhsa_user_sgpr_private_segment_size 0
		.amdhsa_uses_dynamic_stack 0
		.amdhsa_system_sgpr_private_segment_wavefront_offset 0
		.amdhsa_system_sgpr_workgroup_id_x 1
		.amdhsa_system_sgpr_workgroup_id_y 0
		.amdhsa_system_sgpr_workgroup_id_z 0
		.amdhsa_system_sgpr_workgroup_info 0
		.amdhsa_system_vgpr_workitem_id 0
		.amdhsa_next_free_vgpr 1
		.amdhsa_next_free_sgpr 0
		.amdhsa_accum_offset 4
		.amdhsa_reserve_vcc 0
		.amdhsa_reserve_flat_scratch 0
		.amdhsa_float_round_mode_32 0
		.amdhsa_float_round_mode_16_64 0
		.amdhsa_float_denorm_mode_32 3
		.amdhsa_float_denorm_mode_16_64 3
		.amdhsa_dx10_clamp 1
		.amdhsa_ieee_mode 1
		.amdhsa_fp16_overflow 0
		.amdhsa_tg_split 0
		.amdhsa_exception_fp_ieee_invalid_op 0
		.amdhsa_exception_fp_denorm_src 0
		.amdhsa_exception_fp_ieee_div_zero 0
		.amdhsa_exception_fp_ieee_overflow 0
		.amdhsa_exception_fp_ieee_underflow 0
		.amdhsa_exception_fp_ieee_inexact 0
		.amdhsa_exception_int_div_zero 0
	.end_amdhsa_kernel
	.section	.text._ZN7rocprim17ROCPRIM_400000_NS6detail17trampoline_kernelINS0_14default_configENS1_20scan_config_selectorIiEEZZNS1_9scan_implILNS1_25lookback_scan_determinismE0ELb0ELb0ES3_N6thrust23THRUST_200600_302600_NS6detail15normal_iteratorINS9_10device_ptrIiEEEENS9_16discard_iteratorINS9_11use_defaultEEEi11max_functorIiEiEEDaPvRmT3_T4_T5_mT6_P12ihipStream_tbENKUlT_T0_E_clISt17integral_constantIbLb1EESW_IbLb0EEEEDaSS_ST_EUlSS_E_NS1_11comp_targetILNS1_3genE10ELNS1_11target_archE1201ELNS1_3gpuE5ELNS1_3repE0EEENS1_30default_config_static_selectorELNS0_4arch9wavefront6targetE1EEEvT1_,"axG",@progbits,_ZN7rocprim17ROCPRIM_400000_NS6detail17trampoline_kernelINS0_14default_configENS1_20scan_config_selectorIiEEZZNS1_9scan_implILNS1_25lookback_scan_determinismE0ELb0ELb0ES3_N6thrust23THRUST_200600_302600_NS6detail15normal_iteratorINS9_10device_ptrIiEEEENS9_16discard_iteratorINS9_11use_defaultEEEi11max_functorIiEiEEDaPvRmT3_T4_T5_mT6_P12ihipStream_tbENKUlT_T0_E_clISt17integral_constantIbLb1EESW_IbLb0EEEEDaSS_ST_EUlSS_E_NS1_11comp_targetILNS1_3genE10ELNS1_11target_archE1201ELNS1_3gpuE5ELNS1_3repE0EEENS1_30default_config_static_selectorELNS0_4arch9wavefront6targetE1EEEvT1_,comdat
.Lfunc_end3895:
	.size	_ZN7rocprim17ROCPRIM_400000_NS6detail17trampoline_kernelINS0_14default_configENS1_20scan_config_selectorIiEEZZNS1_9scan_implILNS1_25lookback_scan_determinismE0ELb0ELb0ES3_N6thrust23THRUST_200600_302600_NS6detail15normal_iteratorINS9_10device_ptrIiEEEENS9_16discard_iteratorINS9_11use_defaultEEEi11max_functorIiEiEEDaPvRmT3_T4_T5_mT6_P12ihipStream_tbENKUlT_T0_E_clISt17integral_constantIbLb1EESW_IbLb0EEEEDaSS_ST_EUlSS_E_NS1_11comp_targetILNS1_3genE10ELNS1_11target_archE1201ELNS1_3gpuE5ELNS1_3repE0EEENS1_30default_config_static_selectorELNS0_4arch9wavefront6targetE1EEEvT1_, .Lfunc_end3895-_ZN7rocprim17ROCPRIM_400000_NS6detail17trampoline_kernelINS0_14default_configENS1_20scan_config_selectorIiEEZZNS1_9scan_implILNS1_25lookback_scan_determinismE0ELb0ELb0ES3_N6thrust23THRUST_200600_302600_NS6detail15normal_iteratorINS9_10device_ptrIiEEEENS9_16discard_iteratorINS9_11use_defaultEEEi11max_functorIiEiEEDaPvRmT3_T4_T5_mT6_P12ihipStream_tbENKUlT_T0_E_clISt17integral_constantIbLb1EESW_IbLb0EEEEDaSS_ST_EUlSS_E_NS1_11comp_targetILNS1_3genE10ELNS1_11target_archE1201ELNS1_3gpuE5ELNS1_3repE0EEENS1_30default_config_static_selectorELNS0_4arch9wavefront6targetE1EEEvT1_
                                        ; -- End function
	.section	.AMDGPU.csdata,"",@progbits
; Kernel info:
; codeLenInByte = 0
; NumSgprs: 4
; NumVgprs: 0
; NumAgprs: 0
; TotalNumVgprs: 0
; ScratchSize: 0
; MemoryBound: 0
; FloatMode: 240
; IeeeMode: 1
; LDSByteSize: 0 bytes/workgroup (compile time only)
; SGPRBlocks: 0
; VGPRBlocks: 0
; NumSGPRsForWavesPerEU: 4
; NumVGPRsForWavesPerEU: 1
; AccumOffset: 4
; Occupancy: 8
; WaveLimiterHint : 0
; COMPUTE_PGM_RSRC2:SCRATCH_EN: 0
; COMPUTE_PGM_RSRC2:USER_SGPR: 6
; COMPUTE_PGM_RSRC2:TRAP_HANDLER: 0
; COMPUTE_PGM_RSRC2:TGID_X_EN: 1
; COMPUTE_PGM_RSRC2:TGID_Y_EN: 0
; COMPUTE_PGM_RSRC2:TGID_Z_EN: 0
; COMPUTE_PGM_RSRC2:TIDIG_COMP_CNT: 0
; COMPUTE_PGM_RSRC3_GFX90A:ACCUM_OFFSET: 0
; COMPUTE_PGM_RSRC3_GFX90A:TG_SPLIT: 0
	.section	.text._ZN7rocprim17ROCPRIM_400000_NS6detail17trampoline_kernelINS0_14default_configENS1_20scan_config_selectorIiEEZZNS1_9scan_implILNS1_25lookback_scan_determinismE0ELb0ELb0ES3_N6thrust23THRUST_200600_302600_NS6detail15normal_iteratorINS9_10device_ptrIiEEEENS9_16discard_iteratorINS9_11use_defaultEEEi11max_functorIiEiEEDaPvRmT3_T4_T5_mT6_P12ihipStream_tbENKUlT_T0_E_clISt17integral_constantIbLb1EESW_IbLb0EEEEDaSS_ST_EUlSS_E_NS1_11comp_targetILNS1_3genE10ELNS1_11target_archE1200ELNS1_3gpuE4ELNS1_3repE0EEENS1_30default_config_static_selectorELNS0_4arch9wavefront6targetE1EEEvT1_,"axG",@progbits,_ZN7rocprim17ROCPRIM_400000_NS6detail17trampoline_kernelINS0_14default_configENS1_20scan_config_selectorIiEEZZNS1_9scan_implILNS1_25lookback_scan_determinismE0ELb0ELb0ES3_N6thrust23THRUST_200600_302600_NS6detail15normal_iteratorINS9_10device_ptrIiEEEENS9_16discard_iteratorINS9_11use_defaultEEEi11max_functorIiEiEEDaPvRmT3_T4_T5_mT6_P12ihipStream_tbENKUlT_T0_E_clISt17integral_constantIbLb1EESW_IbLb0EEEEDaSS_ST_EUlSS_E_NS1_11comp_targetILNS1_3genE10ELNS1_11target_archE1200ELNS1_3gpuE4ELNS1_3repE0EEENS1_30default_config_static_selectorELNS0_4arch9wavefront6targetE1EEEvT1_,comdat
	.protected	_ZN7rocprim17ROCPRIM_400000_NS6detail17trampoline_kernelINS0_14default_configENS1_20scan_config_selectorIiEEZZNS1_9scan_implILNS1_25lookback_scan_determinismE0ELb0ELb0ES3_N6thrust23THRUST_200600_302600_NS6detail15normal_iteratorINS9_10device_ptrIiEEEENS9_16discard_iteratorINS9_11use_defaultEEEi11max_functorIiEiEEDaPvRmT3_T4_T5_mT6_P12ihipStream_tbENKUlT_T0_E_clISt17integral_constantIbLb1EESW_IbLb0EEEEDaSS_ST_EUlSS_E_NS1_11comp_targetILNS1_3genE10ELNS1_11target_archE1200ELNS1_3gpuE4ELNS1_3repE0EEENS1_30default_config_static_selectorELNS0_4arch9wavefront6targetE1EEEvT1_ ; -- Begin function _ZN7rocprim17ROCPRIM_400000_NS6detail17trampoline_kernelINS0_14default_configENS1_20scan_config_selectorIiEEZZNS1_9scan_implILNS1_25lookback_scan_determinismE0ELb0ELb0ES3_N6thrust23THRUST_200600_302600_NS6detail15normal_iteratorINS9_10device_ptrIiEEEENS9_16discard_iteratorINS9_11use_defaultEEEi11max_functorIiEiEEDaPvRmT3_T4_T5_mT6_P12ihipStream_tbENKUlT_T0_E_clISt17integral_constantIbLb1EESW_IbLb0EEEEDaSS_ST_EUlSS_E_NS1_11comp_targetILNS1_3genE10ELNS1_11target_archE1200ELNS1_3gpuE4ELNS1_3repE0EEENS1_30default_config_static_selectorELNS0_4arch9wavefront6targetE1EEEvT1_
	.globl	_ZN7rocprim17ROCPRIM_400000_NS6detail17trampoline_kernelINS0_14default_configENS1_20scan_config_selectorIiEEZZNS1_9scan_implILNS1_25lookback_scan_determinismE0ELb0ELb0ES3_N6thrust23THRUST_200600_302600_NS6detail15normal_iteratorINS9_10device_ptrIiEEEENS9_16discard_iteratorINS9_11use_defaultEEEi11max_functorIiEiEEDaPvRmT3_T4_T5_mT6_P12ihipStream_tbENKUlT_T0_E_clISt17integral_constantIbLb1EESW_IbLb0EEEEDaSS_ST_EUlSS_E_NS1_11comp_targetILNS1_3genE10ELNS1_11target_archE1200ELNS1_3gpuE4ELNS1_3repE0EEENS1_30default_config_static_selectorELNS0_4arch9wavefront6targetE1EEEvT1_
	.p2align	8
	.type	_ZN7rocprim17ROCPRIM_400000_NS6detail17trampoline_kernelINS0_14default_configENS1_20scan_config_selectorIiEEZZNS1_9scan_implILNS1_25lookback_scan_determinismE0ELb0ELb0ES3_N6thrust23THRUST_200600_302600_NS6detail15normal_iteratorINS9_10device_ptrIiEEEENS9_16discard_iteratorINS9_11use_defaultEEEi11max_functorIiEiEEDaPvRmT3_T4_T5_mT6_P12ihipStream_tbENKUlT_T0_E_clISt17integral_constantIbLb1EESW_IbLb0EEEEDaSS_ST_EUlSS_E_NS1_11comp_targetILNS1_3genE10ELNS1_11target_archE1200ELNS1_3gpuE4ELNS1_3repE0EEENS1_30default_config_static_selectorELNS0_4arch9wavefront6targetE1EEEvT1_,@function
_ZN7rocprim17ROCPRIM_400000_NS6detail17trampoline_kernelINS0_14default_configENS1_20scan_config_selectorIiEEZZNS1_9scan_implILNS1_25lookback_scan_determinismE0ELb0ELb0ES3_N6thrust23THRUST_200600_302600_NS6detail15normal_iteratorINS9_10device_ptrIiEEEENS9_16discard_iteratorINS9_11use_defaultEEEi11max_functorIiEiEEDaPvRmT3_T4_T5_mT6_P12ihipStream_tbENKUlT_T0_E_clISt17integral_constantIbLb1EESW_IbLb0EEEEDaSS_ST_EUlSS_E_NS1_11comp_targetILNS1_3genE10ELNS1_11target_archE1200ELNS1_3gpuE4ELNS1_3repE0EEENS1_30default_config_static_selectorELNS0_4arch9wavefront6targetE1EEEvT1_: ; @_ZN7rocprim17ROCPRIM_400000_NS6detail17trampoline_kernelINS0_14default_configENS1_20scan_config_selectorIiEEZZNS1_9scan_implILNS1_25lookback_scan_determinismE0ELb0ELb0ES3_N6thrust23THRUST_200600_302600_NS6detail15normal_iteratorINS9_10device_ptrIiEEEENS9_16discard_iteratorINS9_11use_defaultEEEi11max_functorIiEiEEDaPvRmT3_T4_T5_mT6_P12ihipStream_tbENKUlT_T0_E_clISt17integral_constantIbLb1EESW_IbLb0EEEEDaSS_ST_EUlSS_E_NS1_11comp_targetILNS1_3genE10ELNS1_11target_archE1200ELNS1_3gpuE4ELNS1_3repE0EEENS1_30default_config_static_selectorELNS0_4arch9wavefront6targetE1EEEvT1_
; %bb.0:
	.section	.rodata,"a",@progbits
	.p2align	6, 0x0
	.amdhsa_kernel _ZN7rocprim17ROCPRIM_400000_NS6detail17trampoline_kernelINS0_14default_configENS1_20scan_config_selectorIiEEZZNS1_9scan_implILNS1_25lookback_scan_determinismE0ELb0ELb0ES3_N6thrust23THRUST_200600_302600_NS6detail15normal_iteratorINS9_10device_ptrIiEEEENS9_16discard_iteratorINS9_11use_defaultEEEi11max_functorIiEiEEDaPvRmT3_T4_T5_mT6_P12ihipStream_tbENKUlT_T0_E_clISt17integral_constantIbLb1EESW_IbLb0EEEEDaSS_ST_EUlSS_E_NS1_11comp_targetILNS1_3genE10ELNS1_11target_archE1200ELNS1_3gpuE4ELNS1_3repE0EEENS1_30default_config_static_selectorELNS0_4arch9wavefront6targetE1EEEvT1_
		.amdhsa_group_segment_fixed_size 0
		.amdhsa_private_segment_fixed_size 0
		.amdhsa_kernarg_size 104
		.amdhsa_user_sgpr_count 6
		.amdhsa_user_sgpr_private_segment_buffer 1
		.amdhsa_user_sgpr_dispatch_ptr 0
		.amdhsa_user_sgpr_queue_ptr 0
		.amdhsa_user_sgpr_kernarg_segment_ptr 1
		.amdhsa_user_sgpr_dispatch_id 0
		.amdhsa_user_sgpr_flat_scratch_init 0
		.amdhsa_user_sgpr_kernarg_preload_length 0
		.amdhsa_user_sgpr_kernarg_preload_offset 0
		.amdhsa_user_sgpr_private_segment_size 0
		.amdhsa_uses_dynamic_stack 0
		.amdhsa_system_sgpr_private_segment_wavefront_offset 0
		.amdhsa_system_sgpr_workgroup_id_x 1
		.amdhsa_system_sgpr_workgroup_id_y 0
		.amdhsa_system_sgpr_workgroup_id_z 0
		.amdhsa_system_sgpr_workgroup_info 0
		.amdhsa_system_vgpr_workitem_id 0
		.amdhsa_next_free_vgpr 1
		.amdhsa_next_free_sgpr 0
		.amdhsa_accum_offset 4
		.amdhsa_reserve_vcc 0
		.amdhsa_reserve_flat_scratch 0
		.amdhsa_float_round_mode_32 0
		.amdhsa_float_round_mode_16_64 0
		.amdhsa_float_denorm_mode_32 3
		.amdhsa_float_denorm_mode_16_64 3
		.amdhsa_dx10_clamp 1
		.amdhsa_ieee_mode 1
		.amdhsa_fp16_overflow 0
		.amdhsa_tg_split 0
		.amdhsa_exception_fp_ieee_invalid_op 0
		.amdhsa_exception_fp_denorm_src 0
		.amdhsa_exception_fp_ieee_div_zero 0
		.amdhsa_exception_fp_ieee_overflow 0
		.amdhsa_exception_fp_ieee_underflow 0
		.amdhsa_exception_fp_ieee_inexact 0
		.amdhsa_exception_int_div_zero 0
	.end_amdhsa_kernel
	.section	.text._ZN7rocprim17ROCPRIM_400000_NS6detail17trampoline_kernelINS0_14default_configENS1_20scan_config_selectorIiEEZZNS1_9scan_implILNS1_25lookback_scan_determinismE0ELb0ELb0ES3_N6thrust23THRUST_200600_302600_NS6detail15normal_iteratorINS9_10device_ptrIiEEEENS9_16discard_iteratorINS9_11use_defaultEEEi11max_functorIiEiEEDaPvRmT3_T4_T5_mT6_P12ihipStream_tbENKUlT_T0_E_clISt17integral_constantIbLb1EESW_IbLb0EEEEDaSS_ST_EUlSS_E_NS1_11comp_targetILNS1_3genE10ELNS1_11target_archE1200ELNS1_3gpuE4ELNS1_3repE0EEENS1_30default_config_static_selectorELNS0_4arch9wavefront6targetE1EEEvT1_,"axG",@progbits,_ZN7rocprim17ROCPRIM_400000_NS6detail17trampoline_kernelINS0_14default_configENS1_20scan_config_selectorIiEEZZNS1_9scan_implILNS1_25lookback_scan_determinismE0ELb0ELb0ES3_N6thrust23THRUST_200600_302600_NS6detail15normal_iteratorINS9_10device_ptrIiEEEENS9_16discard_iteratorINS9_11use_defaultEEEi11max_functorIiEiEEDaPvRmT3_T4_T5_mT6_P12ihipStream_tbENKUlT_T0_E_clISt17integral_constantIbLb1EESW_IbLb0EEEEDaSS_ST_EUlSS_E_NS1_11comp_targetILNS1_3genE10ELNS1_11target_archE1200ELNS1_3gpuE4ELNS1_3repE0EEENS1_30default_config_static_selectorELNS0_4arch9wavefront6targetE1EEEvT1_,comdat
.Lfunc_end3896:
	.size	_ZN7rocprim17ROCPRIM_400000_NS6detail17trampoline_kernelINS0_14default_configENS1_20scan_config_selectorIiEEZZNS1_9scan_implILNS1_25lookback_scan_determinismE0ELb0ELb0ES3_N6thrust23THRUST_200600_302600_NS6detail15normal_iteratorINS9_10device_ptrIiEEEENS9_16discard_iteratorINS9_11use_defaultEEEi11max_functorIiEiEEDaPvRmT3_T4_T5_mT6_P12ihipStream_tbENKUlT_T0_E_clISt17integral_constantIbLb1EESW_IbLb0EEEEDaSS_ST_EUlSS_E_NS1_11comp_targetILNS1_3genE10ELNS1_11target_archE1200ELNS1_3gpuE4ELNS1_3repE0EEENS1_30default_config_static_selectorELNS0_4arch9wavefront6targetE1EEEvT1_, .Lfunc_end3896-_ZN7rocprim17ROCPRIM_400000_NS6detail17trampoline_kernelINS0_14default_configENS1_20scan_config_selectorIiEEZZNS1_9scan_implILNS1_25lookback_scan_determinismE0ELb0ELb0ES3_N6thrust23THRUST_200600_302600_NS6detail15normal_iteratorINS9_10device_ptrIiEEEENS9_16discard_iteratorINS9_11use_defaultEEEi11max_functorIiEiEEDaPvRmT3_T4_T5_mT6_P12ihipStream_tbENKUlT_T0_E_clISt17integral_constantIbLb1EESW_IbLb0EEEEDaSS_ST_EUlSS_E_NS1_11comp_targetILNS1_3genE10ELNS1_11target_archE1200ELNS1_3gpuE4ELNS1_3repE0EEENS1_30default_config_static_selectorELNS0_4arch9wavefront6targetE1EEEvT1_
                                        ; -- End function
	.section	.AMDGPU.csdata,"",@progbits
; Kernel info:
; codeLenInByte = 0
; NumSgprs: 4
; NumVgprs: 0
; NumAgprs: 0
; TotalNumVgprs: 0
; ScratchSize: 0
; MemoryBound: 0
; FloatMode: 240
; IeeeMode: 1
; LDSByteSize: 0 bytes/workgroup (compile time only)
; SGPRBlocks: 0
; VGPRBlocks: 0
; NumSGPRsForWavesPerEU: 4
; NumVGPRsForWavesPerEU: 1
; AccumOffset: 4
; Occupancy: 8
; WaveLimiterHint : 0
; COMPUTE_PGM_RSRC2:SCRATCH_EN: 0
; COMPUTE_PGM_RSRC2:USER_SGPR: 6
; COMPUTE_PGM_RSRC2:TRAP_HANDLER: 0
; COMPUTE_PGM_RSRC2:TGID_X_EN: 1
; COMPUTE_PGM_RSRC2:TGID_Y_EN: 0
; COMPUTE_PGM_RSRC2:TGID_Z_EN: 0
; COMPUTE_PGM_RSRC2:TIDIG_COMP_CNT: 0
; COMPUTE_PGM_RSRC3_GFX90A:ACCUM_OFFSET: 0
; COMPUTE_PGM_RSRC3_GFX90A:TG_SPLIT: 0
	.section	.text._ZN7rocprim17ROCPRIM_400000_NS6detail17trampoline_kernelINS0_14default_configENS1_20scan_config_selectorIiEEZZNS1_9scan_implILNS1_25lookback_scan_determinismE0ELb0ELb0ES3_N6thrust23THRUST_200600_302600_NS6detail15normal_iteratorINS9_10device_ptrIiEEEENS9_16discard_iteratorINS9_11use_defaultEEEi11max_functorIiEiEEDaPvRmT3_T4_T5_mT6_P12ihipStream_tbENKUlT_T0_E_clISt17integral_constantIbLb1EESW_IbLb0EEEEDaSS_ST_EUlSS_E_NS1_11comp_targetILNS1_3genE9ELNS1_11target_archE1100ELNS1_3gpuE3ELNS1_3repE0EEENS1_30default_config_static_selectorELNS0_4arch9wavefront6targetE1EEEvT1_,"axG",@progbits,_ZN7rocprim17ROCPRIM_400000_NS6detail17trampoline_kernelINS0_14default_configENS1_20scan_config_selectorIiEEZZNS1_9scan_implILNS1_25lookback_scan_determinismE0ELb0ELb0ES3_N6thrust23THRUST_200600_302600_NS6detail15normal_iteratorINS9_10device_ptrIiEEEENS9_16discard_iteratorINS9_11use_defaultEEEi11max_functorIiEiEEDaPvRmT3_T4_T5_mT6_P12ihipStream_tbENKUlT_T0_E_clISt17integral_constantIbLb1EESW_IbLb0EEEEDaSS_ST_EUlSS_E_NS1_11comp_targetILNS1_3genE9ELNS1_11target_archE1100ELNS1_3gpuE3ELNS1_3repE0EEENS1_30default_config_static_selectorELNS0_4arch9wavefront6targetE1EEEvT1_,comdat
	.protected	_ZN7rocprim17ROCPRIM_400000_NS6detail17trampoline_kernelINS0_14default_configENS1_20scan_config_selectorIiEEZZNS1_9scan_implILNS1_25lookback_scan_determinismE0ELb0ELb0ES3_N6thrust23THRUST_200600_302600_NS6detail15normal_iteratorINS9_10device_ptrIiEEEENS9_16discard_iteratorINS9_11use_defaultEEEi11max_functorIiEiEEDaPvRmT3_T4_T5_mT6_P12ihipStream_tbENKUlT_T0_E_clISt17integral_constantIbLb1EESW_IbLb0EEEEDaSS_ST_EUlSS_E_NS1_11comp_targetILNS1_3genE9ELNS1_11target_archE1100ELNS1_3gpuE3ELNS1_3repE0EEENS1_30default_config_static_selectorELNS0_4arch9wavefront6targetE1EEEvT1_ ; -- Begin function _ZN7rocprim17ROCPRIM_400000_NS6detail17trampoline_kernelINS0_14default_configENS1_20scan_config_selectorIiEEZZNS1_9scan_implILNS1_25lookback_scan_determinismE0ELb0ELb0ES3_N6thrust23THRUST_200600_302600_NS6detail15normal_iteratorINS9_10device_ptrIiEEEENS9_16discard_iteratorINS9_11use_defaultEEEi11max_functorIiEiEEDaPvRmT3_T4_T5_mT6_P12ihipStream_tbENKUlT_T0_E_clISt17integral_constantIbLb1EESW_IbLb0EEEEDaSS_ST_EUlSS_E_NS1_11comp_targetILNS1_3genE9ELNS1_11target_archE1100ELNS1_3gpuE3ELNS1_3repE0EEENS1_30default_config_static_selectorELNS0_4arch9wavefront6targetE1EEEvT1_
	.globl	_ZN7rocprim17ROCPRIM_400000_NS6detail17trampoline_kernelINS0_14default_configENS1_20scan_config_selectorIiEEZZNS1_9scan_implILNS1_25lookback_scan_determinismE0ELb0ELb0ES3_N6thrust23THRUST_200600_302600_NS6detail15normal_iteratorINS9_10device_ptrIiEEEENS9_16discard_iteratorINS9_11use_defaultEEEi11max_functorIiEiEEDaPvRmT3_T4_T5_mT6_P12ihipStream_tbENKUlT_T0_E_clISt17integral_constantIbLb1EESW_IbLb0EEEEDaSS_ST_EUlSS_E_NS1_11comp_targetILNS1_3genE9ELNS1_11target_archE1100ELNS1_3gpuE3ELNS1_3repE0EEENS1_30default_config_static_selectorELNS0_4arch9wavefront6targetE1EEEvT1_
	.p2align	8
	.type	_ZN7rocprim17ROCPRIM_400000_NS6detail17trampoline_kernelINS0_14default_configENS1_20scan_config_selectorIiEEZZNS1_9scan_implILNS1_25lookback_scan_determinismE0ELb0ELb0ES3_N6thrust23THRUST_200600_302600_NS6detail15normal_iteratorINS9_10device_ptrIiEEEENS9_16discard_iteratorINS9_11use_defaultEEEi11max_functorIiEiEEDaPvRmT3_T4_T5_mT6_P12ihipStream_tbENKUlT_T0_E_clISt17integral_constantIbLb1EESW_IbLb0EEEEDaSS_ST_EUlSS_E_NS1_11comp_targetILNS1_3genE9ELNS1_11target_archE1100ELNS1_3gpuE3ELNS1_3repE0EEENS1_30default_config_static_selectorELNS0_4arch9wavefront6targetE1EEEvT1_,@function
_ZN7rocprim17ROCPRIM_400000_NS6detail17trampoline_kernelINS0_14default_configENS1_20scan_config_selectorIiEEZZNS1_9scan_implILNS1_25lookback_scan_determinismE0ELb0ELb0ES3_N6thrust23THRUST_200600_302600_NS6detail15normal_iteratorINS9_10device_ptrIiEEEENS9_16discard_iteratorINS9_11use_defaultEEEi11max_functorIiEiEEDaPvRmT3_T4_T5_mT6_P12ihipStream_tbENKUlT_T0_E_clISt17integral_constantIbLb1EESW_IbLb0EEEEDaSS_ST_EUlSS_E_NS1_11comp_targetILNS1_3genE9ELNS1_11target_archE1100ELNS1_3gpuE3ELNS1_3repE0EEENS1_30default_config_static_selectorELNS0_4arch9wavefront6targetE1EEEvT1_: ; @_ZN7rocprim17ROCPRIM_400000_NS6detail17trampoline_kernelINS0_14default_configENS1_20scan_config_selectorIiEEZZNS1_9scan_implILNS1_25lookback_scan_determinismE0ELb0ELb0ES3_N6thrust23THRUST_200600_302600_NS6detail15normal_iteratorINS9_10device_ptrIiEEEENS9_16discard_iteratorINS9_11use_defaultEEEi11max_functorIiEiEEDaPvRmT3_T4_T5_mT6_P12ihipStream_tbENKUlT_T0_E_clISt17integral_constantIbLb1EESW_IbLb0EEEEDaSS_ST_EUlSS_E_NS1_11comp_targetILNS1_3genE9ELNS1_11target_archE1100ELNS1_3gpuE3ELNS1_3repE0EEENS1_30default_config_static_selectorELNS0_4arch9wavefront6targetE1EEEvT1_
; %bb.0:
	.section	.rodata,"a",@progbits
	.p2align	6, 0x0
	.amdhsa_kernel _ZN7rocprim17ROCPRIM_400000_NS6detail17trampoline_kernelINS0_14default_configENS1_20scan_config_selectorIiEEZZNS1_9scan_implILNS1_25lookback_scan_determinismE0ELb0ELb0ES3_N6thrust23THRUST_200600_302600_NS6detail15normal_iteratorINS9_10device_ptrIiEEEENS9_16discard_iteratorINS9_11use_defaultEEEi11max_functorIiEiEEDaPvRmT3_T4_T5_mT6_P12ihipStream_tbENKUlT_T0_E_clISt17integral_constantIbLb1EESW_IbLb0EEEEDaSS_ST_EUlSS_E_NS1_11comp_targetILNS1_3genE9ELNS1_11target_archE1100ELNS1_3gpuE3ELNS1_3repE0EEENS1_30default_config_static_selectorELNS0_4arch9wavefront6targetE1EEEvT1_
		.amdhsa_group_segment_fixed_size 0
		.amdhsa_private_segment_fixed_size 0
		.amdhsa_kernarg_size 104
		.amdhsa_user_sgpr_count 6
		.amdhsa_user_sgpr_private_segment_buffer 1
		.amdhsa_user_sgpr_dispatch_ptr 0
		.amdhsa_user_sgpr_queue_ptr 0
		.amdhsa_user_sgpr_kernarg_segment_ptr 1
		.amdhsa_user_sgpr_dispatch_id 0
		.amdhsa_user_sgpr_flat_scratch_init 0
		.amdhsa_user_sgpr_kernarg_preload_length 0
		.amdhsa_user_sgpr_kernarg_preload_offset 0
		.amdhsa_user_sgpr_private_segment_size 0
		.amdhsa_uses_dynamic_stack 0
		.amdhsa_system_sgpr_private_segment_wavefront_offset 0
		.amdhsa_system_sgpr_workgroup_id_x 1
		.amdhsa_system_sgpr_workgroup_id_y 0
		.amdhsa_system_sgpr_workgroup_id_z 0
		.amdhsa_system_sgpr_workgroup_info 0
		.amdhsa_system_vgpr_workitem_id 0
		.amdhsa_next_free_vgpr 1
		.amdhsa_next_free_sgpr 0
		.amdhsa_accum_offset 4
		.amdhsa_reserve_vcc 0
		.amdhsa_reserve_flat_scratch 0
		.amdhsa_float_round_mode_32 0
		.amdhsa_float_round_mode_16_64 0
		.amdhsa_float_denorm_mode_32 3
		.amdhsa_float_denorm_mode_16_64 3
		.amdhsa_dx10_clamp 1
		.amdhsa_ieee_mode 1
		.amdhsa_fp16_overflow 0
		.amdhsa_tg_split 0
		.amdhsa_exception_fp_ieee_invalid_op 0
		.amdhsa_exception_fp_denorm_src 0
		.amdhsa_exception_fp_ieee_div_zero 0
		.amdhsa_exception_fp_ieee_overflow 0
		.amdhsa_exception_fp_ieee_underflow 0
		.amdhsa_exception_fp_ieee_inexact 0
		.amdhsa_exception_int_div_zero 0
	.end_amdhsa_kernel
	.section	.text._ZN7rocprim17ROCPRIM_400000_NS6detail17trampoline_kernelINS0_14default_configENS1_20scan_config_selectorIiEEZZNS1_9scan_implILNS1_25lookback_scan_determinismE0ELb0ELb0ES3_N6thrust23THRUST_200600_302600_NS6detail15normal_iteratorINS9_10device_ptrIiEEEENS9_16discard_iteratorINS9_11use_defaultEEEi11max_functorIiEiEEDaPvRmT3_T4_T5_mT6_P12ihipStream_tbENKUlT_T0_E_clISt17integral_constantIbLb1EESW_IbLb0EEEEDaSS_ST_EUlSS_E_NS1_11comp_targetILNS1_3genE9ELNS1_11target_archE1100ELNS1_3gpuE3ELNS1_3repE0EEENS1_30default_config_static_selectorELNS0_4arch9wavefront6targetE1EEEvT1_,"axG",@progbits,_ZN7rocprim17ROCPRIM_400000_NS6detail17trampoline_kernelINS0_14default_configENS1_20scan_config_selectorIiEEZZNS1_9scan_implILNS1_25lookback_scan_determinismE0ELb0ELb0ES3_N6thrust23THRUST_200600_302600_NS6detail15normal_iteratorINS9_10device_ptrIiEEEENS9_16discard_iteratorINS9_11use_defaultEEEi11max_functorIiEiEEDaPvRmT3_T4_T5_mT6_P12ihipStream_tbENKUlT_T0_E_clISt17integral_constantIbLb1EESW_IbLb0EEEEDaSS_ST_EUlSS_E_NS1_11comp_targetILNS1_3genE9ELNS1_11target_archE1100ELNS1_3gpuE3ELNS1_3repE0EEENS1_30default_config_static_selectorELNS0_4arch9wavefront6targetE1EEEvT1_,comdat
.Lfunc_end3897:
	.size	_ZN7rocprim17ROCPRIM_400000_NS6detail17trampoline_kernelINS0_14default_configENS1_20scan_config_selectorIiEEZZNS1_9scan_implILNS1_25lookback_scan_determinismE0ELb0ELb0ES3_N6thrust23THRUST_200600_302600_NS6detail15normal_iteratorINS9_10device_ptrIiEEEENS9_16discard_iteratorINS9_11use_defaultEEEi11max_functorIiEiEEDaPvRmT3_T4_T5_mT6_P12ihipStream_tbENKUlT_T0_E_clISt17integral_constantIbLb1EESW_IbLb0EEEEDaSS_ST_EUlSS_E_NS1_11comp_targetILNS1_3genE9ELNS1_11target_archE1100ELNS1_3gpuE3ELNS1_3repE0EEENS1_30default_config_static_selectorELNS0_4arch9wavefront6targetE1EEEvT1_, .Lfunc_end3897-_ZN7rocprim17ROCPRIM_400000_NS6detail17trampoline_kernelINS0_14default_configENS1_20scan_config_selectorIiEEZZNS1_9scan_implILNS1_25lookback_scan_determinismE0ELb0ELb0ES3_N6thrust23THRUST_200600_302600_NS6detail15normal_iteratorINS9_10device_ptrIiEEEENS9_16discard_iteratorINS9_11use_defaultEEEi11max_functorIiEiEEDaPvRmT3_T4_T5_mT6_P12ihipStream_tbENKUlT_T0_E_clISt17integral_constantIbLb1EESW_IbLb0EEEEDaSS_ST_EUlSS_E_NS1_11comp_targetILNS1_3genE9ELNS1_11target_archE1100ELNS1_3gpuE3ELNS1_3repE0EEENS1_30default_config_static_selectorELNS0_4arch9wavefront6targetE1EEEvT1_
                                        ; -- End function
	.section	.AMDGPU.csdata,"",@progbits
; Kernel info:
; codeLenInByte = 0
; NumSgprs: 4
; NumVgprs: 0
; NumAgprs: 0
; TotalNumVgprs: 0
; ScratchSize: 0
; MemoryBound: 0
; FloatMode: 240
; IeeeMode: 1
; LDSByteSize: 0 bytes/workgroup (compile time only)
; SGPRBlocks: 0
; VGPRBlocks: 0
; NumSGPRsForWavesPerEU: 4
; NumVGPRsForWavesPerEU: 1
; AccumOffset: 4
; Occupancy: 8
; WaveLimiterHint : 0
; COMPUTE_PGM_RSRC2:SCRATCH_EN: 0
; COMPUTE_PGM_RSRC2:USER_SGPR: 6
; COMPUTE_PGM_RSRC2:TRAP_HANDLER: 0
; COMPUTE_PGM_RSRC2:TGID_X_EN: 1
; COMPUTE_PGM_RSRC2:TGID_Y_EN: 0
; COMPUTE_PGM_RSRC2:TGID_Z_EN: 0
; COMPUTE_PGM_RSRC2:TIDIG_COMP_CNT: 0
; COMPUTE_PGM_RSRC3_GFX90A:ACCUM_OFFSET: 0
; COMPUTE_PGM_RSRC3_GFX90A:TG_SPLIT: 0
	.section	.text._ZN7rocprim17ROCPRIM_400000_NS6detail17trampoline_kernelINS0_14default_configENS1_20scan_config_selectorIiEEZZNS1_9scan_implILNS1_25lookback_scan_determinismE0ELb0ELb0ES3_N6thrust23THRUST_200600_302600_NS6detail15normal_iteratorINS9_10device_ptrIiEEEENS9_16discard_iteratorINS9_11use_defaultEEEi11max_functorIiEiEEDaPvRmT3_T4_T5_mT6_P12ihipStream_tbENKUlT_T0_E_clISt17integral_constantIbLb1EESW_IbLb0EEEEDaSS_ST_EUlSS_E_NS1_11comp_targetILNS1_3genE8ELNS1_11target_archE1030ELNS1_3gpuE2ELNS1_3repE0EEENS1_30default_config_static_selectorELNS0_4arch9wavefront6targetE1EEEvT1_,"axG",@progbits,_ZN7rocprim17ROCPRIM_400000_NS6detail17trampoline_kernelINS0_14default_configENS1_20scan_config_selectorIiEEZZNS1_9scan_implILNS1_25lookback_scan_determinismE0ELb0ELb0ES3_N6thrust23THRUST_200600_302600_NS6detail15normal_iteratorINS9_10device_ptrIiEEEENS9_16discard_iteratorINS9_11use_defaultEEEi11max_functorIiEiEEDaPvRmT3_T4_T5_mT6_P12ihipStream_tbENKUlT_T0_E_clISt17integral_constantIbLb1EESW_IbLb0EEEEDaSS_ST_EUlSS_E_NS1_11comp_targetILNS1_3genE8ELNS1_11target_archE1030ELNS1_3gpuE2ELNS1_3repE0EEENS1_30default_config_static_selectorELNS0_4arch9wavefront6targetE1EEEvT1_,comdat
	.protected	_ZN7rocprim17ROCPRIM_400000_NS6detail17trampoline_kernelINS0_14default_configENS1_20scan_config_selectorIiEEZZNS1_9scan_implILNS1_25lookback_scan_determinismE0ELb0ELb0ES3_N6thrust23THRUST_200600_302600_NS6detail15normal_iteratorINS9_10device_ptrIiEEEENS9_16discard_iteratorINS9_11use_defaultEEEi11max_functorIiEiEEDaPvRmT3_T4_T5_mT6_P12ihipStream_tbENKUlT_T0_E_clISt17integral_constantIbLb1EESW_IbLb0EEEEDaSS_ST_EUlSS_E_NS1_11comp_targetILNS1_3genE8ELNS1_11target_archE1030ELNS1_3gpuE2ELNS1_3repE0EEENS1_30default_config_static_selectorELNS0_4arch9wavefront6targetE1EEEvT1_ ; -- Begin function _ZN7rocprim17ROCPRIM_400000_NS6detail17trampoline_kernelINS0_14default_configENS1_20scan_config_selectorIiEEZZNS1_9scan_implILNS1_25lookback_scan_determinismE0ELb0ELb0ES3_N6thrust23THRUST_200600_302600_NS6detail15normal_iteratorINS9_10device_ptrIiEEEENS9_16discard_iteratorINS9_11use_defaultEEEi11max_functorIiEiEEDaPvRmT3_T4_T5_mT6_P12ihipStream_tbENKUlT_T0_E_clISt17integral_constantIbLb1EESW_IbLb0EEEEDaSS_ST_EUlSS_E_NS1_11comp_targetILNS1_3genE8ELNS1_11target_archE1030ELNS1_3gpuE2ELNS1_3repE0EEENS1_30default_config_static_selectorELNS0_4arch9wavefront6targetE1EEEvT1_
	.globl	_ZN7rocprim17ROCPRIM_400000_NS6detail17trampoline_kernelINS0_14default_configENS1_20scan_config_selectorIiEEZZNS1_9scan_implILNS1_25lookback_scan_determinismE0ELb0ELb0ES3_N6thrust23THRUST_200600_302600_NS6detail15normal_iteratorINS9_10device_ptrIiEEEENS9_16discard_iteratorINS9_11use_defaultEEEi11max_functorIiEiEEDaPvRmT3_T4_T5_mT6_P12ihipStream_tbENKUlT_T0_E_clISt17integral_constantIbLb1EESW_IbLb0EEEEDaSS_ST_EUlSS_E_NS1_11comp_targetILNS1_3genE8ELNS1_11target_archE1030ELNS1_3gpuE2ELNS1_3repE0EEENS1_30default_config_static_selectorELNS0_4arch9wavefront6targetE1EEEvT1_
	.p2align	8
	.type	_ZN7rocprim17ROCPRIM_400000_NS6detail17trampoline_kernelINS0_14default_configENS1_20scan_config_selectorIiEEZZNS1_9scan_implILNS1_25lookback_scan_determinismE0ELb0ELb0ES3_N6thrust23THRUST_200600_302600_NS6detail15normal_iteratorINS9_10device_ptrIiEEEENS9_16discard_iteratorINS9_11use_defaultEEEi11max_functorIiEiEEDaPvRmT3_T4_T5_mT6_P12ihipStream_tbENKUlT_T0_E_clISt17integral_constantIbLb1EESW_IbLb0EEEEDaSS_ST_EUlSS_E_NS1_11comp_targetILNS1_3genE8ELNS1_11target_archE1030ELNS1_3gpuE2ELNS1_3repE0EEENS1_30default_config_static_selectorELNS0_4arch9wavefront6targetE1EEEvT1_,@function
_ZN7rocprim17ROCPRIM_400000_NS6detail17trampoline_kernelINS0_14default_configENS1_20scan_config_selectorIiEEZZNS1_9scan_implILNS1_25lookback_scan_determinismE0ELb0ELb0ES3_N6thrust23THRUST_200600_302600_NS6detail15normal_iteratorINS9_10device_ptrIiEEEENS9_16discard_iteratorINS9_11use_defaultEEEi11max_functorIiEiEEDaPvRmT3_T4_T5_mT6_P12ihipStream_tbENKUlT_T0_E_clISt17integral_constantIbLb1EESW_IbLb0EEEEDaSS_ST_EUlSS_E_NS1_11comp_targetILNS1_3genE8ELNS1_11target_archE1030ELNS1_3gpuE2ELNS1_3repE0EEENS1_30default_config_static_selectorELNS0_4arch9wavefront6targetE1EEEvT1_: ; @_ZN7rocprim17ROCPRIM_400000_NS6detail17trampoline_kernelINS0_14default_configENS1_20scan_config_selectorIiEEZZNS1_9scan_implILNS1_25lookback_scan_determinismE0ELb0ELb0ES3_N6thrust23THRUST_200600_302600_NS6detail15normal_iteratorINS9_10device_ptrIiEEEENS9_16discard_iteratorINS9_11use_defaultEEEi11max_functorIiEiEEDaPvRmT3_T4_T5_mT6_P12ihipStream_tbENKUlT_T0_E_clISt17integral_constantIbLb1EESW_IbLb0EEEEDaSS_ST_EUlSS_E_NS1_11comp_targetILNS1_3genE8ELNS1_11target_archE1030ELNS1_3gpuE2ELNS1_3repE0EEENS1_30default_config_static_selectorELNS0_4arch9wavefront6targetE1EEEvT1_
; %bb.0:
	.section	.rodata,"a",@progbits
	.p2align	6, 0x0
	.amdhsa_kernel _ZN7rocprim17ROCPRIM_400000_NS6detail17trampoline_kernelINS0_14default_configENS1_20scan_config_selectorIiEEZZNS1_9scan_implILNS1_25lookback_scan_determinismE0ELb0ELb0ES3_N6thrust23THRUST_200600_302600_NS6detail15normal_iteratorINS9_10device_ptrIiEEEENS9_16discard_iteratorINS9_11use_defaultEEEi11max_functorIiEiEEDaPvRmT3_T4_T5_mT6_P12ihipStream_tbENKUlT_T0_E_clISt17integral_constantIbLb1EESW_IbLb0EEEEDaSS_ST_EUlSS_E_NS1_11comp_targetILNS1_3genE8ELNS1_11target_archE1030ELNS1_3gpuE2ELNS1_3repE0EEENS1_30default_config_static_selectorELNS0_4arch9wavefront6targetE1EEEvT1_
		.amdhsa_group_segment_fixed_size 0
		.amdhsa_private_segment_fixed_size 0
		.amdhsa_kernarg_size 104
		.amdhsa_user_sgpr_count 6
		.amdhsa_user_sgpr_private_segment_buffer 1
		.amdhsa_user_sgpr_dispatch_ptr 0
		.amdhsa_user_sgpr_queue_ptr 0
		.amdhsa_user_sgpr_kernarg_segment_ptr 1
		.amdhsa_user_sgpr_dispatch_id 0
		.amdhsa_user_sgpr_flat_scratch_init 0
		.amdhsa_user_sgpr_kernarg_preload_length 0
		.amdhsa_user_sgpr_kernarg_preload_offset 0
		.amdhsa_user_sgpr_private_segment_size 0
		.amdhsa_uses_dynamic_stack 0
		.amdhsa_system_sgpr_private_segment_wavefront_offset 0
		.amdhsa_system_sgpr_workgroup_id_x 1
		.amdhsa_system_sgpr_workgroup_id_y 0
		.amdhsa_system_sgpr_workgroup_id_z 0
		.amdhsa_system_sgpr_workgroup_info 0
		.amdhsa_system_vgpr_workitem_id 0
		.amdhsa_next_free_vgpr 1
		.amdhsa_next_free_sgpr 0
		.amdhsa_accum_offset 4
		.amdhsa_reserve_vcc 0
		.amdhsa_reserve_flat_scratch 0
		.amdhsa_float_round_mode_32 0
		.amdhsa_float_round_mode_16_64 0
		.amdhsa_float_denorm_mode_32 3
		.amdhsa_float_denorm_mode_16_64 3
		.amdhsa_dx10_clamp 1
		.amdhsa_ieee_mode 1
		.amdhsa_fp16_overflow 0
		.amdhsa_tg_split 0
		.amdhsa_exception_fp_ieee_invalid_op 0
		.amdhsa_exception_fp_denorm_src 0
		.amdhsa_exception_fp_ieee_div_zero 0
		.amdhsa_exception_fp_ieee_overflow 0
		.amdhsa_exception_fp_ieee_underflow 0
		.amdhsa_exception_fp_ieee_inexact 0
		.amdhsa_exception_int_div_zero 0
	.end_amdhsa_kernel
	.section	.text._ZN7rocprim17ROCPRIM_400000_NS6detail17trampoline_kernelINS0_14default_configENS1_20scan_config_selectorIiEEZZNS1_9scan_implILNS1_25lookback_scan_determinismE0ELb0ELb0ES3_N6thrust23THRUST_200600_302600_NS6detail15normal_iteratorINS9_10device_ptrIiEEEENS9_16discard_iteratorINS9_11use_defaultEEEi11max_functorIiEiEEDaPvRmT3_T4_T5_mT6_P12ihipStream_tbENKUlT_T0_E_clISt17integral_constantIbLb1EESW_IbLb0EEEEDaSS_ST_EUlSS_E_NS1_11comp_targetILNS1_3genE8ELNS1_11target_archE1030ELNS1_3gpuE2ELNS1_3repE0EEENS1_30default_config_static_selectorELNS0_4arch9wavefront6targetE1EEEvT1_,"axG",@progbits,_ZN7rocprim17ROCPRIM_400000_NS6detail17trampoline_kernelINS0_14default_configENS1_20scan_config_selectorIiEEZZNS1_9scan_implILNS1_25lookback_scan_determinismE0ELb0ELb0ES3_N6thrust23THRUST_200600_302600_NS6detail15normal_iteratorINS9_10device_ptrIiEEEENS9_16discard_iteratorINS9_11use_defaultEEEi11max_functorIiEiEEDaPvRmT3_T4_T5_mT6_P12ihipStream_tbENKUlT_T0_E_clISt17integral_constantIbLb1EESW_IbLb0EEEEDaSS_ST_EUlSS_E_NS1_11comp_targetILNS1_3genE8ELNS1_11target_archE1030ELNS1_3gpuE2ELNS1_3repE0EEENS1_30default_config_static_selectorELNS0_4arch9wavefront6targetE1EEEvT1_,comdat
.Lfunc_end3898:
	.size	_ZN7rocprim17ROCPRIM_400000_NS6detail17trampoline_kernelINS0_14default_configENS1_20scan_config_selectorIiEEZZNS1_9scan_implILNS1_25lookback_scan_determinismE0ELb0ELb0ES3_N6thrust23THRUST_200600_302600_NS6detail15normal_iteratorINS9_10device_ptrIiEEEENS9_16discard_iteratorINS9_11use_defaultEEEi11max_functorIiEiEEDaPvRmT3_T4_T5_mT6_P12ihipStream_tbENKUlT_T0_E_clISt17integral_constantIbLb1EESW_IbLb0EEEEDaSS_ST_EUlSS_E_NS1_11comp_targetILNS1_3genE8ELNS1_11target_archE1030ELNS1_3gpuE2ELNS1_3repE0EEENS1_30default_config_static_selectorELNS0_4arch9wavefront6targetE1EEEvT1_, .Lfunc_end3898-_ZN7rocprim17ROCPRIM_400000_NS6detail17trampoline_kernelINS0_14default_configENS1_20scan_config_selectorIiEEZZNS1_9scan_implILNS1_25lookback_scan_determinismE0ELb0ELb0ES3_N6thrust23THRUST_200600_302600_NS6detail15normal_iteratorINS9_10device_ptrIiEEEENS9_16discard_iteratorINS9_11use_defaultEEEi11max_functorIiEiEEDaPvRmT3_T4_T5_mT6_P12ihipStream_tbENKUlT_T0_E_clISt17integral_constantIbLb1EESW_IbLb0EEEEDaSS_ST_EUlSS_E_NS1_11comp_targetILNS1_3genE8ELNS1_11target_archE1030ELNS1_3gpuE2ELNS1_3repE0EEENS1_30default_config_static_selectorELNS0_4arch9wavefront6targetE1EEEvT1_
                                        ; -- End function
	.section	.AMDGPU.csdata,"",@progbits
; Kernel info:
; codeLenInByte = 0
; NumSgprs: 4
; NumVgprs: 0
; NumAgprs: 0
; TotalNumVgprs: 0
; ScratchSize: 0
; MemoryBound: 0
; FloatMode: 240
; IeeeMode: 1
; LDSByteSize: 0 bytes/workgroup (compile time only)
; SGPRBlocks: 0
; VGPRBlocks: 0
; NumSGPRsForWavesPerEU: 4
; NumVGPRsForWavesPerEU: 1
; AccumOffset: 4
; Occupancy: 8
; WaveLimiterHint : 0
; COMPUTE_PGM_RSRC2:SCRATCH_EN: 0
; COMPUTE_PGM_RSRC2:USER_SGPR: 6
; COMPUTE_PGM_RSRC2:TRAP_HANDLER: 0
; COMPUTE_PGM_RSRC2:TGID_X_EN: 1
; COMPUTE_PGM_RSRC2:TGID_Y_EN: 0
; COMPUTE_PGM_RSRC2:TGID_Z_EN: 0
; COMPUTE_PGM_RSRC2:TIDIG_COMP_CNT: 0
; COMPUTE_PGM_RSRC3_GFX90A:ACCUM_OFFSET: 0
; COMPUTE_PGM_RSRC3_GFX90A:TG_SPLIT: 0
	.section	.text._ZN7rocprim17ROCPRIM_400000_NS6detail17trampoline_kernelINS0_14default_configENS1_20scan_config_selectorIiEEZZNS1_9scan_implILNS1_25lookback_scan_determinismE0ELb0ELb0ES3_N6thrust23THRUST_200600_302600_NS6detail15normal_iteratorINS9_10device_ptrIiEEEENS9_16discard_iteratorINS9_11use_defaultEEEi11max_functorIiEiEEDaPvRmT3_T4_T5_mT6_P12ihipStream_tbENKUlT_T0_E_clISt17integral_constantIbLb1EESW_IbLb0EEEEDaSS_ST_EUlSS_E0_NS1_11comp_targetILNS1_3genE0ELNS1_11target_archE4294967295ELNS1_3gpuE0ELNS1_3repE0EEENS1_30default_config_static_selectorELNS0_4arch9wavefront6targetE1EEEvT1_,"axG",@progbits,_ZN7rocprim17ROCPRIM_400000_NS6detail17trampoline_kernelINS0_14default_configENS1_20scan_config_selectorIiEEZZNS1_9scan_implILNS1_25lookback_scan_determinismE0ELb0ELb0ES3_N6thrust23THRUST_200600_302600_NS6detail15normal_iteratorINS9_10device_ptrIiEEEENS9_16discard_iteratorINS9_11use_defaultEEEi11max_functorIiEiEEDaPvRmT3_T4_T5_mT6_P12ihipStream_tbENKUlT_T0_E_clISt17integral_constantIbLb1EESW_IbLb0EEEEDaSS_ST_EUlSS_E0_NS1_11comp_targetILNS1_3genE0ELNS1_11target_archE4294967295ELNS1_3gpuE0ELNS1_3repE0EEENS1_30default_config_static_selectorELNS0_4arch9wavefront6targetE1EEEvT1_,comdat
	.protected	_ZN7rocprim17ROCPRIM_400000_NS6detail17trampoline_kernelINS0_14default_configENS1_20scan_config_selectorIiEEZZNS1_9scan_implILNS1_25lookback_scan_determinismE0ELb0ELb0ES3_N6thrust23THRUST_200600_302600_NS6detail15normal_iteratorINS9_10device_ptrIiEEEENS9_16discard_iteratorINS9_11use_defaultEEEi11max_functorIiEiEEDaPvRmT3_T4_T5_mT6_P12ihipStream_tbENKUlT_T0_E_clISt17integral_constantIbLb1EESW_IbLb0EEEEDaSS_ST_EUlSS_E0_NS1_11comp_targetILNS1_3genE0ELNS1_11target_archE4294967295ELNS1_3gpuE0ELNS1_3repE0EEENS1_30default_config_static_selectorELNS0_4arch9wavefront6targetE1EEEvT1_ ; -- Begin function _ZN7rocprim17ROCPRIM_400000_NS6detail17trampoline_kernelINS0_14default_configENS1_20scan_config_selectorIiEEZZNS1_9scan_implILNS1_25lookback_scan_determinismE0ELb0ELb0ES3_N6thrust23THRUST_200600_302600_NS6detail15normal_iteratorINS9_10device_ptrIiEEEENS9_16discard_iteratorINS9_11use_defaultEEEi11max_functorIiEiEEDaPvRmT3_T4_T5_mT6_P12ihipStream_tbENKUlT_T0_E_clISt17integral_constantIbLb1EESW_IbLb0EEEEDaSS_ST_EUlSS_E0_NS1_11comp_targetILNS1_3genE0ELNS1_11target_archE4294967295ELNS1_3gpuE0ELNS1_3repE0EEENS1_30default_config_static_selectorELNS0_4arch9wavefront6targetE1EEEvT1_
	.globl	_ZN7rocprim17ROCPRIM_400000_NS6detail17trampoline_kernelINS0_14default_configENS1_20scan_config_selectorIiEEZZNS1_9scan_implILNS1_25lookback_scan_determinismE0ELb0ELb0ES3_N6thrust23THRUST_200600_302600_NS6detail15normal_iteratorINS9_10device_ptrIiEEEENS9_16discard_iteratorINS9_11use_defaultEEEi11max_functorIiEiEEDaPvRmT3_T4_T5_mT6_P12ihipStream_tbENKUlT_T0_E_clISt17integral_constantIbLb1EESW_IbLb0EEEEDaSS_ST_EUlSS_E0_NS1_11comp_targetILNS1_3genE0ELNS1_11target_archE4294967295ELNS1_3gpuE0ELNS1_3repE0EEENS1_30default_config_static_selectorELNS0_4arch9wavefront6targetE1EEEvT1_
	.p2align	8
	.type	_ZN7rocprim17ROCPRIM_400000_NS6detail17trampoline_kernelINS0_14default_configENS1_20scan_config_selectorIiEEZZNS1_9scan_implILNS1_25lookback_scan_determinismE0ELb0ELb0ES3_N6thrust23THRUST_200600_302600_NS6detail15normal_iteratorINS9_10device_ptrIiEEEENS9_16discard_iteratorINS9_11use_defaultEEEi11max_functorIiEiEEDaPvRmT3_T4_T5_mT6_P12ihipStream_tbENKUlT_T0_E_clISt17integral_constantIbLb1EESW_IbLb0EEEEDaSS_ST_EUlSS_E0_NS1_11comp_targetILNS1_3genE0ELNS1_11target_archE4294967295ELNS1_3gpuE0ELNS1_3repE0EEENS1_30default_config_static_selectorELNS0_4arch9wavefront6targetE1EEEvT1_,@function
_ZN7rocprim17ROCPRIM_400000_NS6detail17trampoline_kernelINS0_14default_configENS1_20scan_config_selectorIiEEZZNS1_9scan_implILNS1_25lookback_scan_determinismE0ELb0ELb0ES3_N6thrust23THRUST_200600_302600_NS6detail15normal_iteratorINS9_10device_ptrIiEEEENS9_16discard_iteratorINS9_11use_defaultEEEi11max_functorIiEiEEDaPvRmT3_T4_T5_mT6_P12ihipStream_tbENKUlT_T0_E_clISt17integral_constantIbLb1EESW_IbLb0EEEEDaSS_ST_EUlSS_E0_NS1_11comp_targetILNS1_3genE0ELNS1_11target_archE4294967295ELNS1_3gpuE0ELNS1_3repE0EEENS1_30default_config_static_selectorELNS0_4arch9wavefront6targetE1EEEvT1_: ; @_ZN7rocprim17ROCPRIM_400000_NS6detail17trampoline_kernelINS0_14default_configENS1_20scan_config_selectorIiEEZZNS1_9scan_implILNS1_25lookback_scan_determinismE0ELb0ELb0ES3_N6thrust23THRUST_200600_302600_NS6detail15normal_iteratorINS9_10device_ptrIiEEEENS9_16discard_iteratorINS9_11use_defaultEEEi11max_functorIiEiEEDaPvRmT3_T4_T5_mT6_P12ihipStream_tbENKUlT_T0_E_clISt17integral_constantIbLb1EESW_IbLb0EEEEDaSS_ST_EUlSS_E0_NS1_11comp_targetILNS1_3genE0ELNS1_11target_archE4294967295ELNS1_3gpuE0ELNS1_3repE0EEENS1_30default_config_static_selectorELNS0_4arch9wavefront6targetE1EEEvT1_
; %bb.0:
	.section	.rodata,"a",@progbits
	.p2align	6, 0x0
	.amdhsa_kernel _ZN7rocprim17ROCPRIM_400000_NS6detail17trampoline_kernelINS0_14default_configENS1_20scan_config_selectorIiEEZZNS1_9scan_implILNS1_25lookback_scan_determinismE0ELb0ELb0ES3_N6thrust23THRUST_200600_302600_NS6detail15normal_iteratorINS9_10device_ptrIiEEEENS9_16discard_iteratorINS9_11use_defaultEEEi11max_functorIiEiEEDaPvRmT3_T4_T5_mT6_P12ihipStream_tbENKUlT_T0_E_clISt17integral_constantIbLb1EESW_IbLb0EEEEDaSS_ST_EUlSS_E0_NS1_11comp_targetILNS1_3genE0ELNS1_11target_archE4294967295ELNS1_3gpuE0ELNS1_3repE0EEENS1_30default_config_static_selectorELNS0_4arch9wavefront6targetE1EEEvT1_
		.amdhsa_group_segment_fixed_size 0
		.amdhsa_private_segment_fixed_size 0
		.amdhsa_kernarg_size 40
		.amdhsa_user_sgpr_count 6
		.amdhsa_user_sgpr_private_segment_buffer 1
		.amdhsa_user_sgpr_dispatch_ptr 0
		.amdhsa_user_sgpr_queue_ptr 0
		.amdhsa_user_sgpr_kernarg_segment_ptr 1
		.amdhsa_user_sgpr_dispatch_id 0
		.amdhsa_user_sgpr_flat_scratch_init 0
		.amdhsa_user_sgpr_kernarg_preload_length 0
		.amdhsa_user_sgpr_kernarg_preload_offset 0
		.amdhsa_user_sgpr_private_segment_size 0
		.amdhsa_uses_dynamic_stack 0
		.amdhsa_system_sgpr_private_segment_wavefront_offset 0
		.amdhsa_system_sgpr_workgroup_id_x 1
		.amdhsa_system_sgpr_workgroup_id_y 0
		.amdhsa_system_sgpr_workgroup_id_z 0
		.amdhsa_system_sgpr_workgroup_info 0
		.amdhsa_system_vgpr_workitem_id 0
		.amdhsa_next_free_vgpr 1
		.amdhsa_next_free_sgpr 0
		.amdhsa_accum_offset 4
		.amdhsa_reserve_vcc 0
		.amdhsa_reserve_flat_scratch 0
		.amdhsa_float_round_mode_32 0
		.amdhsa_float_round_mode_16_64 0
		.amdhsa_float_denorm_mode_32 3
		.amdhsa_float_denorm_mode_16_64 3
		.amdhsa_dx10_clamp 1
		.amdhsa_ieee_mode 1
		.amdhsa_fp16_overflow 0
		.amdhsa_tg_split 0
		.amdhsa_exception_fp_ieee_invalid_op 0
		.amdhsa_exception_fp_denorm_src 0
		.amdhsa_exception_fp_ieee_div_zero 0
		.amdhsa_exception_fp_ieee_overflow 0
		.amdhsa_exception_fp_ieee_underflow 0
		.amdhsa_exception_fp_ieee_inexact 0
		.amdhsa_exception_int_div_zero 0
	.end_amdhsa_kernel
	.section	.text._ZN7rocprim17ROCPRIM_400000_NS6detail17trampoline_kernelINS0_14default_configENS1_20scan_config_selectorIiEEZZNS1_9scan_implILNS1_25lookback_scan_determinismE0ELb0ELb0ES3_N6thrust23THRUST_200600_302600_NS6detail15normal_iteratorINS9_10device_ptrIiEEEENS9_16discard_iteratorINS9_11use_defaultEEEi11max_functorIiEiEEDaPvRmT3_T4_T5_mT6_P12ihipStream_tbENKUlT_T0_E_clISt17integral_constantIbLb1EESW_IbLb0EEEEDaSS_ST_EUlSS_E0_NS1_11comp_targetILNS1_3genE0ELNS1_11target_archE4294967295ELNS1_3gpuE0ELNS1_3repE0EEENS1_30default_config_static_selectorELNS0_4arch9wavefront6targetE1EEEvT1_,"axG",@progbits,_ZN7rocprim17ROCPRIM_400000_NS6detail17trampoline_kernelINS0_14default_configENS1_20scan_config_selectorIiEEZZNS1_9scan_implILNS1_25lookback_scan_determinismE0ELb0ELb0ES3_N6thrust23THRUST_200600_302600_NS6detail15normal_iteratorINS9_10device_ptrIiEEEENS9_16discard_iteratorINS9_11use_defaultEEEi11max_functorIiEiEEDaPvRmT3_T4_T5_mT6_P12ihipStream_tbENKUlT_T0_E_clISt17integral_constantIbLb1EESW_IbLb0EEEEDaSS_ST_EUlSS_E0_NS1_11comp_targetILNS1_3genE0ELNS1_11target_archE4294967295ELNS1_3gpuE0ELNS1_3repE0EEENS1_30default_config_static_selectorELNS0_4arch9wavefront6targetE1EEEvT1_,comdat
.Lfunc_end3899:
	.size	_ZN7rocprim17ROCPRIM_400000_NS6detail17trampoline_kernelINS0_14default_configENS1_20scan_config_selectorIiEEZZNS1_9scan_implILNS1_25lookback_scan_determinismE0ELb0ELb0ES3_N6thrust23THRUST_200600_302600_NS6detail15normal_iteratorINS9_10device_ptrIiEEEENS9_16discard_iteratorINS9_11use_defaultEEEi11max_functorIiEiEEDaPvRmT3_T4_T5_mT6_P12ihipStream_tbENKUlT_T0_E_clISt17integral_constantIbLb1EESW_IbLb0EEEEDaSS_ST_EUlSS_E0_NS1_11comp_targetILNS1_3genE0ELNS1_11target_archE4294967295ELNS1_3gpuE0ELNS1_3repE0EEENS1_30default_config_static_selectorELNS0_4arch9wavefront6targetE1EEEvT1_, .Lfunc_end3899-_ZN7rocprim17ROCPRIM_400000_NS6detail17trampoline_kernelINS0_14default_configENS1_20scan_config_selectorIiEEZZNS1_9scan_implILNS1_25lookback_scan_determinismE0ELb0ELb0ES3_N6thrust23THRUST_200600_302600_NS6detail15normal_iteratorINS9_10device_ptrIiEEEENS9_16discard_iteratorINS9_11use_defaultEEEi11max_functorIiEiEEDaPvRmT3_T4_T5_mT6_P12ihipStream_tbENKUlT_T0_E_clISt17integral_constantIbLb1EESW_IbLb0EEEEDaSS_ST_EUlSS_E0_NS1_11comp_targetILNS1_3genE0ELNS1_11target_archE4294967295ELNS1_3gpuE0ELNS1_3repE0EEENS1_30default_config_static_selectorELNS0_4arch9wavefront6targetE1EEEvT1_
                                        ; -- End function
	.section	.AMDGPU.csdata,"",@progbits
; Kernel info:
; codeLenInByte = 0
; NumSgprs: 4
; NumVgprs: 0
; NumAgprs: 0
; TotalNumVgprs: 0
; ScratchSize: 0
; MemoryBound: 0
; FloatMode: 240
; IeeeMode: 1
; LDSByteSize: 0 bytes/workgroup (compile time only)
; SGPRBlocks: 0
; VGPRBlocks: 0
; NumSGPRsForWavesPerEU: 4
; NumVGPRsForWavesPerEU: 1
; AccumOffset: 4
; Occupancy: 8
; WaveLimiterHint : 0
; COMPUTE_PGM_RSRC2:SCRATCH_EN: 0
; COMPUTE_PGM_RSRC2:USER_SGPR: 6
; COMPUTE_PGM_RSRC2:TRAP_HANDLER: 0
; COMPUTE_PGM_RSRC2:TGID_X_EN: 1
; COMPUTE_PGM_RSRC2:TGID_Y_EN: 0
; COMPUTE_PGM_RSRC2:TGID_Z_EN: 0
; COMPUTE_PGM_RSRC2:TIDIG_COMP_CNT: 0
; COMPUTE_PGM_RSRC3_GFX90A:ACCUM_OFFSET: 0
; COMPUTE_PGM_RSRC3_GFX90A:TG_SPLIT: 0
	.section	.text._ZN7rocprim17ROCPRIM_400000_NS6detail17trampoline_kernelINS0_14default_configENS1_20scan_config_selectorIiEEZZNS1_9scan_implILNS1_25lookback_scan_determinismE0ELb0ELb0ES3_N6thrust23THRUST_200600_302600_NS6detail15normal_iteratorINS9_10device_ptrIiEEEENS9_16discard_iteratorINS9_11use_defaultEEEi11max_functorIiEiEEDaPvRmT3_T4_T5_mT6_P12ihipStream_tbENKUlT_T0_E_clISt17integral_constantIbLb1EESW_IbLb0EEEEDaSS_ST_EUlSS_E0_NS1_11comp_targetILNS1_3genE5ELNS1_11target_archE942ELNS1_3gpuE9ELNS1_3repE0EEENS1_30default_config_static_selectorELNS0_4arch9wavefront6targetE1EEEvT1_,"axG",@progbits,_ZN7rocprim17ROCPRIM_400000_NS6detail17trampoline_kernelINS0_14default_configENS1_20scan_config_selectorIiEEZZNS1_9scan_implILNS1_25lookback_scan_determinismE0ELb0ELb0ES3_N6thrust23THRUST_200600_302600_NS6detail15normal_iteratorINS9_10device_ptrIiEEEENS9_16discard_iteratorINS9_11use_defaultEEEi11max_functorIiEiEEDaPvRmT3_T4_T5_mT6_P12ihipStream_tbENKUlT_T0_E_clISt17integral_constantIbLb1EESW_IbLb0EEEEDaSS_ST_EUlSS_E0_NS1_11comp_targetILNS1_3genE5ELNS1_11target_archE942ELNS1_3gpuE9ELNS1_3repE0EEENS1_30default_config_static_selectorELNS0_4arch9wavefront6targetE1EEEvT1_,comdat
	.protected	_ZN7rocprim17ROCPRIM_400000_NS6detail17trampoline_kernelINS0_14default_configENS1_20scan_config_selectorIiEEZZNS1_9scan_implILNS1_25lookback_scan_determinismE0ELb0ELb0ES3_N6thrust23THRUST_200600_302600_NS6detail15normal_iteratorINS9_10device_ptrIiEEEENS9_16discard_iteratorINS9_11use_defaultEEEi11max_functorIiEiEEDaPvRmT3_T4_T5_mT6_P12ihipStream_tbENKUlT_T0_E_clISt17integral_constantIbLb1EESW_IbLb0EEEEDaSS_ST_EUlSS_E0_NS1_11comp_targetILNS1_3genE5ELNS1_11target_archE942ELNS1_3gpuE9ELNS1_3repE0EEENS1_30default_config_static_selectorELNS0_4arch9wavefront6targetE1EEEvT1_ ; -- Begin function _ZN7rocprim17ROCPRIM_400000_NS6detail17trampoline_kernelINS0_14default_configENS1_20scan_config_selectorIiEEZZNS1_9scan_implILNS1_25lookback_scan_determinismE0ELb0ELb0ES3_N6thrust23THRUST_200600_302600_NS6detail15normal_iteratorINS9_10device_ptrIiEEEENS9_16discard_iteratorINS9_11use_defaultEEEi11max_functorIiEiEEDaPvRmT3_T4_T5_mT6_P12ihipStream_tbENKUlT_T0_E_clISt17integral_constantIbLb1EESW_IbLb0EEEEDaSS_ST_EUlSS_E0_NS1_11comp_targetILNS1_3genE5ELNS1_11target_archE942ELNS1_3gpuE9ELNS1_3repE0EEENS1_30default_config_static_selectorELNS0_4arch9wavefront6targetE1EEEvT1_
	.globl	_ZN7rocprim17ROCPRIM_400000_NS6detail17trampoline_kernelINS0_14default_configENS1_20scan_config_selectorIiEEZZNS1_9scan_implILNS1_25lookback_scan_determinismE0ELb0ELb0ES3_N6thrust23THRUST_200600_302600_NS6detail15normal_iteratorINS9_10device_ptrIiEEEENS9_16discard_iteratorINS9_11use_defaultEEEi11max_functorIiEiEEDaPvRmT3_T4_T5_mT6_P12ihipStream_tbENKUlT_T0_E_clISt17integral_constantIbLb1EESW_IbLb0EEEEDaSS_ST_EUlSS_E0_NS1_11comp_targetILNS1_3genE5ELNS1_11target_archE942ELNS1_3gpuE9ELNS1_3repE0EEENS1_30default_config_static_selectorELNS0_4arch9wavefront6targetE1EEEvT1_
	.p2align	8
	.type	_ZN7rocprim17ROCPRIM_400000_NS6detail17trampoline_kernelINS0_14default_configENS1_20scan_config_selectorIiEEZZNS1_9scan_implILNS1_25lookback_scan_determinismE0ELb0ELb0ES3_N6thrust23THRUST_200600_302600_NS6detail15normal_iteratorINS9_10device_ptrIiEEEENS9_16discard_iteratorINS9_11use_defaultEEEi11max_functorIiEiEEDaPvRmT3_T4_T5_mT6_P12ihipStream_tbENKUlT_T0_E_clISt17integral_constantIbLb1EESW_IbLb0EEEEDaSS_ST_EUlSS_E0_NS1_11comp_targetILNS1_3genE5ELNS1_11target_archE942ELNS1_3gpuE9ELNS1_3repE0EEENS1_30default_config_static_selectorELNS0_4arch9wavefront6targetE1EEEvT1_,@function
_ZN7rocprim17ROCPRIM_400000_NS6detail17trampoline_kernelINS0_14default_configENS1_20scan_config_selectorIiEEZZNS1_9scan_implILNS1_25lookback_scan_determinismE0ELb0ELb0ES3_N6thrust23THRUST_200600_302600_NS6detail15normal_iteratorINS9_10device_ptrIiEEEENS9_16discard_iteratorINS9_11use_defaultEEEi11max_functorIiEiEEDaPvRmT3_T4_T5_mT6_P12ihipStream_tbENKUlT_T0_E_clISt17integral_constantIbLb1EESW_IbLb0EEEEDaSS_ST_EUlSS_E0_NS1_11comp_targetILNS1_3genE5ELNS1_11target_archE942ELNS1_3gpuE9ELNS1_3repE0EEENS1_30default_config_static_selectorELNS0_4arch9wavefront6targetE1EEEvT1_: ; @_ZN7rocprim17ROCPRIM_400000_NS6detail17trampoline_kernelINS0_14default_configENS1_20scan_config_selectorIiEEZZNS1_9scan_implILNS1_25lookback_scan_determinismE0ELb0ELb0ES3_N6thrust23THRUST_200600_302600_NS6detail15normal_iteratorINS9_10device_ptrIiEEEENS9_16discard_iteratorINS9_11use_defaultEEEi11max_functorIiEiEEDaPvRmT3_T4_T5_mT6_P12ihipStream_tbENKUlT_T0_E_clISt17integral_constantIbLb1EESW_IbLb0EEEEDaSS_ST_EUlSS_E0_NS1_11comp_targetILNS1_3genE5ELNS1_11target_archE942ELNS1_3gpuE9ELNS1_3repE0EEENS1_30default_config_static_selectorELNS0_4arch9wavefront6targetE1EEEvT1_
; %bb.0:
	.section	.rodata,"a",@progbits
	.p2align	6, 0x0
	.amdhsa_kernel _ZN7rocprim17ROCPRIM_400000_NS6detail17trampoline_kernelINS0_14default_configENS1_20scan_config_selectorIiEEZZNS1_9scan_implILNS1_25lookback_scan_determinismE0ELb0ELb0ES3_N6thrust23THRUST_200600_302600_NS6detail15normal_iteratorINS9_10device_ptrIiEEEENS9_16discard_iteratorINS9_11use_defaultEEEi11max_functorIiEiEEDaPvRmT3_T4_T5_mT6_P12ihipStream_tbENKUlT_T0_E_clISt17integral_constantIbLb1EESW_IbLb0EEEEDaSS_ST_EUlSS_E0_NS1_11comp_targetILNS1_3genE5ELNS1_11target_archE942ELNS1_3gpuE9ELNS1_3repE0EEENS1_30default_config_static_selectorELNS0_4arch9wavefront6targetE1EEEvT1_
		.amdhsa_group_segment_fixed_size 0
		.amdhsa_private_segment_fixed_size 0
		.amdhsa_kernarg_size 40
		.amdhsa_user_sgpr_count 6
		.amdhsa_user_sgpr_private_segment_buffer 1
		.amdhsa_user_sgpr_dispatch_ptr 0
		.amdhsa_user_sgpr_queue_ptr 0
		.amdhsa_user_sgpr_kernarg_segment_ptr 1
		.amdhsa_user_sgpr_dispatch_id 0
		.amdhsa_user_sgpr_flat_scratch_init 0
		.amdhsa_user_sgpr_kernarg_preload_length 0
		.amdhsa_user_sgpr_kernarg_preload_offset 0
		.amdhsa_user_sgpr_private_segment_size 0
		.amdhsa_uses_dynamic_stack 0
		.amdhsa_system_sgpr_private_segment_wavefront_offset 0
		.amdhsa_system_sgpr_workgroup_id_x 1
		.amdhsa_system_sgpr_workgroup_id_y 0
		.amdhsa_system_sgpr_workgroup_id_z 0
		.amdhsa_system_sgpr_workgroup_info 0
		.amdhsa_system_vgpr_workitem_id 0
		.amdhsa_next_free_vgpr 1
		.amdhsa_next_free_sgpr 0
		.amdhsa_accum_offset 4
		.amdhsa_reserve_vcc 0
		.amdhsa_reserve_flat_scratch 0
		.amdhsa_float_round_mode_32 0
		.amdhsa_float_round_mode_16_64 0
		.amdhsa_float_denorm_mode_32 3
		.amdhsa_float_denorm_mode_16_64 3
		.amdhsa_dx10_clamp 1
		.amdhsa_ieee_mode 1
		.amdhsa_fp16_overflow 0
		.amdhsa_tg_split 0
		.amdhsa_exception_fp_ieee_invalid_op 0
		.amdhsa_exception_fp_denorm_src 0
		.amdhsa_exception_fp_ieee_div_zero 0
		.amdhsa_exception_fp_ieee_overflow 0
		.amdhsa_exception_fp_ieee_underflow 0
		.amdhsa_exception_fp_ieee_inexact 0
		.amdhsa_exception_int_div_zero 0
	.end_amdhsa_kernel
	.section	.text._ZN7rocprim17ROCPRIM_400000_NS6detail17trampoline_kernelINS0_14default_configENS1_20scan_config_selectorIiEEZZNS1_9scan_implILNS1_25lookback_scan_determinismE0ELb0ELb0ES3_N6thrust23THRUST_200600_302600_NS6detail15normal_iteratorINS9_10device_ptrIiEEEENS9_16discard_iteratorINS9_11use_defaultEEEi11max_functorIiEiEEDaPvRmT3_T4_T5_mT6_P12ihipStream_tbENKUlT_T0_E_clISt17integral_constantIbLb1EESW_IbLb0EEEEDaSS_ST_EUlSS_E0_NS1_11comp_targetILNS1_3genE5ELNS1_11target_archE942ELNS1_3gpuE9ELNS1_3repE0EEENS1_30default_config_static_selectorELNS0_4arch9wavefront6targetE1EEEvT1_,"axG",@progbits,_ZN7rocprim17ROCPRIM_400000_NS6detail17trampoline_kernelINS0_14default_configENS1_20scan_config_selectorIiEEZZNS1_9scan_implILNS1_25lookback_scan_determinismE0ELb0ELb0ES3_N6thrust23THRUST_200600_302600_NS6detail15normal_iteratorINS9_10device_ptrIiEEEENS9_16discard_iteratorINS9_11use_defaultEEEi11max_functorIiEiEEDaPvRmT3_T4_T5_mT6_P12ihipStream_tbENKUlT_T0_E_clISt17integral_constantIbLb1EESW_IbLb0EEEEDaSS_ST_EUlSS_E0_NS1_11comp_targetILNS1_3genE5ELNS1_11target_archE942ELNS1_3gpuE9ELNS1_3repE0EEENS1_30default_config_static_selectorELNS0_4arch9wavefront6targetE1EEEvT1_,comdat
.Lfunc_end3900:
	.size	_ZN7rocprim17ROCPRIM_400000_NS6detail17trampoline_kernelINS0_14default_configENS1_20scan_config_selectorIiEEZZNS1_9scan_implILNS1_25lookback_scan_determinismE0ELb0ELb0ES3_N6thrust23THRUST_200600_302600_NS6detail15normal_iteratorINS9_10device_ptrIiEEEENS9_16discard_iteratorINS9_11use_defaultEEEi11max_functorIiEiEEDaPvRmT3_T4_T5_mT6_P12ihipStream_tbENKUlT_T0_E_clISt17integral_constantIbLb1EESW_IbLb0EEEEDaSS_ST_EUlSS_E0_NS1_11comp_targetILNS1_3genE5ELNS1_11target_archE942ELNS1_3gpuE9ELNS1_3repE0EEENS1_30default_config_static_selectorELNS0_4arch9wavefront6targetE1EEEvT1_, .Lfunc_end3900-_ZN7rocprim17ROCPRIM_400000_NS6detail17trampoline_kernelINS0_14default_configENS1_20scan_config_selectorIiEEZZNS1_9scan_implILNS1_25lookback_scan_determinismE0ELb0ELb0ES3_N6thrust23THRUST_200600_302600_NS6detail15normal_iteratorINS9_10device_ptrIiEEEENS9_16discard_iteratorINS9_11use_defaultEEEi11max_functorIiEiEEDaPvRmT3_T4_T5_mT6_P12ihipStream_tbENKUlT_T0_E_clISt17integral_constantIbLb1EESW_IbLb0EEEEDaSS_ST_EUlSS_E0_NS1_11comp_targetILNS1_3genE5ELNS1_11target_archE942ELNS1_3gpuE9ELNS1_3repE0EEENS1_30default_config_static_selectorELNS0_4arch9wavefront6targetE1EEEvT1_
                                        ; -- End function
	.section	.AMDGPU.csdata,"",@progbits
; Kernel info:
; codeLenInByte = 0
; NumSgprs: 4
; NumVgprs: 0
; NumAgprs: 0
; TotalNumVgprs: 0
; ScratchSize: 0
; MemoryBound: 0
; FloatMode: 240
; IeeeMode: 1
; LDSByteSize: 0 bytes/workgroup (compile time only)
; SGPRBlocks: 0
; VGPRBlocks: 0
; NumSGPRsForWavesPerEU: 4
; NumVGPRsForWavesPerEU: 1
; AccumOffset: 4
; Occupancy: 8
; WaveLimiterHint : 0
; COMPUTE_PGM_RSRC2:SCRATCH_EN: 0
; COMPUTE_PGM_RSRC2:USER_SGPR: 6
; COMPUTE_PGM_RSRC2:TRAP_HANDLER: 0
; COMPUTE_PGM_RSRC2:TGID_X_EN: 1
; COMPUTE_PGM_RSRC2:TGID_Y_EN: 0
; COMPUTE_PGM_RSRC2:TGID_Z_EN: 0
; COMPUTE_PGM_RSRC2:TIDIG_COMP_CNT: 0
; COMPUTE_PGM_RSRC3_GFX90A:ACCUM_OFFSET: 0
; COMPUTE_PGM_RSRC3_GFX90A:TG_SPLIT: 0
	.section	.text._ZN7rocprim17ROCPRIM_400000_NS6detail17trampoline_kernelINS0_14default_configENS1_20scan_config_selectorIiEEZZNS1_9scan_implILNS1_25lookback_scan_determinismE0ELb0ELb0ES3_N6thrust23THRUST_200600_302600_NS6detail15normal_iteratorINS9_10device_ptrIiEEEENS9_16discard_iteratorINS9_11use_defaultEEEi11max_functorIiEiEEDaPvRmT3_T4_T5_mT6_P12ihipStream_tbENKUlT_T0_E_clISt17integral_constantIbLb1EESW_IbLb0EEEEDaSS_ST_EUlSS_E0_NS1_11comp_targetILNS1_3genE4ELNS1_11target_archE910ELNS1_3gpuE8ELNS1_3repE0EEENS1_30default_config_static_selectorELNS0_4arch9wavefront6targetE1EEEvT1_,"axG",@progbits,_ZN7rocprim17ROCPRIM_400000_NS6detail17trampoline_kernelINS0_14default_configENS1_20scan_config_selectorIiEEZZNS1_9scan_implILNS1_25lookback_scan_determinismE0ELb0ELb0ES3_N6thrust23THRUST_200600_302600_NS6detail15normal_iteratorINS9_10device_ptrIiEEEENS9_16discard_iteratorINS9_11use_defaultEEEi11max_functorIiEiEEDaPvRmT3_T4_T5_mT6_P12ihipStream_tbENKUlT_T0_E_clISt17integral_constantIbLb1EESW_IbLb0EEEEDaSS_ST_EUlSS_E0_NS1_11comp_targetILNS1_3genE4ELNS1_11target_archE910ELNS1_3gpuE8ELNS1_3repE0EEENS1_30default_config_static_selectorELNS0_4arch9wavefront6targetE1EEEvT1_,comdat
	.protected	_ZN7rocprim17ROCPRIM_400000_NS6detail17trampoline_kernelINS0_14default_configENS1_20scan_config_selectorIiEEZZNS1_9scan_implILNS1_25lookback_scan_determinismE0ELb0ELb0ES3_N6thrust23THRUST_200600_302600_NS6detail15normal_iteratorINS9_10device_ptrIiEEEENS9_16discard_iteratorINS9_11use_defaultEEEi11max_functorIiEiEEDaPvRmT3_T4_T5_mT6_P12ihipStream_tbENKUlT_T0_E_clISt17integral_constantIbLb1EESW_IbLb0EEEEDaSS_ST_EUlSS_E0_NS1_11comp_targetILNS1_3genE4ELNS1_11target_archE910ELNS1_3gpuE8ELNS1_3repE0EEENS1_30default_config_static_selectorELNS0_4arch9wavefront6targetE1EEEvT1_ ; -- Begin function _ZN7rocprim17ROCPRIM_400000_NS6detail17trampoline_kernelINS0_14default_configENS1_20scan_config_selectorIiEEZZNS1_9scan_implILNS1_25lookback_scan_determinismE0ELb0ELb0ES3_N6thrust23THRUST_200600_302600_NS6detail15normal_iteratorINS9_10device_ptrIiEEEENS9_16discard_iteratorINS9_11use_defaultEEEi11max_functorIiEiEEDaPvRmT3_T4_T5_mT6_P12ihipStream_tbENKUlT_T0_E_clISt17integral_constantIbLb1EESW_IbLb0EEEEDaSS_ST_EUlSS_E0_NS1_11comp_targetILNS1_3genE4ELNS1_11target_archE910ELNS1_3gpuE8ELNS1_3repE0EEENS1_30default_config_static_selectorELNS0_4arch9wavefront6targetE1EEEvT1_
	.globl	_ZN7rocprim17ROCPRIM_400000_NS6detail17trampoline_kernelINS0_14default_configENS1_20scan_config_selectorIiEEZZNS1_9scan_implILNS1_25lookback_scan_determinismE0ELb0ELb0ES3_N6thrust23THRUST_200600_302600_NS6detail15normal_iteratorINS9_10device_ptrIiEEEENS9_16discard_iteratorINS9_11use_defaultEEEi11max_functorIiEiEEDaPvRmT3_T4_T5_mT6_P12ihipStream_tbENKUlT_T0_E_clISt17integral_constantIbLb1EESW_IbLb0EEEEDaSS_ST_EUlSS_E0_NS1_11comp_targetILNS1_3genE4ELNS1_11target_archE910ELNS1_3gpuE8ELNS1_3repE0EEENS1_30default_config_static_selectorELNS0_4arch9wavefront6targetE1EEEvT1_
	.p2align	8
	.type	_ZN7rocprim17ROCPRIM_400000_NS6detail17trampoline_kernelINS0_14default_configENS1_20scan_config_selectorIiEEZZNS1_9scan_implILNS1_25lookback_scan_determinismE0ELb0ELb0ES3_N6thrust23THRUST_200600_302600_NS6detail15normal_iteratorINS9_10device_ptrIiEEEENS9_16discard_iteratorINS9_11use_defaultEEEi11max_functorIiEiEEDaPvRmT3_T4_T5_mT6_P12ihipStream_tbENKUlT_T0_E_clISt17integral_constantIbLb1EESW_IbLb0EEEEDaSS_ST_EUlSS_E0_NS1_11comp_targetILNS1_3genE4ELNS1_11target_archE910ELNS1_3gpuE8ELNS1_3repE0EEENS1_30default_config_static_selectorELNS0_4arch9wavefront6targetE1EEEvT1_,@function
_ZN7rocprim17ROCPRIM_400000_NS6detail17trampoline_kernelINS0_14default_configENS1_20scan_config_selectorIiEEZZNS1_9scan_implILNS1_25lookback_scan_determinismE0ELb0ELb0ES3_N6thrust23THRUST_200600_302600_NS6detail15normal_iteratorINS9_10device_ptrIiEEEENS9_16discard_iteratorINS9_11use_defaultEEEi11max_functorIiEiEEDaPvRmT3_T4_T5_mT6_P12ihipStream_tbENKUlT_T0_E_clISt17integral_constantIbLb1EESW_IbLb0EEEEDaSS_ST_EUlSS_E0_NS1_11comp_targetILNS1_3genE4ELNS1_11target_archE910ELNS1_3gpuE8ELNS1_3repE0EEENS1_30default_config_static_selectorELNS0_4arch9wavefront6targetE1EEEvT1_: ; @_ZN7rocprim17ROCPRIM_400000_NS6detail17trampoline_kernelINS0_14default_configENS1_20scan_config_selectorIiEEZZNS1_9scan_implILNS1_25lookback_scan_determinismE0ELb0ELb0ES3_N6thrust23THRUST_200600_302600_NS6detail15normal_iteratorINS9_10device_ptrIiEEEENS9_16discard_iteratorINS9_11use_defaultEEEi11max_functorIiEiEEDaPvRmT3_T4_T5_mT6_P12ihipStream_tbENKUlT_T0_E_clISt17integral_constantIbLb1EESW_IbLb0EEEEDaSS_ST_EUlSS_E0_NS1_11comp_targetILNS1_3genE4ELNS1_11target_archE910ELNS1_3gpuE8ELNS1_3repE0EEENS1_30default_config_static_selectorELNS0_4arch9wavefront6targetE1EEEvT1_
; %bb.0:
	s_load_dwordx4 s[0:3], s[4:5], 0x0
	v_lshlrev_b32_e32 v20, 2, v0
	s_waitcnt lgkmcnt(0)
	s_load_dword s3, s[0:1], 0x0
	v_cmp_gt_u32_e32 vcc, s2, v0
	s_waitcnt lgkmcnt(0)
	v_mov_b32_e32 v1, s3
	s_and_saveexec_b64 s[4:5], vcc
	s_cbranch_execz .LBB3901_2
; %bb.1:
	global_load_dword v1, v20, s[0:1]
.LBB3901_2:
	s_or_b64 exec, exec, s[4:5]
	v_or_b32_e32 v2, 0x80, v0
	v_cmp_gt_u32_e32 vcc, s2, v2
	v_mov_b32_e32 v2, s3
	s_and_saveexec_b64 s[4:5], vcc
	s_cbranch_execz .LBB3901_4
; %bb.3:
	global_load_dword v2, v20, s[0:1] offset:512
.LBB3901_4:
	s_or_b64 exec, exec, s[4:5]
	v_or_b32_e32 v3, 0x100, v0
	v_cmp_gt_u32_e32 vcc, s2, v3
	v_mov_b32_e32 v3, s3
	s_and_saveexec_b64 s[4:5], vcc
	s_cbranch_execz .LBB3901_6
; %bb.5:
	global_load_dword v3, v20, s[0:1] offset:1024
.LBB3901_6:
	;; [unrolled: 9-line block ×7, first 2 shown]
	s_or_b64 exec, exec, s[4:5]
	v_or_b32_e32 v10, 0x400, v0
	v_cmp_gt_u32_e32 vcc, s2, v10
	v_mov_b32_e32 v9, s3
	s_and_saveexec_b64 s[4:5], vcc
	s_cbranch_execz .LBB3901_18
; %bb.17:
	v_lshlrev_b32_e32 v9, 2, v10
	global_load_dword v9, v9, s[0:1]
.LBB3901_18:
	s_or_b64 exec, exec, s[4:5]
	v_or_b32_e32 v11, 0x480, v0
	v_cmp_gt_u32_e32 vcc, s2, v11
	v_mov_b32_e32 v10, s3
	s_and_saveexec_b64 s[2:3], vcc
	s_cbranch_execz .LBB3901_20
; %bb.19:
	v_lshlrev_b32_e32 v10, 2, v11
	global_load_dword v10, v10, s[0:1]
.LBB3901_20:
	s_or_b64 exec, exec, s[2:3]
	s_waitcnt vmcnt(0)
	ds_write2st64_b32 v20, v1, v2 offset1:2
	ds_write2st64_b32 v20, v3, v4 offset0:4 offset1:6
	ds_write2st64_b32 v20, v5, v6 offset0:8 offset1:10
	;; [unrolled: 1-line block ×4, first 2 shown]
	v_mad_u32_u24 v1, v0, 36, v20
	s_waitcnt lgkmcnt(0)
	s_barrier
	ds_read2_b64 v[6:9], v1 offset1:1
	ds_read2_b64 v[2:5], v1 offset0:2 offset1:3
	ds_read_b64 v[18:19], v1 offset:32
	v_lshrrev_b32_e32 v21, 3, v0
	v_and_b32_e32 v21, 12, v21
	s_waitcnt lgkmcnt(2)
	v_max_i32_e32 v1, v6, v7
	v_max_i32_e32 v14, v1, v8
	v_max_i32_e32 v15, v14, v9
	s_waitcnt lgkmcnt(1)
	v_max_i32_e32 v10, v15, v2
	v_max_i32_e32 v11, v10, v3
	;; [unrolled: 1-line block ×4, first 2 shown]
	s_waitcnt lgkmcnt(0)
	v_max_i32_e32 v16, v13, v18
	v_max_i32_e32 v17, v16, v19
	v_add_u32_e32 v21, v20, v21
	v_cmp_gt_u32_e32 vcc, 64, v0
	s_barrier
	ds_write_b32 v21, v17
	s_waitcnt lgkmcnt(0)
	s_barrier
	s_and_saveexec_b64 s[0:1], vcc
	s_cbranch_execz .LBB3901_22
; %bb.21:
	v_lshlrev_b32_e32 v21, 1, v0
	v_lshrrev_b32_e32 v22, 4, v0
	v_add_lshl_u32 v21, v22, v21, 2
	ds_read2_b32 v[22:23], v21 offset1:1
	v_mbcnt_lo_u32_b32 v24, -1, 0
	v_mbcnt_hi_u32_b32 v24, -1, v24
	v_and_b32_e32 v25, 15, v24
	v_cmp_eq_u32_e32 vcc, 0, v25
	s_waitcnt lgkmcnt(0)
	v_max_i32_e32 v23, v22, v23
	; wave barrier
	s_nop 1
	v_mov_b32_dpp v26, v23 row_shr:1 row_mask:0xf bank_mask:0xf
	v_max_i32_e32 v26, v26, v23
	v_cndmask_b32_e32 v23, v26, v23, vcc
	v_cmp_lt_u32_e32 vcc, 1, v25
	s_nop 0
	v_mov_b32_dpp v26, v23 row_shr:2 row_mask:0xf bank_mask:0xf
	v_max_i32_e32 v26, v26, v23
	v_cndmask_b32_e32 v23, v23, v26, vcc
	v_cmp_lt_u32_e32 vcc, 3, v25
	;; [unrolled: 5-line block ×3, first 2 shown]
	s_nop 0
	v_mov_b32_dpp v26, v23 row_shr:8 row_mask:0xf bank_mask:0xf
	v_max_i32_e32 v26, v26, v23
	v_cndmask_b32_e32 v23, v23, v26, vcc
	v_and_b32_e32 v26, 16, v24
	v_cmp_eq_u32_e32 vcc, 0, v26
	v_mov_b32_dpp v25, v23 row_bcast:15 row_mask:0xf bank_mask:0xf
	v_max_i32_e32 v25, v25, v23
	v_cndmask_b32_e32 v23, v25, v23, vcc
	v_cmp_lt_u32_e32 vcc, 31, v24
	v_and_b32_e32 v26, 64, v24
	v_mov_b32_dpp v25, v23 row_bcast:31 row_mask:0xf bank_mask:0xf
	v_max_i32_e32 v25, v25, v23
	v_cndmask_b32_e32 v23, v23, v25, vcc
	v_add_u32_e32 v25, -1, v24
	v_cmp_lt_i32_e32 vcc, v25, v26
	v_cndmask_b32_e32 v24, v25, v24, vcc
	v_lshlrev_b32_e32 v24, 2, v24
	ds_bpermute_b32 v23, v24, v23
	v_cmp_eq_u32_e32 vcc, 0, v0
	s_waitcnt lgkmcnt(0)
	v_max_i32_e32 v22, v23, v22
	v_cndmask_b32_e32 v22, v22, v17, vcc
	ds_write_b32 v21, v22
	; wave barrier
	ds_read_b32 v23, v21 offset:4
	s_waitcnt lgkmcnt(0)
	v_max_i32_e32 v22, v22, v23
	ds_write_b32 v21, v22 offset:4
.LBB3901_22:
	s_or_b64 exec, exec, s[0:1]
	v_cmp_ne_u32_e32 vcc, 0, v0
	v_mov_b32_e32 v22, v17
	s_waitcnt lgkmcnt(0)
	s_barrier
	s_and_saveexec_b64 s[0:1], vcc
	s_cbranch_execz .LBB3901_24
; %bb.23:
	v_add_u32_e32 v21, -1, v0
	v_lshrrev_b32_e32 v22, 5, v21
	v_add_lshl_u32 v21, v22, v21, 2
	ds_read_b32 v22, v21
.LBB3901_24:
	s_or_b64 exec, exec, s[0:1]
	v_mul_u32_u24_e32 v21, 36, v0
	v_mov_b32_e32 v0, v6
	s_and_saveexec_b64 s[0:1], vcc
	s_cbranch_execz .LBB3901_26
; %bb.25:
	s_waitcnt lgkmcnt(0)
	v_max_i32_e32 v0, v22, v6
	v_max_i32_e32 v1, v0, v7
	;; [unrolled: 1-line block ×10, first 2 shown]
	;;#ASMSTART
	;;#ASMEND
.LBB3901_26:
	s_or_b64 exec, exec, s[0:1]
	v_add_u32_e32 v2, v20, v21
	s_waitcnt lgkmcnt(0)
	s_barrier
	ds_write2_b64 v2, v[0:1], v[14:15] offset1:1
	ds_write2_b64 v2, v[10:11], v[12:13] offset0:2 offset1:3
	ds_write_b64 v2, v[16:17] offset:32
	s_waitcnt lgkmcnt(0)
	s_barrier
	s_endpgm
	.section	.rodata,"a",@progbits
	.p2align	6, 0x0
	.amdhsa_kernel _ZN7rocprim17ROCPRIM_400000_NS6detail17trampoline_kernelINS0_14default_configENS1_20scan_config_selectorIiEEZZNS1_9scan_implILNS1_25lookback_scan_determinismE0ELb0ELb0ES3_N6thrust23THRUST_200600_302600_NS6detail15normal_iteratorINS9_10device_ptrIiEEEENS9_16discard_iteratorINS9_11use_defaultEEEi11max_functorIiEiEEDaPvRmT3_T4_T5_mT6_P12ihipStream_tbENKUlT_T0_E_clISt17integral_constantIbLb1EESW_IbLb0EEEEDaSS_ST_EUlSS_E0_NS1_11comp_targetILNS1_3genE4ELNS1_11target_archE910ELNS1_3gpuE8ELNS1_3repE0EEENS1_30default_config_static_selectorELNS0_4arch9wavefront6targetE1EEEvT1_
		.amdhsa_group_segment_fixed_size 5120
		.amdhsa_private_segment_fixed_size 0
		.amdhsa_kernarg_size 40
		.amdhsa_user_sgpr_count 6
		.amdhsa_user_sgpr_private_segment_buffer 1
		.amdhsa_user_sgpr_dispatch_ptr 0
		.amdhsa_user_sgpr_queue_ptr 0
		.amdhsa_user_sgpr_kernarg_segment_ptr 1
		.amdhsa_user_sgpr_dispatch_id 0
		.amdhsa_user_sgpr_flat_scratch_init 0
		.amdhsa_user_sgpr_kernarg_preload_length 0
		.amdhsa_user_sgpr_kernarg_preload_offset 0
		.amdhsa_user_sgpr_private_segment_size 0
		.amdhsa_uses_dynamic_stack 0
		.amdhsa_system_sgpr_private_segment_wavefront_offset 0
		.amdhsa_system_sgpr_workgroup_id_x 1
		.amdhsa_system_sgpr_workgroup_id_y 0
		.amdhsa_system_sgpr_workgroup_id_z 0
		.amdhsa_system_sgpr_workgroup_info 0
		.amdhsa_system_vgpr_workitem_id 0
		.amdhsa_next_free_vgpr 27
		.amdhsa_next_free_sgpr 6
		.amdhsa_accum_offset 28
		.amdhsa_reserve_vcc 1
		.amdhsa_reserve_flat_scratch 0
		.amdhsa_float_round_mode_32 0
		.amdhsa_float_round_mode_16_64 0
		.amdhsa_float_denorm_mode_32 3
		.amdhsa_float_denorm_mode_16_64 3
		.amdhsa_dx10_clamp 1
		.amdhsa_ieee_mode 1
		.amdhsa_fp16_overflow 0
		.amdhsa_tg_split 0
		.amdhsa_exception_fp_ieee_invalid_op 0
		.amdhsa_exception_fp_denorm_src 0
		.amdhsa_exception_fp_ieee_div_zero 0
		.amdhsa_exception_fp_ieee_overflow 0
		.amdhsa_exception_fp_ieee_underflow 0
		.amdhsa_exception_fp_ieee_inexact 0
		.amdhsa_exception_int_div_zero 0
	.end_amdhsa_kernel
	.section	.text._ZN7rocprim17ROCPRIM_400000_NS6detail17trampoline_kernelINS0_14default_configENS1_20scan_config_selectorIiEEZZNS1_9scan_implILNS1_25lookback_scan_determinismE0ELb0ELb0ES3_N6thrust23THRUST_200600_302600_NS6detail15normal_iteratorINS9_10device_ptrIiEEEENS9_16discard_iteratorINS9_11use_defaultEEEi11max_functorIiEiEEDaPvRmT3_T4_T5_mT6_P12ihipStream_tbENKUlT_T0_E_clISt17integral_constantIbLb1EESW_IbLb0EEEEDaSS_ST_EUlSS_E0_NS1_11comp_targetILNS1_3genE4ELNS1_11target_archE910ELNS1_3gpuE8ELNS1_3repE0EEENS1_30default_config_static_selectorELNS0_4arch9wavefront6targetE1EEEvT1_,"axG",@progbits,_ZN7rocprim17ROCPRIM_400000_NS6detail17trampoline_kernelINS0_14default_configENS1_20scan_config_selectorIiEEZZNS1_9scan_implILNS1_25lookback_scan_determinismE0ELb0ELb0ES3_N6thrust23THRUST_200600_302600_NS6detail15normal_iteratorINS9_10device_ptrIiEEEENS9_16discard_iteratorINS9_11use_defaultEEEi11max_functorIiEiEEDaPvRmT3_T4_T5_mT6_P12ihipStream_tbENKUlT_T0_E_clISt17integral_constantIbLb1EESW_IbLb0EEEEDaSS_ST_EUlSS_E0_NS1_11comp_targetILNS1_3genE4ELNS1_11target_archE910ELNS1_3gpuE8ELNS1_3repE0EEENS1_30default_config_static_selectorELNS0_4arch9wavefront6targetE1EEEvT1_,comdat
.Lfunc_end3901:
	.size	_ZN7rocprim17ROCPRIM_400000_NS6detail17trampoline_kernelINS0_14default_configENS1_20scan_config_selectorIiEEZZNS1_9scan_implILNS1_25lookback_scan_determinismE0ELb0ELb0ES3_N6thrust23THRUST_200600_302600_NS6detail15normal_iteratorINS9_10device_ptrIiEEEENS9_16discard_iteratorINS9_11use_defaultEEEi11max_functorIiEiEEDaPvRmT3_T4_T5_mT6_P12ihipStream_tbENKUlT_T0_E_clISt17integral_constantIbLb1EESW_IbLb0EEEEDaSS_ST_EUlSS_E0_NS1_11comp_targetILNS1_3genE4ELNS1_11target_archE910ELNS1_3gpuE8ELNS1_3repE0EEENS1_30default_config_static_selectorELNS0_4arch9wavefront6targetE1EEEvT1_, .Lfunc_end3901-_ZN7rocprim17ROCPRIM_400000_NS6detail17trampoline_kernelINS0_14default_configENS1_20scan_config_selectorIiEEZZNS1_9scan_implILNS1_25lookback_scan_determinismE0ELb0ELb0ES3_N6thrust23THRUST_200600_302600_NS6detail15normal_iteratorINS9_10device_ptrIiEEEENS9_16discard_iteratorINS9_11use_defaultEEEi11max_functorIiEiEEDaPvRmT3_T4_T5_mT6_P12ihipStream_tbENKUlT_T0_E_clISt17integral_constantIbLb1EESW_IbLb0EEEEDaSS_ST_EUlSS_E0_NS1_11comp_targetILNS1_3genE4ELNS1_11target_archE910ELNS1_3gpuE8ELNS1_3repE0EEENS1_30default_config_static_selectorELNS0_4arch9wavefront6targetE1EEEvT1_
                                        ; -- End function
	.section	.AMDGPU.csdata,"",@progbits
; Kernel info:
; codeLenInByte = 1000
; NumSgprs: 10
; NumVgprs: 27
; NumAgprs: 0
; TotalNumVgprs: 27
; ScratchSize: 0
; MemoryBound: 0
; FloatMode: 240
; IeeeMode: 1
; LDSByteSize: 5120 bytes/workgroup (compile time only)
; SGPRBlocks: 1
; VGPRBlocks: 3
; NumSGPRsForWavesPerEU: 10
; NumVGPRsForWavesPerEU: 27
; AccumOffset: 28
; Occupancy: 6
; WaveLimiterHint : 0
; COMPUTE_PGM_RSRC2:SCRATCH_EN: 0
; COMPUTE_PGM_RSRC2:USER_SGPR: 6
; COMPUTE_PGM_RSRC2:TRAP_HANDLER: 0
; COMPUTE_PGM_RSRC2:TGID_X_EN: 1
; COMPUTE_PGM_RSRC2:TGID_Y_EN: 0
; COMPUTE_PGM_RSRC2:TGID_Z_EN: 0
; COMPUTE_PGM_RSRC2:TIDIG_COMP_CNT: 0
; COMPUTE_PGM_RSRC3_GFX90A:ACCUM_OFFSET: 6
; COMPUTE_PGM_RSRC3_GFX90A:TG_SPLIT: 0
	.section	.text._ZN7rocprim17ROCPRIM_400000_NS6detail17trampoline_kernelINS0_14default_configENS1_20scan_config_selectorIiEEZZNS1_9scan_implILNS1_25lookback_scan_determinismE0ELb0ELb0ES3_N6thrust23THRUST_200600_302600_NS6detail15normal_iteratorINS9_10device_ptrIiEEEENS9_16discard_iteratorINS9_11use_defaultEEEi11max_functorIiEiEEDaPvRmT3_T4_T5_mT6_P12ihipStream_tbENKUlT_T0_E_clISt17integral_constantIbLb1EESW_IbLb0EEEEDaSS_ST_EUlSS_E0_NS1_11comp_targetILNS1_3genE3ELNS1_11target_archE908ELNS1_3gpuE7ELNS1_3repE0EEENS1_30default_config_static_selectorELNS0_4arch9wavefront6targetE1EEEvT1_,"axG",@progbits,_ZN7rocprim17ROCPRIM_400000_NS6detail17trampoline_kernelINS0_14default_configENS1_20scan_config_selectorIiEEZZNS1_9scan_implILNS1_25lookback_scan_determinismE0ELb0ELb0ES3_N6thrust23THRUST_200600_302600_NS6detail15normal_iteratorINS9_10device_ptrIiEEEENS9_16discard_iteratorINS9_11use_defaultEEEi11max_functorIiEiEEDaPvRmT3_T4_T5_mT6_P12ihipStream_tbENKUlT_T0_E_clISt17integral_constantIbLb1EESW_IbLb0EEEEDaSS_ST_EUlSS_E0_NS1_11comp_targetILNS1_3genE3ELNS1_11target_archE908ELNS1_3gpuE7ELNS1_3repE0EEENS1_30default_config_static_selectorELNS0_4arch9wavefront6targetE1EEEvT1_,comdat
	.protected	_ZN7rocprim17ROCPRIM_400000_NS6detail17trampoline_kernelINS0_14default_configENS1_20scan_config_selectorIiEEZZNS1_9scan_implILNS1_25lookback_scan_determinismE0ELb0ELb0ES3_N6thrust23THRUST_200600_302600_NS6detail15normal_iteratorINS9_10device_ptrIiEEEENS9_16discard_iteratorINS9_11use_defaultEEEi11max_functorIiEiEEDaPvRmT3_T4_T5_mT6_P12ihipStream_tbENKUlT_T0_E_clISt17integral_constantIbLb1EESW_IbLb0EEEEDaSS_ST_EUlSS_E0_NS1_11comp_targetILNS1_3genE3ELNS1_11target_archE908ELNS1_3gpuE7ELNS1_3repE0EEENS1_30default_config_static_selectorELNS0_4arch9wavefront6targetE1EEEvT1_ ; -- Begin function _ZN7rocprim17ROCPRIM_400000_NS6detail17trampoline_kernelINS0_14default_configENS1_20scan_config_selectorIiEEZZNS1_9scan_implILNS1_25lookback_scan_determinismE0ELb0ELb0ES3_N6thrust23THRUST_200600_302600_NS6detail15normal_iteratorINS9_10device_ptrIiEEEENS9_16discard_iteratorINS9_11use_defaultEEEi11max_functorIiEiEEDaPvRmT3_T4_T5_mT6_P12ihipStream_tbENKUlT_T0_E_clISt17integral_constantIbLb1EESW_IbLb0EEEEDaSS_ST_EUlSS_E0_NS1_11comp_targetILNS1_3genE3ELNS1_11target_archE908ELNS1_3gpuE7ELNS1_3repE0EEENS1_30default_config_static_selectorELNS0_4arch9wavefront6targetE1EEEvT1_
	.globl	_ZN7rocprim17ROCPRIM_400000_NS6detail17trampoline_kernelINS0_14default_configENS1_20scan_config_selectorIiEEZZNS1_9scan_implILNS1_25lookback_scan_determinismE0ELb0ELb0ES3_N6thrust23THRUST_200600_302600_NS6detail15normal_iteratorINS9_10device_ptrIiEEEENS9_16discard_iteratorINS9_11use_defaultEEEi11max_functorIiEiEEDaPvRmT3_T4_T5_mT6_P12ihipStream_tbENKUlT_T0_E_clISt17integral_constantIbLb1EESW_IbLb0EEEEDaSS_ST_EUlSS_E0_NS1_11comp_targetILNS1_3genE3ELNS1_11target_archE908ELNS1_3gpuE7ELNS1_3repE0EEENS1_30default_config_static_selectorELNS0_4arch9wavefront6targetE1EEEvT1_
	.p2align	8
	.type	_ZN7rocprim17ROCPRIM_400000_NS6detail17trampoline_kernelINS0_14default_configENS1_20scan_config_selectorIiEEZZNS1_9scan_implILNS1_25lookback_scan_determinismE0ELb0ELb0ES3_N6thrust23THRUST_200600_302600_NS6detail15normal_iteratorINS9_10device_ptrIiEEEENS9_16discard_iteratorINS9_11use_defaultEEEi11max_functorIiEiEEDaPvRmT3_T4_T5_mT6_P12ihipStream_tbENKUlT_T0_E_clISt17integral_constantIbLb1EESW_IbLb0EEEEDaSS_ST_EUlSS_E0_NS1_11comp_targetILNS1_3genE3ELNS1_11target_archE908ELNS1_3gpuE7ELNS1_3repE0EEENS1_30default_config_static_selectorELNS0_4arch9wavefront6targetE1EEEvT1_,@function
_ZN7rocprim17ROCPRIM_400000_NS6detail17trampoline_kernelINS0_14default_configENS1_20scan_config_selectorIiEEZZNS1_9scan_implILNS1_25lookback_scan_determinismE0ELb0ELb0ES3_N6thrust23THRUST_200600_302600_NS6detail15normal_iteratorINS9_10device_ptrIiEEEENS9_16discard_iteratorINS9_11use_defaultEEEi11max_functorIiEiEEDaPvRmT3_T4_T5_mT6_P12ihipStream_tbENKUlT_T0_E_clISt17integral_constantIbLb1EESW_IbLb0EEEEDaSS_ST_EUlSS_E0_NS1_11comp_targetILNS1_3genE3ELNS1_11target_archE908ELNS1_3gpuE7ELNS1_3repE0EEENS1_30default_config_static_selectorELNS0_4arch9wavefront6targetE1EEEvT1_: ; @_ZN7rocprim17ROCPRIM_400000_NS6detail17trampoline_kernelINS0_14default_configENS1_20scan_config_selectorIiEEZZNS1_9scan_implILNS1_25lookback_scan_determinismE0ELb0ELb0ES3_N6thrust23THRUST_200600_302600_NS6detail15normal_iteratorINS9_10device_ptrIiEEEENS9_16discard_iteratorINS9_11use_defaultEEEi11max_functorIiEiEEDaPvRmT3_T4_T5_mT6_P12ihipStream_tbENKUlT_T0_E_clISt17integral_constantIbLb1EESW_IbLb0EEEEDaSS_ST_EUlSS_E0_NS1_11comp_targetILNS1_3genE3ELNS1_11target_archE908ELNS1_3gpuE7ELNS1_3repE0EEENS1_30default_config_static_selectorELNS0_4arch9wavefront6targetE1EEEvT1_
; %bb.0:
	.section	.rodata,"a",@progbits
	.p2align	6, 0x0
	.amdhsa_kernel _ZN7rocprim17ROCPRIM_400000_NS6detail17trampoline_kernelINS0_14default_configENS1_20scan_config_selectorIiEEZZNS1_9scan_implILNS1_25lookback_scan_determinismE0ELb0ELb0ES3_N6thrust23THRUST_200600_302600_NS6detail15normal_iteratorINS9_10device_ptrIiEEEENS9_16discard_iteratorINS9_11use_defaultEEEi11max_functorIiEiEEDaPvRmT3_T4_T5_mT6_P12ihipStream_tbENKUlT_T0_E_clISt17integral_constantIbLb1EESW_IbLb0EEEEDaSS_ST_EUlSS_E0_NS1_11comp_targetILNS1_3genE3ELNS1_11target_archE908ELNS1_3gpuE7ELNS1_3repE0EEENS1_30default_config_static_selectorELNS0_4arch9wavefront6targetE1EEEvT1_
		.amdhsa_group_segment_fixed_size 0
		.amdhsa_private_segment_fixed_size 0
		.amdhsa_kernarg_size 40
		.amdhsa_user_sgpr_count 6
		.amdhsa_user_sgpr_private_segment_buffer 1
		.amdhsa_user_sgpr_dispatch_ptr 0
		.amdhsa_user_sgpr_queue_ptr 0
		.amdhsa_user_sgpr_kernarg_segment_ptr 1
		.amdhsa_user_sgpr_dispatch_id 0
		.amdhsa_user_sgpr_flat_scratch_init 0
		.amdhsa_user_sgpr_kernarg_preload_length 0
		.amdhsa_user_sgpr_kernarg_preload_offset 0
		.amdhsa_user_sgpr_private_segment_size 0
		.amdhsa_uses_dynamic_stack 0
		.amdhsa_system_sgpr_private_segment_wavefront_offset 0
		.amdhsa_system_sgpr_workgroup_id_x 1
		.amdhsa_system_sgpr_workgroup_id_y 0
		.amdhsa_system_sgpr_workgroup_id_z 0
		.amdhsa_system_sgpr_workgroup_info 0
		.amdhsa_system_vgpr_workitem_id 0
		.amdhsa_next_free_vgpr 1
		.amdhsa_next_free_sgpr 0
		.amdhsa_accum_offset 4
		.amdhsa_reserve_vcc 0
		.amdhsa_reserve_flat_scratch 0
		.amdhsa_float_round_mode_32 0
		.amdhsa_float_round_mode_16_64 0
		.amdhsa_float_denorm_mode_32 3
		.amdhsa_float_denorm_mode_16_64 3
		.amdhsa_dx10_clamp 1
		.amdhsa_ieee_mode 1
		.amdhsa_fp16_overflow 0
		.amdhsa_tg_split 0
		.amdhsa_exception_fp_ieee_invalid_op 0
		.amdhsa_exception_fp_denorm_src 0
		.amdhsa_exception_fp_ieee_div_zero 0
		.amdhsa_exception_fp_ieee_overflow 0
		.amdhsa_exception_fp_ieee_underflow 0
		.amdhsa_exception_fp_ieee_inexact 0
		.amdhsa_exception_int_div_zero 0
	.end_amdhsa_kernel
	.section	.text._ZN7rocprim17ROCPRIM_400000_NS6detail17trampoline_kernelINS0_14default_configENS1_20scan_config_selectorIiEEZZNS1_9scan_implILNS1_25lookback_scan_determinismE0ELb0ELb0ES3_N6thrust23THRUST_200600_302600_NS6detail15normal_iteratorINS9_10device_ptrIiEEEENS9_16discard_iteratorINS9_11use_defaultEEEi11max_functorIiEiEEDaPvRmT3_T4_T5_mT6_P12ihipStream_tbENKUlT_T0_E_clISt17integral_constantIbLb1EESW_IbLb0EEEEDaSS_ST_EUlSS_E0_NS1_11comp_targetILNS1_3genE3ELNS1_11target_archE908ELNS1_3gpuE7ELNS1_3repE0EEENS1_30default_config_static_selectorELNS0_4arch9wavefront6targetE1EEEvT1_,"axG",@progbits,_ZN7rocprim17ROCPRIM_400000_NS6detail17trampoline_kernelINS0_14default_configENS1_20scan_config_selectorIiEEZZNS1_9scan_implILNS1_25lookback_scan_determinismE0ELb0ELb0ES3_N6thrust23THRUST_200600_302600_NS6detail15normal_iteratorINS9_10device_ptrIiEEEENS9_16discard_iteratorINS9_11use_defaultEEEi11max_functorIiEiEEDaPvRmT3_T4_T5_mT6_P12ihipStream_tbENKUlT_T0_E_clISt17integral_constantIbLb1EESW_IbLb0EEEEDaSS_ST_EUlSS_E0_NS1_11comp_targetILNS1_3genE3ELNS1_11target_archE908ELNS1_3gpuE7ELNS1_3repE0EEENS1_30default_config_static_selectorELNS0_4arch9wavefront6targetE1EEEvT1_,comdat
.Lfunc_end3902:
	.size	_ZN7rocprim17ROCPRIM_400000_NS6detail17trampoline_kernelINS0_14default_configENS1_20scan_config_selectorIiEEZZNS1_9scan_implILNS1_25lookback_scan_determinismE0ELb0ELb0ES3_N6thrust23THRUST_200600_302600_NS6detail15normal_iteratorINS9_10device_ptrIiEEEENS9_16discard_iteratorINS9_11use_defaultEEEi11max_functorIiEiEEDaPvRmT3_T4_T5_mT6_P12ihipStream_tbENKUlT_T0_E_clISt17integral_constantIbLb1EESW_IbLb0EEEEDaSS_ST_EUlSS_E0_NS1_11comp_targetILNS1_3genE3ELNS1_11target_archE908ELNS1_3gpuE7ELNS1_3repE0EEENS1_30default_config_static_selectorELNS0_4arch9wavefront6targetE1EEEvT1_, .Lfunc_end3902-_ZN7rocprim17ROCPRIM_400000_NS6detail17trampoline_kernelINS0_14default_configENS1_20scan_config_selectorIiEEZZNS1_9scan_implILNS1_25lookback_scan_determinismE0ELb0ELb0ES3_N6thrust23THRUST_200600_302600_NS6detail15normal_iteratorINS9_10device_ptrIiEEEENS9_16discard_iteratorINS9_11use_defaultEEEi11max_functorIiEiEEDaPvRmT3_T4_T5_mT6_P12ihipStream_tbENKUlT_T0_E_clISt17integral_constantIbLb1EESW_IbLb0EEEEDaSS_ST_EUlSS_E0_NS1_11comp_targetILNS1_3genE3ELNS1_11target_archE908ELNS1_3gpuE7ELNS1_3repE0EEENS1_30default_config_static_selectorELNS0_4arch9wavefront6targetE1EEEvT1_
                                        ; -- End function
	.section	.AMDGPU.csdata,"",@progbits
; Kernel info:
; codeLenInByte = 0
; NumSgprs: 4
; NumVgprs: 0
; NumAgprs: 0
; TotalNumVgprs: 0
; ScratchSize: 0
; MemoryBound: 0
; FloatMode: 240
; IeeeMode: 1
; LDSByteSize: 0 bytes/workgroup (compile time only)
; SGPRBlocks: 0
; VGPRBlocks: 0
; NumSGPRsForWavesPerEU: 4
; NumVGPRsForWavesPerEU: 1
; AccumOffset: 4
; Occupancy: 8
; WaveLimiterHint : 0
; COMPUTE_PGM_RSRC2:SCRATCH_EN: 0
; COMPUTE_PGM_RSRC2:USER_SGPR: 6
; COMPUTE_PGM_RSRC2:TRAP_HANDLER: 0
; COMPUTE_PGM_RSRC2:TGID_X_EN: 1
; COMPUTE_PGM_RSRC2:TGID_Y_EN: 0
; COMPUTE_PGM_RSRC2:TGID_Z_EN: 0
; COMPUTE_PGM_RSRC2:TIDIG_COMP_CNT: 0
; COMPUTE_PGM_RSRC3_GFX90A:ACCUM_OFFSET: 0
; COMPUTE_PGM_RSRC3_GFX90A:TG_SPLIT: 0
	.section	.text._ZN7rocprim17ROCPRIM_400000_NS6detail17trampoline_kernelINS0_14default_configENS1_20scan_config_selectorIiEEZZNS1_9scan_implILNS1_25lookback_scan_determinismE0ELb0ELb0ES3_N6thrust23THRUST_200600_302600_NS6detail15normal_iteratorINS9_10device_ptrIiEEEENS9_16discard_iteratorINS9_11use_defaultEEEi11max_functorIiEiEEDaPvRmT3_T4_T5_mT6_P12ihipStream_tbENKUlT_T0_E_clISt17integral_constantIbLb1EESW_IbLb0EEEEDaSS_ST_EUlSS_E0_NS1_11comp_targetILNS1_3genE2ELNS1_11target_archE906ELNS1_3gpuE6ELNS1_3repE0EEENS1_30default_config_static_selectorELNS0_4arch9wavefront6targetE1EEEvT1_,"axG",@progbits,_ZN7rocprim17ROCPRIM_400000_NS6detail17trampoline_kernelINS0_14default_configENS1_20scan_config_selectorIiEEZZNS1_9scan_implILNS1_25lookback_scan_determinismE0ELb0ELb0ES3_N6thrust23THRUST_200600_302600_NS6detail15normal_iteratorINS9_10device_ptrIiEEEENS9_16discard_iteratorINS9_11use_defaultEEEi11max_functorIiEiEEDaPvRmT3_T4_T5_mT6_P12ihipStream_tbENKUlT_T0_E_clISt17integral_constantIbLb1EESW_IbLb0EEEEDaSS_ST_EUlSS_E0_NS1_11comp_targetILNS1_3genE2ELNS1_11target_archE906ELNS1_3gpuE6ELNS1_3repE0EEENS1_30default_config_static_selectorELNS0_4arch9wavefront6targetE1EEEvT1_,comdat
	.protected	_ZN7rocprim17ROCPRIM_400000_NS6detail17trampoline_kernelINS0_14default_configENS1_20scan_config_selectorIiEEZZNS1_9scan_implILNS1_25lookback_scan_determinismE0ELb0ELb0ES3_N6thrust23THRUST_200600_302600_NS6detail15normal_iteratorINS9_10device_ptrIiEEEENS9_16discard_iteratorINS9_11use_defaultEEEi11max_functorIiEiEEDaPvRmT3_T4_T5_mT6_P12ihipStream_tbENKUlT_T0_E_clISt17integral_constantIbLb1EESW_IbLb0EEEEDaSS_ST_EUlSS_E0_NS1_11comp_targetILNS1_3genE2ELNS1_11target_archE906ELNS1_3gpuE6ELNS1_3repE0EEENS1_30default_config_static_selectorELNS0_4arch9wavefront6targetE1EEEvT1_ ; -- Begin function _ZN7rocprim17ROCPRIM_400000_NS6detail17trampoline_kernelINS0_14default_configENS1_20scan_config_selectorIiEEZZNS1_9scan_implILNS1_25lookback_scan_determinismE0ELb0ELb0ES3_N6thrust23THRUST_200600_302600_NS6detail15normal_iteratorINS9_10device_ptrIiEEEENS9_16discard_iteratorINS9_11use_defaultEEEi11max_functorIiEiEEDaPvRmT3_T4_T5_mT6_P12ihipStream_tbENKUlT_T0_E_clISt17integral_constantIbLb1EESW_IbLb0EEEEDaSS_ST_EUlSS_E0_NS1_11comp_targetILNS1_3genE2ELNS1_11target_archE906ELNS1_3gpuE6ELNS1_3repE0EEENS1_30default_config_static_selectorELNS0_4arch9wavefront6targetE1EEEvT1_
	.globl	_ZN7rocprim17ROCPRIM_400000_NS6detail17trampoline_kernelINS0_14default_configENS1_20scan_config_selectorIiEEZZNS1_9scan_implILNS1_25lookback_scan_determinismE0ELb0ELb0ES3_N6thrust23THRUST_200600_302600_NS6detail15normal_iteratorINS9_10device_ptrIiEEEENS9_16discard_iteratorINS9_11use_defaultEEEi11max_functorIiEiEEDaPvRmT3_T4_T5_mT6_P12ihipStream_tbENKUlT_T0_E_clISt17integral_constantIbLb1EESW_IbLb0EEEEDaSS_ST_EUlSS_E0_NS1_11comp_targetILNS1_3genE2ELNS1_11target_archE906ELNS1_3gpuE6ELNS1_3repE0EEENS1_30default_config_static_selectorELNS0_4arch9wavefront6targetE1EEEvT1_
	.p2align	8
	.type	_ZN7rocprim17ROCPRIM_400000_NS6detail17trampoline_kernelINS0_14default_configENS1_20scan_config_selectorIiEEZZNS1_9scan_implILNS1_25lookback_scan_determinismE0ELb0ELb0ES3_N6thrust23THRUST_200600_302600_NS6detail15normal_iteratorINS9_10device_ptrIiEEEENS9_16discard_iteratorINS9_11use_defaultEEEi11max_functorIiEiEEDaPvRmT3_T4_T5_mT6_P12ihipStream_tbENKUlT_T0_E_clISt17integral_constantIbLb1EESW_IbLb0EEEEDaSS_ST_EUlSS_E0_NS1_11comp_targetILNS1_3genE2ELNS1_11target_archE906ELNS1_3gpuE6ELNS1_3repE0EEENS1_30default_config_static_selectorELNS0_4arch9wavefront6targetE1EEEvT1_,@function
_ZN7rocprim17ROCPRIM_400000_NS6detail17trampoline_kernelINS0_14default_configENS1_20scan_config_selectorIiEEZZNS1_9scan_implILNS1_25lookback_scan_determinismE0ELb0ELb0ES3_N6thrust23THRUST_200600_302600_NS6detail15normal_iteratorINS9_10device_ptrIiEEEENS9_16discard_iteratorINS9_11use_defaultEEEi11max_functorIiEiEEDaPvRmT3_T4_T5_mT6_P12ihipStream_tbENKUlT_T0_E_clISt17integral_constantIbLb1EESW_IbLb0EEEEDaSS_ST_EUlSS_E0_NS1_11comp_targetILNS1_3genE2ELNS1_11target_archE906ELNS1_3gpuE6ELNS1_3repE0EEENS1_30default_config_static_selectorELNS0_4arch9wavefront6targetE1EEEvT1_: ; @_ZN7rocprim17ROCPRIM_400000_NS6detail17trampoline_kernelINS0_14default_configENS1_20scan_config_selectorIiEEZZNS1_9scan_implILNS1_25lookback_scan_determinismE0ELb0ELb0ES3_N6thrust23THRUST_200600_302600_NS6detail15normal_iteratorINS9_10device_ptrIiEEEENS9_16discard_iteratorINS9_11use_defaultEEEi11max_functorIiEiEEDaPvRmT3_T4_T5_mT6_P12ihipStream_tbENKUlT_T0_E_clISt17integral_constantIbLb1EESW_IbLb0EEEEDaSS_ST_EUlSS_E0_NS1_11comp_targetILNS1_3genE2ELNS1_11target_archE906ELNS1_3gpuE6ELNS1_3repE0EEENS1_30default_config_static_selectorELNS0_4arch9wavefront6targetE1EEEvT1_
; %bb.0:
	.section	.rodata,"a",@progbits
	.p2align	6, 0x0
	.amdhsa_kernel _ZN7rocprim17ROCPRIM_400000_NS6detail17trampoline_kernelINS0_14default_configENS1_20scan_config_selectorIiEEZZNS1_9scan_implILNS1_25lookback_scan_determinismE0ELb0ELb0ES3_N6thrust23THRUST_200600_302600_NS6detail15normal_iteratorINS9_10device_ptrIiEEEENS9_16discard_iteratorINS9_11use_defaultEEEi11max_functorIiEiEEDaPvRmT3_T4_T5_mT6_P12ihipStream_tbENKUlT_T0_E_clISt17integral_constantIbLb1EESW_IbLb0EEEEDaSS_ST_EUlSS_E0_NS1_11comp_targetILNS1_3genE2ELNS1_11target_archE906ELNS1_3gpuE6ELNS1_3repE0EEENS1_30default_config_static_selectorELNS0_4arch9wavefront6targetE1EEEvT1_
		.amdhsa_group_segment_fixed_size 0
		.amdhsa_private_segment_fixed_size 0
		.amdhsa_kernarg_size 40
		.amdhsa_user_sgpr_count 6
		.amdhsa_user_sgpr_private_segment_buffer 1
		.amdhsa_user_sgpr_dispatch_ptr 0
		.amdhsa_user_sgpr_queue_ptr 0
		.amdhsa_user_sgpr_kernarg_segment_ptr 1
		.amdhsa_user_sgpr_dispatch_id 0
		.amdhsa_user_sgpr_flat_scratch_init 0
		.amdhsa_user_sgpr_kernarg_preload_length 0
		.amdhsa_user_sgpr_kernarg_preload_offset 0
		.amdhsa_user_sgpr_private_segment_size 0
		.amdhsa_uses_dynamic_stack 0
		.amdhsa_system_sgpr_private_segment_wavefront_offset 0
		.amdhsa_system_sgpr_workgroup_id_x 1
		.amdhsa_system_sgpr_workgroup_id_y 0
		.amdhsa_system_sgpr_workgroup_id_z 0
		.amdhsa_system_sgpr_workgroup_info 0
		.amdhsa_system_vgpr_workitem_id 0
		.amdhsa_next_free_vgpr 1
		.amdhsa_next_free_sgpr 0
		.amdhsa_accum_offset 4
		.amdhsa_reserve_vcc 0
		.amdhsa_reserve_flat_scratch 0
		.amdhsa_float_round_mode_32 0
		.amdhsa_float_round_mode_16_64 0
		.amdhsa_float_denorm_mode_32 3
		.amdhsa_float_denorm_mode_16_64 3
		.amdhsa_dx10_clamp 1
		.amdhsa_ieee_mode 1
		.amdhsa_fp16_overflow 0
		.amdhsa_tg_split 0
		.amdhsa_exception_fp_ieee_invalid_op 0
		.amdhsa_exception_fp_denorm_src 0
		.amdhsa_exception_fp_ieee_div_zero 0
		.amdhsa_exception_fp_ieee_overflow 0
		.amdhsa_exception_fp_ieee_underflow 0
		.amdhsa_exception_fp_ieee_inexact 0
		.amdhsa_exception_int_div_zero 0
	.end_amdhsa_kernel
	.section	.text._ZN7rocprim17ROCPRIM_400000_NS6detail17trampoline_kernelINS0_14default_configENS1_20scan_config_selectorIiEEZZNS1_9scan_implILNS1_25lookback_scan_determinismE0ELb0ELb0ES3_N6thrust23THRUST_200600_302600_NS6detail15normal_iteratorINS9_10device_ptrIiEEEENS9_16discard_iteratorINS9_11use_defaultEEEi11max_functorIiEiEEDaPvRmT3_T4_T5_mT6_P12ihipStream_tbENKUlT_T0_E_clISt17integral_constantIbLb1EESW_IbLb0EEEEDaSS_ST_EUlSS_E0_NS1_11comp_targetILNS1_3genE2ELNS1_11target_archE906ELNS1_3gpuE6ELNS1_3repE0EEENS1_30default_config_static_selectorELNS0_4arch9wavefront6targetE1EEEvT1_,"axG",@progbits,_ZN7rocprim17ROCPRIM_400000_NS6detail17trampoline_kernelINS0_14default_configENS1_20scan_config_selectorIiEEZZNS1_9scan_implILNS1_25lookback_scan_determinismE0ELb0ELb0ES3_N6thrust23THRUST_200600_302600_NS6detail15normal_iteratorINS9_10device_ptrIiEEEENS9_16discard_iteratorINS9_11use_defaultEEEi11max_functorIiEiEEDaPvRmT3_T4_T5_mT6_P12ihipStream_tbENKUlT_T0_E_clISt17integral_constantIbLb1EESW_IbLb0EEEEDaSS_ST_EUlSS_E0_NS1_11comp_targetILNS1_3genE2ELNS1_11target_archE906ELNS1_3gpuE6ELNS1_3repE0EEENS1_30default_config_static_selectorELNS0_4arch9wavefront6targetE1EEEvT1_,comdat
.Lfunc_end3903:
	.size	_ZN7rocprim17ROCPRIM_400000_NS6detail17trampoline_kernelINS0_14default_configENS1_20scan_config_selectorIiEEZZNS1_9scan_implILNS1_25lookback_scan_determinismE0ELb0ELb0ES3_N6thrust23THRUST_200600_302600_NS6detail15normal_iteratorINS9_10device_ptrIiEEEENS9_16discard_iteratorINS9_11use_defaultEEEi11max_functorIiEiEEDaPvRmT3_T4_T5_mT6_P12ihipStream_tbENKUlT_T0_E_clISt17integral_constantIbLb1EESW_IbLb0EEEEDaSS_ST_EUlSS_E0_NS1_11comp_targetILNS1_3genE2ELNS1_11target_archE906ELNS1_3gpuE6ELNS1_3repE0EEENS1_30default_config_static_selectorELNS0_4arch9wavefront6targetE1EEEvT1_, .Lfunc_end3903-_ZN7rocprim17ROCPRIM_400000_NS6detail17trampoline_kernelINS0_14default_configENS1_20scan_config_selectorIiEEZZNS1_9scan_implILNS1_25lookback_scan_determinismE0ELb0ELb0ES3_N6thrust23THRUST_200600_302600_NS6detail15normal_iteratorINS9_10device_ptrIiEEEENS9_16discard_iteratorINS9_11use_defaultEEEi11max_functorIiEiEEDaPvRmT3_T4_T5_mT6_P12ihipStream_tbENKUlT_T0_E_clISt17integral_constantIbLb1EESW_IbLb0EEEEDaSS_ST_EUlSS_E0_NS1_11comp_targetILNS1_3genE2ELNS1_11target_archE906ELNS1_3gpuE6ELNS1_3repE0EEENS1_30default_config_static_selectorELNS0_4arch9wavefront6targetE1EEEvT1_
                                        ; -- End function
	.section	.AMDGPU.csdata,"",@progbits
; Kernel info:
; codeLenInByte = 0
; NumSgprs: 4
; NumVgprs: 0
; NumAgprs: 0
; TotalNumVgprs: 0
; ScratchSize: 0
; MemoryBound: 0
; FloatMode: 240
; IeeeMode: 1
; LDSByteSize: 0 bytes/workgroup (compile time only)
; SGPRBlocks: 0
; VGPRBlocks: 0
; NumSGPRsForWavesPerEU: 4
; NumVGPRsForWavesPerEU: 1
; AccumOffset: 4
; Occupancy: 8
; WaveLimiterHint : 0
; COMPUTE_PGM_RSRC2:SCRATCH_EN: 0
; COMPUTE_PGM_RSRC2:USER_SGPR: 6
; COMPUTE_PGM_RSRC2:TRAP_HANDLER: 0
; COMPUTE_PGM_RSRC2:TGID_X_EN: 1
; COMPUTE_PGM_RSRC2:TGID_Y_EN: 0
; COMPUTE_PGM_RSRC2:TGID_Z_EN: 0
; COMPUTE_PGM_RSRC2:TIDIG_COMP_CNT: 0
; COMPUTE_PGM_RSRC3_GFX90A:ACCUM_OFFSET: 0
; COMPUTE_PGM_RSRC3_GFX90A:TG_SPLIT: 0
	.section	.text._ZN7rocprim17ROCPRIM_400000_NS6detail17trampoline_kernelINS0_14default_configENS1_20scan_config_selectorIiEEZZNS1_9scan_implILNS1_25lookback_scan_determinismE0ELb0ELb0ES3_N6thrust23THRUST_200600_302600_NS6detail15normal_iteratorINS9_10device_ptrIiEEEENS9_16discard_iteratorINS9_11use_defaultEEEi11max_functorIiEiEEDaPvRmT3_T4_T5_mT6_P12ihipStream_tbENKUlT_T0_E_clISt17integral_constantIbLb1EESW_IbLb0EEEEDaSS_ST_EUlSS_E0_NS1_11comp_targetILNS1_3genE10ELNS1_11target_archE1201ELNS1_3gpuE5ELNS1_3repE0EEENS1_30default_config_static_selectorELNS0_4arch9wavefront6targetE1EEEvT1_,"axG",@progbits,_ZN7rocprim17ROCPRIM_400000_NS6detail17trampoline_kernelINS0_14default_configENS1_20scan_config_selectorIiEEZZNS1_9scan_implILNS1_25lookback_scan_determinismE0ELb0ELb0ES3_N6thrust23THRUST_200600_302600_NS6detail15normal_iteratorINS9_10device_ptrIiEEEENS9_16discard_iteratorINS9_11use_defaultEEEi11max_functorIiEiEEDaPvRmT3_T4_T5_mT6_P12ihipStream_tbENKUlT_T0_E_clISt17integral_constantIbLb1EESW_IbLb0EEEEDaSS_ST_EUlSS_E0_NS1_11comp_targetILNS1_3genE10ELNS1_11target_archE1201ELNS1_3gpuE5ELNS1_3repE0EEENS1_30default_config_static_selectorELNS0_4arch9wavefront6targetE1EEEvT1_,comdat
	.protected	_ZN7rocprim17ROCPRIM_400000_NS6detail17trampoline_kernelINS0_14default_configENS1_20scan_config_selectorIiEEZZNS1_9scan_implILNS1_25lookback_scan_determinismE0ELb0ELb0ES3_N6thrust23THRUST_200600_302600_NS6detail15normal_iteratorINS9_10device_ptrIiEEEENS9_16discard_iteratorINS9_11use_defaultEEEi11max_functorIiEiEEDaPvRmT3_T4_T5_mT6_P12ihipStream_tbENKUlT_T0_E_clISt17integral_constantIbLb1EESW_IbLb0EEEEDaSS_ST_EUlSS_E0_NS1_11comp_targetILNS1_3genE10ELNS1_11target_archE1201ELNS1_3gpuE5ELNS1_3repE0EEENS1_30default_config_static_selectorELNS0_4arch9wavefront6targetE1EEEvT1_ ; -- Begin function _ZN7rocprim17ROCPRIM_400000_NS6detail17trampoline_kernelINS0_14default_configENS1_20scan_config_selectorIiEEZZNS1_9scan_implILNS1_25lookback_scan_determinismE0ELb0ELb0ES3_N6thrust23THRUST_200600_302600_NS6detail15normal_iteratorINS9_10device_ptrIiEEEENS9_16discard_iteratorINS9_11use_defaultEEEi11max_functorIiEiEEDaPvRmT3_T4_T5_mT6_P12ihipStream_tbENKUlT_T0_E_clISt17integral_constantIbLb1EESW_IbLb0EEEEDaSS_ST_EUlSS_E0_NS1_11comp_targetILNS1_3genE10ELNS1_11target_archE1201ELNS1_3gpuE5ELNS1_3repE0EEENS1_30default_config_static_selectorELNS0_4arch9wavefront6targetE1EEEvT1_
	.globl	_ZN7rocprim17ROCPRIM_400000_NS6detail17trampoline_kernelINS0_14default_configENS1_20scan_config_selectorIiEEZZNS1_9scan_implILNS1_25lookback_scan_determinismE0ELb0ELb0ES3_N6thrust23THRUST_200600_302600_NS6detail15normal_iteratorINS9_10device_ptrIiEEEENS9_16discard_iteratorINS9_11use_defaultEEEi11max_functorIiEiEEDaPvRmT3_T4_T5_mT6_P12ihipStream_tbENKUlT_T0_E_clISt17integral_constantIbLb1EESW_IbLb0EEEEDaSS_ST_EUlSS_E0_NS1_11comp_targetILNS1_3genE10ELNS1_11target_archE1201ELNS1_3gpuE5ELNS1_3repE0EEENS1_30default_config_static_selectorELNS0_4arch9wavefront6targetE1EEEvT1_
	.p2align	8
	.type	_ZN7rocprim17ROCPRIM_400000_NS6detail17trampoline_kernelINS0_14default_configENS1_20scan_config_selectorIiEEZZNS1_9scan_implILNS1_25lookback_scan_determinismE0ELb0ELb0ES3_N6thrust23THRUST_200600_302600_NS6detail15normal_iteratorINS9_10device_ptrIiEEEENS9_16discard_iteratorINS9_11use_defaultEEEi11max_functorIiEiEEDaPvRmT3_T4_T5_mT6_P12ihipStream_tbENKUlT_T0_E_clISt17integral_constantIbLb1EESW_IbLb0EEEEDaSS_ST_EUlSS_E0_NS1_11comp_targetILNS1_3genE10ELNS1_11target_archE1201ELNS1_3gpuE5ELNS1_3repE0EEENS1_30default_config_static_selectorELNS0_4arch9wavefront6targetE1EEEvT1_,@function
_ZN7rocprim17ROCPRIM_400000_NS6detail17trampoline_kernelINS0_14default_configENS1_20scan_config_selectorIiEEZZNS1_9scan_implILNS1_25lookback_scan_determinismE0ELb0ELb0ES3_N6thrust23THRUST_200600_302600_NS6detail15normal_iteratorINS9_10device_ptrIiEEEENS9_16discard_iteratorINS9_11use_defaultEEEi11max_functorIiEiEEDaPvRmT3_T4_T5_mT6_P12ihipStream_tbENKUlT_T0_E_clISt17integral_constantIbLb1EESW_IbLb0EEEEDaSS_ST_EUlSS_E0_NS1_11comp_targetILNS1_3genE10ELNS1_11target_archE1201ELNS1_3gpuE5ELNS1_3repE0EEENS1_30default_config_static_selectorELNS0_4arch9wavefront6targetE1EEEvT1_: ; @_ZN7rocprim17ROCPRIM_400000_NS6detail17trampoline_kernelINS0_14default_configENS1_20scan_config_selectorIiEEZZNS1_9scan_implILNS1_25lookback_scan_determinismE0ELb0ELb0ES3_N6thrust23THRUST_200600_302600_NS6detail15normal_iteratorINS9_10device_ptrIiEEEENS9_16discard_iteratorINS9_11use_defaultEEEi11max_functorIiEiEEDaPvRmT3_T4_T5_mT6_P12ihipStream_tbENKUlT_T0_E_clISt17integral_constantIbLb1EESW_IbLb0EEEEDaSS_ST_EUlSS_E0_NS1_11comp_targetILNS1_3genE10ELNS1_11target_archE1201ELNS1_3gpuE5ELNS1_3repE0EEENS1_30default_config_static_selectorELNS0_4arch9wavefront6targetE1EEEvT1_
; %bb.0:
	.section	.rodata,"a",@progbits
	.p2align	6, 0x0
	.amdhsa_kernel _ZN7rocprim17ROCPRIM_400000_NS6detail17trampoline_kernelINS0_14default_configENS1_20scan_config_selectorIiEEZZNS1_9scan_implILNS1_25lookback_scan_determinismE0ELb0ELb0ES3_N6thrust23THRUST_200600_302600_NS6detail15normal_iteratorINS9_10device_ptrIiEEEENS9_16discard_iteratorINS9_11use_defaultEEEi11max_functorIiEiEEDaPvRmT3_T4_T5_mT6_P12ihipStream_tbENKUlT_T0_E_clISt17integral_constantIbLb1EESW_IbLb0EEEEDaSS_ST_EUlSS_E0_NS1_11comp_targetILNS1_3genE10ELNS1_11target_archE1201ELNS1_3gpuE5ELNS1_3repE0EEENS1_30default_config_static_selectorELNS0_4arch9wavefront6targetE1EEEvT1_
		.amdhsa_group_segment_fixed_size 0
		.amdhsa_private_segment_fixed_size 0
		.amdhsa_kernarg_size 40
		.amdhsa_user_sgpr_count 6
		.amdhsa_user_sgpr_private_segment_buffer 1
		.amdhsa_user_sgpr_dispatch_ptr 0
		.amdhsa_user_sgpr_queue_ptr 0
		.amdhsa_user_sgpr_kernarg_segment_ptr 1
		.amdhsa_user_sgpr_dispatch_id 0
		.amdhsa_user_sgpr_flat_scratch_init 0
		.amdhsa_user_sgpr_kernarg_preload_length 0
		.amdhsa_user_sgpr_kernarg_preload_offset 0
		.amdhsa_user_sgpr_private_segment_size 0
		.amdhsa_uses_dynamic_stack 0
		.amdhsa_system_sgpr_private_segment_wavefront_offset 0
		.amdhsa_system_sgpr_workgroup_id_x 1
		.amdhsa_system_sgpr_workgroup_id_y 0
		.amdhsa_system_sgpr_workgroup_id_z 0
		.amdhsa_system_sgpr_workgroup_info 0
		.amdhsa_system_vgpr_workitem_id 0
		.amdhsa_next_free_vgpr 1
		.amdhsa_next_free_sgpr 0
		.amdhsa_accum_offset 4
		.amdhsa_reserve_vcc 0
		.amdhsa_reserve_flat_scratch 0
		.amdhsa_float_round_mode_32 0
		.amdhsa_float_round_mode_16_64 0
		.amdhsa_float_denorm_mode_32 3
		.amdhsa_float_denorm_mode_16_64 3
		.amdhsa_dx10_clamp 1
		.amdhsa_ieee_mode 1
		.amdhsa_fp16_overflow 0
		.amdhsa_tg_split 0
		.amdhsa_exception_fp_ieee_invalid_op 0
		.amdhsa_exception_fp_denorm_src 0
		.amdhsa_exception_fp_ieee_div_zero 0
		.amdhsa_exception_fp_ieee_overflow 0
		.amdhsa_exception_fp_ieee_underflow 0
		.amdhsa_exception_fp_ieee_inexact 0
		.amdhsa_exception_int_div_zero 0
	.end_amdhsa_kernel
	.section	.text._ZN7rocprim17ROCPRIM_400000_NS6detail17trampoline_kernelINS0_14default_configENS1_20scan_config_selectorIiEEZZNS1_9scan_implILNS1_25lookback_scan_determinismE0ELb0ELb0ES3_N6thrust23THRUST_200600_302600_NS6detail15normal_iteratorINS9_10device_ptrIiEEEENS9_16discard_iteratorINS9_11use_defaultEEEi11max_functorIiEiEEDaPvRmT3_T4_T5_mT6_P12ihipStream_tbENKUlT_T0_E_clISt17integral_constantIbLb1EESW_IbLb0EEEEDaSS_ST_EUlSS_E0_NS1_11comp_targetILNS1_3genE10ELNS1_11target_archE1201ELNS1_3gpuE5ELNS1_3repE0EEENS1_30default_config_static_selectorELNS0_4arch9wavefront6targetE1EEEvT1_,"axG",@progbits,_ZN7rocprim17ROCPRIM_400000_NS6detail17trampoline_kernelINS0_14default_configENS1_20scan_config_selectorIiEEZZNS1_9scan_implILNS1_25lookback_scan_determinismE0ELb0ELb0ES3_N6thrust23THRUST_200600_302600_NS6detail15normal_iteratorINS9_10device_ptrIiEEEENS9_16discard_iteratorINS9_11use_defaultEEEi11max_functorIiEiEEDaPvRmT3_T4_T5_mT6_P12ihipStream_tbENKUlT_T0_E_clISt17integral_constantIbLb1EESW_IbLb0EEEEDaSS_ST_EUlSS_E0_NS1_11comp_targetILNS1_3genE10ELNS1_11target_archE1201ELNS1_3gpuE5ELNS1_3repE0EEENS1_30default_config_static_selectorELNS0_4arch9wavefront6targetE1EEEvT1_,comdat
.Lfunc_end3904:
	.size	_ZN7rocprim17ROCPRIM_400000_NS6detail17trampoline_kernelINS0_14default_configENS1_20scan_config_selectorIiEEZZNS1_9scan_implILNS1_25lookback_scan_determinismE0ELb0ELb0ES3_N6thrust23THRUST_200600_302600_NS6detail15normal_iteratorINS9_10device_ptrIiEEEENS9_16discard_iteratorINS9_11use_defaultEEEi11max_functorIiEiEEDaPvRmT3_T4_T5_mT6_P12ihipStream_tbENKUlT_T0_E_clISt17integral_constantIbLb1EESW_IbLb0EEEEDaSS_ST_EUlSS_E0_NS1_11comp_targetILNS1_3genE10ELNS1_11target_archE1201ELNS1_3gpuE5ELNS1_3repE0EEENS1_30default_config_static_selectorELNS0_4arch9wavefront6targetE1EEEvT1_, .Lfunc_end3904-_ZN7rocprim17ROCPRIM_400000_NS6detail17trampoline_kernelINS0_14default_configENS1_20scan_config_selectorIiEEZZNS1_9scan_implILNS1_25lookback_scan_determinismE0ELb0ELb0ES3_N6thrust23THRUST_200600_302600_NS6detail15normal_iteratorINS9_10device_ptrIiEEEENS9_16discard_iteratorINS9_11use_defaultEEEi11max_functorIiEiEEDaPvRmT3_T4_T5_mT6_P12ihipStream_tbENKUlT_T0_E_clISt17integral_constantIbLb1EESW_IbLb0EEEEDaSS_ST_EUlSS_E0_NS1_11comp_targetILNS1_3genE10ELNS1_11target_archE1201ELNS1_3gpuE5ELNS1_3repE0EEENS1_30default_config_static_selectorELNS0_4arch9wavefront6targetE1EEEvT1_
                                        ; -- End function
	.section	.AMDGPU.csdata,"",@progbits
; Kernel info:
; codeLenInByte = 0
; NumSgprs: 4
; NumVgprs: 0
; NumAgprs: 0
; TotalNumVgprs: 0
; ScratchSize: 0
; MemoryBound: 0
; FloatMode: 240
; IeeeMode: 1
; LDSByteSize: 0 bytes/workgroup (compile time only)
; SGPRBlocks: 0
; VGPRBlocks: 0
; NumSGPRsForWavesPerEU: 4
; NumVGPRsForWavesPerEU: 1
; AccumOffset: 4
; Occupancy: 8
; WaveLimiterHint : 0
; COMPUTE_PGM_RSRC2:SCRATCH_EN: 0
; COMPUTE_PGM_RSRC2:USER_SGPR: 6
; COMPUTE_PGM_RSRC2:TRAP_HANDLER: 0
; COMPUTE_PGM_RSRC2:TGID_X_EN: 1
; COMPUTE_PGM_RSRC2:TGID_Y_EN: 0
; COMPUTE_PGM_RSRC2:TGID_Z_EN: 0
; COMPUTE_PGM_RSRC2:TIDIG_COMP_CNT: 0
; COMPUTE_PGM_RSRC3_GFX90A:ACCUM_OFFSET: 0
; COMPUTE_PGM_RSRC3_GFX90A:TG_SPLIT: 0
	.section	.text._ZN7rocprim17ROCPRIM_400000_NS6detail17trampoline_kernelINS0_14default_configENS1_20scan_config_selectorIiEEZZNS1_9scan_implILNS1_25lookback_scan_determinismE0ELb0ELb0ES3_N6thrust23THRUST_200600_302600_NS6detail15normal_iteratorINS9_10device_ptrIiEEEENS9_16discard_iteratorINS9_11use_defaultEEEi11max_functorIiEiEEDaPvRmT3_T4_T5_mT6_P12ihipStream_tbENKUlT_T0_E_clISt17integral_constantIbLb1EESW_IbLb0EEEEDaSS_ST_EUlSS_E0_NS1_11comp_targetILNS1_3genE10ELNS1_11target_archE1200ELNS1_3gpuE4ELNS1_3repE0EEENS1_30default_config_static_selectorELNS0_4arch9wavefront6targetE1EEEvT1_,"axG",@progbits,_ZN7rocprim17ROCPRIM_400000_NS6detail17trampoline_kernelINS0_14default_configENS1_20scan_config_selectorIiEEZZNS1_9scan_implILNS1_25lookback_scan_determinismE0ELb0ELb0ES3_N6thrust23THRUST_200600_302600_NS6detail15normal_iteratorINS9_10device_ptrIiEEEENS9_16discard_iteratorINS9_11use_defaultEEEi11max_functorIiEiEEDaPvRmT3_T4_T5_mT6_P12ihipStream_tbENKUlT_T0_E_clISt17integral_constantIbLb1EESW_IbLb0EEEEDaSS_ST_EUlSS_E0_NS1_11comp_targetILNS1_3genE10ELNS1_11target_archE1200ELNS1_3gpuE4ELNS1_3repE0EEENS1_30default_config_static_selectorELNS0_4arch9wavefront6targetE1EEEvT1_,comdat
	.protected	_ZN7rocprim17ROCPRIM_400000_NS6detail17trampoline_kernelINS0_14default_configENS1_20scan_config_selectorIiEEZZNS1_9scan_implILNS1_25lookback_scan_determinismE0ELb0ELb0ES3_N6thrust23THRUST_200600_302600_NS6detail15normal_iteratorINS9_10device_ptrIiEEEENS9_16discard_iteratorINS9_11use_defaultEEEi11max_functorIiEiEEDaPvRmT3_T4_T5_mT6_P12ihipStream_tbENKUlT_T0_E_clISt17integral_constantIbLb1EESW_IbLb0EEEEDaSS_ST_EUlSS_E0_NS1_11comp_targetILNS1_3genE10ELNS1_11target_archE1200ELNS1_3gpuE4ELNS1_3repE0EEENS1_30default_config_static_selectorELNS0_4arch9wavefront6targetE1EEEvT1_ ; -- Begin function _ZN7rocprim17ROCPRIM_400000_NS6detail17trampoline_kernelINS0_14default_configENS1_20scan_config_selectorIiEEZZNS1_9scan_implILNS1_25lookback_scan_determinismE0ELb0ELb0ES3_N6thrust23THRUST_200600_302600_NS6detail15normal_iteratorINS9_10device_ptrIiEEEENS9_16discard_iteratorINS9_11use_defaultEEEi11max_functorIiEiEEDaPvRmT3_T4_T5_mT6_P12ihipStream_tbENKUlT_T0_E_clISt17integral_constantIbLb1EESW_IbLb0EEEEDaSS_ST_EUlSS_E0_NS1_11comp_targetILNS1_3genE10ELNS1_11target_archE1200ELNS1_3gpuE4ELNS1_3repE0EEENS1_30default_config_static_selectorELNS0_4arch9wavefront6targetE1EEEvT1_
	.globl	_ZN7rocprim17ROCPRIM_400000_NS6detail17trampoline_kernelINS0_14default_configENS1_20scan_config_selectorIiEEZZNS1_9scan_implILNS1_25lookback_scan_determinismE0ELb0ELb0ES3_N6thrust23THRUST_200600_302600_NS6detail15normal_iteratorINS9_10device_ptrIiEEEENS9_16discard_iteratorINS9_11use_defaultEEEi11max_functorIiEiEEDaPvRmT3_T4_T5_mT6_P12ihipStream_tbENKUlT_T0_E_clISt17integral_constantIbLb1EESW_IbLb0EEEEDaSS_ST_EUlSS_E0_NS1_11comp_targetILNS1_3genE10ELNS1_11target_archE1200ELNS1_3gpuE4ELNS1_3repE0EEENS1_30default_config_static_selectorELNS0_4arch9wavefront6targetE1EEEvT1_
	.p2align	8
	.type	_ZN7rocprim17ROCPRIM_400000_NS6detail17trampoline_kernelINS0_14default_configENS1_20scan_config_selectorIiEEZZNS1_9scan_implILNS1_25lookback_scan_determinismE0ELb0ELb0ES3_N6thrust23THRUST_200600_302600_NS6detail15normal_iteratorINS9_10device_ptrIiEEEENS9_16discard_iteratorINS9_11use_defaultEEEi11max_functorIiEiEEDaPvRmT3_T4_T5_mT6_P12ihipStream_tbENKUlT_T0_E_clISt17integral_constantIbLb1EESW_IbLb0EEEEDaSS_ST_EUlSS_E0_NS1_11comp_targetILNS1_3genE10ELNS1_11target_archE1200ELNS1_3gpuE4ELNS1_3repE0EEENS1_30default_config_static_selectorELNS0_4arch9wavefront6targetE1EEEvT1_,@function
_ZN7rocprim17ROCPRIM_400000_NS6detail17trampoline_kernelINS0_14default_configENS1_20scan_config_selectorIiEEZZNS1_9scan_implILNS1_25lookback_scan_determinismE0ELb0ELb0ES3_N6thrust23THRUST_200600_302600_NS6detail15normal_iteratorINS9_10device_ptrIiEEEENS9_16discard_iteratorINS9_11use_defaultEEEi11max_functorIiEiEEDaPvRmT3_T4_T5_mT6_P12ihipStream_tbENKUlT_T0_E_clISt17integral_constantIbLb1EESW_IbLb0EEEEDaSS_ST_EUlSS_E0_NS1_11comp_targetILNS1_3genE10ELNS1_11target_archE1200ELNS1_3gpuE4ELNS1_3repE0EEENS1_30default_config_static_selectorELNS0_4arch9wavefront6targetE1EEEvT1_: ; @_ZN7rocprim17ROCPRIM_400000_NS6detail17trampoline_kernelINS0_14default_configENS1_20scan_config_selectorIiEEZZNS1_9scan_implILNS1_25lookback_scan_determinismE0ELb0ELb0ES3_N6thrust23THRUST_200600_302600_NS6detail15normal_iteratorINS9_10device_ptrIiEEEENS9_16discard_iteratorINS9_11use_defaultEEEi11max_functorIiEiEEDaPvRmT3_T4_T5_mT6_P12ihipStream_tbENKUlT_T0_E_clISt17integral_constantIbLb1EESW_IbLb0EEEEDaSS_ST_EUlSS_E0_NS1_11comp_targetILNS1_3genE10ELNS1_11target_archE1200ELNS1_3gpuE4ELNS1_3repE0EEENS1_30default_config_static_selectorELNS0_4arch9wavefront6targetE1EEEvT1_
; %bb.0:
	.section	.rodata,"a",@progbits
	.p2align	6, 0x0
	.amdhsa_kernel _ZN7rocprim17ROCPRIM_400000_NS6detail17trampoline_kernelINS0_14default_configENS1_20scan_config_selectorIiEEZZNS1_9scan_implILNS1_25lookback_scan_determinismE0ELb0ELb0ES3_N6thrust23THRUST_200600_302600_NS6detail15normal_iteratorINS9_10device_ptrIiEEEENS9_16discard_iteratorINS9_11use_defaultEEEi11max_functorIiEiEEDaPvRmT3_T4_T5_mT6_P12ihipStream_tbENKUlT_T0_E_clISt17integral_constantIbLb1EESW_IbLb0EEEEDaSS_ST_EUlSS_E0_NS1_11comp_targetILNS1_3genE10ELNS1_11target_archE1200ELNS1_3gpuE4ELNS1_3repE0EEENS1_30default_config_static_selectorELNS0_4arch9wavefront6targetE1EEEvT1_
		.amdhsa_group_segment_fixed_size 0
		.amdhsa_private_segment_fixed_size 0
		.amdhsa_kernarg_size 40
		.amdhsa_user_sgpr_count 6
		.amdhsa_user_sgpr_private_segment_buffer 1
		.amdhsa_user_sgpr_dispatch_ptr 0
		.amdhsa_user_sgpr_queue_ptr 0
		.amdhsa_user_sgpr_kernarg_segment_ptr 1
		.amdhsa_user_sgpr_dispatch_id 0
		.amdhsa_user_sgpr_flat_scratch_init 0
		.amdhsa_user_sgpr_kernarg_preload_length 0
		.amdhsa_user_sgpr_kernarg_preload_offset 0
		.amdhsa_user_sgpr_private_segment_size 0
		.amdhsa_uses_dynamic_stack 0
		.amdhsa_system_sgpr_private_segment_wavefront_offset 0
		.amdhsa_system_sgpr_workgroup_id_x 1
		.amdhsa_system_sgpr_workgroup_id_y 0
		.amdhsa_system_sgpr_workgroup_id_z 0
		.amdhsa_system_sgpr_workgroup_info 0
		.amdhsa_system_vgpr_workitem_id 0
		.amdhsa_next_free_vgpr 1
		.amdhsa_next_free_sgpr 0
		.amdhsa_accum_offset 4
		.amdhsa_reserve_vcc 0
		.amdhsa_reserve_flat_scratch 0
		.amdhsa_float_round_mode_32 0
		.amdhsa_float_round_mode_16_64 0
		.amdhsa_float_denorm_mode_32 3
		.amdhsa_float_denorm_mode_16_64 3
		.amdhsa_dx10_clamp 1
		.amdhsa_ieee_mode 1
		.amdhsa_fp16_overflow 0
		.amdhsa_tg_split 0
		.amdhsa_exception_fp_ieee_invalid_op 0
		.amdhsa_exception_fp_denorm_src 0
		.amdhsa_exception_fp_ieee_div_zero 0
		.amdhsa_exception_fp_ieee_overflow 0
		.amdhsa_exception_fp_ieee_underflow 0
		.amdhsa_exception_fp_ieee_inexact 0
		.amdhsa_exception_int_div_zero 0
	.end_amdhsa_kernel
	.section	.text._ZN7rocprim17ROCPRIM_400000_NS6detail17trampoline_kernelINS0_14default_configENS1_20scan_config_selectorIiEEZZNS1_9scan_implILNS1_25lookback_scan_determinismE0ELb0ELb0ES3_N6thrust23THRUST_200600_302600_NS6detail15normal_iteratorINS9_10device_ptrIiEEEENS9_16discard_iteratorINS9_11use_defaultEEEi11max_functorIiEiEEDaPvRmT3_T4_T5_mT6_P12ihipStream_tbENKUlT_T0_E_clISt17integral_constantIbLb1EESW_IbLb0EEEEDaSS_ST_EUlSS_E0_NS1_11comp_targetILNS1_3genE10ELNS1_11target_archE1200ELNS1_3gpuE4ELNS1_3repE0EEENS1_30default_config_static_selectorELNS0_4arch9wavefront6targetE1EEEvT1_,"axG",@progbits,_ZN7rocprim17ROCPRIM_400000_NS6detail17trampoline_kernelINS0_14default_configENS1_20scan_config_selectorIiEEZZNS1_9scan_implILNS1_25lookback_scan_determinismE0ELb0ELb0ES3_N6thrust23THRUST_200600_302600_NS6detail15normal_iteratorINS9_10device_ptrIiEEEENS9_16discard_iteratorINS9_11use_defaultEEEi11max_functorIiEiEEDaPvRmT3_T4_T5_mT6_P12ihipStream_tbENKUlT_T0_E_clISt17integral_constantIbLb1EESW_IbLb0EEEEDaSS_ST_EUlSS_E0_NS1_11comp_targetILNS1_3genE10ELNS1_11target_archE1200ELNS1_3gpuE4ELNS1_3repE0EEENS1_30default_config_static_selectorELNS0_4arch9wavefront6targetE1EEEvT1_,comdat
.Lfunc_end3905:
	.size	_ZN7rocprim17ROCPRIM_400000_NS6detail17trampoline_kernelINS0_14default_configENS1_20scan_config_selectorIiEEZZNS1_9scan_implILNS1_25lookback_scan_determinismE0ELb0ELb0ES3_N6thrust23THRUST_200600_302600_NS6detail15normal_iteratorINS9_10device_ptrIiEEEENS9_16discard_iteratorINS9_11use_defaultEEEi11max_functorIiEiEEDaPvRmT3_T4_T5_mT6_P12ihipStream_tbENKUlT_T0_E_clISt17integral_constantIbLb1EESW_IbLb0EEEEDaSS_ST_EUlSS_E0_NS1_11comp_targetILNS1_3genE10ELNS1_11target_archE1200ELNS1_3gpuE4ELNS1_3repE0EEENS1_30default_config_static_selectorELNS0_4arch9wavefront6targetE1EEEvT1_, .Lfunc_end3905-_ZN7rocprim17ROCPRIM_400000_NS6detail17trampoline_kernelINS0_14default_configENS1_20scan_config_selectorIiEEZZNS1_9scan_implILNS1_25lookback_scan_determinismE0ELb0ELb0ES3_N6thrust23THRUST_200600_302600_NS6detail15normal_iteratorINS9_10device_ptrIiEEEENS9_16discard_iteratorINS9_11use_defaultEEEi11max_functorIiEiEEDaPvRmT3_T4_T5_mT6_P12ihipStream_tbENKUlT_T0_E_clISt17integral_constantIbLb1EESW_IbLb0EEEEDaSS_ST_EUlSS_E0_NS1_11comp_targetILNS1_3genE10ELNS1_11target_archE1200ELNS1_3gpuE4ELNS1_3repE0EEENS1_30default_config_static_selectorELNS0_4arch9wavefront6targetE1EEEvT1_
                                        ; -- End function
	.section	.AMDGPU.csdata,"",@progbits
; Kernel info:
; codeLenInByte = 0
; NumSgprs: 4
; NumVgprs: 0
; NumAgprs: 0
; TotalNumVgprs: 0
; ScratchSize: 0
; MemoryBound: 0
; FloatMode: 240
; IeeeMode: 1
; LDSByteSize: 0 bytes/workgroup (compile time only)
; SGPRBlocks: 0
; VGPRBlocks: 0
; NumSGPRsForWavesPerEU: 4
; NumVGPRsForWavesPerEU: 1
; AccumOffset: 4
; Occupancy: 8
; WaveLimiterHint : 0
; COMPUTE_PGM_RSRC2:SCRATCH_EN: 0
; COMPUTE_PGM_RSRC2:USER_SGPR: 6
; COMPUTE_PGM_RSRC2:TRAP_HANDLER: 0
; COMPUTE_PGM_RSRC2:TGID_X_EN: 1
; COMPUTE_PGM_RSRC2:TGID_Y_EN: 0
; COMPUTE_PGM_RSRC2:TGID_Z_EN: 0
; COMPUTE_PGM_RSRC2:TIDIG_COMP_CNT: 0
; COMPUTE_PGM_RSRC3_GFX90A:ACCUM_OFFSET: 0
; COMPUTE_PGM_RSRC3_GFX90A:TG_SPLIT: 0
	.section	.text._ZN7rocprim17ROCPRIM_400000_NS6detail17trampoline_kernelINS0_14default_configENS1_20scan_config_selectorIiEEZZNS1_9scan_implILNS1_25lookback_scan_determinismE0ELb0ELb0ES3_N6thrust23THRUST_200600_302600_NS6detail15normal_iteratorINS9_10device_ptrIiEEEENS9_16discard_iteratorINS9_11use_defaultEEEi11max_functorIiEiEEDaPvRmT3_T4_T5_mT6_P12ihipStream_tbENKUlT_T0_E_clISt17integral_constantIbLb1EESW_IbLb0EEEEDaSS_ST_EUlSS_E0_NS1_11comp_targetILNS1_3genE9ELNS1_11target_archE1100ELNS1_3gpuE3ELNS1_3repE0EEENS1_30default_config_static_selectorELNS0_4arch9wavefront6targetE1EEEvT1_,"axG",@progbits,_ZN7rocprim17ROCPRIM_400000_NS6detail17trampoline_kernelINS0_14default_configENS1_20scan_config_selectorIiEEZZNS1_9scan_implILNS1_25lookback_scan_determinismE0ELb0ELb0ES3_N6thrust23THRUST_200600_302600_NS6detail15normal_iteratorINS9_10device_ptrIiEEEENS9_16discard_iteratorINS9_11use_defaultEEEi11max_functorIiEiEEDaPvRmT3_T4_T5_mT6_P12ihipStream_tbENKUlT_T0_E_clISt17integral_constantIbLb1EESW_IbLb0EEEEDaSS_ST_EUlSS_E0_NS1_11comp_targetILNS1_3genE9ELNS1_11target_archE1100ELNS1_3gpuE3ELNS1_3repE0EEENS1_30default_config_static_selectorELNS0_4arch9wavefront6targetE1EEEvT1_,comdat
	.protected	_ZN7rocprim17ROCPRIM_400000_NS6detail17trampoline_kernelINS0_14default_configENS1_20scan_config_selectorIiEEZZNS1_9scan_implILNS1_25lookback_scan_determinismE0ELb0ELb0ES3_N6thrust23THRUST_200600_302600_NS6detail15normal_iteratorINS9_10device_ptrIiEEEENS9_16discard_iteratorINS9_11use_defaultEEEi11max_functorIiEiEEDaPvRmT3_T4_T5_mT6_P12ihipStream_tbENKUlT_T0_E_clISt17integral_constantIbLb1EESW_IbLb0EEEEDaSS_ST_EUlSS_E0_NS1_11comp_targetILNS1_3genE9ELNS1_11target_archE1100ELNS1_3gpuE3ELNS1_3repE0EEENS1_30default_config_static_selectorELNS0_4arch9wavefront6targetE1EEEvT1_ ; -- Begin function _ZN7rocprim17ROCPRIM_400000_NS6detail17trampoline_kernelINS0_14default_configENS1_20scan_config_selectorIiEEZZNS1_9scan_implILNS1_25lookback_scan_determinismE0ELb0ELb0ES3_N6thrust23THRUST_200600_302600_NS6detail15normal_iteratorINS9_10device_ptrIiEEEENS9_16discard_iteratorINS9_11use_defaultEEEi11max_functorIiEiEEDaPvRmT3_T4_T5_mT6_P12ihipStream_tbENKUlT_T0_E_clISt17integral_constantIbLb1EESW_IbLb0EEEEDaSS_ST_EUlSS_E0_NS1_11comp_targetILNS1_3genE9ELNS1_11target_archE1100ELNS1_3gpuE3ELNS1_3repE0EEENS1_30default_config_static_selectorELNS0_4arch9wavefront6targetE1EEEvT1_
	.globl	_ZN7rocprim17ROCPRIM_400000_NS6detail17trampoline_kernelINS0_14default_configENS1_20scan_config_selectorIiEEZZNS1_9scan_implILNS1_25lookback_scan_determinismE0ELb0ELb0ES3_N6thrust23THRUST_200600_302600_NS6detail15normal_iteratorINS9_10device_ptrIiEEEENS9_16discard_iteratorINS9_11use_defaultEEEi11max_functorIiEiEEDaPvRmT3_T4_T5_mT6_P12ihipStream_tbENKUlT_T0_E_clISt17integral_constantIbLb1EESW_IbLb0EEEEDaSS_ST_EUlSS_E0_NS1_11comp_targetILNS1_3genE9ELNS1_11target_archE1100ELNS1_3gpuE3ELNS1_3repE0EEENS1_30default_config_static_selectorELNS0_4arch9wavefront6targetE1EEEvT1_
	.p2align	8
	.type	_ZN7rocprim17ROCPRIM_400000_NS6detail17trampoline_kernelINS0_14default_configENS1_20scan_config_selectorIiEEZZNS1_9scan_implILNS1_25lookback_scan_determinismE0ELb0ELb0ES3_N6thrust23THRUST_200600_302600_NS6detail15normal_iteratorINS9_10device_ptrIiEEEENS9_16discard_iteratorINS9_11use_defaultEEEi11max_functorIiEiEEDaPvRmT3_T4_T5_mT6_P12ihipStream_tbENKUlT_T0_E_clISt17integral_constantIbLb1EESW_IbLb0EEEEDaSS_ST_EUlSS_E0_NS1_11comp_targetILNS1_3genE9ELNS1_11target_archE1100ELNS1_3gpuE3ELNS1_3repE0EEENS1_30default_config_static_selectorELNS0_4arch9wavefront6targetE1EEEvT1_,@function
_ZN7rocprim17ROCPRIM_400000_NS6detail17trampoline_kernelINS0_14default_configENS1_20scan_config_selectorIiEEZZNS1_9scan_implILNS1_25lookback_scan_determinismE0ELb0ELb0ES3_N6thrust23THRUST_200600_302600_NS6detail15normal_iteratorINS9_10device_ptrIiEEEENS9_16discard_iteratorINS9_11use_defaultEEEi11max_functorIiEiEEDaPvRmT3_T4_T5_mT6_P12ihipStream_tbENKUlT_T0_E_clISt17integral_constantIbLb1EESW_IbLb0EEEEDaSS_ST_EUlSS_E0_NS1_11comp_targetILNS1_3genE9ELNS1_11target_archE1100ELNS1_3gpuE3ELNS1_3repE0EEENS1_30default_config_static_selectorELNS0_4arch9wavefront6targetE1EEEvT1_: ; @_ZN7rocprim17ROCPRIM_400000_NS6detail17trampoline_kernelINS0_14default_configENS1_20scan_config_selectorIiEEZZNS1_9scan_implILNS1_25lookback_scan_determinismE0ELb0ELb0ES3_N6thrust23THRUST_200600_302600_NS6detail15normal_iteratorINS9_10device_ptrIiEEEENS9_16discard_iteratorINS9_11use_defaultEEEi11max_functorIiEiEEDaPvRmT3_T4_T5_mT6_P12ihipStream_tbENKUlT_T0_E_clISt17integral_constantIbLb1EESW_IbLb0EEEEDaSS_ST_EUlSS_E0_NS1_11comp_targetILNS1_3genE9ELNS1_11target_archE1100ELNS1_3gpuE3ELNS1_3repE0EEENS1_30default_config_static_selectorELNS0_4arch9wavefront6targetE1EEEvT1_
; %bb.0:
	.section	.rodata,"a",@progbits
	.p2align	6, 0x0
	.amdhsa_kernel _ZN7rocprim17ROCPRIM_400000_NS6detail17trampoline_kernelINS0_14default_configENS1_20scan_config_selectorIiEEZZNS1_9scan_implILNS1_25lookback_scan_determinismE0ELb0ELb0ES3_N6thrust23THRUST_200600_302600_NS6detail15normal_iteratorINS9_10device_ptrIiEEEENS9_16discard_iteratorINS9_11use_defaultEEEi11max_functorIiEiEEDaPvRmT3_T4_T5_mT6_P12ihipStream_tbENKUlT_T0_E_clISt17integral_constantIbLb1EESW_IbLb0EEEEDaSS_ST_EUlSS_E0_NS1_11comp_targetILNS1_3genE9ELNS1_11target_archE1100ELNS1_3gpuE3ELNS1_3repE0EEENS1_30default_config_static_selectorELNS0_4arch9wavefront6targetE1EEEvT1_
		.amdhsa_group_segment_fixed_size 0
		.amdhsa_private_segment_fixed_size 0
		.amdhsa_kernarg_size 40
		.amdhsa_user_sgpr_count 6
		.amdhsa_user_sgpr_private_segment_buffer 1
		.amdhsa_user_sgpr_dispatch_ptr 0
		.amdhsa_user_sgpr_queue_ptr 0
		.amdhsa_user_sgpr_kernarg_segment_ptr 1
		.amdhsa_user_sgpr_dispatch_id 0
		.amdhsa_user_sgpr_flat_scratch_init 0
		.amdhsa_user_sgpr_kernarg_preload_length 0
		.amdhsa_user_sgpr_kernarg_preload_offset 0
		.amdhsa_user_sgpr_private_segment_size 0
		.amdhsa_uses_dynamic_stack 0
		.amdhsa_system_sgpr_private_segment_wavefront_offset 0
		.amdhsa_system_sgpr_workgroup_id_x 1
		.amdhsa_system_sgpr_workgroup_id_y 0
		.amdhsa_system_sgpr_workgroup_id_z 0
		.amdhsa_system_sgpr_workgroup_info 0
		.amdhsa_system_vgpr_workitem_id 0
		.amdhsa_next_free_vgpr 1
		.amdhsa_next_free_sgpr 0
		.amdhsa_accum_offset 4
		.amdhsa_reserve_vcc 0
		.amdhsa_reserve_flat_scratch 0
		.amdhsa_float_round_mode_32 0
		.amdhsa_float_round_mode_16_64 0
		.amdhsa_float_denorm_mode_32 3
		.amdhsa_float_denorm_mode_16_64 3
		.amdhsa_dx10_clamp 1
		.amdhsa_ieee_mode 1
		.amdhsa_fp16_overflow 0
		.amdhsa_tg_split 0
		.amdhsa_exception_fp_ieee_invalid_op 0
		.amdhsa_exception_fp_denorm_src 0
		.amdhsa_exception_fp_ieee_div_zero 0
		.amdhsa_exception_fp_ieee_overflow 0
		.amdhsa_exception_fp_ieee_underflow 0
		.amdhsa_exception_fp_ieee_inexact 0
		.amdhsa_exception_int_div_zero 0
	.end_amdhsa_kernel
	.section	.text._ZN7rocprim17ROCPRIM_400000_NS6detail17trampoline_kernelINS0_14default_configENS1_20scan_config_selectorIiEEZZNS1_9scan_implILNS1_25lookback_scan_determinismE0ELb0ELb0ES3_N6thrust23THRUST_200600_302600_NS6detail15normal_iteratorINS9_10device_ptrIiEEEENS9_16discard_iteratorINS9_11use_defaultEEEi11max_functorIiEiEEDaPvRmT3_T4_T5_mT6_P12ihipStream_tbENKUlT_T0_E_clISt17integral_constantIbLb1EESW_IbLb0EEEEDaSS_ST_EUlSS_E0_NS1_11comp_targetILNS1_3genE9ELNS1_11target_archE1100ELNS1_3gpuE3ELNS1_3repE0EEENS1_30default_config_static_selectorELNS0_4arch9wavefront6targetE1EEEvT1_,"axG",@progbits,_ZN7rocprim17ROCPRIM_400000_NS6detail17trampoline_kernelINS0_14default_configENS1_20scan_config_selectorIiEEZZNS1_9scan_implILNS1_25lookback_scan_determinismE0ELb0ELb0ES3_N6thrust23THRUST_200600_302600_NS6detail15normal_iteratorINS9_10device_ptrIiEEEENS9_16discard_iteratorINS9_11use_defaultEEEi11max_functorIiEiEEDaPvRmT3_T4_T5_mT6_P12ihipStream_tbENKUlT_T0_E_clISt17integral_constantIbLb1EESW_IbLb0EEEEDaSS_ST_EUlSS_E0_NS1_11comp_targetILNS1_3genE9ELNS1_11target_archE1100ELNS1_3gpuE3ELNS1_3repE0EEENS1_30default_config_static_selectorELNS0_4arch9wavefront6targetE1EEEvT1_,comdat
.Lfunc_end3906:
	.size	_ZN7rocprim17ROCPRIM_400000_NS6detail17trampoline_kernelINS0_14default_configENS1_20scan_config_selectorIiEEZZNS1_9scan_implILNS1_25lookback_scan_determinismE0ELb0ELb0ES3_N6thrust23THRUST_200600_302600_NS6detail15normal_iteratorINS9_10device_ptrIiEEEENS9_16discard_iteratorINS9_11use_defaultEEEi11max_functorIiEiEEDaPvRmT3_T4_T5_mT6_P12ihipStream_tbENKUlT_T0_E_clISt17integral_constantIbLb1EESW_IbLb0EEEEDaSS_ST_EUlSS_E0_NS1_11comp_targetILNS1_3genE9ELNS1_11target_archE1100ELNS1_3gpuE3ELNS1_3repE0EEENS1_30default_config_static_selectorELNS0_4arch9wavefront6targetE1EEEvT1_, .Lfunc_end3906-_ZN7rocprim17ROCPRIM_400000_NS6detail17trampoline_kernelINS0_14default_configENS1_20scan_config_selectorIiEEZZNS1_9scan_implILNS1_25lookback_scan_determinismE0ELb0ELb0ES3_N6thrust23THRUST_200600_302600_NS6detail15normal_iteratorINS9_10device_ptrIiEEEENS9_16discard_iteratorINS9_11use_defaultEEEi11max_functorIiEiEEDaPvRmT3_T4_T5_mT6_P12ihipStream_tbENKUlT_T0_E_clISt17integral_constantIbLb1EESW_IbLb0EEEEDaSS_ST_EUlSS_E0_NS1_11comp_targetILNS1_3genE9ELNS1_11target_archE1100ELNS1_3gpuE3ELNS1_3repE0EEENS1_30default_config_static_selectorELNS0_4arch9wavefront6targetE1EEEvT1_
                                        ; -- End function
	.section	.AMDGPU.csdata,"",@progbits
; Kernel info:
; codeLenInByte = 0
; NumSgprs: 4
; NumVgprs: 0
; NumAgprs: 0
; TotalNumVgprs: 0
; ScratchSize: 0
; MemoryBound: 0
; FloatMode: 240
; IeeeMode: 1
; LDSByteSize: 0 bytes/workgroup (compile time only)
; SGPRBlocks: 0
; VGPRBlocks: 0
; NumSGPRsForWavesPerEU: 4
; NumVGPRsForWavesPerEU: 1
; AccumOffset: 4
; Occupancy: 8
; WaveLimiterHint : 0
; COMPUTE_PGM_RSRC2:SCRATCH_EN: 0
; COMPUTE_PGM_RSRC2:USER_SGPR: 6
; COMPUTE_PGM_RSRC2:TRAP_HANDLER: 0
; COMPUTE_PGM_RSRC2:TGID_X_EN: 1
; COMPUTE_PGM_RSRC2:TGID_Y_EN: 0
; COMPUTE_PGM_RSRC2:TGID_Z_EN: 0
; COMPUTE_PGM_RSRC2:TIDIG_COMP_CNT: 0
; COMPUTE_PGM_RSRC3_GFX90A:ACCUM_OFFSET: 0
; COMPUTE_PGM_RSRC3_GFX90A:TG_SPLIT: 0
	.section	.text._ZN7rocprim17ROCPRIM_400000_NS6detail17trampoline_kernelINS0_14default_configENS1_20scan_config_selectorIiEEZZNS1_9scan_implILNS1_25lookback_scan_determinismE0ELb0ELb0ES3_N6thrust23THRUST_200600_302600_NS6detail15normal_iteratorINS9_10device_ptrIiEEEENS9_16discard_iteratorINS9_11use_defaultEEEi11max_functorIiEiEEDaPvRmT3_T4_T5_mT6_P12ihipStream_tbENKUlT_T0_E_clISt17integral_constantIbLb1EESW_IbLb0EEEEDaSS_ST_EUlSS_E0_NS1_11comp_targetILNS1_3genE8ELNS1_11target_archE1030ELNS1_3gpuE2ELNS1_3repE0EEENS1_30default_config_static_selectorELNS0_4arch9wavefront6targetE1EEEvT1_,"axG",@progbits,_ZN7rocprim17ROCPRIM_400000_NS6detail17trampoline_kernelINS0_14default_configENS1_20scan_config_selectorIiEEZZNS1_9scan_implILNS1_25lookback_scan_determinismE0ELb0ELb0ES3_N6thrust23THRUST_200600_302600_NS6detail15normal_iteratorINS9_10device_ptrIiEEEENS9_16discard_iteratorINS9_11use_defaultEEEi11max_functorIiEiEEDaPvRmT3_T4_T5_mT6_P12ihipStream_tbENKUlT_T0_E_clISt17integral_constantIbLb1EESW_IbLb0EEEEDaSS_ST_EUlSS_E0_NS1_11comp_targetILNS1_3genE8ELNS1_11target_archE1030ELNS1_3gpuE2ELNS1_3repE0EEENS1_30default_config_static_selectorELNS0_4arch9wavefront6targetE1EEEvT1_,comdat
	.protected	_ZN7rocprim17ROCPRIM_400000_NS6detail17trampoline_kernelINS0_14default_configENS1_20scan_config_selectorIiEEZZNS1_9scan_implILNS1_25lookback_scan_determinismE0ELb0ELb0ES3_N6thrust23THRUST_200600_302600_NS6detail15normal_iteratorINS9_10device_ptrIiEEEENS9_16discard_iteratorINS9_11use_defaultEEEi11max_functorIiEiEEDaPvRmT3_T4_T5_mT6_P12ihipStream_tbENKUlT_T0_E_clISt17integral_constantIbLb1EESW_IbLb0EEEEDaSS_ST_EUlSS_E0_NS1_11comp_targetILNS1_3genE8ELNS1_11target_archE1030ELNS1_3gpuE2ELNS1_3repE0EEENS1_30default_config_static_selectorELNS0_4arch9wavefront6targetE1EEEvT1_ ; -- Begin function _ZN7rocprim17ROCPRIM_400000_NS6detail17trampoline_kernelINS0_14default_configENS1_20scan_config_selectorIiEEZZNS1_9scan_implILNS1_25lookback_scan_determinismE0ELb0ELb0ES3_N6thrust23THRUST_200600_302600_NS6detail15normal_iteratorINS9_10device_ptrIiEEEENS9_16discard_iteratorINS9_11use_defaultEEEi11max_functorIiEiEEDaPvRmT3_T4_T5_mT6_P12ihipStream_tbENKUlT_T0_E_clISt17integral_constantIbLb1EESW_IbLb0EEEEDaSS_ST_EUlSS_E0_NS1_11comp_targetILNS1_3genE8ELNS1_11target_archE1030ELNS1_3gpuE2ELNS1_3repE0EEENS1_30default_config_static_selectorELNS0_4arch9wavefront6targetE1EEEvT1_
	.globl	_ZN7rocprim17ROCPRIM_400000_NS6detail17trampoline_kernelINS0_14default_configENS1_20scan_config_selectorIiEEZZNS1_9scan_implILNS1_25lookback_scan_determinismE0ELb0ELb0ES3_N6thrust23THRUST_200600_302600_NS6detail15normal_iteratorINS9_10device_ptrIiEEEENS9_16discard_iteratorINS9_11use_defaultEEEi11max_functorIiEiEEDaPvRmT3_T4_T5_mT6_P12ihipStream_tbENKUlT_T0_E_clISt17integral_constantIbLb1EESW_IbLb0EEEEDaSS_ST_EUlSS_E0_NS1_11comp_targetILNS1_3genE8ELNS1_11target_archE1030ELNS1_3gpuE2ELNS1_3repE0EEENS1_30default_config_static_selectorELNS0_4arch9wavefront6targetE1EEEvT1_
	.p2align	8
	.type	_ZN7rocprim17ROCPRIM_400000_NS6detail17trampoline_kernelINS0_14default_configENS1_20scan_config_selectorIiEEZZNS1_9scan_implILNS1_25lookback_scan_determinismE0ELb0ELb0ES3_N6thrust23THRUST_200600_302600_NS6detail15normal_iteratorINS9_10device_ptrIiEEEENS9_16discard_iteratorINS9_11use_defaultEEEi11max_functorIiEiEEDaPvRmT3_T4_T5_mT6_P12ihipStream_tbENKUlT_T0_E_clISt17integral_constantIbLb1EESW_IbLb0EEEEDaSS_ST_EUlSS_E0_NS1_11comp_targetILNS1_3genE8ELNS1_11target_archE1030ELNS1_3gpuE2ELNS1_3repE0EEENS1_30default_config_static_selectorELNS0_4arch9wavefront6targetE1EEEvT1_,@function
_ZN7rocprim17ROCPRIM_400000_NS6detail17trampoline_kernelINS0_14default_configENS1_20scan_config_selectorIiEEZZNS1_9scan_implILNS1_25lookback_scan_determinismE0ELb0ELb0ES3_N6thrust23THRUST_200600_302600_NS6detail15normal_iteratorINS9_10device_ptrIiEEEENS9_16discard_iteratorINS9_11use_defaultEEEi11max_functorIiEiEEDaPvRmT3_T4_T5_mT6_P12ihipStream_tbENKUlT_T0_E_clISt17integral_constantIbLb1EESW_IbLb0EEEEDaSS_ST_EUlSS_E0_NS1_11comp_targetILNS1_3genE8ELNS1_11target_archE1030ELNS1_3gpuE2ELNS1_3repE0EEENS1_30default_config_static_selectorELNS0_4arch9wavefront6targetE1EEEvT1_: ; @_ZN7rocprim17ROCPRIM_400000_NS6detail17trampoline_kernelINS0_14default_configENS1_20scan_config_selectorIiEEZZNS1_9scan_implILNS1_25lookback_scan_determinismE0ELb0ELb0ES3_N6thrust23THRUST_200600_302600_NS6detail15normal_iteratorINS9_10device_ptrIiEEEENS9_16discard_iteratorINS9_11use_defaultEEEi11max_functorIiEiEEDaPvRmT3_T4_T5_mT6_P12ihipStream_tbENKUlT_T0_E_clISt17integral_constantIbLb1EESW_IbLb0EEEEDaSS_ST_EUlSS_E0_NS1_11comp_targetILNS1_3genE8ELNS1_11target_archE1030ELNS1_3gpuE2ELNS1_3repE0EEENS1_30default_config_static_selectorELNS0_4arch9wavefront6targetE1EEEvT1_
; %bb.0:
	.section	.rodata,"a",@progbits
	.p2align	6, 0x0
	.amdhsa_kernel _ZN7rocprim17ROCPRIM_400000_NS6detail17trampoline_kernelINS0_14default_configENS1_20scan_config_selectorIiEEZZNS1_9scan_implILNS1_25lookback_scan_determinismE0ELb0ELb0ES3_N6thrust23THRUST_200600_302600_NS6detail15normal_iteratorINS9_10device_ptrIiEEEENS9_16discard_iteratorINS9_11use_defaultEEEi11max_functorIiEiEEDaPvRmT3_T4_T5_mT6_P12ihipStream_tbENKUlT_T0_E_clISt17integral_constantIbLb1EESW_IbLb0EEEEDaSS_ST_EUlSS_E0_NS1_11comp_targetILNS1_3genE8ELNS1_11target_archE1030ELNS1_3gpuE2ELNS1_3repE0EEENS1_30default_config_static_selectorELNS0_4arch9wavefront6targetE1EEEvT1_
		.amdhsa_group_segment_fixed_size 0
		.amdhsa_private_segment_fixed_size 0
		.amdhsa_kernarg_size 40
		.amdhsa_user_sgpr_count 6
		.amdhsa_user_sgpr_private_segment_buffer 1
		.amdhsa_user_sgpr_dispatch_ptr 0
		.amdhsa_user_sgpr_queue_ptr 0
		.amdhsa_user_sgpr_kernarg_segment_ptr 1
		.amdhsa_user_sgpr_dispatch_id 0
		.amdhsa_user_sgpr_flat_scratch_init 0
		.amdhsa_user_sgpr_kernarg_preload_length 0
		.amdhsa_user_sgpr_kernarg_preload_offset 0
		.amdhsa_user_sgpr_private_segment_size 0
		.amdhsa_uses_dynamic_stack 0
		.amdhsa_system_sgpr_private_segment_wavefront_offset 0
		.amdhsa_system_sgpr_workgroup_id_x 1
		.amdhsa_system_sgpr_workgroup_id_y 0
		.amdhsa_system_sgpr_workgroup_id_z 0
		.amdhsa_system_sgpr_workgroup_info 0
		.amdhsa_system_vgpr_workitem_id 0
		.amdhsa_next_free_vgpr 1
		.amdhsa_next_free_sgpr 0
		.amdhsa_accum_offset 4
		.amdhsa_reserve_vcc 0
		.amdhsa_reserve_flat_scratch 0
		.amdhsa_float_round_mode_32 0
		.amdhsa_float_round_mode_16_64 0
		.amdhsa_float_denorm_mode_32 3
		.amdhsa_float_denorm_mode_16_64 3
		.amdhsa_dx10_clamp 1
		.amdhsa_ieee_mode 1
		.amdhsa_fp16_overflow 0
		.amdhsa_tg_split 0
		.amdhsa_exception_fp_ieee_invalid_op 0
		.amdhsa_exception_fp_denorm_src 0
		.amdhsa_exception_fp_ieee_div_zero 0
		.amdhsa_exception_fp_ieee_overflow 0
		.amdhsa_exception_fp_ieee_underflow 0
		.amdhsa_exception_fp_ieee_inexact 0
		.amdhsa_exception_int_div_zero 0
	.end_amdhsa_kernel
	.section	.text._ZN7rocprim17ROCPRIM_400000_NS6detail17trampoline_kernelINS0_14default_configENS1_20scan_config_selectorIiEEZZNS1_9scan_implILNS1_25lookback_scan_determinismE0ELb0ELb0ES3_N6thrust23THRUST_200600_302600_NS6detail15normal_iteratorINS9_10device_ptrIiEEEENS9_16discard_iteratorINS9_11use_defaultEEEi11max_functorIiEiEEDaPvRmT3_T4_T5_mT6_P12ihipStream_tbENKUlT_T0_E_clISt17integral_constantIbLb1EESW_IbLb0EEEEDaSS_ST_EUlSS_E0_NS1_11comp_targetILNS1_3genE8ELNS1_11target_archE1030ELNS1_3gpuE2ELNS1_3repE0EEENS1_30default_config_static_selectorELNS0_4arch9wavefront6targetE1EEEvT1_,"axG",@progbits,_ZN7rocprim17ROCPRIM_400000_NS6detail17trampoline_kernelINS0_14default_configENS1_20scan_config_selectorIiEEZZNS1_9scan_implILNS1_25lookback_scan_determinismE0ELb0ELb0ES3_N6thrust23THRUST_200600_302600_NS6detail15normal_iteratorINS9_10device_ptrIiEEEENS9_16discard_iteratorINS9_11use_defaultEEEi11max_functorIiEiEEDaPvRmT3_T4_T5_mT6_P12ihipStream_tbENKUlT_T0_E_clISt17integral_constantIbLb1EESW_IbLb0EEEEDaSS_ST_EUlSS_E0_NS1_11comp_targetILNS1_3genE8ELNS1_11target_archE1030ELNS1_3gpuE2ELNS1_3repE0EEENS1_30default_config_static_selectorELNS0_4arch9wavefront6targetE1EEEvT1_,comdat
.Lfunc_end3907:
	.size	_ZN7rocprim17ROCPRIM_400000_NS6detail17trampoline_kernelINS0_14default_configENS1_20scan_config_selectorIiEEZZNS1_9scan_implILNS1_25lookback_scan_determinismE0ELb0ELb0ES3_N6thrust23THRUST_200600_302600_NS6detail15normal_iteratorINS9_10device_ptrIiEEEENS9_16discard_iteratorINS9_11use_defaultEEEi11max_functorIiEiEEDaPvRmT3_T4_T5_mT6_P12ihipStream_tbENKUlT_T0_E_clISt17integral_constantIbLb1EESW_IbLb0EEEEDaSS_ST_EUlSS_E0_NS1_11comp_targetILNS1_3genE8ELNS1_11target_archE1030ELNS1_3gpuE2ELNS1_3repE0EEENS1_30default_config_static_selectorELNS0_4arch9wavefront6targetE1EEEvT1_, .Lfunc_end3907-_ZN7rocprim17ROCPRIM_400000_NS6detail17trampoline_kernelINS0_14default_configENS1_20scan_config_selectorIiEEZZNS1_9scan_implILNS1_25lookback_scan_determinismE0ELb0ELb0ES3_N6thrust23THRUST_200600_302600_NS6detail15normal_iteratorINS9_10device_ptrIiEEEENS9_16discard_iteratorINS9_11use_defaultEEEi11max_functorIiEiEEDaPvRmT3_T4_T5_mT6_P12ihipStream_tbENKUlT_T0_E_clISt17integral_constantIbLb1EESW_IbLb0EEEEDaSS_ST_EUlSS_E0_NS1_11comp_targetILNS1_3genE8ELNS1_11target_archE1030ELNS1_3gpuE2ELNS1_3repE0EEENS1_30default_config_static_selectorELNS0_4arch9wavefront6targetE1EEEvT1_
                                        ; -- End function
	.section	.AMDGPU.csdata,"",@progbits
; Kernel info:
; codeLenInByte = 0
; NumSgprs: 4
; NumVgprs: 0
; NumAgprs: 0
; TotalNumVgprs: 0
; ScratchSize: 0
; MemoryBound: 0
; FloatMode: 240
; IeeeMode: 1
; LDSByteSize: 0 bytes/workgroup (compile time only)
; SGPRBlocks: 0
; VGPRBlocks: 0
; NumSGPRsForWavesPerEU: 4
; NumVGPRsForWavesPerEU: 1
; AccumOffset: 4
; Occupancy: 8
; WaveLimiterHint : 0
; COMPUTE_PGM_RSRC2:SCRATCH_EN: 0
; COMPUTE_PGM_RSRC2:USER_SGPR: 6
; COMPUTE_PGM_RSRC2:TRAP_HANDLER: 0
; COMPUTE_PGM_RSRC2:TGID_X_EN: 1
; COMPUTE_PGM_RSRC2:TGID_Y_EN: 0
; COMPUTE_PGM_RSRC2:TGID_Z_EN: 0
; COMPUTE_PGM_RSRC2:TIDIG_COMP_CNT: 0
; COMPUTE_PGM_RSRC3_GFX90A:ACCUM_OFFSET: 0
; COMPUTE_PGM_RSRC3_GFX90A:TG_SPLIT: 0
	.section	.text._ZN7rocprim17ROCPRIM_400000_NS6detail17trampoline_kernelINS0_14default_configENS1_20scan_config_selectorIiEEZZNS1_9scan_implILNS1_25lookback_scan_determinismE0ELb0ELb0ES3_N6thrust23THRUST_200600_302600_NS6detail15normal_iteratorINS9_10device_ptrIiEEEENS9_16discard_iteratorINS9_11use_defaultEEEi11max_functorIiEiEEDaPvRmT3_T4_T5_mT6_P12ihipStream_tbENKUlT_T0_E_clISt17integral_constantIbLb0EESW_IbLb1EEEEDaSS_ST_EUlSS_E_NS1_11comp_targetILNS1_3genE0ELNS1_11target_archE4294967295ELNS1_3gpuE0ELNS1_3repE0EEENS1_30default_config_static_selectorELNS0_4arch9wavefront6targetE1EEEvT1_,"axG",@progbits,_ZN7rocprim17ROCPRIM_400000_NS6detail17trampoline_kernelINS0_14default_configENS1_20scan_config_selectorIiEEZZNS1_9scan_implILNS1_25lookback_scan_determinismE0ELb0ELb0ES3_N6thrust23THRUST_200600_302600_NS6detail15normal_iteratorINS9_10device_ptrIiEEEENS9_16discard_iteratorINS9_11use_defaultEEEi11max_functorIiEiEEDaPvRmT3_T4_T5_mT6_P12ihipStream_tbENKUlT_T0_E_clISt17integral_constantIbLb0EESW_IbLb1EEEEDaSS_ST_EUlSS_E_NS1_11comp_targetILNS1_3genE0ELNS1_11target_archE4294967295ELNS1_3gpuE0ELNS1_3repE0EEENS1_30default_config_static_selectorELNS0_4arch9wavefront6targetE1EEEvT1_,comdat
	.protected	_ZN7rocprim17ROCPRIM_400000_NS6detail17trampoline_kernelINS0_14default_configENS1_20scan_config_selectorIiEEZZNS1_9scan_implILNS1_25lookback_scan_determinismE0ELb0ELb0ES3_N6thrust23THRUST_200600_302600_NS6detail15normal_iteratorINS9_10device_ptrIiEEEENS9_16discard_iteratorINS9_11use_defaultEEEi11max_functorIiEiEEDaPvRmT3_T4_T5_mT6_P12ihipStream_tbENKUlT_T0_E_clISt17integral_constantIbLb0EESW_IbLb1EEEEDaSS_ST_EUlSS_E_NS1_11comp_targetILNS1_3genE0ELNS1_11target_archE4294967295ELNS1_3gpuE0ELNS1_3repE0EEENS1_30default_config_static_selectorELNS0_4arch9wavefront6targetE1EEEvT1_ ; -- Begin function _ZN7rocprim17ROCPRIM_400000_NS6detail17trampoline_kernelINS0_14default_configENS1_20scan_config_selectorIiEEZZNS1_9scan_implILNS1_25lookback_scan_determinismE0ELb0ELb0ES3_N6thrust23THRUST_200600_302600_NS6detail15normal_iteratorINS9_10device_ptrIiEEEENS9_16discard_iteratorINS9_11use_defaultEEEi11max_functorIiEiEEDaPvRmT3_T4_T5_mT6_P12ihipStream_tbENKUlT_T0_E_clISt17integral_constantIbLb0EESW_IbLb1EEEEDaSS_ST_EUlSS_E_NS1_11comp_targetILNS1_3genE0ELNS1_11target_archE4294967295ELNS1_3gpuE0ELNS1_3repE0EEENS1_30default_config_static_selectorELNS0_4arch9wavefront6targetE1EEEvT1_
	.globl	_ZN7rocprim17ROCPRIM_400000_NS6detail17trampoline_kernelINS0_14default_configENS1_20scan_config_selectorIiEEZZNS1_9scan_implILNS1_25lookback_scan_determinismE0ELb0ELb0ES3_N6thrust23THRUST_200600_302600_NS6detail15normal_iteratorINS9_10device_ptrIiEEEENS9_16discard_iteratorINS9_11use_defaultEEEi11max_functorIiEiEEDaPvRmT3_T4_T5_mT6_P12ihipStream_tbENKUlT_T0_E_clISt17integral_constantIbLb0EESW_IbLb1EEEEDaSS_ST_EUlSS_E_NS1_11comp_targetILNS1_3genE0ELNS1_11target_archE4294967295ELNS1_3gpuE0ELNS1_3repE0EEENS1_30default_config_static_selectorELNS0_4arch9wavefront6targetE1EEEvT1_
	.p2align	8
	.type	_ZN7rocprim17ROCPRIM_400000_NS6detail17trampoline_kernelINS0_14default_configENS1_20scan_config_selectorIiEEZZNS1_9scan_implILNS1_25lookback_scan_determinismE0ELb0ELb0ES3_N6thrust23THRUST_200600_302600_NS6detail15normal_iteratorINS9_10device_ptrIiEEEENS9_16discard_iteratorINS9_11use_defaultEEEi11max_functorIiEiEEDaPvRmT3_T4_T5_mT6_P12ihipStream_tbENKUlT_T0_E_clISt17integral_constantIbLb0EESW_IbLb1EEEEDaSS_ST_EUlSS_E_NS1_11comp_targetILNS1_3genE0ELNS1_11target_archE4294967295ELNS1_3gpuE0ELNS1_3repE0EEENS1_30default_config_static_selectorELNS0_4arch9wavefront6targetE1EEEvT1_,@function
_ZN7rocprim17ROCPRIM_400000_NS6detail17trampoline_kernelINS0_14default_configENS1_20scan_config_selectorIiEEZZNS1_9scan_implILNS1_25lookback_scan_determinismE0ELb0ELb0ES3_N6thrust23THRUST_200600_302600_NS6detail15normal_iteratorINS9_10device_ptrIiEEEENS9_16discard_iteratorINS9_11use_defaultEEEi11max_functorIiEiEEDaPvRmT3_T4_T5_mT6_P12ihipStream_tbENKUlT_T0_E_clISt17integral_constantIbLb0EESW_IbLb1EEEEDaSS_ST_EUlSS_E_NS1_11comp_targetILNS1_3genE0ELNS1_11target_archE4294967295ELNS1_3gpuE0ELNS1_3repE0EEENS1_30default_config_static_selectorELNS0_4arch9wavefront6targetE1EEEvT1_: ; @_ZN7rocprim17ROCPRIM_400000_NS6detail17trampoline_kernelINS0_14default_configENS1_20scan_config_selectorIiEEZZNS1_9scan_implILNS1_25lookback_scan_determinismE0ELb0ELb0ES3_N6thrust23THRUST_200600_302600_NS6detail15normal_iteratorINS9_10device_ptrIiEEEENS9_16discard_iteratorINS9_11use_defaultEEEi11max_functorIiEiEEDaPvRmT3_T4_T5_mT6_P12ihipStream_tbENKUlT_T0_E_clISt17integral_constantIbLb0EESW_IbLb1EEEEDaSS_ST_EUlSS_E_NS1_11comp_targetILNS1_3genE0ELNS1_11target_archE4294967295ELNS1_3gpuE0ELNS1_3repE0EEENS1_30default_config_static_selectorELNS0_4arch9wavefront6targetE1EEEvT1_
; %bb.0:
	.section	.rodata,"a",@progbits
	.p2align	6, 0x0
	.amdhsa_kernel _ZN7rocprim17ROCPRIM_400000_NS6detail17trampoline_kernelINS0_14default_configENS1_20scan_config_selectorIiEEZZNS1_9scan_implILNS1_25lookback_scan_determinismE0ELb0ELb0ES3_N6thrust23THRUST_200600_302600_NS6detail15normal_iteratorINS9_10device_ptrIiEEEENS9_16discard_iteratorINS9_11use_defaultEEEi11max_functorIiEiEEDaPvRmT3_T4_T5_mT6_P12ihipStream_tbENKUlT_T0_E_clISt17integral_constantIbLb0EESW_IbLb1EEEEDaSS_ST_EUlSS_E_NS1_11comp_targetILNS1_3genE0ELNS1_11target_archE4294967295ELNS1_3gpuE0ELNS1_3repE0EEENS1_30default_config_static_selectorELNS0_4arch9wavefront6targetE1EEEvT1_
		.amdhsa_group_segment_fixed_size 0
		.amdhsa_private_segment_fixed_size 0
		.amdhsa_kernarg_size 104
		.amdhsa_user_sgpr_count 6
		.amdhsa_user_sgpr_private_segment_buffer 1
		.amdhsa_user_sgpr_dispatch_ptr 0
		.amdhsa_user_sgpr_queue_ptr 0
		.amdhsa_user_sgpr_kernarg_segment_ptr 1
		.amdhsa_user_sgpr_dispatch_id 0
		.amdhsa_user_sgpr_flat_scratch_init 0
		.amdhsa_user_sgpr_kernarg_preload_length 0
		.amdhsa_user_sgpr_kernarg_preload_offset 0
		.amdhsa_user_sgpr_private_segment_size 0
		.amdhsa_uses_dynamic_stack 0
		.amdhsa_system_sgpr_private_segment_wavefront_offset 0
		.amdhsa_system_sgpr_workgroup_id_x 1
		.amdhsa_system_sgpr_workgroup_id_y 0
		.amdhsa_system_sgpr_workgroup_id_z 0
		.amdhsa_system_sgpr_workgroup_info 0
		.amdhsa_system_vgpr_workitem_id 0
		.amdhsa_next_free_vgpr 1
		.amdhsa_next_free_sgpr 0
		.amdhsa_accum_offset 4
		.amdhsa_reserve_vcc 0
		.amdhsa_reserve_flat_scratch 0
		.amdhsa_float_round_mode_32 0
		.amdhsa_float_round_mode_16_64 0
		.amdhsa_float_denorm_mode_32 3
		.amdhsa_float_denorm_mode_16_64 3
		.amdhsa_dx10_clamp 1
		.amdhsa_ieee_mode 1
		.amdhsa_fp16_overflow 0
		.amdhsa_tg_split 0
		.amdhsa_exception_fp_ieee_invalid_op 0
		.amdhsa_exception_fp_denorm_src 0
		.amdhsa_exception_fp_ieee_div_zero 0
		.amdhsa_exception_fp_ieee_overflow 0
		.amdhsa_exception_fp_ieee_underflow 0
		.amdhsa_exception_fp_ieee_inexact 0
		.amdhsa_exception_int_div_zero 0
	.end_amdhsa_kernel
	.section	.text._ZN7rocprim17ROCPRIM_400000_NS6detail17trampoline_kernelINS0_14default_configENS1_20scan_config_selectorIiEEZZNS1_9scan_implILNS1_25lookback_scan_determinismE0ELb0ELb0ES3_N6thrust23THRUST_200600_302600_NS6detail15normal_iteratorINS9_10device_ptrIiEEEENS9_16discard_iteratorINS9_11use_defaultEEEi11max_functorIiEiEEDaPvRmT3_T4_T5_mT6_P12ihipStream_tbENKUlT_T0_E_clISt17integral_constantIbLb0EESW_IbLb1EEEEDaSS_ST_EUlSS_E_NS1_11comp_targetILNS1_3genE0ELNS1_11target_archE4294967295ELNS1_3gpuE0ELNS1_3repE0EEENS1_30default_config_static_selectorELNS0_4arch9wavefront6targetE1EEEvT1_,"axG",@progbits,_ZN7rocprim17ROCPRIM_400000_NS6detail17trampoline_kernelINS0_14default_configENS1_20scan_config_selectorIiEEZZNS1_9scan_implILNS1_25lookback_scan_determinismE0ELb0ELb0ES3_N6thrust23THRUST_200600_302600_NS6detail15normal_iteratorINS9_10device_ptrIiEEEENS9_16discard_iteratorINS9_11use_defaultEEEi11max_functorIiEiEEDaPvRmT3_T4_T5_mT6_P12ihipStream_tbENKUlT_T0_E_clISt17integral_constantIbLb0EESW_IbLb1EEEEDaSS_ST_EUlSS_E_NS1_11comp_targetILNS1_3genE0ELNS1_11target_archE4294967295ELNS1_3gpuE0ELNS1_3repE0EEENS1_30default_config_static_selectorELNS0_4arch9wavefront6targetE1EEEvT1_,comdat
.Lfunc_end3908:
	.size	_ZN7rocprim17ROCPRIM_400000_NS6detail17trampoline_kernelINS0_14default_configENS1_20scan_config_selectorIiEEZZNS1_9scan_implILNS1_25lookback_scan_determinismE0ELb0ELb0ES3_N6thrust23THRUST_200600_302600_NS6detail15normal_iteratorINS9_10device_ptrIiEEEENS9_16discard_iteratorINS9_11use_defaultEEEi11max_functorIiEiEEDaPvRmT3_T4_T5_mT6_P12ihipStream_tbENKUlT_T0_E_clISt17integral_constantIbLb0EESW_IbLb1EEEEDaSS_ST_EUlSS_E_NS1_11comp_targetILNS1_3genE0ELNS1_11target_archE4294967295ELNS1_3gpuE0ELNS1_3repE0EEENS1_30default_config_static_selectorELNS0_4arch9wavefront6targetE1EEEvT1_, .Lfunc_end3908-_ZN7rocprim17ROCPRIM_400000_NS6detail17trampoline_kernelINS0_14default_configENS1_20scan_config_selectorIiEEZZNS1_9scan_implILNS1_25lookback_scan_determinismE0ELb0ELb0ES3_N6thrust23THRUST_200600_302600_NS6detail15normal_iteratorINS9_10device_ptrIiEEEENS9_16discard_iteratorINS9_11use_defaultEEEi11max_functorIiEiEEDaPvRmT3_T4_T5_mT6_P12ihipStream_tbENKUlT_T0_E_clISt17integral_constantIbLb0EESW_IbLb1EEEEDaSS_ST_EUlSS_E_NS1_11comp_targetILNS1_3genE0ELNS1_11target_archE4294967295ELNS1_3gpuE0ELNS1_3repE0EEENS1_30default_config_static_selectorELNS0_4arch9wavefront6targetE1EEEvT1_
                                        ; -- End function
	.section	.AMDGPU.csdata,"",@progbits
; Kernel info:
; codeLenInByte = 0
; NumSgprs: 4
; NumVgprs: 0
; NumAgprs: 0
; TotalNumVgprs: 0
; ScratchSize: 0
; MemoryBound: 0
; FloatMode: 240
; IeeeMode: 1
; LDSByteSize: 0 bytes/workgroup (compile time only)
; SGPRBlocks: 0
; VGPRBlocks: 0
; NumSGPRsForWavesPerEU: 4
; NumVGPRsForWavesPerEU: 1
; AccumOffset: 4
; Occupancy: 8
; WaveLimiterHint : 0
; COMPUTE_PGM_RSRC2:SCRATCH_EN: 0
; COMPUTE_PGM_RSRC2:USER_SGPR: 6
; COMPUTE_PGM_RSRC2:TRAP_HANDLER: 0
; COMPUTE_PGM_RSRC2:TGID_X_EN: 1
; COMPUTE_PGM_RSRC2:TGID_Y_EN: 0
; COMPUTE_PGM_RSRC2:TGID_Z_EN: 0
; COMPUTE_PGM_RSRC2:TIDIG_COMP_CNT: 0
; COMPUTE_PGM_RSRC3_GFX90A:ACCUM_OFFSET: 0
; COMPUTE_PGM_RSRC3_GFX90A:TG_SPLIT: 0
	.section	.text._ZN7rocprim17ROCPRIM_400000_NS6detail17trampoline_kernelINS0_14default_configENS1_20scan_config_selectorIiEEZZNS1_9scan_implILNS1_25lookback_scan_determinismE0ELb0ELb0ES3_N6thrust23THRUST_200600_302600_NS6detail15normal_iteratorINS9_10device_ptrIiEEEENS9_16discard_iteratorINS9_11use_defaultEEEi11max_functorIiEiEEDaPvRmT3_T4_T5_mT6_P12ihipStream_tbENKUlT_T0_E_clISt17integral_constantIbLb0EESW_IbLb1EEEEDaSS_ST_EUlSS_E_NS1_11comp_targetILNS1_3genE5ELNS1_11target_archE942ELNS1_3gpuE9ELNS1_3repE0EEENS1_30default_config_static_selectorELNS0_4arch9wavefront6targetE1EEEvT1_,"axG",@progbits,_ZN7rocprim17ROCPRIM_400000_NS6detail17trampoline_kernelINS0_14default_configENS1_20scan_config_selectorIiEEZZNS1_9scan_implILNS1_25lookback_scan_determinismE0ELb0ELb0ES3_N6thrust23THRUST_200600_302600_NS6detail15normal_iteratorINS9_10device_ptrIiEEEENS9_16discard_iteratorINS9_11use_defaultEEEi11max_functorIiEiEEDaPvRmT3_T4_T5_mT6_P12ihipStream_tbENKUlT_T0_E_clISt17integral_constantIbLb0EESW_IbLb1EEEEDaSS_ST_EUlSS_E_NS1_11comp_targetILNS1_3genE5ELNS1_11target_archE942ELNS1_3gpuE9ELNS1_3repE0EEENS1_30default_config_static_selectorELNS0_4arch9wavefront6targetE1EEEvT1_,comdat
	.protected	_ZN7rocprim17ROCPRIM_400000_NS6detail17trampoline_kernelINS0_14default_configENS1_20scan_config_selectorIiEEZZNS1_9scan_implILNS1_25lookback_scan_determinismE0ELb0ELb0ES3_N6thrust23THRUST_200600_302600_NS6detail15normal_iteratorINS9_10device_ptrIiEEEENS9_16discard_iteratorINS9_11use_defaultEEEi11max_functorIiEiEEDaPvRmT3_T4_T5_mT6_P12ihipStream_tbENKUlT_T0_E_clISt17integral_constantIbLb0EESW_IbLb1EEEEDaSS_ST_EUlSS_E_NS1_11comp_targetILNS1_3genE5ELNS1_11target_archE942ELNS1_3gpuE9ELNS1_3repE0EEENS1_30default_config_static_selectorELNS0_4arch9wavefront6targetE1EEEvT1_ ; -- Begin function _ZN7rocprim17ROCPRIM_400000_NS6detail17trampoline_kernelINS0_14default_configENS1_20scan_config_selectorIiEEZZNS1_9scan_implILNS1_25lookback_scan_determinismE0ELb0ELb0ES3_N6thrust23THRUST_200600_302600_NS6detail15normal_iteratorINS9_10device_ptrIiEEEENS9_16discard_iteratorINS9_11use_defaultEEEi11max_functorIiEiEEDaPvRmT3_T4_T5_mT6_P12ihipStream_tbENKUlT_T0_E_clISt17integral_constantIbLb0EESW_IbLb1EEEEDaSS_ST_EUlSS_E_NS1_11comp_targetILNS1_3genE5ELNS1_11target_archE942ELNS1_3gpuE9ELNS1_3repE0EEENS1_30default_config_static_selectorELNS0_4arch9wavefront6targetE1EEEvT1_
	.globl	_ZN7rocprim17ROCPRIM_400000_NS6detail17trampoline_kernelINS0_14default_configENS1_20scan_config_selectorIiEEZZNS1_9scan_implILNS1_25lookback_scan_determinismE0ELb0ELb0ES3_N6thrust23THRUST_200600_302600_NS6detail15normal_iteratorINS9_10device_ptrIiEEEENS9_16discard_iteratorINS9_11use_defaultEEEi11max_functorIiEiEEDaPvRmT3_T4_T5_mT6_P12ihipStream_tbENKUlT_T0_E_clISt17integral_constantIbLb0EESW_IbLb1EEEEDaSS_ST_EUlSS_E_NS1_11comp_targetILNS1_3genE5ELNS1_11target_archE942ELNS1_3gpuE9ELNS1_3repE0EEENS1_30default_config_static_selectorELNS0_4arch9wavefront6targetE1EEEvT1_
	.p2align	8
	.type	_ZN7rocprim17ROCPRIM_400000_NS6detail17trampoline_kernelINS0_14default_configENS1_20scan_config_selectorIiEEZZNS1_9scan_implILNS1_25lookback_scan_determinismE0ELb0ELb0ES3_N6thrust23THRUST_200600_302600_NS6detail15normal_iteratorINS9_10device_ptrIiEEEENS9_16discard_iteratorINS9_11use_defaultEEEi11max_functorIiEiEEDaPvRmT3_T4_T5_mT6_P12ihipStream_tbENKUlT_T0_E_clISt17integral_constantIbLb0EESW_IbLb1EEEEDaSS_ST_EUlSS_E_NS1_11comp_targetILNS1_3genE5ELNS1_11target_archE942ELNS1_3gpuE9ELNS1_3repE0EEENS1_30default_config_static_selectorELNS0_4arch9wavefront6targetE1EEEvT1_,@function
_ZN7rocprim17ROCPRIM_400000_NS6detail17trampoline_kernelINS0_14default_configENS1_20scan_config_selectorIiEEZZNS1_9scan_implILNS1_25lookback_scan_determinismE0ELb0ELb0ES3_N6thrust23THRUST_200600_302600_NS6detail15normal_iteratorINS9_10device_ptrIiEEEENS9_16discard_iteratorINS9_11use_defaultEEEi11max_functorIiEiEEDaPvRmT3_T4_T5_mT6_P12ihipStream_tbENKUlT_T0_E_clISt17integral_constantIbLb0EESW_IbLb1EEEEDaSS_ST_EUlSS_E_NS1_11comp_targetILNS1_3genE5ELNS1_11target_archE942ELNS1_3gpuE9ELNS1_3repE0EEENS1_30default_config_static_selectorELNS0_4arch9wavefront6targetE1EEEvT1_: ; @_ZN7rocprim17ROCPRIM_400000_NS6detail17trampoline_kernelINS0_14default_configENS1_20scan_config_selectorIiEEZZNS1_9scan_implILNS1_25lookback_scan_determinismE0ELb0ELb0ES3_N6thrust23THRUST_200600_302600_NS6detail15normal_iteratorINS9_10device_ptrIiEEEENS9_16discard_iteratorINS9_11use_defaultEEEi11max_functorIiEiEEDaPvRmT3_T4_T5_mT6_P12ihipStream_tbENKUlT_T0_E_clISt17integral_constantIbLb0EESW_IbLb1EEEEDaSS_ST_EUlSS_E_NS1_11comp_targetILNS1_3genE5ELNS1_11target_archE942ELNS1_3gpuE9ELNS1_3repE0EEENS1_30default_config_static_selectorELNS0_4arch9wavefront6targetE1EEEvT1_
; %bb.0:
	.section	.rodata,"a",@progbits
	.p2align	6, 0x0
	.amdhsa_kernel _ZN7rocprim17ROCPRIM_400000_NS6detail17trampoline_kernelINS0_14default_configENS1_20scan_config_selectorIiEEZZNS1_9scan_implILNS1_25lookback_scan_determinismE0ELb0ELb0ES3_N6thrust23THRUST_200600_302600_NS6detail15normal_iteratorINS9_10device_ptrIiEEEENS9_16discard_iteratorINS9_11use_defaultEEEi11max_functorIiEiEEDaPvRmT3_T4_T5_mT6_P12ihipStream_tbENKUlT_T0_E_clISt17integral_constantIbLb0EESW_IbLb1EEEEDaSS_ST_EUlSS_E_NS1_11comp_targetILNS1_3genE5ELNS1_11target_archE942ELNS1_3gpuE9ELNS1_3repE0EEENS1_30default_config_static_selectorELNS0_4arch9wavefront6targetE1EEEvT1_
		.amdhsa_group_segment_fixed_size 0
		.amdhsa_private_segment_fixed_size 0
		.amdhsa_kernarg_size 104
		.amdhsa_user_sgpr_count 6
		.amdhsa_user_sgpr_private_segment_buffer 1
		.amdhsa_user_sgpr_dispatch_ptr 0
		.amdhsa_user_sgpr_queue_ptr 0
		.amdhsa_user_sgpr_kernarg_segment_ptr 1
		.amdhsa_user_sgpr_dispatch_id 0
		.amdhsa_user_sgpr_flat_scratch_init 0
		.amdhsa_user_sgpr_kernarg_preload_length 0
		.amdhsa_user_sgpr_kernarg_preload_offset 0
		.amdhsa_user_sgpr_private_segment_size 0
		.amdhsa_uses_dynamic_stack 0
		.amdhsa_system_sgpr_private_segment_wavefront_offset 0
		.amdhsa_system_sgpr_workgroup_id_x 1
		.amdhsa_system_sgpr_workgroup_id_y 0
		.amdhsa_system_sgpr_workgroup_id_z 0
		.amdhsa_system_sgpr_workgroup_info 0
		.amdhsa_system_vgpr_workitem_id 0
		.amdhsa_next_free_vgpr 1
		.amdhsa_next_free_sgpr 0
		.amdhsa_accum_offset 4
		.amdhsa_reserve_vcc 0
		.amdhsa_reserve_flat_scratch 0
		.amdhsa_float_round_mode_32 0
		.amdhsa_float_round_mode_16_64 0
		.amdhsa_float_denorm_mode_32 3
		.amdhsa_float_denorm_mode_16_64 3
		.amdhsa_dx10_clamp 1
		.amdhsa_ieee_mode 1
		.amdhsa_fp16_overflow 0
		.amdhsa_tg_split 0
		.amdhsa_exception_fp_ieee_invalid_op 0
		.amdhsa_exception_fp_denorm_src 0
		.amdhsa_exception_fp_ieee_div_zero 0
		.amdhsa_exception_fp_ieee_overflow 0
		.amdhsa_exception_fp_ieee_underflow 0
		.amdhsa_exception_fp_ieee_inexact 0
		.amdhsa_exception_int_div_zero 0
	.end_amdhsa_kernel
	.section	.text._ZN7rocprim17ROCPRIM_400000_NS6detail17trampoline_kernelINS0_14default_configENS1_20scan_config_selectorIiEEZZNS1_9scan_implILNS1_25lookback_scan_determinismE0ELb0ELb0ES3_N6thrust23THRUST_200600_302600_NS6detail15normal_iteratorINS9_10device_ptrIiEEEENS9_16discard_iteratorINS9_11use_defaultEEEi11max_functorIiEiEEDaPvRmT3_T4_T5_mT6_P12ihipStream_tbENKUlT_T0_E_clISt17integral_constantIbLb0EESW_IbLb1EEEEDaSS_ST_EUlSS_E_NS1_11comp_targetILNS1_3genE5ELNS1_11target_archE942ELNS1_3gpuE9ELNS1_3repE0EEENS1_30default_config_static_selectorELNS0_4arch9wavefront6targetE1EEEvT1_,"axG",@progbits,_ZN7rocprim17ROCPRIM_400000_NS6detail17trampoline_kernelINS0_14default_configENS1_20scan_config_selectorIiEEZZNS1_9scan_implILNS1_25lookback_scan_determinismE0ELb0ELb0ES3_N6thrust23THRUST_200600_302600_NS6detail15normal_iteratorINS9_10device_ptrIiEEEENS9_16discard_iteratorINS9_11use_defaultEEEi11max_functorIiEiEEDaPvRmT3_T4_T5_mT6_P12ihipStream_tbENKUlT_T0_E_clISt17integral_constantIbLb0EESW_IbLb1EEEEDaSS_ST_EUlSS_E_NS1_11comp_targetILNS1_3genE5ELNS1_11target_archE942ELNS1_3gpuE9ELNS1_3repE0EEENS1_30default_config_static_selectorELNS0_4arch9wavefront6targetE1EEEvT1_,comdat
.Lfunc_end3909:
	.size	_ZN7rocprim17ROCPRIM_400000_NS6detail17trampoline_kernelINS0_14default_configENS1_20scan_config_selectorIiEEZZNS1_9scan_implILNS1_25lookback_scan_determinismE0ELb0ELb0ES3_N6thrust23THRUST_200600_302600_NS6detail15normal_iteratorINS9_10device_ptrIiEEEENS9_16discard_iteratorINS9_11use_defaultEEEi11max_functorIiEiEEDaPvRmT3_T4_T5_mT6_P12ihipStream_tbENKUlT_T0_E_clISt17integral_constantIbLb0EESW_IbLb1EEEEDaSS_ST_EUlSS_E_NS1_11comp_targetILNS1_3genE5ELNS1_11target_archE942ELNS1_3gpuE9ELNS1_3repE0EEENS1_30default_config_static_selectorELNS0_4arch9wavefront6targetE1EEEvT1_, .Lfunc_end3909-_ZN7rocprim17ROCPRIM_400000_NS6detail17trampoline_kernelINS0_14default_configENS1_20scan_config_selectorIiEEZZNS1_9scan_implILNS1_25lookback_scan_determinismE0ELb0ELb0ES3_N6thrust23THRUST_200600_302600_NS6detail15normal_iteratorINS9_10device_ptrIiEEEENS9_16discard_iteratorINS9_11use_defaultEEEi11max_functorIiEiEEDaPvRmT3_T4_T5_mT6_P12ihipStream_tbENKUlT_T0_E_clISt17integral_constantIbLb0EESW_IbLb1EEEEDaSS_ST_EUlSS_E_NS1_11comp_targetILNS1_3genE5ELNS1_11target_archE942ELNS1_3gpuE9ELNS1_3repE0EEENS1_30default_config_static_selectorELNS0_4arch9wavefront6targetE1EEEvT1_
                                        ; -- End function
	.section	.AMDGPU.csdata,"",@progbits
; Kernel info:
; codeLenInByte = 0
; NumSgprs: 4
; NumVgprs: 0
; NumAgprs: 0
; TotalNumVgprs: 0
; ScratchSize: 0
; MemoryBound: 0
; FloatMode: 240
; IeeeMode: 1
; LDSByteSize: 0 bytes/workgroup (compile time only)
; SGPRBlocks: 0
; VGPRBlocks: 0
; NumSGPRsForWavesPerEU: 4
; NumVGPRsForWavesPerEU: 1
; AccumOffset: 4
; Occupancy: 8
; WaveLimiterHint : 0
; COMPUTE_PGM_RSRC2:SCRATCH_EN: 0
; COMPUTE_PGM_RSRC2:USER_SGPR: 6
; COMPUTE_PGM_RSRC2:TRAP_HANDLER: 0
; COMPUTE_PGM_RSRC2:TGID_X_EN: 1
; COMPUTE_PGM_RSRC2:TGID_Y_EN: 0
; COMPUTE_PGM_RSRC2:TGID_Z_EN: 0
; COMPUTE_PGM_RSRC2:TIDIG_COMP_CNT: 0
; COMPUTE_PGM_RSRC3_GFX90A:ACCUM_OFFSET: 0
; COMPUTE_PGM_RSRC3_GFX90A:TG_SPLIT: 0
	.section	.text._ZN7rocprim17ROCPRIM_400000_NS6detail17trampoline_kernelINS0_14default_configENS1_20scan_config_selectorIiEEZZNS1_9scan_implILNS1_25lookback_scan_determinismE0ELb0ELb0ES3_N6thrust23THRUST_200600_302600_NS6detail15normal_iteratorINS9_10device_ptrIiEEEENS9_16discard_iteratorINS9_11use_defaultEEEi11max_functorIiEiEEDaPvRmT3_T4_T5_mT6_P12ihipStream_tbENKUlT_T0_E_clISt17integral_constantIbLb0EESW_IbLb1EEEEDaSS_ST_EUlSS_E_NS1_11comp_targetILNS1_3genE4ELNS1_11target_archE910ELNS1_3gpuE8ELNS1_3repE0EEENS1_30default_config_static_selectorELNS0_4arch9wavefront6targetE1EEEvT1_,"axG",@progbits,_ZN7rocprim17ROCPRIM_400000_NS6detail17trampoline_kernelINS0_14default_configENS1_20scan_config_selectorIiEEZZNS1_9scan_implILNS1_25lookback_scan_determinismE0ELb0ELb0ES3_N6thrust23THRUST_200600_302600_NS6detail15normal_iteratorINS9_10device_ptrIiEEEENS9_16discard_iteratorINS9_11use_defaultEEEi11max_functorIiEiEEDaPvRmT3_T4_T5_mT6_P12ihipStream_tbENKUlT_T0_E_clISt17integral_constantIbLb0EESW_IbLb1EEEEDaSS_ST_EUlSS_E_NS1_11comp_targetILNS1_3genE4ELNS1_11target_archE910ELNS1_3gpuE8ELNS1_3repE0EEENS1_30default_config_static_selectorELNS0_4arch9wavefront6targetE1EEEvT1_,comdat
	.protected	_ZN7rocprim17ROCPRIM_400000_NS6detail17trampoline_kernelINS0_14default_configENS1_20scan_config_selectorIiEEZZNS1_9scan_implILNS1_25lookback_scan_determinismE0ELb0ELb0ES3_N6thrust23THRUST_200600_302600_NS6detail15normal_iteratorINS9_10device_ptrIiEEEENS9_16discard_iteratorINS9_11use_defaultEEEi11max_functorIiEiEEDaPvRmT3_T4_T5_mT6_P12ihipStream_tbENKUlT_T0_E_clISt17integral_constantIbLb0EESW_IbLb1EEEEDaSS_ST_EUlSS_E_NS1_11comp_targetILNS1_3genE4ELNS1_11target_archE910ELNS1_3gpuE8ELNS1_3repE0EEENS1_30default_config_static_selectorELNS0_4arch9wavefront6targetE1EEEvT1_ ; -- Begin function _ZN7rocprim17ROCPRIM_400000_NS6detail17trampoline_kernelINS0_14default_configENS1_20scan_config_selectorIiEEZZNS1_9scan_implILNS1_25lookback_scan_determinismE0ELb0ELb0ES3_N6thrust23THRUST_200600_302600_NS6detail15normal_iteratorINS9_10device_ptrIiEEEENS9_16discard_iteratorINS9_11use_defaultEEEi11max_functorIiEiEEDaPvRmT3_T4_T5_mT6_P12ihipStream_tbENKUlT_T0_E_clISt17integral_constantIbLb0EESW_IbLb1EEEEDaSS_ST_EUlSS_E_NS1_11comp_targetILNS1_3genE4ELNS1_11target_archE910ELNS1_3gpuE8ELNS1_3repE0EEENS1_30default_config_static_selectorELNS0_4arch9wavefront6targetE1EEEvT1_
	.globl	_ZN7rocprim17ROCPRIM_400000_NS6detail17trampoline_kernelINS0_14default_configENS1_20scan_config_selectorIiEEZZNS1_9scan_implILNS1_25lookback_scan_determinismE0ELb0ELb0ES3_N6thrust23THRUST_200600_302600_NS6detail15normal_iteratorINS9_10device_ptrIiEEEENS9_16discard_iteratorINS9_11use_defaultEEEi11max_functorIiEiEEDaPvRmT3_T4_T5_mT6_P12ihipStream_tbENKUlT_T0_E_clISt17integral_constantIbLb0EESW_IbLb1EEEEDaSS_ST_EUlSS_E_NS1_11comp_targetILNS1_3genE4ELNS1_11target_archE910ELNS1_3gpuE8ELNS1_3repE0EEENS1_30default_config_static_selectorELNS0_4arch9wavefront6targetE1EEEvT1_
	.p2align	8
	.type	_ZN7rocprim17ROCPRIM_400000_NS6detail17trampoline_kernelINS0_14default_configENS1_20scan_config_selectorIiEEZZNS1_9scan_implILNS1_25lookback_scan_determinismE0ELb0ELb0ES3_N6thrust23THRUST_200600_302600_NS6detail15normal_iteratorINS9_10device_ptrIiEEEENS9_16discard_iteratorINS9_11use_defaultEEEi11max_functorIiEiEEDaPvRmT3_T4_T5_mT6_P12ihipStream_tbENKUlT_T0_E_clISt17integral_constantIbLb0EESW_IbLb1EEEEDaSS_ST_EUlSS_E_NS1_11comp_targetILNS1_3genE4ELNS1_11target_archE910ELNS1_3gpuE8ELNS1_3repE0EEENS1_30default_config_static_selectorELNS0_4arch9wavefront6targetE1EEEvT1_,@function
_ZN7rocprim17ROCPRIM_400000_NS6detail17trampoline_kernelINS0_14default_configENS1_20scan_config_selectorIiEEZZNS1_9scan_implILNS1_25lookback_scan_determinismE0ELb0ELb0ES3_N6thrust23THRUST_200600_302600_NS6detail15normal_iteratorINS9_10device_ptrIiEEEENS9_16discard_iteratorINS9_11use_defaultEEEi11max_functorIiEiEEDaPvRmT3_T4_T5_mT6_P12ihipStream_tbENKUlT_T0_E_clISt17integral_constantIbLb0EESW_IbLb1EEEEDaSS_ST_EUlSS_E_NS1_11comp_targetILNS1_3genE4ELNS1_11target_archE910ELNS1_3gpuE8ELNS1_3repE0EEENS1_30default_config_static_selectorELNS0_4arch9wavefront6targetE1EEEvT1_: ; @_ZN7rocprim17ROCPRIM_400000_NS6detail17trampoline_kernelINS0_14default_configENS1_20scan_config_selectorIiEEZZNS1_9scan_implILNS1_25lookback_scan_determinismE0ELb0ELb0ES3_N6thrust23THRUST_200600_302600_NS6detail15normal_iteratorINS9_10device_ptrIiEEEENS9_16discard_iteratorINS9_11use_defaultEEEi11max_functorIiEiEEDaPvRmT3_T4_T5_mT6_P12ihipStream_tbENKUlT_T0_E_clISt17integral_constantIbLb0EESW_IbLb1EEEEDaSS_ST_EUlSS_E_NS1_11comp_targetILNS1_3genE4ELNS1_11target_archE910ELNS1_3gpuE8ELNS1_3repE0EEENS1_30default_config_static_selectorELNS0_4arch9wavefront6targetE1EEEvT1_
; %bb.0:
	s_load_dwordx2 s[20:21], s[4:5], 0x20
	s_load_dwordx2 s[6:7], s[4:5], 0x30
	v_cmp_ne_u32_e64 s[0:1], 0, v0
	v_cmp_eq_u32_e64 s[2:3], 0, v0
	s_and_saveexec_b64 s[8:9], s[2:3]
	s_cbranch_execz .LBB3910_4
; %bb.1:
	s_mov_b64 s[12:13], exec
	v_mbcnt_lo_u32_b32 v1, s12, 0
	v_mbcnt_hi_u32_b32 v1, s13, v1
	v_cmp_eq_u32_e32 vcc, 0, v1
                                        ; implicit-def: $vgpr2
	s_and_saveexec_b64 s[10:11], vcc
	s_cbranch_execz .LBB3910_3
; %bb.2:
	s_load_dwordx2 s[14:15], s[4:5], 0x60
	s_bcnt1_i32_b64 s12, s[12:13]
	v_mov_b32_e32 v2, 0
	v_mov_b32_e32 v3, s12
	s_waitcnt lgkmcnt(0)
	global_atomic_add v2, v2, v3, s[14:15] glc
.LBB3910_3:
	s_or_b64 exec, exec, s[10:11]
	s_waitcnt vmcnt(0)
	v_readfirstlane_b32 s10, v2
	v_add_u32_e32 v1, s10, v1
	v_mov_b32_e32 v2, 0
	ds_write_b32 v2, v1
.LBB3910_4:
	s_or_b64 exec, exec, s[8:9]
	v_mov_b32_e32 v3, 0
	s_load_dwordx4 s[16:19], s[4:5], 0x0
	s_load_dword s22, s[4:5], 0x38
	s_load_dwordx8 s[8:15], s[4:5], 0x40
	s_waitcnt lgkmcnt(0)
	s_barrier
	ds_read_b32 v1, v3
	s_lshl_b64 s[4:5], s[18:19], 2
	s_add_u32 s4, s16, s4
	s_movk_i32 s16, 0x500
	s_addc_u32 s5, s17, s5
	s_waitcnt lgkmcnt(0)
	v_mul_lo_u32 v2, v1, s16
	s_add_i32 s16, s22, -1
	s_mul_i32 s17, s16, 0x500
	s_sub_u32 s24, s20, s17
	v_readfirstlane_b32 s26, v1
	s_subb_u32 s25, s21, 0
	v_lshlrev_b64 v[2:3], 2, v[2:3]
	s_cmp_lg_u32 s26, s16
	v_mov_b32_e32 v1, s5
	v_add_co_u32_e32 v12, vcc, s4, v2
	s_cselect_b64 s[16:17], -1, 0
	v_addc_co_u32_e32 v13, vcc, v1, v3, vcc
	s_mov_b64 s[4:5], -1
	s_and_b64 vcc, exec, s[16:17]
	v_lshlrev_b32_e32 v11, 2, v0
	s_barrier
	s_cbranch_vccz .LBB3910_6
; %bb.5:
	v_add_co_u32_e32 v2, vcc, v12, v11
	v_addc_co_u32_e32 v3, vcc, 0, v13, vcc
	flat_load_dword v1, v[2:3]
	flat_load_dword v4, v[2:3] offset:512
	flat_load_dword v5, v[2:3] offset:1024
	;; [unrolled: 1-line block ×7, first 2 shown]
	v_add_co_u32_e32 v2, vcc, 0x1000, v2
	v_addc_co_u32_e32 v3, vcc, 0, v3, vcc
	flat_load_dword v14, v[2:3]
	flat_load_dword v15, v[2:3] offset:512
	s_mov_b64 s[4:5], 0
	s_waitcnt vmcnt(0) lgkmcnt(0)
	ds_write2st64_b32 v11, v1, v4 offset1:2
	ds_write2st64_b32 v11, v5, v6 offset0:4 offset1:6
	ds_write2st64_b32 v11, v7, v8 offset0:8 offset1:10
	;; [unrolled: 1-line block ×4, first 2 shown]
	s_waitcnt lgkmcnt(0)
	s_barrier
.LBB3910_6:
	s_andn2_b64 vcc, exec, s[4:5]
	s_cbranch_vccnz .LBB3910_28
; %bb.7:
	flat_load_dword v1, v[12:13]
	v_cmp_gt_u32_e32 vcc, s24, v0
	s_waitcnt vmcnt(0) lgkmcnt(0)
	v_mov_b32_e32 v2, v1
	v_mov_b32_e32 v3, v1
	;; [unrolled: 1-line block ×9, first 2 shown]
	s_and_saveexec_b64 s[4:5], vcc
	s_cbranch_execz .LBB3910_9
; %bb.8:
	v_add_co_u32_e32 v14, vcc, v12, v11
	v_addc_co_u32_e32 v15, vcc, 0, v13, vcc
	flat_load_dword v10, v[14:15]
.LBB3910_9:
	s_or_b64 exec, exec, s[4:5]
	v_or_b32_e32 v14, 0x80, v0
	v_cmp_gt_u32_e32 vcc, s24, v14
	s_and_saveexec_b64 s[4:5], vcc
	s_cbranch_execz .LBB3910_11
; %bb.10:
	v_add_co_u32_e32 v14, vcc, v12, v11
	v_addc_co_u32_e32 v15, vcc, 0, v13, vcc
	flat_load_dword v1, v[14:15] offset:512
.LBB3910_11:
	s_or_b64 exec, exec, s[4:5]
	v_or_b32_e32 v14, 0x100, v0
	v_cmp_gt_u32_e32 vcc, s24, v14
	s_and_saveexec_b64 s[4:5], vcc
	s_cbranch_execz .LBB3910_13
; %bb.12:
	v_add_co_u32_e32 v14, vcc, v12, v11
	v_addc_co_u32_e32 v15, vcc, 0, v13, vcc
	flat_load_dword v2, v[14:15] offset:1024
.LBB3910_13:
	;; [unrolled: 10-line block ×7, first 2 shown]
	s_or_b64 exec, exec, s[4:5]
	v_or_b32_e32 v14, 0x400, v0
	v_cmp_gt_u32_e32 vcc, s24, v14
	s_and_saveexec_b64 s[4:5], vcc
	s_cbranch_execz .LBB3910_25
; %bb.24:
	v_lshlrev_b32_e32 v8, 2, v14
	v_add_co_u32_e32 v14, vcc, v12, v8
	v_addc_co_u32_e32 v15, vcc, 0, v13, vcc
	flat_load_dword v8, v[14:15]
.LBB3910_25:
	s_or_b64 exec, exec, s[4:5]
	v_or_b32_e32 v14, 0x480, v0
	v_cmp_gt_u32_e32 vcc, s24, v14
	s_and_saveexec_b64 s[4:5], vcc
	s_cbranch_execz .LBB3910_27
; %bb.26:
	v_lshlrev_b32_e32 v9, 2, v14
	v_add_co_u32_e32 v12, vcc, v12, v9
	v_addc_co_u32_e32 v13, vcc, 0, v13, vcc
	flat_load_dword v9, v[12:13]
.LBB3910_27:
	s_or_b64 exec, exec, s[4:5]
	s_waitcnt vmcnt(0) lgkmcnt(0)
	ds_write2st64_b32 v11, v10, v1 offset1:2
	ds_write2st64_b32 v11, v2, v3 offset0:4 offset1:6
	ds_write2st64_b32 v11, v4, v5 offset0:8 offset1:10
	;; [unrolled: 1-line block ×4, first 2 shown]
	s_waitcnt lgkmcnt(0)
	s_barrier
.LBB3910_28:
	v_mul_u32_u24_e32 v22, 10, v0
	v_lshlrev_b32_e32 v23, 2, v22
	ds_read2_b64 v[2:5], v23 offset1:1
	ds_read2_b64 v[16:19], v23 offset0:2 offset1:3
	ds_read_b64 v[20:21], v23 offset:32
	s_cmp_lg_u32 s26, 0
	v_lshrrev_b32_e32 v1, 5, v0
	v_cmp_gt_u32_e32 vcc, 64, v0
	s_waitcnt lgkmcnt(0)
	s_barrier
	s_cbranch_scc0 .LBB3910_53
; %bb.29:
	v_max_i32_e32 v6, v2, v3
	v_max3_i32 v6, v6, v4, v5
	v_max3_i32 v6, v6, v16, v17
	;; [unrolled: 1-line block ×4, first 2 shown]
	v_add_lshl_u32 v6, v1, v0, 2
	ds_write_b32 v6, v24
	s_waitcnt lgkmcnt(0)
	s_barrier
	s_and_saveexec_b64 s[18:19], vcc
	s_cbranch_execz .LBB3910_31
; %bb.30:
	v_lshlrev_b32_e32 v6, 1, v0
	v_lshrrev_b32_e32 v7, 4, v0
	v_add_lshl_u32 v8, v7, v6, 2
	ds_read2_b32 v[6:7], v8 offset1:1
	v_mbcnt_lo_u32_b32 v9, -1, 0
	v_mbcnt_hi_u32_b32 v9, -1, v9
	v_and_b32_e32 v10, 15, v9
	v_cmp_eq_u32_e64 s[4:5], 0, v10
	s_waitcnt lgkmcnt(0)
	v_max_i32_e32 v7, v6, v7
	; wave barrier
	s_nop 1
	v_mov_b32_dpp v11, v7 row_shr:1 row_mask:0xf bank_mask:0xf
	v_max_i32_e32 v11, v11, v7
	v_cndmask_b32_e64 v7, v11, v7, s[4:5]
	v_cmp_lt_u32_e64 s[4:5], 1, v10
	s_nop 0
	v_mov_b32_dpp v11, v7 row_shr:2 row_mask:0xf bank_mask:0xf
	v_max_i32_e32 v11, v11, v7
	v_cndmask_b32_e64 v7, v7, v11, s[4:5]
	v_cmp_lt_u32_e64 s[4:5], 3, v10
	;; [unrolled: 5-line block ×3, first 2 shown]
	s_nop 0
	v_mov_b32_dpp v11, v7 row_shr:8 row_mask:0xf bank_mask:0xf
	v_max_i32_e32 v11, v11, v7
	v_cndmask_b32_e64 v7, v7, v11, s[4:5]
	v_and_b32_e32 v11, 16, v9
	v_cmp_eq_u32_e64 s[4:5], 0, v11
	v_mov_b32_dpp v10, v7 row_bcast:15 row_mask:0xf bank_mask:0xf
	v_max_i32_e32 v10, v10, v7
	v_cndmask_b32_e64 v7, v10, v7, s[4:5]
	v_cmp_lt_u32_e64 s[4:5], 31, v9
	v_and_b32_e32 v11, 64, v9
	v_mov_b32_dpp v10, v7 row_bcast:31 row_mask:0xf bank_mask:0xf
	v_max_i32_e32 v10, v10, v7
	v_cndmask_b32_e64 v7, v7, v10, s[4:5]
	v_add_u32_e32 v10, -1, v9
	v_cmp_lt_i32_e64 s[4:5], v10, v11
	v_cndmask_b32_e64 v9, v10, v9, s[4:5]
	v_lshlrev_b32_e32 v9, 2, v9
	ds_bpermute_b32 v7, v9, v7
	s_waitcnt lgkmcnt(0)
	v_max_i32_e32 v6, v7, v6
	v_cndmask_b32_e64 v6, v6, v24, s[2:3]
	ds_write_b32 v8, v6
	; wave barrier
	ds_read_b32 v7, v8 offset:4
	s_waitcnt lgkmcnt(0)
	v_max_i32_e32 v6, v6, v7
	ds_write_b32 v8, v6 offset:4
.LBB3910_31:
	s_or_b64 exec, exec, s[18:19]
	s_waitcnt lgkmcnt(0)
	s_barrier
	s_and_saveexec_b64 s[4:5], s[0:1]
	s_cbranch_execz .LBB3910_33
; %bb.32:
	v_add_u32_e32 v6, -1, v0
	v_lshrrev_b32_e32 v7, 5, v6
	v_add_lshl_u32 v6, v7, v6, 2
	ds_read_b32 v24, v6
.LBB3910_33:
	s_or_b64 exec, exec, s[4:5]
	s_and_saveexec_b64 s[18:19], vcc
	s_cbranch_execz .LBB3910_52
; %bb.34:
	v_mov_b32_e32 v13, 0
	ds_read_b32 v6, v13 offset:520
	v_mbcnt_lo_u32_b32 v7, -1, 0
	v_mbcnt_hi_u32_b32 v9, -1, v7
	s_mov_b32 s23, 0
	v_cmp_eq_u32_e64 s[4:5], 0, v9
	s_and_saveexec_b64 s[20:21], s[4:5]
	s_cbranch_execz .LBB3910_36
; %bb.35:
	s_add_i32 s22, s26, 64
	s_lshl_b64 s[22:23], s[22:23], 3
	s_add_u32 s22, s6, s22
	v_mov_b32_e32 v7, 1
	s_addc_u32 s23, s7, s23
	s_waitcnt lgkmcnt(0)
	global_store_dwordx2 v13, v[6:7], s[22:23]
.LBB3910_36:
	s_or_b64 exec, exec, s[20:21]
	v_xad_u32 v8, v9, -1, s26
	v_add_u32_e32 v12, 64, v8
	v_lshlrev_b64 v[10:11], 3, v[12:13]
	v_mov_b32_e32 v7, s7
	v_add_co_u32_e32 v14, vcc, s6, v10
	v_addc_co_u32_e32 v15, vcc, v7, v11, vcc
	global_load_dwordx2 v[10:11], v[14:15], off glc
	s_waitcnt vmcnt(0)
	v_cmp_eq_u16_sdwa s[22:23], v11, v13 src0_sel:BYTE_0 src1_sel:DWORD
	s_and_saveexec_b64 s[20:21], s[22:23]
	s_cbranch_execz .LBB3910_40
; %bb.37:
	s_mov_b64 s[22:23], 0
	v_mov_b32_e32 v7, 0
.LBB3910_38:                            ; =>This Inner Loop Header: Depth=1
	global_load_dwordx2 v[10:11], v[14:15], off glc
	s_waitcnt vmcnt(0)
	v_cmp_ne_u16_sdwa s[28:29], v11, v7 src0_sel:BYTE_0 src1_sel:DWORD
	s_or_b64 s[22:23], s[28:29], s[22:23]
	s_andn2_b64 exec, exec, s[22:23]
	s_cbranch_execnz .LBB3910_38
; %bb.39:
	s_or_b64 exec, exec, s[22:23]
.LBB3910_40:
	s_or_b64 exec, exec, s[20:21]
	v_and_b32_e32 v25, 63, v9
	v_cmp_ne_u32_e32 vcc, 63, v25
	v_mov_b32_e32 v7, 2
	v_addc_co_u32_e32 v26, vcc, 0, v9, vcc
	v_cmp_eq_u16_sdwa s[20:21], v11, v7 src0_sel:BYTE_0 src1_sel:DWORD
	v_lshlrev_b64 v[12:13], v9, -1
	v_lshlrev_b32_e32 v26, 2, v26
	v_and_b32_e32 v14, s21, v13
	ds_bpermute_b32 v27, v26, v10
	v_or_b32_e32 v14, 0x80000000, v14
	v_and_b32_e32 v15, s20, v12
	v_ffbl_b32_e32 v14, v14
	v_add_u32_e32 v14, 32, v14
	v_ffbl_b32_e32 v15, v15
	v_min_u32_e32 v14, v15, v14
	s_waitcnt lgkmcnt(0)
	v_max_i32_e32 v15, v27, v10
	v_cmp_lt_u32_e32 vcc, v25, v14
	v_cndmask_b32_e32 v10, v10, v15, vcc
	v_cmp_gt_u32_e32 vcc, 62, v25
	v_cndmask_b32_e64 v15, 0, 1, vcc
	v_lshlrev_b32_e32 v15, 1, v15
	v_add_lshl_u32 v27, v15, v9, 2
	ds_bpermute_b32 v15, v27, v10
	v_add_u32_e32 v28, 2, v25
	v_cmp_gt_u32_e32 vcc, v28, v14
	v_add_u32_e32 v30, 4, v25
	v_add_u32_e32 v32, 8, v25
	s_waitcnt lgkmcnt(0)
	v_max_i32_e32 v15, v15, v10
	v_cndmask_b32_e32 v10, v15, v10, vcc
	v_cmp_gt_u32_e32 vcc, 60, v25
	v_cndmask_b32_e64 v15, 0, 1, vcc
	v_lshlrev_b32_e32 v15, 2, v15
	v_add_lshl_u32 v29, v15, v9, 2
	ds_bpermute_b32 v15, v29, v10
	v_cmp_gt_u32_e32 vcc, v30, v14
	v_add_u32_e32 v35, 16, v25
	v_add_u32_e32 v37, 32, v25
	s_waitcnt lgkmcnt(0)
	v_max_i32_e32 v15, v15, v10
	v_cndmask_b32_e32 v10, v15, v10, vcc
	v_cmp_gt_u32_e32 vcc, 56, v25
	v_cndmask_b32_e64 v15, 0, 1, vcc
	v_lshlrev_b32_e32 v15, 3, v15
	v_add_lshl_u32 v31, v15, v9, 2
	ds_bpermute_b32 v15, v31, v10
	v_cmp_gt_u32_e32 vcc, v32, v14
	s_waitcnt lgkmcnt(0)
	v_max_i32_e32 v15, v15, v10
	v_cndmask_b32_e32 v10, v15, v10, vcc
	v_cmp_gt_u32_e32 vcc, 48, v25
	v_cndmask_b32_e64 v15, 0, 1, vcc
	v_lshlrev_b32_e32 v15, 4, v15
	v_add_lshl_u32 v33, v15, v9, 2
	ds_bpermute_b32 v15, v33, v10
	v_cmp_gt_u32_e32 vcc, v35, v14
	;; [unrolled: 9-line block ×3, first 2 shown]
	s_waitcnt lgkmcnt(0)
	v_max_i32_e32 v9, v9, v10
	v_cndmask_b32_e32 v10, v9, v10, vcc
	v_mov_b32_e32 v9, 0
	s_branch .LBB3910_42
.LBB3910_41:                            ;   in Loop: Header=BB3910_42 Depth=1
	s_or_b64 exec, exec, s[20:21]
	v_cmp_eq_u16_sdwa s[20:21], v11, v7 src0_sel:BYTE_0 src1_sel:DWORD
	v_and_b32_e32 v14, s21, v13
	ds_bpermute_b32 v38, v26, v10
	v_or_b32_e32 v14, 0x80000000, v14
	v_and_b32_e32 v15, s20, v12
	v_ffbl_b32_e32 v14, v14
	v_add_u32_e32 v14, 32, v14
	v_ffbl_b32_e32 v15, v15
	v_min_u32_e32 v14, v15, v14
	s_waitcnt lgkmcnt(0)
	v_max_i32_e32 v15, v38, v10
	v_cmp_lt_u32_e32 vcc, v25, v14
	v_cndmask_b32_e32 v10, v10, v15, vcc
	ds_bpermute_b32 v15, v27, v10
	v_cmp_gt_u32_e32 vcc, v28, v14
	v_subrev_u32_e32 v8, 64, v8
	s_waitcnt lgkmcnt(0)
	v_max_i32_e32 v15, v15, v10
	v_cndmask_b32_e32 v10, v15, v10, vcc
	ds_bpermute_b32 v15, v29, v10
	v_cmp_gt_u32_e32 vcc, v30, v14
	s_waitcnt lgkmcnt(0)
	v_max_i32_e32 v15, v15, v10
	v_cndmask_b32_e32 v10, v15, v10, vcc
	ds_bpermute_b32 v15, v31, v10
	v_cmp_gt_u32_e32 vcc, v32, v14
	;; [unrolled: 5-line block ×4, first 2 shown]
	s_waitcnt lgkmcnt(0)
	v_max_i32_e32 v15, v15, v10
	v_cndmask_b32_e32 v10, v15, v10, vcc
	v_max_i32_e32 v10, v10, v34
.LBB3910_42:                            ; =>This Loop Header: Depth=1
                                        ;     Child Loop BB3910_45 Depth 2
	v_cmp_ne_u16_sdwa s[20:21], v11, v7 src0_sel:BYTE_0 src1_sel:DWORD
	v_cndmask_b32_e64 v11, 0, 1, s[20:21]
	;;#ASMSTART
	;;#ASMEND
	v_cmp_ne_u32_e32 vcc, 0, v11
	s_cmp_lg_u64 vcc, exec
	v_mov_b32_e32 v34, v10
	s_cbranch_scc1 .LBB3910_47
; %bb.43:                               ;   in Loop: Header=BB3910_42 Depth=1
	v_lshlrev_b64 v[10:11], 3, v[8:9]
	v_mov_b32_e32 v15, s7
	v_add_co_u32_e32 v14, vcc, s6, v10
	v_addc_co_u32_e32 v15, vcc, v15, v11, vcc
	global_load_dwordx2 v[10:11], v[14:15], off glc
	s_waitcnt vmcnt(0)
	v_cmp_eq_u16_sdwa s[22:23], v11, v9 src0_sel:BYTE_0 src1_sel:DWORD
	s_and_saveexec_b64 s[20:21], s[22:23]
	s_cbranch_execz .LBB3910_41
; %bb.44:                               ;   in Loop: Header=BB3910_42 Depth=1
	s_mov_b64 s[22:23], 0
.LBB3910_45:                            ;   Parent Loop BB3910_42 Depth=1
                                        ; =>  This Inner Loop Header: Depth=2
	global_load_dwordx2 v[10:11], v[14:15], off glc
	s_waitcnt vmcnt(0)
	v_cmp_ne_u16_sdwa s[28:29], v11, v9 src0_sel:BYTE_0 src1_sel:DWORD
	s_or_b64 s[22:23], s[28:29], s[22:23]
	s_andn2_b64 exec, exec, s[22:23]
	s_cbranch_execnz .LBB3910_45
; %bb.46:                               ;   in Loop: Header=BB3910_42 Depth=1
	s_or_b64 exec, exec, s[22:23]
	s_branch .LBB3910_41
.LBB3910_47:                            ;   in Loop: Header=BB3910_42 Depth=1
                                        ; implicit-def: $vgpr10
                                        ; implicit-def: $vgpr11
	s_cbranch_execz .LBB3910_42
; %bb.48:
	s_and_saveexec_b64 s[20:21], s[4:5]
	s_cbranch_execz .LBB3910_50
; %bb.49:
	s_add_i32 s4, s26, 64
	s_mov_b32 s5, 0
	s_lshl_b64 s[4:5], s[4:5], 3
	s_add_u32 s4, s6, s4
	v_max_i32_e32 v6, v34, v6
	v_mov_b32_e32 v7, 2
	s_addc_u32 s5, s7, s5
	v_mov_b32_e32 v8, 0
	global_store_dwordx2 v8, v[6:7], s[4:5]
.LBB3910_50:
	s_or_b64 exec, exec, s[20:21]
	s_and_b64 exec, exec, s[2:3]
	s_cbranch_execz .LBB3910_52
; %bb.51:
	v_mov_b32_e32 v6, 0
	ds_write_b32 v6, v34
.LBB3910_52:
	s_or_b64 exec, exec, s[18:19]
	v_mov_b32_e32 v6, 0
	s_waitcnt lgkmcnt(0)
	s_barrier
	ds_read_b32 v6, v6
	v_max_i32_e32 v7, v24, v2
	v_cndmask_b32_e64 v7, v7, v2, s[2:3]
	s_waitcnt lgkmcnt(0)
	v_max_i32_e32 v6, v6, v7
	v_max_i32_e32 v7, v6, v3
	;; [unrolled: 1-line block ×10, first 2 shown]
	s_branch .LBB3910_65
.LBB3910_53:
                                        ; implicit-def: $vgpr6_vgpr7_vgpr8_vgpr9_vgpr10_vgpr11_vgpr12_vgpr13_vgpr14_vgpr15
	s_cbranch_execz .LBB3910_65
; %bb.54:
	s_cmp_lg_u64 s[12:13], 0
	s_cselect_b64 s[4:5], -1, 0
	s_and_b64 s[12:13], s[2:3], s[4:5]
	v_mov_b32_e32 v12, v3
	v_mov_b32_e32 v13, v4
	;; [unrolled: 1-line block ×3, first 2 shown]
	s_and_saveexec_b64 s[4:5], s[12:13]
	s_cbranch_execz .LBB3910_56
; %bb.55:
	v_mov_b32_e32 v6, 0
	global_load_dword v6, v6, s[8:9]
	v_mov_b32_e32 v12, v3
	v_mov_b32_e32 v13, v4
	;; [unrolled: 1-line block ×3, first 2 shown]
	s_waitcnt vmcnt(0)
	v_max_i32_e32 v2, v6, v2
.LBB3910_56:
	s_or_b64 exec, exec, s[4:5]
	v_max_i32_e32 v3, v2, v12
	v_max_i32_e32 v4, v3, v13
	v_max_i32_e32 v5, v4, v14
	v_max_i32_e32 v6, v5, v16
	v_max_i32_e32 v7, v6, v17
	v_max_i32_e32 v8, v7, v18
	v_max_i32_e32 v9, v8, v19
	v_max_i32_e32 v10, v9, v20
	v_max_i32_e32 v11, v10, v21
	v_add_lshl_u32 v1, v1, v0, 2
	v_cmp_gt_u32_e32 vcc, 64, v0
	ds_write_b32 v1, v11
	s_waitcnt lgkmcnt(0)
	s_barrier
	s_and_saveexec_b64 s[4:5], vcc
	s_cbranch_execz .LBB3910_58
; %bb.57:
	v_lshlrev_b32_e32 v1, 1, v0
	v_lshrrev_b32_e32 v15, 4, v0
	v_add_lshl_u32 v1, v15, v1, 2
	ds_read2_b32 v[24:25], v1 offset1:1
	v_mbcnt_lo_u32_b32 v15, -1, 0
	v_mbcnt_hi_u32_b32 v15, -1, v15
	v_and_b32_e32 v26, 15, v15
	v_cmp_eq_u32_e32 vcc, 0, v26
	s_waitcnt lgkmcnt(0)
	v_max_i32_e32 v25, v24, v25
	; wave barrier
	s_nop 1
	v_mov_b32_dpp v27, v25 row_shr:1 row_mask:0xf bank_mask:0xf
	v_max_i32_e32 v27, v27, v25
	v_cndmask_b32_e32 v25, v27, v25, vcc
	v_cmp_lt_u32_e32 vcc, 1, v26
	s_nop 0
	v_mov_b32_dpp v27, v25 row_shr:2 row_mask:0xf bank_mask:0xf
	v_max_i32_e32 v27, v27, v25
	v_cndmask_b32_e32 v25, v25, v27, vcc
	v_cmp_lt_u32_e32 vcc, 3, v26
	;; [unrolled: 5-line block ×3, first 2 shown]
	s_nop 0
	v_mov_b32_dpp v27, v25 row_shr:8 row_mask:0xf bank_mask:0xf
	v_max_i32_e32 v27, v27, v25
	v_cndmask_b32_e32 v25, v25, v27, vcc
	v_and_b32_e32 v27, 16, v15
	v_cmp_eq_u32_e32 vcc, 0, v27
	v_mov_b32_dpp v26, v25 row_bcast:15 row_mask:0xf bank_mask:0xf
	v_max_i32_e32 v26, v26, v25
	v_cndmask_b32_e32 v25, v26, v25, vcc
	v_cmp_lt_u32_e32 vcc, 31, v15
	v_and_b32_e32 v27, 64, v15
	v_mov_b32_dpp v26, v25 row_bcast:31 row_mask:0xf bank_mask:0xf
	v_max_i32_e32 v26, v26, v25
	v_cndmask_b32_e32 v25, v25, v26, vcc
	v_add_u32_e32 v26, -1, v15
	v_cmp_lt_i32_e32 vcc, v26, v27
	v_cndmask_b32_e32 v15, v26, v15, vcc
	v_lshlrev_b32_e32 v15, 2, v15
	ds_bpermute_b32 v15, v15, v25
	s_waitcnt lgkmcnt(0)
	v_max_i32_e32 v15, v15, v24
	v_cndmask_b32_e64 v15, v15, v11, s[2:3]
	ds_write_b32 v1, v15
	; wave barrier
	ds_read_b32 v24, v1 offset:4
	s_waitcnt lgkmcnt(0)
	v_max_i32_e32 v15, v15, v24
	ds_write_b32 v1, v15 offset:4
.LBB3910_58:
	s_or_b64 exec, exec, s[4:5]
	v_mov_b32_e32 v1, v11
	s_waitcnt lgkmcnt(0)
	s_barrier
	s_and_saveexec_b64 s[2:3], s[0:1]
	s_cbranch_execz .LBB3910_60
; %bb.59:
	v_add_u32_e32 v1, -1, v0
	v_lshrrev_b32_e32 v15, 5, v1
	v_add_lshl_u32 v1, v15, v1, 2
	ds_read_b32 v1, v1
.LBB3910_60:
	s_or_b64 exec, exec, s[2:3]
	s_and_saveexec_b64 s[2:3], s[0:1]
	s_cbranch_execz .LBB3910_62
; %bb.61:
	s_waitcnt lgkmcnt(0)
	v_max_i32_e32 v2, v1, v2
	v_max_i32_e32 v3, v2, v12
	;; [unrolled: 1-line block ×10, first 2 shown]
	;;#ASMSTART
	;;#ASMEND
.LBB3910_62:
	s_or_b64 exec, exec, s[2:3]
	s_movk_i32 s0, 0x7f
	v_cmp_eq_u32_e32 vcc, s0, v0
	s_and_saveexec_b64 s[0:1], vcc
	s_cbranch_execz .LBB3910_64
; %bb.63:
	s_waitcnt lgkmcnt(0)
	v_mov_b32_e32 v1, 0
	v_mov_b32_e32 v13, 2
	;; [unrolled: 1-line block ×3, first 2 shown]
	global_store_dwordx2 v1, v[12:13], s[6:7] offset:512
.LBB3910_64:
	s_or_b64 exec, exec, s[0:1]
	v_pk_mov_b32 v[14:15], v[10:11], v[10:11] op_sel:[0,1]
	v_pk_mov_b32 v[12:13], v[8:9], v[8:9] op_sel:[0,1]
	;; [unrolled: 1-line block ×5, first 2 shown]
.LBB3910_65:
	s_mov_b64 s[0:1], -1
	s_and_b64 vcc, exec, s[16:17]
	s_waitcnt lgkmcnt(0)
	s_barrier
	ds_write2_b64 v23, v[6:7], v[8:9] offset1:1
	ds_write2_b64 v23, v[10:11], v[12:13] offset0:2 offset1:3
	ds_write_b64 v23, v[14:15] offset:32
	s_waitcnt lgkmcnt(0)
	s_cbranch_vccz .LBB3910_67
; %bb.66:
	s_barrier
	s_mov_b64 s[0:1], 0
.LBB3910_67:
	s_andn2_b64 vcc, exec, s[0:1]
	s_cbranch_vccnz .LBB3910_103
; %bb.68:
	v_cmp_lt_u64_e64 s[0:1], s[14:15], 2
	s_and_b64 vcc, exec, s[0:1]
	s_barrier
	s_cbranch_vccnz .LBB3910_103
; %bb.69:
	s_add_u32 s0, s24, -1
	s_addc_u32 s1, s25, -1
	s_add_u32 s2, 0, 0x99986000
	s_addc_u32 s3, 0, 0x59
	s_add_i32 s3, s3, 0x19999940
	s_mul_hi_u32 s7, s2, -10
	s_sub_i32 s7, s7, s2
	s_mul_i32 s8, s3, -10
	s_mul_i32 s4, s2, -10
	s_add_i32 s7, s7, s8
	s_mul_hi_u32 s5, s3, s4
	s_mul_i32 s6, s3, s4
	s_mul_i32 s9, s2, s7
	s_mul_hi_u32 s4, s2, s4
	s_mul_hi_u32 s8, s2, s7
	s_add_u32 s4, s4, s9
	s_addc_u32 s8, 0, s8
	s_add_u32 s4, s4, s6
	s_mul_hi_u32 s9, s3, s7
	s_addc_u32 s4, s8, s5
	s_addc_u32 s5, s9, 0
	s_mul_i32 s6, s3, s7
	s_add_u32 s4, s4, s6
	v_mov_b32_e32 v2, s4
	s_addc_u32 s5, 0, s5
	v_add_co_u32_e32 v2, vcc, s2, v2
	s_cmp_lg_u64 vcc, 0
	s_addc_u32 s2, s3, s5
	v_readfirstlane_b32 s5, v2
	s_mul_i32 s4, s0, s2
	s_mul_hi_u32 s6, s0, s5
	s_mul_hi_u32 s3, s0, s2
	s_add_u32 s4, s6, s4
	s_addc_u32 s3, 0, s3
	s_mul_hi_u32 s7, s1, s5
	s_mul_i32 s5, s1, s5
	s_add_u32 s4, s4, s5
	s_mul_hi_u32 s6, s1, s2
	s_addc_u32 s3, s3, s7
	s_addc_u32 s4, s6, 0
	s_mul_i32 s2, s1, s2
	s_add_u32 s2, s3, s2
	s_addc_u32 s3, 0, s4
	s_add_u32 s4, s2, 1
	s_addc_u32 s5, s3, 0
	s_add_u32 s6, s2, 2
	s_mul_i32 s8, s3, 10
	s_mul_hi_u32 s9, s2, 10
	s_addc_u32 s7, s3, 0
	s_add_i32 s9, s9, s8
	s_mul_i32 s8, s2, 10
	v_mov_b32_e32 v2, s8
	v_sub_co_u32_e32 v2, vcc, s0, v2
	s_cmp_lg_u64 vcc, 0
	s_subb_u32 s8, s1, s9
	v_subrev_co_u32_e32 v3, vcc, 10, v2
	s_cmp_lg_u64 vcc, 0
	s_subb_u32 s9, s8, 0
	v_readfirstlane_b32 s12, v3
	s_cmp_gt_u32 s12, 9
	s_cselect_b32 s12, -1, 0
	s_cmp_eq_u32 s9, 0
	s_cselect_b32 s9, s12, -1
	s_cmp_lg_u32 s9, 0
	s_cselect_b32 s4, s6, s4
	v_readfirstlane_b32 s6, v2
	s_cselect_b32 s5, s7, s5
	s_cmp_gt_u32 s6, 9
	s_cselect_b32 s6, -1, 0
	s_cmp_eq_u32 s8, 0
	s_cselect_b32 s6, s6, -1
	s_cmp_lg_u32 s6, 0
	v_mov_b32_e32 v1, 0
	s_cselect_b32 s3, s5, s3
	s_cselect_b32 s2, s4, s2
	v_cmp_eq_u64_e32 vcc, s[2:3], v[0:1]
	s_and_saveexec_b64 s[2:3], vcc
	s_cbranch_execz .LBB3910_103
; %bb.70:
	s_movk_i32 s2, 0xffdc
	v_mad_i32_i24 v2, v0, s2, v23
	v_mul_hi_u32_u24_e32 v1, 10, v0
	v_mov_b32_e32 v3, s1
	v_sub_co_u32_e32 v0, vcc, s0, v22
	v_subb_co_u32_e32 v1, vcc, v3, v1, vcc
	v_cmp_lt_i64_e32 vcc, 4, v[0:1]
	s_and_saveexec_b64 s[0:1], vcc
	s_xor_b64 s[0:1], exec, s[0:1]
	s_cbranch_execz .LBB3910_88
; %bb.71:
	v_cmp_lt_i64_e32 vcc, 6, v[0:1]
	s_and_saveexec_b64 s[2:3], vcc
	s_xor_b64 s[2:3], exec, s[2:3]
	s_cbranch_execz .LBB3910_81
; %bb.72:
	v_cmp_lt_i64_e32 vcc, 7, v[0:1]
	s_and_saveexec_b64 s[4:5], vcc
	s_xor_b64 s[4:5], exec, s[4:5]
	s_cbranch_execz .LBB3910_78
; %bb.73:
	v_cmp_lt_i64_e32 vcc, 8, v[0:1]
	s_and_saveexec_b64 s[6:7], vcc
	s_xor_b64 s[6:7], exec, s[6:7]
	s_cbranch_execz .LBB3910_75
; %bb.74:
	ds_read_b32 v0, v2 offset:4608
	v_mov_b32_e32 v1, 0
                                        ; implicit-def: $vgpr2
	s_waitcnt lgkmcnt(0)
	global_store_dword v1, v0, s[10:11]
.LBB3910_75:
	s_andn2_saveexec_b64 s[6:7], s[6:7]
	s_cbranch_execz .LBB3910_77
; %bb.76:
	ds_read_b32 v0, v2 offset:4096
	v_mov_b32_e32 v1, 0
	s_waitcnt lgkmcnt(0)
	global_store_dword v1, v0, s[10:11]
.LBB3910_77:
	s_or_b64 exec, exec, s[6:7]
                                        ; implicit-def: $vgpr2
.LBB3910_78:
	s_andn2_saveexec_b64 s[4:5], s[4:5]
	s_cbranch_execz .LBB3910_80
; %bb.79:
	ds_read_b32 v0, v2 offset:3584
	v_mov_b32_e32 v1, 0
	s_waitcnt lgkmcnt(0)
	global_store_dword v1, v0, s[10:11]
.LBB3910_80:
	s_or_b64 exec, exec, s[4:5]
                                        ; implicit-def: $vgpr2
                                        ; implicit-def: $vgpr0_vgpr1
.LBB3910_81:
	s_andn2_saveexec_b64 s[2:3], s[2:3]
	s_cbranch_execz .LBB3910_87
; %bb.82:
	v_cmp_lt_i64_e32 vcc, 5, v[0:1]
	s_and_saveexec_b64 s[4:5], vcc
	s_xor_b64 s[4:5], exec, s[4:5]
	s_cbranch_execz .LBB3910_84
; %bb.83:
	ds_read_b32 v0, v2 offset:3072
	v_mov_b32_e32 v1, 0
                                        ; implicit-def: $vgpr2
	s_waitcnt lgkmcnt(0)
	global_store_dword v1, v0, s[10:11]
.LBB3910_84:
	s_andn2_saveexec_b64 s[4:5], s[4:5]
	s_cbranch_execz .LBB3910_86
; %bb.85:
	ds_read_b32 v0, v2 offset:2560
	v_mov_b32_e32 v1, 0
	s_waitcnt lgkmcnt(0)
	global_store_dword v1, v0, s[10:11]
.LBB3910_86:
	s_or_b64 exec, exec, s[4:5]
.LBB3910_87:
	s_or_b64 exec, exec, s[2:3]
                                        ; implicit-def: $vgpr0_vgpr1
                                        ; implicit-def: $vgpr2
.LBB3910_88:
	s_andn2_saveexec_b64 s[0:1], s[0:1]
	s_cbranch_execz .LBB3910_103
; %bb.89:
	v_cmp_lt_i64_e32 vcc, 2, v[0:1]
	s_and_saveexec_b64 s[0:1], vcc
	s_xor_b64 s[0:1], exec, s[0:1]
	s_cbranch_execz .LBB3910_95
; %bb.90:
	v_cmp_lt_i64_e32 vcc, 3, v[0:1]
	s_and_saveexec_b64 s[2:3], vcc
	s_xor_b64 s[2:3], exec, s[2:3]
	s_cbranch_execz .LBB3910_92
; %bb.91:
	ds_read_b32 v0, v2 offset:2048
	v_mov_b32_e32 v1, 0
                                        ; implicit-def: $vgpr2
	s_waitcnt lgkmcnt(0)
	global_store_dword v1, v0, s[10:11]
.LBB3910_92:
	s_andn2_saveexec_b64 s[2:3], s[2:3]
	s_cbranch_execz .LBB3910_94
; %bb.93:
	ds_read_b32 v0, v2 offset:1536
	v_mov_b32_e32 v1, 0
	s_waitcnt lgkmcnt(0)
	global_store_dword v1, v0, s[10:11]
.LBB3910_94:
	s_or_b64 exec, exec, s[2:3]
                                        ; implicit-def: $vgpr0_vgpr1
                                        ; implicit-def: $vgpr2
.LBB3910_95:
	s_andn2_saveexec_b64 s[0:1], s[0:1]
	s_cbranch_execz .LBB3910_103
; %bb.96:
	v_cmp_lt_i64_e32 vcc, 1, v[0:1]
	s_and_saveexec_b64 s[0:1], vcc
	s_xor_b64 s[0:1], exec, s[0:1]
	s_cbranch_execz .LBB3910_98
; %bb.97:
	ds_read_b32 v0, v2 offset:1024
	v_mov_b32_e32 v1, 0
                                        ; implicit-def: $vgpr2
	s_waitcnt lgkmcnt(0)
	global_store_dword v1, v0, s[10:11]
                                        ; implicit-def: $vgpr0_vgpr1
.LBB3910_98:
	s_andn2_saveexec_b64 s[0:1], s[0:1]
	s_cbranch_execz .LBB3910_103
; %bb.99:
	v_cmp_ne_u64_e32 vcc, 1, v[0:1]
	s_and_saveexec_b64 s[0:1], vcc
	s_xor_b64 s[0:1], exec, s[0:1]
	s_cbranch_execz .LBB3910_101
; %bb.100:
	ds_read_b32 v0, v2
	v_mov_b32_e32 v1, 0
                                        ; implicit-def: $vgpr2
	s_waitcnt lgkmcnt(0)
	global_store_dword v1, v0, s[10:11]
.LBB3910_101:
	s_andn2_saveexec_b64 s[0:1], s[0:1]
	s_cbranch_execz .LBB3910_103
; %bb.102:
	ds_read_b32 v0, v2 offset:512
	v_mov_b32_e32 v1, 0
	s_waitcnt lgkmcnt(0)
	global_store_dword v1, v0, s[10:11]
.LBB3910_103:
	s_endpgm
	.section	.rodata,"a",@progbits
	.p2align	6, 0x0
	.amdhsa_kernel _ZN7rocprim17ROCPRIM_400000_NS6detail17trampoline_kernelINS0_14default_configENS1_20scan_config_selectorIiEEZZNS1_9scan_implILNS1_25lookback_scan_determinismE0ELb0ELb0ES3_N6thrust23THRUST_200600_302600_NS6detail15normal_iteratorINS9_10device_ptrIiEEEENS9_16discard_iteratorINS9_11use_defaultEEEi11max_functorIiEiEEDaPvRmT3_T4_T5_mT6_P12ihipStream_tbENKUlT_T0_E_clISt17integral_constantIbLb0EESW_IbLb1EEEEDaSS_ST_EUlSS_E_NS1_11comp_targetILNS1_3genE4ELNS1_11target_archE910ELNS1_3gpuE8ELNS1_3repE0EEENS1_30default_config_static_selectorELNS0_4arch9wavefront6targetE1EEEvT1_
		.amdhsa_group_segment_fixed_size 5120
		.amdhsa_private_segment_fixed_size 0
		.amdhsa_kernarg_size 104
		.amdhsa_user_sgpr_count 6
		.amdhsa_user_sgpr_private_segment_buffer 1
		.amdhsa_user_sgpr_dispatch_ptr 0
		.amdhsa_user_sgpr_queue_ptr 0
		.amdhsa_user_sgpr_kernarg_segment_ptr 1
		.amdhsa_user_sgpr_dispatch_id 0
		.amdhsa_user_sgpr_flat_scratch_init 0
		.amdhsa_user_sgpr_kernarg_preload_length 0
		.amdhsa_user_sgpr_kernarg_preload_offset 0
		.amdhsa_user_sgpr_private_segment_size 0
		.amdhsa_uses_dynamic_stack 0
		.amdhsa_system_sgpr_private_segment_wavefront_offset 0
		.amdhsa_system_sgpr_workgroup_id_x 1
		.amdhsa_system_sgpr_workgroup_id_y 0
		.amdhsa_system_sgpr_workgroup_id_z 0
		.amdhsa_system_sgpr_workgroup_info 0
		.amdhsa_system_vgpr_workitem_id 0
		.amdhsa_next_free_vgpr 39
		.amdhsa_next_free_sgpr 30
		.amdhsa_accum_offset 40
		.amdhsa_reserve_vcc 1
		.amdhsa_reserve_flat_scratch 0
		.amdhsa_float_round_mode_32 0
		.amdhsa_float_round_mode_16_64 0
		.amdhsa_float_denorm_mode_32 3
		.amdhsa_float_denorm_mode_16_64 3
		.amdhsa_dx10_clamp 1
		.amdhsa_ieee_mode 1
		.amdhsa_fp16_overflow 0
		.amdhsa_tg_split 0
		.amdhsa_exception_fp_ieee_invalid_op 0
		.amdhsa_exception_fp_denorm_src 0
		.amdhsa_exception_fp_ieee_div_zero 0
		.amdhsa_exception_fp_ieee_overflow 0
		.amdhsa_exception_fp_ieee_underflow 0
		.amdhsa_exception_fp_ieee_inexact 0
		.amdhsa_exception_int_div_zero 0
	.end_amdhsa_kernel
	.section	.text._ZN7rocprim17ROCPRIM_400000_NS6detail17trampoline_kernelINS0_14default_configENS1_20scan_config_selectorIiEEZZNS1_9scan_implILNS1_25lookback_scan_determinismE0ELb0ELb0ES3_N6thrust23THRUST_200600_302600_NS6detail15normal_iteratorINS9_10device_ptrIiEEEENS9_16discard_iteratorINS9_11use_defaultEEEi11max_functorIiEiEEDaPvRmT3_T4_T5_mT6_P12ihipStream_tbENKUlT_T0_E_clISt17integral_constantIbLb0EESW_IbLb1EEEEDaSS_ST_EUlSS_E_NS1_11comp_targetILNS1_3genE4ELNS1_11target_archE910ELNS1_3gpuE8ELNS1_3repE0EEENS1_30default_config_static_selectorELNS0_4arch9wavefront6targetE1EEEvT1_,"axG",@progbits,_ZN7rocprim17ROCPRIM_400000_NS6detail17trampoline_kernelINS0_14default_configENS1_20scan_config_selectorIiEEZZNS1_9scan_implILNS1_25lookback_scan_determinismE0ELb0ELb0ES3_N6thrust23THRUST_200600_302600_NS6detail15normal_iteratorINS9_10device_ptrIiEEEENS9_16discard_iteratorINS9_11use_defaultEEEi11max_functorIiEiEEDaPvRmT3_T4_T5_mT6_P12ihipStream_tbENKUlT_T0_E_clISt17integral_constantIbLb0EESW_IbLb1EEEEDaSS_ST_EUlSS_E_NS1_11comp_targetILNS1_3genE4ELNS1_11target_archE910ELNS1_3gpuE8ELNS1_3repE0EEENS1_30default_config_static_selectorELNS0_4arch9wavefront6targetE1EEEvT1_,comdat
.Lfunc_end3910:
	.size	_ZN7rocprim17ROCPRIM_400000_NS6detail17trampoline_kernelINS0_14default_configENS1_20scan_config_selectorIiEEZZNS1_9scan_implILNS1_25lookback_scan_determinismE0ELb0ELb0ES3_N6thrust23THRUST_200600_302600_NS6detail15normal_iteratorINS9_10device_ptrIiEEEENS9_16discard_iteratorINS9_11use_defaultEEEi11max_functorIiEiEEDaPvRmT3_T4_T5_mT6_P12ihipStream_tbENKUlT_T0_E_clISt17integral_constantIbLb0EESW_IbLb1EEEEDaSS_ST_EUlSS_E_NS1_11comp_targetILNS1_3genE4ELNS1_11target_archE910ELNS1_3gpuE8ELNS1_3repE0EEENS1_30default_config_static_selectorELNS0_4arch9wavefront6targetE1EEEvT1_, .Lfunc_end3910-_ZN7rocprim17ROCPRIM_400000_NS6detail17trampoline_kernelINS0_14default_configENS1_20scan_config_selectorIiEEZZNS1_9scan_implILNS1_25lookback_scan_determinismE0ELb0ELb0ES3_N6thrust23THRUST_200600_302600_NS6detail15normal_iteratorINS9_10device_ptrIiEEEENS9_16discard_iteratorINS9_11use_defaultEEEi11max_functorIiEiEEDaPvRmT3_T4_T5_mT6_P12ihipStream_tbENKUlT_T0_E_clISt17integral_constantIbLb0EESW_IbLb1EEEEDaSS_ST_EUlSS_E_NS1_11comp_targetILNS1_3genE4ELNS1_11target_archE910ELNS1_3gpuE8ELNS1_3repE0EEENS1_30default_config_static_selectorELNS0_4arch9wavefront6targetE1EEEvT1_
                                        ; -- End function
	.section	.AMDGPU.csdata,"",@progbits
; Kernel info:
; codeLenInByte = 4000
; NumSgprs: 34
; NumVgprs: 39
; NumAgprs: 0
; TotalNumVgprs: 39
; ScratchSize: 0
; MemoryBound: 0
; FloatMode: 240
; IeeeMode: 1
; LDSByteSize: 5120 bytes/workgroup (compile time only)
; SGPRBlocks: 4
; VGPRBlocks: 4
; NumSGPRsForWavesPerEU: 34
; NumVGPRsForWavesPerEU: 39
; AccumOffset: 40
; Occupancy: 6
; WaveLimiterHint : 1
; COMPUTE_PGM_RSRC2:SCRATCH_EN: 0
; COMPUTE_PGM_RSRC2:USER_SGPR: 6
; COMPUTE_PGM_RSRC2:TRAP_HANDLER: 0
; COMPUTE_PGM_RSRC2:TGID_X_EN: 1
; COMPUTE_PGM_RSRC2:TGID_Y_EN: 0
; COMPUTE_PGM_RSRC2:TGID_Z_EN: 0
; COMPUTE_PGM_RSRC2:TIDIG_COMP_CNT: 0
; COMPUTE_PGM_RSRC3_GFX90A:ACCUM_OFFSET: 9
; COMPUTE_PGM_RSRC3_GFX90A:TG_SPLIT: 0
	.section	.text._ZN7rocprim17ROCPRIM_400000_NS6detail17trampoline_kernelINS0_14default_configENS1_20scan_config_selectorIiEEZZNS1_9scan_implILNS1_25lookback_scan_determinismE0ELb0ELb0ES3_N6thrust23THRUST_200600_302600_NS6detail15normal_iteratorINS9_10device_ptrIiEEEENS9_16discard_iteratorINS9_11use_defaultEEEi11max_functorIiEiEEDaPvRmT3_T4_T5_mT6_P12ihipStream_tbENKUlT_T0_E_clISt17integral_constantIbLb0EESW_IbLb1EEEEDaSS_ST_EUlSS_E_NS1_11comp_targetILNS1_3genE3ELNS1_11target_archE908ELNS1_3gpuE7ELNS1_3repE0EEENS1_30default_config_static_selectorELNS0_4arch9wavefront6targetE1EEEvT1_,"axG",@progbits,_ZN7rocprim17ROCPRIM_400000_NS6detail17trampoline_kernelINS0_14default_configENS1_20scan_config_selectorIiEEZZNS1_9scan_implILNS1_25lookback_scan_determinismE0ELb0ELb0ES3_N6thrust23THRUST_200600_302600_NS6detail15normal_iteratorINS9_10device_ptrIiEEEENS9_16discard_iteratorINS9_11use_defaultEEEi11max_functorIiEiEEDaPvRmT3_T4_T5_mT6_P12ihipStream_tbENKUlT_T0_E_clISt17integral_constantIbLb0EESW_IbLb1EEEEDaSS_ST_EUlSS_E_NS1_11comp_targetILNS1_3genE3ELNS1_11target_archE908ELNS1_3gpuE7ELNS1_3repE0EEENS1_30default_config_static_selectorELNS0_4arch9wavefront6targetE1EEEvT1_,comdat
	.protected	_ZN7rocprim17ROCPRIM_400000_NS6detail17trampoline_kernelINS0_14default_configENS1_20scan_config_selectorIiEEZZNS1_9scan_implILNS1_25lookback_scan_determinismE0ELb0ELb0ES3_N6thrust23THRUST_200600_302600_NS6detail15normal_iteratorINS9_10device_ptrIiEEEENS9_16discard_iteratorINS9_11use_defaultEEEi11max_functorIiEiEEDaPvRmT3_T4_T5_mT6_P12ihipStream_tbENKUlT_T0_E_clISt17integral_constantIbLb0EESW_IbLb1EEEEDaSS_ST_EUlSS_E_NS1_11comp_targetILNS1_3genE3ELNS1_11target_archE908ELNS1_3gpuE7ELNS1_3repE0EEENS1_30default_config_static_selectorELNS0_4arch9wavefront6targetE1EEEvT1_ ; -- Begin function _ZN7rocprim17ROCPRIM_400000_NS6detail17trampoline_kernelINS0_14default_configENS1_20scan_config_selectorIiEEZZNS1_9scan_implILNS1_25lookback_scan_determinismE0ELb0ELb0ES3_N6thrust23THRUST_200600_302600_NS6detail15normal_iteratorINS9_10device_ptrIiEEEENS9_16discard_iteratorINS9_11use_defaultEEEi11max_functorIiEiEEDaPvRmT3_T4_T5_mT6_P12ihipStream_tbENKUlT_T0_E_clISt17integral_constantIbLb0EESW_IbLb1EEEEDaSS_ST_EUlSS_E_NS1_11comp_targetILNS1_3genE3ELNS1_11target_archE908ELNS1_3gpuE7ELNS1_3repE0EEENS1_30default_config_static_selectorELNS0_4arch9wavefront6targetE1EEEvT1_
	.globl	_ZN7rocprim17ROCPRIM_400000_NS6detail17trampoline_kernelINS0_14default_configENS1_20scan_config_selectorIiEEZZNS1_9scan_implILNS1_25lookback_scan_determinismE0ELb0ELb0ES3_N6thrust23THRUST_200600_302600_NS6detail15normal_iteratorINS9_10device_ptrIiEEEENS9_16discard_iteratorINS9_11use_defaultEEEi11max_functorIiEiEEDaPvRmT3_T4_T5_mT6_P12ihipStream_tbENKUlT_T0_E_clISt17integral_constantIbLb0EESW_IbLb1EEEEDaSS_ST_EUlSS_E_NS1_11comp_targetILNS1_3genE3ELNS1_11target_archE908ELNS1_3gpuE7ELNS1_3repE0EEENS1_30default_config_static_selectorELNS0_4arch9wavefront6targetE1EEEvT1_
	.p2align	8
	.type	_ZN7rocprim17ROCPRIM_400000_NS6detail17trampoline_kernelINS0_14default_configENS1_20scan_config_selectorIiEEZZNS1_9scan_implILNS1_25lookback_scan_determinismE0ELb0ELb0ES3_N6thrust23THRUST_200600_302600_NS6detail15normal_iteratorINS9_10device_ptrIiEEEENS9_16discard_iteratorINS9_11use_defaultEEEi11max_functorIiEiEEDaPvRmT3_T4_T5_mT6_P12ihipStream_tbENKUlT_T0_E_clISt17integral_constantIbLb0EESW_IbLb1EEEEDaSS_ST_EUlSS_E_NS1_11comp_targetILNS1_3genE3ELNS1_11target_archE908ELNS1_3gpuE7ELNS1_3repE0EEENS1_30default_config_static_selectorELNS0_4arch9wavefront6targetE1EEEvT1_,@function
_ZN7rocprim17ROCPRIM_400000_NS6detail17trampoline_kernelINS0_14default_configENS1_20scan_config_selectorIiEEZZNS1_9scan_implILNS1_25lookback_scan_determinismE0ELb0ELb0ES3_N6thrust23THRUST_200600_302600_NS6detail15normal_iteratorINS9_10device_ptrIiEEEENS9_16discard_iteratorINS9_11use_defaultEEEi11max_functorIiEiEEDaPvRmT3_T4_T5_mT6_P12ihipStream_tbENKUlT_T0_E_clISt17integral_constantIbLb0EESW_IbLb1EEEEDaSS_ST_EUlSS_E_NS1_11comp_targetILNS1_3genE3ELNS1_11target_archE908ELNS1_3gpuE7ELNS1_3repE0EEENS1_30default_config_static_selectorELNS0_4arch9wavefront6targetE1EEEvT1_: ; @_ZN7rocprim17ROCPRIM_400000_NS6detail17trampoline_kernelINS0_14default_configENS1_20scan_config_selectorIiEEZZNS1_9scan_implILNS1_25lookback_scan_determinismE0ELb0ELb0ES3_N6thrust23THRUST_200600_302600_NS6detail15normal_iteratorINS9_10device_ptrIiEEEENS9_16discard_iteratorINS9_11use_defaultEEEi11max_functorIiEiEEDaPvRmT3_T4_T5_mT6_P12ihipStream_tbENKUlT_T0_E_clISt17integral_constantIbLb0EESW_IbLb1EEEEDaSS_ST_EUlSS_E_NS1_11comp_targetILNS1_3genE3ELNS1_11target_archE908ELNS1_3gpuE7ELNS1_3repE0EEENS1_30default_config_static_selectorELNS0_4arch9wavefront6targetE1EEEvT1_
; %bb.0:
	.section	.rodata,"a",@progbits
	.p2align	6, 0x0
	.amdhsa_kernel _ZN7rocprim17ROCPRIM_400000_NS6detail17trampoline_kernelINS0_14default_configENS1_20scan_config_selectorIiEEZZNS1_9scan_implILNS1_25lookback_scan_determinismE0ELb0ELb0ES3_N6thrust23THRUST_200600_302600_NS6detail15normal_iteratorINS9_10device_ptrIiEEEENS9_16discard_iteratorINS9_11use_defaultEEEi11max_functorIiEiEEDaPvRmT3_T4_T5_mT6_P12ihipStream_tbENKUlT_T0_E_clISt17integral_constantIbLb0EESW_IbLb1EEEEDaSS_ST_EUlSS_E_NS1_11comp_targetILNS1_3genE3ELNS1_11target_archE908ELNS1_3gpuE7ELNS1_3repE0EEENS1_30default_config_static_selectorELNS0_4arch9wavefront6targetE1EEEvT1_
		.amdhsa_group_segment_fixed_size 0
		.amdhsa_private_segment_fixed_size 0
		.amdhsa_kernarg_size 104
		.amdhsa_user_sgpr_count 6
		.amdhsa_user_sgpr_private_segment_buffer 1
		.amdhsa_user_sgpr_dispatch_ptr 0
		.amdhsa_user_sgpr_queue_ptr 0
		.amdhsa_user_sgpr_kernarg_segment_ptr 1
		.amdhsa_user_sgpr_dispatch_id 0
		.amdhsa_user_sgpr_flat_scratch_init 0
		.amdhsa_user_sgpr_kernarg_preload_length 0
		.amdhsa_user_sgpr_kernarg_preload_offset 0
		.amdhsa_user_sgpr_private_segment_size 0
		.amdhsa_uses_dynamic_stack 0
		.amdhsa_system_sgpr_private_segment_wavefront_offset 0
		.amdhsa_system_sgpr_workgroup_id_x 1
		.amdhsa_system_sgpr_workgroup_id_y 0
		.amdhsa_system_sgpr_workgroup_id_z 0
		.amdhsa_system_sgpr_workgroup_info 0
		.amdhsa_system_vgpr_workitem_id 0
		.amdhsa_next_free_vgpr 1
		.amdhsa_next_free_sgpr 0
		.amdhsa_accum_offset 4
		.amdhsa_reserve_vcc 0
		.amdhsa_reserve_flat_scratch 0
		.amdhsa_float_round_mode_32 0
		.amdhsa_float_round_mode_16_64 0
		.amdhsa_float_denorm_mode_32 3
		.amdhsa_float_denorm_mode_16_64 3
		.amdhsa_dx10_clamp 1
		.amdhsa_ieee_mode 1
		.amdhsa_fp16_overflow 0
		.amdhsa_tg_split 0
		.amdhsa_exception_fp_ieee_invalid_op 0
		.amdhsa_exception_fp_denorm_src 0
		.amdhsa_exception_fp_ieee_div_zero 0
		.amdhsa_exception_fp_ieee_overflow 0
		.amdhsa_exception_fp_ieee_underflow 0
		.amdhsa_exception_fp_ieee_inexact 0
		.amdhsa_exception_int_div_zero 0
	.end_amdhsa_kernel
	.section	.text._ZN7rocprim17ROCPRIM_400000_NS6detail17trampoline_kernelINS0_14default_configENS1_20scan_config_selectorIiEEZZNS1_9scan_implILNS1_25lookback_scan_determinismE0ELb0ELb0ES3_N6thrust23THRUST_200600_302600_NS6detail15normal_iteratorINS9_10device_ptrIiEEEENS9_16discard_iteratorINS9_11use_defaultEEEi11max_functorIiEiEEDaPvRmT3_T4_T5_mT6_P12ihipStream_tbENKUlT_T0_E_clISt17integral_constantIbLb0EESW_IbLb1EEEEDaSS_ST_EUlSS_E_NS1_11comp_targetILNS1_3genE3ELNS1_11target_archE908ELNS1_3gpuE7ELNS1_3repE0EEENS1_30default_config_static_selectorELNS0_4arch9wavefront6targetE1EEEvT1_,"axG",@progbits,_ZN7rocprim17ROCPRIM_400000_NS6detail17trampoline_kernelINS0_14default_configENS1_20scan_config_selectorIiEEZZNS1_9scan_implILNS1_25lookback_scan_determinismE0ELb0ELb0ES3_N6thrust23THRUST_200600_302600_NS6detail15normal_iteratorINS9_10device_ptrIiEEEENS9_16discard_iteratorINS9_11use_defaultEEEi11max_functorIiEiEEDaPvRmT3_T4_T5_mT6_P12ihipStream_tbENKUlT_T0_E_clISt17integral_constantIbLb0EESW_IbLb1EEEEDaSS_ST_EUlSS_E_NS1_11comp_targetILNS1_3genE3ELNS1_11target_archE908ELNS1_3gpuE7ELNS1_3repE0EEENS1_30default_config_static_selectorELNS0_4arch9wavefront6targetE1EEEvT1_,comdat
.Lfunc_end3911:
	.size	_ZN7rocprim17ROCPRIM_400000_NS6detail17trampoline_kernelINS0_14default_configENS1_20scan_config_selectorIiEEZZNS1_9scan_implILNS1_25lookback_scan_determinismE0ELb0ELb0ES3_N6thrust23THRUST_200600_302600_NS6detail15normal_iteratorINS9_10device_ptrIiEEEENS9_16discard_iteratorINS9_11use_defaultEEEi11max_functorIiEiEEDaPvRmT3_T4_T5_mT6_P12ihipStream_tbENKUlT_T0_E_clISt17integral_constantIbLb0EESW_IbLb1EEEEDaSS_ST_EUlSS_E_NS1_11comp_targetILNS1_3genE3ELNS1_11target_archE908ELNS1_3gpuE7ELNS1_3repE0EEENS1_30default_config_static_selectorELNS0_4arch9wavefront6targetE1EEEvT1_, .Lfunc_end3911-_ZN7rocprim17ROCPRIM_400000_NS6detail17trampoline_kernelINS0_14default_configENS1_20scan_config_selectorIiEEZZNS1_9scan_implILNS1_25lookback_scan_determinismE0ELb0ELb0ES3_N6thrust23THRUST_200600_302600_NS6detail15normal_iteratorINS9_10device_ptrIiEEEENS9_16discard_iteratorINS9_11use_defaultEEEi11max_functorIiEiEEDaPvRmT3_T4_T5_mT6_P12ihipStream_tbENKUlT_T0_E_clISt17integral_constantIbLb0EESW_IbLb1EEEEDaSS_ST_EUlSS_E_NS1_11comp_targetILNS1_3genE3ELNS1_11target_archE908ELNS1_3gpuE7ELNS1_3repE0EEENS1_30default_config_static_selectorELNS0_4arch9wavefront6targetE1EEEvT1_
                                        ; -- End function
	.section	.AMDGPU.csdata,"",@progbits
; Kernel info:
; codeLenInByte = 0
; NumSgprs: 4
; NumVgprs: 0
; NumAgprs: 0
; TotalNumVgprs: 0
; ScratchSize: 0
; MemoryBound: 0
; FloatMode: 240
; IeeeMode: 1
; LDSByteSize: 0 bytes/workgroup (compile time only)
; SGPRBlocks: 0
; VGPRBlocks: 0
; NumSGPRsForWavesPerEU: 4
; NumVGPRsForWavesPerEU: 1
; AccumOffset: 4
; Occupancy: 8
; WaveLimiterHint : 0
; COMPUTE_PGM_RSRC2:SCRATCH_EN: 0
; COMPUTE_PGM_RSRC2:USER_SGPR: 6
; COMPUTE_PGM_RSRC2:TRAP_HANDLER: 0
; COMPUTE_PGM_RSRC2:TGID_X_EN: 1
; COMPUTE_PGM_RSRC2:TGID_Y_EN: 0
; COMPUTE_PGM_RSRC2:TGID_Z_EN: 0
; COMPUTE_PGM_RSRC2:TIDIG_COMP_CNT: 0
; COMPUTE_PGM_RSRC3_GFX90A:ACCUM_OFFSET: 0
; COMPUTE_PGM_RSRC3_GFX90A:TG_SPLIT: 0
	.section	.text._ZN7rocprim17ROCPRIM_400000_NS6detail17trampoline_kernelINS0_14default_configENS1_20scan_config_selectorIiEEZZNS1_9scan_implILNS1_25lookback_scan_determinismE0ELb0ELb0ES3_N6thrust23THRUST_200600_302600_NS6detail15normal_iteratorINS9_10device_ptrIiEEEENS9_16discard_iteratorINS9_11use_defaultEEEi11max_functorIiEiEEDaPvRmT3_T4_T5_mT6_P12ihipStream_tbENKUlT_T0_E_clISt17integral_constantIbLb0EESW_IbLb1EEEEDaSS_ST_EUlSS_E_NS1_11comp_targetILNS1_3genE2ELNS1_11target_archE906ELNS1_3gpuE6ELNS1_3repE0EEENS1_30default_config_static_selectorELNS0_4arch9wavefront6targetE1EEEvT1_,"axG",@progbits,_ZN7rocprim17ROCPRIM_400000_NS6detail17trampoline_kernelINS0_14default_configENS1_20scan_config_selectorIiEEZZNS1_9scan_implILNS1_25lookback_scan_determinismE0ELb0ELb0ES3_N6thrust23THRUST_200600_302600_NS6detail15normal_iteratorINS9_10device_ptrIiEEEENS9_16discard_iteratorINS9_11use_defaultEEEi11max_functorIiEiEEDaPvRmT3_T4_T5_mT6_P12ihipStream_tbENKUlT_T0_E_clISt17integral_constantIbLb0EESW_IbLb1EEEEDaSS_ST_EUlSS_E_NS1_11comp_targetILNS1_3genE2ELNS1_11target_archE906ELNS1_3gpuE6ELNS1_3repE0EEENS1_30default_config_static_selectorELNS0_4arch9wavefront6targetE1EEEvT1_,comdat
	.protected	_ZN7rocprim17ROCPRIM_400000_NS6detail17trampoline_kernelINS0_14default_configENS1_20scan_config_selectorIiEEZZNS1_9scan_implILNS1_25lookback_scan_determinismE0ELb0ELb0ES3_N6thrust23THRUST_200600_302600_NS6detail15normal_iteratorINS9_10device_ptrIiEEEENS9_16discard_iteratorINS9_11use_defaultEEEi11max_functorIiEiEEDaPvRmT3_T4_T5_mT6_P12ihipStream_tbENKUlT_T0_E_clISt17integral_constantIbLb0EESW_IbLb1EEEEDaSS_ST_EUlSS_E_NS1_11comp_targetILNS1_3genE2ELNS1_11target_archE906ELNS1_3gpuE6ELNS1_3repE0EEENS1_30default_config_static_selectorELNS0_4arch9wavefront6targetE1EEEvT1_ ; -- Begin function _ZN7rocprim17ROCPRIM_400000_NS6detail17trampoline_kernelINS0_14default_configENS1_20scan_config_selectorIiEEZZNS1_9scan_implILNS1_25lookback_scan_determinismE0ELb0ELb0ES3_N6thrust23THRUST_200600_302600_NS6detail15normal_iteratorINS9_10device_ptrIiEEEENS9_16discard_iteratorINS9_11use_defaultEEEi11max_functorIiEiEEDaPvRmT3_T4_T5_mT6_P12ihipStream_tbENKUlT_T0_E_clISt17integral_constantIbLb0EESW_IbLb1EEEEDaSS_ST_EUlSS_E_NS1_11comp_targetILNS1_3genE2ELNS1_11target_archE906ELNS1_3gpuE6ELNS1_3repE0EEENS1_30default_config_static_selectorELNS0_4arch9wavefront6targetE1EEEvT1_
	.globl	_ZN7rocprim17ROCPRIM_400000_NS6detail17trampoline_kernelINS0_14default_configENS1_20scan_config_selectorIiEEZZNS1_9scan_implILNS1_25lookback_scan_determinismE0ELb0ELb0ES3_N6thrust23THRUST_200600_302600_NS6detail15normal_iteratorINS9_10device_ptrIiEEEENS9_16discard_iteratorINS9_11use_defaultEEEi11max_functorIiEiEEDaPvRmT3_T4_T5_mT6_P12ihipStream_tbENKUlT_T0_E_clISt17integral_constantIbLb0EESW_IbLb1EEEEDaSS_ST_EUlSS_E_NS1_11comp_targetILNS1_3genE2ELNS1_11target_archE906ELNS1_3gpuE6ELNS1_3repE0EEENS1_30default_config_static_selectorELNS0_4arch9wavefront6targetE1EEEvT1_
	.p2align	8
	.type	_ZN7rocprim17ROCPRIM_400000_NS6detail17trampoline_kernelINS0_14default_configENS1_20scan_config_selectorIiEEZZNS1_9scan_implILNS1_25lookback_scan_determinismE0ELb0ELb0ES3_N6thrust23THRUST_200600_302600_NS6detail15normal_iteratorINS9_10device_ptrIiEEEENS9_16discard_iteratorINS9_11use_defaultEEEi11max_functorIiEiEEDaPvRmT3_T4_T5_mT6_P12ihipStream_tbENKUlT_T0_E_clISt17integral_constantIbLb0EESW_IbLb1EEEEDaSS_ST_EUlSS_E_NS1_11comp_targetILNS1_3genE2ELNS1_11target_archE906ELNS1_3gpuE6ELNS1_3repE0EEENS1_30default_config_static_selectorELNS0_4arch9wavefront6targetE1EEEvT1_,@function
_ZN7rocprim17ROCPRIM_400000_NS6detail17trampoline_kernelINS0_14default_configENS1_20scan_config_selectorIiEEZZNS1_9scan_implILNS1_25lookback_scan_determinismE0ELb0ELb0ES3_N6thrust23THRUST_200600_302600_NS6detail15normal_iteratorINS9_10device_ptrIiEEEENS9_16discard_iteratorINS9_11use_defaultEEEi11max_functorIiEiEEDaPvRmT3_T4_T5_mT6_P12ihipStream_tbENKUlT_T0_E_clISt17integral_constantIbLb0EESW_IbLb1EEEEDaSS_ST_EUlSS_E_NS1_11comp_targetILNS1_3genE2ELNS1_11target_archE906ELNS1_3gpuE6ELNS1_3repE0EEENS1_30default_config_static_selectorELNS0_4arch9wavefront6targetE1EEEvT1_: ; @_ZN7rocprim17ROCPRIM_400000_NS6detail17trampoline_kernelINS0_14default_configENS1_20scan_config_selectorIiEEZZNS1_9scan_implILNS1_25lookback_scan_determinismE0ELb0ELb0ES3_N6thrust23THRUST_200600_302600_NS6detail15normal_iteratorINS9_10device_ptrIiEEEENS9_16discard_iteratorINS9_11use_defaultEEEi11max_functorIiEiEEDaPvRmT3_T4_T5_mT6_P12ihipStream_tbENKUlT_T0_E_clISt17integral_constantIbLb0EESW_IbLb1EEEEDaSS_ST_EUlSS_E_NS1_11comp_targetILNS1_3genE2ELNS1_11target_archE906ELNS1_3gpuE6ELNS1_3repE0EEENS1_30default_config_static_selectorELNS0_4arch9wavefront6targetE1EEEvT1_
; %bb.0:
	.section	.rodata,"a",@progbits
	.p2align	6, 0x0
	.amdhsa_kernel _ZN7rocprim17ROCPRIM_400000_NS6detail17trampoline_kernelINS0_14default_configENS1_20scan_config_selectorIiEEZZNS1_9scan_implILNS1_25lookback_scan_determinismE0ELb0ELb0ES3_N6thrust23THRUST_200600_302600_NS6detail15normal_iteratorINS9_10device_ptrIiEEEENS9_16discard_iteratorINS9_11use_defaultEEEi11max_functorIiEiEEDaPvRmT3_T4_T5_mT6_P12ihipStream_tbENKUlT_T0_E_clISt17integral_constantIbLb0EESW_IbLb1EEEEDaSS_ST_EUlSS_E_NS1_11comp_targetILNS1_3genE2ELNS1_11target_archE906ELNS1_3gpuE6ELNS1_3repE0EEENS1_30default_config_static_selectorELNS0_4arch9wavefront6targetE1EEEvT1_
		.amdhsa_group_segment_fixed_size 0
		.amdhsa_private_segment_fixed_size 0
		.amdhsa_kernarg_size 104
		.amdhsa_user_sgpr_count 6
		.amdhsa_user_sgpr_private_segment_buffer 1
		.amdhsa_user_sgpr_dispatch_ptr 0
		.amdhsa_user_sgpr_queue_ptr 0
		.amdhsa_user_sgpr_kernarg_segment_ptr 1
		.amdhsa_user_sgpr_dispatch_id 0
		.amdhsa_user_sgpr_flat_scratch_init 0
		.amdhsa_user_sgpr_kernarg_preload_length 0
		.amdhsa_user_sgpr_kernarg_preload_offset 0
		.amdhsa_user_sgpr_private_segment_size 0
		.amdhsa_uses_dynamic_stack 0
		.amdhsa_system_sgpr_private_segment_wavefront_offset 0
		.amdhsa_system_sgpr_workgroup_id_x 1
		.amdhsa_system_sgpr_workgroup_id_y 0
		.amdhsa_system_sgpr_workgroup_id_z 0
		.amdhsa_system_sgpr_workgroup_info 0
		.amdhsa_system_vgpr_workitem_id 0
		.amdhsa_next_free_vgpr 1
		.amdhsa_next_free_sgpr 0
		.amdhsa_accum_offset 4
		.amdhsa_reserve_vcc 0
		.amdhsa_reserve_flat_scratch 0
		.amdhsa_float_round_mode_32 0
		.amdhsa_float_round_mode_16_64 0
		.amdhsa_float_denorm_mode_32 3
		.amdhsa_float_denorm_mode_16_64 3
		.amdhsa_dx10_clamp 1
		.amdhsa_ieee_mode 1
		.amdhsa_fp16_overflow 0
		.amdhsa_tg_split 0
		.amdhsa_exception_fp_ieee_invalid_op 0
		.amdhsa_exception_fp_denorm_src 0
		.amdhsa_exception_fp_ieee_div_zero 0
		.amdhsa_exception_fp_ieee_overflow 0
		.amdhsa_exception_fp_ieee_underflow 0
		.amdhsa_exception_fp_ieee_inexact 0
		.amdhsa_exception_int_div_zero 0
	.end_amdhsa_kernel
	.section	.text._ZN7rocprim17ROCPRIM_400000_NS6detail17trampoline_kernelINS0_14default_configENS1_20scan_config_selectorIiEEZZNS1_9scan_implILNS1_25lookback_scan_determinismE0ELb0ELb0ES3_N6thrust23THRUST_200600_302600_NS6detail15normal_iteratorINS9_10device_ptrIiEEEENS9_16discard_iteratorINS9_11use_defaultEEEi11max_functorIiEiEEDaPvRmT3_T4_T5_mT6_P12ihipStream_tbENKUlT_T0_E_clISt17integral_constantIbLb0EESW_IbLb1EEEEDaSS_ST_EUlSS_E_NS1_11comp_targetILNS1_3genE2ELNS1_11target_archE906ELNS1_3gpuE6ELNS1_3repE0EEENS1_30default_config_static_selectorELNS0_4arch9wavefront6targetE1EEEvT1_,"axG",@progbits,_ZN7rocprim17ROCPRIM_400000_NS6detail17trampoline_kernelINS0_14default_configENS1_20scan_config_selectorIiEEZZNS1_9scan_implILNS1_25lookback_scan_determinismE0ELb0ELb0ES3_N6thrust23THRUST_200600_302600_NS6detail15normal_iteratorINS9_10device_ptrIiEEEENS9_16discard_iteratorINS9_11use_defaultEEEi11max_functorIiEiEEDaPvRmT3_T4_T5_mT6_P12ihipStream_tbENKUlT_T0_E_clISt17integral_constantIbLb0EESW_IbLb1EEEEDaSS_ST_EUlSS_E_NS1_11comp_targetILNS1_3genE2ELNS1_11target_archE906ELNS1_3gpuE6ELNS1_3repE0EEENS1_30default_config_static_selectorELNS0_4arch9wavefront6targetE1EEEvT1_,comdat
.Lfunc_end3912:
	.size	_ZN7rocprim17ROCPRIM_400000_NS6detail17trampoline_kernelINS0_14default_configENS1_20scan_config_selectorIiEEZZNS1_9scan_implILNS1_25lookback_scan_determinismE0ELb0ELb0ES3_N6thrust23THRUST_200600_302600_NS6detail15normal_iteratorINS9_10device_ptrIiEEEENS9_16discard_iteratorINS9_11use_defaultEEEi11max_functorIiEiEEDaPvRmT3_T4_T5_mT6_P12ihipStream_tbENKUlT_T0_E_clISt17integral_constantIbLb0EESW_IbLb1EEEEDaSS_ST_EUlSS_E_NS1_11comp_targetILNS1_3genE2ELNS1_11target_archE906ELNS1_3gpuE6ELNS1_3repE0EEENS1_30default_config_static_selectorELNS0_4arch9wavefront6targetE1EEEvT1_, .Lfunc_end3912-_ZN7rocprim17ROCPRIM_400000_NS6detail17trampoline_kernelINS0_14default_configENS1_20scan_config_selectorIiEEZZNS1_9scan_implILNS1_25lookback_scan_determinismE0ELb0ELb0ES3_N6thrust23THRUST_200600_302600_NS6detail15normal_iteratorINS9_10device_ptrIiEEEENS9_16discard_iteratorINS9_11use_defaultEEEi11max_functorIiEiEEDaPvRmT3_T4_T5_mT6_P12ihipStream_tbENKUlT_T0_E_clISt17integral_constantIbLb0EESW_IbLb1EEEEDaSS_ST_EUlSS_E_NS1_11comp_targetILNS1_3genE2ELNS1_11target_archE906ELNS1_3gpuE6ELNS1_3repE0EEENS1_30default_config_static_selectorELNS0_4arch9wavefront6targetE1EEEvT1_
                                        ; -- End function
	.section	.AMDGPU.csdata,"",@progbits
; Kernel info:
; codeLenInByte = 0
; NumSgprs: 4
; NumVgprs: 0
; NumAgprs: 0
; TotalNumVgprs: 0
; ScratchSize: 0
; MemoryBound: 0
; FloatMode: 240
; IeeeMode: 1
; LDSByteSize: 0 bytes/workgroup (compile time only)
; SGPRBlocks: 0
; VGPRBlocks: 0
; NumSGPRsForWavesPerEU: 4
; NumVGPRsForWavesPerEU: 1
; AccumOffset: 4
; Occupancy: 8
; WaveLimiterHint : 0
; COMPUTE_PGM_RSRC2:SCRATCH_EN: 0
; COMPUTE_PGM_RSRC2:USER_SGPR: 6
; COMPUTE_PGM_RSRC2:TRAP_HANDLER: 0
; COMPUTE_PGM_RSRC2:TGID_X_EN: 1
; COMPUTE_PGM_RSRC2:TGID_Y_EN: 0
; COMPUTE_PGM_RSRC2:TGID_Z_EN: 0
; COMPUTE_PGM_RSRC2:TIDIG_COMP_CNT: 0
; COMPUTE_PGM_RSRC3_GFX90A:ACCUM_OFFSET: 0
; COMPUTE_PGM_RSRC3_GFX90A:TG_SPLIT: 0
	.section	.text._ZN7rocprim17ROCPRIM_400000_NS6detail17trampoline_kernelINS0_14default_configENS1_20scan_config_selectorIiEEZZNS1_9scan_implILNS1_25lookback_scan_determinismE0ELb0ELb0ES3_N6thrust23THRUST_200600_302600_NS6detail15normal_iteratorINS9_10device_ptrIiEEEENS9_16discard_iteratorINS9_11use_defaultEEEi11max_functorIiEiEEDaPvRmT3_T4_T5_mT6_P12ihipStream_tbENKUlT_T0_E_clISt17integral_constantIbLb0EESW_IbLb1EEEEDaSS_ST_EUlSS_E_NS1_11comp_targetILNS1_3genE10ELNS1_11target_archE1201ELNS1_3gpuE5ELNS1_3repE0EEENS1_30default_config_static_selectorELNS0_4arch9wavefront6targetE1EEEvT1_,"axG",@progbits,_ZN7rocprim17ROCPRIM_400000_NS6detail17trampoline_kernelINS0_14default_configENS1_20scan_config_selectorIiEEZZNS1_9scan_implILNS1_25lookback_scan_determinismE0ELb0ELb0ES3_N6thrust23THRUST_200600_302600_NS6detail15normal_iteratorINS9_10device_ptrIiEEEENS9_16discard_iteratorINS9_11use_defaultEEEi11max_functorIiEiEEDaPvRmT3_T4_T5_mT6_P12ihipStream_tbENKUlT_T0_E_clISt17integral_constantIbLb0EESW_IbLb1EEEEDaSS_ST_EUlSS_E_NS1_11comp_targetILNS1_3genE10ELNS1_11target_archE1201ELNS1_3gpuE5ELNS1_3repE0EEENS1_30default_config_static_selectorELNS0_4arch9wavefront6targetE1EEEvT1_,comdat
	.protected	_ZN7rocprim17ROCPRIM_400000_NS6detail17trampoline_kernelINS0_14default_configENS1_20scan_config_selectorIiEEZZNS1_9scan_implILNS1_25lookback_scan_determinismE0ELb0ELb0ES3_N6thrust23THRUST_200600_302600_NS6detail15normal_iteratorINS9_10device_ptrIiEEEENS9_16discard_iteratorINS9_11use_defaultEEEi11max_functorIiEiEEDaPvRmT3_T4_T5_mT6_P12ihipStream_tbENKUlT_T0_E_clISt17integral_constantIbLb0EESW_IbLb1EEEEDaSS_ST_EUlSS_E_NS1_11comp_targetILNS1_3genE10ELNS1_11target_archE1201ELNS1_3gpuE5ELNS1_3repE0EEENS1_30default_config_static_selectorELNS0_4arch9wavefront6targetE1EEEvT1_ ; -- Begin function _ZN7rocprim17ROCPRIM_400000_NS6detail17trampoline_kernelINS0_14default_configENS1_20scan_config_selectorIiEEZZNS1_9scan_implILNS1_25lookback_scan_determinismE0ELb0ELb0ES3_N6thrust23THRUST_200600_302600_NS6detail15normal_iteratorINS9_10device_ptrIiEEEENS9_16discard_iteratorINS9_11use_defaultEEEi11max_functorIiEiEEDaPvRmT3_T4_T5_mT6_P12ihipStream_tbENKUlT_T0_E_clISt17integral_constantIbLb0EESW_IbLb1EEEEDaSS_ST_EUlSS_E_NS1_11comp_targetILNS1_3genE10ELNS1_11target_archE1201ELNS1_3gpuE5ELNS1_3repE0EEENS1_30default_config_static_selectorELNS0_4arch9wavefront6targetE1EEEvT1_
	.globl	_ZN7rocprim17ROCPRIM_400000_NS6detail17trampoline_kernelINS0_14default_configENS1_20scan_config_selectorIiEEZZNS1_9scan_implILNS1_25lookback_scan_determinismE0ELb0ELb0ES3_N6thrust23THRUST_200600_302600_NS6detail15normal_iteratorINS9_10device_ptrIiEEEENS9_16discard_iteratorINS9_11use_defaultEEEi11max_functorIiEiEEDaPvRmT3_T4_T5_mT6_P12ihipStream_tbENKUlT_T0_E_clISt17integral_constantIbLb0EESW_IbLb1EEEEDaSS_ST_EUlSS_E_NS1_11comp_targetILNS1_3genE10ELNS1_11target_archE1201ELNS1_3gpuE5ELNS1_3repE0EEENS1_30default_config_static_selectorELNS0_4arch9wavefront6targetE1EEEvT1_
	.p2align	8
	.type	_ZN7rocprim17ROCPRIM_400000_NS6detail17trampoline_kernelINS0_14default_configENS1_20scan_config_selectorIiEEZZNS1_9scan_implILNS1_25lookback_scan_determinismE0ELb0ELb0ES3_N6thrust23THRUST_200600_302600_NS6detail15normal_iteratorINS9_10device_ptrIiEEEENS9_16discard_iteratorINS9_11use_defaultEEEi11max_functorIiEiEEDaPvRmT3_T4_T5_mT6_P12ihipStream_tbENKUlT_T0_E_clISt17integral_constantIbLb0EESW_IbLb1EEEEDaSS_ST_EUlSS_E_NS1_11comp_targetILNS1_3genE10ELNS1_11target_archE1201ELNS1_3gpuE5ELNS1_3repE0EEENS1_30default_config_static_selectorELNS0_4arch9wavefront6targetE1EEEvT1_,@function
_ZN7rocprim17ROCPRIM_400000_NS6detail17trampoline_kernelINS0_14default_configENS1_20scan_config_selectorIiEEZZNS1_9scan_implILNS1_25lookback_scan_determinismE0ELb0ELb0ES3_N6thrust23THRUST_200600_302600_NS6detail15normal_iteratorINS9_10device_ptrIiEEEENS9_16discard_iteratorINS9_11use_defaultEEEi11max_functorIiEiEEDaPvRmT3_T4_T5_mT6_P12ihipStream_tbENKUlT_T0_E_clISt17integral_constantIbLb0EESW_IbLb1EEEEDaSS_ST_EUlSS_E_NS1_11comp_targetILNS1_3genE10ELNS1_11target_archE1201ELNS1_3gpuE5ELNS1_3repE0EEENS1_30default_config_static_selectorELNS0_4arch9wavefront6targetE1EEEvT1_: ; @_ZN7rocprim17ROCPRIM_400000_NS6detail17trampoline_kernelINS0_14default_configENS1_20scan_config_selectorIiEEZZNS1_9scan_implILNS1_25lookback_scan_determinismE0ELb0ELb0ES3_N6thrust23THRUST_200600_302600_NS6detail15normal_iteratorINS9_10device_ptrIiEEEENS9_16discard_iteratorINS9_11use_defaultEEEi11max_functorIiEiEEDaPvRmT3_T4_T5_mT6_P12ihipStream_tbENKUlT_T0_E_clISt17integral_constantIbLb0EESW_IbLb1EEEEDaSS_ST_EUlSS_E_NS1_11comp_targetILNS1_3genE10ELNS1_11target_archE1201ELNS1_3gpuE5ELNS1_3repE0EEENS1_30default_config_static_selectorELNS0_4arch9wavefront6targetE1EEEvT1_
; %bb.0:
	.section	.rodata,"a",@progbits
	.p2align	6, 0x0
	.amdhsa_kernel _ZN7rocprim17ROCPRIM_400000_NS6detail17trampoline_kernelINS0_14default_configENS1_20scan_config_selectorIiEEZZNS1_9scan_implILNS1_25lookback_scan_determinismE0ELb0ELb0ES3_N6thrust23THRUST_200600_302600_NS6detail15normal_iteratorINS9_10device_ptrIiEEEENS9_16discard_iteratorINS9_11use_defaultEEEi11max_functorIiEiEEDaPvRmT3_T4_T5_mT6_P12ihipStream_tbENKUlT_T0_E_clISt17integral_constantIbLb0EESW_IbLb1EEEEDaSS_ST_EUlSS_E_NS1_11comp_targetILNS1_3genE10ELNS1_11target_archE1201ELNS1_3gpuE5ELNS1_3repE0EEENS1_30default_config_static_selectorELNS0_4arch9wavefront6targetE1EEEvT1_
		.amdhsa_group_segment_fixed_size 0
		.amdhsa_private_segment_fixed_size 0
		.amdhsa_kernarg_size 104
		.amdhsa_user_sgpr_count 6
		.amdhsa_user_sgpr_private_segment_buffer 1
		.amdhsa_user_sgpr_dispatch_ptr 0
		.amdhsa_user_sgpr_queue_ptr 0
		.amdhsa_user_sgpr_kernarg_segment_ptr 1
		.amdhsa_user_sgpr_dispatch_id 0
		.amdhsa_user_sgpr_flat_scratch_init 0
		.amdhsa_user_sgpr_kernarg_preload_length 0
		.amdhsa_user_sgpr_kernarg_preload_offset 0
		.amdhsa_user_sgpr_private_segment_size 0
		.amdhsa_uses_dynamic_stack 0
		.amdhsa_system_sgpr_private_segment_wavefront_offset 0
		.amdhsa_system_sgpr_workgroup_id_x 1
		.amdhsa_system_sgpr_workgroup_id_y 0
		.amdhsa_system_sgpr_workgroup_id_z 0
		.amdhsa_system_sgpr_workgroup_info 0
		.amdhsa_system_vgpr_workitem_id 0
		.amdhsa_next_free_vgpr 1
		.amdhsa_next_free_sgpr 0
		.amdhsa_accum_offset 4
		.amdhsa_reserve_vcc 0
		.amdhsa_reserve_flat_scratch 0
		.amdhsa_float_round_mode_32 0
		.amdhsa_float_round_mode_16_64 0
		.amdhsa_float_denorm_mode_32 3
		.amdhsa_float_denorm_mode_16_64 3
		.amdhsa_dx10_clamp 1
		.amdhsa_ieee_mode 1
		.amdhsa_fp16_overflow 0
		.amdhsa_tg_split 0
		.amdhsa_exception_fp_ieee_invalid_op 0
		.amdhsa_exception_fp_denorm_src 0
		.amdhsa_exception_fp_ieee_div_zero 0
		.amdhsa_exception_fp_ieee_overflow 0
		.amdhsa_exception_fp_ieee_underflow 0
		.amdhsa_exception_fp_ieee_inexact 0
		.amdhsa_exception_int_div_zero 0
	.end_amdhsa_kernel
	.section	.text._ZN7rocprim17ROCPRIM_400000_NS6detail17trampoline_kernelINS0_14default_configENS1_20scan_config_selectorIiEEZZNS1_9scan_implILNS1_25lookback_scan_determinismE0ELb0ELb0ES3_N6thrust23THRUST_200600_302600_NS6detail15normal_iteratorINS9_10device_ptrIiEEEENS9_16discard_iteratorINS9_11use_defaultEEEi11max_functorIiEiEEDaPvRmT3_T4_T5_mT6_P12ihipStream_tbENKUlT_T0_E_clISt17integral_constantIbLb0EESW_IbLb1EEEEDaSS_ST_EUlSS_E_NS1_11comp_targetILNS1_3genE10ELNS1_11target_archE1201ELNS1_3gpuE5ELNS1_3repE0EEENS1_30default_config_static_selectorELNS0_4arch9wavefront6targetE1EEEvT1_,"axG",@progbits,_ZN7rocprim17ROCPRIM_400000_NS6detail17trampoline_kernelINS0_14default_configENS1_20scan_config_selectorIiEEZZNS1_9scan_implILNS1_25lookback_scan_determinismE0ELb0ELb0ES3_N6thrust23THRUST_200600_302600_NS6detail15normal_iteratorINS9_10device_ptrIiEEEENS9_16discard_iteratorINS9_11use_defaultEEEi11max_functorIiEiEEDaPvRmT3_T4_T5_mT6_P12ihipStream_tbENKUlT_T0_E_clISt17integral_constantIbLb0EESW_IbLb1EEEEDaSS_ST_EUlSS_E_NS1_11comp_targetILNS1_3genE10ELNS1_11target_archE1201ELNS1_3gpuE5ELNS1_3repE0EEENS1_30default_config_static_selectorELNS0_4arch9wavefront6targetE1EEEvT1_,comdat
.Lfunc_end3913:
	.size	_ZN7rocprim17ROCPRIM_400000_NS6detail17trampoline_kernelINS0_14default_configENS1_20scan_config_selectorIiEEZZNS1_9scan_implILNS1_25lookback_scan_determinismE0ELb0ELb0ES3_N6thrust23THRUST_200600_302600_NS6detail15normal_iteratorINS9_10device_ptrIiEEEENS9_16discard_iteratorINS9_11use_defaultEEEi11max_functorIiEiEEDaPvRmT3_T4_T5_mT6_P12ihipStream_tbENKUlT_T0_E_clISt17integral_constantIbLb0EESW_IbLb1EEEEDaSS_ST_EUlSS_E_NS1_11comp_targetILNS1_3genE10ELNS1_11target_archE1201ELNS1_3gpuE5ELNS1_3repE0EEENS1_30default_config_static_selectorELNS0_4arch9wavefront6targetE1EEEvT1_, .Lfunc_end3913-_ZN7rocprim17ROCPRIM_400000_NS6detail17trampoline_kernelINS0_14default_configENS1_20scan_config_selectorIiEEZZNS1_9scan_implILNS1_25lookback_scan_determinismE0ELb0ELb0ES3_N6thrust23THRUST_200600_302600_NS6detail15normal_iteratorINS9_10device_ptrIiEEEENS9_16discard_iteratorINS9_11use_defaultEEEi11max_functorIiEiEEDaPvRmT3_T4_T5_mT6_P12ihipStream_tbENKUlT_T0_E_clISt17integral_constantIbLb0EESW_IbLb1EEEEDaSS_ST_EUlSS_E_NS1_11comp_targetILNS1_3genE10ELNS1_11target_archE1201ELNS1_3gpuE5ELNS1_3repE0EEENS1_30default_config_static_selectorELNS0_4arch9wavefront6targetE1EEEvT1_
                                        ; -- End function
	.section	.AMDGPU.csdata,"",@progbits
; Kernel info:
; codeLenInByte = 0
; NumSgprs: 4
; NumVgprs: 0
; NumAgprs: 0
; TotalNumVgprs: 0
; ScratchSize: 0
; MemoryBound: 0
; FloatMode: 240
; IeeeMode: 1
; LDSByteSize: 0 bytes/workgroup (compile time only)
; SGPRBlocks: 0
; VGPRBlocks: 0
; NumSGPRsForWavesPerEU: 4
; NumVGPRsForWavesPerEU: 1
; AccumOffset: 4
; Occupancy: 8
; WaveLimiterHint : 0
; COMPUTE_PGM_RSRC2:SCRATCH_EN: 0
; COMPUTE_PGM_RSRC2:USER_SGPR: 6
; COMPUTE_PGM_RSRC2:TRAP_HANDLER: 0
; COMPUTE_PGM_RSRC2:TGID_X_EN: 1
; COMPUTE_PGM_RSRC2:TGID_Y_EN: 0
; COMPUTE_PGM_RSRC2:TGID_Z_EN: 0
; COMPUTE_PGM_RSRC2:TIDIG_COMP_CNT: 0
; COMPUTE_PGM_RSRC3_GFX90A:ACCUM_OFFSET: 0
; COMPUTE_PGM_RSRC3_GFX90A:TG_SPLIT: 0
	.section	.text._ZN7rocprim17ROCPRIM_400000_NS6detail17trampoline_kernelINS0_14default_configENS1_20scan_config_selectorIiEEZZNS1_9scan_implILNS1_25lookback_scan_determinismE0ELb0ELb0ES3_N6thrust23THRUST_200600_302600_NS6detail15normal_iteratorINS9_10device_ptrIiEEEENS9_16discard_iteratorINS9_11use_defaultEEEi11max_functorIiEiEEDaPvRmT3_T4_T5_mT6_P12ihipStream_tbENKUlT_T0_E_clISt17integral_constantIbLb0EESW_IbLb1EEEEDaSS_ST_EUlSS_E_NS1_11comp_targetILNS1_3genE10ELNS1_11target_archE1200ELNS1_3gpuE4ELNS1_3repE0EEENS1_30default_config_static_selectorELNS0_4arch9wavefront6targetE1EEEvT1_,"axG",@progbits,_ZN7rocprim17ROCPRIM_400000_NS6detail17trampoline_kernelINS0_14default_configENS1_20scan_config_selectorIiEEZZNS1_9scan_implILNS1_25lookback_scan_determinismE0ELb0ELb0ES3_N6thrust23THRUST_200600_302600_NS6detail15normal_iteratorINS9_10device_ptrIiEEEENS9_16discard_iteratorINS9_11use_defaultEEEi11max_functorIiEiEEDaPvRmT3_T4_T5_mT6_P12ihipStream_tbENKUlT_T0_E_clISt17integral_constantIbLb0EESW_IbLb1EEEEDaSS_ST_EUlSS_E_NS1_11comp_targetILNS1_3genE10ELNS1_11target_archE1200ELNS1_3gpuE4ELNS1_3repE0EEENS1_30default_config_static_selectorELNS0_4arch9wavefront6targetE1EEEvT1_,comdat
	.protected	_ZN7rocprim17ROCPRIM_400000_NS6detail17trampoline_kernelINS0_14default_configENS1_20scan_config_selectorIiEEZZNS1_9scan_implILNS1_25lookback_scan_determinismE0ELb0ELb0ES3_N6thrust23THRUST_200600_302600_NS6detail15normal_iteratorINS9_10device_ptrIiEEEENS9_16discard_iteratorINS9_11use_defaultEEEi11max_functorIiEiEEDaPvRmT3_T4_T5_mT6_P12ihipStream_tbENKUlT_T0_E_clISt17integral_constantIbLb0EESW_IbLb1EEEEDaSS_ST_EUlSS_E_NS1_11comp_targetILNS1_3genE10ELNS1_11target_archE1200ELNS1_3gpuE4ELNS1_3repE0EEENS1_30default_config_static_selectorELNS0_4arch9wavefront6targetE1EEEvT1_ ; -- Begin function _ZN7rocprim17ROCPRIM_400000_NS6detail17trampoline_kernelINS0_14default_configENS1_20scan_config_selectorIiEEZZNS1_9scan_implILNS1_25lookback_scan_determinismE0ELb0ELb0ES3_N6thrust23THRUST_200600_302600_NS6detail15normal_iteratorINS9_10device_ptrIiEEEENS9_16discard_iteratorINS9_11use_defaultEEEi11max_functorIiEiEEDaPvRmT3_T4_T5_mT6_P12ihipStream_tbENKUlT_T0_E_clISt17integral_constantIbLb0EESW_IbLb1EEEEDaSS_ST_EUlSS_E_NS1_11comp_targetILNS1_3genE10ELNS1_11target_archE1200ELNS1_3gpuE4ELNS1_3repE0EEENS1_30default_config_static_selectorELNS0_4arch9wavefront6targetE1EEEvT1_
	.globl	_ZN7rocprim17ROCPRIM_400000_NS6detail17trampoline_kernelINS0_14default_configENS1_20scan_config_selectorIiEEZZNS1_9scan_implILNS1_25lookback_scan_determinismE0ELb0ELb0ES3_N6thrust23THRUST_200600_302600_NS6detail15normal_iteratorINS9_10device_ptrIiEEEENS9_16discard_iteratorINS9_11use_defaultEEEi11max_functorIiEiEEDaPvRmT3_T4_T5_mT6_P12ihipStream_tbENKUlT_T0_E_clISt17integral_constantIbLb0EESW_IbLb1EEEEDaSS_ST_EUlSS_E_NS1_11comp_targetILNS1_3genE10ELNS1_11target_archE1200ELNS1_3gpuE4ELNS1_3repE0EEENS1_30default_config_static_selectorELNS0_4arch9wavefront6targetE1EEEvT1_
	.p2align	8
	.type	_ZN7rocprim17ROCPRIM_400000_NS6detail17trampoline_kernelINS0_14default_configENS1_20scan_config_selectorIiEEZZNS1_9scan_implILNS1_25lookback_scan_determinismE0ELb0ELb0ES3_N6thrust23THRUST_200600_302600_NS6detail15normal_iteratorINS9_10device_ptrIiEEEENS9_16discard_iteratorINS9_11use_defaultEEEi11max_functorIiEiEEDaPvRmT3_T4_T5_mT6_P12ihipStream_tbENKUlT_T0_E_clISt17integral_constantIbLb0EESW_IbLb1EEEEDaSS_ST_EUlSS_E_NS1_11comp_targetILNS1_3genE10ELNS1_11target_archE1200ELNS1_3gpuE4ELNS1_3repE0EEENS1_30default_config_static_selectorELNS0_4arch9wavefront6targetE1EEEvT1_,@function
_ZN7rocprim17ROCPRIM_400000_NS6detail17trampoline_kernelINS0_14default_configENS1_20scan_config_selectorIiEEZZNS1_9scan_implILNS1_25lookback_scan_determinismE0ELb0ELb0ES3_N6thrust23THRUST_200600_302600_NS6detail15normal_iteratorINS9_10device_ptrIiEEEENS9_16discard_iteratorINS9_11use_defaultEEEi11max_functorIiEiEEDaPvRmT3_T4_T5_mT6_P12ihipStream_tbENKUlT_T0_E_clISt17integral_constantIbLb0EESW_IbLb1EEEEDaSS_ST_EUlSS_E_NS1_11comp_targetILNS1_3genE10ELNS1_11target_archE1200ELNS1_3gpuE4ELNS1_3repE0EEENS1_30default_config_static_selectorELNS0_4arch9wavefront6targetE1EEEvT1_: ; @_ZN7rocprim17ROCPRIM_400000_NS6detail17trampoline_kernelINS0_14default_configENS1_20scan_config_selectorIiEEZZNS1_9scan_implILNS1_25lookback_scan_determinismE0ELb0ELb0ES3_N6thrust23THRUST_200600_302600_NS6detail15normal_iteratorINS9_10device_ptrIiEEEENS9_16discard_iteratorINS9_11use_defaultEEEi11max_functorIiEiEEDaPvRmT3_T4_T5_mT6_P12ihipStream_tbENKUlT_T0_E_clISt17integral_constantIbLb0EESW_IbLb1EEEEDaSS_ST_EUlSS_E_NS1_11comp_targetILNS1_3genE10ELNS1_11target_archE1200ELNS1_3gpuE4ELNS1_3repE0EEENS1_30default_config_static_selectorELNS0_4arch9wavefront6targetE1EEEvT1_
; %bb.0:
	.section	.rodata,"a",@progbits
	.p2align	6, 0x0
	.amdhsa_kernel _ZN7rocprim17ROCPRIM_400000_NS6detail17trampoline_kernelINS0_14default_configENS1_20scan_config_selectorIiEEZZNS1_9scan_implILNS1_25lookback_scan_determinismE0ELb0ELb0ES3_N6thrust23THRUST_200600_302600_NS6detail15normal_iteratorINS9_10device_ptrIiEEEENS9_16discard_iteratorINS9_11use_defaultEEEi11max_functorIiEiEEDaPvRmT3_T4_T5_mT6_P12ihipStream_tbENKUlT_T0_E_clISt17integral_constantIbLb0EESW_IbLb1EEEEDaSS_ST_EUlSS_E_NS1_11comp_targetILNS1_3genE10ELNS1_11target_archE1200ELNS1_3gpuE4ELNS1_3repE0EEENS1_30default_config_static_selectorELNS0_4arch9wavefront6targetE1EEEvT1_
		.amdhsa_group_segment_fixed_size 0
		.amdhsa_private_segment_fixed_size 0
		.amdhsa_kernarg_size 104
		.amdhsa_user_sgpr_count 6
		.amdhsa_user_sgpr_private_segment_buffer 1
		.amdhsa_user_sgpr_dispatch_ptr 0
		.amdhsa_user_sgpr_queue_ptr 0
		.amdhsa_user_sgpr_kernarg_segment_ptr 1
		.amdhsa_user_sgpr_dispatch_id 0
		.amdhsa_user_sgpr_flat_scratch_init 0
		.amdhsa_user_sgpr_kernarg_preload_length 0
		.amdhsa_user_sgpr_kernarg_preload_offset 0
		.amdhsa_user_sgpr_private_segment_size 0
		.amdhsa_uses_dynamic_stack 0
		.amdhsa_system_sgpr_private_segment_wavefront_offset 0
		.amdhsa_system_sgpr_workgroup_id_x 1
		.amdhsa_system_sgpr_workgroup_id_y 0
		.amdhsa_system_sgpr_workgroup_id_z 0
		.amdhsa_system_sgpr_workgroup_info 0
		.amdhsa_system_vgpr_workitem_id 0
		.amdhsa_next_free_vgpr 1
		.amdhsa_next_free_sgpr 0
		.amdhsa_accum_offset 4
		.amdhsa_reserve_vcc 0
		.amdhsa_reserve_flat_scratch 0
		.amdhsa_float_round_mode_32 0
		.amdhsa_float_round_mode_16_64 0
		.amdhsa_float_denorm_mode_32 3
		.amdhsa_float_denorm_mode_16_64 3
		.amdhsa_dx10_clamp 1
		.amdhsa_ieee_mode 1
		.amdhsa_fp16_overflow 0
		.amdhsa_tg_split 0
		.amdhsa_exception_fp_ieee_invalid_op 0
		.amdhsa_exception_fp_denorm_src 0
		.amdhsa_exception_fp_ieee_div_zero 0
		.amdhsa_exception_fp_ieee_overflow 0
		.amdhsa_exception_fp_ieee_underflow 0
		.amdhsa_exception_fp_ieee_inexact 0
		.amdhsa_exception_int_div_zero 0
	.end_amdhsa_kernel
	.section	.text._ZN7rocprim17ROCPRIM_400000_NS6detail17trampoline_kernelINS0_14default_configENS1_20scan_config_selectorIiEEZZNS1_9scan_implILNS1_25lookback_scan_determinismE0ELb0ELb0ES3_N6thrust23THRUST_200600_302600_NS6detail15normal_iteratorINS9_10device_ptrIiEEEENS9_16discard_iteratorINS9_11use_defaultEEEi11max_functorIiEiEEDaPvRmT3_T4_T5_mT6_P12ihipStream_tbENKUlT_T0_E_clISt17integral_constantIbLb0EESW_IbLb1EEEEDaSS_ST_EUlSS_E_NS1_11comp_targetILNS1_3genE10ELNS1_11target_archE1200ELNS1_3gpuE4ELNS1_3repE0EEENS1_30default_config_static_selectorELNS0_4arch9wavefront6targetE1EEEvT1_,"axG",@progbits,_ZN7rocprim17ROCPRIM_400000_NS6detail17trampoline_kernelINS0_14default_configENS1_20scan_config_selectorIiEEZZNS1_9scan_implILNS1_25lookback_scan_determinismE0ELb0ELb0ES3_N6thrust23THRUST_200600_302600_NS6detail15normal_iteratorINS9_10device_ptrIiEEEENS9_16discard_iteratorINS9_11use_defaultEEEi11max_functorIiEiEEDaPvRmT3_T4_T5_mT6_P12ihipStream_tbENKUlT_T0_E_clISt17integral_constantIbLb0EESW_IbLb1EEEEDaSS_ST_EUlSS_E_NS1_11comp_targetILNS1_3genE10ELNS1_11target_archE1200ELNS1_3gpuE4ELNS1_3repE0EEENS1_30default_config_static_selectorELNS0_4arch9wavefront6targetE1EEEvT1_,comdat
.Lfunc_end3914:
	.size	_ZN7rocprim17ROCPRIM_400000_NS6detail17trampoline_kernelINS0_14default_configENS1_20scan_config_selectorIiEEZZNS1_9scan_implILNS1_25lookback_scan_determinismE0ELb0ELb0ES3_N6thrust23THRUST_200600_302600_NS6detail15normal_iteratorINS9_10device_ptrIiEEEENS9_16discard_iteratorINS9_11use_defaultEEEi11max_functorIiEiEEDaPvRmT3_T4_T5_mT6_P12ihipStream_tbENKUlT_T0_E_clISt17integral_constantIbLb0EESW_IbLb1EEEEDaSS_ST_EUlSS_E_NS1_11comp_targetILNS1_3genE10ELNS1_11target_archE1200ELNS1_3gpuE4ELNS1_3repE0EEENS1_30default_config_static_selectorELNS0_4arch9wavefront6targetE1EEEvT1_, .Lfunc_end3914-_ZN7rocprim17ROCPRIM_400000_NS6detail17trampoline_kernelINS0_14default_configENS1_20scan_config_selectorIiEEZZNS1_9scan_implILNS1_25lookback_scan_determinismE0ELb0ELb0ES3_N6thrust23THRUST_200600_302600_NS6detail15normal_iteratorINS9_10device_ptrIiEEEENS9_16discard_iteratorINS9_11use_defaultEEEi11max_functorIiEiEEDaPvRmT3_T4_T5_mT6_P12ihipStream_tbENKUlT_T0_E_clISt17integral_constantIbLb0EESW_IbLb1EEEEDaSS_ST_EUlSS_E_NS1_11comp_targetILNS1_3genE10ELNS1_11target_archE1200ELNS1_3gpuE4ELNS1_3repE0EEENS1_30default_config_static_selectorELNS0_4arch9wavefront6targetE1EEEvT1_
                                        ; -- End function
	.section	.AMDGPU.csdata,"",@progbits
; Kernel info:
; codeLenInByte = 0
; NumSgprs: 4
; NumVgprs: 0
; NumAgprs: 0
; TotalNumVgprs: 0
; ScratchSize: 0
; MemoryBound: 0
; FloatMode: 240
; IeeeMode: 1
; LDSByteSize: 0 bytes/workgroup (compile time only)
; SGPRBlocks: 0
; VGPRBlocks: 0
; NumSGPRsForWavesPerEU: 4
; NumVGPRsForWavesPerEU: 1
; AccumOffset: 4
; Occupancy: 8
; WaveLimiterHint : 0
; COMPUTE_PGM_RSRC2:SCRATCH_EN: 0
; COMPUTE_PGM_RSRC2:USER_SGPR: 6
; COMPUTE_PGM_RSRC2:TRAP_HANDLER: 0
; COMPUTE_PGM_RSRC2:TGID_X_EN: 1
; COMPUTE_PGM_RSRC2:TGID_Y_EN: 0
; COMPUTE_PGM_RSRC2:TGID_Z_EN: 0
; COMPUTE_PGM_RSRC2:TIDIG_COMP_CNT: 0
; COMPUTE_PGM_RSRC3_GFX90A:ACCUM_OFFSET: 0
; COMPUTE_PGM_RSRC3_GFX90A:TG_SPLIT: 0
	.section	.text._ZN7rocprim17ROCPRIM_400000_NS6detail17trampoline_kernelINS0_14default_configENS1_20scan_config_selectorIiEEZZNS1_9scan_implILNS1_25lookback_scan_determinismE0ELb0ELb0ES3_N6thrust23THRUST_200600_302600_NS6detail15normal_iteratorINS9_10device_ptrIiEEEENS9_16discard_iteratorINS9_11use_defaultEEEi11max_functorIiEiEEDaPvRmT3_T4_T5_mT6_P12ihipStream_tbENKUlT_T0_E_clISt17integral_constantIbLb0EESW_IbLb1EEEEDaSS_ST_EUlSS_E_NS1_11comp_targetILNS1_3genE9ELNS1_11target_archE1100ELNS1_3gpuE3ELNS1_3repE0EEENS1_30default_config_static_selectorELNS0_4arch9wavefront6targetE1EEEvT1_,"axG",@progbits,_ZN7rocprim17ROCPRIM_400000_NS6detail17trampoline_kernelINS0_14default_configENS1_20scan_config_selectorIiEEZZNS1_9scan_implILNS1_25lookback_scan_determinismE0ELb0ELb0ES3_N6thrust23THRUST_200600_302600_NS6detail15normal_iteratorINS9_10device_ptrIiEEEENS9_16discard_iteratorINS9_11use_defaultEEEi11max_functorIiEiEEDaPvRmT3_T4_T5_mT6_P12ihipStream_tbENKUlT_T0_E_clISt17integral_constantIbLb0EESW_IbLb1EEEEDaSS_ST_EUlSS_E_NS1_11comp_targetILNS1_3genE9ELNS1_11target_archE1100ELNS1_3gpuE3ELNS1_3repE0EEENS1_30default_config_static_selectorELNS0_4arch9wavefront6targetE1EEEvT1_,comdat
	.protected	_ZN7rocprim17ROCPRIM_400000_NS6detail17trampoline_kernelINS0_14default_configENS1_20scan_config_selectorIiEEZZNS1_9scan_implILNS1_25lookback_scan_determinismE0ELb0ELb0ES3_N6thrust23THRUST_200600_302600_NS6detail15normal_iteratorINS9_10device_ptrIiEEEENS9_16discard_iteratorINS9_11use_defaultEEEi11max_functorIiEiEEDaPvRmT3_T4_T5_mT6_P12ihipStream_tbENKUlT_T0_E_clISt17integral_constantIbLb0EESW_IbLb1EEEEDaSS_ST_EUlSS_E_NS1_11comp_targetILNS1_3genE9ELNS1_11target_archE1100ELNS1_3gpuE3ELNS1_3repE0EEENS1_30default_config_static_selectorELNS0_4arch9wavefront6targetE1EEEvT1_ ; -- Begin function _ZN7rocprim17ROCPRIM_400000_NS6detail17trampoline_kernelINS0_14default_configENS1_20scan_config_selectorIiEEZZNS1_9scan_implILNS1_25lookback_scan_determinismE0ELb0ELb0ES3_N6thrust23THRUST_200600_302600_NS6detail15normal_iteratorINS9_10device_ptrIiEEEENS9_16discard_iteratorINS9_11use_defaultEEEi11max_functorIiEiEEDaPvRmT3_T4_T5_mT6_P12ihipStream_tbENKUlT_T0_E_clISt17integral_constantIbLb0EESW_IbLb1EEEEDaSS_ST_EUlSS_E_NS1_11comp_targetILNS1_3genE9ELNS1_11target_archE1100ELNS1_3gpuE3ELNS1_3repE0EEENS1_30default_config_static_selectorELNS0_4arch9wavefront6targetE1EEEvT1_
	.globl	_ZN7rocprim17ROCPRIM_400000_NS6detail17trampoline_kernelINS0_14default_configENS1_20scan_config_selectorIiEEZZNS1_9scan_implILNS1_25lookback_scan_determinismE0ELb0ELb0ES3_N6thrust23THRUST_200600_302600_NS6detail15normal_iteratorINS9_10device_ptrIiEEEENS9_16discard_iteratorINS9_11use_defaultEEEi11max_functorIiEiEEDaPvRmT3_T4_T5_mT6_P12ihipStream_tbENKUlT_T0_E_clISt17integral_constantIbLb0EESW_IbLb1EEEEDaSS_ST_EUlSS_E_NS1_11comp_targetILNS1_3genE9ELNS1_11target_archE1100ELNS1_3gpuE3ELNS1_3repE0EEENS1_30default_config_static_selectorELNS0_4arch9wavefront6targetE1EEEvT1_
	.p2align	8
	.type	_ZN7rocprim17ROCPRIM_400000_NS6detail17trampoline_kernelINS0_14default_configENS1_20scan_config_selectorIiEEZZNS1_9scan_implILNS1_25lookback_scan_determinismE0ELb0ELb0ES3_N6thrust23THRUST_200600_302600_NS6detail15normal_iteratorINS9_10device_ptrIiEEEENS9_16discard_iteratorINS9_11use_defaultEEEi11max_functorIiEiEEDaPvRmT3_T4_T5_mT6_P12ihipStream_tbENKUlT_T0_E_clISt17integral_constantIbLb0EESW_IbLb1EEEEDaSS_ST_EUlSS_E_NS1_11comp_targetILNS1_3genE9ELNS1_11target_archE1100ELNS1_3gpuE3ELNS1_3repE0EEENS1_30default_config_static_selectorELNS0_4arch9wavefront6targetE1EEEvT1_,@function
_ZN7rocprim17ROCPRIM_400000_NS6detail17trampoline_kernelINS0_14default_configENS1_20scan_config_selectorIiEEZZNS1_9scan_implILNS1_25lookback_scan_determinismE0ELb0ELb0ES3_N6thrust23THRUST_200600_302600_NS6detail15normal_iteratorINS9_10device_ptrIiEEEENS9_16discard_iteratorINS9_11use_defaultEEEi11max_functorIiEiEEDaPvRmT3_T4_T5_mT6_P12ihipStream_tbENKUlT_T0_E_clISt17integral_constantIbLb0EESW_IbLb1EEEEDaSS_ST_EUlSS_E_NS1_11comp_targetILNS1_3genE9ELNS1_11target_archE1100ELNS1_3gpuE3ELNS1_3repE0EEENS1_30default_config_static_selectorELNS0_4arch9wavefront6targetE1EEEvT1_: ; @_ZN7rocprim17ROCPRIM_400000_NS6detail17trampoline_kernelINS0_14default_configENS1_20scan_config_selectorIiEEZZNS1_9scan_implILNS1_25lookback_scan_determinismE0ELb0ELb0ES3_N6thrust23THRUST_200600_302600_NS6detail15normal_iteratorINS9_10device_ptrIiEEEENS9_16discard_iteratorINS9_11use_defaultEEEi11max_functorIiEiEEDaPvRmT3_T4_T5_mT6_P12ihipStream_tbENKUlT_T0_E_clISt17integral_constantIbLb0EESW_IbLb1EEEEDaSS_ST_EUlSS_E_NS1_11comp_targetILNS1_3genE9ELNS1_11target_archE1100ELNS1_3gpuE3ELNS1_3repE0EEENS1_30default_config_static_selectorELNS0_4arch9wavefront6targetE1EEEvT1_
; %bb.0:
	.section	.rodata,"a",@progbits
	.p2align	6, 0x0
	.amdhsa_kernel _ZN7rocprim17ROCPRIM_400000_NS6detail17trampoline_kernelINS0_14default_configENS1_20scan_config_selectorIiEEZZNS1_9scan_implILNS1_25lookback_scan_determinismE0ELb0ELb0ES3_N6thrust23THRUST_200600_302600_NS6detail15normal_iteratorINS9_10device_ptrIiEEEENS9_16discard_iteratorINS9_11use_defaultEEEi11max_functorIiEiEEDaPvRmT3_T4_T5_mT6_P12ihipStream_tbENKUlT_T0_E_clISt17integral_constantIbLb0EESW_IbLb1EEEEDaSS_ST_EUlSS_E_NS1_11comp_targetILNS1_3genE9ELNS1_11target_archE1100ELNS1_3gpuE3ELNS1_3repE0EEENS1_30default_config_static_selectorELNS0_4arch9wavefront6targetE1EEEvT1_
		.amdhsa_group_segment_fixed_size 0
		.amdhsa_private_segment_fixed_size 0
		.amdhsa_kernarg_size 104
		.amdhsa_user_sgpr_count 6
		.amdhsa_user_sgpr_private_segment_buffer 1
		.amdhsa_user_sgpr_dispatch_ptr 0
		.amdhsa_user_sgpr_queue_ptr 0
		.amdhsa_user_sgpr_kernarg_segment_ptr 1
		.amdhsa_user_sgpr_dispatch_id 0
		.amdhsa_user_sgpr_flat_scratch_init 0
		.amdhsa_user_sgpr_kernarg_preload_length 0
		.amdhsa_user_sgpr_kernarg_preload_offset 0
		.amdhsa_user_sgpr_private_segment_size 0
		.amdhsa_uses_dynamic_stack 0
		.amdhsa_system_sgpr_private_segment_wavefront_offset 0
		.amdhsa_system_sgpr_workgroup_id_x 1
		.amdhsa_system_sgpr_workgroup_id_y 0
		.amdhsa_system_sgpr_workgroup_id_z 0
		.amdhsa_system_sgpr_workgroup_info 0
		.amdhsa_system_vgpr_workitem_id 0
		.amdhsa_next_free_vgpr 1
		.amdhsa_next_free_sgpr 0
		.amdhsa_accum_offset 4
		.amdhsa_reserve_vcc 0
		.amdhsa_reserve_flat_scratch 0
		.amdhsa_float_round_mode_32 0
		.amdhsa_float_round_mode_16_64 0
		.amdhsa_float_denorm_mode_32 3
		.amdhsa_float_denorm_mode_16_64 3
		.amdhsa_dx10_clamp 1
		.amdhsa_ieee_mode 1
		.amdhsa_fp16_overflow 0
		.amdhsa_tg_split 0
		.amdhsa_exception_fp_ieee_invalid_op 0
		.amdhsa_exception_fp_denorm_src 0
		.amdhsa_exception_fp_ieee_div_zero 0
		.amdhsa_exception_fp_ieee_overflow 0
		.amdhsa_exception_fp_ieee_underflow 0
		.amdhsa_exception_fp_ieee_inexact 0
		.amdhsa_exception_int_div_zero 0
	.end_amdhsa_kernel
	.section	.text._ZN7rocprim17ROCPRIM_400000_NS6detail17trampoline_kernelINS0_14default_configENS1_20scan_config_selectorIiEEZZNS1_9scan_implILNS1_25lookback_scan_determinismE0ELb0ELb0ES3_N6thrust23THRUST_200600_302600_NS6detail15normal_iteratorINS9_10device_ptrIiEEEENS9_16discard_iteratorINS9_11use_defaultEEEi11max_functorIiEiEEDaPvRmT3_T4_T5_mT6_P12ihipStream_tbENKUlT_T0_E_clISt17integral_constantIbLb0EESW_IbLb1EEEEDaSS_ST_EUlSS_E_NS1_11comp_targetILNS1_3genE9ELNS1_11target_archE1100ELNS1_3gpuE3ELNS1_3repE0EEENS1_30default_config_static_selectorELNS0_4arch9wavefront6targetE1EEEvT1_,"axG",@progbits,_ZN7rocprim17ROCPRIM_400000_NS6detail17trampoline_kernelINS0_14default_configENS1_20scan_config_selectorIiEEZZNS1_9scan_implILNS1_25lookback_scan_determinismE0ELb0ELb0ES3_N6thrust23THRUST_200600_302600_NS6detail15normal_iteratorINS9_10device_ptrIiEEEENS9_16discard_iteratorINS9_11use_defaultEEEi11max_functorIiEiEEDaPvRmT3_T4_T5_mT6_P12ihipStream_tbENKUlT_T0_E_clISt17integral_constantIbLb0EESW_IbLb1EEEEDaSS_ST_EUlSS_E_NS1_11comp_targetILNS1_3genE9ELNS1_11target_archE1100ELNS1_3gpuE3ELNS1_3repE0EEENS1_30default_config_static_selectorELNS0_4arch9wavefront6targetE1EEEvT1_,comdat
.Lfunc_end3915:
	.size	_ZN7rocprim17ROCPRIM_400000_NS6detail17trampoline_kernelINS0_14default_configENS1_20scan_config_selectorIiEEZZNS1_9scan_implILNS1_25lookback_scan_determinismE0ELb0ELb0ES3_N6thrust23THRUST_200600_302600_NS6detail15normal_iteratorINS9_10device_ptrIiEEEENS9_16discard_iteratorINS9_11use_defaultEEEi11max_functorIiEiEEDaPvRmT3_T4_T5_mT6_P12ihipStream_tbENKUlT_T0_E_clISt17integral_constantIbLb0EESW_IbLb1EEEEDaSS_ST_EUlSS_E_NS1_11comp_targetILNS1_3genE9ELNS1_11target_archE1100ELNS1_3gpuE3ELNS1_3repE0EEENS1_30default_config_static_selectorELNS0_4arch9wavefront6targetE1EEEvT1_, .Lfunc_end3915-_ZN7rocprim17ROCPRIM_400000_NS6detail17trampoline_kernelINS0_14default_configENS1_20scan_config_selectorIiEEZZNS1_9scan_implILNS1_25lookback_scan_determinismE0ELb0ELb0ES3_N6thrust23THRUST_200600_302600_NS6detail15normal_iteratorINS9_10device_ptrIiEEEENS9_16discard_iteratorINS9_11use_defaultEEEi11max_functorIiEiEEDaPvRmT3_T4_T5_mT6_P12ihipStream_tbENKUlT_T0_E_clISt17integral_constantIbLb0EESW_IbLb1EEEEDaSS_ST_EUlSS_E_NS1_11comp_targetILNS1_3genE9ELNS1_11target_archE1100ELNS1_3gpuE3ELNS1_3repE0EEENS1_30default_config_static_selectorELNS0_4arch9wavefront6targetE1EEEvT1_
                                        ; -- End function
	.section	.AMDGPU.csdata,"",@progbits
; Kernel info:
; codeLenInByte = 0
; NumSgprs: 4
; NumVgprs: 0
; NumAgprs: 0
; TotalNumVgprs: 0
; ScratchSize: 0
; MemoryBound: 0
; FloatMode: 240
; IeeeMode: 1
; LDSByteSize: 0 bytes/workgroup (compile time only)
; SGPRBlocks: 0
; VGPRBlocks: 0
; NumSGPRsForWavesPerEU: 4
; NumVGPRsForWavesPerEU: 1
; AccumOffset: 4
; Occupancy: 8
; WaveLimiterHint : 0
; COMPUTE_PGM_RSRC2:SCRATCH_EN: 0
; COMPUTE_PGM_RSRC2:USER_SGPR: 6
; COMPUTE_PGM_RSRC2:TRAP_HANDLER: 0
; COMPUTE_PGM_RSRC2:TGID_X_EN: 1
; COMPUTE_PGM_RSRC2:TGID_Y_EN: 0
; COMPUTE_PGM_RSRC2:TGID_Z_EN: 0
; COMPUTE_PGM_RSRC2:TIDIG_COMP_CNT: 0
; COMPUTE_PGM_RSRC3_GFX90A:ACCUM_OFFSET: 0
; COMPUTE_PGM_RSRC3_GFX90A:TG_SPLIT: 0
	.section	.text._ZN7rocprim17ROCPRIM_400000_NS6detail17trampoline_kernelINS0_14default_configENS1_20scan_config_selectorIiEEZZNS1_9scan_implILNS1_25lookback_scan_determinismE0ELb0ELb0ES3_N6thrust23THRUST_200600_302600_NS6detail15normal_iteratorINS9_10device_ptrIiEEEENS9_16discard_iteratorINS9_11use_defaultEEEi11max_functorIiEiEEDaPvRmT3_T4_T5_mT6_P12ihipStream_tbENKUlT_T0_E_clISt17integral_constantIbLb0EESW_IbLb1EEEEDaSS_ST_EUlSS_E_NS1_11comp_targetILNS1_3genE8ELNS1_11target_archE1030ELNS1_3gpuE2ELNS1_3repE0EEENS1_30default_config_static_selectorELNS0_4arch9wavefront6targetE1EEEvT1_,"axG",@progbits,_ZN7rocprim17ROCPRIM_400000_NS6detail17trampoline_kernelINS0_14default_configENS1_20scan_config_selectorIiEEZZNS1_9scan_implILNS1_25lookback_scan_determinismE0ELb0ELb0ES3_N6thrust23THRUST_200600_302600_NS6detail15normal_iteratorINS9_10device_ptrIiEEEENS9_16discard_iteratorINS9_11use_defaultEEEi11max_functorIiEiEEDaPvRmT3_T4_T5_mT6_P12ihipStream_tbENKUlT_T0_E_clISt17integral_constantIbLb0EESW_IbLb1EEEEDaSS_ST_EUlSS_E_NS1_11comp_targetILNS1_3genE8ELNS1_11target_archE1030ELNS1_3gpuE2ELNS1_3repE0EEENS1_30default_config_static_selectorELNS0_4arch9wavefront6targetE1EEEvT1_,comdat
	.protected	_ZN7rocprim17ROCPRIM_400000_NS6detail17trampoline_kernelINS0_14default_configENS1_20scan_config_selectorIiEEZZNS1_9scan_implILNS1_25lookback_scan_determinismE0ELb0ELb0ES3_N6thrust23THRUST_200600_302600_NS6detail15normal_iteratorINS9_10device_ptrIiEEEENS9_16discard_iteratorINS9_11use_defaultEEEi11max_functorIiEiEEDaPvRmT3_T4_T5_mT6_P12ihipStream_tbENKUlT_T0_E_clISt17integral_constantIbLb0EESW_IbLb1EEEEDaSS_ST_EUlSS_E_NS1_11comp_targetILNS1_3genE8ELNS1_11target_archE1030ELNS1_3gpuE2ELNS1_3repE0EEENS1_30default_config_static_selectorELNS0_4arch9wavefront6targetE1EEEvT1_ ; -- Begin function _ZN7rocprim17ROCPRIM_400000_NS6detail17trampoline_kernelINS0_14default_configENS1_20scan_config_selectorIiEEZZNS1_9scan_implILNS1_25lookback_scan_determinismE0ELb0ELb0ES3_N6thrust23THRUST_200600_302600_NS6detail15normal_iteratorINS9_10device_ptrIiEEEENS9_16discard_iteratorINS9_11use_defaultEEEi11max_functorIiEiEEDaPvRmT3_T4_T5_mT6_P12ihipStream_tbENKUlT_T0_E_clISt17integral_constantIbLb0EESW_IbLb1EEEEDaSS_ST_EUlSS_E_NS1_11comp_targetILNS1_3genE8ELNS1_11target_archE1030ELNS1_3gpuE2ELNS1_3repE0EEENS1_30default_config_static_selectorELNS0_4arch9wavefront6targetE1EEEvT1_
	.globl	_ZN7rocprim17ROCPRIM_400000_NS6detail17trampoline_kernelINS0_14default_configENS1_20scan_config_selectorIiEEZZNS1_9scan_implILNS1_25lookback_scan_determinismE0ELb0ELb0ES3_N6thrust23THRUST_200600_302600_NS6detail15normal_iteratorINS9_10device_ptrIiEEEENS9_16discard_iteratorINS9_11use_defaultEEEi11max_functorIiEiEEDaPvRmT3_T4_T5_mT6_P12ihipStream_tbENKUlT_T0_E_clISt17integral_constantIbLb0EESW_IbLb1EEEEDaSS_ST_EUlSS_E_NS1_11comp_targetILNS1_3genE8ELNS1_11target_archE1030ELNS1_3gpuE2ELNS1_3repE0EEENS1_30default_config_static_selectorELNS0_4arch9wavefront6targetE1EEEvT1_
	.p2align	8
	.type	_ZN7rocprim17ROCPRIM_400000_NS6detail17trampoline_kernelINS0_14default_configENS1_20scan_config_selectorIiEEZZNS1_9scan_implILNS1_25lookback_scan_determinismE0ELb0ELb0ES3_N6thrust23THRUST_200600_302600_NS6detail15normal_iteratorINS9_10device_ptrIiEEEENS9_16discard_iteratorINS9_11use_defaultEEEi11max_functorIiEiEEDaPvRmT3_T4_T5_mT6_P12ihipStream_tbENKUlT_T0_E_clISt17integral_constantIbLb0EESW_IbLb1EEEEDaSS_ST_EUlSS_E_NS1_11comp_targetILNS1_3genE8ELNS1_11target_archE1030ELNS1_3gpuE2ELNS1_3repE0EEENS1_30default_config_static_selectorELNS0_4arch9wavefront6targetE1EEEvT1_,@function
_ZN7rocprim17ROCPRIM_400000_NS6detail17trampoline_kernelINS0_14default_configENS1_20scan_config_selectorIiEEZZNS1_9scan_implILNS1_25lookback_scan_determinismE0ELb0ELb0ES3_N6thrust23THRUST_200600_302600_NS6detail15normal_iteratorINS9_10device_ptrIiEEEENS9_16discard_iteratorINS9_11use_defaultEEEi11max_functorIiEiEEDaPvRmT3_T4_T5_mT6_P12ihipStream_tbENKUlT_T0_E_clISt17integral_constantIbLb0EESW_IbLb1EEEEDaSS_ST_EUlSS_E_NS1_11comp_targetILNS1_3genE8ELNS1_11target_archE1030ELNS1_3gpuE2ELNS1_3repE0EEENS1_30default_config_static_selectorELNS0_4arch9wavefront6targetE1EEEvT1_: ; @_ZN7rocprim17ROCPRIM_400000_NS6detail17trampoline_kernelINS0_14default_configENS1_20scan_config_selectorIiEEZZNS1_9scan_implILNS1_25lookback_scan_determinismE0ELb0ELb0ES3_N6thrust23THRUST_200600_302600_NS6detail15normal_iteratorINS9_10device_ptrIiEEEENS9_16discard_iteratorINS9_11use_defaultEEEi11max_functorIiEiEEDaPvRmT3_T4_T5_mT6_P12ihipStream_tbENKUlT_T0_E_clISt17integral_constantIbLb0EESW_IbLb1EEEEDaSS_ST_EUlSS_E_NS1_11comp_targetILNS1_3genE8ELNS1_11target_archE1030ELNS1_3gpuE2ELNS1_3repE0EEENS1_30default_config_static_selectorELNS0_4arch9wavefront6targetE1EEEvT1_
; %bb.0:
	.section	.rodata,"a",@progbits
	.p2align	6, 0x0
	.amdhsa_kernel _ZN7rocprim17ROCPRIM_400000_NS6detail17trampoline_kernelINS0_14default_configENS1_20scan_config_selectorIiEEZZNS1_9scan_implILNS1_25lookback_scan_determinismE0ELb0ELb0ES3_N6thrust23THRUST_200600_302600_NS6detail15normal_iteratorINS9_10device_ptrIiEEEENS9_16discard_iteratorINS9_11use_defaultEEEi11max_functorIiEiEEDaPvRmT3_T4_T5_mT6_P12ihipStream_tbENKUlT_T0_E_clISt17integral_constantIbLb0EESW_IbLb1EEEEDaSS_ST_EUlSS_E_NS1_11comp_targetILNS1_3genE8ELNS1_11target_archE1030ELNS1_3gpuE2ELNS1_3repE0EEENS1_30default_config_static_selectorELNS0_4arch9wavefront6targetE1EEEvT1_
		.amdhsa_group_segment_fixed_size 0
		.amdhsa_private_segment_fixed_size 0
		.amdhsa_kernarg_size 104
		.amdhsa_user_sgpr_count 6
		.amdhsa_user_sgpr_private_segment_buffer 1
		.amdhsa_user_sgpr_dispatch_ptr 0
		.amdhsa_user_sgpr_queue_ptr 0
		.amdhsa_user_sgpr_kernarg_segment_ptr 1
		.amdhsa_user_sgpr_dispatch_id 0
		.amdhsa_user_sgpr_flat_scratch_init 0
		.amdhsa_user_sgpr_kernarg_preload_length 0
		.amdhsa_user_sgpr_kernarg_preload_offset 0
		.amdhsa_user_sgpr_private_segment_size 0
		.amdhsa_uses_dynamic_stack 0
		.amdhsa_system_sgpr_private_segment_wavefront_offset 0
		.amdhsa_system_sgpr_workgroup_id_x 1
		.amdhsa_system_sgpr_workgroup_id_y 0
		.amdhsa_system_sgpr_workgroup_id_z 0
		.amdhsa_system_sgpr_workgroup_info 0
		.amdhsa_system_vgpr_workitem_id 0
		.amdhsa_next_free_vgpr 1
		.amdhsa_next_free_sgpr 0
		.amdhsa_accum_offset 4
		.amdhsa_reserve_vcc 0
		.amdhsa_reserve_flat_scratch 0
		.amdhsa_float_round_mode_32 0
		.amdhsa_float_round_mode_16_64 0
		.amdhsa_float_denorm_mode_32 3
		.amdhsa_float_denorm_mode_16_64 3
		.amdhsa_dx10_clamp 1
		.amdhsa_ieee_mode 1
		.amdhsa_fp16_overflow 0
		.amdhsa_tg_split 0
		.amdhsa_exception_fp_ieee_invalid_op 0
		.amdhsa_exception_fp_denorm_src 0
		.amdhsa_exception_fp_ieee_div_zero 0
		.amdhsa_exception_fp_ieee_overflow 0
		.amdhsa_exception_fp_ieee_underflow 0
		.amdhsa_exception_fp_ieee_inexact 0
		.amdhsa_exception_int_div_zero 0
	.end_amdhsa_kernel
	.section	.text._ZN7rocprim17ROCPRIM_400000_NS6detail17trampoline_kernelINS0_14default_configENS1_20scan_config_selectorIiEEZZNS1_9scan_implILNS1_25lookback_scan_determinismE0ELb0ELb0ES3_N6thrust23THRUST_200600_302600_NS6detail15normal_iteratorINS9_10device_ptrIiEEEENS9_16discard_iteratorINS9_11use_defaultEEEi11max_functorIiEiEEDaPvRmT3_T4_T5_mT6_P12ihipStream_tbENKUlT_T0_E_clISt17integral_constantIbLb0EESW_IbLb1EEEEDaSS_ST_EUlSS_E_NS1_11comp_targetILNS1_3genE8ELNS1_11target_archE1030ELNS1_3gpuE2ELNS1_3repE0EEENS1_30default_config_static_selectorELNS0_4arch9wavefront6targetE1EEEvT1_,"axG",@progbits,_ZN7rocprim17ROCPRIM_400000_NS6detail17trampoline_kernelINS0_14default_configENS1_20scan_config_selectorIiEEZZNS1_9scan_implILNS1_25lookback_scan_determinismE0ELb0ELb0ES3_N6thrust23THRUST_200600_302600_NS6detail15normal_iteratorINS9_10device_ptrIiEEEENS9_16discard_iteratorINS9_11use_defaultEEEi11max_functorIiEiEEDaPvRmT3_T4_T5_mT6_P12ihipStream_tbENKUlT_T0_E_clISt17integral_constantIbLb0EESW_IbLb1EEEEDaSS_ST_EUlSS_E_NS1_11comp_targetILNS1_3genE8ELNS1_11target_archE1030ELNS1_3gpuE2ELNS1_3repE0EEENS1_30default_config_static_selectorELNS0_4arch9wavefront6targetE1EEEvT1_,comdat
.Lfunc_end3916:
	.size	_ZN7rocprim17ROCPRIM_400000_NS6detail17trampoline_kernelINS0_14default_configENS1_20scan_config_selectorIiEEZZNS1_9scan_implILNS1_25lookback_scan_determinismE0ELb0ELb0ES3_N6thrust23THRUST_200600_302600_NS6detail15normal_iteratorINS9_10device_ptrIiEEEENS9_16discard_iteratorINS9_11use_defaultEEEi11max_functorIiEiEEDaPvRmT3_T4_T5_mT6_P12ihipStream_tbENKUlT_T0_E_clISt17integral_constantIbLb0EESW_IbLb1EEEEDaSS_ST_EUlSS_E_NS1_11comp_targetILNS1_3genE8ELNS1_11target_archE1030ELNS1_3gpuE2ELNS1_3repE0EEENS1_30default_config_static_selectorELNS0_4arch9wavefront6targetE1EEEvT1_, .Lfunc_end3916-_ZN7rocprim17ROCPRIM_400000_NS6detail17trampoline_kernelINS0_14default_configENS1_20scan_config_selectorIiEEZZNS1_9scan_implILNS1_25lookback_scan_determinismE0ELb0ELb0ES3_N6thrust23THRUST_200600_302600_NS6detail15normal_iteratorINS9_10device_ptrIiEEEENS9_16discard_iteratorINS9_11use_defaultEEEi11max_functorIiEiEEDaPvRmT3_T4_T5_mT6_P12ihipStream_tbENKUlT_T0_E_clISt17integral_constantIbLb0EESW_IbLb1EEEEDaSS_ST_EUlSS_E_NS1_11comp_targetILNS1_3genE8ELNS1_11target_archE1030ELNS1_3gpuE2ELNS1_3repE0EEENS1_30default_config_static_selectorELNS0_4arch9wavefront6targetE1EEEvT1_
                                        ; -- End function
	.section	.AMDGPU.csdata,"",@progbits
; Kernel info:
; codeLenInByte = 0
; NumSgprs: 4
; NumVgprs: 0
; NumAgprs: 0
; TotalNumVgprs: 0
; ScratchSize: 0
; MemoryBound: 0
; FloatMode: 240
; IeeeMode: 1
; LDSByteSize: 0 bytes/workgroup (compile time only)
; SGPRBlocks: 0
; VGPRBlocks: 0
; NumSGPRsForWavesPerEU: 4
; NumVGPRsForWavesPerEU: 1
; AccumOffset: 4
; Occupancy: 8
; WaveLimiterHint : 0
; COMPUTE_PGM_RSRC2:SCRATCH_EN: 0
; COMPUTE_PGM_RSRC2:USER_SGPR: 6
; COMPUTE_PGM_RSRC2:TRAP_HANDLER: 0
; COMPUTE_PGM_RSRC2:TGID_X_EN: 1
; COMPUTE_PGM_RSRC2:TGID_Y_EN: 0
; COMPUTE_PGM_RSRC2:TGID_Z_EN: 0
; COMPUTE_PGM_RSRC2:TIDIG_COMP_CNT: 0
; COMPUTE_PGM_RSRC3_GFX90A:ACCUM_OFFSET: 0
; COMPUTE_PGM_RSRC3_GFX90A:TG_SPLIT: 0
	.section	.text._ZN7rocprim17ROCPRIM_400000_NS6detail17trampoline_kernelINS0_14default_configENS1_20scan_config_selectorIiEEZZNS1_9scan_implILNS1_25lookback_scan_determinismE0ELb0ELb0ES3_N6thrust23THRUST_200600_302600_NS6detail15normal_iteratorINS9_10device_ptrIiEEEENS9_16discard_iteratorINS9_11use_defaultEEEi11max_functorIiEiEEDaPvRmT3_T4_T5_mT6_P12ihipStream_tbENKUlT_T0_E_clISt17integral_constantIbLb0EESW_IbLb1EEEEDaSS_ST_EUlSS_E0_NS1_11comp_targetILNS1_3genE0ELNS1_11target_archE4294967295ELNS1_3gpuE0ELNS1_3repE0EEENS1_30default_config_static_selectorELNS0_4arch9wavefront6targetE1EEEvT1_,"axG",@progbits,_ZN7rocprim17ROCPRIM_400000_NS6detail17trampoline_kernelINS0_14default_configENS1_20scan_config_selectorIiEEZZNS1_9scan_implILNS1_25lookback_scan_determinismE0ELb0ELb0ES3_N6thrust23THRUST_200600_302600_NS6detail15normal_iteratorINS9_10device_ptrIiEEEENS9_16discard_iteratorINS9_11use_defaultEEEi11max_functorIiEiEEDaPvRmT3_T4_T5_mT6_P12ihipStream_tbENKUlT_T0_E_clISt17integral_constantIbLb0EESW_IbLb1EEEEDaSS_ST_EUlSS_E0_NS1_11comp_targetILNS1_3genE0ELNS1_11target_archE4294967295ELNS1_3gpuE0ELNS1_3repE0EEENS1_30default_config_static_selectorELNS0_4arch9wavefront6targetE1EEEvT1_,comdat
	.protected	_ZN7rocprim17ROCPRIM_400000_NS6detail17trampoline_kernelINS0_14default_configENS1_20scan_config_selectorIiEEZZNS1_9scan_implILNS1_25lookback_scan_determinismE0ELb0ELb0ES3_N6thrust23THRUST_200600_302600_NS6detail15normal_iteratorINS9_10device_ptrIiEEEENS9_16discard_iteratorINS9_11use_defaultEEEi11max_functorIiEiEEDaPvRmT3_T4_T5_mT6_P12ihipStream_tbENKUlT_T0_E_clISt17integral_constantIbLb0EESW_IbLb1EEEEDaSS_ST_EUlSS_E0_NS1_11comp_targetILNS1_3genE0ELNS1_11target_archE4294967295ELNS1_3gpuE0ELNS1_3repE0EEENS1_30default_config_static_selectorELNS0_4arch9wavefront6targetE1EEEvT1_ ; -- Begin function _ZN7rocprim17ROCPRIM_400000_NS6detail17trampoline_kernelINS0_14default_configENS1_20scan_config_selectorIiEEZZNS1_9scan_implILNS1_25lookback_scan_determinismE0ELb0ELb0ES3_N6thrust23THRUST_200600_302600_NS6detail15normal_iteratorINS9_10device_ptrIiEEEENS9_16discard_iteratorINS9_11use_defaultEEEi11max_functorIiEiEEDaPvRmT3_T4_T5_mT6_P12ihipStream_tbENKUlT_T0_E_clISt17integral_constantIbLb0EESW_IbLb1EEEEDaSS_ST_EUlSS_E0_NS1_11comp_targetILNS1_3genE0ELNS1_11target_archE4294967295ELNS1_3gpuE0ELNS1_3repE0EEENS1_30default_config_static_selectorELNS0_4arch9wavefront6targetE1EEEvT1_
	.globl	_ZN7rocprim17ROCPRIM_400000_NS6detail17trampoline_kernelINS0_14default_configENS1_20scan_config_selectorIiEEZZNS1_9scan_implILNS1_25lookback_scan_determinismE0ELb0ELb0ES3_N6thrust23THRUST_200600_302600_NS6detail15normal_iteratorINS9_10device_ptrIiEEEENS9_16discard_iteratorINS9_11use_defaultEEEi11max_functorIiEiEEDaPvRmT3_T4_T5_mT6_P12ihipStream_tbENKUlT_T0_E_clISt17integral_constantIbLb0EESW_IbLb1EEEEDaSS_ST_EUlSS_E0_NS1_11comp_targetILNS1_3genE0ELNS1_11target_archE4294967295ELNS1_3gpuE0ELNS1_3repE0EEENS1_30default_config_static_selectorELNS0_4arch9wavefront6targetE1EEEvT1_
	.p2align	8
	.type	_ZN7rocprim17ROCPRIM_400000_NS6detail17trampoline_kernelINS0_14default_configENS1_20scan_config_selectorIiEEZZNS1_9scan_implILNS1_25lookback_scan_determinismE0ELb0ELb0ES3_N6thrust23THRUST_200600_302600_NS6detail15normal_iteratorINS9_10device_ptrIiEEEENS9_16discard_iteratorINS9_11use_defaultEEEi11max_functorIiEiEEDaPvRmT3_T4_T5_mT6_P12ihipStream_tbENKUlT_T0_E_clISt17integral_constantIbLb0EESW_IbLb1EEEEDaSS_ST_EUlSS_E0_NS1_11comp_targetILNS1_3genE0ELNS1_11target_archE4294967295ELNS1_3gpuE0ELNS1_3repE0EEENS1_30default_config_static_selectorELNS0_4arch9wavefront6targetE1EEEvT1_,@function
_ZN7rocprim17ROCPRIM_400000_NS6detail17trampoline_kernelINS0_14default_configENS1_20scan_config_selectorIiEEZZNS1_9scan_implILNS1_25lookback_scan_determinismE0ELb0ELb0ES3_N6thrust23THRUST_200600_302600_NS6detail15normal_iteratorINS9_10device_ptrIiEEEENS9_16discard_iteratorINS9_11use_defaultEEEi11max_functorIiEiEEDaPvRmT3_T4_T5_mT6_P12ihipStream_tbENKUlT_T0_E_clISt17integral_constantIbLb0EESW_IbLb1EEEEDaSS_ST_EUlSS_E0_NS1_11comp_targetILNS1_3genE0ELNS1_11target_archE4294967295ELNS1_3gpuE0ELNS1_3repE0EEENS1_30default_config_static_selectorELNS0_4arch9wavefront6targetE1EEEvT1_: ; @_ZN7rocprim17ROCPRIM_400000_NS6detail17trampoline_kernelINS0_14default_configENS1_20scan_config_selectorIiEEZZNS1_9scan_implILNS1_25lookback_scan_determinismE0ELb0ELb0ES3_N6thrust23THRUST_200600_302600_NS6detail15normal_iteratorINS9_10device_ptrIiEEEENS9_16discard_iteratorINS9_11use_defaultEEEi11max_functorIiEiEEDaPvRmT3_T4_T5_mT6_P12ihipStream_tbENKUlT_T0_E_clISt17integral_constantIbLb0EESW_IbLb1EEEEDaSS_ST_EUlSS_E0_NS1_11comp_targetILNS1_3genE0ELNS1_11target_archE4294967295ELNS1_3gpuE0ELNS1_3repE0EEENS1_30default_config_static_selectorELNS0_4arch9wavefront6targetE1EEEvT1_
; %bb.0:
	.section	.rodata,"a",@progbits
	.p2align	6, 0x0
	.amdhsa_kernel _ZN7rocprim17ROCPRIM_400000_NS6detail17trampoline_kernelINS0_14default_configENS1_20scan_config_selectorIiEEZZNS1_9scan_implILNS1_25lookback_scan_determinismE0ELb0ELb0ES3_N6thrust23THRUST_200600_302600_NS6detail15normal_iteratorINS9_10device_ptrIiEEEENS9_16discard_iteratorINS9_11use_defaultEEEi11max_functorIiEiEEDaPvRmT3_T4_T5_mT6_P12ihipStream_tbENKUlT_T0_E_clISt17integral_constantIbLb0EESW_IbLb1EEEEDaSS_ST_EUlSS_E0_NS1_11comp_targetILNS1_3genE0ELNS1_11target_archE4294967295ELNS1_3gpuE0ELNS1_3repE0EEENS1_30default_config_static_selectorELNS0_4arch9wavefront6targetE1EEEvT1_
		.amdhsa_group_segment_fixed_size 0
		.amdhsa_private_segment_fixed_size 0
		.amdhsa_kernarg_size 40
		.amdhsa_user_sgpr_count 6
		.amdhsa_user_sgpr_private_segment_buffer 1
		.amdhsa_user_sgpr_dispatch_ptr 0
		.amdhsa_user_sgpr_queue_ptr 0
		.amdhsa_user_sgpr_kernarg_segment_ptr 1
		.amdhsa_user_sgpr_dispatch_id 0
		.amdhsa_user_sgpr_flat_scratch_init 0
		.amdhsa_user_sgpr_kernarg_preload_length 0
		.amdhsa_user_sgpr_kernarg_preload_offset 0
		.amdhsa_user_sgpr_private_segment_size 0
		.amdhsa_uses_dynamic_stack 0
		.amdhsa_system_sgpr_private_segment_wavefront_offset 0
		.amdhsa_system_sgpr_workgroup_id_x 1
		.amdhsa_system_sgpr_workgroup_id_y 0
		.amdhsa_system_sgpr_workgroup_id_z 0
		.amdhsa_system_sgpr_workgroup_info 0
		.amdhsa_system_vgpr_workitem_id 0
		.amdhsa_next_free_vgpr 1
		.amdhsa_next_free_sgpr 0
		.amdhsa_accum_offset 4
		.amdhsa_reserve_vcc 0
		.amdhsa_reserve_flat_scratch 0
		.amdhsa_float_round_mode_32 0
		.amdhsa_float_round_mode_16_64 0
		.amdhsa_float_denorm_mode_32 3
		.amdhsa_float_denorm_mode_16_64 3
		.amdhsa_dx10_clamp 1
		.amdhsa_ieee_mode 1
		.amdhsa_fp16_overflow 0
		.amdhsa_tg_split 0
		.amdhsa_exception_fp_ieee_invalid_op 0
		.amdhsa_exception_fp_denorm_src 0
		.amdhsa_exception_fp_ieee_div_zero 0
		.amdhsa_exception_fp_ieee_overflow 0
		.amdhsa_exception_fp_ieee_underflow 0
		.amdhsa_exception_fp_ieee_inexact 0
		.amdhsa_exception_int_div_zero 0
	.end_amdhsa_kernel
	.section	.text._ZN7rocprim17ROCPRIM_400000_NS6detail17trampoline_kernelINS0_14default_configENS1_20scan_config_selectorIiEEZZNS1_9scan_implILNS1_25lookback_scan_determinismE0ELb0ELb0ES3_N6thrust23THRUST_200600_302600_NS6detail15normal_iteratorINS9_10device_ptrIiEEEENS9_16discard_iteratorINS9_11use_defaultEEEi11max_functorIiEiEEDaPvRmT3_T4_T5_mT6_P12ihipStream_tbENKUlT_T0_E_clISt17integral_constantIbLb0EESW_IbLb1EEEEDaSS_ST_EUlSS_E0_NS1_11comp_targetILNS1_3genE0ELNS1_11target_archE4294967295ELNS1_3gpuE0ELNS1_3repE0EEENS1_30default_config_static_selectorELNS0_4arch9wavefront6targetE1EEEvT1_,"axG",@progbits,_ZN7rocprim17ROCPRIM_400000_NS6detail17trampoline_kernelINS0_14default_configENS1_20scan_config_selectorIiEEZZNS1_9scan_implILNS1_25lookback_scan_determinismE0ELb0ELb0ES3_N6thrust23THRUST_200600_302600_NS6detail15normal_iteratorINS9_10device_ptrIiEEEENS9_16discard_iteratorINS9_11use_defaultEEEi11max_functorIiEiEEDaPvRmT3_T4_T5_mT6_P12ihipStream_tbENKUlT_T0_E_clISt17integral_constantIbLb0EESW_IbLb1EEEEDaSS_ST_EUlSS_E0_NS1_11comp_targetILNS1_3genE0ELNS1_11target_archE4294967295ELNS1_3gpuE0ELNS1_3repE0EEENS1_30default_config_static_selectorELNS0_4arch9wavefront6targetE1EEEvT1_,comdat
.Lfunc_end3917:
	.size	_ZN7rocprim17ROCPRIM_400000_NS6detail17trampoline_kernelINS0_14default_configENS1_20scan_config_selectorIiEEZZNS1_9scan_implILNS1_25lookback_scan_determinismE0ELb0ELb0ES3_N6thrust23THRUST_200600_302600_NS6detail15normal_iteratorINS9_10device_ptrIiEEEENS9_16discard_iteratorINS9_11use_defaultEEEi11max_functorIiEiEEDaPvRmT3_T4_T5_mT6_P12ihipStream_tbENKUlT_T0_E_clISt17integral_constantIbLb0EESW_IbLb1EEEEDaSS_ST_EUlSS_E0_NS1_11comp_targetILNS1_3genE0ELNS1_11target_archE4294967295ELNS1_3gpuE0ELNS1_3repE0EEENS1_30default_config_static_selectorELNS0_4arch9wavefront6targetE1EEEvT1_, .Lfunc_end3917-_ZN7rocprim17ROCPRIM_400000_NS6detail17trampoline_kernelINS0_14default_configENS1_20scan_config_selectorIiEEZZNS1_9scan_implILNS1_25lookback_scan_determinismE0ELb0ELb0ES3_N6thrust23THRUST_200600_302600_NS6detail15normal_iteratorINS9_10device_ptrIiEEEENS9_16discard_iteratorINS9_11use_defaultEEEi11max_functorIiEiEEDaPvRmT3_T4_T5_mT6_P12ihipStream_tbENKUlT_T0_E_clISt17integral_constantIbLb0EESW_IbLb1EEEEDaSS_ST_EUlSS_E0_NS1_11comp_targetILNS1_3genE0ELNS1_11target_archE4294967295ELNS1_3gpuE0ELNS1_3repE0EEENS1_30default_config_static_selectorELNS0_4arch9wavefront6targetE1EEEvT1_
                                        ; -- End function
	.section	.AMDGPU.csdata,"",@progbits
; Kernel info:
; codeLenInByte = 0
; NumSgprs: 4
; NumVgprs: 0
; NumAgprs: 0
; TotalNumVgprs: 0
; ScratchSize: 0
; MemoryBound: 0
; FloatMode: 240
; IeeeMode: 1
; LDSByteSize: 0 bytes/workgroup (compile time only)
; SGPRBlocks: 0
; VGPRBlocks: 0
; NumSGPRsForWavesPerEU: 4
; NumVGPRsForWavesPerEU: 1
; AccumOffset: 4
; Occupancy: 8
; WaveLimiterHint : 0
; COMPUTE_PGM_RSRC2:SCRATCH_EN: 0
; COMPUTE_PGM_RSRC2:USER_SGPR: 6
; COMPUTE_PGM_RSRC2:TRAP_HANDLER: 0
; COMPUTE_PGM_RSRC2:TGID_X_EN: 1
; COMPUTE_PGM_RSRC2:TGID_Y_EN: 0
; COMPUTE_PGM_RSRC2:TGID_Z_EN: 0
; COMPUTE_PGM_RSRC2:TIDIG_COMP_CNT: 0
; COMPUTE_PGM_RSRC3_GFX90A:ACCUM_OFFSET: 0
; COMPUTE_PGM_RSRC3_GFX90A:TG_SPLIT: 0
	.section	.text._ZN7rocprim17ROCPRIM_400000_NS6detail17trampoline_kernelINS0_14default_configENS1_20scan_config_selectorIiEEZZNS1_9scan_implILNS1_25lookback_scan_determinismE0ELb0ELb0ES3_N6thrust23THRUST_200600_302600_NS6detail15normal_iteratorINS9_10device_ptrIiEEEENS9_16discard_iteratorINS9_11use_defaultEEEi11max_functorIiEiEEDaPvRmT3_T4_T5_mT6_P12ihipStream_tbENKUlT_T0_E_clISt17integral_constantIbLb0EESW_IbLb1EEEEDaSS_ST_EUlSS_E0_NS1_11comp_targetILNS1_3genE5ELNS1_11target_archE942ELNS1_3gpuE9ELNS1_3repE0EEENS1_30default_config_static_selectorELNS0_4arch9wavefront6targetE1EEEvT1_,"axG",@progbits,_ZN7rocprim17ROCPRIM_400000_NS6detail17trampoline_kernelINS0_14default_configENS1_20scan_config_selectorIiEEZZNS1_9scan_implILNS1_25lookback_scan_determinismE0ELb0ELb0ES3_N6thrust23THRUST_200600_302600_NS6detail15normal_iteratorINS9_10device_ptrIiEEEENS9_16discard_iteratorINS9_11use_defaultEEEi11max_functorIiEiEEDaPvRmT3_T4_T5_mT6_P12ihipStream_tbENKUlT_T0_E_clISt17integral_constantIbLb0EESW_IbLb1EEEEDaSS_ST_EUlSS_E0_NS1_11comp_targetILNS1_3genE5ELNS1_11target_archE942ELNS1_3gpuE9ELNS1_3repE0EEENS1_30default_config_static_selectorELNS0_4arch9wavefront6targetE1EEEvT1_,comdat
	.protected	_ZN7rocprim17ROCPRIM_400000_NS6detail17trampoline_kernelINS0_14default_configENS1_20scan_config_selectorIiEEZZNS1_9scan_implILNS1_25lookback_scan_determinismE0ELb0ELb0ES3_N6thrust23THRUST_200600_302600_NS6detail15normal_iteratorINS9_10device_ptrIiEEEENS9_16discard_iteratorINS9_11use_defaultEEEi11max_functorIiEiEEDaPvRmT3_T4_T5_mT6_P12ihipStream_tbENKUlT_T0_E_clISt17integral_constantIbLb0EESW_IbLb1EEEEDaSS_ST_EUlSS_E0_NS1_11comp_targetILNS1_3genE5ELNS1_11target_archE942ELNS1_3gpuE9ELNS1_3repE0EEENS1_30default_config_static_selectorELNS0_4arch9wavefront6targetE1EEEvT1_ ; -- Begin function _ZN7rocprim17ROCPRIM_400000_NS6detail17trampoline_kernelINS0_14default_configENS1_20scan_config_selectorIiEEZZNS1_9scan_implILNS1_25lookback_scan_determinismE0ELb0ELb0ES3_N6thrust23THRUST_200600_302600_NS6detail15normal_iteratorINS9_10device_ptrIiEEEENS9_16discard_iteratorINS9_11use_defaultEEEi11max_functorIiEiEEDaPvRmT3_T4_T5_mT6_P12ihipStream_tbENKUlT_T0_E_clISt17integral_constantIbLb0EESW_IbLb1EEEEDaSS_ST_EUlSS_E0_NS1_11comp_targetILNS1_3genE5ELNS1_11target_archE942ELNS1_3gpuE9ELNS1_3repE0EEENS1_30default_config_static_selectorELNS0_4arch9wavefront6targetE1EEEvT1_
	.globl	_ZN7rocprim17ROCPRIM_400000_NS6detail17trampoline_kernelINS0_14default_configENS1_20scan_config_selectorIiEEZZNS1_9scan_implILNS1_25lookback_scan_determinismE0ELb0ELb0ES3_N6thrust23THRUST_200600_302600_NS6detail15normal_iteratorINS9_10device_ptrIiEEEENS9_16discard_iteratorINS9_11use_defaultEEEi11max_functorIiEiEEDaPvRmT3_T4_T5_mT6_P12ihipStream_tbENKUlT_T0_E_clISt17integral_constantIbLb0EESW_IbLb1EEEEDaSS_ST_EUlSS_E0_NS1_11comp_targetILNS1_3genE5ELNS1_11target_archE942ELNS1_3gpuE9ELNS1_3repE0EEENS1_30default_config_static_selectorELNS0_4arch9wavefront6targetE1EEEvT1_
	.p2align	8
	.type	_ZN7rocprim17ROCPRIM_400000_NS6detail17trampoline_kernelINS0_14default_configENS1_20scan_config_selectorIiEEZZNS1_9scan_implILNS1_25lookback_scan_determinismE0ELb0ELb0ES3_N6thrust23THRUST_200600_302600_NS6detail15normal_iteratorINS9_10device_ptrIiEEEENS9_16discard_iteratorINS9_11use_defaultEEEi11max_functorIiEiEEDaPvRmT3_T4_T5_mT6_P12ihipStream_tbENKUlT_T0_E_clISt17integral_constantIbLb0EESW_IbLb1EEEEDaSS_ST_EUlSS_E0_NS1_11comp_targetILNS1_3genE5ELNS1_11target_archE942ELNS1_3gpuE9ELNS1_3repE0EEENS1_30default_config_static_selectorELNS0_4arch9wavefront6targetE1EEEvT1_,@function
_ZN7rocprim17ROCPRIM_400000_NS6detail17trampoline_kernelINS0_14default_configENS1_20scan_config_selectorIiEEZZNS1_9scan_implILNS1_25lookback_scan_determinismE0ELb0ELb0ES3_N6thrust23THRUST_200600_302600_NS6detail15normal_iteratorINS9_10device_ptrIiEEEENS9_16discard_iteratorINS9_11use_defaultEEEi11max_functorIiEiEEDaPvRmT3_T4_T5_mT6_P12ihipStream_tbENKUlT_T0_E_clISt17integral_constantIbLb0EESW_IbLb1EEEEDaSS_ST_EUlSS_E0_NS1_11comp_targetILNS1_3genE5ELNS1_11target_archE942ELNS1_3gpuE9ELNS1_3repE0EEENS1_30default_config_static_selectorELNS0_4arch9wavefront6targetE1EEEvT1_: ; @_ZN7rocprim17ROCPRIM_400000_NS6detail17trampoline_kernelINS0_14default_configENS1_20scan_config_selectorIiEEZZNS1_9scan_implILNS1_25lookback_scan_determinismE0ELb0ELb0ES3_N6thrust23THRUST_200600_302600_NS6detail15normal_iteratorINS9_10device_ptrIiEEEENS9_16discard_iteratorINS9_11use_defaultEEEi11max_functorIiEiEEDaPvRmT3_T4_T5_mT6_P12ihipStream_tbENKUlT_T0_E_clISt17integral_constantIbLb0EESW_IbLb1EEEEDaSS_ST_EUlSS_E0_NS1_11comp_targetILNS1_3genE5ELNS1_11target_archE942ELNS1_3gpuE9ELNS1_3repE0EEENS1_30default_config_static_selectorELNS0_4arch9wavefront6targetE1EEEvT1_
; %bb.0:
	.section	.rodata,"a",@progbits
	.p2align	6, 0x0
	.amdhsa_kernel _ZN7rocprim17ROCPRIM_400000_NS6detail17trampoline_kernelINS0_14default_configENS1_20scan_config_selectorIiEEZZNS1_9scan_implILNS1_25lookback_scan_determinismE0ELb0ELb0ES3_N6thrust23THRUST_200600_302600_NS6detail15normal_iteratorINS9_10device_ptrIiEEEENS9_16discard_iteratorINS9_11use_defaultEEEi11max_functorIiEiEEDaPvRmT3_T4_T5_mT6_P12ihipStream_tbENKUlT_T0_E_clISt17integral_constantIbLb0EESW_IbLb1EEEEDaSS_ST_EUlSS_E0_NS1_11comp_targetILNS1_3genE5ELNS1_11target_archE942ELNS1_3gpuE9ELNS1_3repE0EEENS1_30default_config_static_selectorELNS0_4arch9wavefront6targetE1EEEvT1_
		.amdhsa_group_segment_fixed_size 0
		.amdhsa_private_segment_fixed_size 0
		.amdhsa_kernarg_size 40
		.amdhsa_user_sgpr_count 6
		.amdhsa_user_sgpr_private_segment_buffer 1
		.amdhsa_user_sgpr_dispatch_ptr 0
		.amdhsa_user_sgpr_queue_ptr 0
		.amdhsa_user_sgpr_kernarg_segment_ptr 1
		.amdhsa_user_sgpr_dispatch_id 0
		.amdhsa_user_sgpr_flat_scratch_init 0
		.amdhsa_user_sgpr_kernarg_preload_length 0
		.amdhsa_user_sgpr_kernarg_preload_offset 0
		.amdhsa_user_sgpr_private_segment_size 0
		.amdhsa_uses_dynamic_stack 0
		.amdhsa_system_sgpr_private_segment_wavefront_offset 0
		.amdhsa_system_sgpr_workgroup_id_x 1
		.amdhsa_system_sgpr_workgroup_id_y 0
		.amdhsa_system_sgpr_workgroup_id_z 0
		.amdhsa_system_sgpr_workgroup_info 0
		.amdhsa_system_vgpr_workitem_id 0
		.amdhsa_next_free_vgpr 1
		.amdhsa_next_free_sgpr 0
		.amdhsa_accum_offset 4
		.amdhsa_reserve_vcc 0
		.amdhsa_reserve_flat_scratch 0
		.amdhsa_float_round_mode_32 0
		.amdhsa_float_round_mode_16_64 0
		.amdhsa_float_denorm_mode_32 3
		.amdhsa_float_denorm_mode_16_64 3
		.amdhsa_dx10_clamp 1
		.amdhsa_ieee_mode 1
		.amdhsa_fp16_overflow 0
		.amdhsa_tg_split 0
		.amdhsa_exception_fp_ieee_invalid_op 0
		.amdhsa_exception_fp_denorm_src 0
		.amdhsa_exception_fp_ieee_div_zero 0
		.amdhsa_exception_fp_ieee_overflow 0
		.amdhsa_exception_fp_ieee_underflow 0
		.amdhsa_exception_fp_ieee_inexact 0
		.amdhsa_exception_int_div_zero 0
	.end_amdhsa_kernel
	.section	.text._ZN7rocprim17ROCPRIM_400000_NS6detail17trampoline_kernelINS0_14default_configENS1_20scan_config_selectorIiEEZZNS1_9scan_implILNS1_25lookback_scan_determinismE0ELb0ELb0ES3_N6thrust23THRUST_200600_302600_NS6detail15normal_iteratorINS9_10device_ptrIiEEEENS9_16discard_iteratorINS9_11use_defaultEEEi11max_functorIiEiEEDaPvRmT3_T4_T5_mT6_P12ihipStream_tbENKUlT_T0_E_clISt17integral_constantIbLb0EESW_IbLb1EEEEDaSS_ST_EUlSS_E0_NS1_11comp_targetILNS1_3genE5ELNS1_11target_archE942ELNS1_3gpuE9ELNS1_3repE0EEENS1_30default_config_static_selectorELNS0_4arch9wavefront6targetE1EEEvT1_,"axG",@progbits,_ZN7rocprim17ROCPRIM_400000_NS6detail17trampoline_kernelINS0_14default_configENS1_20scan_config_selectorIiEEZZNS1_9scan_implILNS1_25lookback_scan_determinismE0ELb0ELb0ES3_N6thrust23THRUST_200600_302600_NS6detail15normal_iteratorINS9_10device_ptrIiEEEENS9_16discard_iteratorINS9_11use_defaultEEEi11max_functorIiEiEEDaPvRmT3_T4_T5_mT6_P12ihipStream_tbENKUlT_T0_E_clISt17integral_constantIbLb0EESW_IbLb1EEEEDaSS_ST_EUlSS_E0_NS1_11comp_targetILNS1_3genE5ELNS1_11target_archE942ELNS1_3gpuE9ELNS1_3repE0EEENS1_30default_config_static_selectorELNS0_4arch9wavefront6targetE1EEEvT1_,comdat
.Lfunc_end3918:
	.size	_ZN7rocprim17ROCPRIM_400000_NS6detail17trampoline_kernelINS0_14default_configENS1_20scan_config_selectorIiEEZZNS1_9scan_implILNS1_25lookback_scan_determinismE0ELb0ELb0ES3_N6thrust23THRUST_200600_302600_NS6detail15normal_iteratorINS9_10device_ptrIiEEEENS9_16discard_iteratorINS9_11use_defaultEEEi11max_functorIiEiEEDaPvRmT3_T4_T5_mT6_P12ihipStream_tbENKUlT_T0_E_clISt17integral_constantIbLb0EESW_IbLb1EEEEDaSS_ST_EUlSS_E0_NS1_11comp_targetILNS1_3genE5ELNS1_11target_archE942ELNS1_3gpuE9ELNS1_3repE0EEENS1_30default_config_static_selectorELNS0_4arch9wavefront6targetE1EEEvT1_, .Lfunc_end3918-_ZN7rocprim17ROCPRIM_400000_NS6detail17trampoline_kernelINS0_14default_configENS1_20scan_config_selectorIiEEZZNS1_9scan_implILNS1_25lookback_scan_determinismE0ELb0ELb0ES3_N6thrust23THRUST_200600_302600_NS6detail15normal_iteratorINS9_10device_ptrIiEEEENS9_16discard_iteratorINS9_11use_defaultEEEi11max_functorIiEiEEDaPvRmT3_T4_T5_mT6_P12ihipStream_tbENKUlT_T0_E_clISt17integral_constantIbLb0EESW_IbLb1EEEEDaSS_ST_EUlSS_E0_NS1_11comp_targetILNS1_3genE5ELNS1_11target_archE942ELNS1_3gpuE9ELNS1_3repE0EEENS1_30default_config_static_selectorELNS0_4arch9wavefront6targetE1EEEvT1_
                                        ; -- End function
	.section	.AMDGPU.csdata,"",@progbits
; Kernel info:
; codeLenInByte = 0
; NumSgprs: 4
; NumVgprs: 0
; NumAgprs: 0
; TotalNumVgprs: 0
; ScratchSize: 0
; MemoryBound: 0
; FloatMode: 240
; IeeeMode: 1
; LDSByteSize: 0 bytes/workgroup (compile time only)
; SGPRBlocks: 0
; VGPRBlocks: 0
; NumSGPRsForWavesPerEU: 4
; NumVGPRsForWavesPerEU: 1
; AccumOffset: 4
; Occupancy: 8
; WaveLimiterHint : 0
; COMPUTE_PGM_RSRC2:SCRATCH_EN: 0
; COMPUTE_PGM_RSRC2:USER_SGPR: 6
; COMPUTE_PGM_RSRC2:TRAP_HANDLER: 0
; COMPUTE_PGM_RSRC2:TGID_X_EN: 1
; COMPUTE_PGM_RSRC2:TGID_Y_EN: 0
; COMPUTE_PGM_RSRC2:TGID_Z_EN: 0
; COMPUTE_PGM_RSRC2:TIDIG_COMP_CNT: 0
; COMPUTE_PGM_RSRC3_GFX90A:ACCUM_OFFSET: 0
; COMPUTE_PGM_RSRC3_GFX90A:TG_SPLIT: 0
	.section	.text._ZN7rocprim17ROCPRIM_400000_NS6detail17trampoline_kernelINS0_14default_configENS1_20scan_config_selectorIiEEZZNS1_9scan_implILNS1_25lookback_scan_determinismE0ELb0ELb0ES3_N6thrust23THRUST_200600_302600_NS6detail15normal_iteratorINS9_10device_ptrIiEEEENS9_16discard_iteratorINS9_11use_defaultEEEi11max_functorIiEiEEDaPvRmT3_T4_T5_mT6_P12ihipStream_tbENKUlT_T0_E_clISt17integral_constantIbLb0EESW_IbLb1EEEEDaSS_ST_EUlSS_E0_NS1_11comp_targetILNS1_3genE4ELNS1_11target_archE910ELNS1_3gpuE8ELNS1_3repE0EEENS1_30default_config_static_selectorELNS0_4arch9wavefront6targetE1EEEvT1_,"axG",@progbits,_ZN7rocprim17ROCPRIM_400000_NS6detail17trampoline_kernelINS0_14default_configENS1_20scan_config_selectorIiEEZZNS1_9scan_implILNS1_25lookback_scan_determinismE0ELb0ELb0ES3_N6thrust23THRUST_200600_302600_NS6detail15normal_iteratorINS9_10device_ptrIiEEEENS9_16discard_iteratorINS9_11use_defaultEEEi11max_functorIiEiEEDaPvRmT3_T4_T5_mT6_P12ihipStream_tbENKUlT_T0_E_clISt17integral_constantIbLb0EESW_IbLb1EEEEDaSS_ST_EUlSS_E0_NS1_11comp_targetILNS1_3genE4ELNS1_11target_archE910ELNS1_3gpuE8ELNS1_3repE0EEENS1_30default_config_static_selectorELNS0_4arch9wavefront6targetE1EEEvT1_,comdat
	.protected	_ZN7rocprim17ROCPRIM_400000_NS6detail17trampoline_kernelINS0_14default_configENS1_20scan_config_selectorIiEEZZNS1_9scan_implILNS1_25lookback_scan_determinismE0ELb0ELb0ES3_N6thrust23THRUST_200600_302600_NS6detail15normal_iteratorINS9_10device_ptrIiEEEENS9_16discard_iteratorINS9_11use_defaultEEEi11max_functorIiEiEEDaPvRmT3_T4_T5_mT6_P12ihipStream_tbENKUlT_T0_E_clISt17integral_constantIbLb0EESW_IbLb1EEEEDaSS_ST_EUlSS_E0_NS1_11comp_targetILNS1_3genE4ELNS1_11target_archE910ELNS1_3gpuE8ELNS1_3repE0EEENS1_30default_config_static_selectorELNS0_4arch9wavefront6targetE1EEEvT1_ ; -- Begin function _ZN7rocprim17ROCPRIM_400000_NS6detail17trampoline_kernelINS0_14default_configENS1_20scan_config_selectorIiEEZZNS1_9scan_implILNS1_25lookback_scan_determinismE0ELb0ELb0ES3_N6thrust23THRUST_200600_302600_NS6detail15normal_iteratorINS9_10device_ptrIiEEEENS9_16discard_iteratorINS9_11use_defaultEEEi11max_functorIiEiEEDaPvRmT3_T4_T5_mT6_P12ihipStream_tbENKUlT_T0_E_clISt17integral_constantIbLb0EESW_IbLb1EEEEDaSS_ST_EUlSS_E0_NS1_11comp_targetILNS1_3genE4ELNS1_11target_archE910ELNS1_3gpuE8ELNS1_3repE0EEENS1_30default_config_static_selectorELNS0_4arch9wavefront6targetE1EEEvT1_
	.globl	_ZN7rocprim17ROCPRIM_400000_NS6detail17trampoline_kernelINS0_14default_configENS1_20scan_config_selectorIiEEZZNS1_9scan_implILNS1_25lookback_scan_determinismE0ELb0ELb0ES3_N6thrust23THRUST_200600_302600_NS6detail15normal_iteratorINS9_10device_ptrIiEEEENS9_16discard_iteratorINS9_11use_defaultEEEi11max_functorIiEiEEDaPvRmT3_T4_T5_mT6_P12ihipStream_tbENKUlT_T0_E_clISt17integral_constantIbLb0EESW_IbLb1EEEEDaSS_ST_EUlSS_E0_NS1_11comp_targetILNS1_3genE4ELNS1_11target_archE910ELNS1_3gpuE8ELNS1_3repE0EEENS1_30default_config_static_selectorELNS0_4arch9wavefront6targetE1EEEvT1_
	.p2align	8
	.type	_ZN7rocprim17ROCPRIM_400000_NS6detail17trampoline_kernelINS0_14default_configENS1_20scan_config_selectorIiEEZZNS1_9scan_implILNS1_25lookback_scan_determinismE0ELb0ELb0ES3_N6thrust23THRUST_200600_302600_NS6detail15normal_iteratorINS9_10device_ptrIiEEEENS9_16discard_iteratorINS9_11use_defaultEEEi11max_functorIiEiEEDaPvRmT3_T4_T5_mT6_P12ihipStream_tbENKUlT_T0_E_clISt17integral_constantIbLb0EESW_IbLb1EEEEDaSS_ST_EUlSS_E0_NS1_11comp_targetILNS1_3genE4ELNS1_11target_archE910ELNS1_3gpuE8ELNS1_3repE0EEENS1_30default_config_static_selectorELNS0_4arch9wavefront6targetE1EEEvT1_,@function
_ZN7rocprim17ROCPRIM_400000_NS6detail17trampoline_kernelINS0_14default_configENS1_20scan_config_selectorIiEEZZNS1_9scan_implILNS1_25lookback_scan_determinismE0ELb0ELb0ES3_N6thrust23THRUST_200600_302600_NS6detail15normal_iteratorINS9_10device_ptrIiEEEENS9_16discard_iteratorINS9_11use_defaultEEEi11max_functorIiEiEEDaPvRmT3_T4_T5_mT6_P12ihipStream_tbENKUlT_T0_E_clISt17integral_constantIbLb0EESW_IbLb1EEEEDaSS_ST_EUlSS_E0_NS1_11comp_targetILNS1_3genE4ELNS1_11target_archE910ELNS1_3gpuE8ELNS1_3repE0EEENS1_30default_config_static_selectorELNS0_4arch9wavefront6targetE1EEEvT1_: ; @_ZN7rocprim17ROCPRIM_400000_NS6detail17trampoline_kernelINS0_14default_configENS1_20scan_config_selectorIiEEZZNS1_9scan_implILNS1_25lookback_scan_determinismE0ELb0ELb0ES3_N6thrust23THRUST_200600_302600_NS6detail15normal_iteratorINS9_10device_ptrIiEEEENS9_16discard_iteratorINS9_11use_defaultEEEi11max_functorIiEiEEDaPvRmT3_T4_T5_mT6_P12ihipStream_tbENKUlT_T0_E_clISt17integral_constantIbLb0EESW_IbLb1EEEEDaSS_ST_EUlSS_E0_NS1_11comp_targetILNS1_3genE4ELNS1_11target_archE910ELNS1_3gpuE8ELNS1_3repE0EEENS1_30default_config_static_selectorELNS0_4arch9wavefront6targetE1EEEvT1_
; %bb.0:
	s_load_dwordx4 s[0:3], s[4:5], 0x0
	v_lshlrev_b32_e32 v20, 2, v0
	s_waitcnt lgkmcnt(0)
	s_load_dword s3, s[0:1], 0x0
	v_cmp_gt_u32_e32 vcc, s2, v0
	s_waitcnt lgkmcnt(0)
	v_mov_b32_e32 v1, s3
	s_and_saveexec_b64 s[4:5], vcc
	s_cbranch_execz .LBB3919_2
; %bb.1:
	global_load_dword v1, v20, s[0:1]
.LBB3919_2:
	s_or_b64 exec, exec, s[4:5]
	v_or_b32_e32 v2, 0x80, v0
	v_cmp_gt_u32_e32 vcc, s2, v2
	v_mov_b32_e32 v2, s3
	s_and_saveexec_b64 s[4:5], vcc
	s_cbranch_execz .LBB3919_4
; %bb.3:
	global_load_dword v2, v20, s[0:1] offset:512
.LBB3919_4:
	s_or_b64 exec, exec, s[4:5]
	v_or_b32_e32 v3, 0x100, v0
	v_cmp_gt_u32_e32 vcc, s2, v3
	v_mov_b32_e32 v3, s3
	s_and_saveexec_b64 s[4:5], vcc
	s_cbranch_execz .LBB3919_6
; %bb.5:
	global_load_dword v3, v20, s[0:1] offset:1024
.LBB3919_6:
	;; [unrolled: 9-line block ×7, first 2 shown]
	s_or_b64 exec, exec, s[4:5]
	v_or_b32_e32 v10, 0x400, v0
	v_cmp_gt_u32_e32 vcc, s2, v10
	v_mov_b32_e32 v9, s3
	s_and_saveexec_b64 s[4:5], vcc
	s_cbranch_execz .LBB3919_18
; %bb.17:
	v_lshlrev_b32_e32 v9, 2, v10
	global_load_dword v9, v9, s[0:1]
.LBB3919_18:
	s_or_b64 exec, exec, s[4:5]
	v_or_b32_e32 v11, 0x480, v0
	v_cmp_gt_u32_e32 vcc, s2, v11
	v_mov_b32_e32 v10, s3
	s_and_saveexec_b64 s[2:3], vcc
	s_cbranch_execz .LBB3919_20
; %bb.19:
	v_lshlrev_b32_e32 v10, 2, v11
	global_load_dword v10, v10, s[0:1]
.LBB3919_20:
	s_or_b64 exec, exec, s[2:3]
	s_waitcnt vmcnt(0)
	ds_write2st64_b32 v20, v1, v2 offset1:2
	ds_write2st64_b32 v20, v3, v4 offset0:4 offset1:6
	ds_write2st64_b32 v20, v5, v6 offset0:8 offset1:10
	;; [unrolled: 1-line block ×4, first 2 shown]
	v_mad_u32_u24 v1, v0, 36, v20
	s_waitcnt lgkmcnt(0)
	s_barrier
	ds_read2_b64 v[6:9], v1 offset1:1
	ds_read2_b64 v[2:5], v1 offset0:2 offset1:3
	ds_read_b64 v[18:19], v1 offset:32
	v_lshrrev_b32_e32 v21, 3, v0
	v_and_b32_e32 v21, 12, v21
	s_waitcnt lgkmcnt(2)
	v_max_i32_e32 v1, v6, v7
	v_max_i32_e32 v14, v1, v8
	;; [unrolled: 1-line block ×3, first 2 shown]
	s_waitcnt lgkmcnt(1)
	v_max_i32_e32 v10, v15, v2
	v_max_i32_e32 v11, v10, v3
	v_max_i32_e32 v12, v11, v4
	v_max_i32_e32 v13, v12, v5
	s_waitcnt lgkmcnt(0)
	v_max_i32_e32 v16, v13, v18
	v_max_i32_e32 v17, v16, v19
	v_add_u32_e32 v21, v20, v21
	v_cmp_gt_u32_e32 vcc, 64, v0
	s_barrier
	ds_write_b32 v21, v17
	s_waitcnt lgkmcnt(0)
	s_barrier
	s_and_saveexec_b64 s[0:1], vcc
	s_cbranch_execz .LBB3919_22
; %bb.21:
	v_lshlrev_b32_e32 v21, 1, v0
	v_lshrrev_b32_e32 v22, 4, v0
	v_add_lshl_u32 v21, v22, v21, 2
	ds_read2_b32 v[22:23], v21 offset1:1
	v_mbcnt_lo_u32_b32 v24, -1, 0
	v_mbcnt_hi_u32_b32 v24, -1, v24
	v_and_b32_e32 v25, 15, v24
	v_cmp_eq_u32_e32 vcc, 0, v25
	s_waitcnt lgkmcnt(0)
	v_max_i32_e32 v23, v22, v23
	; wave barrier
	s_nop 1
	v_mov_b32_dpp v26, v23 row_shr:1 row_mask:0xf bank_mask:0xf
	v_max_i32_e32 v26, v26, v23
	v_cndmask_b32_e32 v23, v26, v23, vcc
	v_cmp_lt_u32_e32 vcc, 1, v25
	s_nop 0
	v_mov_b32_dpp v26, v23 row_shr:2 row_mask:0xf bank_mask:0xf
	v_max_i32_e32 v26, v26, v23
	v_cndmask_b32_e32 v23, v23, v26, vcc
	v_cmp_lt_u32_e32 vcc, 3, v25
	;; [unrolled: 5-line block ×3, first 2 shown]
	s_nop 0
	v_mov_b32_dpp v26, v23 row_shr:8 row_mask:0xf bank_mask:0xf
	v_max_i32_e32 v26, v26, v23
	v_cndmask_b32_e32 v23, v23, v26, vcc
	v_and_b32_e32 v26, 16, v24
	v_cmp_eq_u32_e32 vcc, 0, v26
	v_mov_b32_dpp v25, v23 row_bcast:15 row_mask:0xf bank_mask:0xf
	v_max_i32_e32 v25, v25, v23
	v_cndmask_b32_e32 v23, v25, v23, vcc
	v_cmp_lt_u32_e32 vcc, 31, v24
	v_and_b32_e32 v26, 64, v24
	v_mov_b32_dpp v25, v23 row_bcast:31 row_mask:0xf bank_mask:0xf
	v_max_i32_e32 v25, v25, v23
	v_cndmask_b32_e32 v23, v23, v25, vcc
	v_add_u32_e32 v25, -1, v24
	v_cmp_lt_i32_e32 vcc, v25, v26
	v_cndmask_b32_e32 v24, v25, v24, vcc
	v_lshlrev_b32_e32 v24, 2, v24
	ds_bpermute_b32 v23, v24, v23
	v_cmp_eq_u32_e32 vcc, 0, v0
	s_waitcnt lgkmcnt(0)
	v_max_i32_e32 v22, v23, v22
	v_cndmask_b32_e32 v22, v22, v17, vcc
	ds_write_b32 v21, v22
	; wave barrier
	ds_read_b32 v23, v21 offset:4
	s_waitcnt lgkmcnt(0)
	v_max_i32_e32 v22, v22, v23
	ds_write_b32 v21, v22 offset:4
.LBB3919_22:
	s_or_b64 exec, exec, s[0:1]
	v_cmp_ne_u32_e32 vcc, 0, v0
	v_mov_b32_e32 v22, v17
	s_waitcnt lgkmcnt(0)
	s_barrier
	s_and_saveexec_b64 s[0:1], vcc
	s_cbranch_execz .LBB3919_24
; %bb.23:
	v_add_u32_e32 v21, -1, v0
	v_lshrrev_b32_e32 v22, 5, v21
	v_add_lshl_u32 v21, v22, v21, 2
	ds_read_b32 v22, v21
.LBB3919_24:
	s_or_b64 exec, exec, s[0:1]
	v_mul_u32_u24_e32 v21, 36, v0
	v_mov_b32_e32 v0, v6
	s_and_saveexec_b64 s[0:1], vcc
	s_cbranch_execz .LBB3919_26
; %bb.25:
	s_waitcnt lgkmcnt(0)
	v_max_i32_e32 v0, v22, v6
	v_max_i32_e32 v1, v0, v7
	;; [unrolled: 1-line block ×10, first 2 shown]
	;;#ASMSTART
	;;#ASMEND
.LBB3919_26:
	s_or_b64 exec, exec, s[0:1]
	v_add_u32_e32 v2, v20, v21
	s_waitcnt lgkmcnt(0)
	s_barrier
	ds_write2_b64 v2, v[0:1], v[14:15] offset1:1
	ds_write2_b64 v2, v[10:11], v[12:13] offset0:2 offset1:3
	ds_write_b64 v2, v[16:17] offset:32
	s_waitcnt lgkmcnt(0)
	s_barrier
	s_endpgm
	.section	.rodata,"a",@progbits
	.p2align	6, 0x0
	.amdhsa_kernel _ZN7rocprim17ROCPRIM_400000_NS6detail17trampoline_kernelINS0_14default_configENS1_20scan_config_selectorIiEEZZNS1_9scan_implILNS1_25lookback_scan_determinismE0ELb0ELb0ES3_N6thrust23THRUST_200600_302600_NS6detail15normal_iteratorINS9_10device_ptrIiEEEENS9_16discard_iteratorINS9_11use_defaultEEEi11max_functorIiEiEEDaPvRmT3_T4_T5_mT6_P12ihipStream_tbENKUlT_T0_E_clISt17integral_constantIbLb0EESW_IbLb1EEEEDaSS_ST_EUlSS_E0_NS1_11comp_targetILNS1_3genE4ELNS1_11target_archE910ELNS1_3gpuE8ELNS1_3repE0EEENS1_30default_config_static_selectorELNS0_4arch9wavefront6targetE1EEEvT1_
		.amdhsa_group_segment_fixed_size 5120
		.amdhsa_private_segment_fixed_size 0
		.amdhsa_kernarg_size 40
		.amdhsa_user_sgpr_count 6
		.amdhsa_user_sgpr_private_segment_buffer 1
		.amdhsa_user_sgpr_dispatch_ptr 0
		.amdhsa_user_sgpr_queue_ptr 0
		.amdhsa_user_sgpr_kernarg_segment_ptr 1
		.amdhsa_user_sgpr_dispatch_id 0
		.amdhsa_user_sgpr_flat_scratch_init 0
		.amdhsa_user_sgpr_kernarg_preload_length 0
		.amdhsa_user_sgpr_kernarg_preload_offset 0
		.amdhsa_user_sgpr_private_segment_size 0
		.amdhsa_uses_dynamic_stack 0
		.amdhsa_system_sgpr_private_segment_wavefront_offset 0
		.amdhsa_system_sgpr_workgroup_id_x 1
		.amdhsa_system_sgpr_workgroup_id_y 0
		.amdhsa_system_sgpr_workgroup_id_z 0
		.amdhsa_system_sgpr_workgroup_info 0
		.amdhsa_system_vgpr_workitem_id 0
		.amdhsa_next_free_vgpr 27
		.amdhsa_next_free_sgpr 6
		.amdhsa_accum_offset 28
		.amdhsa_reserve_vcc 1
		.amdhsa_reserve_flat_scratch 0
		.amdhsa_float_round_mode_32 0
		.amdhsa_float_round_mode_16_64 0
		.amdhsa_float_denorm_mode_32 3
		.amdhsa_float_denorm_mode_16_64 3
		.amdhsa_dx10_clamp 1
		.amdhsa_ieee_mode 1
		.amdhsa_fp16_overflow 0
		.amdhsa_tg_split 0
		.amdhsa_exception_fp_ieee_invalid_op 0
		.amdhsa_exception_fp_denorm_src 0
		.amdhsa_exception_fp_ieee_div_zero 0
		.amdhsa_exception_fp_ieee_overflow 0
		.amdhsa_exception_fp_ieee_underflow 0
		.amdhsa_exception_fp_ieee_inexact 0
		.amdhsa_exception_int_div_zero 0
	.end_amdhsa_kernel
	.section	.text._ZN7rocprim17ROCPRIM_400000_NS6detail17trampoline_kernelINS0_14default_configENS1_20scan_config_selectorIiEEZZNS1_9scan_implILNS1_25lookback_scan_determinismE0ELb0ELb0ES3_N6thrust23THRUST_200600_302600_NS6detail15normal_iteratorINS9_10device_ptrIiEEEENS9_16discard_iteratorINS9_11use_defaultEEEi11max_functorIiEiEEDaPvRmT3_T4_T5_mT6_P12ihipStream_tbENKUlT_T0_E_clISt17integral_constantIbLb0EESW_IbLb1EEEEDaSS_ST_EUlSS_E0_NS1_11comp_targetILNS1_3genE4ELNS1_11target_archE910ELNS1_3gpuE8ELNS1_3repE0EEENS1_30default_config_static_selectorELNS0_4arch9wavefront6targetE1EEEvT1_,"axG",@progbits,_ZN7rocprim17ROCPRIM_400000_NS6detail17trampoline_kernelINS0_14default_configENS1_20scan_config_selectorIiEEZZNS1_9scan_implILNS1_25lookback_scan_determinismE0ELb0ELb0ES3_N6thrust23THRUST_200600_302600_NS6detail15normal_iteratorINS9_10device_ptrIiEEEENS9_16discard_iteratorINS9_11use_defaultEEEi11max_functorIiEiEEDaPvRmT3_T4_T5_mT6_P12ihipStream_tbENKUlT_T0_E_clISt17integral_constantIbLb0EESW_IbLb1EEEEDaSS_ST_EUlSS_E0_NS1_11comp_targetILNS1_3genE4ELNS1_11target_archE910ELNS1_3gpuE8ELNS1_3repE0EEENS1_30default_config_static_selectorELNS0_4arch9wavefront6targetE1EEEvT1_,comdat
.Lfunc_end3919:
	.size	_ZN7rocprim17ROCPRIM_400000_NS6detail17trampoline_kernelINS0_14default_configENS1_20scan_config_selectorIiEEZZNS1_9scan_implILNS1_25lookback_scan_determinismE0ELb0ELb0ES3_N6thrust23THRUST_200600_302600_NS6detail15normal_iteratorINS9_10device_ptrIiEEEENS9_16discard_iteratorINS9_11use_defaultEEEi11max_functorIiEiEEDaPvRmT3_T4_T5_mT6_P12ihipStream_tbENKUlT_T0_E_clISt17integral_constantIbLb0EESW_IbLb1EEEEDaSS_ST_EUlSS_E0_NS1_11comp_targetILNS1_3genE4ELNS1_11target_archE910ELNS1_3gpuE8ELNS1_3repE0EEENS1_30default_config_static_selectorELNS0_4arch9wavefront6targetE1EEEvT1_, .Lfunc_end3919-_ZN7rocprim17ROCPRIM_400000_NS6detail17trampoline_kernelINS0_14default_configENS1_20scan_config_selectorIiEEZZNS1_9scan_implILNS1_25lookback_scan_determinismE0ELb0ELb0ES3_N6thrust23THRUST_200600_302600_NS6detail15normal_iteratorINS9_10device_ptrIiEEEENS9_16discard_iteratorINS9_11use_defaultEEEi11max_functorIiEiEEDaPvRmT3_T4_T5_mT6_P12ihipStream_tbENKUlT_T0_E_clISt17integral_constantIbLb0EESW_IbLb1EEEEDaSS_ST_EUlSS_E0_NS1_11comp_targetILNS1_3genE4ELNS1_11target_archE910ELNS1_3gpuE8ELNS1_3repE0EEENS1_30default_config_static_selectorELNS0_4arch9wavefront6targetE1EEEvT1_
                                        ; -- End function
	.section	.AMDGPU.csdata,"",@progbits
; Kernel info:
; codeLenInByte = 1000
; NumSgprs: 10
; NumVgprs: 27
; NumAgprs: 0
; TotalNumVgprs: 27
; ScratchSize: 0
; MemoryBound: 0
; FloatMode: 240
; IeeeMode: 1
; LDSByteSize: 5120 bytes/workgroup (compile time only)
; SGPRBlocks: 1
; VGPRBlocks: 3
; NumSGPRsForWavesPerEU: 10
; NumVGPRsForWavesPerEU: 27
; AccumOffset: 28
; Occupancy: 6
; WaveLimiterHint : 0
; COMPUTE_PGM_RSRC2:SCRATCH_EN: 0
; COMPUTE_PGM_RSRC2:USER_SGPR: 6
; COMPUTE_PGM_RSRC2:TRAP_HANDLER: 0
; COMPUTE_PGM_RSRC2:TGID_X_EN: 1
; COMPUTE_PGM_RSRC2:TGID_Y_EN: 0
; COMPUTE_PGM_RSRC2:TGID_Z_EN: 0
; COMPUTE_PGM_RSRC2:TIDIG_COMP_CNT: 0
; COMPUTE_PGM_RSRC3_GFX90A:ACCUM_OFFSET: 6
; COMPUTE_PGM_RSRC3_GFX90A:TG_SPLIT: 0
	.section	.text._ZN7rocprim17ROCPRIM_400000_NS6detail17trampoline_kernelINS0_14default_configENS1_20scan_config_selectorIiEEZZNS1_9scan_implILNS1_25lookback_scan_determinismE0ELb0ELb0ES3_N6thrust23THRUST_200600_302600_NS6detail15normal_iteratorINS9_10device_ptrIiEEEENS9_16discard_iteratorINS9_11use_defaultEEEi11max_functorIiEiEEDaPvRmT3_T4_T5_mT6_P12ihipStream_tbENKUlT_T0_E_clISt17integral_constantIbLb0EESW_IbLb1EEEEDaSS_ST_EUlSS_E0_NS1_11comp_targetILNS1_3genE3ELNS1_11target_archE908ELNS1_3gpuE7ELNS1_3repE0EEENS1_30default_config_static_selectorELNS0_4arch9wavefront6targetE1EEEvT1_,"axG",@progbits,_ZN7rocprim17ROCPRIM_400000_NS6detail17trampoline_kernelINS0_14default_configENS1_20scan_config_selectorIiEEZZNS1_9scan_implILNS1_25lookback_scan_determinismE0ELb0ELb0ES3_N6thrust23THRUST_200600_302600_NS6detail15normal_iteratorINS9_10device_ptrIiEEEENS9_16discard_iteratorINS9_11use_defaultEEEi11max_functorIiEiEEDaPvRmT3_T4_T5_mT6_P12ihipStream_tbENKUlT_T0_E_clISt17integral_constantIbLb0EESW_IbLb1EEEEDaSS_ST_EUlSS_E0_NS1_11comp_targetILNS1_3genE3ELNS1_11target_archE908ELNS1_3gpuE7ELNS1_3repE0EEENS1_30default_config_static_selectorELNS0_4arch9wavefront6targetE1EEEvT1_,comdat
	.protected	_ZN7rocprim17ROCPRIM_400000_NS6detail17trampoline_kernelINS0_14default_configENS1_20scan_config_selectorIiEEZZNS1_9scan_implILNS1_25lookback_scan_determinismE0ELb0ELb0ES3_N6thrust23THRUST_200600_302600_NS6detail15normal_iteratorINS9_10device_ptrIiEEEENS9_16discard_iteratorINS9_11use_defaultEEEi11max_functorIiEiEEDaPvRmT3_T4_T5_mT6_P12ihipStream_tbENKUlT_T0_E_clISt17integral_constantIbLb0EESW_IbLb1EEEEDaSS_ST_EUlSS_E0_NS1_11comp_targetILNS1_3genE3ELNS1_11target_archE908ELNS1_3gpuE7ELNS1_3repE0EEENS1_30default_config_static_selectorELNS0_4arch9wavefront6targetE1EEEvT1_ ; -- Begin function _ZN7rocprim17ROCPRIM_400000_NS6detail17trampoline_kernelINS0_14default_configENS1_20scan_config_selectorIiEEZZNS1_9scan_implILNS1_25lookback_scan_determinismE0ELb0ELb0ES3_N6thrust23THRUST_200600_302600_NS6detail15normal_iteratorINS9_10device_ptrIiEEEENS9_16discard_iteratorINS9_11use_defaultEEEi11max_functorIiEiEEDaPvRmT3_T4_T5_mT6_P12ihipStream_tbENKUlT_T0_E_clISt17integral_constantIbLb0EESW_IbLb1EEEEDaSS_ST_EUlSS_E0_NS1_11comp_targetILNS1_3genE3ELNS1_11target_archE908ELNS1_3gpuE7ELNS1_3repE0EEENS1_30default_config_static_selectorELNS0_4arch9wavefront6targetE1EEEvT1_
	.globl	_ZN7rocprim17ROCPRIM_400000_NS6detail17trampoline_kernelINS0_14default_configENS1_20scan_config_selectorIiEEZZNS1_9scan_implILNS1_25lookback_scan_determinismE0ELb0ELb0ES3_N6thrust23THRUST_200600_302600_NS6detail15normal_iteratorINS9_10device_ptrIiEEEENS9_16discard_iteratorINS9_11use_defaultEEEi11max_functorIiEiEEDaPvRmT3_T4_T5_mT6_P12ihipStream_tbENKUlT_T0_E_clISt17integral_constantIbLb0EESW_IbLb1EEEEDaSS_ST_EUlSS_E0_NS1_11comp_targetILNS1_3genE3ELNS1_11target_archE908ELNS1_3gpuE7ELNS1_3repE0EEENS1_30default_config_static_selectorELNS0_4arch9wavefront6targetE1EEEvT1_
	.p2align	8
	.type	_ZN7rocprim17ROCPRIM_400000_NS6detail17trampoline_kernelINS0_14default_configENS1_20scan_config_selectorIiEEZZNS1_9scan_implILNS1_25lookback_scan_determinismE0ELb0ELb0ES3_N6thrust23THRUST_200600_302600_NS6detail15normal_iteratorINS9_10device_ptrIiEEEENS9_16discard_iteratorINS9_11use_defaultEEEi11max_functorIiEiEEDaPvRmT3_T4_T5_mT6_P12ihipStream_tbENKUlT_T0_E_clISt17integral_constantIbLb0EESW_IbLb1EEEEDaSS_ST_EUlSS_E0_NS1_11comp_targetILNS1_3genE3ELNS1_11target_archE908ELNS1_3gpuE7ELNS1_3repE0EEENS1_30default_config_static_selectorELNS0_4arch9wavefront6targetE1EEEvT1_,@function
_ZN7rocprim17ROCPRIM_400000_NS6detail17trampoline_kernelINS0_14default_configENS1_20scan_config_selectorIiEEZZNS1_9scan_implILNS1_25lookback_scan_determinismE0ELb0ELb0ES3_N6thrust23THRUST_200600_302600_NS6detail15normal_iteratorINS9_10device_ptrIiEEEENS9_16discard_iteratorINS9_11use_defaultEEEi11max_functorIiEiEEDaPvRmT3_T4_T5_mT6_P12ihipStream_tbENKUlT_T0_E_clISt17integral_constantIbLb0EESW_IbLb1EEEEDaSS_ST_EUlSS_E0_NS1_11comp_targetILNS1_3genE3ELNS1_11target_archE908ELNS1_3gpuE7ELNS1_3repE0EEENS1_30default_config_static_selectorELNS0_4arch9wavefront6targetE1EEEvT1_: ; @_ZN7rocprim17ROCPRIM_400000_NS6detail17trampoline_kernelINS0_14default_configENS1_20scan_config_selectorIiEEZZNS1_9scan_implILNS1_25lookback_scan_determinismE0ELb0ELb0ES3_N6thrust23THRUST_200600_302600_NS6detail15normal_iteratorINS9_10device_ptrIiEEEENS9_16discard_iteratorINS9_11use_defaultEEEi11max_functorIiEiEEDaPvRmT3_T4_T5_mT6_P12ihipStream_tbENKUlT_T0_E_clISt17integral_constantIbLb0EESW_IbLb1EEEEDaSS_ST_EUlSS_E0_NS1_11comp_targetILNS1_3genE3ELNS1_11target_archE908ELNS1_3gpuE7ELNS1_3repE0EEENS1_30default_config_static_selectorELNS0_4arch9wavefront6targetE1EEEvT1_
; %bb.0:
	.section	.rodata,"a",@progbits
	.p2align	6, 0x0
	.amdhsa_kernel _ZN7rocprim17ROCPRIM_400000_NS6detail17trampoline_kernelINS0_14default_configENS1_20scan_config_selectorIiEEZZNS1_9scan_implILNS1_25lookback_scan_determinismE0ELb0ELb0ES3_N6thrust23THRUST_200600_302600_NS6detail15normal_iteratorINS9_10device_ptrIiEEEENS9_16discard_iteratorINS9_11use_defaultEEEi11max_functorIiEiEEDaPvRmT3_T4_T5_mT6_P12ihipStream_tbENKUlT_T0_E_clISt17integral_constantIbLb0EESW_IbLb1EEEEDaSS_ST_EUlSS_E0_NS1_11comp_targetILNS1_3genE3ELNS1_11target_archE908ELNS1_3gpuE7ELNS1_3repE0EEENS1_30default_config_static_selectorELNS0_4arch9wavefront6targetE1EEEvT1_
		.amdhsa_group_segment_fixed_size 0
		.amdhsa_private_segment_fixed_size 0
		.amdhsa_kernarg_size 40
		.amdhsa_user_sgpr_count 6
		.amdhsa_user_sgpr_private_segment_buffer 1
		.amdhsa_user_sgpr_dispatch_ptr 0
		.amdhsa_user_sgpr_queue_ptr 0
		.amdhsa_user_sgpr_kernarg_segment_ptr 1
		.amdhsa_user_sgpr_dispatch_id 0
		.amdhsa_user_sgpr_flat_scratch_init 0
		.amdhsa_user_sgpr_kernarg_preload_length 0
		.amdhsa_user_sgpr_kernarg_preload_offset 0
		.amdhsa_user_sgpr_private_segment_size 0
		.amdhsa_uses_dynamic_stack 0
		.amdhsa_system_sgpr_private_segment_wavefront_offset 0
		.amdhsa_system_sgpr_workgroup_id_x 1
		.amdhsa_system_sgpr_workgroup_id_y 0
		.amdhsa_system_sgpr_workgroup_id_z 0
		.amdhsa_system_sgpr_workgroup_info 0
		.amdhsa_system_vgpr_workitem_id 0
		.amdhsa_next_free_vgpr 1
		.amdhsa_next_free_sgpr 0
		.amdhsa_accum_offset 4
		.amdhsa_reserve_vcc 0
		.amdhsa_reserve_flat_scratch 0
		.amdhsa_float_round_mode_32 0
		.amdhsa_float_round_mode_16_64 0
		.amdhsa_float_denorm_mode_32 3
		.amdhsa_float_denorm_mode_16_64 3
		.amdhsa_dx10_clamp 1
		.amdhsa_ieee_mode 1
		.amdhsa_fp16_overflow 0
		.amdhsa_tg_split 0
		.amdhsa_exception_fp_ieee_invalid_op 0
		.amdhsa_exception_fp_denorm_src 0
		.amdhsa_exception_fp_ieee_div_zero 0
		.amdhsa_exception_fp_ieee_overflow 0
		.amdhsa_exception_fp_ieee_underflow 0
		.amdhsa_exception_fp_ieee_inexact 0
		.amdhsa_exception_int_div_zero 0
	.end_amdhsa_kernel
	.section	.text._ZN7rocprim17ROCPRIM_400000_NS6detail17trampoline_kernelINS0_14default_configENS1_20scan_config_selectorIiEEZZNS1_9scan_implILNS1_25lookback_scan_determinismE0ELb0ELb0ES3_N6thrust23THRUST_200600_302600_NS6detail15normal_iteratorINS9_10device_ptrIiEEEENS9_16discard_iteratorINS9_11use_defaultEEEi11max_functorIiEiEEDaPvRmT3_T4_T5_mT6_P12ihipStream_tbENKUlT_T0_E_clISt17integral_constantIbLb0EESW_IbLb1EEEEDaSS_ST_EUlSS_E0_NS1_11comp_targetILNS1_3genE3ELNS1_11target_archE908ELNS1_3gpuE7ELNS1_3repE0EEENS1_30default_config_static_selectorELNS0_4arch9wavefront6targetE1EEEvT1_,"axG",@progbits,_ZN7rocprim17ROCPRIM_400000_NS6detail17trampoline_kernelINS0_14default_configENS1_20scan_config_selectorIiEEZZNS1_9scan_implILNS1_25lookback_scan_determinismE0ELb0ELb0ES3_N6thrust23THRUST_200600_302600_NS6detail15normal_iteratorINS9_10device_ptrIiEEEENS9_16discard_iteratorINS9_11use_defaultEEEi11max_functorIiEiEEDaPvRmT3_T4_T5_mT6_P12ihipStream_tbENKUlT_T0_E_clISt17integral_constantIbLb0EESW_IbLb1EEEEDaSS_ST_EUlSS_E0_NS1_11comp_targetILNS1_3genE3ELNS1_11target_archE908ELNS1_3gpuE7ELNS1_3repE0EEENS1_30default_config_static_selectorELNS0_4arch9wavefront6targetE1EEEvT1_,comdat
.Lfunc_end3920:
	.size	_ZN7rocprim17ROCPRIM_400000_NS6detail17trampoline_kernelINS0_14default_configENS1_20scan_config_selectorIiEEZZNS1_9scan_implILNS1_25lookback_scan_determinismE0ELb0ELb0ES3_N6thrust23THRUST_200600_302600_NS6detail15normal_iteratorINS9_10device_ptrIiEEEENS9_16discard_iteratorINS9_11use_defaultEEEi11max_functorIiEiEEDaPvRmT3_T4_T5_mT6_P12ihipStream_tbENKUlT_T0_E_clISt17integral_constantIbLb0EESW_IbLb1EEEEDaSS_ST_EUlSS_E0_NS1_11comp_targetILNS1_3genE3ELNS1_11target_archE908ELNS1_3gpuE7ELNS1_3repE0EEENS1_30default_config_static_selectorELNS0_4arch9wavefront6targetE1EEEvT1_, .Lfunc_end3920-_ZN7rocprim17ROCPRIM_400000_NS6detail17trampoline_kernelINS0_14default_configENS1_20scan_config_selectorIiEEZZNS1_9scan_implILNS1_25lookback_scan_determinismE0ELb0ELb0ES3_N6thrust23THRUST_200600_302600_NS6detail15normal_iteratorINS9_10device_ptrIiEEEENS9_16discard_iteratorINS9_11use_defaultEEEi11max_functorIiEiEEDaPvRmT3_T4_T5_mT6_P12ihipStream_tbENKUlT_T0_E_clISt17integral_constantIbLb0EESW_IbLb1EEEEDaSS_ST_EUlSS_E0_NS1_11comp_targetILNS1_3genE3ELNS1_11target_archE908ELNS1_3gpuE7ELNS1_3repE0EEENS1_30default_config_static_selectorELNS0_4arch9wavefront6targetE1EEEvT1_
                                        ; -- End function
	.section	.AMDGPU.csdata,"",@progbits
; Kernel info:
; codeLenInByte = 0
; NumSgprs: 4
; NumVgprs: 0
; NumAgprs: 0
; TotalNumVgprs: 0
; ScratchSize: 0
; MemoryBound: 0
; FloatMode: 240
; IeeeMode: 1
; LDSByteSize: 0 bytes/workgroup (compile time only)
; SGPRBlocks: 0
; VGPRBlocks: 0
; NumSGPRsForWavesPerEU: 4
; NumVGPRsForWavesPerEU: 1
; AccumOffset: 4
; Occupancy: 8
; WaveLimiterHint : 0
; COMPUTE_PGM_RSRC2:SCRATCH_EN: 0
; COMPUTE_PGM_RSRC2:USER_SGPR: 6
; COMPUTE_PGM_RSRC2:TRAP_HANDLER: 0
; COMPUTE_PGM_RSRC2:TGID_X_EN: 1
; COMPUTE_PGM_RSRC2:TGID_Y_EN: 0
; COMPUTE_PGM_RSRC2:TGID_Z_EN: 0
; COMPUTE_PGM_RSRC2:TIDIG_COMP_CNT: 0
; COMPUTE_PGM_RSRC3_GFX90A:ACCUM_OFFSET: 0
; COMPUTE_PGM_RSRC3_GFX90A:TG_SPLIT: 0
	.section	.text._ZN7rocprim17ROCPRIM_400000_NS6detail17trampoline_kernelINS0_14default_configENS1_20scan_config_selectorIiEEZZNS1_9scan_implILNS1_25lookback_scan_determinismE0ELb0ELb0ES3_N6thrust23THRUST_200600_302600_NS6detail15normal_iteratorINS9_10device_ptrIiEEEENS9_16discard_iteratorINS9_11use_defaultEEEi11max_functorIiEiEEDaPvRmT3_T4_T5_mT6_P12ihipStream_tbENKUlT_T0_E_clISt17integral_constantIbLb0EESW_IbLb1EEEEDaSS_ST_EUlSS_E0_NS1_11comp_targetILNS1_3genE2ELNS1_11target_archE906ELNS1_3gpuE6ELNS1_3repE0EEENS1_30default_config_static_selectorELNS0_4arch9wavefront6targetE1EEEvT1_,"axG",@progbits,_ZN7rocprim17ROCPRIM_400000_NS6detail17trampoline_kernelINS0_14default_configENS1_20scan_config_selectorIiEEZZNS1_9scan_implILNS1_25lookback_scan_determinismE0ELb0ELb0ES3_N6thrust23THRUST_200600_302600_NS6detail15normal_iteratorINS9_10device_ptrIiEEEENS9_16discard_iteratorINS9_11use_defaultEEEi11max_functorIiEiEEDaPvRmT3_T4_T5_mT6_P12ihipStream_tbENKUlT_T0_E_clISt17integral_constantIbLb0EESW_IbLb1EEEEDaSS_ST_EUlSS_E0_NS1_11comp_targetILNS1_3genE2ELNS1_11target_archE906ELNS1_3gpuE6ELNS1_3repE0EEENS1_30default_config_static_selectorELNS0_4arch9wavefront6targetE1EEEvT1_,comdat
	.protected	_ZN7rocprim17ROCPRIM_400000_NS6detail17trampoline_kernelINS0_14default_configENS1_20scan_config_selectorIiEEZZNS1_9scan_implILNS1_25lookback_scan_determinismE0ELb0ELb0ES3_N6thrust23THRUST_200600_302600_NS6detail15normal_iteratorINS9_10device_ptrIiEEEENS9_16discard_iteratorINS9_11use_defaultEEEi11max_functorIiEiEEDaPvRmT3_T4_T5_mT6_P12ihipStream_tbENKUlT_T0_E_clISt17integral_constantIbLb0EESW_IbLb1EEEEDaSS_ST_EUlSS_E0_NS1_11comp_targetILNS1_3genE2ELNS1_11target_archE906ELNS1_3gpuE6ELNS1_3repE0EEENS1_30default_config_static_selectorELNS0_4arch9wavefront6targetE1EEEvT1_ ; -- Begin function _ZN7rocprim17ROCPRIM_400000_NS6detail17trampoline_kernelINS0_14default_configENS1_20scan_config_selectorIiEEZZNS1_9scan_implILNS1_25lookback_scan_determinismE0ELb0ELb0ES3_N6thrust23THRUST_200600_302600_NS6detail15normal_iteratorINS9_10device_ptrIiEEEENS9_16discard_iteratorINS9_11use_defaultEEEi11max_functorIiEiEEDaPvRmT3_T4_T5_mT6_P12ihipStream_tbENKUlT_T0_E_clISt17integral_constantIbLb0EESW_IbLb1EEEEDaSS_ST_EUlSS_E0_NS1_11comp_targetILNS1_3genE2ELNS1_11target_archE906ELNS1_3gpuE6ELNS1_3repE0EEENS1_30default_config_static_selectorELNS0_4arch9wavefront6targetE1EEEvT1_
	.globl	_ZN7rocprim17ROCPRIM_400000_NS6detail17trampoline_kernelINS0_14default_configENS1_20scan_config_selectorIiEEZZNS1_9scan_implILNS1_25lookback_scan_determinismE0ELb0ELb0ES3_N6thrust23THRUST_200600_302600_NS6detail15normal_iteratorINS9_10device_ptrIiEEEENS9_16discard_iteratorINS9_11use_defaultEEEi11max_functorIiEiEEDaPvRmT3_T4_T5_mT6_P12ihipStream_tbENKUlT_T0_E_clISt17integral_constantIbLb0EESW_IbLb1EEEEDaSS_ST_EUlSS_E0_NS1_11comp_targetILNS1_3genE2ELNS1_11target_archE906ELNS1_3gpuE6ELNS1_3repE0EEENS1_30default_config_static_selectorELNS0_4arch9wavefront6targetE1EEEvT1_
	.p2align	8
	.type	_ZN7rocprim17ROCPRIM_400000_NS6detail17trampoline_kernelINS0_14default_configENS1_20scan_config_selectorIiEEZZNS1_9scan_implILNS1_25lookback_scan_determinismE0ELb0ELb0ES3_N6thrust23THRUST_200600_302600_NS6detail15normal_iteratorINS9_10device_ptrIiEEEENS9_16discard_iteratorINS9_11use_defaultEEEi11max_functorIiEiEEDaPvRmT3_T4_T5_mT6_P12ihipStream_tbENKUlT_T0_E_clISt17integral_constantIbLb0EESW_IbLb1EEEEDaSS_ST_EUlSS_E0_NS1_11comp_targetILNS1_3genE2ELNS1_11target_archE906ELNS1_3gpuE6ELNS1_3repE0EEENS1_30default_config_static_selectorELNS0_4arch9wavefront6targetE1EEEvT1_,@function
_ZN7rocprim17ROCPRIM_400000_NS6detail17trampoline_kernelINS0_14default_configENS1_20scan_config_selectorIiEEZZNS1_9scan_implILNS1_25lookback_scan_determinismE0ELb0ELb0ES3_N6thrust23THRUST_200600_302600_NS6detail15normal_iteratorINS9_10device_ptrIiEEEENS9_16discard_iteratorINS9_11use_defaultEEEi11max_functorIiEiEEDaPvRmT3_T4_T5_mT6_P12ihipStream_tbENKUlT_T0_E_clISt17integral_constantIbLb0EESW_IbLb1EEEEDaSS_ST_EUlSS_E0_NS1_11comp_targetILNS1_3genE2ELNS1_11target_archE906ELNS1_3gpuE6ELNS1_3repE0EEENS1_30default_config_static_selectorELNS0_4arch9wavefront6targetE1EEEvT1_: ; @_ZN7rocprim17ROCPRIM_400000_NS6detail17trampoline_kernelINS0_14default_configENS1_20scan_config_selectorIiEEZZNS1_9scan_implILNS1_25lookback_scan_determinismE0ELb0ELb0ES3_N6thrust23THRUST_200600_302600_NS6detail15normal_iteratorINS9_10device_ptrIiEEEENS9_16discard_iteratorINS9_11use_defaultEEEi11max_functorIiEiEEDaPvRmT3_T4_T5_mT6_P12ihipStream_tbENKUlT_T0_E_clISt17integral_constantIbLb0EESW_IbLb1EEEEDaSS_ST_EUlSS_E0_NS1_11comp_targetILNS1_3genE2ELNS1_11target_archE906ELNS1_3gpuE6ELNS1_3repE0EEENS1_30default_config_static_selectorELNS0_4arch9wavefront6targetE1EEEvT1_
; %bb.0:
	.section	.rodata,"a",@progbits
	.p2align	6, 0x0
	.amdhsa_kernel _ZN7rocprim17ROCPRIM_400000_NS6detail17trampoline_kernelINS0_14default_configENS1_20scan_config_selectorIiEEZZNS1_9scan_implILNS1_25lookback_scan_determinismE0ELb0ELb0ES3_N6thrust23THRUST_200600_302600_NS6detail15normal_iteratorINS9_10device_ptrIiEEEENS9_16discard_iteratorINS9_11use_defaultEEEi11max_functorIiEiEEDaPvRmT3_T4_T5_mT6_P12ihipStream_tbENKUlT_T0_E_clISt17integral_constantIbLb0EESW_IbLb1EEEEDaSS_ST_EUlSS_E0_NS1_11comp_targetILNS1_3genE2ELNS1_11target_archE906ELNS1_3gpuE6ELNS1_3repE0EEENS1_30default_config_static_selectorELNS0_4arch9wavefront6targetE1EEEvT1_
		.amdhsa_group_segment_fixed_size 0
		.amdhsa_private_segment_fixed_size 0
		.amdhsa_kernarg_size 40
		.amdhsa_user_sgpr_count 6
		.amdhsa_user_sgpr_private_segment_buffer 1
		.amdhsa_user_sgpr_dispatch_ptr 0
		.amdhsa_user_sgpr_queue_ptr 0
		.amdhsa_user_sgpr_kernarg_segment_ptr 1
		.amdhsa_user_sgpr_dispatch_id 0
		.amdhsa_user_sgpr_flat_scratch_init 0
		.amdhsa_user_sgpr_kernarg_preload_length 0
		.amdhsa_user_sgpr_kernarg_preload_offset 0
		.amdhsa_user_sgpr_private_segment_size 0
		.amdhsa_uses_dynamic_stack 0
		.amdhsa_system_sgpr_private_segment_wavefront_offset 0
		.amdhsa_system_sgpr_workgroup_id_x 1
		.amdhsa_system_sgpr_workgroup_id_y 0
		.amdhsa_system_sgpr_workgroup_id_z 0
		.amdhsa_system_sgpr_workgroup_info 0
		.amdhsa_system_vgpr_workitem_id 0
		.amdhsa_next_free_vgpr 1
		.amdhsa_next_free_sgpr 0
		.amdhsa_accum_offset 4
		.amdhsa_reserve_vcc 0
		.amdhsa_reserve_flat_scratch 0
		.amdhsa_float_round_mode_32 0
		.amdhsa_float_round_mode_16_64 0
		.amdhsa_float_denorm_mode_32 3
		.amdhsa_float_denorm_mode_16_64 3
		.amdhsa_dx10_clamp 1
		.amdhsa_ieee_mode 1
		.amdhsa_fp16_overflow 0
		.amdhsa_tg_split 0
		.amdhsa_exception_fp_ieee_invalid_op 0
		.amdhsa_exception_fp_denorm_src 0
		.amdhsa_exception_fp_ieee_div_zero 0
		.amdhsa_exception_fp_ieee_overflow 0
		.amdhsa_exception_fp_ieee_underflow 0
		.amdhsa_exception_fp_ieee_inexact 0
		.amdhsa_exception_int_div_zero 0
	.end_amdhsa_kernel
	.section	.text._ZN7rocprim17ROCPRIM_400000_NS6detail17trampoline_kernelINS0_14default_configENS1_20scan_config_selectorIiEEZZNS1_9scan_implILNS1_25lookback_scan_determinismE0ELb0ELb0ES3_N6thrust23THRUST_200600_302600_NS6detail15normal_iteratorINS9_10device_ptrIiEEEENS9_16discard_iteratorINS9_11use_defaultEEEi11max_functorIiEiEEDaPvRmT3_T4_T5_mT6_P12ihipStream_tbENKUlT_T0_E_clISt17integral_constantIbLb0EESW_IbLb1EEEEDaSS_ST_EUlSS_E0_NS1_11comp_targetILNS1_3genE2ELNS1_11target_archE906ELNS1_3gpuE6ELNS1_3repE0EEENS1_30default_config_static_selectorELNS0_4arch9wavefront6targetE1EEEvT1_,"axG",@progbits,_ZN7rocprim17ROCPRIM_400000_NS6detail17trampoline_kernelINS0_14default_configENS1_20scan_config_selectorIiEEZZNS1_9scan_implILNS1_25lookback_scan_determinismE0ELb0ELb0ES3_N6thrust23THRUST_200600_302600_NS6detail15normal_iteratorINS9_10device_ptrIiEEEENS9_16discard_iteratorINS9_11use_defaultEEEi11max_functorIiEiEEDaPvRmT3_T4_T5_mT6_P12ihipStream_tbENKUlT_T0_E_clISt17integral_constantIbLb0EESW_IbLb1EEEEDaSS_ST_EUlSS_E0_NS1_11comp_targetILNS1_3genE2ELNS1_11target_archE906ELNS1_3gpuE6ELNS1_3repE0EEENS1_30default_config_static_selectorELNS0_4arch9wavefront6targetE1EEEvT1_,comdat
.Lfunc_end3921:
	.size	_ZN7rocprim17ROCPRIM_400000_NS6detail17trampoline_kernelINS0_14default_configENS1_20scan_config_selectorIiEEZZNS1_9scan_implILNS1_25lookback_scan_determinismE0ELb0ELb0ES3_N6thrust23THRUST_200600_302600_NS6detail15normal_iteratorINS9_10device_ptrIiEEEENS9_16discard_iteratorINS9_11use_defaultEEEi11max_functorIiEiEEDaPvRmT3_T4_T5_mT6_P12ihipStream_tbENKUlT_T0_E_clISt17integral_constantIbLb0EESW_IbLb1EEEEDaSS_ST_EUlSS_E0_NS1_11comp_targetILNS1_3genE2ELNS1_11target_archE906ELNS1_3gpuE6ELNS1_3repE0EEENS1_30default_config_static_selectorELNS0_4arch9wavefront6targetE1EEEvT1_, .Lfunc_end3921-_ZN7rocprim17ROCPRIM_400000_NS6detail17trampoline_kernelINS0_14default_configENS1_20scan_config_selectorIiEEZZNS1_9scan_implILNS1_25lookback_scan_determinismE0ELb0ELb0ES3_N6thrust23THRUST_200600_302600_NS6detail15normal_iteratorINS9_10device_ptrIiEEEENS9_16discard_iteratorINS9_11use_defaultEEEi11max_functorIiEiEEDaPvRmT3_T4_T5_mT6_P12ihipStream_tbENKUlT_T0_E_clISt17integral_constantIbLb0EESW_IbLb1EEEEDaSS_ST_EUlSS_E0_NS1_11comp_targetILNS1_3genE2ELNS1_11target_archE906ELNS1_3gpuE6ELNS1_3repE0EEENS1_30default_config_static_selectorELNS0_4arch9wavefront6targetE1EEEvT1_
                                        ; -- End function
	.section	.AMDGPU.csdata,"",@progbits
; Kernel info:
; codeLenInByte = 0
; NumSgprs: 4
; NumVgprs: 0
; NumAgprs: 0
; TotalNumVgprs: 0
; ScratchSize: 0
; MemoryBound: 0
; FloatMode: 240
; IeeeMode: 1
; LDSByteSize: 0 bytes/workgroup (compile time only)
; SGPRBlocks: 0
; VGPRBlocks: 0
; NumSGPRsForWavesPerEU: 4
; NumVGPRsForWavesPerEU: 1
; AccumOffset: 4
; Occupancy: 8
; WaveLimiterHint : 0
; COMPUTE_PGM_RSRC2:SCRATCH_EN: 0
; COMPUTE_PGM_RSRC2:USER_SGPR: 6
; COMPUTE_PGM_RSRC2:TRAP_HANDLER: 0
; COMPUTE_PGM_RSRC2:TGID_X_EN: 1
; COMPUTE_PGM_RSRC2:TGID_Y_EN: 0
; COMPUTE_PGM_RSRC2:TGID_Z_EN: 0
; COMPUTE_PGM_RSRC2:TIDIG_COMP_CNT: 0
; COMPUTE_PGM_RSRC3_GFX90A:ACCUM_OFFSET: 0
; COMPUTE_PGM_RSRC3_GFX90A:TG_SPLIT: 0
	.section	.text._ZN7rocprim17ROCPRIM_400000_NS6detail17trampoline_kernelINS0_14default_configENS1_20scan_config_selectorIiEEZZNS1_9scan_implILNS1_25lookback_scan_determinismE0ELb0ELb0ES3_N6thrust23THRUST_200600_302600_NS6detail15normal_iteratorINS9_10device_ptrIiEEEENS9_16discard_iteratorINS9_11use_defaultEEEi11max_functorIiEiEEDaPvRmT3_T4_T5_mT6_P12ihipStream_tbENKUlT_T0_E_clISt17integral_constantIbLb0EESW_IbLb1EEEEDaSS_ST_EUlSS_E0_NS1_11comp_targetILNS1_3genE10ELNS1_11target_archE1201ELNS1_3gpuE5ELNS1_3repE0EEENS1_30default_config_static_selectorELNS0_4arch9wavefront6targetE1EEEvT1_,"axG",@progbits,_ZN7rocprim17ROCPRIM_400000_NS6detail17trampoline_kernelINS0_14default_configENS1_20scan_config_selectorIiEEZZNS1_9scan_implILNS1_25lookback_scan_determinismE0ELb0ELb0ES3_N6thrust23THRUST_200600_302600_NS6detail15normal_iteratorINS9_10device_ptrIiEEEENS9_16discard_iteratorINS9_11use_defaultEEEi11max_functorIiEiEEDaPvRmT3_T4_T5_mT6_P12ihipStream_tbENKUlT_T0_E_clISt17integral_constantIbLb0EESW_IbLb1EEEEDaSS_ST_EUlSS_E0_NS1_11comp_targetILNS1_3genE10ELNS1_11target_archE1201ELNS1_3gpuE5ELNS1_3repE0EEENS1_30default_config_static_selectorELNS0_4arch9wavefront6targetE1EEEvT1_,comdat
	.protected	_ZN7rocprim17ROCPRIM_400000_NS6detail17trampoline_kernelINS0_14default_configENS1_20scan_config_selectorIiEEZZNS1_9scan_implILNS1_25lookback_scan_determinismE0ELb0ELb0ES3_N6thrust23THRUST_200600_302600_NS6detail15normal_iteratorINS9_10device_ptrIiEEEENS9_16discard_iteratorINS9_11use_defaultEEEi11max_functorIiEiEEDaPvRmT3_T4_T5_mT6_P12ihipStream_tbENKUlT_T0_E_clISt17integral_constantIbLb0EESW_IbLb1EEEEDaSS_ST_EUlSS_E0_NS1_11comp_targetILNS1_3genE10ELNS1_11target_archE1201ELNS1_3gpuE5ELNS1_3repE0EEENS1_30default_config_static_selectorELNS0_4arch9wavefront6targetE1EEEvT1_ ; -- Begin function _ZN7rocprim17ROCPRIM_400000_NS6detail17trampoline_kernelINS0_14default_configENS1_20scan_config_selectorIiEEZZNS1_9scan_implILNS1_25lookback_scan_determinismE0ELb0ELb0ES3_N6thrust23THRUST_200600_302600_NS6detail15normal_iteratorINS9_10device_ptrIiEEEENS9_16discard_iteratorINS9_11use_defaultEEEi11max_functorIiEiEEDaPvRmT3_T4_T5_mT6_P12ihipStream_tbENKUlT_T0_E_clISt17integral_constantIbLb0EESW_IbLb1EEEEDaSS_ST_EUlSS_E0_NS1_11comp_targetILNS1_3genE10ELNS1_11target_archE1201ELNS1_3gpuE5ELNS1_3repE0EEENS1_30default_config_static_selectorELNS0_4arch9wavefront6targetE1EEEvT1_
	.globl	_ZN7rocprim17ROCPRIM_400000_NS6detail17trampoline_kernelINS0_14default_configENS1_20scan_config_selectorIiEEZZNS1_9scan_implILNS1_25lookback_scan_determinismE0ELb0ELb0ES3_N6thrust23THRUST_200600_302600_NS6detail15normal_iteratorINS9_10device_ptrIiEEEENS9_16discard_iteratorINS9_11use_defaultEEEi11max_functorIiEiEEDaPvRmT3_T4_T5_mT6_P12ihipStream_tbENKUlT_T0_E_clISt17integral_constantIbLb0EESW_IbLb1EEEEDaSS_ST_EUlSS_E0_NS1_11comp_targetILNS1_3genE10ELNS1_11target_archE1201ELNS1_3gpuE5ELNS1_3repE0EEENS1_30default_config_static_selectorELNS0_4arch9wavefront6targetE1EEEvT1_
	.p2align	8
	.type	_ZN7rocprim17ROCPRIM_400000_NS6detail17trampoline_kernelINS0_14default_configENS1_20scan_config_selectorIiEEZZNS1_9scan_implILNS1_25lookback_scan_determinismE0ELb0ELb0ES3_N6thrust23THRUST_200600_302600_NS6detail15normal_iteratorINS9_10device_ptrIiEEEENS9_16discard_iteratorINS9_11use_defaultEEEi11max_functorIiEiEEDaPvRmT3_T4_T5_mT6_P12ihipStream_tbENKUlT_T0_E_clISt17integral_constantIbLb0EESW_IbLb1EEEEDaSS_ST_EUlSS_E0_NS1_11comp_targetILNS1_3genE10ELNS1_11target_archE1201ELNS1_3gpuE5ELNS1_3repE0EEENS1_30default_config_static_selectorELNS0_4arch9wavefront6targetE1EEEvT1_,@function
_ZN7rocprim17ROCPRIM_400000_NS6detail17trampoline_kernelINS0_14default_configENS1_20scan_config_selectorIiEEZZNS1_9scan_implILNS1_25lookback_scan_determinismE0ELb0ELb0ES3_N6thrust23THRUST_200600_302600_NS6detail15normal_iteratorINS9_10device_ptrIiEEEENS9_16discard_iteratorINS9_11use_defaultEEEi11max_functorIiEiEEDaPvRmT3_T4_T5_mT6_P12ihipStream_tbENKUlT_T0_E_clISt17integral_constantIbLb0EESW_IbLb1EEEEDaSS_ST_EUlSS_E0_NS1_11comp_targetILNS1_3genE10ELNS1_11target_archE1201ELNS1_3gpuE5ELNS1_3repE0EEENS1_30default_config_static_selectorELNS0_4arch9wavefront6targetE1EEEvT1_: ; @_ZN7rocprim17ROCPRIM_400000_NS6detail17trampoline_kernelINS0_14default_configENS1_20scan_config_selectorIiEEZZNS1_9scan_implILNS1_25lookback_scan_determinismE0ELb0ELb0ES3_N6thrust23THRUST_200600_302600_NS6detail15normal_iteratorINS9_10device_ptrIiEEEENS9_16discard_iteratorINS9_11use_defaultEEEi11max_functorIiEiEEDaPvRmT3_T4_T5_mT6_P12ihipStream_tbENKUlT_T0_E_clISt17integral_constantIbLb0EESW_IbLb1EEEEDaSS_ST_EUlSS_E0_NS1_11comp_targetILNS1_3genE10ELNS1_11target_archE1201ELNS1_3gpuE5ELNS1_3repE0EEENS1_30default_config_static_selectorELNS0_4arch9wavefront6targetE1EEEvT1_
; %bb.0:
	.section	.rodata,"a",@progbits
	.p2align	6, 0x0
	.amdhsa_kernel _ZN7rocprim17ROCPRIM_400000_NS6detail17trampoline_kernelINS0_14default_configENS1_20scan_config_selectorIiEEZZNS1_9scan_implILNS1_25lookback_scan_determinismE0ELb0ELb0ES3_N6thrust23THRUST_200600_302600_NS6detail15normal_iteratorINS9_10device_ptrIiEEEENS9_16discard_iteratorINS9_11use_defaultEEEi11max_functorIiEiEEDaPvRmT3_T4_T5_mT6_P12ihipStream_tbENKUlT_T0_E_clISt17integral_constantIbLb0EESW_IbLb1EEEEDaSS_ST_EUlSS_E0_NS1_11comp_targetILNS1_3genE10ELNS1_11target_archE1201ELNS1_3gpuE5ELNS1_3repE0EEENS1_30default_config_static_selectorELNS0_4arch9wavefront6targetE1EEEvT1_
		.amdhsa_group_segment_fixed_size 0
		.amdhsa_private_segment_fixed_size 0
		.amdhsa_kernarg_size 40
		.amdhsa_user_sgpr_count 6
		.amdhsa_user_sgpr_private_segment_buffer 1
		.amdhsa_user_sgpr_dispatch_ptr 0
		.amdhsa_user_sgpr_queue_ptr 0
		.amdhsa_user_sgpr_kernarg_segment_ptr 1
		.amdhsa_user_sgpr_dispatch_id 0
		.amdhsa_user_sgpr_flat_scratch_init 0
		.amdhsa_user_sgpr_kernarg_preload_length 0
		.amdhsa_user_sgpr_kernarg_preload_offset 0
		.amdhsa_user_sgpr_private_segment_size 0
		.amdhsa_uses_dynamic_stack 0
		.amdhsa_system_sgpr_private_segment_wavefront_offset 0
		.amdhsa_system_sgpr_workgroup_id_x 1
		.amdhsa_system_sgpr_workgroup_id_y 0
		.amdhsa_system_sgpr_workgroup_id_z 0
		.amdhsa_system_sgpr_workgroup_info 0
		.amdhsa_system_vgpr_workitem_id 0
		.amdhsa_next_free_vgpr 1
		.amdhsa_next_free_sgpr 0
		.amdhsa_accum_offset 4
		.amdhsa_reserve_vcc 0
		.amdhsa_reserve_flat_scratch 0
		.amdhsa_float_round_mode_32 0
		.amdhsa_float_round_mode_16_64 0
		.amdhsa_float_denorm_mode_32 3
		.amdhsa_float_denorm_mode_16_64 3
		.amdhsa_dx10_clamp 1
		.amdhsa_ieee_mode 1
		.amdhsa_fp16_overflow 0
		.amdhsa_tg_split 0
		.amdhsa_exception_fp_ieee_invalid_op 0
		.amdhsa_exception_fp_denorm_src 0
		.amdhsa_exception_fp_ieee_div_zero 0
		.amdhsa_exception_fp_ieee_overflow 0
		.amdhsa_exception_fp_ieee_underflow 0
		.amdhsa_exception_fp_ieee_inexact 0
		.amdhsa_exception_int_div_zero 0
	.end_amdhsa_kernel
	.section	.text._ZN7rocprim17ROCPRIM_400000_NS6detail17trampoline_kernelINS0_14default_configENS1_20scan_config_selectorIiEEZZNS1_9scan_implILNS1_25lookback_scan_determinismE0ELb0ELb0ES3_N6thrust23THRUST_200600_302600_NS6detail15normal_iteratorINS9_10device_ptrIiEEEENS9_16discard_iteratorINS9_11use_defaultEEEi11max_functorIiEiEEDaPvRmT3_T4_T5_mT6_P12ihipStream_tbENKUlT_T0_E_clISt17integral_constantIbLb0EESW_IbLb1EEEEDaSS_ST_EUlSS_E0_NS1_11comp_targetILNS1_3genE10ELNS1_11target_archE1201ELNS1_3gpuE5ELNS1_3repE0EEENS1_30default_config_static_selectorELNS0_4arch9wavefront6targetE1EEEvT1_,"axG",@progbits,_ZN7rocprim17ROCPRIM_400000_NS6detail17trampoline_kernelINS0_14default_configENS1_20scan_config_selectorIiEEZZNS1_9scan_implILNS1_25lookback_scan_determinismE0ELb0ELb0ES3_N6thrust23THRUST_200600_302600_NS6detail15normal_iteratorINS9_10device_ptrIiEEEENS9_16discard_iteratorINS9_11use_defaultEEEi11max_functorIiEiEEDaPvRmT3_T4_T5_mT6_P12ihipStream_tbENKUlT_T0_E_clISt17integral_constantIbLb0EESW_IbLb1EEEEDaSS_ST_EUlSS_E0_NS1_11comp_targetILNS1_3genE10ELNS1_11target_archE1201ELNS1_3gpuE5ELNS1_3repE0EEENS1_30default_config_static_selectorELNS0_4arch9wavefront6targetE1EEEvT1_,comdat
.Lfunc_end3922:
	.size	_ZN7rocprim17ROCPRIM_400000_NS6detail17trampoline_kernelINS0_14default_configENS1_20scan_config_selectorIiEEZZNS1_9scan_implILNS1_25lookback_scan_determinismE0ELb0ELb0ES3_N6thrust23THRUST_200600_302600_NS6detail15normal_iteratorINS9_10device_ptrIiEEEENS9_16discard_iteratorINS9_11use_defaultEEEi11max_functorIiEiEEDaPvRmT3_T4_T5_mT6_P12ihipStream_tbENKUlT_T0_E_clISt17integral_constantIbLb0EESW_IbLb1EEEEDaSS_ST_EUlSS_E0_NS1_11comp_targetILNS1_3genE10ELNS1_11target_archE1201ELNS1_3gpuE5ELNS1_3repE0EEENS1_30default_config_static_selectorELNS0_4arch9wavefront6targetE1EEEvT1_, .Lfunc_end3922-_ZN7rocprim17ROCPRIM_400000_NS6detail17trampoline_kernelINS0_14default_configENS1_20scan_config_selectorIiEEZZNS1_9scan_implILNS1_25lookback_scan_determinismE0ELb0ELb0ES3_N6thrust23THRUST_200600_302600_NS6detail15normal_iteratorINS9_10device_ptrIiEEEENS9_16discard_iteratorINS9_11use_defaultEEEi11max_functorIiEiEEDaPvRmT3_T4_T5_mT6_P12ihipStream_tbENKUlT_T0_E_clISt17integral_constantIbLb0EESW_IbLb1EEEEDaSS_ST_EUlSS_E0_NS1_11comp_targetILNS1_3genE10ELNS1_11target_archE1201ELNS1_3gpuE5ELNS1_3repE0EEENS1_30default_config_static_selectorELNS0_4arch9wavefront6targetE1EEEvT1_
                                        ; -- End function
	.section	.AMDGPU.csdata,"",@progbits
; Kernel info:
; codeLenInByte = 0
; NumSgprs: 4
; NumVgprs: 0
; NumAgprs: 0
; TotalNumVgprs: 0
; ScratchSize: 0
; MemoryBound: 0
; FloatMode: 240
; IeeeMode: 1
; LDSByteSize: 0 bytes/workgroup (compile time only)
; SGPRBlocks: 0
; VGPRBlocks: 0
; NumSGPRsForWavesPerEU: 4
; NumVGPRsForWavesPerEU: 1
; AccumOffset: 4
; Occupancy: 8
; WaveLimiterHint : 0
; COMPUTE_PGM_RSRC2:SCRATCH_EN: 0
; COMPUTE_PGM_RSRC2:USER_SGPR: 6
; COMPUTE_PGM_RSRC2:TRAP_HANDLER: 0
; COMPUTE_PGM_RSRC2:TGID_X_EN: 1
; COMPUTE_PGM_RSRC2:TGID_Y_EN: 0
; COMPUTE_PGM_RSRC2:TGID_Z_EN: 0
; COMPUTE_PGM_RSRC2:TIDIG_COMP_CNT: 0
; COMPUTE_PGM_RSRC3_GFX90A:ACCUM_OFFSET: 0
; COMPUTE_PGM_RSRC3_GFX90A:TG_SPLIT: 0
	.section	.text._ZN7rocprim17ROCPRIM_400000_NS6detail17trampoline_kernelINS0_14default_configENS1_20scan_config_selectorIiEEZZNS1_9scan_implILNS1_25lookback_scan_determinismE0ELb0ELb0ES3_N6thrust23THRUST_200600_302600_NS6detail15normal_iteratorINS9_10device_ptrIiEEEENS9_16discard_iteratorINS9_11use_defaultEEEi11max_functorIiEiEEDaPvRmT3_T4_T5_mT6_P12ihipStream_tbENKUlT_T0_E_clISt17integral_constantIbLb0EESW_IbLb1EEEEDaSS_ST_EUlSS_E0_NS1_11comp_targetILNS1_3genE10ELNS1_11target_archE1200ELNS1_3gpuE4ELNS1_3repE0EEENS1_30default_config_static_selectorELNS0_4arch9wavefront6targetE1EEEvT1_,"axG",@progbits,_ZN7rocprim17ROCPRIM_400000_NS6detail17trampoline_kernelINS0_14default_configENS1_20scan_config_selectorIiEEZZNS1_9scan_implILNS1_25lookback_scan_determinismE0ELb0ELb0ES3_N6thrust23THRUST_200600_302600_NS6detail15normal_iteratorINS9_10device_ptrIiEEEENS9_16discard_iteratorINS9_11use_defaultEEEi11max_functorIiEiEEDaPvRmT3_T4_T5_mT6_P12ihipStream_tbENKUlT_T0_E_clISt17integral_constantIbLb0EESW_IbLb1EEEEDaSS_ST_EUlSS_E0_NS1_11comp_targetILNS1_3genE10ELNS1_11target_archE1200ELNS1_3gpuE4ELNS1_3repE0EEENS1_30default_config_static_selectorELNS0_4arch9wavefront6targetE1EEEvT1_,comdat
	.protected	_ZN7rocprim17ROCPRIM_400000_NS6detail17trampoline_kernelINS0_14default_configENS1_20scan_config_selectorIiEEZZNS1_9scan_implILNS1_25lookback_scan_determinismE0ELb0ELb0ES3_N6thrust23THRUST_200600_302600_NS6detail15normal_iteratorINS9_10device_ptrIiEEEENS9_16discard_iteratorINS9_11use_defaultEEEi11max_functorIiEiEEDaPvRmT3_T4_T5_mT6_P12ihipStream_tbENKUlT_T0_E_clISt17integral_constantIbLb0EESW_IbLb1EEEEDaSS_ST_EUlSS_E0_NS1_11comp_targetILNS1_3genE10ELNS1_11target_archE1200ELNS1_3gpuE4ELNS1_3repE0EEENS1_30default_config_static_selectorELNS0_4arch9wavefront6targetE1EEEvT1_ ; -- Begin function _ZN7rocprim17ROCPRIM_400000_NS6detail17trampoline_kernelINS0_14default_configENS1_20scan_config_selectorIiEEZZNS1_9scan_implILNS1_25lookback_scan_determinismE0ELb0ELb0ES3_N6thrust23THRUST_200600_302600_NS6detail15normal_iteratorINS9_10device_ptrIiEEEENS9_16discard_iteratorINS9_11use_defaultEEEi11max_functorIiEiEEDaPvRmT3_T4_T5_mT6_P12ihipStream_tbENKUlT_T0_E_clISt17integral_constantIbLb0EESW_IbLb1EEEEDaSS_ST_EUlSS_E0_NS1_11comp_targetILNS1_3genE10ELNS1_11target_archE1200ELNS1_3gpuE4ELNS1_3repE0EEENS1_30default_config_static_selectorELNS0_4arch9wavefront6targetE1EEEvT1_
	.globl	_ZN7rocprim17ROCPRIM_400000_NS6detail17trampoline_kernelINS0_14default_configENS1_20scan_config_selectorIiEEZZNS1_9scan_implILNS1_25lookback_scan_determinismE0ELb0ELb0ES3_N6thrust23THRUST_200600_302600_NS6detail15normal_iteratorINS9_10device_ptrIiEEEENS9_16discard_iteratorINS9_11use_defaultEEEi11max_functorIiEiEEDaPvRmT3_T4_T5_mT6_P12ihipStream_tbENKUlT_T0_E_clISt17integral_constantIbLb0EESW_IbLb1EEEEDaSS_ST_EUlSS_E0_NS1_11comp_targetILNS1_3genE10ELNS1_11target_archE1200ELNS1_3gpuE4ELNS1_3repE0EEENS1_30default_config_static_selectorELNS0_4arch9wavefront6targetE1EEEvT1_
	.p2align	8
	.type	_ZN7rocprim17ROCPRIM_400000_NS6detail17trampoline_kernelINS0_14default_configENS1_20scan_config_selectorIiEEZZNS1_9scan_implILNS1_25lookback_scan_determinismE0ELb0ELb0ES3_N6thrust23THRUST_200600_302600_NS6detail15normal_iteratorINS9_10device_ptrIiEEEENS9_16discard_iteratorINS9_11use_defaultEEEi11max_functorIiEiEEDaPvRmT3_T4_T5_mT6_P12ihipStream_tbENKUlT_T0_E_clISt17integral_constantIbLb0EESW_IbLb1EEEEDaSS_ST_EUlSS_E0_NS1_11comp_targetILNS1_3genE10ELNS1_11target_archE1200ELNS1_3gpuE4ELNS1_3repE0EEENS1_30default_config_static_selectorELNS0_4arch9wavefront6targetE1EEEvT1_,@function
_ZN7rocprim17ROCPRIM_400000_NS6detail17trampoline_kernelINS0_14default_configENS1_20scan_config_selectorIiEEZZNS1_9scan_implILNS1_25lookback_scan_determinismE0ELb0ELb0ES3_N6thrust23THRUST_200600_302600_NS6detail15normal_iteratorINS9_10device_ptrIiEEEENS9_16discard_iteratorINS9_11use_defaultEEEi11max_functorIiEiEEDaPvRmT3_T4_T5_mT6_P12ihipStream_tbENKUlT_T0_E_clISt17integral_constantIbLb0EESW_IbLb1EEEEDaSS_ST_EUlSS_E0_NS1_11comp_targetILNS1_3genE10ELNS1_11target_archE1200ELNS1_3gpuE4ELNS1_3repE0EEENS1_30default_config_static_selectorELNS0_4arch9wavefront6targetE1EEEvT1_: ; @_ZN7rocprim17ROCPRIM_400000_NS6detail17trampoline_kernelINS0_14default_configENS1_20scan_config_selectorIiEEZZNS1_9scan_implILNS1_25lookback_scan_determinismE0ELb0ELb0ES3_N6thrust23THRUST_200600_302600_NS6detail15normal_iteratorINS9_10device_ptrIiEEEENS9_16discard_iteratorINS9_11use_defaultEEEi11max_functorIiEiEEDaPvRmT3_T4_T5_mT6_P12ihipStream_tbENKUlT_T0_E_clISt17integral_constantIbLb0EESW_IbLb1EEEEDaSS_ST_EUlSS_E0_NS1_11comp_targetILNS1_3genE10ELNS1_11target_archE1200ELNS1_3gpuE4ELNS1_3repE0EEENS1_30default_config_static_selectorELNS0_4arch9wavefront6targetE1EEEvT1_
; %bb.0:
	.section	.rodata,"a",@progbits
	.p2align	6, 0x0
	.amdhsa_kernel _ZN7rocprim17ROCPRIM_400000_NS6detail17trampoline_kernelINS0_14default_configENS1_20scan_config_selectorIiEEZZNS1_9scan_implILNS1_25lookback_scan_determinismE0ELb0ELb0ES3_N6thrust23THRUST_200600_302600_NS6detail15normal_iteratorINS9_10device_ptrIiEEEENS9_16discard_iteratorINS9_11use_defaultEEEi11max_functorIiEiEEDaPvRmT3_T4_T5_mT6_P12ihipStream_tbENKUlT_T0_E_clISt17integral_constantIbLb0EESW_IbLb1EEEEDaSS_ST_EUlSS_E0_NS1_11comp_targetILNS1_3genE10ELNS1_11target_archE1200ELNS1_3gpuE4ELNS1_3repE0EEENS1_30default_config_static_selectorELNS0_4arch9wavefront6targetE1EEEvT1_
		.amdhsa_group_segment_fixed_size 0
		.amdhsa_private_segment_fixed_size 0
		.amdhsa_kernarg_size 40
		.amdhsa_user_sgpr_count 6
		.amdhsa_user_sgpr_private_segment_buffer 1
		.amdhsa_user_sgpr_dispatch_ptr 0
		.amdhsa_user_sgpr_queue_ptr 0
		.amdhsa_user_sgpr_kernarg_segment_ptr 1
		.amdhsa_user_sgpr_dispatch_id 0
		.amdhsa_user_sgpr_flat_scratch_init 0
		.amdhsa_user_sgpr_kernarg_preload_length 0
		.amdhsa_user_sgpr_kernarg_preload_offset 0
		.amdhsa_user_sgpr_private_segment_size 0
		.amdhsa_uses_dynamic_stack 0
		.amdhsa_system_sgpr_private_segment_wavefront_offset 0
		.amdhsa_system_sgpr_workgroup_id_x 1
		.amdhsa_system_sgpr_workgroup_id_y 0
		.amdhsa_system_sgpr_workgroup_id_z 0
		.amdhsa_system_sgpr_workgroup_info 0
		.amdhsa_system_vgpr_workitem_id 0
		.amdhsa_next_free_vgpr 1
		.amdhsa_next_free_sgpr 0
		.amdhsa_accum_offset 4
		.amdhsa_reserve_vcc 0
		.amdhsa_reserve_flat_scratch 0
		.amdhsa_float_round_mode_32 0
		.amdhsa_float_round_mode_16_64 0
		.amdhsa_float_denorm_mode_32 3
		.amdhsa_float_denorm_mode_16_64 3
		.amdhsa_dx10_clamp 1
		.amdhsa_ieee_mode 1
		.amdhsa_fp16_overflow 0
		.amdhsa_tg_split 0
		.amdhsa_exception_fp_ieee_invalid_op 0
		.amdhsa_exception_fp_denorm_src 0
		.amdhsa_exception_fp_ieee_div_zero 0
		.amdhsa_exception_fp_ieee_overflow 0
		.amdhsa_exception_fp_ieee_underflow 0
		.amdhsa_exception_fp_ieee_inexact 0
		.amdhsa_exception_int_div_zero 0
	.end_amdhsa_kernel
	.section	.text._ZN7rocprim17ROCPRIM_400000_NS6detail17trampoline_kernelINS0_14default_configENS1_20scan_config_selectorIiEEZZNS1_9scan_implILNS1_25lookback_scan_determinismE0ELb0ELb0ES3_N6thrust23THRUST_200600_302600_NS6detail15normal_iteratorINS9_10device_ptrIiEEEENS9_16discard_iteratorINS9_11use_defaultEEEi11max_functorIiEiEEDaPvRmT3_T4_T5_mT6_P12ihipStream_tbENKUlT_T0_E_clISt17integral_constantIbLb0EESW_IbLb1EEEEDaSS_ST_EUlSS_E0_NS1_11comp_targetILNS1_3genE10ELNS1_11target_archE1200ELNS1_3gpuE4ELNS1_3repE0EEENS1_30default_config_static_selectorELNS0_4arch9wavefront6targetE1EEEvT1_,"axG",@progbits,_ZN7rocprim17ROCPRIM_400000_NS6detail17trampoline_kernelINS0_14default_configENS1_20scan_config_selectorIiEEZZNS1_9scan_implILNS1_25lookback_scan_determinismE0ELb0ELb0ES3_N6thrust23THRUST_200600_302600_NS6detail15normal_iteratorINS9_10device_ptrIiEEEENS9_16discard_iteratorINS9_11use_defaultEEEi11max_functorIiEiEEDaPvRmT3_T4_T5_mT6_P12ihipStream_tbENKUlT_T0_E_clISt17integral_constantIbLb0EESW_IbLb1EEEEDaSS_ST_EUlSS_E0_NS1_11comp_targetILNS1_3genE10ELNS1_11target_archE1200ELNS1_3gpuE4ELNS1_3repE0EEENS1_30default_config_static_selectorELNS0_4arch9wavefront6targetE1EEEvT1_,comdat
.Lfunc_end3923:
	.size	_ZN7rocprim17ROCPRIM_400000_NS6detail17trampoline_kernelINS0_14default_configENS1_20scan_config_selectorIiEEZZNS1_9scan_implILNS1_25lookback_scan_determinismE0ELb0ELb0ES3_N6thrust23THRUST_200600_302600_NS6detail15normal_iteratorINS9_10device_ptrIiEEEENS9_16discard_iteratorINS9_11use_defaultEEEi11max_functorIiEiEEDaPvRmT3_T4_T5_mT6_P12ihipStream_tbENKUlT_T0_E_clISt17integral_constantIbLb0EESW_IbLb1EEEEDaSS_ST_EUlSS_E0_NS1_11comp_targetILNS1_3genE10ELNS1_11target_archE1200ELNS1_3gpuE4ELNS1_3repE0EEENS1_30default_config_static_selectorELNS0_4arch9wavefront6targetE1EEEvT1_, .Lfunc_end3923-_ZN7rocprim17ROCPRIM_400000_NS6detail17trampoline_kernelINS0_14default_configENS1_20scan_config_selectorIiEEZZNS1_9scan_implILNS1_25lookback_scan_determinismE0ELb0ELb0ES3_N6thrust23THRUST_200600_302600_NS6detail15normal_iteratorINS9_10device_ptrIiEEEENS9_16discard_iteratorINS9_11use_defaultEEEi11max_functorIiEiEEDaPvRmT3_T4_T5_mT6_P12ihipStream_tbENKUlT_T0_E_clISt17integral_constantIbLb0EESW_IbLb1EEEEDaSS_ST_EUlSS_E0_NS1_11comp_targetILNS1_3genE10ELNS1_11target_archE1200ELNS1_3gpuE4ELNS1_3repE0EEENS1_30default_config_static_selectorELNS0_4arch9wavefront6targetE1EEEvT1_
                                        ; -- End function
	.section	.AMDGPU.csdata,"",@progbits
; Kernel info:
; codeLenInByte = 0
; NumSgprs: 4
; NumVgprs: 0
; NumAgprs: 0
; TotalNumVgprs: 0
; ScratchSize: 0
; MemoryBound: 0
; FloatMode: 240
; IeeeMode: 1
; LDSByteSize: 0 bytes/workgroup (compile time only)
; SGPRBlocks: 0
; VGPRBlocks: 0
; NumSGPRsForWavesPerEU: 4
; NumVGPRsForWavesPerEU: 1
; AccumOffset: 4
; Occupancy: 8
; WaveLimiterHint : 0
; COMPUTE_PGM_RSRC2:SCRATCH_EN: 0
; COMPUTE_PGM_RSRC2:USER_SGPR: 6
; COMPUTE_PGM_RSRC2:TRAP_HANDLER: 0
; COMPUTE_PGM_RSRC2:TGID_X_EN: 1
; COMPUTE_PGM_RSRC2:TGID_Y_EN: 0
; COMPUTE_PGM_RSRC2:TGID_Z_EN: 0
; COMPUTE_PGM_RSRC2:TIDIG_COMP_CNT: 0
; COMPUTE_PGM_RSRC3_GFX90A:ACCUM_OFFSET: 0
; COMPUTE_PGM_RSRC3_GFX90A:TG_SPLIT: 0
	.section	.text._ZN7rocprim17ROCPRIM_400000_NS6detail17trampoline_kernelINS0_14default_configENS1_20scan_config_selectorIiEEZZNS1_9scan_implILNS1_25lookback_scan_determinismE0ELb0ELb0ES3_N6thrust23THRUST_200600_302600_NS6detail15normal_iteratorINS9_10device_ptrIiEEEENS9_16discard_iteratorINS9_11use_defaultEEEi11max_functorIiEiEEDaPvRmT3_T4_T5_mT6_P12ihipStream_tbENKUlT_T0_E_clISt17integral_constantIbLb0EESW_IbLb1EEEEDaSS_ST_EUlSS_E0_NS1_11comp_targetILNS1_3genE9ELNS1_11target_archE1100ELNS1_3gpuE3ELNS1_3repE0EEENS1_30default_config_static_selectorELNS0_4arch9wavefront6targetE1EEEvT1_,"axG",@progbits,_ZN7rocprim17ROCPRIM_400000_NS6detail17trampoline_kernelINS0_14default_configENS1_20scan_config_selectorIiEEZZNS1_9scan_implILNS1_25lookback_scan_determinismE0ELb0ELb0ES3_N6thrust23THRUST_200600_302600_NS6detail15normal_iteratorINS9_10device_ptrIiEEEENS9_16discard_iteratorINS9_11use_defaultEEEi11max_functorIiEiEEDaPvRmT3_T4_T5_mT6_P12ihipStream_tbENKUlT_T0_E_clISt17integral_constantIbLb0EESW_IbLb1EEEEDaSS_ST_EUlSS_E0_NS1_11comp_targetILNS1_3genE9ELNS1_11target_archE1100ELNS1_3gpuE3ELNS1_3repE0EEENS1_30default_config_static_selectorELNS0_4arch9wavefront6targetE1EEEvT1_,comdat
	.protected	_ZN7rocprim17ROCPRIM_400000_NS6detail17trampoline_kernelINS0_14default_configENS1_20scan_config_selectorIiEEZZNS1_9scan_implILNS1_25lookback_scan_determinismE0ELb0ELb0ES3_N6thrust23THRUST_200600_302600_NS6detail15normal_iteratorINS9_10device_ptrIiEEEENS9_16discard_iteratorINS9_11use_defaultEEEi11max_functorIiEiEEDaPvRmT3_T4_T5_mT6_P12ihipStream_tbENKUlT_T0_E_clISt17integral_constantIbLb0EESW_IbLb1EEEEDaSS_ST_EUlSS_E0_NS1_11comp_targetILNS1_3genE9ELNS1_11target_archE1100ELNS1_3gpuE3ELNS1_3repE0EEENS1_30default_config_static_selectorELNS0_4arch9wavefront6targetE1EEEvT1_ ; -- Begin function _ZN7rocprim17ROCPRIM_400000_NS6detail17trampoline_kernelINS0_14default_configENS1_20scan_config_selectorIiEEZZNS1_9scan_implILNS1_25lookback_scan_determinismE0ELb0ELb0ES3_N6thrust23THRUST_200600_302600_NS6detail15normal_iteratorINS9_10device_ptrIiEEEENS9_16discard_iteratorINS9_11use_defaultEEEi11max_functorIiEiEEDaPvRmT3_T4_T5_mT6_P12ihipStream_tbENKUlT_T0_E_clISt17integral_constantIbLb0EESW_IbLb1EEEEDaSS_ST_EUlSS_E0_NS1_11comp_targetILNS1_3genE9ELNS1_11target_archE1100ELNS1_3gpuE3ELNS1_3repE0EEENS1_30default_config_static_selectorELNS0_4arch9wavefront6targetE1EEEvT1_
	.globl	_ZN7rocprim17ROCPRIM_400000_NS6detail17trampoline_kernelINS0_14default_configENS1_20scan_config_selectorIiEEZZNS1_9scan_implILNS1_25lookback_scan_determinismE0ELb0ELb0ES3_N6thrust23THRUST_200600_302600_NS6detail15normal_iteratorINS9_10device_ptrIiEEEENS9_16discard_iteratorINS9_11use_defaultEEEi11max_functorIiEiEEDaPvRmT3_T4_T5_mT6_P12ihipStream_tbENKUlT_T0_E_clISt17integral_constantIbLb0EESW_IbLb1EEEEDaSS_ST_EUlSS_E0_NS1_11comp_targetILNS1_3genE9ELNS1_11target_archE1100ELNS1_3gpuE3ELNS1_3repE0EEENS1_30default_config_static_selectorELNS0_4arch9wavefront6targetE1EEEvT1_
	.p2align	8
	.type	_ZN7rocprim17ROCPRIM_400000_NS6detail17trampoline_kernelINS0_14default_configENS1_20scan_config_selectorIiEEZZNS1_9scan_implILNS1_25lookback_scan_determinismE0ELb0ELb0ES3_N6thrust23THRUST_200600_302600_NS6detail15normal_iteratorINS9_10device_ptrIiEEEENS9_16discard_iteratorINS9_11use_defaultEEEi11max_functorIiEiEEDaPvRmT3_T4_T5_mT6_P12ihipStream_tbENKUlT_T0_E_clISt17integral_constantIbLb0EESW_IbLb1EEEEDaSS_ST_EUlSS_E0_NS1_11comp_targetILNS1_3genE9ELNS1_11target_archE1100ELNS1_3gpuE3ELNS1_3repE0EEENS1_30default_config_static_selectorELNS0_4arch9wavefront6targetE1EEEvT1_,@function
_ZN7rocprim17ROCPRIM_400000_NS6detail17trampoline_kernelINS0_14default_configENS1_20scan_config_selectorIiEEZZNS1_9scan_implILNS1_25lookback_scan_determinismE0ELb0ELb0ES3_N6thrust23THRUST_200600_302600_NS6detail15normal_iteratorINS9_10device_ptrIiEEEENS9_16discard_iteratorINS9_11use_defaultEEEi11max_functorIiEiEEDaPvRmT3_T4_T5_mT6_P12ihipStream_tbENKUlT_T0_E_clISt17integral_constantIbLb0EESW_IbLb1EEEEDaSS_ST_EUlSS_E0_NS1_11comp_targetILNS1_3genE9ELNS1_11target_archE1100ELNS1_3gpuE3ELNS1_3repE0EEENS1_30default_config_static_selectorELNS0_4arch9wavefront6targetE1EEEvT1_: ; @_ZN7rocprim17ROCPRIM_400000_NS6detail17trampoline_kernelINS0_14default_configENS1_20scan_config_selectorIiEEZZNS1_9scan_implILNS1_25lookback_scan_determinismE0ELb0ELb0ES3_N6thrust23THRUST_200600_302600_NS6detail15normal_iteratorINS9_10device_ptrIiEEEENS9_16discard_iteratorINS9_11use_defaultEEEi11max_functorIiEiEEDaPvRmT3_T4_T5_mT6_P12ihipStream_tbENKUlT_T0_E_clISt17integral_constantIbLb0EESW_IbLb1EEEEDaSS_ST_EUlSS_E0_NS1_11comp_targetILNS1_3genE9ELNS1_11target_archE1100ELNS1_3gpuE3ELNS1_3repE0EEENS1_30default_config_static_selectorELNS0_4arch9wavefront6targetE1EEEvT1_
; %bb.0:
	.section	.rodata,"a",@progbits
	.p2align	6, 0x0
	.amdhsa_kernel _ZN7rocprim17ROCPRIM_400000_NS6detail17trampoline_kernelINS0_14default_configENS1_20scan_config_selectorIiEEZZNS1_9scan_implILNS1_25lookback_scan_determinismE0ELb0ELb0ES3_N6thrust23THRUST_200600_302600_NS6detail15normal_iteratorINS9_10device_ptrIiEEEENS9_16discard_iteratorINS9_11use_defaultEEEi11max_functorIiEiEEDaPvRmT3_T4_T5_mT6_P12ihipStream_tbENKUlT_T0_E_clISt17integral_constantIbLb0EESW_IbLb1EEEEDaSS_ST_EUlSS_E0_NS1_11comp_targetILNS1_3genE9ELNS1_11target_archE1100ELNS1_3gpuE3ELNS1_3repE0EEENS1_30default_config_static_selectorELNS0_4arch9wavefront6targetE1EEEvT1_
		.amdhsa_group_segment_fixed_size 0
		.amdhsa_private_segment_fixed_size 0
		.amdhsa_kernarg_size 40
		.amdhsa_user_sgpr_count 6
		.amdhsa_user_sgpr_private_segment_buffer 1
		.amdhsa_user_sgpr_dispatch_ptr 0
		.amdhsa_user_sgpr_queue_ptr 0
		.amdhsa_user_sgpr_kernarg_segment_ptr 1
		.amdhsa_user_sgpr_dispatch_id 0
		.amdhsa_user_sgpr_flat_scratch_init 0
		.amdhsa_user_sgpr_kernarg_preload_length 0
		.amdhsa_user_sgpr_kernarg_preload_offset 0
		.amdhsa_user_sgpr_private_segment_size 0
		.amdhsa_uses_dynamic_stack 0
		.amdhsa_system_sgpr_private_segment_wavefront_offset 0
		.amdhsa_system_sgpr_workgroup_id_x 1
		.amdhsa_system_sgpr_workgroup_id_y 0
		.amdhsa_system_sgpr_workgroup_id_z 0
		.amdhsa_system_sgpr_workgroup_info 0
		.amdhsa_system_vgpr_workitem_id 0
		.amdhsa_next_free_vgpr 1
		.amdhsa_next_free_sgpr 0
		.amdhsa_accum_offset 4
		.amdhsa_reserve_vcc 0
		.amdhsa_reserve_flat_scratch 0
		.amdhsa_float_round_mode_32 0
		.amdhsa_float_round_mode_16_64 0
		.amdhsa_float_denorm_mode_32 3
		.amdhsa_float_denorm_mode_16_64 3
		.amdhsa_dx10_clamp 1
		.amdhsa_ieee_mode 1
		.amdhsa_fp16_overflow 0
		.amdhsa_tg_split 0
		.amdhsa_exception_fp_ieee_invalid_op 0
		.amdhsa_exception_fp_denorm_src 0
		.amdhsa_exception_fp_ieee_div_zero 0
		.amdhsa_exception_fp_ieee_overflow 0
		.amdhsa_exception_fp_ieee_underflow 0
		.amdhsa_exception_fp_ieee_inexact 0
		.amdhsa_exception_int_div_zero 0
	.end_amdhsa_kernel
	.section	.text._ZN7rocprim17ROCPRIM_400000_NS6detail17trampoline_kernelINS0_14default_configENS1_20scan_config_selectorIiEEZZNS1_9scan_implILNS1_25lookback_scan_determinismE0ELb0ELb0ES3_N6thrust23THRUST_200600_302600_NS6detail15normal_iteratorINS9_10device_ptrIiEEEENS9_16discard_iteratorINS9_11use_defaultEEEi11max_functorIiEiEEDaPvRmT3_T4_T5_mT6_P12ihipStream_tbENKUlT_T0_E_clISt17integral_constantIbLb0EESW_IbLb1EEEEDaSS_ST_EUlSS_E0_NS1_11comp_targetILNS1_3genE9ELNS1_11target_archE1100ELNS1_3gpuE3ELNS1_3repE0EEENS1_30default_config_static_selectorELNS0_4arch9wavefront6targetE1EEEvT1_,"axG",@progbits,_ZN7rocprim17ROCPRIM_400000_NS6detail17trampoline_kernelINS0_14default_configENS1_20scan_config_selectorIiEEZZNS1_9scan_implILNS1_25lookback_scan_determinismE0ELb0ELb0ES3_N6thrust23THRUST_200600_302600_NS6detail15normal_iteratorINS9_10device_ptrIiEEEENS9_16discard_iteratorINS9_11use_defaultEEEi11max_functorIiEiEEDaPvRmT3_T4_T5_mT6_P12ihipStream_tbENKUlT_T0_E_clISt17integral_constantIbLb0EESW_IbLb1EEEEDaSS_ST_EUlSS_E0_NS1_11comp_targetILNS1_3genE9ELNS1_11target_archE1100ELNS1_3gpuE3ELNS1_3repE0EEENS1_30default_config_static_selectorELNS0_4arch9wavefront6targetE1EEEvT1_,comdat
.Lfunc_end3924:
	.size	_ZN7rocprim17ROCPRIM_400000_NS6detail17trampoline_kernelINS0_14default_configENS1_20scan_config_selectorIiEEZZNS1_9scan_implILNS1_25lookback_scan_determinismE0ELb0ELb0ES3_N6thrust23THRUST_200600_302600_NS6detail15normal_iteratorINS9_10device_ptrIiEEEENS9_16discard_iteratorINS9_11use_defaultEEEi11max_functorIiEiEEDaPvRmT3_T4_T5_mT6_P12ihipStream_tbENKUlT_T0_E_clISt17integral_constantIbLb0EESW_IbLb1EEEEDaSS_ST_EUlSS_E0_NS1_11comp_targetILNS1_3genE9ELNS1_11target_archE1100ELNS1_3gpuE3ELNS1_3repE0EEENS1_30default_config_static_selectorELNS0_4arch9wavefront6targetE1EEEvT1_, .Lfunc_end3924-_ZN7rocprim17ROCPRIM_400000_NS6detail17trampoline_kernelINS0_14default_configENS1_20scan_config_selectorIiEEZZNS1_9scan_implILNS1_25lookback_scan_determinismE0ELb0ELb0ES3_N6thrust23THRUST_200600_302600_NS6detail15normal_iteratorINS9_10device_ptrIiEEEENS9_16discard_iteratorINS9_11use_defaultEEEi11max_functorIiEiEEDaPvRmT3_T4_T5_mT6_P12ihipStream_tbENKUlT_T0_E_clISt17integral_constantIbLb0EESW_IbLb1EEEEDaSS_ST_EUlSS_E0_NS1_11comp_targetILNS1_3genE9ELNS1_11target_archE1100ELNS1_3gpuE3ELNS1_3repE0EEENS1_30default_config_static_selectorELNS0_4arch9wavefront6targetE1EEEvT1_
                                        ; -- End function
	.section	.AMDGPU.csdata,"",@progbits
; Kernel info:
; codeLenInByte = 0
; NumSgprs: 4
; NumVgprs: 0
; NumAgprs: 0
; TotalNumVgprs: 0
; ScratchSize: 0
; MemoryBound: 0
; FloatMode: 240
; IeeeMode: 1
; LDSByteSize: 0 bytes/workgroup (compile time only)
; SGPRBlocks: 0
; VGPRBlocks: 0
; NumSGPRsForWavesPerEU: 4
; NumVGPRsForWavesPerEU: 1
; AccumOffset: 4
; Occupancy: 8
; WaveLimiterHint : 0
; COMPUTE_PGM_RSRC2:SCRATCH_EN: 0
; COMPUTE_PGM_RSRC2:USER_SGPR: 6
; COMPUTE_PGM_RSRC2:TRAP_HANDLER: 0
; COMPUTE_PGM_RSRC2:TGID_X_EN: 1
; COMPUTE_PGM_RSRC2:TGID_Y_EN: 0
; COMPUTE_PGM_RSRC2:TGID_Z_EN: 0
; COMPUTE_PGM_RSRC2:TIDIG_COMP_CNT: 0
; COMPUTE_PGM_RSRC3_GFX90A:ACCUM_OFFSET: 0
; COMPUTE_PGM_RSRC3_GFX90A:TG_SPLIT: 0
	.section	.text._ZN7rocprim17ROCPRIM_400000_NS6detail17trampoline_kernelINS0_14default_configENS1_20scan_config_selectorIiEEZZNS1_9scan_implILNS1_25lookback_scan_determinismE0ELb0ELb0ES3_N6thrust23THRUST_200600_302600_NS6detail15normal_iteratorINS9_10device_ptrIiEEEENS9_16discard_iteratorINS9_11use_defaultEEEi11max_functorIiEiEEDaPvRmT3_T4_T5_mT6_P12ihipStream_tbENKUlT_T0_E_clISt17integral_constantIbLb0EESW_IbLb1EEEEDaSS_ST_EUlSS_E0_NS1_11comp_targetILNS1_3genE8ELNS1_11target_archE1030ELNS1_3gpuE2ELNS1_3repE0EEENS1_30default_config_static_selectorELNS0_4arch9wavefront6targetE1EEEvT1_,"axG",@progbits,_ZN7rocprim17ROCPRIM_400000_NS6detail17trampoline_kernelINS0_14default_configENS1_20scan_config_selectorIiEEZZNS1_9scan_implILNS1_25lookback_scan_determinismE0ELb0ELb0ES3_N6thrust23THRUST_200600_302600_NS6detail15normal_iteratorINS9_10device_ptrIiEEEENS9_16discard_iteratorINS9_11use_defaultEEEi11max_functorIiEiEEDaPvRmT3_T4_T5_mT6_P12ihipStream_tbENKUlT_T0_E_clISt17integral_constantIbLb0EESW_IbLb1EEEEDaSS_ST_EUlSS_E0_NS1_11comp_targetILNS1_3genE8ELNS1_11target_archE1030ELNS1_3gpuE2ELNS1_3repE0EEENS1_30default_config_static_selectorELNS0_4arch9wavefront6targetE1EEEvT1_,comdat
	.protected	_ZN7rocprim17ROCPRIM_400000_NS6detail17trampoline_kernelINS0_14default_configENS1_20scan_config_selectorIiEEZZNS1_9scan_implILNS1_25lookback_scan_determinismE0ELb0ELb0ES3_N6thrust23THRUST_200600_302600_NS6detail15normal_iteratorINS9_10device_ptrIiEEEENS9_16discard_iteratorINS9_11use_defaultEEEi11max_functorIiEiEEDaPvRmT3_T4_T5_mT6_P12ihipStream_tbENKUlT_T0_E_clISt17integral_constantIbLb0EESW_IbLb1EEEEDaSS_ST_EUlSS_E0_NS1_11comp_targetILNS1_3genE8ELNS1_11target_archE1030ELNS1_3gpuE2ELNS1_3repE0EEENS1_30default_config_static_selectorELNS0_4arch9wavefront6targetE1EEEvT1_ ; -- Begin function _ZN7rocprim17ROCPRIM_400000_NS6detail17trampoline_kernelINS0_14default_configENS1_20scan_config_selectorIiEEZZNS1_9scan_implILNS1_25lookback_scan_determinismE0ELb0ELb0ES3_N6thrust23THRUST_200600_302600_NS6detail15normal_iteratorINS9_10device_ptrIiEEEENS9_16discard_iteratorINS9_11use_defaultEEEi11max_functorIiEiEEDaPvRmT3_T4_T5_mT6_P12ihipStream_tbENKUlT_T0_E_clISt17integral_constantIbLb0EESW_IbLb1EEEEDaSS_ST_EUlSS_E0_NS1_11comp_targetILNS1_3genE8ELNS1_11target_archE1030ELNS1_3gpuE2ELNS1_3repE0EEENS1_30default_config_static_selectorELNS0_4arch9wavefront6targetE1EEEvT1_
	.globl	_ZN7rocprim17ROCPRIM_400000_NS6detail17trampoline_kernelINS0_14default_configENS1_20scan_config_selectorIiEEZZNS1_9scan_implILNS1_25lookback_scan_determinismE0ELb0ELb0ES3_N6thrust23THRUST_200600_302600_NS6detail15normal_iteratorINS9_10device_ptrIiEEEENS9_16discard_iteratorINS9_11use_defaultEEEi11max_functorIiEiEEDaPvRmT3_T4_T5_mT6_P12ihipStream_tbENKUlT_T0_E_clISt17integral_constantIbLb0EESW_IbLb1EEEEDaSS_ST_EUlSS_E0_NS1_11comp_targetILNS1_3genE8ELNS1_11target_archE1030ELNS1_3gpuE2ELNS1_3repE0EEENS1_30default_config_static_selectorELNS0_4arch9wavefront6targetE1EEEvT1_
	.p2align	8
	.type	_ZN7rocprim17ROCPRIM_400000_NS6detail17trampoline_kernelINS0_14default_configENS1_20scan_config_selectorIiEEZZNS1_9scan_implILNS1_25lookback_scan_determinismE0ELb0ELb0ES3_N6thrust23THRUST_200600_302600_NS6detail15normal_iteratorINS9_10device_ptrIiEEEENS9_16discard_iteratorINS9_11use_defaultEEEi11max_functorIiEiEEDaPvRmT3_T4_T5_mT6_P12ihipStream_tbENKUlT_T0_E_clISt17integral_constantIbLb0EESW_IbLb1EEEEDaSS_ST_EUlSS_E0_NS1_11comp_targetILNS1_3genE8ELNS1_11target_archE1030ELNS1_3gpuE2ELNS1_3repE0EEENS1_30default_config_static_selectorELNS0_4arch9wavefront6targetE1EEEvT1_,@function
_ZN7rocprim17ROCPRIM_400000_NS6detail17trampoline_kernelINS0_14default_configENS1_20scan_config_selectorIiEEZZNS1_9scan_implILNS1_25lookback_scan_determinismE0ELb0ELb0ES3_N6thrust23THRUST_200600_302600_NS6detail15normal_iteratorINS9_10device_ptrIiEEEENS9_16discard_iteratorINS9_11use_defaultEEEi11max_functorIiEiEEDaPvRmT3_T4_T5_mT6_P12ihipStream_tbENKUlT_T0_E_clISt17integral_constantIbLb0EESW_IbLb1EEEEDaSS_ST_EUlSS_E0_NS1_11comp_targetILNS1_3genE8ELNS1_11target_archE1030ELNS1_3gpuE2ELNS1_3repE0EEENS1_30default_config_static_selectorELNS0_4arch9wavefront6targetE1EEEvT1_: ; @_ZN7rocprim17ROCPRIM_400000_NS6detail17trampoline_kernelINS0_14default_configENS1_20scan_config_selectorIiEEZZNS1_9scan_implILNS1_25lookback_scan_determinismE0ELb0ELb0ES3_N6thrust23THRUST_200600_302600_NS6detail15normal_iteratorINS9_10device_ptrIiEEEENS9_16discard_iteratorINS9_11use_defaultEEEi11max_functorIiEiEEDaPvRmT3_T4_T5_mT6_P12ihipStream_tbENKUlT_T0_E_clISt17integral_constantIbLb0EESW_IbLb1EEEEDaSS_ST_EUlSS_E0_NS1_11comp_targetILNS1_3genE8ELNS1_11target_archE1030ELNS1_3gpuE2ELNS1_3repE0EEENS1_30default_config_static_selectorELNS0_4arch9wavefront6targetE1EEEvT1_
; %bb.0:
	.section	.rodata,"a",@progbits
	.p2align	6, 0x0
	.amdhsa_kernel _ZN7rocprim17ROCPRIM_400000_NS6detail17trampoline_kernelINS0_14default_configENS1_20scan_config_selectorIiEEZZNS1_9scan_implILNS1_25lookback_scan_determinismE0ELb0ELb0ES3_N6thrust23THRUST_200600_302600_NS6detail15normal_iteratorINS9_10device_ptrIiEEEENS9_16discard_iteratorINS9_11use_defaultEEEi11max_functorIiEiEEDaPvRmT3_T4_T5_mT6_P12ihipStream_tbENKUlT_T0_E_clISt17integral_constantIbLb0EESW_IbLb1EEEEDaSS_ST_EUlSS_E0_NS1_11comp_targetILNS1_3genE8ELNS1_11target_archE1030ELNS1_3gpuE2ELNS1_3repE0EEENS1_30default_config_static_selectorELNS0_4arch9wavefront6targetE1EEEvT1_
		.amdhsa_group_segment_fixed_size 0
		.amdhsa_private_segment_fixed_size 0
		.amdhsa_kernarg_size 40
		.amdhsa_user_sgpr_count 6
		.amdhsa_user_sgpr_private_segment_buffer 1
		.amdhsa_user_sgpr_dispatch_ptr 0
		.amdhsa_user_sgpr_queue_ptr 0
		.amdhsa_user_sgpr_kernarg_segment_ptr 1
		.amdhsa_user_sgpr_dispatch_id 0
		.amdhsa_user_sgpr_flat_scratch_init 0
		.amdhsa_user_sgpr_kernarg_preload_length 0
		.amdhsa_user_sgpr_kernarg_preload_offset 0
		.amdhsa_user_sgpr_private_segment_size 0
		.amdhsa_uses_dynamic_stack 0
		.amdhsa_system_sgpr_private_segment_wavefront_offset 0
		.amdhsa_system_sgpr_workgroup_id_x 1
		.amdhsa_system_sgpr_workgroup_id_y 0
		.amdhsa_system_sgpr_workgroup_id_z 0
		.amdhsa_system_sgpr_workgroup_info 0
		.amdhsa_system_vgpr_workitem_id 0
		.amdhsa_next_free_vgpr 1
		.amdhsa_next_free_sgpr 0
		.amdhsa_accum_offset 4
		.amdhsa_reserve_vcc 0
		.amdhsa_reserve_flat_scratch 0
		.amdhsa_float_round_mode_32 0
		.amdhsa_float_round_mode_16_64 0
		.amdhsa_float_denorm_mode_32 3
		.amdhsa_float_denorm_mode_16_64 3
		.amdhsa_dx10_clamp 1
		.amdhsa_ieee_mode 1
		.amdhsa_fp16_overflow 0
		.amdhsa_tg_split 0
		.amdhsa_exception_fp_ieee_invalid_op 0
		.amdhsa_exception_fp_denorm_src 0
		.amdhsa_exception_fp_ieee_div_zero 0
		.amdhsa_exception_fp_ieee_overflow 0
		.amdhsa_exception_fp_ieee_underflow 0
		.amdhsa_exception_fp_ieee_inexact 0
		.amdhsa_exception_int_div_zero 0
	.end_amdhsa_kernel
	.section	.text._ZN7rocprim17ROCPRIM_400000_NS6detail17trampoline_kernelINS0_14default_configENS1_20scan_config_selectorIiEEZZNS1_9scan_implILNS1_25lookback_scan_determinismE0ELb0ELb0ES3_N6thrust23THRUST_200600_302600_NS6detail15normal_iteratorINS9_10device_ptrIiEEEENS9_16discard_iteratorINS9_11use_defaultEEEi11max_functorIiEiEEDaPvRmT3_T4_T5_mT6_P12ihipStream_tbENKUlT_T0_E_clISt17integral_constantIbLb0EESW_IbLb1EEEEDaSS_ST_EUlSS_E0_NS1_11comp_targetILNS1_3genE8ELNS1_11target_archE1030ELNS1_3gpuE2ELNS1_3repE0EEENS1_30default_config_static_selectorELNS0_4arch9wavefront6targetE1EEEvT1_,"axG",@progbits,_ZN7rocprim17ROCPRIM_400000_NS6detail17trampoline_kernelINS0_14default_configENS1_20scan_config_selectorIiEEZZNS1_9scan_implILNS1_25lookback_scan_determinismE0ELb0ELb0ES3_N6thrust23THRUST_200600_302600_NS6detail15normal_iteratorINS9_10device_ptrIiEEEENS9_16discard_iteratorINS9_11use_defaultEEEi11max_functorIiEiEEDaPvRmT3_T4_T5_mT6_P12ihipStream_tbENKUlT_T0_E_clISt17integral_constantIbLb0EESW_IbLb1EEEEDaSS_ST_EUlSS_E0_NS1_11comp_targetILNS1_3genE8ELNS1_11target_archE1030ELNS1_3gpuE2ELNS1_3repE0EEENS1_30default_config_static_selectorELNS0_4arch9wavefront6targetE1EEEvT1_,comdat
.Lfunc_end3925:
	.size	_ZN7rocprim17ROCPRIM_400000_NS6detail17trampoline_kernelINS0_14default_configENS1_20scan_config_selectorIiEEZZNS1_9scan_implILNS1_25lookback_scan_determinismE0ELb0ELb0ES3_N6thrust23THRUST_200600_302600_NS6detail15normal_iteratorINS9_10device_ptrIiEEEENS9_16discard_iteratorINS9_11use_defaultEEEi11max_functorIiEiEEDaPvRmT3_T4_T5_mT6_P12ihipStream_tbENKUlT_T0_E_clISt17integral_constantIbLb0EESW_IbLb1EEEEDaSS_ST_EUlSS_E0_NS1_11comp_targetILNS1_3genE8ELNS1_11target_archE1030ELNS1_3gpuE2ELNS1_3repE0EEENS1_30default_config_static_selectorELNS0_4arch9wavefront6targetE1EEEvT1_, .Lfunc_end3925-_ZN7rocprim17ROCPRIM_400000_NS6detail17trampoline_kernelINS0_14default_configENS1_20scan_config_selectorIiEEZZNS1_9scan_implILNS1_25lookback_scan_determinismE0ELb0ELb0ES3_N6thrust23THRUST_200600_302600_NS6detail15normal_iteratorINS9_10device_ptrIiEEEENS9_16discard_iteratorINS9_11use_defaultEEEi11max_functorIiEiEEDaPvRmT3_T4_T5_mT6_P12ihipStream_tbENKUlT_T0_E_clISt17integral_constantIbLb0EESW_IbLb1EEEEDaSS_ST_EUlSS_E0_NS1_11comp_targetILNS1_3genE8ELNS1_11target_archE1030ELNS1_3gpuE2ELNS1_3repE0EEENS1_30default_config_static_selectorELNS0_4arch9wavefront6targetE1EEEvT1_
                                        ; -- End function
	.section	.AMDGPU.csdata,"",@progbits
; Kernel info:
; codeLenInByte = 0
; NumSgprs: 4
; NumVgprs: 0
; NumAgprs: 0
; TotalNumVgprs: 0
; ScratchSize: 0
; MemoryBound: 0
; FloatMode: 240
; IeeeMode: 1
; LDSByteSize: 0 bytes/workgroup (compile time only)
; SGPRBlocks: 0
; VGPRBlocks: 0
; NumSGPRsForWavesPerEU: 4
; NumVGPRsForWavesPerEU: 1
; AccumOffset: 4
; Occupancy: 8
; WaveLimiterHint : 0
; COMPUTE_PGM_RSRC2:SCRATCH_EN: 0
; COMPUTE_PGM_RSRC2:USER_SGPR: 6
; COMPUTE_PGM_RSRC2:TRAP_HANDLER: 0
; COMPUTE_PGM_RSRC2:TGID_X_EN: 1
; COMPUTE_PGM_RSRC2:TGID_Y_EN: 0
; COMPUTE_PGM_RSRC2:TGID_Z_EN: 0
; COMPUTE_PGM_RSRC2:TIDIG_COMP_CNT: 0
; COMPUTE_PGM_RSRC3_GFX90A:ACCUM_OFFSET: 0
; COMPUTE_PGM_RSRC3_GFX90A:TG_SPLIT: 0
	.section	.text._ZN7rocprim17ROCPRIM_400000_NS6detail17trampoline_kernelINS0_14default_configENS1_20scan_config_selectorIiEEZZNS1_9scan_implILNS1_25lookback_scan_determinismE0ELb1ELb1ES3_N6thrust23THRUST_200600_302600_NS6detail15normal_iteratorINS9_10device_ptrIiEEEENS9_16discard_iteratorINS9_11use_defaultEEEi11max_functorIiEiEEDaPvRmT3_T4_T5_mT6_P12ihipStream_tbENKUlT_T0_E_clISt17integral_constantIbLb0EESX_EEDaSS_ST_EUlSS_E_NS1_11comp_targetILNS1_3genE0ELNS1_11target_archE4294967295ELNS1_3gpuE0ELNS1_3repE0EEENS1_30default_config_static_selectorELNS0_4arch9wavefront6targetE1EEEvT1_,"axG",@progbits,_ZN7rocprim17ROCPRIM_400000_NS6detail17trampoline_kernelINS0_14default_configENS1_20scan_config_selectorIiEEZZNS1_9scan_implILNS1_25lookback_scan_determinismE0ELb1ELb1ES3_N6thrust23THRUST_200600_302600_NS6detail15normal_iteratorINS9_10device_ptrIiEEEENS9_16discard_iteratorINS9_11use_defaultEEEi11max_functorIiEiEEDaPvRmT3_T4_T5_mT6_P12ihipStream_tbENKUlT_T0_E_clISt17integral_constantIbLb0EESX_EEDaSS_ST_EUlSS_E_NS1_11comp_targetILNS1_3genE0ELNS1_11target_archE4294967295ELNS1_3gpuE0ELNS1_3repE0EEENS1_30default_config_static_selectorELNS0_4arch9wavefront6targetE1EEEvT1_,comdat
	.protected	_ZN7rocprim17ROCPRIM_400000_NS6detail17trampoline_kernelINS0_14default_configENS1_20scan_config_selectorIiEEZZNS1_9scan_implILNS1_25lookback_scan_determinismE0ELb1ELb1ES3_N6thrust23THRUST_200600_302600_NS6detail15normal_iteratorINS9_10device_ptrIiEEEENS9_16discard_iteratorINS9_11use_defaultEEEi11max_functorIiEiEEDaPvRmT3_T4_T5_mT6_P12ihipStream_tbENKUlT_T0_E_clISt17integral_constantIbLb0EESX_EEDaSS_ST_EUlSS_E_NS1_11comp_targetILNS1_3genE0ELNS1_11target_archE4294967295ELNS1_3gpuE0ELNS1_3repE0EEENS1_30default_config_static_selectorELNS0_4arch9wavefront6targetE1EEEvT1_ ; -- Begin function _ZN7rocprim17ROCPRIM_400000_NS6detail17trampoline_kernelINS0_14default_configENS1_20scan_config_selectorIiEEZZNS1_9scan_implILNS1_25lookback_scan_determinismE0ELb1ELb1ES3_N6thrust23THRUST_200600_302600_NS6detail15normal_iteratorINS9_10device_ptrIiEEEENS9_16discard_iteratorINS9_11use_defaultEEEi11max_functorIiEiEEDaPvRmT3_T4_T5_mT6_P12ihipStream_tbENKUlT_T0_E_clISt17integral_constantIbLb0EESX_EEDaSS_ST_EUlSS_E_NS1_11comp_targetILNS1_3genE0ELNS1_11target_archE4294967295ELNS1_3gpuE0ELNS1_3repE0EEENS1_30default_config_static_selectorELNS0_4arch9wavefront6targetE1EEEvT1_
	.globl	_ZN7rocprim17ROCPRIM_400000_NS6detail17trampoline_kernelINS0_14default_configENS1_20scan_config_selectorIiEEZZNS1_9scan_implILNS1_25lookback_scan_determinismE0ELb1ELb1ES3_N6thrust23THRUST_200600_302600_NS6detail15normal_iteratorINS9_10device_ptrIiEEEENS9_16discard_iteratorINS9_11use_defaultEEEi11max_functorIiEiEEDaPvRmT3_T4_T5_mT6_P12ihipStream_tbENKUlT_T0_E_clISt17integral_constantIbLb0EESX_EEDaSS_ST_EUlSS_E_NS1_11comp_targetILNS1_3genE0ELNS1_11target_archE4294967295ELNS1_3gpuE0ELNS1_3repE0EEENS1_30default_config_static_selectorELNS0_4arch9wavefront6targetE1EEEvT1_
	.p2align	8
	.type	_ZN7rocprim17ROCPRIM_400000_NS6detail17trampoline_kernelINS0_14default_configENS1_20scan_config_selectorIiEEZZNS1_9scan_implILNS1_25lookback_scan_determinismE0ELb1ELb1ES3_N6thrust23THRUST_200600_302600_NS6detail15normal_iteratorINS9_10device_ptrIiEEEENS9_16discard_iteratorINS9_11use_defaultEEEi11max_functorIiEiEEDaPvRmT3_T4_T5_mT6_P12ihipStream_tbENKUlT_T0_E_clISt17integral_constantIbLb0EESX_EEDaSS_ST_EUlSS_E_NS1_11comp_targetILNS1_3genE0ELNS1_11target_archE4294967295ELNS1_3gpuE0ELNS1_3repE0EEENS1_30default_config_static_selectorELNS0_4arch9wavefront6targetE1EEEvT1_,@function
_ZN7rocprim17ROCPRIM_400000_NS6detail17trampoline_kernelINS0_14default_configENS1_20scan_config_selectorIiEEZZNS1_9scan_implILNS1_25lookback_scan_determinismE0ELb1ELb1ES3_N6thrust23THRUST_200600_302600_NS6detail15normal_iteratorINS9_10device_ptrIiEEEENS9_16discard_iteratorINS9_11use_defaultEEEi11max_functorIiEiEEDaPvRmT3_T4_T5_mT6_P12ihipStream_tbENKUlT_T0_E_clISt17integral_constantIbLb0EESX_EEDaSS_ST_EUlSS_E_NS1_11comp_targetILNS1_3genE0ELNS1_11target_archE4294967295ELNS1_3gpuE0ELNS1_3repE0EEENS1_30default_config_static_selectorELNS0_4arch9wavefront6targetE1EEEvT1_: ; @_ZN7rocprim17ROCPRIM_400000_NS6detail17trampoline_kernelINS0_14default_configENS1_20scan_config_selectorIiEEZZNS1_9scan_implILNS1_25lookback_scan_determinismE0ELb1ELb1ES3_N6thrust23THRUST_200600_302600_NS6detail15normal_iteratorINS9_10device_ptrIiEEEENS9_16discard_iteratorINS9_11use_defaultEEEi11max_functorIiEiEEDaPvRmT3_T4_T5_mT6_P12ihipStream_tbENKUlT_T0_E_clISt17integral_constantIbLb0EESX_EEDaSS_ST_EUlSS_E_NS1_11comp_targetILNS1_3genE0ELNS1_11target_archE4294967295ELNS1_3gpuE0ELNS1_3repE0EEENS1_30default_config_static_selectorELNS0_4arch9wavefront6targetE1EEEvT1_
; %bb.0:
	.section	.rodata,"a",@progbits
	.p2align	6, 0x0
	.amdhsa_kernel _ZN7rocprim17ROCPRIM_400000_NS6detail17trampoline_kernelINS0_14default_configENS1_20scan_config_selectorIiEEZZNS1_9scan_implILNS1_25lookback_scan_determinismE0ELb1ELb1ES3_N6thrust23THRUST_200600_302600_NS6detail15normal_iteratorINS9_10device_ptrIiEEEENS9_16discard_iteratorINS9_11use_defaultEEEi11max_functorIiEiEEDaPvRmT3_T4_T5_mT6_P12ihipStream_tbENKUlT_T0_E_clISt17integral_constantIbLb0EESX_EEDaSS_ST_EUlSS_E_NS1_11comp_targetILNS1_3genE0ELNS1_11target_archE4294967295ELNS1_3gpuE0ELNS1_3repE0EEENS1_30default_config_static_selectorELNS0_4arch9wavefront6targetE1EEEvT1_
		.amdhsa_group_segment_fixed_size 0
		.amdhsa_private_segment_fixed_size 0
		.amdhsa_kernarg_size 104
		.amdhsa_user_sgpr_count 6
		.amdhsa_user_sgpr_private_segment_buffer 1
		.amdhsa_user_sgpr_dispatch_ptr 0
		.amdhsa_user_sgpr_queue_ptr 0
		.amdhsa_user_sgpr_kernarg_segment_ptr 1
		.amdhsa_user_sgpr_dispatch_id 0
		.amdhsa_user_sgpr_flat_scratch_init 0
		.amdhsa_user_sgpr_kernarg_preload_length 0
		.amdhsa_user_sgpr_kernarg_preload_offset 0
		.amdhsa_user_sgpr_private_segment_size 0
		.amdhsa_uses_dynamic_stack 0
		.amdhsa_system_sgpr_private_segment_wavefront_offset 0
		.amdhsa_system_sgpr_workgroup_id_x 1
		.amdhsa_system_sgpr_workgroup_id_y 0
		.amdhsa_system_sgpr_workgroup_id_z 0
		.amdhsa_system_sgpr_workgroup_info 0
		.amdhsa_system_vgpr_workitem_id 0
		.amdhsa_next_free_vgpr 1
		.amdhsa_next_free_sgpr 0
		.amdhsa_accum_offset 4
		.amdhsa_reserve_vcc 0
		.amdhsa_reserve_flat_scratch 0
		.amdhsa_float_round_mode_32 0
		.amdhsa_float_round_mode_16_64 0
		.amdhsa_float_denorm_mode_32 3
		.amdhsa_float_denorm_mode_16_64 3
		.amdhsa_dx10_clamp 1
		.amdhsa_ieee_mode 1
		.amdhsa_fp16_overflow 0
		.amdhsa_tg_split 0
		.amdhsa_exception_fp_ieee_invalid_op 0
		.amdhsa_exception_fp_denorm_src 0
		.amdhsa_exception_fp_ieee_div_zero 0
		.amdhsa_exception_fp_ieee_overflow 0
		.amdhsa_exception_fp_ieee_underflow 0
		.amdhsa_exception_fp_ieee_inexact 0
		.amdhsa_exception_int_div_zero 0
	.end_amdhsa_kernel
	.section	.text._ZN7rocprim17ROCPRIM_400000_NS6detail17trampoline_kernelINS0_14default_configENS1_20scan_config_selectorIiEEZZNS1_9scan_implILNS1_25lookback_scan_determinismE0ELb1ELb1ES3_N6thrust23THRUST_200600_302600_NS6detail15normal_iteratorINS9_10device_ptrIiEEEENS9_16discard_iteratorINS9_11use_defaultEEEi11max_functorIiEiEEDaPvRmT3_T4_T5_mT6_P12ihipStream_tbENKUlT_T0_E_clISt17integral_constantIbLb0EESX_EEDaSS_ST_EUlSS_E_NS1_11comp_targetILNS1_3genE0ELNS1_11target_archE4294967295ELNS1_3gpuE0ELNS1_3repE0EEENS1_30default_config_static_selectorELNS0_4arch9wavefront6targetE1EEEvT1_,"axG",@progbits,_ZN7rocprim17ROCPRIM_400000_NS6detail17trampoline_kernelINS0_14default_configENS1_20scan_config_selectorIiEEZZNS1_9scan_implILNS1_25lookback_scan_determinismE0ELb1ELb1ES3_N6thrust23THRUST_200600_302600_NS6detail15normal_iteratorINS9_10device_ptrIiEEEENS9_16discard_iteratorINS9_11use_defaultEEEi11max_functorIiEiEEDaPvRmT3_T4_T5_mT6_P12ihipStream_tbENKUlT_T0_E_clISt17integral_constantIbLb0EESX_EEDaSS_ST_EUlSS_E_NS1_11comp_targetILNS1_3genE0ELNS1_11target_archE4294967295ELNS1_3gpuE0ELNS1_3repE0EEENS1_30default_config_static_selectorELNS0_4arch9wavefront6targetE1EEEvT1_,comdat
.Lfunc_end3926:
	.size	_ZN7rocprim17ROCPRIM_400000_NS6detail17trampoline_kernelINS0_14default_configENS1_20scan_config_selectorIiEEZZNS1_9scan_implILNS1_25lookback_scan_determinismE0ELb1ELb1ES3_N6thrust23THRUST_200600_302600_NS6detail15normal_iteratorINS9_10device_ptrIiEEEENS9_16discard_iteratorINS9_11use_defaultEEEi11max_functorIiEiEEDaPvRmT3_T4_T5_mT6_P12ihipStream_tbENKUlT_T0_E_clISt17integral_constantIbLb0EESX_EEDaSS_ST_EUlSS_E_NS1_11comp_targetILNS1_3genE0ELNS1_11target_archE4294967295ELNS1_3gpuE0ELNS1_3repE0EEENS1_30default_config_static_selectorELNS0_4arch9wavefront6targetE1EEEvT1_, .Lfunc_end3926-_ZN7rocprim17ROCPRIM_400000_NS6detail17trampoline_kernelINS0_14default_configENS1_20scan_config_selectorIiEEZZNS1_9scan_implILNS1_25lookback_scan_determinismE0ELb1ELb1ES3_N6thrust23THRUST_200600_302600_NS6detail15normal_iteratorINS9_10device_ptrIiEEEENS9_16discard_iteratorINS9_11use_defaultEEEi11max_functorIiEiEEDaPvRmT3_T4_T5_mT6_P12ihipStream_tbENKUlT_T0_E_clISt17integral_constantIbLb0EESX_EEDaSS_ST_EUlSS_E_NS1_11comp_targetILNS1_3genE0ELNS1_11target_archE4294967295ELNS1_3gpuE0ELNS1_3repE0EEENS1_30default_config_static_selectorELNS0_4arch9wavefront6targetE1EEEvT1_
                                        ; -- End function
	.section	.AMDGPU.csdata,"",@progbits
; Kernel info:
; codeLenInByte = 0
; NumSgprs: 4
; NumVgprs: 0
; NumAgprs: 0
; TotalNumVgprs: 0
; ScratchSize: 0
; MemoryBound: 0
; FloatMode: 240
; IeeeMode: 1
; LDSByteSize: 0 bytes/workgroup (compile time only)
; SGPRBlocks: 0
; VGPRBlocks: 0
; NumSGPRsForWavesPerEU: 4
; NumVGPRsForWavesPerEU: 1
; AccumOffset: 4
; Occupancy: 8
; WaveLimiterHint : 0
; COMPUTE_PGM_RSRC2:SCRATCH_EN: 0
; COMPUTE_PGM_RSRC2:USER_SGPR: 6
; COMPUTE_PGM_RSRC2:TRAP_HANDLER: 0
; COMPUTE_PGM_RSRC2:TGID_X_EN: 1
; COMPUTE_PGM_RSRC2:TGID_Y_EN: 0
; COMPUTE_PGM_RSRC2:TGID_Z_EN: 0
; COMPUTE_PGM_RSRC2:TIDIG_COMP_CNT: 0
; COMPUTE_PGM_RSRC3_GFX90A:ACCUM_OFFSET: 0
; COMPUTE_PGM_RSRC3_GFX90A:TG_SPLIT: 0
	.section	.text._ZN7rocprim17ROCPRIM_400000_NS6detail17trampoline_kernelINS0_14default_configENS1_20scan_config_selectorIiEEZZNS1_9scan_implILNS1_25lookback_scan_determinismE0ELb1ELb1ES3_N6thrust23THRUST_200600_302600_NS6detail15normal_iteratorINS9_10device_ptrIiEEEENS9_16discard_iteratorINS9_11use_defaultEEEi11max_functorIiEiEEDaPvRmT3_T4_T5_mT6_P12ihipStream_tbENKUlT_T0_E_clISt17integral_constantIbLb0EESX_EEDaSS_ST_EUlSS_E_NS1_11comp_targetILNS1_3genE5ELNS1_11target_archE942ELNS1_3gpuE9ELNS1_3repE0EEENS1_30default_config_static_selectorELNS0_4arch9wavefront6targetE1EEEvT1_,"axG",@progbits,_ZN7rocprim17ROCPRIM_400000_NS6detail17trampoline_kernelINS0_14default_configENS1_20scan_config_selectorIiEEZZNS1_9scan_implILNS1_25lookback_scan_determinismE0ELb1ELb1ES3_N6thrust23THRUST_200600_302600_NS6detail15normal_iteratorINS9_10device_ptrIiEEEENS9_16discard_iteratorINS9_11use_defaultEEEi11max_functorIiEiEEDaPvRmT3_T4_T5_mT6_P12ihipStream_tbENKUlT_T0_E_clISt17integral_constantIbLb0EESX_EEDaSS_ST_EUlSS_E_NS1_11comp_targetILNS1_3genE5ELNS1_11target_archE942ELNS1_3gpuE9ELNS1_3repE0EEENS1_30default_config_static_selectorELNS0_4arch9wavefront6targetE1EEEvT1_,comdat
	.protected	_ZN7rocprim17ROCPRIM_400000_NS6detail17trampoline_kernelINS0_14default_configENS1_20scan_config_selectorIiEEZZNS1_9scan_implILNS1_25lookback_scan_determinismE0ELb1ELb1ES3_N6thrust23THRUST_200600_302600_NS6detail15normal_iteratorINS9_10device_ptrIiEEEENS9_16discard_iteratorINS9_11use_defaultEEEi11max_functorIiEiEEDaPvRmT3_T4_T5_mT6_P12ihipStream_tbENKUlT_T0_E_clISt17integral_constantIbLb0EESX_EEDaSS_ST_EUlSS_E_NS1_11comp_targetILNS1_3genE5ELNS1_11target_archE942ELNS1_3gpuE9ELNS1_3repE0EEENS1_30default_config_static_selectorELNS0_4arch9wavefront6targetE1EEEvT1_ ; -- Begin function _ZN7rocprim17ROCPRIM_400000_NS6detail17trampoline_kernelINS0_14default_configENS1_20scan_config_selectorIiEEZZNS1_9scan_implILNS1_25lookback_scan_determinismE0ELb1ELb1ES3_N6thrust23THRUST_200600_302600_NS6detail15normal_iteratorINS9_10device_ptrIiEEEENS9_16discard_iteratorINS9_11use_defaultEEEi11max_functorIiEiEEDaPvRmT3_T4_T5_mT6_P12ihipStream_tbENKUlT_T0_E_clISt17integral_constantIbLb0EESX_EEDaSS_ST_EUlSS_E_NS1_11comp_targetILNS1_3genE5ELNS1_11target_archE942ELNS1_3gpuE9ELNS1_3repE0EEENS1_30default_config_static_selectorELNS0_4arch9wavefront6targetE1EEEvT1_
	.globl	_ZN7rocprim17ROCPRIM_400000_NS6detail17trampoline_kernelINS0_14default_configENS1_20scan_config_selectorIiEEZZNS1_9scan_implILNS1_25lookback_scan_determinismE0ELb1ELb1ES3_N6thrust23THRUST_200600_302600_NS6detail15normal_iteratorINS9_10device_ptrIiEEEENS9_16discard_iteratorINS9_11use_defaultEEEi11max_functorIiEiEEDaPvRmT3_T4_T5_mT6_P12ihipStream_tbENKUlT_T0_E_clISt17integral_constantIbLb0EESX_EEDaSS_ST_EUlSS_E_NS1_11comp_targetILNS1_3genE5ELNS1_11target_archE942ELNS1_3gpuE9ELNS1_3repE0EEENS1_30default_config_static_selectorELNS0_4arch9wavefront6targetE1EEEvT1_
	.p2align	8
	.type	_ZN7rocprim17ROCPRIM_400000_NS6detail17trampoline_kernelINS0_14default_configENS1_20scan_config_selectorIiEEZZNS1_9scan_implILNS1_25lookback_scan_determinismE0ELb1ELb1ES3_N6thrust23THRUST_200600_302600_NS6detail15normal_iteratorINS9_10device_ptrIiEEEENS9_16discard_iteratorINS9_11use_defaultEEEi11max_functorIiEiEEDaPvRmT3_T4_T5_mT6_P12ihipStream_tbENKUlT_T0_E_clISt17integral_constantIbLb0EESX_EEDaSS_ST_EUlSS_E_NS1_11comp_targetILNS1_3genE5ELNS1_11target_archE942ELNS1_3gpuE9ELNS1_3repE0EEENS1_30default_config_static_selectorELNS0_4arch9wavefront6targetE1EEEvT1_,@function
_ZN7rocprim17ROCPRIM_400000_NS6detail17trampoline_kernelINS0_14default_configENS1_20scan_config_selectorIiEEZZNS1_9scan_implILNS1_25lookback_scan_determinismE0ELb1ELb1ES3_N6thrust23THRUST_200600_302600_NS6detail15normal_iteratorINS9_10device_ptrIiEEEENS9_16discard_iteratorINS9_11use_defaultEEEi11max_functorIiEiEEDaPvRmT3_T4_T5_mT6_P12ihipStream_tbENKUlT_T0_E_clISt17integral_constantIbLb0EESX_EEDaSS_ST_EUlSS_E_NS1_11comp_targetILNS1_3genE5ELNS1_11target_archE942ELNS1_3gpuE9ELNS1_3repE0EEENS1_30default_config_static_selectorELNS0_4arch9wavefront6targetE1EEEvT1_: ; @_ZN7rocprim17ROCPRIM_400000_NS6detail17trampoline_kernelINS0_14default_configENS1_20scan_config_selectorIiEEZZNS1_9scan_implILNS1_25lookback_scan_determinismE0ELb1ELb1ES3_N6thrust23THRUST_200600_302600_NS6detail15normal_iteratorINS9_10device_ptrIiEEEENS9_16discard_iteratorINS9_11use_defaultEEEi11max_functorIiEiEEDaPvRmT3_T4_T5_mT6_P12ihipStream_tbENKUlT_T0_E_clISt17integral_constantIbLb0EESX_EEDaSS_ST_EUlSS_E_NS1_11comp_targetILNS1_3genE5ELNS1_11target_archE942ELNS1_3gpuE9ELNS1_3repE0EEENS1_30default_config_static_selectorELNS0_4arch9wavefront6targetE1EEEvT1_
; %bb.0:
	.section	.rodata,"a",@progbits
	.p2align	6, 0x0
	.amdhsa_kernel _ZN7rocprim17ROCPRIM_400000_NS6detail17trampoline_kernelINS0_14default_configENS1_20scan_config_selectorIiEEZZNS1_9scan_implILNS1_25lookback_scan_determinismE0ELb1ELb1ES3_N6thrust23THRUST_200600_302600_NS6detail15normal_iteratorINS9_10device_ptrIiEEEENS9_16discard_iteratorINS9_11use_defaultEEEi11max_functorIiEiEEDaPvRmT3_T4_T5_mT6_P12ihipStream_tbENKUlT_T0_E_clISt17integral_constantIbLb0EESX_EEDaSS_ST_EUlSS_E_NS1_11comp_targetILNS1_3genE5ELNS1_11target_archE942ELNS1_3gpuE9ELNS1_3repE0EEENS1_30default_config_static_selectorELNS0_4arch9wavefront6targetE1EEEvT1_
		.amdhsa_group_segment_fixed_size 0
		.amdhsa_private_segment_fixed_size 0
		.amdhsa_kernarg_size 104
		.amdhsa_user_sgpr_count 6
		.amdhsa_user_sgpr_private_segment_buffer 1
		.amdhsa_user_sgpr_dispatch_ptr 0
		.amdhsa_user_sgpr_queue_ptr 0
		.amdhsa_user_sgpr_kernarg_segment_ptr 1
		.amdhsa_user_sgpr_dispatch_id 0
		.amdhsa_user_sgpr_flat_scratch_init 0
		.amdhsa_user_sgpr_kernarg_preload_length 0
		.amdhsa_user_sgpr_kernarg_preload_offset 0
		.amdhsa_user_sgpr_private_segment_size 0
		.amdhsa_uses_dynamic_stack 0
		.amdhsa_system_sgpr_private_segment_wavefront_offset 0
		.amdhsa_system_sgpr_workgroup_id_x 1
		.amdhsa_system_sgpr_workgroup_id_y 0
		.amdhsa_system_sgpr_workgroup_id_z 0
		.amdhsa_system_sgpr_workgroup_info 0
		.amdhsa_system_vgpr_workitem_id 0
		.amdhsa_next_free_vgpr 1
		.amdhsa_next_free_sgpr 0
		.amdhsa_accum_offset 4
		.amdhsa_reserve_vcc 0
		.amdhsa_reserve_flat_scratch 0
		.amdhsa_float_round_mode_32 0
		.amdhsa_float_round_mode_16_64 0
		.amdhsa_float_denorm_mode_32 3
		.amdhsa_float_denorm_mode_16_64 3
		.amdhsa_dx10_clamp 1
		.amdhsa_ieee_mode 1
		.amdhsa_fp16_overflow 0
		.amdhsa_tg_split 0
		.amdhsa_exception_fp_ieee_invalid_op 0
		.amdhsa_exception_fp_denorm_src 0
		.amdhsa_exception_fp_ieee_div_zero 0
		.amdhsa_exception_fp_ieee_overflow 0
		.amdhsa_exception_fp_ieee_underflow 0
		.amdhsa_exception_fp_ieee_inexact 0
		.amdhsa_exception_int_div_zero 0
	.end_amdhsa_kernel
	.section	.text._ZN7rocprim17ROCPRIM_400000_NS6detail17trampoline_kernelINS0_14default_configENS1_20scan_config_selectorIiEEZZNS1_9scan_implILNS1_25lookback_scan_determinismE0ELb1ELb1ES3_N6thrust23THRUST_200600_302600_NS6detail15normal_iteratorINS9_10device_ptrIiEEEENS9_16discard_iteratorINS9_11use_defaultEEEi11max_functorIiEiEEDaPvRmT3_T4_T5_mT6_P12ihipStream_tbENKUlT_T0_E_clISt17integral_constantIbLb0EESX_EEDaSS_ST_EUlSS_E_NS1_11comp_targetILNS1_3genE5ELNS1_11target_archE942ELNS1_3gpuE9ELNS1_3repE0EEENS1_30default_config_static_selectorELNS0_4arch9wavefront6targetE1EEEvT1_,"axG",@progbits,_ZN7rocprim17ROCPRIM_400000_NS6detail17trampoline_kernelINS0_14default_configENS1_20scan_config_selectorIiEEZZNS1_9scan_implILNS1_25lookback_scan_determinismE0ELb1ELb1ES3_N6thrust23THRUST_200600_302600_NS6detail15normal_iteratorINS9_10device_ptrIiEEEENS9_16discard_iteratorINS9_11use_defaultEEEi11max_functorIiEiEEDaPvRmT3_T4_T5_mT6_P12ihipStream_tbENKUlT_T0_E_clISt17integral_constantIbLb0EESX_EEDaSS_ST_EUlSS_E_NS1_11comp_targetILNS1_3genE5ELNS1_11target_archE942ELNS1_3gpuE9ELNS1_3repE0EEENS1_30default_config_static_selectorELNS0_4arch9wavefront6targetE1EEEvT1_,comdat
.Lfunc_end3927:
	.size	_ZN7rocprim17ROCPRIM_400000_NS6detail17trampoline_kernelINS0_14default_configENS1_20scan_config_selectorIiEEZZNS1_9scan_implILNS1_25lookback_scan_determinismE0ELb1ELb1ES3_N6thrust23THRUST_200600_302600_NS6detail15normal_iteratorINS9_10device_ptrIiEEEENS9_16discard_iteratorINS9_11use_defaultEEEi11max_functorIiEiEEDaPvRmT3_T4_T5_mT6_P12ihipStream_tbENKUlT_T0_E_clISt17integral_constantIbLb0EESX_EEDaSS_ST_EUlSS_E_NS1_11comp_targetILNS1_3genE5ELNS1_11target_archE942ELNS1_3gpuE9ELNS1_3repE0EEENS1_30default_config_static_selectorELNS0_4arch9wavefront6targetE1EEEvT1_, .Lfunc_end3927-_ZN7rocprim17ROCPRIM_400000_NS6detail17trampoline_kernelINS0_14default_configENS1_20scan_config_selectorIiEEZZNS1_9scan_implILNS1_25lookback_scan_determinismE0ELb1ELb1ES3_N6thrust23THRUST_200600_302600_NS6detail15normal_iteratorINS9_10device_ptrIiEEEENS9_16discard_iteratorINS9_11use_defaultEEEi11max_functorIiEiEEDaPvRmT3_T4_T5_mT6_P12ihipStream_tbENKUlT_T0_E_clISt17integral_constantIbLb0EESX_EEDaSS_ST_EUlSS_E_NS1_11comp_targetILNS1_3genE5ELNS1_11target_archE942ELNS1_3gpuE9ELNS1_3repE0EEENS1_30default_config_static_selectorELNS0_4arch9wavefront6targetE1EEEvT1_
                                        ; -- End function
	.section	.AMDGPU.csdata,"",@progbits
; Kernel info:
; codeLenInByte = 0
; NumSgprs: 4
; NumVgprs: 0
; NumAgprs: 0
; TotalNumVgprs: 0
; ScratchSize: 0
; MemoryBound: 0
; FloatMode: 240
; IeeeMode: 1
; LDSByteSize: 0 bytes/workgroup (compile time only)
; SGPRBlocks: 0
; VGPRBlocks: 0
; NumSGPRsForWavesPerEU: 4
; NumVGPRsForWavesPerEU: 1
; AccumOffset: 4
; Occupancy: 8
; WaveLimiterHint : 0
; COMPUTE_PGM_RSRC2:SCRATCH_EN: 0
; COMPUTE_PGM_RSRC2:USER_SGPR: 6
; COMPUTE_PGM_RSRC2:TRAP_HANDLER: 0
; COMPUTE_PGM_RSRC2:TGID_X_EN: 1
; COMPUTE_PGM_RSRC2:TGID_Y_EN: 0
; COMPUTE_PGM_RSRC2:TGID_Z_EN: 0
; COMPUTE_PGM_RSRC2:TIDIG_COMP_CNT: 0
; COMPUTE_PGM_RSRC3_GFX90A:ACCUM_OFFSET: 0
; COMPUTE_PGM_RSRC3_GFX90A:TG_SPLIT: 0
	.section	.text._ZN7rocprim17ROCPRIM_400000_NS6detail17trampoline_kernelINS0_14default_configENS1_20scan_config_selectorIiEEZZNS1_9scan_implILNS1_25lookback_scan_determinismE0ELb1ELb1ES3_N6thrust23THRUST_200600_302600_NS6detail15normal_iteratorINS9_10device_ptrIiEEEENS9_16discard_iteratorINS9_11use_defaultEEEi11max_functorIiEiEEDaPvRmT3_T4_T5_mT6_P12ihipStream_tbENKUlT_T0_E_clISt17integral_constantIbLb0EESX_EEDaSS_ST_EUlSS_E_NS1_11comp_targetILNS1_3genE4ELNS1_11target_archE910ELNS1_3gpuE8ELNS1_3repE0EEENS1_30default_config_static_selectorELNS0_4arch9wavefront6targetE1EEEvT1_,"axG",@progbits,_ZN7rocprim17ROCPRIM_400000_NS6detail17trampoline_kernelINS0_14default_configENS1_20scan_config_selectorIiEEZZNS1_9scan_implILNS1_25lookback_scan_determinismE0ELb1ELb1ES3_N6thrust23THRUST_200600_302600_NS6detail15normal_iteratorINS9_10device_ptrIiEEEENS9_16discard_iteratorINS9_11use_defaultEEEi11max_functorIiEiEEDaPvRmT3_T4_T5_mT6_P12ihipStream_tbENKUlT_T0_E_clISt17integral_constantIbLb0EESX_EEDaSS_ST_EUlSS_E_NS1_11comp_targetILNS1_3genE4ELNS1_11target_archE910ELNS1_3gpuE8ELNS1_3repE0EEENS1_30default_config_static_selectorELNS0_4arch9wavefront6targetE1EEEvT1_,comdat
	.protected	_ZN7rocprim17ROCPRIM_400000_NS6detail17trampoline_kernelINS0_14default_configENS1_20scan_config_selectorIiEEZZNS1_9scan_implILNS1_25lookback_scan_determinismE0ELb1ELb1ES3_N6thrust23THRUST_200600_302600_NS6detail15normal_iteratorINS9_10device_ptrIiEEEENS9_16discard_iteratorINS9_11use_defaultEEEi11max_functorIiEiEEDaPvRmT3_T4_T5_mT6_P12ihipStream_tbENKUlT_T0_E_clISt17integral_constantIbLb0EESX_EEDaSS_ST_EUlSS_E_NS1_11comp_targetILNS1_3genE4ELNS1_11target_archE910ELNS1_3gpuE8ELNS1_3repE0EEENS1_30default_config_static_selectorELNS0_4arch9wavefront6targetE1EEEvT1_ ; -- Begin function _ZN7rocprim17ROCPRIM_400000_NS6detail17trampoline_kernelINS0_14default_configENS1_20scan_config_selectorIiEEZZNS1_9scan_implILNS1_25lookback_scan_determinismE0ELb1ELb1ES3_N6thrust23THRUST_200600_302600_NS6detail15normal_iteratorINS9_10device_ptrIiEEEENS9_16discard_iteratorINS9_11use_defaultEEEi11max_functorIiEiEEDaPvRmT3_T4_T5_mT6_P12ihipStream_tbENKUlT_T0_E_clISt17integral_constantIbLb0EESX_EEDaSS_ST_EUlSS_E_NS1_11comp_targetILNS1_3genE4ELNS1_11target_archE910ELNS1_3gpuE8ELNS1_3repE0EEENS1_30default_config_static_selectorELNS0_4arch9wavefront6targetE1EEEvT1_
	.globl	_ZN7rocprim17ROCPRIM_400000_NS6detail17trampoline_kernelINS0_14default_configENS1_20scan_config_selectorIiEEZZNS1_9scan_implILNS1_25lookback_scan_determinismE0ELb1ELb1ES3_N6thrust23THRUST_200600_302600_NS6detail15normal_iteratorINS9_10device_ptrIiEEEENS9_16discard_iteratorINS9_11use_defaultEEEi11max_functorIiEiEEDaPvRmT3_T4_T5_mT6_P12ihipStream_tbENKUlT_T0_E_clISt17integral_constantIbLb0EESX_EEDaSS_ST_EUlSS_E_NS1_11comp_targetILNS1_3genE4ELNS1_11target_archE910ELNS1_3gpuE8ELNS1_3repE0EEENS1_30default_config_static_selectorELNS0_4arch9wavefront6targetE1EEEvT1_
	.p2align	8
	.type	_ZN7rocprim17ROCPRIM_400000_NS6detail17trampoline_kernelINS0_14default_configENS1_20scan_config_selectorIiEEZZNS1_9scan_implILNS1_25lookback_scan_determinismE0ELb1ELb1ES3_N6thrust23THRUST_200600_302600_NS6detail15normal_iteratorINS9_10device_ptrIiEEEENS9_16discard_iteratorINS9_11use_defaultEEEi11max_functorIiEiEEDaPvRmT3_T4_T5_mT6_P12ihipStream_tbENKUlT_T0_E_clISt17integral_constantIbLb0EESX_EEDaSS_ST_EUlSS_E_NS1_11comp_targetILNS1_3genE4ELNS1_11target_archE910ELNS1_3gpuE8ELNS1_3repE0EEENS1_30default_config_static_selectorELNS0_4arch9wavefront6targetE1EEEvT1_,@function
_ZN7rocprim17ROCPRIM_400000_NS6detail17trampoline_kernelINS0_14default_configENS1_20scan_config_selectorIiEEZZNS1_9scan_implILNS1_25lookback_scan_determinismE0ELb1ELb1ES3_N6thrust23THRUST_200600_302600_NS6detail15normal_iteratorINS9_10device_ptrIiEEEENS9_16discard_iteratorINS9_11use_defaultEEEi11max_functorIiEiEEDaPvRmT3_T4_T5_mT6_P12ihipStream_tbENKUlT_T0_E_clISt17integral_constantIbLb0EESX_EEDaSS_ST_EUlSS_E_NS1_11comp_targetILNS1_3genE4ELNS1_11target_archE910ELNS1_3gpuE8ELNS1_3repE0EEENS1_30default_config_static_selectorELNS0_4arch9wavefront6targetE1EEEvT1_: ; @_ZN7rocprim17ROCPRIM_400000_NS6detail17trampoline_kernelINS0_14default_configENS1_20scan_config_selectorIiEEZZNS1_9scan_implILNS1_25lookback_scan_determinismE0ELb1ELb1ES3_N6thrust23THRUST_200600_302600_NS6detail15normal_iteratorINS9_10device_ptrIiEEEENS9_16discard_iteratorINS9_11use_defaultEEEi11max_functorIiEiEEDaPvRmT3_T4_T5_mT6_P12ihipStream_tbENKUlT_T0_E_clISt17integral_constantIbLb0EESX_EEDaSS_ST_EUlSS_E_NS1_11comp_targetILNS1_3genE4ELNS1_11target_archE910ELNS1_3gpuE8ELNS1_3repE0EEENS1_30default_config_static_selectorELNS0_4arch9wavefront6targetE1EEEvT1_
; %bb.0:
	s_load_dwordx4 s[0:3], s[4:5], 0x0
	s_load_dwordx2 s[8:9], s[4:5], 0x20
	s_load_dword s7, s[4:5], 0x38
	v_lshlrev_b32_e32 v11, 2, v0
	s_waitcnt lgkmcnt(0)
	s_lshl_b64 s[2:3], s[2:3], 2
	s_add_u32 s21, s0, s2
	s_addc_u32 s22, s1, s3
	s_add_i32 s2, s7, -1
	s_mul_i32 s3, s2, 0x500
	s_sub_u32 s7, s8, s3
	s_subb_u32 s20, s9, 0
	s_mul_i32 s0, s6, 0x500
	s_mov_b32 s1, 0
	s_cmp_lg_u32 s6, s2
	s_cselect_b64 s[16:17], -1, 0
	s_lshl_b64 s[0:1], s[0:1], 2
	s_add_u32 s0, s21, s0
	s_addc_u32 s1, s22, s1
	s_mov_b64 s[2:3], -1
	s_and_b64 vcc, exec, s[16:17]
	s_cbranch_vccz .LBB3928_2
; %bb.1:
	v_mov_b32_e32 v1, s1
	v_add_co_u32_e32 v2, vcc, s0, v11
	v_addc_co_u32_e32 v3, vcc, 0, v1, vcc
	flat_load_dword v1, v[2:3]
	flat_load_dword v4, v[2:3] offset:512
	flat_load_dword v5, v[2:3] offset:1024
	;; [unrolled: 1-line block ×7, first 2 shown]
	v_add_co_u32_e32 v2, vcc, 0x1000, v2
	v_addc_co_u32_e32 v3, vcc, 0, v3, vcc
	flat_load_dword v12, v[2:3]
	flat_load_dword v13, v[2:3] offset:512
	s_mov_b64 s[2:3], 0
	s_waitcnt vmcnt(0) lgkmcnt(0)
	ds_write2st64_b32 v11, v1, v4 offset1:2
	ds_write2st64_b32 v11, v5, v6 offset0:4 offset1:6
	ds_write2st64_b32 v11, v7, v8 offset0:8 offset1:10
	;; [unrolled: 1-line block ×4, first 2 shown]
	s_waitcnt lgkmcnt(0)
	s_barrier
.LBB3928_2:
	s_load_dwordx2 s[18:19], s[4:5], 0x30
	s_andn2_b64 vcc, exec, s[2:3]
	s_cbranch_vccnz .LBB3928_24
; %bb.3:
	v_pk_mov_b32 v[2:3], s[0:1], s[0:1] op_sel:[0,1]
	flat_load_dword v1, v[2:3]
	v_cmp_gt_u32_e32 vcc, s7, v0
	s_waitcnt vmcnt(0) lgkmcnt(0)
	v_mov_b32_e32 v2, v1
	v_mov_b32_e32 v3, v1
	;; [unrolled: 1-line block ×9, first 2 shown]
	s_and_saveexec_b64 s[2:3], vcc
	s_cbranch_execz .LBB3928_5
; %bb.4:
	v_mov_b32_e32 v10, s1
	v_add_co_u32_e32 v12, vcc, s0, v11
	v_addc_co_u32_e32 v13, vcc, 0, v10, vcc
	flat_load_dword v10, v[12:13]
.LBB3928_5:
	s_or_b64 exec, exec, s[2:3]
	v_or_b32_e32 v12, 0x80, v0
	v_cmp_gt_u32_e32 vcc, s7, v12
	s_and_saveexec_b64 s[2:3], vcc
	s_cbranch_execz .LBB3928_7
; %bb.6:
	v_mov_b32_e32 v1, s1
	v_add_co_u32_e32 v12, vcc, s0, v11
	v_addc_co_u32_e32 v13, vcc, 0, v1, vcc
	flat_load_dword v1, v[12:13] offset:512
.LBB3928_7:
	s_or_b64 exec, exec, s[2:3]
	v_or_b32_e32 v12, 0x100, v0
	v_cmp_gt_u32_e32 vcc, s7, v12
	s_and_saveexec_b64 s[2:3], vcc
	s_cbranch_execz .LBB3928_9
; %bb.8:
	v_mov_b32_e32 v2, s1
	v_add_co_u32_e32 v12, vcc, s0, v11
	v_addc_co_u32_e32 v13, vcc, 0, v2, vcc
	flat_load_dword v2, v[12:13] offset:1024
.LBB3928_9:
	;; [unrolled: 11-line block ×7, first 2 shown]
	s_or_b64 exec, exec, s[2:3]
	v_or_b32_e32 v12, 0x400, v0
	v_cmp_gt_u32_e32 vcc, s7, v12
	s_and_saveexec_b64 s[2:3], vcc
	s_cbranch_execz .LBB3928_21
; %bb.20:
	v_lshlrev_b32_e32 v8, 2, v12
	v_mov_b32_e32 v13, s1
	v_add_co_u32_e32 v12, vcc, s0, v8
	v_addc_co_u32_e32 v13, vcc, 0, v13, vcc
	flat_load_dword v8, v[12:13]
.LBB3928_21:
	s_or_b64 exec, exec, s[2:3]
	v_or_b32_e32 v12, 0x480, v0
	v_cmp_gt_u32_e32 vcc, s7, v12
	s_and_saveexec_b64 s[2:3], vcc
	s_cbranch_execz .LBB3928_23
; %bb.22:
	v_lshlrev_b32_e32 v9, 2, v12
	v_mov_b32_e32 v13, s1
	v_add_co_u32_e32 v12, vcc, s0, v9
	v_addc_co_u32_e32 v13, vcc, 0, v13, vcc
	flat_load_dword v9, v[12:13]
.LBB3928_23:
	s_or_b64 exec, exec, s[2:3]
	s_waitcnt vmcnt(0) lgkmcnt(0)
	ds_write2st64_b32 v11, v10, v1 offset1:2
	ds_write2st64_b32 v11, v2, v3 offset0:4 offset1:6
	ds_write2st64_b32 v11, v4, v5 offset0:8 offset1:10
	ds_write2st64_b32 v11, v6, v7 offset0:12 offset1:14
	ds_write2st64_b32 v11, v8, v9 offset0:16 offset1:18
	s_waitcnt lgkmcnt(0)
	s_barrier
.LBB3928_24:
	v_mul_u32_u24_e32 v22, 10, v0
	v_lshlrev_b32_e32 v23, 2, v22
	s_waitcnt lgkmcnt(0)
	ds_read2_b64 v[16:19], v23 offset1:1
	ds_read2_b64 v[12:15], v23 offset0:2 offset1:3
	ds_read_b64 v[20:21], v23 offset:32
	s_cmp_lg_u32 s6, 0
	v_cmp_gt_u32_e32 vcc, 64, v0
	s_waitcnt lgkmcnt(2)
	v_max_i32_e32 v1, v16, v17
	v_max3_i32 v24, v1, v18, v19
	v_lshrrev_b32_e32 v1, 5, v0
	s_waitcnt lgkmcnt(0)
	s_barrier
	s_cbranch_scc0 .LBB3928_49
; %bb.25:
	v_max3_i32 v2, v24, v12, v13
	v_max3_i32 v2, v2, v14, v15
	;; [unrolled: 1-line block ×3, first 2 shown]
	v_add_lshl_u32 v2, v1, v0, 2
	ds_write_b32 v2, v25
	s_waitcnt lgkmcnt(0)
	s_barrier
	s_and_saveexec_b64 s[2:3], vcc
	s_cbranch_execz .LBB3928_27
; %bb.26:
	v_lshlrev_b32_e32 v2, 1, v0
	v_lshrrev_b32_e32 v3, 4, v0
	v_add_lshl_u32 v4, v3, v2, 2
	ds_read2_b32 v[2:3], v4 offset1:1
	v_mbcnt_lo_u32_b32 v5, -1, 0
	v_mbcnt_hi_u32_b32 v5, -1, v5
	v_and_b32_e32 v6, 15, v5
	v_cmp_eq_u32_e64 s[0:1], 0, v6
	s_waitcnt lgkmcnt(0)
	v_max_i32_e32 v3, v2, v3
	; wave barrier
	s_nop 1
	v_mov_b32_dpp v7, v3 row_shr:1 row_mask:0xf bank_mask:0xf
	v_max_i32_e32 v7, v7, v3
	v_cndmask_b32_e64 v3, v7, v3, s[0:1]
	v_cmp_lt_u32_e64 s[0:1], 1, v6
	s_nop 0
	v_mov_b32_dpp v7, v3 row_shr:2 row_mask:0xf bank_mask:0xf
	v_max_i32_e32 v7, v7, v3
	v_cndmask_b32_e64 v3, v3, v7, s[0:1]
	v_cmp_lt_u32_e64 s[0:1], 3, v6
	;; [unrolled: 5-line block ×3, first 2 shown]
	s_nop 0
	v_mov_b32_dpp v7, v3 row_shr:8 row_mask:0xf bank_mask:0xf
	v_max_i32_e32 v7, v7, v3
	v_cndmask_b32_e64 v3, v3, v7, s[0:1]
	v_and_b32_e32 v7, 16, v5
	v_cmp_eq_u32_e64 s[0:1], 0, v7
	v_mov_b32_dpp v6, v3 row_bcast:15 row_mask:0xf bank_mask:0xf
	v_max_i32_e32 v6, v6, v3
	v_cndmask_b32_e64 v3, v6, v3, s[0:1]
	v_cmp_lt_u32_e64 s[0:1], 31, v5
	v_and_b32_e32 v7, 64, v5
	v_mov_b32_dpp v6, v3 row_bcast:31 row_mask:0xf bank_mask:0xf
	v_max_i32_e32 v6, v6, v3
	v_cndmask_b32_e64 v3, v3, v6, s[0:1]
	v_add_u32_e32 v6, -1, v5
	v_cmp_lt_i32_e64 s[0:1], v6, v7
	v_cndmask_b32_e64 v5, v6, v5, s[0:1]
	v_lshlrev_b32_e32 v5, 2, v5
	ds_bpermute_b32 v3, v5, v3
	v_cmp_eq_u32_e64 s[0:1], 0, v0
	s_waitcnt lgkmcnt(0)
	v_max_i32_e32 v2, v3, v2
	v_cndmask_b32_e64 v2, v2, v25, s[0:1]
	ds_write_b32 v4, v2
	; wave barrier
	ds_read_b32 v3, v4 offset:4
	s_waitcnt lgkmcnt(0)
	v_max_i32_e32 v2, v2, v3
	ds_write_b32 v4, v2 offset:4
.LBB3928_27:
	s_or_b64 exec, exec, s[2:3]
	v_cmp_eq_u32_e64 s[0:1], 0, v0
	v_cmp_ne_u32_e64 s[2:3], 0, v0
	s_waitcnt lgkmcnt(0)
	s_barrier
	s_and_saveexec_b64 s[8:9], s[2:3]
	s_cbranch_execz .LBB3928_29
; %bb.28:
	v_add_u32_e32 v2, -1, v0
	v_lshrrev_b32_e32 v3, 5, v2
	v_add_lshl_u32 v2, v3, v2, 2
	ds_read_b32 v25, v2
.LBB3928_29:
	s_or_b64 exec, exec, s[8:9]
	s_and_saveexec_b64 s[8:9], vcc
	s_cbranch_execz .LBB3928_48
; %bb.30:
	v_mov_b32_e32 v9, 0
	ds_read_b32 v2, v9 offset:520
	v_mbcnt_lo_u32_b32 v3, -1, 0
	v_mbcnt_hi_u32_b32 v5, -1, v3
	s_mov_b32 s13, 0
	v_cmp_eq_u32_e64 s[2:3], 0, v5
	s_and_saveexec_b64 s[10:11], s[2:3]
	s_cbranch_execz .LBB3928_32
; %bb.31:
	s_add_i32 s12, s6, 64
	s_lshl_b64 s[12:13], s[12:13], 3
	s_add_u32 s12, s18, s12
	v_mov_b32_e32 v3, 1
	s_addc_u32 s13, s19, s13
	s_waitcnt lgkmcnt(0)
	global_store_dwordx2 v9, v[2:3], s[12:13]
.LBB3928_32:
	s_or_b64 exec, exec, s[10:11]
	v_xad_u32 v4, v5, -1, s6
	v_add_u32_e32 v8, 64, v4
	v_lshlrev_b64 v[6:7], 3, v[8:9]
	v_mov_b32_e32 v3, s19
	v_add_co_u32_e32 v10, vcc, s18, v6
	v_addc_co_u32_e32 v11, vcc, v3, v7, vcc
	global_load_dwordx2 v[6:7], v[10:11], off glc
	s_waitcnt vmcnt(0)
	v_cmp_eq_u16_sdwa s[12:13], v7, v9 src0_sel:BYTE_0 src1_sel:DWORD
	s_and_saveexec_b64 s[10:11], s[12:13]
	s_cbranch_execz .LBB3928_36
; %bb.33:
	s_mov_b64 s[12:13], 0
	v_mov_b32_e32 v3, 0
.LBB3928_34:                            ; =>This Inner Loop Header: Depth=1
	global_load_dwordx2 v[6:7], v[10:11], off glc
	s_waitcnt vmcnt(0)
	v_cmp_ne_u16_sdwa s[14:15], v7, v3 src0_sel:BYTE_0 src1_sel:DWORD
	s_or_b64 s[12:13], s[14:15], s[12:13]
	s_andn2_b64 exec, exec, s[12:13]
	s_cbranch_execnz .LBB3928_34
; %bb.35:
	s_or_b64 exec, exec, s[12:13]
.LBB3928_36:
	s_or_b64 exec, exec, s[10:11]
	v_and_b32_e32 v26, 63, v5
	v_cmp_ne_u32_e32 vcc, 63, v26
	v_mov_b32_e32 v3, 2
	v_addc_co_u32_e32 v27, vcc, 0, v5, vcc
	v_cmp_eq_u16_sdwa s[10:11], v7, v3 src0_sel:BYTE_0 src1_sel:DWORD
	v_lshlrev_b64 v[8:9], v5, -1
	v_lshlrev_b32_e32 v27, 2, v27
	v_and_b32_e32 v10, s11, v9
	ds_bpermute_b32 v28, v27, v6
	v_or_b32_e32 v10, 0x80000000, v10
	v_and_b32_e32 v11, s10, v8
	v_ffbl_b32_e32 v10, v10
	v_add_u32_e32 v10, 32, v10
	v_ffbl_b32_e32 v11, v11
	v_min_u32_e32 v10, v11, v10
	s_waitcnt lgkmcnt(0)
	v_max_i32_e32 v11, v28, v6
	v_cmp_lt_u32_e32 vcc, v26, v10
	v_cndmask_b32_e32 v6, v6, v11, vcc
	v_cmp_gt_u32_e32 vcc, 62, v26
	v_cndmask_b32_e64 v11, 0, 1, vcc
	v_lshlrev_b32_e32 v11, 1, v11
	v_add_lshl_u32 v28, v11, v5, 2
	ds_bpermute_b32 v11, v28, v6
	v_add_u32_e32 v29, 2, v26
	v_cmp_gt_u32_e32 vcc, v29, v10
	v_add_u32_e32 v31, 4, v26
	v_add_u32_e32 v33, 8, v26
	s_waitcnt lgkmcnt(0)
	v_max_i32_e32 v11, v11, v6
	v_cndmask_b32_e32 v6, v11, v6, vcc
	v_cmp_gt_u32_e32 vcc, 60, v26
	v_cndmask_b32_e64 v11, 0, 1, vcc
	v_lshlrev_b32_e32 v11, 2, v11
	v_add_lshl_u32 v30, v11, v5, 2
	ds_bpermute_b32 v11, v30, v6
	v_cmp_gt_u32_e32 vcc, v31, v10
	v_add_u32_e32 v36, 16, v26
	v_add_u32_e32 v38, 32, v26
	s_waitcnt lgkmcnt(0)
	v_max_i32_e32 v11, v11, v6
	v_cndmask_b32_e32 v6, v11, v6, vcc
	v_cmp_gt_u32_e32 vcc, 56, v26
	v_cndmask_b32_e64 v11, 0, 1, vcc
	v_lshlrev_b32_e32 v11, 3, v11
	v_add_lshl_u32 v32, v11, v5, 2
	ds_bpermute_b32 v11, v32, v6
	v_cmp_gt_u32_e32 vcc, v33, v10
	s_waitcnt lgkmcnt(0)
	v_max_i32_e32 v11, v11, v6
	v_cndmask_b32_e32 v6, v11, v6, vcc
	v_cmp_gt_u32_e32 vcc, 48, v26
	v_cndmask_b32_e64 v11, 0, 1, vcc
	v_lshlrev_b32_e32 v11, 4, v11
	v_add_lshl_u32 v34, v11, v5, 2
	ds_bpermute_b32 v11, v34, v6
	v_cmp_gt_u32_e32 vcc, v36, v10
	;; [unrolled: 9-line block ×3, first 2 shown]
	s_waitcnt lgkmcnt(0)
	v_max_i32_e32 v5, v5, v6
	v_cndmask_b32_e32 v6, v5, v6, vcc
	v_mov_b32_e32 v5, 0
	s_branch .LBB3928_38
.LBB3928_37:                            ;   in Loop: Header=BB3928_38 Depth=1
	s_or_b64 exec, exec, s[10:11]
	v_cmp_eq_u16_sdwa s[10:11], v7, v3 src0_sel:BYTE_0 src1_sel:DWORD
	v_and_b32_e32 v10, s11, v9
	ds_bpermute_b32 v39, v27, v6
	v_or_b32_e32 v10, 0x80000000, v10
	v_and_b32_e32 v11, s10, v8
	v_ffbl_b32_e32 v10, v10
	v_add_u32_e32 v10, 32, v10
	v_ffbl_b32_e32 v11, v11
	v_min_u32_e32 v10, v11, v10
	s_waitcnt lgkmcnt(0)
	v_max_i32_e32 v11, v39, v6
	v_cmp_lt_u32_e32 vcc, v26, v10
	v_cndmask_b32_e32 v6, v6, v11, vcc
	ds_bpermute_b32 v11, v28, v6
	v_cmp_gt_u32_e32 vcc, v29, v10
	v_subrev_u32_e32 v4, 64, v4
	s_waitcnt lgkmcnt(0)
	v_max_i32_e32 v11, v11, v6
	v_cndmask_b32_e32 v6, v11, v6, vcc
	ds_bpermute_b32 v11, v30, v6
	v_cmp_gt_u32_e32 vcc, v31, v10
	s_waitcnt lgkmcnt(0)
	v_max_i32_e32 v11, v11, v6
	v_cndmask_b32_e32 v6, v11, v6, vcc
	ds_bpermute_b32 v11, v32, v6
	v_cmp_gt_u32_e32 vcc, v33, v10
	;; [unrolled: 5-line block ×4, first 2 shown]
	s_waitcnt lgkmcnt(0)
	v_max_i32_e32 v11, v11, v6
	v_cndmask_b32_e32 v6, v11, v6, vcc
	v_max_i32_e32 v6, v6, v35
.LBB3928_38:                            ; =>This Loop Header: Depth=1
                                        ;     Child Loop BB3928_41 Depth 2
	v_cmp_ne_u16_sdwa s[10:11], v7, v3 src0_sel:BYTE_0 src1_sel:DWORD
	v_cndmask_b32_e64 v7, 0, 1, s[10:11]
	;;#ASMSTART
	;;#ASMEND
	v_cmp_ne_u32_e32 vcc, 0, v7
	s_cmp_lg_u64 vcc, exec
	v_mov_b32_e32 v35, v6
	s_cbranch_scc1 .LBB3928_43
; %bb.39:                               ;   in Loop: Header=BB3928_38 Depth=1
	v_lshlrev_b64 v[6:7], 3, v[4:5]
	v_mov_b32_e32 v11, s19
	v_add_co_u32_e32 v10, vcc, s18, v6
	v_addc_co_u32_e32 v11, vcc, v11, v7, vcc
	global_load_dwordx2 v[6:7], v[10:11], off glc
	s_waitcnt vmcnt(0)
	v_cmp_eq_u16_sdwa s[12:13], v7, v5 src0_sel:BYTE_0 src1_sel:DWORD
	s_and_saveexec_b64 s[10:11], s[12:13]
	s_cbranch_execz .LBB3928_37
; %bb.40:                               ;   in Loop: Header=BB3928_38 Depth=1
	s_mov_b64 s[12:13], 0
.LBB3928_41:                            ;   Parent Loop BB3928_38 Depth=1
                                        ; =>  This Inner Loop Header: Depth=2
	global_load_dwordx2 v[6:7], v[10:11], off glc
	s_waitcnt vmcnt(0)
	v_cmp_ne_u16_sdwa s[14:15], v7, v5 src0_sel:BYTE_0 src1_sel:DWORD
	s_or_b64 s[12:13], s[14:15], s[12:13]
	s_andn2_b64 exec, exec, s[12:13]
	s_cbranch_execnz .LBB3928_41
; %bb.42:                               ;   in Loop: Header=BB3928_38 Depth=1
	s_or_b64 exec, exec, s[12:13]
	s_branch .LBB3928_37
.LBB3928_43:                            ;   in Loop: Header=BB3928_38 Depth=1
                                        ; implicit-def: $vgpr6
                                        ; implicit-def: $vgpr7
	s_cbranch_execz .LBB3928_38
; %bb.44:
	s_and_saveexec_b64 s[10:11], s[2:3]
	s_cbranch_execz .LBB3928_46
; %bb.45:
	s_add_i32 s2, s6, 64
	s_mov_b32 s3, 0
	s_lshl_b64 s[2:3], s[2:3], 3
	s_add_u32 s2, s18, s2
	v_max_i32_e32 v2, v35, v2
	v_mov_b32_e32 v3, 2
	s_addc_u32 s3, s19, s3
	v_mov_b32_e32 v4, 0
	global_store_dwordx2 v4, v[2:3], s[2:3]
.LBB3928_46:
	s_or_b64 exec, exec, s[10:11]
	s_and_b64 exec, exec, s[0:1]
	s_cbranch_execz .LBB3928_48
; %bb.47:
	v_mov_b32_e32 v2, 0
	ds_write_b32 v2, v35
.LBB3928_48:
	s_or_b64 exec, exec, s[8:9]
	v_mov_b32_e32 v2, 0
	s_waitcnt lgkmcnt(0)
	s_barrier
	ds_read_b32 v2, v2
	s_waitcnt lgkmcnt(0)
	v_max_i32_e32 v3, v2, v25
	v_cndmask_b32_e64 v2, v3, v2, s[0:1]
	v_max_i32_e32 v3, v2, v16
	v_max_i32_e32 v4, v3, v17
	;; [unrolled: 1-line block ×9, first 2 shown]
	s_load_dwordx8 s[8:15], s[4:5], 0x40
	s_branch .LBB3928_59
.LBB3928_49:
                                        ; implicit-def: $vgpr2_vgpr3_vgpr4_vgpr5_vgpr6_vgpr7_vgpr8_vgpr9_vgpr10_vgpr11
	s_load_dwordx8 s[8:15], s[4:5], 0x40
	s_cbranch_execz .LBB3928_59
; %bb.50:
	s_load_dword s0, s[4:5], 0x28
	s_waitcnt lgkmcnt(0)
	s_cmp_eq_u64 s[12:13], 0
	v_mov_b32_e32 v25, s0
	s_cbranch_scc1 .LBB3928_52
; %bb.51:
	v_mov_b32_e32 v2, 0
	global_load_dword v4, v2, s[8:9]
	v_mov_b32_e32 v3, s22
	v_add_co_u32_e64 v2, vcc, -4, s21
	v_addc_co_u32_e32 v3, vcc, -1, v3, vcc
	flat_load_dword v2, v[2:3]
	s_waitcnt vmcnt(0) lgkmcnt(0)
	v_max_i32_e32 v25, v4, v2
.LBB3928_52:
	v_max3_i32 v2, v24, v12, v13
	v_max3_i32 v2, v2, v14, v15
	;; [unrolled: 1-line block ×3, first 2 shown]
	v_add_lshl_u32 v1, v1, v0, 2
	v_cmp_gt_u32_e32 vcc, 64, v0
	ds_write_b32 v1, v2
	s_waitcnt lgkmcnt(0)
	s_barrier
	s_and_saveexec_b64 s[0:1], vcc
	s_cbranch_execz .LBB3928_54
; %bb.53:
	v_lshlrev_b32_e32 v1, 1, v0
	v_lshrrev_b32_e32 v3, 4, v0
	v_add_lshl_u32 v1, v3, v1, 2
	ds_read2_b32 v[4:5], v1 offset1:1
	v_mbcnt_lo_u32_b32 v3, -1, 0
	v_mbcnt_hi_u32_b32 v3, -1, v3
	v_and_b32_e32 v6, 15, v3
	v_cmp_eq_u32_e32 vcc, 0, v6
	s_waitcnt lgkmcnt(0)
	v_max_i32_e32 v5, v4, v5
	; wave barrier
	s_nop 1
	v_mov_b32_dpp v7, v5 row_shr:1 row_mask:0xf bank_mask:0xf
	v_max_i32_e32 v7, v7, v5
	v_cndmask_b32_e32 v5, v7, v5, vcc
	v_cmp_lt_u32_e32 vcc, 1, v6
	s_nop 0
	v_mov_b32_dpp v7, v5 row_shr:2 row_mask:0xf bank_mask:0xf
	v_max_i32_e32 v7, v7, v5
	v_cndmask_b32_e32 v5, v5, v7, vcc
	v_cmp_lt_u32_e32 vcc, 3, v6
	;; [unrolled: 5-line block ×3, first 2 shown]
	s_nop 0
	v_mov_b32_dpp v7, v5 row_shr:8 row_mask:0xf bank_mask:0xf
	v_max_i32_e32 v7, v7, v5
	v_cndmask_b32_e32 v5, v5, v7, vcc
	v_and_b32_e32 v7, 16, v3
	v_cmp_eq_u32_e32 vcc, 0, v7
	v_mov_b32_dpp v6, v5 row_bcast:15 row_mask:0xf bank_mask:0xf
	v_max_i32_e32 v6, v6, v5
	v_cndmask_b32_e32 v5, v6, v5, vcc
	v_cmp_lt_u32_e32 vcc, 31, v3
	v_and_b32_e32 v7, 64, v3
	v_mov_b32_dpp v6, v5 row_bcast:31 row_mask:0xf bank_mask:0xf
	v_max_i32_e32 v6, v6, v5
	v_cndmask_b32_e32 v5, v5, v6, vcc
	v_add_u32_e32 v6, -1, v3
	v_cmp_lt_i32_e32 vcc, v6, v7
	v_cndmask_b32_e32 v3, v6, v3, vcc
	v_lshlrev_b32_e32 v3, 2, v3
	ds_bpermute_b32 v3, v3, v5
	v_cmp_eq_u32_e32 vcc, 0, v0
	s_waitcnt lgkmcnt(0)
	v_max_i32_e32 v3, v3, v4
	v_cndmask_b32_e32 v2, v3, v2, vcc
	ds_write_b32 v1, v2
	; wave barrier
	ds_read_b32 v3, v1 offset:4
	s_waitcnt lgkmcnt(0)
	v_max_i32_e32 v2, v2, v3
	ds_write_b32 v1, v2 offset:4
.LBB3928_54:
	s_or_b64 exec, exec, s[0:1]
	v_cmp_eq_u32_e32 vcc, 0, v0
	v_cmp_ne_u32_e64 s[0:1], 0, v0
	v_mov_b32_e32 v2, v25
	s_waitcnt lgkmcnt(0)
	s_barrier
	s_and_saveexec_b64 s[2:3], s[0:1]
	s_cbranch_execz .LBB3928_56
; %bb.55:
	v_add_u32_e32 v1, -1, v0
	v_lshrrev_b32_e32 v2, 5, v1
	v_add_lshl_u32 v1, v2, v1, 2
	ds_read_b32 v1, v1
	s_waitcnt lgkmcnt(0)
	v_max_i32_e32 v2, v25, v1
.LBB3928_56:
	s_or_b64 exec, exec, s[2:3]
	v_max_i32_e32 v3, v2, v16
	v_max_i32_e32 v4, v3, v17
	;; [unrolled: 1-line block ×9, first 2 shown]
	s_and_saveexec_b64 s[0:1], vcc
	s_cbranch_execz .LBB3928_58
; %bb.57:
	v_mov_b32_e32 v1, 0
	ds_read_b32 v12, v1 offset:520
	v_mov_b32_e32 v13, 2
	s_waitcnt lgkmcnt(0)
	v_max_i32_e32 v12, v25, v12
	global_store_dwordx2 v1, v[12:13], s[18:19] offset:512
.LBB3928_58:
	s_or_b64 exec, exec, s[0:1]
.LBB3928_59:
	s_mov_b64 s[0:1], -1
	s_and_b64 vcc, exec, s[16:17]
	s_waitcnt lgkmcnt(0)
	s_barrier
	ds_write2_b64 v23, v[2:3], v[4:5] offset1:1
	ds_write2_b64 v23, v[6:7], v[8:9] offset0:2 offset1:3
	ds_write_b64 v23, v[10:11] offset:32
	s_waitcnt lgkmcnt(0)
	s_cbranch_vccz .LBB3928_61
; %bb.60:
	s_barrier
	s_mov_b64 s[0:1], 0
.LBB3928_61:
	s_andn2_b64 vcc, exec, s[0:1]
	s_cbranch_vccnz .LBB3928_97
; %bb.62:
	v_cmp_lt_u64_e64 s[0:1], s[14:15], 2
	s_and_b64 vcc, exec, s[0:1]
	s_barrier
	s_cbranch_vccnz .LBB3928_97
; %bb.63:
	s_add_u32 s0, s7, -1
	s_addc_u32 s1, s20, -1
	s_add_u32 s2, 0, 0x99986000
	s_addc_u32 s3, 0, 0x59
	s_add_i32 s3, s3, 0x19999940
	s_mul_hi_u32 s7, s2, -10
	s_sub_i32 s7, s7, s2
	s_mul_i32 s8, s3, -10
	s_mul_i32 s4, s2, -10
	s_add_i32 s7, s7, s8
	s_mul_hi_u32 s5, s3, s4
	s_mul_i32 s6, s3, s4
	s_mul_i32 s9, s2, s7
	s_mul_hi_u32 s4, s2, s4
	s_mul_hi_u32 s8, s2, s7
	s_add_u32 s4, s4, s9
	s_addc_u32 s8, 0, s8
	s_add_u32 s4, s4, s6
	s_mul_hi_u32 s9, s3, s7
	s_addc_u32 s4, s8, s5
	s_addc_u32 s5, s9, 0
	s_mul_i32 s6, s3, s7
	s_add_u32 s4, s4, s6
	v_mov_b32_e32 v2, s4
	s_addc_u32 s5, 0, s5
	v_add_co_u32_e32 v2, vcc, s2, v2
	s_cmp_lg_u64 vcc, 0
	s_addc_u32 s2, s3, s5
	v_readfirstlane_b32 s5, v2
	s_mul_i32 s4, s0, s2
	s_mul_hi_u32 s6, s0, s5
	s_mul_hi_u32 s3, s0, s2
	s_add_u32 s4, s6, s4
	s_addc_u32 s3, 0, s3
	s_mul_hi_u32 s7, s1, s5
	s_mul_i32 s5, s1, s5
	s_add_u32 s4, s4, s5
	s_mul_hi_u32 s6, s1, s2
	s_addc_u32 s3, s3, s7
	s_addc_u32 s4, s6, 0
	s_mul_i32 s2, s1, s2
	s_add_u32 s2, s3, s2
	s_addc_u32 s3, 0, s4
	s_add_u32 s4, s2, 1
	s_addc_u32 s5, s3, 0
	s_add_u32 s6, s2, 2
	s_mul_i32 s8, s3, 10
	s_mul_hi_u32 s9, s2, 10
	s_addc_u32 s7, s3, 0
	s_add_i32 s9, s9, s8
	s_mul_i32 s8, s2, 10
	v_mov_b32_e32 v2, s8
	v_sub_co_u32_e32 v2, vcc, s0, v2
	s_cmp_lg_u64 vcc, 0
	s_subb_u32 s8, s1, s9
	v_subrev_co_u32_e32 v3, vcc, 10, v2
	s_cmp_lg_u64 vcc, 0
	s_subb_u32 s9, s8, 0
	v_readfirstlane_b32 s12, v3
	s_cmp_gt_u32 s12, 9
	s_cselect_b32 s12, -1, 0
	s_cmp_eq_u32 s9, 0
	s_cselect_b32 s9, s12, -1
	s_cmp_lg_u32 s9, 0
	s_cselect_b32 s4, s6, s4
	v_readfirstlane_b32 s6, v2
	s_cselect_b32 s5, s7, s5
	s_cmp_gt_u32 s6, 9
	s_cselect_b32 s6, -1, 0
	s_cmp_eq_u32 s8, 0
	s_cselect_b32 s6, s6, -1
	s_cmp_lg_u32 s6, 0
	v_mov_b32_e32 v1, 0
	s_cselect_b32 s3, s5, s3
	s_cselect_b32 s2, s4, s2
	v_cmp_eq_u64_e32 vcc, s[2:3], v[0:1]
	s_and_saveexec_b64 s[2:3], vcc
	s_cbranch_execz .LBB3928_97
; %bb.64:
	s_movk_i32 s2, 0xffdc
	v_mad_i32_i24 v2, v0, s2, v23
	v_mul_hi_u32_u24_e32 v1, 10, v0
	v_mov_b32_e32 v3, s1
	v_sub_co_u32_e32 v0, vcc, s0, v22
	v_subb_co_u32_e32 v1, vcc, v3, v1, vcc
	v_cmp_lt_i64_e32 vcc, 4, v[0:1]
	s_and_saveexec_b64 s[0:1], vcc
	s_xor_b64 s[0:1], exec, s[0:1]
	s_cbranch_execz .LBB3928_82
; %bb.65:
	v_cmp_lt_i64_e32 vcc, 6, v[0:1]
	s_and_saveexec_b64 s[2:3], vcc
	s_xor_b64 s[2:3], exec, s[2:3]
	s_cbranch_execz .LBB3928_75
; %bb.66:
	;; [unrolled: 5-line block ×4, first 2 shown]
	ds_read_b32 v0, v2 offset:4608
	v_mov_b32_e32 v1, 0
                                        ; implicit-def: $vgpr2
	s_waitcnt lgkmcnt(0)
	global_store_dword v1, v0, s[10:11]
.LBB3928_69:
	s_andn2_saveexec_b64 s[6:7], s[6:7]
	s_cbranch_execz .LBB3928_71
; %bb.70:
	ds_read_b32 v0, v2 offset:4096
	v_mov_b32_e32 v1, 0
	s_waitcnt lgkmcnt(0)
	global_store_dword v1, v0, s[10:11]
.LBB3928_71:
	s_or_b64 exec, exec, s[6:7]
                                        ; implicit-def: $vgpr2
.LBB3928_72:
	s_andn2_saveexec_b64 s[4:5], s[4:5]
	s_cbranch_execz .LBB3928_74
; %bb.73:
	ds_read_b32 v0, v2 offset:3584
	v_mov_b32_e32 v1, 0
	s_waitcnt lgkmcnt(0)
	global_store_dword v1, v0, s[10:11]
.LBB3928_74:
	s_or_b64 exec, exec, s[4:5]
                                        ; implicit-def: $vgpr2
                                        ; implicit-def: $vgpr0_vgpr1
.LBB3928_75:
	s_andn2_saveexec_b64 s[2:3], s[2:3]
	s_cbranch_execz .LBB3928_81
; %bb.76:
	v_cmp_lt_i64_e32 vcc, 5, v[0:1]
	s_and_saveexec_b64 s[4:5], vcc
	s_xor_b64 s[4:5], exec, s[4:5]
	s_cbranch_execz .LBB3928_78
; %bb.77:
	ds_read_b32 v0, v2 offset:3072
	v_mov_b32_e32 v1, 0
                                        ; implicit-def: $vgpr2
	s_waitcnt lgkmcnt(0)
	global_store_dword v1, v0, s[10:11]
.LBB3928_78:
	s_andn2_saveexec_b64 s[4:5], s[4:5]
	s_cbranch_execz .LBB3928_80
; %bb.79:
	ds_read_b32 v0, v2 offset:2560
	v_mov_b32_e32 v1, 0
	s_waitcnt lgkmcnt(0)
	global_store_dword v1, v0, s[10:11]
.LBB3928_80:
	s_or_b64 exec, exec, s[4:5]
.LBB3928_81:
	s_or_b64 exec, exec, s[2:3]
                                        ; implicit-def: $vgpr0_vgpr1
                                        ; implicit-def: $vgpr2
.LBB3928_82:
	s_andn2_saveexec_b64 s[0:1], s[0:1]
	s_cbranch_execz .LBB3928_97
; %bb.83:
	v_cmp_lt_i64_e32 vcc, 2, v[0:1]
	s_and_saveexec_b64 s[0:1], vcc
	s_xor_b64 s[0:1], exec, s[0:1]
	s_cbranch_execz .LBB3928_89
; %bb.84:
	v_cmp_lt_i64_e32 vcc, 3, v[0:1]
	s_and_saveexec_b64 s[2:3], vcc
	s_xor_b64 s[2:3], exec, s[2:3]
	s_cbranch_execz .LBB3928_86
; %bb.85:
	ds_read_b32 v0, v2 offset:2048
	v_mov_b32_e32 v1, 0
                                        ; implicit-def: $vgpr2
	s_waitcnt lgkmcnt(0)
	global_store_dword v1, v0, s[10:11]
.LBB3928_86:
	s_andn2_saveexec_b64 s[2:3], s[2:3]
	s_cbranch_execz .LBB3928_88
; %bb.87:
	ds_read_b32 v0, v2 offset:1536
	v_mov_b32_e32 v1, 0
	s_waitcnt lgkmcnt(0)
	global_store_dword v1, v0, s[10:11]
.LBB3928_88:
	s_or_b64 exec, exec, s[2:3]
                                        ; implicit-def: $vgpr0_vgpr1
                                        ; implicit-def: $vgpr2
.LBB3928_89:
	s_andn2_saveexec_b64 s[0:1], s[0:1]
	s_cbranch_execz .LBB3928_97
; %bb.90:
	v_cmp_lt_i64_e32 vcc, 1, v[0:1]
	s_and_saveexec_b64 s[0:1], vcc
	s_xor_b64 s[0:1], exec, s[0:1]
	s_cbranch_execz .LBB3928_92
; %bb.91:
	ds_read_b32 v0, v2 offset:1024
	v_mov_b32_e32 v1, 0
                                        ; implicit-def: $vgpr2
	s_waitcnt lgkmcnt(0)
	global_store_dword v1, v0, s[10:11]
                                        ; implicit-def: $vgpr0_vgpr1
.LBB3928_92:
	s_andn2_saveexec_b64 s[0:1], s[0:1]
	s_cbranch_execz .LBB3928_97
; %bb.93:
	v_cmp_ne_u64_e32 vcc, 1, v[0:1]
	s_and_saveexec_b64 s[0:1], vcc
	s_xor_b64 s[0:1], exec, s[0:1]
	s_cbranch_execz .LBB3928_95
; %bb.94:
	ds_read_b32 v0, v2
	v_mov_b32_e32 v1, 0
                                        ; implicit-def: $vgpr2
	s_waitcnt lgkmcnt(0)
	global_store_dword v1, v0, s[10:11]
.LBB3928_95:
	s_andn2_saveexec_b64 s[0:1], s[0:1]
	s_cbranch_execz .LBB3928_97
; %bb.96:
	ds_read_b32 v0, v2 offset:512
	v_mov_b32_e32 v1, 0
	s_waitcnt lgkmcnt(0)
	global_store_dword v1, v0, s[10:11]
.LBB3928_97:
	s_endpgm
	.section	.rodata,"a",@progbits
	.p2align	6, 0x0
	.amdhsa_kernel _ZN7rocprim17ROCPRIM_400000_NS6detail17trampoline_kernelINS0_14default_configENS1_20scan_config_selectorIiEEZZNS1_9scan_implILNS1_25lookback_scan_determinismE0ELb1ELb1ES3_N6thrust23THRUST_200600_302600_NS6detail15normal_iteratorINS9_10device_ptrIiEEEENS9_16discard_iteratorINS9_11use_defaultEEEi11max_functorIiEiEEDaPvRmT3_T4_T5_mT6_P12ihipStream_tbENKUlT_T0_E_clISt17integral_constantIbLb0EESX_EEDaSS_ST_EUlSS_E_NS1_11comp_targetILNS1_3genE4ELNS1_11target_archE910ELNS1_3gpuE8ELNS1_3repE0EEENS1_30default_config_static_selectorELNS0_4arch9wavefront6targetE1EEEvT1_
		.amdhsa_group_segment_fixed_size 5120
		.amdhsa_private_segment_fixed_size 0
		.amdhsa_kernarg_size 104
		.amdhsa_user_sgpr_count 6
		.amdhsa_user_sgpr_private_segment_buffer 1
		.amdhsa_user_sgpr_dispatch_ptr 0
		.amdhsa_user_sgpr_queue_ptr 0
		.amdhsa_user_sgpr_kernarg_segment_ptr 1
		.amdhsa_user_sgpr_dispatch_id 0
		.amdhsa_user_sgpr_flat_scratch_init 0
		.amdhsa_user_sgpr_kernarg_preload_length 0
		.amdhsa_user_sgpr_kernarg_preload_offset 0
		.amdhsa_user_sgpr_private_segment_size 0
		.amdhsa_uses_dynamic_stack 0
		.amdhsa_system_sgpr_private_segment_wavefront_offset 0
		.amdhsa_system_sgpr_workgroup_id_x 1
		.amdhsa_system_sgpr_workgroup_id_y 0
		.amdhsa_system_sgpr_workgroup_id_z 0
		.amdhsa_system_sgpr_workgroup_info 0
		.amdhsa_system_vgpr_workitem_id 0
		.amdhsa_next_free_vgpr 40
		.amdhsa_next_free_sgpr 23
		.amdhsa_accum_offset 40
		.amdhsa_reserve_vcc 1
		.amdhsa_reserve_flat_scratch 0
		.amdhsa_float_round_mode_32 0
		.amdhsa_float_round_mode_16_64 0
		.amdhsa_float_denorm_mode_32 3
		.amdhsa_float_denorm_mode_16_64 3
		.amdhsa_dx10_clamp 1
		.amdhsa_ieee_mode 1
		.amdhsa_fp16_overflow 0
		.amdhsa_tg_split 0
		.amdhsa_exception_fp_ieee_invalid_op 0
		.amdhsa_exception_fp_denorm_src 0
		.amdhsa_exception_fp_ieee_div_zero 0
		.amdhsa_exception_fp_ieee_overflow 0
		.amdhsa_exception_fp_ieee_underflow 0
		.amdhsa_exception_fp_ieee_inexact 0
		.amdhsa_exception_int_div_zero 0
	.end_amdhsa_kernel
	.section	.text._ZN7rocprim17ROCPRIM_400000_NS6detail17trampoline_kernelINS0_14default_configENS1_20scan_config_selectorIiEEZZNS1_9scan_implILNS1_25lookback_scan_determinismE0ELb1ELb1ES3_N6thrust23THRUST_200600_302600_NS6detail15normal_iteratorINS9_10device_ptrIiEEEENS9_16discard_iteratorINS9_11use_defaultEEEi11max_functorIiEiEEDaPvRmT3_T4_T5_mT6_P12ihipStream_tbENKUlT_T0_E_clISt17integral_constantIbLb0EESX_EEDaSS_ST_EUlSS_E_NS1_11comp_targetILNS1_3genE4ELNS1_11target_archE910ELNS1_3gpuE8ELNS1_3repE0EEENS1_30default_config_static_selectorELNS0_4arch9wavefront6targetE1EEEvT1_,"axG",@progbits,_ZN7rocprim17ROCPRIM_400000_NS6detail17trampoline_kernelINS0_14default_configENS1_20scan_config_selectorIiEEZZNS1_9scan_implILNS1_25lookback_scan_determinismE0ELb1ELb1ES3_N6thrust23THRUST_200600_302600_NS6detail15normal_iteratorINS9_10device_ptrIiEEEENS9_16discard_iteratorINS9_11use_defaultEEEi11max_functorIiEiEEDaPvRmT3_T4_T5_mT6_P12ihipStream_tbENKUlT_T0_E_clISt17integral_constantIbLb0EESX_EEDaSS_ST_EUlSS_E_NS1_11comp_targetILNS1_3genE4ELNS1_11target_archE910ELNS1_3gpuE8ELNS1_3repE0EEENS1_30default_config_static_selectorELNS0_4arch9wavefront6targetE1EEEvT1_,comdat
.Lfunc_end3928:
	.size	_ZN7rocprim17ROCPRIM_400000_NS6detail17trampoline_kernelINS0_14default_configENS1_20scan_config_selectorIiEEZZNS1_9scan_implILNS1_25lookback_scan_determinismE0ELb1ELb1ES3_N6thrust23THRUST_200600_302600_NS6detail15normal_iteratorINS9_10device_ptrIiEEEENS9_16discard_iteratorINS9_11use_defaultEEEi11max_functorIiEiEEDaPvRmT3_T4_T5_mT6_P12ihipStream_tbENKUlT_T0_E_clISt17integral_constantIbLb0EESX_EEDaSS_ST_EUlSS_E_NS1_11comp_targetILNS1_3genE4ELNS1_11target_archE910ELNS1_3gpuE8ELNS1_3repE0EEENS1_30default_config_static_selectorELNS0_4arch9wavefront6targetE1EEEvT1_, .Lfunc_end3928-_ZN7rocprim17ROCPRIM_400000_NS6detail17trampoline_kernelINS0_14default_configENS1_20scan_config_selectorIiEEZZNS1_9scan_implILNS1_25lookback_scan_determinismE0ELb1ELb1ES3_N6thrust23THRUST_200600_302600_NS6detail15normal_iteratorINS9_10device_ptrIiEEEENS9_16discard_iteratorINS9_11use_defaultEEEi11max_functorIiEiEEDaPvRmT3_T4_T5_mT6_P12ihipStream_tbENKUlT_T0_E_clISt17integral_constantIbLb0EESX_EEDaSS_ST_EUlSS_E_NS1_11comp_targetILNS1_3genE4ELNS1_11target_archE910ELNS1_3gpuE8ELNS1_3repE0EEENS1_30default_config_static_selectorELNS0_4arch9wavefront6targetE1EEEvT1_
                                        ; -- End function
	.section	.AMDGPU.csdata,"",@progbits
; Kernel info:
; codeLenInByte = 3880
; NumSgprs: 27
; NumVgprs: 40
; NumAgprs: 0
; TotalNumVgprs: 40
; ScratchSize: 0
; MemoryBound: 0
; FloatMode: 240
; IeeeMode: 1
; LDSByteSize: 5120 bytes/workgroup (compile time only)
; SGPRBlocks: 3
; VGPRBlocks: 4
; NumSGPRsForWavesPerEU: 27
; NumVGPRsForWavesPerEU: 40
; AccumOffset: 40
; Occupancy: 6
; WaveLimiterHint : 1
; COMPUTE_PGM_RSRC2:SCRATCH_EN: 0
; COMPUTE_PGM_RSRC2:USER_SGPR: 6
; COMPUTE_PGM_RSRC2:TRAP_HANDLER: 0
; COMPUTE_PGM_RSRC2:TGID_X_EN: 1
; COMPUTE_PGM_RSRC2:TGID_Y_EN: 0
; COMPUTE_PGM_RSRC2:TGID_Z_EN: 0
; COMPUTE_PGM_RSRC2:TIDIG_COMP_CNT: 0
; COMPUTE_PGM_RSRC3_GFX90A:ACCUM_OFFSET: 9
; COMPUTE_PGM_RSRC3_GFX90A:TG_SPLIT: 0
	.section	.text._ZN7rocprim17ROCPRIM_400000_NS6detail17trampoline_kernelINS0_14default_configENS1_20scan_config_selectorIiEEZZNS1_9scan_implILNS1_25lookback_scan_determinismE0ELb1ELb1ES3_N6thrust23THRUST_200600_302600_NS6detail15normal_iteratorINS9_10device_ptrIiEEEENS9_16discard_iteratorINS9_11use_defaultEEEi11max_functorIiEiEEDaPvRmT3_T4_T5_mT6_P12ihipStream_tbENKUlT_T0_E_clISt17integral_constantIbLb0EESX_EEDaSS_ST_EUlSS_E_NS1_11comp_targetILNS1_3genE3ELNS1_11target_archE908ELNS1_3gpuE7ELNS1_3repE0EEENS1_30default_config_static_selectorELNS0_4arch9wavefront6targetE1EEEvT1_,"axG",@progbits,_ZN7rocprim17ROCPRIM_400000_NS6detail17trampoline_kernelINS0_14default_configENS1_20scan_config_selectorIiEEZZNS1_9scan_implILNS1_25lookback_scan_determinismE0ELb1ELb1ES3_N6thrust23THRUST_200600_302600_NS6detail15normal_iteratorINS9_10device_ptrIiEEEENS9_16discard_iteratorINS9_11use_defaultEEEi11max_functorIiEiEEDaPvRmT3_T4_T5_mT6_P12ihipStream_tbENKUlT_T0_E_clISt17integral_constantIbLb0EESX_EEDaSS_ST_EUlSS_E_NS1_11comp_targetILNS1_3genE3ELNS1_11target_archE908ELNS1_3gpuE7ELNS1_3repE0EEENS1_30default_config_static_selectorELNS0_4arch9wavefront6targetE1EEEvT1_,comdat
	.protected	_ZN7rocprim17ROCPRIM_400000_NS6detail17trampoline_kernelINS0_14default_configENS1_20scan_config_selectorIiEEZZNS1_9scan_implILNS1_25lookback_scan_determinismE0ELb1ELb1ES3_N6thrust23THRUST_200600_302600_NS6detail15normal_iteratorINS9_10device_ptrIiEEEENS9_16discard_iteratorINS9_11use_defaultEEEi11max_functorIiEiEEDaPvRmT3_T4_T5_mT6_P12ihipStream_tbENKUlT_T0_E_clISt17integral_constantIbLb0EESX_EEDaSS_ST_EUlSS_E_NS1_11comp_targetILNS1_3genE3ELNS1_11target_archE908ELNS1_3gpuE7ELNS1_3repE0EEENS1_30default_config_static_selectorELNS0_4arch9wavefront6targetE1EEEvT1_ ; -- Begin function _ZN7rocprim17ROCPRIM_400000_NS6detail17trampoline_kernelINS0_14default_configENS1_20scan_config_selectorIiEEZZNS1_9scan_implILNS1_25lookback_scan_determinismE0ELb1ELb1ES3_N6thrust23THRUST_200600_302600_NS6detail15normal_iteratorINS9_10device_ptrIiEEEENS9_16discard_iteratorINS9_11use_defaultEEEi11max_functorIiEiEEDaPvRmT3_T4_T5_mT6_P12ihipStream_tbENKUlT_T0_E_clISt17integral_constantIbLb0EESX_EEDaSS_ST_EUlSS_E_NS1_11comp_targetILNS1_3genE3ELNS1_11target_archE908ELNS1_3gpuE7ELNS1_3repE0EEENS1_30default_config_static_selectorELNS0_4arch9wavefront6targetE1EEEvT1_
	.globl	_ZN7rocprim17ROCPRIM_400000_NS6detail17trampoline_kernelINS0_14default_configENS1_20scan_config_selectorIiEEZZNS1_9scan_implILNS1_25lookback_scan_determinismE0ELb1ELb1ES3_N6thrust23THRUST_200600_302600_NS6detail15normal_iteratorINS9_10device_ptrIiEEEENS9_16discard_iteratorINS9_11use_defaultEEEi11max_functorIiEiEEDaPvRmT3_T4_T5_mT6_P12ihipStream_tbENKUlT_T0_E_clISt17integral_constantIbLb0EESX_EEDaSS_ST_EUlSS_E_NS1_11comp_targetILNS1_3genE3ELNS1_11target_archE908ELNS1_3gpuE7ELNS1_3repE0EEENS1_30default_config_static_selectorELNS0_4arch9wavefront6targetE1EEEvT1_
	.p2align	8
	.type	_ZN7rocprim17ROCPRIM_400000_NS6detail17trampoline_kernelINS0_14default_configENS1_20scan_config_selectorIiEEZZNS1_9scan_implILNS1_25lookback_scan_determinismE0ELb1ELb1ES3_N6thrust23THRUST_200600_302600_NS6detail15normal_iteratorINS9_10device_ptrIiEEEENS9_16discard_iteratorINS9_11use_defaultEEEi11max_functorIiEiEEDaPvRmT3_T4_T5_mT6_P12ihipStream_tbENKUlT_T0_E_clISt17integral_constantIbLb0EESX_EEDaSS_ST_EUlSS_E_NS1_11comp_targetILNS1_3genE3ELNS1_11target_archE908ELNS1_3gpuE7ELNS1_3repE0EEENS1_30default_config_static_selectorELNS0_4arch9wavefront6targetE1EEEvT1_,@function
_ZN7rocprim17ROCPRIM_400000_NS6detail17trampoline_kernelINS0_14default_configENS1_20scan_config_selectorIiEEZZNS1_9scan_implILNS1_25lookback_scan_determinismE0ELb1ELb1ES3_N6thrust23THRUST_200600_302600_NS6detail15normal_iteratorINS9_10device_ptrIiEEEENS9_16discard_iteratorINS9_11use_defaultEEEi11max_functorIiEiEEDaPvRmT3_T4_T5_mT6_P12ihipStream_tbENKUlT_T0_E_clISt17integral_constantIbLb0EESX_EEDaSS_ST_EUlSS_E_NS1_11comp_targetILNS1_3genE3ELNS1_11target_archE908ELNS1_3gpuE7ELNS1_3repE0EEENS1_30default_config_static_selectorELNS0_4arch9wavefront6targetE1EEEvT1_: ; @_ZN7rocprim17ROCPRIM_400000_NS6detail17trampoline_kernelINS0_14default_configENS1_20scan_config_selectorIiEEZZNS1_9scan_implILNS1_25lookback_scan_determinismE0ELb1ELb1ES3_N6thrust23THRUST_200600_302600_NS6detail15normal_iteratorINS9_10device_ptrIiEEEENS9_16discard_iteratorINS9_11use_defaultEEEi11max_functorIiEiEEDaPvRmT3_T4_T5_mT6_P12ihipStream_tbENKUlT_T0_E_clISt17integral_constantIbLb0EESX_EEDaSS_ST_EUlSS_E_NS1_11comp_targetILNS1_3genE3ELNS1_11target_archE908ELNS1_3gpuE7ELNS1_3repE0EEENS1_30default_config_static_selectorELNS0_4arch9wavefront6targetE1EEEvT1_
; %bb.0:
	.section	.rodata,"a",@progbits
	.p2align	6, 0x0
	.amdhsa_kernel _ZN7rocprim17ROCPRIM_400000_NS6detail17trampoline_kernelINS0_14default_configENS1_20scan_config_selectorIiEEZZNS1_9scan_implILNS1_25lookback_scan_determinismE0ELb1ELb1ES3_N6thrust23THRUST_200600_302600_NS6detail15normal_iteratorINS9_10device_ptrIiEEEENS9_16discard_iteratorINS9_11use_defaultEEEi11max_functorIiEiEEDaPvRmT3_T4_T5_mT6_P12ihipStream_tbENKUlT_T0_E_clISt17integral_constantIbLb0EESX_EEDaSS_ST_EUlSS_E_NS1_11comp_targetILNS1_3genE3ELNS1_11target_archE908ELNS1_3gpuE7ELNS1_3repE0EEENS1_30default_config_static_selectorELNS0_4arch9wavefront6targetE1EEEvT1_
		.amdhsa_group_segment_fixed_size 0
		.amdhsa_private_segment_fixed_size 0
		.amdhsa_kernarg_size 104
		.amdhsa_user_sgpr_count 6
		.amdhsa_user_sgpr_private_segment_buffer 1
		.amdhsa_user_sgpr_dispatch_ptr 0
		.amdhsa_user_sgpr_queue_ptr 0
		.amdhsa_user_sgpr_kernarg_segment_ptr 1
		.amdhsa_user_sgpr_dispatch_id 0
		.amdhsa_user_sgpr_flat_scratch_init 0
		.amdhsa_user_sgpr_kernarg_preload_length 0
		.amdhsa_user_sgpr_kernarg_preload_offset 0
		.amdhsa_user_sgpr_private_segment_size 0
		.amdhsa_uses_dynamic_stack 0
		.amdhsa_system_sgpr_private_segment_wavefront_offset 0
		.amdhsa_system_sgpr_workgroup_id_x 1
		.amdhsa_system_sgpr_workgroup_id_y 0
		.amdhsa_system_sgpr_workgroup_id_z 0
		.amdhsa_system_sgpr_workgroup_info 0
		.amdhsa_system_vgpr_workitem_id 0
		.amdhsa_next_free_vgpr 1
		.amdhsa_next_free_sgpr 0
		.amdhsa_accum_offset 4
		.amdhsa_reserve_vcc 0
		.amdhsa_reserve_flat_scratch 0
		.amdhsa_float_round_mode_32 0
		.amdhsa_float_round_mode_16_64 0
		.amdhsa_float_denorm_mode_32 3
		.amdhsa_float_denorm_mode_16_64 3
		.amdhsa_dx10_clamp 1
		.amdhsa_ieee_mode 1
		.amdhsa_fp16_overflow 0
		.amdhsa_tg_split 0
		.amdhsa_exception_fp_ieee_invalid_op 0
		.amdhsa_exception_fp_denorm_src 0
		.amdhsa_exception_fp_ieee_div_zero 0
		.amdhsa_exception_fp_ieee_overflow 0
		.amdhsa_exception_fp_ieee_underflow 0
		.amdhsa_exception_fp_ieee_inexact 0
		.amdhsa_exception_int_div_zero 0
	.end_amdhsa_kernel
	.section	.text._ZN7rocprim17ROCPRIM_400000_NS6detail17trampoline_kernelINS0_14default_configENS1_20scan_config_selectorIiEEZZNS1_9scan_implILNS1_25lookback_scan_determinismE0ELb1ELb1ES3_N6thrust23THRUST_200600_302600_NS6detail15normal_iteratorINS9_10device_ptrIiEEEENS9_16discard_iteratorINS9_11use_defaultEEEi11max_functorIiEiEEDaPvRmT3_T4_T5_mT6_P12ihipStream_tbENKUlT_T0_E_clISt17integral_constantIbLb0EESX_EEDaSS_ST_EUlSS_E_NS1_11comp_targetILNS1_3genE3ELNS1_11target_archE908ELNS1_3gpuE7ELNS1_3repE0EEENS1_30default_config_static_selectorELNS0_4arch9wavefront6targetE1EEEvT1_,"axG",@progbits,_ZN7rocprim17ROCPRIM_400000_NS6detail17trampoline_kernelINS0_14default_configENS1_20scan_config_selectorIiEEZZNS1_9scan_implILNS1_25lookback_scan_determinismE0ELb1ELb1ES3_N6thrust23THRUST_200600_302600_NS6detail15normal_iteratorINS9_10device_ptrIiEEEENS9_16discard_iteratorINS9_11use_defaultEEEi11max_functorIiEiEEDaPvRmT3_T4_T5_mT6_P12ihipStream_tbENKUlT_T0_E_clISt17integral_constantIbLb0EESX_EEDaSS_ST_EUlSS_E_NS1_11comp_targetILNS1_3genE3ELNS1_11target_archE908ELNS1_3gpuE7ELNS1_3repE0EEENS1_30default_config_static_selectorELNS0_4arch9wavefront6targetE1EEEvT1_,comdat
.Lfunc_end3929:
	.size	_ZN7rocprim17ROCPRIM_400000_NS6detail17trampoline_kernelINS0_14default_configENS1_20scan_config_selectorIiEEZZNS1_9scan_implILNS1_25lookback_scan_determinismE0ELb1ELb1ES3_N6thrust23THRUST_200600_302600_NS6detail15normal_iteratorINS9_10device_ptrIiEEEENS9_16discard_iteratorINS9_11use_defaultEEEi11max_functorIiEiEEDaPvRmT3_T4_T5_mT6_P12ihipStream_tbENKUlT_T0_E_clISt17integral_constantIbLb0EESX_EEDaSS_ST_EUlSS_E_NS1_11comp_targetILNS1_3genE3ELNS1_11target_archE908ELNS1_3gpuE7ELNS1_3repE0EEENS1_30default_config_static_selectorELNS0_4arch9wavefront6targetE1EEEvT1_, .Lfunc_end3929-_ZN7rocprim17ROCPRIM_400000_NS6detail17trampoline_kernelINS0_14default_configENS1_20scan_config_selectorIiEEZZNS1_9scan_implILNS1_25lookback_scan_determinismE0ELb1ELb1ES3_N6thrust23THRUST_200600_302600_NS6detail15normal_iteratorINS9_10device_ptrIiEEEENS9_16discard_iteratorINS9_11use_defaultEEEi11max_functorIiEiEEDaPvRmT3_T4_T5_mT6_P12ihipStream_tbENKUlT_T0_E_clISt17integral_constantIbLb0EESX_EEDaSS_ST_EUlSS_E_NS1_11comp_targetILNS1_3genE3ELNS1_11target_archE908ELNS1_3gpuE7ELNS1_3repE0EEENS1_30default_config_static_selectorELNS0_4arch9wavefront6targetE1EEEvT1_
                                        ; -- End function
	.section	.AMDGPU.csdata,"",@progbits
; Kernel info:
; codeLenInByte = 0
; NumSgprs: 4
; NumVgprs: 0
; NumAgprs: 0
; TotalNumVgprs: 0
; ScratchSize: 0
; MemoryBound: 0
; FloatMode: 240
; IeeeMode: 1
; LDSByteSize: 0 bytes/workgroup (compile time only)
; SGPRBlocks: 0
; VGPRBlocks: 0
; NumSGPRsForWavesPerEU: 4
; NumVGPRsForWavesPerEU: 1
; AccumOffset: 4
; Occupancy: 8
; WaveLimiterHint : 0
; COMPUTE_PGM_RSRC2:SCRATCH_EN: 0
; COMPUTE_PGM_RSRC2:USER_SGPR: 6
; COMPUTE_PGM_RSRC2:TRAP_HANDLER: 0
; COMPUTE_PGM_RSRC2:TGID_X_EN: 1
; COMPUTE_PGM_RSRC2:TGID_Y_EN: 0
; COMPUTE_PGM_RSRC2:TGID_Z_EN: 0
; COMPUTE_PGM_RSRC2:TIDIG_COMP_CNT: 0
; COMPUTE_PGM_RSRC3_GFX90A:ACCUM_OFFSET: 0
; COMPUTE_PGM_RSRC3_GFX90A:TG_SPLIT: 0
	.section	.text._ZN7rocprim17ROCPRIM_400000_NS6detail17trampoline_kernelINS0_14default_configENS1_20scan_config_selectorIiEEZZNS1_9scan_implILNS1_25lookback_scan_determinismE0ELb1ELb1ES3_N6thrust23THRUST_200600_302600_NS6detail15normal_iteratorINS9_10device_ptrIiEEEENS9_16discard_iteratorINS9_11use_defaultEEEi11max_functorIiEiEEDaPvRmT3_T4_T5_mT6_P12ihipStream_tbENKUlT_T0_E_clISt17integral_constantIbLb0EESX_EEDaSS_ST_EUlSS_E_NS1_11comp_targetILNS1_3genE2ELNS1_11target_archE906ELNS1_3gpuE6ELNS1_3repE0EEENS1_30default_config_static_selectorELNS0_4arch9wavefront6targetE1EEEvT1_,"axG",@progbits,_ZN7rocprim17ROCPRIM_400000_NS6detail17trampoline_kernelINS0_14default_configENS1_20scan_config_selectorIiEEZZNS1_9scan_implILNS1_25lookback_scan_determinismE0ELb1ELb1ES3_N6thrust23THRUST_200600_302600_NS6detail15normal_iteratorINS9_10device_ptrIiEEEENS9_16discard_iteratorINS9_11use_defaultEEEi11max_functorIiEiEEDaPvRmT3_T4_T5_mT6_P12ihipStream_tbENKUlT_T0_E_clISt17integral_constantIbLb0EESX_EEDaSS_ST_EUlSS_E_NS1_11comp_targetILNS1_3genE2ELNS1_11target_archE906ELNS1_3gpuE6ELNS1_3repE0EEENS1_30default_config_static_selectorELNS0_4arch9wavefront6targetE1EEEvT1_,comdat
	.protected	_ZN7rocprim17ROCPRIM_400000_NS6detail17trampoline_kernelINS0_14default_configENS1_20scan_config_selectorIiEEZZNS1_9scan_implILNS1_25lookback_scan_determinismE0ELb1ELb1ES3_N6thrust23THRUST_200600_302600_NS6detail15normal_iteratorINS9_10device_ptrIiEEEENS9_16discard_iteratorINS9_11use_defaultEEEi11max_functorIiEiEEDaPvRmT3_T4_T5_mT6_P12ihipStream_tbENKUlT_T0_E_clISt17integral_constantIbLb0EESX_EEDaSS_ST_EUlSS_E_NS1_11comp_targetILNS1_3genE2ELNS1_11target_archE906ELNS1_3gpuE6ELNS1_3repE0EEENS1_30default_config_static_selectorELNS0_4arch9wavefront6targetE1EEEvT1_ ; -- Begin function _ZN7rocprim17ROCPRIM_400000_NS6detail17trampoline_kernelINS0_14default_configENS1_20scan_config_selectorIiEEZZNS1_9scan_implILNS1_25lookback_scan_determinismE0ELb1ELb1ES3_N6thrust23THRUST_200600_302600_NS6detail15normal_iteratorINS9_10device_ptrIiEEEENS9_16discard_iteratorINS9_11use_defaultEEEi11max_functorIiEiEEDaPvRmT3_T4_T5_mT6_P12ihipStream_tbENKUlT_T0_E_clISt17integral_constantIbLb0EESX_EEDaSS_ST_EUlSS_E_NS1_11comp_targetILNS1_3genE2ELNS1_11target_archE906ELNS1_3gpuE6ELNS1_3repE0EEENS1_30default_config_static_selectorELNS0_4arch9wavefront6targetE1EEEvT1_
	.globl	_ZN7rocprim17ROCPRIM_400000_NS6detail17trampoline_kernelINS0_14default_configENS1_20scan_config_selectorIiEEZZNS1_9scan_implILNS1_25lookback_scan_determinismE0ELb1ELb1ES3_N6thrust23THRUST_200600_302600_NS6detail15normal_iteratorINS9_10device_ptrIiEEEENS9_16discard_iteratorINS9_11use_defaultEEEi11max_functorIiEiEEDaPvRmT3_T4_T5_mT6_P12ihipStream_tbENKUlT_T0_E_clISt17integral_constantIbLb0EESX_EEDaSS_ST_EUlSS_E_NS1_11comp_targetILNS1_3genE2ELNS1_11target_archE906ELNS1_3gpuE6ELNS1_3repE0EEENS1_30default_config_static_selectorELNS0_4arch9wavefront6targetE1EEEvT1_
	.p2align	8
	.type	_ZN7rocprim17ROCPRIM_400000_NS6detail17trampoline_kernelINS0_14default_configENS1_20scan_config_selectorIiEEZZNS1_9scan_implILNS1_25lookback_scan_determinismE0ELb1ELb1ES3_N6thrust23THRUST_200600_302600_NS6detail15normal_iteratorINS9_10device_ptrIiEEEENS9_16discard_iteratorINS9_11use_defaultEEEi11max_functorIiEiEEDaPvRmT3_T4_T5_mT6_P12ihipStream_tbENKUlT_T0_E_clISt17integral_constantIbLb0EESX_EEDaSS_ST_EUlSS_E_NS1_11comp_targetILNS1_3genE2ELNS1_11target_archE906ELNS1_3gpuE6ELNS1_3repE0EEENS1_30default_config_static_selectorELNS0_4arch9wavefront6targetE1EEEvT1_,@function
_ZN7rocprim17ROCPRIM_400000_NS6detail17trampoline_kernelINS0_14default_configENS1_20scan_config_selectorIiEEZZNS1_9scan_implILNS1_25lookback_scan_determinismE0ELb1ELb1ES3_N6thrust23THRUST_200600_302600_NS6detail15normal_iteratorINS9_10device_ptrIiEEEENS9_16discard_iteratorINS9_11use_defaultEEEi11max_functorIiEiEEDaPvRmT3_T4_T5_mT6_P12ihipStream_tbENKUlT_T0_E_clISt17integral_constantIbLb0EESX_EEDaSS_ST_EUlSS_E_NS1_11comp_targetILNS1_3genE2ELNS1_11target_archE906ELNS1_3gpuE6ELNS1_3repE0EEENS1_30default_config_static_selectorELNS0_4arch9wavefront6targetE1EEEvT1_: ; @_ZN7rocprim17ROCPRIM_400000_NS6detail17trampoline_kernelINS0_14default_configENS1_20scan_config_selectorIiEEZZNS1_9scan_implILNS1_25lookback_scan_determinismE0ELb1ELb1ES3_N6thrust23THRUST_200600_302600_NS6detail15normal_iteratorINS9_10device_ptrIiEEEENS9_16discard_iteratorINS9_11use_defaultEEEi11max_functorIiEiEEDaPvRmT3_T4_T5_mT6_P12ihipStream_tbENKUlT_T0_E_clISt17integral_constantIbLb0EESX_EEDaSS_ST_EUlSS_E_NS1_11comp_targetILNS1_3genE2ELNS1_11target_archE906ELNS1_3gpuE6ELNS1_3repE0EEENS1_30default_config_static_selectorELNS0_4arch9wavefront6targetE1EEEvT1_
; %bb.0:
	.section	.rodata,"a",@progbits
	.p2align	6, 0x0
	.amdhsa_kernel _ZN7rocprim17ROCPRIM_400000_NS6detail17trampoline_kernelINS0_14default_configENS1_20scan_config_selectorIiEEZZNS1_9scan_implILNS1_25lookback_scan_determinismE0ELb1ELb1ES3_N6thrust23THRUST_200600_302600_NS6detail15normal_iteratorINS9_10device_ptrIiEEEENS9_16discard_iteratorINS9_11use_defaultEEEi11max_functorIiEiEEDaPvRmT3_T4_T5_mT6_P12ihipStream_tbENKUlT_T0_E_clISt17integral_constantIbLb0EESX_EEDaSS_ST_EUlSS_E_NS1_11comp_targetILNS1_3genE2ELNS1_11target_archE906ELNS1_3gpuE6ELNS1_3repE0EEENS1_30default_config_static_selectorELNS0_4arch9wavefront6targetE1EEEvT1_
		.amdhsa_group_segment_fixed_size 0
		.amdhsa_private_segment_fixed_size 0
		.amdhsa_kernarg_size 104
		.amdhsa_user_sgpr_count 6
		.amdhsa_user_sgpr_private_segment_buffer 1
		.amdhsa_user_sgpr_dispatch_ptr 0
		.amdhsa_user_sgpr_queue_ptr 0
		.amdhsa_user_sgpr_kernarg_segment_ptr 1
		.amdhsa_user_sgpr_dispatch_id 0
		.amdhsa_user_sgpr_flat_scratch_init 0
		.amdhsa_user_sgpr_kernarg_preload_length 0
		.amdhsa_user_sgpr_kernarg_preload_offset 0
		.amdhsa_user_sgpr_private_segment_size 0
		.amdhsa_uses_dynamic_stack 0
		.amdhsa_system_sgpr_private_segment_wavefront_offset 0
		.amdhsa_system_sgpr_workgroup_id_x 1
		.amdhsa_system_sgpr_workgroup_id_y 0
		.amdhsa_system_sgpr_workgroup_id_z 0
		.amdhsa_system_sgpr_workgroup_info 0
		.amdhsa_system_vgpr_workitem_id 0
		.amdhsa_next_free_vgpr 1
		.amdhsa_next_free_sgpr 0
		.amdhsa_accum_offset 4
		.amdhsa_reserve_vcc 0
		.amdhsa_reserve_flat_scratch 0
		.amdhsa_float_round_mode_32 0
		.amdhsa_float_round_mode_16_64 0
		.amdhsa_float_denorm_mode_32 3
		.amdhsa_float_denorm_mode_16_64 3
		.amdhsa_dx10_clamp 1
		.amdhsa_ieee_mode 1
		.amdhsa_fp16_overflow 0
		.amdhsa_tg_split 0
		.amdhsa_exception_fp_ieee_invalid_op 0
		.amdhsa_exception_fp_denorm_src 0
		.amdhsa_exception_fp_ieee_div_zero 0
		.amdhsa_exception_fp_ieee_overflow 0
		.amdhsa_exception_fp_ieee_underflow 0
		.amdhsa_exception_fp_ieee_inexact 0
		.amdhsa_exception_int_div_zero 0
	.end_amdhsa_kernel
	.section	.text._ZN7rocprim17ROCPRIM_400000_NS6detail17trampoline_kernelINS0_14default_configENS1_20scan_config_selectorIiEEZZNS1_9scan_implILNS1_25lookback_scan_determinismE0ELb1ELb1ES3_N6thrust23THRUST_200600_302600_NS6detail15normal_iteratorINS9_10device_ptrIiEEEENS9_16discard_iteratorINS9_11use_defaultEEEi11max_functorIiEiEEDaPvRmT3_T4_T5_mT6_P12ihipStream_tbENKUlT_T0_E_clISt17integral_constantIbLb0EESX_EEDaSS_ST_EUlSS_E_NS1_11comp_targetILNS1_3genE2ELNS1_11target_archE906ELNS1_3gpuE6ELNS1_3repE0EEENS1_30default_config_static_selectorELNS0_4arch9wavefront6targetE1EEEvT1_,"axG",@progbits,_ZN7rocprim17ROCPRIM_400000_NS6detail17trampoline_kernelINS0_14default_configENS1_20scan_config_selectorIiEEZZNS1_9scan_implILNS1_25lookback_scan_determinismE0ELb1ELb1ES3_N6thrust23THRUST_200600_302600_NS6detail15normal_iteratorINS9_10device_ptrIiEEEENS9_16discard_iteratorINS9_11use_defaultEEEi11max_functorIiEiEEDaPvRmT3_T4_T5_mT6_P12ihipStream_tbENKUlT_T0_E_clISt17integral_constantIbLb0EESX_EEDaSS_ST_EUlSS_E_NS1_11comp_targetILNS1_3genE2ELNS1_11target_archE906ELNS1_3gpuE6ELNS1_3repE0EEENS1_30default_config_static_selectorELNS0_4arch9wavefront6targetE1EEEvT1_,comdat
.Lfunc_end3930:
	.size	_ZN7rocprim17ROCPRIM_400000_NS6detail17trampoline_kernelINS0_14default_configENS1_20scan_config_selectorIiEEZZNS1_9scan_implILNS1_25lookback_scan_determinismE0ELb1ELb1ES3_N6thrust23THRUST_200600_302600_NS6detail15normal_iteratorINS9_10device_ptrIiEEEENS9_16discard_iteratorINS9_11use_defaultEEEi11max_functorIiEiEEDaPvRmT3_T4_T5_mT6_P12ihipStream_tbENKUlT_T0_E_clISt17integral_constantIbLb0EESX_EEDaSS_ST_EUlSS_E_NS1_11comp_targetILNS1_3genE2ELNS1_11target_archE906ELNS1_3gpuE6ELNS1_3repE0EEENS1_30default_config_static_selectorELNS0_4arch9wavefront6targetE1EEEvT1_, .Lfunc_end3930-_ZN7rocprim17ROCPRIM_400000_NS6detail17trampoline_kernelINS0_14default_configENS1_20scan_config_selectorIiEEZZNS1_9scan_implILNS1_25lookback_scan_determinismE0ELb1ELb1ES3_N6thrust23THRUST_200600_302600_NS6detail15normal_iteratorINS9_10device_ptrIiEEEENS9_16discard_iteratorINS9_11use_defaultEEEi11max_functorIiEiEEDaPvRmT3_T4_T5_mT6_P12ihipStream_tbENKUlT_T0_E_clISt17integral_constantIbLb0EESX_EEDaSS_ST_EUlSS_E_NS1_11comp_targetILNS1_3genE2ELNS1_11target_archE906ELNS1_3gpuE6ELNS1_3repE0EEENS1_30default_config_static_selectorELNS0_4arch9wavefront6targetE1EEEvT1_
                                        ; -- End function
	.section	.AMDGPU.csdata,"",@progbits
; Kernel info:
; codeLenInByte = 0
; NumSgprs: 4
; NumVgprs: 0
; NumAgprs: 0
; TotalNumVgprs: 0
; ScratchSize: 0
; MemoryBound: 0
; FloatMode: 240
; IeeeMode: 1
; LDSByteSize: 0 bytes/workgroup (compile time only)
; SGPRBlocks: 0
; VGPRBlocks: 0
; NumSGPRsForWavesPerEU: 4
; NumVGPRsForWavesPerEU: 1
; AccumOffset: 4
; Occupancy: 8
; WaveLimiterHint : 0
; COMPUTE_PGM_RSRC2:SCRATCH_EN: 0
; COMPUTE_PGM_RSRC2:USER_SGPR: 6
; COMPUTE_PGM_RSRC2:TRAP_HANDLER: 0
; COMPUTE_PGM_RSRC2:TGID_X_EN: 1
; COMPUTE_PGM_RSRC2:TGID_Y_EN: 0
; COMPUTE_PGM_RSRC2:TGID_Z_EN: 0
; COMPUTE_PGM_RSRC2:TIDIG_COMP_CNT: 0
; COMPUTE_PGM_RSRC3_GFX90A:ACCUM_OFFSET: 0
; COMPUTE_PGM_RSRC3_GFX90A:TG_SPLIT: 0
	.section	.text._ZN7rocprim17ROCPRIM_400000_NS6detail17trampoline_kernelINS0_14default_configENS1_20scan_config_selectorIiEEZZNS1_9scan_implILNS1_25lookback_scan_determinismE0ELb1ELb1ES3_N6thrust23THRUST_200600_302600_NS6detail15normal_iteratorINS9_10device_ptrIiEEEENS9_16discard_iteratorINS9_11use_defaultEEEi11max_functorIiEiEEDaPvRmT3_T4_T5_mT6_P12ihipStream_tbENKUlT_T0_E_clISt17integral_constantIbLb0EESX_EEDaSS_ST_EUlSS_E_NS1_11comp_targetILNS1_3genE10ELNS1_11target_archE1201ELNS1_3gpuE5ELNS1_3repE0EEENS1_30default_config_static_selectorELNS0_4arch9wavefront6targetE1EEEvT1_,"axG",@progbits,_ZN7rocprim17ROCPRIM_400000_NS6detail17trampoline_kernelINS0_14default_configENS1_20scan_config_selectorIiEEZZNS1_9scan_implILNS1_25lookback_scan_determinismE0ELb1ELb1ES3_N6thrust23THRUST_200600_302600_NS6detail15normal_iteratorINS9_10device_ptrIiEEEENS9_16discard_iteratorINS9_11use_defaultEEEi11max_functorIiEiEEDaPvRmT3_T4_T5_mT6_P12ihipStream_tbENKUlT_T0_E_clISt17integral_constantIbLb0EESX_EEDaSS_ST_EUlSS_E_NS1_11comp_targetILNS1_3genE10ELNS1_11target_archE1201ELNS1_3gpuE5ELNS1_3repE0EEENS1_30default_config_static_selectorELNS0_4arch9wavefront6targetE1EEEvT1_,comdat
	.protected	_ZN7rocprim17ROCPRIM_400000_NS6detail17trampoline_kernelINS0_14default_configENS1_20scan_config_selectorIiEEZZNS1_9scan_implILNS1_25lookback_scan_determinismE0ELb1ELb1ES3_N6thrust23THRUST_200600_302600_NS6detail15normal_iteratorINS9_10device_ptrIiEEEENS9_16discard_iteratorINS9_11use_defaultEEEi11max_functorIiEiEEDaPvRmT3_T4_T5_mT6_P12ihipStream_tbENKUlT_T0_E_clISt17integral_constantIbLb0EESX_EEDaSS_ST_EUlSS_E_NS1_11comp_targetILNS1_3genE10ELNS1_11target_archE1201ELNS1_3gpuE5ELNS1_3repE0EEENS1_30default_config_static_selectorELNS0_4arch9wavefront6targetE1EEEvT1_ ; -- Begin function _ZN7rocprim17ROCPRIM_400000_NS6detail17trampoline_kernelINS0_14default_configENS1_20scan_config_selectorIiEEZZNS1_9scan_implILNS1_25lookback_scan_determinismE0ELb1ELb1ES3_N6thrust23THRUST_200600_302600_NS6detail15normal_iteratorINS9_10device_ptrIiEEEENS9_16discard_iteratorINS9_11use_defaultEEEi11max_functorIiEiEEDaPvRmT3_T4_T5_mT6_P12ihipStream_tbENKUlT_T0_E_clISt17integral_constantIbLb0EESX_EEDaSS_ST_EUlSS_E_NS1_11comp_targetILNS1_3genE10ELNS1_11target_archE1201ELNS1_3gpuE5ELNS1_3repE0EEENS1_30default_config_static_selectorELNS0_4arch9wavefront6targetE1EEEvT1_
	.globl	_ZN7rocprim17ROCPRIM_400000_NS6detail17trampoline_kernelINS0_14default_configENS1_20scan_config_selectorIiEEZZNS1_9scan_implILNS1_25lookback_scan_determinismE0ELb1ELb1ES3_N6thrust23THRUST_200600_302600_NS6detail15normal_iteratorINS9_10device_ptrIiEEEENS9_16discard_iteratorINS9_11use_defaultEEEi11max_functorIiEiEEDaPvRmT3_T4_T5_mT6_P12ihipStream_tbENKUlT_T0_E_clISt17integral_constantIbLb0EESX_EEDaSS_ST_EUlSS_E_NS1_11comp_targetILNS1_3genE10ELNS1_11target_archE1201ELNS1_3gpuE5ELNS1_3repE0EEENS1_30default_config_static_selectorELNS0_4arch9wavefront6targetE1EEEvT1_
	.p2align	8
	.type	_ZN7rocprim17ROCPRIM_400000_NS6detail17trampoline_kernelINS0_14default_configENS1_20scan_config_selectorIiEEZZNS1_9scan_implILNS1_25lookback_scan_determinismE0ELb1ELb1ES3_N6thrust23THRUST_200600_302600_NS6detail15normal_iteratorINS9_10device_ptrIiEEEENS9_16discard_iteratorINS9_11use_defaultEEEi11max_functorIiEiEEDaPvRmT3_T4_T5_mT6_P12ihipStream_tbENKUlT_T0_E_clISt17integral_constantIbLb0EESX_EEDaSS_ST_EUlSS_E_NS1_11comp_targetILNS1_3genE10ELNS1_11target_archE1201ELNS1_3gpuE5ELNS1_3repE0EEENS1_30default_config_static_selectorELNS0_4arch9wavefront6targetE1EEEvT1_,@function
_ZN7rocprim17ROCPRIM_400000_NS6detail17trampoline_kernelINS0_14default_configENS1_20scan_config_selectorIiEEZZNS1_9scan_implILNS1_25lookback_scan_determinismE0ELb1ELb1ES3_N6thrust23THRUST_200600_302600_NS6detail15normal_iteratorINS9_10device_ptrIiEEEENS9_16discard_iteratorINS9_11use_defaultEEEi11max_functorIiEiEEDaPvRmT3_T4_T5_mT6_P12ihipStream_tbENKUlT_T0_E_clISt17integral_constantIbLb0EESX_EEDaSS_ST_EUlSS_E_NS1_11comp_targetILNS1_3genE10ELNS1_11target_archE1201ELNS1_3gpuE5ELNS1_3repE0EEENS1_30default_config_static_selectorELNS0_4arch9wavefront6targetE1EEEvT1_: ; @_ZN7rocprim17ROCPRIM_400000_NS6detail17trampoline_kernelINS0_14default_configENS1_20scan_config_selectorIiEEZZNS1_9scan_implILNS1_25lookback_scan_determinismE0ELb1ELb1ES3_N6thrust23THRUST_200600_302600_NS6detail15normal_iteratorINS9_10device_ptrIiEEEENS9_16discard_iteratorINS9_11use_defaultEEEi11max_functorIiEiEEDaPvRmT3_T4_T5_mT6_P12ihipStream_tbENKUlT_T0_E_clISt17integral_constantIbLb0EESX_EEDaSS_ST_EUlSS_E_NS1_11comp_targetILNS1_3genE10ELNS1_11target_archE1201ELNS1_3gpuE5ELNS1_3repE0EEENS1_30default_config_static_selectorELNS0_4arch9wavefront6targetE1EEEvT1_
; %bb.0:
	.section	.rodata,"a",@progbits
	.p2align	6, 0x0
	.amdhsa_kernel _ZN7rocprim17ROCPRIM_400000_NS6detail17trampoline_kernelINS0_14default_configENS1_20scan_config_selectorIiEEZZNS1_9scan_implILNS1_25lookback_scan_determinismE0ELb1ELb1ES3_N6thrust23THRUST_200600_302600_NS6detail15normal_iteratorINS9_10device_ptrIiEEEENS9_16discard_iteratorINS9_11use_defaultEEEi11max_functorIiEiEEDaPvRmT3_T4_T5_mT6_P12ihipStream_tbENKUlT_T0_E_clISt17integral_constantIbLb0EESX_EEDaSS_ST_EUlSS_E_NS1_11comp_targetILNS1_3genE10ELNS1_11target_archE1201ELNS1_3gpuE5ELNS1_3repE0EEENS1_30default_config_static_selectorELNS0_4arch9wavefront6targetE1EEEvT1_
		.amdhsa_group_segment_fixed_size 0
		.amdhsa_private_segment_fixed_size 0
		.amdhsa_kernarg_size 104
		.amdhsa_user_sgpr_count 6
		.amdhsa_user_sgpr_private_segment_buffer 1
		.amdhsa_user_sgpr_dispatch_ptr 0
		.amdhsa_user_sgpr_queue_ptr 0
		.amdhsa_user_sgpr_kernarg_segment_ptr 1
		.amdhsa_user_sgpr_dispatch_id 0
		.amdhsa_user_sgpr_flat_scratch_init 0
		.amdhsa_user_sgpr_kernarg_preload_length 0
		.amdhsa_user_sgpr_kernarg_preload_offset 0
		.amdhsa_user_sgpr_private_segment_size 0
		.amdhsa_uses_dynamic_stack 0
		.amdhsa_system_sgpr_private_segment_wavefront_offset 0
		.amdhsa_system_sgpr_workgroup_id_x 1
		.amdhsa_system_sgpr_workgroup_id_y 0
		.amdhsa_system_sgpr_workgroup_id_z 0
		.amdhsa_system_sgpr_workgroup_info 0
		.amdhsa_system_vgpr_workitem_id 0
		.amdhsa_next_free_vgpr 1
		.amdhsa_next_free_sgpr 0
		.amdhsa_accum_offset 4
		.amdhsa_reserve_vcc 0
		.amdhsa_reserve_flat_scratch 0
		.amdhsa_float_round_mode_32 0
		.amdhsa_float_round_mode_16_64 0
		.amdhsa_float_denorm_mode_32 3
		.amdhsa_float_denorm_mode_16_64 3
		.amdhsa_dx10_clamp 1
		.amdhsa_ieee_mode 1
		.amdhsa_fp16_overflow 0
		.amdhsa_tg_split 0
		.amdhsa_exception_fp_ieee_invalid_op 0
		.amdhsa_exception_fp_denorm_src 0
		.amdhsa_exception_fp_ieee_div_zero 0
		.amdhsa_exception_fp_ieee_overflow 0
		.amdhsa_exception_fp_ieee_underflow 0
		.amdhsa_exception_fp_ieee_inexact 0
		.amdhsa_exception_int_div_zero 0
	.end_amdhsa_kernel
	.section	.text._ZN7rocprim17ROCPRIM_400000_NS6detail17trampoline_kernelINS0_14default_configENS1_20scan_config_selectorIiEEZZNS1_9scan_implILNS1_25lookback_scan_determinismE0ELb1ELb1ES3_N6thrust23THRUST_200600_302600_NS6detail15normal_iteratorINS9_10device_ptrIiEEEENS9_16discard_iteratorINS9_11use_defaultEEEi11max_functorIiEiEEDaPvRmT3_T4_T5_mT6_P12ihipStream_tbENKUlT_T0_E_clISt17integral_constantIbLb0EESX_EEDaSS_ST_EUlSS_E_NS1_11comp_targetILNS1_3genE10ELNS1_11target_archE1201ELNS1_3gpuE5ELNS1_3repE0EEENS1_30default_config_static_selectorELNS0_4arch9wavefront6targetE1EEEvT1_,"axG",@progbits,_ZN7rocprim17ROCPRIM_400000_NS6detail17trampoline_kernelINS0_14default_configENS1_20scan_config_selectorIiEEZZNS1_9scan_implILNS1_25lookback_scan_determinismE0ELb1ELb1ES3_N6thrust23THRUST_200600_302600_NS6detail15normal_iteratorINS9_10device_ptrIiEEEENS9_16discard_iteratorINS9_11use_defaultEEEi11max_functorIiEiEEDaPvRmT3_T4_T5_mT6_P12ihipStream_tbENKUlT_T0_E_clISt17integral_constantIbLb0EESX_EEDaSS_ST_EUlSS_E_NS1_11comp_targetILNS1_3genE10ELNS1_11target_archE1201ELNS1_3gpuE5ELNS1_3repE0EEENS1_30default_config_static_selectorELNS0_4arch9wavefront6targetE1EEEvT1_,comdat
.Lfunc_end3931:
	.size	_ZN7rocprim17ROCPRIM_400000_NS6detail17trampoline_kernelINS0_14default_configENS1_20scan_config_selectorIiEEZZNS1_9scan_implILNS1_25lookback_scan_determinismE0ELb1ELb1ES3_N6thrust23THRUST_200600_302600_NS6detail15normal_iteratorINS9_10device_ptrIiEEEENS9_16discard_iteratorINS9_11use_defaultEEEi11max_functorIiEiEEDaPvRmT3_T4_T5_mT6_P12ihipStream_tbENKUlT_T0_E_clISt17integral_constantIbLb0EESX_EEDaSS_ST_EUlSS_E_NS1_11comp_targetILNS1_3genE10ELNS1_11target_archE1201ELNS1_3gpuE5ELNS1_3repE0EEENS1_30default_config_static_selectorELNS0_4arch9wavefront6targetE1EEEvT1_, .Lfunc_end3931-_ZN7rocprim17ROCPRIM_400000_NS6detail17trampoline_kernelINS0_14default_configENS1_20scan_config_selectorIiEEZZNS1_9scan_implILNS1_25lookback_scan_determinismE0ELb1ELb1ES3_N6thrust23THRUST_200600_302600_NS6detail15normal_iteratorINS9_10device_ptrIiEEEENS9_16discard_iteratorINS9_11use_defaultEEEi11max_functorIiEiEEDaPvRmT3_T4_T5_mT6_P12ihipStream_tbENKUlT_T0_E_clISt17integral_constantIbLb0EESX_EEDaSS_ST_EUlSS_E_NS1_11comp_targetILNS1_3genE10ELNS1_11target_archE1201ELNS1_3gpuE5ELNS1_3repE0EEENS1_30default_config_static_selectorELNS0_4arch9wavefront6targetE1EEEvT1_
                                        ; -- End function
	.section	.AMDGPU.csdata,"",@progbits
; Kernel info:
; codeLenInByte = 0
; NumSgprs: 4
; NumVgprs: 0
; NumAgprs: 0
; TotalNumVgprs: 0
; ScratchSize: 0
; MemoryBound: 0
; FloatMode: 240
; IeeeMode: 1
; LDSByteSize: 0 bytes/workgroup (compile time only)
; SGPRBlocks: 0
; VGPRBlocks: 0
; NumSGPRsForWavesPerEU: 4
; NumVGPRsForWavesPerEU: 1
; AccumOffset: 4
; Occupancy: 8
; WaveLimiterHint : 0
; COMPUTE_PGM_RSRC2:SCRATCH_EN: 0
; COMPUTE_PGM_RSRC2:USER_SGPR: 6
; COMPUTE_PGM_RSRC2:TRAP_HANDLER: 0
; COMPUTE_PGM_RSRC2:TGID_X_EN: 1
; COMPUTE_PGM_RSRC2:TGID_Y_EN: 0
; COMPUTE_PGM_RSRC2:TGID_Z_EN: 0
; COMPUTE_PGM_RSRC2:TIDIG_COMP_CNT: 0
; COMPUTE_PGM_RSRC3_GFX90A:ACCUM_OFFSET: 0
; COMPUTE_PGM_RSRC3_GFX90A:TG_SPLIT: 0
	.section	.text._ZN7rocprim17ROCPRIM_400000_NS6detail17trampoline_kernelINS0_14default_configENS1_20scan_config_selectorIiEEZZNS1_9scan_implILNS1_25lookback_scan_determinismE0ELb1ELb1ES3_N6thrust23THRUST_200600_302600_NS6detail15normal_iteratorINS9_10device_ptrIiEEEENS9_16discard_iteratorINS9_11use_defaultEEEi11max_functorIiEiEEDaPvRmT3_T4_T5_mT6_P12ihipStream_tbENKUlT_T0_E_clISt17integral_constantIbLb0EESX_EEDaSS_ST_EUlSS_E_NS1_11comp_targetILNS1_3genE10ELNS1_11target_archE1200ELNS1_3gpuE4ELNS1_3repE0EEENS1_30default_config_static_selectorELNS0_4arch9wavefront6targetE1EEEvT1_,"axG",@progbits,_ZN7rocprim17ROCPRIM_400000_NS6detail17trampoline_kernelINS0_14default_configENS1_20scan_config_selectorIiEEZZNS1_9scan_implILNS1_25lookback_scan_determinismE0ELb1ELb1ES3_N6thrust23THRUST_200600_302600_NS6detail15normal_iteratorINS9_10device_ptrIiEEEENS9_16discard_iteratorINS9_11use_defaultEEEi11max_functorIiEiEEDaPvRmT3_T4_T5_mT6_P12ihipStream_tbENKUlT_T0_E_clISt17integral_constantIbLb0EESX_EEDaSS_ST_EUlSS_E_NS1_11comp_targetILNS1_3genE10ELNS1_11target_archE1200ELNS1_3gpuE4ELNS1_3repE0EEENS1_30default_config_static_selectorELNS0_4arch9wavefront6targetE1EEEvT1_,comdat
	.protected	_ZN7rocprim17ROCPRIM_400000_NS6detail17trampoline_kernelINS0_14default_configENS1_20scan_config_selectorIiEEZZNS1_9scan_implILNS1_25lookback_scan_determinismE0ELb1ELb1ES3_N6thrust23THRUST_200600_302600_NS6detail15normal_iteratorINS9_10device_ptrIiEEEENS9_16discard_iteratorINS9_11use_defaultEEEi11max_functorIiEiEEDaPvRmT3_T4_T5_mT6_P12ihipStream_tbENKUlT_T0_E_clISt17integral_constantIbLb0EESX_EEDaSS_ST_EUlSS_E_NS1_11comp_targetILNS1_3genE10ELNS1_11target_archE1200ELNS1_3gpuE4ELNS1_3repE0EEENS1_30default_config_static_selectorELNS0_4arch9wavefront6targetE1EEEvT1_ ; -- Begin function _ZN7rocprim17ROCPRIM_400000_NS6detail17trampoline_kernelINS0_14default_configENS1_20scan_config_selectorIiEEZZNS1_9scan_implILNS1_25lookback_scan_determinismE0ELb1ELb1ES3_N6thrust23THRUST_200600_302600_NS6detail15normal_iteratorINS9_10device_ptrIiEEEENS9_16discard_iteratorINS9_11use_defaultEEEi11max_functorIiEiEEDaPvRmT3_T4_T5_mT6_P12ihipStream_tbENKUlT_T0_E_clISt17integral_constantIbLb0EESX_EEDaSS_ST_EUlSS_E_NS1_11comp_targetILNS1_3genE10ELNS1_11target_archE1200ELNS1_3gpuE4ELNS1_3repE0EEENS1_30default_config_static_selectorELNS0_4arch9wavefront6targetE1EEEvT1_
	.globl	_ZN7rocprim17ROCPRIM_400000_NS6detail17trampoline_kernelINS0_14default_configENS1_20scan_config_selectorIiEEZZNS1_9scan_implILNS1_25lookback_scan_determinismE0ELb1ELb1ES3_N6thrust23THRUST_200600_302600_NS6detail15normal_iteratorINS9_10device_ptrIiEEEENS9_16discard_iteratorINS9_11use_defaultEEEi11max_functorIiEiEEDaPvRmT3_T4_T5_mT6_P12ihipStream_tbENKUlT_T0_E_clISt17integral_constantIbLb0EESX_EEDaSS_ST_EUlSS_E_NS1_11comp_targetILNS1_3genE10ELNS1_11target_archE1200ELNS1_3gpuE4ELNS1_3repE0EEENS1_30default_config_static_selectorELNS0_4arch9wavefront6targetE1EEEvT1_
	.p2align	8
	.type	_ZN7rocprim17ROCPRIM_400000_NS6detail17trampoline_kernelINS0_14default_configENS1_20scan_config_selectorIiEEZZNS1_9scan_implILNS1_25lookback_scan_determinismE0ELb1ELb1ES3_N6thrust23THRUST_200600_302600_NS6detail15normal_iteratorINS9_10device_ptrIiEEEENS9_16discard_iteratorINS9_11use_defaultEEEi11max_functorIiEiEEDaPvRmT3_T4_T5_mT6_P12ihipStream_tbENKUlT_T0_E_clISt17integral_constantIbLb0EESX_EEDaSS_ST_EUlSS_E_NS1_11comp_targetILNS1_3genE10ELNS1_11target_archE1200ELNS1_3gpuE4ELNS1_3repE0EEENS1_30default_config_static_selectorELNS0_4arch9wavefront6targetE1EEEvT1_,@function
_ZN7rocprim17ROCPRIM_400000_NS6detail17trampoline_kernelINS0_14default_configENS1_20scan_config_selectorIiEEZZNS1_9scan_implILNS1_25lookback_scan_determinismE0ELb1ELb1ES3_N6thrust23THRUST_200600_302600_NS6detail15normal_iteratorINS9_10device_ptrIiEEEENS9_16discard_iteratorINS9_11use_defaultEEEi11max_functorIiEiEEDaPvRmT3_T4_T5_mT6_P12ihipStream_tbENKUlT_T0_E_clISt17integral_constantIbLb0EESX_EEDaSS_ST_EUlSS_E_NS1_11comp_targetILNS1_3genE10ELNS1_11target_archE1200ELNS1_3gpuE4ELNS1_3repE0EEENS1_30default_config_static_selectorELNS0_4arch9wavefront6targetE1EEEvT1_: ; @_ZN7rocprim17ROCPRIM_400000_NS6detail17trampoline_kernelINS0_14default_configENS1_20scan_config_selectorIiEEZZNS1_9scan_implILNS1_25lookback_scan_determinismE0ELb1ELb1ES3_N6thrust23THRUST_200600_302600_NS6detail15normal_iteratorINS9_10device_ptrIiEEEENS9_16discard_iteratorINS9_11use_defaultEEEi11max_functorIiEiEEDaPvRmT3_T4_T5_mT6_P12ihipStream_tbENKUlT_T0_E_clISt17integral_constantIbLb0EESX_EEDaSS_ST_EUlSS_E_NS1_11comp_targetILNS1_3genE10ELNS1_11target_archE1200ELNS1_3gpuE4ELNS1_3repE0EEENS1_30default_config_static_selectorELNS0_4arch9wavefront6targetE1EEEvT1_
; %bb.0:
	.section	.rodata,"a",@progbits
	.p2align	6, 0x0
	.amdhsa_kernel _ZN7rocprim17ROCPRIM_400000_NS6detail17trampoline_kernelINS0_14default_configENS1_20scan_config_selectorIiEEZZNS1_9scan_implILNS1_25lookback_scan_determinismE0ELb1ELb1ES3_N6thrust23THRUST_200600_302600_NS6detail15normal_iteratorINS9_10device_ptrIiEEEENS9_16discard_iteratorINS9_11use_defaultEEEi11max_functorIiEiEEDaPvRmT3_T4_T5_mT6_P12ihipStream_tbENKUlT_T0_E_clISt17integral_constantIbLb0EESX_EEDaSS_ST_EUlSS_E_NS1_11comp_targetILNS1_3genE10ELNS1_11target_archE1200ELNS1_3gpuE4ELNS1_3repE0EEENS1_30default_config_static_selectorELNS0_4arch9wavefront6targetE1EEEvT1_
		.amdhsa_group_segment_fixed_size 0
		.amdhsa_private_segment_fixed_size 0
		.amdhsa_kernarg_size 104
		.amdhsa_user_sgpr_count 6
		.amdhsa_user_sgpr_private_segment_buffer 1
		.amdhsa_user_sgpr_dispatch_ptr 0
		.amdhsa_user_sgpr_queue_ptr 0
		.amdhsa_user_sgpr_kernarg_segment_ptr 1
		.amdhsa_user_sgpr_dispatch_id 0
		.amdhsa_user_sgpr_flat_scratch_init 0
		.amdhsa_user_sgpr_kernarg_preload_length 0
		.amdhsa_user_sgpr_kernarg_preload_offset 0
		.amdhsa_user_sgpr_private_segment_size 0
		.amdhsa_uses_dynamic_stack 0
		.amdhsa_system_sgpr_private_segment_wavefront_offset 0
		.amdhsa_system_sgpr_workgroup_id_x 1
		.amdhsa_system_sgpr_workgroup_id_y 0
		.amdhsa_system_sgpr_workgroup_id_z 0
		.amdhsa_system_sgpr_workgroup_info 0
		.amdhsa_system_vgpr_workitem_id 0
		.amdhsa_next_free_vgpr 1
		.amdhsa_next_free_sgpr 0
		.amdhsa_accum_offset 4
		.amdhsa_reserve_vcc 0
		.amdhsa_reserve_flat_scratch 0
		.amdhsa_float_round_mode_32 0
		.amdhsa_float_round_mode_16_64 0
		.amdhsa_float_denorm_mode_32 3
		.amdhsa_float_denorm_mode_16_64 3
		.amdhsa_dx10_clamp 1
		.amdhsa_ieee_mode 1
		.amdhsa_fp16_overflow 0
		.amdhsa_tg_split 0
		.amdhsa_exception_fp_ieee_invalid_op 0
		.amdhsa_exception_fp_denorm_src 0
		.amdhsa_exception_fp_ieee_div_zero 0
		.amdhsa_exception_fp_ieee_overflow 0
		.amdhsa_exception_fp_ieee_underflow 0
		.amdhsa_exception_fp_ieee_inexact 0
		.amdhsa_exception_int_div_zero 0
	.end_amdhsa_kernel
	.section	.text._ZN7rocprim17ROCPRIM_400000_NS6detail17trampoline_kernelINS0_14default_configENS1_20scan_config_selectorIiEEZZNS1_9scan_implILNS1_25lookback_scan_determinismE0ELb1ELb1ES3_N6thrust23THRUST_200600_302600_NS6detail15normal_iteratorINS9_10device_ptrIiEEEENS9_16discard_iteratorINS9_11use_defaultEEEi11max_functorIiEiEEDaPvRmT3_T4_T5_mT6_P12ihipStream_tbENKUlT_T0_E_clISt17integral_constantIbLb0EESX_EEDaSS_ST_EUlSS_E_NS1_11comp_targetILNS1_3genE10ELNS1_11target_archE1200ELNS1_3gpuE4ELNS1_3repE0EEENS1_30default_config_static_selectorELNS0_4arch9wavefront6targetE1EEEvT1_,"axG",@progbits,_ZN7rocprim17ROCPRIM_400000_NS6detail17trampoline_kernelINS0_14default_configENS1_20scan_config_selectorIiEEZZNS1_9scan_implILNS1_25lookback_scan_determinismE0ELb1ELb1ES3_N6thrust23THRUST_200600_302600_NS6detail15normal_iteratorINS9_10device_ptrIiEEEENS9_16discard_iteratorINS9_11use_defaultEEEi11max_functorIiEiEEDaPvRmT3_T4_T5_mT6_P12ihipStream_tbENKUlT_T0_E_clISt17integral_constantIbLb0EESX_EEDaSS_ST_EUlSS_E_NS1_11comp_targetILNS1_3genE10ELNS1_11target_archE1200ELNS1_3gpuE4ELNS1_3repE0EEENS1_30default_config_static_selectorELNS0_4arch9wavefront6targetE1EEEvT1_,comdat
.Lfunc_end3932:
	.size	_ZN7rocprim17ROCPRIM_400000_NS6detail17trampoline_kernelINS0_14default_configENS1_20scan_config_selectorIiEEZZNS1_9scan_implILNS1_25lookback_scan_determinismE0ELb1ELb1ES3_N6thrust23THRUST_200600_302600_NS6detail15normal_iteratorINS9_10device_ptrIiEEEENS9_16discard_iteratorINS9_11use_defaultEEEi11max_functorIiEiEEDaPvRmT3_T4_T5_mT6_P12ihipStream_tbENKUlT_T0_E_clISt17integral_constantIbLb0EESX_EEDaSS_ST_EUlSS_E_NS1_11comp_targetILNS1_3genE10ELNS1_11target_archE1200ELNS1_3gpuE4ELNS1_3repE0EEENS1_30default_config_static_selectorELNS0_4arch9wavefront6targetE1EEEvT1_, .Lfunc_end3932-_ZN7rocprim17ROCPRIM_400000_NS6detail17trampoline_kernelINS0_14default_configENS1_20scan_config_selectorIiEEZZNS1_9scan_implILNS1_25lookback_scan_determinismE0ELb1ELb1ES3_N6thrust23THRUST_200600_302600_NS6detail15normal_iteratorINS9_10device_ptrIiEEEENS9_16discard_iteratorINS9_11use_defaultEEEi11max_functorIiEiEEDaPvRmT3_T4_T5_mT6_P12ihipStream_tbENKUlT_T0_E_clISt17integral_constantIbLb0EESX_EEDaSS_ST_EUlSS_E_NS1_11comp_targetILNS1_3genE10ELNS1_11target_archE1200ELNS1_3gpuE4ELNS1_3repE0EEENS1_30default_config_static_selectorELNS0_4arch9wavefront6targetE1EEEvT1_
                                        ; -- End function
	.section	.AMDGPU.csdata,"",@progbits
; Kernel info:
; codeLenInByte = 0
; NumSgprs: 4
; NumVgprs: 0
; NumAgprs: 0
; TotalNumVgprs: 0
; ScratchSize: 0
; MemoryBound: 0
; FloatMode: 240
; IeeeMode: 1
; LDSByteSize: 0 bytes/workgroup (compile time only)
; SGPRBlocks: 0
; VGPRBlocks: 0
; NumSGPRsForWavesPerEU: 4
; NumVGPRsForWavesPerEU: 1
; AccumOffset: 4
; Occupancy: 8
; WaveLimiterHint : 0
; COMPUTE_PGM_RSRC2:SCRATCH_EN: 0
; COMPUTE_PGM_RSRC2:USER_SGPR: 6
; COMPUTE_PGM_RSRC2:TRAP_HANDLER: 0
; COMPUTE_PGM_RSRC2:TGID_X_EN: 1
; COMPUTE_PGM_RSRC2:TGID_Y_EN: 0
; COMPUTE_PGM_RSRC2:TGID_Z_EN: 0
; COMPUTE_PGM_RSRC2:TIDIG_COMP_CNT: 0
; COMPUTE_PGM_RSRC3_GFX90A:ACCUM_OFFSET: 0
; COMPUTE_PGM_RSRC3_GFX90A:TG_SPLIT: 0
	.section	.text._ZN7rocprim17ROCPRIM_400000_NS6detail17trampoline_kernelINS0_14default_configENS1_20scan_config_selectorIiEEZZNS1_9scan_implILNS1_25lookback_scan_determinismE0ELb1ELb1ES3_N6thrust23THRUST_200600_302600_NS6detail15normal_iteratorINS9_10device_ptrIiEEEENS9_16discard_iteratorINS9_11use_defaultEEEi11max_functorIiEiEEDaPvRmT3_T4_T5_mT6_P12ihipStream_tbENKUlT_T0_E_clISt17integral_constantIbLb0EESX_EEDaSS_ST_EUlSS_E_NS1_11comp_targetILNS1_3genE9ELNS1_11target_archE1100ELNS1_3gpuE3ELNS1_3repE0EEENS1_30default_config_static_selectorELNS0_4arch9wavefront6targetE1EEEvT1_,"axG",@progbits,_ZN7rocprim17ROCPRIM_400000_NS6detail17trampoline_kernelINS0_14default_configENS1_20scan_config_selectorIiEEZZNS1_9scan_implILNS1_25lookback_scan_determinismE0ELb1ELb1ES3_N6thrust23THRUST_200600_302600_NS6detail15normal_iteratorINS9_10device_ptrIiEEEENS9_16discard_iteratorINS9_11use_defaultEEEi11max_functorIiEiEEDaPvRmT3_T4_T5_mT6_P12ihipStream_tbENKUlT_T0_E_clISt17integral_constantIbLb0EESX_EEDaSS_ST_EUlSS_E_NS1_11comp_targetILNS1_3genE9ELNS1_11target_archE1100ELNS1_3gpuE3ELNS1_3repE0EEENS1_30default_config_static_selectorELNS0_4arch9wavefront6targetE1EEEvT1_,comdat
	.protected	_ZN7rocprim17ROCPRIM_400000_NS6detail17trampoline_kernelINS0_14default_configENS1_20scan_config_selectorIiEEZZNS1_9scan_implILNS1_25lookback_scan_determinismE0ELb1ELb1ES3_N6thrust23THRUST_200600_302600_NS6detail15normal_iteratorINS9_10device_ptrIiEEEENS9_16discard_iteratorINS9_11use_defaultEEEi11max_functorIiEiEEDaPvRmT3_T4_T5_mT6_P12ihipStream_tbENKUlT_T0_E_clISt17integral_constantIbLb0EESX_EEDaSS_ST_EUlSS_E_NS1_11comp_targetILNS1_3genE9ELNS1_11target_archE1100ELNS1_3gpuE3ELNS1_3repE0EEENS1_30default_config_static_selectorELNS0_4arch9wavefront6targetE1EEEvT1_ ; -- Begin function _ZN7rocprim17ROCPRIM_400000_NS6detail17trampoline_kernelINS0_14default_configENS1_20scan_config_selectorIiEEZZNS1_9scan_implILNS1_25lookback_scan_determinismE0ELb1ELb1ES3_N6thrust23THRUST_200600_302600_NS6detail15normal_iteratorINS9_10device_ptrIiEEEENS9_16discard_iteratorINS9_11use_defaultEEEi11max_functorIiEiEEDaPvRmT3_T4_T5_mT6_P12ihipStream_tbENKUlT_T0_E_clISt17integral_constantIbLb0EESX_EEDaSS_ST_EUlSS_E_NS1_11comp_targetILNS1_3genE9ELNS1_11target_archE1100ELNS1_3gpuE3ELNS1_3repE0EEENS1_30default_config_static_selectorELNS0_4arch9wavefront6targetE1EEEvT1_
	.globl	_ZN7rocprim17ROCPRIM_400000_NS6detail17trampoline_kernelINS0_14default_configENS1_20scan_config_selectorIiEEZZNS1_9scan_implILNS1_25lookback_scan_determinismE0ELb1ELb1ES3_N6thrust23THRUST_200600_302600_NS6detail15normal_iteratorINS9_10device_ptrIiEEEENS9_16discard_iteratorINS9_11use_defaultEEEi11max_functorIiEiEEDaPvRmT3_T4_T5_mT6_P12ihipStream_tbENKUlT_T0_E_clISt17integral_constantIbLb0EESX_EEDaSS_ST_EUlSS_E_NS1_11comp_targetILNS1_3genE9ELNS1_11target_archE1100ELNS1_3gpuE3ELNS1_3repE0EEENS1_30default_config_static_selectorELNS0_4arch9wavefront6targetE1EEEvT1_
	.p2align	8
	.type	_ZN7rocprim17ROCPRIM_400000_NS6detail17trampoline_kernelINS0_14default_configENS1_20scan_config_selectorIiEEZZNS1_9scan_implILNS1_25lookback_scan_determinismE0ELb1ELb1ES3_N6thrust23THRUST_200600_302600_NS6detail15normal_iteratorINS9_10device_ptrIiEEEENS9_16discard_iteratorINS9_11use_defaultEEEi11max_functorIiEiEEDaPvRmT3_T4_T5_mT6_P12ihipStream_tbENKUlT_T0_E_clISt17integral_constantIbLb0EESX_EEDaSS_ST_EUlSS_E_NS1_11comp_targetILNS1_3genE9ELNS1_11target_archE1100ELNS1_3gpuE3ELNS1_3repE0EEENS1_30default_config_static_selectorELNS0_4arch9wavefront6targetE1EEEvT1_,@function
_ZN7rocprim17ROCPRIM_400000_NS6detail17trampoline_kernelINS0_14default_configENS1_20scan_config_selectorIiEEZZNS1_9scan_implILNS1_25lookback_scan_determinismE0ELb1ELb1ES3_N6thrust23THRUST_200600_302600_NS6detail15normal_iteratorINS9_10device_ptrIiEEEENS9_16discard_iteratorINS9_11use_defaultEEEi11max_functorIiEiEEDaPvRmT3_T4_T5_mT6_P12ihipStream_tbENKUlT_T0_E_clISt17integral_constantIbLb0EESX_EEDaSS_ST_EUlSS_E_NS1_11comp_targetILNS1_3genE9ELNS1_11target_archE1100ELNS1_3gpuE3ELNS1_3repE0EEENS1_30default_config_static_selectorELNS0_4arch9wavefront6targetE1EEEvT1_: ; @_ZN7rocprim17ROCPRIM_400000_NS6detail17trampoline_kernelINS0_14default_configENS1_20scan_config_selectorIiEEZZNS1_9scan_implILNS1_25lookback_scan_determinismE0ELb1ELb1ES3_N6thrust23THRUST_200600_302600_NS6detail15normal_iteratorINS9_10device_ptrIiEEEENS9_16discard_iteratorINS9_11use_defaultEEEi11max_functorIiEiEEDaPvRmT3_T4_T5_mT6_P12ihipStream_tbENKUlT_T0_E_clISt17integral_constantIbLb0EESX_EEDaSS_ST_EUlSS_E_NS1_11comp_targetILNS1_3genE9ELNS1_11target_archE1100ELNS1_3gpuE3ELNS1_3repE0EEENS1_30default_config_static_selectorELNS0_4arch9wavefront6targetE1EEEvT1_
; %bb.0:
	.section	.rodata,"a",@progbits
	.p2align	6, 0x0
	.amdhsa_kernel _ZN7rocprim17ROCPRIM_400000_NS6detail17trampoline_kernelINS0_14default_configENS1_20scan_config_selectorIiEEZZNS1_9scan_implILNS1_25lookback_scan_determinismE0ELb1ELb1ES3_N6thrust23THRUST_200600_302600_NS6detail15normal_iteratorINS9_10device_ptrIiEEEENS9_16discard_iteratorINS9_11use_defaultEEEi11max_functorIiEiEEDaPvRmT3_T4_T5_mT6_P12ihipStream_tbENKUlT_T0_E_clISt17integral_constantIbLb0EESX_EEDaSS_ST_EUlSS_E_NS1_11comp_targetILNS1_3genE9ELNS1_11target_archE1100ELNS1_3gpuE3ELNS1_3repE0EEENS1_30default_config_static_selectorELNS0_4arch9wavefront6targetE1EEEvT1_
		.amdhsa_group_segment_fixed_size 0
		.amdhsa_private_segment_fixed_size 0
		.amdhsa_kernarg_size 104
		.amdhsa_user_sgpr_count 6
		.amdhsa_user_sgpr_private_segment_buffer 1
		.amdhsa_user_sgpr_dispatch_ptr 0
		.amdhsa_user_sgpr_queue_ptr 0
		.amdhsa_user_sgpr_kernarg_segment_ptr 1
		.amdhsa_user_sgpr_dispatch_id 0
		.amdhsa_user_sgpr_flat_scratch_init 0
		.amdhsa_user_sgpr_kernarg_preload_length 0
		.amdhsa_user_sgpr_kernarg_preload_offset 0
		.amdhsa_user_sgpr_private_segment_size 0
		.amdhsa_uses_dynamic_stack 0
		.amdhsa_system_sgpr_private_segment_wavefront_offset 0
		.amdhsa_system_sgpr_workgroup_id_x 1
		.amdhsa_system_sgpr_workgroup_id_y 0
		.amdhsa_system_sgpr_workgroup_id_z 0
		.amdhsa_system_sgpr_workgroup_info 0
		.amdhsa_system_vgpr_workitem_id 0
		.amdhsa_next_free_vgpr 1
		.amdhsa_next_free_sgpr 0
		.amdhsa_accum_offset 4
		.amdhsa_reserve_vcc 0
		.amdhsa_reserve_flat_scratch 0
		.amdhsa_float_round_mode_32 0
		.amdhsa_float_round_mode_16_64 0
		.amdhsa_float_denorm_mode_32 3
		.amdhsa_float_denorm_mode_16_64 3
		.amdhsa_dx10_clamp 1
		.amdhsa_ieee_mode 1
		.amdhsa_fp16_overflow 0
		.amdhsa_tg_split 0
		.amdhsa_exception_fp_ieee_invalid_op 0
		.amdhsa_exception_fp_denorm_src 0
		.amdhsa_exception_fp_ieee_div_zero 0
		.amdhsa_exception_fp_ieee_overflow 0
		.amdhsa_exception_fp_ieee_underflow 0
		.amdhsa_exception_fp_ieee_inexact 0
		.amdhsa_exception_int_div_zero 0
	.end_amdhsa_kernel
	.section	.text._ZN7rocprim17ROCPRIM_400000_NS6detail17trampoline_kernelINS0_14default_configENS1_20scan_config_selectorIiEEZZNS1_9scan_implILNS1_25lookback_scan_determinismE0ELb1ELb1ES3_N6thrust23THRUST_200600_302600_NS6detail15normal_iteratorINS9_10device_ptrIiEEEENS9_16discard_iteratorINS9_11use_defaultEEEi11max_functorIiEiEEDaPvRmT3_T4_T5_mT6_P12ihipStream_tbENKUlT_T0_E_clISt17integral_constantIbLb0EESX_EEDaSS_ST_EUlSS_E_NS1_11comp_targetILNS1_3genE9ELNS1_11target_archE1100ELNS1_3gpuE3ELNS1_3repE0EEENS1_30default_config_static_selectorELNS0_4arch9wavefront6targetE1EEEvT1_,"axG",@progbits,_ZN7rocprim17ROCPRIM_400000_NS6detail17trampoline_kernelINS0_14default_configENS1_20scan_config_selectorIiEEZZNS1_9scan_implILNS1_25lookback_scan_determinismE0ELb1ELb1ES3_N6thrust23THRUST_200600_302600_NS6detail15normal_iteratorINS9_10device_ptrIiEEEENS9_16discard_iteratorINS9_11use_defaultEEEi11max_functorIiEiEEDaPvRmT3_T4_T5_mT6_P12ihipStream_tbENKUlT_T0_E_clISt17integral_constantIbLb0EESX_EEDaSS_ST_EUlSS_E_NS1_11comp_targetILNS1_3genE9ELNS1_11target_archE1100ELNS1_3gpuE3ELNS1_3repE0EEENS1_30default_config_static_selectorELNS0_4arch9wavefront6targetE1EEEvT1_,comdat
.Lfunc_end3933:
	.size	_ZN7rocprim17ROCPRIM_400000_NS6detail17trampoline_kernelINS0_14default_configENS1_20scan_config_selectorIiEEZZNS1_9scan_implILNS1_25lookback_scan_determinismE0ELb1ELb1ES3_N6thrust23THRUST_200600_302600_NS6detail15normal_iteratorINS9_10device_ptrIiEEEENS9_16discard_iteratorINS9_11use_defaultEEEi11max_functorIiEiEEDaPvRmT3_T4_T5_mT6_P12ihipStream_tbENKUlT_T0_E_clISt17integral_constantIbLb0EESX_EEDaSS_ST_EUlSS_E_NS1_11comp_targetILNS1_3genE9ELNS1_11target_archE1100ELNS1_3gpuE3ELNS1_3repE0EEENS1_30default_config_static_selectorELNS0_4arch9wavefront6targetE1EEEvT1_, .Lfunc_end3933-_ZN7rocprim17ROCPRIM_400000_NS6detail17trampoline_kernelINS0_14default_configENS1_20scan_config_selectorIiEEZZNS1_9scan_implILNS1_25lookback_scan_determinismE0ELb1ELb1ES3_N6thrust23THRUST_200600_302600_NS6detail15normal_iteratorINS9_10device_ptrIiEEEENS9_16discard_iteratorINS9_11use_defaultEEEi11max_functorIiEiEEDaPvRmT3_T4_T5_mT6_P12ihipStream_tbENKUlT_T0_E_clISt17integral_constantIbLb0EESX_EEDaSS_ST_EUlSS_E_NS1_11comp_targetILNS1_3genE9ELNS1_11target_archE1100ELNS1_3gpuE3ELNS1_3repE0EEENS1_30default_config_static_selectorELNS0_4arch9wavefront6targetE1EEEvT1_
                                        ; -- End function
	.section	.AMDGPU.csdata,"",@progbits
; Kernel info:
; codeLenInByte = 0
; NumSgprs: 4
; NumVgprs: 0
; NumAgprs: 0
; TotalNumVgprs: 0
; ScratchSize: 0
; MemoryBound: 0
; FloatMode: 240
; IeeeMode: 1
; LDSByteSize: 0 bytes/workgroup (compile time only)
; SGPRBlocks: 0
; VGPRBlocks: 0
; NumSGPRsForWavesPerEU: 4
; NumVGPRsForWavesPerEU: 1
; AccumOffset: 4
; Occupancy: 8
; WaveLimiterHint : 0
; COMPUTE_PGM_RSRC2:SCRATCH_EN: 0
; COMPUTE_PGM_RSRC2:USER_SGPR: 6
; COMPUTE_PGM_RSRC2:TRAP_HANDLER: 0
; COMPUTE_PGM_RSRC2:TGID_X_EN: 1
; COMPUTE_PGM_RSRC2:TGID_Y_EN: 0
; COMPUTE_PGM_RSRC2:TGID_Z_EN: 0
; COMPUTE_PGM_RSRC2:TIDIG_COMP_CNT: 0
; COMPUTE_PGM_RSRC3_GFX90A:ACCUM_OFFSET: 0
; COMPUTE_PGM_RSRC3_GFX90A:TG_SPLIT: 0
	.section	.text._ZN7rocprim17ROCPRIM_400000_NS6detail17trampoline_kernelINS0_14default_configENS1_20scan_config_selectorIiEEZZNS1_9scan_implILNS1_25lookback_scan_determinismE0ELb1ELb1ES3_N6thrust23THRUST_200600_302600_NS6detail15normal_iteratorINS9_10device_ptrIiEEEENS9_16discard_iteratorINS9_11use_defaultEEEi11max_functorIiEiEEDaPvRmT3_T4_T5_mT6_P12ihipStream_tbENKUlT_T0_E_clISt17integral_constantIbLb0EESX_EEDaSS_ST_EUlSS_E_NS1_11comp_targetILNS1_3genE8ELNS1_11target_archE1030ELNS1_3gpuE2ELNS1_3repE0EEENS1_30default_config_static_selectorELNS0_4arch9wavefront6targetE1EEEvT1_,"axG",@progbits,_ZN7rocprim17ROCPRIM_400000_NS6detail17trampoline_kernelINS0_14default_configENS1_20scan_config_selectorIiEEZZNS1_9scan_implILNS1_25lookback_scan_determinismE0ELb1ELb1ES3_N6thrust23THRUST_200600_302600_NS6detail15normal_iteratorINS9_10device_ptrIiEEEENS9_16discard_iteratorINS9_11use_defaultEEEi11max_functorIiEiEEDaPvRmT3_T4_T5_mT6_P12ihipStream_tbENKUlT_T0_E_clISt17integral_constantIbLb0EESX_EEDaSS_ST_EUlSS_E_NS1_11comp_targetILNS1_3genE8ELNS1_11target_archE1030ELNS1_3gpuE2ELNS1_3repE0EEENS1_30default_config_static_selectorELNS0_4arch9wavefront6targetE1EEEvT1_,comdat
	.protected	_ZN7rocprim17ROCPRIM_400000_NS6detail17trampoline_kernelINS0_14default_configENS1_20scan_config_selectorIiEEZZNS1_9scan_implILNS1_25lookback_scan_determinismE0ELb1ELb1ES3_N6thrust23THRUST_200600_302600_NS6detail15normal_iteratorINS9_10device_ptrIiEEEENS9_16discard_iteratorINS9_11use_defaultEEEi11max_functorIiEiEEDaPvRmT3_T4_T5_mT6_P12ihipStream_tbENKUlT_T0_E_clISt17integral_constantIbLb0EESX_EEDaSS_ST_EUlSS_E_NS1_11comp_targetILNS1_3genE8ELNS1_11target_archE1030ELNS1_3gpuE2ELNS1_3repE0EEENS1_30default_config_static_selectorELNS0_4arch9wavefront6targetE1EEEvT1_ ; -- Begin function _ZN7rocprim17ROCPRIM_400000_NS6detail17trampoline_kernelINS0_14default_configENS1_20scan_config_selectorIiEEZZNS1_9scan_implILNS1_25lookback_scan_determinismE0ELb1ELb1ES3_N6thrust23THRUST_200600_302600_NS6detail15normal_iteratorINS9_10device_ptrIiEEEENS9_16discard_iteratorINS9_11use_defaultEEEi11max_functorIiEiEEDaPvRmT3_T4_T5_mT6_P12ihipStream_tbENKUlT_T0_E_clISt17integral_constantIbLb0EESX_EEDaSS_ST_EUlSS_E_NS1_11comp_targetILNS1_3genE8ELNS1_11target_archE1030ELNS1_3gpuE2ELNS1_3repE0EEENS1_30default_config_static_selectorELNS0_4arch9wavefront6targetE1EEEvT1_
	.globl	_ZN7rocprim17ROCPRIM_400000_NS6detail17trampoline_kernelINS0_14default_configENS1_20scan_config_selectorIiEEZZNS1_9scan_implILNS1_25lookback_scan_determinismE0ELb1ELb1ES3_N6thrust23THRUST_200600_302600_NS6detail15normal_iteratorINS9_10device_ptrIiEEEENS9_16discard_iteratorINS9_11use_defaultEEEi11max_functorIiEiEEDaPvRmT3_T4_T5_mT6_P12ihipStream_tbENKUlT_T0_E_clISt17integral_constantIbLb0EESX_EEDaSS_ST_EUlSS_E_NS1_11comp_targetILNS1_3genE8ELNS1_11target_archE1030ELNS1_3gpuE2ELNS1_3repE0EEENS1_30default_config_static_selectorELNS0_4arch9wavefront6targetE1EEEvT1_
	.p2align	8
	.type	_ZN7rocprim17ROCPRIM_400000_NS6detail17trampoline_kernelINS0_14default_configENS1_20scan_config_selectorIiEEZZNS1_9scan_implILNS1_25lookback_scan_determinismE0ELb1ELb1ES3_N6thrust23THRUST_200600_302600_NS6detail15normal_iteratorINS9_10device_ptrIiEEEENS9_16discard_iteratorINS9_11use_defaultEEEi11max_functorIiEiEEDaPvRmT3_T4_T5_mT6_P12ihipStream_tbENKUlT_T0_E_clISt17integral_constantIbLb0EESX_EEDaSS_ST_EUlSS_E_NS1_11comp_targetILNS1_3genE8ELNS1_11target_archE1030ELNS1_3gpuE2ELNS1_3repE0EEENS1_30default_config_static_selectorELNS0_4arch9wavefront6targetE1EEEvT1_,@function
_ZN7rocprim17ROCPRIM_400000_NS6detail17trampoline_kernelINS0_14default_configENS1_20scan_config_selectorIiEEZZNS1_9scan_implILNS1_25lookback_scan_determinismE0ELb1ELb1ES3_N6thrust23THRUST_200600_302600_NS6detail15normal_iteratorINS9_10device_ptrIiEEEENS9_16discard_iteratorINS9_11use_defaultEEEi11max_functorIiEiEEDaPvRmT3_T4_T5_mT6_P12ihipStream_tbENKUlT_T0_E_clISt17integral_constantIbLb0EESX_EEDaSS_ST_EUlSS_E_NS1_11comp_targetILNS1_3genE8ELNS1_11target_archE1030ELNS1_3gpuE2ELNS1_3repE0EEENS1_30default_config_static_selectorELNS0_4arch9wavefront6targetE1EEEvT1_: ; @_ZN7rocprim17ROCPRIM_400000_NS6detail17trampoline_kernelINS0_14default_configENS1_20scan_config_selectorIiEEZZNS1_9scan_implILNS1_25lookback_scan_determinismE0ELb1ELb1ES3_N6thrust23THRUST_200600_302600_NS6detail15normal_iteratorINS9_10device_ptrIiEEEENS9_16discard_iteratorINS9_11use_defaultEEEi11max_functorIiEiEEDaPvRmT3_T4_T5_mT6_P12ihipStream_tbENKUlT_T0_E_clISt17integral_constantIbLb0EESX_EEDaSS_ST_EUlSS_E_NS1_11comp_targetILNS1_3genE8ELNS1_11target_archE1030ELNS1_3gpuE2ELNS1_3repE0EEENS1_30default_config_static_selectorELNS0_4arch9wavefront6targetE1EEEvT1_
; %bb.0:
	.section	.rodata,"a",@progbits
	.p2align	6, 0x0
	.amdhsa_kernel _ZN7rocprim17ROCPRIM_400000_NS6detail17trampoline_kernelINS0_14default_configENS1_20scan_config_selectorIiEEZZNS1_9scan_implILNS1_25lookback_scan_determinismE0ELb1ELb1ES3_N6thrust23THRUST_200600_302600_NS6detail15normal_iteratorINS9_10device_ptrIiEEEENS9_16discard_iteratorINS9_11use_defaultEEEi11max_functorIiEiEEDaPvRmT3_T4_T5_mT6_P12ihipStream_tbENKUlT_T0_E_clISt17integral_constantIbLb0EESX_EEDaSS_ST_EUlSS_E_NS1_11comp_targetILNS1_3genE8ELNS1_11target_archE1030ELNS1_3gpuE2ELNS1_3repE0EEENS1_30default_config_static_selectorELNS0_4arch9wavefront6targetE1EEEvT1_
		.amdhsa_group_segment_fixed_size 0
		.amdhsa_private_segment_fixed_size 0
		.amdhsa_kernarg_size 104
		.amdhsa_user_sgpr_count 6
		.amdhsa_user_sgpr_private_segment_buffer 1
		.amdhsa_user_sgpr_dispatch_ptr 0
		.amdhsa_user_sgpr_queue_ptr 0
		.amdhsa_user_sgpr_kernarg_segment_ptr 1
		.amdhsa_user_sgpr_dispatch_id 0
		.amdhsa_user_sgpr_flat_scratch_init 0
		.amdhsa_user_sgpr_kernarg_preload_length 0
		.amdhsa_user_sgpr_kernarg_preload_offset 0
		.amdhsa_user_sgpr_private_segment_size 0
		.amdhsa_uses_dynamic_stack 0
		.amdhsa_system_sgpr_private_segment_wavefront_offset 0
		.amdhsa_system_sgpr_workgroup_id_x 1
		.amdhsa_system_sgpr_workgroup_id_y 0
		.amdhsa_system_sgpr_workgroup_id_z 0
		.amdhsa_system_sgpr_workgroup_info 0
		.amdhsa_system_vgpr_workitem_id 0
		.amdhsa_next_free_vgpr 1
		.amdhsa_next_free_sgpr 0
		.amdhsa_accum_offset 4
		.amdhsa_reserve_vcc 0
		.amdhsa_reserve_flat_scratch 0
		.amdhsa_float_round_mode_32 0
		.amdhsa_float_round_mode_16_64 0
		.amdhsa_float_denorm_mode_32 3
		.amdhsa_float_denorm_mode_16_64 3
		.amdhsa_dx10_clamp 1
		.amdhsa_ieee_mode 1
		.amdhsa_fp16_overflow 0
		.amdhsa_tg_split 0
		.amdhsa_exception_fp_ieee_invalid_op 0
		.amdhsa_exception_fp_denorm_src 0
		.amdhsa_exception_fp_ieee_div_zero 0
		.amdhsa_exception_fp_ieee_overflow 0
		.amdhsa_exception_fp_ieee_underflow 0
		.amdhsa_exception_fp_ieee_inexact 0
		.amdhsa_exception_int_div_zero 0
	.end_amdhsa_kernel
	.section	.text._ZN7rocprim17ROCPRIM_400000_NS6detail17trampoline_kernelINS0_14default_configENS1_20scan_config_selectorIiEEZZNS1_9scan_implILNS1_25lookback_scan_determinismE0ELb1ELb1ES3_N6thrust23THRUST_200600_302600_NS6detail15normal_iteratorINS9_10device_ptrIiEEEENS9_16discard_iteratorINS9_11use_defaultEEEi11max_functorIiEiEEDaPvRmT3_T4_T5_mT6_P12ihipStream_tbENKUlT_T0_E_clISt17integral_constantIbLb0EESX_EEDaSS_ST_EUlSS_E_NS1_11comp_targetILNS1_3genE8ELNS1_11target_archE1030ELNS1_3gpuE2ELNS1_3repE0EEENS1_30default_config_static_selectorELNS0_4arch9wavefront6targetE1EEEvT1_,"axG",@progbits,_ZN7rocprim17ROCPRIM_400000_NS6detail17trampoline_kernelINS0_14default_configENS1_20scan_config_selectorIiEEZZNS1_9scan_implILNS1_25lookback_scan_determinismE0ELb1ELb1ES3_N6thrust23THRUST_200600_302600_NS6detail15normal_iteratorINS9_10device_ptrIiEEEENS9_16discard_iteratorINS9_11use_defaultEEEi11max_functorIiEiEEDaPvRmT3_T4_T5_mT6_P12ihipStream_tbENKUlT_T0_E_clISt17integral_constantIbLb0EESX_EEDaSS_ST_EUlSS_E_NS1_11comp_targetILNS1_3genE8ELNS1_11target_archE1030ELNS1_3gpuE2ELNS1_3repE0EEENS1_30default_config_static_selectorELNS0_4arch9wavefront6targetE1EEEvT1_,comdat
.Lfunc_end3934:
	.size	_ZN7rocprim17ROCPRIM_400000_NS6detail17trampoline_kernelINS0_14default_configENS1_20scan_config_selectorIiEEZZNS1_9scan_implILNS1_25lookback_scan_determinismE0ELb1ELb1ES3_N6thrust23THRUST_200600_302600_NS6detail15normal_iteratorINS9_10device_ptrIiEEEENS9_16discard_iteratorINS9_11use_defaultEEEi11max_functorIiEiEEDaPvRmT3_T4_T5_mT6_P12ihipStream_tbENKUlT_T0_E_clISt17integral_constantIbLb0EESX_EEDaSS_ST_EUlSS_E_NS1_11comp_targetILNS1_3genE8ELNS1_11target_archE1030ELNS1_3gpuE2ELNS1_3repE0EEENS1_30default_config_static_selectorELNS0_4arch9wavefront6targetE1EEEvT1_, .Lfunc_end3934-_ZN7rocprim17ROCPRIM_400000_NS6detail17trampoline_kernelINS0_14default_configENS1_20scan_config_selectorIiEEZZNS1_9scan_implILNS1_25lookback_scan_determinismE0ELb1ELb1ES3_N6thrust23THRUST_200600_302600_NS6detail15normal_iteratorINS9_10device_ptrIiEEEENS9_16discard_iteratorINS9_11use_defaultEEEi11max_functorIiEiEEDaPvRmT3_T4_T5_mT6_P12ihipStream_tbENKUlT_T0_E_clISt17integral_constantIbLb0EESX_EEDaSS_ST_EUlSS_E_NS1_11comp_targetILNS1_3genE8ELNS1_11target_archE1030ELNS1_3gpuE2ELNS1_3repE0EEENS1_30default_config_static_selectorELNS0_4arch9wavefront6targetE1EEEvT1_
                                        ; -- End function
	.section	.AMDGPU.csdata,"",@progbits
; Kernel info:
; codeLenInByte = 0
; NumSgprs: 4
; NumVgprs: 0
; NumAgprs: 0
; TotalNumVgprs: 0
; ScratchSize: 0
; MemoryBound: 0
; FloatMode: 240
; IeeeMode: 1
; LDSByteSize: 0 bytes/workgroup (compile time only)
; SGPRBlocks: 0
; VGPRBlocks: 0
; NumSGPRsForWavesPerEU: 4
; NumVGPRsForWavesPerEU: 1
; AccumOffset: 4
; Occupancy: 8
; WaveLimiterHint : 0
; COMPUTE_PGM_RSRC2:SCRATCH_EN: 0
; COMPUTE_PGM_RSRC2:USER_SGPR: 6
; COMPUTE_PGM_RSRC2:TRAP_HANDLER: 0
; COMPUTE_PGM_RSRC2:TGID_X_EN: 1
; COMPUTE_PGM_RSRC2:TGID_Y_EN: 0
; COMPUTE_PGM_RSRC2:TGID_Z_EN: 0
; COMPUTE_PGM_RSRC2:TIDIG_COMP_CNT: 0
; COMPUTE_PGM_RSRC3_GFX90A:ACCUM_OFFSET: 0
; COMPUTE_PGM_RSRC3_GFX90A:TG_SPLIT: 0
	.section	.text._ZN7rocprim17ROCPRIM_400000_NS6detail17trampoline_kernelINS0_14default_configENS1_20scan_config_selectorIiEEZZNS1_9scan_implILNS1_25lookback_scan_determinismE0ELb1ELb1ES3_N6thrust23THRUST_200600_302600_NS6detail15normal_iteratorINS9_10device_ptrIiEEEENS9_16discard_iteratorINS9_11use_defaultEEEi11max_functorIiEiEEDaPvRmT3_T4_T5_mT6_P12ihipStream_tbENKUlT_T0_E_clISt17integral_constantIbLb0EESX_EEDaSS_ST_EUlSS_E0_NS1_11comp_targetILNS1_3genE0ELNS1_11target_archE4294967295ELNS1_3gpuE0ELNS1_3repE0EEENS1_30default_config_static_selectorELNS0_4arch9wavefront6targetE1EEEvT1_,"axG",@progbits,_ZN7rocprim17ROCPRIM_400000_NS6detail17trampoline_kernelINS0_14default_configENS1_20scan_config_selectorIiEEZZNS1_9scan_implILNS1_25lookback_scan_determinismE0ELb1ELb1ES3_N6thrust23THRUST_200600_302600_NS6detail15normal_iteratorINS9_10device_ptrIiEEEENS9_16discard_iteratorINS9_11use_defaultEEEi11max_functorIiEiEEDaPvRmT3_T4_T5_mT6_P12ihipStream_tbENKUlT_T0_E_clISt17integral_constantIbLb0EESX_EEDaSS_ST_EUlSS_E0_NS1_11comp_targetILNS1_3genE0ELNS1_11target_archE4294967295ELNS1_3gpuE0ELNS1_3repE0EEENS1_30default_config_static_selectorELNS0_4arch9wavefront6targetE1EEEvT1_,comdat
	.protected	_ZN7rocprim17ROCPRIM_400000_NS6detail17trampoline_kernelINS0_14default_configENS1_20scan_config_selectorIiEEZZNS1_9scan_implILNS1_25lookback_scan_determinismE0ELb1ELb1ES3_N6thrust23THRUST_200600_302600_NS6detail15normal_iteratorINS9_10device_ptrIiEEEENS9_16discard_iteratorINS9_11use_defaultEEEi11max_functorIiEiEEDaPvRmT3_T4_T5_mT6_P12ihipStream_tbENKUlT_T0_E_clISt17integral_constantIbLb0EESX_EEDaSS_ST_EUlSS_E0_NS1_11comp_targetILNS1_3genE0ELNS1_11target_archE4294967295ELNS1_3gpuE0ELNS1_3repE0EEENS1_30default_config_static_selectorELNS0_4arch9wavefront6targetE1EEEvT1_ ; -- Begin function _ZN7rocprim17ROCPRIM_400000_NS6detail17trampoline_kernelINS0_14default_configENS1_20scan_config_selectorIiEEZZNS1_9scan_implILNS1_25lookback_scan_determinismE0ELb1ELb1ES3_N6thrust23THRUST_200600_302600_NS6detail15normal_iteratorINS9_10device_ptrIiEEEENS9_16discard_iteratorINS9_11use_defaultEEEi11max_functorIiEiEEDaPvRmT3_T4_T5_mT6_P12ihipStream_tbENKUlT_T0_E_clISt17integral_constantIbLb0EESX_EEDaSS_ST_EUlSS_E0_NS1_11comp_targetILNS1_3genE0ELNS1_11target_archE4294967295ELNS1_3gpuE0ELNS1_3repE0EEENS1_30default_config_static_selectorELNS0_4arch9wavefront6targetE1EEEvT1_
	.globl	_ZN7rocprim17ROCPRIM_400000_NS6detail17trampoline_kernelINS0_14default_configENS1_20scan_config_selectorIiEEZZNS1_9scan_implILNS1_25lookback_scan_determinismE0ELb1ELb1ES3_N6thrust23THRUST_200600_302600_NS6detail15normal_iteratorINS9_10device_ptrIiEEEENS9_16discard_iteratorINS9_11use_defaultEEEi11max_functorIiEiEEDaPvRmT3_T4_T5_mT6_P12ihipStream_tbENKUlT_T0_E_clISt17integral_constantIbLb0EESX_EEDaSS_ST_EUlSS_E0_NS1_11comp_targetILNS1_3genE0ELNS1_11target_archE4294967295ELNS1_3gpuE0ELNS1_3repE0EEENS1_30default_config_static_selectorELNS0_4arch9wavefront6targetE1EEEvT1_
	.p2align	8
	.type	_ZN7rocprim17ROCPRIM_400000_NS6detail17trampoline_kernelINS0_14default_configENS1_20scan_config_selectorIiEEZZNS1_9scan_implILNS1_25lookback_scan_determinismE0ELb1ELb1ES3_N6thrust23THRUST_200600_302600_NS6detail15normal_iteratorINS9_10device_ptrIiEEEENS9_16discard_iteratorINS9_11use_defaultEEEi11max_functorIiEiEEDaPvRmT3_T4_T5_mT6_P12ihipStream_tbENKUlT_T0_E_clISt17integral_constantIbLb0EESX_EEDaSS_ST_EUlSS_E0_NS1_11comp_targetILNS1_3genE0ELNS1_11target_archE4294967295ELNS1_3gpuE0ELNS1_3repE0EEENS1_30default_config_static_selectorELNS0_4arch9wavefront6targetE1EEEvT1_,@function
_ZN7rocprim17ROCPRIM_400000_NS6detail17trampoline_kernelINS0_14default_configENS1_20scan_config_selectorIiEEZZNS1_9scan_implILNS1_25lookback_scan_determinismE0ELb1ELb1ES3_N6thrust23THRUST_200600_302600_NS6detail15normal_iteratorINS9_10device_ptrIiEEEENS9_16discard_iteratorINS9_11use_defaultEEEi11max_functorIiEiEEDaPvRmT3_T4_T5_mT6_P12ihipStream_tbENKUlT_T0_E_clISt17integral_constantIbLb0EESX_EEDaSS_ST_EUlSS_E0_NS1_11comp_targetILNS1_3genE0ELNS1_11target_archE4294967295ELNS1_3gpuE0ELNS1_3repE0EEENS1_30default_config_static_selectorELNS0_4arch9wavefront6targetE1EEEvT1_: ; @_ZN7rocprim17ROCPRIM_400000_NS6detail17trampoline_kernelINS0_14default_configENS1_20scan_config_selectorIiEEZZNS1_9scan_implILNS1_25lookback_scan_determinismE0ELb1ELb1ES3_N6thrust23THRUST_200600_302600_NS6detail15normal_iteratorINS9_10device_ptrIiEEEENS9_16discard_iteratorINS9_11use_defaultEEEi11max_functorIiEiEEDaPvRmT3_T4_T5_mT6_P12ihipStream_tbENKUlT_T0_E_clISt17integral_constantIbLb0EESX_EEDaSS_ST_EUlSS_E0_NS1_11comp_targetILNS1_3genE0ELNS1_11target_archE4294967295ELNS1_3gpuE0ELNS1_3repE0EEENS1_30default_config_static_selectorELNS0_4arch9wavefront6targetE1EEEvT1_
; %bb.0:
	.section	.rodata,"a",@progbits
	.p2align	6, 0x0
	.amdhsa_kernel _ZN7rocprim17ROCPRIM_400000_NS6detail17trampoline_kernelINS0_14default_configENS1_20scan_config_selectorIiEEZZNS1_9scan_implILNS1_25lookback_scan_determinismE0ELb1ELb1ES3_N6thrust23THRUST_200600_302600_NS6detail15normal_iteratorINS9_10device_ptrIiEEEENS9_16discard_iteratorINS9_11use_defaultEEEi11max_functorIiEiEEDaPvRmT3_T4_T5_mT6_P12ihipStream_tbENKUlT_T0_E_clISt17integral_constantIbLb0EESX_EEDaSS_ST_EUlSS_E0_NS1_11comp_targetILNS1_3genE0ELNS1_11target_archE4294967295ELNS1_3gpuE0ELNS1_3repE0EEENS1_30default_config_static_selectorELNS0_4arch9wavefront6targetE1EEEvT1_
		.amdhsa_group_segment_fixed_size 0
		.amdhsa_private_segment_fixed_size 0
		.amdhsa_kernarg_size 40
		.amdhsa_user_sgpr_count 6
		.amdhsa_user_sgpr_private_segment_buffer 1
		.amdhsa_user_sgpr_dispatch_ptr 0
		.amdhsa_user_sgpr_queue_ptr 0
		.amdhsa_user_sgpr_kernarg_segment_ptr 1
		.amdhsa_user_sgpr_dispatch_id 0
		.amdhsa_user_sgpr_flat_scratch_init 0
		.amdhsa_user_sgpr_kernarg_preload_length 0
		.amdhsa_user_sgpr_kernarg_preload_offset 0
		.amdhsa_user_sgpr_private_segment_size 0
		.amdhsa_uses_dynamic_stack 0
		.amdhsa_system_sgpr_private_segment_wavefront_offset 0
		.amdhsa_system_sgpr_workgroup_id_x 1
		.amdhsa_system_sgpr_workgroup_id_y 0
		.amdhsa_system_sgpr_workgroup_id_z 0
		.amdhsa_system_sgpr_workgroup_info 0
		.amdhsa_system_vgpr_workitem_id 0
		.amdhsa_next_free_vgpr 1
		.amdhsa_next_free_sgpr 0
		.amdhsa_accum_offset 4
		.amdhsa_reserve_vcc 0
		.amdhsa_reserve_flat_scratch 0
		.amdhsa_float_round_mode_32 0
		.amdhsa_float_round_mode_16_64 0
		.amdhsa_float_denorm_mode_32 3
		.amdhsa_float_denorm_mode_16_64 3
		.amdhsa_dx10_clamp 1
		.amdhsa_ieee_mode 1
		.amdhsa_fp16_overflow 0
		.amdhsa_tg_split 0
		.amdhsa_exception_fp_ieee_invalid_op 0
		.amdhsa_exception_fp_denorm_src 0
		.amdhsa_exception_fp_ieee_div_zero 0
		.amdhsa_exception_fp_ieee_overflow 0
		.amdhsa_exception_fp_ieee_underflow 0
		.amdhsa_exception_fp_ieee_inexact 0
		.amdhsa_exception_int_div_zero 0
	.end_amdhsa_kernel
	.section	.text._ZN7rocprim17ROCPRIM_400000_NS6detail17trampoline_kernelINS0_14default_configENS1_20scan_config_selectorIiEEZZNS1_9scan_implILNS1_25lookback_scan_determinismE0ELb1ELb1ES3_N6thrust23THRUST_200600_302600_NS6detail15normal_iteratorINS9_10device_ptrIiEEEENS9_16discard_iteratorINS9_11use_defaultEEEi11max_functorIiEiEEDaPvRmT3_T4_T5_mT6_P12ihipStream_tbENKUlT_T0_E_clISt17integral_constantIbLb0EESX_EEDaSS_ST_EUlSS_E0_NS1_11comp_targetILNS1_3genE0ELNS1_11target_archE4294967295ELNS1_3gpuE0ELNS1_3repE0EEENS1_30default_config_static_selectorELNS0_4arch9wavefront6targetE1EEEvT1_,"axG",@progbits,_ZN7rocprim17ROCPRIM_400000_NS6detail17trampoline_kernelINS0_14default_configENS1_20scan_config_selectorIiEEZZNS1_9scan_implILNS1_25lookback_scan_determinismE0ELb1ELb1ES3_N6thrust23THRUST_200600_302600_NS6detail15normal_iteratorINS9_10device_ptrIiEEEENS9_16discard_iteratorINS9_11use_defaultEEEi11max_functorIiEiEEDaPvRmT3_T4_T5_mT6_P12ihipStream_tbENKUlT_T0_E_clISt17integral_constantIbLb0EESX_EEDaSS_ST_EUlSS_E0_NS1_11comp_targetILNS1_3genE0ELNS1_11target_archE4294967295ELNS1_3gpuE0ELNS1_3repE0EEENS1_30default_config_static_selectorELNS0_4arch9wavefront6targetE1EEEvT1_,comdat
.Lfunc_end3935:
	.size	_ZN7rocprim17ROCPRIM_400000_NS6detail17trampoline_kernelINS0_14default_configENS1_20scan_config_selectorIiEEZZNS1_9scan_implILNS1_25lookback_scan_determinismE0ELb1ELb1ES3_N6thrust23THRUST_200600_302600_NS6detail15normal_iteratorINS9_10device_ptrIiEEEENS9_16discard_iteratorINS9_11use_defaultEEEi11max_functorIiEiEEDaPvRmT3_T4_T5_mT6_P12ihipStream_tbENKUlT_T0_E_clISt17integral_constantIbLb0EESX_EEDaSS_ST_EUlSS_E0_NS1_11comp_targetILNS1_3genE0ELNS1_11target_archE4294967295ELNS1_3gpuE0ELNS1_3repE0EEENS1_30default_config_static_selectorELNS0_4arch9wavefront6targetE1EEEvT1_, .Lfunc_end3935-_ZN7rocprim17ROCPRIM_400000_NS6detail17trampoline_kernelINS0_14default_configENS1_20scan_config_selectorIiEEZZNS1_9scan_implILNS1_25lookback_scan_determinismE0ELb1ELb1ES3_N6thrust23THRUST_200600_302600_NS6detail15normal_iteratorINS9_10device_ptrIiEEEENS9_16discard_iteratorINS9_11use_defaultEEEi11max_functorIiEiEEDaPvRmT3_T4_T5_mT6_P12ihipStream_tbENKUlT_T0_E_clISt17integral_constantIbLb0EESX_EEDaSS_ST_EUlSS_E0_NS1_11comp_targetILNS1_3genE0ELNS1_11target_archE4294967295ELNS1_3gpuE0ELNS1_3repE0EEENS1_30default_config_static_selectorELNS0_4arch9wavefront6targetE1EEEvT1_
                                        ; -- End function
	.section	.AMDGPU.csdata,"",@progbits
; Kernel info:
; codeLenInByte = 0
; NumSgprs: 4
; NumVgprs: 0
; NumAgprs: 0
; TotalNumVgprs: 0
; ScratchSize: 0
; MemoryBound: 0
; FloatMode: 240
; IeeeMode: 1
; LDSByteSize: 0 bytes/workgroup (compile time only)
; SGPRBlocks: 0
; VGPRBlocks: 0
; NumSGPRsForWavesPerEU: 4
; NumVGPRsForWavesPerEU: 1
; AccumOffset: 4
; Occupancy: 8
; WaveLimiterHint : 0
; COMPUTE_PGM_RSRC2:SCRATCH_EN: 0
; COMPUTE_PGM_RSRC2:USER_SGPR: 6
; COMPUTE_PGM_RSRC2:TRAP_HANDLER: 0
; COMPUTE_PGM_RSRC2:TGID_X_EN: 1
; COMPUTE_PGM_RSRC2:TGID_Y_EN: 0
; COMPUTE_PGM_RSRC2:TGID_Z_EN: 0
; COMPUTE_PGM_RSRC2:TIDIG_COMP_CNT: 0
; COMPUTE_PGM_RSRC3_GFX90A:ACCUM_OFFSET: 0
; COMPUTE_PGM_RSRC3_GFX90A:TG_SPLIT: 0
	.section	.text._ZN7rocprim17ROCPRIM_400000_NS6detail17trampoline_kernelINS0_14default_configENS1_20scan_config_selectorIiEEZZNS1_9scan_implILNS1_25lookback_scan_determinismE0ELb1ELb1ES3_N6thrust23THRUST_200600_302600_NS6detail15normal_iteratorINS9_10device_ptrIiEEEENS9_16discard_iteratorINS9_11use_defaultEEEi11max_functorIiEiEEDaPvRmT3_T4_T5_mT6_P12ihipStream_tbENKUlT_T0_E_clISt17integral_constantIbLb0EESX_EEDaSS_ST_EUlSS_E0_NS1_11comp_targetILNS1_3genE5ELNS1_11target_archE942ELNS1_3gpuE9ELNS1_3repE0EEENS1_30default_config_static_selectorELNS0_4arch9wavefront6targetE1EEEvT1_,"axG",@progbits,_ZN7rocprim17ROCPRIM_400000_NS6detail17trampoline_kernelINS0_14default_configENS1_20scan_config_selectorIiEEZZNS1_9scan_implILNS1_25lookback_scan_determinismE0ELb1ELb1ES3_N6thrust23THRUST_200600_302600_NS6detail15normal_iteratorINS9_10device_ptrIiEEEENS9_16discard_iteratorINS9_11use_defaultEEEi11max_functorIiEiEEDaPvRmT3_T4_T5_mT6_P12ihipStream_tbENKUlT_T0_E_clISt17integral_constantIbLb0EESX_EEDaSS_ST_EUlSS_E0_NS1_11comp_targetILNS1_3genE5ELNS1_11target_archE942ELNS1_3gpuE9ELNS1_3repE0EEENS1_30default_config_static_selectorELNS0_4arch9wavefront6targetE1EEEvT1_,comdat
	.protected	_ZN7rocprim17ROCPRIM_400000_NS6detail17trampoline_kernelINS0_14default_configENS1_20scan_config_selectorIiEEZZNS1_9scan_implILNS1_25lookback_scan_determinismE0ELb1ELb1ES3_N6thrust23THRUST_200600_302600_NS6detail15normal_iteratorINS9_10device_ptrIiEEEENS9_16discard_iteratorINS9_11use_defaultEEEi11max_functorIiEiEEDaPvRmT3_T4_T5_mT6_P12ihipStream_tbENKUlT_T0_E_clISt17integral_constantIbLb0EESX_EEDaSS_ST_EUlSS_E0_NS1_11comp_targetILNS1_3genE5ELNS1_11target_archE942ELNS1_3gpuE9ELNS1_3repE0EEENS1_30default_config_static_selectorELNS0_4arch9wavefront6targetE1EEEvT1_ ; -- Begin function _ZN7rocprim17ROCPRIM_400000_NS6detail17trampoline_kernelINS0_14default_configENS1_20scan_config_selectorIiEEZZNS1_9scan_implILNS1_25lookback_scan_determinismE0ELb1ELb1ES3_N6thrust23THRUST_200600_302600_NS6detail15normal_iteratorINS9_10device_ptrIiEEEENS9_16discard_iteratorINS9_11use_defaultEEEi11max_functorIiEiEEDaPvRmT3_T4_T5_mT6_P12ihipStream_tbENKUlT_T0_E_clISt17integral_constantIbLb0EESX_EEDaSS_ST_EUlSS_E0_NS1_11comp_targetILNS1_3genE5ELNS1_11target_archE942ELNS1_3gpuE9ELNS1_3repE0EEENS1_30default_config_static_selectorELNS0_4arch9wavefront6targetE1EEEvT1_
	.globl	_ZN7rocprim17ROCPRIM_400000_NS6detail17trampoline_kernelINS0_14default_configENS1_20scan_config_selectorIiEEZZNS1_9scan_implILNS1_25lookback_scan_determinismE0ELb1ELb1ES3_N6thrust23THRUST_200600_302600_NS6detail15normal_iteratorINS9_10device_ptrIiEEEENS9_16discard_iteratorINS9_11use_defaultEEEi11max_functorIiEiEEDaPvRmT3_T4_T5_mT6_P12ihipStream_tbENKUlT_T0_E_clISt17integral_constantIbLb0EESX_EEDaSS_ST_EUlSS_E0_NS1_11comp_targetILNS1_3genE5ELNS1_11target_archE942ELNS1_3gpuE9ELNS1_3repE0EEENS1_30default_config_static_selectorELNS0_4arch9wavefront6targetE1EEEvT1_
	.p2align	8
	.type	_ZN7rocprim17ROCPRIM_400000_NS6detail17trampoline_kernelINS0_14default_configENS1_20scan_config_selectorIiEEZZNS1_9scan_implILNS1_25lookback_scan_determinismE0ELb1ELb1ES3_N6thrust23THRUST_200600_302600_NS6detail15normal_iteratorINS9_10device_ptrIiEEEENS9_16discard_iteratorINS9_11use_defaultEEEi11max_functorIiEiEEDaPvRmT3_T4_T5_mT6_P12ihipStream_tbENKUlT_T0_E_clISt17integral_constantIbLb0EESX_EEDaSS_ST_EUlSS_E0_NS1_11comp_targetILNS1_3genE5ELNS1_11target_archE942ELNS1_3gpuE9ELNS1_3repE0EEENS1_30default_config_static_selectorELNS0_4arch9wavefront6targetE1EEEvT1_,@function
_ZN7rocprim17ROCPRIM_400000_NS6detail17trampoline_kernelINS0_14default_configENS1_20scan_config_selectorIiEEZZNS1_9scan_implILNS1_25lookback_scan_determinismE0ELb1ELb1ES3_N6thrust23THRUST_200600_302600_NS6detail15normal_iteratorINS9_10device_ptrIiEEEENS9_16discard_iteratorINS9_11use_defaultEEEi11max_functorIiEiEEDaPvRmT3_T4_T5_mT6_P12ihipStream_tbENKUlT_T0_E_clISt17integral_constantIbLb0EESX_EEDaSS_ST_EUlSS_E0_NS1_11comp_targetILNS1_3genE5ELNS1_11target_archE942ELNS1_3gpuE9ELNS1_3repE0EEENS1_30default_config_static_selectorELNS0_4arch9wavefront6targetE1EEEvT1_: ; @_ZN7rocprim17ROCPRIM_400000_NS6detail17trampoline_kernelINS0_14default_configENS1_20scan_config_selectorIiEEZZNS1_9scan_implILNS1_25lookback_scan_determinismE0ELb1ELb1ES3_N6thrust23THRUST_200600_302600_NS6detail15normal_iteratorINS9_10device_ptrIiEEEENS9_16discard_iteratorINS9_11use_defaultEEEi11max_functorIiEiEEDaPvRmT3_T4_T5_mT6_P12ihipStream_tbENKUlT_T0_E_clISt17integral_constantIbLb0EESX_EEDaSS_ST_EUlSS_E0_NS1_11comp_targetILNS1_3genE5ELNS1_11target_archE942ELNS1_3gpuE9ELNS1_3repE0EEENS1_30default_config_static_selectorELNS0_4arch9wavefront6targetE1EEEvT1_
; %bb.0:
	.section	.rodata,"a",@progbits
	.p2align	6, 0x0
	.amdhsa_kernel _ZN7rocprim17ROCPRIM_400000_NS6detail17trampoline_kernelINS0_14default_configENS1_20scan_config_selectorIiEEZZNS1_9scan_implILNS1_25lookback_scan_determinismE0ELb1ELb1ES3_N6thrust23THRUST_200600_302600_NS6detail15normal_iteratorINS9_10device_ptrIiEEEENS9_16discard_iteratorINS9_11use_defaultEEEi11max_functorIiEiEEDaPvRmT3_T4_T5_mT6_P12ihipStream_tbENKUlT_T0_E_clISt17integral_constantIbLb0EESX_EEDaSS_ST_EUlSS_E0_NS1_11comp_targetILNS1_3genE5ELNS1_11target_archE942ELNS1_3gpuE9ELNS1_3repE0EEENS1_30default_config_static_selectorELNS0_4arch9wavefront6targetE1EEEvT1_
		.amdhsa_group_segment_fixed_size 0
		.amdhsa_private_segment_fixed_size 0
		.amdhsa_kernarg_size 40
		.amdhsa_user_sgpr_count 6
		.amdhsa_user_sgpr_private_segment_buffer 1
		.amdhsa_user_sgpr_dispatch_ptr 0
		.amdhsa_user_sgpr_queue_ptr 0
		.amdhsa_user_sgpr_kernarg_segment_ptr 1
		.amdhsa_user_sgpr_dispatch_id 0
		.amdhsa_user_sgpr_flat_scratch_init 0
		.amdhsa_user_sgpr_kernarg_preload_length 0
		.amdhsa_user_sgpr_kernarg_preload_offset 0
		.amdhsa_user_sgpr_private_segment_size 0
		.amdhsa_uses_dynamic_stack 0
		.amdhsa_system_sgpr_private_segment_wavefront_offset 0
		.amdhsa_system_sgpr_workgroup_id_x 1
		.amdhsa_system_sgpr_workgroup_id_y 0
		.amdhsa_system_sgpr_workgroup_id_z 0
		.amdhsa_system_sgpr_workgroup_info 0
		.amdhsa_system_vgpr_workitem_id 0
		.amdhsa_next_free_vgpr 1
		.amdhsa_next_free_sgpr 0
		.amdhsa_accum_offset 4
		.amdhsa_reserve_vcc 0
		.amdhsa_reserve_flat_scratch 0
		.amdhsa_float_round_mode_32 0
		.amdhsa_float_round_mode_16_64 0
		.amdhsa_float_denorm_mode_32 3
		.amdhsa_float_denorm_mode_16_64 3
		.amdhsa_dx10_clamp 1
		.amdhsa_ieee_mode 1
		.amdhsa_fp16_overflow 0
		.amdhsa_tg_split 0
		.amdhsa_exception_fp_ieee_invalid_op 0
		.amdhsa_exception_fp_denorm_src 0
		.amdhsa_exception_fp_ieee_div_zero 0
		.amdhsa_exception_fp_ieee_overflow 0
		.amdhsa_exception_fp_ieee_underflow 0
		.amdhsa_exception_fp_ieee_inexact 0
		.amdhsa_exception_int_div_zero 0
	.end_amdhsa_kernel
	.section	.text._ZN7rocprim17ROCPRIM_400000_NS6detail17trampoline_kernelINS0_14default_configENS1_20scan_config_selectorIiEEZZNS1_9scan_implILNS1_25lookback_scan_determinismE0ELb1ELb1ES3_N6thrust23THRUST_200600_302600_NS6detail15normal_iteratorINS9_10device_ptrIiEEEENS9_16discard_iteratorINS9_11use_defaultEEEi11max_functorIiEiEEDaPvRmT3_T4_T5_mT6_P12ihipStream_tbENKUlT_T0_E_clISt17integral_constantIbLb0EESX_EEDaSS_ST_EUlSS_E0_NS1_11comp_targetILNS1_3genE5ELNS1_11target_archE942ELNS1_3gpuE9ELNS1_3repE0EEENS1_30default_config_static_selectorELNS0_4arch9wavefront6targetE1EEEvT1_,"axG",@progbits,_ZN7rocprim17ROCPRIM_400000_NS6detail17trampoline_kernelINS0_14default_configENS1_20scan_config_selectorIiEEZZNS1_9scan_implILNS1_25lookback_scan_determinismE0ELb1ELb1ES3_N6thrust23THRUST_200600_302600_NS6detail15normal_iteratorINS9_10device_ptrIiEEEENS9_16discard_iteratorINS9_11use_defaultEEEi11max_functorIiEiEEDaPvRmT3_T4_T5_mT6_P12ihipStream_tbENKUlT_T0_E_clISt17integral_constantIbLb0EESX_EEDaSS_ST_EUlSS_E0_NS1_11comp_targetILNS1_3genE5ELNS1_11target_archE942ELNS1_3gpuE9ELNS1_3repE0EEENS1_30default_config_static_selectorELNS0_4arch9wavefront6targetE1EEEvT1_,comdat
.Lfunc_end3936:
	.size	_ZN7rocprim17ROCPRIM_400000_NS6detail17trampoline_kernelINS0_14default_configENS1_20scan_config_selectorIiEEZZNS1_9scan_implILNS1_25lookback_scan_determinismE0ELb1ELb1ES3_N6thrust23THRUST_200600_302600_NS6detail15normal_iteratorINS9_10device_ptrIiEEEENS9_16discard_iteratorINS9_11use_defaultEEEi11max_functorIiEiEEDaPvRmT3_T4_T5_mT6_P12ihipStream_tbENKUlT_T0_E_clISt17integral_constantIbLb0EESX_EEDaSS_ST_EUlSS_E0_NS1_11comp_targetILNS1_3genE5ELNS1_11target_archE942ELNS1_3gpuE9ELNS1_3repE0EEENS1_30default_config_static_selectorELNS0_4arch9wavefront6targetE1EEEvT1_, .Lfunc_end3936-_ZN7rocprim17ROCPRIM_400000_NS6detail17trampoline_kernelINS0_14default_configENS1_20scan_config_selectorIiEEZZNS1_9scan_implILNS1_25lookback_scan_determinismE0ELb1ELb1ES3_N6thrust23THRUST_200600_302600_NS6detail15normal_iteratorINS9_10device_ptrIiEEEENS9_16discard_iteratorINS9_11use_defaultEEEi11max_functorIiEiEEDaPvRmT3_T4_T5_mT6_P12ihipStream_tbENKUlT_T0_E_clISt17integral_constantIbLb0EESX_EEDaSS_ST_EUlSS_E0_NS1_11comp_targetILNS1_3genE5ELNS1_11target_archE942ELNS1_3gpuE9ELNS1_3repE0EEENS1_30default_config_static_selectorELNS0_4arch9wavefront6targetE1EEEvT1_
                                        ; -- End function
	.section	.AMDGPU.csdata,"",@progbits
; Kernel info:
; codeLenInByte = 0
; NumSgprs: 4
; NumVgprs: 0
; NumAgprs: 0
; TotalNumVgprs: 0
; ScratchSize: 0
; MemoryBound: 0
; FloatMode: 240
; IeeeMode: 1
; LDSByteSize: 0 bytes/workgroup (compile time only)
; SGPRBlocks: 0
; VGPRBlocks: 0
; NumSGPRsForWavesPerEU: 4
; NumVGPRsForWavesPerEU: 1
; AccumOffset: 4
; Occupancy: 8
; WaveLimiterHint : 0
; COMPUTE_PGM_RSRC2:SCRATCH_EN: 0
; COMPUTE_PGM_RSRC2:USER_SGPR: 6
; COMPUTE_PGM_RSRC2:TRAP_HANDLER: 0
; COMPUTE_PGM_RSRC2:TGID_X_EN: 1
; COMPUTE_PGM_RSRC2:TGID_Y_EN: 0
; COMPUTE_PGM_RSRC2:TGID_Z_EN: 0
; COMPUTE_PGM_RSRC2:TIDIG_COMP_CNT: 0
; COMPUTE_PGM_RSRC3_GFX90A:ACCUM_OFFSET: 0
; COMPUTE_PGM_RSRC3_GFX90A:TG_SPLIT: 0
	.section	.text._ZN7rocprim17ROCPRIM_400000_NS6detail17trampoline_kernelINS0_14default_configENS1_20scan_config_selectorIiEEZZNS1_9scan_implILNS1_25lookback_scan_determinismE0ELb1ELb1ES3_N6thrust23THRUST_200600_302600_NS6detail15normal_iteratorINS9_10device_ptrIiEEEENS9_16discard_iteratorINS9_11use_defaultEEEi11max_functorIiEiEEDaPvRmT3_T4_T5_mT6_P12ihipStream_tbENKUlT_T0_E_clISt17integral_constantIbLb0EESX_EEDaSS_ST_EUlSS_E0_NS1_11comp_targetILNS1_3genE4ELNS1_11target_archE910ELNS1_3gpuE8ELNS1_3repE0EEENS1_30default_config_static_selectorELNS0_4arch9wavefront6targetE1EEEvT1_,"axG",@progbits,_ZN7rocprim17ROCPRIM_400000_NS6detail17trampoline_kernelINS0_14default_configENS1_20scan_config_selectorIiEEZZNS1_9scan_implILNS1_25lookback_scan_determinismE0ELb1ELb1ES3_N6thrust23THRUST_200600_302600_NS6detail15normal_iteratorINS9_10device_ptrIiEEEENS9_16discard_iteratorINS9_11use_defaultEEEi11max_functorIiEiEEDaPvRmT3_T4_T5_mT6_P12ihipStream_tbENKUlT_T0_E_clISt17integral_constantIbLb0EESX_EEDaSS_ST_EUlSS_E0_NS1_11comp_targetILNS1_3genE4ELNS1_11target_archE910ELNS1_3gpuE8ELNS1_3repE0EEENS1_30default_config_static_selectorELNS0_4arch9wavefront6targetE1EEEvT1_,comdat
	.protected	_ZN7rocprim17ROCPRIM_400000_NS6detail17trampoline_kernelINS0_14default_configENS1_20scan_config_selectorIiEEZZNS1_9scan_implILNS1_25lookback_scan_determinismE0ELb1ELb1ES3_N6thrust23THRUST_200600_302600_NS6detail15normal_iteratorINS9_10device_ptrIiEEEENS9_16discard_iteratorINS9_11use_defaultEEEi11max_functorIiEiEEDaPvRmT3_T4_T5_mT6_P12ihipStream_tbENKUlT_T0_E_clISt17integral_constantIbLb0EESX_EEDaSS_ST_EUlSS_E0_NS1_11comp_targetILNS1_3genE4ELNS1_11target_archE910ELNS1_3gpuE8ELNS1_3repE0EEENS1_30default_config_static_selectorELNS0_4arch9wavefront6targetE1EEEvT1_ ; -- Begin function _ZN7rocprim17ROCPRIM_400000_NS6detail17trampoline_kernelINS0_14default_configENS1_20scan_config_selectorIiEEZZNS1_9scan_implILNS1_25lookback_scan_determinismE0ELb1ELb1ES3_N6thrust23THRUST_200600_302600_NS6detail15normal_iteratorINS9_10device_ptrIiEEEENS9_16discard_iteratorINS9_11use_defaultEEEi11max_functorIiEiEEDaPvRmT3_T4_T5_mT6_P12ihipStream_tbENKUlT_T0_E_clISt17integral_constantIbLb0EESX_EEDaSS_ST_EUlSS_E0_NS1_11comp_targetILNS1_3genE4ELNS1_11target_archE910ELNS1_3gpuE8ELNS1_3repE0EEENS1_30default_config_static_selectorELNS0_4arch9wavefront6targetE1EEEvT1_
	.globl	_ZN7rocprim17ROCPRIM_400000_NS6detail17trampoline_kernelINS0_14default_configENS1_20scan_config_selectorIiEEZZNS1_9scan_implILNS1_25lookback_scan_determinismE0ELb1ELb1ES3_N6thrust23THRUST_200600_302600_NS6detail15normal_iteratorINS9_10device_ptrIiEEEENS9_16discard_iteratorINS9_11use_defaultEEEi11max_functorIiEiEEDaPvRmT3_T4_T5_mT6_P12ihipStream_tbENKUlT_T0_E_clISt17integral_constantIbLb0EESX_EEDaSS_ST_EUlSS_E0_NS1_11comp_targetILNS1_3genE4ELNS1_11target_archE910ELNS1_3gpuE8ELNS1_3repE0EEENS1_30default_config_static_selectorELNS0_4arch9wavefront6targetE1EEEvT1_
	.p2align	8
	.type	_ZN7rocprim17ROCPRIM_400000_NS6detail17trampoline_kernelINS0_14default_configENS1_20scan_config_selectorIiEEZZNS1_9scan_implILNS1_25lookback_scan_determinismE0ELb1ELb1ES3_N6thrust23THRUST_200600_302600_NS6detail15normal_iteratorINS9_10device_ptrIiEEEENS9_16discard_iteratorINS9_11use_defaultEEEi11max_functorIiEiEEDaPvRmT3_T4_T5_mT6_P12ihipStream_tbENKUlT_T0_E_clISt17integral_constantIbLb0EESX_EEDaSS_ST_EUlSS_E0_NS1_11comp_targetILNS1_3genE4ELNS1_11target_archE910ELNS1_3gpuE8ELNS1_3repE0EEENS1_30default_config_static_selectorELNS0_4arch9wavefront6targetE1EEEvT1_,@function
_ZN7rocprim17ROCPRIM_400000_NS6detail17trampoline_kernelINS0_14default_configENS1_20scan_config_selectorIiEEZZNS1_9scan_implILNS1_25lookback_scan_determinismE0ELb1ELb1ES3_N6thrust23THRUST_200600_302600_NS6detail15normal_iteratorINS9_10device_ptrIiEEEENS9_16discard_iteratorINS9_11use_defaultEEEi11max_functorIiEiEEDaPvRmT3_T4_T5_mT6_P12ihipStream_tbENKUlT_T0_E_clISt17integral_constantIbLb0EESX_EEDaSS_ST_EUlSS_E0_NS1_11comp_targetILNS1_3genE4ELNS1_11target_archE910ELNS1_3gpuE8ELNS1_3repE0EEENS1_30default_config_static_selectorELNS0_4arch9wavefront6targetE1EEEvT1_: ; @_ZN7rocprim17ROCPRIM_400000_NS6detail17trampoline_kernelINS0_14default_configENS1_20scan_config_selectorIiEEZZNS1_9scan_implILNS1_25lookback_scan_determinismE0ELb1ELb1ES3_N6thrust23THRUST_200600_302600_NS6detail15normal_iteratorINS9_10device_ptrIiEEEENS9_16discard_iteratorINS9_11use_defaultEEEi11max_functorIiEiEEDaPvRmT3_T4_T5_mT6_P12ihipStream_tbENKUlT_T0_E_clISt17integral_constantIbLb0EESX_EEDaSS_ST_EUlSS_E0_NS1_11comp_targetILNS1_3genE4ELNS1_11target_archE910ELNS1_3gpuE8ELNS1_3repE0EEENS1_30default_config_static_selectorELNS0_4arch9wavefront6targetE1EEEvT1_
; %bb.0:
	s_load_dwordx4 s[0:3], s[4:5], 0x0
	v_lshlrev_b32_e32 v1, 2, v0
	s_waitcnt lgkmcnt(0)
	s_load_dword s3, s[0:1], 0x0
	v_cmp_gt_u32_e32 vcc, s2, v0
	s_waitcnt lgkmcnt(0)
	v_mov_b32_e32 v2, s3
	s_and_saveexec_b64 s[6:7], vcc
	s_cbranch_execz .LBB3937_2
; %bb.1:
	global_load_dword v2, v1, s[0:1]
.LBB3937_2:
	s_or_b64 exec, exec, s[6:7]
	v_or_b32_e32 v3, 0x80, v0
	v_cmp_gt_u32_e32 vcc, s2, v3
	v_mov_b32_e32 v3, s3
	s_and_saveexec_b64 s[6:7], vcc
	s_cbranch_execz .LBB3937_4
; %bb.3:
	global_load_dword v3, v1, s[0:1] offset:512
.LBB3937_4:
	s_or_b64 exec, exec, s[6:7]
	v_or_b32_e32 v4, 0x100, v0
	v_cmp_gt_u32_e32 vcc, s2, v4
	v_mov_b32_e32 v4, s3
	s_and_saveexec_b64 s[6:7], vcc
	s_cbranch_execz .LBB3937_6
; %bb.5:
	global_load_dword v4, v1, s[0:1] offset:1024
.LBB3937_6:
	;; [unrolled: 9-line block ×7, first 2 shown]
	s_or_b64 exec, exec, s[6:7]
	v_or_b32_e32 v11, 0x400, v0
	v_cmp_gt_u32_e32 vcc, s2, v11
	v_mov_b32_e32 v10, s3
	s_and_saveexec_b64 s[6:7], vcc
	s_cbranch_execz .LBB3937_18
; %bb.17:
	v_lshlrev_b32_e32 v10, 2, v11
	global_load_dword v10, v10, s[0:1]
.LBB3937_18:
	s_or_b64 exec, exec, s[6:7]
	s_load_dword s4, s[4:5], 0x10
	v_or_b32_e32 v12, 0x480, v0
	v_cmp_gt_u32_e32 vcc, s2, v12
	v_mov_b32_e32 v11, s3
	s_and_saveexec_b64 s[2:3], vcc
	s_cbranch_execz .LBB3937_20
; %bb.19:
	v_lshlrev_b32_e32 v11, 2, v12
	global_load_dword v11, v11, s[0:1]
.LBB3937_20:
	s_or_b64 exec, exec, s[2:3]
	s_waitcnt vmcnt(0)
	ds_write2st64_b32 v1, v2, v3 offset1:2
	ds_write2st64_b32 v1, v4, v5 offset0:4 offset1:6
	ds_write2st64_b32 v1, v6, v7 offset0:8 offset1:10
	;; [unrolled: 1-line block ×4, first 2 shown]
	v_mad_u32_u24 v10, v0, 36, v1
	s_waitcnt lgkmcnt(0)
	s_barrier
	ds_read2_b64 v[6:9], v10 offset1:1
	ds_read2_b64 v[2:5], v10 offset0:2 offset1:3
	ds_read_b64 v[10:11], v10 offset:32
	v_cmp_gt_u32_e32 vcc, 64, v0
	s_waitcnt lgkmcnt(0)
	v_max_i32_e32 v12, v6, v7
	v_max3_i32 v12, v12, v8, v9
	v_max3_i32 v12, v12, v2, v3
	;; [unrolled: 1-line block ×4, first 2 shown]
	v_lshrrev_b32_e32 v12, 3, v0
	v_and_b32_e32 v12, 12, v12
	v_add_u32_e32 v12, v1, v12
	s_barrier
	ds_write_b32 v12, v11
	s_waitcnt lgkmcnt(0)
	s_barrier
	s_and_saveexec_b64 s[0:1], vcc
	s_cbranch_execz .LBB3937_22
; %bb.21:
	v_lshlrev_b32_e32 v12, 1, v0
	v_lshrrev_b32_e32 v13, 4, v0
	v_add_lshl_u32 v14, v13, v12, 2
	ds_read2_b32 v[12:13], v14 offset1:1
	v_mbcnt_lo_u32_b32 v15, -1, 0
	v_mbcnt_hi_u32_b32 v15, -1, v15
	v_and_b32_e32 v16, 15, v15
	v_cmp_eq_u32_e32 vcc, 0, v16
	s_waitcnt lgkmcnt(0)
	v_max_i32_e32 v13, v12, v13
	; wave barrier
	s_nop 1
	v_mov_b32_dpp v17, v13 row_shr:1 row_mask:0xf bank_mask:0xf
	v_max_i32_e32 v17, v17, v13
	v_cndmask_b32_e32 v13, v17, v13, vcc
	v_cmp_lt_u32_e32 vcc, 1, v16
	s_nop 0
	v_mov_b32_dpp v17, v13 row_shr:2 row_mask:0xf bank_mask:0xf
	v_max_i32_e32 v17, v17, v13
	v_cndmask_b32_e32 v13, v13, v17, vcc
	v_cmp_lt_u32_e32 vcc, 3, v16
	s_nop 0
	v_mov_b32_dpp v17, v13 row_shr:4 row_mask:0xf bank_mask:0xf
	v_max_i32_e32 v17, v17, v13
	v_cndmask_b32_e32 v13, v13, v17, vcc
	v_cmp_lt_u32_e32 vcc, 7, v16
	s_nop 0
	v_mov_b32_dpp v17, v13 row_shr:8 row_mask:0xf bank_mask:0xf
	v_max_i32_e32 v17, v17, v13
	v_cndmask_b32_e32 v13, v13, v17, vcc
	v_and_b32_e32 v17, 16, v15
	v_cmp_eq_u32_e32 vcc, 0, v17
	v_mov_b32_dpp v16, v13 row_bcast:15 row_mask:0xf bank_mask:0xf
	v_max_i32_e32 v16, v16, v13
	v_cndmask_b32_e32 v13, v16, v13, vcc
	v_cmp_lt_u32_e32 vcc, 31, v15
	v_and_b32_e32 v17, 64, v15
	v_mov_b32_dpp v16, v13 row_bcast:31 row_mask:0xf bank_mask:0xf
	v_max_i32_e32 v16, v16, v13
	v_cndmask_b32_e32 v13, v13, v16, vcc
	v_add_u32_e32 v16, -1, v15
	v_cmp_lt_i32_e32 vcc, v16, v17
	v_cndmask_b32_e32 v15, v16, v15, vcc
	v_lshlrev_b32_e32 v15, 2, v15
	ds_bpermute_b32 v13, v15, v13
	v_cmp_eq_u32_e32 vcc, 0, v0
	s_waitcnt lgkmcnt(0)
	v_max_i32_e32 v12, v13, v12
	v_cndmask_b32_e32 v11, v12, v11, vcc
	ds_write_b32 v14, v11
	; wave barrier
	ds_read_b32 v12, v14 offset:4
	s_waitcnt lgkmcnt(0)
	v_max_i32_e32 v11, v11, v12
	ds_write_b32 v14, v11 offset:4
.LBB3937_22:
	s_or_b64 exec, exec, s[0:1]
	v_mul_u32_u24_e32 v11, 36, v0
	v_cmp_ne_u32_e32 vcc, 0, v0
	v_mov_b32_e32 v12, s4
	s_waitcnt lgkmcnt(0)
	s_barrier
	s_and_saveexec_b64 s[0:1], vcc
	s_cbranch_execz .LBB3937_24
; %bb.23:
	v_add_u32_e32 v0, -1, v0
	v_lshrrev_b32_e32 v12, 5, v0
	v_add_lshl_u32 v0, v12, v0, 2
	ds_read_b32 v0, v0
	s_waitcnt lgkmcnt(0)
	v_max_i32_e32 v12, s4, v0
.LBB3937_24:
	s_or_b64 exec, exec, s[0:1]
	v_max_i32_e32 v13, v12, v6
	v_max_i32_e32 v6, v13, v7
	;; [unrolled: 1-line block ×8, first 2 shown]
	v_add_u32_e32 v0, v1, v11
	v_max_i32_e32 v5, v4, v10
	s_barrier
	ds_write2_b64 v0, v[12:13], v[6:7] offset1:1
	ds_write2_b64 v0, v[8:9], v[2:3] offset0:2 offset1:3
	ds_write_b64 v0, v[4:5] offset:32
	s_waitcnt lgkmcnt(0)
	s_barrier
	s_endpgm
	.section	.rodata,"a",@progbits
	.p2align	6, 0x0
	.amdhsa_kernel _ZN7rocprim17ROCPRIM_400000_NS6detail17trampoline_kernelINS0_14default_configENS1_20scan_config_selectorIiEEZZNS1_9scan_implILNS1_25lookback_scan_determinismE0ELb1ELb1ES3_N6thrust23THRUST_200600_302600_NS6detail15normal_iteratorINS9_10device_ptrIiEEEENS9_16discard_iteratorINS9_11use_defaultEEEi11max_functorIiEiEEDaPvRmT3_T4_T5_mT6_P12ihipStream_tbENKUlT_T0_E_clISt17integral_constantIbLb0EESX_EEDaSS_ST_EUlSS_E0_NS1_11comp_targetILNS1_3genE4ELNS1_11target_archE910ELNS1_3gpuE8ELNS1_3repE0EEENS1_30default_config_static_selectorELNS0_4arch9wavefront6targetE1EEEvT1_
		.amdhsa_group_segment_fixed_size 5120
		.amdhsa_private_segment_fixed_size 0
		.amdhsa_kernarg_size 40
		.amdhsa_user_sgpr_count 6
		.amdhsa_user_sgpr_private_segment_buffer 1
		.amdhsa_user_sgpr_dispatch_ptr 0
		.amdhsa_user_sgpr_queue_ptr 0
		.amdhsa_user_sgpr_kernarg_segment_ptr 1
		.amdhsa_user_sgpr_dispatch_id 0
		.amdhsa_user_sgpr_flat_scratch_init 0
		.amdhsa_user_sgpr_kernarg_preload_length 0
		.amdhsa_user_sgpr_kernarg_preload_offset 0
		.amdhsa_user_sgpr_private_segment_size 0
		.amdhsa_uses_dynamic_stack 0
		.amdhsa_system_sgpr_private_segment_wavefront_offset 0
		.amdhsa_system_sgpr_workgroup_id_x 1
		.amdhsa_system_sgpr_workgroup_id_y 0
		.amdhsa_system_sgpr_workgroup_id_z 0
		.amdhsa_system_sgpr_workgroup_info 0
		.amdhsa_system_vgpr_workitem_id 0
		.amdhsa_next_free_vgpr 18
		.amdhsa_next_free_sgpr 8
		.amdhsa_accum_offset 20
		.amdhsa_reserve_vcc 1
		.amdhsa_reserve_flat_scratch 0
		.amdhsa_float_round_mode_32 0
		.amdhsa_float_round_mode_16_64 0
		.amdhsa_float_denorm_mode_32 3
		.amdhsa_float_denorm_mode_16_64 3
		.amdhsa_dx10_clamp 1
		.amdhsa_ieee_mode 1
		.amdhsa_fp16_overflow 0
		.amdhsa_tg_split 0
		.amdhsa_exception_fp_ieee_invalid_op 0
		.amdhsa_exception_fp_denorm_src 0
		.amdhsa_exception_fp_ieee_div_zero 0
		.amdhsa_exception_fp_ieee_overflow 0
		.amdhsa_exception_fp_ieee_underflow 0
		.amdhsa_exception_fp_ieee_inexact 0
		.amdhsa_exception_int_div_zero 0
	.end_amdhsa_kernel
	.section	.text._ZN7rocprim17ROCPRIM_400000_NS6detail17trampoline_kernelINS0_14default_configENS1_20scan_config_selectorIiEEZZNS1_9scan_implILNS1_25lookback_scan_determinismE0ELb1ELb1ES3_N6thrust23THRUST_200600_302600_NS6detail15normal_iteratorINS9_10device_ptrIiEEEENS9_16discard_iteratorINS9_11use_defaultEEEi11max_functorIiEiEEDaPvRmT3_T4_T5_mT6_P12ihipStream_tbENKUlT_T0_E_clISt17integral_constantIbLb0EESX_EEDaSS_ST_EUlSS_E0_NS1_11comp_targetILNS1_3genE4ELNS1_11target_archE910ELNS1_3gpuE8ELNS1_3repE0EEENS1_30default_config_static_selectorELNS0_4arch9wavefront6targetE1EEEvT1_,"axG",@progbits,_ZN7rocprim17ROCPRIM_400000_NS6detail17trampoline_kernelINS0_14default_configENS1_20scan_config_selectorIiEEZZNS1_9scan_implILNS1_25lookback_scan_determinismE0ELb1ELb1ES3_N6thrust23THRUST_200600_302600_NS6detail15normal_iteratorINS9_10device_ptrIiEEEENS9_16discard_iteratorINS9_11use_defaultEEEi11max_functorIiEiEEDaPvRmT3_T4_T5_mT6_P12ihipStream_tbENKUlT_T0_E_clISt17integral_constantIbLb0EESX_EEDaSS_ST_EUlSS_E0_NS1_11comp_targetILNS1_3genE4ELNS1_11target_archE910ELNS1_3gpuE8ELNS1_3repE0EEENS1_30default_config_static_selectorELNS0_4arch9wavefront6targetE1EEEvT1_,comdat
.Lfunc_end3937:
	.size	_ZN7rocprim17ROCPRIM_400000_NS6detail17trampoline_kernelINS0_14default_configENS1_20scan_config_selectorIiEEZZNS1_9scan_implILNS1_25lookback_scan_determinismE0ELb1ELb1ES3_N6thrust23THRUST_200600_302600_NS6detail15normal_iteratorINS9_10device_ptrIiEEEENS9_16discard_iteratorINS9_11use_defaultEEEi11max_functorIiEiEEDaPvRmT3_T4_T5_mT6_P12ihipStream_tbENKUlT_T0_E_clISt17integral_constantIbLb0EESX_EEDaSS_ST_EUlSS_E0_NS1_11comp_targetILNS1_3genE4ELNS1_11target_archE910ELNS1_3gpuE8ELNS1_3repE0EEENS1_30default_config_static_selectorELNS0_4arch9wavefront6targetE1EEEvT1_, .Lfunc_end3937-_ZN7rocprim17ROCPRIM_400000_NS6detail17trampoline_kernelINS0_14default_configENS1_20scan_config_selectorIiEEZZNS1_9scan_implILNS1_25lookback_scan_determinismE0ELb1ELb1ES3_N6thrust23THRUST_200600_302600_NS6detail15normal_iteratorINS9_10device_ptrIiEEEENS9_16discard_iteratorINS9_11use_defaultEEEi11max_functorIiEiEEDaPvRmT3_T4_T5_mT6_P12ihipStream_tbENKUlT_T0_E_clISt17integral_constantIbLb0EESX_EEDaSS_ST_EUlSS_E0_NS1_11comp_targetILNS1_3genE4ELNS1_11target_archE910ELNS1_3gpuE8ELNS1_3repE0EEENS1_30default_config_static_selectorELNS0_4arch9wavefront6targetE1EEEvT1_
                                        ; -- End function
	.section	.AMDGPU.csdata,"",@progbits
; Kernel info:
; codeLenInByte = 980
; NumSgprs: 12
; NumVgprs: 18
; NumAgprs: 0
; TotalNumVgprs: 18
; ScratchSize: 0
; MemoryBound: 0
; FloatMode: 240
; IeeeMode: 1
; LDSByteSize: 5120 bytes/workgroup (compile time only)
; SGPRBlocks: 1
; VGPRBlocks: 2
; NumSGPRsForWavesPerEU: 12
; NumVGPRsForWavesPerEU: 18
; AccumOffset: 20
; Occupancy: 6
; WaveLimiterHint : 0
; COMPUTE_PGM_RSRC2:SCRATCH_EN: 0
; COMPUTE_PGM_RSRC2:USER_SGPR: 6
; COMPUTE_PGM_RSRC2:TRAP_HANDLER: 0
; COMPUTE_PGM_RSRC2:TGID_X_EN: 1
; COMPUTE_PGM_RSRC2:TGID_Y_EN: 0
; COMPUTE_PGM_RSRC2:TGID_Z_EN: 0
; COMPUTE_PGM_RSRC2:TIDIG_COMP_CNT: 0
; COMPUTE_PGM_RSRC3_GFX90A:ACCUM_OFFSET: 4
; COMPUTE_PGM_RSRC3_GFX90A:TG_SPLIT: 0
	.section	.text._ZN7rocprim17ROCPRIM_400000_NS6detail17trampoline_kernelINS0_14default_configENS1_20scan_config_selectorIiEEZZNS1_9scan_implILNS1_25lookback_scan_determinismE0ELb1ELb1ES3_N6thrust23THRUST_200600_302600_NS6detail15normal_iteratorINS9_10device_ptrIiEEEENS9_16discard_iteratorINS9_11use_defaultEEEi11max_functorIiEiEEDaPvRmT3_T4_T5_mT6_P12ihipStream_tbENKUlT_T0_E_clISt17integral_constantIbLb0EESX_EEDaSS_ST_EUlSS_E0_NS1_11comp_targetILNS1_3genE3ELNS1_11target_archE908ELNS1_3gpuE7ELNS1_3repE0EEENS1_30default_config_static_selectorELNS0_4arch9wavefront6targetE1EEEvT1_,"axG",@progbits,_ZN7rocprim17ROCPRIM_400000_NS6detail17trampoline_kernelINS0_14default_configENS1_20scan_config_selectorIiEEZZNS1_9scan_implILNS1_25lookback_scan_determinismE0ELb1ELb1ES3_N6thrust23THRUST_200600_302600_NS6detail15normal_iteratorINS9_10device_ptrIiEEEENS9_16discard_iteratorINS9_11use_defaultEEEi11max_functorIiEiEEDaPvRmT3_T4_T5_mT6_P12ihipStream_tbENKUlT_T0_E_clISt17integral_constantIbLb0EESX_EEDaSS_ST_EUlSS_E0_NS1_11comp_targetILNS1_3genE3ELNS1_11target_archE908ELNS1_3gpuE7ELNS1_3repE0EEENS1_30default_config_static_selectorELNS0_4arch9wavefront6targetE1EEEvT1_,comdat
	.protected	_ZN7rocprim17ROCPRIM_400000_NS6detail17trampoline_kernelINS0_14default_configENS1_20scan_config_selectorIiEEZZNS1_9scan_implILNS1_25lookback_scan_determinismE0ELb1ELb1ES3_N6thrust23THRUST_200600_302600_NS6detail15normal_iteratorINS9_10device_ptrIiEEEENS9_16discard_iteratorINS9_11use_defaultEEEi11max_functorIiEiEEDaPvRmT3_T4_T5_mT6_P12ihipStream_tbENKUlT_T0_E_clISt17integral_constantIbLb0EESX_EEDaSS_ST_EUlSS_E0_NS1_11comp_targetILNS1_3genE3ELNS1_11target_archE908ELNS1_3gpuE7ELNS1_3repE0EEENS1_30default_config_static_selectorELNS0_4arch9wavefront6targetE1EEEvT1_ ; -- Begin function _ZN7rocprim17ROCPRIM_400000_NS6detail17trampoline_kernelINS0_14default_configENS1_20scan_config_selectorIiEEZZNS1_9scan_implILNS1_25lookback_scan_determinismE0ELb1ELb1ES3_N6thrust23THRUST_200600_302600_NS6detail15normal_iteratorINS9_10device_ptrIiEEEENS9_16discard_iteratorINS9_11use_defaultEEEi11max_functorIiEiEEDaPvRmT3_T4_T5_mT6_P12ihipStream_tbENKUlT_T0_E_clISt17integral_constantIbLb0EESX_EEDaSS_ST_EUlSS_E0_NS1_11comp_targetILNS1_3genE3ELNS1_11target_archE908ELNS1_3gpuE7ELNS1_3repE0EEENS1_30default_config_static_selectorELNS0_4arch9wavefront6targetE1EEEvT1_
	.globl	_ZN7rocprim17ROCPRIM_400000_NS6detail17trampoline_kernelINS0_14default_configENS1_20scan_config_selectorIiEEZZNS1_9scan_implILNS1_25lookback_scan_determinismE0ELb1ELb1ES3_N6thrust23THRUST_200600_302600_NS6detail15normal_iteratorINS9_10device_ptrIiEEEENS9_16discard_iteratorINS9_11use_defaultEEEi11max_functorIiEiEEDaPvRmT3_T4_T5_mT6_P12ihipStream_tbENKUlT_T0_E_clISt17integral_constantIbLb0EESX_EEDaSS_ST_EUlSS_E0_NS1_11comp_targetILNS1_3genE3ELNS1_11target_archE908ELNS1_3gpuE7ELNS1_3repE0EEENS1_30default_config_static_selectorELNS0_4arch9wavefront6targetE1EEEvT1_
	.p2align	8
	.type	_ZN7rocprim17ROCPRIM_400000_NS6detail17trampoline_kernelINS0_14default_configENS1_20scan_config_selectorIiEEZZNS1_9scan_implILNS1_25lookback_scan_determinismE0ELb1ELb1ES3_N6thrust23THRUST_200600_302600_NS6detail15normal_iteratorINS9_10device_ptrIiEEEENS9_16discard_iteratorINS9_11use_defaultEEEi11max_functorIiEiEEDaPvRmT3_T4_T5_mT6_P12ihipStream_tbENKUlT_T0_E_clISt17integral_constantIbLb0EESX_EEDaSS_ST_EUlSS_E0_NS1_11comp_targetILNS1_3genE3ELNS1_11target_archE908ELNS1_3gpuE7ELNS1_3repE0EEENS1_30default_config_static_selectorELNS0_4arch9wavefront6targetE1EEEvT1_,@function
_ZN7rocprim17ROCPRIM_400000_NS6detail17trampoline_kernelINS0_14default_configENS1_20scan_config_selectorIiEEZZNS1_9scan_implILNS1_25lookback_scan_determinismE0ELb1ELb1ES3_N6thrust23THRUST_200600_302600_NS6detail15normal_iteratorINS9_10device_ptrIiEEEENS9_16discard_iteratorINS9_11use_defaultEEEi11max_functorIiEiEEDaPvRmT3_T4_T5_mT6_P12ihipStream_tbENKUlT_T0_E_clISt17integral_constantIbLb0EESX_EEDaSS_ST_EUlSS_E0_NS1_11comp_targetILNS1_3genE3ELNS1_11target_archE908ELNS1_3gpuE7ELNS1_3repE0EEENS1_30default_config_static_selectorELNS0_4arch9wavefront6targetE1EEEvT1_: ; @_ZN7rocprim17ROCPRIM_400000_NS6detail17trampoline_kernelINS0_14default_configENS1_20scan_config_selectorIiEEZZNS1_9scan_implILNS1_25lookback_scan_determinismE0ELb1ELb1ES3_N6thrust23THRUST_200600_302600_NS6detail15normal_iteratorINS9_10device_ptrIiEEEENS9_16discard_iteratorINS9_11use_defaultEEEi11max_functorIiEiEEDaPvRmT3_T4_T5_mT6_P12ihipStream_tbENKUlT_T0_E_clISt17integral_constantIbLb0EESX_EEDaSS_ST_EUlSS_E0_NS1_11comp_targetILNS1_3genE3ELNS1_11target_archE908ELNS1_3gpuE7ELNS1_3repE0EEENS1_30default_config_static_selectorELNS0_4arch9wavefront6targetE1EEEvT1_
; %bb.0:
	.section	.rodata,"a",@progbits
	.p2align	6, 0x0
	.amdhsa_kernel _ZN7rocprim17ROCPRIM_400000_NS6detail17trampoline_kernelINS0_14default_configENS1_20scan_config_selectorIiEEZZNS1_9scan_implILNS1_25lookback_scan_determinismE0ELb1ELb1ES3_N6thrust23THRUST_200600_302600_NS6detail15normal_iteratorINS9_10device_ptrIiEEEENS9_16discard_iteratorINS9_11use_defaultEEEi11max_functorIiEiEEDaPvRmT3_T4_T5_mT6_P12ihipStream_tbENKUlT_T0_E_clISt17integral_constantIbLb0EESX_EEDaSS_ST_EUlSS_E0_NS1_11comp_targetILNS1_3genE3ELNS1_11target_archE908ELNS1_3gpuE7ELNS1_3repE0EEENS1_30default_config_static_selectorELNS0_4arch9wavefront6targetE1EEEvT1_
		.amdhsa_group_segment_fixed_size 0
		.amdhsa_private_segment_fixed_size 0
		.amdhsa_kernarg_size 40
		.amdhsa_user_sgpr_count 6
		.amdhsa_user_sgpr_private_segment_buffer 1
		.amdhsa_user_sgpr_dispatch_ptr 0
		.amdhsa_user_sgpr_queue_ptr 0
		.amdhsa_user_sgpr_kernarg_segment_ptr 1
		.amdhsa_user_sgpr_dispatch_id 0
		.amdhsa_user_sgpr_flat_scratch_init 0
		.amdhsa_user_sgpr_kernarg_preload_length 0
		.amdhsa_user_sgpr_kernarg_preload_offset 0
		.amdhsa_user_sgpr_private_segment_size 0
		.amdhsa_uses_dynamic_stack 0
		.amdhsa_system_sgpr_private_segment_wavefront_offset 0
		.amdhsa_system_sgpr_workgroup_id_x 1
		.amdhsa_system_sgpr_workgroup_id_y 0
		.amdhsa_system_sgpr_workgroup_id_z 0
		.amdhsa_system_sgpr_workgroup_info 0
		.amdhsa_system_vgpr_workitem_id 0
		.amdhsa_next_free_vgpr 1
		.amdhsa_next_free_sgpr 0
		.amdhsa_accum_offset 4
		.amdhsa_reserve_vcc 0
		.amdhsa_reserve_flat_scratch 0
		.amdhsa_float_round_mode_32 0
		.amdhsa_float_round_mode_16_64 0
		.amdhsa_float_denorm_mode_32 3
		.amdhsa_float_denorm_mode_16_64 3
		.amdhsa_dx10_clamp 1
		.amdhsa_ieee_mode 1
		.amdhsa_fp16_overflow 0
		.amdhsa_tg_split 0
		.amdhsa_exception_fp_ieee_invalid_op 0
		.amdhsa_exception_fp_denorm_src 0
		.amdhsa_exception_fp_ieee_div_zero 0
		.amdhsa_exception_fp_ieee_overflow 0
		.amdhsa_exception_fp_ieee_underflow 0
		.amdhsa_exception_fp_ieee_inexact 0
		.amdhsa_exception_int_div_zero 0
	.end_amdhsa_kernel
	.section	.text._ZN7rocprim17ROCPRIM_400000_NS6detail17trampoline_kernelINS0_14default_configENS1_20scan_config_selectorIiEEZZNS1_9scan_implILNS1_25lookback_scan_determinismE0ELb1ELb1ES3_N6thrust23THRUST_200600_302600_NS6detail15normal_iteratorINS9_10device_ptrIiEEEENS9_16discard_iteratorINS9_11use_defaultEEEi11max_functorIiEiEEDaPvRmT3_T4_T5_mT6_P12ihipStream_tbENKUlT_T0_E_clISt17integral_constantIbLb0EESX_EEDaSS_ST_EUlSS_E0_NS1_11comp_targetILNS1_3genE3ELNS1_11target_archE908ELNS1_3gpuE7ELNS1_3repE0EEENS1_30default_config_static_selectorELNS0_4arch9wavefront6targetE1EEEvT1_,"axG",@progbits,_ZN7rocprim17ROCPRIM_400000_NS6detail17trampoline_kernelINS0_14default_configENS1_20scan_config_selectorIiEEZZNS1_9scan_implILNS1_25lookback_scan_determinismE0ELb1ELb1ES3_N6thrust23THRUST_200600_302600_NS6detail15normal_iteratorINS9_10device_ptrIiEEEENS9_16discard_iteratorINS9_11use_defaultEEEi11max_functorIiEiEEDaPvRmT3_T4_T5_mT6_P12ihipStream_tbENKUlT_T0_E_clISt17integral_constantIbLb0EESX_EEDaSS_ST_EUlSS_E0_NS1_11comp_targetILNS1_3genE3ELNS1_11target_archE908ELNS1_3gpuE7ELNS1_3repE0EEENS1_30default_config_static_selectorELNS0_4arch9wavefront6targetE1EEEvT1_,comdat
.Lfunc_end3938:
	.size	_ZN7rocprim17ROCPRIM_400000_NS6detail17trampoline_kernelINS0_14default_configENS1_20scan_config_selectorIiEEZZNS1_9scan_implILNS1_25lookback_scan_determinismE0ELb1ELb1ES3_N6thrust23THRUST_200600_302600_NS6detail15normal_iteratorINS9_10device_ptrIiEEEENS9_16discard_iteratorINS9_11use_defaultEEEi11max_functorIiEiEEDaPvRmT3_T4_T5_mT6_P12ihipStream_tbENKUlT_T0_E_clISt17integral_constantIbLb0EESX_EEDaSS_ST_EUlSS_E0_NS1_11comp_targetILNS1_3genE3ELNS1_11target_archE908ELNS1_3gpuE7ELNS1_3repE0EEENS1_30default_config_static_selectorELNS0_4arch9wavefront6targetE1EEEvT1_, .Lfunc_end3938-_ZN7rocprim17ROCPRIM_400000_NS6detail17trampoline_kernelINS0_14default_configENS1_20scan_config_selectorIiEEZZNS1_9scan_implILNS1_25lookback_scan_determinismE0ELb1ELb1ES3_N6thrust23THRUST_200600_302600_NS6detail15normal_iteratorINS9_10device_ptrIiEEEENS9_16discard_iteratorINS9_11use_defaultEEEi11max_functorIiEiEEDaPvRmT3_T4_T5_mT6_P12ihipStream_tbENKUlT_T0_E_clISt17integral_constantIbLb0EESX_EEDaSS_ST_EUlSS_E0_NS1_11comp_targetILNS1_3genE3ELNS1_11target_archE908ELNS1_3gpuE7ELNS1_3repE0EEENS1_30default_config_static_selectorELNS0_4arch9wavefront6targetE1EEEvT1_
                                        ; -- End function
	.section	.AMDGPU.csdata,"",@progbits
; Kernel info:
; codeLenInByte = 0
; NumSgprs: 4
; NumVgprs: 0
; NumAgprs: 0
; TotalNumVgprs: 0
; ScratchSize: 0
; MemoryBound: 0
; FloatMode: 240
; IeeeMode: 1
; LDSByteSize: 0 bytes/workgroup (compile time only)
; SGPRBlocks: 0
; VGPRBlocks: 0
; NumSGPRsForWavesPerEU: 4
; NumVGPRsForWavesPerEU: 1
; AccumOffset: 4
; Occupancy: 8
; WaveLimiterHint : 0
; COMPUTE_PGM_RSRC2:SCRATCH_EN: 0
; COMPUTE_PGM_RSRC2:USER_SGPR: 6
; COMPUTE_PGM_RSRC2:TRAP_HANDLER: 0
; COMPUTE_PGM_RSRC2:TGID_X_EN: 1
; COMPUTE_PGM_RSRC2:TGID_Y_EN: 0
; COMPUTE_PGM_RSRC2:TGID_Z_EN: 0
; COMPUTE_PGM_RSRC2:TIDIG_COMP_CNT: 0
; COMPUTE_PGM_RSRC3_GFX90A:ACCUM_OFFSET: 0
; COMPUTE_PGM_RSRC3_GFX90A:TG_SPLIT: 0
	.section	.text._ZN7rocprim17ROCPRIM_400000_NS6detail17trampoline_kernelINS0_14default_configENS1_20scan_config_selectorIiEEZZNS1_9scan_implILNS1_25lookback_scan_determinismE0ELb1ELb1ES3_N6thrust23THRUST_200600_302600_NS6detail15normal_iteratorINS9_10device_ptrIiEEEENS9_16discard_iteratorINS9_11use_defaultEEEi11max_functorIiEiEEDaPvRmT3_T4_T5_mT6_P12ihipStream_tbENKUlT_T0_E_clISt17integral_constantIbLb0EESX_EEDaSS_ST_EUlSS_E0_NS1_11comp_targetILNS1_3genE2ELNS1_11target_archE906ELNS1_3gpuE6ELNS1_3repE0EEENS1_30default_config_static_selectorELNS0_4arch9wavefront6targetE1EEEvT1_,"axG",@progbits,_ZN7rocprim17ROCPRIM_400000_NS6detail17trampoline_kernelINS0_14default_configENS1_20scan_config_selectorIiEEZZNS1_9scan_implILNS1_25lookback_scan_determinismE0ELb1ELb1ES3_N6thrust23THRUST_200600_302600_NS6detail15normal_iteratorINS9_10device_ptrIiEEEENS9_16discard_iteratorINS9_11use_defaultEEEi11max_functorIiEiEEDaPvRmT3_T4_T5_mT6_P12ihipStream_tbENKUlT_T0_E_clISt17integral_constantIbLb0EESX_EEDaSS_ST_EUlSS_E0_NS1_11comp_targetILNS1_3genE2ELNS1_11target_archE906ELNS1_3gpuE6ELNS1_3repE0EEENS1_30default_config_static_selectorELNS0_4arch9wavefront6targetE1EEEvT1_,comdat
	.protected	_ZN7rocprim17ROCPRIM_400000_NS6detail17trampoline_kernelINS0_14default_configENS1_20scan_config_selectorIiEEZZNS1_9scan_implILNS1_25lookback_scan_determinismE0ELb1ELb1ES3_N6thrust23THRUST_200600_302600_NS6detail15normal_iteratorINS9_10device_ptrIiEEEENS9_16discard_iteratorINS9_11use_defaultEEEi11max_functorIiEiEEDaPvRmT3_T4_T5_mT6_P12ihipStream_tbENKUlT_T0_E_clISt17integral_constantIbLb0EESX_EEDaSS_ST_EUlSS_E0_NS1_11comp_targetILNS1_3genE2ELNS1_11target_archE906ELNS1_3gpuE6ELNS1_3repE0EEENS1_30default_config_static_selectorELNS0_4arch9wavefront6targetE1EEEvT1_ ; -- Begin function _ZN7rocprim17ROCPRIM_400000_NS6detail17trampoline_kernelINS0_14default_configENS1_20scan_config_selectorIiEEZZNS1_9scan_implILNS1_25lookback_scan_determinismE0ELb1ELb1ES3_N6thrust23THRUST_200600_302600_NS6detail15normal_iteratorINS9_10device_ptrIiEEEENS9_16discard_iteratorINS9_11use_defaultEEEi11max_functorIiEiEEDaPvRmT3_T4_T5_mT6_P12ihipStream_tbENKUlT_T0_E_clISt17integral_constantIbLb0EESX_EEDaSS_ST_EUlSS_E0_NS1_11comp_targetILNS1_3genE2ELNS1_11target_archE906ELNS1_3gpuE6ELNS1_3repE0EEENS1_30default_config_static_selectorELNS0_4arch9wavefront6targetE1EEEvT1_
	.globl	_ZN7rocprim17ROCPRIM_400000_NS6detail17trampoline_kernelINS0_14default_configENS1_20scan_config_selectorIiEEZZNS1_9scan_implILNS1_25lookback_scan_determinismE0ELb1ELb1ES3_N6thrust23THRUST_200600_302600_NS6detail15normal_iteratorINS9_10device_ptrIiEEEENS9_16discard_iteratorINS9_11use_defaultEEEi11max_functorIiEiEEDaPvRmT3_T4_T5_mT6_P12ihipStream_tbENKUlT_T0_E_clISt17integral_constantIbLb0EESX_EEDaSS_ST_EUlSS_E0_NS1_11comp_targetILNS1_3genE2ELNS1_11target_archE906ELNS1_3gpuE6ELNS1_3repE0EEENS1_30default_config_static_selectorELNS0_4arch9wavefront6targetE1EEEvT1_
	.p2align	8
	.type	_ZN7rocprim17ROCPRIM_400000_NS6detail17trampoline_kernelINS0_14default_configENS1_20scan_config_selectorIiEEZZNS1_9scan_implILNS1_25lookback_scan_determinismE0ELb1ELb1ES3_N6thrust23THRUST_200600_302600_NS6detail15normal_iteratorINS9_10device_ptrIiEEEENS9_16discard_iteratorINS9_11use_defaultEEEi11max_functorIiEiEEDaPvRmT3_T4_T5_mT6_P12ihipStream_tbENKUlT_T0_E_clISt17integral_constantIbLb0EESX_EEDaSS_ST_EUlSS_E0_NS1_11comp_targetILNS1_3genE2ELNS1_11target_archE906ELNS1_3gpuE6ELNS1_3repE0EEENS1_30default_config_static_selectorELNS0_4arch9wavefront6targetE1EEEvT1_,@function
_ZN7rocprim17ROCPRIM_400000_NS6detail17trampoline_kernelINS0_14default_configENS1_20scan_config_selectorIiEEZZNS1_9scan_implILNS1_25lookback_scan_determinismE0ELb1ELb1ES3_N6thrust23THRUST_200600_302600_NS6detail15normal_iteratorINS9_10device_ptrIiEEEENS9_16discard_iteratorINS9_11use_defaultEEEi11max_functorIiEiEEDaPvRmT3_T4_T5_mT6_P12ihipStream_tbENKUlT_T0_E_clISt17integral_constantIbLb0EESX_EEDaSS_ST_EUlSS_E0_NS1_11comp_targetILNS1_3genE2ELNS1_11target_archE906ELNS1_3gpuE6ELNS1_3repE0EEENS1_30default_config_static_selectorELNS0_4arch9wavefront6targetE1EEEvT1_: ; @_ZN7rocprim17ROCPRIM_400000_NS6detail17trampoline_kernelINS0_14default_configENS1_20scan_config_selectorIiEEZZNS1_9scan_implILNS1_25lookback_scan_determinismE0ELb1ELb1ES3_N6thrust23THRUST_200600_302600_NS6detail15normal_iteratorINS9_10device_ptrIiEEEENS9_16discard_iteratorINS9_11use_defaultEEEi11max_functorIiEiEEDaPvRmT3_T4_T5_mT6_P12ihipStream_tbENKUlT_T0_E_clISt17integral_constantIbLb0EESX_EEDaSS_ST_EUlSS_E0_NS1_11comp_targetILNS1_3genE2ELNS1_11target_archE906ELNS1_3gpuE6ELNS1_3repE0EEENS1_30default_config_static_selectorELNS0_4arch9wavefront6targetE1EEEvT1_
; %bb.0:
	.section	.rodata,"a",@progbits
	.p2align	6, 0x0
	.amdhsa_kernel _ZN7rocprim17ROCPRIM_400000_NS6detail17trampoline_kernelINS0_14default_configENS1_20scan_config_selectorIiEEZZNS1_9scan_implILNS1_25lookback_scan_determinismE0ELb1ELb1ES3_N6thrust23THRUST_200600_302600_NS6detail15normal_iteratorINS9_10device_ptrIiEEEENS9_16discard_iteratorINS9_11use_defaultEEEi11max_functorIiEiEEDaPvRmT3_T4_T5_mT6_P12ihipStream_tbENKUlT_T0_E_clISt17integral_constantIbLb0EESX_EEDaSS_ST_EUlSS_E0_NS1_11comp_targetILNS1_3genE2ELNS1_11target_archE906ELNS1_3gpuE6ELNS1_3repE0EEENS1_30default_config_static_selectorELNS0_4arch9wavefront6targetE1EEEvT1_
		.amdhsa_group_segment_fixed_size 0
		.amdhsa_private_segment_fixed_size 0
		.amdhsa_kernarg_size 40
		.amdhsa_user_sgpr_count 6
		.amdhsa_user_sgpr_private_segment_buffer 1
		.amdhsa_user_sgpr_dispatch_ptr 0
		.amdhsa_user_sgpr_queue_ptr 0
		.amdhsa_user_sgpr_kernarg_segment_ptr 1
		.amdhsa_user_sgpr_dispatch_id 0
		.amdhsa_user_sgpr_flat_scratch_init 0
		.amdhsa_user_sgpr_kernarg_preload_length 0
		.amdhsa_user_sgpr_kernarg_preload_offset 0
		.amdhsa_user_sgpr_private_segment_size 0
		.amdhsa_uses_dynamic_stack 0
		.amdhsa_system_sgpr_private_segment_wavefront_offset 0
		.amdhsa_system_sgpr_workgroup_id_x 1
		.amdhsa_system_sgpr_workgroup_id_y 0
		.amdhsa_system_sgpr_workgroup_id_z 0
		.amdhsa_system_sgpr_workgroup_info 0
		.amdhsa_system_vgpr_workitem_id 0
		.amdhsa_next_free_vgpr 1
		.amdhsa_next_free_sgpr 0
		.amdhsa_accum_offset 4
		.amdhsa_reserve_vcc 0
		.amdhsa_reserve_flat_scratch 0
		.amdhsa_float_round_mode_32 0
		.amdhsa_float_round_mode_16_64 0
		.amdhsa_float_denorm_mode_32 3
		.amdhsa_float_denorm_mode_16_64 3
		.amdhsa_dx10_clamp 1
		.amdhsa_ieee_mode 1
		.amdhsa_fp16_overflow 0
		.amdhsa_tg_split 0
		.amdhsa_exception_fp_ieee_invalid_op 0
		.amdhsa_exception_fp_denorm_src 0
		.amdhsa_exception_fp_ieee_div_zero 0
		.amdhsa_exception_fp_ieee_overflow 0
		.amdhsa_exception_fp_ieee_underflow 0
		.amdhsa_exception_fp_ieee_inexact 0
		.amdhsa_exception_int_div_zero 0
	.end_amdhsa_kernel
	.section	.text._ZN7rocprim17ROCPRIM_400000_NS6detail17trampoline_kernelINS0_14default_configENS1_20scan_config_selectorIiEEZZNS1_9scan_implILNS1_25lookback_scan_determinismE0ELb1ELb1ES3_N6thrust23THRUST_200600_302600_NS6detail15normal_iteratorINS9_10device_ptrIiEEEENS9_16discard_iteratorINS9_11use_defaultEEEi11max_functorIiEiEEDaPvRmT3_T4_T5_mT6_P12ihipStream_tbENKUlT_T0_E_clISt17integral_constantIbLb0EESX_EEDaSS_ST_EUlSS_E0_NS1_11comp_targetILNS1_3genE2ELNS1_11target_archE906ELNS1_3gpuE6ELNS1_3repE0EEENS1_30default_config_static_selectorELNS0_4arch9wavefront6targetE1EEEvT1_,"axG",@progbits,_ZN7rocprim17ROCPRIM_400000_NS6detail17trampoline_kernelINS0_14default_configENS1_20scan_config_selectorIiEEZZNS1_9scan_implILNS1_25lookback_scan_determinismE0ELb1ELb1ES3_N6thrust23THRUST_200600_302600_NS6detail15normal_iteratorINS9_10device_ptrIiEEEENS9_16discard_iteratorINS9_11use_defaultEEEi11max_functorIiEiEEDaPvRmT3_T4_T5_mT6_P12ihipStream_tbENKUlT_T0_E_clISt17integral_constantIbLb0EESX_EEDaSS_ST_EUlSS_E0_NS1_11comp_targetILNS1_3genE2ELNS1_11target_archE906ELNS1_3gpuE6ELNS1_3repE0EEENS1_30default_config_static_selectorELNS0_4arch9wavefront6targetE1EEEvT1_,comdat
.Lfunc_end3939:
	.size	_ZN7rocprim17ROCPRIM_400000_NS6detail17trampoline_kernelINS0_14default_configENS1_20scan_config_selectorIiEEZZNS1_9scan_implILNS1_25lookback_scan_determinismE0ELb1ELb1ES3_N6thrust23THRUST_200600_302600_NS6detail15normal_iteratorINS9_10device_ptrIiEEEENS9_16discard_iteratorINS9_11use_defaultEEEi11max_functorIiEiEEDaPvRmT3_T4_T5_mT6_P12ihipStream_tbENKUlT_T0_E_clISt17integral_constantIbLb0EESX_EEDaSS_ST_EUlSS_E0_NS1_11comp_targetILNS1_3genE2ELNS1_11target_archE906ELNS1_3gpuE6ELNS1_3repE0EEENS1_30default_config_static_selectorELNS0_4arch9wavefront6targetE1EEEvT1_, .Lfunc_end3939-_ZN7rocprim17ROCPRIM_400000_NS6detail17trampoline_kernelINS0_14default_configENS1_20scan_config_selectorIiEEZZNS1_9scan_implILNS1_25lookback_scan_determinismE0ELb1ELb1ES3_N6thrust23THRUST_200600_302600_NS6detail15normal_iteratorINS9_10device_ptrIiEEEENS9_16discard_iteratorINS9_11use_defaultEEEi11max_functorIiEiEEDaPvRmT3_T4_T5_mT6_P12ihipStream_tbENKUlT_T0_E_clISt17integral_constantIbLb0EESX_EEDaSS_ST_EUlSS_E0_NS1_11comp_targetILNS1_3genE2ELNS1_11target_archE906ELNS1_3gpuE6ELNS1_3repE0EEENS1_30default_config_static_selectorELNS0_4arch9wavefront6targetE1EEEvT1_
                                        ; -- End function
	.section	.AMDGPU.csdata,"",@progbits
; Kernel info:
; codeLenInByte = 0
; NumSgprs: 4
; NumVgprs: 0
; NumAgprs: 0
; TotalNumVgprs: 0
; ScratchSize: 0
; MemoryBound: 0
; FloatMode: 240
; IeeeMode: 1
; LDSByteSize: 0 bytes/workgroup (compile time only)
; SGPRBlocks: 0
; VGPRBlocks: 0
; NumSGPRsForWavesPerEU: 4
; NumVGPRsForWavesPerEU: 1
; AccumOffset: 4
; Occupancy: 8
; WaveLimiterHint : 0
; COMPUTE_PGM_RSRC2:SCRATCH_EN: 0
; COMPUTE_PGM_RSRC2:USER_SGPR: 6
; COMPUTE_PGM_RSRC2:TRAP_HANDLER: 0
; COMPUTE_PGM_RSRC2:TGID_X_EN: 1
; COMPUTE_PGM_RSRC2:TGID_Y_EN: 0
; COMPUTE_PGM_RSRC2:TGID_Z_EN: 0
; COMPUTE_PGM_RSRC2:TIDIG_COMP_CNT: 0
; COMPUTE_PGM_RSRC3_GFX90A:ACCUM_OFFSET: 0
; COMPUTE_PGM_RSRC3_GFX90A:TG_SPLIT: 0
	.section	.text._ZN7rocprim17ROCPRIM_400000_NS6detail17trampoline_kernelINS0_14default_configENS1_20scan_config_selectorIiEEZZNS1_9scan_implILNS1_25lookback_scan_determinismE0ELb1ELb1ES3_N6thrust23THRUST_200600_302600_NS6detail15normal_iteratorINS9_10device_ptrIiEEEENS9_16discard_iteratorINS9_11use_defaultEEEi11max_functorIiEiEEDaPvRmT3_T4_T5_mT6_P12ihipStream_tbENKUlT_T0_E_clISt17integral_constantIbLb0EESX_EEDaSS_ST_EUlSS_E0_NS1_11comp_targetILNS1_3genE10ELNS1_11target_archE1201ELNS1_3gpuE5ELNS1_3repE0EEENS1_30default_config_static_selectorELNS0_4arch9wavefront6targetE1EEEvT1_,"axG",@progbits,_ZN7rocprim17ROCPRIM_400000_NS6detail17trampoline_kernelINS0_14default_configENS1_20scan_config_selectorIiEEZZNS1_9scan_implILNS1_25lookback_scan_determinismE0ELb1ELb1ES3_N6thrust23THRUST_200600_302600_NS6detail15normal_iteratorINS9_10device_ptrIiEEEENS9_16discard_iteratorINS9_11use_defaultEEEi11max_functorIiEiEEDaPvRmT3_T4_T5_mT6_P12ihipStream_tbENKUlT_T0_E_clISt17integral_constantIbLb0EESX_EEDaSS_ST_EUlSS_E0_NS1_11comp_targetILNS1_3genE10ELNS1_11target_archE1201ELNS1_3gpuE5ELNS1_3repE0EEENS1_30default_config_static_selectorELNS0_4arch9wavefront6targetE1EEEvT1_,comdat
	.protected	_ZN7rocprim17ROCPRIM_400000_NS6detail17trampoline_kernelINS0_14default_configENS1_20scan_config_selectorIiEEZZNS1_9scan_implILNS1_25lookback_scan_determinismE0ELb1ELb1ES3_N6thrust23THRUST_200600_302600_NS6detail15normal_iteratorINS9_10device_ptrIiEEEENS9_16discard_iteratorINS9_11use_defaultEEEi11max_functorIiEiEEDaPvRmT3_T4_T5_mT6_P12ihipStream_tbENKUlT_T0_E_clISt17integral_constantIbLb0EESX_EEDaSS_ST_EUlSS_E0_NS1_11comp_targetILNS1_3genE10ELNS1_11target_archE1201ELNS1_3gpuE5ELNS1_3repE0EEENS1_30default_config_static_selectorELNS0_4arch9wavefront6targetE1EEEvT1_ ; -- Begin function _ZN7rocprim17ROCPRIM_400000_NS6detail17trampoline_kernelINS0_14default_configENS1_20scan_config_selectorIiEEZZNS1_9scan_implILNS1_25lookback_scan_determinismE0ELb1ELb1ES3_N6thrust23THRUST_200600_302600_NS6detail15normal_iteratorINS9_10device_ptrIiEEEENS9_16discard_iteratorINS9_11use_defaultEEEi11max_functorIiEiEEDaPvRmT3_T4_T5_mT6_P12ihipStream_tbENKUlT_T0_E_clISt17integral_constantIbLb0EESX_EEDaSS_ST_EUlSS_E0_NS1_11comp_targetILNS1_3genE10ELNS1_11target_archE1201ELNS1_3gpuE5ELNS1_3repE0EEENS1_30default_config_static_selectorELNS0_4arch9wavefront6targetE1EEEvT1_
	.globl	_ZN7rocprim17ROCPRIM_400000_NS6detail17trampoline_kernelINS0_14default_configENS1_20scan_config_selectorIiEEZZNS1_9scan_implILNS1_25lookback_scan_determinismE0ELb1ELb1ES3_N6thrust23THRUST_200600_302600_NS6detail15normal_iteratorINS9_10device_ptrIiEEEENS9_16discard_iteratorINS9_11use_defaultEEEi11max_functorIiEiEEDaPvRmT3_T4_T5_mT6_P12ihipStream_tbENKUlT_T0_E_clISt17integral_constantIbLb0EESX_EEDaSS_ST_EUlSS_E0_NS1_11comp_targetILNS1_3genE10ELNS1_11target_archE1201ELNS1_3gpuE5ELNS1_3repE0EEENS1_30default_config_static_selectorELNS0_4arch9wavefront6targetE1EEEvT1_
	.p2align	8
	.type	_ZN7rocprim17ROCPRIM_400000_NS6detail17trampoline_kernelINS0_14default_configENS1_20scan_config_selectorIiEEZZNS1_9scan_implILNS1_25lookback_scan_determinismE0ELb1ELb1ES3_N6thrust23THRUST_200600_302600_NS6detail15normal_iteratorINS9_10device_ptrIiEEEENS9_16discard_iteratorINS9_11use_defaultEEEi11max_functorIiEiEEDaPvRmT3_T4_T5_mT6_P12ihipStream_tbENKUlT_T0_E_clISt17integral_constantIbLb0EESX_EEDaSS_ST_EUlSS_E0_NS1_11comp_targetILNS1_3genE10ELNS1_11target_archE1201ELNS1_3gpuE5ELNS1_3repE0EEENS1_30default_config_static_selectorELNS0_4arch9wavefront6targetE1EEEvT1_,@function
_ZN7rocprim17ROCPRIM_400000_NS6detail17trampoline_kernelINS0_14default_configENS1_20scan_config_selectorIiEEZZNS1_9scan_implILNS1_25lookback_scan_determinismE0ELb1ELb1ES3_N6thrust23THRUST_200600_302600_NS6detail15normal_iteratorINS9_10device_ptrIiEEEENS9_16discard_iteratorINS9_11use_defaultEEEi11max_functorIiEiEEDaPvRmT3_T4_T5_mT6_P12ihipStream_tbENKUlT_T0_E_clISt17integral_constantIbLb0EESX_EEDaSS_ST_EUlSS_E0_NS1_11comp_targetILNS1_3genE10ELNS1_11target_archE1201ELNS1_3gpuE5ELNS1_3repE0EEENS1_30default_config_static_selectorELNS0_4arch9wavefront6targetE1EEEvT1_: ; @_ZN7rocprim17ROCPRIM_400000_NS6detail17trampoline_kernelINS0_14default_configENS1_20scan_config_selectorIiEEZZNS1_9scan_implILNS1_25lookback_scan_determinismE0ELb1ELb1ES3_N6thrust23THRUST_200600_302600_NS6detail15normal_iteratorINS9_10device_ptrIiEEEENS9_16discard_iteratorINS9_11use_defaultEEEi11max_functorIiEiEEDaPvRmT3_T4_T5_mT6_P12ihipStream_tbENKUlT_T0_E_clISt17integral_constantIbLb0EESX_EEDaSS_ST_EUlSS_E0_NS1_11comp_targetILNS1_3genE10ELNS1_11target_archE1201ELNS1_3gpuE5ELNS1_3repE0EEENS1_30default_config_static_selectorELNS0_4arch9wavefront6targetE1EEEvT1_
; %bb.0:
	.section	.rodata,"a",@progbits
	.p2align	6, 0x0
	.amdhsa_kernel _ZN7rocprim17ROCPRIM_400000_NS6detail17trampoline_kernelINS0_14default_configENS1_20scan_config_selectorIiEEZZNS1_9scan_implILNS1_25lookback_scan_determinismE0ELb1ELb1ES3_N6thrust23THRUST_200600_302600_NS6detail15normal_iteratorINS9_10device_ptrIiEEEENS9_16discard_iteratorINS9_11use_defaultEEEi11max_functorIiEiEEDaPvRmT3_T4_T5_mT6_P12ihipStream_tbENKUlT_T0_E_clISt17integral_constantIbLb0EESX_EEDaSS_ST_EUlSS_E0_NS1_11comp_targetILNS1_3genE10ELNS1_11target_archE1201ELNS1_3gpuE5ELNS1_3repE0EEENS1_30default_config_static_selectorELNS0_4arch9wavefront6targetE1EEEvT1_
		.amdhsa_group_segment_fixed_size 0
		.amdhsa_private_segment_fixed_size 0
		.amdhsa_kernarg_size 40
		.amdhsa_user_sgpr_count 6
		.amdhsa_user_sgpr_private_segment_buffer 1
		.amdhsa_user_sgpr_dispatch_ptr 0
		.amdhsa_user_sgpr_queue_ptr 0
		.amdhsa_user_sgpr_kernarg_segment_ptr 1
		.amdhsa_user_sgpr_dispatch_id 0
		.amdhsa_user_sgpr_flat_scratch_init 0
		.amdhsa_user_sgpr_kernarg_preload_length 0
		.amdhsa_user_sgpr_kernarg_preload_offset 0
		.amdhsa_user_sgpr_private_segment_size 0
		.amdhsa_uses_dynamic_stack 0
		.amdhsa_system_sgpr_private_segment_wavefront_offset 0
		.amdhsa_system_sgpr_workgroup_id_x 1
		.amdhsa_system_sgpr_workgroup_id_y 0
		.amdhsa_system_sgpr_workgroup_id_z 0
		.amdhsa_system_sgpr_workgroup_info 0
		.amdhsa_system_vgpr_workitem_id 0
		.amdhsa_next_free_vgpr 1
		.amdhsa_next_free_sgpr 0
		.amdhsa_accum_offset 4
		.amdhsa_reserve_vcc 0
		.amdhsa_reserve_flat_scratch 0
		.amdhsa_float_round_mode_32 0
		.amdhsa_float_round_mode_16_64 0
		.amdhsa_float_denorm_mode_32 3
		.amdhsa_float_denorm_mode_16_64 3
		.amdhsa_dx10_clamp 1
		.amdhsa_ieee_mode 1
		.amdhsa_fp16_overflow 0
		.amdhsa_tg_split 0
		.amdhsa_exception_fp_ieee_invalid_op 0
		.amdhsa_exception_fp_denorm_src 0
		.amdhsa_exception_fp_ieee_div_zero 0
		.amdhsa_exception_fp_ieee_overflow 0
		.amdhsa_exception_fp_ieee_underflow 0
		.amdhsa_exception_fp_ieee_inexact 0
		.amdhsa_exception_int_div_zero 0
	.end_amdhsa_kernel
	.section	.text._ZN7rocprim17ROCPRIM_400000_NS6detail17trampoline_kernelINS0_14default_configENS1_20scan_config_selectorIiEEZZNS1_9scan_implILNS1_25lookback_scan_determinismE0ELb1ELb1ES3_N6thrust23THRUST_200600_302600_NS6detail15normal_iteratorINS9_10device_ptrIiEEEENS9_16discard_iteratorINS9_11use_defaultEEEi11max_functorIiEiEEDaPvRmT3_T4_T5_mT6_P12ihipStream_tbENKUlT_T0_E_clISt17integral_constantIbLb0EESX_EEDaSS_ST_EUlSS_E0_NS1_11comp_targetILNS1_3genE10ELNS1_11target_archE1201ELNS1_3gpuE5ELNS1_3repE0EEENS1_30default_config_static_selectorELNS0_4arch9wavefront6targetE1EEEvT1_,"axG",@progbits,_ZN7rocprim17ROCPRIM_400000_NS6detail17trampoline_kernelINS0_14default_configENS1_20scan_config_selectorIiEEZZNS1_9scan_implILNS1_25lookback_scan_determinismE0ELb1ELb1ES3_N6thrust23THRUST_200600_302600_NS6detail15normal_iteratorINS9_10device_ptrIiEEEENS9_16discard_iteratorINS9_11use_defaultEEEi11max_functorIiEiEEDaPvRmT3_T4_T5_mT6_P12ihipStream_tbENKUlT_T0_E_clISt17integral_constantIbLb0EESX_EEDaSS_ST_EUlSS_E0_NS1_11comp_targetILNS1_3genE10ELNS1_11target_archE1201ELNS1_3gpuE5ELNS1_3repE0EEENS1_30default_config_static_selectorELNS0_4arch9wavefront6targetE1EEEvT1_,comdat
.Lfunc_end3940:
	.size	_ZN7rocprim17ROCPRIM_400000_NS6detail17trampoline_kernelINS0_14default_configENS1_20scan_config_selectorIiEEZZNS1_9scan_implILNS1_25lookback_scan_determinismE0ELb1ELb1ES3_N6thrust23THRUST_200600_302600_NS6detail15normal_iteratorINS9_10device_ptrIiEEEENS9_16discard_iteratorINS9_11use_defaultEEEi11max_functorIiEiEEDaPvRmT3_T4_T5_mT6_P12ihipStream_tbENKUlT_T0_E_clISt17integral_constantIbLb0EESX_EEDaSS_ST_EUlSS_E0_NS1_11comp_targetILNS1_3genE10ELNS1_11target_archE1201ELNS1_3gpuE5ELNS1_3repE0EEENS1_30default_config_static_selectorELNS0_4arch9wavefront6targetE1EEEvT1_, .Lfunc_end3940-_ZN7rocprim17ROCPRIM_400000_NS6detail17trampoline_kernelINS0_14default_configENS1_20scan_config_selectorIiEEZZNS1_9scan_implILNS1_25lookback_scan_determinismE0ELb1ELb1ES3_N6thrust23THRUST_200600_302600_NS6detail15normal_iteratorINS9_10device_ptrIiEEEENS9_16discard_iteratorINS9_11use_defaultEEEi11max_functorIiEiEEDaPvRmT3_T4_T5_mT6_P12ihipStream_tbENKUlT_T0_E_clISt17integral_constantIbLb0EESX_EEDaSS_ST_EUlSS_E0_NS1_11comp_targetILNS1_3genE10ELNS1_11target_archE1201ELNS1_3gpuE5ELNS1_3repE0EEENS1_30default_config_static_selectorELNS0_4arch9wavefront6targetE1EEEvT1_
                                        ; -- End function
	.section	.AMDGPU.csdata,"",@progbits
; Kernel info:
; codeLenInByte = 0
; NumSgprs: 4
; NumVgprs: 0
; NumAgprs: 0
; TotalNumVgprs: 0
; ScratchSize: 0
; MemoryBound: 0
; FloatMode: 240
; IeeeMode: 1
; LDSByteSize: 0 bytes/workgroup (compile time only)
; SGPRBlocks: 0
; VGPRBlocks: 0
; NumSGPRsForWavesPerEU: 4
; NumVGPRsForWavesPerEU: 1
; AccumOffset: 4
; Occupancy: 8
; WaveLimiterHint : 0
; COMPUTE_PGM_RSRC2:SCRATCH_EN: 0
; COMPUTE_PGM_RSRC2:USER_SGPR: 6
; COMPUTE_PGM_RSRC2:TRAP_HANDLER: 0
; COMPUTE_PGM_RSRC2:TGID_X_EN: 1
; COMPUTE_PGM_RSRC2:TGID_Y_EN: 0
; COMPUTE_PGM_RSRC2:TGID_Z_EN: 0
; COMPUTE_PGM_RSRC2:TIDIG_COMP_CNT: 0
; COMPUTE_PGM_RSRC3_GFX90A:ACCUM_OFFSET: 0
; COMPUTE_PGM_RSRC3_GFX90A:TG_SPLIT: 0
	.section	.text._ZN7rocprim17ROCPRIM_400000_NS6detail17trampoline_kernelINS0_14default_configENS1_20scan_config_selectorIiEEZZNS1_9scan_implILNS1_25lookback_scan_determinismE0ELb1ELb1ES3_N6thrust23THRUST_200600_302600_NS6detail15normal_iteratorINS9_10device_ptrIiEEEENS9_16discard_iteratorINS9_11use_defaultEEEi11max_functorIiEiEEDaPvRmT3_T4_T5_mT6_P12ihipStream_tbENKUlT_T0_E_clISt17integral_constantIbLb0EESX_EEDaSS_ST_EUlSS_E0_NS1_11comp_targetILNS1_3genE10ELNS1_11target_archE1200ELNS1_3gpuE4ELNS1_3repE0EEENS1_30default_config_static_selectorELNS0_4arch9wavefront6targetE1EEEvT1_,"axG",@progbits,_ZN7rocprim17ROCPRIM_400000_NS6detail17trampoline_kernelINS0_14default_configENS1_20scan_config_selectorIiEEZZNS1_9scan_implILNS1_25lookback_scan_determinismE0ELb1ELb1ES3_N6thrust23THRUST_200600_302600_NS6detail15normal_iteratorINS9_10device_ptrIiEEEENS9_16discard_iteratorINS9_11use_defaultEEEi11max_functorIiEiEEDaPvRmT3_T4_T5_mT6_P12ihipStream_tbENKUlT_T0_E_clISt17integral_constantIbLb0EESX_EEDaSS_ST_EUlSS_E0_NS1_11comp_targetILNS1_3genE10ELNS1_11target_archE1200ELNS1_3gpuE4ELNS1_3repE0EEENS1_30default_config_static_selectorELNS0_4arch9wavefront6targetE1EEEvT1_,comdat
	.protected	_ZN7rocprim17ROCPRIM_400000_NS6detail17trampoline_kernelINS0_14default_configENS1_20scan_config_selectorIiEEZZNS1_9scan_implILNS1_25lookback_scan_determinismE0ELb1ELb1ES3_N6thrust23THRUST_200600_302600_NS6detail15normal_iteratorINS9_10device_ptrIiEEEENS9_16discard_iteratorINS9_11use_defaultEEEi11max_functorIiEiEEDaPvRmT3_T4_T5_mT6_P12ihipStream_tbENKUlT_T0_E_clISt17integral_constantIbLb0EESX_EEDaSS_ST_EUlSS_E0_NS1_11comp_targetILNS1_3genE10ELNS1_11target_archE1200ELNS1_3gpuE4ELNS1_3repE0EEENS1_30default_config_static_selectorELNS0_4arch9wavefront6targetE1EEEvT1_ ; -- Begin function _ZN7rocprim17ROCPRIM_400000_NS6detail17trampoline_kernelINS0_14default_configENS1_20scan_config_selectorIiEEZZNS1_9scan_implILNS1_25lookback_scan_determinismE0ELb1ELb1ES3_N6thrust23THRUST_200600_302600_NS6detail15normal_iteratorINS9_10device_ptrIiEEEENS9_16discard_iteratorINS9_11use_defaultEEEi11max_functorIiEiEEDaPvRmT3_T4_T5_mT6_P12ihipStream_tbENKUlT_T0_E_clISt17integral_constantIbLb0EESX_EEDaSS_ST_EUlSS_E0_NS1_11comp_targetILNS1_3genE10ELNS1_11target_archE1200ELNS1_3gpuE4ELNS1_3repE0EEENS1_30default_config_static_selectorELNS0_4arch9wavefront6targetE1EEEvT1_
	.globl	_ZN7rocprim17ROCPRIM_400000_NS6detail17trampoline_kernelINS0_14default_configENS1_20scan_config_selectorIiEEZZNS1_9scan_implILNS1_25lookback_scan_determinismE0ELb1ELb1ES3_N6thrust23THRUST_200600_302600_NS6detail15normal_iteratorINS9_10device_ptrIiEEEENS9_16discard_iteratorINS9_11use_defaultEEEi11max_functorIiEiEEDaPvRmT3_T4_T5_mT6_P12ihipStream_tbENKUlT_T0_E_clISt17integral_constantIbLb0EESX_EEDaSS_ST_EUlSS_E0_NS1_11comp_targetILNS1_3genE10ELNS1_11target_archE1200ELNS1_3gpuE4ELNS1_3repE0EEENS1_30default_config_static_selectorELNS0_4arch9wavefront6targetE1EEEvT1_
	.p2align	8
	.type	_ZN7rocprim17ROCPRIM_400000_NS6detail17trampoline_kernelINS0_14default_configENS1_20scan_config_selectorIiEEZZNS1_9scan_implILNS1_25lookback_scan_determinismE0ELb1ELb1ES3_N6thrust23THRUST_200600_302600_NS6detail15normal_iteratorINS9_10device_ptrIiEEEENS9_16discard_iteratorINS9_11use_defaultEEEi11max_functorIiEiEEDaPvRmT3_T4_T5_mT6_P12ihipStream_tbENKUlT_T0_E_clISt17integral_constantIbLb0EESX_EEDaSS_ST_EUlSS_E0_NS1_11comp_targetILNS1_3genE10ELNS1_11target_archE1200ELNS1_3gpuE4ELNS1_3repE0EEENS1_30default_config_static_selectorELNS0_4arch9wavefront6targetE1EEEvT1_,@function
_ZN7rocprim17ROCPRIM_400000_NS6detail17trampoline_kernelINS0_14default_configENS1_20scan_config_selectorIiEEZZNS1_9scan_implILNS1_25lookback_scan_determinismE0ELb1ELb1ES3_N6thrust23THRUST_200600_302600_NS6detail15normal_iteratorINS9_10device_ptrIiEEEENS9_16discard_iteratorINS9_11use_defaultEEEi11max_functorIiEiEEDaPvRmT3_T4_T5_mT6_P12ihipStream_tbENKUlT_T0_E_clISt17integral_constantIbLb0EESX_EEDaSS_ST_EUlSS_E0_NS1_11comp_targetILNS1_3genE10ELNS1_11target_archE1200ELNS1_3gpuE4ELNS1_3repE0EEENS1_30default_config_static_selectorELNS0_4arch9wavefront6targetE1EEEvT1_: ; @_ZN7rocprim17ROCPRIM_400000_NS6detail17trampoline_kernelINS0_14default_configENS1_20scan_config_selectorIiEEZZNS1_9scan_implILNS1_25lookback_scan_determinismE0ELb1ELb1ES3_N6thrust23THRUST_200600_302600_NS6detail15normal_iteratorINS9_10device_ptrIiEEEENS9_16discard_iteratorINS9_11use_defaultEEEi11max_functorIiEiEEDaPvRmT3_T4_T5_mT6_P12ihipStream_tbENKUlT_T0_E_clISt17integral_constantIbLb0EESX_EEDaSS_ST_EUlSS_E0_NS1_11comp_targetILNS1_3genE10ELNS1_11target_archE1200ELNS1_3gpuE4ELNS1_3repE0EEENS1_30default_config_static_selectorELNS0_4arch9wavefront6targetE1EEEvT1_
; %bb.0:
	.section	.rodata,"a",@progbits
	.p2align	6, 0x0
	.amdhsa_kernel _ZN7rocprim17ROCPRIM_400000_NS6detail17trampoline_kernelINS0_14default_configENS1_20scan_config_selectorIiEEZZNS1_9scan_implILNS1_25lookback_scan_determinismE0ELb1ELb1ES3_N6thrust23THRUST_200600_302600_NS6detail15normal_iteratorINS9_10device_ptrIiEEEENS9_16discard_iteratorINS9_11use_defaultEEEi11max_functorIiEiEEDaPvRmT3_T4_T5_mT6_P12ihipStream_tbENKUlT_T0_E_clISt17integral_constantIbLb0EESX_EEDaSS_ST_EUlSS_E0_NS1_11comp_targetILNS1_3genE10ELNS1_11target_archE1200ELNS1_3gpuE4ELNS1_3repE0EEENS1_30default_config_static_selectorELNS0_4arch9wavefront6targetE1EEEvT1_
		.amdhsa_group_segment_fixed_size 0
		.amdhsa_private_segment_fixed_size 0
		.amdhsa_kernarg_size 40
		.amdhsa_user_sgpr_count 6
		.amdhsa_user_sgpr_private_segment_buffer 1
		.amdhsa_user_sgpr_dispatch_ptr 0
		.amdhsa_user_sgpr_queue_ptr 0
		.amdhsa_user_sgpr_kernarg_segment_ptr 1
		.amdhsa_user_sgpr_dispatch_id 0
		.amdhsa_user_sgpr_flat_scratch_init 0
		.amdhsa_user_sgpr_kernarg_preload_length 0
		.amdhsa_user_sgpr_kernarg_preload_offset 0
		.amdhsa_user_sgpr_private_segment_size 0
		.amdhsa_uses_dynamic_stack 0
		.amdhsa_system_sgpr_private_segment_wavefront_offset 0
		.amdhsa_system_sgpr_workgroup_id_x 1
		.amdhsa_system_sgpr_workgroup_id_y 0
		.amdhsa_system_sgpr_workgroup_id_z 0
		.amdhsa_system_sgpr_workgroup_info 0
		.amdhsa_system_vgpr_workitem_id 0
		.amdhsa_next_free_vgpr 1
		.amdhsa_next_free_sgpr 0
		.amdhsa_accum_offset 4
		.amdhsa_reserve_vcc 0
		.amdhsa_reserve_flat_scratch 0
		.amdhsa_float_round_mode_32 0
		.amdhsa_float_round_mode_16_64 0
		.amdhsa_float_denorm_mode_32 3
		.amdhsa_float_denorm_mode_16_64 3
		.amdhsa_dx10_clamp 1
		.amdhsa_ieee_mode 1
		.amdhsa_fp16_overflow 0
		.amdhsa_tg_split 0
		.amdhsa_exception_fp_ieee_invalid_op 0
		.amdhsa_exception_fp_denorm_src 0
		.amdhsa_exception_fp_ieee_div_zero 0
		.amdhsa_exception_fp_ieee_overflow 0
		.amdhsa_exception_fp_ieee_underflow 0
		.amdhsa_exception_fp_ieee_inexact 0
		.amdhsa_exception_int_div_zero 0
	.end_amdhsa_kernel
	.section	.text._ZN7rocprim17ROCPRIM_400000_NS6detail17trampoline_kernelINS0_14default_configENS1_20scan_config_selectorIiEEZZNS1_9scan_implILNS1_25lookback_scan_determinismE0ELb1ELb1ES3_N6thrust23THRUST_200600_302600_NS6detail15normal_iteratorINS9_10device_ptrIiEEEENS9_16discard_iteratorINS9_11use_defaultEEEi11max_functorIiEiEEDaPvRmT3_T4_T5_mT6_P12ihipStream_tbENKUlT_T0_E_clISt17integral_constantIbLb0EESX_EEDaSS_ST_EUlSS_E0_NS1_11comp_targetILNS1_3genE10ELNS1_11target_archE1200ELNS1_3gpuE4ELNS1_3repE0EEENS1_30default_config_static_selectorELNS0_4arch9wavefront6targetE1EEEvT1_,"axG",@progbits,_ZN7rocprim17ROCPRIM_400000_NS6detail17trampoline_kernelINS0_14default_configENS1_20scan_config_selectorIiEEZZNS1_9scan_implILNS1_25lookback_scan_determinismE0ELb1ELb1ES3_N6thrust23THRUST_200600_302600_NS6detail15normal_iteratorINS9_10device_ptrIiEEEENS9_16discard_iteratorINS9_11use_defaultEEEi11max_functorIiEiEEDaPvRmT3_T4_T5_mT6_P12ihipStream_tbENKUlT_T0_E_clISt17integral_constantIbLb0EESX_EEDaSS_ST_EUlSS_E0_NS1_11comp_targetILNS1_3genE10ELNS1_11target_archE1200ELNS1_3gpuE4ELNS1_3repE0EEENS1_30default_config_static_selectorELNS0_4arch9wavefront6targetE1EEEvT1_,comdat
.Lfunc_end3941:
	.size	_ZN7rocprim17ROCPRIM_400000_NS6detail17trampoline_kernelINS0_14default_configENS1_20scan_config_selectorIiEEZZNS1_9scan_implILNS1_25lookback_scan_determinismE0ELb1ELb1ES3_N6thrust23THRUST_200600_302600_NS6detail15normal_iteratorINS9_10device_ptrIiEEEENS9_16discard_iteratorINS9_11use_defaultEEEi11max_functorIiEiEEDaPvRmT3_T4_T5_mT6_P12ihipStream_tbENKUlT_T0_E_clISt17integral_constantIbLb0EESX_EEDaSS_ST_EUlSS_E0_NS1_11comp_targetILNS1_3genE10ELNS1_11target_archE1200ELNS1_3gpuE4ELNS1_3repE0EEENS1_30default_config_static_selectorELNS0_4arch9wavefront6targetE1EEEvT1_, .Lfunc_end3941-_ZN7rocprim17ROCPRIM_400000_NS6detail17trampoline_kernelINS0_14default_configENS1_20scan_config_selectorIiEEZZNS1_9scan_implILNS1_25lookback_scan_determinismE0ELb1ELb1ES3_N6thrust23THRUST_200600_302600_NS6detail15normal_iteratorINS9_10device_ptrIiEEEENS9_16discard_iteratorINS9_11use_defaultEEEi11max_functorIiEiEEDaPvRmT3_T4_T5_mT6_P12ihipStream_tbENKUlT_T0_E_clISt17integral_constantIbLb0EESX_EEDaSS_ST_EUlSS_E0_NS1_11comp_targetILNS1_3genE10ELNS1_11target_archE1200ELNS1_3gpuE4ELNS1_3repE0EEENS1_30default_config_static_selectorELNS0_4arch9wavefront6targetE1EEEvT1_
                                        ; -- End function
	.section	.AMDGPU.csdata,"",@progbits
; Kernel info:
; codeLenInByte = 0
; NumSgprs: 4
; NumVgprs: 0
; NumAgprs: 0
; TotalNumVgprs: 0
; ScratchSize: 0
; MemoryBound: 0
; FloatMode: 240
; IeeeMode: 1
; LDSByteSize: 0 bytes/workgroup (compile time only)
; SGPRBlocks: 0
; VGPRBlocks: 0
; NumSGPRsForWavesPerEU: 4
; NumVGPRsForWavesPerEU: 1
; AccumOffset: 4
; Occupancy: 8
; WaveLimiterHint : 0
; COMPUTE_PGM_RSRC2:SCRATCH_EN: 0
; COMPUTE_PGM_RSRC2:USER_SGPR: 6
; COMPUTE_PGM_RSRC2:TRAP_HANDLER: 0
; COMPUTE_PGM_RSRC2:TGID_X_EN: 1
; COMPUTE_PGM_RSRC2:TGID_Y_EN: 0
; COMPUTE_PGM_RSRC2:TGID_Z_EN: 0
; COMPUTE_PGM_RSRC2:TIDIG_COMP_CNT: 0
; COMPUTE_PGM_RSRC3_GFX90A:ACCUM_OFFSET: 0
; COMPUTE_PGM_RSRC3_GFX90A:TG_SPLIT: 0
	.section	.text._ZN7rocprim17ROCPRIM_400000_NS6detail17trampoline_kernelINS0_14default_configENS1_20scan_config_selectorIiEEZZNS1_9scan_implILNS1_25lookback_scan_determinismE0ELb1ELb1ES3_N6thrust23THRUST_200600_302600_NS6detail15normal_iteratorINS9_10device_ptrIiEEEENS9_16discard_iteratorINS9_11use_defaultEEEi11max_functorIiEiEEDaPvRmT3_T4_T5_mT6_P12ihipStream_tbENKUlT_T0_E_clISt17integral_constantIbLb0EESX_EEDaSS_ST_EUlSS_E0_NS1_11comp_targetILNS1_3genE9ELNS1_11target_archE1100ELNS1_3gpuE3ELNS1_3repE0EEENS1_30default_config_static_selectorELNS0_4arch9wavefront6targetE1EEEvT1_,"axG",@progbits,_ZN7rocprim17ROCPRIM_400000_NS6detail17trampoline_kernelINS0_14default_configENS1_20scan_config_selectorIiEEZZNS1_9scan_implILNS1_25lookback_scan_determinismE0ELb1ELb1ES3_N6thrust23THRUST_200600_302600_NS6detail15normal_iteratorINS9_10device_ptrIiEEEENS9_16discard_iteratorINS9_11use_defaultEEEi11max_functorIiEiEEDaPvRmT3_T4_T5_mT6_P12ihipStream_tbENKUlT_T0_E_clISt17integral_constantIbLb0EESX_EEDaSS_ST_EUlSS_E0_NS1_11comp_targetILNS1_3genE9ELNS1_11target_archE1100ELNS1_3gpuE3ELNS1_3repE0EEENS1_30default_config_static_selectorELNS0_4arch9wavefront6targetE1EEEvT1_,comdat
	.protected	_ZN7rocprim17ROCPRIM_400000_NS6detail17trampoline_kernelINS0_14default_configENS1_20scan_config_selectorIiEEZZNS1_9scan_implILNS1_25lookback_scan_determinismE0ELb1ELb1ES3_N6thrust23THRUST_200600_302600_NS6detail15normal_iteratorINS9_10device_ptrIiEEEENS9_16discard_iteratorINS9_11use_defaultEEEi11max_functorIiEiEEDaPvRmT3_T4_T5_mT6_P12ihipStream_tbENKUlT_T0_E_clISt17integral_constantIbLb0EESX_EEDaSS_ST_EUlSS_E0_NS1_11comp_targetILNS1_3genE9ELNS1_11target_archE1100ELNS1_3gpuE3ELNS1_3repE0EEENS1_30default_config_static_selectorELNS0_4arch9wavefront6targetE1EEEvT1_ ; -- Begin function _ZN7rocprim17ROCPRIM_400000_NS6detail17trampoline_kernelINS0_14default_configENS1_20scan_config_selectorIiEEZZNS1_9scan_implILNS1_25lookback_scan_determinismE0ELb1ELb1ES3_N6thrust23THRUST_200600_302600_NS6detail15normal_iteratorINS9_10device_ptrIiEEEENS9_16discard_iteratorINS9_11use_defaultEEEi11max_functorIiEiEEDaPvRmT3_T4_T5_mT6_P12ihipStream_tbENKUlT_T0_E_clISt17integral_constantIbLb0EESX_EEDaSS_ST_EUlSS_E0_NS1_11comp_targetILNS1_3genE9ELNS1_11target_archE1100ELNS1_3gpuE3ELNS1_3repE0EEENS1_30default_config_static_selectorELNS0_4arch9wavefront6targetE1EEEvT1_
	.globl	_ZN7rocprim17ROCPRIM_400000_NS6detail17trampoline_kernelINS0_14default_configENS1_20scan_config_selectorIiEEZZNS1_9scan_implILNS1_25lookback_scan_determinismE0ELb1ELb1ES3_N6thrust23THRUST_200600_302600_NS6detail15normal_iteratorINS9_10device_ptrIiEEEENS9_16discard_iteratorINS9_11use_defaultEEEi11max_functorIiEiEEDaPvRmT3_T4_T5_mT6_P12ihipStream_tbENKUlT_T0_E_clISt17integral_constantIbLb0EESX_EEDaSS_ST_EUlSS_E0_NS1_11comp_targetILNS1_3genE9ELNS1_11target_archE1100ELNS1_3gpuE3ELNS1_3repE0EEENS1_30default_config_static_selectorELNS0_4arch9wavefront6targetE1EEEvT1_
	.p2align	8
	.type	_ZN7rocprim17ROCPRIM_400000_NS6detail17trampoline_kernelINS0_14default_configENS1_20scan_config_selectorIiEEZZNS1_9scan_implILNS1_25lookback_scan_determinismE0ELb1ELb1ES3_N6thrust23THRUST_200600_302600_NS6detail15normal_iteratorINS9_10device_ptrIiEEEENS9_16discard_iteratorINS9_11use_defaultEEEi11max_functorIiEiEEDaPvRmT3_T4_T5_mT6_P12ihipStream_tbENKUlT_T0_E_clISt17integral_constantIbLb0EESX_EEDaSS_ST_EUlSS_E0_NS1_11comp_targetILNS1_3genE9ELNS1_11target_archE1100ELNS1_3gpuE3ELNS1_3repE0EEENS1_30default_config_static_selectorELNS0_4arch9wavefront6targetE1EEEvT1_,@function
_ZN7rocprim17ROCPRIM_400000_NS6detail17trampoline_kernelINS0_14default_configENS1_20scan_config_selectorIiEEZZNS1_9scan_implILNS1_25lookback_scan_determinismE0ELb1ELb1ES3_N6thrust23THRUST_200600_302600_NS6detail15normal_iteratorINS9_10device_ptrIiEEEENS9_16discard_iteratorINS9_11use_defaultEEEi11max_functorIiEiEEDaPvRmT3_T4_T5_mT6_P12ihipStream_tbENKUlT_T0_E_clISt17integral_constantIbLb0EESX_EEDaSS_ST_EUlSS_E0_NS1_11comp_targetILNS1_3genE9ELNS1_11target_archE1100ELNS1_3gpuE3ELNS1_3repE0EEENS1_30default_config_static_selectorELNS0_4arch9wavefront6targetE1EEEvT1_: ; @_ZN7rocprim17ROCPRIM_400000_NS6detail17trampoline_kernelINS0_14default_configENS1_20scan_config_selectorIiEEZZNS1_9scan_implILNS1_25lookback_scan_determinismE0ELb1ELb1ES3_N6thrust23THRUST_200600_302600_NS6detail15normal_iteratorINS9_10device_ptrIiEEEENS9_16discard_iteratorINS9_11use_defaultEEEi11max_functorIiEiEEDaPvRmT3_T4_T5_mT6_P12ihipStream_tbENKUlT_T0_E_clISt17integral_constantIbLb0EESX_EEDaSS_ST_EUlSS_E0_NS1_11comp_targetILNS1_3genE9ELNS1_11target_archE1100ELNS1_3gpuE3ELNS1_3repE0EEENS1_30default_config_static_selectorELNS0_4arch9wavefront6targetE1EEEvT1_
; %bb.0:
	.section	.rodata,"a",@progbits
	.p2align	6, 0x0
	.amdhsa_kernel _ZN7rocprim17ROCPRIM_400000_NS6detail17trampoline_kernelINS0_14default_configENS1_20scan_config_selectorIiEEZZNS1_9scan_implILNS1_25lookback_scan_determinismE0ELb1ELb1ES3_N6thrust23THRUST_200600_302600_NS6detail15normal_iteratorINS9_10device_ptrIiEEEENS9_16discard_iteratorINS9_11use_defaultEEEi11max_functorIiEiEEDaPvRmT3_T4_T5_mT6_P12ihipStream_tbENKUlT_T0_E_clISt17integral_constantIbLb0EESX_EEDaSS_ST_EUlSS_E0_NS1_11comp_targetILNS1_3genE9ELNS1_11target_archE1100ELNS1_3gpuE3ELNS1_3repE0EEENS1_30default_config_static_selectorELNS0_4arch9wavefront6targetE1EEEvT1_
		.amdhsa_group_segment_fixed_size 0
		.amdhsa_private_segment_fixed_size 0
		.amdhsa_kernarg_size 40
		.amdhsa_user_sgpr_count 6
		.amdhsa_user_sgpr_private_segment_buffer 1
		.amdhsa_user_sgpr_dispatch_ptr 0
		.amdhsa_user_sgpr_queue_ptr 0
		.amdhsa_user_sgpr_kernarg_segment_ptr 1
		.amdhsa_user_sgpr_dispatch_id 0
		.amdhsa_user_sgpr_flat_scratch_init 0
		.amdhsa_user_sgpr_kernarg_preload_length 0
		.amdhsa_user_sgpr_kernarg_preload_offset 0
		.amdhsa_user_sgpr_private_segment_size 0
		.amdhsa_uses_dynamic_stack 0
		.amdhsa_system_sgpr_private_segment_wavefront_offset 0
		.amdhsa_system_sgpr_workgroup_id_x 1
		.amdhsa_system_sgpr_workgroup_id_y 0
		.amdhsa_system_sgpr_workgroup_id_z 0
		.amdhsa_system_sgpr_workgroup_info 0
		.amdhsa_system_vgpr_workitem_id 0
		.amdhsa_next_free_vgpr 1
		.amdhsa_next_free_sgpr 0
		.amdhsa_accum_offset 4
		.amdhsa_reserve_vcc 0
		.amdhsa_reserve_flat_scratch 0
		.amdhsa_float_round_mode_32 0
		.amdhsa_float_round_mode_16_64 0
		.amdhsa_float_denorm_mode_32 3
		.amdhsa_float_denorm_mode_16_64 3
		.amdhsa_dx10_clamp 1
		.amdhsa_ieee_mode 1
		.amdhsa_fp16_overflow 0
		.amdhsa_tg_split 0
		.amdhsa_exception_fp_ieee_invalid_op 0
		.amdhsa_exception_fp_denorm_src 0
		.amdhsa_exception_fp_ieee_div_zero 0
		.amdhsa_exception_fp_ieee_overflow 0
		.amdhsa_exception_fp_ieee_underflow 0
		.amdhsa_exception_fp_ieee_inexact 0
		.amdhsa_exception_int_div_zero 0
	.end_amdhsa_kernel
	.section	.text._ZN7rocprim17ROCPRIM_400000_NS6detail17trampoline_kernelINS0_14default_configENS1_20scan_config_selectorIiEEZZNS1_9scan_implILNS1_25lookback_scan_determinismE0ELb1ELb1ES3_N6thrust23THRUST_200600_302600_NS6detail15normal_iteratorINS9_10device_ptrIiEEEENS9_16discard_iteratorINS9_11use_defaultEEEi11max_functorIiEiEEDaPvRmT3_T4_T5_mT6_P12ihipStream_tbENKUlT_T0_E_clISt17integral_constantIbLb0EESX_EEDaSS_ST_EUlSS_E0_NS1_11comp_targetILNS1_3genE9ELNS1_11target_archE1100ELNS1_3gpuE3ELNS1_3repE0EEENS1_30default_config_static_selectorELNS0_4arch9wavefront6targetE1EEEvT1_,"axG",@progbits,_ZN7rocprim17ROCPRIM_400000_NS6detail17trampoline_kernelINS0_14default_configENS1_20scan_config_selectorIiEEZZNS1_9scan_implILNS1_25lookback_scan_determinismE0ELb1ELb1ES3_N6thrust23THRUST_200600_302600_NS6detail15normal_iteratorINS9_10device_ptrIiEEEENS9_16discard_iteratorINS9_11use_defaultEEEi11max_functorIiEiEEDaPvRmT3_T4_T5_mT6_P12ihipStream_tbENKUlT_T0_E_clISt17integral_constantIbLb0EESX_EEDaSS_ST_EUlSS_E0_NS1_11comp_targetILNS1_3genE9ELNS1_11target_archE1100ELNS1_3gpuE3ELNS1_3repE0EEENS1_30default_config_static_selectorELNS0_4arch9wavefront6targetE1EEEvT1_,comdat
.Lfunc_end3942:
	.size	_ZN7rocprim17ROCPRIM_400000_NS6detail17trampoline_kernelINS0_14default_configENS1_20scan_config_selectorIiEEZZNS1_9scan_implILNS1_25lookback_scan_determinismE0ELb1ELb1ES3_N6thrust23THRUST_200600_302600_NS6detail15normal_iteratorINS9_10device_ptrIiEEEENS9_16discard_iteratorINS9_11use_defaultEEEi11max_functorIiEiEEDaPvRmT3_T4_T5_mT6_P12ihipStream_tbENKUlT_T0_E_clISt17integral_constantIbLb0EESX_EEDaSS_ST_EUlSS_E0_NS1_11comp_targetILNS1_3genE9ELNS1_11target_archE1100ELNS1_3gpuE3ELNS1_3repE0EEENS1_30default_config_static_selectorELNS0_4arch9wavefront6targetE1EEEvT1_, .Lfunc_end3942-_ZN7rocprim17ROCPRIM_400000_NS6detail17trampoline_kernelINS0_14default_configENS1_20scan_config_selectorIiEEZZNS1_9scan_implILNS1_25lookback_scan_determinismE0ELb1ELb1ES3_N6thrust23THRUST_200600_302600_NS6detail15normal_iteratorINS9_10device_ptrIiEEEENS9_16discard_iteratorINS9_11use_defaultEEEi11max_functorIiEiEEDaPvRmT3_T4_T5_mT6_P12ihipStream_tbENKUlT_T0_E_clISt17integral_constantIbLb0EESX_EEDaSS_ST_EUlSS_E0_NS1_11comp_targetILNS1_3genE9ELNS1_11target_archE1100ELNS1_3gpuE3ELNS1_3repE0EEENS1_30default_config_static_selectorELNS0_4arch9wavefront6targetE1EEEvT1_
                                        ; -- End function
	.section	.AMDGPU.csdata,"",@progbits
; Kernel info:
; codeLenInByte = 0
; NumSgprs: 4
; NumVgprs: 0
; NumAgprs: 0
; TotalNumVgprs: 0
; ScratchSize: 0
; MemoryBound: 0
; FloatMode: 240
; IeeeMode: 1
; LDSByteSize: 0 bytes/workgroup (compile time only)
; SGPRBlocks: 0
; VGPRBlocks: 0
; NumSGPRsForWavesPerEU: 4
; NumVGPRsForWavesPerEU: 1
; AccumOffset: 4
; Occupancy: 8
; WaveLimiterHint : 0
; COMPUTE_PGM_RSRC2:SCRATCH_EN: 0
; COMPUTE_PGM_RSRC2:USER_SGPR: 6
; COMPUTE_PGM_RSRC2:TRAP_HANDLER: 0
; COMPUTE_PGM_RSRC2:TGID_X_EN: 1
; COMPUTE_PGM_RSRC2:TGID_Y_EN: 0
; COMPUTE_PGM_RSRC2:TGID_Z_EN: 0
; COMPUTE_PGM_RSRC2:TIDIG_COMP_CNT: 0
; COMPUTE_PGM_RSRC3_GFX90A:ACCUM_OFFSET: 0
; COMPUTE_PGM_RSRC3_GFX90A:TG_SPLIT: 0
	.section	.text._ZN7rocprim17ROCPRIM_400000_NS6detail17trampoline_kernelINS0_14default_configENS1_20scan_config_selectorIiEEZZNS1_9scan_implILNS1_25lookback_scan_determinismE0ELb1ELb1ES3_N6thrust23THRUST_200600_302600_NS6detail15normal_iteratorINS9_10device_ptrIiEEEENS9_16discard_iteratorINS9_11use_defaultEEEi11max_functorIiEiEEDaPvRmT3_T4_T5_mT6_P12ihipStream_tbENKUlT_T0_E_clISt17integral_constantIbLb0EESX_EEDaSS_ST_EUlSS_E0_NS1_11comp_targetILNS1_3genE8ELNS1_11target_archE1030ELNS1_3gpuE2ELNS1_3repE0EEENS1_30default_config_static_selectorELNS0_4arch9wavefront6targetE1EEEvT1_,"axG",@progbits,_ZN7rocprim17ROCPRIM_400000_NS6detail17trampoline_kernelINS0_14default_configENS1_20scan_config_selectorIiEEZZNS1_9scan_implILNS1_25lookback_scan_determinismE0ELb1ELb1ES3_N6thrust23THRUST_200600_302600_NS6detail15normal_iteratorINS9_10device_ptrIiEEEENS9_16discard_iteratorINS9_11use_defaultEEEi11max_functorIiEiEEDaPvRmT3_T4_T5_mT6_P12ihipStream_tbENKUlT_T0_E_clISt17integral_constantIbLb0EESX_EEDaSS_ST_EUlSS_E0_NS1_11comp_targetILNS1_3genE8ELNS1_11target_archE1030ELNS1_3gpuE2ELNS1_3repE0EEENS1_30default_config_static_selectorELNS0_4arch9wavefront6targetE1EEEvT1_,comdat
	.protected	_ZN7rocprim17ROCPRIM_400000_NS6detail17trampoline_kernelINS0_14default_configENS1_20scan_config_selectorIiEEZZNS1_9scan_implILNS1_25lookback_scan_determinismE0ELb1ELb1ES3_N6thrust23THRUST_200600_302600_NS6detail15normal_iteratorINS9_10device_ptrIiEEEENS9_16discard_iteratorINS9_11use_defaultEEEi11max_functorIiEiEEDaPvRmT3_T4_T5_mT6_P12ihipStream_tbENKUlT_T0_E_clISt17integral_constantIbLb0EESX_EEDaSS_ST_EUlSS_E0_NS1_11comp_targetILNS1_3genE8ELNS1_11target_archE1030ELNS1_3gpuE2ELNS1_3repE0EEENS1_30default_config_static_selectorELNS0_4arch9wavefront6targetE1EEEvT1_ ; -- Begin function _ZN7rocprim17ROCPRIM_400000_NS6detail17trampoline_kernelINS0_14default_configENS1_20scan_config_selectorIiEEZZNS1_9scan_implILNS1_25lookback_scan_determinismE0ELb1ELb1ES3_N6thrust23THRUST_200600_302600_NS6detail15normal_iteratorINS9_10device_ptrIiEEEENS9_16discard_iteratorINS9_11use_defaultEEEi11max_functorIiEiEEDaPvRmT3_T4_T5_mT6_P12ihipStream_tbENKUlT_T0_E_clISt17integral_constantIbLb0EESX_EEDaSS_ST_EUlSS_E0_NS1_11comp_targetILNS1_3genE8ELNS1_11target_archE1030ELNS1_3gpuE2ELNS1_3repE0EEENS1_30default_config_static_selectorELNS0_4arch9wavefront6targetE1EEEvT1_
	.globl	_ZN7rocprim17ROCPRIM_400000_NS6detail17trampoline_kernelINS0_14default_configENS1_20scan_config_selectorIiEEZZNS1_9scan_implILNS1_25lookback_scan_determinismE0ELb1ELb1ES3_N6thrust23THRUST_200600_302600_NS6detail15normal_iteratorINS9_10device_ptrIiEEEENS9_16discard_iteratorINS9_11use_defaultEEEi11max_functorIiEiEEDaPvRmT3_T4_T5_mT6_P12ihipStream_tbENKUlT_T0_E_clISt17integral_constantIbLb0EESX_EEDaSS_ST_EUlSS_E0_NS1_11comp_targetILNS1_3genE8ELNS1_11target_archE1030ELNS1_3gpuE2ELNS1_3repE0EEENS1_30default_config_static_selectorELNS0_4arch9wavefront6targetE1EEEvT1_
	.p2align	8
	.type	_ZN7rocprim17ROCPRIM_400000_NS6detail17trampoline_kernelINS0_14default_configENS1_20scan_config_selectorIiEEZZNS1_9scan_implILNS1_25lookback_scan_determinismE0ELb1ELb1ES3_N6thrust23THRUST_200600_302600_NS6detail15normal_iteratorINS9_10device_ptrIiEEEENS9_16discard_iteratorINS9_11use_defaultEEEi11max_functorIiEiEEDaPvRmT3_T4_T5_mT6_P12ihipStream_tbENKUlT_T0_E_clISt17integral_constantIbLb0EESX_EEDaSS_ST_EUlSS_E0_NS1_11comp_targetILNS1_3genE8ELNS1_11target_archE1030ELNS1_3gpuE2ELNS1_3repE0EEENS1_30default_config_static_selectorELNS0_4arch9wavefront6targetE1EEEvT1_,@function
_ZN7rocprim17ROCPRIM_400000_NS6detail17trampoline_kernelINS0_14default_configENS1_20scan_config_selectorIiEEZZNS1_9scan_implILNS1_25lookback_scan_determinismE0ELb1ELb1ES3_N6thrust23THRUST_200600_302600_NS6detail15normal_iteratorINS9_10device_ptrIiEEEENS9_16discard_iteratorINS9_11use_defaultEEEi11max_functorIiEiEEDaPvRmT3_T4_T5_mT6_P12ihipStream_tbENKUlT_T0_E_clISt17integral_constantIbLb0EESX_EEDaSS_ST_EUlSS_E0_NS1_11comp_targetILNS1_3genE8ELNS1_11target_archE1030ELNS1_3gpuE2ELNS1_3repE0EEENS1_30default_config_static_selectorELNS0_4arch9wavefront6targetE1EEEvT1_: ; @_ZN7rocprim17ROCPRIM_400000_NS6detail17trampoline_kernelINS0_14default_configENS1_20scan_config_selectorIiEEZZNS1_9scan_implILNS1_25lookback_scan_determinismE0ELb1ELb1ES3_N6thrust23THRUST_200600_302600_NS6detail15normal_iteratorINS9_10device_ptrIiEEEENS9_16discard_iteratorINS9_11use_defaultEEEi11max_functorIiEiEEDaPvRmT3_T4_T5_mT6_P12ihipStream_tbENKUlT_T0_E_clISt17integral_constantIbLb0EESX_EEDaSS_ST_EUlSS_E0_NS1_11comp_targetILNS1_3genE8ELNS1_11target_archE1030ELNS1_3gpuE2ELNS1_3repE0EEENS1_30default_config_static_selectorELNS0_4arch9wavefront6targetE1EEEvT1_
; %bb.0:
	.section	.rodata,"a",@progbits
	.p2align	6, 0x0
	.amdhsa_kernel _ZN7rocprim17ROCPRIM_400000_NS6detail17trampoline_kernelINS0_14default_configENS1_20scan_config_selectorIiEEZZNS1_9scan_implILNS1_25lookback_scan_determinismE0ELb1ELb1ES3_N6thrust23THRUST_200600_302600_NS6detail15normal_iteratorINS9_10device_ptrIiEEEENS9_16discard_iteratorINS9_11use_defaultEEEi11max_functorIiEiEEDaPvRmT3_T4_T5_mT6_P12ihipStream_tbENKUlT_T0_E_clISt17integral_constantIbLb0EESX_EEDaSS_ST_EUlSS_E0_NS1_11comp_targetILNS1_3genE8ELNS1_11target_archE1030ELNS1_3gpuE2ELNS1_3repE0EEENS1_30default_config_static_selectorELNS0_4arch9wavefront6targetE1EEEvT1_
		.amdhsa_group_segment_fixed_size 0
		.amdhsa_private_segment_fixed_size 0
		.amdhsa_kernarg_size 40
		.amdhsa_user_sgpr_count 6
		.amdhsa_user_sgpr_private_segment_buffer 1
		.amdhsa_user_sgpr_dispatch_ptr 0
		.amdhsa_user_sgpr_queue_ptr 0
		.amdhsa_user_sgpr_kernarg_segment_ptr 1
		.amdhsa_user_sgpr_dispatch_id 0
		.amdhsa_user_sgpr_flat_scratch_init 0
		.amdhsa_user_sgpr_kernarg_preload_length 0
		.amdhsa_user_sgpr_kernarg_preload_offset 0
		.amdhsa_user_sgpr_private_segment_size 0
		.amdhsa_uses_dynamic_stack 0
		.amdhsa_system_sgpr_private_segment_wavefront_offset 0
		.amdhsa_system_sgpr_workgroup_id_x 1
		.amdhsa_system_sgpr_workgroup_id_y 0
		.amdhsa_system_sgpr_workgroup_id_z 0
		.amdhsa_system_sgpr_workgroup_info 0
		.amdhsa_system_vgpr_workitem_id 0
		.amdhsa_next_free_vgpr 1
		.amdhsa_next_free_sgpr 0
		.amdhsa_accum_offset 4
		.amdhsa_reserve_vcc 0
		.amdhsa_reserve_flat_scratch 0
		.amdhsa_float_round_mode_32 0
		.amdhsa_float_round_mode_16_64 0
		.amdhsa_float_denorm_mode_32 3
		.amdhsa_float_denorm_mode_16_64 3
		.amdhsa_dx10_clamp 1
		.amdhsa_ieee_mode 1
		.amdhsa_fp16_overflow 0
		.amdhsa_tg_split 0
		.amdhsa_exception_fp_ieee_invalid_op 0
		.amdhsa_exception_fp_denorm_src 0
		.amdhsa_exception_fp_ieee_div_zero 0
		.amdhsa_exception_fp_ieee_overflow 0
		.amdhsa_exception_fp_ieee_underflow 0
		.amdhsa_exception_fp_ieee_inexact 0
		.amdhsa_exception_int_div_zero 0
	.end_amdhsa_kernel
	.section	.text._ZN7rocprim17ROCPRIM_400000_NS6detail17trampoline_kernelINS0_14default_configENS1_20scan_config_selectorIiEEZZNS1_9scan_implILNS1_25lookback_scan_determinismE0ELb1ELb1ES3_N6thrust23THRUST_200600_302600_NS6detail15normal_iteratorINS9_10device_ptrIiEEEENS9_16discard_iteratorINS9_11use_defaultEEEi11max_functorIiEiEEDaPvRmT3_T4_T5_mT6_P12ihipStream_tbENKUlT_T0_E_clISt17integral_constantIbLb0EESX_EEDaSS_ST_EUlSS_E0_NS1_11comp_targetILNS1_3genE8ELNS1_11target_archE1030ELNS1_3gpuE2ELNS1_3repE0EEENS1_30default_config_static_selectorELNS0_4arch9wavefront6targetE1EEEvT1_,"axG",@progbits,_ZN7rocprim17ROCPRIM_400000_NS6detail17trampoline_kernelINS0_14default_configENS1_20scan_config_selectorIiEEZZNS1_9scan_implILNS1_25lookback_scan_determinismE0ELb1ELb1ES3_N6thrust23THRUST_200600_302600_NS6detail15normal_iteratorINS9_10device_ptrIiEEEENS9_16discard_iteratorINS9_11use_defaultEEEi11max_functorIiEiEEDaPvRmT3_T4_T5_mT6_P12ihipStream_tbENKUlT_T0_E_clISt17integral_constantIbLb0EESX_EEDaSS_ST_EUlSS_E0_NS1_11comp_targetILNS1_3genE8ELNS1_11target_archE1030ELNS1_3gpuE2ELNS1_3repE0EEENS1_30default_config_static_selectorELNS0_4arch9wavefront6targetE1EEEvT1_,comdat
.Lfunc_end3943:
	.size	_ZN7rocprim17ROCPRIM_400000_NS6detail17trampoline_kernelINS0_14default_configENS1_20scan_config_selectorIiEEZZNS1_9scan_implILNS1_25lookback_scan_determinismE0ELb1ELb1ES3_N6thrust23THRUST_200600_302600_NS6detail15normal_iteratorINS9_10device_ptrIiEEEENS9_16discard_iteratorINS9_11use_defaultEEEi11max_functorIiEiEEDaPvRmT3_T4_T5_mT6_P12ihipStream_tbENKUlT_T0_E_clISt17integral_constantIbLb0EESX_EEDaSS_ST_EUlSS_E0_NS1_11comp_targetILNS1_3genE8ELNS1_11target_archE1030ELNS1_3gpuE2ELNS1_3repE0EEENS1_30default_config_static_selectorELNS0_4arch9wavefront6targetE1EEEvT1_, .Lfunc_end3943-_ZN7rocprim17ROCPRIM_400000_NS6detail17trampoline_kernelINS0_14default_configENS1_20scan_config_selectorIiEEZZNS1_9scan_implILNS1_25lookback_scan_determinismE0ELb1ELb1ES3_N6thrust23THRUST_200600_302600_NS6detail15normal_iteratorINS9_10device_ptrIiEEEENS9_16discard_iteratorINS9_11use_defaultEEEi11max_functorIiEiEEDaPvRmT3_T4_T5_mT6_P12ihipStream_tbENKUlT_T0_E_clISt17integral_constantIbLb0EESX_EEDaSS_ST_EUlSS_E0_NS1_11comp_targetILNS1_3genE8ELNS1_11target_archE1030ELNS1_3gpuE2ELNS1_3repE0EEENS1_30default_config_static_selectorELNS0_4arch9wavefront6targetE1EEEvT1_
                                        ; -- End function
	.section	.AMDGPU.csdata,"",@progbits
; Kernel info:
; codeLenInByte = 0
; NumSgprs: 4
; NumVgprs: 0
; NumAgprs: 0
; TotalNumVgprs: 0
; ScratchSize: 0
; MemoryBound: 0
; FloatMode: 240
; IeeeMode: 1
; LDSByteSize: 0 bytes/workgroup (compile time only)
; SGPRBlocks: 0
; VGPRBlocks: 0
; NumSGPRsForWavesPerEU: 4
; NumVGPRsForWavesPerEU: 1
; AccumOffset: 4
; Occupancy: 8
; WaveLimiterHint : 0
; COMPUTE_PGM_RSRC2:SCRATCH_EN: 0
; COMPUTE_PGM_RSRC2:USER_SGPR: 6
; COMPUTE_PGM_RSRC2:TRAP_HANDLER: 0
; COMPUTE_PGM_RSRC2:TGID_X_EN: 1
; COMPUTE_PGM_RSRC2:TGID_Y_EN: 0
; COMPUTE_PGM_RSRC2:TGID_Z_EN: 0
; COMPUTE_PGM_RSRC2:TIDIG_COMP_CNT: 0
; COMPUTE_PGM_RSRC3_GFX90A:ACCUM_OFFSET: 0
; COMPUTE_PGM_RSRC3_GFX90A:TG_SPLIT: 0
	.section	.text._ZN7rocprim17ROCPRIM_400000_NS6detail17trampoline_kernelINS0_14default_configENS1_20scan_config_selectorIiEEZZNS1_9scan_implILNS1_25lookback_scan_determinismE0ELb1ELb1ES3_N6thrust23THRUST_200600_302600_NS6detail15normal_iteratorINS9_10device_ptrIiEEEENS9_16discard_iteratorINS9_11use_defaultEEEi11max_functorIiEiEEDaPvRmT3_T4_T5_mT6_P12ihipStream_tbENKUlT_T0_E_clISt17integral_constantIbLb1EESX_EEDaSS_ST_EUlSS_E_NS1_11comp_targetILNS1_3genE0ELNS1_11target_archE4294967295ELNS1_3gpuE0ELNS1_3repE0EEENS1_30default_config_static_selectorELNS0_4arch9wavefront6targetE1EEEvT1_,"axG",@progbits,_ZN7rocprim17ROCPRIM_400000_NS6detail17trampoline_kernelINS0_14default_configENS1_20scan_config_selectorIiEEZZNS1_9scan_implILNS1_25lookback_scan_determinismE0ELb1ELb1ES3_N6thrust23THRUST_200600_302600_NS6detail15normal_iteratorINS9_10device_ptrIiEEEENS9_16discard_iteratorINS9_11use_defaultEEEi11max_functorIiEiEEDaPvRmT3_T4_T5_mT6_P12ihipStream_tbENKUlT_T0_E_clISt17integral_constantIbLb1EESX_EEDaSS_ST_EUlSS_E_NS1_11comp_targetILNS1_3genE0ELNS1_11target_archE4294967295ELNS1_3gpuE0ELNS1_3repE0EEENS1_30default_config_static_selectorELNS0_4arch9wavefront6targetE1EEEvT1_,comdat
	.protected	_ZN7rocprim17ROCPRIM_400000_NS6detail17trampoline_kernelINS0_14default_configENS1_20scan_config_selectorIiEEZZNS1_9scan_implILNS1_25lookback_scan_determinismE0ELb1ELb1ES3_N6thrust23THRUST_200600_302600_NS6detail15normal_iteratorINS9_10device_ptrIiEEEENS9_16discard_iteratorINS9_11use_defaultEEEi11max_functorIiEiEEDaPvRmT3_T4_T5_mT6_P12ihipStream_tbENKUlT_T0_E_clISt17integral_constantIbLb1EESX_EEDaSS_ST_EUlSS_E_NS1_11comp_targetILNS1_3genE0ELNS1_11target_archE4294967295ELNS1_3gpuE0ELNS1_3repE0EEENS1_30default_config_static_selectorELNS0_4arch9wavefront6targetE1EEEvT1_ ; -- Begin function _ZN7rocprim17ROCPRIM_400000_NS6detail17trampoline_kernelINS0_14default_configENS1_20scan_config_selectorIiEEZZNS1_9scan_implILNS1_25lookback_scan_determinismE0ELb1ELb1ES3_N6thrust23THRUST_200600_302600_NS6detail15normal_iteratorINS9_10device_ptrIiEEEENS9_16discard_iteratorINS9_11use_defaultEEEi11max_functorIiEiEEDaPvRmT3_T4_T5_mT6_P12ihipStream_tbENKUlT_T0_E_clISt17integral_constantIbLb1EESX_EEDaSS_ST_EUlSS_E_NS1_11comp_targetILNS1_3genE0ELNS1_11target_archE4294967295ELNS1_3gpuE0ELNS1_3repE0EEENS1_30default_config_static_selectorELNS0_4arch9wavefront6targetE1EEEvT1_
	.globl	_ZN7rocprim17ROCPRIM_400000_NS6detail17trampoline_kernelINS0_14default_configENS1_20scan_config_selectorIiEEZZNS1_9scan_implILNS1_25lookback_scan_determinismE0ELb1ELb1ES3_N6thrust23THRUST_200600_302600_NS6detail15normal_iteratorINS9_10device_ptrIiEEEENS9_16discard_iteratorINS9_11use_defaultEEEi11max_functorIiEiEEDaPvRmT3_T4_T5_mT6_P12ihipStream_tbENKUlT_T0_E_clISt17integral_constantIbLb1EESX_EEDaSS_ST_EUlSS_E_NS1_11comp_targetILNS1_3genE0ELNS1_11target_archE4294967295ELNS1_3gpuE0ELNS1_3repE0EEENS1_30default_config_static_selectorELNS0_4arch9wavefront6targetE1EEEvT1_
	.p2align	8
	.type	_ZN7rocprim17ROCPRIM_400000_NS6detail17trampoline_kernelINS0_14default_configENS1_20scan_config_selectorIiEEZZNS1_9scan_implILNS1_25lookback_scan_determinismE0ELb1ELb1ES3_N6thrust23THRUST_200600_302600_NS6detail15normal_iteratorINS9_10device_ptrIiEEEENS9_16discard_iteratorINS9_11use_defaultEEEi11max_functorIiEiEEDaPvRmT3_T4_T5_mT6_P12ihipStream_tbENKUlT_T0_E_clISt17integral_constantIbLb1EESX_EEDaSS_ST_EUlSS_E_NS1_11comp_targetILNS1_3genE0ELNS1_11target_archE4294967295ELNS1_3gpuE0ELNS1_3repE0EEENS1_30default_config_static_selectorELNS0_4arch9wavefront6targetE1EEEvT1_,@function
_ZN7rocprim17ROCPRIM_400000_NS6detail17trampoline_kernelINS0_14default_configENS1_20scan_config_selectorIiEEZZNS1_9scan_implILNS1_25lookback_scan_determinismE0ELb1ELb1ES3_N6thrust23THRUST_200600_302600_NS6detail15normal_iteratorINS9_10device_ptrIiEEEENS9_16discard_iteratorINS9_11use_defaultEEEi11max_functorIiEiEEDaPvRmT3_T4_T5_mT6_P12ihipStream_tbENKUlT_T0_E_clISt17integral_constantIbLb1EESX_EEDaSS_ST_EUlSS_E_NS1_11comp_targetILNS1_3genE0ELNS1_11target_archE4294967295ELNS1_3gpuE0ELNS1_3repE0EEENS1_30default_config_static_selectorELNS0_4arch9wavefront6targetE1EEEvT1_: ; @_ZN7rocprim17ROCPRIM_400000_NS6detail17trampoline_kernelINS0_14default_configENS1_20scan_config_selectorIiEEZZNS1_9scan_implILNS1_25lookback_scan_determinismE0ELb1ELb1ES3_N6thrust23THRUST_200600_302600_NS6detail15normal_iteratorINS9_10device_ptrIiEEEENS9_16discard_iteratorINS9_11use_defaultEEEi11max_functorIiEiEEDaPvRmT3_T4_T5_mT6_P12ihipStream_tbENKUlT_T0_E_clISt17integral_constantIbLb1EESX_EEDaSS_ST_EUlSS_E_NS1_11comp_targetILNS1_3genE0ELNS1_11target_archE4294967295ELNS1_3gpuE0ELNS1_3repE0EEENS1_30default_config_static_selectorELNS0_4arch9wavefront6targetE1EEEvT1_
; %bb.0:
	.section	.rodata,"a",@progbits
	.p2align	6, 0x0
	.amdhsa_kernel _ZN7rocprim17ROCPRIM_400000_NS6detail17trampoline_kernelINS0_14default_configENS1_20scan_config_selectorIiEEZZNS1_9scan_implILNS1_25lookback_scan_determinismE0ELb1ELb1ES3_N6thrust23THRUST_200600_302600_NS6detail15normal_iteratorINS9_10device_ptrIiEEEENS9_16discard_iteratorINS9_11use_defaultEEEi11max_functorIiEiEEDaPvRmT3_T4_T5_mT6_P12ihipStream_tbENKUlT_T0_E_clISt17integral_constantIbLb1EESX_EEDaSS_ST_EUlSS_E_NS1_11comp_targetILNS1_3genE0ELNS1_11target_archE4294967295ELNS1_3gpuE0ELNS1_3repE0EEENS1_30default_config_static_selectorELNS0_4arch9wavefront6targetE1EEEvT1_
		.amdhsa_group_segment_fixed_size 0
		.amdhsa_private_segment_fixed_size 0
		.amdhsa_kernarg_size 104
		.amdhsa_user_sgpr_count 6
		.amdhsa_user_sgpr_private_segment_buffer 1
		.amdhsa_user_sgpr_dispatch_ptr 0
		.amdhsa_user_sgpr_queue_ptr 0
		.amdhsa_user_sgpr_kernarg_segment_ptr 1
		.amdhsa_user_sgpr_dispatch_id 0
		.amdhsa_user_sgpr_flat_scratch_init 0
		.amdhsa_user_sgpr_kernarg_preload_length 0
		.amdhsa_user_sgpr_kernarg_preload_offset 0
		.amdhsa_user_sgpr_private_segment_size 0
		.amdhsa_uses_dynamic_stack 0
		.amdhsa_system_sgpr_private_segment_wavefront_offset 0
		.amdhsa_system_sgpr_workgroup_id_x 1
		.amdhsa_system_sgpr_workgroup_id_y 0
		.amdhsa_system_sgpr_workgroup_id_z 0
		.amdhsa_system_sgpr_workgroup_info 0
		.amdhsa_system_vgpr_workitem_id 0
		.amdhsa_next_free_vgpr 1
		.amdhsa_next_free_sgpr 0
		.amdhsa_accum_offset 4
		.amdhsa_reserve_vcc 0
		.amdhsa_reserve_flat_scratch 0
		.amdhsa_float_round_mode_32 0
		.amdhsa_float_round_mode_16_64 0
		.amdhsa_float_denorm_mode_32 3
		.amdhsa_float_denorm_mode_16_64 3
		.amdhsa_dx10_clamp 1
		.amdhsa_ieee_mode 1
		.amdhsa_fp16_overflow 0
		.amdhsa_tg_split 0
		.amdhsa_exception_fp_ieee_invalid_op 0
		.amdhsa_exception_fp_denorm_src 0
		.amdhsa_exception_fp_ieee_div_zero 0
		.amdhsa_exception_fp_ieee_overflow 0
		.amdhsa_exception_fp_ieee_underflow 0
		.amdhsa_exception_fp_ieee_inexact 0
		.amdhsa_exception_int_div_zero 0
	.end_amdhsa_kernel
	.section	.text._ZN7rocprim17ROCPRIM_400000_NS6detail17trampoline_kernelINS0_14default_configENS1_20scan_config_selectorIiEEZZNS1_9scan_implILNS1_25lookback_scan_determinismE0ELb1ELb1ES3_N6thrust23THRUST_200600_302600_NS6detail15normal_iteratorINS9_10device_ptrIiEEEENS9_16discard_iteratorINS9_11use_defaultEEEi11max_functorIiEiEEDaPvRmT3_T4_T5_mT6_P12ihipStream_tbENKUlT_T0_E_clISt17integral_constantIbLb1EESX_EEDaSS_ST_EUlSS_E_NS1_11comp_targetILNS1_3genE0ELNS1_11target_archE4294967295ELNS1_3gpuE0ELNS1_3repE0EEENS1_30default_config_static_selectorELNS0_4arch9wavefront6targetE1EEEvT1_,"axG",@progbits,_ZN7rocprim17ROCPRIM_400000_NS6detail17trampoline_kernelINS0_14default_configENS1_20scan_config_selectorIiEEZZNS1_9scan_implILNS1_25lookback_scan_determinismE0ELb1ELb1ES3_N6thrust23THRUST_200600_302600_NS6detail15normal_iteratorINS9_10device_ptrIiEEEENS9_16discard_iteratorINS9_11use_defaultEEEi11max_functorIiEiEEDaPvRmT3_T4_T5_mT6_P12ihipStream_tbENKUlT_T0_E_clISt17integral_constantIbLb1EESX_EEDaSS_ST_EUlSS_E_NS1_11comp_targetILNS1_3genE0ELNS1_11target_archE4294967295ELNS1_3gpuE0ELNS1_3repE0EEENS1_30default_config_static_selectorELNS0_4arch9wavefront6targetE1EEEvT1_,comdat
.Lfunc_end3944:
	.size	_ZN7rocprim17ROCPRIM_400000_NS6detail17trampoline_kernelINS0_14default_configENS1_20scan_config_selectorIiEEZZNS1_9scan_implILNS1_25lookback_scan_determinismE0ELb1ELb1ES3_N6thrust23THRUST_200600_302600_NS6detail15normal_iteratorINS9_10device_ptrIiEEEENS9_16discard_iteratorINS9_11use_defaultEEEi11max_functorIiEiEEDaPvRmT3_T4_T5_mT6_P12ihipStream_tbENKUlT_T0_E_clISt17integral_constantIbLb1EESX_EEDaSS_ST_EUlSS_E_NS1_11comp_targetILNS1_3genE0ELNS1_11target_archE4294967295ELNS1_3gpuE0ELNS1_3repE0EEENS1_30default_config_static_selectorELNS0_4arch9wavefront6targetE1EEEvT1_, .Lfunc_end3944-_ZN7rocprim17ROCPRIM_400000_NS6detail17trampoline_kernelINS0_14default_configENS1_20scan_config_selectorIiEEZZNS1_9scan_implILNS1_25lookback_scan_determinismE0ELb1ELb1ES3_N6thrust23THRUST_200600_302600_NS6detail15normal_iteratorINS9_10device_ptrIiEEEENS9_16discard_iteratorINS9_11use_defaultEEEi11max_functorIiEiEEDaPvRmT3_T4_T5_mT6_P12ihipStream_tbENKUlT_T0_E_clISt17integral_constantIbLb1EESX_EEDaSS_ST_EUlSS_E_NS1_11comp_targetILNS1_3genE0ELNS1_11target_archE4294967295ELNS1_3gpuE0ELNS1_3repE0EEENS1_30default_config_static_selectorELNS0_4arch9wavefront6targetE1EEEvT1_
                                        ; -- End function
	.section	.AMDGPU.csdata,"",@progbits
; Kernel info:
; codeLenInByte = 0
; NumSgprs: 4
; NumVgprs: 0
; NumAgprs: 0
; TotalNumVgprs: 0
; ScratchSize: 0
; MemoryBound: 0
; FloatMode: 240
; IeeeMode: 1
; LDSByteSize: 0 bytes/workgroup (compile time only)
; SGPRBlocks: 0
; VGPRBlocks: 0
; NumSGPRsForWavesPerEU: 4
; NumVGPRsForWavesPerEU: 1
; AccumOffset: 4
; Occupancy: 8
; WaveLimiterHint : 0
; COMPUTE_PGM_RSRC2:SCRATCH_EN: 0
; COMPUTE_PGM_RSRC2:USER_SGPR: 6
; COMPUTE_PGM_RSRC2:TRAP_HANDLER: 0
; COMPUTE_PGM_RSRC2:TGID_X_EN: 1
; COMPUTE_PGM_RSRC2:TGID_Y_EN: 0
; COMPUTE_PGM_RSRC2:TGID_Z_EN: 0
; COMPUTE_PGM_RSRC2:TIDIG_COMP_CNT: 0
; COMPUTE_PGM_RSRC3_GFX90A:ACCUM_OFFSET: 0
; COMPUTE_PGM_RSRC3_GFX90A:TG_SPLIT: 0
	.section	.text._ZN7rocprim17ROCPRIM_400000_NS6detail17trampoline_kernelINS0_14default_configENS1_20scan_config_selectorIiEEZZNS1_9scan_implILNS1_25lookback_scan_determinismE0ELb1ELb1ES3_N6thrust23THRUST_200600_302600_NS6detail15normal_iteratorINS9_10device_ptrIiEEEENS9_16discard_iteratorINS9_11use_defaultEEEi11max_functorIiEiEEDaPvRmT3_T4_T5_mT6_P12ihipStream_tbENKUlT_T0_E_clISt17integral_constantIbLb1EESX_EEDaSS_ST_EUlSS_E_NS1_11comp_targetILNS1_3genE5ELNS1_11target_archE942ELNS1_3gpuE9ELNS1_3repE0EEENS1_30default_config_static_selectorELNS0_4arch9wavefront6targetE1EEEvT1_,"axG",@progbits,_ZN7rocprim17ROCPRIM_400000_NS6detail17trampoline_kernelINS0_14default_configENS1_20scan_config_selectorIiEEZZNS1_9scan_implILNS1_25lookback_scan_determinismE0ELb1ELb1ES3_N6thrust23THRUST_200600_302600_NS6detail15normal_iteratorINS9_10device_ptrIiEEEENS9_16discard_iteratorINS9_11use_defaultEEEi11max_functorIiEiEEDaPvRmT3_T4_T5_mT6_P12ihipStream_tbENKUlT_T0_E_clISt17integral_constantIbLb1EESX_EEDaSS_ST_EUlSS_E_NS1_11comp_targetILNS1_3genE5ELNS1_11target_archE942ELNS1_3gpuE9ELNS1_3repE0EEENS1_30default_config_static_selectorELNS0_4arch9wavefront6targetE1EEEvT1_,comdat
	.protected	_ZN7rocprim17ROCPRIM_400000_NS6detail17trampoline_kernelINS0_14default_configENS1_20scan_config_selectorIiEEZZNS1_9scan_implILNS1_25lookback_scan_determinismE0ELb1ELb1ES3_N6thrust23THRUST_200600_302600_NS6detail15normal_iteratorINS9_10device_ptrIiEEEENS9_16discard_iteratorINS9_11use_defaultEEEi11max_functorIiEiEEDaPvRmT3_T4_T5_mT6_P12ihipStream_tbENKUlT_T0_E_clISt17integral_constantIbLb1EESX_EEDaSS_ST_EUlSS_E_NS1_11comp_targetILNS1_3genE5ELNS1_11target_archE942ELNS1_3gpuE9ELNS1_3repE0EEENS1_30default_config_static_selectorELNS0_4arch9wavefront6targetE1EEEvT1_ ; -- Begin function _ZN7rocprim17ROCPRIM_400000_NS6detail17trampoline_kernelINS0_14default_configENS1_20scan_config_selectorIiEEZZNS1_9scan_implILNS1_25lookback_scan_determinismE0ELb1ELb1ES3_N6thrust23THRUST_200600_302600_NS6detail15normal_iteratorINS9_10device_ptrIiEEEENS9_16discard_iteratorINS9_11use_defaultEEEi11max_functorIiEiEEDaPvRmT3_T4_T5_mT6_P12ihipStream_tbENKUlT_T0_E_clISt17integral_constantIbLb1EESX_EEDaSS_ST_EUlSS_E_NS1_11comp_targetILNS1_3genE5ELNS1_11target_archE942ELNS1_3gpuE9ELNS1_3repE0EEENS1_30default_config_static_selectorELNS0_4arch9wavefront6targetE1EEEvT1_
	.globl	_ZN7rocprim17ROCPRIM_400000_NS6detail17trampoline_kernelINS0_14default_configENS1_20scan_config_selectorIiEEZZNS1_9scan_implILNS1_25lookback_scan_determinismE0ELb1ELb1ES3_N6thrust23THRUST_200600_302600_NS6detail15normal_iteratorINS9_10device_ptrIiEEEENS9_16discard_iteratorINS9_11use_defaultEEEi11max_functorIiEiEEDaPvRmT3_T4_T5_mT6_P12ihipStream_tbENKUlT_T0_E_clISt17integral_constantIbLb1EESX_EEDaSS_ST_EUlSS_E_NS1_11comp_targetILNS1_3genE5ELNS1_11target_archE942ELNS1_3gpuE9ELNS1_3repE0EEENS1_30default_config_static_selectorELNS0_4arch9wavefront6targetE1EEEvT1_
	.p2align	8
	.type	_ZN7rocprim17ROCPRIM_400000_NS6detail17trampoline_kernelINS0_14default_configENS1_20scan_config_selectorIiEEZZNS1_9scan_implILNS1_25lookback_scan_determinismE0ELb1ELb1ES3_N6thrust23THRUST_200600_302600_NS6detail15normal_iteratorINS9_10device_ptrIiEEEENS9_16discard_iteratorINS9_11use_defaultEEEi11max_functorIiEiEEDaPvRmT3_T4_T5_mT6_P12ihipStream_tbENKUlT_T0_E_clISt17integral_constantIbLb1EESX_EEDaSS_ST_EUlSS_E_NS1_11comp_targetILNS1_3genE5ELNS1_11target_archE942ELNS1_3gpuE9ELNS1_3repE0EEENS1_30default_config_static_selectorELNS0_4arch9wavefront6targetE1EEEvT1_,@function
_ZN7rocprim17ROCPRIM_400000_NS6detail17trampoline_kernelINS0_14default_configENS1_20scan_config_selectorIiEEZZNS1_9scan_implILNS1_25lookback_scan_determinismE0ELb1ELb1ES3_N6thrust23THRUST_200600_302600_NS6detail15normal_iteratorINS9_10device_ptrIiEEEENS9_16discard_iteratorINS9_11use_defaultEEEi11max_functorIiEiEEDaPvRmT3_T4_T5_mT6_P12ihipStream_tbENKUlT_T0_E_clISt17integral_constantIbLb1EESX_EEDaSS_ST_EUlSS_E_NS1_11comp_targetILNS1_3genE5ELNS1_11target_archE942ELNS1_3gpuE9ELNS1_3repE0EEENS1_30default_config_static_selectorELNS0_4arch9wavefront6targetE1EEEvT1_: ; @_ZN7rocprim17ROCPRIM_400000_NS6detail17trampoline_kernelINS0_14default_configENS1_20scan_config_selectorIiEEZZNS1_9scan_implILNS1_25lookback_scan_determinismE0ELb1ELb1ES3_N6thrust23THRUST_200600_302600_NS6detail15normal_iteratorINS9_10device_ptrIiEEEENS9_16discard_iteratorINS9_11use_defaultEEEi11max_functorIiEiEEDaPvRmT3_T4_T5_mT6_P12ihipStream_tbENKUlT_T0_E_clISt17integral_constantIbLb1EESX_EEDaSS_ST_EUlSS_E_NS1_11comp_targetILNS1_3genE5ELNS1_11target_archE942ELNS1_3gpuE9ELNS1_3repE0EEENS1_30default_config_static_selectorELNS0_4arch9wavefront6targetE1EEEvT1_
; %bb.0:
	.section	.rodata,"a",@progbits
	.p2align	6, 0x0
	.amdhsa_kernel _ZN7rocprim17ROCPRIM_400000_NS6detail17trampoline_kernelINS0_14default_configENS1_20scan_config_selectorIiEEZZNS1_9scan_implILNS1_25lookback_scan_determinismE0ELb1ELb1ES3_N6thrust23THRUST_200600_302600_NS6detail15normal_iteratorINS9_10device_ptrIiEEEENS9_16discard_iteratorINS9_11use_defaultEEEi11max_functorIiEiEEDaPvRmT3_T4_T5_mT6_P12ihipStream_tbENKUlT_T0_E_clISt17integral_constantIbLb1EESX_EEDaSS_ST_EUlSS_E_NS1_11comp_targetILNS1_3genE5ELNS1_11target_archE942ELNS1_3gpuE9ELNS1_3repE0EEENS1_30default_config_static_selectorELNS0_4arch9wavefront6targetE1EEEvT1_
		.amdhsa_group_segment_fixed_size 0
		.amdhsa_private_segment_fixed_size 0
		.amdhsa_kernarg_size 104
		.amdhsa_user_sgpr_count 6
		.amdhsa_user_sgpr_private_segment_buffer 1
		.amdhsa_user_sgpr_dispatch_ptr 0
		.amdhsa_user_sgpr_queue_ptr 0
		.amdhsa_user_sgpr_kernarg_segment_ptr 1
		.amdhsa_user_sgpr_dispatch_id 0
		.amdhsa_user_sgpr_flat_scratch_init 0
		.amdhsa_user_sgpr_kernarg_preload_length 0
		.amdhsa_user_sgpr_kernarg_preload_offset 0
		.amdhsa_user_sgpr_private_segment_size 0
		.amdhsa_uses_dynamic_stack 0
		.amdhsa_system_sgpr_private_segment_wavefront_offset 0
		.amdhsa_system_sgpr_workgroup_id_x 1
		.amdhsa_system_sgpr_workgroup_id_y 0
		.amdhsa_system_sgpr_workgroup_id_z 0
		.amdhsa_system_sgpr_workgroup_info 0
		.amdhsa_system_vgpr_workitem_id 0
		.amdhsa_next_free_vgpr 1
		.amdhsa_next_free_sgpr 0
		.amdhsa_accum_offset 4
		.amdhsa_reserve_vcc 0
		.amdhsa_reserve_flat_scratch 0
		.amdhsa_float_round_mode_32 0
		.amdhsa_float_round_mode_16_64 0
		.amdhsa_float_denorm_mode_32 3
		.amdhsa_float_denorm_mode_16_64 3
		.amdhsa_dx10_clamp 1
		.amdhsa_ieee_mode 1
		.amdhsa_fp16_overflow 0
		.amdhsa_tg_split 0
		.amdhsa_exception_fp_ieee_invalid_op 0
		.amdhsa_exception_fp_denorm_src 0
		.amdhsa_exception_fp_ieee_div_zero 0
		.amdhsa_exception_fp_ieee_overflow 0
		.amdhsa_exception_fp_ieee_underflow 0
		.amdhsa_exception_fp_ieee_inexact 0
		.amdhsa_exception_int_div_zero 0
	.end_amdhsa_kernel
	.section	.text._ZN7rocprim17ROCPRIM_400000_NS6detail17trampoline_kernelINS0_14default_configENS1_20scan_config_selectorIiEEZZNS1_9scan_implILNS1_25lookback_scan_determinismE0ELb1ELb1ES3_N6thrust23THRUST_200600_302600_NS6detail15normal_iteratorINS9_10device_ptrIiEEEENS9_16discard_iteratorINS9_11use_defaultEEEi11max_functorIiEiEEDaPvRmT3_T4_T5_mT6_P12ihipStream_tbENKUlT_T0_E_clISt17integral_constantIbLb1EESX_EEDaSS_ST_EUlSS_E_NS1_11comp_targetILNS1_3genE5ELNS1_11target_archE942ELNS1_3gpuE9ELNS1_3repE0EEENS1_30default_config_static_selectorELNS0_4arch9wavefront6targetE1EEEvT1_,"axG",@progbits,_ZN7rocprim17ROCPRIM_400000_NS6detail17trampoline_kernelINS0_14default_configENS1_20scan_config_selectorIiEEZZNS1_9scan_implILNS1_25lookback_scan_determinismE0ELb1ELb1ES3_N6thrust23THRUST_200600_302600_NS6detail15normal_iteratorINS9_10device_ptrIiEEEENS9_16discard_iteratorINS9_11use_defaultEEEi11max_functorIiEiEEDaPvRmT3_T4_T5_mT6_P12ihipStream_tbENKUlT_T0_E_clISt17integral_constantIbLb1EESX_EEDaSS_ST_EUlSS_E_NS1_11comp_targetILNS1_3genE5ELNS1_11target_archE942ELNS1_3gpuE9ELNS1_3repE0EEENS1_30default_config_static_selectorELNS0_4arch9wavefront6targetE1EEEvT1_,comdat
.Lfunc_end3945:
	.size	_ZN7rocprim17ROCPRIM_400000_NS6detail17trampoline_kernelINS0_14default_configENS1_20scan_config_selectorIiEEZZNS1_9scan_implILNS1_25lookback_scan_determinismE0ELb1ELb1ES3_N6thrust23THRUST_200600_302600_NS6detail15normal_iteratorINS9_10device_ptrIiEEEENS9_16discard_iteratorINS9_11use_defaultEEEi11max_functorIiEiEEDaPvRmT3_T4_T5_mT6_P12ihipStream_tbENKUlT_T0_E_clISt17integral_constantIbLb1EESX_EEDaSS_ST_EUlSS_E_NS1_11comp_targetILNS1_3genE5ELNS1_11target_archE942ELNS1_3gpuE9ELNS1_3repE0EEENS1_30default_config_static_selectorELNS0_4arch9wavefront6targetE1EEEvT1_, .Lfunc_end3945-_ZN7rocprim17ROCPRIM_400000_NS6detail17trampoline_kernelINS0_14default_configENS1_20scan_config_selectorIiEEZZNS1_9scan_implILNS1_25lookback_scan_determinismE0ELb1ELb1ES3_N6thrust23THRUST_200600_302600_NS6detail15normal_iteratorINS9_10device_ptrIiEEEENS9_16discard_iteratorINS9_11use_defaultEEEi11max_functorIiEiEEDaPvRmT3_T4_T5_mT6_P12ihipStream_tbENKUlT_T0_E_clISt17integral_constantIbLb1EESX_EEDaSS_ST_EUlSS_E_NS1_11comp_targetILNS1_3genE5ELNS1_11target_archE942ELNS1_3gpuE9ELNS1_3repE0EEENS1_30default_config_static_selectorELNS0_4arch9wavefront6targetE1EEEvT1_
                                        ; -- End function
	.section	.AMDGPU.csdata,"",@progbits
; Kernel info:
; codeLenInByte = 0
; NumSgprs: 4
; NumVgprs: 0
; NumAgprs: 0
; TotalNumVgprs: 0
; ScratchSize: 0
; MemoryBound: 0
; FloatMode: 240
; IeeeMode: 1
; LDSByteSize: 0 bytes/workgroup (compile time only)
; SGPRBlocks: 0
; VGPRBlocks: 0
; NumSGPRsForWavesPerEU: 4
; NumVGPRsForWavesPerEU: 1
; AccumOffset: 4
; Occupancy: 8
; WaveLimiterHint : 0
; COMPUTE_PGM_RSRC2:SCRATCH_EN: 0
; COMPUTE_PGM_RSRC2:USER_SGPR: 6
; COMPUTE_PGM_RSRC2:TRAP_HANDLER: 0
; COMPUTE_PGM_RSRC2:TGID_X_EN: 1
; COMPUTE_PGM_RSRC2:TGID_Y_EN: 0
; COMPUTE_PGM_RSRC2:TGID_Z_EN: 0
; COMPUTE_PGM_RSRC2:TIDIG_COMP_CNT: 0
; COMPUTE_PGM_RSRC3_GFX90A:ACCUM_OFFSET: 0
; COMPUTE_PGM_RSRC3_GFX90A:TG_SPLIT: 0
	.section	.text._ZN7rocprim17ROCPRIM_400000_NS6detail17trampoline_kernelINS0_14default_configENS1_20scan_config_selectorIiEEZZNS1_9scan_implILNS1_25lookback_scan_determinismE0ELb1ELb1ES3_N6thrust23THRUST_200600_302600_NS6detail15normal_iteratorINS9_10device_ptrIiEEEENS9_16discard_iteratorINS9_11use_defaultEEEi11max_functorIiEiEEDaPvRmT3_T4_T5_mT6_P12ihipStream_tbENKUlT_T0_E_clISt17integral_constantIbLb1EESX_EEDaSS_ST_EUlSS_E_NS1_11comp_targetILNS1_3genE4ELNS1_11target_archE910ELNS1_3gpuE8ELNS1_3repE0EEENS1_30default_config_static_selectorELNS0_4arch9wavefront6targetE1EEEvT1_,"axG",@progbits,_ZN7rocprim17ROCPRIM_400000_NS6detail17trampoline_kernelINS0_14default_configENS1_20scan_config_selectorIiEEZZNS1_9scan_implILNS1_25lookback_scan_determinismE0ELb1ELb1ES3_N6thrust23THRUST_200600_302600_NS6detail15normal_iteratorINS9_10device_ptrIiEEEENS9_16discard_iteratorINS9_11use_defaultEEEi11max_functorIiEiEEDaPvRmT3_T4_T5_mT6_P12ihipStream_tbENKUlT_T0_E_clISt17integral_constantIbLb1EESX_EEDaSS_ST_EUlSS_E_NS1_11comp_targetILNS1_3genE4ELNS1_11target_archE910ELNS1_3gpuE8ELNS1_3repE0EEENS1_30default_config_static_selectorELNS0_4arch9wavefront6targetE1EEEvT1_,comdat
	.protected	_ZN7rocprim17ROCPRIM_400000_NS6detail17trampoline_kernelINS0_14default_configENS1_20scan_config_selectorIiEEZZNS1_9scan_implILNS1_25lookback_scan_determinismE0ELb1ELb1ES3_N6thrust23THRUST_200600_302600_NS6detail15normal_iteratorINS9_10device_ptrIiEEEENS9_16discard_iteratorINS9_11use_defaultEEEi11max_functorIiEiEEDaPvRmT3_T4_T5_mT6_P12ihipStream_tbENKUlT_T0_E_clISt17integral_constantIbLb1EESX_EEDaSS_ST_EUlSS_E_NS1_11comp_targetILNS1_3genE4ELNS1_11target_archE910ELNS1_3gpuE8ELNS1_3repE0EEENS1_30default_config_static_selectorELNS0_4arch9wavefront6targetE1EEEvT1_ ; -- Begin function _ZN7rocprim17ROCPRIM_400000_NS6detail17trampoline_kernelINS0_14default_configENS1_20scan_config_selectorIiEEZZNS1_9scan_implILNS1_25lookback_scan_determinismE0ELb1ELb1ES3_N6thrust23THRUST_200600_302600_NS6detail15normal_iteratorINS9_10device_ptrIiEEEENS9_16discard_iteratorINS9_11use_defaultEEEi11max_functorIiEiEEDaPvRmT3_T4_T5_mT6_P12ihipStream_tbENKUlT_T0_E_clISt17integral_constantIbLb1EESX_EEDaSS_ST_EUlSS_E_NS1_11comp_targetILNS1_3genE4ELNS1_11target_archE910ELNS1_3gpuE8ELNS1_3repE0EEENS1_30default_config_static_selectorELNS0_4arch9wavefront6targetE1EEEvT1_
	.globl	_ZN7rocprim17ROCPRIM_400000_NS6detail17trampoline_kernelINS0_14default_configENS1_20scan_config_selectorIiEEZZNS1_9scan_implILNS1_25lookback_scan_determinismE0ELb1ELb1ES3_N6thrust23THRUST_200600_302600_NS6detail15normal_iteratorINS9_10device_ptrIiEEEENS9_16discard_iteratorINS9_11use_defaultEEEi11max_functorIiEiEEDaPvRmT3_T4_T5_mT6_P12ihipStream_tbENKUlT_T0_E_clISt17integral_constantIbLb1EESX_EEDaSS_ST_EUlSS_E_NS1_11comp_targetILNS1_3genE4ELNS1_11target_archE910ELNS1_3gpuE8ELNS1_3repE0EEENS1_30default_config_static_selectorELNS0_4arch9wavefront6targetE1EEEvT1_
	.p2align	8
	.type	_ZN7rocprim17ROCPRIM_400000_NS6detail17trampoline_kernelINS0_14default_configENS1_20scan_config_selectorIiEEZZNS1_9scan_implILNS1_25lookback_scan_determinismE0ELb1ELb1ES3_N6thrust23THRUST_200600_302600_NS6detail15normal_iteratorINS9_10device_ptrIiEEEENS9_16discard_iteratorINS9_11use_defaultEEEi11max_functorIiEiEEDaPvRmT3_T4_T5_mT6_P12ihipStream_tbENKUlT_T0_E_clISt17integral_constantIbLb1EESX_EEDaSS_ST_EUlSS_E_NS1_11comp_targetILNS1_3genE4ELNS1_11target_archE910ELNS1_3gpuE8ELNS1_3repE0EEENS1_30default_config_static_selectorELNS0_4arch9wavefront6targetE1EEEvT1_,@function
_ZN7rocprim17ROCPRIM_400000_NS6detail17trampoline_kernelINS0_14default_configENS1_20scan_config_selectorIiEEZZNS1_9scan_implILNS1_25lookback_scan_determinismE0ELb1ELb1ES3_N6thrust23THRUST_200600_302600_NS6detail15normal_iteratorINS9_10device_ptrIiEEEENS9_16discard_iteratorINS9_11use_defaultEEEi11max_functorIiEiEEDaPvRmT3_T4_T5_mT6_P12ihipStream_tbENKUlT_T0_E_clISt17integral_constantIbLb1EESX_EEDaSS_ST_EUlSS_E_NS1_11comp_targetILNS1_3genE4ELNS1_11target_archE910ELNS1_3gpuE8ELNS1_3repE0EEENS1_30default_config_static_selectorELNS0_4arch9wavefront6targetE1EEEvT1_: ; @_ZN7rocprim17ROCPRIM_400000_NS6detail17trampoline_kernelINS0_14default_configENS1_20scan_config_selectorIiEEZZNS1_9scan_implILNS1_25lookback_scan_determinismE0ELb1ELb1ES3_N6thrust23THRUST_200600_302600_NS6detail15normal_iteratorINS9_10device_ptrIiEEEENS9_16discard_iteratorINS9_11use_defaultEEEi11max_functorIiEiEEDaPvRmT3_T4_T5_mT6_P12ihipStream_tbENKUlT_T0_E_clISt17integral_constantIbLb1EESX_EEDaSS_ST_EUlSS_E_NS1_11comp_targetILNS1_3genE4ELNS1_11target_archE910ELNS1_3gpuE8ELNS1_3repE0EEENS1_30default_config_static_selectorELNS0_4arch9wavefront6targetE1EEEvT1_
; %bb.0:
	s_load_dwordx2 s[20:21], s[4:5], 0x20
	s_load_dword s26, s[4:5], 0x28
	s_load_dwordx2 s[6:7], s[4:5], 0x30
	v_cmp_ne_u32_e64 s[2:3], 0, v0
	v_cmp_eq_u32_e64 s[0:1], 0, v0
	s_and_saveexec_b64 s[8:9], s[0:1]
	s_cbranch_execz .LBB3946_4
; %bb.1:
	s_mov_b64 s[12:13], exec
	v_mbcnt_lo_u32_b32 v1, s12, 0
	v_mbcnt_hi_u32_b32 v1, s13, v1
	v_cmp_eq_u32_e32 vcc, 0, v1
                                        ; implicit-def: $vgpr2
	s_and_saveexec_b64 s[10:11], vcc
	s_cbranch_execz .LBB3946_3
; %bb.2:
	s_load_dwordx2 s[14:15], s[4:5], 0x60
	s_bcnt1_i32_b64 s12, s[12:13]
	v_mov_b32_e32 v2, 0
	v_mov_b32_e32 v3, s12
	s_waitcnt lgkmcnt(0)
	global_atomic_add v2, v2, v3, s[14:15] glc
.LBB3946_3:
	s_or_b64 exec, exec, s[10:11]
	s_waitcnt vmcnt(0)
	v_readfirstlane_b32 s10, v2
	v_add_u32_e32 v1, s10, v1
	v_mov_b32_e32 v2, 0
	ds_write_b32 v2, v1
.LBB3946_4:
	s_or_b64 exec, exec, s[8:9]
	v_mov_b32_e32 v3, 0
	s_load_dwordx4 s[16:19], s[4:5], 0x0
	s_load_dword s22, s[4:5], 0x38
	s_load_dwordx8 s[8:15], s[4:5], 0x40
	s_waitcnt lgkmcnt(0)
	s_barrier
	ds_read_b32 v1, v3
	s_lshl_b64 s[4:5], s[18:19], 2
	s_add_u32 s27, s16, s4
	s_movk_i32 s4, 0x500
	s_addc_u32 s28, s17, s5
	s_waitcnt lgkmcnt(0)
	v_mul_lo_u32 v2, v1, s4
	s_add_i32 s4, s22, -1
	s_mul_i32 s5, s4, 0x500
	s_sub_u32 s24, s20, s5
	v_readfirstlane_b32 s29, v1
	s_subb_u32 s25, s21, 0
	v_lshlrev_b64 v[2:3], 2, v[2:3]
	s_cmp_lg_u32 s29, s4
	v_mov_b32_e32 v1, s28
	v_add_co_u32_e32 v12, vcc, s27, v2
	s_cselect_b64 s[16:17], -1, 0
	v_addc_co_u32_e32 v13, vcc, v1, v3, vcc
	s_mov_b64 s[4:5], -1
	s_and_b64 vcc, exec, s[16:17]
	v_lshlrev_b32_e32 v11, 2, v0
	s_barrier
	s_cbranch_vccz .LBB3946_6
; %bb.5:
	v_add_co_u32_e32 v2, vcc, v12, v11
	v_addc_co_u32_e32 v3, vcc, 0, v13, vcc
	flat_load_dword v1, v[2:3]
	flat_load_dword v4, v[2:3] offset:512
	flat_load_dword v5, v[2:3] offset:1024
	;; [unrolled: 1-line block ×7, first 2 shown]
	v_add_co_u32_e32 v2, vcc, 0x1000, v2
	v_addc_co_u32_e32 v3, vcc, 0, v3, vcc
	flat_load_dword v14, v[2:3]
	flat_load_dword v15, v[2:3] offset:512
	s_mov_b64 s[4:5], 0
	s_waitcnt vmcnt(0) lgkmcnt(0)
	ds_write2st64_b32 v11, v1, v4 offset1:2
	ds_write2st64_b32 v11, v5, v6 offset0:4 offset1:6
	ds_write2st64_b32 v11, v7, v8 offset0:8 offset1:10
	;; [unrolled: 1-line block ×4, first 2 shown]
	s_waitcnt lgkmcnt(0)
	s_barrier
.LBB3946_6:
	s_andn2_b64 vcc, exec, s[4:5]
	s_cbranch_vccnz .LBB3946_28
; %bb.7:
	flat_load_dword v1, v[12:13]
	v_cmp_gt_u32_e32 vcc, s24, v0
	s_waitcnt vmcnt(0) lgkmcnt(0)
	v_mov_b32_e32 v2, v1
	v_mov_b32_e32 v3, v1
	;; [unrolled: 1-line block ×9, first 2 shown]
	s_and_saveexec_b64 s[4:5], vcc
	s_cbranch_execz .LBB3946_9
; %bb.8:
	v_add_co_u32_e32 v14, vcc, v12, v11
	v_addc_co_u32_e32 v15, vcc, 0, v13, vcc
	flat_load_dword v10, v[14:15]
.LBB3946_9:
	s_or_b64 exec, exec, s[4:5]
	v_or_b32_e32 v14, 0x80, v0
	v_cmp_gt_u32_e32 vcc, s24, v14
	s_and_saveexec_b64 s[4:5], vcc
	s_cbranch_execz .LBB3946_11
; %bb.10:
	v_add_co_u32_e32 v14, vcc, v12, v11
	v_addc_co_u32_e32 v15, vcc, 0, v13, vcc
	flat_load_dword v1, v[14:15] offset:512
.LBB3946_11:
	s_or_b64 exec, exec, s[4:5]
	v_or_b32_e32 v14, 0x100, v0
	v_cmp_gt_u32_e32 vcc, s24, v14
	s_and_saveexec_b64 s[4:5], vcc
	s_cbranch_execz .LBB3946_13
; %bb.12:
	v_add_co_u32_e32 v14, vcc, v12, v11
	v_addc_co_u32_e32 v15, vcc, 0, v13, vcc
	flat_load_dword v2, v[14:15] offset:1024
.LBB3946_13:
	;; [unrolled: 10-line block ×7, first 2 shown]
	s_or_b64 exec, exec, s[4:5]
	v_or_b32_e32 v14, 0x400, v0
	v_cmp_gt_u32_e32 vcc, s24, v14
	s_and_saveexec_b64 s[4:5], vcc
	s_cbranch_execz .LBB3946_25
; %bb.24:
	v_lshlrev_b32_e32 v8, 2, v14
	v_add_co_u32_e32 v14, vcc, v12, v8
	v_addc_co_u32_e32 v15, vcc, 0, v13, vcc
	flat_load_dword v8, v[14:15]
.LBB3946_25:
	s_or_b64 exec, exec, s[4:5]
	v_or_b32_e32 v14, 0x480, v0
	v_cmp_gt_u32_e32 vcc, s24, v14
	s_and_saveexec_b64 s[4:5], vcc
	s_cbranch_execz .LBB3946_27
; %bb.26:
	v_lshlrev_b32_e32 v9, 2, v14
	v_add_co_u32_e32 v12, vcc, v12, v9
	v_addc_co_u32_e32 v13, vcc, 0, v13, vcc
	flat_load_dword v9, v[12:13]
.LBB3946_27:
	s_or_b64 exec, exec, s[4:5]
	s_waitcnt vmcnt(0) lgkmcnt(0)
	ds_write2st64_b32 v11, v10, v1 offset1:2
	ds_write2st64_b32 v11, v2, v3 offset0:4 offset1:6
	ds_write2st64_b32 v11, v4, v5 offset0:8 offset1:10
	;; [unrolled: 1-line block ×4, first 2 shown]
	s_waitcnt lgkmcnt(0)
	s_barrier
.LBB3946_28:
	v_mul_u32_u24_e32 v22, 10, v0
	v_lshlrev_b32_e32 v23, 2, v22
	ds_read2_b64 v[16:19], v23 offset1:1
	ds_read2_b64 v[12:15], v23 offset0:2 offset1:3
	ds_read_b64 v[20:21], v23 offset:32
	s_cmp_lg_u32 s29, 0
	v_cmp_gt_u32_e32 vcc, 64, v0
	s_waitcnt lgkmcnt(2)
	v_max_i32_e32 v1, v16, v17
	v_max3_i32 v24, v1, v18, v19
	v_lshrrev_b32_e32 v1, 5, v0
	s_waitcnt lgkmcnt(0)
	s_barrier
	s_cbranch_scc0 .LBB3946_57
; %bb.29:
	v_max3_i32 v2, v24, v12, v13
	v_max3_i32 v2, v2, v14, v15
	;; [unrolled: 1-line block ×3, first 2 shown]
	v_add_lshl_u32 v2, v1, v0, 2
	ds_write_b32 v2, v25
	s_waitcnt lgkmcnt(0)
	s_barrier
	s_and_saveexec_b64 s[18:19], vcc
	s_cbranch_execz .LBB3946_31
; %bb.30:
	v_lshlrev_b32_e32 v2, 1, v0
	v_lshrrev_b32_e32 v3, 4, v0
	v_add_lshl_u32 v4, v3, v2, 2
	ds_read2_b32 v[2:3], v4 offset1:1
	v_mbcnt_lo_u32_b32 v5, -1, 0
	v_mbcnt_hi_u32_b32 v5, -1, v5
	v_and_b32_e32 v6, 15, v5
	v_cmp_eq_u32_e64 s[4:5], 0, v6
	s_waitcnt lgkmcnt(0)
	v_max_i32_e32 v3, v2, v3
	; wave barrier
	s_nop 1
	v_mov_b32_dpp v7, v3 row_shr:1 row_mask:0xf bank_mask:0xf
	v_max_i32_e32 v7, v7, v3
	v_cndmask_b32_e64 v3, v7, v3, s[4:5]
	v_cmp_lt_u32_e64 s[4:5], 1, v6
	s_nop 0
	v_mov_b32_dpp v7, v3 row_shr:2 row_mask:0xf bank_mask:0xf
	v_max_i32_e32 v7, v7, v3
	v_cndmask_b32_e64 v3, v3, v7, s[4:5]
	v_cmp_lt_u32_e64 s[4:5], 3, v6
	s_nop 0
	v_mov_b32_dpp v7, v3 row_shr:4 row_mask:0xf bank_mask:0xf
	v_max_i32_e32 v7, v7, v3
	v_cndmask_b32_e64 v3, v3, v7, s[4:5]
	v_cmp_lt_u32_e64 s[4:5], 7, v6
	s_nop 0
	v_mov_b32_dpp v7, v3 row_shr:8 row_mask:0xf bank_mask:0xf
	v_max_i32_e32 v7, v7, v3
	v_cndmask_b32_e64 v3, v3, v7, s[4:5]
	v_and_b32_e32 v7, 16, v5
	v_cmp_eq_u32_e64 s[4:5], 0, v7
	v_mov_b32_dpp v6, v3 row_bcast:15 row_mask:0xf bank_mask:0xf
	v_max_i32_e32 v6, v6, v3
	v_cndmask_b32_e64 v3, v6, v3, s[4:5]
	v_cmp_lt_u32_e64 s[4:5], 31, v5
	v_and_b32_e32 v7, 64, v5
	v_mov_b32_dpp v6, v3 row_bcast:31 row_mask:0xf bank_mask:0xf
	v_max_i32_e32 v6, v6, v3
	v_cndmask_b32_e64 v3, v3, v6, s[4:5]
	v_add_u32_e32 v6, -1, v5
	v_cmp_lt_i32_e64 s[4:5], v6, v7
	v_cndmask_b32_e64 v5, v6, v5, s[4:5]
	v_lshlrev_b32_e32 v5, 2, v5
	ds_bpermute_b32 v3, v5, v3
	s_waitcnt lgkmcnt(0)
	v_max_i32_e32 v2, v3, v2
	v_cndmask_b32_e64 v2, v2, v25, s[0:1]
	ds_write_b32 v4, v2
	; wave barrier
	ds_read_b32 v3, v4 offset:4
	s_waitcnt lgkmcnt(0)
	v_max_i32_e32 v2, v2, v3
	ds_write_b32 v4, v2 offset:4
.LBB3946_31:
	s_or_b64 exec, exec, s[18:19]
	s_waitcnt lgkmcnt(0)
	s_barrier
	s_and_saveexec_b64 s[4:5], s[2:3]
	s_cbranch_execz .LBB3946_33
; %bb.32:
	v_add_u32_e32 v2, -1, v0
	v_lshrrev_b32_e32 v3, 5, v2
	v_add_lshl_u32 v2, v3, v2, 2
	ds_read_b32 v25, v2
.LBB3946_33:
	s_or_b64 exec, exec, s[4:5]
	s_and_saveexec_b64 s[18:19], vcc
	s_cbranch_execz .LBB3946_56
; %bb.34:
	v_mov_b32_e32 v11, 0
	ds_read_b32 v2, v11 offset:520
	v_mbcnt_lo_u32_b32 v3, -1, 0
	v_mbcnt_hi_u32_b32 v5, -1, v3
	s_mov_b32 s23, 0
	v_cmp_eq_u32_e64 s[4:5], 0, v5
	s_and_saveexec_b64 s[20:21], s[4:5]
	s_cbranch_execz .LBB3946_36
; %bb.35:
	s_add_i32 s22, s29, 64
	s_lshl_b64 s[22:23], s[22:23], 3
	s_add_u32 s22, s6, s22
	v_mov_b32_e32 v3, 1
	s_addc_u32 s23, s7, s23
	s_waitcnt lgkmcnt(0)
	global_store_dwordx2 v11, v[2:3], s[22:23]
.LBB3946_36:
	s_or_b64 exec, exec, s[20:21]
	v_xad_u32 v4, v5, -1, s29
	v_add_u32_e32 v10, 64, v4
	v_lshlrev_b64 v[6:7], 3, v[10:11]
	v_mov_b32_e32 v3, s7
	v_add_co_u32_e32 v6, vcc, s6, v6
	v_addc_co_u32_e32 v7, vcc, v3, v7, vcc
	global_load_dwordx2 v[8:9], v[6:7], off glc
	s_waitcnt vmcnt(0)
	v_cmp_eq_u16_sdwa s[22:23], v9, v11 src0_sel:BYTE_0 src1_sel:DWORD
	s_and_saveexec_b64 s[20:21], s[22:23]
	s_cbranch_execz .LBB3946_42
; %bb.37:
	s_mov_b32 s30, 1
	s_mov_b64 s[22:23], 0
	v_mov_b32_e32 v3, 0
.LBB3946_38:                            ; =>This Loop Header: Depth=1
                                        ;     Child Loop BB3946_39 Depth 2
	s_max_u32 s31, s30, 1
.LBB3946_39:                            ;   Parent Loop BB3946_38 Depth=1
                                        ; =>  This Inner Loop Header: Depth=2
	s_add_i32 s31, s31, -1
	s_cmp_eq_u32 s31, 0
	s_sleep 1
	s_cbranch_scc0 .LBB3946_39
; %bb.40:                               ;   in Loop: Header=BB3946_38 Depth=1
	global_load_dwordx2 v[8:9], v[6:7], off glc
	s_cmp_lt_u32 s30, 32
	s_cselect_b64 s[34:35], -1, 0
	s_cmp_lg_u64 s[34:35], 0
	s_addc_u32 s30, s30, 0
	s_waitcnt vmcnt(0)
	v_cmp_ne_u16_sdwa s[34:35], v9, v3 src0_sel:BYTE_0 src1_sel:DWORD
	s_or_b64 s[22:23], s[34:35], s[22:23]
	s_andn2_b64 exec, exec, s[22:23]
	s_cbranch_execnz .LBB3946_38
; %bb.41:
	s_or_b64 exec, exec, s[22:23]
.LBB3946_42:
	s_or_b64 exec, exec, s[20:21]
	v_and_b32_e32 v26, 63, v5
	v_cmp_ne_u32_e32 vcc, 63, v26
	v_mov_b32_e32 v3, 2
	v_addc_co_u32_e32 v27, vcc, 0, v5, vcc
	v_cmp_eq_u16_sdwa s[20:21], v9, v3 src0_sel:BYTE_0 src1_sel:DWORD
	v_lshlrev_b64 v[6:7], v5, -1
	v_lshlrev_b32_e32 v27, 2, v27
	v_and_b32_e32 v10, s21, v7
	ds_bpermute_b32 v28, v27, v8
	v_or_b32_e32 v10, 0x80000000, v10
	v_and_b32_e32 v11, s20, v6
	v_ffbl_b32_e32 v10, v10
	v_add_u32_e32 v10, 32, v10
	v_ffbl_b32_e32 v11, v11
	v_min_u32_e32 v10, v11, v10
	s_waitcnt lgkmcnt(0)
	v_max_i32_e32 v11, v28, v8
	v_cmp_lt_u32_e32 vcc, v26, v10
	v_cndmask_b32_e32 v8, v8, v11, vcc
	v_cmp_gt_u32_e32 vcc, 62, v26
	v_cndmask_b32_e64 v11, 0, 1, vcc
	v_lshlrev_b32_e32 v11, 1, v11
	v_add_lshl_u32 v28, v11, v5, 2
	ds_bpermute_b32 v11, v28, v8
	v_add_u32_e32 v29, 2, v26
	v_cmp_gt_u32_e32 vcc, v29, v10
	v_add_u32_e32 v31, 4, v26
	v_add_u32_e32 v33, 8, v26
	s_waitcnt lgkmcnt(0)
	v_max_i32_e32 v11, v11, v8
	v_cndmask_b32_e32 v8, v11, v8, vcc
	v_cmp_gt_u32_e32 vcc, 60, v26
	v_cndmask_b32_e64 v11, 0, 1, vcc
	v_lshlrev_b32_e32 v11, 2, v11
	v_add_lshl_u32 v30, v11, v5, 2
	ds_bpermute_b32 v11, v30, v8
	v_cmp_gt_u32_e32 vcc, v31, v10
	v_add_u32_e32 v36, 16, v26
	v_add_u32_e32 v38, 32, v26
	s_waitcnt lgkmcnt(0)
	v_max_i32_e32 v11, v11, v8
	v_cndmask_b32_e32 v8, v11, v8, vcc
	v_cmp_gt_u32_e32 vcc, 56, v26
	v_cndmask_b32_e64 v11, 0, 1, vcc
	v_lshlrev_b32_e32 v11, 3, v11
	v_add_lshl_u32 v32, v11, v5, 2
	ds_bpermute_b32 v11, v32, v8
	v_cmp_gt_u32_e32 vcc, v33, v10
	s_waitcnt lgkmcnt(0)
	v_max_i32_e32 v11, v11, v8
	v_cndmask_b32_e32 v8, v11, v8, vcc
	v_cmp_gt_u32_e32 vcc, 48, v26
	v_cndmask_b32_e64 v11, 0, 1, vcc
	v_lshlrev_b32_e32 v11, 4, v11
	v_add_lshl_u32 v34, v11, v5, 2
	ds_bpermute_b32 v11, v34, v8
	v_cmp_gt_u32_e32 vcc, v36, v10
	;; [unrolled: 9-line block ×3, first 2 shown]
	s_waitcnt lgkmcnt(0)
	v_max_i32_e32 v5, v5, v8
	v_cndmask_b32_e32 v8, v5, v8, vcc
	v_mov_b32_e32 v5, 0
	s_branch .LBB3946_44
.LBB3946_43:                            ;   in Loop: Header=BB3946_44 Depth=1
	s_or_b64 exec, exec, s[20:21]
	v_cmp_eq_u16_sdwa s[20:21], v9, v3 src0_sel:BYTE_0 src1_sel:DWORD
	v_and_b32_e32 v10, s21, v7
	ds_bpermute_b32 v39, v27, v8
	v_or_b32_e32 v10, 0x80000000, v10
	v_and_b32_e32 v11, s20, v6
	v_ffbl_b32_e32 v10, v10
	v_add_u32_e32 v10, 32, v10
	v_ffbl_b32_e32 v11, v11
	v_min_u32_e32 v10, v11, v10
	s_waitcnt lgkmcnt(0)
	v_max_i32_e32 v11, v39, v8
	v_cmp_lt_u32_e32 vcc, v26, v10
	v_cndmask_b32_e32 v8, v8, v11, vcc
	ds_bpermute_b32 v11, v28, v8
	v_cmp_gt_u32_e32 vcc, v29, v10
	v_subrev_u32_e32 v4, 64, v4
	s_waitcnt lgkmcnt(0)
	v_max_i32_e32 v11, v11, v8
	v_cndmask_b32_e32 v8, v11, v8, vcc
	ds_bpermute_b32 v11, v30, v8
	v_cmp_gt_u32_e32 vcc, v31, v10
	s_waitcnt lgkmcnt(0)
	v_max_i32_e32 v11, v11, v8
	v_cndmask_b32_e32 v8, v11, v8, vcc
	ds_bpermute_b32 v11, v32, v8
	v_cmp_gt_u32_e32 vcc, v33, v10
	;; [unrolled: 5-line block ×4, first 2 shown]
	s_waitcnt lgkmcnt(0)
	v_max_i32_e32 v11, v11, v8
	v_cndmask_b32_e32 v8, v11, v8, vcc
	v_max_i32_e32 v8, v8, v35
.LBB3946_44:                            ; =>This Loop Header: Depth=1
                                        ;     Child Loop BB3946_47 Depth 2
                                        ;       Child Loop BB3946_48 Depth 3
	v_cmp_ne_u16_sdwa s[20:21], v9, v3 src0_sel:BYTE_0 src1_sel:DWORD
	v_cndmask_b32_e64 v9, 0, 1, s[20:21]
	;;#ASMSTART
	;;#ASMEND
	v_cmp_ne_u32_e32 vcc, 0, v9
	s_cmp_lg_u64 vcc, exec
	v_mov_b32_e32 v35, v8
	s_cbranch_scc1 .LBB3946_51
; %bb.45:                               ;   in Loop: Header=BB3946_44 Depth=1
	v_lshlrev_b64 v[8:9], 3, v[4:5]
	v_mov_b32_e32 v11, s7
	v_add_co_u32_e32 v10, vcc, s6, v8
	v_addc_co_u32_e32 v11, vcc, v11, v9, vcc
	global_load_dwordx2 v[8:9], v[10:11], off glc
	s_waitcnt vmcnt(0)
	v_cmp_eq_u16_sdwa s[22:23], v9, v5 src0_sel:BYTE_0 src1_sel:DWORD
	s_and_saveexec_b64 s[20:21], s[22:23]
	s_cbranch_execz .LBB3946_43
; %bb.46:                               ;   in Loop: Header=BB3946_44 Depth=1
	s_mov_b32 s30, 1
	s_mov_b64 s[22:23], 0
.LBB3946_47:                            ;   Parent Loop BB3946_44 Depth=1
                                        ; =>  This Loop Header: Depth=2
                                        ;       Child Loop BB3946_48 Depth 3
	s_max_u32 s31, s30, 1
.LBB3946_48:                            ;   Parent Loop BB3946_44 Depth=1
                                        ;     Parent Loop BB3946_47 Depth=2
                                        ; =>    This Inner Loop Header: Depth=3
	s_add_i32 s31, s31, -1
	s_cmp_eq_u32 s31, 0
	s_sleep 1
	s_cbranch_scc0 .LBB3946_48
; %bb.49:                               ;   in Loop: Header=BB3946_47 Depth=2
	global_load_dwordx2 v[8:9], v[10:11], off glc
	s_cmp_lt_u32 s30, 32
	s_cselect_b64 s[34:35], -1, 0
	s_cmp_lg_u64 s[34:35], 0
	s_addc_u32 s30, s30, 0
	s_waitcnt vmcnt(0)
	v_cmp_ne_u16_sdwa s[34:35], v9, v5 src0_sel:BYTE_0 src1_sel:DWORD
	s_or_b64 s[22:23], s[34:35], s[22:23]
	s_andn2_b64 exec, exec, s[22:23]
	s_cbranch_execnz .LBB3946_47
; %bb.50:                               ;   in Loop: Header=BB3946_44 Depth=1
	s_or_b64 exec, exec, s[22:23]
	s_branch .LBB3946_43
.LBB3946_51:                            ;   in Loop: Header=BB3946_44 Depth=1
                                        ; implicit-def: $vgpr8
                                        ; implicit-def: $vgpr9
	s_cbranch_execz .LBB3946_44
; %bb.52:
	s_and_saveexec_b64 s[20:21], s[4:5]
	s_cbranch_execz .LBB3946_54
; %bb.53:
	s_add_i32 s4, s29, 64
	s_mov_b32 s5, 0
	s_lshl_b64 s[4:5], s[4:5], 3
	s_add_u32 s4, s6, s4
	v_max_i32_e32 v2, v35, v2
	v_mov_b32_e32 v3, 2
	s_addc_u32 s5, s7, s5
	v_mov_b32_e32 v4, 0
	global_store_dwordx2 v4, v[2:3], s[4:5]
.LBB3946_54:
	s_or_b64 exec, exec, s[20:21]
	s_and_b64 exec, exec, s[0:1]
	s_cbranch_execz .LBB3946_56
; %bb.55:
	v_mov_b32_e32 v2, 0
	ds_write_b32 v2, v35
.LBB3946_56:
	s_or_b64 exec, exec, s[18:19]
	v_mov_b32_e32 v2, 0
	s_waitcnt lgkmcnt(0)
	s_barrier
	ds_read_b32 v2, v2
	s_waitcnt lgkmcnt(0)
	v_max_i32_e32 v3, v2, v25
	v_cndmask_b32_e64 v2, v3, v2, s[0:1]
	v_max_i32_e32 v3, v2, v16
	v_max_i32_e32 v4, v3, v17
	;; [unrolled: 1-line block ×9, first 2 shown]
	s_branch .LBB3946_67
.LBB3946_57:
                                        ; implicit-def: $vgpr2_vgpr3_vgpr4_vgpr5_vgpr6_vgpr7_vgpr8_vgpr9_vgpr10_vgpr11
	s_cbranch_execz .LBB3946_67
; %bb.58:
	s_cmp_eq_u64 s[12:13], 0
	v_mov_b32_e32 v25, s26
	s_cbranch_scc1 .LBB3946_60
; %bb.59:
	v_mov_b32_e32 v2, 0
	global_load_dword v4, v2, s[8:9]
	v_mov_b32_e32 v3, s28
	v_add_co_u32_e64 v2, vcc, -4, s27
	v_addc_co_u32_e32 v3, vcc, -1, v3, vcc
	flat_load_dword v2, v[2:3]
	s_waitcnt vmcnt(0) lgkmcnt(0)
	v_max_i32_e32 v25, v4, v2
.LBB3946_60:
	v_max3_i32 v2, v24, v12, v13
	v_max3_i32 v2, v2, v14, v15
	;; [unrolled: 1-line block ×3, first 2 shown]
	v_add_lshl_u32 v1, v1, v0, 2
	v_cmp_gt_u32_e32 vcc, 64, v0
	ds_write_b32 v1, v2
	s_waitcnt lgkmcnt(0)
	s_barrier
	s_and_saveexec_b64 s[4:5], vcc
	s_cbranch_execz .LBB3946_62
; %bb.61:
	v_lshlrev_b32_e32 v1, 1, v0
	v_lshrrev_b32_e32 v3, 4, v0
	v_add_lshl_u32 v1, v3, v1, 2
	ds_read2_b32 v[4:5], v1 offset1:1
	v_mbcnt_lo_u32_b32 v3, -1, 0
	v_mbcnt_hi_u32_b32 v3, -1, v3
	v_and_b32_e32 v6, 15, v3
	v_cmp_eq_u32_e32 vcc, 0, v6
	s_waitcnt lgkmcnt(0)
	v_max_i32_e32 v5, v4, v5
	; wave barrier
	s_nop 1
	v_mov_b32_dpp v7, v5 row_shr:1 row_mask:0xf bank_mask:0xf
	v_max_i32_e32 v7, v7, v5
	v_cndmask_b32_e32 v5, v7, v5, vcc
	v_cmp_lt_u32_e32 vcc, 1, v6
	s_nop 0
	v_mov_b32_dpp v7, v5 row_shr:2 row_mask:0xf bank_mask:0xf
	v_max_i32_e32 v7, v7, v5
	v_cndmask_b32_e32 v5, v5, v7, vcc
	v_cmp_lt_u32_e32 vcc, 3, v6
	;; [unrolled: 5-line block ×3, first 2 shown]
	s_nop 0
	v_mov_b32_dpp v7, v5 row_shr:8 row_mask:0xf bank_mask:0xf
	v_max_i32_e32 v7, v7, v5
	v_cndmask_b32_e32 v5, v5, v7, vcc
	v_and_b32_e32 v7, 16, v3
	v_cmp_eq_u32_e32 vcc, 0, v7
	v_mov_b32_dpp v6, v5 row_bcast:15 row_mask:0xf bank_mask:0xf
	v_max_i32_e32 v6, v6, v5
	v_cndmask_b32_e32 v5, v6, v5, vcc
	v_cmp_lt_u32_e32 vcc, 31, v3
	v_and_b32_e32 v7, 64, v3
	v_mov_b32_dpp v6, v5 row_bcast:31 row_mask:0xf bank_mask:0xf
	v_max_i32_e32 v6, v6, v5
	v_cndmask_b32_e32 v5, v5, v6, vcc
	v_add_u32_e32 v6, -1, v3
	v_cmp_lt_i32_e32 vcc, v6, v7
	v_cndmask_b32_e32 v3, v6, v3, vcc
	v_lshlrev_b32_e32 v3, 2, v3
	ds_bpermute_b32 v3, v3, v5
	s_waitcnt lgkmcnt(0)
	v_max_i32_e32 v3, v3, v4
	v_cndmask_b32_e64 v2, v3, v2, s[0:1]
	ds_write_b32 v1, v2
	; wave barrier
	ds_read_b32 v3, v1 offset:4
	s_waitcnt lgkmcnt(0)
	v_max_i32_e32 v2, v2, v3
	ds_write_b32 v1, v2 offset:4
.LBB3946_62:
	s_or_b64 exec, exec, s[4:5]
	v_mov_b32_e32 v2, v25
	s_waitcnt lgkmcnt(0)
	s_barrier
	s_and_saveexec_b64 s[4:5], s[2:3]
	s_cbranch_execz .LBB3946_64
; %bb.63:
	v_add_u32_e32 v1, -1, v0
	v_lshrrev_b32_e32 v2, 5, v1
	v_add_lshl_u32 v1, v2, v1, 2
	ds_read_b32 v1, v1
	s_waitcnt lgkmcnt(0)
	v_max_i32_e32 v2, v25, v1
.LBB3946_64:
	s_or_b64 exec, exec, s[4:5]
	v_max_i32_e32 v3, v2, v16
	v_max_i32_e32 v4, v3, v17
	;; [unrolled: 1-line block ×9, first 2 shown]
	s_and_saveexec_b64 s[2:3], s[0:1]
	s_cbranch_execz .LBB3946_66
; %bb.65:
	v_mov_b32_e32 v1, 0
	ds_read_b32 v12, v1 offset:520
	v_mov_b32_e32 v13, 2
	s_waitcnt lgkmcnt(0)
	v_max_i32_e32 v12, v25, v12
	global_store_dwordx2 v1, v[12:13], s[6:7] offset:512
.LBB3946_66:
	s_or_b64 exec, exec, s[2:3]
.LBB3946_67:
	s_mov_b64 s[0:1], -1
	s_and_b64 vcc, exec, s[16:17]
	s_barrier
	ds_write2_b64 v23, v[2:3], v[4:5] offset1:1
	ds_write2_b64 v23, v[6:7], v[8:9] offset0:2 offset1:3
	ds_write_b64 v23, v[10:11] offset:32
	s_waitcnt lgkmcnt(0)
	s_cbranch_vccz .LBB3946_69
; %bb.68:
	s_barrier
	s_mov_b64 s[0:1], 0
.LBB3946_69:
	s_andn2_b64 vcc, exec, s[0:1]
	s_cbranch_vccnz .LBB3946_105
; %bb.70:
	v_cmp_lt_u64_e64 s[0:1], s[14:15], 2
	s_and_b64 vcc, exec, s[0:1]
	s_barrier
	s_cbranch_vccnz .LBB3946_105
; %bb.71:
	s_add_u32 s0, s24, -1
	s_addc_u32 s1, s25, -1
	s_add_u32 s2, 0, 0x99986000
	s_addc_u32 s3, 0, 0x59
	s_add_i32 s3, s3, 0x19999940
	s_mul_hi_u32 s7, s2, -10
	s_sub_i32 s7, s7, s2
	s_mul_i32 s8, s3, -10
	s_mul_i32 s4, s2, -10
	s_add_i32 s7, s7, s8
	s_mul_hi_u32 s5, s3, s4
	s_mul_i32 s6, s3, s4
	s_mul_i32 s9, s2, s7
	s_mul_hi_u32 s4, s2, s4
	s_mul_hi_u32 s8, s2, s7
	s_add_u32 s4, s4, s9
	s_addc_u32 s8, 0, s8
	s_add_u32 s4, s4, s6
	s_mul_hi_u32 s9, s3, s7
	s_addc_u32 s4, s8, s5
	s_addc_u32 s5, s9, 0
	s_mul_i32 s6, s3, s7
	s_add_u32 s4, s4, s6
	v_mov_b32_e32 v2, s4
	s_addc_u32 s5, 0, s5
	v_add_co_u32_e32 v2, vcc, s2, v2
	s_cmp_lg_u64 vcc, 0
	s_addc_u32 s2, s3, s5
	v_readfirstlane_b32 s5, v2
	s_mul_i32 s4, s0, s2
	s_mul_hi_u32 s6, s0, s5
	s_mul_hi_u32 s3, s0, s2
	s_add_u32 s4, s6, s4
	s_addc_u32 s3, 0, s3
	s_mul_hi_u32 s7, s1, s5
	s_mul_i32 s5, s1, s5
	s_add_u32 s4, s4, s5
	s_mul_hi_u32 s6, s1, s2
	s_addc_u32 s3, s3, s7
	s_addc_u32 s4, s6, 0
	s_mul_i32 s2, s1, s2
	s_add_u32 s2, s3, s2
	s_addc_u32 s3, 0, s4
	s_add_u32 s4, s2, 1
	s_addc_u32 s5, s3, 0
	s_add_u32 s6, s2, 2
	s_mul_i32 s8, s3, 10
	s_mul_hi_u32 s9, s2, 10
	s_addc_u32 s7, s3, 0
	s_add_i32 s9, s9, s8
	s_mul_i32 s8, s2, 10
	v_mov_b32_e32 v2, s8
	v_sub_co_u32_e32 v2, vcc, s0, v2
	s_cmp_lg_u64 vcc, 0
	s_subb_u32 s8, s1, s9
	v_subrev_co_u32_e32 v3, vcc, 10, v2
	s_cmp_lg_u64 vcc, 0
	s_subb_u32 s9, s8, 0
	v_readfirstlane_b32 s12, v3
	s_cmp_gt_u32 s12, 9
	s_cselect_b32 s12, -1, 0
	s_cmp_eq_u32 s9, 0
	s_cselect_b32 s9, s12, -1
	s_cmp_lg_u32 s9, 0
	s_cselect_b32 s4, s6, s4
	v_readfirstlane_b32 s6, v2
	s_cselect_b32 s5, s7, s5
	s_cmp_gt_u32 s6, 9
	s_cselect_b32 s6, -1, 0
	s_cmp_eq_u32 s8, 0
	s_cselect_b32 s6, s6, -1
	s_cmp_lg_u32 s6, 0
	v_mov_b32_e32 v1, 0
	s_cselect_b32 s3, s5, s3
	s_cselect_b32 s2, s4, s2
	v_cmp_eq_u64_e32 vcc, s[2:3], v[0:1]
	s_and_saveexec_b64 s[2:3], vcc
	s_cbranch_execz .LBB3946_105
; %bb.72:
	s_movk_i32 s2, 0xffdc
	v_mad_i32_i24 v2, v0, s2, v23
	v_mul_hi_u32_u24_e32 v1, 10, v0
	v_mov_b32_e32 v3, s1
	v_sub_co_u32_e32 v0, vcc, s0, v22
	v_subb_co_u32_e32 v1, vcc, v3, v1, vcc
	v_cmp_lt_i64_e32 vcc, 4, v[0:1]
	s_and_saveexec_b64 s[0:1], vcc
	s_xor_b64 s[0:1], exec, s[0:1]
	s_cbranch_execz .LBB3946_90
; %bb.73:
	v_cmp_lt_i64_e32 vcc, 6, v[0:1]
	s_and_saveexec_b64 s[2:3], vcc
	s_xor_b64 s[2:3], exec, s[2:3]
	s_cbranch_execz .LBB3946_83
; %bb.74:
	;; [unrolled: 5-line block ×4, first 2 shown]
	ds_read_b32 v0, v2 offset:4608
	v_mov_b32_e32 v1, 0
                                        ; implicit-def: $vgpr2
	s_waitcnt lgkmcnt(0)
	global_store_dword v1, v0, s[10:11]
.LBB3946_77:
	s_andn2_saveexec_b64 s[6:7], s[6:7]
	s_cbranch_execz .LBB3946_79
; %bb.78:
	ds_read_b32 v0, v2 offset:4096
	v_mov_b32_e32 v1, 0
	s_waitcnt lgkmcnt(0)
	global_store_dword v1, v0, s[10:11]
.LBB3946_79:
	s_or_b64 exec, exec, s[6:7]
                                        ; implicit-def: $vgpr2
.LBB3946_80:
	s_andn2_saveexec_b64 s[4:5], s[4:5]
	s_cbranch_execz .LBB3946_82
; %bb.81:
	ds_read_b32 v0, v2 offset:3584
	v_mov_b32_e32 v1, 0
	s_waitcnt lgkmcnt(0)
	global_store_dword v1, v0, s[10:11]
.LBB3946_82:
	s_or_b64 exec, exec, s[4:5]
                                        ; implicit-def: $vgpr2
                                        ; implicit-def: $vgpr0_vgpr1
.LBB3946_83:
	s_andn2_saveexec_b64 s[2:3], s[2:3]
	s_cbranch_execz .LBB3946_89
; %bb.84:
	v_cmp_lt_i64_e32 vcc, 5, v[0:1]
	s_and_saveexec_b64 s[4:5], vcc
	s_xor_b64 s[4:5], exec, s[4:5]
	s_cbranch_execz .LBB3946_86
; %bb.85:
	ds_read_b32 v0, v2 offset:3072
	v_mov_b32_e32 v1, 0
                                        ; implicit-def: $vgpr2
	s_waitcnt lgkmcnt(0)
	global_store_dword v1, v0, s[10:11]
.LBB3946_86:
	s_andn2_saveexec_b64 s[4:5], s[4:5]
	s_cbranch_execz .LBB3946_88
; %bb.87:
	ds_read_b32 v0, v2 offset:2560
	v_mov_b32_e32 v1, 0
	s_waitcnt lgkmcnt(0)
	global_store_dword v1, v0, s[10:11]
.LBB3946_88:
	s_or_b64 exec, exec, s[4:5]
.LBB3946_89:
	s_or_b64 exec, exec, s[2:3]
                                        ; implicit-def: $vgpr0_vgpr1
                                        ; implicit-def: $vgpr2
.LBB3946_90:
	s_andn2_saveexec_b64 s[0:1], s[0:1]
	s_cbranch_execz .LBB3946_105
; %bb.91:
	v_cmp_lt_i64_e32 vcc, 2, v[0:1]
	s_and_saveexec_b64 s[0:1], vcc
	s_xor_b64 s[0:1], exec, s[0:1]
	s_cbranch_execz .LBB3946_97
; %bb.92:
	v_cmp_lt_i64_e32 vcc, 3, v[0:1]
	s_and_saveexec_b64 s[2:3], vcc
	s_xor_b64 s[2:3], exec, s[2:3]
	s_cbranch_execz .LBB3946_94
; %bb.93:
	ds_read_b32 v0, v2 offset:2048
	v_mov_b32_e32 v1, 0
                                        ; implicit-def: $vgpr2
	s_waitcnt lgkmcnt(0)
	global_store_dword v1, v0, s[10:11]
.LBB3946_94:
	s_andn2_saveexec_b64 s[2:3], s[2:3]
	s_cbranch_execz .LBB3946_96
; %bb.95:
	ds_read_b32 v0, v2 offset:1536
	v_mov_b32_e32 v1, 0
	s_waitcnt lgkmcnt(0)
	global_store_dword v1, v0, s[10:11]
.LBB3946_96:
	s_or_b64 exec, exec, s[2:3]
                                        ; implicit-def: $vgpr0_vgpr1
                                        ; implicit-def: $vgpr2
.LBB3946_97:
	s_andn2_saveexec_b64 s[0:1], s[0:1]
	s_cbranch_execz .LBB3946_105
; %bb.98:
	v_cmp_lt_i64_e32 vcc, 1, v[0:1]
	s_and_saveexec_b64 s[0:1], vcc
	s_xor_b64 s[0:1], exec, s[0:1]
	s_cbranch_execz .LBB3946_100
; %bb.99:
	ds_read_b32 v0, v2 offset:1024
	v_mov_b32_e32 v1, 0
                                        ; implicit-def: $vgpr2
	s_waitcnt lgkmcnt(0)
	global_store_dword v1, v0, s[10:11]
                                        ; implicit-def: $vgpr0_vgpr1
.LBB3946_100:
	s_andn2_saveexec_b64 s[0:1], s[0:1]
	s_cbranch_execz .LBB3946_105
; %bb.101:
	v_cmp_ne_u64_e32 vcc, 1, v[0:1]
	s_and_saveexec_b64 s[0:1], vcc
	s_xor_b64 s[0:1], exec, s[0:1]
	s_cbranch_execz .LBB3946_103
; %bb.102:
	ds_read_b32 v0, v2
	v_mov_b32_e32 v1, 0
                                        ; implicit-def: $vgpr2
	s_waitcnt lgkmcnt(0)
	global_store_dword v1, v0, s[10:11]
.LBB3946_103:
	s_andn2_saveexec_b64 s[0:1], s[0:1]
	s_cbranch_execz .LBB3946_105
; %bb.104:
	ds_read_b32 v0, v2 offset:512
	v_mov_b32_e32 v1, 0
	s_waitcnt lgkmcnt(0)
	global_store_dword v1, v0, s[10:11]
.LBB3946_105:
	s_endpgm
	.section	.rodata,"a",@progbits
	.p2align	6, 0x0
	.amdhsa_kernel _ZN7rocprim17ROCPRIM_400000_NS6detail17trampoline_kernelINS0_14default_configENS1_20scan_config_selectorIiEEZZNS1_9scan_implILNS1_25lookback_scan_determinismE0ELb1ELb1ES3_N6thrust23THRUST_200600_302600_NS6detail15normal_iteratorINS9_10device_ptrIiEEEENS9_16discard_iteratorINS9_11use_defaultEEEi11max_functorIiEiEEDaPvRmT3_T4_T5_mT6_P12ihipStream_tbENKUlT_T0_E_clISt17integral_constantIbLb1EESX_EEDaSS_ST_EUlSS_E_NS1_11comp_targetILNS1_3genE4ELNS1_11target_archE910ELNS1_3gpuE8ELNS1_3repE0EEENS1_30default_config_static_selectorELNS0_4arch9wavefront6targetE1EEEvT1_
		.amdhsa_group_segment_fixed_size 5120
		.amdhsa_private_segment_fixed_size 0
		.amdhsa_kernarg_size 104
		.amdhsa_user_sgpr_count 6
		.amdhsa_user_sgpr_private_segment_buffer 1
		.amdhsa_user_sgpr_dispatch_ptr 0
		.amdhsa_user_sgpr_queue_ptr 0
		.amdhsa_user_sgpr_kernarg_segment_ptr 1
		.amdhsa_user_sgpr_dispatch_id 0
		.amdhsa_user_sgpr_flat_scratch_init 0
		.amdhsa_user_sgpr_kernarg_preload_length 0
		.amdhsa_user_sgpr_kernarg_preload_offset 0
		.amdhsa_user_sgpr_private_segment_size 0
		.amdhsa_uses_dynamic_stack 0
		.amdhsa_system_sgpr_private_segment_wavefront_offset 0
		.amdhsa_system_sgpr_workgroup_id_x 1
		.amdhsa_system_sgpr_workgroup_id_y 0
		.amdhsa_system_sgpr_workgroup_id_z 0
		.amdhsa_system_sgpr_workgroup_info 0
		.amdhsa_system_vgpr_workitem_id 0
		.amdhsa_next_free_vgpr 40
		.amdhsa_next_free_sgpr 36
		.amdhsa_accum_offset 40
		.amdhsa_reserve_vcc 1
		.amdhsa_reserve_flat_scratch 0
		.amdhsa_float_round_mode_32 0
		.amdhsa_float_round_mode_16_64 0
		.amdhsa_float_denorm_mode_32 3
		.amdhsa_float_denorm_mode_16_64 3
		.amdhsa_dx10_clamp 1
		.amdhsa_ieee_mode 1
		.amdhsa_fp16_overflow 0
		.amdhsa_tg_split 0
		.amdhsa_exception_fp_ieee_invalid_op 0
		.amdhsa_exception_fp_denorm_src 0
		.amdhsa_exception_fp_ieee_div_zero 0
		.amdhsa_exception_fp_ieee_overflow 0
		.amdhsa_exception_fp_ieee_underflow 0
		.amdhsa_exception_fp_ieee_inexact 0
		.amdhsa_exception_int_div_zero 0
	.end_amdhsa_kernel
	.section	.text._ZN7rocprim17ROCPRIM_400000_NS6detail17trampoline_kernelINS0_14default_configENS1_20scan_config_selectorIiEEZZNS1_9scan_implILNS1_25lookback_scan_determinismE0ELb1ELb1ES3_N6thrust23THRUST_200600_302600_NS6detail15normal_iteratorINS9_10device_ptrIiEEEENS9_16discard_iteratorINS9_11use_defaultEEEi11max_functorIiEiEEDaPvRmT3_T4_T5_mT6_P12ihipStream_tbENKUlT_T0_E_clISt17integral_constantIbLb1EESX_EEDaSS_ST_EUlSS_E_NS1_11comp_targetILNS1_3genE4ELNS1_11target_archE910ELNS1_3gpuE8ELNS1_3repE0EEENS1_30default_config_static_selectorELNS0_4arch9wavefront6targetE1EEEvT1_,"axG",@progbits,_ZN7rocprim17ROCPRIM_400000_NS6detail17trampoline_kernelINS0_14default_configENS1_20scan_config_selectorIiEEZZNS1_9scan_implILNS1_25lookback_scan_determinismE0ELb1ELb1ES3_N6thrust23THRUST_200600_302600_NS6detail15normal_iteratorINS9_10device_ptrIiEEEENS9_16discard_iteratorINS9_11use_defaultEEEi11max_functorIiEiEEDaPvRmT3_T4_T5_mT6_P12ihipStream_tbENKUlT_T0_E_clISt17integral_constantIbLb1EESX_EEDaSS_ST_EUlSS_E_NS1_11comp_targetILNS1_3genE4ELNS1_11target_archE910ELNS1_3gpuE8ELNS1_3repE0EEENS1_30default_config_static_selectorELNS0_4arch9wavefront6targetE1EEEvT1_,comdat
.Lfunc_end3946:
	.size	_ZN7rocprim17ROCPRIM_400000_NS6detail17trampoline_kernelINS0_14default_configENS1_20scan_config_selectorIiEEZZNS1_9scan_implILNS1_25lookback_scan_determinismE0ELb1ELb1ES3_N6thrust23THRUST_200600_302600_NS6detail15normal_iteratorINS9_10device_ptrIiEEEENS9_16discard_iteratorINS9_11use_defaultEEEi11max_functorIiEiEEDaPvRmT3_T4_T5_mT6_P12ihipStream_tbENKUlT_T0_E_clISt17integral_constantIbLb1EESX_EEDaSS_ST_EUlSS_E_NS1_11comp_targetILNS1_3genE4ELNS1_11target_archE910ELNS1_3gpuE8ELNS1_3repE0EEENS1_30default_config_static_selectorELNS0_4arch9wavefront6targetE1EEEvT1_, .Lfunc_end3946-_ZN7rocprim17ROCPRIM_400000_NS6detail17trampoline_kernelINS0_14default_configENS1_20scan_config_selectorIiEEZZNS1_9scan_implILNS1_25lookback_scan_determinismE0ELb1ELb1ES3_N6thrust23THRUST_200600_302600_NS6detail15normal_iteratorINS9_10device_ptrIiEEEENS9_16discard_iteratorINS9_11use_defaultEEEi11max_functorIiEiEEDaPvRmT3_T4_T5_mT6_P12ihipStream_tbENKUlT_T0_E_clISt17integral_constantIbLb1EESX_EEDaSS_ST_EUlSS_E_NS1_11comp_targetILNS1_3genE4ELNS1_11target_archE910ELNS1_3gpuE8ELNS1_3repE0EEENS1_30default_config_static_selectorELNS0_4arch9wavefront6targetE1EEEvT1_
                                        ; -- End function
	.section	.AMDGPU.csdata,"",@progbits
; Kernel info:
; codeLenInByte = 4008
; NumSgprs: 40
; NumVgprs: 40
; NumAgprs: 0
; TotalNumVgprs: 40
; ScratchSize: 0
; MemoryBound: 0
; FloatMode: 240
; IeeeMode: 1
; LDSByteSize: 5120 bytes/workgroup (compile time only)
; SGPRBlocks: 4
; VGPRBlocks: 4
; NumSGPRsForWavesPerEU: 40
; NumVGPRsForWavesPerEU: 40
; AccumOffset: 40
; Occupancy: 6
; WaveLimiterHint : 1
; COMPUTE_PGM_RSRC2:SCRATCH_EN: 0
; COMPUTE_PGM_RSRC2:USER_SGPR: 6
; COMPUTE_PGM_RSRC2:TRAP_HANDLER: 0
; COMPUTE_PGM_RSRC2:TGID_X_EN: 1
; COMPUTE_PGM_RSRC2:TGID_Y_EN: 0
; COMPUTE_PGM_RSRC2:TGID_Z_EN: 0
; COMPUTE_PGM_RSRC2:TIDIG_COMP_CNT: 0
; COMPUTE_PGM_RSRC3_GFX90A:ACCUM_OFFSET: 9
; COMPUTE_PGM_RSRC3_GFX90A:TG_SPLIT: 0
	.section	.text._ZN7rocprim17ROCPRIM_400000_NS6detail17trampoline_kernelINS0_14default_configENS1_20scan_config_selectorIiEEZZNS1_9scan_implILNS1_25lookback_scan_determinismE0ELb1ELb1ES3_N6thrust23THRUST_200600_302600_NS6detail15normal_iteratorINS9_10device_ptrIiEEEENS9_16discard_iteratorINS9_11use_defaultEEEi11max_functorIiEiEEDaPvRmT3_T4_T5_mT6_P12ihipStream_tbENKUlT_T0_E_clISt17integral_constantIbLb1EESX_EEDaSS_ST_EUlSS_E_NS1_11comp_targetILNS1_3genE3ELNS1_11target_archE908ELNS1_3gpuE7ELNS1_3repE0EEENS1_30default_config_static_selectorELNS0_4arch9wavefront6targetE1EEEvT1_,"axG",@progbits,_ZN7rocprim17ROCPRIM_400000_NS6detail17trampoline_kernelINS0_14default_configENS1_20scan_config_selectorIiEEZZNS1_9scan_implILNS1_25lookback_scan_determinismE0ELb1ELb1ES3_N6thrust23THRUST_200600_302600_NS6detail15normal_iteratorINS9_10device_ptrIiEEEENS9_16discard_iteratorINS9_11use_defaultEEEi11max_functorIiEiEEDaPvRmT3_T4_T5_mT6_P12ihipStream_tbENKUlT_T0_E_clISt17integral_constantIbLb1EESX_EEDaSS_ST_EUlSS_E_NS1_11comp_targetILNS1_3genE3ELNS1_11target_archE908ELNS1_3gpuE7ELNS1_3repE0EEENS1_30default_config_static_selectorELNS0_4arch9wavefront6targetE1EEEvT1_,comdat
	.protected	_ZN7rocprim17ROCPRIM_400000_NS6detail17trampoline_kernelINS0_14default_configENS1_20scan_config_selectorIiEEZZNS1_9scan_implILNS1_25lookback_scan_determinismE0ELb1ELb1ES3_N6thrust23THRUST_200600_302600_NS6detail15normal_iteratorINS9_10device_ptrIiEEEENS9_16discard_iteratorINS9_11use_defaultEEEi11max_functorIiEiEEDaPvRmT3_T4_T5_mT6_P12ihipStream_tbENKUlT_T0_E_clISt17integral_constantIbLb1EESX_EEDaSS_ST_EUlSS_E_NS1_11comp_targetILNS1_3genE3ELNS1_11target_archE908ELNS1_3gpuE7ELNS1_3repE0EEENS1_30default_config_static_selectorELNS0_4arch9wavefront6targetE1EEEvT1_ ; -- Begin function _ZN7rocprim17ROCPRIM_400000_NS6detail17trampoline_kernelINS0_14default_configENS1_20scan_config_selectorIiEEZZNS1_9scan_implILNS1_25lookback_scan_determinismE0ELb1ELb1ES3_N6thrust23THRUST_200600_302600_NS6detail15normal_iteratorINS9_10device_ptrIiEEEENS9_16discard_iteratorINS9_11use_defaultEEEi11max_functorIiEiEEDaPvRmT3_T4_T5_mT6_P12ihipStream_tbENKUlT_T0_E_clISt17integral_constantIbLb1EESX_EEDaSS_ST_EUlSS_E_NS1_11comp_targetILNS1_3genE3ELNS1_11target_archE908ELNS1_3gpuE7ELNS1_3repE0EEENS1_30default_config_static_selectorELNS0_4arch9wavefront6targetE1EEEvT1_
	.globl	_ZN7rocprim17ROCPRIM_400000_NS6detail17trampoline_kernelINS0_14default_configENS1_20scan_config_selectorIiEEZZNS1_9scan_implILNS1_25lookback_scan_determinismE0ELb1ELb1ES3_N6thrust23THRUST_200600_302600_NS6detail15normal_iteratorINS9_10device_ptrIiEEEENS9_16discard_iteratorINS9_11use_defaultEEEi11max_functorIiEiEEDaPvRmT3_T4_T5_mT6_P12ihipStream_tbENKUlT_T0_E_clISt17integral_constantIbLb1EESX_EEDaSS_ST_EUlSS_E_NS1_11comp_targetILNS1_3genE3ELNS1_11target_archE908ELNS1_3gpuE7ELNS1_3repE0EEENS1_30default_config_static_selectorELNS0_4arch9wavefront6targetE1EEEvT1_
	.p2align	8
	.type	_ZN7rocprim17ROCPRIM_400000_NS6detail17trampoline_kernelINS0_14default_configENS1_20scan_config_selectorIiEEZZNS1_9scan_implILNS1_25lookback_scan_determinismE0ELb1ELb1ES3_N6thrust23THRUST_200600_302600_NS6detail15normal_iteratorINS9_10device_ptrIiEEEENS9_16discard_iteratorINS9_11use_defaultEEEi11max_functorIiEiEEDaPvRmT3_T4_T5_mT6_P12ihipStream_tbENKUlT_T0_E_clISt17integral_constantIbLb1EESX_EEDaSS_ST_EUlSS_E_NS1_11comp_targetILNS1_3genE3ELNS1_11target_archE908ELNS1_3gpuE7ELNS1_3repE0EEENS1_30default_config_static_selectorELNS0_4arch9wavefront6targetE1EEEvT1_,@function
_ZN7rocprim17ROCPRIM_400000_NS6detail17trampoline_kernelINS0_14default_configENS1_20scan_config_selectorIiEEZZNS1_9scan_implILNS1_25lookback_scan_determinismE0ELb1ELb1ES3_N6thrust23THRUST_200600_302600_NS6detail15normal_iteratorINS9_10device_ptrIiEEEENS9_16discard_iteratorINS9_11use_defaultEEEi11max_functorIiEiEEDaPvRmT3_T4_T5_mT6_P12ihipStream_tbENKUlT_T0_E_clISt17integral_constantIbLb1EESX_EEDaSS_ST_EUlSS_E_NS1_11comp_targetILNS1_3genE3ELNS1_11target_archE908ELNS1_3gpuE7ELNS1_3repE0EEENS1_30default_config_static_selectorELNS0_4arch9wavefront6targetE1EEEvT1_: ; @_ZN7rocprim17ROCPRIM_400000_NS6detail17trampoline_kernelINS0_14default_configENS1_20scan_config_selectorIiEEZZNS1_9scan_implILNS1_25lookback_scan_determinismE0ELb1ELb1ES3_N6thrust23THRUST_200600_302600_NS6detail15normal_iteratorINS9_10device_ptrIiEEEENS9_16discard_iteratorINS9_11use_defaultEEEi11max_functorIiEiEEDaPvRmT3_T4_T5_mT6_P12ihipStream_tbENKUlT_T0_E_clISt17integral_constantIbLb1EESX_EEDaSS_ST_EUlSS_E_NS1_11comp_targetILNS1_3genE3ELNS1_11target_archE908ELNS1_3gpuE7ELNS1_3repE0EEENS1_30default_config_static_selectorELNS0_4arch9wavefront6targetE1EEEvT1_
; %bb.0:
	.section	.rodata,"a",@progbits
	.p2align	6, 0x0
	.amdhsa_kernel _ZN7rocprim17ROCPRIM_400000_NS6detail17trampoline_kernelINS0_14default_configENS1_20scan_config_selectorIiEEZZNS1_9scan_implILNS1_25lookback_scan_determinismE0ELb1ELb1ES3_N6thrust23THRUST_200600_302600_NS6detail15normal_iteratorINS9_10device_ptrIiEEEENS9_16discard_iteratorINS9_11use_defaultEEEi11max_functorIiEiEEDaPvRmT3_T4_T5_mT6_P12ihipStream_tbENKUlT_T0_E_clISt17integral_constantIbLb1EESX_EEDaSS_ST_EUlSS_E_NS1_11comp_targetILNS1_3genE3ELNS1_11target_archE908ELNS1_3gpuE7ELNS1_3repE0EEENS1_30default_config_static_selectorELNS0_4arch9wavefront6targetE1EEEvT1_
		.amdhsa_group_segment_fixed_size 0
		.amdhsa_private_segment_fixed_size 0
		.amdhsa_kernarg_size 104
		.amdhsa_user_sgpr_count 6
		.amdhsa_user_sgpr_private_segment_buffer 1
		.amdhsa_user_sgpr_dispatch_ptr 0
		.amdhsa_user_sgpr_queue_ptr 0
		.amdhsa_user_sgpr_kernarg_segment_ptr 1
		.amdhsa_user_sgpr_dispatch_id 0
		.amdhsa_user_sgpr_flat_scratch_init 0
		.amdhsa_user_sgpr_kernarg_preload_length 0
		.amdhsa_user_sgpr_kernarg_preload_offset 0
		.amdhsa_user_sgpr_private_segment_size 0
		.amdhsa_uses_dynamic_stack 0
		.amdhsa_system_sgpr_private_segment_wavefront_offset 0
		.amdhsa_system_sgpr_workgroup_id_x 1
		.amdhsa_system_sgpr_workgroup_id_y 0
		.amdhsa_system_sgpr_workgroup_id_z 0
		.amdhsa_system_sgpr_workgroup_info 0
		.amdhsa_system_vgpr_workitem_id 0
		.amdhsa_next_free_vgpr 1
		.amdhsa_next_free_sgpr 0
		.amdhsa_accum_offset 4
		.amdhsa_reserve_vcc 0
		.amdhsa_reserve_flat_scratch 0
		.amdhsa_float_round_mode_32 0
		.amdhsa_float_round_mode_16_64 0
		.amdhsa_float_denorm_mode_32 3
		.amdhsa_float_denorm_mode_16_64 3
		.amdhsa_dx10_clamp 1
		.amdhsa_ieee_mode 1
		.amdhsa_fp16_overflow 0
		.amdhsa_tg_split 0
		.amdhsa_exception_fp_ieee_invalid_op 0
		.amdhsa_exception_fp_denorm_src 0
		.amdhsa_exception_fp_ieee_div_zero 0
		.amdhsa_exception_fp_ieee_overflow 0
		.amdhsa_exception_fp_ieee_underflow 0
		.amdhsa_exception_fp_ieee_inexact 0
		.amdhsa_exception_int_div_zero 0
	.end_amdhsa_kernel
	.section	.text._ZN7rocprim17ROCPRIM_400000_NS6detail17trampoline_kernelINS0_14default_configENS1_20scan_config_selectorIiEEZZNS1_9scan_implILNS1_25lookback_scan_determinismE0ELb1ELb1ES3_N6thrust23THRUST_200600_302600_NS6detail15normal_iteratorINS9_10device_ptrIiEEEENS9_16discard_iteratorINS9_11use_defaultEEEi11max_functorIiEiEEDaPvRmT3_T4_T5_mT6_P12ihipStream_tbENKUlT_T0_E_clISt17integral_constantIbLb1EESX_EEDaSS_ST_EUlSS_E_NS1_11comp_targetILNS1_3genE3ELNS1_11target_archE908ELNS1_3gpuE7ELNS1_3repE0EEENS1_30default_config_static_selectorELNS0_4arch9wavefront6targetE1EEEvT1_,"axG",@progbits,_ZN7rocprim17ROCPRIM_400000_NS6detail17trampoline_kernelINS0_14default_configENS1_20scan_config_selectorIiEEZZNS1_9scan_implILNS1_25lookback_scan_determinismE0ELb1ELb1ES3_N6thrust23THRUST_200600_302600_NS6detail15normal_iteratorINS9_10device_ptrIiEEEENS9_16discard_iteratorINS9_11use_defaultEEEi11max_functorIiEiEEDaPvRmT3_T4_T5_mT6_P12ihipStream_tbENKUlT_T0_E_clISt17integral_constantIbLb1EESX_EEDaSS_ST_EUlSS_E_NS1_11comp_targetILNS1_3genE3ELNS1_11target_archE908ELNS1_3gpuE7ELNS1_3repE0EEENS1_30default_config_static_selectorELNS0_4arch9wavefront6targetE1EEEvT1_,comdat
.Lfunc_end3947:
	.size	_ZN7rocprim17ROCPRIM_400000_NS6detail17trampoline_kernelINS0_14default_configENS1_20scan_config_selectorIiEEZZNS1_9scan_implILNS1_25lookback_scan_determinismE0ELb1ELb1ES3_N6thrust23THRUST_200600_302600_NS6detail15normal_iteratorINS9_10device_ptrIiEEEENS9_16discard_iteratorINS9_11use_defaultEEEi11max_functorIiEiEEDaPvRmT3_T4_T5_mT6_P12ihipStream_tbENKUlT_T0_E_clISt17integral_constantIbLb1EESX_EEDaSS_ST_EUlSS_E_NS1_11comp_targetILNS1_3genE3ELNS1_11target_archE908ELNS1_3gpuE7ELNS1_3repE0EEENS1_30default_config_static_selectorELNS0_4arch9wavefront6targetE1EEEvT1_, .Lfunc_end3947-_ZN7rocprim17ROCPRIM_400000_NS6detail17trampoline_kernelINS0_14default_configENS1_20scan_config_selectorIiEEZZNS1_9scan_implILNS1_25lookback_scan_determinismE0ELb1ELb1ES3_N6thrust23THRUST_200600_302600_NS6detail15normal_iteratorINS9_10device_ptrIiEEEENS9_16discard_iteratorINS9_11use_defaultEEEi11max_functorIiEiEEDaPvRmT3_T4_T5_mT6_P12ihipStream_tbENKUlT_T0_E_clISt17integral_constantIbLb1EESX_EEDaSS_ST_EUlSS_E_NS1_11comp_targetILNS1_3genE3ELNS1_11target_archE908ELNS1_3gpuE7ELNS1_3repE0EEENS1_30default_config_static_selectorELNS0_4arch9wavefront6targetE1EEEvT1_
                                        ; -- End function
	.section	.AMDGPU.csdata,"",@progbits
; Kernel info:
; codeLenInByte = 0
; NumSgprs: 4
; NumVgprs: 0
; NumAgprs: 0
; TotalNumVgprs: 0
; ScratchSize: 0
; MemoryBound: 0
; FloatMode: 240
; IeeeMode: 1
; LDSByteSize: 0 bytes/workgroup (compile time only)
; SGPRBlocks: 0
; VGPRBlocks: 0
; NumSGPRsForWavesPerEU: 4
; NumVGPRsForWavesPerEU: 1
; AccumOffset: 4
; Occupancy: 8
; WaveLimiterHint : 0
; COMPUTE_PGM_RSRC2:SCRATCH_EN: 0
; COMPUTE_PGM_RSRC2:USER_SGPR: 6
; COMPUTE_PGM_RSRC2:TRAP_HANDLER: 0
; COMPUTE_PGM_RSRC2:TGID_X_EN: 1
; COMPUTE_PGM_RSRC2:TGID_Y_EN: 0
; COMPUTE_PGM_RSRC2:TGID_Z_EN: 0
; COMPUTE_PGM_RSRC2:TIDIG_COMP_CNT: 0
; COMPUTE_PGM_RSRC3_GFX90A:ACCUM_OFFSET: 0
; COMPUTE_PGM_RSRC3_GFX90A:TG_SPLIT: 0
	.section	.text._ZN7rocprim17ROCPRIM_400000_NS6detail17trampoline_kernelINS0_14default_configENS1_20scan_config_selectorIiEEZZNS1_9scan_implILNS1_25lookback_scan_determinismE0ELb1ELb1ES3_N6thrust23THRUST_200600_302600_NS6detail15normal_iteratorINS9_10device_ptrIiEEEENS9_16discard_iteratorINS9_11use_defaultEEEi11max_functorIiEiEEDaPvRmT3_T4_T5_mT6_P12ihipStream_tbENKUlT_T0_E_clISt17integral_constantIbLb1EESX_EEDaSS_ST_EUlSS_E_NS1_11comp_targetILNS1_3genE2ELNS1_11target_archE906ELNS1_3gpuE6ELNS1_3repE0EEENS1_30default_config_static_selectorELNS0_4arch9wavefront6targetE1EEEvT1_,"axG",@progbits,_ZN7rocprim17ROCPRIM_400000_NS6detail17trampoline_kernelINS0_14default_configENS1_20scan_config_selectorIiEEZZNS1_9scan_implILNS1_25lookback_scan_determinismE0ELb1ELb1ES3_N6thrust23THRUST_200600_302600_NS6detail15normal_iteratorINS9_10device_ptrIiEEEENS9_16discard_iteratorINS9_11use_defaultEEEi11max_functorIiEiEEDaPvRmT3_T4_T5_mT6_P12ihipStream_tbENKUlT_T0_E_clISt17integral_constantIbLb1EESX_EEDaSS_ST_EUlSS_E_NS1_11comp_targetILNS1_3genE2ELNS1_11target_archE906ELNS1_3gpuE6ELNS1_3repE0EEENS1_30default_config_static_selectorELNS0_4arch9wavefront6targetE1EEEvT1_,comdat
	.protected	_ZN7rocprim17ROCPRIM_400000_NS6detail17trampoline_kernelINS0_14default_configENS1_20scan_config_selectorIiEEZZNS1_9scan_implILNS1_25lookback_scan_determinismE0ELb1ELb1ES3_N6thrust23THRUST_200600_302600_NS6detail15normal_iteratorINS9_10device_ptrIiEEEENS9_16discard_iteratorINS9_11use_defaultEEEi11max_functorIiEiEEDaPvRmT3_T4_T5_mT6_P12ihipStream_tbENKUlT_T0_E_clISt17integral_constantIbLb1EESX_EEDaSS_ST_EUlSS_E_NS1_11comp_targetILNS1_3genE2ELNS1_11target_archE906ELNS1_3gpuE6ELNS1_3repE0EEENS1_30default_config_static_selectorELNS0_4arch9wavefront6targetE1EEEvT1_ ; -- Begin function _ZN7rocprim17ROCPRIM_400000_NS6detail17trampoline_kernelINS0_14default_configENS1_20scan_config_selectorIiEEZZNS1_9scan_implILNS1_25lookback_scan_determinismE0ELb1ELb1ES3_N6thrust23THRUST_200600_302600_NS6detail15normal_iteratorINS9_10device_ptrIiEEEENS9_16discard_iteratorINS9_11use_defaultEEEi11max_functorIiEiEEDaPvRmT3_T4_T5_mT6_P12ihipStream_tbENKUlT_T0_E_clISt17integral_constantIbLb1EESX_EEDaSS_ST_EUlSS_E_NS1_11comp_targetILNS1_3genE2ELNS1_11target_archE906ELNS1_3gpuE6ELNS1_3repE0EEENS1_30default_config_static_selectorELNS0_4arch9wavefront6targetE1EEEvT1_
	.globl	_ZN7rocprim17ROCPRIM_400000_NS6detail17trampoline_kernelINS0_14default_configENS1_20scan_config_selectorIiEEZZNS1_9scan_implILNS1_25lookback_scan_determinismE0ELb1ELb1ES3_N6thrust23THRUST_200600_302600_NS6detail15normal_iteratorINS9_10device_ptrIiEEEENS9_16discard_iteratorINS9_11use_defaultEEEi11max_functorIiEiEEDaPvRmT3_T4_T5_mT6_P12ihipStream_tbENKUlT_T0_E_clISt17integral_constantIbLb1EESX_EEDaSS_ST_EUlSS_E_NS1_11comp_targetILNS1_3genE2ELNS1_11target_archE906ELNS1_3gpuE6ELNS1_3repE0EEENS1_30default_config_static_selectorELNS0_4arch9wavefront6targetE1EEEvT1_
	.p2align	8
	.type	_ZN7rocprim17ROCPRIM_400000_NS6detail17trampoline_kernelINS0_14default_configENS1_20scan_config_selectorIiEEZZNS1_9scan_implILNS1_25lookback_scan_determinismE0ELb1ELb1ES3_N6thrust23THRUST_200600_302600_NS6detail15normal_iteratorINS9_10device_ptrIiEEEENS9_16discard_iteratorINS9_11use_defaultEEEi11max_functorIiEiEEDaPvRmT3_T4_T5_mT6_P12ihipStream_tbENKUlT_T0_E_clISt17integral_constantIbLb1EESX_EEDaSS_ST_EUlSS_E_NS1_11comp_targetILNS1_3genE2ELNS1_11target_archE906ELNS1_3gpuE6ELNS1_3repE0EEENS1_30default_config_static_selectorELNS0_4arch9wavefront6targetE1EEEvT1_,@function
_ZN7rocprim17ROCPRIM_400000_NS6detail17trampoline_kernelINS0_14default_configENS1_20scan_config_selectorIiEEZZNS1_9scan_implILNS1_25lookback_scan_determinismE0ELb1ELb1ES3_N6thrust23THRUST_200600_302600_NS6detail15normal_iteratorINS9_10device_ptrIiEEEENS9_16discard_iteratorINS9_11use_defaultEEEi11max_functorIiEiEEDaPvRmT3_T4_T5_mT6_P12ihipStream_tbENKUlT_T0_E_clISt17integral_constantIbLb1EESX_EEDaSS_ST_EUlSS_E_NS1_11comp_targetILNS1_3genE2ELNS1_11target_archE906ELNS1_3gpuE6ELNS1_3repE0EEENS1_30default_config_static_selectorELNS0_4arch9wavefront6targetE1EEEvT1_: ; @_ZN7rocprim17ROCPRIM_400000_NS6detail17trampoline_kernelINS0_14default_configENS1_20scan_config_selectorIiEEZZNS1_9scan_implILNS1_25lookback_scan_determinismE0ELb1ELb1ES3_N6thrust23THRUST_200600_302600_NS6detail15normal_iteratorINS9_10device_ptrIiEEEENS9_16discard_iteratorINS9_11use_defaultEEEi11max_functorIiEiEEDaPvRmT3_T4_T5_mT6_P12ihipStream_tbENKUlT_T0_E_clISt17integral_constantIbLb1EESX_EEDaSS_ST_EUlSS_E_NS1_11comp_targetILNS1_3genE2ELNS1_11target_archE906ELNS1_3gpuE6ELNS1_3repE0EEENS1_30default_config_static_selectorELNS0_4arch9wavefront6targetE1EEEvT1_
; %bb.0:
	.section	.rodata,"a",@progbits
	.p2align	6, 0x0
	.amdhsa_kernel _ZN7rocprim17ROCPRIM_400000_NS6detail17trampoline_kernelINS0_14default_configENS1_20scan_config_selectorIiEEZZNS1_9scan_implILNS1_25lookback_scan_determinismE0ELb1ELb1ES3_N6thrust23THRUST_200600_302600_NS6detail15normal_iteratorINS9_10device_ptrIiEEEENS9_16discard_iteratorINS9_11use_defaultEEEi11max_functorIiEiEEDaPvRmT3_T4_T5_mT6_P12ihipStream_tbENKUlT_T0_E_clISt17integral_constantIbLb1EESX_EEDaSS_ST_EUlSS_E_NS1_11comp_targetILNS1_3genE2ELNS1_11target_archE906ELNS1_3gpuE6ELNS1_3repE0EEENS1_30default_config_static_selectorELNS0_4arch9wavefront6targetE1EEEvT1_
		.amdhsa_group_segment_fixed_size 0
		.amdhsa_private_segment_fixed_size 0
		.amdhsa_kernarg_size 104
		.amdhsa_user_sgpr_count 6
		.amdhsa_user_sgpr_private_segment_buffer 1
		.amdhsa_user_sgpr_dispatch_ptr 0
		.amdhsa_user_sgpr_queue_ptr 0
		.amdhsa_user_sgpr_kernarg_segment_ptr 1
		.amdhsa_user_sgpr_dispatch_id 0
		.amdhsa_user_sgpr_flat_scratch_init 0
		.amdhsa_user_sgpr_kernarg_preload_length 0
		.amdhsa_user_sgpr_kernarg_preload_offset 0
		.amdhsa_user_sgpr_private_segment_size 0
		.amdhsa_uses_dynamic_stack 0
		.amdhsa_system_sgpr_private_segment_wavefront_offset 0
		.amdhsa_system_sgpr_workgroup_id_x 1
		.amdhsa_system_sgpr_workgroup_id_y 0
		.amdhsa_system_sgpr_workgroup_id_z 0
		.amdhsa_system_sgpr_workgroup_info 0
		.amdhsa_system_vgpr_workitem_id 0
		.amdhsa_next_free_vgpr 1
		.amdhsa_next_free_sgpr 0
		.amdhsa_accum_offset 4
		.amdhsa_reserve_vcc 0
		.amdhsa_reserve_flat_scratch 0
		.amdhsa_float_round_mode_32 0
		.amdhsa_float_round_mode_16_64 0
		.amdhsa_float_denorm_mode_32 3
		.amdhsa_float_denorm_mode_16_64 3
		.amdhsa_dx10_clamp 1
		.amdhsa_ieee_mode 1
		.amdhsa_fp16_overflow 0
		.amdhsa_tg_split 0
		.amdhsa_exception_fp_ieee_invalid_op 0
		.amdhsa_exception_fp_denorm_src 0
		.amdhsa_exception_fp_ieee_div_zero 0
		.amdhsa_exception_fp_ieee_overflow 0
		.amdhsa_exception_fp_ieee_underflow 0
		.amdhsa_exception_fp_ieee_inexact 0
		.amdhsa_exception_int_div_zero 0
	.end_amdhsa_kernel
	.section	.text._ZN7rocprim17ROCPRIM_400000_NS6detail17trampoline_kernelINS0_14default_configENS1_20scan_config_selectorIiEEZZNS1_9scan_implILNS1_25lookback_scan_determinismE0ELb1ELb1ES3_N6thrust23THRUST_200600_302600_NS6detail15normal_iteratorINS9_10device_ptrIiEEEENS9_16discard_iteratorINS9_11use_defaultEEEi11max_functorIiEiEEDaPvRmT3_T4_T5_mT6_P12ihipStream_tbENKUlT_T0_E_clISt17integral_constantIbLb1EESX_EEDaSS_ST_EUlSS_E_NS1_11comp_targetILNS1_3genE2ELNS1_11target_archE906ELNS1_3gpuE6ELNS1_3repE0EEENS1_30default_config_static_selectorELNS0_4arch9wavefront6targetE1EEEvT1_,"axG",@progbits,_ZN7rocprim17ROCPRIM_400000_NS6detail17trampoline_kernelINS0_14default_configENS1_20scan_config_selectorIiEEZZNS1_9scan_implILNS1_25lookback_scan_determinismE0ELb1ELb1ES3_N6thrust23THRUST_200600_302600_NS6detail15normal_iteratorINS9_10device_ptrIiEEEENS9_16discard_iteratorINS9_11use_defaultEEEi11max_functorIiEiEEDaPvRmT3_T4_T5_mT6_P12ihipStream_tbENKUlT_T0_E_clISt17integral_constantIbLb1EESX_EEDaSS_ST_EUlSS_E_NS1_11comp_targetILNS1_3genE2ELNS1_11target_archE906ELNS1_3gpuE6ELNS1_3repE0EEENS1_30default_config_static_selectorELNS0_4arch9wavefront6targetE1EEEvT1_,comdat
.Lfunc_end3948:
	.size	_ZN7rocprim17ROCPRIM_400000_NS6detail17trampoline_kernelINS0_14default_configENS1_20scan_config_selectorIiEEZZNS1_9scan_implILNS1_25lookback_scan_determinismE0ELb1ELb1ES3_N6thrust23THRUST_200600_302600_NS6detail15normal_iteratorINS9_10device_ptrIiEEEENS9_16discard_iteratorINS9_11use_defaultEEEi11max_functorIiEiEEDaPvRmT3_T4_T5_mT6_P12ihipStream_tbENKUlT_T0_E_clISt17integral_constantIbLb1EESX_EEDaSS_ST_EUlSS_E_NS1_11comp_targetILNS1_3genE2ELNS1_11target_archE906ELNS1_3gpuE6ELNS1_3repE0EEENS1_30default_config_static_selectorELNS0_4arch9wavefront6targetE1EEEvT1_, .Lfunc_end3948-_ZN7rocprim17ROCPRIM_400000_NS6detail17trampoline_kernelINS0_14default_configENS1_20scan_config_selectorIiEEZZNS1_9scan_implILNS1_25lookback_scan_determinismE0ELb1ELb1ES3_N6thrust23THRUST_200600_302600_NS6detail15normal_iteratorINS9_10device_ptrIiEEEENS9_16discard_iteratorINS9_11use_defaultEEEi11max_functorIiEiEEDaPvRmT3_T4_T5_mT6_P12ihipStream_tbENKUlT_T0_E_clISt17integral_constantIbLb1EESX_EEDaSS_ST_EUlSS_E_NS1_11comp_targetILNS1_3genE2ELNS1_11target_archE906ELNS1_3gpuE6ELNS1_3repE0EEENS1_30default_config_static_selectorELNS0_4arch9wavefront6targetE1EEEvT1_
                                        ; -- End function
	.section	.AMDGPU.csdata,"",@progbits
; Kernel info:
; codeLenInByte = 0
; NumSgprs: 4
; NumVgprs: 0
; NumAgprs: 0
; TotalNumVgprs: 0
; ScratchSize: 0
; MemoryBound: 0
; FloatMode: 240
; IeeeMode: 1
; LDSByteSize: 0 bytes/workgroup (compile time only)
; SGPRBlocks: 0
; VGPRBlocks: 0
; NumSGPRsForWavesPerEU: 4
; NumVGPRsForWavesPerEU: 1
; AccumOffset: 4
; Occupancy: 8
; WaveLimiterHint : 0
; COMPUTE_PGM_RSRC2:SCRATCH_EN: 0
; COMPUTE_PGM_RSRC2:USER_SGPR: 6
; COMPUTE_PGM_RSRC2:TRAP_HANDLER: 0
; COMPUTE_PGM_RSRC2:TGID_X_EN: 1
; COMPUTE_PGM_RSRC2:TGID_Y_EN: 0
; COMPUTE_PGM_RSRC2:TGID_Z_EN: 0
; COMPUTE_PGM_RSRC2:TIDIG_COMP_CNT: 0
; COMPUTE_PGM_RSRC3_GFX90A:ACCUM_OFFSET: 0
; COMPUTE_PGM_RSRC3_GFX90A:TG_SPLIT: 0
	.section	.text._ZN7rocprim17ROCPRIM_400000_NS6detail17trampoline_kernelINS0_14default_configENS1_20scan_config_selectorIiEEZZNS1_9scan_implILNS1_25lookback_scan_determinismE0ELb1ELb1ES3_N6thrust23THRUST_200600_302600_NS6detail15normal_iteratorINS9_10device_ptrIiEEEENS9_16discard_iteratorINS9_11use_defaultEEEi11max_functorIiEiEEDaPvRmT3_T4_T5_mT6_P12ihipStream_tbENKUlT_T0_E_clISt17integral_constantIbLb1EESX_EEDaSS_ST_EUlSS_E_NS1_11comp_targetILNS1_3genE10ELNS1_11target_archE1201ELNS1_3gpuE5ELNS1_3repE0EEENS1_30default_config_static_selectorELNS0_4arch9wavefront6targetE1EEEvT1_,"axG",@progbits,_ZN7rocprim17ROCPRIM_400000_NS6detail17trampoline_kernelINS0_14default_configENS1_20scan_config_selectorIiEEZZNS1_9scan_implILNS1_25lookback_scan_determinismE0ELb1ELb1ES3_N6thrust23THRUST_200600_302600_NS6detail15normal_iteratorINS9_10device_ptrIiEEEENS9_16discard_iteratorINS9_11use_defaultEEEi11max_functorIiEiEEDaPvRmT3_T4_T5_mT6_P12ihipStream_tbENKUlT_T0_E_clISt17integral_constantIbLb1EESX_EEDaSS_ST_EUlSS_E_NS1_11comp_targetILNS1_3genE10ELNS1_11target_archE1201ELNS1_3gpuE5ELNS1_3repE0EEENS1_30default_config_static_selectorELNS0_4arch9wavefront6targetE1EEEvT1_,comdat
	.protected	_ZN7rocprim17ROCPRIM_400000_NS6detail17trampoline_kernelINS0_14default_configENS1_20scan_config_selectorIiEEZZNS1_9scan_implILNS1_25lookback_scan_determinismE0ELb1ELb1ES3_N6thrust23THRUST_200600_302600_NS6detail15normal_iteratorINS9_10device_ptrIiEEEENS9_16discard_iteratorINS9_11use_defaultEEEi11max_functorIiEiEEDaPvRmT3_T4_T5_mT6_P12ihipStream_tbENKUlT_T0_E_clISt17integral_constantIbLb1EESX_EEDaSS_ST_EUlSS_E_NS1_11comp_targetILNS1_3genE10ELNS1_11target_archE1201ELNS1_3gpuE5ELNS1_3repE0EEENS1_30default_config_static_selectorELNS0_4arch9wavefront6targetE1EEEvT1_ ; -- Begin function _ZN7rocprim17ROCPRIM_400000_NS6detail17trampoline_kernelINS0_14default_configENS1_20scan_config_selectorIiEEZZNS1_9scan_implILNS1_25lookback_scan_determinismE0ELb1ELb1ES3_N6thrust23THRUST_200600_302600_NS6detail15normal_iteratorINS9_10device_ptrIiEEEENS9_16discard_iteratorINS9_11use_defaultEEEi11max_functorIiEiEEDaPvRmT3_T4_T5_mT6_P12ihipStream_tbENKUlT_T0_E_clISt17integral_constantIbLb1EESX_EEDaSS_ST_EUlSS_E_NS1_11comp_targetILNS1_3genE10ELNS1_11target_archE1201ELNS1_3gpuE5ELNS1_3repE0EEENS1_30default_config_static_selectorELNS0_4arch9wavefront6targetE1EEEvT1_
	.globl	_ZN7rocprim17ROCPRIM_400000_NS6detail17trampoline_kernelINS0_14default_configENS1_20scan_config_selectorIiEEZZNS1_9scan_implILNS1_25lookback_scan_determinismE0ELb1ELb1ES3_N6thrust23THRUST_200600_302600_NS6detail15normal_iteratorINS9_10device_ptrIiEEEENS9_16discard_iteratorINS9_11use_defaultEEEi11max_functorIiEiEEDaPvRmT3_T4_T5_mT6_P12ihipStream_tbENKUlT_T0_E_clISt17integral_constantIbLb1EESX_EEDaSS_ST_EUlSS_E_NS1_11comp_targetILNS1_3genE10ELNS1_11target_archE1201ELNS1_3gpuE5ELNS1_3repE0EEENS1_30default_config_static_selectorELNS0_4arch9wavefront6targetE1EEEvT1_
	.p2align	8
	.type	_ZN7rocprim17ROCPRIM_400000_NS6detail17trampoline_kernelINS0_14default_configENS1_20scan_config_selectorIiEEZZNS1_9scan_implILNS1_25lookback_scan_determinismE0ELb1ELb1ES3_N6thrust23THRUST_200600_302600_NS6detail15normal_iteratorINS9_10device_ptrIiEEEENS9_16discard_iteratorINS9_11use_defaultEEEi11max_functorIiEiEEDaPvRmT3_T4_T5_mT6_P12ihipStream_tbENKUlT_T0_E_clISt17integral_constantIbLb1EESX_EEDaSS_ST_EUlSS_E_NS1_11comp_targetILNS1_3genE10ELNS1_11target_archE1201ELNS1_3gpuE5ELNS1_3repE0EEENS1_30default_config_static_selectorELNS0_4arch9wavefront6targetE1EEEvT1_,@function
_ZN7rocprim17ROCPRIM_400000_NS6detail17trampoline_kernelINS0_14default_configENS1_20scan_config_selectorIiEEZZNS1_9scan_implILNS1_25lookback_scan_determinismE0ELb1ELb1ES3_N6thrust23THRUST_200600_302600_NS6detail15normal_iteratorINS9_10device_ptrIiEEEENS9_16discard_iteratorINS9_11use_defaultEEEi11max_functorIiEiEEDaPvRmT3_T4_T5_mT6_P12ihipStream_tbENKUlT_T0_E_clISt17integral_constantIbLb1EESX_EEDaSS_ST_EUlSS_E_NS1_11comp_targetILNS1_3genE10ELNS1_11target_archE1201ELNS1_3gpuE5ELNS1_3repE0EEENS1_30default_config_static_selectorELNS0_4arch9wavefront6targetE1EEEvT1_: ; @_ZN7rocprim17ROCPRIM_400000_NS6detail17trampoline_kernelINS0_14default_configENS1_20scan_config_selectorIiEEZZNS1_9scan_implILNS1_25lookback_scan_determinismE0ELb1ELb1ES3_N6thrust23THRUST_200600_302600_NS6detail15normal_iteratorINS9_10device_ptrIiEEEENS9_16discard_iteratorINS9_11use_defaultEEEi11max_functorIiEiEEDaPvRmT3_T4_T5_mT6_P12ihipStream_tbENKUlT_T0_E_clISt17integral_constantIbLb1EESX_EEDaSS_ST_EUlSS_E_NS1_11comp_targetILNS1_3genE10ELNS1_11target_archE1201ELNS1_3gpuE5ELNS1_3repE0EEENS1_30default_config_static_selectorELNS0_4arch9wavefront6targetE1EEEvT1_
; %bb.0:
	.section	.rodata,"a",@progbits
	.p2align	6, 0x0
	.amdhsa_kernel _ZN7rocprim17ROCPRIM_400000_NS6detail17trampoline_kernelINS0_14default_configENS1_20scan_config_selectorIiEEZZNS1_9scan_implILNS1_25lookback_scan_determinismE0ELb1ELb1ES3_N6thrust23THRUST_200600_302600_NS6detail15normal_iteratorINS9_10device_ptrIiEEEENS9_16discard_iteratorINS9_11use_defaultEEEi11max_functorIiEiEEDaPvRmT3_T4_T5_mT6_P12ihipStream_tbENKUlT_T0_E_clISt17integral_constantIbLb1EESX_EEDaSS_ST_EUlSS_E_NS1_11comp_targetILNS1_3genE10ELNS1_11target_archE1201ELNS1_3gpuE5ELNS1_3repE0EEENS1_30default_config_static_selectorELNS0_4arch9wavefront6targetE1EEEvT1_
		.amdhsa_group_segment_fixed_size 0
		.amdhsa_private_segment_fixed_size 0
		.amdhsa_kernarg_size 104
		.amdhsa_user_sgpr_count 6
		.amdhsa_user_sgpr_private_segment_buffer 1
		.amdhsa_user_sgpr_dispatch_ptr 0
		.amdhsa_user_sgpr_queue_ptr 0
		.amdhsa_user_sgpr_kernarg_segment_ptr 1
		.amdhsa_user_sgpr_dispatch_id 0
		.amdhsa_user_sgpr_flat_scratch_init 0
		.amdhsa_user_sgpr_kernarg_preload_length 0
		.amdhsa_user_sgpr_kernarg_preload_offset 0
		.amdhsa_user_sgpr_private_segment_size 0
		.amdhsa_uses_dynamic_stack 0
		.amdhsa_system_sgpr_private_segment_wavefront_offset 0
		.amdhsa_system_sgpr_workgroup_id_x 1
		.amdhsa_system_sgpr_workgroup_id_y 0
		.amdhsa_system_sgpr_workgroup_id_z 0
		.amdhsa_system_sgpr_workgroup_info 0
		.amdhsa_system_vgpr_workitem_id 0
		.amdhsa_next_free_vgpr 1
		.amdhsa_next_free_sgpr 0
		.amdhsa_accum_offset 4
		.amdhsa_reserve_vcc 0
		.amdhsa_reserve_flat_scratch 0
		.amdhsa_float_round_mode_32 0
		.amdhsa_float_round_mode_16_64 0
		.amdhsa_float_denorm_mode_32 3
		.amdhsa_float_denorm_mode_16_64 3
		.amdhsa_dx10_clamp 1
		.amdhsa_ieee_mode 1
		.amdhsa_fp16_overflow 0
		.amdhsa_tg_split 0
		.amdhsa_exception_fp_ieee_invalid_op 0
		.amdhsa_exception_fp_denorm_src 0
		.amdhsa_exception_fp_ieee_div_zero 0
		.amdhsa_exception_fp_ieee_overflow 0
		.amdhsa_exception_fp_ieee_underflow 0
		.amdhsa_exception_fp_ieee_inexact 0
		.amdhsa_exception_int_div_zero 0
	.end_amdhsa_kernel
	.section	.text._ZN7rocprim17ROCPRIM_400000_NS6detail17trampoline_kernelINS0_14default_configENS1_20scan_config_selectorIiEEZZNS1_9scan_implILNS1_25lookback_scan_determinismE0ELb1ELb1ES3_N6thrust23THRUST_200600_302600_NS6detail15normal_iteratorINS9_10device_ptrIiEEEENS9_16discard_iteratorINS9_11use_defaultEEEi11max_functorIiEiEEDaPvRmT3_T4_T5_mT6_P12ihipStream_tbENKUlT_T0_E_clISt17integral_constantIbLb1EESX_EEDaSS_ST_EUlSS_E_NS1_11comp_targetILNS1_3genE10ELNS1_11target_archE1201ELNS1_3gpuE5ELNS1_3repE0EEENS1_30default_config_static_selectorELNS0_4arch9wavefront6targetE1EEEvT1_,"axG",@progbits,_ZN7rocprim17ROCPRIM_400000_NS6detail17trampoline_kernelINS0_14default_configENS1_20scan_config_selectorIiEEZZNS1_9scan_implILNS1_25lookback_scan_determinismE0ELb1ELb1ES3_N6thrust23THRUST_200600_302600_NS6detail15normal_iteratorINS9_10device_ptrIiEEEENS9_16discard_iteratorINS9_11use_defaultEEEi11max_functorIiEiEEDaPvRmT3_T4_T5_mT6_P12ihipStream_tbENKUlT_T0_E_clISt17integral_constantIbLb1EESX_EEDaSS_ST_EUlSS_E_NS1_11comp_targetILNS1_3genE10ELNS1_11target_archE1201ELNS1_3gpuE5ELNS1_3repE0EEENS1_30default_config_static_selectorELNS0_4arch9wavefront6targetE1EEEvT1_,comdat
.Lfunc_end3949:
	.size	_ZN7rocprim17ROCPRIM_400000_NS6detail17trampoline_kernelINS0_14default_configENS1_20scan_config_selectorIiEEZZNS1_9scan_implILNS1_25lookback_scan_determinismE0ELb1ELb1ES3_N6thrust23THRUST_200600_302600_NS6detail15normal_iteratorINS9_10device_ptrIiEEEENS9_16discard_iteratorINS9_11use_defaultEEEi11max_functorIiEiEEDaPvRmT3_T4_T5_mT6_P12ihipStream_tbENKUlT_T0_E_clISt17integral_constantIbLb1EESX_EEDaSS_ST_EUlSS_E_NS1_11comp_targetILNS1_3genE10ELNS1_11target_archE1201ELNS1_3gpuE5ELNS1_3repE0EEENS1_30default_config_static_selectorELNS0_4arch9wavefront6targetE1EEEvT1_, .Lfunc_end3949-_ZN7rocprim17ROCPRIM_400000_NS6detail17trampoline_kernelINS0_14default_configENS1_20scan_config_selectorIiEEZZNS1_9scan_implILNS1_25lookback_scan_determinismE0ELb1ELb1ES3_N6thrust23THRUST_200600_302600_NS6detail15normal_iteratorINS9_10device_ptrIiEEEENS9_16discard_iteratorINS9_11use_defaultEEEi11max_functorIiEiEEDaPvRmT3_T4_T5_mT6_P12ihipStream_tbENKUlT_T0_E_clISt17integral_constantIbLb1EESX_EEDaSS_ST_EUlSS_E_NS1_11comp_targetILNS1_3genE10ELNS1_11target_archE1201ELNS1_3gpuE5ELNS1_3repE0EEENS1_30default_config_static_selectorELNS0_4arch9wavefront6targetE1EEEvT1_
                                        ; -- End function
	.section	.AMDGPU.csdata,"",@progbits
; Kernel info:
; codeLenInByte = 0
; NumSgprs: 4
; NumVgprs: 0
; NumAgprs: 0
; TotalNumVgprs: 0
; ScratchSize: 0
; MemoryBound: 0
; FloatMode: 240
; IeeeMode: 1
; LDSByteSize: 0 bytes/workgroup (compile time only)
; SGPRBlocks: 0
; VGPRBlocks: 0
; NumSGPRsForWavesPerEU: 4
; NumVGPRsForWavesPerEU: 1
; AccumOffset: 4
; Occupancy: 8
; WaveLimiterHint : 0
; COMPUTE_PGM_RSRC2:SCRATCH_EN: 0
; COMPUTE_PGM_RSRC2:USER_SGPR: 6
; COMPUTE_PGM_RSRC2:TRAP_HANDLER: 0
; COMPUTE_PGM_RSRC2:TGID_X_EN: 1
; COMPUTE_PGM_RSRC2:TGID_Y_EN: 0
; COMPUTE_PGM_RSRC2:TGID_Z_EN: 0
; COMPUTE_PGM_RSRC2:TIDIG_COMP_CNT: 0
; COMPUTE_PGM_RSRC3_GFX90A:ACCUM_OFFSET: 0
; COMPUTE_PGM_RSRC3_GFX90A:TG_SPLIT: 0
	.section	.text._ZN7rocprim17ROCPRIM_400000_NS6detail17trampoline_kernelINS0_14default_configENS1_20scan_config_selectorIiEEZZNS1_9scan_implILNS1_25lookback_scan_determinismE0ELb1ELb1ES3_N6thrust23THRUST_200600_302600_NS6detail15normal_iteratorINS9_10device_ptrIiEEEENS9_16discard_iteratorINS9_11use_defaultEEEi11max_functorIiEiEEDaPvRmT3_T4_T5_mT6_P12ihipStream_tbENKUlT_T0_E_clISt17integral_constantIbLb1EESX_EEDaSS_ST_EUlSS_E_NS1_11comp_targetILNS1_3genE10ELNS1_11target_archE1200ELNS1_3gpuE4ELNS1_3repE0EEENS1_30default_config_static_selectorELNS0_4arch9wavefront6targetE1EEEvT1_,"axG",@progbits,_ZN7rocprim17ROCPRIM_400000_NS6detail17trampoline_kernelINS0_14default_configENS1_20scan_config_selectorIiEEZZNS1_9scan_implILNS1_25lookback_scan_determinismE0ELb1ELb1ES3_N6thrust23THRUST_200600_302600_NS6detail15normal_iteratorINS9_10device_ptrIiEEEENS9_16discard_iteratorINS9_11use_defaultEEEi11max_functorIiEiEEDaPvRmT3_T4_T5_mT6_P12ihipStream_tbENKUlT_T0_E_clISt17integral_constantIbLb1EESX_EEDaSS_ST_EUlSS_E_NS1_11comp_targetILNS1_3genE10ELNS1_11target_archE1200ELNS1_3gpuE4ELNS1_3repE0EEENS1_30default_config_static_selectorELNS0_4arch9wavefront6targetE1EEEvT1_,comdat
	.protected	_ZN7rocprim17ROCPRIM_400000_NS6detail17trampoline_kernelINS0_14default_configENS1_20scan_config_selectorIiEEZZNS1_9scan_implILNS1_25lookback_scan_determinismE0ELb1ELb1ES3_N6thrust23THRUST_200600_302600_NS6detail15normal_iteratorINS9_10device_ptrIiEEEENS9_16discard_iteratorINS9_11use_defaultEEEi11max_functorIiEiEEDaPvRmT3_T4_T5_mT6_P12ihipStream_tbENKUlT_T0_E_clISt17integral_constantIbLb1EESX_EEDaSS_ST_EUlSS_E_NS1_11comp_targetILNS1_3genE10ELNS1_11target_archE1200ELNS1_3gpuE4ELNS1_3repE0EEENS1_30default_config_static_selectorELNS0_4arch9wavefront6targetE1EEEvT1_ ; -- Begin function _ZN7rocprim17ROCPRIM_400000_NS6detail17trampoline_kernelINS0_14default_configENS1_20scan_config_selectorIiEEZZNS1_9scan_implILNS1_25lookback_scan_determinismE0ELb1ELb1ES3_N6thrust23THRUST_200600_302600_NS6detail15normal_iteratorINS9_10device_ptrIiEEEENS9_16discard_iteratorINS9_11use_defaultEEEi11max_functorIiEiEEDaPvRmT3_T4_T5_mT6_P12ihipStream_tbENKUlT_T0_E_clISt17integral_constantIbLb1EESX_EEDaSS_ST_EUlSS_E_NS1_11comp_targetILNS1_3genE10ELNS1_11target_archE1200ELNS1_3gpuE4ELNS1_3repE0EEENS1_30default_config_static_selectorELNS0_4arch9wavefront6targetE1EEEvT1_
	.globl	_ZN7rocprim17ROCPRIM_400000_NS6detail17trampoline_kernelINS0_14default_configENS1_20scan_config_selectorIiEEZZNS1_9scan_implILNS1_25lookback_scan_determinismE0ELb1ELb1ES3_N6thrust23THRUST_200600_302600_NS6detail15normal_iteratorINS9_10device_ptrIiEEEENS9_16discard_iteratorINS9_11use_defaultEEEi11max_functorIiEiEEDaPvRmT3_T4_T5_mT6_P12ihipStream_tbENKUlT_T0_E_clISt17integral_constantIbLb1EESX_EEDaSS_ST_EUlSS_E_NS1_11comp_targetILNS1_3genE10ELNS1_11target_archE1200ELNS1_3gpuE4ELNS1_3repE0EEENS1_30default_config_static_selectorELNS0_4arch9wavefront6targetE1EEEvT1_
	.p2align	8
	.type	_ZN7rocprim17ROCPRIM_400000_NS6detail17trampoline_kernelINS0_14default_configENS1_20scan_config_selectorIiEEZZNS1_9scan_implILNS1_25lookback_scan_determinismE0ELb1ELb1ES3_N6thrust23THRUST_200600_302600_NS6detail15normal_iteratorINS9_10device_ptrIiEEEENS9_16discard_iteratorINS9_11use_defaultEEEi11max_functorIiEiEEDaPvRmT3_T4_T5_mT6_P12ihipStream_tbENKUlT_T0_E_clISt17integral_constantIbLb1EESX_EEDaSS_ST_EUlSS_E_NS1_11comp_targetILNS1_3genE10ELNS1_11target_archE1200ELNS1_3gpuE4ELNS1_3repE0EEENS1_30default_config_static_selectorELNS0_4arch9wavefront6targetE1EEEvT1_,@function
_ZN7rocprim17ROCPRIM_400000_NS6detail17trampoline_kernelINS0_14default_configENS1_20scan_config_selectorIiEEZZNS1_9scan_implILNS1_25lookback_scan_determinismE0ELb1ELb1ES3_N6thrust23THRUST_200600_302600_NS6detail15normal_iteratorINS9_10device_ptrIiEEEENS9_16discard_iteratorINS9_11use_defaultEEEi11max_functorIiEiEEDaPvRmT3_T4_T5_mT6_P12ihipStream_tbENKUlT_T0_E_clISt17integral_constantIbLb1EESX_EEDaSS_ST_EUlSS_E_NS1_11comp_targetILNS1_3genE10ELNS1_11target_archE1200ELNS1_3gpuE4ELNS1_3repE0EEENS1_30default_config_static_selectorELNS0_4arch9wavefront6targetE1EEEvT1_: ; @_ZN7rocprim17ROCPRIM_400000_NS6detail17trampoline_kernelINS0_14default_configENS1_20scan_config_selectorIiEEZZNS1_9scan_implILNS1_25lookback_scan_determinismE0ELb1ELb1ES3_N6thrust23THRUST_200600_302600_NS6detail15normal_iteratorINS9_10device_ptrIiEEEENS9_16discard_iteratorINS9_11use_defaultEEEi11max_functorIiEiEEDaPvRmT3_T4_T5_mT6_P12ihipStream_tbENKUlT_T0_E_clISt17integral_constantIbLb1EESX_EEDaSS_ST_EUlSS_E_NS1_11comp_targetILNS1_3genE10ELNS1_11target_archE1200ELNS1_3gpuE4ELNS1_3repE0EEENS1_30default_config_static_selectorELNS0_4arch9wavefront6targetE1EEEvT1_
; %bb.0:
	.section	.rodata,"a",@progbits
	.p2align	6, 0x0
	.amdhsa_kernel _ZN7rocprim17ROCPRIM_400000_NS6detail17trampoline_kernelINS0_14default_configENS1_20scan_config_selectorIiEEZZNS1_9scan_implILNS1_25lookback_scan_determinismE0ELb1ELb1ES3_N6thrust23THRUST_200600_302600_NS6detail15normal_iteratorINS9_10device_ptrIiEEEENS9_16discard_iteratorINS9_11use_defaultEEEi11max_functorIiEiEEDaPvRmT3_T4_T5_mT6_P12ihipStream_tbENKUlT_T0_E_clISt17integral_constantIbLb1EESX_EEDaSS_ST_EUlSS_E_NS1_11comp_targetILNS1_3genE10ELNS1_11target_archE1200ELNS1_3gpuE4ELNS1_3repE0EEENS1_30default_config_static_selectorELNS0_4arch9wavefront6targetE1EEEvT1_
		.amdhsa_group_segment_fixed_size 0
		.amdhsa_private_segment_fixed_size 0
		.amdhsa_kernarg_size 104
		.amdhsa_user_sgpr_count 6
		.amdhsa_user_sgpr_private_segment_buffer 1
		.amdhsa_user_sgpr_dispatch_ptr 0
		.amdhsa_user_sgpr_queue_ptr 0
		.amdhsa_user_sgpr_kernarg_segment_ptr 1
		.amdhsa_user_sgpr_dispatch_id 0
		.amdhsa_user_sgpr_flat_scratch_init 0
		.amdhsa_user_sgpr_kernarg_preload_length 0
		.amdhsa_user_sgpr_kernarg_preload_offset 0
		.amdhsa_user_sgpr_private_segment_size 0
		.amdhsa_uses_dynamic_stack 0
		.amdhsa_system_sgpr_private_segment_wavefront_offset 0
		.amdhsa_system_sgpr_workgroup_id_x 1
		.amdhsa_system_sgpr_workgroup_id_y 0
		.amdhsa_system_sgpr_workgroup_id_z 0
		.amdhsa_system_sgpr_workgroup_info 0
		.amdhsa_system_vgpr_workitem_id 0
		.amdhsa_next_free_vgpr 1
		.amdhsa_next_free_sgpr 0
		.amdhsa_accum_offset 4
		.amdhsa_reserve_vcc 0
		.amdhsa_reserve_flat_scratch 0
		.amdhsa_float_round_mode_32 0
		.amdhsa_float_round_mode_16_64 0
		.amdhsa_float_denorm_mode_32 3
		.amdhsa_float_denorm_mode_16_64 3
		.amdhsa_dx10_clamp 1
		.amdhsa_ieee_mode 1
		.amdhsa_fp16_overflow 0
		.amdhsa_tg_split 0
		.amdhsa_exception_fp_ieee_invalid_op 0
		.amdhsa_exception_fp_denorm_src 0
		.amdhsa_exception_fp_ieee_div_zero 0
		.amdhsa_exception_fp_ieee_overflow 0
		.amdhsa_exception_fp_ieee_underflow 0
		.amdhsa_exception_fp_ieee_inexact 0
		.amdhsa_exception_int_div_zero 0
	.end_amdhsa_kernel
	.section	.text._ZN7rocprim17ROCPRIM_400000_NS6detail17trampoline_kernelINS0_14default_configENS1_20scan_config_selectorIiEEZZNS1_9scan_implILNS1_25lookback_scan_determinismE0ELb1ELb1ES3_N6thrust23THRUST_200600_302600_NS6detail15normal_iteratorINS9_10device_ptrIiEEEENS9_16discard_iteratorINS9_11use_defaultEEEi11max_functorIiEiEEDaPvRmT3_T4_T5_mT6_P12ihipStream_tbENKUlT_T0_E_clISt17integral_constantIbLb1EESX_EEDaSS_ST_EUlSS_E_NS1_11comp_targetILNS1_3genE10ELNS1_11target_archE1200ELNS1_3gpuE4ELNS1_3repE0EEENS1_30default_config_static_selectorELNS0_4arch9wavefront6targetE1EEEvT1_,"axG",@progbits,_ZN7rocprim17ROCPRIM_400000_NS6detail17trampoline_kernelINS0_14default_configENS1_20scan_config_selectorIiEEZZNS1_9scan_implILNS1_25lookback_scan_determinismE0ELb1ELb1ES3_N6thrust23THRUST_200600_302600_NS6detail15normal_iteratorINS9_10device_ptrIiEEEENS9_16discard_iteratorINS9_11use_defaultEEEi11max_functorIiEiEEDaPvRmT3_T4_T5_mT6_P12ihipStream_tbENKUlT_T0_E_clISt17integral_constantIbLb1EESX_EEDaSS_ST_EUlSS_E_NS1_11comp_targetILNS1_3genE10ELNS1_11target_archE1200ELNS1_3gpuE4ELNS1_3repE0EEENS1_30default_config_static_selectorELNS0_4arch9wavefront6targetE1EEEvT1_,comdat
.Lfunc_end3950:
	.size	_ZN7rocprim17ROCPRIM_400000_NS6detail17trampoline_kernelINS0_14default_configENS1_20scan_config_selectorIiEEZZNS1_9scan_implILNS1_25lookback_scan_determinismE0ELb1ELb1ES3_N6thrust23THRUST_200600_302600_NS6detail15normal_iteratorINS9_10device_ptrIiEEEENS9_16discard_iteratorINS9_11use_defaultEEEi11max_functorIiEiEEDaPvRmT3_T4_T5_mT6_P12ihipStream_tbENKUlT_T0_E_clISt17integral_constantIbLb1EESX_EEDaSS_ST_EUlSS_E_NS1_11comp_targetILNS1_3genE10ELNS1_11target_archE1200ELNS1_3gpuE4ELNS1_3repE0EEENS1_30default_config_static_selectorELNS0_4arch9wavefront6targetE1EEEvT1_, .Lfunc_end3950-_ZN7rocprim17ROCPRIM_400000_NS6detail17trampoline_kernelINS0_14default_configENS1_20scan_config_selectorIiEEZZNS1_9scan_implILNS1_25lookback_scan_determinismE0ELb1ELb1ES3_N6thrust23THRUST_200600_302600_NS6detail15normal_iteratorINS9_10device_ptrIiEEEENS9_16discard_iteratorINS9_11use_defaultEEEi11max_functorIiEiEEDaPvRmT3_T4_T5_mT6_P12ihipStream_tbENKUlT_T0_E_clISt17integral_constantIbLb1EESX_EEDaSS_ST_EUlSS_E_NS1_11comp_targetILNS1_3genE10ELNS1_11target_archE1200ELNS1_3gpuE4ELNS1_3repE0EEENS1_30default_config_static_selectorELNS0_4arch9wavefront6targetE1EEEvT1_
                                        ; -- End function
	.section	.AMDGPU.csdata,"",@progbits
; Kernel info:
; codeLenInByte = 0
; NumSgprs: 4
; NumVgprs: 0
; NumAgprs: 0
; TotalNumVgprs: 0
; ScratchSize: 0
; MemoryBound: 0
; FloatMode: 240
; IeeeMode: 1
; LDSByteSize: 0 bytes/workgroup (compile time only)
; SGPRBlocks: 0
; VGPRBlocks: 0
; NumSGPRsForWavesPerEU: 4
; NumVGPRsForWavesPerEU: 1
; AccumOffset: 4
; Occupancy: 8
; WaveLimiterHint : 0
; COMPUTE_PGM_RSRC2:SCRATCH_EN: 0
; COMPUTE_PGM_RSRC2:USER_SGPR: 6
; COMPUTE_PGM_RSRC2:TRAP_HANDLER: 0
; COMPUTE_PGM_RSRC2:TGID_X_EN: 1
; COMPUTE_PGM_RSRC2:TGID_Y_EN: 0
; COMPUTE_PGM_RSRC2:TGID_Z_EN: 0
; COMPUTE_PGM_RSRC2:TIDIG_COMP_CNT: 0
; COMPUTE_PGM_RSRC3_GFX90A:ACCUM_OFFSET: 0
; COMPUTE_PGM_RSRC3_GFX90A:TG_SPLIT: 0
	.section	.text._ZN7rocprim17ROCPRIM_400000_NS6detail17trampoline_kernelINS0_14default_configENS1_20scan_config_selectorIiEEZZNS1_9scan_implILNS1_25lookback_scan_determinismE0ELb1ELb1ES3_N6thrust23THRUST_200600_302600_NS6detail15normal_iteratorINS9_10device_ptrIiEEEENS9_16discard_iteratorINS9_11use_defaultEEEi11max_functorIiEiEEDaPvRmT3_T4_T5_mT6_P12ihipStream_tbENKUlT_T0_E_clISt17integral_constantIbLb1EESX_EEDaSS_ST_EUlSS_E_NS1_11comp_targetILNS1_3genE9ELNS1_11target_archE1100ELNS1_3gpuE3ELNS1_3repE0EEENS1_30default_config_static_selectorELNS0_4arch9wavefront6targetE1EEEvT1_,"axG",@progbits,_ZN7rocprim17ROCPRIM_400000_NS6detail17trampoline_kernelINS0_14default_configENS1_20scan_config_selectorIiEEZZNS1_9scan_implILNS1_25lookback_scan_determinismE0ELb1ELb1ES3_N6thrust23THRUST_200600_302600_NS6detail15normal_iteratorINS9_10device_ptrIiEEEENS9_16discard_iteratorINS9_11use_defaultEEEi11max_functorIiEiEEDaPvRmT3_T4_T5_mT6_P12ihipStream_tbENKUlT_T0_E_clISt17integral_constantIbLb1EESX_EEDaSS_ST_EUlSS_E_NS1_11comp_targetILNS1_3genE9ELNS1_11target_archE1100ELNS1_3gpuE3ELNS1_3repE0EEENS1_30default_config_static_selectorELNS0_4arch9wavefront6targetE1EEEvT1_,comdat
	.protected	_ZN7rocprim17ROCPRIM_400000_NS6detail17trampoline_kernelINS0_14default_configENS1_20scan_config_selectorIiEEZZNS1_9scan_implILNS1_25lookback_scan_determinismE0ELb1ELb1ES3_N6thrust23THRUST_200600_302600_NS6detail15normal_iteratorINS9_10device_ptrIiEEEENS9_16discard_iteratorINS9_11use_defaultEEEi11max_functorIiEiEEDaPvRmT3_T4_T5_mT6_P12ihipStream_tbENKUlT_T0_E_clISt17integral_constantIbLb1EESX_EEDaSS_ST_EUlSS_E_NS1_11comp_targetILNS1_3genE9ELNS1_11target_archE1100ELNS1_3gpuE3ELNS1_3repE0EEENS1_30default_config_static_selectorELNS0_4arch9wavefront6targetE1EEEvT1_ ; -- Begin function _ZN7rocprim17ROCPRIM_400000_NS6detail17trampoline_kernelINS0_14default_configENS1_20scan_config_selectorIiEEZZNS1_9scan_implILNS1_25lookback_scan_determinismE0ELb1ELb1ES3_N6thrust23THRUST_200600_302600_NS6detail15normal_iteratorINS9_10device_ptrIiEEEENS9_16discard_iteratorINS9_11use_defaultEEEi11max_functorIiEiEEDaPvRmT3_T4_T5_mT6_P12ihipStream_tbENKUlT_T0_E_clISt17integral_constantIbLb1EESX_EEDaSS_ST_EUlSS_E_NS1_11comp_targetILNS1_3genE9ELNS1_11target_archE1100ELNS1_3gpuE3ELNS1_3repE0EEENS1_30default_config_static_selectorELNS0_4arch9wavefront6targetE1EEEvT1_
	.globl	_ZN7rocprim17ROCPRIM_400000_NS6detail17trampoline_kernelINS0_14default_configENS1_20scan_config_selectorIiEEZZNS1_9scan_implILNS1_25lookback_scan_determinismE0ELb1ELb1ES3_N6thrust23THRUST_200600_302600_NS6detail15normal_iteratorINS9_10device_ptrIiEEEENS9_16discard_iteratorINS9_11use_defaultEEEi11max_functorIiEiEEDaPvRmT3_T4_T5_mT6_P12ihipStream_tbENKUlT_T0_E_clISt17integral_constantIbLb1EESX_EEDaSS_ST_EUlSS_E_NS1_11comp_targetILNS1_3genE9ELNS1_11target_archE1100ELNS1_3gpuE3ELNS1_3repE0EEENS1_30default_config_static_selectorELNS0_4arch9wavefront6targetE1EEEvT1_
	.p2align	8
	.type	_ZN7rocprim17ROCPRIM_400000_NS6detail17trampoline_kernelINS0_14default_configENS1_20scan_config_selectorIiEEZZNS1_9scan_implILNS1_25lookback_scan_determinismE0ELb1ELb1ES3_N6thrust23THRUST_200600_302600_NS6detail15normal_iteratorINS9_10device_ptrIiEEEENS9_16discard_iteratorINS9_11use_defaultEEEi11max_functorIiEiEEDaPvRmT3_T4_T5_mT6_P12ihipStream_tbENKUlT_T0_E_clISt17integral_constantIbLb1EESX_EEDaSS_ST_EUlSS_E_NS1_11comp_targetILNS1_3genE9ELNS1_11target_archE1100ELNS1_3gpuE3ELNS1_3repE0EEENS1_30default_config_static_selectorELNS0_4arch9wavefront6targetE1EEEvT1_,@function
_ZN7rocprim17ROCPRIM_400000_NS6detail17trampoline_kernelINS0_14default_configENS1_20scan_config_selectorIiEEZZNS1_9scan_implILNS1_25lookback_scan_determinismE0ELb1ELb1ES3_N6thrust23THRUST_200600_302600_NS6detail15normal_iteratorINS9_10device_ptrIiEEEENS9_16discard_iteratorINS9_11use_defaultEEEi11max_functorIiEiEEDaPvRmT3_T4_T5_mT6_P12ihipStream_tbENKUlT_T0_E_clISt17integral_constantIbLb1EESX_EEDaSS_ST_EUlSS_E_NS1_11comp_targetILNS1_3genE9ELNS1_11target_archE1100ELNS1_3gpuE3ELNS1_3repE0EEENS1_30default_config_static_selectorELNS0_4arch9wavefront6targetE1EEEvT1_: ; @_ZN7rocprim17ROCPRIM_400000_NS6detail17trampoline_kernelINS0_14default_configENS1_20scan_config_selectorIiEEZZNS1_9scan_implILNS1_25lookback_scan_determinismE0ELb1ELb1ES3_N6thrust23THRUST_200600_302600_NS6detail15normal_iteratorINS9_10device_ptrIiEEEENS9_16discard_iteratorINS9_11use_defaultEEEi11max_functorIiEiEEDaPvRmT3_T4_T5_mT6_P12ihipStream_tbENKUlT_T0_E_clISt17integral_constantIbLb1EESX_EEDaSS_ST_EUlSS_E_NS1_11comp_targetILNS1_3genE9ELNS1_11target_archE1100ELNS1_3gpuE3ELNS1_3repE0EEENS1_30default_config_static_selectorELNS0_4arch9wavefront6targetE1EEEvT1_
; %bb.0:
	.section	.rodata,"a",@progbits
	.p2align	6, 0x0
	.amdhsa_kernel _ZN7rocprim17ROCPRIM_400000_NS6detail17trampoline_kernelINS0_14default_configENS1_20scan_config_selectorIiEEZZNS1_9scan_implILNS1_25lookback_scan_determinismE0ELb1ELb1ES3_N6thrust23THRUST_200600_302600_NS6detail15normal_iteratorINS9_10device_ptrIiEEEENS9_16discard_iteratorINS9_11use_defaultEEEi11max_functorIiEiEEDaPvRmT3_T4_T5_mT6_P12ihipStream_tbENKUlT_T0_E_clISt17integral_constantIbLb1EESX_EEDaSS_ST_EUlSS_E_NS1_11comp_targetILNS1_3genE9ELNS1_11target_archE1100ELNS1_3gpuE3ELNS1_3repE0EEENS1_30default_config_static_selectorELNS0_4arch9wavefront6targetE1EEEvT1_
		.amdhsa_group_segment_fixed_size 0
		.amdhsa_private_segment_fixed_size 0
		.amdhsa_kernarg_size 104
		.amdhsa_user_sgpr_count 6
		.amdhsa_user_sgpr_private_segment_buffer 1
		.amdhsa_user_sgpr_dispatch_ptr 0
		.amdhsa_user_sgpr_queue_ptr 0
		.amdhsa_user_sgpr_kernarg_segment_ptr 1
		.amdhsa_user_sgpr_dispatch_id 0
		.amdhsa_user_sgpr_flat_scratch_init 0
		.amdhsa_user_sgpr_kernarg_preload_length 0
		.amdhsa_user_sgpr_kernarg_preload_offset 0
		.amdhsa_user_sgpr_private_segment_size 0
		.amdhsa_uses_dynamic_stack 0
		.amdhsa_system_sgpr_private_segment_wavefront_offset 0
		.amdhsa_system_sgpr_workgroup_id_x 1
		.amdhsa_system_sgpr_workgroup_id_y 0
		.amdhsa_system_sgpr_workgroup_id_z 0
		.amdhsa_system_sgpr_workgroup_info 0
		.amdhsa_system_vgpr_workitem_id 0
		.amdhsa_next_free_vgpr 1
		.amdhsa_next_free_sgpr 0
		.amdhsa_accum_offset 4
		.amdhsa_reserve_vcc 0
		.amdhsa_reserve_flat_scratch 0
		.amdhsa_float_round_mode_32 0
		.amdhsa_float_round_mode_16_64 0
		.amdhsa_float_denorm_mode_32 3
		.amdhsa_float_denorm_mode_16_64 3
		.amdhsa_dx10_clamp 1
		.amdhsa_ieee_mode 1
		.amdhsa_fp16_overflow 0
		.amdhsa_tg_split 0
		.amdhsa_exception_fp_ieee_invalid_op 0
		.amdhsa_exception_fp_denorm_src 0
		.amdhsa_exception_fp_ieee_div_zero 0
		.amdhsa_exception_fp_ieee_overflow 0
		.amdhsa_exception_fp_ieee_underflow 0
		.amdhsa_exception_fp_ieee_inexact 0
		.amdhsa_exception_int_div_zero 0
	.end_amdhsa_kernel
	.section	.text._ZN7rocprim17ROCPRIM_400000_NS6detail17trampoline_kernelINS0_14default_configENS1_20scan_config_selectorIiEEZZNS1_9scan_implILNS1_25lookback_scan_determinismE0ELb1ELb1ES3_N6thrust23THRUST_200600_302600_NS6detail15normal_iteratorINS9_10device_ptrIiEEEENS9_16discard_iteratorINS9_11use_defaultEEEi11max_functorIiEiEEDaPvRmT3_T4_T5_mT6_P12ihipStream_tbENKUlT_T0_E_clISt17integral_constantIbLb1EESX_EEDaSS_ST_EUlSS_E_NS1_11comp_targetILNS1_3genE9ELNS1_11target_archE1100ELNS1_3gpuE3ELNS1_3repE0EEENS1_30default_config_static_selectorELNS0_4arch9wavefront6targetE1EEEvT1_,"axG",@progbits,_ZN7rocprim17ROCPRIM_400000_NS6detail17trampoline_kernelINS0_14default_configENS1_20scan_config_selectorIiEEZZNS1_9scan_implILNS1_25lookback_scan_determinismE0ELb1ELb1ES3_N6thrust23THRUST_200600_302600_NS6detail15normal_iteratorINS9_10device_ptrIiEEEENS9_16discard_iteratorINS9_11use_defaultEEEi11max_functorIiEiEEDaPvRmT3_T4_T5_mT6_P12ihipStream_tbENKUlT_T0_E_clISt17integral_constantIbLb1EESX_EEDaSS_ST_EUlSS_E_NS1_11comp_targetILNS1_3genE9ELNS1_11target_archE1100ELNS1_3gpuE3ELNS1_3repE0EEENS1_30default_config_static_selectorELNS0_4arch9wavefront6targetE1EEEvT1_,comdat
.Lfunc_end3951:
	.size	_ZN7rocprim17ROCPRIM_400000_NS6detail17trampoline_kernelINS0_14default_configENS1_20scan_config_selectorIiEEZZNS1_9scan_implILNS1_25lookback_scan_determinismE0ELb1ELb1ES3_N6thrust23THRUST_200600_302600_NS6detail15normal_iteratorINS9_10device_ptrIiEEEENS9_16discard_iteratorINS9_11use_defaultEEEi11max_functorIiEiEEDaPvRmT3_T4_T5_mT6_P12ihipStream_tbENKUlT_T0_E_clISt17integral_constantIbLb1EESX_EEDaSS_ST_EUlSS_E_NS1_11comp_targetILNS1_3genE9ELNS1_11target_archE1100ELNS1_3gpuE3ELNS1_3repE0EEENS1_30default_config_static_selectorELNS0_4arch9wavefront6targetE1EEEvT1_, .Lfunc_end3951-_ZN7rocprim17ROCPRIM_400000_NS6detail17trampoline_kernelINS0_14default_configENS1_20scan_config_selectorIiEEZZNS1_9scan_implILNS1_25lookback_scan_determinismE0ELb1ELb1ES3_N6thrust23THRUST_200600_302600_NS6detail15normal_iteratorINS9_10device_ptrIiEEEENS9_16discard_iteratorINS9_11use_defaultEEEi11max_functorIiEiEEDaPvRmT3_T4_T5_mT6_P12ihipStream_tbENKUlT_T0_E_clISt17integral_constantIbLb1EESX_EEDaSS_ST_EUlSS_E_NS1_11comp_targetILNS1_3genE9ELNS1_11target_archE1100ELNS1_3gpuE3ELNS1_3repE0EEENS1_30default_config_static_selectorELNS0_4arch9wavefront6targetE1EEEvT1_
                                        ; -- End function
	.section	.AMDGPU.csdata,"",@progbits
; Kernel info:
; codeLenInByte = 0
; NumSgprs: 4
; NumVgprs: 0
; NumAgprs: 0
; TotalNumVgprs: 0
; ScratchSize: 0
; MemoryBound: 0
; FloatMode: 240
; IeeeMode: 1
; LDSByteSize: 0 bytes/workgroup (compile time only)
; SGPRBlocks: 0
; VGPRBlocks: 0
; NumSGPRsForWavesPerEU: 4
; NumVGPRsForWavesPerEU: 1
; AccumOffset: 4
; Occupancy: 8
; WaveLimiterHint : 0
; COMPUTE_PGM_RSRC2:SCRATCH_EN: 0
; COMPUTE_PGM_RSRC2:USER_SGPR: 6
; COMPUTE_PGM_RSRC2:TRAP_HANDLER: 0
; COMPUTE_PGM_RSRC2:TGID_X_EN: 1
; COMPUTE_PGM_RSRC2:TGID_Y_EN: 0
; COMPUTE_PGM_RSRC2:TGID_Z_EN: 0
; COMPUTE_PGM_RSRC2:TIDIG_COMP_CNT: 0
; COMPUTE_PGM_RSRC3_GFX90A:ACCUM_OFFSET: 0
; COMPUTE_PGM_RSRC3_GFX90A:TG_SPLIT: 0
	.section	.text._ZN7rocprim17ROCPRIM_400000_NS6detail17trampoline_kernelINS0_14default_configENS1_20scan_config_selectorIiEEZZNS1_9scan_implILNS1_25lookback_scan_determinismE0ELb1ELb1ES3_N6thrust23THRUST_200600_302600_NS6detail15normal_iteratorINS9_10device_ptrIiEEEENS9_16discard_iteratorINS9_11use_defaultEEEi11max_functorIiEiEEDaPvRmT3_T4_T5_mT6_P12ihipStream_tbENKUlT_T0_E_clISt17integral_constantIbLb1EESX_EEDaSS_ST_EUlSS_E_NS1_11comp_targetILNS1_3genE8ELNS1_11target_archE1030ELNS1_3gpuE2ELNS1_3repE0EEENS1_30default_config_static_selectorELNS0_4arch9wavefront6targetE1EEEvT1_,"axG",@progbits,_ZN7rocprim17ROCPRIM_400000_NS6detail17trampoline_kernelINS0_14default_configENS1_20scan_config_selectorIiEEZZNS1_9scan_implILNS1_25lookback_scan_determinismE0ELb1ELb1ES3_N6thrust23THRUST_200600_302600_NS6detail15normal_iteratorINS9_10device_ptrIiEEEENS9_16discard_iteratorINS9_11use_defaultEEEi11max_functorIiEiEEDaPvRmT3_T4_T5_mT6_P12ihipStream_tbENKUlT_T0_E_clISt17integral_constantIbLb1EESX_EEDaSS_ST_EUlSS_E_NS1_11comp_targetILNS1_3genE8ELNS1_11target_archE1030ELNS1_3gpuE2ELNS1_3repE0EEENS1_30default_config_static_selectorELNS0_4arch9wavefront6targetE1EEEvT1_,comdat
	.protected	_ZN7rocprim17ROCPRIM_400000_NS6detail17trampoline_kernelINS0_14default_configENS1_20scan_config_selectorIiEEZZNS1_9scan_implILNS1_25lookback_scan_determinismE0ELb1ELb1ES3_N6thrust23THRUST_200600_302600_NS6detail15normal_iteratorINS9_10device_ptrIiEEEENS9_16discard_iteratorINS9_11use_defaultEEEi11max_functorIiEiEEDaPvRmT3_T4_T5_mT6_P12ihipStream_tbENKUlT_T0_E_clISt17integral_constantIbLb1EESX_EEDaSS_ST_EUlSS_E_NS1_11comp_targetILNS1_3genE8ELNS1_11target_archE1030ELNS1_3gpuE2ELNS1_3repE0EEENS1_30default_config_static_selectorELNS0_4arch9wavefront6targetE1EEEvT1_ ; -- Begin function _ZN7rocprim17ROCPRIM_400000_NS6detail17trampoline_kernelINS0_14default_configENS1_20scan_config_selectorIiEEZZNS1_9scan_implILNS1_25lookback_scan_determinismE0ELb1ELb1ES3_N6thrust23THRUST_200600_302600_NS6detail15normal_iteratorINS9_10device_ptrIiEEEENS9_16discard_iteratorINS9_11use_defaultEEEi11max_functorIiEiEEDaPvRmT3_T4_T5_mT6_P12ihipStream_tbENKUlT_T0_E_clISt17integral_constantIbLb1EESX_EEDaSS_ST_EUlSS_E_NS1_11comp_targetILNS1_3genE8ELNS1_11target_archE1030ELNS1_3gpuE2ELNS1_3repE0EEENS1_30default_config_static_selectorELNS0_4arch9wavefront6targetE1EEEvT1_
	.globl	_ZN7rocprim17ROCPRIM_400000_NS6detail17trampoline_kernelINS0_14default_configENS1_20scan_config_selectorIiEEZZNS1_9scan_implILNS1_25lookback_scan_determinismE0ELb1ELb1ES3_N6thrust23THRUST_200600_302600_NS6detail15normal_iteratorINS9_10device_ptrIiEEEENS9_16discard_iteratorINS9_11use_defaultEEEi11max_functorIiEiEEDaPvRmT3_T4_T5_mT6_P12ihipStream_tbENKUlT_T0_E_clISt17integral_constantIbLb1EESX_EEDaSS_ST_EUlSS_E_NS1_11comp_targetILNS1_3genE8ELNS1_11target_archE1030ELNS1_3gpuE2ELNS1_3repE0EEENS1_30default_config_static_selectorELNS0_4arch9wavefront6targetE1EEEvT1_
	.p2align	8
	.type	_ZN7rocprim17ROCPRIM_400000_NS6detail17trampoline_kernelINS0_14default_configENS1_20scan_config_selectorIiEEZZNS1_9scan_implILNS1_25lookback_scan_determinismE0ELb1ELb1ES3_N6thrust23THRUST_200600_302600_NS6detail15normal_iteratorINS9_10device_ptrIiEEEENS9_16discard_iteratorINS9_11use_defaultEEEi11max_functorIiEiEEDaPvRmT3_T4_T5_mT6_P12ihipStream_tbENKUlT_T0_E_clISt17integral_constantIbLb1EESX_EEDaSS_ST_EUlSS_E_NS1_11comp_targetILNS1_3genE8ELNS1_11target_archE1030ELNS1_3gpuE2ELNS1_3repE0EEENS1_30default_config_static_selectorELNS0_4arch9wavefront6targetE1EEEvT1_,@function
_ZN7rocprim17ROCPRIM_400000_NS6detail17trampoline_kernelINS0_14default_configENS1_20scan_config_selectorIiEEZZNS1_9scan_implILNS1_25lookback_scan_determinismE0ELb1ELb1ES3_N6thrust23THRUST_200600_302600_NS6detail15normal_iteratorINS9_10device_ptrIiEEEENS9_16discard_iteratorINS9_11use_defaultEEEi11max_functorIiEiEEDaPvRmT3_T4_T5_mT6_P12ihipStream_tbENKUlT_T0_E_clISt17integral_constantIbLb1EESX_EEDaSS_ST_EUlSS_E_NS1_11comp_targetILNS1_3genE8ELNS1_11target_archE1030ELNS1_3gpuE2ELNS1_3repE0EEENS1_30default_config_static_selectorELNS0_4arch9wavefront6targetE1EEEvT1_: ; @_ZN7rocprim17ROCPRIM_400000_NS6detail17trampoline_kernelINS0_14default_configENS1_20scan_config_selectorIiEEZZNS1_9scan_implILNS1_25lookback_scan_determinismE0ELb1ELb1ES3_N6thrust23THRUST_200600_302600_NS6detail15normal_iteratorINS9_10device_ptrIiEEEENS9_16discard_iteratorINS9_11use_defaultEEEi11max_functorIiEiEEDaPvRmT3_T4_T5_mT6_P12ihipStream_tbENKUlT_T0_E_clISt17integral_constantIbLb1EESX_EEDaSS_ST_EUlSS_E_NS1_11comp_targetILNS1_3genE8ELNS1_11target_archE1030ELNS1_3gpuE2ELNS1_3repE0EEENS1_30default_config_static_selectorELNS0_4arch9wavefront6targetE1EEEvT1_
; %bb.0:
	.section	.rodata,"a",@progbits
	.p2align	6, 0x0
	.amdhsa_kernel _ZN7rocprim17ROCPRIM_400000_NS6detail17trampoline_kernelINS0_14default_configENS1_20scan_config_selectorIiEEZZNS1_9scan_implILNS1_25lookback_scan_determinismE0ELb1ELb1ES3_N6thrust23THRUST_200600_302600_NS6detail15normal_iteratorINS9_10device_ptrIiEEEENS9_16discard_iteratorINS9_11use_defaultEEEi11max_functorIiEiEEDaPvRmT3_T4_T5_mT6_P12ihipStream_tbENKUlT_T0_E_clISt17integral_constantIbLb1EESX_EEDaSS_ST_EUlSS_E_NS1_11comp_targetILNS1_3genE8ELNS1_11target_archE1030ELNS1_3gpuE2ELNS1_3repE0EEENS1_30default_config_static_selectorELNS0_4arch9wavefront6targetE1EEEvT1_
		.amdhsa_group_segment_fixed_size 0
		.amdhsa_private_segment_fixed_size 0
		.amdhsa_kernarg_size 104
		.amdhsa_user_sgpr_count 6
		.amdhsa_user_sgpr_private_segment_buffer 1
		.amdhsa_user_sgpr_dispatch_ptr 0
		.amdhsa_user_sgpr_queue_ptr 0
		.amdhsa_user_sgpr_kernarg_segment_ptr 1
		.amdhsa_user_sgpr_dispatch_id 0
		.amdhsa_user_sgpr_flat_scratch_init 0
		.amdhsa_user_sgpr_kernarg_preload_length 0
		.amdhsa_user_sgpr_kernarg_preload_offset 0
		.amdhsa_user_sgpr_private_segment_size 0
		.amdhsa_uses_dynamic_stack 0
		.amdhsa_system_sgpr_private_segment_wavefront_offset 0
		.amdhsa_system_sgpr_workgroup_id_x 1
		.amdhsa_system_sgpr_workgroup_id_y 0
		.amdhsa_system_sgpr_workgroup_id_z 0
		.amdhsa_system_sgpr_workgroup_info 0
		.amdhsa_system_vgpr_workitem_id 0
		.amdhsa_next_free_vgpr 1
		.amdhsa_next_free_sgpr 0
		.amdhsa_accum_offset 4
		.amdhsa_reserve_vcc 0
		.amdhsa_reserve_flat_scratch 0
		.amdhsa_float_round_mode_32 0
		.amdhsa_float_round_mode_16_64 0
		.amdhsa_float_denorm_mode_32 3
		.amdhsa_float_denorm_mode_16_64 3
		.amdhsa_dx10_clamp 1
		.amdhsa_ieee_mode 1
		.amdhsa_fp16_overflow 0
		.amdhsa_tg_split 0
		.amdhsa_exception_fp_ieee_invalid_op 0
		.amdhsa_exception_fp_denorm_src 0
		.amdhsa_exception_fp_ieee_div_zero 0
		.amdhsa_exception_fp_ieee_overflow 0
		.amdhsa_exception_fp_ieee_underflow 0
		.amdhsa_exception_fp_ieee_inexact 0
		.amdhsa_exception_int_div_zero 0
	.end_amdhsa_kernel
	.section	.text._ZN7rocprim17ROCPRIM_400000_NS6detail17trampoline_kernelINS0_14default_configENS1_20scan_config_selectorIiEEZZNS1_9scan_implILNS1_25lookback_scan_determinismE0ELb1ELb1ES3_N6thrust23THRUST_200600_302600_NS6detail15normal_iteratorINS9_10device_ptrIiEEEENS9_16discard_iteratorINS9_11use_defaultEEEi11max_functorIiEiEEDaPvRmT3_T4_T5_mT6_P12ihipStream_tbENKUlT_T0_E_clISt17integral_constantIbLb1EESX_EEDaSS_ST_EUlSS_E_NS1_11comp_targetILNS1_3genE8ELNS1_11target_archE1030ELNS1_3gpuE2ELNS1_3repE0EEENS1_30default_config_static_selectorELNS0_4arch9wavefront6targetE1EEEvT1_,"axG",@progbits,_ZN7rocprim17ROCPRIM_400000_NS6detail17trampoline_kernelINS0_14default_configENS1_20scan_config_selectorIiEEZZNS1_9scan_implILNS1_25lookback_scan_determinismE0ELb1ELb1ES3_N6thrust23THRUST_200600_302600_NS6detail15normal_iteratorINS9_10device_ptrIiEEEENS9_16discard_iteratorINS9_11use_defaultEEEi11max_functorIiEiEEDaPvRmT3_T4_T5_mT6_P12ihipStream_tbENKUlT_T0_E_clISt17integral_constantIbLb1EESX_EEDaSS_ST_EUlSS_E_NS1_11comp_targetILNS1_3genE8ELNS1_11target_archE1030ELNS1_3gpuE2ELNS1_3repE0EEENS1_30default_config_static_selectorELNS0_4arch9wavefront6targetE1EEEvT1_,comdat
.Lfunc_end3952:
	.size	_ZN7rocprim17ROCPRIM_400000_NS6detail17trampoline_kernelINS0_14default_configENS1_20scan_config_selectorIiEEZZNS1_9scan_implILNS1_25lookback_scan_determinismE0ELb1ELb1ES3_N6thrust23THRUST_200600_302600_NS6detail15normal_iteratorINS9_10device_ptrIiEEEENS9_16discard_iteratorINS9_11use_defaultEEEi11max_functorIiEiEEDaPvRmT3_T4_T5_mT6_P12ihipStream_tbENKUlT_T0_E_clISt17integral_constantIbLb1EESX_EEDaSS_ST_EUlSS_E_NS1_11comp_targetILNS1_3genE8ELNS1_11target_archE1030ELNS1_3gpuE2ELNS1_3repE0EEENS1_30default_config_static_selectorELNS0_4arch9wavefront6targetE1EEEvT1_, .Lfunc_end3952-_ZN7rocprim17ROCPRIM_400000_NS6detail17trampoline_kernelINS0_14default_configENS1_20scan_config_selectorIiEEZZNS1_9scan_implILNS1_25lookback_scan_determinismE0ELb1ELb1ES3_N6thrust23THRUST_200600_302600_NS6detail15normal_iteratorINS9_10device_ptrIiEEEENS9_16discard_iteratorINS9_11use_defaultEEEi11max_functorIiEiEEDaPvRmT3_T4_T5_mT6_P12ihipStream_tbENKUlT_T0_E_clISt17integral_constantIbLb1EESX_EEDaSS_ST_EUlSS_E_NS1_11comp_targetILNS1_3genE8ELNS1_11target_archE1030ELNS1_3gpuE2ELNS1_3repE0EEENS1_30default_config_static_selectorELNS0_4arch9wavefront6targetE1EEEvT1_
                                        ; -- End function
	.section	.AMDGPU.csdata,"",@progbits
; Kernel info:
; codeLenInByte = 0
; NumSgprs: 4
; NumVgprs: 0
; NumAgprs: 0
; TotalNumVgprs: 0
; ScratchSize: 0
; MemoryBound: 0
; FloatMode: 240
; IeeeMode: 1
; LDSByteSize: 0 bytes/workgroup (compile time only)
; SGPRBlocks: 0
; VGPRBlocks: 0
; NumSGPRsForWavesPerEU: 4
; NumVGPRsForWavesPerEU: 1
; AccumOffset: 4
; Occupancy: 8
; WaveLimiterHint : 0
; COMPUTE_PGM_RSRC2:SCRATCH_EN: 0
; COMPUTE_PGM_RSRC2:USER_SGPR: 6
; COMPUTE_PGM_RSRC2:TRAP_HANDLER: 0
; COMPUTE_PGM_RSRC2:TGID_X_EN: 1
; COMPUTE_PGM_RSRC2:TGID_Y_EN: 0
; COMPUTE_PGM_RSRC2:TGID_Z_EN: 0
; COMPUTE_PGM_RSRC2:TIDIG_COMP_CNT: 0
; COMPUTE_PGM_RSRC3_GFX90A:ACCUM_OFFSET: 0
; COMPUTE_PGM_RSRC3_GFX90A:TG_SPLIT: 0
	.section	.text._ZN7rocprim17ROCPRIM_400000_NS6detail17trampoline_kernelINS0_14default_configENS1_20scan_config_selectorIiEEZZNS1_9scan_implILNS1_25lookback_scan_determinismE0ELb1ELb1ES3_N6thrust23THRUST_200600_302600_NS6detail15normal_iteratorINS9_10device_ptrIiEEEENS9_16discard_iteratorINS9_11use_defaultEEEi11max_functorIiEiEEDaPvRmT3_T4_T5_mT6_P12ihipStream_tbENKUlT_T0_E_clISt17integral_constantIbLb1EESX_EEDaSS_ST_EUlSS_E0_NS1_11comp_targetILNS1_3genE0ELNS1_11target_archE4294967295ELNS1_3gpuE0ELNS1_3repE0EEENS1_30default_config_static_selectorELNS0_4arch9wavefront6targetE1EEEvT1_,"axG",@progbits,_ZN7rocprim17ROCPRIM_400000_NS6detail17trampoline_kernelINS0_14default_configENS1_20scan_config_selectorIiEEZZNS1_9scan_implILNS1_25lookback_scan_determinismE0ELb1ELb1ES3_N6thrust23THRUST_200600_302600_NS6detail15normal_iteratorINS9_10device_ptrIiEEEENS9_16discard_iteratorINS9_11use_defaultEEEi11max_functorIiEiEEDaPvRmT3_T4_T5_mT6_P12ihipStream_tbENKUlT_T0_E_clISt17integral_constantIbLb1EESX_EEDaSS_ST_EUlSS_E0_NS1_11comp_targetILNS1_3genE0ELNS1_11target_archE4294967295ELNS1_3gpuE0ELNS1_3repE0EEENS1_30default_config_static_selectorELNS0_4arch9wavefront6targetE1EEEvT1_,comdat
	.protected	_ZN7rocprim17ROCPRIM_400000_NS6detail17trampoline_kernelINS0_14default_configENS1_20scan_config_selectorIiEEZZNS1_9scan_implILNS1_25lookback_scan_determinismE0ELb1ELb1ES3_N6thrust23THRUST_200600_302600_NS6detail15normal_iteratorINS9_10device_ptrIiEEEENS9_16discard_iteratorINS9_11use_defaultEEEi11max_functorIiEiEEDaPvRmT3_T4_T5_mT6_P12ihipStream_tbENKUlT_T0_E_clISt17integral_constantIbLb1EESX_EEDaSS_ST_EUlSS_E0_NS1_11comp_targetILNS1_3genE0ELNS1_11target_archE4294967295ELNS1_3gpuE0ELNS1_3repE0EEENS1_30default_config_static_selectorELNS0_4arch9wavefront6targetE1EEEvT1_ ; -- Begin function _ZN7rocprim17ROCPRIM_400000_NS6detail17trampoline_kernelINS0_14default_configENS1_20scan_config_selectorIiEEZZNS1_9scan_implILNS1_25lookback_scan_determinismE0ELb1ELb1ES3_N6thrust23THRUST_200600_302600_NS6detail15normal_iteratorINS9_10device_ptrIiEEEENS9_16discard_iteratorINS9_11use_defaultEEEi11max_functorIiEiEEDaPvRmT3_T4_T5_mT6_P12ihipStream_tbENKUlT_T0_E_clISt17integral_constantIbLb1EESX_EEDaSS_ST_EUlSS_E0_NS1_11comp_targetILNS1_3genE0ELNS1_11target_archE4294967295ELNS1_3gpuE0ELNS1_3repE0EEENS1_30default_config_static_selectorELNS0_4arch9wavefront6targetE1EEEvT1_
	.globl	_ZN7rocprim17ROCPRIM_400000_NS6detail17trampoline_kernelINS0_14default_configENS1_20scan_config_selectorIiEEZZNS1_9scan_implILNS1_25lookback_scan_determinismE0ELb1ELb1ES3_N6thrust23THRUST_200600_302600_NS6detail15normal_iteratorINS9_10device_ptrIiEEEENS9_16discard_iteratorINS9_11use_defaultEEEi11max_functorIiEiEEDaPvRmT3_T4_T5_mT6_P12ihipStream_tbENKUlT_T0_E_clISt17integral_constantIbLb1EESX_EEDaSS_ST_EUlSS_E0_NS1_11comp_targetILNS1_3genE0ELNS1_11target_archE4294967295ELNS1_3gpuE0ELNS1_3repE0EEENS1_30default_config_static_selectorELNS0_4arch9wavefront6targetE1EEEvT1_
	.p2align	8
	.type	_ZN7rocprim17ROCPRIM_400000_NS6detail17trampoline_kernelINS0_14default_configENS1_20scan_config_selectorIiEEZZNS1_9scan_implILNS1_25lookback_scan_determinismE0ELb1ELb1ES3_N6thrust23THRUST_200600_302600_NS6detail15normal_iteratorINS9_10device_ptrIiEEEENS9_16discard_iteratorINS9_11use_defaultEEEi11max_functorIiEiEEDaPvRmT3_T4_T5_mT6_P12ihipStream_tbENKUlT_T0_E_clISt17integral_constantIbLb1EESX_EEDaSS_ST_EUlSS_E0_NS1_11comp_targetILNS1_3genE0ELNS1_11target_archE4294967295ELNS1_3gpuE0ELNS1_3repE0EEENS1_30default_config_static_selectorELNS0_4arch9wavefront6targetE1EEEvT1_,@function
_ZN7rocprim17ROCPRIM_400000_NS6detail17trampoline_kernelINS0_14default_configENS1_20scan_config_selectorIiEEZZNS1_9scan_implILNS1_25lookback_scan_determinismE0ELb1ELb1ES3_N6thrust23THRUST_200600_302600_NS6detail15normal_iteratorINS9_10device_ptrIiEEEENS9_16discard_iteratorINS9_11use_defaultEEEi11max_functorIiEiEEDaPvRmT3_T4_T5_mT6_P12ihipStream_tbENKUlT_T0_E_clISt17integral_constantIbLb1EESX_EEDaSS_ST_EUlSS_E0_NS1_11comp_targetILNS1_3genE0ELNS1_11target_archE4294967295ELNS1_3gpuE0ELNS1_3repE0EEENS1_30default_config_static_selectorELNS0_4arch9wavefront6targetE1EEEvT1_: ; @_ZN7rocprim17ROCPRIM_400000_NS6detail17trampoline_kernelINS0_14default_configENS1_20scan_config_selectorIiEEZZNS1_9scan_implILNS1_25lookback_scan_determinismE0ELb1ELb1ES3_N6thrust23THRUST_200600_302600_NS6detail15normal_iteratorINS9_10device_ptrIiEEEENS9_16discard_iteratorINS9_11use_defaultEEEi11max_functorIiEiEEDaPvRmT3_T4_T5_mT6_P12ihipStream_tbENKUlT_T0_E_clISt17integral_constantIbLb1EESX_EEDaSS_ST_EUlSS_E0_NS1_11comp_targetILNS1_3genE0ELNS1_11target_archE4294967295ELNS1_3gpuE0ELNS1_3repE0EEENS1_30default_config_static_selectorELNS0_4arch9wavefront6targetE1EEEvT1_
; %bb.0:
	.section	.rodata,"a",@progbits
	.p2align	6, 0x0
	.amdhsa_kernel _ZN7rocprim17ROCPRIM_400000_NS6detail17trampoline_kernelINS0_14default_configENS1_20scan_config_selectorIiEEZZNS1_9scan_implILNS1_25lookback_scan_determinismE0ELb1ELb1ES3_N6thrust23THRUST_200600_302600_NS6detail15normal_iteratorINS9_10device_ptrIiEEEENS9_16discard_iteratorINS9_11use_defaultEEEi11max_functorIiEiEEDaPvRmT3_T4_T5_mT6_P12ihipStream_tbENKUlT_T0_E_clISt17integral_constantIbLb1EESX_EEDaSS_ST_EUlSS_E0_NS1_11comp_targetILNS1_3genE0ELNS1_11target_archE4294967295ELNS1_3gpuE0ELNS1_3repE0EEENS1_30default_config_static_selectorELNS0_4arch9wavefront6targetE1EEEvT1_
		.amdhsa_group_segment_fixed_size 0
		.amdhsa_private_segment_fixed_size 0
		.amdhsa_kernarg_size 40
		.amdhsa_user_sgpr_count 6
		.amdhsa_user_sgpr_private_segment_buffer 1
		.amdhsa_user_sgpr_dispatch_ptr 0
		.amdhsa_user_sgpr_queue_ptr 0
		.amdhsa_user_sgpr_kernarg_segment_ptr 1
		.amdhsa_user_sgpr_dispatch_id 0
		.amdhsa_user_sgpr_flat_scratch_init 0
		.amdhsa_user_sgpr_kernarg_preload_length 0
		.amdhsa_user_sgpr_kernarg_preload_offset 0
		.amdhsa_user_sgpr_private_segment_size 0
		.amdhsa_uses_dynamic_stack 0
		.amdhsa_system_sgpr_private_segment_wavefront_offset 0
		.amdhsa_system_sgpr_workgroup_id_x 1
		.amdhsa_system_sgpr_workgroup_id_y 0
		.amdhsa_system_sgpr_workgroup_id_z 0
		.amdhsa_system_sgpr_workgroup_info 0
		.amdhsa_system_vgpr_workitem_id 0
		.amdhsa_next_free_vgpr 1
		.amdhsa_next_free_sgpr 0
		.amdhsa_accum_offset 4
		.amdhsa_reserve_vcc 0
		.amdhsa_reserve_flat_scratch 0
		.amdhsa_float_round_mode_32 0
		.amdhsa_float_round_mode_16_64 0
		.amdhsa_float_denorm_mode_32 3
		.amdhsa_float_denorm_mode_16_64 3
		.amdhsa_dx10_clamp 1
		.amdhsa_ieee_mode 1
		.amdhsa_fp16_overflow 0
		.amdhsa_tg_split 0
		.amdhsa_exception_fp_ieee_invalid_op 0
		.amdhsa_exception_fp_denorm_src 0
		.amdhsa_exception_fp_ieee_div_zero 0
		.amdhsa_exception_fp_ieee_overflow 0
		.amdhsa_exception_fp_ieee_underflow 0
		.amdhsa_exception_fp_ieee_inexact 0
		.amdhsa_exception_int_div_zero 0
	.end_amdhsa_kernel
	.section	.text._ZN7rocprim17ROCPRIM_400000_NS6detail17trampoline_kernelINS0_14default_configENS1_20scan_config_selectorIiEEZZNS1_9scan_implILNS1_25lookback_scan_determinismE0ELb1ELb1ES3_N6thrust23THRUST_200600_302600_NS6detail15normal_iteratorINS9_10device_ptrIiEEEENS9_16discard_iteratorINS9_11use_defaultEEEi11max_functorIiEiEEDaPvRmT3_T4_T5_mT6_P12ihipStream_tbENKUlT_T0_E_clISt17integral_constantIbLb1EESX_EEDaSS_ST_EUlSS_E0_NS1_11comp_targetILNS1_3genE0ELNS1_11target_archE4294967295ELNS1_3gpuE0ELNS1_3repE0EEENS1_30default_config_static_selectorELNS0_4arch9wavefront6targetE1EEEvT1_,"axG",@progbits,_ZN7rocprim17ROCPRIM_400000_NS6detail17trampoline_kernelINS0_14default_configENS1_20scan_config_selectorIiEEZZNS1_9scan_implILNS1_25lookback_scan_determinismE0ELb1ELb1ES3_N6thrust23THRUST_200600_302600_NS6detail15normal_iteratorINS9_10device_ptrIiEEEENS9_16discard_iteratorINS9_11use_defaultEEEi11max_functorIiEiEEDaPvRmT3_T4_T5_mT6_P12ihipStream_tbENKUlT_T0_E_clISt17integral_constantIbLb1EESX_EEDaSS_ST_EUlSS_E0_NS1_11comp_targetILNS1_3genE0ELNS1_11target_archE4294967295ELNS1_3gpuE0ELNS1_3repE0EEENS1_30default_config_static_selectorELNS0_4arch9wavefront6targetE1EEEvT1_,comdat
.Lfunc_end3953:
	.size	_ZN7rocprim17ROCPRIM_400000_NS6detail17trampoline_kernelINS0_14default_configENS1_20scan_config_selectorIiEEZZNS1_9scan_implILNS1_25lookback_scan_determinismE0ELb1ELb1ES3_N6thrust23THRUST_200600_302600_NS6detail15normal_iteratorINS9_10device_ptrIiEEEENS9_16discard_iteratorINS9_11use_defaultEEEi11max_functorIiEiEEDaPvRmT3_T4_T5_mT6_P12ihipStream_tbENKUlT_T0_E_clISt17integral_constantIbLb1EESX_EEDaSS_ST_EUlSS_E0_NS1_11comp_targetILNS1_3genE0ELNS1_11target_archE4294967295ELNS1_3gpuE0ELNS1_3repE0EEENS1_30default_config_static_selectorELNS0_4arch9wavefront6targetE1EEEvT1_, .Lfunc_end3953-_ZN7rocprim17ROCPRIM_400000_NS6detail17trampoline_kernelINS0_14default_configENS1_20scan_config_selectorIiEEZZNS1_9scan_implILNS1_25lookback_scan_determinismE0ELb1ELb1ES3_N6thrust23THRUST_200600_302600_NS6detail15normal_iteratorINS9_10device_ptrIiEEEENS9_16discard_iteratorINS9_11use_defaultEEEi11max_functorIiEiEEDaPvRmT3_T4_T5_mT6_P12ihipStream_tbENKUlT_T0_E_clISt17integral_constantIbLb1EESX_EEDaSS_ST_EUlSS_E0_NS1_11comp_targetILNS1_3genE0ELNS1_11target_archE4294967295ELNS1_3gpuE0ELNS1_3repE0EEENS1_30default_config_static_selectorELNS0_4arch9wavefront6targetE1EEEvT1_
                                        ; -- End function
	.section	.AMDGPU.csdata,"",@progbits
; Kernel info:
; codeLenInByte = 0
; NumSgprs: 4
; NumVgprs: 0
; NumAgprs: 0
; TotalNumVgprs: 0
; ScratchSize: 0
; MemoryBound: 0
; FloatMode: 240
; IeeeMode: 1
; LDSByteSize: 0 bytes/workgroup (compile time only)
; SGPRBlocks: 0
; VGPRBlocks: 0
; NumSGPRsForWavesPerEU: 4
; NumVGPRsForWavesPerEU: 1
; AccumOffset: 4
; Occupancy: 8
; WaveLimiterHint : 0
; COMPUTE_PGM_RSRC2:SCRATCH_EN: 0
; COMPUTE_PGM_RSRC2:USER_SGPR: 6
; COMPUTE_PGM_RSRC2:TRAP_HANDLER: 0
; COMPUTE_PGM_RSRC2:TGID_X_EN: 1
; COMPUTE_PGM_RSRC2:TGID_Y_EN: 0
; COMPUTE_PGM_RSRC2:TGID_Z_EN: 0
; COMPUTE_PGM_RSRC2:TIDIG_COMP_CNT: 0
; COMPUTE_PGM_RSRC3_GFX90A:ACCUM_OFFSET: 0
; COMPUTE_PGM_RSRC3_GFX90A:TG_SPLIT: 0
	.section	.text._ZN7rocprim17ROCPRIM_400000_NS6detail17trampoline_kernelINS0_14default_configENS1_20scan_config_selectorIiEEZZNS1_9scan_implILNS1_25lookback_scan_determinismE0ELb1ELb1ES3_N6thrust23THRUST_200600_302600_NS6detail15normal_iteratorINS9_10device_ptrIiEEEENS9_16discard_iteratorINS9_11use_defaultEEEi11max_functorIiEiEEDaPvRmT3_T4_T5_mT6_P12ihipStream_tbENKUlT_T0_E_clISt17integral_constantIbLb1EESX_EEDaSS_ST_EUlSS_E0_NS1_11comp_targetILNS1_3genE5ELNS1_11target_archE942ELNS1_3gpuE9ELNS1_3repE0EEENS1_30default_config_static_selectorELNS0_4arch9wavefront6targetE1EEEvT1_,"axG",@progbits,_ZN7rocprim17ROCPRIM_400000_NS6detail17trampoline_kernelINS0_14default_configENS1_20scan_config_selectorIiEEZZNS1_9scan_implILNS1_25lookback_scan_determinismE0ELb1ELb1ES3_N6thrust23THRUST_200600_302600_NS6detail15normal_iteratorINS9_10device_ptrIiEEEENS9_16discard_iteratorINS9_11use_defaultEEEi11max_functorIiEiEEDaPvRmT3_T4_T5_mT6_P12ihipStream_tbENKUlT_T0_E_clISt17integral_constantIbLb1EESX_EEDaSS_ST_EUlSS_E0_NS1_11comp_targetILNS1_3genE5ELNS1_11target_archE942ELNS1_3gpuE9ELNS1_3repE0EEENS1_30default_config_static_selectorELNS0_4arch9wavefront6targetE1EEEvT1_,comdat
	.protected	_ZN7rocprim17ROCPRIM_400000_NS6detail17trampoline_kernelINS0_14default_configENS1_20scan_config_selectorIiEEZZNS1_9scan_implILNS1_25lookback_scan_determinismE0ELb1ELb1ES3_N6thrust23THRUST_200600_302600_NS6detail15normal_iteratorINS9_10device_ptrIiEEEENS9_16discard_iteratorINS9_11use_defaultEEEi11max_functorIiEiEEDaPvRmT3_T4_T5_mT6_P12ihipStream_tbENKUlT_T0_E_clISt17integral_constantIbLb1EESX_EEDaSS_ST_EUlSS_E0_NS1_11comp_targetILNS1_3genE5ELNS1_11target_archE942ELNS1_3gpuE9ELNS1_3repE0EEENS1_30default_config_static_selectorELNS0_4arch9wavefront6targetE1EEEvT1_ ; -- Begin function _ZN7rocprim17ROCPRIM_400000_NS6detail17trampoline_kernelINS0_14default_configENS1_20scan_config_selectorIiEEZZNS1_9scan_implILNS1_25lookback_scan_determinismE0ELb1ELb1ES3_N6thrust23THRUST_200600_302600_NS6detail15normal_iteratorINS9_10device_ptrIiEEEENS9_16discard_iteratorINS9_11use_defaultEEEi11max_functorIiEiEEDaPvRmT3_T4_T5_mT6_P12ihipStream_tbENKUlT_T0_E_clISt17integral_constantIbLb1EESX_EEDaSS_ST_EUlSS_E0_NS1_11comp_targetILNS1_3genE5ELNS1_11target_archE942ELNS1_3gpuE9ELNS1_3repE0EEENS1_30default_config_static_selectorELNS0_4arch9wavefront6targetE1EEEvT1_
	.globl	_ZN7rocprim17ROCPRIM_400000_NS6detail17trampoline_kernelINS0_14default_configENS1_20scan_config_selectorIiEEZZNS1_9scan_implILNS1_25lookback_scan_determinismE0ELb1ELb1ES3_N6thrust23THRUST_200600_302600_NS6detail15normal_iteratorINS9_10device_ptrIiEEEENS9_16discard_iteratorINS9_11use_defaultEEEi11max_functorIiEiEEDaPvRmT3_T4_T5_mT6_P12ihipStream_tbENKUlT_T0_E_clISt17integral_constantIbLb1EESX_EEDaSS_ST_EUlSS_E0_NS1_11comp_targetILNS1_3genE5ELNS1_11target_archE942ELNS1_3gpuE9ELNS1_3repE0EEENS1_30default_config_static_selectorELNS0_4arch9wavefront6targetE1EEEvT1_
	.p2align	8
	.type	_ZN7rocprim17ROCPRIM_400000_NS6detail17trampoline_kernelINS0_14default_configENS1_20scan_config_selectorIiEEZZNS1_9scan_implILNS1_25lookback_scan_determinismE0ELb1ELb1ES3_N6thrust23THRUST_200600_302600_NS6detail15normal_iteratorINS9_10device_ptrIiEEEENS9_16discard_iteratorINS9_11use_defaultEEEi11max_functorIiEiEEDaPvRmT3_T4_T5_mT6_P12ihipStream_tbENKUlT_T0_E_clISt17integral_constantIbLb1EESX_EEDaSS_ST_EUlSS_E0_NS1_11comp_targetILNS1_3genE5ELNS1_11target_archE942ELNS1_3gpuE9ELNS1_3repE0EEENS1_30default_config_static_selectorELNS0_4arch9wavefront6targetE1EEEvT1_,@function
_ZN7rocprim17ROCPRIM_400000_NS6detail17trampoline_kernelINS0_14default_configENS1_20scan_config_selectorIiEEZZNS1_9scan_implILNS1_25lookback_scan_determinismE0ELb1ELb1ES3_N6thrust23THRUST_200600_302600_NS6detail15normal_iteratorINS9_10device_ptrIiEEEENS9_16discard_iteratorINS9_11use_defaultEEEi11max_functorIiEiEEDaPvRmT3_T4_T5_mT6_P12ihipStream_tbENKUlT_T0_E_clISt17integral_constantIbLb1EESX_EEDaSS_ST_EUlSS_E0_NS1_11comp_targetILNS1_3genE5ELNS1_11target_archE942ELNS1_3gpuE9ELNS1_3repE0EEENS1_30default_config_static_selectorELNS0_4arch9wavefront6targetE1EEEvT1_: ; @_ZN7rocprim17ROCPRIM_400000_NS6detail17trampoline_kernelINS0_14default_configENS1_20scan_config_selectorIiEEZZNS1_9scan_implILNS1_25lookback_scan_determinismE0ELb1ELb1ES3_N6thrust23THRUST_200600_302600_NS6detail15normal_iteratorINS9_10device_ptrIiEEEENS9_16discard_iteratorINS9_11use_defaultEEEi11max_functorIiEiEEDaPvRmT3_T4_T5_mT6_P12ihipStream_tbENKUlT_T0_E_clISt17integral_constantIbLb1EESX_EEDaSS_ST_EUlSS_E0_NS1_11comp_targetILNS1_3genE5ELNS1_11target_archE942ELNS1_3gpuE9ELNS1_3repE0EEENS1_30default_config_static_selectorELNS0_4arch9wavefront6targetE1EEEvT1_
; %bb.0:
	.section	.rodata,"a",@progbits
	.p2align	6, 0x0
	.amdhsa_kernel _ZN7rocprim17ROCPRIM_400000_NS6detail17trampoline_kernelINS0_14default_configENS1_20scan_config_selectorIiEEZZNS1_9scan_implILNS1_25lookback_scan_determinismE0ELb1ELb1ES3_N6thrust23THRUST_200600_302600_NS6detail15normal_iteratorINS9_10device_ptrIiEEEENS9_16discard_iteratorINS9_11use_defaultEEEi11max_functorIiEiEEDaPvRmT3_T4_T5_mT6_P12ihipStream_tbENKUlT_T0_E_clISt17integral_constantIbLb1EESX_EEDaSS_ST_EUlSS_E0_NS1_11comp_targetILNS1_3genE5ELNS1_11target_archE942ELNS1_3gpuE9ELNS1_3repE0EEENS1_30default_config_static_selectorELNS0_4arch9wavefront6targetE1EEEvT1_
		.amdhsa_group_segment_fixed_size 0
		.amdhsa_private_segment_fixed_size 0
		.amdhsa_kernarg_size 40
		.amdhsa_user_sgpr_count 6
		.amdhsa_user_sgpr_private_segment_buffer 1
		.amdhsa_user_sgpr_dispatch_ptr 0
		.amdhsa_user_sgpr_queue_ptr 0
		.amdhsa_user_sgpr_kernarg_segment_ptr 1
		.amdhsa_user_sgpr_dispatch_id 0
		.amdhsa_user_sgpr_flat_scratch_init 0
		.amdhsa_user_sgpr_kernarg_preload_length 0
		.amdhsa_user_sgpr_kernarg_preload_offset 0
		.amdhsa_user_sgpr_private_segment_size 0
		.amdhsa_uses_dynamic_stack 0
		.amdhsa_system_sgpr_private_segment_wavefront_offset 0
		.amdhsa_system_sgpr_workgroup_id_x 1
		.amdhsa_system_sgpr_workgroup_id_y 0
		.amdhsa_system_sgpr_workgroup_id_z 0
		.amdhsa_system_sgpr_workgroup_info 0
		.amdhsa_system_vgpr_workitem_id 0
		.amdhsa_next_free_vgpr 1
		.amdhsa_next_free_sgpr 0
		.amdhsa_accum_offset 4
		.amdhsa_reserve_vcc 0
		.amdhsa_reserve_flat_scratch 0
		.amdhsa_float_round_mode_32 0
		.amdhsa_float_round_mode_16_64 0
		.amdhsa_float_denorm_mode_32 3
		.amdhsa_float_denorm_mode_16_64 3
		.amdhsa_dx10_clamp 1
		.amdhsa_ieee_mode 1
		.amdhsa_fp16_overflow 0
		.amdhsa_tg_split 0
		.amdhsa_exception_fp_ieee_invalid_op 0
		.amdhsa_exception_fp_denorm_src 0
		.amdhsa_exception_fp_ieee_div_zero 0
		.amdhsa_exception_fp_ieee_overflow 0
		.amdhsa_exception_fp_ieee_underflow 0
		.amdhsa_exception_fp_ieee_inexact 0
		.amdhsa_exception_int_div_zero 0
	.end_amdhsa_kernel
	.section	.text._ZN7rocprim17ROCPRIM_400000_NS6detail17trampoline_kernelINS0_14default_configENS1_20scan_config_selectorIiEEZZNS1_9scan_implILNS1_25lookback_scan_determinismE0ELb1ELb1ES3_N6thrust23THRUST_200600_302600_NS6detail15normal_iteratorINS9_10device_ptrIiEEEENS9_16discard_iteratorINS9_11use_defaultEEEi11max_functorIiEiEEDaPvRmT3_T4_T5_mT6_P12ihipStream_tbENKUlT_T0_E_clISt17integral_constantIbLb1EESX_EEDaSS_ST_EUlSS_E0_NS1_11comp_targetILNS1_3genE5ELNS1_11target_archE942ELNS1_3gpuE9ELNS1_3repE0EEENS1_30default_config_static_selectorELNS0_4arch9wavefront6targetE1EEEvT1_,"axG",@progbits,_ZN7rocprim17ROCPRIM_400000_NS6detail17trampoline_kernelINS0_14default_configENS1_20scan_config_selectorIiEEZZNS1_9scan_implILNS1_25lookback_scan_determinismE0ELb1ELb1ES3_N6thrust23THRUST_200600_302600_NS6detail15normal_iteratorINS9_10device_ptrIiEEEENS9_16discard_iteratorINS9_11use_defaultEEEi11max_functorIiEiEEDaPvRmT3_T4_T5_mT6_P12ihipStream_tbENKUlT_T0_E_clISt17integral_constantIbLb1EESX_EEDaSS_ST_EUlSS_E0_NS1_11comp_targetILNS1_3genE5ELNS1_11target_archE942ELNS1_3gpuE9ELNS1_3repE0EEENS1_30default_config_static_selectorELNS0_4arch9wavefront6targetE1EEEvT1_,comdat
.Lfunc_end3954:
	.size	_ZN7rocprim17ROCPRIM_400000_NS6detail17trampoline_kernelINS0_14default_configENS1_20scan_config_selectorIiEEZZNS1_9scan_implILNS1_25lookback_scan_determinismE0ELb1ELb1ES3_N6thrust23THRUST_200600_302600_NS6detail15normal_iteratorINS9_10device_ptrIiEEEENS9_16discard_iteratorINS9_11use_defaultEEEi11max_functorIiEiEEDaPvRmT3_T4_T5_mT6_P12ihipStream_tbENKUlT_T0_E_clISt17integral_constantIbLb1EESX_EEDaSS_ST_EUlSS_E0_NS1_11comp_targetILNS1_3genE5ELNS1_11target_archE942ELNS1_3gpuE9ELNS1_3repE0EEENS1_30default_config_static_selectorELNS0_4arch9wavefront6targetE1EEEvT1_, .Lfunc_end3954-_ZN7rocprim17ROCPRIM_400000_NS6detail17trampoline_kernelINS0_14default_configENS1_20scan_config_selectorIiEEZZNS1_9scan_implILNS1_25lookback_scan_determinismE0ELb1ELb1ES3_N6thrust23THRUST_200600_302600_NS6detail15normal_iteratorINS9_10device_ptrIiEEEENS9_16discard_iteratorINS9_11use_defaultEEEi11max_functorIiEiEEDaPvRmT3_T4_T5_mT6_P12ihipStream_tbENKUlT_T0_E_clISt17integral_constantIbLb1EESX_EEDaSS_ST_EUlSS_E0_NS1_11comp_targetILNS1_3genE5ELNS1_11target_archE942ELNS1_3gpuE9ELNS1_3repE0EEENS1_30default_config_static_selectorELNS0_4arch9wavefront6targetE1EEEvT1_
                                        ; -- End function
	.section	.AMDGPU.csdata,"",@progbits
; Kernel info:
; codeLenInByte = 0
; NumSgprs: 4
; NumVgprs: 0
; NumAgprs: 0
; TotalNumVgprs: 0
; ScratchSize: 0
; MemoryBound: 0
; FloatMode: 240
; IeeeMode: 1
; LDSByteSize: 0 bytes/workgroup (compile time only)
; SGPRBlocks: 0
; VGPRBlocks: 0
; NumSGPRsForWavesPerEU: 4
; NumVGPRsForWavesPerEU: 1
; AccumOffset: 4
; Occupancy: 8
; WaveLimiterHint : 0
; COMPUTE_PGM_RSRC2:SCRATCH_EN: 0
; COMPUTE_PGM_RSRC2:USER_SGPR: 6
; COMPUTE_PGM_RSRC2:TRAP_HANDLER: 0
; COMPUTE_PGM_RSRC2:TGID_X_EN: 1
; COMPUTE_PGM_RSRC2:TGID_Y_EN: 0
; COMPUTE_PGM_RSRC2:TGID_Z_EN: 0
; COMPUTE_PGM_RSRC2:TIDIG_COMP_CNT: 0
; COMPUTE_PGM_RSRC3_GFX90A:ACCUM_OFFSET: 0
; COMPUTE_PGM_RSRC3_GFX90A:TG_SPLIT: 0
	.section	.text._ZN7rocprim17ROCPRIM_400000_NS6detail17trampoline_kernelINS0_14default_configENS1_20scan_config_selectorIiEEZZNS1_9scan_implILNS1_25lookback_scan_determinismE0ELb1ELb1ES3_N6thrust23THRUST_200600_302600_NS6detail15normal_iteratorINS9_10device_ptrIiEEEENS9_16discard_iteratorINS9_11use_defaultEEEi11max_functorIiEiEEDaPvRmT3_T4_T5_mT6_P12ihipStream_tbENKUlT_T0_E_clISt17integral_constantIbLb1EESX_EEDaSS_ST_EUlSS_E0_NS1_11comp_targetILNS1_3genE4ELNS1_11target_archE910ELNS1_3gpuE8ELNS1_3repE0EEENS1_30default_config_static_selectorELNS0_4arch9wavefront6targetE1EEEvT1_,"axG",@progbits,_ZN7rocprim17ROCPRIM_400000_NS6detail17trampoline_kernelINS0_14default_configENS1_20scan_config_selectorIiEEZZNS1_9scan_implILNS1_25lookback_scan_determinismE0ELb1ELb1ES3_N6thrust23THRUST_200600_302600_NS6detail15normal_iteratorINS9_10device_ptrIiEEEENS9_16discard_iteratorINS9_11use_defaultEEEi11max_functorIiEiEEDaPvRmT3_T4_T5_mT6_P12ihipStream_tbENKUlT_T0_E_clISt17integral_constantIbLb1EESX_EEDaSS_ST_EUlSS_E0_NS1_11comp_targetILNS1_3genE4ELNS1_11target_archE910ELNS1_3gpuE8ELNS1_3repE0EEENS1_30default_config_static_selectorELNS0_4arch9wavefront6targetE1EEEvT1_,comdat
	.protected	_ZN7rocprim17ROCPRIM_400000_NS6detail17trampoline_kernelINS0_14default_configENS1_20scan_config_selectorIiEEZZNS1_9scan_implILNS1_25lookback_scan_determinismE0ELb1ELb1ES3_N6thrust23THRUST_200600_302600_NS6detail15normal_iteratorINS9_10device_ptrIiEEEENS9_16discard_iteratorINS9_11use_defaultEEEi11max_functorIiEiEEDaPvRmT3_T4_T5_mT6_P12ihipStream_tbENKUlT_T0_E_clISt17integral_constantIbLb1EESX_EEDaSS_ST_EUlSS_E0_NS1_11comp_targetILNS1_3genE4ELNS1_11target_archE910ELNS1_3gpuE8ELNS1_3repE0EEENS1_30default_config_static_selectorELNS0_4arch9wavefront6targetE1EEEvT1_ ; -- Begin function _ZN7rocprim17ROCPRIM_400000_NS6detail17trampoline_kernelINS0_14default_configENS1_20scan_config_selectorIiEEZZNS1_9scan_implILNS1_25lookback_scan_determinismE0ELb1ELb1ES3_N6thrust23THRUST_200600_302600_NS6detail15normal_iteratorINS9_10device_ptrIiEEEENS9_16discard_iteratorINS9_11use_defaultEEEi11max_functorIiEiEEDaPvRmT3_T4_T5_mT6_P12ihipStream_tbENKUlT_T0_E_clISt17integral_constantIbLb1EESX_EEDaSS_ST_EUlSS_E0_NS1_11comp_targetILNS1_3genE4ELNS1_11target_archE910ELNS1_3gpuE8ELNS1_3repE0EEENS1_30default_config_static_selectorELNS0_4arch9wavefront6targetE1EEEvT1_
	.globl	_ZN7rocprim17ROCPRIM_400000_NS6detail17trampoline_kernelINS0_14default_configENS1_20scan_config_selectorIiEEZZNS1_9scan_implILNS1_25lookback_scan_determinismE0ELb1ELb1ES3_N6thrust23THRUST_200600_302600_NS6detail15normal_iteratorINS9_10device_ptrIiEEEENS9_16discard_iteratorINS9_11use_defaultEEEi11max_functorIiEiEEDaPvRmT3_T4_T5_mT6_P12ihipStream_tbENKUlT_T0_E_clISt17integral_constantIbLb1EESX_EEDaSS_ST_EUlSS_E0_NS1_11comp_targetILNS1_3genE4ELNS1_11target_archE910ELNS1_3gpuE8ELNS1_3repE0EEENS1_30default_config_static_selectorELNS0_4arch9wavefront6targetE1EEEvT1_
	.p2align	8
	.type	_ZN7rocprim17ROCPRIM_400000_NS6detail17trampoline_kernelINS0_14default_configENS1_20scan_config_selectorIiEEZZNS1_9scan_implILNS1_25lookback_scan_determinismE0ELb1ELb1ES3_N6thrust23THRUST_200600_302600_NS6detail15normal_iteratorINS9_10device_ptrIiEEEENS9_16discard_iteratorINS9_11use_defaultEEEi11max_functorIiEiEEDaPvRmT3_T4_T5_mT6_P12ihipStream_tbENKUlT_T0_E_clISt17integral_constantIbLb1EESX_EEDaSS_ST_EUlSS_E0_NS1_11comp_targetILNS1_3genE4ELNS1_11target_archE910ELNS1_3gpuE8ELNS1_3repE0EEENS1_30default_config_static_selectorELNS0_4arch9wavefront6targetE1EEEvT1_,@function
_ZN7rocprim17ROCPRIM_400000_NS6detail17trampoline_kernelINS0_14default_configENS1_20scan_config_selectorIiEEZZNS1_9scan_implILNS1_25lookback_scan_determinismE0ELb1ELb1ES3_N6thrust23THRUST_200600_302600_NS6detail15normal_iteratorINS9_10device_ptrIiEEEENS9_16discard_iteratorINS9_11use_defaultEEEi11max_functorIiEiEEDaPvRmT3_T4_T5_mT6_P12ihipStream_tbENKUlT_T0_E_clISt17integral_constantIbLb1EESX_EEDaSS_ST_EUlSS_E0_NS1_11comp_targetILNS1_3genE4ELNS1_11target_archE910ELNS1_3gpuE8ELNS1_3repE0EEENS1_30default_config_static_selectorELNS0_4arch9wavefront6targetE1EEEvT1_: ; @_ZN7rocprim17ROCPRIM_400000_NS6detail17trampoline_kernelINS0_14default_configENS1_20scan_config_selectorIiEEZZNS1_9scan_implILNS1_25lookback_scan_determinismE0ELb1ELb1ES3_N6thrust23THRUST_200600_302600_NS6detail15normal_iteratorINS9_10device_ptrIiEEEENS9_16discard_iteratorINS9_11use_defaultEEEi11max_functorIiEiEEDaPvRmT3_T4_T5_mT6_P12ihipStream_tbENKUlT_T0_E_clISt17integral_constantIbLb1EESX_EEDaSS_ST_EUlSS_E0_NS1_11comp_targetILNS1_3genE4ELNS1_11target_archE910ELNS1_3gpuE8ELNS1_3repE0EEENS1_30default_config_static_selectorELNS0_4arch9wavefront6targetE1EEEvT1_
; %bb.0:
	s_load_dwordx4 s[0:3], s[4:5], 0x0
	v_lshlrev_b32_e32 v1, 2, v0
	s_waitcnt lgkmcnt(0)
	s_load_dword s3, s[0:1], 0x0
	v_cmp_gt_u32_e32 vcc, s2, v0
	s_waitcnt lgkmcnt(0)
	v_mov_b32_e32 v2, s3
	s_and_saveexec_b64 s[6:7], vcc
	s_cbranch_execz .LBB3955_2
; %bb.1:
	global_load_dword v2, v1, s[0:1]
.LBB3955_2:
	s_or_b64 exec, exec, s[6:7]
	v_or_b32_e32 v3, 0x80, v0
	v_cmp_gt_u32_e32 vcc, s2, v3
	v_mov_b32_e32 v3, s3
	s_and_saveexec_b64 s[6:7], vcc
	s_cbranch_execz .LBB3955_4
; %bb.3:
	global_load_dword v3, v1, s[0:1] offset:512
.LBB3955_4:
	s_or_b64 exec, exec, s[6:7]
	v_or_b32_e32 v4, 0x100, v0
	v_cmp_gt_u32_e32 vcc, s2, v4
	v_mov_b32_e32 v4, s3
	s_and_saveexec_b64 s[6:7], vcc
	s_cbranch_execz .LBB3955_6
; %bb.5:
	global_load_dword v4, v1, s[0:1] offset:1024
.LBB3955_6:
	;; [unrolled: 9-line block ×7, first 2 shown]
	s_or_b64 exec, exec, s[6:7]
	v_or_b32_e32 v11, 0x400, v0
	v_cmp_gt_u32_e32 vcc, s2, v11
	v_mov_b32_e32 v10, s3
	s_and_saveexec_b64 s[6:7], vcc
	s_cbranch_execz .LBB3955_18
; %bb.17:
	v_lshlrev_b32_e32 v10, 2, v11
	global_load_dword v10, v10, s[0:1]
.LBB3955_18:
	s_or_b64 exec, exec, s[6:7]
	s_load_dword s4, s[4:5], 0x10
	v_or_b32_e32 v12, 0x480, v0
	v_cmp_gt_u32_e32 vcc, s2, v12
	v_mov_b32_e32 v11, s3
	s_and_saveexec_b64 s[2:3], vcc
	s_cbranch_execz .LBB3955_20
; %bb.19:
	v_lshlrev_b32_e32 v11, 2, v12
	global_load_dword v11, v11, s[0:1]
.LBB3955_20:
	s_or_b64 exec, exec, s[2:3]
	s_waitcnt vmcnt(0)
	ds_write2st64_b32 v1, v2, v3 offset1:2
	ds_write2st64_b32 v1, v4, v5 offset0:4 offset1:6
	ds_write2st64_b32 v1, v6, v7 offset0:8 offset1:10
	;; [unrolled: 1-line block ×4, first 2 shown]
	v_mad_u32_u24 v10, v0, 36, v1
	s_waitcnt lgkmcnt(0)
	s_barrier
	ds_read2_b64 v[6:9], v10 offset1:1
	ds_read2_b64 v[2:5], v10 offset0:2 offset1:3
	ds_read_b64 v[10:11], v10 offset:32
	v_cmp_gt_u32_e32 vcc, 64, v0
	s_waitcnt lgkmcnt(0)
	v_max_i32_e32 v12, v6, v7
	v_max3_i32 v12, v12, v8, v9
	v_max3_i32 v12, v12, v2, v3
	;; [unrolled: 1-line block ×4, first 2 shown]
	v_lshrrev_b32_e32 v12, 3, v0
	v_and_b32_e32 v12, 12, v12
	v_add_u32_e32 v12, v1, v12
	s_barrier
	ds_write_b32 v12, v11
	s_waitcnt lgkmcnt(0)
	s_barrier
	s_and_saveexec_b64 s[0:1], vcc
	s_cbranch_execz .LBB3955_22
; %bb.21:
	v_lshlrev_b32_e32 v12, 1, v0
	v_lshrrev_b32_e32 v13, 4, v0
	v_add_lshl_u32 v14, v13, v12, 2
	ds_read2_b32 v[12:13], v14 offset1:1
	v_mbcnt_lo_u32_b32 v15, -1, 0
	v_mbcnt_hi_u32_b32 v15, -1, v15
	v_and_b32_e32 v16, 15, v15
	v_cmp_eq_u32_e32 vcc, 0, v16
	s_waitcnt lgkmcnt(0)
	v_max_i32_e32 v13, v12, v13
	; wave barrier
	s_nop 1
	v_mov_b32_dpp v17, v13 row_shr:1 row_mask:0xf bank_mask:0xf
	v_max_i32_e32 v17, v17, v13
	v_cndmask_b32_e32 v13, v17, v13, vcc
	v_cmp_lt_u32_e32 vcc, 1, v16
	s_nop 0
	v_mov_b32_dpp v17, v13 row_shr:2 row_mask:0xf bank_mask:0xf
	v_max_i32_e32 v17, v17, v13
	v_cndmask_b32_e32 v13, v13, v17, vcc
	v_cmp_lt_u32_e32 vcc, 3, v16
	;; [unrolled: 5-line block ×3, first 2 shown]
	s_nop 0
	v_mov_b32_dpp v17, v13 row_shr:8 row_mask:0xf bank_mask:0xf
	v_max_i32_e32 v17, v17, v13
	v_cndmask_b32_e32 v13, v13, v17, vcc
	v_and_b32_e32 v17, 16, v15
	v_cmp_eq_u32_e32 vcc, 0, v17
	v_mov_b32_dpp v16, v13 row_bcast:15 row_mask:0xf bank_mask:0xf
	v_max_i32_e32 v16, v16, v13
	v_cndmask_b32_e32 v13, v16, v13, vcc
	v_cmp_lt_u32_e32 vcc, 31, v15
	v_and_b32_e32 v17, 64, v15
	v_mov_b32_dpp v16, v13 row_bcast:31 row_mask:0xf bank_mask:0xf
	v_max_i32_e32 v16, v16, v13
	v_cndmask_b32_e32 v13, v13, v16, vcc
	v_add_u32_e32 v16, -1, v15
	v_cmp_lt_i32_e32 vcc, v16, v17
	v_cndmask_b32_e32 v15, v16, v15, vcc
	v_lshlrev_b32_e32 v15, 2, v15
	ds_bpermute_b32 v13, v15, v13
	v_cmp_eq_u32_e32 vcc, 0, v0
	s_waitcnt lgkmcnt(0)
	v_max_i32_e32 v12, v13, v12
	v_cndmask_b32_e32 v11, v12, v11, vcc
	ds_write_b32 v14, v11
	; wave barrier
	ds_read_b32 v12, v14 offset:4
	s_waitcnt lgkmcnt(0)
	v_max_i32_e32 v11, v11, v12
	ds_write_b32 v14, v11 offset:4
.LBB3955_22:
	s_or_b64 exec, exec, s[0:1]
	v_mul_u32_u24_e32 v11, 36, v0
	v_cmp_ne_u32_e32 vcc, 0, v0
	v_mov_b32_e32 v12, s4
	s_waitcnt lgkmcnt(0)
	s_barrier
	s_and_saveexec_b64 s[0:1], vcc
	s_cbranch_execz .LBB3955_24
; %bb.23:
	v_add_u32_e32 v0, -1, v0
	v_lshrrev_b32_e32 v12, 5, v0
	v_add_lshl_u32 v0, v12, v0, 2
	ds_read_b32 v0, v0
	s_waitcnt lgkmcnt(0)
	v_max_i32_e32 v12, s4, v0
.LBB3955_24:
	s_or_b64 exec, exec, s[0:1]
	v_max_i32_e32 v13, v12, v6
	v_max_i32_e32 v6, v13, v7
	;; [unrolled: 1-line block ×8, first 2 shown]
	v_add_u32_e32 v0, v1, v11
	v_max_i32_e32 v5, v4, v10
	s_barrier
	ds_write2_b64 v0, v[12:13], v[6:7] offset1:1
	ds_write2_b64 v0, v[8:9], v[2:3] offset0:2 offset1:3
	ds_write_b64 v0, v[4:5] offset:32
	s_waitcnt lgkmcnt(0)
	s_barrier
	s_endpgm
	.section	.rodata,"a",@progbits
	.p2align	6, 0x0
	.amdhsa_kernel _ZN7rocprim17ROCPRIM_400000_NS6detail17trampoline_kernelINS0_14default_configENS1_20scan_config_selectorIiEEZZNS1_9scan_implILNS1_25lookback_scan_determinismE0ELb1ELb1ES3_N6thrust23THRUST_200600_302600_NS6detail15normal_iteratorINS9_10device_ptrIiEEEENS9_16discard_iteratorINS9_11use_defaultEEEi11max_functorIiEiEEDaPvRmT3_T4_T5_mT6_P12ihipStream_tbENKUlT_T0_E_clISt17integral_constantIbLb1EESX_EEDaSS_ST_EUlSS_E0_NS1_11comp_targetILNS1_3genE4ELNS1_11target_archE910ELNS1_3gpuE8ELNS1_3repE0EEENS1_30default_config_static_selectorELNS0_4arch9wavefront6targetE1EEEvT1_
		.amdhsa_group_segment_fixed_size 5120
		.amdhsa_private_segment_fixed_size 0
		.amdhsa_kernarg_size 40
		.amdhsa_user_sgpr_count 6
		.amdhsa_user_sgpr_private_segment_buffer 1
		.amdhsa_user_sgpr_dispatch_ptr 0
		.amdhsa_user_sgpr_queue_ptr 0
		.amdhsa_user_sgpr_kernarg_segment_ptr 1
		.amdhsa_user_sgpr_dispatch_id 0
		.amdhsa_user_sgpr_flat_scratch_init 0
		.amdhsa_user_sgpr_kernarg_preload_length 0
		.amdhsa_user_sgpr_kernarg_preload_offset 0
		.amdhsa_user_sgpr_private_segment_size 0
		.amdhsa_uses_dynamic_stack 0
		.amdhsa_system_sgpr_private_segment_wavefront_offset 0
		.amdhsa_system_sgpr_workgroup_id_x 1
		.amdhsa_system_sgpr_workgroup_id_y 0
		.amdhsa_system_sgpr_workgroup_id_z 0
		.amdhsa_system_sgpr_workgroup_info 0
		.amdhsa_system_vgpr_workitem_id 0
		.amdhsa_next_free_vgpr 18
		.amdhsa_next_free_sgpr 8
		.amdhsa_accum_offset 20
		.amdhsa_reserve_vcc 1
		.amdhsa_reserve_flat_scratch 0
		.amdhsa_float_round_mode_32 0
		.amdhsa_float_round_mode_16_64 0
		.amdhsa_float_denorm_mode_32 3
		.amdhsa_float_denorm_mode_16_64 3
		.amdhsa_dx10_clamp 1
		.amdhsa_ieee_mode 1
		.amdhsa_fp16_overflow 0
		.amdhsa_tg_split 0
		.amdhsa_exception_fp_ieee_invalid_op 0
		.amdhsa_exception_fp_denorm_src 0
		.amdhsa_exception_fp_ieee_div_zero 0
		.amdhsa_exception_fp_ieee_overflow 0
		.amdhsa_exception_fp_ieee_underflow 0
		.amdhsa_exception_fp_ieee_inexact 0
		.amdhsa_exception_int_div_zero 0
	.end_amdhsa_kernel
	.section	.text._ZN7rocprim17ROCPRIM_400000_NS6detail17trampoline_kernelINS0_14default_configENS1_20scan_config_selectorIiEEZZNS1_9scan_implILNS1_25lookback_scan_determinismE0ELb1ELb1ES3_N6thrust23THRUST_200600_302600_NS6detail15normal_iteratorINS9_10device_ptrIiEEEENS9_16discard_iteratorINS9_11use_defaultEEEi11max_functorIiEiEEDaPvRmT3_T4_T5_mT6_P12ihipStream_tbENKUlT_T0_E_clISt17integral_constantIbLb1EESX_EEDaSS_ST_EUlSS_E0_NS1_11comp_targetILNS1_3genE4ELNS1_11target_archE910ELNS1_3gpuE8ELNS1_3repE0EEENS1_30default_config_static_selectorELNS0_4arch9wavefront6targetE1EEEvT1_,"axG",@progbits,_ZN7rocprim17ROCPRIM_400000_NS6detail17trampoline_kernelINS0_14default_configENS1_20scan_config_selectorIiEEZZNS1_9scan_implILNS1_25lookback_scan_determinismE0ELb1ELb1ES3_N6thrust23THRUST_200600_302600_NS6detail15normal_iteratorINS9_10device_ptrIiEEEENS9_16discard_iteratorINS9_11use_defaultEEEi11max_functorIiEiEEDaPvRmT3_T4_T5_mT6_P12ihipStream_tbENKUlT_T0_E_clISt17integral_constantIbLb1EESX_EEDaSS_ST_EUlSS_E0_NS1_11comp_targetILNS1_3genE4ELNS1_11target_archE910ELNS1_3gpuE8ELNS1_3repE0EEENS1_30default_config_static_selectorELNS0_4arch9wavefront6targetE1EEEvT1_,comdat
.Lfunc_end3955:
	.size	_ZN7rocprim17ROCPRIM_400000_NS6detail17trampoline_kernelINS0_14default_configENS1_20scan_config_selectorIiEEZZNS1_9scan_implILNS1_25lookback_scan_determinismE0ELb1ELb1ES3_N6thrust23THRUST_200600_302600_NS6detail15normal_iteratorINS9_10device_ptrIiEEEENS9_16discard_iteratorINS9_11use_defaultEEEi11max_functorIiEiEEDaPvRmT3_T4_T5_mT6_P12ihipStream_tbENKUlT_T0_E_clISt17integral_constantIbLb1EESX_EEDaSS_ST_EUlSS_E0_NS1_11comp_targetILNS1_3genE4ELNS1_11target_archE910ELNS1_3gpuE8ELNS1_3repE0EEENS1_30default_config_static_selectorELNS0_4arch9wavefront6targetE1EEEvT1_, .Lfunc_end3955-_ZN7rocprim17ROCPRIM_400000_NS6detail17trampoline_kernelINS0_14default_configENS1_20scan_config_selectorIiEEZZNS1_9scan_implILNS1_25lookback_scan_determinismE0ELb1ELb1ES3_N6thrust23THRUST_200600_302600_NS6detail15normal_iteratorINS9_10device_ptrIiEEEENS9_16discard_iteratorINS9_11use_defaultEEEi11max_functorIiEiEEDaPvRmT3_T4_T5_mT6_P12ihipStream_tbENKUlT_T0_E_clISt17integral_constantIbLb1EESX_EEDaSS_ST_EUlSS_E0_NS1_11comp_targetILNS1_3genE4ELNS1_11target_archE910ELNS1_3gpuE8ELNS1_3repE0EEENS1_30default_config_static_selectorELNS0_4arch9wavefront6targetE1EEEvT1_
                                        ; -- End function
	.section	.AMDGPU.csdata,"",@progbits
; Kernel info:
; codeLenInByte = 980
; NumSgprs: 12
; NumVgprs: 18
; NumAgprs: 0
; TotalNumVgprs: 18
; ScratchSize: 0
; MemoryBound: 0
; FloatMode: 240
; IeeeMode: 1
; LDSByteSize: 5120 bytes/workgroup (compile time only)
; SGPRBlocks: 1
; VGPRBlocks: 2
; NumSGPRsForWavesPerEU: 12
; NumVGPRsForWavesPerEU: 18
; AccumOffset: 20
; Occupancy: 6
; WaveLimiterHint : 0
; COMPUTE_PGM_RSRC2:SCRATCH_EN: 0
; COMPUTE_PGM_RSRC2:USER_SGPR: 6
; COMPUTE_PGM_RSRC2:TRAP_HANDLER: 0
; COMPUTE_PGM_RSRC2:TGID_X_EN: 1
; COMPUTE_PGM_RSRC2:TGID_Y_EN: 0
; COMPUTE_PGM_RSRC2:TGID_Z_EN: 0
; COMPUTE_PGM_RSRC2:TIDIG_COMP_CNT: 0
; COMPUTE_PGM_RSRC3_GFX90A:ACCUM_OFFSET: 4
; COMPUTE_PGM_RSRC3_GFX90A:TG_SPLIT: 0
	.section	.text._ZN7rocprim17ROCPRIM_400000_NS6detail17trampoline_kernelINS0_14default_configENS1_20scan_config_selectorIiEEZZNS1_9scan_implILNS1_25lookback_scan_determinismE0ELb1ELb1ES3_N6thrust23THRUST_200600_302600_NS6detail15normal_iteratorINS9_10device_ptrIiEEEENS9_16discard_iteratorINS9_11use_defaultEEEi11max_functorIiEiEEDaPvRmT3_T4_T5_mT6_P12ihipStream_tbENKUlT_T0_E_clISt17integral_constantIbLb1EESX_EEDaSS_ST_EUlSS_E0_NS1_11comp_targetILNS1_3genE3ELNS1_11target_archE908ELNS1_3gpuE7ELNS1_3repE0EEENS1_30default_config_static_selectorELNS0_4arch9wavefront6targetE1EEEvT1_,"axG",@progbits,_ZN7rocprim17ROCPRIM_400000_NS6detail17trampoline_kernelINS0_14default_configENS1_20scan_config_selectorIiEEZZNS1_9scan_implILNS1_25lookback_scan_determinismE0ELb1ELb1ES3_N6thrust23THRUST_200600_302600_NS6detail15normal_iteratorINS9_10device_ptrIiEEEENS9_16discard_iteratorINS9_11use_defaultEEEi11max_functorIiEiEEDaPvRmT3_T4_T5_mT6_P12ihipStream_tbENKUlT_T0_E_clISt17integral_constantIbLb1EESX_EEDaSS_ST_EUlSS_E0_NS1_11comp_targetILNS1_3genE3ELNS1_11target_archE908ELNS1_3gpuE7ELNS1_3repE0EEENS1_30default_config_static_selectorELNS0_4arch9wavefront6targetE1EEEvT1_,comdat
	.protected	_ZN7rocprim17ROCPRIM_400000_NS6detail17trampoline_kernelINS0_14default_configENS1_20scan_config_selectorIiEEZZNS1_9scan_implILNS1_25lookback_scan_determinismE0ELb1ELb1ES3_N6thrust23THRUST_200600_302600_NS6detail15normal_iteratorINS9_10device_ptrIiEEEENS9_16discard_iteratorINS9_11use_defaultEEEi11max_functorIiEiEEDaPvRmT3_T4_T5_mT6_P12ihipStream_tbENKUlT_T0_E_clISt17integral_constantIbLb1EESX_EEDaSS_ST_EUlSS_E0_NS1_11comp_targetILNS1_3genE3ELNS1_11target_archE908ELNS1_3gpuE7ELNS1_3repE0EEENS1_30default_config_static_selectorELNS0_4arch9wavefront6targetE1EEEvT1_ ; -- Begin function _ZN7rocprim17ROCPRIM_400000_NS6detail17trampoline_kernelINS0_14default_configENS1_20scan_config_selectorIiEEZZNS1_9scan_implILNS1_25lookback_scan_determinismE0ELb1ELb1ES3_N6thrust23THRUST_200600_302600_NS6detail15normal_iteratorINS9_10device_ptrIiEEEENS9_16discard_iteratorINS9_11use_defaultEEEi11max_functorIiEiEEDaPvRmT3_T4_T5_mT6_P12ihipStream_tbENKUlT_T0_E_clISt17integral_constantIbLb1EESX_EEDaSS_ST_EUlSS_E0_NS1_11comp_targetILNS1_3genE3ELNS1_11target_archE908ELNS1_3gpuE7ELNS1_3repE0EEENS1_30default_config_static_selectorELNS0_4arch9wavefront6targetE1EEEvT1_
	.globl	_ZN7rocprim17ROCPRIM_400000_NS6detail17trampoline_kernelINS0_14default_configENS1_20scan_config_selectorIiEEZZNS1_9scan_implILNS1_25lookback_scan_determinismE0ELb1ELb1ES3_N6thrust23THRUST_200600_302600_NS6detail15normal_iteratorINS9_10device_ptrIiEEEENS9_16discard_iteratorINS9_11use_defaultEEEi11max_functorIiEiEEDaPvRmT3_T4_T5_mT6_P12ihipStream_tbENKUlT_T0_E_clISt17integral_constantIbLb1EESX_EEDaSS_ST_EUlSS_E0_NS1_11comp_targetILNS1_3genE3ELNS1_11target_archE908ELNS1_3gpuE7ELNS1_3repE0EEENS1_30default_config_static_selectorELNS0_4arch9wavefront6targetE1EEEvT1_
	.p2align	8
	.type	_ZN7rocprim17ROCPRIM_400000_NS6detail17trampoline_kernelINS0_14default_configENS1_20scan_config_selectorIiEEZZNS1_9scan_implILNS1_25lookback_scan_determinismE0ELb1ELb1ES3_N6thrust23THRUST_200600_302600_NS6detail15normal_iteratorINS9_10device_ptrIiEEEENS9_16discard_iteratorINS9_11use_defaultEEEi11max_functorIiEiEEDaPvRmT3_T4_T5_mT6_P12ihipStream_tbENKUlT_T0_E_clISt17integral_constantIbLb1EESX_EEDaSS_ST_EUlSS_E0_NS1_11comp_targetILNS1_3genE3ELNS1_11target_archE908ELNS1_3gpuE7ELNS1_3repE0EEENS1_30default_config_static_selectorELNS0_4arch9wavefront6targetE1EEEvT1_,@function
_ZN7rocprim17ROCPRIM_400000_NS6detail17trampoline_kernelINS0_14default_configENS1_20scan_config_selectorIiEEZZNS1_9scan_implILNS1_25lookback_scan_determinismE0ELb1ELb1ES3_N6thrust23THRUST_200600_302600_NS6detail15normal_iteratorINS9_10device_ptrIiEEEENS9_16discard_iteratorINS9_11use_defaultEEEi11max_functorIiEiEEDaPvRmT3_T4_T5_mT6_P12ihipStream_tbENKUlT_T0_E_clISt17integral_constantIbLb1EESX_EEDaSS_ST_EUlSS_E0_NS1_11comp_targetILNS1_3genE3ELNS1_11target_archE908ELNS1_3gpuE7ELNS1_3repE0EEENS1_30default_config_static_selectorELNS0_4arch9wavefront6targetE1EEEvT1_: ; @_ZN7rocprim17ROCPRIM_400000_NS6detail17trampoline_kernelINS0_14default_configENS1_20scan_config_selectorIiEEZZNS1_9scan_implILNS1_25lookback_scan_determinismE0ELb1ELb1ES3_N6thrust23THRUST_200600_302600_NS6detail15normal_iteratorINS9_10device_ptrIiEEEENS9_16discard_iteratorINS9_11use_defaultEEEi11max_functorIiEiEEDaPvRmT3_T4_T5_mT6_P12ihipStream_tbENKUlT_T0_E_clISt17integral_constantIbLb1EESX_EEDaSS_ST_EUlSS_E0_NS1_11comp_targetILNS1_3genE3ELNS1_11target_archE908ELNS1_3gpuE7ELNS1_3repE0EEENS1_30default_config_static_selectorELNS0_4arch9wavefront6targetE1EEEvT1_
; %bb.0:
	.section	.rodata,"a",@progbits
	.p2align	6, 0x0
	.amdhsa_kernel _ZN7rocprim17ROCPRIM_400000_NS6detail17trampoline_kernelINS0_14default_configENS1_20scan_config_selectorIiEEZZNS1_9scan_implILNS1_25lookback_scan_determinismE0ELb1ELb1ES3_N6thrust23THRUST_200600_302600_NS6detail15normal_iteratorINS9_10device_ptrIiEEEENS9_16discard_iteratorINS9_11use_defaultEEEi11max_functorIiEiEEDaPvRmT3_T4_T5_mT6_P12ihipStream_tbENKUlT_T0_E_clISt17integral_constantIbLb1EESX_EEDaSS_ST_EUlSS_E0_NS1_11comp_targetILNS1_3genE3ELNS1_11target_archE908ELNS1_3gpuE7ELNS1_3repE0EEENS1_30default_config_static_selectorELNS0_4arch9wavefront6targetE1EEEvT1_
		.amdhsa_group_segment_fixed_size 0
		.amdhsa_private_segment_fixed_size 0
		.amdhsa_kernarg_size 40
		.amdhsa_user_sgpr_count 6
		.amdhsa_user_sgpr_private_segment_buffer 1
		.amdhsa_user_sgpr_dispatch_ptr 0
		.amdhsa_user_sgpr_queue_ptr 0
		.amdhsa_user_sgpr_kernarg_segment_ptr 1
		.amdhsa_user_sgpr_dispatch_id 0
		.amdhsa_user_sgpr_flat_scratch_init 0
		.amdhsa_user_sgpr_kernarg_preload_length 0
		.amdhsa_user_sgpr_kernarg_preload_offset 0
		.amdhsa_user_sgpr_private_segment_size 0
		.amdhsa_uses_dynamic_stack 0
		.amdhsa_system_sgpr_private_segment_wavefront_offset 0
		.amdhsa_system_sgpr_workgroup_id_x 1
		.amdhsa_system_sgpr_workgroup_id_y 0
		.amdhsa_system_sgpr_workgroup_id_z 0
		.amdhsa_system_sgpr_workgroup_info 0
		.amdhsa_system_vgpr_workitem_id 0
		.amdhsa_next_free_vgpr 1
		.amdhsa_next_free_sgpr 0
		.amdhsa_accum_offset 4
		.amdhsa_reserve_vcc 0
		.amdhsa_reserve_flat_scratch 0
		.amdhsa_float_round_mode_32 0
		.amdhsa_float_round_mode_16_64 0
		.amdhsa_float_denorm_mode_32 3
		.amdhsa_float_denorm_mode_16_64 3
		.amdhsa_dx10_clamp 1
		.amdhsa_ieee_mode 1
		.amdhsa_fp16_overflow 0
		.amdhsa_tg_split 0
		.amdhsa_exception_fp_ieee_invalid_op 0
		.amdhsa_exception_fp_denorm_src 0
		.amdhsa_exception_fp_ieee_div_zero 0
		.amdhsa_exception_fp_ieee_overflow 0
		.amdhsa_exception_fp_ieee_underflow 0
		.amdhsa_exception_fp_ieee_inexact 0
		.amdhsa_exception_int_div_zero 0
	.end_amdhsa_kernel
	.section	.text._ZN7rocprim17ROCPRIM_400000_NS6detail17trampoline_kernelINS0_14default_configENS1_20scan_config_selectorIiEEZZNS1_9scan_implILNS1_25lookback_scan_determinismE0ELb1ELb1ES3_N6thrust23THRUST_200600_302600_NS6detail15normal_iteratorINS9_10device_ptrIiEEEENS9_16discard_iteratorINS9_11use_defaultEEEi11max_functorIiEiEEDaPvRmT3_T4_T5_mT6_P12ihipStream_tbENKUlT_T0_E_clISt17integral_constantIbLb1EESX_EEDaSS_ST_EUlSS_E0_NS1_11comp_targetILNS1_3genE3ELNS1_11target_archE908ELNS1_3gpuE7ELNS1_3repE0EEENS1_30default_config_static_selectorELNS0_4arch9wavefront6targetE1EEEvT1_,"axG",@progbits,_ZN7rocprim17ROCPRIM_400000_NS6detail17trampoline_kernelINS0_14default_configENS1_20scan_config_selectorIiEEZZNS1_9scan_implILNS1_25lookback_scan_determinismE0ELb1ELb1ES3_N6thrust23THRUST_200600_302600_NS6detail15normal_iteratorINS9_10device_ptrIiEEEENS9_16discard_iteratorINS9_11use_defaultEEEi11max_functorIiEiEEDaPvRmT3_T4_T5_mT6_P12ihipStream_tbENKUlT_T0_E_clISt17integral_constantIbLb1EESX_EEDaSS_ST_EUlSS_E0_NS1_11comp_targetILNS1_3genE3ELNS1_11target_archE908ELNS1_3gpuE7ELNS1_3repE0EEENS1_30default_config_static_selectorELNS0_4arch9wavefront6targetE1EEEvT1_,comdat
.Lfunc_end3956:
	.size	_ZN7rocprim17ROCPRIM_400000_NS6detail17trampoline_kernelINS0_14default_configENS1_20scan_config_selectorIiEEZZNS1_9scan_implILNS1_25lookback_scan_determinismE0ELb1ELb1ES3_N6thrust23THRUST_200600_302600_NS6detail15normal_iteratorINS9_10device_ptrIiEEEENS9_16discard_iteratorINS9_11use_defaultEEEi11max_functorIiEiEEDaPvRmT3_T4_T5_mT6_P12ihipStream_tbENKUlT_T0_E_clISt17integral_constantIbLb1EESX_EEDaSS_ST_EUlSS_E0_NS1_11comp_targetILNS1_3genE3ELNS1_11target_archE908ELNS1_3gpuE7ELNS1_3repE0EEENS1_30default_config_static_selectorELNS0_4arch9wavefront6targetE1EEEvT1_, .Lfunc_end3956-_ZN7rocprim17ROCPRIM_400000_NS6detail17trampoline_kernelINS0_14default_configENS1_20scan_config_selectorIiEEZZNS1_9scan_implILNS1_25lookback_scan_determinismE0ELb1ELb1ES3_N6thrust23THRUST_200600_302600_NS6detail15normal_iteratorINS9_10device_ptrIiEEEENS9_16discard_iteratorINS9_11use_defaultEEEi11max_functorIiEiEEDaPvRmT3_T4_T5_mT6_P12ihipStream_tbENKUlT_T0_E_clISt17integral_constantIbLb1EESX_EEDaSS_ST_EUlSS_E0_NS1_11comp_targetILNS1_3genE3ELNS1_11target_archE908ELNS1_3gpuE7ELNS1_3repE0EEENS1_30default_config_static_selectorELNS0_4arch9wavefront6targetE1EEEvT1_
                                        ; -- End function
	.section	.AMDGPU.csdata,"",@progbits
; Kernel info:
; codeLenInByte = 0
; NumSgprs: 4
; NumVgprs: 0
; NumAgprs: 0
; TotalNumVgprs: 0
; ScratchSize: 0
; MemoryBound: 0
; FloatMode: 240
; IeeeMode: 1
; LDSByteSize: 0 bytes/workgroup (compile time only)
; SGPRBlocks: 0
; VGPRBlocks: 0
; NumSGPRsForWavesPerEU: 4
; NumVGPRsForWavesPerEU: 1
; AccumOffset: 4
; Occupancy: 8
; WaveLimiterHint : 0
; COMPUTE_PGM_RSRC2:SCRATCH_EN: 0
; COMPUTE_PGM_RSRC2:USER_SGPR: 6
; COMPUTE_PGM_RSRC2:TRAP_HANDLER: 0
; COMPUTE_PGM_RSRC2:TGID_X_EN: 1
; COMPUTE_PGM_RSRC2:TGID_Y_EN: 0
; COMPUTE_PGM_RSRC2:TGID_Z_EN: 0
; COMPUTE_PGM_RSRC2:TIDIG_COMP_CNT: 0
; COMPUTE_PGM_RSRC3_GFX90A:ACCUM_OFFSET: 0
; COMPUTE_PGM_RSRC3_GFX90A:TG_SPLIT: 0
	.section	.text._ZN7rocprim17ROCPRIM_400000_NS6detail17trampoline_kernelINS0_14default_configENS1_20scan_config_selectorIiEEZZNS1_9scan_implILNS1_25lookback_scan_determinismE0ELb1ELb1ES3_N6thrust23THRUST_200600_302600_NS6detail15normal_iteratorINS9_10device_ptrIiEEEENS9_16discard_iteratorINS9_11use_defaultEEEi11max_functorIiEiEEDaPvRmT3_T4_T5_mT6_P12ihipStream_tbENKUlT_T0_E_clISt17integral_constantIbLb1EESX_EEDaSS_ST_EUlSS_E0_NS1_11comp_targetILNS1_3genE2ELNS1_11target_archE906ELNS1_3gpuE6ELNS1_3repE0EEENS1_30default_config_static_selectorELNS0_4arch9wavefront6targetE1EEEvT1_,"axG",@progbits,_ZN7rocprim17ROCPRIM_400000_NS6detail17trampoline_kernelINS0_14default_configENS1_20scan_config_selectorIiEEZZNS1_9scan_implILNS1_25lookback_scan_determinismE0ELb1ELb1ES3_N6thrust23THRUST_200600_302600_NS6detail15normal_iteratorINS9_10device_ptrIiEEEENS9_16discard_iteratorINS9_11use_defaultEEEi11max_functorIiEiEEDaPvRmT3_T4_T5_mT6_P12ihipStream_tbENKUlT_T0_E_clISt17integral_constantIbLb1EESX_EEDaSS_ST_EUlSS_E0_NS1_11comp_targetILNS1_3genE2ELNS1_11target_archE906ELNS1_3gpuE6ELNS1_3repE0EEENS1_30default_config_static_selectorELNS0_4arch9wavefront6targetE1EEEvT1_,comdat
	.protected	_ZN7rocprim17ROCPRIM_400000_NS6detail17trampoline_kernelINS0_14default_configENS1_20scan_config_selectorIiEEZZNS1_9scan_implILNS1_25lookback_scan_determinismE0ELb1ELb1ES3_N6thrust23THRUST_200600_302600_NS6detail15normal_iteratorINS9_10device_ptrIiEEEENS9_16discard_iteratorINS9_11use_defaultEEEi11max_functorIiEiEEDaPvRmT3_T4_T5_mT6_P12ihipStream_tbENKUlT_T0_E_clISt17integral_constantIbLb1EESX_EEDaSS_ST_EUlSS_E0_NS1_11comp_targetILNS1_3genE2ELNS1_11target_archE906ELNS1_3gpuE6ELNS1_3repE0EEENS1_30default_config_static_selectorELNS0_4arch9wavefront6targetE1EEEvT1_ ; -- Begin function _ZN7rocprim17ROCPRIM_400000_NS6detail17trampoline_kernelINS0_14default_configENS1_20scan_config_selectorIiEEZZNS1_9scan_implILNS1_25lookback_scan_determinismE0ELb1ELb1ES3_N6thrust23THRUST_200600_302600_NS6detail15normal_iteratorINS9_10device_ptrIiEEEENS9_16discard_iteratorINS9_11use_defaultEEEi11max_functorIiEiEEDaPvRmT3_T4_T5_mT6_P12ihipStream_tbENKUlT_T0_E_clISt17integral_constantIbLb1EESX_EEDaSS_ST_EUlSS_E0_NS1_11comp_targetILNS1_3genE2ELNS1_11target_archE906ELNS1_3gpuE6ELNS1_3repE0EEENS1_30default_config_static_selectorELNS0_4arch9wavefront6targetE1EEEvT1_
	.globl	_ZN7rocprim17ROCPRIM_400000_NS6detail17trampoline_kernelINS0_14default_configENS1_20scan_config_selectorIiEEZZNS1_9scan_implILNS1_25lookback_scan_determinismE0ELb1ELb1ES3_N6thrust23THRUST_200600_302600_NS6detail15normal_iteratorINS9_10device_ptrIiEEEENS9_16discard_iteratorINS9_11use_defaultEEEi11max_functorIiEiEEDaPvRmT3_T4_T5_mT6_P12ihipStream_tbENKUlT_T0_E_clISt17integral_constantIbLb1EESX_EEDaSS_ST_EUlSS_E0_NS1_11comp_targetILNS1_3genE2ELNS1_11target_archE906ELNS1_3gpuE6ELNS1_3repE0EEENS1_30default_config_static_selectorELNS0_4arch9wavefront6targetE1EEEvT1_
	.p2align	8
	.type	_ZN7rocprim17ROCPRIM_400000_NS6detail17trampoline_kernelINS0_14default_configENS1_20scan_config_selectorIiEEZZNS1_9scan_implILNS1_25lookback_scan_determinismE0ELb1ELb1ES3_N6thrust23THRUST_200600_302600_NS6detail15normal_iteratorINS9_10device_ptrIiEEEENS9_16discard_iteratorINS9_11use_defaultEEEi11max_functorIiEiEEDaPvRmT3_T4_T5_mT6_P12ihipStream_tbENKUlT_T0_E_clISt17integral_constantIbLb1EESX_EEDaSS_ST_EUlSS_E0_NS1_11comp_targetILNS1_3genE2ELNS1_11target_archE906ELNS1_3gpuE6ELNS1_3repE0EEENS1_30default_config_static_selectorELNS0_4arch9wavefront6targetE1EEEvT1_,@function
_ZN7rocprim17ROCPRIM_400000_NS6detail17trampoline_kernelINS0_14default_configENS1_20scan_config_selectorIiEEZZNS1_9scan_implILNS1_25lookback_scan_determinismE0ELb1ELb1ES3_N6thrust23THRUST_200600_302600_NS6detail15normal_iteratorINS9_10device_ptrIiEEEENS9_16discard_iteratorINS9_11use_defaultEEEi11max_functorIiEiEEDaPvRmT3_T4_T5_mT6_P12ihipStream_tbENKUlT_T0_E_clISt17integral_constantIbLb1EESX_EEDaSS_ST_EUlSS_E0_NS1_11comp_targetILNS1_3genE2ELNS1_11target_archE906ELNS1_3gpuE6ELNS1_3repE0EEENS1_30default_config_static_selectorELNS0_4arch9wavefront6targetE1EEEvT1_: ; @_ZN7rocprim17ROCPRIM_400000_NS6detail17trampoline_kernelINS0_14default_configENS1_20scan_config_selectorIiEEZZNS1_9scan_implILNS1_25lookback_scan_determinismE0ELb1ELb1ES3_N6thrust23THRUST_200600_302600_NS6detail15normal_iteratorINS9_10device_ptrIiEEEENS9_16discard_iteratorINS9_11use_defaultEEEi11max_functorIiEiEEDaPvRmT3_T4_T5_mT6_P12ihipStream_tbENKUlT_T0_E_clISt17integral_constantIbLb1EESX_EEDaSS_ST_EUlSS_E0_NS1_11comp_targetILNS1_3genE2ELNS1_11target_archE906ELNS1_3gpuE6ELNS1_3repE0EEENS1_30default_config_static_selectorELNS0_4arch9wavefront6targetE1EEEvT1_
; %bb.0:
	.section	.rodata,"a",@progbits
	.p2align	6, 0x0
	.amdhsa_kernel _ZN7rocprim17ROCPRIM_400000_NS6detail17trampoline_kernelINS0_14default_configENS1_20scan_config_selectorIiEEZZNS1_9scan_implILNS1_25lookback_scan_determinismE0ELb1ELb1ES3_N6thrust23THRUST_200600_302600_NS6detail15normal_iteratorINS9_10device_ptrIiEEEENS9_16discard_iteratorINS9_11use_defaultEEEi11max_functorIiEiEEDaPvRmT3_T4_T5_mT6_P12ihipStream_tbENKUlT_T0_E_clISt17integral_constantIbLb1EESX_EEDaSS_ST_EUlSS_E0_NS1_11comp_targetILNS1_3genE2ELNS1_11target_archE906ELNS1_3gpuE6ELNS1_3repE0EEENS1_30default_config_static_selectorELNS0_4arch9wavefront6targetE1EEEvT1_
		.amdhsa_group_segment_fixed_size 0
		.amdhsa_private_segment_fixed_size 0
		.amdhsa_kernarg_size 40
		.amdhsa_user_sgpr_count 6
		.amdhsa_user_sgpr_private_segment_buffer 1
		.amdhsa_user_sgpr_dispatch_ptr 0
		.amdhsa_user_sgpr_queue_ptr 0
		.amdhsa_user_sgpr_kernarg_segment_ptr 1
		.amdhsa_user_sgpr_dispatch_id 0
		.amdhsa_user_sgpr_flat_scratch_init 0
		.amdhsa_user_sgpr_kernarg_preload_length 0
		.amdhsa_user_sgpr_kernarg_preload_offset 0
		.amdhsa_user_sgpr_private_segment_size 0
		.amdhsa_uses_dynamic_stack 0
		.amdhsa_system_sgpr_private_segment_wavefront_offset 0
		.amdhsa_system_sgpr_workgroup_id_x 1
		.amdhsa_system_sgpr_workgroup_id_y 0
		.amdhsa_system_sgpr_workgroup_id_z 0
		.amdhsa_system_sgpr_workgroup_info 0
		.amdhsa_system_vgpr_workitem_id 0
		.amdhsa_next_free_vgpr 1
		.amdhsa_next_free_sgpr 0
		.amdhsa_accum_offset 4
		.amdhsa_reserve_vcc 0
		.amdhsa_reserve_flat_scratch 0
		.amdhsa_float_round_mode_32 0
		.amdhsa_float_round_mode_16_64 0
		.amdhsa_float_denorm_mode_32 3
		.amdhsa_float_denorm_mode_16_64 3
		.amdhsa_dx10_clamp 1
		.amdhsa_ieee_mode 1
		.amdhsa_fp16_overflow 0
		.amdhsa_tg_split 0
		.amdhsa_exception_fp_ieee_invalid_op 0
		.amdhsa_exception_fp_denorm_src 0
		.amdhsa_exception_fp_ieee_div_zero 0
		.amdhsa_exception_fp_ieee_overflow 0
		.amdhsa_exception_fp_ieee_underflow 0
		.amdhsa_exception_fp_ieee_inexact 0
		.amdhsa_exception_int_div_zero 0
	.end_amdhsa_kernel
	.section	.text._ZN7rocprim17ROCPRIM_400000_NS6detail17trampoline_kernelINS0_14default_configENS1_20scan_config_selectorIiEEZZNS1_9scan_implILNS1_25lookback_scan_determinismE0ELb1ELb1ES3_N6thrust23THRUST_200600_302600_NS6detail15normal_iteratorINS9_10device_ptrIiEEEENS9_16discard_iteratorINS9_11use_defaultEEEi11max_functorIiEiEEDaPvRmT3_T4_T5_mT6_P12ihipStream_tbENKUlT_T0_E_clISt17integral_constantIbLb1EESX_EEDaSS_ST_EUlSS_E0_NS1_11comp_targetILNS1_3genE2ELNS1_11target_archE906ELNS1_3gpuE6ELNS1_3repE0EEENS1_30default_config_static_selectorELNS0_4arch9wavefront6targetE1EEEvT1_,"axG",@progbits,_ZN7rocprim17ROCPRIM_400000_NS6detail17trampoline_kernelINS0_14default_configENS1_20scan_config_selectorIiEEZZNS1_9scan_implILNS1_25lookback_scan_determinismE0ELb1ELb1ES3_N6thrust23THRUST_200600_302600_NS6detail15normal_iteratorINS9_10device_ptrIiEEEENS9_16discard_iteratorINS9_11use_defaultEEEi11max_functorIiEiEEDaPvRmT3_T4_T5_mT6_P12ihipStream_tbENKUlT_T0_E_clISt17integral_constantIbLb1EESX_EEDaSS_ST_EUlSS_E0_NS1_11comp_targetILNS1_3genE2ELNS1_11target_archE906ELNS1_3gpuE6ELNS1_3repE0EEENS1_30default_config_static_selectorELNS0_4arch9wavefront6targetE1EEEvT1_,comdat
.Lfunc_end3957:
	.size	_ZN7rocprim17ROCPRIM_400000_NS6detail17trampoline_kernelINS0_14default_configENS1_20scan_config_selectorIiEEZZNS1_9scan_implILNS1_25lookback_scan_determinismE0ELb1ELb1ES3_N6thrust23THRUST_200600_302600_NS6detail15normal_iteratorINS9_10device_ptrIiEEEENS9_16discard_iteratorINS9_11use_defaultEEEi11max_functorIiEiEEDaPvRmT3_T4_T5_mT6_P12ihipStream_tbENKUlT_T0_E_clISt17integral_constantIbLb1EESX_EEDaSS_ST_EUlSS_E0_NS1_11comp_targetILNS1_3genE2ELNS1_11target_archE906ELNS1_3gpuE6ELNS1_3repE0EEENS1_30default_config_static_selectorELNS0_4arch9wavefront6targetE1EEEvT1_, .Lfunc_end3957-_ZN7rocprim17ROCPRIM_400000_NS6detail17trampoline_kernelINS0_14default_configENS1_20scan_config_selectorIiEEZZNS1_9scan_implILNS1_25lookback_scan_determinismE0ELb1ELb1ES3_N6thrust23THRUST_200600_302600_NS6detail15normal_iteratorINS9_10device_ptrIiEEEENS9_16discard_iteratorINS9_11use_defaultEEEi11max_functorIiEiEEDaPvRmT3_T4_T5_mT6_P12ihipStream_tbENKUlT_T0_E_clISt17integral_constantIbLb1EESX_EEDaSS_ST_EUlSS_E0_NS1_11comp_targetILNS1_3genE2ELNS1_11target_archE906ELNS1_3gpuE6ELNS1_3repE0EEENS1_30default_config_static_selectorELNS0_4arch9wavefront6targetE1EEEvT1_
                                        ; -- End function
	.section	.AMDGPU.csdata,"",@progbits
; Kernel info:
; codeLenInByte = 0
; NumSgprs: 4
; NumVgprs: 0
; NumAgprs: 0
; TotalNumVgprs: 0
; ScratchSize: 0
; MemoryBound: 0
; FloatMode: 240
; IeeeMode: 1
; LDSByteSize: 0 bytes/workgroup (compile time only)
; SGPRBlocks: 0
; VGPRBlocks: 0
; NumSGPRsForWavesPerEU: 4
; NumVGPRsForWavesPerEU: 1
; AccumOffset: 4
; Occupancy: 8
; WaveLimiterHint : 0
; COMPUTE_PGM_RSRC2:SCRATCH_EN: 0
; COMPUTE_PGM_RSRC2:USER_SGPR: 6
; COMPUTE_PGM_RSRC2:TRAP_HANDLER: 0
; COMPUTE_PGM_RSRC2:TGID_X_EN: 1
; COMPUTE_PGM_RSRC2:TGID_Y_EN: 0
; COMPUTE_PGM_RSRC2:TGID_Z_EN: 0
; COMPUTE_PGM_RSRC2:TIDIG_COMP_CNT: 0
; COMPUTE_PGM_RSRC3_GFX90A:ACCUM_OFFSET: 0
; COMPUTE_PGM_RSRC3_GFX90A:TG_SPLIT: 0
	.section	.text._ZN7rocprim17ROCPRIM_400000_NS6detail17trampoline_kernelINS0_14default_configENS1_20scan_config_selectorIiEEZZNS1_9scan_implILNS1_25lookback_scan_determinismE0ELb1ELb1ES3_N6thrust23THRUST_200600_302600_NS6detail15normal_iteratorINS9_10device_ptrIiEEEENS9_16discard_iteratorINS9_11use_defaultEEEi11max_functorIiEiEEDaPvRmT3_T4_T5_mT6_P12ihipStream_tbENKUlT_T0_E_clISt17integral_constantIbLb1EESX_EEDaSS_ST_EUlSS_E0_NS1_11comp_targetILNS1_3genE10ELNS1_11target_archE1201ELNS1_3gpuE5ELNS1_3repE0EEENS1_30default_config_static_selectorELNS0_4arch9wavefront6targetE1EEEvT1_,"axG",@progbits,_ZN7rocprim17ROCPRIM_400000_NS6detail17trampoline_kernelINS0_14default_configENS1_20scan_config_selectorIiEEZZNS1_9scan_implILNS1_25lookback_scan_determinismE0ELb1ELb1ES3_N6thrust23THRUST_200600_302600_NS6detail15normal_iteratorINS9_10device_ptrIiEEEENS9_16discard_iteratorINS9_11use_defaultEEEi11max_functorIiEiEEDaPvRmT3_T4_T5_mT6_P12ihipStream_tbENKUlT_T0_E_clISt17integral_constantIbLb1EESX_EEDaSS_ST_EUlSS_E0_NS1_11comp_targetILNS1_3genE10ELNS1_11target_archE1201ELNS1_3gpuE5ELNS1_3repE0EEENS1_30default_config_static_selectorELNS0_4arch9wavefront6targetE1EEEvT1_,comdat
	.protected	_ZN7rocprim17ROCPRIM_400000_NS6detail17trampoline_kernelINS0_14default_configENS1_20scan_config_selectorIiEEZZNS1_9scan_implILNS1_25lookback_scan_determinismE0ELb1ELb1ES3_N6thrust23THRUST_200600_302600_NS6detail15normal_iteratorINS9_10device_ptrIiEEEENS9_16discard_iteratorINS9_11use_defaultEEEi11max_functorIiEiEEDaPvRmT3_T4_T5_mT6_P12ihipStream_tbENKUlT_T0_E_clISt17integral_constantIbLb1EESX_EEDaSS_ST_EUlSS_E0_NS1_11comp_targetILNS1_3genE10ELNS1_11target_archE1201ELNS1_3gpuE5ELNS1_3repE0EEENS1_30default_config_static_selectorELNS0_4arch9wavefront6targetE1EEEvT1_ ; -- Begin function _ZN7rocprim17ROCPRIM_400000_NS6detail17trampoline_kernelINS0_14default_configENS1_20scan_config_selectorIiEEZZNS1_9scan_implILNS1_25lookback_scan_determinismE0ELb1ELb1ES3_N6thrust23THRUST_200600_302600_NS6detail15normal_iteratorINS9_10device_ptrIiEEEENS9_16discard_iteratorINS9_11use_defaultEEEi11max_functorIiEiEEDaPvRmT3_T4_T5_mT6_P12ihipStream_tbENKUlT_T0_E_clISt17integral_constantIbLb1EESX_EEDaSS_ST_EUlSS_E0_NS1_11comp_targetILNS1_3genE10ELNS1_11target_archE1201ELNS1_3gpuE5ELNS1_3repE0EEENS1_30default_config_static_selectorELNS0_4arch9wavefront6targetE1EEEvT1_
	.globl	_ZN7rocprim17ROCPRIM_400000_NS6detail17trampoline_kernelINS0_14default_configENS1_20scan_config_selectorIiEEZZNS1_9scan_implILNS1_25lookback_scan_determinismE0ELb1ELb1ES3_N6thrust23THRUST_200600_302600_NS6detail15normal_iteratorINS9_10device_ptrIiEEEENS9_16discard_iteratorINS9_11use_defaultEEEi11max_functorIiEiEEDaPvRmT3_T4_T5_mT6_P12ihipStream_tbENKUlT_T0_E_clISt17integral_constantIbLb1EESX_EEDaSS_ST_EUlSS_E0_NS1_11comp_targetILNS1_3genE10ELNS1_11target_archE1201ELNS1_3gpuE5ELNS1_3repE0EEENS1_30default_config_static_selectorELNS0_4arch9wavefront6targetE1EEEvT1_
	.p2align	8
	.type	_ZN7rocprim17ROCPRIM_400000_NS6detail17trampoline_kernelINS0_14default_configENS1_20scan_config_selectorIiEEZZNS1_9scan_implILNS1_25lookback_scan_determinismE0ELb1ELb1ES3_N6thrust23THRUST_200600_302600_NS6detail15normal_iteratorINS9_10device_ptrIiEEEENS9_16discard_iteratorINS9_11use_defaultEEEi11max_functorIiEiEEDaPvRmT3_T4_T5_mT6_P12ihipStream_tbENKUlT_T0_E_clISt17integral_constantIbLb1EESX_EEDaSS_ST_EUlSS_E0_NS1_11comp_targetILNS1_3genE10ELNS1_11target_archE1201ELNS1_3gpuE5ELNS1_3repE0EEENS1_30default_config_static_selectorELNS0_4arch9wavefront6targetE1EEEvT1_,@function
_ZN7rocprim17ROCPRIM_400000_NS6detail17trampoline_kernelINS0_14default_configENS1_20scan_config_selectorIiEEZZNS1_9scan_implILNS1_25lookback_scan_determinismE0ELb1ELb1ES3_N6thrust23THRUST_200600_302600_NS6detail15normal_iteratorINS9_10device_ptrIiEEEENS9_16discard_iteratorINS9_11use_defaultEEEi11max_functorIiEiEEDaPvRmT3_T4_T5_mT6_P12ihipStream_tbENKUlT_T0_E_clISt17integral_constantIbLb1EESX_EEDaSS_ST_EUlSS_E0_NS1_11comp_targetILNS1_3genE10ELNS1_11target_archE1201ELNS1_3gpuE5ELNS1_3repE0EEENS1_30default_config_static_selectorELNS0_4arch9wavefront6targetE1EEEvT1_: ; @_ZN7rocprim17ROCPRIM_400000_NS6detail17trampoline_kernelINS0_14default_configENS1_20scan_config_selectorIiEEZZNS1_9scan_implILNS1_25lookback_scan_determinismE0ELb1ELb1ES3_N6thrust23THRUST_200600_302600_NS6detail15normal_iteratorINS9_10device_ptrIiEEEENS9_16discard_iteratorINS9_11use_defaultEEEi11max_functorIiEiEEDaPvRmT3_T4_T5_mT6_P12ihipStream_tbENKUlT_T0_E_clISt17integral_constantIbLb1EESX_EEDaSS_ST_EUlSS_E0_NS1_11comp_targetILNS1_3genE10ELNS1_11target_archE1201ELNS1_3gpuE5ELNS1_3repE0EEENS1_30default_config_static_selectorELNS0_4arch9wavefront6targetE1EEEvT1_
; %bb.0:
	.section	.rodata,"a",@progbits
	.p2align	6, 0x0
	.amdhsa_kernel _ZN7rocprim17ROCPRIM_400000_NS6detail17trampoline_kernelINS0_14default_configENS1_20scan_config_selectorIiEEZZNS1_9scan_implILNS1_25lookback_scan_determinismE0ELb1ELb1ES3_N6thrust23THRUST_200600_302600_NS6detail15normal_iteratorINS9_10device_ptrIiEEEENS9_16discard_iteratorINS9_11use_defaultEEEi11max_functorIiEiEEDaPvRmT3_T4_T5_mT6_P12ihipStream_tbENKUlT_T0_E_clISt17integral_constantIbLb1EESX_EEDaSS_ST_EUlSS_E0_NS1_11comp_targetILNS1_3genE10ELNS1_11target_archE1201ELNS1_3gpuE5ELNS1_3repE0EEENS1_30default_config_static_selectorELNS0_4arch9wavefront6targetE1EEEvT1_
		.amdhsa_group_segment_fixed_size 0
		.amdhsa_private_segment_fixed_size 0
		.amdhsa_kernarg_size 40
		.amdhsa_user_sgpr_count 6
		.amdhsa_user_sgpr_private_segment_buffer 1
		.amdhsa_user_sgpr_dispatch_ptr 0
		.amdhsa_user_sgpr_queue_ptr 0
		.amdhsa_user_sgpr_kernarg_segment_ptr 1
		.amdhsa_user_sgpr_dispatch_id 0
		.amdhsa_user_sgpr_flat_scratch_init 0
		.amdhsa_user_sgpr_kernarg_preload_length 0
		.amdhsa_user_sgpr_kernarg_preload_offset 0
		.amdhsa_user_sgpr_private_segment_size 0
		.amdhsa_uses_dynamic_stack 0
		.amdhsa_system_sgpr_private_segment_wavefront_offset 0
		.amdhsa_system_sgpr_workgroup_id_x 1
		.amdhsa_system_sgpr_workgroup_id_y 0
		.amdhsa_system_sgpr_workgroup_id_z 0
		.amdhsa_system_sgpr_workgroup_info 0
		.amdhsa_system_vgpr_workitem_id 0
		.amdhsa_next_free_vgpr 1
		.amdhsa_next_free_sgpr 0
		.amdhsa_accum_offset 4
		.amdhsa_reserve_vcc 0
		.amdhsa_reserve_flat_scratch 0
		.amdhsa_float_round_mode_32 0
		.amdhsa_float_round_mode_16_64 0
		.amdhsa_float_denorm_mode_32 3
		.amdhsa_float_denorm_mode_16_64 3
		.amdhsa_dx10_clamp 1
		.amdhsa_ieee_mode 1
		.amdhsa_fp16_overflow 0
		.amdhsa_tg_split 0
		.amdhsa_exception_fp_ieee_invalid_op 0
		.amdhsa_exception_fp_denorm_src 0
		.amdhsa_exception_fp_ieee_div_zero 0
		.amdhsa_exception_fp_ieee_overflow 0
		.amdhsa_exception_fp_ieee_underflow 0
		.amdhsa_exception_fp_ieee_inexact 0
		.amdhsa_exception_int_div_zero 0
	.end_amdhsa_kernel
	.section	.text._ZN7rocprim17ROCPRIM_400000_NS6detail17trampoline_kernelINS0_14default_configENS1_20scan_config_selectorIiEEZZNS1_9scan_implILNS1_25lookback_scan_determinismE0ELb1ELb1ES3_N6thrust23THRUST_200600_302600_NS6detail15normal_iteratorINS9_10device_ptrIiEEEENS9_16discard_iteratorINS9_11use_defaultEEEi11max_functorIiEiEEDaPvRmT3_T4_T5_mT6_P12ihipStream_tbENKUlT_T0_E_clISt17integral_constantIbLb1EESX_EEDaSS_ST_EUlSS_E0_NS1_11comp_targetILNS1_3genE10ELNS1_11target_archE1201ELNS1_3gpuE5ELNS1_3repE0EEENS1_30default_config_static_selectorELNS0_4arch9wavefront6targetE1EEEvT1_,"axG",@progbits,_ZN7rocprim17ROCPRIM_400000_NS6detail17trampoline_kernelINS0_14default_configENS1_20scan_config_selectorIiEEZZNS1_9scan_implILNS1_25lookback_scan_determinismE0ELb1ELb1ES3_N6thrust23THRUST_200600_302600_NS6detail15normal_iteratorINS9_10device_ptrIiEEEENS9_16discard_iteratorINS9_11use_defaultEEEi11max_functorIiEiEEDaPvRmT3_T4_T5_mT6_P12ihipStream_tbENKUlT_T0_E_clISt17integral_constantIbLb1EESX_EEDaSS_ST_EUlSS_E0_NS1_11comp_targetILNS1_3genE10ELNS1_11target_archE1201ELNS1_3gpuE5ELNS1_3repE0EEENS1_30default_config_static_selectorELNS0_4arch9wavefront6targetE1EEEvT1_,comdat
.Lfunc_end3958:
	.size	_ZN7rocprim17ROCPRIM_400000_NS6detail17trampoline_kernelINS0_14default_configENS1_20scan_config_selectorIiEEZZNS1_9scan_implILNS1_25lookback_scan_determinismE0ELb1ELb1ES3_N6thrust23THRUST_200600_302600_NS6detail15normal_iteratorINS9_10device_ptrIiEEEENS9_16discard_iteratorINS9_11use_defaultEEEi11max_functorIiEiEEDaPvRmT3_T4_T5_mT6_P12ihipStream_tbENKUlT_T0_E_clISt17integral_constantIbLb1EESX_EEDaSS_ST_EUlSS_E0_NS1_11comp_targetILNS1_3genE10ELNS1_11target_archE1201ELNS1_3gpuE5ELNS1_3repE0EEENS1_30default_config_static_selectorELNS0_4arch9wavefront6targetE1EEEvT1_, .Lfunc_end3958-_ZN7rocprim17ROCPRIM_400000_NS6detail17trampoline_kernelINS0_14default_configENS1_20scan_config_selectorIiEEZZNS1_9scan_implILNS1_25lookback_scan_determinismE0ELb1ELb1ES3_N6thrust23THRUST_200600_302600_NS6detail15normal_iteratorINS9_10device_ptrIiEEEENS9_16discard_iteratorINS9_11use_defaultEEEi11max_functorIiEiEEDaPvRmT3_T4_T5_mT6_P12ihipStream_tbENKUlT_T0_E_clISt17integral_constantIbLb1EESX_EEDaSS_ST_EUlSS_E0_NS1_11comp_targetILNS1_3genE10ELNS1_11target_archE1201ELNS1_3gpuE5ELNS1_3repE0EEENS1_30default_config_static_selectorELNS0_4arch9wavefront6targetE1EEEvT1_
                                        ; -- End function
	.section	.AMDGPU.csdata,"",@progbits
; Kernel info:
; codeLenInByte = 0
; NumSgprs: 4
; NumVgprs: 0
; NumAgprs: 0
; TotalNumVgprs: 0
; ScratchSize: 0
; MemoryBound: 0
; FloatMode: 240
; IeeeMode: 1
; LDSByteSize: 0 bytes/workgroup (compile time only)
; SGPRBlocks: 0
; VGPRBlocks: 0
; NumSGPRsForWavesPerEU: 4
; NumVGPRsForWavesPerEU: 1
; AccumOffset: 4
; Occupancy: 8
; WaveLimiterHint : 0
; COMPUTE_PGM_RSRC2:SCRATCH_EN: 0
; COMPUTE_PGM_RSRC2:USER_SGPR: 6
; COMPUTE_PGM_RSRC2:TRAP_HANDLER: 0
; COMPUTE_PGM_RSRC2:TGID_X_EN: 1
; COMPUTE_PGM_RSRC2:TGID_Y_EN: 0
; COMPUTE_PGM_RSRC2:TGID_Z_EN: 0
; COMPUTE_PGM_RSRC2:TIDIG_COMP_CNT: 0
; COMPUTE_PGM_RSRC3_GFX90A:ACCUM_OFFSET: 0
; COMPUTE_PGM_RSRC3_GFX90A:TG_SPLIT: 0
	.section	.text._ZN7rocprim17ROCPRIM_400000_NS6detail17trampoline_kernelINS0_14default_configENS1_20scan_config_selectorIiEEZZNS1_9scan_implILNS1_25lookback_scan_determinismE0ELb1ELb1ES3_N6thrust23THRUST_200600_302600_NS6detail15normal_iteratorINS9_10device_ptrIiEEEENS9_16discard_iteratorINS9_11use_defaultEEEi11max_functorIiEiEEDaPvRmT3_T4_T5_mT6_P12ihipStream_tbENKUlT_T0_E_clISt17integral_constantIbLb1EESX_EEDaSS_ST_EUlSS_E0_NS1_11comp_targetILNS1_3genE10ELNS1_11target_archE1200ELNS1_3gpuE4ELNS1_3repE0EEENS1_30default_config_static_selectorELNS0_4arch9wavefront6targetE1EEEvT1_,"axG",@progbits,_ZN7rocprim17ROCPRIM_400000_NS6detail17trampoline_kernelINS0_14default_configENS1_20scan_config_selectorIiEEZZNS1_9scan_implILNS1_25lookback_scan_determinismE0ELb1ELb1ES3_N6thrust23THRUST_200600_302600_NS6detail15normal_iteratorINS9_10device_ptrIiEEEENS9_16discard_iteratorINS9_11use_defaultEEEi11max_functorIiEiEEDaPvRmT3_T4_T5_mT6_P12ihipStream_tbENKUlT_T0_E_clISt17integral_constantIbLb1EESX_EEDaSS_ST_EUlSS_E0_NS1_11comp_targetILNS1_3genE10ELNS1_11target_archE1200ELNS1_3gpuE4ELNS1_3repE0EEENS1_30default_config_static_selectorELNS0_4arch9wavefront6targetE1EEEvT1_,comdat
	.protected	_ZN7rocprim17ROCPRIM_400000_NS6detail17trampoline_kernelINS0_14default_configENS1_20scan_config_selectorIiEEZZNS1_9scan_implILNS1_25lookback_scan_determinismE0ELb1ELb1ES3_N6thrust23THRUST_200600_302600_NS6detail15normal_iteratorINS9_10device_ptrIiEEEENS9_16discard_iteratorINS9_11use_defaultEEEi11max_functorIiEiEEDaPvRmT3_T4_T5_mT6_P12ihipStream_tbENKUlT_T0_E_clISt17integral_constantIbLb1EESX_EEDaSS_ST_EUlSS_E0_NS1_11comp_targetILNS1_3genE10ELNS1_11target_archE1200ELNS1_3gpuE4ELNS1_3repE0EEENS1_30default_config_static_selectorELNS0_4arch9wavefront6targetE1EEEvT1_ ; -- Begin function _ZN7rocprim17ROCPRIM_400000_NS6detail17trampoline_kernelINS0_14default_configENS1_20scan_config_selectorIiEEZZNS1_9scan_implILNS1_25lookback_scan_determinismE0ELb1ELb1ES3_N6thrust23THRUST_200600_302600_NS6detail15normal_iteratorINS9_10device_ptrIiEEEENS9_16discard_iteratorINS9_11use_defaultEEEi11max_functorIiEiEEDaPvRmT3_T4_T5_mT6_P12ihipStream_tbENKUlT_T0_E_clISt17integral_constantIbLb1EESX_EEDaSS_ST_EUlSS_E0_NS1_11comp_targetILNS1_3genE10ELNS1_11target_archE1200ELNS1_3gpuE4ELNS1_3repE0EEENS1_30default_config_static_selectorELNS0_4arch9wavefront6targetE1EEEvT1_
	.globl	_ZN7rocprim17ROCPRIM_400000_NS6detail17trampoline_kernelINS0_14default_configENS1_20scan_config_selectorIiEEZZNS1_9scan_implILNS1_25lookback_scan_determinismE0ELb1ELb1ES3_N6thrust23THRUST_200600_302600_NS6detail15normal_iteratorINS9_10device_ptrIiEEEENS9_16discard_iteratorINS9_11use_defaultEEEi11max_functorIiEiEEDaPvRmT3_T4_T5_mT6_P12ihipStream_tbENKUlT_T0_E_clISt17integral_constantIbLb1EESX_EEDaSS_ST_EUlSS_E0_NS1_11comp_targetILNS1_3genE10ELNS1_11target_archE1200ELNS1_3gpuE4ELNS1_3repE0EEENS1_30default_config_static_selectorELNS0_4arch9wavefront6targetE1EEEvT1_
	.p2align	8
	.type	_ZN7rocprim17ROCPRIM_400000_NS6detail17trampoline_kernelINS0_14default_configENS1_20scan_config_selectorIiEEZZNS1_9scan_implILNS1_25lookback_scan_determinismE0ELb1ELb1ES3_N6thrust23THRUST_200600_302600_NS6detail15normal_iteratorINS9_10device_ptrIiEEEENS9_16discard_iteratorINS9_11use_defaultEEEi11max_functorIiEiEEDaPvRmT3_T4_T5_mT6_P12ihipStream_tbENKUlT_T0_E_clISt17integral_constantIbLb1EESX_EEDaSS_ST_EUlSS_E0_NS1_11comp_targetILNS1_3genE10ELNS1_11target_archE1200ELNS1_3gpuE4ELNS1_3repE0EEENS1_30default_config_static_selectorELNS0_4arch9wavefront6targetE1EEEvT1_,@function
_ZN7rocprim17ROCPRIM_400000_NS6detail17trampoline_kernelINS0_14default_configENS1_20scan_config_selectorIiEEZZNS1_9scan_implILNS1_25lookback_scan_determinismE0ELb1ELb1ES3_N6thrust23THRUST_200600_302600_NS6detail15normal_iteratorINS9_10device_ptrIiEEEENS9_16discard_iteratorINS9_11use_defaultEEEi11max_functorIiEiEEDaPvRmT3_T4_T5_mT6_P12ihipStream_tbENKUlT_T0_E_clISt17integral_constantIbLb1EESX_EEDaSS_ST_EUlSS_E0_NS1_11comp_targetILNS1_3genE10ELNS1_11target_archE1200ELNS1_3gpuE4ELNS1_3repE0EEENS1_30default_config_static_selectorELNS0_4arch9wavefront6targetE1EEEvT1_: ; @_ZN7rocprim17ROCPRIM_400000_NS6detail17trampoline_kernelINS0_14default_configENS1_20scan_config_selectorIiEEZZNS1_9scan_implILNS1_25lookback_scan_determinismE0ELb1ELb1ES3_N6thrust23THRUST_200600_302600_NS6detail15normal_iteratorINS9_10device_ptrIiEEEENS9_16discard_iteratorINS9_11use_defaultEEEi11max_functorIiEiEEDaPvRmT3_T4_T5_mT6_P12ihipStream_tbENKUlT_T0_E_clISt17integral_constantIbLb1EESX_EEDaSS_ST_EUlSS_E0_NS1_11comp_targetILNS1_3genE10ELNS1_11target_archE1200ELNS1_3gpuE4ELNS1_3repE0EEENS1_30default_config_static_selectorELNS0_4arch9wavefront6targetE1EEEvT1_
; %bb.0:
	.section	.rodata,"a",@progbits
	.p2align	6, 0x0
	.amdhsa_kernel _ZN7rocprim17ROCPRIM_400000_NS6detail17trampoline_kernelINS0_14default_configENS1_20scan_config_selectorIiEEZZNS1_9scan_implILNS1_25lookback_scan_determinismE0ELb1ELb1ES3_N6thrust23THRUST_200600_302600_NS6detail15normal_iteratorINS9_10device_ptrIiEEEENS9_16discard_iteratorINS9_11use_defaultEEEi11max_functorIiEiEEDaPvRmT3_T4_T5_mT6_P12ihipStream_tbENKUlT_T0_E_clISt17integral_constantIbLb1EESX_EEDaSS_ST_EUlSS_E0_NS1_11comp_targetILNS1_3genE10ELNS1_11target_archE1200ELNS1_3gpuE4ELNS1_3repE0EEENS1_30default_config_static_selectorELNS0_4arch9wavefront6targetE1EEEvT1_
		.amdhsa_group_segment_fixed_size 0
		.amdhsa_private_segment_fixed_size 0
		.amdhsa_kernarg_size 40
		.amdhsa_user_sgpr_count 6
		.amdhsa_user_sgpr_private_segment_buffer 1
		.amdhsa_user_sgpr_dispatch_ptr 0
		.amdhsa_user_sgpr_queue_ptr 0
		.amdhsa_user_sgpr_kernarg_segment_ptr 1
		.amdhsa_user_sgpr_dispatch_id 0
		.amdhsa_user_sgpr_flat_scratch_init 0
		.amdhsa_user_sgpr_kernarg_preload_length 0
		.amdhsa_user_sgpr_kernarg_preload_offset 0
		.amdhsa_user_sgpr_private_segment_size 0
		.amdhsa_uses_dynamic_stack 0
		.amdhsa_system_sgpr_private_segment_wavefront_offset 0
		.amdhsa_system_sgpr_workgroup_id_x 1
		.amdhsa_system_sgpr_workgroup_id_y 0
		.amdhsa_system_sgpr_workgroup_id_z 0
		.amdhsa_system_sgpr_workgroup_info 0
		.amdhsa_system_vgpr_workitem_id 0
		.amdhsa_next_free_vgpr 1
		.amdhsa_next_free_sgpr 0
		.amdhsa_accum_offset 4
		.amdhsa_reserve_vcc 0
		.amdhsa_reserve_flat_scratch 0
		.amdhsa_float_round_mode_32 0
		.amdhsa_float_round_mode_16_64 0
		.amdhsa_float_denorm_mode_32 3
		.amdhsa_float_denorm_mode_16_64 3
		.amdhsa_dx10_clamp 1
		.amdhsa_ieee_mode 1
		.amdhsa_fp16_overflow 0
		.amdhsa_tg_split 0
		.amdhsa_exception_fp_ieee_invalid_op 0
		.amdhsa_exception_fp_denorm_src 0
		.amdhsa_exception_fp_ieee_div_zero 0
		.amdhsa_exception_fp_ieee_overflow 0
		.amdhsa_exception_fp_ieee_underflow 0
		.amdhsa_exception_fp_ieee_inexact 0
		.amdhsa_exception_int_div_zero 0
	.end_amdhsa_kernel
	.section	.text._ZN7rocprim17ROCPRIM_400000_NS6detail17trampoline_kernelINS0_14default_configENS1_20scan_config_selectorIiEEZZNS1_9scan_implILNS1_25lookback_scan_determinismE0ELb1ELb1ES3_N6thrust23THRUST_200600_302600_NS6detail15normal_iteratorINS9_10device_ptrIiEEEENS9_16discard_iteratorINS9_11use_defaultEEEi11max_functorIiEiEEDaPvRmT3_T4_T5_mT6_P12ihipStream_tbENKUlT_T0_E_clISt17integral_constantIbLb1EESX_EEDaSS_ST_EUlSS_E0_NS1_11comp_targetILNS1_3genE10ELNS1_11target_archE1200ELNS1_3gpuE4ELNS1_3repE0EEENS1_30default_config_static_selectorELNS0_4arch9wavefront6targetE1EEEvT1_,"axG",@progbits,_ZN7rocprim17ROCPRIM_400000_NS6detail17trampoline_kernelINS0_14default_configENS1_20scan_config_selectorIiEEZZNS1_9scan_implILNS1_25lookback_scan_determinismE0ELb1ELb1ES3_N6thrust23THRUST_200600_302600_NS6detail15normal_iteratorINS9_10device_ptrIiEEEENS9_16discard_iteratorINS9_11use_defaultEEEi11max_functorIiEiEEDaPvRmT3_T4_T5_mT6_P12ihipStream_tbENKUlT_T0_E_clISt17integral_constantIbLb1EESX_EEDaSS_ST_EUlSS_E0_NS1_11comp_targetILNS1_3genE10ELNS1_11target_archE1200ELNS1_3gpuE4ELNS1_3repE0EEENS1_30default_config_static_selectorELNS0_4arch9wavefront6targetE1EEEvT1_,comdat
.Lfunc_end3959:
	.size	_ZN7rocprim17ROCPRIM_400000_NS6detail17trampoline_kernelINS0_14default_configENS1_20scan_config_selectorIiEEZZNS1_9scan_implILNS1_25lookback_scan_determinismE0ELb1ELb1ES3_N6thrust23THRUST_200600_302600_NS6detail15normal_iteratorINS9_10device_ptrIiEEEENS9_16discard_iteratorINS9_11use_defaultEEEi11max_functorIiEiEEDaPvRmT3_T4_T5_mT6_P12ihipStream_tbENKUlT_T0_E_clISt17integral_constantIbLb1EESX_EEDaSS_ST_EUlSS_E0_NS1_11comp_targetILNS1_3genE10ELNS1_11target_archE1200ELNS1_3gpuE4ELNS1_3repE0EEENS1_30default_config_static_selectorELNS0_4arch9wavefront6targetE1EEEvT1_, .Lfunc_end3959-_ZN7rocprim17ROCPRIM_400000_NS6detail17trampoline_kernelINS0_14default_configENS1_20scan_config_selectorIiEEZZNS1_9scan_implILNS1_25lookback_scan_determinismE0ELb1ELb1ES3_N6thrust23THRUST_200600_302600_NS6detail15normal_iteratorINS9_10device_ptrIiEEEENS9_16discard_iteratorINS9_11use_defaultEEEi11max_functorIiEiEEDaPvRmT3_T4_T5_mT6_P12ihipStream_tbENKUlT_T0_E_clISt17integral_constantIbLb1EESX_EEDaSS_ST_EUlSS_E0_NS1_11comp_targetILNS1_3genE10ELNS1_11target_archE1200ELNS1_3gpuE4ELNS1_3repE0EEENS1_30default_config_static_selectorELNS0_4arch9wavefront6targetE1EEEvT1_
                                        ; -- End function
	.section	.AMDGPU.csdata,"",@progbits
; Kernel info:
; codeLenInByte = 0
; NumSgprs: 4
; NumVgprs: 0
; NumAgprs: 0
; TotalNumVgprs: 0
; ScratchSize: 0
; MemoryBound: 0
; FloatMode: 240
; IeeeMode: 1
; LDSByteSize: 0 bytes/workgroup (compile time only)
; SGPRBlocks: 0
; VGPRBlocks: 0
; NumSGPRsForWavesPerEU: 4
; NumVGPRsForWavesPerEU: 1
; AccumOffset: 4
; Occupancy: 8
; WaveLimiterHint : 0
; COMPUTE_PGM_RSRC2:SCRATCH_EN: 0
; COMPUTE_PGM_RSRC2:USER_SGPR: 6
; COMPUTE_PGM_RSRC2:TRAP_HANDLER: 0
; COMPUTE_PGM_RSRC2:TGID_X_EN: 1
; COMPUTE_PGM_RSRC2:TGID_Y_EN: 0
; COMPUTE_PGM_RSRC2:TGID_Z_EN: 0
; COMPUTE_PGM_RSRC2:TIDIG_COMP_CNT: 0
; COMPUTE_PGM_RSRC3_GFX90A:ACCUM_OFFSET: 0
; COMPUTE_PGM_RSRC3_GFX90A:TG_SPLIT: 0
	.section	.text._ZN7rocprim17ROCPRIM_400000_NS6detail17trampoline_kernelINS0_14default_configENS1_20scan_config_selectorIiEEZZNS1_9scan_implILNS1_25lookback_scan_determinismE0ELb1ELb1ES3_N6thrust23THRUST_200600_302600_NS6detail15normal_iteratorINS9_10device_ptrIiEEEENS9_16discard_iteratorINS9_11use_defaultEEEi11max_functorIiEiEEDaPvRmT3_T4_T5_mT6_P12ihipStream_tbENKUlT_T0_E_clISt17integral_constantIbLb1EESX_EEDaSS_ST_EUlSS_E0_NS1_11comp_targetILNS1_3genE9ELNS1_11target_archE1100ELNS1_3gpuE3ELNS1_3repE0EEENS1_30default_config_static_selectorELNS0_4arch9wavefront6targetE1EEEvT1_,"axG",@progbits,_ZN7rocprim17ROCPRIM_400000_NS6detail17trampoline_kernelINS0_14default_configENS1_20scan_config_selectorIiEEZZNS1_9scan_implILNS1_25lookback_scan_determinismE0ELb1ELb1ES3_N6thrust23THRUST_200600_302600_NS6detail15normal_iteratorINS9_10device_ptrIiEEEENS9_16discard_iteratorINS9_11use_defaultEEEi11max_functorIiEiEEDaPvRmT3_T4_T5_mT6_P12ihipStream_tbENKUlT_T0_E_clISt17integral_constantIbLb1EESX_EEDaSS_ST_EUlSS_E0_NS1_11comp_targetILNS1_3genE9ELNS1_11target_archE1100ELNS1_3gpuE3ELNS1_3repE0EEENS1_30default_config_static_selectorELNS0_4arch9wavefront6targetE1EEEvT1_,comdat
	.protected	_ZN7rocprim17ROCPRIM_400000_NS6detail17trampoline_kernelINS0_14default_configENS1_20scan_config_selectorIiEEZZNS1_9scan_implILNS1_25lookback_scan_determinismE0ELb1ELb1ES3_N6thrust23THRUST_200600_302600_NS6detail15normal_iteratorINS9_10device_ptrIiEEEENS9_16discard_iteratorINS9_11use_defaultEEEi11max_functorIiEiEEDaPvRmT3_T4_T5_mT6_P12ihipStream_tbENKUlT_T0_E_clISt17integral_constantIbLb1EESX_EEDaSS_ST_EUlSS_E0_NS1_11comp_targetILNS1_3genE9ELNS1_11target_archE1100ELNS1_3gpuE3ELNS1_3repE0EEENS1_30default_config_static_selectorELNS0_4arch9wavefront6targetE1EEEvT1_ ; -- Begin function _ZN7rocprim17ROCPRIM_400000_NS6detail17trampoline_kernelINS0_14default_configENS1_20scan_config_selectorIiEEZZNS1_9scan_implILNS1_25lookback_scan_determinismE0ELb1ELb1ES3_N6thrust23THRUST_200600_302600_NS6detail15normal_iteratorINS9_10device_ptrIiEEEENS9_16discard_iteratorINS9_11use_defaultEEEi11max_functorIiEiEEDaPvRmT3_T4_T5_mT6_P12ihipStream_tbENKUlT_T0_E_clISt17integral_constantIbLb1EESX_EEDaSS_ST_EUlSS_E0_NS1_11comp_targetILNS1_3genE9ELNS1_11target_archE1100ELNS1_3gpuE3ELNS1_3repE0EEENS1_30default_config_static_selectorELNS0_4arch9wavefront6targetE1EEEvT1_
	.globl	_ZN7rocprim17ROCPRIM_400000_NS6detail17trampoline_kernelINS0_14default_configENS1_20scan_config_selectorIiEEZZNS1_9scan_implILNS1_25lookback_scan_determinismE0ELb1ELb1ES3_N6thrust23THRUST_200600_302600_NS6detail15normal_iteratorINS9_10device_ptrIiEEEENS9_16discard_iteratorINS9_11use_defaultEEEi11max_functorIiEiEEDaPvRmT3_T4_T5_mT6_P12ihipStream_tbENKUlT_T0_E_clISt17integral_constantIbLb1EESX_EEDaSS_ST_EUlSS_E0_NS1_11comp_targetILNS1_3genE9ELNS1_11target_archE1100ELNS1_3gpuE3ELNS1_3repE0EEENS1_30default_config_static_selectorELNS0_4arch9wavefront6targetE1EEEvT1_
	.p2align	8
	.type	_ZN7rocprim17ROCPRIM_400000_NS6detail17trampoline_kernelINS0_14default_configENS1_20scan_config_selectorIiEEZZNS1_9scan_implILNS1_25lookback_scan_determinismE0ELb1ELb1ES3_N6thrust23THRUST_200600_302600_NS6detail15normal_iteratorINS9_10device_ptrIiEEEENS9_16discard_iteratorINS9_11use_defaultEEEi11max_functorIiEiEEDaPvRmT3_T4_T5_mT6_P12ihipStream_tbENKUlT_T0_E_clISt17integral_constantIbLb1EESX_EEDaSS_ST_EUlSS_E0_NS1_11comp_targetILNS1_3genE9ELNS1_11target_archE1100ELNS1_3gpuE3ELNS1_3repE0EEENS1_30default_config_static_selectorELNS0_4arch9wavefront6targetE1EEEvT1_,@function
_ZN7rocprim17ROCPRIM_400000_NS6detail17trampoline_kernelINS0_14default_configENS1_20scan_config_selectorIiEEZZNS1_9scan_implILNS1_25lookback_scan_determinismE0ELb1ELb1ES3_N6thrust23THRUST_200600_302600_NS6detail15normal_iteratorINS9_10device_ptrIiEEEENS9_16discard_iteratorINS9_11use_defaultEEEi11max_functorIiEiEEDaPvRmT3_T4_T5_mT6_P12ihipStream_tbENKUlT_T0_E_clISt17integral_constantIbLb1EESX_EEDaSS_ST_EUlSS_E0_NS1_11comp_targetILNS1_3genE9ELNS1_11target_archE1100ELNS1_3gpuE3ELNS1_3repE0EEENS1_30default_config_static_selectorELNS0_4arch9wavefront6targetE1EEEvT1_: ; @_ZN7rocprim17ROCPRIM_400000_NS6detail17trampoline_kernelINS0_14default_configENS1_20scan_config_selectorIiEEZZNS1_9scan_implILNS1_25lookback_scan_determinismE0ELb1ELb1ES3_N6thrust23THRUST_200600_302600_NS6detail15normal_iteratorINS9_10device_ptrIiEEEENS9_16discard_iteratorINS9_11use_defaultEEEi11max_functorIiEiEEDaPvRmT3_T4_T5_mT6_P12ihipStream_tbENKUlT_T0_E_clISt17integral_constantIbLb1EESX_EEDaSS_ST_EUlSS_E0_NS1_11comp_targetILNS1_3genE9ELNS1_11target_archE1100ELNS1_3gpuE3ELNS1_3repE0EEENS1_30default_config_static_selectorELNS0_4arch9wavefront6targetE1EEEvT1_
; %bb.0:
	.section	.rodata,"a",@progbits
	.p2align	6, 0x0
	.amdhsa_kernel _ZN7rocprim17ROCPRIM_400000_NS6detail17trampoline_kernelINS0_14default_configENS1_20scan_config_selectorIiEEZZNS1_9scan_implILNS1_25lookback_scan_determinismE0ELb1ELb1ES3_N6thrust23THRUST_200600_302600_NS6detail15normal_iteratorINS9_10device_ptrIiEEEENS9_16discard_iteratorINS9_11use_defaultEEEi11max_functorIiEiEEDaPvRmT3_T4_T5_mT6_P12ihipStream_tbENKUlT_T0_E_clISt17integral_constantIbLb1EESX_EEDaSS_ST_EUlSS_E0_NS1_11comp_targetILNS1_3genE9ELNS1_11target_archE1100ELNS1_3gpuE3ELNS1_3repE0EEENS1_30default_config_static_selectorELNS0_4arch9wavefront6targetE1EEEvT1_
		.amdhsa_group_segment_fixed_size 0
		.amdhsa_private_segment_fixed_size 0
		.amdhsa_kernarg_size 40
		.amdhsa_user_sgpr_count 6
		.amdhsa_user_sgpr_private_segment_buffer 1
		.amdhsa_user_sgpr_dispatch_ptr 0
		.amdhsa_user_sgpr_queue_ptr 0
		.amdhsa_user_sgpr_kernarg_segment_ptr 1
		.amdhsa_user_sgpr_dispatch_id 0
		.amdhsa_user_sgpr_flat_scratch_init 0
		.amdhsa_user_sgpr_kernarg_preload_length 0
		.amdhsa_user_sgpr_kernarg_preload_offset 0
		.amdhsa_user_sgpr_private_segment_size 0
		.amdhsa_uses_dynamic_stack 0
		.amdhsa_system_sgpr_private_segment_wavefront_offset 0
		.amdhsa_system_sgpr_workgroup_id_x 1
		.amdhsa_system_sgpr_workgroup_id_y 0
		.amdhsa_system_sgpr_workgroup_id_z 0
		.amdhsa_system_sgpr_workgroup_info 0
		.amdhsa_system_vgpr_workitem_id 0
		.amdhsa_next_free_vgpr 1
		.amdhsa_next_free_sgpr 0
		.amdhsa_accum_offset 4
		.amdhsa_reserve_vcc 0
		.amdhsa_reserve_flat_scratch 0
		.amdhsa_float_round_mode_32 0
		.amdhsa_float_round_mode_16_64 0
		.amdhsa_float_denorm_mode_32 3
		.amdhsa_float_denorm_mode_16_64 3
		.amdhsa_dx10_clamp 1
		.amdhsa_ieee_mode 1
		.amdhsa_fp16_overflow 0
		.amdhsa_tg_split 0
		.amdhsa_exception_fp_ieee_invalid_op 0
		.amdhsa_exception_fp_denorm_src 0
		.amdhsa_exception_fp_ieee_div_zero 0
		.amdhsa_exception_fp_ieee_overflow 0
		.amdhsa_exception_fp_ieee_underflow 0
		.amdhsa_exception_fp_ieee_inexact 0
		.amdhsa_exception_int_div_zero 0
	.end_amdhsa_kernel
	.section	.text._ZN7rocprim17ROCPRIM_400000_NS6detail17trampoline_kernelINS0_14default_configENS1_20scan_config_selectorIiEEZZNS1_9scan_implILNS1_25lookback_scan_determinismE0ELb1ELb1ES3_N6thrust23THRUST_200600_302600_NS6detail15normal_iteratorINS9_10device_ptrIiEEEENS9_16discard_iteratorINS9_11use_defaultEEEi11max_functorIiEiEEDaPvRmT3_T4_T5_mT6_P12ihipStream_tbENKUlT_T0_E_clISt17integral_constantIbLb1EESX_EEDaSS_ST_EUlSS_E0_NS1_11comp_targetILNS1_3genE9ELNS1_11target_archE1100ELNS1_3gpuE3ELNS1_3repE0EEENS1_30default_config_static_selectorELNS0_4arch9wavefront6targetE1EEEvT1_,"axG",@progbits,_ZN7rocprim17ROCPRIM_400000_NS6detail17trampoline_kernelINS0_14default_configENS1_20scan_config_selectorIiEEZZNS1_9scan_implILNS1_25lookback_scan_determinismE0ELb1ELb1ES3_N6thrust23THRUST_200600_302600_NS6detail15normal_iteratorINS9_10device_ptrIiEEEENS9_16discard_iteratorINS9_11use_defaultEEEi11max_functorIiEiEEDaPvRmT3_T4_T5_mT6_P12ihipStream_tbENKUlT_T0_E_clISt17integral_constantIbLb1EESX_EEDaSS_ST_EUlSS_E0_NS1_11comp_targetILNS1_3genE9ELNS1_11target_archE1100ELNS1_3gpuE3ELNS1_3repE0EEENS1_30default_config_static_selectorELNS0_4arch9wavefront6targetE1EEEvT1_,comdat
.Lfunc_end3960:
	.size	_ZN7rocprim17ROCPRIM_400000_NS6detail17trampoline_kernelINS0_14default_configENS1_20scan_config_selectorIiEEZZNS1_9scan_implILNS1_25lookback_scan_determinismE0ELb1ELb1ES3_N6thrust23THRUST_200600_302600_NS6detail15normal_iteratorINS9_10device_ptrIiEEEENS9_16discard_iteratorINS9_11use_defaultEEEi11max_functorIiEiEEDaPvRmT3_T4_T5_mT6_P12ihipStream_tbENKUlT_T0_E_clISt17integral_constantIbLb1EESX_EEDaSS_ST_EUlSS_E0_NS1_11comp_targetILNS1_3genE9ELNS1_11target_archE1100ELNS1_3gpuE3ELNS1_3repE0EEENS1_30default_config_static_selectorELNS0_4arch9wavefront6targetE1EEEvT1_, .Lfunc_end3960-_ZN7rocprim17ROCPRIM_400000_NS6detail17trampoline_kernelINS0_14default_configENS1_20scan_config_selectorIiEEZZNS1_9scan_implILNS1_25lookback_scan_determinismE0ELb1ELb1ES3_N6thrust23THRUST_200600_302600_NS6detail15normal_iteratorINS9_10device_ptrIiEEEENS9_16discard_iteratorINS9_11use_defaultEEEi11max_functorIiEiEEDaPvRmT3_T4_T5_mT6_P12ihipStream_tbENKUlT_T0_E_clISt17integral_constantIbLb1EESX_EEDaSS_ST_EUlSS_E0_NS1_11comp_targetILNS1_3genE9ELNS1_11target_archE1100ELNS1_3gpuE3ELNS1_3repE0EEENS1_30default_config_static_selectorELNS0_4arch9wavefront6targetE1EEEvT1_
                                        ; -- End function
	.section	.AMDGPU.csdata,"",@progbits
; Kernel info:
; codeLenInByte = 0
; NumSgprs: 4
; NumVgprs: 0
; NumAgprs: 0
; TotalNumVgprs: 0
; ScratchSize: 0
; MemoryBound: 0
; FloatMode: 240
; IeeeMode: 1
; LDSByteSize: 0 bytes/workgroup (compile time only)
; SGPRBlocks: 0
; VGPRBlocks: 0
; NumSGPRsForWavesPerEU: 4
; NumVGPRsForWavesPerEU: 1
; AccumOffset: 4
; Occupancy: 8
; WaveLimiterHint : 0
; COMPUTE_PGM_RSRC2:SCRATCH_EN: 0
; COMPUTE_PGM_RSRC2:USER_SGPR: 6
; COMPUTE_PGM_RSRC2:TRAP_HANDLER: 0
; COMPUTE_PGM_RSRC2:TGID_X_EN: 1
; COMPUTE_PGM_RSRC2:TGID_Y_EN: 0
; COMPUTE_PGM_RSRC2:TGID_Z_EN: 0
; COMPUTE_PGM_RSRC2:TIDIG_COMP_CNT: 0
; COMPUTE_PGM_RSRC3_GFX90A:ACCUM_OFFSET: 0
; COMPUTE_PGM_RSRC3_GFX90A:TG_SPLIT: 0
	.section	.text._ZN7rocprim17ROCPRIM_400000_NS6detail17trampoline_kernelINS0_14default_configENS1_20scan_config_selectorIiEEZZNS1_9scan_implILNS1_25lookback_scan_determinismE0ELb1ELb1ES3_N6thrust23THRUST_200600_302600_NS6detail15normal_iteratorINS9_10device_ptrIiEEEENS9_16discard_iteratorINS9_11use_defaultEEEi11max_functorIiEiEEDaPvRmT3_T4_T5_mT6_P12ihipStream_tbENKUlT_T0_E_clISt17integral_constantIbLb1EESX_EEDaSS_ST_EUlSS_E0_NS1_11comp_targetILNS1_3genE8ELNS1_11target_archE1030ELNS1_3gpuE2ELNS1_3repE0EEENS1_30default_config_static_selectorELNS0_4arch9wavefront6targetE1EEEvT1_,"axG",@progbits,_ZN7rocprim17ROCPRIM_400000_NS6detail17trampoline_kernelINS0_14default_configENS1_20scan_config_selectorIiEEZZNS1_9scan_implILNS1_25lookback_scan_determinismE0ELb1ELb1ES3_N6thrust23THRUST_200600_302600_NS6detail15normal_iteratorINS9_10device_ptrIiEEEENS9_16discard_iteratorINS9_11use_defaultEEEi11max_functorIiEiEEDaPvRmT3_T4_T5_mT6_P12ihipStream_tbENKUlT_T0_E_clISt17integral_constantIbLb1EESX_EEDaSS_ST_EUlSS_E0_NS1_11comp_targetILNS1_3genE8ELNS1_11target_archE1030ELNS1_3gpuE2ELNS1_3repE0EEENS1_30default_config_static_selectorELNS0_4arch9wavefront6targetE1EEEvT1_,comdat
	.protected	_ZN7rocprim17ROCPRIM_400000_NS6detail17trampoline_kernelINS0_14default_configENS1_20scan_config_selectorIiEEZZNS1_9scan_implILNS1_25lookback_scan_determinismE0ELb1ELb1ES3_N6thrust23THRUST_200600_302600_NS6detail15normal_iteratorINS9_10device_ptrIiEEEENS9_16discard_iteratorINS9_11use_defaultEEEi11max_functorIiEiEEDaPvRmT3_T4_T5_mT6_P12ihipStream_tbENKUlT_T0_E_clISt17integral_constantIbLb1EESX_EEDaSS_ST_EUlSS_E0_NS1_11comp_targetILNS1_3genE8ELNS1_11target_archE1030ELNS1_3gpuE2ELNS1_3repE0EEENS1_30default_config_static_selectorELNS0_4arch9wavefront6targetE1EEEvT1_ ; -- Begin function _ZN7rocprim17ROCPRIM_400000_NS6detail17trampoline_kernelINS0_14default_configENS1_20scan_config_selectorIiEEZZNS1_9scan_implILNS1_25lookback_scan_determinismE0ELb1ELb1ES3_N6thrust23THRUST_200600_302600_NS6detail15normal_iteratorINS9_10device_ptrIiEEEENS9_16discard_iteratorINS9_11use_defaultEEEi11max_functorIiEiEEDaPvRmT3_T4_T5_mT6_P12ihipStream_tbENKUlT_T0_E_clISt17integral_constantIbLb1EESX_EEDaSS_ST_EUlSS_E0_NS1_11comp_targetILNS1_3genE8ELNS1_11target_archE1030ELNS1_3gpuE2ELNS1_3repE0EEENS1_30default_config_static_selectorELNS0_4arch9wavefront6targetE1EEEvT1_
	.globl	_ZN7rocprim17ROCPRIM_400000_NS6detail17trampoline_kernelINS0_14default_configENS1_20scan_config_selectorIiEEZZNS1_9scan_implILNS1_25lookback_scan_determinismE0ELb1ELb1ES3_N6thrust23THRUST_200600_302600_NS6detail15normal_iteratorINS9_10device_ptrIiEEEENS9_16discard_iteratorINS9_11use_defaultEEEi11max_functorIiEiEEDaPvRmT3_T4_T5_mT6_P12ihipStream_tbENKUlT_T0_E_clISt17integral_constantIbLb1EESX_EEDaSS_ST_EUlSS_E0_NS1_11comp_targetILNS1_3genE8ELNS1_11target_archE1030ELNS1_3gpuE2ELNS1_3repE0EEENS1_30default_config_static_selectorELNS0_4arch9wavefront6targetE1EEEvT1_
	.p2align	8
	.type	_ZN7rocprim17ROCPRIM_400000_NS6detail17trampoline_kernelINS0_14default_configENS1_20scan_config_selectorIiEEZZNS1_9scan_implILNS1_25lookback_scan_determinismE0ELb1ELb1ES3_N6thrust23THRUST_200600_302600_NS6detail15normal_iteratorINS9_10device_ptrIiEEEENS9_16discard_iteratorINS9_11use_defaultEEEi11max_functorIiEiEEDaPvRmT3_T4_T5_mT6_P12ihipStream_tbENKUlT_T0_E_clISt17integral_constantIbLb1EESX_EEDaSS_ST_EUlSS_E0_NS1_11comp_targetILNS1_3genE8ELNS1_11target_archE1030ELNS1_3gpuE2ELNS1_3repE0EEENS1_30default_config_static_selectorELNS0_4arch9wavefront6targetE1EEEvT1_,@function
_ZN7rocprim17ROCPRIM_400000_NS6detail17trampoline_kernelINS0_14default_configENS1_20scan_config_selectorIiEEZZNS1_9scan_implILNS1_25lookback_scan_determinismE0ELb1ELb1ES3_N6thrust23THRUST_200600_302600_NS6detail15normal_iteratorINS9_10device_ptrIiEEEENS9_16discard_iteratorINS9_11use_defaultEEEi11max_functorIiEiEEDaPvRmT3_T4_T5_mT6_P12ihipStream_tbENKUlT_T0_E_clISt17integral_constantIbLb1EESX_EEDaSS_ST_EUlSS_E0_NS1_11comp_targetILNS1_3genE8ELNS1_11target_archE1030ELNS1_3gpuE2ELNS1_3repE0EEENS1_30default_config_static_selectorELNS0_4arch9wavefront6targetE1EEEvT1_: ; @_ZN7rocprim17ROCPRIM_400000_NS6detail17trampoline_kernelINS0_14default_configENS1_20scan_config_selectorIiEEZZNS1_9scan_implILNS1_25lookback_scan_determinismE0ELb1ELb1ES3_N6thrust23THRUST_200600_302600_NS6detail15normal_iteratorINS9_10device_ptrIiEEEENS9_16discard_iteratorINS9_11use_defaultEEEi11max_functorIiEiEEDaPvRmT3_T4_T5_mT6_P12ihipStream_tbENKUlT_T0_E_clISt17integral_constantIbLb1EESX_EEDaSS_ST_EUlSS_E0_NS1_11comp_targetILNS1_3genE8ELNS1_11target_archE1030ELNS1_3gpuE2ELNS1_3repE0EEENS1_30default_config_static_selectorELNS0_4arch9wavefront6targetE1EEEvT1_
; %bb.0:
	.section	.rodata,"a",@progbits
	.p2align	6, 0x0
	.amdhsa_kernel _ZN7rocprim17ROCPRIM_400000_NS6detail17trampoline_kernelINS0_14default_configENS1_20scan_config_selectorIiEEZZNS1_9scan_implILNS1_25lookback_scan_determinismE0ELb1ELb1ES3_N6thrust23THRUST_200600_302600_NS6detail15normal_iteratorINS9_10device_ptrIiEEEENS9_16discard_iteratorINS9_11use_defaultEEEi11max_functorIiEiEEDaPvRmT3_T4_T5_mT6_P12ihipStream_tbENKUlT_T0_E_clISt17integral_constantIbLb1EESX_EEDaSS_ST_EUlSS_E0_NS1_11comp_targetILNS1_3genE8ELNS1_11target_archE1030ELNS1_3gpuE2ELNS1_3repE0EEENS1_30default_config_static_selectorELNS0_4arch9wavefront6targetE1EEEvT1_
		.amdhsa_group_segment_fixed_size 0
		.amdhsa_private_segment_fixed_size 0
		.amdhsa_kernarg_size 40
		.amdhsa_user_sgpr_count 6
		.amdhsa_user_sgpr_private_segment_buffer 1
		.amdhsa_user_sgpr_dispatch_ptr 0
		.amdhsa_user_sgpr_queue_ptr 0
		.amdhsa_user_sgpr_kernarg_segment_ptr 1
		.amdhsa_user_sgpr_dispatch_id 0
		.amdhsa_user_sgpr_flat_scratch_init 0
		.amdhsa_user_sgpr_kernarg_preload_length 0
		.amdhsa_user_sgpr_kernarg_preload_offset 0
		.amdhsa_user_sgpr_private_segment_size 0
		.amdhsa_uses_dynamic_stack 0
		.amdhsa_system_sgpr_private_segment_wavefront_offset 0
		.amdhsa_system_sgpr_workgroup_id_x 1
		.amdhsa_system_sgpr_workgroup_id_y 0
		.amdhsa_system_sgpr_workgroup_id_z 0
		.amdhsa_system_sgpr_workgroup_info 0
		.amdhsa_system_vgpr_workitem_id 0
		.amdhsa_next_free_vgpr 1
		.amdhsa_next_free_sgpr 0
		.amdhsa_accum_offset 4
		.amdhsa_reserve_vcc 0
		.amdhsa_reserve_flat_scratch 0
		.amdhsa_float_round_mode_32 0
		.amdhsa_float_round_mode_16_64 0
		.amdhsa_float_denorm_mode_32 3
		.amdhsa_float_denorm_mode_16_64 3
		.amdhsa_dx10_clamp 1
		.amdhsa_ieee_mode 1
		.amdhsa_fp16_overflow 0
		.amdhsa_tg_split 0
		.amdhsa_exception_fp_ieee_invalid_op 0
		.amdhsa_exception_fp_denorm_src 0
		.amdhsa_exception_fp_ieee_div_zero 0
		.amdhsa_exception_fp_ieee_overflow 0
		.amdhsa_exception_fp_ieee_underflow 0
		.amdhsa_exception_fp_ieee_inexact 0
		.amdhsa_exception_int_div_zero 0
	.end_amdhsa_kernel
	.section	.text._ZN7rocprim17ROCPRIM_400000_NS6detail17trampoline_kernelINS0_14default_configENS1_20scan_config_selectorIiEEZZNS1_9scan_implILNS1_25lookback_scan_determinismE0ELb1ELb1ES3_N6thrust23THRUST_200600_302600_NS6detail15normal_iteratorINS9_10device_ptrIiEEEENS9_16discard_iteratorINS9_11use_defaultEEEi11max_functorIiEiEEDaPvRmT3_T4_T5_mT6_P12ihipStream_tbENKUlT_T0_E_clISt17integral_constantIbLb1EESX_EEDaSS_ST_EUlSS_E0_NS1_11comp_targetILNS1_3genE8ELNS1_11target_archE1030ELNS1_3gpuE2ELNS1_3repE0EEENS1_30default_config_static_selectorELNS0_4arch9wavefront6targetE1EEEvT1_,"axG",@progbits,_ZN7rocprim17ROCPRIM_400000_NS6detail17trampoline_kernelINS0_14default_configENS1_20scan_config_selectorIiEEZZNS1_9scan_implILNS1_25lookback_scan_determinismE0ELb1ELb1ES3_N6thrust23THRUST_200600_302600_NS6detail15normal_iteratorINS9_10device_ptrIiEEEENS9_16discard_iteratorINS9_11use_defaultEEEi11max_functorIiEiEEDaPvRmT3_T4_T5_mT6_P12ihipStream_tbENKUlT_T0_E_clISt17integral_constantIbLb1EESX_EEDaSS_ST_EUlSS_E0_NS1_11comp_targetILNS1_3genE8ELNS1_11target_archE1030ELNS1_3gpuE2ELNS1_3repE0EEENS1_30default_config_static_selectorELNS0_4arch9wavefront6targetE1EEEvT1_,comdat
.Lfunc_end3961:
	.size	_ZN7rocprim17ROCPRIM_400000_NS6detail17trampoline_kernelINS0_14default_configENS1_20scan_config_selectorIiEEZZNS1_9scan_implILNS1_25lookback_scan_determinismE0ELb1ELb1ES3_N6thrust23THRUST_200600_302600_NS6detail15normal_iteratorINS9_10device_ptrIiEEEENS9_16discard_iteratorINS9_11use_defaultEEEi11max_functorIiEiEEDaPvRmT3_T4_T5_mT6_P12ihipStream_tbENKUlT_T0_E_clISt17integral_constantIbLb1EESX_EEDaSS_ST_EUlSS_E0_NS1_11comp_targetILNS1_3genE8ELNS1_11target_archE1030ELNS1_3gpuE2ELNS1_3repE0EEENS1_30default_config_static_selectorELNS0_4arch9wavefront6targetE1EEEvT1_, .Lfunc_end3961-_ZN7rocprim17ROCPRIM_400000_NS6detail17trampoline_kernelINS0_14default_configENS1_20scan_config_selectorIiEEZZNS1_9scan_implILNS1_25lookback_scan_determinismE0ELb1ELb1ES3_N6thrust23THRUST_200600_302600_NS6detail15normal_iteratorINS9_10device_ptrIiEEEENS9_16discard_iteratorINS9_11use_defaultEEEi11max_functorIiEiEEDaPvRmT3_T4_T5_mT6_P12ihipStream_tbENKUlT_T0_E_clISt17integral_constantIbLb1EESX_EEDaSS_ST_EUlSS_E0_NS1_11comp_targetILNS1_3genE8ELNS1_11target_archE1030ELNS1_3gpuE2ELNS1_3repE0EEENS1_30default_config_static_selectorELNS0_4arch9wavefront6targetE1EEEvT1_
                                        ; -- End function
	.section	.AMDGPU.csdata,"",@progbits
; Kernel info:
; codeLenInByte = 0
; NumSgprs: 4
; NumVgprs: 0
; NumAgprs: 0
; TotalNumVgprs: 0
; ScratchSize: 0
; MemoryBound: 0
; FloatMode: 240
; IeeeMode: 1
; LDSByteSize: 0 bytes/workgroup (compile time only)
; SGPRBlocks: 0
; VGPRBlocks: 0
; NumSGPRsForWavesPerEU: 4
; NumVGPRsForWavesPerEU: 1
; AccumOffset: 4
; Occupancy: 8
; WaveLimiterHint : 0
; COMPUTE_PGM_RSRC2:SCRATCH_EN: 0
; COMPUTE_PGM_RSRC2:USER_SGPR: 6
; COMPUTE_PGM_RSRC2:TRAP_HANDLER: 0
; COMPUTE_PGM_RSRC2:TGID_X_EN: 1
; COMPUTE_PGM_RSRC2:TGID_Y_EN: 0
; COMPUTE_PGM_RSRC2:TGID_Z_EN: 0
; COMPUTE_PGM_RSRC2:TIDIG_COMP_CNT: 0
; COMPUTE_PGM_RSRC3_GFX90A:ACCUM_OFFSET: 0
; COMPUTE_PGM_RSRC3_GFX90A:TG_SPLIT: 0
	.section	.text._ZN7rocprim17ROCPRIM_400000_NS6detail17trampoline_kernelINS0_14default_configENS1_20scan_config_selectorIiEEZZNS1_9scan_implILNS1_25lookback_scan_determinismE0ELb1ELb1ES3_N6thrust23THRUST_200600_302600_NS6detail15normal_iteratorINS9_10device_ptrIiEEEENS9_16discard_iteratorINS9_11use_defaultEEEi11max_functorIiEiEEDaPvRmT3_T4_T5_mT6_P12ihipStream_tbENKUlT_T0_E_clISt17integral_constantIbLb1EESW_IbLb0EEEEDaSS_ST_EUlSS_E_NS1_11comp_targetILNS1_3genE0ELNS1_11target_archE4294967295ELNS1_3gpuE0ELNS1_3repE0EEENS1_30default_config_static_selectorELNS0_4arch9wavefront6targetE1EEEvT1_,"axG",@progbits,_ZN7rocprim17ROCPRIM_400000_NS6detail17trampoline_kernelINS0_14default_configENS1_20scan_config_selectorIiEEZZNS1_9scan_implILNS1_25lookback_scan_determinismE0ELb1ELb1ES3_N6thrust23THRUST_200600_302600_NS6detail15normal_iteratorINS9_10device_ptrIiEEEENS9_16discard_iteratorINS9_11use_defaultEEEi11max_functorIiEiEEDaPvRmT3_T4_T5_mT6_P12ihipStream_tbENKUlT_T0_E_clISt17integral_constantIbLb1EESW_IbLb0EEEEDaSS_ST_EUlSS_E_NS1_11comp_targetILNS1_3genE0ELNS1_11target_archE4294967295ELNS1_3gpuE0ELNS1_3repE0EEENS1_30default_config_static_selectorELNS0_4arch9wavefront6targetE1EEEvT1_,comdat
	.protected	_ZN7rocprim17ROCPRIM_400000_NS6detail17trampoline_kernelINS0_14default_configENS1_20scan_config_selectorIiEEZZNS1_9scan_implILNS1_25lookback_scan_determinismE0ELb1ELb1ES3_N6thrust23THRUST_200600_302600_NS6detail15normal_iteratorINS9_10device_ptrIiEEEENS9_16discard_iteratorINS9_11use_defaultEEEi11max_functorIiEiEEDaPvRmT3_T4_T5_mT6_P12ihipStream_tbENKUlT_T0_E_clISt17integral_constantIbLb1EESW_IbLb0EEEEDaSS_ST_EUlSS_E_NS1_11comp_targetILNS1_3genE0ELNS1_11target_archE4294967295ELNS1_3gpuE0ELNS1_3repE0EEENS1_30default_config_static_selectorELNS0_4arch9wavefront6targetE1EEEvT1_ ; -- Begin function _ZN7rocprim17ROCPRIM_400000_NS6detail17trampoline_kernelINS0_14default_configENS1_20scan_config_selectorIiEEZZNS1_9scan_implILNS1_25lookback_scan_determinismE0ELb1ELb1ES3_N6thrust23THRUST_200600_302600_NS6detail15normal_iteratorINS9_10device_ptrIiEEEENS9_16discard_iteratorINS9_11use_defaultEEEi11max_functorIiEiEEDaPvRmT3_T4_T5_mT6_P12ihipStream_tbENKUlT_T0_E_clISt17integral_constantIbLb1EESW_IbLb0EEEEDaSS_ST_EUlSS_E_NS1_11comp_targetILNS1_3genE0ELNS1_11target_archE4294967295ELNS1_3gpuE0ELNS1_3repE0EEENS1_30default_config_static_selectorELNS0_4arch9wavefront6targetE1EEEvT1_
	.globl	_ZN7rocprim17ROCPRIM_400000_NS6detail17trampoline_kernelINS0_14default_configENS1_20scan_config_selectorIiEEZZNS1_9scan_implILNS1_25lookback_scan_determinismE0ELb1ELb1ES3_N6thrust23THRUST_200600_302600_NS6detail15normal_iteratorINS9_10device_ptrIiEEEENS9_16discard_iteratorINS9_11use_defaultEEEi11max_functorIiEiEEDaPvRmT3_T4_T5_mT6_P12ihipStream_tbENKUlT_T0_E_clISt17integral_constantIbLb1EESW_IbLb0EEEEDaSS_ST_EUlSS_E_NS1_11comp_targetILNS1_3genE0ELNS1_11target_archE4294967295ELNS1_3gpuE0ELNS1_3repE0EEENS1_30default_config_static_selectorELNS0_4arch9wavefront6targetE1EEEvT1_
	.p2align	8
	.type	_ZN7rocprim17ROCPRIM_400000_NS6detail17trampoline_kernelINS0_14default_configENS1_20scan_config_selectorIiEEZZNS1_9scan_implILNS1_25lookback_scan_determinismE0ELb1ELb1ES3_N6thrust23THRUST_200600_302600_NS6detail15normal_iteratorINS9_10device_ptrIiEEEENS9_16discard_iteratorINS9_11use_defaultEEEi11max_functorIiEiEEDaPvRmT3_T4_T5_mT6_P12ihipStream_tbENKUlT_T0_E_clISt17integral_constantIbLb1EESW_IbLb0EEEEDaSS_ST_EUlSS_E_NS1_11comp_targetILNS1_3genE0ELNS1_11target_archE4294967295ELNS1_3gpuE0ELNS1_3repE0EEENS1_30default_config_static_selectorELNS0_4arch9wavefront6targetE1EEEvT1_,@function
_ZN7rocprim17ROCPRIM_400000_NS6detail17trampoline_kernelINS0_14default_configENS1_20scan_config_selectorIiEEZZNS1_9scan_implILNS1_25lookback_scan_determinismE0ELb1ELb1ES3_N6thrust23THRUST_200600_302600_NS6detail15normal_iteratorINS9_10device_ptrIiEEEENS9_16discard_iteratorINS9_11use_defaultEEEi11max_functorIiEiEEDaPvRmT3_T4_T5_mT6_P12ihipStream_tbENKUlT_T0_E_clISt17integral_constantIbLb1EESW_IbLb0EEEEDaSS_ST_EUlSS_E_NS1_11comp_targetILNS1_3genE0ELNS1_11target_archE4294967295ELNS1_3gpuE0ELNS1_3repE0EEENS1_30default_config_static_selectorELNS0_4arch9wavefront6targetE1EEEvT1_: ; @_ZN7rocprim17ROCPRIM_400000_NS6detail17trampoline_kernelINS0_14default_configENS1_20scan_config_selectorIiEEZZNS1_9scan_implILNS1_25lookback_scan_determinismE0ELb1ELb1ES3_N6thrust23THRUST_200600_302600_NS6detail15normal_iteratorINS9_10device_ptrIiEEEENS9_16discard_iteratorINS9_11use_defaultEEEi11max_functorIiEiEEDaPvRmT3_T4_T5_mT6_P12ihipStream_tbENKUlT_T0_E_clISt17integral_constantIbLb1EESW_IbLb0EEEEDaSS_ST_EUlSS_E_NS1_11comp_targetILNS1_3genE0ELNS1_11target_archE4294967295ELNS1_3gpuE0ELNS1_3repE0EEENS1_30default_config_static_selectorELNS0_4arch9wavefront6targetE1EEEvT1_
; %bb.0:
	.section	.rodata,"a",@progbits
	.p2align	6, 0x0
	.amdhsa_kernel _ZN7rocprim17ROCPRIM_400000_NS6detail17trampoline_kernelINS0_14default_configENS1_20scan_config_selectorIiEEZZNS1_9scan_implILNS1_25lookback_scan_determinismE0ELb1ELb1ES3_N6thrust23THRUST_200600_302600_NS6detail15normal_iteratorINS9_10device_ptrIiEEEENS9_16discard_iteratorINS9_11use_defaultEEEi11max_functorIiEiEEDaPvRmT3_T4_T5_mT6_P12ihipStream_tbENKUlT_T0_E_clISt17integral_constantIbLb1EESW_IbLb0EEEEDaSS_ST_EUlSS_E_NS1_11comp_targetILNS1_3genE0ELNS1_11target_archE4294967295ELNS1_3gpuE0ELNS1_3repE0EEENS1_30default_config_static_selectorELNS0_4arch9wavefront6targetE1EEEvT1_
		.amdhsa_group_segment_fixed_size 0
		.amdhsa_private_segment_fixed_size 0
		.amdhsa_kernarg_size 104
		.amdhsa_user_sgpr_count 6
		.amdhsa_user_sgpr_private_segment_buffer 1
		.amdhsa_user_sgpr_dispatch_ptr 0
		.amdhsa_user_sgpr_queue_ptr 0
		.amdhsa_user_sgpr_kernarg_segment_ptr 1
		.amdhsa_user_sgpr_dispatch_id 0
		.amdhsa_user_sgpr_flat_scratch_init 0
		.amdhsa_user_sgpr_kernarg_preload_length 0
		.amdhsa_user_sgpr_kernarg_preload_offset 0
		.amdhsa_user_sgpr_private_segment_size 0
		.amdhsa_uses_dynamic_stack 0
		.amdhsa_system_sgpr_private_segment_wavefront_offset 0
		.amdhsa_system_sgpr_workgroup_id_x 1
		.amdhsa_system_sgpr_workgroup_id_y 0
		.amdhsa_system_sgpr_workgroup_id_z 0
		.amdhsa_system_sgpr_workgroup_info 0
		.amdhsa_system_vgpr_workitem_id 0
		.amdhsa_next_free_vgpr 1
		.amdhsa_next_free_sgpr 0
		.amdhsa_accum_offset 4
		.amdhsa_reserve_vcc 0
		.amdhsa_reserve_flat_scratch 0
		.amdhsa_float_round_mode_32 0
		.amdhsa_float_round_mode_16_64 0
		.amdhsa_float_denorm_mode_32 3
		.amdhsa_float_denorm_mode_16_64 3
		.amdhsa_dx10_clamp 1
		.amdhsa_ieee_mode 1
		.amdhsa_fp16_overflow 0
		.amdhsa_tg_split 0
		.amdhsa_exception_fp_ieee_invalid_op 0
		.amdhsa_exception_fp_denorm_src 0
		.amdhsa_exception_fp_ieee_div_zero 0
		.amdhsa_exception_fp_ieee_overflow 0
		.amdhsa_exception_fp_ieee_underflow 0
		.amdhsa_exception_fp_ieee_inexact 0
		.amdhsa_exception_int_div_zero 0
	.end_amdhsa_kernel
	.section	.text._ZN7rocprim17ROCPRIM_400000_NS6detail17trampoline_kernelINS0_14default_configENS1_20scan_config_selectorIiEEZZNS1_9scan_implILNS1_25lookback_scan_determinismE0ELb1ELb1ES3_N6thrust23THRUST_200600_302600_NS6detail15normal_iteratorINS9_10device_ptrIiEEEENS9_16discard_iteratorINS9_11use_defaultEEEi11max_functorIiEiEEDaPvRmT3_T4_T5_mT6_P12ihipStream_tbENKUlT_T0_E_clISt17integral_constantIbLb1EESW_IbLb0EEEEDaSS_ST_EUlSS_E_NS1_11comp_targetILNS1_3genE0ELNS1_11target_archE4294967295ELNS1_3gpuE0ELNS1_3repE0EEENS1_30default_config_static_selectorELNS0_4arch9wavefront6targetE1EEEvT1_,"axG",@progbits,_ZN7rocprim17ROCPRIM_400000_NS6detail17trampoline_kernelINS0_14default_configENS1_20scan_config_selectorIiEEZZNS1_9scan_implILNS1_25lookback_scan_determinismE0ELb1ELb1ES3_N6thrust23THRUST_200600_302600_NS6detail15normal_iteratorINS9_10device_ptrIiEEEENS9_16discard_iteratorINS9_11use_defaultEEEi11max_functorIiEiEEDaPvRmT3_T4_T5_mT6_P12ihipStream_tbENKUlT_T0_E_clISt17integral_constantIbLb1EESW_IbLb0EEEEDaSS_ST_EUlSS_E_NS1_11comp_targetILNS1_3genE0ELNS1_11target_archE4294967295ELNS1_3gpuE0ELNS1_3repE0EEENS1_30default_config_static_selectorELNS0_4arch9wavefront6targetE1EEEvT1_,comdat
.Lfunc_end3962:
	.size	_ZN7rocprim17ROCPRIM_400000_NS6detail17trampoline_kernelINS0_14default_configENS1_20scan_config_selectorIiEEZZNS1_9scan_implILNS1_25lookback_scan_determinismE0ELb1ELb1ES3_N6thrust23THRUST_200600_302600_NS6detail15normal_iteratorINS9_10device_ptrIiEEEENS9_16discard_iteratorINS9_11use_defaultEEEi11max_functorIiEiEEDaPvRmT3_T4_T5_mT6_P12ihipStream_tbENKUlT_T0_E_clISt17integral_constantIbLb1EESW_IbLb0EEEEDaSS_ST_EUlSS_E_NS1_11comp_targetILNS1_3genE0ELNS1_11target_archE4294967295ELNS1_3gpuE0ELNS1_3repE0EEENS1_30default_config_static_selectorELNS0_4arch9wavefront6targetE1EEEvT1_, .Lfunc_end3962-_ZN7rocprim17ROCPRIM_400000_NS6detail17trampoline_kernelINS0_14default_configENS1_20scan_config_selectorIiEEZZNS1_9scan_implILNS1_25lookback_scan_determinismE0ELb1ELb1ES3_N6thrust23THRUST_200600_302600_NS6detail15normal_iteratorINS9_10device_ptrIiEEEENS9_16discard_iteratorINS9_11use_defaultEEEi11max_functorIiEiEEDaPvRmT3_T4_T5_mT6_P12ihipStream_tbENKUlT_T0_E_clISt17integral_constantIbLb1EESW_IbLb0EEEEDaSS_ST_EUlSS_E_NS1_11comp_targetILNS1_3genE0ELNS1_11target_archE4294967295ELNS1_3gpuE0ELNS1_3repE0EEENS1_30default_config_static_selectorELNS0_4arch9wavefront6targetE1EEEvT1_
                                        ; -- End function
	.section	.AMDGPU.csdata,"",@progbits
; Kernel info:
; codeLenInByte = 0
; NumSgprs: 4
; NumVgprs: 0
; NumAgprs: 0
; TotalNumVgprs: 0
; ScratchSize: 0
; MemoryBound: 0
; FloatMode: 240
; IeeeMode: 1
; LDSByteSize: 0 bytes/workgroup (compile time only)
; SGPRBlocks: 0
; VGPRBlocks: 0
; NumSGPRsForWavesPerEU: 4
; NumVGPRsForWavesPerEU: 1
; AccumOffset: 4
; Occupancy: 8
; WaveLimiterHint : 0
; COMPUTE_PGM_RSRC2:SCRATCH_EN: 0
; COMPUTE_PGM_RSRC2:USER_SGPR: 6
; COMPUTE_PGM_RSRC2:TRAP_HANDLER: 0
; COMPUTE_PGM_RSRC2:TGID_X_EN: 1
; COMPUTE_PGM_RSRC2:TGID_Y_EN: 0
; COMPUTE_PGM_RSRC2:TGID_Z_EN: 0
; COMPUTE_PGM_RSRC2:TIDIG_COMP_CNT: 0
; COMPUTE_PGM_RSRC3_GFX90A:ACCUM_OFFSET: 0
; COMPUTE_PGM_RSRC3_GFX90A:TG_SPLIT: 0
	.section	.text._ZN7rocprim17ROCPRIM_400000_NS6detail17trampoline_kernelINS0_14default_configENS1_20scan_config_selectorIiEEZZNS1_9scan_implILNS1_25lookback_scan_determinismE0ELb1ELb1ES3_N6thrust23THRUST_200600_302600_NS6detail15normal_iteratorINS9_10device_ptrIiEEEENS9_16discard_iteratorINS9_11use_defaultEEEi11max_functorIiEiEEDaPvRmT3_T4_T5_mT6_P12ihipStream_tbENKUlT_T0_E_clISt17integral_constantIbLb1EESW_IbLb0EEEEDaSS_ST_EUlSS_E_NS1_11comp_targetILNS1_3genE5ELNS1_11target_archE942ELNS1_3gpuE9ELNS1_3repE0EEENS1_30default_config_static_selectorELNS0_4arch9wavefront6targetE1EEEvT1_,"axG",@progbits,_ZN7rocprim17ROCPRIM_400000_NS6detail17trampoline_kernelINS0_14default_configENS1_20scan_config_selectorIiEEZZNS1_9scan_implILNS1_25lookback_scan_determinismE0ELb1ELb1ES3_N6thrust23THRUST_200600_302600_NS6detail15normal_iteratorINS9_10device_ptrIiEEEENS9_16discard_iteratorINS9_11use_defaultEEEi11max_functorIiEiEEDaPvRmT3_T4_T5_mT6_P12ihipStream_tbENKUlT_T0_E_clISt17integral_constantIbLb1EESW_IbLb0EEEEDaSS_ST_EUlSS_E_NS1_11comp_targetILNS1_3genE5ELNS1_11target_archE942ELNS1_3gpuE9ELNS1_3repE0EEENS1_30default_config_static_selectorELNS0_4arch9wavefront6targetE1EEEvT1_,comdat
	.protected	_ZN7rocprim17ROCPRIM_400000_NS6detail17trampoline_kernelINS0_14default_configENS1_20scan_config_selectorIiEEZZNS1_9scan_implILNS1_25lookback_scan_determinismE0ELb1ELb1ES3_N6thrust23THRUST_200600_302600_NS6detail15normal_iteratorINS9_10device_ptrIiEEEENS9_16discard_iteratorINS9_11use_defaultEEEi11max_functorIiEiEEDaPvRmT3_T4_T5_mT6_P12ihipStream_tbENKUlT_T0_E_clISt17integral_constantIbLb1EESW_IbLb0EEEEDaSS_ST_EUlSS_E_NS1_11comp_targetILNS1_3genE5ELNS1_11target_archE942ELNS1_3gpuE9ELNS1_3repE0EEENS1_30default_config_static_selectorELNS0_4arch9wavefront6targetE1EEEvT1_ ; -- Begin function _ZN7rocprim17ROCPRIM_400000_NS6detail17trampoline_kernelINS0_14default_configENS1_20scan_config_selectorIiEEZZNS1_9scan_implILNS1_25lookback_scan_determinismE0ELb1ELb1ES3_N6thrust23THRUST_200600_302600_NS6detail15normal_iteratorINS9_10device_ptrIiEEEENS9_16discard_iteratorINS9_11use_defaultEEEi11max_functorIiEiEEDaPvRmT3_T4_T5_mT6_P12ihipStream_tbENKUlT_T0_E_clISt17integral_constantIbLb1EESW_IbLb0EEEEDaSS_ST_EUlSS_E_NS1_11comp_targetILNS1_3genE5ELNS1_11target_archE942ELNS1_3gpuE9ELNS1_3repE0EEENS1_30default_config_static_selectorELNS0_4arch9wavefront6targetE1EEEvT1_
	.globl	_ZN7rocprim17ROCPRIM_400000_NS6detail17trampoline_kernelINS0_14default_configENS1_20scan_config_selectorIiEEZZNS1_9scan_implILNS1_25lookback_scan_determinismE0ELb1ELb1ES3_N6thrust23THRUST_200600_302600_NS6detail15normal_iteratorINS9_10device_ptrIiEEEENS9_16discard_iteratorINS9_11use_defaultEEEi11max_functorIiEiEEDaPvRmT3_T4_T5_mT6_P12ihipStream_tbENKUlT_T0_E_clISt17integral_constantIbLb1EESW_IbLb0EEEEDaSS_ST_EUlSS_E_NS1_11comp_targetILNS1_3genE5ELNS1_11target_archE942ELNS1_3gpuE9ELNS1_3repE0EEENS1_30default_config_static_selectorELNS0_4arch9wavefront6targetE1EEEvT1_
	.p2align	8
	.type	_ZN7rocprim17ROCPRIM_400000_NS6detail17trampoline_kernelINS0_14default_configENS1_20scan_config_selectorIiEEZZNS1_9scan_implILNS1_25lookback_scan_determinismE0ELb1ELb1ES3_N6thrust23THRUST_200600_302600_NS6detail15normal_iteratorINS9_10device_ptrIiEEEENS9_16discard_iteratorINS9_11use_defaultEEEi11max_functorIiEiEEDaPvRmT3_T4_T5_mT6_P12ihipStream_tbENKUlT_T0_E_clISt17integral_constantIbLb1EESW_IbLb0EEEEDaSS_ST_EUlSS_E_NS1_11comp_targetILNS1_3genE5ELNS1_11target_archE942ELNS1_3gpuE9ELNS1_3repE0EEENS1_30default_config_static_selectorELNS0_4arch9wavefront6targetE1EEEvT1_,@function
_ZN7rocprim17ROCPRIM_400000_NS6detail17trampoline_kernelINS0_14default_configENS1_20scan_config_selectorIiEEZZNS1_9scan_implILNS1_25lookback_scan_determinismE0ELb1ELb1ES3_N6thrust23THRUST_200600_302600_NS6detail15normal_iteratorINS9_10device_ptrIiEEEENS9_16discard_iteratorINS9_11use_defaultEEEi11max_functorIiEiEEDaPvRmT3_T4_T5_mT6_P12ihipStream_tbENKUlT_T0_E_clISt17integral_constantIbLb1EESW_IbLb0EEEEDaSS_ST_EUlSS_E_NS1_11comp_targetILNS1_3genE5ELNS1_11target_archE942ELNS1_3gpuE9ELNS1_3repE0EEENS1_30default_config_static_selectorELNS0_4arch9wavefront6targetE1EEEvT1_: ; @_ZN7rocprim17ROCPRIM_400000_NS6detail17trampoline_kernelINS0_14default_configENS1_20scan_config_selectorIiEEZZNS1_9scan_implILNS1_25lookback_scan_determinismE0ELb1ELb1ES3_N6thrust23THRUST_200600_302600_NS6detail15normal_iteratorINS9_10device_ptrIiEEEENS9_16discard_iteratorINS9_11use_defaultEEEi11max_functorIiEiEEDaPvRmT3_T4_T5_mT6_P12ihipStream_tbENKUlT_T0_E_clISt17integral_constantIbLb1EESW_IbLb0EEEEDaSS_ST_EUlSS_E_NS1_11comp_targetILNS1_3genE5ELNS1_11target_archE942ELNS1_3gpuE9ELNS1_3repE0EEENS1_30default_config_static_selectorELNS0_4arch9wavefront6targetE1EEEvT1_
; %bb.0:
	.section	.rodata,"a",@progbits
	.p2align	6, 0x0
	.amdhsa_kernel _ZN7rocprim17ROCPRIM_400000_NS6detail17trampoline_kernelINS0_14default_configENS1_20scan_config_selectorIiEEZZNS1_9scan_implILNS1_25lookback_scan_determinismE0ELb1ELb1ES3_N6thrust23THRUST_200600_302600_NS6detail15normal_iteratorINS9_10device_ptrIiEEEENS9_16discard_iteratorINS9_11use_defaultEEEi11max_functorIiEiEEDaPvRmT3_T4_T5_mT6_P12ihipStream_tbENKUlT_T0_E_clISt17integral_constantIbLb1EESW_IbLb0EEEEDaSS_ST_EUlSS_E_NS1_11comp_targetILNS1_3genE5ELNS1_11target_archE942ELNS1_3gpuE9ELNS1_3repE0EEENS1_30default_config_static_selectorELNS0_4arch9wavefront6targetE1EEEvT1_
		.amdhsa_group_segment_fixed_size 0
		.amdhsa_private_segment_fixed_size 0
		.amdhsa_kernarg_size 104
		.amdhsa_user_sgpr_count 6
		.amdhsa_user_sgpr_private_segment_buffer 1
		.amdhsa_user_sgpr_dispatch_ptr 0
		.amdhsa_user_sgpr_queue_ptr 0
		.amdhsa_user_sgpr_kernarg_segment_ptr 1
		.amdhsa_user_sgpr_dispatch_id 0
		.amdhsa_user_sgpr_flat_scratch_init 0
		.amdhsa_user_sgpr_kernarg_preload_length 0
		.amdhsa_user_sgpr_kernarg_preload_offset 0
		.amdhsa_user_sgpr_private_segment_size 0
		.amdhsa_uses_dynamic_stack 0
		.amdhsa_system_sgpr_private_segment_wavefront_offset 0
		.amdhsa_system_sgpr_workgroup_id_x 1
		.amdhsa_system_sgpr_workgroup_id_y 0
		.amdhsa_system_sgpr_workgroup_id_z 0
		.amdhsa_system_sgpr_workgroup_info 0
		.amdhsa_system_vgpr_workitem_id 0
		.amdhsa_next_free_vgpr 1
		.amdhsa_next_free_sgpr 0
		.amdhsa_accum_offset 4
		.amdhsa_reserve_vcc 0
		.amdhsa_reserve_flat_scratch 0
		.amdhsa_float_round_mode_32 0
		.amdhsa_float_round_mode_16_64 0
		.amdhsa_float_denorm_mode_32 3
		.amdhsa_float_denorm_mode_16_64 3
		.amdhsa_dx10_clamp 1
		.amdhsa_ieee_mode 1
		.amdhsa_fp16_overflow 0
		.amdhsa_tg_split 0
		.amdhsa_exception_fp_ieee_invalid_op 0
		.amdhsa_exception_fp_denorm_src 0
		.amdhsa_exception_fp_ieee_div_zero 0
		.amdhsa_exception_fp_ieee_overflow 0
		.amdhsa_exception_fp_ieee_underflow 0
		.amdhsa_exception_fp_ieee_inexact 0
		.amdhsa_exception_int_div_zero 0
	.end_amdhsa_kernel
	.section	.text._ZN7rocprim17ROCPRIM_400000_NS6detail17trampoline_kernelINS0_14default_configENS1_20scan_config_selectorIiEEZZNS1_9scan_implILNS1_25lookback_scan_determinismE0ELb1ELb1ES3_N6thrust23THRUST_200600_302600_NS6detail15normal_iteratorINS9_10device_ptrIiEEEENS9_16discard_iteratorINS9_11use_defaultEEEi11max_functorIiEiEEDaPvRmT3_T4_T5_mT6_P12ihipStream_tbENKUlT_T0_E_clISt17integral_constantIbLb1EESW_IbLb0EEEEDaSS_ST_EUlSS_E_NS1_11comp_targetILNS1_3genE5ELNS1_11target_archE942ELNS1_3gpuE9ELNS1_3repE0EEENS1_30default_config_static_selectorELNS0_4arch9wavefront6targetE1EEEvT1_,"axG",@progbits,_ZN7rocprim17ROCPRIM_400000_NS6detail17trampoline_kernelINS0_14default_configENS1_20scan_config_selectorIiEEZZNS1_9scan_implILNS1_25lookback_scan_determinismE0ELb1ELb1ES3_N6thrust23THRUST_200600_302600_NS6detail15normal_iteratorINS9_10device_ptrIiEEEENS9_16discard_iteratorINS9_11use_defaultEEEi11max_functorIiEiEEDaPvRmT3_T4_T5_mT6_P12ihipStream_tbENKUlT_T0_E_clISt17integral_constantIbLb1EESW_IbLb0EEEEDaSS_ST_EUlSS_E_NS1_11comp_targetILNS1_3genE5ELNS1_11target_archE942ELNS1_3gpuE9ELNS1_3repE0EEENS1_30default_config_static_selectorELNS0_4arch9wavefront6targetE1EEEvT1_,comdat
.Lfunc_end3963:
	.size	_ZN7rocprim17ROCPRIM_400000_NS6detail17trampoline_kernelINS0_14default_configENS1_20scan_config_selectorIiEEZZNS1_9scan_implILNS1_25lookback_scan_determinismE0ELb1ELb1ES3_N6thrust23THRUST_200600_302600_NS6detail15normal_iteratorINS9_10device_ptrIiEEEENS9_16discard_iteratorINS9_11use_defaultEEEi11max_functorIiEiEEDaPvRmT3_T4_T5_mT6_P12ihipStream_tbENKUlT_T0_E_clISt17integral_constantIbLb1EESW_IbLb0EEEEDaSS_ST_EUlSS_E_NS1_11comp_targetILNS1_3genE5ELNS1_11target_archE942ELNS1_3gpuE9ELNS1_3repE0EEENS1_30default_config_static_selectorELNS0_4arch9wavefront6targetE1EEEvT1_, .Lfunc_end3963-_ZN7rocprim17ROCPRIM_400000_NS6detail17trampoline_kernelINS0_14default_configENS1_20scan_config_selectorIiEEZZNS1_9scan_implILNS1_25lookback_scan_determinismE0ELb1ELb1ES3_N6thrust23THRUST_200600_302600_NS6detail15normal_iteratorINS9_10device_ptrIiEEEENS9_16discard_iteratorINS9_11use_defaultEEEi11max_functorIiEiEEDaPvRmT3_T4_T5_mT6_P12ihipStream_tbENKUlT_T0_E_clISt17integral_constantIbLb1EESW_IbLb0EEEEDaSS_ST_EUlSS_E_NS1_11comp_targetILNS1_3genE5ELNS1_11target_archE942ELNS1_3gpuE9ELNS1_3repE0EEENS1_30default_config_static_selectorELNS0_4arch9wavefront6targetE1EEEvT1_
                                        ; -- End function
	.section	.AMDGPU.csdata,"",@progbits
; Kernel info:
; codeLenInByte = 0
; NumSgprs: 4
; NumVgprs: 0
; NumAgprs: 0
; TotalNumVgprs: 0
; ScratchSize: 0
; MemoryBound: 0
; FloatMode: 240
; IeeeMode: 1
; LDSByteSize: 0 bytes/workgroup (compile time only)
; SGPRBlocks: 0
; VGPRBlocks: 0
; NumSGPRsForWavesPerEU: 4
; NumVGPRsForWavesPerEU: 1
; AccumOffset: 4
; Occupancy: 8
; WaveLimiterHint : 0
; COMPUTE_PGM_RSRC2:SCRATCH_EN: 0
; COMPUTE_PGM_RSRC2:USER_SGPR: 6
; COMPUTE_PGM_RSRC2:TRAP_HANDLER: 0
; COMPUTE_PGM_RSRC2:TGID_X_EN: 1
; COMPUTE_PGM_RSRC2:TGID_Y_EN: 0
; COMPUTE_PGM_RSRC2:TGID_Z_EN: 0
; COMPUTE_PGM_RSRC2:TIDIG_COMP_CNT: 0
; COMPUTE_PGM_RSRC3_GFX90A:ACCUM_OFFSET: 0
; COMPUTE_PGM_RSRC3_GFX90A:TG_SPLIT: 0
	.section	.text._ZN7rocprim17ROCPRIM_400000_NS6detail17trampoline_kernelINS0_14default_configENS1_20scan_config_selectorIiEEZZNS1_9scan_implILNS1_25lookback_scan_determinismE0ELb1ELb1ES3_N6thrust23THRUST_200600_302600_NS6detail15normal_iteratorINS9_10device_ptrIiEEEENS9_16discard_iteratorINS9_11use_defaultEEEi11max_functorIiEiEEDaPvRmT3_T4_T5_mT6_P12ihipStream_tbENKUlT_T0_E_clISt17integral_constantIbLb1EESW_IbLb0EEEEDaSS_ST_EUlSS_E_NS1_11comp_targetILNS1_3genE4ELNS1_11target_archE910ELNS1_3gpuE8ELNS1_3repE0EEENS1_30default_config_static_selectorELNS0_4arch9wavefront6targetE1EEEvT1_,"axG",@progbits,_ZN7rocprim17ROCPRIM_400000_NS6detail17trampoline_kernelINS0_14default_configENS1_20scan_config_selectorIiEEZZNS1_9scan_implILNS1_25lookback_scan_determinismE0ELb1ELb1ES3_N6thrust23THRUST_200600_302600_NS6detail15normal_iteratorINS9_10device_ptrIiEEEENS9_16discard_iteratorINS9_11use_defaultEEEi11max_functorIiEiEEDaPvRmT3_T4_T5_mT6_P12ihipStream_tbENKUlT_T0_E_clISt17integral_constantIbLb1EESW_IbLb0EEEEDaSS_ST_EUlSS_E_NS1_11comp_targetILNS1_3genE4ELNS1_11target_archE910ELNS1_3gpuE8ELNS1_3repE0EEENS1_30default_config_static_selectorELNS0_4arch9wavefront6targetE1EEEvT1_,comdat
	.protected	_ZN7rocprim17ROCPRIM_400000_NS6detail17trampoline_kernelINS0_14default_configENS1_20scan_config_selectorIiEEZZNS1_9scan_implILNS1_25lookback_scan_determinismE0ELb1ELb1ES3_N6thrust23THRUST_200600_302600_NS6detail15normal_iteratorINS9_10device_ptrIiEEEENS9_16discard_iteratorINS9_11use_defaultEEEi11max_functorIiEiEEDaPvRmT3_T4_T5_mT6_P12ihipStream_tbENKUlT_T0_E_clISt17integral_constantIbLb1EESW_IbLb0EEEEDaSS_ST_EUlSS_E_NS1_11comp_targetILNS1_3genE4ELNS1_11target_archE910ELNS1_3gpuE8ELNS1_3repE0EEENS1_30default_config_static_selectorELNS0_4arch9wavefront6targetE1EEEvT1_ ; -- Begin function _ZN7rocprim17ROCPRIM_400000_NS6detail17trampoline_kernelINS0_14default_configENS1_20scan_config_selectorIiEEZZNS1_9scan_implILNS1_25lookback_scan_determinismE0ELb1ELb1ES3_N6thrust23THRUST_200600_302600_NS6detail15normal_iteratorINS9_10device_ptrIiEEEENS9_16discard_iteratorINS9_11use_defaultEEEi11max_functorIiEiEEDaPvRmT3_T4_T5_mT6_P12ihipStream_tbENKUlT_T0_E_clISt17integral_constantIbLb1EESW_IbLb0EEEEDaSS_ST_EUlSS_E_NS1_11comp_targetILNS1_3genE4ELNS1_11target_archE910ELNS1_3gpuE8ELNS1_3repE0EEENS1_30default_config_static_selectorELNS0_4arch9wavefront6targetE1EEEvT1_
	.globl	_ZN7rocprim17ROCPRIM_400000_NS6detail17trampoline_kernelINS0_14default_configENS1_20scan_config_selectorIiEEZZNS1_9scan_implILNS1_25lookback_scan_determinismE0ELb1ELb1ES3_N6thrust23THRUST_200600_302600_NS6detail15normal_iteratorINS9_10device_ptrIiEEEENS9_16discard_iteratorINS9_11use_defaultEEEi11max_functorIiEiEEDaPvRmT3_T4_T5_mT6_P12ihipStream_tbENKUlT_T0_E_clISt17integral_constantIbLb1EESW_IbLb0EEEEDaSS_ST_EUlSS_E_NS1_11comp_targetILNS1_3genE4ELNS1_11target_archE910ELNS1_3gpuE8ELNS1_3repE0EEENS1_30default_config_static_selectorELNS0_4arch9wavefront6targetE1EEEvT1_
	.p2align	8
	.type	_ZN7rocprim17ROCPRIM_400000_NS6detail17trampoline_kernelINS0_14default_configENS1_20scan_config_selectorIiEEZZNS1_9scan_implILNS1_25lookback_scan_determinismE0ELb1ELb1ES3_N6thrust23THRUST_200600_302600_NS6detail15normal_iteratorINS9_10device_ptrIiEEEENS9_16discard_iteratorINS9_11use_defaultEEEi11max_functorIiEiEEDaPvRmT3_T4_T5_mT6_P12ihipStream_tbENKUlT_T0_E_clISt17integral_constantIbLb1EESW_IbLb0EEEEDaSS_ST_EUlSS_E_NS1_11comp_targetILNS1_3genE4ELNS1_11target_archE910ELNS1_3gpuE8ELNS1_3repE0EEENS1_30default_config_static_selectorELNS0_4arch9wavefront6targetE1EEEvT1_,@function
_ZN7rocprim17ROCPRIM_400000_NS6detail17trampoline_kernelINS0_14default_configENS1_20scan_config_selectorIiEEZZNS1_9scan_implILNS1_25lookback_scan_determinismE0ELb1ELb1ES3_N6thrust23THRUST_200600_302600_NS6detail15normal_iteratorINS9_10device_ptrIiEEEENS9_16discard_iteratorINS9_11use_defaultEEEi11max_functorIiEiEEDaPvRmT3_T4_T5_mT6_P12ihipStream_tbENKUlT_T0_E_clISt17integral_constantIbLb1EESW_IbLb0EEEEDaSS_ST_EUlSS_E_NS1_11comp_targetILNS1_3genE4ELNS1_11target_archE910ELNS1_3gpuE8ELNS1_3repE0EEENS1_30default_config_static_selectorELNS0_4arch9wavefront6targetE1EEEvT1_: ; @_ZN7rocprim17ROCPRIM_400000_NS6detail17trampoline_kernelINS0_14default_configENS1_20scan_config_selectorIiEEZZNS1_9scan_implILNS1_25lookback_scan_determinismE0ELb1ELb1ES3_N6thrust23THRUST_200600_302600_NS6detail15normal_iteratorINS9_10device_ptrIiEEEENS9_16discard_iteratorINS9_11use_defaultEEEi11max_functorIiEiEEDaPvRmT3_T4_T5_mT6_P12ihipStream_tbENKUlT_T0_E_clISt17integral_constantIbLb1EESW_IbLb0EEEEDaSS_ST_EUlSS_E_NS1_11comp_targetILNS1_3genE4ELNS1_11target_archE910ELNS1_3gpuE8ELNS1_3repE0EEENS1_30default_config_static_selectorELNS0_4arch9wavefront6targetE1EEEvT1_
; %bb.0:
	s_load_dwordx4 s[0:3], s[4:5], 0x0
	s_load_dwordx2 s[8:9], s[4:5], 0x20
	s_load_dword s7, s[4:5], 0x38
	v_lshlrev_b32_e32 v11, 2, v0
	s_waitcnt lgkmcnt(0)
	s_lshl_b64 s[2:3], s[2:3], 2
	s_add_u32 s21, s0, s2
	s_addc_u32 s22, s1, s3
	s_add_i32 s2, s7, -1
	s_mul_i32 s3, s2, 0x500
	s_sub_u32 s7, s8, s3
	s_subb_u32 s20, s9, 0
	s_mul_i32 s0, s6, 0x500
	s_mov_b32 s1, 0
	s_cmp_lg_u32 s6, s2
	s_cselect_b64 s[16:17], -1, 0
	s_lshl_b64 s[0:1], s[0:1], 2
	s_add_u32 s0, s21, s0
	s_addc_u32 s1, s22, s1
	s_mov_b64 s[2:3], -1
	s_and_b64 vcc, exec, s[16:17]
	s_cbranch_vccz .LBB3964_2
; %bb.1:
	v_mov_b32_e32 v1, s1
	v_add_co_u32_e32 v2, vcc, s0, v11
	v_addc_co_u32_e32 v3, vcc, 0, v1, vcc
	flat_load_dword v1, v[2:3]
	flat_load_dword v4, v[2:3] offset:512
	flat_load_dword v5, v[2:3] offset:1024
	;; [unrolled: 1-line block ×7, first 2 shown]
	v_add_co_u32_e32 v2, vcc, 0x1000, v2
	v_addc_co_u32_e32 v3, vcc, 0, v3, vcc
	flat_load_dword v12, v[2:3]
	flat_load_dword v13, v[2:3] offset:512
	s_mov_b64 s[2:3], 0
	s_waitcnt vmcnt(0) lgkmcnt(0)
	ds_write2st64_b32 v11, v1, v4 offset1:2
	ds_write2st64_b32 v11, v5, v6 offset0:4 offset1:6
	ds_write2st64_b32 v11, v7, v8 offset0:8 offset1:10
	;; [unrolled: 1-line block ×4, first 2 shown]
	s_waitcnt lgkmcnt(0)
	s_barrier
.LBB3964_2:
	s_load_dwordx2 s[18:19], s[4:5], 0x30
	s_andn2_b64 vcc, exec, s[2:3]
	s_cbranch_vccnz .LBB3964_24
; %bb.3:
	v_pk_mov_b32 v[2:3], s[0:1], s[0:1] op_sel:[0,1]
	flat_load_dword v1, v[2:3]
	v_cmp_gt_u32_e32 vcc, s7, v0
	s_waitcnt vmcnt(0) lgkmcnt(0)
	v_mov_b32_e32 v2, v1
	v_mov_b32_e32 v3, v1
	;; [unrolled: 1-line block ×9, first 2 shown]
	s_and_saveexec_b64 s[2:3], vcc
	s_cbranch_execz .LBB3964_5
; %bb.4:
	v_mov_b32_e32 v10, s1
	v_add_co_u32_e32 v12, vcc, s0, v11
	v_addc_co_u32_e32 v13, vcc, 0, v10, vcc
	flat_load_dword v10, v[12:13]
.LBB3964_5:
	s_or_b64 exec, exec, s[2:3]
	v_or_b32_e32 v12, 0x80, v0
	v_cmp_gt_u32_e32 vcc, s7, v12
	s_and_saveexec_b64 s[2:3], vcc
	s_cbranch_execz .LBB3964_7
; %bb.6:
	v_mov_b32_e32 v1, s1
	v_add_co_u32_e32 v12, vcc, s0, v11
	v_addc_co_u32_e32 v13, vcc, 0, v1, vcc
	flat_load_dword v1, v[12:13] offset:512
.LBB3964_7:
	s_or_b64 exec, exec, s[2:3]
	v_or_b32_e32 v12, 0x100, v0
	v_cmp_gt_u32_e32 vcc, s7, v12
	s_and_saveexec_b64 s[2:3], vcc
	s_cbranch_execz .LBB3964_9
; %bb.8:
	v_mov_b32_e32 v2, s1
	v_add_co_u32_e32 v12, vcc, s0, v11
	v_addc_co_u32_e32 v13, vcc, 0, v2, vcc
	flat_load_dword v2, v[12:13] offset:1024
.LBB3964_9:
	;; [unrolled: 11-line block ×7, first 2 shown]
	s_or_b64 exec, exec, s[2:3]
	v_or_b32_e32 v12, 0x400, v0
	v_cmp_gt_u32_e32 vcc, s7, v12
	s_and_saveexec_b64 s[2:3], vcc
	s_cbranch_execz .LBB3964_21
; %bb.20:
	v_lshlrev_b32_e32 v8, 2, v12
	v_mov_b32_e32 v13, s1
	v_add_co_u32_e32 v12, vcc, s0, v8
	v_addc_co_u32_e32 v13, vcc, 0, v13, vcc
	flat_load_dword v8, v[12:13]
.LBB3964_21:
	s_or_b64 exec, exec, s[2:3]
	v_or_b32_e32 v12, 0x480, v0
	v_cmp_gt_u32_e32 vcc, s7, v12
	s_and_saveexec_b64 s[2:3], vcc
	s_cbranch_execz .LBB3964_23
; %bb.22:
	v_lshlrev_b32_e32 v9, 2, v12
	v_mov_b32_e32 v13, s1
	v_add_co_u32_e32 v12, vcc, s0, v9
	v_addc_co_u32_e32 v13, vcc, 0, v13, vcc
	flat_load_dword v9, v[12:13]
.LBB3964_23:
	s_or_b64 exec, exec, s[2:3]
	s_waitcnt vmcnt(0) lgkmcnt(0)
	ds_write2st64_b32 v11, v10, v1 offset1:2
	ds_write2st64_b32 v11, v2, v3 offset0:4 offset1:6
	ds_write2st64_b32 v11, v4, v5 offset0:8 offset1:10
	ds_write2st64_b32 v11, v6, v7 offset0:12 offset1:14
	ds_write2st64_b32 v11, v8, v9 offset0:16 offset1:18
	s_waitcnt lgkmcnt(0)
	s_barrier
.LBB3964_24:
	v_mul_u32_u24_e32 v22, 10, v0
	v_lshlrev_b32_e32 v23, 2, v22
	s_waitcnt lgkmcnt(0)
	ds_read2_b64 v[16:19], v23 offset1:1
	ds_read2_b64 v[12:15], v23 offset0:2 offset1:3
	ds_read_b64 v[20:21], v23 offset:32
	s_cmp_lg_u32 s6, 0
	v_cmp_gt_u32_e32 vcc, 64, v0
	s_waitcnt lgkmcnt(2)
	v_max_i32_e32 v1, v16, v17
	v_max3_i32 v24, v1, v18, v19
	v_lshrrev_b32_e32 v1, 5, v0
	s_waitcnt lgkmcnt(0)
	s_barrier
	s_cbranch_scc0 .LBB3964_53
; %bb.25:
	v_max3_i32 v2, v24, v12, v13
	v_max3_i32 v2, v2, v14, v15
	;; [unrolled: 1-line block ×3, first 2 shown]
	v_add_lshl_u32 v2, v1, v0, 2
	ds_write_b32 v2, v25
	s_waitcnt lgkmcnt(0)
	s_barrier
	s_and_saveexec_b64 s[2:3], vcc
	s_cbranch_execz .LBB3964_27
; %bb.26:
	v_lshlrev_b32_e32 v2, 1, v0
	v_lshrrev_b32_e32 v3, 4, v0
	v_add_lshl_u32 v4, v3, v2, 2
	ds_read2_b32 v[2:3], v4 offset1:1
	v_mbcnt_lo_u32_b32 v5, -1, 0
	v_mbcnt_hi_u32_b32 v5, -1, v5
	v_and_b32_e32 v6, 15, v5
	v_cmp_eq_u32_e64 s[0:1], 0, v6
	s_waitcnt lgkmcnt(0)
	v_max_i32_e32 v3, v2, v3
	; wave barrier
	s_nop 1
	v_mov_b32_dpp v7, v3 row_shr:1 row_mask:0xf bank_mask:0xf
	v_max_i32_e32 v7, v7, v3
	v_cndmask_b32_e64 v3, v7, v3, s[0:1]
	v_cmp_lt_u32_e64 s[0:1], 1, v6
	s_nop 0
	v_mov_b32_dpp v7, v3 row_shr:2 row_mask:0xf bank_mask:0xf
	v_max_i32_e32 v7, v7, v3
	v_cndmask_b32_e64 v3, v3, v7, s[0:1]
	v_cmp_lt_u32_e64 s[0:1], 3, v6
	;; [unrolled: 5-line block ×3, first 2 shown]
	s_nop 0
	v_mov_b32_dpp v7, v3 row_shr:8 row_mask:0xf bank_mask:0xf
	v_max_i32_e32 v7, v7, v3
	v_cndmask_b32_e64 v3, v3, v7, s[0:1]
	v_and_b32_e32 v7, 16, v5
	v_cmp_eq_u32_e64 s[0:1], 0, v7
	v_mov_b32_dpp v6, v3 row_bcast:15 row_mask:0xf bank_mask:0xf
	v_max_i32_e32 v6, v6, v3
	v_cndmask_b32_e64 v3, v6, v3, s[0:1]
	v_cmp_lt_u32_e64 s[0:1], 31, v5
	v_and_b32_e32 v7, 64, v5
	v_mov_b32_dpp v6, v3 row_bcast:31 row_mask:0xf bank_mask:0xf
	v_max_i32_e32 v6, v6, v3
	v_cndmask_b32_e64 v3, v3, v6, s[0:1]
	v_add_u32_e32 v6, -1, v5
	v_cmp_lt_i32_e64 s[0:1], v6, v7
	v_cndmask_b32_e64 v5, v6, v5, s[0:1]
	v_lshlrev_b32_e32 v5, 2, v5
	ds_bpermute_b32 v3, v5, v3
	v_cmp_eq_u32_e64 s[0:1], 0, v0
	s_waitcnt lgkmcnt(0)
	v_max_i32_e32 v2, v3, v2
	v_cndmask_b32_e64 v2, v2, v25, s[0:1]
	ds_write_b32 v4, v2
	; wave barrier
	ds_read_b32 v3, v4 offset:4
	s_waitcnt lgkmcnt(0)
	v_max_i32_e32 v2, v2, v3
	ds_write_b32 v4, v2 offset:4
.LBB3964_27:
	s_or_b64 exec, exec, s[2:3]
	v_cmp_eq_u32_e64 s[0:1], 0, v0
	v_cmp_ne_u32_e64 s[2:3], 0, v0
	s_waitcnt lgkmcnt(0)
	s_barrier
	s_and_saveexec_b64 s[8:9], s[2:3]
	s_cbranch_execz .LBB3964_29
; %bb.28:
	v_add_u32_e32 v2, -1, v0
	v_lshrrev_b32_e32 v3, 5, v2
	v_add_lshl_u32 v2, v3, v2, 2
	ds_read_b32 v25, v2
.LBB3964_29:
	s_or_b64 exec, exec, s[8:9]
	s_and_saveexec_b64 s[8:9], vcc
	s_cbranch_execz .LBB3964_52
; %bb.30:
	v_mov_b32_e32 v11, 0
	ds_read_b32 v2, v11 offset:520
	v_mbcnt_lo_u32_b32 v3, -1, 0
	v_mbcnt_hi_u32_b32 v5, -1, v3
	s_mov_b32 s13, 0
	v_cmp_eq_u32_e64 s[2:3], 0, v5
	s_and_saveexec_b64 s[10:11], s[2:3]
	s_cbranch_execz .LBB3964_32
; %bb.31:
	s_add_i32 s12, s6, 64
	s_lshl_b64 s[12:13], s[12:13], 3
	s_add_u32 s12, s18, s12
	v_mov_b32_e32 v3, 1
	s_addc_u32 s13, s19, s13
	s_waitcnt lgkmcnt(0)
	global_store_dwordx2 v11, v[2:3], s[12:13]
.LBB3964_32:
	s_or_b64 exec, exec, s[10:11]
	v_xad_u32 v4, v5, -1, s6
	v_add_u32_e32 v10, 64, v4
	v_lshlrev_b64 v[6:7], 3, v[10:11]
	v_mov_b32_e32 v3, s19
	v_add_co_u32_e32 v6, vcc, s18, v6
	v_addc_co_u32_e32 v7, vcc, v3, v7, vcc
	global_load_dwordx2 v[8:9], v[6:7], off glc
	s_waitcnt vmcnt(0)
	v_cmp_eq_u16_sdwa s[12:13], v9, v11 src0_sel:BYTE_0 src1_sel:DWORD
	s_and_saveexec_b64 s[10:11], s[12:13]
	s_cbranch_execz .LBB3964_38
; %bb.33:
	s_mov_b32 s14, 1
	s_mov_b64 s[12:13], 0
	v_mov_b32_e32 v3, 0
.LBB3964_34:                            ; =>This Loop Header: Depth=1
                                        ;     Child Loop BB3964_35 Depth 2
	s_max_u32 s15, s14, 1
.LBB3964_35:                            ;   Parent Loop BB3964_34 Depth=1
                                        ; =>  This Inner Loop Header: Depth=2
	s_add_i32 s15, s15, -1
	s_cmp_eq_u32 s15, 0
	s_sleep 1
	s_cbranch_scc0 .LBB3964_35
; %bb.36:                               ;   in Loop: Header=BB3964_34 Depth=1
	global_load_dwordx2 v[8:9], v[6:7], off glc
	s_cmp_lt_u32 s14, 32
	s_cselect_b64 s[24:25], -1, 0
	s_cmp_lg_u64 s[24:25], 0
	s_addc_u32 s14, s14, 0
	s_waitcnt vmcnt(0)
	v_cmp_ne_u16_sdwa s[24:25], v9, v3 src0_sel:BYTE_0 src1_sel:DWORD
	s_or_b64 s[12:13], s[24:25], s[12:13]
	s_andn2_b64 exec, exec, s[12:13]
	s_cbranch_execnz .LBB3964_34
; %bb.37:
	s_or_b64 exec, exec, s[12:13]
.LBB3964_38:
	s_or_b64 exec, exec, s[10:11]
	v_and_b32_e32 v26, 63, v5
	v_cmp_ne_u32_e32 vcc, 63, v26
	v_mov_b32_e32 v3, 2
	v_addc_co_u32_e32 v27, vcc, 0, v5, vcc
	v_cmp_eq_u16_sdwa s[10:11], v9, v3 src0_sel:BYTE_0 src1_sel:DWORD
	v_lshlrev_b64 v[6:7], v5, -1
	v_lshlrev_b32_e32 v27, 2, v27
	v_and_b32_e32 v10, s11, v7
	ds_bpermute_b32 v28, v27, v8
	v_or_b32_e32 v10, 0x80000000, v10
	v_and_b32_e32 v11, s10, v6
	v_ffbl_b32_e32 v10, v10
	v_add_u32_e32 v10, 32, v10
	v_ffbl_b32_e32 v11, v11
	v_min_u32_e32 v10, v11, v10
	s_waitcnt lgkmcnt(0)
	v_max_i32_e32 v11, v28, v8
	v_cmp_lt_u32_e32 vcc, v26, v10
	v_cndmask_b32_e32 v8, v8, v11, vcc
	v_cmp_gt_u32_e32 vcc, 62, v26
	v_cndmask_b32_e64 v11, 0, 1, vcc
	v_lshlrev_b32_e32 v11, 1, v11
	v_add_lshl_u32 v28, v11, v5, 2
	ds_bpermute_b32 v11, v28, v8
	v_add_u32_e32 v29, 2, v26
	v_cmp_gt_u32_e32 vcc, v29, v10
	v_add_u32_e32 v31, 4, v26
	v_add_u32_e32 v33, 8, v26
	s_waitcnt lgkmcnt(0)
	v_max_i32_e32 v11, v11, v8
	v_cndmask_b32_e32 v8, v11, v8, vcc
	v_cmp_gt_u32_e32 vcc, 60, v26
	v_cndmask_b32_e64 v11, 0, 1, vcc
	v_lshlrev_b32_e32 v11, 2, v11
	v_add_lshl_u32 v30, v11, v5, 2
	ds_bpermute_b32 v11, v30, v8
	v_cmp_gt_u32_e32 vcc, v31, v10
	v_add_u32_e32 v36, 16, v26
	v_add_u32_e32 v38, 32, v26
	s_waitcnt lgkmcnt(0)
	v_max_i32_e32 v11, v11, v8
	v_cndmask_b32_e32 v8, v11, v8, vcc
	v_cmp_gt_u32_e32 vcc, 56, v26
	v_cndmask_b32_e64 v11, 0, 1, vcc
	v_lshlrev_b32_e32 v11, 3, v11
	v_add_lshl_u32 v32, v11, v5, 2
	ds_bpermute_b32 v11, v32, v8
	v_cmp_gt_u32_e32 vcc, v33, v10
	s_waitcnt lgkmcnt(0)
	v_max_i32_e32 v11, v11, v8
	v_cndmask_b32_e32 v8, v11, v8, vcc
	v_cmp_gt_u32_e32 vcc, 48, v26
	v_cndmask_b32_e64 v11, 0, 1, vcc
	v_lshlrev_b32_e32 v11, 4, v11
	v_add_lshl_u32 v34, v11, v5, 2
	ds_bpermute_b32 v11, v34, v8
	v_cmp_gt_u32_e32 vcc, v36, v10
	;; [unrolled: 9-line block ×3, first 2 shown]
	s_waitcnt lgkmcnt(0)
	v_max_i32_e32 v5, v5, v8
	v_cndmask_b32_e32 v8, v5, v8, vcc
	v_mov_b32_e32 v5, 0
	s_branch .LBB3964_40
.LBB3964_39:                            ;   in Loop: Header=BB3964_40 Depth=1
	s_or_b64 exec, exec, s[10:11]
	v_cmp_eq_u16_sdwa s[10:11], v9, v3 src0_sel:BYTE_0 src1_sel:DWORD
	v_and_b32_e32 v10, s11, v7
	ds_bpermute_b32 v39, v27, v8
	v_or_b32_e32 v10, 0x80000000, v10
	v_and_b32_e32 v11, s10, v6
	v_ffbl_b32_e32 v10, v10
	v_add_u32_e32 v10, 32, v10
	v_ffbl_b32_e32 v11, v11
	v_min_u32_e32 v10, v11, v10
	s_waitcnt lgkmcnt(0)
	v_max_i32_e32 v11, v39, v8
	v_cmp_lt_u32_e32 vcc, v26, v10
	v_cndmask_b32_e32 v8, v8, v11, vcc
	ds_bpermute_b32 v11, v28, v8
	v_cmp_gt_u32_e32 vcc, v29, v10
	v_subrev_u32_e32 v4, 64, v4
	s_waitcnt lgkmcnt(0)
	v_max_i32_e32 v11, v11, v8
	v_cndmask_b32_e32 v8, v11, v8, vcc
	ds_bpermute_b32 v11, v30, v8
	v_cmp_gt_u32_e32 vcc, v31, v10
	s_waitcnt lgkmcnt(0)
	v_max_i32_e32 v11, v11, v8
	v_cndmask_b32_e32 v8, v11, v8, vcc
	ds_bpermute_b32 v11, v32, v8
	v_cmp_gt_u32_e32 vcc, v33, v10
	;; [unrolled: 5-line block ×4, first 2 shown]
	s_waitcnt lgkmcnt(0)
	v_max_i32_e32 v11, v11, v8
	v_cndmask_b32_e32 v8, v11, v8, vcc
	v_max_i32_e32 v8, v8, v35
.LBB3964_40:                            ; =>This Loop Header: Depth=1
                                        ;     Child Loop BB3964_43 Depth 2
                                        ;       Child Loop BB3964_44 Depth 3
	v_cmp_ne_u16_sdwa s[10:11], v9, v3 src0_sel:BYTE_0 src1_sel:DWORD
	v_cndmask_b32_e64 v9, 0, 1, s[10:11]
	;;#ASMSTART
	;;#ASMEND
	v_cmp_ne_u32_e32 vcc, 0, v9
	s_cmp_lg_u64 vcc, exec
	v_mov_b32_e32 v35, v8
	s_cbranch_scc1 .LBB3964_47
; %bb.41:                               ;   in Loop: Header=BB3964_40 Depth=1
	v_lshlrev_b64 v[8:9], 3, v[4:5]
	v_mov_b32_e32 v11, s19
	v_add_co_u32_e32 v10, vcc, s18, v8
	v_addc_co_u32_e32 v11, vcc, v11, v9, vcc
	global_load_dwordx2 v[8:9], v[10:11], off glc
	s_waitcnt vmcnt(0)
	v_cmp_eq_u16_sdwa s[12:13], v9, v5 src0_sel:BYTE_0 src1_sel:DWORD
	s_and_saveexec_b64 s[10:11], s[12:13]
	s_cbranch_execz .LBB3964_39
; %bb.42:                               ;   in Loop: Header=BB3964_40 Depth=1
	s_mov_b32 s14, 1
	s_mov_b64 s[12:13], 0
.LBB3964_43:                            ;   Parent Loop BB3964_40 Depth=1
                                        ; =>  This Loop Header: Depth=2
                                        ;       Child Loop BB3964_44 Depth 3
	s_max_u32 s15, s14, 1
.LBB3964_44:                            ;   Parent Loop BB3964_40 Depth=1
                                        ;     Parent Loop BB3964_43 Depth=2
                                        ; =>    This Inner Loop Header: Depth=3
	s_add_i32 s15, s15, -1
	s_cmp_eq_u32 s15, 0
	s_sleep 1
	s_cbranch_scc0 .LBB3964_44
; %bb.45:                               ;   in Loop: Header=BB3964_43 Depth=2
	global_load_dwordx2 v[8:9], v[10:11], off glc
	s_cmp_lt_u32 s14, 32
	s_cselect_b64 s[24:25], -1, 0
	s_cmp_lg_u64 s[24:25], 0
	s_addc_u32 s14, s14, 0
	s_waitcnt vmcnt(0)
	v_cmp_ne_u16_sdwa s[24:25], v9, v5 src0_sel:BYTE_0 src1_sel:DWORD
	s_or_b64 s[12:13], s[24:25], s[12:13]
	s_andn2_b64 exec, exec, s[12:13]
	s_cbranch_execnz .LBB3964_43
; %bb.46:                               ;   in Loop: Header=BB3964_40 Depth=1
	s_or_b64 exec, exec, s[12:13]
	s_branch .LBB3964_39
.LBB3964_47:                            ;   in Loop: Header=BB3964_40 Depth=1
                                        ; implicit-def: $vgpr8
                                        ; implicit-def: $vgpr9
	s_cbranch_execz .LBB3964_40
; %bb.48:
	s_and_saveexec_b64 s[10:11], s[2:3]
	s_cbranch_execz .LBB3964_50
; %bb.49:
	s_add_i32 s2, s6, 64
	s_mov_b32 s3, 0
	s_lshl_b64 s[2:3], s[2:3], 3
	s_add_u32 s2, s18, s2
	v_max_i32_e32 v2, v35, v2
	v_mov_b32_e32 v3, 2
	s_addc_u32 s3, s19, s3
	v_mov_b32_e32 v4, 0
	global_store_dwordx2 v4, v[2:3], s[2:3]
.LBB3964_50:
	s_or_b64 exec, exec, s[10:11]
	s_and_b64 exec, exec, s[0:1]
	s_cbranch_execz .LBB3964_52
; %bb.51:
	v_mov_b32_e32 v2, 0
	ds_write_b32 v2, v35
.LBB3964_52:
	s_or_b64 exec, exec, s[8:9]
	v_mov_b32_e32 v2, 0
	s_waitcnt lgkmcnt(0)
	s_barrier
	ds_read_b32 v2, v2
	s_waitcnt lgkmcnt(0)
	v_max_i32_e32 v3, v2, v25
	v_cndmask_b32_e64 v2, v3, v2, s[0:1]
	v_max_i32_e32 v3, v2, v16
	v_max_i32_e32 v4, v3, v17
	;; [unrolled: 1-line block ×9, first 2 shown]
	s_load_dwordx8 s[8:15], s[4:5], 0x40
	s_branch .LBB3964_63
.LBB3964_53:
                                        ; implicit-def: $vgpr2_vgpr3_vgpr4_vgpr5_vgpr6_vgpr7_vgpr8_vgpr9_vgpr10_vgpr11
	s_load_dwordx8 s[8:15], s[4:5], 0x40
	s_cbranch_execz .LBB3964_63
; %bb.54:
	s_load_dword s0, s[4:5], 0x28
	s_waitcnt lgkmcnt(0)
	s_cmp_eq_u64 s[12:13], 0
	v_mov_b32_e32 v25, s0
	s_cbranch_scc1 .LBB3964_56
; %bb.55:
	v_mov_b32_e32 v2, 0
	global_load_dword v4, v2, s[8:9]
	v_mov_b32_e32 v3, s22
	v_add_co_u32_e64 v2, vcc, -4, s21
	v_addc_co_u32_e32 v3, vcc, -1, v3, vcc
	flat_load_dword v2, v[2:3]
	s_waitcnt vmcnt(0) lgkmcnt(0)
	v_max_i32_e32 v25, v4, v2
.LBB3964_56:
	v_max3_i32 v2, v24, v12, v13
	v_max3_i32 v2, v2, v14, v15
	;; [unrolled: 1-line block ×3, first 2 shown]
	v_add_lshl_u32 v1, v1, v0, 2
	v_cmp_gt_u32_e32 vcc, 64, v0
	ds_write_b32 v1, v2
	s_waitcnt lgkmcnt(0)
	s_barrier
	s_and_saveexec_b64 s[0:1], vcc
	s_cbranch_execz .LBB3964_58
; %bb.57:
	v_lshlrev_b32_e32 v1, 1, v0
	v_lshrrev_b32_e32 v3, 4, v0
	v_add_lshl_u32 v1, v3, v1, 2
	ds_read2_b32 v[4:5], v1 offset1:1
	v_mbcnt_lo_u32_b32 v3, -1, 0
	v_mbcnt_hi_u32_b32 v3, -1, v3
	v_and_b32_e32 v6, 15, v3
	v_cmp_eq_u32_e32 vcc, 0, v6
	s_waitcnt lgkmcnt(0)
	v_max_i32_e32 v5, v4, v5
	; wave barrier
	s_nop 1
	v_mov_b32_dpp v7, v5 row_shr:1 row_mask:0xf bank_mask:0xf
	v_max_i32_e32 v7, v7, v5
	v_cndmask_b32_e32 v5, v7, v5, vcc
	v_cmp_lt_u32_e32 vcc, 1, v6
	s_nop 0
	v_mov_b32_dpp v7, v5 row_shr:2 row_mask:0xf bank_mask:0xf
	v_max_i32_e32 v7, v7, v5
	v_cndmask_b32_e32 v5, v5, v7, vcc
	v_cmp_lt_u32_e32 vcc, 3, v6
	;; [unrolled: 5-line block ×3, first 2 shown]
	s_nop 0
	v_mov_b32_dpp v7, v5 row_shr:8 row_mask:0xf bank_mask:0xf
	v_max_i32_e32 v7, v7, v5
	v_cndmask_b32_e32 v5, v5, v7, vcc
	v_and_b32_e32 v7, 16, v3
	v_cmp_eq_u32_e32 vcc, 0, v7
	v_mov_b32_dpp v6, v5 row_bcast:15 row_mask:0xf bank_mask:0xf
	v_max_i32_e32 v6, v6, v5
	v_cndmask_b32_e32 v5, v6, v5, vcc
	v_cmp_lt_u32_e32 vcc, 31, v3
	v_and_b32_e32 v7, 64, v3
	v_mov_b32_dpp v6, v5 row_bcast:31 row_mask:0xf bank_mask:0xf
	v_max_i32_e32 v6, v6, v5
	v_cndmask_b32_e32 v5, v5, v6, vcc
	v_add_u32_e32 v6, -1, v3
	v_cmp_lt_i32_e32 vcc, v6, v7
	v_cndmask_b32_e32 v3, v6, v3, vcc
	v_lshlrev_b32_e32 v3, 2, v3
	ds_bpermute_b32 v3, v3, v5
	v_cmp_eq_u32_e32 vcc, 0, v0
	s_waitcnt lgkmcnt(0)
	v_max_i32_e32 v3, v3, v4
	v_cndmask_b32_e32 v2, v3, v2, vcc
	ds_write_b32 v1, v2
	; wave barrier
	ds_read_b32 v3, v1 offset:4
	s_waitcnt lgkmcnt(0)
	v_max_i32_e32 v2, v2, v3
	ds_write_b32 v1, v2 offset:4
.LBB3964_58:
	s_or_b64 exec, exec, s[0:1]
	v_cmp_eq_u32_e32 vcc, 0, v0
	v_cmp_ne_u32_e64 s[0:1], 0, v0
	v_mov_b32_e32 v2, v25
	s_waitcnt lgkmcnt(0)
	s_barrier
	s_and_saveexec_b64 s[2:3], s[0:1]
	s_cbranch_execz .LBB3964_60
; %bb.59:
	v_add_u32_e32 v1, -1, v0
	v_lshrrev_b32_e32 v2, 5, v1
	v_add_lshl_u32 v1, v2, v1, 2
	ds_read_b32 v1, v1
	s_waitcnt lgkmcnt(0)
	v_max_i32_e32 v2, v25, v1
.LBB3964_60:
	s_or_b64 exec, exec, s[2:3]
	v_max_i32_e32 v3, v2, v16
	v_max_i32_e32 v4, v3, v17
	;; [unrolled: 1-line block ×9, first 2 shown]
	s_and_saveexec_b64 s[0:1], vcc
	s_cbranch_execz .LBB3964_62
; %bb.61:
	v_mov_b32_e32 v1, 0
	ds_read_b32 v12, v1 offset:520
	v_mov_b32_e32 v13, 2
	s_waitcnt lgkmcnt(0)
	v_max_i32_e32 v12, v25, v12
	global_store_dwordx2 v1, v[12:13], s[18:19] offset:512
.LBB3964_62:
	s_or_b64 exec, exec, s[0:1]
.LBB3964_63:
	s_mov_b64 s[0:1], -1
	s_and_b64 vcc, exec, s[16:17]
	s_waitcnt lgkmcnt(0)
	s_barrier
	ds_write2_b64 v23, v[2:3], v[4:5] offset1:1
	ds_write2_b64 v23, v[6:7], v[8:9] offset0:2 offset1:3
	ds_write_b64 v23, v[10:11] offset:32
	s_waitcnt lgkmcnt(0)
	s_cbranch_vccz .LBB3964_65
; %bb.64:
	s_barrier
	s_mov_b64 s[0:1], 0
.LBB3964_65:
	s_andn2_b64 vcc, exec, s[0:1]
	s_cbranch_vccnz .LBB3964_101
; %bb.66:
	v_cmp_lt_u64_e64 s[0:1], s[14:15], 2
	s_and_b64 vcc, exec, s[0:1]
	s_barrier
	s_cbranch_vccnz .LBB3964_101
; %bb.67:
	s_add_u32 s0, s7, -1
	s_addc_u32 s1, s20, -1
	s_add_u32 s2, 0, 0x99986000
	s_addc_u32 s3, 0, 0x59
	s_add_i32 s3, s3, 0x19999940
	s_mul_hi_u32 s7, s2, -10
	s_sub_i32 s7, s7, s2
	s_mul_i32 s8, s3, -10
	s_mul_i32 s4, s2, -10
	s_add_i32 s7, s7, s8
	s_mul_hi_u32 s5, s3, s4
	s_mul_i32 s6, s3, s4
	s_mul_i32 s9, s2, s7
	s_mul_hi_u32 s4, s2, s4
	s_mul_hi_u32 s8, s2, s7
	s_add_u32 s4, s4, s9
	s_addc_u32 s8, 0, s8
	s_add_u32 s4, s4, s6
	s_mul_hi_u32 s9, s3, s7
	s_addc_u32 s4, s8, s5
	s_addc_u32 s5, s9, 0
	s_mul_i32 s6, s3, s7
	s_add_u32 s4, s4, s6
	v_mov_b32_e32 v2, s4
	s_addc_u32 s5, 0, s5
	v_add_co_u32_e32 v2, vcc, s2, v2
	s_cmp_lg_u64 vcc, 0
	s_addc_u32 s2, s3, s5
	v_readfirstlane_b32 s5, v2
	s_mul_i32 s4, s0, s2
	s_mul_hi_u32 s6, s0, s5
	s_mul_hi_u32 s3, s0, s2
	s_add_u32 s4, s6, s4
	s_addc_u32 s3, 0, s3
	s_mul_hi_u32 s7, s1, s5
	s_mul_i32 s5, s1, s5
	s_add_u32 s4, s4, s5
	s_mul_hi_u32 s6, s1, s2
	s_addc_u32 s3, s3, s7
	s_addc_u32 s4, s6, 0
	s_mul_i32 s2, s1, s2
	s_add_u32 s2, s3, s2
	s_addc_u32 s3, 0, s4
	s_add_u32 s4, s2, 1
	s_addc_u32 s5, s3, 0
	s_add_u32 s6, s2, 2
	s_mul_i32 s8, s3, 10
	s_mul_hi_u32 s9, s2, 10
	s_addc_u32 s7, s3, 0
	s_add_i32 s9, s9, s8
	s_mul_i32 s8, s2, 10
	v_mov_b32_e32 v2, s8
	v_sub_co_u32_e32 v2, vcc, s0, v2
	s_cmp_lg_u64 vcc, 0
	s_subb_u32 s8, s1, s9
	v_subrev_co_u32_e32 v3, vcc, 10, v2
	s_cmp_lg_u64 vcc, 0
	s_subb_u32 s9, s8, 0
	v_readfirstlane_b32 s12, v3
	s_cmp_gt_u32 s12, 9
	s_cselect_b32 s12, -1, 0
	s_cmp_eq_u32 s9, 0
	s_cselect_b32 s9, s12, -1
	s_cmp_lg_u32 s9, 0
	s_cselect_b32 s4, s6, s4
	v_readfirstlane_b32 s6, v2
	s_cselect_b32 s5, s7, s5
	s_cmp_gt_u32 s6, 9
	s_cselect_b32 s6, -1, 0
	s_cmp_eq_u32 s8, 0
	s_cselect_b32 s6, s6, -1
	s_cmp_lg_u32 s6, 0
	v_mov_b32_e32 v1, 0
	s_cselect_b32 s3, s5, s3
	s_cselect_b32 s2, s4, s2
	v_cmp_eq_u64_e32 vcc, s[2:3], v[0:1]
	s_and_saveexec_b64 s[2:3], vcc
	s_cbranch_execz .LBB3964_101
; %bb.68:
	s_movk_i32 s2, 0xffdc
	v_mad_i32_i24 v2, v0, s2, v23
	v_mul_hi_u32_u24_e32 v1, 10, v0
	v_mov_b32_e32 v3, s1
	v_sub_co_u32_e32 v0, vcc, s0, v22
	v_subb_co_u32_e32 v1, vcc, v3, v1, vcc
	v_cmp_lt_i64_e32 vcc, 4, v[0:1]
	s_and_saveexec_b64 s[0:1], vcc
	s_xor_b64 s[0:1], exec, s[0:1]
	s_cbranch_execz .LBB3964_86
; %bb.69:
	v_cmp_lt_i64_e32 vcc, 6, v[0:1]
	s_and_saveexec_b64 s[2:3], vcc
	s_xor_b64 s[2:3], exec, s[2:3]
	s_cbranch_execz .LBB3964_79
; %bb.70:
	;; [unrolled: 5-line block ×4, first 2 shown]
	ds_read_b32 v0, v2 offset:4608
	v_mov_b32_e32 v1, 0
                                        ; implicit-def: $vgpr2
	s_waitcnt lgkmcnt(0)
	global_store_dword v1, v0, s[10:11]
.LBB3964_73:
	s_andn2_saveexec_b64 s[6:7], s[6:7]
	s_cbranch_execz .LBB3964_75
; %bb.74:
	ds_read_b32 v0, v2 offset:4096
	v_mov_b32_e32 v1, 0
	s_waitcnt lgkmcnt(0)
	global_store_dword v1, v0, s[10:11]
.LBB3964_75:
	s_or_b64 exec, exec, s[6:7]
                                        ; implicit-def: $vgpr2
.LBB3964_76:
	s_andn2_saveexec_b64 s[4:5], s[4:5]
	s_cbranch_execz .LBB3964_78
; %bb.77:
	ds_read_b32 v0, v2 offset:3584
	v_mov_b32_e32 v1, 0
	s_waitcnt lgkmcnt(0)
	global_store_dword v1, v0, s[10:11]
.LBB3964_78:
	s_or_b64 exec, exec, s[4:5]
                                        ; implicit-def: $vgpr2
                                        ; implicit-def: $vgpr0_vgpr1
.LBB3964_79:
	s_andn2_saveexec_b64 s[2:3], s[2:3]
	s_cbranch_execz .LBB3964_85
; %bb.80:
	v_cmp_lt_i64_e32 vcc, 5, v[0:1]
	s_and_saveexec_b64 s[4:5], vcc
	s_xor_b64 s[4:5], exec, s[4:5]
	s_cbranch_execz .LBB3964_82
; %bb.81:
	ds_read_b32 v0, v2 offset:3072
	v_mov_b32_e32 v1, 0
                                        ; implicit-def: $vgpr2
	s_waitcnt lgkmcnt(0)
	global_store_dword v1, v0, s[10:11]
.LBB3964_82:
	s_andn2_saveexec_b64 s[4:5], s[4:5]
	s_cbranch_execz .LBB3964_84
; %bb.83:
	ds_read_b32 v0, v2 offset:2560
	v_mov_b32_e32 v1, 0
	s_waitcnt lgkmcnt(0)
	global_store_dword v1, v0, s[10:11]
.LBB3964_84:
	s_or_b64 exec, exec, s[4:5]
.LBB3964_85:
	s_or_b64 exec, exec, s[2:3]
                                        ; implicit-def: $vgpr0_vgpr1
                                        ; implicit-def: $vgpr2
.LBB3964_86:
	s_andn2_saveexec_b64 s[0:1], s[0:1]
	s_cbranch_execz .LBB3964_101
; %bb.87:
	v_cmp_lt_i64_e32 vcc, 2, v[0:1]
	s_and_saveexec_b64 s[0:1], vcc
	s_xor_b64 s[0:1], exec, s[0:1]
	s_cbranch_execz .LBB3964_93
; %bb.88:
	v_cmp_lt_i64_e32 vcc, 3, v[0:1]
	s_and_saveexec_b64 s[2:3], vcc
	s_xor_b64 s[2:3], exec, s[2:3]
	s_cbranch_execz .LBB3964_90
; %bb.89:
	ds_read_b32 v0, v2 offset:2048
	v_mov_b32_e32 v1, 0
                                        ; implicit-def: $vgpr2
	s_waitcnt lgkmcnt(0)
	global_store_dword v1, v0, s[10:11]
.LBB3964_90:
	s_andn2_saveexec_b64 s[2:3], s[2:3]
	s_cbranch_execz .LBB3964_92
; %bb.91:
	ds_read_b32 v0, v2 offset:1536
	v_mov_b32_e32 v1, 0
	s_waitcnt lgkmcnt(0)
	global_store_dword v1, v0, s[10:11]
.LBB3964_92:
	s_or_b64 exec, exec, s[2:3]
                                        ; implicit-def: $vgpr0_vgpr1
                                        ; implicit-def: $vgpr2
.LBB3964_93:
	s_andn2_saveexec_b64 s[0:1], s[0:1]
	s_cbranch_execz .LBB3964_101
; %bb.94:
	v_cmp_lt_i64_e32 vcc, 1, v[0:1]
	s_and_saveexec_b64 s[0:1], vcc
	s_xor_b64 s[0:1], exec, s[0:1]
	s_cbranch_execz .LBB3964_96
; %bb.95:
	ds_read_b32 v0, v2 offset:1024
	v_mov_b32_e32 v1, 0
                                        ; implicit-def: $vgpr2
	s_waitcnt lgkmcnt(0)
	global_store_dword v1, v0, s[10:11]
                                        ; implicit-def: $vgpr0_vgpr1
.LBB3964_96:
	s_andn2_saveexec_b64 s[0:1], s[0:1]
	s_cbranch_execz .LBB3964_101
; %bb.97:
	v_cmp_ne_u64_e32 vcc, 1, v[0:1]
	s_and_saveexec_b64 s[0:1], vcc
	s_xor_b64 s[0:1], exec, s[0:1]
	s_cbranch_execz .LBB3964_99
; %bb.98:
	ds_read_b32 v0, v2
	v_mov_b32_e32 v1, 0
                                        ; implicit-def: $vgpr2
	s_waitcnt lgkmcnt(0)
	global_store_dword v1, v0, s[10:11]
.LBB3964_99:
	s_andn2_saveexec_b64 s[0:1], s[0:1]
	s_cbranch_execz .LBB3964_101
; %bb.100:
	ds_read_b32 v0, v2 offset:512
	v_mov_b32_e32 v1, 0
	s_waitcnt lgkmcnt(0)
	global_store_dword v1, v0, s[10:11]
.LBB3964_101:
	s_endpgm
	.section	.rodata,"a",@progbits
	.p2align	6, 0x0
	.amdhsa_kernel _ZN7rocprim17ROCPRIM_400000_NS6detail17trampoline_kernelINS0_14default_configENS1_20scan_config_selectorIiEEZZNS1_9scan_implILNS1_25lookback_scan_determinismE0ELb1ELb1ES3_N6thrust23THRUST_200600_302600_NS6detail15normal_iteratorINS9_10device_ptrIiEEEENS9_16discard_iteratorINS9_11use_defaultEEEi11max_functorIiEiEEDaPvRmT3_T4_T5_mT6_P12ihipStream_tbENKUlT_T0_E_clISt17integral_constantIbLb1EESW_IbLb0EEEEDaSS_ST_EUlSS_E_NS1_11comp_targetILNS1_3genE4ELNS1_11target_archE910ELNS1_3gpuE8ELNS1_3repE0EEENS1_30default_config_static_selectorELNS0_4arch9wavefront6targetE1EEEvT1_
		.amdhsa_group_segment_fixed_size 5120
		.amdhsa_private_segment_fixed_size 0
		.amdhsa_kernarg_size 104
		.amdhsa_user_sgpr_count 6
		.amdhsa_user_sgpr_private_segment_buffer 1
		.amdhsa_user_sgpr_dispatch_ptr 0
		.amdhsa_user_sgpr_queue_ptr 0
		.amdhsa_user_sgpr_kernarg_segment_ptr 1
		.amdhsa_user_sgpr_dispatch_id 0
		.amdhsa_user_sgpr_flat_scratch_init 0
		.amdhsa_user_sgpr_kernarg_preload_length 0
		.amdhsa_user_sgpr_kernarg_preload_offset 0
		.amdhsa_user_sgpr_private_segment_size 0
		.amdhsa_uses_dynamic_stack 0
		.amdhsa_system_sgpr_private_segment_wavefront_offset 0
		.amdhsa_system_sgpr_workgroup_id_x 1
		.amdhsa_system_sgpr_workgroup_id_y 0
		.amdhsa_system_sgpr_workgroup_id_z 0
		.amdhsa_system_sgpr_workgroup_info 0
		.amdhsa_system_vgpr_workitem_id 0
		.amdhsa_next_free_vgpr 40
		.amdhsa_next_free_sgpr 26
		.amdhsa_accum_offset 40
		.amdhsa_reserve_vcc 1
		.amdhsa_reserve_flat_scratch 0
		.amdhsa_float_round_mode_32 0
		.amdhsa_float_round_mode_16_64 0
		.amdhsa_float_denorm_mode_32 3
		.amdhsa_float_denorm_mode_16_64 3
		.amdhsa_dx10_clamp 1
		.amdhsa_ieee_mode 1
		.amdhsa_fp16_overflow 0
		.amdhsa_tg_split 0
		.amdhsa_exception_fp_ieee_invalid_op 0
		.amdhsa_exception_fp_denorm_src 0
		.amdhsa_exception_fp_ieee_div_zero 0
		.amdhsa_exception_fp_ieee_overflow 0
		.amdhsa_exception_fp_ieee_underflow 0
		.amdhsa_exception_fp_ieee_inexact 0
		.amdhsa_exception_int_div_zero 0
	.end_amdhsa_kernel
	.section	.text._ZN7rocprim17ROCPRIM_400000_NS6detail17trampoline_kernelINS0_14default_configENS1_20scan_config_selectorIiEEZZNS1_9scan_implILNS1_25lookback_scan_determinismE0ELb1ELb1ES3_N6thrust23THRUST_200600_302600_NS6detail15normal_iteratorINS9_10device_ptrIiEEEENS9_16discard_iteratorINS9_11use_defaultEEEi11max_functorIiEiEEDaPvRmT3_T4_T5_mT6_P12ihipStream_tbENKUlT_T0_E_clISt17integral_constantIbLb1EESW_IbLb0EEEEDaSS_ST_EUlSS_E_NS1_11comp_targetILNS1_3genE4ELNS1_11target_archE910ELNS1_3gpuE8ELNS1_3repE0EEENS1_30default_config_static_selectorELNS0_4arch9wavefront6targetE1EEEvT1_,"axG",@progbits,_ZN7rocprim17ROCPRIM_400000_NS6detail17trampoline_kernelINS0_14default_configENS1_20scan_config_selectorIiEEZZNS1_9scan_implILNS1_25lookback_scan_determinismE0ELb1ELb1ES3_N6thrust23THRUST_200600_302600_NS6detail15normal_iteratorINS9_10device_ptrIiEEEENS9_16discard_iteratorINS9_11use_defaultEEEi11max_functorIiEiEEDaPvRmT3_T4_T5_mT6_P12ihipStream_tbENKUlT_T0_E_clISt17integral_constantIbLb1EESW_IbLb0EEEEDaSS_ST_EUlSS_E_NS1_11comp_targetILNS1_3genE4ELNS1_11target_archE910ELNS1_3gpuE8ELNS1_3repE0EEENS1_30default_config_static_selectorELNS0_4arch9wavefront6targetE1EEEvT1_,comdat
.Lfunc_end3964:
	.size	_ZN7rocprim17ROCPRIM_400000_NS6detail17trampoline_kernelINS0_14default_configENS1_20scan_config_selectorIiEEZZNS1_9scan_implILNS1_25lookback_scan_determinismE0ELb1ELb1ES3_N6thrust23THRUST_200600_302600_NS6detail15normal_iteratorINS9_10device_ptrIiEEEENS9_16discard_iteratorINS9_11use_defaultEEEi11max_functorIiEiEEDaPvRmT3_T4_T5_mT6_P12ihipStream_tbENKUlT_T0_E_clISt17integral_constantIbLb1EESW_IbLb0EEEEDaSS_ST_EUlSS_E_NS1_11comp_targetILNS1_3genE4ELNS1_11target_archE910ELNS1_3gpuE8ELNS1_3repE0EEENS1_30default_config_static_selectorELNS0_4arch9wavefront6targetE1EEEvT1_, .Lfunc_end3964-_ZN7rocprim17ROCPRIM_400000_NS6detail17trampoline_kernelINS0_14default_configENS1_20scan_config_selectorIiEEZZNS1_9scan_implILNS1_25lookback_scan_determinismE0ELb1ELb1ES3_N6thrust23THRUST_200600_302600_NS6detail15normal_iteratorINS9_10device_ptrIiEEEENS9_16discard_iteratorINS9_11use_defaultEEEi11max_functorIiEiEEDaPvRmT3_T4_T5_mT6_P12ihipStream_tbENKUlT_T0_E_clISt17integral_constantIbLb1EESW_IbLb0EEEEDaSS_ST_EUlSS_E_NS1_11comp_targetILNS1_3genE4ELNS1_11target_archE910ELNS1_3gpuE8ELNS1_3repE0EEENS1_30default_config_static_selectorELNS0_4arch9wavefront6targetE1EEEvT1_
                                        ; -- End function
	.section	.AMDGPU.csdata,"",@progbits
; Kernel info:
; codeLenInByte = 3960
; NumSgprs: 30
; NumVgprs: 40
; NumAgprs: 0
; TotalNumVgprs: 40
; ScratchSize: 0
; MemoryBound: 0
; FloatMode: 240
; IeeeMode: 1
; LDSByteSize: 5120 bytes/workgroup (compile time only)
; SGPRBlocks: 3
; VGPRBlocks: 4
; NumSGPRsForWavesPerEU: 30
; NumVGPRsForWavesPerEU: 40
; AccumOffset: 40
; Occupancy: 6
; WaveLimiterHint : 1
; COMPUTE_PGM_RSRC2:SCRATCH_EN: 0
; COMPUTE_PGM_RSRC2:USER_SGPR: 6
; COMPUTE_PGM_RSRC2:TRAP_HANDLER: 0
; COMPUTE_PGM_RSRC2:TGID_X_EN: 1
; COMPUTE_PGM_RSRC2:TGID_Y_EN: 0
; COMPUTE_PGM_RSRC2:TGID_Z_EN: 0
; COMPUTE_PGM_RSRC2:TIDIG_COMP_CNT: 0
; COMPUTE_PGM_RSRC3_GFX90A:ACCUM_OFFSET: 9
; COMPUTE_PGM_RSRC3_GFX90A:TG_SPLIT: 0
	.section	.text._ZN7rocprim17ROCPRIM_400000_NS6detail17trampoline_kernelINS0_14default_configENS1_20scan_config_selectorIiEEZZNS1_9scan_implILNS1_25lookback_scan_determinismE0ELb1ELb1ES3_N6thrust23THRUST_200600_302600_NS6detail15normal_iteratorINS9_10device_ptrIiEEEENS9_16discard_iteratorINS9_11use_defaultEEEi11max_functorIiEiEEDaPvRmT3_T4_T5_mT6_P12ihipStream_tbENKUlT_T0_E_clISt17integral_constantIbLb1EESW_IbLb0EEEEDaSS_ST_EUlSS_E_NS1_11comp_targetILNS1_3genE3ELNS1_11target_archE908ELNS1_3gpuE7ELNS1_3repE0EEENS1_30default_config_static_selectorELNS0_4arch9wavefront6targetE1EEEvT1_,"axG",@progbits,_ZN7rocprim17ROCPRIM_400000_NS6detail17trampoline_kernelINS0_14default_configENS1_20scan_config_selectorIiEEZZNS1_9scan_implILNS1_25lookback_scan_determinismE0ELb1ELb1ES3_N6thrust23THRUST_200600_302600_NS6detail15normal_iteratorINS9_10device_ptrIiEEEENS9_16discard_iteratorINS9_11use_defaultEEEi11max_functorIiEiEEDaPvRmT3_T4_T5_mT6_P12ihipStream_tbENKUlT_T0_E_clISt17integral_constantIbLb1EESW_IbLb0EEEEDaSS_ST_EUlSS_E_NS1_11comp_targetILNS1_3genE3ELNS1_11target_archE908ELNS1_3gpuE7ELNS1_3repE0EEENS1_30default_config_static_selectorELNS0_4arch9wavefront6targetE1EEEvT1_,comdat
	.protected	_ZN7rocprim17ROCPRIM_400000_NS6detail17trampoline_kernelINS0_14default_configENS1_20scan_config_selectorIiEEZZNS1_9scan_implILNS1_25lookback_scan_determinismE0ELb1ELb1ES3_N6thrust23THRUST_200600_302600_NS6detail15normal_iteratorINS9_10device_ptrIiEEEENS9_16discard_iteratorINS9_11use_defaultEEEi11max_functorIiEiEEDaPvRmT3_T4_T5_mT6_P12ihipStream_tbENKUlT_T0_E_clISt17integral_constantIbLb1EESW_IbLb0EEEEDaSS_ST_EUlSS_E_NS1_11comp_targetILNS1_3genE3ELNS1_11target_archE908ELNS1_3gpuE7ELNS1_3repE0EEENS1_30default_config_static_selectorELNS0_4arch9wavefront6targetE1EEEvT1_ ; -- Begin function _ZN7rocprim17ROCPRIM_400000_NS6detail17trampoline_kernelINS0_14default_configENS1_20scan_config_selectorIiEEZZNS1_9scan_implILNS1_25lookback_scan_determinismE0ELb1ELb1ES3_N6thrust23THRUST_200600_302600_NS6detail15normal_iteratorINS9_10device_ptrIiEEEENS9_16discard_iteratorINS9_11use_defaultEEEi11max_functorIiEiEEDaPvRmT3_T4_T5_mT6_P12ihipStream_tbENKUlT_T0_E_clISt17integral_constantIbLb1EESW_IbLb0EEEEDaSS_ST_EUlSS_E_NS1_11comp_targetILNS1_3genE3ELNS1_11target_archE908ELNS1_3gpuE7ELNS1_3repE0EEENS1_30default_config_static_selectorELNS0_4arch9wavefront6targetE1EEEvT1_
	.globl	_ZN7rocprim17ROCPRIM_400000_NS6detail17trampoline_kernelINS0_14default_configENS1_20scan_config_selectorIiEEZZNS1_9scan_implILNS1_25lookback_scan_determinismE0ELb1ELb1ES3_N6thrust23THRUST_200600_302600_NS6detail15normal_iteratorINS9_10device_ptrIiEEEENS9_16discard_iteratorINS9_11use_defaultEEEi11max_functorIiEiEEDaPvRmT3_T4_T5_mT6_P12ihipStream_tbENKUlT_T0_E_clISt17integral_constantIbLb1EESW_IbLb0EEEEDaSS_ST_EUlSS_E_NS1_11comp_targetILNS1_3genE3ELNS1_11target_archE908ELNS1_3gpuE7ELNS1_3repE0EEENS1_30default_config_static_selectorELNS0_4arch9wavefront6targetE1EEEvT1_
	.p2align	8
	.type	_ZN7rocprim17ROCPRIM_400000_NS6detail17trampoline_kernelINS0_14default_configENS1_20scan_config_selectorIiEEZZNS1_9scan_implILNS1_25lookback_scan_determinismE0ELb1ELb1ES3_N6thrust23THRUST_200600_302600_NS6detail15normal_iteratorINS9_10device_ptrIiEEEENS9_16discard_iteratorINS9_11use_defaultEEEi11max_functorIiEiEEDaPvRmT3_T4_T5_mT6_P12ihipStream_tbENKUlT_T0_E_clISt17integral_constantIbLb1EESW_IbLb0EEEEDaSS_ST_EUlSS_E_NS1_11comp_targetILNS1_3genE3ELNS1_11target_archE908ELNS1_3gpuE7ELNS1_3repE0EEENS1_30default_config_static_selectorELNS0_4arch9wavefront6targetE1EEEvT1_,@function
_ZN7rocprim17ROCPRIM_400000_NS6detail17trampoline_kernelINS0_14default_configENS1_20scan_config_selectorIiEEZZNS1_9scan_implILNS1_25lookback_scan_determinismE0ELb1ELb1ES3_N6thrust23THRUST_200600_302600_NS6detail15normal_iteratorINS9_10device_ptrIiEEEENS9_16discard_iteratorINS9_11use_defaultEEEi11max_functorIiEiEEDaPvRmT3_T4_T5_mT6_P12ihipStream_tbENKUlT_T0_E_clISt17integral_constantIbLb1EESW_IbLb0EEEEDaSS_ST_EUlSS_E_NS1_11comp_targetILNS1_3genE3ELNS1_11target_archE908ELNS1_3gpuE7ELNS1_3repE0EEENS1_30default_config_static_selectorELNS0_4arch9wavefront6targetE1EEEvT1_: ; @_ZN7rocprim17ROCPRIM_400000_NS6detail17trampoline_kernelINS0_14default_configENS1_20scan_config_selectorIiEEZZNS1_9scan_implILNS1_25lookback_scan_determinismE0ELb1ELb1ES3_N6thrust23THRUST_200600_302600_NS6detail15normal_iteratorINS9_10device_ptrIiEEEENS9_16discard_iteratorINS9_11use_defaultEEEi11max_functorIiEiEEDaPvRmT3_T4_T5_mT6_P12ihipStream_tbENKUlT_T0_E_clISt17integral_constantIbLb1EESW_IbLb0EEEEDaSS_ST_EUlSS_E_NS1_11comp_targetILNS1_3genE3ELNS1_11target_archE908ELNS1_3gpuE7ELNS1_3repE0EEENS1_30default_config_static_selectorELNS0_4arch9wavefront6targetE1EEEvT1_
; %bb.0:
	.section	.rodata,"a",@progbits
	.p2align	6, 0x0
	.amdhsa_kernel _ZN7rocprim17ROCPRIM_400000_NS6detail17trampoline_kernelINS0_14default_configENS1_20scan_config_selectorIiEEZZNS1_9scan_implILNS1_25lookback_scan_determinismE0ELb1ELb1ES3_N6thrust23THRUST_200600_302600_NS6detail15normal_iteratorINS9_10device_ptrIiEEEENS9_16discard_iteratorINS9_11use_defaultEEEi11max_functorIiEiEEDaPvRmT3_T4_T5_mT6_P12ihipStream_tbENKUlT_T0_E_clISt17integral_constantIbLb1EESW_IbLb0EEEEDaSS_ST_EUlSS_E_NS1_11comp_targetILNS1_3genE3ELNS1_11target_archE908ELNS1_3gpuE7ELNS1_3repE0EEENS1_30default_config_static_selectorELNS0_4arch9wavefront6targetE1EEEvT1_
		.amdhsa_group_segment_fixed_size 0
		.amdhsa_private_segment_fixed_size 0
		.amdhsa_kernarg_size 104
		.amdhsa_user_sgpr_count 6
		.amdhsa_user_sgpr_private_segment_buffer 1
		.amdhsa_user_sgpr_dispatch_ptr 0
		.amdhsa_user_sgpr_queue_ptr 0
		.amdhsa_user_sgpr_kernarg_segment_ptr 1
		.amdhsa_user_sgpr_dispatch_id 0
		.amdhsa_user_sgpr_flat_scratch_init 0
		.amdhsa_user_sgpr_kernarg_preload_length 0
		.amdhsa_user_sgpr_kernarg_preload_offset 0
		.amdhsa_user_sgpr_private_segment_size 0
		.amdhsa_uses_dynamic_stack 0
		.amdhsa_system_sgpr_private_segment_wavefront_offset 0
		.amdhsa_system_sgpr_workgroup_id_x 1
		.amdhsa_system_sgpr_workgroup_id_y 0
		.amdhsa_system_sgpr_workgroup_id_z 0
		.amdhsa_system_sgpr_workgroup_info 0
		.amdhsa_system_vgpr_workitem_id 0
		.amdhsa_next_free_vgpr 1
		.amdhsa_next_free_sgpr 0
		.amdhsa_accum_offset 4
		.amdhsa_reserve_vcc 0
		.amdhsa_reserve_flat_scratch 0
		.amdhsa_float_round_mode_32 0
		.amdhsa_float_round_mode_16_64 0
		.amdhsa_float_denorm_mode_32 3
		.amdhsa_float_denorm_mode_16_64 3
		.amdhsa_dx10_clamp 1
		.amdhsa_ieee_mode 1
		.amdhsa_fp16_overflow 0
		.amdhsa_tg_split 0
		.amdhsa_exception_fp_ieee_invalid_op 0
		.amdhsa_exception_fp_denorm_src 0
		.amdhsa_exception_fp_ieee_div_zero 0
		.amdhsa_exception_fp_ieee_overflow 0
		.amdhsa_exception_fp_ieee_underflow 0
		.amdhsa_exception_fp_ieee_inexact 0
		.amdhsa_exception_int_div_zero 0
	.end_amdhsa_kernel
	.section	.text._ZN7rocprim17ROCPRIM_400000_NS6detail17trampoline_kernelINS0_14default_configENS1_20scan_config_selectorIiEEZZNS1_9scan_implILNS1_25lookback_scan_determinismE0ELb1ELb1ES3_N6thrust23THRUST_200600_302600_NS6detail15normal_iteratorINS9_10device_ptrIiEEEENS9_16discard_iteratorINS9_11use_defaultEEEi11max_functorIiEiEEDaPvRmT3_T4_T5_mT6_P12ihipStream_tbENKUlT_T0_E_clISt17integral_constantIbLb1EESW_IbLb0EEEEDaSS_ST_EUlSS_E_NS1_11comp_targetILNS1_3genE3ELNS1_11target_archE908ELNS1_3gpuE7ELNS1_3repE0EEENS1_30default_config_static_selectorELNS0_4arch9wavefront6targetE1EEEvT1_,"axG",@progbits,_ZN7rocprim17ROCPRIM_400000_NS6detail17trampoline_kernelINS0_14default_configENS1_20scan_config_selectorIiEEZZNS1_9scan_implILNS1_25lookback_scan_determinismE0ELb1ELb1ES3_N6thrust23THRUST_200600_302600_NS6detail15normal_iteratorINS9_10device_ptrIiEEEENS9_16discard_iteratorINS9_11use_defaultEEEi11max_functorIiEiEEDaPvRmT3_T4_T5_mT6_P12ihipStream_tbENKUlT_T0_E_clISt17integral_constantIbLb1EESW_IbLb0EEEEDaSS_ST_EUlSS_E_NS1_11comp_targetILNS1_3genE3ELNS1_11target_archE908ELNS1_3gpuE7ELNS1_3repE0EEENS1_30default_config_static_selectorELNS0_4arch9wavefront6targetE1EEEvT1_,comdat
.Lfunc_end3965:
	.size	_ZN7rocprim17ROCPRIM_400000_NS6detail17trampoline_kernelINS0_14default_configENS1_20scan_config_selectorIiEEZZNS1_9scan_implILNS1_25lookback_scan_determinismE0ELb1ELb1ES3_N6thrust23THRUST_200600_302600_NS6detail15normal_iteratorINS9_10device_ptrIiEEEENS9_16discard_iteratorINS9_11use_defaultEEEi11max_functorIiEiEEDaPvRmT3_T4_T5_mT6_P12ihipStream_tbENKUlT_T0_E_clISt17integral_constantIbLb1EESW_IbLb0EEEEDaSS_ST_EUlSS_E_NS1_11comp_targetILNS1_3genE3ELNS1_11target_archE908ELNS1_3gpuE7ELNS1_3repE0EEENS1_30default_config_static_selectorELNS0_4arch9wavefront6targetE1EEEvT1_, .Lfunc_end3965-_ZN7rocprim17ROCPRIM_400000_NS6detail17trampoline_kernelINS0_14default_configENS1_20scan_config_selectorIiEEZZNS1_9scan_implILNS1_25lookback_scan_determinismE0ELb1ELb1ES3_N6thrust23THRUST_200600_302600_NS6detail15normal_iteratorINS9_10device_ptrIiEEEENS9_16discard_iteratorINS9_11use_defaultEEEi11max_functorIiEiEEDaPvRmT3_T4_T5_mT6_P12ihipStream_tbENKUlT_T0_E_clISt17integral_constantIbLb1EESW_IbLb0EEEEDaSS_ST_EUlSS_E_NS1_11comp_targetILNS1_3genE3ELNS1_11target_archE908ELNS1_3gpuE7ELNS1_3repE0EEENS1_30default_config_static_selectorELNS0_4arch9wavefront6targetE1EEEvT1_
                                        ; -- End function
	.section	.AMDGPU.csdata,"",@progbits
; Kernel info:
; codeLenInByte = 0
; NumSgprs: 4
; NumVgprs: 0
; NumAgprs: 0
; TotalNumVgprs: 0
; ScratchSize: 0
; MemoryBound: 0
; FloatMode: 240
; IeeeMode: 1
; LDSByteSize: 0 bytes/workgroup (compile time only)
; SGPRBlocks: 0
; VGPRBlocks: 0
; NumSGPRsForWavesPerEU: 4
; NumVGPRsForWavesPerEU: 1
; AccumOffset: 4
; Occupancy: 8
; WaveLimiterHint : 0
; COMPUTE_PGM_RSRC2:SCRATCH_EN: 0
; COMPUTE_PGM_RSRC2:USER_SGPR: 6
; COMPUTE_PGM_RSRC2:TRAP_HANDLER: 0
; COMPUTE_PGM_RSRC2:TGID_X_EN: 1
; COMPUTE_PGM_RSRC2:TGID_Y_EN: 0
; COMPUTE_PGM_RSRC2:TGID_Z_EN: 0
; COMPUTE_PGM_RSRC2:TIDIG_COMP_CNT: 0
; COMPUTE_PGM_RSRC3_GFX90A:ACCUM_OFFSET: 0
; COMPUTE_PGM_RSRC3_GFX90A:TG_SPLIT: 0
	.section	.text._ZN7rocprim17ROCPRIM_400000_NS6detail17trampoline_kernelINS0_14default_configENS1_20scan_config_selectorIiEEZZNS1_9scan_implILNS1_25lookback_scan_determinismE0ELb1ELb1ES3_N6thrust23THRUST_200600_302600_NS6detail15normal_iteratorINS9_10device_ptrIiEEEENS9_16discard_iteratorINS9_11use_defaultEEEi11max_functorIiEiEEDaPvRmT3_T4_T5_mT6_P12ihipStream_tbENKUlT_T0_E_clISt17integral_constantIbLb1EESW_IbLb0EEEEDaSS_ST_EUlSS_E_NS1_11comp_targetILNS1_3genE2ELNS1_11target_archE906ELNS1_3gpuE6ELNS1_3repE0EEENS1_30default_config_static_selectorELNS0_4arch9wavefront6targetE1EEEvT1_,"axG",@progbits,_ZN7rocprim17ROCPRIM_400000_NS6detail17trampoline_kernelINS0_14default_configENS1_20scan_config_selectorIiEEZZNS1_9scan_implILNS1_25lookback_scan_determinismE0ELb1ELb1ES3_N6thrust23THRUST_200600_302600_NS6detail15normal_iteratorINS9_10device_ptrIiEEEENS9_16discard_iteratorINS9_11use_defaultEEEi11max_functorIiEiEEDaPvRmT3_T4_T5_mT6_P12ihipStream_tbENKUlT_T0_E_clISt17integral_constantIbLb1EESW_IbLb0EEEEDaSS_ST_EUlSS_E_NS1_11comp_targetILNS1_3genE2ELNS1_11target_archE906ELNS1_3gpuE6ELNS1_3repE0EEENS1_30default_config_static_selectorELNS0_4arch9wavefront6targetE1EEEvT1_,comdat
	.protected	_ZN7rocprim17ROCPRIM_400000_NS6detail17trampoline_kernelINS0_14default_configENS1_20scan_config_selectorIiEEZZNS1_9scan_implILNS1_25lookback_scan_determinismE0ELb1ELb1ES3_N6thrust23THRUST_200600_302600_NS6detail15normal_iteratorINS9_10device_ptrIiEEEENS9_16discard_iteratorINS9_11use_defaultEEEi11max_functorIiEiEEDaPvRmT3_T4_T5_mT6_P12ihipStream_tbENKUlT_T0_E_clISt17integral_constantIbLb1EESW_IbLb0EEEEDaSS_ST_EUlSS_E_NS1_11comp_targetILNS1_3genE2ELNS1_11target_archE906ELNS1_3gpuE6ELNS1_3repE0EEENS1_30default_config_static_selectorELNS0_4arch9wavefront6targetE1EEEvT1_ ; -- Begin function _ZN7rocprim17ROCPRIM_400000_NS6detail17trampoline_kernelINS0_14default_configENS1_20scan_config_selectorIiEEZZNS1_9scan_implILNS1_25lookback_scan_determinismE0ELb1ELb1ES3_N6thrust23THRUST_200600_302600_NS6detail15normal_iteratorINS9_10device_ptrIiEEEENS9_16discard_iteratorINS9_11use_defaultEEEi11max_functorIiEiEEDaPvRmT3_T4_T5_mT6_P12ihipStream_tbENKUlT_T0_E_clISt17integral_constantIbLb1EESW_IbLb0EEEEDaSS_ST_EUlSS_E_NS1_11comp_targetILNS1_3genE2ELNS1_11target_archE906ELNS1_3gpuE6ELNS1_3repE0EEENS1_30default_config_static_selectorELNS0_4arch9wavefront6targetE1EEEvT1_
	.globl	_ZN7rocprim17ROCPRIM_400000_NS6detail17trampoline_kernelINS0_14default_configENS1_20scan_config_selectorIiEEZZNS1_9scan_implILNS1_25lookback_scan_determinismE0ELb1ELb1ES3_N6thrust23THRUST_200600_302600_NS6detail15normal_iteratorINS9_10device_ptrIiEEEENS9_16discard_iteratorINS9_11use_defaultEEEi11max_functorIiEiEEDaPvRmT3_T4_T5_mT6_P12ihipStream_tbENKUlT_T0_E_clISt17integral_constantIbLb1EESW_IbLb0EEEEDaSS_ST_EUlSS_E_NS1_11comp_targetILNS1_3genE2ELNS1_11target_archE906ELNS1_3gpuE6ELNS1_3repE0EEENS1_30default_config_static_selectorELNS0_4arch9wavefront6targetE1EEEvT1_
	.p2align	8
	.type	_ZN7rocprim17ROCPRIM_400000_NS6detail17trampoline_kernelINS0_14default_configENS1_20scan_config_selectorIiEEZZNS1_9scan_implILNS1_25lookback_scan_determinismE0ELb1ELb1ES3_N6thrust23THRUST_200600_302600_NS6detail15normal_iteratorINS9_10device_ptrIiEEEENS9_16discard_iteratorINS9_11use_defaultEEEi11max_functorIiEiEEDaPvRmT3_T4_T5_mT6_P12ihipStream_tbENKUlT_T0_E_clISt17integral_constantIbLb1EESW_IbLb0EEEEDaSS_ST_EUlSS_E_NS1_11comp_targetILNS1_3genE2ELNS1_11target_archE906ELNS1_3gpuE6ELNS1_3repE0EEENS1_30default_config_static_selectorELNS0_4arch9wavefront6targetE1EEEvT1_,@function
_ZN7rocprim17ROCPRIM_400000_NS6detail17trampoline_kernelINS0_14default_configENS1_20scan_config_selectorIiEEZZNS1_9scan_implILNS1_25lookback_scan_determinismE0ELb1ELb1ES3_N6thrust23THRUST_200600_302600_NS6detail15normal_iteratorINS9_10device_ptrIiEEEENS9_16discard_iteratorINS9_11use_defaultEEEi11max_functorIiEiEEDaPvRmT3_T4_T5_mT6_P12ihipStream_tbENKUlT_T0_E_clISt17integral_constantIbLb1EESW_IbLb0EEEEDaSS_ST_EUlSS_E_NS1_11comp_targetILNS1_3genE2ELNS1_11target_archE906ELNS1_3gpuE6ELNS1_3repE0EEENS1_30default_config_static_selectorELNS0_4arch9wavefront6targetE1EEEvT1_: ; @_ZN7rocprim17ROCPRIM_400000_NS6detail17trampoline_kernelINS0_14default_configENS1_20scan_config_selectorIiEEZZNS1_9scan_implILNS1_25lookback_scan_determinismE0ELb1ELb1ES3_N6thrust23THRUST_200600_302600_NS6detail15normal_iteratorINS9_10device_ptrIiEEEENS9_16discard_iteratorINS9_11use_defaultEEEi11max_functorIiEiEEDaPvRmT3_T4_T5_mT6_P12ihipStream_tbENKUlT_T0_E_clISt17integral_constantIbLb1EESW_IbLb0EEEEDaSS_ST_EUlSS_E_NS1_11comp_targetILNS1_3genE2ELNS1_11target_archE906ELNS1_3gpuE6ELNS1_3repE0EEENS1_30default_config_static_selectorELNS0_4arch9wavefront6targetE1EEEvT1_
; %bb.0:
	.section	.rodata,"a",@progbits
	.p2align	6, 0x0
	.amdhsa_kernel _ZN7rocprim17ROCPRIM_400000_NS6detail17trampoline_kernelINS0_14default_configENS1_20scan_config_selectorIiEEZZNS1_9scan_implILNS1_25lookback_scan_determinismE0ELb1ELb1ES3_N6thrust23THRUST_200600_302600_NS6detail15normal_iteratorINS9_10device_ptrIiEEEENS9_16discard_iteratorINS9_11use_defaultEEEi11max_functorIiEiEEDaPvRmT3_T4_T5_mT6_P12ihipStream_tbENKUlT_T0_E_clISt17integral_constantIbLb1EESW_IbLb0EEEEDaSS_ST_EUlSS_E_NS1_11comp_targetILNS1_3genE2ELNS1_11target_archE906ELNS1_3gpuE6ELNS1_3repE0EEENS1_30default_config_static_selectorELNS0_4arch9wavefront6targetE1EEEvT1_
		.amdhsa_group_segment_fixed_size 0
		.amdhsa_private_segment_fixed_size 0
		.amdhsa_kernarg_size 104
		.amdhsa_user_sgpr_count 6
		.amdhsa_user_sgpr_private_segment_buffer 1
		.amdhsa_user_sgpr_dispatch_ptr 0
		.amdhsa_user_sgpr_queue_ptr 0
		.amdhsa_user_sgpr_kernarg_segment_ptr 1
		.amdhsa_user_sgpr_dispatch_id 0
		.amdhsa_user_sgpr_flat_scratch_init 0
		.amdhsa_user_sgpr_kernarg_preload_length 0
		.amdhsa_user_sgpr_kernarg_preload_offset 0
		.amdhsa_user_sgpr_private_segment_size 0
		.amdhsa_uses_dynamic_stack 0
		.amdhsa_system_sgpr_private_segment_wavefront_offset 0
		.amdhsa_system_sgpr_workgroup_id_x 1
		.amdhsa_system_sgpr_workgroup_id_y 0
		.amdhsa_system_sgpr_workgroup_id_z 0
		.amdhsa_system_sgpr_workgroup_info 0
		.amdhsa_system_vgpr_workitem_id 0
		.amdhsa_next_free_vgpr 1
		.amdhsa_next_free_sgpr 0
		.amdhsa_accum_offset 4
		.amdhsa_reserve_vcc 0
		.amdhsa_reserve_flat_scratch 0
		.amdhsa_float_round_mode_32 0
		.amdhsa_float_round_mode_16_64 0
		.amdhsa_float_denorm_mode_32 3
		.amdhsa_float_denorm_mode_16_64 3
		.amdhsa_dx10_clamp 1
		.amdhsa_ieee_mode 1
		.amdhsa_fp16_overflow 0
		.amdhsa_tg_split 0
		.amdhsa_exception_fp_ieee_invalid_op 0
		.amdhsa_exception_fp_denorm_src 0
		.amdhsa_exception_fp_ieee_div_zero 0
		.amdhsa_exception_fp_ieee_overflow 0
		.amdhsa_exception_fp_ieee_underflow 0
		.amdhsa_exception_fp_ieee_inexact 0
		.amdhsa_exception_int_div_zero 0
	.end_amdhsa_kernel
	.section	.text._ZN7rocprim17ROCPRIM_400000_NS6detail17trampoline_kernelINS0_14default_configENS1_20scan_config_selectorIiEEZZNS1_9scan_implILNS1_25lookback_scan_determinismE0ELb1ELb1ES3_N6thrust23THRUST_200600_302600_NS6detail15normal_iteratorINS9_10device_ptrIiEEEENS9_16discard_iteratorINS9_11use_defaultEEEi11max_functorIiEiEEDaPvRmT3_T4_T5_mT6_P12ihipStream_tbENKUlT_T0_E_clISt17integral_constantIbLb1EESW_IbLb0EEEEDaSS_ST_EUlSS_E_NS1_11comp_targetILNS1_3genE2ELNS1_11target_archE906ELNS1_3gpuE6ELNS1_3repE0EEENS1_30default_config_static_selectorELNS0_4arch9wavefront6targetE1EEEvT1_,"axG",@progbits,_ZN7rocprim17ROCPRIM_400000_NS6detail17trampoline_kernelINS0_14default_configENS1_20scan_config_selectorIiEEZZNS1_9scan_implILNS1_25lookback_scan_determinismE0ELb1ELb1ES3_N6thrust23THRUST_200600_302600_NS6detail15normal_iteratorINS9_10device_ptrIiEEEENS9_16discard_iteratorINS9_11use_defaultEEEi11max_functorIiEiEEDaPvRmT3_T4_T5_mT6_P12ihipStream_tbENKUlT_T0_E_clISt17integral_constantIbLb1EESW_IbLb0EEEEDaSS_ST_EUlSS_E_NS1_11comp_targetILNS1_3genE2ELNS1_11target_archE906ELNS1_3gpuE6ELNS1_3repE0EEENS1_30default_config_static_selectorELNS0_4arch9wavefront6targetE1EEEvT1_,comdat
.Lfunc_end3966:
	.size	_ZN7rocprim17ROCPRIM_400000_NS6detail17trampoline_kernelINS0_14default_configENS1_20scan_config_selectorIiEEZZNS1_9scan_implILNS1_25lookback_scan_determinismE0ELb1ELb1ES3_N6thrust23THRUST_200600_302600_NS6detail15normal_iteratorINS9_10device_ptrIiEEEENS9_16discard_iteratorINS9_11use_defaultEEEi11max_functorIiEiEEDaPvRmT3_T4_T5_mT6_P12ihipStream_tbENKUlT_T0_E_clISt17integral_constantIbLb1EESW_IbLb0EEEEDaSS_ST_EUlSS_E_NS1_11comp_targetILNS1_3genE2ELNS1_11target_archE906ELNS1_3gpuE6ELNS1_3repE0EEENS1_30default_config_static_selectorELNS0_4arch9wavefront6targetE1EEEvT1_, .Lfunc_end3966-_ZN7rocprim17ROCPRIM_400000_NS6detail17trampoline_kernelINS0_14default_configENS1_20scan_config_selectorIiEEZZNS1_9scan_implILNS1_25lookback_scan_determinismE0ELb1ELb1ES3_N6thrust23THRUST_200600_302600_NS6detail15normal_iteratorINS9_10device_ptrIiEEEENS9_16discard_iteratorINS9_11use_defaultEEEi11max_functorIiEiEEDaPvRmT3_T4_T5_mT6_P12ihipStream_tbENKUlT_T0_E_clISt17integral_constantIbLb1EESW_IbLb0EEEEDaSS_ST_EUlSS_E_NS1_11comp_targetILNS1_3genE2ELNS1_11target_archE906ELNS1_3gpuE6ELNS1_3repE0EEENS1_30default_config_static_selectorELNS0_4arch9wavefront6targetE1EEEvT1_
                                        ; -- End function
	.section	.AMDGPU.csdata,"",@progbits
; Kernel info:
; codeLenInByte = 0
; NumSgprs: 4
; NumVgprs: 0
; NumAgprs: 0
; TotalNumVgprs: 0
; ScratchSize: 0
; MemoryBound: 0
; FloatMode: 240
; IeeeMode: 1
; LDSByteSize: 0 bytes/workgroup (compile time only)
; SGPRBlocks: 0
; VGPRBlocks: 0
; NumSGPRsForWavesPerEU: 4
; NumVGPRsForWavesPerEU: 1
; AccumOffset: 4
; Occupancy: 8
; WaveLimiterHint : 0
; COMPUTE_PGM_RSRC2:SCRATCH_EN: 0
; COMPUTE_PGM_RSRC2:USER_SGPR: 6
; COMPUTE_PGM_RSRC2:TRAP_HANDLER: 0
; COMPUTE_PGM_RSRC2:TGID_X_EN: 1
; COMPUTE_PGM_RSRC2:TGID_Y_EN: 0
; COMPUTE_PGM_RSRC2:TGID_Z_EN: 0
; COMPUTE_PGM_RSRC2:TIDIG_COMP_CNT: 0
; COMPUTE_PGM_RSRC3_GFX90A:ACCUM_OFFSET: 0
; COMPUTE_PGM_RSRC3_GFX90A:TG_SPLIT: 0
	.section	.text._ZN7rocprim17ROCPRIM_400000_NS6detail17trampoline_kernelINS0_14default_configENS1_20scan_config_selectorIiEEZZNS1_9scan_implILNS1_25lookback_scan_determinismE0ELb1ELb1ES3_N6thrust23THRUST_200600_302600_NS6detail15normal_iteratorINS9_10device_ptrIiEEEENS9_16discard_iteratorINS9_11use_defaultEEEi11max_functorIiEiEEDaPvRmT3_T4_T5_mT6_P12ihipStream_tbENKUlT_T0_E_clISt17integral_constantIbLb1EESW_IbLb0EEEEDaSS_ST_EUlSS_E_NS1_11comp_targetILNS1_3genE10ELNS1_11target_archE1201ELNS1_3gpuE5ELNS1_3repE0EEENS1_30default_config_static_selectorELNS0_4arch9wavefront6targetE1EEEvT1_,"axG",@progbits,_ZN7rocprim17ROCPRIM_400000_NS6detail17trampoline_kernelINS0_14default_configENS1_20scan_config_selectorIiEEZZNS1_9scan_implILNS1_25lookback_scan_determinismE0ELb1ELb1ES3_N6thrust23THRUST_200600_302600_NS6detail15normal_iteratorINS9_10device_ptrIiEEEENS9_16discard_iteratorINS9_11use_defaultEEEi11max_functorIiEiEEDaPvRmT3_T4_T5_mT6_P12ihipStream_tbENKUlT_T0_E_clISt17integral_constantIbLb1EESW_IbLb0EEEEDaSS_ST_EUlSS_E_NS1_11comp_targetILNS1_3genE10ELNS1_11target_archE1201ELNS1_3gpuE5ELNS1_3repE0EEENS1_30default_config_static_selectorELNS0_4arch9wavefront6targetE1EEEvT1_,comdat
	.protected	_ZN7rocprim17ROCPRIM_400000_NS6detail17trampoline_kernelINS0_14default_configENS1_20scan_config_selectorIiEEZZNS1_9scan_implILNS1_25lookback_scan_determinismE0ELb1ELb1ES3_N6thrust23THRUST_200600_302600_NS6detail15normal_iteratorINS9_10device_ptrIiEEEENS9_16discard_iteratorINS9_11use_defaultEEEi11max_functorIiEiEEDaPvRmT3_T4_T5_mT6_P12ihipStream_tbENKUlT_T0_E_clISt17integral_constantIbLb1EESW_IbLb0EEEEDaSS_ST_EUlSS_E_NS1_11comp_targetILNS1_3genE10ELNS1_11target_archE1201ELNS1_3gpuE5ELNS1_3repE0EEENS1_30default_config_static_selectorELNS0_4arch9wavefront6targetE1EEEvT1_ ; -- Begin function _ZN7rocprim17ROCPRIM_400000_NS6detail17trampoline_kernelINS0_14default_configENS1_20scan_config_selectorIiEEZZNS1_9scan_implILNS1_25lookback_scan_determinismE0ELb1ELb1ES3_N6thrust23THRUST_200600_302600_NS6detail15normal_iteratorINS9_10device_ptrIiEEEENS9_16discard_iteratorINS9_11use_defaultEEEi11max_functorIiEiEEDaPvRmT3_T4_T5_mT6_P12ihipStream_tbENKUlT_T0_E_clISt17integral_constantIbLb1EESW_IbLb0EEEEDaSS_ST_EUlSS_E_NS1_11comp_targetILNS1_3genE10ELNS1_11target_archE1201ELNS1_3gpuE5ELNS1_3repE0EEENS1_30default_config_static_selectorELNS0_4arch9wavefront6targetE1EEEvT1_
	.globl	_ZN7rocprim17ROCPRIM_400000_NS6detail17trampoline_kernelINS0_14default_configENS1_20scan_config_selectorIiEEZZNS1_9scan_implILNS1_25lookback_scan_determinismE0ELb1ELb1ES3_N6thrust23THRUST_200600_302600_NS6detail15normal_iteratorINS9_10device_ptrIiEEEENS9_16discard_iteratorINS9_11use_defaultEEEi11max_functorIiEiEEDaPvRmT3_T4_T5_mT6_P12ihipStream_tbENKUlT_T0_E_clISt17integral_constantIbLb1EESW_IbLb0EEEEDaSS_ST_EUlSS_E_NS1_11comp_targetILNS1_3genE10ELNS1_11target_archE1201ELNS1_3gpuE5ELNS1_3repE0EEENS1_30default_config_static_selectorELNS0_4arch9wavefront6targetE1EEEvT1_
	.p2align	8
	.type	_ZN7rocprim17ROCPRIM_400000_NS6detail17trampoline_kernelINS0_14default_configENS1_20scan_config_selectorIiEEZZNS1_9scan_implILNS1_25lookback_scan_determinismE0ELb1ELb1ES3_N6thrust23THRUST_200600_302600_NS6detail15normal_iteratorINS9_10device_ptrIiEEEENS9_16discard_iteratorINS9_11use_defaultEEEi11max_functorIiEiEEDaPvRmT3_T4_T5_mT6_P12ihipStream_tbENKUlT_T0_E_clISt17integral_constantIbLb1EESW_IbLb0EEEEDaSS_ST_EUlSS_E_NS1_11comp_targetILNS1_3genE10ELNS1_11target_archE1201ELNS1_3gpuE5ELNS1_3repE0EEENS1_30default_config_static_selectorELNS0_4arch9wavefront6targetE1EEEvT1_,@function
_ZN7rocprim17ROCPRIM_400000_NS6detail17trampoline_kernelINS0_14default_configENS1_20scan_config_selectorIiEEZZNS1_9scan_implILNS1_25lookback_scan_determinismE0ELb1ELb1ES3_N6thrust23THRUST_200600_302600_NS6detail15normal_iteratorINS9_10device_ptrIiEEEENS9_16discard_iteratorINS9_11use_defaultEEEi11max_functorIiEiEEDaPvRmT3_T4_T5_mT6_P12ihipStream_tbENKUlT_T0_E_clISt17integral_constantIbLb1EESW_IbLb0EEEEDaSS_ST_EUlSS_E_NS1_11comp_targetILNS1_3genE10ELNS1_11target_archE1201ELNS1_3gpuE5ELNS1_3repE0EEENS1_30default_config_static_selectorELNS0_4arch9wavefront6targetE1EEEvT1_: ; @_ZN7rocprim17ROCPRIM_400000_NS6detail17trampoline_kernelINS0_14default_configENS1_20scan_config_selectorIiEEZZNS1_9scan_implILNS1_25lookback_scan_determinismE0ELb1ELb1ES3_N6thrust23THRUST_200600_302600_NS6detail15normal_iteratorINS9_10device_ptrIiEEEENS9_16discard_iteratorINS9_11use_defaultEEEi11max_functorIiEiEEDaPvRmT3_T4_T5_mT6_P12ihipStream_tbENKUlT_T0_E_clISt17integral_constantIbLb1EESW_IbLb0EEEEDaSS_ST_EUlSS_E_NS1_11comp_targetILNS1_3genE10ELNS1_11target_archE1201ELNS1_3gpuE5ELNS1_3repE0EEENS1_30default_config_static_selectorELNS0_4arch9wavefront6targetE1EEEvT1_
; %bb.0:
	.section	.rodata,"a",@progbits
	.p2align	6, 0x0
	.amdhsa_kernel _ZN7rocprim17ROCPRIM_400000_NS6detail17trampoline_kernelINS0_14default_configENS1_20scan_config_selectorIiEEZZNS1_9scan_implILNS1_25lookback_scan_determinismE0ELb1ELb1ES3_N6thrust23THRUST_200600_302600_NS6detail15normal_iteratorINS9_10device_ptrIiEEEENS9_16discard_iteratorINS9_11use_defaultEEEi11max_functorIiEiEEDaPvRmT3_T4_T5_mT6_P12ihipStream_tbENKUlT_T0_E_clISt17integral_constantIbLb1EESW_IbLb0EEEEDaSS_ST_EUlSS_E_NS1_11comp_targetILNS1_3genE10ELNS1_11target_archE1201ELNS1_3gpuE5ELNS1_3repE0EEENS1_30default_config_static_selectorELNS0_4arch9wavefront6targetE1EEEvT1_
		.amdhsa_group_segment_fixed_size 0
		.amdhsa_private_segment_fixed_size 0
		.amdhsa_kernarg_size 104
		.amdhsa_user_sgpr_count 6
		.amdhsa_user_sgpr_private_segment_buffer 1
		.amdhsa_user_sgpr_dispatch_ptr 0
		.amdhsa_user_sgpr_queue_ptr 0
		.amdhsa_user_sgpr_kernarg_segment_ptr 1
		.amdhsa_user_sgpr_dispatch_id 0
		.amdhsa_user_sgpr_flat_scratch_init 0
		.amdhsa_user_sgpr_kernarg_preload_length 0
		.amdhsa_user_sgpr_kernarg_preload_offset 0
		.amdhsa_user_sgpr_private_segment_size 0
		.amdhsa_uses_dynamic_stack 0
		.amdhsa_system_sgpr_private_segment_wavefront_offset 0
		.amdhsa_system_sgpr_workgroup_id_x 1
		.amdhsa_system_sgpr_workgroup_id_y 0
		.amdhsa_system_sgpr_workgroup_id_z 0
		.amdhsa_system_sgpr_workgroup_info 0
		.amdhsa_system_vgpr_workitem_id 0
		.amdhsa_next_free_vgpr 1
		.amdhsa_next_free_sgpr 0
		.amdhsa_accum_offset 4
		.amdhsa_reserve_vcc 0
		.amdhsa_reserve_flat_scratch 0
		.amdhsa_float_round_mode_32 0
		.amdhsa_float_round_mode_16_64 0
		.amdhsa_float_denorm_mode_32 3
		.amdhsa_float_denorm_mode_16_64 3
		.amdhsa_dx10_clamp 1
		.amdhsa_ieee_mode 1
		.amdhsa_fp16_overflow 0
		.amdhsa_tg_split 0
		.amdhsa_exception_fp_ieee_invalid_op 0
		.amdhsa_exception_fp_denorm_src 0
		.amdhsa_exception_fp_ieee_div_zero 0
		.amdhsa_exception_fp_ieee_overflow 0
		.amdhsa_exception_fp_ieee_underflow 0
		.amdhsa_exception_fp_ieee_inexact 0
		.amdhsa_exception_int_div_zero 0
	.end_amdhsa_kernel
	.section	.text._ZN7rocprim17ROCPRIM_400000_NS6detail17trampoline_kernelINS0_14default_configENS1_20scan_config_selectorIiEEZZNS1_9scan_implILNS1_25lookback_scan_determinismE0ELb1ELb1ES3_N6thrust23THRUST_200600_302600_NS6detail15normal_iteratorINS9_10device_ptrIiEEEENS9_16discard_iteratorINS9_11use_defaultEEEi11max_functorIiEiEEDaPvRmT3_T4_T5_mT6_P12ihipStream_tbENKUlT_T0_E_clISt17integral_constantIbLb1EESW_IbLb0EEEEDaSS_ST_EUlSS_E_NS1_11comp_targetILNS1_3genE10ELNS1_11target_archE1201ELNS1_3gpuE5ELNS1_3repE0EEENS1_30default_config_static_selectorELNS0_4arch9wavefront6targetE1EEEvT1_,"axG",@progbits,_ZN7rocprim17ROCPRIM_400000_NS6detail17trampoline_kernelINS0_14default_configENS1_20scan_config_selectorIiEEZZNS1_9scan_implILNS1_25lookback_scan_determinismE0ELb1ELb1ES3_N6thrust23THRUST_200600_302600_NS6detail15normal_iteratorINS9_10device_ptrIiEEEENS9_16discard_iteratorINS9_11use_defaultEEEi11max_functorIiEiEEDaPvRmT3_T4_T5_mT6_P12ihipStream_tbENKUlT_T0_E_clISt17integral_constantIbLb1EESW_IbLb0EEEEDaSS_ST_EUlSS_E_NS1_11comp_targetILNS1_3genE10ELNS1_11target_archE1201ELNS1_3gpuE5ELNS1_3repE0EEENS1_30default_config_static_selectorELNS0_4arch9wavefront6targetE1EEEvT1_,comdat
.Lfunc_end3967:
	.size	_ZN7rocprim17ROCPRIM_400000_NS6detail17trampoline_kernelINS0_14default_configENS1_20scan_config_selectorIiEEZZNS1_9scan_implILNS1_25lookback_scan_determinismE0ELb1ELb1ES3_N6thrust23THRUST_200600_302600_NS6detail15normal_iteratorINS9_10device_ptrIiEEEENS9_16discard_iteratorINS9_11use_defaultEEEi11max_functorIiEiEEDaPvRmT3_T4_T5_mT6_P12ihipStream_tbENKUlT_T0_E_clISt17integral_constantIbLb1EESW_IbLb0EEEEDaSS_ST_EUlSS_E_NS1_11comp_targetILNS1_3genE10ELNS1_11target_archE1201ELNS1_3gpuE5ELNS1_3repE0EEENS1_30default_config_static_selectorELNS0_4arch9wavefront6targetE1EEEvT1_, .Lfunc_end3967-_ZN7rocprim17ROCPRIM_400000_NS6detail17trampoline_kernelINS0_14default_configENS1_20scan_config_selectorIiEEZZNS1_9scan_implILNS1_25lookback_scan_determinismE0ELb1ELb1ES3_N6thrust23THRUST_200600_302600_NS6detail15normal_iteratorINS9_10device_ptrIiEEEENS9_16discard_iteratorINS9_11use_defaultEEEi11max_functorIiEiEEDaPvRmT3_T4_T5_mT6_P12ihipStream_tbENKUlT_T0_E_clISt17integral_constantIbLb1EESW_IbLb0EEEEDaSS_ST_EUlSS_E_NS1_11comp_targetILNS1_3genE10ELNS1_11target_archE1201ELNS1_3gpuE5ELNS1_3repE0EEENS1_30default_config_static_selectorELNS0_4arch9wavefront6targetE1EEEvT1_
                                        ; -- End function
	.section	.AMDGPU.csdata,"",@progbits
; Kernel info:
; codeLenInByte = 0
; NumSgprs: 4
; NumVgprs: 0
; NumAgprs: 0
; TotalNumVgprs: 0
; ScratchSize: 0
; MemoryBound: 0
; FloatMode: 240
; IeeeMode: 1
; LDSByteSize: 0 bytes/workgroup (compile time only)
; SGPRBlocks: 0
; VGPRBlocks: 0
; NumSGPRsForWavesPerEU: 4
; NumVGPRsForWavesPerEU: 1
; AccumOffset: 4
; Occupancy: 8
; WaveLimiterHint : 0
; COMPUTE_PGM_RSRC2:SCRATCH_EN: 0
; COMPUTE_PGM_RSRC2:USER_SGPR: 6
; COMPUTE_PGM_RSRC2:TRAP_HANDLER: 0
; COMPUTE_PGM_RSRC2:TGID_X_EN: 1
; COMPUTE_PGM_RSRC2:TGID_Y_EN: 0
; COMPUTE_PGM_RSRC2:TGID_Z_EN: 0
; COMPUTE_PGM_RSRC2:TIDIG_COMP_CNT: 0
; COMPUTE_PGM_RSRC3_GFX90A:ACCUM_OFFSET: 0
; COMPUTE_PGM_RSRC3_GFX90A:TG_SPLIT: 0
	.section	.text._ZN7rocprim17ROCPRIM_400000_NS6detail17trampoline_kernelINS0_14default_configENS1_20scan_config_selectorIiEEZZNS1_9scan_implILNS1_25lookback_scan_determinismE0ELb1ELb1ES3_N6thrust23THRUST_200600_302600_NS6detail15normal_iteratorINS9_10device_ptrIiEEEENS9_16discard_iteratorINS9_11use_defaultEEEi11max_functorIiEiEEDaPvRmT3_T4_T5_mT6_P12ihipStream_tbENKUlT_T0_E_clISt17integral_constantIbLb1EESW_IbLb0EEEEDaSS_ST_EUlSS_E_NS1_11comp_targetILNS1_3genE10ELNS1_11target_archE1200ELNS1_3gpuE4ELNS1_3repE0EEENS1_30default_config_static_selectorELNS0_4arch9wavefront6targetE1EEEvT1_,"axG",@progbits,_ZN7rocprim17ROCPRIM_400000_NS6detail17trampoline_kernelINS0_14default_configENS1_20scan_config_selectorIiEEZZNS1_9scan_implILNS1_25lookback_scan_determinismE0ELb1ELb1ES3_N6thrust23THRUST_200600_302600_NS6detail15normal_iteratorINS9_10device_ptrIiEEEENS9_16discard_iteratorINS9_11use_defaultEEEi11max_functorIiEiEEDaPvRmT3_T4_T5_mT6_P12ihipStream_tbENKUlT_T0_E_clISt17integral_constantIbLb1EESW_IbLb0EEEEDaSS_ST_EUlSS_E_NS1_11comp_targetILNS1_3genE10ELNS1_11target_archE1200ELNS1_3gpuE4ELNS1_3repE0EEENS1_30default_config_static_selectorELNS0_4arch9wavefront6targetE1EEEvT1_,comdat
	.protected	_ZN7rocprim17ROCPRIM_400000_NS6detail17trampoline_kernelINS0_14default_configENS1_20scan_config_selectorIiEEZZNS1_9scan_implILNS1_25lookback_scan_determinismE0ELb1ELb1ES3_N6thrust23THRUST_200600_302600_NS6detail15normal_iteratorINS9_10device_ptrIiEEEENS9_16discard_iteratorINS9_11use_defaultEEEi11max_functorIiEiEEDaPvRmT3_T4_T5_mT6_P12ihipStream_tbENKUlT_T0_E_clISt17integral_constantIbLb1EESW_IbLb0EEEEDaSS_ST_EUlSS_E_NS1_11comp_targetILNS1_3genE10ELNS1_11target_archE1200ELNS1_3gpuE4ELNS1_3repE0EEENS1_30default_config_static_selectorELNS0_4arch9wavefront6targetE1EEEvT1_ ; -- Begin function _ZN7rocprim17ROCPRIM_400000_NS6detail17trampoline_kernelINS0_14default_configENS1_20scan_config_selectorIiEEZZNS1_9scan_implILNS1_25lookback_scan_determinismE0ELb1ELb1ES3_N6thrust23THRUST_200600_302600_NS6detail15normal_iteratorINS9_10device_ptrIiEEEENS9_16discard_iteratorINS9_11use_defaultEEEi11max_functorIiEiEEDaPvRmT3_T4_T5_mT6_P12ihipStream_tbENKUlT_T0_E_clISt17integral_constantIbLb1EESW_IbLb0EEEEDaSS_ST_EUlSS_E_NS1_11comp_targetILNS1_3genE10ELNS1_11target_archE1200ELNS1_3gpuE4ELNS1_3repE0EEENS1_30default_config_static_selectorELNS0_4arch9wavefront6targetE1EEEvT1_
	.globl	_ZN7rocprim17ROCPRIM_400000_NS6detail17trampoline_kernelINS0_14default_configENS1_20scan_config_selectorIiEEZZNS1_9scan_implILNS1_25lookback_scan_determinismE0ELb1ELb1ES3_N6thrust23THRUST_200600_302600_NS6detail15normal_iteratorINS9_10device_ptrIiEEEENS9_16discard_iteratorINS9_11use_defaultEEEi11max_functorIiEiEEDaPvRmT3_T4_T5_mT6_P12ihipStream_tbENKUlT_T0_E_clISt17integral_constantIbLb1EESW_IbLb0EEEEDaSS_ST_EUlSS_E_NS1_11comp_targetILNS1_3genE10ELNS1_11target_archE1200ELNS1_3gpuE4ELNS1_3repE0EEENS1_30default_config_static_selectorELNS0_4arch9wavefront6targetE1EEEvT1_
	.p2align	8
	.type	_ZN7rocprim17ROCPRIM_400000_NS6detail17trampoline_kernelINS0_14default_configENS1_20scan_config_selectorIiEEZZNS1_9scan_implILNS1_25lookback_scan_determinismE0ELb1ELb1ES3_N6thrust23THRUST_200600_302600_NS6detail15normal_iteratorINS9_10device_ptrIiEEEENS9_16discard_iteratorINS9_11use_defaultEEEi11max_functorIiEiEEDaPvRmT3_T4_T5_mT6_P12ihipStream_tbENKUlT_T0_E_clISt17integral_constantIbLb1EESW_IbLb0EEEEDaSS_ST_EUlSS_E_NS1_11comp_targetILNS1_3genE10ELNS1_11target_archE1200ELNS1_3gpuE4ELNS1_3repE0EEENS1_30default_config_static_selectorELNS0_4arch9wavefront6targetE1EEEvT1_,@function
_ZN7rocprim17ROCPRIM_400000_NS6detail17trampoline_kernelINS0_14default_configENS1_20scan_config_selectorIiEEZZNS1_9scan_implILNS1_25lookback_scan_determinismE0ELb1ELb1ES3_N6thrust23THRUST_200600_302600_NS6detail15normal_iteratorINS9_10device_ptrIiEEEENS9_16discard_iteratorINS9_11use_defaultEEEi11max_functorIiEiEEDaPvRmT3_T4_T5_mT6_P12ihipStream_tbENKUlT_T0_E_clISt17integral_constantIbLb1EESW_IbLb0EEEEDaSS_ST_EUlSS_E_NS1_11comp_targetILNS1_3genE10ELNS1_11target_archE1200ELNS1_3gpuE4ELNS1_3repE0EEENS1_30default_config_static_selectorELNS0_4arch9wavefront6targetE1EEEvT1_: ; @_ZN7rocprim17ROCPRIM_400000_NS6detail17trampoline_kernelINS0_14default_configENS1_20scan_config_selectorIiEEZZNS1_9scan_implILNS1_25lookback_scan_determinismE0ELb1ELb1ES3_N6thrust23THRUST_200600_302600_NS6detail15normal_iteratorINS9_10device_ptrIiEEEENS9_16discard_iteratorINS9_11use_defaultEEEi11max_functorIiEiEEDaPvRmT3_T4_T5_mT6_P12ihipStream_tbENKUlT_T0_E_clISt17integral_constantIbLb1EESW_IbLb0EEEEDaSS_ST_EUlSS_E_NS1_11comp_targetILNS1_3genE10ELNS1_11target_archE1200ELNS1_3gpuE4ELNS1_3repE0EEENS1_30default_config_static_selectorELNS0_4arch9wavefront6targetE1EEEvT1_
; %bb.0:
	.section	.rodata,"a",@progbits
	.p2align	6, 0x0
	.amdhsa_kernel _ZN7rocprim17ROCPRIM_400000_NS6detail17trampoline_kernelINS0_14default_configENS1_20scan_config_selectorIiEEZZNS1_9scan_implILNS1_25lookback_scan_determinismE0ELb1ELb1ES3_N6thrust23THRUST_200600_302600_NS6detail15normal_iteratorINS9_10device_ptrIiEEEENS9_16discard_iteratorINS9_11use_defaultEEEi11max_functorIiEiEEDaPvRmT3_T4_T5_mT6_P12ihipStream_tbENKUlT_T0_E_clISt17integral_constantIbLb1EESW_IbLb0EEEEDaSS_ST_EUlSS_E_NS1_11comp_targetILNS1_3genE10ELNS1_11target_archE1200ELNS1_3gpuE4ELNS1_3repE0EEENS1_30default_config_static_selectorELNS0_4arch9wavefront6targetE1EEEvT1_
		.amdhsa_group_segment_fixed_size 0
		.amdhsa_private_segment_fixed_size 0
		.amdhsa_kernarg_size 104
		.amdhsa_user_sgpr_count 6
		.amdhsa_user_sgpr_private_segment_buffer 1
		.amdhsa_user_sgpr_dispatch_ptr 0
		.amdhsa_user_sgpr_queue_ptr 0
		.amdhsa_user_sgpr_kernarg_segment_ptr 1
		.amdhsa_user_sgpr_dispatch_id 0
		.amdhsa_user_sgpr_flat_scratch_init 0
		.amdhsa_user_sgpr_kernarg_preload_length 0
		.amdhsa_user_sgpr_kernarg_preload_offset 0
		.amdhsa_user_sgpr_private_segment_size 0
		.amdhsa_uses_dynamic_stack 0
		.amdhsa_system_sgpr_private_segment_wavefront_offset 0
		.amdhsa_system_sgpr_workgroup_id_x 1
		.amdhsa_system_sgpr_workgroup_id_y 0
		.amdhsa_system_sgpr_workgroup_id_z 0
		.amdhsa_system_sgpr_workgroup_info 0
		.amdhsa_system_vgpr_workitem_id 0
		.amdhsa_next_free_vgpr 1
		.amdhsa_next_free_sgpr 0
		.amdhsa_accum_offset 4
		.amdhsa_reserve_vcc 0
		.amdhsa_reserve_flat_scratch 0
		.amdhsa_float_round_mode_32 0
		.amdhsa_float_round_mode_16_64 0
		.amdhsa_float_denorm_mode_32 3
		.amdhsa_float_denorm_mode_16_64 3
		.amdhsa_dx10_clamp 1
		.amdhsa_ieee_mode 1
		.amdhsa_fp16_overflow 0
		.amdhsa_tg_split 0
		.amdhsa_exception_fp_ieee_invalid_op 0
		.amdhsa_exception_fp_denorm_src 0
		.amdhsa_exception_fp_ieee_div_zero 0
		.amdhsa_exception_fp_ieee_overflow 0
		.amdhsa_exception_fp_ieee_underflow 0
		.amdhsa_exception_fp_ieee_inexact 0
		.amdhsa_exception_int_div_zero 0
	.end_amdhsa_kernel
	.section	.text._ZN7rocprim17ROCPRIM_400000_NS6detail17trampoline_kernelINS0_14default_configENS1_20scan_config_selectorIiEEZZNS1_9scan_implILNS1_25lookback_scan_determinismE0ELb1ELb1ES3_N6thrust23THRUST_200600_302600_NS6detail15normal_iteratorINS9_10device_ptrIiEEEENS9_16discard_iteratorINS9_11use_defaultEEEi11max_functorIiEiEEDaPvRmT3_T4_T5_mT6_P12ihipStream_tbENKUlT_T0_E_clISt17integral_constantIbLb1EESW_IbLb0EEEEDaSS_ST_EUlSS_E_NS1_11comp_targetILNS1_3genE10ELNS1_11target_archE1200ELNS1_3gpuE4ELNS1_3repE0EEENS1_30default_config_static_selectorELNS0_4arch9wavefront6targetE1EEEvT1_,"axG",@progbits,_ZN7rocprim17ROCPRIM_400000_NS6detail17trampoline_kernelINS0_14default_configENS1_20scan_config_selectorIiEEZZNS1_9scan_implILNS1_25lookback_scan_determinismE0ELb1ELb1ES3_N6thrust23THRUST_200600_302600_NS6detail15normal_iteratorINS9_10device_ptrIiEEEENS9_16discard_iteratorINS9_11use_defaultEEEi11max_functorIiEiEEDaPvRmT3_T4_T5_mT6_P12ihipStream_tbENKUlT_T0_E_clISt17integral_constantIbLb1EESW_IbLb0EEEEDaSS_ST_EUlSS_E_NS1_11comp_targetILNS1_3genE10ELNS1_11target_archE1200ELNS1_3gpuE4ELNS1_3repE0EEENS1_30default_config_static_selectorELNS0_4arch9wavefront6targetE1EEEvT1_,comdat
.Lfunc_end3968:
	.size	_ZN7rocprim17ROCPRIM_400000_NS6detail17trampoline_kernelINS0_14default_configENS1_20scan_config_selectorIiEEZZNS1_9scan_implILNS1_25lookback_scan_determinismE0ELb1ELb1ES3_N6thrust23THRUST_200600_302600_NS6detail15normal_iteratorINS9_10device_ptrIiEEEENS9_16discard_iteratorINS9_11use_defaultEEEi11max_functorIiEiEEDaPvRmT3_T4_T5_mT6_P12ihipStream_tbENKUlT_T0_E_clISt17integral_constantIbLb1EESW_IbLb0EEEEDaSS_ST_EUlSS_E_NS1_11comp_targetILNS1_3genE10ELNS1_11target_archE1200ELNS1_3gpuE4ELNS1_3repE0EEENS1_30default_config_static_selectorELNS0_4arch9wavefront6targetE1EEEvT1_, .Lfunc_end3968-_ZN7rocprim17ROCPRIM_400000_NS6detail17trampoline_kernelINS0_14default_configENS1_20scan_config_selectorIiEEZZNS1_9scan_implILNS1_25lookback_scan_determinismE0ELb1ELb1ES3_N6thrust23THRUST_200600_302600_NS6detail15normal_iteratorINS9_10device_ptrIiEEEENS9_16discard_iteratorINS9_11use_defaultEEEi11max_functorIiEiEEDaPvRmT3_T4_T5_mT6_P12ihipStream_tbENKUlT_T0_E_clISt17integral_constantIbLb1EESW_IbLb0EEEEDaSS_ST_EUlSS_E_NS1_11comp_targetILNS1_3genE10ELNS1_11target_archE1200ELNS1_3gpuE4ELNS1_3repE0EEENS1_30default_config_static_selectorELNS0_4arch9wavefront6targetE1EEEvT1_
                                        ; -- End function
	.section	.AMDGPU.csdata,"",@progbits
; Kernel info:
; codeLenInByte = 0
; NumSgprs: 4
; NumVgprs: 0
; NumAgprs: 0
; TotalNumVgprs: 0
; ScratchSize: 0
; MemoryBound: 0
; FloatMode: 240
; IeeeMode: 1
; LDSByteSize: 0 bytes/workgroup (compile time only)
; SGPRBlocks: 0
; VGPRBlocks: 0
; NumSGPRsForWavesPerEU: 4
; NumVGPRsForWavesPerEU: 1
; AccumOffset: 4
; Occupancy: 8
; WaveLimiterHint : 0
; COMPUTE_PGM_RSRC2:SCRATCH_EN: 0
; COMPUTE_PGM_RSRC2:USER_SGPR: 6
; COMPUTE_PGM_RSRC2:TRAP_HANDLER: 0
; COMPUTE_PGM_RSRC2:TGID_X_EN: 1
; COMPUTE_PGM_RSRC2:TGID_Y_EN: 0
; COMPUTE_PGM_RSRC2:TGID_Z_EN: 0
; COMPUTE_PGM_RSRC2:TIDIG_COMP_CNT: 0
; COMPUTE_PGM_RSRC3_GFX90A:ACCUM_OFFSET: 0
; COMPUTE_PGM_RSRC3_GFX90A:TG_SPLIT: 0
	.section	.text._ZN7rocprim17ROCPRIM_400000_NS6detail17trampoline_kernelINS0_14default_configENS1_20scan_config_selectorIiEEZZNS1_9scan_implILNS1_25lookback_scan_determinismE0ELb1ELb1ES3_N6thrust23THRUST_200600_302600_NS6detail15normal_iteratorINS9_10device_ptrIiEEEENS9_16discard_iteratorINS9_11use_defaultEEEi11max_functorIiEiEEDaPvRmT3_T4_T5_mT6_P12ihipStream_tbENKUlT_T0_E_clISt17integral_constantIbLb1EESW_IbLb0EEEEDaSS_ST_EUlSS_E_NS1_11comp_targetILNS1_3genE9ELNS1_11target_archE1100ELNS1_3gpuE3ELNS1_3repE0EEENS1_30default_config_static_selectorELNS0_4arch9wavefront6targetE1EEEvT1_,"axG",@progbits,_ZN7rocprim17ROCPRIM_400000_NS6detail17trampoline_kernelINS0_14default_configENS1_20scan_config_selectorIiEEZZNS1_9scan_implILNS1_25lookback_scan_determinismE0ELb1ELb1ES3_N6thrust23THRUST_200600_302600_NS6detail15normal_iteratorINS9_10device_ptrIiEEEENS9_16discard_iteratorINS9_11use_defaultEEEi11max_functorIiEiEEDaPvRmT3_T4_T5_mT6_P12ihipStream_tbENKUlT_T0_E_clISt17integral_constantIbLb1EESW_IbLb0EEEEDaSS_ST_EUlSS_E_NS1_11comp_targetILNS1_3genE9ELNS1_11target_archE1100ELNS1_3gpuE3ELNS1_3repE0EEENS1_30default_config_static_selectorELNS0_4arch9wavefront6targetE1EEEvT1_,comdat
	.protected	_ZN7rocprim17ROCPRIM_400000_NS6detail17trampoline_kernelINS0_14default_configENS1_20scan_config_selectorIiEEZZNS1_9scan_implILNS1_25lookback_scan_determinismE0ELb1ELb1ES3_N6thrust23THRUST_200600_302600_NS6detail15normal_iteratorINS9_10device_ptrIiEEEENS9_16discard_iteratorINS9_11use_defaultEEEi11max_functorIiEiEEDaPvRmT3_T4_T5_mT6_P12ihipStream_tbENKUlT_T0_E_clISt17integral_constantIbLb1EESW_IbLb0EEEEDaSS_ST_EUlSS_E_NS1_11comp_targetILNS1_3genE9ELNS1_11target_archE1100ELNS1_3gpuE3ELNS1_3repE0EEENS1_30default_config_static_selectorELNS0_4arch9wavefront6targetE1EEEvT1_ ; -- Begin function _ZN7rocprim17ROCPRIM_400000_NS6detail17trampoline_kernelINS0_14default_configENS1_20scan_config_selectorIiEEZZNS1_9scan_implILNS1_25lookback_scan_determinismE0ELb1ELb1ES3_N6thrust23THRUST_200600_302600_NS6detail15normal_iteratorINS9_10device_ptrIiEEEENS9_16discard_iteratorINS9_11use_defaultEEEi11max_functorIiEiEEDaPvRmT3_T4_T5_mT6_P12ihipStream_tbENKUlT_T0_E_clISt17integral_constantIbLb1EESW_IbLb0EEEEDaSS_ST_EUlSS_E_NS1_11comp_targetILNS1_3genE9ELNS1_11target_archE1100ELNS1_3gpuE3ELNS1_3repE0EEENS1_30default_config_static_selectorELNS0_4arch9wavefront6targetE1EEEvT1_
	.globl	_ZN7rocprim17ROCPRIM_400000_NS6detail17trampoline_kernelINS0_14default_configENS1_20scan_config_selectorIiEEZZNS1_9scan_implILNS1_25lookback_scan_determinismE0ELb1ELb1ES3_N6thrust23THRUST_200600_302600_NS6detail15normal_iteratorINS9_10device_ptrIiEEEENS9_16discard_iteratorINS9_11use_defaultEEEi11max_functorIiEiEEDaPvRmT3_T4_T5_mT6_P12ihipStream_tbENKUlT_T0_E_clISt17integral_constantIbLb1EESW_IbLb0EEEEDaSS_ST_EUlSS_E_NS1_11comp_targetILNS1_3genE9ELNS1_11target_archE1100ELNS1_3gpuE3ELNS1_3repE0EEENS1_30default_config_static_selectorELNS0_4arch9wavefront6targetE1EEEvT1_
	.p2align	8
	.type	_ZN7rocprim17ROCPRIM_400000_NS6detail17trampoline_kernelINS0_14default_configENS1_20scan_config_selectorIiEEZZNS1_9scan_implILNS1_25lookback_scan_determinismE0ELb1ELb1ES3_N6thrust23THRUST_200600_302600_NS6detail15normal_iteratorINS9_10device_ptrIiEEEENS9_16discard_iteratorINS9_11use_defaultEEEi11max_functorIiEiEEDaPvRmT3_T4_T5_mT6_P12ihipStream_tbENKUlT_T0_E_clISt17integral_constantIbLb1EESW_IbLb0EEEEDaSS_ST_EUlSS_E_NS1_11comp_targetILNS1_3genE9ELNS1_11target_archE1100ELNS1_3gpuE3ELNS1_3repE0EEENS1_30default_config_static_selectorELNS0_4arch9wavefront6targetE1EEEvT1_,@function
_ZN7rocprim17ROCPRIM_400000_NS6detail17trampoline_kernelINS0_14default_configENS1_20scan_config_selectorIiEEZZNS1_9scan_implILNS1_25lookback_scan_determinismE0ELb1ELb1ES3_N6thrust23THRUST_200600_302600_NS6detail15normal_iteratorINS9_10device_ptrIiEEEENS9_16discard_iteratorINS9_11use_defaultEEEi11max_functorIiEiEEDaPvRmT3_T4_T5_mT6_P12ihipStream_tbENKUlT_T0_E_clISt17integral_constantIbLb1EESW_IbLb0EEEEDaSS_ST_EUlSS_E_NS1_11comp_targetILNS1_3genE9ELNS1_11target_archE1100ELNS1_3gpuE3ELNS1_3repE0EEENS1_30default_config_static_selectorELNS0_4arch9wavefront6targetE1EEEvT1_: ; @_ZN7rocprim17ROCPRIM_400000_NS6detail17trampoline_kernelINS0_14default_configENS1_20scan_config_selectorIiEEZZNS1_9scan_implILNS1_25lookback_scan_determinismE0ELb1ELb1ES3_N6thrust23THRUST_200600_302600_NS6detail15normal_iteratorINS9_10device_ptrIiEEEENS9_16discard_iteratorINS9_11use_defaultEEEi11max_functorIiEiEEDaPvRmT3_T4_T5_mT6_P12ihipStream_tbENKUlT_T0_E_clISt17integral_constantIbLb1EESW_IbLb0EEEEDaSS_ST_EUlSS_E_NS1_11comp_targetILNS1_3genE9ELNS1_11target_archE1100ELNS1_3gpuE3ELNS1_3repE0EEENS1_30default_config_static_selectorELNS0_4arch9wavefront6targetE1EEEvT1_
; %bb.0:
	.section	.rodata,"a",@progbits
	.p2align	6, 0x0
	.amdhsa_kernel _ZN7rocprim17ROCPRIM_400000_NS6detail17trampoline_kernelINS0_14default_configENS1_20scan_config_selectorIiEEZZNS1_9scan_implILNS1_25lookback_scan_determinismE0ELb1ELb1ES3_N6thrust23THRUST_200600_302600_NS6detail15normal_iteratorINS9_10device_ptrIiEEEENS9_16discard_iteratorINS9_11use_defaultEEEi11max_functorIiEiEEDaPvRmT3_T4_T5_mT6_P12ihipStream_tbENKUlT_T0_E_clISt17integral_constantIbLb1EESW_IbLb0EEEEDaSS_ST_EUlSS_E_NS1_11comp_targetILNS1_3genE9ELNS1_11target_archE1100ELNS1_3gpuE3ELNS1_3repE0EEENS1_30default_config_static_selectorELNS0_4arch9wavefront6targetE1EEEvT1_
		.amdhsa_group_segment_fixed_size 0
		.amdhsa_private_segment_fixed_size 0
		.amdhsa_kernarg_size 104
		.amdhsa_user_sgpr_count 6
		.amdhsa_user_sgpr_private_segment_buffer 1
		.amdhsa_user_sgpr_dispatch_ptr 0
		.amdhsa_user_sgpr_queue_ptr 0
		.amdhsa_user_sgpr_kernarg_segment_ptr 1
		.amdhsa_user_sgpr_dispatch_id 0
		.amdhsa_user_sgpr_flat_scratch_init 0
		.amdhsa_user_sgpr_kernarg_preload_length 0
		.amdhsa_user_sgpr_kernarg_preload_offset 0
		.amdhsa_user_sgpr_private_segment_size 0
		.amdhsa_uses_dynamic_stack 0
		.amdhsa_system_sgpr_private_segment_wavefront_offset 0
		.amdhsa_system_sgpr_workgroup_id_x 1
		.amdhsa_system_sgpr_workgroup_id_y 0
		.amdhsa_system_sgpr_workgroup_id_z 0
		.amdhsa_system_sgpr_workgroup_info 0
		.amdhsa_system_vgpr_workitem_id 0
		.amdhsa_next_free_vgpr 1
		.amdhsa_next_free_sgpr 0
		.amdhsa_accum_offset 4
		.amdhsa_reserve_vcc 0
		.amdhsa_reserve_flat_scratch 0
		.amdhsa_float_round_mode_32 0
		.amdhsa_float_round_mode_16_64 0
		.amdhsa_float_denorm_mode_32 3
		.amdhsa_float_denorm_mode_16_64 3
		.amdhsa_dx10_clamp 1
		.amdhsa_ieee_mode 1
		.amdhsa_fp16_overflow 0
		.amdhsa_tg_split 0
		.amdhsa_exception_fp_ieee_invalid_op 0
		.amdhsa_exception_fp_denorm_src 0
		.amdhsa_exception_fp_ieee_div_zero 0
		.amdhsa_exception_fp_ieee_overflow 0
		.amdhsa_exception_fp_ieee_underflow 0
		.amdhsa_exception_fp_ieee_inexact 0
		.amdhsa_exception_int_div_zero 0
	.end_amdhsa_kernel
	.section	.text._ZN7rocprim17ROCPRIM_400000_NS6detail17trampoline_kernelINS0_14default_configENS1_20scan_config_selectorIiEEZZNS1_9scan_implILNS1_25lookback_scan_determinismE0ELb1ELb1ES3_N6thrust23THRUST_200600_302600_NS6detail15normal_iteratorINS9_10device_ptrIiEEEENS9_16discard_iteratorINS9_11use_defaultEEEi11max_functorIiEiEEDaPvRmT3_T4_T5_mT6_P12ihipStream_tbENKUlT_T0_E_clISt17integral_constantIbLb1EESW_IbLb0EEEEDaSS_ST_EUlSS_E_NS1_11comp_targetILNS1_3genE9ELNS1_11target_archE1100ELNS1_3gpuE3ELNS1_3repE0EEENS1_30default_config_static_selectorELNS0_4arch9wavefront6targetE1EEEvT1_,"axG",@progbits,_ZN7rocprim17ROCPRIM_400000_NS6detail17trampoline_kernelINS0_14default_configENS1_20scan_config_selectorIiEEZZNS1_9scan_implILNS1_25lookback_scan_determinismE0ELb1ELb1ES3_N6thrust23THRUST_200600_302600_NS6detail15normal_iteratorINS9_10device_ptrIiEEEENS9_16discard_iteratorINS9_11use_defaultEEEi11max_functorIiEiEEDaPvRmT3_T4_T5_mT6_P12ihipStream_tbENKUlT_T0_E_clISt17integral_constantIbLb1EESW_IbLb0EEEEDaSS_ST_EUlSS_E_NS1_11comp_targetILNS1_3genE9ELNS1_11target_archE1100ELNS1_3gpuE3ELNS1_3repE0EEENS1_30default_config_static_selectorELNS0_4arch9wavefront6targetE1EEEvT1_,comdat
.Lfunc_end3969:
	.size	_ZN7rocprim17ROCPRIM_400000_NS6detail17trampoline_kernelINS0_14default_configENS1_20scan_config_selectorIiEEZZNS1_9scan_implILNS1_25lookback_scan_determinismE0ELb1ELb1ES3_N6thrust23THRUST_200600_302600_NS6detail15normal_iteratorINS9_10device_ptrIiEEEENS9_16discard_iteratorINS9_11use_defaultEEEi11max_functorIiEiEEDaPvRmT3_T4_T5_mT6_P12ihipStream_tbENKUlT_T0_E_clISt17integral_constantIbLb1EESW_IbLb0EEEEDaSS_ST_EUlSS_E_NS1_11comp_targetILNS1_3genE9ELNS1_11target_archE1100ELNS1_3gpuE3ELNS1_3repE0EEENS1_30default_config_static_selectorELNS0_4arch9wavefront6targetE1EEEvT1_, .Lfunc_end3969-_ZN7rocprim17ROCPRIM_400000_NS6detail17trampoline_kernelINS0_14default_configENS1_20scan_config_selectorIiEEZZNS1_9scan_implILNS1_25lookback_scan_determinismE0ELb1ELb1ES3_N6thrust23THRUST_200600_302600_NS6detail15normal_iteratorINS9_10device_ptrIiEEEENS9_16discard_iteratorINS9_11use_defaultEEEi11max_functorIiEiEEDaPvRmT3_T4_T5_mT6_P12ihipStream_tbENKUlT_T0_E_clISt17integral_constantIbLb1EESW_IbLb0EEEEDaSS_ST_EUlSS_E_NS1_11comp_targetILNS1_3genE9ELNS1_11target_archE1100ELNS1_3gpuE3ELNS1_3repE0EEENS1_30default_config_static_selectorELNS0_4arch9wavefront6targetE1EEEvT1_
                                        ; -- End function
	.section	.AMDGPU.csdata,"",@progbits
; Kernel info:
; codeLenInByte = 0
; NumSgprs: 4
; NumVgprs: 0
; NumAgprs: 0
; TotalNumVgprs: 0
; ScratchSize: 0
; MemoryBound: 0
; FloatMode: 240
; IeeeMode: 1
; LDSByteSize: 0 bytes/workgroup (compile time only)
; SGPRBlocks: 0
; VGPRBlocks: 0
; NumSGPRsForWavesPerEU: 4
; NumVGPRsForWavesPerEU: 1
; AccumOffset: 4
; Occupancy: 8
; WaveLimiterHint : 0
; COMPUTE_PGM_RSRC2:SCRATCH_EN: 0
; COMPUTE_PGM_RSRC2:USER_SGPR: 6
; COMPUTE_PGM_RSRC2:TRAP_HANDLER: 0
; COMPUTE_PGM_RSRC2:TGID_X_EN: 1
; COMPUTE_PGM_RSRC2:TGID_Y_EN: 0
; COMPUTE_PGM_RSRC2:TGID_Z_EN: 0
; COMPUTE_PGM_RSRC2:TIDIG_COMP_CNT: 0
; COMPUTE_PGM_RSRC3_GFX90A:ACCUM_OFFSET: 0
; COMPUTE_PGM_RSRC3_GFX90A:TG_SPLIT: 0
	.section	.text._ZN7rocprim17ROCPRIM_400000_NS6detail17trampoline_kernelINS0_14default_configENS1_20scan_config_selectorIiEEZZNS1_9scan_implILNS1_25lookback_scan_determinismE0ELb1ELb1ES3_N6thrust23THRUST_200600_302600_NS6detail15normal_iteratorINS9_10device_ptrIiEEEENS9_16discard_iteratorINS9_11use_defaultEEEi11max_functorIiEiEEDaPvRmT3_T4_T5_mT6_P12ihipStream_tbENKUlT_T0_E_clISt17integral_constantIbLb1EESW_IbLb0EEEEDaSS_ST_EUlSS_E_NS1_11comp_targetILNS1_3genE8ELNS1_11target_archE1030ELNS1_3gpuE2ELNS1_3repE0EEENS1_30default_config_static_selectorELNS0_4arch9wavefront6targetE1EEEvT1_,"axG",@progbits,_ZN7rocprim17ROCPRIM_400000_NS6detail17trampoline_kernelINS0_14default_configENS1_20scan_config_selectorIiEEZZNS1_9scan_implILNS1_25lookback_scan_determinismE0ELb1ELb1ES3_N6thrust23THRUST_200600_302600_NS6detail15normal_iteratorINS9_10device_ptrIiEEEENS9_16discard_iteratorINS9_11use_defaultEEEi11max_functorIiEiEEDaPvRmT3_T4_T5_mT6_P12ihipStream_tbENKUlT_T0_E_clISt17integral_constantIbLb1EESW_IbLb0EEEEDaSS_ST_EUlSS_E_NS1_11comp_targetILNS1_3genE8ELNS1_11target_archE1030ELNS1_3gpuE2ELNS1_3repE0EEENS1_30default_config_static_selectorELNS0_4arch9wavefront6targetE1EEEvT1_,comdat
	.protected	_ZN7rocprim17ROCPRIM_400000_NS6detail17trampoline_kernelINS0_14default_configENS1_20scan_config_selectorIiEEZZNS1_9scan_implILNS1_25lookback_scan_determinismE0ELb1ELb1ES3_N6thrust23THRUST_200600_302600_NS6detail15normal_iteratorINS9_10device_ptrIiEEEENS9_16discard_iteratorINS9_11use_defaultEEEi11max_functorIiEiEEDaPvRmT3_T4_T5_mT6_P12ihipStream_tbENKUlT_T0_E_clISt17integral_constantIbLb1EESW_IbLb0EEEEDaSS_ST_EUlSS_E_NS1_11comp_targetILNS1_3genE8ELNS1_11target_archE1030ELNS1_3gpuE2ELNS1_3repE0EEENS1_30default_config_static_selectorELNS0_4arch9wavefront6targetE1EEEvT1_ ; -- Begin function _ZN7rocprim17ROCPRIM_400000_NS6detail17trampoline_kernelINS0_14default_configENS1_20scan_config_selectorIiEEZZNS1_9scan_implILNS1_25lookback_scan_determinismE0ELb1ELb1ES3_N6thrust23THRUST_200600_302600_NS6detail15normal_iteratorINS9_10device_ptrIiEEEENS9_16discard_iteratorINS9_11use_defaultEEEi11max_functorIiEiEEDaPvRmT3_T4_T5_mT6_P12ihipStream_tbENKUlT_T0_E_clISt17integral_constantIbLb1EESW_IbLb0EEEEDaSS_ST_EUlSS_E_NS1_11comp_targetILNS1_3genE8ELNS1_11target_archE1030ELNS1_3gpuE2ELNS1_3repE0EEENS1_30default_config_static_selectorELNS0_4arch9wavefront6targetE1EEEvT1_
	.globl	_ZN7rocprim17ROCPRIM_400000_NS6detail17trampoline_kernelINS0_14default_configENS1_20scan_config_selectorIiEEZZNS1_9scan_implILNS1_25lookback_scan_determinismE0ELb1ELb1ES3_N6thrust23THRUST_200600_302600_NS6detail15normal_iteratorINS9_10device_ptrIiEEEENS9_16discard_iteratorINS9_11use_defaultEEEi11max_functorIiEiEEDaPvRmT3_T4_T5_mT6_P12ihipStream_tbENKUlT_T0_E_clISt17integral_constantIbLb1EESW_IbLb0EEEEDaSS_ST_EUlSS_E_NS1_11comp_targetILNS1_3genE8ELNS1_11target_archE1030ELNS1_3gpuE2ELNS1_3repE0EEENS1_30default_config_static_selectorELNS0_4arch9wavefront6targetE1EEEvT1_
	.p2align	8
	.type	_ZN7rocprim17ROCPRIM_400000_NS6detail17trampoline_kernelINS0_14default_configENS1_20scan_config_selectorIiEEZZNS1_9scan_implILNS1_25lookback_scan_determinismE0ELb1ELb1ES3_N6thrust23THRUST_200600_302600_NS6detail15normal_iteratorINS9_10device_ptrIiEEEENS9_16discard_iteratorINS9_11use_defaultEEEi11max_functorIiEiEEDaPvRmT3_T4_T5_mT6_P12ihipStream_tbENKUlT_T0_E_clISt17integral_constantIbLb1EESW_IbLb0EEEEDaSS_ST_EUlSS_E_NS1_11comp_targetILNS1_3genE8ELNS1_11target_archE1030ELNS1_3gpuE2ELNS1_3repE0EEENS1_30default_config_static_selectorELNS0_4arch9wavefront6targetE1EEEvT1_,@function
_ZN7rocprim17ROCPRIM_400000_NS6detail17trampoline_kernelINS0_14default_configENS1_20scan_config_selectorIiEEZZNS1_9scan_implILNS1_25lookback_scan_determinismE0ELb1ELb1ES3_N6thrust23THRUST_200600_302600_NS6detail15normal_iteratorINS9_10device_ptrIiEEEENS9_16discard_iteratorINS9_11use_defaultEEEi11max_functorIiEiEEDaPvRmT3_T4_T5_mT6_P12ihipStream_tbENKUlT_T0_E_clISt17integral_constantIbLb1EESW_IbLb0EEEEDaSS_ST_EUlSS_E_NS1_11comp_targetILNS1_3genE8ELNS1_11target_archE1030ELNS1_3gpuE2ELNS1_3repE0EEENS1_30default_config_static_selectorELNS0_4arch9wavefront6targetE1EEEvT1_: ; @_ZN7rocprim17ROCPRIM_400000_NS6detail17trampoline_kernelINS0_14default_configENS1_20scan_config_selectorIiEEZZNS1_9scan_implILNS1_25lookback_scan_determinismE0ELb1ELb1ES3_N6thrust23THRUST_200600_302600_NS6detail15normal_iteratorINS9_10device_ptrIiEEEENS9_16discard_iteratorINS9_11use_defaultEEEi11max_functorIiEiEEDaPvRmT3_T4_T5_mT6_P12ihipStream_tbENKUlT_T0_E_clISt17integral_constantIbLb1EESW_IbLb0EEEEDaSS_ST_EUlSS_E_NS1_11comp_targetILNS1_3genE8ELNS1_11target_archE1030ELNS1_3gpuE2ELNS1_3repE0EEENS1_30default_config_static_selectorELNS0_4arch9wavefront6targetE1EEEvT1_
; %bb.0:
	.section	.rodata,"a",@progbits
	.p2align	6, 0x0
	.amdhsa_kernel _ZN7rocprim17ROCPRIM_400000_NS6detail17trampoline_kernelINS0_14default_configENS1_20scan_config_selectorIiEEZZNS1_9scan_implILNS1_25lookback_scan_determinismE0ELb1ELb1ES3_N6thrust23THRUST_200600_302600_NS6detail15normal_iteratorINS9_10device_ptrIiEEEENS9_16discard_iteratorINS9_11use_defaultEEEi11max_functorIiEiEEDaPvRmT3_T4_T5_mT6_P12ihipStream_tbENKUlT_T0_E_clISt17integral_constantIbLb1EESW_IbLb0EEEEDaSS_ST_EUlSS_E_NS1_11comp_targetILNS1_3genE8ELNS1_11target_archE1030ELNS1_3gpuE2ELNS1_3repE0EEENS1_30default_config_static_selectorELNS0_4arch9wavefront6targetE1EEEvT1_
		.amdhsa_group_segment_fixed_size 0
		.amdhsa_private_segment_fixed_size 0
		.amdhsa_kernarg_size 104
		.amdhsa_user_sgpr_count 6
		.amdhsa_user_sgpr_private_segment_buffer 1
		.amdhsa_user_sgpr_dispatch_ptr 0
		.amdhsa_user_sgpr_queue_ptr 0
		.amdhsa_user_sgpr_kernarg_segment_ptr 1
		.amdhsa_user_sgpr_dispatch_id 0
		.amdhsa_user_sgpr_flat_scratch_init 0
		.amdhsa_user_sgpr_kernarg_preload_length 0
		.amdhsa_user_sgpr_kernarg_preload_offset 0
		.amdhsa_user_sgpr_private_segment_size 0
		.amdhsa_uses_dynamic_stack 0
		.amdhsa_system_sgpr_private_segment_wavefront_offset 0
		.amdhsa_system_sgpr_workgroup_id_x 1
		.amdhsa_system_sgpr_workgroup_id_y 0
		.amdhsa_system_sgpr_workgroup_id_z 0
		.amdhsa_system_sgpr_workgroup_info 0
		.amdhsa_system_vgpr_workitem_id 0
		.amdhsa_next_free_vgpr 1
		.amdhsa_next_free_sgpr 0
		.amdhsa_accum_offset 4
		.amdhsa_reserve_vcc 0
		.amdhsa_reserve_flat_scratch 0
		.amdhsa_float_round_mode_32 0
		.amdhsa_float_round_mode_16_64 0
		.amdhsa_float_denorm_mode_32 3
		.amdhsa_float_denorm_mode_16_64 3
		.amdhsa_dx10_clamp 1
		.amdhsa_ieee_mode 1
		.amdhsa_fp16_overflow 0
		.amdhsa_tg_split 0
		.amdhsa_exception_fp_ieee_invalid_op 0
		.amdhsa_exception_fp_denorm_src 0
		.amdhsa_exception_fp_ieee_div_zero 0
		.amdhsa_exception_fp_ieee_overflow 0
		.amdhsa_exception_fp_ieee_underflow 0
		.amdhsa_exception_fp_ieee_inexact 0
		.amdhsa_exception_int_div_zero 0
	.end_amdhsa_kernel
	.section	.text._ZN7rocprim17ROCPRIM_400000_NS6detail17trampoline_kernelINS0_14default_configENS1_20scan_config_selectorIiEEZZNS1_9scan_implILNS1_25lookback_scan_determinismE0ELb1ELb1ES3_N6thrust23THRUST_200600_302600_NS6detail15normal_iteratorINS9_10device_ptrIiEEEENS9_16discard_iteratorINS9_11use_defaultEEEi11max_functorIiEiEEDaPvRmT3_T4_T5_mT6_P12ihipStream_tbENKUlT_T0_E_clISt17integral_constantIbLb1EESW_IbLb0EEEEDaSS_ST_EUlSS_E_NS1_11comp_targetILNS1_3genE8ELNS1_11target_archE1030ELNS1_3gpuE2ELNS1_3repE0EEENS1_30default_config_static_selectorELNS0_4arch9wavefront6targetE1EEEvT1_,"axG",@progbits,_ZN7rocprim17ROCPRIM_400000_NS6detail17trampoline_kernelINS0_14default_configENS1_20scan_config_selectorIiEEZZNS1_9scan_implILNS1_25lookback_scan_determinismE0ELb1ELb1ES3_N6thrust23THRUST_200600_302600_NS6detail15normal_iteratorINS9_10device_ptrIiEEEENS9_16discard_iteratorINS9_11use_defaultEEEi11max_functorIiEiEEDaPvRmT3_T4_T5_mT6_P12ihipStream_tbENKUlT_T0_E_clISt17integral_constantIbLb1EESW_IbLb0EEEEDaSS_ST_EUlSS_E_NS1_11comp_targetILNS1_3genE8ELNS1_11target_archE1030ELNS1_3gpuE2ELNS1_3repE0EEENS1_30default_config_static_selectorELNS0_4arch9wavefront6targetE1EEEvT1_,comdat
.Lfunc_end3970:
	.size	_ZN7rocprim17ROCPRIM_400000_NS6detail17trampoline_kernelINS0_14default_configENS1_20scan_config_selectorIiEEZZNS1_9scan_implILNS1_25lookback_scan_determinismE0ELb1ELb1ES3_N6thrust23THRUST_200600_302600_NS6detail15normal_iteratorINS9_10device_ptrIiEEEENS9_16discard_iteratorINS9_11use_defaultEEEi11max_functorIiEiEEDaPvRmT3_T4_T5_mT6_P12ihipStream_tbENKUlT_T0_E_clISt17integral_constantIbLb1EESW_IbLb0EEEEDaSS_ST_EUlSS_E_NS1_11comp_targetILNS1_3genE8ELNS1_11target_archE1030ELNS1_3gpuE2ELNS1_3repE0EEENS1_30default_config_static_selectorELNS0_4arch9wavefront6targetE1EEEvT1_, .Lfunc_end3970-_ZN7rocprim17ROCPRIM_400000_NS6detail17trampoline_kernelINS0_14default_configENS1_20scan_config_selectorIiEEZZNS1_9scan_implILNS1_25lookback_scan_determinismE0ELb1ELb1ES3_N6thrust23THRUST_200600_302600_NS6detail15normal_iteratorINS9_10device_ptrIiEEEENS9_16discard_iteratorINS9_11use_defaultEEEi11max_functorIiEiEEDaPvRmT3_T4_T5_mT6_P12ihipStream_tbENKUlT_T0_E_clISt17integral_constantIbLb1EESW_IbLb0EEEEDaSS_ST_EUlSS_E_NS1_11comp_targetILNS1_3genE8ELNS1_11target_archE1030ELNS1_3gpuE2ELNS1_3repE0EEENS1_30default_config_static_selectorELNS0_4arch9wavefront6targetE1EEEvT1_
                                        ; -- End function
	.section	.AMDGPU.csdata,"",@progbits
; Kernel info:
; codeLenInByte = 0
; NumSgprs: 4
; NumVgprs: 0
; NumAgprs: 0
; TotalNumVgprs: 0
; ScratchSize: 0
; MemoryBound: 0
; FloatMode: 240
; IeeeMode: 1
; LDSByteSize: 0 bytes/workgroup (compile time only)
; SGPRBlocks: 0
; VGPRBlocks: 0
; NumSGPRsForWavesPerEU: 4
; NumVGPRsForWavesPerEU: 1
; AccumOffset: 4
; Occupancy: 8
; WaveLimiterHint : 0
; COMPUTE_PGM_RSRC2:SCRATCH_EN: 0
; COMPUTE_PGM_RSRC2:USER_SGPR: 6
; COMPUTE_PGM_RSRC2:TRAP_HANDLER: 0
; COMPUTE_PGM_RSRC2:TGID_X_EN: 1
; COMPUTE_PGM_RSRC2:TGID_Y_EN: 0
; COMPUTE_PGM_RSRC2:TGID_Z_EN: 0
; COMPUTE_PGM_RSRC2:TIDIG_COMP_CNT: 0
; COMPUTE_PGM_RSRC3_GFX90A:ACCUM_OFFSET: 0
; COMPUTE_PGM_RSRC3_GFX90A:TG_SPLIT: 0
	.section	.text._ZN7rocprim17ROCPRIM_400000_NS6detail17trampoline_kernelINS0_14default_configENS1_20scan_config_selectorIiEEZZNS1_9scan_implILNS1_25lookback_scan_determinismE0ELb1ELb1ES3_N6thrust23THRUST_200600_302600_NS6detail15normal_iteratorINS9_10device_ptrIiEEEENS9_16discard_iteratorINS9_11use_defaultEEEi11max_functorIiEiEEDaPvRmT3_T4_T5_mT6_P12ihipStream_tbENKUlT_T0_E_clISt17integral_constantIbLb1EESW_IbLb0EEEEDaSS_ST_EUlSS_E0_NS1_11comp_targetILNS1_3genE0ELNS1_11target_archE4294967295ELNS1_3gpuE0ELNS1_3repE0EEENS1_30default_config_static_selectorELNS0_4arch9wavefront6targetE1EEEvT1_,"axG",@progbits,_ZN7rocprim17ROCPRIM_400000_NS6detail17trampoline_kernelINS0_14default_configENS1_20scan_config_selectorIiEEZZNS1_9scan_implILNS1_25lookback_scan_determinismE0ELb1ELb1ES3_N6thrust23THRUST_200600_302600_NS6detail15normal_iteratorINS9_10device_ptrIiEEEENS9_16discard_iteratorINS9_11use_defaultEEEi11max_functorIiEiEEDaPvRmT3_T4_T5_mT6_P12ihipStream_tbENKUlT_T0_E_clISt17integral_constantIbLb1EESW_IbLb0EEEEDaSS_ST_EUlSS_E0_NS1_11comp_targetILNS1_3genE0ELNS1_11target_archE4294967295ELNS1_3gpuE0ELNS1_3repE0EEENS1_30default_config_static_selectorELNS0_4arch9wavefront6targetE1EEEvT1_,comdat
	.protected	_ZN7rocprim17ROCPRIM_400000_NS6detail17trampoline_kernelINS0_14default_configENS1_20scan_config_selectorIiEEZZNS1_9scan_implILNS1_25lookback_scan_determinismE0ELb1ELb1ES3_N6thrust23THRUST_200600_302600_NS6detail15normal_iteratorINS9_10device_ptrIiEEEENS9_16discard_iteratorINS9_11use_defaultEEEi11max_functorIiEiEEDaPvRmT3_T4_T5_mT6_P12ihipStream_tbENKUlT_T0_E_clISt17integral_constantIbLb1EESW_IbLb0EEEEDaSS_ST_EUlSS_E0_NS1_11comp_targetILNS1_3genE0ELNS1_11target_archE4294967295ELNS1_3gpuE0ELNS1_3repE0EEENS1_30default_config_static_selectorELNS0_4arch9wavefront6targetE1EEEvT1_ ; -- Begin function _ZN7rocprim17ROCPRIM_400000_NS6detail17trampoline_kernelINS0_14default_configENS1_20scan_config_selectorIiEEZZNS1_9scan_implILNS1_25lookback_scan_determinismE0ELb1ELb1ES3_N6thrust23THRUST_200600_302600_NS6detail15normal_iteratorINS9_10device_ptrIiEEEENS9_16discard_iteratorINS9_11use_defaultEEEi11max_functorIiEiEEDaPvRmT3_T4_T5_mT6_P12ihipStream_tbENKUlT_T0_E_clISt17integral_constantIbLb1EESW_IbLb0EEEEDaSS_ST_EUlSS_E0_NS1_11comp_targetILNS1_3genE0ELNS1_11target_archE4294967295ELNS1_3gpuE0ELNS1_3repE0EEENS1_30default_config_static_selectorELNS0_4arch9wavefront6targetE1EEEvT1_
	.globl	_ZN7rocprim17ROCPRIM_400000_NS6detail17trampoline_kernelINS0_14default_configENS1_20scan_config_selectorIiEEZZNS1_9scan_implILNS1_25lookback_scan_determinismE0ELb1ELb1ES3_N6thrust23THRUST_200600_302600_NS6detail15normal_iteratorINS9_10device_ptrIiEEEENS9_16discard_iteratorINS9_11use_defaultEEEi11max_functorIiEiEEDaPvRmT3_T4_T5_mT6_P12ihipStream_tbENKUlT_T0_E_clISt17integral_constantIbLb1EESW_IbLb0EEEEDaSS_ST_EUlSS_E0_NS1_11comp_targetILNS1_3genE0ELNS1_11target_archE4294967295ELNS1_3gpuE0ELNS1_3repE0EEENS1_30default_config_static_selectorELNS0_4arch9wavefront6targetE1EEEvT1_
	.p2align	8
	.type	_ZN7rocprim17ROCPRIM_400000_NS6detail17trampoline_kernelINS0_14default_configENS1_20scan_config_selectorIiEEZZNS1_9scan_implILNS1_25lookback_scan_determinismE0ELb1ELb1ES3_N6thrust23THRUST_200600_302600_NS6detail15normal_iteratorINS9_10device_ptrIiEEEENS9_16discard_iteratorINS9_11use_defaultEEEi11max_functorIiEiEEDaPvRmT3_T4_T5_mT6_P12ihipStream_tbENKUlT_T0_E_clISt17integral_constantIbLb1EESW_IbLb0EEEEDaSS_ST_EUlSS_E0_NS1_11comp_targetILNS1_3genE0ELNS1_11target_archE4294967295ELNS1_3gpuE0ELNS1_3repE0EEENS1_30default_config_static_selectorELNS0_4arch9wavefront6targetE1EEEvT1_,@function
_ZN7rocprim17ROCPRIM_400000_NS6detail17trampoline_kernelINS0_14default_configENS1_20scan_config_selectorIiEEZZNS1_9scan_implILNS1_25lookback_scan_determinismE0ELb1ELb1ES3_N6thrust23THRUST_200600_302600_NS6detail15normal_iteratorINS9_10device_ptrIiEEEENS9_16discard_iteratorINS9_11use_defaultEEEi11max_functorIiEiEEDaPvRmT3_T4_T5_mT6_P12ihipStream_tbENKUlT_T0_E_clISt17integral_constantIbLb1EESW_IbLb0EEEEDaSS_ST_EUlSS_E0_NS1_11comp_targetILNS1_3genE0ELNS1_11target_archE4294967295ELNS1_3gpuE0ELNS1_3repE0EEENS1_30default_config_static_selectorELNS0_4arch9wavefront6targetE1EEEvT1_: ; @_ZN7rocprim17ROCPRIM_400000_NS6detail17trampoline_kernelINS0_14default_configENS1_20scan_config_selectorIiEEZZNS1_9scan_implILNS1_25lookback_scan_determinismE0ELb1ELb1ES3_N6thrust23THRUST_200600_302600_NS6detail15normal_iteratorINS9_10device_ptrIiEEEENS9_16discard_iteratorINS9_11use_defaultEEEi11max_functorIiEiEEDaPvRmT3_T4_T5_mT6_P12ihipStream_tbENKUlT_T0_E_clISt17integral_constantIbLb1EESW_IbLb0EEEEDaSS_ST_EUlSS_E0_NS1_11comp_targetILNS1_3genE0ELNS1_11target_archE4294967295ELNS1_3gpuE0ELNS1_3repE0EEENS1_30default_config_static_selectorELNS0_4arch9wavefront6targetE1EEEvT1_
; %bb.0:
	.section	.rodata,"a",@progbits
	.p2align	6, 0x0
	.amdhsa_kernel _ZN7rocprim17ROCPRIM_400000_NS6detail17trampoline_kernelINS0_14default_configENS1_20scan_config_selectorIiEEZZNS1_9scan_implILNS1_25lookback_scan_determinismE0ELb1ELb1ES3_N6thrust23THRUST_200600_302600_NS6detail15normal_iteratorINS9_10device_ptrIiEEEENS9_16discard_iteratorINS9_11use_defaultEEEi11max_functorIiEiEEDaPvRmT3_T4_T5_mT6_P12ihipStream_tbENKUlT_T0_E_clISt17integral_constantIbLb1EESW_IbLb0EEEEDaSS_ST_EUlSS_E0_NS1_11comp_targetILNS1_3genE0ELNS1_11target_archE4294967295ELNS1_3gpuE0ELNS1_3repE0EEENS1_30default_config_static_selectorELNS0_4arch9wavefront6targetE1EEEvT1_
		.amdhsa_group_segment_fixed_size 0
		.amdhsa_private_segment_fixed_size 0
		.amdhsa_kernarg_size 40
		.amdhsa_user_sgpr_count 6
		.amdhsa_user_sgpr_private_segment_buffer 1
		.amdhsa_user_sgpr_dispatch_ptr 0
		.amdhsa_user_sgpr_queue_ptr 0
		.amdhsa_user_sgpr_kernarg_segment_ptr 1
		.amdhsa_user_sgpr_dispatch_id 0
		.amdhsa_user_sgpr_flat_scratch_init 0
		.amdhsa_user_sgpr_kernarg_preload_length 0
		.amdhsa_user_sgpr_kernarg_preload_offset 0
		.amdhsa_user_sgpr_private_segment_size 0
		.amdhsa_uses_dynamic_stack 0
		.amdhsa_system_sgpr_private_segment_wavefront_offset 0
		.amdhsa_system_sgpr_workgroup_id_x 1
		.amdhsa_system_sgpr_workgroup_id_y 0
		.amdhsa_system_sgpr_workgroup_id_z 0
		.amdhsa_system_sgpr_workgroup_info 0
		.amdhsa_system_vgpr_workitem_id 0
		.amdhsa_next_free_vgpr 1
		.amdhsa_next_free_sgpr 0
		.amdhsa_accum_offset 4
		.amdhsa_reserve_vcc 0
		.amdhsa_reserve_flat_scratch 0
		.amdhsa_float_round_mode_32 0
		.amdhsa_float_round_mode_16_64 0
		.amdhsa_float_denorm_mode_32 3
		.amdhsa_float_denorm_mode_16_64 3
		.amdhsa_dx10_clamp 1
		.amdhsa_ieee_mode 1
		.amdhsa_fp16_overflow 0
		.amdhsa_tg_split 0
		.amdhsa_exception_fp_ieee_invalid_op 0
		.amdhsa_exception_fp_denorm_src 0
		.amdhsa_exception_fp_ieee_div_zero 0
		.amdhsa_exception_fp_ieee_overflow 0
		.amdhsa_exception_fp_ieee_underflow 0
		.amdhsa_exception_fp_ieee_inexact 0
		.amdhsa_exception_int_div_zero 0
	.end_amdhsa_kernel
	.section	.text._ZN7rocprim17ROCPRIM_400000_NS6detail17trampoline_kernelINS0_14default_configENS1_20scan_config_selectorIiEEZZNS1_9scan_implILNS1_25lookback_scan_determinismE0ELb1ELb1ES3_N6thrust23THRUST_200600_302600_NS6detail15normal_iteratorINS9_10device_ptrIiEEEENS9_16discard_iteratorINS9_11use_defaultEEEi11max_functorIiEiEEDaPvRmT3_T4_T5_mT6_P12ihipStream_tbENKUlT_T0_E_clISt17integral_constantIbLb1EESW_IbLb0EEEEDaSS_ST_EUlSS_E0_NS1_11comp_targetILNS1_3genE0ELNS1_11target_archE4294967295ELNS1_3gpuE0ELNS1_3repE0EEENS1_30default_config_static_selectorELNS0_4arch9wavefront6targetE1EEEvT1_,"axG",@progbits,_ZN7rocprim17ROCPRIM_400000_NS6detail17trampoline_kernelINS0_14default_configENS1_20scan_config_selectorIiEEZZNS1_9scan_implILNS1_25lookback_scan_determinismE0ELb1ELb1ES3_N6thrust23THRUST_200600_302600_NS6detail15normal_iteratorINS9_10device_ptrIiEEEENS9_16discard_iteratorINS9_11use_defaultEEEi11max_functorIiEiEEDaPvRmT3_T4_T5_mT6_P12ihipStream_tbENKUlT_T0_E_clISt17integral_constantIbLb1EESW_IbLb0EEEEDaSS_ST_EUlSS_E0_NS1_11comp_targetILNS1_3genE0ELNS1_11target_archE4294967295ELNS1_3gpuE0ELNS1_3repE0EEENS1_30default_config_static_selectorELNS0_4arch9wavefront6targetE1EEEvT1_,comdat
.Lfunc_end3971:
	.size	_ZN7rocprim17ROCPRIM_400000_NS6detail17trampoline_kernelINS0_14default_configENS1_20scan_config_selectorIiEEZZNS1_9scan_implILNS1_25lookback_scan_determinismE0ELb1ELb1ES3_N6thrust23THRUST_200600_302600_NS6detail15normal_iteratorINS9_10device_ptrIiEEEENS9_16discard_iteratorINS9_11use_defaultEEEi11max_functorIiEiEEDaPvRmT3_T4_T5_mT6_P12ihipStream_tbENKUlT_T0_E_clISt17integral_constantIbLb1EESW_IbLb0EEEEDaSS_ST_EUlSS_E0_NS1_11comp_targetILNS1_3genE0ELNS1_11target_archE4294967295ELNS1_3gpuE0ELNS1_3repE0EEENS1_30default_config_static_selectorELNS0_4arch9wavefront6targetE1EEEvT1_, .Lfunc_end3971-_ZN7rocprim17ROCPRIM_400000_NS6detail17trampoline_kernelINS0_14default_configENS1_20scan_config_selectorIiEEZZNS1_9scan_implILNS1_25lookback_scan_determinismE0ELb1ELb1ES3_N6thrust23THRUST_200600_302600_NS6detail15normal_iteratorINS9_10device_ptrIiEEEENS9_16discard_iteratorINS9_11use_defaultEEEi11max_functorIiEiEEDaPvRmT3_T4_T5_mT6_P12ihipStream_tbENKUlT_T0_E_clISt17integral_constantIbLb1EESW_IbLb0EEEEDaSS_ST_EUlSS_E0_NS1_11comp_targetILNS1_3genE0ELNS1_11target_archE4294967295ELNS1_3gpuE0ELNS1_3repE0EEENS1_30default_config_static_selectorELNS0_4arch9wavefront6targetE1EEEvT1_
                                        ; -- End function
	.section	.AMDGPU.csdata,"",@progbits
; Kernel info:
; codeLenInByte = 0
; NumSgprs: 4
; NumVgprs: 0
; NumAgprs: 0
; TotalNumVgprs: 0
; ScratchSize: 0
; MemoryBound: 0
; FloatMode: 240
; IeeeMode: 1
; LDSByteSize: 0 bytes/workgroup (compile time only)
; SGPRBlocks: 0
; VGPRBlocks: 0
; NumSGPRsForWavesPerEU: 4
; NumVGPRsForWavesPerEU: 1
; AccumOffset: 4
; Occupancy: 8
; WaveLimiterHint : 0
; COMPUTE_PGM_RSRC2:SCRATCH_EN: 0
; COMPUTE_PGM_RSRC2:USER_SGPR: 6
; COMPUTE_PGM_RSRC2:TRAP_HANDLER: 0
; COMPUTE_PGM_RSRC2:TGID_X_EN: 1
; COMPUTE_PGM_RSRC2:TGID_Y_EN: 0
; COMPUTE_PGM_RSRC2:TGID_Z_EN: 0
; COMPUTE_PGM_RSRC2:TIDIG_COMP_CNT: 0
; COMPUTE_PGM_RSRC3_GFX90A:ACCUM_OFFSET: 0
; COMPUTE_PGM_RSRC3_GFX90A:TG_SPLIT: 0
	.section	.text._ZN7rocprim17ROCPRIM_400000_NS6detail17trampoline_kernelINS0_14default_configENS1_20scan_config_selectorIiEEZZNS1_9scan_implILNS1_25lookback_scan_determinismE0ELb1ELb1ES3_N6thrust23THRUST_200600_302600_NS6detail15normal_iteratorINS9_10device_ptrIiEEEENS9_16discard_iteratorINS9_11use_defaultEEEi11max_functorIiEiEEDaPvRmT3_T4_T5_mT6_P12ihipStream_tbENKUlT_T0_E_clISt17integral_constantIbLb1EESW_IbLb0EEEEDaSS_ST_EUlSS_E0_NS1_11comp_targetILNS1_3genE5ELNS1_11target_archE942ELNS1_3gpuE9ELNS1_3repE0EEENS1_30default_config_static_selectorELNS0_4arch9wavefront6targetE1EEEvT1_,"axG",@progbits,_ZN7rocprim17ROCPRIM_400000_NS6detail17trampoline_kernelINS0_14default_configENS1_20scan_config_selectorIiEEZZNS1_9scan_implILNS1_25lookback_scan_determinismE0ELb1ELb1ES3_N6thrust23THRUST_200600_302600_NS6detail15normal_iteratorINS9_10device_ptrIiEEEENS9_16discard_iteratorINS9_11use_defaultEEEi11max_functorIiEiEEDaPvRmT3_T4_T5_mT6_P12ihipStream_tbENKUlT_T0_E_clISt17integral_constantIbLb1EESW_IbLb0EEEEDaSS_ST_EUlSS_E0_NS1_11comp_targetILNS1_3genE5ELNS1_11target_archE942ELNS1_3gpuE9ELNS1_3repE0EEENS1_30default_config_static_selectorELNS0_4arch9wavefront6targetE1EEEvT1_,comdat
	.protected	_ZN7rocprim17ROCPRIM_400000_NS6detail17trampoline_kernelINS0_14default_configENS1_20scan_config_selectorIiEEZZNS1_9scan_implILNS1_25lookback_scan_determinismE0ELb1ELb1ES3_N6thrust23THRUST_200600_302600_NS6detail15normal_iteratorINS9_10device_ptrIiEEEENS9_16discard_iteratorINS9_11use_defaultEEEi11max_functorIiEiEEDaPvRmT3_T4_T5_mT6_P12ihipStream_tbENKUlT_T0_E_clISt17integral_constantIbLb1EESW_IbLb0EEEEDaSS_ST_EUlSS_E0_NS1_11comp_targetILNS1_3genE5ELNS1_11target_archE942ELNS1_3gpuE9ELNS1_3repE0EEENS1_30default_config_static_selectorELNS0_4arch9wavefront6targetE1EEEvT1_ ; -- Begin function _ZN7rocprim17ROCPRIM_400000_NS6detail17trampoline_kernelINS0_14default_configENS1_20scan_config_selectorIiEEZZNS1_9scan_implILNS1_25lookback_scan_determinismE0ELb1ELb1ES3_N6thrust23THRUST_200600_302600_NS6detail15normal_iteratorINS9_10device_ptrIiEEEENS9_16discard_iteratorINS9_11use_defaultEEEi11max_functorIiEiEEDaPvRmT3_T4_T5_mT6_P12ihipStream_tbENKUlT_T0_E_clISt17integral_constantIbLb1EESW_IbLb0EEEEDaSS_ST_EUlSS_E0_NS1_11comp_targetILNS1_3genE5ELNS1_11target_archE942ELNS1_3gpuE9ELNS1_3repE0EEENS1_30default_config_static_selectorELNS0_4arch9wavefront6targetE1EEEvT1_
	.globl	_ZN7rocprim17ROCPRIM_400000_NS6detail17trampoline_kernelINS0_14default_configENS1_20scan_config_selectorIiEEZZNS1_9scan_implILNS1_25lookback_scan_determinismE0ELb1ELb1ES3_N6thrust23THRUST_200600_302600_NS6detail15normal_iteratorINS9_10device_ptrIiEEEENS9_16discard_iteratorINS9_11use_defaultEEEi11max_functorIiEiEEDaPvRmT3_T4_T5_mT6_P12ihipStream_tbENKUlT_T0_E_clISt17integral_constantIbLb1EESW_IbLb0EEEEDaSS_ST_EUlSS_E0_NS1_11comp_targetILNS1_3genE5ELNS1_11target_archE942ELNS1_3gpuE9ELNS1_3repE0EEENS1_30default_config_static_selectorELNS0_4arch9wavefront6targetE1EEEvT1_
	.p2align	8
	.type	_ZN7rocprim17ROCPRIM_400000_NS6detail17trampoline_kernelINS0_14default_configENS1_20scan_config_selectorIiEEZZNS1_9scan_implILNS1_25lookback_scan_determinismE0ELb1ELb1ES3_N6thrust23THRUST_200600_302600_NS6detail15normal_iteratorINS9_10device_ptrIiEEEENS9_16discard_iteratorINS9_11use_defaultEEEi11max_functorIiEiEEDaPvRmT3_T4_T5_mT6_P12ihipStream_tbENKUlT_T0_E_clISt17integral_constantIbLb1EESW_IbLb0EEEEDaSS_ST_EUlSS_E0_NS1_11comp_targetILNS1_3genE5ELNS1_11target_archE942ELNS1_3gpuE9ELNS1_3repE0EEENS1_30default_config_static_selectorELNS0_4arch9wavefront6targetE1EEEvT1_,@function
_ZN7rocprim17ROCPRIM_400000_NS6detail17trampoline_kernelINS0_14default_configENS1_20scan_config_selectorIiEEZZNS1_9scan_implILNS1_25lookback_scan_determinismE0ELb1ELb1ES3_N6thrust23THRUST_200600_302600_NS6detail15normal_iteratorINS9_10device_ptrIiEEEENS9_16discard_iteratorINS9_11use_defaultEEEi11max_functorIiEiEEDaPvRmT3_T4_T5_mT6_P12ihipStream_tbENKUlT_T0_E_clISt17integral_constantIbLb1EESW_IbLb0EEEEDaSS_ST_EUlSS_E0_NS1_11comp_targetILNS1_3genE5ELNS1_11target_archE942ELNS1_3gpuE9ELNS1_3repE0EEENS1_30default_config_static_selectorELNS0_4arch9wavefront6targetE1EEEvT1_: ; @_ZN7rocprim17ROCPRIM_400000_NS6detail17trampoline_kernelINS0_14default_configENS1_20scan_config_selectorIiEEZZNS1_9scan_implILNS1_25lookback_scan_determinismE0ELb1ELb1ES3_N6thrust23THRUST_200600_302600_NS6detail15normal_iteratorINS9_10device_ptrIiEEEENS9_16discard_iteratorINS9_11use_defaultEEEi11max_functorIiEiEEDaPvRmT3_T4_T5_mT6_P12ihipStream_tbENKUlT_T0_E_clISt17integral_constantIbLb1EESW_IbLb0EEEEDaSS_ST_EUlSS_E0_NS1_11comp_targetILNS1_3genE5ELNS1_11target_archE942ELNS1_3gpuE9ELNS1_3repE0EEENS1_30default_config_static_selectorELNS0_4arch9wavefront6targetE1EEEvT1_
; %bb.0:
	.section	.rodata,"a",@progbits
	.p2align	6, 0x0
	.amdhsa_kernel _ZN7rocprim17ROCPRIM_400000_NS6detail17trampoline_kernelINS0_14default_configENS1_20scan_config_selectorIiEEZZNS1_9scan_implILNS1_25lookback_scan_determinismE0ELb1ELb1ES3_N6thrust23THRUST_200600_302600_NS6detail15normal_iteratorINS9_10device_ptrIiEEEENS9_16discard_iteratorINS9_11use_defaultEEEi11max_functorIiEiEEDaPvRmT3_T4_T5_mT6_P12ihipStream_tbENKUlT_T0_E_clISt17integral_constantIbLb1EESW_IbLb0EEEEDaSS_ST_EUlSS_E0_NS1_11comp_targetILNS1_3genE5ELNS1_11target_archE942ELNS1_3gpuE9ELNS1_3repE0EEENS1_30default_config_static_selectorELNS0_4arch9wavefront6targetE1EEEvT1_
		.amdhsa_group_segment_fixed_size 0
		.amdhsa_private_segment_fixed_size 0
		.amdhsa_kernarg_size 40
		.amdhsa_user_sgpr_count 6
		.amdhsa_user_sgpr_private_segment_buffer 1
		.amdhsa_user_sgpr_dispatch_ptr 0
		.amdhsa_user_sgpr_queue_ptr 0
		.amdhsa_user_sgpr_kernarg_segment_ptr 1
		.amdhsa_user_sgpr_dispatch_id 0
		.amdhsa_user_sgpr_flat_scratch_init 0
		.amdhsa_user_sgpr_kernarg_preload_length 0
		.amdhsa_user_sgpr_kernarg_preload_offset 0
		.amdhsa_user_sgpr_private_segment_size 0
		.amdhsa_uses_dynamic_stack 0
		.amdhsa_system_sgpr_private_segment_wavefront_offset 0
		.amdhsa_system_sgpr_workgroup_id_x 1
		.amdhsa_system_sgpr_workgroup_id_y 0
		.amdhsa_system_sgpr_workgroup_id_z 0
		.amdhsa_system_sgpr_workgroup_info 0
		.amdhsa_system_vgpr_workitem_id 0
		.amdhsa_next_free_vgpr 1
		.amdhsa_next_free_sgpr 0
		.amdhsa_accum_offset 4
		.amdhsa_reserve_vcc 0
		.amdhsa_reserve_flat_scratch 0
		.amdhsa_float_round_mode_32 0
		.amdhsa_float_round_mode_16_64 0
		.amdhsa_float_denorm_mode_32 3
		.amdhsa_float_denorm_mode_16_64 3
		.amdhsa_dx10_clamp 1
		.amdhsa_ieee_mode 1
		.amdhsa_fp16_overflow 0
		.amdhsa_tg_split 0
		.amdhsa_exception_fp_ieee_invalid_op 0
		.amdhsa_exception_fp_denorm_src 0
		.amdhsa_exception_fp_ieee_div_zero 0
		.amdhsa_exception_fp_ieee_overflow 0
		.amdhsa_exception_fp_ieee_underflow 0
		.amdhsa_exception_fp_ieee_inexact 0
		.amdhsa_exception_int_div_zero 0
	.end_amdhsa_kernel
	.section	.text._ZN7rocprim17ROCPRIM_400000_NS6detail17trampoline_kernelINS0_14default_configENS1_20scan_config_selectorIiEEZZNS1_9scan_implILNS1_25lookback_scan_determinismE0ELb1ELb1ES3_N6thrust23THRUST_200600_302600_NS6detail15normal_iteratorINS9_10device_ptrIiEEEENS9_16discard_iteratorINS9_11use_defaultEEEi11max_functorIiEiEEDaPvRmT3_T4_T5_mT6_P12ihipStream_tbENKUlT_T0_E_clISt17integral_constantIbLb1EESW_IbLb0EEEEDaSS_ST_EUlSS_E0_NS1_11comp_targetILNS1_3genE5ELNS1_11target_archE942ELNS1_3gpuE9ELNS1_3repE0EEENS1_30default_config_static_selectorELNS0_4arch9wavefront6targetE1EEEvT1_,"axG",@progbits,_ZN7rocprim17ROCPRIM_400000_NS6detail17trampoline_kernelINS0_14default_configENS1_20scan_config_selectorIiEEZZNS1_9scan_implILNS1_25lookback_scan_determinismE0ELb1ELb1ES3_N6thrust23THRUST_200600_302600_NS6detail15normal_iteratorINS9_10device_ptrIiEEEENS9_16discard_iteratorINS9_11use_defaultEEEi11max_functorIiEiEEDaPvRmT3_T4_T5_mT6_P12ihipStream_tbENKUlT_T0_E_clISt17integral_constantIbLb1EESW_IbLb0EEEEDaSS_ST_EUlSS_E0_NS1_11comp_targetILNS1_3genE5ELNS1_11target_archE942ELNS1_3gpuE9ELNS1_3repE0EEENS1_30default_config_static_selectorELNS0_4arch9wavefront6targetE1EEEvT1_,comdat
.Lfunc_end3972:
	.size	_ZN7rocprim17ROCPRIM_400000_NS6detail17trampoline_kernelINS0_14default_configENS1_20scan_config_selectorIiEEZZNS1_9scan_implILNS1_25lookback_scan_determinismE0ELb1ELb1ES3_N6thrust23THRUST_200600_302600_NS6detail15normal_iteratorINS9_10device_ptrIiEEEENS9_16discard_iteratorINS9_11use_defaultEEEi11max_functorIiEiEEDaPvRmT3_T4_T5_mT6_P12ihipStream_tbENKUlT_T0_E_clISt17integral_constantIbLb1EESW_IbLb0EEEEDaSS_ST_EUlSS_E0_NS1_11comp_targetILNS1_3genE5ELNS1_11target_archE942ELNS1_3gpuE9ELNS1_3repE0EEENS1_30default_config_static_selectorELNS0_4arch9wavefront6targetE1EEEvT1_, .Lfunc_end3972-_ZN7rocprim17ROCPRIM_400000_NS6detail17trampoline_kernelINS0_14default_configENS1_20scan_config_selectorIiEEZZNS1_9scan_implILNS1_25lookback_scan_determinismE0ELb1ELb1ES3_N6thrust23THRUST_200600_302600_NS6detail15normal_iteratorINS9_10device_ptrIiEEEENS9_16discard_iteratorINS9_11use_defaultEEEi11max_functorIiEiEEDaPvRmT3_T4_T5_mT6_P12ihipStream_tbENKUlT_T0_E_clISt17integral_constantIbLb1EESW_IbLb0EEEEDaSS_ST_EUlSS_E0_NS1_11comp_targetILNS1_3genE5ELNS1_11target_archE942ELNS1_3gpuE9ELNS1_3repE0EEENS1_30default_config_static_selectorELNS0_4arch9wavefront6targetE1EEEvT1_
                                        ; -- End function
	.section	.AMDGPU.csdata,"",@progbits
; Kernel info:
; codeLenInByte = 0
; NumSgprs: 4
; NumVgprs: 0
; NumAgprs: 0
; TotalNumVgprs: 0
; ScratchSize: 0
; MemoryBound: 0
; FloatMode: 240
; IeeeMode: 1
; LDSByteSize: 0 bytes/workgroup (compile time only)
; SGPRBlocks: 0
; VGPRBlocks: 0
; NumSGPRsForWavesPerEU: 4
; NumVGPRsForWavesPerEU: 1
; AccumOffset: 4
; Occupancy: 8
; WaveLimiterHint : 0
; COMPUTE_PGM_RSRC2:SCRATCH_EN: 0
; COMPUTE_PGM_RSRC2:USER_SGPR: 6
; COMPUTE_PGM_RSRC2:TRAP_HANDLER: 0
; COMPUTE_PGM_RSRC2:TGID_X_EN: 1
; COMPUTE_PGM_RSRC2:TGID_Y_EN: 0
; COMPUTE_PGM_RSRC2:TGID_Z_EN: 0
; COMPUTE_PGM_RSRC2:TIDIG_COMP_CNT: 0
; COMPUTE_PGM_RSRC3_GFX90A:ACCUM_OFFSET: 0
; COMPUTE_PGM_RSRC3_GFX90A:TG_SPLIT: 0
	.section	.text._ZN7rocprim17ROCPRIM_400000_NS6detail17trampoline_kernelINS0_14default_configENS1_20scan_config_selectorIiEEZZNS1_9scan_implILNS1_25lookback_scan_determinismE0ELb1ELb1ES3_N6thrust23THRUST_200600_302600_NS6detail15normal_iteratorINS9_10device_ptrIiEEEENS9_16discard_iteratorINS9_11use_defaultEEEi11max_functorIiEiEEDaPvRmT3_T4_T5_mT6_P12ihipStream_tbENKUlT_T0_E_clISt17integral_constantIbLb1EESW_IbLb0EEEEDaSS_ST_EUlSS_E0_NS1_11comp_targetILNS1_3genE4ELNS1_11target_archE910ELNS1_3gpuE8ELNS1_3repE0EEENS1_30default_config_static_selectorELNS0_4arch9wavefront6targetE1EEEvT1_,"axG",@progbits,_ZN7rocprim17ROCPRIM_400000_NS6detail17trampoline_kernelINS0_14default_configENS1_20scan_config_selectorIiEEZZNS1_9scan_implILNS1_25lookback_scan_determinismE0ELb1ELb1ES3_N6thrust23THRUST_200600_302600_NS6detail15normal_iteratorINS9_10device_ptrIiEEEENS9_16discard_iteratorINS9_11use_defaultEEEi11max_functorIiEiEEDaPvRmT3_T4_T5_mT6_P12ihipStream_tbENKUlT_T0_E_clISt17integral_constantIbLb1EESW_IbLb0EEEEDaSS_ST_EUlSS_E0_NS1_11comp_targetILNS1_3genE4ELNS1_11target_archE910ELNS1_3gpuE8ELNS1_3repE0EEENS1_30default_config_static_selectorELNS0_4arch9wavefront6targetE1EEEvT1_,comdat
	.protected	_ZN7rocprim17ROCPRIM_400000_NS6detail17trampoline_kernelINS0_14default_configENS1_20scan_config_selectorIiEEZZNS1_9scan_implILNS1_25lookback_scan_determinismE0ELb1ELb1ES3_N6thrust23THRUST_200600_302600_NS6detail15normal_iteratorINS9_10device_ptrIiEEEENS9_16discard_iteratorINS9_11use_defaultEEEi11max_functorIiEiEEDaPvRmT3_T4_T5_mT6_P12ihipStream_tbENKUlT_T0_E_clISt17integral_constantIbLb1EESW_IbLb0EEEEDaSS_ST_EUlSS_E0_NS1_11comp_targetILNS1_3genE4ELNS1_11target_archE910ELNS1_3gpuE8ELNS1_3repE0EEENS1_30default_config_static_selectorELNS0_4arch9wavefront6targetE1EEEvT1_ ; -- Begin function _ZN7rocprim17ROCPRIM_400000_NS6detail17trampoline_kernelINS0_14default_configENS1_20scan_config_selectorIiEEZZNS1_9scan_implILNS1_25lookback_scan_determinismE0ELb1ELb1ES3_N6thrust23THRUST_200600_302600_NS6detail15normal_iteratorINS9_10device_ptrIiEEEENS9_16discard_iteratorINS9_11use_defaultEEEi11max_functorIiEiEEDaPvRmT3_T4_T5_mT6_P12ihipStream_tbENKUlT_T0_E_clISt17integral_constantIbLb1EESW_IbLb0EEEEDaSS_ST_EUlSS_E0_NS1_11comp_targetILNS1_3genE4ELNS1_11target_archE910ELNS1_3gpuE8ELNS1_3repE0EEENS1_30default_config_static_selectorELNS0_4arch9wavefront6targetE1EEEvT1_
	.globl	_ZN7rocprim17ROCPRIM_400000_NS6detail17trampoline_kernelINS0_14default_configENS1_20scan_config_selectorIiEEZZNS1_9scan_implILNS1_25lookback_scan_determinismE0ELb1ELb1ES3_N6thrust23THRUST_200600_302600_NS6detail15normal_iteratorINS9_10device_ptrIiEEEENS9_16discard_iteratorINS9_11use_defaultEEEi11max_functorIiEiEEDaPvRmT3_T4_T5_mT6_P12ihipStream_tbENKUlT_T0_E_clISt17integral_constantIbLb1EESW_IbLb0EEEEDaSS_ST_EUlSS_E0_NS1_11comp_targetILNS1_3genE4ELNS1_11target_archE910ELNS1_3gpuE8ELNS1_3repE0EEENS1_30default_config_static_selectorELNS0_4arch9wavefront6targetE1EEEvT1_
	.p2align	8
	.type	_ZN7rocprim17ROCPRIM_400000_NS6detail17trampoline_kernelINS0_14default_configENS1_20scan_config_selectorIiEEZZNS1_9scan_implILNS1_25lookback_scan_determinismE0ELb1ELb1ES3_N6thrust23THRUST_200600_302600_NS6detail15normal_iteratorINS9_10device_ptrIiEEEENS9_16discard_iteratorINS9_11use_defaultEEEi11max_functorIiEiEEDaPvRmT3_T4_T5_mT6_P12ihipStream_tbENKUlT_T0_E_clISt17integral_constantIbLb1EESW_IbLb0EEEEDaSS_ST_EUlSS_E0_NS1_11comp_targetILNS1_3genE4ELNS1_11target_archE910ELNS1_3gpuE8ELNS1_3repE0EEENS1_30default_config_static_selectorELNS0_4arch9wavefront6targetE1EEEvT1_,@function
_ZN7rocprim17ROCPRIM_400000_NS6detail17trampoline_kernelINS0_14default_configENS1_20scan_config_selectorIiEEZZNS1_9scan_implILNS1_25lookback_scan_determinismE0ELb1ELb1ES3_N6thrust23THRUST_200600_302600_NS6detail15normal_iteratorINS9_10device_ptrIiEEEENS9_16discard_iteratorINS9_11use_defaultEEEi11max_functorIiEiEEDaPvRmT3_T4_T5_mT6_P12ihipStream_tbENKUlT_T0_E_clISt17integral_constantIbLb1EESW_IbLb0EEEEDaSS_ST_EUlSS_E0_NS1_11comp_targetILNS1_3genE4ELNS1_11target_archE910ELNS1_3gpuE8ELNS1_3repE0EEENS1_30default_config_static_selectorELNS0_4arch9wavefront6targetE1EEEvT1_: ; @_ZN7rocprim17ROCPRIM_400000_NS6detail17trampoline_kernelINS0_14default_configENS1_20scan_config_selectorIiEEZZNS1_9scan_implILNS1_25lookback_scan_determinismE0ELb1ELb1ES3_N6thrust23THRUST_200600_302600_NS6detail15normal_iteratorINS9_10device_ptrIiEEEENS9_16discard_iteratorINS9_11use_defaultEEEi11max_functorIiEiEEDaPvRmT3_T4_T5_mT6_P12ihipStream_tbENKUlT_T0_E_clISt17integral_constantIbLb1EESW_IbLb0EEEEDaSS_ST_EUlSS_E0_NS1_11comp_targetILNS1_3genE4ELNS1_11target_archE910ELNS1_3gpuE8ELNS1_3repE0EEENS1_30default_config_static_selectorELNS0_4arch9wavefront6targetE1EEEvT1_
; %bb.0:
	s_load_dwordx4 s[0:3], s[4:5], 0x0
	v_lshlrev_b32_e32 v1, 2, v0
	s_waitcnt lgkmcnt(0)
	s_load_dword s3, s[0:1], 0x0
	v_cmp_gt_u32_e32 vcc, s2, v0
	s_waitcnt lgkmcnt(0)
	v_mov_b32_e32 v2, s3
	s_and_saveexec_b64 s[6:7], vcc
	s_cbranch_execz .LBB3973_2
; %bb.1:
	global_load_dword v2, v1, s[0:1]
.LBB3973_2:
	s_or_b64 exec, exec, s[6:7]
	v_or_b32_e32 v3, 0x80, v0
	v_cmp_gt_u32_e32 vcc, s2, v3
	v_mov_b32_e32 v3, s3
	s_and_saveexec_b64 s[6:7], vcc
	s_cbranch_execz .LBB3973_4
; %bb.3:
	global_load_dword v3, v1, s[0:1] offset:512
.LBB3973_4:
	s_or_b64 exec, exec, s[6:7]
	v_or_b32_e32 v4, 0x100, v0
	v_cmp_gt_u32_e32 vcc, s2, v4
	v_mov_b32_e32 v4, s3
	s_and_saveexec_b64 s[6:7], vcc
	s_cbranch_execz .LBB3973_6
; %bb.5:
	global_load_dword v4, v1, s[0:1] offset:1024
.LBB3973_6:
	;; [unrolled: 9-line block ×7, first 2 shown]
	s_or_b64 exec, exec, s[6:7]
	v_or_b32_e32 v11, 0x400, v0
	v_cmp_gt_u32_e32 vcc, s2, v11
	v_mov_b32_e32 v10, s3
	s_and_saveexec_b64 s[6:7], vcc
	s_cbranch_execz .LBB3973_18
; %bb.17:
	v_lshlrev_b32_e32 v10, 2, v11
	global_load_dword v10, v10, s[0:1]
.LBB3973_18:
	s_or_b64 exec, exec, s[6:7]
	s_load_dword s4, s[4:5], 0x10
	v_or_b32_e32 v12, 0x480, v0
	v_cmp_gt_u32_e32 vcc, s2, v12
	v_mov_b32_e32 v11, s3
	s_and_saveexec_b64 s[2:3], vcc
	s_cbranch_execz .LBB3973_20
; %bb.19:
	v_lshlrev_b32_e32 v11, 2, v12
	global_load_dword v11, v11, s[0:1]
.LBB3973_20:
	s_or_b64 exec, exec, s[2:3]
	s_waitcnt vmcnt(0)
	ds_write2st64_b32 v1, v2, v3 offset1:2
	ds_write2st64_b32 v1, v4, v5 offset0:4 offset1:6
	ds_write2st64_b32 v1, v6, v7 offset0:8 offset1:10
	;; [unrolled: 1-line block ×4, first 2 shown]
	v_mad_u32_u24 v10, v0, 36, v1
	s_waitcnt lgkmcnt(0)
	s_barrier
	ds_read2_b64 v[6:9], v10 offset1:1
	ds_read2_b64 v[2:5], v10 offset0:2 offset1:3
	ds_read_b64 v[10:11], v10 offset:32
	v_cmp_gt_u32_e32 vcc, 64, v0
	s_waitcnt lgkmcnt(0)
	v_max_i32_e32 v12, v6, v7
	v_max3_i32 v12, v12, v8, v9
	v_max3_i32 v12, v12, v2, v3
	;; [unrolled: 1-line block ×4, first 2 shown]
	v_lshrrev_b32_e32 v12, 3, v0
	v_and_b32_e32 v12, 12, v12
	v_add_u32_e32 v12, v1, v12
	s_barrier
	ds_write_b32 v12, v11
	s_waitcnt lgkmcnt(0)
	s_barrier
	s_and_saveexec_b64 s[0:1], vcc
	s_cbranch_execz .LBB3973_22
; %bb.21:
	v_lshlrev_b32_e32 v12, 1, v0
	v_lshrrev_b32_e32 v13, 4, v0
	v_add_lshl_u32 v14, v13, v12, 2
	ds_read2_b32 v[12:13], v14 offset1:1
	v_mbcnt_lo_u32_b32 v15, -1, 0
	v_mbcnt_hi_u32_b32 v15, -1, v15
	v_and_b32_e32 v16, 15, v15
	v_cmp_eq_u32_e32 vcc, 0, v16
	s_waitcnt lgkmcnt(0)
	v_max_i32_e32 v13, v12, v13
	; wave barrier
	s_nop 1
	v_mov_b32_dpp v17, v13 row_shr:1 row_mask:0xf bank_mask:0xf
	v_max_i32_e32 v17, v17, v13
	v_cndmask_b32_e32 v13, v17, v13, vcc
	v_cmp_lt_u32_e32 vcc, 1, v16
	s_nop 0
	v_mov_b32_dpp v17, v13 row_shr:2 row_mask:0xf bank_mask:0xf
	v_max_i32_e32 v17, v17, v13
	v_cndmask_b32_e32 v13, v13, v17, vcc
	v_cmp_lt_u32_e32 vcc, 3, v16
	;; [unrolled: 5-line block ×3, first 2 shown]
	s_nop 0
	v_mov_b32_dpp v17, v13 row_shr:8 row_mask:0xf bank_mask:0xf
	v_max_i32_e32 v17, v17, v13
	v_cndmask_b32_e32 v13, v13, v17, vcc
	v_and_b32_e32 v17, 16, v15
	v_cmp_eq_u32_e32 vcc, 0, v17
	v_mov_b32_dpp v16, v13 row_bcast:15 row_mask:0xf bank_mask:0xf
	v_max_i32_e32 v16, v16, v13
	v_cndmask_b32_e32 v13, v16, v13, vcc
	v_cmp_lt_u32_e32 vcc, 31, v15
	v_and_b32_e32 v17, 64, v15
	v_mov_b32_dpp v16, v13 row_bcast:31 row_mask:0xf bank_mask:0xf
	v_max_i32_e32 v16, v16, v13
	v_cndmask_b32_e32 v13, v13, v16, vcc
	v_add_u32_e32 v16, -1, v15
	v_cmp_lt_i32_e32 vcc, v16, v17
	v_cndmask_b32_e32 v15, v16, v15, vcc
	v_lshlrev_b32_e32 v15, 2, v15
	ds_bpermute_b32 v13, v15, v13
	v_cmp_eq_u32_e32 vcc, 0, v0
	s_waitcnt lgkmcnt(0)
	v_max_i32_e32 v12, v13, v12
	v_cndmask_b32_e32 v11, v12, v11, vcc
	ds_write_b32 v14, v11
	; wave barrier
	ds_read_b32 v12, v14 offset:4
	s_waitcnt lgkmcnt(0)
	v_max_i32_e32 v11, v11, v12
	ds_write_b32 v14, v11 offset:4
.LBB3973_22:
	s_or_b64 exec, exec, s[0:1]
	v_mul_u32_u24_e32 v11, 36, v0
	v_cmp_ne_u32_e32 vcc, 0, v0
	v_mov_b32_e32 v12, s4
	s_waitcnt lgkmcnt(0)
	s_barrier
	s_and_saveexec_b64 s[0:1], vcc
	s_cbranch_execz .LBB3973_24
; %bb.23:
	v_add_u32_e32 v0, -1, v0
	v_lshrrev_b32_e32 v12, 5, v0
	v_add_lshl_u32 v0, v12, v0, 2
	ds_read_b32 v0, v0
	s_waitcnt lgkmcnt(0)
	v_max_i32_e32 v12, s4, v0
.LBB3973_24:
	s_or_b64 exec, exec, s[0:1]
	v_max_i32_e32 v13, v12, v6
	v_max_i32_e32 v6, v13, v7
	;; [unrolled: 1-line block ×8, first 2 shown]
	v_add_u32_e32 v0, v1, v11
	v_max_i32_e32 v5, v4, v10
	s_barrier
	ds_write2_b64 v0, v[12:13], v[6:7] offset1:1
	ds_write2_b64 v0, v[8:9], v[2:3] offset0:2 offset1:3
	ds_write_b64 v0, v[4:5] offset:32
	s_waitcnt lgkmcnt(0)
	s_barrier
	s_endpgm
	.section	.rodata,"a",@progbits
	.p2align	6, 0x0
	.amdhsa_kernel _ZN7rocprim17ROCPRIM_400000_NS6detail17trampoline_kernelINS0_14default_configENS1_20scan_config_selectorIiEEZZNS1_9scan_implILNS1_25lookback_scan_determinismE0ELb1ELb1ES3_N6thrust23THRUST_200600_302600_NS6detail15normal_iteratorINS9_10device_ptrIiEEEENS9_16discard_iteratorINS9_11use_defaultEEEi11max_functorIiEiEEDaPvRmT3_T4_T5_mT6_P12ihipStream_tbENKUlT_T0_E_clISt17integral_constantIbLb1EESW_IbLb0EEEEDaSS_ST_EUlSS_E0_NS1_11comp_targetILNS1_3genE4ELNS1_11target_archE910ELNS1_3gpuE8ELNS1_3repE0EEENS1_30default_config_static_selectorELNS0_4arch9wavefront6targetE1EEEvT1_
		.amdhsa_group_segment_fixed_size 5120
		.amdhsa_private_segment_fixed_size 0
		.amdhsa_kernarg_size 40
		.amdhsa_user_sgpr_count 6
		.amdhsa_user_sgpr_private_segment_buffer 1
		.amdhsa_user_sgpr_dispatch_ptr 0
		.amdhsa_user_sgpr_queue_ptr 0
		.amdhsa_user_sgpr_kernarg_segment_ptr 1
		.amdhsa_user_sgpr_dispatch_id 0
		.amdhsa_user_sgpr_flat_scratch_init 0
		.amdhsa_user_sgpr_kernarg_preload_length 0
		.amdhsa_user_sgpr_kernarg_preload_offset 0
		.amdhsa_user_sgpr_private_segment_size 0
		.amdhsa_uses_dynamic_stack 0
		.amdhsa_system_sgpr_private_segment_wavefront_offset 0
		.amdhsa_system_sgpr_workgroup_id_x 1
		.amdhsa_system_sgpr_workgroup_id_y 0
		.amdhsa_system_sgpr_workgroup_id_z 0
		.amdhsa_system_sgpr_workgroup_info 0
		.amdhsa_system_vgpr_workitem_id 0
		.amdhsa_next_free_vgpr 18
		.amdhsa_next_free_sgpr 8
		.amdhsa_accum_offset 20
		.amdhsa_reserve_vcc 1
		.amdhsa_reserve_flat_scratch 0
		.amdhsa_float_round_mode_32 0
		.amdhsa_float_round_mode_16_64 0
		.amdhsa_float_denorm_mode_32 3
		.amdhsa_float_denorm_mode_16_64 3
		.amdhsa_dx10_clamp 1
		.amdhsa_ieee_mode 1
		.amdhsa_fp16_overflow 0
		.amdhsa_tg_split 0
		.amdhsa_exception_fp_ieee_invalid_op 0
		.amdhsa_exception_fp_denorm_src 0
		.amdhsa_exception_fp_ieee_div_zero 0
		.amdhsa_exception_fp_ieee_overflow 0
		.amdhsa_exception_fp_ieee_underflow 0
		.amdhsa_exception_fp_ieee_inexact 0
		.amdhsa_exception_int_div_zero 0
	.end_amdhsa_kernel
	.section	.text._ZN7rocprim17ROCPRIM_400000_NS6detail17trampoline_kernelINS0_14default_configENS1_20scan_config_selectorIiEEZZNS1_9scan_implILNS1_25lookback_scan_determinismE0ELb1ELb1ES3_N6thrust23THRUST_200600_302600_NS6detail15normal_iteratorINS9_10device_ptrIiEEEENS9_16discard_iteratorINS9_11use_defaultEEEi11max_functorIiEiEEDaPvRmT3_T4_T5_mT6_P12ihipStream_tbENKUlT_T0_E_clISt17integral_constantIbLb1EESW_IbLb0EEEEDaSS_ST_EUlSS_E0_NS1_11comp_targetILNS1_3genE4ELNS1_11target_archE910ELNS1_3gpuE8ELNS1_3repE0EEENS1_30default_config_static_selectorELNS0_4arch9wavefront6targetE1EEEvT1_,"axG",@progbits,_ZN7rocprim17ROCPRIM_400000_NS6detail17trampoline_kernelINS0_14default_configENS1_20scan_config_selectorIiEEZZNS1_9scan_implILNS1_25lookback_scan_determinismE0ELb1ELb1ES3_N6thrust23THRUST_200600_302600_NS6detail15normal_iteratorINS9_10device_ptrIiEEEENS9_16discard_iteratorINS9_11use_defaultEEEi11max_functorIiEiEEDaPvRmT3_T4_T5_mT6_P12ihipStream_tbENKUlT_T0_E_clISt17integral_constantIbLb1EESW_IbLb0EEEEDaSS_ST_EUlSS_E0_NS1_11comp_targetILNS1_3genE4ELNS1_11target_archE910ELNS1_3gpuE8ELNS1_3repE0EEENS1_30default_config_static_selectorELNS0_4arch9wavefront6targetE1EEEvT1_,comdat
.Lfunc_end3973:
	.size	_ZN7rocprim17ROCPRIM_400000_NS6detail17trampoline_kernelINS0_14default_configENS1_20scan_config_selectorIiEEZZNS1_9scan_implILNS1_25lookback_scan_determinismE0ELb1ELb1ES3_N6thrust23THRUST_200600_302600_NS6detail15normal_iteratorINS9_10device_ptrIiEEEENS9_16discard_iteratorINS9_11use_defaultEEEi11max_functorIiEiEEDaPvRmT3_T4_T5_mT6_P12ihipStream_tbENKUlT_T0_E_clISt17integral_constantIbLb1EESW_IbLb0EEEEDaSS_ST_EUlSS_E0_NS1_11comp_targetILNS1_3genE4ELNS1_11target_archE910ELNS1_3gpuE8ELNS1_3repE0EEENS1_30default_config_static_selectorELNS0_4arch9wavefront6targetE1EEEvT1_, .Lfunc_end3973-_ZN7rocprim17ROCPRIM_400000_NS6detail17trampoline_kernelINS0_14default_configENS1_20scan_config_selectorIiEEZZNS1_9scan_implILNS1_25lookback_scan_determinismE0ELb1ELb1ES3_N6thrust23THRUST_200600_302600_NS6detail15normal_iteratorINS9_10device_ptrIiEEEENS9_16discard_iteratorINS9_11use_defaultEEEi11max_functorIiEiEEDaPvRmT3_T4_T5_mT6_P12ihipStream_tbENKUlT_T0_E_clISt17integral_constantIbLb1EESW_IbLb0EEEEDaSS_ST_EUlSS_E0_NS1_11comp_targetILNS1_3genE4ELNS1_11target_archE910ELNS1_3gpuE8ELNS1_3repE0EEENS1_30default_config_static_selectorELNS0_4arch9wavefront6targetE1EEEvT1_
                                        ; -- End function
	.section	.AMDGPU.csdata,"",@progbits
; Kernel info:
; codeLenInByte = 980
; NumSgprs: 12
; NumVgprs: 18
; NumAgprs: 0
; TotalNumVgprs: 18
; ScratchSize: 0
; MemoryBound: 0
; FloatMode: 240
; IeeeMode: 1
; LDSByteSize: 5120 bytes/workgroup (compile time only)
; SGPRBlocks: 1
; VGPRBlocks: 2
; NumSGPRsForWavesPerEU: 12
; NumVGPRsForWavesPerEU: 18
; AccumOffset: 20
; Occupancy: 6
; WaveLimiterHint : 0
; COMPUTE_PGM_RSRC2:SCRATCH_EN: 0
; COMPUTE_PGM_RSRC2:USER_SGPR: 6
; COMPUTE_PGM_RSRC2:TRAP_HANDLER: 0
; COMPUTE_PGM_RSRC2:TGID_X_EN: 1
; COMPUTE_PGM_RSRC2:TGID_Y_EN: 0
; COMPUTE_PGM_RSRC2:TGID_Z_EN: 0
; COMPUTE_PGM_RSRC2:TIDIG_COMP_CNT: 0
; COMPUTE_PGM_RSRC3_GFX90A:ACCUM_OFFSET: 4
; COMPUTE_PGM_RSRC3_GFX90A:TG_SPLIT: 0
	.section	.text._ZN7rocprim17ROCPRIM_400000_NS6detail17trampoline_kernelINS0_14default_configENS1_20scan_config_selectorIiEEZZNS1_9scan_implILNS1_25lookback_scan_determinismE0ELb1ELb1ES3_N6thrust23THRUST_200600_302600_NS6detail15normal_iteratorINS9_10device_ptrIiEEEENS9_16discard_iteratorINS9_11use_defaultEEEi11max_functorIiEiEEDaPvRmT3_T4_T5_mT6_P12ihipStream_tbENKUlT_T0_E_clISt17integral_constantIbLb1EESW_IbLb0EEEEDaSS_ST_EUlSS_E0_NS1_11comp_targetILNS1_3genE3ELNS1_11target_archE908ELNS1_3gpuE7ELNS1_3repE0EEENS1_30default_config_static_selectorELNS0_4arch9wavefront6targetE1EEEvT1_,"axG",@progbits,_ZN7rocprim17ROCPRIM_400000_NS6detail17trampoline_kernelINS0_14default_configENS1_20scan_config_selectorIiEEZZNS1_9scan_implILNS1_25lookback_scan_determinismE0ELb1ELb1ES3_N6thrust23THRUST_200600_302600_NS6detail15normal_iteratorINS9_10device_ptrIiEEEENS9_16discard_iteratorINS9_11use_defaultEEEi11max_functorIiEiEEDaPvRmT3_T4_T5_mT6_P12ihipStream_tbENKUlT_T0_E_clISt17integral_constantIbLb1EESW_IbLb0EEEEDaSS_ST_EUlSS_E0_NS1_11comp_targetILNS1_3genE3ELNS1_11target_archE908ELNS1_3gpuE7ELNS1_3repE0EEENS1_30default_config_static_selectorELNS0_4arch9wavefront6targetE1EEEvT1_,comdat
	.protected	_ZN7rocprim17ROCPRIM_400000_NS6detail17trampoline_kernelINS0_14default_configENS1_20scan_config_selectorIiEEZZNS1_9scan_implILNS1_25lookback_scan_determinismE0ELb1ELb1ES3_N6thrust23THRUST_200600_302600_NS6detail15normal_iteratorINS9_10device_ptrIiEEEENS9_16discard_iteratorINS9_11use_defaultEEEi11max_functorIiEiEEDaPvRmT3_T4_T5_mT6_P12ihipStream_tbENKUlT_T0_E_clISt17integral_constantIbLb1EESW_IbLb0EEEEDaSS_ST_EUlSS_E0_NS1_11comp_targetILNS1_3genE3ELNS1_11target_archE908ELNS1_3gpuE7ELNS1_3repE0EEENS1_30default_config_static_selectorELNS0_4arch9wavefront6targetE1EEEvT1_ ; -- Begin function _ZN7rocprim17ROCPRIM_400000_NS6detail17trampoline_kernelINS0_14default_configENS1_20scan_config_selectorIiEEZZNS1_9scan_implILNS1_25lookback_scan_determinismE0ELb1ELb1ES3_N6thrust23THRUST_200600_302600_NS6detail15normal_iteratorINS9_10device_ptrIiEEEENS9_16discard_iteratorINS9_11use_defaultEEEi11max_functorIiEiEEDaPvRmT3_T4_T5_mT6_P12ihipStream_tbENKUlT_T0_E_clISt17integral_constantIbLb1EESW_IbLb0EEEEDaSS_ST_EUlSS_E0_NS1_11comp_targetILNS1_3genE3ELNS1_11target_archE908ELNS1_3gpuE7ELNS1_3repE0EEENS1_30default_config_static_selectorELNS0_4arch9wavefront6targetE1EEEvT1_
	.globl	_ZN7rocprim17ROCPRIM_400000_NS6detail17trampoline_kernelINS0_14default_configENS1_20scan_config_selectorIiEEZZNS1_9scan_implILNS1_25lookback_scan_determinismE0ELb1ELb1ES3_N6thrust23THRUST_200600_302600_NS6detail15normal_iteratorINS9_10device_ptrIiEEEENS9_16discard_iteratorINS9_11use_defaultEEEi11max_functorIiEiEEDaPvRmT3_T4_T5_mT6_P12ihipStream_tbENKUlT_T0_E_clISt17integral_constantIbLb1EESW_IbLb0EEEEDaSS_ST_EUlSS_E0_NS1_11comp_targetILNS1_3genE3ELNS1_11target_archE908ELNS1_3gpuE7ELNS1_3repE0EEENS1_30default_config_static_selectorELNS0_4arch9wavefront6targetE1EEEvT1_
	.p2align	8
	.type	_ZN7rocprim17ROCPRIM_400000_NS6detail17trampoline_kernelINS0_14default_configENS1_20scan_config_selectorIiEEZZNS1_9scan_implILNS1_25lookback_scan_determinismE0ELb1ELb1ES3_N6thrust23THRUST_200600_302600_NS6detail15normal_iteratorINS9_10device_ptrIiEEEENS9_16discard_iteratorINS9_11use_defaultEEEi11max_functorIiEiEEDaPvRmT3_T4_T5_mT6_P12ihipStream_tbENKUlT_T0_E_clISt17integral_constantIbLb1EESW_IbLb0EEEEDaSS_ST_EUlSS_E0_NS1_11comp_targetILNS1_3genE3ELNS1_11target_archE908ELNS1_3gpuE7ELNS1_3repE0EEENS1_30default_config_static_selectorELNS0_4arch9wavefront6targetE1EEEvT1_,@function
_ZN7rocprim17ROCPRIM_400000_NS6detail17trampoline_kernelINS0_14default_configENS1_20scan_config_selectorIiEEZZNS1_9scan_implILNS1_25lookback_scan_determinismE0ELb1ELb1ES3_N6thrust23THRUST_200600_302600_NS6detail15normal_iteratorINS9_10device_ptrIiEEEENS9_16discard_iteratorINS9_11use_defaultEEEi11max_functorIiEiEEDaPvRmT3_T4_T5_mT6_P12ihipStream_tbENKUlT_T0_E_clISt17integral_constantIbLb1EESW_IbLb0EEEEDaSS_ST_EUlSS_E0_NS1_11comp_targetILNS1_3genE3ELNS1_11target_archE908ELNS1_3gpuE7ELNS1_3repE0EEENS1_30default_config_static_selectorELNS0_4arch9wavefront6targetE1EEEvT1_: ; @_ZN7rocprim17ROCPRIM_400000_NS6detail17trampoline_kernelINS0_14default_configENS1_20scan_config_selectorIiEEZZNS1_9scan_implILNS1_25lookback_scan_determinismE0ELb1ELb1ES3_N6thrust23THRUST_200600_302600_NS6detail15normal_iteratorINS9_10device_ptrIiEEEENS9_16discard_iteratorINS9_11use_defaultEEEi11max_functorIiEiEEDaPvRmT3_T4_T5_mT6_P12ihipStream_tbENKUlT_T0_E_clISt17integral_constantIbLb1EESW_IbLb0EEEEDaSS_ST_EUlSS_E0_NS1_11comp_targetILNS1_3genE3ELNS1_11target_archE908ELNS1_3gpuE7ELNS1_3repE0EEENS1_30default_config_static_selectorELNS0_4arch9wavefront6targetE1EEEvT1_
; %bb.0:
	.section	.rodata,"a",@progbits
	.p2align	6, 0x0
	.amdhsa_kernel _ZN7rocprim17ROCPRIM_400000_NS6detail17trampoline_kernelINS0_14default_configENS1_20scan_config_selectorIiEEZZNS1_9scan_implILNS1_25lookback_scan_determinismE0ELb1ELb1ES3_N6thrust23THRUST_200600_302600_NS6detail15normal_iteratorINS9_10device_ptrIiEEEENS9_16discard_iteratorINS9_11use_defaultEEEi11max_functorIiEiEEDaPvRmT3_T4_T5_mT6_P12ihipStream_tbENKUlT_T0_E_clISt17integral_constantIbLb1EESW_IbLb0EEEEDaSS_ST_EUlSS_E0_NS1_11comp_targetILNS1_3genE3ELNS1_11target_archE908ELNS1_3gpuE7ELNS1_3repE0EEENS1_30default_config_static_selectorELNS0_4arch9wavefront6targetE1EEEvT1_
		.amdhsa_group_segment_fixed_size 0
		.amdhsa_private_segment_fixed_size 0
		.amdhsa_kernarg_size 40
		.amdhsa_user_sgpr_count 6
		.amdhsa_user_sgpr_private_segment_buffer 1
		.amdhsa_user_sgpr_dispatch_ptr 0
		.amdhsa_user_sgpr_queue_ptr 0
		.amdhsa_user_sgpr_kernarg_segment_ptr 1
		.amdhsa_user_sgpr_dispatch_id 0
		.amdhsa_user_sgpr_flat_scratch_init 0
		.amdhsa_user_sgpr_kernarg_preload_length 0
		.amdhsa_user_sgpr_kernarg_preload_offset 0
		.amdhsa_user_sgpr_private_segment_size 0
		.amdhsa_uses_dynamic_stack 0
		.amdhsa_system_sgpr_private_segment_wavefront_offset 0
		.amdhsa_system_sgpr_workgroup_id_x 1
		.amdhsa_system_sgpr_workgroup_id_y 0
		.amdhsa_system_sgpr_workgroup_id_z 0
		.amdhsa_system_sgpr_workgroup_info 0
		.amdhsa_system_vgpr_workitem_id 0
		.amdhsa_next_free_vgpr 1
		.amdhsa_next_free_sgpr 0
		.amdhsa_accum_offset 4
		.amdhsa_reserve_vcc 0
		.amdhsa_reserve_flat_scratch 0
		.amdhsa_float_round_mode_32 0
		.amdhsa_float_round_mode_16_64 0
		.amdhsa_float_denorm_mode_32 3
		.amdhsa_float_denorm_mode_16_64 3
		.amdhsa_dx10_clamp 1
		.amdhsa_ieee_mode 1
		.amdhsa_fp16_overflow 0
		.amdhsa_tg_split 0
		.amdhsa_exception_fp_ieee_invalid_op 0
		.amdhsa_exception_fp_denorm_src 0
		.amdhsa_exception_fp_ieee_div_zero 0
		.amdhsa_exception_fp_ieee_overflow 0
		.amdhsa_exception_fp_ieee_underflow 0
		.amdhsa_exception_fp_ieee_inexact 0
		.amdhsa_exception_int_div_zero 0
	.end_amdhsa_kernel
	.section	.text._ZN7rocprim17ROCPRIM_400000_NS6detail17trampoline_kernelINS0_14default_configENS1_20scan_config_selectorIiEEZZNS1_9scan_implILNS1_25lookback_scan_determinismE0ELb1ELb1ES3_N6thrust23THRUST_200600_302600_NS6detail15normal_iteratorINS9_10device_ptrIiEEEENS9_16discard_iteratorINS9_11use_defaultEEEi11max_functorIiEiEEDaPvRmT3_T4_T5_mT6_P12ihipStream_tbENKUlT_T0_E_clISt17integral_constantIbLb1EESW_IbLb0EEEEDaSS_ST_EUlSS_E0_NS1_11comp_targetILNS1_3genE3ELNS1_11target_archE908ELNS1_3gpuE7ELNS1_3repE0EEENS1_30default_config_static_selectorELNS0_4arch9wavefront6targetE1EEEvT1_,"axG",@progbits,_ZN7rocprim17ROCPRIM_400000_NS6detail17trampoline_kernelINS0_14default_configENS1_20scan_config_selectorIiEEZZNS1_9scan_implILNS1_25lookback_scan_determinismE0ELb1ELb1ES3_N6thrust23THRUST_200600_302600_NS6detail15normal_iteratorINS9_10device_ptrIiEEEENS9_16discard_iteratorINS9_11use_defaultEEEi11max_functorIiEiEEDaPvRmT3_T4_T5_mT6_P12ihipStream_tbENKUlT_T0_E_clISt17integral_constantIbLb1EESW_IbLb0EEEEDaSS_ST_EUlSS_E0_NS1_11comp_targetILNS1_3genE3ELNS1_11target_archE908ELNS1_3gpuE7ELNS1_3repE0EEENS1_30default_config_static_selectorELNS0_4arch9wavefront6targetE1EEEvT1_,comdat
.Lfunc_end3974:
	.size	_ZN7rocprim17ROCPRIM_400000_NS6detail17trampoline_kernelINS0_14default_configENS1_20scan_config_selectorIiEEZZNS1_9scan_implILNS1_25lookback_scan_determinismE0ELb1ELb1ES3_N6thrust23THRUST_200600_302600_NS6detail15normal_iteratorINS9_10device_ptrIiEEEENS9_16discard_iteratorINS9_11use_defaultEEEi11max_functorIiEiEEDaPvRmT3_T4_T5_mT6_P12ihipStream_tbENKUlT_T0_E_clISt17integral_constantIbLb1EESW_IbLb0EEEEDaSS_ST_EUlSS_E0_NS1_11comp_targetILNS1_3genE3ELNS1_11target_archE908ELNS1_3gpuE7ELNS1_3repE0EEENS1_30default_config_static_selectorELNS0_4arch9wavefront6targetE1EEEvT1_, .Lfunc_end3974-_ZN7rocprim17ROCPRIM_400000_NS6detail17trampoline_kernelINS0_14default_configENS1_20scan_config_selectorIiEEZZNS1_9scan_implILNS1_25lookback_scan_determinismE0ELb1ELb1ES3_N6thrust23THRUST_200600_302600_NS6detail15normal_iteratorINS9_10device_ptrIiEEEENS9_16discard_iteratorINS9_11use_defaultEEEi11max_functorIiEiEEDaPvRmT3_T4_T5_mT6_P12ihipStream_tbENKUlT_T0_E_clISt17integral_constantIbLb1EESW_IbLb0EEEEDaSS_ST_EUlSS_E0_NS1_11comp_targetILNS1_3genE3ELNS1_11target_archE908ELNS1_3gpuE7ELNS1_3repE0EEENS1_30default_config_static_selectorELNS0_4arch9wavefront6targetE1EEEvT1_
                                        ; -- End function
	.section	.AMDGPU.csdata,"",@progbits
; Kernel info:
; codeLenInByte = 0
; NumSgprs: 4
; NumVgprs: 0
; NumAgprs: 0
; TotalNumVgprs: 0
; ScratchSize: 0
; MemoryBound: 0
; FloatMode: 240
; IeeeMode: 1
; LDSByteSize: 0 bytes/workgroup (compile time only)
; SGPRBlocks: 0
; VGPRBlocks: 0
; NumSGPRsForWavesPerEU: 4
; NumVGPRsForWavesPerEU: 1
; AccumOffset: 4
; Occupancy: 8
; WaveLimiterHint : 0
; COMPUTE_PGM_RSRC2:SCRATCH_EN: 0
; COMPUTE_PGM_RSRC2:USER_SGPR: 6
; COMPUTE_PGM_RSRC2:TRAP_HANDLER: 0
; COMPUTE_PGM_RSRC2:TGID_X_EN: 1
; COMPUTE_PGM_RSRC2:TGID_Y_EN: 0
; COMPUTE_PGM_RSRC2:TGID_Z_EN: 0
; COMPUTE_PGM_RSRC2:TIDIG_COMP_CNT: 0
; COMPUTE_PGM_RSRC3_GFX90A:ACCUM_OFFSET: 0
; COMPUTE_PGM_RSRC3_GFX90A:TG_SPLIT: 0
	.section	.text._ZN7rocprim17ROCPRIM_400000_NS6detail17trampoline_kernelINS0_14default_configENS1_20scan_config_selectorIiEEZZNS1_9scan_implILNS1_25lookback_scan_determinismE0ELb1ELb1ES3_N6thrust23THRUST_200600_302600_NS6detail15normal_iteratorINS9_10device_ptrIiEEEENS9_16discard_iteratorINS9_11use_defaultEEEi11max_functorIiEiEEDaPvRmT3_T4_T5_mT6_P12ihipStream_tbENKUlT_T0_E_clISt17integral_constantIbLb1EESW_IbLb0EEEEDaSS_ST_EUlSS_E0_NS1_11comp_targetILNS1_3genE2ELNS1_11target_archE906ELNS1_3gpuE6ELNS1_3repE0EEENS1_30default_config_static_selectorELNS0_4arch9wavefront6targetE1EEEvT1_,"axG",@progbits,_ZN7rocprim17ROCPRIM_400000_NS6detail17trampoline_kernelINS0_14default_configENS1_20scan_config_selectorIiEEZZNS1_9scan_implILNS1_25lookback_scan_determinismE0ELb1ELb1ES3_N6thrust23THRUST_200600_302600_NS6detail15normal_iteratorINS9_10device_ptrIiEEEENS9_16discard_iteratorINS9_11use_defaultEEEi11max_functorIiEiEEDaPvRmT3_T4_T5_mT6_P12ihipStream_tbENKUlT_T0_E_clISt17integral_constantIbLb1EESW_IbLb0EEEEDaSS_ST_EUlSS_E0_NS1_11comp_targetILNS1_3genE2ELNS1_11target_archE906ELNS1_3gpuE6ELNS1_3repE0EEENS1_30default_config_static_selectorELNS0_4arch9wavefront6targetE1EEEvT1_,comdat
	.protected	_ZN7rocprim17ROCPRIM_400000_NS6detail17trampoline_kernelINS0_14default_configENS1_20scan_config_selectorIiEEZZNS1_9scan_implILNS1_25lookback_scan_determinismE0ELb1ELb1ES3_N6thrust23THRUST_200600_302600_NS6detail15normal_iteratorINS9_10device_ptrIiEEEENS9_16discard_iteratorINS9_11use_defaultEEEi11max_functorIiEiEEDaPvRmT3_T4_T5_mT6_P12ihipStream_tbENKUlT_T0_E_clISt17integral_constantIbLb1EESW_IbLb0EEEEDaSS_ST_EUlSS_E0_NS1_11comp_targetILNS1_3genE2ELNS1_11target_archE906ELNS1_3gpuE6ELNS1_3repE0EEENS1_30default_config_static_selectorELNS0_4arch9wavefront6targetE1EEEvT1_ ; -- Begin function _ZN7rocprim17ROCPRIM_400000_NS6detail17trampoline_kernelINS0_14default_configENS1_20scan_config_selectorIiEEZZNS1_9scan_implILNS1_25lookback_scan_determinismE0ELb1ELb1ES3_N6thrust23THRUST_200600_302600_NS6detail15normal_iteratorINS9_10device_ptrIiEEEENS9_16discard_iteratorINS9_11use_defaultEEEi11max_functorIiEiEEDaPvRmT3_T4_T5_mT6_P12ihipStream_tbENKUlT_T0_E_clISt17integral_constantIbLb1EESW_IbLb0EEEEDaSS_ST_EUlSS_E0_NS1_11comp_targetILNS1_3genE2ELNS1_11target_archE906ELNS1_3gpuE6ELNS1_3repE0EEENS1_30default_config_static_selectorELNS0_4arch9wavefront6targetE1EEEvT1_
	.globl	_ZN7rocprim17ROCPRIM_400000_NS6detail17trampoline_kernelINS0_14default_configENS1_20scan_config_selectorIiEEZZNS1_9scan_implILNS1_25lookback_scan_determinismE0ELb1ELb1ES3_N6thrust23THRUST_200600_302600_NS6detail15normal_iteratorINS9_10device_ptrIiEEEENS9_16discard_iteratorINS9_11use_defaultEEEi11max_functorIiEiEEDaPvRmT3_T4_T5_mT6_P12ihipStream_tbENKUlT_T0_E_clISt17integral_constantIbLb1EESW_IbLb0EEEEDaSS_ST_EUlSS_E0_NS1_11comp_targetILNS1_3genE2ELNS1_11target_archE906ELNS1_3gpuE6ELNS1_3repE0EEENS1_30default_config_static_selectorELNS0_4arch9wavefront6targetE1EEEvT1_
	.p2align	8
	.type	_ZN7rocprim17ROCPRIM_400000_NS6detail17trampoline_kernelINS0_14default_configENS1_20scan_config_selectorIiEEZZNS1_9scan_implILNS1_25lookback_scan_determinismE0ELb1ELb1ES3_N6thrust23THRUST_200600_302600_NS6detail15normal_iteratorINS9_10device_ptrIiEEEENS9_16discard_iteratorINS9_11use_defaultEEEi11max_functorIiEiEEDaPvRmT3_T4_T5_mT6_P12ihipStream_tbENKUlT_T0_E_clISt17integral_constantIbLb1EESW_IbLb0EEEEDaSS_ST_EUlSS_E0_NS1_11comp_targetILNS1_3genE2ELNS1_11target_archE906ELNS1_3gpuE6ELNS1_3repE0EEENS1_30default_config_static_selectorELNS0_4arch9wavefront6targetE1EEEvT1_,@function
_ZN7rocprim17ROCPRIM_400000_NS6detail17trampoline_kernelINS0_14default_configENS1_20scan_config_selectorIiEEZZNS1_9scan_implILNS1_25lookback_scan_determinismE0ELb1ELb1ES3_N6thrust23THRUST_200600_302600_NS6detail15normal_iteratorINS9_10device_ptrIiEEEENS9_16discard_iteratorINS9_11use_defaultEEEi11max_functorIiEiEEDaPvRmT3_T4_T5_mT6_P12ihipStream_tbENKUlT_T0_E_clISt17integral_constantIbLb1EESW_IbLb0EEEEDaSS_ST_EUlSS_E0_NS1_11comp_targetILNS1_3genE2ELNS1_11target_archE906ELNS1_3gpuE6ELNS1_3repE0EEENS1_30default_config_static_selectorELNS0_4arch9wavefront6targetE1EEEvT1_: ; @_ZN7rocprim17ROCPRIM_400000_NS6detail17trampoline_kernelINS0_14default_configENS1_20scan_config_selectorIiEEZZNS1_9scan_implILNS1_25lookback_scan_determinismE0ELb1ELb1ES3_N6thrust23THRUST_200600_302600_NS6detail15normal_iteratorINS9_10device_ptrIiEEEENS9_16discard_iteratorINS9_11use_defaultEEEi11max_functorIiEiEEDaPvRmT3_T4_T5_mT6_P12ihipStream_tbENKUlT_T0_E_clISt17integral_constantIbLb1EESW_IbLb0EEEEDaSS_ST_EUlSS_E0_NS1_11comp_targetILNS1_3genE2ELNS1_11target_archE906ELNS1_3gpuE6ELNS1_3repE0EEENS1_30default_config_static_selectorELNS0_4arch9wavefront6targetE1EEEvT1_
; %bb.0:
	.section	.rodata,"a",@progbits
	.p2align	6, 0x0
	.amdhsa_kernel _ZN7rocprim17ROCPRIM_400000_NS6detail17trampoline_kernelINS0_14default_configENS1_20scan_config_selectorIiEEZZNS1_9scan_implILNS1_25lookback_scan_determinismE0ELb1ELb1ES3_N6thrust23THRUST_200600_302600_NS6detail15normal_iteratorINS9_10device_ptrIiEEEENS9_16discard_iteratorINS9_11use_defaultEEEi11max_functorIiEiEEDaPvRmT3_T4_T5_mT6_P12ihipStream_tbENKUlT_T0_E_clISt17integral_constantIbLb1EESW_IbLb0EEEEDaSS_ST_EUlSS_E0_NS1_11comp_targetILNS1_3genE2ELNS1_11target_archE906ELNS1_3gpuE6ELNS1_3repE0EEENS1_30default_config_static_selectorELNS0_4arch9wavefront6targetE1EEEvT1_
		.amdhsa_group_segment_fixed_size 0
		.amdhsa_private_segment_fixed_size 0
		.amdhsa_kernarg_size 40
		.amdhsa_user_sgpr_count 6
		.amdhsa_user_sgpr_private_segment_buffer 1
		.amdhsa_user_sgpr_dispatch_ptr 0
		.amdhsa_user_sgpr_queue_ptr 0
		.amdhsa_user_sgpr_kernarg_segment_ptr 1
		.amdhsa_user_sgpr_dispatch_id 0
		.amdhsa_user_sgpr_flat_scratch_init 0
		.amdhsa_user_sgpr_kernarg_preload_length 0
		.amdhsa_user_sgpr_kernarg_preload_offset 0
		.amdhsa_user_sgpr_private_segment_size 0
		.amdhsa_uses_dynamic_stack 0
		.amdhsa_system_sgpr_private_segment_wavefront_offset 0
		.amdhsa_system_sgpr_workgroup_id_x 1
		.amdhsa_system_sgpr_workgroup_id_y 0
		.amdhsa_system_sgpr_workgroup_id_z 0
		.amdhsa_system_sgpr_workgroup_info 0
		.amdhsa_system_vgpr_workitem_id 0
		.amdhsa_next_free_vgpr 1
		.amdhsa_next_free_sgpr 0
		.amdhsa_accum_offset 4
		.amdhsa_reserve_vcc 0
		.amdhsa_reserve_flat_scratch 0
		.amdhsa_float_round_mode_32 0
		.amdhsa_float_round_mode_16_64 0
		.amdhsa_float_denorm_mode_32 3
		.amdhsa_float_denorm_mode_16_64 3
		.amdhsa_dx10_clamp 1
		.amdhsa_ieee_mode 1
		.amdhsa_fp16_overflow 0
		.amdhsa_tg_split 0
		.amdhsa_exception_fp_ieee_invalid_op 0
		.amdhsa_exception_fp_denorm_src 0
		.amdhsa_exception_fp_ieee_div_zero 0
		.amdhsa_exception_fp_ieee_overflow 0
		.amdhsa_exception_fp_ieee_underflow 0
		.amdhsa_exception_fp_ieee_inexact 0
		.amdhsa_exception_int_div_zero 0
	.end_amdhsa_kernel
	.section	.text._ZN7rocprim17ROCPRIM_400000_NS6detail17trampoline_kernelINS0_14default_configENS1_20scan_config_selectorIiEEZZNS1_9scan_implILNS1_25lookback_scan_determinismE0ELb1ELb1ES3_N6thrust23THRUST_200600_302600_NS6detail15normal_iteratorINS9_10device_ptrIiEEEENS9_16discard_iteratorINS9_11use_defaultEEEi11max_functorIiEiEEDaPvRmT3_T4_T5_mT6_P12ihipStream_tbENKUlT_T0_E_clISt17integral_constantIbLb1EESW_IbLb0EEEEDaSS_ST_EUlSS_E0_NS1_11comp_targetILNS1_3genE2ELNS1_11target_archE906ELNS1_3gpuE6ELNS1_3repE0EEENS1_30default_config_static_selectorELNS0_4arch9wavefront6targetE1EEEvT1_,"axG",@progbits,_ZN7rocprim17ROCPRIM_400000_NS6detail17trampoline_kernelINS0_14default_configENS1_20scan_config_selectorIiEEZZNS1_9scan_implILNS1_25lookback_scan_determinismE0ELb1ELb1ES3_N6thrust23THRUST_200600_302600_NS6detail15normal_iteratorINS9_10device_ptrIiEEEENS9_16discard_iteratorINS9_11use_defaultEEEi11max_functorIiEiEEDaPvRmT3_T4_T5_mT6_P12ihipStream_tbENKUlT_T0_E_clISt17integral_constantIbLb1EESW_IbLb0EEEEDaSS_ST_EUlSS_E0_NS1_11comp_targetILNS1_3genE2ELNS1_11target_archE906ELNS1_3gpuE6ELNS1_3repE0EEENS1_30default_config_static_selectorELNS0_4arch9wavefront6targetE1EEEvT1_,comdat
.Lfunc_end3975:
	.size	_ZN7rocprim17ROCPRIM_400000_NS6detail17trampoline_kernelINS0_14default_configENS1_20scan_config_selectorIiEEZZNS1_9scan_implILNS1_25lookback_scan_determinismE0ELb1ELb1ES3_N6thrust23THRUST_200600_302600_NS6detail15normal_iteratorINS9_10device_ptrIiEEEENS9_16discard_iteratorINS9_11use_defaultEEEi11max_functorIiEiEEDaPvRmT3_T4_T5_mT6_P12ihipStream_tbENKUlT_T0_E_clISt17integral_constantIbLb1EESW_IbLb0EEEEDaSS_ST_EUlSS_E0_NS1_11comp_targetILNS1_3genE2ELNS1_11target_archE906ELNS1_3gpuE6ELNS1_3repE0EEENS1_30default_config_static_selectorELNS0_4arch9wavefront6targetE1EEEvT1_, .Lfunc_end3975-_ZN7rocprim17ROCPRIM_400000_NS6detail17trampoline_kernelINS0_14default_configENS1_20scan_config_selectorIiEEZZNS1_9scan_implILNS1_25lookback_scan_determinismE0ELb1ELb1ES3_N6thrust23THRUST_200600_302600_NS6detail15normal_iteratorINS9_10device_ptrIiEEEENS9_16discard_iteratorINS9_11use_defaultEEEi11max_functorIiEiEEDaPvRmT3_T4_T5_mT6_P12ihipStream_tbENKUlT_T0_E_clISt17integral_constantIbLb1EESW_IbLb0EEEEDaSS_ST_EUlSS_E0_NS1_11comp_targetILNS1_3genE2ELNS1_11target_archE906ELNS1_3gpuE6ELNS1_3repE0EEENS1_30default_config_static_selectorELNS0_4arch9wavefront6targetE1EEEvT1_
                                        ; -- End function
	.section	.AMDGPU.csdata,"",@progbits
; Kernel info:
; codeLenInByte = 0
; NumSgprs: 4
; NumVgprs: 0
; NumAgprs: 0
; TotalNumVgprs: 0
; ScratchSize: 0
; MemoryBound: 0
; FloatMode: 240
; IeeeMode: 1
; LDSByteSize: 0 bytes/workgroup (compile time only)
; SGPRBlocks: 0
; VGPRBlocks: 0
; NumSGPRsForWavesPerEU: 4
; NumVGPRsForWavesPerEU: 1
; AccumOffset: 4
; Occupancy: 8
; WaveLimiterHint : 0
; COMPUTE_PGM_RSRC2:SCRATCH_EN: 0
; COMPUTE_PGM_RSRC2:USER_SGPR: 6
; COMPUTE_PGM_RSRC2:TRAP_HANDLER: 0
; COMPUTE_PGM_RSRC2:TGID_X_EN: 1
; COMPUTE_PGM_RSRC2:TGID_Y_EN: 0
; COMPUTE_PGM_RSRC2:TGID_Z_EN: 0
; COMPUTE_PGM_RSRC2:TIDIG_COMP_CNT: 0
; COMPUTE_PGM_RSRC3_GFX90A:ACCUM_OFFSET: 0
; COMPUTE_PGM_RSRC3_GFX90A:TG_SPLIT: 0
	.section	.text._ZN7rocprim17ROCPRIM_400000_NS6detail17trampoline_kernelINS0_14default_configENS1_20scan_config_selectorIiEEZZNS1_9scan_implILNS1_25lookback_scan_determinismE0ELb1ELb1ES3_N6thrust23THRUST_200600_302600_NS6detail15normal_iteratorINS9_10device_ptrIiEEEENS9_16discard_iteratorINS9_11use_defaultEEEi11max_functorIiEiEEDaPvRmT3_T4_T5_mT6_P12ihipStream_tbENKUlT_T0_E_clISt17integral_constantIbLb1EESW_IbLb0EEEEDaSS_ST_EUlSS_E0_NS1_11comp_targetILNS1_3genE10ELNS1_11target_archE1201ELNS1_3gpuE5ELNS1_3repE0EEENS1_30default_config_static_selectorELNS0_4arch9wavefront6targetE1EEEvT1_,"axG",@progbits,_ZN7rocprim17ROCPRIM_400000_NS6detail17trampoline_kernelINS0_14default_configENS1_20scan_config_selectorIiEEZZNS1_9scan_implILNS1_25lookback_scan_determinismE0ELb1ELb1ES3_N6thrust23THRUST_200600_302600_NS6detail15normal_iteratorINS9_10device_ptrIiEEEENS9_16discard_iteratorINS9_11use_defaultEEEi11max_functorIiEiEEDaPvRmT3_T4_T5_mT6_P12ihipStream_tbENKUlT_T0_E_clISt17integral_constantIbLb1EESW_IbLb0EEEEDaSS_ST_EUlSS_E0_NS1_11comp_targetILNS1_3genE10ELNS1_11target_archE1201ELNS1_3gpuE5ELNS1_3repE0EEENS1_30default_config_static_selectorELNS0_4arch9wavefront6targetE1EEEvT1_,comdat
	.protected	_ZN7rocprim17ROCPRIM_400000_NS6detail17trampoline_kernelINS0_14default_configENS1_20scan_config_selectorIiEEZZNS1_9scan_implILNS1_25lookback_scan_determinismE0ELb1ELb1ES3_N6thrust23THRUST_200600_302600_NS6detail15normal_iteratorINS9_10device_ptrIiEEEENS9_16discard_iteratorINS9_11use_defaultEEEi11max_functorIiEiEEDaPvRmT3_T4_T5_mT6_P12ihipStream_tbENKUlT_T0_E_clISt17integral_constantIbLb1EESW_IbLb0EEEEDaSS_ST_EUlSS_E0_NS1_11comp_targetILNS1_3genE10ELNS1_11target_archE1201ELNS1_3gpuE5ELNS1_3repE0EEENS1_30default_config_static_selectorELNS0_4arch9wavefront6targetE1EEEvT1_ ; -- Begin function _ZN7rocprim17ROCPRIM_400000_NS6detail17trampoline_kernelINS0_14default_configENS1_20scan_config_selectorIiEEZZNS1_9scan_implILNS1_25lookback_scan_determinismE0ELb1ELb1ES3_N6thrust23THRUST_200600_302600_NS6detail15normal_iteratorINS9_10device_ptrIiEEEENS9_16discard_iteratorINS9_11use_defaultEEEi11max_functorIiEiEEDaPvRmT3_T4_T5_mT6_P12ihipStream_tbENKUlT_T0_E_clISt17integral_constantIbLb1EESW_IbLb0EEEEDaSS_ST_EUlSS_E0_NS1_11comp_targetILNS1_3genE10ELNS1_11target_archE1201ELNS1_3gpuE5ELNS1_3repE0EEENS1_30default_config_static_selectorELNS0_4arch9wavefront6targetE1EEEvT1_
	.globl	_ZN7rocprim17ROCPRIM_400000_NS6detail17trampoline_kernelINS0_14default_configENS1_20scan_config_selectorIiEEZZNS1_9scan_implILNS1_25lookback_scan_determinismE0ELb1ELb1ES3_N6thrust23THRUST_200600_302600_NS6detail15normal_iteratorINS9_10device_ptrIiEEEENS9_16discard_iteratorINS9_11use_defaultEEEi11max_functorIiEiEEDaPvRmT3_T4_T5_mT6_P12ihipStream_tbENKUlT_T0_E_clISt17integral_constantIbLb1EESW_IbLb0EEEEDaSS_ST_EUlSS_E0_NS1_11comp_targetILNS1_3genE10ELNS1_11target_archE1201ELNS1_3gpuE5ELNS1_3repE0EEENS1_30default_config_static_selectorELNS0_4arch9wavefront6targetE1EEEvT1_
	.p2align	8
	.type	_ZN7rocprim17ROCPRIM_400000_NS6detail17trampoline_kernelINS0_14default_configENS1_20scan_config_selectorIiEEZZNS1_9scan_implILNS1_25lookback_scan_determinismE0ELb1ELb1ES3_N6thrust23THRUST_200600_302600_NS6detail15normal_iteratorINS9_10device_ptrIiEEEENS9_16discard_iteratorINS9_11use_defaultEEEi11max_functorIiEiEEDaPvRmT3_T4_T5_mT6_P12ihipStream_tbENKUlT_T0_E_clISt17integral_constantIbLb1EESW_IbLb0EEEEDaSS_ST_EUlSS_E0_NS1_11comp_targetILNS1_3genE10ELNS1_11target_archE1201ELNS1_3gpuE5ELNS1_3repE0EEENS1_30default_config_static_selectorELNS0_4arch9wavefront6targetE1EEEvT1_,@function
_ZN7rocprim17ROCPRIM_400000_NS6detail17trampoline_kernelINS0_14default_configENS1_20scan_config_selectorIiEEZZNS1_9scan_implILNS1_25lookback_scan_determinismE0ELb1ELb1ES3_N6thrust23THRUST_200600_302600_NS6detail15normal_iteratorINS9_10device_ptrIiEEEENS9_16discard_iteratorINS9_11use_defaultEEEi11max_functorIiEiEEDaPvRmT3_T4_T5_mT6_P12ihipStream_tbENKUlT_T0_E_clISt17integral_constantIbLb1EESW_IbLb0EEEEDaSS_ST_EUlSS_E0_NS1_11comp_targetILNS1_3genE10ELNS1_11target_archE1201ELNS1_3gpuE5ELNS1_3repE0EEENS1_30default_config_static_selectorELNS0_4arch9wavefront6targetE1EEEvT1_: ; @_ZN7rocprim17ROCPRIM_400000_NS6detail17trampoline_kernelINS0_14default_configENS1_20scan_config_selectorIiEEZZNS1_9scan_implILNS1_25lookback_scan_determinismE0ELb1ELb1ES3_N6thrust23THRUST_200600_302600_NS6detail15normal_iteratorINS9_10device_ptrIiEEEENS9_16discard_iteratorINS9_11use_defaultEEEi11max_functorIiEiEEDaPvRmT3_T4_T5_mT6_P12ihipStream_tbENKUlT_T0_E_clISt17integral_constantIbLb1EESW_IbLb0EEEEDaSS_ST_EUlSS_E0_NS1_11comp_targetILNS1_3genE10ELNS1_11target_archE1201ELNS1_3gpuE5ELNS1_3repE0EEENS1_30default_config_static_selectorELNS0_4arch9wavefront6targetE1EEEvT1_
; %bb.0:
	.section	.rodata,"a",@progbits
	.p2align	6, 0x0
	.amdhsa_kernel _ZN7rocprim17ROCPRIM_400000_NS6detail17trampoline_kernelINS0_14default_configENS1_20scan_config_selectorIiEEZZNS1_9scan_implILNS1_25lookback_scan_determinismE0ELb1ELb1ES3_N6thrust23THRUST_200600_302600_NS6detail15normal_iteratorINS9_10device_ptrIiEEEENS9_16discard_iteratorINS9_11use_defaultEEEi11max_functorIiEiEEDaPvRmT3_T4_T5_mT6_P12ihipStream_tbENKUlT_T0_E_clISt17integral_constantIbLb1EESW_IbLb0EEEEDaSS_ST_EUlSS_E0_NS1_11comp_targetILNS1_3genE10ELNS1_11target_archE1201ELNS1_3gpuE5ELNS1_3repE0EEENS1_30default_config_static_selectorELNS0_4arch9wavefront6targetE1EEEvT1_
		.amdhsa_group_segment_fixed_size 0
		.amdhsa_private_segment_fixed_size 0
		.amdhsa_kernarg_size 40
		.amdhsa_user_sgpr_count 6
		.amdhsa_user_sgpr_private_segment_buffer 1
		.amdhsa_user_sgpr_dispatch_ptr 0
		.amdhsa_user_sgpr_queue_ptr 0
		.amdhsa_user_sgpr_kernarg_segment_ptr 1
		.amdhsa_user_sgpr_dispatch_id 0
		.amdhsa_user_sgpr_flat_scratch_init 0
		.amdhsa_user_sgpr_kernarg_preload_length 0
		.amdhsa_user_sgpr_kernarg_preload_offset 0
		.amdhsa_user_sgpr_private_segment_size 0
		.amdhsa_uses_dynamic_stack 0
		.amdhsa_system_sgpr_private_segment_wavefront_offset 0
		.amdhsa_system_sgpr_workgroup_id_x 1
		.amdhsa_system_sgpr_workgroup_id_y 0
		.amdhsa_system_sgpr_workgroup_id_z 0
		.amdhsa_system_sgpr_workgroup_info 0
		.amdhsa_system_vgpr_workitem_id 0
		.amdhsa_next_free_vgpr 1
		.amdhsa_next_free_sgpr 0
		.amdhsa_accum_offset 4
		.amdhsa_reserve_vcc 0
		.amdhsa_reserve_flat_scratch 0
		.amdhsa_float_round_mode_32 0
		.amdhsa_float_round_mode_16_64 0
		.amdhsa_float_denorm_mode_32 3
		.amdhsa_float_denorm_mode_16_64 3
		.amdhsa_dx10_clamp 1
		.amdhsa_ieee_mode 1
		.amdhsa_fp16_overflow 0
		.amdhsa_tg_split 0
		.amdhsa_exception_fp_ieee_invalid_op 0
		.amdhsa_exception_fp_denorm_src 0
		.amdhsa_exception_fp_ieee_div_zero 0
		.amdhsa_exception_fp_ieee_overflow 0
		.amdhsa_exception_fp_ieee_underflow 0
		.amdhsa_exception_fp_ieee_inexact 0
		.amdhsa_exception_int_div_zero 0
	.end_amdhsa_kernel
	.section	.text._ZN7rocprim17ROCPRIM_400000_NS6detail17trampoline_kernelINS0_14default_configENS1_20scan_config_selectorIiEEZZNS1_9scan_implILNS1_25lookback_scan_determinismE0ELb1ELb1ES3_N6thrust23THRUST_200600_302600_NS6detail15normal_iteratorINS9_10device_ptrIiEEEENS9_16discard_iteratorINS9_11use_defaultEEEi11max_functorIiEiEEDaPvRmT3_T4_T5_mT6_P12ihipStream_tbENKUlT_T0_E_clISt17integral_constantIbLb1EESW_IbLb0EEEEDaSS_ST_EUlSS_E0_NS1_11comp_targetILNS1_3genE10ELNS1_11target_archE1201ELNS1_3gpuE5ELNS1_3repE0EEENS1_30default_config_static_selectorELNS0_4arch9wavefront6targetE1EEEvT1_,"axG",@progbits,_ZN7rocprim17ROCPRIM_400000_NS6detail17trampoline_kernelINS0_14default_configENS1_20scan_config_selectorIiEEZZNS1_9scan_implILNS1_25lookback_scan_determinismE0ELb1ELb1ES3_N6thrust23THRUST_200600_302600_NS6detail15normal_iteratorINS9_10device_ptrIiEEEENS9_16discard_iteratorINS9_11use_defaultEEEi11max_functorIiEiEEDaPvRmT3_T4_T5_mT6_P12ihipStream_tbENKUlT_T0_E_clISt17integral_constantIbLb1EESW_IbLb0EEEEDaSS_ST_EUlSS_E0_NS1_11comp_targetILNS1_3genE10ELNS1_11target_archE1201ELNS1_3gpuE5ELNS1_3repE0EEENS1_30default_config_static_selectorELNS0_4arch9wavefront6targetE1EEEvT1_,comdat
.Lfunc_end3976:
	.size	_ZN7rocprim17ROCPRIM_400000_NS6detail17trampoline_kernelINS0_14default_configENS1_20scan_config_selectorIiEEZZNS1_9scan_implILNS1_25lookback_scan_determinismE0ELb1ELb1ES3_N6thrust23THRUST_200600_302600_NS6detail15normal_iteratorINS9_10device_ptrIiEEEENS9_16discard_iteratorINS9_11use_defaultEEEi11max_functorIiEiEEDaPvRmT3_T4_T5_mT6_P12ihipStream_tbENKUlT_T0_E_clISt17integral_constantIbLb1EESW_IbLb0EEEEDaSS_ST_EUlSS_E0_NS1_11comp_targetILNS1_3genE10ELNS1_11target_archE1201ELNS1_3gpuE5ELNS1_3repE0EEENS1_30default_config_static_selectorELNS0_4arch9wavefront6targetE1EEEvT1_, .Lfunc_end3976-_ZN7rocprim17ROCPRIM_400000_NS6detail17trampoline_kernelINS0_14default_configENS1_20scan_config_selectorIiEEZZNS1_9scan_implILNS1_25lookback_scan_determinismE0ELb1ELb1ES3_N6thrust23THRUST_200600_302600_NS6detail15normal_iteratorINS9_10device_ptrIiEEEENS9_16discard_iteratorINS9_11use_defaultEEEi11max_functorIiEiEEDaPvRmT3_T4_T5_mT6_P12ihipStream_tbENKUlT_T0_E_clISt17integral_constantIbLb1EESW_IbLb0EEEEDaSS_ST_EUlSS_E0_NS1_11comp_targetILNS1_3genE10ELNS1_11target_archE1201ELNS1_3gpuE5ELNS1_3repE0EEENS1_30default_config_static_selectorELNS0_4arch9wavefront6targetE1EEEvT1_
                                        ; -- End function
	.section	.AMDGPU.csdata,"",@progbits
; Kernel info:
; codeLenInByte = 0
; NumSgprs: 4
; NumVgprs: 0
; NumAgprs: 0
; TotalNumVgprs: 0
; ScratchSize: 0
; MemoryBound: 0
; FloatMode: 240
; IeeeMode: 1
; LDSByteSize: 0 bytes/workgroup (compile time only)
; SGPRBlocks: 0
; VGPRBlocks: 0
; NumSGPRsForWavesPerEU: 4
; NumVGPRsForWavesPerEU: 1
; AccumOffset: 4
; Occupancy: 8
; WaveLimiterHint : 0
; COMPUTE_PGM_RSRC2:SCRATCH_EN: 0
; COMPUTE_PGM_RSRC2:USER_SGPR: 6
; COMPUTE_PGM_RSRC2:TRAP_HANDLER: 0
; COMPUTE_PGM_RSRC2:TGID_X_EN: 1
; COMPUTE_PGM_RSRC2:TGID_Y_EN: 0
; COMPUTE_PGM_RSRC2:TGID_Z_EN: 0
; COMPUTE_PGM_RSRC2:TIDIG_COMP_CNT: 0
; COMPUTE_PGM_RSRC3_GFX90A:ACCUM_OFFSET: 0
; COMPUTE_PGM_RSRC3_GFX90A:TG_SPLIT: 0
	.section	.text._ZN7rocprim17ROCPRIM_400000_NS6detail17trampoline_kernelINS0_14default_configENS1_20scan_config_selectorIiEEZZNS1_9scan_implILNS1_25lookback_scan_determinismE0ELb1ELb1ES3_N6thrust23THRUST_200600_302600_NS6detail15normal_iteratorINS9_10device_ptrIiEEEENS9_16discard_iteratorINS9_11use_defaultEEEi11max_functorIiEiEEDaPvRmT3_T4_T5_mT6_P12ihipStream_tbENKUlT_T0_E_clISt17integral_constantIbLb1EESW_IbLb0EEEEDaSS_ST_EUlSS_E0_NS1_11comp_targetILNS1_3genE10ELNS1_11target_archE1200ELNS1_3gpuE4ELNS1_3repE0EEENS1_30default_config_static_selectorELNS0_4arch9wavefront6targetE1EEEvT1_,"axG",@progbits,_ZN7rocprim17ROCPRIM_400000_NS6detail17trampoline_kernelINS0_14default_configENS1_20scan_config_selectorIiEEZZNS1_9scan_implILNS1_25lookback_scan_determinismE0ELb1ELb1ES3_N6thrust23THRUST_200600_302600_NS6detail15normal_iteratorINS9_10device_ptrIiEEEENS9_16discard_iteratorINS9_11use_defaultEEEi11max_functorIiEiEEDaPvRmT3_T4_T5_mT6_P12ihipStream_tbENKUlT_T0_E_clISt17integral_constantIbLb1EESW_IbLb0EEEEDaSS_ST_EUlSS_E0_NS1_11comp_targetILNS1_3genE10ELNS1_11target_archE1200ELNS1_3gpuE4ELNS1_3repE0EEENS1_30default_config_static_selectorELNS0_4arch9wavefront6targetE1EEEvT1_,comdat
	.protected	_ZN7rocprim17ROCPRIM_400000_NS6detail17trampoline_kernelINS0_14default_configENS1_20scan_config_selectorIiEEZZNS1_9scan_implILNS1_25lookback_scan_determinismE0ELb1ELb1ES3_N6thrust23THRUST_200600_302600_NS6detail15normal_iteratorINS9_10device_ptrIiEEEENS9_16discard_iteratorINS9_11use_defaultEEEi11max_functorIiEiEEDaPvRmT3_T4_T5_mT6_P12ihipStream_tbENKUlT_T0_E_clISt17integral_constantIbLb1EESW_IbLb0EEEEDaSS_ST_EUlSS_E0_NS1_11comp_targetILNS1_3genE10ELNS1_11target_archE1200ELNS1_3gpuE4ELNS1_3repE0EEENS1_30default_config_static_selectorELNS0_4arch9wavefront6targetE1EEEvT1_ ; -- Begin function _ZN7rocprim17ROCPRIM_400000_NS6detail17trampoline_kernelINS0_14default_configENS1_20scan_config_selectorIiEEZZNS1_9scan_implILNS1_25lookback_scan_determinismE0ELb1ELb1ES3_N6thrust23THRUST_200600_302600_NS6detail15normal_iteratorINS9_10device_ptrIiEEEENS9_16discard_iteratorINS9_11use_defaultEEEi11max_functorIiEiEEDaPvRmT3_T4_T5_mT6_P12ihipStream_tbENKUlT_T0_E_clISt17integral_constantIbLb1EESW_IbLb0EEEEDaSS_ST_EUlSS_E0_NS1_11comp_targetILNS1_3genE10ELNS1_11target_archE1200ELNS1_3gpuE4ELNS1_3repE0EEENS1_30default_config_static_selectorELNS0_4arch9wavefront6targetE1EEEvT1_
	.globl	_ZN7rocprim17ROCPRIM_400000_NS6detail17trampoline_kernelINS0_14default_configENS1_20scan_config_selectorIiEEZZNS1_9scan_implILNS1_25lookback_scan_determinismE0ELb1ELb1ES3_N6thrust23THRUST_200600_302600_NS6detail15normal_iteratorINS9_10device_ptrIiEEEENS9_16discard_iteratorINS9_11use_defaultEEEi11max_functorIiEiEEDaPvRmT3_T4_T5_mT6_P12ihipStream_tbENKUlT_T0_E_clISt17integral_constantIbLb1EESW_IbLb0EEEEDaSS_ST_EUlSS_E0_NS1_11comp_targetILNS1_3genE10ELNS1_11target_archE1200ELNS1_3gpuE4ELNS1_3repE0EEENS1_30default_config_static_selectorELNS0_4arch9wavefront6targetE1EEEvT1_
	.p2align	8
	.type	_ZN7rocprim17ROCPRIM_400000_NS6detail17trampoline_kernelINS0_14default_configENS1_20scan_config_selectorIiEEZZNS1_9scan_implILNS1_25lookback_scan_determinismE0ELb1ELb1ES3_N6thrust23THRUST_200600_302600_NS6detail15normal_iteratorINS9_10device_ptrIiEEEENS9_16discard_iteratorINS9_11use_defaultEEEi11max_functorIiEiEEDaPvRmT3_T4_T5_mT6_P12ihipStream_tbENKUlT_T0_E_clISt17integral_constantIbLb1EESW_IbLb0EEEEDaSS_ST_EUlSS_E0_NS1_11comp_targetILNS1_3genE10ELNS1_11target_archE1200ELNS1_3gpuE4ELNS1_3repE0EEENS1_30default_config_static_selectorELNS0_4arch9wavefront6targetE1EEEvT1_,@function
_ZN7rocprim17ROCPRIM_400000_NS6detail17trampoline_kernelINS0_14default_configENS1_20scan_config_selectorIiEEZZNS1_9scan_implILNS1_25lookback_scan_determinismE0ELb1ELb1ES3_N6thrust23THRUST_200600_302600_NS6detail15normal_iteratorINS9_10device_ptrIiEEEENS9_16discard_iteratorINS9_11use_defaultEEEi11max_functorIiEiEEDaPvRmT3_T4_T5_mT6_P12ihipStream_tbENKUlT_T0_E_clISt17integral_constantIbLb1EESW_IbLb0EEEEDaSS_ST_EUlSS_E0_NS1_11comp_targetILNS1_3genE10ELNS1_11target_archE1200ELNS1_3gpuE4ELNS1_3repE0EEENS1_30default_config_static_selectorELNS0_4arch9wavefront6targetE1EEEvT1_: ; @_ZN7rocprim17ROCPRIM_400000_NS6detail17trampoline_kernelINS0_14default_configENS1_20scan_config_selectorIiEEZZNS1_9scan_implILNS1_25lookback_scan_determinismE0ELb1ELb1ES3_N6thrust23THRUST_200600_302600_NS6detail15normal_iteratorINS9_10device_ptrIiEEEENS9_16discard_iteratorINS9_11use_defaultEEEi11max_functorIiEiEEDaPvRmT3_T4_T5_mT6_P12ihipStream_tbENKUlT_T0_E_clISt17integral_constantIbLb1EESW_IbLb0EEEEDaSS_ST_EUlSS_E0_NS1_11comp_targetILNS1_3genE10ELNS1_11target_archE1200ELNS1_3gpuE4ELNS1_3repE0EEENS1_30default_config_static_selectorELNS0_4arch9wavefront6targetE1EEEvT1_
; %bb.0:
	.section	.rodata,"a",@progbits
	.p2align	6, 0x0
	.amdhsa_kernel _ZN7rocprim17ROCPRIM_400000_NS6detail17trampoline_kernelINS0_14default_configENS1_20scan_config_selectorIiEEZZNS1_9scan_implILNS1_25lookback_scan_determinismE0ELb1ELb1ES3_N6thrust23THRUST_200600_302600_NS6detail15normal_iteratorINS9_10device_ptrIiEEEENS9_16discard_iteratorINS9_11use_defaultEEEi11max_functorIiEiEEDaPvRmT3_T4_T5_mT6_P12ihipStream_tbENKUlT_T0_E_clISt17integral_constantIbLb1EESW_IbLb0EEEEDaSS_ST_EUlSS_E0_NS1_11comp_targetILNS1_3genE10ELNS1_11target_archE1200ELNS1_3gpuE4ELNS1_3repE0EEENS1_30default_config_static_selectorELNS0_4arch9wavefront6targetE1EEEvT1_
		.amdhsa_group_segment_fixed_size 0
		.amdhsa_private_segment_fixed_size 0
		.amdhsa_kernarg_size 40
		.amdhsa_user_sgpr_count 6
		.amdhsa_user_sgpr_private_segment_buffer 1
		.amdhsa_user_sgpr_dispatch_ptr 0
		.amdhsa_user_sgpr_queue_ptr 0
		.amdhsa_user_sgpr_kernarg_segment_ptr 1
		.amdhsa_user_sgpr_dispatch_id 0
		.amdhsa_user_sgpr_flat_scratch_init 0
		.amdhsa_user_sgpr_kernarg_preload_length 0
		.amdhsa_user_sgpr_kernarg_preload_offset 0
		.amdhsa_user_sgpr_private_segment_size 0
		.amdhsa_uses_dynamic_stack 0
		.amdhsa_system_sgpr_private_segment_wavefront_offset 0
		.amdhsa_system_sgpr_workgroup_id_x 1
		.amdhsa_system_sgpr_workgroup_id_y 0
		.amdhsa_system_sgpr_workgroup_id_z 0
		.amdhsa_system_sgpr_workgroup_info 0
		.amdhsa_system_vgpr_workitem_id 0
		.amdhsa_next_free_vgpr 1
		.amdhsa_next_free_sgpr 0
		.amdhsa_accum_offset 4
		.amdhsa_reserve_vcc 0
		.amdhsa_reserve_flat_scratch 0
		.amdhsa_float_round_mode_32 0
		.amdhsa_float_round_mode_16_64 0
		.amdhsa_float_denorm_mode_32 3
		.amdhsa_float_denorm_mode_16_64 3
		.amdhsa_dx10_clamp 1
		.amdhsa_ieee_mode 1
		.amdhsa_fp16_overflow 0
		.amdhsa_tg_split 0
		.amdhsa_exception_fp_ieee_invalid_op 0
		.amdhsa_exception_fp_denorm_src 0
		.amdhsa_exception_fp_ieee_div_zero 0
		.amdhsa_exception_fp_ieee_overflow 0
		.amdhsa_exception_fp_ieee_underflow 0
		.amdhsa_exception_fp_ieee_inexact 0
		.amdhsa_exception_int_div_zero 0
	.end_amdhsa_kernel
	.section	.text._ZN7rocprim17ROCPRIM_400000_NS6detail17trampoline_kernelINS0_14default_configENS1_20scan_config_selectorIiEEZZNS1_9scan_implILNS1_25lookback_scan_determinismE0ELb1ELb1ES3_N6thrust23THRUST_200600_302600_NS6detail15normal_iteratorINS9_10device_ptrIiEEEENS9_16discard_iteratorINS9_11use_defaultEEEi11max_functorIiEiEEDaPvRmT3_T4_T5_mT6_P12ihipStream_tbENKUlT_T0_E_clISt17integral_constantIbLb1EESW_IbLb0EEEEDaSS_ST_EUlSS_E0_NS1_11comp_targetILNS1_3genE10ELNS1_11target_archE1200ELNS1_3gpuE4ELNS1_3repE0EEENS1_30default_config_static_selectorELNS0_4arch9wavefront6targetE1EEEvT1_,"axG",@progbits,_ZN7rocprim17ROCPRIM_400000_NS6detail17trampoline_kernelINS0_14default_configENS1_20scan_config_selectorIiEEZZNS1_9scan_implILNS1_25lookback_scan_determinismE0ELb1ELb1ES3_N6thrust23THRUST_200600_302600_NS6detail15normal_iteratorINS9_10device_ptrIiEEEENS9_16discard_iteratorINS9_11use_defaultEEEi11max_functorIiEiEEDaPvRmT3_T4_T5_mT6_P12ihipStream_tbENKUlT_T0_E_clISt17integral_constantIbLb1EESW_IbLb0EEEEDaSS_ST_EUlSS_E0_NS1_11comp_targetILNS1_3genE10ELNS1_11target_archE1200ELNS1_3gpuE4ELNS1_3repE0EEENS1_30default_config_static_selectorELNS0_4arch9wavefront6targetE1EEEvT1_,comdat
.Lfunc_end3977:
	.size	_ZN7rocprim17ROCPRIM_400000_NS6detail17trampoline_kernelINS0_14default_configENS1_20scan_config_selectorIiEEZZNS1_9scan_implILNS1_25lookback_scan_determinismE0ELb1ELb1ES3_N6thrust23THRUST_200600_302600_NS6detail15normal_iteratorINS9_10device_ptrIiEEEENS9_16discard_iteratorINS9_11use_defaultEEEi11max_functorIiEiEEDaPvRmT3_T4_T5_mT6_P12ihipStream_tbENKUlT_T0_E_clISt17integral_constantIbLb1EESW_IbLb0EEEEDaSS_ST_EUlSS_E0_NS1_11comp_targetILNS1_3genE10ELNS1_11target_archE1200ELNS1_3gpuE4ELNS1_3repE0EEENS1_30default_config_static_selectorELNS0_4arch9wavefront6targetE1EEEvT1_, .Lfunc_end3977-_ZN7rocprim17ROCPRIM_400000_NS6detail17trampoline_kernelINS0_14default_configENS1_20scan_config_selectorIiEEZZNS1_9scan_implILNS1_25lookback_scan_determinismE0ELb1ELb1ES3_N6thrust23THRUST_200600_302600_NS6detail15normal_iteratorINS9_10device_ptrIiEEEENS9_16discard_iteratorINS9_11use_defaultEEEi11max_functorIiEiEEDaPvRmT3_T4_T5_mT6_P12ihipStream_tbENKUlT_T0_E_clISt17integral_constantIbLb1EESW_IbLb0EEEEDaSS_ST_EUlSS_E0_NS1_11comp_targetILNS1_3genE10ELNS1_11target_archE1200ELNS1_3gpuE4ELNS1_3repE0EEENS1_30default_config_static_selectorELNS0_4arch9wavefront6targetE1EEEvT1_
                                        ; -- End function
	.section	.AMDGPU.csdata,"",@progbits
; Kernel info:
; codeLenInByte = 0
; NumSgprs: 4
; NumVgprs: 0
; NumAgprs: 0
; TotalNumVgprs: 0
; ScratchSize: 0
; MemoryBound: 0
; FloatMode: 240
; IeeeMode: 1
; LDSByteSize: 0 bytes/workgroup (compile time only)
; SGPRBlocks: 0
; VGPRBlocks: 0
; NumSGPRsForWavesPerEU: 4
; NumVGPRsForWavesPerEU: 1
; AccumOffset: 4
; Occupancy: 8
; WaveLimiterHint : 0
; COMPUTE_PGM_RSRC2:SCRATCH_EN: 0
; COMPUTE_PGM_RSRC2:USER_SGPR: 6
; COMPUTE_PGM_RSRC2:TRAP_HANDLER: 0
; COMPUTE_PGM_RSRC2:TGID_X_EN: 1
; COMPUTE_PGM_RSRC2:TGID_Y_EN: 0
; COMPUTE_PGM_RSRC2:TGID_Z_EN: 0
; COMPUTE_PGM_RSRC2:TIDIG_COMP_CNT: 0
; COMPUTE_PGM_RSRC3_GFX90A:ACCUM_OFFSET: 0
; COMPUTE_PGM_RSRC3_GFX90A:TG_SPLIT: 0
	.section	.text._ZN7rocprim17ROCPRIM_400000_NS6detail17trampoline_kernelINS0_14default_configENS1_20scan_config_selectorIiEEZZNS1_9scan_implILNS1_25lookback_scan_determinismE0ELb1ELb1ES3_N6thrust23THRUST_200600_302600_NS6detail15normal_iteratorINS9_10device_ptrIiEEEENS9_16discard_iteratorINS9_11use_defaultEEEi11max_functorIiEiEEDaPvRmT3_T4_T5_mT6_P12ihipStream_tbENKUlT_T0_E_clISt17integral_constantIbLb1EESW_IbLb0EEEEDaSS_ST_EUlSS_E0_NS1_11comp_targetILNS1_3genE9ELNS1_11target_archE1100ELNS1_3gpuE3ELNS1_3repE0EEENS1_30default_config_static_selectorELNS0_4arch9wavefront6targetE1EEEvT1_,"axG",@progbits,_ZN7rocprim17ROCPRIM_400000_NS6detail17trampoline_kernelINS0_14default_configENS1_20scan_config_selectorIiEEZZNS1_9scan_implILNS1_25lookback_scan_determinismE0ELb1ELb1ES3_N6thrust23THRUST_200600_302600_NS6detail15normal_iteratorINS9_10device_ptrIiEEEENS9_16discard_iteratorINS9_11use_defaultEEEi11max_functorIiEiEEDaPvRmT3_T4_T5_mT6_P12ihipStream_tbENKUlT_T0_E_clISt17integral_constantIbLb1EESW_IbLb0EEEEDaSS_ST_EUlSS_E0_NS1_11comp_targetILNS1_3genE9ELNS1_11target_archE1100ELNS1_3gpuE3ELNS1_3repE0EEENS1_30default_config_static_selectorELNS0_4arch9wavefront6targetE1EEEvT1_,comdat
	.protected	_ZN7rocprim17ROCPRIM_400000_NS6detail17trampoline_kernelINS0_14default_configENS1_20scan_config_selectorIiEEZZNS1_9scan_implILNS1_25lookback_scan_determinismE0ELb1ELb1ES3_N6thrust23THRUST_200600_302600_NS6detail15normal_iteratorINS9_10device_ptrIiEEEENS9_16discard_iteratorINS9_11use_defaultEEEi11max_functorIiEiEEDaPvRmT3_T4_T5_mT6_P12ihipStream_tbENKUlT_T0_E_clISt17integral_constantIbLb1EESW_IbLb0EEEEDaSS_ST_EUlSS_E0_NS1_11comp_targetILNS1_3genE9ELNS1_11target_archE1100ELNS1_3gpuE3ELNS1_3repE0EEENS1_30default_config_static_selectorELNS0_4arch9wavefront6targetE1EEEvT1_ ; -- Begin function _ZN7rocprim17ROCPRIM_400000_NS6detail17trampoline_kernelINS0_14default_configENS1_20scan_config_selectorIiEEZZNS1_9scan_implILNS1_25lookback_scan_determinismE0ELb1ELb1ES3_N6thrust23THRUST_200600_302600_NS6detail15normal_iteratorINS9_10device_ptrIiEEEENS9_16discard_iteratorINS9_11use_defaultEEEi11max_functorIiEiEEDaPvRmT3_T4_T5_mT6_P12ihipStream_tbENKUlT_T0_E_clISt17integral_constantIbLb1EESW_IbLb0EEEEDaSS_ST_EUlSS_E0_NS1_11comp_targetILNS1_3genE9ELNS1_11target_archE1100ELNS1_3gpuE3ELNS1_3repE0EEENS1_30default_config_static_selectorELNS0_4arch9wavefront6targetE1EEEvT1_
	.globl	_ZN7rocprim17ROCPRIM_400000_NS6detail17trampoline_kernelINS0_14default_configENS1_20scan_config_selectorIiEEZZNS1_9scan_implILNS1_25lookback_scan_determinismE0ELb1ELb1ES3_N6thrust23THRUST_200600_302600_NS6detail15normal_iteratorINS9_10device_ptrIiEEEENS9_16discard_iteratorINS9_11use_defaultEEEi11max_functorIiEiEEDaPvRmT3_T4_T5_mT6_P12ihipStream_tbENKUlT_T0_E_clISt17integral_constantIbLb1EESW_IbLb0EEEEDaSS_ST_EUlSS_E0_NS1_11comp_targetILNS1_3genE9ELNS1_11target_archE1100ELNS1_3gpuE3ELNS1_3repE0EEENS1_30default_config_static_selectorELNS0_4arch9wavefront6targetE1EEEvT1_
	.p2align	8
	.type	_ZN7rocprim17ROCPRIM_400000_NS6detail17trampoline_kernelINS0_14default_configENS1_20scan_config_selectorIiEEZZNS1_9scan_implILNS1_25lookback_scan_determinismE0ELb1ELb1ES3_N6thrust23THRUST_200600_302600_NS6detail15normal_iteratorINS9_10device_ptrIiEEEENS9_16discard_iteratorINS9_11use_defaultEEEi11max_functorIiEiEEDaPvRmT3_T4_T5_mT6_P12ihipStream_tbENKUlT_T0_E_clISt17integral_constantIbLb1EESW_IbLb0EEEEDaSS_ST_EUlSS_E0_NS1_11comp_targetILNS1_3genE9ELNS1_11target_archE1100ELNS1_3gpuE3ELNS1_3repE0EEENS1_30default_config_static_selectorELNS0_4arch9wavefront6targetE1EEEvT1_,@function
_ZN7rocprim17ROCPRIM_400000_NS6detail17trampoline_kernelINS0_14default_configENS1_20scan_config_selectorIiEEZZNS1_9scan_implILNS1_25lookback_scan_determinismE0ELb1ELb1ES3_N6thrust23THRUST_200600_302600_NS6detail15normal_iteratorINS9_10device_ptrIiEEEENS9_16discard_iteratorINS9_11use_defaultEEEi11max_functorIiEiEEDaPvRmT3_T4_T5_mT6_P12ihipStream_tbENKUlT_T0_E_clISt17integral_constantIbLb1EESW_IbLb0EEEEDaSS_ST_EUlSS_E0_NS1_11comp_targetILNS1_3genE9ELNS1_11target_archE1100ELNS1_3gpuE3ELNS1_3repE0EEENS1_30default_config_static_selectorELNS0_4arch9wavefront6targetE1EEEvT1_: ; @_ZN7rocprim17ROCPRIM_400000_NS6detail17trampoline_kernelINS0_14default_configENS1_20scan_config_selectorIiEEZZNS1_9scan_implILNS1_25lookback_scan_determinismE0ELb1ELb1ES3_N6thrust23THRUST_200600_302600_NS6detail15normal_iteratorINS9_10device_ptrIiEEEENS9_16discard_iteratorINS9_11use_defaultEEEi11max_functorIiEiEEDaPvRmT3_T4_T5_mT6_P12ihipStream_tbENKUlT_T0_E_clISt17integral_constantIbLb1EESW_IbLb0EEEEDaSS_ST_EUlSS_E0_NS1_11comp_targetILNS1_3genE9ELNS1_11target_archE1100ELNS1_3gpuE3ELNS1_3repE0EEENS1_30default_config_static_selectorELNS0_4arch9wavefront6targetE1EEEvT1_
; %bb.0:
	.section	.rodata,"a",@progbits
	.p2align	6, 0x0
	.amdhsa_kernel _ZN7rocprim17ROCPRIM_400000_NS6detail17trampoline_kernelINS0_14default_configENS1_20scan_config_selectorIiEEZZNS1_9scan_implILNS1_25lookback_scan_determinismE0ELb1ELb1ES3_N6thrust23THRUST_200600_302600_NS6detail15normal_iteratorINS9_10device_ptrIiEEEENS9_16discard_iteratorINS9_11use_defaultEEEi11max_functorIiEiEEDaPvRmT3_T4_T5_mT6_P12ihipStream_tbENKUlT_T0_E_clISt17integral_constantIbLb1EESW_IbLb0EEEEDaSS_ST_EUlSS_E0_NS1_11comp_targetILNS1_3genE9ELNS1_11target_archE1100ELNS1_3gpuE3ELNS1_3repE0EEENS1_30default_config_static_selectorELNS0_4arch9wavefront6targetE1EEEvT1_
		.amdhsa_group_segment_fixed_size 0
		.amdhsa_private_segment_fixed_size 0
		.amdhsa_kernarg_size 40
		.amdhsa_user_sgpr_count 6
		.amdhsa_user_sgpr_private_segment_buffer 1
		.amdhsa_user_sgpr_dispatch_ptr 0
		.amdhsa_user_sgpr_queue_ptr 0
		.amdhsa_user_sgpr_kernarg_segment_ptr 1
		.amdhsa_user_sgpr_dispatch_id 0
		.amdhsa_user_sgpr_flat_scratch_init 0
		.amdhsa_user_sgpr_kernarg_preload_length 0
		.amdhsa_user_sgpr_kernarg_preload_offset 0
		.amdhsa_user_sgpr_private_segment_size 0
		.amdhsa_uses_dynamic_stack 0
		.amdhsa_system_sgpr_private_segment_wavefront_offset 0
		.amdhsa_system_sgpr_workgroup_id_x 1
		.amdhsa_system_sgpr_workgroup_id_y 0
		.amdhsa_system_sgpr_workgroup_id_z 0
		.amdhsa_system_sgpr_workgroup_info 0
		.amdhsa_system_vgpr_workitem_id 0
		.amdhsa_next_free_vgpr 1
		.amdhsa_next_free_sgpr 0
		.amdhsa_accum_offset 4
		.amdhsa_reserve_vcc 0
		.amdhsa_reserve_flat_scratch 0
		.amdhsa_float_round_mode_32 0
		.amdhsa_float_round_mode_16_64 0
		.amdhsa_float_denorm_mode_32 3
		.amdhsa_float_denorm_mode_16_64 3
		.amdhsa_dx10_clamp 1
		.amdhsa_ieee_mode 1
		.amdhsa_fp16_overflow 0
		.amdhsa_tg_split 0
		.amdhsa_exception_fp_ieee_invalid_op 0
		.amdhsa_exception_fp_denorm_src 0
		.amdhsa_exception_fp_ieee_div_zero 0
		.amdhsa_exception_fp_ieee_overflow 0
		.amdhsa_exception_fp_ieee_underflow 0
		.amdhsa_exception_fp_ieee_inexact 0
		.amdhsa_exception_int_div_zero 0
	.end_amdhsa_kernel
	.section	.text._ZN7rocprim17ROCPRIM_400000_NS6detail17trampoline_kernelINS0_14default_configENS1_20scan_config_selectorIiEEZZNS1_9scan_implILNS1_25lookback_scan_determinismE0ELb1ELb1ES3_N6thrust23THRUST_200600_302600_NS6detail15normal_iteratorINS9_10device_ptrIiEEEENS9_16discard_iteratorINS9_11use_defaultEEEi11max_functorIiEiEEDaPvRmT3_T4_T5_mT6_P12ihipStream_tbENKUlT_T0_E_clISt17integral_constantIbLb1EESW_IbLb0EEEEDaSS_ST_EUlSS_E0_NS1_11comp_targetILNS1_3genE9ELNS1_11target_archE1100ELNS1_3gpuE3ELNS1_3repE0EEENS1_30default_config_static_selectorELNS0_4arch9wavefront6targetE1EEEvT1_,"axG",@progbits,_ZN7rocprim17ROCPRIM_400000_NS6detail17trampoline_kernelINS0_14default_configENS1_20scan_config_selectorIiEEZZNS1_9scan_implILNS1_25lookback_scan_determinismE0ELb1ELb1ES3_N6thrust23THRUST_200600_302600_NS6detail15normal_iteratorINS9_10device_ptrIiEEEENS9_16discard_iteratorINS9_11use_defaultEEEi11max_functorIiEiEEDaPvRmT3_T4_T5_mT6_P12ihipStream_tbENKUlT_T0_E_clISt17integral_constantIbLb1EESW_IbLb0EEEEDaSS_ST_EUlSS_E0_NS1_11comp_targetILNS1_3genE9ELNS1_11target_archE1100ELNS1_3gpuE3ELNS1_3repE0EEENS1_30default_config_static_selectorELNS0_4arch9wavefront6targetE1EEEvT1_,comdat
.Lfunc_end3978:
	.size	_ZN7rocprim17ROCPRIM_400000_NS6detail17trampoline_kernelINS0_14default_configENS1_20scan_config_selectorIiEEZZNS1_9scan_implILNS1_25lookback_scan_determinismE0ELb1ELb1ES3_N6thrust23THRUST_200600_302600_NS6detail15normal_iteratorINS9_10device_ptrIiEEEENS9_16discard_iteratorINS9_11use_defaultEEEi11max_functorIiEiEEDaPvRmT3_T4_T5_mT6_P12ihipStream_tbENKUlT_T0_E_clISt17integral_constantIbLb1EESW_IbLb0EEEEDaSS_ST_EUlSS_E0_NS1_11comp_targetILNS1_3genE9ELNS1_11target_archE1100ELNS1_3gpuE3ELNS1_3repE0EEENS1_30default_config_static_selectorELNS0_4arch9wavefront6targetE1EEEvT1_, .Lfunc_end3978-_ZN7rocprim17ROCPRIM_400000_NS6detail17trampoline_kernelINS0_14default_configENS1_20scan_config_selectorIiEEZZNS1_9scan_implILNS1_25lookback_scan_determinismE0ELb1ELb1ES3_N6thrust23THRUST_200600_302600_NS6detail15normal_iteratorINS9_10device_ptrIiEEEENS9_16discard_iteratorINS9_11use_defaultEEEi11max_functorIiEiEEDaPvRmT3_T4_T5_mT6_P12ihipStream_tbENKUlT_T0_E_clISt17integral_constantIbLb1EESW_IbLb0EEEEDaSS_ST_EUlSS_E0_NS1_11comp_targetILNS1_3genE9ELNS1_11target_archE1100ELNS1_3gpuE3ELNS1_3repE0EEENS1_30default_config_static_selectorELNS0_4arch9wavefront6targetE1EEEvT1_
                                        ; -- End function
	.section	.AMDGPU.csdata,"",@progbits
; Kernel info:
; codeLenInByte = 0
; NumSgprs: 4
; NumVgprs: 0
; NumAgprs: 0
; TotalNumVgprs: 0
; ScratchSize: 0
; MemoryBound: 0
; FloatMode: 240
; IeeeMode: 1
; LDSByteSize: 0 bytes/workgroup (compile time only)
; SGPRBlocks: 0
; VGPRBlocks: 0
; NumSGPRsForWavesPerEU: 4
; NumVGPRsForWavesPerEU: 1
; AccumOffset: 4
; Occupancy: 8
; WaveLimiterHint : 0
; COMPUTE_PGM_RSRC2:SCRATCH_EN: 0
; COMPUTE_PGM_RSRC2:USER_SGPR: 6
; COMPUTE_PGM_RSRC2:TRAP_HANDLER: 0
; COMPUTE_PGM_RSRC2:TGID_X_EN: 1
; COMPUTE_PGM_RSRC2:TGID_Y_EN: 0
; COMPUTE_PGM_RSRC2:TGID_Z_EN: 0
; COMPUTE_PGM_RSRC2:TIDIG_COMP_CNT: 0
; COMPUTE_PGM_RSRC3_GFX90A:ACCUM_OFFSET: 0
; COMPUTE_PGM_RSRC3_GFX90A:TG_SPLIT: 0
	.section	.text._ZN7rocprim17ROCPRIM_400000_NS6detail17trampoline_kernelINS0_14default_configENS1_20scan_config_selectorIiEEZZNS1_9scan_implILNS1_25lookback_scan_determinismE0ELb1ELb1ES3_N6thrust23THRUST_200600_302600_NS6detail15normal_iteratorINS9_10device_ptrIiEEEENS9_16discard_iteratorINS9_11use_defaultEEEi11max_functorIiEiEEDaPvRmT3_T4_T5_mT6_P12ihipStream_tbENKUlT_T0_E_clISt17integral_constantIbLb1EESW_IbLb0EEEEDaSS_ST_EUlSS_E0_NS1_11comp_targetILNS1_3genE8ELNS1_11target_archE1030ELNS1_3gpuE2ELNS1_3repE0EEENS1_30default_config_static_selectorELNS0_4arch9wavefront6targetE1EEEvT1_,"axG",@progbits,_ZN7rocprim17ROCPRIM_400000_NS6detail17trampoline_kernelINS0_14default_configENS1_20scan_config_selectorIiEEZZNS1_9scan_implILNS1_25lookback_scan_determinismE0ELb1ELb1ES3_N6thrust23THRUST_200600_302600_NS6detail15normal_iteratorINS9_10device_ptrIiEEEENS9_16discard_iteratorINS9_11use_defaultEEEi11max_functorIiEiEEDaPvRmT3_T4_T5_mT6_P12ihipStream_tbENKUlT_T0_E_clISt17integral_constantIbLb1EESW_IbLb0EEEEDaSS_ST_EUlSS_E0_NS1_11comp_targetILNS1_3genE8ELNS1_11target_archE1030ELNS1_3gpuE2ELNS1_3repE0EEENS1_30default_config_static_selectorELNS0_4arch9wavefront6targetE1EEEvT1_,comdat
	.protected	_ZN7rocprim17ROCPRIM_400000_NS6detail17trampoline_kernelINS0_14default_configENS1_20scan_config_selectorIiEEZZNS1_9scan_implILNS1_25lookback_scan_determinismE0ELb1ELb1ES3_N6thrust23THRUST_200600_302600_NS6detail15normal_iteratorINS9_10device_ptrIiEEEENS9_16discard_iteratorINS9_11use_defaultEEEi11max_functorIiEiEEDaPvRmT3_T4_T5_mT6_P12ihipStream_tbENKUlT_T0_E_clISt17integral_constantIbLb1EESW_IbLb0EEEEDaSS_ST_EUlSS_E0_NS1_11comp_targetILNS1_3genE8ELNS1_11target_archE1030ELNS1_3gpuE2ELNS1_3repE0EEENS1_30default_config_static_selectorELNS0_4arch9wavefront6targetE1EEEvT1_ ; -- Begin function _ZN7rocprim17ROCPRIM_400000_NS6detail17trampoline_kernelINS0_14default_configENS1_20scan_config_selectorIiEEZZNS1_9scan_implILNS1_25lookback_scan_determinismE0ELb1ELb1ES3_N6thrust23THRUST_200600_302600_NS6detail15normal_iteratorINS9_10device_ptrIiEEEENS9_16discard_iteratorINS9_11use_defaultEEEi11max_functorIiEiEEDaPvRmT3_T4_T5_mT6_P12ihipStream_tbENKUlT_T0_E_clISt17integral_constantIbLb1EESW_IbLb0EEEEDaSS_ST_EUlSS_E0_NS1_11comp_targetILNS1_3genE8ELNS1_11target_archE1030ELNS1_3gpuE2ELNS1_3repE0EEENS1_30default_config_static_selectorELNS0_4arch9wavefront6targetE1EEEvT1_
	.globl	_ZN7rocprim17ROCPRIM_400000_NS6detail17trampoline_kernelINS0_14default_configENS1_20scan_config_selectorIiEEZZNS1_9scan_implILNS1_25lookback_scan_determinismE0ELb1ELb1ES3_N6thrust23THRUST_200600_302600_NS6detail15normal_iteratorINS9_10device_ptrIiEEEENS9_16discard_iteratorINS9_11use_defaultEEEi11max_functorIiEiEEDaPvRmT3_T4_T5_mT6_P12ihipStream_tbENKUlT_T0_E_clISt17integral_constantIbLb1EESW_IbLb0EEEEDaSS_ST_EUlSS_E0_NS1_11comp_targetILNS1_3genE8ELNS1_11target_archE1030ELNS1_3gpuE2ELNS1_3repE0EEENS1_30default_config_static_selectorELNS0_4arch9wavefront6targetE1EEEvT1_
	.p2align	8
	.type	_ZN7rocprim17ROCPRIM_400000_NS6detail17trampoline_kernelINS0_14default_configENS1_20scan_config_selectorIiEEZZNS1_9scan_implILNS1_25lookback_scan_determinismE0ELb1ELb1ES3_N6thrust23THRUST_200600_302600_NS6detail15normal_iteratorINS9_10device_ptrIiEEEENS9_16discard_iteratorINS9_11use_defaultEEEi11max_functorIiEiEEDaPvRmT3_T4_T5_mT6_P12ihipStream_tbENKUlT_T0_E_clISt17integral_constantIbLb1EESW_IbLb0EEEEDaSS_ST_EUlSS_E0_NS1_11comp_targetILNS1_3genE8ELNS1_11target_archE1030ELNS1_3gpuE2ELNS1_3repE0EEENS1_30default_config_static_selectorELNS0_4arch9wavefront6targetE1EEEvT1_,@function
_ZN7rocprim17ROCPRIM_400000_NS6detail17trampoline_kernelINS0_14default_configENS1_20scan_config_selectorIiEEZZNS1_9scan_implILNS1_25lookback_scan_determinismE0ELb1ELb1ES3_N6thrust23THRUST_200600_302600_NS6detail15normal_iteratorINS9_10device_ptrIiEEEENS9_16discard_iteratorINS9_11use_defaultEEEi11max_functorIiEiEEDaPvRmT3_T4_T5_mT6_P12ihipStream_tbENKUlT_T0_E_clISt17integral_constantIbLb1EESW_IbLb0EEEEDaSS_ST_EUlSS_E0_NS1_11comp_targetILNS1_3genE8ELNS1_11target_archE1030ELNS1_3gpuE2ELNS1_3repE0EEENS1_30default_config_static_selectorELNS0_4arch9wavefront6targetE1EEEvT1_: ; @_ZN7rocprim17ROCPRIM_400000_NS6detail17trampoline_kernelINS0_14default_configENS1_20scan_config_selectorIiEEZZNS1_9scan_implILNS1_25lookback_scan_determinismE0ELb1ELb1ES3_N6thrust23THRUST_200600_302600_NS6detail15normal_iteratorINS9_10device_ptrIiEEEENS9_16discard_iteratorINS9_11use_defaultEEEi11max_functorIiEiEEDaPvRmT3_T4_T5_mT6_P12ihipStream_tbENKUlT_T0_E_clISt17integral_constantIbLb1EESW_IbLb0EEEEDaSS_ST_EUlSS_E0_NS1_11comp_targetILNS1_3genE8ELNS1_11target_archE1030ELNS1_3gpuE2ELNS1_3repE0EEENS1_30default_config_static_selectorELNS0_4arch9wavefront6targetE1EEEvT1_
; %bb.0:
	.section	.rodata,"a",@progbits
	.p2align	6, 0x0
	.amdhsa_kernel _ZN7rocprim17ROCPRIM_400000_NS6detail17trampoline_kernelINS0_14default_configENS1_20scan_config_selectorIiEEZZNS1_9scan_implILNS1_25lookback_scan_determinismE0ELb1ELb1ES3_N6thrust23THRUST_200600_302600_NS6detail15normal_iteratorINS9_10device_ptrIiEEEENS9_16discard_iteratorINS9_11use_defaultEEEi11max_functorIiEiEEDaPvRmT3_T4_T5_mT6_P12ihipStream_tbENKUlT_T0_E_clISt17integral_constantIbLb1EESW_IbLb0EEEEDaSS_ST_EUlSS_E0_NS1_11comp_targetILNS1_3genE8ELNS1_11target_archE1030ELNS1_3gpuE2ELNS1_3repE0EEENS1_30default_config_static_selectorELNS0_4arch9wavefront6targetE1EEEvT1_
		.amdhsa_group_segment_fixed_size 0
		.amdhsa_private_segment_fixed_size 0
		.amdhsa_kernarg_size 40
		.amdhsa_user_sgpr_count 6
		.amdhsa_user_sgpr_private_segment_buffer 1
		.amdhsa_user_sgpr_dispatch_ptr 0
		.amdhsa_user_sgpr_queue_ptr 0
		.amdhsa_user_sgpr_kernarg_segment_ptr 1
		.amdhsa_user_sgpr_dispatch_id 0
		.amdhsa_user_sgpr_flat_scratch_init 0
		.amdhsa_user_sgpr_kernarg_preload_length 0
		.amdhsa_user_sgpr_kernarg_preload_offset 0
		.amdhsa_user_sgpr_private_segment_size 0
		.amdhsa_uses_dynamic_stack 0
		.amdhsa_system_sgpr_private_segment_wavefront_offset 0
		.amdhsa_system_sgpr_workgroup_id_x 1
		.amdhsa_system_sgpr_workgroup_id_y 0
		.amdhsa_system_sgpr_workgroup_id_z 0
		.amdhsa_system_sgpr_workgroup_info 0
		.amdhsa_system_vgpr_workitem_id 0
		.amdhsa_next_free_vgpr 1
		.amdhsa_next_free_sgpr 0
		.amdhsa_accum_offset 4
		.amdhsa_reserve_vcc 0
		.amdhsa_reserve_flat_scratch 0
		.amdhsa_float_round_mode_32 0
		.amdhsa_float_round_mode_16_64 0
		.amdhsa_float_denorm_mode_32 3
		.amdhsa_float_denorm_mode_16_64 3
		.amdhsa_dx10_clamp 1
		.amdhsa_ieee_mode 1
		.amdhsa_fp16_overflow 0
		.amdhsa_tg_split 0
		.amdhsa_exception_fp_ieee_invalid_op 0
		.amdhsa_exception_fp_denorm_src 0
		.amdhsa_exception_fp_ieee_div_zero 0
		.amdhsa_exception_fp_ieee_overflow 0
		.amdhsa_exception_fp_ieee_underflow 0
		.amdhsa_exception_fp_ieee_inexact 0
		.amdhsa_exception_int_div_zero 0
	.end_amdhsa_kernel
	.section	.text._ZN7rocprim17ROCPRIM_400000_NS6detail17trampoline_kernelINS0_14default_configENS1_20scan_config_selectorIiEEZZNS1_9scan_implILNS1_25lookback_scan_determinismE0ELb1ELb1ES3_N6thrust23THRUST_200600_302600_NS6detail15normal_iteratorINS9_10device_ptrIiEEEENS9_16discard_iteratorINS9_11use_defaultEEEi11max_functorIiEiEEDaPvRmT3_T4_T5_mT6_P12ihipStream_tbENKUlT_T0_E_clISt17integral_constantIbLb1EESW_IbLb0EEEEDaSS_ST_EUlSS_E0_NS1_11comp_targetILNS1_3genE8ELNS1_11target_archE1030ELNS1_3gpuE2ELNS1_3repE0EEENS1_30default_config_static_selectorELNS0_4arch9wavefront6targetE1EEEvT1_,"axG",@progbits,_ZN7rocprim17ROCPRIM_400000_NS6detail17trampoline_kernelINS0_14default_configENS1_20scan_config_selectorIiEEZZNS1_9scan_implILNS1_25lookback_scan_determinismE0ELb1ELb1ES3_N6thrust23THRUST_200600_302600_NS6detail15normal_iteratorINS9_10device_ptrIiEEEENS9_16discard_iteratorINS9_11use_defaultEEEi11max_functorIiEiEEDaPvRmT3_T4_T5_mT6_P12ihipStream_tbENKUlT_T0_E_clISt17integral_constantIbLb1EESW_IbLb0EEEEDaSS_ST_EUlSS_E0_NS1_11comp_targetILNS1_3genE8ELNS1_11target_archE1030ELNS1_3gpuE2ELNS1_3repE0EEENS1_30default_config_static_selectorELNS0_4arch9wavefront6targetE1EEEvT1_,comdat
.Lfunc_end3979:
	.size	_ZN7rocprim17ROCPRIM_400000_NS6detail17trampoline_kernelINS0_14default_configENS1_20scan_config_selectorIiEEZZNS1_9scan_implILNS1_25lookback_scan_determinismE0ELb1ELb1ES3_N6thrust23THRUST_200600_302600_NS6detail15normal_iteratorINS9_10device_ptrIiEEEENS9_16discard_iteratorINS9_11use_defaultEEEi11max_functorIiEiEEDaPvRmT3_T4_T5_mT6_P12ihipStream_tbENKUlT_T0_E_clISt17integral_constantIbLb1EESW_IbLb0EEEEDaSS_ST_EUlSS_E0_NS1_11comp_targetILNS1_3genE8ELNS1_11target_archE1030ELNS1_3gpuE2ELNS1_3repE0EEENS1_30default_config_static_selectorELNS0_4arch9wavefront6targetE1EEEvT1_, .Lfunc_end3979-_ZN7rocprim17ROCPRIM_400000_NS6detail17trampoline_kernelINS0_14default_configENS1_20scan_config_selectorIiEEZZNS1_9scan_implILNS1_25lookback_scan_determinismE0ELb1ELb1ES3_N6thrust23THRUST_200600_302600_NS6detail15normal_iteratorINS9_10device_ptrIiEEEENS9_16discard_iteratorINS9_11use_defaultEEEi11max_functorIiEiEEDaPvRmT3_T4_T5_mT6_P12ihipStream_tbENKUlT_T0_E_clISt17integral_constantIbLb1EESW_IbLb0EEEEDaSS_ST_EUlSS_E0_NS1_11comp_targetILNS1_3genE8ELNS1_11target_archE1030ELNS1_3gpuE2ELNS1_3repE0EEENS1_30default_config_static_selectorELNS0_4arch9wavefront6targetE1EEEvT1_
                                        ; -- End function
	.section	.AMDGPU.csdata,"",@progbits
; Kernel info:
; codeLenInByte = 0
; NumSgprs: 4
; NumVgprs: 0
; NumAgprs: 0
; TotalNumVgprs: 0
; ScratchSize: 0
; MemoryBound: 0
; FloatMode: 240
; IeeeMode: 1
; LDSByteSize: 0 bytes/workgroup (compile time only)
; SGPRBlocks: 0
; VGPRBlocks: 0
; NumSGPRsForWavesPerEU: 4
; NumVGPRsForWavesPerEU: 1
; AccumOffset: 4
; Occupancy: 8
; WaveLimiterHint : 0
; COMPUTE_PGM_RSRC2:SCRATCH_EN: 0
; COMPUTE_PGM_RSRC2:USER_SGPR: 6
; COMPUTE_PGM_RSRC2:TRAP_HANDLER: 0
; COMPUTE_PGM_RSRC2:TGID_X_EN: 1
; COMPUTE_PGM_RSRC2:TGID_Y_EN: 0
; COMPUTE_PGM_RSRC2:TGID_Z_EN: 0
; COMPUTE_PGM_RSRC2:TIDIG_COMP_CNT: 0
; COMPUTE_PGM_RSRC3_GFX90A:ACCUM_OFFSET: 0
; COMPUTE_PGM_RSRC3_GFX90A:TG_SPLIT: 0
	.section	.text._ZN7rocprim17ROCPRIM_400000_NS6detail17trampoline_kernelINS0_14default_configENS1_20scan_config_selectorIiEEZZNS1_9scan_implILNS1_25lookback_scan_determinismE0ELb1ELb1ES3_N6thrust23THRUST_200600_302600_NS6detail15normal_iteratorINS9_10device_ptrIiEEEENS9_16discard_iteratorINS9_11use_defaultEEEi11max_functorIiEiEEDaPvRmT3_T4_T5_mT6_P12ihipStream_tbENKUlT_T0_E_clISt17integral_constantIbLb0EESW_IbLb1EEEEDaSS_ST_EUlSS_E_NS1_11comp_targetILNS1_3genE0ELNS1_11target_archE4294967295ELNS1_3gpuE0ELNS1_3repE0EEENS1_30default_config_static_selectorELNS0_4arch9wavefront6targetE1EEEvT1_,"axG",@progbits,_ZN7rocprim17ROCPRIM_400000_NS6detail17trampoline_kernelINS0_14default_configENS1_20scan_config_selectorIiEEZZNS1_9scan_implILNS1_25lookback_scan_determinismE0ELb1ELb1ES3_N6thrust23THRUST_200600_302600_NS6detail15normal_iteratorINS9_10device_ptrIiEEEENS9_16discard_iteratorINS9_11use_defaultEEEi11max_functorIiEiEEDaPvRmT3_T4_T5_mT6_P12ihipStream_tbENKUlT_T0_E_clISt17integral_constantIbLb0EESW_IbLb1EEEEDaSS_ST_EUlSS_E_NS1_11comp_targetILNS1_3genE0ELNS1_11target_archE4294967295ELNS1_3gpuE0ELNS1_3repE0EEENS1_30default_config_static_selectorELNS0_4arch9wavefront6targetE1EEEvT1_,comdat
	.protected	_ZN7rocprim17ROCPRIM_400000_NS6detail17trampoline_kernelINS0_14default_configENS1_20scan_config_selectorIiEEZZNS1_9scan_implILNS1_25lookback_scan_determinismE0ELb1ELb1ES3_N6thrust23THRUST_200600_302600_NS6detail15normal_iteratorINS9_10device_ptrIiEEEENS9_16discard_iteratorINS9_11use_defaultEEEi11max_functorIiEiEEDaPvRmT3_T4_T5_mT6_P12ihipStream_tbENKUlT_T0_E_clISt17integral_constantIbLb0EESW_IbLb1EEEEDaSS_ST_EUlSS_E_NS1_11comp_targetILNS1_3genE0ELNS1_11target_archE4294967295ELNS1_3gpuE0ELNS1_3repE0EEENS1_30default_config_static_selectorELNS0_4arch9wavefront6targetE1EEEvT1_ ; -- Begin function _ZN7rocprim17ROCPRIM_400000_NS6detail17trampoline_kernelINS0_14default_configENS1_20scan_config_selectorIiEEZZNS1_9scan_implILNS1_25lookback_scan_determinismE0ELb1ELb1ES3_N6thrust23THRUST_200600_302600_NS6detail15normal_iteratorINS9_10device_ptrIiEEEENS9_16discard_iteratorINS9_11use_defaultEEEi11max_functorIiEiEEDaPvRmT3_T4_T5_mT6_P12ihipStream_tbENKUlT_T0_E_clISt17integral_constantIbLb0EESW_IbLb1EEEEDaSS_ST_EUlSS_E_NS1_11comp_targetILNS1_3genE0ELNS1_11target_archE4294967295ELNS1_3gpuE0ELNS1_3repE0EEENS1_30default_config_static_selectorELNS0_4arch9wavefront6targetE1EEEvT1_
	.globl	_ZN7rocprim17ROCPRIM_400000_NS6detail17trampoline_kernelINS0_14default_configENS1_20scan_config_selectorIiEEZZNS1_9scan_implILNS1_25lookback_scan_determinismE0ELb1ELb1ES3_N6thrust23THRUST_200600_302600_NS6detail15normal_iteratorINS9_10device_ptrIiEEEENS9_16discard_iteratorINS9_11use_defaultEEEi11max_functorIiEiEEDaPvRmT3_T4_T5_mT6_P12ihipStream_tbENKUlT_T0_E_clISt17integral_constantIbLb0EESW_IbLb1EEEEDaSS_ST_EUlSS_E_NS1_11comp_targetILNS1_3genE0ELNS1_11target_archE4294967295ELNS1_3gpuE0ELNS1_3repE0EEENS1_30default_config_static_selectorELNS0_4arch9wavefront6targetE1EEEvT1_
	.p2align	8
	.type	_ZN7rocprim17ROCPRIM_400000_NS6detail17trampoline_kernelINS0_14default_configENS1_20scan_config_selectorIiEEZZNS1_9scan_implILNS1_25lookback_scan_determinismE0ELb1ELb1ES3_N6thrust23THRUST_200600_302600_NS6detail15normal_iteratorINS9_10device_ptrIiEEEENS9_16discard_iteratorINS9_11use_defaultEEEi11max_functorIiEiEEDaPvRmT3_T4_T5_mT6_P12ihipStream_tbENKUlT_T0_E_clISt17integral_constantIbLb0EESW_IbLb1EEEEDaSS_ST_EUlSS_E_NS1_11comp_targetILNS1_3genE0ELNS1_11target_archE4294967295ELNS1_3gpuE0ELNS1_3repE0EEENS1_30default_config_static_selectorELNS0_4arch9wavefront6targetE1EEEvT1_,@function
_ZN7rocprim17ROCPRIM_400000_NS6detail17trampoline_kernelINS0_14default_configENS1_20scan_config_selectorIiEEZZNS1_9scan_implILNS1_25lookback_scan_determinismE0ELb1ELb1ES3_N6thrust23THRUST_200600_302600_NS6detail15normal_iteratorINS9_10device_ptrIiEEEENS9_16discard_iteratorINS9_11use_defaultEEEi11max_functorIiEiEEDaPvRmT3_T4_T5_mT6_P12ihipStream_tbENKUlT_T0_E_clISt17integral_constantIbLb0EESW_IbLb1EEEEDaSS_ST_EUlSS_E_NS1_11comp_targetILNS1_3genE0ELNS1_11target_archE4294967295ELNS1_3gpuE0ELNS1_3repE0EEENS1_30default_config_static_selectorELNS0_4arch9wavefront6targetE1EEEvT1_: ; @_ZN7rocprim17ROCPRIM_400000_NS6detail17trampoline_kernelINS0_14default_configENS1_20scan_config_selectorIiEEZZNS1_9scan_implILNS1_25lookback_scan_determinismE0ELb1ELb1ES3_N6thrust23THRUST_200600_302600_NS6detail15normal_iteratorINS9_10device_ptrIiEEEENS9_16discard_iteratorINS9_11use_defaultEEEi11max_functorIiEiEEDaPvRmT3_T4_T5_mT6_P12ihipStream_tbENKUlT_T0_E_clISt17integral_constantIbLb0EESW_IbLb1EEEEDaSS_ST_EUlSS_E_NS1_11comp_targetILNS1_3genE0ELNS1_11target_archE4294967295ELNS1_3gpuE0ELNS1_3repE0EEENS1_30default_config_static_selectorELNS0_4arch9wavefront6targetE1EEEvT1_
; %bb.0:
	.section	.rodata,"a",@progbits
	.p2align	6, 0x0
	.amdhsa_kernel _ZN7rocprim17ROCPRIM_400000_NS6detail17trampoline_kernelINS0_14default_configENS1_20scan_config_selectorIiEEZZNS1_9scan_implILNS1_25lookback_scan_determinismE0ELb1ELb1ES3_N6thrust23THRUST_200600_302600_NS6detail15normal_iteratorINS9_10device_ptrIiEEEENS9_16discard_iteratorINS9_11use_defaultEEEi11max_functorIiEiEEDaPvRmT3_T4_T5_mT6_P12ihipStream_tbENKUlT_T0_E_clISt17integral_constantIbLb0EESW_IbLb1EEEEDaSS_ST_EUlSS_E_NS1_11comp_targetILNS1_3genE0ELNS1_11target_archE4294967295ELNS1_3gpuE0ELNS1_3repE0EEENS1_30default_config_static_selectorELNS0_4arch9wavefront6targetE1EEEvT1_
		.amdhsa_group_segment_fixed_size 0
		.amdhsa_private_segment_fixed_size 0
		.amdhsa_kernarg_size 104
		.amdhsa_user_sgpr_count 6
		.amdhsa_user_sgpr_private_segment_buffer 1
		.amdhsa_user_sgpr_dispatch_ptr 0
		.amdhsa_user_sgpr_queue_ptr 0
		.amdhsa_user_sgpr_kernarg_segment_ptr 1
		.amdhsa_user_sgpr_dispatch_id 0
		.amdhsa_user_sgpr_flat_scratch_init 0
		.amdhsa_user_sgpr_kernarg_preload_length 0
		.amdhsa_user_sgpr_kernarg_preload_offset 0
		.amdhsa_user_sgpr_private_segment_size 0
		.amdhsa_uses_dynamic_stack 0
		.amdhsa_system_sgpr_private_segment_wavefront_offset 0
		.amdhsa_system_sgpr_workgroup_id_x 1
		.amdhsa_system_sgpr_workgroup_id_y 0
		.amdhsa_system_sgpr_workgroup_id_z 0
		.amdhsa_system_sgpr_workgroup_info 0
		.amdhsa_system_vgpr_workitem_id 0
		.amdhsa_next_free_vgpr 1
		.amdhsa_next_free_sgpr 0
		.amdhsa_accum_offset 4
		.amdhsa_reserve_vcc 0
		.amdhsa_reserve_flat_scratch 0
		.amdhsa_float_round_mode_32 0
		.amdhsa_float_round_mode_16_64 0
		.amdhsa_float_denorm_mode_32 3
		.amdhsa_float_denorm_mode_16_64 3
		.amdhsa_dx10_clamp 1
		.amdhsa_ieee_mode 1
		.amdhsa_fp16_overflow 0
		.amdhsa_tg_split 0
		.amdhsa_exception_fp_ieee_invalid_op 0
		.amdhsa_exception_fp_denorm_src 0
		.amdhsa_exception_fp_ieee_div_zero 0
		.amdhsa_exception_fp_ieee_overflow 0
		.amdhsa_exception_fp_ieee_underflow 0
		.amdhsa_exception_fp_ieee_inexact 0
		.amdhsa_exception_int_div_zero 0
	.end_amdhsa_kernel
	.section	.text._ZN7rocprim17ROCPRIM_400000_NS6detail17trampoline_kernelINS0_14default_configENS1_20scan_config_selectorIiEEZZNS1_9scan_implILNS1_25lookback_scan_determinismE0ELb1ELb1ES3_N6thrust23THRUST_200600_302600_NS6detail15normal_iteratorINS9_10device_ptrIiEEEENS9_16discard_iteratorINS9_11use_defaultEEEi11max_functorIiEiEEDaPvRmT3_T4_T5_mT6_P12ihipStream_tbENKUlT_T0_E_clISt17integral_constantIbLb0EESW_IbLb1EEEEDaSS_ST_EUlSS_E_NS1_11comp_targetILNS1_3genE0ELNS1_11target_archE4294967295ELNS1_3gpuE0ELNS1_3repE0EEENS1_30default_config_static_selectorELNS0_4arch9wavefront6targetE1EEEvT1_,"axG",@progbits,_ZN7rocprim17ROCPRIM_400000_NS6detail17trampoline_kernelINS0_14default_configENS1_20scan_config_selectorIiEEZZNS1_9scan_implILNS1_25lookback_scan_determinismE0ELb1ELb1ES3_N6thrust23THRUST_200600_302600_NS6detail15normal_iteratorINS9_10device_ptrIiEEEENS9_16discard_iteratorINS9_11use_defaultEEEi11max_functorIiEiEEDaPvRmT3_T4_T5_mT6_P12ihipStream_tbENKUlT_T0_E_clISt17integral_constantIbLb0EESW_IbLb1EEEEDaSS_ST_EUlSS_E_NS1_11comp_targetILNS1_3genE0ELNS1_11target_archE4294967295ELNS1_3gpuE0ELNS1_3repE0EEENS1_30default_config_static_selectorELNS0_4arch9wavefront6targetE1EEEvT1_,comdat
.Lfunc_end3980:
	.size	_ZN7rocprim17ROCPRIM_400000_NS6detail17trampoline_kernelINS0_14default_configENS1_20scan_config_selectorIiEEZZNS1_9scan_implILNS1_25lookback_scan_determinismE0ELb1ELb1ES3_N6thrust23THRUST_200600_302600_NS6detail15normal_iteratorINS9_10device_ptrIiEEEENS9_16discard_iteratorINS9_11use_defaultEEEi11max_functorIiEiEEDaPvRmT3_T4_T5_mT6_P12ihipStream_tbENKUlT_T0_E_clISt17integral_constantIbLb0EESW_IbLb1EEEEDaSS_ST_EUlSS_E_NS1_11comp_targetILNS1_3genE0ELNS1_11target_archE4294967295ELNS1_3gpuE0ELNS1_3repE0EEENS1_30default_config_static_selectorELNS0_4arch9wavefront6targetE1EEEvT1_, .Lfunc_end3980-_ZN7rocprim17ROCPRIM_400000_NS6detail17trampoline_kernelINS0_14default_configENS1_20scan_config_selectorIiEEZZNS1_9scan_implILNS1_25lookback_scan_determinismE0ELb1ELb1ES3_N6thrust23THRUST_200600_302600_NS6detail15normal_iteratorINS9_10device_ptrIiEEEENS9_16discard_iteratorINS9_11use_defaultEEEi11max_functorIiEiEEDaPvRmT3_T4_T5_mT6_P12ihipStream_tbENKUlT_T0_E_clISt17integral_constantIbLb0EESW_IbLb1EEEEDaSS_ST_EUlSS_E_NS1_11comp_targetILNS1_3genE0ELNS1_11target_archE4294967295ELNS1_3gpuE0ELNS1_3repE0EEENS1_30default_config_static_selectorELNS0_4arch9wavefront6targetE1EEEvT1_
                                        ; -- End function
	.section	.AMDGPU.csdata,"",@progbits
; Kernel info:
; codeLenInByte = 0
; NumSgprs: 4
; NumVgprs: 0
; NumAgprs: 0
; TotalNumVgprs: 0
; ScratchSize: 0
; MemoryBound: 0
; FloatMode: 240
; IeeeMode: 1
; LDSByteSize: 0 bytes/workgroup (compile time only)
; SGPRBlocks: 0
; VGPRBlocks: 0
; NumSGPRsForWavesPerEU: 4
; NumVGPRsForWavesPerEU: 1
; AccumOffset: 4
; Occupancy: 8
; WaveLimiterHint : 0
; COMPUTE_PGM_RSRC2:SCRATCH_EN: 0
; COMPUTE_PGM_RSRC2:USER_SGPR: 6
; COMPUTE_PGM_RSRC2:TRAP_HANDLER: 0
; COMPUTE_PGM_RSRC2:TGID_X_EN: 1
; COMPUTE_PGM_RSRC2:TGID_Y_EN: 0
; COMPUTE_PGM_RSRC2:TGID_Z_EN: 0
; COMPUTE_PGM_RSRC2:TIDIG_COMP_CNT: 0
; COMPUTE_PGM_RSRC3_GFX90A:ACCUM_OFFSET: 0
; COMPUTE_PGM_RSRC3_GFX90A:TG_SPLIT: 0
	.section	.text._ZN7rocprim17ROCPRIM_400000_NS6detail17trampoline_kernelINS0_14default_configENS1_20scan_config_selectorIiEEZZNS1_9scan_implILNS1_25lookback_scan_determinismE0ELb1ELb1ES3_N6thrust23THRUST_200600_302600_NS6detail15normal_iteratorINS9_10device_ptrIiEEEENS9_16discard_iteratorINS9_11use_defaultEEEi11max_functorIiEiEEDaPvRmT3_T4_T5_mT6_P12ihipStream_tbENKUlT_T0_E_clISt17integral_constantIbLb0EESW_IbLb1EEEEDaSS_ST_EUlSS_E_NS1_11comp_targetILNS1_3genE5ELNS1_11target_archE942ELNS1_3gpuE9ELNS1_3repE0EEENS1_30default_config_static_selectorELNS0_4arch9wavefront6targetE1EEEvT1_,"axG",@progbits,_ZN7rocprim17ROCPRIM_400000_NS6detail17trampoline_kernelINS0_14default_configENS1_20scan_config_selectorIiEEZZNS1_9scan_implILNS1_25lookback_scan_determinismE0ELb1ELb1ES3_N6thrust23THRUST_200600_302600_NS6detail15normal_iteratorINS9_10device_ptrIiEEEENS9_16discard_iteratorINS9_11use_defaultEEEi11max_functorIiEiEEDaPvRmT3_T4_T5_mT6_P12ihipStream_tbENKUlT_T0_E_clISt17integral_constantIbLb0EESW_IbLb1EEEEDaSS_ST_EUlSS_E_NS1_11comp_targetILNS1_3genE5ELNS1_11target_archE942ELNS1_3gpuE9ELNS1_3repE0EEENS1_30default_config_static_selectorELNS0_4arch9wavefront6targetE1EEEvT1_,comdat
	.protected	_ZN7rocprim17ROCPRIM_400000_NS6detail17trampoline_kernelINS0_14default_configENS1_20scan_config_selectorIiEEZZNS1_9scan_implILNS1_25lookback_scan_determinismE0ELb1ELb1ES3_N6thrust23THRUST_200600_302600_NS6detail15normal_iteratorINS9_10device_ptrIiEEEENS9_16discard_iteratorINS9_11use_defaultEEEi11max_functorIiEiEEDaPvRmT3_T4_T5_mT6_P12ihipStream_tbENKUlT_T0_E_clISt17integral_constantIbLb0EESW_IbLb1EEEEDaSS_ST_EUlSS_E_NS1_11comp_targetILNS1_3genE5ELNS1_11target_archE942ELNS1_3gpuE9ELNS1_3repE0EEENS1_30default_config_static_selectorELNS0_4arch9wavefront6targetE1EEEvT1_ ; -- Begin function _ZN7rocprim17ROCPRIM_400000_NS6detail17trampoline_kernelINS0_14default_configENS1_20scan_config_selectorIiEEZZNS1_9scan_implILNS1_25lookback_scan_determinismE0ELb1ELb1ES3_N6thrust23THRUST_200600_302600_NS6detail15normal_iteratorINS9_10device_ptrIiEEEENS9_16discard_iteratorINS9_11use_defaultEEEi11max_functorIiEiEEDaPvRmT3_T4_T5_mT6_P12ihipStream_tbENKUlT_T0_E_clISt17integral_constantIbLb0EESW_IbLb1EEEEDaSS_ST_EUlSS_E_NS1_11comp_targetILNS1_3genE5ELNS1_11target_archE942ELNS1_3gpuE9ELNS1_3repE0EEENS1_30default_config_static_selectorELNS0_4arch9wavefront6targetE1EEEvT1_
	.globl	_ZN7rocprim17ROCPRIM_400000_NS6detail17trampoline_kernelINS0_14default_configENS1_20scan_config_selectorIiEEZZNS1_9scan_implILNS1_25lookback_scan_determinismE0ELb1ELb1ES3_N6thrust23THRUST_200600_302600_NS6detail15normal_iteratorINS9_10device_ptrIiEEEENS9_16discard_iteratorINS9_11use_defaultEEEi11max_functorIiEiEEDaPvRmT3_T4_T5_mT6_P12ihipStream_tbENKUlT_T0_E_clISt17integral_constantIbLb0EESW_IbLb1EEEEDaSS_ST_EUlSS_E_NS1_11comp_targetILNS1_3genE5ELNS1_11target_archE942ELNS1_3gpuE9ELNS1_3repE0EEENS1_30default_config_static_selectorELNS0_4arch9wavefront6targetE1EEEvT1_
	.p2align	8
	.type	_ZN7rocprim17ROCPRIM_400000_NS6detail17trampoline_kernelINS0_14default_configENS1_20scan_config_selectorIiEEZZNS1_9scan_implILNS1_25lookback_scan_determinismE0ELb1ELb1ES3_N6thrust23THRUST_200600_302600_NS6detail15normal_iteratorINS9_10device_ptrIiEEEENS9_16discard_iteratorINS9_11use_defaultEEEi11max_functorIiEiEEDaPvRmT3_T4_T5_mT6_P12ihipStream_tbENKUlT_T0_E_clISt17integral_constantIbLb0EESW_IbLb1EEEEDaSS_ST_EUlSS_E_NS1_11comp_targetILNS1_3genE5ELNS1_11target_archE942ELNS1_3gpuE9ELNS1_3repE0EEENS1_30default_config_static_selectorELNS0_4arch9wavefront6targetE1EEEvT1_,@function
_ZN7rocprim17ROCPRIM_400000_NS6detail17trampoline_kernelINS0_14default_configENS1_20scan_config_selectorIiEEZZNS1_9scan_implILNS1_25lookback_scan_determinismE0ELb1ELb1ES3_N6thrust23THRUST_200600_302600_NS6detail15normal_iteratorINS9_10device_ptrIiEEEENS9_16discard_iteratorINS9_11use_defaultEEEi11max_functorIiEiEEDaPvRmT3_T4_T5_mT6_P12ihipStream_tbENKUlT_T0_E_clISt17integral_constantIbLb0EESW_IbLb1EEEEDaSS_ST_EUlSS_E_NS1_11comp_targetILNS1_3genE5ELNS1_11target_archE942ELNS1_3gpuE9ELNS1_3repE0EEENS1_30default_config_static_selectorELNS0_4arch9wavefront6targetE1EEEvT1_: ; @_ZN7rocprim17ROCPRIM_400000_NS6detail17trampoline_kernelINS0_14default_configENS1_20scan_config_selectorIiEEZZNS1_9scan_implILNS1_25lookback_scan_determinismE0ELb1ELb1ES3_N6thrust23THRUST_200600_302600_NS6detail15normal_iteratorINS9_10device_ptrIiEEEENS9_16discard_iteratorINS9_11use_defaultEEEi11max_functorIiEiEEDaPvRmT3_T4_T5_mT6_P12ihipStream_tbENKUlT_T0_E_clISt17integral_constantIbLb0EESW_IbLb1EEEEDaSS_ST_EUlSS_E_NS1_11comp_targetILNS1_3genE5ELNS1_11target_archE942ELNS1_3gpuE9ELNS1_3repE0EEENS1_30default_config_static_selectorELNS0_4arch9wavefront6targetE1EEEvT1_
; %bb.0:
	.section	.rodata,"a",@progbits
	.p2align	6, 0x0
	.amdhsa_kernel _ZN7rocprim17ROCPRIM_400000_NS6detail17trampoline_kernelINS0_14default_configENS1_20scan_config_selectorIiEEZZNS1_9scan_implILNS1_25lookback_scan_determinismE0ELb1ELb1ES3_N6thrust23THRUST_200600_302600_NS6detail15normal_iteratorINS9_10device_ptrIiEEEENS9_16discard_iteratorINS9_11use_defaultEEEi11max_functorIiEiEEDaPvRmT3_T4_T5_mT6_P12ihipStream_tbENKUlT_T0_E_clISt17integral_constantIbLb0EESW_IbLb1EEEEDaSS_ST_EUlSS_E_NS1_11comp_targetILNS1_3genE5ELNS1_11target_archE942ELNS1_3gpuE9ELNS1_3repE0EEENS1_30default_config_static_selectorELNS0_4arch9wavefront6targetE1EEEvT1_
		.amdhsa_group_segment_fixed_size 0
		.amdhsa_private_segment_fixed_size 0
		.amdhsa_kernarg_size 104
		.amdhsa_user_sgpr_count 6
		.amdhsa_user_sgpr_private_segment_buffer 1
		.amdhsa_user_sgpr_dispatch_ptr 0
		.amdhsa_user_sgpr_queue_ptr 0
		.amdhsa_user_sgpr_kernarg_segment_ptr 1
		.amdhsa_user_sgpr_dispatch_id 0
		.amdhsa_user_sgpr_flat_scratch_init 0
		.amdhsa_user_sgpr_kernarg_preload_length 0
		.amdhsa_user_sgpr_kernarg_preload_offset 0
		.amdhsa_user_sgpr_private_segment_size 0
		.amdhsa_uses_dynamic_stack 0
		.amdhsa_system_sgpr_private_segment_wavefront_offset 0
		.amdhsa_system_sgpr_workgroup_id_x 1
		.amdhsa_system_sgpr_workgroup_id_y 0
		.amdhsa_system_sgpr_workgroup_id_z 0
		.amdhsa_system_sgpr_workgroup_info 0
		.amdhsa_system_vgpr_workitem_id 0
		.amdhsa_next_free_vgpr 1
		.amdhsa_next_free_sgpr 0
		.amdhsa_accum_offset 4
		.amdhsa_reserve_vcc 0
		.amdhsa_reserve_flat_scratch 0
		.amdhsa_float_round_mode_32 0
		.amdhsa_float_round_mode_16_64 0
		.amdhsa_float_denorm_mode_32 3
		.amdhsa_float_denorm_mode_16_64 3
		.amdhsa_dx10_clamp 1
		.amdhsa_ieee_mode 1
		.amdhsa_fp16_overflow 0
		.amdhsa_tg_split 0
		.amdhsa_exception_fp_ieee_invalid_op 0
		.amdhsa_exception_fp_denorm_src 0
		.amdhsa_exception_fp_ieee_div_zero 0
		.amdhsa_exception_fp_ieee_overflow 0
		.amdhsa_exception_fp_ieee_underflow 0
		.amdhsa_exception_fp_ieee_inexact 0
		.amdhsa_exception_int_div_zero 0
	.end_amdhsa_kernel
	.section	.text._ZN7rocprim17ROCPRIM_400000_NS6detail17trampoline_kernelINS0_14default_configENS1_20scan_config_selectorIiEEZZNS1_9scan_implILNS1_25lookback_scan_determinismE0ELb1ELb1ES3_N6thrust23THRUST_200600_302600_NS6detail15normal_iteratorINS9_10device_ptrIiEEEENS9_16discard_iteratorINS9_11use_defaultEEEi11max_functorIiEiEEDaPvRmT3_T4_T5_mT6_P12ihipStream_tbENKUlT_T0_E_clISt17integral_constantIbLb0EESW_IbLb1EEEEDaSS_ST_EUlSS_E_NS1_11comp_targetILNS1_3genE5ELNS1_11target_archE942ELNS1_3gpuE9ELNS1_3repE0EEENS1_30default_config_static_selectorELNS0_4arch9wavefront6targetE1EEEvT1_,"axG",@progbits,_ZN7rocprim17ROCPRIM_400000_NS6detail17trampoline_kernelINS0_14default_configENS1_20scan_config_selectorIiEEZZNS1_9scan_implILNS1_25lookback_scan_determinismE0ELb1ELb1ES3_N6thrust23THRUST_200600_302600_NS6detail15normal_iteratorINS9_10device_ptrIiEEEENS9_16discard_iteratorINS9_11use_defaultEEEi11max_functorIiEiEEDaPvRmT3_T4_T5_mT6_P12ihipStream_tbENKUlT_T0_E_clISt17integral_constantIbLb0EESW_IbLb1EEEEDaSS_ST_EUlSS_E_NS1_11comp_targetILNS1_3genE5ELNS1_11target_archE942ELNS1_3gpuE9ELNS1_3repE0EEENS1_30default_config_static_selectorELNS0_4arch9wavefront6targetE1EEEvT1_,comdat
.Lfunc_end3981:
	.size	_ZN7rocprim17ROCPRIM_400000_NS6detail17trampoline_kernelINS0_14default_configENS1_20scan_config_selectorIiEEZZNS1_9scan_implILNS1_25lookback_scan_determinismE0ELb1ELb1ES3_N6thrust23THRUST_200600_302600_NS6detail15normal_iteratorINS9_10device_ptrIiEEEENS9_16discard_iteratorINS9_11use_defaultEEEi11max_functorIiEiEEDaPvRmT3_T4_T5_mT6_P12ihipStream_tbENKUlT_T0_E_clISt17integral_constantIbLb0EESW_IbLb1EEEEDaSS_ST_EUlSS_E_NS1_11comp_targetILNS1_3genE5ELNS1_11target_archE942ELNS1_3gpuE9ELNS1_3repE0EEENS1_30default_config_static_selectorELNS0_4arch9wavefront6targetE1EEEvT1_, .Lfunc_end3981-_ZN7rocprim17ROCPRIM_400000_NS6detail17trampoline_kernelINS0_14default_configENS1_20scan_config_selectorIiEEZZNS1_9scan_implILNS1_25lookback_scan_determinismE0ELb1ELb1ES3_N6thrust23THRUST_200600_302600_NS6detail15normal_iteratorINS9_10device_ptrIiEEEENS9_16discard_iteratorINS9_11use_defaultEEEi11max_functorIiEiEEDaPvRmT3_T4_T5_mT6_P12ihipStream_tbENKUlT_T0_E_clISt17integral_constantIbLb0EESW_IbLb1EEEEDaSS_ST_EUlSS_E_NS1_11comp_targetILNS1_3genE5ELNS1_11target_archE942ELNS1_3gpuE9ELNS1_3repE0EEENS1_30default_config_static_selectorELNS0_4arch9wavefront6targetE1EEEvT1_
                                        ; -- End function
	.section	.AMDGPU.csdata,"",@progbits
; Kernel info:
; codeLenInByte = 0
; NumSgprs: 4
; NumVgprs: 0
; NumAgprs: 0
; TotalNumVgprs: 0
; ScratchSize: 0
; MemoryBound: 0
; FloatMode: 240
; IeeeMode: 1
; LDSByteSize: 0 bytes/workgroup (compile time only)
; SGPRBlocks: 0
; VGPRBlocks: 0
; NumSGPRsForWavesPerEU: 4
; NumVGPRsForWavesPerEU: 1
; AccumOffset: 4
; Occupancy: 8
; WaveLimiterHint : 0
; COMPUTE_PGM_RSRC2:SCRATCH_EN: 0
; COMPUTE_PGM_RSRC2:USER_SGPR: 6
; COMPUTE_PGM_RSRC2:TRAP_HANDLER: 0
; COMPUTE_PGM_RSRC2:TGID_X_EN: 1
; COMPUTE_PGM_RSRC2:TGID_Y_EN: 0
; COMPUTE_PGM_RSRC2:TGID_Z_EN: 0
; COMPUTE_PGM_RSRC2:TIDIG_COMP_CNT: 0
; COMPUTE_PGM_RSRC3_GFX90A:ACCUM_OFFSET: 0
; COMPUTE_PGM_RSRC3_GFX90A:TG_SPLIT: 0
	.section	.text._ZN7rocprim17ROCPRIM_400000_NS6detail17trampoline_kernelINS0_14default_configENS1_20scan_config_selectorIiEEZZNS1_9scan_implILNS1_25lookback_scan_determinismE0ELb1ELb1ES3_N6thrust23THRUST_200600_302600_NS6detail15normal_iteratorINS9_10device_ptrIiEEEENS9_16discard_iteratorINS9_11use_defaultEEEi11max_functorIiEiEEDaPvRmT3_T4_T5_mT6_P12ihipStream_tbENKUlT_T0_E_clISt17integral_constantIbLb0EESW_IbLb1EEEEDaSS_ST_EUlSS_E_NS1_11comp_targetILNS1_3genE4ELNS1_11target_archE910ELNS1_3gpuE8ELNS1_3repE0EEENS1_30default_config_static_selectorELNS0_4arch9wavefront6targetE1EEEvT1_,"axG",@progbits,_ZN7rocprim17ROCPRIM_400000_NS6detail17trampoline_kernelINS0_14default_configENS1_20scan_config_selectorIiEEZZNS1_9scan_implILNS1_25lookback_scan_determinismE0ELb1ELb1ES3_N6thrust23THRUST_200600_302600_NS6detail15normal_iteratorINS9_10device_ptrIiEEEENS9_16discard_iteratorINS9_11use_defaultEEEi11max_functorIiEiEEDaPvRmT3_T4_T5_mT6_P12ihipStream_tbENKUlT_T0_E_clISt17integral_constantIbLb0EESW_IbLb1EEEEDaSS_ST_EUlSS_E_NS1_11comp_targetILNS1_3genE4ELNS1_11target_archE910ELNS1_3gpuE8ELNS1_3repE0EEENS1_30default_config_static_selectorELNS0_4arch9wavefront6targetE1EEEvT1_,comdat
	.protected	_ZN7rocprim17ROCPRIM_400000_NS6detail17trampoline_kernelINS0_14default_configENS1_20scan_config_selectorIiEEZZNS1_9scan_implILNS1_25lookback_scan_determinismE0ELb1ELb1ES3_N6thrust23THRUST_200600_302600_NS6detail15normal_iteratorINS9_10device_ptrIiEEEENS9_16discard_iteratorINS9_11use_defaultEEEi11max_functorIiEiEEDaPvRmT3_T4_T5_mT6_P12ihipStream_tbENKUlT_T0_E_clISt17integral_constantIbLb0EESW_IbLb1EEEEDaSS_ST_EUlSS_E_NS1_11comp_targetILNS1_3genE4ELNS1_11target_archE910ELNS1_3gpuE8ELNS1_3repE0EEENS1_30default_config_static_selectorELNS0_4arch9wavefront6targetE1EEEvT1_ ; -- Begin function _ZN7rocprim17ROCPRIM_400000_NS6detail17trampoline_kernelINS0_14default_configENS1_20scan_config_selectorIiEEZZNS1_9scan_implILNS1_25lookback_scan_determinismE0ELb1ELb1ES3_N6thrust23THRUST_200600_302600_NS6detail15normal_iteratorINS9_10device_ptrIiEEEENS9_16discard_iteratorINS9_11use_defaultEEEi11max_functorIiEiEEDaPvRmT3_T4_T5_mT6_P12ihipStream_tbENKUlT_T0_E_clISt17integral_constantIbLb0EESW_IbLb1EEEEDaSS_ST_EUlSS_E_NS1_11comp_targetILNS1_3genE4ELNS1_11target_archE910ELNS1_3gpuE8ELNS1_3repE0EEENS1_30default_config_static_selectorELNS0_4arch9wavefront6targetE1EEEvT1_
	.globl	_ZN7rocprim17ROCPRIM_400000_NS6detail17trampoline_kernelINS0_14default_configENS1_20scan_config_selectorIiEEZZNS1_9scan_implILNS1_25lookback_scan_determinismE0ELb1ELb1ES3_N6thrust23THRUST_200600_302600_NS6detail15normal_iteratorINS9_10device_ptrIiEEEENS9_16discard_iteratorINS9_11use_defaultEEEi11max_functorIiEiEEDaPvRmT3_T4_T5_mT6_P12ihipStream_tbENKUlT_T0_E_clISt17integral_constantIbLb0EESW_IbLb1EEEEDaSS_ST_EUlSS_E_NS1_11comp_targetILNS1_3genE4ELNS1_11target_archE910ELNS1_3gpuE8ELNS1_3repE0EEENS1_30default_config_static_selectorELNS0_4arch9wavefront6targetE1EEEvT1_
	.p2align	8
	.type	_ZN7rocprim17ROCPRIM_400000_NS6detail17trampoline_kernelINS0_14default_configENS1_20scan_config_selectorIiEEZZNS1_9scan_implILNS1_25lookback_scan_determinismE0ELb1ELb1ES3_N6thrust23THRUST_200600_302600_NS6detail15normal_iteratorINS9_10device_ptrIiEEEENS9_16discard_iteratorINS9_11use_defaultEEEi11max_functorIiEiEEDaPvRmT3_T4_T5_mT6_P12ihipStream_tbENKUlT_T0_E_clISt17integral_constantIbLb0EESW_IbLb1EEEEDaSS_ST_EUlSS_E_NS1_11comp_targetILNS1_3genE4ELNS1_11target_archE910ELNS1_3gpuE8ELNS1_3repE0EEENS1_30default_config_static_selectorELNS0_4arch9wavefront6targetE1EEEvT1_,@function
_ZN7rocprim17ROCPRIM_400000_NS6detail17trampoline_kernelINS0_14default_configENS1_20scan_config_selectorIiEEZZNS1_9scan_implILNS1_25lookback_scan_determinismE0ELb1ELb1ES3_N6thrust23THRUST_200600_302600_NS6detail15normal_iteratorINS9_10device_ptrIiEEEENS9_16discard_iteratorINS9_11use_defaultEEEi11max_functorIiEiEEDaPvRmT3_T4_T5_mT6_P12ihipStream_tbENKUlT_T0_E_clISt17integral_constantIbLb0EESW_IbLb1EEEEDaSS_ST_EUlSS_E_NS1_11comp_targetILNS1_3genE4ELNS1_11target_archE910ELNS1_3gpuE8ELNS1_3repE0EEENS1_30default_config_static_selectorELNS0_4arch9wavefront6targetE1EEEvT1_: ; @_ZN7rocprim17ROCPRIM_400000_NS6detail17trampoline_kernelINS0_14default_configENS1_20scan_config_selectorIiEEZZNS1_9scan_implILNS1_25lookback_scan_determinismE0ELb1ELb1ES3_N6thrust23THRUST_200600_302600_NS6detail15normal_iteratorINS9_10device_ptrIiEEEENS9_16discard_iteratorINS9_11use_defaultEEEi11max_functorIiEiEEDaPvRmT3_T4_T5_mT6_P12ihipStream_tbENKUlT_T0_E_clISt17integral_constantIbLb0EESW_IbLb1EEEEDaSS_ST_EUlSS_E_NS1_11comp_targetILNS1_3genE4ELNS1_11target_archE910ELNS1_3gpuE8ELNS1_3repE0EEENS1_30default_config_static_selectorELNS0_4arch9wavefront6targetE1EEEvT1_
; %bb.0:
	s_load_dwordx2 s[20:21], s[4:5], 0x20
	s_load_dword s26, s[4:5], 0x28
	s_load_dwordx2 s[6:7], s[4:5], 0x30
	v_cmp_ne_u32_e64 s[2:3], 0, v0
	v_cmp_eq_u32_e64 s[0:1], 0, v0
	s_and_saveexec_b64 s[8:9], s[0:1]
	s_cbranch_execz .LBB3982_4
; %bb.1:
	s_mov_b64 s[12:13], exec
	v_mbcnt_lo_u32_b32 v1, s12, 0
	v_mbcnt_hi_u32_b32 v1, s13, v1
	v_cmp_eq_u32_e32 vcc, 0, v1
                                        ; implicit-def: $vgpr2
	s_and_saveexec_b64 s[10:11], vcc
	s_cbranch_execz .LBB3982_3
; %bb.2:
	s_load_dwordx2 s[14:15], s[4:5], 0x60
	s_bcnt1_i32_b64 s12, s[12:13]
	v_mov_b32_e32 v2, 0
	v_mov_b32_e32 v3, s12
	s_waitcnt lgkmcnt(0)
	global_atomic_add v2, v2, v3, s[14:15] glc
.LBB3982_3:
	s_or_b64 exec, exec, s[10:11]
	s_waitcnt vmcnt(0)
	v_readfirstlane_b32 s10, v2
	v_add_u32_e32 v1, s10, v1
	v_mov_b32_e32 v2, 0
	ds_write_b32 v2, v1
.LBB3982_4:
	s_or_b64 exec, exec, s[8:9]
	v_mov_b32_e32 v3, 0
	s_load_dwordx4 s[16:19], s[4:5], 0x0
	s_load_dword s22, s[4:5], 0x38
	s_load_dwordx8 s[8:15], s[4:5], 0x40
	s_waitcnt lgkmcnt(0)
	s_barrier
	ds_read_b32 v1, v3
	s_lshl_b64 s[4:5], s[18:19], 2
	s_add_u32 s27, s16, s4
	s_movk_i32 s4, 0x500
	s_addc_u32 s28, s17, s5
	s_waitcnt lgkmcnt(0)
	v_mul_lo_u32 v2, v1, s4
	s_add_i32 s4, s22, -1
	s_mul_i32 s5, s4, 0x500
	s_sub_u32 s24, s20, s5
	v_readfirstlane_b32 s29, v1
	s_subb_u32 s25, s21, 0
	v_lshlrev_b64 v[2:3], 2, v[2:3]
	s_cmp_lg_u32 s29, s4
	v_mov_b32_e32 v1, s28
	v_add_co_u32_e32 v12, vcc, s27, v2
	s_cselect_b64 s[16:17], -1, 0
	v_addc_co_u32_e32 v13, vcc, v1, v3, vcc
	s_mov_b64 s[4:5], -1
	s_and_b64 vcc, exec, s[16:17]
	v_lshlrev_b32_e32 v11, 2, v0
	s_barrier
	s_cbranch_vccz .LBB3982_6
; %bb.5:
	v_add_co_u32_e32 v2, vcc, v12, v11
	v_addc_co_u32_e32 v3, vcc, 0, v13, vcc
	flat_load_dword v1, v[2:3]
	flat_load_dword v4, v[2:3] offset:512
	flat_load_dword v5, v[2:3] offset:1024
	;; [unrolled: 1-line block ×7, first 2 shown]
	v_add_co_u32_e32 v2, vcc, 0x1000, v2
	v_addc_co_u32_e32 v3, vcc, 0, v3, vcc
	flat_load_dword v14, v[2:3]
	flat_load_dword v15, v[2:3] offset:512
	s_mov_b64 s[4:5], 0
	s_waitcnt vmcnt(0) lgkmcnt(0)
	ds_write2st64_b32 v11, v1, v4 offset1:2
	ds_write2st64_b32 v11, v5, v6 offset0:4 offset1:6
	ds_write2st64_b32 v11, v7, v8 offset0:8 offset1:10
	;; [unrolled: 1-line block ×4, first 2 shown]
	s_waitcnt lgkmcnt(0)
	s_barrier
.LBB3982_6:
	s_andn2_b64 vcc, exec, s[4:5]
	s_cbranch_vccnz .LBB3982_28
; %bb.7:
	flat_load_dword v1, v[12:13]
	v_cmp_gt_u32_e32 vcc, s24, v0
	s_waitcnt vmcnt(0) lgkmcnt(0)
	v_mov_b32_e32 v2, v1
	v_mov_b32_e32 v3, v1
	;; [unrolled: 1-line block ×9, first 2 shown]
	s_and_saveexec_b64 s[4:5], vcc
	s_cbranch_execz .LBB3982_9
; %bb.8:
	v_add_co_u32_e32 v14, vcc, v12, v11
	v_addc_co_u32_e32 v15, vcc, 0, v13, vcc
	flat_load_dword v10, v[14:15]
.LBB3982_9:
	s_or_b64 exec, exec, s[4:5]
	v_or_b32_e32 v14, 0x80, v0
	v_cmp_gt_u32_e32 vcc, s24, v14
	s_and_saveexec_b64 s[4:5], vcc
	s_cbranch_execz .LBB3982_11
; %bb.10:
	v_add_co_u32_e32 v14, vcc, v12, v11
	v_addc_co_u32_e32 v15, vcc, 0, v13, vcc
	flat_load_dword v1, v[14:15] offset:512
.LBB3982_11:
	s_or_b64 exec, exec, s[4:5]
	v_or_b32_e32 v14, 0x100, v0
	v_cmp_gt_u32_e32 vcc, s24, v14
	s_and_saveexec_b64 s[4:5], vcc
	s_cbranch_execz .LBB3982_13
; %bb.12:
	v_add_co_u32_e32 v14, vcc, v12, v11
	v_addc_co_u32_e32 v15, vcc, 0, v13, vcc
	flat_load_dword v2, v[14:15] offset:1024
.LBB3982_13:
	;; [unrolled: 10-line block ×7, first 2 shown]
	s_or_b64 exec, exec, s[4:5]
	v_or_b32_e32 v14, 0x400, v0
	v_cmp_gt_u32_e32 vcc, s24, v14
	s_and_saveexec_b64 s[4:5], vcc
	s_cbranch_execz .LBB3982_25
; %bb.24:
	v_lshlrev_b32_e32 v8, 2, v14
	v_add_co_u32_e32 v14, vcc, v12, v8
	v_addc_co_u32_e32 v15, vcc, 0, v13, vcc
	flat_load_dword v8, v[14:15]
.LBB3982_25:
	s_or_b64 exec, exec, s[4:5]
	v_or_b32_e32 v14, 0x480, v0
	v_cmp_gt_u32_e32 vcc, s24, v14
	s_and_saveexec_b64 s[4:5], vcc
	s_cbranch_execz .LBB3982_27
; %bb.26:
	v_lshlrev_b32_e32 v9, 2, v14
	v_add_co_u32_e32 v12, vcc, v12, v9
	v_addc_co_u32_e32 v13, vcc, 0, v13, vcc
	flat_load_dword v9, v[12:13]
.LBB3982_27:
	s_or_b64 exec, exec, s[4:5]
	s_waitcnt vmcnt(0) lgkmcnt(0)
	ds_write2st64_b32 v11, v10, v1 offset1:2
	ds_write2st64_b32 v11, v2, v3 offset0:4 offset1:6
	ds_write2st64_b32 v11, v4, v5 offset0:8 offset1:10
	;; [unrolled: 1-line block ×4, first 2 shown]
	s_waitcnt lgkmcnt(0)
	s_barrier
.LBB3982_28:
	v_mul_u32_u24_e32 v22, 10, v0
	v_lshlrev_b32_e32 v23, 2, v22
	ds_read2_b64 v[16:19], v23 offset1:1
	ds_read2_b64 v[12:15], v23 offset0:2 offset1:3
	ds_read_b64 v[20:21], v23 offset:32
	s_cmp_lg_u32 s29, 0
	v_cmp_gt_u32_e32 vcc, 64, v0
	s_waitcnt lgkmcnt(2)
	v_max_i32_e32 v1, v16, v17
	v_max3_i32 v24, v1, v18, v19
	v_lshrrev_b32_e32 v1, 5, v0
	s_waitcnt lgkmcnt(0)
	s_barrier
	s_cbranch_scc0 .LBB3982_53
; %bb.29:
	v_max3_i32 v2, v24, v12, v13
	v_max3_i32 v2, v2, v14, v15
	;; [unrolled: 1-line block ×3, first 2 shown]
	v_add_lshl_u32 v2, v1, v0, 2
	ds_write_b32 v2, v25
	s_waitcnt lgkmcnt(0)
	s_barrier
	s_and_saveexec_b64 s[18:19], vcc
	s_cbranch_execz .LBB3982_31
; %bb.30:
	v_lshlrev_b32_e32 v2, 1, v0
	v_lshrrev_b32_e32 v3, 4, v0
	v_add_lshl_u32 v4, v3, v2, 2
	ds_read2_b32 v[2:3], v4 offset1:1
	v_mbcnt_lo_u32_b32 v5, -1, 0
	v_mbcnt_hi_u32_b32 v5, -1, v5
	v_and_b32_e32 v6, 15, v5
	v_cmp_eq_u32_e64 s[4:5], 0, v6
	s_waitcnt lgkmcnt(0)
	v_max_i32_e32 v3, v2, v3
	; wave barrier
	s_nop 1
	v_mov_b32_dpp v7, v3 row_shr:1 row_mask:0xf bank_mask:0xf
	v_max_i32_e32 v7, v7, v3
	v_cndmask_b32_e64 v3, v7, v3, s[4:5]
	v_cmp_lt_u32_e64 s[4:5], 1, v6
	s_nop 0
	v_mov_b32_dpp v7, v3 row_shr:2 row_mask:0xf bank_mask:0xf
	v_max_i32_e32 v7, v7, v3
	v_cndmask_b32_e64 v3, v3, v7, s[4:5]
	v_cmp_lt_u32_e64 s[4:5], 3, v6
	;; [unrolled: 5-line block ×3, first 2 shown]
	s_nop 0
	v_mov_b32_dpp v7, v3 row_shr:8 row_mask:0xf bank_mask:0xf
	v_max_i32_e32 v7, v7, v3
	v_cndmask_b32_e64 v3, v3, v7, s[4:5]
	v_and_b32_e32 v7, 16, v5
	v_cmp_eq_u32_e64 s[4:5], 0, v7
	v_mov_b32_dpp v6, v3 row_bcast:15 row_mask:0xf bank_mask:0xf
	v_max_i32_e32 v6, v6, v3
	v_cndmask_b32_e64 v3, v6, v3, s[4:5]
	v_cmp_lt_u32_e64 s[4:5], 31, v5
	v_and_b32_e32 v7, 64, v5
	v_mov_b32_dpp v6, v3 row_bcast:31 row_mask:0xf bank_mask:0xf
	v_max_i32_e32 v6, v6, v3
	v_cndmask_b32_e64 v3, v3, v6, s[4:5]
	v_add_u32_e32 v6, -1, v5
	v_cmp_lt_i32_e64 s[4:5], v6, v7
	v_cndmask_b32_e64 v5, v6, v5, s[4:5]
	v_lshlrev_b32_e32 v5, 2, v5
	ds_bpermute_b32 v3, v5, v3
	s_waitcnt lgkmcnt(0)
	v_max_i32_e32 v2, v3, v2
	v_cndmask_b32_e64 v2, v2, v25, s[0:1]
	ds_write_b32 v4, v2
	; wave barrier
	ds_read_b32 v3, v4 offset:4
	s_waitcnt lgkmcnt(0)
	v_max_i32_e32 v2, v2, v3
	ds_write_b32 v4, v2 offset:4
.LBB3982_31:
	s_or_b64 exec, exec, s[18:19]
	s_waitcnt lgkmcnt(0)
	s_barrier
	s_and_saveexec_b64 s[4:5], s[2:3]
	s_cbranch_execz .LBB3982_33
; %bb.32:
	v_add_u32_e32 v2, -1, v0
	v_lshrrev_b32_e32 v3, 5, v2
	v_add_lshl_u32 v2, v3, v2, 2
	ds_read_b32 v25, v2
.LBB3982_33:
	s_or_b64 exec, exec, s[4:5]
	s_and_saveexec_b64 s[18:19], vcc
	s_cbranch_execz .LBB3982_52
; %bb.34:
	v_mov_b32_e32 v9, 0
	ds_read_b32 v2, v9 offset:520
	v_mbcnt_lo_u32_b32 v3, -1, 0
	v_mbcnt_hi_u32_b32 v5, -1, v3
	s_mov_b32 s23, 0
	v_cmp_eq_u32_e64 s[4:5], 0, v5
	s_and_saveexec_b64 s[20:21], s[4:5]
	s_cbranch_execz .LBB3982_36
; %bb.35:
	s_add_i32 s22, s29, 64
	s_lshl_b64 s[22:23], s[22:23], 3
	s_add_u32 s22, s6, s22
	v_mov_b32_e32 v3, 1
	s_addc_u32 s23, s7, s23
	s_waitcnt lgkmcnt(0)
	global_store_dwordx2 v9, v[2:3], s[22:23]
.LBB3982_36:
	s_or_b64 exec, exec, s[20:21]
	v_xad_u32 v4, v5, -1, s29
	v_add_u32_e32 v8, 64, v4
	v_lshlrev_b64 v[6:7], 3, v[8:9]
	v_mov_b32_e32 v3, s7
	v_add_co_u32_e32 v10, vcc, s6, v6
	v_addc_co_u32_e32 v11, vcc, v3, v7, vcc
	global_load_dwordx2 v[6:7], v[10:11], off glc
	s_waitcnt vmcnt(0)
	v_cmp_eq_u16_sdwa s[22:23], v7, v9 src0_sel:BYTE_0 src1_sel:DWORD
	s_and_saveexec_b64 s[20:21], s[22:23]
	s_cbranch_execz .LBB3982_40
; %bb.37:
	s_mov_b64 s[22:23], 0
	v_mov_b32_e32 v3, 0
.LBB3982_38:                            ; =>This Inner Loop Header: Depth=1
	global_load_dwordx2 v[6:7], v[10:11], off glc
	s_waitcnt vmcnt(0)
	v_cmp_ne_u16_sdwa s[30:31], v7, v3 src0_sel:BYTE_0 src1_sel:DWORD
	s_or_b64 s[22:23], s[30:31], s[22:23]
	s_andn2_b64 exec, exec, s[22:23]
	s_cbranch_execnz .LBB3982_38
; %bb.39:
	s_or_b64 exec, exec, s[22:23]
.LBB3982_40:
	s_or_b64 exec, exec, s[20:21]
	v_and_b32_e32 v26, 63, v5
	v_cmp_ne_u32_e32 vcc, 63, v26
	v_mov_b32_e32 v3, 2
	v_addc_co_u32_e32 v27, vcc, 0, v5, vcc
	v_cmp_eq_u16_sdwa s[20:21], v7, v3 src0_sel:BYTE_0 src1_sel:DWORD
	v_lshlrev_b64 v[8:9], v5, -1
	v_lshlrev_b32_e32 v27, 2, v27
	v_and_b32_e32 v10, s21, v9
	ds_bpermute_b32 v28, v27, v6
	v_or_b32_e32 v10, 0x80000000, v10
	v_and_b32_e32 v11, s20, v8
	v_ffbl_b32_e32 v10, v10
	v_add_u32_e32 v10, 32, v10
	v_ffbl_b32_e32 v11, v11
	v_min_u32_e32 v10, v11, v10
	s_waitcnt lgkmcnt(0)
	v_max_i32_e32 v11, v28, v6
	v_cmp_lt_u32_e32 vcc, v26, v10
	v_cndmask_b32_e32 v6, v6, v11, vcc
	v_cmp_gt_u32_e32 vcc, 62, v26
	v_cndmask_b32_e64 v11, 0, 1, vcc
	v_lshlrev_b32_e32 v11, 1, v11
	v_add_lshl_u32 v28, v11, v5, 2
	ds_bpermute_b32 v11, v28, v6
	v_add_u32_e32 v29, 2, v26
	v_cmp_gt_u32_e32 vcc, v29, v10
	v_add_u32_e32 v31, 4, v26
	v_add_u32_e32 v33, 8, v26
	s_waitcnt lgkmcnt(0)
	v_max_i32_e32 v11, v11, v6
	v_cndmask_b32_e32 v6, v11, v6, vcc
	v_cmp_gt_u32_e32 vcc, 60, v26
	v_cndmask_b32_e64 v11, 0, 1, vcc
	v_lshlrev_b32_e32 v11, 2, v11
	v_add_lshl_u32 v30, v11, v5, 2
	ds_bpermute_b32 v11, v30, v6
	v_cmp_gt_u32_e32 vcc, v31, v10
	v_add_u32_e32 v36, 16, v26
	v_add_u32_e32 v38, 32, v26
	s_waitcnt lgkmcnt(0)
	v_max_i32_e32 v11, v11, v6
	v_cndmask_b32_e32 v6, v11, v6, vcc
	v_cmp_gt_u32_e32 vcc, 56, v26
	v_cndmask_b32_e64 v11, 0, 1, vcc
	v_lshlrev_b32_e32 v11, 3, v11
	v_add_lshl_u32 v32, v11, v5, 2
	ds_bpermute_b32 v11, v32, v6
	v_cmp_gt_u32_e32 vcc, v33, v10
	s_waitcnt lgkmcnt(0)
	v_max_i32_e32 v11, v11, v6
	v_cndmask_b32_e32 v6, v11, v6, vcc
	v_cmp_gt_u32_e32 vcc, 48, v26
	v_cndmask_b32_e64 v11, 0, 1, vcc
	v_lshlrev_b32_e32 v11, 4, v11
	v_add_lshl_u32 v34, v11, v5, 2
	ds_bpermute_b32 v11, v34, v6
	v_cmp_gt_u32_e32 vcc, v36, v10
	;; [unrolled: 9-line block ×3, first 2 shown]
	s_waitcnt lgkmcnt(0)
	v_max_i32_e32 v5, v5, v6
	v_cndmask_b32_e32 v6, v5, v6, vcc
	v_mov_b32_e32 v5, 0
	s_branch .LBB3982_42
.LBB3982_41:                            ;   in Loop: Header=BB3982_42 Depth=1
	s_or_b64 exec, exec, s[20:21]
	v_cmp_eq_u16_sdwa s[20:21], v7, v3 src0_sel:BYTE_0 src1_sel:DWORD
	v_and_b32_e32 v10, s21, v9
	ds_bpermute_b32 v39, v27, v6
	v_or_b32_e32 v10, 0x80000000, v10
	v_and_b32_e32 v11, s20, v8
	v_ffbl_b32_e32 v10, v10
	v_add_u32_e32 v10, 32, v10
	v_ffbl_b32_e32 v11, v11
	v_min_u32_e32 v10, v11, v10
	s_waitcnt lgkmcnt(0)
	v_max_i32_e32 v11, v39, v6
	v_cmp_lt_u32_e32 vcc, v26, v10
	v_cndmask_b32_e32 v6, v6, v11, vcc
	ds_bpermute_b32 v11, v28, v6
	v_cmp_gt_u32_e32 vcc, v29, v10
	v_subrev_u32_e32 v4, 64, v4
	s_waitcnt lgkmcnt(0)
	v_max_i32_e32 v11, v11, v6
	v_cndmask_b32_e32 v6, v11, v6, vcc
	ds_bpermute_b32 v11, v30, v6
	v_cmp_gt_u32_e32 vcc, v31, v10
	s_waitcnt lgkmcnt(0)
	v_max_i32_e32 v11, v11, v6
	v_cndmask_b32_e32 v6, v11, v6, vcc
	ds_bpermute_b32 v11, v32, v6
	v_cmp_gt_u32_e32 vcc, v33, v10
	;; [unrolled: 5-line block ×4, first 2 shown]
	s_waitcnt lgkmcnt(0)
	v_max_i32_e32 v11, v11, v6
	v_cndmask_b32_e32 v6, v11, v6, vcc
	v_max_i32_e32 v6, v6, v35
.LBB3982_42:                            ; =>This Loop Header: Depth=1
                                        ;     Child Loop BB3982_45 Depth 2
	v_cmp_ne_u16_sdwa s[20:21], v7, v3 src0_sel:BYTE_0 src1_sel:DWORD
	v_cndmask_b32_e64 v7, 0, 1, s[20:21]
	;;#ASMSTART
	;;#ASMEND
	v_cmp_ne_u32_e32 vcc, 0, v7
	s_cmp_lg_u64 vcc, exec
	v_mov_b32_e32 v35, v6
	s_cbranch_scc1 .LBB3982_47
; %bb.43:                               ;   in Loop: Header=BB3982_42 Depth=1
	v_lshlrev_b64 v[6:7], 3, v[4:5]
	v_mov_b32_e32 v11, s7
	v_add_co_u32_e32 v10, vcc, s6, v6
	v_addc_co_u32_e32 v11, vcc, v11, v7, vcc
	global_load_dwordx2 v[6:7], v[10:11], off glc
	s_waitcnt vmcnt(0)
	v_cmp_eq_u16_sdwa s[22:23], v7, v5 src0_sel:BYTE_0 src1_sel:DWORD
	s_and_saveexec_b64 s[20:21], s[22:23]
	s_cbranch_execz .LBB3982_41
; %bb.44:                               ;   in Loop: Header=BB3982_42 Depth=1
	s_mov_b64 s[22:23], 0
.LBB3982_45:                            ;   Parent Loop BB3982_42 Depth=1
                                        ; =>  This Inner Loop Header: Depth=2
	global_load_dwordx2 v[6:7], v[10:11], off glc
	s_waitcnt vmcnt(0)
	v_cmp_ne_u16_sdwa s[30:31], v7, v5 src0_sel:BYTE_0 src1_sel:DWORD
	s_or_b64 s[22:23], s[30:31], s[22:23]
	s_andn2_b64 exec, exec, s[22:23]
	s_cbranch_execnz .LBB3982_45
; %bb.46:                               ;   in Loop: Header=BB3982_42 Depth=1
	s_or_b64 exec, exec, s[22:23]
	s_branch .LBB3982_41
.LBB3982_47:                            ;   in Loop: Header=BB3982_42 Depth=1
                                        ; implicit-def: $vgpr6
                                        ; implicit-def: $vgpr7
	s_cbranch_execz .LBB3982_42
; %bb.48:
	s_and_saveexec_b64 s[20:21], s[4:5]
	s_cbranch_execz .LBB3982_50
; %bb.49:
	s_add_i32 s4, s29, 64
	s_mov_b32 s5, 0
	s_lshl_b64 s[4:5], s[4:5], 3
	s_add_u32 s4, s6, s4
	v_max_i32_e32 v2, v35, v2
	v_mov_b32_e32 v3, 2
	s_addc_u32 s5, s7, s5
	v_mov_b32_e32 v4, 0
	global_store_dwordx2 v4, v[2:3], s[4:5]
.LBB3982_50:
	s_or_b64 exec, exec, s[20:21]
	s_and_b64 exec, exec, s[0:1]
	s_cbranch_execz .LBB3982_52
; %bb.51:
	v_mov_b32_e32 v2, 0
	ds_write_b32 v2, v35
.LBB3982_52:
	s_or_b64 exec, exec, s[18:19]
	v_mov_b32_e32 v2, 0
	s_waitcnt lgkmcnt(0)
	s_barrier
	ds_read_b32 v2, v2
	s_waitcnt lgkmcnt(0)
	v_max_i32_e32 v3, v2, v25
	v_cndmask_b32_e64 v2, v3, v2, s[0:1]
	v_max_i32_e32 v3, v2, v16
	v_max_i32_e32 v4, v3, v17
	;; [unrolled: 1-line block ×9, first 2 shown]
	s_branch .LBB3982_63
.LBB3982_53:
                                        ; implicit-def: $vgpr2_vgpr3_vgpr4_vgpr5_vgpr6_vgpr7_vgpr8_vgpr9_vgpr10_vgpr11
	s_cbranch_execz .LBB3982_63
; %bb.54:
	s_cmp_eq_u64 s[12:13], 0
	v_mov_b32_e32 v25, s26
	s_cbranch_scc1 .LBB3982_56
; %bb.55:
	v_mov_b32_e32 v2, 0
	global_load_dword v4, v2, s[8:9]
	v_mov_b32_e32 v3, s28
	v_add_co_u32_e64 v2, vcc, -4, s27
	v_addc_co_u32_e32 v3, vcc, -1, v3, vcc
	flat_load_dword v2, v[2:3]
	s_waitcnt vmcnt(0) lgkmcnt(0)
	v_max_i32_e32 v25, v4, v2
.LBB3982_56:
	v_max3_i32 v2, v24, v12, v13
	v_max3_i32 v2, v2, v14, v15
	;; [unrolled: 1-line block ×3, first 2 shown]
	v_add_lshl_u32 v1, v1, v0, 2
	v_cmp_gt_u32_e32 vcc, 64, v0
	ds_write_b32 v1, v2
	s_waitcnt lgkmcnt(0)
	s_barrier
	s_and_saveexec_b64 s[4:5], vcc
	s_cbranch_execz .LBB3982_58
; %bb.57:
	v_lshlrev_b32_e32 v1, 1, v0
	v_lshrrev_b32_e32 v3, 4, v0
	v_add_lshl_u32 v1, v3, v1, 2
	ds_read2_b32 v[4:5], v1 offset1:1
	v_mbcnt_lo_u32_b32 v3, -1, 0
	v_mbcnt_hi_u32_b32 v3, -1, v3
	v_and_b32_e32 v6, 15, v3
	v_cmp_eq_u32_e32 vcc, 0, v6
	s_waitcnt lgkmcnt(0)
	v_max_i32_e32 v5, v4, v5
	; wave barrier
	s_nop 1
	v_mov_b32_dpp v7, v5 row_shr:1 row_mask:0xf bank_mask:0xf
	v_max_i32_e32 v7, v7, v5
	v_cndmask_b32_e32 v5, v7, v5, vcc
	v_cmp_lt_u32_e32 vcc, 1, v6
	s_nop 0
	v_mov_b32_dpp v7, v5 row_shr:2 row_mask:0xf bank_mask:0xf
	v_max_i32_e32 v7, v7, v5
	v_cndmask_b32_e32 v5, v5, v7, vcc
	v_cmp_lt_u32_e32 vcc, 3, v6
	;; [unrolled: 5-line block ×3, first 2 shown]
	s_nop 0
	v_mov_b32_dpp v7, v5 row_shr:8 row_mask:0xf bank_mask:0xf
	v_max_i32_e32 v7, v7, v5
	v_cndmask_b32_e32 v5, v5, v7, vcc
	v_and_b32_e32 v7, 16, v3
	v_cmp_eq_u32_e32 vcc, 0, v7
	v_mov_b32_dpp v6, v5 row_bcast:15 row_mask:0xf bank_mask:0xf
	v_max_i32_e32 v6, v6, v5
	v_cndmask_b32_e32 v5, v6, v5, vcc
	v_cmp_lt_u32_e32 vcc, 31, v3
	v_and_b32_e32 v7, 64, v3
	v_mov_b32_dpp v6, v5 row_bcast:31 row_mask:0xf bank_mask:0xf
	v_max_i32_e32 v6, v6, v5
	v_cndmask_b32_e32 v5, v5, v6, vcc
	v_add_u32_e32 v6, -1, v3
	v_cmp_lt_i32_e32 vcc, v6, v7
	v_cndmask_b32_e32 v3, v6, v3, vcc
	v_lshlrev_b32_e32 v3, 2, v3
	ds_bpermute_b32 v3, v3, v5
	s_waitcnt lgkmcnt(0)
	v_max_i32_e32 v3, v3, v4
	v_cndmask_b32_e64 v2, v3, v2, s[0:1]
	ds_write_b32 v1, v2
	; wave barrier
	ds_read_b32 v3, v1 offset:4
	s_waitcnt lgkmcnt(0)
	v_max_i32_e32 v2, v2, v3
	ds_write_b32 v1, v2 offset:4
.LBB3982_58:
	s_or_b64 exec, exec, s[4:5]
	v_mov_b32_e32 v2, v25
	s_waitcnt lgkmcnt(0)
	s_barrier
	s_and_saveexec_b64 s[4:5], s[2:3]
	s_cbranch_execz .LBB3982_60
; %bb.59:
	v_add_u32_e32 v1, -1, v0
	v_lshrrev_b32_e32 v2, 5, v1
	v_add_lshl_u32 v1, v2, v1, 2
	ds_read_b32 v1, v1
	s_waitcnt lgkmcnt(0)
	v_max_i32_e32 v2, v25, v1
.LBB3982_60:
	s_or_b64 exec, exec, s[4:5]
	v_max_i32_e32 v3, v2, v16
	v_max_i32_e32 v4, v3, v17
	;; [unrolled: 1-line block ×9, first 2 shown]
	s_and_saveexec_b64 s[2:3], s[0:1]
	s_cbranch_execz .LBB3982_62
; %bb.61:
	v_mov_b32_e32 v1, 0
	ds_read_b32 v12, v1 offset:520
	v_mov_b32_e32 v13, 2
	s_waitcnt lgkmcnt(0)
	v_max_i32_e32 v12, v25, v12
	global_store_dwordx2 v1, v[12:13], s[6:7] offset:512
.LBB3982_62:
	s_or_b64 exec, exec, s[2:3]
.LBB3982_63:
	s_mov_b64 s[0:1], -1
	s_and_b64 vcc, exec, s[16:17]
	s_barrier
	ds_write2_b64 v23, v[2:3], v[4:5] offset1:1
	ds_write2_b64 v23, v[6:7], v[8:9] offset0:2 offset1:3
	ds_write_b64 v23, v[10:11] offset:32
	s_waitcnt lgkmcnt(0)
	s_cbranch_vccz .LBB3982_65
; %bb.64:
	s_barrier
	s_mov_b64 s[0:1], 0
.LBB3982_65:
	s_andn2_b64 vcc, exec, s[0:1]
	s_cbranch_vccnz .LBB3982_101
; %bb.66:
	v_cmp_lt_u64_e64 s[0:1], s[14:15], 2
	s_and_b64 vcc, exec, s[0:1]
	s_barrier
	s_cbranch_vccnz .LBB3982_101
; %bb.67:
	s_add_u32 s0, s24, -1
	s_addc_u32 s1, s25, -1
	s_add_u32 s2, 0, 0x99986000
	s_addc_u32 s3, 0, 0x59
	s_add_i32 s3, s3, 0x19999940
	s_mul_hi_u32 s7, s2, -10
	s_sub_i32 s7, s7, s2
	s_mul_i32 s8, s3, -10
	s_mul_i32 s4, s2, -10
	s_add_i32 s7, s7, s8
	s_mul_hi_u32 s5, s3, s4
	s_mul_i32 s6, s3, s4
	s_mul_i32 s9, s2, s7
	s_mul_hi_u32 s4, s2, s4
	s_mul_hi_u32 s8, s2, s7
	s_add_u32 s4, s4, s9
	s_addc_u32 s8, 0, s8
	s_add_u32 s4, s4, s6
	s_mul_hi_u32 s9, s3, s7
	s_addc_u32 s4, s8, s5
	s_addc_u32 s5, s9, 0
	s_mul_i32 s6, s3, s7
	s_add_u32 s4, s4, s6
	v_mov_b32_e32 v2, s4
	s_addc_u32 s5, 0, s5
	v_add_co_u32_e32 v2, vcc, s2, v2
	s_cmp_lg_u64 vcc, 0
	s_addc_u32 s2, s3, s5
	v_readfirstlane_b32 s5, v2
	s_mul_i32 s4, s0, s2
	s_mul_hi_u32 s6, s0, s5
	s_mul_hi_u32 s3, s0, s2
	s_add_u32 s4, s6, s4
	s_addc_u32 s3, 0, s3
	s_mul_hi_u32 s7, s1, s5
	s_mul_i32 s5, s1, s5
	s_add_u32 s4, s4, s5
	s_mul_hi_u32 s6, s1, s2
	s_addc_u32 s3, s3, s7
	s_addc_u32 s4, s6, 0
	s_mul_i32 s2, s1, s2
	s_add_u32 s2, s3, s2
	s_addc_u32 s3, 0, s4
	s_add_u32 s4, s2, 1
	s_addc_u32 s5, s3, 0
	s_add_u32 s6, s2, 2
	s_mul_i32 s8, s3, 10
	s_mul_hi_u32 s9, s2, 10
	s_addc_u32 s7, s3, 0
	s_add_i32 s9, s9, s8
	s_mul_i32 s8, s2, 10
	v_mov_b32_e32 v2, s8
	v_sub_co_u32_e32 v2, vcc, s0, v2
	s_cmp_lg_u64 vcc, 0
	s_subb_u32 s8, s1, s9
	v_subrev_co_u32_e32 v3, vcc, 10, v2
	s_cmp_lg_u64 vcc, 0
	s_subb_u32 s9, s8, 0
	v_readfirstlane_b32 s12, v3
	s_cmp_gt_u32 s12, 9
	s_cselect_b32 s12, -1, 0
	s_cmp_eq_u32 s9, 0
	s_cselect_b32 s9, s12, -1
	s_cmp_lg_u32 s9, 0
	s_cselect_b32 s4, s6, s4
	v_readfirstlane_b32 s6, v2
	s_cselect_b32 s5, s7, s5
	s_cmp_gt_u32 s6, 9
	s_cselect_b32 s6, -1, 0
	s_cmp_eq_u32 s8, 0
	s_cselect_b32 s6, s6, -1
	s_cmp_lg_u32 s6, 0
	v_mov_b32_e32 v1, 0
	s_cselect_b32 s3, s5, s3
	s_cselect_b32 s2, s4, s2
	v_cmp_eq_u64_e32 vcc, s[2:3], v[0:1]
	s_and_saveexec_b64 s[2:3], vcc
	s_cbranch_execz .LBB3982_101
; %bb.68:
	s_movk_i32 s2, 0xffdc
	v_mad_i32_i24 v2, v0, s2, v23
	v_mul_hi_u32_u24_e32 v1, 10, v0
	v_mov_b32_e32 v3, s1
	v_sub_co_u32_e32 v0, vcc, s0, v22
	v_subb_co_u32_e32 v1, vcc, v3, v1, vcc
	v_cmp_lt_i64_e32 vcc, 4, v[0:1]
	s_and_saveexec_b64 s[0:1], vcc
	s_xor_b64 s[0:1], exec, s[0:1]
	s_cbranch_execz .LBB3982_86
; %bb.69:
	v_cmp_lt_i64_e32 vcc, 6, v[0:1]
	s_and_saveexec_b64 s[2:3], vcc
	s_xor_b64 s[2:3], exec, s[2:3]
	s_cbranch_execz .LBB3982_79
; %bb.70:
	;; [unrolled: 5-line block ×4, first 2 shown]
	ds_read_b32 v0, v2 offset:4608
	v_mov_b32_e32 v1, 0
                                        ; implicit-def: $vgpr2
	s_waitcnt lgkmcnt(0)
	global_store_dword v1, v0, s[10:11]
.LBB3982_73:
	s_andn2_saveexec_b64 s[6:7], s[6:7]
	s_cbranch_execz .LBB3982_75
; %bb.74:
	ds_read_b32 v0, v2 offset:4096
	v_mov_b32_e32 v1, 0
	s_waitcnt lgkmcnt(0)
	global_store_dword v1, v0, s[10:11]
.LBB3982_75:
	s_or_b64 exec, exec, s[6:7]
                                        ; implicit-def: $vgpr2
.LBB3982_76:
	s_andn2_saveexec_b64 s[4:5], s[4:5]
	s_cbranch_execz .LBB3982_78
; %bb.77:
	ds_read_b32 v0, v2 offset:3584
	v_mov_b32_e32 v1, 0
	s_waitcnt lgkmcnt(0)
	global_store_dword v1, v0, s[10:11]
.LBB3982_78:
	s_or_b64 exec, exec, s[4:5]
                                        ; implicit-def: $vgpr2
                                        ; implicit-def: $vgpr0_vgpr1
.LBB3982_79:
	s_andn2_saveexec_b64 s[2:3], s[2:3]
	s_cbranch_execz .LBB3982_85
; %bb.80:
	v_cmp_lt_i64_e32 vcc, 5, v[0:1]
	s_and_saveexec_b64 s[4:5], vcc
	s_xor_b64 s[4:5], exec, s[4:5]
	s_cbranch_execz .LBB3982_82
; %bb.81:
	ds_read_b32 v0, v2 offset:3072
	v_mov_b32_e32 v1, 0
                                        ; implicit-def: $vgpr2
	s_waitcnt lgkmcnt(0)
	global_store_dword v1, v0, s[10:11]
.LBB3982_82:
	s_andn2_saveexec_b64 s[4:5], s[4:5]
	s_cbranch_execz .LBB3982_84
; %bb.83:
	ds_read_b32 v0, v2 offset:2560
	v_mov_b32_e32 v1, 0
	s_waitcnt lgkmcnt(0)
	global_store_dword v1, v0, s[10:11]
.LBB3982_84:
	s_or_b64 exec, exec, s[4:5]
.LBB3982_85:
	s_or_b64 exec, exec, s[2:3]
                                        ; implicit-def: $vgpr0_vgpr1
                                        ; implicit-def: $vgpr2
.LBB3982_86:
	s_andn2_saveexec_b64 s[0:1], s[0:1]
	s_cbranch_execz .LBB3982_101
; %bb.87:
	v_cmp_lt_i64_e32 vcc, 2, v[0:1]
	s_and_saveexec_b64 s[0:1], vcc
	s_xor_b64 s[0:1], exec, s[0:1]
	s_cbranch_execz .LBB3982_93
; %bb.88:
	v_cmp_lt_i64_e32 vcc, 3, v[0:1]
	s_and_saveexec_b64 s[2:3], vcc
	s_xor_b64 s[2:3], exec, s[2:3]
	s_cbranch_execz .LBB3982_90
; %bb.89:
	ds_read_b32 v0, v2 offset:2048
	v_mov_b32_e32 v1, 0
                                        ; implicit-def: $vgpr2
	s_waitcnt lgkmcnt(0)
	global_store_dword v1, v0, s[10:11]
.LBB3982_90:
	s_andn2_saveexec_b64 s[2:3], s[2:3]
	s_cbranch_execz .LBB3982_92
; %bb.91:
	ds_read_b32 v0, v2 offset:1536
	v_mov_b32_e32 v1, 0
	s_waitcnt lgkmcnt(0)
	global_store_dword v1, v0, s[10:11]
.LBB3982_92:
	s_or_b64 exec, exec, s[2:3]
                                        ; implicit-def: $vgpr0_vgpr1
                                        ; implicit-def: $vgpr2
.LBB3982_93:
	s_andn2_saveexec_b64 s[0:1], s[0:1]
	s_cbranch_execz .LBB3982_101
; %bb.94:
	v_cmp_lt_i64_e32 vcc, 1, v[0:1]
	s_and_saveexec_b64 s[0:1], vcc
	s_xor_b64 s[0:1], exec, s[0:1]
	s_cbranch_execz .LBB3982_96
; %bb.95:
	ds_read_b32 v0, v2 offset:1024
	v_mov_b32_e32 v1, 0
                                        ; implicit-def: $vgpr2
	s_waitcnt lgkmcnt(0)
	global_store_dword v1, v0, s[10:11]
                                        ; implicit-def: $vgpr0_vgpr1
.LBB3982_96:
	s_andn2_saveexec_b64 s[0:1], s[0:1]
	s_cbranch_execz .LBB3982_101
; %bb.97:
	v_cmp_ne_u64_e32 vcc, 1, v[0:1]
	s_and_saveexec_b64 s[0:1], vcc
	s_xor_b64 s[0:1], exec, s[0:1]
	s_cbranch_execz .LBB3982_99
; %bb.98:
	ds_read_b32 v0, v2
	v_mov_b32_e32 v1, 0
                                        ; implicit-def: $vgpr2
	s_waitcnt lgkmcnt(0)
	global_store_dword v1, v0, s[10:11]
.LBB3982_99:
	s_andn2_saveexec_b64 s[0:1], s[0:1]
	s_cbranch_execz .LBB3982_101
; %bb.100:
	ds_read_b32 v0, v2 offset:512
	v_mov_b32_e32 v1, 0
	s_waitcnt lgkmcnt(0)
	global_store_dword v1, v0, s[10:11]
.LBB3982_101:
	s_endpgm
	.section	.rodata,"a",@progbits
	.p2align	6, 0x0
	.amdhsa_kernel _ZN7rocprim17ROCPRIM_400000_NS6detail17trampoline_kernelINS0_14default_configENS1_20scan_config_selectorIiEEZZNS1_9scan_implILNS1_25lookback_scan_determinismE0ELb1ELb1ES3_N6thrust23THRUST_200600_302600_NS6detail15normal_iteratorINS9_10device_ptrIiEEEENS9_16discard_iteratorINS9_11use_defaultEEEi11max_functorIiEiEEDaPvRmT3_T4_T5_mT6_P12ihipStream_tbENKUlT_T0_E_clISt17integral_constantIbLb0EESW_IbLb1EEEEDaSS_ST_EUlSS_E_NS1_11comp_targetILNS1_3genE4ELNS1_11target_archE910ELNS1_3gpuE8ELNS1_3repE0EEENS1_30default_config_static_selectorELNS0_4arch9wavefront6targetE1EEEvT1_
		.amdhsa_group_segment_fixed_size 5120
		.amdhsa_private_segment_fixed_size 0
		.amdhsa_kernarg_size 104
		.amdhsa_user_sgpr_count 6
		.amdhsa_user_sgpr_private_segment_buffer 1
		.amdhsa_user_sgpr_dispatch_ptr 0
		.amdhsa_user_sgpr_queue_ptr 0
		.amdhsa_user_sgpr_kernarg_segment_ptr 1
		.amdhsa_user_sgpr_dispatch_id 0
		.amdhsa_user_sgpr_flat_scratch_init 0
		.amdhsa_user_sgpr_kernarg_preload_length 0
		.amdhsa_user_sgpr_kernarg_preload_offset 0
		.amdhsa_user_sgpr_private_segment_size 0
		.amdhsa_uses_dynamic_stack 0
		.amdhsa_system_sgpr_private_segment_wavefront_offset 0
		.amdhsa_system_sgpr_workgroup_id_x 1
		.amdhsa_system_sgpr_workgroup_id_y 0
		.amdhsa_system_sgpr_workgroup_id_z 0
		.amdhsa_system_sgpr_workgroup_info 0
		.amdhsa_system_vgpr_workitem_id 0
		.amdhsa_next_free_vgpr 40
		.amdhsa_next_free_sgpr 32
		.amdhsa_accum_offset 40
		.amdhsa_reserve_vcc 1
		.amdhsa_reserve_flat_scratch 0
		.amdhsa_float_round_mode_32 0
		.amdhsa_float_round_mode_16_64 0
		.amdhsa_float_denorm_mode_32 3
		.amdhsa_float_denorm_mode_16_64 3
		.amdhsa_dx10_clamp 1
		.amdhsa_ieee_mode 1
		.amdhsa_fp16_overflow 0
		.amdhsa_tg_split 0
		.amdhsa_exception_fp_ieee_invalid_op 0
		.amdhsa_exception_fp_denorm_src 0
		.amdhsa_exception_fp_ieee_div_zero 0
		.amdhsa_exception_fp_ieee_overflow 0
		.amdhsa_exception_fp_ieee_underflow 0
		.amdhsa_exception_fp_ieee_inexact 0
		.amdhsa_exception_int_div_zero 0
	.end_amdhsa_kernel
	.section	.text._ZN7rocprim17ROCPRIM_400000_NS6detail17trampoline_kernelINS0_14default_configENS1_20scan_config_selectorIiEEZZNS1_9scan_implILNS1_25lookback_scan_determinismE0ELb1ELb1ES3_N6thrust23THRUST_200600_302600_NS6detail15normal_iteratorINS9_10device_ptrIiEEEENS9_16discard_iteratorINS9_11use_defaultEEEi11max_functorIiEiEEDaPvRmT3_T4_T5_mT6_P12ihipStream_tbENKUlT_T0_E_clISt17integral_constantIbLb0EESW_IbLb1EEEEDaSS_ST_EUlSS_E_NS1_11comp_targetILNS1_3genE4ELNS1_11target_archE910ELNS1_3gpuE8ELNS1_3repE0EEENS1_30default_config_static_selectorELNS0_4arch9wavefront6targetE1EEEvT1_,"axG",@progbits,_ZN7rocprim17ROCPRIM_400000_NS6detail17trampoline_kernelINS0_14default_configENS1_20scan_config_selectorIiEEZZNS1_9scan_implILNS1_25lookback_scan_determinismE0ELb1ELb1ES3_N6thrust23THRUST_200600_302600_NS6detail15normal_iteratorINS9_10device_ptrIiEEEENS9_16discard_iteratorINS9_11use_defaultEEEi11max_functorIiEiEEDaPvRmT3_T4_T5_mT6_P12ihipStream_tbENKUlT_T0_E_clISt17integral_constantIbLb0EESW_IbLb1EEEEDaSS_ST_EUlSS_E_NS1_11comp_targetILNS1_3genE4ELNS1_11target_archE910ELNS1_3gpuE8ELNS1_3repE0EEENS1_30default_config_static_selectorELNS0_4arch9wavefront6targetE1EEEvT1_,comdat
.Lfunc_end3982:
	.size	_ZN7rocprim17ROCPRIM_400000_NS6detail17trampoline_kernelINS0_14default_configENS1_20scan_config_selectorIiEEZZNS1_9scan_implILNS1_25lookback_scan_determinismE0ELb1ELb1ES3_N6thrust23THRUST_200600_302600_NS6detail15normal_iteratorINS9_10device_ptrIiEEEENS9_16discard_iteratorINS9_11use_defaultEEEi11max_functorIiEiEEDaPvRmT3_T4_T5_mT6_P12ihipStream_tbENKUlT_T0_E_clISt17integral_constantIbLb0EESW_IbLb1EEEEDaSS_ST_EUlSS_E_NS1_11comp_targetILNS1_3genE4ELNS1_11target_archE910ELNS1_3gpuE8ELNS1_3repE0EEENS1_30default_config_static_selectorELNS0_4arch9wavefront6targetE1EEEvT1_, .Lfunc_end3982-_ZN7rocprim17ROCPRIM_400000_NS6detail17trampoline_kernelINS0_14default_configENS1_20scan_config_selectorIiEEZZNS1_9scan_implILNS1_25lookback_scan_determinismE0ELb1ELb1ES3_N6thrust23THRUST_200600_302600_NS6detail15normal_iteratorINS9_10device_ptrIiEEEENS9_16discard_iteratorINS9_11use_defaultEEEi11max_functorIiEiEEDaPvRmT3_T4_T5_mT6_P12ihipStream_tbENKUlT_T0_E_clISt17integral_constantIbLb0EESW_IbLb1EEEEDaSS_ST_EUlSS_E_NS1_11comp_targetILNS1_3genE4ELNS1_11target_archE910ELNS1_3gpuE8ELNS1_3repE0EEENS1_30default_config_static_selectorELNS0_4arch9wavefront6targetE1EEEvT1_
                                        ; -- End function
	.section	.AMDGPU.csdata,"",@progbits
; Kernel info:
; codeLenInByte = 3928
; NumSgprs: 36
; NumVgprs: 40
; NumAgprs: 0
; TotalNumVgprs: 40
; ScratchSize: 0
; MemoryBound: 0
; FloatMode: 240
; IeeeMode: 1
; LDSByteSize: 5120 bytes/workgroup (compile time only)
; SGPRBlocks: 4
; VGPRBlocks: 4
; NumSGPRsForWavesPerEU: 36
; NumVGPRsForWavesPerEU: 40
; AccumOffset: 40
; Occupancy: 6
; WaveLimiterHint : 1
; COMPUTE_PGM_RSRC2:SCRATCH_EN: 0
; COMPUTE_PGM_RSRC2:USER_SGPR: 6
; COMPUTE_PGM_RSRC2:TRAP_HANDLER: 0
; COMPUTE_PGM_RSRC2:TGID_X_EN: 1
; COMPUTE_PGM_RSRC2:TGID_Y_EN: 0
; COMPUTE_PGM_RSRC2:TGID_Z_EN: 0
; COMPUTE_PGM_RSRC2:TIDIG_COMP_CNT: 0
; COMPUTE_PGM_RSRC3_GFX90A:ACCUM_OFFSET: 9
; COMPUTE_PGM_RSRC3_GFX90A:TG_SPLIT: 0
	.section	.text._ZN7rocprim17ROCPRIM_400000_NS6detail17trampoline_kernelINS0_14default_configENS1_20scan_config_selectorIiEEZZNS1_9scan_implILNS1_25lookback_scan_determinismE0ELb1ELb1ES3_N6thrust23THRUST_200600_302600_NS6detail15normal_iteratorINS9_10device_ptrIiEEEENS9_16discard_iteratorINS9_11use_defaultEEEi11max_functorIiEiEEDaPvRmT3_T4_T5_mT6_P12ihipStream_tbENKUlT_T0_E_clISt17integral_constantIbLb0EESW_IbLb1EEEEDaSS_ST_EUlSS_E_NS1_11comp_targetILNS1_3genE3ELNS1_11target_archE908ELNS1_3gpuE7ELNS1_3repE0EEENS1_30default_config_static_selectorELNS0_4arch9wavefront6targetE1EEEvT1_,"axG",@progbits,_ZN7rocprim17ROCPRIM_400000_NS6detail17trampoline_kernelINS0_14default_configENS1_20scan_config_selectorIiEEZZNS1_9scan_implILNS1_25lookback_scan_determinismE0ELb1ELb1ES3_N6thrust23THRUST_200600_302600_NS6detail15normal_iteratorINS9_10device_ptrIiEEEENS9_16discard_iteratorINS9_11use_defaultEEEi11max_functorIiEiEEDaPvRmT3_T4_T5_mT6_P12ihipStream_tbENKUlT_T0_E_clISt17integral_constantIbLb0EESW_IbLb1EEEEDaSS_ST_EUlSS_E_NS1_11comp_targetILNS1_3genE3ELNS1_11target_archE908ELNS1_3gpuE7ELNS1_3repE0EEENS1_30default_config_static_selectorELNS0_4arch9wavefront6targetE1EEEvT1_,comdat
	.protected	_ZN7rocprim17ROCPRIM_400000_NS6detail17trampoline_kernelINS0_14default_configENS1_20scan_config_selectorIiEEZZNS1_9scan_implILNS1_25lookback_scan_determinismE0ELb1ELb1ES3_N6thrust23THRUST_200600_302600_NS6detail15normal_iteratorINS9_10device_ptrIiEEEENS9_16discard_iteratorINS9_11use_defaultEEEi11max_functorIiEiEEDaPvRmT3_T4_T5_mT6_P12ihipStream_tbENKUlT_T0_E_clISt17integral_constantIbLb0EESW_IbLb1EEEEDaSS_ST_EUlSS_E_NS1_11comp_targetILNS1_3genE3ELNS1_11target_archE908ELNS1_3gpuE7ELNS1_3repE0EEENS1_30default_config_static_selectorELNS0_4arch9wavefront6targetE1EEEvT1_ ; -- Begin function _ZN7rocprim17ROCPRIM_400000_NS6detail17trampoline_kernelINS0_14default_configENS1_20scan_config_selectorIiEEZZNS1_9scan_implILNS1_25lookback_scan_determinismE0ELb1ELb1ES3_N6thrust23THRUST_200600_302600_NS6detail15normal_iteratorINS9_10device_ptrIiEEEENS9_16discard_iteratorINS9_11use_defaultEEEi11max_functorIiEiEEDaPvRmT3_T4_T5_mT6_P12ihipStream_tbENKUlT_T0_E_clISt17integral_constantIbLb0EESW_IbLb1EEEEDaSS_ST_EUlSS_E_NS1_11comp_targetILNS1_3genE3ELNS1_11target_archE908ELNS1_3gpuE7ELNS1_3repE0EEENS1_30default_config_static_selectorELNS0_4arch9wavefront6targetE1EEEvT1_
	.globl	_ZN7rocprim17ROCPRIM_400000_NS6detail17trampoline_kernelINS0_14default_configENS1_20scan_config_selectorIiEEZZNS1_9scan_implILNS1_25lookback_scan_determinismE0ELb1ELb1ES3_N6thrust23THRUST_200600_302600_NS6detail15normal_iteratorINS9_10device_ptrIiEEEENS9_16discard_iteratorINS9_11use_defaultEEEi11max_functorIiEiEEDaPvRmT3_T4_T5_mT6_P12ihipStream_tbENKUlT_T0_E_clISt17integral_constantIbLb0EESW_IbLb1EEEEDaSS_ST_EUlSS_E_NS1_11comp_targetILNS1_3genE3ELNS1_11target_archE908ELNS1_3gpuE7ELNS1_3repE0EEENS1_30default_config_static_selectorELNS0_4arch9wavefront6targetE1EEEvT1_
	.p2align	8
	.type	_ZN7rocprim17ROCPRIM_400000_NS6detail17trampoline_kernelINS0_14default_configENS1_20scan_config_selectorIiEEZZNS1_9scan_implILNS1_25lookback_scan_determinismE0ELb1ELb1ES3_N6thrust23THRUST_200600_302600_NS6detail15normal_iteratorINS9_10device_ptrIiEEEENS9_16discard_iteratorINS9_11use_defaultEEEi11max_functorIiEiEEDaPvRmT3_T4_T5_mT6_P12ihipStream_tbENKUlT_T0_E_clISt17integral_constantIbLb0EESW_IbLb1EEEEDaSS_ST_EUlSS_E_NS1_11comp_targetILNS1_3genE3ELNS1_11target_archE908ELNS1_3gpuE7ELNS1_3repE0EEENS1_30default_config_static_selectorELNS0_4arch9wavefront6targetE1EEEvT1_,@function
_ZN7rocprim17ROCPRIM_400000_NS6detail17trampoline_kernelINS0_14default_configENS1_20scan_config_selectorIiEEZZNS1_9scan_implILNS1_25lookback_scan_determinismE0ELb1ELb1ES3_N6thrust23THRUST_200600_302600_NS6detail15normal_iteratorINS9_10device_ptrIiEEEENS9_16discard_iteratorINS9_11use_defaultEEEi11max_functorIiEiEEDaPvRmT3_T4_T5_mT6_P12ihipStream_tbENKUlT_T0_E_clISt17integral_constantIbLb0EESW_IbLb1EEEEDaSS_ST_EUlSS_E_NS1_11comp_targetILNS1_3genE3ELNS1_11target_archE908ELNS1_3gpuE7ELNS1_3repE0EEENS1_30default_config_static_selectorELNS0_4arch9wavefront6targetE1EEEvT1_: ; @_ZN7rocprim17ROCPRIM_400000_NS6detail17trampoline_kernelINS0_14default_configENS1_20scan_config_selectorIiEEZZNS1_9scan_implILNS1_25lookback_scan_determinismE0ELb1ELb1ES3_N6thrust23THRUST_200600_302600_NS6detail15normal_iteratorINS9_10device_ptrIiEEEENS9_16discard_iteratorINS9_11use_defaultEEEi11max_functorIiEiEEDaPvRmT3_T4_T5_mT6_P12ihipStream_tbENKUlT_T0_E_clISt17integral_constantIbLb0EESW_IbLb1EEEEDaSS_ST_EUlSS_E_NS1_11comp_targetILNS1_3genE3ELNS1_11target_archE908ELNS1_3gpuE7ELNS1_3repE0EEENS1_30default_config_static_selectorELNS0_4arch9wavefront6targetE1EEEvT1_
; %bb.0:
	.section	.rodata,"a",@progbits
	.p2align	6, 0x0
	.amdhsa_kernel _ZN7rocprim17ROCPRIM_400000_NS6detail17trampoline_kernelINS0_14default_configENS1_20scan_config_selectorIiEEZZNS1_9scan_implILNS1_25lookback_scan_determinismE0ELb1ELb1ES3_N6thrust23THRUST_200600_302600_NS6detail15normal_iteratorINS9_10device_ptrIiEEEENS9_16discard_iteratorINS9_11use_defaultEEEi11max_functorIiEiEEDaPvRmT3_T4_T5_mT6_P12ihipStream_tbENKUlT_T0_E_clISt17integral_constantIbLb0EESW_IbLb1EEEEDaSS_ST_EUlSS_E_NS1_11comp_targetILNS1_3genE3ELNS1_11target_archE908ELNS1_3gpuE7ELNS1_3repE0EEENS1_30default_config_static_selectorELNS0_4arch9wavefront6targetE1EEEvT1_
		.amdhsa_group_segment_fixed_size 0
		.amdhsa_private_segment_fixed_size 0
		.amdhsa_kernarg_size 104
		.amdhsa_user_sgpr_count 6
		.amdhsa_user_sgpr_private_segment_buffer 1
		.amdhsa_user_sgpr_dispatch_ptr 0
		.amdhsa_user_sgpr_queue_ptr 0
		.amdhsa_user_sgpr_kernarg_segment_ptr 1
		.amdhsa_user_sgpr_dispatch_id 0
		.amdhsa_user_sgpr_flat_scratch_init 0
		.amdhsa_user_sgpr_kernarg_preload_length 0
		.amdhsa_user_sgpr_kernarg_preload_offset 0
		.amdhsa_user_sgpr_private_segment_size 0
		.amdhsa_uses_dynamic_stack 0
		.amdhsa_system_sgpr_private_segment_wavefront_offset 0
		.amdhsa_system_sgpr_workgroup_id_x 1
		.amdhsa_system_sgpr_workgroup_id_y 0
		.amdhsa_system_sgpr_workgroup_id_z 0
		.amdhsa_system_sgpr_workgroup_info 0
		.amdhsa_system_vgpr_workitem_id 0
		.amdhsa_next_free_vgpr 1
		.amdhsa_next_free_sgpr 0
		.amdhsa_accum_offset 4
		.amdhsa_reserve_vcc 0
		.amdhsa_reserve_flat_scratch 0
		.amdhsa_float_round_mode_32 0
		.amdhsa_float_round_mode_16_64 0
		.amdhsa_float_denorm_mode_32 3
		.amdhsa_float_denorm_mode_16_64 3
		.amdhsa_dx10_clamp 1
		.amdhsa_ieee_mode 1
		.amdhsa_fp16_overflow 0
		.amdhsa_tg_split 0
		.amdhsa_exception_fp_ieee_invalid_op 0
		.amdhsa_exception_fp_denorm_src 0
		.amdhsa_exception_fp_ieee_div_zero 0
		.amdhsa_exception_fp_ieee_overflow 0
		.amdhsa_exception_fp_ieee_underflow 0
		.amdhsa_exception_fp_ieee_inexact 0
		.amdhsa_exception_int_div_zero 0
	.end_amdhsa_kernel
	.section	.text._ZN7rocprim17ROCPRIM_400000_NS6detail17trampoline_kernelINS0_14default_configENS1_20scan_config_selectorIiEEZZNS1_9scan_implILNS1_25lookback_scan_determinismE0ELb1ELb1ES3_N6thrust23THRUST_200600_302600_NS6detail15normal_iteratorINS9_10device_ptrIiEEEENS9_16discard_iteratorINS9_11use_defaultEEEi11max_functorIiEiEEDaPvRmT3_T4_T5_mT6_P12ihipStream_tbENKUlT_T0_E_clISt17integral_constantIbLb0EESW_IbLb1EEEEDaSS_ST_EUlSS_E_NS1_11comp_targetILNS1_3genE3ELNS1_11target_archE908ELNS1_3gpuE7ELNS1_3repE0EEENS1_30default_config_static_selectorELNS0_4arch9wavefront6targetE1EEEvT1_,"axG",@progbits,_ZN7rocprim17ROCPRIM_400000_NS6detail17trampoline_kernelINS0_14default_configENS1_20scan_config_selectorIiEEZZNS1_9scan_implILNS1_25lookback_scan_determinismE0ELb1ELb1ES3_N6thrust23THRUST_200600_302600_NS6detail15normal_iteratorINS9_10device_ptrIiEEEENS9_16discard_iteratorINS9_11use_defaultEEEi11max_functorIiEiEEDaPvRmT3_T4_T5_mT6_P12ihipStream_tbENKUlT_T0_E_clISt17integral_constantIbLb0EESW_IbLb1EEEEDaSS_ST_EUlSS_E_NS1_11comp_targetILNS1_3genE3ELNS1_11target_archE908ELNS1_3gpuE7ELNS1_3repE0EEENS1_30default_config_static_selectorELNS0_4arch9wavefront6targetE1EEEvT1_,comdat
.Lfunc_end3983:
	.size	_ZN7rocprim17ROCPRIM_400000_NS6detail17trampoline_kernelINS0_14default_configENS1_20scan_config_selectorIiEEZZNS1_9scan_implILNS1_25lookback_scan_determinismE0ELb1ELb1ES3_N6thrust23THRUST_200600_302600_NS6detail15normal_iteratorINS9_10device_ptrIiEEEENS9_16discard_iteratorINS9_11use_defaultEEEi11max_functorIiEiEEDaPvRmT3_T4_T5_mT6_P12ihipStream_tbENKUlT_T0_E_clISt17integral_constantIbLb0EESW_IbLb1EEEEDaSS_ST_EUlSS_E_NS1_11comp_targetILNS1_3genE3ELNS1_11target_archE908ELNS1_3gpuE7ELNS1_3repE0EEENS1_30default_config_static_selectorELNS0_4arch9wavefront6targetE1EEEvT1_, .Lfunc_end3983-_ZN7rocprim17ROCPRIM_400000_NS6detail17trampoline_kernelINS0_14default_configENS1_20scan_config_selectorIiEEZZNS1_9scan_implILNS1_25lookback_scan_determinismE0ELb1ELb1ES3_N6thrust23THRUST_200600_302600_NS6detail15normal_iteratorINS9_10device_ptrIiEEEENS9_16discard_iteratorINS9_11use_defaultEEEi11max_functorIiEiEEDaPvRmT3_T4_T5_mT6_P12ihipStream_tbENKUlT_T0_E_clISt17integral_constantIbLb0EESW_IbLb1EEEEDaSS_ST_EUlSS_E_NS1_11comp_targetILNS1_3genE3ELNS1_11target_archE908ELNS1_3gpuE7ELNS1_3repE0EEENS1_30default_config_static_selectorELNS0_4arch9wavefront6targetE1EEEvT1_
                                        ; -- End function
	.section	.AMDGPU.csdata,"",@progbits
; Kernel info:
; codeLenInByte = 0
; NumSgprs: 4
; NumVgprs: 0
; NumAgprs: 0
; TotalNumVgprs: 0
; ScratchSize: 0
; MemoryBound: 0
; FloatMode: 240
; IeeeMode: 1
; LDSByteSize: 0 bytes/workgroup (compile time only)
; SGPRBlocks: 0
; VGPRBlocks: 0
; NumSGPRsForWavesPerEU: 4
; NumVGPRsForWavesPerEU: 1
; AccumOffset: 4
; Occupancy: 8
; WaveLimiterHint : 0
; COMPUTE_PGM_RSRC2:SCRATCH_EN: 0
; COMPUTE_PGM_RSRC2:USER_SGPR: 6
; COMPUTE_PGM_RSRC2:TRAP_HANDLER: 0
; COMPUTE_PGM_RSRC2:TGID_X_EN: 1
; COMPUTE_PGM_RSRC2:TGID_Y_EN: 0
; COMPUTE_PGM_RSRC2:TGID_Z_EN: 0
; COMPUTE_PGM_RSRC2:TIDIG_COMP_CNT: 0
; COMPUTE_PGM_RSRC3_GFX90A:ACCUM_OFFSET: 0
; COMPUTE_PGM_RSRC3_GFX90A:TG_SPLIT: 0
	.section	.text._ZN7rocprim17ROCPRIM_400000_NS6detail17trampoline_kernelINS0_14default_configENS1_20scan_config_selectorIiEEZZNS1_9scan_implILNS1_25lookback_scan_determinismE0ELb1ELb1ES3_N6thrust23THRUST_200600_302600_NS6detail15normal_iteratorINS9_10device_ptrIiEEEENS9_16discard_iteratorINS9_11use_defaultEEEi11max_functorIiEiEEDaPvRmT3_T4_T5_mT6_P12ihipStream_tbENKUlT_T0_E_clISt17integral_constantIbLb0EESW_IbLb1EEEEDaSS_ST_EUlSS_E_NS1_11comp_targetILNS1_3genE2ELNS1_11target_archE906ELNS1_3gpuE6ELNS1_3repE0EEENS1_30default_config_static_selectorELNS0_4arch9wavefront6targetE1EEEvT1_,"axG",@progbits,_ZN7rocprim17ROCPRIM_400000_NS6detail17trampoline_kernelINS0_14default_configENS1_20scan_config_selectorIiEEZZNS1_9scan_implILNS1_25lookback_scan_determinismE0ELb1ELb1ES3_N6thrust23THRUST_200600_302600_NS6detail15normal_iteratorINS9_10device_ptrIiEEEENS9_16discard_iteratorINS9_11use_defaultEEEi11max_functorIiEiEEDaPvRmT3_T4_T5_mT6_P12ihipStream_tbENKUlT_T0_E_clISt17integral_constantIbLb0EESW_IbLb1EEEEDaSS_ST_EUlSS_E_NS1_11comp_targetILNS1_3genE2ELNS1_11target_archE906ELNS1_3gpuE6ELNS1_3repE0EEENS1_30default_config_static_selectorELNS0_4arch9wavefront6targetE1EEEvT1_,comdat
	.protected	_ZN7rocprim17ROCPRIM_400000_NS6detail17trampoline_kernelINS0_14default_configENS1_20scan_config_selectorIiEEZZNS1_9scan_implILNS1_25lookback_scan_determinismE0ELb1ELb1ES3_N6thrust23THRUST_200600_302600_NS6detail15normal_iteratorINS9_10device_ptrIiEEEENS9_16discard_iteratorINS9_11use_defaultEEEi11max_functorIiEiEEDaPvRmT3_T4_T5_mT6_P12ihipStream_tbENKUlT_T0_E_clISt17integral_constantIbLb0EESW_IbLb1EEEEDaSS_ST_EUlSS_E_NS1_11comp_targetILNS1_3genE2ELNS1_11target_archE906ELNS1_3gpuE6ELNS1_3repE0EEENS1_30default_config_static_selectorELNS0_4arch9wavefront6targetE1EEEvT1_ ; -- Begin function _ZN7rocprim17ROCPRIM_400000_NS6detail17trampoline_kernelINS0_14default_configENS1_20scan_config_selectorIiEEZZNS1_9scan_implILNS1_25lookback_scan_determinismE0ELb1ELb1ES3_N6thrust23THRUST_200600_302600_NS6detail15normal_iteratorINS9_10device_ptrIiEEEENS9_16discard_iteratorINS9_11use_defaultEEEi11max_functorIiEiEEDaPvRmT3_T4_T5_mT6_P12ihipStream_tbENKUlT_T0_E_clISt17integral_constantIbLb0EESW_IbLb1EEEEDaSS_ST_EUlSS_E_NS1_11comp_targetILNS1_3genE2ELNS1_11target_archE906ELNS1_3gpuE6ELNS1_3repE0EEENS1_30default_config_static_selectorELNS0_4arch9wavefront6targetE1EEEvT1_
	.globl	_ZN7rocprim17ROCPRIM_400000_NS6detail17trampoline_kernelINS0_14default_configENS1_20scan_config_selectorIiEEZZNS1_9scan_implILNS1_25lookback_scan_determinismE0ELb1ELb1ES3_N6thrust23THRUST_200600_302600_NS6detail15normal_iteratorINS9_10device_ptrIiEEEENS9_16discard_iteratorINS9_11use_defaultEEEi11max_functorIiEiEEDaPvRmT3_T4_T5_mT6_P12ihipStream_tbENKUlT_T0_E_clISt17integral_constantIbLb0EESW_IbLb1EEEEDaSS_ST_EUlSS_E_NS1_11comp_targetILNS1_3genE2ELNS1_11target_archE906ELNS1_3gpuE6ELNS1_3repE0EEENS1_30default_config_static_selectorELNS0_4arch9wavefront6targetE1EEEvT1_
	.p2align	8
	.type	_ZN7rocprim17ROCPRIM_400000_NS6detail17trampoline_kernelINS0_14default_configENS1_20scan_config_selectorIiEEZZNS1_9scan_implILNS1_25lookback_scan_determinismE0ELb1ELb1ES3_N6thrust23THRUST_200600_302600_NS6detail15normal_iteratorINS9_10device_ptrIiEEEENS9_16discard_iteratorINS9_11use_defaultEEEi11max_functorIiEiEEDaPvRmT3_T4_T5_mT6_P12ihipStream_tbENKUlT_T0_E_clISt17integral_constantIbLb0EESW_IbLb1EEEEDaSS_ST_EUlSS_E_NS1_11comp_targetILNS1_3genE2ELNS1_11target_archE906ELNS1_3gpuE6ELNS1_3repE0EEENS1_30default_config_static_selectorELNS0_4arch9wavefront6targetE1EEEvT1_,@function
_ZN7rocprim17ROCPRIM_400000_NS6detail17trampoline_kernelINS0_14default_configENS1_20scan_config_selectorIiEEZZNS1_9scan_implILNS1_25lookback_scan_determinismE0ELb1ELb1ES3_N6thrust23THRUST_200600_302600_NS6detail15normal_iteratorINS9_10device_ptrIiEEEENS9_16discard_iteratorINS9_11use_defaultEEEi11max_functorIiEiEEDaPvRmT3_T4_T5_mT6_P12ihipStream_tbENKUlT_T0_E_clISt17integral_constantIbLb0EESW_IbLb1EEEEDaSS_ST_EUlSS_E_NS1_11comp_targetILNS1_3genE2ELNS1_11target_archE906ELNS1_3gpuE6ELNS1_3repE0EEENS1_30default_config_static_selectorELNS0_4arch9wavefront6targetE1EEEvT1_: ; @_ZN7rocprim17ROCPRIM_400000_NS6detail17trampoline_kernelINS0_14default_configENS1_20scan_config_selectorIiEEZZNS1_9scan_implILNS1_25lookback_scan_determinismE0ELb1ELb1ES3_N6thrust23THRUST_200600_302600_NS6detail15normal_iteratorINS9_10device_ptrIiEEEENS9_16discard_iteratorINS9_11use_defaultEEEi11max_functorIiEiEEDaPvRmT3_T4_T5_mT6_P12ihipStream_tbENKUlT_T0_E_clISt17integral_constantIbLb0EESW_IbLb1EEEEDaSS_ST_EUlSS_E_NS1_11comp_targetILNS1_3genE2ELNS1_11target_archE906ELNS1_3gpuE6ELNS1_3repE0EEENS1_30default_config_static_selectorELNS0_4arch9wavefront6targetE1EEEvT1_
; %bb.0:
	.section	.rodata,"a",@progbits
	.p2align	6, 0x0
	.amdhsa_kernel _ZN7rocprim17ROCPRIM_400000_NS6detail17trampoline_kernelINS0_14default_configENS1_20scan_config_selectorIiEEZZNS1_9scan_implILNS1_25lookback_scan_determinismE0ELb1ELb1ES3_N6thrust23THRUST_200600_302600_NS6detail15normal_iteratorINS9_10device_ptrIiEEEENS9_16discard_iteratorINS9_11use_defaultEEEi11max_functorIiEiEEDaPvRmT3_T4_T5_mT6_P12ihipStream_tbENKUlT_T0_E_clISt17integral_constantIbLb0EESW_IbLb1EEEEDaSS_ST_EUlSS_E_NS1_11comp_targetILNS1_3genE2ELNS1_11target_archE906ELNS1_3gpuE6ELNS1_3repE0EEENS1_30default_config_static_selectorELNS0_4arch9wavefront6targetE1EEEvT1_
		.amdhsa_group_segment_fixed_size 0
		.amdhsa_private_segment_fixed_size 0
		.amdhsa_kernarg_size 104
		.amdhsa_user_sgpr_count 6
		.amdhsa_user_sgpr_private_segment_buffer 1
		.amdhsa_user_sgpr_dispatch_ptr 0
		.amdhsa_user_sgpr_queue_ptr 0
		.amdhsa_user_sgpr_kernarg_segment_ptr 1
		.amdhsa_user_sgpr_dispatch_id 0
		.amdhsa_user_sgpr_flat_scratch_init 0
		.amdhsa_user_sgpr_kernarg_preload_length 0
		.amdhsa_user_sgpr_kernarg_preload_offset 0
		.amdhsa_user_sgpr_private_segment_size 0
		.amdhsa_uses_dynamic_stack 0
		.amdhsa_system_sgpr_private_segment_wavefront_offset 0
		.amdhsa_system_sgpr_workgroup_id_x 1
		.amdhsa_system_sgpr_workgroup_id_y 0
		.amdhsa_system_sgpr_workgroup_id_z 0
		.amdhsa_system_sgpr_workgroup_info 0
		.amdhsa_system_vgpr_workitem_id 0
		.amdhsa_next_free_vgpr 1
		.amdhsa_next_free_sgpr 0
		.amdhsa_accum_offset 4
		.amdhsa_reserve_vcc 0
		.amdhsa_reserve_flat_scratch 0
		.amdhsa_float_round_mode_32 0
		.amdhsa_float_round_mode_16_64 0
		.amdhsa_float_denorm_mode_32 3
		.amdhsa_float_denorm_mode_16_64 3
		.amdhsa_dx10_clamp 1
		.amdhsa_ieee_mode 1
		.amdhsa_fp16_overflow 0
		.amdhsa_tg_split 0
		.amdhsa_exception_fp_ieee_invalid_op 0
		.amdhsa_exception_fp_denorm_src 0
		.amdhsa_exception_fp_ieee_div_zero 0
		.amdhsa_exception_fp_ieee_overflow 0
		.amdhsa_exception_fp_ieee_underflow 0
		.amdhsa_exception_fp_ieee_inexact 0
		.amdhsa_exception_int_div_zero 0
	.end_amdhsa_kernel
	.section	.text._ZN7rocprim17ROCPRIM_400000_NS6detail17trampoline_kernelINS0_14default_configENS1_20scan_config_selectorIiEEZZNS1_9scan_implILNS1_25lookback_scan_determinismE0ELb1ELb1ES3_N6thrust23THRUST_200600_302600_NS6detail15normal_iteratorINS9_10device_ptrIiEEEENS9_16discard_iteratorINS9_11use_defaultEEEi11max_functorIiEiEEDaPvRmT3_T4_T5_mT6_P12ihipStream_tbENKUlT_T0_E_clISt17integral_constantIbLb0EESW_IbLb1EEEEDaSS_ST_EUlSS_E_NS1_11comp_targetILNS1_3genE2ELNS1_11target_archE906ELNS1_3gpuE6ELNS1_3repE0EEENS1_30default_config_static_selectorELNS0_4arch9wavefront6targetE1EEEvT1_,"axG",@progbits,_ZN7rocprim17ROCPRIM_400000_NS6detail17trampoline_kernelINS0_14default_configENS1_20scan_config_selectorIiEEZZNS1_9scan_implILNS1_25lookback_scan_determinismE0ELb1ELb1ES3_N6thrust23THRUST_200600_302600_NS6detail15normal_iteratorINS9_10device_ptrIiEEEENS9_16discard_iteratorINS9_11use_defaultEEEi11max_functorIiEiEEDaPvRmT3_T4_T5_mT6_P12ihipStream_tbENKUlT_T0_E_clISt17integral_constantIbLb0EESW_IbLb1EEEEDaSS_ST_EUlSS_E_NS1_11comp_targetILNS1_3genE2ELNS1_11target_archE906ELNS1_3gpuE6ELNS1_3repE0EEENS1_30default_config_static_selectorELNS0_4arch9wavefront6targetE1EEEvT1_,comdat
.Lfunc_end3984:
	.size	_ZN7rocprim17ROCPRIM_400000_NS6detail17trampoline_kernelINS0_14default_configENS1_20scan_config_selectorIiEEZZNS1_9scan_implILNS1_25lookback_scan_determinismE0ELb1ELb1ES3_N6thrust23THRUST_200600_302600_NS6detail15normal_iteratorINS9_10device_ptrIiEEEENS9_16discard_iteratorINS9_11use_defaultEEEi11max_functorIiEiEEDaPvRmT3_T4_T5_mT6_P12ihipStream_tbENKUlT_T0_E_clISt17integral_constantIbLb0EESW_IbLb1EEEEDaSS_ST_EUlSS_E_NS1_11comp_targetILNS1_3genE2ELNS1_11target_archE906ELNS1_3gpuE6ELNS1_3repE0EEENS1_30default_config_static_selectorELNS0_4arch9wavefront6targetE1EEEvT1_, .Lfunc_end3984-_ZN7rocprim17ROCPRIM_400000_NS6detail17trampoline_kernelINS0_14default_configENS1_20scan_config_selectorIiEEZZNS1_9scan_implILNS1_25lookback_scan_determinismE0ELb1ELb1ES3_N6thrust23THRUST_200600_302600_NS6detail15normal_iteratorINS9_10device_ptrIiEEEENS9_16discard_iteratorINS9_11use_defaultEEEi11max_functorIiEiEEDaPvRmT3_T4_T5_mT6_P12ihipStream_tbENKUlT_T0_E_clISt17integral_constantIbLb0EESW_IbLb1EEEEDaSS_ST_EUlSS_E_NS1_11comp_targetILNS1_3genE2ELNS1_11target_archE906ELNS1_3gpuE6ELNS1_3repE0EEENS1_30default_config_static_selectorELNS0_4arch9wavefront6targetE1EEEvT1_
                                        ; -- End function
	.section	.AMDGPU.csdata,"",@progbits
; Kernel info:
; codeLenInByte = 0
; NumSgprs: 4
; NumVgprs: 0
; NumAgprs: 0
; TotalNumVgprs: 0
; ScratchSize: 0
; MemoryBound: 0
; FloatMode: 240
; IeeeMode: 1
; LDSByteSize: 0 bytes/workgroup (compile time only)
; SGPRBlocks: 0
; VGPRBlocks: 0
; NumSGPRsForWavesPerEU: 4
; NumVGPRsForWavesPerEU: 1
; AccumOffset: 4
; Occupancy: 8
; WaveLimiterHint : 0
; COMPUTE_PGM_RSRC2:SCRATCH_EN: 0
; COMPUTE_PGM_RSRC2:USER_SGPR: 6
; COMPUTE_PGM_RSRC2:TRAP_HANDLER: 0
; COMPUTE_PGM_RSRC2:TGID_X_EN: 1
; COMPUTE_PGM_RSRC2:TGID_Y_EN: 0
; COMPUTE_PGM_RSRC2:TGID_Z_EN: 0
; COMPUTE_PGM_RSRC2:TIDIG_COMP_CNT: 0
; COMPUTE_PGM_RSRC3_GFX90A:ACCUM_OFFSET: 0
; COMPUTE_PGM_RSRC3_GFX90A:TG_SPLIT: 0
	.section	.text._ZN7rocprim17ROCPRIM_400000_NS6detail17trampoline_kernelINS0_14default_configENS1_20scan_config_selectorIiEEZZNS1_9scan_implILNS1_25lookback_scan_determinismE0ELb1ELb1ES3_N6thrust23THRUST_200600_302600_NS6detail15normal_iteratorINS9_10device_ptrIiEEEENS9_16discard_iteratorINS9_11use_defaultEEEi11max_functorIiEiEEDaPvRmT3_T4_T5_mT6_P12ihipStream_tbENKUlT_T0_E_clISt17integral_constantIbLb0EESW_IbLb1EEEEDaSS_ST_EUlSS_E_NS1_11comp_targetILNS1_3genE10ELNS1_11target_archE1201ELNS1_3gpuE5ELNS1_3repE0EEENS1_30default_config_static_selectorELNS0_4arch9wavefront6targetE1EEEvT1_,"axG",@progbits,_ZN7rocprim17ROCPRIM_400000_NS6detail17trampoline_kernelINS0_14default_configENS1_20scan_config_selectorIiEEZZNS1_9scan_implILNS1_25lookback_scan_determinismE0ELb1ELb1ES3_N6thrust23THRUST_200600_302600_NS6detail15normal_iteratorINS9_10device_ptrIiEEEENS9_16discard_iteratorINS9_11use_defaultEEEi11max_functorIiEiEEDaPvRmT3_T4_T5_mT6_P12ihipStream_tbENKUlT_T0_E_clISt17integral_constantIbLb0EESW_IbLb1EEEEDaSS_ST_EUlSS_E_NS1_11comp_targetILNS1_3genE10ELNS1_11target_archE1201ELNS1_3gpuE5ELNS1_3repE0EEENS1_30default_config_static_selectorELNS0_4arch9wavefront6targetE1EEEvT1_,comdat
	.protected	_ZN7rocprim17ROCPRIM_400000_NS6detail17trampoline_kernelINS0_14default_configENS1_20scan_config_selectorIiEEZZNS1_9scan_implILNS1_25lookback_scan_determinismE0ELb1ELb1ES3_N6thrust23THRUST_200600_302600_NS6detail15normal_iteratorINS9_10device_ptrIiEEEENS9_16discard_iteratorINS9_11use_defaultEEEi11max_functorIiEiEEDaPvRmT3_T4_T5_mT6_P12ihipStream_tbENKUlT_T0_E_clISt17integral_constantIbLb0EESW_IbLb1EEEEDaSS_ST_EUlSS_E_NS1_11comp_targetILNS1_3genE10ELNS1_11target_archE1201ELNS1_3gpuE5ELNS1_3repE0EEENS1_30default_config_static_selectorELNS0_4arch9wavefront6targetE1EEEvT1_ ; -- Begin function _ZN7rocprim17ROCPRIM_400000_NS6detail17trampoline_kernelINS0_14default_configENS1_20scan_config_selectorIiEEZZNS1_9scan_implILNS1_25lookback_scan_determinismE0ELb1ELb1ES3_N6thrust23THRUST_200600_302600_NS6detail15normal_iteratorINS9_10device_ptrIiEEEENS9_16discard_iteratorINS9_11use_defaultEEEi11max_functorIiEiEEDaPvRmT3_T4_T5_mT6_P12ihipStream_tbENKUlT_T0_E_clISt17integral_constantIbLb0EESW_IbLb1EEEEDaSS_ST_EUlSS_E_NS1_11comp_targetILNS1_3genE10ELNS1_11target_archE1201ELNS1_3gpuE5ELNS1_3repE0EEENS1_30default_config_static_selectorELNS0_4arch9wavefront6targetE1EEEvT1_
	.globl	_ZN7rocprim17ROCPRIM_400000_NS6detail17trampoline_kernelINS0_14default_configENS1_20scan_config_selectorIiEEZZNS1_9scan_implILNS1_25lookback_scan_determinismE0ELb1ELb1ES3_N6thrust23THRUST_200600_302600_NS6detail15normal_iteratorINS9_10device_ptrIiEEEENS9_16discard_iteratorINS9_11use_defaultEEEi11max_functorIiEiEEDaPvRmT3_T4_T5_mT6_P12ihipStream_tbENKUlT_T0_E_clISt17integral_constantIbLb0EESW_IbLb1EEEEDaSS_ST_EUlSS_E_NS1_11comp_targetILNS1_3genE10ELNS1_11target_archE1201ELNS1_3gpuE5ELNS1_3repE0EEENS1_30default_config_static_selectorELNS0_4arch9wavefront6targetE1EEEvT1_
	.p2align	8
	.type	_ZN7rocprim17ROCPRIM_400000_NS6detail17trampoline_kernelINS0_14default_configENS1_20scan_config_selectorIiEEZZNS1_9scan_implILNS1_25lookback_scan_determinismE0ELb1ELb1ES3_N6thrust23THRUST_200600_302600_NS6detail15normal_iteratorINS9_10device_ptrIiEEEENS9_16discard_iteratorINS9_11use_defaultEEEi11max_functorIiEiEEDaPvRmT3_T4_T5_mT6_P12ihipStream_tbENKUlT_T0_E_clISt17integral_constantIbLb0EESW_IbLb1EEEEDaSS_ST_EUlSS_E_NS1_11comp_targetILNS1_3genE10ELNS1_11target_archE1201ELNS1_3gpuE5ELNS1_3repE0EEENS1_30default_config_static_selectorELNS0_4arch9wavefront6targetE1EEEvT1_,@function
_ZN7rocprim17ROCPRIM_400000_NS6detail17trampoline_kernelINS0_14default_configENS1_20scan_config_selectorIiEEZZNS1_9scan_implILNS1_25lookback_scan_determinismE0ELb1ELb1ES3_N6thrust23THRUST_200600_302600_NS6detail15normal_iteratorINS9_10device_ptrIiEEEENS9_16discard_iteratorINS9_11use_defaultEEEi11max_functorIiEiEEDaPvRmT3_T4_T5_mT6_P12ihipStream_tbENKUlT_T0_E_clISt17integral_constantIbLb0EESW_IbLb1EEEEDaSS_ST_EUlSS_E_NS1_11comp_targetILNS1_3genE10ELNS1_11target_archE1201ELNS1_3gpuE5ELNS1_3repE0EEENS1_30default_config_static_selectorELNS0_4arch9wavefront6targetE1EEEvT1_: ; @_ZN7rocprim17ROCPRIM_400000_NS6detail17trampoline_kernelINS0_14default_configENS1_20scan_config_selectorIiEEZZNS1_9scan_implILNS1_25lookback_scan_determinismE0ELb1ELb1ES3_N6thrust23THRUST_200600_302600_NS6detail15normal_iteratorINS9_10device_ptrIiEEEENS9_16discard_iteratorINS9_11use_defaultEEEi11max_functorIiEiEEDaPvRmT3_T4_T5_mT6_P12ihipStream_tbENKUlT_T0_E_clISt17integral_constantIbLb0EESW_IbLb1EEEEDaSS_ST_EUlSS_E_NS1_11comp_targetILNS1_3genE10ELNS1_11target_archE1201ELNS1_3gpuE5ELNS1_3repE0EEENS1_30default_config_static_selectorELNS0_4arch9wavefront6targetE1EEEvT1_
; %bb.0:
	.section	.rodata,"a",@progbits
	.p2align	6, 0x0
	.amdhsa_kernel _ZN7rocprim17ROCPRIM_400000_NS6detail17trampoline_kernelINS0_14default_configENS1_20scan_config_selectorIiEEZZNS1_9scan_implILNS1_25lookback_scan_determinismE0ELb1ELb1ES3_N6thrust23THRUST_200600_302600_NS6detail15normal_iteratorINS9_10device_ptrIiEEEENS9_16discard_iteratorINS9_11use_defaultEEEi11max_functorIiEiEEDaPvRmT3_T4_T5_mT6_P12ihipStream_tbENKUlT_T0_E_clISt17integral_constantIbLb0EESW_IbLb1EEEEDaSS_ST_EUlSS_E_NS1_11comp_targetILNS1_3genE10ELNS1_11target_archE1201ELNS1_3gpuE5ELNS1_3repE0EEENS1_30default_config_static_selectorELNS0_4arch9wavefront6targetE1EEEvT1_
		.amdhsa_group_segment_fixed_size 0
		.amdhsa_private_segment_fixed_size 0
		.amdhsa_kernarg_size 104
		.amdhsa_user_sgpr_count 6
		.amdhsa_user_sgpr_private_segment_buffer 1
		.amdhsa_user_sgpr_dispatch_ptr 0
		.amdhsa_user_sgpr_queue_ptr 0
		.amdhsa_user_sgpr_kernarg_segment_ptr 1
		.amdhsa_user_sgpr_dispatch_id 0
		.amdhsa_user_sgpr_flat_scratch_init 0
		.amdhsa_user_sgpr_kernarg_preload_length 0
		.amdhsa_user_sgpr_kernarg_preload_offset 0
		.amdhsa_user_sgpr_private_segment_size 0
		.amdhsa_uses_dynamic_stack 0
		.amdhsa_system_sgpr_private_segment_wavefront_offset 0
		.amdhsa_system_sgpr_workgroup_id_x 1
		.amdhsa_system_sgpr_workgroup_id_y 0
		.amdhsa_system_sgpr_workgroup_id_z 0
		.amdhsa_system_sgpr_workgroup_info 0
		.amdhsa_system_vgpr_workitem_id 0
		.amdhsa_next_free_vgpr 1
		.amdhsa_next_free_sgpr 0
		.amdhsa_accum_offset 4
		.amdhsa_reserve_vcc 0
		.amdhsa_reserve_flat_scratch 0
		.amdhsa_float_round_mode_32 0
		.amdhsa_float_round_mode_16_64 0
		.amdhsa_float_denorm_mode_32 3
		.amdhsa_float_denorm_mode_16_64 3
		.amdhsa_dx10_clamp 1
		.amdhsa_ieee_mode 1
		.amdhsa_fp16_overflow 0
		.amdhsa_tg_split 0
		.amdhsa_exception_fp_ieee_invalid_op 0
		.amdhsa_exception_fp_denorm_src 0
		.amdhsa_exception_fp_ieee_div_zero 0
		.amdhsa_exception_fp_ieee_overflow 0
		.amdhsa_exception_fp_ieee_underflow 0
		.amdhsa_exception_fp_ieee_inexact 0
		.amdhsa_exception_int_div_zero 0
	.end_amdhsa_kernel
	.section	.text._ZN7rocprim17ROCPRIM_400000_NS6detail17trampoline_kernelINS0_14default_configENS1_20scan_config_selectorIiEEZZNS1_9scan_implILNS1_25lookback_scan_determinismE0ELb1ELb1ES3_N6thrust23THRUST_200600_302600_NS6detail15normal_iteratorINS9_10device_ptrIiEEEENS9_16discard_iteratorINS9_11use_defaultEEEi11max_functorIiEiEEDaPvRmT3_T4_T5_mT6_P12ihipStream_tbENKUlT_T0_E_clISt17integral_constantIbLb0EESW_IbLb1EEEEDaSS_ST_EUlSS_E_NS1_11comp_targetILNS1_3genE10ELNS1_11target_archE1201ELNS1_3gpuE5ELNS1_3repE0EEENS1_30default_config_static_selectorELNS0_4arch9wavefront6targetE1EEEvT1_,"axG",@progbits,_ZN7rocprim17ROCPRIM_400000_NS6detail17trampoline_kernelINS0_14default_configENS1_20scan_config_selectorIiEEZZNS1_9scan_implILNS1_25lookback_scan_determinismE0ELb1ELb1ES3_N6thrust23THRUST_200600_302600_NS6detail15normal_iteratorINS9_10device_ptrIiEEEENS9_16discard_iteratorINS9_11use_defaultEEEi11max_functorIiEiEEDaPvRmT3_T4_T5_mT6_P12ihipStream_tbENKUlT_T0_E_clISt17integral_constantIbLb0EESW_IbLb1EEEEDaSS_ST_EUlSS_E_NS1_11comp_targetILNS1_3genE10ELNS1_11target_archE1201ELNS1_3gpuE5ELNS1_3repE0EEENS1_30default_config_static_selectorELNS0_4arch9wavefront6targetE1EEEvT1_,comdat
.Lfunc_end3985:
	.size	_ZN7rocprim17ROCPRIM_400000_NS6detail17trampoline_kernelINS0_14default_configENS1_20scan_config_selectorIiEEZZNS1_9scan_implILNS1_25lookback_scan_determinismE0ELb1ELb1ES3_N6thrust23THRUST_200600_302600_NS6detail15normal_iteratorINS9_10device_ptrIiEEEENS9_16discard_iteratorINS9_11use_defaultEEEi11max_functorIiEiEEDaPvRmT3_T4_T5_mT6_P12ihipStream_tbENKUlT_T0_E_clISt17integral_constantIbLb0EESW_IbLb1EEEEDaSS_ST_EUlSS_E_NS1_11comp_targetILNS1_3genE10ELNS1_11target_archE1201ELNS1_3gpuE5ELNS1_3repE0EEENS1_30default_config_static_selectorELNS0_4arch9wavefront6targetE1EEEvT1_, .Lfunc_end3985-_ZN7rocprim17ROCPRIM_400000_NS6detail17trampoline_kernelINS0_14default_configENS1_20scan_config_selectorIiEEZZNS1_9scan_implILNS1_25lookback_scan_determinismE0ELb1ELb1ES3_N6thrust23THRUST_200600_302600_NS6detail15normal_iteratorINS9_10device_ptrIiEEEENS9_16discard_iteratorINS9_11use_defaultEEEi11max_functorIiEiEEDaPvRmT3_T4_T5_mT6_P12ihipStream_tbENKUlT_T0_E_clISt17integral_constantIbLb0EESW_IbLb1EEEEDaSS_ST_EUlSS_E_NS1_11comp_targetILNS1_3genE10ELNS1_11target_archE1201ELNS1_3gpuE5ELNS1_3repE0EEENS1_30default_config_static_selectorELNS0_4arch9wavefront6targetE1EEEvT1_
                                        ; -- End function
	.section	.AMDGPU.csdata,"",@progbits
; Kernel info:
; codeLenInByte = 0
; NumSgprs: 4
; NumVgprs: 0
; NumAgprs: 0
; TotalNumVgprs: 0
; ScratchSize: 0
; MemoryBound: 0
; FloatMode: 240
; IeeeMode: 1
; LDSByteSize: 0 bytes/workgroup (compile time only)
; SGPRBlocks: 0
; VGPRBlocks: 0
; NumSGPRsForWavesPerEU: 4
; NumVGPRsForWavesPerEU: 1
; AccumOffset: 4
; Occupancy: 8
; WaveLimiterHint : 0
; COMPUTE_PGM_RSRC2:SCRATCH_EN: 0
; COMPUTE_PGM_RSRC2:USER_SGPR: 6
; COMPUTE_PGM_RSRC2:TRAP_HANDLER: 0
; COMPUTE_PGM_RSRC2:TGID_X_EN: 1
; COMPUTE_PGM_RSRC2:TGID_Y_EN: 0
; COMPUTE_PGM_RSRC2:TGID_Z_EN: 0
; COMPUTE_PGM_RSRC2:TIDIG_COMP_CNT: 0
; COMPUTE_PGM_RSRC3_GFX90A:ACCUM_OFFSET: 0
; COMPUTE_PGM_RSRC3_GFX90A:TG_SPLIT: 0
	.section	.text._ZN7rocprim17ROCPRIM_400000_NS6detail17trampoline_kernelINS0_14default_configENS1_20scan_config_selectorIiEEZZNS1_9scan_implILNS1_25lookback_scan_determinismE0ELb1ELb1ES3_N6thrust23THRUST_200600_302600_NS6detail15normal_iteratorINS9_10device_ptrIiEEEENS9_16discard_iteratorINS9_11use_defaultEEEi11max_functorIiEiEEDaPvRmT3_T4_T5_mT6_P12ihipStream_tbENKUlT_T0_E_clISt17integral_constantIbLb0EESW_IbLb1EEEEDaSS_ST_EUlSS_E_NS1_11comp_targetILNS1_3genE10ELNS1_11target_archE1200ELNS1_3gpuE4ELNS1_3repE0EEENS1_30default_config_static_selectorELNS0_4arch9wavefront6targetE1EEEvT1_,"axG",@progbits,_ZN7rocprim17ROCPRIM_400000_NS6detail17trampoline_kernelINS0_14default_configENS1_20scan_config_selectorIiEEZZNS1_9scan_implILNS1_25lookback_scan_determinismE0ELb1ELb1ES3_N6thrust23THRUST_200600_302600_NS6detail15normal_iteratorINS9_10device_ptrIiEEEENS9_16discard_iteratorINS9_11use_defaultEEEi11max_functorIiEiEEDaPvRmT3_T4_T5_mT6_P12ihipStream_tbENKUlT_T0_E_clISt17integral_constantIbLb0EESW_IbLb1EEEEDaSS_ST_EUlSS_E_NS1_11comp_targetILNS1_3genE10ELNS1_11target_archE1200ELNS1_3gpuE4ELNS1_3repE0EEENS1_30default_config_static_selectorELNS0_4arch9wavefront6targetE1EEEvT1_,comdat
	.protected	_ZN7rocprim17ROCPRIM_400000_NS6detail17trampoline_kernelINS0_14default_configENS1_20scan_config_selectorIiEEZZNS1_9scan_implILNS1_25lookback_scan_determinismE0ELb1ELb1ES3_N6thrust23THRUST_200600_302600_NS6detail15normal_iteratorINS9_10device_ptrIiEEEENS9_16discard_iteratorINS9_11use_defaultEEEi11max_functorIiEiEEDaPvRmT3_T4_T5_mT6_P12ihipStream_tbENKUlT_T0_E_clISt17integral_constantIbLb0EESW_IbLb1EEEEDaSS_ST_EUlSS_E_NS1_11comp_targetILNS1_3genE10ELNS1_11target_archE1200ELNS1_3gpuE4ELNS1_3repE0EEENS1_30default_config_static_selectorELNS0_4arch9wavefront6targetE1EEEvT1_ ; -- Begin function _ZN7rocprim17ROCPRIM_400000_NS6detail17trampoline_kernelINS0_14default_configENS1_20scan_config_selectorIiEEZZNS1_9scan_implILNS1_25lookback_scan_determinismE0ELb1ELb1ES3_N6thrust23THRUST_200600_302600_NS6detail15normal_iteratorINS9_10device_ptrIiEEEENS9_16discard_iteratorINS9_11use_defaultEEEi11max_functorIiEiEEDaPvRmT3_T4_T5_mT6_P12ihipStream_tbENKUlT_T0_E_clISt17integral_constantIbLb0EESW_IbLb1EEEEDaSS_ST_EUlSS_E_NS1_11comp_targetILNS1_3genE10ELNS1_11target_archE1200ELNS1_3gpuE4ELNS1_3repE0EEENS1_30default_config_static_selectorELNS0_4arch9wavefront6targetE1EEEvT1_
	.globl	_ZN7rocprim17ROCPRIM_400000_NS6detail17trampoline_kernelINS0_14default_configENS1_20scan_config_selectorIiEEZZNS1_9scan_implILNS1_25lookback_scan_determinismE0ELb1ELb1ES3_N6thrust23THRUST_200600_302600_NS6detail15normal_iteratorINS9_10device_ptrIiEEEENS9_16discard_iteratorINS9_11use_defaultEEEi11max_functorIiEiEEDaPvRmT3_T4_T5_mT6_P12ihipStream_tbENKUlT_T0_E_clISt17integral_constantIbLb0EESW_IbLb1EEEEDaSS_ST_EUlSS_E_NS1_11comp_targetILNS1_3genE10ELNS1_11target_archE1200ELNS1_3gpuE4ELNS1_3repE0EEENS1_30default_config_static_selectorELNS0_4arch9wavefront6targetE1EEEvT1_
	.p2align	8
	.type	_ZN7rocprim17ROCPRIM_400000_NS6detail17trampoline_kernelINS0_14default_configENS1_20scan_config_selectorIiEEZZNS1_9scan_implILNS1_25lookback_scan_determinismE0ELb1ELb1ES3_N6thrust23THRUST_200600_302600_NS6detail15normal_iteratorINS9_10device_ptrIiEEEENS9_16discard_iteratorINS9_11use_defaultEEEi11max_functorIiEiEEDaPvRmT3_T4_T5_mT6_P12ihipStream_tbENKUlT_T0_E_clISt17integral_constantIbLb0EESW_IbLb1EEEEDaSS_ST_EUlSS_E_NS1_11comp_targetILNS1_3genE10ELNS1_11target_archE1200ELNS1_3gpuE4ELNS1_3repE0EEENS1_30default_config_static_selectorELNS0_4arch9wavefront6targetE1EEEvT1_,@function
_ZN7rocprim17ROCPRIM_400000_NS6detail17trampoline_kernelINS0_14default_configENS1_20scan_config_selectorIiEEZZNS1_9scan_implILNS1_25lookback_scan_determinismE0ELb1ELb1ES3_N6thrust23THRUST_200600_302600_NS6detail15normal_iteratorINS9_10device_ptrIiEEEENS9_16discard_iteratorINS9_11use_defaultEEEi11max_functorIiEiEEDaPvRmT3_T4_T5_mT6_P12ihipStream_tbENKUlT_T0_E_clISt17integral_constantIbLb0EESW_IbLb1EEEEDaSS_ST_EUlSS_E_NS1_11comp_targetILNS1_3genE10ELNS1_11target_archE1200ELNS1_3gpuE4ELNS1_3repE0EEENS1_30default_config_static_selectorELNS0_4arch9wavefront6targetE1EEEvT1_: ; @_ZN7rocprim17ROCPRIM_400000_NS6detail17trampoline_kernelINS0_14default_configENS1_20scan_config_selectorIiEEZZNS1_9scan_implILNS1_25lookback_scan_determinismE0ELb1ELb1ES3_N6thrust23THRUST_200600_302600_NS6detail15normal_iteratorINS9_10device_ptrIiEEEENS9_16discard_iteratorINS9_11use_defaultEEEi11max_functorIiEiEEDaPvRmT3_T4_T5_mT6_P12ihipStream_tbENKUlT_T0_E_clISt17integral_constantIbLb0EESW_IbLb1EEEEDaSS_ST_EUlSS_E_NS1_11comp_targetILNS1_3genE10ELNS1_11target_archE1200ELNS1_3gpuE4ELNS1_3repE0EEENS1_30default_config_static_selectorELNS0_4arch9wavefront6targetE1EEEvT1_
; %bb.0:
	.section	.rodata,"a",@progbits
	.p2align	6, 0x0
	.amdhsa_kernel _ZN7rocprim17ROCPRIM_400000_NS6detail17trampoline_kernelINS0_14default_configENS1_20scan_config_selectorIiEEZZNS1_9scan_implILNS1_25lookback_scan_determinismE0ELb1ELb1ES3_N6thrust23THRUST_200600_302600_NS6detail15normal_iteratorINS9_10device_ptrIiEEEENS9_16discard_iteratorINS9_11use_defaultEEEi11max_functorIiEiEEDaPvRmT3_T4_T5_mT6_P12ihipStream_tbENKUlT_T0_E_clISt17integral_constantIbLb0EESW_IbLb1EEEEDaSS_ST_EUlSS_E_NS1_11comp_targetILNS1_3genE10ELNS1_11target_archE1200ELNS1_3gpuE4ELNS1_3repE0EEENS1_30default_config_static_selectorELNS0_4arch9wavefront6targetE1EEEvT1_
		.amdhsa_group_segment_fixed_size 0
		.amdhsa_private_segment_fixed_size 0
		.amdhsa_kernarg_size 104
		.amdhsa_user_sgpr_count 6
		.amdhsa_user_sgpr_private_segment_buffer 1
		.amdhsa_user_sgpr_dispatch_ptr 0
		.amdhsa_user_sgpr_queue_ptr 0
		.amdhsa_user_sgpr_kernarg_segment_ptr 1
		.amdhsa_user_sgpr_dispatch_id 0
		.amdhsa_user_sgpr_flat_scratch_init 0
		.amdhsa_user_sgpr_kernarg_preload_length 0
		.amdhsa_user_sgpr_kernarg_preload_offset 0
		.amdhsa_user_sgpr_private_segment_size 0
		.amdhsa_uses_dynamic_stack 0
		.amdhsa_system_sgpr_private_segment_wavefront_offset 0
		.amdhsa_system_sgpr_workgroup_id_x 1
		.amdhsa_system_sgpr_workgroup_id_y 0
		.amdhsa_system_sgpr_workgroup_id_z 0
		.amdhsa_system_sgpr_workgroup_info 0
		.amdhsa_system_vgpr_workitem_id 0
		.amdhsa_next_free_vgpr 1
		.amdhsa_next_free_sgpr 0
		.amdhsa_accum_offset 4
		.amdhsa_reserve_vcc 0
		.amdhsa_reserve_flat_scratch 0
		.amdhsa_float_round_mode_32 0
		.amdhsa_float_round_mode_16_64 0
		.amdhsa_float_denorm_mode_32 3
		.amdhsa_float_denorm_mode_16_64 3
		.amdhsa_dx10_clamp 1
		.amdhsa_ieee_mode 1
		.amdhsa_fp16_overflow 0
		.amdhsa_tg_split 0
		.amdhsa_exception_fp_ieee_invalid_op 0
		.amdhsa_exception_fp_denorm_src 0
		.amdhsa_exception_fp_ieee_div_zero 0
		.amdhsa_exception_fp_ieee_overflow 0
		.amdhsa_exception_fp_ieee_underflow 0
		.amdhsa_exception_fp_ieee_inexact 0
		.amdhsa_exception_int_div_zero 0
	.end_amdhsa_kernel
	.section	.text._ZN7rocprim17ROCPRIM_400000_NS6detail17trampoline_kernelINS0_14default_configENS1_20scan_config_selectorIiEEZZNS1_9scan_implILNS1_25lookback_scan_determinismE0ELb1ELb1ES3_N6thrust23THRUST_200600_302600_NS6detail15normal_iteratorINS9_10device_ptrIiEEEENS9_16discard_iteratorINS9_11use_defaultEEEi11max_functorIiEiEEDaPvRmT3_T4_T5_mT6_P12ihipStream_tbENKUlT_T0_E_clISt17integral_constantIbLb0EESW_IbLb1EEEEDaSS_ST_EUlSS_E_NS1_11comp_targetILNS1_3genE10ELNS1_11target_archE1200ELNS1_3gpuE4ELNS1_3repE0EEENS1_30default_config_static_selectorELNS0_4arch9wavefront6targetE1EEEvT1_,"axG",@progbits,_ZN7rocprim17ROCPRIM_400000_NS6detail17trampoline_kernelINS0_14default_configENS1_20scan_config_selectorIiEEZZNS1_9scan_implILNS1_25lookback_scan_determinismE0ELb1ELb1ES3_N6thrust23THRUST_200600_302600_NS6detail15normal_iteratorINS9_10device_ptrIiEEEENS9_16discard_iteratorINS9_11use_defaultEEEi11max_functorIiEiEEDaPvRmT3_T4_T5_mT6_P12ihipStream_tbENKUlT_T0_E_clISt17integral_constantIbLb0EESW_IbLb1EEEEDaSS_ST_EUlSS_E_NS1_11comp_targetILNS1_3genE10ELNS1_11target_archE1200ELNS1_3gpuE4ELNS1_3repE0EEENS1_30default_config_static_selectorELNS0_4arch9wavefront6targetE1EEEvT1_,comdat
.Lfunc_end3986:
	.size	_ZN7rocprim17ROCPRIM_400000_NS6detail17trampoline_kernelINS0_14default_configENS1_20scan_config_selectorIiEEZZNS1_9scan_implILNS1_25lookback_scan_determinismE0ELb1ELb1ES3_N6thrust23THRUST_200600_302600_NS6detail15normal_iteratorINS9_10device_ptrIiEEEENS9_16discard_iteratorINS9_11use_defaultEEEi11max_functorIiEiEEDaPvRmT3_T4_T5_mT6_P12ihipStream_tbENKUlT_T0_E_clISt17integral_constantIbLb0EESW_IbLb1EEEEDaSS_ST_EUlSS_E_NS1_11comp_targetILNS1_3genE10ELNS1_11target_archE1200ELNS1_3gpuE4ELNS1_3repE0EEENS1_30default_config_static_selectorELNS0_4arch9wavefront6targetE1EEEvT1_, .Lfunc_end3986-_ZN7rocprim17ROCPRIM_400000_NS6detail17trampoline_kernelINS0_14default_configENS1_20scan_config_selectorIiEEZZNS1_9scan_implILNS1_25lookback_scan_determinismE0ELb1ELb1ES3_N6thrust23THRUST_200600_302600_NS6detail15normal_iteratorINS9_10device_ptrIiEEEENS9_16discard_iteratorINS9_11use_defaultEEEi11max_functorIiEiEEDaPvRmT3_T4_T5_mT6_P12ihipStream_tbENKUlT_T0_E_clISt17integral_constantIbLb0EESW_IbLb1EEEEDaSS_ST_EUlSS_E_NS1_11comp_targetILNS1_3genE10ELNS1_11target_archE1200ELNS1_3gpuE4ELNS1_3repE0EEENS1_30default_config_static_selectorELNS0_4arch9wavefront6targetE1EEEvT1_
                                        ; -- End function
	.section	.AMDGPU.csdata,"",@progbits
; Kernel info:
; codeLenInByte = 0
; NumSgprs: 4
; NumVgprs: 0
; NumAgprs: 0
; TotalNumVgprs: 0
; ScratchSize: 0
; MemoryBound: 0
; FloatMode: 240
; IeeeMode: 1
; LDSByteSize: 0 bytes/workgroup (compile time only)
; SGPRBlocks: 0
; VGPRBlocks: 0
; NumSGPRsForWavesPerEU: 4
; NumVGPRsForWavesPerEU: 1
; AccumOffset: 4
; Occupancy: 8
; WaveLimiterHint : 0
; COMPUTE_PGM_RSRC2:SCRATCH_EN: 0
; COMPUTE_PGM_RSRC2:USER_SGPR: 6
; COMPUTE_PGM_RSRC2:TRAP_HANDLER: 0
; COMPUTE_PGM_RSRC2:TGID_X_EN: 1
; COMPUTE_PGM_RSRC2:TGID_Y_EN: 0
; COMPUTE_PGM_RSRC2:TGID_Z_EN: 0
; COMPUTE_PGM_RSRC2:TIDIG_COMP_CNT: 0
; COMPUTE_PGM_RSRC3_GFX90A:ACCUM_OFFSET: 0
; COMPUTE_PGM_RSRC3_GFX90A:TG_SPLIT: 0
	.section	.text._ZN7rocprim17ROCPRIM_400000_NS6detail17trampoline_kernelINS0_14default_configENS1_20scan_config_selectorIiEEZZNS1_9scan_implILNS1_25lookback_scan_determinismE0ELb1ELb1ES3_N6thrust23THRUST_200600_302600_NS6detail15normal_iteratorINS9_10device_ptrIiEEEENS9_16discard_iteratorINS9_11use_defaultEEEi11max_functorIiEiEEDaPvRmT3_T4_T5_mT6_P12ihipStream_tbENKUlT_T0_E_clISt17integral_constantIbLb0EESW_IbLb1EEEEDaSS_ST_EUlSS_E_NS1_11comp_targetILNS1_3genE9ELNS1_11target_archE1100ELNS1_3gpuE3ELNS1_3repE0EEENS1_30default_config_static_selectorELNS0_4arch9wavefront6targetE1EEEvT1_,"axG",@progbits,_ZN7rocprim17ROCPRIM_400000_NS6detail17trampoline_kernelINS0_14default_configENS1_20scan_config_selectorIiEEZZNS1_9scan_implILNS1_25lookback_scan_determinismE0ELb1ELb1ES3_N6thrust23THRUST_200600_302600_NS6detail15normal_iteratorINS9_10device_ptrIiEEEENS9_16discard_iteratorINS9_11use_defaultEEEi11max_functorIiEiEEDaPvRmT3_T4_T5_mT6_P12ihipStream_tbENKUlT_T0_E_clISt17integral_constantIbLb0EESW_IbLb1EEEEDaSS_ST_EUlSS_E_NS1_11comp_targetILNS1_3genE9ELNS1_11target_archE1100ELNS1_3gpuE3ELNS1_3repE0EEENS1_30default_config_static_selectorELNS0_4arch9wavefront6targetE1EEEvT1_,comdat
	.protected	_ZN7rocprim17ROCPRIM_400000_NS6detail17trampoline_kernelINS0_14default_configENS1_20scan_config_selectorIiEEZZNS1_9scan_implILNS1_25lookback_scan_determinismE0ELb1ELb1ES3_N6thrust23THRUST_200600_302600_NS6detail15normal_iteratorINS9_10device_ptrIiEEEENS9_16discard_iteratorINS9_11use_defaultEEEi11max_functorIiEiEEDaPvRmT3_T4_T5_mT6_P12ihipStream_tbENKUlT_T0_E_clISt17integral_constantIbLb0EESW_IbLb1EEEEDaSS_ST_EUlSS_E_NS1_11comp_targetILNS1_3genE9ELNS1_11target_archE1100ELNS1_3gpuE3ELNS1_3repE0EEENS1_30default_config_static_selectorELNS0_4arch9wavefront6targetE1EEEvT1_ ; -- Begin function _ZN7rocprim17ROCPRIM_400000_NS6detail17trampoline_kernelINS0_14default_configENS1_20scan_config_selectorIiEEZZNS1_9scan_implILNS1_25lookback_scan_determinismE0ELb1ELb1ES3_N6thrust23THRUST_200600_302600_NS6detail15normal_iteratorINS9_10device_ptrIiEEEENS9_16discard_iteratorINS9_11use_defaultEEEi11max_functorIiEiEEDaPvRmT3_T4_T5_mT6_P12ihipStream_tbENKUlT_T0_E_clISt17integral_constantIbLb0EESW_IbLb1EEEEDaSS_ST_EUlSS_E_NS1_11comp_targetILNS1_3genE9ELNS1_11target_archE1100ELNS1_3gpuE3ELNS1_3repE0EEENS1_30default_config_static_selectorELNS0_4arch9wavefront6targetE1EEEvT1_
	.globl	_ZN7rocprim17ROCPRIM_400000_NS6detail17trampoline_kernelINS0_14default_configENS1_20scan_config_selectorIiEEZZNS1_9scan_implILNS1_25lookback_scan_determinismE0ELb1ELb1ES3_N6thrust23THRUST_200600_302600_NS6detail15normal_iteratorINS9_10device_ptrIiEEEENS9_16discard_iteratorINS9_11use_defaultEEEi11max_functorIiEiEEDaPvRmT3_T4_T5_mT6_P12ihipStream_tbENKUlT_T0_E_clISt17integral_constantIbLb0EESW_IbLb1EEEEDaSS_ST_EUlSS_E_NS1_11comp_targetILNS1_3genE9ELNS1_11target_archE1100ELNS1_3gpuE3ELNS1_3repE0EEENS1_30default_config_static_selectorELNS0_4arch9wavefront6targetE1EEEvT1_
	.p2align	8
	.type	_ZN7rocprim17ROCPRIM_400000_NS6detail17trampoline_kernelINS0_14default_configENS1_20scan_config_selectorIiEEZZNS1_9scan_implILNS1_25lookback_scan_determinismE0ELb1ELb1ES3_N6thrust23THRUST_200600_302600_NS6detail15normal_iteratorINS9_10device_ptrIiEEEENS9_16discard_iteratorINS9_11use_defaultEEEi11max_functorIiEiEEDaPvRmT3_T4_T5_mT6_P12ihipStream_tbENKUlT_T0_E_clISt17integral_constantIbLb0EESW_IbLb1EEEEDaSS_ST_EUlSS_E_NS1_11comp_targetILNS1_3genE9ELNS1_11target_archE1100ELNS1_3gpuE3ELNS1_3repE0EEENS1_30default_config_static_selectorELNS0_4arch9wavefront6targetE1EEEvT1_,@function
_ZN7rocprim17ROCPRIM_400000_NS6detail17trampoline_kernelINS0_14default_configENS1_20scan_config_selectorIiEEZZNS1_9scan_implILNS1_25lookback_scan_determinismE0ELb1ELb1ES3_N6thrust23THRUST_200600_302600_NS6detail15normal_iteratorINS9_10device_ptrIiEEEENS9_16discard_iteratorINS9_11use_defaultEEEi11max_functorIiEiEEDaPvRmT3_T4_T5_mT6_P12ihipStream_tbENKUlT_T0_E_clISt17integral_constantIbLb0EESW_IbLb1EEEEDaSS_ST_EUlSS_E_NS1_11comp_targetILNS1_3genE9ELNS1_11target_archE1100ELNS1_3gpuE3ELNS1_3repE0EEENS1_30default_config_static_selectorELNS0_4arch9wavefront6targetE1EEEvT1_: ; @_ZN7rocprim17ROCPRIM_400000_NS6detail17trampoline_kernelINS0_14default_configENS1_20scan_config_selectorIiEEZZNS1_9scan_implILNS1_25lookback_scan_determinismE0ELb1ELb1ES3_N6thrust23THRUST_200600_302600_NS6detail15normal_iteratorINS9_10device_ptrIiEEEENS9_16discard_iteratorINS9_11use_defaultEEEi11max_functorIiEiEEDaPvRmT3_T4_T5_mT6_P12ihipStream_tbENKUlT_T0_E_clISt17integral_constantIbLb0EESW_IbLb1EEEEDaSS_ST_EUlSS_E_NS1_11comp_targetILNS1_3genE9ELNS1_11target_archE1100ELNS1_3gpuE3ELNS1_3repE0EEENS1_30default_config_static_selectorELNS0_4arch9wavefront6targetE1EEEvT1_
; %bb.0:
	.section	.rodata,"a",@progbits
	.p2align	6, 0x0
	.amdhsa_kernel _ZN7rocprim17ROCPRIM_400000_NS6detail17trampoline_kernelINS0_14default_configENS1_20scan_config_selectorIiEEZZNS1_9scan_implILNS1_25lookback_scan_determinismE0ELb1ELb1ES3_N6thrust23THRUST_200600_302600_NS6detail15normal_iteratorINS9_10device_ptrIiEEEENS9_16discard_iteratorINS9_11use_defaultEEEi11max_functorIiEiEEDaPvRmT3_T4_T5_mT6_P12ihipStream_tbENKUlT_T0_E_clISt17integral_constantIbLb0EESW_IbLb1EEEEDaSS_ST_EUlSS_E_NS1_11comp_targetILNS1_3genE9ELNS1_11target_archE1100ELNS1_3gpuE3ELNS1_3repE0EEENS1_30default_config_static_selectorELNS0_4arch9wavefront6targetE1EEEvT1_
		.amdhsa_group_segment_fixed_size 0
		.amdhsa_private_segment_fixed_size 0
		.amdhsa_kernarg_size 104
		.amdhsa_user_sgpr_count 6
		.amdhsa_user_sgpr_private_segment_buffer 1
		.amdhsa_user_sgpr_dispatch_ptr 0
		.amdhsa_user_sgpr_queue_ptr 0
		.amdhsa_user_sgpr_kernarg_segment_ptr 1
		.amdhsa_user_sgpr_dispatch_id 0
		.amdhsa_user_sgpr_flat_scratch_init 0
		.amdhsa_user_sgpr_kernarg_preload_length 0
		.amdhsa_user_sgpr_kernarg_preload_offset 0
		.amdhsa_user_sgpr_private_segment_size 0
		.amdhsa_uses_dynamic_stack 0
		.amdhsa_system_sgpr_private_segment_wavefront_offset 0
		.amdhsa_system_sgpr_workgroup_id_x 1
		.amdhsa_system_sgpr_workgroup_id_y 0
		.amdhsa_system_sgpr_workgroup_id_z 0
		.amdhsa_system_sgpr_workgroup_info 0
		.amdhsa_system_vgpr_workitem_id 0
		.amdhsa_next_free_vgpr 1
		.amdhsa_next_free_sgpr 0
		.amdhsa_accum_offset 4
		.amdhsa_reserve_vcc 0
		.amdhsa_reserve_flat_scratch 0
		.amdhsa_float_round_mode_32 0
		.amdhsa_float_round_mode_16_64 0
		.amdhsa_float_denorm_mode_32 3
		.amdhsa_float_denorm_mode_16_64 3
		.amdhsa_dx10_clamp 1
		.amdhsa_ieee_mode 1
		.amdhsa_fp16_overflow 0
		.amdhsa_tg_split 0
		.amdhsa_exception_fp_ieee_invalid_op 0
		.amdhsa_exception_fp_denorm_src 0
		.amdhsa_exception_fp_ieee_div_zero 0
		.amdhsa_exception_fp_ieee_overflow 0
		.amdhsa_exception_fp_ieee_underflow 0
		.amdhsa_exception_fp_ieee_inexact 0
		.amdhsa_exception_int_div_zero 0
	.end_amdhsa_kernel
	.section	.text._ZN7rocprim17ROCPRIM_400000_NS6detail17trampoline_kernelINS0_14default_configENS1_20scan_config_selectorIiEEZZNS1_9scan_implILNS1_25lookback_scan_determinismE0ELb1ELb1ES3_N6thrust23THRUST_200600_302600_NS6detail15normal_iteratorINS9_10device_ptrIiEEEENS9_16discard_iteratorINS9_11use_defaultEEEi11max_functorIiEiEEDaPvRmT3_T4_T5_mT6_P12ihipStream_tbENKUlT_T0_E_clISt17integral_constantIbLb0EESW_IbLb1EEEEDaSS_ST_EUlSS_E_NS1_11comp_targetILNS1_3genE9ELNS1_11target_archE1100ELNS1_3gpuE3ELNS1_3repE0EEENS1_30default_config_static_selectorELNS0_4arch9wavefront6targetE1EEEvT1_,"axG",@progbits,_ZN7rocprim17ROCPRIM_400000_NS6detail17trampoline_kernelINS0_14default_configENS1_20scan_config_selectorIiEEZZNS1_9scan_implILNS1_25lookback_scan_determinismE0ELb1ELb1ES3_N6thrust23THRUST_200600_302600_NS6detail15normal_iteratorINS9_10device_ptrIiEEEENS9_16discard_iteratorINS9_11use_defaultEEEi11max_functorIiEiEEDaPvRmT3_T4_T5_mT6_P12ihipStream_tbENKUlT_T0_E_clISt17integral_constantIbLb0EESW_IbLb1EEEEDaSS_ST_EUlSS_E_NS1_11comp_targetILNS1_3genE9ELNS1_11target_archE1100ELNS1_3gpuE3ELNS1_3repE0EEENS1_30default_config_static_selectorELNS0_4arch9wavefront6targetE1EEEvT1_,comdat
.Lfunc_end3987:
	.size	_ZN7rocprim17ROCPRIM_400000_NS6detail17trampoline_kernelINS0_14default_configENS1_20scan_config_selectorIiEEZZNS1_9scan_implILNS1_25lookback_scan_determinismE0ELb1ELb1ES3_N6thrust23THRUST_200600_302600_NS6detail15normal_iteratorINS9_10device_ptrIiEEEENS9_16discard_iteratorINS9_11use_defaultEEEi11max_functorIiEiEEDaPvRmT3_T4_T5_mT6_P12ihipStream_tbENKUlT_T0_E_clISt17integral_constantIbLb0EESW_IbLb1EEEEDaSS_ST_EUlSS_E_NS1_11comp_targetILNS1_3genE9ELNS1_11target_archE1100ELNS1_3gpuE3ELNS1_3repE0EEENS1_30default_config_static_selectorELNS0_4arch9wavefront6targetE1EEEvT1_, .Lfunc_end3987-_ZN7rocprim17ROCPRIM_400000_NS6detail17trampoline_kernelINS0_14default_configENS1_20scan_config_selectorIiEEZZNS1_9scan_implILNS1_25lookback_scan_determinismE0ELb1ELb1ES3_N6thrust23THRUST_200600_302600_NS6detail15normal_iteratorINS9_10device_ptrIiEEEENS9_16discard_iteratorINS9_11use_defaultEEEi11max_functorIiEiEEDaPvRmT3_T4_T5_mT6_P12ihipStream_tbENKUlT_T0_E_clISt17integral_constantIbLb0EESW_IbLb1EEEEDaSS_ST_EUlSS_E_NS1_11comp_targetILNS1_3genE9ELNS1_11target_archE1100ELNS1_3gpuE3ELNS1_3repE0EEENS1_30default_config_static_selectorELNS0_4arch9wavefront6targetE1EEEvT1_
                                        ; -- End function
	.section	.AMDGPU.csdata,"",@progbits
; Kernel info:
; codeLenInByte = 0
; NumSgprs: 4
; NumVgprs: 0
; NumAgprs: 0
; TotalNumVgprs: 0
; ScratchSize: 0
; MemoryBound: 0
; FloatMode: 240
; IeeeMode: 1
; LDSByteSize: 0 bytes/workgroup (compile time only)
; SGPRBlocks: 0
; VGPRBlocks: 0
; NumSGPRsForWavesPerEU: 4
; NumVGPRsForWavesPerEU: 1
; AccumOffset: 4
; Occupancy: 8
; WaveLimiterHint : 0
; COMPUTE_PGM_RSRC2:SCRATCH_EN: 0
; COMPUTE_PGM_RSRC2:USER_SGPR: 6
; COMPUTE_PGM_RSRC2:TRAP_HANDLER: 0
; COMPUTE_PGM_RSRC2:TGID_X_EN: 1
; COMPUTE_PGM_RSRC2:TGID_Y_EN: 0
; COMPUTE_PGM_RSRC2:TGID_Z_EN: 0
; COMPUTE_PGM_RSRC2:TIDIG_COMP_CNT: 0
; COMPUTE_PGM_RSRC3_GFX90A:ACCUM_OFFSET: 0
; COMPUTE_PGM_RSRC3_GFX90A:TG_SPLIT: 0
	.section	.text._ZN7rocprim17ROCPRIM_400000_NS6detail17trampoline_kernelINS0_14default_configENS1_20scan_config_selectorIiEEZZNS1_9scan_implILNS1_25lookback_scan_determinismE0ELb1ELb1ES3_N6thrust23THRUST_200600_302600_NS6detail15normal_iteratorINS9_10device_ptrIiEEEENS9_16discard_iteratorINS9_11use_defaultEEEi11max_functorIiEiEEDaPvRmT3_T4_T5_mT6_P12ihipStream_tbENKUlT_T0_E_clISt17integral_constantIbLb0EESW_IbLb1EEEEDaSS_ST_EUlSS_E_NS1_11comp_targetILNS1_3genE8ELNS1_11target_archE1030ELNS1_3gpuE2ELNS1_3repE0EEENS1_30default_config_static_selectorELNS0_4arch9wavefront6targetE1EEEvT1_,"axG",@progbits,_ZN7rocprim17ROCPRIM_400000_NS6detail17trampoline_kernelINS0_14default_configENS1_20scan_config_selectorIiEEZZNS1_9scan_implILNS1_25lookback_scan_determinismE0ELb1ELb1ES3_N6thrust23THRUST_200600_302600_NS6detail15normal_iteratorINS9_10device_ptrIiEEEENS9_16discard_iteratorINS9_11use_defaultEEEi11max_functorIiEiEEDaPvRmT3_T4_T5_mT6_P12ihipStream_tbENKUlT_T0_E_clISt17integral_constantIbLb0EESW_IbLb1EEEEDaSS_ST_EUlSS_E_NS1_11comp_targetILNS1_3genE8ELNS1_11target_archE1030ELNS1_3gpuE2ELNS1_3repE0EEENS1_30default_config_static_selectorELNS0_4arch9wavefront6targetE1EEEvT1_,comdat
	.protected	_ZN7rocprim17ROCPRIM_400000_NS6detail17trampoline_kernelINS0_14default_configENS1_20scan_config_selectorIiEEZZNS1_9scan_implILNS1_25lookback_scan_determinismE0ELb1ELb1ES3_N6thrust23THRUST_200600_302600_NS6detail15normal_iteratorINS9_10device_ptrIiEEEENS9_16discard_iteratorINS9_11use_defaultEEEi11max_functorIiEiEEDaPvRmT3_T4_T5_mT6_P12ihipStream_tbENKUlT_T0_E_clISt17integral_constantIbLb0EESW_IbLb1EEEEDaSS_ST_EUlSS_E_NS1_11comp_targetILNS1_3genE8ELNS1_11target_archE1030ELNS1_3gpuE2ELNS1_3repE0EEENS1_30default_config_static_selectorELNS0_4arch9wavefront6targetE1EEEvT1_ ; -- Begin function _ZN7rocprim17ROCPRIM_400000_NS6detail17trampoline_kernelINS0_14default_configENS1_20scan_config_selectorIiEEZZNS1_9scan_implILNS1_25lookback_scan_determinismE0ELb1ELb1ES3_N6thrust23THRUST_200600_302600_NS6detail15normal_iteratorINS9_10device_ptrIiEEEENS9_16discard_iteratorINS9_11use_defaultEEEi11max_functorIiEiEEDaPvRmT3_T4_T5_mT6_P12ihipStream_tbENKUlT_T0_E_clISt17integral_constantIbLb0EESW_IbLb1EEEEDaSS_ST_EUlSS_E_NS1_11comp_targetILNS1_3genE8ELNS1_11target_archE1030ELNS1_3gpuE2ELNS1_3repE0EEENS1_30default_config_static_selectorELNS0_4arch9wavefront6targetE1EEEvT1_
	.globl	_ZN7rocprim17ROCPRIM_400000_NS6detail17trampoline_kernelINS0_14default_configENS1_20scan_config_selectorIiEEZZNS1_9scan_implILNS1_25lookback_scan_determinismE0ELb1ELb1ES3_N6thrust23THRUST_200600_302600_NS6detail15normal_iteratorINS9_10device_ptrIiEEEENS9_16discard_iteratorINS9_11use_defaultEEEi11max_functorIiEiEEDaPvRmT3_T4_T5_mT6_P12ihipStream_tbENKUlT_T0_E_clISt17integral_constantIbLb0EESW_IbLb1EEEEDaSS_ST_EUlSS_E_NS1_11comp_targetILNS1_3genE8ELNS1_11target_archE1030ELNS1_3gpuE2ELNS1_3repE0EEENS1_30default_config_static_selectorELNS0_4arch9wavefront6targetE1EEEvT1_
	.p2align	8
	.type	_ZN7rocprim17ROCPRIM_400000_NS6detail17trampoline_kernelINS0_14default_configENS1_20scan_config_selectorIiEEZZNS1_9scan_implILNS1_25lookback_scan_determinismE0ELb1ELb1ES3_N6thrust23THRUST_200600_302600_NS6detail15normal_iteratorINS9_10device_ptrIiEEEENS9_16discard_iteratorINS9_11use_defaultEEEi11max_functorIiEiEEDaPvRmT3_T4_T5_mT6_P12ihipStream_tbENKUlT_T0_E_clISt17integral_constantIbLb0EESW_IbLb1EEEEDaSS_ST_EUlSS_E_NS1_11comp_targetILNS1_3genE8ELNS1_11target_archE1030ELNS1_3gpuE2ELNS1_3repE0EEENS1_30default_config_static_selectorELNS0_4arch9wavefront6targetE1EEEvT1_,@function
_ZN7rocprim17ROCPRIM_400000_NS6detail17trampoline_kernelINS0_14default_configENS1_20scan_config_selectorIiEEZZNS1_9scan_implILNS1_25lookback_scan_determinismE0ELb1ELb1ES3_N6thrust23THRUST_200600_302600_NS6detail15normal_iteratorINS9_10device_ptrIiEEEENS9_16discard_iteratorINS9_11use_defaultEEEi11max_functorIiEiEEDaPvRmT3_T4_T5_mT6_P12ihipStream_tbENKUlT_T0_E_clISt17integral_constantIbLb0EESW_IbLb1EEEEDaSS_ST_EUlSS_E_NS1_11comp_targetILNS1_3genE8ELNS1_11target_archE1030ELNS1_3gpuE2ELNS1_3repE0EEENS1_30default_config_static_selectorELNS0_4arch9wavefront6targetE1EEEvT1_: ; @_ZN7rocprim17ROCPRIM_400000_NS6detail17trampoline_kernelINS0_14default_configENS1_20scan_config_selectorIiEEZZNS1_9scan_implILNS1_25lookback_scan_determinismE0ELb1ELb1ES3_N6thrust23THRUST_200600_302600_NS6detail15normal_iteratorINS9_10device_ptrIiEEEENS9_16discard_iteratorINS9_11use_defaultEEEi11max_functorIiEiEEDaPvRmT3_T4_T5_mT6_P12ihipStream_tbENKUlT_T0_E_clISt17integral_constantIbLb0EESW_IbLb1EEEEDaSS_ST_EUlSS_E_NS1_11comp_targetILNS1_3genE8ELNS1_11target_archE1030ELNS1_3gpuE2ELNS1_3repE0EEENS1_30default_config_static_selectorELNS0_4arch9wavefront6targetE1EEEvT1_
; %bb.0:
	.section	.rodata,"a",@progbits
	.p2align	6, 0x0
	.amdhsa_kernel _ZN7rocprim17ROCPRIM_400000_NS6detail17trampoline_kernelINS0_14default_configENS1_20scan_config_selectorIiEEZZNS1_9scan_implILNS1_25lookback_scan_determinismE0ELb1ELb1ES3_N6thrust23THRUST_200600_302600_NS6detail15normal_iteratorINS9_10device_ptrIiEEEENS9_16discard_iteratorINS9_11use_defaultEEEi11max_functorIiEiEEDaPvRmT3_T4_T5_mT6_P12ihipStream_tbENKUlT_T0_E_clISt17integral_constantIbLb0EESW_IbLb1EEEEDaSS_ST_EUlSS_E_NS1_11comp_targetILNS1_3genE8ELNS1_11target_archE1030ELNS1_3gpuE2ELNS1_3repE0EEENS1_30default_config_static_selectorELNS0_4arch9wavefront6targetE1EEEvT1_
		.amdhsa_group_segment_fixed_size 0
		.amdhsa_private_segment_fixed_size 0
		.amdhsa_kernarg_size 104
		.amdhsa_user_sgpr_count 6
		.amdhsa_user_sgpr_private_segment_buffer 1
		.amdhsa_user_sgpr_dispatch_ptr 0
		.amdhsa_user_sgpr_queue_ptr 0
		.amdhsa_user_sgpr_kernarg_segment_ptr 1
		.amdhsa_user_sgpr_dispatch_id 0
		.amdhsa_user_sgpr_flat_scratch_init 0
		.amdhsa_user_sgpr_kernarg_preload_length 0
		.amdhsa_user_sgpr_kernarg_preload_offset 0
		.amdhsa_user_sgpr_private_segment_size 0
		.amdhsa_uses_dynamic_stack 0
		.amdhsa_system_sgpr_private_segment_wavefront_offset 0
		.amdhsa_system_sgpr_workgroup_id_x 1
		.amdhsa_system_sgpr_workgroup_id_y 0
		.amdhsa_system_sgpr_workgroup_id_z 0
		.amdhsa_system_sgpr_workgroup_info 0
		.amdhsa_system_vgpr_workitem_id 0
		.amdhsa_next_free_vgpr 1
		.amdhsa_next_free_sgpr 0
		.amdhsa_accum_offset 4
		.amdhsa_reserve_vcc 0
		.amdhsa_reserve_flat_scratch 0
		.amdhsa_float_round_mode_32 0
		.amdhsa_float_round_mode_16_64 0
		.amdhsa_float_denorm_mode_32 3
		.amdhsa_float_denorm_mode_16_64 3
		.amdhsa_dx10_clamp 1
		.amdhsa_ieee_mode 1
		.amdhsa_fp16_overflow 0
		.amdhsa_tg_split 0
		.amdhsa_exception_fp_ieee_invalid_op 0
		.amdhsa_exception_fp_denorm_src 0
		.amdhsa_exception_fp_ieee_div_zero 0
		.amdhsa_exception_fp_ieee_overflow 0
		.amdhsa_exception_fp_ieee_underflow 0
		.amdhsa_exception_fp_ieee_inexact 0
		.amdhsa_exception_int_div_zero 0
	.end_amdhsa_kernel
	.section	.text._ZN7rocprim17ROCPRIM_400000_NS6detail17trampoline_kernelINS0_14default_configENS1_20scan_config_selectorIiEEZZNS1_9scan_implILNS1_25lookback_scan_determinismE0ELb1ELb1ES3_N6thrust23THRUST_200600_302600_NS6detail15normal_iteratorINS9_10device_ptrIiEEEENS9_16discard_iteratorINS9_11use_defaultEEEi11max_functorIiEiEEDaPvRmT3_T4_T5_mT6_P12ihipStream_tbENKUlT_T0_E_clISt17integral_constantIbLb0EESW_IbLb1EEEEDaSS_ST_EUlSS_E_NS1_11comp_targetILNS1_3genE8ELNS1_11target_archE1030ELNS1_3gpuE2ELNS1_3repE0EEENS1_30default_config_static_selectorELNS0_4arch9wavefront6targetE1EEEvT1_,"axG",@progbits,_ZN7rocprim17ROCPRIM_400000_NS6detail17trampoline_kernelINS0_14default_configENS1_20scan_config_selectorIiEEZZNS1_9scan_implILNS1_25lookback_scan_determinismE0ELb1ELb1ES3_N6thrust23THRUST_200600_302600_NS6detail15normal_iteratorINS9_10device_ptrIiEEEENS9_16discard_iteratorINS9_11use_defaultEEEi11max_functorIiEiEEDaPvRmT3_T4_T5_mT6_P12ihipStream_tbENKUlT_T0_E_clISt17integral_constantIbLb0EESW_IbLb1EEEEDaSS_ST_EUlSS_E_NS1_11comp_targetILNS1_3genE8ELNS1_11target_archE1030ELNS1_3gpuE2ELNS1_3repE0EEENS1_30default_config_static_selectorELNS0_4arch9wavefront6targetE1EEEvT1_,comdat
.Lfunc_end3988:
	.size	_ZN7rocprim17ROCPRIM_400000_NS6detail17trampoline_kernelINS0_14default_configENS1_20scan_config_selectorIiEEZZNS1_9scan_implILNS1_25lookback_scan_determinismE0ELb1ELb1ES3_N6thrust23THRUST_200600_302600_NS6detail15normal_iteratorINS9_10device_ptrIiEEEENS9_16discard_iteratorINS9_11use_defaultEEEi11max_functorIiEiEEDaPvRmT3_T4_T5_mT6_P12ihipStream_tbENKUlT_T0_E_clISt17integral_constantIbLb0EESW_IbLb1EEEEDaSS_ST_EUlSS_E_NS1_11comp_targetILNS1_3genE8ELNS1_11target_archE1030ELNS1_3gpuE2ELNS1_3repE0EEENS1_30default_config_static_selectorELNS0_4arch9wavefront6targetE1EEEvT1_, .Lfunc_end3988-_ZN7rocprim17ROCPRIM_400000_NS6detail17trampoline_kernelINS0_14default_configENS1_20scan_config_selectorIiEEZZNS1_9scan_implILNS1_25lookback_scan_determinismE0ELb1ELb1ES3_N6thrust23THRUST_200600_302600_NS6detail15normal_iteratorINS9_10device_ptrIiEEEENS9_16discard_iteratorINS9_11use_defaultEEEi11max_functorIiEiEEDaPvRmT3_T4_T5_mT6_P12ihipStream_tbENKUlT_T0_E_clISt17integral_constantIbLb0EESW_IbLb1EEEEDaSS_ST_EUlSS_E_NS1_11comp_targetILNS1_3genE8ELNS1_11target_archE1030ELNS1_3gpuE2ELNS1_3repE0EEENS1_30default_config_static_selectorELNS0_4arch9wavefront6targetE1EEEvT1_
                                        ; -- End function
	.section	.AMDGPU.csdata,"",@progbits
; Kernel info:
; codeLenInByte = 0
; NumSgprs: 4
; NumVgprs: 0
; NumAgprs: 0
; TotalNumVgprs: 0
; ScratchSize: 0
; MemoryBound: 0
; FloatMode: 240
; IeeeMode: 1
; LDSByteSize: 0 bytes/workgroup (compile time only)
; SGPRBlocks: 0
; VGPRBlocks: 0
; NumSGPRsForWavesPerEU: 4
; NumVGPRsForWavesPerEU: 1
; AccumOffset: 4
; Occupancy: 8
; WaveLimiterHint : 0
; COMPUTE_PGM_RSRC2:SCRATCH_EN: 0
; COMPUTE_PGM_RSRC2:USER_SGPR: 6
; COMPUTE_PGM_RSRC2:TRAP_HANDLER: 0
; COMPUTE_PGM_RSRC2:TGID_X_EN: 1
; COMPUTE_PGM_RSRC2:TGID_Y_EN: 0
; COMPUTE_PGM_RSRC2:TGID_Z_EN: 0
; COMPUTE_PGM_RSRC2:TIDIG_COMP_CNT: 0
; COMPUTE_PGM_RSRC3_GFX90A:ACCUM_OFFSET: 0
; COMPUTE_PGM_RSRC3_GFX90A:TG_SPLIT: 0
	.section	.text._ZN7rocprim17ROCPRIM_400000_NS6detail17trampoline_kernelINS0_14default_configENS1_20scan_config_selectorIiEEZZNS1_9scan_implILNS1_25lookback_scan_determinismE0ELb1ELb1ES3_N6thrust23THRUST_200600_302600_NS6detail15normal_iteratorINS9_10device_ptrIiEEEENS9_16discard_iteratorINS9_11use_defaultEEEi11max_functorIiEiEEDaPvRmT3_T4_T5_mT6_P12ihipStream_tbENKUlT_T0_E_clISt17integral_constantIbLb0EESW_IbLb1EEEEDaSS_ST_EUlSS_E0_NS1_11comp_targetILNS1_3genE0ELNS1_11target_archE4294967295ELNS1_3gpuE0ELNS1_3repE0EEENS1_30default_config_static_selectorELNS0_4arch9wavefront6targetE1EEEvT1_,"axG",@progbits,_ZN7rocprim17ROCPRIM_400000_NS6detail17trampoline_kernelINS0_14default_configENS1_20scan_config_selectorIiEEZZNS1_9scan_implILNS1_25lookback_scan_determinismE0ELb1ELb1ES3_N6thrust23THRUST_200600_302600_NS6detail15normal_iteratorINS9_10device_ptrIiEEEENS9_16discard_iteratorINS9_11use_defaultEEEi11max_functorIiEiEEDaPvRmT3_T4_T5_mT6_P12ihipStream_tbENKUlT_T0_E_clISt17integral_constantIbLb0EESW_IbLb1EEEEDaSS_ST_EUlSS_E0_NS1_11comp_targetILNS1_3genE0ELNS1_11target_archE4294967295ELNS1_3gpuE0ELNS1_3repE0EEENS1_30default_config_static_selectorELNS0_4arch9wavefront6targetE1EEEvT1_,comdat
	.protected	_ZN7rocprim17ROCPRIM_400000_NS6detail17trampoline_kernelINS0_14default_configENS1_20scan_config_selectorIiEEZZNS1_9scan_implILNS1_25lookback_scan_determinismE0ELb1ELb1ES3_N6thrust23THRUST_200600_302600_NS6detail15normal_iteratorINS9_10device_ptrIiEEEENS9_16discard_iteratorINS9_11use_defaultEEEi11max_functorIiEiEEDaPvRmT3_T4_T5_mT6_P12ihipStream_tbENKUlT_T0_E_clISt17integral_constantIbLb0EESW_IbLb1EEEEDaSS_ST_EUlSS_E0_NS1_11comp_targetILNS1_3genE0ELNS1_11target_archE4294967295ELNS1_3gpuE0ELNS1_3repE0EEENS1_30default_config_static_selectorELNS0_4arch9wavefront6targetE1EEEvT1_ ; -- Begin function _ZN7rocprim17ROCPRIM_400000_NS6detail17trampoline_kernelINS0_14default_configENS1_20scan_config_selectorIiEEZZNS1_9scan_implILNS1_25lookback_scan_determinismE0ELb1ELb1ES3_N6thrust23THRUST_200600_302600_NS6detail15normal_iteratorINS9_10device_ptrIiEEEENS9_16discard_iteratorINS9_11use_defaultEEEi11max_functorIiEiEEDaPvRmT3_T4_T5_mT6_P12ihipStream_tbENKUlT_T0_E_clISt17integral_constantIbLb0EESW_IbLb1EEEEDaSS_ST_EUlSS_E0_NS1_11comp_targetILNS1_3genE0ELNS1_11target_archE4294967295ELNS1_3gpuE0ELNS1_3repE0EEENS1_30default_config_static_selectorELNS0_4arch9wavefront6targetE1EEEvT1_
	.globl	_ZN7rocprim17ROCPRIM_400000_NS6detail17trampoline_kernelINS0_14default_configENS1_20scan_config_selectorIiEEZZNS1_9scan_implILNS1_25lookback_scan_determinismE0ELb1ELb1ES3_N6thrust23THRUST_200600_302600_NS6detail15normal_iteratorINS9_10device_ptrIiEEEENS9_16discard_iteratorINS9_11use_defaultEEEi11max_functorIiEiEEDaPvRmT3_T4_T5_mT6_P12ihipStream_tbENKUlT_T0_E_clISt17integral_constantIbLb0EESW_IbLb1EEEEDaSS_ST_EUlSS_E0_NS1_11comp_targetILNS1_3genE0ELNS1_11target_archE4294967295ELNS1_3gpuE0ELNS1_3repE0EEENS1_30default_config_static_selectorELNS0_4arch9wavefront6targetE1EEEvT1_
	.p2align	8
	.type	_ZN7rocprim17ROCPRIM_400000_NS6detail17trampoline_kernelINS0_14default_configENS1_20scan_config_selectorIiEEZZNS1_9scan_implILNS1_25lookback_scan_determinismE0ELb1ELb1ES3_N6thrust23THRUST_200600_302600_NS6detail15normal_iteratorINS9_10device_ptrIiEEEENS9_16discard_iteratorINS9_11use_defaultEEEi11max_functorIiEiEEDaPvRmT3_T4_T5_mT6_P12ihipStream_tbENKUlT_T0_E_clISt17integral_constantIbLb0EESW_IbLb1EEEEDaSS_ST_EUlSS_E0_NS1_11comp_targetILNS1_3genE0ELNS1_11target_archE4294967295ELNS1_3gpuE0ELNS1_3repE0EEENS1_30default_config_static_selectorELNS0_4arch9wavefront6targetE1EEEvT1_,@function
_ZN7rocprim17ROCPRIM_400000_NS6detail17trampoline_kernelINS0_14default_configENS1_20scan_config_selectorIiEEZZNS1_9scan_implILNS1_25lookback_scan_determinismE0ELb1ELb1ES3_N6thrust23THRUST_200600_302600_NS6detail15normal_iteratorINS9_10device_ptrIiEEEENS9_16discard_iteratorINS9_11use_defaultEEEi11max_functorIiEiEEDaPvRmT3_T4_T5_mT6_P12ihipStream_tbENKUlT_T0_E_clISt17integral_constantIbLb0EESW_IbLb1EEEEDaSS_ST_EUlSS_E0_NS1_11comp_targetILNS1_3genE0ELNS1_11target_archE4294967295ELNS1_3gpuE0ELNS1_3repE0EEENS1_30default_config_static_selectorELNS0_4arch9wavefront6targetE1EEEvT1_: ; @_ZN7rocprim17ROCPRIM_400000_NS6detail17trampoline_kernelINS0_14default_configENS1_20scan_config_selectorIiEEZZNS1_9scan_implILNS1_25lookback_scan_determinismE0ELb1ELb1ES3_N6thrust23THRUST_200600_302600_NS6detail15normal_iteratorINS9_10device_ptrIiEEEENS9_16discard_iteratorINS9_11use_defaultEEEi11max_functorIiEiEEDaPvRmT3_T4_T5_mT6_P12ihipStream_tbENKUlT_T0_E_clISt17integral_constantIbLb0EESW_IbLb1EEEEDaSS_ST_EUlSS_E0_NS1_11comp_targetILNS1_3genE0ELNS1_11target_archE4294967295ELNS1_3gpuE0ELNS1_3repE0EEENS1_30default_config_static_selectorELNS0_4arch9wavefront6targetE1EEEvT1_
; %bb.0:
	.section	.rodata,"a",@progbits
	.p2align	6, 0x0
	.amdhsa_kernel _ZN7rocprim17ROCPRIM_400000_NS6detail17trampoline_kernelINS0_14default_configENS1_20scan_config_selectorIiEEZZNS1_9scan_implILNS1_25lookback_scan_determinismE0ELb1ELb1ES3_N6thrust23THRUST_200600_302600_NS6detail15normal_iteratorINS9_10device_ptrIiEEEENS9_16discard_iteratorINS9_11use_defaultEEEi11max_functorIiEiEEDaPvRmT3_T4_T5_mT6_P12ihipStream_tbENKUlT_T0_E_clISt17integral_constantIbLb0EESW_IbLb1EEEEDaSS_ST_EUlSS_E0_NS1_11comp_targetILNS1_3genE0ELNS1_11target_archE4294967295ELNS1_3gpuE0ELNS1_3repE0EEENS1_30default_config_static_selectorELNS0_4arch9wavefront6targetE1EEEvT1_
		.amdhsa_group_segment_fixed_size 0
		.amdhsa_private_segment_fixed_size 0
		.amdhsa_kernarg_size 40
		.amdhsa_user_sgpr_count 6
		.amdhsa_user_sgpr_private_segment_buffer 1
		.amdhsa_user_sgpr_dispatch_ptr 0
		.amdhsa_user_sgpr_queue_ptr 0
		.amdhsa_user_sgpr_kernarg_segment_ptr 1
		.amdhsa_user_sgpr_dispatch_id 0
		.amdhsa_user_sgpr_flat_scratch_init 0
		.amdhsa_user_sgpr_kernarg_preload_length 0
		.amdhsa_user_sgpr_kernarg_preload_offset 0
		.amdhsa_user_sgpr_private_segment_size 0
		.amdhsa_uses_dynamic_stack 0
		.amdhsa_system_sgpr_private_segment_wavefront_offset 0
		.amdhsa_system_sgpr_workgroup_id_x 1
		.amdhsa_system_sgpr_workgroup_id_y 0
		.amdhsa_system_sgpr_workgroup_id_z 0
		.amdhsa_system_sgpr_workgroup_info 0
		.amdhsa_system_vgpr_workitem_id 0
		.amdhsa_next_free_vgpr 1
		.amdhsa_next_free_sgpr 0
		.amdhsa_accum_offset 4
		.amdhsa_reserve_vcc 0
		.amdhsa_reserve_flat_scratch 0
		.amdhsa_float_round_mode_32 0
		.amdhsa_float_round_mode_16_64 0
		.amdhsa_float_denorm_mode_32 3
		.amdhsa_float_denorm_mode_16_64 3
		.amdhsa_dx10_clamp 1
		.amdhsa_ieee_mode 1
		.amdhsa_fp16_overflow 0
		.amdhsa_tg_split 0
		.amdhsa_exception_fp_ieee_invalid_op 0
		.amdhsa_exception_fp_denorm_src 0
		.amdhsa_exception_fp_ieee_div_zero 0
		.amdhsa_exception_fp_ieee_overflow 0
		.amdhsa_exception_fp_ieee_underflow 0
		.amdhsa_exception_fp_ieee_inexact 0
		.amdhsa_exception_int_div_zero 0
	.end_amdhsa_kernel
	.section	.text._ZN7rocprim17ROCPRIM_400000_NS6detail17trampoline_kernelINS0_14default_configENS1_20scan_config_selectorIiEEZZNS1_9scan_implILNS1_25lookback_scan_determinismE0ELb1ELb1ES3_N6thrust23THRUST_200600_302600_NS6detail15normal_iteratorINS9_10device_ptrIiEEEENS9_16discard_iteratorINS9_11use_defaultEEEi11max_functorIiEiEEDaPvRmT3_T4_T5_mT6_P12ihipStream_tbENKUlT_T0_E_clISt17integral_constantIbLb0EESW_IbLb1EEEEDaSS_ST_EUlSS_E0_NS1_11comp_targetILNS1_3genE0ELNS1_11target_archE4294967295ELNS1_3gpuE0ELNS1_3repE0EEENS1_30default_config_static_selectorELNS0_4arch9wavefront6targetE1EEEvT1_,"axG",@progbits,_ZN7rocprim17ROCPRIM_400000_NS6detail17trampoline_kernelINS0_14default_configENS1_20scan_config_selectorIiEEZZNS1_9scan_implILNS1_25lookback_scan_determinismE0ELb1ELb1ES3_N6thrust23THRUST_200600_302600_NS6detail15normal_iteratorINS9_10device_ptrIiEEEENS9_16discard_iteratorINS9_11use_defaultEEEi11max_functorIiEiEEDaPvRmT3_T4_T5_mT6_P12ihipStream_tbENKUlT_T0_E_clISt17integral_constantIbLb0EESW_IbLb1EEEEDaSS_ST_EUlSS_E0_NS1_11comp_targetILNS1_3genE0ELNS1_11target_archE4294967295ELNS1_3gpuE0ELNS1_3repE0EEENS1_30default_config_static_selectorELNS0_4arch9wavefront6targetE1EEEvT1_,comdat
.Lfunc_end3989:
	.size	_ZN7rocprim17ROCPRIM_400000_NS6detail17trampoline_kernelINS0_14default_configENS1_20scan_config_selectorIiEEZZNS1_9scan_implILNS1_25lookback_scan_determinismE0ELb1ELb1ES3_N6thrust23THRUST_200600_302600_NS6detail15normal_iteratorINS9_10device_ptrIiEEEENS9_16discard_iteratorINS9_11use_defaultEEEi11max_functorIiEiEEDaPvRmT3_T4_T5_mT6_P12ihipStream_tbENKUlT_T0_E_clISt17integral_constantIbLb0EESW_IbLb1EEEEDaSS_ST_EUlSS_E0_NS1_11comp_targetILNS1_3genE0ELNS1_11target_archE4294967295ELNS1_3gpuE0ELNS1_3repE0EEENS1_30default_config_static_selectorELNS0_4arch9wavefront6targetE1EEEvT1_, .Lfunc_end3989-_ZN7rocprim17ROCPRIM_400000_NS6detail17trampoline_kernelINS0_14default_configENS1_20scan_config_selectorIiEEZZNS1_9scan_implILNS1_25lookback_scan_determinismE0ELb1ELb1ES3_N6thrust23THRUST_200600_302600_NS6detail15normal_iteratorINS9_10device_ptrIiEEEENS9_16discard_iteratorINS9_11use_defaultEEEi11max_functorIiEiEEDaPvRmT3_T4_T5_mT6_P12ihipStream_tbENKUlT_T0_E_clISt17integral_constantIbLb0EESW_IbLb1EEEEDaSS_ST_EUlSS_E0_NS1_11comp_targetILNS1_3genE0ELNS1_11target_archE4294967295ELNS1_3gpuE0ELNS1_3repE0EEENS1_30default_config_static_selectorELNS0_4arch9wavefront6targetE1EEEvT1_
                                        ; -- End function
	.section	.AMDGPU.csdata,"",@progbits
; Kernel info:
; codeLenInByte = 0
; NumSgprs: 4
; NumVgprs: 0
; NumAgprs: 0
; TotalNumVgprs: 0
; ScratchSize: 0
; MemoryBound: 0
; FloatMode: 240
; IeeeMode: 1
; LDSByteSize: 0 bytes/workgroup (compile time only)
; SGPRBlocks: 0
; VGPRBlocks: 0
; NumSGPRsForWavesPerEU: 4
; NumVGPRsForWavesPerEU: 1
; AccumOffset: 4
; Occupancy: 8
; WaveLimiterHint : 0
; COMPUTE_PGM_RSRC2:SCRATCH_EN: 0
; COMPUTE_PGM_RSRC2:USER_SGPR: 6
; COMPUTE_PGM_RSRC2:TRAP_HANDLER: 0
; COMPUTE_PGM_RSRC2:TGID_X_EN: 1
; COMPUTE_PGM_RSRC2:TGID_Y_EN: 0
; COMPUTE_PGM_RSRC2:TGID_Z_EN: 0
; COMPUTE_PGM_RSRC2:TIDIG_COMP_CNT: 0
; COMPUTE_PGM_RSRC3_GFX90A:ACCUM_OFFSET: 0
; COMPUTE_PGM_RSRC3_GFX90A:TG_SPLIT: 0
	.section	.text._ZN7rocprim17ROCPRIM_400000_NS6detail17trampoline_kernelINS0_14default_configENS1_20scan_config_selectorIiEEZZNS1_9scan_implILNS1_25lookback_scan_determinismE0ELb1ELb1ES3_N6thrust23THRUST_200600_302600_NS6detail15normal_iteratorINS9_10device_ptrIiEEEENS9_16discard_iteratorINS9_11use_defaultEEEi11max_functorIiEiEEDaPvRmT3_T4_T5_mT6_P12ihipStream_tbENKUlT_T0_E_clISt17integral_constantIbLb0EESW_IbLb1EEEEDaSS_ST_EUlSS_E0_NS1_11comp_targetILNS1_3genE5ELNS1_11target_archE942ELNS1_3gpuE9ELNS1_3repE0EEENS1_30default_config_static_selectorELNS0_4arch9wavefront6targetE1EEEvT1_,"axG",@progbits,_ZN7rocprim17ROCPRIM_400000_NS6detail17trampoline_kernelINS0_14default_configENS1_20scan_config_selectorIiEEZZNS1_9scan_implILNS1_25lookback_scan_determinismE0ELb1ELb1ES3_N6thrust23THRUST_200600_302600_NS6detail15normal_iteratorINS9_10device_ptrIiEEEENS9_16discard_iteratorINS9_11use_defaultEEEi11max_functorIiEiEEDaPvRmT3_T4_T5_mT6_P12ihipStream_tbENKUlT_T0_E_clISt17integral_constantIbLb0EESW_IbLb1EEEEDaSS_ST_EUlSS_E0_NS1_11comp_targetILNS1_3genE5ELNS1_11target_archE942ELNS1_3gpuE9ELNS1_3repE0EEENS1_30default_config_static_selectorELNS0_4arch9wavefront6targetE1EEEvT1_,comdat
	.protected	_ZN7rocprim17ROCPRIM_400000_NS6detail17trampoline_kernelINS0_14default_configENS1_20scan_config_selectorIiEEZZNS1_9scan_implILNS1_25lookback_scan_determinismE0ELb1ELb1ES3_N6thrust23THRUST_200600_302600_NS6detail15normal_iteratorINS9_10device_ptrIiEEEENS9_16discard_iteratorINS9_11use_defaultEEEi11max_functorIiEiEEDaPvRmT3_T4_T5_mT6_P12ihipStream_tbENKUlT_T0_E_clISt17integral_constantIbLb0EESW_IbLb1EEEEDaSS_ST_EUlSS_E0_NS1_11comp_targetILNS1_3genE5ELNS1_11target_archE942ELNS1_3gpuE9ELNS1_3repE0EEENS1_30default_config_static_selectorELNS0_4arch9wavefront6targetE1EEEvT1_ ; -- Begin function _ZN7rocprim17ROCPRIM_400000_NS6detail17trampoline_kernelINS0_14default_configENS1_20scan_config_selectorIiEEZZNS1_9scan_implILNS1_25lookback_scan_determinismE0ELb1ELb1ES3_N6thrust23THRUST_200600_302600_NS6detail15normal_iteratorINS9_10device_ptrIiEEEENS9_16discard_iteratorINS9_11use_defaultEEEi11max_functorIiEiEEDaPvRmT3_T4_T5_mT6_P12ihipStream_tbENKUlT_T0_E_clISt17integral_constantIbLb0EESW_IbLb1EEEEDaSS_ST_EUlSS_E0_NS1_11comp_targetILNS1_3genE5ELNS1_11target_archE942ELNS1_3gpuE9ELNS1_3repE0EEENS1_30default_config_static_selectorELNS0_4arch9wavefront6targetE1EEEvT1_
	.globl	_ZN7rocprim17ROCPRIM_400000_NS6detail17trampoline_kernelINS0_14default_configENS1_20scan_config_selectorIiEEZZNS1_9scan_implILNS1_25lookback_scan_determinismE0ELb1ELb1ES3_N6thrust23THRUST_200600_302600_NS6detail15normal_iteratorINS9_10device_ptrIiEEEENS9_16discard_iteratorINS9_11use_defaultEEEi11max_functorIiEiEEDaPvRmT3_T4_T5_mT6_P12ihipStream_tbENKUlT_T0_E_clISt17integral_constantIbLb0EESW_IbLb1EEEEDaSS_ST_EUlSS_E0_NS1_11comp_targetILNS1_3genE5ELNS1_11target_archE942ELNS1_3gpuE9ELNS1_3repE0EEENS1_30default_config_static_selectorELNS0_4arch9wavefront6targetE1EEEvT1_
	.p2align	8
	.type	_ZN7rocprim17ROCPRIM_400000_NS6detail17trampoline_kernelINS0_14default_configENS1_20scan_config_selectorIiEEZZNS1_9scan_implILNS1_25lookback_scan_determinismE0ELb1ELb1ES3_N6thrust23THRUST_200600_302600_NS6detail15normal_iteratorINS9_10device_ptrIiEEEENS9_16discard_iteratorINS9_11use_defaultEEEi11max_functorIiEiEEDaPvRmT3_T4_T5_mT6_P12ihipStream_tbENKUlT_T0_E_clISt17integral_constantIbLb0EESW_IbLb1EEEEDaSS_ST_EUlSS_E0_NS1_11comp_targetILNS1_3genE5ELNS1_11target_archE942ELNS1_3gpuE9ELNS1_3repE0EEENS1_30default_config_static_selectorELNS0_4arch9wavefront6targetE1EEEvT1_,@function
_ZN7rocprim17ROCPRIM_400000_NS6detail17trampoline_kernelINS0_14default_configENS1_20scan_config_selectorIiEEZZNS1_9scan_implILNS1_25lookback_scan_determinismE0ELb1ELb1ES3_N6thrust23THRUST_200600_302600_NS6detail15normal_iteratorINS9_10device_ptrIiEEEENS9_16discard_iteratorINS9_11use_defaultEEEi11max_functorIiEiEEDaPvRmT3_T4_T5_mT6_P12ihipStream_tbENKUlT_T0_E_clISt17integral_constantIbLb0EESW_IbLb1EEEEDaSS_ST_EUlSS_E0_NS1_11comp_targetILNS1_3genE5ELNS1_11target_archE942ELNS1_3gpuE9ELNS1_3repE0EEENS1_30default_config_static_selectorELNS0_4arch9wavefront6targetE1EEEvT1_: ; @_ZN7rocprim17ROCPRIM_400000_NS6detail17trampoline_kernelINS0_14default_configENS1_20scan_config_selectorIiEEZZNS1_9scan_implILNS1_25lookback_scan_determinismE0ELb1ELb1ES3_N6thrust23THRUST_200600_302600_NS6detail15normal_iteratorINS9_10device_ptrIiEEEENS9_16discard_iteratorINS9_11use_defaultEEEi11max_functorIiEiEEDaPvRmT3_T4_T5_mT6_P12ihipStream_tbENKUlT_T0_E_clISt17integral_constantIbLb0EESW_IbLb1EEEEDaSS_ST_EUlSS_E0_NS1_11comp_targetILNS1_3genE5ELNS1_11target_archE942ELNS1_3gpuE9ELNS1_3repE0EEENS1_30default_config_static_selectorELNS0_4arch9wavefront6targetE1EEEvT1_
; %bb.0:
	.section	.rodata,"a",@progbits
	.p2align	6, 0x0
	.amdhsa_kernel _ZN7rocprim17ROCPRIM_400000_NS6detail17trampoline_kernelINS0_14default_configENS1_20scan_config_selectorIiEEZZNS1_9scan_implILNS1_25lookback_scan_determinismE0ELb1ELb1ES3_N6thrust23THRUST_200600_302600_NS6detail15normal_iteratorINS9_10device_ptrIiEEEENS9_16discard_iteratorINS9_11use_defaultEEEi11max_functorIiEiEEDaPvRmT3_T4_T5_mT6_P12ihipStream_tbENKUlT_T0_E_clISt17integral_constantIbLb0EESW_IbLb1EEEEDaSS_ST_EUlSS_E0_NS1_11comp_targetILNS1_3genE5ELNS1_11target_archE942ELNS1_3gpuE9ELNS1_3repE0EEENS1_30default_config_static_selectorELNS0_4arch9wavefront6targetE1EEEvT1_
		.amdhsa_group_segment_fixed_size 0
		.amdhsa_private_segment_fixed_size 0
		.amdhsa_kernarg_size 40
		.amdhsa_user_sgpr_count 6
		.amdhsa_user_sgpr_private_segment_buffer 1
		.amdhsa_user_sgpr_dispatch_ptr 0
		.amdhsa_user_sgpr_queue_ptr 0
		.amdhsa_user_sgpr_kernarg_segment_ptr 1
		.amdhsa_user_sgpr_dispatch_id 0
		.amdhsa_user_sgpr_flat_scratch_init 0
		.amdhsa_user_sgpr_kernarg_preload_length 0
		.amdhsa_user_sgpr_kernarg_preload_offset 0
		.amdhsa_user_sgpr_private_segment_size 0
		.amdhsa_uses_dynamic_stack 0
		.amdhsa_system_sgpr_private_segment_wavefront_offset 0
		.amdhsa_system_sgpr_workgroup_id_x 1
		.amdhsa_system_sgpr_workgroup_id_y 0
		.amdhsa_system_sgpr_workgroup_id_z 0
		.amdhsa_system_sgpr_workgroup_info 0
		.amdhsa_system_vgpr_workitem_id 0
		.amdhsa_next_free_vgpr 1
		.amdhsa_next_free_sgpr 0
		.amdhsa_accum_offset 4
		.amdhsa_reserve_vcc 0
		.amdhsa_reserve_flat_scratch 0
		.amdhsa_float_round_mode_32 0
		.amdhsa_float_round_mode_16_64 0
		.amdhsa_float_denorm_mode_32 3
		.amdhsa_float_denorm_mode_16_64 3
		.amdhsa_dx10_clamp 1
		.amdhsa_ieee_mode 1
		.amdhsa_fp16_overflow 0
		.amdhsa_tg_split 0
		.amdhsa_exception_fp_ieee_invalid_op 0
		.amdhsa_exception_fp_denorm_src 0
		.amdhsa_exception_fp_ieee_div_zero 0
		.amdhsa_exception_fp_ieee_overflow 0
		.amdhsa_exception_fp_ieee_underflow 0
		.amdhsa_exception_fp_ieee_inexact 0
		.amdhsa_exception_int_div_zero 0
	.end_amdhsa_kernel
	.section	.text._ZN7rocprim17ROCPRIM_400000_NS6detail17trampoline_kernelINS0_14default_configENS1_20scan_config_selectorIiEEZZNS1_9scan_implILNS1_25lookback_scan_determinismE0ELb1ELb1ES3_N6thrust23THRUST_200600_302600_NS6detail15normal_iteratorINS9_10device_ptrIiEEEENS9_16discard_iteratorINS9_11use_defaultEEEi11max_functorIiEiEEDaPvRmT3_T4_T5_mT6_P12ihipStream_tbENKUlT_T0_E_clISt17integral_constantIbLb0EESW_IbLb1EEEEDaSS_ST_EUlSS_E0_NS1_11comp_targetILNS1_3genE5ELNS1_11target_archE942ELNS1_3gpuE9ELNS1_3repE0EEENS1_30default_config_static_selectorELNS0_4arch9wavefront6targetE1EEEvT1_,"axG",@progbits,_ZN7rocprim17ROCPRIM_400000_NS6detail17trampoline_kernelINS0_14default_configENS1_20scan_config_selectorIiEEZZNS1_9scan_implILNS1_25lookback_scan_determinismE0ELb1ELb1ES3_N6thrust23THRUST_200600_302600_NS6detail15normal_iteratorINS9_10device_ptrIiEEEENS9_16discard_iteratorINS9_11use_defaultEEEi11max_functorIiEiEEDaPvRmT3_T4_T5_mT6_P12ihipStream_tbENKUlT_T0_E_clISt17integral_constantIbLb0EESW_IbLb1EEEEDaSS_ST_EUlSS_E0_NS1_11comp_targetILNS1_3genE5ELNS1_11target_archE942ELNS1_3gpuE9ELNS1_3repE0EEENS1_30default_config_static_selectorELNS0_4arch9wavefront6targetE1EEEvT1_,comdat
.Lfunc_end3990:
	.size	_ZN7rocprim17ROCPRIM_400000_NS6detail17trampoline_kernelINS0_14default_configENS1_20scan_config_selectorIiEEZZNS1_9scan_implILNS1_25lookback_scan_determinismE0ELb1ELb1ES3_N6thrust23THRUST_200600_302600_NS6detail15normal_iteratorINS9_10device_ptrIiEEEENS9_16discard_iteratorINS9_11use_defaultEEEi11max_functorIiEiEEDaPvRmT3_T4_T5_mT6_P12ihipStream_tbENKUlT_T0_E_clISt17integral_constantIbLb0EESW_IbLb1EEEEDaSS_ST_EUlSS_E0_NS1_11comp_targetILNS1_3genE5ELNS1_11target_archE942ELNS1_3gpuE9ELNS1_3repE0EEENS1_30default_config_static_selectorELNS0_4arch9wavefront6targetE1EEEvT1_, .Lfunc_end3990-_ZN7rocprim17ROCPRIM_400000_NS6detail17trampoline_kernelINS0_14default_configENS1_20scan_config_selectorIiEEZZNS1_9scan_implILNS1_25lookback_scan_determinismE0ELb1ELb1ES3_N6thrust23THRUST_200600_302600_NS6detail15normal_iteratorINS9_10device_ptrIiEEEENS9_16discard_iteratorINS9_11use_defaultEEEi11max_functorIiEiEEDaPvRmT3_T4_T5_mT6_P12ihipStream_tbENKUlT_T0_E_clISt17integral_constantIbLb0EESW_IbLb1EEEEDaSS_ST_EUlSS_E0_NS1_11comp_targetILNS1_3genE5ELNS1_11target_archE942ELNS1_3gpuE9ELNS1_3repE0EEENS1_30default_config_static_selectorELNS0_4arch9wavefront6targetE1EEEvT1_
                                        ; -- End function
	.section	.AMDGPU.csdata,"",@progbits
; Kernel info:
; codeLenInByte = 0
; NumSgprs: 4
; NumVgprs: 0
; NumAgprs: 0
; TotalNumVgprs: 0
; ScratchSize: 0
; MemoryBound: 0
; FloatMode: 240
; IeeeMode: 1
; LDSByteSize: 0 bytes/workgroup (compile time only)
; SGPRBlocks: 0
; VGPRBlocks: 0
; NumSGPRsForWavesPerEU: 4
; NumVGPRsForWavesPerEU: 1
; AccumOffset: 4
; Occupancy: 8
; WaveLimiterHint : 0
; COMPUTE_PGM_RSRC2:SCRATCH_EN: 0
; COMPUTE_PGM_RSRC2:USER_SGPR: 6
; COMPUTE_PGM_RSRC2:TRAP_HANDLER: 0
; COMPUTE_PGM_RSRC2:TGID_X_EN: 1
; COMPUTE_PGM_RSRC2:TGID_Y_EN: 0
; COMPUTE_PGM_RSRC2:TGID_Z_EN: 0
; COMPUTE_PGM_RSRC2:TIDIG_COMP_CNT: 0
; COMPUTE_PGM_RSRC3_GFX90A:ACCUM_OFFSET: 0
; COMPUTE_PGM_RSRC3_GFX90A:TG_SPLIT: 0
	.section	.text._ZN7rocprim17ROCPRIM_400000_NS6detail17trampoline_kernelINS0_14default_configENS1_20scan_config_selectorIiEEZZNS1_9scan_implILNS1_25lookback_scan_determinismE0ELb1ELb1ES3_N6thrust23THRUST_200600_302600_NS6detail15normal_iteratorINS9_10device_ptrIiEEEENS9_16discard_iteratorINS9_11use_defaultEEEi11max_functorIiEiEEDaPvRmT3_T4_T5_mT6_P12ihipStream_tbENKUlT_T0_E_clISt17integral_constantIbLb0EESW_IbLb1EEEEDaSS_ST_EUlSS_E0_NS1_11comp_targetILNS1_3genE4ELNS1_11target_archE910ELNS1_3gpuE8ELNS1_3repE0EEENS1_30default_config_static_selectorELNS0_4arch9wavefront6targetE1EEEvT1_,"axG",@progbits,_ZN7rocprim17ROCPRIM_400000_NS6detail17trampoline_kernelINS0_14default_configENS1_20scan_config_selectorIiEEZZNS1_9scan_implILNS1_25lookback_scan_determinismE0ELb1ELb1ES3_N6thrust23THRUST_200600_302600_NS6detail15normal_iteratorINS9_10device_ptrIiEEEENS9_16discard_iteratorINS9_11use_defaultEEEi11max_functorIiEiEEDaPvRmT3_T4_T5_mT6_P12ihipStream_tbENKUlT_T0_E_clISt17integral_constantIbLb0EESW_IbLb1EEEEDaSS_ST_EUlSS_E0_NS1_11comp_targetILNS1_3genE4ELNS1_11target_archE910ELNS1_3gpuE8ELNS1_3repE0EEENS1_30default_config_static_selectorELNS0_4arch9wavefront6targetE1EEEvT1_,comdat
	.protected	_ZN7rocprim17ROCPRIM_400000_NS6detail17trampoline_kernelINS0_14default_configENS1_20scan_config_selectorIiEEZZNS1_9scan_implILNS1_25lookback_scan_determinismE0ELb1ELb1ES3_N6thrust23THRUST_200600_302600_NS6detail15normal_iteratorINS9_10device_ptrIiEEEENS9_16discard_iteratorINS9_11use_defaultEEEi11max_functorIiEiEEDaPvRmT3_T4_T5_mT6_P12ihipStream_tbENKUlT_T0_E_clISt17integral_constantIbLb0EESW_IbLb1EEEEDaSS_ST_EUlSS_E0_NS1_11comp_targetILNS1_3genE4ELNS1_11target_archE910ELNS1_3gpuE8ELNS1_3repE0EEENS1_30default_config_static_selectorELNS0_4arch9wavefront6targetE1EEEvT1_ ; -- Begin function _ZN7rocprim17ROCPRIM_400000_NS6detail17trampoline_kernelINS0_14default_configENS1_20scan_config_selectorIiEEZZNS1_9scan_implILNS1_25lookback_scan_determinismE0ELb1ELb1ES3_N6thrust23THRUST_200600_302600_NS6detail15normal_iteratorINS9_10device_ptrIiEEEENS9_16discard_iteratorINS9_11use_defaultEEEi11max_functorIiEiEEDaPvRmT3_T4_T5_mT6_P12ihipStream_tbENKUlT_T0_E_clISt17integral_constantIbLb0EESW_IbLb1EEEEDaSS_ST_EUlSS_E0_NS1_11comp_targetILNS1_3genE4ELNS1_11target_archE910ELNS1_3gpuE8ELNS1_3repE0EEENS1_30default_config_static_selectorELNS0_4arch9wavefront6targetE1EEEvT1_
	.globl	_ZN7rocprim17ROCPRIM_400000_NS6detail17trampoline_kernelINS0_14default_configENS1_20scan_config_selectorIiEEZZNS1_9scan_implILNS1_25lookback_scan_determinismE0ELb1ELb1ES3_N6thrust23THRUST_200600_302600_NS6detail15normal_iteratorINS9_10device_ptrIiEEEENS9_16discard_iteratorINS9_11use_defaultEEEi11max_functorIiEiEEDaPvRmT3_T4_T5_mT6_P12ihipStream_tbENKUlT_T0_E_clISt17integral_constantIbLb0EESW_IbLb1EEEEDaSS_ST_EUlSS_E0_NS1_11comp_targetILNS1_3genE4ELNS1_11target_archE910ELNS1_3gpuE8ELNS1_3repE0EEENS1_30default_config_static_selectorELNS0_4arch9wavefront6targetE1EEEvT1_
	.p2align	8
	.type	_ZN7rocprim17ROCPRIM_400000_NS6detail17trampoline_kernelINS0_14default_configENS1_20scan_config_selectorIiEEZZNS1_9scan_implILNS1_25lookback_scan_determinismE0ELb1ELb1ES3_N6thrust23THRUST_200600_302600_NS6detail15normal_iteratorINS9_10device_ptrIiEEEENS9_16discard_iteratorINS9_11use_defaultEEEi11max_functorIiEiEEDaPvRmT3_T4_T5_mT6_P12ihipStream_tbENKUlT_T0_E_clISt17integral_constantIbLb0EESW_IbLb1EEEEDaSS_ST_EUlSS_E0_NS1_11comp_targetILNS1_3genE4ELNS1_11target_archE910ELNS1_3gpuE8ELNS1_3repE0EEENS1_30default_config_static_selectorELNS0_4arch9wavefront6targetE1EEEvT1_,@function
_ZN7rocprim17ROCPRIM_400000_NS6detail17trampoline_kernelINS0_14default_configENS1_20scan_config_selectorIiEEZZNS1_9scan_implILNS1_25lookback_scan_determinismE0ELb1ELb1ES3_N6thrust23THRUST_200600_302600_NS6detail15normal_iteratorINS9_10device_ptrIiEEEENS9_16discard_iteratorINS9_11use_defaultEEEi11max_functorIiEiEEDaPvRmT3_T4_T5_mT6_P12ihipStream_tbENKUlT_T0_E_clISt17integral_constantIbLb0EESW_IbLb1EEEEDaSS_ST_EUlSS_E0_NS1_11comp_targetILNS1_3genE4ELNS1_11target_archE910ELNS1_3gpuE8ELNS1_3repE0EEENS1_30default_config_static_selectorELNS0_4arch9wavefront6targetE1EEEvT1_: ; @_ZN7rocprim17ROCPRIM_400000_NS6detail17trampoline_kernelINS0_14default_configENS1_20scan_config_selectorIiEEZZNS1_9scan_implILNS1_25lookback_scan_determinismE0ELb1ELb1ES3_N6thrust23THRUST_200600_302600_NS6detail15normal_iteratorINS9_10device_ptrIiEEEENS9_16discard_iteratorINS9_11use_defaultEEEi11max_functorIiEiEEDaPvRmT3_T4_T5_mT6_P12ihipStream_tbENKUlT_T0_E_clISt17integral_constantIbLb0EESW_IbLb1EEEEDaSS_ST_EUlSS_E0_NS1_11comp_targetILNS1_3genE4ELNS1_11target_archE910ELNS1_3gpuE8ELNS1_3repE0EEENS1_30default_config_static_selectorELNS0_4arch9wavefront6targetE1EEEvT1_
; %bb.0:
	s_load_dwordx4 s[0:3], s[4:5], 0x0
	v_lshlrev_b32_e32 v1, 2, v0
	s_waitcnt lgkmcnt(0)
	s_load_dword s3, s[0:1], 0x0
	v_cmp_gt_u32_e32 vcc, s2, v0
	s_waitcnt lgkmcnt(0)
	v_mov_b32_e32 v2, s3
	s_and_saveexec_b64 s[6:7], vcc
	s_cbranch_execz .LBB3991_2
; %bb.1:
	global_load_dword v2, v1, s[0:1]
.LBB3991_2:
	s_or_b64 exec, exec, s[6:7]
	v_or_b32_e32 v3, 0x80, v0
	v_cmp_gt_u32_e32 vcc, s2, v3
	v_mov_b32_e32 v3, s3
	s_and_saveexec_b64 s[6:7], vcc
	s_cbranch_execz .LBB3991_4
; %bb.3:
	global_load_dword v3, v1, s[0:1] offset:512
.LBB3991_4:
	s_or_b64 exec, exec, s[6:7]
	v_or_b32_e32 v4, 0x100, v0
	v_cmp_gt_u32_e32 vcc, s2, v4
	v_mov_b32_e32 v4, s3
	s_and_saveexec_b64 s[6:7], vcc
	s_cbranch_execz .LBB3991_6
; %bb.5:
	global_load_dword v4, v1, s[0:1] offset:1024
.LBB3991_6:
	s_or_b64 exec, exec, s[6:7]
	v_or_b32_e32 v5, 0x180, v0
	v_cmp_gt_u32_e32 vcc, s2, v5
	v_mov_b32_e32 v5, s3
	s_and_saveexec_b64 s[6:7], vcc
	s_cbranch_execz .LBB3991_8
; %bb.7:
	global_load_dword v5, v1, s[0:1] offset:1536
.LBB3991_8:
	s_or_b64 exec, exec, s[6:7]
	v_or_b32_e32 v6, 0x200, v0
	v_cmp_gt_u32_e32 vcc, s2, v6
	v_mov_b32_e32 v6, s3
	s_and_saveexec_b64 s[6:7], vcc
	s_cbranch_execz .LBB3991_10
; %bb.9:
	global_load_dword v6, v1, s[0:1] offset:2048
.LBB3991_10:
	s_or_b64 exec, exec, s[6:7]
	v_or_b32_e32 v7, 0x280, v0
	v_cmp_gt_u32_e32 vcc, s2, v7
	v_mov_b32_e32 v7, s3
	s_and_saveexec_b64 s[6:7], vcc
	s_cbranch_execz .LBB3991_12
; %bb.11:
	global_load_dword v7, v1, s[0:1] offset:2560
.LBB3991_12:
	s_or_b64 exec, exec, s[6:7]
	v_or_b32_e32 v8, 0x300, v0
	v_cmp_gt_u32_e32 vcc, s2, v8
	v_mov_b32_e32 v8, s3
	s_and_saveexec_b64 s[6:7], vcc
	s_cbranch_execz .LBB3991_14
; %bb.13:
	global_load_dword v8, v1, s[0:1] offset:3072
.LBB3991_14:
	s_or_b64 exec, exec, s[6:7]
	v_or_b32_e32 v9, 0x380, v0
	v_cmp_gt_u32_e32 vcc, s2, v9
	v_mov_b32_e32 v9, s3
	s_and_saveexec_b64 s[6:7], vcc
	s_cbranch_execz .LBB3991_16
; %bb.15:
	global_load_dword v9, v1, s[0:1] offset:3584
.LBB3991_16:
	s_or_b64 exec, exec, s[6:7]
	v_or_b32_e32 v11, 0x400, v0
	v_cmp_gt_u32_e32 vcc, s2, v11
	v_mov_b32_e32 v10, s3
	s_and_saveexec_b64 s[6:7], vcc
	s_cbranch_execz .LBB3991_18
; %bb.17:
	v_lshlrev_b32_e32 v10, 2, v11
	global_load_dword v10, v10, s[0:1]
.LBB3991_18:
	s_or_b64 exec, exec, s[6:7]
	s_load_dword s4, s[4:5], 0x10
	v_or_b32_e32 v12, 0x480, v0
	v_cmp_gt_u32_e32 vcc, s2, v12
	v_mov_b32_e32 v11, s3
	s_and_saveexec_b64 s[2:3], vcc
	s_cbranch_execz .LBB3991_20
; %bb.19:
	v_lshlrev_b32_e32 v11, 2, v12
	global_load_dword v11, v11, s[0:1]
.LBB3991_20:
	s_or_b64 exec, exec, s[2:3]
	s_waitcnt vmcnt(0)
	ds_write2st64_b32 v1, v2, v3 offset1:2
	ds_write2st64_b32 v1, v4, v5 offset0:4 offset1:6
	ds_write2st64_b32 v1, v6, v7 offset0:8 offset1:10
	;; [unrolled: 1-line block ×4, first 2 shown]
	v_mad_u32_u24 v10, v0, 36, v1
	s_waitcnt lgkmcnt(0)
	s_barrier
	ds_read2_b64 v[6:9], v10 offset1:1
	ds_read2_b64 v[2:5], v10 offset0:2 offset1:3
	ds_read_b64 v[10:11], v10 offset:32
	v_cmp_gt_u32_e32 vcc, 64, v0
	s_waitcnt lgkmcnt(0)
	v_max_i32_e32 v12, v6, v7
	v_max3_i32 v12, v12, v8, v9
	v_max3_i32 v12, v12, v2, v3
	;; [unrolled: 1-line block ×4, first 2 shown]
	v_lshrrev_b32_e32 v12, 3, v0
	v_and_b32_e32 v12, 12, v12
	v_add_u32_e32 v12, v1, v12
	s_barrier
	ds_write_b32 v12, v11
	s_waitcnt lgkmcnt(0)
	s_barrier
	s_and_saveexec_b64 s[0:1], vcc
	s_cbranch_execz .LBB3991_22
; %bb.21:
	v_lshlrev_b32_e32 v12, 1, v0
	v_lshrrev_b32_e32 v13, 4, v0
	v_add_lshl_u32 v14, v13, v12, 2
	ds_read2_b32 v[12:13], v14 offset1:1
	v_mbcnt_lo_u32_b32 v15, -1, 0
	v_mbcnt_hi_u32_b32 v15, -1, v15
	v_and_b32_e32 v16, 15, v15
	v_cmp_eq_u32_e32 vcc, 0, v16
	s_waitcnt lgkmcnt(0)
	v_max_i32_e32 v13, v12, v13
	; wave barrier
	s_nop 1
	v_mov_b32_dpp v17, v13 row_shr:1 row_mask:0xf bank_mask:0xf
	v_max_i32_e32 v17, v17, v13
	v_cndmask_b32_e32 v13, v17, v13, vcc
	v_cmp_lt_u32_e32 vcc, 1, v16
	s_nop 0
	v_mov_b32_dpp v17, v13 row_shr:2 row_mask:0xf bank_mask:0xf
	v_max_i32_e32 v17, v17, v13
	v_cndmask_b32_e32 v13, v13, v17, vcc
	v_cmp_lt_u32_e32 vcc, 3, v16
	;; [unrolled: 5-line block ×3, first 2 shown]
	s_nop 0
	v_mov_b32_dpp v17, v13 row_shr:8 row_mask:0xf bank_mask:0xf
	v_max_i32_e32 v17, v17, v13
	v_cndmask_b32_e32 v13, v13, v17, vcc
	v_and_b32_e32 v17, 16, v15
	v_cmp_eq_u32_e32 vcc, 0, v17
	v_mov_b32_dpp v16, v13 row_bcast:15 row_mask:0xf bank_mask:0xf
	v_max_i32_e32 v16, v16, v13
	v_cndmask_b32_e32 v13, v16, v13, vcc
	v_cmp_lt_u32_e32 vcc, 31, v15
	v_and_b32_e32 v17, 64, v15
	v_mov_b32_dpp v16, v13 row_bcast:31 row_mask:0xf bank_mask:0xf
	v_max_i32_e32 v16, v16, v13
	v_cndmask_b32_e32 v13, v13, v16, vcc
	v_add_u32_e32 v16, -1, v15
	v_cmp_lt_i32_e32 vcc, v16, v17
	v_cndmask_b32_e32 v15, v16, v15, vcc
	v_lshlrev_b32_e32 v15, 2, v15
	ds_bpermute_b32 v13, v15, v13
	v_cmp_eq_u32_e32 vcc, 0, v0
	s_waitcnt lgkmcnt(0)
	v_max_i32_e32 v12, v13, v12
	v_cndmask_b32_e32 v11, v12, v11, vcc
	ds_write_b32 v14, v11
	; wave barrier
	ds_read_b32 v12, v14 offset:4
	s_waitcnt lgkmcnt(0)
	v_max_i32_e32 v11, v11, v12
	ds_write_b32 v14, v11 offset:4
.LBB3991_22:
	s_or_b64 exec, exec, s[0:1]
	v_mul_u32_u24_e32 v11, 36, v0
	v_cmp_ne_u32_e32 vcc, 0, v0
	v_mov_b32_e32 v12, s4
	s_waitcnt lgkmcnt(0)
	s_barrier
	s_and_saveexec_b64 s[0:1], vcc
	s_cbranch_execz .LBB3991_24
; %bb.23:
	v_add_u32_e32 v0, -1, v0
	v_lshrrev_b32_e32 v12, 5, v0
	v_add_lshl_u32 v0, v12, v0, 2
	ds_read_b32 v0, v0
	s_waitcnt lgkmcnt(0)
	v_max_i32_e32 v12, s4, v0
.LBB3991_24:
	s_or_b64 exec, exec, s[0:1]
	v_max_i32_e32 v13, v12, v6
	v_max_i32_e32 v6, v13, v7
	;; [unrolled: 1-line block ×8, first 2 shown]
	v_add_u32_e32 v0, v1, v11
	v_max_i32_e32 v5, v4, v10
	s_barrier
	ds_write2_b64 v0, v[12:13], v[6:7] offset1:1
	ds_write2_b64 v0, v[8:9], v[2:3] offset0:2 offset1:3
	ds_write_b64 v0, v[4:5] offset:32
	s_waitcnt lgkmcnt(0)
	s_barrier
	s_endpgm
	.section	.rodata,"a",@progbits
	.p2align	6, 0x0
	.amdhsa_kernel _ZN7rocprim17ROCPRIM_400000_NS6detail17trampoline_kernelINS0_14default_configENS1_20scan_config_selectorIiEEZZNS1_9scan_implILNS1_25lookback_scan_determinismE0ELb1ELb1ES3_N6thrust23THRUST_200600_302600_NS6detail15normal_iteratorINS9_10device_ptrIiEEEENS9_16discard_iteratorINS9_11use_defaultEEEi11max_functorIiEiEEDaPvRmT3_T4_T5_mT6_P12ihipStream_tbENKUlT_T0_E_clISt17integral_constantIbLb0EESW_IbLb1EEEEDaSS_ST_EUlSS_E0_NS1_11comp_targetILNS1_3genE4ELNS1_11target_archE910ELNS1_3gpuE8ELNS1_3repE0EEENS1_30default_config_static_selectorELNS0_4arch9wavefront6targetE1EEEvT1_
		.amdhsa_group_segment_fixed_size 5120
		.amdhsa_private_segment_fixed_size 0
		.amdhsa_kernarg_size 40
		.amdhsa_user_sgpr_count 6
		.amdhsa_user_sgpr_private_segment_buffer 1
		.amdhsa_user_sgpr_dispatch_ptr 0
		.amdhsa_user_sgpr_queue_ptr 0
		.amdhsa_user_sgpr_kernarg_segment_ptr 1
		.amdhsa_user_sgpr_dispatch_id 0
		.amdhsa_user_sgpr_flat_scratch_init 0
		.amdhsa_user_sgpr_kernarg_preload_length 0
		.amdhsa_user_sgpr_kernarg_preload_offset 0
		.amdhsa_user_sgpr_private_segment_size 0
		.amdhsa_uses_dynamic_stack 0
		.amdhsa_system_sgpr_private_segment_wavefront_offset 0
		.amdhsa_system_sgpr_workgroup_id_x 1
		.amdhsa_system_sgpr_workgroup_id_y 0
		.amdhsa_system_sgpr_workgroup_id_z 0
		.amdhsa_system_sgpr_workgroup_info 0
		.amdhsa_system_vgpr_workitem_id 0
		.amdhsa_next_free_vgpr 18
		.amdhsa_next_free_sgpr 8
		.amdhsa_accum_offset 20
		.amdhsa_reserve_vcc 1
		.amdhsa_reserve_flat_scratch 0
		.amdhsa_float_round_mode_32 0
		.amdhsa_float_round_mode_16_64 0
		.amdhsa_float_denorm_mode_32 3
		.amdhsa_float_denorm_mode_16_64 3
		.amdhsa_dx10_clamp 1
		.amdhsa_ieee_mode 1
		.amdhsa_fp16_overflow 0
		.amdhsa_tg_split 0
		.amdhsa_exception_fp_ieee_invalid_op 0
		.amdhsa_exception_fp_denorm_src 0
		.amdhsa_exception_fp_ieee_div_zero 0
		.amdhsa_exception_fp_ieee_overflow 0
		.amdhsa_exception_fp_ieee_underflow 0
		.amdhsa_exception_fp_ieee_inexact 0
		.amdhsa_exception_int_div_zero 0
	.end_amdhsa_kernel
	.section	.text._ZN7rocprim17ROCPRIM_400000_NS6detail17trampoline_kernelINS0_14default_configENS1_20scan_config_selectorIiEEZZNS1_9scan_implILNS1_25lookback_scan_determinismE0ELb1ELb1ES3_N6thrust23THRUST_200600_302600_NS6detail15normal_iteratorINS9_10device_ptrIiEEEENS9_16discard_iteratorINS9_11use_defaultEEEi11max_functorIiEiEEDaPvRmT3_T4_T5_mT6_P12ihipStream_tbENKUlT_T0_E_clISt17integral_constantIbLb0EESW_IbLb1EEEEDaSS_ST_EUlSS_E0_NS1_11comp_targetILNS1_3genE4ELNS1_11target_archE910ELNS1_3gpuE8ELNS1_3repE0EEENS1_30default_config_static_selectorELNS0_4arch9wavefront6targetE1EEEvT1_,"axG",@progbits,_ZN7rocprim17ROCPRIM_400000_NS6detail17trampoline_kernelINS0_14default_configENS1_20scan_config_selectorIiEEZZNS1_9scan_implILNS1_25lookback_scan_determinismE0ELb1ELb1ES3_N6thrust23THRUST_200600_302600_NS6detail15normal_iteratorINS9_10device_ptrIiEEEENS9_16discard_iteratorINS9_11use_defaultEEEi11max_functorIiEiEEDaPvRmT3_T4_T5_mT6_P12ihipStream_tbENKUlT_T0_E_clISt17integral_constantIbLb0EESW_IbLb1EEEEDaSS_ST_EUlSS_E0_NS1_11comp_targetILNS1_3genE4ELNS1_11target_archE910ELNS1_3gpuE8ELNS1_3repE0EEENS1_30default_config_static_selectorELNS0_4arch9wavefront6targetE1EEEvT1_,comdat
.Lfunc_end3991:
	.size	_ZN7rocprim17ROCPRIM_400000_NS6detail17trampoline_kernelINS0_14default_configENS1_20scan_config_selectorIiEEZZNS1_9scan_implILNS1_25lookback_scan_determinismE0ELb1ELb1ES3_N6thrust23THRUST_200600_302600_NS6detail15normal_iteratorINS9_10device_ptrIiEEEENS9_16discard_iteratorINS9_11use_defaultEEEi11max_functorIiEiEEDaPvRmT3_T4_T5_mT6_P12ihipStream_tbENKUlT_T0_E_clISt17integral_constantIbLb0EESW_IbLb1EEEEDaSS_ST_EUlSS_E0_NS1_11comp_targetILNS1_3genE4ELNS1_11target_archE910ELNS1_3gpuE8ELNS1_3repE0EEENS1_30default_config_static_selectorELNS0_4arch9wavefront6targetE1EEEvT1_, .Lfunc_end3991-_ZN7rocprim17ROCPRIM_400000_NS6detail17trampoline_kernelINS0_14default_configENS1_20scan_config_selectorIiEEZZNS1_9scan_implILNS1_25lookback_scan_determinismE0ELb1ELb1ES3_N6thrust23THRUST_200600_302600_NS6detail15normal_iteratorINS9_10device_ptrIiEEEENS9_16discard_iteratorINS9_11use_defaultEEEi11max_functorIiEiEEDaPvRmT3_T4_T5_mT6_P12ihipStream_tbENKUlT_T0_E_clISt17integral_constantIbLb0EESW_IbLb1EEEEDaSS_ST_EUlSS_E0_NS1_11comp_targetILNS1_3genE4ELNS1_11target_archE910ELNS1_3gpuE8ELNS1_3repE0EEENS1_30default_config_static_selectorELNS0_4arch9wavefront6targetE1EEEvT1_
                                        ; -- End function
	.section	.AMDGPU.csdata,"",@progbits
; Kernel info:
; codeLenInByte = 980
; NumSgprs: 12
; NumVgprs: 18
; NumAgprs: 0
; TotalNumVgprs: 18
; ScratchSize: 0
; MemoryBound: 0
; FloatMode: 240
; IeeeMode: 1
; LDSByteSize: 5120 bytes/workgroup (compile time only)
; SGPRBlocks: 1
; VGPRBlocks: 2
; NumSGPRsForWavesPerEU: 12
; NumVGPRsForWavesPerEU: 18
; AccumOffset: 20
; Occupancy: 6
; WaveLimiterHint : 0
; COMPUTE_PGM_RSRC2:SCRATCH_EN: 0
; COMPUTE_PGM_RSRC2:USER_SGPR: 6
; COMPUTE_PGM_RSRC2:TRAP_HANDLER: 0
; COMPUTE_PGM_RSRC2:TGID_X_EN: 1
; COMPUTE_PGM_RSRC2:TGID_Y_EN: 0
; COMPUTE_PGM_RSRC2:TGID_Z_EN: 0
; COMPUTE_PGM_RSRC2:TIDIG_COMP_CNT: 0
; COMPUTE_PGM_RSRC3_GFX90A:ACCUM_OFFSET: 4
; COMPUTE_PGM_RSRC3_GFX90A:TG_SPLIT: 0
	.section	.text._ZN7rocprim17ROCPRIM_400000_NS6detail17trampoline_kernelINS0_14default_configENS1_20scan_config_selectorIiEEZZNS1_9scan_implILNS1_25lookback_scan_determinismE0ELb1ELb1ES3_N6thrust23THRUST_200600_302600_NS6detail15normal_iteratorINS9_10device_ptrIiEEEENS9_16discard_iteratorINS9_11use_defaultEEEi11max_functorIiEiEEDaPvRmT3_T4_T5_mT6_P12ihipStream_tbENKUlT_T0_E_clISt17integral_constantIbLb0EESW_IbLb1EEEEDaSS_ST_EUlSS_E0_NS1_11comp_targetILNS1_3genE3ELNS1_11target_archE908ELNS1_3gpuE7ELNS1_3repE0EEENS1_30default_config_static_selectorELNS0_4arch9wavefront6targetE1EEEvT1_,"axG",@progbits,_ZN7rocprim17ROCPRIM_400000_NS6detail17trampoline_kernelINS0_14default_configENS1_20scan_config_selectorIiEEZZNS1_9scan_implILNS1_25lookback_scan_determinismE0ELb1ELb1ES3_N6thrust23THRUST_200600_302600_NS6detail15normal_iteratorINS9_10device_ptrIiEEEENS9_16discard_iteratorINS9_11use_defaultEEEi11max_functorIiEiEEDaPvRmT3_T4_T5_mT6_P12ihipStream_tbENKUlT_T0_E_clISt17integral_constantIbLb0EESW_IbLb1EEEEDaSS_ST_EUlSS_E0_NS1_11comp_targetILNS1_3genE3ELNS1_11target_archE908ELNS1_3gpuE7ELNS1_3repE0EEENS1_30default_config_static_selectorELNS0_4arch9wavefront6targetE1EEEvT1_,comdat
	.protected	_ZN7rocprim17ROCPRIM_400000_NS6detail17trampoline_kernelINS0_14default_configENS1_20scan_config_selectorIiEEZZNS1_9scan_implILNS1_25lookback_scan_determinismE0ELb1ELb1ES3_N6thrust23THRUST_200600_302600_NS6detail15normal_iteratorINS9_10device_ptrIiEEEENS9_16discard_iteratorINS9_11use_defaultEEEi11max_functorIiEiEEDaPvRmT3_T4_T5_mT6_P12ihipStream_tbENKUlT_T0_E_clISt17integral_constantIbLb0EESW_IbLb1EEEEDaSS_ST_EUlSS_E0_NS1_11comp_targetILNS1_3genE3ELNS1_11target_archE908ELNS1_3gpuE7ELNS1_3repE0EEENS1_30default_config_static_selectorELNS0_4arch9wavefront6targetE1EEEvT1_ ; -- Begin function _ZN7rocprim17ROCPRIM_400000_NS6detail17trampoline_kernelINS0_14default_configENS1_20scan_config_selectorIiEEZZNS1_9scan_implILNS1_25lookback_scan_determinismE0ELb1ELb1ES3_N6thrust23THRUST_200600_302600_NS6detail15normal_iteratorINS9_10device_ptrIiEEEENS9_16discard_iteratorINS9_11use_defaultEEEi11max_functorIiEiEEDaPvRmT3_T4_T5_mT6_P12ihipStream_tbENKUlT_T0_E_clISt17integral_constantIbLb0EESW_IbLb1EEEEDaSS_ST_EUlSS_E0_NS1_11comp_targetILNS1_3genE3ELNS1_11target_archE908ELNS1_3gpuE7ELNS1_3repE0EEENS1_30default_config_static_selectorELNS0_4arch9wavefront6targetE1EEEvT1_
	.globl	_ZN7rocprim17ROCPRIM_400000_NS6detail17trampoline_kernelINS0_14default_configENS1_20scan_config_selectorIiEEZZNS1_9scan_implILNS1_25lookback_scan_determinismE0ELb1ELb1ES3_N6thrust23THRUST_200600_302600_NS6detail15normal_iteratorINS9_10device_ptrIiEEEENS9_16discard_iteratorINS9_11use_defaultEEEi11max_functorIiEiEEDaPvRmT3_T4_T5_mT6_P12ihipStream_tbENKUlT_T0_E_clISt17integral_constantIbLb0EESW_IbLb1EEEEDaSS_ST_EUlSS_E0_NS1_11comp_targetILNS1_3genE3ELNS1_11target_archE908ELNS1_3gpuE7ELNS1_3repE0EEENS1_30default_config_static_selectorELNS0_4arch9wavefront6targetE1EEEvT1_
	.p2align	8
	.type	_ZN7rocprim17ROCPRIM_400000_NS6detail17trampoline_kernelINS0_14default_configENS1_20scan_config_selectorIiEEZZNS1_9scan_implILNS1_25lookback_scan_determinismE0ELb1ELb1ES3_N6thrust23THRUST_200600_302600_NS6detail15normal_iteratorINS9_10device_ptrIiEEEENS9_16discard_iteratorINS9_11use_defaultEEEi11max_functorIiEiEEDaPvRmT3_T4_T5_mT6_P12ihipStream_tbENKUlT_T0_E_clISt17integral_constantIbLb0EESW_IbLb1EEEEDaSS_ST_EUlSS_E0_NS1_11comp_targetILNS1_3genE3ELNS1_11target_archE908ELNS1_3gpuE7ELNS1_3repE0EEENS1_30default_config_static_selectorELNS0_4arch9wavefront6targetE1EEEvT1_,@function
_ZN7rocprim17ROCPRIM_400000_NS6detail17trampoline_kernelINS0_14default_configENS1_20scan_config_selectorIiEEZZNS1_9scan_implILNS1_25lookback_scan_determinismE0ELb1ELb1ES3_N6thrust23THRUST_200600_302600_NS6detail15normal_iteratorINS9_10device_ptrIiEEEENS9_16discard_iteratorINS9_11use_defaultEEEi11max_functorIiEiEEDaPvRmT3_T4_T5_mT6_P12ihipStream_tbENKUlT_T0_E_clISt17integral_constantIbLb0EESW_IbLb1EEEEDaSS_ST_EUlSS_E0_NS1_11comp_targetILNS1_3genE3ELNS1_11target_archE908ELNS1_3gpuE7ELNS1_3repE0EEENS1_30default_config_static_selectorELNS0_4arch9wavefront6targetE1EEEvT1_: ; @_ZN7rocprim17ROCPRIM_400000_NS6detail17trampoline_kernelINS0_14default_configENS1_20scan_config_selectorIiEEZZNS1_9scan_implILNS1_25lookback_scan_determinismE0ELb1ELb1ES3_N6thrust23THRUST_200600_302600_NS6detail15normal_iteratorINS9_10device_ptrIiEEEENS9_16discard_iteratorINS9_11use_defaultEEEi11max_functorIiEiEEDaPvRmT3_T4_T5_mT6_P12ihipStream_tbENKUlT_T0_E_clISt17integral_constantIbLb0EESW_IbLb1EEEEDaSS_ST_EUlSS_E0_NS1_11comp_targetILNS1_3genE3ELNS1_11target_archE908ELNS1_3gpuE7ELNS1_3repE0EEENS1_30default_config_static_selectorELNS0_4arch9wavefront6targetE1EEEvT1_
; %bb.0:
	.section	.rodata,"a",@progbits
	.p2align	6, 0x0
	.amdhsa_kernel _ZN7rocprim17ROCPRIM_400000_NS6detail17trampoline_kernelINS0_14default_configENS1_20scan_config_selectorIiEEZZNS1_9scan_implILNS1_25lookback_scan_determinismE0ELb1ELb1ES3_N6thrust23THRUST_200600_302600_NS6detail15normal_iteratorINS9_10device_ptrIiEEEENS9_16discard_iteratorINS9_11use_defaultEEEi11max_functorIiEiEEDaPvRmT3_T4_T5_mT6_P12ihipStream_tbENKUlT_T0_E_clISt17integral_constantIbLb0EESW_IbLb1EEEEDaSS_ST_EUlSS_E0_NS1_11comp_targetILNS1_3genE3ELNS1_11target_archE908ELNS1_3gpuE7ELNS1_3repE0EEENS1_30default_config_static_selectorELNS0_4arch9wavefront6targetE1EEEvT1_
		.amdhsa_group_segment_fixed_size 0
		.amdhsa_private_segment_fixed_size 0
		.amdhsa_kernarg_size 40
		.amdhsa_user_sgpr_count 6
		.amdhsa_user_sgpr_private_segment_buffer 1
		.amdhsa_user_sgpr_dispatch_ptr 0
		.amdhsa_user_sgpr_queue_ptr 0
		.amdhsa_user_sgpr_kernarg_segment_ptr 1
		.amdhsa_user_sgpr_dispatch_id 0
		.amdhsa_user_sgpr_flat_scratch_init 0
		.amdhsa_user_sgpr_kernarg_preload_length 0
		.amdhsa_user_sgpr_kernarg_preload_offset 0
		.amdhsa_user_sgpr_private_segment_size 0
		.amdhsa_uses_dynamic_stack 0
		.amdhsa_system_sgpr_private_segment_wavefront_offset 0
		.amdhsa_system_sgpr_workgroup_id_x 1
		.amdhsa_system_sgpr_workgroup_id_y 0
		.amdhsa_system_sgpr_workgroup_id_z 0
		.amdhsa_system_sgpr_workgroup_info 0
		.amdhsa_system_vgpr_workitem_id 0
		.amdhsa_next_free_vgpr 1
		.amdhsa_next_free_sgpr 0
		.amdhsa_accum_offset 4
		.amdhsa_reserve_vcc 0
		.amdhsa_reserve_flat_scratch 0
		.amdhsa_float_round_mode_32 0
		.amdhsa_float_round_mode_16_64 0
		.amdhsa_float_denorm_mode_32 3
		.amdhsa_float_denorm_mode_16_64 3
		.amdhsa_dx10_clamp 1
		.amdhsa_ieee_mode 1
		.amdhsa_fp16_overflow 0
		.amdhsa_tg_split 0
		.amdhsa_exception_fp_ieee_invalid_op 0
		.amdhsa_exception_fp_denorm_src 0
		.amdhsa_exception_fp_ieee_div_zero 0
		.amdhsa_exception_fp_ieee_overflow 0
		.amdhsa_exception_fp_ieee_underflow 0
		.amdhsa_exception_fp_ieee_inexact 0
		.amdhsa_exception_int_div_zero 0
	.end_amdhsa_kernel
	.section	.text._ZN7rocprim17ROCPRIM_400000_NS6detail17trampoline_kernelINS0_14default_configENS1_20scan_config_selectorIiEEZZNS1_9scan_implILNS1_25lookback_scan_determinismE0ELb1ELb1ES3_N6thrust23THRUST_200600_302600_NS6detail15normal_iteratorINS9_10device_ptrIiEEEENS9_16discard_iteratorINS9_11use_defaultEEEi11max_functorIiEiEEDaPvRmT3_T4_T5_mT6_P12ihipStream_tbENKUlT_T0_E_clISt17integral_constantIbLb0EESW_IbLb1EEEEDaSS_ST_EUlSS_E0_NS1_11comp_targetILNS1_3genE3ELNS1_11target_archE908ELNS1_3gpuE7ELNS1_3repE0EEENS1_30default_config_static_selectorELNS0_4arch9wavefront6targetE1EEEvT1_,"axG",@progbits,_ZN7rocprim17ROCPRIM_400000_NS6detail17trampoline_kernelINS0_14default_configENS1_20scan_config_selectorIiEEZZNS1_9scan_implILNS1_25lookback_scan_determinismE0ELb1ELb1ES3_N6thrust23THRUST_200600_302600_NS6detail15normal_iteratorINS9_10device_ptrIiEEEENS9_16discard_iteratorINS9_11use_defaultEEEi11max_functorIiEiEEDaPvRmT3_T4_T5_mT6_P12ihipStream_tbENKUlT_T0_E_clISt17integral_constantIbLb0EESW_IbLb1EEEEDaSS_ST_EUlSS_E0_NS1_11comp_targetILNS1_3genE3ELNS1_11target_archE908ELNS1_3gpuE7ELNS1_3repE0EEENS1_30default_config_static_selectorELNS0_4arch9wavefront6targetE1EEEvT1_,comdat
.Lfunc_end3992:
	.size	_ZN7rocprim17ROCPRIM_400000_NS6detail17trampoline_kernelINS0_14default_configENS1_20scan_config_selectorIiEEZZNS1_9scan_implILNS1_25lookback_scan_determinismE0ELb1ELb1ES3_N6thrust23THRUST_200600_302600_NS6detail15normal_iteratorINS9_10device_ptrIiEEEENS9_16discard_iteratorINS9_11use_defaultEEEi11max_functorIiEiEEDaPvRmT3_T4_T5_mT6_P12ihipStream_tbENKUlT_T0_E_clISt17integral_constantIbLb0EESW_IbLb1EEEEDaSS_ST_EUlSS_E0_NS1_11comp_targetILNS1_3genE3ELNS1_11target_archE908ELNS1_3gpuE7ELNS1_3repE0EEENS1_30default_config_static_selectorELNS0_4arch9wavefront6targetE1EEEvT1_, .Lfunc_end3992-_ZN7rocprim17ROCPRIM_400000_NS6detail17trampoline_kernelINS0_14default_configENS1_20scan_config_selectorIiEEZZNS1_9scan_implILNS1_25lookback_scan_determinismE0ELb1ELb1ES3_N6thrust23THRUST_200600_302600_NS6detail15normal_iteratorINS9_10device_ptrIiEEEENS9_16discard_iteratorINS9_11use_defaultEEEi11max_functorIiEiEEDaPvRmT3_T4_T5_mT6_P12ihipStream_tbENKUlT_T0_E_clISt17integral_constantIbLb0EESW_IbLb1EEEEDaSS_ST_EUlSS_E0_NS1_11comp_targetILNS1_3genE3ELNS1_11target_archE908ELNS1_3gpuE7ELNS1_3repE0EEENS1_30default_config_static_selectorELNS0_4arch9wavefront6targetE1EEEvT1_
                                        ; -- End function
	.section	.AMDGPU.csdata,"",@progbits
; Kernel info:
; codeLenInByte = 0
; NumSgprs: 4
; NumVgprs: 0
; NumAgprs: 0
; TotalNumVgprs: 0
; ScratchSize: 0
; MemoryBound: 0
; FloatMode: 240
; IeeeMode: 1
; LDSByteSize: 0 bytes/workgroup (compile time only)
; SGPRBlocks: 0
; VGPRBlocks: 0
; NumSGPRsForWavesPerEU: 4
; NumVGPRsForWavesPerEU: 1
; AccumOffset: 4
; Occupancy: 8
; WaveLimiterHint : 0
; COMPUTE_PGM_RSRC2:SCRATCH_EN: 0
; COMPUTE_PGM_RSRC2:USER_SGPR: 6
; COMPUTE_PGM_RSRC2:TRAP_HANDLER: 0
; COMPUTE_PGM_RSRC2:TGID_X_EN: 1
; COMPUTE_PGM_RSRC2:TGID_Y_EN: 0
; COMPUTE_PGM_RSRC2:TGID_Z_EN: 0
; COMPUTE_PGM_RSRC2:TIDIG_COMP_CNT: 0
; COMPUTE_PGM_RSRC3_GFX90A:ACCUM_OFFSET: 0
; COMPUTE_PGM_RSRC3_GFX90A:TG_SPLIT: 0
	.section	.text._ZN7rocprim17ROCPRIM_400000_NS6detail17trampoline_kernelINS0_14default_configENS1_20scan_config_selectorIiEEZZNS1_9scan_implILNS1_25lookback_scan_determinismE0ELb1ELb1ES3_N6thrust23THRUST_200600_302600_NS6detail15normal_iteratorINS9_10device_ptrIiEEEENS9_16discard_iteratorINS9_11use_defaultEEEi11max_functorIiEiEEDaPvRmT3_T4_T5_mT6_P12ihipStream_tbENKUlT_T0_E_clISt17integral_constantIbLb0EESW_IbLb1EEEEDaSS_ST_EUlSS_E0_NS1_11comp_targetILNS1_3genE2ELNS1_11target_archE906ELNS1_3gpuE6ELNS1_3repE0EEENS1_30default_config_static_selectorELNS0_4arch9wavefront6targetE1EEEvT1_,"axG",@progbits,_ZN7rocprim17ROCPRIM_400000_NS6detail17trampoline_kernelINS0_14default_configENS1_20scan_config_selectorIiEEZZNS1_9scan_implILNS1_25lookback_scan_determinismE0ELb1ELb1ES3_N6thrust23THRUST_200600_302600_NS6detail15normal_iteratorINS9_10device_ptrIiEEEENS9_16discard_iteratorINS9_11use_defaultEEEi11max_functorIiEiEEDaPvRmT3_T4_T5_mT6_P12ihipStream_tbENKUlT_T0_E_clISt17integral_constantIbLb0EESW_IbLb1EEEEDaSS_ST_EUlSS_E0_NS1_11comp_targetILNS1_3genE2ELNS1_11target_archE906ELNS1_3gpuE6ELNS1_3repE0EEENS1_30default_config_static_selectorELNS0_4arch9wavefront6targetE1EEEvT1_,comdat
	.protected	_ZN7rocprim17ROCPRIM_400000_NS6detail17trampoline_kernelINS0_14default_configENS1_20scan_config_selectorIiEEZZNS1_9scan_implILNS1_25lookback_scan_determinismE0ELb1ELb1ES3_N6thrust23THRUST_200600_302600_NS6detail15normal_iteratorINS9_10device_ptrIiEEEENS9_16discard_iteratorINS9_11use_defaultEEEi11max_functorIiEiEEDaPvRmT3_T4_T5_mT6_P12ihipStream_tbENKUlT_T0_E_clISt17integral_constantIbLb0EESW_IbLb1EEEEDaSS_ST_EUlSS_E0_NS1_11comp_targetILNS1_3genE2ELNS1_11target_archE906ELNS1_3gpuE6ELNS1_3repE0EEENS1_30default_config_static_selectorELNS0_4arch9wavefront6targetE1EEEvT1_ ; -- Begin function _ZN7rocprim17ROCPRIM_400000_NS6detail17trampoline_kernelINS0_14default_configENS1_20scan_config_selectorIiEEZZNS1_9scan_implILNS1_25lookback_scan_determinismE0ELb1ELb1ES3_N6thrust23THRUST_200600_302600_NS6detail15normal_iteratorINS9_10device_ptrIiEEEENS9_16discard_iteratorINS9_11use_defaultEEEi11max_functorIiEiEEDaPvRmT3_T4_T5_mT6_P12ihipStream_tbENKUlT_T0_E_clISt17integral_constantIbLb0EESW_IbLb1EEEEDaSS_ST_EUlSS_E0_NS1_11comp_targetILNS1_3genE2ELNS1_11target_archE906ELNS1_3gpuE6ELNS1_3repE0EEENS1_30default_config_static_selectorELNS0_4arch9wavefront6targetE1EEEvT1_
	.globl	_ZN7rocprim17ROCPRIM_400000_NS6detail17trampoline_kernelINS0_14default_configENS1_20scan_config_selectorIiEEZZNS1_9scan_implILNS1_25lookback_scan_determinismE0ELb1ELb1ES3_N6thrust23THRUST_200600_302600_NS6detail15normal_iteratorINS9_10device_ptrIiEEEENS9_16discard_iteratorINS9_11use_defaultEEEi11max_functorIiEiEEDaPvRmT3_T4_T5_mT6_P12ihipStream_tbENKUlT_T0_E_clISt17integral_constantIbLb0EESW_IbLb1EEEEDaSS_ST_EUlSS_E0_NS1_11comp_targetILNS1_3genE2ELNS1_11target_archE906ELNS1_3gpuE6ELNS1_3repE0EEENS1_30default_config_static_selectorELNS0_4arch9wavefront6targetE1EEEvT1_
	.p2align	8
	.type	_ZN7rocprim17ROCPRIM_400000_NS6detail17trampoline_kernelINS0_14default_configENS1_20scan_config_selectorIiEEZZNS1_9scan_implILNS1_25lookback_scan_determinismE0ELb1ELb1ES3_N6thrust23THRUST_200600_302600_NS6detail15normal_iteratorINS9_10device_ptrIiEEEENS9_16discard_iteratorINS9_11use_defaultEEEi11max_functorIiEiEEDaPvRmT3_T4_T5_mT6_P12ihipStream_tbENKUlT_T0_E_clISt17integral_constantIbLb0EESW_IbLb1EEEEDaSS_ST_EUlSS_E0_NS1_11comp_targetILNS1_3genE2ELNS1_11target_archE906ELNS1_3gpuE6ELNS1_3repE0EEENS1_30default_config_static_selectorELNS0_4arch9wavefront6targetE1EEEvT1_,@function
_ZN7rocprim17ROCPRIM_400000_NS6detail17trampoline_kernelINS0_14default_configENS1_20scan_config_selectorIiEEZZNS1_9scan_implILNS1_25lookback_scan_determinismE0ELb1ELb1ES3_N6thrust23THRUST_200600_302600_NS6detail15normal_iteratorINS9_10device_ptrIiEEEENS9_16discard_iteratorINS9_11use_defaultEEEi11max_functorIiEiEEDaPvRmT3_T4_T5_mT6_P12ihipStream_tbENKUlT_T0_E_clISt17integral_constantIbLb0EESW_IbLb1EEEEDaSS_ST_EUlSS_E0_NS1_11comp_targetILNS1_3genE2ELNS1_11target_archE906ELNS1_3gpuE6ELNS1_3repE0EEENS1_30default_config_static_selectorELNS0_4arch9wavefront6targetE1EEEvT1_: ; @_ZN7rocprim17ROCPRIM_400000_NS6detail17trampoline_kernelINS0_14default_configENS1_20scan_config_selectorIiEEZZNS1_9scan_implILNS1_25lookback_scan_determinismE0ELb1ELb1ES3_N6thrust23THRUST_200600_302600_NS6detail15normal_iteratorINS9_10device_ptrIiEEEENS9_16discard_iteratorINS9_11use_defaultEEEi11max_functorIiEiEEDaPvRmT3_T4_T5_mT6_P12ihipStream_tbENKUlT_T0_E_clISt17integral_constantIbLb0EESW_IbLb1EEEEDaSS_ST_EUlSS_E0_NS1_11comp_targetILNS1_3genE2ELNS1_11target_archE906ELNS1_3gpuE6ELNS1_3repE0EEENS1_30default_config_static_selectorELNS0_4arch9wavefront6targetE1EEEvT1_
; %bb.0:
	.section	.rodata,"a",@progbits
	.p2align	6, 0x0
	.amdhsa_kernel _ZN7rocprim17ROCPRIM_400000_NS6detail17trampoline_kernelINS0_14default_configENS1_20scan_config_selectorIiEEZZNS1_9scan_implILNS1_25lookback_scan_determinismE0ELb1ELb1ES3_N6thrust23THRUST_200600_302600_NS6detail15normal_iteratorINS9_10device_ptrIiEEEENS9_16discard_iteratorINS9_11use_defaultEEEi11max_functorIiEiEEDaPvRmT3_T4_T5_mT6_P12ihipStream_tbENKUlT_T0_E_clISt17integral_constantIbLb0EESW_IbLb1EEEEDaSS_ST_EUlSS_E0_NS1_11comp_targetILNS1_3genE2ELNS1_11target_archE906ELNS1_3gpuE6ELNS1_3repE0EEENS1_30default_config_static_selectorELNS0_4arch9wavefront6targetE1EEEvT1_
		.amdhsa_group_segment_fixed_size 0
		.amdhsa_private_segment_fixed_size 0
		.amdhsa_kernarg_size 40
		.amdhsa_user_sgpr_count 6
		.amdhsa_user_sgpr_private_segment_buffer 1
		.amdhsa_user_sgpr_dispatch_ptr 0
		.amdhsa_user_sgpr_queue_ptr 0
		.amdhsa_user_sgpr_kernarg_segment_ptr 1
		.amdhsa_user_sgpr_dispatch_id 0
		.amdhsa_user_sgpr_flat_scratch_init 0
		.amdhsa_user_sgpr_kernarg_preload_length 0
		.amdhsa_user_sgpr_kernarg_preload_offset 0
		.amdhsa_user_sgpr_private_segment_size 0
		.amdhsa_uses_dynamic_stack 0
		.amdhsa_system_sgpr_private_segment_wavefront_offset 0
		.amdhsa_system_sgpr_workgroup_id_x 1
		.amdhsa_system_sgpr_workgroup_id_y 0
		.amdhsa_system_sgpr_workgroup_id_z 0
		.amdhsa_system_sgpr_workgroup_info 0
		.amdhsa_system_vgpr_workitem_id 0
		.amdhsa_next_free_vgpr 1
		.amdhsa_next_free_sgpr 0
		.amdhsa_accum_offset 4
		.amdhsa_reserve_vcc 0
		.amdhsa_reserve_flat_scratch 0
		.amdhsa_float_round_mode_32 0
		.amdhsa_float_round_mode_16_64 0
		.amdhsa_float_denorm_mode_32 3
		.amdhsa_float_denorm_mode_16_64 3
		.amdhsa_dx10_clamp 1
		.amdhsa_ieee_mode 1
		.amdhsa_fp16_overflow 0
		.amdhsa_tg_split 0
		.amdhsa_exception_fp_ieee_invalid_op 0
		.amdhsa_exception_fp_denorm_src 0
		.amdhsa_exception_fp_ieee_div_zero 0
		.amdhsa_exception_fp_ieee_overflow 0
		.amdhsa_exception_fp_ieee_underflow 0
		.amdhsa_exception_fp_ieee_inexact 0
		.amdhsa_exception_int_div_zero 0
	.end_amdhsa_kernel
	.section	.text._ZN7rocprim17ROCPRIM_400000_NS6detail17trampoline_kernelINS0_14default_configENS1_20scan_config_selectorIiEEZZNS1_9scan_implILNS1_25lookback_scan_determinismE0ELb1ELb1ES3_N6thrust23THRUST_200600_302600_NS6detail15normal_iteratorINS9_10device_ptrIiEEEENS9_16discard_iteratorINS9_11use_defaultEEEi11max_functorIiEiEEDaPvRmT3_T4_T5_mT6_P12ihipStream_tbENKUlT_T0_E_clISt17integral_constantIbLb0EESW_IbLb1EEEEDaSS_ST_EUlSS_E0_NS1_11comp_targetILNS1_3genE2ELNS1_11target_archE906ELNS1_3gpuE6ELNS1_3repE0EEENS1_30default_config_static_selectorELNS0_4arch9wavefront6targetE1EEEvT1_,"axG",@progbits,_ZN7rocprim17ROCPRIM_400000_NS6detail17trampoline_kernelINS0_14default_configENS1_20scan_config_selectorIiEEZZNS1_9scan_implILNS1_25lookback_scan_determinismE0ELb1ELb1ES3_N6thrust23THRUST_200600_302600_NS6detail15normal_iteratorINS9_10device_ptrIiEEEENS9_16discard_iteratorINS9_11use_defaultEEEi11max_functorIiEiEEDaPvRmT3_T4_T5_mT6_P12ihipStream_tbENKUlT_T0_E_clISt17integral_constantIbLb0EESW_IbLb1EEEEDaSS_ST_EUlSS_E0_NS1_11comp_targetILNS1_3genE2ELNS1_11target_archE906ELNS1_3gpuE6ELNS1_3repE0EEENS1_30default_config_static_selectorELNS0_4arch9wavefront6targetE1EEEvT1_,comdat
.Lfunc_end3993:
	.size	_ZN7rocprim17ROCPRIM_400000_NS6detail17trampoline_kernelINS0_14default_configENS1_20scan_config_selectorIiEEZZNS1_9scan_implILNS1_25lookback_scan_determinismE0ELb1ELb1ES3_N6thrust23THRUST_200600_302600_NS6detail15normal_iteratorINS9_10device_ptrIiEEEENS9_16discard_iteratorINS9_11use_defaultEEEi11max_functorIiEiEEDaPvRmT3_T4_T5_mT6_P12ihipStream_tbENKUlT_T0_E_clISt17integral_constantIbLb0EESW_IbLb1EEEEDaSS_ST_EUlSS_E0_NS1_11comp_targetILNS1_3genE2ELNS1_11target_archE906ELNS1_3gpuE6ELNS1_3repE0EEENS1_30default_config_static_selectorELNS0_4arch9wavefront6targetE1EEEvT1_, .Lfunc_end3993-_ZN7rocprim17ROCPRIM_400000_NS6detail17trampoline_kernelINS0_14default_configENS1_20scan_config_selectorIiEEZZNS1_9scan_implILNS1_25lookback_scan_determinismE0ELb1ELb1ES3_N6thrust23THRUST_200600_302600_NS6detail15normal_iteratorINS9_10device_ptrIiEEEENS9_16discard_iteratorINS9_11use_defaultEEEi11max_functorIiEiEEDaPvRmT3_T4_T5_mT6_P12ihipStream_tbENKUlT_T0_E_clISt17integral_constantIbLb0EESW_IbLb1EEEEDaSS_ST_EUlSS_E0_NS1_11comp_targetILNS1_3genE2ELNS1_11target_archE906ELNS1_3gpuE6ELNS1_3repE0EEENS1_30default_config_static_selectorELNS0_4arch9wavefront6targetE1EEEvT1_
                                        ; -- End function
	.section	.AMDGPU.csdata,"",@progbits
; Kernel info:
; codeLenInByte = 0
; NumSgprs: 4
; NumVgprs: 0
; NumAgprs: 0
; TotalNumVgprs: 0
; ScratchSize: 0
; MemoryBound: 0
; FloatMode: 240
; IeeeMode: 1
; LDSByteSize: 0 bytes/workgroup (compile time only)
; SGPRBlocks: 0
; VGPRBlocks: 0
; NumSGPRsForWavesPerEU: 4
; NumVGPRsForWavesPerEU: 1
; AccumOffset: 4
; Occupancy: 8
; WaveLimiterHint : 0
; COMPUTE_PGM_RSRC2:SCRATCH_EN: 0
; COMPUTE_PGM_RSRC2:USER_SGPR: 6
; COMPUTE_PGM_RSRC2:TRAP_HANDLER: 0
; COMPUTE_PGM_RSRC2:TGID_X_EN: 1
; COMPUTE_PGM_RSRC2:TGID_Y_EN: 0
; COMPUTE_PGM_RSRC2:TGID_Z_EN: 0
; COMPUTE_PGM_RSRC2:TIDIG_COMP_CNT: 0
; COMPUTE_PGM_RSRC3_GFX90A:ACCUM_OFFSET: 0
; COMPUTE_PGM_RSRC3_GFX90A:TG_SPLIT: 0
	.section	.text._ZN7rocprim17ROCPRIM_400000_NS6detail17trampoline_kernelINS0_14default_configENS1_20scan_config_selectorIiEEZZNS1_9scan_implILNS1_25lookback_scan_determinismE0ELb1ELb1ES3_N6thrust23THRUST_200600_302600_NS6detail15normal_iteratorINS9_10device_ptrIiEEEENS9_16discard_iteratorINS9_11use_defaultEEEi11max_functorIiEiEEDaPvRmT3_T4_T5_mT6_P12ihipStream_tbENKUlT_T0_E_clISt17integral_constantIbLb0EESW_IbLb1EEEEDaSS_ST_EUlSS_E0_NS1_11comp_targetILNS1_3genE10ELNS1_11target_archE1201ELNS1_3gpuE5ELNS1_3repE0EEENS1_30default_config_static_selectorELNS0_4arch9wavefront6targetE1EEEvT1_,"axG",@progbits,_ZN7rocprim17ROCPRIM_400000_NS6detail17trampoline_kernelINS0_14default_configENS1_20scan_config_selectorIiEEZZNS1_9scan_implILNS1_25lookback_scan_determinismE0ELb1ELb1ES3_N6thrust23THRUST_200600_302600_NS6detail15normal_iteratorINS9_10device_ptrIiEEEENS9_16discard_iteratorINS9_11use_defaultEEEi11max_functorIiEiEEDaPvRmT3_T4_T5_mT6_P12ihipStream_tbENKUlT_T0_E_clISt17integral_constantIbLb0EESW_IbLb1EEEEDaSS_ST_EUlSS_E0_NS1_11comp_targetILNS1_3genE10ELNS1_11target_archE1201ELNS1_3gpuE5ELNS1_3repE0EEENS1_30default_config_static_selectorELNS0_4arch9wavefront6targetE1EEEvT1_,comdat
	.protected	_ZN7rocprim17ROCPRIM_400000_NS6detail17trampoline_kernelINS0_14default_configENS1_20scan_config_selectorIiEEZZNS1_9scan_implILNS1_25lookback_scan_determinismE0ELb1ELb1ES3_N6thrust23THRUST_200600_302600_NS6detail15normal_iteratorINS9_10device_ptrIiEEEENS9_16discard_iteratorINS9_11use_defaultEEEi11max_functorIiEiEEDaPvRmT3_T4_T5_mT6_P12ihipStream_tbENKUlT_T0_E_clISt17integral_constantIbLb0EESW_IbLb1EEEEDaSS_ST_EUlSS_E0_NS1_11comp_targetILNS1_3genE10ELNS1_11target_archE1201ELNS1_3gpuE5ELNS1_3repE0EEENS1_30default_config_static_selectorELNS0_4arch9wavefront6targetE1EEEvT1_ ; -- Begin function _ZN7rocprim17ROCPRIM_400000_NS6detail17trampoline_kernelINS0_14default_configENS1_20scan_config_selectorIiEEZZNS1_9scan_implILNS1_25lookback_scan_determinismE0ELb1ELb1ES3_N6thrust23THRUST_200600_302600_NS6detail15normal_iteratorINS9_10device_ptrIiEEEENS9_16discard_iteratorINS9_11use_defaultEEEi11max_functorIiEiEEDaPvRmT3_T4_T5_mT6_P12ihipStream_tbENKUlT_T0_E_clISt17integral_constantIbLb0EESW_IbLb1EEEEDaSS_ST_EUlSS_E0_NS1_11comp_targetILNS1_3genE10ELNS1_11target_archE1201ELNS1_3gpuE5ELNS1_3repE0EEENS1_30default_config_static_selectorELNS0_4arch9wavefront6targetE1EEEvT1_
	.globl	_ZN7rocprim17ROCPRIM_400000_NS6detail17trampoline_kernelINS0_14default_configENS1_20scan_config_selectorIiEEZZNS1_9scan_implILNS1_25lookback_scan_determinismE0ELb1ELb1ES3_N6thrust23THRUST_200600_302600_NS6detail15normal_iteratorINS9_10device_ptrIiEEEENS9_16discard_iteratorINS9_11use_defaultEEEi11max_functorIiEiEEDaPvRmT3_T4_T5_mT6_P12ihipStream_tbENKUlT_T0_E_clISt17integral_constantIbLb0EESW_IbLb1EEEEDaSS_ST_EUlSS_E0_NS1_11comp_targetILNS1_3genE10ELNS1_11target_archE1201ELNS1_3gpuE5ELNS1_3repE0EEENS1_30default_config_static_selectorELNS0_4arch9wavefront6targetE1EEEvT1_
	.p2align	8
	.type	_ZN7rocprim17ROCPRIM_400000_NS6detail17trampoline_kernelINS0_14default_configENS1_20scan_config_selectorIiEEZZNS1_9scan_implILNS1_25lookback_scan_determinismE0ELb1ELb1ES3_N6thrust23THRUST_200600_302600_NS6detail15normal_iteratorINS9_10device_ptrIiEEEENS9_16discard_iteratorINS9_11use_defaultEEEi11max_functorIiEiEEDaPvRmT3_T4_T5_mT6_P12ihipStream_tbENKUlT_T0_E_clISt17integral_constantIbLb0EESW_IbLb1EEEEDaSS_ST_EUlSS_E0_NS1_11comp_targetILNS1_3genE10ELNS1_11target_archE1201ELNS1_3gpuE5ELNS1_3repE0EEENS1_30default_config_static_selectorELNS0_4arch9wavefront6targetE1EEEvT1_,@function
_ZN7rocprim17ROCPRIM_400000_NS6detail17trampoline_kernelINS0_14default_configENS1_20scan_config_selectorIiEEZZNS1_9scan_implILNS1_25lookback_scan_determinismE0ELb1ELb1ES3_N6thrust23THRUST_200600_302600_NS6detail15normal_iteratorINS9_10device_ptrIiEEEENS9_16discard_iteratorINS9_11use_defaultEEEi11max_functorIiEiEEDaPvRmT3_T4_T5_mT6_P12ihipStream_tbENKUlT_T0_E_clISt17integral_constantIbLb0EESW_IbLb1EEEEDaSS_ST_EUlSS_E0_NS1_11comp_targetILNS1_3genE10ELNS1_11target_archE1201ELNS1_3gpuE5ELNS1_3repE0EEENS1_30default_config_static_selectorELNS0_4arch9wavefront6targetE1EEEvT1_: ; @_ZN7rocprim17ROCPRIM_400000_NS6detail17trampoline_kernelINS0_14default_configENS1_20scan_config_selectorIiEEZZNS1_9scan_implILNS1_25lookback_scan_determinismE0ELb1ELb1ES3_N6thrust23THRUST_200600_302600_NS6detail15normal_iteratorINS9_10device_ptrIiEEEENS9_16discard_iteratorINS9_11use_defaultEEEi11max_functorIiEiEEDaPvRmT3_T4_T5_mT6_P12ihipStream_tbENKUlT_T0_E_clISt17integral_constantIbLb0EESW_IbLb1EEEEDaSS_ST_EUlSS_E0_NS1_11comp_targetILNS1_3genE10ELNS1_11target_archE1201ELNS1_3gpuE5ELNS1_3repE0EEENS1_30default_config_static_selectorELNS0_4arch9wavefront6targetE1EEEvT1_
; %bb.0:
	.section	.rodata,"a",@progbits
	.p2align	6, 0x0
	.amdhsa_kernel _ZN7rocprim17ROCPRIM_400000_NS6detail17trampoline_kernelINS0_14default_configENS1_20scan_config_selectorIiEEZZNS1_9scan_implILNS1_25lookback_scan_determinismE0ELb1ELb1ES3_N6thrust23THRUST_200600_302600_NS6detail15normal_iteratorINS9_10device_ptrIiEEEENS9_16discard_iteratorINS9_11use_defaultEEEi11max_functorIiEiEEDaPvRmT3_T4_T5_mT6_P12ihipStream_tbENKUlT_T0_E_clISt17integral_constantIbLb0EESW_IbLb1EEEEDaSS_ST_EUlSS_E0_NS1_11comp_targetILNS1_3genE10ELNS1_11target_archE1201ELNS1_3gpuE5ELNS1_3repE0EEENS1_30default_config_static_selectorELNS0_4arch9wavefront6targetE1EEEvT1_
		.amdhsa_group_segment_fixed_size 0
		.amdhsa_private_segment_fixed_size 0
		.amdhsa_kernarg_size 40
		.amdhsa_user_sgpr_count 6
		.amdhsa_user_sgpr_private_segment_buffer 1
		.amdhsa_user_sgpr_dispatch_ptr 0
		.amdhsa_user_sgpr_queue_ptr 0
		.amdhsa_user_sgpr_kernarg_segment_ptr 1
		.amdhsa_user_sgpr_dispatch_id 0
		.amdhsa_user_sgpr_flat_scratch_init 0
		.amdhsa_user_sgpr_kernarg_preload_length 0
		.amdhsa_user_sgpr_kernarg_preload_offset 0
		.amdhsa_user_sgpr_private_segment_size 0
		.amdhsa_uses_dynamic_stack 0
		.amdhsa_system_sgpr_private_segment_wavefront_offset 0
		.amdhsa_system_sgpr_workgroup_id_x 1
		.amdhsa_system_sgpr_workgroup_id_y 0
		.amdhsa_system_sgpr_workgroup_id_z 0
		.amdhsa_system_sgpr_workgroup_info 0
		.amdhsa_system_vgpr_workitem_id 0
		.amdhsa_next_free_vgpr 1
		.amdhsa_next_free_sgpr 0
		.amdhsa_accum_offset 4
		.amdhsa_reserve_vcc 0
		.amdhsa_reserve_flat_scratch 0
		.amdhsa_float_round_mode_32 0
		.amdhsa_float_round_mode_16_64 0
		.amdhsa_float_denorm_mode_32 3
		.amdhsa_float_denorm_mode_16_64 3
		.amdhsa_dx10_clamp 1
		.amdhsa_ieee_mode 1
		.amdhsa_fp16_overflow 0
		.amdhsa_tg_split 0
		.amdhsa_exception_fp_ieee_invalid_op 0
		.amdhsa_exception_fp_denorm_src 0
		.amdhsa_exception_fp_ieee_div_zero 0
		.amdhsa_exception_fp_ieee_overflow 0
		.amdhsa_exception_fp_ieee_underflow 0
		.amdhsa_exception_fp_ieee_inexact 0
		.amdhsa_exception_int_div_zero 0
	.end_amdhsa_kernel
	.section	.text._ZN7rocprim17ROCPRIM_400000_NS6detail17trampoline_kernelINS0_14default_configENS1_20scan_config_selectorIiEEZZNS1_9scan_implILNS1_25lookback_scan_determinismE0ELb1ELb1ES3_N6thrust23THRUST_200600_302600_NS6detail15normal_iteratorINS9_10device_ptrIiEEEENS9_16discard_iteratorINS9_11use_defaultEEEi11max_functorIiEiEEDaPvRmT3_T4_T5_mT6_P12ihipStream_tbENKUlT_T0_E_clISt17integral_constantIbLb0EESW_IbLb1EEEEDaSS_ST_EUlSS_E0_NS1_11comp_targetILNS1_3genE10ELNS1_11target_archE1201ELNS1_3gpuE5ELNS1_3repE0EEENS1_30default_config_static_selectorELNS0_4arch9wavefront6targetE1EEEvT1_,"axG",@progbits,_ZN7rocprim17ROCPRIM_400000_NS6detail17trampoline_kernelINS0_14default_configENS1_20scan_config_selectorIiEEZZNS1_9scan_implILNS1_25lookback_scan_determinismE0ELb1ELb1ES3_N6thrust23THRUST_200600_302600_NS6detail15normal_iteratorINS9_10device_ptrIiEEEENS9_16discard_iteratorINS9_11use_defaultEEEi11max_functorIiEiEEDaPvRmT3_T4_T5_mT6_P12ihipStream_tbENKUlT_T0_E_clISt17integral_constantIbLb0EESW_IbLb1EEEEDaSS_ST_EUlSS_E0_NS1_11comp_targetILNS1_3genE10ELNS1_11target_archE1201ELNS1_3gpuE5ELNS1_3repE0EEENS1_30default_config_static_selectorELNS0_4arch9wavefront6targetE1EEEvT1_,comdat
.Lfunc_end3994:
	.size	_ZN7rocprim17ROCPRIM_400000_NS6detail17trampoline_kernelINS0_14default_configENS1_20scan_config_selectorIiEEZZNS1_9scan_implILNS1_25lookback_scan_determinismE0ELb1ELb1ES3_N6thrust23THRUST_200600_302600_NS6detail15normal_iteratorINS9_10device_ptrIiEEEENS9_16discard_iteratorINS9_11use_defaultEEEi11max_functorIiEiEEDaPvRmT3_T4_T5_mT6_P12ihipStream_tbENKUlT_T0_E_clISt17integral_constantIbLb0EESW_IbLb1EEEEDaSS_ST_EUlSS_E0_NS1_11comp_targetILNS1_3genE10ELNS1_11target_archE1201ELNS1_3gpuE5ELNS1_3repE0EEENS1_30default_config_static_selectorELNS0_4arch9wavefront6targetE1EEEvT1_, .Lfunc_end3994-_ZN7rocprim17ROCPRIM_400000_NS6detail17trampoline_kernelINS0_14default_configENS1_20scan_config_selectorIiEEZZNS1_9scan_implILNS1_25lookback_scan_determinismE0ELb1ELb1ES3_N6thrust23THRUST_200600_302600_NS6detail15normal_iteratorINS9_10device_ptrIiEEEENS9_16discard_iteratorINS9_11use_defaultEEEi11max_functorIiEiEEDaPvRmT3_T4_T5_mT6_P12ihipStream_tbENKUlT_T0_E_clISt17integral_constantIbLb0EESW_IbLb1EEEEDaSS_ST_EUlSS_E0_NS1_11comp_targetILNS1_3genE10ELNS1_11target_archE1201ELNS1_3gpuE5ELNS1_3repE0EEENS1_30default_config_static_selectorELNS0_4arch9wavefront6targetE1EEEvT1_
                                        ; -- End function
	.section	.AMDGPU.csdata,"",@progbits
; Kernel info:
; codeLenInByte = 0
; NumSgprs: 4
; NumVgprs: 0
; NumAgprs: 0
; TotalNumVgprs: 0
; ScratchSize: 0
; MemoryBound: 0
; FloatMode: 240
; IeeeMode: 1
; LDSByteSize: 0 bytes/workgroup (compile time only)
; SGPRBlocks: 0
; VGPRBlocks: 0
; NumSGPRsForWavesPerEU: 4
; NumVGPRsForWavesPerEU: 1
; AccumOffset: 4
; Occupancy: 8
; WaveLimiterHint : 0
; COMPUTE_PGM_RSRC2:SCRATCH_EN: 0
; COMPUTE_PGM_RSRC2:USER_SGPR: 6
; COMPUTE_PGM_RSRC2:TRAP_HANDLER: 0
; COMPUTE_PGM_RSRC2:TGID_X_EN: 1
; COMPUTE_PGM_RSRC2:TGID_Y_EN: 0
; COMPUTE_PGM_RSRC2:TGID_Z_EN: 0
; COMPUTE_PGM_RSRC2:TIDIG_COMP_CNT: 0
; COMPUTE_PGM_RSRC3_GFX90A:ACCUM_OFFSET: 0
; COMPUTE_PGM_RSRC3_GFX90A:TG_SPLIT: 0
	.section	.text._ZN7rocprim17ROCPRIM_400000_NS6detail17trampoline_kernelINS0_14default_configENS1_20scan_config_selectorIiEEZZNS1_9scan_implILNS1_25lookback_scan_determinismE0ELb1ELb1ES3_N6thrust23THRUST_200600_302600_NS6detail15normal_iteratorINS9_10device_ptrIiEEEENS9_16discard_iteratorINS9_11use_defaultEEEi11max_functorIiEiEEDaPvRmT3_T4_T5_mT6_P12ihipStream_tbENKUlT_T0_E_clISt17integral_constantIbLb0EESW_IbLb1EEEEDaSS_ST_EUlSS_E0_NS1_11comp_targetILNS1_3genE10ELNS1_11target_archE1200ELNS1_3gpuE4ELNS1_3repE0EEENS1_30default_config_static_selectorELNS0_4arch9wavefront6targetE1EEEvT1_,"axG",@progbits,_ZN7rocprim17ROCPRIM_400000_NS6detail17trampoline_kernelINS0_14default_configENS1_20scan_config_selectorIiEEZZNS1_9scan_implILNS1_25lookback_scan_determinismE0ELb1ELb1ES3_N6thrust23THRUST_200600_302600_NS6detail15normal_iteratorINS9_10device_ptrIiEEEENS9_16discard_iteratorINS9_11use_defaultEEEi11max_functorIiEiEEDaPvRmT3_T4_T5_mT6_P12ihipStream_tbENKUlT_T0_E_clISt17integral_constantIbLb0EESW_IbLb1EEEEDaSS_ST_EUlSS_E0_NS1_11comp_targetILNS1_3genE10ELNS1_11target_archE1200ELNS1_3gpuE4ELNS1_3repE0EEENS1_30default_config_static_selectorELNS0_4arch9wavefront6targetE1EEEvT1_,comdat
	.protected	_ZN7rocprim17ROCPRIM_400000_NS6detail17trampoline_kernelINS0_14default_configENS1_20scan_config_selectorIiEEZZNS1_9scan_implILNS1_25lookback_scan_determinismE0ELb1ELb1ES3_N6thrust23THRUST_200600_302600_NS6detail15normal_iteratorINS9_10device_ptrIiEEEENS9_16discard_iteratorINS9_11use_defaultEEEi11max_functorIiEiEEDaPvRmT3_T4_T5_mT6_P12ihipStream_tbENKUlT_T0_E_clISt17integral_constantIbLb0EESW_IbLb1EEEEDaSS_ST_EUlSS_E0_NS1_11comp_targetILNS1_3genE10ELNS1_11target_archE1200ELNS1_3gpuE4ELNS1_3repE0EEENS1_30default_config_static_selectorELNS0_4arch9wavefront6targetE1EEEvT1_ ; -- Begin function _ZN7rocprim17ROCPRIM_400000_NS6detail17trampoline_kernelINS0_14default_configENS1_20scan_config_selectorIiEEZZNS1_9scan_implILNS1_25lookback_scan_determinismE0ELb1ELb1ES3_N6thrust23THRUST_200600_302600_NS6detail15normal_iteratorINS9_10device_ptrIiEEEENS9_16discard_iteratorINS9_11use_defaultEEEi11max_functorIiEiEEDaPvRmT3_T4_T5_mT6_P12ihipStream_tbENKUlT_T0_E_clISt17integral_constantIbLb0EESW_IbLb1EEEEDaSS_ST_EUlSS_E0_NS1_11comp_targetILNS1_3genE10ELNS1_11target_archE1200ELNS1_3gpuE4ELNS1_3repE0EEENS1_30default_config_static_selectorELNS0_4arch9wavefront6targetE1EEEvT1_
	.globl	_ZN7rocprim17ROCPRIM_400000_NS6detail17trampoline_kernelINS0_14default_configENS1_20scan_config_selectorIiEEZZNS1_9scan_implILNS1_25lookback_scan_determinismE0ELb1ELb1ES3_N6thrust23THRUST_200600_302600_NS6detail15normal_iteratorINS9_10device_ptrIiEEEENS9_16discard_iteratorINS9_11use_defaultEEEi11max_functorIiEiEEDaPvRmT3_T4_T5_mT6_P12ihipStream_tbENKUlT_T0_E_clISt17integral_constantIbLb0EESW_IbLb1EEEEDaSS_ST_EUlSS_E0_NS1_11comp_targetILNS1_3genE10ELNS1_11target_archE1200ELNS1_3gpuE4ELNS1_3repE0EEENS1_30default_config_static_selectorELNS0_4arch9wavefront6targetE1EEEvT1_
	.p2align	8
	.type	_ZN7rocprim17ROCPRIM_400000_NS6detail17trampoline_kernelINS0_14default_configENS1_20scan_config_selectorIiEEZZNS1_9scan_implILNS1_25lookback_scan_determinismE0ELb1ELb1ES3_N6thrust23THRUST_200600_302600_NS6detail15normal_iteratorINS9_10device_ptrIiEEEENS9_16discard_iteratorINS9_11use_defaultEEEi11max_functorIiEiEEDaPvRmT3_T4_T5_mT6_P12ihipStream_tbENKUlT_T0_E_clISt17integral_constantIbLb0EESW_IbLb1EEEEDaSS_ST_EUlSS_E0_NS1_11comp_targetILNS1_3genE10ELNS1_11target_archE1200ELNS1_3gpuE4ELNS1_3repE0EEENS1_30default_config_static_selectorELNS0_4arch9wavefront6targetE1EEEvT1_,@function
_ZN7rocprim17ROCPRIM_400000_NS6detail17trampoline_kernelINS0_14default_configENS1_20scan_config_selectorIiEEZZNS1_9scan_implILNS1_25lookback_scan_determinismE0ELb1ELb1ES3_N6thrust23THRUST_200600_302600_NS6detail15normal_iteratorINS9_10device_ptrIiEEEENS9_16discard_iteratorINS9_11use_defaultEEEi11max_functorIiEiEEDaPvRmT3_T4_T5_mT6_P12ihipStream_tbENKUlT_T0_E_clISt17integral_constantIbLb0EESW_IbLb1EEEEDaSS_ST_EUlSS_E0_NS1_11comp_targetILNS1_3genE10ELNS1_11target_archE1200ELNS1_3gpuE4ELNS1_3repE0EEENS1_30default_config_static_selectorELNS0_4arch9wavefront6targetE1EEEvT1_: ; @_ZN7rocprim17ROCPRIM_400000_NS6detail17trampoline_kernelINS0_14default_configENS1_20scan_config_selectorIiEEZZNS1_9scan_implILNS1_25lookback_scan_determinismE0ELb1ELb1ES3_N6thrust23THRUST_200600_302600_NS6detail15normal_iteratorINS9_10device_ptrIiEEEENS9_16discard_iteratorINS9_11use_defaultEEEi11max_functorIiEiEEDaPvRmT3_T4_T5_mT6_P12ihipStream_tbENKUlT_T0_E_clISt17integral_constantIbLb0EESW_IbLb1EEEEDaSS_ST_EUlSS_E0_NS1_11comp_targetILNS1_3genE10ELNS1_11target_archE1200ELNS1_3gpuE4ELNS1_3repE0EEENS1_30default_config_static_selectorELNS0_4arch9wavefront6targetE1EEEvT1_
; %bb.0:
	.section	.rodata,"a",@progbits
	.p2align	6, 0x0
	.amdhsa_kernel _ZN7rocprim17ROCPRIM_400000_NS6detail17trampoline_kernelINS0_14default_configENS1_20scan_config_selectorIiEEZZNS1_9scan_implILNS1_25lookback_scan_determinismE0ELb1ELb1ES3_N6thrust23THRUST_200600_302600_NS6detail15normal_iteratorINS9_10device_ptrIiEEEENS9_16discard_iteratorINS9_11use_defaultEEEi11max_functorIiEiEEDaPvRmT3_T4_T5_mT6_P12ihipStream_tbENKUlT_T0_E_clISt17integral_constantIbLb0EESW_IbLb1EEEEDaSS_ST_EUlSS_E0_NS1_11comp_targetILNS1_3genE10ELNS1_11target_archE1200ELNS1_3gpuE4ELNS1_3repE0EEENS1_30default_config_static_selectorELNS0_4arch9wavefront6targetE1EEEvT1_
		.amdhsa_group_segment_fixed_size 0
		.amdhsa_private_segment_fixed_size 0
		.amdhsa_kernarg_size 40
		.amdhsa_user_sgpr_count 6
		.amdhsa_user_sgpr_private_segment_buffer 1
		.amdhsa_user_sgpr_dispatch_ptr 0
		.amdhsa_user_sgpr_queue_ptr 0
		.amdhsa_user_sgpr_kernarg_segment_ptr 1
		.amdhsa_user_sgpr_dispatch_id 0
		.amdhsa_user_sgpr_flat_scratch_init 0
		.amdhsa_user_sgpr_kernarg_preload_length 0
		.amdhsa_user_sgpr_kernarg_preload_offset 0
		.amdhsa_user_sgpr_private_segment_size 0
		.amdhsa_uses_dynamic_stack 0
		.amdhsa_system_sgpr_private_segment_wavefront_offset 0
		.amdhsa_system_sgpr_workgroup_id_x 1
		.amdhsa_system_sgpr_workgroup_id_y 0
		.amdhsa_system_sgpr_workgroup_id_z 0
		.amdhsa_system_sgpr_workgroup_info 0
		.amdhsa_system_vgpr_workitem_id 0
		.amdhsa_next_free_vgpr 1
		.amdhsa_next_free_sgpr 0
		.amdhsa_accum_offset 4
		.amdhsa_reserve_vcc 0
		.amdhsa_reserve_flat_scratch 0
		.amdhsa_float_round_mode_32 0
		.amdhsa_float_round_mode_16_64 0
		.amdhsa_float_denorm_mode_32 3
		.amdhsa_float_denorm_mode_16_64 3
		.amdhsa_dx10_clamp 1
		.amdhsa_ieee_mode 1
		.amdhsa_fp16_overflow 0
		.amdhsa_tg_split 0
		.amdhsa_exception_fp_ieee_invalid_op 0
		.amdhsa_exception_fp_denorm_src 0
		.amdhsa_exception_fp_ieee_div_zero 0
		.amdhsa_exception_fp_ieee_overflow 0
		.amdhsa_exception_fp_ieee_underflow 0
		.amdhsa_exception_fp_ieee_inexact 0
		.amdhsa_exception_int_div_zero 0
	.end_amdhsa_kernel
	.section	.text._ZN7rocprim17ROCPRIM_400000_NS6detail17trampoline_kernelINS0_14default_configENS1_20scan_config_selectorIiEEZZNS1_9scan_implILNS1_25lookback_scan_determinismE0ELb1ELb1ES3_N6thrust23THRUST_200600_302600_NS6detail15normal_iteratorINS9_10device_ptrIiEEEENS9_16discard_iteratorINS9_11use_defaultEEEi11max_functorIiEiEEDaPvRmT3_T4_T5_mT6_P12ihipStream_tbENKUlT_T0_E_clISt17integral_constantIbLb0EESW_IbLb1EEEEDaSS_ST_EUlSS_E0_NS1_11comp_targetILNS1_3genE10ELNS1_11target_archE1200ELNS1_3gpuE4ELNS1_3repE0EEENS1_30default_config_static_selectorELNS0_4arch9wavefront6targetE1EEEvT1_,"axG",@progbits,_ZN7rocprim17ROCPRIM_400000_NS6detail17trampoline_kernelINS0_14default_configENS1_20scan_config_selectorIiEEZZNS1_9scan_implILNS1_25lookback_scan_determinismE0ELb1ELb1ES3_N6thrust23THRUST_200600_302600_NS6detail15normal_iteratorINS9_10device_ptrIiEEEENS9_16discard_iteratorINS9_11use_defaultEEEi11max_functorIiEiEEDaPvRmT3_T4_T5_mT6_P12ihipStream_tbENKUlT_T0_E_clISt17integral_constantIbLb0EESW_IbLb1EEEEDaSS_ST_EUlSS_E0_NS1_11comp_targetILNS1_3genE10ELNS1_11target_archE1200ELNS1_3gpuE4ELNS1_3repE0EEENS1_30default_config_static_selectorELNS0_4arch9wavefront6targetE1EEEvT1_,comdat
.Lfunc_end3995:
	.size	_ZN7rocprim17ROCPRIM_400000_NS6detail17trampoline_kernelINS0_14default_configENS1_20scan_config_selectorIiEEZZNS1_9scan_implILNS1_25lookback_scan_determinismE0ELb1ELb1ES3_N6thrust23THRUST_200600_302600_NS6detail15normal_iteratorINS9_10device_ptrIiEEEENS9_16discard_iteratorINS9_11use_defaultEEEi11max_functorIiEiEEDaPvRmT3_T4_T5_mT6_P12ihipStream_tbENKUlT_T0_E_clISt17integral_constantIbLb0EESW_IbLb1EEEEDaSS_ST_EUlSS_E0_NS1_11comp_targetILNS1_3genE10ELNS1_11target_archE1200ELNS1_3gpuE4ELNS1_3repE0EEENS1_30default_config_static_selectorELNS0_4arch9wavefront6targetE1EEEvT1_, .Lfunc_end3995-_ZN7rocprim17ROCPRIM_400000_NS6detail17trampoline_kernelINS0_14default_configENS1_20scan_config_selectorIiEEZZNS1_9scan_implILNS1_25lookback_scan_determinismE0ELb1ELb1ES3_N6thrust23THRUST_200600_302600_NS6detail15normal_iteratorINS9_10device_ptrIiEEEENS9_16discard_iteratorINS9_11use_defaultEEEi11max_functorIiEiEEDaPvRmT3_T4_T5_mT6_P12ihipStream_tbENKUlT_T0_E_clISt17integral_constantIbLb0EESW_IbLb1EEEEDaSS_ST_EUlSS_E0_NS1_11comp_targetILNS1_3genE10ELNS1_11target_archE1200ELNS1_3gpuE4ELNS1_3repE0EEENS1_30default_config_static_selectorELNS0_4arch9wavefront6targetE1EEEvT1_
                                        ; -- End function
	.section	.AMDGPU.csdata,"",@progbits
; Kernel info:
; codeLenInByte = 0
; NumSgprs: 4
; NumVgprs: 0
; NumAgprs: 0
; TotalNumVgprs: 0
; ScratchSize: 0
; MemoryBound: 0
; FloatMode: 240
; IeeeMode: 1
; LDSByteSize: 0 bytes/workgroup (compile time only)
; SGPRBlocks: 0
; VGPRBlocks: 0
; NumSGPRsForWavesPerEU: 4
; NumVGPRsForWavesPerEU: 1
; AccumOffset: 4
; Occupancy: 8
; WaveLimiterHint : 0
; COMPUTE_PGM_RSRC2:SCRATCH_EN: 0
; COMPUTE_PGM_RSRC2:USER_SGPR: 6
; COMPUTE_PGM_RSRC2:TRAP_HANDLER: 0
; COMPUTE_PGM_RSRC2:TGID_X_EN: 1
; COMPUTE_PGM_RSRC2:TGID_Y_EN: 0
; COMPUTE_PGM_RSRC2:TGID_Z_EN: 0
; COMPUTE_PGM_RSRC2:TIDIG_COMP_CNT: 0
; COMPUTE_PGM_RSRC3_GFX90A:ACCUM_OFFSET: 0
; COMPUTE_PGM_RSRC3_GFX90A:TG_SPLIT: 0
	.section	.text._ZN7rocprim17ROCPRIM_400000_NS6detail17trampoline_kernelINS0_14default_configENS1_20scan_config_selectorIiEEZZNS1_9scan_implILNS1_25lookback_scan_determinismE0ELb1ELb1ES3_N6thrust23THRUST_200600_302600_NS6detail15normal_iteratorINS9_10device_ptrIiEEEENS9_16discard_iteratorINS9_11use_defaultEEEi11max_functorIiEiEEDaPvRmT3_T4_T5_mT6_P12ihipStream_tbENKUlT_T0_E_clISt17integral_constantIbLb0EESW_IbLb1EEEEDaSS_ST_EUlSS_E0_NS1_11comp_targetILNS1_3genE9ELNS1_11target_archE1100ELNS1_3gpuE3ELNS1_3repE0EEENS1_30default_config_static_selectorELNS0_4arch9wavefront6targetE1EEEvT1_,"axG",@progbits,_ZN7rocprim17ROCPRIM_400000_NS6detail17trampoline_kernelINS0_14default_configENS1_20scan_config_selectorIiEEZZNS1_9scan_implILNS1_25lookback_scan_determinismE0ELb1ELb1ES3_N6thrust23THRUST_200600_302600_NS6detail15normal_iteratorINS9_10device_ptrIiEEEENS9_16discard_iteratorINS9_11use_defaultEEEi11max_functorIiEiEEDaPvRmT3_T4_T5_mT6_P12ihipStream_tbENKUlT_T0_E_clISt17integral_constantIbLb0EESW_IbLb1EEEEDaSS_ST_EUlSS_E0_NS1_11comp_targetILNS1_3genE9ELNS1_11target_archE1100ELNS1_3gpuE3ELNS1_3repE0EEENS1_30default_config_static_selectorELNS0_4arch9wavefront6targetE1EEEvT1_,comdat
	.protected	_ZN7rocprim17ROCPRIM_400000_NS6detail17trampoline_kernelINS0_14default_configENS1_20scan_config_selectorIiEEZZNS1_9scan_implILNS1_25lookback_scan_determinismE0ELb1ELb1ES3_N6thrust23THRUST_200600_302600_NS6detail15normal_iteratorINS9_10device_ptrIiEEEENS9_16discard_iteratorINS9_11use_defaultEEEi11max_functorIiEiEEDaPvRmT3_T4_T5_mT6_P12ihipStream_tbENKUlT_T0_E_clISt17integral_constantIbLb0EESW_IbLb1EEEEDaSS_ST_EUlSS_E0_NS1_11comp_targetILNS1_3genE9ELNS1_11target_archE1100ELNS1_3gpuE3ELNS1_3repE0EEENS1_30default_config_static_selectorELNS0_4arch9wavefront6targetE1EEEvT1_ ; -- Begin function _ZN7rocprim17ROCPRIM_400000_NS6detail17trampoline_kernelINS0_14default_configENS1_20scan_config_selectorIiEEZZNS1_9scan_implILNS1_25lookback_scan_determinismE0ELb1ELb1ES3_N6thrust23THRUST_200600_302600_NS6detail15normal_iteratorINS9_10device_ptrIiEEEENS9_16discard_iteratorINS9_11use_defaultEEEi11max_functorIiEiEEDaPvRmT3_T4_T5_mT6_P12ihipStream_tbENKUlT_T0_E_clISt17integral_constantIbLb0EESW_IbLb1EEEEDaSS_ST_EUlSS_E0_NS1_11comp_targetILNS1_3genE9ELNS1_11target_archE1100ELNS1_3gpuE3ELNS1_3repE0EEENS1_30default_config_static_selectorELNS0_4arch9wavefront6targetE1EEEvT1_
	.globl	_ZN7rocprim17ROCPRIM_400000_NS6detail17trampoline_kernelINS0_14default_configENS1_20scan_config_selectorIiEEZZNS1_9scan_implILNS1_25lookback_scan_determinismE0ELb1ELb1ES3_N6thrust23THRUST_200600_302600_NS6detail15normal_iteratorINS9_10device_ptrIiEEEENS9_16discard_iteratorINS9_11use_defaultEEEi11max_functorIiEiEEDaPvRmT3_T4_T5_mT6_P12ihipStream_tbENKUlT_T0_E_clISt17integral_constantIbLb0EESW_IbLb1EEEEDaSS_ST_EUlSS_E0_NS1_11comp_targetILNS1_3genE9ELNS1_11target_archE1100ELNS1_3gpuE3ELNS1_3repE0EEENS1_30default_config_static_selectorELNS0_4arch9wavefront6targetE1EEEvT1_
	.p2align	8
	.type	_ZN7rocprim17ROCPRIM_400000_NS6detail17trampoline_kernelINS0_14default_configENS1_20scan_config_selectorIiEEZZNS1_9scan_implILNS1_25lookback_scan_determinismE0ELb1ELb1ES3_N6thrust23THRUST_200600_302600_NS6detail15normal_iteratorINS9_10device_ptrIiEEEENS9_16discard_iteratorINS9_11use_defaultEEEi11max_functorIiEiEEDaPvRmT3_T4_T5_mT6_P12ihipStream_tbENKUlT_T0_E_clISt17integral_constantIbLb0EESW_IbLb1EEEEDaSS_ST_EUlSS_E0_NS1_11comp_targetILNS1_3genE9ELNS1_11target_archE1100ELNS1_3gpuE3ELNS1_3repE0EEENS1_30default_config_static_selectorELNS0_4arch9wavefront6targetE1EEEvT1_,@function
_ZN7rocprim17ROCPRIM_400000_NS6detail17trampoline_kernelINS0_14default_configENS1_20scan_config_selectorIiEEZZNS1_9scan_implILNS1_25lookback_scan_determinismE0ELb1ELb1ES3_N6thrust23THRUST_200600_302600_NS6detail15normal_iteratorINS9_10device_ptrIiEEEENS9_16discard_iteratorINS9_11use_defaultEEEi11max_functorIiEiEEDaPvRmT3_T4_T5_mT6_P12ihipStream_tbENKUlT_T0_E_clISt17integral_constantIbLb0EESW_IbLb1EEEEDaSS_ST_EUlSS_E0_NS1_11comp_targetILNS1_3genE9ELNS1_11target_archE1100ELNS1_3gpuE3ELNS1_3repE0EEENS1_30default_config_static_selectorELNS0_4arch9wavefront6targetE1EEEvT1_: ; @_ZN7rocprim17ROCPRIM_400000_NS6detail17trampoline_kernelINS0_14default_configENS1_20scan_config_selectorIiEEZZNS1_9scan_implILNS1_25lookback_scan_determinismE0ELb1ELb1ES3_N6thrust23THRUST_200600_302600_NS6detail15normal_iteratorINS9_10device_ptrIiEEEENS9_16discard_iteratorINS9_11use_defaultEEEi11max_functorIiEiEEDaPvRmT3_T4_T5_mT6_P12ihipStream_tbENKUlT_T0_E_clISt17integral_constantIbLb0EESW_IbLb1EEEEDaSS_ST_EUlSS_E0_NS1_11comp_targetILNS1_3genE9ELNS1_11target_archE1100ELNS1_3gpuE3ELNS1_3repE0EEENS1_30default_config_static_selectorELNS0_4arch9wavefront6targetE1EEEvT1_
; %bb.0:
	.section	.rodata,"a",@progbits
	.p2align	6, 0x0
	.amdhsa_kernel _ZN7rocprim17ROCPRIM_400000_NS6detail17trampoline_kernelINS0_14default_configENS1_20scan_config_selectorIiEEZZNS1_9scan_implILNS1_25lookback_scan_determinismE0ELb1ELb1ES3_N6thrust23THRUST_200600_302600_NS6detail15normal_iteratorINS9_10device_ptrIiEEEENS9_16discard_iteratorINS9_11use_defaultEEEi11max_functorIiEiEEDaPvRmT3_T4_T5_mT6_P12ihipStream_tbENKUlT_T0_E_clISt17integral_constantIbLb0EESW_IbLb1EEEEDaSS_ST_EUlSS_E0_NS1_11comp_targetILNS1_3genE9ELNS1_11target_archE1100ELNS1_3gpuE3ELNS1_3repE0EEENS1_30default_config_static_selectorELNS0_4arch9wavefront6targetE1EEEvT1_
		.amdhsa_group_segment_fixed_size 0
		.amdhsa_private_segment_fixed_size 0
		.amdhsa_kernarg_size 40
		.amdhsa_user_sgpr_count 6
		.amdhsa_user_sgpr_private_segment_buffer 1
		.amdhsa_user_sgpr_dispatch_ptr 0
		.amdhsa_user_sgpr_queue_ptr 0
		.amdhsa_user_sgpr_kernarg_segment_ptr 1
		.amdhsa_user_sgpr_dispatch_id 0
		.amdhsa_user_sgpr_flat_scratch_init 0
		.amdhsa_user_sgpr_kernarg_preload_length 0
		.amdhsa_user_sgpr_kernarg_preload_offset 0
		.amdhsa_user_sgpr_private_segment_size 0
		.amdhsa_uses_dynamic_stack 0
		.amdhsa_system_sgpr_private_segment_wavefront_offset 0
		.amdhsa_system_sgpr_workgroup_id_x 1
		.amdhsa_system_sgpr_workgroup_id_y 0
		.amdhsa_system_sgpr_workgroup_id_z 0
		.amdhsa_system_sgpr_workgroup_info 0
		.amdhsa_system_vgpr_workitem_id 0
		.amdhsa_next_free_vgpr 1
		.amdhsa_next_free_sgpr 0
		.amdhsa_accum_offset 4
		.amdhsa_reserve_vcc 0
		.amdhsa_reserve_flat_scratch 0
		.amdhsa_float_round_mode_32 0
		.amdhsa_float_round_mode_16_64 0
		.amdhsa_float_denorm_mode_32 3
		.amdhsa_float_denorm_mode_16_64 3
		.amdhsa_dx10_clamp 1
		.amdhsa_ieee_mode 1
		.amdhsa_fp16_overflow 0
		.amdhsa_tg_split 0
		.amdhsa_exception_fp_ieee_invalid_op 0
		.amdhsa_exception_fp_denorm_src 0
		.amdhsa_exception_fp_ieee_div_zero 0
		.amdhsa_exception_fp_ieee_overflow 0
		.amdhsa_exception_fp_ieee_underflow 0
		.amdhsa_exception_fp_ieee_inexact 0
		.amdhsa_exception_int_div_zero 0
	.end_amdhsa_kernel
	.section	.text._ZN7rocprim17ROCPRIM_400000_NS6detail17trampoline_kernelINS0_14default_configENS1_20scan_config_selectorIiEEZZNS1_9scan_implILNS1_25lookback_scan_determinismE0ELb1ELb1ES3_N6thrust23THRUST_200600_302600_NS6detail15normal_iteratorINS9_10device_ptrIiEEEENS9_16discard_iteratorINS9_11use_defaultEEEi11max_functorIiEiEEDaPvRmT3_T4_T5_mT6_P12ihipStream_tbENKUlT_T0_E_clISt17integral_constantIbLb0EESW_IbLb1EEEEDaSS_ST_EUlSS_E0_NS1_11comp_targetILNS1_3genE9ELNS1_11target_archE1100ELNS1_3gpuE3ELNS1_3repE0EEENS1_30default_config_static_selectorELNS0_4arch9wavefront6targetE1EEEvT1_,"axG",@progbits,_ZN7rocprim17ROCPRIM_400000_NS6detail17trampoline_kernelINS0_14default_configENS1_20scan_config_selectorIiEEZZNS1_9scan_implILNS1_25lookback_scan_determinismE0ELb1ELb1ES3_N6thrust23THRUST_200600_302600_NS6detail15normal_iteratorINS9_10device_ptrIiEEEENS9_16discard_iteratorINS9_11use_defaultEEEi11max_functorIiEiEEDaPvRmT3_T4_T5_mT6_P12ihipStream_tbENKUlT_T0_E_clISt17integral_constantIbLb0EESW_IbLb1EEEEDaSS_ST_EUlSS_E0_NS1_11comp_targetILNS1_3genE9ELNS1_11target_archE1100ELNS1_3gpuE3ELNS1_3repE0EEENS1_30default_config_static_selectorELNS0_4arch9wavefront6targetE1EEEvT1_,comdat
.Lfunc_end3996:
	.size	_ZN7rocprim17ROCPRIM_400000_NS6detail17trampoline_kernelINS0_14default_configENS1_20scan_config_selectorIiEEZZNS1_9scan_implILNS1_25lookback_scan_determinismE0ELb1ELb1ES3_N6thrust23THRUST_200600_302600_NS6detail15normal_iteratorINS9_10device_ptrIiEEEENS9_16discard_iteratorINS9_11use_defaultEEEi11max_functorIiEiEEDaPvRmT3_T4_T5_mT6_P12ihipStream_tbENKUlT_T0_E_clISt17integral_constantIbLb0EESW_IbLb1EEEEDaSS_ST_EUlSS_E0_NS1_11comp_targetILNS1_3genE9ELNS1_11target_archE1100ELNS1_3gpuE3ELNS1_3repE0EEENS1_30default_config_static_selectorELNS0_4arch9wavefront6targetE1EEEvT1_, .Lfunc_end3996-_ZN7rocprim17ROCPRIM_400000_NS6detail17trampoline_kernelINS0_14default_configENS1_20scan_config_selectorIiEEZZNS1_9scan_implILNS1_25lookback_scan_determinismE0ELb1ELb1ES3_N6thrust23THRUST_200600_302600_NS6detail15normal_iteratorINS9_10device_ptrIiEEEENS9_16discard_iteratorINS9_11use_defaultEEEi11max_functorIiEiEEDaPvRmT3_T4_T5_mT6_P12ihipStream_tbENKUlT_T0_E_clISt17integral_constantIbLb0EESW_IbLb1EEEEDaSS_ST_EUlSS_E0_NS1_11comp_targetILNS1_3genE9ELNS1_11target_archE1100ELNS1_3gpuE3ELNS1_3repE0EEENS1_30default_config_static_selectorELNS0_4arch9wavefront6targetE1EEEvT1_
                                        ; -- End function
	.section	.AMDGPU.csdata,"",@progbits
; Kernel info:
; codeLenInByte = 0
; NumSgprs: 4
; NumVgprs: 0
; NumAgprs: 0
; TotalNumVgprs: 0
; ScratchSize: 0
; MemoryBound: 0
; FloatMode: 240
; IeeeMode: 1
; LDSByteSize: 0 bytes/workgroup (compile time only)
; SGPRBlocks: 0
; VGPRBlocks: 0
; NumSGPRsForWavesPerEU: 4
; NumVGPRsForWavesPerEU: 1
; AccumOffset: 4
; Occupancy: 8
; WaveLimiterHint : 0
; COMPUTE_PGM_RSRC2:SCRATCH_EN: 0
; COMPUTE_PGM_RSRC2:USER_SGPR: 6
; COMPUTE_PGM_RSRC2:TRAP_HANDLER: 0
; COMPUTE_PGM_RSRC2:TGID_X_EN: 1
; COMPUTE_PGM_RSRC2:TGID_Y_EN: 0
; COMPUTE_PGM_RSRC2:TGID_Z_EN: 0
; COMPUTE_PGM_RSRC2:TIDIG_COMP_CNT: 0
; COMPUTE_PGM_RSRC3_GFX90A:ACCUM_OFFSET: 0
; COMPUTE_PGM_RSRC3_GFX90A:TG_SPLIT: 0
	.section	.text._ZN7rocprim17ROCPRIM_400000_NS6detail17trampoline_kernelINS0_14default_configENS1_20scan_config_selectorIiEEZZNS1_9scan_implILNS1_25lookback_scan_determinismE0ELb1ELb1ES3_N6thrust23THRUST_200600_302600_NS6detail15normal_iteratorINS9_10device_ptrIiEEEENS9_16discard_iteratorINS9_11use_defaultEEEi11max_functorIiEiEEDaPvRmT3_T4_T5_mT6_P12ihipStream_tbENKUlT_T0_E_clISt17integral_constantIbLb0EESW_IbLb1EEEEDaSS_ST_EUlSS_E0_NS1_11comp_targetILNS1_3genE8ELNS1_11target_archE1030ELNS1_3gpuE2ELNS1_3repE0EEENS1_30default_config_static_selectorELNS0_4arch9wavefront6targetE1EEEvT1_,"axG",@progbits,_ZN7rocprim17ROCPRIM_400000_NS6detail17trampoline_kernelINS0_14default_configENS1_20scan_config_selectorIiEEZZNS1_9scan_implILNS1_25lookback_scan_determinismE0ELb1ELb1ES3_N6thrust23THRUST_200600_302600_NS6detail15normal_iteratorINS9_10device_ptrIiEEEENS9_16discard_iteratorINS9_11use_defaultEEEi11max_functorIiEiEEDaPvRmT3_T4_T5_mT6_P12ihipStream_tbENKUlT_T0_E_clISt17integral_constantIbLb0EESW_IbLb1EEEEDaSS_ST_EUlSS_E0_NS1_11comp_targetILNS1_3genE8ELNS1_11target_archE1030ELNS1_3gpuE2ELNS1_3repE0EEENS1_30default_config_static_selectorELNS0_4arch9wavefront6targetE1EEEvT1_,comdat
	.protected	_ZN7rocprim17ROCPRIM_400000_NS6detail17trampoline_kernelINS0_14default_configENS1_20scan_config_selectorIiEEZZNS1_9scan_implILNS1_25lookback_scan_determinismE0ELb1ELb1ES3_N6thrust23THRUST_200600_302600_NS6detail15normal_iteratorINS9_10device_ptrIiEEEENS9_16discard_iteratorINS9_11use_defaultEEEi11max_functorIiEiEEDaPvRmT3_T4_T5_mT6_P12ihipStream_tbENKUlT_T0_E_clISt17integral_constantIbLb0EESW_IbLb1EEEEDaSS_ST_EUlSS_E0_NS1_11comp_targetILNS1_3genE8ELNS1_11target_archE1030ELNS1_3gpuE2ELNS1_3repE0EEENS1_30default_config_static_selectorELNS0_4arch9wavefront6targetE1EEEvT1_ ; -- Begin function _ZN7rocprim17ROCPRIM_400000_NS6detail17trampoline_kernelINS0_14default_configENS1_20scan_config_selectorIiEEZZNS1_9scan_implILNS1_25lookback_scan_determinismE0ELb1ELb1ES3_N6thrust23THRUST_200600_302600_NS6detail15normal_iteratorINS9_10device_ptrIiEEEENS9_16discard_iteratorINS9_11use_defaultEEEi11max_functorIiEiEEDaPvRmT3_T4_T5_mT6_P12ihipStream_tbENKUlT_T0_E_clISt17integral_constantIbLb0EESW_IbLb1EEEEDaSS_ST_EUlSS_E0_NS1_11comp_targetILNS1_3genE8ELNS1_11target_archE1030ELNS1_3gpuE2ELNS1_3repE0EEENS1_30default_config_static_selectorELNS0_4arch9wavefront6targetE1EEEvT1_
	.globl	_ZN7rocprim17ROCPRIM_400000_NS6detail17trampoline_kernelINS0_14default_configENS1_20scan_config_selectorIiEEZZNS1_9scan_implILNS1_25lookback_scan_determinismE0ELb1ELb1ES3_N6thrust23THRUST_200600_302600_NS6detail15normal_iteratorINS9_10device_ptrIiEEEENS9_16discard_iteratorINS9_11use_defaultEEEi11max_functorIiEiEEDaPvRmT3_T4_T5_mT6_P12ihipStream_tbENKUlT_T0_E_clISt17integral_constantIbLb0EESW_IbLb1EEEEDaSS_ST_EUlSS_E0_NS1_11comp_targetILNS1_3genE8ELNS1_11target_archE1030ELNS1_3gpuE2ELNS1_3repE0EEENS1_30default_config_static_selectorELNS0_4arch9wavefront6targetE1EEEvT1_
	.p2align	8
	.type	_ZN7rocprim17ROCPRIM_400000_NS6detail17trampoline_kernelINS0_14default_configENS1_20scan_config_selectorIiEEZZNS1_9scan_implILNS1_25lookback_scan_determinismE0ELb1ELb1ES3_N6thrust23THRUST_200600_302600_NS6detail15normal_iteratorINS9_10device_ptrIiEEEENS9_16discard_iteratorINS9_11use_defaultEEEi11max_functorIiEiEEDaPvRmT3_T4_T5_mT6_P12ihipStream_tbENKUlT_T0_E_clISt17integral_constantIbLb0EESW_IbLb1EEEEDaSS_ST_EUlSS_E0_NS1_11comp_targetILNS1_3genE8ELNS1_11target_archE1030ELNS1_3gpuE2ELNS1_3repE0EEENS1_30default_config_static_selectorELNS0_4arch9wavefront6targetE1EEEvT1_,@function
_ZN7rocprim17ROCPRIM_400000_NS6detail17trampoline_kernelINS0_14default_configENS1_20scan_config_selectorIiEEZZNS1_9scan_implILNS1_25lookback_scan_determinismE0ELb1ELb1ES3_N6thrust23THRUST_200600_302600_NS6detail15normal_iteratorINS9_10device_ptrIiEEEENS9_16discard_iteratorINS9_11use_defaultEEEi11max_functorIiEiEEDaPvRmT3_T4_T5_mT6_P12ihipStream_tbENKUlT_T0_E_clISt17integral_constantIbLb0EESW_IbLb1EEEEDaSS_ST_EUlSS_E0_NS1_11comp_targetILNS1_3genE8ELNS1_11target_archE1030ELNS1_3gpuE2ELNS1_3repE0EEENS1_30default_config_static_selectorELNS0_4arch9wavefront6targetE1EEEvT1_: ; @_ZN7rocprim17ROCPRIM_400000_NS6detail17trampoline_kernelINS0_14default_configENS1_20scan_config_selectorIiEEZZNS1_9scan_implILNS1_25lookback_scan_determinismE0ELb1ELb1ES3_N6thrust23THRUST_200600_302600_NS6detail15normal_iteratorINS9_10device_ptrIiEEEENS9_16discard_iteratorINS9_11use_defaultEEEi11max_functorIiEiEEDaPvRmT3_T4_T5_mT6_P12ihipStream_tbENKUlT_T0_E_clISt17integral_constantIbLb0EESW_IbLb1EEEEDaSS_ST_EUlSS_E0_NS1_11comp_targetILNS1_3genE8ELNS1_11target_archE1030ELNS1_3gpuE2ELNS1_3repE0EEENS1_30default_config_static_selectorELNS0_4arch9wavefront6targetE1EEEvT1_
; %bb.0:
	.section	.rodata,"a",@progbits
	.p2align	6, 0x0
	.amdhsa_kernel _ZN7rocprim17ROCPRIM_400000_NS6detail17trampoline_kernelINS0_14default_configENS1_20scan_config_selectorIiEEZZNS1_9scan_implILNS1_25lookback_scan_determinismE0ELb1ELb1ES3_N6thrust23THRUST_200600_302600_NS6detail15normal_iteratorINS9_10device_ptrIiEEEENS9_16discard_iteratorINS9_11use_defaultEEEi11max_functorIiEiEEDaPvRmT3_T4_T5_mT6_P12ihipStream_tbENKUlT_T0_E_clISt17integral_constantIbLb0EESW_IbLb1EEEEDaSS_ST_EUlSS_E0_NS1_11comp_targetILNS1_3genE8ELNS1_11target_archE1030ELNS1_3gpuE2ELNS1_3repE0EEENS1_30default_config_static_selectorELNS0_4arch9wavefront6targetE1EEEvT1_
		.amdhsa_group_segment_fixed_size 0
		.amdhsa_private_segment_fixed_size 0
		.amdhsa_kernarg_size 40
		.amdhsa_user_sgpr_count 6
		.amdhsa_user_sgpr_private_segment_buffer 1
		.amdhsa_user_sgpr_dispatch_ptr 0
		.amdhsa_user_sgpr_queue_ptr 0
		.amdhsa_user_sgpr_kernarg_segment_ptr 1
		.amdhsa_user_sgpr_dispatch_id 0
		.amdhsa_user_sgpr_flat_scratch_init 0
		.amdhsa_user_sgpr_kernarg_preload_length 0
		.amdhsa_user_sgpr_kernarg_preload_offset 0
		.amdhsa_user_sgpr_private_segment_size 0
		.amdhsa_uses_dynamic_stack 0
		.amdhsa_system_sgpr_private_segment_wavefront_offset 0
		.amdhsa_system_sgpr_workgroup_id_x 1
		.amdhsa_system_sgpr_workgroup_id_y 0
		.amdhsa_system_sgpr_workgroup_id_z 0
		.amdhsa_system_sgpr_workgroup_info 0
		.amdhsa_system_vgpr_workitem_id 0
		.amdhsa_next_free_vgpr 1
		.amdhsa_next_free_sgpr 0
		.amdhsa_accum_offset 4
		.amdhsa_reserve_vcc 0
		.amdhsa_reserve_flat_scratch 0
		.amdhsa_float_round_mode_32 0
		.amdhsa_float_round_mode_16_64 0
		.amdhsa_float_denorm_mode_32 3
		.amdhsa_float_denorm_mode_16_64 3
		.amdhsa_dx10_clamp 1
		.amdhsa_ieee_mode 1
		.amdhsa_fp16_overflow 0
		.amdhsa_tg_split 0
		.amdhsa_exception_fp_ieee_invalid_op 0
		.amdhsa_exception_fp_denorm_src 0
		.amdhsa_exception_fp_ieee_div_zero 0
		.amdhsa_exception_fp_ieee_overflow 0
		.amdhsa_exception_fp_ieee_underflow 0
		.amdhsa_exception_fp_ieee_inexact 0
		.amdhsa_exception_int_div_zero 0
	.end_amdhsa_kernel
	.section	.text._ZN7rocprim17ROCPRIM_400000_NS6detail17trampoline_kernelINS0_14default_configENS1_20scan_config_selectorIiEEZZNS1_9scan_implILNS1_25lookback_scan_determinismE0ELb1ELb1ES3_N6thrust23THRUST_200600_302600_NS6detail15normal_iteratorINS9_10device_ptrIiEEEENS9_16discard_iteratorINS9_11use_defaultEEEi11max_functorIiEiEEDaPvRmT3_T4_T5_mT6_P12ihipStream_tbENKUlT_T0_E_clISt17integral_constantIbLb0EESW_IbLb1EEEEDaSS_ST_EUlSS_E0_NS1_11comp_targetILNS1_3genE8ELNS1_11target_archE1030ELNS1_3gpuE2ELNS1_3repE0EEENS1_30default_config_static_selectorELNS0_4arch9wavefront6targetE1EEEvT1_,"axG",@progbits,_ZN7rocprim17ROCPRIM_400000_NS6detail17trampoline_kernelINS0_14default_configENS1_20scan_config_selectorIiEEZZNS1_9scan_implILNS1_25lookback_scan_determinismE0ELb1ELb1ES3_N6thrust23THRUST_200600_302600_NS6detail15normal_iteratorINS9_10device_ptrIiEEEENS9_16discard_iteratorINS9_11use_defaultEEEi11max_functorIiEiEEDaPvRmT3_T4_T5_mT6_P12ihipStream_tbENKUlT_T0_E_clISt17integral_constantIbLb0EESW_IbLb1EEEEDaSS_ST_EUlSS_E0_NS1_11comp_targetILNS1_3genE8ELNS1_11target_archE1030ELNS1_3gpuE2ELNS1_3repE0EEENS1_30default_config_static_selectorELNS0_4arch9wavefront6targetE1EEEvT1_,comdat
.Lfunc_end3997:
	.size	_ZN7rocprim17ROCPRIM_400000_NS6detail17trampoline_kernelINS0_14default_configENS1_20scan_config_selectorIiEEZZNS1_9scan_implILNS1_25lookback_scan_determinismE0ELb1ELb1ES3_N6thrust23THRUST_200600_302600_NS6detail15normal_iteratorINS9_10device_ptrIiEEEENS9_16discard_iteratorINS9_11use_defaultEEEi11max_functorIiEiEEDaPvRmT3_T4_T5_mT6_P12ihipStream_tbENKUlT_T0_E_clISt17integral_constantIbLb0EESW_IbLb1EEEEDaSS_ST_EUlSS_E0_NS1_11comp_targetILNS1_3genE8ELNS1_11target_archE1030ELNS1_3gpuE2ELNS1_3repE0EEENS1_30default_config_static_selectorELNS0_4arch9wavefront6targetE1EEEvT1_, .Lfunc_end3997-_ZN7rocprim17ROCPRIM_400000_NS6detail17trampoline_kernelINS0_14default_configENS1_20scan_config_selectorIiEEZZNS1_9scan_implILNS1_25lookback_scan_determinismE0ELb1ELb1ES3_N6thrust23THRUST_200600_302600_NS6detail15normal_iteratorINS9_10device_ptrIiEEEENS9_16discard_iteratorINS9_11use_defaultEEEi11max_functorIiEiEEDaPvRmT3_T4_T5_mT6_P12ihipStream_tbENKUlT_T0_E_clISt17integral_constantIbLb0EESW_IbLb1EEEEDaSS_ST_EUlSS_E0_NS1_11comp_targetILNS1_3genE8ELNS1_11target_archE1030ELNS1_3gpuE2ELNS1_3repE0EEENS1_30default_config_static_selectorELNS0_4arch9wavefront6targetE1EEEvT1_
                                        ; -- End function
	.section	.AMDGPU.csdata,"",@progbits
; Kernel info:
; codeLenInByte = 0
; NumSgprs: 4
; NumVgprs: 0
; NumAgprs: 0
; TotalNumVgprs: 0
; ScratchSize: 0
; MemoryBound: 0
; FloatMode: 240
; IeeeMode: 1
; LDSByteSize: 0 bytes/workgroup (compile time only)
; SGPRBlocks: 0
; VGPRBlocks: 0
; NumSGPRsForWavesPerEU: 4
; NumVGPRsForWavesPerEU: 1
; AccumOffset: 4
; Occupancy: 8
; WaveLimiterHint : 0
; COMPUTE_PGM_RSRC2:SCRATCH_EN: 0
; COMPUTE_PGM_RSRC2:USER_SGPR: 6
; COMPUTE_PGM_RSRC2:TRAP_HANDLER: 0
; COMPUTE_PGM_RSRC2:TGID_X_EN: 1
; COMPUTE_PGM_RSRC2:TGID_Y_EN: 0
; COMPUTE_PGM_RSRC2:TGID_Z_EN: 0
; COMPUTE_PGM_RSRC2:TIDIG_COMP_CNT: 0
; COMPUTE_PGM_RSRC3_GFX90A:ACCUM_OFFSET: 0
; COMPUTE_PGM_RSRC3_GFX90A:TG_SPLIT: 0
	.section	.text._ZN7rocprim17ROCPRIM_400000_NS6detail17trampoline_kernelINS0_14default_configENS1_20scan_config_selectorIsEEZZNS1_9scan_implILNS1_25lookback_scan_determinismE0ELb0ELb0ES3_N6thrust23THRUST_200600_302600_NS6detail15normal_iteratorINS9_10device_ptrIsEEEENS9_16discard_iteratorINS9_11use_defaultEEEs11max_functorIsEsEEDaPvRmT3_T4_T5_mT6_P12ihipStream_tbENKUlT_T0_E_clISt17integral_constantIbLb0EESX_EEDaSS_ST_EUlSS_E_NS1_11comp_targetILNS1_3genE0ELNS1_11target_archE4294967295ELNS1_3gpuE0ELNS1_3repE0EEENS1_30default_config_static_selectorELNS0_4arch9wavefront6targetE1EEEvT1_,"axG",@progbits,_ZN7rocprim17ROCPRIM_400000_NS6detail17trampoline_kernelINS0_14default_configENS1_20scan_config_selectorIsEEZZNS1_9scan_implILNS1_25lookback_scan_determinismE0ELb0ELb0ES3_N6thrust23THRUST_200600_302600_NS6detail15normal_iteratorINS9_10device_ptrIsEEEENS9_16discard_iteratorINS9_11use_defaultEEEs11max_functorIsEsEEDaPvRmT3_T4_T5_mT6_P12ihipStream_tbENKUlT_T0_E_clISt17integral_constantIbLb0EESX_EEDaSS_ST_EUlSS_E_NS1_11comp_targetILNS1_3genE0ELNS1_11target_archE4294967295ELNS1_3gpuE0ELNS1_3repE0EEENS1_30default_config_static_selectorELNS0_4arch9wavefront6targetE1EEEvT1_,comdat
	.protected	_ZN7rocprim17ROCPRIM_400000_NS6detail17trampoline_kernelINS0_14default_configENS1_20scan_config_selectorIsEEZZNS1_9scan_implILNS1_25lookback_scan_determinismE0ELb0ELb0ES3_N6thrust23THRUST_200600_302600_NS6detail15normal_iteratorINS9_10device_ptrIsEEEENS9_16discard_iteratorINS9_11use_defaultEEEs11max_functorIsEsEEDaPvRmT3_T4_T5_mT6_P12ihipStream_tbENKUlT_T0_E_clISt17integral_constantIbLb0EESX_EEDaSS_ST_EUlSS_E_NS1_11comp_targetILNS1_3genE0ELNS1_11target_archE4294967295ELNS1_3gpuE0ELNS1_3repE0EEENS1_30default_config_static_selectorELNS0_4arch9wavefront6targetE1EEEvT1_ ; -- Begin function _ZN7rocprim17ROCPRIM_400000_NS6detail17trampoline_kernelINS0_14default_configENS1_20scan_config_selectorIsEEZZNS1_9scan_implILNS1_25lookback_scan_determinismE0ELb0ELb0ES3_N6thrust23THRUST_200600_302600_NS6detail15normal_iteratorINS9_10device_ptrIsEEEENS9_16discard_iteratorINS9_11use_defaultEEEs11max_functorIsEsEEDaPvRmT3_T4_T5_mT6_P12ihipStream_tbENKUlT_T0_E_clISt17integral_constantIbLb0EESX_EEDaSS_ST_EUlSS_E_NS1_11comp_targetILNS1_3genE0ELNS1_11target_archE4294967295ELNS1_3gpuE0ELNS1_3repE0EEENS1_30default_config_static_selectorELNS0_4arch9wavefront6targetE1EEEvT1_
	.globl	_ZN7rocprim17ROCPRIM_400000_NS6detail17trampoline_kernelINS0_14default_configENS1_20scan_config_selectorIsEEZZNS1_9scan_implILNS1_25lookback_scan_determinismE0ELb0ELb0ES3_N6thrust23THRUST_200600_302600_NS6detail15normal_iteratorINS9_10device_ptrIsEEEENS9_16discard_iteratorINS9_11use_defaultEEEs11max_functorIsEsEEDaPvRmT3_T4_T5_mT6_P12ihipStream_tbENKUlT_T0_E_clISt17integral_constantIbLb0EESX_EEDaSS_ST_EUlSS_E_NS1_11comp_targetILNS1_3genE0ELNS1_11target_archE4294967295ELNS1_3gpuE0ELNS1_3repE0EEENS1_30default_config_static_selectorELNS0_4arch9wavefront6targetE1EEEvT1_
	.p2align	8
	.type	_ZN7rocprim17ROCPRIM_400000_NS6detail17trampoline_kernelINS0_14default_configENS1_20scan_config_selectorIsEEZZNS1_9scan_implILNS1_25lookback_scan_determinismE0ELb0ELb0ES3_N6thrust23THRUST_200600_302600_NS6detail15normal_iteratorINS9_10device_ptrIsEEEENS9_16discard_iteratorINS9_11use_defaultEEEs11max_functorIsEsEEDaPvRmT3_T4_T5_mT6_P12ihipStream_tbENKUlT_T0_E_clISt17integral_constantIbLb0EESX_EEDaSS_ST_EUlSS_E_NS1_11comp_targetILNS1_3genE0ELNS1_11target_archE4294967295ELNS1_3gpuE0ELNS1_3repE0EEENS1_30default_config_static_selectorELNS0_4arch9wavefront6targetE1EEEvT1_,@function
_ZN7rocprim17ROCPRIM_400000_NS6detail17trampoline_kernelINS0_14default_configENS1_20scan_config_selectorIsEEZZNS1_9scan_implILNS1_25lookback_scan_determinismE0ELb0ELb0ES3_N6thrust23THRUST_200600_302600_NS6detail15normal_iteratorINS9_10device_ptrIsEEEENS9_16discard_iteratorINS9_11use_defaultEEEs11max_functorIsEsEEDaPvRmT3_T4_T5_mT6_P12ihipStream_tbENKUlT_T0_E_clISt17integral_constantIbLb0EESX_EEDaSS_ST_EUlSS_E_NS1_11comp_targetILNS1_3genE0ELNS1_11target_archE4294967295ELNS1_3gpuE0ELNS1_3repE0EEENS1_30default_config_static_selectorELNS0_4arch9wavefront6targetE1EEEvT1_: ; @_ZN7rocprim17ROCPRIM_400000_NS6detail17trampoline_kernelINS0_14default_configENS1_20scan_config_selectorIsEEZZNS1_9scan_implILNS1_25lookback_scan_determinismE0ELb0ELb0ES3_N6thrust23THRUST_200600_302600_NS6detail15normal_iteratorINS9_10device_ptrIsEEEENS9_16discard_iteratorINS9_11use_defaultEEEs11max_functorIsEsEEDaPvRmT3_T4_T5_mT6_P12ihipStream_tbENKUlT_T0_E_clISt17integral_constantIbLb0EESX_EEDaSS_ST_EUlSS_E_NS1_11comp_targetILNS1_3genE0ELNS1_11target_archE4294967295ELNS1_3gpuE0ELNS1_3repE0EEENS1_30default_config_static_selectorELNS0_4arch9wavefront6targetE1EEEvT1_
; %bb.0:
	.section	.rodata,"a",@progbits
	.p2align	6, 0x0
	.amdhsa_kernel _ZN7rocprim17ROCPRIM_400000_NS6detail17trampoline_kernelINS0_14default_configENS1_20scan_config_selectorIsEEZZNS1_9scan_implILNS1_25lookback_scan_determinismE0ELb0ELb0ES3_N6thrust23THRUST_200600_302600_NS6detail15normal_iteratorINS9_10device_ptrIsEEEENS9_16discard_iteratorINS9_11use_defaultEEEs11max_functorIsEsEEDaPvRmT3_T4_T5_mT6_P12ihipStream_tbENKUlT_T0_E_clISt17integral_constantIbLb0EESX_EEDaSS_ST_EUlSS_E_NS1_11comp_targetILNS1_3genE0ELNS1_11target_archE4294967295ELNS1_3gpuE0ELNS1_3repE0EEENS1_30default_config_static_selectorELNS0_4arch9wavefront6targetE1EEEvT1_
		.amdhsa_group_segment_fixed_size 0
		.amdhsa_private_segment_fixed_size 0
		.amdhsa_kernarg_size 104
		.amdhsa_user_sgpr_count 6
		.amdhsa_user_sgpr_private_segment_buffer 1
		.amdhsa_user_sgpr_dispatch_ptr 0
		.amdhsa_user_sgpr_queue_ptr 0
		.amdhsa_user_sgpr_kernarg_segment_ptr 1
		.amdhsa_user_sgpr_dispatch_id 0
		.amdhsa_user_sgpr_flat_scratch_init 0
		.amdhsa_user_sgpr_kernarg_preload_length 0
		.amdhsa_user_sgpr_kernarg_preload_offset 0
		.amdhsa_user_sgpr_private_segment_size 0
		.amdhsa_uses_dynamic_stack 0
		.amdhsa_system_sgpr_private_segment_wavefront_offset 0
		.amdhsa_system_sgpr_workgroup_id_x 1
		.amdhsa_system_sgpr_workgroup_id_y 0
		.amdhsa_system_sgpr_workgroup_id_z 0
		.amdhsa_system_sgpr_workgroup_info 0
		.amdhsa_system_vgpr_workitem_id 0
		.amdhsa_next_free_vgpr 1
		.amdhsa_next_free_sgpr 0
		.amdhsa_accum_offset 4
		.amdhsa_reserve_vcc 0
		.amdhsa_reserve_flat_scratch 0
		.amdhsa_float_round_mode_32 0
		.amdhsa_float_round_mode_16_64 0
		.amdhsa_float_denorm_mode_32 3
		.amdhsa_float_denorm_mode_16_64 3
		.amdhsa_dx10_clamp 1
		.amdhsa_ieee_mode 1
		.amdhsa_fp16_overflow 0
		.amdhsa_tg_split 0
		.amdhsa_exception_fp_ieee_invalid_op 0
		.amdhsa_exception_fp_denorm_src 0
		.amdhsa_exception_fp_ieee_div_zero 0
		.amdhsa_exception_fp_ieee_overflow 0
		.amdhsa_exception_fp_ieee_underflow 0
		.amdhsa_exception_fp_ieee_inexact 0
		.amdhsa_exception_int_div_zero 0
	.end_amdhsa_kernel
	.section	.text._ZN7rocprim17ROCPRIM_400000_NS6detail17trampoline_kernelINS0_14default_configENS1_20scan_config_selectorIsEEZZNS1_9scan_implILNS1_25lookback_scan_determinismE0ELb0ELb0ES3_N6thrust23THRUST_200600_302600_NS6detail15normal_iteratorINS9_10device_ptrIsEEEENS9_16discard_iteratorINS9_11use_defaultEEEs11max_functorIsEsEEDaPvRmT3_T4_T5_mT6_P12ihipStream_tbENKUlT_T0_E_clISt17integral_constantIbLb0EESX_EEDaSS_ST_EUlSS_E_NS1_11comp_targetILNS1_3genE0ELNS1_11target_archE4294967295ELNS1_3gpuE0ELNS1_3repE0EEENS1_30default_config_static_selectorELNS0_4arch9wavefront6targetE1EEEvT1_,"axG",@progbits,_ZN7rocprim17ROCPRIM_400000_NS6detail17trampoline_kernelINS0_14default_configENS1_20scan_config_selectorIsEEZZNS1_9scan_implILNS1_25lookback_scan_determinismE0ELb0ELb0ES3_N6thrust23THRUST_200600_302600_NS6detail15normal_iteratorINS9_10device_ptrIsEEEENS9_16discard_iteratorINS9_11use_defaultEEEs11max_functorIsEsEEDaPvRmT3_T4_T5_mT6_P12ihipStream_tbENKUlT_T0_E_clISt17integral_constantIbLb0EESX_EEDaSS_ST_EUlSS_E_NS1_11comp_targetILNS1_3genE0ELNS1_11target_archE4294967295ELNS1_3gpuE0ELNS1_3repE0EEENS1_30default_config_static_selectorELNS0_4arch9wavefront6targetE1EEEvT1_,comdat
.Lfunc_end3998:
	.size	_ZN7rocprim17ROCPRIM_400000_NS6detail17trampoline_kernelINS0_14default_configENS1_20scan_config_selectorIsEEZZNS1_9scan_implILNS1_25lookback_scan_determinismE0ELb0ELb0ES3_N6thrust23THRUST_200600_302600_NS6detail15normal_iteratorINS9_10device_ptrIsEEEENS9_16discard_iteratorINS9_11use_defaultEEEs11max_functorIsEsEEDaPvRmT3_T4_T5_mT6_P12ihipStream_tbENKUlT_T0_E_clISt17integral_constantIbLb0EESX_EEDaSS_ST_EUlSS_E_NS1_11comp_targetILNS1_3genE0ELNS1_11target_archE4294967295ELNS1_3gpuE0ELNS1_3repE0EEENS1_30default_config_static_selectorELNS0_4arch9wavefront6targetE1EEEvT1_, .Lfunc_end3998-_ZN7rocprim17ROCPRIM_400000_NS6detail17trampoline_kernelINS0_14default_configENS1_20scan_config_selectorIsEEZZNS1_9scan_implILNS1_25lookback_scan_determinismE0ELb0ELb0ES3_N6thrust23THRUST_200600_302600_NS6detail15normal_iteratorINS9_10device_ptrIsEEEENS9_16discard_iteratorINS9_11use_defaultEEEs11max_functorIsEsEEDaPvRmT3_T4_T5_mT6_P12ihipStream_tbENKUlT_T0_E_clISt17integral_constantIbLb0EESX_EEDaSS_ST_EUlSS_E_NS1_11comp_targetILNS1_3genE0ELNS1_11target_archE4294967295ELNS1_3gpuE0ELNS1_3repE0EEENS1_30default_config_static_selectorELNS0_4arch9wavefront6targetE1EEEvT1_
                                        ; -- End function
	.section	.AMDGPU.csdata,"",@progbits
; Kernel info:
; codeLenInByte = 0
; NumSgprs: 4
; NumVgprs: 0
; NumAgprs: 0
; TotalNumVgprs: 0
; ScratchSize: 0
; MemoryBound: 0
; FloatMode: 240
; IeeeMode: 1
; LDSByteSize: 0 bytes/workgroup (compile time only)
; SGPRBlocks: 0
; VGPRBlocks: 0
; NumSGPRsForWavesPerEU: 4
; NumVGPRsForWavesPerEU: 1
; AccumOffset: 4
; Occupancy: 8
; WaveLimiterHint : 0
; COMPUTE_PGM_RSRC2:SCRATCH_EN: 0
; COMPUTE_PGM_RSRC2:USER_SGPR: 6
; COMPUTE_PGM_RSRC2:TRAP_HANDLER: 0
; COMPUTE_PGM_RSRC2:TGID_X_EN: 1
; COMPUTE_PGM_RSRC2:TGID_Y_EN: 0
; COMPUTE_PGM_RSRC2:TGID_Z_EN: 0
; COMPUTE_PGM_RSRC2:TIDIG_COMP_CNT: 0
; COMPUTE_PGM_RSRC3_GFX90A:ACCUM_OFFSET: 0
; COMPUTE_PGM_RSRC3_GFX90A:TG_SPLIT: 0
	.section	.text._ZN7rocprim17ROCPRIM_400000_NS6detail17trampoline_kernelINS0_14default_configENS1_20scan_config_selectorIsEEZZNS1_9scan_implILNS1_25lookback_scan_determinismE0ELb0ELb0ES3_N6thrust23THRUST_200600_302600_NS6detail15normal_iteratorINS9_10device_ptrIsEEEENS9_16discard_iteratorINS9_11use_defaultEEEs11max_functorIsEsEEDaPvRmT3_T4_T5_mT6_P12ihipStream_tbENKUlT_T0_E_clISt17integral_constantIbLb0EESX_EEDaSS_ST_EUlSS_E_NS1_11comp_targetILNS1_3genE5ELNS1_11target_archE942ELNS1_3gpuE9ELNS1_3repE0EEENS1_30default_config_static_selectorELNS0_4arch9wavefront6targetE1EEEvT1_,"axG",@progbits,_ZN7rocprim17ROCPRIM_400000_NS6detail17trampoline_kernelINS0_14default_configENS1_20scan_config_selectorIsEEZZNS1_9scan_implILNS1_25lookback_scan_determinismE0ELb0ELb0ES3_N6thrust23THRUST_200600_302600_NS6detail15normal_iteratorINS9_10device_ptrIsEEEENS9_16discard_iteratorINS9_11use_defaultEEEs11max_functorIsEsEEDaPvRmT3_T4_T5_mT6_P12ihipStream_tbENKUlT_T0_E_clISt17integral_constantIbLb0EESX_EEDaSS_ST_EUlSS_E_NS1_11comp_targetILNS1_3genE5ELNS1_11target_archE942ELNS1_3gpuE9ELNS1_3repE0EEENS1_30default_config_static_selectorELNS0_4arch9wavefront6targetE1EEEvT1_,comdat
	.protected	_ZN7rocprim17ROCPRIM_400000_NS6detail17trampoline_kernelINS0_14default_configENS1_20scan_config_selectorIsEEZZNS1_9scan_implILNS1_25lookback_scan_determinismE0ELb0ELb0ES3_N6thrust23THRUST_200600_302600_NS6detail15normal_iteratorINS9_10device_ptrIsEEEENS9_16discard_iteratorINS9_11use_defaultEEEs11max_functorIsEsEEDaPvRmT3_T4_T5_mT6_P12ihipStream_tbENKUlT_T0_E_clISt17integral_constantIbLb0EESX_EEDaSS_ST_EUlSS_E_NS1_11comp_targetILNS1_3genE5ELNS1_11target_archE942ELNS1_3gpuE9ELNS1_3repE0EEENS1_30default_config_static_selectorELNS0_4arch9wavefront6targetE1EEEvT1_ ; -- Begin function _ZN7rocprim17ROCPRIM_400000_NS6detail17trampoline_kernelINS0_14default_configENS1_20scan_config_selectorIsEEZZNS1_9scan_implILNS1_25lookback_scan_determinismE0ELb0ELb0ES3_N6thrust23THRUST_200600_302600_NS6detail15normal_iteratorINS9_10device_ptrIsEEEENS9_16discard_iteratorINS9_11use_defaultEEEs11max_functorIsEsEEDaPvRmT3_T4_T5_mT6_P12ihipStream_tbENKUlT_T0_E_clISt17integral_constantIbLb0EESX_EEDaSS_ST_EUlSS_E_NS1_11comp_targetILNS1_3genE5ELNS1_11target_archE942ELNS1_3gpuE9ELNS1_3repE0EEENS1_30default_config_static_selectorELNS0_4arch9wavefront6targetE1EEEvT1_
	.globl	_ZN7rocprim17ROCPRIM_400000_NS6detail17trampoline_kernelINS0_14default_configENS1_20scan_config_selectorIsEEZZNS1_9scan_implILNS1_25lookback_scan_determinismE0ELb0ELb0ES3_N6thrust23THRUST_200600_302600_NS6detail15normal_iteratorINS9_10device_ptrIsEEEENS9_16discard_iteratorINS9_11use_defaultEEEs11max_functorIsEsEEDaPvRmT3_T4_T5_mT6_P12ihipStream_tbENKUlT_T0_E_clISt17integral_constantIbLb0EESX_EEDaSS_ST_EUlSS_E_NS1_11comp_targetILNS1_3genE5ELNS1_11target_archE942ELNS1_3gpuE9ELNS1_3repE0EEENS1_30default_config_static_selectorELNS0_4arch9wavefront6targetE1EEEvT1_
	.p2align	8
	.type	_ZN7rocprim17ROCPRIM_400000_NS6detail17trampoline_kernelINS0_14default_configENS1_20scan_config_selectorIsEEZZNS1_9scan_implILNS1_25lookback_scan_determinismE0ELb0ELb0ES3_N6thrust23THRUST_200600_302600_NS6detail15normal_iteratorINS9_10device_ptrIsEEEENS9_16discard_iteratorINS9_11use_defaultEEEs11max_functorIsEsEEDaPvRmT3_T4_T5_mT6_P12ihipStream_tbENKUlT_T0_E_clISt17integral_constantIbLb0EESX_EEDaSS_ST_EUlSS_E_NS1_11comp_targetILNS1_3genE5ELNS1_11target_archE942ELNS1_3gpuE9ELNS1_3repE0EEENS1_30default_config_static_selectorELNS0_4arch9wavefront6targetE1EEEvT1_,@function
_ZN7rocprim17ROCPRIM_400000_NS6detail17trampoline_kernelINS0_14default_configENS1_20scan_config_selectorIsEEZZNS1_9scan_implILNS1_25lookback_scan_determinismE0ELb0ELb0ES3_N6thrust23THRUST_200600_302600_NS6detail15normal_iteratorINS9_10device_ptrIsEEEENS9_16discard_iteratorINS9_11use_defaultEEEs11max_functorIsEsEEDaPvRmT3_T4_T5_mT6_P12ihipStream_tbENKUlT_T0_E_clISt17integral_constantIbLb0EESX_EEDaSS_ST_EUlSS_E_NS1_11comp_targetILNS1_3genE5ELNS1_11target_archE942ELNS1_3gpuE9ELNS1_3repE0EEENS1_30default_config_static_selectorELNS0_4arch9wavefront6targetE1EEEvT1_: ; @_ZN7rocprim17ROCPRIM_400000_NS6detail17trampoline_kernelINS0_14default_configENS1_20scan_config_selectorIsEEZZNS1_9scan_implILNS1_25lookback_scan_determinismE0ELb0ELb0ES3_N6thrust23THRUST_200600_302600_NS6detail15normal_iteratorINS9_10device_ptrIsEEEENS9_16discard_iteratorINS9_11use_defaultEEEs11max_functorIsEsEEDaPvRmT3_T4_T5_mT6_P12ihipStream_tbENKUlT_T0_E_clISt17integral_constantIbLb0EESX_EEDaSS_ST_EUlSS_E_NS1_11comp_targetILNS1_3genE5ELNS1_11target_archE942ELNS1_3gpuE9ELNS1_3repE0EEENS1_30default_config_static_selectorELNS0_4arch9wavefront6targetE1EEEvT1_
; %bb.0:
	.section	.rodata,"a",@progbits
	.p2align	6, 0x0
	.amdhsa_kernel _ZN7rocprim17ROCPRIM_400000_NS6detail17trampoline_kernelINS0_14default_configENS1_20scan_config_selectorIsEEZZNS1_9scan_implILNS1_25lookback_scan_determinismE0ELb0ELb0ES3_N6thrust23THRUST_200600_302600_NS6detail15normal_iteratorINS9_10device_ptrIsEEEENS9_16discard_iteratorINS9_11use_defaultEEEs11max_functorIsEsEEDaPvRmT3_T4_T5_mT6_P12ihipStream_tbENKUlT_T0_E_clISt17integral_constantIbLb0EESX_EEDaSS_ST_EUlSS_E_NS1_11comp_targetILNS1_3genE5ELNS1_11target_archE942ELNS1_3gpuE9ELNS1_3repE0EEENS1_30default_config_static_selectorELNS0_4arch9wavefront6targetE1EEEvT1_
		.amdhsa_group_segment_fixed_size 0
		.amdhsa_private_segment_fixed_size 0
		.amdhsa_kernarg_size 104
		.amdhsa_user_sgpr_count 6
		.amdhsa_user_sgpr_private_segment_buffer 1
		.amdhsa_user_sgpr_dispatch_ptr 0
		.amdhsa_user_sgpr_queue_ptr 0
		.amdhsa_user_sgpr_kernarg_segment_ptr 1
		.amdhsa_user_sgpr_dispatch_id 0
		.amdhsa_user_sgpr_flat_scratch_init 0
		.amdhsa_user_sgpr_kernarg_preload_length 0
		.amdhsa_user_sgpr_kernarg_preload_offset 0
		.amdhsa_user_sgpr_private_segment_size 0
		.amdhsa_uses_dynamic_stack 0
		.amdhsa_system_sgpr_private_segment_wavefront_offset 0
		.amdhsa_system_sgpr_workgroup_id_x 1
		.amdhsa_system_sgpr_workgroup_id_y 0
		.amdhsa_system_sgpr_workgroup_id_z 0
		.amdhsa_system_sgpr_workgroup_info 0
		.amdhsa_system_vgpr_workitem_id 0
		.amdhsa_next_free_vgpr 1
		.amdhsa_next_free_sgpr 0
		.amdhsa_accum_offset 4
		.amdhsa_reserve_vcc 0
		.amdhsa_reserve_flat_scratch 0
		.amdhsa_float_round_mode_32 0
		.amdhsa_float_round_mode_16_64 0
		.amdhsa_float_denorm_mode_32 3
		.amdhsa_float_denorm_mode_16_64 3
		.amdhsa_dx10_clamp 1
		.amdhsa_ieee_mode 1
		.amdhsa_fp16_overflow 0
		.amdhsa_tg_split 0
		.amdhsa_exception_fp_ieee_invalid_op 0
		.amdhsa_exception_fp_denorm_src 0
		.amdhsa_exception_fp_ieee_div_zero 0
		.amdhsa_exception_fp_ieee_overflow 0
		.amdhsa_exception_fp_ieee_underflow 0
		.amdhsa_exception_fp_ieee_inexact 0
		.amdhsa_exception_int_div_zero 0
	.end_amdhsa_kernel
	.section	.text._ZN7rocprim17ROCPRIM_400000_NS6detail17trampoline_kernelINS0_14default_configENS1_20scan_config_selectorIsEEZZNS1_9scan_implILNS1_25lookback_scan_determinismE0ELb0ELb0ES3_N6thrust23THRUST_200600_302600_NS6detail15normal_iteratorINS9_10device_ptrIsEEEENS9_16discard_iteratorINS9_11use_defaultEEEs11max_functorIsEsEEDaPvRmT3_T4_T5_mT6_P12ihipStream_tbENKUlT_T0_E_clISt17integral_constantIbLb0EESX_EEDaSS_ST_EUlSS_E_NS1_11comp_targetILNS1_3genE5ELNS1_11target_archE942ELNS1_3gpuE9ELNS1_3repE0EEENS1_30default_config_static_selectorELNS0_4arch9wavefront6targetE1EEEvT1_,"axG",@progbits,_ZN7rocprim17ROCPRIM_400000_NS6detail17trampoline_kernelINS0_14default_configENS1_20scan_config_selectorIsEEZZNS1_9scan_implILNS1_25lookback_scan_determinismE0ELb0ELb0ES3_N6thrust23THRUST_200600_302600_NS6detail15normal_iteratorINS9_10device_ptrIsEEEENS9_16discard_iteratorINS9_11use_defaultEEEs11max_functorIsEsEEDaPvRmT3_T4_T5_mT6_P12ihipStream_tbENKUlT_T0_E_clISt17integral_constantIbLb0EESX_EEDaSS_ST_EUlSS_E_NS1_11comp_targetILNS1_3genE5ELNS1_11target_archE942ELNS1_3gpuE9ELNS1_3repE0EEENS1_30default_config_static_selectorELNS0_4arch9wavefront6targetE1EEEvT1_,comdat
.Lfunc_end3999:
	.size	_ZN7rocprim17ROCPRIM_400000_NS6detail17trampoline_kernelINS0_14default_configENS1_20scan_config_selectorIsEEZZNS1_9scan_implILNS1_25lookback_scan_determinismE0ELb0ELb0ES3_N6thrust23THRUST_200600_302600_NS6detail15normal_iteratorINS9_10device_ptrIsEEEENS9_16discard_iteratorINS9_11use_defaultEEEs11max_functorIsEsEEDaPvRmT3_T4_T5_mT6_P12ihipStream_tbENKUlT_T0_E_clISt17integral_constantIbLb0EESX_EEDaSS_ST_EUlSS_E_NS1_11comp_targetILNS1_3genE5ELNS1_11target_archE942ELNS1_3gpuE9ELNS1_3repE0EEENS1_30default_config_static_selectorELNS0_4arch9wavefront6targetE1EEEvT1_, .Lfunc_end3999-_ZN7rocprim17ROCPRIM_400000_NS6detail17trampoline_kernelINS0_14default_configENS1_20scan_config_selectorIsEEZZNS1_9scan_implILNS1_25lookback_scan_determinismE0ELb0ELb0ES3_N6thrust23THRUST_200600_302600_NS6detail15normal_iteratorINS9_10device_ptrIsEEEENS9_16discard_iteratorINS9_11use_defaultEEEs11max_functorIsEsEEDaPvRmT3_T4_T5_mT6_P12ihipStream_tbENKUlT_T0_E_clISt17integral_constantIbLb0EESX_EEDaSS_ST_EUlSS_E_NS1_11comp_targetILNS1_3genE5ELNS1_11target_archE942ELNS1_3gpuE9ELNS1_3repE0EEENS1_30default_config_static_selectorELNS0_4arch9wavefront6targetE1EEEvT1_
                                        ; -- End function
	.section	.AMDGPU.csdata,"",@progbits
; Kernel info:
; codeLenInByte = 0
; NumSgprs: 4
; NumVgprs: 0
; NumAgprs: 0
; TotalNumVgprs: 0
; ScratchSize: 0
; MemoryBound: 0
; FloatMode: 240
; IeeeMode: 1
; LDSByteSize: 0 bytes/workgroup (compile time only)
; SGPRBlocks: 0
; VGPRBlocks: 0
; NumSGPRsForWavesPerEU: 4
; NumVGPRsForWavesPerEU: 1
; AccumOffset: 4
; Occupancy: 8
; WaveLimiterHint : 0
; COMPUTE_PGM_RSRC2:SCRATCH_EN: 0
; COMPUTE_PGM_RSRC2:USER_SGPR: 6
; COMPUTE_PGM_RSRC2:TRAP_HANDLER: 0
; COMPUTE_PGM_RSRC2:TGID_X_EN: 1
; COMPUTE_PGM_RSRC2:TGID_Y_EN: 0
; COMPUTE_PGM_RSRC2:TGID_Z_EN: 0
; COMPUTE_PGM_RSRC2:TIDIG_COMP_CNT: 0
; COMPUTE_PGM_RSRC3_GFX90A:ACCUM_OFFSET: 0
; COMPUTE_PGM_RSRC3_GFX90A:TG_SPLIT: 0
	.section	.text._ZN7rocprim17ROCPRIM_400000_NS6detail17trampoline_kernelINS0_14default_configENS1_20scan_config_selectorIsEEZZNS1_9scan_implILNS1_25lookback_scan_determinismE0ELb0ELb0ES3_N6thrust23THRUST_200600_302600_NS6detail15normal_iteratorINS9_10device_ptrIsEEEENS9_16discard_iteratorINS9_11use_defaultEEEs11max_functorIsEsEEDaPvRmT3_T4_T5_mT6_P12ihipStream_tbENKUlT_T0_E_clISt17integral_constantIbLb0EESX_EEDaSS_ST_EUlSS_E_NS1_11comp_targetILNS1_3genE4ELNS1_11target_archE910ELNS1_3gpuE8ELNS1_3repE0EEENS1_30default_config_static_selectorELNS0_4arch9wavefront6targetE1EEEvT1_,"axG",@progbits,_ZN7rocprim17ROCPRIM_400000_NS6detail17trampoline_kernelINS0_14default_configENS1_20scan_config_selectorIsEEZZNS1_9scan_implILNS1_25lookback_scan_determinismE0ELb0ELb0ES3_N6thrust23THRUST_200600_302600_NS6detail15normal_iteratorINS9_10device_ptrIsEEEENS9_16discard_iteratorINS9_11use_defaultEEEs11max_functorIsEsEEDaPvRmT3_T4_T5_mT6_P12ihipStream_tbENKUlT_T0_E_clISt17integral_constantIbLb0EESX_EEDaSS_ST_EUlSS_E_NS1_11comp_targetILNS1_3genE4ELNS1_11target_archE910ELNS1_3gpuE8ELNS1_3repE0EEENS1_30default_config_static_selectorELNS0_4arch9wavefront6targetE1EEEvT1_,comdat
	.protected	_ZN7rocprim17ROCPRIM_400000_NS6detail17trampoline_kernelINS0_14default_configENS1_20scan_config_selectorIsEEZZNS1_9scan_implILNS1_25lookback_scan_determinismE0ELb0ELb0ES3_N6thrust23THRUST_200600_302600_NS6detail15normal_iteratorINS9_10device_ptrIsEEEENS9_16discard_iteratorINS9_11use_defaultEEEs11max_functorIsEsEEDaPvRmT3_T4_T5_mT6_P12ihipStream_tbENKUlT_T0_E_clISt17integral_constantIbLb0EESX_EEDaSS_ST_EUlSS_E_NS1_11comp_targetILNS1_3genE4ELNS1_11target_archE910ELNS1_3gpuE8ELNS1_3repE0EEENS1_30default_config_static_selectorELNS0_4arch9wavefront6targetE1EEEvT1_ ; -- Begin function _ZN7rocprim17ROCPRIM_400000_NS6detail17trampoline_kernelINS0_14default_configENS1_20scan_config_selectorIsEEZZNS1_9scan_implILNS1_25lookback_scan_determinismE0ELb0ELb0ES3_N6thrust23THRUST_200600_302600_NS6detail15normal_iteratorINS9_10device_ptrIsEEEENS9_16discard_iteratorINS9_11use_defaultEEEs11max_functorIsEsEEDaPvRmT3_T4_T5_mT6_P12ihipStream_tbENKUlT_T0_E_clISt17integral_constantIbLb0EESX_EEDaSS_ST_EUlSS_E_NS1_11comp_targetILNS1_3genE4ELNS1_11target_archE910ELNS1_3gpuE8ELNS1_3repE0EEENS1_30default_config_static_selectorELNS0_4arch9wavefront6targetE1EEEvT1_
	.globl	_ZN7rocprim17ROCPRIM_400000_NS6detail17trampoline_kernelINS0_14default_configENS1_20scan_config_selectorIsEEZZNS1_9scan_implILNS1_25lookback_scan_determinismE0ELb0ELb0ES3_N6thrust23THRUST_200600_302600_NS6detail15normal_iteratorINS9_10device_ptrIsEEEENS9_16discard_iteratorINS9_11use_defaultEEEs11max_functorIsEsEEDaPvRmT3_T4_T5_mT6_P12ihipStream_tbENKUlT_T0_E_clISt17integral_constantIbLb0EESX_EEDaSS_ST_EUlSS_E_NS1_11comp_targetILNS1_3genE4ELNS1_11target_archE910ELNS1_3gpuE8ELNS1_3repE0EEENS1_30default_config_static_selectorELNS0_4arch9wavefront6targetE1EEEvT1_
	.p2align	8
	.type	_ZN7rocprim17ROCPRIM_400000_NS6detail17trampoline_kernelINS0_14default_configENS1_20scan_config_selectorIsEEZZNS1_9scan_implILNS1_25lookback_scan_determinismE0ELb0ELb0ES3_N6thrust23THRUST_200600_302600_NS6detail15normal_iteratorINS9_10device_ptrIsEEEENS9_16discard_iteratorINS9_11use_defaultEEEs11max_functorIsEsEEDaPvRmT3_T4_T5_mT6_P12ihipStream_tbENKUlT_T0_E_clISt17integral_constantIbLb0EESX_EEDaSS_ST_EUlSS_E_NS1_11comp_targetILNS1_3genE4ELNS1_11target_archE910ELNS1_3gpuE8ELNS1_3repE0EEENS1_30default_config_static_selectorELNS0_4arch9wavefront6targetE1EEEvT1_,@function
_ZN7rocprim17ROCPRIM_400000_NS6detail17trampoline_kernelINS0_14default_configENS1_20scan_config_selectorIsEEZZNS1_9scan_implILNS1_25lookback_scan_determinismE0ELb0ELb0ES3_N6thrust23THRUST_200600_302600_NS6detail15normal_iteratorINS9_10device_ptrIsEEEENS9_16discard_iteratorINS9_11use_defaultEEEs11max_functorIsEsEEDaPvRmT3_T4_T5_mT6_P12ihipStream_tbENKUlT_T0_E_clISt17integral_constantIbLb0EESX_EEDaSS_ST_EUlSS_E_NS1_11comp_targetILNS1_3genE4ELNS1_11target_archE910ELNS1_3gpuE8ELNS1_3repE0EEENS1_30default_config_static_selectorELNS0_4arch9wavefront6targetE1EEEvT1_: ; @_ZN7rocprim17ROCPRIM_400000_NS6detail17trampoline_kernelINS0_14default_configENS1_20scan_config_selectorIsEEZZNS1_9scan_implILNS1_25lookback_scan_determinismE0ELb0ELb0ES3_N6thrust23THRUST_200600_302600_NS6detail15normal_iteratorINS9_10device_ptrIsEEEENS9_16discard_iteratorINS9_11use_defaultEEEs11max_functorIsEsEEDaPvRmT3_T4_T5_mT6_P12ihipStream_tbENKUlT_T0_E_clISt17integral_constantIbLb0EESX_EEDaSS_ST_EUlSS_E_NS1_11comp_targetILNS1_3genE4ELNS1_11target_archE910ELNS1_3gpuE8ELNS1_3repE0EEENS1_30default_config_static_selectorELNS0_4arch9wavefront6targetE1EEEvT1_
; %bb.0:
	s_load_dwordx4 s[0:3], s[4:5], 0x0
	s_load_dwordx2 s[8:9], s[4:5], 0x20
	s_load_dword s7, s[4:5], 0x38
	v_lshlrev_b32_e32 v1, 1, v0
	s_waitcnt lgkmcnt(0)
	s_lshl_b64 s[2:3], s[2:3], 1
	s_add_u32 s2, s0, s2
	s_addc_u32 s3, s1, s3
	s_add_i32 s7, s7, -1
	s_mul_i32 s10, s7, 0x600
	s_sub_u32 s20, s8, s10
	s_subb_u32 s21, s9, 0
	s_mul_i32 s0, s6, 0x600
	s_mov_b32 s1, 0
	s_cmp_lg_u32 s6, s7
	s_cselect_b64 s[14:15], -1, 0
	s_lshl_b64 s[0:1], s[0:1], 1
	s_add_u32 s0, s2, s0
	s_addc_u32 s1, s3, s1
	s_mov_b64 s[2:3], -1
	s_and_b64 vcc, exec, s[14:15]
	s_cbranch_vccz .LBB4000_2
; %bb.1:
	v_mov_b32_e32 v3, s1
	v_add_co_u32_e32 v2, vcc, s0, v1
	v_addc_co_u32_e32 v3, vcc, 0, v3, vcc
	flat_load_ushort v4, v[2:3]
	flat_load_ushort v5, v[2:3] offset:128
	flat_load_ushort v6, v[2:3] offset:256
	;; [unrolled: 1-line block ×23, first 2 shown]
	s_mov_b64 s[2:3], 0
	s_waitcnt vmcnt(0) lgkmcnt(0)
	ds_write_b16 v1, v4
	ds_write_b16 v1, v5 offset:128
	ds_write_b16 v1, v6 offset:256
	;; [unrolled: 1-line block ×23, first 2 shown]
	s_waitcnt lgkmcnt(0)
	; wave barrier
.LBB4000_2:
	s_load_dwordx2 s[16:17], s[4:5], 0x30
	s_andn2_b64 vcc, exec, s[2:3]
	s_cbranch_vccnz .LBB4000_52
; %bb.3:
	v_pk_mov_b32 v[2:3], s[0:1], s[0:1] op_sel:[0,1]
	flat_load_ushort v2, v[2:3]
	v_cmp_gt_u32_e32 vcc, s20, v0
	s_waitcnt vmcnt(0) lgkmcnt(0)
	v_mov_b32_e32 v3, v2
	s_and_saveexec_b64 s[2:3], vcc
	s_cbranch_execz .LBB4000_5
; %bb.4:
	v_mov_b32_e32 v3, s1
	v_add_co_u32_e32 v4, vcc, s0, v1
	v_addc_co_u32_e32 v5, vcc, 0, v3, vcc
	flat_load_ushort v3, v[4:5]
.LBB4000_5:
	s_or_b64 exec, exec, s[2:3]
	v_or_b32_e32 v4, 64, v0
	v_cmp_gt_u32_e32 vcc, s20, v4
	v_mov_b32_e32 v4, v2
	s_and_saveexec_b64 s[2:3], vcc
	s_cbranch_execz .LBB4000_7
; %bb.6:
	v_mov_b32_e32 v5, s1
	v_add_co_u32_e32 v4, vcc, s0, v1
	v_addc_co_u32_e32 v5, vcc, 0, v5, vcc
	flat_load_ushort v4, v[4:5] offset:128
.LBB4000_7:
	s_or_b64 exec, exec, s[2:3]
	v_or_b32_e32 v5, 0x80, v0
	v_cmp_gt_u32_e32 vcc, s20, v5
	v_mov_b32_e32 v5, v2
	s_and_saveexec_b64 s[2:3], vcc
	s_cbranch_execz .LBB4000_9
; %bb.8:
	v_mov_b32_e32 v5, s1
	v_add_co_u32_e32 v6, vcc, s0, v1
	v_addc_co_u32_e32 v7, vcc, 0, v5, vcc
	flat_load_ushort v5, v[6:7] offset:256
.LBB4000_9:
	;; [unrolled: 12-line block ×22, first 2 shown]
	s_or_b64 exec, exec, s[2:3]
	v_or_b32_e32 v26, 0x5c0, v0
	v_cmp_gt_u32_e32 vcc, s20, v26
	s_and_saveexec_b64 s[2:3], vcc
	s_cbranch_execz .LBB4000_51
; %bb.50:
	v_mov_b32_e32 v2, s1
	v_add_co_u32_e32 v26, vcc, s0, v1
	v_addc_co_u32_e32 v27, vcc, 0, v2, vcc
	flat_load_ushort v2, v[26:27] offset:2944
.LBB4000_51:
	s_or_b64 exec, exec, s[2:3]
	s_waitcnt vmcnt(0) lgkmcnt(0)
	ds_write_b16 v1, v3
	ds_write_b16 v1, v4 offset:128
	ds_write_b16 v1, v5 offset:256
	;; [unrolled: 1-line block ×23, first 2 shown]
	s_waitcnt lgkmcnt(0)
	; wave barrier
.LBB4000_52:
	v_mul_u32_u24_e32 v20, 24, v0
	v_lshlrev_b32_e32 v21, 1, v20
	s_waitcnt lgkmcnt(0)
	ds_read_b128 v[10:13], v21
	ds_read_b128 v[6:9], v21 offset:16
	ds_read_b128 v[2:5], v21 offset:32
	s_cmp_lg_u32 s6, 0
	v_mbcnt_lo_u32_b32 v32, -1, 0
	s_waitcnt lgkmcnt(2)
	v_lshrrev_b32_e32 v31, 16, v11
	v_lshrrev_b32_e32 v30, 16, v12
	v_lshrrev_b32_e32 v29, 16, v13
	s_waitcnt lgkmcnt(1)
	v_lshrrev_b32_e32 v28, 16, v6
	v_lshrrev_b32_e32 v27, 16, v7
	;; [unrolled: 1-line block ×4, first 2 shown]
	s_waitcnt lgkmcnt(0)
	v_lshrrev_b32_e32 v24, 16, v2
	v_lshrrev_b32_e32 v23, 16, v3
	;; [unrolled: 1-line block ×4, first 2 shown]
	v_cmp_eq_u32_e32 vcc, 63, v0
	s_waitcnt lgkmcnt(0)
	; wave barrier
	s_cbranch_scc0 .LBB4000_75
; %bb.53:
	v_max_i16_sdwa v14, v10, v10 dst_sel:DWORD dst_unused:UNUSED_PAD src0_sel:DWORD src1_sel:WORD_1
	v_max3_i16 v14, v14, v11, v31
	v_max3_i16 v14, v14, v12, v30
	;; [unrolled: 1-line block ×11, first 2 shown]
	v_mbcnt_hi_u32_b32 v15, -1, v32
	v_and_b32_e32 v17, 0xffff, v14
	v_and_b32_e32 v16, 15, v15
	v_cmp_eq_u32_e64 s[0:1], 0, v16
	v_mov_b32_dpp v17, v17 row_shr:1 row_mask:0xf bank_mask:0xf
	v_max_i16_e32 v17, v17, v14
	v_cndmask_b32_e64 v14, v17, v14, s[0:1]
	v_and_b32_e32 v17, 0xffff, v14
	v_cmp_lt_u32_e64 s[0:1], 1, v16
	s_nop 0
	v_mov_b32_dpp v17, v17 row_shr:2 row_mask:0xf bank_mask:0xf
	v_max_i16_e32 v17, v17, v14
	v_cndmask_b32_e64 v14, v14, v17, s[0:1]
	v_and_b32_e32 v17, 0xffff, v14
	v_cmp_lt_u32_e64 s[0:1], 3, v16
	s_nop 0
	;; [unrolled: 6-line block ×3, first 2 shown]
	v_mov_b32_dpp v17, v17 row_shr:8 row_mask:0xf bank_mask:0xf
	v_max_i16_e32 v17, v17, v14
	v_cndmask_b32_e64 v14, v14, v17, s[0:1]
	v_and_b32_e32 v16, 0xffff, v14
	v_and_b32_e32 v17, 16, v15
	v_cmp_eq_u32_e64 s[0:1], 0, v17
	v_mov_b32_dpp v16, v16 row_bcast:15 row_mask:0xf bank_mask:0xf
	v_max_i16_e32 v16, v16, v14
	v_cndmask_b32_e64 v14, v16, v14, s[0:1]
	v_and_b32_e32 v16, 0xffff, v14
	v_cmp_lt_u32_e64 s[0:1], 31, v15
	s_nop 0
	v_mov_b32_dpp v16, v16 row_bcast:31 row_mask:0xf bank_mask:0xf
	v_max_i16_e32 v16, v16, v14
	v_cndmask_b32_e64 v14, v14, v16, s[0:1]
	s_and_saveexec_b64 s[0:1], vcc
	s_cbranch_execz .LBB4000_55
; %bb.54:
	v_mov_b32_e32 v16, 0
	ds_write_b16 v16, v14
.LBB4000_55:
	s_or_b64 exec, exec, s[0:1]
	v_add_u32_e32 v16, -1, v15
	v_and_b32_e32 v17, 64, v15
	v_cmp_lt_i32_e32 vcc, v16, v17
	v_cndmask_b32_e32 v16, v16, v15, vcc
	v_and_b32_e32 v14, 0xffff, v14
	v_lshlrev_b32_e32 v16, 2, v16
	ds_bpermute_b32 v33, v16, v14
	v_cmp_gt_u32_e32 vcc, 64, v0
	s_waitcnt lgkmcnt(0)
	; wave barrier
	s_waitcnt lgkmcnt(0)
	s_and_saveexec_b64 s[18:19], vcc
	s_cbranch_execz .LBB4000_74
; %bb.56:
	v_mov_b32_e32 v17, 0
	ds_read_u16 v34, v17
	s_mov_b32 s9, 0
	v_cmp_eq_u32_e64 s[0:1], 0, v15
	s_and_saveexec_b64 s[2:3], s[0:1]
	s_cbranch_execz .LBB4000_58
; %bb.57:
	s_add_i32 s8, s6, 64
	s_lshl_b64 s[8:9], s[8:9], 2
	s_add_u32 s8, s16, s8
	s_waitcnt lgkmcnt(0)
	v_or_b32_e32 v14, 0x10000, v34
	s_addc_u32 s9, s17, s9
	global_store_dword v17, v14, s[8:9]
.LBB4000_58:
	s_or_b64 exec, exec, s[2:3]
	v_xad_u32 v14, v15, -1, s6
	v_add_u32_e32 v16, 64, v14
	v_lshlrev_b64 v[18:19], 2, v[16:17]
	v_mov_b32_e32 v16, s17
	v_add_co_u32_e32 v18, vcc, s16, v18
	v_addc_co_u32_e32 v19, vcc, v16, v19, vcc
	global_load_dword v47, v[18:19], off glc
	s_waitcnt vmcnt(0)
	v_lshrrev_b32_e32 v36, 16, v47
	v_cmp_eq_u16_sdwa s[8:9], v36, v17 src0_sel:BYTE_0 src1_sel:DWORD
	s_and_saveexec_b64 s[2:3], s[8:9]
	s_cbranch_execz .LBB4000_62
; %bb.59:
	s_mov_b64 s[8:9], 0
	v_mov_b32_e32 v16, 0
.LBB4000_60:                            ; =>This Inner Loop Header: Depth=1
	global_load_dword v47, v[18:19], off glc
	s_waitcnt vmcnt(0)
	v_lshrrev_b32_e32 v36, 16, v47
	v_cmp_ne_u16_sdwa s[10:11], v36, v16 src0_sel:BYTE_0 src1_sel:DWORD
	s_or_b64 s[8:9], s[10:11], s[8:9]
	s_andn2_b64 exec, exec, s[8:9]
	s_cbranch_execnz .LBB4000_60
; %bb.61:
	s_or_b64 exec, exec, s[8:9]
.LBB4000_62:
	s_or_b64 exec, exec, s[2:3]
	v_and_b32_e32 v37, 63, v15
	v_cmp_ne_u32_e32 vcc, 63, v37
	v_mov_b32_e32 v35, 2
	v_addc_co_u32_e32 v38, vcc, 0, v15, vcc
	v_cmp_eq_u16_sdwa s[2:3], v36, v35 src0_sel:BYTE_0 src1_sel:DWORD
	v_lshlrev_b64 v[16:17], v15, -1
	v_and_b32_e32 v39, 0xffff, v47
	v_lshlrev_b32_e32 v38, 2, v38
	v_and_b32_e32 v18, s3, v17
	ds_bpermute_b32 v40, v38, v39
	v_or_b32_e32 v18, 0x80000000, v18
	v_and_b32_e32 v19, s2, v16
	v_ffbl_b32_e32 v18, v18
	v_add_u32_e32 v18, 32, v18
	v_ffbl_b32_e32 v19, v19
	v_min_u32_e32 v18, v19, v18
	s_waitcnt lgkmcnt(0)
	v_max_i16_e32 v19, v40, v47
	v_cmp_lt_u32_e32 vcc, v37, v18
	v_cmp_gt_u32_e64 s[2:3], 62, v37
	v_cndmask_b32_e32 v41, v39, v19, vcc
	v_cndmask_b32_e64 v39, 0, 1, s[2:3]
	v_lshlrev_b32_e32 v39, 1, v39
	v_add_lshl_u32 v39, v39, v15, 2
	ds_bpermute_b32 v42, v39, v41
	v_cndmask_b32_e32 v19, v47, v19, vcc
	v_add_u32_e32 v40, 2, v37
	v_cmp_gt_u32_e64 s[2:3], v40, v18
	v_cmp_gt_u32_e64 s[8:9], 60, v37
	s_waitcnt lgkmcnt(0)
	v_max_i16_e32 v42, v42, v19
	v_cndmask_b32_e64 v43, v42, v41, s[2:3]
	v_cndmask_b32_e64 v41, 0, 1, s[8:9]
	v_lshlrev_b32_e32 v41, 2, v41
	v_add_lshl_u32 v41, v41, v15, 2
	ds_bpermute_b32 v44, v41, v43
	v_cndmask_b32_e64 v19, v42, v19, s[2:3]
	v_add_u32_e32 v42, 4, v37
	v_cmp_gt_u32_e64 s[2:3], v42, v18
	v_cmp_gt_u32_e64 s[8:9], 56, v37
	s_waitcnt lgkmcnt(0)
	v_max_i16_e32 v50, v44, v19
	v_cndmask_b32_e64 v45, v50, v43, s[2:3]
	v_cndmask_b32_e64 v43, 0, 1, s[8:9]
	v_lshlrev_b32_e32 v43, 3, v43
	v_add_lshl_u32 v43, v43, v15, 2
	ds_bpermute_b32 v46, v43, v45
	v_cndmask_b32_e64 v48, v50, v19, s[2:3]
	v_add_u32_e32 v44, 8, v37
	v_cmp_gt_u32_e64 s[8:9], v44, v18
	v_cmp_gt_u32_e64 s[10:11], 48, v37
	s_waitcnt lgkmcnt(0)
	v_max_i16_e32 v51, v46, v48
	v_cndmask_b32_e64 v49, v51, v45, s[8:9]
	v_cndmask_b32_e64 v45, 0, 1, s[10:11]
	v_lshlrev_b32_e32 v45, 4, v45
	v_add_lshl_u32 v45, v45, v15, 2
	ds_bpermute_b32 v52, v45, v49
	v_cmp_gt_u32_e64 s[12:13], 32, v37
	v_cndmask_b32_e64 v53, v51, v48, s[8:9]
	v_add_u32_e32 v46, 16, v37
	v_cndmask_b32_e64 v48, 0, 1, s[12:13]
	s_waitcnt lgkmcnt(0)
	v_max_i16_e32 v52, v52, v53
	v_cmp_gt_u32_e64 s[10:11], v46, v18
	v_lshlrev_b32_e32 v48, 5, v48
	v_cndmask_b32_e64 v49, v52, v49, s[10:11]
	v_add_lshl_u32 v48, v48, v15, 2
	ds_bpermute_b32 v15, v48, v49
	v_cndmask_b32_e32 v19, v47, v19, vcc
	v_cndmask_b32_e64 v19, v50, v19, s[2:3]
	v_add_u32_e32 v49, 32, v37
	v_cndmask_b32_e64 v53, v52, v53, s[10:11]
	v_cndmask_b32_e64 v19, v51, v19, s[8:9]
	s_waitcnt lgkmcnt(0)
	v_max_i16_e32 v15, v15, v53
	v_cndmask_b32_e64 v19, v52, v19, s[10:11]
	v_cmp_gt_u32_e32 vcc, v49, v18
	v_cndmask_b32_e32 v18, v15, v19, vcc
	v_mov_b32_e32 v15, 0
	s_branch .LBB4000_64
.LBB4000_63:                            ;   in Loop: Header=BB4000_64 Depth=1
	s_or_b64 exec, exec, s[2:3]
	v_cmp_eq_u16_sdwa s[2:3], v36, v35 src0_sel:BYTE_0 src1_sel:DWORD
	v_and_b32_e32 v51, 0xffff, v50
	v_and_b32_e32 v18, s3, v17
	ds_bpermute_b32 v52, v38, v51
	v_or_b32_e32 v18, 0x80000000, v18
	v_and_b32_e32 v19, s2, v16
	v_ffbl_b32_e32 v18, v18
	v_add_u32_e32 v18, 32, v18
	v_ffbl_b32_e32 v19, v19
	v_min_u32_e32 v18, v19, v18
	s_waitcnt lgkmcnt(0)
	v_max_i16_e32 v19, v52, v50
	v_cmp_lt_u32_e32 vcc, v37, v18
	v_cndmask_b32_e32 v51, v51, v19, vcc
	ds_bpermute_b32 v52, v39, v51
	v_cndmask_b32_e32 v19, v50, v19, vcc
	v_cmp_gt_u32_e64 s[2:3], v40, v18
	v_cmp_gt_u32_e64 s[8:9], v44, v18
	v_subrev_u32_e32 v14, 64, v14
	s_waitcnt lgkmcnt(0)
	v_max_i16_e32 v52, v52, v19
	v_cndmask_b32_e64 v51, v52, v51, s[2:3]
	ds_bpermute_b32 v53, v41, v51
	v_cndmask_b32_e64 v19, v52, v19, s[2:3]
	v_cmp_gt_u32_e64 s[2:3], v42, v18
	s_waitcnt lgkmcnt(0)
	v_max_i16_e32 v52, v53, v19
	v_cndmask_b32_e64 v51, v52, v51, s[2:3]
	ds_bpermute_b32 v53, v43, v51
	v_cndmask_b32_e64 v54, v52, v19, s[2:3]
	v_cndmask_b32_e32 v19, v50, v19, vcc
	v_cmp_gt_u32_e32 vcc, v46, v18
	v_cndmask_b32_e64 v19, v52, v19, s[2:3]
	s_waitcnt lgkmcnt(0)
	v_max_i16_e32 v53, v53, v54
	v_cndmask_b32_e64 v51, v53, v51, s[8:9]
	ds_bpermute_b32 v55, v45, v51
	v_cndmask_b32_e64 v50, v53, v54, s[8:9]
	v_cndmask_b32_e64 v19, v53, v19, s[8:9]
	s_waitcnt lgkmcnt(0)
	v_max_i16_e32 v54, v55, v50
	v_cndmask_b32_e32 v51, v54, v51, vcc
	ds_bpermute_b32 v51, v48, v51
	v_cndmask_b32_e32 v50, v54, v50, vcc
	v_cndmask_b32_e32 v19, v54, v19, vcc
	v_cmp_gt_u32_e32 vcc, v49, v18
	s_waitcnt lgkmcnt(0)
	v_max_i16_e32 v50, v51, v50
	v_cndmask_b32_e32 v18, v50, v19, vcc
	v_max_i16_e32 v18, v18, v47
.LBB4000_64:                            ; =>This Loop Header: Depth=1
                                        ;     Child Loop BB4000_67 Depth 2
	v_cmp_ne_u16_sdwa s[2:3], v36, v35 src0_sel:BYTE_0 src1_sel:DWORD
	v_cndmask_b32_e64 v19, 0, 1, s[2:3]
	;;#ASMSTART
	;;#ASMEND
	v_cmp_ne_u32_e32 vcc, 0, v19
	s_cmp_lg_u64 vcc, exec
	v_mov_b32_e32 v47, v18
	s_cbranch_scc1 .LBB4000_69
; %bb.65:                               ;   in Loop: Header=BB4000_64 Depth=1
	v_lshlrev_b64 v[18:19], 2, v[14:15]
	v_mov_b32_e32 v36, s17
	v_add_co_u32_e32 v18, vcc, s16, v18
	v_addc_co_u32_e32 v19, vcc, v36, v19, vcc
	global_load_dword v50, v[18:19], off glc
	s_waitcnt vmcnt(0)
	v_lshrrev_b32_e32 v36, 16, v50
	v_cmp_eq_u16_sdwa s[8:9], v36, v15 src0_sel:BYTE_0 src1_sel:DWORD
	s_and_saveexec_b64 s[2:3], s[8:9]
	s_cbranch_execz .LBB4000_63
; %bb.66:                               ;   in Loop: Header=BB4000_64 Depth=1
	s_mov_b64 s[8:9], 0
.LBB4000_67:                            ;   Parent Loop BB4000_64 Depth=1
                                        ; =>  This Inner Loop Header: Depth=2
	global_load_dword v50, v[18:19], off glc
	s_waitcnt vmcnt(0)
	v_lshrrev_b32_e32 v36, 16, v50
	v_cmp_ne_u16_sdwa s[10:11], v36, v15 src0_sel:BYTE_0 src1_sel:DWORD
	s_or_b64 s[8:9], s[10:11], s[8:9]
	s_andn2_b64 exec, exec, s[8:9]
	s_cbranch_execnz .LBB4000_67
; %bb.68:                               ;   in Loop: Header=BB4000_64 Depth=1
	s_or_b64 exec, exec, s[8:9]
	s_branch .LBB4000_63
.LBB4000_69:                            ;   in Loop: Header=BB4000_64 Depth=1
                                        ; implicit-def: $vgpr18
                                        ; implicit-def: $vgpr36
	s_cbranch_execz .LBB4000_64
; %bb.70:
	s_and_saveexec_b64 s[2:3], s[0:1]
	s_cbranch_execz .LBB4000_72
; %bb.71:
	s_add_i32 s0, s6, 64
	s_mov_b32 s1, 0
	s_lshl_b64 s[0:1], s[0:1], 2
	v_max_i16_e32 v14, v47, v34
	s_add_u32 s0, s16, s0
	v_or_b32_e32 v14, 0x20000, v14
	s_addc_u32 s1, s17, s1
	v_mov_b32_e32 v15, 0
	global_store_dword v15, v14, s[0:1]
.LBB4000_72:
	s_or_b64 exec, exec, s[2:3]
	v_cmp_eq_u32_e32 vcc, 0, v0
	s_and_b64 exec, exec, vcc
	s_cbranch_execz .LBB4000_74
; %bb.73:
	v_mov_b32_e32 v14, 0
	ds_write_b16 v14, v47
.LBB4000_74:
	s_or_b64 exec, exec, s[18:19]
	v_mov_b32_e32 v14, 0
	s_waitcnt lgkmcnt(0)
	; wave barrier
	s_waitcnt lgkmcnt(0)
	ds_read_u16 v14, v14
	v_max_i16_e32 v15, v33, v10
	v_cmp_eq_u32_e32 vcc, 0, v0
	v_cndmask_b32_e32 v15, v15, v10, vcc
	s_waitcnt lgkmcnt(0)
	v_max_i16_e32 v14, v14, v15
	v_max_i16_sdwa v15, v14, v10 dst_sel:DWORD dst_unused:UNUSED_PAD src0_sel:DWORD src1_sel:WORD_1
	v_max_i16_e32 v16, v15, v11
	v_max_i16_e32 v17, v16, v31
	;; [unrolled: 1-line block ×22, first 2 shown]
	s_load_dwordx8 s[4:11], s[4:5], 0x40
	s_branch .LBB4000_85
.LBB4000_75:
                                        ; implicit-def: $vgpr14
                                        ; implicit-def: $vgpr15
                                        ; implicit-def: $vgpr16
                                        ; implicit-def: $vgpr17
                                        ; implicit-def: $vgpr18
                                        ; implicit-def: $vgpr19
                                        ; implicit-def: $vgpr34
                                        ; implicit-def: $vgpr36
                                        ; implicit-def: $vgpr33
                                        ; implicit-def: $vgpr35
                                        ; implicit-def: $vgpr37
                                        ; implicit-def: $vgpr38
                                        ; implicit-def: $vgpr39
                                        ; implicit-def: $vgpr40
                                        ; implicit-def: $vgpr42
                                        ; implicit-def: $vgpr44
                                        ; implicit-def: $vgpr41
                                        ; implicit-def: $vgpr43
                                        ; implicit-def: $vgpr45
                                        ; implicit-def: $vgpr46
                                        ; implicit-def: $vgpr47
                                        ; implicit-def: $vgpr48
                                        ; implicit-def: $vgpr49
                                        ; implicit-def: $vgpr50
	s_load_dwordx8 s[4:11], s[4:5], 0x40
	s_cbranch_execz .LBB4000_85
; %bb.76:
	s_waitcnt lgkmcnt(0)
	s_cmp_lg_u64 s[8:9], 0
	s_cselect_b64 s[2:3], -1, 0
	v_cmp_eq_u32_e64 s[0:1], 0, v0
	v_cmp_ne_u32_e32 vcc, 0, v0
	s_and_b64 s[2:3], s[0:1], s[2:3]
	v_mov_b32_e32 v14, v10
	s_and_saveexec_b64 s[0:1], s[2:3]
	s_cbranch_execz .LBB4000_78
; %bb.77:
	v_mov_b32_e32 v14, 0
	global_load_ushort v14, v14, s[4:5]
	s_waitcnt vmcnt(0)
	v_max_i16_e32 v14, v14, v10
.LBB4000_78:
	s_or_b64 exec, exec, s[0:1]
	v_max_i16_sdwa v15, v14, v10 dst_sel:DWORD dst_unused:UNUSED_PAD src0_sel:DWORD src1_sel:WORD_1
	v_max_i16_e32 v16, v15, v11
	v_max_i16_e32 v17, v16, v31
	;; [unrolled: 1-line block ×22, first 2 shown]
	v_mbcnt_hi_u32_b32 v32, -1, v32
	v_and_b32_e32 v51, 15, v32
	v_mov_b32_dpp v52, v50 row_shr:1 row_mask:0xf bank_mask:0xf
	v_max_i16_e32 v52, v52, v50
	v_cmp_eq_u32_e64 s[0:1], 0, v51
	v_cndmask_b32_e64 v52, v52, v50, s[0:1]
	v_and_b32_e32 v53, 0xffff, v52
	v_cmp_lt_u32_e64 s[0:1], 1, v51
	s_nop 0
	v_mov_b32_dpp v53, v53 row_shr:2 row_mask:0xf bank_mask:0xf
	v_max_i16_e32 v53, v53, v52
	v_cndmask_b32_e64 v52, v52, v53, s[0:1]
	v_and_b32_e32 v53, 0xffff, v52
	v_cmp_lt_u32_e64 s[0:1], 3, v51
	s_nop 0
	v_mov_b32_dpp v53, v53 row_shr:4 row_mask:0xf bank_mask:0xf
	v_max_i16_e32 v53, v53, v52
	;; [unrolled: 6-line block ×3, first 2 shown]
	v_cndmask_b32_e64 v51, v52, v53, s[0:1]
	v_and_b32_e32 v52, 0xffff, v51
	v_and_b32_e32 v53, 16, v32
	v_cmp_eq_u32_e64 s[0:1], 0, v53
	v_mov_b32_dpp v52, v52 row_bcast:15 row_mask:0xf bank_mask:0xf
	v_max_i16_e32 v52, v52, v51
	v_cndmask_b32_e64 v51, v52, v51, s[0:1]
	v_and_b32_e32 v52, 0xffff, v51
	v_cmp_lt_u32_e64 s[0:1], 31, v32
	s_nop 0
	v_mov_b32_dpp v52, v52 row_bcast:31 row_mask:0xf bank_mask:0xf
	v_max_i16_e32 v52, v52, v51
	v_cndmask_b32_e64 v51, v51, v52, s[0:1]
	v_cmp_eq_u32_e64 s[0:1], 63, v0
	s_and_saveexec_b64 s[2:3], s[0:1]
	s_cbranch_execz .LBB4000_80
; %bb.79:
	v_mov_b32_e32 v52, 0
	ds_write_b16 v52, v51
.LBB4000_80:
	s_or_b64 exec, exec, s[2:3]
	v_add_u32_e32 v52, -1, v32
	v_and_b32_e32 v53, 64, v32
	v_cmp_lt_i32_e64 s[2:3], v52, v53
	v_cndmask_b32_e64 v32, v52, v32, s[2:3]
	v_and_b32_e32 v51, 0xffff, v51
	v_lshlrev_b32_e32 v32, 2, v32
	ds_bpermute_b32 v32, v32, v51
	s_waitcnt lgkmcnt(0)
	; wave barrier
	s_waitcnt lgkmcnt(0)
	s_and_saveexec_b64 s[2:3], vcc
	s_cbranch_execz .LBB4000_82
; %bb.81:
	v_max_i16_e32 v14, v32, v14
	v_max_i16_sdwa v15, v14, v10 dst_sel:DWORD dst_unused:UNUSED_PAD src0_sel:DWORD src1_sel:WORD_1
	v_max_i16_e32 v16, v15, v11
	v_max_i16_e32 v17, v16, v31
	;; [unrolled: 1-line block ×22, first 2 shown]
	;;#ASMSTART
	;;#ASMEND
.LBB4000_82:
	s_or_b64 exec, exec, s[2:3]
	s_and_saveexec_b64 s[2:3], s[0:1]
	s_cbranch_execz .LBB4000_84
; %bb.83:
	s_mov_b32 s0, 0x20000
	v_mov_b32_e32 v1, 0
	v_or_b32_sdwa v2, v50, s0 dst_sel:DWORD dst_unused:UNUSED_PAD src0_sel:WORD_0 src1_sel:DWORD
	global_store_dword v1, v2, s[16:17] offset:256
.LBB4000_84:
	s_or_b64 exec, exec, s[2:3]
.LBB4000_85:
	s_mov_b32 s0, 0x5040100
	v_perm_b32 v5, v36, v34, s0
	v_perm_b32 v4, v19, v18, s0
	v_perm_b32 v3, v17, v16, s0
	v_perm_b32 v2, v15, v14, s0
	s_waitcnt lgkmcnt(0)
	; wave barrier
	s_waitcnt lgkmcnt(0)
	ds_write_b128 v21, v[2:5]
	v_perm_b32 v5, v44, v42, s0
	v_perm_b32 v4, v40, v39, s0
	;; [unrolled: 1-line block ×4, first 2 shown]
	ds_write_b128 v21, v[2:5] offset:16
	v_perm_b32 v5, v50, v49, s0
	v_perm_b32 v4, v48, v47, s0
	;; [unrolled: 1-line block ×4, first 2 shown]
	s_mov_b64 s[0:1], -1
	s_and_b64 vcc, exec, s[14:15]
	ds_write_b128 v21, v[2:5] offset:32
	s_waitcnt lgkmcnt(0)
	s_cbranch_vccz .LBB4000_87
; %bb.86:
	; wave barrier
	s_mov_b64 s[0:1], 0
.LBB4000_87:
	s_andn2_b64 vcc, exec, s[0:1]
	s_cbranch_vccnz .LBB4000_96
; %bb.88:
	v_cmp_lt_u64_e64 s[0:1], s[10:11], 2
	s_and_b64 vcc, exec, s[0:1]
	; wave barrier
	s_cbranch_vccnz .LBB4000_96
; %bb.89:
	s_add_u32 s0, s20, -1
	s_addc_u32 s1, s21, -1
	s_add_u32 s2, 0, 0xaaaa0000
	s_addc_u32 s3, 0, 42
	s_add_i32 s3, s3, 0xaaaaa80
	s_mul_hi_u32 s9, s2, 0xffffffe8
	s_sub_i32 s9, s9, s2
	s_mul_i32 s10, s3, 0xffffffe8
	s_mul_i32 s4, s2, 0xffffffe8
	s_add_i32 s9, s9, s10
	s_mul_hi_u32 s5, s3, s4
	s_mul_i32 s8, s3, s4
	s_mul_i32 s11, s2, s9
	s_mul_hi_u32 s4, s2, s4
	s_mul_hi_u32 s10, s2, s9
	s_add_u32 s4, s4, s11
	s_addc_u32 s10, 0, s10
	s_add_u32 s4, s4, s8
	s_mul_hi_u32 s11, s3, s9
	s_addc_u32 s4, s10, s5
	s_addc_u32 s5, s11, 0
	s_mul_i32 s8, s3, s9
	s_add_u32 s4, s4, s8
	v_mov_b32_e32 v2, s4
	s_addc_u32 s5, 0, s5
	v_add_co_u32_e32 v2, vcc, s2, v2
	s_cmp_lg_u64 vcc, 0
	s_addc_u32 s2, s3, s5
	v_readfirstlane_b32 s5, v2
	s_mul_i32 s4, s0, s2
	s_mul_hi_u32 s8, s0, s5
	s_mul_hi_u32 s3, s0, s2
	s_add_u32 s4, s8, s4
	s_addc_u32 s3, 0, s3
	s_mul_hi_u32 s9, s1, s5
	s_mul_i32 s5, s1, s5
	s_add_u32 s4, s4, s5
	s_mul_hi_u32 s8, s1, s2
	s_addc_u32 s3, s3, s9
	s_addc_u32 s4, s8, 0
	s_mul_i32 s2, s1, s2
	s_add_u32 s2, s3, s2
	s_addc_u32 s3, 0, s4
	s_add_u32 s4, s2, 1
	s_addc_u32 s5, s3, 0
	s_add_u32 s8, s2, 2
	s_mul_i32 s10, s3, 24
	s_mul_hi_u32 s11, s2, 24
	s_addc_u32 s9, s3, 0
	s_add_i32 s11, s11, s10
	s_mul_i32 s10, s2, 24
	v_mov_b32_e32 v2, s10
	v_sub_co_u32_e32 v2, vcc, s0, v2
	s_cmp_lg_u64 vcc, 0
	s_subb_u32 s10, s1, s11
	v_subrev_co_u32_e32 v3, vcc, 24, v2
	s_cmp_lg_u64 vcc, 0
	s_subb_u32 s11, s10, 0
	v_readfirstlane_b32 s12, v3
	s_cmp_gt_u32 s12, 23
	s_cselect_b32 s12, -1, 0
	s_cmp_eq_u32 s11, 0
	s_cselect_b32 s11, s12, -1
	s_cmp_lg_u32 s11, 0
	s_cselect_b32 s4, s8, s4
	v_readfirstlane_b32 s8, v2
	s_cselect_b32 s5, s9, s5
	s_cmp_gt_u32 s8, 23
	s_cselect_b32 s8, -1, 0
	s_cmp_eq_u32 s10, 0
	s_cselect_b32 s8, s8, -1
	s_cmp_lg_u32 s8, 0
	v_mov_b32_e32 v1, 0
	s_cselect_b32 s3, s5, s3
	s_cselect_b32 s2, s4, s2
	v_cmp_eq_u64_e32 vcc, s[2:3], v[0:1]
	s_and_saveexec_b64 s[2:3], vcc
	s_cbranch_execz .LBB4000_96
; %bb.90:
	s_movk_i32 s2, 0xffd2
	v_mad_i32_i24 v2, v0, s2, v21
	v_mul_hi_u32_u24_e32 v1, 24, v0
	v_mov_b32_e32 v3, s1
	v_sub_co_u32_e32 v0, vcc, s0, v20
	v_subb_co_u32_e32 v1, vcc, v3, v1, vcc
	v_cmp_lt_i64_e32 vcc, 11, v[0:1]
	s_mov_b64 s[0:1], 0
	s_mov_b64 s[10:11], 0
	s_mov_b64 s[8:9], 0
	s_mov_b64 s[4:5], 0
                                        ; implicit-def: $vgpr3
                                        ; implicit-def: $vgpr4
                                        ; implicit-def: $vgpr5
	s_and_saveexec_b64 s[2:3], vcc
	s_xor_b64 s[2:3], exec, s[2:3]
	s_cbranch_execnz .LBB4000_97
; %bb.91:
	s_andn2_saveexec_b64 s[2:3], s[2:3]
	s_cbranch_execnz .LBB4000_142
.LBB4000_92:
	s_or_b64 exec, exec, s[2:3]
	s_and_saveexec_b64 s[2:3], s[10:11]
	s_cbranch_execnz .LBB4000_159
.LBB4000_93:
	s_or_b64 exec, exec, s[2:3]
	s_and_saveexec_b64 s[2:3], s[8:9]
	s_cbranch_execnz .LBB4000_160
.LBB4000_94:
	s_or_b64 exec, exec, s[2:3]
	s_and_saveexec_b64 s[2:3], s[4:5]
	s_xor_b64 s[2:3], exec, s[2:3]
	s_cbranch_execnz .LBB4000_161
.LBB4000_95:
	s_or_b64 exec, exec, s[2:3]
	s_and_b64 exec, exec, s[0:1]
	s_cbranch_execnz .LBB4000_162
.LBB4000_96:
	s_endpgm
.LBB4000_97:
	v_cmp_lt_i64_e32 vcc, 17, v[0:1]
                                        ; implicit-def: $vgpr3
                                        ; implicit-def: $vgpr4
                                        ; implicit-def: $vgpr5
	s_and_saveexec_b64 s[12:13], vcc
	s_xor_b64 s[12:13], exec, s[12:13]
	s_cbranch_execz .LBB4000_119
; %bb.98:
	v_cmp_lt_i64_e32 vcc, 20, v[0:1]
                                        ; implicit-def: $vgpr3
                                        ; implicit-def: $vgpr4
	s_and_saveexec_b64 s[14:15], vcc
	s_xor_b64 s[14:15], exec, s[14:15]
	s_cbranch_execz .LBB4000_108
; %bb.99:
	v_cmp_lt_i64_e32 vcc, 21, v[0:1]
	s_mov_b64 s[16:17], 0
                                        ; implicit-def: $vgpr3
	s_and_saveexec_b64 s[4:5], vcc
	s_xor_b64 s[4:5], exec, s[4:5]
	s_cbranch_execz .LBB4000_105
; %bb.100:
	v_cmp_lt_i64_e32 vcc, 22, v[0:1]
	s_and_saveexec_b64 s[16:17], vcc
	s_xor_b64 s[16:17], exec, s[16:17]
	s_cbranch_execz .LBB4000_102
; %bb.101:
	ds_read_u16 v3, v2 offset:2944
	v_mov_b32_e32 v4, 0
	s_waitcnt lgkmcnt(0)
	global_store_short v4, v3, s[6:7]
.LBB4000_102:
	s_or_saveexec_b64 s[16:17], s[16:17]
	s_mov_b64 s[18:19], 0
                                        ; implicit-def: $vgpr3
	s_xor_b64 exec, exec, s[16:17]
	s_cbranch_execz .LBB4000_104
; %bb.103:
	ds_read_u16 v3, v2 offset:2816
	s_mov_b64 s[18:19], exec
.LBB4000_104:
	s_or_b64 exec, exec, s[16:17]
	s_and_b64 s[16:17], s[18:19], exec
.LBB4000_105:
	s_or_saveexec_b64 s[4:5], s[4:5]
                                        ; implicit-def: $vgpr4
	s_xor_b64 exec, exec, s[4:5]
	s_cbranch_execz .LBB4000_107
; %bb.106:
	ds_read_u16 v4, v2 offset:2688
	s_mov_b64 s[8:9], exec
                                        ; implicit-def: $vgpr3
.LBB4000_107:
	s_or_b64 exec, exec, s[4:5]
	s_and_b64 s[4:5], s[16:17], exec
	s_and_b64 s[8:9], s[8:9], exec
.LBB4000_108:
	s_or_saveexec_b64 s[14:15], s[14:15]
                                        ; implicit-def: $vgpr5
	s_xor_b64 exec, exec, s[14:15]
	s_cbranch_execz .LBB4000_118
; %bb.109:
	v_cmp_lt_i64_e32 vcc, 18, v[0:1]
	s_mov_b64 s[16:17], 0
                                        ; implicit-def: $vgpr5
	s_and_saveexec_b64 s[10:11], vcc
	s_xor_b64 s[10:11], exec, s[10:11]
	s_cbranch_execz .LBB4000_115
; %bb.110:
	v_cmp_lt_i64_e32 vcc, 19, v[0:1]
                                        ; implicit-def: $vgpr5
	s_and_saveexec_b64 s[18:19], vcc
	s_xor_b64 s[18:19], exec, s[18:19]
	s_cbranch_execz .LBB4000_112
; %bb.111:
	ds_read_u16 v5, v2 offset:2560
	s_mov_b64 s[16:17], exec
.LBB4000_112:
	s_andn2_saveexec_b64 s[18:19], s[18:19]
	s_cbranch_execz .LBB4000_114
; %bb.113:
	s_waitcnt lgkmcnt(0)
	ds_read_u16 v3, v2 offset:2432
	v_mov_b32_e32 v4, 0
                                        ; implicit-def: $vgpr5
	s_waitcnt lgkmcnt(0)
	global_store_short v4, v3, s[6:7]
.LBB4000_114:
	s_or_b64 exec, exec, s[18:19]
	s_and_b64 s[16:17], s[16:17], exec
.LBB4000_115:
	s_andn2_saveexec_b64 s[10:11], s[10:11]
	s_cbranch_execz .LBB4000_117
; %bb.116:
	s_waitcnt lgkmcnt(0)
	ds_read_u16 v3, v2 offset:2304
	v_mov_b32_e32 v4, 0
                                        ; implicit-def: $vgpr5
	s_waitcnt lgkmcnt(0)
	global_store_short v4, v3, s[6:7]
.LBB4000_117:
	s_or_b64 exec, exec, s[10:11]
	s_and_b64 s[10:11], s[16:17], exec
                                        ; implicit-def: $vgpr3
                                        ; implicit-def: $vgpr4
.LBB4000_118:
	s_or_b64 exec, exec, s[14:15]
	s_and_b64 s[4:5], s[4:5], exec
	s_and_b64 s[8:9], s[8:9], exec
	;; [unrolled: 1-line block ×3, first 2 shown]
.LBB4000_119:
	s_andn2_saveexec_b64 s[12:13], s[12:13]
	s_cbranch_execz .LBB4000_141
; %bb.120:
	v_cmp_lt_i64_e32 vcc, 14, v[0:1]
	s_mov_b64 s[14:15], s[4:5]
                                        ; implicit-def: $vgpr3
	s_and_saveexec_b64 s[16:17], vcc
	s_xor_b64 s[16:17], exec, s[16:17]
	s_cbranch_execz .LBB4000_130
; %bb.121:
	v_cmp_lt_i64_e32 vcc, 15, v[0:1]
	s_and_saveexec_b64 s[14:15], vcc
	s_xor_b64 s[14:15], exec, s[14:15]
	s_cbranch_execz .LBB4000_127
; %bb.122:
	v_cmp_lt_i64_e32 vcc, 16, v[0:1]
	s_and_saveexec_b64 s[18:19], vcc
	s_xor_b64 s[18:19], exec, s[18:19]
	s_cbranch_execz .LBB4000_124
; %bb.123:
	s_waitcnt lgkmcnt(0)
	ds_read_u16 v3, v2 offset:2176
	v_mov_b32_e32 v4, 0
	s_waitcnt lgkmcnt(0)
	global_store_short v4, v3, s[6:7]
.LBB4000_124:
	s_andn2_saveexec_b64 s[18:19], s[18:19]
	s_cbranch_execz .LBB4000_126
; %bb.125:
	s_waitcnt lgkmcnt(0)
	ds_read_u16 v3, v2 offset:2048
	v_mov_b32_e32 v4, 0
	s_waitcnt lgkmcnt(0)
	global_store_short v4, v3, s[6:7]
.LBB4000_126:
	s_or_b64 exec, exec, s[18:19]
.LBB4000_127:
	s_or_saveexec_b64 s[14:15], s[14:15]
	s_mov_b64 s[18:19], s[4:5]
                                        ; implicit-def: $vgpr3
	s_xor_b64 exec, exec, s[14:15]
	s_cbranch_execz .LBB4000_129
; %bb.128:
	s_waitcnt lgkmcnt(0)
	ds_read_u16 v3, v2 offset:1920
	s_or_b64 s[18:19], s[4:5], exec
.LBB4000_129:
	s_or_b64 exec, exec, s[14:15]
	s_andn2_b64 s[14:15], s[4:5], exec
	s_and_b64 s[18:19], s[18:19], exec
	s_or_b64 s[14:15], s[14:15], s[18:19]
.LBB4000_130:
	s_or_saveexec_b64 s[16:17], s[16:17]
	s_mov_b64 s[18:19], s[8:9]
                                        ; implicit-def: $vgpr4
	s_xor_b64 exec, exec, s[16:17]
	s_cbranch_execz .LBB4000_140
; %bb.131:
	v_cmp_lt_i64_e32 vcc, 12, v[0:1]
	s_mov_b64 s[20:21], s[8:9]
	s_mov_b64 s[22:23], s[14:15]
                                        ; implicit-def: $vgpr3
                                        ; implicit-def: $vgpr4
	s_and_saveexec_b64 s[18:19], vcc
	s_xor_b64 s[18:19], exec, s[18:19]
	s_cbranch_execz .LBB4000_137
; %bb.132:
	v_cmp_lt_i64_e32 vcc, 13, v[0:1]
	s_mov_b64 s[20:21], s[14:15]
                                        ; implicit-def: $vgpr3
	s_and_saveexec_b64 s[22:23], vcc
	s_xor_b64 s[22:23], exec, s[22:23]
	s_cbranch_execz .LBB4000_134
; %bb.133:
	s_waitcnt lgkmcnt(0)
	ds_read_u16 v3, v2 offset:1792
	s_or_b64 s[20:21], s[14:15], exec
.LBB4000_134:
	s_or_saveexec_b64 s[22:23], s[22:23]
	s_mov_b64 s[24:25], s[8:9]
                                        ; implicit-def: $vgpr4
	s_xor_b64 exec, exec, s[22:23]
	s_cbranch_execz .LBB4000_136
; %bb.135:
	s_waitcnt lgkmcnt(0)
	ds_read_u16 v4, v2 offset:1664
	s_or_b64 s[24:25], s[8:9], exec
                                        ; implicit-def: $vgpr3
.LBB4000_136:
	s_or_b64 exec, exec, s[22:23]
	s_andn2_b64 s[22:23], s[14:15], exec
	s_and_b64 s[20:21], s[20:21], exec
	s_or_b64 s[22:23], s[22:23], s[20:21]
	s_andn2_b64 s[20:21], s[8:9], exec
	s_and_b64 s[24:25], s[24:25], exec
	s_or_b64 s[20:21], s[20:21], s[24:25]
.LBB4000_137:
	s_andn2_saveexec_b64 s[18:19], s[18:19]
	s_cbranch_execz .LBB4000_139
; %bb.138:
	s_waitcnt lgkmcnt(0)
	ds_read_u16 v4, v2 offset:1536
	s_or_b64 s[20:21], s[20:21], exec
                                        ; implicit-def: $vgpr3
.LBB4000_139:
	s_or_b64 exec, exec, s[18:19]
	s_andn2_b64 s[14:15], s[14:15], exec
	s_and_b64 s[18:19], s[22:23], exec
	s_or_b64 s[14:15], s[14:15], s[18:19]
	s_andn2_b64 s[18:19], s[8:9], exec
	s_and_b64 s[20:21], s[20:21], exec
	s_or_b64 s[18:19], s[18:19], s[20:21]
.LBB4000_140:
	s_or_b64 exec, exec, s[16:17]
	s_andn2_b64 s[4:5], s[4:5], exec
	s_and_b64 s[14:15], s[14:15], exec
	s_or_b64 s[4:5], s[4:5], s[14:15]
	s_andn2_b64 s[8:9], s[8:9], exec
	s_and_b64 s[14:15], s[18:19], exec
	s_or_b64 s[8:9], s[8:9], s[14:15]
                                        ; implicit-def: $vgpr5
.LBB4000_141:
	s_or_b64 exec, exec, s[12:13]
	s_and_b64 s[4:5], s[4:5], exec
	s_and_b64 s[8:9], s[8:9], exec
	;; [unrolled: 1-line block ×3, first 2 shown]
	s_andn2_saveexec_b64 s[2:3], s[2:3]
	s_cbranch_execz .LBB4000_92
.LBB4000_142:
	v_cmp_lt_i64_e32 vcc, 5, v[0:1]
	s_mov_b64 s[14:15], -1
	s_mov_b64 s[12:13], s[10:11]
	s_mov_b64 s[16:17], s[8:9]
	;; [unrolled: 1-line block ×3, first 2 shown]
                                        ; implicit-def: $vgpr3
                                        ; implicit-def: $vgpr4
                                        ; implicit-def: $vgpr5
	s_and_saveexec_b64 s[0:1], vcc
	s_cbranch_execz .LBB4000_158
; %bb.143:
	v_cmp_lt_i64_e32 vcc, 8, v[0:1]
	s_mov_b64 s[12:13], s[10:11]
                                        ; implicit-def: $vgpr5
	s_and_saveexec_b64 s[14:15], vcc
	s_xor_b64 s[14:15], exec, s[14:15]
	s_cbranch_execz .LBB4000_153
; %bb.144:
	v_cmp_lt_i64_e32 vcc, 9, v[0:1]
                                        ; implicit-def: $vgpr5
	s_and_saveexec_b64 s[12:13], vcc
	s_xor_b64 s[12:13], exec, s[12:13]
	s_cbranch_execz .LBB4000_150
; %bb.145:
	v_cmp_lt_i64_e32 vcc, 10, v[0:1]
                                        ; implicit-def: $vgpr5
	s_and_saveexec_b64 s[16:17], vcc
	s_xor_b64 s[16:17], exec, s[16:17]
	s_cbranch_execz .LBB4000_147
; %bb.146:
	s_waitcnt lgkmcnt(0)
	ds_read_u16 v5, v2 offset:1408
.LBB4000_147:
	s_andn2_saveexec_b64 s[16:17], s[16:17]
	s_cbranch_execz .LBB4000_149
; %bb.148:
	s_waitcnt lgkmcnt(0)
	ds_read_u16 v5, v2 offset:1280
.LBB4000_149:
	s_or_b64 exec, exec, s[16:17]
.LBB4000_150:
	s_andn2_saveexec_b64 s[12:13], s[12:13]
	s_cbranch_execz .LBB4000_152
; %bb.151:
	s_waitcnt lgkmcnt(0)
	ds_read_u16 v5, v2 offset:1152
.LBB4000_152:
	s_or_b64 exec, exec, s[12:13]
	s_or_b64 s[12:13], s[10:11], exec
.LBB4000_153:
	s_or_saveexec_b64 s[14:15], s[14:15]
	s_mov_b64 s[16:17], s[8:9]
	s_mov_b64 s[20:21], s[4:5]
                                        ; implicit-def: $vgpr3
                                        ; implicit-def: $vgpr4
	s_xor_b64 exec, exec, s[14:15]
	s_cbranch_execz .LBB4000_157
; %bb.154:
	s_waitcnt lgkmcnt(0)
	ds_read_u16 v3, v2 offset:768
	v_cmp_lt_i64_e32 vcc, 6, v[0:1]
	s_mov_b64 s[20:21], -1
	s_mov_b64 s[18:19], s[12:13]
	s_mov_b64 s[16:17], s[8:9]
                                        ; implicit-def: $vgpr4
                                        ; implicit-def: $vgpr5
	s_and_saveexec_b64 s[22:23], vcc
	s_cbranch_execz .LBB4000_156
; %bb.155:
	ds_read_u16 v4, v2 offset:896
	ds_read_u16 v5, v2 offset:1024
	v_cmp_lt_i64_e32 vcc, 7, v[0:1]
	s_andn2_b64 s[18:19], s[12:13], exec
	s_and_b64 s[24:25], vcc, exec
	s_xor_b64 s[20:21], exec, -1
	s_or_b64 s[16:17], s[8:9], exec
	s_or_b64 s[18:19], s[18:19], s[24:25]
                                        ; implicit-def: $vgpr3
.LBB4000_156:
	s_or_b64 exec, exec, s[22:23]
	s_andn2_b64 s[22:23], s[4:5], exec
	s_and_b64 s[20:21], s[20:21], exec
	s_or_b64 s[20:21], s[22:23], s[20:21]
	s_andn2_b64 s[22:23], s[8:9], exec
	s_and_b64 s[16:17], s[16:17], exec
	s_andn2_b64 s[12:13], s[12:13], exec
	s_and_b64 s[18:19], s[18:19], exec
	s_or_b64 s[16:17], s[22:23], s[16:17]
	s_or_b64 s[12:13], s[12:13], s[18:19]
.LBB4000_157:
	s_or_b64 exec, exec, s[14:15]
	s_andn2_b64 s[18:19], s[4:5], exec
	s_and_b64 s[20:21], s[20:21], exec
	s_or_b64 s[18:19], s[18:19], s[20:21]
	s_andn2_b64 s[20:21], s[8:9], exec
	s_and_b64 s[16:17], s[16:17], exec
	s_or_b64 s[16:17], s[20:21], s[16:17]
	s_andn2_b64 s[20:21], s[10:11], exec
	s_and_b64 s[12:13], s[12:13], exec
	s_xor_b64 s[14:15], exec, -1
	s_or_b64 s[12:13], s[20:21], s[12:13]
.LBB4000_158:
	s_or_b64 exec, exec, s[0:1]
	s_and_b64 s[0:1], s[14:15], exec
	s_andn2_b64 s[4:5], s[4:5], exec
	s_and_b64 s[14:15], s[18:19], exec
	s_or_b64 s[4:5], s[4:5], s[14:15]
	s_andn2_b64 s[8:9], s[8:9], exec
	s_and_b64 s[14:15], s[16:17], exec
	s_andn2_b64 s[10:11], s[10:11], exec
	s_and_b64 s[12:13], s[12:13], exec
	s_or_b64 s[8:9], s[8:9], s[14:15]
	s_or_b64 s[10:11], s[10:11], s[12:13]
	s_or_b64 exec, exec, s[2:3]
	s_and_saveexec_b64 s[2:3], s[10:11]
	s_cbranch_execz .LBB4000_93
.LBB4000_159:
	s_waitcnt lgkmcnt(0)
	v_mov_b32_e32 v3, 0
	s_andn2_b64 s[8:9], s[8:9], exec
	global_store_short v3, v5, s[6:7]
                                        ; implicit-def: $vgpr3
                                        ; implicit-def: $vgpr4
	s_or_b64 exec, exec, s[2:3]
	s_and_saveexec_b64 s[2:3], s[8:9]
	s_cbranch_execz .LBB4000_94
.LBB4000_160:
	s_waitcnt lgkmcnt(0)
	v_mov_b32_e32 v3, 0
	global_store_short v3, v4, s[6:7]
                                        ; implicit-def: $vgpr3
	s_or_b64 exec, exec, s[2:3]
	s_and_saveexec_b64 s[2:3], s[4:5]
	s_xor_b64 s[2:3], exec, s[2:3]
	s_cbranch_execz .LBB4000_95
.LBB4000_161:
	s_waitcnt lgkmcnt(0)
	v_mov_b32_e32 v4, 0
	global_store_short v4, v3, s[6:7]
	s_or_b64 exec, exec, s[2:3]
	s_and_b64 exec, exec, s[0:1]
	s_cbranch_execz .LBB4000_96
.LBB4000_162:
	v_cmp_lt_i64_e32 vcc, 2, v[0:1]
	s_and_saveexec_b64 s[0:1], vcc
	s_xor_b64 s[0:1], exec, s[0:1]
	s_cbranch_execz .LBB4000_172
; %bb.163:
	v_cmp_lt_i64_e32 vcc, 3, v[0:1]
	s_and_saveexec_b64 s[2:3], vcc
	s_xor_b64 s[2:3], exec, s[2:3]
	s_cbranch_execz .LBB4000_169
; %bb.164:
	;; [unrolled: 5-line block ×3, first 2 shown]
	ds_read_u16 v0, v2 offset:640
	v_mov_b32_e32 v1, 0
                                        ; implicit-def: $vgpr2
	s_waitcnt lgkmcnt(0)
	global_store_short v1, v0, s[6:7]
.LBB4000_166:
	s_andn2_saveexec_b64 s[4:5], s[4:5]
	s_cbranch_execz .LBB4000_168
; %bb.167:
	ds_read_u16 v0, v2 offset:512
	v_mov_b32_e32 v1, 0
	s_waitcnt lgkmcnt(0)
	global_store_short v1, v0, s[6:7]
.LBB4000_168:
	s_or_b64 exec, exec, s[4:5]
                                        ; implicit-def: $vgpr2
.LBB4000_169:
	s_andn2_saveexec_b64 s[2:3], s[2:3]
	s_cbranch_execz .LBB4000_171
; %bb.170:
	ds_read_u16 v0, v2 offset:384
	v_mov_b32_e32 v1, 0
	s_waitcnt lgkmcnt(0)
	global_store_short v1, v0, s[6:7]
.LBB4000_171:
	s_or_b64 exec, exec, s[2:3]
                                        ; implicit-def: $vgpr0_vgpr1
                                        ; implicit-def: $vgpr2
.LBB4000_172:
	s_andn2_saveexec_b64 s[0:1], s[0:1]
	s_cbranch_execz .LBB4000_96
; %bb.173:
	v_cmp_lt_i64_e32 vcc, 1, v[0:1]
	s_and_saveexec_b64 s[0:1], vcc
	s_xor_b64 s[0:1], exec, s[0:1]
	s_cbranch_execz .LBB4000_175
; %bb.174:
	ds_read_u16 v0, v2 offset:256
	v_mov_b32_e32 v1, 0
                                        ; implicit-def: $vgpr2
	s_waitcnt lgkmcnt(0)
	global_store_short v1, v0, s[6:7]
                                        ; implicit-def: $vgpr0_vgpr1
.LBB4000_175:
	s_andn2_saveexec_b64 s[0:1], s[0:1]
	s_cbranch_execz .LBB4000_96
; %bb.176:
	v_cmp_ne_u64_e32 vcc, 1, v[0:1]
	s_and_saveexec_b64 s[0:1], vcc
	s_xor_b64 s[0:1], exec, s[0:1]
	s_cbranch_execz .LBB4000_178
; %bb.177:
	ds_read_u16 v0, v2
	v_mov_b32_e32 v1, 0
                                        ; implicit-def: $vgpr2
	s_waitcnt lgkmcnt(0)
	global_store_short v1, v0, s[6:7]
.LBB4000_178:
	s_andn2_saveexec_b64 s[0:1], s[0:1]
	s_cbranch_execz .LBB4000_96
; %bb.179:
	ds_read_u16 v0, v2 offset:128
	v_mov_b32_e32 v1, 0
	s_waitcnt lgkmcnt(0)
	global_store_short v1, v0, s[6:7]
	s_endpgm
	.section	.rodata,"a",@progbits
	.p2align	6, 0x0
	.amdhsa_kernel _ZN7rocprim17ROCPRIM_400000_NS6detail17trampoline_kernelINS0_14default_configENS1_20scan_config_selectorIsEEZZNS1_9scan_implILNS1_25lookback_scan_determinismE0ELb0ELb0ES3_N6thrust23THRUST_200600_302600_NS6detail15normal_iteratorINS9_10device_ptrIsEEEENS9_16discard_iteratorINS9_11use_defaultEEEs11max_functorIsEsEEDaPvRmT3_T4_T5_mT6_P12ihipStream_tbENKUlT_T0_E_clISt17integral_constantIbLb0EESX_EEDaSS_ST_EUlSS_E_NS1_11comp_targetILNS1_3genE4ELNS1_11target_archE910ELNS1_3gpuE8ELNS1_3repE0EEENS1_30default_config_static_selectorELNS0_4arch9wavefront6targetE1EEEvT1_
		.amdhsa_group_segment_fixed_size 3072
		.amdhsa_private_segment_fixed_size 0
		.amdhsa_kernarg_size 104
		.amdhsa_user_sgpr_count 6
		.amdhsa_user_sgpr_private_segment_buffer 1
		.amdhsa_user_sgpr_dispatch_ptr 0
		.amdhsa_user_sgpr_queue_ptr 0
		.amdhsa_user_sgpr_kernarg_segment_ptr 1
		.amdhsa_user_sgpr_dispatch_id 0
		.amdhsa_user_sgpr_flat_scratch_init 0
		.amdhsa_user_sgpr_kernarg_preload_length 0
		.amdhsa_user_sgpr_kernarg_preload_offset 0
		.amdhsa_user_sgpr_private_segment_size 0
		.amdhsa_uses_dynamic_stack 0
		.amdhsa_system_sgpr_private_segment_wavefront_offset 0
		.amdhsa_system_sgpr_workgroup_id_x 1
		.amdhsa_system_sgpr_workgroup_id_y 0
		.amdhsa_system_sgpr_workgroup_id_z 0
		.amdhsa_system_sgpr_workgroup_info 0
		.amdhsa_system_vgpr_workitem_id 0
		.amdhsa_next_free_vgpr 56
		.amdhsa_next_free_sgpr 26
		.amdhsa_accum_offset 56
		.amdhsa_reserve_vcc 1
		.amdhsa_reserve_flat_scratch 0
		.amdhsa_float_round_mode_32 0
		.amdhsa_float_round_mode_16_64 0
		.amdhsa_float_denorm_mode_32 3
		.amdhsa_float_denorm_mode_16_64 3
		.amdhsa_dx10_clamp 1
		.amdhsa_ieee_mode 1
		.amdhsa_fp16_overflow 0
		.amdhsa_tg_split 0
		.amdhsa_exception_fp_ieee_invalid_op 0
		.amdhsa_exception_fp_denorm_src 0
		.amdhsa_exception_fp_ieee_div_zero 0
		.amdhsa_exception_fp_ieee_overflow 0
		.amdhsa_exception_fp_ieee_underflow 0
		.amdhsa_exception_fp_ieee_inexact 0
		.amdhsa_exception_int_div_zero 0
	.end_amdhsa_kernel
	.section	.text._ZN7rocprim17ROCPRIM_400000_NS6detail17trampoline_kernelINS0_14default_configENS1_20scan_config_selectorIsEEZZNS1_9scan_implILNS1_25lookback_scan_determinismE0ELb0ELb0ES3_N6thrust23THRUST_200600_302600_NS6detail15normal_iteratorINS9_10device_ptrIsEEEENS9_16discard_iteratorINS9_11use_defaultEEEs11max_functorIsEsEEDaPvRmT3_T4_T5_mT6_P12ihipStream_tbENKUlT_T0_E_clISt17integral_constantIbLb0EESX_EEDaSS_ST_EUlSS_E_NS1_11comp_targetILNS1_3genE4ELNS1_11target_archE910ELNS1_3gpuE8ELNS1_3repE0EEENS1_30default_config_static_selectorELNS0_4arch9wavefront6targetE1EEEvT1_,"axG",@progbits,_ZN7rocprim17ROCPRIM_400000_NS6detail17trampoline_kernelINS0_14default_configENS1_20scan_config_selectorIsEEZZNS1_9scan_implILNS1_25lookback_scan_determinismE0ELb0ELb0ES3_N6thrust23THRUST_200600_302600_NS6detail15normal_iteratorINS9_10device_ptrIsEEEENS9_16discard_iteratorINS9_11use_defaultEEEs11max_functorIsEsEEDaPvRmT3_T4_T5_mT6_P12ihipStream_tbENKUlT_T0_E_clISt17integral_constantIbLb0EESX_EEDaSS_ST_EUlSS_E_NS1_11comp_targetILNS1_3genE4ELNS1_11target_archE910ELNS1_3gpuE8ELNS1_3repE0EEENS1_30default_config_static_selectorELNS0_4arch9wavefront6targetE1EEEvT1_,comdat
.Lfunc_end4000:
	.size	_ZN7rocprim17ROCPRIM_400000_NS6detail17trampoline_kernelINS0_14default_configENS1_20scan_config_selectorIsEEZZNS1_9scan_implILNS1_25lookback_scan_determinismE0ELb0ELb0ES3_N6thrust23THRUST_200600_302600_NS6detail15normal_iteratorINS9_10device_ptrIsEEEENS9_16discard_iteratorINS9_11use_defaultEEEs11max_functorIsEsEEDaPvRmT3_T4_T5_mT6_P12ihipStream_tbENKUlT_T0_E_clISt17integral_constantIbLb0EESX_EEDaSS_ST_EUlSS_E_NS1_11comp_targetILNS1_3genE4ELNS1_11target_archE910ELNS1_3gpuE8ELNS1_3repE0EEENS1_30default_config_static_selectorELNS0_4arch9wavefront6targetE1EEEvT1_, .Lfunc_end4000-_ZN7rocprim17ROCPRIM_400000_NS6detail17trampoline_kernelINS0_14default_configENS1_20scan_config_selectorIsEEZZNS1_9scan_implILNS1_25lookback_scan_determinismE0ELb0ELb0ES3_N6thrust23THRUST_200600_302600_NS6detail15normal_iteratorINS9_10device_ptrIsEEEENS9_16discard_iteratorINS9_11use_defaultEEEs11max_functorIsEsEEDaPvRmT3_T4_T5_mT6_P12ihipStream_tbENKUlT_T0_E_clISt17integral_constantIbLb0EESX_EEDaSS_ST_EUlSS_E_NS1_11comp_targetILNS1_3genE4ELNS1_11target_archE910ELNS1_3gpuE8ELNS1_3repE0EEENS1_30default_config_static_selectorELNS0_4arch9wavefront6targetE1EEEvT1_
                                        ; -- End function
	.section	.AMDGPU.csdata,"",@progbits
; Kernel info:
; codeLenInByte = 6528
; NumSgprs: 30
; NumVgprs: 56
; NumAgprs: 0
; TotalNumVgprs: 56
; ScratchSize: 0
; MemoryBound: 0
; FloatMode: 240
; IeeeMode: 1
; LDSByteSize: 3072 bytes/workgroup (compile time only)
; SGPRBlocks: 3
; VGPRBlocks: 6
; NumSGPRsForWavesPerEU: 30
; NumVGPRsForWavesPerEU: 56
; AccumOffset: 56
; Occupancy: 6
; WaveLimiterHint : 1
; COMPUTE_PGM_RSRC2:SCRATCH_EN: 0
; COMPUTE_PGM_RSRC2:USER_SGPR: 6
; COMPUTE_PGM_RSRC2:TRAP_HANDLER: 0
; COMPUTE_PGM_RSRC2:TGID_X_EN: 1
; COMPUTE_PGM_RSRC2:TGID_Y_EN: 0
; COMPUTE_PGM_RSRC2:TGID_Z_EN: 0
; COMPUTE_PGM_RSRC2:TIDIG_COMP_CNT: 0
; COMPUTE_PGM_RSRC3_GFX90A:ACCUM_OFFSET: 13
; COMPUTE_PGM_RSRC3_GFX90A:TG_SPLIT: 0
	.section	.text._ZN7rocprim17ROCPRIM_400000_NS6detail17trampoline_kernelINS0_14default_configENS1_20scan_config_selectorIsEEZZNS1_9scan_implILNS1_25lookback_scan_determinismE0ELb0ELb0ES3_N6thrust23THRUST_200600_302600_NS6detail15normal_iteratorINS9_10device_ptrIsEEEENS9_16discard_iteratorINS9_11use_defaultEEEs11max_functorIsEsEEDaPvRmT3_T4_T5_mT6_P12ihipStream_tbENKUlT_T0_E_clISt17integral_constantIbLb0EESX_EEDaSS_ST_EUlSS_E_NS1_11comp_targetILNS1_3genE3ELNS1_11target_archE908ELNS1_3gpuE7ELNS1_3repE0EEENS1_30default_config_static_selectorELNS0_4arch9wavefront6targetE1EEEvT1_,"axG",@progbits,_ZN7rocprim17ROCPRIM_400000_NS6detail17trampoline_kernelINS0_14default_configENS1_20scan_config_selectorIsEEZZNS1_9scan_implILNS1_25lookback_scan_determinismE0ELb0ELb0ES3_N6thrust23THRUST_200600_302600_NS6detail15normal_iteratorINS9_10device_ptrIsEEEENS9_16discard_iteratorINS9_11use_defaultEEEs11max_functorIsEsEEDaPvRmT3_T4_T5_mT6_P12ihipStream_tbENKUlT_T0_E_clISt17integral_constantIbLb0EESX_EEDaSS_ST_EUlSS_E_NS1_11comp_targetILNS1_3genE3ELNS1_11target_archE908ELNS1_3gpuE7ELNS1_3repE0EEENS1_30default_config_static_selectorELNS0_4arch9wavefront6targetE1EEEvT1_,comdat
	.protected	_ZN7rocprim17ROCPRIM_400000_NS6detail17trampoline_kernelINS0_14default_configENS1_20scan_config_selectorIsEEZZNS1_9scan_implILNS1_25lookback_scan_determinismE0ELb0ELb0ES3_N6thrust23THRUST_200600_302600_NS6detail15normal_iteratorINS9_10device_ptrIsEEEENS9_16discard_iteratorINS9_11use_defaultEEEs11max_functorIsEsEEDaPvRmT3_T4_T5_mT6_P12ihipStream_tbENKUlT_T0_E_clISt17integral_constantIbLb0EESX_EEDaSS_ST_EUlSS_E_NS1_11comp_targetILNS1_3genE3ELNS1_11target_archE908ELNS1_3gpuE7ELNS1_3repE0EEENS1_30default_config_static_selectorELNS0_4arch9wavefront6targetE1EEEvT1_ ; -- Begin function _ZN7rocprim17ROCPRIM_400000_NS6detail17trampoline_kernelINS0_14default_configENS1_20scan_config_selectorIsEEZZNS1_9scan_implILNS1_25lookback_scan_determinismE0ELb0ELb0ES3_N6thrust23THRUST_200600_302600_NS6detail15normal_iteratorINS9_10device_ptrIsEEEENS9_16discard_iteratorINS9_11use_defaultEEEs11max_functorIsEsEEDaPvRmT3_T4_T5_mT6_P12ihipStream_tbENKUlT_T0_E_clISt17integral_constantIbLb0EESX_EEDaSS_ST_EUlSS_E_NS1_11comp_targetILNS1_3genE3ELNS1_11target_archE908ELNS1_3gpuE7ELNS1_3repE0EEENS1_30default_config_static_selectorELNS0_4arch9wavefront6targetE1EEEvT1_
	.globl	_ZN7rocprim17ROCPRIM_400000_NS6detail17trampoline_kernelINS0_14default_configENS1_20scan_config_selectorIsEEZZNS1_9scan_implILNS1_25lookback_scan_determinismE0ELb0ELb0ES3_N6thrust23THRUST_200600_302600_NS6detail15normal_iteratorINS9_10device_ptrIsEEEENS9_16discard_iteratorINS9_11use_defaultEEEs11max_functorIsEsEEDaPvRmT3_T4_T5_mT6_P12ihipStream_tbENKUlT_T0_E_clISt17integral_constantIbLb0EESX_EEDaSS_ST_EUlSS_E_NS1_11comp_targetILNS1_3genE3ELNS1_11target_archE908ELNS1_3gpuE7ELNS1_3repE0EEENS1_30default_config_static_selectorELNS0_4arch9wavefront6targetE1EEEvT1_
	.p2align	8
	.type	_ZN7rocprim17ROCPRIM_400000_NS6detail17trampoline_kernelINS0_14default_configENS1_20scan_config_selectorIsEEZZNS1_9scan_implILNS1_25lookback_scan_determinismE0ELb0ELb0ES3_N6thrust23THRUST_200600_302600_NS6detail15normal_iteratorINS9_10device_ptrIsEEEENS9_16discard_iteratorINS9_11use_defaultEEEs11max_functorIsEsEEDaPvRmT3_T4_T5_mT6_P12ihipStream_tbENKUlT_T0_E_clISt17integral_constantIbLb0EESX_EEDaSS_ST_EUlSS_E_NS1_11comp_targetILNS1_3genE3ELNS1_11target_archE908ELNS1_3gpuE7ELNS1_3repE0EEENS1_30default_config_static_selectorELNS0_4arch9wavefront6targetE1EEEvT1_,@function
_ZN7rocprim17ROCPRIM_400000_NS6detail17trampoline_kernelINS0_14default_configENS1_20scan_config_selectorIsEEZZNS1_9scan_implILNS1_25lookback_scan_determinismE0ELb0ELb0ES3_N6thrust23THRUST_200600_302600_NS6detail15normal_iteratorINS9_10device_ptrIsEEEENS9_16discard_iteratorINS9_11use_defaultEEEs11max_functorIsEsEEDaPvRmT3_T4_T5_mT6_P12ihipStream_tbENKUlT_T0_E_clISt17integral_constantIbLb0EESX_EEDaSS_ST_EUlSS_E_NS1_11comp_targetILNS1_3genE3ELNS1_11target_archE908ELNS1_3gpuE7ELNS1_3repE0EEENS1_30default_config_static_selectorELNS0_4arch9wavefront6targetE1EEEvT1_: ; @_ZN7rocprim17ROCPRIM_400000_NS6detail17trampoline_kernelINS0_14default_configENS1_20scan_config_selectorIsEEZZNS1_9scan_implILNS1_25lookback_scan_determinismE0ELb0ELb0ES3_N6thrust23THRUST_200600_302600_NS6detail15normal_iteratorINS9_10device_ptrIsEEEENS9_16discard_iteratorINS9_11use_defaultEEEs11max_functorIsEsEEDaPvRmT3_T4_T5_mT6_P12ihipStream_tbENKUlT_T0_E_clISt17integral_constantIbLb0EESX_EEDaSS_ST_EUlSS_E_NS1_11comp_targetILNS1_3genE3ELNS1_11target_archE908ELNS1_3gpuE7ELNS1_3repE0EEENS1_30default_config_static_selectorELNS0_4arch9wavefront6targetE1EEEvT1_
; %bb.0:
	.section	.rodata,"a",@progbits
	.p2align	6, 0x0
	.amdhsa_kernel _ZN7rocprim17ROCPRIM_400000_NS6detail17trampoline_kernelINS0_14default_configENS1_20scan_config_selectorIsEEZZNS1_9scan_implILNS1_25lookback_scan_determinismE0ELb0ELb0ES3_N6thrust23THRUST_200600_302600_NS6detail15normal_iteratorINS9_10device_ptrIsEEEENS9_16discard_iteratorINS9_11use_defaultEEEs11max_functorIsEsEEDaPvRmT3_T4_T5_mT6_P12ihipStream_tbENKUlT_T0_E_clISt17integral_constantIbLb0EESX_EEDaSS_ST_EUlSS_E_NS1_11comp_targetILNS1_3genE3ELNS1_11target_archE908ELNS1_3gpuE7ELNS1_3repE0EEENS1_30default_config_static_selectorELNS0_4arch9wavefront6targetE1EEEvT1_
		.amdhsa_group_segment_fixed_size 0
		.amdhsa_private_segment_fixed_size 0
		.amdhsa_kernarg_size 104
		.amdhsa_user_sgpr_count 6
		.amdhsa_user_sgpr_private_segment_buffer 1
		.amdhsa_user_sgpr_dispatch_ptr 0
		.amdhsa_user_sgpr_queue_ptr 0
		.amdhsa_user_sgpr_kernarg_segment_ptr 1
		.amdhsa_user_sgpr_dispatch_id 0
		.amdhsa_user_sgpr_flat_scratch_init 0
		.amdhsa_user_sgpr_kernarg_preload_length 0
		.amdhsa_user_sgpr_kernarg_preload_offset 0
		.amdhsa_user_sgpr_private_segment_size 0
		.amdhsa_uses_dynamic_stack 0
		.amdhsa_system_sgpr_private_segment_wavefront_offset 0
		.amdhsa_system_sgpr_workgroup_id_x 1
		.amdhsa_system_sgpr_workgroup_id_y 0
		.amdhsa_system_sgpr_workgroup_id_z 0
		.amdhsa_system_sgpr_workgroup_info 0
		.amdhsa_system_vgpr_workitem_id 0
		.amdhsa_next_free_vgpr 1
		.amdhsa_next_free_sgpr 0
		.amdhsa_accum_offset 4
		.amdhsa_reserve_vcc 0
		.amdhsa_reserve_flat_scratch 0
		.amdhsa_float_round_mode_32 0
		.amdhsa_float_round_mode_16_64 0
		.amdhsa_float_denorm_mode_32 3
		.amdhsa_float_denorm_mode_16_64 3
		.amdhsa_dx10_clamp 1
		.amdhsa_ieee_mode 1
		.amdhsa_fp16_overflow 0
		.amdhsa_tg_split 0
		.amdhsa_exception_fp_ieee_invalid_op 0
		.amdhsa_exception_fp_denorm_src 0
		.amdhsa_exception_fp_ieee_div_zero 0
		.amdhsa_exception_fp_ieee_overflow 0
		.amdhsa_exception_fp_ieee_underflow 0
		.amdhsa_exception_fp_ieee_inexact 0
		.amdhsa_exception_int_div_zero 0
	.end_amdhsa_kernel
	.section	.text._ZN7rocprim17ROCPRIM_400000_NS6detail17trampoline_kernelINS0_14default_configENS1_20scan_config_selectorIsEEZZNS1_9scan_implILNS1_25lookback_scan_determinismE0ELb0ELb0ES3_N6thrust23THRUST_200600_302600_NS6detail15normal_iteratorINS9_10device_ptrIsEEEENS9_16discard_iteratorINS9_11use_defaultEEEs11max_functorIsEsEEDaPvRmT3_T4_T5_mT6_P12ihipStream_tbENKUlT_T0_E_clISt17integral_constantIbLb0EESX_EEDaSS_ST_EUlSS_E_NS1_11comp_targetILNS1_3genE3ELNS1_11target_archE908ELNS1_3gpuE7ELNS1_3repE0EEENS1_30default_config_static_selectorELNS0_4arch9wavefront6targetE1EEEvT1_,"axG",@progbits,_ZN7rocprim17ROCPRIM_400000_NS6detail17trampoline_kernelINS0_14default_configENS1_20scan_config_selectorIsEEZZNS1_9scan_implILNS1_25lookback_scan_determinismE0ELb0ELb0ES3_N6thrust23THRUST_200600_302600_NS6detail15normal_iteratorINS9_10device_ptrIsEEEENS9_16discard_iteratorINS9_11use_defaultEEEs11max_functorIsEsEEDaPvRmT3_T4_T5_mT6_P12ihipStream_tbENKUlT_T0_E_clISt17integral_constantIbLb0EESX_EEDaSS_ST_EUlSS_E_NS1_11comp_targetILNS1_3genE3ELNS1_11target_archE908ELNS1_3gpuE7ELNS1_3repE0EEENS1_30default_config_static_selectorELNS0_4arch9wavefront6targetE1EEEvT1_,comdat
.Lfunc_end4001:
	.size	_ZN7rocprim17ROCPRIM_400000_NS6detail17trampoline_kernelINS0_14default_configENS1_20scan_config_selectorIsEEZZNS1_9scan_implILNS1_25lookback_scan_determinismE0ELb0ELb0ES3_N6thrust23THRUST_200600_302600_NS6detail15normal_iteratorINS9_10device_ptrIsEEEENS9_16discard_iteratorINS9_11use_defaultEEEs11max_functorIsEsEEDaPvRmT3_T4_T5_mT6_P12ihipStream_tbENKUlT_T0_E_clISt17integral_constantIbLb0EESX_EEDaSS_ST_EUlSS_E_NS1_11comp_targetILNS1_3genE3ELNS1_11target_archE908ELNS1_3gpuE7ELNS1_3repE0EEENS1_30default_config_static_selectorELNS0_4arch9wavefront6targetE1EEEvT1_, .Lfunc_end4001-_ZN7rocprim17ROCPRIM_400000_NS6detail17trampoline_kernelINS0_14default_configENS1_20scan_config_selectorIsEEZZNS1_9scan_implILNS1_25lookback_scan_determinismE0ELb0ELb0ES3_N6thrust23THRUST_200600_302600_NS6detail15normal_iteratorINS9_10device_ptrIsEEEENS9_16discard_iteratorINS9_11use_defaultEEEs11max_functorIsEsEEDaPvRmT3_T4_T5_mT6_P12ihipStream_tbENKUlT_T0_E_clISt17integral_constantIbLb0EESX_EEDaSS_ST_EUlSS_E_NS1_11comp_targetILNS1_3genE3ELNS1_11target_archE908ELNS1_3gpuE7ELNS1_3repE0EEENS1_30default_config_static_selectorELNS0_4arch9wavefront6targetE1EEEvT1_
                                        ; -- End function
	.section	.AMDGPU.csdata,"",@progbits
; Kernel info:
; codeLenInByte = 0
; NumSgprs: 4
; NumVgprs: 0
; NumAgprs: 0
; TotalNumVgprs: 0
; ScratchSize: 0
; MemoryBound: 0
; FloatMode: 240
; IeeeMode: 1
; LDSByteSize: 0 bytes/workgroup (compile time only)
; SGPRBlocks: 0
; VGPRBlocks: 0
; NumSGPRsForWavesPerEU: 4
; NumVGPRsForWavesPerEU: 1
; AccumOffset: 4
; Occupancy: 8
; WaveLimiterHint : 0
; COMPUTE_PGM_RSRC2:SCRATCH_EN: 0
; COMPUTE_PGM_RSRC2:USER_SGPR: 6
; COMPUTE_PGM_RSRC2:TRAP_HANDLER: 0
; COMPUTE_PGM_RSRC2:TGID_X_EN: 1
; COMPUTE_PGM_RSRC2:TGID_Y_EN: 0
; COMPUTE_PGM_RSRC2:TGID_Z_EN: 0
; COMPUTE_PGM_RSRC2:TIDIG_COMP_CNT: 0
; COMPUTE_PGM_RSRC3_GFX90A:ACCUM_OFFSET: 0
; COMPUTE_PGM_RSRC3_GFX90A:TG_SPLIT: 0
	.section	.text._ZN7rocprim17ROCPRIM_400000_NS6detail17trampoline_kernelINS0_14default_configENS1_20scan_config_selectorIsEEZZNS1_9scan_implILNS1_25lookback_scan_determinismE0ELb0ELb0ES3_N6thrust23THRUST_200600_302600_NS6detail15normal_iteratorINS9_10device_ptrIsEEEENS9_16discard_iteratorINS9_11use_defaultEEEs11max_functorIsEsEEDaPvRmT3_T4_T5_mT6_P12ihipStream_tbENKUlT_T0_E_clISt17integral_constantIbLb0EESX_EEDaSS_ST_EUlSS_E_NS1_11comp_targetILNS1_3genE2ELNS1_11target_archE906ELNS1_3gpuE6ELNS1_3repE0EEENS1_30default_config_static_selectorELNS0_4arch9wavefront6targetE1EEEvT1_,"axG",@progbits,_ZN7rocprim17ROCPRIM_400000_NS6detail17trampoline_kernelINS0_14default_configENS1_20scan_config_selectorIsEEZZNS1_9scan_implILNS1_25lookback_scan_determinismE0ELb0ELb0ES3_N6thrust23THRUST_200600_302600_NS6detail15normal_iteratorINS9_10device_ptrIsEEEENS9_16discard_iteratorINS9_11use_defaultEEEs11max_functorIsEsEEDaPvRmT3_T4_T5_mT6_P12ihipStream_tbENKUlT_T0_E_clISt17integral_constantIbLb0EESX_EEDaSS_ST_EUlSS_E_NS1_11comp_targetILNS1_3genE2ELNS1_11target_archE906ELNS1_3gpuE6ELNS1_3repE0EEENS1_30default_config_static_selectorELNS0_4arch9wavefront6targetE1EEEvT1_,comdat
	.protected	_ZN7rocprim17ROCPRIM_400000_NS6detail17trampoline_kernelINS0_14default_configENS1_20scan_config_selectorIsEEZZNS1_9scan_implILNS1_25lookback_scan_determinismE0ELb0ELb0ES3_N6thrust23THRUST_200600_302600_NS6detail15normal_iteratorINS9_10device_ptrIsEEEENS9_16discard_iteratorINS9_11use_defaultEEEs11max_functorIsEsEEDaPvRmT3_T4_T5_mT6_P12ihipStream_tbENKUlT_T0_E_clISt17integral_constantIbLb0EESX_EEDaSS_ST_EUlSS_E_NS1_11comp_targetILNS1_3genE2ELNS1_11target_archE906ELNS1_3gpuE6ELNS1_3repE0EEENS1_30default_config_static_selectorELNS0_4arch9wavefront6targetE1EEEvT1_ ; -- Begin function _ZN7rocprim17ROCPRIM_400000_NS6detail17trampoline_kernelINS0_14default_configENS1_20scan_config_selectorIsEEZZNS1_9scan_implILNS1_25lookback_scan_determinismE0ELb0ELb0ES3_N6thrust23THRUST_200600_302600_NS6detail15normal_iteratorINS9_10device_ptrIsEEEENS9_16discard_iteratorINS9_11use_defaultEEEs11max_functorIsEsEEDaPvRmT3_T4_T5_mT6_P12ihipStream_tbENKUlT_T0_E_clISt17integral_constantIbLb0EESX_EEDaSS_ST_EUlSS_E_NS1_11comp_targetILNS1_3genE2ELNS1_11target_archE906ELNS1_3gpuE6ELNS1_3repE0EEENS1_30default_config_static_selectorELNS0_4arch9wavefront6targetE1EEEvT1_
	.globl	_ZN7rocprim17ROCPRIM_400000_NS6detail17trampoline_kernelINS0_14default_configENS1_20scan_config_selectorIsEEZZNS1_9scan_implILNS1_25lookback_scan_determinismE0ELb0ELb0ES3_N6thrust23THRUST_200600_302600_NS6detail15normal_iteratorINS9_10device_ptrIsEEEENS9_16discard_iteratorINS9_11use_defaultEEEs11max_functorIsEsEEDaPvRmT3_T4_T5_mT6_P12ihipStream_tbENKUlT_T0_E_clISt17integral_constantIbLb0EESX_EEDaSS_ST_EUlSS_E_NS1_11comp_targetILNS1_3genE2ELNS1_11target_archE906ELNS1_3gpuE6ELNS1_3repE0EEENS1_30default_config_static_selectorELNS0_4arch9wavefront6targetE1EEEvT1_
	.p2align	8
	.type	_ZN7rocprim17ROCPRIM_400000_NS6detail17trampoline_kernelINS0_14default_configENS1_20scan_config_selectorIsEEZZNS1_9scan_implILNS1_25lookback_scan_determinismE0ELb0ELb0ES3_N6thrust23THRUST_200600_302600_NS6detail15normal_iteratorINS9_10device_ptrIsEEEENS9_16discard_iteratorINS9_11use_defaultEEEs11max_functorIsEsEEDaPvRmT3_T4_T5_mT6_P12ihipStream_tbENKUlT_T0_E_clISt17integral_constantIbLb0EESX_EEDaSS_ST_EUlSS_E_NS1_11comp_targetILNS1_3genE2ELNS1_11target_archE906ELNS1_3gpuE6ELNS1_3repE0EEENS1_30default_config_static_selectorELNS0_4arch9wavefront6targetE1EEEvT1_,@function
_ZN7rocprim17ROCPRIM_400000_NS6detail17trampoline_kernelINS0_14default_configENS1_20scan_config_selectorIsEEZZNS1_9scan_implILNS1_25lookback_scan_determinismE0ELb0ELb0ES3_N6thrust23THRUST_200600_302600_NS6detail15normal_iteratorINS9_10device_ptrIsEEEENS9_16discard_iteratorINS9_11use_defaultEEEs11max_functorIsEsEEDaPvRmT3_T4_T5_mT6_P12ihipStream_tbENKUlT_T0_E_clISt17integral_constantIbLb0EESX_EEDaSS_ST_EUlSS_E_NS1_11comp_targetILNS1_3genE2ELNS1_11target_archE906ELNS1_3gpuE6ELNS1_3repE0EEENS1_30default_config_static_selectorELNS0_4arch9wavefront6targetE1EEEvT1_: ; @_ZN7rocprim17ROCPRIM_400000_NS6detail17trampoline_kernelINS0_14default_configENS1_20scan_config_selectorIsEEZZNS1_9scan_implILNS1_25lookback_scan_determinismE0ELb0ELb0ES3_N6thrust23THRUST_200600_302600_NS6detail15normal_iteratorINS9_10device_ptrIsEEEENS9_16discard_iteratorINS9_11use_defaultEEEs11max_functorIsEsEEDaPvRmT3_T4_T5_mT6_P12ihipStream_tbENKUlT_T0_E_clISt17integral_constantIbLb0EESX_EEDaSS_ST_EUlSS_E_NS1_11comp_targetILNS1_3genE2ELNS1_11target_archE906ELNS1_3gpuE6ELNS1_3repE0EEENS1_30default_config_static_selectorELNS0_4arch9wavefront6targetE1EEEvT1_
; %bb.0:
	.section	.rodata,"a",@progbits
	.p2align	6, 0x0
	.amdhsa_kernel _ZN7rocprim17ROCPRIM_400000_NS6detail17trampoline_kernelINS0_14default_configENS1_20scan_config_selectorIsEEZZNS1_9scan_implILNS1_25lookback_scan_determinismE0ELb0ELb0ES3_N6thrust23THRUST_200600_302600_NS6detail15normal_iteratorINS9_10device_ptrIsEEEENS9_16discard_iteratorINS9_11use_defaultEEEs11max_functorIsEsEEDaPvRmT3_T4_T5_mT6_P12ihipStream_tbENKUlT_T0_E_clISt17integral_constantIbLb0EESX_EEDaSS_ST_EUlSS_E_NS1_11comp_targetILNS1_3genE2ELNS1_11target_archE906ELNS1_3gpuE6ELNS1_3repE0EEENS1_30default_config_static_selectorELNS0_4arch9wavefront6targetE1EEEvT1_
		.amdhsa_group_segment_fixed_size 0
		.amdhsa_private_segment_fixed_size 0
		.amdhsa_kernarg_size 104
		.amdhsa_user_sgpr_count 6
		.amdhsa_user_sgpr_private_segment_buffer 1
		.amdhsa_user_sgpr_dispatch_ptr 0
		.amdhsa_user_sgpr_queue_ptr 0
		.amdhsa_user_sgpr_kernarg_segment_ptr 1
		.amdhsa_user_sgpr_dispatch_id 0
		.amdhsa_user_sgpr_flat_scratch_init 0
		.amdhsa_user_sgpr_kernarg_preload_length 0
		.amdhsa_user_sgpr_kernarg_preload_offset 0
		.amdhsa_user_sgpr_private_segment_size 0
		.amdhsa_uses_dynamic_stack 0
		.amdhsa_system_sgpr_private_segment_wavefront_offset 0
		.amdhsa_system_sgpr_workgroup_id_x 1
		.amdhsa_system_sgpr_workgroup_id_y 0
		.amdhsa_system_sgpr_workgroup_id_z 0
		.amdhsa_system_sgpr_workgroup_info 0
		.amdhsa_system_vgpr_workitem_id 0
		.amdhsa_next_free_vgpr 1
		.amdhsa_next_free_sgpr 0
		.amdhsa_accum_offset 4
		.amdhsa_reserve_vcc 0
		.amdhsa_reserve_flat_scratch 0
		.amdhsa_float_round_mode_32 0
		.amdhsa_float_round_mode_16_64 0
		.amdhsa_float_denorm_mode_32 3
		.amdhsa_float_denorm_mode_16_64 3
		.amdhsa_dx10_clamp 1
		.amdhsa_ieee_mode 1
		.amdhsa_fp16_overflow 0
		.amdhsa_tg_split 0
		.amdhsa_exception_fp_ieee_invalid_op 0
		.amdhsa_exception_fp_denorm_src 0
		.amdhsa_exception_fp_ieee_div_zero 0
		.amdhsa_exception_fp_ieee_overflow 0
		.amdhsa_exception_fp_ieee_underflow 0
		.amdhsa_exception_fp_ieee_inexact 0
		.amdhsa_exception_int_div_zero 0
	.end_amdhsa_kernel
	.section	.text._ZN7rocprim17ROCPRIM_400000_NS6detail17trampoline_kernelINS0_14default_configENS1_20scan_config_selectorIsEEZZNS1_9scan_implILNS1_25lookback_scan_determinismE0ELb0ELb0ES3_N6thrust23THRUST_200600_302600_NS6detail15normal_iteratorINS9_10device_ptrIsEEEENS9_16discard_iteratorINS9_11use_defaultEEEs11max_functorIsEsEEDaPvRmT3_T4_T5_mT6_P12ihipStream_tbENKUlT_T0_E_clISt17integral_constantIbLb0EESX_EEDaSS_ST_EUlSS_E_NS1_11comp_targetILNS1_3genE2ELNS1_11target_archE906ELNS1_3gpuE6ELNS1_3repE0EEENS1_30default_config_static_selectorELNS0_4arch9wavefront6targetE1EEEvT1_,"axG",@progbits,_ZN7rocprim17ROCPRIM_400000_NS6detail17trampoline_kernelINS0_14default_configENS1_20scan_config_selectorIsEEZZNS1_9scan_implILNS1_25lookback_scan_determinismE0ELb0ELb0ES3_N6thrust23THRUST_200600_302600_NS6detail15normal_iteratorINS9_10device_ptrIsEEEENS9_16discard_iteratorINS9_11use_defaultEEEs11max_functorIsEsEEDaPvRmT3_T4_T5_mT6_P12ihipStream_tbENKUlT_T0_E_clISt17integral_constantIbLb0EESX_EEDaSS_ST_EUlSS_E_NS1_11comp_targetILNS1_3genE2ELNS1_11target_archE906ELNS1_3gpuE6ELNS1_3repE0EEENS1_30default_config_static_selectorELNS0_4arch9wavefront6targetE1EEEvT1_,comdat
.Lfunc_end4002:
	.size	_ZN7rocprim17ROCPRIM_400000_NS6detail17trampoline_kernelINS0_14default_configENS1_20scan_config_selectorIsEEZZNS1_9scan_implILNS1_25lookback_scan_determinismE0ELb0ELb0ES3_N6thrust23THRUST_200600_302600_NS6detail15normal_iteratorINS9_10device_ptrIsEEEENS9_16discard_iteratorINS9_11use_defaultEEEs11max_functorIsEsEEDaPvRmT3_T4_T5_mT6_P12ihipStream_tbENKUlT_T0_E_clISt17integral_constantIbLb0EESX_EEDaSS_ST_EUlSS_E_NS1_11comp_targetILNS1_3genE2ELNS1_11target_archE906ELNS1_3gpuE6ELNS1_3repE0EEENS1_30default_config_static_selectorELNS0_4arch9wavefront6targetE1EEEvT1_, .Lfunc_end4002-_ZN7rocprim17ROCPRIM_400000_NS6detail17trampoline_kernelINS0_14default_configENS1_20scan_config_selectorIsEEZZNS1_9scan_implILNS1_25lookback_scan_determinismE0ELb0ELb0ES3_N6thrust23THRUST_200600_302600_NS6detail15normal_iteratorINS9_10device_ptrIsEEEENS9_16discard_iteratorINS9_11use_defaultEEEs11max_functorIsEsEEDaPvRmT3_T4_T5_mT6_P12ihipStream_tbENKUlT_T0_E_clISt17integral_constantIbLb0EESX_EEDaSS_ST_EUlSS_E_NS1_11comp_targetILNS1_3genE2ELNS1_11target_archE906ELNS1_3gpuE6ELNS1_3repE0EEENS1_30default_config_static_selectorELNS0_4arch9wavefront6targetE1EEEvT1_
                                        ; -- End function
	.section	.AMDGPU.csdata,"",@progbits
; Kernel info:
; codeLenInByte = 0
; NumSgprs: 4
; NumVgprs: 0
; NumAgprs: 0
; TotalNumVgprs: 0
; ScratchSize: 0
; MemoryBound: 0
; FloatMode: 240
; IeeeMode: 1
; LDSByteSize: 0 bytes/workgroup (compile time only)
; SGPRBlocks: 0
; VGPRBlocks: 0
; NumSGPRsForWavesPerEU: 4
; NumVGPRsForWavesPerEU: 1
; AccumOffset: 4
; Occupancy: 8
; WaveLimiterHint : 0
; COMPUTE_PGM_RSRC2:SCRATCH_EN: 0
; COMPUTE_PGM_RSRC2:USER_SGPR: 6
; COMPUTE_PGM_RSRC2:TRAP_HANDLER: 0
; COMPUTE_PGM_RSRC2:TGID_X_EN: 1
; COMPUTE_PGM_RSRC2:TGID_Y_EN: 0
; COMPUTE_PGM_RSRC2:TGID_Z_EN: 0
; COMPUTE_PGM_RSRC2:TIDIG_COMP_CNT: 0
; COMPUTE_PGM_RSRC3_GFX90A:ACCUM_OFFSET: 0
; COMPUTE_PGM_RSRC3_GFX90A:TG_SPLIT: 0
	.section	.text._ZN7rocprim17ROCPRIM_400000_NS6detail17trampoline_kernelINS0_14default_configENS1_20scan_config_selectorIsEEZZNS1_9scan_implILNS1_25lookback_scan_determinismE0ELb0ELb0ES3_N6thrust23THRUST_200600_302600_NS6detail15normal_iteratorINS9_10device_ptrIsEEEENS9_16discard_iteratorINS9_11use_defaultEEEs11max_functorIsEsEEDaPvRmT3_T4_T5_mT6_P12ihipStream_tbENKUlT_T0_E_clISt17integral_constantIbLb0EESX_EEDaSS_ST_EUlSS_E_NS1_11comp_targetILNS1_3genE10ELNS1_11target_archE1201ELNS1_3gpuE5ELNS1_3repE0EEENS1_30default_config_static_selectorELNS0_4arch9wavefront6targetE1EEEvT1_,"axG",@progbits,_ZN7rocprim17ROCPRIM_400000_NS6detail17trampoline_kernelINS0_14default_configENS1_20scan_config_selectorIsEEZZNS1_9scan_implILNS1_25lookback_scan_determinismE0ELb0ELb0ES3_N6thrust23THRUST_200600_302600_NS6detail15normal_iteratorINS9_10device_ptrIsEEEENS9_16discard_iteratorINS9_11use_defaultEEEs11max_functorIsEsEEDaPvRmT3_T4_T5_mT6_P12ihipStream_tbENKUlT_T0_E_clISt17integral_constantIbLb0EESX_EEDaSS_ST_EUlSS_E_NS1_11comp_targetILNS1_3genE10ELNS1_11target_archE1201ELNS1_3gpuE5ELNS1_3repE0EEENS1_30default_config_static_selectorELNS0_4arch9wavefront6targetE1EEEvT1_,comdat
	.protected	_ZN7rocprim17ROCPRIM_400000_NS6detail17trampoline_kernelINS0_14default_configENS1_20scan_config_selectorIsEEZZNS1_9scan_implILNS1_25lookback_scan_determinismE0ELb0ELb0ES3_N6thrust23THRUST_200600_302600_NS6detail15normal_iteratorINS9_10device_ptrIsEEEENS9_16discard_iteratorINS9_11use_defaultEEEs11max_functorIsEsEEDaPvRmT3_T4_T5_mT6_P12ihipStream_tbENKUlT_T0_E_clISt17integral_constantIbLb0EESX_EEDaSS_ST_EUlSS_E_NS1_11comp_targetILNS1_3genE10ELNS1_11target_archE1201ELNS1_3gpuE5ELNS1_3repE0EEENS1_30default_config_static_selectorELNS0_4arch9wavefront6targetE1EEEvT1_ ; -- Begin function _ZN7rocprim17ROCPRIM_400000_NS6detail17trampoline_kernelINS0_14default_configENS1_20scan_config_selectorIsEEZZNS1_9scan_implILNS1_25lookback_scan_determinismE0ELb0ELb0ES3_N6thrust23THRUST_200600_302600_NS6detail15normal_iteratorINS9_10device_ptrIsEEEENS9_16discard_iteratorINS9_11use_defaultEEEs11max_functorIsEsEEDaPvRmT3_T4_T5_mT6_P12ihipStream_tbENKUlT_T0_E_clISt17integral_constantIbLb0EESX_EEDaSS_ST_EUlSS_E_NS1_11comp_targetILNS1_3genE10ELNS1_11target_archE1201ELNS1_3gpuE5ELNS1_3repE0EEENS1_30default_config_static_selectorELNS0_4arch9wavefront6targetE1EEEvT1_
	.globl	_ZN7rocprim17ROCPRIM_400000_NS6detail17trampoline_kernelINS0_14default_configENS1_20scan_config_selectorIsEEZZNS1_9scan_implILNS1_25lookback_scan_determinismE0ELb0ELb0ES3_N6thrust23THRUST_200600_302600_NS6detail15normal_iteratorINS9_10device_ptrIsEEEENS9_16discard_iteratorINS9_11use_defaultEEEs11max_functorIsEsEEDaPvRmT3_T4_T5_mT6_P12ihipStream_tbENKUlT_T0_E_clISt17integral_constantIbLb0EESX_EEDaSS_ST_EUlSS_E_NS1_11comp_targetILNS1_3genE10ELNS1_11target_archE1201ELNS1_3gpuE5ELNS1_3repE0EEENS1_30default_config_static_selectorELNS0_4arch9wavefront6targetE1EEEvT1_
	.p2align	8
	.type	_ZN7rocprim17ROCPRIM_400000_NS6detail17trampoline_kernelINS0_14default_configENS1_20scan_config_selectorIsEEZZNS1_9scan_implILNS1_25lookback_scan_determinismE0ELb0ELb0ES3_N6thrust23THRUST_200600_302600_NS6detail15normal_iteratorINS9_10device_ptrIsEEEENS9_16discard_iteratorINS9_11use_defaultEEEs11max_functorIsEsEEDaPvRmT3_T4_T5_mT6_P12ihipStream_tbENKUlT_T0_E_clISt17integral_constantIbLb0EESX_EEDaSS_ST_EUlSS_E_NS1_11comp_targetILNS1_3genE10ELNS1_11target_archE1201ELNS1_3gpuE5ELNS1_3repE0EEENS1_30default_config_static_selectorELNS0_4arch9wavefront6targetE1EEEvT1_,@function
_ZN7rocprim17ROCPRIM_400000_NS6detail17trampoline_kernelINS0_14default_configENS1_20scan_config_selectorIsEEZZNS1_9scan_implILNS1_25lookback_scan_determinismE0ELb0ELb0ES3_N6thrust23THRUST_200600_302600_NS6detail15normal_iteratorINS9_10device_ptrIsEEEENS9_16discard_iteratorINS9_11use_defaultEEEs11max_functorIsEsEEDaPvRmT3_T4_T5_mT6_P12ihipStream_tbENKUlT_T0_E_clISt17integral_constantIbLb0EESX_EEDaSS_ST_EUlSS_E_NS1_11comp_targetILNS1_3genE10ELNS1_11target_archE1201ELNS1_3gpuE5ELNS1_3repE0EEENS1_30default_config_static_selectorELNS0_4arch9wavefront6targetE1EEEvT1_: ; @_ZN7rocprim17ROCPRIM_400000_NS6detail17trampoline_kernelINS0_14default_configENS1_20scan_config_selectorIsEEZZNS1_9scan_implILNS1_25lookback_scan_determinismE0ELb0ELb0ES3_N6thrust23THRUST_200600_302600_NS6detail15normal_iteratorINS9_10device_ptrIsEEEENS9_16discard_iteratorINS9_11use_defaultEEEs11max_functorIsEsEEDaPvRmT3_T4_T5_mT6_P12ihipStream_tbENKUlT_T0_E_clISt17integral_constantIbLb0EESX_EEDaSS_ST_EUlSS_E_NS1_11comp_targetILNS1_3genE10ELNS1_11target_archE1201ELNS1_3gpuE5ELNS1_3repE0EEENS1_30default_config_static_selectorELNS0_4arch9wavefront6targetE1EEEvT1_
; %bb.0:
	.section	.rodata,"a",@progbits
	.p2align	6, 0x0
	.amdhsa_kernel _ZN7rocprim17ROCPRIM_400000_NS6detail17trampoline_kernelINS0_14default_configENS1_20scan_config_selectorIsEEZZNS1_9scan_implILNS1_25lookback_scan_determinismE0ELb0ELb0ES3_N6thrust23THRUST_200600_302600_NS6detail15normal_iteratorINS9_10device_ptrIsEEEENS9_16discard_iteratorINS9_11use_defaultEEEs11max_functorIsEsEEDaPvRmT3_T4_T5_mT6_P12ihipStream_tbENKUlT_T0_E_clISt17integral_constantIbLb0EESX_EEDaSS_ST_EUlSS_E_NS1_11comp_targetILNS1_3genE10ELNS1_11target_archE1201ELNS1_3gpuE5ELNS1_3repE0EEENS1_30default_config_static_selectorELNS0_4arch9wavefront6targetE1EEEvT1_
		.amdhsa_group_segment_fixed_size 0
		.amdhsa_private_segment_fixed_size 0
		.amdhsa_kernarg_size 104
		.amdhsa_user_sgpr_count 6
		.amdhsa_user_sgpr_private_segment_buffer 1
		.amdhsa_user_sgpr_dispatch_ptr 0
		.amdhsa_user_sgpr_queue_ptr 0
		.amdhsa_user_sgpr_kernarg_segment_ptr 1
		.amdhsa_user_sgpr_dispatch_id 0
		.amdhsa_user_sgpr_flat_scratch_init 0
		.amdhsa_user_sgpr_kernarg_preload_length 0
		.amdhsa_user_sgpr_kernarg_preload_offset 0
		.amdhsa_user_sgpr_private_segment_size 0
		.amdhsa_uses_dynamic_stack 0
		.amdhsa_system_sgpr_private_segment_wavefront_offset 0
		.amdhsa_system_sgpr_workgroup_id_x 1
		.amdhsa_system_sgpr_workgroup_id_y 0
		.amdhsa_system_sgpr_workgroup_id_z 0
		.amdhsa_system_sgpr_workgroup_info 0
		.amdhsa_system_vgpr_workitem_id 0
		.amdhsa_next_free_vgpr 1
		.amdhsa_next_free_sgpr 0
		.amdhsa_accum_offset 4
		.amdhsa_reserve_vcc 0
		.amdhsa_reserve_flat_scratch 0
		.amdhsa_float_round_mode_32 0
		.amdhsa_float_round_mode_16_64 0
		.amdhsa_float_denorm_mode_32 3
		.amdhsa_float_denorm_mode_16_64 3
		.amdhsa_dx10_clamp 1
		.amdhsa_ieee_mode 1
		.amdhsa_fp16_overflow 0
		.amdhsa_tg_split 0
		.amdhsa_exception_fp_ieee_invalid_op 0
		.amdhsa_exception_fp_denorm_src 0
		.amdhsa_exception_fp_ieee_div_zero 0
		.amdhsa_exception_fp_ieee_overflow 0
		.amdhsa_exception_fp_ieee_underflow 0
		.amdhsa_exception_fp_ieee_inexact 0
		.amdhsa_exception_int_div_zero 0
	.end_amdhsa_kernel
	.section	.text._ZN7rocprim17ROCPRIM_400000_NS6detail17trampoline_kernelINS0_14default_configENS1_20scan_config_selectorIsEEZZNS1_9scan_implILNS1_25lookback_scan_determinismE0ELb0ELb0ES3_N6thrust23THRUST_200600_302600_NS6detail15normal_iteratorINS9_10device_ptrIsEEEENS9_16discard_iteratorINS9_11use_defaultEEEs11max_functorIsEsEEDaPvRmT3_T4_T5_mT6_P12ihipStream_tbENKUlT_T0_E_clISt17integral_constantIbLb0EESX_EEDaSS_ST_EUlSS_E_NS1_11comp_targetILNS1_3genE10ELNS1_11target_archE1201ELNS1_3gpuE5ELNS1_3repE0EEENS1_30default_config_static_selectorELNS0_4arch9wavefront6targetE1EEEvT1_,"axG",@progbits,_ZN7rocprim17ROCPRIM_400000_NS6detail17trampoline_kernelINS0_14default_configENS1_20scan_config_selectorIsEEZZNS1_9scan_implILNS1_25lookback_scan_determinismE0ELb0ELb0ES3_N6thrust23THRUST_200600_302600_NS6detail15normal_iteratorINS9_10device_ptrIsEEEENS9_16discard_iteratorINS9_11use_defaultEEEs11max_functorIsEsEEDaPvRmT3_T4_T5_mT6_P12ihipStream_tbENKUlT_T0_E_clISt17integral_constantIbLb0EESX_EEDaSS_ST_EUlSS_E_NS1_11comp_targetILNS1_3genE10ELNS1_11target_archE1201ELNS1_3gpuE5ELNS1_3repE0EEENS1_30default_config_static_selectorELNS0_4arch9wavefront6targetE1EEEvT1_,comdat
.Lfunc_end4003:
	.size	_ZN7rocprim17ROCPRIM_400000_NS6detail17trampoline_kernelINS0_14default_configENS1_20scan_config_selectorIsEEZZNS1_9scan_implILNS1_25lookback_scan_determinismE0ELb0ELb0ES3_N6thrust23THRUST_200600_302600_NS6detail15normal_iteratorINS9_10device_ptrIsEEEENS9_16discard_iteratorINS9_11use_defaultEEEs11max_functorIsEsEEDaPvRmT3_T4_T5_mT6_P12ihipStream_tbENKUlT_T0_E_clISt17integral_constantIbLb0EESX_EEDaSS_ST_EUlSS_E_NS1_11comp_targetILNS1_3genE10ELNS1_11target_archE1201ELNS1_3gpuE5ELNS1_3repE0EEENS1_30default_config_static_selectorELNS0_4arch9wavefront6targetE1EEEvT1_, .Lfunc_end4003-_ZN7rocprim17ROCPRIM_400000_NS6detail17trampoline_kernelINS0_14default_configENS1_20scan_config_selectorIsEEZZNS1_9scan_implILNS1_25lookback_scan_determinismE0ELb0ELb0ES3_N6thrust23THRUST_200600_302600_NS6detail15normal_iteratorINS9_10device_ptrIsEEEENS9_16discard_iteratorINS9_11use_defaultEEEs11max_functorIsEsEEDaPvRmT3_T4_T5_mT6_P12ihipStream_tbENKUlT_T0_E_clISt17integral_constantIbLb0EESX_EEDaSS_ST_EUlSS_E_NS1_11comp_targetILNS1_3genE10ELNS1_11target_archE1201ELNS1_3gpuE5ELNS1_3repE0EEENS1_30default_config_static_selectorELNS0_4arch9wavefront6targetE1EEEvT1_
                                        ; -- End function
	.section	.AMDGPU.csdata,"",@progbits
; Kernel info:
; codeLenInByte = 0
; NumSgprs: 4
; NumVgprs: 0
; NumAgprs: 0
; TotalNumVgprs: 0
; ScratchSize: 0
; MemoryBound: 0
; FloatMode: 240
; IeeeMode: 1
; LDSByteSize: 0 bytes/workgroup (compile time only)
; SGPRBlocks: 0
; VGPRBlocks: 0
; NumSGPRsForWavesPerEU: 4
; NumVGPRsForWavesPerEU: 1
; AccumOffset: 4
; Occupancy: 8
; WaveLimiterHint : 0
; COMPUTE_PGM_RSRC2:SCRATCH_EN: 0
; COMPUTE_PGM_RSRC2:USER_SGPR: 6
; COMPUTE_PGM_RSRC2:TRAP_HANDLER: 0
; COMPUTE_PGM_RSRC2:TGID_X_EN: 1
; COMPUTE_PGM_RSRC2:TGID_Y_EN: 0
; COMPUTE_PGM_RSRC2:TGID_Z_EN: 0
; COMPUTE_PGM_RSRC2:TIDIG_COMP_CNT: 0
; COMPUTE_PGM_RSRC3_GFX90A:ACCUM_OFFSET: 0
; COMPUTE_PGM_RSRC3_GFX90A:TG_SPLIT: 0
	.section	.text._ZN7rocprim17ROCPRIM_400000_NS6detail17trampoline_kernelINS0_14default_configENS1_20scan_config_selectorIsEEZZNS1_9scan_implILNS1_25lookback_scan_determinismE0ELb0ELb0ES3_N6thrust23THRUST_200600_302600_NS6detail15normal_iteratorINS9_10device_ptrIsEEEENS9_16discard_iteratorINS9_11use_defaultEEEs11max_functorIsEsEEDaPvRmT3_T4_T5_mT6_P12ihipStream_tbENKUlT_T0_E_clISt17integral_constantIbLb0EESX_EEDaSS_ST_EUlSS_E_NS1_11comp_targetILNS1_3genE10ELNS1_11target_archE1200ELNS1_3gpuE4ELNS1_3repE0EEENS1_30default_config_static_selectorELNS0_4arch9wavefront6targetE1EEEvT1_,"axG",@progbits,_ZN7rocprim17ROCPRIM_400000_NS6detail17trampoline_kernelINS0_14default_configENS1_20scan_config_selectorIsEEZZNS1_9scan_implILNS1_25lookback_scan_determinismE0ELb0ELb0ES3_N6thrust23THRUST_200600_302600_NS6detail15normal_iteratorINS9_10device_ptrIsEEEENS9_16discard_iteratorINS9_11use_defaultEEEs11max_functorIsEsEEDaPvRmT3_T4_T5_mT6_P12ihipStream_tbENKUlT_T0_E_clISt17integral_constantIbLb0EESX_EEDaSS_ST_EUlSS_E_NS1_11comp_targetILNS1_3genE10ELNS1_11target_archE1200ELNS1_3gpuE4ELNS1_3repE0EEENS1_30default_config_static_selectorELNS0_4arch9wavefront6targetE1EEEvT1_,comdat
	.protected	_ZN7rocprim17ROCPRIM_400000_NS6detail17trampoline_kernelINS0_14default_configENS1_20scan_config_selectorIsEEZZNS1_9scan_implILNS1_25lookback_scan_determinismE0ELb0ELb0ES3_N6thrust23THRUST_200600_302600_NS6detail15normal_iteratorINS9_10device_ptrIsEEEENS9_16discard_iteratorINS9_11use_defaultEEEs11max_functorIsEsEEDaPvRmT3_T4_T5_mT6_P12ihipStream_tbENKUlT_T0_E_clISt17integral_constantIbLb0EESX_EEDaSS_ST_EUlSS_E_NS1_11comp_targetILNS1_3genE10ELNS1_11target_archE1200ELNS1_3gpuE4ELNS1_3repE0EEENS1_30default_config_static_selectorELNS0_4arch9wavefront6targetE1EEEvT1_ ; -- Begin function _ZN7rocprim17ROCPRIM_400000_NS6detail17trampoline_kernelINS0_14default_configENS1_20scan_config_selectorIsEEZZNS1_9scan_implILNS1_25lookback_scan_determinismE0ELb0ELb0ES3_N6thrust23THRUST_200600_302600_NS6detail15normal_iteratorINS9_10device_ptrIsEEEENS9_16discard_iteratorINS9_11use_defaultEEEs11max_functorIsEsEEDaPvRmT3_T4_T5_mT6_P12ihipStream_tbENKUlT_T0_E_clISt17integral_constantIbLb0EESX_EEDaSS_ST_EUlSS_E_NS1_11comp_targetILNS1_3genE10ELNS1_11target_archE1200ELNS1_3gpuE4ELNS1_3repE0EEENS1_30default_config_static_selectorELNS0_4arch9wavefront6targetE1EEEvT1_
	.globl	_ZN7rocprim17ROCPRIM_400000_NS6detail17trampoline_kernelINS0_14default_configENS1_20scan_config_selectorIsEEZZNS1_9scan_implILNS1_25lookback_scan_determinismE0ELb0ELb0ES3_N6thrust23THRUST_200600_302600_NS6detail15normal_iteratorINS9_10device_ptrIsEEEENS9_16discard_iteratorINS9_11use_defaultEEEs11max_functorIsEsEEDaPvRmT3_T4_T5_mT6_P12ihipStream_tbENKUlT_T0_E_clISt17integral_constantIbLb0EESX_EEDaSS_ST_EUlSS_E_NS1_11comp_targetILNS1_3genE10ELNS1_11target_archE1200ELNS1_3gpuE4ELNS1_3repE0EEENS1_30default_config_static_selectorELNS0_4arch9wavefront6targetE1EEEvT1_
	.p2align	8
	.type	_ZN7rocprim17ROCPRIM_400000_NS6detail17trampoline_kernelINS0_14default_configENS1_20scan_config_selectorIsEEZZNS1_9scan_implILNS1_25lookback_scan_determinismE0ELb0ELb0ES3_N6thrust23THRUST_200600_302600_NS6detail15normal_iteratorINS9_10device_ptrIsEEEENS9_16discard_iteratorINS9_11use_defaultEEEs11max_functorIsEsEEDaPvRmT3_T4_T5_mT6_P12ihipStream_tbENKUlT_T0_E_clISt17integral_constantIbLb0EESX_EEDaSS_ST_EUlSS_E_NS1_11comp_targetILNS1_3genE10ELNS1_11target_archE1200ELNS1_3gpuE4ELNS1_3repE0EEENS1_30default_config_static_selectorELNS0_4arch9wavefront6targetE1EEEvT1_,@function
_ZN7rocprim17ROCPRIM_400000_NS6detail17trampoline_kernelINS0_14default_configENS1_20scan_config_selectorIsEEZZNS1_9scan_implILNS1_25lookback_scan_determinismE0ELb0ELb0ES3_N6thrust23THRUST_200600_302600_NS6detail15normal_iteratorINS9_10device_ptrIsEEEENS9_16discard_iteratorINS9_11use_defaultEEEs11max_functorIsEsEEDaPvRmT3_T4_T5_mT6_P12ihipStream_tbENKUlT_T0_E_clISt17integral_constantIbLb0EESX_EEDaSS_ST_EUlSS_E_NS1_11comp_targetILNS1_3genE10ELNS1_11target_archE1200ELNS1_3gpuE4ELNS1_3repE0EEENS1_30default_config_static_selectorELNS0_4arch9wavefront6targetE1EEEvT1_: ; @_ZN7rocprim17ROCPRIM_400000_NS6detail17trampoline_kernelINS0_14default_configENS1_20scan_config_selectorIsEEZZNS1_9scan_implILNS1_25lookback_scan_determinismE0ELb0ELb0ES3_N6thrust23THRUST_200600_302600_NS6detail15normal_iteratorINS9_10device_ptrIsEEEENS9_16discard_iteratorINS9_11use_defaultEEEs11max_functorIsEsEEDaPvRmT3_T4_T5_mT6_P12ihipStream_tbENKUlT_T0_E_clISt17integral_constantIbLb0EESX_EEDaSS_ST_EUlSS_E_NS1_11comp_targetILNS1_3genE10ELNS1_11target_archE1200ELNS1_3gpuE4ELNS1_3repE0EEENS1_30default_config_static_selectorELNS0_4arch9wavefront6targetE1EEEvT1_
; %bb.0:
	.section	.rodata,"a",@progbits
	.p2align	6, 0x0
	.amdhsa_kernel _ZN7rocprim17ROCPRIM_400000_NS6detail17trampoline_kernelINS0_14default_configENS1_20scan_config_selectorIsEEZZNS1_9scan_implILNS1_25lookback_scan_determinismE0ELb0ELb0ES3_N6thrust23THRUST_200600_302600_NS6detail15normal_iteratorINS9_10device_ptrIsEEEENS9_16discard_iteratorINS9_11use_defaultEEEs11max_functorIsEsEEDaPvRmT3_T4_T5_mT6_P12ihipStream_tbENKUlT_T0_E_clISt17integral_constantIbLb0EESX_EEDaSS_ST_EUlSS_E_NS1_11comp_targetILNS1_3genE10ELNS1_11target_archE1200ELNS1_3gpuE4ELNS1_3repE0EEENS1_30default_config_static_selectorELNS0_4arch9wavefront6targetE1EEEvT1_
		.amdhsa_group_segment_fixed_size 0
		.amdhsa_private_segment_fixed_size 0
		.amdhsa_kernarg_size 104
		.amdhsa_user_sgpr_count 6
		.amdhsa_user_sgpr_private_segment_buffer 1
		.amdhsa_user_sgpr_dispatch_ptr 0
		.amdhsa_user_sgpr_queue_ptr 0
		.amdhsa_user_sgpr_kernarg_segment_ptr 1
		.amdhsa_user_sgpr_dispatch_id 0
		.amdhsa_user_sgpr_flat_scratch_init 0
		.amdhsa_user_sgpr_kernarg_preload_length 0
		.amdhsa_user_sgpr_kernarg_preload_offset 0
		.amdhsa_user_sgpr_private_segment_size 0
		.amdhsa_uses_dynamic_stack 0
		.amdhsa_system_sgpr_private_segment_wavefront_offset 0
		.amdhsa_system_sgpr_workgroup_id_x 1
		.amdhsa_system_sgpr_workgroup_id_y 0
		.amdhsa_system_sgpr_workgroup_id_z 0
		.amdhsa_system_sgpr_workgroup_info 0
		.amdhsa_system_vgpr_workitem_id 0
		.amdhsa_next_free_vgpr 1
		.amdhsa_next_free_sgpr 0
		.amdhsa_accum_offset 4
		.amdhsa_reserve_vcc 0
		.amdhsa_reserve_flat_scratch 0
		.amdhsa_float_round_mode_32 0
		.amdhsa_float_round_mode_16_64 0
		.amdhsa_float_denorm_mode_32 3
		.amdhsa_float_denorm_mode_16_64 3
		.amdhsa_dx10_clamp 1
		.amdhsa_ieee_mode 1
		.amdhsa_fp16_overflow 0
		.amdhsa_tg_split 0
		.amdhsa_exception_fp_ieee_invalid_op 0
		.amdhsa_exception_fp_denorm_src 0
		.amdhsa_exception_fp_ieee_div_zero 0
		.amdhsa_exception_fp_ieee_overflow 0
		.amdhsa_exception_fp_ieee_underflow 0
		.amdhsa_exception_fp_ieee_inexact 0
		.amdhsa_exception_int_div_zero 0
	.end_amdhsa_kernel
	.section	.text._ZN7rocprim17ROCPRIM_400000_NS6detail17trampoline_kernelINS0_14default_configENS1_20scan_config_selectorIsEEZZNS1_9scan_implILNS1_25lookback_scan_determinismE0ELb0ELb0ES3_N6thrust23THRUST_200600_302600_NS6detail15normal_iteratorINS9_10device_ptrIsEEEENS9_16discard_iteratorINS9_11use_defaultEEEs11max_functorIsEsEEDaPvRmT3_T4_T5_mT6_P12ihipStream_tbENKUlT_T0_E_clISt17integral_constantIbLb0EESX_EEDaSS_ST_EUlSS_E_NS1_11comp_targetILNS1_3genE10ELNS1_11target_archE1200ELNS1_3gpuE4ELNS1_3repE0EEENS1_30default_config_static_selectorELNS0_4arch9wavefront6targetE1EEEvT1_,"axG",@progbits,_ZN7rocprim17ROCPRIM_400000_NS6detail17trampoline_kernelINS0_14default_configENS1_20scan_config_selectorIsEEZZNS1_9scan_implILNS1_25lookback_scan_determinismE0ELb0ELb0ES3_N6thrust23THRUST_200600_302600_NS6detail15normal_iteratorINS9_10device_ptrIsEEEENS9_16discard_iteratorINS9_11use_defaultEEEs11max_functorIsEsEEDaPvRmT3_T4_T5_mT6_P12ihipStream_tbENKUlT_T0_E_clISt17integral_constantIbLb0EESX_EEDaSS_ST_EUlSS_E_NS1_11comp_targetILNS1_3genE10ELNS1_11target_archE1200ELNS1_3gpuE4ELNS1_3repE0EEENS1_30default_config_static_selectorELNS0_4arch9wavefront6targetE1EEEvT1_,comdat
.Lfunc_end4004:
	.size	_ZN7rocprim17ROCPRIM_400000_NS6detail17trampoline_kernelINS0_14default_configENS1_20scan_config_selectorIsEEZZNS1_9scan_implILNS1_25lookback_scan_determinismE0ELb0ELb0ES3_N6thrust23THRUST_200600_302600_NS6detail15normal_iteratorINS9_10device_ptrIsEEEENS9_16discard_iteratorINS9_11use_defaultEEEs11max_functorIsEsEEDaPvRmT3_T4_T5_mT6_P12ihipStream_tbENKUlT_T0_E_clISt17integral_constantIbLb0EESX_EEDaSS_ST_EUlSS_E_NS1_11comp_targetILNS1_3genE10ELNS1_11target_archE1200ELNS1_3gpuE4ELNS1_3repE0EEENS1_30default_config_static_selectorELNS0_4arch9wavefront6targetE1EEEvT1_, .Lfunc_end4004-_ZN7rocprim17ROCPRIM_400000_NS6detail17trampoline_kernelINS0_14default_configENS1_20scan_config_selectorIsEEZZNS1_9scan_implILNS1_25lookback_scan_determinismE0ELb0ELb0ES3_N6thrust23THRUST_200600_302600_NS6detail15normal_iteratorINS9_10device_ptrIsEEEENS9_16discard_iteratorINS9_11use_defaultEEEs11max_functorIsEsEEDaPvRmT3_T4_T5_mT6_P12ihipStream_tbENKUlT_T0_E_clISt17integral_constantIbLb0EESX_EEDaSS_ST_EUlSS_E_NS1_11comp_targetILNS1_3genE10ELNS1_11target_archE1200ELNS1_3gpuE4ELNS1_3repE0EEENS1_30default_config_static_selectorELNS0_4arch9wavefront6targetE1EEEvT1_
                                        ; -- End function
	.section	.AMDGPU.csdata,"",@progbits
; Kernel info:
; codeLenInByte = 0
; NumSgprs: 4
; NumVgprs: 0
; NumAgprs: 0
; TotalNumVgprs: 0
; ScratchSize: 0
; MemoryBound: 0
; FloatMode: 240
; IeeeMode: 1
; LDSByteSize: 0 bytes/workgroup (compile time only)
; SGPRBlocks: 0
; VGPRBlocks: 0
; NumSGPRsForWavesPerEU: 4
; NumVGPRsForWavesPerEU: 1
; AccumOffset: 4
; Occupancy: 8
; WaveLimiterHint : 0
; COMPUTE_PGM_RSRC2:SCRATCH_EN: 0
; COMPUTE_PGM_RSRC2:USER_SGPR: 6
; COMPUTE_PGM_RSRC2:TRAP_HANDLER: 0
; COMPUTE_PGM_RSRC2:TGID_X_EN: 1
; COMPUTE_PGM_RSRC2:TGID_Y_EN: 0
; COMPUTE_PGM_RSRC2:TGID_Z_EN: 0
; COMPUTE_PGM_RSRC2:TIDIG_COMP_CNT: 0
; COMPUTE_PGM_RSRC3_GFX90A:ACCUM_OFFSET: 0
; COMPUTE_PGM_RSRC3_GFX90A:TG_SPLIT: 0
	.section	.text._ZN7rocprim17ROCPRIM_400000_NS6detail17trampoline_kernelINS0_14default_configENS1_20scan_config_selectorIsEEZZNS1_9scan_implILNS1_25lookback_scan_determinismE0ELb0ELb0ES3_N6thrust23THRUST_200600_302600_NS6detail15normal_iteratorINS9_10device_ptrIsEEEENS9_16discard_iteratorINS9_11use_defaultEEEs11max_functorIsEsEEDaPvRmT3_T4_T5_mT6_P12ihipStream_tbENKUlT_T0_E_clISt17integral_constantIbLb0EESX_EEDaSS_ST_EUlSS_E_NS1_11comp_targetILNS1_3genE9ELNS1_11target_archE1100ELNS1_3gpuE3ELNS1_3repE0EEENS1_30default_config_static_selectorELNS0_4arch9wavefront6targetE1EEEvT1_,"axG",@progbits,_ZN7rocprim17ROCPRIM_400000_NS6detail17trampoline_kernelINS0_14default_configENS1_20scan_config_selectorIsEEZZNS1_9scan_implILNS1_25lookback_scan_determinismE0ELb0ELb0ES3_N6thrust23THRUST_200600_302600_NS6detail15normal_iteratorINS9_10device_ptrIsEEEENS9_16discard_iteratorINS9_11use_defaultEEEs11max_functorIsEsEEDaPvRmT3_T4_T5_mT6_P12ihipStream_tbENKUlT_T0_E_clISt17integral_constantIbLb0EESX_EEDaSS_ST_EUlSS_E_NS1_11comp_targetILNS1_3genE9ELNS1_11target_archE1100ELNS1_3gpuE3ELNS1_3repE0EEENS1_30default_config_static_selectorELNS0_4arch9wavefront6targetE1EEEvT1_,comdat
	.protected	_ZN7rocprim17ROCPRIM_400000_NS6detail17trampoline_kernelINS0_14default_configENS1_20scan_config_selectorIsEEZZNS1_9scan_implILNS1_25lookback_scan_determinismE0ELb0ELb0ES3_N6thrust23THRUST_200600_302600_NS6detail15normal_iteratorINS9_10device_ptrIsEEEENS9_16discard_iteratorINS9_11use_defaultEEEs11max_functorIsEsEEDaPvRmT3_T4_T5_mT6_P12ihipStream_tbENKUlT_T0_E_clISt17integral_constantIbLb0EESX_EEDaSS_ST_EUlSS_E_NS1_11comp_targetILNS1_3genE9ELNS1_11target_archE1100ELNS1_3gpuE3ELNS1_3repE0EEENS1_30default_config_static_selectorELNS0_4arch9wavefront6targetE1EEEvT1_ ; -- Begin function _ZN7rocprim17ROCPRIM_400000_NS6detail17trampoline_kernelINS0_14default_configENS1_20scan_config_selectorIsEEZZNS1_9scan_implILNS1_25lookback_scan_determinismE0ELb0ELb0ES3_N6thrust23THRUST_200600_302600_NS6detail15normal_iteratorINS9_10device_ptrIsEEEENS9_16discard_iteratorINS9_11use_defaultEEEs11max_functorIsEsEEDaPvRmT3_T4_T5_mT6_P12ihipStream_tbENKUlT_T0_E_clISt17integral_constantIbLb0EESX_EEDaSS_ST_EUlSS_E_NS1_11comp_targetILNS1_3genE9ELNS1_11target_archE1100ELNS1_3gpuE3ELNS1_3repE0EEENS1_30default_config_static_selectorELNS0_4arch9wavefront6targetE1EEEvT1_
	.globl	_ZN7rocprim17ROCPRIM_400000_NS6detail17trampoline_kernelINS0_14default_configENS1_20scan_config_selectorIsEEZZNS1_9scan_implILNS1_25lookback_scan_determinismE0ELb0ELb0ES3_N6thrust23THRUST_200600_302600_NS6detail15normal_iteratorINS9_10device_ptrIsEEEENS9_16discard_iteratorINS9_11use_defaultEEEs11max_functorIsEsEEDaPvRmT3_T4_T5_mT6_P12ihipStream_tbENKUlT_T0_E_clISt17integral_constantIbLb0EESX_EEDaSS_ST_EUlSS_E_NS1_11comp_targetILNS1_3genE9ELNS1_11target_archE1100ELNS1_3gpuE3ELNS1_3repE0EEENS1_30default_config_static_selectorELNS0_4arch9wavefront6targetE1EEEvT1_
	.p2align	8
	.type	_ZN7rocprim17ROCPRIM_400000_NS6detail17trampoline_kernelINS0_14default_configENS1_20scan_config_selectorIsEEZZNS1_9scan_implILNS1_25lookback_scan_determinismE0ELb0ELb0ES3_N6thrust23THRUST_200600_302600_NS6detail15normal_iteratorINS9_10device_ptrIsEEEENS9_16discard_iteratorINS9_11use_defaultEEEs11max_functorIsEsEEDaPvRmT3_T4_T5_mT6_P12ihipStream_tbENKUlT_T0_E_clISt17integral_constantIbLb0EESX_EEDaSS_ST_EUlSS_E_NS1_11comp_targetILNS1_3genE9ELNS1_11target_archE1100ELNS1_3gpuE3ELNS1_3repE0EEENS1_30default_config_static_selectorELNS0_4arch9wavefront6targetE1EEEvT1_,@function
_ZN7rocprim17ROCPRIM_400000_NS6detail17trampoline_kernelINS0_14default_configENS1_20scan_config_selectorIsEEZZNS1_9scan_implILNS1_25lookback_scan_determinismE0ELb0ELb0ES3_N6thrust23THRUST_200600_302600_NS6detail15normal_iteratorINS9_10device_ptrIsEEEENS9_16discard_iteratorINS9_11use_defaultEEEs11max_functorIsEsEEDaPvRmT3_T4_T5_mT6_P12ihipStream_tbENKUlT_T0_E_clISt17integral_constantIbLb0EESX_EEDaSS_ST_EUlSS_E_NS1_11comp_targetILNS1_3genE9ELNS1_11target_archE1100ELNS1_3gpuE3ELNS1_3repE0EEENS1_30default_config_static_selectorELNS0_4arch9wavefront6targetE1EEEvT1_: ; @_ZN7rocprim17ROCPRIM_400000_NS6detail17trampoline_kernelINS0_14default_configENS1_20scan_config_selectorIsEEZZNS1_9scan_implILNS1_25lookback_scan_determinismE0ELb0ELb0ES3_N6thrust23THRUST_200600_302600_NS6detail15normal_iteratorINS9_10device_ptrIsEEEENS9_16discard_iteratorINS9_11use_defaultEEEs11max_functorIsEsEEDaPvRmT3_T4_T5_mT6_P12ihipStream_tbENKUlT_T0_E_clISt17integral_constantIbLb0EESX_EEDaSS_ST_EUlSS_E_NS1_11comp_targetILNS1_3genE9ELNS1_11target_archE1100ELNS1_3gpuE3ELNS1_3repE0EEENS1_30default_config_static_selectorELNS0_4arch9wavefront6targetE1EEEvT1_
; %bb.0:
	.section	.rodata,"a",@progbits
	.p2align	6, 0x0
	.amdhsa_kernel _ZN7rocprim17ROCPRIM_400000_NS6detail17trampoline_kernelINS0_14default_configENS1_20scan_config_selectorIsEEZZNS1_9scan_implILNS1_25lookback_scan_determinismE0ELb0ELb0ES3_N6thrust23THRUST_200600_302600_NS6detail15normal_iteratorINS9_10device_ptrIsEEEENS9_16discard_iteratorINS9_11use_defaultEEEs11max_functorIsEsEEDaPvRmT3_T4_T5_mT6_P12ihipStream_tbENKUlT_T0_E_clISt17integral_constantIbLb0EESX_EEDaSS_ST_EUlSS_E_NS1_11comp_targetILNS1_3genE9ELNS1_11target_archE1100ELNS1_3gpuE3ELNS1_3repE0EEENS1_30default_config_static_selectorELNS0_4arch9wavefront6targetE1EEEvT1_
		.amdhsa_group_segment_fixed_size 0
		.amdhsa_private_segment_fixed_size 0
		.amdhsa_kernarg_size 104
		.amdhsa_user_sgpr_count 6
		.amdhsa_user_sgpr_private_segment_buffer 1
		.amdhsa_user_sgpr_dispatch_ptr 0
		.amdhsa_user_sgpr_queue_ptr 0
		.amdhsa_user_sgpr_kernarg_segment_ptr 1
		.amdhsa_user_sgpr_dispatch_id 0
		.amdhsa_user_sgpr_flat_scratch_init 0
		.amdhsa_user_sgpr_kernarg_preload_length 0
		.amdhsa_user_sgpr_kernarg_preload_offset 0
		.amdhsa_user_sgpr_private_segment_size 0
		.amdhsa_uses_dynamic_stack 0
		.amdhsa_system_sgpr_private_segment_wavefront_offset 0
		.amdhsa_system_sgpr_workgroup_id_x 1
		.amdhsa_system_sgpr_workgroup_id_y 0
		.amdhsa_system_sgpr_workgroup_id_z 0
		.amdhsa_system_sgpr_workgroup_info 0
		.amdhsa_system_vgpr_workitem_id 0
		.amdhsa_next_free_vgpr 1
		.amdhsa_next_free_sgpr 0
		.amdhsa_accum_offset 4
		.amdhsa_reserve_vcc 0
		.amdhsa_reserve_flat_scratch 0
		.amdhsa_float_round_mode_32 0
		.amdhsa_float_round_mode_16_64 0
		.amdhsa_float_denorm_mode_32 3
		.amdhsa_float_denorm_mode_16_64 3
		.amdhsa_dx10_clamp 1
		.amdhsa_ieee_mode 1
		.amdhsa_fp16_overflow 0
		.amdhsa_tg_split 0
		.amdhsa_exception_fp_ieee_invalid_op 0
		.amdhsa_exception_fp_denorm_src 0
		.amdhsa_exception_fp_ieee_div_zero 0
		.amdhsa_exception_fp_ieee_overflow 0
		.amdhsa_exception_fp_ieee_underflow 0
		.amdhsa_exception_fp_ieee_inexact 0
		.amdhsa_exception_int_div_zero 0
	.end_amdhsa_kernel
	.section	.text._ZN7rocprim17ROCPRIM_400000_NS6detail17trampoline_kernelINS0_14default_configENS1_20scan_config_selectorIsEEZZNS1_9scan_implILNS1_25lookback_scan_determinismE0ELb0ELb0ES3_N6thrust23THRUST_200600_302600_NS6detail15normal_iteratorINS9_10device_ptrIsEEEENS9_16discard_iteratorINS9_11use_defaultEEEs11max_functorIsEsEEDaPvRmT3_T4_T5_mT6_P12ihipStream_tbENKUlT_T0_E_clISt17integral_constantIbLb0EESX_EEDaSS_ST_EUlSS_E_NS1_11comp_targetILNS1_3genE9ELNS1_11target_archE1100ELNS1_3gpuE3ELNS1_3repE0EEENS1_30default_config_static_selectorELNS0_4arch9wavefront6targetE1EEEvT1_,"axG",@progbits,_ZN7rocprim17ROCPRIM_400000_NS6detail17trampoline_kernelINS0_14default_configENS1_20scan_config_selectorIsEEZZNS1_9scan_implILNS1_25lookback_scan_determinismE0ELb0ELb0ES3_N6thrust23THRUST_200600_302600_NS6detail15normal_iteratorINS9_10device_ptrIsEEEENS9_16discard_iteratorINS9_11use_defaultEEEs11max_functorIsEsEEDaPvRmT3_T4_T5_mT6_P12ihipStream_tbENKUlT_T0_E_clISt17integral_constantIbLb0EESX_EEDaSS_ST_EUlSS_E_NS1_11comp_targetILNS1_3genE9ELNS1_11target_archE1100ELNS1_3gpuE3ELNS1_3repE0EEENS1_30default_config_static_selectorELNS0_4arch9wavefront6targetE1EEEvT1_,comdat
.Lfunc_end4005:
	.size	_ZN7rocprim17ROCPRIM_400000_NS6detail17trampoline_kernelINS0_14default_configENS1_20scan_config_selectorIsEEZZNS1_9scan_implILNS1_25lookback_scan_determinismE0ELb0ELb0ES3_N6thrust23THRUST_200600_302600_NS6detail15normal_iteratorINS9_10device_ptrIsEEEENS9_16discard_iteratorINS9_11use_defaultEEEs11max_functorIsEsEEDaPvRmT3_T4_T5_mT6_P12ihipStream_tbENKUlT_T0_E_clISt17integral_constantIbLb0EESX_EEDaSS_ST_EUlSS_E_NS1_11comp_targetILNS1_3genE9ELNS1_11target_archE1100ELNS1_3gpuE3ELNS1_3repE0EEENS1_30default_config_static_selectorELNS0_4arch9wavefront6targetE1EEEvT1_, .Lfunc_end4005-_ZN7rocprim17ROCPRIM_400000_NS6detail17trampoline_kernelINS0_14default_configENS1_20scan_config_selectorIsEEZZNS1_9scan_implILNS1_25lookback_scan_determinismE0ELb0ELb0ES3_N6thrust23THRUST_200600_302600_NS6detail15normal_iteratorINS9_10device_ptrIsEEEENS9_16discard_iteratorINS9_11use_defaultEEEs11max_functorIsEsEEDaPvRmT3_T4_T5_mT6_P12ihipStream_tbENKUlT_T0_E_clISt17integral_constantIbLb0EESX_EEDaSS_ST_EUlSS_E_NS1_11comp_targetILNS1_3genE9ELNS1_11target_archE1100ELNS1_3gpuE3ELNS1_3repE0EEENS1_30default_config_static_selectorELNS0_4arch9wavefront6targetE1EEEvT1_
                                        ; -- End function
	.section	.AMDGPU.csdata,"",@progbits
; Kernel info:
; codeLenInByte = 0
; NumSgprs: 4
; NumVgprs: 0
; NumAgprs: 0
; TotalNumVgprs: 0
; ScratchSize: 0
; MemoryBound: 0
; FloatMode: 240
; IeeeMode: 1
; LDSByteSize: 0 bytes/workgroup (compile time only)
; SGPRBlocks: 0
; VGPRBlocks: 0
; NumSGPRsForWavesPerEU: 4
; NumVGPRsForWavesPerEU: 1
; AccumOffset: 4
; Occupancy: 8
; WaveLimiterHint : 0
; COMPUTE_PGM_RSRC2:SCRATCH_EN: 0
; COMPUTE_PGM_RSRC2:USER_SGPR: 6
; COMPUTE_PGM_RSRC2:TRAP_HANDLER: 0
; COMPUTE_PGM_RSRC2:TGID_X_EN: 1
; COMPUTE_PGM_RSRC2:TGID_Y_EN: 0
; COMPUTE_PGM_RSRC2:TGID_Z_EN: 0
; COMPUTE_PGM_RSRC2:TIDIG_COMP_CNT: 0
; COMPUTE_PGM_RSRC3_GFX90A:ACCUM_OFFSET: 0
; COMPUTE_PGM_RSRC3_GFX90A:TG_SPLIT: 0
	.section	.text._ZN7rocprim17ROCPRIM_400000_NS6detail17trampoline_kernelINS0_14default_configENS1_20scan_config_selectorIsEEZZNS1_9scan_implILNS1_25lookback_scan_determinismE0ELb0ELb0ES3_N6thrust23THRUST_200600_302600_NS6detail15normal_iteratorINS9_10device_ptrIsEEEENS9_16discard_iteratorINS9_11use_defaultEEEs11max_functorIsEsEEDaPvRmT3_T4_T5_mT6_P12ihipStream_tbENKUlT_T0_E_clISt17integral_constantIbLb0EESX_EEDaSS_ST_EUlSS_E_NS1_11comp_targetILNS1_3genE8ELNS1_11target_archE1030ELNS1_3gpuE2ELNS1_3repE0EEENS1_30default_config_static_selectorELNS0_4arch9wavefront6targetE1EEEvT1_,"axG",@progbits,_ZN7rocprim17ROCPRIM_400000_NS6detail17trampoline_kernelINS0_14default_configENS1_20scan_config_selectorIsEEZZNS1_9scan_implILNS1_25lookback_scan_determinismE0ELb0ELb0ES3_N6thrust23THRUST_200600_302600_NS6detail15normal_iteratorINS9_10device_ptrIsEEEENS9_16discard_iteratorINS9_11use_defaultEEEs11max_functorIsEsEEDaPvRmT3_T4_T5_mT6_P12ihipStream_tbENKUlT_T0_E_clISt17integral_constantIbLb0EESX_EEDaSS_ST_EUlSS_E_NS1_11comp_targetILNS1_3genE8ELNS1_11target_archE1030ELNS1_3gpuE2ELNS1_3repE0EEENS1_30default_config_static_selectorELNS0_4arch9wavefront6targetE1EEEvT1_,comdat
	.protected	_ZN7rocprim17ROCPRIM_400000_NS6detail17trampoline_kernelINS0_14default_configENS1_20scan_config_selectorIsEEZZNS1_9scan_implILNS1_25lookback_scan_determinismE0ELb0ELb0ES3_N6thrust23THRUST_200600_302600_NS6detail15normal_iteratorINS9_10device_ptrIsEEEENS9_16discard_iteratorINS9_11use_defaultEEEs11max_functorIsEsEEDaPvRmT3_T4_T5_mT6_P12ihipStream_tbENKUlT_T0_E_clISt17integral_constantIbLb0EESX_EEDaSS_ST_EUlSS_E_NS1_11comp_targetILNS1_3genE8ELNS1_11target_archE1030ELNS1_3gpuE2ELNS1_3repE0EEENS1_30default_config_static_selectorELNS0_4arch9wavefront6targetE1EEEvT1_ ; -- Begin function _ZN7rocprim17ROCPRIM_400000_NS6detail17trampoline_kernelINS0_14default_configENS1_20scan_config_selectorIsEEZZNS1_9scan_implILNS1_25lookback_scan_determinismE0ELb0ELb0ES3_N6thrust23THRUST_200600_302600_NS6detail15normal_iteratorINS9_10device_ptrIsEEEENS9_16discard_iteratorINS9_11use_defaultEEEs11max_functorIsEsEEDaPvRmT3_T4_T5_mT6_P12ihipStream_tbENKUlT_T0_E_clISt17integral_constantIbLb0EESX_EEDaSS_ST_EUlSS_E_NS1_11comp_targetILNS1_3genE8ELNS1_11target_archE1030ELNS1_3gpuE2ELNS1_3repE0EEENS1_30default_config_static_selectorELNS0_4arch9wavefront6targetE1EEEvT1_
	.globl	_ZN7rocprim17ROCPRIM_400000_NS6detail17trampoline_kernelINS0_14default_configENS1_20scan_config_selectorIsEEZZNS1_9scan_implILNS1_25lookback_scan_determinismE0ELb0ELb0ES3_N6thrust23THRUST_200600_302600_NS6detail15normal_iteratorINS9_10device_ptrIsEEEENS9_16discard_iteratorINS9_11use_defaultEEEs11max_functorIsEsEEDaPvRmT3_T4_T5_mT6_P12ihipStream_tbENKUlT_T0_E_clISt17integral_constantIbLb0EESX_EEDaSS_ST_EUlSS_E_NS1_11comp_targetILNS1_3genE8ELNS1_11target_archE1030ELNS1_3gpuE2ELNS1_3repE0EEENS1_30default_config_static_selectorELNS0_4arch9wavefront6targetE1EEEvT1_
	.p2align	8
	.type	_ZN7rocprim17ROCPRIM_400000_NS6detail17trampoline_kernelINS0_14default_configENS1_20scan_config_selectorIsEEZZNS1_9scan_implILNS1_25lookback_scan_determinismE0ELb0ELb0ES3_N6thrust23THRUST_200600_302600_NS6detail15normal_iteratorINS9_10device_ptrIsEEEENS9_16discard_iteratorINS9_11use_defaultEEEs11max_functorIsEsEEDaPvRmT3_T4_T5_mT6_P12ihipStream_tbENKUlT_T0_E_clISt17integral_constantIbLb0EESX_EEDaSS_ST_EUlSS_E_NS1_11comp_targetILNS1_3genE8ELNS1_11target_archE1030ELNS1_3gpuE2ELNS1_3repE0EEENS1_30default_config_static_selectorELNS0_4arch9wavefront6targetE1EEEvT1_,@function
_ZN7rocprim17ROCPRIM_400000_NS6detail17trampoline_kernelINS0_14default_configENS1_20scan_config_selectorIsEEZZNS1_9scan_implILNS1_25lookback_scan_determinismE0ELb0ELb0ES3_N6thrust23THRUST_200600_302600_NS6detail15normal_iteratorINS9_10device_ptrIsEEEENS9_16discard_iteratorINS9_11use_defaultEEEs11max_functorIsEsEEDaPvRmT3_T4_T5_mT6_P12ihipStream_tbENKUlT_T0_E_clISt17integral_constantIbLb0EESX_EEDaSS_ST_EUlSS_E_NS1_11comp_targetILNS1_3genE8ELNS1_11target_archE1030ELNS1_3gpuE2ELNS1_3repE0EEENS1_30default_config_static_selectorELNS0_4arch9wavefront6targetE1EEEvT1_: ; @_ZN7rocprim17ROCPRIM_400000_NS6detail17trampoline_kernelINS0_14default_configENS1_20scan_config_selectorIsEEZZNS1_9scan_implILNS1_25lookback_scan_determinismE0ELb0ELb0ES3_N6thrust23THRUST_200600_302600_NS6detail15normal_iteratorINS9_10device_ptrIsEEEENS9_16discard_iteratorINS9_11use_defaultEEEs11max_functorIsEsEEDaPvRmT3_T4_T5_mT6_P12ihipStream_tbENKUlT_T0_E_clISt17integral_constantIbLb0EESX_EEDaSS_ST_EUlSS_E_NS1_11comp_targetILNS1_3genE8ELNS1_11target_archE1030ELNS1_3gpuE2ELNS1_3repE0EEENS1_30default_config_static_selectorELNS0_4arch9wavefront6targetE1EEEvT1_
; %bb.0:
	.section	.rodata,"a",@progbits
	.p2align	6, 0x0
	.amdhsa_kernel _ZN7rocprim17ROCPRIM_400000_NS6detail17trampoline_kernelINS0_14default_configENS1_20scan_config_selectorIsEEZZNS1_9scan_implILNS1_25lookback_scan_determinismE0ELb0ELb0ES3_N6thrust23THRUST_200600_302600_NS6detail15normal_iteratorINS9_10device_ptrIsEEEENS9_16discard_iteratorINS9_11use_defaultEEEs11max_functorIsEsEEDaPvRmT3_T4_T5_mT6_P12ihipStream_tbENKUlT_T0_E_clISt17integral_constantIbLb0EESX_EEDaSS_ST_EUlSS_E_NS1_11comp_targetILNS1_3genE8ELNS1_11target_archE1030ELNS1_3gpuE2ELNS1_3repE0EEENS1_30default_config_static_selectorELNS0_4arch9wavefront6targetE1EEEvT1_
		.amdhsa_group_segment_fixed_size 0
		.amdhsa_private_segment_fixed_size 0
		.amdhsa_kernarg_size 104
		.amdhsa_user_sgpr_count 6
		.amdhsa_user_sgpr_private_segment_buffer 1
		.amdhsa_user_sgpr_dispatch_ptr 0
		.amdhsa_user_sgpr_queue_ptr 0
		.amdhsa_user_sgpr_kernarg_segment_ptr 1
		.amdhsa_user_sgpr_dispatch_id 0
		.amdhsa_user_sgpr_flat_scratch_init 0
		.amdhsa_user_sgpr_kernarg_preload_length 0
		.amdhsa_user_sgpr_kernarg_preload_offset 0
		.amdhsa_user_sgpr_private_segment_size 0
		.amdhsa_uses_dynamic_stack 0
		.amdhsa_system_sgpr_private_segment_wavefront_offset 0
		.amdhsa_system_sgpr_workgroup_id_x 1
		.amdhsa_system_sgpr_workgroup_id_y 0
		.amdhsa_system_sgpr_workgroup_id_z 0
		.amdhsa_system_sgpr_workgroup_info 0
		.amdhsa_system_vgpr_workitem_id 0
		.amdhsa_next_free_vgpr 1
		.amdhsa_next_free_sgpr 0
		.amdhsa_accum_offset 4
		.amdhsa_reserve_vcc 0
		.amdhsa_reserve_flat_scratch 0
		.amdhsa_float_round_mode_32 0
		.amdhsa_float_round_mode_16_64 0
		.amdhsa_float_denorm_mode_32 3
		.amdhsa_float_denorm_mode_16_64 3
		.amdhsa_dx10_clamp 1
		.amdhsa_ieee_mode 1
		.amdhsa_fp16_overflow 0
		.amdhsa_tg_split 0
		.amdhsa_exception_fp_ieee_invalid_op 0
		.amdhsa_exception_fp_denorm_src 0
		.amdhsa_exception_fp_ieee_div_zero 0
		.amdhsa_exception_fp_ieee_overflow 0
		.amdhsa_exception_fp_ieee_underflow 0
		.amdhsa_exception_fp_ieee_inexact 0
		.amdhsa_exception_int_div_zero 0
	.end_amdhsa_kernel
	.section	.text._ZN7rocprim17ROCPRIM_400000_NS6detail17trampoline_kernelINS0_14default_configENS1_20scan_config_selectorIsEEZZNS1_9scan_implILNS1_25lookback_scan_determinismE0ELb0ELb0ES3_N6thrust23THRUST_200600_302600_NS6detail15normal_iteratorINS9_10device_ptrIsEEEENS9_16discard_iteratorINS9_11use_defaultEEEs11max_functorIsEsEEDaPvRmT3_T4_T5_mT6_P12ihipStream_tbENKUlT_T0_E_clISt17integral_constantIbLb0EESX_EEDaSS_ST_EUlSS_E_NS1_11comp_targetILNS1_3genE8ELNS1_11target_archE1030ELNS1_3gpuE2ELNS1_3repE0EEENS1_30default_config_static_selectorELNS0_4arch9wavefront6targetE1EEEvT1_,"axG",@progbits,_ZN7rocprim17ROCPRIM_400000_NS6detail17trampoline_kernelINS0_14default_configENS1_20scan_config_selectorIsEEZZNS1_9scan_implILNS1_25lookback_scan_determinismE0ELb0ELb0ES3_N6thrust23THRUST_200600_302600_NS6detail15normal_iteratorINS9_10device_ptrIsEEEENS9_16discard_iteratorINS9_11use_defaultEEEs11max_functorIsEsEEDaPvRmT3_T4_T5_mT6_P12ihipStream_tbENKUlT_T0_E_clISt17integral_constantIbLb0EESX_EEDaSS_ST_EUlSS_E_NS1_11comp_targetILNS1_3genE8ELNS1_11target_archE1030ELNS1_3gpuE2ELNS1_3repE0EEENS1_30default_config_static_selectorELNS0_4arch9wavefront6targetE1EEEvT1_,comdat
.Lfunc_end4006:
	.size	_ZN7rocprim17ROCPRIM_400000_NS6detail17trampoline_kernelINS0_14default_configENS1_20scan_config_selectorIsEEZZNS1_9scan_implILNS1_25lookback_scan_determinismE0ELb0ELb0ES3_N6thrust23THRUST_200600_302600_NS6detail15normal_iteratorINS9_10device_ptrIsEEEENS9_16discard_iteratorINS9_11use_defaultEEEs11max_functorIsEsEEDaPvRmT3_T4_T5_mT6_P12ihipStream_tbENKUlT_T0_E_clISt17integral_constantIbLb0EESX_EEDaSS_ST_EUlSS_E_NS1_11comp_targetILNS1_3genE8ELNS1_11target_archE1030ELNS1_3gpuE2ELNS1_3repE0EEENS1_30default_config_static_selectorELNS0_4arch9wavefront6targetE1EEEvT1_, .Lfunc_end4006-_ZN7rocprim17ROCPRIM_400000_NS6detail17trampoline_kernelINS0_14default_configENS1_20scan_config_selectorIsEEZZNS1_9scan_implILNS1_25lookback_scan_determinismE0ELb0ELb0ES3_N6thrust23THRUST_200600_302600_NS6detail15normal_iteratorINS9_10device_ptrIsEEEENS9_16discard_iteratorINS9_11use_defaultEEEs11max_functorIsEsEEDaPvRmT3_T4_T5_mT6_P12ihipStream_tbENKUlT_T0_E_clISt17integral_constantIbLb0EESX_EEDaSS_ST_EUlSS_E_NS1_11comp_targetILNS1_3genE8ELNS1_11target_archE1030ELNS1_3gpuE2ELNS1_3repE0EEENS1_30default_config_static_selectorELNS0_4arch9wavefront6targetE1EEEvT1_
                                        ; -- End function
	.section	.AMDGPU.csdata,"",@progbits
; Kernel info:
; codeLenInByte = 0
; NumSgprs: 4
; NumVgprs: 0
; NumAgprs: 0
; TotalNumVgprs: 0
; ScratchSize: 0
; MemoryBound: 0
; FloatMode: 240
; IeeeMode: 1
; LDSByteSize: 0 bytes/workgroup (compile time only)
; SGPRBlocks: 0
; VGPRBlocks: 0
; NumSGPRsForWavesPerEU: 4
; NumVGPRsForWavesPerEU: 1
; AccumOffset: 4
; Occupancy: 8
; WaveLimiterHint : 0
; COMPUTE_PGM_RSRC2:SCRATCH_EN: 0
; COMPUTE_PGM_RSRC2:USER_SGPR: 6
; COMPUTE_PGM_RSRC2:TRAP_HANDLER: 0
; COMPUTE_PGM_RSRC2:TGID_X_EN: 1
; COMPUTE_PGM_RSRC2:TGID_Y_EN: 0
; COMPUTE_PGM_RSRC2:TGID_Z_EN: 0
; COMPUTE_PGM_RSRC2:TIDIG_COMP_CNT: 0
; COMPUTE_PGM_RSRC3_GFX90A:ACCUM_OFFSET: 0
; COMPUTE_PGM_RSRC3_GFX90A:TG_SPLIT: 0
	.section	.text._ZN7rocprim17ROCPRIM_400000_NS6detail17trampoline_kernelINS0_14default_configENS1_20scan_config_selectorIsEEZZNS1_9scan_implILNS1_25lookback_scan_determinismE0ELb0ELb0ES3_N6thrust23THRUST_200600_302600_NS6detail15normal_iteratorINS9_10device_ptrIsEEEENS9_16discard_iteratorINS9_11use_defaultEEEs11max_functorIsEsEEDaPvRmT3_T4_T5_mT6_P12ihipStream_tbENKUlT_T0_E_clISt17integral_constantIbLb0EESX_EEDaSS_ST_EUlSS_E0_NS1_11comp_targetILNS1_3genE0ELNS1_11target_archE4294967295ELNS1_3gpuE0ELNS1_3repE0EEENS1_30default_config_static_selectorELNS0_4arch9wavefront6targetE1EEEvT1_,"axG",@progbits,_ZN7rocprim17ROCPRIM_400000_NS6detail17trampoline_kernelINS0_14default_configENS1_20scan_config_selectorIsEEZZNS1_9scan_implILNS1_25lookback_scan_determinismE0ELb0ELb0ES3_N6thrust23THRUST_200600_302600_NS6detail15normal_iteratorINS9_10device_ptrIsEEEENS9_16discard_iteratorINS9_11use_defaultEEEs11max_functorIsEsEEDaPvRmT3_T4_T5_mT6_P12ihipStream_tbENKUlT_T0_E_clISt17integral_constantIbLb0EESX_EEDaSS_ST_EUlSS_E0_NS1_11comp_targetILNS1_3genE0ELNS1_11target_archE4294967295ELNS1_3gpuE0ELNS1_3repE0EEENS1_30default_config_static_selectorELNS0_4arch9wavefront6targetE1EEEvT1_,comdat
	.protected	_ZN7rocprim17ROCPRIM_400000_NS6detail17trampoline_kernelINS0_14default_configENS1_20scan_config_selectorIsEEZZNS1_9scan_implILNS1_25lookback_scan_determinismE0ELb0ELb0ES3_N6thrust23THRUST_200600_302600_NS6detail15normal_iteratorINS9_10device_ptrIsEEEENS9_16discard_iteratorINS9_11use_defaultEEEs11max_functorIsEsEEDaPvRmT3_T4_T5_mT6_P12ihipStream_tbENKUlT_T0_E_clISt17integral_constantIbLb0EESX_EEDaSS_ST_EUlSS_E0_NS1_11comp_targetILNS1_3genE0ELNS1_11target_archE4294967295ELNS1_3gpuE0ELNS1_3repE0EEENS1_30default_config_static_selectorELNS0_4arch9wavefront6targetE1EEEvT1_ ; -- Begin function _ZN7rocprim17ROCPRIM_400000_NS6detail17trampoline_kernelINS0_14default_configENS1_20scan_config_selectorIsEEZZNS1_9scan_implILNS1_25lookback_scan_determinismE0ELb0ELb0ES3_N6thrust23THRUST_200600_302600_NS6detail15normal_iteratorINS9_10device_ptrIsEEEENS9_16discard_iteratorINS9_11use_defaultEEEs11max_functorIsEsEEDaPvRmT3_T4_T5_mT6_P12ihipStream_tbENKUlT_T0_E_clISt17integral_constantIbLb0EESX_EEDaSS_ST_EUlSS_E0_NS1_11comp_targetILNS1_3genE0ELNS1_11target_archE4294967295ELNS1_3gpuE0ELNS1_3repE0EEENS1_30default_config_static_selectorELNS0_4arch9wavefront6targetE1EEEvT1_
	.globl	_ZN7rocprim17ROCPRIM_400000_NS6detail17trampoline_kernelINS0_14default_configENS1_20scan_config_selectorIsEEZZNS1_9scan_implILNS1_25lookback_scan_determinismE0ELb0ELb0ES3_N6thrust23THRUST_200600_302600_NS6detail15normal_iteratorINS9_10device_ptrIsEEEENS9_16discard_iteratorINS9_11use_defaultEEEs11max_functorIsEsEEDaPvRmT3_T4_T5_mT6_P12ihipStream_tbENKUlT_T0_E_clISt17integral_constantIbLb0EESX_EEDaSS_ST_EUlSS_E0_NS1_11comp_targetILNS1_3genE0ELNS1_11target_archE4294967295ELNS1_3gpuE0ELNS1_3repE0EEENS1_30default_config_static_selectorELNS0_4arch9wavefront6targetE1EEEvT1_
	.p2align	8
	.type	_ZN7rocprim17ROCPRIM_400000_NS6detail17trampoline_kernelINS0_14default_configENS1_20scan_config_selectorIsEEZZNS1_9scan_implILNS1_25lookback_scan_determinismE0ELb0ELb0ES3_N6thrust23THRUST_200600_302600_NS6detail15normal_iteratorINS9_10device_ptrIsEEEENS9_16discard_iteratorINS9_11use_defaultEEEs11max_functorIsEsEEDaPvRmT3_T4_T5_mT6_P12ihipStream_tbENKUlT_T0_E_clISt17integral_constantIbLb0EESX_EEDaSS_ST_EUlSS_E0_NS1_11comp_targetILNS1_3genE0ELNS1_11target_archE4294967295ELNS1_3gpuE0ELNS1_3repE0EEENS1_30default_config_static_selectorELNS0_4arch9wavefront6targetE1EEEvT1_,@function
_ZN7rocprim17ROCPRIM_400000_NS6detail17trampoline_kernelINS0_14default_configENS1_20scan_config_selectorIsEEZZNS1_9scan_implILNS1_25lookback_scan_determinismE0ELb0ELb0ES3_N6thrust23THRUST_200600_302600_NS6detail15normal_iteratorINS9_10device_ptrIsEEEENS9_16discard_iteratorINS9_11use_defaultEEEs11max_functorIsEsEEDaPvRmT3_T4_T5_mT6_P12ihipStream_tbENKUlT_T0_E_clISt17integral_constantIbLb0EESX_EEDaSS_ST_EUlSS_E0_NS1_11comp_targetILNS1_3genE0ELNS1_11target_archE4294967295ELNS1_3gpuE0ELNS1_3repE0EEENS1_30default_config_static_selectorELNS0_4arch9wavefront6targetE1EEEvT1_: ; @_ZN7rocprim17ROCPRIM_400000_NS6detail17trampoline_kernelINS0_14default_configENS1_20scan_config_selectorIsEEZZNS1_9scan_implILNS1_25lookback_scan_determinismE0ELb0ELb0ES3_N6thrust23THRUST_200600_302600_NS6detail15normal_iteratorINS9_10device_ptrIsEEEENS9_16discard_iteratorINS9_11use_defaultEEEs11max_functorIsEsEEDaPvRmT3_T4_T5_mT6_P12ihipStream_tbENKUlT_T0_E_clISt17integral_constantIbLb0EESX_EEDaSS_ST_EUlSS_E0_NS1_11comp_targetILNS1_3genE0ELNS1_11target_archE4294967295ELNS1_3gpuE0ELNS1_3repE0EEENS1_30default_config_static_selectorELNS0_4arch9wavefront6targetE1EEEvT1_
; %bb.0:
	.section	.rodata,"a",@progbits
	.p2align	6, 0x0
	.amdhsa_kernel _ZN7rocprim17ROCPRIM_400000_NS6detail17trampoline_kernelINS0_14default_configENS1_20scan_config_selectorIsEEZZNS1_9scan_implILNS1_25lookback_scan_determinismE0ELb0ELb0ES3_N6thrust23THRUST_200600_302600_NS6detail15normal_iteratorINS9_10device_ptrIsEEEENS9_16discard_iteratorINS9_11use_defaultEEEs11max_functorIsEsEEDaPvRmT3_T4_T5_mT6_P12ihipStream_tbENKUlT_T0_E_clISt17integral_constantIbLb0EESX_EEDaSS_ST_EUlSS_E0_NS1_11comp_targetILNS1_3genE0ELNS1_11target_archE4294967295ELNS1_3gpuE0ELNS1_3repE0EEENS1_30default_config_static_selectorELNS0_4arch9wavefront6targetE1EEEvT1_
		.amdhsa_group_segment_fixed_size 0
		.amdhsa_private_segment_fixed_size 0
		.amdhsa_kernarg_size 40
		.amdhsa_user_sgpr_count 6
		.amdhsa_user_sgpr_private_segment_buffer 1
		.amdhsa_user_sgpr_dispatch_ptr 0
		.amdhsa_user_sgpr_queue_ptr 0
		.amdhsa_user_sgpr_kernarg_segment_ptr 1
		.amdhsa_user_sgpr_dispatch_id 0
		.amdhsa_user_sgpr_flat_scratch_init 0
		.amdhsa_user_sgpr_kernarg_preload_length 0
		.amdhsa_user_sgpr_kernarg_preload_offset 0
		.amdhsa_user_sgpr_private_segment_size 0
		.amdhsa_uses_dynamic_stack 0
		.amdhsa_system_sgpr_private_segment_wavefront_offset 0
		.amdhsa_system_sgpr_workgroup_id_x 1
		.amdhsa_system_sgpr_workgroup_id_y 0
		.amdhsa_system_sgpr_workgroup_id_z 0
		.amdhsa_system_sgpr_workgroup_info 0
		.amdhsa_system_vgpr_workitem_id 0
		.amdhsa_next_free_vgpr 1
		.amdhsa_next_free_sgpr 0
		.amdhsa_accum_offset 4
		.amdhsa_reserve_vcc 0
		.amdhsa_reserve_flat_scratch 0
		.amdhsa_float_round_mode_32 0
		.amdhsa_float_round_mode_16_64 0
		.amdhsa_float_denorm_mode_32 3
		.amdhsa_float_denorm_mode_16_64 3
		.amdhsa_dx10_clamp 1
		.amdhsa_ieee_mode 1
		.amdhsa_fp16_overflow 0
		.amdhsa_tg_split 0
		.amdhsa_exception_fp_ieee_invalid_op 0
		.amdhsa_exception_fp_denorm_src 0
		.amdhsa_exception_fp_ieee_div_zero 0
		.amdhsa_exception_fp_ieee_overflow 0
		.amdhsa_exception_fp_ieee_underflow 0
		.amdhsa_exception_fp_ieee_inexact 0
		.amdhsa_exception_int_div_zero 0
	.end_amdhsa_kernel
	.section	.text._ZN7rocprim17ROCPRIM_400000_NS6detail17trampoline_kernelINS0_14default_configENS1_20scan_config_selectorIsEEZZNS1_9scan_implILNS1_25lookback_scan_determinismE0ELb0ELb0ES3_N6thrust23THRUST_200600_302600_NS6detail15normal_iteratorINS9_10device_ptrIsEEEENS9_16discard_iteratorINS9_11use_defaultEEEs11max_functorIsEsEEDaPvRmT3_T4_T5_mT6_P12ihipStream_tbENKUlT_T0_E_clISt17integral_constantIbLb0EESX_EEDaSS_ST_EUlSS_E0_NS1_11comp_targetILNS1_3genE0ELNS1_11target_archE4294967295ELNS1_3gpuE0ELNS1_3repE0EEENS1_30default_config_static_selectorELNS0_4arch9wavefront6targetE1EEEvT1_,"axG",@progbits,_ZN7rocprim17ROCPRIM_400000_NS6detail17trampoline_kernelINS0_14default_configENS1_20scan_config_selectorIsEEZZNS1_9scan_implILNS1_25lookback_scan_determinismE0ELb0ELb0ES3_N6thrust23THRUST_200600_302600_NS6detail15normal_iteratorINS9_10device_ptrIsEEEENS9_16discard_iteratorINS9_11use_defaultEEEs11max_functorIsEsEEDaPvRmT3_T4_T5_mT6_P12ihipStream_tbENKUlT_T0_E_clISt17integral_constantIbLb0EESX_EEDaSS_ST_EUlSS_E0_NS1_11comp_targetILNS1_3genE0ELNS1_11target_archE4294967295ELNS1_3gpuE0ELNS1_3repE0EEENS1_30default_config_static_selectorELNS0_4arch9wavefront6targetE1EEEvT1_,comdat
.Lfunc_end4007:
	.size	_ZN7rocprim17ROCPRIM_400000_NS6detail17trampoline_kernelINS0_14default_configENS1_20scan_config_selectorIsEEZZNS1_9scan_implILNS1_25lookback_scan_determinismE0ELb0ELb0ES3_N6thrust23THRUST_200600_302600_NS6detail15normal_iteratorINS9_10device_ptrIsEEEENS9_16discard_iteratorINS9_11use_defaultEEEs11max_functorIsEsEEDaPvRmT3_T4_T5_mT6_P12ihipStream_tbENKUlT_T0_E_clISt17integral_constantIbLb0EESX_EEDaSS_ST_EUlSS_E0_NS1_11comp_targetILNS1_3genE0ELNS1_11target_archE4294967295ELNS1_3gpuE0ELNS1_3repE0EEENS1_30default_config_static_selectorELNS0_4arch9wavefront6targetE1EEEvT1_, .Lfunc_end4007-_ZN7rocprim17ROCPRIM_400000_NS6detail17trampoline_kernelINS0_14default_configENS1_20scan_config_selectorIsEEZZNS1_9scan_implILNS1_25lookback_scan_determinismE0ELb0ELb0ES3_N6thrust23THRUST_200600_302600_NS6detail15normal_iteratorINS9_10device_ptrIsEEEENS9_16discard_iteratorINS9_11use_defaultEEEs11max_functorIsEsEEDaPvRmT3_T4_T5_mT6_P12ihipStream_tbENKUlT_T0_E_clISt17integral_constantIbLb0EESX_EEDaSS_ST_EUlSS_E0_NS1_11comp_targetILNS1_3genE0ELNS1_11target_archE4294967295ELNS1_3gpuE0ELNS1_3repE0EEENS1_30default_config_static_selectorELNS0_4arch9wavefront6targetE1EEEvT1_
                                        ; -- End function
	.section	.AMDGPU.csdata,"",@progbits
; Kernel info:
; codeLenInByte = 0
; NumSgprs: 4
; NumVgprs: 0
; NumAgprs: 0
; TotalNumVgprs: 0
; ScratchSize: 0
; MemoryBound: 0
; FloatMode: 240
; IeeeMode: 1
; LDSByteSize: 0 bytes/workgroup (compile time only)
; SGPRBlocks: 0
; VGPRBlocks: 0
; NumSGPRsForWavesPerEU: 4
; NumVGPRsForWavesPerEU: 1
; AccumOffset: 4
; Occupancy: 8
; WaveLimiterHint : 0
; COMPUTE_PGM_RSRC2:SCRATCH_EN: 0
; COMPUTE_PGM_RSRC2:USER_SGPR: 6
; COMPUTE_PGM_RSRC2:TRAP_HANDLER: 0
; COMPUTE_PGM_RSRC2:TGID_X_EN: 1
; COMPUTE_PGM_RSRC2:TGID_Y_EN: 0
; COMPUTE_PGM_RSRC2:TGID_Z_EN: 0
; COMPUTE_PGM_RSRC2:TIDIG_COMP_CNT: 0
; COMPUTE_PGM_RSRC3_GFX90A:ACCUM_OFFSET: 0
; COMPUTE_PGM_RSRC3_GFX90A:TG_SPLIT: 0
	.section	.text._ZN7rocprim17ROCPRIM_400000_NS6detail17trampoline_kernelINS0_14default_configENS1_20scan_config_selectorIsEEZZNS1_9scan_implILNS1_25lookback_scan_determinismE0ELb0ELb0ES3_N6thrust23THRUST_200600_302600_NS6detail15normal_iteratorINS9_10device_ptrIsEEEENS9_16discard_iteratorINS9_11use_defaultEEEs11max_functorIsEsEEDaPvRmT3_T4_T5_mT6_P12ihipStream_tbENKUlT_T0_E_clISt17integral_constantIbLb0EESX_EEDaSS_ST_EUlSS_E0_NS1_11comp_targetILNS1_3genE5ELNS1_11target_archE942ELNS1_3gpuE9ELNS1_3repE0EEENS1_30default_config_static_selectorELNS0_4arch9wavefront6targetE1EEEvT1_,"axG",@progbits,_ZN7rocprim17ROCPRIM_400000_NS6detail17trampoline_kernelINS0_14default_configENS1_20scan_config_selectorIsEEZZNS1_9scan_implILNS1_25lookback_scan_determinismE0ELb0ELb0ES3_N6thrust23THRUST_200600_302600_NS6detail15normal_iteratorINS9_10device_ptrIsEEEENS9_16discard_iteratorINS9_11use_defaultEEEs11max_functorIsEsEEDaPvRmT3_T4_T5_mT6_P12ihipStream_tbENKUlT_T0_E_clISt17integral_constantIbLb0EESX_EEDaSS_ST_EUlSS_E0_NS1_11comp_targetILNS1_3genE5ELNS1_11target_archE942ELNS1_3gpuE9ELNS1_3repE0EEENS1_30default_config_static_selectorELNS0_4arch9wavefront6targetE1EEEvT1_,comdat
	.protected	_ZN7rocprim17ROCPRIM_400000_NS6detail17trampoline_kernelINS0_14default_configENS1_20scan_config_selectorIsEEZZNS1_9scan_implILNS1_25lookback_scan_determinismE0ELb0ELb0ES3_N6thrust23THRUST_200600_302600_NS6detail15normal_iteratorINS9_10device_ptrIsEEEENS9_16discard_iteratorINS9_11use_defaultEEEs11max_functorIsEsEEDaPvRmT3_T4_T5_mT6_P12ihipStream_tbENKUlT_T0_E_clISt17integral_constantIbLb0EESX_EEDaSS_ST_EUlSS_E0_NS1_11comp_targetILNS1_3genE5ELNS1_11target_archE942ELNS1_3gpuE9ELNS1_3repE0EEENS1_30default_config_static_selectorELNS0_4arch9wavefront6targetE1EEEvT1_ ; -- Begin function _ZN7rocprim17ROCPRIM_400000_NS6detail17trampoline_kernelINS0_14default_configENS1_20scan_config_selectorIsEEZZNS1_9scan_implILNS1_25lookback_scan_determinismE0ELb0ELb0ES3_N6thrust23THRUST_200600_302600_NS6detail15normal_iteratorINS9_10device_ptrIsEEEENS9_16discard_iteratorINS9_11use_defaultEEEs11max_functorIsEsEEDaPvRmT3_T4_T5_mT6_P12ihipStream_tbENKUlT_T0_E_clISt17integral_constantIbLb0EESX_EEDaSS_ST_EUlSS_E0_NS1_11comp_targetILNS1_3genE5ELNS1_11target_archE942ELNS1_3gpuE9ELNS1_3repE0EEENS1_30default_config_static_selectorELNS0_4arch9wavefront6targetE1EEEvT1_
	.globl	_ZN7rocprim17ROCPRIM_400000_NS6detail17trampoline_kernelINS0_14default_configENS1_20scan_config_selectorIsEEZZNS1_9scan_implILNS1_25lookback_scan_determinismE0ELb0ELb0ES3_N6thrust23THRUST_200600_302600_NS6detail15normal_iteratorINS9_10device_ptrIsEEEENS9_16discard_iteratorINS9_11use_defaultEEEs11max_functorIsEsEEDaPvRmT3_T4_T5_mT6_P12ihipStream_tbENKUlT_T0_E_clISt17integral_constantIbLb0EESX_EEDaSS_ST_EUlSS_E0_NS1_11comp_targetILNS1_3genE5ELNS1_11target_archE942ELNS1_3gpuE9ELNS1_3repE0EEENS1_30default_config_static_selectorELNS0_4arch9wavefront6targetE1EEEvT1_
	.p2align	8
	.type	_ZN7rocprim17ROCPRIM_400000_NS6detail17trampoline_kernelINS0_14default_configENS1_20scan_config_selectorIsEEZZNS1_9scan_implILNS1_25lookback_scan_determinismE0ELb0ELb0ES3_N6thrust23THRUST_200600_302600_NS6detail15normal_iteratorINS9_10device_ptrIsEEEENS9_16discard_iteratorINS9_11use_defaultEEEs11max_functorIsEsEEDaPvRmT3_T4_T5_mT6_P12ihipStream_tbENKUlT_T0_E_clISt17integral_constantIbLb0EESX_EEDaSS_ST_EUlSS_E0_NS1_11comp_targetILNS1_3genE5ELNS1_11target_archE942ELNS1_3gpuE9ELNS1_3repE0EEENS1_30default_config_static_selectorELNS0_4arch9wavefront6targetE1EEEvT1_,@function
_ZN7rocprim17ROCPRIM_400000_NS6detail17trampoline_kernelINS0_14default_configENS1_20scan_config_selectorIsEEZZNS1_9scan_implILNS1_25lookback_scan_determinismE0ELb0ELb0ES3_N6thrust23THRUST_200600_302600_NS6detail15normal_iteratorINS9_10device_ptrIsEEEENS9_16discard_iteratorINS9_11use_defaultEEEs11max_functorIsEsEEDaPvRmT3_T4_T5_mT6_P12ihipStream_tbENKUlT_T0_E_clISt17integral_constantIbLb0EESX_EEDaSS_ST_EUlSS_E0_NS1_11comp_targetILNS1_3genE5ELNS1_11target_archE942ELNS1_3gpuE9ELNS1_3repE0EEENS1_30default_config_static_selectorELNS0_4arch9wavefront6targetE1EEEvT1_: ; @_ZN7rocprim17ROCPRIM_400000_NS6detail17trampoline_kernelINS0_14default_configENS1_20scan_config_selectorIsEEZZNS1_9scan_implILNS1_25lookback_scan_determinismE0ELb0ELb0ES3_N6thrust23THRUST_200600_302600_NS6detail15normal_iteratorINS9_10device_ptrIsEEEENS9_16discard_iteratorINS9_11use_defaultEEEs11max_functorIsEsEEDaPvRmT3_T4_T5_mT6_P12ihipStream_tbENKUlT_T0_E_clISt17integral_constantIbLb0EESX_EEDaSS_ST_EUlSS_E0_NS1_11comp_targetILNS1_3genE5ELNS1_11target_archE942ELNS1_3gpuE9ELNS1_3repE0EEENS1_30default_config_static_selectorELNS0_4arch9wavefront6targetE1EEEvT1_
; %bb.0:
	.section	.rodata,"a",@progbits
	.p2align	6, 0x0
	.amdhsa_kernel _ZN7rocprim17ROCPRIM_400000_NS6detail17trampoline_kernelINS0_14default_configENS1_20scan_config_selectorIsEEZZNS1_9scan_implILNS1_25lookback_scan_determinismE0ELb0ELb0ES3_N6thrust23THRUST_200600_302600_NS6detail15normal_iteratorINS9_10device_ptrIsEEEENS9_16discard_iteratorINS9_11use_defaultEEEs11max_functorIsEsEEDaPvRmT3_T4_T5_mT6_P12ihipStream_tbENKUlT_T0_E_clISt17integral_constantIbLb0EESX_EEDaSS_ST_EUlSS_E0_NS1_11comp_targetILNS1_3genE5ELNS1_11target_archE942ELNS1_3gpuE9ELNS1_3repE0EEENS1_30default_config_static_selectorELNS0_4arch9wavefront6targetE1EEEvT1_
		.amdhsa_group_segment_fixed_size 0
		.amdhsa_private_segment_fixed_size 0
		.amdhsa_kernarg_size 40
		.amdhsa_user_sgpr_count 6
		.amdhsa_user_sgpr_private_segment_buffer 1
		.amdhsa_user_sgpr_dispatch_ptr 0
		.amdhsa_user_sgpr_queue_ptr 0
		.amdhsa_user_sgpr_kernarg_segment_ptr 1
		.amdhsa_user_sgpr_dispatch_id 0
		.amdhsa_user_sgpr_flat_scratch_init 0
		.amdhsa_user_sgpr_kernarg_preload_length 0
		.amdhsa_user_sgpr_kernarg_preload_offset 0
		.amdhsa_user_sgpr_private_segment_size 0
		.amdhsa_uses_dynamic_stack 0
		.amdhsa_system_sgpr_private_segment_wavefront_offset 0
		.amdhsa_system_sgpr_workgroup_id_x 1
		.amdhsa_system_sgpr_workgroup_id_y 0
		.amdhsa_system_sgpr_workgroup_id_z 0
		.amdhsa_system_sgpr_workgroup_info 0
		.amdhsa_system_vgpr_workitem_id 0
		.amdhsa_next_free_vgpr 1
		.amdhsa_next_free_sgpr 0
		.amdhsa_accum_offset 4
		.amdhsa_reserve_vcc 0
		.amdhsa_reserve_flat_scratch 0
		.amdhsa_float_round_mode_32 0
		.amdhsa_float_round_mode_16_64 0
		.amdhsa_float_denorm_mode_32 3
		.amdhsa_float_denorm_mode_16_64 3
		.amdhsa_dx10_clamp 1
		.amdhsa_ieee_mode 1
		.amdhsa_fp16_overflow 0
		.amdhsa_tg_split 0
		.amdhsa_exception_fp_ieee_invalid_op 0
		.amdhsa_exception_fp_denorm_src 0
		.amdhsa_exception_fp_ieee_div_zero 0
		.amdhsa_exception_fp_ieee_overflow 0
		.amdhsa_exception_fp_ieee_underflow 0
		.amdhsa_exception_fp_ieee_inexact 0
		.amdhsa_exception_int_div_zero 0
	.end_amdhsa_kernel
	.section	.text._ZN7rocprim17ROCPRIM_400000_NS6detail17trampoline_kernelINS0_14default_configENS1_20scan_config_selectorIsEEZZNS1_9scan_implILNS1_25lookback_scan_determinismE0ELb0ELb0ES3_N6thrust23THRUST_200600_302600_NS6detail15normal_iteratorINS9_10device_ptrIsEEEENS9_16discard_iteratorINS9_11use_defaultEEEs11max_functorIsEsEEDaPvRmT3_T4_T5_mT6_P12ihipStream_tbENKUlT_T0_E_clISt17integral_constantIbLb0EESX_EEDaSS_ST_EUlSS_E0_NS1_11comp_targetILNS1_3genE5ELNS1_11target_archE942ELNS1_3gpuE9ELNS1_3repE0EEENS1_30default_config_static_selectorELNS0_4arch9wavefront6targetE1EEEvT1_,"axG",@progbits,_ZN7rocprim17ROCPRIM_400000_NS6detail17trampoline_kernelINS0_14default_configENS1_20scan_config_selectorIsEEZZNS1_9scan_implILNS1_25lookback_scan_determinismE0ELb0ELb0ES3_N6thrust23THRUST_200600_302600_NS6detail15normal_iteratorINS9_10device_ptrIsEEEENS9_16discard_iteratorINS9_11use_defaultEEEs11max_functorIsEsEEDaPvRmT3_T4_T5_mT6_P12ihipStream_tbENKUlT_T0_E_clISt17integral_constantIbLb0EESX_EEDaSS_ST_EUlSS_E0_NS1_11comp_targetILNS1_3genE5ELNS1_11target_archE942ELNS1_3gpuE9ELNS1_3repE0EEENS1_30default_config_static_selectorELNS0_4arch9wavefront6targetE1EEEvT1_,comdat
.Lfunc_end4008:
	.size	_ZN7rocprim17ROCPRIM_400000_NS6detail17trampoline_kernelINS0_14default_configENS1_20scan_config_selectorIsEEZZNS1_9scan_implILNS1_25lookback_scan_determinismE0ELb0ELb0ES3_N6thrust23THRUST_200600_302600_NS6detail15normal_iteratorINS9_10device_ptrIsEEEENS9_16discard_iteratorINS9_11use_defaultEEEs11max_functorIsEsEEDaPvRmT3_T4_T5_mT6_P12ihipStream_tbENKUlT_T0_E_clISt17integral_constantIbLb0EESX_EEDaSS_ST_EUlSS_E0_NS1_11comp_targetILNS1_3genE5ELNS1_11target_archE942ELNS1_3gpuE9ELNS1_3repE0EEENS1_30default_config_static_selectorELNS0_4arch9wavefront6targetE1EEEvT1_, .Lfunc_end4008-_ZN7rocprim17ROCPRIM_400000_NS6detail17trampoline_kernelINS0_14default_configENS1_20scan_config_selectorIsEEZZNS1_9scan_implILNS1_25lookback_scan_determinismE0ELb0ELb0ES3_N6thrust23THRUST_200600_302600_NS6detail15normal_iteratorINS9_10device_ptrIsEEEENS9_16discard_iteratorINS9_11use_defaultEEEs11max_functorIsEsEEDaPvRmT3_T4_T5_mT6_P12ihipStream_tbENKUlT_T0_E_clISt17integral_constantIbLb0EESX_EEDaSS_ST_EUlSS_E0_NS1_11comp_targetILNS1_3genE5ELNS1_11target_archE942ELNS1_3gpuE9ELNS1_3repE0EEENS1_30default_config_static_selectorELNS0_4arch9wavefront6targetE1EEEvT1_
                                        ; -- End function
	.section	.AMDGPU.csdata,"",@progbits
; Kernel info:
; codeLenInByte = 0
; NumSgprs: 4
; NumVgprs: 0
; NumAgprs: 0
; TotalNumVgprs: 0
; ScratchSize: 0
; MemoryBound: 0
; FloatMode: 240
; IeeeMode: 1
; LDSByteSize: 0 bytes/workgroup (compile time only)
; SGPRBlocks: 0
; VGPRBlocks: 0
; NumSGPRsForWavesPerEU: 4
; NumVGPRsForWavesPerEU: 1
; AccumOffset: 4
; Occupancy: 8
; WaveLimiterHint : 0
; COMPUTE_PGM_RSRC2:SCRATCH_EN: 0
; COMPUTE_PGM_RSRC2:USER_SGPR: 6
; COMPUTE_PGM_RSRC2:TRAP_HANDLER: 0
; COMPUTE_PGM_RSRC2:TGID_X_EN: 1
; COMPUTE_PGM_RSRC2:TGID_Y_EN: 0
; COMPUTE_PGM_RSRC2:TGID_Z_EN: 0
; COMPUTE_PGM_RSRC2:TIDIG_COMP_CNT: 0
; COMPUTE_PGM_RSRC3_GFX90A:ACCUM_OFFSET: 0
; COMPUTE_PGM_RSRC3_GFX90A:TG_SPLIT: 0
	.section	.text._ZN7rocprim17ROCPRIM_400000_NS6detail17trampoline_kernelINS0_14default_configENS1_20scan_config_selectorIsEEZZNS1_9scan_implILNS1_25lookback_scan_determinismE0ELb0ELb0ES3_N6thrust23THRUST_200600_302600_NS6detail15normal_iteratorINS9_10device_ptrIsEEEENS9_16discard_iteratorINS9_11use_defaultEEEs11max_functorIsEsEEDaPvRmT3_T4_T5_mT6_P12ihipStream_tbENKUlT_T0_E_clISt17integral_constantIbLb0EESX_EEDaSS_ST_EUlSS_E0_NS1_11comp_targetILNS1_3genE4ELNS1_11target_archE910ELNS1_3gpuE8ELNS1_3repE0EEENS1_30default_config_static_selectorELNS0_4arch9wavefront6targetE1EEEvT1_,"axG",@progbits,_ZN7rocprim17ROCPRIM_400000_NS6detail17trampoline_kernelINS0_14default_configENS1_20scan_config_selectorIsEEZZNS1_9scan_implILNS1_25lookback_scan_determinismE0ELb0ELb0ES3_N6thrust23THRUST_200600_302600_NS6detail15normal_iteratorINS9_10device_ptrIsEEEENS9_16discard_iteratorINS9_11use_defaultEEEs11max_functorIsEsEEDaPvRmT3_T4_T5_mT6_P12ihipStream_tbENKUlT_T0_E_clISt17integral_constantIbLb0EESX_EEDaSS_ST_EUlSS_E0_NS1_11comp_targetILNS1_3genE4ELNS1_11target_archE910ELNS1_3gpuE8ELNS1_3repE0EEENS1_30default_config_static_selectorELNS0_4arch9wavefront6targetE1EEEvT1_,comdat
	.protected	_ZN7rocprim17ROCPRIM_400000_NS6detail17trampoline_kernelINS0_14default_configENS1_20scan_config_selectorIsEEZZNS1_9scan_implILNS1_25lookback_scan_determinismE0ELb0ELb0ES3_N6thrust23THRUST_200600_302600_NS6detail15normal_iteratorINS9_10device_ptrIsEEEENS9_16discard_iteratorINS9_11use_defaultEEEs11max_functorIsEsEEDaPvRmT3_T4_T5_mT6_P12ihipStream_tbENKUlT_T0_E_clISt17integral_constantIbLb0EESX_EEDaSS_ST_EUlSS_E0_NS1_11comp_targetILNS1_3genE4ELNS1_11target_archE910ELNS1_3gpuE8ELNS1_3repE0EEENS1_30default_config_static_selectorELNS0_4arch9wavefront6targetE1EEEvT1_ ; -- Begin function _ZN7rocprim17ROCPRIM_400000_NS6detail17trampoline_kernelINS0_14default_configENS1_20scan_config_selectorIsEEZZNS1_9scan_implILNS1_25lookback_scan_determinismE0ELb0ELb0ES3_N6thrust23THRUST_200600_302600_NS6detail15normal_iteratorINS9_10device_ptrIsEEEENS9_16discard_iteratorINS9_11use_defaultEEEs11max_functorIsEsEEDaPvRmT3_T4_T5_mT6_P12ihipStream_tbENKUlT_T0_E_clISt17integral_constantIbLb0EESX_EEDaSS_ST_EUlSS_E0_NS1_11comp_targetILNS1_3genE4ELNS1_11target_archE910ELNS1_3gpuE8ELNS1_3repE0EEENS1_30default_config_static_selectorELNS0_4arch9wavefront6targetE1EEEvT1_
	.globl	_ZN7rocprim17ROCPRIM_400000_NS6detail17trampoline_kernelINS0_14default_configENS1_20scan_config_selectorIsEEZZNS1_9scan_implILNS1_25lookback_scan_determinismE0ELb0ELb0ES3_N6thrust23THRUST_200600_302600_NS6detail15normal_iteratorINS9_10device_ptrIsEEEENS9_16discard_iteratorINS9_11use_defaultEEEs11max_functorIsEsEEDaPvRmT3_T4_T5_mT6_P12ihipStream_tbENKUlT_T0_E_clISt17integral_constantIbLb0EESX_EEDaSS_ST_EUlSS_E0_NS1_11comp_targetILNS1_3genE4ELNS1_11target_archE910ELNS1_3gpuE8ELNS1_3repE0EEENS1_30default_config_static_selectorELNS0_4arch9wavefront6targetE1EEEvT1_
	.p2align	8
	.type	_ZN7rocprim17ROCPRIM_400000_NS6detail17trampoline_kernelINS0_14default_configENS1_20scan_config_selectorIsEEZZNS1_9scan_implILNS1_25lookback_scan_determinismE0ELb0ELb0ES3_N6thrust23THRUST_200600_302600_NS6detail15normal_iteratorINS9_10device_ptrIsEEEENS9_16discard_iteratorINS9_11use_defaultEEEs11max_functorIsEsEEDaPvRmT3_T4_T5_mT6_P12ihipStream_tbENKUlT_T0_E_clISt17integral_constantIbLb0EESX_EEDaSS_ST_EUlSS_E0_NS1_11comp_targetILNS1_3genE4ELNS1_11target_archE910ELNS1_3gpuE8ELNS1_3repE0EEENS1_30default_config_static_selectorELNS0_4arch9wavefront6targetE1EEEvT1_,@function
_ZN7rocprim17ROCPRIM_400000_NS6detail17trampoline_kernelINS0_14default_configENS1_20scan_config_selectorIsEEZZNS1_9scan_implILNS1_25lookback_scan_determinismE0ELb0ELb0ES3_N6thrust23THRUST_200600_302600_NS6detail15normal_iteratorINS9_10device_ptrIsEEEENS9_16discard_iteratorINS9_11use_defaultEEEs11max_functorIsEsEEDaPvRmT3_T4_T5_mT6_P12ihipStream_tbENKUlT_T0_E_clISt17integral_constantIbLb0EESX_EEDaSS_ST_EUlSS_E0_NS1_11comp_targetILNS1_3genE4ELNS1_11target_archE910ELNS1_3gpuE8ELNS1_3repE0EEENS1_30default_config_static_selectorELNS0_4arch9wavefront6targetE1EEEvT1_: ; @_ZN7rocprim17ROCPRIM_400000_NS6detail17trampoline_kernelINS0_14default_configENS1_20scan_config_selectorIsEEZZNS1_9scan_implILNS1_25lookback_scan_determinismE0ELb0ELb0ES3_N6thrust23THRUST_200600_302600_NS6detail15normal_iteratorINS9_10device_ptrIsEEEENS9_16discard_iteratorINS9_11use_defaultEEEs11max_functorIsEsEEDaPvRmT3_T4_T5_mT6_P12ihipStream_tbENKUlT_T0_E_clISt17integral_constantIbLb0EESX_EEDaSS_ST_EUlSS_E0_NS1_11comp_targetILNS1_3genE4ELNS1_11target_archE910ELNS1_3gpuE8ELNS1_3repE0EEENS1_30default_config_static_selectorELNS0_4arch9wavefront6targetE1EEEvT1_
; %bb.0:
	s_load_dwordx4 s[0:3], s[4:5], 0x0
	v_mov_b32_e32 v1, 0
	s_waitcnt lgkmcnt(0)
	global_load_ushort v2, v1, s[0:1]
	v_cmp_gt_u32_e32 vcc, s2, v0
	v_lshlrev_b32_e32 v1, 1, v0
	s_waitcnt vmcnt(0)
	v_mov_b32_e32 v3, v2
	s_and_saveexec_b64 s[4:5], vcc
	s_cbranch_execz .LBB4009_2
; %bb.1:
	global_load_ushort v3, v1, s[0:1]
.LBB4009_2:
	s_or_b64 exec, exec, s[4:5]
	v_or_b32_e32 v4, 64, v0
	v_cmp_gt_u32_e32 vcc, s2, v4
	v_mov_b32_e32 v4, v2
	s_and_saveexec_b64 s[4:5], vcc
	s_cbranch_execz .LBB4009_4
; %bb.3:
	global_load_ushort v4, v1, s[0:1] offset:128
.LBB4009_4:
	s_or_b64 exec, exec, s[4:5]
	v_or_b32_e32 v5, 0x80, v0
	v_cmp_gt_u32_e32 vcc, s2, v5
	v_mov_b32_e32 v5, v2
	s_and_saveexec_b64 s[4:5], vcc
	s_cbranch_execz .LBB4009_6
; %bb.5:
	global_load_ushort v5, v1, s[0:1] offset:256
.LBB4009_6:
	s_or_b64 exec, exec, s[4:5]
	v_or_b32_e32 v6, 0xc0, v0
	v_cmp_gt_u32_e32 vcc, s2, v6
	v_mov_b32_e32 v6, v2
	s_and_saveexec_b64 s[4:5], vcc
	s_cbranch_execz .LBB4009_8
; %bb.7:
	global_load_ushort v6, v1, s[0:1] offset:384
.LBB4009_8:
	s_or_b64 exec, exec, s[4:5]
	v_or_b32_e32 v7, 0x100, v0
	v_cmp_gt_u32_e32 vcc, s2, v7
	v_mov_b32_e32 v7, v2
	s_and_saveexec_b64 s[4:5], vcc
	s_cbranch_execz .LBB4009_10
; %bb.9:
	global_load_ushort v7, v1, s[0:1] offset:512
.LBB4009_10:
	s_or_b64 exec, exec, s[4:5]
	v_or_b32_e32 v8, 0x140, v0
	v_cmp_gt_u32_e32 vcc, s2, v8
	v_mov_b32_e32 v8, v2
	s_and_saveexec_b64 s[4:5], vcc
	s_cbranch_execz .LBB4009_12
; %bb.11:
	global_load_ushort v8, v1, s[0:1] offset:640
.LBB4009_12:
	s_or_b64 exec, exec, s[4:5]
	v_or_b32_e32 v9, 0x180, v0
	v_cmp_gt_u32_e32 vcc, s2, v9
	v_mov_b32_e32 v9, v2
	s_and_saveexec_b64 s[4:5], vcc
	s_cbranch_execz .LBB4009_14
; %bb.13:
	global_load_ushort v9, v1, s[0:1] offset:768
.LBB4009_14:
	s_or_b64 exec, exec, s[4:5]
	v_or_b32_e32 v10, 0x1c0, v0
	v_cmp_gt_u32_e32 vcc, s2, v10
	v_mov_b32_e32 v10, v2
	s_and_saveexec_b64 s[4:5], vcc
	s_cbranch_execz .LBB4009_16
; %bb.15:
	global_load_ushort v10, v1, s[0:1] offset:896
.LBB4009_16:
	s_or_b64 exec, exec, s[4:5]
	v_or_b32_e32 v11, 0x200, v0
	v_cmp_gt_u32_e32 vcc, s2, v11
	v_mov_b32_e32 v11, v2
	s_and_saveexec_b64 s[4:5], vcc
	s_cbranch_execz .LBB4009_18
; %bb.17:
	global_load_ushort v11, v1, s[0:1] offset:1024
.LBB4009_18:
	s_or_b64 exec, exec, s[4:5]
	v_or_b32_e32 v12, 0x240, v0
	v_cmp_gt_u32_e32 vcc, s2, v12
	v_mov_b32_e32 v12, v2
	s_and_saveexec_b64 s[4:5], vcc
	s_cbranch_execz .LBB4009_20
; %bb.19:
	global_load_ushort v12, v1, s[0:1] offset:1152
.LBB4009_20:
	s_or_b64 exec, exec, s[4:5]
	v_or_b32_e32 v13, 0x280, v0
	v_cmp_gt_u32_e32 vcc, s2, v13
	v_mov_b32_e32 v13, v2
	s_and_saveexec_b64 s[4:5], vcc
	s_cbranch_execz .LBB4009_22
; %bb.21:
	global_load_ushort v13, v1, s[0:1] offset:1280
.LBB4009_22:
	s_or_b64 exec, exec, s[4:5]
	v_or_b32_e32 v14, 0x2c0, v0
	v_cmp_gt_u32_e32 vcc, s2, v14
	v_mov_b32_e32 v14, v2
	s_and_saveexec_b64 s[4:5], vcc
	s_cbranch_execz .LBB4009_24
; %bb.23:
	global_load_ushort v14, v1, s[0:1] offset:1408
.LBB4009_24:
	s_or_b64 exec, exec, s[4:5]
	v_or_b32_e32 v15, 0x300, v0
	v_cmp_gt_u32_e32 vcc, s2, v15
	v_mov_b32_e32 v15, v2
	s_and_saveexec_b64 s[4:5], vcc
	s_cbranch_execz .LBB4009_26
; %bb.25:
	global_load_ushort v15, v1, s[0:1] offset:1536
.LBB4009_26:
	s_or_b64 exec, exec, s[4:5]
	v_or_b32_e32 v16, 0x340, v0
	v_cmp_gt_u32_e32 vcc, s2, v16
	v_mov_b32_e32 v16, v2
	s_and_saveexec_b64 s[4:5], vcc
	s_cbranch_execz .LBB4009_28
; %bb.27:
	global_load_ushort v16, v1, s[0:1] offset:1664
.LBB4009_28:
	s_or_b64 exec, exec, s[4:5]
	v_or_b32_e32 v17, 0x380, v0
	v_cmp_gt_u32_e32 vcc, s2, v17
	v_mov_b32_e32 v17, v2
	s_and_saveexec_b64 s[4:5], vcc
	s_cbranch_execz .LBB4009_30
; %bb.29:
	global_load_ushort v17, v1, s[0:1] offset:1792
.LBB4009_30:
	s_or_b64 exec, exec, s[4:5]
	v_or_b32_e32 v18, 0x3c0, v0
	v_cmp_gt_u32_e32 vcc, s2, v18
	v_mov_b32_e32 v18, v2
	s_and_saveexec_b64 s[4:5], vcc
	s_cbranch_execz .LBB4009_32
; %bb.31:
	global_load_ushort v18, v1, s[0:1] offset:1920
.LBB4009_32:
	s_or_b64 exec, exec, s[4:5]
	v_or_b32_e32 v19, 0x400, v0
	v_cmp_gt_u32_e32 vcc, s2, v19
	v_mov_b32_e32 v19, v2
	s_and_saveexec_b64 s[4:5], vcc
	s_cbranch_execz .LBB4009_34
; %bb.33:
	global_load_ushort v19, v1, s[0:1] offset:2048
.LBB4009_34:
	s_or_b64 exec, exec, s[4:5]
	v_or_b32_e32 v20, 0x440, v0
	v_cmp_gt_u32_e32 vcc, s2, v20
	v_mov_b32_e32 v20, v2
	s_and_saveexec_b64 s[4:5], vcc
	s_cbranch_execz .LBB4009_36
; %bb.35:
	global_load_ushort v20, v1, s[0:1] offset:2176
.LBB4009_36:
	s_or_b64 exec, exec, s[4:5]
	v_or_b32_e32 v21, 0x480, v0
	v_cmp_gt_u32_e32 vcc, s2, v21
	v_mov_b32_e32 v21, v2
	s_and_saveexec_b64 s[4:5], vcc
	s_cbranch_execz .LBB4009_38
; %bb.37:
	global_load_ushort v21, v1, s[0:1] offset:2304
.LBB4009_38:
	s_or_b64 exec, exec, s[4:5]
	v_or_b32_e32 v22, 0x4c0, v0
	v_cmp_gt_u32_e32 vcc, s2, v22
	v_mov_b32_e32 v22, v2
	s_and_saveexec_b64 s[4:5], vcc
	s_cbranch_execz .LBB4009_40
; %bb.39:
	global_load_ushort v22, v1, s[0:1] offset:2432
.LBB4009_40:
	s_or_b64 exec, exec, s[4:5]
	v_or_b32_e32 v23, 0x500, v0
	v_cmp_gt_u32_e32 vcc, s2, v23
	v_mov_b32_e32 v23, v2
	s_and_saveexec_b64 s[4:5], vcc
	s_cbranch_execz .LBB4009_42
; %bb.41:
	global_load_ushort v23, v1, s[0:1] offset:2560
.LBB4009_42:
	s_or_b64 exec, exec, s[4:5]
	v_or_b32_e32 v24, 0x540, v0
	v_cmp_gt_u32_e32 vcc, s2, v24
	v_mov_b32_e32 v24, v2
	s_and_saveexec_b64 s[4:5], vcc
	s_cbranch_execz .LBB4009_44
; %bb.43:
	global_load_ushort v24, v1, s[0:1] offset:2688
.LBB4009_44:
	s_or_b64 exec, exec, s[4:5]
	v_or_b32_e32 v25, 0x580, v0
	v_cmp_gt_u32_e32 vcc, s2, v25
	v_mov_b32_e32 v25, v2
	s_and_saveexec_b64 s[4:5], vcc
	s_cbranch_execz .LBB4009_46
; %bb.45:
	global_load_ushort v25, v1, s[0:1] offset:2816
.LBB4009_46:
	s_or_b64 exec, exec, s[4:5]
	v_or_b32_e32 v26, 0x5c0, v0
	v_cmp_gt_u32_e32 vcc, s2, v26
	s_and_saveexec_b64 s[2:3], vcc
	s_cbranch_execz .LBB4009_48
; %bb.47:
	global_load_ushort v2, v1, s[0:1] offset:2944
.LBB4009_48:
	s_or_b64 exec, exec, s[2:3]
	s_waitcnt vmcnt(0)
	ds_write_b16 v1, v3
	ds_write_b16 v1, v4 offset:128
	ds_write_b16 v1, v5 offset:256
	;; [unrolled: 1-line block ×23, first 2 shown]
	v_mad_u32_u24 v6, v0, 46, v1
	s_waitcnt lgkmcnt(0)
	; wave barrier
	s_waitcnt lgkmcnt(0)
	ds_read_b128 v[2:5], v6
	ds_read_b128 v[10:13], v6 offset:16
	ds_read_b128 v[6:9], v6 offset:32
	v_mbcnt_lo_u32_b32 v37, -1, 0
	v_mbcnt_hi_u32_b32 v37, -1, v37
	s_waitcnt lgkmcnt(2)
	v_max_i16_sdwa v14, v2, v2 dst_sel:DWORD dst_unused:UNUSED_PAD src0_sel:DWORD src1_sel:WORD_1
	v_max_i16_e32 v15, v14, v3
	v_max_i16_sdwa v17, v15, v3 dst_sel:DWORD dst_unused:UNUSED_PAD src0_sel:DWORD src1_sel:WORD_1
	v_max_i16_e32 v19, v17, v4
	;; [unrolled: 2-line block ×3, first 2 shown]
	v_max_i16_sdwa v27, v24, v5 dst_sel:DWORD dst_unused:UNUSED_PAD src0_sel:DWORD src1_sel:WORD_1
	s_waitcnt lgkmcnt(1)
	v_max_i16_e32 v16, v27, v10
	v_max_i16_sdwa v18, v16, v10 dst_sel:DWORD dst_unused:UNUSED_PAD src0_sel:DWORD src1_sel:WORD_1
	v_max_i16_e32 v20, v18, v11
	v_max_i16_sdwa v23, v20, v11 dst_sel:DWORD dst_unused:UNUSED_PAD src0_sel:DWORD src1_sel:WORD_1
	;; [unrolled: 2-line block ×4, first 2 shown]
	s_waitcnt lgkmcnt(0)
	v_max_i16_e32 v22, v33, v6
	v_max_i16_sdwa v25, v22, v6 dst_sel:DWORD dst_unused:UNUSED_PAD src0_sel:DWORD src1_sel:WORD_1
	v_max_i16_e32 v28, v25, v7
	v_max_i16_sdwa v30, v28, v7 dst_sel:DWORD dst_unused:UNUSED_PAD src0_sel:DWORD src1_sel:WORD_1
	;; [unrolled: 2-line block ×4, first 2 shown]
	v_and_b32_e32 v38, 15, v37
	v_cmp_eq_u32_e32 vcc, 0, v38
	v_mov_b32_dpp v39, v36 row_shr:1 row_mask:0xf bank_mask:0xf
	v_max_i16_e32 v39, v39, v36
	v_cndmask_b32_e32 v39, v39, v36, vcc
	v_and_b32_e32 v40, 0xffff, v39
	v_cmp_lt_u32_e32 vcc, 1, v38
	s_nop 0
	v_mov_b32_dpp v40, v40 row_shr:2 row_mask:0xf bank_mask:0xf
	v_max_i16_e32 v40, v40, v39
	v_cndmask_b32_e32 v39, v39, v40, vcc
	v_and_b32_e32 v40, 0xffff, v39
	v_cmp_lt_u32_e32 vcc, 3, v38
	; wave barrier
	s_nop 0
	v_mov_b32_dpp v40, v40 row_shr:4 row_mask:0xf bank_mask:0xf
	v_max_i16_e32 v40, v40, v39
	v_cndmask_b32_e32 v39, v39, v40, vcc
	v_and_b32_e32 v40, 0xffff, v39
	v_cmp_lt_u32_e32 vcc, 7, v38
	s_nop 0
	v_mov_b32_dpp v40, v40 row_shr:8 row_mask:0xf bank_mask:0xf
	v_max_i16_e32 v40, v40, v39
	v_cndmask_b32_e32 v38, v39, v40, vcc
	v_and_b32_e32 v39, 0xffff, v38
	v_and_b32_e32 v40, 16, v37
	v_cmp_eq_u32_e32 vcc, 0, v40
	v_mov_b32_dpp v39, v39 row_bcast:15 row_mask:0xf bank_mask:0xf
	v_max_i16_e32 v39, v39, v38
	v_cndmask_b32_e32 v38, v39, v38, vcc
	v_and_b32_e32 v39, 0xffff, v38
	v_cmp_lt_u32_e32 vcc, 31, v37
	s_nop 0
	v_mov_b32_dpp v39, v39 row_bcast:31 row_mask:0xf bank_mask:0xf
	v_max_i16_e32 v39, v39, v38
	v_cndmask_b32_e32 v38, v38, v39, vcc
	v_cmp_eq_u32_e32 vcc, 63, v0
	s_and_saveexec_b64 s[0:1], vcc
	s_cbranch_execz .LBB4009_50
; %bb.49:
	v_mov_b32_e32 v39, 0
	ds_write_b16 v39, v38
.LBB4009_50:
	s_or_b64 exec, exec, s[0:1]
	v_add_u32_e32 v39, -1, v37
	v_and_b32_e32 v40, 64, v37
	v_cmp_lt_i32_e32 vcc, v39, v40
	v_cndmask_b32_e32 v37, v39, v37, vcc
	v_and_b32_e32 v38, 0xffff, v38
	v_lshlrev_b32_e32 v37, 2, v37
	ds_bpermute_b32 v38, v37, v38
	v_mul_u32_u24_e32 v37, 46, v0
	v_cmp_ne_u32_e32 vcc, 0, v0
	s_waitcnt lgkmcnt(0)
	; wave barrier
	s_waitcnt lgkmcnt(0)
	s_and_saveexec_b64 s[0:1], vcc
	s_cbranch_execz .LBB4009_52
; %bb.51:
	v_max_i16_e32 v0, v38, v2
	v_max_i16_sdwa v14, v0, v2 dst_sel:DWORD dst_unused:UNUSED_PAD src0_sel:DWORD src1_sel:WORD_1
	v_max_i16_e32 v15, v14, v3
	v_max_i16_sdwa v17, v15, v3 dst_sel:DWORD dst_unused:UNUSED_PAD src0_sel:DWORD src1_sel:WORD_1
	;; [unrolled: 2-line block ×12, first 2 shown]
	v_mov_b32_e32 v2, v0
	;;#ASMSTART
	;;#ASMEND
.LBB4009_52:
	s_or_b64 exec, exec, s[0:1]
	s_mov_b32 s0, 0x5040100
	v_add_u32_e32 v6, v1, v37
	v_perm_b32 v5, v27, v24, s0
	v_perm_b32 v4, v21, v19, s0
	;; [unrolled: 1-line block ×4, first 2 shown]
	s_waitcnt lgkmcnt(0)
	; wave barrier
	ds_write_b128 v6, v[2:5]
	v_perm_b32 v3, v33, v31, s0
	v_perm_b32 v2, v29, v26, s0
	;; [unrolled: 1-line block ×4, first 2 shown]
	ds_write_b128 v6, v[0:3] offset:16
	v_perm_b32 v3, v36, v35, s0
	v_perm_b32 v2, v34, v32, s0
	v_perm_b32 v1, v30, v28, s0
	v_perm_b32 v0, v25, v22, s0
	ds_write_b128 v6, v[0:3] offset:32
	s_waitcnt lgkmcnt(0)
	; wave barrier
	s_waitcnt lgkmcnt(0)
	s_endpgm
	.section	.rodata,"a",@progbits
	.p2align	6, 0x0
	.amdhsa_kernel _ZN7rocprim17ROCPRIM_400000_NS6detail17trampoline_kernelINS0_14default_configENS1_20scan_config_selectorIsEEZZNS1_9scan_implILNS1_25lookback_scan_determinismE0ELb0ELb0ES3_N6thrust23THRUST_200600_302600_NS6detail15normal_iteratorINS9_10device_ptrIsEEEENS9_16discard_iteratorINS9_11use_defaultEEEs11max_functorIsEsEEDaPvRmT3_T4_T5_mT6_P12ihipStream_tbENKUlT_T0_E_clISt17integral_constantIbLb0EESX_EEDaSS_ST_EUlSS_E0_NS1_11comp_targetILNS1_3genE4ELNS1_11target_archE910ELNS1_3gpuE8ELNS1_3repE0EEENS1_30default_config_static_selectorELNS0_4arch9wavefront6targetE1EEEvT1_
		.amdhsa_group_segment_fixed_size 3072
		.amdhsa_private_segment_fixed_size 0
		.amdhsa_kernarg_size 40
		.amdhsa_user_sgpr_count 6
		.amdhsa_user_sgpr_private_segment_buffer 1
		.amdhsa_user_sgpr_dispatch_ptr 0
		.amdhsa_user_sgpr_queue_ptr 0
		.amdhsa_user_sgpr_kernarg_segment_ptr 1
		.amdhsa_user_sgpr_dispatch_id 0
		.amdhsa_user_sgpr_flat_scratch_init 0
		.amdhsa_user_sgpr_kernarg_preload_length 0
		.amdhsa_user_sgpr_kernarg_preload_offset 0
		.amdhsa_user_sgpr_private_segment_size 0
		.amdhsa_uses_dynamic_stack 0
		.amdhsa_system_sgpr_private_segment_wavefront_offset 0
		.amdhsa_system_sgpr_workgroup_id_x 1
		.amdhsa_system_sgpr_workgroup_id_y 0
		.amdhsa_system_sgpr_workgroup_id_z 0
		.amdhsa_system_sgpr_workgroup_info 0
		.amdhsa_system_vgpr_workitem_id 0
		.amdhsa_next_free_vgpr 41
		.amdhsa_next_free_sgpr 6
		.amdhsa_accum_offset 44
		.amdhsa_reserve_vcc 1
		.amdhsa_reserve_flat_scratch 0
		.amdhsa_float_round_mode_32 0
		.amdhsa_float_round_mode_16_64 0
		.amdhsa_float_denorm_mode_32 3
		.amdhsa_float_denorm_mode_16_64 3
		.amdhsa_dx10_clamp 1
		.amdhsa_ieee_mode 1
		.amdhsa_fp16_overflow 0
		.amdhsa_tg_split 0
		.amdhsa_exception_fp_ieee_invalid_op 0
		.amdhsa_exception_fp_denorm_src 0
		.amdhsa_exception_fp_ieee_div_zero 0
		.amdhsa_exception_fp_ieee_overflow 0
		.amdhsa_exception_fp_ieee_underflow 0
		.amdhsa_exception_fp_ieee_inexact 0
		.amdhsa_exception_int_div_zero 0
	.end_amdhsa_kernel
	.section	.text._ZN7rocprim17ROCPRIM_400000_NS6detail17trampoline_kernelINS0_14default_configENS1_20scan_config_selectorIsEEZZNS1_9scan_implILNS1_25lookback_scan_determinismE0ELb0ELb0ES3_N6thrust23THRUST_200600_302600_NS6detail15normal_iteratorINS9_10device_ptrIsEEEENS9_16discard_iteratorINS9_11use_defaultEEEs11max_functorIsEsEEDaPvRmT3_T4_T5_mT6_P12ihipStream_tbENKUlT_T0_E_clISt17integral_constantIbLb0EESX_EEDaSS_ST_EUlSS_E0_NS1_11comp_targetILNS1_3genE4ELNS1_11target_archE910ELNS1_3gpuE8ELNS1_3repE0EEENS1_30default_config_static_selectorELNS0_4arch9wavefront6targetE1EEEvT1_,"axG",@progbits,_ZN7rocprim17ROCPRIM_400000_NS6detail17trampoline_kernelINS0_14default_configENS1_20scan_config_selectorIsEEZZNS1_9scan_implILNS1_25lookback_scan_determinismE0ELb0ELb0ES3_N6thrust23THRUST_200600_302600_NS6detail15normal_iteratorINS9_10device_ptrIsEEEENS9_16discard_iteratorINS9_11use_defaultEEEs11max_functorIsEsEEDaPvRmT3_T4_T5_mT6_P12ihipStream_tbENKUlT_T0_E_clISt17integral_constantIbLb0EESX_EEDaSS_ST_EUlSS_E0_NS1_11comp_targetILNS1_3genE4ELNS1_11target_archE910ELNS1_3gpuE8ELNS1_3repE0EEENS1_30default_config_static_selectorELNS0_4arch9wavefront6targetE1EEEvT1_,comdat
.Lfunc_end4009:
	.size	_ZN7rocprim17ROCPRIM_400000_NS6detail17trampoline_kernelINS0_14default_configENS1_20scan_config_selectorIsEEZZNS1_9scan_implILNS1_25lookback_scan_determinismE0ELb0ELb0ES3_N6thrust23THRUST_200600_302600_NS6detail15normal_iteratorINS9_10device_ptrIsEEEENS9_16discard_iteratorINS9_11use_defaultEEEs11max_functorIsEsEEDaPvRmT3_T4_T5_mT6_P12ihipStream_tbENKUlT_T0_E_clISt17integral_constantIbLb0EESX_EEDaSS_ST_EUlSS_E0_NS1_11comp_targetILNS1_3genE4ELNS1_11target_archE910ELNS1_3gpuE8ELNS1_3repE0EEENS1_30default_config_static_selectorELNS0_4arch9wavefront6targetE1EEEvT1_, .Lfunc_end4009-_ZN7rocprim17ROCPRIM_400000_NS6detail17trampoline_kernelINS0_14default_configENS1_20scan_config_selectorIsEEZZNS1_9scan_implILNS1_25lookback_scan_determinismE0ELb0ELb0ES3_N6thrust23THRUST_200600_302600_NS6detail15normal_iteratorINS9_10device_ptrIsEEEENS9_16discard_iteratorINS9_11use_defaultEEEs11max_functorIsEsEEDaPvRmT3_T4_T5_mT6_P12ihipStream_tbENKUlT_T0_E_clISt17integral_constantIbLb0EESX_EEDaSS_ST_EUlSS_E0_NS1_11comp_targetILNS1_3genE4ELNS1_11target_archE910ELNS1_3gpuE8ELNS1_3repE0EEENS1_30default_config_static_selectorELNS0_4arch9wavefront6targetE1EEEvT1_
                                        ; -- End function
	.section	.AMDGPU.csdata,"",@progbits
; Kernel info:
; codeLenInByte = 1856
; NumSgprs: 10
; NumVgprs: 41
; NumAgprs: 0
; TotalNumVgprs: 41
; ScratchSize: 0
; MemoryBound: 0
; FloatMode: 240
; IeeeMode: 1
; LDSByteSize: 3072 bytes/workgroup (compile time only)
; SGPRBlocks: 1
; VGPRBlocks: 5
; NumSGPRsForWavesPerEU: 10
; NumVGPRsForWavesPerEU: 41
; AccumOffset: 44
; Occupancy: 6
; WaveLimiterHint : 0
; COMPUTE_PGM_RSRC2:SCRATCH_EN: 0
; COMPUTE_PGM_RSRC2:USER_SGPR: 6
; COMPUTE_PGM_RSRC2:TRAP_HANDLER: 0
; COMPUTE_PGM_RSRC2:TGID_X_EN: 1
; COMPUTE_PGM_RSRC2:TGID_Y_EN: 0
; COMPUTE_PGM_RSRC2:TGID_Z_EN: 0
; COMPUTE_PGM_RSRC2:TIDIG_COMP_CNT: 0
; COMPUTE_PGM_RSRC3_GFX90A:ACCUM_OFFSET: 10
; COMPUTE_PGM_RSRC3_GFX90A:TG_SPLIT: 0
	.section	.text._ZN7rocprim17ROCPRIM_400000_NS6detail17trampoline_kernelINS0_14default_configENS1_20scan_config_selectorIsEEZZNS1_9scan_implILNS1_25lookback_scan_determinismE0ELb0ELb0ES3_N6thrust23THRUST_200600_302600_NS6detail15normal_iteratorINS9_10device_ptrIsEEEENS9_16discard_iteratorINS9_11use_defaultEEEs11max_functorIsEsEEDaPvRmT3_T4_T5_mT6_P12ihipStream_tbENKUlT_T0_E_clISt17integral_constantIbLb0EESX_EEDaSS_ST_EUlSS_E0_NS1_11comp_targetILNS1_3genE3ELNS1_11target_archE908ELNS1_3gpuE7ELNS1_3repE0EEENS1_30default_config_static_selectorELNS0_4arch9wavefront6targetE1EEEvT1_,"axG",@progbits,_ZN7rocprim17ROCPRIM_400000_NS6detail17trampoline_kernelINS0_14default_configENS1_20scan_config_selectorIsEEZZNS1_9scan_implILNS1_25lookback_scan_determinismE0ELb0ELb0ES3_N6thrust23THRUST_200600_302600_NS6detail15normal_iteratorINS9_10device_ptrIsEEEENS9_16discard_iteratorINS9_11use_defaultEEEs11max_functorIsEsEEDaPvRmT3_T4_T5_mT6_P12ihipStream_tbENKUlT_T0_E_clISt17integral_constantIbLb0EESX_EEDaSS_ST_EUlSS_E0_NS1_11comp_targetILNS1_3genE3ELNS1_11target_archE908ELNS1_3gpuE7ELNS1_3repE0EEENS1_30default_config_static_selectorELNS0_4arch9wavefront6targetE1EEEvT1_,comdat
	.protected	_ZN7rocprim17ROCPRIM_400000_NS6detail17trampoline_kernelINS0_14default_configENS1_20scan_config_selectorIsEEZZNS1_9scan_implILNS1_25lookback_scan_determinismE0ELb0ELb0ES3_N6thrust23THRUST_200600_302600_NS6detail15normal_iteratorINS9_10device_ptrIsEEEENS9_16discard_iteratorINS9_11use_defaultEEEs11max_functorIsEsEEDaPvRmT3_T4_T5_mT6_P12ihipStream_tbENKUlT_T0_E_clISt17integral_constantIbLb0EESX_EEDaSS_ST_EUlSS_E0_NS1_11comp_targetILNS1_3genE3ELNS1_11target_archE908ELNS1_3gpuE7ELNS1_3repE0EEENS1_30default_config_static_selectorELNS0_4arch9wavefront6targetE1EEEvT1_ ; -- Begin function _ZN7rocprim17ROCPRIM_400000_NS6detail17trampoline_kernelINS0_14default_configENS1_20scan_config_selectorIsEEZZNS1_9scan_implILNS1_25lookback_scan_determinismE0ELb0ELb0ES3_N6thrust23THRUST_200600_302600_NS6detail15normal_iteratorINS9_10device_ptrIsEEEENS9_16discard_iteratorINS9_11use_defaultEEEs11max_functorIsEsEEDaPvRmT3_T4_T5_mT6_P12ihipStream_tbENKUlT_T0_E_clISt17integral_constantIbLb0EESX_EEDaSS_ST_EUlSS_E0_NS1_11comp_targetILNS1_3genE3ELNS1_11target_archE908ELNS1_3gpuE7ELNS1_3repE0EEENS1_30default_config_static_selectorELNS0_4arch9wavefront6targetE1EEEvT1_
	.globl	_ZN7rocprim17ROCPRIM_400000_NS6detail17trampoline_kernelINS0_14default_configENS1_20scan_config_selectorIsEEZZNS1_9scan_implILNS1_25lookback_scan_determinismE0ELb0ELb0ES3_N6thrust23THRUST_200600_302600_NS6detail15normal_iteratorINS9_10device_ptrIsEEEENS9_16discard_iteratorINS9_11use_defaultEEEs11max_functorIsEsEEDaPvRmT3_T4_T5_mT6_P12ihipStream_tbENKUlT_T0_E_clISt17integral_constantIbLb0EESX_EEDaSS_ST_EUlSS_E0_NS1_11comp_targetILNS1_3genE3ELNS1_11target_archE908ELNS1_3gpuE7ELNS1_3repE0EEENS1_30default_config_static_selectorELNS0_4arch9wavefront6targetE1EEEvT1_
	.p2align	8
	.type	_ZN7rocprim17ROCPRIM_400000_NS6detail17trampoline_kernelINS0_14default_configENS1_20scan_config_selectorIsEEZZNS1_9scan_implILNS1_25lookback_scan_determinismE0ELb0ELb0ES3_N6thrust23THRUST_200600_302600_NS6detail15normal_iteratorINS9_10device_ptrIsEEEENS9_16discard_iteratorINS9_11use_defaultEEEs11max_functorIsEsEEDaPvRmT3_T4_T5_mT6_P12ihipStream_tbENKUlT_T0_E_clISt17integral_constantIbLb0EESX_EEDaSS_ST_EUlSS_E0_NS1_11comp_targetILNS1_3genE3ELNS1_11target_archE908ELNS1_3gpuE7ELNS1_3repE0EEENS1_30default_config_static_selectorELNS0_4arch9wavefront6targetE1EEEvT1_,@function
_ZN7rocprim17ROCPRIM_400000_NS6detail17trampoline_kernelINS0_14default_configENS1_20scan_config_selectorIsEEZZNS1_9scan_implILNS1_25lookback_scan_determinismE0ELb0ELb0ES3_N6thrust23THRUST_200600_302600_NS6detail15normal_iteratorINS9_10device_ptrIsEEEENS9_16discard_iteratorINS9_11use_defaultEEEs11max_functorIsEsEEDaPvRmT3_T4_T5_mT6_P12ihipStream_tbENKUlT_T0_E_clISt17integral_constantIbLb0EESX_EEDaSS_ST_EUlSS_E0_NS1_11comp_targetILNS1_3genE3ELNS1_11target_archE908ELNS1_3gpuE7ELNS1_3repE0EEENS1_30default_config_static_selectorELNS0_4arch9wavefront6targetE1EEEvT1_: ; @_ZN7rocprim17ROCPRIM_400000_NS6detail17trampoline_kernelINS0_14default_configENS1_20scan_config_selectorIsEEZZNS1_9scan_implILNS1_25lookback_scan_determinismE0ELb0ELb0ES3_N6thrust23THRUST_200600_302600_NS6detail15normal_iteratorINS9_10device_ptrIsEEEENS9_16discard_iteratorINS9_11use_defaultEEEs11max_functorIsEsEEDaPvRmT3_T4_T5_mT6_P12ihipStream_tbENKUlT_T0_E_clISt17integral_constantIbLb0EESX_EEDaSS_ST_EUlSS_E0_NS1_11comp_targetILNS1_3genE3ELNS1_11target_archE908ELNS1_3gpuE7ELNS1_3repE0EEENS1_30default_config_static_selectorELNS0_4arch9wavefront6targetE1EEEvT1_
; %bb.0:
	.section	.rodata,"a",@progbits
	.p2align	6, 0x0
	.amdhsa_kernel _ZN7rocprim17ROCPRIM_400000_NS6detail17trampoline_kernelINS0_14default_configENS1_20scan_config_selectorIsEEZZNS1_9scan_implILNS1_25lookback_scan_determinismE0ELb0ELb0ES3_N6thrust23THRUST_200600_302600_NS6detail15normal_iteratorINS9_10device_ptrIsEEEENS9_16discard_iteratorINS9_11use_defaultEEEs11max_functorIsEsEEDaPvRmT3_T4_T5_mT6_P12ihipStream_tbENKUlT_T0_E_clISt17integral_constantIbLb0EESX_EEDaSS_ST_EUlSS_E0_NS1_11comp_targetILNS1_3genE3ELNS1_11target_archE908ELNS1_3gpuE7ELNS1_3repE0EEENS1_30default_config_static_selectorELNS0_4arch9wavefront6targetE1EEEvT1_
		.amdhsa_group_segment_fixed_size 0
		.amdhsa_private_segment_fixed_size 0
		.amdhsa_kernarg_size 40
		.amdhsa_user_sgpr_count 6
		.amdhsa_user_sgpr_private_segment_buffer 1
		.amdhsa_user_sgpr_dispatch_ptr 0
		.amdhsa_user_sgpr_queue_ptr 0
		.amdhsa_user_sgpr_kernarg_segment_ptr 1
		.amdhsa_user_sgpr_dispatch_id 0
		.amdhsa_user_sgpr_flat_scratch_init 0
		.amdhsa_user_sgpr_kernarg_preload_length 0
		.amdhsa_user_sgpr_kernarg_preload_offset 0
		.amdhsa_user_sgpr_private_segment_size 0
		.amdhsa_uses_dynamic_stack 0
		.amdhsa_system_sgpr_private_segment_wavefront_offset 0
		.amdhsa_system_sgpr_workgroup_id_x 1
		.amdhsa_system_sgpr_workgroup_id_y 0
		.amdhsa_system_sgpr_workgroup_id_z 0
		.amdhsa_system_sgpr_workgroup_info 0
		.amdhsa_system_vgpr_workitem_id 0
		.amdhsa_next_free_vgpr 1
		.amdhsa_next_free_sgpr 0
		.amdhsa_accum_offset 4
		.amdhsa_reserve_vcc 0
		.amdhsa_reserve_flat_scratch 0
		.amdhsa_float_round_mode_32 0
		.amdhsa_float_round_mode_16_64 0
		.amdhsa_float_denorm_mode_32 3
		.amdhsa_float_denorm_mode_16_64 3
		.amdhsa_dx10_clamp 1
		.amdhsa_ieee_mode 1
		.amdhsa_fp16_overflow 0
		.amdhsa_tg_split 0
		.amdhsa_exception_fp_ieee_invalid_op 0
		.amdhsa_exception_fp_denorm_src 0
		.amdhsa_exception_fp_ieee_div_zero 0
		.amdhsa_exception_fp_ieee_overflow 0
		.amdhsa_exception_fp_ieee_underflow 0
		.amdhsa_exception_fp_ieee_inexact 0
		.amdhsa_exception_int_div_zero 0
	.end_amdhsa_kernel
	.section	.text._ZN7rocprim17ROCPRIM_400000_NS6detail17trampoline_kernelINS0_14default_configENS1_20scan_config_selectorIsEEZZNS1_9scan_implILNS1_25lookback_scan_determinismE0ELb0ELb0ES3_N6thrust23THRUST_200600_302600_NS6detail15normal_iteratorINS9_10device_ptrIsEEEENS9_16discard_iteratorINS9_11use_defaultEEEs11max_functorIsEsEEDaPvRmT3_T4_T5_mT6_P12ihipStream_tbENKUlT_T0_E_clISt17integral_constantIbLb0EESX_EEDaSS_ST_EUlSS_E0_NS1_11comp_targetILNS1_3genE3ELNS1_11target_archE908ELNS1_3gpuE7ELNS1_3repE0EEENS1_30default_config_static_selectorELNS0_4arch9wavefront6targetE1EEEvT1_,"axG",@progbits,_ZN7rocprim17ROCPRIM_400000_NS6detail17trampoline_kernelINS0_14default_configENS1_20scan_config_selectorIsEEZZNS1_9scan_implILNS1_25lookback_scan_determinismE0ELb0ELb0ES3_N6thrust23THRUST_200600_302600_NS6detail15normal_iteratorINS9_10device_ptrIsEEEENS9_16discard_iteratorINS9_11use_defaultEEEs11max_functorIsEsEEDaPvRmT3_T4_T5_mT6_P12ihipStream_tbENKUlT_T0_E_clISt17integral_constantIbLb0EESX_EEDaSS_ST_EUlSS_E0_NS1_11comp_targetILNS1_3genE3ELNS1_11target_archE908ELNS1_3gpuE7ELNS1_3repE0EEENS1_30default_config_static_selectorELNS0_4arch9wavefront6targetE1EEEvT1_,comdat
.Lfunc_end4010:
	.size	_ZN7rocprim17ROCPRIM_400000_NS6detail17trampoline_kernelINS0_14default_configENS1_20scan_config_selectorIsEEZZNS1_9scan_implILNS1_25lookback_scan_determinismE0ELb0ELb0ES3_N6thrust23THRUST_200600_302600_NS6detail15normal_iteratorINS9_10device_ptrIsEEEENS9_16discard_iteratorINS9_11use_defaultEEEs11max_functorIsEsEEDaPvRmT3_T4_T5_mT6_P12ihipStream_tbENKUlT_T0_E_clISt17integral_constantIbLb0EESX_EEDaSS_ST_EUlSS_E0_NS1_11comp_targetILNS1_3genE3ELNS1_11target_archE908ELNS1_3gpuE7ELNS1_3repE0EEENS1_30default_config_static_selectorELNS0_4arch9wavefront6targetE1EEEvT1_, .Lfunc_end4010-_ZN7rocprim17ROCPRIM_400000_NS6detail17trampoline_kernelINS0_14default_configENS1_20scan_config_selectorIsEEZZNS1_9scan_implILNS1_25lookback_scan_determinismE0ELb0ELb0ES3_N6thrust23THRUST_200600_302600_NS6detail15normal_iteratorINS9_10device_ptrIsEEEENS9_16discard_iteratorINS9_11use_defaultEEEs11max_functorIsEsEEDaPvRmT3_T4_T5_mT6_P12ihipStream_tbENKUlT_T0_E_clISt17integral_constantIbLb0EESX_EEDaSS_ST_EUlSS_E0_NS1_11comp_targetILNS1_3genE3ELNS1_11target_archE908ELNS1_3gpuE7ELNS1_3repE0EEENS1_30default_config_static_selectorELNS0_4arch9wavefront6targetE1EEEvT1_
                                        ; -- End function
	.section	.AMDGPU.csdata,"",@progbits
; Kernel info:
; codeLenInByte = 0
; NumSgprs: 4
; NumVgprs: 0
; NumAgprs: 0
; TotalNumVgprs: 0
; ScratchSize: 0
; MemoryBound: 0
; FloatMode: 240
; IeeeMode: 1
; LDSByteSize: 0 bytes/workgroup (compile time only)
; SGPRBlocks: 0
; VGPRBlocks: 0
; NumSGPRsForWavesPerEU: 4
; NumVGPRsForWavesPerEU: 1
; AccumOffset: 4
; Occupancy: 8
; WaveLimiterHint : 0
; COMPUTE_PGM_RSRC2:SCRATCH_EN: 0
; COMPUTE_PGM_RSRC2:USER_SGPR: 6
; COMPUTE_PGM_RSRC2:TRAP_HANDLER: 0
; COMPUTE_PGM_RSRC2:TGID_X_EN: 1
; COMPUTE_PGM_RSRC2:TGID_Y_EN: 0
; COMPUTE_PGM_RSRC2:TGID_Z_EN: 0
; COMPUTE_PGM_RSRC2:TIDIG_COMP_CNT: 0
; COMPUTE_PGM_RSRC3_GFX90A:ACCUM_OFFSET: 0
; COMPUTE_PGM_RSRC3_GFX90A:TG_SPLIT: 0
	.section	.text._ZN7rocprim17ROCPRIM_400000_NS6detail17trampoline_kernelINS0_14default_configENS1_20scan_config_selectorIsEEZZNS1_9scan_implILNS1_25lookback_scan_determinismE0ELb0ELb0ES3_N6thrust23THRUST_200600_302600_NS6detail15normal_iteratorINS9_10device_ptrIsEEEENS9_16discard_iteratorINS9_11use_defaultEEEs11max_functorIsEsEEDaPvRmT3_T4_T5_mT6_P12ihipStream_tbENKUlT_T0_E_clISt17integral_constantIbLb0EESX_EEDaSS_ST_EUlSS_E0_NS1_11comp_targetILNS1_3genE2ELNS1_11target_archE906ELNS1_3gpuE6ELNS1_3repE0EEENS1_30default_config_static_selectorELNS0_4arch9wavefront6targetE1EEEvT1_,"axG",@progbits,_ZN7rocprim17ROCPRIM_400000_NS6detail17trampoline_kernelINS0_14default_configENS1_20scan_config_selectorIsEEZZNS1_9scan_implILNS1_25lookback_scan_determinismE0ELb0ELb0ES3_N6thrust23THRUST_200600_302600_NS6detail15normal_iteratorINS9_10device_ptrIsEEEENS9_16discard_iteratorINS9_11use_defaultEEEs11max_functorIsEsEEDaPvRmT3_T4_T5_mT6_P12ihipStream_tbENKUlT_T0_E_clISt17integral_constantIbLb0EESX_EEDaSS_ST_EUlSS_E0_NS1_11comp_targetILNS1_3genE2ELNS1_11target_archE906ELNS1_3gpuE6ELNS1_3repE0EEENS1_30default_config_static_selectorELNS0_4arch9wavefront6targetE1EEEvT1_,comdat
	.protected	_ZN7rocprim17ROCPRIM_400000_NS6detail17trampoline_kernelINS0_14default_configENS1_20scan_config_selectorIsEEZZNS1_9scan_implILNS1_25lookback_scan_determinismE0ELb0ELb0ES3_N6thrust23THRUST_200600_302600_NS6detail15normal_iteratorINS9_10device_ptrIsEEEENS9_16discard_iteratorINS9_11use_defaultEEEs11max_functorIsEsEEDaPvRmT3_T4_T5_mT6_P12ihipStream_tbENKUlT_T0_E_clISt17integral_constantIbLb0EESX_EEDaSS_ST_EUlSS_E0_NS1_11comp_targetILNS1_3genE2ELNS1_11target_archE906ELNS1_3gpuE6ELNS1_3repE0EEENS1_30default_config_static_selectorELNS0_4arch9wavefront6targetE1EEEvT1_ ; -- Begin function _ZN7rocprim17ROCPRIM_400000_NS6detail17trampoline_kernelINS0_14default_configENS1_20scan_config_selectorIsEEZZNS1_9scan_implILNS1_25lookback_scan_determinismE0ELb0ELb0ES3_N6thrust23THRUST_200600_302600_NS6detail15normal_iteratorINS9_10device_ptrIsEEEENS9_16discard_iteratorINS9_11use_defaultEEEs11max_functorIsEsEEDaPvRmT3_T4_T5_mT6_P12ihipStream_tbENKUlT_T0_E_clISt17integral_constantIbLb0EESX_EEDaSS_ST_EUlSS_E0_NS1_11comp_targetILNS1_3genE2ELNS1_11target_archE906ELNS1_3gpuE6ELNS1_3repE0EEENS1_30default_config_static_selectorELNS0_4arch9wavefront6targetE1EEEvT1_
	.globl	_ZN7rocprim17ROCPRIM_400000_NS6detail17trampoline_kernelINS0_14default_configENS1_20scan_config_selectorIsEEZZNS1_9scan_implILNS1_25lookback_scan_determinismE0ELb0ELb0ES3_N6thrust23THRUST_200600_302600_NS6detail15normal_iteratorINS9_10device_ptrIsEEEENS9_16discard_iteratorINS9_11use_defaultEEEs11max_functorIsEsEEDaPvRmT3_T4_T5_mT6_P12ihipStream_tbENKUlT_T0_E_clISt17integral_constantIbLb0EESX_EEDaSS_ST_EUlSS_E0_NS1_11comp_targetILNS1_3genE2ELNS1_11target_archE906ELNS1_3gpuE6ELNS1_3repE0EEENS1_30default_config_static_selectorELNS0_4arch9wavefront6targetE1EEEvT1_
	.p2align	8
	.type	_ZN7rocprim17ROCPRIM_400000_NS6detail17trampoline_kernelINS0_14default_configENS1_20scan_config_selectorIsEEZZNS1_9scan_implILNS1_25lookback_scan_determinismE0ELb0ELb0ES3_N6thrust23THRUST_200600_302600_NS6detail15normal_iteratorINS9_10device_ptrIsEEEENS9_16discard_iteratorINS9_11use_defaultEEEs11max_functorIsEsEEDaPvRmT3_T4_T5_mT6_P12ihipStream_tbENKUlT_T0_E_clISt17integral_constantIbLb0EESX_EEDaSS_ST_EUlSS_E0_NS1_11comp_targetILNS1_3genE2ELNS1_11target_archE906ELNS1_3gpuE6ELNS1_3repE0EEENS1_30default_config_static_selectorELNS0_4arch9wavefront6targetE1EEEvT1_,@function
_ZN7rocprim17ROCPRIM_400000_NS6detail17trampoline_kernelINS0_14default_configENS1_20scan_config_selectorIsEEZZNS1_9scan_implILNS1_25lookback_scan_determinismE0ELb0ELb0ES3_N6thrust23THRUST_200600_302600_NS6detail15normal_iteratorINS9_10device_ptrIsEEEENS9_16discard_iteratorINS9_11use_defaultEEEs11max_functorIsEsEEDaPvRmT3_T4_T5_mT6_P12ihipStream_tbENKUlT_T0_E_clISt17integral_constantIbLb0EESX_EEDaSS_ST_EUlSS_E0_NS1_11comp_targetILNS1_3genE2ELNS1_11target_archE906ELNS1_3gpuE6ELNS1_3repE0EEENS1_30default_config_static_selectorELNS0_4arch9wavefront6targetE1EEEvT1_: ; @_ZN7rocprim17ROCPRIM_400000_NS6detail17trampoline_kernelINS0_14default_configENS1_20scan_config_selectorIsEEZZNS1_9scan_implILNS1_25lookback_scan_determinismE0ELb0ELb0ES3_N6thrust23THRUST_200600_302600_NS6detail15normal_iteratorINS9_10device_ptrIsEEEENS9_16discard_iteratorINS9_11use_defaultEEEs11max_functorIsEsEEDaPvRmT3_T4_T5_mT6_P12ihipStream_tbENKUlT_T0_E_clISt17integral_constantIbLb0EESX_EEDaSS_ST_EUlSS_E0_NS1_11comp_targetILNS1_3genE2ELNS1_11target_archE906ELNS1_3gpuE6ELNS1_3repE0EEENS1_30default_config_static_selectorELNS0_4arch9wavefront6targetE1EEEvT1_
; %bb.0:
	.section	.rodata,"a",@progbits
	.p2align	6, 0x0
	.amdhsa_kernel _ZN7rocprim17ROCPRIM_400000_NS6detail17trampoline_kernelINS0_14default_configENS1_20scan_config_selectorIsEEZZNS1_9scan_implILNS1_25lookback_scan_determinismE0ELb0ELb0ES3_N6thrust23THRUST_200600_302600_NS6detail15normal_iteratorINS9_10device_ptrIsEEEENS9_16discard_iteratorINS9_11use_defaultEEEs11max_functorIsEsEEDaPvRmT3_T4_T5_mT6_P12ihipStream_tbENKUlT_T0_E_clISt17integral_constantIbLb0EESX_EEDaSS_ST_EUlSS_E0_NS1_11comp_targetILNS1_3genE2ELNS1_11target_archE906ELNS1_3gpuE6ELNS1_3repE0EEENS1_30default_config_static_selectorELNS0_4arch9wavefront6targetE1EEEvT1_
		.amdhsa_group_segment_fixed_size 0
		.amdhsa_private_segment_fixed_size 0
		.amdhsa_kernarg_size 40
		.amdhsa_user_sgpr_count 6
		.amdhsa_user_sgpr_private_segment_buffer 1
		.amdhsa_user_sgpr_dispatch_ptr 0
		.amdhsa_user_sgpr_queue_ptr 0
		.amdhsa_user_sgpr_kernarg_segment_ptr 1
		.amdhsa_user_sgpr_dispatch_id 0
		.amdhsa_user_sgpr_flat_scratch_init 0
		.amdhsa_user_sgpr_kernarg_preload_length 0
		.amdhsa_user_sgpr_kernarg_preload_offset 0
		.amdhsa_user_sgpr_private_segment_size 0
		.amdhsa_uses_dynamic_stack 0
		.amdhsa_system_sgpr_private_segment_wavefront_offset 0
		.amdhsa_system_sgpr_workgroup_id_x 1
		.amdhsa_system_sgpr_workgroup_id_y 0
		.amdhsa_system_sgpr_workgroup_id_z 0
		.amdhsa_system_sgpr_workgroup_info 0
		.amdhsa_system_vgpr_workitem_id 0
		.amdhsa_next_free_vgpr 1
		.amdhsa_next_free_sgpr 0
		.amdhsa_accum_offset 4
		.amdhsa_reserve_vcc 0
		.amdhsa_reserve_flat_scratch 0
		.amdhsa_float_round_mode_32 0
		.amdhsa_float_round_mode_16_64 0
		.amdhsa_float_denorm_mode_32 3
		.amdhsa_float_denorm_mode_16_64 3
		.amdhsa_dx10_clamp 1
		.amdhsa_ieee_mode 1
		.amdhsa_fp16_overflow 0
		.amdhsa_tg_split 0
		.amdhsa_exception_fp_ieee_invalid_op 0
		.amdhsa_exception_fp_denorm_src 0
		.amdhsa_exception_fp_ieee_div_zero 0
		.amdhsa_exception_fp_ieee_overflow 0
		.amdhsa_exception_fp_ieee_underflow 0
		.amdhsa_exception_fp_ieee_inexact 0
		.amdhsa_exception_int_div_zero 0
	.end_amdhsa_kernel
	.section	.text._ZN7rocprim17ROCPRIM_400000_NS6detail17trampoline_kernelINS0_14default_configENS1_20scan_config_selectorIsEEZZNS1_9scan_implILNS1_25lookback_scan_determinismE0ELb0ELb0ES3_N6thrust23THRUST_200600_302600_NS6detail15normal_iteratorINS9_10device_ptrIsEEEENS9_16discard_iteratorINS9_11use_defaultEEEs11max_functorIsEsEEDaPvRmT3_T4_T5_mT6_P12ihipStream_tbENKUlT_T0_E_clISt17integral_constantIbLb0EESX_EEDaSS_ST_EUlSS_E0_NS1_11comp_targetILNS1_3genE2ELNS1_11target_archE906ELNS1_3gpuE6ELNS1_3repE0EEENS1_30default_config_static_selectorELNS0_4arch9wavefront6targetE1EEEvT1_,"axG",@progbits,_ZN7rocprim17ROCPRIM_400000_NS6detail17trampoline_kernelINS0_14default_configENS1_20scan_config_selectorIsEEZZNS1_9scan_implILNS1_25lookback_scan_determinismE0ELb0ELb0ES3_N6thrust23THRUST_200600_302600_NS6detail15normal_iteratorINS9_10device_ptrIsEEEENS9_16discard_iteratorINS9_11use_defaultEEEs11max_functorIsEsEEDaPvRmT3_T4_T5_mT6_P12ihipStream_tbENKUlT_T0_E_clISt17integral_constantIbLb0EESX_EEDaSS_ST_EUlSS_E0_NS1_11comp_targetILNS1_3genE2ELNS1_11target_archE906ELNS1_3gpuE6ELNS1_3repE0EEENS1_30default_config_static_selectorELNS0_4arch9wavefront6targetE1EEEvT1_,comdat
.Lfunc_end4011:
	.size	_ZN7rocprim17ROCPRIM_400000_NS6detail17trampoline_kernelINS0_14default_configENS1_20scan_config_selectorIsEEZZNS1_9scan_implILNS1_25lookback_scan_determinismE0ELb0ELb0ES3_N6thrust23THRUST_200600_302600_NS6detail15normal_iteratorINS9_10device_ptrIsEEEENS9_16discard_iteratorINS9_11use_defaultEEEs11max_functorIsEsEEDaPvRmT3_T4_T5_mT6_P12ihipStream_tbENKUlT_T0_E_clISt17integral_constantIbLb0EESX_EEDaSS_ST_EUlSS_E0_NS1_11comp_targetILNS1_3genE2ELNS1_11target_archE906ELNS1_3gpuE6ELNS1_3repE0EEENS1_30default_config_static_selectorELNS0_4arch9wavefront6targetE1EEEvT1_, .Lfunc_end4011-_ZN7rocprim17ROCPRIM_400000_NS6detail17trampoline_kernelINS0_14default_configENS1_20scan_config_selectorIsEEZZNS1_9scan_implILNS1_25lookback_scan_determinismE0ELb0ELb0ES3_N6thrust23THRUST_200600_302600_NS6detail15normal_iteratorINS9_10device_ptrIsEEEENS9_16discard_iteratorINS9_11use_defaultEEEs11max_functorIsEsEEDaPvRmT3_T4_T5_mT6_P12ihipStream_tbENKUlT_T0_E_clISt17integral_constantIbLb0EESX_EEDaSS_ST_EUlSS_E0_NS1_11comp_targetILNS1_3genE2ELNS1_11target_archE906ELNS1_3gpuE6ELNS1_3repE0EEENS1_30default_config_static_selectorELNS0_4arch9wavefront6targetE1EEEvT1_
                                        ; -- End function
	.section	.AMDGPU.csdata,"",@progbits
; Kernel info:
; codeLenInByte = 0
; NumSgprs: 4
; NumVgprs: 0
; NumAgprs: 0
; TotalNumVgprs: 0
; ScratchSize: 0
; MemoryBound: 0
; FloatMode: 240
; IeeeMode: 1
; LDSByteSize: 0 bytes/workgroup (compile time only)
; SGPRBlocks: 0
; VGPRBlocks: 0
; NumSGPRsForWavesPerEU: 4
; NumVGPRsForWavesPerEU: 1
; AccumOffset: 4
; Occupancy: 8
; WaveLimiterHint : 0
; COMPUTE_PGM_RSRC2:SCRATCH_EN: 0
; COMPUTE_PGM_RSRC2:USER_SGPR: 6
; COMPUTE_PGM_RSRC2:TRAP_HANDLER: 0
; COMPUTE_PGM_RSRC2:TGID_X_EN: 1
; COMPUTE_PGM_RSRC2:TGID_Y_EN: 0
; COMPUTE_PGM_RSRC2:TGID_Z_EN: 0
; COMPUTE_PGM_RSRC2:TIDIG_COMP_CNT: 0
; COMPUTE_PGM_RSRC3_GFX90A:ACCUM_OFFSET: 0
; COMPUTE_PGM_RSRC3_GFX90A:TG_SPLIT: 0
	.section	.text._ZN7rocprim17ROCPRIM_400000_NS6detail17trampoline_kernelINS0_14default_configENS1_20scan_config_selectorIsEEZZNS1_9scan_implILNS1_25lookback_scan_determinismE0ELb0ELb0ES3_N6thrust23THRUST_200600_302600_NS6detail15normal_iteratorINS9_10device_ptrIsEEEENS9_16discard_iteratorINS9_11use_defaultEEEs11max_functorIsEsEEDaPvRmT3_T4_T5_mT6_P12ihipStream_tbENKUlT_T0_E_clISt17integral_constantIbLb0EESX_EEDaSS_ST_EUlSS_E0_NS1_11comp_targetILNS1_3genE10ELNS1_11target_archE1201ELNS1_3gpuE5ELNS1_3repE0EEENS1_30default_config_static_selectorELNS0_4arch9wavefront6targetE1EEEvT1_,"axG",@progbits,_ZN7rocprim17ROCPRIM_400000_NS6detail17trampoline_kernelINS0_14default_configENS1_20scan_config_selectorIsEEZZNS1_9scan_implILNS1_25lookback_scan_determinismE0ELb0ELb0ES3_N6thrust23THRUST_200600_302600_NS6detail15normal_iteratorINS9_10device_ptrIsEEEENS9_16discard_iteratorINS9_11use_defaultEEEs11max_functorIsEsEEDaPvRmT3_T4_T5_mT6_P12ihipStream_tbENKUlT_T0_E_clISt17integral_constantIbLb0EESX_EEDaSS_ST_EUlSS_E0_NS1_11comp_targetILNS1_3genE10ELNS1_11target_archE1201ELNS1_3gpuE5ELNS1_3repE0EEENS1_30default_config_static_selectorELNS0_4arch9wavefront6targetE1EEEvT1_,comdat
	.protected	_ZN7rocprim17ROCPRIM_400000_NS6detail17trampoline_kernelINS0_14default_configENS1_20scan_config_selectorIsEEZZNS1_9scan_implILNS1_25lookback_scan_determinismE0ELb0ELb0ES3_N6thrust23THRUST_200600_302600_NS6detail15normal_iteratorINS9_10device_ptrIsEEEENS9_16discard_iteratorINS9_11use_defaultEEEs11max_functorIsEsEEDaPvRmT3_T4_T5_mT6_P12ihipStream_tbENKUlT_T0_E_clISt17integral_constantIbLb0EESX_EEDaSS_ST_EUlSS_E0_NS1_11comp_targetILNS1_3genE10ELNS1_11target_archE1201ELNS1_3gpuE5ELNS1_3repE0EEENS1_30default_config_static_selectorELNS0_4arch9wavefront6targetE1EEEvT1_ ; -- Begin function _ZN7rocprim17ROCPRIM_400000_NS6detail17trampoline_kernelINS0_14default_configENS1_20scan_config_selectorIsEEZZNS1_9scan_implILNS1_25lookback_scan_determinismE0ELb0ELb0ES3_N6thrust23THRUST_200600_302600_NS6detail15normal_iteratorINS9_10device_ptrIsEEEENS9_16discard_iteratorINS9_11use_defaultEEEs11max_functorIsEsEEDaPvRmT3_T4_T5_mT6_P12ihipStream_tbENKUlT_T0_E_clISt17integral_constantIbLb0EESX_EEDaSS_ST_EUlSS_E0_NS1_11comp_targetILNS1_3genE10ELNS1_11target_archE1201ELNS1_3gpuE5ELNS1_3repE0EEENS1_30default_config_static_selectorELNS0_4arch9wavefront6targetE1EEEvT1_
	.globl	_ZN7rocprim17ROCPRIM_400000_NS6detail17trampoline_kernelINS0_14default_configENS1_20scan_config_selectorIsEEZZNS1_9scan_implILNS1_25lookback_scan_determinismE0ELb0ELb0ES3_N6thrust23THRUST_200600_302600_NS6detail15normal_iteratorINS9_10device_ptrIsEEEENS9_16discard_iteratorINS9_11use_defaultEEEs11max_functorIsEsEEDaPvRmT3_T4_T5_mT6_P12ihipStream_tbENKUlT_T0_E_clISt17integral_constantIbLb0EESX_EEDaSS_ST_EUlSS_E0_NS1_11comp_targetILNS1_3genE10ELNS1_11target_archE1201ELNS1_3gpuE5ELNS1_3repE0EEENS1_30default_config_static_selectorELNS0_4arch9wavefront6targetE1EEEvT1_
	.p2align	8
	.type	_ZN7rocprim17ROCPRIM_400000_NS6detail17trampoline_kernelINS0_14default_configENS1_20scan_config_selectorIsEEZZNS1_9scan_implILNS1_25lookback_scan_determinismE0ELb0ELb0ES3_N6thrust23THRUST_200600_302600_NS6detail15normal_iteratorINS9_10device_ptrIsEEEENS9_16discard_iteratorINS9_11use_defaultEEEs11max_functorIsEsEEDaPvRmT3_T4_T5_mT6_P12ihipStream_tbENKUlT_T0_E_clISt17integral_constantIbLb0EESX_EEDaSS_ST_EUlSS_E0_NS1_11comp_targetILNS1_3genE10ELNS1_11target_archE1201ELNS1_3gpuE5ELNS1_3repE0EEENS1_30default_config_static_selectorELNS0_4arch9wavefront6targetE1EEEvT1_,@function
_ZN7rocprim17ROCPRIM_400000_NS6detail17trampoline_kernelINS0_14default_configENS1_20scan_config_selectorIsEEZZNS1_9scan_implILNS1_25lookback_scan_determinismE0ELb0ELb0ES3_N6thrust23THRUST_200600_302600_NS6detail15normal_iteratorINS9_10device_ptrIsEEEENS9_16discard_iteratorINS9_11use_defaultEEEs11max_functorIsEsEEDaPvRmT3_T4_T5_mT6_P12ihipStream_tbENKUlT_T0_E_clISt17integral_constantIbLb0EESX_EEDaSS_ST_EUlSS_E0_NS1_11comp_targetILNS1_3genE10ELNS1_11target_archE1201ELNS1_3gpuE5ELNS1_3repE0EEENS1_30default_config_static_selectorELNS0_4arch9wavefront6targetE1EEEvT1_: ; @_ZN7rocprim17ROCPRIM_400000_NS6detail17trampoline_kernelINS0_14default_configENS1_20scan_config_selectorIsEEZZNS1_9scan_implILNS1_25lookback_scan_determinismE0ELb0ELb0ES3_N6thrust23THRUST_200600_302600_NS6detail15normal_iteratorINS9_10device_ptrIsEEEENS9_16discard_iteratorINS9_11use_defaultEEEs11max_functorIsEsEEDaPvRmT3_T4_T5_mT6_P12ihipStream_tbENKUlT_T0_E_clISt17integral_constantIbLb0EESX_EEDaSS_ST_EUlSS_E0_NS1_11comp_targetILNS1_3genE10ELNS1_11target_archE1201ELNS1_3gpuE5ELNS1_3repE0EEENS1_30default_config_static_selectorELNS0_4arch9wavefront6targetE1EEEvT1_
; %bb.0:
	.section	.rodata,"a",@progbits
	.p2align	6, 0x0
	.amdhsa_kernel _ZN7rocprim17ROCPRIM_400000_NS6detail17trampoline_kernelINS0_14default_configENS1_20scan_config_selectorIsEEZZNS1_9scan_implILNS1_25lookback_scan_determinismE0ELb0ELb0ES3_N6thrust23THRUST_200600_302600_NS6detail15normal_iteratorINS9_10device_ptrIsEEEENS9_16discard_iteratorINS9_11use_defaultEEEs11max_functorIsEsEEDaPvRmT3_T4_T5_mT6_P12ihipStream_tbENKUlT_T0_E_clISt17integral_constantIbLb0EESX_EEDaSS_ST_EUlSS_E0_NS1_11comp_targetILNS1_3genE10ELNS1_11target_archE1201ELNS1_3gpuE5ELNS1_3repE0EEENS1_30default_config_static_selectorELNS0_4arch9wavefront6targetE1EEEvT1_
		.amdhsa_group_segment_fixed_size 0
		.amdhsa_private_segment_fixed_size 0
		.amdhsa_kernarg_size 40
		.amdhsa_user_sgpr_count 6
		.amdhsa_user_sgpr_private_segment_buffer 1
		.amdhsa_user_sgpr_dispatch_ptr 0
		.amdhsa_user_sgpr_queue_ptr 0
		.amdhsa_user_sgpr_kernarg_segment_ptr 1
		.amdhsa_user_sgpr_dispatch_id 0
		.amdhsa_user_sgpr_flat_scratch_init 0
		.amdhsa_user_sgpr_kernarg_preload_length 0
		.amdhsa_user_sgpr_kernarg_preload_offset 0
		.amdhsa_user_sgpr_private_segment_size 0
		.amdhsa_uses_dynamic_stack 0
		.amdhsa_system_sgpr_private_segment_wavefront_offset 0
		.amdhsa_system_sgpr_workgroup_id_x 1
		.amdhsa_system_sgpr_workgroup_id_y 0
		.amdhsa_system_sgpr_workgroup_id_z 0
		.amdhsa_system_sgpr_workgroup_info 0
		.amdhsa_system_vgpr_workitem_id 0
		.amdhsa_next_free_vgpr 1
		.amdhsa_next_free_sgpr 0
		.amdhsa_accum_offset 4
		.amdhsa_reserve_vcc 0
		.amdhsa_reserve_flat_scratch 0
		.amdhsa_float_round_mode_32 0
		.amdhsa_float_round_mode_16_64 0
		.amdhsa_float_denorm_mode_32 3
		.amdhsa_float_denorm_mode_16_64 3
		.amdhsa_dx10_clamp 1
		.amdhsa_ieee_mode 1
		.amdhsa_fp16_overflow 0
		.amdhsa_tg_split 0
		.amdhsa_exception_fp_ieee_invalid_op 0
		.amdhsa_exception_fp_denorm_src 0
		.amdhsa_exception_fp_ieee_div_zero 0
		.amdhsa_exception_fp_ieee_overflow 0
		.amdhsa_exception_fp_ieee_underflow 0
		.amdhsa_exception_fp_ieee_inexact 0
		.amdhsa_exception_int_div_zero 0
	.end_amdhsa_kernel
	.section	.text._ZN7rocprim17ROCPRIM_400000_NS6detail17trampoline_kernelINS0_14default_configENS1_20scan_config_selectorIsEEZZNS1_9scan_implILNS1_25lookback_scan_determinismE0ELb0ELb0ES3_N6thrust23THRUST_200600_302600_NS6detail15normal_iteratorINS9_10device_ptrIsEEEENS9_16discard_iteratorINS9_11use_defaultEEEs11max_functorIsEsEEDaPvRmT3_T4_T5_mT6_P12ihipStream_tbENKUlT_T0_E_clISt17integral_constantIbLb0EESX_EEDaSS_ST_EUlSS_E0_NS1_11comp_targetILNS1_3genE10ELNS1_11target_archE1201ELNS1_3gpuE5ELNS1_3repE0EEENS1_30default_config_static_selectorELNS0_4arch9wavefront6targetE1EEEvT1_,"axG",@progbits,_ZN7rocprim17ROCPRIM_400000_NS6detail17trampoline_kernelINS0_14default_configENS1_20scan_config_selectorIsEEZZNS1_9scan_implILNS1_25lookback_scan_determinismE0ELb0ELb0ES3_N6thrust23THRUST_200600_302600_NS6detail15normal_iteratorINS9_10device_ptrIsEEEENS9_16discard_iteratorINS9_11use_defaultEEEs11max_functorIsEsEEDaPvRmT3_T4_T5_mT6_P12ihipStream_tbENKUlT_T0_E_clISt17integral_constantIbLb0EESX_EEDaSS_ST_EUlSS_E0_NS1_11comp_targetILNS1_3genE10ELNS1_11target_archE1201ELNS1_3gpuE5ELNS1_3repE0EEENS1_30default_config_static_selectorELNS0_4arch9wavefront6targetE1EEEvT1_,comdat
.Lfunc_end4012:
	.size	_ZN7rocprim17ROCPRIM_400000_NS6detail17trampoline_kernelINS0_14default_configENS1_20scan_config_selectorIsEEZZNS1_9scan_implILNS1_25lookback_scan_determinismE0ELb0ELb0ES3_N6thrust23THRUST_200600_302600_NS6detail15normal_iteratorINS9_10device_ptrIsEEEENS9_16discard_iteratorINS9_11use_defaultEEEs11max_functorIsEsEEDaPvRmT3_T4_T5_mT6_P12ihipStream_tbENKUlT_T0_E_clISt17integral_constantIbLb0EESX_EEDaSS_ST_EUlSS_E0_NS1_11comp_targetILNS1_3genE10ELNS1_11target_archE1201ELNS1_3gpuE5ELNS1_3repE0EEENS1_30default_config_static_selectorELNS0_4arch9wavefront6targetE1EEEvT1_, .Lfunc_end4012-_ZN7rocprim17ROCPRIM_400000_NS6detail17trampoline_kernelINS0_14default_configENS1_20scan_config_selectorIsEEZZNS1_9scan_implILNS1_25lookback_scan_determinismE0ELb0ELb0ES3_N6thrust23THRUST_200600_302600_NS6detail15normal_iteratorINS9_10device_ptrIsEEEENS9_16discard_iteratorINS9_11use_defaultEEEs11max_functorIsEsEEDaPvRmT3_T4_T5_mT6_P12ihipStream_tbENKUlT_T0_E_clISt17integral_constantIbLb0EESX_EEDaSS_ST_EUlSS_E0_NS1_11comp_targetILNS1_3genE10ELNS1_11target_archE1201ELNS1_3gpuE5ELNS1_3repE0EEENS1_30default_config_static_selectorELNS0_4arch9wavefront6targetE1EEEvT1_
                                        ; -- End function
	.section	.AMDGPU.csdata,"",@progbits
; Kernel info:
; codeLenInByte = 0
; NumSgprs: 4
; NumVgprs: 0
; NumAgprs: 0
; TotalNumVgprs: 0
; ScratchSize: 0
; MemoryBound: 0
; FloatMode: 240
; IeeeMode: 1
; LDSByteSize: 0 bytes/workgroup (compile time only)
; SGPRBlocks: 0
; VGPRBlocks: 0
; NumSGPRsForWavesPerEU: 4
; NumVGPRsForWavesPerEU: 1
; AccumOffset: 4
; Occupancy: 8
; WaveLimiterHint : 0
; COMPUTE_PGM_RSRC2:SCRATCH_EN: 0
; COMPUTE_PGM_RSRC2:USER_SGPR: 6
; COMPUTE_PGM_RSRC2:TRAP_HANDLER: 0
; COMPUTE_PGM_RSRC2:TGID_X_EN: 1
; COMPUTE_PGM_RSRC2:TGID_Y_EN: 0
; COMPUTE_PGM_RSRC2:TGID_Z_EN: 0
; COMPUTE_PGM_RSRC2:TIDIG_COMP_CNT: 0
; COMPUTE_PGM_RSRC3_GFX90A:ACCUM_OFFSET: 0
; COMPUTE_PGM_RSRC3_GFX90A:TG_SPLIT: 0
	.section	.text._ZN7rocprim17ROCPRIM_400000_NS6detail17trampoline_kernelINS0_14default_configENS1_20scan_config_selectorIsEEZZNS1_9scan_implILNS1_25lookback_scan_determinismE0ELb0ELb0ES3_N6thrust23THRUST_200600_302600_NS6detail15normal_iteratorINS9_10device_ptrIsEEEENS9_16discard_iteratorINS9_11use_defaultEEEs11max_functorIsEsEEDaPvRmT3_T4_T5_mT6_P12ihipStream_tbENKUlT_T0_E_clISt17integral_constantIbLb0EESX_EEDaSS_ST_EUlSS_E0_NS1_11comp_targetILNS1_3genE10ELNS1_11target_archE1200ELNS1_3gpuE4ELNS1_3repE0EEENS1_30default_config_static_selectorELNS0_4arch9wavefront6targetE1EEEvT1_,"axG",@progbits,_ZN7rocprim17ROCPRIM_400000_NS6detail17trampoline_kernelINS0_14default_configENS1_20scan_config_selectorIsEEZZNS1_9scan_implILNS1_25lookback_scan_determinismE0ELb0ELb0ES3_N6thrust23THRUST_200600_302600_NS6detail15normal_iteratorINS9_10device_ptrIsEEEENS9_16discard_iteratorINS9_11use_defaultEEEs11max_functorIsEsEEDaPvRmT3_T4_T5_mT6_P12ihipStream_tbENKUlT_T0_E_clISt17integral_constantIbLb0EESX_EEDaSS_ST_EUlSS_E0_NS1_11comp_targetILNS1_3genE10ELNS1_11target_archE1200ELNS1_3gpuE4ELNS1_3repE0EEENS1_30default_config_static_selectorELNS0_4arch9wavefront6targetE1EEEvT1_,comdat
	.protected	_ZN7rocprim17ROCPRIM_400000_NS6detail17trampoline_kernelINS0_14default_configENS1_20scan_config_selectorIsEEZZNS1_9scan_implILNS1_25lookback_scan_determinismE0ELb0ELb0ES3_N6thrust23THRUST_200600_302600_NS6detail15normal_iteratorINS9_10device_ptrIsEEEENS9_16discard_iteratorINS9_11use_defaultEEEs11max_functorIsEsEEDaPvRmT3_T4_T5_mT6_P12ihipStream_tbENKUlT_T0_E_clISt17integral_constantIbLb0EESX_EEDaSS_ST_EUlSS_E0_NS1_11comp_targetILNS1_3genE10ELNS1_11target_archE1200ELNS1_3gpuE4ELNS1_3repE0EEENS1_30default_config_static_selectorELNS0_4arch9wavefront6targetE1EEEvT1_ ; -- Begin function _ZN7rocprim17ROCPRIM_400000_NS6detail17trampoline_kernelINS0_14default_configENS1_20scan_config_selectorIsEEZZNS1_9scan_implILNS1_25lookback_scan_determinismE0ELb0ELb0ES3_N6thrust23THRUST_200600_302600_NS6detail15normal_iteratorINS9_10device_ptrIsEEEENS9_16discard_iteratorINS9_11use_defaultEEEs11max_functorIsEsEEDaPvRmT3_T4_T5_mT6_P12ihipStream_tbENKUlT_T0_E_clISt17integral_constantIbLb0EESX_EEDaSS_ST_EUlSS_E0_NS1_11comp_targetILNS1_3genE10ELNS1_11target_archE1200ELNS1_3gpuE4ELNS1_3repE0EEENS1_30default_config_static_selectorELNS0_4arch9wavefront6targetE1EEEvT1_
	.globl	_ZN7rocprim17ROCPRIM_400000_NS6detail17trampoline_kernelINS0_14default_configENS1_20scan_config_selectorIsEEZZNS1_9scan_implILNS1_25lookback_scan_determinismE0ELb0ELb0ES3_N6thrust23THRUST_200600_302600_NS6detail15normal_iteratorINS9_10device_ptrIsEEEENS9_16discard_iteratorINS9_11use_defaultEEEs11max_functorIsEsEEDaPvRmT3_T4_T5_mT6_P12ihipStream_tbENKUlT_T0_E_clISt17integral_constantIbLb0EESX_EEDaSS_ST_EUlSS_E0_NS1_11comp_targetILNS1_3genE10ELNS1_11target_archE1200ELNS1_3gpuE4ELNS1_3repE0EEENS1_30default_config_static_selectorELNS0_4arch9wavefront6targetE1EEEvT1_
	.p2align	8
	.type	_ZN7rocprim17ROCPRIM_400000_NS6detail17trampoline_kernelINS0_14default_configENS1_20scan_config_selectorIsEEZZNS1_9scan_implILNS1_25lookback_scan_determinismE0ELb0ELb0ES3_N6thrust23THRUST_200600_302600_NS6detail15normal_iteratorINS9_10device_ptrIsEEEENS9_16discard_iteratorINS9_11use_defaultEEEs11max_functorIsEsEEDaPvRmT3_T4_T5_mT6_P12ihipStream_tbENKUlT_T0_E_clISt17integral_constantIbLb0EESX_EEDaSS_ST_EUlSS_E0_NS1_11comp_targetILNS1_3genE10ELNS1_11target_archE1200ELNS1_3gpuE4ELNS1_3repE0EEENS1_30default_config_static_selectorELNS0_4arch9wavefront6targetE1EEEvT1_,@function
_ZN7rocprim17ROCPRIM_400000_NS6detail17trampoline_kernelINS0_14default_configENS1_20scan_config_selectorIsEEZZNS1_9scan_implILNS1_25lookback_scan_determinismE0ELb0ELb0ES3_N6thrust23THRUST_200600_302600_NS6detail15normal_iteratorINS9_10device_ptrIsEEEENS9_16discard_iteratorINS9_11use_defaultEEEs11max_functorIsEsEEDaPvRmT3_T4_T5_mT6_P12ihipStream_tbENKUlT_T0_E_clISt17integral_constantIbLb0EESX_EEDaSS_ST_EUlSS_E0_NS1_11comp_targetILNS1_3genE10ELNS1_11target_archE1200ELNS1_3gpuE4ELNS1_3repE0EEENS1_30default_config_static_selectorELNS0_4arch9wavefront6targetE1EEEvT1_: ; @_ZN7rocprim17ROCPRIM_400000_NS6detail17trampoline_kernelINS0_14default_configENS1_20scan_config_selectorIsEEZZNS1_9scan_implILNS1_25lookback_scan_determinismE0ELb0ELb0ES3_N6thrust23THRUST_200600_302600_NS6detail15normal_iteratorINS9_10device_ptrIsEEEENS9_16discard_iteratorINS9_11use_defaultEEEs11max_functorIsEsEEDaPvRmT3_T4_T5_mT6_P12ihipStream_tbENKUlT_T0_E_clISt17integral_constantIbLb0EESX_EEDaSS_ST_EUlSS_E0_NS1_11comp_targetILNS1_3genE10ELNS1_11target_archE1200ELNS1_3gpuE4ELNS1_3repE0EEENS1_30default_config_static_selectorELNS0_4arch9wavefront6targetE1EEEvT1_
; %bb.0:
	.section	.rodata,"a",@progbits
	.p2align	6, 0x0
	.amdhsa_kernel _ZN7rocprim17ROCPRIM_400000_NS6detail17trampoline_kernelINS0_14default_configENS1_20scan_config_selectorIsEEZZNS1_9scan_implILNS1_25lookback_scan_determinismE0ELb0ELb0ES3_N6thrust23THRUST_200600_302600_NS6detail15normal_iteratorINS9_10device_ptrIsEEEENS9_16discard_iteratorINS9_11use_defaultEEEs11max_functorIsEsEEDaPvRmT3_T4_T5_mT6_P12ihipStream_tbENKUlT_T0_E_clISt17integral_constantIbLb0EESX_EEDaSS_ST_EUlSS_E0_NS1_11comp_targetILNS1_3genE10ELNS1_11target_archE1200ELNS1_3gpuE4ELNS1_3repE0EEENS1_30default_config_static_selectorELNS0_4arch9wavefront6targetE1EEEvT1_
		.amdhsa_group_segment_fixed_size 0
		.amdhsa_private_segment_fixed_size 0
		.amdhsa_kernarg_size 40
		.amdhsa_user_sgpr_count 6
		.amdhsa_user_sgpr_private_segment_buffer 1
		.amdhsa_user_sgpr_dispatch_ptr 0
		.amdhsa_user_sgpr_queue_ptr 0
		.amdhsa_user_sgpr_kernarg_segment_ptr 1
		.amdhsa_user_sgpr_dispatch_id 0
		.amdhsa_user_sgpr_flat_scratch_init 0
		.amdhsa_user_sgpr_kernarg_preload_length 0
		.amdhsa_user_sgpr_kernarg_preload_offset 0
		.amdhsa_user_sgpr_private_segment_size 0
		.amdhsa_uses_dynamic_stack 0
		.amdhsa_system_sgpr_private_segment_wavefront_offset 0
		.amdhsa_system_sgpr_workgroup_id_x 1
		.amdhsa_system_sgpr_workgroup_id_y 0
		.amdhsa_system_sgpr_workgroup_id_z 0
		.amdhsa_system_sgpr_workgroup_info 0
		.amdhsa_system_vgpr_workitem_id 0
		.amdhsa_next_free_vgpr 1
		.amdhsa_next_free_sgpr 0
		.amdhsa_accum_offset 4
		.amdhsa_reserve_vcc 0
		.amdhsa_reserve_flat_scratch 0
		.amdhsa_float_round_mode_32 0
		.amdhsa_float_round_mode_16_64 0
		.amdhsa_float_denorm_mode_32 3
		.amdhsa_float_denorm_mode_16_64 3
		.amdhsa_dx10_clamp 1
		.amdhsa_ieee_mode 1
		.amdhsa_fp16_overflow 0
		.amdhsa_tg_split 0
		.amdhsa_exception_fp_ieee_invalid_op 0
		.amdhsa_exception_fp_denorm_src 0
		.amdhsa_exception_fp_ieee_div_zero 0
		.amdhsa_exception_fp_ieee_overflow 0
		.amdhsa_exception_fp_ieee_underflow 0
		.amdhsa_exception_fp_ieee_inexact 0
		.amdhsa_exception_int_div_zero 0
	.end_amdhsa_kernel
	.section	.text._ZN7rocprim17ROCPRIM_400000_NS6detail17trampoline_kernelINS0_14default_configENS1_20scan_config_selectorIsEEZZNS1_9scan_implILNS1_25lookback_scan_determinismE0ELb0ELb0ES3_N6thrust23THRUST_200600_302600_NS6detail15normal_iteratorINS9_10device_ptrIsEEEENS9_16discard_iteratorINS9_11use_defaultEEEs11max_functorIsEsEEDaPvRmT3_T4_T5_mT6_P12ihipStream_tbENKUlT_T0_E_clISt17integral_constantIbLb0EESX_EEDaSS_ST_EUlSS_E0_NS1_11comp_targetILNS1_3genE10ELNS1_11target_archE1200ELNS1_3gpuE4ELNS1_3repE0EEENS1_30default_config_static_selectorELNS0_4arch9wavefront6targetE1EEEvT1_,"axG",@progbits,_ZN7rocprim17ROCPRIM_400000_NS6detail17trampoline_kernelINS0_14default_configENS1_20scan_config_selectorIsEEZZNS1_9scan_implILNS1_25lookback_scan_determinismE0ELb0ELb0ES3_N6thrust23THRUST_200600_302600_NS6detail15normal_iteratorINS9_10device_ptrIsEEEENS9_16discard_iteratorINS9_11use_defaultEEEs11max_functorIsEsEEDaPvRmT3_T4_T5_mT6_P12ihipStream_tbENKUlT_T0_E_clISt17integral_constantIbLb0EESX_EEDaSS_ST_EUlSS_E0_NS1_11comp_targetILNS1_3genE10ELNS1_11target_archE1200ELNS1_3gpuE4ELNS1_3repE0EEENS1_30default_config_static_selectorELNS0_4arch9wavefront6targetE1EEEvT1_,comdat
.Lfunc_end4013:
	.size	_ZN7rocprim17ROCPRIM_400000_NS6detail17trampoline_kernelINS0_14default_configENS1_20scan_config_selectorIsEEZZNS1_9scan_implILNS1_25lookback_scan_determinismE0ELb0ELb0ES3_N6thrust23THRUST_200600_302600_NS6detail15normal_iteratorINS9_10device_ptrIsEEEENS9_16discard_iteratorINS9_11use_defaultEEEs11max_functorIsEsEEDaPvRmT3_T4_T5_mT6_P12ihipStream_tbENKUlT_T0_E_clISt17integral_constantIbLb0EESX_EEDaSS_ST_EUlSS_E0_NS1_11comp_targetILNS1_3genE10ELNS1_11target_archE1200ELNS1_3gpuE4ELNS1_3repE0EEENS1_30default_config_static_selectorELNS0_4arch9wavefront6targetE1EEEvT1_, .Lfunc_end4013-_ZN7rocprim17ROCPRIM_400000_NS6detail17trampoline_kernelINS0_14default_configENS1_20scan_config_selectorIsEEZZNS1_9scan_implILNS1_25lookback_scan_determinismE0ELb0ELb0ES3_N6thrust23THRUST_200600_302600_NS6detail15normal_iteratorINS9_10device_ptrIsEEEENS9_16discard_iteratorINS9_11use_defaultEEEs11max_functorIsEsEEDaPvRmT3_T4_T5_mT6_P12ihipStream_tbENKUlT_T0_E_clISt17integral_constantIbLb0EESX_EEDaSS_ST_EUlSS_E0_NS1_11comp_targetILNS1_3genE10ELNS1_11target_archE1200ELNS1_3gpuE4ELNS1_3repE0EEENS1_30default_config_static_selectorELNS0_4arch9wavefront6targetE1EEEvT1_
                                        ; -- End function
	.section	.AMDGPU.csdata,"",@progbits
; Kernel info:
; codeLenInByte = 0
; NumSgprs: 4
; NumVgprs: 0
; NumAgprs: 0
; TotalNumVgprs: 0
; ScratchSize: 0
; MemoryBound: 0
; FloatMode: 240
; IeeeMode: 1
; LDSByteSize: 0 bytes/workgroup (compile time only)
; SGPRBlocks: 0
; VGPRBlocks: 0
; NumSGPRsForWavesPerEU: 4
; NumVGPRsForWavesPerEU: 1
; AccumOffset: 4
; Occupancy: 8
; WaveLimiterHint : 0
; COMPUTE_PGM_RSRC2:SCRATCH_EN: 0
; COMPUTE_PGM_RSRC2:USER_SGPR: 6
; COMPUTE_PGM_RSRC2:TRAP_HANDLER: 0
; COMPUTE_PGM_RSRC2:TGID_X_EN: 1
; COMPUTE_PGM_RSRC2:TGID_Y_EN: 0
; COMPUTE_PGM_RSRC2:TGID_Z_EN: 0
; COMPUTE_PGM_RSRC2:TIDIG_COMP_CNT: 0
; COMPUTE_PGM_RSRC3_GFX90A:ACCUM_OFFSET: 0
; COMPUTE_PGM_RSRC3_GFX90A:TG_SPLIT: 0
	.section	.text._ZN7rocprim17ROCPRIM_400000_NS6detail17trampoline_kernelINS0_14default_configENS1_20scan_config_selectorIsEEZZNS1_9scan_implILNS1_25lookback_scan_determinismE0ELb0ELb0ES3_N6thrust23THRUST_200600_302600_NS6detail15normal_iteratorINS9_10device_ptrIsEEEENS9_16discard_iteratorINS9_11use_defaultEEEs11max_functorIsEsEEDaPvRmT3_T4_T5_mT6_P12ihipStream_tbENKUlT_T0_E_clISt17integral_constantIbLb0EESX_EEDaSS_ST_EUlSS_E0_NS1_11comp_targetILNS1_3genE9ELNS1_11target_archE1100ELNS1_3gpuE3ELNS1_3repE0EEENS1_30default_config_static_selectorELNS0_4arch9wavefront6targetE1EEEvT1_,"axG",@progbits,_ZN7rocprim17ROCPRIM_400000_NS6detail17trampoline_kernelINS0_14default_configENS1_20scan_config_selectorIsEEZZNS1_9scan_implILNS1_25lookback_scan_determinismE0ELb0ELb0ES3_N6thrust23THRUST_200600_302600_NS6detail15normal_iteratorINS9_10device_ptrIsEEEENS9_16discard_iteratorINS9_11use_defaultEEEs11max_functorIsEsEEDaPvRmT3_T4_T5_mT6_P12ihipStream_tbENKUlT_T0_E_clISt17integral_constantIbLb0EESX_EEDaSS_ST_EUlSS_E0_NS1_11comp_targetILNS1_3genE9ELNS1_11target_archE1100ELNS1_3gpuE3ELNS1_3repE0EEENS1_30default_config_static_selectorELNS0_4arch9wavefront6targetE1EEEvT1_,comdat
	.protected	_ZN7rocprim17ROCPRIM_400000_NS6detail17trampoline_kernelINS0_14default_configENS1_20scan_config_selectorIsEEZZNS1_9scan_implILNS1_25lookback_scan_determinismE0ELb0ELb0ES3_N6thrust23THRUST_200600_302600_NS6detail15normal_iteratorINS9_10device_ptrIsEEEENS9_16discard_iteratorINS9_11use_defaultEEEs11max_functorIsEsEEDaPvRmT3_T4_T5_mT6_P12ihipStream_tbENKUlT_T0_E_clISt17integral_constantIbLb0EESX_EEDaSS_ST_EUlSS_E0_NS1_11comp_targetILNS1_3genE9ELNS1_11target_archE1100ELNS1_3gpuE3ELNS1_3repE0EEENS1_30default_config_static_selectorELNS0_4arch9wavefront6targetE1EEEvT1_ ; -- Begin function _ZN7rocprim17ROCPRIM_400000_NS6detail17trampoline_kernelINS0_14default_configENS1_20scan_config_selectorIsEEZZNS1_9scan_implILNS1_25lookback_scan_determinismE0ELb0ELb0ES3_N6thrust23THRUST_200600_302600_NS6detail15normal_iteratorINS9_10device_ptrIsEEEENS9_16discard_iteratorINS9_11use_defaultEEEs11max_functorIsEsEEDaPvRmT3_T4_T5_mT6_P12ihipStream_tbENKUlT_T0_E_clISt17integral_constantIbLb0EESX_EEDaSS_ST_EUlSS_E0_NS1_11comp_targetILNS1_3genE9ELNS1_11target_archE1100ELNS1_3gpuE3ELNS1_3repE0EEENS1_30default_config_static_selectorELNS0_4arch9wavefront6targetE1EEEvT1_
	.globl	_ZN7rocprim17ROCPRIM_400000_NS6detail17trampoline_kernelINS0_14default_configENS1_20scan_config_selectorIsEEZZNS1_9scan_implILNS1_25lookback_scan_determinismE0ELb0ELb0ES3_N6thrust23THRUST_200600_302600_NS6detail15normal_iteratorINS9_10device_ptrIsEEEENS9_16discard_iteratorINS9_11use_defaultEEEs11max_functorIsEsEEDaPvRmT3_T4_T5_mT6_P12ihipStream_tbENKUlT_T0_E_clISt17integral_constantIbLb0EESX_EEDaSS_ST_EUlSS_E0_NS1_11comp_targetILNS1_3genE9ELNS1_11target_archE1100ELNS1_3gpuE3ELNS1_3repE0EEENS1_30default_config_static_selectorELNS0_4arch9wavefront6targetE1EEEvT1_
	.p2align	8
	.type	_ZN7rocprim17ROCPRIM_400000_NS6detail17trampoline_kernelINS0_14default_configENS1_20scan_config_selectorIsEEZZNS1_9scan_implILNS1_25lookback_scan_determinismE0ELb0ELb0ES3_N6thrust23THRUST_200600_302600_NS6detail15normal_iteratorINS9_10device_ptrIsEEEENS9_16discard_iteratorINS9_11use_defaultEEEs11max_functorIsEsEEDaPvRmT3_T4_T5_mT6_P12ihipStream_tbENKUlT_T0_E_clISt17integral_constantIbLb0EESX_EEDaSS_ST_EUlSS_E0_NS1_11comp_targetILNS1_3genE9ELNS1_11target_archE1100ELNS1_3gpuE3ELNS1_3repE0EEENS1_30default_config_static_selectorELNS0_4arch9wavefront6targetE1EEEvT1_,@function
_ZN7rocprim17ROCPRIM_400000_NS6detail17trampoline_kernelINS0_14default_configENS1_20scan_config_selectorIsEEZZNS1_9scan_implILNS1_25lookback_scan_determinismE0ELb0ELb0ES3_N6thrust23THRUST_200600_302600_NS6detail15normal_iteratorINS9_10device_ptrIsEEEENS9_16discard_iteratorINS9_11use_defaultEEEs11max_functorIsEsEEDaPvRmT3_T4_T5_mT6_P12ihipStream_tbENKUlT_T0_E_clISt17integral_constantIbLb0EESX_EEDaSS_ST_EUlSS_E0_NS1_11comp_targetILNS1_3genE9ELNS1_11target_archE1100ELNS1_3gpuE3ELNS1_3repE0EEENS1_30default_config_static_selectorELNS0_4arch9wavefront6targetE1EEEvT1_: ; @_ZN7rocprim17ROCPRIM_400000_NS6detail17trampoline_kernelINS0_14default_configENS1_20scan_config_selectorIsEEZZNS1_9scan_implILNS1_25lookback_scan_determinismE0ELb0ELb0ES3_N6thrust23THRUST_200600_302600_NS6detail15normal_iteratorINS9_10device_ptrIsEEEENS9_16discard_iteratorINS9_11use_defaultEEEs11max_functorIsEsEEDaPvRmT3_T4_T5_mT6_P12ihipStream_tbENKUlT_T0_E_clISt17integral_constantIbLb0EESX_EEDaSS_ST_EUlSS_E0_NS1_11comp_targetILNS1_3genE9ELNS1_11target_archE1100ELNS1_3gpuE3ELNS1_3repE0EEENS1_30default_config_static_selectorELNS0_4arch9wavefront6targetE1EEEvT1_
; %bb.0:
	.section	.rodata,"a",@progbits
	.p2align	6, 0x0
	.amdhsa_kernel _ZN7rocprim17ROCPRIM_400000_NS6detail17trampoline_kernelINS0_14default_configENS1_20scan_config_selectorIsEEZZNS1_9scan_implILNS1_25lookback_scan_determinismE0ELb0ELb0ES3_N6thrust23THRUST_200600_302600_NS6detail15normal_iteratorINS9_10device_ptrIsEEEENS9_16discard_iteratorINS9_11use_defaultEEEs11max_functorIsEsEEDaPvRmT3_T4_T5_mT6_P12ihipStream_tbENKUlT_T0_E_clISt17integral_constantIbLb0EESX_EEDaSS_ST_EUlSS_E0_NS1_11comp_targetILNS1_3genE9ELNS1_11target_archE1100ELNS1_3gpuE3ELNS1_3repE0EEENS1_30default_config_static_selectorELNS0_4arch9wavefront6targetE1EEEvT1_
		.amdhsa_group_segment_fixed_size 0
		.amdhsa_private_segment_fixed_size 0
		.amdhsa_kernarg_size 40
		.amdhsa_user_sgpr_count 6
		.amdhsa_user_sgpr_private_segment_buffer 1
		.amdhsa_user_sgpr_dispatch_ptr 0
		.amdhsa_user_sgpr_queue_ptr 0
		.amdhsa_user_sgpr_kernarg_segment_ptr 1
		.amdhsa_user_sgpr_dispatch_id 0
		.amdhsa_user_sgpr_flat_scratch_init 0
		.amdhsa_user_sgpr_kernarg_preload_length 0
		.amdhsa_user_sgpr_kernarg_preload_offset 0
		.amdhsa_user_sgpr_private_segment_size 0
		.amdhsa_uses_dynamic_stack 0
		.amdhsa_system_sgpr_private_segment_wavefront_offset 0
		.amdhsa_system_sgpr_workgroup_id_x 1
		.amdhsa_system_sgpr_workgroup_id_y 0
		.amdhsa_system_sgpr_workgroup_id_z 0
		.amdhsa_system_sgpr_workgroup_info 0
		.amdhsa_system_vgpr_workitem_id 0
		.amdhsa_next_free_vgpr 1
		.amdhsa_next_free_sgpr 0
		.amdhsa_accum_offset 4
		.amdhsa_reserve_vcc 0
		.amdhsa_reserve_flat_scratch 0
		.amdhsa_float_round_mode_32 0
		.amdhsa_float_round_mode_16_64 0
		.amdhsa_float_denorm_mode_32 3
		.amdhsa_float_denorm_mode_16_64 3
		.amdhsa_dx10_clamp 1
		.amdhsa_ieee_mode 1
		.amdhsa_fp16_overflow 0
		.amdhsa_tg_split 0
		.amdhsa_exception_fp_ieee_invalid_op 0
		.amdhsa_exception_fp_denorm_src 0
		.amdhsa_exception_fp_ieee_div_zero 0
		.amdhsa_exception_fp_ieee_overflow 0
		.amdhsa_exception_fp_ieee_underflow 0
		.amdhsa_exception_fp_ieee_inexact 0
		.amdhsa_exception_int_div_zero 0
	.end_amdhsa_kernel
	.section	.text._ZN7rocprim17ROCPRIM_400000_NS6detail17trampoline_kernelINS0_14default_configENS1_20scan_config_selectorIsEEZZNS1_9scan_implILNS1_25lookback_scan_determinismE0ELb0ELb0ES3_N6thrust23THRUST_200600_302600_NS6detail15normal_iteratorINS9_10device_ptrIsEEEENS9_16discard_iteratorINS9_11use_defaultEEEs11max_functorIsEsEEDaPvRmT3_T4_T5_mT6_P12ihipStream_tbENKUlT_T0_E_clISt17integral_constantIbLb0EESX_EEDaSS_ST_EUlSS_E0_NS1_11comp_targetILNS1_3genE9ELNS1_11target_archE1100ELNS1_3gpuE3ELNS1_3repE0EEENS1_30default_config_static_selectorELNS0_4arch9wavefront6targetE1EEEvT1_,"axG",@progbits,_ZN7rocprim17ROCPRIM_400000_NS6detail17trampoline_kernelINS0_14default_configENS1_20scan_config_selectorIsEEZZNS1_9scan_implILNS1_25lookback_scan_determinismE0ELb0ELb0ES3_N6thrust23THRUST_200600_302600_NS6detail15normal_iteratorINS9_10device_ptrIsEEEENS9_16discard_iteratorINS9_11use_defaultEEEs11max_functorIsEsEEDaPvRmT3_T4_T5_mT6_P12ihipStream_tbENKUlT_T0_E_clISt17integral_constantIbLb0EESX_EEDaSS_ST_EUlSS_E0_NS1_11comp_targetILNS1_3genE9ELNS1_11target_archE1100ELNS1_3gpuE3ELNS1_3repE0EEENS1_30default_config_static_selectorELNS0_4arch9wavefront6targetE1EEEvT1_,comdat
.Lfunc_end4014:
	.size	_ZN7rocprim17ROCPRIM_400000_NS6detail17trampoline_kernelINS0_14default_configENS1_20scan_config_selectorIsEEZZNS1_9scan_implILNS1_25lookback_scan_determinismE0ELb0ELb0ES3_N6thrust23THRUST_200600_302600_NS6detail15normal_iteratorINS9_10device_ptrIsEEEENS9_16discard_iteratorINS9_11use_defaultEEEs11max_functorIsEsEEDaPvRmT3_T4_T5_mT6_P12ihipStream_tbENKUlT_T0_E_clISt17integral_constantIbLb0EESX_EEDaSS_ST_EUlSS_E0_NS1_11comp_targetILNS1_3genE9ELNS1_11target_archE1100ELNS1_3gpuE3ELNS1_3repE0EEENS1_30default_config_static_selectorELNS0_4arch9wavefront6targetE1EEEvT1_, .Lfunc_end4014-_ZN7rocprim17ROCPRIM_400000_NS6detail17trampoline_kernelINS0_14default_configENS1_20scan_config_selectorIsEEZZNS1_9scan_implILNS1_25lookback_scan_determinismE0ELb0ELb0ES3_N6thrust23THRUST_200600_302600_NS6detail15normal_iteratorINS9_10device_ptrIsEEEENS9_16discard_iteratorINS9_11use_defaultEEEs11max_functorIsEsEEDaPvRmT3_T4_T5_mT6_P12ihipStream_tbENKUlT_T0_E_clISt17integral_constantIbLb0EESX_EEDaSS_ST_EUlSS_E0_NS1_11comp_targetILNS1_3genE9ELNS1_11target_archE1100ELNS1_3gpuE3ELNS1_3repE0EEENS1_30default_config_static_selectorELNS0_4arch9wavefront6targetE1EEEvT1_
                                        ; -- End function
	.section	.AMDGPU.csdata,"",@progbits
; Kernel info:
; codeLenInByte = 0
; NumSgprs: 4
; NumVgprs: 0
; NumAgprs: 0
; TotalNumVgprs: 0
; ScratchSize: 0
; MemoryBound: 0
; FloatMode: 240
; IeeeMode: 1
; LDSByteSize: 0 bytes/workgroup (compile time only)
; SGPRBlocks: 0
; VGPRBlocks: 0
; NumSGPRsForWavesPerEU: 4
; NumVGPRsForWavesPerEU: 1
; AccumOffset: 4
; Occupancy: 8
; WaveLimiterHint : 0
; COMPUTE_PGM_RSRC2:SCRATCH_EN: 0
; COMPUTE_PGM_RSRC2:USER_SGPR: 6
; COMPUTE_PGM_RSRC2:TRAP_HANDLER: 0
; COMPUTE_PGM_RSRC2:TGID_X_EN: 1
; COMPUTE_PGM_RSRC2:TGID_Y_EN: 0
; COMPUTE_PGM_RSRC2:TGID_Z_EN: 0
; COMPUTE_PGM_RSRC2:TIDIG_COMP_CNT: 0
; COMPUTE_PGM_RSRC3_GFX90A:ACCUM_OFFSET: 0
; COMPUTE_PGM_RSRC3_GFX90A:TG_SPLIT: 0
	.section	.text._ZN7rocprim17ROCPRIM_400000_NS6detail17trampoline_kernelINS0_14default_configENS1_20scan_config_selectorIsEEZZNS1_9scan_implILNS1_25lookback_scan_determinismE0ELb0ELb0ES3_N6thrust23THRUST_200600_302600_NS6detail15normal_iteratorINS9_10device_ptrIsEEEENS9_16discard_iteratorINS9_11use_defaultEEEs11max_functorIsEsEEDaPvRmT3_T4_T5_mT6_P12ihipStream_tbENKUlT_T0_E_clISt17integral_constantIbLb0EESX_EEDaSS_ST_EUlSS_E0_NS1_11comp_targetILNS1_3genE8ELNS1_11target_archE1030ELNS1_3gpuE2ELNS1_3repE0EEENS1_30default_config_static_selectorELNS0_4arch9wavefront6targetE1EEEvT1_,"axG",@progbits,_ZN7rocprim17ROCPRIM_400000_NS6detail17trampoline_kernelINS0_14default_configENS1_20scan_config_selectorIsEEZZNS1_9scan_implILNS1_25lookback_scan_determinismE0ELb0ELb0ES3_N6thrust23THRUST_200600_302600_NS6detail15normal_iteratorINS9_10device_ptrIsEEEENS9_16discard_iteratorINS9_11use_defaultEEEs11max_functorIsEsEEDaPvRmT3_T4_T5_mT6_P12ihipStream_tbENKUlT_T0_E_clISt17integral_constantIbLb0EESX_EEDaSS_ST_EUlSS_E0_NS1_11comp_targetILNS1_3genE8ELNS1_11target_archE1030ELNS1_3gpuE2ELNS1_3repE0EEENS1_30default_config_static_selectorELNS0_4arch9wavefront6targetE1EEEvT1_,comdat
	.protected	_ZN7rocprim17ROCPRIM_400000_NS6detail17trampoline_kernelINS0_14default_configENS1_20scan_config_selectorIsEEZZNS1_9scan_implILNS1_25lookback_scan_determinismE0ELb0ELb0ES3_N6thrust23THRUST_200600_302600_NS6detail15normal_iteratorINS9_10device_ptrIsEEEENS9_16discard_iteratorINS9_11use_defaultEEEs11max_functorIsEsEEDaPvRmT3_T4_T5_mT6_P12ihipStream_tbENKUlT_T0_E_clISt17integral_constantIbLb0EESX_EEDaSS_ST_EUlSS_E0_NS1_11comp_targetILNS1_3genE8ELNS1_11target_archE1030ELNS1_3gpuE2ELNS1_3repE0EEENS1_30default_config_static_selectorELNS0_4arch9wavefront6targetE1EEEvT1_ ; -- Begin function _ZN7rocprim17ROCPRIM_400000_NS6detail17trampoline_kernelINS0_14default_configENS1_20scan_config_selectorIsEEZZNS1_9scan_implILNS1_25lookback_scan_determinismE0ELb0ELb0ES3_N6thrust23THRUST_200600_302600_NS6detail15normal_iteratorINS9_10device_ptrIsEEEENS9_16discard_iteratorINS9_11use_defaultEEEs11max_functorIsEsEEDaPvRmT3_T4_T5_mT6_P12ihipStream_tbENKUlT_T0_E_clISt17integral_constantIbLb0EESX_EEDaSS_ST_EUlSS_E0_NS1_11comp_targetILNS1_3genE8ELNS1_11target_archE1030ELNS1_3gpuE2ELNS1_3repE0EEENS1_30default_config_static_selectorELNS0_4arch9wavefront6targetE1EEEvT1_
	.globl	_ZN7rocprim17ROCPRIM_400000_NS6detail17trampoline_kernelINS0_14default_configENS1_20scan_config_selectorIsEEZZNS1_9scan_implILNS1_25lookback_scan_determinismE0ELb0ELb0ES3_N6thrust23THRUST_200600_302600_NS6detail15normal_iteratorINS9_10device_ptrIsEEEENS9_16discard_iteratorINS9_11use_defaultEEEs11max_functorIsEsEEDaPvRmT3_T4_T5_mT6_P12ihipStream_tbENKUlT_T0_E_clISt17integral_constantIbLb0EESX_EEDaSS_ST_EUlSS_E0_NS1_11comp_targetILNS1_3genE8ELNS1_11target_archE1030ELNS1_3gpuE2ELNS1_3repE0EEENS1_30default_config_static_selectorELNS0_4arch9wavefront6targetE1EEEvT1_
	.p2align	8
	.type	_ZN7rocprim17ROCPRIM_400000_NS6detail17trampoline_kernelINS0_14default_configENS1_20scan_config_selectorIsEEZZNS1_9scan_implILNS1_25lookback_scan_determinismE0ELb0ELb0ES3_N6thrust23THRUST_200600_302600_NS6detail15normal_iteratorINS9_10device_ptrIsEEEENS9_16discard_iteratorINS9_11use_defaultEEEs11max_functorIsEsEEDaPvRmT3_T4_T5_mT6_P12ihipStream_tbENKUlT_T0_E_clISt17integral_constantIbLb0EESX_EEDaSS_ST_EUlSS_E0_NS1_11comp_targetILNS1_3genE8ELNS1_11target_archE1030ELNS1_3gpuE2ELNS1_3repE0EEENS1_30default_config_static_selectorELNS0_4arch9wavefront6targetE1EEEvT1_,@function
_ZN7rocprim17ROCPRIM_400000_NS6detail17trampoline_kernelINS0_14default_configENS1_20scan_config_selectorIsEEZZNS1_9scan_implILNS1_25lookback_scan_determinismE0ELb0ELb0ES3_N6thrust23THRUST_200600_302600_NS6detail15normal_iteratorINS9_10device_ptrIsEEEENS9_16discard_iteratorINS9_11use_defaultEEEs11max_functorIsEsEEDaPvRmT3_T4_T5_mT6_P12ihipStream_tbENKUlT_T0_E_clISt17integral_constantIbLb0EESX_EEDaSS_ST_EUlSS_E0_NS1_11comp_targetILNS1_3genE8ELNS1_11target_archE1030ELNS1_3gpuE2ELNS1_3repE0EEENS1_30default_config_static_selectorELNS0_4arch9wavefront6targetE1EEEvT1_: ; @_ZN7rocprim17ROCPRIM_400000_NS6detail17trampoline_kernelINS0_14default_configENS1_20scan_config_selectorIsEEZZNS1_9scan_implILNS1_25lookback_scan_determinismE0ELb0ELb0ES3_N6thrust23THRUST_200600_302600_NS6detail15normal_iteratorINS9_10device_ptrIsEEEENS9_16discard_iteratorINS9_11use_defaultEEEs11max_functorIsEsEEDaPvRmT3_T4_T5_mT6_P12ihipStream_tbENKUlT_T0_E_clISt17integral_constantIbLb0EESX_EEDaSS_ST_EUlSS_E0_NS1_11comp_targetILNS1_3genE8ELNS1_11target_archE1030ELNS1_3gpuE2ELNS1_3repE0EEENS1_30default_config_static_selectorELNS0_4arch9wavefront6targetE1EEEvT1_
; %bb.0:
	.section	.rodata,"a",@progbits
	.p2align	6, 0x0
	.amdhsa_kernel _ZN7rocprim17ROCPRIM_400000_NS6detail17trampoline_kernelINS0_14default_configENS1_20scan_config_selectorIsEEZZNS1_9scan_implILNS1_25lookback_scan_determinismE0ELb0ELb0ES3_N6thrust23THRUST_200600_302600_NS6detail15normal_iteratorINS9_10device_ptrIsEEEENS9_16discard_iteratorINS9_11use_defaultEEEs11max_functorIsEsEEDaPvRmT3_T4_T5_mT6_P12ihipStream_tbENKUlT_T0_E_clISt17integral_constantIbLb0EESX_EEDaSS_ST_EUlSS_E0_NS1_11comp_targetILNS1_3genE8ELNS1_11target_archE1030ELNS1_3gpuE2ELNS1_3repE0EEENS1_30default_config_static_selectorELNS0_4arch9wavefront6targetE1EEEvT1_
		.amdhsa_group_segment_fixed_size 0
		.amdhsa_private_segment_fixed_size 0
		.amdhsa_kernarg_size 40
		.amdhsa_user_sgpr_count 6
		.amdhsa_user_sgpr_private_segment_buffer 1
		.amdhsa_user_sgpr_dispatch_ptr 0
		.amdhsa_user_sgpr_queue_ptr 0
		.amdhsa_user_sgpr_kernarg_segment_ptr 1
		.amdhsa_user_sgpr_dispatch_id 0
		.amdhsa_user_sgpr_flat_scratch_init 0
		.amdhsa_user_sgpr_kernarg_preload_length 0
		.amdhsa_user_sgpr_kernarg_preload_offset 0
		.amdhsa_user_sgpr_private_segment_size 0
		.amdhsa_uses_dynamic_stack 0
		.amdhsa_system_sgpr_private_segment_wavefront_offset 0
		.amdhsa_system_sgpr_workgroup_id_x 1
		.amdhsa_system_sgpr_workgroup_id_y 0
		.amdhsa_system_sgpr_workgroup_id_z 0
		.amdhsa_system_sgpr_workgroup_info 0
		.amdhsa_system_vgpr_workitem_id 0
		.amdhsa_next_free_vgpr 1
		.amdhsa_next_free_sgpr 0
		.amdhsa_accum_offset 4
		.amdhsa_reserve_vcc 0
		.amdhsa_reserve_flat_scratch 0
		.amdhsa_float_round_mode_32 0
		.amdhsa_float_round_mode_16_64 0
		.amdhsa_float_denorm_mode_32 3
		.amdhsa_float_denorm_mode_16_64 3
		.amdhsa_dx10_clamp 1
		.amdhsa_ieee_mode 1
		.amdhsa_fp16_overflow 0
		.amdhsa_tg_split 0
		.amdhsa_exception_fp_ieee_invalid_op 0
		.amdhsa_exception_fp_denorm_src 0
		.amdhsa_exception_fp_ieee_div_zero 0
		.amdhsa_exception_fp_ieee_overflow 0
		.amdhsa_exception_fp_ieee_underflow 0
		.amdhsa_exception_fp_ieee_inexact 0
		.amdhsa_exception_int_div_zero 0
	.end_amdhsa_kernel
	.section	.text._ZN7rocprim17ROCPRIM_400000_NS6detail17trampoline_kernelINS0_14default_configENS1_20scan_config_selectorIsEEZZNS1_9scan_implILNS1_25lookback_scan_determinismE0ELb0ELb0ES3_N6thrust23THRUST_200600_302600_NS6detail15normal_iteratorINS9_10device_ptrIsEEEENS9_16discard_iteratorINS9_11use_defaultEEEs11max_functorIsEsEEDaPvRmT3_T4_T5_mT6_P12ihipStream_tbENKUlT_T0_E_clISt17integral_constantIbLb0EESX_EEDaSS_ST_EUlSS_E0_NS1_11comp_targetILNS1_3genE8ELNS1_11target_archE1030ELNS1_3gpuE2ELNS1_3repE0EEENS1_30default_config_static_selectorELNS0_4arch9wavefront6targetE1EEEvT1_,"axG",@progbits,_ZN7rocprim17ROCPRIM_400000_NS6detail17trampoline_kernelINS0_14default_configENS1_20scan_config_selectorIsEEZZNS1_9scan_implILNS1_25lookback_scan_determinismE0ELb0ELb0ES3_N6thrust23THRUST_200600_302600_NS6detail15normal_iteratorINS9_10device_ptrIsEEEENS9_16discard_iteratorINS9_11use_defaultEEEs11max_functorIsEsEEDaPvRmT3_T4_T5_mT6_P12ihipStream_tbENKUlT_T0_E_clISt17integral_constantIbLb0EESX_EEDaSS_ST_EUlSS_E0_NS1_11comp_targetILNS1_3genE8ELNS1_11target_archE1030ELNS1_3gpuE2ELNS1_3repE0EEENS1_30default_config_static_selectorELNS0_4arch9wavefront6targetE1EEEvT1_,comdat
.Lfunc_end4015:
	.size	_ZN7rocprim17ROCPRIM_400000_NS6detail17trampoline_kernelINS0_14default_configENS1_20scan_config_selectorIsEEZZNS1_9scan_implILNS1_25lookback_scan_determinismE0ELb0ELb0ES3_N6thrust23THRUST_200600_302600_NS6detail15normal_iteratorINS9_10device_ptrIsEEEENS9_16discard_iteratorINS9_11use_defaultEEEs11max_functorIsEsEEDaPvRmT3_T4_T5_mT6_P12ihipStream_tbENKUlT_T0_E_clISt17integral_constantIbLb0EESX_EEDaSS_ST_EUlSS_E0_NS1_11comp_targetILNS1_3genE8ELNS1_11target_archE1030ELNS1_3gpuE2ELNS1_3repE0EEENS1_30default_config_static_selectorELNS0_4arch9wavefront6targetE1EEEvT1_, .Lfunc_end4015-_ZN7rocprim17ROCPRIM_400000_NS6detail17trampoline_kernelINS0_14default_configENS1_20scan_config_selectorIsEEZZNS1_9scan_implILNS1_25lookback_scan_determinismE0ELb0ELb0ES3_N6thrust23THRUST_200600_302600_NS6detail15normal_iteratorINS9_10device_ptrIsEEEENS9_16discard_iteratorINS9_11use_defaultEEEs11max_functorIsEsEEDaPvRmT3_T4_T5_mT6_P12ihipStream_tbENKUlT_T0_E_clISt17integral_constantIbLb0EESX_EEDaSS_ST_EUlSS_E0_NS1_11comp_targetILNS1_3genE8ELNS1_11target_archE1030ELNS1_3gpuE2ELNS1_3repE0EEENS1_30default_config_static_selectorELNS0_4arch9wavefront6targetE1EEEvT1_
                                        ; -- End function
	.section	.AMDGPU.csdata,"",@progbits
; Kernel info:
; codeLenInByte = 0
; NumSgprs: 4
; NumVgprs: 0
; NumAgprs: 0
; TotalNumVgprs: 0
; ScratchSize: 0
; MemoryBound: 0
; FloatMode: 240
; IeeeMode: 1
; LDSByteSize: 0 bytes/workgroup (compile time only)
; SGPRBlocks: 0
; VGPRBlocks: 0
; NumSGPRsForWavesPerEU: 4
; NumVGPRsForWavesPerEU: 1
; AccumOffset: 4
; Occupancy: 8
; WaveLimiterHint : 0
; COMPUTE_PGM_RSRC2:SCRATCH_EN: 0
; COMPUTE_PGM_RSRC2:USER_SGPR: 6
; COMPUTE_PGM_RSRC2:TRAP_HANDLER: 0
; COMPUTE_PGM_RSRC2:TGID_X_EN: 1
; COMPUTE_PGM_RSRC2:TGID_Y_EN: 0
; COMPUTE_PGM_RSRC2:TGID_Z_EN: 0
; COMPUTE_PGM_RSRC2:TIDIG_COMP_CNT: 0
; COMPUTE_PGM_RSRC3_GFX90A:ACCUM_OFFSET: 0
; COMPUTE_PGM_RSRC3_GFX90A:TG_SPLIT: 0
	.section	.text._ZN7rocprim17ROCPRIM_400000_NS6detail17trampoline_kernelINS0_14default_configENS1_20scan_config_selectorIsEEZZNS1_9scan_implILNS1_25lookback_scan_determinismE0ELb0ELb0ES3_N6thrust23THRUST_200600_302600_NS6detail15normal_iteratorINS9_10device_ptrIsEEEENS9_16discard_iteratorINS9_11use_defaultEEEs11max_functorIsEsEEDaPvRmT3_T4_T5_mT6_P12ihipStream_tbENKUlT_T0_E_clISt17integral_constantIbLb1EESX_EEDaSS_ST_EUlSS_E_NS1_11comp_targetILNS1_3genE0ELNS1_11target_archE4294967295ELNS1_3gpuE0ELNS1_3repE0EEENS1_30default_config_static_selectorELNS0_4arch9wavefront6targetE1EEEvT1_,"axG",@progbits,_ZN7rocprim17ROCPRIM_400000_NS6detail17trampoline_kernelINS0_14default_configENS1_20scan_config_selectorIsEEZZNS1_9scan_implILNS1_25lookback_scan_determinismE0ELb0ELb0ES3_N6thrust23THRUST_200600_302600_NS6detail15normal_iteratorINS9_10device_ptrIsEEEENS9_16discard_iteratorINS9_11use_defaultEEEs11max_functorIsEsEEDaPvRmT3_T4_T5_mT6_P12ihipStream_tbENKUlT_T0_E_clISt17integral_constantIbLb1EESX_EEDaSS_ST_EUlSS_E_NS1_11comp_targetILNS1_3genE0ELNS1_11target_archE4294967295ELNS1_3gpuE0ELNS1_3repE0EEENS1_30default_config_static_selectorELNS0_4arch9wavefront6targetE1EEEvT1_,comdat
	.protected	_ZN7rocprim17ROCPRIM_400000_NS6detail17trampoline_kernelINS0_14default_configENS1_20scan_config_selectorIsEEZZNS1_9scan_implILNS1_25lookback_scan_determinismE0ELb0ELb0ES3_N6thrust23THRUST_200600_302600_NS6detail15normal_iteratorINS9_10device_ptrIsEEEENS9_16discard_iteratorINS9_11use_defaultEEEs11max_functorIsEsEEDaPvRmT3_T4_T5_mT6_P12ihipStream_tbENKUlT_T0_E_clISt17integral_constantIbLb1EESX_EEDaSS_ST_EUlSS_E_NS1_11comp_targetILNS1_3genE0ELNS1_11target_archE4294967295ELNS1_3gpuE0ELNS1_3repE0EEENS1_30default_config_static_selectorELNS0_4arch9wavefront6targetE1EEEvT1_ ; -- Begin function _ZN7rocprim17ROCPRIM_400000_NS6detail17trampoline_kernelINS0_14default_configENS1_20scan_config_selectorIsEEZZNS1_9scan_implILNS1_25lookback_scan_determinismE0ELb0ELb0ES3_N6thrust23THRUST_200600_302600_NS6detail15normal_iteratorINS9_10device_ptrIsEEEENS9_16discard_iteratorINS9_11use_defaultEEEs11max_functorIsEsEEDaPvRmT3_T4_T5_mT6_P12ihipStream_tbENKUlT_T0_E_clISt17integral_constantIbLb1EESX_EEDaSS_ST_EUlSS_E_NS1_11comp_targetILNS1_3genE0ELNS1_11target_archE4294967295ELNS1_3gpuE0ELNS1_3repE0EEENS1_30default_config_static_selectorELNS0_4arch9wavefront6targetE1EEEvT1_
	.globl	_ZN7rocprim17ROCPRIM_400000_NS6detail17trampoline_kernelINS0_14default_configENS1_20scan_config_selectorIsEEZZNS1_9scan_implILNS1_25lookback_scan_determinismE0ELb0ELb0ES3_N6thrust23THRUST_200600_302600_NS6detail15normal_iteratorINS9_10device_ptrIsEEEENS9_16discard_iteratorINS9_11use_defaultEEEs11max_functorIsEsEEDaPvRmT3_T4_T5_mT6_P12ihipStream_tbENKUlT_T0_E_clISt17integral_constantIbLb1EESX_EEDaSS_ST_EUlSS_E_NS1_11comp_targetILNS1_3genE0ELNS1_11target_archE4294967295ELNS1_3gpuE0ELNS1_3repE0EEENS1_30default_config_static_selectorELNS0_4arch9wavefront6targetE1EEEvT1_
	.p2align	8
	.type	_ZN7rocprim17ROCPRIM_400000_NS6detail17trampoline_kernelINS0_14default_configENS1_20scan_config_selectorIsEEZZNS1_9scan_implILNS1_25lookback_scan_determinismE0ELb0ELb0ES3_N6thrust23THRUST_200600_302600_NS6detail15normal_iteratorINS9_10device_ptrIsEEEENS9_16discard_iteratorINS9_11use_defaultEEEs11max_functorIsEsEEDaPvRmT3_T4_T5_mT6_P12ihipStream_tbENKUlT_T0_E_clISt17integral_constantIbLb1EESX_EEDaSS_ST_EUlSS_E_NS1_11comp_targetILNS1_3genE0ELNS1_11target_archE4294967295ELNS1_3gpuE0ELNS1_3repE0EEENS1_30default_config_static_selectorELNS0_4arch9wavefront6targetE1EEEvT1_,@function
_ZN7rocprim17ROCPRIM_400000_NS6detail17trampoline_kernelINS0_14default_configENS1_20scan_config_selectorIsEEZZNS1_9scan_implILNS1_25lookback_scan_determinismE0ELb0ELb0ES3_N6thrust23THRUST_200600_302600_NS6detail15normal_iteratorINS9_10device_ptrIsEEEENS9_16discard_iteratorINS9_11use_defaultEEEs11max_functorIsEsEEDaPvRmT3_T4_T5_mT6_P12ihipStream_tbENKUlT_T0_E_clISt17integral_constantIbLb1EESX_EEDaSS_ST_EUlSS_E_NS1_11comp_targetILNS1_3genE0ELNS1_11target_archE4294967295ELNS1_3gpuE0ELNS1_3repE0EEENS1_30default_config_static_selectorELNS0_4arch9wavefront6targetE1EEEvT1_: ; @_ZN7rocprim17ROCPRIM_400000_NS6detail17trampoline_kernelINS0_14default_configENS1_20scan_config_selectorIsEEZZNS1_9scan_implILNS1_25lookback_scan_determinismE0ELb0ELb0ES3_N6thrust23THRUST_200600_302600_NS6detail15normal_iteratorINS9_10device_ptrIsEEEENS9_16discard_iteratorINS9_11use_defaultEEEs11max_functorIsEsEEDaPvRmT3_T4_T5_mT6_P12ihipStream_tbENKUlT_T0_E_clISt17integral_constantIbLb1EESX_EEDaSS_ST_EUlSS_E_NS1_11comp_targetILNS1_3genE0ELNS1_11target_archE4294967295ELNS1_3gpuE0ELNS1_3repE0EEENS1_30default_config_static_selectorELNS0_4arch9wavefront6targetE1EEEvT1_
; %bb.0:
	.section	.rodata,"a",@progbits
	.p2align	6, 0x0
	.amdhsa_kernel _ZN7rocprim17ROCPRIM_400000_NS6detail17trampoline_kernelINS0_14default_configENS1_20scan_config_selectorIsEEZZNS1_9scan_implILNS1_25lookback_scan_determinismE0ELb0ELb0ES3_N6thrust23THRUST_200600_302600_NS6detail15normal_iteratorINS9_10device_ptrIsEEEENS9_16discard_iteratorINS9_11use_defaultEEEs11max_functorIsEsEEDaPvRmT3_T4_T5_mT6_P12ihipStream_tbENKUlT_T0_E_clISt17integral_constantIbLb1EESX_EEDaSS_ST_EUlSS_E_NS1_11comp_targetILNS1_3genE0ELNS1_11target_archE4294967295ELNS1_3gpuE0ELNS1_3repE0EEENS1_30default_config_static_selectorELNS0_4arch9wavefront6targetE1EEEvT1_
		.amdhsa_group_segment_fixed_size 0
		.amdhsa_private_segment_fixed_size 0
		.amdhsa_kernarg_size 104
		.amdhsa_user_sgpr_count 6
		.amdhsa_user_sgpr_private_segment_buffer 1
		.amdhsa_user_sgpr_dispatch_ptr 0
		.amdhsa_user_sgpr_queue_ptr 0
		.amdhsa_user_sgpr_kernarg_segment_ptr 1
		.amdhsa_user_sgpr_dispatch_id 0
		.amdhsa_user_sgpr_flat_scratch_init 0
		.amdhsa_user_sgpr_kernarg_preload_length 0
		.amdhsa_user_sgpr_kernarg_preload_offset 0
		.amdhsa_user_sgpr_private_segment_size 0
		.amdhsa_uses_dynamic_stack 0
		.amdhsa_system_sgpr_private_segment_wavefront_offset 0
		.amdhsa_system_sgpr_workgroup_id_x 1
		.amdhsa_system_sgpr_workgroup_id_y 0
		.amdhsa_system_sgpr_workgroup_id_z 0
		.amdhsa_system_sgpr_workgroup_info 0
		.amdhsa_system_vgpr_workitem_id 0
		.amdhsa_next_free_vgpr 1
		.amdhsa_next_free_sgpr 0
		.amdhsa_accum_offset 4
		.amdhsa_reserve_vcc 0
		.amdhsa_reserve_flat_scratch 0
		.amdhsa_float_round_mode_32 0
		.amdhsa_float_round_mode_16_64 0
		.amdhsa_float_denorm_mode_32 3
		.amdhsa_float_denorm_mode_16_64 3
		.amdhsa_dx10_clamp 1
		.amdhsa_ieee_mode 1
		.amdhsa_fp16_overflow 0
		.amdhsa_tg_split 0
		.amdhsa_exception_fp_ieee_invalid_op 0
		.amdhsa_exception_fp_denorm_src 0
		.amdhsa_exception_fp_ieee_div_zero 0
		.amdhsa_exception_fp_ieee_overflow 0
		.amdhsa_exception_fp_ieee_underflow 0
		.amdhsa_exception_fp_ieee_inexact 0
		.amdhsa_exception_int_div_zero 0
	.end_amdhsa_kernel
	.section	.text._ZN7rocprim17ROCPRIM_400000_NS6detail17trampoline_kernelINS0_14default_configENS1_20scan_config_selectorIsEEZZNS1_9scan_implILNS1_25lookback_scan_determinismE0ELb0ELb0ES3_N6thrust23THRUST_200600_302600_NS6detail15normal_iteratorINS9_10device_ptrIsEEEENS9_16discard_iteratorINS9_11use_defaultEEEs11max_functorIsEsEEDaPvRmT3_T4_T5_mT6_P12ihipStream_tbENKUlT_T0_E_clISt17integral_constantIbLb1EESX_EEDaSS_ST_EUlSS_E_NS1_11comp_targetILNS1_3genE0ELNS1_11target_archE4294967295ELNS1_3gpuE0ELNS1_3repE0EEENS1_30default_config_static_selectorELNS0_4arch9wavefront6targetE1EEEvT1_,"axG",@progbits,_ZN7rocprim17ROCPRIM_400000_NS6detail17trampoline_kernelINS0_14default_configENS1_20scan_config_selectorIsEEZZNS1_9scan_implILNS1_25lookback_scan_determinismE0ELb0ELb0ES3_N6thrust23THRUST_200600_302600_NS6detail15normal_iteratorINS9_10device_ptrIsEEEENS9_16discard_iteratorINS9_11use_defaultEEEs11max_functorIsEsEEDaPvRmT3_T4_T5_mT6_P12ihipStream_tbENKUlT_T0_E_clISt17integral_constantIbLb1EESX_EEDaSS_ST_EUlSS_E_NS1_11comp_targetILNS1_3genE0ELNS1_11target_archE4294967295ELNS1_3gpuE0ELNS1_3repE0EEENS1_30default_config_static_selectorELNS0_4arch9wavefront6targetE1EEEvT1_,comdat
.Lfunc_end4016:
	.size	_ZN7rocprim17ROCPRIM_400000_NS6detail17trampoline_kernelINS0_14default_configENS1_20scan_config_selectorIsEEZZNS1_9scan_implILNS1_25lookback_scan_determinismE0ELb0ELb0ES3_N6thrust23THRUST_200600_302600_NS6detail15normal_iteratorINS9_10device_ptrIsEEEENS9_16discard_iteratorINS9_11use_defaultEEEs11max_functorIsEsEEDaPvRmT3_T4_T5_mT6_P12ihipStream_tbENKUlT_T0_E_clISt17integral_constantIbLb1EESX_EEDaSS_ST_EUlSS_E_NS1_11comp_targetILNS1_3genE0ELNS1_11target_archE4294967295ELNS1_3gpuE0ELNS1_3repE0EEENS1_30default_config_static_selectorELNS0_4arch9wavefront6targetE1EEEvT1_, .Lfunc_end4016-_ZN7rocprim17ROCPRIM_400000_NS6detail17trampoline_kernelINS0_14default_configENS1_20scan_config_selectorIsEEZZNS1_9scan_implILNS1_25lookback_scan_determinismE0ELb0ELb0ES3_N6thrust23THRUST_200600_302600_NS6detail15normal_iteratorINS9_10device_ptrIsEEEENS9_16discard_iteratorINS9_11use_defaultEEEs11max_functorIsEsEEDaPvRmT3_T4_T5_mT6_P12ihipStream_tbENKUlT_T0_E_clISt17integral_constantIbLb1EESX_EEDaSS_ST_EUlSS_E_NS1_11comp_targetILNS1_3genE0ELNS1_11target_archE4294967295ELNS1_3gpuE0ELNS1_3repE0EEENS1_30default_config_static_selectorELNS0_4arch9wavefront6targetE1EEEvT1_
                                        ; -- End function
	.section	.AMDGPU.csdata,"",@progbits
; Kernel info:
; codeLenInByte = 0
; NumSgprs: 4
; NumVgprs: 0
; NumAgprs: 0
; TotalNumVgprs: 0
; ScratchSize: 0
; MemoryBound: 0
; FloatMode: 240
; IeeeMode: 1
; LDSByteSize: 0 bytes/workgroup (compile time only)
; SGPRBlocks: 0
; VGPRBlocks: 0
; NumSGPRsForWavesPerEU: 4
; NumVGPRsForWavesPerEU: 1
; AccumOffset: 4
; Occupancy: 8
; WaveLimiterHint : 0
; COMPUTE_PGM_RSRC2:SCRATCH_EN: 0
; COMPUTE_PGM_RSRC2:USER_SGPR: 6
; COMPUTE_PGM_RSRC2:TRAP_HANDLER: 0
; COMPUTE_PGM_RSRC2:TGID_X_EN: 1
; COMPUTE_PGM_RSRC2:TGID_Y_EN: 0
; COMPUTE_PGM_RSRC2:TGID_Z_EN: 0
; COMPUTE_PGM_RSRC2:TIDIG_COMP_CNT: 0
; COMPUTE_PGM_RSRC3_GFX90A:ACCUM_OFFSET: 0
; COMPUTE_PGM_RSRC3_GFX90A:TG_SPLIT: 0
	.section	.text._ZN7rocprim17ROCPRIM_400000_NS6detail17trampoline_kernelINS0_14default_configENS1_20scan_config_selectorIsEEZZNS1_9scan_implILNS1_25lookback_scan_determinismE0ELb0ELb0ES3_N6thrust23THRUST_200600_302600_NS6detail15normal_iteratorINS9_10device_ptrIsEEEENS9_16discard_iteratorINS9_11use_defaultEEEs11max_functorIsEsEEDaPvRmT3_T4_T5_mT6_P12ihipStream_tbENKUlT_T0_E_clISt17integral_constantIbLb1EESX_EEDaSS_ST_EUlSS_E_NS1_11comp_targetILNS1_3genE5ELNS1_11target_archE942ELNS1_3gpuE9ELNS1_3repE0EEENS1_30default_config_static_selectorELNS0_4arch9wavefront6targetE1EEEvT1_,"axG",@progbits,_ZN7rocprim17ROCPRIM_400000_NS6detail17trampoline_kernelINS0_14default_configENS1_20scan_config_selectorIsEEZZNS1_9scan_implILNS1_25lookback_scan_determinismE0ELb0ELb0ES3_N6thrust23THRUST_200600_302600_NS6detail15normal_iteratorINS9_10device_ptrIsEEEENS9_16discard_iteratorINS9_11use_defaultEEEs11max_functorIsEsEEDaPvRmT3_T4_T5_mT6_P12ihipStream_tbENKUlT_T0_E_clISt17integral_constantIbLb1EESX_EEDaSS_ST_EUlSS_E_NS1_11comp_targetILNS1_3genE5ELNS1_11target_archE942ELNS1_3gpuE9ELNS1_3repE0EEENS1_30default_config_static_selectorELNS0_4arch9wavefront6targetE1EEEvT1_,comdat
	.protected	_ZN7rocprim17ROCPRIM_400000_NS6detail17trampoline_kernelINS0_14default_configENS1_20scan_config_selectorIsEEZZNS1_9scan_implILNS1_25lookback_scan_determinismE0ELb0ELb0ES3_N6thrust23THRUST_200600_302600_NS6detail15normal_iteratorINS9_10device_ptrIsEEEENS9_16discard_iteratorINS9_11use_defaultEEEs11max_functorIsEsEEDaPvRmT3_T4_T5_mT6_P12ihipStream_tbENKUlT_T0_E_clISt17integral_constantIbLb1EESX_EEDaSS_ST_EUlSS_E_NS1_11comp_targetILNS1_3genE5ELNS1_11target_archE942ELNS1_3gpuE9ELNS1_3repE0EEENS1_30default_config_static_selectorELNS0_4arch9wavefront6targetE1EEEvT1_ ; -- Begin function _ZN7rocprim17ROCPRIM_400000_NS6detail17trampoline_kernelINS0_14default_configENS1_20scan_config_selectorIsEEZZNS1_9scan_implILNS1_25lookback_scan_determinismE0ELb0ELb0ES3_N6thrust23THRUST_200600_302600_NS6detail15normal_iteratorINS9_10device_ptrIsEEEENS9_16discard_iteratorINS9_11use_defaultEEEs11max_functorIsEsEEDaPvRmT3_T4_T5_mT6_P12ihipStream_tbENKUlT_T0_E_clISt17integral_constantIbLb1EESX_EEDaSS_ST_EUlSS_E_NS1_11comp_targetILNS1_3genE5ELNS1_11target_archE942ELNS1_3gpuE9ELNS1_3repE0EEENS1_30default_config_static_selectorELNS0_4arch9wavefront6targetE1EEEvT1_
	.globl	_ZN7rocprim17ROCPRIM_400000_NS6detail17trampoline_kernelINS0_14default_configENS1_20scan_config_selectorIsEEZZNS1_9scan_implILNS1_25lookback_scan_determinismE0ELb0ELb0ES3_N6thrust23THRUST_200600_302600_NS6detail15normal_iteratorINS9_10device_ptrIsEEEENS9_16discard_iteratorINS9_11use_defaultEEEs11max_functorIsEsEEDaPvRmT3_T4_T5_mT6_P12ihipStream_tbENKUlT_T0_E_clISt17integral_constantIbLb1EESX_EEDaSS_ST_EUlSS_E_NS1_11comp_targetILNS1_3genE5ELNS1_11target_archE942ELNS1_3gpuE9ELNS1_3repE0EEENS1_30default_config_static_selectorELNS0_4arch9wavefront6targetE1EEEvT1_
	.p2align	8
	.type	_ZN7rocprim17ROCPRIM_400000_NS6detail17trampoline_kernelINS0_14default_configENS1_20scan_config_selectorIsEEZZNS1_9scan_implILNS1_25lookback_scan_determinismE0ELb0ELb0ES3_N6thrust23THRUST_200600_302600_NS6detail15normal_iteratorINS9_10device_ptrIsEEEENS9_16discard_iteratorINS9_11use_defaultEEEs11max_functorIsEsEEDaPvRmT3_T4_T5_mT6_P12ihipStream_tbENKUlT_T0_E_clISt17integral_constantIbLb1EESX_EEDaSS_ST_EUlSS_E_NS1_11comp_targetILNS1_3genE5ELNS1_11target_archE942ELNS1_3gpuE9ELNS1_3repE0EEENS1_30default_config_static_selectorELNS0_4arch9wavefront6targetE1EEEvT1_,@function
_ZN7rocprim17ROCPRIM_400000_NS6detail17trampoline_kernelINS0_14default_configENS1_20scan_config_selectorIsEEZZNS1_9scan_implILNS1_25lookback_scan_determinismE0ELb0ELb0ES3_N6thrust23THRUST_200600_302600_NS6detail15normal_iteratorINS9_10device_ptrIsEEEENS9_16discard_iteratorINS9_11use_defaultEEEs11max_functorIsEsEEDaPvRmT3_T4_T5_mT6_P12ihipStream_tbENKUlT_T0_E_clISt17integral_constantIbLb1EESX_EEDaSS_ST_EUlSS_E_NS1_11comp_targetILNS1_3genE5ELNS1_11target_archE942ELNS1_3gpuE9ELNS1_3repE0EEENS1_30default_config_static_selectorELNS0_4arch9wavefront6targetE1EEEvT1_: ; @_ZN7rocprim17ROCPRIM_400000_NS6detail17trampoline_kernelINS0_14default_configENS1_20scan_config_selectorIsEEZZNS1_9scan_implILNS1_25lookback_scan_determinismE0ELb0ELb0ES3_N6thrust23THRUST_200600_302600_NS6detail15normal_iteratorINS9_10device_ptrIsEEEENS9_16discard_iteratorINS9_11use_defaultEEEs11max_functorIsEsEEDaPvRmT3_T4_T5_mT6_P12ihipStream_tbENKUlT_T0_E_clISt17integral_constantIbLb1EESX_EEDaSS_ST_EUlSS_E_NS1_11comp_targetILNS1_3genE5ELNS1_11target_archE942ELNS1_3gpuE9ELNS1_3repE0EEENS1_30default_config_static_selectorELNS0_4arch9wavefront6targetE1EEEvT1_
; %bb.0:
	.section	.rodata,"a",@progbits
	.p2align	6, 0x0
	.amdhsa_kernel _ZN7rocprim17ROCPRIM_400000_NS6detail17trampoline_kernelINS0_14default_configENS1_20scan_config_selectorIsEEZZNS1_9scan_implILNS1_25lookback_scan_determinismE0ELb0ELb0ES3_N6thrust23THRUST_200600_302600_NS6detail15normal_iteratorINS9_10device_ptrIsEEEENS9_16discard_iteratorINS9_11use_defaultEEEs11max_functorIsEsEEDaPvRmT3_T4_T5_mT6_P12ihipStream_tbENKUlT_T0_E_clISt17integral_constantIbLb1EESX_EEDaSS_ST_EUlSS_E_NS1_11comp_targetILNS1_3genE5ELNS1_11target_archE942ELNS1_3gpuE9ELNS1_3repE0EEENS1_30default_config_static_selectorELNS0_4arch9wavefront6targetE1EEEvT1_
		.amdhsa_group_segment_fixed_size 0
		.amdhsa_private_segment_fixed_size 0
		.amdhsa_kernarg_size 104
		.amdhsa_user_sgpr_count 6
		.amdhsa_user_sgpr_private_segment_buffer 1
		.amdhsa_user_sgpr_dispatch_ptr 0
		.amdhsa_user_sgpr_queue_ptr 0
		.amdhsa_user_sgpr_kernarg_segment_ptr 1
		.amdhsa_user_sgpr_dispatch_id 0
		.amdhsa_user_sgpr_flat_scratch_init 0
		.amdhsa_user_sgpr_kernarg_preload_length 0
		.amdhsa_user_sgpr_kernarg_preload_offset 0
		.amdhsa_user_sgpr_private_segment_size 0
		.amdhsa_uses_dynamic_stack 0
		.amdhsa_system_sgpr_private_segment_wavefront_offset 0
		.amdhsa_system_sgpr_workgroup_id_x 1
		.amdhsa_system_sgpr_workgroup_id_y 0
		.amdhsa_system_sgpr_workgroup_id_z 0
		.amdhsa_system_sgpr_workgroup_info 0
		.amdhsa_system_vgpr_workitem_id 0
		.amdhsa_next_free_vgpr 1
		.amdhsa_next_free_sgpr 0
		.amdhsa_accum_offset 4
		.amdhsa_reserve_vcc 0
		.amdhsa_reserve_flat_scratch 0
		.amdhsa_float_round_mode_32 0
		.amdhsa_float_round_mode_16_64 0
		.amdhsa_float_denorm_mode_32 3
		.amdhsa_float_denorm_mode_16_64 3
		.amdhsa_dx10_clamp 1
		.amdhsa_ieee_mode 1
		.amdhsa_fp16_overflow 0
		.amdhsa_tg_split 0
		.amdhsa_exception_fp_ieee_invalid_op 0
		.amdhsa_exception_fp_denorm_src 0
		.amdhsa_exception_fp_ieee_div_zero 0
		.amdhsa_exception_fp_ieee_overflow 0
		.amdhsa_exception_fp_ieee_underflow 0
		.amdhsa_exception_fp_ieee_inexact 0
		.amdhsa_exception_int_div_zero 0
	.end_amdhsa_kernel
	.section	.text._ZN7rocprim17ROCPRIM_400000_NS6detail17trampoline_kernelINS0_14default_configENS1_20scan_config_selectorIsEEZZNS1_9scan_implILNS1_25lookback_scan_determinismE0ELb0ELb0ES3_N6thrust23THRUST_200600_302600_NS6detail15normal_iteratorINS9_10device_ptrIsEEEENS9_16discard_iteratorINS9_11use_defaultEEEs11max_functorIsEsEEDaPvRmT3_T4_T5_mT6_P12ihipStream_tbENKUlT_T0_E_clISt17integral_constantIbLb1EESX_EEDaSS_ST_EUlSS_E_NS1_11comp_targetILNS1_3genE5ELNS1_11target_archE942ELNS1_3gpuE9ELNS1_3repE0EEENS1_30default_config_static_selectorELNS0_4arch9wavefront6targetE1EEEvT1_,"axG",@progbits,_ZN7rocprim17ROCPRIM_400000_NS6detail17trampoline_kernelINS0_14default_configENS1_20scan_config_selectorIsEEZZNS1_9scan_implILNS1_25lookback_scan_determinismE0ELb0ELb0ES3_N6thrust23THRUST_200600_302600_NS6detail15normal_iteratorINS9_10device_ptrIsEEEENS9_16discard_iteratorINS9_11use_defaultEEEs11max_functorIsEsEEDaPvRmT3_T4_T5_mT6_P12ihipStream_tbENKUlT_T0_E_clISt17integral_constantIbLb1EESX_EEDaSS_ST_EUlSS_E_NS1_11comp_targetILNS1_3genE5ELNS1_11target_archE942ELNS1_3gpuE9ELNS1_3repE0EEENS1_30default_config_static_selectorELNS0_4arch9wavefront6targetE1EEEvT1_,comdat
.Lfunc_end4017:
	.size	_ZN7rocprim17ROCPRIM_400000_NS6detail17trampoline_kernelINS0_14default_configENS1_20scan_config_selectorIsEEZZNS1_9scan_implILNS1_25lookback_scan_determinismE0ELb0ELb0ES3_N6thrust23THRUST_200600_302600_NS6detail15normal_iteratorINS9_10device_ptrIsEEEENS9_16discard_iteratorINS9_11use_defaultEEEs11max_functorIsEsEEDaPvRmT3_T4_T5_mT6_P12ihipStream_tbENKUlT_T0_E_clISt17integral_constantIbLb1EESX_EEDaSS_ST_EUlSS_E_NS1_11comp_targetILNS1_3genE5ELNS1_11target_archE942ELNS1_3gpuE9ELNS1_3repE0EEENS1_30default_config_static_selectorELNS0_4arch9wavefront6targetE1EEEvT1_, .Lfunc_end4017-_ZN7rocprim17ROCPRIM_400000_NS6detail17trampoline_kernelINS0_14default_configENS1_20scan_config_selectorIsEEZZNS1_9scan_implILNS1_25lookback_scan_determinismE0ELb0ELb0ES3_N6thrust23THRUST_200600_302600_NS6detail15normal_iteratorINS9_10device_ptrIsEEEENS9_16discard_iteratorINS9_11use_defaultEEEs11max_functorIsEsEEDaPvRmT3_T4_T5_mT6_P12ihipStream_tbENKUlT_T0_E_clISt17integral_constantIbLb1EESX_EEDaSS_ST_EUlSS_E_NS1_11comp_targetILNS1_3genE5ELNS1_11target_archE942ELNS1_3gpuE9ELNS1_3repE0EEENS1_30default_config_static_selectorELNS0_4arch9wavefront6targetE1EEEvT1_
                                        ; -- End function
	.section	.AMDGPU.csdata,"",@progbits
; Kernel info:
; codeLenInByte = 0
; NumSgprs: 4
; NumVgprs: 0
; NumAgprs: 0
; TotalNumVgprs: 0
; ScratchSize: 0
; MemoryBound: 0
; FloatMode: 240
; IeeeMode: 1
; LDSByteSize: 0 bytes/workgroup (compile time only)
; SGPRBlocks: 0
; VGPRBlocks: 0
; NumSGPRsForWavesPerEU: 4
; NumVGPRsForWavesPerEU: 1
; AccumOffset: 4
; Occupancy: 8
; WaveLimiterHint : 0
; COMPUTE_PGM_RSRC2:SCRATCH_EN: 0
; COMPUTE_PGM_RSRC2:USER_SGPR: 6
; COMPUTE_PGM_RSRC2:TRAP_HANDLER: 0
; COMPUTE_PGM_RSRC2:TGID_X_EN: 1
; COMPUTE_PGM_RSRC2:TGID_Y_EN: 0
; COMPUTE_PGM_RSRC2:TGID_Z_EN: 0
; COMPUTE_PGM_RSRC2:TIDIG_COMP_CNT: 0
; COMPUTE_PGM_RSRC3_GFX90A:ACCUM_OFFSET: 0
; COMPUTE_PGM_RSRC3_GFX90A:TG_SPLIT: 0
	.section	.text._ZN7rocprim17ROCPRIM_400000_NS6detail17trampoline_kernelINS0_14default_configENS1_20scan_config_selectorIsEEZZNS1_9scan_implILNS1_25lookback_scan_determinismE0ELb0ELb0ES3_N6thrust23THRUST_200600_302600_NS6detail15normal_iteratorINS9_10device_ptrIsEEEENS9_16discard_iteratorINS9_11use_defaultEEEs11max_functorIsEsEEDaPvRmT3_T4_T5_mT6_P12ihipStream_tbENKUlT_T0_E_clISt17integral_constantIbLb1EESX_EEDaSS_ST_EUlSS_E_NS1_11comp_targetILNS1_3genE4ELNS1_11target_archE910ELNS1_3gpuE8ELNS1_3repE0EEENS1_30default_config_static_selectorELNS0_4arch9wavefront6targetE1EEEvT1_,"axG",@progbits,_ZN7rocprim17ROCPRIM_400000_NS6detail17trampoline_kernelINS0_14default_configENS1_20scan_config_selectorIsEEZZNS1_9scan_implILNS1_25lookback_scan_determinismE0ELb0ELb0ES3_N6thrust23THRUST_200600_302600_NS6detail15normal_iteratorINS9_10device_ptrIsEEEENS9_16discard_iteratorINS9_11use_defaultEEEs11max_functorIsEsEEDaPvRmT3_T4_T5_mT6_P12ihipStream_tbENKUlT_T0_E_clISt17integral_constantIbLb1EESX_EEDaSS_ST_EUlSS_E_NS1_11comp_targetILNS1_3genE4ELNS1_11target_archE910ELNS1_3gpuE8ELNS1_3repE0EEENS1_30default_config_static_selectorELNS0_4arch9wavefront6targetE1EEEvT1_,comdat
	.protected	_ZN7rocprim17ROCPRIM_400000_NS6detail17trampoline_kernelINS0_14default_configENS1_20scan_config_selectorIsEEZZNS1_9scan_implILNS1_25lookback_scan_determinismE0ELb0ELb0ES3_N6thrust23THRUST_200600_302600_NS6detail15normal_iteratorINS9_10device_ptrIsEEEENS9_16discard_iteratorINS9_11use_defaultEEEs11max_functorIsEsEEDaPvRmT3_T4_T5_mT6_P12ihipStream_tbENKUlT_T0_E_clISt17integral_constantIbLb1EESX_EEDaSS_ST_EUlSS_E_NS1_11comp_targetILNS1_3genE4ELNS1_11target_archE910ELNS1_3gpuE8ELNS1_3repE0EEENS1_30default_config_static_selectorELNS0_4arch9wavefront6targetE1EEEvT1_ ; -- Begin function _ZN7rocprim17ROCPRIM_400000_NS6detail17trampoline_kernelINS0_14default_configENS1_20scan_config_selectorIsEEZZNS1_9scan_implILNS1_25lookback_scan_determinismE0ELb0ELb0ES3_N6thrust23THRUST_200600_302600_NS6detail15normal_iteratorINS9_10device_ptrIsEEEENS9_16discard_iteratorINS9_11use_defaultEEEs11max_functorIsEsEEDaPvRmT3_T4_T5_mT6_P12ihipStream_tbENKUlT_T0_E_clISt17integral_constantIbLb1EESX_EEDaSS_ST_EUlSS_E_NS1_11comp_targetILNS1_3genE4ELNS1_11target_archE910ELNS1_3gpuE8ELNS1_3repE0EEENS1_30default_config_static_selectorELNS0_4arch9wavefront6targetE1EEEvT1_
	.globl	_ZN7rocprim17ROCPRIM_400000_NS6detail17trampoline_kernelINS0_14default_configENS1_20scan_config_selectorIsEEZZNS1_9scan_implILNS1_25lookback_scan_determinismE0ELb0ELb0ES3_N6thrust23THRUST_200600_302600_NS6detail15normal_iteratorINS9_10device_ptrIsEEEENS9_16discard_iteratorINS9_11use_defaultEEEs11max_functorIsEsEEDaPvRmT3_T4_T5_mT6_P12ihipStream_tbENKUlT_T0_E_clISt17integral_constantIbLb1EESX_EEDaSS_ST_EUlSS_E_NS1_11comp_targetILNS1_3genE4ELNS1_11target_archE910ELNS1_3gpuE8ELNS1_3repE0EEENS1_30default_config_static_selectorELNS0_4arch9wavefront6targetE1EEEvT1_
	.p2align	8
	.type	_ZN7rocprim17ROCPRIM_400000_NS6detail17trampoline_kernelINS0_14default_configENS1_20scan_config_selectorIsEEZZNS1_9scan_implILNS1_25lookback_scan_determinismE0ELb0ELb0ES3_N6thrust23THRUST_200600_302600_NS6detail15normal_iteratorINS9_10device_ptrIsEEEENS9_16discard_iteratorINS9_11use_defaultEEEs11max_functorIsEsEEDaPvRmT3_T4_T5_mT6_P12ihipStream_tbENKUlT_T0_E_clISt17integral_constantIbLb1EESX_EEDaSS_ST_EUlSS_E_NS1_11comp_targetILNS1_3genE4ELNS1_11target_archE910ELNS1_3gpuE8ELNS1_3repE0EEENS1_30default_config_static_selectorELNS0_4arch9wavefront6targetE1EEEvT1_,@function
_ZN7rocprim17ROCPRIM_400000_NS6detail17trampoline_kernelINS0_14default_configENS1_20scan_config_selectorIsEEZZNS1_9scan_implILNS1_25lookback_scan_determinismE0ELb0ELb0ES3_N6thrust23THRUST_200600_302600_NS6detail15normal_iteratorINS9_10device_ptrIsEEEENS9_16discard_iteratorINS9_11use_defaultEEEs11max_functorIsEsEEDaPvRmT3_T4_T5_mT6_P12ihipStream_tbENKUlT_T0_E_clISt17integral_constantIbLb1EESX_EEDaSS_ST_EUlSS_E_NS1_11comp_targetILNS1_3genE4ELNS1_11target_archE910ELNS1_3gpuE8ELNS1_3repE0EEENS1_30default_config_static_selectorELNS0_4arch9wavefront6targetE1EEEvT1_: ; @_ZN7rocprim17ROCPRIM_400000_NS6detail17trampoline_kernelINS0_14default_configENS1_20scan_config_selectorIsEEZZNS1_9scan_implILNS1_25lookback_scan_determinismE0ELb0ELb0ES3_N6thrust23THRUST_200600_302600_NS6detail15normal_iteratorINS9_10device_ptrIsEEEENS9_16discard_iteratorINS9_11use_defaultEEEs11max_functorIsEsEEDaPvRmT3_T4_T5_mT6_P12ihipStream_tbENKUlT_T0_E_clISt17integral_constantIbLb1EESX_EEDaSS_ST_EUlSS_E_NS1_11comp_targetILNS1_3genE4ELNS1_11target_archE910ELNS1_3gpuE8ELNS1_3repE0EEENS1_30default_config_static_selectorELNS0_4arch9wavefront6targetE1EEEvT1_
; %bb.0:
	s_load_dwordx2 s[6:7], s[4:5], 0x20
	s_load_dwordx2 s[24:25], s[4:5], 0x30
	v_cmp_ne_u32_e64 s[0:1], 0, v0
	v_cmp_eq_u32_e64 s[2:3], 0, v0
	s_and_saveexec_b64 s[8:9], s[2:3]
	s_cbranch_execz .LBB4018_4
; %bb.1:
	s_mov_b64 s[12:13], exec
	v_mbcnt_lo_u32_b32 v1, s12, 0
	v_mbcnt_hi_u32_b32 v1, s13, v1
	v_cmp_eq_u32_e32 vcc, 0, v1
                                        ; implicit-def: $vgpr2
	s_and_saveexec_b64 s[10:11], vcc
	s_cbranch_execz .LBB4018_3
; %bb.2:
	s_load_dwordx2 s[14:15], s[4:5], 0x60
	s_bcnt1_i32_b64 s12, s[12:13]
	v_mov_b32_e32 v2, 0
	v_mov_b32_e32 v3, s12
	s_waitcnt lgkmcnt(0)
	global_atomic_add v2, v2, v3, s[14:15] glc
.LBB4018_3:
	s_or_b64 exec, exec, s[10:11]
	s_waitcnt vmcnt(0)
	v_readfirstlane_b32 s10, v2
	v_add_u32_e32 v1, s10, v1
	v_mov_b32_e32 v2, 0
	ds_write_b32 v2, v1
.LBB4018_4:
	s_or_b64 exec, exec, s[8:9]
	v_mov_b32_e32 v3, 0
	s_load_dwordx4 s[8:11], s[4:5], 0x0
	s_load_dword s12, s[4:5], 0x38
	s_load_dwordx8 s[16:23], s[4:5], 0x40
	s_waitcnt lgkmcnt(0)
	; wave barrier
	s_waitcnt lgkmcnt(0)
	ds_read_b32 v1, v3
	s_lshl_b64 s[4:5], s[10:11], 1
	s_add_u32 s4, s8, s4
	s_movk_i32 s8, 0x600
	s_addc_u32 s5, s9, s5
	s_waitcnt lgkmcnt(0)
	v_mul_lo_u32 v2, v1, s8
	s_add_i32 s8, s12, -1
	s_mul_i32 s9, s8, 0x600
	s_sub_u32 s28, s6, s9
	v_readfirstlane_b32 s30, v1
	s_subb_u32 s29, s7, 0
	v_lshlrev_b64 v[2:3], 1, v[2:3]
	s_cmp_lg_u32 s30, s8
	v_mov_b32_e32 v1, s5
	v_add_co_u32_e32 v2, vcc, s4, v2
	s_cselect_b64 s[14:15], -1, 0
	v_addc_co_u32_e32 v3, vcc, v1, v3, vcc
	s_mov_b64 s[4:5], -1
	s_and_b64 vcc, exec, s[14:15]
	v_lshlrev_b32_e32 v1, 1, v0
	s_waitcnt lgkmcnt(0)
	; wave barrier
	s_cbranch_vccz .LBB4018_6
; %bb.5:
	v_add_co_u32_e32 v4, vcc, v2, v1
	v_addc_co_u32_e32 v5, vcc, 0, v3, vcc
	flat_load_ushort v6, v[4:5]
	flat_load_ushort v7, v[4:5] offset:128
	flat_load_ushort v8, v[4:5] offset:256
	;; [unrolled: 1-line block ×23, first 2 shown]
	s_mov_b64 s[4:5], 0
	s_waitcnt vmcnt(0) lgkmcnt(0)
	ds_write_b16 v1, v6
	ds_write_b16 v1, v7 offset:128
	ds_write_b16 v1, v8 offset:256
	;; [unrolled: 1-line block ×23, first 2 shown]
	s_waitcnt lgkmcnt(0)
	; wave barrier
.LBB4018_6:
	s_andn2_b64 vcc, exec, s[4:5]
	s_cbranch_vccnz .LBB4018_56
; %bb.7:
	flat_load_ushort v4, v[2:3]
	v_cmp_gt_u32_e32 vcc, s28, v0
	s_waitcnt vmcnt(0) lgkmcnt(0)
	v_mov_b32_e32 v5, v4
	s_and_saveexec_b64 s[4:5], vcc
	s_cbranch_execz .LBB4018_9
; %bb.8:
	v_add_co_u32_e32 v6, vcc, v2, v1
	v_addc_co_u32_e32 v7, vcc, 0, v3, vcc
	flat_load_ushort v5, v[6:7]
.LBB4018_9:
	s_or_b64 exec, exec, s[4:5]
	v_or_b32_e32 v6, 64, v0
	v_cmp_gt_u32_e32 vcc, s28, v6
	v_mov_b32_e32 v6, v4
	s_and_saveexec_b64 s[4:5], vcc
	s_cbranch_execz .LBB4018_11
; %bb.10:
	v_add_co_u32_e32 v6, vcc, v2, v1
	v_addc_co_u32_e32 v7, vcc, 0, v3, vcc
	flat_load_ushort v6, v[6:7] offset:128
.LBB4018_11:
	s_or_b64 exec, exec, s[4:5]
	v_or_b32_e32 v7, 0x80, v0
	v_cmp_gt_u32_e32 vcc, s28, v7
	v_mov_b32_e32 v7, v4
	s_and_saveexec_b64 s[4:5], vcc
	s_cbranch_execz .LBB4018_13
; %bb.12:
	v_add_co_u32_e32 v8, vcc, v2, v1
	v_addc_co_u32_e32 v9, vcc, 0, v3, vcc
	flat_load_ushort v7, v[8:9] offset:256
.LBB4018_13:
	;; [unrolled: 11-line block ×22, first 2 shown]
	s_or_b64 exec, exec, s[4:5]
	v_or_b32_e32 v28, 0x5c0, v0
	v_cmp_gt_u32_e32 vcc, s28, v28
	s_and_saveexec_b64 s[4:5], vcc
	s_cbranch_execz .LBB4018_55
; %bb.54:
	v_add_co_u32_e32 v2, vcc, v2, v1
	v_addc_co_u32_e32 v3, vcc, 0, v3, vcc
	flat_load_ushort v4, v[2:3] offset:2944
.LBB4018_55:
	s_or_b64 exec, exec, s[4:5]
	s_waitcnt vmcnt(0) lgkmcnt(0)
	ds_write_b16 v1, v5
	ds_write_b16 v1, v6 offset:128
	ds_write_b16 v1, v7 offset:256
	;; [unrolled: 1-line block ×23, first 2 shown]
	s_waitcnt lgkmcnt(0)
	; wave barrier
.LBB4018_56:
	v_mul_u32_u24_e32 v20, 24, v0
	v_lshlrev_b32_e32 v21, 1, v20
	s_waitcnt lgkmcnt(0)
	ds_read_b128 v[10:13], v21
	ds_read_b128 v[6:9], v21 offset:16
	ds_read_b128 v[2:5], v21 offset:32
	s_cmp_lg_u32 s30, 0
	v_mbcnt_lo_u32_b32 v32, -1, 0
	s_waitcnt lgkmcnt(2)
	v_lshrrev_b32_e32 v31, 16, v11
	v_lshrrev_b32_e32 v30, 16, v12
	;; [unrolled: 1-line block ×3, first 2 shown]
	s_waitcnt lgkmcnt(1)
	v_lshrrev_b32_e32 v28, 16, v6
	v_lshrrev_b32_e32 v27, 16, v7
	;; [unrolled: 1-line block ×4, first 2 shown]
	s_waitcnt lgkmcnt(0)
	v_lshrrev_b32_e32 v24, 16, v2
	v_lshrrev_b32_e32 v23, 16, v3
	;; [unrolled: 1-line block ×4, first 2 shown]
	v_cmp_eq_u32_e32 vcc, 63, v0
	s_waitcnt lgkmcnt(0)
	; wave barrier
	s_cbranch_scc0 .LBB4018_83
; %bb.57:
	v_max_i16_sdwa v14, v10, v10 dst_sel:DWORD dst_unused:UNUSED_PAD src0_sel:DWORD src1_sel:WORD_1
	v_max3_i16 v14, v14, v11, v31
	v_max3_i16 v14, v14, v12, v30
	;; [unrolled: 1-line block ×11, first 2 shown]
	v_mbcnt_hi_u32_b32 v15, -1, v32
	v_and_b32_e32 v17, 0xffff, v14
	v_and_b32_e32 v16, 15, v15
	v_cmp_eq_u32_e64 s[4:5], 0, v16
	v_mov_b32_dpp v17, v17 row_shr:1 row_mask:0xf bank_mask:0xf
	v_max_i16_e32 v17, v17, v14
	v_cndmask_b32_e64 v14, v17, v14, s[4:5]
	v_and_b32_e32 v17, 0xffff, v14
	v_cmp_lt_u32_e64 s[4:5], 1, v16
	s_nop 0
	v_mov_b32_dpp v17, v17 row_shr:2 row_mask:0xf bank_mask:0xf
	v_max_i16_e32 v17, v17, v14
	v_cndmask_b32_e64 v14, v14, v17, s[4:5]
	v_and_b32_e32 v17, 0xffff, v14
	v_cmp_lt_u32_e64 s[4:5], 3, v16
	s_nop 0
	;; [unrolled: 6-line block ×3, first 2 shown]
	v_mov_b32_dpp v17, v17 row_shr:8 row_mask:0xf bank_mask:0xf
	v_max_i16_e32 v17, v17, v14
	v_cndmask_b32_e64 v14, v14, v17, s[4:5]
	v_and_b32_e32 v16, 0xffff, v14
	v_and_b32_e32 v17, 16, v15
	v_cmp_eq_u32_e64 s[4:5], 0, v17
	v_mov_b32_dpp v16, v16 row_bcast:15 row_mask:0xf bank_mask:0xf
	v_max_i16_e32 v16, v16, v14
	v_cndmask_b32_e64 v14, v16, v14, s[4:5]
	v_and_b32_e32 v16, 0xffff, v14
	v_cmp_lt_u32_e64 s[4:5], 31, v15
	s_nop 0
	v_mov_b32_dpp v16, v16 row_bcast:31 row_mask:0xf bank_mask:0xf
	v_max_i16_e32 v16, v16, v14
	v_cndmask_b32_e64 v14, v14, v16, s[4:5]
	s_and_saveexec_b64 s[4:5], vcc
	s_cbranch_execz .LBB4018_59
; %bb.58:
	v_mov_b32_e32 v16, 0
	ds_write_b16 v16, v14
.LBB4018_59:
	s_or_b64 exec, exec, s[4:5]
	v_add_u32_e32 v16, -1, v15
	v_and_b32_e32 v17, 64, v15
	v_cmp_lt_i32_e32 vcc, v16, v17
	v_cndmask_b32_e32 v16, v16, v15, vcc
	v_and_b32_e32 v14, 0xffff, v14
	v_lshlrev_b32_e32 v16, 2, v16
	ds_bpermute_b32 v33, v16, v14
	v_cmp_gt_u32_e32 vcc, 64, v0
	s_waitcnt lgkmcnt(0)
	; wave barrier
	s_waitcnt lgkmcnt(0)
	s_and_saveexec_b64 s[26:27], vcc
	s_cbranch_execz .LBB4018_82
; %bb.60:
	v_mov_b32_e32 v19, 0
	ds_read_u16 v34, v19
	s_mov_b32 s9, 0
	v_cmp_eq_u32_e64 s[4:5], 0, v15
	s_and_saveexec_b64 s[6:7], s[4:5]
	s_cbranch_execz .LBB4018_62
; %bb.61:
	s_add_i32 s8, s30, 64
	s_lshl_b64 s[8:9], s[8:9], 2
	s_add_u32 s8, s24, s8
	s_waitcnt lgkmcnt(0)
	v_or_b32_e32 v14, 0x10000, v34
	s_addc_u32 s9, s25, s9
	global_store_dword v19, v14, s[8:9]
.LBB4018_62:
	s_or_b64 exec, exec, s[6:7]
	v_xad_u32 v14, v15, -1, s30
	v_add_u32_e32 v18, 64, v14
	v_lshlrev_b64 v[16:17], 2, v[18:19]
	v_mov_b32_e32 v18, s25
	v_add_co_u32_e32 v16, vcc, s24, v16
	v_addc_co_u32_e32 v17, vcc, v18, v17, vcc
	global_load_dword v18, v[16:17], off glc
	s_waitcnt vmcnt(0)
	v_lshrrev_b32_e32 v38, 16, v18
	v_cmp_eq_u16_sdwa s[8:9], v38, v19 src0_sel:BYTE_0 src1_sel:DWORD
	s_and_saveexec_b64 s[6:7], s[8:9]
	s_cbranch_execz .LBB4018_68
; %bb.63:
	s_mov_b32 s10, 1
	s_mov_b64 s[8:9], 0
	v_mov_b32_e32 v19, 0
.LBB4018_64:                            ; =>This Loop Header: Depth=1
                                        ;     Child Loop BB4018_65 Depth 2
	s_max_u32 s11, s10, 1
.LBB4018_65:                            ;   Parent Loop BB4018_64 Depth=1
                                        ; =>  This Inner Loop Header: Depth=2
	s_add_i32 s11, s11, -1
	s_cmp_eq_u32 s11, 0
	s_sleep 1
	s_cbranch_scc0 .LBB4018_65
; %bb.66:                               ;   in Loop: Header=BB4018_64 Depth=1
	global_load_dword v18, v[16:17], off glc
	s_cmp_lt_u32 s10, 32
	s_cselect_b64 s[12:13], -1, 0
	s_cmp_lg_u64 s[12:13], 0
	s_addc_u32 s10, s10, 0
	s_waitcnt vmcnt(0)
	v_lshrrev_b32_e32 v38, 16, v18
	v_cmp_ne_u16_sdwa s[12:13], v38, v19 src0_sel:BYTE_0 src1_sel:DWORD
	s_or_b64 s[8:9], s[12:13], s[8:9]
	s_andn2_b64 exec, exec, s[8:9]
	s_cbranch_execnz .LBB4018_64
; %bb.67:
	s_or_b64 exec, exec, s[8:9]
.LBB4018_68:
	s_or_b64 exec, exec, s[6:7]
	v_and_b32_e32 v36, 63, v15
	v_cmp_ne_u32_e32 vcc, 63, v36
	v_mov_b32_e32 v35, 2
	v_addc_co_u32_e32 v37, vcc, 0, v15, vcc
	v_cmp_eq_u16_sdwa s[6:7], v38, v35 src0_sel:BYTE_0 src1_sel:DWORD
	v_lshlrev_b64 v[16:17], v15, -1
	v_and_b32_e32 v40, 0xffff, v18
	v_lshlrev_b32_e32 v37, 2, v37
	v_and_b32_e32 v19, s7, v17
	ds_bpermute_b32 v41, v37, v40
	v_or_b32_e32 v19, 0x80000000, v19
	v_and_b32_e32 v39, s6, v16
	v_ffbl_b32_e32 v19, v19
	v_add_u32_e32 v19, 32, v19
	v_ffbl_b32_e32 v39, v39
	v_cmp_gt_u32_e64 s[6:7], 62, v36
	v_min_u32_e32 v19, v39, v19
	v_cndmask_b32_e64 v39, 0, 1, s[6:7]
	s_waitcnt lgkmcnt(0)
	v_max_i16_e32 v41, v41, v18
	v_cmp_lt_u32_e32 vcc, v36, v19
	v_lshlrev_b32_e32 v39, 1, v39
	v_cndmask_b32_e32 v42, v40, v41, vcc
	v_add_lshl_u32 v39, v39, v15, 2
	ds_bpermute_b32 v43, v39, v42
	v_cmp_gt_u32_e64 s[8:9], 60, v36
	v_cndmask_b32_e32 v44, v18, v41, vcc
	v_add_u32_e32 v40, 2, v36
	v_cndmask_b32_e64 v41, 0, 1, s[8:9]
	s_waitcnt lgkmcnt(0)
	v_max_i16_e32 v43, v43, v44
	v_cmp_gt_u32_e64 s[6:7], v40, v19
	v_lshlrev_b32_e32 v41, 2, v41
	v_cndmask_b32_e64 v45, v43, v42, s[6:7]
	v_add_lshl_u32 v41, v41, v15, 2
	ds_bpermute_b32 v46, v41, v45
	v_cmp_gt_u32_e64 s[8:9], 56, v36
	v_cndmask_b32_e64 v47, v43, v44, s[6:7]
	v_add_u32_e32 v42, 4, v36
	v_cndmask_b32_e64 v43, 0, 1, s[8:9]
	s_waitcnt lgkmcnt(0)
	v_max_i16_e32 v50, v46, v47
	v_cmp_gt_u32_e64 s[6:7], v42, v19
	v_lshlrev_b32_e32 v43, 3, v43
	v_cndmask_b32_e64 v45, v50, v45, s[6:7]
	v_add_lshl_u32 v43, v43, v15, 2
	ds_bpermute_b32 v46, v43, v45
	v_cndmask_b32_e64 v48, v50, v47, s[6:7]
	v_add_u32_e32 v44, 8, v36
	v_cmp_gt_u32_e64 s[8:9], v44, v19
	v_cmp_gt_u32_e64 s[10:11], 48, v36
	s_waitcnt lgkmcnt(0)
	v_max_i16_e32 v51, v46, v48
	v_cndmask_b32_e64 v49, v51, v45, s[8:9]
	v_cndmask_b32_e64 v45, 0, 1, s[10:11]
	v_lshlrev_b32_e32 v45, 4, v45
	v_add_lshl_u32 v45, v45, v15, 2
	ds_bpermute_b32 v52, v45, v49
	v_cmp_gt_u32_e64 s[12:13], 32, v36
	v_cndmask_b32_e64 v53, v51, v48, s[8:9]
	v_add_u32_e32 v46, 16, v36
	v_cndmask_b32_e64 v48, 0, 1, s[12:13]
	s_waitcnt lgkmcnt(0)
	v_max_i16_e32 v52, v52, v53
	v_cmp_gt_u32_e64 s[10:11], v46, v19
	v_lshlrev_b32_e32 v48, 5, v48
	v_cndmask_b32_e64 v49, v52, v49, s[10:11]
	v_add_lshl_u32 v48, v48, v15, 2
	ds_bpermute_b32 v15, v48, v49
	v_cndmask_b32_e32 v18, v18, v47, vcc
	v_cndmask_b32_e64 v18, v50, v18, s[6:7]
	v_add_u32_e32 v49, 32, v36
	v_cndmask_b32_e64 v53, v52, v53, s[10:11]
	v_cndmask_b32_e64 v18, v51, v18, s[8:9]
	s_waitcnt lgkmcnt(0)
	v_max_i16_e32 v15, v15, v53
	v_cndmask_b32_e64 v18, v52, v18, s[10:11]
	v_cmp_gt_u32_e32 vcc, v49, v19
	v_cndmask_b32_e32 v18, v15, v18, vcc
	v_mov_b32_e32 v15, 0
	s_branch .LBB4018_70
.LBB4018_69:                            ;   in Loop: Header=BB4018_70 Depth=1
	s_or_b64 exec, exec, s[6:7]
	v_cmp_eq_u16_sdwa s[6:7], v38, v35 src0_sel:BYTE_0 src1_sel:DWORD
	v_and_b32_e32 v51, 0xffff, v50
	v_and_b32_e32 v18, s7, v17
	ds_bpermute_b32 v52, v37, v51
	v_or_b32_e32 v18, 0x80000000, v18
	v_and_b32_e32 v19, s6, v16
	v_ffbl_b32_e32 v18, v18
	v_add_u32_e32 v18, 32, v18
	v_ffbl_b32_e32 v19, v19
	v_min_u32_e32 v18, v19, v18
	s_waitcnt lgkmcnt(0)
	v_max_i16_e32 v19, v52, v50
	v_cmp_lt_u32_e32 vcc, v36, v18
	v_cndmask_b32_e32 v51, v51, v19, vcc
	ds_bpermute_b32 v52, v39, v51
	v_cndmask_b32_e32 v19, v50, v19, vcc
	v_cmp_gt_u32_e64 s[6:7], v40, v18
	v_cmp_gt_u32_e64 s[8:9], v44, v18
	v_subrev_u32_e32 v14, 64, v14
	s_waitcnt lgkmcnt(0)
	v_max_i16_e32 v52, v52, v19
	v_cndmask_b32_e64 v51, v52, v51, s[6:7]
	ds_bpermute_b32 v53, v41, v51
	v_cndmask_b32_e64 v19, v52, v19, s[6:7]
	v_cmp_gt_u32_e64 s[6:7], v42, v18
	s_waitcnt lgkmcnt(0)
	v_max_i16_e32 v52, v53, v19
	v_cndmask_b32_e64 v51, v52, v51, s[6:7]
	ds_bpermute_b32 v53, v43, v51
	v_cndmask_b32_e64 v54, v52, v19, s[6:7]
	v_cndmask_b32_e32 v19, v50, v19, vcc
	v_cmp_gt_u32_e32 vcc, v46, v18
	v_cndmask_b32_e64 v19, v52, v19, s[6:7]
	s_waitcnt lgkmcnt(0)
	v_max_i16_e32 v53, v53, v54
	v_cndmask_b32_e64 v51, v53, v51, s[8:9]
	ds_bpermute_b32 v55, v45, v51
	v_cndmask_b32_e64 v50, v53, v54, s[8:9]
	v_cndmask_b32_e64 v19, v53, v19, s[8:9]
	s_waitcnt lgkmcnt(0)
	v_max_i16_e32 v54, v55, v50
	v_cndmask_b32_e32 v51, v54, v51, vcc
	ds_bpermute_b32 v51, v48, v51
	v_cndmask_b32_e32 v50, v54, v50, vcc
	v_cndmask_b32_e32 v19, v54, v19, vcc
	v_cmp_gt_u32_e32 vcc, v49, v18
	s_waitcnt lgkmcnt(0)
	v_max_i16_e32 v50, v51, v50
	v_cndmask_b32_e32 v18, v50, v19, vcc
	v_max_i16_e32 v18, v18, v47
.LBB4018_70:                            ; =>This Loop Header: Depth=1
                                        ;     Child Loop BB4018_73 Depth 2
                                        ;       Child Loop BB4018_74 Depth 3
	v_cmp_ne_u16_sdwa s[6:7], v38, v35 src0_sel:BYTE_0 src1_sel:DWORD
	v_cndmask_b32_e64 v19, 0, 1, s[6:7]
	;;#ASMSTART
	;;#ASMEND
	v_cmp_ne_u32_e32 vcc, 0, v19
	s_cmp_lg_u64 vcc, exec
	v_mov_b32_e32 v47, v18
	s_cbranch_scc1 .LBB4018_77
; %bb.71:                               ;   in Loop: Header=BB4018_70 Depth=1
	v_lshlrev_b64 v[18:19], 2, v[14:15]
	v_mov_b32_e32 v38, s25
	v_add_co_u32_e32 v18, vcc, s24, v18
	v_addc_co_u32_e32 v19, vcc, v38, v19, vcc
	global_load_dword v50, v[18:19], off glc
	s_waitcnt vmcnt(0)
	v_lshrrev_b32_e32 v38, 16, v50
	v_cmp_eq_u16_sdwa s[8:9], v38, v15 src0_sel:BYTE_0 src1_sel:DWORD
	s_and_saveexec_b64 s[6:7], s[8:9]
	s_cbranch_execz .LBB4018_69
; %bb.72:                               ;   in Loop: Header=BB4018_70 Depth=1
	s_mov_b32 s10, 1
	s_mov_b64 s[8:9], 0
.LBB4018_73:                            ;   Parent Loop BB4018_70 Depth=1
                                        ; =>  This Loop Header: Depth=2
                                        ;       Child Loop BB4018_74 Depth 3
	s_max_u32 s11, s10, 1
.LBB4018_74:                            ;   Parent Loop BB4018_70 Depth=1
                                        ;     Parent Loop BB4018_73 Depth=2
                                        ; =>    This Inner Loop Header: Depth=3
	s_add_i32 s11, s11, -1
	s_cmp_eq_u32 s11, 0
	s_sleep 1
	s_cbranch_scc0 .LBB4018_74
; %bb.75:                               ;   in Loop: Header=BB4018_73 Depth=2
	global_load_dword v50, v[18:19], off glc
	s_cmp_lt_u32 s10, 32
	s_cselect_b64 s[12:13], -1, 0
	s_cmp_lg_u64 s[12:13], 0
	s_addc_u32 s10, s10, 0
	s_waitcnt vmcnt(0)
	v_lshrrev_b32_e32 v38, 16, v50
	v_cmp_ne_u16_sdwa s[12:13], v38, v15 src0_sel:BYTE_0 src1_sel:DWORD
	s_or_b64 s[8:9], s[12:13], s[8:9]
	s_andn2_b64 exec, exec, s[8:9]
	s_cbranch_execnz .LBB4018_73
; %bb.76:                               ;   in Loop: Header=BB4018_70 Depth=1
	s_or_b64 exec, exec, s[8:9]
	s_branch .LBB4018_69
.LBB4018_77:                            ;   in Loop: Header=BB4018_70 Depth=1
                                        ; implicit-def: $vgpr18
                                        ; implicit-def: $vgpr38
	s_cbranch_execz .LBB4018_70
; %bb.78:
	s_and_saveexec_b64 s[6:7], s[4:5]
	s_cbranch_execz .LBB4018_80
; %bb.79:
	s_add_i32 s4, s30, 64
	s_mov_b32 s5, 0
	s_lshl_b64 s[4:5], s[4:5], 2
	v_max_i16_e32 v14, v47, v34
	s_add_u32 s4, s24, s4
	v_or_b32_e32 v14, 0x20000, v14
	s_addc_u32 s5, s25, s5
	v_mov_b32_e32 v15, 0
	global_store_dword v15, v14, s[4:5]
.LBB4018_80:
	s_or_b64 exec, exec, s[6:7]
	s_and_b64 exec, exec, s[2:3]
	s_cbranch_execz .LBB4018_82
; %bb.81:
	v_mov_b32_e32 v14, 0
	ds_write_b16 v14, v47
.LBB4018_82:
	s_or_b64 exec, exec, s[26:27]
	v_mov_b32_e32 v14, 0
	s_waitcnt lgkmcnt(0)
	; wave barrier
	s_waitcnt lgkmcnt(0)
	ds_read_u16 v14, v14
	v_max_i16_e32 v15, v33, v10
	v_cndmask_b32_e64 v15, v15, v10, s[2:3]
	s_waitcnt lgkmcnt(0)
	v_max_i16_e32 v14, v14, v15
	v_max_i16_sdwa v15, v14, v10 dst_sel:DWORD dst_unused:UNUSED_PAD src0_sel:DWORD src1_sel:WORD_1
	v_max_i16_e32 v16, v15, v11
	v_max_i16_e32 v17, v16, v31
	;; [unrolled: 1-line block ×22, first 2 shown]
	s_branch .LBB4018_93
.LBB4018_83:
                                        ; implicit-def: $vgpr14
                                        ; implicit-def: $vgpr15
                                        ; implicit-def: $vgpr16
                                        ; implicit-def: $vgpr17
                                        ; implicit-def: $vgpr18
                                        ; implicit-def: $vgpr19
                                        ; implicit-def: $vgpr34
                                        ; implicit-def: $vgpr36
                                        ; implicit-def: $vgpr33
                                        ; implicit-def: $vgpr35
                                        ; implicit-def: $vgpr37
                                        ; implicit-def: $vgpr38
                                        ; implicit-def: $vgpr39
                                        ; implicit-def: $vgpr40
                                        ; implicit-def: $vgpr42
                                        ; implicit-def: $vgpr44
                                        ; implicit-def: $vgpr41
                                        ; implicit-def: $vgpr43
                                        ; implicit-def: $vgpr45
                                        ; implicit-def: $vgpr46
                                        ; implicit-def: $vgpr47
                                        ; implicit-def: $vgpr48
                                        ; implicit-def: $vgpr49
                                        ; implicit-def: $vgpr50
	s_cbranch_execz .LBB4018_93
; %bb.84:
	s_cmp_lg_u64 s[20:21], 0
	s_cselect_b64 s[4:5], -1, 0
	s_and_b64 s[4:5], s[2:3], s[4:5]
	v_mov_b32_e32 v14, v10
	s_and_saveexec_b64 s[2:3], s[4:5]
	s_cbranch_execz .LBB4018_86
; %bb.85:
	v_mov_b32_e32 v14, 0
	global_load_ushort v14, v14, s[16:17]
	s_waitcnt vmcnt(0)
	v_max_i16_e32 v14, v14, v10
.LBB4018_86:
	s_or_b64 exec, exec, s[2:3]
	v_max_i16_sdwa v15, v14, v10 dst_sel:DWORD dst_unused:UNUSED_PAD src0_sel:DWORD src1_sel:WORD_1
	v_max_i16_e32 v16, v15, v11
	v_max_i16_e32 v17, v16, v31
	v_max_i16_e32 v18, v17, v12
	v_max_i16_e32 v19, v18, v30
	v_max_i16_e32 v34, v19, v13
	v_max_i16_e32 v36, v34, v29
	v_max_i16_e32 v33, v36, v6
	v_max_i16_e32 v35, v33, v28
	v_max_i16_e32 v37, v35, v7
	v_max_i16_e32 v38, v37, v27
	v_max_i16_e32 v39, v38, v8
	v_max_i16_e32 v40, v39, v26
	v_max_i16_e32 v42, v40, v9
	v_max_i16_e32 v44, v42, v25
	v_max_i16_e32 v41, v44, v2
	v_max_i16_e32 v43, v41, v24
	v_max_i16_e32 v45, v43, v3
	v_max_i16_e32 v46, v45, v23
	v_max_i16_e32 v47, v46, v4
	v_max_i16_e32 v48, v47, v22
	v_max_i16_e32 v49, v48, v5
	v_max_i16_e32 v50, v49, v1
	v_mbcnt_hi_u32_b32 v32, -1, v32
	v_and_b32_e32 v51, 15, v32
	v_mov_b32_dpp v52, v50 row_shr:1 row_mask:0xf bank_mask:0xf
	v_max_i16_e32 v52, v52, v50
	v_cmp_eq_u32_e32 vcc, 0, v51
	v_cndmask_b32_e32 v52, v52, v50, vcc
	v_and_b32_e32 v53, 0xffff, v52
	v_cmp_lt_u32_e32 vcc, 1, v51
	s_nop 0
	v_mov_b32_dpp v53, v53 row_shr:2 row_mask:0xf bank_mask:0xf
	v_max_i16_e32 v53, v53, v52
	v_cndmask_b32_e32 v52, v52, v53, vcc
	v_and_b32_e32 v53, 0xffff, v52
	v_cmp_lt_u32_e32 vcc, 3, v51
	s_nop 0
	v_mov_b32_dpp v53, v53 row_shr:4 row_mask:0xf bank_mask:0xf
	v_max_i16_e32 v53, v53, v52
	;; [unrolled: 6-line block ×3, first 2 shown]
	v_cndmask_b32_e32 v51, v52, v53, vcc
	v_and_b32_e32 v52, 0xffff, v51
	v_and_b32_e32 v53, 16, v32
	v_cmp_eq_u32_e32 vcc, 0, v53
	v_mov_b32_dpp v52, v52 row_bcast:15 row_mask:0xf bank_mask:0xf
	v_max_i16_e32 v52, v52, v51
	v_cndmask_b32_e32 v51, v52, v51, vcc
	v_and_b32_e32 v52, 0xffff, v51
	v_cmp_lt_u32_e32 vcc, 31, v32
	s_nop 0
	v_mov_b32_dpp v52, v52 row_bcast:31 row_mask:0xf bank_mask:0xf
	v_max_i16_e32 v52, v52, v51
	v_cndmask_b32_e32 v51, v51, v52, vcc
	v_cmp_eq_u32_e32 vcc, 63, v0
	s_and_saveexec_b64 s[2:3], vcc
	s_cbranch_execz .LBB4018_88
; %bb.87:
	v_mov_b32_e32 v52, 0
	ds_write_b16 v52, v51
.LBB4018_88:
	s_or_b64 exec, exec, s[2:3]
	v_add_u32_e32 v52, -1, v32
	v_and_b32_e32 v53, 64, v32
	v_cmp_lt_i32_e64 s[2:3], v52, v53
	v_cndmask_b32_e64 v32, v52, v32, s[2:3]
	v_and_b32_e32 v51, 0xffff, v51
	v_lshlrev_b32_e32 v32, 2, v32
	ds_bpermute_b32 v32, v32, v51
	s_waitcnt lgkmcnt(0)
	; wave barrier
	s_waitcnt lgkmcnt(0)
	s_and_saveexec_b64 s[2:3], s[0:1]
	s_cbranch_execz .LBB4018_90
; %bb.89:
	v_max_i16_e32 v14, v32, v14
	v_max_i16_sdwa v15, v14, v10 dst_sel:DWORD dst_unused:UNUSED_PAD src0_sel:DWORD src1_sel:WORD_1
	v_max_i16_e32 v16, v15, v11
	v_max_i16_e32 v17, v16, v31
	;; [unrolled: 1-line block ×22, first 2 shown]
	;;#ASMSTART
	;;#ASMEND
.LBB4018_90:
	s_or_b64 exec, exec, s[2:3]
	s_and_saveexec_b64 s[0:1], vcc
	s_cbranch_execz .LBB4018_92
; %bb.91:
	s_mov_b32 s2, 0x20000
	v_mov_b32_e32 v1, 0
	v_or_b32_sdwa v2, v50, s2 dst_sel:DWORD dst_unused:UNUSED_PAD src0_sel:WORD_0 src1_sel:DWORD
	global_store_dword v1, v2, s[24:25] offset:256
.LBB4018_92:
	s_or_b64 exec, exec, s[0:1]
.LBB4018_93:
	s_mov_b32 s0, 0x5040100
	v_perm_b32 v5, v36, v34, s0
	v_perm_b32 v4, v19, v18, s0
	;; [unrolled: 1-line block ×4, first 2 shown]
	s_waitcnt lgkmcnt(0)
	; wave barrier
	ds_write_b128 v21, v[2:5]
	v_perm_b32 v5, v44, v42, s0
	v_perm_b32 v4, v40, v39, s0
	;; [unrolled: 1-line block ×4, first 2 shown]
	ds_write_b128 v21, v[2:5] offset:16
	v_perm_b32 v5, v50, v49, s0
	v_perm_b32 v4, v48, v47, s0
	;; [unrolled: 1-line block ×4, first 2 shown]
	s_mov_b64 s[0:1], -1
	s_and_b64 vcc, exec, s[14:15]
	ds_write_b128 v21, v[2:5] offset:32
	s_waitcnt lgkmcnt(0)
	s_cbranch_vccz .LBB4018_95
; %bb.94:
	; wave barrier
	s_mov_b64 s[0:1], 0
.LBB4018_95:
	s_andn2_b64 vcc, exec, s[0:1]
	s_cbranch_vccnz .LBB4018_104
; %bb.96:
	v_cmp_lt_u64_e64 s[0:1], s[22:23], 2
	s_and_b64 vcc, exec, s[0:1]
	; wave barrier
	s_cbranch_vccnz .LBB4018_104
; %bb.97:
	s_add_u32 s0, s28, -1
	s_addc_u32 s1, s29, -1
	s_add_u32 s2, 0, 0xaaaa0000
	s_addc_u32 s3, 0, 42
	s_add_i32 s3, s3, 0xaaaaa80
	s_mul_hi_u32 s7, s2, 0xffffffe8
	s_sub_i32 s7, s7, s2
	s_mul_i32 s8, s3, 0xffffffe8
	s_mul_i32 s4, s2, 0xffffffe8
	s_add_i32 s7, s7, s8
	s_mul_hi_u32 s5, s3, s4
	s_mul_i32 s6, s3, s4
	s_mul_i32 s9, s2, s7
	s_mul_hi_u32 s4, s2, s4
	s_mul_hi_u32 s8, s2, s7
	s_add_u32 s4, s4, s9
	s_addc_u32 s8, 0, s8
	s_add_u32 s4, s4, s6
	s_mul_hi_u32 s9, s3, s7
	s_addc_u32 s4, s8, s5
	s_addc_u32 s5, s9, 0
	s_mul_i32 s6, s3, s7
	s_add_u32 s4, s4, s6
	v_mov_b32_e32 v2, s4
	s_addc_u32 s5, 0, s5
	v_add_co_u32_e32 v2, vcc, s2, v2
	s_cmp_lg_u64 vcc, 0
	s_addc_u32 s2, s3, s5
	v_readfirstlane_b32 s5, v2
	s_mul_i32 s4, s0, s2
	s_mul_hi_u32 s6, s0, s5
	s_mul_hi_u32 s3, s0, s2
	s_add_u32 s4, s6, s4
	s_addc_u32 s3, 0, s3
	s_mul_hi_u32 s7, s1, s5
	s_mul_i32 s5, s1, s5
	s_add_u32 s4, s4, s5
	s_mul_hi_u32 s6, s1, s2
	s_addc_u32 s3, s3, s7
	s_addc_u32 s4, s6, 0
	s_mul_i32 s2, s1, s2
	s_add_u32 s2, s3, s2
	s_addc_u32 s3, 0, s4
	s_add_u32 s4, s2, 1
	s_addc_u32 s5, s3, 0
	s_add_u32 s6, s2, 2
	s_mul_i32 s8, s3, 24
	s_mul_hi_u32 s9, s2, 24
	s_addc_u32 s7, s3, 0
	s_add_i32 s9, s9, s8
	s_mul_i32 s8, s2, 24
	v_mov_b32_e32 v2, s8
	v_sub_co_u32_e32 v2, vcc, s0, v2
	s_cmp_lg_u64 vcc, 0
	s_subb_u32 s8, s1, s9
	v_subrev_co_u32_e32 v3, vcc, 24, v2
	s_cmp_lg_u64 vcc, 0
	s_subb_u32 s9, s8, 0
	v_readfirstlane_b32 s10, v3
	s_cmp_gt_u32 s10, 23
	s_cselect_b32 s10, -1, 0
	s_cmp_eq_u32 s9, 0
	s_cselect_b32 s9, s10, -1
	s_cmp_lg_u32 s9, 0
	s_cselect_b32 s4, s6, s4
	v_readfirstlane_b32 s6, v2
	s_cselect_b32 s5, s7, s5
	s_cmp_gt_u32 s6, 23
	s_cselect_b32 s6, -1, 0
	s_cmp_eq_u32 s8, 0
	s_cselect_b32 s6, s6, -1
	s_cmp_lg_u32 s6, 0
	v_mov_b32_e32 v1, 0
	s_cselect_b32 s3, s5, s3
	s_cselect_b32 s2, s4, s2
	v_cmp_eq_u64_e32 vcc, s[2:3], v[0:1]
	s_and_saveexec_b64 s[2:3], vcc
	s_cbranch_execz .LBB4018_104
; %bb.98:
	s_movk_i32 s2, 0xffd2
	v_mad_i32_i24 v2, v0, s2, v21
	v_mul_hi_u32_u24_e32 v1, 24, v0
	v_mov_b32_e32 v3, s1
	v_sub_co_u32_e32 v0, vcc, s0, v20
	v_subb_co_u32_e32 v1, vcc, v3, v1, vcc
	v_cmp_lt_i64_e32 vcc, 11, v[0:1]
	s_mov_b64 s[0:1], 0
	s_mov_b64 s[8:9], 0
	s_mov_b64 s[6:7], 0
	s_mov_b64 s[4:5], 0
                                        ; implicit-def: $vgpr3
                                        ; implicit-def: $vgpr4
                                        ; implicit-def: $vgpr5
	s_and_saveexec_b64 s[2:3], vcc
	s_xor_b64 s[2:3], exec, s[2:3]
	s_cbranch_execnz .LBB4018_105
; %bb.99:
	s_andn2_saveexec_b64 s[2:3], s[2:3]
	s_cbranch_execnz .LBB4018_150
.LBB4018_100:
	s_or_b64 exec, exec, s[2:3]
	s_and_saveexec_b64 s[2:3], s[8:9]
	s_cbranch_execnz .LBB4018_167
.LBB4018_101:
	s_or_b64 exec, exec, s[2:3]
	s_and_saveexec_b64 s[2:3], s[6:7]
	s_cbranch_execnz .LBB4018_168
.LBB4018_102:
	s_or_b64 exec, exec, s[2:3]
	s_and_saveexec_b64 s[2:3], s[4:5]
	s_xor_b64 s[2:3], exec, s[2:3]
	s_cbranch_execnz .LBB4018_169
.LBB4018_103:
	s_or_b64 exec, exec, s[2:3]
	s_and_b64 exec, exec, s[0:1]
	s_cbranch_execnz .LBB4018_170
.LBB4018_104:
	s_endpgm
.LBB4018_105:
	v_cmp_lt_i64_e32 vcc, 17, v[0:1]
                                        ; implicit-def: $vgpr3
                                        ; implicit-def: $vgpr4
                                        ; implicit-def: $vgpr5
	s_and_saveexec_b64 s[10:11], vcc
	s_xor_b64 s[10:11], exec, s[10:11]
	s_cbranch_execz .LBB4018_127
; %bb.106:
	v_cmp_lt_i64_e32 vcc, 20, v[0:1]
                                        ; implicit-def: $vgpr3
                                        ; implicit-def: $vgpr4
	s_and_saveexec_b64 s[12:13], vcc
	s_xor_b64 s[12:13], exec, s[12:13]
	s_cbranch_execz .LBB4018_116
; %bb.107:
	v_cmp_lt_i64_e32 vcc, 21, v[0:1]
	s_mov_b64 s[14:15], 0
                                        ; implicit-def: $vgpr3
	s_and_saveexec_b64 s[4:5], vcc
	s_xor_b64 s[4:5], exec, s[4:5]
	s_cbranch_execz .LBB4018_113
; %bb.108:
	v_cmp_lt_i64_e32 vcc, 22, v[0:1]
	s_and_saveexec_b64 s[14:15], vcc
	s_xor_b64 s[14:15], exec, s[14:15]
	s_cbranch_execz .LBB4018_110
; %bb.109:
	ds_read_u16 v3, v2 offset:2944
	v_mov_b32_e32 v4, 0
	s_waitcnt lgkmcnt(0)
	global_store_short v4, v3, s[18:19]
.LBB4018_110:
	s_or_saveexec_b64 s[14:15], s[14:15]
	s_mov_b64 s[16:17], 0
                                        ; implicit-def: $vgpr3
	s_xor_b64 exec, exec, s[14:15]
	s_cbranch_execz .LBB4018_112
; %bb.111:
	ds_read_u16 v3, v2 offset:2816
	s_mov_b64 s[16:17], exec
.LBB4018_112:
	s_or_b64 exec, exec, s[14:15]
	s_and_b64 s[14:15], s[16:17], exec
.LBB4018_113:
	s_or_saveexec_b64 s[4:5], s[4:5]
                                        ; implicit-def: $vgpr4
	s_xor_b64 exec, exec, s[4:5]
	s_cbranch_execz .LBB4018_115
; %bb.114:
	ds_read_u16 v4, v2 offset:2688
	s_mov_b64 s[6:7], exec
                                        ; implicit-def: $vgpr3
.LBB4018_115:
	s_or_b64 exec, exec, s[4:5]
	s_and_b64 s[4:5], s[14:15], exec
	s_and_b64 s[6:7], s[6:7], exec
.LBB4018_116:
	s_or_saveexec_b64 s[12:13], s[12:13]
                                        ; implicit-def: $vgpr5
	s_xor_b64 exec, exec, s[12:13]
	s_cbranch_execz .LBB4018_126
; %bb.117:
	v_cmp_lt_i64_e32 vcc, 18, v[0:1]
	s_mov_b64 s[14:15], 0
                                        ; implicit-def: $vgpr5
	s_and_saveexec_b64 s[8:9], vcc
	s_xor_b64 s[8:9], exec, s[8:9]
	s_cbranch_execz .LBB4018_123
; %bb.118:
	v_cmp_lt_i64_e32 vcc, 19, v[0:1]
                                        ; implicit-def: $vgpr5
	s_and_saveexec_b64 s[16:17], vcc
	s_xor_b64 s[16:17], exec, s[16:17]
	s_cbranch_execz .LBB4018_120
; %bb.119:
	ds_read_u16 v5, v2 offset:2560
	s_mov_b64 s[14:15], exec
.LBB4018_120:
	s_andn2_saveexec_b64 s[16:17], s[16:17]
	s_cbranch_execz .LBB4018_122
; %bb.121:
	s_waitcnt lgkmcnt(0)
	ds_read_u16 v3, v2 offset:2432
	v_mov_b32_e32 v4, 0
                                        ; implicit-def: $vgpr5
	s_waitcnt lgkmcnt(0)
	global_store_short v4, v3, s[18:19]
.LBB4018_122:
	s_or_b64 exec, exec, s[16:17]
	s_and_b64 s[14:15], s[14:15], exec
.LBB4018_123:
	s_andn2_saveexec_b64 s[8:9], s[8:9]
	s_cbranch_execz .LBB4018_125
; %bb.124:
	s_waitcnt lgkmcnt(0)
	ds_read_u16 v3, v2 offset:2304
	v_mov_b32_e32 v4, 0
                                        ; implicit-def: $vgpr5
	s_waitcnt lgkmcnt(0)
	global_store_short v4, v3, s[18:19]
.LBB4018_125:
	s_or_b64 exec, exec, s[8:9]
	s_and_b64 s[8:9], s[14:15], exec
                                        ; implicit-def: $vgpr3
                                        ; implicit-def: $vgpr4
.LBB4018_126:
	s_or_b64 exec, exec, s[12:13]
	s_and_b64 s[4:5], s[4:5], exec
	s_and_b64 s[6:7], s[6:7], exec
	;; [unrolled: 1-line block ×3, first 2 shown]
.LBB4018_127:
	s_andn2_saveexec_b64 s[10:11], s[10:11]
	s_cbranch_execz .LBB4018_149
; %bb.128:
	v_cmp_lt_i64_e32 vcc, 14, v[0:1]
	s_mov_b64 s[12:13], s[4:5]
                                        ; implicit-def: $vgpr3
	s_and_saveexec_b64 s[14:15], vcc
	s_xor_b64 s[14:15], exec, s[14:15]
	s_cbranch_execz .LBB4018_138
; %bb.129:
	v_cmp_lt_i64_e32 vcc, 15, v[0:1]
	s_and_saveexec_b64 s[12:13], vcc
	s_xor_b64 s[12:13], exec, s[12:13]
	s_cbranch_execz .LBB4018_135
; %bb.130:
	v_cmp_lt_i64_e32 vcc, 16, v[0:1]
	s_and_saveexec_b64 s[16:17], vcc
	s_xor_b64 s[16:17], exec, s[16:17]
	s_cbranch_execz .LBB4018_132
; %bb.131:
	s_waitcnt lgkmcnt(0)
	ds_read_u16 v3, v2 offset:2176
	v_mov_b32_e32 v4, 0
	s_waitcnt lgkmcnt(0)
	global_store_short v4, v3, s[18:19]
.LBB4018_132:
	s_andn2_saveexec_b64 s[16:17], s[16:17]
	s_cbranch_execz .LBB4018_134
; %bb.133:
	s_waitcnt lgkmcnt(0)
	ds_read_u16 v3, v2 offset:2048
	v_mov_b32_e32 v4, 0
	s_waitcnt lgkmcnt(0)
	global_store_short v4, v3, s[18:19]
.LBB4018_134:
	s_or_b64 exec, exec, s[16:17]
.LBB4018_135:
	s_or_saveexec_b64 s[12:13], s[12:13]
	s_mov_b64 s[16:17], s[4:5]
                                        ; implicit-def: $vgpr3
	s_xor_b64 exec, exec, s[12:13]
	s_cbranch_execz .LBB4018_137
; %bb.136:
	s_waitcnt lgkmcnt(0)
	ds_read_u16 v3, v2 offset:1920
	s_or_b64 s[16:17], s[4:5], exec
.LBB4018_137:
	s_or_b64 exec, exec, s[12:13]
	s_andn2_b64 s[12:13], s[4:5], exec
	s_and_b64 s[16:17], s[16:17], exec
	s_or_b64 s[12:13], s[12:13], s[16:17]
.LBB4018_138:
	s_or_saveexec_b64 s[14:15], s[14:15]
	s_mov_b64 s[16:17], s[6:7]
                                        ; implicit-def: $vgpr4
	s_xor_b64 exec, exec, s[14:15]
	s_cbranch_execz .LBB4018_148
; %bb.139:
	v_cmp_lt_i64_e32 vcc, 12, v[0:1]
	s_mov_b64 s[20:21], s[6:7]
	s_mov_b64 s[22:23], s[12:13]
                                        ; implicit-def: $vgpr3
                                        ; implicit-def: $vgpr4
	s_and_saveexec_b64 s[16:17], vcc
	s_xor_b64 s[16:17], exec, s[16:17]
	s_cbranch_execz .LBB4018_145
; %bb.140:
	v_cmp_lt_i64_e32 vcc, 13, v[0:1]
	s_mov_b64 s[20:21], s[12:13]
                                        ; implicit-def: $vgpr3
	s_and_saveexec_b64 s[22:23], vcc
	s_xor_b64 s[22:23], exec, s[22:23]
	s_cbranch_execz .LBB4018_142
; %bb.141:
	s_waitcnt lgkmcnt(0)
	ds_read_u16 v3, v2 offset:1792
	s_or_b64 s[20:21], s[12:13], exec
.LBB4018_142:
	s_or_saveexec_b64 s[22:23], s[22:23]
	s_mov_b64 s[24:25], s[6:7]
                                        ; implicit-def: $vgpr4
	s_xor_b64 exec, exec, s[22:23]
	s_cbranch_execz .LBB4018_144
; %bb.143:
	s_waitcnt lgkmcnt(0)
	ds_read_u16 v4, v2 offset:1664
	s_or_b64 s[24:25], s[6:7], exec
                                        ; implicit-def: $vgpr3
.LBB4018_144:
	s_or_b64 exec, exec, s[22:23]
	s_andn2_b64 s[22:23], s[12:13], exec
	s_and_b64 s[20:21], s[20:21], exec
	s_or_b64 s[22:23], s[22:23], s[20:21]
	s_andn2_b64 s[20:21], s[6:7], exec
	s_and_b64 s[24:25], s[24:25], exec
	s_or_b64 s[20:21], s[20:21], s[24:25]
.LBB4018_145:
	s_andn2_saveexec_b64 s[16:17], s[16:17]
	s_cbranch_execz .LBB4018_147
; %bb.146:
	s_waitcnt lgkmcnt(0)
	ds_read_u16 v4, v2 offset:1536
	s_or_b64 s[20:21], s[20:21], exec
                                        ; implicit-def: $vgpr3
.LBB4018_147:
	s_or_b64 exec, exec, s[16:17]
	s_andn2_b64 s[12:13], s[12:13], exec
	s_and_b64 s[16:17], s[22:23], exec
	s_or_b64 s[12:13], s[12:13], s[16:17]
	s_andn2_b64 s[16:17], s[6:7], exec
	s_and_b64 s[20:21], s[20:21], exec
	s_or_b64 s[16:17], s[16:17], s[20:21]
.LBB4018_148:
	s_or_b64 exec, exec, s[14:15]
	s_andn2_b64 s[4:5], s[4:5], exec
	s_and_b64 s[12:13], s[12:13], exec
	s_or_b64 s[4:5], s[4:5], s[12:13]
	s_andn2_b64 s[6:7], s[6:7], exec
	s_and_b64 s[12:13], s[16:17], exec
	s_or_b64 s[6:7], s[6:7], s[12:13]
                                        ; implicit-def: $vgpr5
.LBB4018_149:
	s_or_b64 exec, exec, s[10:11]
	s_and_b64 s[4:5], s[4:5], exec
	s_and_b64 s[6:7], s[6:7], exec
	;; [unrolled: 1-line block ×3, first 2 shown]
	s_andn2_saveexec_b64 s[2:3], s[2:3]
	s_cbranch_execz .LBB4018_100
.LBB4018_150:
	v_cmp_lt_i64_e32 vcc, 5, v[0:1]
	s_mov_b64 s[12:13], -1
	s_mov_b64 s[10:11], s[8:9]
	s_mov_b64 s[14:15], s[6:7]
	;; [unrolled: 1-line block ×3, first 2 shown]
                                        ; implicit-def: $vgpr3
                                        ; implicit-def: $vgpr4
                                        ; implicit-def: $vgpr5
	s_and_saveexec_b64 s[0:1], vcc
	s_cbranch_execz .LBB4018_166
; %bb.151:
	v_cmp_lt_i64_e32 vcc, 8, v[0:1]
	s_mov_b64 s[10:11], s[8:9]
                                        ; implicit-def: $vgpr5
	s_and_saveexec_b64 s[12:13], vcc
	s_xor_b64 s[12:13], exec, s[12:13]
	s_cbranch_execz .LBB4018_161
; %bb.152:
	v_cmp_lt_i64_e32 vcc, 9, v[0:1]
                                        ; implicit-def: $vgpr5
	s_and_saveexec_b64 s[10:11], vcc
	s_xor_b64 s[10:11], exec, s[10:11]
	s_cbranch_execz .LBB4018_158
; %bb.153:
	v_cmp_lt_i64_e32 vcc, 10, v[0:1]
                                        ; implicit-def: $vgpr5
	s_and_saveexec_b64 s[14:15], vcc
	s_xor_b64 s[14:15], exec, s[14:15]
	s_cbranch_execz .LBB4018_155
; %bb.154:
	s_waitcnt lgkmcnt(0)
	ds_read_u16 v5, v2 offset:1408
.LBB4018_155:
	s_andn2_saveexec_b64 s[14:15], s[14:15]
	s_cbranch_execz .LBB4018_157
; %bb.156:
	s_waitcnt lgkmcnt(0)
	ds_read_u16 v5, v2 offset:1280
.LBB4018_157:
	s_or_b64 exec, exec, s[14:15]
.LBB4018_158:
	s_andn2_saveexec_b64 s[10:11], s[10:11]
	s_cbranch_execz .LBB4018_160
; %bb.159:
	s_waitcnt lgkmcnt(0)
	ds_read_u16 v5, v2 offset:1152
.LBB4018_160:
	s_or_b64 exec, exec, s[10:11]
	s_or_b64 s[10:11], s[8:9], exec
.LBB4018_161:
	s_or_saveexec_b64 s[12:13], s[12:13]
	s_mov_b64 s[14:15], s[6:7]
	s_mov_b64 s[20:21], s[4:5]
                                        ; implicit-def: $vgpr3
                                        ; implicit-def: $vgpr4
	s_xor_b64 exec, exec, s[12:13]
	s_cbranch_execz .LBB4018_165
; %bb.162:
	s_waitcnt lgkmcnt(0)
	ds_read_u16 v3, v2 offset:768
	v_cmp_lt_i64_e32 vcc, 6, v[0:1]
	s_mov_b64 s[20:21], -1
	s_mov_b64 s[16:17], s[10:11]
	s_mov_b64 s[14:15], s[6:7]
                                        ; implicit-def: $vgpr4
                                        ; implicit-def: $vgpr5
	s_and_saveexec_b64 s[22:23], vcc
	s_cbranch_execz .LBB4018_164
; %bb.163:
	ds_read_u16 v4, v2 offset:896
	ds_read_u16 v5, v2 offset:1024
	v_cmp_lt_i64_e32 vcc, 7, v[0:1]
	s_andn2_b64 s[16:17], s[10:11], exec
	s_and_b64 s[24:25], vcc, exec
	s_xor_b64 s[20:21], exec, -1
	s_or_b64 s[14:15], s[6:7], exec
	s_or_b64 s[16:17], s[16:17], s[24:25]
                                        ; implicit-def: $vgpr3
.LBB4018_164:
	s_or_b64 exec, exec, s[22:23]
	s_andn2_b64 s[22:23], s[4:5], exec
	s_and_b64 s[20:21], s[20:21], exec
	s_or_b64 s[20:21], s[22:23], s[20:21]
	s_andn2_b64 s[22:23], s[6:7], exec
	s_and_b64 s[14:15], s[14:15], exec
	s_andn2_b64 s[10:11], s[10:11], exec
	s_and_b64 s[16:17], s[16:17], exec
	s_or_b64 s[14:15], s[22:23], s[14:15]
	s_or_b64 s[10:11], s[10:11], s[16:17]
.LBB4018_165:
	s_or_b64 exec, exec, s[12:13]
	s_andn2_b64 s[16:17], s[4:5], exec
	s_and_b64 s[20:21], s[20:21], exec
	s_or_b64 s[16:17], s[16:17], s[20:21]
	s_andn2_b64 s[20:21], s[6:7], exec
	s_and_b64 s[14:15], s[14:15], exec
	s_or_b64 s[14:15], s[20:21], s[14:15]
	s_andn2_b64 s[20:21], s[8:9], exec
	s_and_b64 s[10:11], s[10:11], exec
	s_xor_b64 s[12:13], exec, -1
	s_or_b64 s[10:11], s[20:21], s[10:11]
.LBB4018_166:
	s_or_b64 exec, exec, s[0:1]
	s_and_b64 s[0:1], s[12:13], exec
	s_andn2_b64 s[4:5], s[4:5], exec
	s_and_b64 s[12:13], s[16:17], exec
	s_or_b64 s[4:5], s[4:5], s[12:13]
	s_andn2_b64 s[6:7], s[6:7], exec
	s_and_b64 s[12:13], s[14:15], exec
	s_andn2_b64 s[8:9], s[8:9], exec
	s_and_b64 s[10:11], s[10:11], exec
	s_or_b64 s[6:7], s[6:7], s[12:13]
	s_or_b64 s[8:9], s[8:9], s[10:11]
	s_or_b64 exec, exec, s[2:3]
	s_and_saveexec_b64 s[2:3], s[8:9]
	s_cbranch_execz .LBB4018_101
.LBB4018_167:
	s_waitcnt lgkmcnt(0)
	v_mov_b32_e32 v3, 0
	s_andn2_b64 s[6:7], s[6:7], exec
	global_store_short v3, v5, s[18:19]
                                        ; implicit-def: $vgpr3
                                        ; implicit-def: $vgpr4
	s_or_b64 exec, exec, s[2:3]
	s_and_saveexec_b64 s[2:3], s[6:7]
	s_cbranch_execz .LBB4018_102
.LBB4018_168:
	s_waitcnt lgkmcnt(0)
	v_mov_b32_e32 v3, 0
	global_store_short v3, v4, s[18:19]
                                        ; implicit-def: $vgpr3
	s_or_b64 exec, exec, s[2:3]
	s_and_saveexec_b64 s[2:3], s[4:5]
	s_xor_b64 s[2:3], exec, s[2:3]
	s_cbranch_execz .LBB4018_103
.LBB4018_169:
	s_waitcnt lgkmcnt(0)
	v_mov_b32_e32 v4, 0
	global_store_short v4, v3, s[18:19]
	s_or_b64 exec, exec, s[2:3]
	s_and_b64 exec, exec, s[0:1]
	s_cbranch_execz .LBB4018_104
.LBB4018_170:
	v_cmp_lt_i64_e32 vcc, 2, v[0:1]
	s_and_saveexec_b64 s[0:1], vcc
	s_xor_b64 s[0:1], exec, s[0:1]
	s_cbranch_execz .LBB4018_180
; %bb.171:
	v_cmp_lt_i64_e32 vcc, 3, v[0:1]
	s_and_saveexec_b64 s[2:3], vcc
	s_xor_b64 s[2:3], exec, s[2:3]
	s_cbranch_execz .LBB4018_177
; %bb.172:
	;; [unrolled: 5-line block ×3, first 2 shown]
	ds_read_u16 v0, v2 offset:640
	v_mov_b32_e32 v1, 0
                                        ; implicit-def: $vgpr2
	s_waitcnt lgkmcnt(0)
	global_store_short v1, v0, s[18:19]
.LBB4018_174:
	s_andn2_saveexec_b64 s[4:5], s[4:5]
	s_cbranch_execz .LBB4018_176
; %bb.175:
	ds_read_u16 v0, v2 offset:512
	v_mov_b32_e32 v1, 0
	s_waitcnt lgkmcnt(0)
	global_store_short v1, v0, s[18:19]
.LBB4018_176:
	s_or_b64 exec, exec, s[4:5]
                                        ; implicit-def: $vgpr2
.LBB4018_177:
	s_andn2_saveexec_b64 s[2:3], s[2:3]
	s_cbranch_execz .LBB4018_179
; %bb.178:
	ds_read_u16 v0, v2 offset:384
	v_mov_b32_e32 v1, 0
	s_waitcnt lgkmcnt(0)
	global_store_short v1, v0, s[18:19]
.LBB4018_179:
	s_or_b64 exec, exec, s[2:3]
                                        ; implicit-def: $vgpr0_vgpr1
                                        ; implicit-def: $vgpr2
.LBB4018_180:
	s_andn2_saveexec_b64 s[0:1], s[0:1]
	s_cbranch_execz .LBB4018_104
; %bb.181:
	v_cmp_lt_i64_e32 vcc, 1, v[0:1]
	s_and_saveexec_b64 s[0:1], vcc
	s_xor_b64 s[0:1], exec, s[0:1]
	s_cbranch_execz .LBB4018_183
; %bb.182:
	ds_read_u16 v0, v2 offset:256
	v_mov_b32_e32 v1, 0
                                        ; implicit-def: $vgpr2
	s_waitcnt lgkmcnt(0)
	global_store_short v1, v0, s[18:19]
                                        ; implicit-def: $vgpr0_vgpr1
.LBB4018_183:
	s_andn2_saveexec_b64 s[0:1], s[0:1]
	s_cbranch_execz .LBB4018_104
; %bb.184:
	v_cmp_ne_u64_e32 vcc, 1, v[0:1]
	s_and_saveexec_b64 s[0:1], vcc
	s_xor_b64 s[0:1], exec, s[0:1]
	s_cbranch_execz .LBB4018_186
; %bb.185:
	ds_read_u16 v0, v2
	v_mov_b32_e32 v1, 0
                                        ; implicit-def: $vgpr2
	s_waitcnt lgkmcnt(0)
	global_store_short v1, v0, s[18:19]
.LBB4018_186:
	s_andn2_saveexec_b64 s[0:1], s[0:1]
	s_cbranch_execz .LBB4018_104
; %bb.187:
	ds_read_u16 v0, v2 offset:128
	v_mov_b32_e32 v1, 0
	s_waitcnt lgkmcnt(0)
	global_store_short v1, v0, s[18:19]
	s_endpgm
	.section	.rodata,"a",@progbits
	.p2align	6, 0x0
	.amdhsa_kernel _ZN7rocprim17ROCPRIM_400000_NS6detail17trampoline_kernelINS0_14default_configENS1_20scan_config_selectorIsEEZZNS1_9scan_implILNS1_25lookback_scan_determinismE0ELb0ELb0ES3_N6thrust23THRUST_200600_302600_NS6detail15normal_iteratorINS9_10device_ptrIsEEEENS9_16discard_iteratorINS9_11use_defaultEEEs11max_functorIsEsEEDaPvRmT3_T4_T5_mT6_P12ihipStream_tbENKUlT_T0_E_clISt17integral_constantIbLb1EESX_EEDaSS_ST_EUlSS_E_NS1_11comp_targetILNS1_3genE4ELNS1_11target_archE910ELNS1_3gpuE8ELNS1_3repE0EEENS1_30default_config_static_selectorELNS0_4arch9wavefront6targetE1EEEvT1_
		.amdhsa_group_segment_fixed_size 3072
		.amdhsa_private_segment_fixed_size 0
		.amdhsa_kernarg_size 104
		.amdhsa_user_sgpr_count 6
		.amdhsa_user_sgpr_private_segment_buffer 1
		.amdhsa_user_sgpr_dispatch_ptr 0
		.amdhsa_user_sgpr_queue_ptr 0
		.amdhsa_user_sgpr_kernarg_segment_ptr 1
		.amdhsa_user_sgpr_dispatch_id 0
		.amdhsa_user_sgpr_flat_scratch_init 0
		.amdhsa_user_sgpr_kernarg_preload_length 0
		.amdhsa_user_sgpr_kernarg_preload_offset 0
		.amdhsa_user_sgpr_private_segment_size 0
		.amdhsa_uses_dynamic_stack 0
		.amdhsa_system_sgpr_private_segment_wavefront_offset 0
		.amdhsa_system_sgpr_workgroup_id_x 1
		.amdhsa_system_sgpr_workgroup_id_y 0
		.amdhsa_system_sgpr_workgroup_id_z 0
		.amdhsa_system_sgpr_workgroup_info 0
		.amdhsa_system_vgpr_workitem_id 0
		.amdhsa_next_free_vgpr 56
		.amdhsa_next_free_sgpr 31
		.amdhsa_accum_offset 56
		.amdhsa_reserve_vcc 1
		.amdhsa_reserve_flat_scratch 0
		.amdhsa_float_round_mode_32 0
		.amdhsa_float_round_mode_16_64 0
		.amdhsa_float_denorm_mode_32 3
		.amdhsa_float_denorm_mode_16_64 3
		.amdhsa_dx10_clamp 1
		.amdhsa_ieee_mode 1
		.amdhsa_fp16_overflow 0
		.amdhsa_tg_split 0
		.amdhsa_exception_fp_ieee_invalid_op 0
		.amdhsa_exception_fp_denorm_src 0
		.amdhsa_exception_fp_ieee_div_zero 0
		.amdhsa_exception_fp_ieee_overflow 0
		.amdhsa_exception_fp_ieee_underflow 0
		.amdhsa_exception_fp_ieee_inexact 0
		.amdhsa_exception_int_div_zero 0
	.end_amdhsa_kernel
	.section	.text._ZN7rocprim17ROCPRIM_400000_NS6detail17trampoline_kernelINS0_14default_configENS1_20scan_config_selectorIsEEZZNS1_9scan_implILNS1_25lookback_scan_determinismE0ELb0ELb0ES3_N6thrust23THRUST_200600_302600_NS6detail15normal_iteratorINS9_10device_ptrIsEEEENS9_16discard_iteratorINS9_11use_defaultEEEs11max_functorIsEsEEDaPvRmT3_T4_T5_mT6_P12ihipStream_tbENKUlT_T0_E_clISt17integral_constantIbLb1EESX_EEDaSS_ST_EUlSS_E_NS1_11comp_targetILNS1_3genE4ELNS1_11target_archE910ELNS1_3gpuE8ELNS1_3repE0EEENS1_30default_config_static_selectorELNS0_4arch9wavefront6targetE1EEEvT1_,"axG",@progbits,_ZN7rocprim17ROCPRIM_400000_NS6detail17trampoline_kernelINS0_14default_configENS1_20scan_config_selectorIsEEZZNS1_9scan_implILNS1_25lookback_scan_determinismE0ELb0ELb0ES3_N6thrust23THRUST_200600_302600_NS6detail15normal_iteratorINS9_10device_ptrIsEEEENS9_16discard_iteratorINS9_11use_defaultEEEs11max_functorIsEsEEDaPvRmT3_T4_T5_mT6_P12ihipStream_tbENKUlT_T0_E_clISt17integral_constantIbLb1EESX_EEDaSS_ST_EUlSS_E_NS1_11comp_targetILNS1_3genE4ELNS1_11target_archE910ELNS1_3gpuE8ELNS1_3repE0EEENS1_30default_config_static_selectorELNS0_4arch9wavefront6targetE1EEEvT1_,comdat
.Lfunc_end4018:
	.size	_ZN7rocprim17ROCPRIM_400000_NS6detail17trampoline_kernelINS0_14default_configENS1_20scan_config_selectorIsEEZZNS1_9scan_implILNS1_25lookback_scan_determinismE0ELb0ELb0ES3_N6thrust23THRUST_200600_302600_NS6detail15normal_iteratorINS9_10device_ptrIsEEEENS9_16discard_iteratorINS9_11use_defaultEEEs11max_functorIsEsEEDaPvRmT3_T4_T5_mT6_P12ihipStream_tbENKUlT_T0_E_clISt17integral_constantIbLb1EESX_EEDaSS_ST_EUlSS_E_NS1_11comp_targetILNS1_3genE4ELNS1_11target_archE910ELNS1_3gpuE8ELNS1_3repE0EEENS1_30default_config_static_selectorELNS0_4arch9wavefront6targetE1EEEvT1_, .Lfunc_end4018-_ZN7rocprim17ROCPRIM_400000_NS6detail17trampoline_kernelINS0_14default_configENS1_20scan_config_selectorIsEEZZNS1_9scan_implILNS1_25lookback_scan_determinismE0ELb0ELb0ES3_N6thrust23THRUST_200600_302600_NS6detail15normal_iteratorINS9_10device_ptrIsEEEENS9_16discard_iteratorINS9_11use_defaultEEEs11max_functorIsEsEEDaPvRmT3_T4_T5_mT6_P12ihipStream_tbENKUlT_T0_E_clISt17integral_constantIbLb1EESX_EEDaSS_ST_EUlSS_E_NS1_11comp_targetILNS1_3genE4ELNS1_11target_archE910ELNS1_3gpuE8ELNS1_3repE0EEENS1_30default_config_static_selectorELNS0_4arch9wavefront6targetE1EEEvT1_
                                        ; -- End function
	.section	.AMDGPU.csdata,"",@progbits
; Kernel info:
; codeLenInByte = 6572
; NumSgprs: 35
; NumVgprs: 56
; NumAgprs: 0
; TotalNumVgprs: 56
; ScratchSize: 0
; MemoryBound: 0
; FloatMode: 240
; IeeeMode: 1
; LDSByteSize: 3072 bytes/workgroup (compile time only)
; SGPRBlocks: 4
; VGPRBlocks: 6
; NumSGPRsForWavesPerEU: 35
; NumVGPRsForWavesPerEU: 56
; AccumOffset: 56
; Occupancy: 6
; WaveLimiterHint : 1
; COMPUTE_PGM_RSRC2:SCRATCH_EN: 0
; COMPUTE_PGM_RSRC2:USER_SGPR: 6
; COMPUTE_PGM_RSRC2:TRAP_HANDLER: 0
; COMPUTE_PGM_RSRC2:TGID_X_EN: 1
; COMPUTE_PGM_RSRC2:TGID_Y_EN: 0
; COMPUTE_PGM_RSRC2:TGID_Z_EN: 0
; COMPUTE_PGM_RSRC2:TIDIG_COMP_CNT: 0
; COMPUTE_PGM_RSRC3_GFX90A:ACCUM_OFFSET: 13
; COMPUTE_PGM_RSRC3_GFX90A:TG_SPLIT: 0
	.section	.text._ZN7rocprim17ROCPRIM_400000_NS6detail17trampoline_kernelINS0_14default_configENS1_20scan_config_selectorIsEEZZNS1_9scan_implILNS1_25lookback_scan_determinismE0ELb0ELb0ES3_N6thrust23THRUST_200600_302600_NS6detail15normal_iteratorINS9_10device_ptrIsEEEENS9_16discard_iteratorINS9_11use_defaultEEEs11max_functorIsEsEEDaPvRmT3_T4_T5_mT6_P12ihipStream_tbENKUlT_T0_E_clISt17integral_constantIbLb1EESX_EEDaSS_ST_EUlSS_E_NS1_11comp_targetILNS1_3genE3ELNS1_11target_archE908ELNS1_3gpuE7ELNS1_3repE0EEENS1_30default_config_static_selectorELNS0_4arch9wavefront6targetE1EEEvT1_,"axG",@progbits,_ZN7rocprim17ROCPRIM_400000_NS6detail17trampoline_kernelINS0_14default_configENS1_20scan_config_selectorIsEEZZNS1_9scan_implILNS1_25lookback_scan_determinismE0ELb0ELb0ES3_N6thrust23THRUST_200600_302600_NS6detail15normal_iteratorINS9_10device_ptrIsEEEENS9_16discard_iteratorINS9_11use_defaultEEEs11max_functorIsEsEEDaPvRmT3_T4_T5_mT6_P12ihipStream_tbENKUlT_T0_E_clISt17integral_constantIbLb1EESX_EEDaSS_ST_EUlSS_E_NS1_11comp_targetILNS1_3genE3ELNS1_11target_archE908ELNS1_3gpuE7ELNS1_3repE0EEENS1_30default_config_static_selectorELNS0_4arch9wavefront6targetE1EEEvT1_,comdat
	.protected	_ZN7rocprim17ROCPRIM_400000_NS6detail17trampoline_kernelINS0_14default_configENS1_20scan_config_selectorIsEEZZNS1_9scan_implILNS1_25lookback_scan_determinismE0ELb0ELb0ES3_N6thrust23THRUST_200600_302600_NS6detail15normal_iteratorINS9_10device_ptrIsEEEENS9_16discard_iteratorINS9_11use_defaultEEEs11max_functorIsEsEEDaPvRmT3_T4_T5_mT6_P12ihipStream_tbENKUlT_T0_E_clISt17integral_constantIbLb1EESX_EEDaSS_ST_EUlSS_E_NS1_11comp_targetILNS1_3genE3ELNS1_11target_archE908ELNS1_3gpuE7ELNS1_3repE0EEENS1_30default_config_static_selectorELNS0_4arch9wavefront6targetE1EEEvT1_ ; -- Begin function _ZN7rocprim17ROCPRIM_400000_NS6detail17trampoline_kernelINS0_14default_configENS1_20scan_config_selectorIsEEZZNS1_9scan_implILNS1_25lookback_scan_determinismE0ELb0ELb0ES3_N6thrust23THRUST_200600_302600_NS6detail15normal_iteratorINS9_10device_ptrIsEEEENS9_16discard_iteratorINS9_11use_defaultEEEs11max_functorIsEsEEDaPvRmT3_T4_T5_mT6_P12ihipStream_tbENKUlT_T0_E_clISt17integral_constantIbLb1EESX_EEDaSS_ST_EUlSS_E_NS1_11comp_targetILNS1_3genE3ELNS1_11target_archE908ELNS1_3gpuE7ELNS1_3repE0EEENS1_30default_config_static_selectorELNS0_4arch9wavefront6targetE1EEEvT1_
	.globl	_ZN7rocprim17ROCPRIM_400000_NS6detail17trampoline_kernelINS0_14default_configENS1_20scan_config_selectorIsEEZZNS1_9scan_implILNS1_25lookback_scan_determinismE0ELb0ELb0ES3_N6thrust23THRUST_200600_302600_NS6detail15normal_iteratorINS9_10device_ptrIsEEEENS9_16discard_iteratorINS9_11use_defaultEEEs11max_functorIsEsEEDaPvRmT3_T4_T5_mT6_P12ihipStream_tbENKUlT_T0_E_clISt17integral_constantIbLb1EESX_EEDaSS_ST_EUlSS_E_NS1_11comp_targetILNS1_3genE3ELNS1_11target_archE908ELNS1_3gpuE7ELNS1_3repE0EEENS1_30default_config_static_selectorELNS0_4arch9wavefront6targetE1EEEvT1_
	.p2align	8
	.type	_ZN7rocprim17ROCPRIM_400000_NS6detail17trampoline_kernelINS0_14default_configENS1_20scan_config_selectorIsEEZZNS1_9scan_implILNS1_25lookback_scan_determinismE0ELb0ELb0ES3_N6thrust23THRUST_200600_302600_NS6detail15normal_iteratorINS9_10device_ptrIsEEEENS9_16discard_iteratorINS9_11use_defaultEEEs11max_functorIsEsEEDaPvRmT3_T4_T5_mT6_P12ihipStream_tbENKUlT_T0_E_clISt17integral_constantIbLb1EESX_EEDaSS_ST_EUlSS_E_NS1_11comp_targetILNS1_3genE3ELNS1_11target_archE908ELNS1_3gpuE7ELNS1_3repE0EEENS1_30default_config_static_selectorELNS0_4arch9wavefront6targetE1EEEvT1_,@function
_ZN7rocprim17ROCPRIM_400000_NS6detail17trampoline_kernelINS0_14default_configENS1_20scan_config_selectorIsEEZZNS1_9scan_implILNS1_25lookback_scan_determinismE0ELb0ELb0ES3_N6thrust23THRUST_200600_302600_NS6detail15normal_iteratorINS9_10device_ptrIsEEEENS9_16discard_iteratorINS9_11use_defaultEEEs11max_functorIsEsEEDaPvRmT3_T4_T5_mT6_P12ihipStream_tbENKUlT_T0_E_clISt17integral_constantIbLb1EESX_EEDaSS_ST_EUlSS_E_NS1_11comp_targetILNS1_3genE3ELNS1_11target_archE908ELNS1_3gpuE7ELNS1_3repE0EEENS1_30default_config_static_selectorELNS0_4arch9wavefront6targetE1EEEvT1_: ; @_ZN7rocprim17ROCPRIM_400000_NS6detail17trampoline_kernelINS0_14default_configENS1_20scan_config_selectorIsEEZZNS1_9scan_implILNS1_25lookback_scan_determinismE0ELb0ELb0ES3_N6thrust23THRUST_200600_302600_NS6detail15normal_iteratorINS9_10device_ptrIsEEEENS9_16discard_iteratorINS9_11use_defaultEEEs11max_functorIsEsEEDaPvRmT3_T4_T5_mT6_P12ihipStream_tbENKUlT_T0_E_clISt17integral_constantIbLb1EESX_EEDaSS_ST_EUlSS_E_NS1_11comp_targetILNS1_3genE3ELNS1_11target_archE908ELNS1_3gpuE7ELNS1_3repE0EEENS1_30default_config_static_selectorELNS0_4arch9wavefront6targetE1EEEvT1_
; %bb.0:
	.section	.rodata,"a",@progbits
	.p2align	6, 0x0
	.amdhsa_kernel _ZN7rocprim17ROCPRIM_400000_NS6detail17trampoline_kernelINS0_14default_configENS1_20scan_config_selectorIsEEZZNS1_9scan_implILNS1_25lookback_scan_determinismE0ELb0ELb0ES3_N6thrust23THRUST_200600_302600_NS6detail15normal_iteratorINS9_10device_ptrIsEEEENS9_16discard_iteratorINS9_11use_defaultEEEs11max_functorIsEsEEDaPvRmT3_T4_T5_mT6_P12ihipStream_tbENKUlT_T0_E_clISt17integral_constantIbLb1EESX_EEDaSS_ST_EUlSS_E_NS1_11comp_targetILNS1_3genE3ELNS1_11target_archE908ELNS1_3gpuE7ELNS1_3repE0EEENS1_30default_config_static_selectorELNS0_4arch9wavefront6targetE1EEEvT1_
		.amdhsa_group_segment_fixed_size 0
		.amdhsa_private_segment_fixed_size 0
		.amdhsa_kernarg_size 104
		.amdhsa_user_sgpr_count 6
		.amdhsa_user_sgpr_private_segment_buffer 1
		.amdhsa_user_sgpr_dispatch_ptr 0
		.amdhsa_user_sgpr_queue_ptr 0
		.amdhsa_user_sgpr_kernarg_segment_ptr 1
		.amdhsa_user_sgpr_dispatch_id 0
		.amdhsa_user_sgpr_flat_scratch_init 0
		.amdhsa_user_sgpr_kernarg_preload_length 0
		.amdhsa_user_sgpr_kernarg_preload_offset 0
		.amdhsa_user_sgpr_private_segment_size 0
		.amdhsa_uses_dynamic_stack 0
		.amdhsa_system_sgpr_private_segment_wavefront_offset 0
		.amdhsa_system_sgpr_workgroup_id_x 1
		.amdhsa_system_sgpr_workgroup_id_y 0
		.amdhsa_system_sgpr_workgroup_id_z 0
		.amdhsa_system_sgpr_workgroup_info 0
		.amdhsa_system_vgpr_workitem_id 0
		.amdhsa_next_free_vgpr 1
		.amdhsa_next_free_sgpr 0
		.amdhsa_accum_offset 4
		.amdhsa_reserve_vcc 0
		.amdhsa_reserve_flat_scratch 0
		.amdhsa_float_round_mode_32 0
		.amdhsa_float_round_mode_16_64 0
		.amdhsa_float_denorm_mode_32 3
		.amdhsa_float_denorm_mode_16_64 3
		.amdhsa_dx10_clamp 1
		.amdhsa_ieee_mode 1
		.amdhsa_fp16_overflow 0
		.amdhsa_tg_split 0
		.amdhsa_exception_fp_ieee_invalid_op 0
		.amdhsa_exception_fp_denorm_src 0
		.amdhsa_exception_fp_ieee_div_zero 0
		.amdhsa_exception_fp_ieee_overflow 0
		.amdhsa_exception_fp_ieee_underflow 0
		.amdhsa_exception_fp_ieee_inexact 0
		.amdhsa_exception_int_div_zero 0
	.end_amdhsa_kernel
	.section	.text._ZN7rocprim17ROCPRIM_400000_NS6detail17trampoline_kernelINS0_14default_configENS1_20scan_config_selectorIsEEZZNS1_9scan_implILNS1_25lookback_scan_determinismE0ELb0ELb0ES3_N6thrust23THRUST_200600_302600_NS6detail15normal_iteratorINS9_10device_ptrIsEEEENS9_16discard_iteratorINS9_11use_defaultEEEs11max_functorIsEsEEDaPvRmT3_T4_T5_mT6_P12ihipStream_tbENKUlT_T0_E_clISt17integral_constantIbLb1EESX_EEDaSS_ST_EUlSS_E_NS1_11comp_targetILNS1_3genE3ELNS1_11target_archE908ELNS1_3gpuE7ELNS1_3repE0EEENS1_30default_config_static_selectorELNS0_4arch9wavefront6targetE1EEEvT1_,"axG",@progbits,_ZN7rocprim17ROCPRIM_400000_NS6detail17trampoline_kernelINS0_14default_configENS1_20scan_config_selectorIsEEZZNS1_9scan_implILNS1_25lookback_scan_determinismE0ELb0ELb0ES3_N6thrust23THRUST_200600_302600_NS6detail15normal_iteratorINS9_10device_ptrIsEEEENS9_16discard_iteratorINS9_11use_defaultEEEs11max_functorIsEsEEDaPvRmT3_T4_T5_mT6_P12ihipStream_tbENKUlT_T0_E_clISt17integral_constantIbLb1EESX_EEDaSS_ST_EUlSS_E_NS1_11comp_targetILNS1_3genE3ELNS1_11target_archE908ELNS1_3gpuE7ELNS1_3repE0EEENS1_30default_config_static_selectorELNS0_4arch9wavefront6targetE1EEEvT1_,comdat
.Lfunc_end4019:
	.size	_ZN7rocprim17ROCPRIM_400000_NS6detail17trampoline_kernelINS0_14default_configENS1_20scan_config_selectorIsEEZZNS1_9scan_implILNS1_25lookback_scan_determinismE0ELb0ELb0ES3_N6thrust23THRUST_200600_302600_NS6detail15normal_iteratorINS9_10device_ptrIsEEEENS9_16discard_iteratorINS9_11use_defaultEEEs11max_functorIsEsEEDaPvRmT3_T4_T5_mT6_P12ihipStream_tbENKUlT_T0_E_clISt17integral_constantIbLb1EESX_EEDaSS_ST_EUlSS_E_NS1_11comp_targetILNS1_3genE3ELNS1_11target_archE908ELNS1_3gpuE7ELNS1_3repE0EEENS1_30default_config_static_selectorELNS0_4arch9wavefront6targetE1EEEvT1_, .Lfunc_end4019-_ZN7rocprim17ROCPRIM_400000_NS6detail17trampoline_kernelINS0_14default_configENS1_20scan_config_selectorIsEEZZNS1_9scan_implILNS1_25lookback_scan_determinismE0ELb0ELb0ES3_N6thrust23THRUST_200600_302600_NS6detail15normal_iteratorINS9_10device_ptrIsEEEENS9_16discard_iteratorINS9_11use_defaultEEEs11max_functorIsEsEEDaPvRmT3_T4_T5_mT6_P12ihipStream_tbENKUlT_T0_E_clISt17integral_constantIbLb1EESX_EEDaSS_ST_EUlSS_E_NS1_11comp_targetILNS1_3genE3ELNS1_11target_archE908ELNS1_3gpuE7ELNS1_3repE0EEENS1_30default_config_static_selectorELNS0_4arch9wavefront6targetE1EEEvT1_
                                        ; -- End function
	.section	.AMDGPU.csdata,"",@progbits
; Kernel info:
; codeLenInByte = 0
; NumSgprs: 4
; NumVgprs: 0
; NumAgprs: 0
; TotalNumVgprs: 0
; ScratchSize: 0
; MemoryBound: 0
; FloatMode: 240
; IeeeMode: 1
; LDSByteSize: 0 bytes/workgroup (compile time only)
; SGPRBlocks: 0
; VGPRBlocks: 0
; NumSGPRsForWavesPerEU: 4
; NumVGPRsForWavesPerEU: 1
; AccumOffset: 4
; Occupancy: 8
; WaveLimiterHint : 0
; COMPUTE_PGM_RSRC2:SCRATCH_EN: 0
; COMPUTE_PGM_RSRC2:USER_SGPR: 6
; COMPUTE_PGM_RSRC2:TRAP_HANDLER: 0
; COMPUTE_PGM_RSRC2:TGID_X_EN: 1
; COMPUTE_PGM_RSRC2:TGID_Y_EN: 0
; COMPUTE_PGM_RSRC2:TGID_Z_EN: 0
; COMPUTE_PGM_RSRC2:TIDIG_COMP_CNT: 0
; COMPUTE_PGM_RSRC3_GFX90A:ACCUM_OFFSET: 0
; COMPUTE_PGM_RSRC3_GFX90A:TG_SPLIT: 0
	.section	.text._ZN7rocprim17ROCPRIM_400000_NS6detail17trampoline_kernelINS0_14default_configENS1_20scan_config_selectorIsEEZZNS1_9scan_implILNS1_25lookback_scan_determinismE0ELb0ELb0ES3_N6thrust23THRUST_200600_302600_NS6detail15normal_iteratorINS9_10device_ptrIsEEEENS9_16discard_iteratorINS9_11use_defaultEEEs11max_functorIsEsEEDaPvRmT3_T4_T5_mT6_P12ihipStream_tbENKUlT_T0_E_clISt17integral_constantIbLb1EESX_EEDaSS_ST_EUlSS_E_NS1_11comp_targetILNS1_3genE2ELNS1_11target_archE906ELNS1_3gpuE6ELNS1_3repE0EEENS1_30default_config_static_selectorELNS0_4arch9wavefront6targetE1EEEvT1_,"axG",@progbits,_ZN7rocprim17ROCPRIM_400000_NS6detail17trampoline_kernelINS0_14default_configENS1_20scan_config_selectorIsEEZZNS1_9scan_implILNS1_25lookback_scan_determinismE0ELb0ELb0ES3_N6thrust23THRUST_200600_302600_NS6detail15normal_iteratorINS9_10device_ptrIsEEEENS9_16discard_iteratorINS9_11use_defaultEEEs11max_functorIsEsEEDaPvRmT3_T4_T5_mT6_P12ihipStream_tbENKUlT_T0_E_clISt17integral_constantIbLb1EESX_EEDaSS_ST_EUlSS_E_NS1_11comp_targetILNS1_3genE2ELNS1_11target_archE906ELNS1_3gpuE6ELNS1_3repE0EEENS1_30default_config_static_selectorELNS0_4arch9wavefront6targetE1EEEvT1_,comdat
	.protected	_ZN7rocprim17ROCPRIM_400000_NS6detail17trampoline_kernelINS0_14default_configENS1_20scan_config_selectorIsEEZZNS1_9scan_implILNS1_25lookback_scan_determinismE0ELb0ELb0ES3_N6thrust23THRUST_200600_302600_NS6detail15normal_iteratorINS9_10device_ptrIsEEEENS9_16discard_iteratorINS9_11use_defaultEEEs11max_functorIsEsEEDaPvRmT3_T4_T5_mT6_P12ihipStream_tbENKUlT_T0_E_clISt17integral_constantIbLb1EESX_EEDaSS_ST_EUlSS_E_NS1_11comp_targetILNS1_3genE2ELNS1_11target_archE906ELNS1_3gpuE6ELNS1_3repE0EEENS1_30default_config_static_selectorELNS0_4arch9wavefront6targetE1EEEvT1_ ; -- Begin function _ZN7rocprim17ROCPRIM_400000_NS6detail17trampoline_kernelINS0_14default_configENS1_20scan_config_selectorIsEEZZNS1_9scan_implILNS1_25lookback_scan_determinismE0ELb0ELb0ES3_N6thrust23THRUST_200600_302600_NS6detail15normal_iteratorINS9_10device_ptrIsEEEENS9_16discard_iteratorINS9_11use_defaultEEEs11max_functorIsEsEEDaPvRmT3_T4_T5_mT6_P12ihipStream_tbENKUlT_T0_E_clISt17integral_constantIbLb1EESX_EEDaSS_ST_EUlSS_E_NS1_11comp_targetILNS1_3genE2ELNS1_11target_archE906ELNS1_3gpuE6ELNS1_3repE0EEENS1_30default_config_static_selectorELNS0_4arch9wavefront6targetE1EEEvT1_
	.globl	_ZN7rocprim17ROCPRIM_400000_NS6detail17trampoline_kernelINS0_14default_configENS1_20scan_config_selectorIsEEZZNS1_9scan_implILNS1_25lookback_scan_determinismE0ELb0ELb0ES3_N6thrust23THRUST_200600_302600_NS6detail15normal_iteratorINS9_10device_ptrIsEEEENS9_16discard_iteratorINS9_11use_defaultEEEs11max_functorIsEsEEDaPvRmT3_T4_T5_mT6_P12ihipStream_tbENKUlT_T0_E_clISt17integral_constantIbLb1EESX_EEDaSS_ST_EUlSS_E_NS1_11comp_targetILNS1_3genE2ELNS1_11target_archE906ELNS1_3gpuE6ELNS1_3repE0EEENS1_30default_config_static_selectorELNS0_4arch9wavefront6targetE1EEEvT1_
	.p2align	8
	.type	_ZN7rocprim17ROCPRIM_400000_NS6detail17trampoline_kernelINS0_14default_configENS1_20scan_config_selectorIsEEZZNS1_9scan_implILNS1_25lookback_scan_determinismE0ELb0ELb0ES3_N6thrust23THRUST_200600_302600_NS6detail15normal_iteratorINS9_10device_ptrIsEEEENS9_16discard_iteratorINS9_11use_defaultEEEs11max_functorIsEsEEDaPvRmT3_T4_T5_mT6_P12ihipStream_tbENKUlT_T0_E_clISt17integral_constantIbLb1EESX_EEDaSS_ST_EUlSS_E_NS1_11comp_targetILNS1_3genE2ELNS1_11target_archE906ELNS1_3gpuE6ELNS1_3repE0EEENS1_30default_config_static_selectorELNS0_4arch9wavefront6targetE1EEEvT1_,@function
_ZN7rocprim17ROCPRIM_400000_NS6detail17trampoline_kernelINS0_14default_configENS1_20scan_config_selectorIsEEZZNS1_9scan_implILNS1_25lookback_scan_determinismE0ELb0ELb0ES3_N6thrust23THRUST_200600_302600_NS6detail15normal_iteratorINS9_10device_ptrIsEEEENS9_16discard_iteratorINS9_11use_defaultEEEs11max_functorIsEsEEDaPvRmT3_T4_T5_mT6_P12ihipStream_tbENKUlT_T0_E_clISt17integral_constantIbLb1EESX_EEDaSS_ST_EUlSS_E_NS1_11comp_targetILNS1_3genE2ELNS1_11target_archE906ELNS1_3gpuE6ELNS1_3repE0EEENS1_30default_config_static_selectorELNS0_4arch9wavefront6targetE1EEEvT1_: ; @_ZN7rocprim17ROCPRIM_400000_NS6detail17trampoline_kernelINS0_14default_configENS1_20scan_config_selectorIsEEZZNS1_9scan_implILNS1_25lookback_scan_determinismE0ELb0ELb0ES3_N6thrust23THRUST_200600_302600_NS6detail15normal_iteratorINS9_10device_ptrIsEEEENS9_16discard_iteratorINS9_11use_defaultEEEs11max_functorIsEsEEDaPvRmT3_T4_T5_mT6_P12ihipStream_tbENKUlT_T0_E_clISt17integral_constantIbLb1EESX_EEDaSS_ST_EUlSS_E_NS1_11comp_targetILNS1_3genE2ELNS1_11target_archE906ELNS1_3gpuE6ELNS1_3repE0EEENS1_30default_config_static_selectorELNS0_4arch9wavefront6targetE1EEEvT1_
; %bb.0:
	.section	.rodata,"a",@progbits
	.p2align	6, 0x0
	.amdhsa_kernel _ZN7rocprim17ROCPRIM_400000_NS6detail17trampoline_kernelINS0_14default_configENS1_20scan_config_selectorIsEEZZNS1_9scan_implILNS1_25lookback_scan_determinismE0ELb0ELb0ES3_N6thrust23THRUST_200600_302600_NS6detail15normal_iteratorINS9_10device_ptrIsEEEENS9_16discard_iteratorINS9_11use_defaultEEEs11max_functorIsEsEEDaPvRmT3_T4_T5_mT6_P12ihipStream_tbENKUlT_T0_E_clISt17integral_constantIbLb1EESX_EEDaSS_ST_EUlSS_E_NS1_11comp_targetILNS1_3genE2ELNS1_11target_archE906ELNS1_3gpuE6ELNS1_3repE0EEENS1_30default_config_static_selectorELNS0_4arch9wavefront6targetE1EEEvT1_
		.amdhsa_group_segment_fixed_size 0
		.amdhsa_private_segment_fixed_size 0
		.amdhsa_kernarg_size 104
		.amdhsa_user_sgpr_count 6
		.amdhsa_user_sgpr_private_segment_buffer 1
		.amdhsa_user_sgpr_dispatch_ptr 0
		.amdhsa_user_sgpr_queue_ptr 0
		.amdhsa_user_sgpr_kernarg_segment_ptr 1
		.amdhsa_user_sgpr_dispatch_id 0
		.amdhsa_user_sgpr_flat_scratch_init 0
		.amdhsa_user_sgpr_kernarg_preload_length 0
		.amdhsa_user_sgpr_kernarg_preload_offset 0
		.amdhsa_user_sgpr_private_segment_size 0
		.amdhsa_uses_dynamic_stack 0
		.amdhsa_system_sgpr_private_segment_wavefront_offset 0
		.amdhsa_system_sgpr_workgroup_id_x 1
		.amdhsa_system_sgpr_workgroup_id_y 0
		.amdhsa_system_sgpr_workgroup_id_z 0
		.amdhsa_system_sgpr_workgroup_info 0
		.amdhsa_system_vgpr_workitem_id 0
		.amdhsa_next_free_vgpr 1
		.amdhsa_next_free_sgpr 0
		.amdhsa_accum_offset 4
		.amdhsa_reserve_vcc 0
		.amdhsa_reserve_flat_scratch 0
		.amdhsa_float_round_mode_32 0
		.amdhsa_float_round_mode_16_64 0
		.amdhsa_float_denorm_mode_32 3
		.amdhsa_float_denorm_mode_16_64 3
		.amdhsa_dx10_clamp 1
		.amdhsa_ieee_mode 1
		.amdhsa_fp16_overflow 0
		.amdhsa_tg_split 0
		.amdhsa_exception_fp_ieee_invalid_op 0
		.amdhsa_exception_fp_denorm_src 0
		.amdhsa_exception_fp_ieee_div_zero 0
		.amdhsa_exception_fp_ieee_overflow 0
		.amdhsa_exception_fp_ieee_underflow 0
		.amdhsa_exception_fp_ieee_inexact 0
		.amdhsa_exception_int_div_zero 0
	.end_amdhsa_kernel
	.section	.text._ZN7rocprim17ROCPRIM_400000_NS6detail17trampoline_kernelINS0_14default_configENS1_20scan_config_selectorIsEEZZNS1_9scan_implILNS1_25lookback_scan_determinismE0ELb0ELb0ES3_N6thrust23THRUST_200600_302600_NS6detail15normal_iteratorINS9_10device_ptrIsEEEENS9_16discard_iteratorINS9_11use_defaultEEEs11max_functorIsEsEEDaPvRmT3_T4_T5_mT6_P12ihipStream_tbENKUlT_T0_E_clISt17integral_constantIbLb1EESX_EEDaSS_ST_EUlSS_E_NS1_11comp_targetILNS1_3genE2ELNS1_11target_archE906ELNS1_3gpuE6ELNS1_3repE0EEENS1_30default_config_static_selectorELNS0_4arch9wavefront6targetE1EEEvT1_,"axG",@progbits,_ZN7rocprim17ROCPRIM_400000_NS6detail17trampoline_kernelINS0_14default_configENS1_20scan_config_selectorIsEEZZNS1_9scan_implILNS1_25lookback_scan_determinismE0ELb0ELb0ES3_N6thrust23THRUST_200600_302600_NS6detail15normal_iteratorINS9_10device_ptrIsEEEENS9_16discard_iteratorINS9_11use_defaultEEEs11max_functorIsEsEEDaPvRmT3_T4_T5_mT6_P12ihipStream_tbENKUlT_T0_E_clISt17integral_constantIbLb1EESX_EEDaSS_ST_EUlSS_E_NS1_11comp_targetILNS1_3genE2ELNS1_11target_archE906ELNS1_3gpuE6ELNS1_3repE0EEENS1_30default_config_static_selectorELNS0_4arch9wavefront6targetE1EEEvT1_,comdat
.Lfunc_end4020:
	.size	_ZN7rocprim17ROCPRIM_400000_NS6detail17trampoline_kernelINS0_14default_configENS1_20scan_config_selectorIsEEZZNS1_9scan_implILNS1_25lookback_scan_determinismE0ELb0ELb0ES3_N6thrust23THRUST_200600_302600_NS6detail15normal_iteratorINS9_10device_ptrIsEEEENS9_16discard_iteratorINS9_11use_defaultEEEs11max_functorIsEsEEDaPvRmT3_T4_T5_mT6_P12ihipStream_tbENKUlT_T0_E_clISt17integral_constantIbLb1EESX_EEDaSS_ST_EUlSS_E_NS1_11comp_targetILNS1_3genE2ELNS1_11target_archE906ELNS1_3gpuE6ELNS1_3repE0EEENS1_30default_config_static_selectorELNS0_4arch9wavefront6targetE1EEEvT1_, .Lfunc_end4020-_ZN7rocprim17ROCPRIM_400000_NS6detail17trampoline_kernelINS0_14default_configENS1_20scan_config_selectorIsEEZZNS1_9scan_implILNS1_25lookback_scan_determinismE0ELb0ELb0ES3_N6thrust23THRUST_200600_302600_NS6detail15normal_iteratorINS9_10device_ptrIsEEEENS9_16discard_iteratorINS9_11use_defaultEEEs11max_functorIsEsEEDaPvRmT3_T4_T5_mT6_P12ihipStream_tbENKUlT_T0_E_clISt17integral_constantIbLb1EESX_EEDaSS_ST_EUlSS_E_NS1_11comp_targetILNS1_3genE2ELNS1_11target_archE906ELNS1_3gpuE6ELNS1_3repE0EEENS1_30default_config_static_selectorELNS0_4arch9wavefront6targetE1EEEvT1_
                                        ; -- End function
	.section	.AMDGPU.csdata,"",@progbits
; Kernel info:
; codeLenInByte = 0
; NumSgprs: 4
; NumVgprs: 0
; NumAgprs: 0
; TotalNumVgprs: 0
; ScratchSize: 0
; MemoryBound: 0
; FloatMode: 240
; IeeeMode: 1
; LDSByteSize: 0 bytes/workgroup (compile time only)
; SGPRBlocks: 0
; VGPRBlocks: 0
; NumSGPRsForWavesPerEU: 4
; NumVGPRsForWavesPerEU: 1
; AccumOffset: 4
; Occupancy: 8
; WaveLimiterHint : 0
; COMPUTE_PGM_RSRC2:SCRATCH_EN: 0
; COMPUTE_PGM_RSRC2:USER_SGPR: 6
; COMPUTE_PGM_RSRC2:TRAP_HANDLER: 0
; COMPUTE_PGM_RSRC2:TGID_X_EN: 1
; COMPUTE_PGM_RSRC2:TGID_Y_EN: 0
; COMPUTE_PGM_RSRC2:TGID_Z_EN: 0
; COMPUTE_PGM_RSRC2:TIDIG_COMP_CNT: 0
; COMPUTE_PGM_RSRC3_GFX90A:ACCUM_OFFSET: 0
; COMPUTE_PGM_RSRC3_GFX90A:TG_SPLIT: 0
	.section	.text._ZN7rocprim17ROCPRIM_400000_NS6detail17trampoline_kernelINS0_14default_configENS1_20scan_config_selectorIsEEZZNS1_9scan_implILNS1_25lookback_scan_determinismE0ELb0ELb0ES3_N6thrust23THRUST_200600_302600_NS6detail15normal_iteratorINS9_10device_ptrIsEEEENS9_16discard_iteratorINS9_11use_defaultEEEs11max_functorIsEsEEDaPvRmT3_T4_T5_mT6_P12ihipStream_tbENKUlT_T0_E_clISt17integral_constantIbLb1EESX_EEDaSS_ST_EUlSS_E_NS1_11comp_targetILNS1_3genE10ELNS1_11target_archE1201ELNS1_3gpuE5ELNS1_3repE0EEENS1_30default_config_static_selectorELNS0_4arch9wavefront6targetE1EEEvT1_,"axG",@progbits,_ZN7rocprim17ROCPRIM_400000_NS6detail17trampoline_kernelINS0_14default_configENS1_20scan_config_selectorIsEEZZNS1_9scan_implILNS1_25lookback_scan_determinismE0ELb0ELb0ES3_N6thrust23THRUST_200600_302600_NS6detail15normal_iteratorINS9_10device_ptrIsEEEENS9_16discard_iteratorINS9_11use_defaultEEEs11max_functorIsEsEEDaPvRmT3_T4_T5_mT6_P12ihipStream_tbENKUlT_T0_E_clISt17integral_constantIbLb1EESX_EEDaSS_ST_EUlSS_E_NS1_11comp_targetILNS1_3genE10ELNS1_11target_archE1201ELNS1_3gpuE5ELNS1_3repE0EEENS1_30default_config_static_selectorELNS0_4arch9wavefront6targetE1EEEvT1_,comdat
	.protected	_ZN7rocprim17ROCPRIM_400000_NS6detail17trampoline_kernelINS0_14default_configENS1_20scan_config_selectorIsEEZZNS1_9scan_implILNS1_25lookback_scan_determinismE0ELb0ELb0ES3_N6thrust23THRUST_200600_302600_NS6detail15normal_iteratorINS9_10device_ptrIsEEEENS9_16discard_iteratorINS9_11use_defaultEEEs11max_functorIsEsEEDaPvRmT3_T4_T5_mT6_P12ihipStream_tbENKUlT_T0_E_clISt17integral_constantIbLb1EESX_EEDaSS_ST_EUlSS_E_NS1_11comp_targetILNS1_3genE10ELNS1_11target_archE1201ELNS1_3gpuE5ELNS1_3repE0EEENS1_30default_config_static_selectorELNS0_4arch9wavefront6targetE1EEEvT1_ ; -- Begin function _ZN7rocprim17ROCPRIM_400000_NS6detail17trampoline_kernelINS0_14default_configENS1_20scan_config_selectorIsEEZZNS1_9scan_implILNS1_25lookback_scan_determinismE0ELb0ELb0ES3_N6thrust23THRUST_200600_302600_NS6detail15normal_iteratorINS9_10device_ptrIsEEEENS9_16discard_iteratorINS9_11use_defaultEEEs11max_functorIsEsEEDaPvRmT3_T4_T5_mT6_P12ihipStream_tbENKUlT_T0_E_clISt17integral_constantIbLb1EESX_EEDaSS_ST_EUlSS_E_NS1_11comp_targetILNS1_3genE10ELNS1_11target_archE1201ELNS1_3gpuE5ELNS1_3repE0EEENS1_30default_config_static_selectorELNS0_4arch9wavefront6targetE1EEEvT1_
	.globl	_ZN7rocprim17ROCPRIM_400000_NS6detail17trampoline_kernelINS0_14default_configENS1_20scan_config_selectorIsEEZZNS1_9scan_implILNS1_25lookback_scan_determinismE0ELb0ELb0ES3_N6thrust23THRUST_200600_302600_NS6detail15normal_iteratorINS9_10device_ptrIsEEEENS9_16discard_iteratorINS9_11use_defaultEEEs11max_functorIsEsEEDaPvRmT3_T4_T5_mT6_P12ihipStream_tbENKUlT_T0_E_clISt17integral_constantIbLb1EESX_EEDaSS_ST_EUlSS_E_NS1_11comp_targetILNS1_3genE10ELNS1_11target_archE1201ELNS1_3gpuE5ELNS1_3repE0EEENS1_30default_config_static_selectorELNS0_4arch9wavefront6targetE1EEEvT1_
	.p2align	8
	.type	_ZN7rocprim17ROCPRIM_400000_NS6detail17trampoline_kernelINS0_14default_configENS1_20scan_config_selectorIsEEZZNS1_9scan_implILNS1_25lookback_scan_determinismE0ELb0ELb0ES3_N6thrust23THRUST_200600_302600_NS6detail15normal_iteratorINS9_10device_ptrIsEEEENS9_16discard_iteratorINS9_11use_defaultEEEs11max_functorIsEsEEDaPvRmT3_T4_T5_mT6_P12ihipStream_tbENKUlT_T0_E_clISt17integral_constantIbLb1EESX_EEDaSS_ST_EUlSS_E_NS1_11comp_targetILNS1_3genE10ELNS1_11target_archE1201ELNS1_3gpuE5ELNS1_3repE0EEENS1_30default_config_static_selectorELNS0_4arch9wavefront6targetE1EEEvT1_,@function
_ZN7rocprim17ROCPRIM_400000_NS6detail17trampoline_kernelINS0_14default_configENS1_20scan_config_selectorIsEEZZNS1_9scan_implILNS1_25lookback_scan_determinismE0ELb0ELb0ES3_N6thrust23THRUST_200600_302600_NS6detail15normal_iteratorINS9_10device_ptrIsEEEENS9_16discard_iteratorINS9_11use_defaultEEEs11max_functorIsEsEEDaPvRmT3_T4_T5_mT6_P12ihipStream_tbENKUlT_T0_E_clISt17integral_constantIbLb1EESX_EEDaSS_ST_EUlSS_E_NS1_11comp_targetILNS1_3genE10ELNS1_11target_archE1201ELNS1_3gpuE5ELNS1_3repE0EEENS1_30default_config_static_selectorELNS0_4arch9wavefront6targetE1EEEvT1_: ; @_ZN7rocprim17ROCPRIM_400000_NS6detail17trampoline_kernelINS0_14default_configENS1_20scan_config_selectorIsEEZZNS1_9scan_implILNS1_25lookback_scan_determinismE0ELb0ELb0ES3_N6thrust23THRUST_200600_302600_NS6detail15normal_iteratorINS9_10device_ptrIsEEEENS9_16discard_iteratorINS9_11use_defaultEEEs11max_functorIsEsEEDaPvRmT3_T4_T5_mT6_P12ihipStream_tbENKUlT_T0_E_clISt17integral_constantIbLb1EESX_EEDaSS_ST_EUlSS_E_NS1_11comp_targetILNS1_3genE10ELNS1_11target_archE1201ELNS1_3gpuE5ELNS1_3repE0EEENS1_30default_config_static_selectorELNS0_4arch9wavefront6targetE1EEEvT1_
; %bb.0:
	.section	.rodata,"a",@progbits
	.p2align	6, 0x0
	.amdhsa_kernel _ZN7rocprim17ROCPRIM_400000_NS6detail17trampoline_kernelINS0_14default_configENS1_20scan_config_selectorIsEEZZNS1_9scan_implILNS1_25lookback_scan_determinismE0ELb0ELb0ES3_N6thrust23THRUST_200600_302600_NS6detail15normal_iteratorINS9_10device_ptrIsEEEENS9_16discard_iteratorINS9_11use_defaultEEEs11max_functorIsEsEEDaPvRmT3_T4_T5_mT6_P12ihipStream_tbENKUlT_T0_E_clISt17integral_constantIbLb1EESX_EEDaSS_ST_EUlSS_E_NS1_11comp_targetILNS1_3genE10ELNS1_11target_archE1201ELNS1_3gpuE5ELNS1_3repE0EEENS1_30default_config_static_selectorELNS0_4arch9wavefront6targetE1EEEvT1_
		.amdhsa_group_segment_fixed_size 0
		.amdhsa_private_segment_fixed_size 0
		.amdhsa_kernarg_size 104
		.amdhsa_user_sgpr_count 6
		.amdhsa_user_sgpr_private_segment_buffer 1
		.amdhsa_user_sgpr_dispatch_ptr 0
		.amdhsa_user_sgpr_queue_ptr 0
		.amdhsa_user_sgpr_kernarg_segment_ptr 1
		.amdhsa_user_sgpr_dispatch_id 0
		.amdhsa_user_sgpr_flat_scratch_init 0
		.amdhsa_user_sgpr_kernarg_preload_length 0
		.amdhsa_user_sgpr_kernarg_preload_offset 0
		.amdhsa_user_sgpr_private_segment_size 0
		.amdhsa_uses_dynamic_stack 0
		.amdhsa_system_sgpr_private_segment_wavefront_offset 0
		.amdhsa_system_sgpr_workgroup_id_x 1
		.amdhsa_system_sgpr_workgroup_id_y 0
		.amdhsa_system_sgpr_workgroup_id_z 0
		.amdhsa_system_sgpr_workgroup_info 0
		.amdhsa_system_vgpr_workitem_id 0
		.amdhsa_next_free_vgpr 1
		.amdhsa_next_free_sgpr 0
		.amdhsa_accum_offset 4
		.amdhsa_reserve_vcc 0
		.amdhsa_reserve_flat_scratch 0
		.amdhsa_float_round_mode_32 0
		.amdhsa_float_round_mode_16_64 0
		.amdhsa_float_denorm_mode_32 3
		.amdhsa_float_denorm_mode_16_64 3
		.amdhsa_dx10_clamp 1
		.amdhsa_ieee_mode 1
		.amdhsa_fp16_overflow 0
		.amdhsa_tg_split 0
		.amdhsa_exception_fp_ieee_invalid_op 0
		.amdhsa_exception_fp_denorm_src 0
		.amdhsa_exception_fp_ieee_div_zero 0
		.amdhsa_exception_fp_ieee_overflow 0
		.amdhsa_exception_fp_ieee_underflow 0
		.amdhsa_exception_fp_ieee_inexact 0
		.amdhsa_exception_int_div_zero 0
	.end_amdhsa_kernel
	.section	.text._ZN7rocprim17ROCPRIM_400000_NS6detail17trampoline_kernelINS0_14default_configENS1_20scan_config_selectorIsEEZZNS1_9scan_implILNS1_25lookback_scan_determinismE0ELb0ELb0ES3_N6thrust23THRUST_200600_302600_NS6detail15normal_iteratorINS9_10device_ptrIsEEEENS9_16discard_iteratorINS9_11use_defaultEEEs11max_functorIsEsEEDaPvRmT3_T4_T5_mT6_P12ihipStream_tbENKUlT_T0_E_clISt17integral_constantIbLb1EESX_EEDaSS_ST_EUlSS_E_NS1_11comp_targetILNS1_3genE10ELNS1_11target_archE1201ELNS1_3gpuE5ELNS1_3repE0EEENS1_30default_config_static_selectorELNS0_4arch9wavefront6targetE1EEEvT1_,"axG",@progbits,_ZN7rocprim17ROCPRIM_400000_NS6detail17trampoline_kernelINS0_14default_configENS1_20scan_config_selectorIsEEZZNS1_9scan_implILNS1_25lookback_scan_determinismE0ELb0ELb0ES3_N6thrust23THRUST_200600_302600_NS6detail15normal_iteratorINS9_10device_ptrIsEEEENS9_16discard_iteratorINS9_11use_defaultEEEs11max_functorIsEsEEDaPvRmT3_T4_T5_mT6_P12ihipStream_tbENKUlT_T0_E_clISt17integral_constantIbLb1EESX_EEDaSS_ST_EUlSS_E_NS1_11comp_targetILNS1_3genE10ELNS1_11target_archE1201ELNS1_3gpuE5ELNS1_3repE0EEENS1_30default_config_static_selectorELNS0_4arch9wavefront6targetE1EEEvT1_,comdat
.Lfunc_end4021:
	.size	_ZN7rocprim17ROCPRIM_400000_NS6detail17trampoline_kernelINS0_14default_configENS1_20scan_config_selectorIsEEZZNS1_9scan_implILNS1_25lookback_scan_determinismE0ELb0ELb0ES3_N6thrust23THRUST_200600_302600_NS6detail15normal_iteratorINS9_10device_ptrIsEEEENS9_16discard_iteratorINS9_11use_defaultEEEs11max_functorIsEsEEDaPvRmT3_T4_T5_mT6_P12ihipStream_tbENKUlT_T0_E_clISt17integral_constantIbLb1EESX_EEDaSS_ST_EUlSS_E_NS1_11comp_targetILNS1_3genE10ELNS1_11target_archE1201ELNS1_3gpuE5ELNS1_3repE0EEENS1_30default_config_static_selectorELNS0_4arch9wavefront6targetE1EEEvT1_, .Lfunc_end4021-_ZN7rocprim17ROCPRIM_400000_NS6detail17trampoline_kernelINS0_14default_configENS1_20scan_config_selectorIsEEZZNS1_9scan_implILNS1_25lookback_scan_determinismE0ELb0ELb0ES3_N6thrust23THRUST_200600_302600_NS6detail15normal_iteratorINS9_10device_ptrIsEEEENS9_16discard_iteratorINS9_11use_defaultEEEs11max_functorIsEsEEDaPvRmT3_T4_T5_mT6_P12ihipStream_tbENKUlT_T0_E_clISt17integral_constantIbLb1EESX_EEDaSS_ST_EUlSS_E_NS1_11comp_targetILNS1_3genE10ELNS1_11target_archE1201ELNS1_3gpuE5ELNS1_3repE0EEENS1_30default_config_static_selectorELNS0_4arch9wavefront6targetE1EEEvT1_
                                        ; -- End function
	.section	.AMDGPU.csdata,"",@progbits
; Kernel info:
; codeLenInByte = 0
; NumSgprs: 4
; NumVgprs: 0
; NumAgprs: 0
; TotalNumVgprs: 0
; ScratchSize: 0
; MemoryBound: 0
; FloatMode: 240
; IeeeMode: 1
; LDSByteSize: 0 bytes/workgroup (compile time only)
; SGPRBlocks: 0
; VGPRBlocks: 0
; NumSGPRsForWavesPerEU: 4
; NumVGPRsForWavesPerEU: 1
; AccumOffset: 4
; Occupancy: 8
; WaveLimiterHint : 0
; COMPUTE_PGM_RSRC2:SCRATCH_EN: 0
; COMPUTE_PGM_RSRC2:USER_SGPR: 6
; COMPUTE_PGM_RSRC2:TRAP_HANDLER: 0
; COMPUTE_PGM_RSRC2:TGID_X_EN: 1
; COMPUTE_PGM_RSRC2:TGID_Y_EN: 0
; COMPUTE_PGM_RSRC2:TGID_Z_EN: 0
; COMPUTE_PGM_RSRC2:TIDIG_COMP_CNT: 0
; COMPUTE_PGM_RSRC3_GFX90A:ACCUM_OFFSET: 0
; COMPUTE_PGM_RSRC3_GFX90A:TG_SPLIT: 0
	.section	.text._ZN7rocprim17ROCPRIM_400000_NS6detail17trampoline_kernelINS0_14default_configENS1_20scan_config_selectorIsEEZZNS1_9scan_implILNS1_25lookback_scan_determinismE0ELb0ELb0ES3_N6thrust23THRUST_200600_302600_NS6detail15normal_iteratorINS9_10device_ptrIsEEEENS9_16discard_iteratorINS9_11use_defaultEEEs11max_functorIsEsEEDaPvRmT3_T4_T5_mT6_P12ihipStream_tbENKUlT_T0_E_clISt17integral_constantIbLb1EESX_EEDaSS_ST_EUlSS_E_NS1_11comp_targetILNS1_3genE10ELNS1_11target_archE1200ELNS1_3gpuE4ELNS1_3repE0EEENS1_30default_config_static_selectorELNS0_4arch9wavefront6targetE1EEEvT1_,"axG",@progbits,_ZN7rocprim17ROCPRIM_400000_NS6detail17trampoline_kernelINS0_14default_configENS1_20scan_config_selectorIsEEZZNS1_9scan_implILNS1_25lookback_scan_determinismE0ELb0ELb0ES3_N6thrust23THRUST_200600_302600_NS6detail15normal_iteratorINS9_10device_ptrIsEEEENS9_16discard_iteratorINS9_11use_defaultEEEs11max_functorIsEsEEDaPvRmT3_T4_T5_mT6_P12ihipStream_tbENKUlT_T0_E_clISt17integral_constantIbLb1EESX_EEDaSS_ST_EUlSS_E_NS1_11comp_targetILNS1_3genE10ELNS1_11target_archE1200ELNS1_3gpuE4ELNS1_3repE0EEENS1_30default_config_static_selectorELNS0_4arch9wavefront6targetE1EEEvT1_,comdat
	.protected	_ZN7rocprim17ROCPRIM_400000_NS6detail17trampoline_kernelINS0_14default_configENS1_20scan_config_selectorIsEEZZNS1_9scan_implILNS1_25lookback_scan_determinismE0ELb0ELb0ES3_N6thrust23THRUST_200600_302600_NS6detail15normal_iteratorINS9_10device_ptrIsEEEENS9_16discard_iteratorINS9_11use_defaultEEEs11max_functorIsEsEEDaPvRmT3_T4_T5_mT6_P12ihipStream_tbENKUlT_T0_E_clISt17integral_constantIbLb1EESX_EEDaSS_ST_EUlSS_E_NS1_11comp_targetILNS1_3genE10ELNS1_11target_archE1200ELNS1_3gpuE4ELNS1_3repE0EEENS1_30default_config_static_selectorELNS0_4arch9wavefront6targetE1EEEvT1_ ; -- Begin function _ZN7rocprim17ROCPRIM_400000_NS6detail17trampoline_kernelINS0_14default_configENS1_20scan_config_selectorIsEEZZNS1_9scan_implILNS1_25lookback_scan_determinismE0ELb0ELb0ES3_N6thrust23THRUST_200600_302600_NS6detail15normal_iteratorINS9_10device_ptrIsEEEENS9_16discard_iteratorINS9_11use_defaultEEEs11max_functorIsEsEEDaPvRmT3_T4_T5_mT6_P12ihipStream_tbENKUlT_T0_E_clISt17integral_constantIbLb1EESX_EEDaSS_ST_EUlSS_E_NS1_11comp_targetILNS1_3genE10ELNS1_11target_archE1200ELNS1_3gpuE4ELNS1_3repE0EEENS1_30default_config_static_selectorELNS0_4arch9wavefront6targetE1EEEvT1_
	.globl	_ZN7rocprim17ROCPRIM_400000_NS6detail17trampoline_kernelINS0_14default_configENS1_20scan_config_selectorIsEEZZNS1_9scan_implILNS1_25lookback_scan_determinismE0ELb0ELb0ES3_N6thrust23THRUST_200600_302600_NS6detail15normal_iteratorINS9_10device_ptrIsEEEENS9_16discard_iteratorINS9_11use_defaultEEEs11max_functorIsEsEEDaPvRmT3_T4_T5_mT6_P12ihipStream_tbENKUlT_T0_E_clISt17integral_constantIbLb1EESX_EEDaSS_ST_EUlSS_E_NS1_11comp_targetILNS1_3genE10ELNS1_11target_archE1200ELNS1_3gpuE4ELNS1_3repE0EEENS1_30default_config_static_selectorELNS0_4arch9wavefront6targetE1EEEvT1_
	.p2align	8
	.type	_ZN7rocprim17ROCPRIM_400000_NS6detail17trampoline_kernelINS0_14default_configENS1_20scan_config_selectorIsEEZZNS1_9scan_implILNS1_25lookback_scan_determinismE0ELb0ELb0ES3_N6thrust23THRUST_200600_302600_NS6detail15normal_iteratorINS9_10device_ptrIsEEEENS9_16discard_iteratorINS9_11use_defaultEEEs11max_functorIsEsEEDaPvRmT3_T4_T5_mT6_P12ihipStream_tbENKUlT_T0_E_clISt17integral_constantIbLb1EESX_EEDaSS_ST_EUlSS_E_NS1_11comp_targetILNS1_3genE10ELNS1_11target_archE1200ELNS1_3gpuE4ELNS1_3repE0EEENS1_30default_config_static_selectorELNS0_4arch9wavefront6targetE1EEEvT1_,@function
_ZN7rocprim17ROCPRIM_400000_NS6detail17trampoline_kernelINS0_14default_configENS1_20scan_config_selectorIsEEZZNS1_9scan_implILNS1_25lookback_scan_determinismE0ELb0ELb0ES3_N6thrust23THRUST_200600_302600_NS6detail15normal_iteratorINS9_10device_ptrIsEEEENS9_16discard_iteratorINS9_11use_defaultEEEs11max_functorIsEsEEDaPvRmT3_T4_T5_mT6_P12ihipStream_tbENKUlT_T0_E_clISt17integral_constantIbLb1EESX_EEDaSS_ST_EUlSS_E_NS1_11comp_targetILNS1_3genE10ELNS1_11target_archE1200ELNS1_3gpuE4ELNS1_3repE0EEENS1_30default_config_static_selectorELNS0_4arch9wavefront6targetE1EEEvT1_: ; @_ZN7rocprim17ROCPRIM_400000_NS6detail17trampoline_kernelINS0_14default_configENS1_20scan_config_selectorIsEEZZNS1_9scan_implILNS1_25lookback_scan_determinismE0ELb0ELb0ES3_N6thrust23THRUST_200600_302600_NS6detail15normal_iteratorINS9_10device_ptrIsEEEENS9_16discard_iteratorINS9_11use_defaultEEEs11max_functorIsEsEEDaPvRmT3_T4_T5_mT6_P12ihipStream_tbENKUlT_T0_E_clISt17integral_constantIbLb1EESX_EEDaSS_ST_EUlSS_E_NS1_11comp_targetILNS1_3genE10ELNS1_11target_archE1200ELNS1_3gpuE4ELNS1_3repE0EEENS1_30default_config_static_selectorELNS0_4arch9wavefront6targetE1EEEvT1_
; %bb.0:
	.section	.rodata,"a",@progbits
	.p2align	6, 0x0
	.amdhsa_kernel _ZN7rocprim17ROCPRIM_400000_NS6detail17trampoline_kernelINS0_14default_configENS1_20scan_config_selectorIsEEZZNS1_9scan_implILNS1_25lookback_scan_determinismE0ELb0ELb0ES3_N6thrust23THRUST_200600_302600_NS6detail15normal_iteratorINS9_10device_ptrIsEEEENS9_16discard_iteratorINS9_11use_defaultEEEs11max_functorIsEsEEDaPvRmT3_T4_T5_mT6_P12ihipStream_tbENKUlT_T0_E_clISt17integral_constantIbLb1EESX_EEDaSS_ST_EUlSS_E_NS1_11comp_targetILNS1_3genE10ELNS1_11target_archE1200ELNS1_3gpuE4ELNS1_3repE0EEENS1_30default_config_static_selectorELNS0_4arch9wavefront6targetE1EEEvT1_
		.amdhsa_group_segment_fixed_size 0
		.amdhsa_private_segment_fixed_size 0
		.amdhsa_kernarg_size 104
		.amdhsa_user_sgpr_count 6
		.amdhsa_user_sgpr_private_segment_buffer 1
		.amdhsa_user_sgpr_dispatch_ptr 0
		.amdhsa_user_sgpr_queue_ptr 0
		.amdhsa_user_sgpr_kernarg_segment_ptr 1
		.amdhsa_user_sgpr_dispatch_id 0
		.amdhsa_user_sgpr_flat_scratch_init 0
		.amdhsa_user_sgpr_kernarg_preload_length 0
		.amdhsa_user_sgpr_kernarg_preload_offset 0
		.amdhsa_user_sgpr_private_segment_size 0
		.amdhsa_uses_dynamic_stack 0
		.amdhsa_system_sgpr_private_segment_wavefront_offset 0
		.amdhsa_system_sgpr_workgroup_id_x 1
		.amdhsa_system_sgpr_workgroup_id_y 0
		.amdhsa_system_sgpr_workgroup_id_z 0
		.amdhsa_system_sgpr_workgroup_info 0
		.amdhsa_system_vgpr_workitem_id 0
		.amdhsa_next_free_vgpr 1
		.amdhsa_next_free_sgpr 0
		.amdhsa_accum_offset 4
		.amdhsa_reserve_vcc 0
		.amdhsa_reserve_flat_scratch 0
		.amdhsa_float_round_mode_32 0
		.amdhsa_float_round_mode_16_64 0
		.amdhsa_float_denorm_mode_32 3
		.amdhsa_float_denorm_mode_16_64 3
		.amdhsa_dx10_clamp 1
		.amdhsa_ieee_mode 1
		.amdhsa_fp16_overflow 0
		.amdhsa_tg_split 0
		.amdhsa_exception_fp_ieee_invalid_op 0
		.amdhsa_exception_fp_denorm_src 0
		.amdhsa_exception_fp_ieee_div_zero 0
		.amdhsa_exception_fp_ieee_overflow 0
		.amdhsa_exception_fp_ieee_underflow 0
		.amdhsa_exception_fp_ieee_inexact 0
		.amdhsa_exception_int_div_zero 0
	.end_amdhsa_kernel
	.section	.text._ZN7rocprim17ROCPRIM_400000_NS6detail17trampoline_kernelINS0_14default_configENS1_20scan_config_selectorIsEEZZNS1_9scan_implILNS1_25lookback_scan_determinismE0ELb0ELb0ES3_N6thrust23THRUST_200600_302600_NS6detail15normal_iteratorINS9_10device_ptrIsEEEENS9_16discard_iteratorINS9_11use_defaultEEEs11max_functorIsEsEEDaPvRmT3_T4_T5_mT6_P12ihipStream_tbENKUlT_T0_E_clISt17integral_constantIbLb1EESX_EEDaSS_ST_EUlSS_E_NS1_11comp_targetILNS1_3genE10ELNS1_11target_archE1200ELNS1_3gpuE4ELNS1_3repE0EEENS1_30default_config_static_selectorELNS0_4arch9wavefront6targetE1EEEvT1_,"axG",@progbits,_ZN7rocprim17ROCPRIM_400000_NS6detail17trampoline_kernelINS0_14default_configENS1_20scan_config_selectorIsEEZZNS1_9scan_implILNS1_25lookback_scan_determinismE0ELb0ELb0ES3_N6thrust23THRUST_200600_302600_NS6detail15normal_iteratorINS9_10device_ptrIsEEEENS9_16discard_iteratorINS9_11use_defaultEEEs11max_functorIsEsEEDaPvRmT3_T4_T5_mT6_P12ihipStream_tbENKUlT_T0_E_clISt17integral_constantIbLb1EESX_EEDaSS_ST_EUlSS_E_NS1_11comp_targetILNS1_3genE10ELNS1_11target_archE1200ELNS1_3gpuE4ELNS1_3repE0EEENS1_30default_config_static_selectorELNS0_4arch9wavefront6targetE1EEEvT1_,comdat
.Lfunc_end4022:
	.size	_ZN7rocprim17ROCPRIM_400000_NS6detail17trampoline_kernelINS0_14default_configENS1_20scan_config_selectorIsEEZZNS1_9scan_implILNS1_25lookback_scan_determinismE0ELb0ELb0ES3_N6thrust23THRUST_200600_302600_NS6detail15normal_iteratorINS9_10device_ptrIsEEEENS9_16discard_iteratorINS9_11use_defaultEEEs11max_functorIsEsEEDaPvRmT3_T4_T5_mT6_P12ihipStream_tbENKUlT_T0_E_clISt17integral_constantIbLb1EESX_EEDaSS_ST_EUlSS_E_NS1_11comp_targetILNS1_3genE10ELNS1_11target_archE1200ELNS1_3gpuE4ELNS1_3repE0EEENS1_30default_config_static_selectorELNS0_4arch9wavefront6targetE1EEEvT1_, .Lfunc_end4022-_ZN7rocprim17ROCPRIM_400000_NS6detail17trampoline_kernelINS0_14default_configENS1_20scan_config_selectorIsEEZZNS1_9scan_implILNS1_25lookback_scan_determinismE0ELb0ELb0ES3_N6thrust23THRUST_200600_302600_NS6detail15normal_iteratorINS9_10device_ptrIsEEEENS9_16discard_iteratorINS9_11use_defaultEEEs11max_functorIsEsEEDaPvRmT3_T4_T5_mT6_P12ihipStream_tbENKUlT_T0_E_clISt17integral_constantIbLb1EESX_EEDaSS_ST_EUlSS_E_NS1_11comp_targetILNS1_3genE10ELNS1_11target_archE1200ELNS1_3gpuE4ELNS1_3repE0EEENS1_30default_config_static_selectorELNS0_4arch9wavefront6targetE1EEEvT1_
                                        ; -- End function
	.section	.AMDGPU.csdata,"",@progbits
; Kernel info:
; codeLenInByte = 0
; NumSgprs: 4
; NumVgprs: 0
; NumAgprs: 0
; TotalNumVgprs: 0
; ScratchSize: 0
; MemoryBound: 0
; FloatMode: 240
; IeeeMode: 1
; LDSByteSize: 0 bytes/workgroup (compile time only)
; SGPRBlocks: 0
; VGPRBlocks: 0
; NumSGPRsForWavesPerEU: 4
; NumVGPRsForWavesPerEU: 1
; AccumOffset: 4
; Occupancy: 8
; WaveLimiterHint : 0
; COMPUTE_PGM_RSRC2:SCRATCH_EN: 0
; COMPUTE_PGM_RSRC2:USER_SGPR: 6
; COMPUTE_PGM_RSRC2:TRAP_HANDLER: 0
; COMPUTE_PGM_RSRC2:TGID_X_EN: 1
; COMPUTE_PGM_RSRC2:TGID_Y_EN: 0
; COMPUTE_PGM_RSRC2:TGID_Z_EN: 0
; COMPUTE_PGM_RSRC2:TIDIG_COMP_CNT: 0
; COMPUTE_PGM_RSRC3_GFX90A:ACCUM_OFFSET: 0
; COMPUTE_PGM_RSRC3_GFX90A:TG_SPLIT: 0
	.section	.text._ZN7rocprim17ROCPRIM_400000_NS6detail17trampoline_kernelINS0_14default_configENS1_20scan_config_selectorIsEEZZNS1_9scan_implILNS1_25lookback_scan_determinismE0ELb0ELb0ES3_N6thrust23THRUST_200600_302600_NS6detail15normal_iteratorINS9_10device_ptrIsEEEENS9_16discard_iteratorINS9_11use_defaultEEEs11max_functorIsEsEEDaPvRmT3_T4_T5_mT6_P12ihipStream_tbENKUlT_T0_E_clISt17integral_constantIbLb1EESX_EEDaSS_ST_EUlSS_E_NS1_11comp_targetILNS1_3genE9ELNS1_11target_archE1100ELNS1_3gpuE3ELNS1_3repE0EEENS1_30default_config_static_selectorELNS0_4arch9wavefront6targetE1EEEvT1_,"axG",@progbits,_ZN7rocprim17ROCPRIM_400000_NS6detail17trampoline_kernelINS0_14default_configENS1_20scan_config_selectorIsEEZZNS1_9scan_implILNS1_25lookback_scan_determinismE0ELb0ELb0ES3_N6thrust23THRUST_200600_302600_NS6detail15normal_iteratorINS9_10device_ptrIsEEEENS9_16discard_iteratorINS9_11use_defaultEEEs11max_functorIsEsEEDaPvRmT3_T4_T5_mT6_P12ihipStream_tbENKUlT_T0_E_clISt17integral_constantIbLb1EESX_EEDaSS_ST_EUlSS_E_NS1_11comp_targetILNS1_3genE9ELNS1_11target_archE1100ELNS1_3gpuE3ELNS1_3repE0EEENS1_30default_config_static_selectorELNS0_4arch9wavefront6targetE1EEEvT1_,comdat
	.protected	_ZN7rocprim17ROCPRIM_400000_NS6detail17trampoline_kernelINS0_14default_configENS1_20scan_config_selectorIsEEZZNS1_9scan_implILNS1_25lookback_scan_determinismE0ELb0ELb0ES3_N6thrust23THRUST_200600_302600_NS6detail15normal_iteratorINS9_10device_ptrIsEEEENS9_16discard_iteratorINS9_11use_defaultEEEs11max_functorIsEsEEDaPvRmT3_T4_T5_mT6_P12ihipStream_tbENKUlT_T0_E_clISt17integral_constantIbLb1EESX_EEDaSS_ST_EUlSS_E_NS1_11comp_targetILNS1_3genE9ELNS1_11target_archE1100ELNS1_3gpuE3ELNS1_3repE0EEENS1_30default_config_static_selectorELNS0_4arch9wavefront6targetE1EEEvT1_ ; -- Begin function _ZN7rocprim17ROCPRIM_400000_NS6detail17trampoline_kernelINS0_14default_configENS1_20scan_config_selectorIsEEZZNS1_9scan_implILNS1_25lookback_scan_determinismE0ELb0ELb0ES3_N6thrust23THRUST_200600_302600_NS6detail15normal_iteratorINS9_10device_ptrIsEEEENS9_16discard_iteratorINS9_11use_defaultEEEs11max_functorIsEsEEDaPvRmT3_T4_T5_mT6_P12ihipStream_tbENKUlT_T0_E_clISt17integral_constantIbLb1EESX_EEDaSS_ST_EUlSS_E_NS1_11comp_targetILNS1_3genE9ELNS1_11target_archE1100ELNS1_3gpuE3ELNS1_3repE0EEENS1_30default_config_static_selectorELNS0_4arch9wavefront6targetE1EEEvT1_
	.globl	_ZN7rocprim17ROCPRIM_400000_NS6detail17trampoline_kernelINS0_14default_configENS1_20scan_config_selectorIsEEZZNS1_9scan_implILNS1_25lookback_scan_determinismE0ELb0ELb0ES3_N6thrust23THRUST_200600_302600_NS6detail15normal_iteratorINS9_10device_ptrIsEEEENS9_16discard_iteratorINS9_11use_defaultEEEs11max_functorIsEsEEDaPvRmT3_T4_T5_mT6_P12ihipStream_tbENKUlT_T0_E_clISt17integral_constantIbLb1EESX_EEDaSS_ST_EUlSS_E_NS1_11comp_targetILNS1_3genE9ELNS1_11target_archE1100ELNS1_3gpuE3ELNS1_3repE0EEENS1_30default_config_static_selectorELNS0_4arch9wavefront6targetE1EEEvT1_
	.p2align	8
	.type	_ZN7rocprim17ROCPRIM_400000_NS6detail17trampoline_kernelINS0_14default_configENS1_20scan_config_selectorIsEEZZNS1_9scan_implILNS1_25lookback_scan_determinismE0ELb0ELb0ES3_N6thrust23THRUST_200600_302600_NS6detail15normal_iteratorINS9_10device_ptrIsEEEENS9_16discard_iteratorINS9_11use_defaultEEEs11max_functorIsEsEEDaPvRmT3_T4_T5_mT6_P12ihipStream_tbENKUlT_T0_E_clISt17integral_constantIbLb1EESX_EEDaSS_ST_EUlSS_E_NS1_11comp_targetILNS1_3genE9ELNS1_11target_archE1100ELNS1_3gpuE3ELNS1_3repE0EEENS1_30default_config_static_selectorELNS0_4arch9wavefront6targetE1EEEvT1_,@function
_ZN7rocprim17ROCPRIM_400000_NS6detail17trampoline_kernelINS0_14default_configENS1_20scan_config_selectorIsEEZZNS1_9scan_implILNS1_25lookback_scan_determinismE0ELb0ELb0ES3_N6thrust23THRUST_200600_302600_NS6detail15normal_iteratorINS9_10device_ptrIsEEEENS9_16discard_iteratorINS9_11use_defaultEEEs11max_functorIsEsEEDaPvRmT3_T4_T5_mT6_P12ihipStream_tbENKUlT_T0_E_clISt17integral_constantIbLb1EESX_EEDaSS_ST_EUlSS_E_NS1_11comp_targetILNS1_3genE9ELNS1_11target_archE1100ELNS1_3gpuE3ELNS1_3repE0EEENS1_30default_config_static_selectorELNS0_4arch9wavefront6targetE1EEEvT1_: ; @_ZN7rocprim17ROCPRIM_400000_NS6detail17trampoline_kernelINS0_14default_configENS1_20scan_config_selectorIsEEZZNS1_9scan_implILNS1_25lookback_scan_determinismE0ELb0ELb0ES3_N6thrust23THRUST_200600_302600_NS6detail15normal_iteratorINS9_10device_ptrIsEEEENS9_16discard_iteratorINS9_11use_defaultEEEs11max_functorIsEsEEDaPvRmT3_T4_T5_mT6_P12ihipStream_tbENKUlT_T0_E_clISt17integral_constantIbLb1EESX_EEDaSS_ST_EUlSS_E_NS1_11comp_targetILNS1_3genE9ELNS1_11target_archE1100ELNS1_3gpuE3ELNS1_3repE0EEENS1_30default_config_static_selectorELNS0_4arch9wavefront6targetE1EEEvT1_
; %bb.0:
	.section	.rodata,"a",@progbits
	.p2align	6, 0x0
	.amdhsa_kernel _ZN7rocprim17ROCPRIM_400000_NS6detail17trampoline_kernelINS0_14default_configENS1_20scan_config_selectorIsEEZZNS1_9scan_implILNS1_25lookback_scan_determinismE0ELb0ELb0ES3_N6thrust23THRUST_200600_302600_NS6detail15normal_iteratorINS9_10device_ptrIsEEEENS9_16discard_iteratorINS9_11use_defaultEEEs11max_functorIsEsEEDaPvRmT3_T4_T5_mT6_P12ihipStream_tbENKUlT_T0_E_clISt17integral_constantIbLb1EESX_EEDaSS_ST_EUlSS_E_NS1_11comp_targetILNS1_3genE9ELNS1_11target_archE1100ELNS1_3gpuE3ELNS1_3repE0EEENS1_30default_config_static_selectorELNS0_4arch9wavefront6targetE1EEEvT1_
		.amdhsa_group_segment_fixed_size 0
		.amdhsa_private_segment_fixed_size 0
		.amdhsa_kernarg_size 104
		.amdhsa_user_sgpr_count 6
		.amdhsa_user_sgpr_private_segment_buffer 1
		.amdhsa_user_sgpr_dispatch_ptr 0
		.amdhsa_user_sgpr_queue_ptr 0
		.amdhsa_user_sgpr_kernarg_segment_ptr 1
		.amdhsa_user_sgpr_dispatch_id 0
		.amdhsa_user_sgpr_flat_scratch_init 0
		.amdhsa_user_sgpr_kernarg_preload_length 0
		.amdhsa_user_sgpr_kernarg_preload_offset 0
		.amdhsa_user_sgpr_private_segment_size 0
		.amdhsa_uses_dynamic_stack 0
		.amdhsa_system_sgpr_private_segment_wavefront_offset 0
		.amdhsa_system_sgpr_workgroup_id_x 1
		.amdhsa_system_sgpr_workgroup_id_y 0
		.amdhsa_system_sgpr_workgroup_id_z 0
		.amdhsa_system_sgpr_workgroup_info 0
		.amdhsa_system_vgpr_workitem_id 0
		.amdhsa_next_free_vgpr 1
		.amdhsa_next_free_sgpr 0
		.amdhsa_accum_offset 4
		.amdhsa_reserve_vcc 0
		.amdhsa_reserve_flat_scratch 0
		.amdhsa_float_round_mode_32 0
		.amdhsa_float_round_mode_16_64 0
		.amdhsa_float_denorm_mode_32 3
		.amdhsa_float_denorm_mode_16_64 3
		.amdhsa_dx10_clamp 1
		.amdhsa_ieee_mode 1
		.amdhsa_fp16_overflow 0
		.amdhsa_tg_split 0
		.amdhsa_exception_fp_ieee_invalid_op 0
		.amdhsa_exception_fp_denorm_src 0
		.amdhsa_exception_fp_ieee_div_zero 0
		.amdhsa_exception_fp_ieee_overflow 0
		.amdhsa_exception_fp_ieee_underflow 0
		.amdhsa_exception_fp_ieee_inexact 0
		.amdhsa_exception_int_div_zero 0
	.end_amdhsa_kernel
	.section	.text._ZN7rocprim17ROCPRIM_400000_NS6detail17trampoline_kernelINS0_14default_configENS1_20scan_config_selectorIsEEZZNS1_9scan_implILNS1_25lookback_scan_determinismE0ELb0ELb0ES3_N6thrust23THRUST_200600_302600_NS6detail15normal_iteratorINS9_10device_ptrIsEEEENS9_16discard_iteratorINS9_11use_defaultEEEs11max_functorIsEsEEDaPvRmT3_T4_T5_mT6_P12ihipStream_tbENKUlT_T0_E_clISt17integral_constantIbLb1EESX_EEDaSS_ST_EUlSS_E_NS1_11comp_targetILNS1_3genE9ELNS1_11target_archE1100ELNS1_3gpuE3ELNS1_3repE0EEENS1_30default_config_static_selectorELNS0_4arch9wavefront6targetE1EEEvT1_,"axG",@progbits,_ZN7rocprim17ROCPRIM_400000_NS6detail17trampoline_kernelINS0_14default_configENS1_20scan_config_selectorIsEEZZNS1_9scan_implILNS1_25lookback_scan_determinismE0ELb0ELb0ES3_N6thrust23THRUST_200600_302600_NS6detail15normal_iteratorINS9_10device_ptrIsEEEENS9_16discard_iteratorINS9_11use_defaultEEEs11max_functorIsEsEEDaPvRmT3_T4_T5_mT6_P12ihipStream_tbENKUlT_T0_E_clISt17integral_constantIbLb1EESX_EEDaSS_ST_EUlSS_E_NS1_11comp_targetILNS1_3genE9ELNS1_11target_archE1100ELNS1_3gpuE3ELNS1_3repE0EEENS1_30default_config_static_selectorELNS0_4arch9wavefront6targetE1EEEvT1_,comdat
.Lfunc_end4023:
	.size	_ZN7rocprim17ROCPRIM_400000_NS6detail17trampoline_kernelINS0_14default_configENS1_20scan_config_selectorIsEEZZNS1_9scan_implILNS1_25lookback_scan_determinismE0ELb0ELb0ES3_N6thrust23THRUST_200600_302600_NS6detail15normal_iteratorINS9_10device_ptrIsEEEENS9_16discard_iteratorINS9_11use_defaultEEEs11max_functorIsEsEEDaPvRmT3_T4_T5_mT6_P12ihipStream_tbENKUlT_T0_E_clISt17integral_constantIbLb1EESX_EEDaSS_ST_EUlSS_E_NS1_11comp_targetILNS1_3genE9ELNS1_11target_archE1100ELNS1_3gpuE3ELNS1_3repE0EEENS1_30default_config_static_selectorELNS0_4arch9wavefront6targetE1EEEvT1_, .Lfunc_end4023-_ZN7rocprim17ROCPRIM_400000_NS6detail17trampoline_kernelINS0_14default_configENS1_20scan_config_selectorIsEEZZNS1_9scan_implILNS1_25lookback_scan_determinismE0ELb0ELb0ES3_N6thrust23THRUST_200600_302600_NS6detail15normal_iteratorINS9_10device_ptrIsEEEENS9_16discard_iteratorINS9_11use_defaultEEEs11max_functorIsEsEEDaPvRmT3_T4_T5_mT6_P12ihipStream_tbENKUlT_T0_E_clISt17integral_constantIbLb1EESX_EEDaSS_ST_EUlSS_E_NS1_11comp_targetILNS1_3genE9ELNS1_11target_archE1100ELNS1_3gpuE3ELNS1_3repE0EEENS1_30default_config_static_selectorELNS0_4arch9wavefront6targetE1EEEvT1_
                                        ; -- End function
	.section	.AMDGPU.csdata,"",@progbits
; Kernel info:
; codeLenInByte = 0
; NumSgprs: 4
; NumVgprs: 0
; NumAgprs: 0
; TotalNumVgprs: 0
; ScratchSize: 0
; MemoryBound: 0
; FloatMode: 240
; IeeeMode: 1
; LDSByteSize: 0 bytes/workgroup (compile time only)
; SGPRBlocks: 0
; VGPRBlocks: 0
; NumSGPRsForWavesPerEU: 4
; NumVGPRsForWavesPerEU: 1
; AccumOffset: 4
; Occupancy: 8
; WaveLimiterHint : 0
; COMPUTE_PGM_RSRC2:SCRATCH_EN: 0
; COMPUTE_PGM_RSRC2:USER_SGPR: 6
; COMPUTE_PGM_RSRC2:TRAP_HANDLER: 0
; COMPUTE_PGM_RSRC2:TGID_X_EN: 1
; COMPUTE_PGM_RSRC2:TGID_Y_EN: 0
; COMPUTE_PGM_RSRC2:TGID_Z_EN: 0
; COMPUTE_PGM_RSRC2:TIDIG_COMP_CNT: 0
; COMPUTE_PGM_RSRC3_GFX90A:ACCUM_OFFSET: 0
; COMPUTE_PGM_RSRC3_GFX90A:TG_SPLIT: 0
	.section	.text._ZN7rocprim17ROCPRIM_400000_NS6detail17trampoline_kernelINS0_14default_configENS1_20scan_config_selectorIsEEZZNS1_9scan_implILNS1_25lookback_scan_determinismE0ELb0ELb0ES3_N6thrust23THRUST_200600_302600_NS6detail15normal_iteratorINS9_10device_ptrIsEEEENS9_16discard_iteratorINS9_11use_defaultEEEs11max_functorIsEsEEDaPvRmT3_T4_T5_mT6_P12ihipStream_tbENKUlT_T0_E_clISt17integral_constantIbLb1EESX_EEDaSS_ST_EUlSS_E_NS1_11comp_targetILNS1_3genE8ELNS1_11target_archE1030ELNS1_3gpuE2ELNS1_3repE0EEENS1_30default_config_static_selectorELNS0_4arch9wavefront6targetE1EEEvT1_,"axG",@progbits,_ZN7rocprim17ROCPRIM_400000_NS6detail17trampoline_kernelINS0_14default_configENS1_20scan_config_selectorIsEEZZNS1_9scan_implILNS1_25lookback_scan_determinismE0ELb0ELb0ES3_N6thrust23THRUST_200600_302600_NS6detail15normal_iteratorINS9_10device_ptrIsEEEENS9_16discard_iteratorINS9_11use_defaultEEEs11max_functorIsEsEEDaPvRmT3_T4_T5_mT6_P12ihipStream_tbENKUlT_T0_E_clISt17integral_constantIbLb1EESX_EEDaSS_ST_EUlSS_E_NS1_11comp_targetILNS1_3genE8ELNS1_11target_archE1030ELNS1_3gpuE2ELNS1_3repE0EEENS1_30default_config_static_selectorELNS0_4arch9wavefront6targetE1EEEvT1_,comdat
	.protected	_ZN7rocprim17ROCPRIM_400000_NS6detail17trampoline_kernelINS0_14default_configENS1_20scan_config_selectorIsEEZZNS1_9scan_implILNS1_25lookback_scan_determinismE0ELb0ELb0ES3_N6thrust23THRUST_200600_302600_NS6detail15normal_iteratorINS9_10device_ptrIsEEEENS9_16discard_iteratorINS9_11use_defaultEEEs11max_functorIsEsEEDaPvRmT3_T4_T5_mT6_P12ihipStream_tbENKUlT_T0_E_clISt17integral_constantIbLb1EESX_EEDaSS_ST_EUlSS_E_NS1_11comp_targetILNS1_3genE8ELNS1_11target_archE1030ELNS1_3gpuE2ELNS1_3repE0EEENS1_30default_config_static_selectorELNS0_4arch9wavefront6targetE1EEEvT1_ ; -- Begin function _ZN7rocprim17ROCPRIM_400000_NS6detail17trampoline_kernelINS0_14default_configENS1_20scan_config_selectorIsEEZZNS1_9scan_implILNS1_25lookback_scan_determinismE0ELb0ELb0ES3_N6thrust23THRUST_200600_302600_NS6detail15normal_iteratorINS9_10device_ptrIsEEEENS9_16discard_iteratorINS9_11use_defaultEEEs11max_functorIsEsEEDaPvRmT3_T4_T5_mT6_P12ihipStream_tbENKUlT_T0_E_clISt17integral_constantIbLb1EESX_EEDaSS_ST_EUlSS_E_NS1_11comp_targetILNS1_3genE8ELNS1_11target_archE1030ELNS1_3gpuE2ELNS1_3repE0EEENS1_30default_config_static_selectorELNS0_4arch9wavefront6targetE1EEEvT1_
	.globl	_ZN7rocprim17ROCPRIM_400000_NS6detail17trampoline_kernelINS0_14default_configENS1_20scan_config_selectorIsEEZZNS1_9scan_implILNS1_25lookback_scan_determinismE0ELb0ELb0ES3_N6thrust23THRUST_200600_302600_NS6detail15normal_iteratorINS9_10device_ptrIsEEEENS9_16discard_iteratorINS9_11use_defaultEEEs11max_functorIsEsEEDaPvRmT3_T4_T5_mT6_P12ihipStream_tbENKUlT_T0_E_clISt17integral_constantIbLb1EESX_EEDaSS_ST_EUlSS_E_NS1_11comp_targetILNS1_3genE8ELNS1_11target_archE1030ELNS1_3gpuE2ELNS1_3repE0EEENS1_30default_config_static_selectorELNS0_4arch9wavefront6targetE1EEEvT1_
	.p2align	8
	.type	_ZN7rocprim17ROCPRIM_400000_NS6detail17trampoline_kernelINS0_14default_configENS1_20scan_config_selectorIsEEZZNS1_9scan_implILNS1_25lookback_scan_determinismE0ELb0ELb0ES3_N6thrust23THRUST_200600_302600_NS6detail15normal_iteratorINS9_10device_ptrIsEEEENS9_16discard_iteratorINS9_11use_defaultEEEs11max_functorIsEsEEDaPvRmT3_T4_T5_mT6_P12ihipStream_tbENKUlT_T0_E_clISt17integral_constantIbLb1EESX_EEDaSS_ST_EUlSS_E_NS1_11comp_targetILNS1_3genE8ELNS1_11target_archE1030ELNS1_3gpuE2ELNS1_3repE0EEENS1_30default_config_static_selectorELNS0_4arch9wavefront6targetE1EEEvT1_,@function
_ZN7rocprim17ROCPRIM_400000_NS6detail17trampoline_kernelINS0_14default_configENS1_20scan_config_selectorIsEEZZNS1_9scan_implILNS1_25lookback_scan_determinismE0ELb0ELb0ES3_N6thrust23THRUST_200600_302600_NS6detail15normal_iteratorINS9_10device_ptrIsEEEENS9_16discard_iteratorINS9_11use_defaultEEEs11max_functorIsEsEEDaPvRmT3_T4_T5_mT6_P12ihipStream_tbENKUlT_T0_E_clISt17integral_constantIbLb1EESX_EEDaSS_ST_EUlSS_E_NS1_11comp_targetILNS1_3genE8ELNS1_11target_archE1030ELNS1_3gpuE2ELNS1_3repE0EEENS1_30default_config_static_selectorELNS0_4arch9wavefront6targetE1EEEvT1_: ; @_ZN7rocprim17ROCPRIM_400000_NS6detail17trampoline_kernelINS0_14default_configENS1_20scan_config_selectorIsEEZZNS1_9scan_implILNS1_25lookback_scan_determinismE0ELb0ELb0ES3_N6thrust23THRUST_200600_302600_NS6detail15normal_iteratorINS9_10device_ptrIsEEEENS9_16discard_iteratorINS9_11use_defaultEEEs11max_functorIsEsEEDaPvRmT3_T4_T5_mT6_P12ihipStream_tbENKUlT_T0_E_clISt17integral_constantIbLb1EESX_EEDaSS_ST_EUlSS_E_NS1_11comp_targetILNS1_3genE8ELNS1_11target_archE1030ELNS1_3gpuE2ELNS1_3repE0EEENS1_30default_config_static_selectorELNS0_4arch9wavefront6targetE1EEEvT1_
; %bb.0:
	.section	.rodata,"a",@progbits
	.p2align	6, 0x0
	.amdhsa_kernel _ZN7rocprim17ROCPRIM_400000_NS6detail17trampoline_kernelINS0_14default_configENS1_20scan_config_selectorIsEEZZNS1_9scan_implILNS1_25lookback_scan_determinismE0ELb0ELb0ES3_N6thrust23THRUST_200600_302600_NS6detail15normal_iteratorINS9_10device_ptrIsEEEENS9_16discard_iteratorINS9_11use_defaultEEEs11max_functorIsEsEEDaPvRmT3_T4_T5_mT6_P12ihipStream_tbENKUlT_T0_E_clISt17integral_constantIbLb1EESX_EEDaSS_ST_EUlSS_E_NS1_11comp_targetILNS1_3genE8ELNS1_11target_archE1030ELNS1_3gpuE2ELNS1_3repE0EEENS1_30default_config_static_selectorELNS0_4arch9wavefront6targetE1EEEvT1_
		.amdhsa_group_segment_fixed_size 0
		.amdhsa_private_segment_fixed_size 0
		.amdhsa_kernarg_size 104
		.amdhsa_user_sgpr_count 6
		.amdhsa_user_sgpr_private_segment_buffer 1
		.amdhsa_user_sgpr_dispatch_ptr 0
		.amdhsa_user_sgpr_queue_ptr 0
		.amdhsa_user_sgpr_kernarg_segment_ptr 1
		.amdhsa_user_sgpr_dispatch_id 0
		.amdhsa_user_sgpr_flat_scratch_init 0
		.amdhsa_user_sgpr_kernarg_preload_length 0
		.amdhsa_user_sgpr_kernarg_preload_offset 0
		.amdhsa_user_sgpr_private_segment_size 0
		.amdhsa_uses_dynamic_stack 0
		.amdhsa_system_sgpr_private_segment_wavefront_offset 0
		.amdhsa_system_sgpr_workgroup_id_x 1
		.amdhsa_system_sgpr_workgroup_id_y 0
		.amdhsa_system_sgpr_workgroup_id_z 0
		.amdhsa_system_sgpr_workgroup_info 0
		.amdhsa_system_vgpr_workitem_id 0
		.amdhsa_next_free_vgpr 1
		.amdhsa_next_free_sgpr 0
		.amdhsa_accum_offset 4
		.amdhsa_reserve_vcc 0
		.amdhsa_reserve_flat_scratch 0
		.amdhsa_float_round_mode_32 0
		.amdhsa_float_round_mode_16_64 0
		.amdhsa_float_denorm_mode_32 3
		.amdhsa_float_denorm_mode_16_64 3
		.amdhsa_dx10_clamp 1
		.amdhsa_ieee_mode 1
		.amdhsa_fp16_overflow 0
		.amdhsa_tg_split 0
		.amdhsa_exception_fp_ieee_invalid_op 0
		.amdhsa_exception_fp_denorm_src 0
		.amdhsa_exception_fp_ieee_div_zero 0
		.amdhsa_exception_fp_ieee_overflow 0
		.amdhsa_exception_fp_ieee_underflow 0
		.amdhsa_exception_fp_ieee_inexact 0
		.amdhsa_exception_int_div_zero 0
	.end_amdhsa_kernel
	.section	.text._ZN7rocprim17ROCPRIM_400000_NS6detail17trampoline_kernelINS0_14default_configENS1_20scan_config_selectorIsEEZZNS1_9scan_implILNS1_25lookback_scan_determinismE0ELb0ELb0ES3_N6thrust23THRUST_200600_302600_NS6detail15normal_iteratorINS9_10device_ptrIsEEEENS9_16discard_iteratorINS9_11use_defaultEEEs11max_functorIsEsEEDaPvRmT3_T4_T5_mT6_P12ihipStream_tbENKUlT_T0_E_clISt17integral_constantIbLb1EESX_EEDaSS_ST_EUlSS_E_NS1_11comp_targetILNS1_3genE8ELNS1_11target_archE1030ELNS1_3gpuE2ELNS1_3repE0EEENS1_30default_config_static_selectorELNS0_4arch9wavefront6targetE1EEEvT1_,"axG",@progbits,_ZN7rocprim17ROCPRIM_400000_NS6detail17trampoline_kernelINS0_14default_configENS1_20scan_config_selectorIsEEZZNS1_9scan_implILNS1_25lookback_scan_determinismE0ELb0ELb0ES3_N6thrust23THRUST_200600_302600_NS6detail15normal_iteratorINS9_10device_ptrIsEEEENS9_16discard_iteratorINS9_11use_defaultEEEs11max_functorIsEsEEDaPvRmT3_T4_T5_mT6_P12ihipStream_tbENKUlT_T0_E_clISt17integral_constantIbLb1EESX_EEDaSS_ST_EUlSS_E_NS1_11comp_targetILNS1_3genE8ELNS1_11target_archE1030ELNS1_3gpuE2ELNS1_3repE0EEENS1_30default_config_static_selectorELNS0_4arch9wavefront6targetE1EEEvT1_,comdat
.Lfunc_end4024:
	.size	_ZN7rocprim17ROCPRIM_400000_NS6detail17trampoline_kernelINS0_14default_configENS1_20scan_config_selectorIsEEZZNS1_9scan_implILNS1_25lookback_scan_determinismE0ELb0ELb0ES3_N6thrust23THRUST_200600_302600_NS6detail15normal_iteratorINS9_10device_ptrIsEEEENS9_16discard_iteratorINS9_11use_defaultEEEs11max_functorIsEsEEDaPvRmT3_T4_T5_mT6_P12ihipStream_tbENKUlT_T0_E_clISt17integral_constantIbLb1EESX_EEDaSS_ST_EUlSS_E_NS1_11comp_targetILNS1_3genE8ELNS1_11target_archE1030ELNS1_3gpuE2ELNS1_3repE0EEENS1_30default_config_static_selectorELNS0_4arch9wavefront6targetE1EEEvT1_, .Lfunc_end4024-_ZN7rocprim17ROCPRIM_400000_NS6detail17trampoline_kernelINS0_14default_configENS1_20scan_config_selectorIsEEZZNS1_9scan_implILNS1_25lookback_scan_determinismE0ELb0ELb0ES3_N6thrust23THRUST_200600_302600_NS6detail15normal_iteratorINS9_10device_ptrIsEEEENS9_16discard_iteratorINS9_11use_defaultEEEs11max_functorIsEsEEDaPvRmT3_T4_T5_mT6_P12ihipStream_tbENKUlT_T0_E_clISt17integral_constantIbLb1EESX_EEDaSS_ST_EUlSS_E_NS1_11comp_targetILNS1_3genE8ELNS1_11target_archE1030ELNS1_3gpuE2ELNS1_3repE0EEENS1_30default_config_static_selectorELNS0_4arch9wavefront6targetE1EEEvT1_
                                        ; -- End function
	.section	.AMDGPU.csdata,"",@progbits
; Kernel info:
; codeLenInByte = 0
; NumSgprs: 4
; NumVgprs: 0
; NumAgprs: 0
; TotalNumVgprs: 0
; ScratchSize: 0
; MemoryBound: 0
; FloatMode: 240
; IeeeMode: 1
; LDSByteSize: 0 bytes/workgroup (compile time only)
; SGPRBlocks: 0
; VGPRBlocks: 0
; NumSGPRsForWavesPerEU: 4
; NumVGPRsForWavesPerEU: 1
; AccumOffset: 4
; Occupancy: 8
; WaveLimiterHint : 0
; COMPUTE_PGM_RSRC2:SCRATCH_EN: 0
; COMPUTE_PGM_RSRC2:USER_SGPR: 6
; COMPUTE_PGM_RSRC2:TRAP_HANDLER: 0
; COMPUTE_PGM_RSRC2:TGID_X_EN: 1
; COMPUTE_PGM_RSRC2:TGID_Y_EN: 0
; COMPUTE_PGM_RSRC2:TGID_Z_EN: 0
; COMPUTE_PGM_RSRC2:TIDIG_COMP_CNT: 0
; COMPUTE_PGM_RSRC3_GFX90A:ACCUM_OFFSET: 0
; COMPUTE_PGM_RSRC3_GFX90A:TG_SPLIT: 0
	.section	.text._ZN7rocprim17ROCPRIM_400000_NS6detail17trampoline_kernelINS0_14default_configENS1_20scan_config_selectorIsEEZZNS1_9scan_implILNS1_25lookback_scan_determinismE0ELb0ELb0ES3_N6thrust23THRUST_200600_302600_NS6detail15normal_iteratorINS9_10device_ptrIsEEEENS9_16discard_iteratorINS9_11use_defaultEEEs11max_functorIsEsEEDaPvRmT3_T4_T5_mT6_P12ihipStream_tbENKUlT_T0_E_clISt17integral_constantIbLb1EESX_EEDaSS_ST_EUlSS_E0_NS1_11comp_targetILNS1_3genE0ELNS1_11target_archE4294967295ELNS1_3gpuE0ELNS1_3repE0EEENS1_30default_config_static_selectorELNS0_4arch9wavefront6targetE1EEEvT1_,"axG",@progbits,_ZN7rocprim17ROCPRIM_400000_NS6detail17trampoline_kernelINS0_14default_configENS1_20scan_config_selectorIsEEZZNS1_9scan_implILNS1_25lookback_scan_determinismE0ELb0ELb0ES3_N6thrust23THRUST_200600_302600_NS6detail15normal_iteratorINS9_10device_ptrIsEEEENS9_16discard_iteratorINS9_11use_defaultEEEs11max_functorIsEsEEDaPvRmT3_T4_T5_mT6_P12ihipStream_tbENKUlT_T0_E_clISt17integral_constantIbLb1EESX_EEDaSS_ST_EUlSS_E0_NS1_11comp_targetILNS1_3genE0ELNS1_11target_archE4294967295ELNS1_3gpuE0ELNS1_3repE0EEENS1_30default_config_static_selectorELNS0_4arch9wavefront6targetE1EEEvT1_,comdat
	.protected	_ZN7rocprim17ROCPRIM_400000_NS6detail17trampoline_kernelINS0_14default_configENS1_20scan_config_selectorIsEEZZNS1_9scan_implILNS1_25lookback_scan_determinismE0ELb0ELb0ES3_N6thrust23THRUST_200600_302600_NS6detail15normal_iteratorINS9_10device_ptrIsEEEENS9_16discard_iteratorINS9_11use_defaultEEEs11max_functorIsEsEEDaPvRmT3_T4_T5_mT6_P12ihipStream_tbENKUlT_T0_E_clISt17integral_constantIbLb1EESX_EEDaSS_ST_EUlSS_E0_NS1_11comp_targetILNS1_3genE0ELNS1_11target_archE4294967295ELNS1_3gpuE0ELNS1_3repE0EEENS1_30default_config_static_selectorELNS0_4arch9wavefront6targetE1EEEvT1_ ; -- Begin function _ZN7rocprim17ROCPRIM_400000_NS6detail17trampoline_kernelINS0_14default_configENS1_20scan_config_selectorIsEEZZNS1_9scan_implILNS1_25lookback_scan_determinismE0ELb0ELb0ES3_N6thrust23THRUST_200600_302600_NS6detail15normal_iteratorINS9_10device_ptrIsEEEENS9_16discard_iteratorINS9_11use_defaultEEEs11max_functorIsEsEEDaPvRmT3_T4_T5_mT6_P12ihipStream_tbENKUlT_T0_E_clISt17integral_constantIbLb1EESX_EEDaSS_ST_EUlSS_E0_NS1_11comp_targetILNS1_3genE0ELNS1_11target_archE4294967295ELNS1_3gpuE0ELNS1_3repE0EEENS1_30default_config_static_selectorELNS0_4arch9wavefront6targetE1EEEvT1_
	.globl	_ZN7rocprim17ROCPRIM_400000_NS6detail17trampoline_kernelINS0_14default_configENS1_20scan_config_selectorIsEEZZNS1_9scan_implILNS1_25lookback_scan_determinismE0ELb0ELb0ES3_N6thrust23THRUST_200600_302600_NS6detail15normal_iteratorINS9_10device_ptrIsEEEENS9_16discard_iteratorINS9_11use_defaultEEEs11max_functorIsEsEEDaPvRmT3_T4_T5_mT6_P12ihipStream_tbENKUlT_T0_E_clISt17integral_constantIbLb1EESX_EEDaSS_ST_EUlSS_E0_NS1_11comp_targetILNS1_3genE0ELNS1_11target_archE4294967295ELNS1_3gpuE0ELNS1_3repE0EEENS1_30default_config_static_selectorELNS0_4arch9wavefront6targetE1EEEvT1_
	.p2align	8
	.type	_ZN7rocprim17ROCPRIM_400000_NS6detail17trampoline_kernelINS0_14default_configENS1_20scan_config_selectorIsEEZZNS1_9scan_implILNS1_25lookback_scan_determinismE0ELb0ELb0ES3_N6thrust23THRUST_200600_302600_NS6detail15normal_iteratorINS9_10device_ptrIsEEEENS9_16discard_iteratorINS9_11use_defaultEEEs11max_functorIsEsEEDaPvRmT3_T4_T5_mT6_P12ihipStream_tbENKUlT_T0_E_clISt17integral_constantIbLb1EESX_EEDaSS_ST_EUlSS_E0_NS1_11comp_targetILNS1_3genE0ELNS1_11target_archE4294967295ELNS1_3gpuE0ELNS1_3repE0EEENS1_30default_config_static_selectorELNS0_4arch9wavefront6targetE1EEEvT1_,@function
_ZN7rocprim17ROCPRIM_400000_NS6detail17trampoline_kernelINS0_14default_configENS1_20scan_config_selectorIsEEZZNS1_9scan_implILNS1_25lookback_scan_determinismE0ELb0ELb0ES3_N6thrust23THRUST_200600_302600_NS6detail15normal_iteratorINS9_10device_ptrIsEEEENS9_16discard_iteratorINS9_11use_defaultEEEs11max_functorIsEsEEDaPvRmT3_T4_T5_mT6_P12ihipStream_tbENKUlT_T0_E_clISt17integral_constantIbLb1EESX_EEDaSS_ST_EUlSS_E0_NS1_11comp_targetILNS1_3genE0ELNS1_11target_archE4294967295ELNS1_3gpuE0ELNS1_3repE0EEENS1_30default_config_static_selectorELNS0_4arch9wavefront6targetE1EEEvT1_: ; @_ZN7rocprim17ROCPRIM_400000_NS6detail17trampoline_kernelINS0_14default_configENS1_20scan_config_selectorIsEEZZNS1_9scan_implILNS1_25lookback_scan_determinismE0ELb0ELb0ES3_N6thrust23THRUST_200600_302600_NS6detail15normal_iteratorINS9_10device_ptrIsEEEENS9_16discard_iteratorINS9_11use_defaultEEEs11max_functorIsEsEEDaPvRmT3_T4_T5_mT6_P12ihipStream_tbENKUlT_T0_E_clISt17integral_constantIbLb1EESX_EEDaSS_ST_EUlSS_E0_NS1_11comp_targetILNS1_3genE0ELNS1_11target_archE4294967295ELNS1_3gpuE0ELNS1_3repE0EEENS1_30default_config_static_selectorELNS0_4arch9wavefront6targetE1EEEvT1_
; %bb.0:
	.section	.rodata,"a",@progbits
	.p2align	6, 0x0
	.amdhsa_kernel _ZN7rocprim17ROCPRIM_400000_NS6detail17trampoline_kernelINS0_14default_configENS1_20scan_config_selectorIsEEZZNS1_9scan_implILNS1_25lookback_scan_determinismE0ELb0ELb0ES3_N6thrust23THRUST_200600_302600_NS6detail15normal_iteratorINS9_10device_ptrIsEEEENS9_16discard_iteratorINS9_11use_defaultEEEs11max_functorIsEsEEDaPvRmT3_T4_T5_mT6_P12ihipStream_tbENKUlT_T0_E_clISt17integral_constantIbLb1EESX_EEDaSS_ST_EUlSS_E0_NS1_11comp_targetILNS1_3genE0ELNS1_11target_archE4294967295ELNS1_3gpuE0ELNS1_3repE0EEENS1_30default_config_static_selectorELNS0_4arch9wavefront6targetE1EEEvT1_
		.amdhsa_group_segment_fixed_size 0
		.amdhsa_private_segment_fixed_size 0
		.amdhsa_kernarg_size 40
		.amdhsa_user_sgpr_count 6
		.amdhsa_user_sgpr_private_segment_buffer 1
		.amdhsa_user_sgpr_dispatch_ptr 0
		.amdhsa_user_sgpr_queue_ptr 0
		.amdhsa_user_sgpr_kernarg_segment_ptr 1
		.amdhsa_user_sgpr_dispatch_id 0
		.amdhsa_user_sgpr_flat_scratch_init 0
		.amdhsa_user_sgpr_kernarg_preload_length 0
		.amdhsa_user_sgpr_kernarg_preload_offset 0
		.amdhsa_user_sgpr_private_segment_size 0
		.amdhsa_uses_dynamic_stack 0
		.amdhsa_system_sgpr_private_segment_wavefront_offset 0
		.amdhsa_system_sgpr_workgroup_id_x 1
		.amdhsa_system_sgpr_workgroup_id_y 0
		.amdhsa_system_sgpr_workgroup_id_z 0
		.amdhsa_system_sgpr_workgroup_info 0
		.amdhsa_system_vgpr_workitem_id 0
		.amdhsa_next_free_vgpr 1
		.amdhsa_next_free_sgpr 0
		.amdhsa_accum_offset 4
		.amdhsa_reserve_vcc 0
		.amdhsa_reserve_flat_scratch 0
		.amdhsa_float_round_mode_32 0
		.amdhsa_float_round_mode_16_64 0
		.amdhsa_float_denorm_mode_32 3
		.amdhsa_float_denorm_mode_16_64 3
		.amdhsa_dx10_clamp 1
		.amdhsa_ieee_mode 1
		.amdhsa_fp16_overflow 0
		.amdhsa_tg_split 0
		.amdhsa_exception_fp_ieee_invalid_op 0
		.amdhsa_exception_fp_denorm_src 0
		.amdhsa_exception_fp_ieee_div_zero 0
		.amdhsa_exception_fp_ieee_overflow 0
		.amdhsa_exception_fp_ieee_underflow 0
		.amdhsa_exception_fp_ieee_inexact 0
		.amdhsa_exception_int_div_zero 0
	.end_amdhsa_kernel
	.section	.text._ZN7rocprim17ROCPRIM_400000_NS6detail17trampoline_kernelINS0_14default_configENS1_20scan_config_selectorIsEEZZNS1_9scan_implILNS1_25lookback_scan_determinismE0ELb0ELb0ES3_N6thrust23THRUST_200600_302600_NS6detail15normal_iteratorINS9_10device_ptrIsEEEENS9_16discard_iteratorINS9_11use_defaultEEEs11max_functorIsEsEEDaPvRmT3_T4_T5_mT6_P12ihipStream_tbENKUlT_T0_E_clISt17integral_constantIbLb1EESX_EEDaSS_ST_EUlSS_E0_NS1_11comp_targetILNS1_3genE0ELNS1_11target_archE4294967295ELNS1_3gpuE0ELNS1_3repE0EEENS1_30default_config_static_selectorELNS0_4arch9wavefront6targetE1EEEvT1_,"axG",@progbits,_ZN7rocprim17ROCPRIM_400000_NS6detail17trampoline_kernelINS0_14default_configENS1_20scan_config_selectorIsEEZZNS1_9scan_implILNS1_25lookback_scan_determinismE0ELb0ELb0ES3_N6thrust23THRUST_200600_302600_NS6detail15normal_iteratorINS9_10device_ptrIsEEEENS9_16discard_iteratorINS9_11use_defaultEEEs11max_functorIsEsEEDaPvRmT3_T4_T5_mT6_P12ihipStream_tbENKUlT_T0_E_clISt17integral_constantIbLb1EESX_EEDaSS_ST_EUlSS_E0_NS1_11comp_targetILNS1_3genE0ELNS1_11target_archE4294967295ELNS1_3gpuE0ELNS1_3repE0EEENS1_30default_config_static_selectorELNS0_4arch9wavefront6targetE1EEEvT1_,comdat
.Lfunc_end4025:
	.size	_ZN7rocprim17ROCPRIM_400000_NS6detail17trampoline_kernelINS0_14default_configENS1_20scan_config_selectorIsEEZZNS1_9scan_implILNS1_25lookback_scan_determinismE0ELb0ELb0ES3_N6thrust23THRUST_200600_302600_NS6detail15normal_iteratorINS9_10device_ptrIsEEEENS9_16discard_iteratorINS9_11use_defaultEEEs11max_functorIsEsEEDaPvRmT3_T4_T5_mT6_P12ihipStream_tbENKUlT_T0_E_clISt17integral_constantIbLb1EESX_EEDaSS_ST_EUlSS_E0_NS1_11comp_targetILNS1_3genE0ELNS1_11target_archE4294967295ELNS1_3gpuE0ELNS1_3repE0EEENS1_30default_config_static_selectorELNS0_4arch9wavefront6targetE1EEEvT1_, .Lfunc_end4025-_ZN7rocprim17ROCPRIM_400000_NS6detail17trampoline_kernelINS0_14default_configENS1_20scan_config_selectorIsEEZZNS1_9scan_implILNS1_25lookback_scan_determinismE0ELb0ELb0ES3_N6thrust23THRUST_200600_302600_NS6detail15normal_iteratorINS9_10device_ptrIsEEEENS9_16discard_iteratorINS9_11use_defaultEEEs11max_functorIsEsEEDaPvRmT3_T4_T5_mT6_P12ihipStream_tbENKUlT_T0_E_clISt17integral_constantIbLb1EESX_EEDaSS_ST_EUlSS_E0_NS1_11comp_targetILNS1_3genE0ELNS1_11target_archE4294967295ELNS1_3gpuE0ELNS1_3repE0EEENS1_30default_config_static_selectorELNS0_4arch9wavefront6targetE1EEEvT1_
                                        ; -- End function
	.section	.AMDGPU.csdata,"",@progbits
; Kernel info:
; codeLenInByte = 0
; NumSgprs: 4
; NumVgprs: 0
; NumAgprs: 0
; TotalNumVgprs: 0
; ScratchSize: 0
; MemoryBound: 0
; FloatMode: 240
; IeeeMode: 1
; LDSByteSize: 0 bytes/workgroup (compile time only)
; SGPRBlocks: 0
; VGPRBlocks: 0
; NumSGPRsForWavesPerEU: 4
; NumVGPRsForWavesPerEU: 1
; AccumOffset: 4
; Occupancy: 8
; WaveLimiterHint : 0
; COMPUTE_PGM_RSRC2:SCRATCH_EN: 0
; COMPUTE_PGM_RSRC2:USER_SGPR: 6
; COMPUTE_PGM_RSRC2:TRAP_HANDLER: 0
; COMPUTE_PGM_RSRC2:TGID_X_EN: 1
; COMPUTE_PGM_RSRC2:TGID_Y_EN: 0
; COMPUTE_PGM_RSRC2:TGID_Z_EN: 0
; COMPUTE_PGM_RSRC2:TIDIG_COMP_CNT: 0
; COMPUTE_PGM_RSRC3_GFX90A:ACCUM_OFFSET: 0
; COMPUTE_PGM_RSRC3_GFX90A:TG_SPLIT: 0
	.section	.text._ZN7rocprim17ROCPRIM_400000_NS6detail17trampoline_kernelINS0_14default_configENS1_20scan_config_selectorIsEEZZNS1_9scan_implILNS1_25lookback_scan_determinismE0ELb0ELb0ES3_N6thrust23THRUST_200600_302600_NS6detail15normal_iteratorINS9_10device_ptrIsEEEENS9_16discard_iteratorINS9_11use_defaultEEEs11max_functorIsEsEEDaPvRmT3_T4_T5_mT6_P12ihipStream_tbENKUlT_T0_E_clISt17integral_constantIbLb1EESX_EEDaSS_ST_EUlSS_E0_NS1_11comp_targetILNS1_3genE5ELNS1_11target_archE942ELNS1_3gpuE9ELNS1_3repE0EEENS1_30default_config_static_selectorELNS0_4arch9wavefront6targetE1EEEvT1_,"axG",@progbits,_ZN7rocprim17ROCPRIM_400000_NS6detail17trampoline_kernelINS0_14default_configENS1_20scan_config_selectorIsEEZZNS1_9scan_implILNS1_25lookback_scan_determinismE0ELb0ELb0ES3_N6thrust23THRUST_200600_302600_NS6detail15normal_iteratorINS9_10device_ptrIsEEEENS9_16discard_iteratorINS9_11use_defaultEEEs11max_functorIsEsEEDaPvRmT3_T4_T5_mT6_P12ihipStream_tbENKUlT_T0_E_clISt17integral_constantIbLb1EESX_EEDaSS_ST_EUlSS_E0_NS1_11comp_targetILNS1_3genE5ELNS1_11target_archE942ELNS1_3gpuE9ELNS1_3repE0EEENS1_30default_config_static_selectorELNS0_4arch9wavefront6targetE1EEEvT1_,comdat
	.protected	_ZN7rocprim17ROCPRIM_400000_NS6detail17trampoline_kernelINS0_14default_configENS1_20scan_config_selectorIsEEZZNS1_9scan_implILNS1_25lookback_scan_determinismE0ELb0ELb0ES3_N6thrust23THRUST_200600_302600_NS6detail15normal_iteratorINS9_10device_ptrIsEEEENS9_16discard_iteratorINS9_11use_defaultEEEs11max_functorIsEsEEDaPvRmT3_T4_T5_mT6_P12ihipStream_tbENKUlT_T0_E_clISt17integral_constantIbLb1EESX_EEDaSS_ST_EUlSS_E0_NS1_11comp_targetILNS1_3genE5ELNS1_11target_archE942ELNS1_3gpuE9ELNS1_3repE0EEENS1_30default_config_static_selectorELNS0_4arch9wavefront6targetE1EEEvT1_ ; -- Begin function _ZN7rocprim17ROCPRIM_400000_NS6detail17trampoline_kernelINS0_14default_configENS1_20scan_config_selectorIsEEZZNS1_9scan_implILNS1_25lookback_scan_determinismE0ELb0ELb0ES3_N6thrust23THRUST_200600_302600_NS6detail15normal_iteratorINS9_10device_ptrIsEEEENS9_16discard_iteratorINS9_11use_defaultEEEs11max_functorIsEsEEDaPvRmT3_T4_T5_mT6_P12ihipStream_tbENKUlT_T0_E_clISt17integral_constantIbLb1EESX_EEDaSS_ST_EUlSS_E0_NS1_11comp_targetILNS1_3genE5ELNS1_11target_archE942ELNS1_3gpuE9ELNS1_3repE0EEENS1_30default_config_static_selectorELNS0_4arch9wavefront6targetE1EEEvT1_
	.globl	_ZN7rocprim17ROCPRIM_400000_NS6detail17trampoline_kernelINS0_14default_configENS1_20scan_config_selectorIsEEZZNS1_9scan_implILNS1_25lookback_scan_determinismE0ELb0ELb0ES3_N6thrust23THRUST_200600_302600_NS6detail15normal_iteratorINS9_10device_ptrIsEEEENS9_16discard_iteratorINS9_11use_defaultEEEs11max_functorIsEsEEDaPvRmT3_T4_T5_mT6_P12ihipStream_tbENKUlT_T0_E_clISt17integral_constantIbLb1EESX_EEDaSS_ST_EUlSS_E0_NS1_11comp_targetILNS1_3genE5ELNS1_11target_archE942ELNS1_3gpuE9ELNS1_3repE0EEENS1_30default_config_static_selectorELNS0_4arch9wavefront6targetE1EEEvT1_
	.p2align	8
	.type	_ZN7rocprim17ROCPRIM_400000_NS6detail17trampoline_kernelINS0_14default_configENS1_20scan_config_selectorIsEEZZNS1_9scan_implILNS1_25lookback_scan_determinismE0ELb0ELb0ES3_N6thrust23THRUST_200600_302600_NS6detail15normal_iteratorINS9_10device_ptrIsEEEENS9_16discard_iteratorINS9_11use_defaultEEEs11max_functorIsEsEEDaPvRmT3_T4_T5_mT6_P12ihipStream_tbENKUlT_T0_E_clISt17integral_constantIbLb1EESX_EEDaSS_ST_EUlSS_E0_NS1_11comp_targetILNS1_3genE5ELNS1_11target_archE942ELNS1_3gpuE9ELNS1_3repE0EEENS1_30default_config_static_selectorELNS0_4arch9wavefront6targetE1EEEvT1_,@function
_ZN7rocprim17ROCPRIM_400000_NS6detail17trampoline_kernelINS0_14default_configENS1_20scan_config_selectorIsEEZZNS1_9scan_implILNS1_25lookback_scan_determinismE0ELb0ELb0ES3_N6thrust23THRUST_200600_302600_NS6detail15normal_iteratorINS9_10device_ptrIsEEEENS9_16discard_iteratorINS9_11use_defaultEEEs11max_functorIsEsEEDaPvRmT3_T4_T5_mT6_P12ihipStream_tbENKUlT_T0_E_clISt17integral_constantIbLb1EESX_EEDaSS_ST_EUlSS_E0_NS1_11comp_targetILNS1_3genE5ELNS1_11target_archE942ELNS1_3gpuE9ELNS1_3repE0EEENS1_30default_config_static_selectorELNS0_4arch9wavefront6targetE1EEEvT1_: ; @_ZN7rocprim17ROCPRIM_400000_NS6detail17trampoline_kernelINS0_14default_configENS1_20scan_config_selectorIsEEZZNS1_9scan_implILNS1_25lookback_scan_determinismE0ELb0ELb0ES3_N6thrust23THRUST_200600_302600_NS6detail15normal_iteratorINS9_10device_ptrIsEEEENS9_16discard_iteratorINS9_11use_defaultEEEs11max_functorIsEsEEDaPvRmT3_T4_T5_mT6_P12ihipStream_tbENKUlT_T0_E_clISt17integral_constantIbLb1EESX_EEDaSS_ST_EUlSS_E0_NS1_11comp_targetILNS1_3genE5ELNS1_11target_archE942ELNS1_3gpuE9ELNS1_3repE0EEENS1_30default_config_static_selectorELNS0_4arch9wavefront6targetE1EEEvT1_
; %bb.0:
	.section	.rodata,"a",@progbits
	.p2align	6, 0x0
	.amdhsa_kernel _ZN7rocprim17ROCPRIM_400000_NS6detail17trampoline_kernelINS0_14default_configENS1_20scan_config_selectorIsEEZZNS1_9scan_implILNS1_25lookback_scan_determinismE0ELb0ELb0ES3_N6thrust23THRUST_200600_302600_NS6detail15normal_iteratorINS9_10device_ptrIsEEEENS9_16discard_iteratorINS9_11use_defaultEEEs11max_functorIsEsEEDaPvRmT3_T4_T5_mT6_P12ihipStream_tbENKUlT_T0_E_clISt17integral_constantIbLb1EESX_EEDaSS_ST_EUlSS_E0_NS1_11comp_targetILNS1_3genE5ELNS1_11target_archE942ELNS1_3gpuE9ELNS1_3repE0EEENS1_30default_config_static_selectorELNS0_4arch9wavefront6targetE1EEEvT1_
		.amdhsa_group_segment_fixed_size 0
		.amdhsa_private_segment_fixed_size 0
		.amdhsa_kernarg_size 40
		.amdhsa_user_sgpr_count 6
		.amdhsa_user_sgpr_private_segment_buffer 1
		.amdhsa_user_sgpr_dispatch_ptr 0
		.amdhsa_user_sgpr_queue_ptr 0
		.amdhsa_user_sgpr_kernarg_segment_ptr 1
		.amdhsa_user_sgpr_dispatch_id 0
		.amdhsa_user_sgpr_flat_scratch_init 0
		.amdhsa_user_sgpr_kernarg_preload_length 0
		.amdhsa_user_sgpr_kernarg_preload_offset 0
		.amdhsa_user_sgpr_private_segment_size 0
		.amdhsa_uses_dynamic_stack 0
		.amdhsa_system_sgpr_private_segment_wavefront_offset 0
		.amdhsa_system_sgpr_workgroup_id_x 1
		.amdhsa_system_sgpr_workgroup_id_y 0
		.amdhsa_system_sgpr_workgroup_id_z 0
		.amdhsa_system_sgpr_workgroup_info 0
		.amdhsa_system_vgpr_workitem_id 0
		.amdhsa_next_free_vgpr 1
		.amdhsa_next_free_sgpr 0
		.amdhsa_accum_offset 4
		.amdhsa_reserve_vcc 0
		.amdhsa_reserve_flat_scratch 0
		.amdhsa_float_round_mode_32 0
		.amdhsa_float_round_mode_16_64 0
		.amdhsa_float_denorm_mode_32 3
		.amdhsa_float_denorm_mode_16_64 3
		.amdhsa_dx10_clamp 1
		.amdhsa_ieee_mode 1
		.amdhsa_fp16_overflow 0
		.amdhsa_tg_split 0
		.amdhsa_exception_fp_ieee_invalid_op 0
		.amdhsa_exception_fp_denorm_src 0
		.amdhsa_exception_fp_ieee_div_zero 0
		.amdhsa_exception_fp_ieee_overflow 0
		.amdhsa_exception_fp_ieee_underflow 0
		.amdhsa_exception_fp_ieee_inexact 0
		.amdhsa_exception_int_div_zero 0
	.end_amdhsa_kernel
	.section	.text._ZN7rocprim17ROCPRIM_400000_NS6detail17trampoline_kernelINS0_14default_configENS1_20scan_config_selectorIsEEZZNS1_9scan_implILNS1_25lookback_scan_determinismE0ELb0ELb0ES3_N6thrust23THRUST_200600_302600_NS6detail15normal_iteratorINS9_10device_ptrIsEEEENS9_16discard_iteratorINS9_11use_defaultEEEs11max_functorIsEsEEDaPvRmT3_T4_T5_mT6_P12ihipStream_tbENKUlT_T0_E_clISt17integral_constantIbLb1EESX_EEDaSS_ST_EUlSS_E0_NS1_11comp_targetILNS1_3genE5ELNS1_11target_archE942ELNS1_3gpuE9ELNS1_3repE0EEENS1_30default_config_static_selectorELNS0_4arch9wavefront6targetE1EEEvT1_,"axG",@progbits,_ZN7rocprim17ROCPRIM_400000_NS6detail17trampoline_kernelINS0_14default_configENS1_20scan_config_selectorIsEEZZNS1_9scan_implILNS1_25lookback_scan_determinismE0ELb0ELb0ES3_N6thrust23THRUST_200600_302600_NS6detail15normal_iteratorINS9_10device_ptrIsEEEENS9_16discard_iteratorINS9_11use_defaultEEEs11max_functorIsEsEEDaPvRmT3_T4_T5_mT6_P12ihipStream_tbENKUlT_T0_E_clISt17integral_constantIbLb1EESX_EEDaSS_ST_EUlSS_E0_NS1_11comp_targetILNS1_3genE5ELNS1_11target_archE942ELNS1_3gpuE9ELNS1_3repE0EEENS1_30default_config_static_selectorELNS0_4arch9wavefront6targetE1EEEvT1_,comdat
.Lfunc_end4026:
	.size	_ZN7rocprim17ROCPRIM_400000_NS6detail17trampoline_kernelINS0_14default_configENS1_20scan_config_selectorIsEEZZNS1_9scan_implILNS1_25lookback_scan_determinismE0ELb0ELb0ES3_N6thrust23THRUST_200600_302600_NS6detail15normal_iteratorINS9_10device_ptrIsEEEENS9_16discard_iteratorINS9_11use_defaultEEEs11max_functorIsEsEEDaPvRmT3_T4_T5_mT6_P12ihipStream_tbENKUlT_T0_E_clISt17integral_constantIbLb1EESX_EEDaSS_ST_EUlSS_E0_NS1_11comp_targetILNS1_3genE5ELNS1_11target_archE942ELNS1_3gpuE9ELNS1_3repE0EEENS1_30default_config_static_selectorELNS0_4arch9wavefront6targetE1EEEvT1_, .Lfunc_end4026-_ZN7rocprim17ROCPRIM_400000_NS6detail17trampoline_kernelINS0_14default_configENS1_20scan_config_selectorIsEEZZNS1_9scan_implILNS1_25lookback_scan_determinismE0ELb0ELb0ES3_N6thrust23THRUST_200600_302600_NS6detail15normal_iteratorINS9_10device_ptrIsEEEENS9_16discard_iteratorINS9_11use_defaultEEEs11max_functorIsEsEEDaPvRmT3_T4_T5_mT6_P12ihipStream_tbENKUlT_T0_E_clISt17integral_constantIbLb1EESX_EEDaSS_ST_EUlSS_E0_NS1_11comp_targetILNS1_3genE5ELNS1_11target_archE942ELNS1_3gpuE9ELNS1_3repE0EEENS1_30default_config_static_selectorELNS0_4arch9wavefront6targetE1EEEvT1_
                                        ; -- End function
	.section	.AMDGPU.csdata,"",@progbits
; Kernel info:
; codeLenInByte = 0
; NumSgprs: 4
; NumVgprs: 0
; NumAgprs: 0
; TotalNumVgprs: 0
; ScratchSize: 0
; MemoryBound: 0
; FloatMode: 240
; IeeeMode: 1
; LDSByteSize: 0 bytes/workgroup (compile time only)
; SGPRBlocks: 0
; VGPRBlocks: 0
; NumSGPRsForWavesPerEU: 4
; NumVGPRsForWavesPerEU: 1
; AccumOffset: 4
; Occupancy: 8
; WaveLimiterHint : 0
; COMPUTE_PGM_RSRC2:SCRATCH_EN: 0
; COMPUTE_PGM_RSRC2:USER_SGPR: 6
; COMPUTE_PGM_RSRC2:TRAP_HANDLER: 0
; COMPUTE_PGM_RSRC2:TGID_X_EN: 1
; COMPUTE_PGM_RSRC2:TGID_Y_EN: 0
; COMPUTE_PGM_RSRC2:TGID_Z_EN: 0
; COMPUTE_PGM_RSRC2:TIDIG_COMP_CNT: 0
; COMPUTE_PGM_RSRC3_GFX90A:ACCUM_OFFSET: 0
; COMPUTE_PGM_RSRC3_GFX90A:TG_SPLIT: 0
	.section	.text._ZN7rocprim17ROCPRIM_400000_NS6detail17trampoline_kernelINS0_14default_configENS1_20scan_config_selectorIsEEZZNS1_9scan_implILNS1_25lookback_scan_determinismE0ELb0ELb0ES3_N6thrust23THRUST_200600_302600_NS6detail15normal_iteratorINS9_10device_ptrIsEEEENS9_16discard_iteratorINS9_11use_defaultEEEs11max_functorIsEsEEDaPvRmT3_T4_T5_mT6_P12ihipStream_tbENKUlT_T0_E_clISt17integral_constantIbLb1EESX_EEDaSS_ST_EUlSS_E0_NS1_11comp_targetILNS1_3genE4ELNS1_11target_archE910ELNS1_3gpuE8ELNS1_3repE0EEENS1_30default_config_static_selectorELNS0_4arch9wavefront6targetE1EEEvT1_,"axG",@progbits,_ZN7rocprim17ROCPRIM_400000_NS6detail17trampoline_kernelINS0_14default_configENS1_20scan_config_selectorIsEEZZNS1_9scan_implILNS1_25lookback_scan_determinismE0ELb0ELb0ES3_N6thrust23THRUST_200600_302600_NS6detail15normal_iteratorINS9_10device_ptrIsEEEENS9_16discard_iteratorINS9_11use_defaultEEEs11max_functorIsEsEEDaPvRmT3_T4_T5_mT6_P12ihipStream_tbENKUlT_T0_E_clISt17integral_constantIbLb1EESX_EEDaSS_ST_EUlSS_E0_NS1_11comp_targetILNS1_3genE4ELNS1_11target_archE910ELNS1_3gpuE8ELNS1_3repE0EEENS1_30default_config_static_selectorELNS0_4arch9wavefront6targetE1EEEvT1_,comdat
	.protected	_ZN7rocprim17ROCPRIM_400000_NS6detail17trampoline_kernelINS0_14default_configENS1_20scan_config_selectorIsEEZZNS1_9scan_implILNS1_25lookback_scan_determinismE0ELb0ELb0ES3_N6thrust23THRUST_200600_302600_NS6detail15normal_iteratorINS9_10device_ptrIsEEEENS9_16discard_iteratorINS9_11use_defaultEEEs11max_functorIsEsEEDaPvRmT3_T4_T5_mT6_P12ihipStream_tbENKUlT_T0_E_clISt17integral_constantIbLb1EESX_EEDaSS_ST_EUlSS_E0_NS1_11comp_targetILNS1_3genE4ELNS1_11target_archE910ELNS1_3gpuE8ELNS1_3repE0EEENS1_30default_config_static_selectorELNS0_4arch9wavefront6targetE1EEEvT1_ ; -- Begin function _ZN7rocprim17ROCPRIM_400000_NS6detail17trampoline_kernelINS0_14default_configENS1_20scan_config_selectorIsEEZZNS1_9scan_implILNS1_25lookback_scan_determinismE0ELb0ELb0ES3_N6thrust23THRUST_200600_302600_NS6detail15normal_iteratorINS9_10device_ptrIsEEEENS9_16discard_iteratorINS9_11use_defaultEEEs11max_functorIsEsEEDaPvRmT3_T4_T5_mT6_P12ihipStream_tbENKUlT_T0_E_clISt17integral_constantIbLb1EESX_EEDaSS_ST_EUlSS_E0_NS1_11comp_targetILNS1_3genE4ELNS1_11target_archE910ELNS1_3gpuE8ELNS1_3repE0EEENS1_30default_config_static_selectorELNS0_4arch9wavefront6targetE1EEEvT1_
	.globl	_ZN7rocprim17ROCPRIM_400000_NS6detail17trampoline_kernelINS0_14default_configENS1_20scan_config_selectorIsEEZZNS1_9scan_implILNS1_25lookback_scan_determinismE0ELb0ELb0ES3_N6thrust23THRUST_200600_302600_NS6detail15normal_iteratorINS9_10device_ptrIsEEEENS9_16discard_iteratorINS9_11use_defaultEEEs11max_functorIsEsEEDaPvRmT3_T4_T5_mT6_P12ihipStream_tbENKUlT_T0_E_clISt17integral_constantIbLb1EESX_EEDaSS_ST_EUlSS_E0_NS1_11comp_targetILNS1_3genE4ELNS1_11target_archE910ELNS1_3gpuE8ELNS1_3repE0EEENS1_30default_config_static_selectorELNS0_4arch9wavefront6targetE1EEEvT1_
	.p2align	8
	.type	_ZN7rocprim17ROCPRIM_400000_NS6detail17trampoline_kernelINS0_14default_configENS1_20scan_config_selectorIsEEZZNS1_9scan_implILNS1_25lookback_scan_determinismE0ELb0ELb0ES3_N6thrust23THRUST_200600_302600_NS6detail15normal_iteratorINS9_10device_ptrIsEEEENS9_16discard_iteratorINS9_11use_defaultEEEs11max_functorIsEsEEDaPvRmT3_T4_T5_mT6_P12ihipStream_tbENKUlT_T0_E_clISt17integral_constantIbLb1EESX_EEDaSS_ST_EUlSS_E0_NS1_11comp_targetILNS1_3genE4ELNS1_11target_archE910ELNS1_3gpuE8ELNS1_3repE0EEENS1_30default_config_static_selectorELNS0_4arch9wavefront6targetE1EEEvT1_,@function
_ZN7rocprim17ROCPRIM_400000_NS6detail17trampoline_kernelINS0_14default_configENS1_20scan_config_selectorIsEEZZNS1_9scan_implILNS1_25lookback_scan_determinismE0ELb0ELb0ES3_N6thrust23THRUST_200600_302600_NS6detail15normal_iteratorINS9_10device_ptrIsEEEENS9_16discard_iteratorINS9_11use_defaultEEEs11max_functorIsEsEEDaPvRmT3_T4_T5_mT6_P12ihipStream_tbENKUlT_T0_E_clISt17integral_constantIbLb1EESX_EEDaSS_ST_EUlSS_E0_NS1_11comp_targetILNS1_3genE4ELNS1_11target_archE910ELNS1_3gpuE8ELNS1_3repE0EEENS1_30default_config_static_selectorELNS0_4arch9wavefront6targetE1EEEvT1_: ; @_ZN7rocprim17ROCPRIM_400000_NS6detail17trampoline_kernelINS0_14default_configENS1_20scan_config_selectorIsEEZZNS1_9scan_implILNS1_25lookback_scan_determinismE0ELb0ELb0ES3_N6thrust23THRUST_200600_302600_NS6detail15normal_iteratorINS9_10device_ptrIsEEEENS9_16discard_iteratorINS9_11use_defaultEEEs11max_functorIsEsEEDaPvRmT3_T4_T5_mT6_P12ihipStream_tbENKUlT_T0_E_clISt17integral_constantIbLb1EESX_EEDaSS_ST_EUlSS_E0_NS1_11comp_targetILNS1_3genE4ELNS1_11target_archE910ELNS1_3gpuE8ELNS1_3repE0EEENS1_30default_config_static_selectorELNS0_4arch9wavefront6targetE1EEEvT1_
; %bb.0:
	s_load_dwordx4 s[0:3], s[4:5], 0x0
	v_mov_b32_e32 v1, 0
	s_waitcnt lgkmcnt(0)
	global_load_ushort v2, v1, s[0:1]
	v_cmp_gt_u32_e32 vcc, s2, v0
	v_lshlrev_b32_e32 v1, 1, v0
	s_waitcnt vmcnt(0)
	v_mov_b32_e32 v3, v2
	s_and_saveexec_b64 s[4:5], vcc
	s_cbranch_execz .LBB4027_2
; %bb.1:
	global_load_ushort v3, v1, s[0:1]
.LBB4027_2:
	s_or_b64 exec, exec, s[4:5]
	v_or_b32_e32 v4, 64, v0
	v_cmp_gt_u32_e32 vcc, s2, v4
	v_mov_b32_e32 v4, v2
	s_and_saveexec_b64 s[4:5], vcc
	s_cbranch_execz .LBB4027_4
; %bb.3:
	global_load_ushort v4, v1, s[0:1] offset:128
.LBB4027_4:
	s_or_b64 exec, exec, s[4:5]
	v_or_b32_e32 v5, 0x80, v0
	v_cmp_gt_u32_e32 vcc, s2, v5
	v_mov_b32_e32 v5, v2
	s_and_saveexec_b64 s[4:5], vcc
	s_cbranch_execz .LBB4027_6
; %bb.5:
	global_load_ushort v5, v1, s[0:1] offset:256
.LBB4027_6:
	s_or_b64 exec, exec, s[4:5]
	v_or_b32_e32 v6, 0xc0, v0
	v_cmp_gt_u32_e32 vcc, s2, v6
	v_mov_b32_e32 v6, v2
	s_and_saveexec_b64 s[4:5], vcc
	s_cbranch_execz .LBB4027_8
; %bb.7:
	global_load_ushort v6, v1, s[0:1] offset:384
.LBB4027_8:
	s_or_b64 exec, exec, s[4:5]
	v_or_b32_e32 v7, 0x100, v0
	v_cmp_gt_u32_e32 vcc, s2, v7
	v_mov_b32_e32 v7, v2
	s_and_saveexec_b64 s[4:5], vcc
	s_cbranch_execz .LBB4027_10
; %bb.9:
	global_load_ushort v7, v1, s[0:1] offset:512
.LBB4027_10:
	s_or_b64 exec, exec, s[4:5]
	v_or_b32_e32 v8, 0x140, v0
	v_cmp_gt_u32_e32 vcc, s2, v8
	v_mov_b32_e32 v8, v2
	s_and_saveexec_b64 s[4:5], vcc
	s_cbranch_execz .LBB4027_12
; %bb.11:
	global_load_ushort v8, v1, s[0:1] offset:640
.LBB4027_12:
	s_or_b64 exec, exec, s[4:5]
	v_or_b32_e32 v9, 0x180, v0
	v_cmp_gt_u32_e32 vcc, s2, v9
	v_mov_b32_e32 v9, v2
	s_and_saveexec_b64 s[4:5], vcc
	s_cbranch_execz .LBB4027_14
; %bb.13:
	global_load_ushort v9, v1, s[0:1] offset:768
.LBB4027_14:
	s_or_b64 exec, exec, s[4:5]
	v_or_b32_e32 v10, 0x1c0, v0
	v_cmp_gt_u32_e32 vcc, s2, v10
	v_mov_b32_e32 v10, v2
	s_and_saveexec_b64 s[4:5], vcc
	s_cbranch_execz .LBB4027_16
; %bb.15:
	global_load_ushort v10, v1, s[0:1] offset:896
.LBB4027_16:
	s_or_b64 exec, exec, s[4:5]
	v_or_b32_e32 v11, 0x200, v0
	v_cmp_gt_u32_e32 vcc, s2, v11
	v_mov_b32_e32 v11, v2
	s_and_saveexec_b64 s[4:5], vcc
	s_cbranch_execz .LBB4027_18
; %bb.17:
	global_load_ushort v11, v1, s[0:1] offset:1024
.LBB4027_18:
	s_or_b64 exec, exec, s[4:5]
	v_or_b32_e32 v12, 0x240, v0
	v_cmp_gt_u32_e32 vcc, s2, v12
	v_mov_b32_e32 v12, v2
	s_and_saveexec_b64 s[4:5], vcc
	s_cbranch_execz .LBB4027_20
; %bb.19:
	global_load_ushort v12, v1, s[0:1] offset:1152
.LBB4027_20:
	s_or_b64 exec, exec, s[4:5]
	v_or_b32_e32 v13, 0x280, v0
	v_cmp_gt_u32_e32 vcc, s2, v13
	v_mov_b32_e32 v13, v2
	s_and_saveexec_b64 s[4:5], vcc
	s_cbranch_execz .LBB4027_22
; %bb.21:
	global_load_ushort v13, v1, s[0:1] offset:1280
.LBB4027_22:
	s_or_b64 exec, exec, s[4:5]
	v_or_b32_e32 v14, 0x2c0, v0
	v_cmp_gt_u32_e32 vcc, s2, v14
	v_mov_b32_e32 v14, v2
	s_and_saveexec_b64 s[4:5], vcc
	s_cbranch_execz .LBB4027_24
; %bb.23:
	global_load_ushort v14, v1, s[0:1] offset:1408
.LBB4027_24:
	s_or_b64 exec, exec, s[4:5]
	v_or_b32_e32 v15, 0x300, v0
	v_cmp_gt_u32_e32 vcc, s2, v15
	v_mov_b32_e32 v15, v2
	s_and_saveexec_b64 s[4:5], vcc
	s_cbranch_execz .LBB4027_26
; %bb.25:
	global_load_ushort v15, v1, s[0:1] offset:1536
.LBB4027_26:
	s_or_b64 exec, exec, s[4:5]
	v_or_b32_e32 v16, 0x340, v0
	v_cmp_gt_u32_e32 vcc, s2, v16
	v_mov_b32_e32 v16, v2
	s_and_saveexec_b64 s[4:5], vcc
	s_cbranch_execz .LBB4027_28
; %bb.27:
	global_load_ushort v16, v1, s[0:1] offset:1664
.LBB4027_28:
	s_or_b64 exec, exec, s[4:5]
	v_or_b32_e32 v17, 0x380, v0
	v_cmp_gt_u32_e32 vcc, s2, v17
	v_mov_b32_e32 v17, v2
	s_and_saveexec_b64 s[4:5], vcc
	s_cbranch_execz .LBB4027_30
; %bb.29:
	global_load_ushort v17, v1, s[0:1] offset:1792
.LBB4027_30:
	s_or_b64 exec, exec, s[4:5]
	v_or_b32_e32 v18, 0x3c0, v0
	v_cmp_gt_u32_e32 vcc, s2, v18
	v_mov_b32_e32 v18, v2
	s_and_saveexec_b64 s[4:5], vcc
	s_cbranch_execz .LBB4027_32
; %bb.31:
	global_load_ushort v18, v1, s[0:1] offset:1920
.LBB4027_32:
	s_or_b64 exec, exec, s[4:5]
	v_or_b32_e32 v19, 0x400, v0
	v_cmp_gt_u32_e32 vcc, s2, v19
	v_mov_b32_e32 v19, v2
	s_and_saveexec_b64 s[4:5], vcc
	s_cbranch_execz .LBB4027_34
; %bb.33:
	global_load_ushort v19, v1, s[0:1] offset:2048
.LBB4027_34:
	s_or_b64 exec, exec, s[4:5]
	v_or_b32_e32 v20, 0x440, v0
	v_cmp_gt_u32_e32 vcc, s2, v20
	v_mov_b32_e32 v20, v2
	s_and_saveexec_b64 s[4:5], vcc
	s_cbranch_execz .LBB4027_36
; %bb.35:
	global_load_ushort v20, v1, s[0:1] offset:2176
.LBB4027_36:
	s_or_b64 exec, exec, s[4:5]
	v_or_b32_e32 v21, 0x480, v0
	v_cmp_gt_u32_e32 vcc, s2, v21
	v_mov_b32_e32 v21, v2
	s_and_saveexec_b64 s[4:5], vcc
	s_cbranch_execz .LBB4027_38
; %bb.37:
	global_load_ushort v21, v1, s[0:1] offset:2304
.LBB4027_38:
	s_or_b64 exec, exec, s[4:5]
	v_or_b32_e32 v22, 0x4c0, v0
	v_cmp_gt_u32_e32 vcc, s2, v22
	v_mov_b32_e32 v22, v2
	s_and_saveexec_b64 s[4:5], vcc
	s_cbranch_execz .LBB4027_40
; %bb.39:
	global_load_ushort v22, v1, s[0:1] offset:2432
.LBB4027_40:
	s_or_b64 exec, exec, s[4:5]
	v_or_b32_e32 v23, 0x500, v0
	v_cmp_gt_u32_e32 vcc, s2, v23
	v_mov_b32_e32 v23, v2
	s_and_saveexec_b64 s[4:5], vcc
	s_cbranch_execz .LBB4027_42
; %bb.41:
	global_load_ushort v23, v1, s[0:1] offset:2560
.LBB4027_42:
	s_or_b64 exec, exec, s[4:5]
	v_or_b32_e32 v24, 0x540, v0
	v_cmp_gt_u32_e32 vcc, s2, v24
	v_mov_b32_e32 v24, v2
	s_and_saveexec_b64 s[4:5], vcc
	s_cbranch_execz .LBB4027_44
; %bb.43:
	global_load_ushort v24, v1, s[0:1] offset:2688
.LBB4027_44:
	s_or_b64 exec, exec, s[4:5]
	v_or_b32_e32 v25, 0x580, v0
	v_cmp_gt_u32_e32 vcc, s2, v25
	v_mov_b32_e32 v25, v2
	s_and_saveexec_b64 s[4:5], vcc
	s_cbranch_execz .LBB4027_46
; %bb.45:
	global_load_ushort v25, v1, s[0:1] offset:2816
.LBB4027_46:
	s_or_b64 exec, exec, s[4:5]
	v_or_b32_e32 v26, 0x5c0, v0
	v_cmp_gt_u32_e32 vcc, s2, v26
	s_and_saveexec_b64 s[2:3], vcc
	s_cbranch_execz .LBB4027_48
; %bb.47:
	global_load_ushort v2, v1, s[0:1] offset:2944
.LBB4027_48:
	s_or_b64 exec, exec, s[2:3]
	s_waitcnt vmcnt(0)
	ds_write_b16 v1, v3
	ds_write_b16 v1, v4 offset:128
	ds_write_b16 v1, v5 offset:256
	;; [unrolled: 1-line block ×23, first 2 shown]
	v_mad_u32_u24 v6, v0, 46, v1
	s_waitcnt lgkmcnt(0)
	; wave barrier
	s_waitcnt lgkmcnt(0)
	ds_read_b128 v[2:5], v6
	ds_read_b128 v[10:13], v6 offset:16
	ds_read_b128 v[6:9], v6 offset:32
	v_mbcnt_lo_u32_b32 v37, -1, 0
	v_mbcnt_hi_u32_b32 v37, -1, v37
	s_waitcnt lgkmcnt(2)
	v_max_i16_sdwa v14, v2, v2 dst_sel:DWORD dst_unused:UNUSED_PAD src0_sel:DWORD src1_sel:WORD_1
	v_max_i16_e32 v15, v14, v3
	v_max_i16_sdwa v17, v15, v3 dst_sel:DWORD dst_unused:UNUSED_PAD src0_sel:DWORD src1_sel:WORD_1
	v_max_i16_e32 v19, v17, v4
	;; [unrolled: 2-line block ×3, first 2 shown]
	v_max_i16_sdwa v27, v24, v5 dst_sel:DWORD dst_unused:UNUSED_PAD src0_sel:DWORD src1_sel:WORD_1
	s_waitcnt lgkmcnt(1)
	v_max_i16_e32 v16, v27, v10
	v_max_i16_sdwa v18, v16, v10 dst_sel:DWORD dst_unused:UNUSED_PAD src0_sel:DWORD src1_sel:WORD_1
	v_max_i16_e32 v20, v18, v11
	v_max_i16_sdwa v23, v20, v11 dst_sel:DWORD dst_unused:UNUSED_PAD src0_sel:DWORD src1_sel:WORD_1
	v_max_i16_e32 v26, v23, v12
	v_max_i16_sdwa v29, v26, v12 dst_sel:DWORD dst_unused:UNUSED_PAD src0_sel:DWORD src1_sel:WORD_1
	v_max_i16_e32 v31, v29, v13
	v_max_i16_sdwa v33, v31, v13 dst_sel:DWORD dst_unused:UNUSED_PAD src0_sel:DWORD src1_sel:WORD_1
	s_waitcnt lgkmcnt(0)
	v_max_i16_e32 v22, v33, v6
	v_max_i16_sdwa v25, v22, v6 dst_sel:DWORD dst_unused:UNUSED_PAD src0_sel:DWORD src1_sel:WORD_1
	v_max_i16_e32 v28, v25, v7
	v_max_i16_sdwa v30, v28, v7 dst_sel:DWORD dst_unused:UNUSED_PAD src0_sel:DWORD src1_sel:WORD_1
	;; [unrolled: 2-line block ×4, first 2 shown]
	v_and_b32_e32 v38, 15, v37
	v_cmp_eq_u32_e32 vcc, 0, v38
	v_mov_b32_dpp v39, v36 row_shr:1 row_mask:0xf bank_mask:0xf
	v_max_i16_e32 v39, v39, v36
	v_cndmask_b32_e32 v39, v39, v36, vcc
	v_and_b32_e32 v40, 0xffff, v39
	v_cmp_lt_u32_e32 vcc, 1, v38
	s_nop 0
	v_mov_b32_dpp v40, v40 row_shr:2 row_mask:0xf bank_mask:0xf
	v_max_i16_e32 v40, v40, v39
	v_cndmask_b32_e32 v39, v39, v40, vcc
	v_and_b32_e32 v40, 0xffff, v39
	v_cmp_lt_u32_e32 vcc, 3, v38
	; wave barrier
	s_nop 0
	v_mov_b32_dpp v40, v40 row_shr:4 row_mask:0xf bank_mask:0xf
	v_max_i16_e32 v40, v40, v39
	v_cndmask_b32_e32 v39, v39, v40, vcc
	v_and_b32_e32 v40, 0xffff, v39
	v_cmp_lt_u32_e32 vcc, 7, v38
	s_nop 0
	v_mov_b32_dpp v40, v40 row_shr:8 row_mask:0xf bank_mask:0xf
	v_max_i16_e32 v40, v40, v39
	v_cndmask_b32_e32 v38, v39, v40, vcc
	v_and_b32_e32 v39, 0xffff, v38
	v_and_b32_e32 v40, 16, v37
	v_cmp_eq_u32_e32 vcc, 0, v40
	v_mov_b32_dpp v39, v39 row_bcast:15 row_mask:0xf bank_mask:0xf
	v_max_i16_e32 v39, v39, v38
	v_cndmask_b32_e32 v38, v39, v38, vcc
	v_and_b32_e32 v39, 0xffff, v38
	v_cmp_lt_u32_e32 vcc, 31, v37
	s_nop 0
	v_mov_b32_dpp v39, v39 row_bcast:31 row_mask:0xf bank_mask:0xf
	v_max_i16_e32 v39, v39, v38
	v_cndmask_b32_e32 v38, v38, v39, vcc
	v_cmp_eq_u32_e32 vcc, 63, v0
	s_and_saveexec_b64 s[0:1], vcc
	s_cbranch_execz .LBB4027_50
; %bb.49:
	v_mov_b32_e32 v39, 0
	ds_write_b16 v39, v38
.LBB4027_50:
	s_or_b64 exec, exec, s[0:1]
	v_add_u32_e32 v39, -1, v37
	v_and_b32_e32 v40, 64, v37
	v_cmp_lt_i32_e32 vcc, v39, v40
	v_cndmask_b32_e32 v37, v39, v37, vcc
	v_and_b32_e32 v38, 0xffff, v38
	v_lshlrev_b32_e32 v37, 2, v37
	ds_bpermute_b32 v38, v37, v38
	v_mul_u32_u24_e32 v37, 46, v0
	v_cmp_ne_u32_e32 vcc, 0, v0
	s_waitcnt lgkmcnt(0)
	; wave barrier
	s_waitcnt lgkmcnt(0)
	s_and_saveexec_b64 s[0:1], vcc
	s_cbranch_execz .LBB4027_52
; %bb.51:
	v_max_i16_e32 v0, v38, v2
	v_max_i16_sdwa v14, v0, v2 dst_sel:DWORD dst_unused:UNUSED_PAD src0_sel:DWORD src1_sel:WORD_1
	v_max_i16_e32 v15, v14, v3
	v_max_i16_sdwa v17, v15, v3 dst_sel:DWORD dst_unused:UNUSED_PAD src0_sel:DWORD src1_sel:WORD_1
	;; [unrolled: 2-line block ×12, first 2 shown]
	v_mov_b32_e32 v2, v0
	;;#ASMSTART
	;;#ASMEND
.LBB4027_52:
	s_or_b64 exec, exec, s[0:1]
	s_mov_b32 s0, 0x5040100
	v_add_u32_e32 v6, v1, v37
	v_perm_b32 v5, v27, v24, s0
	v_perm_b32 v4, v21, v19, s0
	;; [unrolled: 1-line block ×4, first 2 shown]
	s_waitcnt lgkmcnt(0)
	; wave barrier
	ds_write_b128 v6, v[2:5]
	v_perm_b32 v3, v33, v31, s0
	v_perm_b32 v2, v29, v26, s0
	;; [unrolled: 1-line block ×4, first 2 shown]
	ds_write_b128 v6, v[0:3] offset:16
	v_perm_b32 v3, v36, v35, s0
	v_perm_b32 v2, v34, v32, s0
	;; [unrolled: 1-line block ×4, first 2 shown]
	ds_write_b128 v6, v[0:3] offset:32
	s_waitcnt lgkmcnt(0)
	; wave barrier
	s_waitcnt lgkmcnt(0)
	s_endpgm
	.section	.rodata,"a",@progbits
	.p2align	6, 0x0
	.amdhsa_kernel _ZN7rocprim17ROCPRIM_400000_NS6detail17trampoline_kernelINS0_14default_configENS1_20scan_config_selectorIsEEZZNS1_9scan_implILNS1_25lookback_scan_determinismE0ELb0ELb0ES3_N6thrust23THRUST_200600_302600_NS6detail15normal_iteratorINS9_10device_ptrIsEEEENS9_16discard_iteratorINS9_11use_defaultEEEs11max_functorIsEsEEDaPvRmT3_T4_T5_mT6_P12ihipStream_tbENKUlT_T0_E_clISt17integral_constantIbLb1EESX_EEDaSS_ST_EUlSS_E0_NS1_11comp_targetILNS1_3genE4ELNS1_11target_archE910ELNS1_3gpuE8ELNS1_3repE0EEENS1_30default_config_static_selectorELNS0_4arch9wavefront6targetE1EEEvT1_
		.amdhsa_group_segment_fixed_size 3072
		.amdhsa_private_segment_fixed_size 0
		.amdhsa_kernarg_size 40
		.amdhsa_user_sgpr_count 6
		.amdhsa_user_sgpr_private_segment_buffer 1
		.amdhsa_user_sgpr_dispatch_ptr 0
		.amdhsa_user_sgpr_queue_ptr 0
		.amdhsa_user_sgpr_kernarg_segment_ptr 1
		.amdhsa_user_sgpr_dispatch_id 0
		.amdhsa_user_sgpr_flat_scratch_init 0
		.amdhsa_user_sgpr_kernarg_preload_length 0
		.amdhsa_user_sgpr_kernarg_preload_offset 0
		.amdhsa_user_sgpr_private_segment_size 0
		.amdhsa_uses_dynamic_stack 0
		.amdhsa_system_sgpr_private_segment_wavefront_offset 0
		.amdhsa_system_sgpr_workgroup_id_x 1
		.amdhsa_system_sgpr_workgroup_id_y 0
		.amdhsa_system_sgpr_workgroup_id_z 0
		.amdhsa_system_sgpr_workgroup_info 0
		.amdhsa_system_vgpr_workitem_id 0
		.amdhsa_next_free_vgpr 41
		.amdhsa_next_free_sgpr 6
		.amdhsa_accum_offset 44
		.amdhsa_reserve_vcc 1
		.amdhsa_reserve_flat_scratch 0
		.amdhsa_float_round_mode_32 0
		.amdhsa_float_round_mode_16_64 0
		.amdhsa_float_denorm_mode_32 3
		.amdhsa_float_denorm_mode_16_64 3
		.amdhsa_dx10_clamp 1
		.amdhsa_ieee_mode 1
		.amdhsa_fp16_overflow 0
		.amdhsa_tg_split 0
		.amdhsa_exception_fp_ieee_invalid_op 0
		.amdhsa_exception_fp_denorm_src 0
		.amdhsa_exception_fp_ieee_div_zero 0
		.amdhsa_exception_fp_ieee_overflow 0
		.amdhsa_exception_fp_ieee_underflow 0
		.amdhsa_exception_fp_ieee_inexact 0
		.amdhsa_exception_int_div_zero 0
	.end_amdhsa_kernel
	.section	.text._ZN7rocprim17ROCPRIM_400000_NS6detail17trampoline_kernelINS0_14default_configENS1_20scan_config_selectorIsEEZZNS1_9scan_implILNS1_25lookback_scan_determinismE0ELb0ELb0ES3_N6thrust23THRUST_200600_302600_NS6detail15normal_iteratorINS9_10device_ptrIsEEEENS9_16discard_iteratorINS9_11use_defaultEEEs11max_functorIsEsEEDaPvRmT3_T4_T5_mT6_P12ihipStream_tbENKUlT_T0_E_clISt17integral_constantIbLb1EESX_EEDaSS_ST_EUlSS_E0_NS1_11comp_targetILNS1_3genE4ELNS1_11target_archE910ELNS1_3gpuE8ELNS1_3repE0EEENS1_30default_config_static_selectorELNS0_4arch9wavefront6targetE1EEEvT1_,"axG",@progbits,_ZN7rocprim17ROCPRIM_400000_NS6detail17trampoline_kernelINS0_14default_configENS1_20scan_config_selectorIsEEZZNS1_9scan_implILNS1_25lookback_scan_determinismE0ELb0ELb0ES3_N6thrust23THRUST_200600_302600_NS6detail15normal_iteratorINS9_10device_ptrIsEEEENS9_16discard_iteratorINS9_11use_defaultEEEs11max_functorIsEsEEDaPvRmT3_T4_T5_mT6_P12ihipStream_tbENKUlT_T0_E_clISt17integral_constantIbLb1EESX_EEDaSS_ST_EUlSS_E0_NS1_11comp_targetILNS1_3genE4ELNS1_11target_archE910ELNS1_3gpuE8ELNS1_3repE0EEENS1_30default_config_static_selectorELNS0_4arch9wavefront6targetE1EEEvT1_,comdat
.Lfunc_end4027:
	.size	_ZN7rocprim17ROCPRIM_400000_NS6detail17trampoline_kernelINS0_14default_configENS1_20scan_config_selectorIsEEZZNS1_9scan_implILNS1_25lookback_scan_determinismE0ELb0ELb0ES3_N6thrust23THRUST_200600_302600_NS6detail15normal_iteratorINS9_10device_ptrIsEEEENS9_16discard_iteratorINS9_11use_defaultEEEs11max_functorIsEsEEDaPvRmT3_T4_T5_mT6_P12ihipStream_tbENKUlT_T0_E_clISt17integral_constantIbLb1EESX_EEDaSS_ST_EUlSS_E0_NS1_11comp_targetILNS1_3genE4ELNS1_11target_archE910ELNS1_3gpuE8ELNS1_3repE0EEENS1_30default_config_static_selectorELNS0_4arch9wavefront6targetE1EEEvT1_, .Lfunc_end4027-_ZN7rocprim17ROCPRIM_400000_NS6detail17trampoline_kernelINS0_14default_configENS1_20scan_config_selectorIsEEZZNS1_9scan_implILNS1_25lookback_scan_determinismE0ELb0ELb0ES3_N6thrust23THRUST_200600_302600_NS6detail15normal_iteratorINS9_10device_ptrIsEEEENS9_16discard_iteratorINS9_11use_defaultEEEs11max_functorIsEsEEDaPvRmT3_T4_T5_mT6_P12ihipStream_tbENKUlT_T0_E_clISt17integral_constantIbLb1EESX_EEDaSS_ST_EUlSS_E0_NS1_11comp_targetILNS1_3genE4ELNS1_11target_archE910ELNS1_3gpuE8ELNS1_3repE0EEENS1_30default_config_static_selectorELNS0_4arch9wavefront6targetE1EEEvT1_
                                        ; -- End function
	.section	.AMDGPU.csdata,"",@progbits
; Kernel info:
; codeLenInByte = 1856
; NumSgprs: 10
; NumVgprs: 41
; NumAgprs: 0
; TotalNumVgprs: 41
; ScratchSize: 0
; MemoryBound: 0
; FloatMode: 240
; IeeeMode: 1
; LDSByteSize: 3072 bytes/workgroup (compile time only)
; SGPRBlocks: 1
; VGPRBlocks: 5
; NumSGPRsForWavesPerEU: 10
; NumVGPRsForWavesPerEU: 41
; AccumOffset: 44
; Occupancy: 6
; WaveLimiterHint : 0
; COMPUTE_PGM_RSRC2:SCRATCH_EN: 0
; COMPUTE_PGM_RSRC2:USER_SGPR: 6
; COMPUTE_PGM_RSRC2:TRAP_HANDLER: 0
; COMPUTE_PGM_RSRC2:TGID_X_EN: 1
; COMPUTE_PGM_RSRC2:TGID_Y_EN: 0
; COMPUTE_PGM_RSRC2:TGID_Z_EN: 0
; COMPUTE_PGM_RSRC2:TIDIG_COMP_CNT: 0
; COMPUTE_PGM_RSRC3_GFX90A:ACCUM_OFFSET: 10
; COMPUTE_PGM_RSRC3_GFX90A:TG_SPLIT: 0
	.section	.text._ZN7rocprim17ROCPRIM_400000_NS6detail17trampoline_kernelINS0_14default_configENS1_20scan_config_selectorIsEEZZNS1_9scan_implILNS1_25lookback_scan_determinismE0ELb0ELb0ES3_N6thrust23THRUST_200600_302600_NS6detail15normal_iteratorINS9_10device_ptrIsEEEENS9_16discard_iteratorINS9_11use_defaultEEEs11max_functorIsEsEEDaPvRmT3_T4_T5_mT6_P12ihipStream_tbENKUlT_T0_E_clISt17integral_constantIbLb1EESX_EEDaSS_ST_EUlSS_E0_NS1_11comp_targetILNS1_3genE3ELNS1_11target_archE908ELNS1_3gpuE7ELNS1_3repE0EEENS1_30default_config_static_selectorELNS0_4arch9wavefront6targetE1EEEvT1_,"axG",@progbits,_ZN7rocprim17ROCPRIM_400000_NS6detail17trampoline_kernelINS0_14default_configENS1_20scan_config_selectorIsEEZZNS1_9scan_implILNS1_25lookback_scan_determinismE0ELb0ELb0ES3_N6thrust23THRUST_200600_302600_NS6detail15normal_iteratorINS9_10device_ptrIsEEEENS9_16discard_iteratorINS9_11use_defaultEEEs11max_functorIsEsEEDaPvRmT3_T4_T5_mT6_P12ihipStream_tbENKUlT_T0_E_clISt17integral_constantIbLb1EESX_EEDaSS_ST_EUlSS_E0_NS1_11comp_targetILNS1_3genE3ELNS1_11target_archE908ELNS1_3gpuE7ELNS1_3repE0EEENS1_30default_config_static_selectorELNS0_4arch9wavefront6targetE1EEEvT1_,comdat
	.protected	_ZN7rocprim17ROCPRIM_400000_NS6detail17trampoline_kernelINS0_14default_configENS1_20scan_config_selectorIsEEZZNS1_9scan_implILNS1_25lookback_scan_determinismE0ELb0ELb0ES3_N6thrust23THRUST_200600_302600_NS6detail15normal_iteratorINS9_10device_ptrIsEEEENS9_16discard_iteratorINS9_11use_defaultEEEs11max_functorIsEsEEDaPvRmT3_T4_T5_mT6_P12ihipStream_tbENKUlT_T0_E_clISt17integral_constantIbLb1EESX_EEDaSS_ST_EUlSS_E0_NS1_11comp_targetILNS1_3genE3ELNS1_11target_archE908ELNS1_3gpuE7ELNS1_3repE0EEENS1_30default_config_static_selectorELNS0_4arch9wavefront6targetE1EEEvT1_ ; -- Begin function _ZN7rocprim17ROCPRIM_400000_NS6detail17trampoline_kernelINS0_14default_configENS1_20scan_config_selectorIsEEZZNS1_9scan_implILNS1_25lookback_scan_determinismE0ELb0ELb0ES3_N6thrust23THRUST_200600_302600_NS6detail15normal_iteratorINS9_10device_ptrIsEEEENS9_16discard_iteratorINS9_11use_defaultEEEs11max_functorIsEsEEDaPvRmT3_T4_T5_mT6_P12ihipStream_tbENKUlT_T0_E_clISt17integral_constantIbLb1EESX_EEDaSS_ST_EUlSS_E0_NS1_11comp_targetILNS1_3genE3ELNS1_11target_archE908ELNS1_3gpuE7ELNS1_3repE0EEENS1_30default_config_static_selectorELNS0_4arch9wavefront6targetE1EEEvT1_
	.globl	_ZN7rocprim17ROCPRIM_400000_NS6detail17trampoline_kernelINS0_14default_configENS1_20scan_config_selectorIsEEZZNS1_9scan_implILNS1_25lookback_scan_determinismE0ELb0ELb0ES3_N6thrust23THRUST_200600_302600_NS6detail15normal_iteratorINS9_10device_ptrIsEEEENS9_16discard_iteratorINS9_11use_defaultEEEs11max_functorIsEsEEDaPvRmT3_T4_T5_mT6_P12ihipStream_tbENKUlT_T0_E_clISt17integral_constantIbLb1EESX_EEDaSS_ST_EUlSS_E0_NS1_11comp_targetILNS1_3genE3ELNS1_11target_archE908ELNS1_3gpuE7ELNS1_3repE0EEENS1_30default_config_static_selectorELNS0_4arch9wavefront6targetE1EEEvT1_
	.p2align	8
	.type	_ZN7rocprim17ROCPRIM_400000_NS6detail17trampoline_kernelINS0_14default_configENS1_20scan_config_selectorIsEEZZNS1_9scan_implILNS1_25lookback_scan_determinismE0ELb0ELb0ES3_N6thrust23THRUST_200600_302600_NS6detail15normal_iteratorINS9_10device_ptrIsEEEENS9_16discard_iteratorINS9_11use_defaultEEEs11max_functorIsEsEEDaPvRmT3_T4_T5_mT6_P12ihipStream_tbENKUlT_T0_E_clISt17integral_constantIbLb1EESX_EEDaSS_ST_EUlSS_E0_NS1_11comp_targetILNS1_3genE3ELNS1_11target_archE908ELNS1_3gpuE7ELNS1_3repE0EEENS1_30default_config_static_selectorELNS0_4arch9wavefront6targetE1EEEvT1_,@function
_ZN7rocprim17ROCPRIM_400000_NS6detail17trampoline_kernelINS0_14default_configENS1_20scan_config_selectorIsEEZZNS1_9scan_implILNS1_25lookback_scan_determinismE0ELb0ELb0ES3_N6thrust23THRUST_200600_302600_NS6detail15normal_iteratorINS9_10device_ptrIsEEEENS9_16discard_iteratorINS9_11use_defaultEEEs11max_functorIsEsEEDaPvRmT3_T4_T5_mT6_P12ihipStream_tbENKUlT_T0_E_clISt17integral_constantIbLb1EESX_EEDaSS_ST_EUlSS_E0_NS1_11comp_targetILNS1_3genE3ELNS1_11target_archE908ELNS1_3gpuE7ELNS1_3repE0EEENS1_30default_config_static_selectorELNS0_4arch9wavefront6targetE1EEEvT1_: ; @_ZN7rocprim17ROCPRIM_400000_NS6detail17trampoline_kernelINS0_14default_configENS1_20scan_config_selectorIsEEZZNS1_9scan_implILNS1_25lookback_scan_determinismE0ELb0ELb0ES3_N6thrust23THRUST_200600_302600_NS6detail15normal_iteratorINS9_10device_ptrIsEEEENS9_16discard_iteratorINS9_11use_defaultEEEs11max_functorIsEsEEDaPvRmT3_T4_T5_mT6_P12ihipStream_tbENKUlT_T0_E_clISt17integral_constantIbLb1EESX_EEDaSS_ST_EUlSS_E0_NS1_11comp_targetILNS1_3genE3ELNS1_11target_archE908ELNS1_3gpuE7ELNS1_3repE0EEENS1_30default_config_static_selectorELNS0_4arch9wavefront6targetE1EEEvT1_
; %bb.0:
	.section	.rodata,"a",@progbits
	.p2align	6, 0x0
	.amdhsa_kernel _ZN7rocprim17ROCPRIM_400000_NS6detail17trampoline_kernelINS0_14default_configENS1_20scan_config_selectorIsEEZZNS1_9scan_implILNS1_25lookback_scan_determinismE0ELb0ELb0ES3_N6thrust23THRUST_200600_302600_NS6detail15normal_iteratorINS9_10device_ptrIsEEEENS9_16discard_iteratorINS9_11use_defaultEEEs11max_functorIsEsEEDaPvRmT3_T4_T5_mT6_P12ihipStream_tbENKUlT_T0_E_clISt17integral_constantIbLb1EESX_EEDaSS_ST_EUlSS_E0_NS1_11comp_targetILNS1_3genE3ELNS1_11target_archE908ELNS1_3gpuE7ELNS1_3repE0EEENS1_30default_config_static_selectorELNS0_4arch9wavefront6targetE1EEEvT1_
		.amdhsa_group_segment_fixed_size 0
		.amdhsa_private_segment_fixed_size 0
		.amdhsa_kernarg_size 40
		.amdhsa_user_sgpr_count 6
		.amdhsa_user_sgpr_private_segment_buffer 1
		.amdhsa_user_sgpr_dispatch_ptr 0
		.amdhsa_user_sgpr_queue_ptr 0
		.amdhsa_user_sgpr_kernarg_segment_ptr 1
		.amdhsa_user_sgpr_dispatch_id 0
		.amdhsa_user_sgpr_flat_scratch_init 0
		.amdhsa_user_sgpr_kernarg_preload_length 0
		.amdhsa_user_sgpr_kernarg_preload_offset 0
		.amdhsa_user_sgpr_private_segment_size 0
		.amdhsa_uses_dynamic_stack 0
		.amdhsa_system_sgpr_private_segment_wavefront_offset 0
		.amdhsa_system_sgpr_workgroup_id_x 1
		.amdhsa_system_sgpr_workgroup_id_y 0
		.amdhsa_system_sgpr_workgroup_id_z 0
		.amdhsa_system_sgpr_workgroup_info 0
		.amdhsa_system_vgpr_workitem_id 0
		.amdhsa_next_free_vgpr 1
		.amdhsa_next_free_sgpr 0
		.amdhsa_accum_offset 4
		.amdhsa_reserve_vcc 0
		.amdhsa_reserve_flat_scratch 0
		.amdhsa_float_round_mode_32 0
		.amdhsa_float_round_mode_16_64 0
		.amdhsa_float_denorm_mode_32 3
		.amdhsa_float_denorm_mode_16_64 3
		.amdhsa_dx10_clamp 1
		.amdhsa_ieee_mode 1
		.amdhsa_fp16_overflow 0
		.amdhsa_tg_split 0
		.amdhsa_exception_fp_ieee_invalid_op 0
		.amdhsa_exception_fp_denorm_src 0
		.amdhsa_exception_fp_ieee_div_zero 0
		.amdhsa_exception_fp_ieee_overflow 0
		.amdhsa_exception_fp_ieee_underflow 0
		.amdhsa_exception_fp_ieee_inexact 0
		.amdhsa_exception_int_div_zero 0
	.end_amdhsa_kernel
	.section	.text._ZN7rocprim17ROCPRIM_400000_NS6detail17trampoline_kernelINS0_14default_configENS1_20scan_config_selectorIsEEZZNS1_9scan_implILNS1_25lookback_scan_determinismE0ELb0ELb0ES3_N6thrust23THRUST_200600_302600_NS6detail15normal_iteratorINS9_10device_ptrIsEEEENS9_16discard_iteratorINS9_11use_defaultEEEs11max_functorIsEsEEDaPvRmT3_T4_T5_mT6_P12ihipStream_tbENKUlT_T0_E_clISt17integral_constantIbLb1EESX_EEDaSS_ST_EUlSS_E0_NS1_11comp_targetILNS1_3genE3ELNS1_11target_archE908ELNS1_3gpuE7ELNS1_3repE0EEENS1_30default_config_static_selectorELNS0_4arch9wavefront6targetE1EEEvT1_,"axG",@progbits,_ZN7rocprim17ROCPRIM_400000_NS6detail17trampoline_kernelINS0_14default_configENS1_20scan_config_selectorIsEEZZNS1_9scan_implILNS1_25lookback_scan_determinismE0ELb0ELb0ES3_N6thrust23THRUST_200600_302600_NS6detail15normal_iteratorINS9_10device_ptrIsEEEENS9_16discard_iteratorINS9_11use_defaultEEEs11max_functorIsEsEEDaPvRmT3_T4_T5_mT6_P12ihipStream_tbENKUlT_T0_E_clISt17integral_constantIbLb1EESX_EEDaSS_ST_EUlSS_E0_NS1_11comp_targetILNS1_3genE3ELNS1_11target_archE908ELNS1_3gpuE7ELNS1_3repE0EEENS1_30default_config_static_selectorELNS0_4arch9wavefront6targetE1EEEvT1_,comdat
.Lfunc_end4028:
	.size	_ZN7rocprim17ROCPRIM_400000_NS6detail17trampoline_kernelINS0_14default_configENS1_20scan_config_selectorIsEEZZNS1_9scan_implILNS1_25lookback_scan_determinismE0ELb0ELb0ES3_N6thrust23THRUST_200600_302600_NS6detail15normal_iteratorINS9_10device_ptrIsEEEENS9_16discard_iteratorINS9_11use_defaultEEEs11max_functorIsEsEEDaPvRmT3_T4_T5_mT6_P12ihipStream_tbENKUlT_T0_E_clISt17integral_constantIbLb1EESX_EEDaSS_ST_EUlSS_E0_NS1_11comp_targetILNS1_3genE3ELNS1_11target_archE908ELNS1_3gpuE7ELNS1_3repE0EEENS1_30default_config_static_selectorELNS0_4arch9wavefront6targetE1EEEvT1_, .Lfunc_end4028-_ZN7rocprim17ROCPRIM_400000_NS6detail17trampoline_kernelINS0_14default_configENS1_20scan_config_selectorIsEEZZNS1_9scan_implILNS1_25lookback_scan_determinismE0ELb0ELb0ES3_N6thrust23THRUST_200600_302600_NS6detail15normal_iteratorINS9_10device_ptrIsEEEENS9_16discard_iteratorINS9_11use_defaultEEEs11max_functorIsEsEEDaPvRmT3_T4_T5_mT6_P12ihipStream_tbENKUlT_T0_E_clISt17integral_constantIbLb1EESX_EEDaSS_ST_EUlSS_E0_NS1_11comp_targetILNS1_3genE3ELNS1_11target_archE908ELNS1_3gpuE7ELNS1_3repE0EEENS1_30default_config_static_selectorELNS0_4arch9wavefront6targetE1EEEvT1_
                                        ; -- End function
	.section	.AMDGPU.csdata,"",@progbits
; Kernel info:
; codeLenInByte = 0
; NumSgprs: 4
; NumVgprs: 0
; NumAgprs: 0
; TotalNumVgprs: 0
; ScratchSize: 0
; MemoryBound: 0
; FloatMode: 240
; IeeeMode: 1
; LDSByteSize: 0 bytes/workgroup (compile time only)
; SGPRBlocks: 0
; VGPRBlocks: 0
; NumSGPRsForWavesPerEU: 4
; NumVGPRsForWavesPerEU: 1
; AccumOffset: 4
; Occupancy: 8
; WaveLimiterHint : 0
; COMPUTE_PGM_RSRC2:SCRATCH_EN: 0
; COMPUTE_PGM_RSRC2:USER_SGPR: 6
; COMPUTE_PGM_RSRC2:TRAP_HANDLER: 0
; COMPUTE_PGM_RSRC2:TGID_X_EN: 1
; COMPUTE_PGM_RSRC2:TGID_Y_EN: 0
; COMPUTE_PGM_RSRC2:TGID_Z_EN: 0
; COMPUTE_PGM_RSRC2:TIDIG_COMP_CNT: 0
; COMPUTE_PGM_RSRC3_GFX90A:ACCUM_OFFSET: 0
; COMPUTE_PGM_RSRC3_GFX90A:TG_SPLIT: 0
	.section	.text._ZN7rocprim17ROCPRIM_400000_NS6detail17trampoline_kernelINS0_14default_configENS1_20scan_config_selectorIsEEZZNS1_9scan_implILNS1_25lookback_scan_determinismE0ELb0ELb0ES3_N6thrust23THRUST_200600_302600_NS6detail15normal_iteratorINS9_10device_ptrIsEEEENS9_16discard_iteratorINS9_11use_defaultEEEs11max_functorIsEsEEDaPvRmT3_T4_T5_mT6_P12ihipStream_tbENKUlT_T0_E_clISt17integral_constantIbLb1EESX_EEDaSS_ST_EUlSS_E0_NS1_11comp_targetILNS1_3genE2ELNS1_11target_archE906ELNS1_3gpuE6ELNS1_3repE0EEENS1_30default_config_static_selectorELNS0_4arch9wavefront6targetE1EEEvT1_,"axG",@progbits,_ZN7rocprim17ROCPRIM_400000_NS6detail17trampoline_kernelINS0_14default_configENS1_20scan_config_selectorIsEEZZNS1_9scan_implILNS1_25lookback_scan_determinismE0ELb0ELb0ES3_N6thrust23THRUST_200600_302600_NS6detail15normal_iteratorINS9_10device_ptrIsEEEENS9_16discard_iteratorINS9_11use_defaultEEEs11max_functorIsEsEEDaPvRmT3_T4_T5_mT6_P12ihipStream_tbENKUlT_T0_E_clISt17integral_constantIbLb1EESX_EEDaSS_ST_EUlSS_E0_NS1_11comp_targetILNS1_3genE2ELNS1_11target_archE906ELNS1_3gpuE6ELNS1_3repE0EEENS1_30default_config_static_selectorELNS0_4arch9wavefront6targetE1EEEvT1_,comdat
	.protected	_ZN7rocprim17ROCPRIM_400000_NS6detail17trampoline_kernelINS0_14default_configENS1_20scan_config_selectorIsEEZZNS1_9scan_implILNS1_25lookback_scan_determinismE0ELb0ELb0ES3_N6thrust23THRUST_200600_302600_NS6detail15normal_iteratorINS9_10device_ptrIsEEEENS9_16discard_iteratorINS9_11use_defaultEEEs11max_functorIsEsEEDaPvRmT3_T4_T5_mT6_P12ihipStream_tbENKUlT_T0_E_clISt17integral_constantIbLb1EESX_EEDaSS_ST_EUlSS_E0_NS1_11comp_targetILNS1_3genE2ELNS1_11target_archE906ELNS1_3gpuE6ELNS1_3repE0EEENS1_30default_config_static_selectorELNS0_4arch9wavefront6targetE1EEEvT1_ ; -- Begin function _ZN7rocprim17ROCPRIM_400000_NS6detail17trampoline_kernelINS0_14default_configENS1_20scan_config_selectorIsEEZZNS1_9scan_implILNS1_25lookback_scan_determinismE0ELb0ELb0ES3_N6thrust23THRUST_200600_302600_NS6detail15normal_iteratorINS9_10device_ptrIsEEEENS9_16discard_iteratorINS9_11use_defaultEEEs11max_functorIsEsEEDaPvRmT3_T4_T5_mT6_P12ihipStream_tbENKUlT_T0_E_clISt17integral_constantIbLb1EESX_EEDaSS_ST_EUlSS_E0_NS1_11comp_targetILNS1_3genE2ELNS1_11target_archE906ELNS1_3gpuE6ELNS1_3repE0EEENS1_30default_config_static_selectorELNS0_4arch9wavefront6targetE1EEEvT1_
	.globl	_ZN7rocprim17ROCPRIM_400000_NS6detail17trampoline_kernelINS0_14default_configENS1_20scan_config_selectorIsEEZZNS1_9scan_implILNS1_25lookback_scan_determinismE0ELb0ELb0ES3_N6thrust23THRUST_200600_302600_NS6detail15normal_iteratorINS9_10device_ptrIsEEEENS9_16discard_iteratorINS9_11use_defaultEEEs11max_functorIsEsEEDaPvRmT3_T4_T5_mT6_P12ihipStream_tbENKUlT_T0_E_clISt17integral_constantIbLb1EESX_EEDaSS_ST_EUlSS_E0_NS1_11comp_targetILNS1_3genE2ELNS1_11target_archE906ELNS1_3gpuE6ELNS1_3repE0EEENS1_30default_config_static_selectorELNS0_4arch9wavefront6targetE1EEEvT1_
	.p2align	8
	.type	_ZN7rocprim17ROCPRIM_400000_NS6detail17trampoline_kernelINS0_14default_configENS1_20scan_config_selectorIsEEZZNS1_9scan_implILNS1_25lookback_scan_determinismE0ELb0ELb0ES3_N6thrust23THRUST_200600_302600_NS6detail15normal_iteratorINS9_10device_ptrIsEEEENS9_16discard_iteratorINS9_11use_defaultEEEs11max_functorIsEsEEDaPvRmT3_T4_T5_mT6_P12ihipStream_tbENKUlT_T0_E_clISt17integral_constantIbLb1EESX_EEDaSS_ST_EUlSS_E0_NS1_11comp_targetILNS1_3genE2ELNS1_11target_archE906ELNS1_3gpuE6ELNS1_3repE0EEENS1_30default_config_static_selectorELNS0_4arch9wavefront6targetE1EEEvT1_,@function
_ZN7rocprim17ROCPRIM_400000_NS6detail17trampoline_kernelINS0_14default_configENS1_20scan_config_selectorIsEEZZNS1_9scan_implILNS1_25lookback_scan_determinismE0ELb0ELb0ES3_N6thrust23THRUST_200600_302600_NS6detail15normal_iteratorINS9_10device_ptrIsEEEENS9_16discard_iteratorINS9_11use_defaultEEEs11max_functorIsEsEEDaPvRmT3_T4_T5_mT6_P12ihipStream_tbENKUlT_T0_E_clISt17integral_constantIbLb1EESX_EEDaSS_ST_EUlSS_E0_NS1_11comp_targetILNS1_3genE2ELNS1_11target_archE906ELNS1_3gpuE6ELNS1_3repE0EEENS1_30default_config_static_selectorELNS0_4arch9wavefront6targetE1EEEvT1_: ; @_ZN7rocprim17ROCPRIM_400000_NS6detail17trampoline_kernelINS0_14default_configENS1_20scan_config_selectorIsEEZZNS1_9scan_implILNS1_25lookback_scan_determinismE0ELb0ELb0ES3_N6thrust23THRUST_200600_302600_NS6detail15normal_iteratorINS9_10device_ptrIsEEEENS9_16discard_iteratorINS9_11use_defaultEEEs11max_functorIsEsEEDaPvRmT3_T4_T5_mT6_P12ihipStream_tbENKUlT_T0_E_clISt17integral_constantIbLb1EESX_EEDaSS_ST_EUlSS_E0_NS1_11comp_targetILNS1_3genE2ELNS1_11target_archE906ELNS1_3gpuE6ELNS1_3repE0EEENS1_30default_config_static_selectorELNS0_4arch9wavefront6targetE1EEEvT1_
; %bb.0:
	.section	.rodata,"a",@progbits
	.p2align	6, 0x0
	.amdhsa_kernel _ZN7rocprim17ROCPRIM_400000_NS6detail17trampoline_kernelINS0_14default_configENS1_20scan_config_selectorIsEEZZNS1_9scan_implILNS1_25lookback_scan_determinismE0ELb0ELb0ES3_N6thrust23THRUST_200600_302600_NS6detail15normal_iteratorINS9_10device_ptrIsEEEENS9_16discard_iteratorINS9_11use_defaultEEEs11max_functorIsEsEEDaPvRmT3_T4_T5_mT6_P12ihipStream_tbENKUlT_T0_E_clISt17integral_constantIbLb1EESX_EEDaSS_ST_EUlSS_E0_NS1_11comp_targetILNS1_3genE2ELNS1_11target_archE906ELNS1_3gpuE6ELNS1_3repE0EEENS1_30default_config_static_selectorELNS0_4arch9wavefront6targetE1EEEvT1_
		.amdhsa_group_segment_fixed_size 0
		.amdhsa_private_segment_fixed_size 0
		.amdhsa_kernarg_size 40
		.amdhsa_user_sgpr_count 6
		.amdhsa_user_sgpr_private_segment_buffer 1
		.amdhsa_user_sgpr_dispatch_ptr 0
		.amdhsa_user_sgpr_queue_ptr 0
		.amdhsa_user_sgpr_kernarg_segment_ptr 1
		.amdhsa_user_sgpr_dispatch_id 0
		.amdhsa_user_sgpr_flat_scratch_init 0
		.amdhsa_user_sgpr_kernarg_preload_length 0
		.amdhsa_user_sgpr_kernarg_preload_offset 0
		.amdhsa_user_sgpr_private_segment_size 0
		.amdhsa_uses_dynamic_stack 0
		.amdhsa_system_sgpr_private_segment_wavefront_offset 0
		.amdhsa_system_sgpr_workgroup_id_x 1
		.amdhsa_system_sgpr_workgroup_id_y 0
		.amdhsa_system_sgpr_workgroup_id_z 0
		.amdhsa_system_sgpr_workgroup_info 0
		.amdhsa_system_vgpr_workitem_id 0
		.amdhsa_next_free_vgpr 1
		.amdhsa_next_free_sgpr 0
		.amdhsa_accum_offset 4
		.amdhsa_reserve_vcc 0
		.amdhsa_reserve_flat_scratch 0
		.amdhsa_float_round_mode_32 0
		.amdhsa_float_round_mode_16_64 0
		.amdhsa_float_denorm_mode_32 3
		.amdhsa_float_denorm_mode_16_64 3
		.amdhsa_dx10_clamp 1
		.amdhsa_ieee_mode 1
		.amdhsa_fp16_overflow 0
		.amdhsa_tg_split 0
		.amdhsa_exception_fp_ieee_invalid_op 0
		.amdhsa_exception_fp_denorm_src 0
		.amdhsa_exception_fp_ieee_div_zero 0
		.amdhsa_exception_fp_ieee_overflow 0
		.amdhsa_exception_fp_ieee_underflow 0
		.amdhsa_exception_fp_ieee_inexact 0
		.amdhsa_exception_int_div_zero 0
	.end_amdhsa_kernel
	.section	.text._ZN7rocprim17ROCPRIM_400000_NS6detail17trampoline_kernelINS0_14default_configENS1_20scan_config_selectorIsEEZZNS1_9scan_implILNS1_25lookback_scan_determinismE0ELb0ELb0ES3_N6thrust23THRUST_200600_302600_NS6detail15normal_iteratorINS9_10device_ptrIsEEEENS9_16discard_iteratorINS9_11use_defaultEEEs11max_functorIsEsEEDaPvRmT3_T4_T5_mT6_P12ihipStream_tbENKUlT_T0_E_clISt17integral_constantIbLb1EESX_EEDaSS_ST_EUlSS_E0_NS1_11comp_targetILNS1_3genE2ELNS1_11target_archE906ELNS1_3gpuE6ELNS1_3repE0EEENS1_30default_config_static_selectorELNS0_4arch9wavefront6targetE1EEEvT1_,"axG",@progbits,_ZN7rocprim17ROCPRIM_400000_NS6detail17trampoline_kernelINS0_14default_configENS1_20scan_config_selectorIsEEZZNS1_9scan_implILNS1_25lookback_scan_determinismE0ELb0ELb0ES3_N6thrust23THRUST_200600_302600_NS6detail15normal_iteratorINS9_10device_ptrIsEEEENS9_16discard_iteratorINS9_11use_defaultEEEs11max_functorIsEsEEDaPvRmT3_T4_T5_mT6_P12ihipStream_tbENKUlT_T0_E_clISt17integral_constantIbLb1EESX_EEDaSS_ST_EUlSS_E0_NS1_11comp_targetILNS1_3genE2ELNS1_11target_archE906ELNS1_3gpuE6ELNS1_3repE0EEENS1_30default_config_static_selectorELNS0_4arch9wavefront6targetE1EEEvT1_,comdat
.Lfunc_end4029:
	.size	_ZN7rocprim17ROCPRIM_400000_NS6detail17trampoline_kernelINS0_14default_configENS1_20scan_config_selectorIsEEZZNS1_9scan_implILNS1_25lookback_scan_determinismE0ELb0ELb0ES3_N6thrust23THRUST_200600_302600_NS6detail15normal_iteratorINS9_10device_ptrIsEEEENS9_16discard_iteratorINS9_11use_defaultEEEs11max_functorIsEsEEDaPvRmT3_T4_T5_mT6_P12ihipStream_tbENKUlT_T0_E_clISt17integral_constantIbLb1EESX_EEDaSS_ST_EUlSS_E0_NS1_11comp_targetILNS1_3genE2ELNS1_11target_archE906ELNS1_3gpuE6ELNS1_3repE0EEENS1_30default_config_static_selectorELNS0_4arch9wavefront6targetE1EEEvT1_, .Lfunc_end4029-_ZN7rocprim17ROCPRIM_400000_NS6detail17trampoline_kernelINS0_14default_configENS1_20scan_config_selectorIsEEZZNS1_9scan_implILNS1_25lookback_scan_determinismE0ELb0ELb0ES3_N6thrust23THRUST_200600_302600_NS6detail15normal_iteratorINS9_10device_ptrIsEEEENS9_16discard_iteratorINS9_11use_defaultEEEs11max_functorIsEsEEDaPvRmT3_T4_T5_mT6_P12ihipStream_tbENKUlT_T0_E_clISt17integral_constantIbLb1EESX_EEDaSS_ST_EUlSS_E0_NS1_11comp_targetILNS1_3genE2ELNS1_11target_archE906ELNS1_3gpuE6ELNS1_3repE0EEENS1_30default_config_static_selectorELNS0_4arch9wavefront6targetE1EEEvT1_
                                        ; -- End function
	.section	.AMDGPU.csdata,"",@progbits
; Kernel info:
; codeLenInByte = 0
; NumSgprs: 4
; NumVgprs: 0
; NumAgprs: 0
; TotalNumVgprs: 0
; ScratchSize: 0
; MemoryBound: 0
; FloatMode: 240
; IeeeMode: 1
; LDSByteSize: 0 bytes/workgroup (compile time only)
; SGPRBlocks: 0
; VGPRBlocks: 0
; NumSGPRsForWavesPerEU: 4
; NumVGPRsForWavesPerEU: 1
; AccumOffset: 4
; Occupancy: 8
; WaveLimiterHint : 0
; COMPUTE_PGM_RSRC2:SCRATCH_EN: 0
; COMPUTE_PGM_RSRC2:USER_SGPR: 6
; COMPUTE_PGM_RSRC2:TRAP_HANDLER: 0
; COMPUTE_PGM_RSRC2:TGID_X_EN: 1
; COMPUTE_PGM_RSRC2:TGID_Y_EN: 0
; COMPUTE_PGM_RSRC2:TGID_Z_EN: 0
; COMPUTE_PGM_RSRC2:TIDIG_COMP_CNT: 0
; COMPUTE_PGM_RSRC3_GFX90A:ACCUM_OFFSET: 0
; COMPUTE_PGM_RSRC3_GFX90A:TG_SPLIT: 0
	.section	.text._ZN7rocprim17ROCPRIM_400000_NS6detail17trampoline_kernelINS0_14default_configENS1_20scan_config_selectorIsEEZZNS1_9scan_implILNS1_25lookback_scan_determinismE0ELb0ELb0ES3_N6thrust23THRUST_200600_302600_NS6detail15normal_iteratorINS9_10device_ptrIsEEEENS9_16discard_iteratorINS9_11use_defaultEEEs11max_functorIsEsEEDaPvRmT3_T4_T5_mT6_P12ihipStream_tbENKUlT_T0_E_clISt17integral_constantIbLb1EESX_EEDaSS_ST_EUlSS_E0_NS1_11comp_targetILNS1_3genE10ELNS1_11target_archE1201ELNS1_3gpuE5ELNS1_3repE0EEENS1_30default_config_static_selectorELNS0_4arch9wavefront6targetE1EEEvT1_,"axG",@progbits,_ZN7rocprim17ROCPRIM_400000_NS6detail17trampoline_kernelINS0_14default_configENS1_20scan_config_selectorIsEEZZNS1_9scan_implILNS1_25lookback_scan_determinismE0ELb0ELb0ES3_N6thrust23THRUST_200600_302600_NS6detail15normal_iteratorINS9_10device_ptrIsEEEENS9_16discard_iteratorINS9_11use_defaultEEEs11max_functorIsEsEEDaPvRmT3_T4_T5_mT6_P12ihipStream_tbENKUlT_T0_E_clISt17integral_constantIbLb1EESX_EEDaSS_ST_EUlSS_E0_NS1_11comp_targetILNS1_3genE10ELNS1_11target_archE1201ELNS1_3gpuE5ELNS1_3repE0EEENS1_30default_config_static_selectorELNS0_4arch9wavefront6targetE1EEEvT1_,comdat
	.protected	_ZN7rocprim17ROCPRIM_400000_NS6detail17trampoline_kernelINS0_14default_configENS1_20scan_config_selectorIsEEZZNS1_9scan_implILNS1_25lookback_scan_determinismE0ELb0ELb0ES3_N6thrust23THRUST_200600_302600_NS6detail15normal_iteratorINS9_10device_ptrIsEEEENS9_16discard_iteratorINS9_11use_defaultEEEs11max_functorIsEsEEDaPvRmT3_T4_T5_mT6_P12ihipStream_tbENKUlT_T0_E_clISt17integral_constantIbLb1EESX_EEDaSS_ST_EUlSS_E0_NS1_11comp_targetILNS1_3genE10ELNS1_11target_archE1201ELNS1_3gpuE5ELNS1_3repE0EEENS1_30default_config_static_selectorELNS0_4arch9wavefront6targetE1EEEvT1_ ; -- Begin function _ZN7rocprim17ROCPRIM_400000_NS6detail17trampoline_kernelINS0_14default_configENS1_20scan_config_selectorIsEEZZNS1_9scan_implILNS1_25lookback_scan_determinismE0ELb0ELb0ES3_N6thrust23THRUST_200600_302600_NS6detail15normal_iteratorINS9_10device_ptrIsEEEENS9_16discard_iteratorINS9_11use_defaultEEEs11max_functorIsEsEEDaPvRmT3_T4_T5_mT6_P12ihipStream_tbENKUlT_T0_E_clISt17integral_constantIbLb1EESX_EEDaSS_ST_EUlSS_E0_NS1_11comp_targetILNS1_3genE10ELNS1_11target_archE1201ELNS1_3gpuE5ELNS1_3repE0EEENS1_30default_config_static_selectorELNS0_4arch9wavefront6targetE1EEEvT1_
	.globl	_ZN7rocprim17ROCPRIM_400000_NS6detail17trampoline_kernelINS0_14default_configENS1_20scan_config_selectorIsEEZZNS1_9scan_implILNS1_25lookback_scan_determinismE0ELb0ELb0ES3_N6thrust23THRUST_200600_302600_NS6detail15normal_iteratorINS9_10device_ptrIsEEEENS9_16discard_iteratorINS9_11use_defaultEEEs11max_functorIsEsEEDaPvRmT3_T4_T5_mT6_P12ihipStream_tbENKUlT_T0_E_clISt17integral_constantIbLb1EESX_EEDaSS_ST_EUlSS_E0_NS1_11comp_targetILNS1_3genE10ELNS1_11target_archE1201ELNS1_3gpuE5ELNS1_3repE0EEENS1_30default_config_static_selectorELNS0_4arch9wavefront6targetE1EEEvT1_
	.p2align	8
	.type	_ZN7rocprim17ROCPRIM_400000_NS6detail17trampoline_kernelINS0_14default_configENS1_20scan_config_selectorIsEEZZNS1_9scan_implILNS1_25lookback_scan_determinismE0ELb0ELb0ES3_N6thrust23THRUST_200600_302600_NS6detail15normal_iteratorINS9_10device_ptrIsEEEENS9_16discard_iteratorINS9_11use_defaultEEEs11max_functorIsEsEEDaPvRmT3_T4_T5_mT6_P12ihipStream_tbENKUlT_T0_E_clISt17integral_constantIbLb1EESX_EEDaSS_ST_EUlSS_E0_NS1_11comp_targetILNS1_3genE10ELNS1_11target_archE1201ELNS1_3gpuE5ELNS1_3repE0EEENS1_30default_config_static_selectorELNS0_4arch9wavefront6targetE1EEEvT1_,@function
_ZN7rocprim17ROCPRIM_400000_NS6detail17trampoline_kernelINS0_14default_configENS1_20scan_config_selectorIsEEZZNS1_9scan_implILNS1_25lookback_scan_determinismE0ELb0ELb0ES3_N6thrust23THRUST_200600_302600_NS6detail15normal_iteratorINS9_10device_ptrIsEEEENS9_16discard_iteratorINS9_11use_defaultEEEs11max_functorIsEsEEDaPvRmT3_T4_T5_mT6_P12ihipStream_tbENKUlT_T0_E_clISt17integral_constantIbLb1EESX_EEDaSS_ST_EUlSS_E0_NS1_11comp_targetILNS1_3genE10ELNS1_11target_archE1201ELNS1_3gpuE5ELNS1_3repE0EEENS1_30default_config_static_selectorELNS0_4arch9wavefront6targetE1EEEvT1_: ; @_ZN7rocprim17ROCPRIM_400000_NS6detail17trampoline_kernelINS0_14default_configENS1_20scan_config_selectorIsEEZZNS1_9scan_implILNS1_25lookback_scan_determinismE0ELb0ELb0ES3_N6thrust23THRUST_200600_302600_NS6detail15normal_iteratorINS9_10device_ptrIsEEEENS9_16discard_iteratorINS9_11use_defaultEEEs11max_functorIsEsEEDaPvRmT3_T4_T5_mT6_P12ihipStream_tbENKUlT_T0_E_clISt17integral_constantIbLb1EESX_EEDaSS_ST_EUlSS_E0_NS1_11comp_targetILNS1_3genE10ELNS1_11target_archE1201ELNS1_3gpuE5ELNS1_3repE0EEENS1_30default_config_static_selectorELNS0_4arch9wavefront6targetE1EEEvT1_
; %bb.0:
	.section	.rodata,"a",@progbits
	.p2align	6, 0x0
	.amdhsa_kernel _ZN7rocprim17ROCPRIM_400000_NS6detail17trampoline_kernelINS0_14default_configENS1_20scan_config_selectorIsEEZZNS1_9scan_implILNS1_25lookback_scan_determinismE0ELb0ELb0ES3_N6thrust23THRUST_200600_302600_NS6detail15normal_iteratorINS9_10device_ptrIsEEEENS9_16discard_iteratorINS9_11use_defaultEEEs11max_functorIsEsEEDaPvRmT3_T4_T5_mT6_P12ihipStream_tbENKUlT_T0_E_clISt17integral_constantIbLb1EESX_EEDaSS_ST_EUlSS_E0_NS1_11comp_targetILNS1_3genE10ELNS1_11target_archE1201ELNS1_3gpuE5ELNS1_3repE0EEENS1_30default_config_static_selectorELNS0_4arch9wavefront6targetE1EEEvT1_
		.amdhsa_group_segment_fixed_size 0
		.amdhsa_private_segment_fixed_size 0
		.amdhsa_kernarg_size 40
		.amdhsa_user_sgpr_count 6
		.amdhsa_user_sgpr_private_segment_buffer 1
		.amdhsa_user_sgpr_dispatch_ptr 0
		.amdhsa_user_sgpr_queue_ptr 0
		.amdhsa_user_sgpr_kernarg_segment_ptr 1
		.amdhsa_user_sgpr_dispatch_id 0
		.amdhsa_user_sgpr_flat_scratch_init 0
		.amdhsa_user_sgpr_kernarg_preload_length 0
		.amdhsa_user_sgpr_kernarg_preload_offset 0
		.amdhsa_user_sgpr_private_segment_size 0
		.amdhsa_uses_dynamic_stack 0
		.amdhsa_system_sgpr_private_segment_wavefront_offset 0
		.amdhsa_system_sgpr_workgroup_id_x 1
		.amdhsa_system_sgpr_workgroup_id_y 0
		.amdhsa_system_sgpr_workgroup_id_z 0
		.amdhsa_system_sgpr_workgroup_info 0
		.amdhsa_system_vgpr_workitem_id 0
		.amdhsa_next_free_vgpr 1
		.amdhsa_next_free_sgpr 0
		.amdhsa_accum_offset 4
		.amdhsa_reserve_vcc 0
		.amdhsa_reserve_flat_scratch 0
		.amdhsa_float_round_mode_32 0
		.amdhsa_float_round_mode_16_64 0
		.amdhsa_float_denorm_mode_32 3
		.amdhsa_float_denorm_mode_16_64 3
		.amdhsa_dx10_clamp 1
		.amdhsa_ieee_mode 1
		.amdhsa_fp16_overflow 0
		.amdhsa_tg_split 0
		.amdhsa_exception_fp_ieee_invalid_op 0
		.amdhsa_exception_fp_denorm_src 0
		.amdhsa_exception_fp_ieee_div_zero 0
		.amdhsa_exception_fp_ieee_overflow 0
		.amdhsa_exception_fp_ieee_underflow 0
		.amdhsa_exception_fp_ieee_inexact 0
		.amdhsa_exception_int_div_zero 0
	.end_amdhsa_kernel
	.section	.text._ZN7rocprim17ROCPRIM_400000_NS6detail17trampoline_kernelINS0_14default_configENS1_20scan_config_selectorIsEEZZNS1_9scan_implILNS1_25lookback_scan_determinismE0ELb0ELb0ES3_N6thrust23THRUST_200600_302600_NS6detail15normal_iteratorINS9_10device_ptrIsEEEENS9_16discard_iteratorINS9_11use_defaultEEEs11max_functorIsEsEEDaPvRmT3_T4_T5_mT6_P12ihipStream_tbENKUlT_T0_E_clISt17integral_constantIbLb1EESX_EEDaSS_ST_EUlSS_E0_NS1_11comp_targetILNS1_3genE10ELNS1_11target_archE1201ELNS1_3gpuE5ELNS1_3repE0EEENS1_30default_config_static_selectorELNS0_4arch9wavefront6targetE1EEEvT1_,"axG",@progbits,_ZN7rocprim17ROCPRIM_400000_NS6detail17trampoline_kernelINS0_14default_configENS1_20scan_config_selectorIsEEZZNS1_9scan_implILNS1_25lookback_scan_determinismE0ELb0ELb0ES3_N6thrust23THRUST_200600_302600_NS6detail15normal_iteratorINS9_10device_ptrIsEEEENS9_16discard_iteratorINS9_11use_defaultEEEs11max_functorIsEsEEDaPvRmT3_T4_T5_mT6_P12ihipStream_tbENKUlT_T0_E_clISt17integral_constantIbLb1EESX_EEDaSS_ST_EUlSS_E0_NS1_11comp_targetILNS1_3genE10ELNS1_11target_archE1201ELNS1_3gpuE5ELNS1_3repE0EEENS1_30default_config_static_selectorELNS0_4arch9wavefront6targetE1EEEvT1_,comdat
.Lfunc_end4030:
	.size	_ZN7rocprim17ROCPRIM_400000_NS6detail17trampoline_kernelINS0_14default_configENS1_20scan_config_selectorIsEEZZNS1_9scan_implILNS1_25lookback_scan_determinismE0ELb0ELb0ES3_N6thrust23THRUST_200600_302600_NS6detail15normal_iteratorINS9_10device_ptrIsEEEENS9_16discard_iteratorINS9_11use_defaultEEEs11max_functorIsEsEEDaPvRmT3_T4_T5_mT6_P12ihipStream_tbENKUlT_T0_E_clISt17integral_constantIbLb1EESX_EEDaSS_ST_EUlSS_E0_NS1_11comp_targetILNS1_3genE10ELNS1_11target_archE1201ELNS1_3gpuE5ELNS1_3repE0EEENS1_30default_config_static_selectorELNS0_4arch9wavefront6targetE1EEEvT1_, .Lfunc_end4030-_ZN7rocprim17ROCPRIM_400000_NS6detail17trampoline_kernelINS0_14default_configENS1_20scan_config_selectorIsEEZZNS1_9scan_implILNS1_25lookback_scan_determinismE0ELb0ELb0ES3_N6thrust23THRUST_200600_302600_NS6detail15normal_iteratorINS9_10device_ptrIsEEEENS9_16discard_iteratorINS9_11use_defaultEEEs11max_functorIsEsEEDaPvRmT3_T4_T5_mT6_P12ihipStream_tbENKUlT_T0_E_clISt17integral_constantIbLb1EESX_EEDaSS_ST_EUlSS_E0_NS1_11comp_targetILNS1_3genE10ELNS1_11target_archE1201ELNS1_3gpuE5ELNS1_3repE0EEENS1_30default_config_static_selectorELNS0_4arch9wavefront6targetE1EEEvT1_
                                        ; -- End function
	.section	.AMDGPU.csdata,"",@progbits
; Kernel info:
; codeLenInByte = 0
; NumSgprs: 4
; NumVgprs: 0
; NumAgprs: 0
; TotalNumVgprs: 0
; ScratchSize: 0
; MemoryBound: 0
; FloatMode: 240
; IeeeMode: 1
; LDSByteSize: 0 bytes/workgroup (compile time only)
; SGPRBlocks: 0
; VGPRBlocks: 0
; NumSGPRsForWavesPerEU: 4
; NumVGPRsForWavesPerEU: 1
; AccumOffset: 4
; Occupancy: 8
; WaveLimiterHint : 0
; COMPUTE_PGM_RSRC2:SCRATCH_EN: 0
; COMPUTE_PGM_RSRC2:USER_SGPR: 6
; COMPUTE_PGM_RSRC2:TRAP_HANDLER: 0
; COMPUTE_PGM_RSRC2:TGID_X_EN: 1
; COMPUTE_PGM_RSRC2:TGID_Y_EN: 0
; COMPUTE_PGM_RSRC2:TGID_Z_EN: 0
; COMPUTE_PGM_RSRC2:TIDIG_COMP_CNT: 0
; COMPUTE_PGM_RSRC3_GFX90A:ACCUM_OFFSET: 0
; COMPUTE_PGM_RSRC3_GFX90A:TG_SPLIT: 0
	.section	.text._ZN7rocprim17ROCPRIM_400000_NS6detail17trampoline_kernelINS0_14default_configENS1_20scan_config_selectorIsEEZZNS1_9scan_implILNS1_25lookback_scan_determinismE0ELb0ELb0ES3_N6thrust23THRUST_200600_302600_NS6detail15normal_iteratorINS9_10device_ptrIsEEEENS9_16discard_iteratorINS9_11use_defaultEEEs11max_functorIsEsEEDaPvRmT3_T4_T5_mT6_P12ihipStream_tbENKUlT_T0_E_clISt17integral_constantIbLb1EESX_EEDaSS_ST_EUlSS_E0_NS1_11comp_targetILNS1_3genE10ELNS1_11target_archE1200ELNS1_3gpuE4ELNS1_3repE0EEENS1_30default_config_static_selectorELNS0_4arch9wavefront6targetE1EEEvT1_,"axG",@progbits,_ZN7rocprim17ROCPRIM_400000_NS6detail17trampoline_kernelINS0_14default_configENS1_20scan_config_selectorIsEEZZNS1_9scan_implILNS1_25lookback_scan_determinismE0ELb0ELb0ES3_N6thrust23THRUST_200600_302600_NS6detail15normal_iteratorINS9_10device_ptrIsEEEENS9_16discard_iteratorINS9_11use_defaultEEEs11max_functorIsEsEEDaPvRmT3_T4_T5_mT6_P12ihipStream_tbENKUlT_T0_E_clISt17integral_constantIbLb1EESX_EEDaSS_ST_EUlSS_E0_NS1_11comp_targetILNS1_3genE10ELNS1_11target_archE1200ELNS1_3gpuE4ELNS1_3repE0EEENS1_30default_config_static_selectorELNS0_4arch9wavefront6targetE1EEEvT1_,comdat
	.protected	_ZN7rocprim17ROCPRIM_400000_NS6detail17trampoline_kernelINS0_14default_configENS1_20scan_config_selectorIsEEZZNS1_9scan_implILNS1_25lookback_scan_determinismE0ELb0ELb0ES3_N6thrust23THRUST_200600_302600_NS6detail15normal_iteratorINS9_10device_ptrIsEEEENS9_16discard_iteratorINS9_11use_defaultEEEs11max_functorIsEsEEDaPvRmT3_T4_T5_mT6_P12ihipStream_tbENKUlT_T0_E_clISt17integral_constantIbLb1EESX_EEDaSS_ST_EUlSS_E0_NS1_11comp_targetILNS1_3genE10ELNS1_11target_archE1200ELNS1_3gpuE4ELNS1_3repE0EEENS1_30default_config_static_selectorELNS0_4arch9wavefront6targetE1EEEvT1_ ; -- Begin function _ZN7rocprim17ROCPRIM_400000_NS6detail17trampoline_kernelINS0_14default_configENS1_20scan_config_selectorIsEEZZNS1_9scan_implILNS1_25lookback_scan_determinismE0ELb0ELb0ES3_N6thrust23THRUST_200600_302600_NS6detail15normal_iteratorINS9_10device_ptrIsEEEENS9_16discard_iteratorINS9_11use_defaultEEEs11max_functorIsEsEEDaPvRmT3_T4_T5_mT6_P12ihipStream_tbENKUlT_T0_E_clISt17integral_constantIbLb1EESX_EEDaSS_ST_EUlSS_E0_NS1_11comp_targetILNS1_3genE10ELNS1_11target_archE1200ELNS1_3gpuE4ELNS1_3repE0EEENS1_30default_config_static_selectorELNS0_4arch9wavefront6targetE1EEEvT1_
	.globl	_ZN7rocprim17ROCPRIM_400000_NS6detail17trampoline_kernelINS0_14default_configENS1_20scan_config_selectorIsEEZZNS1_9scan_implILNS1_25lookback_scan_determinismE0ELb0ELb0ES3_N6thrust23THRUST_200600_302600_NS6detail15normal_iteratorINS9_10device_ptrIsEEEENS9_16discard_iteratorINS9_11use_defaultEEEs11max_functorIsEsEEDaPvRmT3_T4_T5_mT6_P12ihipStream_tbENKUlT_T0_E_clISt17integral_constantIbLb1EESX_EEDaSS_ST_EUlSS_E0_NS1_11comp_targetILNS1_3genE10ELNS1_11target_archE1200ELNS1_3gpuE4ELNS1_3repE0EEENS1_30default_config_static_selectorELNS0_4arch9wavefront6targetE1EEEvT1_
	.p2align	8
	.type	_ZN7rocprim17ROCPRIM_400000_NS6detail17trampoline_kernelINS0_14default_configENS1_20scan_config_selectorIsEEZZNS1_9scan_implILNS1_25lookback_scan_determinismE0ELb0ELb0ES3_N6thrust23THRUST_200600_302600_NS6detail15normal_iteratorINS9_10device_ptrIsEEEENS9_16discard_iteratorINS9_11use_defaultEEEs11max_functorIsEsEEDaPvRmT3_T4_T5_mT6_P12ihipStream_tbENKUlT_T0_E_clISt17integral_constantIbLb1EESX_EEDaSS_ST_EUlSS_E0_NS1_11comp_targetILNS1_3genE10ELNS1_11target_archE1200ELNS1_3gpuE4ELNS1_3repE0EEENS1_30default_config_static_selectorELNS0_4arch9wavefront6targetE1EEEvT1_,@function
_ZN7rocprim17ROCPRIM_400000_NS6detail17trampoline_kernelINS0_14default_configENS1_20scan_config_selectorIsEEZZNS1_9scan_implILNS1_25lookback_scan_determinismE0ELb0ELb0ES3_N6thrust23THRUST_200600_302600_NS6detail15normal_iteratorINS9_10device_ptrIsEEEENS9_16discard_iteratorINS9_11use_defaultEEEs11max_functorIsEsEEDaPvRmT3_T4_T5_mT6_P12ihipStream_tbENKUlT_T0_E_clISt17integral_constantIbLb1EESX_EEDaSS_ST_EUlSS_E0_NS1_11comp_targetILNS1_3genE10ELNS1_11target_archE1200ELNS1_3gpuE4ELNS1_3repE0EEENS1_30default_config_static_selectorELNS0_4arch9wavefront6targetE1EEEvT1_: ; @_ZN7rocprim17ROCPRIM_400000_NS6detail17trampoline_kernelINS0_14default_configENS1_20scan_config_selectorIsEEZZNS1_9scan_implILNS1_25lookback_scan_determinismE0ELb0ELb0ES3_N6thrust23THRUST_200600_302600_NS6detail15normal_iteratorINS9_10device_ptrIsEEEENS9_16discard_iteratorINS9_11use_defaultEEEs11max_functorIsEsEEDaPvRmT3_T4_T5_mT6_P12ihipStream_tbENKUlT_T0_E_clISt17integral_constantIbLb1EESX_EEDaSS_ST_EUlSS_E0_NS1_11comp_targetILNS1_3genE10ELNS1_11target_archE1200ELNS1_3gpuE4ELNS1_3repE0EEENS1_30default_config_static_selectorELNS0_4arch9wavefront6targetE1EEEvT1_
; %bb.0:
	.section	.rodata,"a",@progbits
	.p2align	6, 0x0
	.amdhsa_kernel _ZN7rocprim17ROCPRIM_400000_NS6detail17trampoline_kernelINS0_14default_configENS1_20scan_config_selectorIsEEZZNS1_9scan_implILNS1_25lookback_scan_determinismE0ELb0ELb0ES3_N6thrust23THRUST_200600_302600_NS6detail15normal_iteratorINS9_10device_ptrIsEEEENS9_16discard_iteratorINS9_11use_defaultEEEs11max_functorIsEsEEDaPvRmT3_T4_T5_mT6_P12ihipStream_tbENKUlT_T0_E_clISt17integral_constantIbLb1EESX_EEDaSS_ST_EUlSS_E0_NS1_11comp_targetILNS1_3genE10ELNS1_11target_archE1200ELNS1_3gpuE4ELNS1_3repE0EEENS1_30default_config_static_selectorELNS0_4arch9wavefront6targetE1EEEvT1_
		.amdhsa_group_segment_fixed_size 0
		.amdhsa_private_segment_fixed_size 0
		.amdhsa_kernarg_size 40
		.amdhsa_user_sgpr_count 6
		.amdhsa_user_sgpr_private_segment_buffer 1
		.amdhsa_user_sgpr_dispatch_ptr 0
		.amdhsa_user_sgpr_queue_ptr 0
		.amdhsa_user_sgpr_kernarg_segment_ptr 1
		.amdhsa_user_sgpr_dispatch_id 0
		.amdhsa_user_sgpr_flat_scratch_init 0
		.amdhsa_user_sgpr_kernarg_preload_length 0
		.amdhsa_user_sgpr_kernarg_preload_offset 0
		.amdhsa_user_sgpr_private_segment_size 0
		.amdhsa_uses_dynamic_stack 0
		.amdhsa_system_sgpr_private_segment_wavefront_offset 0
		.amdhsa_system_sgpr_workgroup_id_x 1
		.amdhsa_system_sgpr_workgroup_id_y 0
		.amdhsa_system_sgpr_workgroup_id_z 0
		.amdhsa_system_sgpr_workgroup_info 0
		.amdhsa_system_vgpr_workitem_id 0
		.amdhsa_next_free_vgpr 1
		.amdhsa_next_free_sgpr 0
		.amdhsa_accum_offset 4
		.amdhsa_reserve_vcc 0
		.amdhsa_reserve_flat_scratch 0
		.amdhsa_float_round_mode_32 0
		.amdhsa_float_round_mode_16_64 0
		.amdhsa_float_denorm_mode_32 3
		.amdhsa_float_denorm_mode_16_64 3
		.amdhsa_dx10_clamp 1
		.amdhsa_ieee_mode 1
		.amdhsa_fp16_overflow 0
		.amdhsa_tg_split 0
		.amdhsa_exception_fp_ieee_invalid_op 0
		.amdhsa_exception_fp_denorm_src 0
		.amdhsa_exception_fp_ieee_div_zero 0
		.amdhsa_exception_fp_ieee_overflow 0
		.amdhsa_exception_fp_ieee_underflow 0
		.amdhsa_exception_fp_ieee_inexact 0
		.amdhsa_exception_int_div_zero 0
	.end_amdhsa_kernel
	.section	.text._ZN7rocprim17ROCPRIM_400000_NS6detail17trampoline_kernelINS0_14default_configENS1_20scan_config_selectorIsEEZZNS1_9scan_implILNS1_25lookback_scan_determinismE0ELb0ELb0ES3_N6thrust23THRUST_200600_302600_NS6detail15normal_iteratorINS9_10device_ptrIsEEEENS9_16discard_iteratorINS9_11use_defaultEEEs11max_functorIsEsEEDaPvRmT3_T4_T5_mT6_P12ihipStream_tbENKUlT_T0_E_clISt17integral_constantIbLb1EESX_EEDaSS_ST_EUlSS_E0_NS1_11comp_targetILNS1_3genE10ELNS1_11target_archE1200ELNS1_3gpuE4ELNS1_3repE0EEENS1_30default_config_static_selectorELNS0_4arch9wavefront6targetE1EEEvT1_,"axG",@progbits,_ZN7rocprim17ROCPRIM_400000_NS6detail17trampoline_kernelINS0_14default_configENS1_20scan_config_selectorIsEEZZNS1_9scan_implILNS1_25lookback_scan_determinismE0ELb0ELb0ES3_N6thrust23THRUST_200600_302600_NS6detail15normal_iteratorINS9_10device_ptrIsEEEENS9_16discard_iteratorINS9_11use_defaultEEEs11max_functorIsEsEEDaPvRmT3_T4_T5_mT6_P12ihipStream_tbENKUlT_T0_E_clISt17integral_constantIbLb1EESX_EEDaSS_ST_EUlSS_E0_NS1_11comp_targetILNS1_3genE10ELNS1_11target_archE1200ELNS1_3gpuE4ELNS1_3repE0EEENS1_30default_config_static_selectorELNS0_4arch9wavefront6targetE1EEEvT1_,comdat
.Lfunc_end4031:
	.size	_ZN7rocprim17ROCPRIM_400000_NS6detail17trampoline_kernelINS0_14default_configENS1_20scan_config_selectorIsEEZZNS1_9scan_implILNS1_25lookback_scan_determinismE0ELb0ELb0ES3_N6thrust23THRUST_200600_302600_NS6detail15normal_iteratorINS9_10device_ptrIsEEEENS9_16discard_iteratorINS9_11use_defaultEEEs11max_functorIsEsEEDaPvRmT3_T4_T5_mT6_P12ihipStream_tbENKUlT_T0_E_clISt17integral_constantIbLb1EESX_EEDaSS_ST_EUlSS_E0_NS1_11comp_targetILNS1_3genE10ELNS1_11target_archE1200ELNS1_3gpuE4ELNS1_3repE0EEENS1_30default_config_static_selectorELNS0_4arch9wavefront6targetE1EEEvT1_, .Lfunc_end4031-_ZN7rocprim17ROCPRIM_400000_NS6detail17trampoline_kernelINS0_14default_configENS1_20scan_config_selectorIsEEZZNS1_9scan_implILNS1_25lookback_scan_determinismE0ELb0ELb0ES3_N6thrust23THRUST_200600_302600_NS6detail15normal_iteratorINS9_10device_ptrIsEEEENS9_16discard_iteratorINS9_11use_defaultEEEs11max_functorIsEsEEDaPvRmT3_T4_T5_mT6_P12ihipStream_tbENKUlT_T0_E_clISt17integral_constantIbLb1EESX_EEDaSS_ST_EUlSS_E0_NS1_11comp_targetILNS1_3genE10ELNS1_11target_archE1200ELNS1_3gpuE4ELNS1_3repE0EEENS1_30default_config_static_selectorELNS0_4arch9wavefront6targetE1EEEvT1_
                                        ; -- End function
	.section	.AMDGPU.csdata,"",@progbits
; Kernel info:
; codeLenInByte = 0
; NumSgprs: 4
; NumVgprs: 0
; NumAgprs: 0
; TotalNumVgprs: 0
; ScratchSize: 0
; MemoryBound: 0
; FloatMode: 240
; IeeeMode: 1
; LDSByteSize: 0 bytes/workgroup (compile time only)
; SGPRBlocks: 0
; VGPRBlocks: 0
; NumSGPRsForWavesPerEU: 4
; NumVGPRsForWavesPerEU: 1
; AccumOffset: 4
; Occupancy: 8
; WaveLimiterHint : 0
; COMPUTE_PGM_RSRC2:SCRATCH_EN: 0
; COMPUTE_PGM_RSRC2:USER_SGPR: 6
; COMPUTE_PGM_RSRC2:TRAP_HANDLER: 0
; COMPUTE_PGM_RSRC2:TGID_X_EN: 1
; COMPUTE_PGM_RSRC2:TGID_Y_EN: 0
; COMPUTE_PGM_RSRC2:TGID_Z_EN: 0
; COMPUTE_PGM_RSRC2:TIDIG_COMP_CNT: 0
; COMPUTE_PGM_RSRC3_GFX90A:ACCUM_OFFSET: 0
; COMPUTE_PGM_RSRC3_GFX90A:TG_SPLIT: 0
	.section	.text._ZN7rocprim17ROCPRIM_400000_NS6detail17trampoline_kernelINS0_14default_configENS1_20scan_config_selectorIsEEZZNS1_9scan_implILNS1_25lookback_scan_determinismE0ELb0ELb0ES3_N6thrust23THRUST_200600_302600_NS6detail15normal_iteratorINS9_10device_ptrIsEEEENS9_16discard_iteratorINS9_11use_defaultEEEs11max_functorIsEsEEDaPvRmT3_T4_T5_mT6_P12ihipStream_tbENKUlT_T0_E_clISt17integral_constantIbLb1EESX_EEDaSS_ST_EUlSS_E0_NS1_11comp_targetILNS1_3genE9ELNS1_11target_archE1100ELNS1_3gpuE3ELNS1_3repE0EEENS1_30default_config_static_selectorELNS0_4arch9wavefront6targetE1EEEvT1_,"axG",@progbits,_ZN7rocprim17ROCPRIM_400000_NS6detail17trampoline_kernelINS0_14default_configENS1_20scan_config_selectorIsEEZZNS1_9scan_implILNS1_25lookback_scan_determinismE0ELb0ELb0ES3_N6thrust23THRUST_200600_302600_NS6detail15normal_iteratorINS9_10device_ptrIsEEEENS9_16discard_iteratorINS9_11use_defaultEEEs11max_functorIsEsEEDaPvRmT3_T4_T5_mT6_P12ihipStream_tbENKUlT_T0_E_clISt17integral_constantIbLb1EESX_EEDaSS_ST_EUlSS_E0_NS1_11comp_targetILNS1_3genE9ELNS1_11target_archE1100ELNS1_3gpuE3ELNS1_3repE0EEENS1_30default_config_static_selectorELNS0_4arch9wavefront6targetE1EEEvT1_,comdat
	.protected	_ZN7rocprim17ROCPRIM_400000_NS6detail17trampoline_kernelINS0_14default_configENS1_20scan_config_selectorIsEEZZNS1_9scan_implILNS1_25lookback_scan_determinismE0ELb0ELb0ES3_N6thrust23THRUST_200600_302600_NS6detail15normal_iteratorINS9_10device_ptrIsEEEENS9_16discard_iteratorINS9_11use_defaultEEEs11max_functorIsEsEEDaPvRmT3_T4_T5_mT6_P12ihipStream_tbENKUlT_T0_E_clISt17integral_constantIbLb1EESX_EEDaSS_ST_EUlSS_E0_NS1_11comp_targetILNS1_3genE9ELNS1_11target_archE1100ELNS1_3gpuE3ELNS1_3repE0EEENS1_30default_config_static_selectorELNS0_4arch9wavefront6targetE1EEEvT1_ ; -- Begin function _ZN7rocprim17ROCPRIM_400000_NS6detail17trampoline_kernelINS0_14default_configENS1_20scan_config_selectorIsEEZZNS1_9scan_implILNS1_25lookback_scan_determinismE0ELb0ELb0ES3_N6thrust23THRUST_200600_302600_NS6detail15normal_iteratorINS9_10device_ptrIsEEEENS9_16discard_iteratorINS9_11use_defaultEEEs11max_functorIsEsEEDaPvRmT3_T4_T5_mT6_P12ihipStream_tbENKUlT_T0_E_clISt17integral_constantIbLb1EESX_EEDaSS_ST_EUlSS_E0_NS1_11comp_targetILNS1_3genE9ELNS1_11target_archE1100ELNS1_3gpuE3ELNS1_3repE0EEENS1_30default_config_static_selectorELNS0_4arch9wavefront6targetE1EEEvT1_
	.globl	_ZN7rocprim17ROCPRIM_400000_NS6detail17trampoline_kernelINS0_14default_configENS1_20scan_config_selectorIsEEZZNS1_9scan_implILNS1_25lookback_scan_determinismE0ELb0ELb0ES3_N6thrust23THRUST_200600_302600_NS6detail15normal_iteratorINS9_10device_ptrIsEEEENS9_16discard_iteratorINS9_11use_defaultEEEs11max_functorIsEsEEDaPvRmT3_T4_T5_mT6_P12ihipStream_tbENKUlT_T0_E_clISt17integral_constantIbLb1EESX_EEDaSS_ST_EUlSS_E0_NS1_11comp_targetILNS1_3genE9ELNS1_11target_archE1100ELNS1_3gpuE3ELNS1_3repE0EEENS1_30default_config_static_selectorELNS0_4arch9wavefront6targetE1EEEvT1_
	.p2align	8
	.type	_ZN7rocprim17ROCPRIM_400000_NS6detail17trampoline_kernelINS0_14default_configENS1_20scan_config_selectorIsEEZZNS1_9scan_implILNS1_25lookback_scan_determinismE0ELb0ELb0ES3_N6thrust23THRUST_200600_302600_NS6detail15normal_iteratorINS9_10device_ptrIsEEEENS9_16discard_iteratorINS9_11use_defaultEEEs11max_functorIsEsEEDaPvRmT3_T4_T5_mT6_P12ihipStream_tbENKUlT_T0_E_clISt17integral_constantIbLb1EESX_EEDaSS_ST_EUlSS_E0_NS1_11comp_targetILNS1_3genE9ELNS1_11target_archE1100ELNS1_3gpuE3ELNS1_3repE0EEENS1_30default_config_static_selectorELNS0_4arch9wavefront6targetE1EEEvT1_,@function
_ZN7rocprim17ROCPRIM_400000_NS6detail17trampoline_kernelINS0_14default_configENS1_20scan_config_selectorIsEEZZNS1_9scan_implILNS1_25lookback_scan_determinismE0ELb0ELb0ES3_N6thrust23THRUST_200600_302600_NS6detail15normal_iteratorINS9_10device_ptrIsEEEENS9_16discard_iteratorINS9_11use_defaultEEEs11max_functorIsEsEEDaPvRmT3_T4_T5_mT6_P12ihipStream_tbENKUlT_T0_E_clISt17integral_constantIbLb1EESX_EEDaSS_ST_EUlSS_E0_NS1_11comp_targetILNS1_3genE9ELNS1_11target_archE1100ELNS1_3gpuE3ELNS1_3repE0EEENS1_30default_config_static_selectorELNS0_4arch9wavefront6targetE1EEEvT1_: ; @_ZN7rocprim17ROCPRIM_400000_NS6detail17trampoline_kernelINS0_14default_configENS1_20scan_config_selectorIsEEZZNS1_9scan_implILNS1_25lookback_scan_determinismE0ELb0ELb0ES3_N6thrust23THRUST_200600_302600_NS6detail15normal_iteratorINS9_10device_ptrIsEEEENS9_16discard_iteratorINS9_11use_defaultEEEs11max_functorIsEsEEDaPvRmT3_T4_T5_mT6_P12ihipStream_tbENKUlT_T0_E_clISt17integral_constantIbLb1EESX_EEDaSS_ST_EUlSS_E0_NS1_11comp_targetILNS1_3genE9ELNS1_11target_archE1100ELNS1_3gpuE3ELNS1_3repE0EEENS1_30default_config_static_selectorELNS0_4arch9wavefront6targetE1EEEvT1_
; %bb.0:
	.section	.rodata,"a",@progbits
	.p2align	6, 0x0
	.amdhsa_kernel _ZN7rocprim17ROCPRIM_400000_NS6detail17trampoline_kernelINS0_14default_configENS1_20scan_config_selectorIsEEZZNS1_9scan_implILNS1_25lookback_scan_determinismE0ELb0ELb0ES3_N6thrust23THRUST_200600_302600_NS6detail15normal_iteratorINS9_10device_ptrIsEEEENS9_16discard_iteratorINS9_11use_defaultEEEs11max_functorIsEsEEDaPvRmT3_T4_T5_mT6_P12ihipStream_tbENKUlT_T0_E_clISt17integral_constantIbLb1EESX_EEDaSS_ST_EUlSS_E0_NS1_11comp_targetILNS1_3genE9ELNS1_11target_archE1100ELNS1_3gpuE3ELNS1_3repE0EEENS1_30default_config_static_selectorELNS0_4arch9wavefront6targetE1EEEvT1_
		.amdhsa_group_segment_fixed_size 0
		.amdhsa_private_segment_fixed_size 0
		.amdhsa_kernarg_size 40
		.amdhsa_user_sgpr_count 6
		.amdhsa_user_sgpr_private_segment_buffer 1
		.amdhsa_user_sgpr_dispatch_ptr 0
		.amdhsa_user_sgpr_queue_ptr 0
		.amdhsa_user_sgpr_kernarg_segment_ptr 1
		.amdhsa_user_sgpr_dispatch_id 0
		.amdhsa_user_sgpr_flat_scratch_init 0
		.amdhsa_user_sgpr_kernarg_preload_length 0
		.amdhsa_user_sgpr_kernarg_preload_offset 0
		.amdhsa_user_sgpr_private_segment_size 0
		.amdhsa_uses_dynamic_stack 0
		.amdhsa_system_sgpr_private_segment_wavefront_offset 0
		.amdhsa_system_sgpr_workgroup_id_x 1
		.amdhsa_system_sgpr_workgroup_id_y 0
		.amdhsa_system_sgpr_workgroup_id_z 0
		.amdhsa_system_sgpr_workgroup_info 0
		.amdhsa_system_vgpr_workitem_id 0
		.amdhsa_next_free_vgpr 1
		.amdhsa_next_free_sgpr 0
		.amdhsa_accum_offset 4
		.amdhsa_reserve_vcc 0
		.amdhsa_reserve_flat_scratch 0
		.amdhsa_float_round_mode_32 0
		.amdhsa_float_round_mode_16_64 0
		.amdhsa_float_denorm_mode_32 3
		.amdhsa_float_denorm_mode_16_64 3
		.amdhsa_dx10_clamp 1
		.amdhsa_ieee_mode 1
		.amdhsa_fp16_overflow 0
		.amdhsa_tg_split 0
		.amdhsa_exception_fp_ieee_invalid_op 0
		.amdhsa_exception_fp_denorm_src 0
		.amdhsa_exception_fp_ieee_div_zero 0
		.amdhsa_exception_fp_ieee_overflow 0
		.amdhsa_exception_fp_ieee_underflow 0
		.amdhsa_exception_fp_ieee_inexact 0
		.amdhsa_exception_int_div_zero 0
	.end_amdhsa_kernel
	.section	.text._ZN7rocprim17ROCPRIM_400000_NS6detail17trampoline_kernelINS0_14default_configENS1_20scan_config_selectorIsEEZZNS1_9scan_implILNS1_25lookback_scan_determinismE0ELb0ELb0ES3_N6thrust23THRUST_200600_302600_NS6detail15normal_iteratorINS9_10device_ptrIsEEEENS9_16discard_iteratorINS9_11use_defaultEEEs11max_functorIsEsEEDaPvRmT3_T4_T5_mT6_P12ihipStream_tbENKUlT_T0_E_clISt17integral_constantIbLb1EESX_EEDaSS_ST_EUlSS_E0_NS1_11comp_targetILNS1_3genE9ELNS1_11target_archE1100ELNS1_3gpuE3ELNS1_3repE0EEENS1_30default_config_static_selectorELNS0_4arch9wavefront6targetE1EEEvT1_,"axG",@progbits,_ZN7rocprim17ROCPRIM_400000_NS6detail17trampoline_kernelINS0_14default_configENS1_20scan_config_selectorIsEEZZNS1_9scan_implILNS1_25lookback_scan_determinismE0ELb0ELb0ES3_N6thrust23THRUST_200600_302600_NS6detail15normal_iteratorINS9_10device_ptrIsEEEENS9_16discard_iteratorINS9_11use_defaultEEEs11max_functorIsEsEEDaPvRmT3_T4_T5_mT6_P12ihipStream_tbENKUlT_T0_E_clISt17integral_constantIbLb1EESX_EEDaSS_ST_EUlSS_E0_NS1_11comp_targetILNS1_3genE9ELNS1_11target_archE1100ELNS1_3gpuE3ELNS1_3repE0EEENS1_30default_config_static_selectorELNS0_4arch9wavefront6targetE1EEEvT1_,comdat
.Lfunc_end4032:
	.size	_ZN7rocprim17ROCPRIM_400000_NS6detail17trampoline_kernelINS0_14default_configENS1_20scan_config_selectorIsEEZZNS1_9scan_implILNS1_25lookback_scan_determinismE0ELb0ELb0ES3_N6thrust23THRUST_200600_302600_NS6detail15normal_iteratorINS9_10device_ptrIsEEEENS9_16discard_iteratorINS9_11use_defaultEEEs11max_functorIsEsEEDaPvRmT3_T4_T5_mT6_P12ihipStream_tbENKUlT_T0_E_clISt17integral_constantIbLb1EESX_EEDaSS_ST_EUlSS_E0_NS1_11comp_targetILNS1_3genE9ELNS1_11target_archE1100ELNS1_3gpuE3ELNS1_3repE0EEENS1_30default_config_static_selectorELNS0_4arch9wavefront6targetE1EEEvT1_, .Lfunc_end4032-_ZN7rocprim17ROCPRIM_400000_NS6detail17trampoline_kernelINS0_14default_configENS1_20scan_config_selectorIsEEZZNS1_9scan_implILNS1_25lookback_scan_determinismE0ELb0ELb0ES3_N6thrust23THRUST_200600_302600_NS6detail15normal_iteratorINS9_10device_ptrIsEEEENS9_16discard_iteratorINS9_11use_defaultEEEs11max_functorIsEsEEDaPvRmT3_T4_T5_mT6_P12ihipStream_tbENKUlT_T0_E_clISt17integral_constantIbLb1EESX_EEDaSS_ST_EUlSS_E0_NS1_11comp_targetILNS1_3genE9ELNS1_11target_archE1100ELNS1_3gpuE3ELNS1_3repE0EEENS1_30default_config_static_selectorELNS0_4arch9wavefront6targetE1EEEvT1_
                                        ; -- End function
	.section	.AMDGPU.csdata,"",@progbits
; Kernel info:
; codeLenInByte = 0
; NumSgprs: 4
; NumVgprs: 0
; NumAgprs: 0
; TotalNumVgprs: 0
; ScratchSize: 0
; MemoryBound: 0
; FloatMode: 240
; IeeeMode: 1
; LDSByteSize: 0 bytes/workgroup (compile time only)
; SGPRBlocks: 0
; VGPRBlocks: 0
; NumSGPRsForWavesPerEU: 4
; NumVGPRsForWavesPerEU: 1
; AccumOffset: 4
; Occupancy: 8
; WaveLimiterHint : 0
; COMPUTE_PGM_RSRC2:SCRATCH_EN: 0
; COMPUTE_PGM_RSRC2:USER_SGPR: 6
; COMPUTE_PGM_RSRC2:TRAP_HANDLER: 0
; COMPUTE_PGM_RSRC2:TGID_X_EN: 1
; COMPUTE_PGM_RSRC2:TGID_Y_EN: 0
; COMPUTE_PGM_RSRC2:TGID_Z_EN: 0
; COMPUTE_PGM_RSRC2:TIDIG_COMP_CNT: 0
; COMPUTE_PGM_RSRC3_GFX90A:ACCUM_OFFSET: 0
; COMPUTE_PGM_RSRC3_GFX90A:TG_SPLIT: 0
	.section	.text._ZN7rocprim17ROCPRIM_400000_NS6detail17trampoline_kernelINS0_14default_configENS1_20scan_config_selectorIsEEZZNS1_9scan_implILNS1_25lookback_scan_determinismE0ELb0ELb0ES3_N6thrust23THRUST_200600_302600_NS6detail15normal_iteratorINS9_10device_ptrIsEEEENS9_16discard_iteratorINS9_11use_defaultEEEs11max_functorIsEsEEDaPvRmT3_T4_T5_mT6_P12ihipStream_tbENKUlT_T0_E_clISt17integral_constantIbLb1EESX_EEDaSS_ST_EUlSS_E0_NS1_11comp_targetILNS1_3genE8ELNS1_11target_archE1030ELNS1_3gpuE2ELNS1_3repE0EEENS1_30default_config_static_selectorELNS0_4arch9wavefront6targetE1EEEvT1_,"axG",@progbits,_ZN7rocprim17ROCPRIM_400000_NS6detail17trampoline_kernelINS0_14default_configENS1_20scan_config_selectorIsEEZZNS1_9scan_implILNS1_25lookback_scan_determinismE0ELb0ELb0ES3_N6thrust23THRUST_200600_302600_NS6detail15normal_iteratorINS9_10device_ptrIsEEEENS9_16discard_iteratorINS9_11use_defaultEEEs11max_functorIsEsEEDaPvRmT3_T4_T5_mT6_P12ihipStream_tbENKUlT_T0_E_clISt17integral_constantIbLb1EESX_EEDaSS_ST_EUlSS_E0_NS1_11comp_targetILNS1_3genE8ELNS1_11target_archE1030ELNS1_3gpuE2ELNS1_3repE0EEENS1_30default_config_static_selectorELNS0_4arch9wavefront6targetE1EEEvT1_,comdat
	.protected	_ZN7rocprim17ROCPRIM_400000_NS6detail17trampoline_kernelINS0_14default_configENS1_20scan_config_selectorIsEEZZNS1_9scan_implILNS1_25lookback_scan_determinismE0ELb0ELb0ES3_N6thrust23THRUST_200600_302600_NS6detail15normal_iteratorINS9_10device_ptrIsEEEENS9_16discard_iteratorINS9_11use_defaultEEEs11max_functorIsEsEEDaPvRmT3_T4_T5_mT6_P12ihipStream_tbENKUlT_T0_E_clISt17integral_constantIbLb1EESX_EEDaSS_ST_EUlSS_E0_NS1_11comp_targetILNS1_3genE8ELNS1_11target_archE1030ELNS1_3gpuE2ELNS1_3repE0EEENS1_30default_config_static_selectorELNS0_4arch9wavefront6targetE1EEEvT1_ ; -- Begin function _ZN7rocprim17ROCPRIM_400000_NS6detail17trampoline_kernelINS0_14default_configENS1_20scan_config_selectorIsEEZZNS1_9scan_implILNS1_25lookback_scan_determinismE0ELb0ELb0ES3_N6thrust23THRUST_200600_302600_NS6detail15normal_iteratorINS9_10device_ptrIsEEEENS9_16discard_iteratorINS9_11use_defaultEEEs11max_functorIsEsEEDaPvRmT3_T4_T5_mT6_P12ihipStream_tbENKUlT_T0_E_clISt17integral_constantIbLb1EESX_EEDaSS_ST_EUlSS_E0_NS1_11comp_targetILNS1_3genE8ELNS1_11target_archE1030ELNS1_3gpuE2ELNS1_3repE0EEENS1_30default_config_static_selectorELNS0_4arch9wavefront6targetE1EEEvT1_
	.globl	_ZN7rocprim17ROCPRIM_400000_NS6detail17trampoline_kernelINS0_14default_configENS1_20scan_config_selectorIsEEZZNS1_9scan_implILNS1_25lookback_scan_determinismE0ELb0ELb0ES3_N6thrust23THRUST_200600_302600_NS6detail15normal_iteratorINS9_10device_ptrIsEEEENS9_16discard_iteratorINS9_11use_defaultEEEs11max_functorIsEsEEDaPvRmT3_T4_T5_mT6_P12ihipStream_tbENKUlT_T0_E_clISt17integral_constantIbLb1EESX_EEDaSS_ST_EUlSS_E0_NS1_11comp_targetILNS1_3genE8ELNS1_11target_archE1030ELNS1_3gpuE2ELNS1_3repE0EEENS1_30default_config_static_selectorELNS0_4arch9wavefront6targetE1EEEvT1_
	.p2align	8
	.type	_ZN7rocprim17ROCPRIM_400000_NS6detail17trampoline_kernelINS0_14default_configENS1_20scan_config_selectorIsEEZZNS1_9scan_implILNS1_25lookback_scan_determinismE0ELb0ELb0ES3_N6thrust23THRUST_200600_302600_NS6detail15normal_iteratorINS9_10device_ptrIsEEEENS9_16discard_iteratorINS9_11use_defaultEEEs11max_functorIsEsEEDaPvRmT3_T4_T5_mT6_P12ihipStream_tbENKUlT_T0_E_clISt17integral_constantIbLb1EESX_EEDaSS_ST_EUlSS_E0_NS1_11comp_targetILNS1_3genE8ELNS1_11target_archE1030ELNS1_3gpuE2ELNS1_3repE0EEENS1_30default_config_static_selectorELNS0_4arch9wavefront6targetE1EEEvT1_,@function
_ZN7rocprim17ROCPRIM_400000_NS6detail17trampoline_kernelINS0_14default_configENS1_20scan_config_selectorIsEEZZNS1_9scan_implILNS1_25lookback_scan_determinismE0ELb0ELb0ES3_N6thrust23THRUST_200600_302600_NS6detail15normal_iteratorINS9_10device_ptrIsEEEENS9_16discard_iteratorINS9_11use_defaultEEEs11max_functorIsEsEEDaPvRmT3_T4_T5_mT6_P12ihipStream_tbENKUlT_T0_E_clISt17integral_constantIbLb1EESX_EEDaSS_ST_EUlSS_E0_NS1_11comp_targetILNS1_3genE8ELNS1_11target_archE1030ELNS1_3gpuE2ELNS1_3repE0EEENS1_30default_config_static_selectorELNS0_4arch9wavefront6targetE1EEEvT1_: ; @_ZN7rocprim17ROCPRIM_400000_NS6detail17trampoline_kernelINS0_14default_configENS1_20scan_config_selectorIsEEZZNS1_9scan_implILNS1_25lookback_scan_determinismE0ELb0ELb0ES3_N6thrust23THRUST_200600_302600_NS6detail15normal_iteratorINS9_10device_ptrIsEEEENS9_16discard_iteratorINS9_11use_defaultEEEs11max_functorIsEsEEDaPvRmT3_T4_T5_mT6_P12ihipStream_tbENKUlT_T0_E_clISt17integral_constantIbLb1EESX_EEDaSS_ST_EUlSS_E0_NS1_11comp_targetILNS1_3genE8ELNS1_11target_archE1030ELNS1_3gpuE2ELNS1_3repE0EEENS1_30default_config_static_selectorELNS0_4arch9wavefront6targetE1EEEvT1_
; %bb.0:
	.section	.rodata,"a",@progbits
	.p2align	6, 0x0
	.amdhsa_kernel _ZN7rocprim17ROCPRIM_400000_NS6detail17trampoline_kernelINS0_14default_configENS1_20scan_config_selectorIsEEZZNS1_9scan_implILNS1_25lookback_scan_determinismE0ELb0ELb0ES3_N6thrust23THRUST_200600_302600_NS6detail15normal_iteratorINS9_10device_ptrIsEEEENS9_16discard_iteratorINS9_11use_defaultEEEs11max_functorIsEsEEDaPvRmT3_T4_T5_mT6_P12ihipStream_tbENKUlT_T0_E_clISt17integral_constantIbLb1EESX_EEDaSS_ST_EUlSS_E0_NS1_11comp_targetILNS1_3genE8ELNS1_11target_archE1030ELNS1_3gpuE2ELNS1_3repE0EEENS1_30default_config_static_selectorELNS0_4arch9wavefront6targetE1EEEvT1_
		.amdhsa_group_segment_fixed_size 0
		.amdhsa_private_segment_fixed_size 0
		.amdhsa_kernarg_size 40
		.amdhsa_user_sgpr_count 6
		.amdhsa_user_sgpr_private_segment_buffer 1
		.amdhsa_user_sgpr_dispatch_ptr 0
		.amdhsa_user_sgpr_queue_ptr 0
		.amdhsa_user_sgpr_kernarg_segment_ptr 1
		.amdhsa_user_sgpr_dispatch_id 0
		.amdhsa_user_sgpr_flat_scratch_init 0
		.amdhsa_user_sgpr_kernarg_preload_length 0
		.amdhsa_user_sgpr_kernarg_preload_offset 0
		.amdhsa_user_sgpr_private_segment_size 0
		.amdhsa_uses_dynamic_stack 0
		.amdhsa_system_sgpr_private_segment_wavefront_offset 0
		.amdhsa_system_sgpr_workgroup_id_x 1
		.amdhsa_system_sgpr_workgroup_id_y 0
		.amdhsa_system_sgpr_workgroup_id_z 0
		.amdhsa_system_sgpr_workgroup_info 0
		.amdhsa_system_vgpr_workitem_id 0
		.amdhsa_next_free_vgpr 1
		.amdhsa_next_free_sgpr 0
		.amdhsa_accum_offset 4
		.amdhsa_reserve_vcc 0
		.amdhsa_reserve_flat_scratch 0
		.amdhsa_float_round_mode_32 0
		.amdhsa_float_round_mode_16_64 0
		.amdhsa_float_denorm_mode_32 3
		.amdhsa_float_denorm_mode_16_64 3
		.amdhsa_dx10_clamp 1
		.amdhsa_ieee_mode 1
		.amdhsa_fp16_overflow 0
		.amdhsa_tg_split 0
		.amdhsa_exception_fp_ieee_invalid_op 0
		.amdhsa_exception_fp_denorm_src 0
		.amdhsa_exception_fp_ieee_div_zero 0
		.amdhsa_exception_fp_ieee_overflow 0
		.amdhsa_exception_fp_ieee_underflow 0
		.amdhsa_exception_fp_ieee_inexact 0
		.amdhsa_exception_int_div_zero 0
	.end_amdhsa_kernel
	.section	.text._ZN7rocprim17ROCPRIM_400000_NS6detail17trampoline_kernelINS0_14default_configENS1_20scan_config_selectorIsEEZZNS1_9scan_implILNS1_25lookback_scan_determinismE0ELb0ELb0ES3_N6thrust23THRUST_200600_302600_NS6detail15normal_iteratorINS9_10device_ptrIsEEEENS9_16discard_iteratorINS9_11use_defaultEEEs11max_functorIsEsEEDaPvRmT3_T4_T5_mT6_P12ihipStream_tbENKUlT_T0_E_clISt17integral_constantIbLb1EESX_EEDaSS_ST_EUlSS_E0_NS1_11comp_targetILNS1_3genE8ELNS1_11target_archE1030ELNS1_3gpuE2ELNS1_3repE0EEENS1_30default_config_static_selectorELNS0_4arch9wavefront6targetE1EEEvT1_,"axG",@progbits,_ZN7rocprim17ROCPRIM_400000_NS6detail17trampoline_kernelINS0_14default_configENS1_20scan_config_selectorIsEEZZNS1_9scan_implILNS1_25lookback_scan_determinismE0ELb0ELb0ES3_N6thrust23THRUST_200600_302600_NS6detail15normal_iteratorINS9_10device_ptrIsEEEENS9_16discard_iteratorINS9_11use_defaultEEEs11max_functorIsEsEEDaPvRmT3_T4_T5_mT6_P12ihipStream_tbENKUlT_T0_E_clISt17integral_constantIbLb1EESX_EEDaSS_ST_EUlSS_E0_NS1_11comp_targetILNS1_3genE8ELNS1_11target_archE1030ELNS1_3gpuE2ELNS1_3repE0EEENS1_30default_config_static_selectorELNS0_4arch9wavefront6targetE1EEEvT1_,comdat
.Lfunc_end4033:
	.size	_ZN7rocprim17ROCPRIM_400000_NS6detail17trampoline_kernelINS0_14default_configENS1_20scan_config_selectorIsEEZZNS1_9scan_implILNS1_25lookback_scan_determinismE0ELb0ELb0ES3_N6thrust23THRUST_200600_302600_NS6detail15normal_iteratorINS9_10device_ptrIsEEEENS9_16discard_iteratorINS9_11use_defaultEEEs11max_functorIsEsEEDaPvRmT3_T4_T5_mT6_P12ihipStream_tbENKUlT_T0_E_clISt17integral_constantIbLb1EESX_EEDaSS_ST_EUlSS_E0_NS1_11comp_targetILNS1_3genE8ELNS1_11target_archE1030ELNS1_3gpuE2ELNS1_3repE0EEENS1_30default_config_static_selectorELNS0_4arch9wavefront6targetE1EEEvT1_, .Lfunc_end4033-_ZN7rocprim17ROCPRIM_400000_NS6detail17trampoline_kernelINS0_14default_configENS1_20scan_config_selectorIsEEZZNS1_9scan_implILNS1_25lookback_scan_determinismE0ELb0ELb0ES3_N6thrust23THRUST_200600_302600_NS6detail15normal_iteratorINS9_10device_ptrIsEEEENS9_16discard_iteratorINS9_11use_defaultEEEs11max_functorIsEsEEDaPvRmT3_T4_T5_mT6_P12ihipStream_tbENKUlT_T0_E_clISt17integral_constantIbLb1EESX_EEDaSS_ST_EUlSS_E0_NS1_11comp_targetILNS1_3genE8ELNS1_11target_archE1030ELNS1_3gpuE2ELNS1_3repE0EEENS1_30default_config_static_selectorELNS0_4arch9wavefront6targetE1EEEvT1_
                                        ; -- End function
	.section	.AMDGPU.csdata,"",@progbits
; Kernel info:
; codeLenInByte = 0
; NumSgprs: 4
; NumVgprs: 0
; NumAgprs: 0
; TotalNumVgprs: 0
; ScratchSize: 0
; MemoryBound: 0
; FloatMode: 240
; IeeeMode: 1
; LDSByteSize: 0 bytes/workgroup (compile time only)
; SGPRBlocks: 0
; VGPRBlocks: 0
; NumSGPRsForWavesPerEU: 4
; NumVGPRsForWavesPerEU: 1
; AccumOffset: 4
; Occupancy: 8
; WaveLimiterHint : 0
; COMPUTE_PGM_RSRC2:SCRATCH_EN: 0
; COMPUTE_PGM_RSRC2:USER_SGPR: 6
; COMPUTE_PGM_RSRC2:TRAP_HANDLER: 0
; COMPUTE_PGM_RSRC2:TGID_X_EN: 1
; COMPUTE_PGM_RSRC2:TGID_Y_EN: 0
; COMPUTE_PGM_RSRC2:TGID_Z_EN: 0
; COMPUTE_PGM_RSRC2:TIDIG_COMP_CNT: 0
; COMPUTE_PGM_RSRC3_GFX90A:ACCUM_OFFSET: 0
; COMPUTE_PGM_RSRC3_GFX90A:TG_SPLIT: 0
	.section	.text._ZN7rocprim17ROCPRIM_400000_NS6detail17trampoline_kernelINS0_14default_configENS1_20scan_config_selectorIsEEZZNS1_9scan_implILNS1_25lookback_scan_determinismE0ELb0ELb0ES3_N6thrust23THRUST_200600_302600_NS6detail15normal_iteratorINS9_10device_ptrIsEEEENS9_16discard_iteratorINS9_11use_defaultEEEs11max_functorIsEsEEDaPvRmT3_T4_T5_mT6_P12ihipStream_tbENKUlT_T0_E_clISt17integral_constantIbLb1EESW_IbLb0EEEEDaSS_ST_EUlSS_E_NS1_11comp_targetILNS1_3genE0ELNS1_11target_archE4294967295ELNS1_3gpuE0ELNS1_3repE0EEENS1_30default_config_static_selectorELNS0_4arch9wavefront6targetE1EEEvT1_,"axG",@progbits,_ZN7rocprim17ROCPRIM_400000_NS6detail17trampoline_kernelINS0_14default_configENS1_20scan_config_selectorIsEEZZNS1_9scan_implILNS1_25lookback_scan_determinismE0ELb0ELb0ES3_N6thrust23THRUST_200600_302600_NS6detail15normal_iteratorINS9_10device_ptrIsEEEENS9_16discard_iteratorINS9_11use_defaultEEEs11max_functorIsEsEEDaPvRmT3_T4_T5_mT6_P12ihipStream_tbENKUlT_T0_E_clISt17integral_constantIbLb1EESW_IbLb0EEEEDaSS_ST_EUlSS_E_NS1_11comp_targetILNS1_3genE0ELNS1_11target_archE4294967295ELNS1_3gpuE0ELNS1_3repE0EEENS1_30default_config_static_selectorELNS0_4arch9wavefront6targetE1EEEvT1_,comdat
	.protected	_ZN7rocprim17ROCPRIM_400000_NS6detail17trampoline_kernelINS0_14default_configENS1_20scan_config_selectorIsEEZZNS1_9scan_implILNS1_25lookback_scan_determinismE0ELb0ELb0ES3_N6thrust23THRUST_200600_302600_NS6detail15normal_iteratorINS9_10device_ptrIsEEEENS9_16discard_iteratorINS9_11use_defaultEEEs11max_functorIsEsEEDaPvRmT3_T4_T5_mT6_P12ihipStream_tbENKUlT_T0_E_clISt17integral_constantIbLb1EESW_IbLb0EEEEDaSS_ST_EUlSS_E_NS1_11comp_targetILNS1_3genE0ELNS1_11target_archE4294967295ELNS1_3gpuE0ELNS1_3repE0EEENS1_30default_config_static_selectorELNS0_4arch9wavefront6targetE1EEEvT1_ ; -- Begin function _ZN7rocprim17ROCPRIM_400000_NS6detail17trampoline_kernelINS0_14default_configENS1_20scan_config_selectorIsEEZZNS1_9scan_implILNS1_25lookback_scan_determinismE0ELb0ELb0ES3_N6thrust23THRUST_200600_302600_NS6detail15normal_iteratorINS9_10device_ptrIsEEEENS9_16discard_iteratorINS9_11use_defaultEEEs11max_functorIsEsEEDaPvRmT3_T4_T5_mT6_P12ihipStream_tbENKUlT_T0_E_clISt17integral_constantIbLb1EESW_IbLb0EEEEDaSS_ST_EUlSS_E_NS1_11comp_targetILNS1_3genE0ELNS1_11target_archE4294967295ELNS1_3gpuE0ELNS1_3repE0EEENS1_30default_config_static_selectorELNS0_4arch9wavefront6targetE1EEEvT1_
	.globl	_ZN7rocprim17ROCPRIM_400000_NS6detail17trampoline_kernelINS0_14default_configENS1_20scan_config_selectorIsEEZZNS1_9scan_implILNS1_25lookback_scan_determinismE0ELb0ELb0ES3_N6thrust23THRUST_200600_302600_NS6detail15normal_iteratorINS9_10device_ptrIsEEEENS9_16discard_iteratorINS9_11use_defaultEEEs11max_functorIsEsEEDaPvRmT3_T4_T5_mT6_P12ihipStream_tbENKUlT_T0_E_clISt17integral_constantIbLb1EESW_IbLb0EEEEDaSS_ST_EUlSS_E_NS1_11comp_targetILNS1_3genE0ELNS1_11target_archE4294967295ELNS1_3gpuE0ELNS1_3repE0EEENS1_30default_config_static_selectorELNS0_4arch9wavefront6targetE1EEEvT1_
	.p2align	8
	.type	_ZN7rocprim17ROCPRIM_400000_NS6detail17trampoline_kernelINS0_14default_configENS1_20scan_config_selectorIsEEZZNS1_9scan_implILNS1_25lookback_scan_determinismE0ELb0ELb0ES3_N6thrust23THRUST_200600_302600_NS6detail15normal_iteratorINS9_10device_ptrIsEEEENS9_16discard_iteratorINS9_11use_defaultEEEs11max_functorIsEsEEDaPvRmT3_T4_T5_mT6_P12ihipStream_tbENKUlT_T0_E_clISt17integral_constantIbLb1EESW_IbLb0EEEEDaSS_ST_EUlSS_E_NS1_11comp_targetILNS1_3genE0ELNS1_11target_archE4294967295ELNS1_3gpuE0ELNS1_3repE0EEENS1_30default_config_static_selectorELNS0_4arch9wavefront6targetE1EEEvT1_,@function
_ZN7rocprim17ROCPRIM_400000_NS6detail17trampoline_kernelINS0_14default_configENS1_20scan_config_selectorIsEEZZNS1_9scan_implILNS1_25lookback_scan_determinismE0ELb0ELb0ES3_N6thrust23THRUST_200600_302600_NS6detail15normal_iteratorINS9_10device_ptrIsEEEENS9_16discard_iteratorINS9_11use_defaultEEEs11max_functorIsEsEEDaPvRmT3_T4_T5_mT6_P12ihipStream_tbENKUlT_T0_E_clISt17integral_constantIbLb1EESW_IbLb0EEEEDaSS_ST_EUlSS_E_NS1_11comp_targetILNS1_3genE0ELNS1_11target_archE4294967295ELNS1_3gpuE0ELNS1_3repE0EEENS1_30default_config_static_selectorELNS0_4arch9wavefront6targetE1EEEvT1_: ; @_ZN7rocprim17ROCPRIM_400000_NS6detail17trampoline_kernelINS0_14default_configENS1_20scan_config_selectorIsEEZZNS1_9scan_implILNS1_25lookback_scan_determinismE0ELb0ELb0ES3_N6thrust23THRUST_200600_302600_NS6detail15normal_iteratorINS9_10device_ptrIsEEEENS9_16discard_iteratorINS9_11use_defaultEEEs11max_functorIsEsEEDaPvRmT3_T4_T5_mT6_P12ihipStream_tbENKUlT_T0_E_clISt17integral_constantIbLb1EESW_IbLb0EEEEDaSS_ST_EUlSS_E_NS1_11comp_targetILNS1_3genE0ELNS1_11target_archE4294967295ELNS1_3gpuE0ELNS1_3repE0EEENS1_30default_config_static_selectorELNS0_4arch9wavefront6targetE1EEEvT1_
; %bb.0:
	.section	.rodata,"a",@progbits
	.p2align	6, 0x0
	.amdhsa_kernel _ZN7rocprim17ROCPRIM_400000_NS6detail17trampoline_kernelINS0_14default_configENS1_20scan_config_selectorIsEEZZNS1_9scan_implILNS1_25lookback_scan_determinismE0ELb0ELb0ES3_N6thrust23THRUST_200600_302600_NS6detail15normal_iteratorINS9_10device_ptrIsEEEENS9_16discard_iteratorINS9_11use_defaultEEEs11max_functorIsEsEEDaPvRmT3_T4_T5_mT6_P12ihipStream_tbENKUlT_T0_E_clISt17integral_constantIbLb1EESW_IbLb0EEEEDaSS_ST_EUlSS_E_NS1_11comp_targetILNS1_3genE0ELNS1_11target_archE4294967295ELNS1_3gpuE0ELNS1_3repE0EEENS1_30default_config_static_selectorELNS0_4arch9wavefront6targetE1EEEvT1_
		.amdhsa_group_segment_fixed_size 0
		.amdhsa_private_segment_fixed_size 0
		.amdhsa_kernarg_size 104
		.amdhsa_user_sgpr_count 6
		.amdhsa_user_sgpr_private_segment_buffer 1
		.amdhsa_user_sgpr_dispatch_ptr 0
		.amdhsa_user_sgpr_queue_ptr 0
		.amdhsa_user_sgpr_kernarg_segment_ptr 1
		.amdhsa_user_sgpr_dispatch_id 0
		.amdhsa_user_sgpr_flat_scratch_init 0
		.amdhsa_user_sgpr_kernarg_preload_length 0
		.amdhsa_user_sgpr_kernarg_preload_offset 0
		.amdhsa_user_sgpr_private_segment_size 0
		.amdhsa_uses_dynamic_stack 0
		.amdhsa_system_sgpr_private_segment_wavefront_offset 0
		.amdhsa_system_sgpr_workgroup_id_x 1
		.amdhsa_system_sgpr_workgroup_id_y 0
		.amdhsa_system_sgpr_workgroup_id_z 0
		.amdhsa_system_sgpr_workgroup_info 0
		.amdhsa_system_vgpr_workitem_id 0
		.amdhsa_next_free_vgpr 1
		.amdhsa_next_free_sgpr 0
		.amdhsa_accum_offset 4
		.amdhsa_reserve_vcc 0
		.amdhsa_reserve_flat_scratch 0
		.amdhsa_float_round_mode_32 0
		.amdhsa_float_round_mode_16_64 0
		.amdhsa_float_denorm_mode_32 3
		.amdhsa_float_denorm_mode_16_64 3
		.amdhsa_dx10_clamp 1
		.amdhsa_ieee_mode 1
		.amdhsa_fp16_overflow 0
		.amdhsa_tg_split 0
		.amdhsa_exception_fp_ieee_invalid_op 0
		.amdhsa_exception_fp_denorm_src 0
		.amdhsa_exception_fp_ieee_div_zero 0
		.amdhsa_exception_fp_ieee_overflow 0
		.amdhsa_exception_fp_ieee_underflow 0
		.amdhsa_exception_fp_ieee_inexact 0
		.amdhsa_exception_int_div_zero 0
	.end_amdhsa_kernel
	.section	.text._ZN7rocprim17ROCPRIM_400000_NS6detail17trampoline_kernelINS0_14default_configENS1_20scan_config_selectorIsEEZZNS1_9scan_implILNS1_25lookback_scan_determinismE0ELb0ELb0ES3_N6thrust23THRUST_200600_302600_NS6detail15normal_iteratorINS9_10device_ptrIsEEEENS9_16discard_iteratorINS9_11use_defaultEEEs11max_functorIsEsEEDaPvRmT3_T4_T5_mT6_P12ihipStream_tbENKUlT_T0_E_clISt17integral_constantIbLb1EESW_IbLb0EEEEDaSS_ST_EUlSS_E_NS1_11comp_targetILNS1_3genE0ELNS1_11target_archE4294967295ELNS1_3gpuE0ELNS1_3repE0EEENS1_30default_config_static_selectorELNS0_4arch9wavefront6targetE1EEEvT1_,"axG",@progbits,_ZN7rocprim17ROCPRIM_400000_NS6detail17trampoline_kernelINS0_14default_configENS1_20scan_config_selectorIsEEZZNS1_9scan_implILNS1_25lookback_scan_determinismE0ELb0ELb0ES3_N6thrust23THRUST_200600_302600_NS6detail15normal_iteratorINS9_10device_ptrIsEEEENS9_16discard_iteratorINS9_11use_defaultEEEs11max_functorIsEsEEDaPvRmT3_T4_T5_mT6_P12ihipStream_tbENKUlT_T0_E_clISt17integral_constantIbLb1EESW_IbLb0EEEEDaSS_ST_EUlSS_E_NS1_11comp_targetILNS1_3genE0ELNS1_11target_archE4294967295ELNS1_3gpuE0ELNS1_3repE0EEENS1_30default_config_static_selectorELNS0_4arch9wavefront6targetE1EEEvT1_,comdat
.Lfunc_end4034:
	.size	_ZN7rocprim17ROCPRIM_400000_NS6detail17trampoline_kernelINS0_14default_configENS1_20scan_config_selectorIsEEZZNS1_9scan_implILNS1_25lookback_scan_determinismE0ELb0ELb0ES3_N6thrust23THRUST_200600_302600_NS6detail15normal_iteratorINS9_10device_ptrIsEEEENS9_16discard_iteratorINS9_11use_defaultEEEs11max_functorIsEsEEDaPvRmT3_T4_T5_mT6_P12ihipStream_tbENKUlT_T0_E_clISt17integral_constantIbLb1EESW_IbLb0EEEEDaSS_ST_EUlSS_E_NS1_11comp_targetILNS1_3genE0ELNS1_11target_archE4294967295ELNS1_3gpuE0ELNS1_3repE0EEENS1_30default_config_static_selectorELNS0_4arch9wavefront6targetE1EEEvT1_, .Lfunc_end4034-_ZN7rocprim17ROCPRIM_400000_NS6detail17trampoline_kernelINS0_14default_configENS1_20scan_config_selectorIsEEZZNS1_9scan_implILNS1_25lookback_scan_determinismE0ELb0ELb0ES3_N6thrust23THRUST_200600_302600_NS6detail15normal_iteratorINS9_10device_ptrIsEEEENS9_16discard_iteratorINS9_11use_defaultEEEs11max_functorIsEsEEDaPvRmT3_T4_T5_mT6_P12ihipStream_tbENKUlT_T0_E_clISt17integral_constantIbLb1EESW_IbLb0EEEEDaSS_ST_EUlSS_E_NS1_11comp_targetILNS1_3genE0ELNS1_11target_archE4294967295ELNS1_3gpuE0ELNS1_3repE0EEENS1_30default_config_static_selectorELNS0_4arch9wavefront6targetE1EEEvT1_
                                        ; -- End function
	.section	.AMDGPU.csdata,"",@progbits
; Kernel info:
; codeLenInByte = 0
; NumSgprs: 4
; NumVgprs: 0
; NumAgprs: 0
; TotalNumVgprs: 0
; ScratchSize: 0
; MemoryBound: 0
; FloatMode: 240
; IeeeMode: 1
; LDSByteSize: 0 bytes/workgroup (compile time only)
; SGPRBlocks: 0
; VGPRBlocks: 0
; NumSGPRsForWavesPerEU: 4
; NumVGPRsForWavesPerEU: 1
; AccumOffset: 4
; Occupancy: 8
; WaveLimiterHint : 0
; COMPUTE_PGM_RSRC2:SCRATCH_EN: 0
; COMPUTE_PGM_RSRC2:USER_SGPR: 6
; COMPUTE_PGM_RSRC2:TRAP_HANDLER: 0
; COMPUTE_PGM_RSRC2:TGID_X_EN: 1
; COMPUTE_PGM_RSRC2:TGID_Y_EN: 0
; COMPUTE_PGM_RSRC2:TGID_Z_EN: 0
; COMPUTE_PGM_RSRC2:TIDIG_COMP_CNT: 0
; COMPUTE_PGM_RSRC3_GFX90A:ACCUM_OFFSET: 0
; COMPUTE_PGM_RSRC3_GFX90A:TG_SPLIT: 0
	.section	.text._ZN7rocprim17ROCPRIM_400000_NS6detail17trampoline_kernelINS0_14default_configENS1_20scan_config_selectorIsEEZZNS1_9scan_implILNS1_25lookback_scan_determinismE0ELb0ELb0ES3_N6thrust23THRUST_200600_302600_NS6detail15normal_iteratorINS9_10device_ptrIsEEEENS9_16discard_iteratorINS9_11use_defaultEEEs11max_functorIsEsEEDaPvRmT3_T4_T5_mT6_P12ihipStream_tbENKUlT_T0_E_clISt17integral_constantIbLb1EESW_IbLb0EEEEDaSS_ST_EUlSS_E_NS1_11comp_targetILNS1_3genE5ELNS1_11target_archE942ELNS1_3gpuE9ELNS1_3repE0EEENS1_30default_config_static_selectorELNS0_4arch9wavefront6targetE1EEEvT1_,"axG",@progbits,_ZN7rocprim17ROCPRIM_400000_NS6detail17trampoline_kernelINS0_14default_configENS1_20scan_config_selectorIsEEZZNS1_9scan_implILNS1_25lookback_scan_determinismE0ELb0ELb0ES3_N6thrust23THRUST_200600_302600_NS6detail15normal_iteratorINS9_10device_ptrIsEEEENS9_16discard_iteratorINS9_11use_defaultEEEs11max_functorIsEsEEDaPvRmT3_T4_T5_mT6_P12ihipStream_tbENKUlT_T0_E_clISt17integral_constantIbLb1EESW_IbLb0EEEEDaSS_ST_EUlSS_E_NS1_11comp_targetILNS1_3genE5ELNS1_11target_archE942ELNS1_3gpuE9ELNS1_3repE0EEENS1_30default_config_static_selectorELNS0_4arch9wavefront6targetE1EEEvT1_,comdat
	.protected	_ZN7rocprim17ROCPRIM_400000_NS6detail17trampoline_kernelINS0_14default_configENS1_20scan_config_selectorIsEEZZNS1_9scan_implILNS1_25lookback_scan_determinismE0ELb0ELb0ES3_N6thrust23THRUST_200600_302600_NS6detail15normal_iteratorINS9_10device_ptrIsEEEENS9_16discard_iteratorINS9_11use_defaultEEEs11max_functorIsEsEEDaPvRmT3_T4_T5_mT6_P12ihipStream_tbENKUlT_T0_E_clISt17integral_constantIbLb1EESW_IbLb0EEEEDaSS_ST_EUlSS_E_NS1_11comp_targetILNS1_3genE5ELNS1_11target_archE942ELNS1_3gpuE9ELNS1_3repE0EEENS1_30default_config_static_selectorELNS0_4arch9wavefront6targetE1EEEvT1_ ; -- Begin function _ZN7rocprim17ROCPRIM_400000_NS6detail17trampoline_kernelINS0_14default_configENS1_20scan_config_selectorIsEEZZNS1_9scan_implILNS1_25lookback_scan_determinismE0ELb0ELb0ES3_N6thrust23THRUST_200600_302600_NS6detail15normal_iteratorINS9_10device_ptrIsEEEENS9_16discard_iteratorINS9_11use_defaultEEEs11max_functorIsEsEEDaPvRmT3_T4_T5_mT6_P12ihipStream_tbENKUlT_T0_E_clISt17integral_constantIbLb1EESW_IbLb0EEEEDaSS_ST_EUlSS_E_NS1_11comp_targetILNS1_3genE5ELNS1_11target_archE942ELNS1_3gpuE9ELNS1_3repE0EEENS1_30default_config_static_selectorELNS0_4arch9wavefront6targetE1EEEvT1_
	.globl	_ZN7rocprim17ROCPRIM_400000_NS6detail17trampoline_kernelINS0_14default_configENS1_20scan_config_selectorIsEEZZNS1_9scan_implILNS1_25lookback_scan_determinismE0ELb0ELb0ES3_N6thrust23THRUST_200600_302600_NS6detail15normal_iteratorINS9_10device_ptrIsEEEENS9_16discard_iteratorINS9_11use_defaultEEEs11max_functorIsEsEEDaPvRmT3_T4_T5_mT6_P12ihipStream_tbENKUlT_T0_E_clISt17integral_constantIbLb1EESW_IbLb0EEEEDaSS_ST_EUlSS_E_NS1_11comp_targetILNS1_3genE5ELNS1_11target_archE942ELNS1_3gpuE9ELNS1_3repE0EEENS1_30default_config_static_selectorELNS0_4arch9wavefront6targetE1EEEvT1_
	.p2align	8
	.type	_ZN7rocprim17ROCPRIM_400000_NS6detail17trampoline_kernelINS0_14default_configENS1_20scan_config_selectorIsEEZZNS1_9scan_implILNS1_25lookback_scan_determinismE0ELb0ELb0ES3_N6thrust23THRUST_200600_302600_NS6detail15normal_iteratorINS9_10device_ptrIsEEEENS9_16discard_iteratorINS9_11use_defaultEEEs11max_functorIsEsEEDaPvRmT3_T4_T5_mT6_P12ihipStream_tbENKUlT_T0_E_clISt17integral_constantIbLb1EESW_IbLb0EEEEDaSS_ST_EUlSS_E_NS1_11comp_targetILNS1_3genE5ELNS1_11target_archE942ELNS1_3gpuE9ELNS1_3repE0EEENS1_30default_config_static_selectorELNS0_4arch9wavefront6targetE1EEEvT1_,@function
_ZN7rocprim17ROCPRIM_400000_NS6detail17trampoline_kernelINS0_14default_configENS1_20scan_config_selectorIsEEZZNS1_9scan_implILNS1_25lookback_scan_determinismE0ELb0ELb0ES3_N6thrust23THRUST_200600_302600_NS6detail15normal_iteratorINS9_10device_ptrIsEEEENS9_16discard_iteratorINS9_11use_defaultEEEs11max_functorIsEsEEDaPvRmT3_T4_T5_mT6_P12ihipStream_tbENKUlT_T0_E_clISt17integral_constantIbLb1EESW_IbLb0EEEEDaSS_ST_EUlSS_E_NS1_11comp_targetILNS1_3genE5ELNS1_11target_archE942ELNS1_3gpuE9ELNS1_3repE0EEENS1_30default_config_static_selectorELNS0_4arch9wavefront6targetE1EEEvT1_: ; @_ZN7rocprim17ROCPRIM_400000_NS6detail17trampoline_kernelINS0_14default_configENS1_20scan_config_selectorIsEEZZNS1_9scan_implILNS1_25lookback_scan_determinismE0ELb0ELb0ES3_N6thrust23THRUST_200600_302600_NS6detail15normal_iteratorINS9_10device_ptrIsEEEENS9_16discard_iteratorINS9_11use_defaultEEEs11max_functorIsEsEEDaPvRmT3_T4_T5_mT6_P12ihipStream_tbENKUlT_T0_E_clISt17integral_constantIbLb1EESW_IbLb0EEEEDaSS_ST_EUlSS_E_NS1_11comp_targetILNS1_3genE5ELNS1_11target_archE942ELNS1_3gpuE9ELNS1_3repE0EEENS1_30default_config_static_selectorELNS0_4arch9wavefront6targetE1EEEvT1_
; %bb.0:
	.section	.rodata,"a",@progbits
	.p2align	6, 0x0
	.amdhsa_kernel _ZN7rocprim17ROCPRIM_400000_NS6detail17trampoline_kernelINS0_14default_configENS1_20scan_config_selectorIsEEZZNS1_9scan_implILNS1_25lookback_scan_determinismE0ELb0ELb0ES3_N6thrust23THRUST_200600_302600_NS6detail15normal_iteratorINS9_10device_ptrIsEEEENS9_16discard_iteratorINS9_11use_defaultEEEs11max_functorIsEsEEDaPvRmT3_T4_T5_mT6_P12ihipStream_tbENKUlT_T0_E_clISt17integral_constantIbLb1EESW_IbLb0EEEEDaSS_ST_EUlSS_E_NS1_11comp_targetILNS1_3genE5ELNS1_11target_archE942ELNS1_3gpuE9ELNS1_3repE0EEENS1_30default_config_static_selectorELNS0_4arch9wavefront6targetE1EEEvT1_
		.amdhsa_group_segment_fixed_size 0
		.amdhsa_private_segment_fixed_size 0
		.amdhsa_kernarg_size 104
		.amdhsa_user_sgpr_count 6
		.amdhsa_user_sgpr_private_segment_buffer 1
		.amdhsa_user_sgpr_dispatch_ptr 0
		.amdhsa_user_sgpr_queue_ptr 0
		.amdhsa_user_sgpr_kernarg_segment_ptr 1
		.amdhsa_user_sgpr_dispatch_id 0
		.amdhsa_user_sgpr_flat_scratch_init 0
		.amdhsa_user_sgpr_kernarg_preload_length 0
		.amdhsa_user_sgpr_kernarg_preload_offset 0
		.amdhsa_user_sgpr_private_segment_size 0
		.amdhsa_uses_dynamic_stack 0
		.amdhsa_system_sgpr_private_segment_wavefront_offset 0
		.amdhsa_system_sgpr_workgroup_id_x 1
		.amdhsa_system_sgpr_workgroup_id_y 0
		.amdhsa_system_sgpr_workgroup_id_z 0
		.amdhsa_system_sgpr_workgroup_info 0
		.amdhsa_system_vgpr_workitem_id 0
		.amdhsa_next_free_vgpr 1
		.amdhsa_next_free_sgpr 0
		.amdhsa_accum_offset 4
		.amdhsa_reserve_vcc 0
		.amdhsa_reserve_flat_scratch 0
		.amdhsa_float_round_mode_32 0
		.amdhsa_float_round_mode_16_64 0
		.amdhsa_float_denorm_mode_32 3
		.amdhsa_float_denorm_mode_16_64 3
		.amdhsa_dx10_clamp 1
		.amdhsa_ieee_mode 1
		.amdhsa_fp16_overflow 0
		.amdhsa_tg_split 0
		.amdhsa_exception_fp_ieee_invalid_op 0
		.amdhsa_exception_fp_denorm_src 0
		.amdhsa_exception_fp_ieee_div_zero 0
		.amdhsa_exception_fp_ieee_overflow 0
		.amdhsa_exception_fp_ieee_underflow 0
		.amdhsa_exception_fp_ieee_inexact 0
		.amdhsa_exception_int_div_zero 0
	.end_amdhsa_kernel
	.section	.text._ZN7rocprim17ROCPRIM_400000_NS6detail17trampoline_kernelINS0_14default_configENS1_20scan_config_selectorIsEEZZNS1_9scan_implILNS1_25lookback_scan_determinismE0ELb0ELb0ES3_N6thrust23THRUST_200600_302600_NS6detail15normal_iteratorINS9_10device_ptrIsEEEENS9_16discard_iteratorINS9_11use_defaultEEEs11max_functorIsEsEEDaPvRmT3_T4_T5_mT6_P12ihipStream_tbENKUlT_T0_E_clISt17integral_constantIbLb1EESW_IbLb0EEEEDaSS_ST_EUlSS_E_NS1_11comp_targetILNS1_3genE5ELNS1_11target_archE942ELNS1_3gpuE9ELNS1_3repE0EEENS1_30default_config_static_selectorELNS0_4arch9wavefront6targetE1EEEvT1_,"axG",@progbits,_ZN7rocprim17ROCPRIM_400000_NS6detail17trampoline_kernelINS0_14default_configENS1_20scan_config_selectorIsEEZZNS1_9scan_implILNS1_25lookback_scan_determinismE0ELb0ELb0ES3_N6thrust23THRUST_200600_302600_NS6detail15normal_iteratorINS9_10device_ptrIsEEEENS9_16discard_iteratorINS9_11use_defaultEEEs11max_functorIsEsEEDaPvRmT3_T4_T5_mT6_P12ihipStream_tbENKUlT_T0_E_clISt17integral_constantIbLb1EESW_IbLb0EEEEDaSS_ST_EUlSS_E_NS1_11comp_targetILNS1_3genE5ELNS1_11target_archE942ELNS1_3gpuE9ELNS1_3repE0EEENS1_30default_config_static_selectorELNS0_4arch9wavefront6targetE1EEEvT1_,comdat
.Lfunc_end4035:
	.size	_ZN7rocprim17ROCPRIM_400000_NS6detail17trampoline_kernelINS0_14default_configENS1_20scan_config_selectorIsEEZZNS1_9scan_implILNS1_25lookback_scan_determinismE0ELb0ELb0ES3_N6thrust23THRUST_200600_302600_NS6detail15normal_iteratorINS9_10device_ptrIsEEEENS9_16discard_iteratorINS9_11use_defaultEEEs11max_functorIsEsEEDaPvRmT3_T4_T5_mT6_P12ihipStream_tbENKUlT_T0_E_clISt17integral_constantIbLb1EESW_IbLb0EEEEDaSS_ST_EUlSS_E_NS1_11comp_targetILNS1_3genE5ELNS1_11target_archE942ELNS1_3gpuE9ELNS1_3repE0EEENS1_30default_config_static_selectorELNS0_4arch9wavefront6targetE1EEEvT1_, .Lfunc_end4035-_ZN7rocprim17ROCPRIM_400000_NS6detail17trampoline_kernelINS0_14default_configENS1_20scan_config_selectorIsEEZZNS1_9scan_implILNS1_25lookback_scan_determinismE0ELb0ELb0ES3_N6thrust23THRUST_200600_302600_NS6detail15normal_iteratorINS9_10device_ptrIsEEEENS9_16discard_iteratorINS9_11use_defaultEEEs11max_functorIsEsEEDaPvRmT3_T4_T5_mT6_P12ihipStream_tbENKUlT_T0_E_clISt17integral_constantIbLb1EESW_IbLb0EEEEDaSS_ST_EUlSS_E_NS1_11comp_targetILNS1_3genE5ELNS1_11target_archE942ELNS1_3gpuE9ELNS1_3repE0EEENS1_30default_config_static_selectorELNS0_4arch9wavefront6targetE1EEEvT1_
                                        ; -- End function
	.section	.AMDGPU.csdata,"",@progbits
; Kernel info:
; codeLenInByte = 0
; NumSgprs: 4
; NumVgprs: 0
; NumAgprs: 0
; TotalNumVgprs: 0
; ScratchSize: 0
; MemoryBound: 0
; FloatMode: 240
; IeeeMode: 1
; LDSByteSize: 0 bytes/workgroup (compile time only)
; SGPRBlocks: 0
; VGPRBlocks: 0
; NumSGPRsForWavesPerEU: 4
; NumVGPRsForWavesPerEU: 1
; AccumOffset: 4
; Occupancy: 8
; WaveLimiterHint : 0
; COMPUTE_PGM_RSRC2:SCRATCH_EN: 0
; COMPUTE_PGM_RSRC2:USER_SGPR: 6
; COMPUTE_PGM_RSRC2:TRAP_HANDLER: 0
; COMPUTE_PGM_RSRC2:TGID_X_EN: 1
; COMPUTE_PGM_RSRC2:TGID_Y_EN: 0
; COMPUTE_PGM_RSRC2:TGID_Z_EN: 0
; COMPUTE_PGM_RSRC2:TIDIG_COMP_CNT: 0
; COMPUTE_PGM_RSRC3_GFX90A:ACCUM_OFFSET: 0
; COMPUTE_PGM_RSRC3_GFX90A:TG_SPLIT: 0
	.section	.text._ZN7rocprim17ROCPRIM_400000_NS6detail17trampoline_kernelINS0_14default_configENS1_20scan_config_selectorIsEEZZNS1_9scan_implILNS1_25lookback_scan_determinismE0ELb0ELb0ES3_N6thrust23THRUST_200600_302600_NS6detail15normal_iteratorINS9_10device_ptrIsEEEENS9_16discard_iteratorINS9_11use_defaultEEEs11max_functorIsEsEEDaPvRmT3_T4_T5_mT6_P12ihipStream_tbENKUlT_T0_E_clISt17integral_constantIbLb1EESW_IbLb0EEEEDaSS_ST_EUlSS_E_NS1_11comp_targetILNS1_3genE4ELNS1_11target_archE910ELNS1_3gpuE8ELNS1_3repE0EEENS1_30default_config_static_selectorELNS0_4arch9wavefront6targetE1EEEvT1_,"axG",@progbits,_ZN7rocprim17ROCPRIM_400000_NS6detail17trampoline_kernelINS0_14default_configENS1_20scan_config_selectorIsEEZZNS1_9scan_implILNS1_25lookback_scan_determinismE0ELb0ELb0ES3_N6thrust23THRUST_200600_302600_NS6detail15normal_iteratorINS9_10device_ptrIsEEEENS9_16discard_iteratorINS9_11use_defaultEEEs11max_functorIsEsEEDaPvRmT3_T4_T5_mT6_P12ihipStream_tbENKUlT_T0_E_clISt17integral_constantIbLb1EESW_IbLb0EEEEDaSS_ST_EUlSS_E_NS1_11comp_targetILNS1_3genE4ELNS1_11target_archE910ELNS1_3gpuE8ELNS1_3repE0EEENS1_30default_config_static_selectorELNS0_4arch9wavefront6targetE1EEEvT1_,comdat
	.protected	_ZN7rocprim17ROCPRIM_400000_NS6detail17trampoline_kernelINS0_14default_configENS1_20scan_config_selectorIsEEZZNS1_9scan_implILNS1_25lookback_scan_determinismE0ELb0ELb0ES3_N6thrust23THRUST_200600_302600_NS6detail15normal_iteratorINS9_10device_ptrIsEEEENS9_16discard_iteratorINS9_11use_defaultEEEs11max_functorIsEsEEDaPvRmT3_T4_T5_mT6_P12ihipStream_tbENKUlT_T0_E_clISt17integral_constantIbLb1EESW_IbLb0EEEEDaSS_ST_EUlSS_E_NS1_11comp_targetILNS1_3genE4ELNS1_11target_archE910ELNS1_3gpuE8ELNS1_3repE0EEENS1_30default_config_static_selectorELNS0_4arch9wavefront6targetE1EEEvT1_ ; -- Begin function _ZN7rocprim17ROCPRIM_400000_NS6detail17trampoline_kernelINS0_14default_configENS1_20scan_config_selectorIsEEZZNS1_9scan_implILNS1_25lookback_scan_determinismE0ELb0ELb0ES3_N6thrust23THRUST_200600_302600_NS6detail15normal_iteratorINS9_10device_ptrIsEEEENS9_16discard_iteratorINS9_11use_defaultEEEs11max_functorIsEsEEDaPvRmT3_T4_T5_mT6_P12ihipStream_tbENKUlT_T0_E_clISt17integral_constantIbLb1EESW_IbLb0EEEEDaSS_ST_EUlSS_E_NS1_11comp_targetILNS1_3genE4ELNS1_11target_archE910ELNS1_3gpuE8ELNS1_3repE0EEENS1_30default_config_static_selectorELNS0_4arch9wavefront6targetE1EEEvT1_
	.globl	_ZN7rocprim17ROCPRIM_400000_NS6detail17trampoline_kernelINS0_14default_configENS1_20scan_config_selectorIsEEZZNS1_9scan_implILNS1_25lookback_scan_determinismE0ELb0ELb0ES3_N6thrust23THRUST_200600_302600_NS6detail15normal_iteratorINS9_10device_ptrIsEEEENS9_16discard_iteratorINS9_11use_defaultEEEs11max_functorIsEsEEDaPvRmT3_T4_T5_mT6_P12ihipStream_tbENKUlT_T0_E_clISt17integral_constantIbLb1EESW_IbLb0EEEEDaSS_ST_EUlSS_E_NS1_11comp_targetILNS1_3genE4ELNS1_11target_archE910ELNS1_3gpuE8ELNS1_3repE0EEENS1_30default_config_static_selectorELNS0_4arch9wavefront6targetE1EEEvT1_
	.p2align	8
	.type	_ZN7rocprim17ROCPRIM_400000_NS6detail17trampoline_kernelINS0_14default_configENS1_20scan_config_selectorIsEEZZNS1_9scan_implILNS1_25lookback_scan_determinismE0ELb0ELb0ES3_N6thrust23THRUST_200600_302600_NS6detail15normal_iteratorINS9_10device_ptrIsEEEENS9_16discard_iteratorINS9_11use_defaultEEEs11max_functorIsEsEEDaPvRmT3_T4_T5_mT6_P12ihipStream_tbENKUlT_T0_E_clISt17integral_constantIbLb1EESW_IbLb0EEEEDaSS_ST_EUlSS_E_NS1_11comp_targetILNS1_3genE4ELNS1_11target_archE910ELNS1_3gpuE8ELNS1_3repE0EEENS1_30default_config_static_selectorELNS0_4arch9wavefront6targetE1EEEvT1_,@function
_ZN7rocprim17ROCPRIM_400000_NS6detail17trampoline_kernelINS0_14default_configENS1_20scan_config_selectorIsEEZZNS1_9scan_implILNS1_25lookback_scan_determinismE0ELb0ELb0ES3_N6thrust23THRUST_200600_302600_NS6detail15normal_iteratorINS9_10device_ptrIsEEEENS9_16discard_iteratorINS9_11use_defaultEEEs11max_functorIsEsEEDaPvRmT3_T4_T5_mT6_P12ihipStream_tbENKUlT_T0_E_clISt17integral_constantIbLb1EESW_IbLb0EEEEDaSS_ST_EUlSS_E_NS1_11comp_targetILNS1_3genE4ELNS1_11target_archE910ELNS1_3gpuE8ELNS1_3repE0EEENS1_30default_config_static_selectorELNS0_4arch9wavefront6targetE1EEEvT1_: ; @_ZN7rocprim17ROCPRIM_400000_NS6detail17trampoline_kernelINS0_14default_configENS1_20scan_config_selectorIsEEZZNS1_9scan_implILNS1_25lookback_scan_determinismE0ELb0ELb0ES3_N6thrust23THRUST_200600_302600_NS6detail15normal_iteratorINS9_10device_ptrIsEEEENS9_16discard_iteratorINS9_11use_defaultEEEs11max_functorIsEsEEDaPvRmT3_T4_T5_mT6_P12ihipStream_tbENKUlT_T0_E_clISt17integral_constantIbLb1EESW_IbLb0EEEEDaSS_ST_EUlSS_E_NS1_11comp_targetILNS1_3genE4ELNS1_11target_archE910ELNS1_3gpuE8ELNS1_3repE0EEENS1_30default_config_static_selectorELNS0_4arch9wavefront6targetE1EEEvT1_
; %bb.0:
	s_load_dwordx4 s[0:3], s[4:5], 0x0
	s_load_dwordx2 s[8:9], s[4:5], 0x20
	s_load_dword s7, s[4:5], 0x38
	v_lshlrev_b32_e32 v1, 1, v0
	s_waitcnt lgkmcnt(0)
	s_lshl_b64 s[2:3], s[2:3], 1
	s_add_u32 s2, s0, s2
	s_addc_u32 s3, s1, s3
	s_add_i32 s7, s7, -1
	s_mul_i32 s10, s7, 0x600
	s_sub_u32 s20, s8, s10
	s_subb_u32 s21, s9, 0
	s_mul_i32 s0, s6, 0x600
	s_mov_b32 s1, 0
	s_cmp_lg_u32 s6, s7
	s_cselect_b64 s[14:15], -1, 0
	s_lshl_b64 s[0:1], s[0:1], 1
	s_add_u32 s0, s2, s0
	s_addc_u32 s1, s3, s1
	s_mov_b64 s[2:3], -1
	s_and_b64 vcc, exec, s[14:15]
	s_cbranch_vccz .LBB4036_2
; %bb.1:
	v_mov_b32_e32 v3, s1
	v_add_co_u32_e32 v2, vcc, s0, v1
	v_addc_co_u32_e32 v3, vcc, 0, v3, vcc
	flat_load_ushort v4, v[2:3]
	flat_load_ushort v5, v[2:3] offset:128
	flat_load_ushort v6, v[2:3] offset:256
	flat_load_ushort v7, v[2:3] offset:384
	flat_load_ushort v8, v[2:3] offset:512
	flat_load_ushort v9, v[2:3] offset:640
	flat_load_ushort v10, v[2:3] offset:768
	flat_load_ushort v11, v[2:3] offset:896
	flat_load_ushort v12, v[2:3] offset:1024
	flat_load_ushort v13, v[2:3] offset:1152
	flat_load_ushort v14, v[2:3] offset:1280
	flat_load_ushort v15, v[2:3] offset:1408
	flat_load_ushort v16, v[2:3] offset:1536
	flat_load_ushort v17, v[2:3] offset:1664
	flat_load_ushort v18, v[2:3] offset:1792
	flat_load_ushort v19, v[2:3] offset:1920
	flat_load_ushort v20, v[2:3] offset:2048
	flat_load_ushort v21, v[2:3] offset:2176
	flat_load_ushort v22, v[2:3] offset:2304
	flat_load_ushort v23, v[2:3] offset:2432
	flat_load_ushort v24, v[2:3] offset:2560
	flat_load_ushort v25, v[2:3] offset:2688
	flat_load_ushort v26, v[2:3] offset:2816
	flat_load_ushort v27, v[2:3] offset:2944
	s_mov_b64 s[2:3], 0
	s_waitcnt vmcnt(0) lgkmcnt(0)
	ds_write_b16 v1, v4
	ds_write_b16 v1, v5 offset:128
	ds_write_b16 v1, v6 offset:256
	;; [unrolled: 1-line block ×23, first 2 shown]
	s_waitcnt lgkmcnt(0)
	; wave barrier
.LBB4036_2:
	s_load_dwordx2 s[16:17], s[4:5], 0x30
	s_andn2_b64 vcc, exec, s[2:3]
	s_cbranch_vccnz .LBB4036_52
; %bb.3:
	v_pk_mov_b32 v[2:3], s[0:1], s[0:1] op_sel:[0,1]
	flat_load_ushort v2, v[2:3]
	v_cmp_gt_u32_e32 vcc, s20, v0
	s_waitcnt vmcnt(0) lgkmcnt(0)
	v_mov_b32_e32 v3, v2
	s_and_saveexec_b64 s[2:3], vcc
	s_cbranch_execz .LBB4036_5
; %bb.4:
	v_mov_b32_e32 v3, s1
	v_add_co_u32_e32 v4, vcc, s0, v1
	v_addc_co_u32_e32 v5, vcc, 0, v3, vcc
	flat_load_ushort v3, v[4:5]
.LBB4036_5:
	s_or_b64 exec, exec, s[2:3]
	v_or_b32_e32 v4, 64, v0
	v_cmp_gt_u32_e32 vcc, s20, v4
	v_mov_b32_e32 v4, v2
	s_and_saveexec_b64 s[2:3], vcc
	s_cbranch_execz .LBB4036_7
; %bb.6:
	v_mov_b32_e32 v5, s1
	v_add_co_u32_e32 v4, vcc, s0, v1
	v_addc_co_u32_e32 v5, vcc, 0, v5, vcc
	flat_load_ushort v4, v[4:5] offset:128
.LBB4036_7:
	s_or_b64 exec, exec, s[2:3]
	v_or_b32_e32 v5, 0x80, v0
	v_cmp_gt_u32_e32 vcc, s20, v5
	v_mov_b32_e32 v5, v2
	s_and_saveexec_b64 s[2:3], vcc
	s_cbranch_execz .LBB4036_9
; %bb.8:
	v_mov_b32_e32 v5, s1
	v_add_co_u32_e32 v6, vcc, s0, v1
	v_addc_co_u32_e32 v7, vcc, 0, v5, vcc
	flat_load_ushort v5, v[6:7] offset:256
.LBB4036_9:
	s_or_b64 exec, exec, s[2:3]
	v_or_b32_e32 v6, 0xc0, v0
	v_cmp_gt_u32_e32 vcc, s20, v6
	v_mov_b32_e32 v6, v2
	s_and_saveexec_b64 s[2:3], vcc
	s_cbranch_execz .LBB4036_11
; %bb.10:
	v_mov_b32_e32 v7, s1
	v_add_co_u32_e32 v6, vcc, s0, v1
	v_addc_co_u32_e32 v7, vcc, 0, v7, vcc
	flat_load_ushort v6, v[6:7] offset:384
.LBB4036_11:
	s_or_b64 exec, exec, s[2:3]
	v_or_b32_e32 v7, 0x100, v0
	v_cmp_gt_u32_e32 vcc, s20, v7
	v_mov_b32_e32 v7, v2
	s_and_saveexec_b64 s[2:3], vcc
	s_cbranch_execz .LBB4036_13
; %bb.12:
	v_mov_b32_e32 v7, s1
	v_add_co_u32_e32 v8, vcc, s0, v1
	v_addc_co_u32_e32 v9, vcc, 0, v7, vcc
	flat_load_ushort v7, v[8:9] offset:512
.LBB4036_13:
	s_or_b64 exec, exec, s[2:3]
	v_or_b32_e32 v8, 0x140, v0
	v_cmp_gt_u32_e32 vcc, s20, v8
	v_mov_b32_e32 v8, v2
	s_and_saveexec_b64 s[2:3], vcc
	s_cbranch_execz .LBB4036_15
; %bb.14:
	v_mov_b32_e32 v9, s1
	v_add_co_u32_e32 v8, vcc, s0, v1
	v_addc_co_u32_e32 v9, vcc, 0, v9, vcc
	flat_load_ushort v8, v[8:9] offset:640
.LBB4036_15:
	s_or_b64 exec, exec, s[2:3]
	v_or_b32_e32 v9, 0x180, v0
	v_cmp_gt_u32_e32 vcc, s20, v9
	v_mov_b32_e32 v9, v2
	s_and_saveexec_b64 s[2:3], vcc
	s_cbranch_execz .LBB4036_17
; %bb.16:
	v_mov_b32_e32 v9, s1
	v_add_co_u32_e32 v10, vcc, s0, v1
	v_addc_co_u32_e32 v11, vcc, 0, v9, vcc
	flat_load_ushort v9, v[10:11] offset:768
.LBB4036_17:
	s_or_b64 exec, exec, s[2:3]
	v_or_b32_e32 v10, 0x1c0, v0
	v_cmp_gt_u32_e32 vcc, s20, v10
	v_mov_b32_e32 v10, v2
	s_and_saveexec_b64 s[2:3], vcc
	s_cbranch_execz .LBB4036_19
; %bb.18:
	v_mov_b32_e32 v11, s1
	v_add_co_u32_e32 v10, vcc, s0, v1
	v_addc_co_u32_e32 v11, vcc, 0, v11, vcc
	flat_load_ushort v10, v[10:11] offset:896
.LBB4036_19:
	s_or_b64 exec, exec, s[2:3]
	v_or_b32_e32 v11, 0x200, v0
	v_cmp_gt_u32_e32 vcc, s20, v11
	v_mov_b32_e32 v11, v2
	s_and_saveexec_b64 s[2:3], vcc
	s_cbranch_execz .LBB4036_21
; %bb.20:
	v_mov_b32_e32 v11, s1
	v_add_co_u32_e32 v12, vcc, s0, v1
	v_addc_co_u32_e32 v13, vcc, 0, v11, vcc
	flat_load_ushort v11, v[12:13] offset:1024
.LBB4036_21:
	s_or_b64 exec, exec, s[2:3]
	v_or_b32_e32 v12, 0x240, v0
	v_cmp_gt_u32_e32 vcc, s20, v12
	v_mov_b32_e32 v12, v2
	s_and_saveexec_b64 s[2:3], vcc
	s_cbranch_execz .LBB4036_23
; %bb.22:
	v_mov_b32_e32 v13, s1
	v_add_co_u32_e32 v12, vcc, s0, v1
	v_addc_co_u32_e32 v13, vcc, 0, v13, vcc
	flat_load_ushort v12, v[12:13] offset:1152
.LBB4036_23:
	s_or_b64 exec, exec, s[2:3]
	v_or_b32_e32 v13, 0x280, v0
	v_cmp_gt_u32_e32 vcc, s20, v13
	v_mov_b32_e32 v13, v2
	s_and_saveexec_b64 s[2:3], vcc
	s_cbranch_execz .LBB4036_25
; %bb.24:
	v_mov_b32_e32 v13, s1
	v_add_co_u32_e32 v14, vcc, s0, v1
	v_addc_co_u32_e32 v15, vcc, 0, v13, vcc
	flat_load_ushort v13, v[14:15] offset:1280
.LBB4036_25:
	s_or_b64 exec, exec, s[2:3]
	v_or_b32_e32 v14, 0x2c0, v0
	v_cmp_gt_u32_e32 vcc, s20, v14
	v_mov_b32_e32 v14, v2
	s_and_saveexec_b64 s[2:3], vcc
	s_cbranch_execz .LBB4036_27
; %bb.26:
	v_mov_b32_e32 v15, s1
	v_add_co_u32_e32 v14, vcc, s0, v1
	v_addc_co_u32_e32 v15, vcc, 0, v15, vcc
	flat_load_ushort v14, v[14:15] offset:1408
.LBB4036_27:
	s_or_b64 exec, exec, s[2:3]
	v_or_b32_e32 v15, 0x300, v0
	v_cmp_gt_u32_e32 vcc, s20, v15
	v_mov_b32_e32 v15, v2
	s_and_saveexec_b64 s[2:3], vcc
	s_cbranch_execz .LBB4036_29
; %bb.28:
	v_mov_b32_e32 v15, s1
	v_add_co_u32_e32 v16, vcc, s0, v1
	v_addc_co_u32_e32 v17, vcc, 0, v15, vcc
	flat_load_ushort v15, v[16:17] offset:1536
.LBB4036_29:
	s_or_b64 exec, exec, s[2:3]
	v_or_b32_e32 v16, 0x340, v0
	v_cmp_gt_u32_e32 vcc, s20, v16
	v_mov_b32_e32 v16, v2
	s_and_saveexec_b64 s[2:3], vcc
	s_cbranch_execz .LBB4036_31
; %bb.30:
	v_mov_b32_e32 v17, s1
	v_add_co_u32_e32 v16, vcc, s0, v1
	v_addc_co_u32_e32 v17, vcc, 0, v17, vcc
	flat_load_ushort v16, v[16:17] offset:1664
.LBB4036_31:
	s_or_b64 exec, exec, s[2:3]
	v_or_b32_e32 v17, 0x380, v0
	v_cmp_gt_u32_e32 vcc, s20, v17
	v_mov_b32_e32 v17, v2
	s_and_saveexec_b64 s[2:3], vcc
	s_cbranch_execz .LBB4036_33
; %bb.32:
	v_mov_b32_e32 v17, s1
	v_add_co_u32_e32 v18, vcc, s0, v1
	v_addc_co_u32_e32 v19, vcc, 0, v17, vcc
	flat_load_ushort v17, v[18:19] offset:1792
.LBB4036_33:
	s_or_b64 exec, exec, s[2:3]
	v_or_b32_e32 v18, 0x3c0, v0
	v_cmp_gt_u32_e32 vcc, s20, v18
	v_mov_b32_e32 v18, v2
	s_and_saveexec_b64 s[2:3], vcc
	s_cbranch_execz .LBB4036_35
; %bb.34:
	v_mov_b32_e32 v19, s1
	v_add_co_u32_e32 v18, vcc, s0, v1
	v_addc_co_u32_e32 v19, vcc, 0, v19, vcc
	flat_load_ushort v18, v[18:19] offset:1920
.LBB4036_35:
	s_or_b64 exec, exec, s[2:3]
	v_or_b32_e32 v19, 0x400, v0
	v_cmp_gt_u32_e32 vcc, s20, v19
	v_mov_b32_e32 v19, v2
	s_and_saveexec_b64 s[2:3], vcc
	s_cbranch_execz .LBB4036_37
; %bb.36:
	v_mov_b32_e32 v19, s1
	v_add_co_u32_e32 v20, vcc, s0, v1
	v_addc_co_u32_e32 v21, vcc, 0, v19, vcc
	flat_load_ushort v19, v[20:21] offset:2048
.LBB4036_37:
	s_or_b64 exec, exec, s[2:3]
	v_or_b32_e32 v20, 0x440, v0
	v_cmp_gt_u32_e32 vcc, s20, v20
	v_mov_b32_e32 v20, v2
	s_and_saveexec_b64 s[2:3], vcc
	s_cbranch_execz .LBB4036_39
; %bb.38:
	v_mov_b32_e32 v21, s1
	v_add_co_u32_e32 v20, vcc, s0, v1
	v_addc_co_u32_e32 v21, vcc, 0, v21, vcc
	flat_load_ushort v20, v[20:21] offset:2176
.LBB4036_39:
	s_or_b64 exec, exec, s[2:3]
	v_or_b32_e32 v21, 0x480, v0
	v_cmp_gt_u32_e32 vcc, s20, v21
	v_mov_b32_e32 v21, v2
	s_and_saveexec_b64 s[2:3], vcc
	s_cbranch_execz .LBB4036_41
; %bb.40:
	v_mov_b32_e32 v21, s1
	v_add_co_u32_e32 v22, vcc, s0, v1
	v_addc_co_u32_e32 v23, vcc, 0, v21, vcc
	flat_load_ushort v21, v[22:23] offset:2304
.LBB4036_41:
	s_or_b64 exec, exec, s[2:3]
	v_or_b32_e32 v22, 0x4c0, v0
	v_cmp_gt_u32_e32 vcc, s20, v22
	v_mov_b32_e32 v22, v2
	s_and_saveexec_b64 s[2:3], vcc
	s_cbranch_execz .LBB4036_43
; %bb.42:
	v_mov_b32_e32 v23, s1
	v_add_co_u32_e32 v22, vcc, s0, v1
	v_addc_co_u32_e32 v23, vcc, 0, v23, vcc
	flat_load_ushort v22, v[22:23] offset:2432
.LBB4036_43:
	s_or_b64 exec, exec, s[2:3]
	v_or_b32_e32 v23, 0x500, v0
	v_cmp_gt_u32_e32 vcc, s20, v23
	v_mov_b32_e32 v23, v2
	s_and_saveexec_b64 s[2:3], vcc
	s_cbranch_execz .LBB4036_45
; %bb.44:
	v_mov_b32_e32 v23, s1
	v_add_co_u32_e32 v24, vcc, s0, v1
	v_addc_co_u32_e32 v25, vcc, 0, v23, vcc
	flat_load_ushort v23, v[24:25] offset:2560
.LBB4036_45:
	s_or_b64 exec, exec, s[2:3]
	v_or_b32_e32 v24, 0x540, v0
	v_cmp_gt_u32_e32 vcc, s20, v24
	v_mov_b32_e32 v24, v2
	s_and_saveexec_b64 s[2:3], vcc
	s_cbranch_execz .LBB4036_47
; %bb.46:
	v_mov_b32_e32 v25, s1
	v_add_co_u32_e32 v24, vcc, s0, v1
	v_addc_co_u32_e32 v25, vcc, 0, v25, vcc
	flat_load_ushort v24, v[24:25] offset:2688
.LBB4036_47:
	s_or_b64 exec, exec, s[2:3]
	v_or_b32_e32 v25, 0x580, v0
	v_cmp_gt_u32_e32 vcc, s20, v25
	v_mov_b32_e32 v25, v2
	s_and_saveexec_b64 s[2:3], vcc
	s_cbranch_execz .LBB4036_49
; %bb.48:
	v_mov_b32_e32 v25, s1
	v_add_co_u32_e32 v26, vcc, s0, v1
	v_addc_co_u32_e32 v27, vcc, 0, v25, vcc
	flat_load_ushort v25, v[26:27] offset:2816
.LBB4036_49:
	s_or_b64 exec, exec, s[2:3]
	v_or_b32_e32 v26, 0x5c0, v0
	v_cmp_gt_u32_e32 vcc, s20, v26
	s_and_saveexec_b64 s[2:3], vcc
	s_cbranch_execz .LBB4036_51
; %bb.50:
	v_mov_b32_e32 v2, s1
	v_add_co_u32_e32 v26, vcc, s0, v1
	v_addc_co_u32_e32 v27, vcc, 0, v2, vcc
	flat_load_ushort v2, v[26:27] offset:2944
.LBB4036_51:
	s_or_b64 exec, exec, s[2:3]
	s_waitcnt vmcnt(0) lgkmcnt(0)
	ds_write_b16 v1, v3
	ds_write_b16 v1, v4 offset:128
	ds_write_b16 v1, v5 offset:256
	;; [unrolled: 1-line block ×23, first 2 shown]
	s_waitcnt lgkmcnt(0)
	; wave barrier
.LBB4036_52:
	v_mul_u32_u24_e32 v20, 24, v0
	v_lshlrev_b32_e32 v21, 1, v20
	s_waitcnt lgkmcnt(0)
	ds_read_b128 v[10:13], v21
	ds_read_b128 v[6:9], v21 offset:16
	ds_read_b128 v[2:5], v21 offset:32
	s_cmp_lg_u32 s6, 0
	v_mbcnt_lo_u32_b32 v32, -1, 0
	s_waitcnt lgkmcnt(2)
	v_lshrrev_b32_e32 v31, 16, v11
	v_lshrrev_b32_e32 v30, 16, v12
	;; [unrolled: 1-line block ×3, first 2 shown]
	s_waitcnt lgkmcnt(1)
	v_lshrrev_b32_e32 v28, 16, v6
	v_lshrrev_b32_e32 v27, 16, v7
	;; [unrolled: 1-line block ×4, first 2 shown]
	s_waitcnt lgkmcnt(0)
	v_lshrrev_b32_e32 v24, 16, v2
	v_lshrrev_b32_e32 v23, 16, v3
	;; [unrolled: 1-line block ×4, first 2 shown]
	v_cmp_eq_u32_e32 vcc, 63, v0
	s_waitcnt lgkmcnt(0)
	; wave barrier
	s_cbranch_scc0 .LBB4036_79
; %bb.53:
	v_max_i16_sdwa v14, v10, v10 dst_sel:DWORD dst_unused:UNUSED_PAD src0_sel:DWORD src1_sel:WORD_1
	v_max3_i16 v14, v14, v11, v31
	v_max3_i16 v14, v14, v12, v30
	;; [unrolled: 1-line block ×11, first 2 shown]
	v_mbcnt_hi_u32_b32 v15, -1, v32
	v_and_b32_e32 v17, 0xffff, v14
	v_and_b32_e32 v16, 15, v15
	v_cmp_eq_u32_e64 s[0:1], 0, v16
	v_mov_b32_dpp v17, v17 row_shr:1 row_mask:0xf bank_mask:0xf
	v_max_i16_e32 v17, v17, v14
	v_cndmask_b32_e64 v14, v17, v14, s[0:1]
	v_and_b32_e32 v17, 0xffff, v14
	v_cmp_lt_u32_e64 s[0:1], 1, v16
	s_nop 0
	v_mov_b32_dpp v17, v17 row_shr:2 row_mask:0xf bank_mask:0xf
	v_max_i16_e32 v17, v17, v14
	v_cndmask_b32_e64 v14, v14, v17, s[0:1]
	v_and_b32_e32 v17, 0xffff, v14
	v_cmp_lt_u32_e64 s[0:1], 3, v16
	s_nop 0
	;; [unrolled: 6-line block ×3, first 2 shown]
	v_mov_b32_dpp v17, v17 row_shr:8 row_mask:0xf bank_mask:0xf
	v_max_i16_e32 v17, v17, v14
	v_cndmask_b32_e64 v14, v14, v17, s[0:1]
	v_and_b32_e32 v16, 0xffff, v14
	v_and_b32_e32 v17, 16, v15
	v_cmp_eq_u32_e64 s[0:1], 0, v17
	v_mov_b32_dpp v16, v16 row_bcast:15 row_mask:0xf bank_mask:0xf
	v_max_i16_e32 v16, v16, v14
	v_cndmask_b32_e64 v14, v16, v14, s[0:1]
	v_and_b32_e32 v16, 0xffff, v14
	v_cmp_lt_u32_e64 s[0:1], 31, v15
	s_nop 0
	v_mov_b32_dpp v16, v16 row_bcast:31 row_mask:0xf bank_mask:0xf
	v_max_i16_e32 v16, v16, v14
	v_cndmask_b32_e64 v14, v14, v16, s[0:1]
	s_and_saveexec_b64 s[0:1], vcc
	s_cbranch_execz .LBB4036_55
; %bb.54:
	v_mov_b32_e32 v16, 0
	ds_write_b16 v16, v14
.LBB4036_55:
	s_or_b64 exec, exec, s[0:1]
	v_add_u32_e32 v16, -1, v15
	v_and_b32_e32 v17, 64, v15
	v_cmp_lt_i32_e32 vcc, v16, v17
	v_cndmask_b32_e32 v16, v16, v15, vcc
	v_and_b32_e32 v14, 0xffff, v14
	v_lshlrev_b32_e32 v16, 2, v16
	ds_bpermute_b32 v33, v16, v14
	v_cmp_gt_u32_e32 vcc, 64, v0
	s_waitcnt lgkmcnt(0)
	; wave barrier
	s_waitcnt lgkmcnt(0)
	s_and_saveexec_b64 s[18:19], vcc
	s_cbranch_execz .LBB4036_78
; %bb.56:
	v_mov_b32_e32 v19, 0
	ds_read_u16 v34, v19
	s_mov_b32 s9, 0
	v_cmp_eq_u32_e64 s[0:1], 0, v15
	s_and_saveexec_b64 s[2:3], s[0:1]
	s_cbranch_execz .LBB4036_58
; %bb.57:
	s_add_i32 s8, s6, 64
	s_lshl_b64 s[8:9], s[8:9], 2
	s_add_u32 s8, s16, s8
	s_waitcnt lgkmcnt(0)
	v_or_b32_e32 v14, 0x10000, v34
	s_addc_u32 s9, s17, s9
	global_store_dword v19, v14, s[8:9]
.LBB4036_58:
	s_or_b64 exec, exec, s[2:3]
	v_xad_u32 v14, v15, -1, s6
	v_add_u32_e32 v18, 64, v14
	v_lshlrev_b64 v[16:17], 2, v[18:19]
	v_mov_b32_e32 v18, s17
	v_add_co_u32_e32 v16, vcc, s16, v16
	v_addc_co_u32_e32 v17, vcc, v18, v17, vcc
	global_load_dword v18, v[16:17], off glc
	s_waitcnt vmcnt(0)
	v_lshrrev_b32_e32 v38, 16, v18
	v_cmp_eq_u16_sdwa s[8:9], v38, v19 src0_sel:BYTE_0 src1_sel:DWORD
	s_and_saveexec_b64 s[2:3], s[8:9]
	s_cbranch_execz .LBB4036_64
; %bb.59:
	s_mov_b32 s7, 1
	s_mov_b64 s[8:9], 0
	v_mov_b32_e32 v19, 0
.LBB4036_60:                            ; =>This Loop Header: Depth=1
                                        ;     Child Loop BB4036_61 Depth 2
	s_max_u32 s10, s7, 1
.LBB4036_61:                            ;   Parent Loop BB4036_60 Depth=1
                                        ; =>  This Inner Loop Header: Depth=2
	s_add_i32 s10, s10, -1
	s_cmp_eq_u32 s10, 0
	s_sleep 1
	s_cbranch_scc0 .LBB4036_61
; %bb.62:                               ;   in Loop: Header=BB4036_60 Depth=1
	global_load_dword v18, v[16:17], off glc
	s_cmp_lt_u32 s7, 32
	s_cselect_b64 s[10:11], -1, 0
	s_cmp_lg_u64 s[10:11], 0
	s_addc_u32 s7, s7, 0
	s_waitcnt vmcnt(0)
	v_lshrrev_b32_e32 v38, 16, v18
	v_cmp_ne_u16_sdwa s[10:11], v38, v19 src0_sel:BYTE_0 src1_sel:DWORD
	s_or_b64 s[8:9], s[10:11], s[8:9]
	s_andn2_b64 exec, exec, s[8:9]
	s_cbranch_execnz .LBB4036_60
; %bb.63:
	s_or_b64 exec, exec, s[8:9]
.LBB4036_64:
	s_or_b64 exec, exec, s[2:3]
	v_and_b32_e32 v36, 63, v15
	v_cmp_ne_u32_e32 vcc, 63, v36
	v_mov_b32_e32 v35, 2
	v_addc_co_u32_e32 v37, vcc, 0, v15, vcc
	v_cmp_eq_u16_sdwa s[2:3], v38, v35 src0_sel:BYTE_0 src1_sel:DWORD
	v_lshlrev_b64 v[16:17], v15, -1
	v_and_b32_e32 v40, 0xffff, v18
	v_lshlrev_b32_e32 v37, 2, v37
	v_and_b32_e32 v19, s3, v17
	ds_bpermute_b32 v41, v37, v40
	v_or_b32_e32 v19, 0x80000000, v19
	v_and_b32_e32 v39, s2, v16
	v_ffbl_b32_e32 v19, v19
	v_add_u32_e32 v19, 32, v19
	v_ffbl_b32_e32 v39, v39
	v_cmp_gt_u32_e64 s[2:3], 62, v36
	v_min_u32_e32 v19, v39, v19
	v_cndmask_b32_e64 v39, 0, 1, s[2:3]
	s_waitcnt lgkmcnt(0)
	v_max_i16_e32 v41, v41, v18
	v_cmp_lt_u32_e32 vcc, v36, v19
	v_lshlrev_b32_e32 v39, 1, v39
	v_cndmask_b32_e32 v42, v40, v41, vcc
	v_add_lshl_u32 v39, v39, v15, 2
	ds_bpermute_b32 v43, v39, v42
	v_cmp_gt_u32_e64 s[8:9], 60, v36
	v_cndmask_b32_e32 v44, v18, v41, vcc
	v_add_u32_e32 v40, 2, v36
	v_cndmask_b32_e64 v41, 0, 1, s[8:9]
	s_waitcnt lgkmcnt(0)
	v_max_i16_e32 v43, v43, v44
	v_cmp_gt_u32_e64 s[2:3], v40, v19
	v_lshlrev_b32_e32 v41, 2, v41
	v_cndmask_b32_e64 v45, v43, v42, s[2:3]
	v_add_lshl_u32 v41, v41, v15, 2
	ds_bpermute_b32 v46, v41, v45
	v_cmp_gt_u32_e64 s[8:9], 56, v36
	v_cndmask_b32_e64 v47, v43, v44, s[2:3]
	v_add_u32_e32 v42, 4, v36
	v_cndmask_b32_e64 v43, 0, 1, s[8:9]
	s_waitcnt lgkmcnt(0)
	v_max_i16_e32 v50, v46, v47
	v_cmp_gt_u32_e64 s[2:3], v42, v19
	v_lshlrev_b32_e32 v43, 3, v43
	v_cndmask_b32_e64 v45, v50, v45, s[2:3]
	v_add_lshl_u32 v43, v43, v15, 2
	ds_bpermute_b32 v46, v43, v45
	v_cndmask_b32_e64 v48, v50, v47, s[2:3]
	v_add_u32_e32 v44, 8, v36
	v_cmp_gt_u32_e64 s[8:9], v44, v19
	v_cmp_gt_u32_e64 s[10:11], 48, v36
	s_waitcnt lgkmcnt(0)
	v_max_i16_e32 v51, v46, v48
	v_cndmask_b32_e64 v49, v51, v45, s[8:9]
	v_cndmask_b32_e64 v45, 0, 1, s[10:11]
	v_lshlrev_b32_e32 v45, 4, v45
	v_add_lshl_u32 v45, v45, v15, 2
	ds_bpermute_b32 v52, v45, v49
	v_cmp_gt_u32_e64 s[12:13], 32, v36
	v_cndmask_b32_e64 v53, v51, v48, s[8:9]
	v_add_u32_e32 v46, 16, v36
	v_cndmask_b32_e64 v48, 0, 1, s[12:13]
	s_waitcnt lgkmcnt(0)
	v_max_i16_e32 v52, v52, v53
	v_cmp_gt_u32_e64 s[10:11], v46, v19
	v_lshlrev_b32_e32 v48, 5, v48
	v_cndmask_b32_e64 v49, v52, v49, s[10:11]
	v_add_lshl_u32 v48, v48, v15, 2
	ds_bpermute_b32 v15, v48, v49
	v_cndmask_b32_e32 v18, v18, v47, vcc
	v_cndmask_b32_e64 v18, v50, v18, s[2:3]
	v_add_u32_e32 v49, 32, v36
	v_cndmask_b32_e64 v53, v52, v53, s[10:11]
	v_cndmask_b32_e64 v18, v51, v18, s[8:9]
	s_waitcnt lgkmcnt(0)
	v_max_i16_e32 v15, v15, v53
	v_cndmask_b32_e64 v18, v52, v18, s[10:11]
	v_cmp_gt_u32_e32 vcc, v49, v19
	v_cndmask_b32_e32 v18, v15, v18, vcc
	v_mov_b32_e32 v15, 0
	s_branch .LBB4036_66
.LBB4036_65:                            ;   in Loop: Header=BB4036_66 Depth=1
	s_or_b64 exec, exec, s[2:3]
	v_cmp_eq_u16_sdwa s[2:3], v38, v35 src0_sel:BYTE_0 src1_sel:DWORD
	v_and_b32_e32 v51, 0xffff, v50
	v_and_b32_e32 v18, s3, v17
	ds_bpermute_b32 v52, v37, v51
	v_or_b32_e32 v18, 0x80000000, v18
	v_and_b32_e32 v19, s2, v16
	v_ffbl_b32_e32 v18, v18
	v_add_u32_e32 v18, 32, v18
	v_ffbl_b32_e32 v19, v19
	v_min_u32_e32 v18, v19, v18
	s_waitcnt lgkmcnt(0)
	v_max_i16_e32 v19, v52, v50
	v_cmp_lt_u32_e32 vcc, v36, v18
	v_cndmask_b32_e32 v51, v51, v19, vcc
	ds_bpermute_b32 v52, v39, v51
	v_cndmask_b32_e32 v19, v50, v19, vcc
	v_cmp_gt_u32_e64 s[2:3], v40, v18
	v_cmp_gt_u32_e64 s[8:9], v44, v18
	v_subrev_u32_e32 v14, 64, v14
	s_waitcnt lgkmcnt(0)
	v_max_i16_e32 v52, v52, v19
	v_cndmask_b32_e64 v51, v52, v51, s[2:3]
	ds_bpermute_b32 v53, v41, v51
	v_cndmask_b32_e64 v19, v52, v19, s[2:3]
	v_cmp_gt_u32_e64 s[2:3], v42, v18
	s_waitcnt lgkmcnt(0)
	v_max_i16_e32 v52, v53, v19
	v_cndmask_b32_e64 v51, v52, v51, s[2:3]
	ds_bpermute_b32 v53, v43, v51
	v_cndmask_b32_e64 v54, v52, v19, s[2:3]
	v_cndmask_b32_e32 v19, v50, v19, vcc
	v_cmp_gt_u32_e32 vcc, v46, v18
	v_cndmask_b32_e64 v19, v52, v19, s[2:3]
	s_waitcnt lgkmcnt(0)
	v_max_i16_e32 v53, v53, v54
	v_cndmask_b32_e64 v51, v53, v51, s[8:9]
	ds_bpermute_b32 v55, v45, v51
	v_cndmask_b32_e64 v50, v53, v54, s[8:9]
	v_cndmask_b32_e64 v19, v53, v19, s[8:9]
	s_waitcnt lgkmcnt(0)
	v_max_i16_e32 v54, v55, v50
	v_cndmask_b32_e32 v51, v54, v51, vcc
	ds_bpermute_b32 v51, v48, v51
	v_cndmask_b32_e32 v50, v54, v50, vcc
	v_cndmask_b32_e32 v19, v54, v19, vcc
	v_cmp_gt_u32_e32 vcc, v49, v18
	s_waitcnt lgkmcnt(0)
	v_max_i16_e32 v50, v51, v50
	v_cndmask_b32_e32 v18, v50, v19, vcc
	v_max_i16_e32 v18, v18, v47
.LBB4036_66:                            ; =>This Loop Header: Depth=1
                                        ;     Child Loop BB4036_69 Depth 2
                                        ;       Child Loop BB4036_70 Depth 3
	v_cmp_ne_u16_sdwa s[2:3], v38, v35 src0_sel:BYTE_0 src1_sel:DWORD
	v_cndmask_b32_e64 v19, 0, 1, s[2:3]
	;;#ASMSTART
	;;#ASMEND
	v_cmp_ne_u32_e32 vcc, 0, v19
	s_cmp_lg_u64 vcc, exec
	v_mov_b32_e32 v47, v18
	s_cbranch_scc1 .LBB4036_73
; %bb.67:                               ;   in Loop: Header=BB4036_66 Depth=1
	v_lshlrev_b64 v[18:19], 2, v[14:15]
	v_mov_b32_e32 v38, s17
	v_add_co_u32_e32 v18, vcc, s16, v18
	v_addc_co_u32_e32 v19, vcc, v38, v19, vcc
	global_load_dword v50, v[18:19], off glc
	s_waitcnt vmcnt(0)
	v_lshrrev_b32_e32 v38, 16, v50
	v_cmp_eq_u16_sdwa s[8:9], v38, v15 src0_sel:BYTE_0 src1_sel:DWORD
	s_and_saveexec_b64 s[2:3], s[8:9]
	s_cbranch_execz .LBB4036_65
; %bb.68:                               ;   in Loop: Header=BB4036_66 Depth=1
	s_mov_b32 s7, 1
	s_mov_b64 s[8:9], 0
.LBB4036_69:                            ;   Parent Loop BB4036_66 Depth=1
                                        ; =>  This Loop Header: Depth=2
                                        ;       Child Loop BB4036_70 Depth 3
	s_max_u32 s10, s7, 1
.LBB4036_70:                            ;   Parent Loop BB4036_66 Depth=1
                                        ;     Parent Loop BB4036_69 Depth=2
                                        ; =>    This Inner Loop Header: Depth=3
	s_add_i32 s10, s10, -1
	s_cmp_eq_u32 s10, 0
	s_sleep 1
	s_cbranch_scc0 .LBB4036_70
; %bb.71:                               ;   in Loop: Header=BB4036_69 Depth=2
	global_load_dword v50, v[18:19], off glc
	s_cmp_lt_u32 s7, 32
	s_cselect_b64 s[10:11], -1, 0
	s_cmp_lg_u64 s[10:11], 0
	s_addc_u32 s7, s7, 0
	s_waitcnt vmcnt(0)
	v_lshrrev_b32_e32 v38, 16, v50
	v_cmp_ne_u16_sdwa s[10:11], v38, v15 src0_sel:BYTE_0 src1_sel:DWORD
	s_or_b64 s[8:9], s[10:11], s[8:9]
	s_andn2_b64 exec, exec, s[8:9]
	s_cbranch_execnz .LBB4036_69
; %bb.72:                               ;   in Loop: Header=BB4036_66 Depth=1
	s_or_b64 exec, exec, s[8:9]
	s_branch .LBB4036_65
.LBB4036_73:                            ;   in Loop: Header=BB4036_66 Depth=1
                                        ; implicit-def: $vgpr18
                                        ; implicit-def: $vgpr38
	s_cbranch_execz .LBB4036_66
; %bb.74:
	s_and_saveexec_b64 s[2:3], s[0:1]
	s_cbranch_execz .LBB4036_76
; %bb.75:
	s_add_i32 s0, s6, 64
	s_mov_b32 s1, 0
	s_lshl_b64 s[0:1], s[0:1], 2
	v_max_i16_e32 v14, v47, v34
	s_add_u32 s0, s16, s0
	v_or_b32_e32 v14, 0x20000, v14
	s_addc_u32 s1, s17, s1
	v_mov_b32_e32 v15, 0
	global_store_dword v15, v14, s[0:1]
.LBB4036_76:
	s_or_b64 exec, exec, s[2:3]
	v_cmp_eq_u32_e32 vcc, 0, v0
	s_and_b64 exec, exec, vcc
	s_cbranch_execz .LBB4036_78
; %bb.77:
	v_mov_b32_e32 v14, 0
	ds_write_b16 v14, v47
.LBB4036_78:
	s_or_b64 exec, exec, s[18:19]
	v_mov_b32_e32 v14, 0
	s_waitcnt lgkmcnt(0)
	; wave barrier
	s_waitcnt lgkmcnt(0)
	ds_read_u16 v14, v14
	v_max_i16_e32 v15, v33, v10
	v_cmp_eq_u32_e32 vcc, 0, v0
	v_cndmask_b32_e32 v15, v15, v10, vcc
	s_waitcnt lgkmcnt(0)
	v_max_i16_e32 v14, v14, v15
	v_max_i16_sdwa v15, v14, v10 dst_sel:DWORD dst_unused:UNUSED_PAD src0_sel:DWORD src1_sel:WORD_1
	v_max_i16_e32 v16, v15, v11
	v_max_i16_e32 v17, v16, v31
	;; [unrolled: 1-line block ×22, first 2 shown]
	s_load_dwordx8 s[4:11], s[4:5], 0x40
	s_branch .LBB4036_89
.LBB4036_79:
                                        ; implicit-def: $vgpr14
                                        ; implicit-def: $vgpr15
                                        ; implicit-def: $vgpr16
                                        ; implicit-def: $vgpr17
                                        ; implicit-def: $vgpr18
                                        ; implicit-def: $vgpr19
                                        ; implicit-def: $vgpr34
                                        ; implicit-def: $vgpr36
                                        ; implicit-def: $vgpr33
                                        ; implicit-def: $vgpr35
                                        ; implicit-def: $vgpr37
                                        ; implicit-def: $vgpr38
                                        ; implicit-def: $vgpr39
                                        ; implicit-def: $vgpr40
                                        ; implicit-def: $vgpr42
                                        ; implicit-def: $vgpr44
                                        ; implicit-def: $vgpr41
                                        ; implicit-def: $vgpr43
                                        ; implicit-def: $vgpr45
                                        ; implicit-def: $vgpr46
                                        ; implicit-def: $vgpr47
                                        ; implicit-def: $vgpr48
                                        ; implicit-def: $vgpr49
                                        ; implicit-def: $vgpr50
	s_load_dwordx8 s[4:11], s[4:5], 0x40
	s_cbranch_execz .LBB4036_89
; %bb.80:
	s_waitcnt lgkmcnt(0)
	s_cmp_lg_u64 s[8:9], 0
	s_cselect_b64 s[2:3], -1, 0
	v_cmp_eq_u32_e64 s[0:1], 0, v0
	v_cmp_ne_u32_e32 vcc, 0, v0
	s_and_b64 s[2:3], s[0:1], s[2:3]
	v_mov_b32_e32 v14, v10
	s_and_saveexec_b64 s[0:1], s[2:3]
	s_cbranch_execz .LBB4036_82
; %bb.81:
	v_mov_b32_e32 v14, 0
	global_load_ushort v14, v14, s[4:5]
	s_waitcnt vmcnt(0)
	v_max_i16_e32 v14, v14, v10
.LBB4036_82:
	s_or_b64 exec, exec, s[0:1]
	v_max_i16_sdwa v15, v14, v10 dst_sel:DWORD dst_unused:UNUSED_PAD src0_sel:DWORD src1_sel:WORD_1
	v_max_i16_e32 v16, v15, v11
	v_max_i16_e32 v17, v16, v31
	;; [unrolled: 1-line block ×22, first 2 shown]
	v_mbcnt_hi_u32_b32 v32, -1, v32
	v_and_b32_e32 v51, 15, v32
	v_mov_b32_dpp v52, v50 row_shr:1 row_mask:0xf bank_mask:0xf
	v_max_i16_e32 v52, v52, v50
	v_cmp_eq_u32_e64 s[0:1], 0, v51
	v_cndmask_b32_e64 v52, v52, v50, s[0:1]
	v_and_b32_e32 v53, 0xffff, v52
	v_cmp_lt_u32_e64 s[0:1], 1, v51
	s_nop 0
	v_mov_b32_dpp v53, v53 row_shr:2 row_mask:0xf bank_mask:0xf
	v_max_i16_e32 v53, v53, v52
	v_cndmask_b32_e64 v52, v52, v53, s[0:1]
	v_and_b32_e32 v53, 0xffff, v52
	v_cmp_lt_u32_e64 s[0:1], 3, v51
	s_nop 0
	v_mov_b32_dpp v53, v53 row_shr:4 row_mask:0xf bank_mask:0xf
	v_max_i16_e32 v53, v53, v52
	;; [unrolled: 6-line block ×3, first 2 shown]
	v_cndmask_b32_e64 v51, v52, v53, s[0:1]
	v_and_b32_e32 v52, 0xffff, v51
	v_and_b32_e32 v53, 16, v32
	v_cmp_eq_u32_e64 s[0:1], 0, v53
	v_mov_b32_dpp v52, v52 row_bcast:15 row_mask:0xf bank_mask:0xf
	v_max_i16_e32 v52, v52, v51
	v_cndmask_b32_e64 v51, v52, v51, s[0:1]
	v_and_b32_e32 v52, 0xffff, v51
	v_cmp_lt_u32_e64 s[0:1], 31, v32
	s_nop 0
	v_mov_b32_dpp v52, v52 row_bcast:31 row_mask:0xf bank_mask:0xf
	v_max_i16_e32 v52, v52, v51
	v_cndmask_b32_e64 v51, v51, v52, s[0:1]
	v_cmp_eq_u32_e64 s[0:1], 63, v0
	s_and_saveexec_b64 s[2:3], s[0:1]
	s_cbranch_execz .LBB4036_84
; %bb.83:
	v_mov_b32_e32 v52, 0
	ds_write_b16 v52, v51
.LBB4036_84:
	s_or_b64 exec, exec, s[2:3]
	v_add_u32_e32 v52, -1, v32
	v_and_b32_e32 v53, 64, v32
	v_cmp_lt_i32_e64 s[2:3], v52, v53
	v_cndmask_b32_e64 v32, v52, v32, s[2:3]
	v_and_b32_e32 v51, 0xffff, v51
	v_lshlrev_b32_e32 v32, 2, v32
	ds_bpermute_b32 v32, v32, v51
	s_waitcnt lgkmcnt(0)
	; wave barrier
	s_waitcnt lgkmcnt(0)
	s_and_saveexec_b64 s[2:3], vcc
	s_cbranch_execz .LBB4036_86
; %bb.85:
	v_max_i16_e32 v14, v32, v14
	v_max_i16_sdwa v15, v14, v10 dst_sel:DWORD dst_unused:UNUSED_PAD src0_sel:DWORD src1_sel:WORD_1
	v_max_i16_e32 v16, v15, v11
	v_max_i16_e32 v17, v16, v31
	;; [unrolled: 1-line block ×22, first 2 shown]
	;;#ASMSTART
	;;#ASMEND
.LBB4036_86:
	s_or_b64 exec, exec, s[2:3]
	s_and_saveexec_b64 s[2:3], s[0:1]
	s_cbranch_execz .LBB4036_88
; %bb.87:
	s_mov_b32 s0, 0x20000
	v_mov_b32_e32 v1, 0
	v_or_b32_sdwa v2, v50, s0 dst_sel:DWORD dst_unused:UNUSED_PAD src0_sel:WORD_0 src1_sel:DWORD
	global_store_dword v1, v2, s[16:17] offset:256
.LBB4036_88:
	s_or_b64 exec, exec, s[2:3]
.LBB4036_89:
	s_mov_b32 s0, 0x5040100
	v_perm_b32 v5, v36, v34, s0
	v_perm_b32 v4, v19, v18, s0
	;; [unrolled: 1-line block ×4, first 2 shown]
	s_waitcnt lgkmcnt(0)
	; wave barrier
	s_waitcnt lgkmcnt(0)
	ds_write_b128 v21, v[2:5]
	v_perm_b32 v5, v44, v42, s0
	v_perm_b32 v4, v40, v39, s0
	;; [unrolled: 1-line block ×4, first 2 shown]
	ds_write_b128 v21, v[2:5] offset:16
	v_perm_b32 v5, v50, v49, s0
	v_perm_b32 v4, v48, v47, s0
	;; [unrolled: 1-line block ×4, first 2 shown]
	s_mov_b64 s[0:1], -1
	s_and_b64 vcc, exec, s[14:15]
	ds_write_b128 v21, v[2:5] offset:32
	s_waitcnt lgkmcnt(0)
	s_cbranch_vccz .LBB4036_91
; %bb.90:
	; wave barrier
	s_mov_b64 s[0:1], 0
.LBB4036_91:
	s_andn2_b64 vcc, exec, s[0:1]
	s_cbranch_vccnz .LBB4036_100
; %bb.92:
	v_cmp_lt_u64_e64 s[0:1], s[10:11], 2
	s_and_b64 vcc, exec, s[0:1]
	; wave barrier
	s_cbranch_vccnz .LBB4036_100
; %bb.93:
	s_add_u32 s0, s20, -1
	s_addc_u32 s1, s21, -1
	s_add_u32 s2, 0, 0xaaaa0000
	s_addc_u32 s3, 0, 42
	s_add_i32 s3, s3, 0xaaaaa80
	s_mul_hi_u32 s9, s2, 0xffffffe8
	s_sub_i32 s9, s9, s2
	s_mul_i32 s10, s3, 0xffffffe8
	s_mul_i32 s4, s2, 0xffffffe8
	s_add_i32 s9, s9, s10
	s_mul_hi_u32 s5, s3, s4
	s_mul_i32 s8, s3, s4
	s_mul_i32 s11, s2, s9
	s_mul_hi_u32 s4, s2, s4
	s_mul_hi_u32 s10, s2, s9
	s_add_u32 s4, s4, s11
	s_addc_u32 s10, 0, s10
	s_add_u32 s4, s4, s8
	s_mul_hi_u32 s11, s3, s9
	s_addc_u32 s4, s10, s5
	s_addc_u32 s5, s11, 0
	s_mul_i32 s8, s3, s9
	s_add_u32 s4, s4, s8
	v_mov_b32_e32 v2, s4
	s_addc_u32 s5, 0, s5
	v_add_co_u32_e32 v2, vcc, s2, v2
	s_cmp_lg_u64 vcc, 0
	s_addc_u32 s2, s3, s5
	v_readfirstlane_b32 s5, v2
	s_mul_i32 s4, s0, s2
	s_mul_hi_u32 s8, s0, s5
	s_mul_hi_u32 s3, s0, s2
	s_add_u32 s4, s8, s4
	s_addc_u32 s3, 0, s3
	s_mul_hi_u32 s9, s1, s5
	s_mul_i32 s5, s1, s5
	s_add_u32 s4, s4, s5
	s_mul_hi_u32 s8, s1, s2
	s_addc_u32 s3, s3, s9
	s_addc_u32 s4, s8, 0
	s_mul_i32 s2, s1, s2
	s_add_u32 s2, s3, s2
	s_addc_u32 s3, 0, s4
	s_add_u32 s4, s2, 1
	s_addc_u32 s5, s3, 0
	s_add_u32 s8, s2, 2
	s_mul_i32 s10, s3, 24
	s_mul_hi_u32 s11, s2, 24
	s_addc_u32 s9, s3, 0
	s_add_i32 s11, s11, s10
	s_mul_i32 s10, s2, 24
	v_mov_b32_e32 v2, s10
	v_sub_co_u32_e32 v2, vcc, s0, v2
	s_cmp_lg_u64 vcc, 0
	s_subb_u32 s10, s1, s11
	v_subrev_co_u32_e32 v3, vcc, 24, v2
	s_cmp_lg_u64 vcc, 0
	s_subb_u32 s11, s10, 0
	v_readfirstlane_b32 s12, v3
	s_cmp_gt_u32 s12, 23
	s_cselect_b32 s12, -1, 0
	s_cmp_eq_u32 s11, 0
	s_cselect_b32 s11, s12, -1
	s_cmp_lg_u32 s11, 0
	s_cselect_b32 s4, s8, s4
	v_readfirstlane_b32 s8, v2
	s_cselect_b32 s5, s9, s5
	s_cmp_gt_u32 s8, 23
	s_cselect_b32 s8, -1, 0
	s_cmp_eq_u32 s10, 0
	s_cselect_b32 s8, s8, -1
	s_cmp_lg_u32 s8, 0
	v_mov_b32_e32 v1, 0
	s_cselect_b32 s3, s5, s3
	s_cselect_b32 s2, s4, s2
	v_cmp_eq_u64_e32 vcc, s[2:3], v[0:1]
	s_and_saveexec_b64 s[2:3], vcc
	s_cbranch_execz .LBB4036_100
; %bb.94:
	s_movk_i32 s2, 0xffd2
	v_mad_i32_i24 v2, v0, s2, v21
	v_mul_hi_u32_u24_e32 v1, 24, v0
	v_mov_b32_e32 v3, s1
	v_sub_co_u32_e32 v0, vcc, s0, v20
	v_subb_co_u32_e32 v1, vcc, v3, v1, vcc
	v_cmp_lt_i64_e32 vcc, 11, v[0:1]
	s_mov_b64 s[0:1], 0
	s_mov_b64 s[10:11], 0
	;; [unrolled: 1-line block ×4, first 2 shown]
                                        ; implicit-def: $vgpr3
                                        ; implicit-def: $vgpr4
                                        ; implicit-def: $vgpr5
	s_and_saveexec_b64 s[2:3], vcc
	s_xor_b64 s[2:3], exec, s[2:3]
	s_cbranch_execnz .LBB4036_101
; %bb.95:
	s_andn2_saveexec_b64 s[2:3], s[2:3]
	s_cbranch_execnz .LBB4036_146
.LBB4036_96:
	s_or_b64 exec, exec, s[2:3]
	s_and_saveexec_b64 s[2:3], s[10:11]
	s_cbranch_execnz .LBB4036_163
.LBB4036_97:
	s_or_b64 exec, exec, s[2:3]
	s_and_saveexec_b64 s[2:3], s[8:9]
	s_cbranch_execnz .LBB4036_164
.LBB4036_98:
	s_or_b64 exec, exec, s[2:3]
	s_and_saveexec_b64 s[2:3], s[4:5]
	s_xor_b64 s[2:3], exec, s[2:3]
	s_cbranch_execnz .LBB4036_165
.LBB4036_99:
	s_or_b64 exec, exec, s[2:3]
	s_and_b64 exec, exec, s[0:1]
	s_cbranch_execnz .LBB4036_166
.LBB4036_100:
	s_endpgm
.LBB4036_101:
	v_cmp_lt_i64_e32 vcc, 17, v[0:1]
                                        ; implicit-def: $vgpr3
                                        ; implicit-def: $vgpr4
                                        ; implicit-def: $vgpr5
	s_and_saveexec_b64 s[12:13], vcc
	s_xor_b64 s[12:13], exec, s[12:13]
	s_cbranch_execz .LBB4036_123
; %bb.102:
	v_cmp_lt_i64_e32 vcc, 20, v[0:1]
                                        ; implicit-def: $vgpr3
                                        ; implicit-def: $vgpr4
	s_and_saveexec_b64 s[14:15], vcc
	s_xor_b64 s[14:15], exec, s[14:15]
	s_cbranch_execz .LBB4036_112
; %bb.103:
	v_cmp_lt_i64_e32 vcc, 21, v[0:1]
	s_mov_b64 s[16:17], 0
                                        ; implicit-def: $vgpr3
	s_and_saveexec_b64 s[4:5], vcc
	s_xor_b64 s[4:5], exec, s[4:5]
	s_cbranch_execz .LBB4036_109
; %bb.104:
	v_cmp_lt_i64_e32 vcc, 22, v[0:1]
	s_and_saveexec_b64 s[16:17], vcc
	s_xor_b64 s[16:17], exec, s[16:17]
	s_cbranch_execz .LBB4036_106
; %bb.105:
	ds_read_u16 v3, v2 offset:2944
	v_mov_b32_e32 v4, 0
	s_waitcnt lgkmcnt(0)
	global_store_short v4, v3, s[6:7]
.LBB4036_106:
	s_or_saveexec_b64 s[16:17], s[16:17]
	s_mov_b64 s[18:19], 0
                                        ; implicit-def: $vgpr3
	s_xor_b64 exec, exec, s[16:17]
	s_cbranch_execz .LBB4036_108
; %bb.107:
	ds_read_u16 v3, v2 offset:2816
	s_mov_b64 s[18:19], exec
.LBB4036_108:
	s_or_b64 exec, exec, s[16:17]
	s_and_b64 s[16:17], s[18:19], exec
.LBB4036_109:
	s_or_saveexec_b64 s[4:5], s[4:5]
                                        ; implicit-def: $vgpr4
	s_xor_b64 exec, exec, s[4:5]
	s_cbranch_execz .LBB4036_111
; %bb.110:
	ds_read_u16 v4, v2 offset:2688
	s_mov_b64 s[8:9], exec
                                        ; implicit-def: $vgpr3
.LBB4036_111:
	s_or_b64 exec, exec, s[4:5]
	s_and_b64 s[4:5], s[16:17], exec
	s_and_b64 s[8:9], s[8:9], exec
.LBB4036_112:
	s_or_saveexec_b64 s[14:15], s[14:15]
                                        ; implicit-def: $vgpr5
	s_xor_b64 exec, exec, s[14:15]
	s_cbranch_execz .LBB4036_122
; %bb.113:
	v_cmp_lt_i64_e32 vcc, 18, v[0:1]
	s_mov_b64 s[16:17], 0
                                        ; implicit-def: $vgpr5
	s_and_saveexec_b64 s[10:11], vcc
	s_xor_b64 s[10:11], exec, s[10:11]
	s_cbranch_execz .LBB4036_119
; %bb.114:
	v_cmp_lt_i64_e32 vcc, 19, v[0:1]
                                        ; implicit-def: $vgpr5
	s_and_saveexec_b64 s[18:19], vcc
	s_xor_b64 s[18:19], exec, s[18:19]
	s_cbranch_execz .LBB4036_116
; %bb.115:
	ds_read_u16 v5, v2 offset:2560
	s_mov_b64 s[16:17], exec
.LBB4036_116:
	s_andn2_saveexec_b64 s[18:19], s[18:19]
	s_cbranch_execz .LBB4036_118
; %bb.117:
	s_waitcnt lgkmcnt(0)
	ds_read_u16 v3, v2 offset:2432
	v_mov_b32_e32 v4, 0
                                        ; implicit-def: $vgpr5
	s_waitcnt lgkmcnt(0)
	global_store_short v4, v3, s[6:7]
.LBB4036_118:
	s_or_b64 exec, exec, s[18:19]
	s_and_b64 s[16:17], s[16:17], exec
.LBB4036_119:
	s_andn2_saveexec_b64 s[10:11], s[10:11]
	s_cbranch_execz .LBB4036_121
; %bb.120:
	s_waitcnt lgkmcnt(0)
	ds_read_u16 v3, v2 offset:2304
	v_mov_b32_e32 v4, 0
                                        ; implicit-def: $vgpr5
	s_waitcnt lgkmcnt(0)
	global_store_short v4, v3, s[6:7]
.LBB4036_121:
	s_or_b64 exec, exec, s[10:11]
	s_and_b64 s[10:11], s[16:17], exec
                                        ; implicit-def: $vgpr3
                                        ; implicit-def: $vgpr4
.LBB4036_122:
	s_or_b64 exec, exec, s[14:15]
	s_and_b64 s[4:5], s[4:5], exec
	s_and_b64 s[8:9], s[8:9], exec
	;; [unrolled: 1-line block ×3, first 2 shown]
.LBB4036_123:
	s_andn2_saveexec_b64 s[12:13], s[12:13]
	s_cbranch_execz .LBB4036_145
; %bb.124:
	v_cmp_lt_i64_e32 vcc, 14, v[0:1]
	s_mov_b64 s[14:15], s[4:5]
                                        ; implicit-def: $vgpr3
	s_and_saveexec_b64 s[16:17], vcc
	s_xor_b64 s[16:17], exec, s[16:17]
	s_cbranch_execz .LBB4036_134
; %bb.125:
	v_cmp_lt_i64_e32 vcc, 15, v[0:1]
	s_and_saveexec_b64 s[14:15], vcc
	s_xor_b64 s[14:15], exec, s[14:15]
	s_cbranch_execz .LBB4036_131
; %bb.126:
	v_cmp_lt_i64_e32 vcc, 16, v[0:1]
	s_and_saveexec_b64 s[18:19], vcc
	s_xor_b64 s[18:19], exec, s[18:19]
	s_cbranch_execz .LBB4036_128
; %bb.127:
	s_waitcnt lgkmcnt(0)
	ds_read_u16 v3, v2 offset:2176
	v_mov_b32_e32 v4, 0
	s_waitcnt lgkmcnt(0)
	global_store_short v4, v3, s[6:7]
.LBB4036_128:
	s_andn2_saveexec_b64 s[18:19], s[18:19]
	s_cbranch_execz .LBB4036_130
; %bb.129:
	s_waitcnt lgkmcnt(0)
	ds_read_u16 v3, v2 offset:2048
	v_mov_b32_e32 v4, 0
	s_waitcnt lgkmcnt(0)
	global_store_short v4, v3, s[6:7]
.LBB4036_130:
	s_or_b64 exec, exec, s[18:19]
.LBB4036_131:
	s_or_saveexec_b64 s[14:15], s[14:15]
	s_mov_b64 s[18:19], s[4:5]
                                        ; implicit-def: $vgpr3
	s_xor_b64 exec, exec, s[14:15]
	s_cbranch_execz .LBB4036_133
; %bb.132:
	s_waitcnt lgkmcnt(0)
	ds_read_u16 v3, v2 offset:1920
	s_or_b64 s[18:19], s[4:5], exec
.LBB4036_133:
	s_or_b64 exec, exec, s[14:15]
	s_andn2_b64 s[14:15], s[4:5], exec
	s_and_b64 s[18:19], s[18:19], exec
	s_or_b64 s[14:15], s[14:15], s[18:19]
.LBB4036_134:
	s_or_saveexec_b64 s[16:17], s[16:17]
	s_mov_b64 s[18:19], s[8:9]
                                        ; implicit-def: $vgpr4
	s_xor_b64 exec, exec, s[16:17]
	s_cbranch_execz .LBB4036_144
; %bb.135:
	v_cmp_lt_i64_e32 vcc, 12, v[0:1]
	s_mov_b64 s[20:21], s[8:9]
	s_mov_b64 s[22:23], s[14:15]
                                        ; implicit-def: $vgpr3
                                        ; implicit-def: $vgpr4
	s_and_saveexec_b64 s[18:19], vcc
	s_xor_b64 s[18:19], exec, s[18:19]
	s_cbranch_execz .LBB4036_141
; %bb.136:
	v_cmp_lt_i64_e32 vcc, 13, v[0:1]
	s_mov_b64 s[20:21], s[14:15]
                                        ; implicit-def: $vgpr3
	s_and_saveexec_b64 s[22:23], vcc
	s_xor_b64 s[22:23], exec, s[22:23]
	s_cbranch_execz .LBB4036_138
; %bb.137:
	s_waitcnt lgkmcnt(0)
	ds_read_u16 v3, v2 offset:1792
	s_or_b64 s[20:21], s[14:15], exec
.LBB4036_138:
	s_or_saveexec_b64 s[22:23], s[22:23]
	s_mov_b64 s[24:25], s[8:9]
                                        ; implicit-def: $vgpr4
	s_xor_b64 exec, exec, s[22:23]
	s_cbranch_execz .LBB4036_140
; %bb.139:
	s_waitcnt lgkmcnt(0)
	ds_read_u16 v4, v2 offset:1664
	s_or_b64 s[24:25], s[8:9], exec
                                        ; implicit-def: $vgpr3
.LBB4036_140:
	s_or_b64 exec, exec, s[22:23]
	s_andn2_b64 s[22:23], s[14:15], exec
	s_and_b64 s[20:21], s[20:21], exec
	s_or_b64 s[22:23], s[22:23], s[20:21]
	s_andn2_b64 s[20:21], s[8:9], exec
	s_and_b64 s[24:25], s[24:25], exec
	s_or_b64 s[20:21], s[20:21], s[24:25]
.LBB4036_141:
	s_andn2_saveexec_b64 s[18:19], s[18:19]
	s_cbranch_execz .LBB4036_143
; %bb.142:
	s_waitcnt lgkmcnt(0)
	ds_read_u16 v4, v2 offset:1536
	s_or_b64 s[20:21], s[20:21], exec
                                        ; implicit-def: $vgpr3
.LBB4036_143:
	s_or_b64 exec, exec, s[18:19]
	s_andn2_b64 s[14:15], s[14:15], exec
	s_and_b64 s[18:19], s[22:23], exec
	s_or_b64 s[14:15], s[14:15], s[18:19]
	s_andn2_b64 s[18:19], s[8:9], exec
	s_and_b64 s[20:21], s[20:21], exec
	s_or_b64 s[18:19], s[18:19], s[20:21]
.LBB4036_144:
	s_or_b64 exec, exec, s[16:17]
	s_andn2_b64 s[4:5], s[4:5], exec
	s_and_b64 s[14:15], s[14:15], exec
	s_or_b64 s[4:5], s[4:5], s[14:15]
	s_andn2_b64 s[8:9], s[8:9], exec
	s_and_b64 s[14:15], s[18:19], exec
	s_or_b64 s[8:9], s[8:9], s[14:15]
                                        ; implicit-def: $vgpr5
.LBB4036_145:
	s_or_b64 exec, exec, s[12:13]
	s_and_b64 s[4:5], s[4:5], exec
	s_and_b64 s[8:9], s[8:9], exec
	;; [unrolled: 1-line block ×3, first 2 shown]
	s_andn2_saveexec_b64 s[2:3], s[2:3]
	s_cbranch_execz .LBB4036_96
.LBB4036_146:
	v_cmp_lt_i64_e32 vcc, 5, v[0:1]
	s_mov_b64 s[14:15], -1
	s_mov_b64 s[12:13], s[10:11]
	s_mov_b64 s[16:17], s[8:9]
	;; [unrolled: 1-line block ×3, first 2 shown]
                                        ; implicit-def: $vgpr3
                                        ; implicit-def: $vgpr4
                                        ; implicit-def: $vgpr5
	s_and_saveexec_b64 s[0:1], vcc
	s_cbranch_execz .LBB4036_162
; %bb.147:
	v_cmp_lt_i64_e32 vcc, 8, v[0:1]
	s_mov_b64 s[12:13], s[10:11]
                                        ; implicit-def: $vgpr5
	s_and_saveexec_b64 s[14:15], vcc
	s_xor_b64 s[14:15], exec, s[14:15]
	s_cbranch_execz .LBB4036_157
; %bb.148:
	v_cmp_lt_i64_e32 vcc, 9, v[0:1]
                                        ; implicit-def: $vgpr5
	s_and_saveexec_b64 s[12:13], vcc
	s_xor_b64 s[12:13], exec, s[12:13]
	s_cbranch_execz .LBB4036_154
; %bb.149:
	v_cmp_lt_i64_e32 vcc, 10, v[0:1]
                                        ; implicit-def: $vgpr5
	s_and_saveexec_b64 s[16:17], vcc
	s_xor_b64 s[16:17], exec, s[16:17]
	s_cbranch_execz .LBB4036_151
; %bb.150:
	s_waitcnt lgkmcnt(0)
	ds_read_u16 v5, v2 offset:1408
.LBB4036_151:
	s_andn2_saveexec_b64 s[16:17], s[16:17]
	s_cbranch_execz .LBB4036_153
; %bb.152:
	s_waitcnt lgkmcnt(0)
	ds_read_u16 v5, v2 offset:1280
.LBB4036_153:
	s_or_b64 exec, exec, s[16:17]
.LBB4036_154:
	s_andn2_saveexec_b64 s[12:13], s[12:13]
	s_cbranch_execz .LBB4036_156
; %bb.155:
	s_waitcnt lgkmcnt(0)
	ds_read_u16 v5, v2 offset:1152
.LBB4036_156:
	s_or_b64 exec, exec, s[12:13]
	s_or_b64 s[12:13], s[10:11], exec
.LBB4036_157:
	s_or_saveexec_b64 s[14:15], s[14:15]
	s_mov_b64 s[16:17], s[8:9]
	s_mov_b64 s[20:21], s[4:5]
                                        ; implicit-def: $vgpr3
                                        ; implicit-def: $vgpr4
	s_xor_b64 exec, exec, s[14:15]
	s_cbranch_execz .LBB4036_161
; %bb.158:
	s_waitcnt lgkmcnt(0)
	ds_read_u16 v3, v2 offset:768
	v_cmp_lt_i64_e32 vcc, 6, v[0:1]
	s_mov_b64 s[20:21], -1
	s_mov_b64 s[18:19], s[12:13]
	s_mov_b64 s[16:17], s[8:9]
                                        ; implicit-def: $vgpr4
                                        ; implicit-def: $vgpr5
	s_and_saveexec_b64 s[22:23], vcc
	s_cbranch_execz .LBB4036_160
; %bb.159:
	ds_read_u16 v4, v2 offset:896
	ds_read_u16 v5, v2 offset:1024
	v_cmp_lt_i64_e32 vcc, 7, v[0:1]
	s_andn2_b64 s[18:19], s[12:13], exec
	s_and_b64 s[24:25], vcc, exec
	s_xor_b64 s[20:21], exec, -1
	s_or_b64 s[16:17], s[8:9], exec
	s_or_b64 s[18:19], s[18:19], s[24:25]
                                        ; implicit-def: $vgpr3
.LBB4036_160:
	s_or_b64 exec, exec, s[22:23]
	s_andn2_b64 s[22:23], s[4:5], exec
	s_and_b64 s[20:21], s[20:21], exec
	s_or_b64 s[20:21], s[22:23], s[20:21]
	s_andn2_b64 s[22:23], s[8:9], exec
	s_and_b64 s[16:17], s[16:17], exec
	s_andn2_b64 s[12:13], s[12:13], exec
	s_and_b64 s[18:19], s[18:19], exec
	s_or_b64 s[16:17], s[22:23], s[16:17]
	s_or_b64 s[12:13], s[12:13], s[18:19]
.LBB4036_161:
	s_or_b64 exec, exec, s[14:15]
	s_andn2_b64 s[18:19], s[4:5], exec
	s_and_b64 s[20:21], s[20:21], exec
	s_or_b64 s[18:19], s[18:19], s[20:21]
	s_andn2_b64 s[20:21], s[8:9], exec
	s_and_b64 s[16:17], s[16:17], exec
	s_or_b64 s[16:17], s[20:21], s[16:17]
	s_andn2_b64 s[20:21], s[10:11], exec
	s_and_b64 s[12:13], s[12:13], exec
	s_xor_b64 s[14:15], exec, -1
	s_or_b64 s[12:13], s[20:21], s[12:13]
.LBB4036_162:
	s_or_b64 exec, exec, s[0:1]
	s_and_b64 s[0:1], s[14:15], exec
	s_andn2_b64 s[4:5], s[4:5], exec
	s_and_b64 s[14:15], s[18:19], exec
	s_or_b64 s[4:5], s[4:5], s[14:15]
	s_andn2_b64 s[8:9], s[8:9], exec
	s_and_b64 s[14:15], s[16:17], exec
	s_andn2_b64 s[10:11], s[10:11], exec
	s_and_b64 s[12:13], s[12:13], exec
	s_or_b64 s[8:9], s[8:9], s[14:15]
	s_or_b64 s[10:11], s[10:11], s[12:13]
	s_or_b64 exec, exec, s[2:3]
	s_and_saveexec_b64 s[2:3], s[10:11]
	s_cbranch_execz .LBB4036_97
.LBB4036_163:
	s_waitcnt lgkmcnt(0)
	v_mov_b32_e32 v3, 0
	s_andn2_b64 s[8:9], s[8:9], exec
	global_store_short v3, v5, s[6:7]
                                        ; implicit-def: $vgpr3
                                        ; implicit-def: $vgpr4
	s_or_b64 exec, exec, s[2:3]
	s_and_saveexec_b64 s[2:3], s[8:9]
	s_cbranch_execz .LBB4036_98
.LBB4036_164:
	s_waitcnt lgkmcnt(0)
	v_mov_b32_e32 v3, 0
	global_store_short v3, v4, s[6:7]
                                        ; implicit-def: $vgpr3
	s_or_b64 exec, exec, s[2:3]
	s_and_saveexec_b64 s[2:3], s[4:5]
	s_xor_b64 s[2:3], exec, s[2:3]
	s_cbranch_execz .LBB4036_99
.LBB4036_165:
	s_waitcnt lgkmcnt(0)
	v_mov_b32_e32 v4, 0
	global_store_short v4, v3, s[6:7]
	s_or_b64 exec, exec, s[2:3]
	s_and_b64 exec, exec, s[0:1]
	s_cbranch_execz .LBB4036_100
.LBB4036_166:
	v_cmp_lt_i64_e32 vcc, 2, v[0:1]
	s_and_saveexec_b64 s[0:1], vcc
	s_xor_b64 s[0:1], exec, s[0:1]
	s_cbranch_execz .LBB4036_176
; %bb.167:
	v_cmp_lt_i64_e32 vcc, 3, v[0:1]
	s_and_saveexec_b64 s[2:3], vcc
	s_xor_b64 s[2:3], exec, s[2:3]
	s_cbranch_execz .LBB4036_173
; %bb.168:
	;; [unrolled: 5-line block ×3, first 2 shown]
	ds_read_u16 v0, v2 offset:640
	v_mov_b32_e32 v1, 0
                                        ; implicit-def: $vgpr2
	s_waitcnt lgkmcnt(0)
	global_store_short v1, v0, s[6:7]
.LBB4036_170:
	s_andn2_saveexec_b64 s[4:5], s[4:5]
	s_cbranch_execz .LBB4036_172
; %bb.171:
	ds_read_u16 v0, v2 offset:512
	v_mov_b32_e32 v1, 0
	s_waitcnt lgkmcnt(0)
	global_store_short v1, v0, s[6:7]
.LBB4036_172:
	s_or_b64 exec, exec, s[4:5]
                                        ; implicit-def: $vgpr2
.LBB4036_173:
	s_andn2_saveexec_b64 s[2:3], s[2:3]
	s_cbranch_execz .LBB4036_175
; %bb.174:
	ds_read_u16 v0, v2 offset:384
	v_mov_b32_e32 v1, 0
	s_waitcnt lgkmcnt(0)
	global_store_short v1, v0, s[6:7]
.LBB4036_175:
	s_or_b64 exec, exec, s[2:3]
                                        ; implicit-def: $vgpr0_vgpr1
                                        ; implicit-def: $vgpr2
.LBB4036_176:
	s_andn2_saveexec_b64 s[0:1], s[0:1]
	s_cbranch_execz .LBB4036_100
; %bb.177:
	v_cmp_lt_i64_e32 vcc, 1, v[0:1]
	s_and_saveexec_b64 s[0:1], vcc
	s_xor_b64 s[0:1], exec, s[0:1]
	s_cbranch_execz .LBB4036_179
; %bb.178:
	ds_read_u16 v0, v2 offset:256
	v_mov_b32_e32 v1, 0
                                        ; implicit-def: $vgpr2
	s_waitcnt lgkmcnt(0)
	global_store_short v1, v0, s[6:7]
                                        ; implicit-def: $vgpr0_vgpr1
.LBB4036_179:
	s_andn2_saveexec_b64 s[0:1], s[0:1]
	s_cbranch_execz .LBB4036_100
; %bb.180:
	v_cmp_ne_u64_e32 vcc, 1, v[0:1]
	s_and_saveexec_b64 s[0:1], vcc
	s_xor_b64 s[0:1], exec, s[0:1]
	s_cbranch_execz .LBB4036_182
; %bb.181:
	ds_read_u16 v0, v2
	v_mov_b32_e32 v1, 0
                                        ; implicit-def: $vgpr2
	s_waitcnt lgkmcnt(0)
	global_store_short v1, v0, s[6:7]
.LBB4036_182:
	s_andn2_saveexec_b64 s[0:1], s[0:1]
	s_cbranch_execz .LBB4036_100
; %bb.183:
	ds_read_u16 v0, v2 offset:128
	v_mov_b32_e32 v1, 0
	s_waitcnt lgkmcnt(0)
	global_store_short v1, v0, s[6:7]
	s_endpgm
	.section	.rodata,"a",@progbits
	.p2align	6, 0x0
	.amdhsa_kernel _ZN7rocprim17ROCPRIM_400000_NS6detail17trampoline_kernelINS0_14default_configENS1_20scan_config_selectorIsEEZZNS1_9scan_implILNS1_25lookback_scan_determinismE0ELb0ELb0ES3_N6thrust23THRUST_200600_302600_NS6detail15normal_iteratorINS9_10device_ptrIsEEEENS9_16discard_iteratorINS9_11use_defaultEEEs11max_functorIsEsEEDaPvRmT3_T4_T5_mT6_P12ihipStream_tbENKUlT_T0_E_clISt17integral_constantIbLb1EESW_IbLb0EEEEDaSS_ST_EUlSS_E_NS1_11comp_targetILNS1_3genE4ELNS1_11target_archE910ELNS1_3gpuE8ELNS1_3repE0EEENS1_30default_config_static_selectorELNS0_4arch9wavefront6targetE1EEEvT1_
		.amdhsa_group_segment_fixed_size 3072
		.amdhsa_private_segment_fixed_size 0
		.amdhsa_kernarg_size 104
		.amdhsa_user_sgpr_count 6
		.amdhsa_user_sgpr_private_segment_buffer 1
		.amdhsa_user_sgpr_dispatch_ptr 0
		.amdhsa_user_sgpr_queue_ptr 0
		.amdhsa_user_sgpr_kernarg_segment_ptr 1
		.amdhsa_user_sgpr_dispatch_id 0
		.amdhsa_user_sgpr_flat_scratch_init 0
		.amdhsa_user_sgpr_kernarg_preload_length 0
		.amdhsa_user_sgpr_kernarg_preload_offset 0
		.amdhsa_user_sgpr_private_segment_size 0
		.amdhsa_uses_dynamic_stack 0
		.amdhsa_system_sgpr_private_segment_wavefront_offset 0
		.amdhsa_system_sgpr_workgroup_id_x 1
		.amdhsa_system_sgpr_workgroup_id_y 0
		.amdhsa_system_sgpr_workgroup_id_z 0
		.amdhsa_system_sgpr_workgroup_info 0
		.amdhsa_system_vgpr_workitem_id 0
		.amdhsa_next_free_vgpr 56
		.amdhsa_next_free_sgpr 26
		.amdhsa_accum_offset 56
		.amdhsa_reserve_vcc 1
		.amdhsa_reserve_flat_scratch 0
		.amdhsa_float_round_mode_32 0
		.amdhsa_float_round_mode_16_64 0
		.amdhsa_float_denorm_mode_32 3
		.amdhsa_float_denorm_mode_16_64 3
		.amdhsa_dx10_clamp 1
		.amdhsa_ieee_mode 1
		.amdhsa_fp16_overflow 0
		.amdhsa_tg_split 0
		.amdhsa_exception_fp_ieee_invalid_op 0
		.amdhsa_exception_fp_denorm_src 0
		.amdhsa_exception_fp_ieee_div_zero 0
		.amdhsa_exception_fp_ieee_overflow 0
		.amdhsa_exception_fp_ieee_underflow 0
		.amdhsa_exception_fp_ieee_inexact 0
		.amdhsa_exception_int_div_zero 0
	.end_amdhsa_kernel
	.section	.text._ZN7rocprim17ROCPRIM_400000_NS6detail17trampoline_kernelINS0_14default_configENS1_20scan_config_selectorIsEEZZNS1_9scan_implILNS1_25lookback_scan_determinismE0ELb0ELb0ES3_N6thrust23THRUST_200600_302600_NS6detail15normal_iteratorINS9_10device_ptrIsEEEENS9_16discard_iteratorINS9_11use_defaultEEEs11max_functorIsEsEEDaPvRmT3_T4_T5_mT6_P12ihipStream_tbENKUlT_T0_E_clISt17integral_constantIbLb1EESW_IbLb0EEEEDaSS_ST_EUlSS_E_NS1_11comp_targetILNS1_3genE4ELNS1_11target_archE910ELNS1_3gpuE8ELNS1_3repE0EEENS1_30default_config_static_selectorELNS0_4arch9wavefront6targetE1EEEvT1_,"axG",@progbits,_ZN7rocprim17ROCPRIM_400000_NS6detail17trampoline_kernelINS0_14default_configENS1_20scan_config_selectorIsEEZZNS1_9scan_implILNS1_25lookback_scan_determinismE0ELb0ELb0ES3_N6thrust23THRUST_200600_302600_NS6detail15normal_iteratorINS9_10device_ptrIsEEEENS9_16discard_iteratorINS9_11use_defaultEEEs11max_functorIsEsEEDaPvRmT3_T4_T5_mT6_P12ihipStream_tbENKUlT_T0_E_clISt17integral_constantIbLb1EESW_IbLb0EEEEDaSS_ST_EUlSS_E_NS1_11comp_targetILNS1_3genE4ELNS1_11target_archE910ELNS1_3gpuE8ELNS1_3repE0EEENS1_30default_config_static_selectorELNS0_4arch9wavefront6targetE1EEEvT1_,comdat
.Lfunc_end4036:
	.size	_ZN7rocprim17ROCPRIM_400000_NS6detail17trampoline_kernelINS0_14default_configENS1_20scan_config_selectorIsEEZZNS1_9scan_implILNS1_25lookback_scan_determinismE0ELb0ELb0ES3_N6thrust23THRUST_200600_302600_NS6detail15normal_iteratorINS9_10device_ptrIsEEEENS9_16discard_iteratorINS9_11use_defaultEEEs11max_functorIsEsEEDaPvRmT3_T4_T5_mT6_P12ihipStream_tbENKUlT_T0_E_clISt17integral_constantIbLb1EESW_IbLb0EEEEDaSS_ST_EUlSS_E_NS1_11comp_targetILNS1_3genE4ELNS1_11target_archE910ELNS1_3gpuE8ELNS1_3repE0EEENS1_30default_config_static_selectorELNS0_4arch9wavefront6targetE1EEEvT1_, .Lfunc_end4036-_ZN7rocprim17ROCPRIM_400000_NS6detail17trampoline_kernelINS0_14default_configENS1_20scan_config_selectorIsEEZZNS1_9scan_implILNS1_25lookback_scan_determinismE0ELb0ELb0ES3_N6thrust23THRUST_200600_302600_NS6detail15normal_iteratorINS9_10device_ptrIsEEEENS9_16discard_iteratorINS9_11use_defaultEEEs11max_functorIsEsEEDaPvRmT3_T4_T5_mT6_P12ihipStream_tbENKUlT_T0_E_clISt17integral_constantIbLb1EESW_IbLb0EEEEDaSS_ST_EUlSS_E_NS1_11comp_targetILNS1_3genE4ELNS1_11target_archE910ELNS1_3gpuE8ELNS1_3repE0EEENS1_30default_config_static_selectorELNS0_4arch9wavefront6targetE1EEEvT1_
                                        ; -- End function
	.section	.AMDGPU.csdata,"",@progbits
; Kernel info:
; codeLenInByte = 6608
; NumSgprs: 30
; NumVgprs: 56
; NumAgprs: 0
; TotalNumVgprs: 56
; ScratchSize: 0
; MemoryBound: 0
; FloatMode: 240
; IeeeMode: 1
; LDSByteSize: 3072 bytes/workgroup (compile time only)
; SGPRBlocks: 3
; VGPRBlocks: 6
; NumSGPRsForWavesPerEU: 30
; NumVGPRsForWavesPerEU: 56
; AccumOffset: 56
; Occupancy: 6
; WaveLimiterHint : 1
; COMPUTE_PGM_RSRC2:SCRATCH_EN: 0
; COMPUTE_PGM_RSRC2:USER_SGPR: 6
; COMPUTE_PGM_RSRC2:TRAP_HANDLER: 0
; COMPUTE_PGM_RSRC2:TGID_X_EN: 1
; COMPUTE_PGM_RSRC2:TGID_Y_EN: 0
; COMPUTE_PGM_RSRC2:TGID_Z_EN: 0
; COMPUTE_PGM_RSRC2:TIDIG_COMP_CNT: 0
; COMPUTE_PGM_RSRC3_GFX90A:ACCUM_OFFSET: 13
; COMPUTE_PGM_RSRC3_GFX90A:TG_SPLIT: 0
	.section	.text._ZN7rocprim17ROCPRIM_400000_NS6detail17trampoline_kernelINS0_14default_configENS1_20scan_config_selectorIsEEZZNS1_9scan_implILNS1_25lookback_scan_determinismE0ELb0ELb0ES3_N6thrust23THRUST_200600_302600_NS6detail15normal_iteratorINS9_10device_ptrIsEEEENS9_16discard_iteratorINS9_11use_defaultEEEs11max_functorIsEsEEDaPvRmT3_T4_T5_mT6_P12ihipStream_tbENKUlT_T0_E_clISt17integral_constantIbLb1EESW_IbLb0EEEEDaSS_ST_EUlSS_E_NS1_11comp_targetILNS1_3genE3ELNS1_11target_archE908ELNS1_3gpuE7ELNS1_3repE0EEENS1_30default_config_static_selectorELNS0_4arch9wavefront6targetE1EEEvT1_,"axG",@progbits,_ZN7rocprim17ROCPRIM_400000_NS6detail17trampoline_kernelINS0_14default_configENS1_20scan_config_selectorIsEEZZNS1_9scan_implILNS1_25lookback_scan_determinismE0ELb0ELb0ES3_N6thrust23THRUST_200600_302600_NS6detail15normal_iteratorINS9_10device_ptrIsEEEENS9_16discard_iteratorINS9_11use_defaultEEEs11max_functorIsEsEEDaPvRmT3_T4_T5_mT6_P12ihipStream_tbENKUlT_T0_E_clISt17integral_constantIbLb1EESW_IbLb0EEEEDaSS_ST_EUlSS_E_NS1_11comp_targetILNS1_3genE3ELNS1_11target_archE908ELNS1_3gpuE7ELNS1_3repE0EEENS1_30default_config_static_selectorELNS0_4arch9wavefront6targetE1EEEvT1_,comdat
	.protected	_ZN7rocprim17ROCPRIM_400000_NS6detail17trampoline_kernelINS0_14default_configENS1_20scan_config_selectorIsEEZZNS1_9scan_implILNS1_25lookback_scan_determinismE0ELb0ELb0ES3_N6thrust23THRUST_200600_302600_NS6detail15normal_iteratorINS9_10device_ptrIsEEEENS9_16discard_iteratorINS9_11use_defaultEEEs11max_functorIsEsEEDaPvRmT3_T4_T5_mT6_P12ihipStream_tbENKUlT_T0_E_clISt17integral_constantIbLb1EESW_IbLb0EEEEDaSS_ST_EUlSS_E_NS1_11comp_targetILNS1_3genE3ELNS1_11target_archE908ELNS1_3gpuE7ELNS1_3repE0EEENS1_30default_config_static_selectorELNS0_4arch9wavefront6targetE1EEEvT1_ ; -- Begin function _ZN7rocprim17ROCPRIM_400000_NS6detail17trampoline_kernelINS0_14default_configENS1_20scan_config_selectorIsEEZZNS1_9scan_implILNS1_25lookback_scan_determinismE0ELb0ELb0ES3_N6thrust23THRUST_200600_302600_NS6detail15normal_iteratorINS9_10device_ptrIsEEEENS9_16discard_iteratorINS9_11use_defaultEEEs11max_functorIsEsEEDaPvRmT3_T4_T5_mT6_P12ihipStream_tbENKUlT_T0_E_clISt17integral_constantIbLb1EESW_IbLb0EEEEDaSS_ST_EUlSS_E_NS1_11comp_targetILNS1_3genE3ELNS1_11target_archE908ELNS1_3gpuE7ELNS1_3repE0EEENS1_30default_config_static_selectorELNS0_4arch9wavefront6targetE1EEEvT1_
	.globl	_ZN7rocprim17ROCPRIM_400000_NS6detail17trampoline_kernelINS0_14default_configENS1_20scan_config_selectorIsEEZZNS1_9scan_implILNS1_25lookback_scan_determinismE0ELb0ELb0ES3_N6thrust23THRUST_200600_302600_NS6detail15normal_iteratorINS9_10device_ptrIsEEEENS9_16discard_iteratorINS9_11use_defaultEEEs11max_functorIsEsEEDaPvRmT3_T4_T5_mT6_P12ihipStream_tbENKUlT_T0_E_clISt17integral_constantIbLb1EESW_IbLb0EEEEDaSS_ST_EUlSS_E_NS1_11comp_targetILNS1_3genE3ELNS1_11target_archE908ELNS1_3gpuE7ELNS1_3repE0EEENS1_30default_config_static_selectorELNS0_4arch9wavefront6targetE1EEEvT1_
	.p2align	8
	.type	_ZN7rocprim17ROCPRIM_400000_NS6detail17trampoline_kernelINS0_14default_configENS1_20scan_config_selectorIsEEZZNS1_9scan_implILNS1_25lookback_scan_determinismE0ELb0ELb0ES3_N6thrust23THRUST_200600_302600_NS6detail15normal_iteratorINS9_10device_ptrIsEEEENS9_16discard_iteratorINS9_11use_defaultEEEs11max_functorIsEsEEDaPvRmT3_T4_T5_mT6_P12ihipStream_tbENKUlT_T0_E_clISt17integral_constantIbLb1EESW_IbLb0EEEEDaSS_ST_EUlSS_E_NS1_11comp_targetILNS1_3genE3ELNS1_11target_archE908ELNS1_3gpuE7ELNS1_3repE0EEENS1_30default_config_static_selectorELNS0_4arch9wavefront6targetE1EEEvT1_,@function
_ZN7rocprim17ROCPRIM_400000_NS6detail17trampoline_kernelINS0_14default_configENS1_20scan_config_selectorIsEEZZNS1_9scan_implILNS1_25lookback_scan_determinismE0ELb0ELb0ES3_N6thrust23THRUST_200600_302600_NS6detail15normal_iteratorINS9_10device_ptrIsEEEENS9_16discard_iteratorINS9_11use_defaultEEEs11max_functorIsEsEEDaPvRmT3_T4_T5_mT6_P12ihipStream_tbENKUlT_T0_E_clISt17integral_constantIbLb1EESW_IbLb0EEEEDaSS_ST_EUlSS_E_NS1_11comp_targetILNS1_3genE3ELNS1_11target_archE908ELNS1_3gpuE7ELNS1_3repE0EEENS1_30default_config_static_selectorELNS0_4arch9wavefront6targetE1EEEvT1_: ; @_ZN7rocprim17ROCPRIM_400000_NS6detail17trampoline_kernelINS0_14default_configENS1_20scan_config_selectorIsEEZZNS1_9scan_implILNS1_25lookback_scan_determinismE0ELb0ELb0ES3_N6thrust23THRUST_200600_302600_NS6detail15normal_iteratorINS9_10device_ptrIsEEEENS9_16discard_iteratorINS9_11use_defaultEEEs11max_functorIsEsEEDaPvRmT3_T4_T5_mT6_P12ihipStream_tbENKUlT_T0_E_clISt17integral_constantIbLb1EESW_IbLb0EEEEDaSS_ST_EUlSS_E_NS1_11comp_targetILNS1_3genE3ELNS1_11target_archE908ELNS1_3gpuE7ELNS1_3repE0EEENS1_30default_config_static_selectorELNS0_4arch9wavefront6targetE1EEEvT1_
; %bb.0:
	.section	.rodata,"a",@progbits
	.p2align	6, 0x0
	.amdhsa_kernel _ZN7rocprim17ROCPRIM_400000_NS6detail17trampoline_kernelINS0_14default_configENS1_20scan_config_selectorIsEEZZNS1_9scan_implILNS1_25lookback_scan_determinismE0ELb0ELb0ES3_N6thrust23THRUST_200600_302600_NS6detail15normal_iteratorINS9_10device_ptrIsEEEENS9_16discard_iteratorINS9_11use_defaultEEEs11max_functorIsEsEEDaPvRmT3_T4_T5_mT6_P12ihipStream_tbENKUlT_T0_E_clISt17integral_constantIbLb1EESW_IbLb0EEEEDaSS_ST_EUlSS_E_NS1_11comp_targetILNS1_3genE3ELNS1_11target_archE908ELNS1_3gpuE7ELNS1_3repE0EEENS1_30default_config_static_selectorELNS0_4arch9wavefront6targetE1EEEvT1_
		.amdhsa_group_segment_fixed_size 0
		.amdhsa_private_segment_fixed_size 0
		.amdhsa_kernarg_size 104
		.amdhsa_user_sgpr_count 6
		.amdhsa_user_sgpr_private_segment_buffer 1
		.amdhsa_user_sgpr_dispatch_ptr 0
		.amdhsa_user_sgpr_queue_ptr 0
		.amdhsa_user_sgpr_kernarg_segment_ptr 1
		.amdhsa_user_sgpr_dispatch_id 0
		.amdhsa_user_sgpr_flat_scratch_init 0
		.amdhsa_user_sgpr_kernarg_preload_length 0
		.amdhsa_user_sgpr_kernarg_preload_offset 0
		.amdhsa_user_sgpr_private_segment_size 0
		.amdhsa_uses_dynamic_stack 0
		.amdhsa_system_sgpr_private_segment_wavefront_offset 0
		.amdhsa_system_sgpr_workgroup_id_x 1
		.amdhsa_system_sgpr_workgroup_id_y 0
		.amdhsa_system_sgpr_workgroup_id_z 0
		.amdhsa_system_sgpr_workgroup_info 0
		.amdhsa_system_vgpr_workitem_id 0
		.amdhsa_next_free_vgpr 1
		.amdhsa_next_free_sgpr 0
		.amdhsa_accum_offset 4
		.amdhsa_reserve_vcc 0
		.amdhsa_reserve_flat_scratch 0
		.amdhsa_float_round_mode_32 0
		.amdhsa_float_round_mode_16_64 0
		.amdhsa_float_denorm_mode_32 3
		.amdhsa_float_denorm_mode_16_64 3
		.amdhsa_dx10_clamp 1
		.amdhsa_ieee_mode 1
		.amdhsa_fp16_overflow 0
		.amdhsa_tg_split 0
		.amdhsa_exception_fp_ieee_invalid_op 0
		.amdhsa_exception_fp_denorm_src 0
		.amdhsa_exception_fp_ieee_div_zero 0
		.amdhsa_exception_fp_ieee_overflow 0
		.amdhsa_exception_fp_ieee_underflow 0
		.amdhsa_exception_fp_ieee_inexact 0
		.amdhsa_exception_int_div_zero 0
	.end_amdhsa_kernel
	.section	.text._ZN7rocprim17ROCPRIM_400000_NS6detail17trampoline_kernelINS0_14default_configENS1_20scan_config_selectorIsEEZZNS1_9scan_implILNS1_25lookback_scan_determinismE0ELb0ELb0ES3_N6thrust23THRUST_200600_302600_NS6detail15normal_iteratorINS9_10device_ptrIsEEEENS9_16discard_iteratorINS9_11use_defaultEEEs11max_functorIsEsEEDaPvRmT3_T4_T5_mT6_P12ihipStream_tbENKUlT_T0_E_clISt17integral_constantIbLb1EESW_IbLb0EEEEDaSS_ST_EUlSS_E_NS1_11comp_targetILNS1_3genE3ELNS1_11target_archE908ELNS1_3gpuE7ELNS1_3repE0EEENS1_30default_config_static_selectorELNS0_4arch9wavefront6targetE1EEEvT1_,"axG",@progbits,_ZN7rocprim17ROCPRIM_400000_NS6detail17trampoline_kernelINS0_14default_configENS1_20scan_config_selectorIsEEZZNS1_9scan_implILNS1_25lookback_scan_determinismE0ELb0ELb0ES3_N6thrust23THRUST_200600_302600_NS6detail15normal_iteratorINS9_10device_ptrIsEEEENS9_16discard_iteratorINS9_11use_defaultEEEs11max_functorIsEsEEDaPvRmT3_T4_T5_mT6_P12ihipStream_tbENKUlT_T0_E_clISt17integral_constantIbLb1EESW_IbLb0EEEEDaSS_ST_EUlSS_E_NS1_11comp_targetILNS1_3genE3ELNS1_11target_archE908ELNS1_3gpuE7ELNS1_3repE0EEENS1_30default_config_static_selectorELNS0_4arch9wavefront6targetE1EEEvT1_,comdat
.Lfunc_end4037:
	.size	_ZN7rocprim17ROCPRIM_400000_NS6detail17trampoline_kernelINS0_14default_configENS1_20scan_config_selectorIsEEZZNS1_9scan_implILNS1_25lookback_scan_determinismE0ELb0ELb0ES3_N6thrust23THRUST_200600_302600_NS6detail15normal_iteratorINS9_10device_ptrIsEEEENS9_16discard_iteratorINS9_11use_defaultEEEs11max_functorIsEsEEDaPvRmT3_T4_T5_mT6_P12ihipStream_tbENKUlT_T0_E_clISt17integral_constantIbLb1EESW_IbLb0EEEEDaSS_ST_EUlSS_E_NS1_11comp_targetILNS1_3genE3ELNS1_11target_archE908ELNS1_3gpuE7ELNS1_3repE0EEENS1_30default_config_static_selectorELNS0_4arch9wavefront6targetE1EEEvT1_, .Lfunc_end4037-_ZN7rocprim17ROCPRIM_400000_NS6detail17trampoline_kernelINS0_14default_configENS1_20scan_config_selectorIsEEZZNS1_9scan_implILNS1_25lookback_scan_determinismE0ELb0ELb0ES3_N6thrust23THRUST_200600_302600_NS6detail15normal_iteratorINS9_10device_ptrIsEEEENS9_16discard_iteratorINS9_11use_defaultEEEs11max_functorIsEsEEDaPvRmT3_T4_T5_mT6_P12ihipStream_tbENKUlT_T0_E_clISt17integral_constantIbLb1EESW_IbLb0EEEEDaSS_ST_EUlSS_E_NS1_11comp_targetILNS1_3genE3ELNS1_11target_archE908ELNS1_3gpuE7ELNS1_3repE0EEENS1_30default_config_static_selectorELNS0_4arch9wavefront6targetE1EEEvT1_
                                        ; -- End function
	.section	.AMDGPU.csdata,"",@progbits
; Kernel info:
; codeLenInByte = 0
; NumSgprs: 4
; NumVgprs: 0
; NumAgprs: 0
; TotalNumVgprs: 0
; ScratchSize: 0
; MemoryBound: 0
; FloatMode: 240
; IeeeMode: 1
; LDSByteSize: 0 bytes/workgroup (compile time only)
; SGPRBlocks: 0
; VGPRBlocks: 0
; NumSGPRsForWavesPerEU: 4
; NumVGPRsForWavesPerEU: 1
; AccumOffset: 4
; Occupancy: 8
; WaveLimiterHint : 0
; COMPUTE_PGM_RSRC2:SCRATCH_EN: 0
; COMPUTE_PGM_RSRC2:USER_SGPR: 6
; COMPUTE_PGM_RSRC2:TRAP_HANDLER: 0
; COMPUTE_PGM_RSRC2:TGID_X_EN: 1
; COMPUTE_PGM_RSRC2:TGID_Y_EN: 0
; COMPUTE_PGM_RSRC2:TGID_Z_EN: 0
; COMPUTE_PGM_RSRC2:TIDIG_COMP_CNT: 0
; COMPUTE_PGM_RSRC3_GFX90A:ACCUM_OFFSET: 0
; COMPUTE_PGM_RSRC3_GFX90A:TG_SPLIT: 0
	.section	.text._ZN7rocprim17ROCPRIM_400000_NS6detail17trampoline_kernelINS0_14default_configENS1_20scan_config_selectorIsEEZZNS1_9scan_implILNS1_25lookback_scan_determinismE0ELb0ELb0ES3_N6thrust23THRUST_200600_302600_NS6detail15normal_iteratorINS9_10device_ptrIsEEEENS9_16discard_iteratorINS9_11use_defaultEEEs11max_functorIsEsEEDaPvRmT3_T4_T5_mT6_P12ihipStream_tbENKUlT_T0_E_clISt17integral_constantIbLb1EESW_IbLb0EEEEDaSS_ST_EUlSS_E_NS1_11comp_targetILNS1_3genE2ELNS1_11target_archE906ELNS1_3gpuE6ELNS1_3repE0EEENS1_30default_config_static_selectorELNS0_4arch9wavefront6targetE1EEEvT1_,"axG",@progbits,_ZN7rocprim17ROCPRIM_400000_NS6detail17trampoline_kernelINS0_14default_configENS1_20scan_config_selectorIsEEZZNS1_9scan_implILNS1_25lookback_scan_determinismE0ELb0ELb0ES3_N6thrust23THRUST_200600_302600_NS6detail15normal_iteratorINS9_10device_ptrIsEEEENS9_16discard_iteratorINS9_11use_defaultEEEs11max_functorIsEsEEDaPvRmT3_T4_T5_mT6_P12ihipStream_tbENKUlT_T0_E_clISt17integral_constantIbLb1EESW_IbLb0EEEEDaSS_ST_EUlSS_E_NS1_11comp_targetILNS1_3genE2ELNS1_11target_archE906ELNS1_3gpuE6ELNS1_3repE0EEENS1_30default_config_static_selectorELNS0_4arch9wavefront6targetE1EEEvT1_,comdat
	.protected	_ZN7rocprim17ROCPRIM_400000_NS6detail17trampoline_kernelINS0_14default_configENS1_20scan_config_selectorIsEEZZNS1_9scan_implILNS1_25lookback_scan_determinismE0ELb0ELb0ES3_N6thrust23THRUST_200600_302600_NS6detail15normal_iteratorINS9_10device_ptrIsEEEENS9_16discard_iteratorINS9_11use_defaultEEEs11max_functorIsEsEEDaPvRmT3_T4_T5_mT6_P12ihipStream_tbENKUlT_T0_E_clISt17integral_constantIbLb1EESW_IbLb0EEEEDaSS_ST_EUlSS_E_NS1_11comp_targetILNS1_3genE2ELNS1_11target_archE906ELNS1_3gpuE6ELNS1_3repE0EEENS1_30default_config_static_selectorELNS0_4arch9wavefront6targetE1EEEvT1_ ; -- Begin function _ZN7rocprim17ROCPRIM_400000_NS6detail17trampoline_kernelINS0_14default_configENS1_20scan_config_selectorIsEEZZNS1_9scan_implILNS1_25lookback_scan_determinismE0ELb0ELb0ES3_N6thrust23THRUST_200600_302600_NS6detail15normal_iteratorINS9_10device_ptrIsEEEENS9_16discard_iteratorINS9_11use_defaultEEEs11max_functorIsEsEEDaPvRmT3_T4_T5_mT6_P12ihipStream_tbENKUlT_T0_E_clISt17integral_constantIbLb1EESW_IbLb0EEEEDaSS_ST_EUlSS_E_NS1_11comp_targetILNS1_3genE2ELNS1_11target_archE906ELNS1_3gpuE6ELNS1_3repE0EEENS1_30default_config_static_selectorELNS0_4arch9wavefront6targetE1EEEvT1_
	.globl	_ZN7rocprim17ROCPRIM_400000_NS6detail17trampoline_kernelINS0_14default_configENS1_20scan_config_selectorIsEEZZNS1_9scan_implILNS1_25lookback_scan_determinismE0ELb0ELb0ES3_N6thrust23THRUST_200600_302600_NS6detail15normal_iteratorINS9_10device_ptrIsEEEENS9_16discard_iteratorINS9_11use_defaultEEEs11max_functorIsEsEEDaPvRmT3_T4_T5_mT6_P12ihipStream_tbENKUlT_T0_E_clISt17integral_constantIbLb1EESW_IbLb0EEEEDaSS_ST_EUlSS_E_NS1_11comp_targetILNS1_3genE2ELNS1_11target_archE906ELNS1_3gpuE6ELNS1_3repE0EEENS1_30default_config_static_selectorELNS0_4arch9wavefront6targetE1EEEvT1_
	.p2align	8
	.type	_ZN7rocprim17ROCPRIM_400000_NS6detail17trampoline_kernelINS0_14default_configENS1_20scan_config_selectorIsEEZZNS1_9scan_implILNS1_25lookback_scan_determinismE0ELb0ELb0ES3_N6thrust23THRUST_200600_302600_NS6detail15normal_iteratorINS9_10device_ptrIsEEEENS9_16discard_iteratorINS9_11use_defaultEEEs11max_functorIsEsEEDaPvRmT3_T4_T5_mT6_P12ihipStream_tbENKUlT_T0_E_clISt17integral_constantIbLb1EESW_IbLb0EEEEDaSS_ST_EUlSS_E_NS1_11comp_targetILNS1_3genE2ELNS1_11target_archE906ELNS1_3gpuE6ELNS1_3repE0EEENS1_30default_config_static_selectorELNS0_4arch9wavefront6targetE1EEEvT1_,@function
_ZN7rocprim17ROCPRIM_400000_NS6detail17trampoline_kernelINS0_14default_configENS1_20scan_config_selectorIsEEZZNS1_9scan_implILNS1_25lookback_scan_determinismE0ELb0ELb0ES3_N6thrust23THRUST_200600_302600_NS6detail15normal_iteratorINS9_10device_ptrIsEEEENS9_16discard_iteratorINS9_11use_defaultEEEs11max_functorIsEsEEDaPvRmT3_T4_T5_mT6_P12ihipStream_tbENKUlT_T0_E_clISt17integral_constantIbLb1EESW_IbLb0EEEEDaSS_ST_EUlSS_E_NS1_11comp_targetILNS1_3genE2ELNS1_11target_archE906ELNS1_3gpuE6ELNS1_3repE0EEENS1_30default_config_static_selectorELNS0_4arch9wavefront6targetE1EEEvT1_: ; @_ZN7rocprim17ROCPRIM_400000_NS6detail17trampoline_kernelINS0_14default_configENS1_20scan_config_selectorIsEEZZNS1_9scan_implILNS1_25lookback_scan_determinismE0ELb0ELb0ES3_N6thrust23THRUST_200600_302600_NS6detail15normal_iteratorINS9_10device_ptrIsEEEENS9_16discard_iteratorINS9_11use_defaultEEEs11max_functorIsEsEEDaPvRmT3_T4_T5_mT6_P12ihipStream_tbENKUlT_T0_E_clISt17integral_constantIbLb1EESW_IbLb0EEEEDaSS_ST_EUlSS_E_NS1_11comp_targetILNS1_3genE2ELNS1_11target_archE906ELNS1_3gpuE6ELNS1_3repE0EEENS1_30default_config_static_selectorELNS0_4arch9wavefront6targetE1EEEvT1_
; %bb.0:
	.section	.rodata,"a",@progbits
	.p2align	6, 0x0
	.amdhsa_kernel _ZN7rocprim17ROCPRIM_400000_NS6detail17trampoline_kernelINS0_14default_configENS1_20scan_config_selectorIsEEZZNS1_9scan_implILNS1_25lookback_scan_determinismE0ELb0ELb0ES3_N6thrust23THRUST_200600_302600_NS6detail15normal_iteratorINS9_10device_ptrIsEEEENS9_16discard_iteratorINS9_11use_defaultEEEs11max_functorIsEsEEDaPvRmT3_T4_T5_mT6_P12ihipStream_tbENKUlT_T0_E_clISt17integral_constantIbLb1EESW_IbLb0EEEEDaSS_ST_EUlSS_E_NS1_11comp_targetILNS1_3genE2ELNS1_11target_archE906ELNS1_3gpuE6ELNS1_3repE0EEENS1_30default_config_static_selectorELNS0_4arch9wavefront6targetE1EEEvT1_
		.amdhsa_group_segment_fixed_size 0
		.amdhsa_private_segment_fixed_size 0
		.amdhsa_kernarg_size 104
		.amdhsa_user_sgpr_count 6
		.amdhsa_user_sgpr_private_segment_buffer 1
		.amdhsa_user_sgpr_dispatch_ptr 0
		.amdhsa_user_sgpr_queue_ptr 0
		.amdhsa_user_sgpr_kernarg_segment_ptr 1
		.amdhsa_user_sgpr_dispatch_id 0
		.amdhsa_user_sgpr_flat_scratch_init 0
		.amdhsa_user_sgpr_kernarg_preload_length 0
		.amdhsa_user_sgpr_kernarg_preload_offset 0
		.amdhsa_user_sgpr_private_segment_size 0
		.amdhsa_uses_dynamic_stack 0
		.amdhsa_system_sgpr_private_segment_wavefront_offset 0
		.amdhsa_system_sgpr_workgroup_id_x 1
		.amdhsa_system_sgpr_workgroup_id_y 0
		.amdhsa_system_sgpr_workgroup_id_z 0
		.amdhsa_system_sgpr_workgroup_info 0
		.amdhsa_system_vgpr_workitem_id 0
		.amdhsa_next_free_vgpr 1
		.amdhsa_next_free_sgpr 0
		.amdhsa_accum_offset 4
		.amdhsa_reserve_vcc 0
		.amdhsa_reserve_flat_scratch 0
		.amdhsa_float_round_mode_32 0
		.amdhsa_float_round_mode_16_64 0
		.amdhsa_float_denorm_mode_32 3
		.amdhsa_float_denorm_mode_16_64 3
		.amdhsa_dx10_clamp 1
		.amdhsa_ieee_mode 1
		.amdhsa_fp16_overflow 0
		.amdhsa_tg_split 0
		.amdhsa_exception_fp_ieee_invalid_op 0
		.amdhsa_exception_fp_denorm_src 0
		.amdhsa_exception_fp_ieee_div_zero 0
		.amdhsa_exception_fp_ieee_overflow 0
		.amdhsa_exception_fp_ieee_underflow 0
		.amdhsa_exception_fp_ieee_inexact 0
		.amdhsa_exception_int_div_zero 0
	.end_amdhsa_kernel
	.section	.text._ZN7rocprim17ROCPRIM_400000_NS6detail17trampoline_kernelINS0_14default_configENS1_20scan_config_selectorIsEEZZNS1_9scan_implILNS1_25lookback_scan_determinismE0ELb0ELb0ES3_N6thrust23THRUST_200600_302600_NS6detail15normal_iteratorINS9_10device_ptrIsEEEENS9_16discard_iteratorINS9_11use_defaultEEEs11max_functorIsEsEEDaPvRmT3_T4_T5_mT6_P12ihipStream_tbENKUlT_T0_E_clISt17integral_constantIbLb1EESW_IbLb0EEEEDaSS_ST_EUlSS_E_NS1_11comp_targetILNS1_3genE2ELNS1_11target_archE906ELNS1_3gpuE6ELNS1_3repE0EEENS1_30default_config_static_selectorELNS0_4arch9wavefront6targetE1EEEvT1_,"axG",@progbits,_ZN7rocprim17ROCPRIM_400000_NS6detail17trampoline_kernelINS0_14default_configENS1_20scan_config_selectorIsEEZZNS1_9scan_implILNS1_25lookback_scan_determinismE0ELb0ELb0ES3_N6thrust23THRUST_200600_302600_NS6detail15normal_iteratorINS9_10device_ptrIsEEEENS9_16discard_iteratorINS9_11use_defaultEEEs11max_functorIsEsEEDaPvRmT3_T4_T5_mT6_P12ihipStream_tbENKUlT_T0_E_clISt17integral_constantIbLb1EESW_IbLb0EEEEDaSS_ST_EUlSS_E_NS1_11comp_targetILNS1_3genE2ELNS1_11target_archE906ELNS1_3gpuE6ELNS1_3repE0EEENS1_30default_config_static_selectorELNS0_4arch9wavefront6targetE1EEEvT1_,comdat
.Lfunc_end4038:
	.size	_ZN7rocprim17ROCPRIM_400000_NS6detail17trampoline_kernelINS0_14default_configENS1_20scan_config_selectorIsEEZZNS1_9scan_implILNS1_25lookback_scan_determinismE0ELb0ELb0ES3_N6thrust23THRUST_200600_302600_NS6detail15normal_iteratorINS9_10device_ptrIsEEEENS9_16discard_iteratorINS9_11use_defaultEEEs11max_functorIsEsEEDaPvRmT3_T4_T5_mT6_P12ihipStream_tbENKUlT_T0_E_clISt17integral_constantIbLb1EESW_IbLb0EEEEDaSS_ST_EUlSS_E_NS1_11comp_targetILNS1_3genE2ELNS1_11target_archE906ELNS1_3gpuE6ELNS1_3repE0EEENS1_30default_config_static_selectorELNS0_4arch9wavefront6targetE1EEEvT1_, .Lfunc_end4038-_ZN7rocprim17ROCPRIM_400000_NS6detail17trampoline_kernelINS0_14default_configENS1_20scan_config_selectorIsEEZZNS1_9scan_implILNS1_25lookback_scan_determinismE0ELb0ELb0ES3_N6thrust23THRUST_200600_302600_NS6detail15normal_iteratorINS9_10device_ptrIsEEEENS9_16discard_iteratorINS9_11use_defaultEEEs11max_functorIsEsEEDaPvRmT3_T4_T5_mT6_P12ihipStream_tbENKUlT_T0_E_clISt17integral_constantIbLb1EESW_IbLb0EEEEDaSS_ST_EUlSS_E_NS1_11comp_targetILNS1_3genE2ELNS1_11target_archE906ELNS1_3gpuE6ELNS1_3repE0EEENS1_30default_config_static_selectorELNS0_4arch9wavefront6targetE1EEEvT1_
                                        ; -- End function
	.section	.AMDGPU.csdata,"",@progbits
; Kernel info:
; codeLenInByte = 0
; NumSgprs: 4
; NumVgprs: 0
; NumAgprs: 0
; TotalNumVgprs: 0
; ScratchSize: 0
; MemoryBound: 0
; FloatMode: 240
; IeeeMode: 1
; LDSByteSize: 0 bytes/workgroup (compile time only)
; SGPRBlocks: 0
; VGPRBlocks: 0
; NumSGPRsForWavesPerEU: 4
; NumVGPRsForWavesPerEU: 1
; AccumOffset: 4
; Occupancy: 8
; WaveLimiterHint : 0
; COMPUTE_PGM_RSRC2:SCRATCH_EN: 0
; COMPUTE_PGM_RSRC2:USER_SGPR: 6
; COMPUTE_PGM_RSRC2:TRAP_HANDLER: 0
; COMPUTE_PGM_RSRC2:TGID_X_EN: 1
; COMPUTE_PGM_RSRC2:TGID_Y_EN: 0
; COMPUTE_PGM_RSRC2:TGID_Z_EN: 0
; COMPUTE_PGM_RSRC2:TIDIG_COMP_CNT: 0
; COMPUTE_PGM_RSRC3_GFX90A:ACCUM_OFFSET: 0
; COMPUTE_PGM_RSRC3_GFX90A:TG_SPLIT: 0
	.section	.text._ZN7rocprim17ROCPRIM_400000_NS6detail17trampoline_kernelINS0_14default_configENS1_20scan_config_selectorIsEEZZNS1_9scan_implILNS1_25lookback_scan_determinismE0ELb0ELb0ES3_N6thrust23THRUST_200600_302600_NS6detail15normal_iteratorINS9_10device_ptrIsEEEENS9_16discard_iteratorINS9_11use_defaultEEEs11max_functorIsEsEEDaPvRmT3_T4_T5_mT6_P12ihipStream_tbENKUlT_T0_E_clISt17integral_constantIbLb1EESW_IbLb0EEEEDaSS_ST_EUlSS_E_NS1_11comp_targetILNS1_3genE10ELNS1_11target_archE1201ELNS1_3gpuE5ELNS1_3repE0EEENS1_30default_config_static_selectorELNS0_4arch9wavefront6targetE1EEEvT1_,"axG",@progbits,_ZN7rocprim17ROCPRIM_400000_NS6detail17trampoline_kernelINS0_14default_configENS1_20scan_config_selectorIsEEZZNS1_9scan_implILNS1_25lookback_scan_determinismE0ELb0ELb0ES3_N6thrust23THRUST_200600_302600_NS6detail15normal_iteratorINS9_10device_ptrIsEEEENS9_16discard_iteratorINS9_11use_defaultEEEs11max_functorIsEsEEDaPvRmT3_T4_T5_mT6_P12ihipStream_tbENKUlT_T0_E_clISt17integral_constantIbLb1EESW_IbLb0EEEEDaSS_ST_EUlSS_E_NS1_11comp_targetILNS1_3genE10ELNS1_11target_archE1201ELNS1_3gpuE5ELNS1_3repE0EEENS1_30default_config_static_selectorELNS0_4arch9wavefront6targetE1EEEvT1_,comdat
	.protected	_ZN7rocprim17ROCPRIM_400000_NS6detail17trampoline_kernelINS0_14default_configENS1_20scan_config_selectorIsEEZZNS1_9scan_implILNS1_25lookback_scan_determinismE0ELb0ELb0ES3_N6thrust23THRUST_200600_302600_NS6detail15normal_iteratorINS9_10device_ptrIsEEEENS9_16discard_iteratorINS9_11use_defaultEEEs11max_functorIsEsEEDaPvRmT3_T4_T5_mT6_P12ihipStream_tbENKUlT_T0_E_clISt17integral_constantIbLb1EESW_IbLb0EEEEDaSS_ST_EUlSS_E_NS1_11comp_targetILNS1_3genE10ELNS1_11target_archE1201ELNS1_3gpuE5ELNS1_3repE0EEENS1_30default_config_static_selectorELNS0_4arch9wavefront6targetE1EEEvT1_ ; -- Begin function _ZN7rocprim17ROCPRIM_400000_NS6detail17trampoline_kernelINS0_14default_configENS1_20scan_config_selectorIsEEZZNS1_9scan_implILNS1_25lookback_scan_determinismE0ELb0ELb0ES3_N6thrust23THRUST_200600_302600_NS6detail15normal_iteratorINS9_10device_ptrIsEEEENS9_16discard_iteratorINS9_11use_defaultEEEs11max_functorIsEsEEDaPvRmT3_T4_T5_mT6_P12ihipStream_tbENKUlT_T0_E_clISt17integral_constantIbLb1EESW_IbLb0EEEEDaSS_ST_EUlSS_E_NS1_11comp_targetILNS1_3genE10ELNS1_11target_archE1201ELNS1_3gpuE5ELNS1_3repE0EEENS1_30default_config_static_selectorELNS0_4arch9wavefront6targetE1EEEvT1_
	.globl	_ZN7rocprim17ROCPRIM_400000_NS6detail17trampoline_kernelINS0_14default_configENS1_20scan_config_selectorIsEEZZNS1_9scan_implILNS1_25lookback_scan_determinismE0ELb0ELb0ES3_N6thrust23THRUST_200600_302600_NS6detail15normal_iteratorINS9_10device_ptrIsEEEENS9_16discard_iteratorINS9_11use_defaultEEEs11max_functorIsEsEEDaPvRmT3_T4_T5_mT6_P12ihipStream_tbENKUlT_T0_E_clISt17integral_constantIbLb1EESW_IbLb0EEEEDaSS_ST_EUlSS_E_NS1_11comp_targetILNS1_3genE10ELNS1_11target_archE1201ELNS1_3gpuE5ELNS1_3repE0EEENS1_30default_config_static_selectorELNS0_4arch9wavefront6targetE1EEEvT1_
	.p2align	8
	.type	_ZN7rocprim17ROCPRIM_400000_NS6detail17trampoline_kernelINS0_14default_configENS1_20scan_config_selectorIsEEZZNS1_9scan_implILNS1_25lookback_scan_determinismE0ELb0ELb0ES3_N6thrust23THRUST_200600_302600_NS6detail15normal_iteratorINS9_10device_ptrIsEEEENS9_16discard_iteratorINS9_11use_defaultEEEs11max_functorIsEsEEDaPvRmT3_T4_T5_mT6_P12ihipStream_tbENKUlT_T0_E_clISt17integral_constantIbLb1EESW_IbLb0EEEEDaSS_ST_EUlSS_E_NS1_11comp_targetILNS1_3genE10ELNS1_11target_archE1201ELNS1_3gpuE5ELNS1_3repE0EEENS1_30default_config_static_selectorELNS0_4arch9wavefront6targetE1EEEvT1_,@function
_ZN7rocprim17ROCPRIM_400000_NS6detail17trampoline_kernelINS0_14default_configENS1_20scan_config_selectorIsEEZZNS1_9scan_implILNS1_25lookback_scan_determinismE0ELb0ELb0ES3_N6thrust23THRUST_200600_302600_NS6detail15normal_iteratorINS9_10device_ptrIsEEEENS9_16discard_iteratorINS9_11use_defaultEEEs11max_functorIsEsEEDaPvRmT3_T4_T5_mT6_P12ihipStream_tbENKUlT_T0_E_clISt17integral_constantIbLb1EESW_IbLb0EEEEDaSS_ST_EUlSS_E_NS1_11comp_targetILNS1_3genE10ELNS1_11target_archE1201ELNS1_3gpuE5ELNS1_3repE0EEENS1_30default_config_static_selectorELNS0_4arch9wavefront6targetE1EEEvT1_: ; @_ZN7rocprim17ROCPRIM_400000_NS6detail17trampoline_kernelINS0_14default_configENS1_20scan_config_selectorIsEEZZNS1_9scan_implILNS1_25lookback_scan_determinismE0ELb0ELb0ES3_N6thrust23THRUST_200600_302600_NS6detail15normal_iteratorINS9_10device_ptrIsEEEENS9_16discard_iteratorINS9_11use_defaultEEEs11max_functorIsEsEEDaPvRmT3_T4_T5_mT6_P12ihipStream_tbENKUlT_T0_E_clISt17integral_constantIbLb1EESW_IbLb0EEEEDaSS_ST_EUlSS_E_NS1_11comp_targetILNS1_3genE10ELNS1_11target_archE1201ELNS1_3gpuE5ELNS1_3repE0EEENS1_30default_config_static_selectorELNS0_4arch9wavefront6targetE1EEEvT1_
; %bb.0:
	.section	.rodata,"a",@progbits
	.p2align	6, 0x0
	.amdhsa_kernel _ZN7rocprim17ROCPRIM_400000_NS6detail17trampoline_kernelINS0_14default_configENS1_20scan_config_selectorIsEEZZNS1_9scan_implILNS1_25lookback_scan_determinismE0ELb0ELb0ES3_N6thrust23THRUST_200600_302600_NS6detail15normal_iteratorINS9_10device_ptrIsEEEENS9_16discard_iteratorINS9_11use_defaultEEEs11max_functorIsEsEEDaPvRmT3_T4_T5_mT6_P12ihipStream_tbENKUlT_T0_E_clISt17integral_constantIbLb1EESW_IbLb0EEEEDaSS_ST_EUlSS_E_NS1_11comp_targetILNS1_3genE10ELNS1_11target_archE1201ELNS1_3gpuE5ELNS1_3repE0EEENS1_30default_config_static_selectorELNS0_4arch9wavefront6targetE1EEEvT1_
		.amdhsa_group_segment_fixed_size 0
		.amdhsa_private_segment_fixed_size 0
		.amdhsa_kernarg_size 104
		.amdhsa_user_sgpr_count 6
		.amdhsa_user_sgpr_private_segment_buffer 1
		.amdhsa_user_sgpr_dispatch_ptr 0
		.amdhsa_user_sgpr_queue_ptr 0
		.amdhsa_user_sgpr_kernarg_segment_ptr 1
		.amdhsa_user_sgpr_dispatch_id 0
		.amdhsa_user_sgpr_flat_scratch_init 0
		.amdhsa_user_sgpr_kernarg_preload_length 0
		.amdhsa_user_sgpr_kernarg_preload_offset 0
		.amdhsa_user_sgpr_private_segment_size 0
		.amdhsa_uses_dynamic_stack 0
		.amdhsa_system_sgpr_private_segment_wavefront_offset 0
		.amdhsa_system_sgpr_workgroup_id_x 1
		.amdhsa_system_sgpr_workgroup_id_y 0
		.amdhsa_system_sgpr_workgroup_id_z 0
		.amdhsa_system_sgpr_workgroup_info 0
		.amdhsa_system_vgpr_workitem_id 0
		.amdhsa_next_free_vgpr 1
		.amdhsa_next_free_sgpr 0
		.amdhsa_accum_offset 4
		.amdhsa_reserve_vcc 0
		.amdhsa_reserve_flat_scratch 0
		.amdhsa_float_round_mode_32 0
		.amdhsa_float_round_mode_16_64 0
		.amdhsa_float_denorm_mode_32 3
		.amdhsa_float_denorm_mode_16_64 3
		.amdhsa_dx10_clamp 1
		.amdhsa_ieee_mode 1
		.amdhsa_fp16_overflow 0
		.amdhsa_tg_split 0
		.amdhsa_exception_fp_ieee_invalid_op 0
		.amdhsa_exception_fp_denorm_src 0
		.amdhsa_exception_fp_ieee_div_zero 0
		.amdhsa_exception_fp_ieee_overflow 0
		.amdhsa_exception_fp_ieee_underflow 0
		.amdhsa_exception_fp_ieee_inexact 0
		.amdhsa_exception_int_div_zero 0
	.end_amdhsa_kernel
	.section	.text._ZN7rocprim17ROCPRIM_400000_NS6detail17trampoline_kernelINS0_14default_configENS1_20scan_config_selectorIsEEZZNS1_9scan_implILNS1_25lookback_scan_determinismE0ELb0ELb0ES3_N6thrust23THRUST_200600_302600_NS6detail15normal_iteratorINS9_10device_ptrIsEEEENS9_16discard_iteratorINS9_11use_defaultEEEs11max_functorIsEsEEDaPvRmT3_T4_T5_mT6_P12ihipStream_tbENKUlT_T0_E_clISt17integral_constantIbLb1EESW_IbLb0EEEEDaSS_ST_EUlSS_E_NS1_11comp_targetILNS1_3genE10ELNS1_11target_archE1201ELNS1_3gpuE5ELNS1_3repE0EEENS1_30default_config_static_selectorELNS0_4arch9wavefront6targetE1EEEvT1_,"axG",@progbits,_ZN7rocprim17ROCPRIM_400000_NS6detail17trampoline_kernelINS0_14default_configENS1_20scan_config_selectorIsEEZZNS1_9scan_implILNS1_25lookback_scan_determinismE0ELb0ELb0ES3_N6thrust23THRUST_200600_302600_NS6detail15normal_iteratorINS9_10device_ptrIsEEEENS9_16discard_iteratorINS9_11use_defaultEEEs11max_functorIsEsEEDaPvRmT3_T4_T5_mT6_P12ihipStream_tbENKUlT_T0_E_clISt17integral_constantIbLb1EESW_IbLb0EEEEDaSS_ST_EUlSS_E_NS1_11comp_targetILNS1_3genE10ELNS1_11target_archE1201ELNS1_3gpuE5ELNS1_3repE0EEENS1_30default_config_static_selectorELNS0_4arch9wavefront6targetE1EEEvT1_,comdat
.Lfunc_end4039:
	.size	_ZN7rocprim17ROCPRIM_400000_NS6detail17trampoline_kernelINS0_14default_configENS1_20scan_config_selectorIsEEZZNS1_9scan_implILNS1_25lookback_scan_determinismE0ELb0ELb0ES3_N6thrust23THRUST_200600_302600_NS6detail15normal_iteratorINS9_10device_ptrIsEEEENS9_16discard_iteratorINS9_11use_defaultEEEs11max_functorIsEsEEDaPvRmT3_T4_T5_mT6_P12ihipStream_tbENKUlT_T0_E_clISt17integral_constantIbLb1EESW_IbLb0EEEEDaSS_ST_EUlSS_E_NS1_11comp_targetILNS1_3genE10ELNS1_11target_archE1201ELNS1_3gpuE5ELNS1_3repE0EEENS1_30default_config_static_selectorELNS0_4arch9wavefront6targetE1EEEvT1_, .Lfunc_end4039-_ZN7rocprim17ROCPRIM_400000_NS6detail17trampoline_kernelINS0_14default_configENS1_20scan_config_selectorIsEEZZNS1_9scan_implILNS1_25lookback_scan_determinismE0ELb0ELb0ES3_N6thrust23THRUST_200600_302600_NS6detail15normal_iteratorINS9_10device_ptrIsEEEENS9_16discard_iteratorINS9_11use_defaultEEEs11max_functorIsEsEEDaPvRmT3_T4_T5_mT6_P12ihipStream_tbENKUlT_T0_E_clISt17integral_constantIbLb1EESW_IbLb0EEEEDaSS_ST_EUlSS_E_NS1_11comp_targetILNS1_3genE10ELNS1_11target_archE1201ELNS1_3gpuE5ELNS1_3repE0EEENS1_30default_config_static_selectorELNS0_4arch9wavefront6targetE1EEEvT1_
                                        ; -- End function
	.section	.AMDGPU.csdata,"",@progbits
; Kernel info:
; codeLenInByte = 0
; NumSgprs: 4
; NumVgprs: 0
; NumAgprs: 0
; TotalNumVgprs: 0
; ScratchSize: 0
; MemoryBound: 0
; FloatMode: 240
; IeeeMode: 1
; LDSByteSize: 0 bytes/workgroup (compile time only)
; SGPRBlocks: 0
; VGPRBlocks: 0
; NumSGPRsForWavesPerEU: 4
; NumVGPRsForWavesPerEU: 1
; AccumOffset: 4
; Occupancy: 8
; WaveLimiterHint : 0
; COMPUTE_PGM_RSRC2:SCRATCH_EN: 0
; COMPUTE_PGM_RSRC2:USER_SGPR: 6
; COMPUTE_PGM_RSRC2:TRAP_HANDLER: 0
; COMPUTE_PGM_RSRC2:TGID_X_EN: 1
; COMPUTE_PGM_RSRC2:TGID_Y_EN: 0
; COMPUTE_PGM_RSRC2:TGID_Z_EN: 0
; COMPUTE_PGM_RSRC2:TIDIG_COMP_CNT: 0
; COMPUTE_PGM_RSRC3_GFX90A:ACCUM_OFFSET: 0
; COMPUTE_PGM_RSRC3_GFX90A:TG_SPLIT: 0
	.section	.text._ZN7rocprim17ROCPRIM_400000_NS6detail17trampoline_kernelINS0_14default_configENS1_20scan_config_selectorIsEEZZNS1_9scan_implILNS1_25lookback_scan_determinismE0ELb0ELb0ES3_N6thrust23THRUST_200600_302600_NS6detail15normal_iteratorINS9_10device_ptrIsEEEENS9_16discard_iteratorINS9_11use_defaultEEEs11max_functorIsEsEEDaPvRmT3_T4_T5_mT6_P12ihipStream_tbENKUlT_T0_E_clISt17integral_constantIbLb1EESW_IbLb0EEEEDaSS_ST_EUlSS_E_NS1_11comp_targetILNS1_3genE10ELNS1_11target_archE1200ELNS1_3gpuE4ELNS1_3repE0EEENS1_30default_config_static_selectorELNS0_4arch9wavefront6targetE1EEEvT1_,"axG",@progbits,_ZN7rocprim17ROCPRIM_400000_NS6detail17trampoline_kernelINS0_14default_configENS1_20scan_config_selectorIsEEZZNS1_9scan_implILNS1_25lookback_scan_determinismE0ELb0ELb0ES3_N6thrust23THRUST_200600_302600_NS6detail15normal_iteratorINS9_10device_ptrIsEEEENS9_16discard_iteratorINS9_11use_defaultEEEs11max_functorIsEsEEDaPvRmT3_T4_T5_mT6_P12ihipStream_tbENKUlT_T0_E_clISt17integral_constantIbLb1EESW_IbLb0EEEEDaSS_ST_EUlSS_E_NS1_11comp_targetILNS1_3genE10ELNS1_11target_archE1200ELNS1_3gpuE4ELNS1_3repE0EEENS1_30default_config_static_selectorELNS0_4arch9wavefront6targetE1EEEvT1_,comdat
	.protected	_ZN7rocprim17ROCPRIM_400000_NS6detail17trampoline_kernelINS0_14default_configENS1_20scan_config_selectorIsEEZZNS1_9scan_implILNS1_25lookback_scan_determinismE0ELb0ELb0ES3_N6thrust23THRUST_200600_302600_NS6detail15normal_iteratorINS9_10device_ptrIsEEEENS9_16discard_iteratorINS9_11use_defaultEEEs11max_functorIsEsEEDaPvRmT3_T4_T5_mT6_P12ihipStream_tbENKUlT_T0_E_clISt17integral_constantIbLb1EESW_IbLb0EEEEDaSS_ST_EUlSS_E_NS1_11comp_targetILNS1_3genE10ELNS1_11target_archE1200ELNS1_3gpuE4ELNS1_3repE0EEENS1_30default_config_static_selectorELNS0_4arch9wavefront6targetE1EEEvT1_ ; -- Begin function _ZN7rocprim17ROCPRIM_400000_NS6detail17trampoline_kernelINS0_14default_configENS1_20scan_config_selectorIsEEZZNS1_9scan_implILNS1_25lookback_scan_determinismE0ELb0ELb0ES3_N6thrust23THRUST_200600_302600_NS6detail15normal_iteratorINS9_10device_ptrIsEEEENS9_16discard_iteratorINS9_11use_defaultEEEs11max_functorIsEsEEDaPvRmT3_T4_T5_mT6_P12ihipStream_tbENKUlT_T0_E_clISt17integral_constantIbLb1EESW_IbLb0EEEEDaSS_ST_EUlSS_E_NS1_11comp_targetILNS1_3genE10ELNS1_11target_archE1200ELNS1_3gpuE4ELNS1_3repE0EEENS1_30default_config_static_selectorELNS0_4arch9wavefront6targetE1EEEvT1_
	.globl	_ZN7rocprim17ROCPRIM_400000_NS6detail17trampoline_kernelINS0_14default_configENS1_20scan_config_selectorIsEEZZNS1_9scan_implILNS1_25lookback_scan_determinismE0ELb0ELb0ES3_N6thrust23THRUST_200600_302600_NS6detail15normal_iteratorINS9_10device_ptrIsEEEENS9_16discard_iteratorINS9_11use_defaultEEEs11max_functorIsEsEEDaPvRmT3_T4_T5_mT6_P12ihipStream_tbENKUlT_T0_E_clISt17integral_constantIbLb1EESW_IbLb0EEEEDaSS_ST_EUlSS_E_NS1_11comp_targetILNS1_3genE10ELNS1_11target_archE1200ELNS1_3gpuE4ELNS1_3repE0EEENS1_30default_config_static_selectorELNS0_4arch9wavefront6targetE1EEEvT1_
	.p2align	8
	.type	_ZN7rocprim17ROCPRIM_400000_NS6detail17trampoline_kernelINS0_14default_configENS1_20scan_config_selectorIsEEZZNS1_9scan_implILNS1_25lookback_scan_determinismE0ELb0ELb0ES3_N6thrust23THRUST_200600_302600_NS6detail15normal_iteratorINS9_10device_ptrIsEEEENS9_16discard_iteratorINS9_11use_defaultEEEs11max_functorIsEsEEDaPvRmT3_T4_T5_mT6_P12ihipStream_tbENKUlT_T0_E_clISt17integral_constantIbLb1EESW_IbLb0EEEEDaSS_ST_EUlSS_E_NS1_11comp_targetILNS1_3genE10ELNS1_11target_archE1200ELNS1_3gpuE4ELNS1_3repE0EEENS1_30default_config_static_selectorELNS0_4arch9wavefront6targetE1EEEvT1_,@function
_ZN7rocprim17ROCPRIM_400000_NS6detail17trampoline_kernelINS0_14default_configENS1_20scan_config_selectorIsEEZZNS1_9scan_implILNS1_25lookback_scan_determinismE0ELb0ELb0ES3_N6thrust23THRUST_200600_302600_NS6detail15normal_iteratorINS9_10device_ptrIsEEEENS9_16discard_iteratorINS9_11use_defaultEEEs11max_functorIsEsEEDaPvRmT3_T4_T5_mT6_P12ihipStream_tbENKUlT_T0_E_clISt17integral_constantIbLb1EESW_IbLb0EEEEDaSS_ST_EUlSS_E_NS1_11comp_targetILNS1_3genE10ELNS1_11target_archE1200ELNS1_3gpuE4ELNS1_3repE0EEENS1_30default_config_static_selectorELNS0_4arch9wavefront6targetE1EEEvT1_: ; @_ZN7rocprim17ROCPRIM_400000_NS6detail17trampoline_kernelINS0_14default_configENS1_20scan_config_selectorIsEEZZNS1_9scan_implILNS1_25lookback_scan_determinismE0ELb0ELb0ES3_N6thrust23THRUST_200600_302600_NS6detail15normal_iteratorINS9_10device_ptrIsEEEENS9_16discard_iteratorINS9_11use_defaultEEEs11max_functorIsEsEEDaPvRmT3_T4_T5_mT6_P12ihipStream_tbENKUlT_T0_E_clISt17integral_constantIbLb1EESW_IbLb0EEEEDaSS_ST_EUlSS_E_NS1_11comp_targetILNS1_3genE10ELNS1_11target_archE1200ELNS1_3gpuE4ELNS1_3repE0EEENS1_30default_config_static_selectorELNS0_4arch9wavefront6targetE1EEEvT1_
; %bb.0:
	.section	.rodata,"a",@progbits
	.p2align	6, 0x0
	.amdhsa_kernel _ZN7rocprim17ROCPRIM_400000_NS6detail17trampoline_kernelINS0_14default_configENS1_20scan_config_selectorIsEEZZNS1_9scan_implILNS1_25lookback_scan_determinismE0ELb0ELb0ES3_N6thrust23THRUST_200600_302600_NS6detail15normal_iteratorINS9_10device_ptrIsEEEENS9_16discard_iteratorINS9_11use_defaultEEEs11max_functorIsEsEEDaPvRmT3_T4_T5_mT6_P12ihipStream_tbENKUlT_T0_E_clISt17integral_constantIbLb1EESW_IbLb0EEEEDaSS_ST_EUlSS_E_NS1_11comp_targetILNS1_3genE10ELNS1_11target_archE1200ELNS1_3gpuE4ELNS1_3repE0EEENS1_30default_config_static_selectorELNS0_4arch9wavefront6targetE1EEEvT1_
		.amdhsa_group_segment_fixed_size 0
		.amdhsa_private_segment_fixed_size 0
		.amdhsa_kernarg_size 104
		.amdhsa_user_sgpr_count 6
		.amdhsa_user_sgpr_private_segment_buffer 1
		.amdhsa_user_sgpr_dispatch_ptr 0
		.amdhsa_user_sgpr_queue_ptr 0
		.amdhsa_user_sgpr_kernarg_segment_ptr 1
		.amdhsa_user_sgpr_dispatch_id 0
		.amdhsa_user_sgpr_flat_scratch_init 0
		.amdhsa_user_sgpr_kernarg_preload_length 0
		.amdhsa_user_sgpr_kernarg_preload_offset 0
		.amdhsa_user_sgpr_private_segment_size 0
		.amdhsa_uses_dynamic_stack 0
		.amdhsa_system_sgpr_private_segment_wavefront_offset 0
		.amdhsa_system_sgpr_workgroup_id_x 1
		.amdhsa_system_sgpr_workgroup_id_y 0
		.amdhsa_system_sgpr_workgroup_id_z 0
		.amdhsa_system_sgpr_workgroup_info 0
		.amdhsa_system_vgpr_workitem_id 0
		.amdhsa_next_free_vgpr 1
		.amdhsa_next_free_sgpr 0
		.amdhsa_accum_offset 4
		.amdhsa_reserve_vcc 0
		.amdhsa_reserve_flat_scratch 0
		.amdhsa_float_round_mode_32 0
		.amdhsa_float_round_mode_16_64 0
		.amdhsa_float_denorm_mode_32 3
		.amdhsa_float_denorm_mode_16_64 3
		.amdhsa_dx10_clamp 1
		.amdhsa_ieee_mode 1
		.amdhsa_fp16_overflow 0
		.amdhsa_tg_split 0
		.amdhsa_exception_fp_ieee_invalid_op 0
		.amdhsa_exception_fp_denorm_src 0
		.amdhsa_exception_fp_ieee_div_zero 0
		.amdhsa_exception_fp_ieee_overflow 0
		.amdhsa_exception_fp_ieee_underflow 0
		.amdhsa_exception_fp_ieee_inexact 0
		.amdhsa_exception_int_div_zero 0
	.end_amdhsa_kernel
	.section	.text._ZN7rocprim17ROCPRIM_400000_NS6detail17trampoline_kernelINS0_14default_configENS1_20scan_config_selectorIsEEZZNS1_9scan_implILNS1_25lookback_scan_determinismE0ELb0ELb0ES3_N6thrust23THRUST_200600_302600_NS6detail15normal_iteratorINS9_10device_ptrIsEEEENS9_16discard_iteratorINS9_11use_defaultEEEs11max_functorIsEsEEDaPvRmT3_T4_T5_mT6_P12ihipStream_tbENKUlT_T0_E_clISt17integral_constantIbLb1EESW_IbLb0EEEEDaSS_ST_EUlSS_E_NS1_11comp_targetILNS1_3genE10ELNS1_11target_archE1200ELNS1_3gpuE4ELNS1_3repE0EEENS1_30default_config_static_selectorELNS0_4arch9wavefront6targetE1EEEvT1_,"axG",@progbits,_ZN7rocprim17ROCPRIM_400000_NS6detail17trampoline_kernelINS0_14default_configENS1_20scan_config_selectorIsEEZZNS1_9scan_implILNS1_25lookback_scan_determinismE0ELb0ELb0ES3_N6thrust23THRUST_200600_302600_NS6detail15normal_iteratorINS9_10device_ptrIsEEEENS9_16discard_iteratorINS9_11use_defaultEEEs11max_functorIsEsEEDaPvRmT3_T4_T5_mT6_P12ihipStream_tbENKUlT_T0_E_clISt17integral_constantIbLb1EESW_IbLb0EEEEDaSS_ST_EUlSS_E_NS1_11comp_targetILNS1_3genE10ELNS1_11target_archE1200ELNS1_3gpuE4ELNS1_3repE0EEENS1_30default_config_static_selectorELNS0_4arch9wavefront6targetE1EEEvT1_,comdat
.Lfunc_end4040:
	.size	_ZN7rocprim17ROCPRIM_400000_NS6detail17trampoline_kernelINS0_14default_configENS1_20scan_config_selectorIsEEZZNS1_9scan_implILNS1_25lookback_scan_determinismE0ELb0ELb0ES3_N6thrust23THRUST_200600_302600_NS6detail15normal_iteratorINS9_10device_ptrIsEEEENS9_16discard_iteratorINS9_11use_defaultEEEs11max_functorIsEsEEDaPvRmT3_T4_T5_mT6_P12ihipStream_tbENKUlT_T0_E_clISt17integral_constantIbLb1EESW_IbLb0EEEEDaSS_ST_EUlSS_E_NS1_11comp_targetILNS1_3genE10ELNS1_11target_archE1200ELNS1_3gpuE4ELNS1_3repE0EEENS1_30default_config_static_selectorELNS0_4arch9wavefront6targetE1EEEvT1_, .Lfunc_end4040-_ZN7rocprim17ROCPRIM_400000_NS6detail17trampoline_kernelINS0_14default_configENS1_20scan_config_selectorIsEEZZNS1_9scan_implILNS1_25lookback_scan_determinismE0ELb0ELb0ES3_N6thrust23THRUST_200600_302600_NS6detail15normal_iteratorINS9_10device_ptrIsEEEENS9_16discard_iteratorINS9_11use_defaultEEEs11max_functorIsEsEEDaPvRmT3_T4_T5_mT6_P12ihipStream_tbENKUlT_T0_E_clISt17integral_constantIbLb1EESW_IbLb0EEEEDaSS_ST_EUlSS_E_NS1_11comp_targetILNS1_3genE10ELNS1_11target_archE1200ELNS1_3gpuE4ELNS1_3repE0EEENS1_30default_config_static_selectorELNS0_4arch9wavefront6targetE1EEEvT1_
                                        ; -- End function
	.section	.AMDGPU.csdata,"",@progbits
; Kernel info:
; codeLenInByte = 0
; NumSgprs: 4
; NumVgprs: 0
; NumAgprs: 0
; TotalNumVgprs: 0
; ScratchSize: 0
; MemoryBound: 0
; FloatMode: 240
; IeeeMode: 1
; LDSByteSize: 0 bytes/workgroup (compile time only)
; SGPRBlocks: 0
; VGPRBlocks: 0
; NumSGPRsForWavesPerEU: 4
; NumVGPRsForWavesPerEU: 1
; AccumOffset: 4
; Occupancy: 8
; WaveLimiterHint : 0
; COMPUTE_PGM_RSRC2:SCRATCH_EN: 0
; COMPUTE_PGM_RSRC2:USER_SGPR: 6
; COMPUTE_PGM_RSRC2:TRAP_HANDLER: 0
; COMPUTE_PGM_RSRC2:TGID_X_EN: 1
; COMPUTE_PGM_RSRC2:TGID_Y_EN: 0
; COMPUTE_PGM_RSRC2:TGID_Z_EN: 0
; COMPUTE_PGM_RSRC2:TIDIG_COMP_CNT: 0
; COMPUTE_PGM_RSRC3_GFX90A:ACCUM_OFFSET: 0
; COMPUTE_PGM_RSRC3_GFX90A:TG_SPLIT: 0
	.section	.text._ZN7rocprim17ROCPRIM_400000_NS6detail17trampoline_kernelINS0_14default_configENS1_20scan_config_selectorIsEEZZNS1_9scan_implILNS1_25lookback_scan_determinismE0ELb0ELb0ES3_N6thrust23THRUST_200600_302600_NS6detail15normal_iteratorINS9_10device_ptrIsEEEENS9_16discard_iteratorINS9_11use_defaultEEEs11max_functorIsEsEEDaPvRmT3_T4_T5_mT6_P12ihipStream_tbENKUlT_T0_E_clISt17integral_constantIbLb1EESW_IbLb0EEEEDaSS_ST_EUlSS_E_NS1_11comp_targetILNS1_3genE9ELNS1_11target_archE1100ELNS1_3gpuE3ELNS1_3repE0EEENS1_30default_config_static_selectorELNS0_4arch9wavefront6targetE1EEEvT1_,"axG",@progbits,_ZN7rocprim17ROCPRIM_400000_NS6detail17trampoline_kernelINS0_14default_configENS1_20scan_config_selectorIsEEZZNS1_9scan_implILNS1_25lookback_scan_determinismE0ELb0ELb0ES3_N6thrust23THRUST_200600_302600_NS6detail15normal_iteratorINS9_10device_ptrIsEEEENS9_16discard_iteratorINS9_11use_defaultEEEs11max_functorIsEsEEDaPvRmT3_T4_T5_mT6_P12ihipStream_tbENKUlT_T0_E_clISt17integral_constantIbLb1EESW_IbLb0EEEEDaSS_ST_EUlSS_E_NS1_11comp_targetILNS1_3genE9ELNS1_11target_archE1100ELNS1_3gpuE3ELNS1_3repE0EEENS1_30default_config_static_selectorELNS0_4arch9wavefront6targetE1EEEvT1_,comdat
	.protected	_ZN7rocprim17ROCPRIM_400000_NS6detail17trampoline_kernelINS0_14default_configENS1_20scan_config_selectorIsEEZZNS1_9scan_implILNS1_25lookback_scan_determinismE0ELb0ELb0ES3_N6thrust23THRUST_200600_302600_NS6detail15normal_iteratorINS9_10device_ptrIsEEEENS9_16discard_iteratorINS9_11use_defaultEEEs11max_functorIsEsEEDaPvRmT3_T4_T5_mT6_P12ihipStream_tbENKUlT_T0_E_clISt17integral_constantIbLb1EESW_IbLb0EEEEDaSS_ST_EUlSS_E_NS1_11comp_targetILNS1_3genE9ELNS1_11target_archE1100ELNS1_3gpuE3ELNS1_3repE0EEENS1_30default_config_static_selectorELNS0_4arch9wavefront6targetE1EEEvT1_ ; -- Begin function _ZN7rocprim17ROCPRIM_400000_NS6detail17trampoline_kernelINS0_14default_configENS1_20scan_config_selectorIsEEZZNS1_9scan_implILNS1_25lookback_scan_determinismE0ELb0ELb0ES3_N6thrust23THRUST_200600_302600_NS6detail15normal_iteratorINS9_10device_ptrIsEEEENS9_16discard_iteratorINS9_11use_defaultEEEs11max_functorIsEsEEDaPvRmT3_T4_T5_mT6_P12ihipStream_tbENKUlT_T0_E_clISt17integral_constantIbLb1EESW_IbLb0EEEEDaSS_ST_EUlSS_E_NS1_11comp_targetILNS1_3genE9ELNS1_11target_archE1100ELNS1_3gpuE3ELNS1_3repE0EEENS1_30default_config_static_selectorELNS0_4arch9wavefront6targetE1EEEvT1_
	.globl	_ZN7rocprim17ROCPRIM_400000_NS6detail17trampoline_kernelINS0_14default_configENS1_20scan_config_selectorIsEEZZNS1_9scan_implILNS1_25lookback_scan_determinismE0ELb0ELb0ES3_N6thrust23THRUST_200600_302600_NS6detail15normal_iteratorINS9_10device_ptrIsEEEENS9_16discard_iteratorINS9_11use_defaultEEEs11max_functorIsEsEEDaPvRmT3_T4_T5_mT6_P12ihipStream_tbENKUlT_T0_E_clISt17integral_constantIbLb1EESW_IbLb0EEEEDaSS_ST_EUlSS_E_NS1_11comp_targetILNS1_3genE9ELNS1_11target_archE1100ELNS1_3gpuE3ELNS1_3repE0EEENS1_30default_config_static_selectorELNS0_4arch9wavefront6targetE1EEEvT1_
	.p2align	8
	.type	_ZN7rocprim17ROCPRIM_400000_NS6detail17trampoline_kernelINS0_14default_configENS1_20scan_config_selectorIsEEZZNS1_9scan_implILNS1_25lookback_scan_determinismE0ELb0ELb0ES3_N6thrust23THRUST_200600_302600_NS6detail15normal_iteratorINS9_10device_ptrIsEEEENS9_16discard_iteratorINS9_11use_defaultEEEs11max_functorIsEsEEDaPvRmT3_T4_T5_mT6_P12ihipStream_tbENKUlT_T0_E_clISt17integral_constantIbLb1EESW_IbLb0EEEEDaSS_ST_EUlSS_E_NS1_11comp_targetILNS1_3genE9ELNS1_11target_archE1100ELNS1_3gpuE3ELNS1_3repE0EEENS1_30default_config_static_selectorELNS0_4arch9wavefront6targetE1EEEvT1_,@function
_ZN7rocprim17ROCPRIM_400000_NS6detail17trampoline_kernelINS0_14default_configENS1_20scan_config_selectorIsEEZZNS1_9scan_implILNS1_25lookback_scan_determinismE0ELb0ELb0ES3_N6thrust23THRUST_200600_302600_NS6detail15normal_iteratorINS9_10device_ptrIsEEEENS9_16discard_iteratorINS9_11use_defaultEEEs11max_functorIsEsEEDaPvRmT3_T4_T5_mT6_P12ihipStream_tbENKUlT_T0_E_clISt17integral_constantIbLb1EESW_IbLb0EEEEDaSS_ST_EUlSS_E_NS1_11comp_targetILNS1_3genE9ELNS1_11target_archE1100ELNS1_3gpuE3ELNS1_3repE0EEENS1_30default_config_static_selectorELNS0_4arch9wavefront6targetE1EEEvT1_: ; @_ZN7rocprim17ROCPRIM_400000_NS6detail17trampoline_kernelINS0_14default_configENS1_20scan_config_selectorIsEEZZNS1_9scan_implILNS1_25lookback_scan_determinismE0ELb0ELb0ES3_N6thrust23THRUST_200600_302600_NS6detail15normal_iteratorINS9_10device_ptrIsEEEENS9_16discard_iteratorINS9_11use_defaultEEEs11max_functorIsEsEEDaPvRmT3_T4_T5_mT6_P12ihipStream_tbENKUlT_T0_E_clISt17integral_constantIbLb1EESW_IbLb0EEEEDaSS_ST_EUlSS_E_NS1_11comp_targetILNS1_3genE9ELNS1_11target_archE1100ELNS1_3gpuE3ELNS1_3repE0EEENS1_30default_config_static_selectorELNS0_4arch9wavefront6targetE1EEEvT1_
; %bb.0:
	.section	.rodata,"a",@progbits
	.p2align	6, 0x0
	.amdhsa_kernel _ZN7rocprim17ROCPRIM_400000_NS6detail17trampoline_kernelINS0_14default_configENS1_20scan_config_selectorIsEEZZNS1_9scan_implILNS1_25lookback_scan_determinismE0ELb0ELb0ES3_N6thrust23THRUST_200600_302600_NS6detail15normal_iteratorINS9_10device_ptrIsEEEENS9_16discard_iteratorINS9_11use_defaultEEEs11max_functorIsEsEEDaPvRmT3_T4_T5_mT6_P12ihipStream_tbENKUlT_T0_E_clISt17integral_constantIbLb1EESW_IbLb0EEEEDaSS_ST_EUlSS_E_NS1_11comp_targetILNS1_3genE9ELNS1_11target_archE1100ELNS1_3gpuE3ELNS1_3repE0EEENS1_30default_config_static_selectorELNS0_4arch9wavefront6targetE1EEEvT1_
		.amdhsa_group_segment_fixed_size 0
		.amdhsa_private_segment_fixed_size 0
		.amdhsa_kernarg_size 104
		.amdhsa_user_sgpr_count 6
		.amdhsa_user_sgpr_private_segment_buffer 1
		.amdhsa_user_sgpr_dispatch_ptr 0
		.amdhsa_user_sgpr_queue_ptr 0
		.amdhsa_user_sgpr_kernarg_segment_ptr 1
		.amdhsa_user_sgpr_dispatch_id 0
		.amdhsa_user_sgpr_flat_scratch_init 0
		.amdhsa_user_sgpr_kernarg_preload_length 0
		.amdhsa_user_sgpr_kernarg_preload_offset 0
		.amdhsa_user_sgpr_private_segment_size 0
		.amdhsa_uses_dynamic_stack 0
		.amdhsa_system_sgpr_private_segment_wavefront_offset 0
		.amdhsa_system_sgpr_workgroup_id_x 1
		.amdhsa_system_sgpr_workgroup_id_y 0
		.amdhsa_system_sgpr_workgroup_id_z 0
		.amdhsa_system_sgpr_workgroup_info 0
		.amdhsa_system_vgpr_workitem_id 0
		.amdhsa_next_free_vgpr 1
		.amdhsa_next_free_sgpr 0
		.amdhsa_accum_offset 4
		.amdhsa_reserve_vcc 0
		.amdhsa_reserve_flat_scratch 0
		.amdhsa_float_round_mode_32 0
		.amdhsa_float_round_mode_16_64 0
		.amdhsa_float_denorm_mode_32 3
		.amdhsa_float_denorm_mode_16_64 3
		.amdhsa_dx10_clamp 1
		.amdhsa_ieee_mode 1
		.amdhsa_fp16_overflow 0
		.amdhsa_tg_split 0
		.amdhsa_exception_fp_ieee_invalid_op 0
		.amdhsa_exception_fp_denorm_src 0
		.amdhsa_exception_fp_ieee_div_zero 0
		.amdhsa_exception_fp_ieee_overflow 0
		.amdhsa_exception_fp_ieee_underflow 0
		.amdhsa_exception_fp_ieee_inexact 0
		.amdhsa_exception_int_div_zero 0
	.end_amdhsa_kernel
	.section	.text._ZN7rocprim17ROCPRIM_400000_NS6detail17trampoline_kernelINS0_14default_configENS1_20scan_config_selectorIsEEZZNS1_9scan_implILNS1_25lookback_scan_determinismE0ELb0ELb0ES3_N6thrust23THRUST_200600_302600_NS6detail15normal_iteratorINS9_10device_ptrIsEEEENS9_16discard_iteratorINS9_11use_defaultEEEs11max_functorIsEsEEDaPvRmT3_T4_T5_mT6_P12ihipStream_tbENKUlT_T0_E_clISt17integral_constantIbLb1EESW_IbLb0EEEEDaSS_ST_EUlSS_E_NS1_11comp_targetILNS1_3genE9ELNS1_11target_archE1100ELNS1_3gpuE3ELNS1_3repE0EEENS1_30default_config_static_selectorELNS0_4arch9wavefront6targetE1EEEvT1_,"axG",@progbits,_ZN7rocprim17ROCPRIM_400000_NS6detail17trampoline_kernelINS0_14default_configENS1_20scan_config_selectorIsEEZZNS1_9scan_implILNS1_25lookback_scan_determinismE0ELb0ELb0ES3_N6thrust23THRUST_200600_302600_NS6detail15normal_iteratorINS9_10device_ptrIsEEEENS9_16discard_iteratorINS9_11use_defaultEEEs11max_functorIsEsEEDaPvRmT3_T4_T5_mT6_P12ihipStream_tbENKUlT_T0_E_clISt17integral_constantIbLb1EESW_IbLb0EEEEDaSS_ST_EUlSS_E_NS1_11comp_targetILNS1_3genE9ELNS1_11target_archE1100ELNS1_3gpuE3ELNS1_3repE0EEENS1_30default_config_static_selectorELNS0_4arch9wavefront6targetE1EEEvT1_,comdat
.Lfunc_end4041:
	.size	_ZN7rocprim17ROCPRIM_400000_NS6detail17trampoline_kernelINS0_14default_configENS1_20scan_config_selectorIsEEZZNS1_9scan_implILNS1_25lookback_scan_determinismE0ELb0ELb0ES3_N6thrust23THRUST_200600_302600_NS6detail15normal_iteratorINS9_10device_ptrIsEEEENS9_16discard_iteratorINS9_11use_defaultEEEs11max_functorIsEsEEDaPvRmT3_T4_T5_mT6_P12ihipStream_tbENKUlT_T0_E_clISt17integral_constantIbLb1EESW_IbLb0EEEEDaSS_ST_EUlSS_E_NS1_11comp_targetILNS1_3genE9ELNS1_11target_archE1100ELNS1_3gpuE3ELNS1_3repE0EEENS1_30default_config_static_selectorELNS0_4arch9wavefront6targetE1EEEvT1_, .Lfunc_end4041-_ZN7rocprim17ROCPRIM_400000_NS6detail17trampoline_kernelINS0_14default_configENS1_20scan_config_selectorIsEEZZNS1_9scan_implILNS1_25lookback_scan_determinismE0ELb0ELb0ES3_N6thrust23THRUST_200600_302600_NS6detail15normal_iteratorINS9_10device_ptrIsEEEENS9_16discard_iteratorINS9_11use_defaultEEEs11max_functorIsEsEEDaPvRmT3_T4_T5_mT6_P12ihipStream_tbENKUlT_T0_E_clISt17integral_constantIbLb1EESW_IbLb0EEEEDaSS_ST_EUlSS_E_NS1_11comp_targetILNS1_3genE9ELNS1_11target_archE1100ELNS1_3gpuE3ELNS1_3repE0EEENS1_30default_config_static_selectorELNS0_4arch9wavefront6targetE1EEEvT1_
                                        ; -- End function
	.section	.AMDGPU.csdata,"",@progbits
; Kernel info:
; codeLenInByte = 0
; NumSgprs: 4
; NumVgprs: 0
; NumAgprs: 0
; TotalNumVgprs: 0
; ScratchSize: 0
; MemoryBound: 0
; FloatMode: 240
; IeeeMode: 1
; LDSByteSize: 0 bytes/workgroup (compile time only)
; SGPRBlocks: 0
; VGPRBlocks: 0
; NumSGPRsForWavesPerEU: 4
; NumVGPRsForWavesPerEU: 1
; AccumOffset: 4
; Occupancy: 8
; WaveLimiterHint : 0
; COMPUTE_PGM_RSRC2:SCRATCH_EN: 0
; COMPUTE_PGM_RSRC2:USER_SGPR: 6
; COMPUTE_PGM_RSRC2:TRAP_HANDLER: 0
; COMPUTE_PGM_RSRC2:TGID_X_EN: 1
; COMPUTE_PGM_RSRC2:TGID_Y_EN: 0
; COMPUTE_PGM_RSRC2:TGID_Z_EN: 0
; COMPUTE_PGM_RSRC2:TIDIG_COMP_CNT: 0
; COMPUTE_PGM_RSRC3_GFX90A:ACCUM_OFFSET: 0
; COMPUTE_PGM_RSRC3_GFX90A:TG_SPLIT: 0
	.section	.text._ZN7rocprim17ROCPRIM_400000_NS6detail17trampoline_kernelINS0_14default_configENS1_20scan_config_selectorIsEEZZNS1_9scan_implILNS1_25lookback_scan_determinismE0ELb0ELb0ES3_N6thrust23THRUST_200600_302600_NS6detail15normal_iteratorINS9_10device_ptrIsEEEENS9_16discard_iteratorINS9_11use_defaultEEEs11max_functorIsEsEEDaPvRmT3_T4_T5_mT6_P12ihipStream_tbENKUlT_T0_E_clISt17integral_constantIbLb1EESW_IbLb0EEEEDaSS_ST_EUlSS_E_NS1_11comp_targetILNS1_3genE8ELNS1_11target_archE1030ELNS1_3gpuE2ELNS1_3repE0EEENS1_30default_config_static_selectorELNS0_4arch9wavefront6targetE1EEEvT1_,"axG",@progbits,_ZN7rocprim17ROCPRIM_400000_NS6detail17trampoline_kernelINS0_14default_configENS1_20scan_config_selectorIsEEZZNS1_9scan_implILNS1_25lookback_scan_determinismE0ELb0ELb0ES3_N6thrust23THRUST_200600_302600_NS6detail15normal_iteratorINS9_10device_ptrIsEEEENS9_16discard_iteratorINS9_11use_defaultEEEs11max_functorIsEsEEDaPvRmT3_T4_T5_mT6_P12ihipStream_tbENKUlT_T0_E_clISt17integral_constantIbLb1EESW_IbLb0EEEEDaSS_ST_EUlSS_E_NS1_11comp_targetILNS1_3genE8ELNS1_11target_archE1030ELNS1_3gpuE2ELNS1_3repE0EEENS1_30default_config_static_selectorELNS0_4arch9wavefront6targetE1EEEvT1_,comdat
	.protected	_ZN7rocprim17ROCPRIM_400000_NS6detail17trampoline_kernelINS0_14default_configENS1_20scan_config_selectorIsEEZZNS1_9scan_implILNS1_25lookback_scan_determinismE0ELb0ELb0ES3_N6thrust23THRUST_200600_302600_NS6detail15normal_iteratorINS9_10device_ptrIsEEEENS9_16discard_iteratorINS9_11use_defaultEEEs11max_functorIsEsEEDaPvRmT3_T4_T5_mT6_P12ihipStream_tbENKUlT_T0_E_clISt17integral_constantIbLb1EESW_IbLb0EEEEDaSS_ST_EUlSS_E_NS1_11comp_targetILNS1_3genE8ELNS1_11target_archE1030ELNS1_3gpuE2ELNS1_3repE0EEENS1_30default_config_static_selectorELNS0_4arch9wavefront6targetE1EEEvT1_ ; -- Begin function _ZN7rocprim17ROCPRIM_400000_NS6detail17trampoline_kernelINS0_14default_configENS1_20scan_config_selectorIsEEZZNS1_9scan_implILNS1_25lookback_scan_determinismE0ELb0ELb0ES3_N6thrust23THRUST_200600_302600_NS6detail15normal_iteratorINS9_10device_ptrIsEEEENS9_16discard_iteratorINS9_11use_defaultEEEs11max_functorIsEsEEDaPvRmT3_T4_T5_mT6_P12ihipStream_tbENKUlT_T0_E_clISt17integral_constantIbLb1EESW_IbLb0EEEEDaSS_ST_EUlSS_E_NS1_11comp_targetILNS1_3genE8ELNS1_11target_archE1030ELNS1_3gpuE2ELNS1_3repE0EEENS1_30default_config_static_selectorELNS0_4arch9wavefront6targetE1EEEvT1_
	.globl	_ZN7rocprim17ROCPRIM_400000_NS6detail17trampoline_kernelINS0_14default_configENS1_20scan_config_selectorIsEEZZNS1_9scan_implILNS1_25lookback_scan_determinismE0ELb0ELb0ES3_N6thrust23THRUST_200600_302600_NS6detail15normal_iteratorINS9_10device_ptrIsEEEENS9_16discard_iteratorINS9_11use_defaultEEEs11max_functorIsEsEEDaPvRmT3_T4_T5_mT6_P12ihipStream_tbENKUlT_T0_E_clISt17integral_constantIbLb1EESW_IbLb0EEEEDaSS_ST_EUlSS_E_NS1_11comp_targetILNS1_3genE8ELNS1_11target_archE1030ELNS1_3gpuE2ELNS1_3repE0EEENS1_30default_config_static_selectorELNS0_4arch9wavefront6targetE1EEEvT1_
	.p2align	8
	.type	_ZN7rocprim17ROCPRIM_400000_NS6detail17trampoline_kernelINS0_14default_configENS1_20scan_config_selectorIsEEZZNS1_9scan_implILNS1_25lookback_scan_determinismE0ELb0ELb0ES3_N6thrust23THRUST_200600_302600_NS6detail15normal_iteratorINS9_10device_ptrIsEEEENS9_16discard_iteratorINS9_11use_defaultEEEs11max_functorIsEsEEDaPvRmT3_T4_T5_mT6_P12ihipStream_tbENKUlT_T0_E_clISt17integral_constantIbLb1EESW_IbLb0EEEEDaSS_ST_EUlSS_E_NS1_11comp_targetILNS1_3genE8ELNS1_11target_archE1030ELNS1_3gpuE2ELNS1_3repE0EEENS1_30default_config_static_selectorELNS0_4arch9wavefront6targetE1EEEvT1_,@function
_ZN7rocprim17ROCPRIM_400000_NS6detail17trampoline_kernelINS0_14default_configENS1_20scan_config_selectorIsEEZZNS1_9scan_implILNS1_25lookback_scan_determinismE0ELb0ELb0ES3_N6thrust23THRUST_200600_302600_NS6detail15normal_iteratorINS9_10device_ptrIsEEEENS9_16discard_iteratorINS9_11use_defaultEEEs11max_functorIsEsEEDaPvRmT3_T4_T5_mT6_P12ihipStream_tbENKUlT_T0_E_clISt17integral_constantIbLb1EESW_IbLb0EEEEDaSS_ST_EUlSS_E_NS1_11comp_targetILNS1_3genE8ELNS1_11target_archE1030ELNS1_3gpuE2ELNS1_3repE0EEENS1_30default_config_static_selectorELNS0_4arch9wavefront6targetE1EEEvT1_: ; @_ZN7rocprim17ROCPRIM_400000_NS6detail17trampoline_kernelINS0_14default_configENS1_20scan_config_selectorIsEEZZNS1_9scan_implILNS1_25lookback_scan_determinismE0ELb0ELb0ES3_N6thrust23THRUST_200600_302600_NS6detail15normal_iteratorINS9_10device_ptrIsEEEENS9_16discard_iteratorINS9_11use_defaultEEEs11max_functorIsEsEEDaPvRmT3_T4_T5_mT6_P12ihipStream_tbENKUlT_T0_E_clISt17integral_constantIbLb1EESW_IbLb0EEEEDaSS_ST_EUlSS_E_NS1_11comp_targetILNS1_3genE8ELNS1_11target_archE1030ELNS1_3gpuE2ELNS1_3repE0EEENS1_30default_config_static_selectorELNS0_4arch9wavefront6targetE1EEEvT1_
; %bb.0:
	.section	.rodata,"a",@progbits
	.p2align	6, 0x0
	.amdhsa_kernel _ZN7rocprim17ROCPRIM_400000_NS6detail17trampoline_kernelINS0_14default_configENS1_20scan_config_selectorIsEEZZNS1_9scan_implILNS1_25lookback_scan_determinismE0ELb0ELb0ES3_N6thrust23THRUST_200600_302600_NS6detail15normal_iteratorINS9_10device_ptrIsEEEENS9_16discard_iteratorINS9_11use_defaultEEEs11max_functorIsEsEEDaPvRmT3_T4_T5_mT6_P12ihipStream_tbENKUlT_T0_E_clISt17integral_constantIbLb1EESW_IbLb0EEEEDaSS_ST_EUlSS_E_NS1_11comp_targetILNS1_3genE8ELNS1_11target_archE1030ELNS1_3gpuE2ELNS1_3repE0EEENS1_30default_config_static_selectorELNS0_4arch9wavefront6targetE1EEEvT1_
		.amdhsa_group_segment_fixed_size 0
		.amdhsa_private_segment_fixed_size 0
		.amdhsa_kernarg_size 104
		.amdhsa_user_sgpr_count 6
		.amdhsa_user_sgpr_private_segment_buffer 1
		.amdhsa_user_sgpr_dispatch_ptr 0
		.amdhsa_user_sgpr_queue_ptr 0
		.amdhsa_user_sgpr_kernarg_segment_ptr 1
		.amdhsa_user_sgpr_dispatch_id 0
		.amdhsa_user_sgpr_flat_scratch_init 0
		.amdhsa_user_sgpr_kernarg_preload_length 0
		.amdhsa_user_sgpr_kernarg_preload_offset 0
		.amdhsa_user_sgpr_private_segment_size 0
		.amdhsa_uses_dynamic_stack 0
		.amdhsa_system_sgpr_private_segment_wavefront_offset 0
		.amdhsa_system_sgpr_workgroup_id_x 1
		.amdhsa_system_sgpr_workgroup_id_y 0
		.amdhsa_system_sgpr_workgroup_id_z 0
		.amdhsa_system_sgpr_workgroup_info 0
		.amdhsa_system_vgpr_workitem_id 0
		.amdhsa_next_free_vgpr 1
		.amdhsa_next_free_sgpr 0
		.amdhsa_accum_offset 4
		.amdhsa_reserve_vcc 0
		.amdhsa_reserve_flat_scratch 0
		.amdhsa_float_round_mode_32 0
		.amdhsa_float_round_mode_16_64 0
		.amdhsa_float_denorm_mode_32 3
		.amdhsa_float_denorm_mode_16_64 3
		.amdhsa_dx10_clamp 1
		.amdhsa_ieee_mode 1
		.amdhsa_fp16_overflow 0
		.amdhsa_tg_split 0
		.amdhsa_exception_fp_ieee_invalid_op 0
		.amdhsa_exception_fp_denorm_src 0
		.amdhsa_exception_fp_ieee_div_zero 0
		.amdhsa_exception_fp_ieee_overflow 0
		.amdhsa_exception_fp_ieee_underflow 0
		.amdhsa_exception_fp_ieee_inexact 0
		.amdhsa_exception_int_div_zero 0
	.end_amdhsa_kernel
	.section	.text._ZN7rocprim17ROCPRIM_400000_NS6detail17trampoline_kernelINS0_14default_configENS1_20scan_config_selectorIsEEZZNS1_9scan_implILNS1_25lookback_scan_determinismE0ELb0ELb0ES3_N6thrust23THRUST_200600_302600_NS6detail15normal_iteratorINS9_10device_ptrIsEEEENS9_16discard_iteratorINS9_11use_defaultEEEs11max_functorIsEsEEDaPvRmT3_T4_T5_mT6_P12ihipStream_tbENKUlT_T0_E_clISt17integral_constantIbLb1EESW_IbLb0EEEEDaSS_ST_EUlSS_E_NS1_11comp_targetILNS1_3genE8ELNS1_11target_archE1030ELNS1_3gpuE2ELNS1_3repE0EEENS1_30default_config_static_selectorELNS0_4arch9wavefront6targetE1EEEvT1_,"axG",@progbits,_ZN7rocprim17ROCPRIM_400000_NS6detail17trampoline_kernelINS0_14default_configENS1_20scan_config_selectorIsEEZZNS1_9scan_implILNS1_25lookback_scan_determinismE0ELb0ELb0ES3_N6thrust23THRUST_200600_302600_NS6detail15normal_iteratorINS9_10device_ptrIsEEEENS9_16discard_iteratorINS9_11use_defaultEEEs11max_functorIsEsEEDaPvRmT3_T4_T5_mT6_P12ihipStream_tbENKUlT_T0_E_clISt17integral_constantIbLb1EESW_IbLb0EEEEDaSS_ST_EUlSS_E_NS1_11comp_targetILNS1_3genE8ELNS1_11target_archE1030ELNS1_3gpuE2ELNS1_3repE0EEENS1_30default_config_static_selectorELNS0_4arch9wavefront6targetE1EEEvT1_,comdat
.Lfunc_end4042:
	.size	_ZN7rocprim17ROCPRIM_400000_NS6detail17trampoline_kernelINS0_14default_configENS1_20scan_config_selectorIsEEZZNS1_9scan_implILNS1_25lookback_scan_determinismE0ELb0ELb0ES3_N6thrust23THRUST_200600_302600_NS6detail15normal_iteratorINS9_10device_ptrIsEEEENS9_16discard_iteratorINS9_11use_defaultEEEs11max_functorIsEsEEDaPvRmT3_T4_T5_mT6_P12ihipStream_tbENKUlT_T0_E_clISt17integral_constantIbLb1EESW_IbLb0EEEEDaSS_ST_EUlSS_E_NS1_11comp_targetILNS1_3genE8ELNS1_11target_archE1030ELNS1_3gpuE2ELNS1_3repE0EEENS1_30default_config_static_selectorELNS0_4arch9wavefront6targetE1EEEvT1_, .Lfunc_end4042-_ZN7rocprim17ROCPRIM_400000_NS6detail17trampoline_kernelINS0_14default_configENS1_20scan_config_selectorIsEEZZNS1_9scan_implILNS1_25lookback_scan_determinismE0ELb0ELb0ES3_N6thrust23THRUST_200600_302600_NS6detail15normal_iteratorINS9_10device_ptrIsEEEENS9_16discard_iteratorINS9_11use_defaultEEEs11max_functorIsEsEEDaPvRmT3_T4_T5_mT6_P12ihipStream_tbENKUlT_T0_E_clISt17integral_constantIbLb1EESW_IbLb0EEEEDaSS_ST_EUlSS_E_NS1_11comp_targetILNS1_3genE8ELNS1_11target_archE1030ELNS1_3gpuE2ELNS1_3repE0EEENS1_30default_config_static_selectorELNS0_4arch9wavefront6targetE1EEEvT1_
                                        ; -- End function
	.section	.AMDGPU.csdata,"",@progbits
; Kernel info:
; codeLenInByte = 0
; NumSgprs: 4
; NumVgprs: 0
; NumAgprs: 0
; TotalNumVgprs: 0
; ScratchSize: 0
; MemoryBound: 0
; FloatMode: 240
; IeeeMode: 1
; LDSByteSize: 0 bytes/workgroup (compile time only)
; SGPRBlocks: 0
; VGPRBlocks: 0
; NumSGPRsForWavesPerEU: 4
; NumVGPRsForWavesPerEU: 1
; AccumOffset: 4
; Occupancy: 8
; WaveLimiterHint : 0
; COMPUTE_PGM_RSRC2:SCRATCH_EN: 0
; COMPUTE_PGM_RSRC2:USER_SGPR: 6
; COMPUTE_PGM_RSRC2:TRAP_HANDLER: 0
; COMPUTE_PGM_RSRC2:TGID_X_EN: 1
; COMPUTE_PGM_RSRC2:TGID_Y_EN: 0
; COMPUTE_PGM_RSRC2:TGID_Z_EN: 0
; COMPUTE_PGM_RSRC2:TIDIG_COMP_CNT: 0
; COMPUTE_PGM_RSRC3_GFX90A:ACCUM_OFFSET: 0
; COMPUTE_PGM_RSRC3_GFX90A:TG_SPLIT: 0
	.section	.text._ZN7rocprim17ROCPRIM_400000_NS6detail17trampoline_kernelINS0_14default_configENS1_20scan_config_selectorIsEEZZNS1_9scan_implILNS1_25lookback_scan_determinismE0ELb0ELb0ES3_N6thrust23THRUST_200600_302600_NS6detail15normal_iteratorINS9_10device_ptrIsEEEENS9_16discard_iteratorINS9_11use_defaultEEEs11max_functorIsEsEEDaPvRmT3_T4_T5_mT6_P12ihipStream_tbENKUlT_T0_E_clISt17integral_constantIbLb1EESW_IbLb0EEEEDaSS_ST_EUlSS_E0_NS1_11comp_targetILNS1_3genE0ELNS1_11target_archE4294967295ELNS1_3gpuE0ELNS1_3repE0EEENS1_30default_config_static_selectorELNS0_4arch9wavefront6targetE1EEEvT1_,"axG",@progbits,_ZN7rocprim17ROCPRIM_400000_NS6detail17trampoline_kernelINS0_14default_configENS1_20scan_config_selectorIsEEZZNS1_9scan_implILNS1_25lookback_scan_determinismE0ELb0ELb0ES3_N6thrust23THRUST_200600_302600_NS6detail15normal_iteratorINS9_10device_ptrIsEEEENS9_16discard_iteratorINS9_11use_defaultEEEs11max_functorIsEsEEDaPvRmT3_T4_T5_mT6_P12ihipStream_tbENKUlT_T0_E_clISt17integral_constantIbLb1EESW_IbLb0EEEEDaSS_ST_EUlSS_E0_NS1_11comp_targetILNS1_3genE0ELNS1_11target_archE4294967295ELNS1_3gpuE0ELNS1_3repE0EEENS1_30default_config_static_selectorELNS0_4arch9wavefront6targetE1EEEvT1_,comdat
	.protected	_ZN7rocprim17ROCPRIM_400000_NS6detail17trampoline_kernelINS0_14default_configENS1_20scan_config_selectorIsEEZZNS1_9scan_implILNS1_25lookback_scan_determinismE0ELb0ELb0ES3_N6thrust23THRUST_200600_302600_NS6detail15normal_iteratorINS9_10device_ptrIsEEEENS9_16discard_iteratorINS9_11use_defaultEEEs11max_functorIsEsEEDaPvRmT3_T4_T5_mT6_P12ihipStream_tbENKUlT_T0_E_clISt17integral_constantIbLb1EESW_IbLb0EEEEDaSS_ST_EUlSS_E0_NS1_11comp_targetILNS1_3genE0ELNS1_11target_archE4294967295ELNS1_3gpuE0ELNS1_3repE0EEENS1_30default_config_static_selectorELNS0_4arch9wavefront6targetE1EEEvT1_ ; -- Begin function _ZN7rocprim17ROCPRIM_400000_NS6detail17trampoline_kernelINS0_14default_configENS1_20scan_config_selectorIsEEZZNS1_9scan_implILNS1_25lookback_scan_determinismE0ELb0ELb0ES3_N6thrust23THRUST_200600_302600_NS6detail15normal_iteratorINS9_10device_ptrIsEEEENS9_16discard_iteratorINS9_11use_defaultEEEs11max_functorIsEsEEDaPvRmT3_T4_T5_mT6_P12ihipStream_tbENKUlT_T0_E_clISt17integral_constantIbLb1EESW_IbLb0EEEEDaSS_ST_EUlSS_E0_NS1_11comp_targetILNS1_3genE0ELNS1_11target_archE4294967295ELNS1_3gpuE0ELNS1_3repE0EEENS1_30default_config_static_selectorELNS0_4arch9wavefront6targetE1EEEvT1_
	.globl	_ZN7rocprim17ROCPRIM_400000_NS6detail17trampoline_kernelINS0_14default_configENS1_20scan_config_selectorIsEEZZNS1_9scan_implILNS1_25lookback_scan_determinismE0ELb0ELb0ES3_N6thrust23THRUST_200600_302600_NS6detail15normal_iteratorINS9_10device_ptrIsEEEENS9_16discard_iteratorINS9_11use_defaultEEEs11max_functorIsEsEEDaPvRmT3_T4_T5_mT6_P12ihipStream_tbENKUlT_T0_E_clISt17integral_constantIbLb1EESW_IbLb0EEEEDaSS_ST_EUlSS_E0_NS1_11comp_targetILNS1_3genE0ELNS1_11target_archE4294967295ELNS1_3gpuE0ELNS1_3repE0EEENS1_30default_config_static_selectorELNS0_4arch9wavefront6targetE1EEEvT1_
	.p2align	8
	.type	_ZN7rocprim17ROCPRIM_400000_NS6detail17trampoline_kernelINS0_14default_configENS1_20scan_config_selectorIsEEZZNS1_9scan_implILNS1_25lookback_scan_determinismE0ELb0ELb0ES3_N6thrust23THRUST_200600_302600_NS6detail15normal_iteratorINS9_10device_ptrIsEEEENS9_16discard_iteratorINS9_11use_defaultEEEs11max_functorIsEsEEDaPvRmT3_T4_T5_mT6_P12ihipStream_tbENKUlT_T0_E_clISt17integral_constantIbLb1EESW_IbLb0EEEEDaSS_ST_EUlSS_E0_NS1_11comp_targetILNS1_3genE0ELNS1_11target_archE4294967295ELNS1_3gpuE0ELNS1_3repE0EEENS1_30default_config_static_selectorELNS0_4arch9wavefront6targetE1EEEvT1_,@function
_ZN7rocprim17ROCPRIM_400000_NS6detail17trampoline_kernelINS0_14default_configENS1_20scan_config_selectorIsEEZZNS1_9scan_implILNS1_25lookback_scan_determinismE0ELb0ELb0ES3_N6thrust23THRUST_200600_302600_NS6detail15normal_iteratorINS9_10device_ptrIsEEEENS9_16discard_iteratorINS9_11use_defaultEEEs11max_functorIsEsEEDaPvRmT3_T4_T5_mT6_P12ihipStream_tbENKUlT_T0_E_clISt17integral_constantIbLb1EESW_IbLb0EEEEDaSS_ST_EUlSS_E0_NS1_11comp_targetILNS1_3genE0ELNS1_11target_archE4294967295ELNS1_3gpuE0ELNS1_3repE0EEENS1_30default_config_static_selectorELNS0_4arch9wavefront6targetE1EEEvT1_: ; @_ZN7rocprim17ROCPRIM_400000_NS6detail17trampoline_kernelINS0_14default_configENS1_20scan_config_selectorIsEEZZNS1_9scan_implILNS1_25lookback_scan_determinismE0ELb0ELb0ES3_N6thrust23THRUST_200600_302600_NS6detail15normal_iteratorINS9_10device_ptrIsEEEENS9_16discard_iteratorINS9_11use_defaultEEEs11max_functorIsEsEEDaPvRmT3_T4_T5_mT6_P12ihipStream_tbENKUlT_T0_E_clISt17integral_constantIbLb1EESW_IbLb0EEEEDaSS_ST_EUlSS_E0_NS1_11comp_targetILNS1_3genE0ELNS1_11target_archE4294967295ELNS1_3gpuE0ELNS1_3repE0EEENS1_30default_config_static_selectorELNS0_4arch9wavefront6targetE1EEEvT1_
; %bb.0:
	.section	.rodata,"a",@progbits
	.p2align	6, 0x0
	.amdhsa_kernel _ZN7rocprim17ROCPRIM_400000_NS6detail17trampoline_kernelINS0_14default_configENS1_20scan_config_selectorIsEEZZNS1_9scan_implILNS1_25lookback_scan_determinismE0ELb0ELb0ES3_N6thrust23THRUST_200600_302600_NS6detail15normal_iteratorINS9_10device_ptrIsEEEENS9_16discard_iteratorINS9_11use_defaultEEEs11max_functorIsEsEEDaPvRmT3_T4_T5_mT6_P12ihipStream_tbENKUlT_T0_E_clISt17integral_constantIbLb1EESW_IbLb0EEEEDaSS_ST_EUlSS_E0_NS1_11comp_targetILNS1_3genE0ELNS1_11target_archE4294967295ELNS1_3gpuE0ELNS1_3repE0EEENS1_30default_config_static_selectorELNS0_4arch9wavefront6targetE1EEEvT1_
		.amdhsa_group_segment_fixed_size 0
		.amdhsa_private_segment_fixed_size 0
		.amdhsa_kernarg_size 40
		.amdhsa_user_sgpr_count 6
		.amdhsa_user_sgpr_private_segment_buffer 1
		.amdhsa_user_sgpr_dispatch_ptr 0
		.amdhsa_user_sgpr_queue_ptr 0
		.amdhsa_user_sgpr_kernarg_segment_ptr 1
		.amdhsa_user_sgpr_dispatch_id 0
		.amdhsa_user_sgpr_flat_scratch_init 0
		.amdhsa_user_sgpr_kernarg_preload_length 0
		.amdhsa_user_sgpr_kernarg_preload_offset 0
		.amdhsa_user_sgpr_private_segment_size 0
		.amdhsa_uses_dynamic_stack 0
		.amdhsa_system_sgpr_private_segment_wavefront_offset 0
		.amdhsa_system_sgpr_workgroup_id_x 1
		.amdhsa_system_sgpr_workgroup_id_y 0
		.amdhsa_system_sgpr_workgroup_id_z 0
		.amdhsa_system_sgpr_workgroup_info 0
		.amdhsa_system_vgpr_workitem_id 0
		.amdhsa_next_free_vgpr 1
		.amdhsa_next_free_sgpr 0
		.amdhsa_accum_offset 4
		.amdhsa_reserve_vcc 0
		.amdhsa_reserve_flat_scratch 0
		.amdhsa_float_round_mode_32 0
		.amdhsa_float_round_mode_16_64 0
		.amdhsa_float_denorm_mode_32 3
		.amdhsa_float_denorm_mode_16_64 3
		.amdhsa_dx10_clamp 1
		.amdhsa_ieee_mode 1
		.amdhsa_fp16_overflow 0
		.amdhsa_tg_split 0
		.amdhsa_exception_fp_ieee_invalid_op 0
		.amdhsa_exception_fp_denorm_src 0
		.amdhsa_exception_fp_ieee_div_zero 0
		.amdhsa_exception_fp_ieee_overflow 0
		.amdhsa_exception_fp_ieee_underflow 0
		.amdhsa_exception_fp_ieee_inexact 0
		.amdhsa_exception_int_div_zero 0
	.end_amdhsa_kernel
	.section	.text._ZN7rocprim17ROCPRIM_400000_NS6detail17trampoline_kernelINS0_14default_configENS1_20scan_config_selectorIsEEZZNS1_9scan_implILNS1_25lookback_scan_determinismE0ELb0ELb0ES3_N6thrust23THRUST_200600_302600_NS6detail15normal_iteratorINS9_10device_ptrIsEEEENS9_16discard_iteratorINS9_11use_defaultEEEs11max_functorIsEsEEDaPvRmT3_T4_T5_mT6_P12ihipStream_tbENKUlT_T0_E_clISt17integral_constantIbLb1EESW_IbLb0EEEEDaSS_ST_EUlSS_E0_NS1_11comp_targetILNS1_3genE0ELNS1_11target_archE4294967295ELNS1_3gpuE0ELNS1_3repE0EEENS1_30default_config_static_selectorELNS0_4arch9wavefront6targetE1EEEvT1_,"axG",@progbits,_ZN7rocprim17ROCPRIM_400000_NS6detail17trampoline_kernelINS0_14default_configENS1_20scan_config_selectorIsEEZZNS1_9scan_implILNS1_25lookback_scan_determinismE0ELb0ELb0ES3_N6thrust23THRUST_200600_302600_NS6detail15normal_iteratorINS9_10device_ptrIsEEEENS9_16discard_iteratorINS9_11use_defaultEEEs11max_functorIsEsEEDaPvRmT3_T4_T5_mT6_P12ihipStream_tbENKUlT_T0_E_clISt17integral_constantIbLb1EESW_IbLb0EEEEDaSS_ST_EUlSS_E0_NS1_11comp_targetILNS1_3genE0ELNS1_11target_archE4294967295ELNS1_3gpuE0ELNS1_3repE0EEENS1_30default_config_static_selectorELNS0_4arch9wavefront6targetE1EEEvT1_,comdat
.Lfunc_end4043:
	.size	_ZN7rocprim17ROCPRIM_400000_NS6detail17trampoline_kernelINS0_14default_configENS1_20scan_config_selectorIsEEZZNS1_9scan_implILNS1_25lookback_scan_determinismE0ELb0ELb0ES3_N6thrust23THRUST_200600_302600_NS6detail15normal_iteratorINS9_10device_ptrIsEEEENS9_16discard_iteratorINS9_11use_defaultEEEs11max_functorIsEsEEDaPvRmT3_T4_T5_mT6_P12ihipStream_tbENKUlT_T0_E_clISt17integral_constantIbLb1EESW_IbLb0EEEEDaSS_ST_EUlSS_E0_NS1_11comp_targetILNS1_3genE0ELNS1_11target_archE4294967295ELNS1_3gpuE0ELNS1_3repE0EEENS1_30default_config_static_selectorELNS0_4arch9wavefront6targetE1EEEvT1_, .Lfunc_end4043-_ZN7rocprim17ROCPRIM_400000_NS6detail17trampoline_kernelINS0_14default_configENS1_20scan_config_selectorIsEEZZNS1_9scan_implILNS1_25lookback_scan_determinismE0ELb0ELb0ES3_N6thrust23THRUST_200600_302600_NS6detail15normal_iteratorINS9_10device_ptrIsEEEENS9_16discard_iteratorINS9_11use_defaultEEEs11max_functorIsEsEEDaPvRmT3_T4_T5_mT6_P12ihipStream_tbENKUlT_T0_E_clISt17integral_constantIbLb1EESW_IbLb0EEEEDaSS_ST_EUlSS_E0_NS1_11comp_targetILNS1_3genE0ELNS1_11target_archE4294967295ELNS1_3gpuE0ELNS1_3repE0EEENS1_30default_config_static_selectorELNS0_4arch9wavefront6targetE1EEEvT1_
                                        ; -- End function
	.section	.AMDGPU.csdata,"",@progbits
; Kernel info:
; codeLenInByte = 0
; NumSgprs: 4
; NumVgprs: 0
; NumAgprs: 0
; TotalNumVgprs: 0
; ScratchSize: 0
; MemoryBound: 0
; FloatMode: 240
; IeeeMode: 1
; LDSByteSize: 0 bytes/workgroup (compile time only)
; SGPRBlocks: 0
; VGPRBlocks: 0
; NumSGPRsForWavesPerEU: 4
; NumVGPRsForWavesPerEU: 1
; AccumOffset: 4
; Occupancy: 8
; WaveLimiterHint : 0
; COMPUTE_PGM_RSRC2:SCRATCH_EN: 0
; COMPUTE_PGM_RSRC2:USER_SGPR: 6
; COMPUTE_PGM_RSRC2:TRAP_HANDLER: 0
; COMPUTE_PGM_RSRC2:TGID_X_EN: 1
; COMPUTE_PGM_RSRC2:TGID_Y_EN: 0
; COMPUTE_PGM_RSRC2:TGID_Z_EN: 0
; COMPUTE_PGM_RSRC2:TIDIG_COMP_CNT: 0
; COMPUTE_PGM_RSRC3_GFX90A:ACCUM_OFFSET: 0
; COMPUTE_PGM_RSRC3_GFX90A:TG_SPLIT: 0
	.section	.text._ZN7rocprim17ROCPRIM_400000_NS6detail17trampoline_kernelINS0_14default_configENS1_20scan_config_selectorIsEEZZNS1_9scan_implILNS1_25lookback_scan_determinismE0ELb0ELb0ES3_N6thrust23THRUST_200600_302600_NS6detail15normal_iteratorINS9_10device_ptrIsEEEENS9_16discard_iteratorINS9_11use_defaultEEEs11max_functorIsEsEEDaPvRmT3_T4_T5_mT6_P12ihipStream_tbENKUlT_T0_E_clISt17integral_constantIbLb1EESW_IbLb0EEEEDaSS_ST_EUlSS_E0_NS1_11comp_targetILNS1_3genE5ELNS1_11target_archE942ELNS1_3gpuE9ELNS1_3repE0EEENS1_30default_config_static_selectorELNS0_4arch9wavefront6targetE1EEEvT1_,"axG",@progbits,_ZN7rocprim17ROCPRIM_400000_NS6detail17trampoline_kernelINS0_14default_configENS1_20scan_config_selectorIsEEZZNS1_9scan_implILNS1_25lookback_scan_determinismE0ELb0ELb0ES3_N6thrust23THRUST_200600_302600_NS6detail15normal_iteratorINS9_10device_ptrIsEEEENS9_16discard_iteratorINS9_11use_defaultEEEs11max_functorIsEsEEDaPvRmT3_T4_T5_mT6_P12ihipStream_tbENKUlT_T0_E_clISt17integral_constantIbLb1EESW_IbLb0EEEEDaSS_ST_EUlSS_E0_NS1_11comp_targetILNS1_3genE5ELNS1_11target_archE942ELNS1_3gpuE9ELNS1_3repE0EEENS1_30default_config_static_selectorELNS0_4arch9wavefront6targetE1EEEvT1_,comdat
	.protected	_ZN7rocprim17ROCPRIM_400000_NS6detail17trampoline_kernelINS0_14default_configENS1_20scan_config_selectorIsEEZZNS1_9scan_implILNS1_25lookback_scan_determinismE0ELb0ELb0ES3_N6thrust23THRUST_200600_302600_NS6detail15normal_iteratorINS9_10device_ptrIsEEEENS9_16discard_iteratorINS9_11use_defaultEEEs11max_functorIsEsEEDaPvRmT3_T4_T5_mT6_P12ihipStream_tbENKUlT_T0_E_clISt17integral_constantIbLb1EESW_IbLb0EEEEDaSS_ST_EUlSS_E0_NS1_11comp_targetILNS1_3genE5ELNS1_11target_archE942ELNS1_3gpuE9ELNS1_3repE0EEENS1_30default_config_static_selectorELNS0_4arch9wavefront6targetE1EEEvT1_ ; -- Begin function _ZN7rocprim17ROCPRIM_400000_NS6detail17trampoline_kernelINS0_14default_configENS1_20scan_config_selectorIsEEZZNS1_9scan_implILNS1_25lookback_scan_determinismE0ELb0ELb0ES3_N6thrust23THRUST_200600_302600_NS6detail15normal_iteratorINS9_10device_ptrIsEEEENS9_16discard_iteratorINS9_11use_defaultEEEs11max_functorIsEsEEDaPvRmT3_T4_T5_mT6_P12ihipStream_tbENKUlT_T0_E_clISt17integral_constantIbLb1EESW_IbLb0EEEEDaSS_ST_EUlSS_E0_NS1_11comp_targetILNS1_3genE5ELNS1_11target_archE942ELNS1_3gpuE9ELNS1_3repE0EEENS1_30default_config_static_selectorELNS0_4arch9wavefront6targetE1EEEvT1_
	.globl	_ZN7rocprim17ROCPRIM_400000_NS6detail17trampoline_kernelINS0_14default_configENS1_20scan_config_selectorIsEEZZNS1_9scan_implILNS1_25lookback_scan_determinismE0ELb0ELb0ES3_N6thrust23THRUST_200600_302600_NS6detail15normal_iteratorINS9_10device_ptrIsEEEENS9_16discard_iteratorINS9_11use_defaultEEEs11max_functorIsEsEEDaPvRmT3_T4_T5_mT6_P12ihipStream_tbENKUlT_T0_E_clISt17integral_constantIbLb1EESW_IbLb0EEEEDaSS_ST_EUlSS_E0_NS1_11comp_targetILNS1_3genE5ELNS1_11target_archE942ELNS1_3gpuE9ELNS1_3repE0EEENS1_30default_config_static_selectorELNS0_4arch9wavefront6targetE1EEEvT1_
	.p2align	8
	.type	_ZN7rocprim17ROCPRIM_400000_NS6detail17trampoline_kernelINS0_14default_configENS1_20scan_config_selectorIsEEZZNS1_9scan_implILNS1_25lookback_scan_determinismE0ELb0ELb0ES3_N6thrust23THRUST_200600_302600_NS6detail15normal_iteratorINS9_10device_ptrIsEEEENS9_16discard_iteratorINS9_11use_defaultEEEs11max_functorIsEsEEDaPvRmT3_T4_T5_mT6_P12ihipStream_tbENKUlT_T0_E_clISt17integral_constantIbLb1EESW_IbLb0EEEEDaSS_ST_EUlSS_E0_NS1_11comp_targetILNS1_3genE5ELNS1_11target_archE942ELNS1_3gpuE9ELNS1_3repE0EEENS1_30default_config_static_selectorELNS0_4arch9wavefront6targetE1EEEvT1_,@function
_ZN7rocprim17ROCPRIM_400000_NS6detail17trampoline_kernelINS0_14default_configENS1_20scan_config_selectorIsEEZZNS1_9scan_implILNS1_25lookback_scan_determinismE0ELb0ELb0ES3_N6thrust23THRUST_200600_302600_NS6detail15normal_iteratorINS9_10device_ptrIsEEEENS9_16discard_iteratorINS9_11use_defaultEEEs11max_functorIsEsEEDaPvRmT3_T4_T5_mT6_P12ihipStream_tbENKUlT_T0_E_clISt17integral_constantIbLb1EESW_IbLb0EEEEDaSS_ST_EUlSS_E0_NS1_11comp_targetILNS1_3genE5ELNS1_11target_archE942ELNS1_3gpuE9ELNS1_3repE0EEENS1_30default_config_static_selectorELNS0_4arch9wavefront6targetE1EEEvT1_: ; @_ZN7rocprim17ROCPRIM_400000_NS6detail17trampoline_kernelINS0_14default_configENS1_20scan_config_selectorIsEEZZNS1_9scan_implILNS1_25lookback_scan_determinismE0ELb0ELb0ES3_N6thrust23THRUST_200600_302600_NS6detail15normal_iteratorINS9_10device_ptrIsEEEENS9_16discard_iteratorINS9_11use_defaultEEEs11max_functorIsEsEEDaPvRmT3_T4_T5_mT6_P12ihipStream_tbENKUlT_T0_E_clISt17integral_constantIbLb1EESW_IbLb0EEEEDaSS_ST_EUlSS_E0_NS1_11comp_targetILNS1_3genE5ELNS1_11target_archE942ELNS1_3gpuE9ELNS1_3repE0EEENS1_30default_config_static_selectorELNS0_4arch9wavefront6targetE1EEEvT1_
; %bb.0:
	.section	.rodata,"a",@progbits
	.p2align	6, 0x0
	.amdhsa_kernel _ZN7rocprim17ROCPRIM_400000_NS6detail17trampoline_kernelINS0_14default_configENS1_20scan_config_selectorIsEEZZNS1_9scan_implILNS1_25lookback_scan_determinismE0ELb0ELb0ES3_N6thrust23THRUST_200600_302600_NS6detail15normal_iteratorINS9_10device_ptrIsEEEENS9_16discard_iteratorINS9_11use_defaultEEEs11max_functorIsEsEEDaPvRmT3_T4_T5_mT6_P12ihipStream_tbENKUlT_T0_E_clISt17integral_constantIbLb1EESW_IbLb0EEEEDaSS_ST_EUlSS_E0_NS1_11comp_targetILNS1_3genE5ELNS1_11target_archE942ELNS1_3gpuE9ELNS1_3repE0EEENS1_30default_config_static_selectorELNS0_4arch9wavefront6targetE1EEEvT1_
		.amdhsa_group_segment_fixed_size 0
		.amdhsa_private_segment_fixed_size 0
		.amdhsa_kernarg_size 40
		.amdhsa_user_sgpr_count 6
		.amdhsa_user_sgpr_private_segment_buffer 1
		.amdhsa_user_sgpr_dispatch_ptr 0
		.amdhsa_user_sgpr_queue_ptr 0
		.amdhsa_user_sgpr_kernarg_segment_ptr 1
		.amdhsa_user_sgpr_dispatch_id 0
		.amdhsa_user_sgpr_flat_scratch_init 0
		.amdhsa_user_sgpr_kernarg_preload_length 0
		.amdhsa_user_sgpr_kernarg_preload_offset 0
		.amdhsa_user_sgpr_private_segment_size 0
		.amdhsa_uses_dynamic_stack 0
		.amdhsa_system_sgpr_private_segment_wavefront_offset 0
		.amdhsa_system_sgpr_workgroup_id_x 1
		.amdhsa_system_sgpr_workgroup_id_y 0
		.amdhsa_system_sgpr_workgroup_id_z 0
		.amdhsa_system_sgpr_workgroup_info 0
		.amdhsa_system_vgpr_workitem_id 0
		.amdhsa_next_free_vgpr 1
		.amdhsa_next_free_sgpr 0
		.amdhsa_accum_offset 4
		.amdhsa_reserve_vcc 0
		.amdhsa_reserve_flat_scratch 0
		.amdhsa_float_round_mode_32 0
		.amdhsa_float_round_mode_16_64 0
		.amdhsa_float_denorm_mode_32 3
		.amdhsa_float_denorm_mode_16_64 3
		.amdhsa_dx10_clamp 1
		.amdhsa_ieee_mode 1
		.amdhsa_fp16_overflow 0
		.amdhsa_tg_split 0
		.amdhsa_exception_fp_ieee_invalid_op 0
		.amdhsa_exception_fp_denorm_src 0
		.amdhsa_exception_fp_ieee_div_zero 0
		.amdhsa_exception_fp_ieee_overflow 0
		.amdhsa_exception_fp_ieee_underflow 0
		.amdhsa_exception_fp_ieee_inexact 0
		.amdhsa_exception_int_div_zero 0
	.end_amdhsa_kernel
	.section	.text._ZN7rocprim17ROCPRIM_400000_NS6detail17trampoline_kernelINS0_14default_configENS1_20scan_config_selectorIsEEZZNS1_9scan_implILNS1_25lookback_scan_determinismE0ELb0ELb0ES3_N6thrust23THRUST_200600_302600_NS6detail15normal_iteratorINS9_10device_ptrIsEEEENS9_16discard_iteratorINS9_11use_defaultEEEs11max_functorIsEsEEDaPvRmT3_T4_T5_mT6_P12ihipStream_tbENKUlT_T0_E_clISt17integral_constantIbLb1EESW_IbLb0EEEEDaSS_ST_EUlSS_E0_NS1_11comp_targetILNS1_3genE5ELNS1_11target_archE942ELNS1_3gpuE9ELNS1_3repE0EEENS1_30default_config_static_selectorELNS0_4arch9wavefront6targetE1EEEvT1_,"axG",@progbits,_ZN7rocprim17ROCPRIM_400000_NS6detail17trampoline_kernelINS0_14default_configENS1_20scan_config_selectorIsEEZZNS1_9scan_implILNS1_25lookback_scan_determinismE0ELb0ELb0ES3_N6thrust23THRUST_200600_302600_NS6detail15normal_iteratorINS9_10device_ptrIsEEEENS9_16discard_iteratorINS9_11use_defaultEEEs11max_functorIsEsEEDaPvRmT3_T4_T5_mT6_P12ihipStream_tbENKUlT_T0_E_clISt17integral_constantIbLb1EESW_IbLb0EEEEDaSS_ST_EUlSS_E0_NS1_11comp_targetILNS1_3genE5ELNS1_11target_archE942ELNS1_3gpuE9ELNS1_3repE0EEENS1_30default_config_static_selectorELNS0_4arch9wavefront6targetE1EEEvT1_,comdat
.Lfunc_end4044:
	.size	_ZN7rocprim17ROCPRIM_400000_NS6detail17trampoline_kernelINS0_14default_configENS1_20scan_config_selectorIsEEZZNS1_9scan_implILNS1_25lookback_scan_determinismE0ELb0ELb0ES3_N6thrust23THRUST_200600_302600_NS6detail15normal_iteratorINS9_10device_ptrIsEEEENS9_16discard_iteratorINS9_11use_defaultEEEs11max_functorIsEsEEDaPvRmT3_T4_T5_mT6_P12ihipStream_tbENKUlT_T0_E_clISt17integral_constantIbLb1EESW_IbLb0EEEEDaSS_ST_EUlSS_E0_NS1_11comp_targetILNS1_3genE5ELNS1_11target_archE942ELNS1_3gpuE9ELNS1_3repE0EEENS1_30default_config_static_selectorELNS0_4arch9wavefront6targetE1EEEvT1_, .Lfunc_end4044-_ZN7rocprim17ROCPRIM_400000_NS6detail17trampoline_kernelINS0_14default_configENS1_20scan_config_selectorIsEEZZNS1_9scan_implILNS1_25lookback_scan_determinismE0ELb0ELb0ES3_N6thrust23THRUST_200600_302600_NS6detail15normal_iteratorINS9_10device_ptrIsEEEENS9_16discard_iteratorINS9_11use_defaultEEEs11max_functorIsEsEEDaPvRmT3_T4_T5_mT6_P12ihipStream_tbENKUlT_T0_E_clISt17integral_constantIbLb1EESW_IbLb0EEEEDaSS_ST_EUlSS_E0_NS1_11comp_targetILNS1_3genE5ELNS1_11target_archE942ELNS1_3gpuE9ELNS1_3repE0EEENS1_30default_config_static_selectorELNS0_4arch9wavefront6targetE1EEEvT1_
                                        ; -- End function
	.section	.AMDGPU.csdata,"",@progbits
; Kernel info:
; codeLenInByte = 0
; NumSgprs: 4
; NumVgprs: 0
; NumAgprs: 0
; TotalNumVgprs: 0
; ScratchSize: 0
; MemoryBound: 0
; FloatMode: 240
; IeeeMode: 1
; LDSByteSize: 0 bytes/workgroup (compile time only)
; SGPRBlocks: 0
; VGPRBlocks: 0
; NumSGPRsForWavesPerEU: 4
; NumVGPRsForWavesPerEU: 1
; AccumOffset: 4
; Occupancy: 8
; WaveLimiterHint : 0
; COMPUTE_PGM_RSRC2:SCRATCH_EN: 0
; COMPUTE_PGM_RSRC2:USER_SGPR: 6
; COMPUTE_PGM_RSRC2:TRAP_HANDLER: 0
; COMPUTE_PGM_RSRC2:TGID_X_EN: 1
; COMPUTE_PGM_RSRC2:TGID_Y_EN: 0
; COMPUTE_PGM_RSRC2:TGID_Z_EN: 0
; COMPUTE_PGM_RSRC2:TIDIG_COMP_CNT: 0
; COMPUTE_PGM_RSRC3_GFX90A:ACCUM_OFFSET: 0
; COMPUTE_PGM_RSRC3_GFX90A:TG_SPLIT: 0
	.section	.text._ZN7rocprim17ROCPRIM_400000_NS6detail17trampoline_kernelINS0_14default_configENS1_20scan_config_selectorIsEEZZNS1_9scan_implILNS1_25lookback_scan_determinismE0ELb0ELb0ES3_N6thrust23THRUST_200600_302600_NS6detail15normal_iteratorINS9_10device_ptrIsEEEENS9_16discard_iteratorINS9_11use_defaultEEEs11max_functorIsEsEEDaPvRmT3_T4_T5_mT6_P12ihipStream_tbENKUlT_T0_E_clISt17integral_constantIbLb1EESW_IbLb0EEEEDaSS_ST_EUlSS_E0_NS1_11comp_targetILNS1_3genE4ELNS1_11target_archE910ELNS1_3gpuE8ELNS1_3repE0EEENS1_30default_config_static_selectorELNS0_4arch9wavefront6targetE1EEEvT1_,"axG",@progbits,_ZN7rocprim17ROCPRIM_400000_NS6detail17trampoline_kernelINS0_14default_configENS1_20scan_config_selectorIsEEZZNS1_9scan_implILNS1_25lookback_scan_determinismE0ELb0ELb0ES3_N6thrust23THRUST_200600_302600_NS6detail15normal_iteratorINS9_10device_ptrIsEEEENS9_16discard_iteratorINS9_11use_defaultEEEs11max_functorIsEsEEDaPvRmT3_T4_T5_mT6_P12ihipStream_tbENKUlT_T0_E_clISt17integral_constantIbLb1EESW_IbLb0EEEEDaSS_ST_EUlSS_E0_NS1_11comp_targetILNS1_3genE4ELNS1_11target_archE910ELNS1_3gpuE8ELNS1_3repE0EEENS1_30default_config_static_selectorELNS0_4arch9wavefront6targetE1EEEvT1_,comdat
	.protected	_ZN7rocprim17ROCPRIM_400000_NS6detail17trampoline_kernelINS0_14default_configENS1_20scan_config_selectorIsEEZZNS1_9scan_implILNS1_25lookback_scan_determinismE0ELb0ELb0ES3_N6thrust23THRUST_200600_302600_NS6detail15normal_iteratorINS9_10device_ptrIsEEEENS9_16discard_iteratorINS9_11use_defaultEEEs11max_functorIsEsEEDaPvRmT3_T4_T5_mT6_P12ihipStream_tbENKUlT_T0_E_clISt17integral_constantIbLb1EESW_IbLb0EEEEDaSS_ST_EUlSS_E0_NS1_11comp_targetILNS1_3genE4ELNS1_11target_archE910ELNS1_3gpuE8ELNS1_3repE0EEENS1_30default_config_static_selectorELNS0_4arch9wavefront6targetE1EEEvT1_ ; -- Begin function _ZN7rocprim17ROCPRIM_400000_NS6detail17trampoline_kernelINS0_14default_configENS1_20scan_config_selectorIsEEZZNS1_9scan_implILNS1_25lookback_scan_determinismE0ELb0ELb0ES3_N6thrust23THRUST_200600_302600_NS6detail15normal_iteratorINS9_10device_ptrIsEEEENS9_16discard_iteratorINS9_11use_defaultEEEs11max_functorIsEsEEDaPvRmT3_T4_T5_mT6_P12ihipStream_tbENKUlT_T0_E_clISt17integral_constantIbLb1EESW_IbLb0EEEEDaSS_ST_EUlSS_E0_NS1_11comp_targetILNS1_3genE4ELNS1_11target_archE910ELNS1_3gpuE8ELNS1_3repE0EEENS1_30default_config_static_selectorELNS0_4arch9wavefront6targetE1EEEvT1_
	.globl	_ZN7rocprim17ROCPRIM_400000_NS6detail17trampoline_kernelINS0_14default_configENS1_20scan_config_selectorIsEEZZNS1_9scan_implILNS1_25lookback_scan_determinismE0ELb0ELb0ES3_N6thrust23THRUST_200600_302600_NS6detail15normal_iteratorINS9_10device_ptrIsEEEENS9_16discard_iteratorINS9_11use_defaultEEEs11max_functorIsEsEEDaPvRmT3_T4_T5_mT6_P12ihipStream_tbENKUlT_T0_E_clISt17integral_constantIbLb1EESW_IbLb0EEEEDaSS_ST_EUlSS_E0_NS1_11comp_targetILNS1_3genE4ELNS1_11target_archE910ELNS1_3gpuE8ELNS1_3repE0EEENS1_30default_config_static_selectorELNS0_4arch9wavefront6targetE1EEEvT1_
	.p2align	8
	.type	_ZN7rocprim17ROCPRIM_400000_NS6detail17trampoline_kernelINS0_14default_configENS1_20scan_config_selectorIsEEZZNS1_9scan_implILNS1_25lookback_scan_determinismE0ELb0ELb0ES3_N6thrust23THRUST_200600_302600_NS6detail15normal_iteratorINS9_10device_ptrIsEEEENS9_16discard_iteratorINS9_11use_defaultEEEs11max_functorIsEsEEDaPvRmT3_T4_T5_mT6_P12ihipStream_tbENKUlT_T0_E_clISt17integral_constantIbLb1EESW_IbLb0EEEEDaSS_ST_EUlSS_E0_NS1_11comp_targetILNS1_3genE4ELNS1_11target_archE910ELNS1_3gpuE8ELNS1_3repE0EEENS1_30default_config_static_selectorELNS0_4arch9wavefront6targetE1EEEvT1_,@function
_ZN7rocprim17ROCPRIM_400000_NS6detail17trampoline_kernelINS0_14default_configENS1_20scan_config_selectorIsEEZZNS1_9scan_implILNS1_25lookback_scan_determinismE0ELb0ELb0ES3_N6thrust23THRUST_200600_302600_NS6detail15normal_iteratorINS9_10device_ptrIsEEEENS9_16discard_iteratorINS9_11use_defaultEEEs11max_functorIsEsEEDaPvRmT3_T4_T5_mT6_P12ihipStream_tbENKUlT_T0_E_clISt17integral_constantIbLb1EESW_IbLb0EEEEDaSS_ST_EUlSS_E0_NS1_11comp_targetILNS1_3genE4ELNS1_11target_archE910ELNS1_3gpuE8ELNS1_3repE0EEENS1_30default_config_static_selectorELNS0_4arch9wavefront6targetE1EEEvT1_: ; @_ZN7rocprim17ROCPRIM_400000_NS6detail17trampoline_kernelINS0_14default_configENS1_20scan_config_selectorIsEEZZNS1_9scan_implILNS1_25lookback_scan_determinismE0ELb0ELb0ES3_N6thrust23THRUST_200600_302600_NS6detail15normal_iteratorINS9_10device_ptrIsEEEENS9_16discard_iteratorINS9_11use_defaultEEEs11max_functorIsEsEEDaPvRmT3_T4_T5_mT6_P12ihipStream_tbENKUlT_T0_E_clISt17integral_constantIbLb1EESW_IbLb0EEEEDaSS_ST_EUlSS_E0_NS1_11comp_targetILNS1_3genE4ELNS1_11target_archE910ELNS1_3gpuE8ELNS1_3repE0EEENS1_30default_config_static_selectorELNS0_4arch9wavefront6targetE1EEEvT1_
; %bb.0:
	s_load_dwordx4 s[0:3], s[4:5], 0x0
	v_mov_b32_e32 v1, 0
	s_waitcnt lgkmcnt(0)
	global_load_ushort v2, v1, s[0:1]
	v_cmp_gt_u32_e32 vcc, s2, v0
	v_lshlrev_b32_e32 v1, 1, v0
	s_waitcnt vmcnt(0)
	v_mov_b32_e32 v3, v2
	s_and_saveexec_b64 s[4:5], vcc
	s_cbranch_execz .LBB4045_2
; %bb.1:
	global_load_ushort v3, v1, s[0:1]
.LBB4045_2:
	s_or_b64 exec, exec, s[4:5]
	v_or_b32_e32 v4, 64, v0
	v_cmp_gt_u32_e32 vcc, s2, v4
	v_mov_b32_e32 v4, v2
	s_and_saveexec_b64 s[4:5], vcc
	s_cbranch_execz .LBB4045_4
; %bb.3:
	global_load_ushort v4, v1, s[0:1] offset:128
.LBB4045_4:
	s_or_b64 exec, exec, s[4:5]
	v_or_b32_e32 v5, 0x80, v0
	v_cmp_gt_u32_e32 vcc, s2, v5
	v_mov_b32_e32 v5, v2
	s_and_saveexec_b64 s[4:5], vcc
	s_cbranch_execz .LBB4045_6
; %bb.5:
	global_load_ushort v5, v1, s[0:1] offset:256
.LBB4045_6:
	;; [unrolled: 9-line block ×22, first 2 shown]
	s_or_b64 exec, exec, s[4:5]
	v_or_b32_e32 v26, 0x5c0, v0
	v_cmp_gt_u32_e32 vcc, s2, v26
	s_and_saveexec_b64 s[2:3], vcc
	s_cbranch_execz .LBB4045_48
; %bb.47:
	global_load_ushort v2, v1, s[0:1] offset:2944
.LBB4045_48:
	s_or_b64 exec, exec, s[2:3]
	s_waitcnt vmcnt(0)
	ds_write_b16 v1, v3
	ds_write_b16 v1, v4 offset:128
	ds_write_b16 v1, v5 offset:256
	;; [unrolled: 1-line block ×23, first 2 shown]
	v_mad_u32_u24 v6, v0, 46, v1
	s_waitcnt lgkmcnt(0)
	; wave barrier
	s_waitcnt lgkmcnt(0)
	ds_read_b128 v[2:5], v6
	ds_read_b128 v[10:13], v6 offset:16
	ds_read_b128 v[6:9], v6 offset:32
	v_mbcnt_lo_u32_b32 v37, -1, 0
	v_mbcnt_hi_u32_b32 v37, -1, v37
	s_waitcnt lgkmcnt(2)
	v_max_i16_sdwa v14, v2, v2 dst_sel:DWORD dst_unused:UNUSED_PAD src0_sel:DWORD src1_sel:WORD_1
	v_max_i16_e32 v15, v14, v3
	v_max_i16_sdwa v17, v15, v3 dst_sel:DWORD dst_unused:UNUSED_PAD src0_sel:DWORD src1_sel:WORD_1
	v_max_i16_e32 v19, v17, v4
	;; [unrolled: 2-line block ×3, first 2 shown]
	v_max_i16_sdwa v27, v24, v5 dst_sel:DWORD dst_unused:UNUSED_PAD src0_sel:DWORD src1_sel:WORD_1
	s_waitcnt lgkmcnt(1)
	v_max_i16_e32 v16, v27, v10
	v_max_i16_sdwa v18, v16, v10 dst_sel:DWORD dst_unused:UNUSED_PAD src0_sel:DWORD src1_sel:WORD_1
	v_max_i16_e32 v20, v18, v11
	v_max_i16_sdwa v23, v20, v11 dst_sel:DWORD dst_unused:UNUSED_PAD src0_sel:DWORD src1_sel:WORD_1
	;; [unrolled: 2-line block ×4, first 2 shown]
	s_waitcnt lgkmcnt(0)
	v_max_i16_e32 v22, v33, v6
	v_max_i16_sdwa v25, v22, v6 dst_sel:DWORD dst_unused:UNUSED_PAD src0_sel:DWORD src1_sel:WORD_1
	v_max_i16_e32 v28, v25, v7
	v_max_i16_sdwa v30, v28, v7 dst_sel:DWORD dst_unused:UNUSED_PAD src0_sel:DWORD src1_sel:WORD_1
	;; [unrolled: 2-line block ×4, first 2 shown]
	v_and_b32_e32 v38, 15, v37
	v_cmp_eq_u32_e32 vcc, 0, v38
	v_mov_b32_dpp v39, v36 row_shr:1 row_mask:0xf bank_mask:0xf
	v_max_i16_e32 v39, v39, v36
	v_cndmask_b32_e32 v39, v39, v36, vcc
	v_and_b32_e32 v40, 0xffff, v39
	v_cmp_lt_u32_e32 vcc, 1, v38
	s_nop 0
	v_mov_b32_dpp v40, v40 row_shr:2 row_mask:0xf bank_mask:0xf
	v_max_i16_e32 v40, v40, v39
	v_cndmask_b32_e32 v39, v39, v40, vcc
	v_and_b32_e32 v40, 0xffff, v39
	v_cmp_lt_u32_e32 vcc, 3, v38
	; wave barrier
	s_nop 0
	v_mov_b32_dpp v40, v40 row_shr:4 row_mask:0xf bank_mask:0xf
	v_max_i16_e32 v40, v40, v39
	v_cndmask_b32_e32 v39, v39, v40, vcc
	v_and_b32_e32 v40, 0xffff, v39
	v_cmp_lt_u32_e32 vcc, 7, v38
	s_nop 0
	v_mov_b32_dpp v40, v40 row_shr:8 row_mask:0xf bank_mask:0xf
	v_max_i16_e32 v40, v40, v39
	v_cndmask_b32_e32 v38, v39, v40, vcc
	v_and_b32_e32 v39, 0xffff, v38
	v_and_b32_e32 v40, 16, v37
	v_cmp_eq_u32_e32 vcc, 0, v40
	v_mov_b32_dpp v39, v39 row_bcast:15 row_mask:0xf bank_mask:0xf
	v_max_i16_e32 v39, v39, v38
	v_cndmask_b32_e32 v38, v39, v38, vcc
	v_and_b32_e32 v39, 0xffff, v38
	v_cmp_lt_u32_e32 vcc, 31, v37
	s_nop 0
	v_mov_b32_dpp v39, v39 row_bcast:31 row_mask:0xf bank_mask:0xf
	v_max_i16_e32 v39, v39, v38
	v_cndmask_b32_e32 v38, v38, v39, vcc
	v_cmp_eq_u32_e32 vcc, 63, v0
	s_and_saveexec_b64 s[0:1], vcc
	s_cbranch_execz .LBB4045_50
; %bb.49:
	v_mov_b32_e32 v39, 0
	ds_write_b16 v39, v38
.LBB4045_50:
	s_or_b64 exec, exec, s[0:1]
	v_add_u32_e32 v39, -1, v37
	v_and_b32_e32 v40, 64, v37
	v_cmp_lt_i32_e32 vcc, v39, v40
	v_cndmask_b32_e32 v37, v39, v37, vcc
	v_and_b32_e32 v38, 0xffff, v38
	v_lshlrev_b32_e32 v37, 2, v37
	ds_bpermute_b32 v38, v37, v38
	v_mul_u32_u24_e32 v37, 46, v0
	v_cmp_ne_u32_e32 vcc, 0, v0
	s_waitcnt lgkmcnt(0)
	; wave barrier
	s_waitcnt lgkmcnt(0)
	s_and_saveexec_b64 s[0:1], vcc
	s_cbranch_execz .LBB4045_52
; %bb.51:
	v_max_i16_e32 v0, v38, v2
	v_max_i16_sdwa v14, v0, v2 dst_sel:DWORD dst_unused:UNUSED_PAD src0_sel:DWORD src1_sel:WORD_1
	v_max_i16_e32 v15, v14, v3
	v_max_i16_sdwa v17, v15, v3 dst_sel:DWORD dst_unused:UNUSED_PAD src0_sel:DWORD src1_sel:WORD_1
	;; [unrolled: 2-line block ×12, first 2 shown]
	v_mov_b32_e32 v2, v0
	;;#ASMSTART
	;;#ASMEND
.LBB4045_52:
	s_or_b64 exec, exec, s[0:1]
	s_mov_b32 s0, 0x5040100
	v_add_u32_e32 v6, v1, v37
	v_perm_b32 v5, v27, v24, s0
	v_perm_b32 v4, v21, v19, s0
	;; [unrolled: 1-line block ×4, first 2 shown]
	s_waitcnt lgkmcnt(0)
	; wave barrier
	ds_write_b128 v6, v[2:5]
	v_perm_b32 v3, v33, v31, s0
	v_perm_b32 v2, v29, v26, s0
	;; [unrolled: 1-line block ×4, first 2 shown]
	ds_write_b128 v6, v[0:3] offset:16
	v_perm_b32 v3, v36, v35, s0
	v_perm_b32 v2, v34, v32, s0
	;; [unrolled: 1-line block ×4, first 2 shown]
	ds_write_b128 v6, v[0:3] offset:32
	s_waitcnt lgkmcnt(0)
	; wave barrier
	s_waitcnt lgkmcnt(0)
	s_endpgm
	.section	.rodata,"a",@progbits
	.p2align	6, 0x0
	.amdhsa_kernel _ZN7rocprim17ROCPRIM_400000_NS6detail17trampoline_kernelINS0_14default_configENS1_20scan_config_selectorIsEEZZNS1_9scan_implILNS1_25lookback_scan_determinismE0ELb0ELb0ES3_N6thrust23THRUST_200600_302600_NS6detail15normal_iteratorINS9_10device_ptrIsEEEENS9_16discard_iteratorINS9_11use_defaultEEEs11max_functorIsEsEEDaPvRmT3_T4_T5_mT6_P12ihipStream_tbENKUlT_T0_E_clISt17integral_constantIbLb1EESW_IbLb0EEEEDaSS_ST_EUlSS_E0_NS1_11comp_targetILNS1_3genE4ELNS1_11target_archE910ELNS1_3gpuE8ELNS1_3repE0EEENS1_30default_config_static_selectorELNS0_4arch9wavefront6targetE1EEEvT1_
		.amdhsa_group_segment_fixed_size 3072
		.amdhsa_private_segment_fixed_size 0
		.amdhsa_kernarg_size 40
		.amdhsa_user_sgpr_count 6
		.amdhsa_user_sgpr_private_segment_buffer 1
		.amdhsa_user_sgpr_dispatch_ptr 0
		.amdhsa_user_sgpr_queue_ptr 0
		.amdhsa_user_sgpr_kernarg_segment_ptr 1
		.amdhsa_user_sgpr_dispatch_id 0
		.amdhsa_user_sgpr_flat_scratch_init 0
		.amdhsa_user_sgpr_kernarg_preload_length 0
		.amdhsa_user_sgpr_kernarg_preload_offset 0
		.amdhsa_user_sgpr_private_segment_size 0
		.amdhsa_uses_dynamic_stack 0
		.amdhsa_system_sgpr_private_segment_wavefront_offset 0
		.amdhsa_system_sgpr_workgroup_id_x 1
		.amdhsa_system_sgpr_workgroup_id_y 0
		.amdhsa_system_sgpr_workgroup_id_z 0
		.amdhsa_system_sgpr_workgroup_info 0
		.amdhsa_system_vgpr_workitem_id 0
		.amdhsa_next_free_vgpr 41
		.amdhsa_next_free_sgpr 6
		.amdhsa_accum_offset 44
		.amdhsa_reserve_vcc 1
		.amdhsa_reserve_flat_scratch 0
		.amdhsa_float_round_mode_32 0
		.amdhsa_float_round_mode_16_64 0
		.amdhsa_float_denorm_mode_32 3
		.amdhsa_float_denorm_mode_16_64 3
		.amdhsa_dx10_clamp 1
		.amdhsa_ieee_mode 1
		.amdhsa_fp16_overflow 0
		.amdhsa_tg_split 0
		.amdhsa_exception_fp_ieee_invalid_op 0
		.amdhsa_exception_fp_denorm_src 0
		.amdhsa_exception_fp_ieee_div_zero 0
		.amdhsa_exception_fp_ieee_overflow 0
		.amdhsa_exception_fp_ieee_underflow 0
		.amdhsa_exception_fp_ieee_inexact 0
		.amdhsa_exception_int_div_zero 0
	.end_amdhsa_kernel
	.section	.text._ZN7rocprim17ROCPRIM_400000_NS6detail17trampoline_kernelINS0_14default_configENS1_20scan_config_selectorIsEEZZNS1_9scan_implILNS1_25lookback_scan_determinismE0ELb0ELb0ES3_N6thrust23THRUST_200600_302600_NS6detail15normal_iteratorINS9_10device_ptrIsEEEENS9_16discard_iteratorINS9_11use_defaultEEEs11max_functorIsEsEEDaPvRmT3_T4_T5_mT6_P12ihipStream_tbENKUlT_T0_E_clISt17integral_constantIbLb1EESW_IbLb0EEEEDaSS_ST_EUlSS_E0_NS1_11comp_targetILNS1_3genE4ELNS1_11target_archE910ELNS1_3gpuE8ELNS1_3repE0EEENS1_30default_config_static_selectorELNS0_4arch9wavefront6targetE1EEEvT1_,"axG",@progbits,_ZN7rocprim17ROCPRIM_400000_NS6detail17trampoline_kernelINS0_14default_configENS1_20scan_config_selectorIsEEZZNS1_9scan_implILNS1_25lookback_scan_determinismE0ELb0ELb0ES3_N6thrust23THRUST_200600_302600_NS6detail15normal_iteratorINS9_10device_ptrIsEEEENS9_16discard_iteratorINS9_11use_defaultEEEs11max_functorIsEsEEDaPvRmT3_T4_T5_mT6_P12ihipStream_tbENKUlT_T0_E_clISt17integral_constantIbLb1EESW_IbLb0EEEEDaSS_ST_EUlSS_E0_NS1_11comp_targetILNS1_3genE4ELNS1_11target_archE910ELNS1_3gpuE8ELNS1_3repE0EEENS1_30default_config_static_selectorELNS0_4arch9wavefront6targetE1EEEvT1_,comdat
.Lfunc_end4045:
	.size	_ZN7rocprim17ROCPRIM_400000_NS6detail17trampoline_kernelINS0_14default_configENS1_20scan_config_selectorIsEEZZNS1_9scan_implILNS1_25lookback_scan_determinismE0ELb0ELb0ES3_N6thrust23THRUST_200600_302600_NS6detail15normal_iteratorINS9_10device_ptrIsEEEENS9_16discard_iteratorINS9_11use_defaultEEEs11max_functorIsEsEEDaPvRmT3_T4_T5_mT6_P12ihipStream_tbENKUlT_T0_E_clISt17integral_constantIbLb1EESW_IbLb0EEEEDaSS_ST_EUlSS_E0_NS1_11comp_targetILNS1_3genE4ELNS1_11target_archE910ELNS1_3gpuE8ELNS1_3repE0EEENS1_30default_config_static_selectorELNS0_4arch9wavefront6targetE1EEEvT1_, .Lfunc_end4045-_ZN7rocprim17ROCPRIM_400000_NS6detail17trampoline_kernelINS0_14default_configENS1_20scan_config_selectorIsEEZZNS1_9scan_implILNS1_25lookback_scan_determinismE0ELb0ELb0ES3_N6thrust23THRUST_200600_302600_NS6detail15normal_iteratorINS9_10device_ptrIsEEEENS9_16discard_iteratorINS9_11use_defaultEEEs11max_functorIsEsEEDaPvRmT3_T4_T5_mT6_P12ihipStream_tbENKUlT_T0_E_clISt17integral_constantIbLb1EESW_IbLb0EEEEDaSS_ST_EUlSS_E0_NS1_11comp_targetILNS1_3genE4ELNS1_11target_archE910ELNS1_3gpuE8ELNS1_3repE0EEENS1_30default_config_static_selectorELNS0_4arch9wavefront6targetE1EEEvT1_
                                        ; -- End function
	.section	.AMDGPU.csdata,"",@progbits
; Kernel info:
; codeLenInByte = 1856
; NumSgprs: 10
; NumVgprs: 41
; NumAgprs: 0
; TotalNumVgprs: 41
; ScratchSize: 0
; MemoryBound: 0
; FloatMode: 240
; IeeeMode: 1
; LDSByteSize: 3072 bytes/workgroup (compile time only)
; SGPRBlocks: 1
; VGPRBlocks: 5
; NumSGPRsForWavesPerEU: 10
; NumVGPRsForWavesPerEU: 41
; AccumOffset: 44
; Occupancy: 6
; WaveLimiterHint : 0
; COMPUTE_PGM_RSRC2:SCRATCH_EN: 0
; COMPUTE_PGM_RSRC2:USER_SGPR: 6
; COMPUTE_PGM_RSRC2:TRAP_HANDLER: 0
; COMPUTE_PGM_RSRC2:TGID_X_EN: 1
; COMPUTE_PGM_RSRC2:TGID_Y_EN: 0
; COMPUTE_PGM_RSRC2:TGID_Z_EN: 0
; COMPUTE_PGM_RSRC2:TIDIG_COMP_CNT: 0
; COMPUTE_PGM_RSRC3_GFX90A:ACCUM_OFFSET: 10
; COMPUTE_PGM_RSRC3_GFX90A:TG_SPLIT: 0
	.section	.text._ZN7rocprim17ROCPRIM_400000_NS6detail17trampoline_kernelINS0_14default_configENS1_20scan_config_selectorIsEEZZNS1_9scan_implILNS1_25lookback_scan_determinismE0ELb0ELb0ES3_N6thrust23THRUST_200600_302600_NS6detail15normal_iteratorINS9_10device_ptrIsEEEENS9_16discard_iteratorINS9_11use_defaultEEEs11max_functorIsEsEEDaPvRmT3_T4_T5_mT6_P12ihipStream_tbENKUlT_T0_E_clISt17integral_constantIbLb1EESW_IbLb0EEEEDaSS_ST_EUlSS_E0_NS1_11comp_targetILNS1_3genE3ELNS1_11target_archE908ELNS1_3gpuE7ELNS1_3repE0EEENS1_30default_config_static_selectorELNS0_4arch9wavefront6targetE1EEEvT1_,"axG",@progbits,_ZN7rocprim17ROCPRIM_400000_NS6detail17trampoline_kernelINS0_14default_configENS1_20scan_config_selectorIsEEZZNS1_9scan_implILNS1_25lookback_scan_determinismE0ELb0ELb0ES3_N6thrust23THRUST_200600_302600_NS6detail15normal_iteratorINS9_10device_ptrIsEEEENS9_16discard_iteratorINS9_11use_defaultEEEs11max_functorIsEsEEDaPvRmT3_T4_T5_mT6_P12ihipStream_tbENKUlT_T0_E_clISt17integral_constantIbLb1EESW_IbLb0EEEEDaSS_ST_EUlSS_E0_NS1_11comp_targetILNS1_3genE3ELNS1_11target_archE908ELNS1_3gpuE7ELNS1_3repE0EEENS1_30default_config_static_selectorELNS0_4arch9wavefront6targetE1EEEvT1_,comdat
	.protected	_ZN7rocprim17ROCPRIM_400000_NS6detail17trampoline_kernelINS0_14default_configENS1_20scan_config_selectorIsEEZZNS1_9scan_implILNS1_25lookback_scan_determinismE0ELb0ELb0ES3_N6thrust23THRUST_200600_302600_NS6detail15normal_iteratorINS9_10device_ptrIsEEEENS9_16discard_iteratorINS9_11use_defaultEEEs11max_functorIsEsEEDaPvRmT3_T4_T5_mT6_P12ihipStream_tbENKUlT_T0_E_clISt17integral_constantIbLb1EESW_IbLb0EEEEDaSS_ST_EUlSS_E0_NS1_11comp_targetILNS1_3genE3ELNS1_11target_archE908ELNS1_3gpuE7ELNS1_3repE0EEENS1_30default_config_static_selectorELNS0_4arch9wavefront6targetE1EEEvT1_ ; -- Begin function _ZN7rocprim17ROCPRIM_400000_NS6detail17trampoline_kernelINS0_14default_configENS1_20scan_config_selectorIsEEZZNS1_9scan_implILNS1_25lookback_scan_determinismE0ELb0ELb0ES3_N6thrust23THRUST_200600_302600_NS6detail15normal_iteratorINS9_10device_ptrIsEEEENS9_16discard_iteratorINS9_11use_defaultEEEs11max_functorIsEsEEDaPvRmT3_T4_T5_mT6_P12ihipStream_tbENKUlT_T0_E_clISt17integral_constantIbLb1EESW_IbLb0EEEEDaSS_ST_EUlSS_E0_NS1_11comp_targetILNS1_3genE3ELNS1_11target_archE908ELNS1_3gpuE7ELNS1_3repE0EEENS1_30default_config_static_selectorELNS0_4arch9wavefront6targetE1EEEvT1_
	.globl	_ZN7rocprim17ROCPRIM_400000_NS6detail17trampoline_kernelINS0_14default_configENS1_20scan_config_selectorIsEEZZNS1_9scan_implILNS1_25lookback_scan_determinismE0ELb0ELb0ES3_N6thrust23THRUST_200600_302600_NS6detail15normal_iteratorINS9_10device_ptrIsEEEENS9_16discard_iteratorINS9_11use_defaultEEEs11max_functorIsEsEEDaPvRmT3_T4_T5_mT6_P12ihipStream_tbENKUlT_T0_E_clISt17integral_constantIbLb1EESW_IbLb0EEEEDaSS_ST_EUlSS_E0_NS1_11comp_targetILNS1_3genE3ELNS1_11target_archE908ELNS1_3gpuE7ELNS1_3repE0EEENS1_30default_config_static_selectorELNS0_4arch9wavefront6targetE1EEEvT1_
	.p2align	8
	.type	_ZN7rocprim17ROCPRIM_400000_NS6detail17trampoline_kernelINS0_14default_configENS1_20scan_config_selectorIsEEZZNS1_9scan_implILNS1_25lookback_scan_determinismE0ELb0ELb0ES3_N6thrust23THRUST_200600_302600_NS6detail15normal_iteratorINS9_10device_ptrIsEEEENS9_16discard_iteratorINS9_11use_defaultEEEs11max_functorIsEsEEDaPvRmT3_T4_T5_mT6_P12ihipStream_tbENKUlT_T0_E_clISt17integral_constantIbLb1EESW_IbLb0EEEEDaSS_ST_EUlSS_E0_NS1_11comp_targetILNS1_3genE3ELNS1_11target_archE908ELNS1_3gpuE7ELNS1_3repE0EEENS1_30default_config_static_selectorELNS0_4arch9wavefront6targetE1EEEvT1_,@function
_ZN7rocprim17ROCPRIM_400000_NS6detail17trampoline_kernelINS0_14default_configENS1_20scan_config_selectorIsEEZZNS1_9scan_implILNS1_25lookback_scan_determinismE0ELb0ELb0ES3_N6thrust23THRUST_200600_302600_NS6detail15normal_iteratorINS9_10device_ptrIsEEEENS9_16discard_iteratorINS9_11use_defaultEEEs11max_functorIsEsEEDaPvRmT3_T4_T5_mT6_P12ihipStream_tbENKUlT_T0_E_clISt17integral_constantIbLb1EESW_IbLb0EEEEDaSS_ST_EUlSS_E0_NS1_11comp_targetILNS1_3genE3ELNS1_11target_archE908ELNS1_3gpuE7ELNS1_3repE0EEENS1_30default_config_static_selectorELNS0_4arch9wavefront6targetE1EEEvT1_: ; @_ZN7rocprim17ROCPRIM_400000_NS6detail17trampoline_kernelINS0_14default_configENS1_20scan_config_selectorIsEEZZNS1_9scan_implILNS1_25lookback_scan_determinismE0ELb0ELb0ES3_N6thrust23THRUST_200600_302600_NS6detail15normal_iteratorINS9_10device_ptrIsEEEENS9_16discard_iteratorINS9_11use_defaultEEEs11max_functorIsEsEEDaPvRmT3_T4_T5_mT6_P12ihipStream_tbENKUlT_T0_E_clISt17integral_constantIbLb1EESW_IbLb0EEEEDaSS_ST_EUlSS_E0_NS1_11comp_targetILNS1_3genE3ELNS1_11target_archE908ELNS1_3gpuE7ELNS1_3repE0EEENS1_30default_config_static_selectorELNS0_4arch9wavefront6targetE1EEEvT1_
; %bb.0:
	.section	.rodata,"a",@progbits
	.p2align	6, 0x0
	.amdhsa_kernel _ZN7rocprim17ROCPRIM_400000_NS6detail17trampoline_kernelINS0_14default_configENS1_20scan_config_selectorIsEEZZNS1_9scan_implILNS1_25lookback_scan_determinismE0ELb0ELb0ES3_N6thrust23THRUST_200600_302600_NS6detail15normal_iteratorINS9_10device_ptrIsEEEENS9_16discard_iteratorINS9_11use_defaultEEEs11max_functorIsEsEEDaPvRmT3_T4_T5_mT6_P12ihipStream_tbENKUlT_T0_E_clISt17integral_constantIbLb1EESW_IbLb0EEEEDaSS_ST_EUlSS_E0_NS1_11comp_targetILNS1_3genE3ELNS1_11target_archE908ELNS1_3gpuE7ELNS1_3repE0EEENS1_30default_config_static_selectorELNS0_4arch9wavefront6targetE1EEEvT1_
		.amdhsa_group_segment_fixed_size 0
		.amdhsa_private_segment_fixed_size 0
		.amdhsa_kernarg_size 40
		.amdhsa_user_sgpr_count 6
		.amdhsa_user_sgpr_private_segment_buffer 1
		.amdhsa_user_sgpr_dispatch_ptr 0
		.amdhsa_user_sgpr_queue_ptr 0
		.amdhsa_user_sgpr_kernarg_segment_ptr 1
		.amdhsa_user_sgpr_dispatch_id 0
		.amdhsa_user_sgpr_flat_scratch_init 0
		.amdhsa_user_sgpr_kernarg_preload_length 0
		.amdhsa_user_sgpr_kernarg_preload_offset 0
		.amdhsa_user_sgpr_private_segment_size 0
		.amdhsa_uses_dynamic_stack 0
		.amdhsa_system_sgpr_private_segment_wavefront_offset 0
		.amdhsa_system_sgpr_workgroup_id_x 1
		.amdhsa_system_sgpr_workgroup_id_y 0
		.amdhsa_system_sgpr_workgroup_id_z 0
		.amdhsa_system_sgpr_workgroup_info 0
		.amdhsa_system_vgpr_workitem_id 0
		.amdhsa_next_free_vgpr 1
		.amdhsa_next_free_sgpr 0
		.amdhsa_accum_offset 4
		.amdhsa_reserve_vcc 0
		.amdhsa_reserve_flat_scratch 0
		.amdhsa_float_round_mode_32 0
		.amdhsa_float_round_mode_16_64 0
		.amdhsa_float_denorm_mode_32 3
		.amdhsa_float_denorm_mode_16_64 3
		.amdhsa_dx10_clamp 1
		.amdhsa_ieee_mode 1
		.amdhsa_fp16_overflow 0
		.amdhsa_tg_split 0
		.amdhsa_exception_fp_ieee_invalid_op 0
		.amdhsa_exception_fp_denorm_src 0
		.amdhsa_exception_fp_ieee_div_zero 0
		.amdhsa_exception_fp_ieee_overflow 0
		.amdhsa_exception_fp_ieee_underflow 0
		.amdhsa_exception_fp_ieee_inexact 0
		.amdhsa_exception_int_div_zero 0
	.end_amdhsa_kernel
	.section	.text._ZN7rocprim17ROCPRIM_400000_NS6detail17trampoline_kernelINS0_14default_configENS1_20scan_config_selectorIsEEZZNS1_9scan_implILNS1_25lookback_scan_determinismE0ELb0ELb0ES3_N6thrust23THRUST_200600_302600_NS6detail15normal_iteratorINS9_10device_ptrIsEEEENS9_16discard_iteratorINS9_11use_defaultEEEs11max_functorIsEsEEDaPvRmT3_T4_T5_mT6_P12ihipStream_tbENKUlT_T0_E_clISt17integral_constantIbLb1EESW_IbLb0EEEEDaSS_ST_EUlSS_E0_NS1_11comp_targetILNS1_3genE3ELNS1_11target_archE908ELNS1_3gpuE7ELNS1_3repE0EEENS1_30default_config_static_selectorELNS0_4arch9wavefront6targetE1EEEvT1_,"axG",@progbits,_ZN7rocprim17ROCPRIM_400000_NS6detail17trampoline_kernelINS0_14default_configENS1_20scan_config_selectorIsEEZZNS1_9scan_implILNS1_25lookback_scan_determinismE0ELb0ELb0ES3_N6thrust23THRUST_200600_302600_NS6detail15normal_iteratorINS9_10device_ptrIsEEEENS9_16discard_iteratorINS9_11use_defaultEEEs11max_functorIsEsEEDaPvRmT3_T4_T5_mT6_P12ihipStream_tbENKUlT_T0_E_clISt17integral_constantIbLb1EESW_IbLb0EEEEDaSS_ST_EUlSS_E0_NS1_11comp_targetILNS1_3genE3ELNS1_11target_archE908ELNS1_3gpuE7ELNS1_3repE0EEENS1_30default_config_static_selectorELNS0_4arch9wavefront6targetE1EEEvT1_,comdat
.Lfunc_end4046:
	.size	_ZN7rocprim17ROCPRIM_400000_NS6detail17trampoline_kernelINS0_14default_configENS1_20scan_config_selectorIsEEZZNS1_9scan_implILNS1_25lookback_scan_determinismE0ELb0ELb0ES3_N6thrust23THRUST_200600_302600_NS6detail15normal_iteratorINS9_10device_ptrIsEEEENS9_16discard_iteratorINS9_11use_defaultEEEs11max_functorIsEsEEDaPvRmT3_T4_T5_mT6_P12ihipStream_tbENKUlT_T0_E_clISt17integral_constantIbLb1EESW_IbLb0EEEEDaSS_ST_EUlSS_E0_NS1_11comp_targetILNS1_3genE3ELNS1_11target_archE908ELNS1_3gpuE7ELNS1_3repE0EEENS1_30default_config_static_selectorELNS0_4arch9wavefront6targetE1EEEvT1_, .Lfunc_end4046-_ZN7rocprim17ROCPRIM_400000_NS6detail17trampoline_kernelINS0_14default_configENS1_20scan_config_selectorIsEEZZNS1_9scan_implILNS1_25lookback_scan_determinismE0ELb0ELb0ES3_N6thrust23THRUST_200600_302600_NS6detail15normal_iteratorINS9_10device_ptrIsEEEENS9_16discard_iteratorINS9_11use_defaultEEEs11max_functorIsEsEEDaPvRmT3_T4_T5_mT6_P12ihipStream_tbENKUlT_T0_E_clISt17integral_constantIbLb1EESW_IbLb0EEEEDaSS_ST_EUlSS_E0_NS1_11comp_targetILNS1_3genE3ELNS1_11target_archE908ELNS1_3gpuE7ELNS1_3repE0EEENS1_30default_config_static_selectorELNS0_4arch9wavefront6targetE1EEEvT1_
                                        ; -- End function
	.section	.AMDGPU.csdata,"",@progbits
; Kernel info:
; codeLenInByte = 0
; NumSgprs: 4
; NumVgprs: 0
; NumAgprs: 0
; TotalNumVgprs: 0
; ScratchSize: 0
; MemoryBound: 0
; FloatMode: 240
; IeeeMode: 1
; LDSByteSize: 0 bytes/workgroup (compile time only)
; SGPRBlocks: 0
; VGPRBlocks: 0
; NumSGPRsForWavesPerEU: 4
; NumVGPRsForWavesPerEU: 1
; AccumOffset: 4
; Occupancy: 8
; WaveLimiterHint : 0
; COMPUTE_PGM_RSRC2:SCRATCH_EN: 0
; COMPUTE_PGM_RSRC2:USER_SGPR: 6
; COMPUTE_PGM_RSRC2:TRAP_HANDLER: 0
; COMPUTE_PGM_RSRC2:TGID_X_EN: 1
; COMPUTE_PGM_RSRC2:TGID_Y_EN: 0
; COMPUTE_PGM_RSRC2:TGID_Z_EN: 0
; COMPUTE_PGM_RSRC2:TIDIG_COMP_CNT: 0
; COMPUTE_PGM_RSRC3_GFX90A:ACCUM_OFFSET: 0
; COMPUTE_PGM_RSRC3_GFX90A:TG_SPLIT: 0
	.section	.text._ZN7rocprim17ROCPRIM_400000_NS6detail17trampoline_kernelINS0_14default_configENS1_20scan_config_selectorIsEEZZNS1_9scan_implILNS1_25lookback_scan_determinismE0ELb0ELb0ES3_N6thrust23THRUST_200600_302600_NS6detail15normal_iteratorINS9_10device_ptrIsEEEENS9_16discard_iteratorINS9_11use_defaultEEEs11max_functorIsEsEEDaPvRmT3_T4_T5_mT6_P12ihipStream_tbENKUlT_T0_E_clISt17integral_constantIbLb1EESW_IbLb0EEEEDaSS_ST_EUlSS_E0_NS1_11comp_targetILNS1_3genE2ELNS1_11target_archE906ELNS1_3gpuE6ELNS1_3repE0EEENS1_30default_config_static_selectorELNS0_4arch9wavefront6targetE1EEEvT1_,"axG",@progbits,_ZN7rocprim17ROCPRIM_400000_NS6detail17trampoline_kernelINS0_14default_configENS1_20scan_config_selectorIsEEZZNS1_9scan_implILNS1_25lookback_scan_determinismE0ELb0ELb0ES3_N6thrust23THRUST_200600_302600_NS6detail15normal_iteratorINS9_10device_ptrIsEEEENS9_16discard_iteratorINS9_11use_defaultEEEs11max_functorIsEsEEDaPvRmT3_T4_T5_mT6_P12ihipStream_tbENKUlT_T0_E_clISt17integral_constantIbLb1EESW_IbLb0EEEEDaSS_ST_EUlSS_E0_NS1_11comp_targetILNS1_3genE2ELNS1_11target_archE906ELNS1_3gpuE6ELNS1_3repE0EEENS1_30default_config_static_selectorELNS0_4arch9wavefront6targetE1EEEvT1_,comdat
	.protected	_ZN7rocprim17ROCPRIM_400000_NS6detail17trampoline_kernelINS0_14default_configENS1_20scan_config_selectorIsEEZZNS1_9scan_implILNS1_25lookback_scan_determinismE0ELb0ELb0ES3_N6thrust23THRUST_200600_302600_NS6detail15normal_iteratorINS9_10device_ptrIsEEEENS9_16discard_iteratorINS9_11use_defaultEEEs11max_functorIsEsEEDaPvRmT3_T4_T5_mT6_P12ihipStream_tbENKUlT_T0_E_clISt17integral_constantIbLb1EESW_IbLb0EEEEDaSS_ST_EUlSS_E0_NS1_11comp_targetILNS1_3genE2ELNS1_11target_archE906ELNS1_3gpuE6ELNS1_3repE0EEENS1_30default_config_static_selectorELNS0_4arch9wavefront6targetE1EEEvT1_ ; -- Begin function _ZN7rocprim17ROCPRIM_400000_NS6detail17trampoline_kernelINS0_14default_configENS1_20scan_config_selectorIsEEZZNS1_9scan_implILNS1_25lookback_scan_determinismE0ELb0ELb0ES3_N6thrust23THRUST_200600_302600_NS6detail15normal_iteratorINS9_10device_ptrIsEEEENS9_16discard_iteratorINS9_11use_defaultEEEs11max_functorIsEsEEDaPvRmT3_T4_T5_mT6_P12ihipStream_tbENKUlT_T0_E_clISt17integral_constantIbLb1EESW_IbLb0EEEEDaSS_ST_EUlSS_E0_NS1_11comp_targetILNS1_3genE2ELNS1_11target_archE906ELNS1_3gpuE6ELNS1_3repE0EEENS1_30default_config_static_selectorELNS0_4arch9wavefront6targetE1EEEvT1_
	.globl	_ZN7rocprim17ROCPRIM_400000_NS6detail17trampoline_kernelINS0_14default_configENS1_20scan_config_selectorIsEEZZNS1_9scan_implILNS1_25lookback_scan_determinismE0ELb0ELb0ES3_N6thrust23THRUST_200600_302600_NS6detail15normal_iteratorINS9_10device_ptrIsEEEENS9_16discard_iteratorINS9_11use_defaultEEEs11max_functorIsEsEEDaPvRmT3_T4_T5_mT6_P12ihipStream_tbENKUlT_T0_E_clISt17integral_constantIbLb1EESW_IbLb0EEEEDaSS_ST_EUlSS_E0_NS1_11comp_targetILNS1_3genE2ELNS1_11target_archE906ELNS1_3gpuE6ELNS1_3repE0EEENS1_30default_config_static_selectorELNS0_4arch9wavefront6targetE1EEEvT1_
	.p2align	8
	.type	_ZN7rocprim17ROCPRIM_400000_NS6detail17trampoline_kernelINS0_14default_configENS1_20scan_config_selectorIsEEZZNS1_9scan_implILNS1_25lookback_scan_determinismE0ELb0ELb0ES3_N6thrust23THRUST_200600_302600_NS6detail15normal_iteratorINS9_10device_ptrIsEEEENS9_16discard_iteratorINS9_11use_defaultEEEs11max_functorIsEsEEDaPvRmT3_T4_T5_mT6_P12ihipStream_tbENKUlT_T0_E_clISt17integral_constantIbLb1EESW_IbLb0EEEEDaSS_ST_EUlSS_E0_NS1_11comp_targetILNS1_3genE2ELNS1_11target_archE906ELNS1_3gpuE6ELNS1_3repE0EEENS1_30default_config_static_selectorELNS0_4arch9wavefront6targetE1EEEvT1_,@function
_ZN7rocprim17ROCPRIM_400000_NS6detail17trampoline_kernelINS0_14default_configENS1_20scan_config_selectorIsEEZZNS1_9scan_implILNS1_25lookback_scan_determinismE0ELb0ELb0ES3_N6thrust23THRUST_200600_302600_NS6detail15normal_iteratorINS9_10device_ptrIsEEEENS9_16discard_iteratorINS9_11use_defaultEEEs11max_functorIsEsEEDaPvRmT3_T4_T5_mT6_P12ihipStream_tbENKUlT_T0_E_clISt17integral_constantIbLb1EESW_IbLb0EEEEDaSS_ST_EUlSS_E0_NS1_11comp_targetILNS1_3genE2ELNS1_11target_archE906ELNS1_3gpuE6ELNS1_3repE0EEENS1_30default_config_static_selectorELNS0_4arch9wavefront6targetE1EEEvT1_: ; @_ZN7rocprim17ROCPRIM_400000_NS6detail17trampoline_kernelINS0_14default_configENS1_20scan_config_selectorIsEEZZNS1_9scan_implILNS1_25lookback_scan_determinismE0ELb0ELb0ES3_N6thrust23THRUST_200600_302600_NS6detail15normal_iteratorINS9_10device_ptrIsEEEENS9_16discard_iteratorINS9_11use_defaultEEEs11max_functorIsEsEEDaPvRmT3_T4_T5_mT6_P12ihipStream_tbENKUlT_T0_E_clISt17integral_constantIbLb1EESW_IbLb0EEEEDaSS_ST_EUlSS_E0_NS1_11comp_targetILNS1_3genE2ELNS1_11target_archE906ELNS1_3gpuE6ELNS1_3repE0EEENS1_30default_config_static_selectorELNS0_4arch9wavefront6targetE1EEEvT1_
; %bb.0:
	.section	.rodata,"a",@progbits
	.p2align	6, 0x0
	.amdhsa_kernel _ZN7rocprim17ROCPRIM_400000_NS6detail17trampoline_kernelINS0_14default_configENS1_20scan_config_selectorIsEEZZNS1_9scan_implILNS1_25lookback_scan_determinismE0ELb0ELb0ES3_N6thrust23THRUST_200600_302600_NS6detail15normal_iteratorINS9_10device_ptrIsEEEENS9_16discard_iteratorINS9_11use_defaultEEEs11max_functorIsEsEEDaPvRmT3_T4_T5_mT6_P12ihipStream_tbENKUlT_T0_E_clISt17integral_constantIbLb1EESW_IbLb0EEEEDaSS_ST_EUlSS_E0_NS1_11comp_targetILNS1_3genE2ELNS1_11target_archE906ELNS1_3gpuE6ELNS1_3repE0EEENS1_30default_config_static_selectorELNS0_4arch9wavefront6targetE1EEEvT1_
		.amdhsa_group_segment_fixed_size 0
		.amdhsa_private_segment_fixed_size 0
		.amdhsa_kernarg_size 40
		.amdhsa_user_sgpr_count 6
		.amdhsa_user_sgpr_private_segment_buffer 1
		.amdhsa_user_sgpr_dispatch_ptr 0
		.amdhsa_user_sgpr_queue_ptr 0
		.amdhsa_user_sgpr_kernarg_segment_ptr 1
		.amdhsa_user_sgpr_dispatch_id 0
		.amdhsa_user_sgpr_flat_scratch_init 0
		.amdhsa_user_sgpr_kernarg_preload_length 0
		.amdhsa_user_sgpr_kernarg_preload_offset 0
		.amdhsa_user_sgpr_private_segment_size 0
		.amdhsa_uses_dynamic_stack 0
		.amdhsa_system_sgpr_private_segment_wavefront_offset 0
		.amdhsa_system_sgpr_workgroup_id_x 1
		.amdhsa_system_sgpr_workgroup_id_y 0
		.amdhsa_system_sgpr_workgroup_id_z 0
		.amdhsa_system_sgpr_workgroup_info 0
		.amdhsa_system_vgpr_workitem_id 0
		.amdhsa_next_free_vgpr 1
		.amdhsa_next_free_sgpr 0
		.amdhsa_accum_offset 4
		.amdhsa_reserve_vcc 0
		.amdhsa_reserve_flat_scratch 0
		.amdhsa_float_round_mode_32 0
		.amdhsa_float_round_mode_16_64 0
		.amdhsa_float_denorm_mode_32 3
		.amdhsa_float_denorm_mode_16_64 3
		.amdhsa_dx10_clamp 1
		.amdhsa_ieee_mode 1
		.amdhsa_fp16_overflow 0
		.amdhsa_tg_split 0
		.amdhsa_exception_fp_ieee_invalid_op 0
		.amdhsa_exception_fp_denorm_src 0
		.amdhsa_exception_fp_ieee_div_zero 0
		.amdhsa_exception_fp_ieee_overflow 0
		.amdhsa_exception_fp_ieee_underflow 0
		.amdhsa_exception_fp_ieee_inexact 0
		.amdhsa_exception_int_div_zero 0
	.end_amdhsa_kernel
	.section	.text._ZN7rocprim17ROCPRIM_400000_NS6detail17trampoline_kernelINS0_14default_configENS1_20scan_config_selectorIsEEZZNS1_9scan_implILNS1_25lookback_scan_determinismE0ELb0ELb0ES3_N6thrust23THRUST_200600_302600_NS6detail15normal_iteratorINS9_10device_ptrIsEEEENS9_16discard_iteratorINS9_11use_defaultEEEs11max_functorIsEsEEDaPvRmT3_T4_T5_mT6_P12ihipStream_tbENKUlT_T0_E_clISt17integral_constantIbLb1EESW_IbLb0EEEEDaSS_ST_EUlSS_E0_NS1_11comp_targetILNS1_3genE2ELNS1_11target_archE906ELNS1_3gpuE6ELNS1_3repE0EEENS1_30default_config_static_selectorELNS0_4arch9wavefront6targetE1EEEvT1_,"axG",@progbits,_ZN7rocprim17ROCPRIM_400000_NS6detail17trampoline_kernelINS0_14default_configENS1_20scan_config_selectorIsEEZZNS1_9scan_implILNS1_25lookback_scan_determinismE0ELb0ELb0ES3_N6thrust23THRUST_200600_302600_NS6detail15normal_iteratorINS9_10device_ptrIsEEEENS9_16discard_iteratorINS9_11use_defaultEEEs11max_functorIsEsEEDaPvRmT3_T4_T5_mT6_P12ihipStream_tbENKUlT_T0_E_clISt17integral_constantIbLb1EESW_IbLb0EEEEDaSS_ST_EUlSS_E0_NS1_11comp_targetILNS1_3genE2ELNS1_11target_archE906ELNS1_3gpuE6ELNS1_3repE0EEENS1_30default_config_static_selectorELNS0_4arch9wavefront6targetE1EEEvT1_,comdat
.Lfunc_end4047:
	.size	_ZN7rocprim17ROCPRIM_400000_NS6detail17trampoline_kernelINS0_14default_configENS1_20scan_config_selectorIsEEZZNS1_9scan_implILNS1_25lookback_scan_determinismE0ELb0ELb0ES3_N6thrust23THRUST_200600_302600_NS6detail15normal_iteratorINS9_10device_ptrIsEEEENS9_16discard_iteratorINS9_11use_defaultEEEs11max_functorIsEsEEDaPvRmT3_T4_T5_mT6_P12ihipStream_tbENKUlT_T0_E_clISt17integral_constantIbLb1EESW_IbLb0EEEEDaSS_ST_EUlSS_E0_NS1_11comp_targetILNS1_3genE2ELNS1_11target_archE906ELNS1_3gpuE6ELNS1_3repE0EEENS1_30default_config_static_selectorELNS0_4arch9wavefront6targetE1EEEvT1_, .Lfunc_end4047-_ZN7rocprim17ROCPRIM_400000_NS6detail17trampoline_kernelINS0_14default_configENS1_20scan_config_selectorIsEEZZNS1_9scan_implILNS1_25lookback_scan_determinismE0ELb0ELb0ES3_N6thrust23THRUST_200600_302600_NS6detail15normal_iteratorINS9_10device_ptrIsEEEENS9_16discard_iteratorINS9_11use_defaultEEEs11max_functorIsEsEEDaPvRmT3_T4_T5_mT6_P12ihipStream_tbENKUlT_T0_E_clISt17integral_constantIbLb1EESW_IbLb0EEEEDaSS_ST_EUlSS_E0_NS1_11comp_targetILNS1_3genE2ELNS1_11target_archE906ELNS1_3gpuE6ELNS1_3repE0EEENS1_30default_config_static_selectorELNS0_4arch9wavefront6targetE1EEEvT1_
                                        ; -- End function
	.section	.AMDGPU.csdata,"",@progbits
; Kernel info:
; codeLenInByte = 0
; NumSgprs: 4
; NumVgprs: 0
; NumAgprs: 0
; TotalNumVgprs: 0
; ScratchSize: 0
; MemoryBound: 0
; FloatMode: 240
; IeeeMode: 1
; LDSByteSize: 0 bytes/workgroup (compile time only)
; SGPRBlocks: 0
; VGPRBlocks: 0
; NumSGPRsForWavesPerEU: 4
; NumVGPRsForWavesPerEU: 1
; AccumOffset: 4
; Occupancy: 8
; WaveLimiterHint : 0
; COMPUTE_PGM_RSRC2:SCRATCH_EN: 0
; COMPUTE_PGM_RSRC2:USER_SGPR: 6
; COMPUTE_PGM_RSRC2:TRAP_HANDLER: 0
; COMPUTE_PGM_RSRC2:TGID_X_EN: 1
; COMPUTE_PGM_RSRC2:TGID_Y_EN: 0
; COMPUTE_PGM_RSRC2:TGID_Z_EN: 0
; COMPUTE_PGM_RSRC2:TIDIG_COMP_CNT: 0
; COMPUTE_PGM_RSRC3_GFX90A:ACCUM_OFFSET: 0
; COMPUTE_PGM_RSRC3_GFX90A:TG_SPLIT: 0
	.section	.text._ZN7rocprim17ROCPRIM_400000_NS6detail17trampoline_kernelINS0_14default_configENS1_20scan_config_selectorIsEEZZNS1_9scan_implILNS1_25lookback_scan_determinismE0ELb0ELb0ES3_N6thrust23THRUST_200600_302600_NS6detail15normal_iteratorINS9_10device_ptrIsEEEENS9_16discard_iteratorINS9_11use_defaultEEEs11max_functorIsEsEEDaPvRmT3_T4_T5_mT6_P12ihipStream_tbENKUlT_T0_E_clISt17integral_constantIbLb1EESW_IbLb0EEEEDaSS_ST_EUlSS_E0_NS1_11comp_targetILNS1_3genE10ELNS1_11target_archE1201ELNS1_3gpuE5ELNS1_3repE0EEENS1_30default_config_static_selectorELNS0_4arch9wavefront6targetE1EEEvT1_,"axG",@progbits,_ZN7rocprim17ROCPRIM_400000_NS6detail17trampoline_kernelINS0_14default_configENS1_20scan_config_selectorIsEEZZNS1_9scan_implILNS1_25lookback_scan_determinismE0ELb0ELb0ES3_N6thrust23THRUST_200600_302600_NS6detail15normal_iteratorINS9_10device_ptrIsEEEENS9_16discard_iteratorINS9_11use_defaultEEEs11max_functorIsEsEEDaPvRmT3_T4_T5_mT6_P12ihipStream_tbENKUlT_T0_E_clISt17integral_constantIbLb1EESW_IbLb0EEEEDaSS_ST_EUlSS_E0_NS1_11comp_targetILNS1_3genE10ELNS1_11target_archE1201ELNS1_3gpuE5ELNS1_3repE0EEENS1_30default_config_static_selectorELNS0_4arch9wavefront6targetE1EEEvT1_,comdat
	.protected	_ZN7rocprim17ROCPRIM_400000_NS6detail17trampoline_kernelINS0_14default_configENS1_20scan_config_selectorIsEEZZNS1_9scan_implILNS1_25lookback_scan_determinismE0ELb0ELb0ES3_N6thrust23THRUST_200600_302600_NS6detail15normal_iteratorINS9_10device_ptrIsEEEENS9_16discard_iteratorINS9_11use_defaultEEEs11max_functorIsEsEEDaPvRmT3_T4_T5_mT6_P12ihipStream_tbENKUlT_T0_E_clISt17integral_constantIbLb1EESW_IbLb0EEEEDaSS_ST_EUlSS_E0_NS1_11comp_targetILNS1_3genE10ELNS1_11target_archE1201ELNS1_3gpuE5ELNS1_3repE0EEENS1_30default_config_static_selectorELNS0_4arch9wavefront6targetE1EEEvT1_ ; -- Begin function _ZN7rocprim17ROCPRIM_400000_NS6detail17trampoline_kernelINS0_14default_configENS1_20scan_config_selectorIsEEZZNS1_9scan_implILNS1_25lookback_scan_determinismE0ELb0ELb0ES3_N6thrust23THRUST_200600_302600_NS6detail15normal_iteratorINS9_10device_ptrIsEEEENS9_16discard_iteratorINS9_11use_defaultEEEs11max_functorIsEsEEDaPvRmT3_T4_T5_mT6_P12ihipStream_tbENKUlT_T0_E_clISt17integral_constantIbLb1EESW_IbLb0EEEEDaSS_ST_EUlSS_E0_NS1_11comp_targetILNS1_3genE10ELNS1_11target_archE1201ELNS1_3gpuE5ELNS1_3repE0EEENS1_30default_config_static_selectorELNS0_4arch9wavefront6targetE1EEEvT1_
	.globl	_ZN7rocprim17ROCPRIM_400000_NS6detail17trampoline_kernelINS0_14default_configENS1_20scan_config_selectorIsEEZZNS1_9scan_implILNS1_25lookback_scan_determinismE0ELb0ELb0ES3_N6thrust23THRUST_200600_302600_NS6detail15normal_iteratorINS9_10device_ptrIsEEEENS9_16discard_iteratorINS9_11use_defaultEEEs11max_functorIsEsEEDaPvRmT3_T4_T5_mT6_P12ihipStream_tbENKUlT_T0_E_clISt17integral_constantIbLb1EESW_IbLb0EEEEDaSS_ST_EUlSS_E0_NS1_11comp_targetILNS1_3genE10ELNS1_11target_archE1201ELNS1_3gpuE5ELNS1_3repE0EEENS1_30default_config_static_selectorELNS0_4arch9wavefront6targetE1EEEvT1_
	.p2align	8
	.type	_ZN7rocprim17ROCPRIM_400000_NS6detail17trampoline_kernelINS0_14default_configENS1_20scan_config_selectorIsEEZZNS1_9scan_implILNS1_25lookback_scan_determinismE0ELb0ELb0ES3_N6thrust23THRUST_200600_302600_NS6detail15normal_iteratorINS9_10device_ptrIsEEEENS9_16discard_iteratorINS9_11use_defaultEEEs11max_functorIsEsEEDaPvRmT3_T4_T5_mT6_P12ihipStream_tbENKUlT_T0_E_clISt17integral_constantIbLb1EESW_IbLb0EEEEDaSS_ST_EUlSS_E0_NS1_11comp_targetILNS1_3genE10ELNS1_11target_archE1201ELNS1_3gpuE5ELNS1_3repE0EEENS1_30default_config_static_selectorELNS0_4arch9wavefront6targetE1EEEvT1_,@function
_ZN7rocprim17ROCPRIM_400000_NS6detail17trampoline_kernelINS0_14default_configENS1_20scan_config_selectorIsEEZZNS1_9scan_implILNS1_25lookback_scan_determinismE0ELb0ELb0ES3_N6thrust23THRUST_200600_302600_NS6detail15normal_iteratorINS9_10device_ptrIsEEEENS9_16discard_iteratorINS9_11use_defaultEEEs11max_functorIsEsEEDaPvRmT3_T4_T5_mT6_P12ihipStream_tbENKUlT_T0_E_clISt17integral_constantIbLb1EESW_IbLb0EEEEDaSS_ST_EUlSS_E0_NS1_11comp_targetILNS1_3genE10ELNS1_11target_archE1201ELNS1_3gpuE5ELNS1_3repE0EEENS1_30default_config_static_selectorELNS0_4arch9wavefront6targetE1EEEvT1_: ; @_ZN7rocprim17ROCPRIM_400000_NS6detail17trampoline_kernelINS0_14default_configENS1_20scan_config_selectorIsEEZZNS1_9scan_implILNS1_25lookback_scan_determinismE0ELb0ELb0ES3_N6thrust23THRUST_200600_302600_NS6detail15normal_iteratorINS9_10device_ptrIsEEEENS9_16discard_iteratorINS9_11use_defaultEEEs11max_functorIsEsEEDaPvRmT3_T4_T5_mT6_P12ihipStream_tbENKUlT_T0_E_clISt17integral_constantIbLb1EESW_IbLb0EEEEDaSS_ST_EUlSS_E0_NS1_11comp_targetILNS1_3genE10ELNS1_11target_archE1201ELNS1_3gpuE5ELNS1_3repE0EEENS1_30default_config_static_selectorELNS0_4arch9wavefront6targetE1EEEvT1_
; %bb.0:
	.section	.rodata,"a",@progbits
	.p2align	6, 0x0
	.amdhsa_kernel _ZN7rocprim17ROCPRIM_400000_NS6detail17trampoline_kernelINS0_14default_configENS1_20scan_config_selectorIsEEZZNS1_9scan_implILNS1_25lookback_scan_determinismE0ELb0ELb0ES3_N6thrust23THRUST_200600_302600_NS6detail15normal_iteratorINS9_10device_ptrIsEEEENS9_16discard_iteratorINS9_11use_defaultEEEs11max_functorIsEsEEDaPvRmT3_T4_T5_mT6_P12ihipStream_tbENKUlT_T0_E_clISt17integral_constantIbLb1EESW_IbLb0EEEEDaSS_ST_EUlSS_E0_NS1_11comp_targetILNS1_3genE10ELNS1_11target_archE1201ELNS1_3gpuE5ELNS1_3repE0EEENS1_30default_config_static_selectorELNS0_4arch9wavefront6targetE1EEEvT1_
		.amdhsa_group_segment_fixed_size 0
		.amdhsa_private_segment_fixed_size 0
		.amdhsa_kernarg_size 40
		.amdhsa_user_sgpr_count 6
		.amdhsa_user_sgpr_private_segment_buffer 1
		.amdhsa_user_sgpr_dispatch_ptr 0
		.amdhsa_user_sgpr_queue_ptr 0
		.amdhsa_user_sgpr_kernarg_segment_ptr 1
		.amdhsa_user_sgpr_dispatch_id 0
		.amdhsa_user_sgpr_flat_scratch_init 0
		.amdhsa_user_sgpr_kernarg_preload_length 0
		.amdhsa_user_sgpr_kernarg_preload_offset 0
		.amdhsa_user_sgpr_private_segment_size 0
		.amdhsa_uses_dynamic_stack 0
		.amdhsa_system_sgpr_private_segment_wavefront_offset 0
		.amdhsa_system_sgpr_workgroup_id_x 1
		.amdhsa_system_sgpr_workgroup_id_y 0
		.amdhsa_system_sgpr_workgroup_id_z 0
		.amdhsa_system_sgpr_workgroup_info 0
		.amdhsa_system_vgpr_workitem_id 0
		.amdhsa_next_free_vgpr 1
		.amdhsa_next_free_sgpr 0
		.amdhsa_accum_offset 4
		.amdhsa_reserve_vcc 0
		.amdhsa_reserve_flat_scratch 0
		.amdhsa_float_round_mode_32 0
		.amdhsa_float_round_mode_16_64 0
		.amdhsa_float_denorm_mode_32 3
		.amdhsa_float_denorm_mode_16_64 3
		.amdhsa_dx10_clamp 1
		.amdhsa_ieee_mode 1
		.amdhsa_fp16_overflow 0
		.amdhsa_tg_split 0
		.amdhsa_exception_fp_ieee_invalid_op 0
		.amdhsa_exception_fp_denorm_src 0
		.amdhsa_exception_fp_ieee_div_zero 0
		.amdhsa_exception_fp_ieee_overflow 0
		.amdhsa_exception_fp_ieee_underflow 0
		.amdhsa_exception_fp_ieee_inexact 0
		.amdhsa_exception_int_div_zero 0
	.end_amdhsa_kernel
	.section	.text._ZN7rocprim17ROCPRIM_400000_NS6detail17trampoline_kernelINS0_14default_configENS1_20scan_config_selectorIsEEZZNS1_9scan_implILNS1_25lookback_scan_determinismE0ELb0ELb0ES3_N6thrust23THRUST_200600_302600_NS6detail15normal_iteratorINS9_10device_ptrIsEEEENS9_16discard_iteratorINS9_11use_defaultEEEs11max_functorIsEsEEDaPvRmT3_T4_T5_mT6_P12ihipStream_tbENKUlT_T0_E_clISt17integral_constantIbLb1EESW_IbLb0EEEEDaSS_ST_EUlSS_E0_NS1_11comp_targetILNS1_3genE10ELNS1_11target_archE1201ELNS1_3gpuE5ELNS1_3repE0EEENS1_30default_config_static_selectorELNS0_4arch9wavefront6targetE1EEEvT1_,"axG",@progbits,_ZN7rocprim17ROCPRIM_400000_NS6detail17trampoline_kernelINS0_14default_configENS1_20scan_config_selectorIsEEZZNS1_9scan_implILNS1_25lookback_scan_determinismE0ELb0ELb0ES3_N6thrust23THRUST_200600_302600_NS6detail15normal_iteratorINS9_10device_ptrIsEEEENS9_16discard_iteratorINS9_11use_defaultEEEs11max_functorIsEsEEDaPvRmT3_T4_T5_mT6_P12ihipStream_tbENKUlT_T0_E_clISt17integral_constantIbLb1EESW_IbLb0EEEEDaSS_ST_EUlSS_E0_NS1_11comp_targetILNS1_3genE10ELNS1_11target_archE1201ELNS1_3gpuE5ELNS1_3repE0EEENS1_30default_config_static_selectorELNS0_4arch9wavefront6targetE1EEEvT1_,comdat
.Lfunc_end4048:
	.size	_ZN7rocprim17ROCPRIM_400000_NS6detail17trampoline_kernelINS0_14default_configENS1_20scan_config_selectorIsEEZZNS1_9scan_implILNS1_25lookback_scan_determinismE0ELb0ELb0ES3_N6thrust23THRUST_200600_302600_NS6detail15normal_iteratorINS9_10device_ptrIsEEEENS9_16discard_iteratorINS9_11use_defaultEEEs11max_functorIsEsEEDaPvRmT3_T4_T5_mT6_P12ihipStream_tbENKUlT_T0_E_clISt17integral_constantIbLb1EESW_IbLb0EEEEDaSS_ST_EUlSS_E0_NS1_11comp_targetILNS1_3genE10ELNS1_11target_archE1201ELNS1_3gpuE5ELNS1_3repE0EEENS1_30default_config_static_selectorELNS0_4arch9wavefront6targetE1EEEvT1_, .Lfunc_end4048-_ZN7rocprim17ROCPRIM_400000_NS6detail17trampoline_kernelINS0_14default_configENS1_20scan_config_selectorIsEEZZNS1_9scan_implILNS1_25lookback_scan_determinismE0ELb0ELb0ES3_N6thrust23THRUST_200600_302600_NS6detail15normal_iteratorINS9_10device_ptrIsEEEENS9_16discard_iteratorINS9_11use_defaultEEEs11max_functorIsEsEEDaPvRmT3_T4_T5_mT6_P12ihipStream_tbENKUlT_T0_E_clISt17integral_constantIbLb1EESW_IbLb0EEEEDaSS_ST_EUlSS_E0_NS1_11comp_targetILNS1_3genE10ELNS1_11target_archE1201ELNS1_3gpuE5ELNS1_3repE0EEENS1_30default_config_static_selectorELNS0_4arch9wavefront6targetE1EEEvT1_
                                        ; -- End function
	.section	.AMDGPU.csdata,"",@progbits
; Kernel info:
; codeLenInByte = 0
; NumSgprs: 4
; NumVgprs: 0
; NumAgprs: 0
; TotalNumVgprs: 0
; ScratchSize: 0
; MemoryBound: 0
; FloatMode: 240
; IeeeMode: 1
; LDSByteSize: 0 bytes/workgroup (compile time only)
; SGPRBlocks: 0
; VGPRBlocks: 0
; NumSGPRsForWavesPerEU: 4
; NumVGPRsForWavesPerEU: 1
; AccumOffset: 4
; Occupancy: 8
; WaveLimiterHint : 0
; COMPUTE_PGM_RSRC2:SCRATCH_EN: 0
; COMPUTE_PGM_RSRC2:USER_SGPR: 6
; COMPUTE_PGM_RSRC2:TRAP_HANDLER: 0
; COMPUTE_PGM_RSRC2:TGID_X_EN: 1
; COMPUTE_PGM_RSRC2:TGID_Y_EN: 0
; COMPUTE_PGM_RSRC2:TGID_Z_EN: 0
; COMPUTE_PGM_RSRC2:TIDIG_COMP_CNT: 0
; COMPUTE_PGM_RSRC3_GFX90A:ACCUM_OFFSET: 0
; COMPUTE_PGM_RSRC3_GFX90A:TG_SPLIT: 0
	.section	.text._ZN7rocprim17ROCPRIM_400000_NS6detail17trampoline_kernelINS0_14default_configENS1_20scan_config_selectorIsEEZZNS1_9scan_implILNS1_25lookback_scan_determinismE0ELb0ELb0ES3_N6thrust23THRUST_200600_302600_NS6detail15normal_iteratorINS9_10device_ptrIsEEEENS9_16discard_iteratorINS9_11use_defaultEEEs11max_functorIsEsEEDaPvRmT3_T4_T5_mT6_P12ihipStream_tbENKUlT_T0_E_clISt17integral_constantIbLb1EESW_IbLb0EEEEDaSS_ST_EUlSS_E0_NS1_11comp_targetILNS1_3genE10ELNS1_11target_archE1200ELNS1_3gpuE4ELNS1_3repE0EEENS1_30default_config_static_selectorELNS0_4arch9wavefront6targetE1EEEvT1_,"axG",@progbits,_ZN7rocprim17ROCPRIM_400000_NS6detail17trampoline_kernelINS0_14default_configENS1_20scan_config_selectorIsEEZZNS1_9scan_implILNS1_25lookback_scan_determinismE0ELb0ELb0ES3_N6thrust23THRUST_200600_302600_NS6detail15normal_iteratorINS9_10device_ptrIsEEEENS9_16discard_iteratorINS9_11use_defaultEEEs11max_functorIsEsEEDaPvRmT3_T4_T5_mT6_P12ihipStream_tbENKUlT_T0_E_clISt17integral_constantIbLb1EESW_IbLb0EEEEDaSS_ST_EUlSS_E0_NS1_11comp_targetILNS1_3genE10ELNS1_11target_archE1200ELNS1_3gpuE4ELNS1_3repE0EEENS1_30default_config_static_selectorELNS0_4arch9wavefront6targetE1EEEvT1_,comdat
	.protected	_ZN7rocprim17ROCPRIM_400000_NS6detail17trampoline_kernelINS0_14default_configENS1_20scan_config_selectorIsEEZZNS1_9scan_implILNS1_25lookback_scan_determinismE0ELb0ELb0ES3_N6thrust23THRUST_200600_302600_NS6detail15normal_iteratorINS9_10device_ptrIsEEEENS9_16discard_iteratorINS9_11use_defaultEEEs11max_functorIsEsEEDaPvRmT3_T4_T5_mT6_P12ihipStream_tbENKUlT_T0_E_clISt17integral_constantIbLb1EESW_IbLb0EEEEDaSS_ST_EUlSS_E0_NS1_11comp_targetILNS1_3genE10ELNS1_11target_archE1200ELNS1_3gpuE4ELNS1_3repE0EEENS1_30default_config_static_selectorELNS0_4arch9wavefront6targetE1EEEvT1_ ; -- Begin function _ZN7rocprim17ROCPRIM_400000_NS6detail17trampoline_kernelINS0_14default_configENS1_20scan_config_selectorIsEEZZNS1_9scan_implILNS1_25lookback_scan_determinismE0ELb0ELb0ES3_N6thrust23THRUST_200600_302600_NS6detail15normal_iteratorINS9_10device_ptrIsEEEENS9_16discard_iteratorINS9_11use_defaultEEEs11max_functorIsEsEEDaPvRmT3_T4_T5_mT6_P12ihipStream_tbENKUlT_T0_E_clISt17integral_constantIbLb1EESW_IbLb0EEEEDaSS_ST_EUlSS_E0_NS1_11comp_targetILNS1_3genE10ELNS1_11target_archE1200ELNS1_3gpuE4ELNS1_3repE0EEENS1_30default_config_static_selectorELNS0_4arch9wavefront6targetE1EEEvT1_
	.globl	_ZN7rocprim17ROCPRIM_400000_NS6detail17trampoline_kernelINS0_14default_configENS1_20scan_config_selectorIsEEZZNS1_9scan_implILNS1_25lookback_scan_determinismE0ELb0ELb0ES3_N6thrust23THRUST_200600_302600_NS6detail15normal_iteratorINS9_10device_ptrIsEEEENS9_16discard_iteratorINS9_11use_defaultEEEs11max_functorIsEsEEDaPvRmT3_T4_T5_mT6_P12ihipStream_tbENKUlT_T0_E_clISt17integral_constantIbLb1EESW_IbLb0EEEEDaSS_ST_EUlSS_E0_NS1_11comp_targetILNS1_3genE10ELNS1_11target_archE1200ELNS1_3gpuE4ELNS1_3repE0EEENS1_30default_config_static_selectorELNS0_4arch9wavefront6targetE1EEEvT1_
	.p2align	8
	.type	_ZN7rocprim17ROCPRIM_400000_NS6detail17trampoline_kernelINS0_14default_configENS1_20scan_config_selectorIsEEZZNS1_9scan_implILNS1_25lookback_scan_determinismE0ELb0ELb0ES3_N6thrust23THRUST_200600_302600_NS6detail15normal_iteratorINS9_10device_ptrIsEEEENS9_16discard_iteratorINS9_11use_defaultEEEs11max_functorIsEsEEDaPvRmT3_T4_T5_mT6_P12ihipStream_tbENKUlT_T0_E_clISt17integral_constantIbLb1EESW_IbLb0EEEEDaSS_ST_EUlSS_E0_NS1_11comp_targetILNS1_3genE10ELNS1_11target_archE1200ELNS1_3gpuE4ELNS1_3repE0EEENS1_30default_config_static_selectorELNS0_4arch9wavefront6targetE1EEEvT1_,@function
_ZN7rocprim17ROCPRIM_400000_NS6detail17trampoline_kernelINS0_14default_configENS1_20scan_config_selectorIsEEZZNS1_9scan_implILNS1_25lookback_scan_determinismE0ELb0ELb0ES3_N6thrust23THRUST_200600_302600_NS6detail15normal_iteratorINS9_10device_ptrIsEEEENS9_16discard_iteratorINS9_11use_defaultEEEs11max_functorIsEsEEDaPvRmT3_T4_T5_mT6_P12ihipStream_tbENKUlT_T0_E_clISt17integral_constantIbLb1EESW_IbLb0EEEEDaSS_ST_EUlSS_E0_NS1_11comp_targetILNS1_3genE10ELNS1_11target_archE1200ELNS1_3gpuE4ELNS1_3repE0EEENS1_30default_config_static_selectorELNS0_4arch9wavefront6targetE1EEEvT1_: ; @_ZN7rocprim17ROCPRIM_400000_NS6detail17trampoline_kernelINS0_14default_configENS1_20scan_config_selectorIsEEZZNS1_9scan_implILNS1_25lookback_scan_determinismE0ELb0ELb0ES3_N6thrust23THRUST_200600_302600_NS6detail15normal_iteratorINS9_10device_ptrIsEEEENS9_16discard_iteratorINS9_11use_defaultEEEs11max_functorIsEsEEDaPvRmT3_T4_T5_mT6_P12ihipStream_tbENKUlT_T0_E_clISt17integral_constantIbLb1EESW_IbLb0EEEEDaSS_ST_EUlSS_E0_NS1_11comp_targetILNS1_3genE10ELNS1_11target_archE1200ELNS1_3gpuE4ELNS1_3repE0EEENS1_30default_config_static_selectorELNS0_4arch9wavefront6targetE1EEEvT1_
; %bb.0:
	.section	.rodata,"a",@progbits
	.p2align	6, 0x0
	.amdhsa_kernel _ZN7rocprim17ROCPRIM_400000_NS6detail17trampoline_kernelINS0_14default_configENS1_20scan_config_selectorIsEEZZNS1_9scan_implILNS1_25lookback_scan_determinismE0ELb0ELb0ES3_N6thrust23THRUST_200600_302600_NS6detail15normal_iteratorINS9_10device_ptrIsEEEENS9_16discard_iteratorINS9_11use_defaultEEEs11max_functorIsEsEEDaPvRmT3_T4_T5_mT6_P12ihipStream_tbENKUlT_T0_E_clISt17integral_constantIbLb1EESW_IbLb0EEEEDaSS_ST_EUlSS_E0_NS1_11comp_targetILNS1_3genE10ELNS1_11target_archE1200ELNS1_3gpuE4ELNS1_3repE0EEENS1_30default_config_static_selectorELNS0_4arch9wavefront6targetE1EEEvT1_
		.amdhsa_group_segment_fixed_size 0
		.amdhsa_private_segment_fixed_size 0
		.amdhsa_kernarg_size 40
		.amdhsa_user_sgpr_count 6
		.amdhsa_user_sgpr_private_segment_buffer 1
		.amdhsa_user_sgpr_dispatch_ptr 0
		.amdhsa_user_sgpr_queue_ptr 0
		.amdhsa_user_sgpr_kernarg_segment_ptr 1
		.amdhsa_user_sgpr_dispatch_id 0
		.amdhsa_user_sgpr_flat_scratch_init 0
		.amdhsa_user_sgpr_kernarg_preload_length 0
		.amdhsa_user_sgpr_kernarg_preload_offset 0
		.amdhsa_user_sgpr_private_segment_size 0
		.amdhsa_uses_dynamic_stack 0
		.amdhsa_system_sgpr_private_segment_wavefront_offset 0
		.amdhsa_system_sgpr_workgroup_id_x 1
		.amdhsa_system_sgpr_workgroup_id_y 0
		.amdhsa_system_sgpr_workgroup_id_z 0
		.amdhsa_system_sgpr_workgroup_info 0
		.amdhsa_system_vgpr_workitem_id 0
		.amdhsa_next_free_vgpr 1
		.amdhsa_next_free_sgpr 0
		.amdhsa_accum_offset 4
		.amdhsa_reserve_vcc 0
		.amdhsa_reserve_flat_scratch 0
		.amdhsa_float_round_mode_32 0
		.amdhsa_float_round_mode_16_64 0
		.amdhsa_float_denorm_mode_32 3
		.amdhsa_float_denorm_mode_16_64 3
		.amdhsa_dx10_clamp 1
		.amdhsa_ieee_mode 1
		.amdhsa_fp16_overflow 0
		.amdhsa_tg_split 0
		.amdhsa_exception_fp_ieee_invalid_op 0
		.amdhsa_exception_fp_denorm_src 0
		.amdhsa_exception_fp_ieee_div_zero 0
		.amdhsa_exception_fp_ieee_overflow 0
		.amdhsa_exception_fp_ieee_underflow 0
		.amdhsa_exception_fp_ieee_inexact 0
		.amdhsa_exception_int_div_zero 0
	.end_amdhsa_kernel
	.section	.text._ZN7rocprim17ROCPRIM_400000_NS6detail17trampoline_kernelINS0_14default_configENS1_20scan_config_selectorIsEEZZNS1_9scan_implILNS1_25lookback_scan_determinismE0ELb0ELb0ES3_N6thrust23THRUST_200600_302600_NS6detail15normal_iteratorINS9_10device_ptrIsEEEENS9_16discard_iteratorINS9_11use_defaultEEEs11max_functorIsEsEEDaPvRmT3_T4_T5_mT6_P12ihipStream_tbENKUlT_T0_E_clISt17integral_constantIbLb1EESW_IbLb0EEEEDaSS_ST_EUlSS_E0_NS1_11comp_targetILNS1_3genE10ELNS1_11target_archE1200ELNS1_3gpuE4ELNS1_3repE0EEENS1_30default_config_static_selectorELNS0_4arch9wavefront6targetE1EEEvT1_,"axG",@progbits,_ZN7rocprim17ROCPRIM_400000_NS6detail17trampoline_kernelINS0_14default_configENS1_20scan_config_selectorIsEEZZNS1_9scan_implILNS1_25lookback_scan_determinismE0ELb0ELb0ES3_N6thrust23THRUST_200600_302600_NS6detail15normal_iteratorINS9_10device_ptrIsEEEENS9_16discard_iteratorINS9_11use_defaultEEEs11max_functorIsEsEEDaPvRmT3_T4_T5_mT6_P12ihipStream_tbENKUlT_T0_E_clISt17integral_constantIbLb1EESW_IbLb0EEEEDaSS_ST_EUlSS_E0_NS1_11comp_targetILNS1_3genE10ELNS1_11target_archE1200ELNS1_3gpuE4ELNS1_3repE0EEENS1_30default_config_static_selectorELNS0_4arch9wavefront6targetE1EEEvT1_,comdat
.Lfunc_end4049:
	.size	_ZN7rocprim17ROCPRIM_400000_NS6detail17trampoline_kernelINS0_14default_configENS1_20scan_config_selectorIsEEZZNS1_9scan_implILNS1_25lookback_scan_determinismE0ELb0ELb0ES3_N6thrust23THRUST_200600_302600_NS6detail15normal_iteratorINS9_10device_ptrIsEEEENS9_16discard_iteratorINS9_11use_defaultEEEs11max_functorIsEsEEDaPvRmT3_T4_T5_mT6_P12ihipStream_tbENKUlT_T0_E_clISt17integral_constantIbLb1EESW_IbLb0EEEEDaSS_ST_EUlSS_E0_NS1_11comp_targetILNS1_3genE10ELNS1_11target_archE1200ELNS1_3gpuE4ELNS1_3repE0EEENS1_30default_config_static_selectorELNS0_4arch9wavefront6targetE1EEEvT1_, .Lfunc_end4049-_ZN7rocprim17ROCPRIM_400000_NS6detail17trampoline_kernelINS0_14default_configENS1_20scan_config_selectorIsEEZZNS1_9scan_implILNS1_25lookback_scan_determinismE0ELb0ELb0ES3_N6thrust23THRUST_200600_302600_NS6detail15normal_iteratorINS9_10device_ptrIsEEEENS9_16discard_iteratorINS9_11use_defaultEEEs11max_functorIsEsEEDaPvRmT3_T4_T5_mT6_P12ihipStream_tbENKUlT_T0_E_clISt17integral_constantIbLb1EESW_IbLb0EEEEDaSS_ST_EUlSS_E0_NS1_11comp_targetILNS1_3genE10ELNS1_11target_archE1200ELNS1_3gpuE4ELNS1_3repE0EEENS1_30default_config_static_selectorELNS0_4arch9wavefront6targetE1EEEvT1_
                                        ; -- End function
	.section	.AMDGPU.csdata,"",@progbits
; Kernel info:
; codeLenInByte = 0
; NumSgprs: 4
; NumVgprs: 0
; NumAgprs: 0
; TotalNumVgprs: 0
; ScratchSize: 0
; MemoryBound: 0
; FloatMode: 240
; IeeeMode: 1
; LDSByteSize: 0 bytes/workgroup (compile time only)
; SGPRBlocks: 0
; VGPRBlocks: 0
; NumSGPRsForWavesPerEU: 4
; NumVGPRsForWavesPerEU: 1
; AccumOffset: 4
; Occupancy: 8
; WaveLimiterHint : 0
; COMPUTE_PGM_RSRC2:SCRATCH_EN: 0
; COMPUTE_PGM_RSRC2:USER_SGPR: 6
; COMPUTE_PGM_RSRC2:TRAP_HANDLER: 0
; COMPUTE_PGM_RSRC2:TGID_X_EN: 1
; COMPUTE_PGM_RSRC2:TGID_Y_EN: 0
; COMPUTE_PGM_RSRC2:TGID_Z_EN: 0
; COMPUTE_PGM_RSRC2:TIDIG_COMP_CNT: 0
; COMPUTE_PGM_RSRC3_GFX90A:ACCUM_OFFSET: 0
; COMPUTE_PGM_RSRC3_GFX90A:TG_SPLIT: 0
	.section	.text._ZN7rocprim17ROCPRIM_400000_NS6detail17trampoline_kernelINS0_14default_configENS1_20scan_config_selectorIsEEZZNS1_9scan_implILNS1_25lookback_scan_determinismE0ELb0ELb0ES3_N6thrust23THRUST_200600_302600_NS6detail15normal_iteratorINS9_10device_ptrIsEEEENS9_16discard_iteratorINS9_11use_defaultEEEs11max_functorIsEsEEDaPvRmT3_T4_T5_mT6_P12ihipStream_tbENKUlT_T0_E_clISt17integral_constantIbLb1EESW_IbLb0EEEEDaSS_ST_EUlSS_E0_NS1_11comp_targetILNS1_3genE9ELNS1_11target_archE1100ELNS1_3gpuE3ELNS1_3repE0EEENS1_30default_config_static_selectorELNS0_4arch9wavefront6targetE1EEEvT1_,"axG",@progbits,_ZN7rocprim17ROCPRIM_400000_NS6detail17trampoline_kernelINS0_14default_configENS1_20scan_config_selectorIsEEZZNS1_9scan_implILNS1_25lookback_scan_determinismE0ELb0ELb0ES3_N6thrust23THRUST_200600_302600_NS6detail15normal_iteratorINS9_10device_ptrIsEEEENS9_16discard_iteratorINS9_11use_defaultEEEs11max_functorIsEsEEDaPvRmT3_T4_T5_mT6_P12ihipStream_tbENKUlT_T0_E_clISt17integral_constantIbLb1EESW_IbLb0EEEEDaSS_ST_EUlSS_E0_NS1_11comp_targetILNS1_3genE9ELNS1_11target_archE1100ELNS1_3gpuE3ELNS1_3repE0EEENS1_30default_config_static_selectorELNS0_4arch9wavefront6targetE1EEEvT1_,comdat
	.protected	_ZN7rocprim17ROCPRIM_400000_NS6detail17trampoline_kernelINS0_14default_configENS1_20scan_config_selectorIsEEZZNS1_9scan_implILNS1_25lookback_scan_determinismE0ELb0ELb0ES3_N6thrust23THRUST_200600_302600_NS6detail15normal_iteratorINS9_10device_ptrIsEEEENS9_16discard_iteratorINS9_11use_defaultEEEs11max_functorIsEsEEDaPvRmT3_T4_T5_mT6_P12ihipStream_tbENKUlT_T0_E_clISt17integral_constantIbLb1EESW_IbLb0EEEEDaSS_ST_EUlSS_E0_NS1_11comp_targetILNS1_3genE9ELNS1_11target_archE1100ELNS1_3gpuE3ELNS1_3repE0EEENS1_30default_config_static_selectorELNS0_4arch9wavefront6targetE1EEEvT1_ ; -- Begin function _ZN7rocprim17ROCPRIM_400000_NS6detail17trampoline_kernelINS0_14default_configENS1_20scan_config_selectorIsEEZZNS1_9scan_implILNS1_25lookback_scan_determinismE0ELb0ELb0ES3_N6thrust23THRUST_200600_302600_NS6detail15normal_iteratorINS9_10device_ptrIsEEEENS9_16discard_iteratorINS9_11use_defaultEEEs11max_functorIsEsEEDaPvRmT3_T4_T5_mT6_P12ihipStream_tbENKUlT_T0_E_clISt17integral_constantIbLb1EESW_IbLb0EEEEDaSS_ST_EUlSS_E0_NS1_11comp_targetILNS1_3genE9ELNS1_11target_archE1100ELNS1_3gpuE3ELNS1_3repE0EEENS1_30default_config_static_selectorELNS0_4arch9wavefront6targetE1EEEvT1_
	.globl	_ZN7rocprim17ROCPRIM_400000_NS6detail17trampoline_kernelINS0_14default_configENS1_20scan_config_selectorIsEEZZNS1_9scan_implILNS1_25lookback_scan_determinismE0ELb0ELb0ES3_N6thrust23THRUST_200600_302600_NS6detail15normal_iteratorINS9_10device_ptrIsEEEENS9_16discard_iteratorINS9_11use_defaultEEEs11max_functorIsEsEEDaPvRmT3_T4_T5_mT6_P12ihipStream_tbENKUlT_T0_E_clISt17integral_constantIbLb1EESW_IbLb0EEEEDaSS_ST_EUlSS_E0_NS1_11comp_targetILNS1_3genE9ELNS1_11target_archE1100ELNS1_3gpuE3ELNS1_3repE0EEENS1_30default_config_static_selectorELNS0_4arch9wavefront6targetE1EEEvT1_
	.p2align	8
	.type	_ZN7rocprim17ROCPRIM_400000_NS6detail17trampoline_kernelINS0_14default_configENS1_20scan_config_selectorIsEEZZNS1_9scan_implILNS1_25lookback_scan_determinismE0ELb0ELb0ES3_N6thrust23THRUST_200600_302600_NS6detail15normal_iteratorINS9_10device_ptrIsEEEENS9_16discard_iteratorINS9_11use_defaultEEEs11max_functorIsEsEEDaPvRmT3_T4_T5_mT6_P12ihipStream_tbENKUlT_T0_E_clISt17integral_constantIbLb1EESW_IbLb0EEEEDaSS_ST_EUlSS_E0_NS1_11comp_targetILNS1_3genE9ELNS1_11target_archE1100ELNS1_3gpuE3ELNS1_3repE0EEENS1_30default_config_static_selectorELNS0_4arch9wavefront6targetE1EEEvT1_,@function
_ZN7rocprim17ROCPRIM_400000_NS6detail17trampoline_kernelINS0_14default_configENS1_20scan_config_selectorIsEEZZNS1_9scan_implILNS1_25lookback_scan_determinismE0ELb0ELb0ES3_N6thrust23THRUST_200600_302600_NS6detail15normal_iteratorINS9_10device_ptrIsEEEENS9_16discard_iteratorINS9_11use_defaultEEEs11max_functorIsEsEEDaPvRmT3_T4_T5_mT6_P12ihipStream_tbENKUlT_T0_E_clISt17integral_constantIbLb1EESW_IbLb0EEEEDaSS_ST_EUlSS_E0_NS1_11comp_targetILNS1_3genE9ELNS1_11target_archE1100ELNS1_3gpuE3ELNS1_3repE0EEENS1_30default_config_static_selectorELNS0_4arch9wavefront6targetE1EEEvT1_: ; @_ZN7rocprim17ROCPRIM_400000_NS6detail17trampoline_kernelINS0_14default_configENS1_20scan_config_selectorIsEEZZNS1_9scan_implILNS1_25lookback_scan_determinismE0ELb0ELb0ES3_N6thrust23THRUST_200600_302600_NS6detail15normal_iteratorINS9_10device_ptrIsEEEENS9_16discard_iteratorINS9_11use_defaultEEEs11max_functorIsEsEEDaPvRmT3_T4_T5_mT6_P12ihipStream_tbENKUlT_T0_E_clISt17integral_constantIbLb1EESW_IbLb0EEEEDaSS_ST_EUlSS_E0_NS1_11comp_targetILNS1_3genE9ELNS1_11target_archE1100ELNS1_3gpuE3ELNS1_3repE0EEENS1_30default_config_static_selectorELNS0_4arch9wavefront6targetE1EEEvT1_
; %bb.0:
	.section	.rodata,"a",@progbits
	.p2align	6, 0x0
	.amdhsa_kernel _ZN7rocprim17ROCPRIM_400000_NS6detail17trampoline_kernelINS0_14default_configENS1_20scan_config_selectorIsEEZZNS1_9scan_implILNS1_25lookback_scan_determinismE0ELb0ELb0ES3_N6thrust23THRUST_200600_302600_NS6detail15normal_iteratorINS9_10device_ptrIsEEEENS9_16discard_iteratorINS9_11use_defaultEEEs11max_functorIsEsEEDaPvRmT3_T4_T5_mT6_P12ihipStream_tbENKUlT_T0_E_clISt17integral_constantIbLb1EESW_IbLb0EEEEDaSS_ST_EUlSS_E0_NS1_11comp_targetILNS1_3genE9ELNS1_11target_archE1100ELNS1_3gpuE3ELNS1_3repE0EEENS1_30default_config_static_selectorELNS0_4arch9wavefront6targetE1EEEvT1_
		.amdhsa_group_segment_fixed_size 0
		.amdhsa_private_segment_fixed_size 0
		.amdhsa_kernarg_size 40
		.amdhsa_user_sgpr_count 6
		.amdhsa_user_sgpr_private_segment_buffer 1
		.amdhsa_user_sgpr_dispatch_ptr 0
		.amdhsa_user_sgpr_queue_ptr 0
		.amdhsa_user_sgpr_kernarg_segment_ptr 1
		.amdhsa_user_sgpr_dispatch_id 0
		.amdhsa_user_sgpr_flat_scratch_init 0
		.amdhsa_user_sgpr_kernarg_preload_length 0
		.amdhsa_user_sgpr_kernarg_preload_offset 0
		.amdhsa_user_sgpr_private_segment_size 0
		.amdhsa_uses_dynamic_stack 0
		.amdhsa_system_sgpr_private_segment_wavefront_offset 0
		.amdhsa_system_sgpr_workgroup_id_x 1
		.amdhsa_system_sgpr_workgroup_id_y 0
		.amdhsa_system_sgpr_workgroup_id_z 0
		.amdhsa_system_sgpr_workgroup_info 0
		.amdhsa_system_vgpr_workitem_id 0
		.amdhsa_next_free_vgpr 1
		.amdhsa_next_free_sgpr 0
		.amdhsa_accum_offset 4
		.amdhsa_reserve_vcc 0
		.amdhsa_reserve_flat_scratch 0
		.amdhsa_float_round_mode_32 0
		.amdhsa_float_round_mode_16_64 0
		.amdhsa_float_denorm_mode_32 3
		.amdhsa_float_denorm_mode_16_64 3
		.amdhsa_dx10_clamp 1
		.amdhsa_ieee_mode 1
		.amdhsa_fp16_overflow 0
		.amdhsa_tg_split 0
		.amdhsa_exception_fp_ieee_invalid_op 0
		.amdhsa_exception_fp_denorm_src 0
		.amdhsa_exception_fp_ieee_div_zero 0
		.amdhsa_exception_fp_ieee_overflow 0
		.amdhsa_exception_fp_ieee_underflow 0
		.amdhsa_exception_fp_ieee_inexact 0
		.amdhsa_exception_int_div_zero 0
	.end_amdhsa_kernel
	.section	.text._ZN7rocprim17ROCPRIM_400000_NS6detail17trampoline_kernelINS0_14default_configENS1_20scan_config_selectorIsEEZZNS1_9scan_implILNS1_25lookback_scan_determinismE0ELb0ELb0ES3_N6thrust23THRUST_200600_302600_NS6detail15normal_iteratorINS9_10device_ptrIsEEEENS9_16discard_iteratorINS9_11use_defaultEEEs11max_functorIsEsEEDaPvRmT3_T4_T5_mT6_P12ihipStream_tbENKUlT_T0_E_clISt17integral_constantIbLb1EESW_IbLb0EEEEDaSS_ST_EUlSS_E0_NS1_11comp_targetILNS1_3genE9ELNS1_11target_archE1100ELNS1_3gpuE3ELNS1_3repE0EEENS1_30default_config_static_selectorELNS0_4arch9wavefront6targetE1EEEvT1_,"axG",@progbits,_ZN7rocprim17ROCPRIM_400000_NS6detail17trampoline_kernelINS0_14default_configENS1_20scan_config_selectorIsEEZZNS1_9scan_implILNS1_25lookback_scan_determinismE0ELb0ELb0ES3_N6thrust23THRUST_200600_302600_NS6detail15normal_iteratorINS9_10device_ptrIsEEEENS9_16discard_iteratorINS9_11use_defaultEEEs11max_functorIsEsEEDaPvRmT3_T4_T5_mT6_P12ihipStream_tbENKUlT_T0_E_clISt17integral_constantIbLb1EESW_IbLb0EEEEDaSS_ST_EUlSS_E0_NS1_11comp_targetILNS1_3genE9ELNS1_11target_archE1100ELNS1_3gpuE3ELNS1_3repE0EEENS1_30default_config_static_selectorELNS0_4arch9wavefront6targetE1EEEvT1_,comdat
.Lfunc_end4050:
	.size	_ZN7rocprim17ROCPRIM_400000_NS6detail17trampoline_kernelINS0_14default_configENS1_20scan_config_selectorIsEEZZNS1_9scan_implILNS1_25lookback_scan_determinismE0ELb0ELb0ES3_N6thrust23THRUST_200600_302600_NS6detail15normal_iteratorINS9_10device_ptrIsEEEENS9_16discard_iteratorINS9_11use_defaultEEEs11max_functorIsEsEEDaPvRmT3_T4_T5_mT6_P12ihipStream_tbENKUlT_T0_E_clISt17integral_constantIbLb1EESW_IbLb0EEEEDaSS_ST_EUlSS_E0_NS1_11comp_targetILNS1_3genE9ELNS1_11target_archE1100ELNS1_3gpuE3ELNS1_3repE0EEENS1_30default_config_static_selectorELNS0_4arch9wavefront6targetE1EEEvT1_, .Lfunc_end4050-_ZN7rocprim17ROCPRIM_400000_NS6detail17trampoline_kernelINS0_14default_configENS1_20scan_config_selectorIsEEZZNS1_9scan_implILNS1_25lookback_scan_determinismE0ELb0ELb0ES3_N6thrust23THRUST_200600_302600_NS6detail15normal_iteratorINS9_10device_ptrIsEEEENS9_16discard_iteratorINS9_11use_defaultEEEs11max_functorIsEsEEDaPvRmT3_T4_T5_mT6_P12ihipStream_tbENKUlT_T0_E_clISt17integral_constantIbLb1EESW_IbLb0EEEEDaSS_ST_EUlSS_E0_NS1_11comp_targetILNS1_3genE9ELNS1_11target_archE1100ELNS1_3gpuE3ELNS1_3repE0EEENS1_30default_config_static_selectorELNS0_4arch9wavefront6targetE1EEEvT1_
                                        ; -- End function
	.section	.AMDGPU.csdata,"",@progbits
; Kernel info:
; codeLenInByte = 0
; NumSgprs: 4
; NumVgprs: 0
; NumAgprs: 0
; TotalNumVgprs: 0
; ScratchSize: 0
; MemoryBound: 0
; FloatMode: 240
; IeeeMode: 1
; LDSByteSize: 0 bytes/workgroup (compile time only)
; SGPRBlocks: 0
; VGPRBlocks: 0
; NumSGPRsForWavesPerEU: 4
; NumVGPRsForWavesPerEU: 1
; AccumOffset: 4
; Occupancy: 8
; WaveLimiterHint : 0
; COMPUTE_PGM_RSRC2:SCRATCH_EN: 0
; COMPUTE_PGM_RSRC2:USER_SGPR: 6
; COMPUTE_PGM_RSRC2:TRAP_HANDLER: 0
; COMPUTE_PGM_RSRC2:TGID_X_EN: 1
; COMPUTE_PGM_RSRC2:TGID_Y_EN: 0
; COMPUTE_PGM_RSRC2:TGID_Z_EN: 0
; COMPUTE_PGM_RSRC2:TIDIG_COMP_CNT: 0
; COMPUTE_PGM_RSRC3_GFX90A:ACCUM_OFFSET: 0
; COMPUTE_PGM_RSRC3_GFX90A:TG_SPLIT: 0
	.section	.text._ZN7rocprim17ROCPRIM_400000_NS6detail17trampoline_kernelINS0_14default_configENS1_20scan_config_selectorIsEEZZNS1_9scan_implILNS1_25lookback_scan_determinismE0ELb0ELb0ES3_N6thrust23THRUST_200600_302600_NS6detail15normal_iteratorINS9_10device_ptrIsEEEENS9_16discard_iteratorINS9_11use_defaultEEEs11max_functorIsEsEEDaPvRmT3_T4_T5_mT6_P12ihipStream_tbENKUlT_T0_E_clISt17integral_constantIbLb1EESW_IbLb0EEEEDaSS_ST_EUlSS_E0_NS1_11comp_targetILNS1_3genE8ELNS1_11target_archE1030ELNS1_3gpuE2ELNS1_3repE0EEENS1_30default_config_static_selectorELNS0_4arch9wavefront6targetE1EEEvT1_,"axG",@progbits,_ZN7rocprim17ROCPRIM_400000_NS6detail17trampoline_kernelINS0_14default_configENS1_20scan_config_selectorIsEEZZNS1_9scan_implILNS1_25lookback_scan_determinismE0ELb0ELb0ES3_N6thrust23THRUST_200600_302600_NS6detail15normal_iteratorINS9_10device_ptrIsEEEENS9_16discard_iteratorINS9_11use_defaultEEEs11max_functorIsEsEEDaPvRmT3_T4_T5_mT6_P12ihipStream_tbENKUlT_T0_E_clISt17integral_constantIbLb1EESW_IbLb0EEEEDaSS_ST_EUlSS_E0_NS1_11comp_targetILNS1_3genE8ELNS1_11target_archE1030ELNS1_3gpuE2ELNS1_3repE0EEENS1_30default_config_static_selectorELNS0_4arch9wavefront6targetE1EEEvT1_,comdat
	.protected	_ZN7rocprim17ROCPRIM_400000_NS6detail17trampoline_kernelINS0_14default_configENS1_20scan_config_selectorIsEEZZNS1_9scan_implILNS1_25lookback_scan_determinismE0ELb0ELb0ES3_N6thrust23THRUST_200600_302600_NS6detail15normal_iteratorINS9_10device_ptrIsEEEENS9_16discard_iteratorINS9_11use_defaultEEEs11max_functorIsEsEEDaPvRmT3_T4_T5_mT6_P12ihipStream_tbENKUlT_T0_E_clISt17integral_constantIbLb1EESW_IbLb0EEEEDaSS_ST_EUlSS_E0_NS1_11comp_targetILNS1_3genE8ELNS1_11target_archE1030ELNS1_3gpuE2ELNS1_3repE0EEENS1_30default_config_static_selectorELNS0_4arch9wavefront6targetE1EEEvT1_ ; -- Begin function _ZN7rocprim17ROCPRIM_400000_NS6detail17trampoline_kernelINS0_14default_configENS1_20scan_config_selectorIsEEZZNS1_9scan_implILNS1_25lookback_scan_determinismE0ELb0ELb0ES3_N6thrust23THRUST_200600_302600_NS6detail15normal_iteratorINS9_10device_ptrIsEEEENS9_16discard_iteratorINS9_11use_defaultEEEs11max_functorIsEsEEDaPvRmT3_T4_T5_mT6_P12ihipStream_tbENKUlT_T0_E_clISt17integral_constantIbLb1EESW_IbLb0EEEEDaSS_ST_EUlSS_E0_NS1_11comp_targetILNS1_3genE8ELNS1_11target_archE1030ELNS1_3gpuE2ELNS1_3repE0EEENS1_30default_config_static_selectorELNS0_4arch9wavefront6targetE1EEEvT1_
	.globl	_ZN7rocprim17ROCPRIM_400000_NS6detail17trampoline_kernelINS0_14default_configENS1_20scan_config_selectorIsEEZZNS1_9scan_implILNS1_25lookback_scan_determinismE0ELb0ELb0ES3_N6thrust23THRUST_200600_302600_NS6detail15normal_iteratorINS9_10device_ptrIsEEEENS9_16discard_iteratorINS9_11use_defaultEEEs11max_functorIsEsEEDaPvRmT3_T4_T5_mT6_P12ihipStream_tbENKUlT_T0_E_clISt17integral_constantIbLb1EESW_IbLb0EEEEDaSS_ST_EUlSS_E0_NS1_11comp_targetILNS1_3genE8ELNS1_11target_archE1030ELNS1_3gpuE2ELNS1_3repE0EEENS1_30default_config_static_selectorELNS0_4arch9wavefront6targetE1EEEvT1_
	.p2align	8
	.type	_ZN7rocprim17ROCPRIM_400000_NS6detail17trampoline_kernelINS0_14default_configENS1_20scan_config_selectorIsEEZZNS1_9scan_implILNS1_25lookback_scan_determinismE0ELb0ELb0ES3_N6thrust23THRUST_200600_302600_NS6detail15normal_iteratorINS9_10device_ptrIsEEEENS9_16discard_iteratorINS9_11use_defaultEEEs11max_functorIsEsEEDaPvRmT3_T4_T5_mT6_P12ihipStream_tbENKUlT_T0_E_clISt17integral_constantIbLb1EESW_IbLb0EEEEDaSS_ST_EUlSS_E0_NS1_11comp_targetILNS1_3genE8ELNS1_11target_archE1030ELNS1_3gpuE2ELNS1_3repE0EEENS1_30default_config_static_selectorELNS0_4arch9wavefront6targetE1EEEvT1_,@function
_ZN7rocprim17ROCPRIM_400000_NS6detail17trampoline_kernelINS0_14default_configENS1_20scan_config_selectorIsEEZZNS1_9scan_implILNS1_25lookback_scan_determinismE0ELb0ELb0ES3_N6thrust23THRUST_200600_302600_NS6detail15normal_iteratorINS9_10device_ptrIsEEEENS9_16discard_iteratorINS9_11use_defaultEEEs11max_functorIsEsEEDaPvRmT3_T4_T5_mT6_P12ihipStream_tbENKUlT_T0_E_clISt17integral_constantIbLb1EESW_IbLb0EEEEDaSS_ST_EUlSS_E0_NS1_11comp_targetILNS1_3genE8ELNS1_11target_archE1030ELNS1_3gpuE2ELNS1_3repE0EEENS1_30default_config_static_selectorELNS0_4arch9wavefront6targetE1EEEvT1_: ; @_ZN7rocprim17ROCPRIM_400000_NS6detail17trampoline_kernelINS0_14default_configENS1_20scan_config_selectorIsEEZZNS1_9scan_implILNS1_25lookback_scan_determinismE0ELb0ELb0ES3_N6thrust23THRUST_200600_302600_NS6detail15normal_iteratorINS9_10device_ptrIsEEEENS9_16discard_iteratorINS9_11use_defaultEEEs11max_functorIsEsEEDaPvRmT3_T4_T5_mT6_P12ihipStream_tbENKUlT_T0_E_clISt17integral_constantIbLb1EESW_IbLb0EEEEDaSS_ST_EUlSS_E0_NS1_11comp_targetILNS1_3genE8ELNS1_11target_archE1030ELNS1_3gpuE2ELNS1_3repE0EEENS1_30default_config_static_selectorELNS0_4arch9wavefront6targetE1EEEvT1_
; %bb.0:
	.section	.rodata,"a",@progbits
	.p2align	6, 0x0
	.amdhsa_kernel _ZN7rocprim17ROCPRIM_400000_NS6detail17trampoline_kernelINS0_14default_configENS1_20scan_config_selectorIsEEZZNS1_9scan_implILNS1_25lookback_scan_determinismE0ELb0ELb0ES3_N6thrust23THRUST_200600_302600_NS6detail15normal_iteratorINS9_10device_ptrIsEEEENS9_16discard_iteratorINS9_11use_defaultEEEs11max_functorIsEsEEDaPvRmT3_T4_T5_mT6_P12ihipStream_tbENKUlT_T0_E_clISt17integral_constantIbLb1EESW_IbLb0EEEEDaSS_ST_EUlSS_E0_NS1_11comp_targetILNS1_3genE8ELNS1_11target_archE1030ELNS1_3gpuE2ELNS1_3repE0EEENS1_30default_config_static_selectorELNS0_4arch9wavefront6targetE1EEEvT1_
		.amdhsa_group_segment_fixed_size 0
		.amdhsa_private_segment_fixed_size 0
		.amdhsa_kernarg_size 40
		.amdhsa_user_sgpr_count 6
		.amdhsa_user_sgpr_private_segment_buffer 1
		.amdhsa_user_sgpr_dispatch_ptr 0
		.amdhsa_user_sgpr_queue_ptr 0
		.amdhsa_user_sgpr_kernarg_segment_ptr 1
		.amdhsa_user_sgpr_dispatch_id 0
		.amdhsa_user_sgpr_flat_scratch_init 0
		.amdhsa_user_sgpr_kernarg_preload_length 0
		.amdhsa_user_sgpr_kernarg_preload_offset 0
		.amdhsa_user_sgpr_private_segment_size 0
		.amdhsa_uses_dynamic_stack 0
		.amdhsa_system_sgpr_private_segment_wavefront_offset 0
		.amdhsa_system_sgpr_workgroup_id_x 1
		.amdhsa_system_sgpr_workgroup_id_y 0
		.amdhsa_system_sgpr_workgroup_id_z 0
		.amdhsa_system_sgpr_workgroup_info 0
		.amdhsa_system_vgpr_workitem_id 0
		.amdhsa_next_free_vgpr 1
		.amdhsa_next_free_sgpr 0
		.amdhsa_accum_offset 4
		.amdhsa_reserve_vcc 0
		.amdhsa_reserve_flat_scratch 0
		.amdhsa_float_round_mode_32 0
		.amdhsa_float_round_mode_16_64 0
		.amdhsa_float_denorm_mode_32 3
		.amdhsa_float_denorm_mode_16_64 3
		.amdhsa_dx10_clamp 1
		.amdhsa_ieee_mode 1
		.amdhsa_fp16_overflow 0
		.amdhsa_tg_split 0
		.amdhsa_exception_fp_ieee_invalid_op 0
		.amdhsa_exception_fp_denorm_src 0
		.amdhsa_exception_fp_ieee_div_zero 0
		.amdhsa_exception_fp_ieee_overflow 0
		.amdhsa_exception_fp_ieee_underflow 0
		.amdhsa_exception_fp_ieee_inexact 0
		.amdhsa_exception_int_div_zero 0
	.end_amdhsa_kernel
	.section	.text._ZN7rocprim17ROCPRIM_400000_NS6detail17trampoline_kernelINS0_14default_configENS1_20scan_config_selectorIsEEZZNS1_9scan_implILNS1_25lookback_scan_determinismE0ELb0ELb0ES3_N6thrust23THRUST_200600_302600_NS6detail15normal_iteratorINS9_10device_ptrIsEEEENS9_16discard_iteratorINS9_11use_defaultEEEs11max_functorIsEsEEDaPvRmT3_T4_T5_mT6_P12ihipStream_tbENKUlT_T0_E_clISt17integral_constantIbLb1EESW_IbLb0EEEEDaSS_ST_EUlSS_E0_NS1_11comp_targetILNS1_3genE8ELNS1_11target_archE1030ELNS1_3gpuE2ELNS1_3repE0EEENS1_30default_config_static_selectorELNS0_4arch9wavefront6targetE1EEEvT1_,"axG",@progbits,_ZN7rocprim17ROCPRIM_400000_NS6detail17trampoline_kernelINS0_14default_configENS1_20scan_config_selectorIsEEZZNS1_9scan_implILNS1_25lookback_scan_determinismE0ELb0ELb0ES3_N6thrust23THRUST_200600_302600_NS6detail15normal_iteratorINS9_10device_ptrIsEEEENS9_16discard_iteratorINS9_11use_defaultEEEs11max_functorIsEsEEDaPvRmT3_T4_T5_mT6_P12ihipStream_tbENKUlT_T0_E_clISt17integral_constantIbLb1EESW_IbLb0EEEEDaSS_ST_EUlSS_E0_NS1_11comp_targetILNS1_3genE8ELNS1_11target_archE1030ELNS1_3gpuE2ELNS1_3repE0EEENS1_30default_config_static_selectorELNS0_4arch9wavefront6targetE1EEEvT1_,comdat
.Lfunc_end4051:
	.size	_ZN7rocprim17ROCPRIM_400000_NS6detail17trampoline_kernelINS0_14default_configENS1_20scan_config_selectorIsEEZZNS1_9scan_implILNS1_25lookback_scan_determinismE0ELb0ELb0ES3_N6thrust23THRUST_200600_302600_NS6detail15normal_iteratorINS9_10device_ptrIsEEEENS9_16discard_iteratorINS9_11use_defaultEEEs11max_functorIsEsEEDaPvRmT3_T4_T5_mT6_P12ihipStream_tbENKUlT_T0_E_clISt17integral_constantIbLb1EESW_IbLb0EEEEDaSS_ST_EUlSS_E0_NS1_11comp_targetILNS1_3genE8ELNS1_11target_archE1030ELNS1_3gpuE2ELNS1_3repE0EEENS1_30default_config_static_selectorELNS0_4arch9wavefront6targetE1EEEvT1_, .Lfunc_end4051-_ZN7rocprim17ROCPRIM_400000_NS6detail17trampoline_kernelINS0_14default_configENS1_20scan_config_selectorIsEEZZNS1_9scan_implILNS1_25lookback_scan_determinismE0ELb0ELb0ES3_N6thrust23THRUST_200600_302600_NS6detail15normal_iteratorINS9_10device_ptrIsEEEENS9_16discard_iteratorINS9_11use_defaultEEEs11max_functorIsEsEEDaPvRmT3_T4_T5_mT6_P12ihipStream_tbENKUlT_T0_E_clISt17integral_constantIbLb1EESW_IbLb0EEEEDaSS_ST_EUlSS_E0_NS1_11comp_targetILNS1_3genE8ELNS1_11target_archE1030ELNS1_3gpuE2ELNS1_3repE0EEENS1_30default_config_static_selectorELNS0_4arch9wavefront6targetE1EEEvT1_
                                        ; -- End function
	.section	.AMDGPU.csdata,"",@progbits
; Kernel info:
; codeLenInByte = 0
; NumSgprs: 4
; NumVgprs: 0
; NumAgprs: 0
; TotalNumVgprs: 0
; ScratchSize: 0
; MemoryBound: 0
; FloatMode: 240
; IeeeMode: 1
; LDSByteSize: 0 bytes/workgroup (compile time only)
; SGPRBlocks: 0
; VGPRBlocks: 0
; NumSGPRsForWavesPerEU: 4
; NumVGPRsForWavesPerEU: 1
; AccumOffset: 4
; Occupancy: 8
; WaveLimiterHint : 0
; COMPUTE_PGM_RSRC2:SCRATCH_EN: 0
; COMPUTE_PGM_RSRC2:USER_SGPR: 6
; COMPUTE_PGM_RSRC2:TRAP_HANDLER: 0
; COMPUTE_PGM_RSRC2:TGID_X_EN: 1
; COMPUTE_PGM_RSRC2:TGID_Y_EN: 0
; COMPUTE_PGM_RSRC2:TGID_Z_EN: 0
; COMPUTE_PGM_RSRC2:TIDIG_COMP_CNT: 0
; COMPUTE_PGM_RSRC3_GFX90A:ACCUM_OFFSET: 0
; COMPUTE_PGM_RSRC3_GFX90A:TG_SPLIT: 0
	.section	.text._ZN7rocprim17ROCPRIM_400000_NS6detail17trampoline_kernelINS0_14default_configENS1_20scan_config_selectorIsEEZZNS1_9scan_implILNS1_25lookback_scan_determinismE0ELb0ELb0ES3_N6thrust23THRUST_200600_302600_NS6detail15normal_iteratorINS9_10device_ptrIsEEEENS9_16discard_iteratorINS9_11use_defaultEEEs11max_functorIsEsEEDaPvRmT3_T4_T5_mT6_P12ihipStream_tbENKUlT_T0_E_clISt17integral_constantIbLb0EESW_IbLb1EEEEDaSS_ST_EUlSS_E_NS1_11comp_targetILNS1_3genE0ELNS1_11target_archE4294967295ELNS1_3gpuE0ELNS1_3repE0EEENS1_30default_config_static_selectorELNS0_4arch9wavefront6targetE1EEEvT1_,"axG",@progbits,_ZN7rocprim17ROCPRIM_400000_NS6detail17trampoline_kernelINS0_14default_configENS1_20scan_config_selectorIsEEZZNS1_9scan_implILNS1_25lookback_scan_determinismE0ELb0ELb0ES3_N6thrust23THRUST_200600_302600_NS6detail15normal_iteratorINS9_10device_ptrIsEEEENS9_16discard_iteratorINS9_11use_defaultEEEs11max_functorIsEsEEDaPvRmT3_T4_T5_mT6_P12ihipStream_tbENKUlT_T0_E_clISt17integral_constantIbLb0EESW_IbLb1EEEEDaSS_ST_EUlSS_E_NS1_11comp_targetILNS1_3genE0ELNS1_11target_archE4294967295ELNS1_3gpuE0ELNS1_3repE0EEENS1_30default_config_static_selectorELNS0_4arch9wavefront6targetE1EEEvT1_,comdat
	.protected	_ZN7rocprim17ROCPRIM_400000_NS6detail17trampoline_kernelINS0_14default_configENS1_20scan_config_selectorIsEEZZNS1_9scan_implILNS1_25lookback_scan_determinismE0ELb0ELb0ES3_N6thrust23THRUST_200600_302600_NS6detail15normal_iteratorINS9_10device_ptrIsEEEENS9_16discard_iteratorINS9_11use_defaultEEEs11max_functorIsEsEEDaPvRmT3_T4_T5_mT6_P12ihipStream_tbENKUlT_T0_E_clISt17integral_constantIbLb0EESW_IbLb1EEEEDaSS_ST_EUlSS_E_NS1_11comp_targetILNS1_3genE0ELNS1_11target_archE4294967295ELNS1_3gpuE0ELNS1_3repE0EEENS1_30default_config_static_selectorELNS0_4arch9wavefront6targetE1EEEvT1_ ; -- Begin function _ZN7rocprim17ROCPRIM_400000_NS6detail17trampoline_kernelINS0_14default_configENS1_20scan_config_selectorIsEEZZNS1_9scan_implILNS1_25lookback_scan_determinismE0ELb0ELb0ES3_N6thrust23THRUST_200600_302600_NS6detail15normal_iteratorINS9_10device_ptrIsEEEENS9_16discard_iteratorINS9_11use_defaultEEEs11max_functorIsEsEEDaPvRmT3_T4_T5_mT6_P12ihipStream_tbENKUlT_T0_E_clISt17integral_constantIbLb0EESW_IbLb1EEEEDaSS_ST_EUlSS_E_NS1_11comp_targetILNS1_3genE0ELNS1_11target_archE4294967295ELNS1_3gpuE0ELNS1_3repE0EEENS1_30default_config_static_selectorELNS0_4arch9wavefront6targetE1EEEvT1_
	.globl	_ZN7rocprim17ROCPRIM_400000_NS6detail17trampoline_kernelINS0_14default_configENS1_20scan_config_selectorIsEEZZNS1_9scan_implILNS1_25lookback_scan_determinismE0ELb0ELb0ES3_N6thrust23THRUST_200600_302600_NS6detail15normal_iteratorINS9_10device_ptrIsEEEENS9_16discard_iteratorINS9_11use_defaultEEEs11max_functorIsEsEEDaPvRmT3_T4_T5_mT6_P12ihipStream_tbENKUlT_T0_E_clISt17integral_constantIbLb0EESW_IbLb1EEEEDaSS_ST_EUlSS_E_NS1_11comp_targetILNS1_3genE0ELNS1_11target_archE4294967295ELNS1_3gpuE0ELNS1_3repE0EEENS1_30default_config_static_selectorELNS0_4arch9wavefront6targetE1EEEvT1_
	.p2align	8
	.type	_ZN7rocprim17ROCPRIM_400000_NS6detail17trampoline_kernelINS0_14default_configENS1_20scan_config_selectorIsEEZZNS1_9scan_implILNS1_25lookback_scan_determinismE0ELb0ELb0ES3_N6thrust23THRUST_200600_302600_NS6detail15normal_iteratorINS9_10device_ptrIsEEEENS9_16discard_iteratorINS9_11use_defaultEEEs11max_functorIsEsEEDaPvRmT3_T4_T5_mT6_P12ihipStream_tbENKUlT_T0_E_clISt17integral_constantIbLb0EESW_IbLb1EEEEDaSS_ST_EUlSS_E_NS1_11comp_targetILNS1_3genE0ELNS1_11target_archE4294967295ELNS1_3gpuE0ELNS1_3repE0EEENS1_30default_config_static_selectorELNS0_4arch9wavefront6targetE1EEEvT1_,@function
_ZN7rocprim17ROCPRIM_400000_NS6detail17trampoline_kernelINS0_14default_configENS1_20scan_config_selectorIsEEZZNS1_9scan_implILNS1_25lookback_scan_determinismE0ELb0ELb0ES3_N6thrust23THRUST_200600_302600_NS6detail15normal_iteratorINS9_10device_ptrIsEEEENS9_16discard_iteratorINS9_11use_defaultEEEs11max_functorIsEsEEDaPvRmT3_T4_T5_mT6_P12ihipStream_tbENKUlT_T0_E_clISt17integral_constantIbLb0EESW_IbLb1EEEEDaSS_ST_EUlSS_E_NS1_11comp_targetILNS1_3genE0ELNS1_11target_archE4294967295ELNS1_3gpuE0ELNS1_3repE0EEENS1_30default_config_static_selectorELNS0_4arch9wavefront6targetE1EEEvT1_: ; @_ZN7rocprim17ROCPRIM_400000_NS6detail17trampoline_kernelINS0_14default_configENS1_20scan_config_selectorIsEEZZNS1_9scan_implILNS1_25lookback_scan_determinismE0ELb0ELb0ES3_N6thrust23THRUST_200600_302600_NS6detail15normal_iteratorINS9_10device_ptrIsEEEENS9_16discard_iteratorINS9_11use_defaultEEEs11max_functorIsEsEEDaPvRmT3_T4_T5_mT6_P12ihipStream_tbENKUlT_T0_E_clISt17integral_constantIbLb0EESW_IbLb1EEEEDaSS_ST_EUlSS_E_NS1_11comp_targetILNS1_3genE0ELNS1_11target_archE4294967295ELNS1_3gpuE0ELNS1_3repE0EEENS1_30default_config_static_selectorELNS0_4arch9wavefront6targetE1EEEvT1_
; %bb.0:
	.section	.rodata,"a",@progbits
	.p2align	6, 0x0
	.amdhsa_kernel _ZN7rocprim17ROCPRIM_400000_NS6detail17trampoline_kernelINS0_14default_configENS1_20scan_config_selectorIsEEZZNS1_9scan_implILNS1_25lookback_scan_determinismE0ELb0ELb0ES3_N6thrust23THRUST_200600_302600_NS6detail15normal_iteratorINS9_10device_ptrIsEEEENS9_16discard_iteratorINS9_11use_defaultEEEs11max_functorIsEsEEDaPvRmT3_T4_T5_mT6_P12ihipStream_tbENKUlT_T0_E_clISt17integral_constantIbLb0EESW_IbLb1EEEEDaSS_ST_EUlSS_E_NS1_11comp_targetILNS1_3genE0ELNS1_11target_archE4294967295ELNS1_3gpuE0ELNS1_3repE0EEENS1_30default_config_static_selectorELNS0_4arch9wavefront6targetE1EEEvT1_
		.amdhsa_group_segment_fixed_size 0
		.amdhsa_private_segment_fixed_size 0
		.amdhsa_kernarg_size 104
		.amdhsa_user_sgpr_count 6
		.amdhsa_user_sgpr_private_segment_buffer 1
		.amdhsa_user_sgpr_dispatch_ptr 0
		.amdhsa_user_sgpr_queue_ptr 0
		.amdhsa_user_sgpr_kernarg_segment_ptr 1
		.amdhsa_user_sgpr_dispatch_id 0
		.amdhsa_user_sgpr_flat_scratch_init 0
		.amdhsa_user_sgpr_kernarg_preload_length 0
		.amdhsa_user_sgpr_kernarg_preload_offset 0
		.amdhsa_user_sgpr_private_segment_size 0
		.amdhsa_uses_dynamic_stack 0
		.amdhsa_system_sgpr_private_segment_wavefront_offset 0
		.amdhsa_system_sgpr_workgroup_id_x 1
		.amdhsa_system_sgpr_workgroup_id_y 0
		.amdhsa_system_sgpr_workgroup_id_z 0
		.amdhsa_system_sgpr_workgroup_info 0
		.amdhsa_system_vgpr_workitem_id 0
		.amdhsa_next_free_vgpr 1
		.amdhsa_next_free_sgpr 0
		.amdhsa_accum_offset 4
		.amdhsa_reserve_vcc 0
		.amdhsa_reserve_flat_scratch 0
		.amdhsa_float_round_mode_32 0
		.amdhsa_float_round_mode_16_64 0
		.amdhsa_float_denorm_mode_32 3
		.amdhsa_float_denorm_mode_16_64 3
		.amdhsa_dx10_clamp 1
		.amdhsa_ieee_mode 1
		.amdhsa_fp16_overflow 0
		.amdhsa_tg_split 0
		.amdhsa_exception_fp_ieee_invalid_op 0
		.amdhsa_exception_fp_denorm_src 0
		.amdhsa_exception_fp_ieee_div_zero 0
		.amdhsa_exception_fp_ieee_overflow 0
		.amdhsa_exception_fp_ieee_underflow 0
		.amdhsa_exception_fp_ieee_inexact 0
		.amdhsa_exception_int_div_zero 0
	.end_amdhsa_kernel
	.section	.text._ZN7rocprim17ROCPRIM_400000_NS6detail17trampoline_kernelINS0_14default_configENS1_20scan_config_selectorIsEEZZNS1_9scan_implILNS1_25lookback_scan_determinismE0ELb0ELb0ES3_N6thrust23THRUST_200600_302600_NS6detail15normal_iteratorINS9_10device_ptrIsEEEENS9_16discard_iteratorINS9_11use_defaultEEEs11max_functorIsEsEEDaPvRmT3_T4_T5_mT6_P12ihipStream_tbENKUlT_T0_E_clISt17integral_constantIbLb0EESW_IbLb1EEEEDaSS_ST_EUlSS_E_NS1_11comp_targetILNS1_3genE0ELNS1_11target_archE4294967295ELNS1_3gpuE0ELNS1_3repE0EEENS1_30default_config_static_selectorELNS0_4arch9wavefront6targetE1EEEvT1_,"axG",@progbits,_ZN7rocprim17ROCPRIM_400000_NS6detail17trampoline_kernelINS0_14default_configENS1_20scan_config_selectorIsEEZZNS1_9scan_implILNS1_25lookback_scan_determinismE0ELb0ELb0ES3_N6thrust23THRUST_200600_302600_NS6detail15normal_iteratorINS9_10device_ptrIsEEEENS9_16discard_iteratorINS9_11use_defaultEEEs11max_functorIsEsEEDaPvRmT3_T4_T5_mT6_P12ihipStream_tbENKUlT_T0_E_clISt17integral_constantIbLb0EESW_IbLb1EEEEDaSS_ST_EUlSS_E_NS1_11comp_targetILNS1_3genE0ELNS1_11target_archE4294967295ELNS1_3gpuE0ELNS1_3repE0EEENS1_30default_config_static_selectorELNS0_4arch9wavefront6targetE1EEEvT1_,comdat
.Lfunc_end4052:
	.size	_ZN7rocprim17ROCPRIM_400000_NS6detail17trampoline_kernelINS0_14default_configENS1_20scan_config_selectorIsEEZZNS1_9scan_implILNS1_25lookback_scan_determinismE0ELb0ELb0ES3_N6thrust23THRUST_200600_302600_NS6detail15normal_iteratorINS9_10device_ptrIsEEEENS9_16discard_iteratorINS9_11use_defaultEEEs11max_functorIsEsEEDaPvRmT3_T4_T5_mT6_P12ihipStream_tbENKUlT_T0_E_clISt17integral_constantIbLb0EESW_IbLb1EEEEDaSS_ST_EUlSS_E_NS1_11comp_targetILNS1_3genE0ELNS1_11target_archE4294967295ELNS1_3gpuE0ELNS1_3repE0EEENS1_30default_config_static_selectorELNS0_4arch9wavefront6targetE1EEEvT1_, .Lfunc_end4052-_ZN7rocprim17ROCPRIM_400000_NS6detail17trampoline_kernelINS0_14default_configENS1_20scan_config_selectorIsEEZZNS1_9scan_implILNS1_25lookback_scan_determinismE0ELb0ELb0ES3_N6thrust23THRUST_200600_302600_NS6detail15normal_iteratorINS9_10device_ptrIsEEEENS9_16discard_iteratorINS9_11use_defaultEEEs11max_functorIsEsEEDaPvRmT3_T4_T5_mT6_P12ihipStream_tbENKUlT_T0_E_clISt17integral_constantIbLb0EESW_IbLb1EEEEDaSS_ST_EUlSS_E_NS1_11comp_targetILNS1_3genE0ELNS1_11target_archE4294967295ELNS1_3gpuE0ELNS1_3repE0EEENS1_30default_config_static_selectorELNS0_4arch9wavefront6targetE1EEEvT1_
                                        ; -- End function
	.section	.AMDGPU.csdata,"",@progbits
; Kernel info:
; codeLenInByte = 0
; NumSgprs: 4
; NumVgprs: 0
; NumAgprs: 0
; TotalNumVgprs: 0
; ScratchSize: 0
; MemoryBound: 0
; FloatMode: 240
; IeeeMode: 1
; LDSByteSize: 0 bytes/workgroup (compile time only)
; SGPRBlocks: 0
; VGPRBlocks: 0
; NumSGPRsForWavesPerEU: 4
; NumVGPRsForWavesPerEU: 1
; AccumOffset: 4
; Occupancy: 8
; WaveLimiterHint : 0
; COMPUTE_PGM_RSRC2:SCRATCH_EN: 0
; COMPUTE_PGM_RSRC2:USER_SGPR: 6
; COMPUTE_PGM_RSRC2:TRAP_HANDLER: 0
; COMPUTE_PGM_RSRC2:TGID_X_EN: 1
; COMPUTE_PGM_RSRC2:TGID_Y_EN: 0
; COMPUTE_PGM_RSRC2:TGID_Z_EN: 0
; COMPUTE_PGM_RSRC2:TIDIG_COMP_CNT: 0
; COMPUTE_PGM_RSRC3_GFX90A:ACCUM_OFFSET: 0
; COMPUTE_PGM_RSRC3_GFX90A:TG_SPLIT: 0
	.section	.text._ZN7rocprim17ROCPRIM_400000_NS6detail17trampoline_kernelINS0_14default_configENS1_20scan_config_selectorIsEEZZNS1_9scan_implILNS1_25lookback_scan_determinismE0ELb0ELb0ES3_N6thrust23THRUST_200600_302600_NS6detail15normal_iteratorINS9_10device_ptrIsEEEENS9_16discard_iteratorINS9_11use_defaultEEEs11max_functorIsEsEEDaPvRmT3_T4_T5_mT6_P12ihipStream_tbENKUlT_T0_E_clISt17integral_constantIbLb0EESW_IbLb1EEEEDaSS_ST_EUlSS_E_NS1_11comp_targetILNS1_3genE5ELNS1_11target_archE942ELNS1_3gpuE9ELNS1_3repE0EEENS1_30default_config_static_selectorELNS0_4arch9wavefront6targetE1EEEvT1_,"axG",@progbits,_ZN7rocprim17ROCPRIM_400000_NS6detail17trampoline_kernelINS0_14default_configENS1_20scan_config_selectorIsEEZZNS1_9scan_implILNS1_25lookback_scan_determinismE0ELb0ELb0ES3_N6thrust23THRUST_200600_302600_NS6detail15normal_iteratorINS9_10device_ptrIsEEEENS9_16discard_iteratorINS9_11use_defaultEEEs11max_functorIsEsEEDaPvRmT3_T4_T5_mT6_P12ihipStream_tbENKUlT_T0_E_clISt17integral_constantIbLb0EESW_IbLb1EEEEDaSS_ST_EUlSS_E_NS1_11comp_targetILNS1_3genE5ELNS1_11target_archE942ELNS1_3gpuE9ELNS1_3repE0EEENS1_30default_config_static_selectorELNS0_4arch9wavefront6targetE1EEEvT1_,comdat
	.protected	_ZN7rocprim17ROCPRIM_400000_NS6detail17trampoline_kernelINS0_14default_configENS1_20scan_config_selectorIsEEZZNS1_9scan_implILNS1_25lookback_scan_determinismE0ELb0ELb0ES3_N6thrust23THRUST_200600_302600_NS6detail15normal_iteratorINS9_10device_ptrIsEEEENS9_16discard_iteratorINS9_11use_defaultEEEs11max_functorIsEsEEDaPvRmT3_T4_T5_mT6_P12ihipStream_tbENKUlT_T0_E_clISt17integral_constantIbLb0EESW_IbLb1EEEEDaSS_ST_EUlSS_E_NS1_11comp_targetILNS1_3genE5ELNS1_11target_archE942ELNS1_3gpuE9ELNS1_3repE0EEENS1_30default_config_static_selectorELNS0_4arch9wavefront6targetE1EEEvT1_ ; -- Begin function _ZN7rocprim17ROCPRIM_400000_NS6detail17trampoline_kernelINS0_14default_configENS1_20scan_config_selectorIsEEZZNS1_9scan_implILNS1_25lookback_scan_determinismE0ELb0ELb0ES3_N6thrust23THRUST_200600_302600_NS6detail15normal_iteratorINS9_10device_ptrIsEEEENS9_16discard_iteratorINS9_11use_defaultEEEs11max_functorIsEsEEDaPvRmT3_T4_T5_mT6_P12ihipStream_tbENKUlT_T0_E_clISt17integral_constantIbLb0EESW_IbLb1EEEEDaSS_ST_EUlSS_E_NS1_11comp_targetILNS1_3genE5ELNS1_11target_archE942ELNS1_3gpuE9ELNS1_3repE0EEENS1_30default_config_static_selectorELNS0_4arch9wavefront6targetE1EEEvT1_
	.globl	_ZN7rocprim17ROCPRIM_400000_NS6detail17trampoline_kernelINS0_14default_configENS1_20scan_config_selectorIsEEZZNS1_9scan_implILNS1_25lookback_scan_determinismE0ELb0ELb0ES3_N6thrust23THRUST_200600_302600_NS6detail15normal_iteratorINS9_10device_ptrIsEEEENS9_16discard_iteratorINS9_11use_defaultEEEs11max_functorIsEsEEDaPvRmT3_T4_T5_mT6_P12ihipStream_tbENKUlT_T0_E_clISt17integral_constantIbLb0EESW_IbLb1EEEEDaSS_ST_EUlSS_E_NS1_11comp_targetILNS1_3genE5ELNS1_11target_archE942ELNS1_3gpuE9ELNS1_3repE0EEENS1_30default_config_static_selectorELNS0_4arch9wavefront6targetE1EEEvT1_
	.p2align	8
	.type	_ZN7rocprim17ROCPRIM_400000_NS6detail17trampoline_kernelINS0_14default_configENS1_20scan_config_selectorIsEEZZNS1_9scan_implILNS1_25lookback_scan_determinismE0ELb0ELb0ES3_N6thrust23THRUST_200600_302600_NS6detail15normal_iteratorINS9_10device_ptrIsEEEENS9_16discard_iteratorINS9_11use_defaultEEEs11max_functorIsEsEEDaPvRmT3_T4_T5_mT6_P12ihipStream_tbENKUlT_T0_E_clISt17integral_constantIbLb0EESW_IbLb1EEEEDaSS_ST_EUlSS_E_NS1_11comp_targetILNS1_3genE5ELNS1_11target_archE942ELNS1_3gpuE9ELNS1_3repE0EEENS1_30default_config_static_selectorELNS0_4arch9wavefront6targetE1EEEvT1_,@function
_ZN7rocprim17ROCPRIM_400000_NS6detail17trampoline_kernelINS0_14default_configENS1_20scan_config_selectorIsEEZZNS1_9scan_implILNS1_25lookback_scan_determinismE0ELb0ELb0ES3_N6thrust23THRUST_200600_302600_NS6detail15normal_iteratorINS9_10device_ptrIsEEEENS9_16discard_iteratorINS9_11use_defaultEEEs11max_functorIsEsEEDaPvRmT3_T4_T5_mT6_P12ihipStream_tbENKUlT_T0_E_clISt17integral_constantIbLb0EESW_IbLb1EEEEDaSS_ST_EUlSS_E_NS1_11comp_targetILNS1_3genE5ELNS1_11target_archE942ELNS1_3gpuE9ELNS1_3repE0EEENS1_30default_config_static_selectorELNS0_4arch9wavefront6targetE1EEEvT1_: ; @_ZN7rocprim17ROCPRIM_400000_NS6detail17trampoline_kernelINS0_14default_configENS1_20scan_config_selectorIsEEZZNS1_9scan_implILNS1_25lookback_scan_determinismE0ELb0ELb0ES3_N6thrust23THRUST_200600_302600_NS6detail15normal_iteratorINS9_10device_ptrIsEEEENS9_16discard_iteratorINS9_11use_defaultEEEs11max_functorIsEsEEDaPvRmT3_T4_T5_mT6_P12ihipStream_tbENKUlT_T0_E_clISt17integral_constantIbLb0EESW_IbLb1EEEEDaSS_ST_EUlSS_E_NS1_11comp_targetILNS1_3genE5ELNS1_11target_archE942ELNS1_3gpuE9ELNS1_3repE0EEENS1_30default_config_static_selectorELNS0_4arch9wavefront6targetE1EEEvT1_
; %bb.0:
	.section	.rodata,"a",@progbits
	.p2align	6, 0x0
	.amdhsa_kernel _ZN7rocprim17ROCPRIM_400000_NS6detail17trampoline_kernelINS0_14default_configENS1_20scan_config_selectorIsEEZZNS1_9scan_implILNS1_25lookback_scan_determinismE0ELb0ELb0ES3_N6thrust23THRUST_200600_302600_NS6detail15normal_iteratorINS9_10device_ptrIsEEEENS9_16discard_iteratorINS9_11use_defaultEEEs11max_functorIsEsEEDaPvRmT3_T4_T5_mT6_P12ihipStream_tbENKUlT_T0_E_clISt17integral_constantIbLb0EESW_IbLb1EEEEDaSS_ST_EUlSS_E_NS1_11comp_targetILNS1_3genE5ELNS1_11target_archE942ELNS1_3gpuE9ELNS1_3repE0EEENS1_30default_config_static_selectorELNS0_4arch9wavefront6targetE1EEEvT1_
		.amdhsa_group_segment_fixed_size 0
		.amdhsa_private_segment_fixed_size 0
		.amdhsa_kernarg_size 104
		.amdhsa_user_sgpr_count 6
		.amdhsa_user_sgpr_private_segment_buffer 1
		.amdhsa_user_sgpr_dispatch_ptr 0
		.amdhsa_user_sgpr_queue_ptr 0
		.amdhsa_user_sgpr_kernarg_segment_ptr 1
		.amdhsa_user_sgpr_dispatch_id 0
		.amdhsa_user_sgpr_flat_scratch_init 0
		.amdhsa_user_sgpr_kernarg_preload_length 0
		.amdhsa_user_sgpr_kernarg_preload_offset 0
		.amdhsa_user_sgpr_private_segment_size 0
		.amdhsa_uses_dynamic_stack 0
		.amdhsa_system_sgpr_private_segment_wavefront_offset 0
		.amdhsa_system_sgpr_workgroup_id_x 1
		.amdhsa_system_sgpr_workgroup_id_y 0
		.amdhsa_system_sgpr_workgroup_id_z 0
		.amdhsa_system_sgpr_workgroup_info 0
		.amdhsa_system_vgpr_workitem_id 0
		.amdhsa_next_free_vgpr 1
		.amdhsa_next_free_sgpr 0
		.amdhsa_accum_offset 4
		.amdhsa_reserve_vcc 0
		.amdhsa_reserve_flat_scratch 0
		.amdhsa_float_round_mode_32 0
		.amdhsa_float_round_mode_16_64 0
		.amdhsa_float_denorm_mode_32 3
		.amdhsa_float_denorm_mode_16_64 3
		.amdhsa_dx10_clamp 1
		.amdhsa_ieee_mode 1
		.amdhsa_fp16_overflow 0
		.amdhsa_tg_split 0
		.amdhsa_exception_fp_ieee_invalid_op 0
		.amdhsa_exception_fp_denorm_src 0
		.amdhsa_exception_fp_ieee_div_zero 0
		.amdhsa_exception_fp_ieee_overflow 0
		.amdhsa_exception_fp_ieee_underflow 0
		.amdhsa_exception_fp_ieee_inexact 0
		.amdhsa_exception_int_div_zero 0
	.end_amdhsa_kernel
	.section	.text._ZN7rocprim17ROCPRIM_400000_NS6detail17trampoline_kernelINS0_14default_configENS1_20scan_config_selectorIsEEZZNS1_9scan_implILNS1_25lookback_scan_determinismE0ELb0ELb0ES3_N6thrust23THRUST_200600_302600_NS6detail15normal_iteratorINS9_10device_ptrIsEEEENS9_16discard_iteratorINS9_11use_defaultEEEs11max_functorIsEsEEDaPvRmT3_T4_T5_mT6_P12ihipStream_tbENKUlT_T0_E_clISt17integral_constantIbLb0EESW_IbLb1EEEEDaSS_ST_EUlSS_E_NS1_11comp_targetILNS1_3genE5ELNS1_11target_archE942ELNS1_3gpuE9ELNS1_3repE0EEENS1_30default_config_static_selectorELNS0_4arch9wavefront6targetE1EEEvT1_,"axG",@progbits,_ZN7rocprim17ROCPRIM_400000_NS6detail17trampoline_kernelINS0_14default_configENS1_20scan_config_selectorIsEEZZNS1_9scan_implILNS1_25lookback_scan_determinismE0ELb0ELb0ES3_N6thrust23THRUST_200600_302600_NS6detail15normal_iteratorINS9_10device_ptrIsEEEENS9_16discard_iteratorINS9_11use_defaultEEEs11max_functorIsEsEEDaPvRmT3_T4_T5_mT6_P12ihipStream_tbENKUlT_T0_E_clISt17integral_constantIbLb0EESW_IbLb1EEEEDaSS_ST_EUlSS_E_NS1_11comp_targetILNS1_3genE5ELNS1_11target_archE942ELNS1_3gpuE9ELNS1_3repE0EEENS1_30default_config_static_selectorELNS0_4arch9wavefront6targetE1EEEvT1_,comdat
.Lfunc_end4053:
	.size	_ZN7rocprim17ROCPRIM_400000_NS6detail17trampoline_kernelINS0_14default_configENS1_20scan_config_selectorIsEEZZNS1_9scan_implILNS1_25lookback_scan_determinismE0ELb0ELb0ES3_N6thrust23THRUST_200600_302600_NS6detail15normal_iteratorINS9_10device_ptrIsEEEENS9_16discard_iteratorINS9_11use_defaultEEEs11max_functorIsEsEEDaPvRmT3_T4_T5_mT6_P12ihipStream_tbENKUlT_T0_E_clISt17integral_constantIbLb0EESW_IbLb1EEEEDaSS_ST_EUlSS_E_NS1_11comp_targetILNS1_3genE5ELNS1_11target_archE942ELNS1_3gpuE9ELNS1_3repE0EEENS1_30default_config_static_selectorELNS0_4arch9wavefront6targetE1EEEvT1_, .Lfunc_end4053-_ZN7rocprim17ROCPRIM_400000_NS6detail17trampoline_kernelINS0_14default_configENS1_20scan_config_selectorIsEEZZNS1_9scan_implILNS1_25lookback_scan_determinismE0ELb0ELb0ES3_N6thrust23THRUST_200600_302600_NS6detail15normal_iteratorINS9_10device_ptrIsEEEENS9_16discard_iteratorINS9_11use_defaultEEEs11max_functorIsEsEEDaPvRmT3_T4_T5_mT6_P12ihipStream_tbENKUlT_T0_E_clISt17integral_constantIbLb0EESW_IbLb1EEEEDaSS_ST_EUlSS_E_NS1_11comp_targetILNS1_3genE5ELNS1_11target_archE942ELNS1_3gpuE9ELNS1_3repE0EEENS1_30default_config_static_selectorELNS0_4arch9wavefront6targetE1EEEvT1_
                                        ; -- End function
	.section	.AMDGPU.csdata,"",@progbits
; Kernel info:
; codeLenInByte = 0
; NumSgprs: 4
; NumVgprs: 0
; NumAgprs: 0
; TotalNumVgprs: 0
; ScratchSize: 0
; MemoryBound: 0
; FloatMode: 240
; IeeeMode: 1
; LDSByteSize: 0 bytes/workgroup (compile time only)
; SGPRBlocks: 0
; VGPRBlocks: 0
; NumSGPRsForWavesPerEU: 4
; NumVGPRsForWavesPerEU: 1
; AccumOffset: 4
; Occupancy: 8
; WaveLimiterHint : 0
; COMPUTE_PGM_RSRC2:SCRATCH_EN: 0
; COMPUTE_PGM_RSRC2:USER_SGPR: 6
; COMPUTE_PGM_RSRC2:TRAP_HANDLER: 0
; COMPUTE_PGM_RSRC2:TGID_X_EN: 1
; COMPUTE_PGM_RSRC2:TGID_Y_EN: 0
; COMPUTE_PGM_RSRC2:TGID_Z_EN: 0
; COMPUTE_PGM_RSRC2:TIDIG_COMP_CNT: 0
; COMPUTE_PGM_RSRC3_GFX90A:ACCUM_OFFSET: 0
; COMPUTE_PGM_RSRC3_GFX90A:TG_SPLIT: 0
	.section	.text._ZN7rocprim17ROCPRIM_400000_NS6detail17trampoline_kernelINS0_14default_configENS1_20scan_config_selectorIsEEZZNS1_9scan_implILNS1_25lookback_scan_determinismE0ELb0ELb0ES3_N6thrust23THRUST_200600_302600_NS6detail15normal_iteratorINS9_10device_ptrIsEEEENS9_16discard_iteratorINS9_11use_defaultEEEs11max_functorIsEsEEDaPvRmT3_T4_T5_mT6_P12ihipStream_tbENKUlT_T0_E_clISt17integral_constantIbLb0EESW_IbLb1EEEEDaSS_ST_EUlSS_E_NS1_11comp_targetILNS1_3genE4ELNS1_11target_archE910ELNS1_3gpuE8ELNS1_3repE0EEENS1_30default_config_static_selectorELNS0_4arch9wavefront6targetE1EEEvT1_,"axG",@progbits,_ZN7rocprim17ROCPRIM_400000_NS6detail17trampoline_kernelINS0_14default_configENS1_20scan_config_selectorIsEEZZNS1_9scan_implILNS1_25lookback_scan_determinismE0ELb0ELb0ES3_N6thrust23THRUST_200600_302600_NS6detail15normal_iteratorINS9_10device_ptrIsEEEENS9_16discard_iteratorINS9_11use_defaultEEEs11max_functorIsEsEEDaPvRmT3_T4_T5_mT6_P12ihipStream_tbENKUlT_T0_E_clISt17integral_constantIbLb0EESW_IbLb1EEEEDaSS_ST_EUlSS_E_NS1_11comp_targetILNS1_3genE4ELNS1_11target_archE910ELNS1_3gpuE8ELNS1_3repE0EEENS1_30default_config_static_selectorELNS0_4arch9wavefront6targetE1EEEvT1_,comdat
	.protected	_ZN7rocprim17ROCPRIM_400000_NS6detail17trampoline_kernelINS0_14default_configENS1_20scan_config_selectorIsEEZZNS1_9scan_implILNS1_25lookback_scan_determinismE0ELb0ELb0ES3_N6thrust23THRUST_200600_302600_NS6detail15normal_iteratorINS9_10device_ptrIsEEEENS9_16discard_iteratorINS9_11use_defaultEEEs11max_functorIsEsEEDaPvRmT3_T4_T5_mT6_P12ihipStream_tbENKUlT_T0_E_clISt17integral_constantIbLb0EESW_IbLb1EEEEDaSS_ST_EUlSS_E_NS1_11comp_targetILNS1_3genE4ELNS1_11target_archE910ELNS1_3gpuE8ELNS1_3repE0EEENS1_30default_config_static_selectorELNS0_4arch9wavefront6targetE1EEEvT1_ ; -- Begin function _ZN7rocprim17ROCPRIM_400000_NS6detail17trampoline_kernelINS0_14default_configENS1_20scan_config_selectorIsEEZZNS1_9scan_implILNS1_25lookback_scan_determinismE0ELb0ELb0ES3_N6thrust23THRUST_200600_302600_NS6detail15normal_iteratorINS9_10device_ptrIsEEEENS9_16discard_iteratorINS9_11use_defaultEEEs11max_functorIsEsEEDaPvRmT3_T4_T5_mT6_P12ihipStream_tbENKUlT_T0_E_clISt17integral_constantIbLb0EESW_IbLb1EEEEDaSS_ST_EUlSS_E_NS1_11comp_targetILNS1_3genE4ELNS1_11target_archE910ELNS1_3gpuE8ELNS1_3repE0EEENS1_30default_config_static_selectorELNS0_4arch9wavefront6targetE1EEEvT1_
	.globl	_ZN7rocprim17ROCPRIM_400000_NS6detail17trampoline_kernelINS0_14default_configENS1_20scan_config_selectorIsEEZZNS1_9scan_implILNS1_25lookback_scan_determinismE0ELb0ELb0ES3_N6thrust23THRUST_200600_302600_NS6detail15normal_iteratorINS9_10device_ptrIsEEEENS9_16discard_iteratorINS9_11use_defaultEEEs11max_functorIsEsEEDaPvRmT3_T4_T5_mT6_P12ihipStream_tbENKUlT_T0_E_clISt17integral_constantIbLb0EESW_IbLb1EEEEDaSS_ST_EUlSS_E_NS1_11comp_targetILNS1_3genE4ELNS1_11target_archE910ELNS1_3gpuE8ELNS1_3repE0EEENS1_30default_config_static_selectorELNS0_4arch9wavefront6targetE1EEEvT1_
	.p2align	8
	.type	_ZN7rocprim17ROCPRIM_400000_NS6detail17trampoline_kernelINS0_14default_configENS1_20scan_config_selectorIsEEZZNS1_9scan_implILNS1_25lookback_scan_determinismE0ELb0ELb0ES3_N6thrust23THRUST_200600_302600_NS6detail15normal_iteratorINS9_10device_ptrIsEEEENS9_16discard_iteratorINS9_11use_defaultEEEs11max_functorIsEsEEDaPvRmT3_T4_T5_mT6_P12ihipStream_tbENKUlT_T0_E_clISt17integral_constantIbLb0EESW_IbLb1EEEEDaSS_ST_EUlSS_E_NS1_11comp_targetILNS1_3genE4ELNS1_11target_archE910ELNS1_3gpuE8ELNS1_3repE0EEENS1_30default_config_static_selectorELNS0_4arch9wavefront6targetE1EEEvT1_,@function
_ZN7rocprim17ROCPRIM_400000_NS6detail17trampoline_kernelINS0_14default_configENS1_20scan_config_selectorIsEEZZNS1_9scan_implILNS1_25lookback_scan_determinismE0ELb0ELb0ES3_N6thrust23THRUST_200600_302600_NS6detail15normal_iteratorINS9_10device_ptrIsEEEENS9_16discard_iteratorINS9_11use_defaultEEEs11max_functorIsEsEEDaPvRmT3_T4_T5_mT6_P12ihipStream_tbENKUlT_T0_E_clISt17integral_constantIbLb0EESW_IbLb1EEEEDaSS_ST_EUlSS_E_NS1_11comp_targetILNS1_3genE4ELNS1_11target_archE910ELNS1_3gpuE8ELNS1_3repE0EEENS1_30default_config_static_selectorELNS0_4arch9wavefront6targetE1EEEvT1_: ; @_ZN7rocprim17ROCPRIM_400000_NS6detail17trampoline_kernelINS0_14default_configENS1_20scan_config_selectorIsEEZZNS1_9scan_implILNS1_25lookback_scan_determinismE0ELb0ELb0ES3_N6thrust23THRUST_200600_302600_NS6detail15normal_iteratorINS9_10device_ptrIsEEEENS9_16discard_iteratorINS9_11use_defaultEEEs11max_functorIsEsEEDaPvRmT3_T4_T5_mT6_P12ihipStream_tbENKUlT_T0_E_clISt17integral_constantIbLb0EESW_IbLb1EEEEDaSS_ST_EUlSS_E_NS1_11comp_targetILNS1_3genE4ELNS1_11target_archE910ELNS1_3gpuE8ELNS1_3repE0EEENS1_30default_config_static_selectorELNS0_4arch9wavefront6targetE1EEEvT1_
; %bb.0:
	s_load_dwordx2 s[6:7], s[4:5], 0x20
	s_load_dwordx2 s[24:25], s[4:5], 0x30
	v_cmp_ne_u32_e64 s[0:1], 0, v0
	v_cmp_eq_u32_e64 s[2:3], 0, v0
	s_and_saveexec_b64 s[8:9], s[2:3]
	s_cbranch_execz .LBB4054_4
; %bb.1:
	s_mov_b64 s[12:13], exec
	v_mbcnt_lo_u32_b32 v1, s12, 0
	v_mbcnt_hi_u32_b32 v1, s13, v1
	v_cmp_eq_u32_e32 vcc, 0, v1
                                        ; implicit-def: $vgpr2
	s_and_saveexec_b64 s[10:11], vcc
	s_cbranch_execz .LBB4054_3
; %bb.2:
	s_load_dwordx2 s[14:15], s[4:5], 0x60
	s_bcnt1_i32_b64 s12, s[12:13]
	v_mov_b32_e32 v2, 0
	v_mov_b32_e32 v3, s12
	s_waitcnt lgkmcnt(0)
	global_atomic_add v2, v2, v3, s[14:15] glc
.LBB4054_3:
	s_or_b64 exec, exec, s[10:11]
	s_waitcnt vmcnt(0)
	v_readfirstlane_b32 s10, v2
	v_add_u32_e32 v1, s10, v1
	v_mov_b32_e32 v2, 0
	ds_write_b32 v2, v1
.LBB4054_4:
	s_or_b64 exec, exec, s[8:9]
	v_mov_b32_e32 v3, 0
	s_load_dwordx4 s[8:11], s[4:5], 0x0
	s_load_dword s12, s[4:5], 0x38
	s_load_dwordx8 s[16:23], s[4:5], 0x40
	s_waitcnt lgkmcnt(0)
	; wave barrier
	s_waitcnt lgkmcnt(0)
	ds_read_b32 v1, v3
	s_lshl_b64 s[4:5], s[10:11], 1
	s_add_u32 s4, s8, s4
	s_movk_i32 s8, 0x600
	s_addc_u32 s5, s9, s5
	s_waitcnt lgkmcnt(0)
	v_mul_lo_u32 v2, v1, s8
	s_add_i32 s8, s12, -1
	s_mul_i32 s9, s8, 0x600
	s_sub_u32 s28, s6, s9
	v_readfirstlane_b32 s30, v1
	s_subb_u32 s29, s7, 0
	v_lshlrev_b64 v[2:3], 1, v[2:3]
	s_cmp_lg_u32 s30, s8
	v_mov_b32_e32 v1, s5
	v_add_co_u32_e32 v2, vcc, s4, v2
	s_cselect_b64 s[14:15], -1, 0
	v_addc_co_u32_e32 v3, vcc, v1, v3, vcc
	s_mov_b64 s[4:5], -1
	s_and_b64 vcc, exec, s[14:15]
	v_lshlrev_b32_e32 v1, 1, v0
	s_waitcnt lgkmcnt(0)
	; wave barrier
	s_cbranch_vccz .LBB4054_6
; %bb.5:
	v_add_co_u32_e32 v4, vcc, v2, v1
	v_addc_co_u32_e32 v5, vcc, 0, v3, vcc
	flat_load_ushort v6, v[4:5]
	flat_load_ushort v7, v[4:5] offset:128
	flat_load_ushort v8, v[4:5] offset:256
	;; [unrolled: 1-line block ×23, first 2 shown]
	s_mov_b64 s[4:5], 0
	s_waitcnt vmcnt(0) lgkmcnt(0)
	ds_write_b16 v1, v6
	ds_write_b16 v1, v7 offset:128
	ds_write_b16 v1, v8 offset:256
	;; [unrolled: 1-line block ×23, first 2 shown]
	s_waitcnt lgkmcnt(0)
	; wave barrier
.LBB4054_6:
	s_andn2_b64 vcc, exec, s[4:5]
	s_cbranch_vccnz .LBB4054_56
; %bb.7:
	flat_load_ushort v4, v[2:3]
	v_cmp_gt_u32_e32 vcc, s28, v0
	s_waitcnt vmcnt(0) lgkmcnt(0)
	v_mov_b32_e32 v5, v4
	s_and_saveexec_b64 s[4:5], vcc
	s_cbranch_execz .LBB4054_9
; %bb.8:
	v_add_co_u32_e32 v6, vcc, v2, v1
	v_addc_co_u32_e32 v7, vcc, 0, v3, vcc
	flat_load_ushort v5, v[6:7]
.LBB4054_9:
	s_or_b64 exec, exec, s[4:5]
	v_or_b32_e32 v6, 64, v0
	v_cmp_gt_u32_e32 vcc, s28, v6
	v_mov_b32_e32 v6, v4
	s_and_saveexec_b64 s[4:5], vcc
	s_cbranch_execz .LBB4054_11
; %bb.10:
	v_add_co_u32_e32 v6, vcc, v2, v1
	v_addc_co_u32_e32 v7, vcc, 0, v3, vcc
	flat_load_ushort v6, v[6:7] offset:128
.LBB4054_11:
	s_or_b64 exec, exec, s[4:5]
	v_or_b32_e32 v7, 0x80, v0
	v_cmp_gt_u32_e32 vcc, s28, v7
	v_mov_b32_e32 v7, v4
	s_and_saveexec_b64 s[4:5], vcc
	s_cbranch_execz .LBB4054_13
; %bb.12:
	v_add_co_u32_e32 v8, vcc, v2, v1
	v_addc_co_u32_e32 v9, vcc, 0, v3, vcc
	flat_load_ushort v7, v[8:9] offset:256
.LBB4054_13:
	;; [unrolled: 11-line block ×22, first 2 shown]
	s_or_b64 exec, exec, s[4:5]
	v_or_b32_e32 v28, 0x5c0, v0
	v_cmp_gt_u32_e32 vcc, s28, v28
	s_and_saveexec_b64 s[4:5], vcc
	s_cbranch_execz .LBB4054_55
; %bb.54:
	v_add_co_u32_e32 v2, vcc, v2, v1
	v_addc_co_u32_e32 v3, vcc, 0, v3, vcc
	flat_load_ushort v4, v[2:3] offset:2944
.LBB4054_55:
	s_or_b64 exec, exec, s[4:5]
	s_waitcnt vmcnt(0) lgkmcnt(0)
	ds_write_b16 v1, v5
	ds_write_b16 v1, v6 offset:128
	ds_write_b16 v1, v7 offset:256
	;; [unrolled: 1-line block ×23, first 2 shown]
	s_waitcnt lgkmcnt(0)
	; wave barrier
.LBB4054_56:
	v_mul_u32_u24_e32 v20, 24, v0
	v_lshlrev_b32_e32 v21, 1, v20
	s_waitcnt lgkmcnt(0)
	ds_read_b128 v[10:13], v21
	ds_read_b128 v[6:9], v21 offset:16
	ds_read_b128 v[2:5], v21 offset:32
	s_cmp_lg_u32 s30, 0
	v_mbcnt_lo_u32_b32 v32, -1, 0
	s_waitcnt lgkmcnt(2)
	v_lshrrev_b32_e32 v31, 16, v11
	v_lshrrev_b32_e32 v30, 16, v12
	;; [unrolled: 1-line block ×3, first 2 shown]
	s_waitcnt lgkmcnt(1)
	v_lshrrev_b32_e32 v28, 16, v6
	v_lshrrev_b32_e32 v27, 16, v7
	;; [unrolled: 1-line block ×4, first 2 shown]
	s_waitcnt lgkmcnt(0)
	v_lshrrev_b32_e32 v24, 16, v2
	v_lshrrev_b32_e32 v23, 16, v3
	;; [unrolled: 1-line block ×4, first 2 shown]
	v_cmp_eq_u32_e32 vcc, 63, v0
	s_waitcnt lgkmcnt(0)
	; wave barrier
	s_cbranch_scc0 .LBB4054_79
; %bb.57:
	v_max_i16_sdwa v14, v10, v10 dst_sel:DWORD dst_unused:UNUSED_PAD src0_sel:DWORD src1_sel:WORD_1
	v_max3_i16 v14, v14, v11, v31
	v_max3_i16 v14, v14, v12, v30
	;; [unrolled: 1-line block ×11, first 2 shown]
	v_mbcnt_hi_u32_b32 v15, -1, v32
	v_and_b32_e32 v17, 0xffff, v14
	v_and_b32_e32 v16, 15, v15
	v_cmp_eq_u32_e64 s[4:5], 0, v16
	v_mov_b32_dpp v17, v17 row_shr:1 row_mask:0xf bank_mask:0xf
	v_max_i16_e32 v17, v17, v14
	v_cndmask_b32_e64 v14, v17, v14, s[4:5]
	v_and_b32_e32 v17, 0xffff, v14
	v_cmp_lt_u32_e64 s[4:5], 1, v16
	s_nop 0
	v_mov_b32_dpp v17, v17 row_shr:2 row_mask:0xf bank_mask:0xf
	v_max_i16_e32 v17, v17, v14
	v_cndmask_b32_e64 v14, v14, v17, s[4:5]
	v_and_b32_e32 v17, 0xffff, v14
	v_cmp_lt_u32_e64 s[4:5], 3, v16
	s_nop 0
	;; [unrolled: 6-line block ×3, first 2 shown]
	v_mov_b32_dpp v17, v17 row_shr:8 row_mask:0xf bank_mask:0xf
	v_max_i16_e32 v17, v17, v14
	v_cndmask_b32_e64 v14, v14, v17, s[4:5]
	v_and_b32_e32 v16, 0xffff, v14
	v_and_b32_e32 v17, 16, v15
	v_cmp_eq_u32_e64 s[4:5], 0, v17
	v_mov_b32_dpp v16, v16 row_bcast:15 row_mask:0xf bank_mask:0xf
	v_max_i16_e32 v16, v16, v14
	v_cndmask_b32_e64 v14, v16, v14, s[4:5]
	v_and_b32_e32 v16, 0xffff, v14
	v_cmp_lt_u32_e64 s[4:5], 31, v15
	s_nop 0
	v_mov_b32_dpp v16, v16 row_bcast:31 row_mask:0xf bank_mask:0xf
	v_max_i16_e32 v16, v16, v14
	v_cndmask_b32_e64 v14, v14, v16, s[4:5]
	s_and_saveexec_b64 s[4:5], vcc
	s_cbranch_execz .LBB4054_59
; %bb.58:
	v_mov_b32_e32 v16, 0
	ds_write_b16 v16, v14
.LBB4054_59:
	s_or_b64 exec, exec, s[4:5]
	v_add_u32_e32 v16, -1, v15
	v_and_b32_e32 v17, 64, v15
	v_cmp_lt_i32_e32 vcc, v16, v17
	v_cndmask_b32_e32 v16, v16, v15, vcc
	v_and_b32_e32 v14, 0xffff, v14
	v_lshlrev_b32_e32 v16, 2, v16
	ds_bpermute_b32 v33, v16, v14
	v_cmp_gt_u32_e32 vcc, 64, v0
	s_waitcnt lgkmcnt(0)
	; wave barrier
	s_waitcnt lgkmcnt(0)
	s_and_saveexec_b64 s[26:27], vcc
	s_cbranch_execz .LBB4054_78
; %bb.60:
	v_mov_b32_e32 v17, 0
	ds_read_u16 v34, v17
	s_mov_b32 s9, 0
	v_cmp_eq_u32_e64 s[4:5], 0, v15
	s_and_saveexec_b64 s[6:7], s[4:5]
	s_cbranch_execz .LBB4054_62
; %bb.61:
	s_add_i32 s8, s30, 64
	s_lshl_b64 s[8:9], s[8:9], 2
	s_add_u32 s8, s24, s8
	s_waitcnt lgkmcnt(0)
	v_or_b32_e32 v14, 0x10000, v34
	s_addc_u32 s9, s25, s9
	global_store_dword v17, v14, s[8:9]
.LBB4054_62:
	s_or_b64 exec, exec, s[6:7]
	v_xad_u32 v14, v15, -1, s30
	v_add_u32_e32 v16, 64, v14
	v_lshlrev_b64 v[18:19], 2, v[16:17]
	v_mov_b32_e32 v16, s25
	v_add_co_u32_e32 v18, vcc, s24, v18
	v_addc_co_u32_e32 v19, vcc, v16, v19, vcc
	global_load_dword v47, v[18:19], off glc
	s_waitcnt vmcnt(0)
	v_lshrrev_b32_e32 v36, 16, v47
	v_cmp_eq_u16_sdwa s[8:9], v36, v17 src0_sel:BYTE_0 src1_sel:DWORD
	s_and_saveexec_b64 s[6:7], s[8:9]
	s_cbranch_execz .LBB4054_66
; %bb.63:
	s_mov_b64 s[8:9], 0
	v_mov_b32_e32 v16, 0
.LBB4054_64:                            ; =>This Inner Loop Header: Depth=1
	global_load_dword v47, v[18:19], off glc
	s_waitcnt vmcnt(0)
	v_lshrrev_b32_e32 v36, 16, v47
	v_cmp_ne_u16_sdwa s[10:11], v36, v16 src0_sel:BYTE_0 src1_sel:DWORD
	s_or_b64 s[8:9], s[10:11], s[8:9]
	s_andn2_b64 exec, exec, s[8:9]
	s_cbranch_execnz .LBB4054_64
; %bb.65:
	s_or_b64 exec, exec, s[8:9]
.LBB4054_66:
	s_or_b64 exec, exec, s[6:7]
	v_and_b32_e32 v37, 63, v15
	v_cmp_ne_u32_e32 vcc, 63, v37
	v_mov_b32_e32 v35, 2
	v_addc_co_u32_e32 v38, vcc, 0, v15, vcc
	v_cmp_eq_u16_sdwa s[6:7], v36, v35 src0_sel:BYTE_0 src1_sel:DWORD
	v_lshlrev_b64 v[16:17], v15, -1
	v_and_b32_e32 v39, 0xffff, v47
	v_lshlrev_b32_e32 v38, 2, v38
	v_and_b32_e32 v18, s7, v17
	ds_bpermute_b32 v40, v38, v39
	v_or_b32_e32 v18, 0x80000000, v18
	v_and_b32_e32 v19, s6, v16
	v_ffbl_b32_e32 v18, v18
	v_add_u32_e32 v18, 32, v18
	v_ffbl_b32_e32 v19, v19
	v_min_u32_e32 v18, v19, v18
	s_waitcnt lgkmcnt(0)
	v_max_i16_e32 v19, v40, v47
	v_cmp_lt_u32_e32 vcc, v37, v18
	v_cmp_gt_u32_e64 s[6:7], 62, v37
	v_cndmask_b32_e32 v41, v39, v19, vcc
	v_cndmask_b32_e64 v39, 0, 1, s[6:7]
	v_lshlrev_b32_e32 v39, 1, v39
	v_add_lshl_u32 v39, v39, v15, 2
	ds_bpermute_b32 v42, v39, v41
	v_cndmask_b32_e32 v19, v47, v19, vcc
	v_add_u32_e32 v40, 2, v37
	v_cmp_gt_u32_e64 s[6:7], v40, v18
	v_cmp_gt_u32_e64 s[8:9], 60, v37
	s_waitcnt lgkmcnt(0)
	v_max_i16_e32 v42, v42, v19
	v_cndmask_b32_e64 v43, v42, v41, s[6:7]
	v_cndmask_b32_e64 v41, 0, 1, s[8:9]
	v_lshlrev_b32_e32 v41, 2, v41
	v_add_lshl_u32 v41, v41, v15, 2
	ds_bpermute_b32 v44, v41, v43
	v_cndmask_b32_e64 v19, v42, v19, s[6:7]
	v_add_u32_e32 v42, 4, v37
	v_cmp_gt_u32_e64 s[6:7], v42, v18
	v_cmp_gt_u32_e64 s[8:9], 56, v37
	s_waitcnt lgkmcnt(0)
	v_max_i16_e32 v50, v44, v19
	v_cndmask_b32_e64 v45, v50, v43, s[6:7]
	v_cndmask_b32_e64 v43, 0, 1, s[8:9]
	v_lshlrev_b32_e32 v43, 3, v43
	v_add_lshl_u32 v43, v43, v15, 2
	ds_bpermute_b32 v46, v43, v45
	v_cndmask_b32_e64 v48, v50, v19, s[6:7]
	v_add_u32_e32 v44, 8, v37
	v_cmp_gt_u32_e64 s[8:9], v44, v18
	v_cmp_gt_u32_e64 s[10:11], 48, v37
	s_waitcnt lgkmcnt(0)
	v_max_i16_e32 v51, v46, v48
	v_cndmask_b32_e64 v49, v51, v45, s[8:9]
	v_cndmask_b32_e64 v45, 0, 1, s[10:11]
	v_lshlrev_b32_e32 v45, 4, v45
	v_add_lshl_u32 v45, v45, v15, 2
	ds_bpermute_b32 v52, v45, v49
	v_cmp_gt_u32_e64 s[12:13], 32, v37
	v_cndmask_b32_e64 v53, v51, v48, s[8:9]
	v_add_u32_e32 v46, 16, v37
	v_cndmask_b32_e64 v48, 0, 1, s[12:13]
	s_waitcnt lgkmcnt(0)
	v_max_i16_e32 v52, v52, v53
	v_cmp_gt_u32_e64 s[10:11], v46, v18
	v_lshlrev_b32_e32 v48, 5, v48
	v_cndmask_b32_e64 v49, v52, v49, s[10:11]
	v_add_lshl_u32 v48, v48, v15, 2
	ds_bpermute_b32 v15, v48, v49
	v_cndmask_b32_e32 v19, v47, v19, vcc
	v_cndmask_b32_e64 v19, v50, v19, s[6:7]
	v_add_u32_e32 v49, 32, v37
	v_cndmask_b32_e64 v53, v52, v53, s[10:11]
	v_cndmask_b32_e64 v19, v51, v19, s[8:9]
	s_waitcnt lgkmcnt(0)
	v_max_i16_e32 v15, v15, v53
	v_cndmask_b32_e64 v19, v52, v19, s[10:11]
	v_cmp_gt_u32_e32 vcc, v49, v18
	v_cndmask_b32_e32 v18, v15, v19, vcc
	v_mov_b32_e32 v15, 0
	s_branch .LBB4054_68
.LBB4054_67:                            ;   in Loop: Header=BB4054_68 Depth=1
	s_or_b64 exec, exec, s[6:7]
	v_cmp_eq_u16_sdwa s[6:7], v36, v35 src0_sel:BYTE_0 src1_sel:DWORD
	v_and_b32_e32 v51, 0xffff, v50
	v_and_b32_e32 v18, s7, v17
	ds_bpermute_b32 v52, v38, v51
	v_or_b32_e32 v18, 0x80000000, v18
	v_and_b32_e32 v19, s6, v16
	v_ffbl_b32_e32 v18, v18
	v_add_u32_e32 v18, 32, v18
	v_ffbl_b32_e32 v19, v19
	v_min_u32_e32 v18, v19, v18
	s_waitcnt lgkmcnt(0)
	v_max_i16_e32 v19, v52, v50
	v_cmp_lt_u32_e32 vcc, v37, v18
	v_cndmask_b32_e32 v51, v51, v19, vcc
	ds_bpermute_b32 v52, v39, v51
	v_cndmask_b32_e32 v19, v50, v19, vcc
	v_cmp_gt_u32_e64 s[6:7], v40, v18
	v_cmp_gt_u32_e64 s[8:9], v44, v18
	v_subrev_u32_e32 v14, 64, v14
	s_waitcnt lgkmcnt(0)
	v_max_i16_e32 v52, v52, v19
	v_cndmask_b32_e64 v51, v52, v51, s[6:7]
	ds_bpermute_b32 v53, v41, v51
	v_cndmask_b32_e64 v19, v52, v19, s[6:7]
	v_cmp_gt_u32_e64 s[6:7], v42, v18
	s_waitcnt lgkmcnt(0)
	v_max_i16_e32 v52, v53, v19
	v_cndmask_b32_e64 v51, v52, v51, s[6:7]
	ds_bpermute_b32 v53, v43, v51
	v_cndmask_b32_e64 v54, v52, v19, s[6:7]
	v_cndmask_b32_e32 v19, v50, v19, vcc
	v_cmp_gt_u32_e32 vcc, v46, v18
	v_cndmask_b32_e64 v19, v52, v19, s[6:7]
	s_waitcnt lgkmcnt(0)
	v_max_i16_e32 v53, v53, v54
	v_cndmask_b32_e64 v51, v53, v51, s[8:9]
	ds_bpermute_b32 v55, v45, v51
	v_cndmask_b32_e64 v50, v53, v54, s[8:9]
	v_cndmask_b32_e64 v19, v53, v19, s[8:9]
	s_waitcnt lgkmcnt(0)
	v_max_i16_e32 v54, v55, v50
	v_cndmask_b32_e32 v51, v54, v51, vcc
	ds_bpermute_b32 v51, v48, v51
	v_cndmask_b32_e32 v50, v54, v50, vcc
	v_cndmask_b32_e32 v19, v54, v19, vcc
	v_cmp_gt_u32_e32 vcc, v49, v18
	s_waitcnt lgkmcnt(0)
	v_max_i16_e32 v50, v51, v50
	v_cndmask_b32_e32 v18, v50, v19, vcc
	v_max_i16_e32 v18, v18, v47
.LBB4054_68:                            ; =>This Loop Header: Depth=1
                                        ;     Child Loop BB4054_71 Depth 2
	v_cmp_ne_u16_sdwa s[6:7], v36, v35 src0_sel:BYTE_0 src1_sel:DWORD
	v_cndmask_b32_e64 v19, 0, 1, s[6:7]
	;;#ASMSTART
	;;#ASMEND
	v_cmp_ne_u32_e32 vcc, 0, v19
	s_cmp_lg_u64 vcc, exec
	v_mov_b32_e32 v47, v18
	s_cbranch_scc1 .LBB4054_73
; %bb.69:                               ;   in Loop: Header=BB4054_68 Depth=1
	v_lshlrev_b64 v[18:19], 2, v[14:15]
	v_mov_b32_e32 v36, s25
	v_add_co_u32_e32 v18, vcc, s24, v18
	v_addc_co_u32_e32 v19, vcc, v36, v19, vcc
	global_load_dword v50, v[18:19], off glc
	s_waitcnt vmcnt(0)
	v_lshrrev_b32_e32 v36, 16, v50
	v_cmp_eq_u16_sdwa s[8:9], v36, v15 src0_sel:BYTE_0 src1_sel:DWORD
	s_and_saveexec_b64 s[6:7], s[8:9]
	s_cbranch_execz .LBB4054_67
; %bb.70:                               ;   in Loop: Header=BB4054_68 Depth=1
	s_mov_b64 s[8:9], 0
.LBB4054_71:                            ;   Parent Loop BB4054_68 Depth=1
                                        ; =>  This Inner Loop Header: Depth=2
	global_load_dword v50, v[18:19], off glc
	s_waitcnt vmcnt(0)
	v_lshrrev_b32_e32 v36, 16, v50
	v_cmp_ne_u16_sdwa s[10:11], v36, v15 src0_sel:BYTE_0 src1_sel:DWORD
	s_or_b64 s[8:9], s[10:11], s[8:9]
	s_andn2_b64 exec, exec, s[8:9]
	s_cbranch_execnz .LBB4054_71
; %bb.72:                               ;   in Loop: Header=BB4054_68 Depth=1
	s_or_b64 exec, exec, s[8:9]
	s_branch .LBB4054_67
.LBB4054_73:                            ;   in Loop: Header=BB4054_68 Depth=1
                                        ; implicit-def: $vgpr18
                                        ; implicit-def: $vgpr36
	s_cbranch_execz .LBB4054_68
; %bb.74:
	s_and_saveexec_b64 s[6:7], s[4:5]
	s_cbranch_execz .LBB4054_76
; %bb.75:
	s_add_i32 s4, s30, 64
	s_mov_b32 s5, 0
	s_lshl_b64 s[4:5], s[4:5], 2
	v_max_i16_e32 v14, v47, v34
	s_add_u32 s4, s24, s4
	v_or_b32_e32 v14, 0x20000, v14
	s_addc_u32 s5, s25, s5
	v_mov_b32_e32 v15, 0
	global_store_dword v15, v14, s[4:5]
.LBB4054_76:
	s_or_b64 exec, exec, s[6:7]
	s_and_b64 exec, exec, s[2:3]
	s_cbranch_execz .LBB4054_78
; %bb.77:
	v_mov_b32_e32 v14, 0
	ds_write_b16 v14, v47
.LBB4054_78:
	s_or_b64 exec, exec, s[26:27]
	v_mov_b32_e32 v14, 0
	s_waitcnt lgkmcnt(0)
	; wave barrier
	s_waitcnt lgkmcnt(0)
	ds_read_u16 v14, v14
	v_max_i16_e32 v15, v33, v10
	v_cndmask_b32_e64 v15, v15, v10, s[2:3]
	s_waitcnt lgkmcnt(0)
	v_max_i16_e32 v14, v14, v15
	v_max_i16_sdwa v15, v14, v10 dst_sel:DWORD dst_unused:UNUSED_PAD src0_sel:DWORD src1_sel:WORD_1
	v_max_i16_e32 v16, v15, v11
	v_max_i16_e32 v17, v16, v31
	v_max_i16_e32 v18, v17, v12
	v_max_i16_e32 v19, v18, v30
	v_max_i16_e32 v34, v19, v13
	v_max_i16_e32 v36, v34, v29
	v_max_i16_e32 v33, v36, v6
	v_max_i16_e32 v35, v33, v28
	v_max_i16_e32 v37, v35, v7
	v_max_i16_e32 v38, v37, v27
	v_max_i16_e32 v39, v38, v8
	v_max_i16_e32 v40, v39, v26
	v_max_i16_e32 v42, v40, v9
	v_max_i16_e32 v44, v42, v25
	v_max_i16_e32 v41, v44, v2
	v_max_i16_e32 v43, v41, v24
	v_max_i16_e32 v45, v43, v3
	v_max_i16_e32 v46, v45, v23
	v_max_i16_e32 v47, v46, v4
	v_max_i16_e32 v48, v47, v22
	v_max_i16_e32 v49, v48, v5
	v_max_i16_e32 v50, v49, v1
	s_branch .LBB4054_89
.LBB4054_79:
                                        ; implicit-def: $vgpr14
                                        ; implicit-def: $vgpr15
                                        ; implicit-def: $vgpr16
                                        ; implicit-def: $vgpr17
                                        ; implicit-def: $vgpr18
                                        ; implicit-def: $vgpr19
                                        ; implicit-def: $vgpr34
                                        ; implicit-def: $vgpr36
                                        ; implicit-def: $vgpr33
                                        ; implicit-def: $vgpr35
                                        ; implicit-def: $vgpr37
                                        ; implicit-def: $vgpr38
                                        ; implicit-def: $vgpr39
                                        ; implicit-def: $vgpr40
                                        ; implicit-def: $vgpr42
                                        ; implicit-def: $vgpr44
                                        ; implicit-def: $vgpr41
                                        ; implicit-def: $vgpr43
                                        ; implicit-def: $vgpr45
                                        ; implicit-def: $vgpr46
                                        ; implicit-def: $vgpr47
                                        ; implicit-def: $vgpr48
                                        ; implicit-def: $vgpr49
                                        ; implicit-def: $vgpr50
	s_cbranch_execz .LBB4054_89
; %bb.80:
	s_cmp_lg_u64 s[20:21], 0
	s_cselect_b64 s[4:5], -1, 0
	s_and_b64 s[4:5], s[2:3], s[4:5]
	v_mov_b32_e32 v14, v10
	s_and_saveexec_b64 s[2:3], s[4:5]
	s_cbranch_execz .LBB4054_82
; %bb.81:
	v_mov_b32_e32 v14, 0
	global_load_ushort v14, v14, s[16:17]
	s_waitcnt vmcnt(0)
	v_max_i16_e32 v14, v14, v10
.LBB4054_82:
	s_or_b64 exec, exec, s[2:3]
	v_max_i16_sdwa v15, v14, v10 dst_sel:DWORD dst_unused:UNUSED_PAD src0_sel:DWORD src1_sel:WORD_1
	v_max_i16_e32 v16, v15, v11
	v_max_i16_e32 v17, v16, v31
	;; [unrolled: 1-line block ×22, first 2 shown]
	v_mbcnt_hi_u32_b32 v32, -1, v32
	v_and_b32_e32 v51, 15, v32
	v_mov_b32_dpp v52, v50 row_shr:1 row_mask:0xf bank_mask:0xf
	v_max_i16_e32 v52, v52, v50
	v_cmp_eq_u32_e32 vcc, 0, v51
	v_cndmask_b32_e32 v52, v52, v50, vcc
	v_and_b32_e32 v53, 0xffff, v52
	v_cmp_lt_u32_e32 vcc, 1, v51
	s_nop 0
	v_mov_b32_dpp v53, v53 row_shr:2 row_mask:0xf bank_mask:0xf
	v_max_i16_e32 v53, v53, v52
	v_cndmask_b32_e32 v52, v52, v53, vcc
	v_and_b32_e32 v53, 0xffff, v52
	v_cmp_lt_u32_e32 vcc, 3, v51
	s_nop 0
	v_mov_b32_dpp v53, v53 row_shr:4 row_mask:0xf bank_mask:0xf
	v_max_i16_e32 v53, v53, v52
	;; [unrolled: 6-line block ×3, first 2 shown]
	v_cndmask_b32_e32 v51, v52, v53, vcc
	v_and_b32_e32 v52, 0xffff, v51
	v_and_b32_e32 v53, 16, v32
	v_cmp_eq_u32_e32 vcc, 0, v53
	v_mov_b32_dpp v52, v52 row_bcast:15 row_mask:0xf bank_mask:0xf
	v_max_i16_e32 v52, v52, v51
	v_cndmask_b32_e32 v51, v52, v51, vcc
	v_and_b32_e32 v52, 0xffff, v51
	v_cmp_lt_u32_e32 vcc, 31, v32
	s_nop 0
	v_mov_b32_dpp v52, v52 row_bcast:31 row_mask:0xf bank_mask:0xf
	v_max_i16_e32 v52, v52, v51
	v_cndmask_b32_e32 v51, v51, v52, vcc
	v_cmp_eq_u32_e32 vcc, 63, v0
	s_and_saveexec_b64 s[2:3], vcc
	s_cbranch_execz .LBB4054_84
; %bb.83:
	v_mov_b32_e32 v52, 0
	ds_write_b16 v52, v51
.LBB4054_84:
	s_or_b64 exec, exec, s[2:3]
	v_add_u32_e32 v52, -1, v32
	v_and_b32_e32 v53, 64, v32
	v_cmp_lt_i32_e64 s[2:3], v52, v53
	v_cndmask_b32_e64 v32, v52, v32, s[2:3]
	v_and_b32_e32 v51, 0xffff, v51
	v_lshlrev_b32_e32 v32, 2, v32
	ds_bpermute_b32 v32, v32, v51
	s_waitcnt lgkmcnt(0)
	; wave barrier
	s_waitcnt lgkmcnt(0)
	s_and_saveexec_b64 s[2:3], s[0:1]
	s_cbranch_execz .LBB4054_86
; %bb.85:
	v_max_i16_e32 v14, v32, v14
	v_max_i16_sdwa v15, v14, v10 dst_sel:DWORD dst_unused:UNUSED_PAD src0_sel:DWORD src1_sel:WORD_1
	v_max_i16_e32 v16, v15, v11
	v_max_i16_e32 v17, v16, v31
	;; [unrolled: 1-line block ×22, first 2 shown]
	;;#ASMSTART
	;;#ASMEND
.LBB4054_86:
	s_or_b64 exec, exec, s[2:3]
	s_and_saveexec_b64 s[0:1], vcc
	s_cbranch_execz .LBB4054_88
; %bb.87:
	s_mov_b32 s2, 0x20000
	v_mov_b32_e32 v1, 0
	v_or_b32_sdwa v2, v50, s2 dst_sel:DWORD dst_unused:UNUSED_PAD src0_sel:WORD_0 src1_sel:DWORD
	global_store_dword v1, v2, s[24:25] offset:256
.LBB4054_88:
	s_or_b64 exec, exec, s[0:1]
.LBB4054_89:
	s_mov_b32 s0, 0x5040100
	v_perm_b32 v5, v36, v34, s0
	v_perm_b32 v4, v19, v18, s0
	v_perm_b32 v3, v17, v16, s0
	v_perm_b32 v2, v15, v14, s0
	s_waitcnt lgkmcnt(0)
	; wave barrier
	ds_write_b128 v21, v[2:5]
	v_perm_b32 v5, v44, v42, s0
	v_perm_b32 v4, v40, v39, s0
	;; [unrolled: 1-line block ×4, first 2 shown]
	ds_write_b128 v21, v[2:5] offset:16
	v_perm_b32 v5, v50, v49, s0
	v_perm_b32 v4, v48, v47, s0
	;; [unrolled: 1-line block ×4, first 2 shown]
	s_mov_b64 s[0:1], -1
	s_and_b64 vcc, exec, s[14:15]
	ds_write_b128 v21, v[2:5] offset:32
	s_waitcnt lgkmcnt(0)
	s_cbranch_vccz .LBB4054_91
; %bb.90:
	; wave barrier
	s_mov_b64 s[0:1], 0
.LBB4054_91:
	s_andn2_b64 vcc, exec, s[0:1]
	s_cbranch_vccnz .LBB4054_100
; %bb.92:
	v_cmp_lt_u64_e64 s[0:1], s[22:23], 2
	s_and_b64 vcc, exec, s[0:1]
	; wave barrier
	s_cbranch_vccnz .LBB4054_100
; %bb.93:
	s_add_u32 s0, s28, -1
	s_addc_u32 s1, s29, -1
	s_add_u32 s2, 0, 0xaaaa0000
	s_addc_u32 s3, 0, 42
	s_add_i32 s3, s3, 0xaaaaa80
	s_mul_hi_u32 s7, s2, 0xffffffe8
	s_sub_i32 s7, s7, s2
	s_mul_i32 s8, s3, 0xffffffe8
	s_mul_i32 s4, s2, 0xffffffe8
	s_add_i32 s7, s7, s8
	s_mul_hi_u32 s5, s3, s4
	s_mul_i32 s6, s3, s4
	s_mul_i32 s9, s2, s7
	s_mul_hi_u32 s4, s2, s4
	s_mul_hi_u32 s8, s2, s7
	s_add_u32 s4, s4, s9
	s_addc_u32 s8, 0, s8
	s_add_u32 s4, s4, s6
	s_mul_hi_u32 s9, s3, s7
	s_addc_u32 s4, s8, s5
	s_addc_u32 s5, s9, 0
	s_mul_i32 s6, s3, s7
	s_add_u32 s4, s4, s6
	v_mov_b32_e32 v2, s4
	s_addc_u32 s5, 0, s5
	v_add_co_u32_e32 v2, vcc, s2, v2
	s_cmp_lg_u64 vcc, 0
	s_addc_u32 s2, s3, s5
	v_readfirstlane_b32 s5, v2
	s_mul_i32 s4, s0, s2
	s_mul_hi_u32 s6, s0, s5
	s_mul_hi_u32 s3, s0, s2
	s_add_u32 s4, s6, s4
	s_addc_u32 s3, 0, s3
	s_mul_hi_u32 s7, s1, s5
	s_mul_i32 s5, s1, s5
	s_add_u32 s4, s4, s5
	s_mul_hi_u32 s6, s1, s2
	s_addc_u32 s3, s3, s7
	s_addc_u32 s4, s6, 0
	s_mul_i32 s2, s1, s2
	s_add_u32 s2, s3, s2
	s_addc_u32 s3, 0, s4
	s_add_u32 s4, s2, 1
	s_addc_u32 s5, s3, 0
	s_add_u32 s6, s2, 2
	s_mul_i32 s8, s3, 24
	s_mul_hi_u32 s9, s2, 24
	s_addc_u32 s7, s3, 0
	s_add_i32 s9, s9, s8
	s_mul_i32 s8, s2, 24
	v_mov_b32_e32 v2, s8
	v_sub_co_u32_e32 v2, vcc, s0, v2
	s_cmp_lg_u64 vcc, 0
	s_subb_u32 s8, s1, s9
	v_subrev_co_u32_e32 v3, vcc, 24, v2
	s_cmp_lg_u64 vcc, 0
	s_subb_u32 s9, s8, 0
	v_readfirstlane_b32 s10, v3
	s_cmp_gt_u32 s10, 23
	s_cselect_b32 s10, -1, 0
	s_cmp_eq_u32 s9, 0
	s_cselect_b32 s9, s10, -1
	s_cmp_lg_u32 s9, 0
	s_cselect_b32 s4, s6, s4
	v_readfirstlane_b32 s6, v2
	s_cselect_b32 s5, s7, s5
	s_cmp_gt_u32 s6, 23
	s_cselect_b32 s6, -1, 0
	s_cmp_eq_u32 s8, 0
	s_cselect_b32 s6, s6, -1
	s_cmp_lg_u32 s6, 0
	v_mov_b32_e32 v1, 0
	s_cselect_b32 s3, s5, s3
	s_cselect_b32 s2, s4, s2
	v_cmp_eq_u64_e32 vcc, s[2:3], v[0:1]
	s_and_saveexec_b64 s[2:3], vcc
	s_cbranch_execz .LBB4054_100
; %bb.94:
	s_movk_i32 s2, 0xffd2
	v_mad_i32_i24 v2, v0, s2, v21
	v_mul_hi_u32_u24_e32 v1, 24, v0
	v_mov_b32_e32 v3, s1
	v_sub_co_u32_e32 v0, vcc, s0, v20
	v_subb_co_u32_e32 v1, vcc, v3, v1, vcc
	v_cmp_lt_i64_e32 vcc, 11, v[0:1]
	s_mov_b64 s[0:1], 0
	s_mov_b64 s[8:9], 0
	;; [unrolled: 1-line block ×4, first 2 shown]
                                        ; implicit-def: $vgpr3
                                        ; implicit-def: $vgpr4
                                        ; implicit-def: $vgpr5
	s_and_saveexec_b64 s[2:3], vcc
	s_xor_b64 s[2:3], exec, s[2:3]
	s_cbranch_execnz .LBB4054_101
; %bb.95:
	s_andn2_saveexec_b64 s[2:3], s[2:3]
	s_cbranch_execnz .LBB4054_146
.LBB4054_96:
	s_or_b64 exec, exec, s[2:3]
	s_and_saveexec_b64 s[2:3], s[8:9]
	s_cbranch_execnz .LBB4054_163
.LBB4054_97:
	s_or_b64 exec, exec, s[2:3]
	s_and_saveexec_b64 s[2:3], s[6:7]
	s_cbranch_execnz .LBB4054_164
.LBB4054_98:
	s_or_b64 exec, exec, s[2:3]
	s_and_saveexec_b64 s[2:3], s[4:5]
	s_xor_b64 s[2:3], exec, s[2:3]
	s_cbranch_execnz .LBB4054_165
.LBB4054_99:
	s_or_b64 exec, exec, s[2:3]
	s_and_b64 exec, exec, s[0:1]
	s_cbranch_execnz .LBB4054_166
.LBB4054_100:
	s_endpgm
.LBB4054_101:
	v_cmp_lt_i64_e32 vcc, 17, v[0:1]
                                        ; implicit-def: $vgpr3
                                        ; implicit-def: $vgpr4
                                        ; implicit-def: $vgpr5
	s_and_saveexec_b64 s[10:11], vcc
	s_xor_b64 s[10:11], exec, s[10:11]
	s_cbranch_execz .LBB4054_123
; %bb.102:
	v_cmp_lt_i64_e32 vcc, 20, v[0:1]
                                        ; implicit-def: $vgpr3
                                        ; implicit-def: $vgpr4
	s_and_saveexec_b64 s[12:13], vcc
	s_xor_b64 s[12:13], exec, s[12:13]
	s_cbranch_execz .LBB4054_112
; %bb.103:
	v_cmp_lt_i64_e32 vcc, 21, v[0:1]
	s_mov_b64 s[14:15], 0
                                        ; implicit-def: $vgpr3
	s_and_saveexec_b64 s[4:5], vcc
	s_xor_b64 s[4:5], exec, s[4:5]
	s_cbranch_execz .LBB4054_109
; %bb.104:
	v_cmp_lt_i64_e32 vcc, 22, v[0:1]
	s_and_saveexec_b64 s[14:15], vcc
	s_xor_b64 s[14:15], exec, s[14:15]
	s_cbranch_execz .LBB4054_106
; %bb.105:
	ds_read_u16 v3, v2 offset:2944
	v_mov_b32_e32 v4, 0
	s_waitcnt lgkmcnt(0)
	global_store_short v4, v3, s[18:19]
.LBB4054_106:
	s_or_saveexec_b64 s[14:15], s[14:15]
	s_mov_b64 s[16:17], 0
                                        ; implicit-def: $vgpr3
	s_xor_b64 exec, exec, s[14:15]
	s_cbranch_execz .LBB4054_108
; %bb.107:
	ds_read_u16 v3, v2 offset:2816
	s_mov_b64 s[16:17], exec
.LBB4054_108:
	s_or_b64 exec, exec, s[14:15]
	s_and_b64 s[14:15], s[16:17], exec
.LBB4054_109:
	s_or_saveexec_b64 s[4:5], s[4:5]
                                        ; implicit-def: $vgpr4
	s_xor_b64 exec, exec, s[4:5]
	s_cbranch_execz .LBB4054_111
; %bb.110:
	ds_read_u16 v4, v2 offset:2688
	s_mov_b64 s[6:7], exec
                                        ; implicit-def: $vgpr3
.LBB4054_111:
	s_or_b64 exec, exec, s[4:5]
	s_and_b64 s[4:5], s[14:15], exec
	s_and_b64 s[6:7], s[6:7], exec
.LBB4054_112:
	s_or_saveexec_b64 s[12:13], s[12:13]
                                        ; implicit-def: $vgpr5
	s_xor_b64 exec, exec, s[12:13]
	s_cbranch_execz .LBB4054_122
; %bb.113:
	v_cmp_lt_i64_e32 vcc, 18, v[0:1]
	s_mov_b64 s[14:15], 0
                                        ; implicit-def: $vgpr5
	s_and_saveexec_b64 s[8:9], vcc
	s_xor_b64 s[8:9], exec, s[8:9]
	s_cbranch_execz .LBB4054_119
; %bb.114:
	v_cmp_lt_i64_e32 vcc, 19, v[0:1]
                                        ; implicit-def: $vgpr5
	s_and_saveexec_b64 s[16:17], vcc
	s_xor_b64 s[16:17], exec, s[16:17]
	s_cbranch_execz .LBB4054_116
; %bb.115:
	ds_read_u16 v5, v2 offset:2560
	s_mov_b64 s[14:15], exec
.LBB4054_116:
	s_andn2_saveexec_b64 s[16:17], s[16:17]
	s_cbranch_execz .LBB4054_118
; %bb.117:
	s_waitcnt lgkmcnt(0)
	ds_read_u16 v3, v2 offset:2432
	v_mov_b32_e32 v4, 0
                                        ; implicit-def: $vgpr5
	s_waitcnt lgkmcnt(0)
	global_store_short v4, v3, s[18:19]
.LBB4054_118:
	s_or_b64 exec, exec, s[16:17]
	s_and_b64 s[14:15], s[14:15], exec
.LBB4054_119:
	s_andn2_saveexec_b64 s[8:9], s[8:9]
	s_cbranch_execz .LBB4054_121
; %bb.120:
	s_waitcnt lgkmcnt(0)
	ds_read_u16 v3, v2 offset:2304
	v_mov_b32_e32 v4, 0
                                        ; implicit-def: $vgpr5
	s_waitcnt lgkmcnt(0)
	global_store_short v4, v3, s[18:19]
.LBB4054_121:
	s_or_b64 exec, exec, s[8:9]
	s_and_b64 s[8:9], s[14:15], exec
                                        ; implicit-def: $vgpr3
                                        ; implicit-def: $vgpr4
.LBB4054_122:
	s_or_b64 exec, exec, s[12:13]
	s_and_b64 s[4:5], s[4:5], exec
	s_and_b64 s[6:7], s[6:7], exec
	;; [unrolled: 1-line block ×3, first 2 shown]
.LBB4054_123:
	s_andn2_saveexec_b64 s[10:11], s[10:11]
	s_cbranch_execz .LBB4054_145
; %bb.124:
	v_cmp_lt_i64_e32 vcc, 14, v[0:1]
	s_mov_b64 s[12:13], s[4:5]
                                        ; implicit-def: $vgpr3
	s_and_saveexec_b64 s[14:15], vcc
	s_xor_b64 s[14:15], exec, s[14:15]
	s_cbranch_execz .LBB4054_134
; %bb.125:
	v_cmp_lt_i64_e32 vcc, 15, v[0:1]
	s_and_saveexec_b64 s[12:13], vcc
	s_xor_b64 s[12:13], exec, s[12:13]
	s_cbranch_execz .LBB4054_131
; %bb.126:
	v_cmp_lt_i64_e32 vcc, 16, v[0:1]
	s_and_saveexec_b64 s[16:17], vcc
	s_xor_b64 s[16:17], exec, s[16:17]
	s_cbranch_execz .LBB4054_128
; %bb.127:
	s_waitcnt lgkmcnt(0)
	ds_read_u16 v3, v2 offset:2176
	v_mov_b32_e32 v4, 0
	s_waitcnt lgkmcnt(0)
	global_store_short v4, v3, s[18:19]
.LBB4054_128:
	s_andn2_saveexec_b64 s[16:17], s[16:17]
	s_cbranch_execz .LBB4054_130
; %bb.129:
	s_waitcnt lgkmcnt(0)
	ds_read_u16 v3, v2 offset:2048
	v_mov_b32_e32 v4, 0
	s_waitcnt lgkmcnt(0)
	global_store_short v4, v3, s[18:19]
.LBB4054_130:
	s_or_b64 exec, exec, s[16:17]
.LBB4054_131:
	s_or_saveexec_b64 s[12:13], s[12:13]
	s_mov_b64 s[16:17], s[4:5]
                                        ; implicit-def: $vgpr3
	s_xor_b64 exec, exec, s[12:13]
	s_cbranch_execz .LBB4054_133
; %bb.132:
	s_waitcnt lgkmcnt(0)
	ds_read_u16 v3, v2 offset:1920
	s_or_b64 s[16:17], s[4:5], exec
.LBB4054_133:
	s_or_b64 exec, exec, s[12:13]
	s_andn2_b64 s[12:13], s[4:5], exec
	s_and_b64 s[16:17], s[16:17], exec
	s_or_b64 s[12:13], s[12:13], s[16:17]
.LBB4054_134:
	s_or_saveexec_b64 s[14:15], s[14:15]
	s_mov_b64 s[16:17], s[6:7]
                                        ; implicit-def: $vgpr4
	s_xor_b64 exec, exec, s[14:15]
	s_cbranch_execz .LBB4054_144
; %bb.135:
	v_cmp_lt_i64_e32 vcc, 12, v[0:1]
	s_mov_b64 s[20:21], s[6:7]
	s_mov_b64 s[22:23], s[12:13]
                                        ; implicit-def: $vgpr3
                                        ; implicit-def: $vgpr4
	s_and_saveexec_b64 s[16:17], vcc
	s_xor_b64 s[16:17], exec, s[16:17]
	s_cbranch_execz .LBB4054_141
; %bb.136:
	v_cmp_lt_i64_e32 vcc, 13, v[0:1]
	s_mov_b64 s[20:21], s[12:13]
                                        ; implicit-def: $vgpr3
	s_and_saveexec_b64 s[22:23], vcc
	s_xor_b64 s[22:23], exec, s[22:23]
	s_cbranch_execz .LBB4054_138
; %bb.137:
	s_waitcnt lgkmcnt(0)
	ds_read_u16 v3, v2 offset:1792
	s_or_b64 s[20:21], s[12:13], exec
.LBB4054_138:
	s_or_saveexec_b64 s[22:23], s[22:23]
	s_mov_b64 s[24:25], s[6:7]
                                        ; implicit-def: $vgpr4
	s_xor_b64 exec, exec, s[22:23]
	s_cbranch_execz .LBB4054_140
; %bb.139:
	s_waitcnt lgkmcnt(0)
	ds_read_u16 v4, v2 offset:1664
	s_or_b64 s[24:25], s[6:7], exec
                                        ; implicit-def: $vgpr3
.LBB4054_140:
	s_or_b64 exec, exec, s[22:23]
	s_andn2_b64 s[22:23], s[12:13], exec
	s_and_b64 s[20:21], s[20:21], exec
	s_or_b64 s[22:23], s[22:23], s[20:21]
	s_andn2_b64 s[20:21], s[6:7], exec
	s_and_b64 s[24:25], s[24:25], exec
	s_or_b64 s[20:21], s[20:21], s[24:25]
.LBB4054_141:
	s_andn2_saveexec_b64 s[16:17], s[16:17]
	s_cbranch_execz .LBB4054_143
; %bb.142:
	s_waitcnt lgkmcnt(0)
	ds_read_u16 v4, v2 offset:1536
	s_or_b64 s[20:21], s[20:21], exec
                                        ; implicit-def: $vgpr3
.LBB4054_143:
	s_or_b64 exec, exec, s[16:17]
	s_andn2_b64 s[12:13], s[12:13], exec
	s_and_b64 s[16:17], s[22:23], exec
	s_or_b64 s[12:13], s[12:13], s[16:17]
	s_andn2_b64 s[16:17], s[6:7], exec
	s_and_b64 s[20:21], s[20:21], exec
	s_or_b64 s[16:17], s[16:17], s[20:21]
.LBB4054_144:
	s_or_b64 exec, exec, s[14:15]
	s_andn2_b64 s[4:5], s[4:5], exec
	s_and_b64 s[12:13], s[12:13], exec
	s_or_b64 s[4:5], s[4:5], s[12:13]
	s_andn2_b64 s[6:7], s[6:7], exec
	s_and_b64 s[12:13], s[16:17], exec
	s_or_b64 s[6:7], s[6:7], s[12:13]
                                        ; implicit-def: $vgpr5
.LBB4054_145:
	s_or_b64 exec, exec, s[10:11]
	s_and_b64 s[4:5], s[4:5], exec
	s_and_b64 s[6:7], s[6:7], exec
	;; [unrolled: 1-line block ×3, first 2 shown]
	s_andn2_saveexec_b64 s[2:3], s[2:3]
	s_cbranch_execz .LBB4054_96
.LBB4054_146:
	v_cmp_lt_i64_e32 vcc, 5, v[0:1]
	s_mov_b64 s[12:13], -1
	s_mov_b64 s[10:11], s[8:9]
	s_mov_b64 s[14:15], s[6:7]
	;; [unrolled: 1-line block ×3, first 2 shown]
                                        ; implicit-def: $vgpr3
                                        ; implicit-def: $vgpr4
                                        ; implicit-def: $vgpr5
	s_and_saveexec_b64 s[0:1], vcc
	s_cbranch_execz .LBB4054_162
; %bb.147:
	v_cmp_lt_i64_e32 vcc, 8, v[0:1]
	s_mov_b64 s[10:11], s[8:9]
                                        ; implicit-def: $vgpr5
	s_and_saveexec_b64 s[12:13], vcc
	s_xor_b64 s[12:13], exec, s[12:13]
	s_cbranch_execz .LBB4054_157
; %bb.148:
	v_cmp_lt_i64_e32 vcc, 9, v[0:1]
                                        ; implicit-def: $vgpr5
	s_and_saveexec_b64 s[10:11], vcc
	s_xor_b64 s[10:11], exec, s[10:11]
	s_cbranch_execz .LBB4054_154
; %bb.149:
	v_cmp_lt_i64_e32 vcc, 10, v[0:1]
                                        ; implicit-def: $vgpr5
	s_and_saveexec_b64 s[14:15], vcc
	s_xor_b64 s[14:15], exec, s[14:15]
	s_cbranch_execz .LBB4054_151
; %bb.150:
	s_waitcnt lgkmcnt(0)
	ds_read_u16 v5, v2 offset:1408
.LBB4054_151:
	s_andn2_saveexec_b64 s[14:15], s[14:15]
	s_cbranch_execz .LBB4054_153
; %bb.152:
	s_waitcnt lgkmcnt(0)
	ds_read_u16 v5, v2 offset:1280
.LBB4054_153:
	s_or_b64 exec, exec, s[14:15]
.LBB4054_154:
	s_andn2_saveexec_b64 s[10:11], s[10:11]
	s_cbranch_execz .LBB4054_156
; %bb.155:
	s_waitcnt lgkmcnt(0)
	ds_read_u16 v5, v2 offset:1152
.LBB4054_156:
	s_or_b64 exec, exec, s[10:11]
	s_or_b64 s[10:11], s[8:9], exec
.LBB4054_157:
	s_or_saveexec_b64 s[12:13], s[12:13]
	s_mov_b64 s[14:15], s[6:7]
	s_mov_b64 s[20:21], s[4:5]
                                        ; implicit-def: $vgpr3
                                        ; implicit-def: $vgpr4
	s_xor_b64 exec, exec, s[12:13]
	s_cbranch_execz .LBB4054_161
; %bb.158:
	s_waitcnt lgkmcnt(0)
	ds_read_u16 v3, v2 offset:768
	v_cmp_lt_i64_e32 vcc, 6, v[0:1]
	s_mov_b64 s[20:21], -1
	s_mov_b64 s[16:17], s[10:11]
	s_mov_b64 s[14:15], s[6:7]
                                        ; implicit-def: $vgpr4
                                        ; implicit-def: $vgpr5
	s_and_saveexec_b64 s[22:23], vcc
	s_cbranch_execz .LBB4054_160
; %bb.159:
	ds_read_u16 v4, v2 offset:896
	ds_read_u16 v5, v2 offset:1024
	v_cmp_lt_i64_e32 vcc, 7, v[0:1]
	s_andn2_b64 s[16:17], s[10:11], exec
	s_and_b64 s[24:25], vcc, exec
	s_xor_b64 s[20:21], exec, -1
	s_or_b64 s[14:15], s[6:7], exec
	s_or_b64 s[16:17], s[16:17], s[24:25]
                                        ; implicit-def: $vgpr3
.LBB4054_160:
	s_or_b64 exec, exec, s[22:23]
	s_andn2_b64 s[22:23], s[4:5], exec
	s_and_b64 s[20:21], s[20:21], exec
	s_or_b64 s[20:21], s[22:23], s[20:21]
	s_andn2_b64 s[22:23], s[6:7], exec
	s_and_b64 s[14:15], s[14:15], exec
	s_andn2_b64 s[10:11], s[10:11], exec
	s_and_b64 s[16:17], s[16:17], exec
	s_or_b64 s[14:15], s[22:23], s[14:15]
	s_or_b64 s[10:11], s[10:11], s[16:17]
.LBB4054_161:
	s_or_b64 exec, exec, s[12:13]
	s_andn2_b64 s[16:17], s[4:5], exec
	s_and_b64 s[20:21], s[20:21], exec
	s_or_b64 s[16:17], s[16:17], s[20:21]
	s_andn2_b64 s[20:21], s[6:7], exec
	s_and_b64 s[14:15], s[14:15], exec
	s_or_b64 s[14:15], s[20:21], s[14:15]
	s_andn2_b64 s[20:21], s[8:9], exec
	s_and_b64 s[10:11], s[10:11], exec
	s_xor_b64 s[12:13], exec, -1
	s_or_b64 s[10:11], s[20:21], s[10:11]
.LBB4054_162:
	s_or_b64 exec, exec, s[0:1]
	s_and_b64 s[0:1], s[12:13], exec
	s_andn2_b64 s[4:5], s[4:5], exec
	s_and_b64 s[12:13], s[16:17], exec
	s_or_b64 s[4:5], s[4:5], s[12:13]
	s_andn2_b64 s[6:7], s[6:7], exec
	s_and_b64 s[12:13], s[14:15], exec
	s_andn2_b64 s[8:9], s[8:9], exec
	s_and_b64 s[10:11], s[10:11], exec
	s_or_b64 s[6:7], s[6:7], s[12:13]
	s_or_b64 s[8:9], s[8:9], s[10:11]
	s_or_b64 exec, exec, s[2:3]
	s_and_saveexec_b64 s[2:3], s[8:9]
	s_cbranch_execz .LBB4054_97
.LBB4054_163:
	s_waitcnt lgkmcnt(0)
	v_mov_b32_e32 v3, 0
	s_andn2_b64 s[6:7], s[6:7], exec
	global_store_short v3, v5, s[18:19]
                                        ; implicit-def: $vgpr3
                                        ; implicit-def: $vgpr4
	s_or_b64 exec, exec, s[2:3]
	s_and_saveexec_b64 s[2:3], s[6:7]
	s_cbranch_execz .LBB4054_98
.LBB4054_164:
	s_waitcnt lgkmcnt(0)
	v_mov_b32_e32 v3, 0
	global_store_short v3, v4, s[18:19]
                                        ; implicit-def: $vgpr3
	s_or_b64 exec, exec, s[2:3]
	s_and_saveexec_b64 s[2:3], s[4:5]
	s_xor_b64 s[2:3], exec, s[2:3]
	s_cbranch_execz .LBB4054_99
.LBB4054_165:
	s_waitcnt lgkmcnt(0)
	v_mov_b32_e32 v4, 0
	global_store_short v4, v3, s[18:19]
	s_or_b64 exec, exec, s[2:3]
	s_and_b64 exec, exec, s[0:1]
	s_cbranch_execz .LBB4054_100
.LBB4054_166:
	v_cmp_lt_i64_e32 vcc, 2, v[0:1]
	s_and_saveexec_b64 s[0:1], vcc
	s_xor_b64 s[0:1], exec, s[0:1]
	s_cbranch_execz .LBB4054_176
; %bb.167:
	v_cmp_lt_i64_e32 vcc, 3, v[0:1]
	s_and_saveexec_b64 s[2:3], vcc
	s_xor_b64 s[2:3], exec, s[2:3]
	s_cbranch_execz .LBB4054_173
; %bb.168:
	;; [unrolled: 5-line block ×3, first 2 shown]
	ds_read_u16 v0, v2 offset:640
	v_mov_b32_e32 v1, 0
                                        ; implicit-def: $vgpr2
	s_waitcnt lgkmcnt(0)
	global_store_short v1, v0, s[18:19]
.LBB4054_170:
	s_andn2_saveexec_b64 s[4:5], s[4:5]
	s_cbranch_execz .LBB4054_172
; %bb.171:
	ds_read_u16 v0, v2 offset:512
	v_mov_b32_e32 v1, 0
	s_waitcnt lgkmcnt(0)
	global_store_short v1, v0, s[18:19]
.LBB4054_172:
	s_or_b64 exec, exec, s[4:5]
                                        ; implicit-def: $vgpr2
.LBB4054_173:
	s_andn2_saveexec_b64 s[2:3], s[2:3]
	s_cbranch_execz .LBB4054_175
; %bb.174:
	ds_read_u16 v0, v2 offset:384
	v_mov_b32_e32 v1, 0
	s_waitcnt lgkmcnt(0)
	global_store_short v1, v0, s[18:19]
.LBB4054_175:
	s_or_b64 exec, exec, s[2:3]
                                        ; implicit-def: $vgpr0_vgpr1
                                        ; implicit-def: $vgpr2
.LBB4054_176:
	s_andn2_saveexec_b64 s[0:1], s[0:1]
	s_cbranch_execz .LBB4054_100
; %bb.177:
	v_cmp_lt_i64_e32 vcc, 1, v[0:1]
	s_and_saveexec_b64 s[0:1], vcc
	s_xor_b64 s[0:1], exec, s[0:1]
	s_cbranch_execz .LBB4054_179
; %bb.178:
	ds_read_u16 v0, v2 offset:256
	v_mov_b32_e32 v1, 0
                                        ; implicit-def: $vgpr2
	s_waitcnt lgkmcnt(0)
	global_store_short v1, v0, s[18:19]
                                        ; implicit-def: $vgpr0_vgpr1
.LBB4054_179:
	s_andn2_saveexec_b64 s[0:1], s[0:1]
	s_cbranch_execz .LBB4054_100
; %bb.180:
	v_cmp_ne_u64_e32 vcc, 1, v[0:1]
	s_and_saveexec_b64 s[0:1], vcc
	s_xor_b64 s[0:1], exec, s[0:1]
	s_cbranch_execz .LBB4054_182
; %bb.181:
	ds_read_u16 v0, v2
	v_mov_b32_e32 v1, 0
                                        ; implicit-def: $vgpr2
	s_waitcnt lgkmcnt(0)
	global_store_short v1, v0, s[18:19]
.LBB4054_182:
	s_andn2_saveexec_b64 s[0:1], s[0:1]
	s_cbranch_execz .LBB4054_100
; %bb.183:
	ds_read_u16 v0, v2 offset:128
	v_mov_b32_e32 v1, 0
	s_waitcnt lgkmcnt(0)
	global_store_short v1, v0, s[18:19]
	s_endpgm
	.section	.rodata,"a",@progbits
	.p2align	6, 0x0
	.amdhsa_kernel _ZN7rocprim17ROCPRIM_400000_NS6detail17trampoline_kernelINS0_14default_configENS1_20scan_config_selectorIsEEZZNS1_9scan_implILNS1_25lookback_scan_determinismE0ELb0ELb0ES3_N6thrust23THRUST_200600_302600_NS6detail15normal_iteratorINS9_10device_ptrIsEEEENS9_16discard_iteratorINS9_11use_defaultEEEs11max_functorIsEsEEDaPvRmT3_T4_T5_mT6_P12ihipStream_tbENKUlT_T0_E_clISt17integral_constantIbLb0EESW_IbLb1EEEEDaSS_ST_EUlSS_E_NS1_11comp_targetILNS1_3genE4ELNS1_11target_archE910ELNS1_3gpuE8ELNS1_3repE0EEENS1_30default_config_static_selectorELNS0_4arch9wavefront6targetE1EEEvT1_
		.amdhsa_group_segment_fixed_size 3072
		.amdhsa_private_segment_fixed_size 0
		.amdhsa_kernarg_size 104
		.amdhsa_user_sgpr_count 6
		.amdhsa_user_sgpr_private_segment_buffer 1
		.amdhsa_user_sgpr_dispatch_ptr 0
		.amdhsa_user_sgpr_queue_ptr 0
		.amdhsa_user_sgpr_kernarg_segment_ptr 1
		.amdhsa_user_sgpr_dispatch_id 0
		.amdhsa_user_sgpr_flat_scratch_init 0
		.amdhsa_user_sgpr_kernarg_preload_length 0
		.amdhsa_user_sgpr_kernarg_preload_offset 0
		.amdhsa_user_sgpr_private_segment_size 0
		.amdhsa_uses_dynamic_stack 0
		.amdhsa_system_sgpr_private_segment_wavefront_offset 0
		.amdhsa_system_sgpr_workgroup_id_x 1
		.amdhsa_system_sgpr_workgroup_id_y 0
		.amdhsa_system_sgpr_workgroup_id_z 0
		.amdhsa_system_sgpr_workgroup_info 0
		.amdhsa_system_vgpr_workitem_id 0
		.amdhsa_next_free_vgpr 56
		.amdhsa_next_free_sgpr 31
		.amdhsa_accum_offset 56
		.amdhsa_reserve_vcc 1
		.amdhsa_reserve_flat_scratch 0
		.amdhsa_float_round_mode_32 0
		.amdhsa_float_round_mode_16_64 0
		.amdhsa_float_denorm_mode_32 3
		.amdhsa_float_denorm_mode_16_64 3
		.amdhsa_dx10_clamp 1
		.amdhsa_ieee_mode 1
		.amdhsa_fp16_overflow 0
		.amdhsa_tg_split 0
		.amdhsa_exception_fp_ieee_invalid_op 0
		.amdhsa_exception_fp_denorm_src 0
		.amdhsa_exception_fp_ieee_div_zero 0
		.amdhsa_exception_fp_ieee_overflow 0
		.amdhsa_exception_fp_ieee_underflow 0
		.amdhsa_exception_fp_ieee_inexact 0
		.amdhsa_exception_int_div_zero 0
	.end_amdhsa_kernel
	.section	.text._ZN7rocprim17ROCPRIM_400000_NS6detail17trampoline_kernelINS0_14default_configENS1_20scan_config_selectorIsEEZZNS1_9scan_implILNS1_25lookback_scan_determinismE0ELb0ELb0ES3_N6thrust23THRUST_200600_302600_NS6detail15normal_iteratorINS9_10device_ptrIsEEEENS9_16discard_iteratorINS9_11use_defaultEEEs11max_functorIsEsEEDaPvRmT3_T4_T5_mT6_P12ihipStream_tbENKUlT_T0_E_clISt17integral_constantIbLb0EESW_IbLb1EEEEDaSS_ST_EUlSS_E_NS1_11comp_targetILNS1_3genE4ELNS1_11target_archE910ELNS1_3gpuE8ELNS1_3repE0EEENS1_30default_config_static_selectorELNS0_4arch9wavefront6targetE1EEEvT1_,"axG",@progbits,_ZN7rocprim17ROCPRIM_400000_NS6detail17trampoline_kernelINS0_14default_configENS1_20scan_config_selectorIsEEZZNS1_9scan_implILNS1_25lookback_scan_determinismE0ELb0ELb0ES3_N6thrust23THRUST_200600_302600_NS6detail15normal_iteratorINS9_10device_ptrIsEEEENS9_16discard_iteratorINS9_11use_defaultEEEs11max_functorIsEsEEDaPvRmT3_T4_T5_mT6_P12ihipStream_tbENKUlT_T0_E_clISt17integral_constantIbLb0EESW_IbLb1EEEEDaSS_ST_EUlSS_E_NS1_11comp_targetILNS1_3genE4ELNS1_11target_archE910ELNS1_3gpuE8ELNS1_3repE0EEENS1_30default_config_static_selectorELNS0_4arch9wavefront6targetE1EEEvT1_,comdat
.Lfunc_end4054:
	.size	_ZN7rocprim17ROCPRIM_400000_NS6detail17trampoline_kernelINS0_14default_configENS1_20scan_config_selectorIsEEZZNS1_9scan_implILNS1_25lookback_scan_determinismE0ELb0ELb0ES3_N6thrust23THRUST_200600_302600_NS6detail15normal_iteratorINS9_10device_ptrIsEEEENS9_16discard_iteratorINS9_11use_defaultEEEs11max_functorIsEsEEDaPvRmT3_T4_T5_mT6_P12ihipStream_tbENKUlT_T0_E_clISt17integral_constantIbLb0EESW_IbLb1EEEEDaSS_ST_EUlSS_E_NS1_11comp_targetILNS1_3genE4ELNS1_11target_archE910ELNS1_3gpuE8ELNS1_3repE0EEENS1_30default_config_static_selectorELNS0_4arch9wavefront6targetE1EEEvT1_, .Lfunc_end4054-_ZN7rocprim17ROCPRIM_400000_NS6detail17trampoline_kernelINS0_14default_configENS1_20scan_config_selectorIsEEZZNS1_9scan_implILNS1_25lookback_scan_determinismE0ELb0ELb0ES3_N6thrust23THRUST_200600_302600_NS6detail15normal_iteratorINS9_10device_ptrIsEEEENS9_16discard_iteratorINS9_11use_defaultEEEs11max_functorIsEsEEDaPvRmT3_T4_T5_mT6_P12ihipStream_tbENKUlT_T0_E_clISt17integral_constantIbLb0EESW_IbLb1EEEEDaSS_ST_EUlSS_E_NS1_11comp_targetILNS1_3genE4ELNS1_11target_archE910ELNS1_3gpuE8ELNS1_3repE0EEENS1_30default_config_static_selectorELNS0_4arch9wavefront6targetE1EEEvT1_
                                        ; -- End function
	.section	.AMDGPU.csdata,"",@progbits
; Kernel info:
; codeLenInByte = 6492
; NumSgprs: 35
; NumVgprs: 56
; NumAgprs: 0
; TotalNumVgprs: 56
; ScratchSize: 0
; MemoryBound: 0
; FloatMode: 240
; IeeeMode: 1
; LDSByteSize: 3072 bytes/workgroup (compile time only)
; SGPRBlocks: 4
; VGPRBlocks: 6
; NumSGPRsForWavesPerEU: 35
; NumVGPRsForWavesPerEU: 56
; AccumOffset: 56
; Occupancy: 6
; WaveLimiterHint : 1
; COMPUTE_PGM_RSRC2:SCRATCH_EN: 0
; COMPUTE_PGM_RSRC2:USER_SGPR: 6
; COMPUTE_PGM_RSRC2:TRAP_HANDLER: 0
; COMPUTE_PGM_RSRC2:TGID_X_EN: 1
; COMPUTE_PGM_RSRC2:TGID_Y_EN: 0
; COMPUTE_PGM_RSRC2:TGID_Z_EN: 0
; COMPUTE_PGM_RSRC2:TIDIG_COMP_CNT: 0
; COMPUTE_PGM_RSRC3_GFX90A:ACCUM_OFFSET: 13
; COMPUTE_PGM_RSRC3_GFX90A:TG_SPLIT: 0
	.section	.text._ZN7rocprim17ROCPRIM_400000_NS6detail17trampoline_kernelINS0_14default_configENS1_20scan_config_selectorIsEEZZNS1_9scan_implILNS1_25lookback_scan_determinismE0ELb0ELb0ES3_N6thrust23THRUST_200600_302600_NS6detail15normal_iteratorINS9_10device_ptrIsEEEENS9_16discard_iteratorINS9_11use_defaultEEEs11max_functorIsEsEEDaPvRmT3_T4_T5_mT6_P12ihipStream_tbENKUlT_T0_E_clISt17integral_constantIbLb0EESW_IbLb1EEEEDaSS_ST_EUlSS_E_NS1_11comp_targetILNS1_3genE3ELNS1_11target_archE908ELNS1_3gpuE7ELNS1_3repE0EEENS1_30default_config_static_selectorELNS0_4arch9wavefront6targetE1EEEvT1_,"axG",@progbits,_ZN7rocprim17ROCPRIM_400000_NS6detail17trampoline_kernelINS0_14default_configENS1_20scan_config_selectorIsEEZZNS1_9scan_implILNS1_25lookback_scan_determinismE0ELb0ELb0ES3_N6thrust23THRUST_200600_302600_NS6detail15normal_iteratorINS9_10device_ptrIsEEEENS9_16discard_iteratorINS9_11use_defaultEEEs11max_functorIsEsEEDaPvRmT3_T4_T5_mT6_P12ihipStream_tbENKUlT_T0_E_clISt17integral_constantIbLb0EESW_IbLb1EEEEDaSS_ST_EUlSS_E_NS1_11comp_targetILNS1_3genE3ELNS1_11target_archE908ELNS1_3gpuE7ELNS1_3repE0EEENS1_30default_config_static_selectorELNS0_4arch9wavefront6targetE1EEEvT1_,comdat
	.protected	_ZN7rocprim17ROCPRIM_400000_NS6detail17trampoline_kernelINS0_14default_configENS1_20scan_config_selectorIsEEZZNS1_9scan_implILNS1_25lookback_scan_determinismE0ELb0ELb0ES3_N6thrust23THRUST_200600_302600_NS6detail15normal_iteratorINS9_10device_ptrIsEEEENS9_16discard_iteratorINS9_11use_defaultEEEs11max_functorIsEsEEDaPvRmT3_T4_T5_mT6_P12ihipStream_tbENKUlT_T0_E_clISt17integral_constantIbLb0EESW_IbLb1EEEEDaSS_ST_EUlSS_E_NS1_11comp_targetILNS1_3genE3ELNS1_11target_archE908ELNS1_3gpuE7ELNS1_3repE0EEENS1_30default_config_static_selectorELNS0_4arch9wavefront6targetE1EEEvT1_ ; -- Begin function _ZN7rocprim17ROCPRIM_400000_NS6detail17trampoline_kernelINS0_14default_configENS1_20scan_config_selectorIsEEZZNS1_9scan_implILNS1_25lookback_scan_determinismE0ELb0ELb0ES3_N6thrust23THRUST_200600_302600_NS6detail15normal_iteratorINS9_10device_ptrIsEEEENS9_16discard_iteratorINS9_11use_defaultEEEs11max_functorIsEsEEDaPvRmT3_T4_T5_mT6_P12ihipStream_tbENKUlT_T0_E_clISt17integral_constantIbLb0EESW_IbLb1EEEEDaSS_ST_EUlSS_E_NS1_11comp_targetILNS1_3genE3ELNS1_11target_archE908ELNS1_3gpuE7ELNS1_3repE0EEENS1_30default_config_static_selectorELNS0_4arch9wavefront6targetE1EEEvT1_
	.globl	_ZN7rocprim17ROCPRIM_400000_NS6detail17trampoline_kernelINS0_14default_configENS1_20scan_config_selectorIsEEZZNS1_9scan_implILNS1_25lookback_scan_determinismE0ELb0ELb0ES3_N6thrust23THRUST_200600_302600_NS6detail15normal_iteratorINS9_10device_ptrIsEEEENS9_16discard_iteratorINS9_11use_defaultEEEs11max_functorIsEsEEDaPvRmT3_T4_T5_mT6_P12ihipStream_tbENKUlT_T0_E_clISt17integral_constantIbLb0EESW_IbLb1EEEEDaSS_ST_EUlSS_E_NS1_11comp_targetILNS1_3genE3ELNS1_11target_archE908ELNS1_3gpuE7ELNS1_3repE0EEENS1_30default_config_static_selectorELNS0_4arch9wavefront6targetE1EEEvT1_
	.p2align	8
	.type	_ZN7rocprim17ROCPRIM_400000_NS6detail17trampoline_kernelINS0_14default_configENS1_20scan_config_selectorIsEEZZNS1_9scan_implILNS1_25lookback_scan_determinismE0ELb0ELb0ES3_N6thrust23THRUST_200600_302600_NS6detail15normal_iteratorINS9_10device_ptrIsEEEENS9_16discard_iteratorINS9_11use_defaultEEEs11max_functorIsEsEEDaPvRmT3_T4_T5_mT6_P12ihipStream_tbENKUlT_T0_E_clISt17integral_constantIbLb0EESW_IbLb1EEEEDaSS_ST_EUlSS_E_NS1_11comp_targetILNS1_3genE3ELNS1_11target_archE908ELNS1_3gpuE7ELNS1_3repE0EEENS1_30default_config_static_selectorELNS0_4arch9wavefront6targetE1EEEvT1_,@function
_ZN7rocprim17ROCPRIM_400000_NS6detail17trampoline_kernelINS0_14default_configENS1_20scan_config_selectorIsEEZZNS1_9scan_implILNS1_25lookback_scan_determinismE0ELb0ELb0ES3_N6thrust23THRUST_200600_302600_NS6detail15normal_iteratorINS9_10device_ptrIsEEEENS9_16discard_iteratorINS9_11use_defaultEEEs11max_functorIsEsEEDaPvRmT3_T4_T5_mT6_P12ihipStream_tbENKUlT_T0_E_clISt17integral_constantIbLb0EESW_IbLb1EEEEDaSS_ST_EUlSS_E_NS1_11comp_targetILNS1_3genE3ELNS1_11target_archE908ELNS1_3gpuE7ELNS1_3repE0EEENS1_30default_config_static_selectorELNS0_4arch9wavefront6targetE1EEEvT1_: ; @_ZN7rocprim17ROCPRIM_400000_NS6detail17trampoline_kernelINS0_14default_configENS1_20scan_config_selectorIsEEZZNS1_9scan_implILNS1_25lookback_scan_determinismE0ELb0ELb0ES3_N6thrust23THRUST_200600_302600_NS6detail15normal_iteratorINS9_10device_ptrIsEEEENS9_16discard_iteratorINS9_11use_defaultEEEs11max_functorIsEsEEDaPvRmT3_T4_T5_mT6_P12ihipStream_tbENKUlT_T0_E_clISt17integral_constantIbLb0EESW_IbLb1EEEEDaSS_ST_EUlSS_E_NS1_11comp_targetILNS1_3genE3ELNS1_11target_archE908ELNS1_3gpuE7ELNS1_3repE0EEENS1_30default_config_static_selectorELNS0_4arch9wavefront6targetE1EEEvT1_
; %bb.0:
	.section	.rodata,"a",@progbits
	.p2align	6, 0x0
	.amdhsa_kernel _ZN7rocprim17ROCPRIM_400000_NS6detail17trampoline_kernelINS0_14default_configENS1_20scan_config_selectorIsEEZZNS1_9scan_implILNS1_25lookback_scan_determinismE0ELb0ELb0ES3_N6thrust23THRUST_200600_302600_NS6detail15normal_iteratorINS9_10device_ptrIsEEEENS9_16discard_iteratorINS9_11use_defaultEEEs11max_functorIsEsEEDaPvRmT3_T4_T5_mT6_P12ihipStream_tbENKUlT_T0_E_clISt17integral_constantIbLb0EESW_IbLb1EEEEDaSS_ST_EUlSS_E_NS1_11comp_targetILNS1_3genE3ELNS1_11target_archE908ELNS1_3gpuE7ELNS1_3repE0EEENS1_30default_config_static_selectorELNS0_4arch9wavefront6targetE1EEEvT1_
		.amdhsa_group_segment_fixed_size 0
		.amdhsa_private_segment_fixed_size 0
		.amdhsa_kernarg_size 104
		.amdhsa_user_sgpr_count 6
		.amdhsa_user_sgpr_private_segment_buffer 1
		.amdhsa_user_sgpr_dispatch_ptr 0
		.amdhsa_user_sgpr_queue_ptr 0
		.amdhsa_user_sgpr_kernarg_segment_ptr 1
		.amdhsa_user_sgpr_dispatch_id 0
		.amdhsa_user_sgpr_flat_scratch_init 0
		.amdhsa_user_sgpr_kernarg_preload_length 0
		.amdhsa_user_sgpr_kernarg_preload_offset 0
		.amdhsa_user_sgpr_private_segment_size 0
		.amdhsa_uses_dynamic_stack 0
		.amdhsa_system_sgpr_private_segment_wavefront_offset 0
		.amdhsa_system_sgpr_workgroup_id_x 1
		.amdhsa_system_sgpr_workgroup_id_y 0
		.amdhsa_system_sgpr_workgroup_id_z 0
		.amdhsa_system_sgpr_workgroup_info 0
		.amdhsa_system_vgpr_workitem_id 0
		.amdhsa_next_free_vgpr 1
		.amdhsa_next_free_sgpr 0
		.amdhsa_accum_offset 4
		.amdhsa_reserve_vcc 0
		.amdhsa_reserve_flat_scratch 0
		.amdhsa_float_round_mode_32 0
		.amdhsa_float_round_mode_16_64 0
		.amdhsa_float_denorm_mode_32 3
		.amdhsa_float_denorm_mode_16_64 3
		.amdhsa_dx10_clamp 1
		.amdhsa_ieee_mode 1
		.amdhsa_fp16_overflow 0
		.amdhsa_tg_split 0
		.amdhsa_exception_fp_ieee_invalid_op 0
		.amdhsa_exception_fp_denorm_src 0
		.amdhsa_exception_fp_ieee_div_zero 0
		.amdhsa_exception_fp_ieee_overflow 0
		.amdhsa_exception_fp_ieee_underflow 0
		.amdhsa_exception_fp_ieee_inexact 0
		.amdhsa_exception_int_div_zero 0
	.end_amdhsa_kernel
	.section	.text._ZN7rocprim17ROCPRIM_400000_NS6detail17trampoline_kernelINS0_14default_configENS1_20scan_config_selectorIsEEZZNS1_9scan_implILNS1_25lookback_scan_determinismE0ELb0ELb0ES3_N6thrust23THRUST_200600_302600_NS6detail15normal_iteratorINS9_10device_ptrIsEEEENS9_16discard_iteratorINS9_11use_defaultEEEs11max_functorIsEsEEDaPvRmT3_T4_T5_mT6_P12ihipStream_tbENKUlT_T0_E_clISt17integral_constantIbLb0EESW_IbLb1EEEEDaSS_ST_EUlSS_E_NS1_11comp_targetILNS1_3genE3ELNS1_11target_archE908ELNS1_3gpuE7ELNS1_3repE0EEENS1_30default_config_static_selectorELNS0_4arch9wavefront6targetE1EEEvT1_,"axG",@progbits,_ZN7rocprim17ROCPRIM_400000_NS6detail17trampoline_kernelINS0_14default_configENS1_20scan_config_selectorIsEEZZNS1_9scan_implILNS1_25lookback_scan_determinismE0ELb0ELb0ES3_N6thrust23THRUST_200600_302600_NS6detail15normal_iteratorINS9_10device_ptrIsEEEENS9_16discard_iteratorINS9_11use_defaultEEEs11max_functorIsEsEEDaPvRmT3_T4_T5_mT6_P12ihipStream_tbENKUlT_T0_E_clISt17integral_constantIbLb0EESW_IbLb1EEEEDaSS_ST_EUlSS_E_NS1_11comp_targetILNS1_3genE3ELNS1_11target_archE908ELNS1_3gpuE7ELNS1_3repE0EEENS1_30default_config_static_selectorELNS0_4arch9wavefront6targetE1EEEvT1_,comdat
.Lfunc_end4055:
	.size	_ZN7rocprim17ROCPRIM_400000_NS6detail17trampoline_kernelINS0_14default_configENS1_20scan_config_selectorIsEEZZNS1_9scan_implILNS1_25lookback_scan_determinismE0ELb0ELb0ES3_N6thrust23THRUST_200600_302600_NS6detail15normal_iteratorINS9_10device_ptrIsEEEENS9_16discard_iteratorINS9_11use_defaultEEEs11max_functorIsEsEEDaPvRmT3_T4_T5_mT6_P12ihipStream_tbENKUlT_T0_E_clISt17integral_constantIbLb0EESW_IbLb1EEEEDaSS_ST_EUlSS_E_NS1_11comp_targetILNS1_3genE3ELNS1_11target_archE908ELNS1_3gpuE7ELNS1_3repE0EEENS1_30default_config_static_selectorELNS0_4arch9wavefront6targetE1EEEvT1_, .Lfunc_end4055-_ZN7rocprim17ROCPRIM_400000_NS6detail17trampoline_kernelINS0_14default_configENS1_20scan_config_selectorIsEEZZNS1_9scan_implILNS1_25lookback_scan_determinismE0ELb0ELb0ES3_N6thrust23THRUST_200600_302600_NS6detail15normal_iteratorINS9_10device_ptrIsEEEENS9_16discard_iteratorINS9_11use_defaultEEEs11max_functorIsEsEEDaPvRmT3_T4_T5_mT6_P12ihipStream_tbENKUlT_T0_E_clISt17integral_constantIbLb0EESW_IbLb1EEEEDaSS_ST_EUlSS_E_NS1_11comp_targetILNS1_3genE3ELNS1_11target_archE908ELNS1_3gpuE7ELNS1_3repE0EEENS1_30default_config_static_selectorELNS0_4arch9wavefront6targetE1EEEvT1_
                                        ; -- End function
	.section	.AMDGPU.csdata,"",@progbits
; Kernel info:
; codeLenInByte = 0
; NumSgprs: 4
; NumVgprs: 0
; NumAgprs: 0
; TotalNumVgprs: 0
; ScratchSize: 0
; MemoryBound: 0
; FloatMode: 240
; IeeeMode: 1
; LDSByteSize: 0 bytes/workgroup (compile time only)
; SGPRBlocks: 0
; VGPRBlocks: 0
; NumSGPRsForWavesPerEU: 4
; NumVGPRsForWavesPerEU: 1
; AccumOffset: 4
; Occupancy: 8
; WaveLimiterHint : 0
; COMPUTE_PGM_RSRC2:SCRATCH_EN: 0
; COMPUTE_PGM_RSRC2:USER_SGPR: 6
; COMPUTE_PGM_RSRC2:TRAP_HANDLER: 0
; COMPUTE_PGM_RSRC2:TGID_X_EN: 1
; COMPUTE_PGM_RSRC2:TGID_Y_EN: 0
; COMPUTE_PGM_RSRC2:TGID_Z_EN: 0
; COMPUTE_PGM_RSRC2:TIDIG_COMP_CNT: 0
; COMPUTE_PGM_RSRC3_GFX90A:ACCUM_OFFSET: 0
; COMPUTE_PGM_RSRC3_GFX90A:TG_SPLIT: 0
	.section	.text._ZN7rocprim17ROCPRIM_400000_NS6detail17trampoline_kernelINS0_14default_configENS1_20scan_config_selectorIsEEZZNS1_9scan_implILNS1_25lookback_scan_determinismE0ELb0ELb0ES3_N6thrust23THRUST_200600_302600_NS6detail15normal_iteratorINS9_10device_ptrIsEEEENS9_16discard_iteratorINS9_11use_defaultEEEs11max_functorIsEsEEDaPvRmT3_T4_T5_mT6_P12ihipStream_tbENKUlT_T0_E_clISt17integral_constantIbLb0EESW_IbLb1EEEEDaSS_ST_EUlSS_E_NS1_11comp_targetILNS1_3genE2ELNS1_11target_archE906ELNS1_3gpuE6ELNS1_3repE0EEENS1_30default_config_static_selectorELNS0_4arch9wavefront6targetE1EEEvT1_,"axG",@progbits,_ZN7rocprim17ROCPRIM_400000_NS6detail17trampoline_kernelINS0_14default_configENS1_20scan_config_selectorIsEEZZNS1_9scan_implILNS1_25lookback_scan_determinismE0ELb0ELb0ES3_N6thrust23THRUST_200600_302600_NS6detail15normal_iteratorINS9_10device_ptrIsEEEENS9_16discard_iteratorINS9_11use_defaultEEEs11max_functorIsEsEEDaPvRmT3_T4_T5_mT6_P12ihipStream_tbENKUlT_T0_E_clISt17integral_constantIbLb0EESW_IbLb1EEEEDaSS_ST_EUlSS_E_NS1_11comp_targetILNS1_3genE2ELNS1_11target_archE906ELNS1_3gpuE6ELNS1_3repE0EEENS1_30default_config_static_selectorELNS0_4arch9wavefront6targetE1EEEvT1_,comdat
	.protected	_ZN7rocprim17ROCPRIM_400000_NS6detail17trampoline_kernelINS0_14default_configENS1_20scan_config_selectorIsEEZZNS1_9scan_implILNS1_25lookback_scan_determinismE0ELb0ELb0ES3_N6thrust23THRUST_200600_302600_NS6detail15normal_iteratorINS9_10device_ptrIsEEEENS9_16discard_iteratorINS9_11use_defaultEEEs11max_functorIsEsEEDaPvRmT3_T4_T5_mT6_P12ihipStream_tbENKUlT_T0_E_clISt17integral_constantIbLb0EESW_IbLb1EEEEDaSS_ST_EUlSS_E_NS1_11comp_targetILNS1_3genE2ELNS1_11target_archE906ELNS1_3gpuE6ELNS1_3repE0EEENS1_30default_config_static_selectorELNS0_4arch9wavefront6targetE1EEEvT1_ ; -- Begin function _ZN7rocprim17ROCPRIM_400000_NS6detail17trampoline_kernelINS0_14default_configENS1_20scan_config_selectorIsEEZZNS1_9scan_implILNS1_25lookback_scan_determinismE0ELb0ELb0ES3_N6thrust23THRUST_200600_302600_NS6detail15normal_iteratorINS9_10device_ptrIsEEEENS9_16discard_iteratorINS9_11use_defaultEEEs11max_functorIsEsEEDaPvRmT3_T4_T5_mT6_P12ihipStream_tbENKUlT_T0_E_clISt17integral_constantIbLb0EESW_IbLb1EEEEDaSS_ST_EUlSS_E_NS1_11comp_targetILNS1_3genE2ELNS1_11target_archE906ELNS1_3gpuE6ELNS1_3repE0EEENS1_30default_config_static_selectorELNS0_4arch9wavefront6targetE1EEEvT1_
	.globl	_ZN7rocprim17ROCPRIM_400000_NS6detail17trampoline_kernelINS0_14default_configENS1_20scan_config_selectorIsEEZZNS1_9scan_implILNS1_25lookback_scan_determinismE0ELb0ELb0ES3_N6thrust23THRUST_200600_302600_NS6detail15normal_iteratorINS9_10device_ptrIsEEEENS9_16discard_iteratorINS9_11use_defaultEEEs11max_functorIsEsEEDaPvRmT3_T4_T5_mT6_P12ihipStream_tbENKUlT_T0_E_clISt17integral_constantIbLb0EESW_IbLb1EEEEDaSS_ST_EUlSS_E_NS1_11comp_targetILNS1_3genE2ELNS1_11target_archE906ELNS1_3gpuE6ELNS1_3repE0EEENS1_30default_config_static_selectorELNS0_4arch9wavefront6targetE1EEEvT1_
	.p2align	8
	.type	_ZN7rocprim17ROCPRIM_400000_NS6detail17trampoline_kernelINS0_14default_configENS1_20scan_config_selectorIsEEZZNS1_9scan_implILNS1_25lookback_scan_determinismE0ELb0ELb0ES3_N6thrust23THRUST_200600_302600_NS6detail15normal_iteratorINS9_10device_ptrIsEEEENS9_16discard_iteratorINS9_11use_defaultEEEs11max_functorIsEsEEDaPvRmT3_T4_T5_mT6_P12ihipStream_tbENKUlT_T0_E_clISt17integral_constantIbLb0EESW_IbLb1EEEEDaSS_ST_EUlSS_E_NS1_11comp_targetILNS1_3genE2ELNS1_11target_archE906ELNS1_3gpuE6ELNS1_3repE0EEENS1_30default_config_static_selectorELNS0_4arch9wavefront6targetE1EEEvT1_,@function
_ZN7rocprim17ROCPRIM_400000_NS6detail17trampoline_kernelINS0_14default_configENS1_20scan_config_selectorIsEEZZNS1_9scan_implILNS1_25lookback_scan_determinismE0ELb0ELb0ES3_N6thrust23THRUST_200600_302600_NS6detail15normal_iteratorINS9_10device_ptrIsEEEENS9_16discard_iteratorINS9_11use_defaultEEEs11max_functorIsEsEEDaPvRmT3_T4_T5_mT6_P12ihipStream_tbENKUlT_T0_E_clISt17integral_constantIbLb0EESW_IbLb1EEEEDaSS_ST_EUlSS_E_NS1_11comp_targetILNS1_3genE2ELNS1_11target_archE906ELNS1_3gpuE6ELNS1_3repE0EEENS1_30default_config_static_selectorELNS0_4arch9wavefront6targetE1EEEvT1_: ; @_ZN7rocprim17ROCPRIM_400000_NS6detail17trampoline_kernelINS0_14default_configENS1_20scan_config_selectorIsEEZZNS1_9scan_implILNS1_25lookback_scan_determinismE0ELb0ELb0ES3_N6thrust23THRUST_200600_302600_NS6detail15normal_iteratorINS9_10device_ptrIsEEEENS9_16discard_iteratorINS9_11use_defaultEEEs11max_functorIsEsEEDaPvRmT3_T4_T5_mT6_P12ihipStream_tbENKUlT_T0_E_clISt17integral_constantIbLb0EESW_IbLb1EEEEDaSS_ST_EUlSS_E_NS1_11comp_targetILNS1_3genE2ELNS1_11target_archE906ELNS1_3gpuE6ELNS1_3repE0EEENS1_30default_config_static_selectorELNS0_4arch9wavefront6targetE1EEEvT1_
; %bb.0:
	.section	.rodata,"a",@progbits
	.p2align	6, 0x0
	.amdhsa_kernel _ZN7rocprim17ROCPRIM_400000_NS6detail17trampoline_kernelINS0_14default_configENS1_20scan_config_selectorIsEEZZNS1_9scan_implILNS1_25lookback_scan_determinismE0ELb0ELb0ES3_N6thrust23THRUST_200600_302600_NS6detail15normal_iteratorINS9_10device_ptrIsEEEENS9_16discard_iteratorINS9_11use_defaultEEEs11max_functorIsEsEEDaPvRmT3_T4_T5_mT6_P12ihipStream_tbENKUlT_T0_E_clISt17integral_constantIbLb0EESW_IbLb1EEEEDaSS_ST_EUlSS_E_NS1_11comp_targetILNS1_3genE2ELNS1_11target_archE906ELNS1_3gpuE6ELNS1_3repE0EEENS1_30default_config_static_selectorELNS0_4arch9wavefront6targetE1EEEvT1_
		.amdhsa_group_segment_fixed_size 0
		.amdhsa_private_segment_fixed_size 0
		.amdhsa_kernarg_size 104
		.amdhsa_user_sgpr_count 6
		.amdhsa_user_sgpr_private_segment_buffer 1
		.amdhsa_user_sgpr_dispatch_ptr 0
		.amdhsa_user_sgpr_queue_ptr 0
		.amdhsa_user_sgpr_kernarg_segment_ptr 1
		.amdhsa_user_sgpr_dispatch_id 0
		.amdhsa_user_sgpr_flat_scratch_init 0
		.amdhsa_user_sgpr_kernarg_preload_length 0
		.amdhsa_user_sgpr_kernarg_preload_offset 0
		.amdhsa_user_sgpr_private_segment_size 0
		.amdhsa_uses_dynamic_stack 0
		.amdhsa_system_sgpr_private_segment_wavefront_offset 0
		.amdhsa_system_sgpr_workgroup_id_x 1
		.amdhsa_system_sgpr_workgroup_id_y 0
		.amdhsa_system_sgpr_workgroup_id_z 0
		.amdhsa_system_sgpr_workgroup_info 0
		.amdhsa_system_vgpr_workitem_id 0
		.amdhsa_next_free_vgpr 1
		.amdhsa_next_free_sgpr 0
		.amdhsa_accum_offset 4
		.amdhsa_reserve_vcc 0
		.amdhsa_reserve_flat_scratch 0
		.amdhsa_float_round_mode_32 0
		.amdhsa_float_round_mode_16_64 0
		.amdhsa_float_denorm_mode_32 3
		.amdhsa_float_denorm_mode_16_64 3
		.amdhsa_dx10_clamp 1
		.amdhsa_ieee_mode 1
		.amdhsa_fp16_overflow 0
		.amdhsa_tg_split 0
		.amdhsa_exception_fp_ieee_invalid_op 0
		.amdhsa_exception_fp_denorm_src 0
		.amdhsa_exception_fp_ieee_div_zero 0
		.amdhsa_exception_fp_ieee_overflow 0
		.amdhsa_exception_fp_ieee_underflow 0
		.amdhsa_exception_fp_ieee_inexact 0
		.amdhsa_exception_int_div_zero 0
	.end_amdhsa_kernel
	.section	.text._ZN7rocprim17ROCPRIM_400000_NS6detail17trampoline_kernelINS0_14default_configENS1_20scan_config_selectorIsEEZZNS1_9scan_implILNS1_25lookback_scan_determinismE0ELb0ELb0ES3_N6thrust23THRUST_200600_302600_NS6detail15normal_iteratorINS9_10device_ptrIsEEEENS9_16discard_iteratorINS9_11use_defaultEEEs11max_functorIsEsEEDaPvRmT3_T4_T5_mT6_P12ihipStream_tbENKUlT_T0_E_clISt17integral_constantIbLb0EESW_IbLb1EEEEDaSS_ST_EUlSS_E_NS1_11comp_targetILNS1_3genE2ELNS1_11target_archE906ELNS1_3gpuE6ELNS1_3repE0EEENS1_30default_config_static_selectorELNS0_4arch9wavefront6targetE1EEEvT1_,"axG",@progbits,_ZN7rocprim17ROCPRIM_400000_NS6detail17trampoline_kernelINS0_14default_configENS1_20scan_config_selectorIsEEZZNS1_9scan_implILNS1_25lookback_scan_determinismE0ELb0ELb0ES3_N6thrust23THRUST_200600_302600_NS6detail15normal_iteratorINS9_10device_ptrIsEEEENS9_16discard_iteratorINS9_11use_defaultEEEs11max_functorIsEsEEDaPvRmT3_T4_T5_mT6_P12ihipStream_tbENKUlT_T0_E_clISt17integral_constantIbLb0EESW_IbLb1EEEEDaSS_ST_EUlSS_E_NS1_11comp_targetILNS1_3genE2ELNS1_11target_archE906ELNS1_3gpuE6ELNS1_3repE0EEENS1_30default_config_static_selectorELNS0_4arch9wavefront6targetE1EEEvT1_,comdat
.Lfunc_end4056:
	.size	_ZN7rocprim17ROCPRIM_400000_NS6detail17trampoline_kernelINS0_14default_configENS1_20scan_config_selectorIsEEZZNS1_9scan_implILNS1_25lookback_scan_determinismE0ELb0ELb0ES3_N6thrust23THRUST_200600_302600_NS6detail15normal_iteratorINS9_10device_ptrIsEEEENS9_16discard_iteratorINS9_11use_defaultEEEs11max_functorIsEsEEDaPvRmT3_T4_T5_mT6_P12ihipStream_tbENKUlT_T0_E_clISt17integral_constantIbLb0EESW_IbLb1EEEEDaSS_ST_EUlSS_E_NS1_11comp_targetILNS1_3genE2ELNS1_11target_archE906ELNS1_3gpuE6ELNS1_3repE0EEENS1_30default_config_static_selectorELNS0_4arch9wavefront6targetE1EEEvT1_, .Lfunc_end4056-_ZN7rocprim17ROCPRIM_400000_NS6detail17trampoline_kernelINS0_14default_configENS1_20scan_config_selectorIsEEZZNS1_9scan_implILNS1_25lookback_scan_determinismE0ELb0ELb0ES3_N6thrust23THRUST_200600_302600_NS6detail15normal_iteratorINS9_10device_ptrIsEEEENS9_16discard_iteratorINS9_11use_defaultEEEs11max_functorIsEsEEDaPvRmT3_T4_T5_mT6_P12ihipStream_tbENKUlT_T0_E_clISt17integral_constantIbLb0EESW_IbLb1EEEEDaSS_ST_EUlSS_E_NS1_11comp_targetILNS1_3genE2ELNS1_11target_archE906ELNS1_3gpuE6ELNS1_3repE0EEENS1_30default_config_static_selectorELNS0_4arch9wavefront6targetE1EEEvT1_
                                        ; -- End function
	.section	.AMDGPU.csdata,"",@progbits
; Kernel info:
; codeLenInByte = 0
; NumSgprs: 4
; NumVgprs: 0
; NumAgprs: 0
; TotalNumVgprs: 0
; ScratchSize: 0
; MemoryBound: 0
; FloatMode: 240
; IeeeMode: 1
; LDSByteSize: 0 bytes/workgroup (compile time only)
; SGPRBlocks: 0
; VGPRBlocks: 0
; NumSGPRsForWavesPerEU: 4
; NumVGPRsForWavesPerEU: 1
; AccumOffset: 4
; Occupancy: 8
; WaveLimiterHint : 0
; COMPUTE_PGM_RSRC2:SCRATCH_EN: 0
; COMPUTE_PGM_RSRC2:USER_SGPR: 6
; COMPUTE_PGM_RSRC2:TRAP_HANDLER: 0
; COMPUTE_PGM_RSRC2:TGID_X_EN: 1
; COMPUTE_PGM_RSRC2:TGID_Y_EN: 0
; COMPUTE_PGM_RSRC2:TGID_Z_EN: 0
; COMPUTE_PGM_RSRC2:TIDIG_COMP_CNT: 0
; COMPUTE_PGM_RSRC3_GFX90A:ACCUM_OFFSET: 0
; COMPUTE_PGM_RSRC3_GFX90A:TG_SPLIT: 0
	.section	.text._ZN7rocprim17ROCPRIM_400000_NS6detail17trampoline_kernelINS0_14default_configENS1_20scan_config_selectorIsEEZZNS1_9scan_implILNS1_25lookback_scan_determinismE0ELb0ELb0ES3_N6thrust23THRUST_200600_302600_NS6detail15normal_iteratorINS9_10device_ptrIsEEEENS9_16discard_iteratorINS9_11use_defaultEEEs11max_functorIsEsEEDaPvRmT3_T4_T5_mT6_P12ihipStream_tbENKUlT_T0_E_clISt17integral_constantIbLb0EESW_IbLb1EEEEDaSS_ST_EUlSS_E_NS1_11comp_targetILNS1_3genE10ELNS1_11target_archE1201ELNS1_3gpuE5ELNS1_3repE0EEENS1_30default_config_static_selectorELNS0_4arch9wavefront6targetE1EEEvT1_,"axG",@progbits,_ZN7rocprim17ROCPRIM_400000_NS6detail17trampoline_kernelINS0_14default_configENS1_20scan_config_selectorIsEEZZNS1_9scan_implILNS1_25lookback_scan_determinismE0ELb0ELb0ES3_N6thrust23THRUST_200600_302600_NS6detail15normal_iteratorINS9_10device_ptrIsEEEENS9_16discard_iteratorINS9_11use_defaultEEEs11max_functorIsEsEEDaPvRmT3_T4_T5_mT6_P12ihipStream_tbENKUlT_T0_E_clISt17integral_constantIbLb0EESW_IbLb1EEEEDaSS_ST_EUlSS_E_NS1_11comp_targetILNS1_3genE10ELNS1_11target_archE1201ELNS1_3gpuE5ELNS1_3repE0EEENS1_30default_config_static_selectorELNS0_4arch9wavefront6targetE1EEEvT1_,comdat
	.protected	_ZN7rocprim17ROCPRIM_400000_NS6detail17trampoline_kernelINS0_14default_configENS1_20scan_config_selectorIsEEZZNS1_9scan_implILNS1_25lookback_scan_determinismE0ELb0ELb0ES3_N6thrust23THRUST_200600_302600_NS6detail15normal_iteratorINS9_10device_ptrIsEEEENS9_16discard_iteratorINS9_11use_defaultEEEs11max_functorIsEsEEDaPvRmT3_T4_T5_mT6_P12ihipStream_tbENKUlT_T0_E_clISt17integral_constantIbLb0EESW_IbLb1EEEEDaSS_ST_EUlSS_E_NS1_11comp_targetILNS1_3genE10ELNS1_11target_archE1201ELNS1_3gpuE5ELNS1_3repE0EEENS1_30default_config_static_selectorELNS0_4arch9wavefront6targetE1EEEvT1_ ; -- Begin function _ZN7rocprim17ROCPRIM_400000_NS6detail17trampoline_kernelINS0_14default_configENS1_20scan_config_selectorIsEEZZNS1_9scan_implILNS1_25lookback_scan_determinismE0ELb0ELb0ES3_N6thrust23THRUST_200600_302600_NS6detail15normal_iteratorINS9_10device_ptrIsEEEENS9_16discard_iteratorINS9_11use_defaultEEEs11max_functorIsEsEEDaPvRmT3_T4_T5_mT6_P12ihipStream_tbENKUlT_T0_E_clISt17integral_constantIbLb0EESW_IbLb1EEEEDaSS_ST_EUlSS_E_NS1_11comp_targetILNS1_3genE10ELNS1_11target_archE1201ELNS1_3gpuE5ELNS1_3repE0EEENS1_30default_config_static_selectorELNS0_4arch9wavefront6targetE1EEEvT1_
	.globl	_ZN7rocprim17ROCPRIM_400000_NS6detail17trampoline_kernelINS0_14default_configENS1_20scan_config_selectorIsEEZZNS1_9scan_implILNS1_25lookback_scan_determinismE0ELb0ELb0ES3_N6thrust23THRUST_200600_302600_NS6detail15normal_iteratorINS9_10device_ptrIsEEEENS9_16discard_iteratorINS9_11use_defaultEEEs11max_functorIsEsEEDaPvRmT3_T4_T5_mT6_P12ihipStream_tbENKUlT_T0_E_clISt17integral_constantIbLb0EESW_IbLb1EEEEDaSS_ST_EUlSS_E_NS1_11comp_targetILNS1_3genE10ELNS1_11target_archE1201ELNS1_3gpuE5ELNS1_3repE0EEENS1_30default_config_static_selectorELNS0_4arch9wavefront6targetE1EEEvT1_
	.p2align	8
	.type	_ZN7rocprim17ROCPRIM_400000_NS6detail17trampoline_kernelINS0_14default_configENS1_20scan_config_selectorIsEEZZNS1_9scan_implILNS1_25lookback_scan_determinismE0ELb0ELb0ES3_N6thrust23THRUST_200600_302600_NS6detail15normal_iteratorINS9_10device_ptrIsEEEENS9_16discard_iteratorINS9_11use_defaultEEEs11max_functorIsEsEEDaPvRmT3_T4_T5_mT6_P12ihipStream_tbENKUlT_T0_E_clISt17integral_constantIbLb0EESW_IbLb1EEEEDaSS_ST_EUlSS_E_NS1_11comp_targetILNS1_3genE10ELNS1_11target_archE1201ELNS1_3gpuE5ELNS1_3repE0EEENS1_30default_config_static_selectorELNS0_4arch9wavefront6targetE1EEEvT1_,@function
_ZN7rocprim17ROCPRIM_400000_NS6detail17trampoline_kernelINS0_14default_configENS1_20scan_config_selectorIsEEZZNS1_9scan_implILNS1_25lookback_scan_determinismE0ELb0ELb0ES3_N6thrust23THRUST_200600_302600_NS6detail15normal_iteratorINS9_10device_ptrIsEEEENS9_16discard_iteratorINS9_11use_defaultEEEs11max_functorIsEsEEDaPvRmT3_T4_T5_mT6_P12ihipStream_tbENKUlT_T0_E_clISt17integral_constantIbLb0EESW_IbLb1EEEEDaSS_ST_EUlSS_E_NS1_11comp_targetILNS1_3genE10ELNS1_11target_archE1201ELNS1_3gpuE5ELNS1_3repE0EEENS1_30default_config_static_selectorELNS0_4arch9wavefront6targetE1EEEvT1_: ; @_ZN7rocprim17ROCPRIM_400000_NS6detail17trampoline_kernelINS0_14default_configENS1_20scan_config_selectorIsEEZZNS1_9scan_implILNS1_25lookback_scan_determinismE0ELb0ELb0ES3_N6thrust23THRUST_200600_302600_NS6detail15normal_iteratorINS9_10device_ptrIsEEEENS9_16discard_iteratorINS9_11use_defaultEEEs11max_functorIsEsEEDaPvRmT3_T4_T5_mT6_P12ihipStream_tbENKUlT_T0_E_clISt17integral_constantIbLb0EESW_IbLb1EEEEDaSS_ST_EUlSS_E_NS1_11comp_targetILNS1_3genE10ELNS1_11target_archE1201ELNS1_3gpuE5ELNS1_3repE0EEENS1_30default_config_static_selectorELNS0_4arch9wavefront6targetE1EEEvT1_
; %bb.0:
	.section	.rodata,"a",@progbits
	.p2align	6, 0x0
	.amdhsa_kernel _ZN7rocprim17ROCPRIM_400000_NS6detail17trampoline_kernelINS0_14default_configENS1_20scan_config_selectorIsEEZZNS1_9scan_implILNS1_25lookback_scan_determinismE0ELb0ELb0ES3_N6thrust23THRUST_200600_302600_NS6detail15normal_iteratorINS9_10device_ptrIsEEEENS9_16discard_iteratorINS9_11use_defaultEEEs11max_functorIsEsEEDaPvRmT3_T4_T5_mT6_P12ihipStream_tbENKUlT_T0_E_clISt17integral_constantIbLb0EESW_IbLb1EEEEDaSS_ST_EUlSS_E_NS1_11comp_targetILNS1_3genE10ELNS1_11target_archE1201ELNS1_3gpuE5ELNS1_3repE0EEENS1_30default_config_static_selectorELNS0_4arch9wavefront6targetE1EEEvT1_
		.amdhsa_group_segment_fixed_size 0
		.amdhsa_private_segment_fixed_size 0
		.amdhsa_kernarg_size 104
		.amdhsa_user_sgpr_count 6
		.amdhsa_user_sgpr_private_segment_buffer 1
		.amdhsa_user_sgpr_dispatch_ptr 0
		.amdhsa_user_sgpr_queue_ptr 0
		.amdhsa_user_sgpr_kernarg_segment_ptr 1
		.amdhsa_user_sgpr_dispatch_id 0
		.amdhsa_user_sgpr_flat_scratch_init 0
		.amdhsa_user_sgpr_kernarg_preload_length 0
		.amdhsa_user_sgpr_kernarg_preload_offset 0
		.amdhsa_user_sgpr_private_segment_size 0
		.amdhsa_uses_dynamic_stack 0
		.amdhsa_system_sgpr_private_segment_wavefront_offset 0
		.amdhsa_system_sgpr_workgroup_id_x 1
		.amdhsa_system_sgpr_workgroup_id_y 0
		.amdhsa_system_sgpr_workgroup_id_z 0
		.amdhsa_system_sgpr_workgroup_info 0
		.amdhsa_system_vgpr_workitem_id 0
		.amdhsa_next_free_vgpr 1
		.amdhsa_next_free_sgpr 0
		.amdhsa_accum_offset 4
		.amdhsa_reserve_vcc 0
		.amdhsa_reserve_flat_scratch 0
		.amdhsa_float_round_mode_32 0
		.amdhsa_float_round_mode_16_64 0
		.amdhsa_float_denorm_mode_32 3
		.amdhsa_float_denorm_mode_16_64 3
		.amdhsa_dx10_clamp 1
		.amdhsa_ieee_mode 1
		.amdhsa_fp16_overflow 0
		.amdhsa_tg_split 0
		.amdhsa_exception_fp_ieee_invalid_op 0
		.amdhsa_exception_fp_denorm_src 0
		.amdhsa_exception_fp_ieee_div_zero 0
		.amdhsa_exception_fp_ieee_overflow 0
		.amdhsa_exception_fp_ieee_underflow 0
		.amdhsa_exception_fp_ieee_inexact 0
		.amdhsa_exception_int_div_zero 0
	.end_amdhsa_kernel
	.section	.text._ZN7rocprim17ROCPRIM_400000_NS6detail17trampoline_kernelINS0_14default_configENS1_20scan_config_selectorIsEEZZNS1_9scan_implILNS1_25lookback_scan_determinismE0ELb0ELb0ES3_N6thrust23THRUST_200600_302600_NS6detail15normal_iteratorINS9_10device_ptrIsEEEENS9_16discard_iteratorINS9_11use_defaultEEEs11max_functorIsEsEEDaPvRmT3_T4_T5_mT6_P12ihipStream_tbENKUlT_T0_E_clISt17integral_constantIbLb0EESW_IbLb1EEEEDaSS_ST_EUlSS_E_NS1_11comp_targetILNS1_3genE10ELNS1_11target_archE1201ELNS1_3gpuE5ELNS1_3repE0EEENS1_30default_config_static_selectorELNS0_4arch9wavefront6targetE1EEEvT1_,"axG",@progbits,_ZN7rocprim17ROCPRIM_400000_NS6detail17trampoline_kernelINS0_14default_configENS1_20scan_config_selectorIsEEZZNS1_9scan_implILNS1_25lookback_scan_determinismE0ELb0ELb0ES3_N6thrust23THRUST_200600_302600_NS6detail15normal_iteratorINS9_10device_ptrIsEEEENS9_16discard_iteratorINS9_11use_defaultEEEs11max_functorIsEsEEDaPvRmT3_T4_T5_mT6_P12ihipStream_tbENKUlT_T0_E_clISt17integral_constantIbLb0EESW_IbLb1EEEEDaSS_ST_EUlSS_E_NS1_11comp_targetILNS1_3genE10ELNS1_11target_archE1201ELNS1_3gpuE5ELNS1_3repE0EEENS1_30default_config_static_selectorELNS0_4arch9wavefront6targetE1EEEvT1_,comdat
.Lfunc_end4057:
	.size	_ZN7rocprim17ROCPRIM_400000_NS6detail17trampoline_kernelINS0_14default_configENS1_20scan_config_selectorIsEEZZNS1_9scan_implILNS1_25lookback_scan_determinismE0ELb0ELb0ES3_N6thrust23THRUST_200600_302600_NS6detail15normal_iteratorINS9_10device_ptrIsEEEENS9_16discard_iteratorINS9_11use_defaultEEEs11max_functorIsEsEEDaPvRmT3_T4_T5_mT6_P12ihipStream_tbENKUlT_T0_E_clISt17integral_constantIbLb0EESW_IbLb1EEEEDaSS_ST_EUlSS_E_NS1_11comp_targetILNS1_3genE10ELNS1_11target_archE1201ELNS1_3gpuE5ELNS1_3repE0EEENS1_30default_config_static_selectorELNS0_4arch9wavefront6targetE1EEEvT1_, .Lfunc_end4057-_ZN7rocprim17ROCPRIM_400000_NS6detail17trampoline_kernelINS0_14default_configENS1_20scan_config_selectorIsEEZZNS1_9scan_implILNS1_25lookback_scan_determinismE0ELb0ELb0ES3_N6thrust23THRUST_200600_302600_NS6detail15normal_iteratorINS9_10device_ptrIsEEEENS9_16discard_iteratorINS9_11use_defaultEEEs11max_functorIsEsEEDaPvRmT3_T4_T5_mT6_P12ihipStream_tbENKUlT_T0_E_clISt17integral_constantIbLb0EESW_IbLb1EEEEDaSS_ST_EUlSS_E_NS1_11comp_targetILNS1_3genE10ELNS1_11target_archE1201ELNS1_3gpuE5ELNS1_3repE0EEENS1_30default_config_static_selectorELNS0_4arch9wavefront6targetE1EEEvT1_
                                        ; -- End function
	.section	.AMDGPU.csdata,"",@progbits
; Kernel info:
; codeLenInByte = 0
; NumSgprs: 4
; NumVgprs: 0
; NumAgprs: 0
; TotalNumVgprs: 0
; ScratchSize: 0
; MemoryBound: 0
; FloatMode: 240
; IeeeMode: 1
; LDSByteSize: 0 bytes/workgroup (compile time only)
; SGPRBlocks: 0
; VGPRBlocks: 0
; NumSGPRsForWavesPerEU: 4
; NumVGPRsForWavesPerEU: 1
; AccumOffset: 4
; Occupancy: 8
; WaveLimiterHint : 0
; COMPUTE_PGM_RSRC2:SCRATCH_EN: 0
; COMPUTE_PGM_RSRC2:USER_SGPR: 6
; COMPUTE_PGM_RSRC2:TRAP_HANDLER: 0
; COMPUTE_PGM_RSRC2:TGID_X_EN: 1
; COMPUTE_PGM_RSRC2:TGID_Y_EN: 0
; COMPUTE_PGM_RSRC2:TGID_Z_EN: 0
; COMPUTE_PGM_RSRC2:TIDIG_COMP_CNT: 0
; COMPUTE_PGM_RSRC3_GFX90A:ACCUM_OFFSET: 0
; COMPUTE_PGM_RSRC3_GFX90A:TG_SPLIT: 0
	.section	.text._ZN7rocprim17ROCPRIM_400000_NS6detail17trampoline_kernelINS0_14default_configENS1_20scan_config_selectorIsEEZZNS1_9scan_implILNS1_25lookback_scan_determinismE0ELb0ELb0ES3_N6thrust23THRUST_200600_302600_NS6detail15normal_iteratorINS9_10device_ptrIsEEEENS9_16discard_iteratorINS9_11use_defaultEEEs11max_functorIsEsEEDaPvRmT3_T4_T5_mT6_P12ihipStream_tbENKUlT_T0_E_clISt17integral_constantIbLb0EESW_IbLb1EEEEDaSS_ST_EUlSS_E_NS1_11comp_targetILNS1_3genE10ELNS1_11target_archE1200ELNS1_3gpuE4ELNS1_3repE0EEENS1_30default_config_static_selectorELNS0_4arch9wavefront6targetE1EEEvT1_,"axG",@progbits,_ZN7rocprim17ROCPRIM_400000_NS6detail17trampoline_kernelINS0_14default_configENS1_20scan_config_selectorIsEEZZNS1_9scan_implILNS1_25lookback_scan_determinismE0ELb0ELb0ES3_N6thrust23THRUST_200600_302600_NS6detail15normal_iteratorINS9_10device_ptrIsEEEENS9_16discard_iteratorINS9_11use_defaultEEEs11max_functorIsEsEEDaPvRmT3_T4_T5_mT6_P12ihipStream_tbENKUlT_T0_E_clISt17integral_constantIbLb0EESW_IbLb1EEEEDaSS_ST_EUlSS_E_NS1_11comp_targetILNS1_3genE10ELNS1_11target_archE1200ELNS1_3gpuE4ELNS1_3repE0EEENS1_30default_config_static_selectorELNS0_4arch9wavefront6targetE1EEEvT1_,comdat
	.protected	_ZN7rocprim17ROCPRIM_400000_NS6detail17trampoline_kernelINS0_14default_configENS1_20scan_config_selectorIsEEZZNS1_9scan_implILNS1_25lookback_scan_determinismE0ELb0ELb0ES3_N6thrust23THRUST_200600_302600_NS6detail15normal_iteratorINS9_10device_ptrIsEEEENS9_16discard_iteratorINS9_11use_defaultEEEs11max_functorIsEsEEDaPvRmT3_T4_T5_mT6_P12ihipStream_tbENKUlT_T0_E_clISt17integral_constantIbLb0EESW_IbLb1EEEEDaSS_ST_EUlSS_E_NS1_11comp_targetILNS1_3genE10ELNS1_11target_archE1200ELNS1_3gpuE4ELNS1_3repE0EEENS1_30default_config_static_selectorELNS0_4arch9wavefront6targetE1EEEvT1_ ; -- Begin function _ZN7rocprim17ROCPRIM_400000_NS6detail17trampoline_kernelINS0_14default_configENS1_20scan_config_selectorIsEEZZNS1_9scan_implILNS1_25lookback_scan_determinismE0ELb0ELb0ES3_N6thrust23THRUST_200600_302600_NS6detail15normal_iteratorINS9_10device_ptrIsEEEENS9_16discard_iteratorINS9_11use_defaultEEEs11max_functorIsEsEEDaPvRmT3_T4_T5_mT6_P12ihipStream_tbENKUlT_T0_E_clISt17integral_constantIbLb0EESW_IbLb1EEEEDaSS_ST_EUlSS_E_NS1_11comp_targetILNS1_3genE10ELNS1_11target_archE1200ELNS1_3gpuE4ELNS1_3repE0EEENS1_30default_config_static_selectorELNS0_4arch9wavefront6targetE1EEEvT1_
	.globl	_ZN7rocprim17ROCPRIM_400000_NS6detail17trampoline_kernelINS0_14default_configENS1_20scan_config_selectorIsEEZZNS1_9scan_implILNS1_25lookback_scan_determinismE0ELb0ELb0ES3_N6thrust23THRUST_200600_302600_NS6detail15normal_iteratorINS9_10device_ptrIsEEEENS9_16discard_iteratorINS9_11use_defaultEEEs11max_functorIsEsEEDaPvRmT3_T4_T5_mT6_P12ihipStream_tbENKUlT_T0_E_clISt17integral_constantIbLb0EESW_IbLb1EEEEDaSS_ST_EUlSS_E_NS1_11comp_targetILNS1_3genE10ELNS1_11target_archE1200ELNS1_3gpuE4ELNS1_3repE0EEENS1_30default_config_static_selectorELNS0_4arch9wavefront6targetE1EEEvT1_
	.p2align	8
	.type	_ZN7rocprim17ROCPRIM_400000_NS6detail17trampoline_kernelINS0_14default_configENS1_20scan_config_selectorIsEEZZNS1_9scan_implILNS1_25lookback_scan_determinismE0ELb0ELb0ES3_N6thrust23THRUST_200600_302600_NS6detail15normal_iteratorINS9_10device_ptrIsEEEENS9_16discard_iteratorINS9_11use_defaultEEEs11max_functorIsEsEEDaPvRmT3_T4_T5_mT6_P12ihipStream_tbENKUlT_T0_E_clISt17integral_constantIbLb0EESW_IbLb1EEEEDaSS_ST_EUlSS_E_NS1_11comp_targetILNS1_3genE10ELNS1_11target_archE1200ELNS1_3gpuE4ELNS1_3repE0EEENS1_30default_config_static_selectorELNS0_4arch9wavefront6targetE1EEEvT1_,@function
_ZN7rocprim17ROCPRIM_400000_NS6detail17trampoline_kernelINS0_14default_configENS1_20scan_config_selectorIsEEZZNS1_9scan_implILNS1_25lookback_scan_determinismE0ELb0ELb0ES3_N6thrust23THRUST_200600_302600_NS6detail15normal_iteratorINS9_10device_ptrIsEEEENS9_16discard_iteratorINS9_11use_defaultEEEs11max_functorIsEsEEDaPvRmT3_T4_T5_mT6_P12ihipStream_tbENKUlT_T0_E_clISt17integral_constantIbLb0EESW_IbLb1EEEEDaSS_ST_EUlSS_E_NS1_11comp_targetILNS1_3genE10ELNS1_11target_archE1200ELNS1_3gpuE4ELNS1_3repE0EEENS1_30default_config_static_selectorELNS0_4arch9wavefront6targetE1EEEvT1_: ; @_ZN7rocprim17ROCPRIM_400000_NS6detail17trampoline_kernelINS0_14default_configENS1_20scan_config_selectorIsEEZZNS1_9scan_implILNS1_25lookback_scan_determinismE0ELb0ELb0ES3_N6thrust23THRUST_200600_302600_NS6detail15normal_iteratorINS9_10device_ptrIsEEEENS9_16discard_iteratorINS9_11use_defaultEEEs11max_functorIsEsEEDaPvRmT3_T4_T5_mT6_P12ihipStream_tbENKUlT_T0_E_clISt17integral_constantIbLb0EESW_IbLb1EEEEDaSS_ST_EUlSS_E_NS1_11comp_targetILNS1_3genE10ELNS1_11target_archE1200ELNS1_3gpuE4ELNS1_3repE0EEENS1_30default_config_static_selectorELNS0_4arch9wavefront6targetE1EEEvT1_
; %bb.0:
	.section	.rodata,"a",@progbits
	.p2align	6, 0x0
	.amdhsa_kernel _ZN7rocprim17ROCPRIM_400000_NS6detail17trampoline_kernelINS0_14default_configENS1_20scan_config_selectorIsEEZZNS1_9scan_implILNS1_25lookback_scan_determinismE0ELb0ELb0ES3_N6thrust23THRUST_200600_302600_NS6detail15normal_iteratorINS9_10device_ptrIsEEEENS9_16discard_iteratorINS9_11use_defaultEEEs11max_functorIsEsEEDaPvRmT3_T4_T5_mT6_P12ihipStream_tbENKUlT_T0_E_clISt17integral_constantIbLb0EESW_IbLb1EEEEDaSS_ST_EUlSS_E_NS1_11comp_targetILNS1_3genE10ELNS1_11target_archE1200ELNS1_3gpuE4ELNS1_3repE0EEENS1_30default_config_static_selectorELNS0_4arch9wavefront6targetE1EEEvT1_
		.amdhsa_group_segment_fixed_size 0
		.amdhsa_private_segment_fixed_size 0
		.amdhsa_kernarg_size 104
		.amdhsa_user_sgpr_count 6
		.amdhsa_user_sgpr_private_segment_buffer 1
		.amdhsa_user_sgpr_dispatch_ptr 0
		.amdhsa_user_sgpr_queue_ptr 0
		.amdhsa_user_sgpr_kernarg_segment_ptr 1
		.amdhsa_user_sgpr_dispatch_id 0
		.amdhsa_user_sgpr_flat_scratch_init 0
		.amdhsa_user_sgpr_kernarg_preload_length 0
		.amdhsa_user_sgpr_kernarg_preload_offset 0
		.amdhsa_user_sgpr_private_segment_size 0
		.amdhsa_uses_dynamic_stack 0
		.amdhsa_system_sgpr_private_segment_wavefront_offset 0
		.amdhsa_system_sgpr_workgroup_id_x 1
		.amdhsa_system_sgpr_workgroup_id_y 0
		.amdhsa_system_sgpr_workgroup_id_z 0
		.amdhsa_system_sgpr_workgroup_info 0
		.amdhsa_system_vgpr_workitem_id 0
		.amdhsa_next_free_vgpr 1
		.amdhsa_next_free_sgpr 0
		.amdhsa_accum_offset 4
		.amdhsa_reserve_vcc 0
		.amdhsa_reserve_flat_scratch 0
		.amdhsa_float_round_mode_32 0
		.amdhsa_float_round_mode_16_64 0
		.amdhsa_float_denorm_mode_32 3
		.amdhsa_float_denorm_mode_16_64 3
		.amdhsa_dx10_clamp 1
		.amdhsa_ieee_mode 1
		.amdhsa_fp16_overflow 0
		.amdhsa_tg_split 0
		.amdhsa_exception_fp_ieee_invalid_op 0
		.amdhsa_exception_fp_denorm_src 0
		.amdhsa_exception_fp_ieee_div_zero 0
		.amdhsa_exception_fp_ieee_overflow 0
		.amdhsa_exception_fp_ieee_underflow 0
		.amdhsa_exception_fp_ieee_inexact 0
		.amdhsa_exception_int_div_zero 0
	.end_amdhsa_kernel
	.section	.text._ZN7rocprim17ROCPRIM_400000_NS6detail17trampoline_kernelINS0_14default_configENS1_20scan_config_selectorIsEEZZNS1_9scan_implILNS1_25lookback_scan_determinismE0ELb0ELb0ES3_N6thrust23THRUST_200600_302600_NS6detail15normal_iteratorINS9_10device_ptrIsEEEENS9_16discard_iteratorINS9_11use_defaultEEEs11max_functorIsEsEEDaPvRmT3_T4_T5_mT6_P12ihipStream_tbENKUlT_T0_E_clISt17integral_constantIbLb0EESW_IbLb1EEEEDaSS_ST_EUlSS_E_NS1_11comp_targetILNS1_3genE10ELNS1_11target_archE1200ELNS1_3gpuE4ELNS1_3repE0EEENS1_30default_config_static_selectorELNS0_4arch9wavefront6targetE1EEEvT1_,"axG",@progbits,_ZN7rocprim17ROCPRIM_400000_NS6detail17trampoline_kernelINS0_14default_configENS1_20scan_config_selectorIsEEZZNS1_9scan_implILNS1_25lookback_scan_determinismE0ELb0ELb0ES3_N6thrust23THRUST_200600_302600_NS6detail15normal_iteratorINS9_10device_ptrIsEEEENS9_16discard_iteratorINS9_11use_defaultEEEs11max_functorIsEsEEDaPvRmT3_T4_T5_mT6_P12ihipStream_tbENKUlT_T0_E_clISt17integral_constantIbLb0EESW_IbLb1EEEEDaSS_ST_EUlSS_E_NS1_11comp_targetILNS1_3genE10ELNS1_11target_archE1200ELNS1_3gpuE4ELNS1_3repE0EEENS1_30default_config_static_selectorELNS0_4arch9wavefront6targetE1EEEvT1_,comdat
.Lfunc_end4058:
	.size	_ZN7rocprim17ROCPRIM_400000_NS6detail17trampoline_kernelINS0_14default_configENS1_20scan_config_selectorIsEEZZNS1_9scan_implILNS1_25lookback_scan_determinismE0ELb0ELb0ES3_N6thrust23THRUST_200600_302600_NS6detail15normal_iteratorINS9_10device_ptrIsEEEENS9_16discard_iteratorINS9_11use_defaultEEEs11max_functorIsEsEEDaPvRmT3_T4_T5_mT6_P12ihipStream_tbENKUlT_T0_E_clISt17integral_constantIbLb0EESW_IbLb1EEEEDaSS_ST_EUlSS_E_NS1_11comp_targetILNS1_3genE10ELNS1_11target_archE1200ELNS1_3gpuE4ELNS1_3repE0EEENS1_30default_config_static_selectorELNS0_4arch9wavefront6targetE1EEEvT1_, .Lfunc_end4058-_ZN7rocprim17ROCPRIM_400000_NS6detail17trampoline_kernelINS0_14default_configENS1_20scan_config_selectorIsEEZZNS1_9scan_implILNS1_25lookback_scan_determinismE0ELb0ELb0ES3_N6thrust23THRUST_200600_302600_NS6detail15normal_iteratorINS9_10device_ptrIsEEEENS9_16discard_iteratorINS9_11use_defaultEEEs11max_functorIsEsEEDaPvRmT3_T4_T5_mT6_P12ihipStream_tbENKUlT_T0_E_clISt17integral_constantIbLb0EESW_IbLb1EEEEDaSS_ST_EUlSS_E_NS1_11comp_targetILNS1_3genE10ELNS1_11target_archE1200ELNS1_3gpuE4ELNS1_3repE0EEENS1_30default_config_static_selectorELNS0_4arch9wavefront6targetE1EEEvT1_
                                        ; -- End function
	.section	.AMDGPU.csdata,"",@progbits
; Kernel info:
; codeLenInByte = 0
; NumSgprs: 4
; NumVgprs: 0
; NumAgprs: 0
; TotalNumVgprs: 0
; ScratchSize: 0
; MemoryBound: 0
; FloatMode: 240
; IeeeMode: 1
; LDSByteSize: 0 bytes/workgroup (compile time only)
; SGPRBlocks: 0
; VGPRBlocks: 0
; NumSGPRsForWavesPerEU: 4
; NumVGPRsForWavesPerEU: 1
; AccumOffset: 4
; Occupancy: 8
; WaveLimiterHint : 0
; COMPUTE_PGM_RSRC2:SCRATCH_EN: 0
; COMPUTE_PGM_RSRC2:USER_SGPR: 6
; COMPUTE_PGM_RSRC2:TRAP_HANDLER: 0
; COMPUTE_PGM_RSRC2:TGID_X_EN: 1
; COMPUTE_PGM_RSRC2:TGID_Y_EN: 0
; COMPUTE_PGM_RSRC2:TGID_Z_EN: 0
; COMPUTE_PGM_RSRC2:TIDIG_COMP_CNT: 0
; COMPUTE_PGM_RSRC3_GFX90A:ACCUM_OFFSET: 0
; COMPUTE_PGM_RSRC3_GFX90A:TG_SPLIT: 0
	.section	.text._ZN7rocprim17ROCPRIM_400000_NS6detail17trampoline_kernelINS0_14default_configENS1_20scan_config_selectorIsEEZZNS1_9scan_implILNS1_25lookback_scan_determinismE0ELb0ELb0ES3_N6thrust23THRUST_200600_302600_NS6detail15normal_iteratorINS9_10device_ptrIsEEEENS9_16discard_iteratorINS9_11use_defaultEEEs11max_functorIsEsEEDaPvRmT3_T4_T5_mT6_P12ihipStream_tbENKUlT_T0_E_clISt17integral_constantIbLb0EESW_IbLb1EEEEDaSS_ST_EUlSS_E_NS1_11comp_targetILNS1_3genE9ELNS1_11target_archE1100ELNS1_3gpuE3ELNS1_3repE0EEENS1_30default_config_static_selectorELNS0_4arch9wavefront6targetE1EEEvT1_,"axG",@progbits,_ZN7rocprim17ROCPRIM_400000_NS6detail17trampoline_kernelINS0_14default_configENS1_20scan_config_selectorIsEEZZNS1_9scan_implILNS1_25lookback_scan_determinismE0ELb0ELb0ES3_N6thrust23THRUST_200600_302600_NS6detail15normal_iteratorINS9_10device_ptrIsEEEENS9_16discard_iteratorINS9_11use_defaultEEEs11max_functorIsEsEEDaPvRmT3_T4_T5_mT6_P12ihipStream_tbENKUlT_T0_E_clISt17integral_constantIbLb0EESW_IbLb1EEEEDaSS_ST_EUlSS_E_NS1_11comp_targetILNS1_3genE9ELNS1_11target_archE1100ELNS1_3gpuE3ELNS1_3repE0EEENS1_30default_config_static_selectorELNS0_4arch9wavefront6targetE1EEEvT1_,comdat
	.protected	_ZN7rocprim17ROCPRIM_400000_NS6detail17trampoline_kernelINS0_14default_configENS1_20scan_config_selectorIsEEZZNS1_9scan_implILNS1_25lookback_scan_determinismE0ELb0ELb0ES3_N6thrust23THRUST_200600_302600_NS6detail15normal_iteratorINS9_10device_ptrIsEEEENS9_16discard_iteratorINS9_11use_defaultEEEs11max_functorIsEsEEDaPvRmT3_T4_T5_mT6_P12ihipStream_tbENKUlT_T0_E_clISt17integral_constantIbLb0EESW_IbLb1EEEEDaSS_ST_EUlSS_E_NS1_11comp_targetILNS1_3genE9ELNS1_11target_archE1100ELNS1_3gpuE3ELNS1_3repE0EEENS1_30default_config_static_selectorELNS0_4arch9wavefront6targetE1EEEvT1_ ; -- Begin function _ZN7rocprim17ROCPRIM_400000_NS6detail17trampoline_kernelINS0_14default_configENS1_20scan_config_selectorIsEEZZNS1_9scan_implILNS1_25lookback_scan_determinismE0ELb0ELb0ES3_N6thrust23THRUST_200600_302600_NS6detail15normal_iteratorINS9_10device_ptrIsEEEENS9_16discard_iteratorINS9_11use_defaultEEEs11max_functorIsEsEEDaPvRmT3_T4_T5_mT6_P12ihipStream_tbENKUlT_T0_E_clISt17integral_constantIbLb0EESW_IbLb1EEEEDaSS_ST_EUlSS_E_NS1_11comp_targetILNS1_3genE9ELNS1_11target_archE1100ELNS1_3gpuE3ELNS1_3repE0EEENS1_30default_config_static_selectorELNS0_4arch9wavefront6targetE1EEEvT1_
	.globl	_ZN7rocprim17ROCPRIM_400000_NS6detail17trampoline_kernelINS0_14default_configENS1_20scan_config_selectorIsEEZZNS1_9scan_implILNS1_25lookback_scan_determinismE0ELb0ELb0ES3_N6thrust23THRUST_200600_302600_NS6detail15normal_iteratorINS9_10device_ptrIsEEEENS9_16discard_iteratorINS9_11use_defaultEEEs11max_functorIsEsEEDaPvRmT3_T4_T5_mT6_P12ihipStream_tbENKUlT_T0_E_clISt17integral_constantIbLb0EESW_IbLb1EEEEDaSS_ST_EUlSS_E_NS1_11comp_targetILNS1_3genE9ELNS1_11target_archE1100ELNS1_3gpuE3ELNS1_3repE0EEENS1_30default_config_static_selectorELNS0_4arch9wavefront6targetE1EEEvT1_
	.p2align	8
	.type	_ZN7rocprim17ROCPRIM_400000_NS6detail17trampoline_kernelINS0_14default_configENS1_20scan_config_selectorIsEEZZNS1_9scan_implILNS1_25lookback_scan_determinismE0ELb0ELb0ES3_N6thrust23THRUST_200600_302600_NS6detail15normal_iteratorINS9_10device_ptrIsEEEENS9_16discard_iteratorINS9_11use_defaultEEEs11max_functorIsEsEEDaPvRmT3_T4_T5_mT6_P12ihipStream_tbENKUlT_T0_E_clISt17integral_constantIbLb0EESW_IbLb1EEEEDaSS_ST_EUlSS_E_NS1_11comp_targetILNS1_3genE9ELNS1_11target_archE1100ELNS1_3gpuE3ELNS1_3repE0EEENS1_30default_config_static_selectorELNS0_4arch9wavefront6targetE1EEEvT1_,@function
_ZN7rocprim17ROCPRIM_400000_NS6detail17trampoline_kernelINS0_14default_configENS1_20scan_config_selectorIsEEZZNS1_9scan_implILNS1_25lookback_scan_determinismE0ELb0ELb0ES3_N6thrust23THRUST_200600_302600_NS6detail15normal_iteratorINS9_10device_ptrIsEEEENS9_16discard_iteratorINS9_11use_defaultEEEs11max_functorIsEsEEDaPvRmT3_T4_T5_mT6_P12ihipStream_tbENKUlT_T0_E_clISt17integral_constantIbLb0EESW_IbLb1EEEEDaSS_ST_EUlSS_E_NS1_11comp_targetILNS1_3genE9ELNS1_11target_archE1100ELNS1_3gpuE3ELNS1_3repE0EEENS1_30default_config_static_selectorELNS0_4arch9wavefront6targetE1EEEvT1_: ; @_ZN7rocprim17ROCPRIM_400000_NS6detail17trampoline_kernelINS0_14default_configENS1_20scan_config_selectorIsEEZZNS1_9scan_implILNS1_25lookback_scan_determinismE0ELb0ELb0ES3_N6thrust23THRUST_200600_302600_NS6detail15normal_iteratorINS9_10device_ptrIsEEEENS9_16discard_iteratorINS9_11use_defaultEEEs11max_functorIsEsEEDaPvRmT3_T4_T5_mT6_P12ihipStream_tbENKUlT_T0_E_clISt17integral_constantIbLb0EESW_IbLb1EEEEDaSS_ST_EUlSS_E_NS1_11comp_targetILNS1_3genE9ELNS1_11target_archE1100ELNS1_3gpuE3ELNS1_3repE0EEENS1_30default_config_static_selectorELNS0_4arch9wavefront6targetE1EEEvT1_
; %bb.0:
	.section	.rodata,"a",@progbits
	.p2align	6, 0x0
	.amdhsa_kernel _ZN7rocprim17ROCPRIM_400000_NS6detail17trampoline_kernelINS0_14default_configENS1_20scan_config_selectorIsEEZZNS1_9scan_implILNS1_25lookback_scan_determinismE0ELb0ELb0ES3_N6thrust23THRUST_200600_302600_NS6detail15normal_iteratorINS9_10device_ptrIsEEEENS9_16discard_iteratorINS9_11use_defaultEEEs11max_functorIsEsEEDaPvRmT3_T4_T5_mT6_P12ihipStream_tbENKUlT_T0_E_clISt17integral_constantIbLb0EESW_IbLb1EEEEDaSS_ST_EUlSS_E_NS1_11comp_targetILNS1_3genE9ELNS1_11target_archE1100ELNS1_3gpuE3ELNS1_3repE0EEENS1_30default_config_static_selectorELNS0_4arch9wavefront6targetE1EEEvT1_
		.amdhsa_group_segment_fixed_size 0
		.amdhsa_private_segment_fixed_size 0
		.amdhsa_kernarg_size 104
		.amdhsa_user_sgpr_count 6
		.amdhsa_user_sgpr_private_segment_buffer 1
		.amdhsa_user_sgpr_dispatch_ptr 0
		.amdhsa_user_sgpr_queue_ptr 0
		.amdhsa_user_sgpr_kernarg_segment_ptr 1
		.amdhsa_user_sgpr_dispatch_id 0
		.amdhsa_user_sgpr_flat_scratch_init 0
		.amdhsa_user_sgpr_kernarg_preload_length 0
		.amdhsa_user_sgpr_kernarg_preload_offset 0
		.amdhsa_user_sgpr_private_segment_size 0
		.amdhsa_uses_dynamic_stack 0
		.amdhsa_system_sgpr_private_segment_wavefront_offset 0
		.amdhsa_system_sgpr_workgroup_id_x 1
		.amdhsa_system_sgpr_workgroup_id_y 0
		.amdhsa_system_sgpr_workgroup_id_z 0
		.amdhsa_system_sgpr_workgroup_info 0
		.amdhsa_system_vgpr_workitem_id 0
		.amdhsa_next_free_vgpr 1
		.amdhsa_next_free_sgpr 0
		.amdhsa_accum_offset 4
		.amdhsa_reserve_vcc 0
		.amdhsa_reserve_flat_scratch 0
		.amdhsa_float_round_mode_32 0
		.amdhsa_float_round_mode_16_64 0
		.amdhsa_float_denorm_mode_32 3
		.amdhsa_float_denorm_mode_16_64 3
		.amdhsa_dx10_clamp 1
		.amdhsa_ieee_mode 1
		.amdhsa_fp16_overflow 0
		.amdhsa_tg_split 0
		.amdhsa_exception_fp_ieee_invalid_op 0
		.amdhsa_exception_fp_denorm_src 0
		.amdhsa_exception_fp_ieee_div_zero 0
		.amdhsa_exception_fp_ieee_overflow 0
		.amdhsa_exception_fp_ieee_underflow 0
		.amdhsa_exception_fp_ieee_inexact 0
		.amdhsa_exception_int_div_zero 0
	.end_amdhsa_kernel
	.section	.text._ZN7rocprim17ROCPRIM_400000_NS6detail17trampoline_kernelINS0_14default_configENS1_20scan_config_selectorIsEEZZNS1_9scan_implILNS1_25lookback_scan_determinismE0ELb0ELb0ES3_N6thrust23THRUST_200600_302600_NS6detail15normal_iteratorINS9_10device_ptrIsEEEENS9_16discard_iteratorINS9_11use_defaultEEEs11max_functorIsEsEEDaPvRmT3_T4_T5_mT6_P12ihipStream_tbENKUlT_T0_E_clISt17integral_constantIbLb0EESW_IbLb1EEEEDaSS_ST_EUlSS_E_NS1_11comp_targetILNS1_3genE9ELNS1_11target_archE1100ELNS1_3gpuE3ELNS1_3repE0EEENS1_30default_config_static_selectorELNS0_4arch9wavefront6targetE1EEEvT1_,"axG",@progbits,_ZN7rocprim17ROCPRIM_400000_NS6detail17trampoline_kernelINS0_14default_configENS1_20scan_config_selectorIsEEZZNS1_9scan_implILNS1_25lookback_scan_determinismE0ELb0ELb0ES3_N6thrust23THRUST_200600_302600_NS6detail15normal_iteratorINS9_10device_ptrIsEEEENS9_16discard_iteratorINS9_11use_defaultEEEs11max_functorIsEsEEDaPvRmT3_T4_T5_mT6_P12ihipStream_tbENKUlT_T0_E_clISt17integral_constantIbLb0EESW_IbLb1EEEEDaSS_ST_EUlSS_E_NS1_11comp_targetILNS1_3genE9ELNS1_11target_archE1100ELNS1_3gpuE3ELNS1_3repE0EEENS1_30default_config_static_selectorELNS0_4arch9wavefront6targetE1EEEvT1_,comdat
.Lfunc_end4059:
	.size	_ZN7rocprim17ROCPRIM_400000_NS6detail17trampoline_kernelINS0_14default_configENS1_20scan_config_selectorIsEEZZNS1_9scan_implILNS1_25lookback_scan_determinismE0ELb0ELb0ES3_N6thrust23THRUST_200600_302600_NS6detail15normal_iteratorINS9_10device_ptrIsEEEENS9_16discard_iteratorINS9_11use_defaultEEEs11max_functorIsEsEEDaPvRmT3_T4_T5_mT6_P12ihipStream_tbENKUlT_T0_E_clISt17integral_constantIbLb0EESW_IbLb1EEEEDaSS_ST_EUlSS_E_NS1_11comp_targetILNS1_3genE9ELNS1_11target_archE1100ELNS1_3gpuE3ELNS1_3repE0EEENS1_30default_config_static_selectorELNS0_4arch9wavefront6targetE1EEEvT1_, .Lfunc_end4059-_ZN7rocprim17ROCPRIM_400000_NS6detail17trampoline_kernelINS0_14default_configENS1_20scan_config_selectorIsEEZZNS1_9scan_implILNS1_25lookback_scan_determinismE0ELb0ELb0ES3_N6thrust23THRUST_200600_302600_NS6detail15normal_iteratorINS9_10device_ptrIsEEEENS9_16discard_iteratorINS9_11use_defaultEEEs11max_functorIsEsEEDaPvRmT3_T4_T5_mT6_P12ihipStream_tbENKUlT_T0_E_clISt17integral_constantIbLb0EESW_IbLb1EEEEDaSS_ST_EUlSS_E_NS1_11comp_targetILNS1_3genE9ELNS1_11target_archE1100ELNS1_3gpuE3ELNS1_3repE0EEENS1_30default_config_static_selectorELNS0_4arch9wavefront6targetE1EEEvT1_
                                        ; -- End function
	.section	.AMDGPU.csdata,"",@progbits
; Kernel info:
; codeLenInByte = 0
; NumSgprs: 4
; NumVgprs: 0
; NumAgprs: 0
; TotalNumVgprs: 0
; ScratchSize: 0
; MemoryBound: 0
; FloatMode: 240
; IeeeMode: 1
; LDSByteSize: 0 bytes/workgroup (compile time only)
; SGPRBlocks: 0
; VGPRBlocks: 0
; NumSGPRsForWavesPerEU: 4
; NumVGPRsForWavesPerEU: 1
; AccumOffset: 4
; Occupancy: 8
; WaveLimiterHint : 0
; COMPUTE_PGM_RSRC2:SCRATCH_EN: 0
; COMPUTE_PGM_RSRC2:USER_SGPR: 6
; COMPUTE_PGM_RSRC2:TRAP_HANDLER: 0
; COMPUTE_PGM_RSRC2:TGID_X_EN: 1
; COMPUTE_PGM_RSRC2:TGID_Y_EN: 0
; COMPUTE_PGM_RSRC2:TGID_Z_EN: 0
; COMPUTE_PGM_RSRC2:TIDIG_COMP_CNT: 0
; COMPUTE_PGM_RSRC3_GFX90A:ACCUM_OFFSET: 0
; COMPUTE_PGM_RSRC3_GFX90A:TG_SPLIT: 0
	.section	.text._ZN7rocprim17ROCPRIM_400000_NS6detail17trampoline_kernelINS0_14default_configENS1_20scan_config_selectorIsEEZZNS1_9scan_implILNS1_25lookback_scan_determinismE0ELb0ELb0ES3_N6thrust23THRUST_200600_302600_NS6detail15normal_iteratorINS9_10device_ptrIsEEEENS9_16discard_iteratorINS9_11use_defaultEEEs11max_functorIsEsEEDaPvRmT3_T4_T5_mT6_P12ihipStream_tbENKUlT_T0_E_clISt17integral_constantIbLb0EESW_IbLb1EEEEDaSS_ST_EUlSS_E_NS1_11comp_targetILNS1_3genE8ELNS1_11target_archE1030ELNS1_3gpuE2ELNS1_3repE0EEENS1_30default_config_static_selectorELNS0_4arch9wavefront6targetE1EEEvT1_,"axG",@progbits,_ZN7rocprim17ROCPRIM_400000_NS6detail17trampoline_kernelINS0_14default_configENS1_20scan_config_selectorIsEEZZNS1_9scan_implILNS1_25lookback_scan_determinismE0ELb0ELb0ES3_N6thrust23THRUST_200600_302600_NS6detail15normal_iteratorINS9_10device_ptrIsEEEENS9_16discard_iteratorINS9_11use_defaultEEEs11max_functorIsEsEEDaPvRmT3_T4_T5_mT6_P12ihipStream_tbENKUlT_T0_E_clISt17integral_constantIbLb0EESW_IbLb1EEEEDaSS_ST_EUlSS_E_NS1_11comp_targetILNS1_3genE8ELNS1_11target_archE1030ELNS1_3gpuE2ELNS1_3repE0EEENS1_30default_config_static_selectorELNS0_4arch9wavefront6targetE1EEEvT1_,comdat
	.protected	_ZN7rocprim17ROCPRIM_400000_NS6detail17trampoline_kernelINS0_14default_configENS1_20scan_config_selectorIsEEZZNS1_9scan_implILNS1_25lookback_scan_determinismE0ELb0ELb0ES3_N6thrust23THRUST_200600_302600_NS6detail15normal_iteratorINS9_10device_ptrIsEEEENS9_16discard_iteratorINS9_11use_defaultEEEs11max_functorIsEsEEDaPvRmT3_T4_T5_mT6_P12ihipStream_tbENKUlT_T0_E_clISt17integral_constantIbLb0EESW_IbLb1EEEEDaSS_ST_EUlSS_E_NS1_11comp_targetILNS1_3genE8ELNS1_11target_archE1030ELNS1_3gpuE2ELNS1_3repE0EEENS1_30default_config_static_selectorELNS0_4arch9wavefront6targetE1EEEvT1_ ; -- Begin function _ZN7rocprim17ROCPRIM_400000_NS6detail17trampoline_kernelINS0_14default_configENS1_20scan_config_selectorIsEEZZNS1_9scan_implILNS1_25lookback_scan_determinismE0ELb0ELb0ES3_N6thrust23THRUST_200600_302600_NS6detail15normal_iteratorINS9_10device_ptrIsEEEENS9_16discard_iteratorINS9_11use_defaultEEEs11max_functorIsEsEEDaPvRmT3_T4_T5_mT6_P12ihipStream_tbENKUlT_T0_E_clISt17integral_constantIbLb0EESW_IbLb1EEEEDaSS_ST_EUlSS_E_NS1_11comp_targetILNS1_3genE8ELNS1_11target_archE1030ELNS1_3gpuE2ELNS1_3repE0EEENS1_30default_config_static_selectorELNS0_4arch9wavefront6targetE1EEEvT1_
	.globl	_ZN7rocprim17ROCPRIM_400000_NS6detail17trampoline_kernelINS0_14default_configENS1_20scan_config_selectorIsEEZZNS1_9scan_implILNS1_25lookback_scan_determinismE0ELb0ELb0ES3_N6thrust23THRUST_200600_302600_NS6detail15normal_iteratorINS9_10device_ptrIsEEEENS9_16discard_iteratorINS9_11use_defaultEEEs11max_functorIsEsEEDaPvRmT3_T4_T5_mT6_P12ihipStream_tbENKUlT_T0_E_clISt17integral_constantIbLb0EESW_IbLb1EEEEDaSS_ST_EUlSS_E_NS1_11comp_targetILNS1_3genE8ELNS1_11target_archE1030ELNS1_3gpuE2ELNS1_3repE0EEENS1_30default_config_static_selectorELNS0_4arch9wavefront6targetE1EEEvT1_
	.p2align	8
	.type	_ZN7rocprim17ROCPRIM_400000_NS6detail17trampoline_kernelINS0_14default_configENS1_20scan_config_selectorIsEEZZNS1_9scan_implILNS1_25lookback_scan_determinismE0ELb0ELb0ES3_N6thrust23THRUST_200600_302600_NS6detail15normal_iteratorINS9_10device_ptrIsEEEENS9_16discard_iteratorINS9_11use_defaultEEEs11max_functorIsEsEEDaPvRmT3_T4_T5_mT6_P12ihipStream_tbENKUlT_T0_E_clISt17integral_constantIbLb0EESW_IbLb1EEEEDaSS_ST_EUlSS_E_NS1_11comp_targetILNS1_3genE8ELNS1_11target_archE1030ELNS1_3gpuE2ELNS1_3repE0EEENS1_30default_config_static_selectorELNS0_4arch9wavefront6targetE1EEEvT1_,@function
_ZN7rocprim17ROCPRIM_400000_NS6detail17trampoline_kernelINS0_14default_configENS1_20scan_config_selectorIsEEZZNS1_9scan_implILNS1_25lookback_scan_determinismE0ELb0ELb0ES3_N6thrust23THRUST_200600_302600_NS6detail15normal_iteratorINS9_10device_ptrIsEEEENS9_16discard_iteratorINS9_11use_defaultEEEs11max_functorIsEsEEDaPvRmT3_T4_T5_mT6_P12ihipStream_tbENKUlT_T0_E_clISt17integral_constantIbLb0EESW_IbLb1EEEEDaSS_ST_EUlSS_E_NS1_11comp_targetILNS1_3genE8ELNS1_11target_archE1030ELNS1_3gpuE2ELNS1_3repE0EEENS1_30default_config_static_selectorELNS0_4arch9wavefront6targetE1EEEvT1_: ; @_ZN7rocprim17ROCPRIM_400000_NS6detail17trampoline_kernelINS0_14default_configENS1_20scan_config_selectorIsEEZZNS1_9scan_implILNS1_25lookback_scan_determinismE0ELb0ELb0ES3_N6thrust23THRUST_200600_302600_NS6detail15normal_iteratorINS9_10device_ptrIsEEEENS9_16discard_iteratorINS9_11use_defaultEEEs11max_functorIsEsEEDaPvRmT3_T4_T5_mT6_P12ihipStream_tbENKUlT_T0_E_clISt17integral_constantIbLb0EESW_IbLb1EEEEDaSS_ST_EUlSS_E_NS1_11comp_targetILNS1_3genE8ELNS1_11target_archE1030ELNS1_3gpuE2ELNS1_3repE0EEENS1_30default_config_static_selectorELNS0_4arch9wavefront6targetE1EEEvT1_
; %bb.0:
	.section	.rodata,"a",@progbits
	.p2align	6, 0x0
	.amdhsa_kernel _ZN7rocprim17ROCPRIM_400000_NS6detail17trampoline_kernelINS0_14default_configENS1_20scan_config_selectorIsEEZZNS1_9scan_implILNS1_25lookback_scan_determinismE0ELb0ELb0ES3_N6thrust23THRUST_200600_302600_NS6detail15normal_iteratorINS9_10device_ptrIsEEEENS9_16discard_iteratorINS9_11use_defaultEEEs11max_functorIsEsEEDaPvRmT3_T4_T5_mT6_P12ihipStream_tbENKUlT_T0_E_clISt17integral_constantIbLb0EESW_IbLb1EEEEDaSS_ST_EUlSS_E_NS1_11comp_targetILNS1_3genE8ELNS1_11target_archE1030ELNS1_3gpuE2ELNS1_3repE0EEENS1_30default_config_static_selectorELNS0_4arch9wavefront6targetE1EEEvT1_
		.amdhsa_group_segment_fixed_size 0
		.amdhsa_private_segment_fixed_size 0
		.amdhsa_kernarg_size 104
		.amdhsa_user_sgpr_count 6
		.amdhsa_user_sgpr_private_segment_buffer 1
		.amdhsa_user_sgpr_dispatch_ptr 0
		.amdhsa_user_sgpr_queue_ptr 0
		.amdhsa_user_sgpr_kernarg_segment_ptr 1
		.amdhsa_user_sgpr_dispatch_id 0
		.amdhsa_user_sgpr_flat_scratch_init 0
		.amdhsa_user_sgpr_kernarg_preload_length 0
		.amdhsa_user_sgpr_kernarg_preload_offset 0
		.amdhsa_user_sgpr_private_segment_size 0
		.amdhsa_uses_dynamic_stack 0
		.amdhsa_system_sgpr_private_segment_wavefront_offset 0
		.amdhsa_system_sgpr_workgroup_id_x 1
		.amdhsa_system_sgpr_workgroup_id_y 0
		.amdhsa_system_sgpr_workgroup_id_z 0
		.amdhsa_system_sgpr_workgroup_info 0
		.amdhsa_system_vgpr_workitem_id 0
		.amdhsa_next_free_vgpr 1
		.amdhsa_next_free_sgpr 0
		.amdhsa_accum_offset 4
		.amdhsa_reserve_vcc 0
		.amdhsa_reserve_flat_scratch 0
		.amdhsa_float_round_mode_32 0
		.amdhsa_float_round_mode_16_64 0
		.amdhsa_float_denorm_mode_32 3
		.amdhsa_float_denorm_mode_16_64 3
		.amdhsa_dx10_clamp 1
		.amdhsa_ieee_mode 1
		.amdhsa_fp16_overflow 0
		.amdhsa_tg_split 0
		.amdhsa_exception_fp_ieee_invalid_op 0
		.amdhsa_exception_fp_denorm_src 0
		.amdhsa_exception_fp_ieee_div_zero 0
		.amdhsa_exception_fp_ieee_overflow 0
		.amdhsa_exception_fp_ieee_underflow 0
		.amdhsa_exception_fp_ieee_inexact 0
		.amdhsa_exception_int_div_zero 0
	.end_amdhsa_kernel
	.section	.text._ZN7rocprim17ROCPRIM_400000_NS6detail17trampoline_kernelINS0_14default_configENS1_20scan_config_selectorIsEEZZNS1_9scan_implILNS1_25lookback_scan_determinismE0ELb0ELb0ES3_N6thrust23THRUST_200600_302600_NS6detail15normal_iteratorINS9_10device_ptrIsEEEENS9_16discard_iteratorINS9_11use_defaultEEEs11max_functorIsEsEEDaPvRmT3_T4_T5_mT6_P12ihipStream_tbENKUlT_T0_E_clISt17integral_constantIbLb0EESW_IbLb1EEEEDaSS_ST_EUlSS_E_NS1_11comp_targetILNS1_3genE8ELNS1_11target_archE1030ELNS1_3gpuE2ELNS1_3repE0EEENS1_30default_config_static_selectorELNS0_4arch9wavefront6targetE1EEEvT1_,"axG",@progbits,_ZN7rocprim17ROCPRIM_400000_NS6detail17trampoline_kernelINS0_14default_configENS1_20scan_config_selectorIsEEZZNS1_9scan_implILNS1_25lookback_scan_determinismE0ELb0ELb0ES3_N6thrust23THRUST_200600_302600_NS6detail15normal_iteratorINS9_10device_ptrIsEEEENS9_16discard_iteratorINS9_11use_defaultEEEs11max_functorIsEsEEDaPvRmT3_T4_T5_mT6_P12ihipStream_tbENKUlT_T0_E_clISt17integral_constantIbLb0EESW_IbLb1EEEEDaSS_ST_EUlSS_E_NS1_11comp_targetILNS1_3genE8ELNS1_11target_archE1030ELNS1_3gpuE2ELNS1_3repE0EEENS1_30default_config_static_selectorELNS0_4arch9wavefront6targetE1EEEvT1_,comdat
.Lfunc_end4060:
	.size	_ZN7rocprim17ROCPRIM_400000_NS6detail17trampoline_kernelINS0_14default_configENS1_20scan_config_selectorIsEEZZNS1_9scan_implILNS1_25lookback_scan_determinismE0ELb0ELb0ES3_N6thrust23THRUST_200600_302600_NS6detail15normal_iteratorINS9_10device_ptrIsEEEENS9_16discard_iteratorINS9_11use_defaultEEEs11max_functorIsEsEEDaPvRmT3_T4_T5_mT6_P12ihipStream_tbENKUlT_T0_E_clISt17integral_constantIbLb0EESW_IbLb1EEEEDaSS_ST_EUlSS_E_NS1_11comp_targetILNS1_3genE8ELNS1_11target_archE1030ELNS1_3gpuE2ELNS1_3repE0EEENS1_30default_config_static_selectorELNS0_4arch9wavefront6targetE1EEEvT1_, .Lfunc_end4060-_ZN7rocprim17ROCPRIM_400000_NS6detail17trampoline_kernelINS0_14default_configENS1_20scan_config_selectorIsEEZZNS1_9scan_implILNS1_25lookback_scan_determinismE0ELb0ELb0ES3_N6thrust23THRUST_200600_302600_NS6detail15normal_iteratorINS9_10device_ptrIsEEEENS9_16discard_iteratorINS9_11use_defaultEEEs11max_functorIsEsEEDaPvRmT3_T4_T5_mT6_P12ihipStream_tbENKUlT_T0_E_clISt17integral_constantIbLb0EESW_IbLb1EEEEDaSS_ST_EUlSS_E_NS1_11comp_targetILNS1_3genE8ELNS1_11target_archE1030ELNS1_3gpuE2ELNS1_3repE0EEENS1_30default_config_static_selectorELNS0_4arch9wavefront6targetE1EEEvT1_
                                        ; -- End function
	.section	.AMDGPU.csdata,"",@progbits
; Kernel info:
; codeLenInByte = 0
; NumSgprs: 4
; NumVgprs: 0
; NumAgprs: 0
; TotalNumVgprs: 0
; ScratchSize: 0
; MemoryBound: 0
; FloatMode: 240
; IeeeMode: 1
; LDSByteSize: 0 bytes/workgroup (compile time only)
; SGPRBlocks: 0
; VGPRBlocks: 0
; NumSGPRsForWavesPerEU: 4
; NumVGPRsForWavesPerEU: 1
; AccumOffset: 4
; Occupancy: 8
; WaveLimiterHint : 0
; COMPUTE_PGM_RSRC2:SCRATCH_EN: 0
; COMPUTE_PGM_RSRC2:USER_SGPR: 6
; COMPUTE_PGM_RSRC2:TRAP_HANDLER: 0
; COMPUTE_PGM_RSRC2:TGID_X_EN: 1
; COMPUTE_PGM_RSRC2:TGID_Y_EN: 0
; COMPUTE_PGM_RSRC2:TGID_Z_EN: 0
; COMPUTE_PGM_RSRC2:TIDIG_COMP_CNT: 0
; COMPUTE_PGM_RSRC3_GFX90A:ACCUM_OFFSET: 0
; COMPUTE_PGM_RSRC3_GFX90A:TG_SPLIT: 0
	.section	.text._ZN7rocprim17ROCPRIM_400000_NS6detail17trampoline_kernelINS0_14default_configENS1_20scan_config_selectorIsEEZZNS1_9scan_implILNS1_25lookback_scan_determinismE0ELb0ELb0ES3_N6thrust23THRUST_200600_302600_NS6detail15normal_iteratorINS9_10device_ptrIsEEEENS9_16discard_iteratorINS9_11use_defaultEEEs11max_functorIsEsEEDaPvRmT3_T4_T5_mT6_P12ihipStream_tbENKUlT_T0_E_clISt17integral_constantIbLb0EESW_IbLb1EEEEDaSS_ST_EUlSS_E0_NS1_11comp_targetILNS1_3genE0ELNS1_11target_archE4294967295ELNS1_3gpuE0ELNS1_3repE0EEENS1_30default_config_static_selectorELNS0_4arch9wavefront6targetE1EEEvT1_,"axG",@progbits,_ZN7rocprim17ROCPRIM_400000_NS6detail17trampoline_kernelINS0_14default_configENS1_20scan_config_selectorIsEEZZNS1_9scan_implILNS1_25lookback_scan_determinismE0ELb0ELb0ES3_N6thrust23THRUST_200600_302600_NS6detail15normal_iteratorINS9_10device_ptrIsEEEENS9_16discard_iteratorINS9_11use_defaultEEEs11max_functorIsEsEEDaPvRmT3_T4_T5_mT6_P12ihipStream_tbENKUlT_T0_E_clISt17integral_constantIbLb0EESW_IbLb1EEEEDaSS_ST_EUlSS_E0_NS1_11comp_targetILNS1_3genE0ELNS1_11target_archE4294967295ELNS1_3gpuE0ELNS1_3repE0EEENS1_30default_config_static_selectorELNS0_4arch9wavefront6targetE1EEEvT1_,comdat
	.protected	_ZN7rocprim17ROCPRIM_400000_NS6detail17trampoline_kernelINS0_14default_configENS1_20scan_config_selectorIsEEZZNS1_9scan_implILNS1_25lookback_scan_determinismE0ELb0ELb0ES3_N6thrust23THRUST_200600_302600_NS6detail15normal_iteratorINS9_10device_ptrIsEEEENS9_16discard_iteratorINS9_11use_defaultEEEs11max_functorIsEsEEDaPvRmT3_T4_T5_mT6_P12ihipStream_tbENKUlT_T0_E_clISt17integral_constantIbLb0EESW_IbLb1EEEEDaSS_ST_EUlSS_E0_NS1_11comp_targetILNS1_3genE0ELNS1_11target_archE4294967295ELNS1_3gpuE0ELNS1_3repE0EEENS1_30default_config_static_selectorELNS0_4arch9wavefront6targetE1EEEvT1_ ; -- Begin function _ZN7rocprim17ROCPRIM_400000_NS6detail17trampoline_kernelINS0_14default_configENS1_20scan_config_selectorIsEEZZNS1_9scan_implILNS1_25lookback_scan_determinismE0ELb0ELb0ES3_N6thrust23THRUST_200600_302600_NS6detail15normal_iteratorINS9_10device_ptrIsEEEENS9_16discard_iteratorINS9_11use_defaultEEEs11max_functorIsEsEEDaPvRmT3_T4_T5_mT6_P12ihipStream_tbENKUlT_T0_E_clISt17integral_constantIbLb0EESW_IbLb1EEEEDaSS_ST_EUlSS_E0_NS1_11comp_targetILNS1_3genE0ELNS1_11target_archE4294967295ELNS1_3gpuE0ELNS1_3repE0EEENS1_30default_config_static_selectorELNS0_4arch9wavefront6targetE1EEEvT1_
	.globl	_ZN7rocprim17ROCPRIM_400000_NS6detail17trampoline_kernelINS0_14default_configENS1_20scan_config_selectorIsEEZZNS1_9scan_implILNS1_25lookback_scan_determinismE0ELb0ELb0ES3_N6thrust23THRUST_200600_302600_NS6detail15normal_iteratorINS9_10device_ptrIsEEEENS9_16discard_iteratorINS9_11use_defaultEEEs11max_functorIsEsEEDaPvRmT3_T4_T5_mT6_P12ihipStream_tbENKUlT_T0_E_clISt17integral_constantIbLb0EESW_IbLb1EEEEDaSS_ST_EUlSS_E0_NS1_11comp_targetILNS1_3genE0ELNS1_11target_archE4294967295ELNS1_3gpuE0ELNS1_3repE0EEENS1_30default_config_static_selectorELNS0_4arch9wavefront6targetE1EEEvT1_
	.p2align	8
	.type	_ZN7rocprim17ROCPRIM_400000_NS6detail17trampoline_kernelINS0_14default_configENS1_20scan_config_selectorIsEEZZNS1_9scan_implILNS1_25lookback_scan_determinismE0ELb0ELb0ES3_N6thrust23THRUST_200600_302600_NS6detail15normal_iteratorINS9_10device_ptrIsEEEENS9_16discard_iteratorINS9_11use_defaultEEEs11max_functorIsEsEEDaPvRmT3_T4_T5_mT6_P12ihipStream_tbENKUlT_T0_E_clISt17integral_constantIbLb0EESW_IbLb1EEEEDaSS_ST_EUlSS_E0_NS1_11comp_targetILNS1_3genE0ELNS1_11target_archE4294967295ELNS1_3gpuE0ELNS1_3repE0EEENS1_30default_config_static_selectorELNS0_4arch9wavefront6targetE1EEEvT1_,@function
_ZN7rocprim17ROCPRIM_400000_NS6detail17trampoline_kernelINS0_14default_configENS1_20scan_config_selectorIsEEZZNS1_9scan_implILNS1_25lookback_scan_determinismE0ELb0ELb0ES3_N6thrust23THRUST_200600_302600_NS6detail15normal_iteratorINS9_10device_ptrIsEEEENS9_16discard_iteratorINS9_11use_defaultEEEs11max_functorIsEsEEDaPvRmT3_T4_T5_mT6_P12ihipStream_tbENKUlT_T0_E_clISt17integral_constantIbLb0EESW_IbLb1EEEEDaSS_ST_EUlSS_E0_NS1_11comp_targetILNS1_3genE0ELNS1_11target_archE4294967295ELNS1_3gpuE0ELNS1_3repE0EEENS1_30default_config_static_selectorELNS0_4arch9wavefront6targetE1EEEvT1_: ; @_ZN7rocprim17ROCPRIM_400000_NS6detail17trampoline_kernelINS0_14default_configENS1_20scan_config_selectorIsEEZZNS1_9scan_implILNS1_25lookback_scan_determinismE0ELb0ELb0ES3_N6thrust23THRUST_200600_302600_NS6detail15normal_iteratorINS9_10device_ptrIsEEEENS9_16discard_iteratorINS9_11use_defaultEEEs11max_functorIsEsEEDaPvRmT3_T4_T5_mT6_P12ihipStream_tbENKUlT_T0_E_clISt17integral_constantIbLb0EESW_IbLb1EEEEDaSS_ST_EUlSS_E0_NS1_11comp_targetILNS1_3genE0ELNS1_11target_archE4294967295ELNS1_3gpuE0ELNS1_3repE0EEENS1_30default_config_static_selectorELNS0_4arch9wavefront6targetE1EEEvT1_
; %bb.0:
	.section	.rodata,"a",@progbits
	.p2align	6, 0x0
	.amdhsa_kernel _ZN7rocprim17ROCPRIM_400000_NS6detail17trampoline_kernelINS0_14default_configENS1_20scan_config_selectorIsEEZZNS1_9scan_implILNS1_25lookback_scan_determinismE0ELb0ELb0ES3_N6thrust23THRUST_200600_302600_NS6detail15normal_iteratorINS9_10device_ptrIsEEEENS9_16discard_iteratorINS9_11use_defaultEEEs11max_functorIsEsEEDaPvRmT3_T4_T5_mT6_P12ihipStream_tbENKUlT_T0_E_clISt17integral_constantIbLb0EESW_IbLb1EEEEDaSS_ST_EUlSS_E0_NS1_11comp_targetILNS1_3genE0ELNS1_11target_archE4294967295ELNS1_3gpuE0ELNS1_3repE0EEENS1_30default_config_static_selectorELNS0_4arch9wavefront6targetE1EEEvT1_
		.amdhsa_group_segment_fixed_size 0
		.amdhsa_private_segment_fixed_size 0
		.amdhsa_kernarg_size 40
		.amdhsa_user_sgpr_count 6
		.amdhsa_user_sgpr_private_segment_buffer 1
		.amdhsa_user_sgpr_dispatch_ptr 0
		.amdhsa_user_sgpr_queue_ptr 0
		.amdhsa_user_sgpr_kernarg_segment_ptr 1
		.amdhsa_user_sgpr_dispatch_id 0
		.amdhsa_user_sgpr_flat_scratch_init 0
		.amdhsa_user_sgpr_kernarg_preload_length 0
		.amdhsa_user_sgpr_kernarg_preload_offset 0
		.amdhsa_user_sgpr_private_segment_size 0
		.amdhsa_uses_dynamic_stack 0
		.amdhsa_system_sgpr_private_segment_wavefront_offset 0
		.amdhsa_system_sgpr_workgroup_id_x 1
		.amdhsa_system_sgpr_workgroup_id_y 0
		.amdhsa_system_sgpr_workgroup_id_z 0
		.amdhsa_system_sgpr_workgroup_info 0
		.amdhsa_system_vgpr_workitem_id 0
		.amdhsa_next_free_vgpr 1
		.amdhsa_next_free_sgpr 0
		.amdhsa_accum_offset 4
		.amdhsa_reserve_vcc 0
		.amdhsa_reserve_flat_scratch 0
		.amdhsa_float_round_mode_32 0
		.amdhsa_float_round_mode_16_64 0
		.amdhsa_float_denorm_mode_32 3
		.amdhsa_float_denorm_mode_16_64 3
		.amdhsa_dx10_clamp 1
		.amdhsa_ieee_mode 1
		.amdhsa_fp16_overflow 0
		.amdhsa_tg_split 0
		.amdhsa_exception_fp_ieee_invalid_op 0
		.amdhsa_exception_fp_denorm_src 0
		.amdhsa_exception_fp_ieee_div_zero 0
		.amdhsa_exception_fp_ieee_overflow 0
		.amdhsa_exception_fp_ieee_underflow 0
		.amdhsa_exception_fp_ieee_inexact 0
		.amdhsa_exception_int_div_zero 0
	.end_amdhsa_kernel
	.section	.text._ZN7rocprim17ROCPRIM_400000_NS6detail17trampoline_kernelINS0_14default_configENS1_20scan_config_selectorIsEEZZNS1_9scan_implILNS1_25lookback_scan_determinismE0ELb0ELb0ES3_N6thrust23THRUST_200600_302600_NS6detail15normal_iteratorINS9_10device_ptrIsEEEENS9_16discard_iteratorINS9_11use_defaultEEEs11max_functorIsEsEEDaPvRmT3_T4_T5_mT6_P12ihipStream_tbENKUlT_T0_E_clISt17integral_constantIbLb0EESW_IbLb1EEEEDaSS_ST_EUlSS_E0_NS1_11comp_targetILNS1_3genE0ELNS1_11target_archE4294967295ELNS1_3gpuE0ELNS1_3repE0EEENS1_30default_config_static_selectorELNS0_4arch9wavefront6targetE1EEEvT1_,"axG",@progbits,_ZN7rocprim17ROCPRIM_400000_NS6detail17trampoline_kernelINS0_14default_configENS1_20scan_config_selectorIsEEZZNS1_9scan_implILNS1_25lookback_scan_determinismE0ELb0ELb0ES3_N6thrust23THRUST_200600_302600_NS6detail15normal_iteratorINS9_10device_ptrIsEEEENS9_16discard_iteratorINS9_11use_defaultEEEs11max_functorIsEsEEDaPvRmT3_T4_T5_mT6_P12ihipStream_tbENKUlT_T0_E_clISt17integral_constantIbLb0EESW_IbLb1EEEEDaSS_ST_EUlSS_E0_NS1_11comp_targetILNS1_3genE0ELNS1_11target_archE4294967295ELNS1_3gpuE0ELNS1_3repE0EEENS1_30default_config_static_selectorELNS0_4arch9wavefront6targetE1EEEvT1_,comdat
.Lfunc_end4061:
	.size	_ZN7rocprim17ROCPRIM_400000_NS6detail17trampoline_kernelINS0_14default_configENS1_20scan_config_selectorIsEEZZNS1_9scan_implILNS1_25lookback_scan_determinismE0ELb0ELb0ES3_N6thrust23THRUST_200600_302600_NS6detail15normal_iteratorINS9_10device_ptrIsEEEENS9_16discard_iteratorINS9_11use_defaultEEEs11max_functorIsEsEEDaPvRmT3_T4_T5_mT6_P12ihipStream_tbENKUlT_T0_E_clISt17integral_constantIbLb0EESW_IbLb1EEEEDaSS_ST_EUlSS_E0_NS1_11comp_targetILNS1_3genE0ELNS1_11target_archE4294967295ELNS1_3gpuE0ELNS1_3repE0EEENS1_30default_config_static_selectorELNS0_4arch9wavefront6targetE1EEEvT1_, .Lfunc_end4061-_ZN7rocprim17ROCPRIM_400000_NS6detail17trampoline_kernelINS0_14default_configENS1_20scan_config_selectorIsEEZZNS1_9scan_implILNS1_25lookback_scan_determinismE0ELb0ELb0ES3_N6thrust23THRUST_200600_302600_NS6detail15normal_iteratorINS9_10device_ptrIsEEEENS9_16discard_iteratorINS9_11use_defaultEEEs11max_functorIsEsEEDaPvRmT3_T4_T5_mT6_P12ihipStream_tbENKUlT_T0_E_clISt17integral_constantIbLb0EESW_IbLb1EEEEDaSS_ST_EUlSS_E0_NS1_11comp_targetILNS1_3genE0ELNS1_11target_archE4294967295ELNS1_3gpuE0ELNS1_3repE0EEENS1_30default_config_static_selectorELNS0_4arch9wavefront6targetE1EEEvT1_
                                        ; -- End function
	.section	.AMDGPU.csdata,"",@progbits
; Kernel info:
; codeLenInByte = 0
; NumSgprs: 4
; NumVgprs: 0
; NumAgprs: 0
; TotalNumVgprs: 0
; ScratchSize: 0
; MemoryBound: 0
; FloatMode: 240
; IeeeMode: 1
; LDSByteSize: 0 bytes/workgroup (compile time only)
; SGPRBlocks: 0
; VGPRBlocks: 0
; NumSGPRsForWavesPerEU: 4
; NumVGPRsForWavesPerEU: 1
; AccumOffset: 4
; Occupancy: 8
; WaveLimiterHint : 0
; COMPUTE_PGM_RSRC2:SCRATCH_EN: 0
; COMPUTE_PGM_RSRC2:USER_SGPR: 6
; COMPUTE_PGM_RSRC2:TRAP_HANDLER: 0
; COMPUTE_PGM_RSRC2:TGID_X_EN: 1
; COMPUTE_PGM_RSRC2:TGID_Y_EN: 0
; COMPUTE_PGM_RSRC2:TGID_Z_EN: 0
; COMPUTE_PGM_RSRC2:TIDIG_COMP_CNT: 0
; COMPUTE_PGM_RSRC3_GFX90A:ACCUM_OFFSET: 0
; COMPUTE_PGM_RSRC3_GFX90A:TG_SPLIT: 0
	.section	.text._ZN7rocprim17ROCPRIM_400000_NS6detail17trampoline_kernelINS0_14default_configENS1_20scan_config_selectorIsEEZZNS1_9scan_implILNS1_25lookback_scan_determinismE0ELb0ELb0ES3_N6thrust23THRUST_200600_302600_NS6detail15normal_iteratorINS9_10device_ptrIsEEEENS9_16discard_iteratorINS9_11use_defaultEEEs11max_functorIsEsEEDaPvRmT3_T4_T5_mT6_P12ihipStream_tbENKUlT_T0_E_clISt17integral_constantIbLb0EESW_IbLb1EEEEDaSS_ST_EUlSS_E0_NS1_11comp_targetILNS1_3genE5ELNS1_11target_archE942ELNS1_3gpuE9ELNS1_3repE0EEENS1_30default_config_static_selectorELNS0_4arch9wavefront6targetE1EEEvT1_,"axG",@progbits,_ZN7rocprim17ROCPRIM_400000_NS6detail17trampoline_kernelINS0_14default_configENS1_20scan_config_selectorIsEEZZNS1_9scan_implILNS1_25lookback_scan_determinismE0ELb0ELb0ES3_N6thrust23THRUST_200600_302600_NS6detail15normal_iteratorINS9_10device_ptrIsEEEENS9_16discard_iteratorINS9_11use_defaultEEEs11max_functorIsEsEEDaPvRmT3_T4_T5_mT6_P12ihipStream_tbENKUlT_T0_E_clISt17integral_constantIbLb0EESW_IbLb1EEEEDaSS_ST_EUlSS_E0_NS1_11comp_targetILNS1_3genE5ELNS1_11target_archE942ELNS1_3gpuE9ELNS1_3repE0EEENS1_30default_config_static_selectorELNS0_4arch9wavefront6targetE1EEEvT1_,comdat
	.protected	_ZN7rocprim17ROCPRIM_400000_NS6detail17trampoline_kernelINS0_14default_configENS1_20scan_config_selectorIsEEZZNS1_9scan_implILNS1_25lookback_scan_determinismE0ELb0ELb0ES3_N6thrust23THRUST_200600_302600_NS6detail15normal_iteratorINS9_10device_ptrIsEEEENS9_16discard_iteratorINS9_11use_defaultEEEs11max_functorIsEsEEDaPvRmT3_T4_T5_mT6_P12ihipStream_tbENKUlT_T0_E_clISt17integral_constantIbLb0EESW_IbLb1EEEEDaSS_ST_EUlSS_E0_NS1_11comp_targetILNS1_3genE5ELNS1_11target_archE942ELNS1_3gpuE9ELNS1_3repE0EEENS1_30default_config_static_selectorELNS0_4arch9wavefront6targetE1EEEvT1_ ; -- Begin function _ZN7rocprim17ROCPRIM_400000_NS6detail17trampoline_kernelINS0_14default_configENS1_20scan_config_selectorIsEEZZNS1_9scan_implILNS1_25lookback_scan_determinismE0ELb0ELb0ES3_N6thrust23THRUST_200600_302600_NS6detail15normal_iteratorINS9_10device_ptrIsEEEENS9_16discard_iteratorINS9_11use_defaultEEEs11max_functorIsEsEEDaPvRmT3_T4_T5_mT6_P12ihipStream_tbENKUlT_T0_E_clISt17integral_constantIbLb0EESW_IbLb1EEEEDaSS_ST_EUlSS_E0_NS1_11comp_targetILNS1_3genE5ELNS1_11target_archE942ELNS1_3gpuE9ELNS1_3repE0EEENS1_30default_config_static_selectorELNS0_4arch9wavefront6targetE1EEEvT1_
	.globl	_ZN7rocprim17ROCPRIM_400000_NS6detail17trampoline_kernelINS0_14default_configENS1_20scan_config_selectorIsEEZZNS1_9scan_implILNS1_25lookback_scan_determinismE0ELb0ELb0ES3_N6thrust23THRUST_200600_302600_NS6detail15normal_iteratorINS9_10device_ptrIsEEEENS9_16discard_iteratorINS9_11use_defaultEEEs11max_functorIsEsEEDaPvRmT3_T4_T5_mT6_P12ihipStream_tbENKUlT_T0_E_clISt17integral_constantIbLb0EESW_IbLb1EEEEDaSS_ST_EUlSS_E0_NS1_11comp_targetILNS1_3genE5ELNS1_11target_archE942ELNS1_3gpuE9ELNS1_3repE0EEENS1_30default_config_static_selectorELNS0_4arch9wavefront6targetE1EEEvT1_
	.p2align	8
	.type	_ZN7rocprim17ROCPRIM_400000_NS6detail17trampoline_kernelINS0_14default_configENS1_20scan_config_selectorIsEEZZNS1_9scan_implILNS1_25lookback_scan_determinismE0ELb0ELb0ES3_N6thrust23THRUST_200600_302600_NS6detail15normal_iteratorINS9_10device_ptrIsEEEENS9_16discard_iteratorINS9_11use_defaultEEEs11max_functorIsEsEEDaPvRmT3_T4_T5_mT6_P12ihipStream_tbENKUlT_T0_E_clISt17integral_constantIbLb0EESW_IbLb1EEEEDaSS_ST_EUlSS_E0_NS1_11comp_targetILNS1_3genE5ELNS1_11target_archE942ELNS1_3gpuE9ELNS1_3repE0EEENS1_30default_config_static_selectorELNS0_4arch9wavefront6targetE1EEEvT1_,@function
_ZN7rocprim17ROCPRIM_400000_NS6detail17trampoline_kernelINS0_14default_configENS1_20scan_config_selectorIsEEZZNS1_9scan_implILNS1_25lookback_scan_determinismE0ELb0ELb0ES3_N6thrust23THRUST_200600_302600_NS6detail15normal_iteratorINS9_10device_ptrIsEEEENS9_16discard_iteratorINS9_11use_defaultEEEs11max_functorIsEsEEDaPvRmT3_T4_T5_mT6_P12ihipStream_tbENKUlT_T0_E_clISt17integral_constantIbLb0EESW_IbLb1EEEEDaSS_ST_EUlSS_E0_NS1_11comp_targetILNS1_3genE5ELNS1_11target_archE942ELNS1_3gpuE9ELNS1_3repE0EEENS1_30default_config_static_selectorELNS0_4arch9wavefront6targetE1EEEvT1_: ; @_ZN7rocprim17ROCPRIM_400000_NS6detail17trampoline_kernelINS0_14default_configENS1_20scan_config_selectorIsEEZZNS1_9scan_implILNS1_25lookback_scan_determinismE0ELb0ELb0ES3_N6thrust23THRUST_200600_302600_NS6detail15normal_iteratorINS9_10device_ptrIsEEEENS9_16discard_iteratorINS9_11use_defaultEEEs11max_functorIsEsEEDaPvRmT3_T4_T5_mT6_P12ihipStream_tbENKUlT_T0_E_clISt17integral_constantIbLb0EESW_IbLb1EEEEDaSS_ST_EUlSS_E0_NS1_11comp_targetILNS1_3genE5ELNS1_11target_archE942ELNS1_3gpuE9ELNS1_3repE0EEENS1_30default_config_static_selectorELNS0_4arch9wavefront6targetE1EEEvT1_
; %bb.0:
	.section	.rodata,"a",@progbits
	.p2align	6, 0x0
	.amdhsa_kernel _ZN7rocprim17ROCPRIM_400000_NS6detail17trampoline_kernelINS0_14default_configENS1_20scan_config_selectorIsEEZZNS1_9scan_implILNS1_25lookback_scan_determinismE0ELb0ELb0ES3_N6thrust23THRUST_200600_302600_NS6detail15normal_iteratorINS9_10device_ptrIsEEEENS9_16discard_iteratorINS9_11use_defaultEEEs11max_functorIsEsEEDaPvRmT3_T4_T5_mT6_P12ihipStream_tbENKUlT_T0_E_clISt17integral_constantIbLb0EESW_IbLb1EEEEDaSS_ST_EUlSS_E0_NS1_11comp_targetILNS1_3genE5ELNS1_11target_archE942ELNS1_3gpuE9ELNS1_3repE0EEENS1_30default_config_static_selectorELNS0_4arch9wavefront6targetE1EEEvT1_
		.amdhsa_group_segment_fixed_size 0
		.amdhsa_private_segment_fixed_size 0
		.amdhsa_kernarg_size 40
		.amdhsa_user_sgpr_count 6
		.amdhsa_user_sgpr_private_segment_buffer 1
		.amdhsa_user_sgpr_dispatch_ptr 0
		.amdhsa_user_sgpr_queue_ptr 0
		.amdhsa_user_sgpr_kernarg_segment_ptr 1
		.amdhsa_user_sgpr_dispatch_id 0
		.amdhsa_user_sgpr_flat_scratch_init 0
		.amdhsa_user_sgpr_kernarg_preload_length 0
		.amdhsa_user_sgpr_kernarg_preload_offset 0
		.amdhsa_user_sgpr_private_segment_size 0
		.amdhsa_uses_dynamic_stack 0
		.amdhsa_system_sgpr_private_segment_wavefront_offset 0
		.amdhsa_system_sgpr_workgroup_id_x 1
		.amdhsa_system_sgpr_workgroup_id_y 0
		.amdhsa_system_sgpr_workgroup_id_z 0
		.amdhsa_system_sgpr_workgroup_info 0
		.amdhsa_system_vgpr_workitem_id 0
		.amdhsa_next_free_vgpr 1
		.amdhsa_next_free_sgpr 0
		.amdhsa_accum_offset 4
		.amdhsa_reserve_vcc 0
		.amdhsa_reserve_flat_scratch 0
		.amdhsa_float_round_mode_32 0
		.amdhsa_float_round_mode_16_64 0
		.amdhsa_float_denorm_mode_32 3
		.amdhsa_float_denorm_mode_16_64 3
		.amdhsa_dx10_clamp 1
		.amdhsa_ieee_mode 1
		.amdhsa_fp16_overflow 0
		.amdhsa_tg_split 0
		.amdhsa_exception_fp_ieee_invalid_op 0
		.amdhsa_exception_fp_denorm_src 0
		.amdhsa_exception_fp_ieee_div_zero 0
		.amdhsa_exception_fp_ieee_overflow 0
		.amdhsa_exception_fp_ieee_underflow 0
		.amdhsa_exception_fp_ieee_inexact 0
		.amdhsa_exception_int_div_zero 0
	.end_amdhsa_kernel
	.section	.text._ZN7rocprim17ROCPRIM_400000_NS6detail17trampoline_kernelINS0_14default_configENS1_20scan_config_selectorIsEEZZNS1_9scan_implILNS1_25lookback_scan_determinismE0ELb0ELb0ES3_N6thrust23THRUST_200600_302600_NS6detail15normal_iteratorINS9_10device_ptrIsEEEENS9_16discard_iteratorINS9_11use_defaultEEEs11max_functorIsEsEEDaPvRmT3_T4_T5_mT6_P12ihipStream_tbENKUlT_T0_E_clISt17integral_constantIbLb0EESW_IbLb1EEEEDaSS_ST_EUlSS_E0_NS1_11comp_targetILNS1_3genE5ELNS1_11target_archE942ELNS1_3gpuE9ELNS1_3repE0EEENS1_30default_config_static_selectorELNS0_4arch9wavefront6targetE1EEEvT1_,"axG",@progbits,_ZN7rocprim17ROCPRIM_400000_NS6detail17trampoline_kernelINS0_14default_configENS1_20scan_config_selectorIsEEZZNS1_9scan_implILNS1_25lookback_scan_determinismE0ELb0ELb0ES3_N6thrust23THRUST_200600_302600_NS6detail15normal_iteratorINS9_10device_ptrIsEEEENS9_16discard_iteratorINS9_11use_defaultEEEs11max_functorIsEsEEDaPvRmT3_T4_T5_mT6_P12ihipStream_tbENKUlT_T0_E_clISt17integral_constantIbLb0EESW_IbLb1EEEEDaSS_ST_EUlSS_E0_NS1_11comp_targetILNS1_3genE5ELNS1_11target_archE942ELNS1_3gpuE9ELNS1_3repE0EEENS1_30default_config_static_selectorELNS0_4arch9wavefront6targetE1EEEvT1_,comdat
.Lfunc_end4062:
	.size	_ZN7rocprim17ROCPRIM_400000_NS6detail17trampoline_kernelINS0_14default_configENS1_20scan_config_selectorIsEEZZNS1_9scan_implILNS1_25lookback_scan_determinismE0ELb0ELb0ES3_N6thrust23THRUST_200600_302600_NS6detail15normal_iteratorINS9_10device_ptrIsEEEENS9_16discard_iteratorINS9_11use_defaultEEEs11max_functorIsEsEEDaPvRmT3_T4_T5_mT6_P12ihipStream_tbENKUlT_T0_E_clISt17integral_constantIbLb0EESW_IbLb1EEEEDaSS_ST_EUlSS_E0_NS1_11comp_targetILNS1_3genE5ELNS1_11target_archE942ELNS1_3gpuE9ELNS1_3repE0EEENS1_30default_config_static_selectorELNS0_4arch9wavefront6targetE1EEEvT1_, .Lfunc_end4062-_ZN7rocprim17ROCPRIM_400000_NS6detail17trampoline_kernelINS0_14default_configENS1_20scan_config_selectorIsEEZZNS1_9scan_implILNS1_25lookback_scan_determinismE0ELb0ELb0ES3_N6thrust23THRUST_200600_302600_NS6detail15normal_iteratorINS9_10device_ptrIsEEEENS9_16discard_iteratorINS9_11use_defaultEEEs11max_functorIsEsEEDaPvRmT3_T4_T5_mT6_P12ihipStream_tbENKUlT_T0_E_clISt17integral_constantIbLb0EESW_IbLb1EEEEDaSS_ST_EUlSS_E0_NS1_11comp_targetILNS1_3genE5ELNS1_11target_archE942ELNS1_3gpuE9ELNS1_3repE0EEENS1_30default_config_static_selectorELNS0_4arch9wavefront6targetE1EEEvT1_
                                        ; -- End function
	.section	.AMDGPU.csdata,"",@progbits
; Kernel info:
; codeLenInByte = 0
; NumSgprs: 4
; NumVgprs: 0
; NumAgprs: 0
; TotalNumVgprs: 0
; ScratchSize: 0
; MemoryBound: 0
; FloatMode: 240
; IeeeMode: 1
; LDSByteSize: 0 bytes/workgroup (compile time only)
; SGPRBlocks: 0
; VGPRBlocks: 0
; NumSGPRsForWavesPerEU: 4
; NumVGPRsForWavesPerEU: 1
; AccumOffset: 4
; Occupancy: 8
; WaveLimiterHint : 0
; COMPUTE_PGM_RSRC2:SCRATCH_EN: 0
; COMPUTE_PGM_RSRC2:USER_SGPR: 6
; COMPUTE_PGM_RSRC2:TRAP_HANDLER: 0
; COMPUTE_PGM_RSRC2:TGID_X_EN: 1
; COMPUTE_PGM_RSRC2:TGID_Y_EN: 0
; COMPUTE_PGM_RSRC2:TGID_Z_EN: 0
; COMPUTE_PGM_RSRC2:TIDIG_COMP_CNT: 0
; COMPUTE_PGM_RSRC3_GFX90A:ACCUM_OFFSET: 0
; COMPUTE_PGM_RSRC3_GFX90A:TG_SPLIT: 0
	.section	.text._ZN7rocprim17ROCPRIM_400000_NS6detail17trampoline_kernelINS0_14default_configENS1_20scan_config_selectorIsEEZZNS1_9scan_implILNS1_25lookback_scan_determinismE0ELb0ELb0ES3_N6thrust23THRUST_200600_302600_NS6detail15normal_iteratorINS9_10device_ptrIsEEEENS9_16discard_iteratorINS9_11use_defaultEEEs11max_functorIsEsEEDaPvRmT3_T4_T5_mT6_P12ihipStream_tbENKUlT_T0_E_clISt17integral_constantIbLb0EESW_IbLb1EEEEDaSS_ST_EUlSS_E0_NS1_11comp_targetILNS1_3genE4ELNS1_11target_archE910ELNS1_3gpuE8ELNS1_3repE0EEENS1_30default_config_static_selectorELNS0_4arch9wavefront6targetE1EEEvT1_,"axG",@progbits,_ZN7rocprim17ROCPRIM_400000_NS6detail17trampoline_kernelINS0_14default_configENS1_20scan_config_selectorIsEEZZNS1_9scan_implILNS1_25lookback_scan_determinismE0ELb0ELb0ES3_N6thrust23THRUST_200600_302600_NS6detail15normal_iteratorINS9_10device_ptrIsEEEENS9_16discard_iteratorINS9_11use_defaultEEEs11max_functorIsEsEEDaPvRmT3_T4_T5_mT6_P12ihipStream_tbENKUlT_T0_E_clISt17integral_constantIbLb0EESW_IbLb1EEEEDaSS_ST_EUlSS_E0_NS1_11comp_targetILNS1_3genE4ELNS1_11target_archE910ELNS1_3gpuE8ELNS1_3repE0EEENS1_30default_config_static_selectorELNS0_4arch9wavefront6targetE1EEEvT1_,comdat
	.protected	_ZN7rocprim17ROCPRIM_400000_NS6detail17trampoline_kernelINS0_14default_configENS1_20scan_config_selectorIsEEZZNS1_9scan_implILNS1_25lookback_scan_determinismE0ELb0ELb0ES3_N6thrust23THRUST_200600_302600_NS6detail15normal_iteratorINS9_10device_ptrIsEEEENS9_16discard_iteratorINS9_11use_defaultEEEs11max_functorIsEsEEDaPvRmT3_T4_T5_mT6_P12ihipStream_tbENKUlT_T0_E_clISt17integral_constantIbLb0EESW_IbLb1EEEEDaSS_ST_EUlSS_E0_NS1_11comp_targetILNS1_3genE4ELNS1_11target_archE910ELNS1_3gpuE8ELNS1_3repE0EEENS1_30default_config_static_selectorELNS0_4arch9wavefront6targetE1EEEvT1_ ; -- Begin function _ZN7rocprim17ROCPRIM_400000_NS6detail17trampoline_kernelINS0_14default_configENS1_20scan_config_selectorIsEEZZNS1_9scan_implILNS1_25lookback_scan_determinismE0ELb0ELb0ES3_N6thrust23THRUST_200600_302600_NS6detail15normal_iteratorINS9_10device_ptrIsEEEENS9_16discard_iteratorINS9_11use_defaultEEEs11max_functorIsEsEEDaPvRmT3_T4_T5_mT6_P12ihipStream_tbENKUlT_T0_E_clISt17integral_constantIbLb0EESW_IbLb1EEEEDaSS_ST_EUlSS_E0_NS1_11comp_targetILNS1_3genE4ELNS1_11target_archE910ELNS1_3gpuE8ELNS1_3repE0EEENS1_30default_config_static_selectorELNS0_4arch9wavefront6targetE1EEEvT1_
	.globl	_ZN7rocprim17ROCPRIM_400000_NS6detail17trampoline_kernelINS0_14default_configENS1_20scan_config_selectorIsEEZZNS1_9scan_implILNS1_25lookback_scan_determinismE0ELb0ELb0ES3_N6thrust23THRUST_200600_302600_NS6detail15normal_iteratorINS9_10device_ptrIsEEEENS9_16discard_iteratorINS9_11use_defaultEEEs11max_functorIsEsEEDaPvRmT3_T4_T5_mT6_P12ihipStream_tbENKUlT_T0_E_clISt17integral_constantIbLb0EESW_IbLb1EEEEDaSS_ST_EUlSS_E0_NS1_11comp_targetILNS1_3genE4ELNS1_11target_archE910ELNS1_3gpuE8ELNS1_3repE0EEENS1_30default_config_static_selectorELNS0_4arch9wavefront6targetE1EEEvT1_
	.p2align	8
	.type	_ZN7rocprim17ROCPRIM_400000_NS6detail17trampoline_kernelINS0_14default_configENS1_20scan_config_selectorIsEEZZNS1_9scan_implILNS1_25lookback_scan_determinismE0ELb0ELb0ES3_N6thrust23THRUST_200600_302600_NS6detail15normal_iteratorINS9_10device_ptrIsEEEENS9_16discard_iteratorINS9_11use_defaultEEEs11max_functorIsEsEEDaPvRmT3_T4_T5_mT6_P12ihipStream_tbENKUlT_T0_E_clISt17integral_constantIbLb0EESW_IbLb1EEEEDaSS_ST_EUlSS_E0_NS1_11comp_targetILNS1_3genE4ELNS1_11target_archE910ELNS1_3gpuE8ELNS1_3repE0EEENS1_30default_config_static_selectorELNS0_4arch9wavefront6targetE1EEEvT1_,@function
_ZN7rocprim17ROCPRIM_400000_NS6detail17trampoline_kernelINS0_14default_configENS1_20scan_config_selectorIsEEZZNS1_9scan_implILNS1_25lookback_scan_determinismE0ELb0ELb0ES3_N6thrust23THRUST_200600_302600_NS6detail15normal_iteratorINS9_10device_ptrIsEEEENS9_16discard_iteratorINS9_11use_defaultEEEs11max_functorIsEsEEDaPvRmT3_T4_T5_mT6_P12ihipStream_tbENKUlT_T0_E_clISt17integral_constantIbLb0EESW_IbLb1EEEEDaSS_ST_EUlSS_E0_NS1_11comp_targetILNS1_3genE4ELNS1_11target_archE910ELNS1_3gpuE8ELNS1_3repE0EEENS1_30default_config_static_selectorELNS0_4arch9wavefront6targetE1EEEvT1_: ; @_ZN7rocprim17ROCPRIM_400000_NS6detail17trampoline_kernelINS0_14default_configENS1_20scan_config_selectorIsEEZZNS1_9scan_implILNS1_25lookback_scan_determinismE0ELb0ELb0ES3_N6thrust23THRUST_200600_302600_NS6detail15normal_iteratorINS9_10device_ptrIsEEEENS9_16discard_iteratorINS9_11use_defaultEEEs11max_functorIsEsEEDaPvRmT3_T4_T5_mT6_P12ihipStream_tbENKUlT_T0_E_clISt17integral_constantIbLb0EESW_IbLb1EEEEDaSS_ST_EUlSS_E0_NS1_11comp_targetILNS1_3genE4ELNS1_11target_archE910ELNS1_3gpuE8ELNS1_3repE0EEENS1_30default_config_static_selectorELNS0_4arch9wavefront6targetE1EEEvT1_
; %bb.0:
	s_load_dwordx4 s[0:3], s[4:5], 0x0
	v_mov_b32_e32 v1, 0
	s_waitcnt lgkmcnt(0)
	global_load_ushort v2, v1, s[0:1]
	v_cmp_gt_u32_e32 vcc, s2, v0
	v_lshlrev_b32_e32 v1, 1, v0
	s_waitcnt vmcnt(0)
	v_mov_b32_e32 v3, v2
	s_and_saveexec_b64 s[4:5], vcc
	s_cbranch_execz .LBB4063_2
; %bb.1:
	global_load_ushort v3, v1, s[0:1]
.LBB4063_2:
	s_or_b64 exec, exec, s[4:5]
	v_or_b32_e32 v4, 64, v0
	v_cmp_gt_u32_e32 vcc, s2, v4
	v_mov_b32_e32 v4, v2
	s_and_saveexec_b64 s[4:5], vcc
	s_cbranch_execz .LBB4063_4
; %bb.3:
	global_load_ushort v4, v1, s[0:1] offset:128
.LBB4063_4:
	s_or_b64 exec, exec, s[4:5]
	v_or_b32_e32 v5, 0x80, v0
	v_cmp_gt_u32_e32 vcc, s2, v5
	v_mov_b32_e32 v5, v2
	s_and_saveexec_b64 s[4:5], vcc
	s_cbranch_execz .LBB4063_6
; %bb.5:
	global_load_ushort v5, v1, s[0:1] offset:256
.LBB4063_6:
	s_or_b64 exec, exec, s[4:5]
	v_or_b32_e32 v6, 0xc0, v0
	v_cmp_gt_u32_e32 vcc, s2, v6
	v_mov_b32_e32 v6, v2
	s_and_saveexec_b64 s[4:5], vcc
	s_cbranch_execz .LBB4063_8
; %bb.7:
	global_load_ushort v6, v1, s[0:1] offset:384
.LBB4063_8:
	s_or_b64 exec, exec, s[4:5]
	v_or_b32_e32 v7, 0x100, v0
	v_cmp_gt_u32_e32 vcc, s2, v7
	v_mov_b32_e32 v7, v2
	s_and_saveexec_b64 s[4:5], vcc
	s_cbranch_execz .LBB4063_10
; %bb.9:
	global_load_ushort v7, v1, s[0:1] offset:512
.LBB4063_10:
	s_or_b64 exec, exec, s[4:5]
	v_or_b32_e32 v8, 0x140, v0
	v_cmp_gt_u32_e32 vcc, s2, v8
	v_mov_b32_e32 v8, v2
	s_and_saveexec_b64 s[4:5], vcc
	s_cbranch_execz .LBB4063_12
; %bb.11:
	global_load_ushort v8, v1, s[0:1] offset:640
.LBB4063_12:
	s_or_b64 exec, exec, s[4:5]
	v_or_b32_e32 v9, 0x180, v0
	v_cmp_gt_u32_e32 vcc, s2, v9
	v_mov_b32_e32 v9, v2
	s_and_saveexec_b64 s[4:5], vcc
	s_cbranch_execz .LBB4063_14
; %bb.13:
	global_load_ushort v9, v1, s[0:1] offset:768
.LBB4063_14:
	s_or_b64 exec, exec, s[4:5]
	v_or_b32_e32 v10, 0x1c0, v0
	v_cmp_gt_u32_e32 vcc, s2, v10
	v_mov_b32_e32 v10, v2
	s_and_saveexec_b64 s[4:5], vcc
	s_cbranch_execz .LBB4063_16
; %bb.15:
	global_load_ushort v10, v1, s[0:1] offset:896
.LBB4063_16:
	s_or_b64 exec, exec, s[4:5]
	v_or_b32_e32 v11, 0x200, v0
	v_cmp_gt_u32_e32 vcc, s2, v11
	v_mov_b32_e32 v11, v2
	s_and_saveexec_b64 s[4:5], vcc
	s_cbranch_execz .LBB4063_18
; %bb.17:
	global_load_ushort v11, v1, s[0:1] offset:1024
.LBB4063_18:
	s_or_b64 exec, exec, s[4:5]
	v_or_b32_e32 v12, 0x240, v0
	v_cmp_gt_u32_e32 vcc, s2, v12
	v_mov_b32_e32 v12, v2
	s_and_saveexec_b64 s[4:5], vcc
	s_cbranch_execz .LBB4063_20
; %bb.19:
	global_load_ushort v12, v1, s[0:1] offset:1152
.LBB4063_20:
	s_or_b64 exec, exec, s[4:5]
	v_or_b32_e32 v13, 0x280, v0
	v_cmp_gt_u32_e32 vcc, s2, v13
	v_mov_b32_e32 v13, v2
	s_and_saveexec_b64 s[4:5], vcc
	s_cbranch_execz .LBB4063_22
; %bb.21:
	global_load_ushort v13, v1, s[0:1] offset:1280
.LBB4063_22:
	s_or_b64 exec, exec, s[4:5]
	v_or_b32_e32 v14, 0x2c0, v0
	v_cmp_gt_u32_e32 vcc, s2, v14
	v_mov_b32_e32 v14, v2
	s_and_saveexec_b64 s[4:5], vcc
	s_cbranch_execz .LBB4063_24
; %bb.23:
	global_load_ushort v14, v1, s[0:1] offset:1408
.LBB4063_24:
	s_or_b64 exec, exec, s[4:5]
	v_or_b32_e32 v15, 0x300, v0
	v_cmp_gt_u32_e32 vcc, s2, v15
	v_mov_b32_e32 v15, v2
	s_and_saveexec_b64 s[4:5], vcc
	s_cbranch_execz .LBB4063_26
; %bb.25:
	global_load_ushort v15, v1, s[0:1] offset:1536
.LBB4063_26:
	s_or_b64 exec, exec, s[4:5]
	v_or_b32_e32 v16, 0x340, v0
	v_cmp_gt_u32_e32 vcc, s2, v16
	v_mov_b32_e32 v16, v2
	s_and_saveexec_b64 s[4:5], vcc
	s_cbranch_execz .LBB4063_28
; %bb.27:
	global_load_ushort v16, v1, s[0:1] offset:1664
.LBB4063_28:
	s_or_b64 exec, exec, s[4:5]
	v_or_b32_e32 v17, 0x380, v0
	v_cmp_gt_u32_e32 vcc, s2, v17
	v_mov_b32_e32 v17, v2
	s_and_saveexec_b64 s[4:5], vcc
	s_cbranch_execz .LBB4063_30
; %bb.29:
	global_load_ushort v17, v1, s[0:1] offset:1792
.LBB4063_30:
	s_or_b64 exec, exec, s[4:5]
	v_or_b32_e32 v18, 0x3c0, v0
	v_cmp_gt_u32_e32 vcc, s2, v18
	v_mov_b32_e32 v18, v2
	s_and_saveexec_b64 s[4:5], vcc
	s_cbranch_execz .LBB4063_32
; %bb.31:
	global_load_ushort v18, v1, s[0:1] offset:1920
.LBB4063_32:
	s_or_b64 exec, exec, s[4:5]
	v_or_b32_e32 v19, 0x400, v0
	v_cmp_gt_u32_e32 vcc, s2, v19
	v_mov_b32_e32 v19, v2
	s_and_saveexec_b64 s[4:5], vcc
	s_cbranch_execz .LBB4063_34
; %bb.33:
	global_load_ushort v19, v1, s[0:1] offset:2048
.LBB4063_34:
	s_or_b64 exec, exec, s[4:5]
	v_or_b32_e32 v20, 0x440, v0
	v_cmp_gt_u32_e32 vcc, s2, v20
	v_mov_b32_e32 v20, v2
	s_and_saveexec_b64 s[4:5], vcc
	s_cbranch_execz .LBB4063_36
; %bb.35:
	global_load_ushort v20, v1, s[0:1] offset:2176
.LBB4063_36:
	s_or_b64 exec, exec, s[4:5]
	v_or_b32_e32 v21, 0x480, v0
	v_cmp_gt_u32_e32 vcc, s2, v21
	v_mov_b32_e32 v21, v2
	s_and_saveexec_b64 s[4:5], vcc
	s_cbranch_execz .LBB4063_38
; %bb.37:
	global_load_ushort v21, v1, s[0:1] offset:2304
.LBB4063_38:
	s_or_b64 exec, exec, s[4:5]
	v_or_b32_e32 v22, 0x4c0, v0
	v_cmp_gt_u32_e32 vcc, s2, v22
	v_mov_b32_e32 v22, v2
	s_and_saveexec_b64 s[4:5], vcc
	s_cbranch_execz .LBB4063_40
; %bb.39:
	global_load_ushort v22, v1, s[0:1] offset:2432
.LBB4063_40:
	s_or_b64 exec, exec, s[4:5]
	v_or_b32_e32 v23, 0x500, v0
	v_cmp_gt_u32_e32 vcc, s2, v23
	v_mov_b32_e32 v23, v2
	s_and_saveexec_b64 s[4:5], vcc
	s_cbranch_execz .LBB4063_42
; %bb.41:
	global_load_ushort v23, v1, s[0:1] offset:2560
.LBB4063_42:
	s_or_b64 exec, exec, s[4:5]
	v_or_b32_e32 v24, 0x540, v0
	v_cmp_gt_u32_e32 vcc, s2, v24
	v_mov_b32_e32 v24, v2
	s_and_saveexec_b64 s[4:5], vcc
	s_cbranch_execz .LBB4063_44
; %bb.43:
	global_load_ushort v24, v1, s[0:1] offset:2688
.LBB4063_44:
	s_or_b64 exec, exec, s[4:5]
	v_or_b32_e32 v25, 0x580, v0
	v_cmp_gt_u32_e32 vcc, s2, v25
	v_mov_b32_e32 v25, v2
	s_and_saveexec_b64 s[4:5], vcc
	s_cbranch_execz .LBB4063_46
; %bb.45:
	global_load_ushort v25, v1, s[0:1] offset:2816
.LBB4063_46:
	s_or_b64 exec, exec, s[4:5]
	v_or_b32_e32 v26, 0x5c0, v0
	v_cmp_gt_u32_e32 vcc, s2, v26
	s_and_saveexec_b64 s[2:3], vcc
	s_cbranch_execz .LBB4063_48
; %bb.47:
	global_load_ushort v2, v1, s[0:1] offset:2944
.LBB4063_48:
	s_or_b64 exec, exec, s[2:3]
	s_waitcnt vmcnt(0)
	ds_write_b16 v1, v3
	ds_write_b16 v1, v4 offset:128
	ds_write_b16 v1, v5 offset:256
	;; [unrolled: 1-line block ×23, first 2 shown]
	v_mad_u32_u24 v6, v0, 46, v1
	s_waitcnt lgkmcnt(0)
	; wave barrier
	s_waitcnt lgkmcnt(0)
	ds_read_b128 v[2:5], v6
	ds_read_b128 v[10:13], v6 offset:16
	ds_read_b128 v[6:9], v6 offset:32
	v_mbcnt_lo_u32_b32 v37, -1, 0
	v_mbcnt_hi_u32_b32 v37, -1, v37
	s_waitcnt lgkmcnt(2)
	v_max_i16_sdwa v14, v2, v2 dst_sel:DWORD dst_unused:UNUSED_PAD src0_sel:DWORD src1_sel:WORD_1
	v_max_i16_e32 v15, v14, v3
	v_max_i16_sdwa v17, v15, v3 dst_sel:DWORD dst_unused:UNUSED_PAD src0_sel:DWORD src1_sel:WORD_1
	v_max_i16_e32 v19, v17, v4
	;; [unrolled: 2-line block ×3, first 2 shown]
	v_max_i16_sdwa v27, v24, v5 dst_sel:DWORD dst_unused:UNUSED_PAD src0_sel:DWORD src1_sel:WORD_1
	s_waitcnt lgkmcnt(1)
	v_max_i16_e32 v16, v27, v10
	v_max_i16_sdwa v18, v16, v10 dst_sel:DWORD dst_unused:UNUSED_PAD src0_sel:DWORD src1_sel:WORD_1
	v_max_i16_e32 v20, v18, v11
	v_max_i16_sdwa v23, v20, v11 dst_sel:DWORD dst_unused:UNUSED_PAD src0_sel:DWORD src1_sel:WORD_1
	;; [unrolled: 2-line block ×4, first 2 shown]
	s_waitcnt lgkmcnt(0)
	v_max_i16_e32 v22, v33, v6
	v_max_i16_sdwa v25, v22, v6 dst_sel:DWORD dst_unused:UNUSED_PAD src0_sel:DWORD src1_sel:WORD_1
	v_max_i16_e32 v28, v25, v7
	v_max_i16_sdwa v30, v28, v7 dst_sel:DWORD dst_unused:UNUSED_PAD src0_sel:DWORD src1_sel:WORD_1
	;; [unrolled: 2-line block ×4, first 2 shown]
	v_and_b32_e32 v38, 15, v37
	v_cmp_eq_u32_e32 vcc, 0, v38
	v_mov_b32_dpp v39, v36 row_shr:1 row_mask:0xf bank_mask:0xf
	v_max_i16_e32 v39, v39, v36
	v_cndmask_b32_e32 v39, v39, v36, vcc
	v_and_b32_e32 v40, 0xffff, v39
	v_cmp_lt_u32_e32 vcc, 1, v38
	s_nop 0
	v_mov_b32_dpp v40, v40 row_shr:2 row_mask:0xf bank_mask:0xf
	v_max_i16_e32 v40, v40, v39
	v_cndmask_b32_e32 v39, v39, v40, vcc
	v_and_b32_e32 v40, 0xffff, v39
	v_cmp_lt_u32_e32 vcc, 3, v38
	; wave barrier
	s_nop 0
	v_mov_b32_dpp v40, v40 row_shr:4 row_mask:0xf bank_mask:0xf
	v_max_i16_e32 v40, v40, v39
	v_cndmask_b32_e32 v39, v39, v40, vcc
	v_and_b32_e32 v40, 0xffff, v39
	v_cmp_lt_u32_e32 vcc, 7, v38
	s_nop 0
	v_mov_b32_dpp v40, v40 row_shr:8 row_mask:0xf bank_mask:0xf
	v_max_i16_e32 v40, v40, v39
	v_cndmask_b32_e32 v38, v39, v40, vcc
	v_and_b32_e32 v39, 0xffff, v38
	v_and_b32_e32 v40, 16, v37
	v_cmp_eq_u32_e32 vcc, 0, v40
	v_mov_b32_dpp v39, v39 row_bcast:15 row_mask:0xf bank_mask:0xf
	v_max_i16_e32 v39, v39, v38
	v_cndmask_b32_e32 v38, v39, v38, vcc
	v_and_b32_e32 v39, 0xffff, v38
	v_cmp_lt_u32_e32 vcc, 31, v37
	s_nop 0
	v_mov_b32_dpp v39, v39 row_bcast:31 row_mask:0xf bank_mask:0xf
	v_max_i16_e32 v39, v39, v38
	v_cndmask_b32_e32 v38, v38, v39, vcc
	v_cmp_eq_u32_e32 vcc, 63, v0
	s_and_saveexec_b64 s[0:1], vcc
	s_cbranch_execz .LBB4063_50
; %bb.49:
	v_mov_b32_e32 v39, 0
	ds_write_b16 v39, v38
.LBB4063_50:
	s_or_b64 exec, exec, s[0:1]
	v_add_u32_e32 v39, -1, v37
	v_and_b32_e32 v40, 64, v37
	v_cmp_lt_i32_e32 vcc, v39, v40
	v_cndmask_b32_e32 v37, v39, v37, vcc
	v_and_b32_e32 v38, 0xffff, v38
	v_lshlrev_b32_e32 v37, 2, v37
	ds_bpermute_b32 v38, v37, v38
	v_mul_u32_u24_e32 v37, 46, v0
	v_cmp_ne_u32_e32 vcc, 0, v0
	s_waitcnt lgkmcnt(0)
	; wave barrier
	s_waitcnt lgkmcnt(0)
	s_and_saveexec_b64 s[0:1], vcc
	s_cbranch_execz .LBB4063_52
; %bb.51:
	v_max_i16_e32 v0, v38, v2
	v_max_i16_sdwa v14, v0, v2 dst_sel:DWORD dst_unused:UNUSED_PAD src0_sel:DWORD src1_sel:WORD_1
	v_max_i16_e32 v15, v14, v3
	v_max_i16_sdwa v17, v15, v3 dst_sel:DWORD dst_unused:UNUSED_PAD src0_sel:DWORD src1_sel:WORD_1
	;; [unrolled: 2-line block ×12, first 2 shown]
	v_mov_b32_e32 v2, v0
	;;#ASMSTART
	;;#ASMEND
.LBB4063_52:
	s_or_b64 exec, exec, s[0:1]
	s_mov_b32 s0, 0x5040100
	v_add_u32_e32 v6, v1, v37
	v_perm_b32 v5, v27, v24, s0
	v_perm_b32 v4, v21, v19, s0
	;; [unrolled: 1-line block ×4, first 2 shown]
	s_waitcnt lgkmcnt(0)
	; wave barrier
	ds_write_b128 v6, v[2:5]
	v_perm_b32 v3, v33, v31, s0
	v_perm_b32 v2, v29, v26, s0
	;; [unrolled: 1-line block ×4, first 2 shown]
	ds_write_b128 v6, v[0:3] offset:16
	v_perm_b32 v3, v36, v35, s0
	v_perm_b32 v2, v34, v32, s0
	;; [unrolled: 1-line block ×4, first 2 shown]
	ds_write_b128 v6, v[0:3] offset:32
	s_waitcnt lgkmcnt(0)
	; wave barrier
	s_waitcnt lgkmcnt(0)
	s_endpgm
	.section	.rodata,"a",@progbits
	.p2align	6, 0x0
	.amdhsa_kernel _ZN7rocprim17ROCPRIM_400000_NS6detail17trampoline_kernelINS0_14default_configENS1_20scan_config_selectorIsEEZZNS1_9scan_implILNS1_25lookback_scan_determinismE0ELb0ELb0ES3_N6thrust23THRUST_200600_302600_NS6detail15normal_iteratorINS9_10device_ptrIsEEEENS9_16discard_iteratorINS9_11use_defaultEEEs11max_functorIsEsEEDaPvRmT3_T4_T5_mT6_P12ihipStream_tbENKUlT_T0_E_clISt17integral_constantIbLb0EESW_IbLb1EEEEDaSS_ST_EUlSS_E0_NS1_11comp_targetILNS1_3genE4ELNS1_11target_archE910ELNS1_3gpuE8ELNS1_3repE0EEENS1_30default_config_static_selectorELNS0_4arch9wavefront6targetE1EEEvT1_
		.amdhsa_group_segment_fixed_size 3072
		.amdhsa_private_segment_fixed_size 0
		.amdhsa_kernarg_size 40
		.amdhsa_user_sgpr_count 6
		.amdhsa_user_sgpr_private_segment_buffer 1
		.amdhsa_user_sgpr_dispatch_ptr 0
		.amdhsa_user_sgpr_queue_ptr 0
		.amdhsa_user_sgpr_kernarg_segment_ptr 1
		.amdhsa_user_sgpr_dispatch_id 0
		.amdhsa_user_sgpr_flat_scratch_init 0
		.amdhsa_user_sgpr_kernarg_preload_length 0
		.amdhsa_user_sgpr_kernarg_preload_offset 0
		.amdhsa_user_sgpr_private_segment_size 0
		.amdhsa_uses_dynamic_stack 0
		.amdhsa_system_sgpr_private_segment_wavefront_offset 0
		.amdhsa_system_sgpr_workgroup_id_x 1
		.amdhsa_system_sgpr_workgroup_id_y 0
		.amdhsa_system_sgpr_workgroup_id_z 0
		.amdhsa_system_sgpr_workgroup_info 0
		.amdhsa_system_vgpr_workitem_id 0
		.amdhsa_next_free_vgpr 41
		.amdhsa_next_free_sgpr 6
		.amdhsa_accum_offset 44
		.amdhsa_reserve_vcc 1
		.amdhsa_reserve_flat_scratch 0
		.amdhsa_float_round_mode_32 0
		.amdhsa_float_round_mode_16_64 0
		.amdhsa_float_denorm_mode_32 3
		.amdhsa_float_denorm_mode_16_64 3
		.amdhsa_dx10_clamp 1
		.amdhsa_ieee_mode 1
		.amdhsa_fp16_overflow 0
		.amdhsa_tg_split 0
		.amdhsa_exception_fp_ieee_invalid_op 0
		.amdhsa_exception_fp_denorm_src 0
		.amdhsa_exception_fp_ieee_div_zero 0
		.amdhsa_exception_fp_ieee_overflow 0
		.amdhsa_exception_fp_ieee_underflow 0
		.amdhsa_exception_fp_ieee_inexact 0
		.amdhsa_exception_int_div_zero 0
	.end_amdhsa_kernel
	.section	.text._ZN7rocprim17ROCPRIM_400000_NS6detail17trampoline_kernelINS0_14default_configENS1_20scan_config_selectorIsEEZZNS1_9scan_implILNS1_25lookback_scan_determinismE0ELb0ELb0ES3_N6thrust23THRUST_200600_302600_NS6detail15normal_iteratorINS9_10device_ptrIsEEEENS9_16discard_iteratorINS9_11use_defaultEEEs11max_functorIsEsEEDaPvRmT3_T4_T5_mT6_P12ihipStream_tbENKUlT_T0_E_clISt17integral_constantIbLb0EESW_IbLb1EEEEDaSS_ST_EUlSS_E0_NS1_11comp_targetILNS1_3genE4ELNS1_11target_archE910ELNS1_3gpuE8ELNS1_3repE0EEENS1_30default_config_static_selectorELNS0_4arch9wavefront6targetE1EEEvT1_,"axG",@progbits,_ZN7rocprim17ROCPRIM_400000_NS6detail17trampoline_kernelINS0_14default_configENS1_20scan_config_selectorIsEEZZNS1_9scan_implILNS1_25lookback_scan_determinismE0ELb0ELb0ES3_N6thrust23THRUST_200600_302600_NS6detail15normal_iteratorINS9_10device_ptrIsEEEENS9_16discard_iteratorINS9_11use_defaultEEEs11max_functorIsEsEEDaPvRmT3_T4_T5_mT6_P12ihipStream_tbENKUlT_T0_E_clISt17integral_constantIbLb0EESW_IbLb1EEEEDaSS_ST_EUlSS_E0_NS1_11comp_targetILNS1_3genE4ELNS1_11target_archE910ELNS1_3gpuE8ELNS1_3repE0EEENS1_30default_config_static_selectorELNS0_4arch9wavefront6targetE1EEEvT1_,comdat
.Lfunc_end4063:
	.size	_ZN7rocprim17ROCPRIM_400000_NS6detail17trampoline_kernelINS0_14default_configENS1_20scan_config_selectorIsEEZZNS1_9scan_implILNS1_25lookback_scan_determinismE0ELb0ELb0ES3_N6thrust23THRUST_200600_302600_NS6detail15normal_iteratorINS9_10device_ptrIsEEEENS9_16discard_iteratorINS9_11use_defaultEEEs11max_functorIsEsEEDaPvRmT3_T4_T5_mT6_P12ihipStream_tbENKUlT_T0_E_clISt17integral_constantIbLb0EESW_IbLb1EEEEDaSS_ST_EUlSS_E0_NS1_11comp_targetILNS1_3genE4ELNS1_11target_archE910ELNS1_3gpuE8ELNS1_3repE0EEENS1_30default_config_static_selectorELNS0_4arch9wavefront6targetE1EEEvT1_, .Lfunc_end4063-_ZN7rocprim17ROCPRIM_400000_NS6detail17trampoline_kernelINS0_14default_configENS1_20scan_config_selectorIsEEZZNS1_9scan_implILNS1_25lookback_scan_determinismE0ELb0ELb0ES3_N6thrust23THRUST_200600_302600_NS6detail15normal_iteratorINS9_10device_ptrIsEEEENS9_16discard_iteratorINS9_11use_defaultEEEs11max_functorIsEsEEDaPvRmT3_T4_T5_mT6_P12ihipStream_tbENKUlT_T0_E_clISt17integral_constantIbLb0EESW_IbLb1EEEEDaSS_ST_EUlSS_E0_NS1_11comp_targetILNS1_3genE4ELNS1_11target_archE910ELNS1_3gpuE8ELNS1_3repE0EEENS1_30default_config_static_selectorELNS0_4arch9wavefront6targetE1EEEvT1_
                                        ; -- End function
	.section	.AMDGPU.csdata,"",@progbits
; Kernel info:
; codeLenInByte = 1856
; NumSgprs: 10
; NumVgprs: 41
; NumAgprs: 0
; TotalNumVgprs: 41
; ScratchSize: 0
; MemoryBound: 0
; FloatMode: 240
; IeeeMode: 1
; LDSByteSize: 3072 bytes/workgroup (compile time only)
; SGPRBlocks: 1
; VGPRBlocks: 5
; NumSGPRsForWavesPerEU: 10
; NumVGPRsForWavesPerEU: 41
; AccumOffset: 44
; Occupancy: 6
; WaveLimiterHint : 0
; COMPUTE_PGM_RSRC2:SCRATCH_EN: 0
; COMPUTE_PGM_RSRC2:USER_SGPR: 6
; COMPUTE_PGM_RSRC2:TRAP_HANDLER: 0
; COMPUTE_PGM_RSRC2:TGID_X_EN: 1
; COMPUTE_PGM_RSRC2:TGID_Y_EN: 0
; COMPUTE_PGM_RSRC2:TGID_Z_EN: 0
; COMPUTE_PGM_RSRC2:TIDIG_COMP_CNT: 0
; COMPUTE_PGM_RSRC3_GFX90A:ACCUM_OFFSET: 10
; COMPUTE_PGM_RSRC3_GFX90A:TG_SPLIT: 0
	.section	.text._ZN7rocprim17ROCPRIM_400000_NS6detail17trampoline_kernelINS0_14default_configENS1_20scan_config_selectorIsEEZZNS1_9scan_implILNS1_25lookback_scan_determinismE0ELb0ELb0ES3_N6thrust23THRUST_200600_302600_NS6detail15normal_iteratorINS9_10device_ptrIsEEEENS9_16discard_iteratorINS9_11use_defaultEEEs11max_functorIsEsEEDaPvRmT3_T4_T5_mT6_P12ihipStream_tbENKUlT_T0_E_clISt17integral_constantIbLb0EESW_IbLb1EEEEDaSS_ST_EUlSS_E0_NS1_11comp_targetILNS1_3genE3ELNS1_11target_archE908ELNS1_3gpuE7ELNS1_3repE0EEENS1_30default_config_static_selectorELNS0_4arch9wavefront6targetE1EEEvT1_,"axG",@progbits,_ZN7rocprim17ROCPRIM_400000_NS6detail17trampoline_kernelINS0_14default_configENS1_20scan_config_selectorIsEEZZNS1_9scan_implILNS1_25lookback_scan_determinismE0ELb0ELb0ES3_N6thrust23THRUST_200600_302600_NS6detail15normal_iteratorINS9_10device_ptrIsEEEENS9_16discard_iteratorINS9_11use_defaultEEEs11max_functorIsEsEEDaPvRmT3_T4_T5_mT6_P12ihipStream_tbENKUlT_T0_E_clISt17integral_constantIbLb0EESW_IbLb1EEEEDaSS_ST_EUlSS_E0_NS1_11comp_targetILNS1_3genE3ELNS1_11target_archE908ELNS1_3gpuE7ELNS1_3repE0EEENS1_30default_config_static_selectorELNS0_4arch9wavefront6targetE1EEEvT1_,comdat
	.protected	_ZN7rocprim17ROCPRIM_400000_NS6detail17trampoline_kernelINS0_14default_configENS1_20scan_config_selectorIsEEZZNS1_9scan_implILNS1_25lookback_scan_determinismE0ELb0ELb0ES3_N6thrust23THRUST_200600_302600_NS6detail15normal_iteratorINS9_10device_ptrIsEEEENS9_16discard_iteratorINS9_11use_defaultEEEs11max_functorIsEsEEDaPvRmT3_T4_T5_mT6_P12ihipStream_tbENKUlT_T0_E_clISt17integral_constantIbLb0EESW_IbLb1EEEEDaSS_ST_EUlSS_E0_NS1_11comp_targetILNS1_3genE3ELNS1_11target_archE908ELNS1_3gpuE7ELNS1_3repE0EEENS1_30default_config_static_selectorELNS0_4arch9wavefront6targetE1EEEvT1_ ; -- Begin function _ZN7rocprim17ROCPRIM_400000_NS6detail17trampoline_kernelINS0_14default_configENS1_20scan_config_selectorIsEEZZNS1_9scan_implILNS1_25lookback_scan_determinismE0ELb0ELb0ES3_N6thrust23THRUST_200600_302600_NS6detail15normal_iteratorINS9_10device_ptrIsEEEENS9_16discard_iteratorINS9_11use_defaultEEEs11max_functorIsEsEEDaPvRmT3_T4_T5_mT6_P12ihipStream_tbENKUlT_T0_E_clISt17integral_constantIbLb0EESW_IbLb1EEEEDaSS_ST_EUlSS_E0_NS1_11comp_targetILNS1_3genE3ELNS1_11target_archE908ELNS1_3gpuE7ELNS1_3repE0EEENS1_30default_config_static_selectorELNS0_4arch9wavefront6targetE1EEEvT1_
	.globl	_ZN7rocprim17ROCPRIM_400000_NS6detail17trampoline_kernelINS0_14default_configENS1_20scan_config_selectorIsEEZZNS1_9scan_implILNS1_25lookback_scan_determinismE0ELb0ELb0ES3_N6thrust23THRUST_200600_302600_NS6detail15normal_iteratorINS9_10device_ptrIsEEEENS9_16discard_iteratorINS9_11use_defaultEEEs11max_functorIsEsEEDaPvRmT3_T4_T5_mT6_P12ihipStream_tbENKUlT_T0_E_clISt17integral_constantIbLb0EESW_IbLb1EEEEDaSS_ST_EUlSS_E0_NS1_11comp_targetILNS1_3genE3ELNS1_11target_archE908ELNS1_3gpuE7ELNS1_3repE0EEENS1_30default_config_static_selectorELNS0_4arch9wavefront6targetE1EEEvT1_
	.p2align	8
	.type	_ZN7rocprim17ROCPRIM_400000_NS6detail17trampoline_kernelINS0_14default_configENS1_20scan_config_selectorIsEEZZNS1_9scan_implILNS1_25lookback_scan_determinismE0ELb0ELb0ES3_N6thrust23THRUST_200600_302600_NS6detail15normal_iteratorINS9_10device_ptrIsEEEENS9_16discard_iteratorINS9_11use_defaultEEEs11max_functorIsEsEEDaPvRmT3_T4_T5_mT6_P12ihipStream_tbENKUlT_T0_E_clISt17integral_constantIbLb0EESW_IbLb1EEEEDaSS_ST_EUlSS_E0_NS1_11comp_targetILNS1_3genE3ELNS1_11target_archE908ELNS1_3gpuE7ELNS1_3repE0EEENS1_30default_config_static_selectorELNS0_4arch9wavefront6targetE1EEEvT1_,@function
_ZN7rocprim17ROCPRIM_400000_NS6detail17trampoline_kernelINS0_14default_configENS1_20scan_config_selectorIsEEZZNS1_9scan_implILNS1_25lookback_scan_determinismE0ELb0ELb0ES3_N6thrust23THRUST_200600_302600_NS6detail15normal_iteratorINS9_10device_ptrIsEEEENS9_16discard_iteratorINS9_11use_defaultEEEs11max_functorIsEsEEDaPvRmT3_T4_T5_mT6_P12ihipStream_tbENKUlT_T0_E_clISt17integral_constantIbLb0EESW_IbLb1EEEEDaSS_ST_EUlSS_E0_NS1_11comp_targetILNS1_3genE3ELNS1_11target_archE908ELNS1_3gpuE7ELNS1_3repE0EEENS1_30default_config_static_selectorELNS0_4arch9wavefront6targetE1EEEvT1_: ; @_ZN7rocprim17ROCPRIM_400000_NS6detail17trampoline_kernelINS0_14default_configENS1_20scan_config_selectorIsEEZZNS1_9scan_implILNS1_25lookback_scan_determinismE0ELb0ELb0ES3_N6thrust23THRUST_200600_302600_NS6detail15normal_iteratorINS9_10device_ptrIsEEEENS9_16discard_iteratorINS9_11use_defaultEEEs11max_functorIsEsEEDaPvRmT3_T4_T5_mT6_P12ihipStream_tbENKUlT_T0_E_clISt17integral_constantIbLb0EESW_IbLb1EEEEDaSS_ST_EUlSS_E0_NS1_11comp_targetILNS1_3genE3ELNS1_11target_archE908ELNS1_3gpuE7ELNS1_3repE0EEENS1_30default_config_static_selectorELNS0_4arch9wavefront6targetE1EEEvT1_
; %bb.0:
	.section	.rodata,"a",@progbits
	.p2align	6, 0x0
	.amdhsa_kernel _ZN7rocprim17ROCPRIM_400000_NS6detail17trampoline_kernelINS0_14default_configENS1_20scan_config_selectorIsEEZZNS1_9scan_implILNS1_25lookback_scan_determinismE0ELb0ELb0ES3_N6thrust23THRUST_200600_302600_NS6detail15normal_iteratorINS9_10device_ptrIsEEEENS9_16discard_iteratorINS9_11use_defaultEEEs11max_functorIsEsEEDaPvRmT3_T4_T5_mT6_P12ihipStream_tbENKUlT_T0_E_clISt17integral_constantIbLb0EESW_IbLb1EEEEDaSS_ST_EUlSS_E0_NS1_11comp_targetILNS1_3genE3ELNS1_11target_archE908ELNS1_3gpuE7ELNS1_3repE0EEENS1_30default_config_static_selectorELNS0_4arch9wavefront6targetE1EEEvT1_
		.amdhsa_group_segment_fixed_size 0
		.amdhsa_private_segment_fixed_size 0
		.amdhsa_kernarg_size 40
		.amdhsa_user_sgpr_count 6
		.amdhsa_user_sgpr_private_segment_buffer 1
		.amdhsa_user_sgpr_dispatch_ptr 0
		.amdhsa_user_sgpr_queue_ptr 0
		.amdhsa_user_sgpr_kernarg_segment_ptr 1
		.amdhsa_user_sgpr_dispatch_id 0
		.amdhsa_user_sgpr_flat_scratch_init 0
		.amdhsa_user_sgpr_kernarg_preload_length 0
		.amdhsa_user_sgpr_kernarg_preload_offset 0
		.amdhsa_user_sgpr_private_segment_size 0
		.amdhsa_uses_dynamic_stack 0
		.amdhsa_system_sgpr_private_segment_wavefront_offset 0
		.amdhsa_system_sgpr_workgroup_id_x 1
		.amdhsa_system_sgpr_workgroup_id_y 0
		.amdhsa_system_sgpr_workgroup_id_z 0
		.amdhsa_system_sgpr_workgroup_info 0
		.amdhsa_system_vgpr_workitem_id 0
		.amdhsa_next_free_vgpr 1
		.amdhsa_next_free_sgpr 0
		.amdhsa_accum_offset 4
		.amdhsa_reserve_vcc 0
		.amdhsa_reserve_flat_scratch 0
		.amdhsa_float_round_mode_32 0
		.amdhsa_float_round_mode_16_64 0
		.amdhsa_float_denorm_mode_32 3
		.amdhsa_float_denorm_mode_16_64 3
		.amdhsa_dx10_clamp 1
		.amdhsa_ieee_mode 1
		.amdhsa_fp16_overflow 0
		.amdhsa_tg_split 0
		.amdhsa_exception_fp_ieee_invalid_op 0
		.amdhsa_exception_fp_denorm_src 0
		.amdhsa_exception_fp_ieee_div_zero 0
		.amdhsa_exception_fp_ieee_overflow 0
		.amdhsa_exception_fp_ieee_underflow 0
		.amdhsa_exception_fp_ieee_inexact 0
		.amdhsa_exception_int_div_zero 0
	.end_amdhsa_kernel
	.section	.text._ZN7rocprim17ROCPRIM_400000_NS6detail17trampoline_kernelINS0_14default_configENS1_20scan_config_selectorIsEEZZNS1_9scan_implILNS1_25lookback_scan_determinismE0ELb0ELb0ES3_N6thrust23THRUST_200600_302600_NS6detail15normal_iteratorINS9_10device_ptrIsEEEENS9_16discard_iteratorINS9_11use_defaultEEEs11max_functorIsEsEEDaPvRmT3_T4_T5_mT6_P12ihipStream_tbENKUlT_T0_E_clISt17integral_constantIbLb0EESW_IbLb1EEEEDaSS_ST_EUlSS_E0_NS1_11comp_targetILNS1_3genE3ELNS1_11target_archE908ELNS1_3gpuE7ELNS1_3repE0EEENS1_30default_config_static_selectorELNS0_4arch9wavefront6targetE1EEEvT1_,"axG",@progbits,_ZN7rocprim17ROCPRIM_400000_NS6detail17trampoline_kernelINS0_14default_configENS1_20scan_config_selectorIsEEZZNS1_9scan_implILNS1_25lookback_scan_determinismE0ELb0ELb0ES3_N6thrust23THRUST_200600_302600_NS6detail15normal_iteratorINS9_10device_ptrIsEEEENS9_16discard_iteratorINS9_11use_defaultEEEs11max_functorIsEsEEDaPvRmT3_T4_T5_mT6_P12ihipStream_tbENKUlT_T0_E_clISt17integral_constantIbLb0EESW_IbLb1EEEEDaSS_ST_EUlSS_E0_NS1_11comp_targetILNS1_3genE3ELNS1_11target_archE908ELNS1_3gpuE7ELNS1_3repE0EEENS1_30default_config_static_selectorELNS0_4arch9wavefront6targetE1EEEvT1_,comdat
.Lfunc_end4064:
	.size	_ZN7rocprim17ROCPRIM_400000_NS6detail17trampoline_kernelINS0_14default_configENS1_20scan_config_selectorIsEEZZNS1_9scan_implILNS1_25lookback_scan_determinismE0ELb0ELb0ES3_N6thrust23THRUST_200600_302600_NS6detail15normal_iteratorINS9_10device_ptrIsEEEENS9_16discard_iteratorINS9_11use_defaultEEEs11max_functorIsEsEEDaPvRmT3_T4_T5_mT6_P12ihipStream_tbENKUlT_T0_E_clISt17integral_constantIbLb0EESW_IbLb1EEEEDaSS_ST_EUlSS_E0_NS1_11comp_targetILNS1_3genE3ELNS1_11target_archE908ELNS1_3gpuE7ELNS1_3repE0EEENS1_30default_config_static_selectorELNS0_4arch9wavefront6targetE1EEEvT1_, .Lfunc_end4064-_ZN7rocprim17ROCPRIM_400000_NS6detail17trampoline_kernelINS0_14default_configENS1_20scan_config_selectorIsEEZZNS1_9scan_implILNS1_25lookback_scan_determinismE0ELb0ELb0ES3_N6thrust23THRUST_200600_302600_NS6detail15normal_iteratorINS9_10device_ptrIsEEEENS9_16discard_iteratorINS9_11use_defaultEEEs11max_functorIsEsEEDaPvRmT3_T4_T5_mT6_P12ihipStream_tbENKUlT_T0_E_clISt17integral_constantIbLb0EESW_IbLb1EEEEDaSS_ST_EUlSS_E0_NS1_11comp_targetILNS1_3genE3ELNS1_11target_archE908ELNS1_3gpuE7ELNS1_3repE0EEENS1_30default_config_static_selectorELNS0_4arch9wavefront6targetE1EEEvT1_
                                        ; -- End function
	.section	.AMDGPU.csdata,"",@progbits
; Kernel info:
; codeLenInByte = 0
; NumSgprs: 4
; NumVgprs: 0
; NumAgprs: 0
; TotalNumVgprs: 0
; ScratchSize: 0
; MemoryBound: 0
; FloatMode: 240
; IeeeMode: 1
; LDSByteSize: 0 bytes/workgroup (compile time only)
; SGPRBlocks: 0
; VGPRBlocks: 0
; NumSGPRsForWavesPerEU: 4
; NumVGPRsForWavesPerEU: 1
; AccumOffset: 4
; Occupancy: 8
; WaveLimiterHint : 0
; COMPUTE_PGM_RSRC2:SCRATCH_EN: 0
; COMPUTE_PGM_RSRC2:USER_SGPR: 6
; COMPUTE_PGM_RSRC2:TRAP_HANDLER: 0
; COMPUTE_PGM_RSRC2:TGID_X_EN: 1
; COMPUTE_PGM_RSRC2:TGID_Y_EN: 0
; COMPUTE_PGM_RSRC2:TGID_Z_EN: 0
; COMPUTE_PGM_RSRC2:TIDIG_COMP_CNT: 0
; COMPUTE_PGM_RSRC3_GFX90A:ACCUM_OFFSET: 0
; COMPUTE_PGM_RSRC3_GFX90A:TG_SPLIT: 0
	.section	.text._ZN7rocprim17ROCPRIM_400000_NS6detail17trampoline_kernelINS0_14default_configENS1_20scan_config_selectorIsEEZZNS1_9scan_implILNS1_25lookback_scan_determinismE0ELb0ELb0ES3_N6thrust23THRUST_200600_302600_NS6detail15normal_iteratorINS9_10device_ptrIsEEEENS9_16discard_iteratorINS9_11use_defaultEEEs11max_functorIsEsEEDaPvRmT3_T4_T5_mT6_P12ihipStream_tbENKUlT_T0_E_clISt17integral_constantIbLb0EESW_IbLb1EEEEDaSS_ST_EUlSS_E0_NS1_11comp_targetILNS1_3genE2ELNS1_11target_archE906ELNS1_3gpuE6ELNS1_3repE0EEENS1_30default_config_static_selectorELNS0_4arch9wavefront6targetE1EEEvT1_,"axG",@progbits,_ZN7rocprim17ROCPRIM_400000_NS6detail17trampoline_kernelINS0_14default_configENS1_20scan_config_selectorIsEEZZNS1_9scan_implILNS1_25lookback_scan_determinismE0ELb0ELb0ES3_N6thrust23THRUST_200600_302600_NS6detail15normal_iteratorINS9_10device_ptrIsEEEENS9_16discard_iteratorINS9_11use_defaultEEEs11max_functorIsEsEEDaPvRmT3_T4_T5_mT6_P12ihipStream_tbENKUlT_T0_E_clISt17integral_constantIbLb0EESW_IbLb1EEEEDaSS_ST_EUlSS_E0_NS1_11comp_targetILNS1_3genE2ELNS1_11target_archE906ELNS1_3gpuE6ELNS1_3repE0EEENS1_30default_config_static_selectorELNS0_4arch9wavefront6targetE1EEEvT1_,comdat
	.protected	_ZN7rocprim17ROCPRIM_400000_NS6detail17trampoline_kernelINS0_14default_configENS1_20scan_config_selectorIsEEZZNS1_9scan_implILNS1_25lookback_scan_determinismE0ELb0ELb0ES3_N6thrust23THRUST_200600_302600_NS6detail15normal_iteratorINS9_10device_ptrIsEEEENS9_16discard_iteratorINS9_11use_defaultEEEs11max_functorIsEsEEDaPvRmT3_T4_T5_mT6_P12ihipStream_tbENKUlT_T0_E_clISt17integral_constantIbLb0EESW_IbLb1EEEEDaSS_ST_EUlSS_E0_NS1_11comp_targetILNS1_3genE2ELNS1_11target_archE906ELNS1_3gpuE6ELNS1_3repE0EEENS1_30default_config_static_selectorELNS0_4arch9wavefront6targetE1EEEvT1_ ; -- Begin function _ZN7rocprim17ROCPRIM_400000_NS6detail17trampoline_kernelINS0_14default_configENS1_20scan_config_selectorIsEEZZNS1_9scan_implILNS1_25lookback_scan_determinismE0ELb0ELb0ES3_N6thrust23THRUST_200600_302600_NS6detail15normal_iteratorINS9_10device_ptrIsEEEENS9_16discard_iteratorINS9_11use_defaultEEEs11max_functorIsEsEEDaPvRmT3_T4_T5_mT6_P12ihipStream_tbENKUlT_T0_E_clISt17integral_constantIbLb0EESW_IbLb1EEEEDaSS_ST_EUlSS_E0_NS1_11comp_targetILNS1_3genE2ELNS1_11target_archE906ELNS1_3gpuE6ELNS1_3repE0EEENS1_30default_config_static_selectorELNS0_4arch9wavefront6targetE1EEEvT1_
	.globl	_ZN7rocprim17ROCPRIM_400000_NS6detail17trampoline_kernelINS0_14default_configENS1_20scan_config_selectorIsEEZZNS1_9scan_implILNS1_25lookback_scan_determinismE0ELb0ELb0ES3_N6thrust23THRUST_200600_302600_NS6detail15normal_iteratorINS9_10device_ptrIsEEEENS9_16discard_iteratorINS9_11use_defaultEEEs11max_functorIsEsEEDaPvRmT3_T4_T5_mT6_P12ihipStream_tbENKUlT_T0_E_clISt17integral_constantIbLb0EESW_IbLb1EEEEDaSS_ST_EUlSS_E0_NS1_11comp_targetILNS1_3genE2ELNS1_11target_archE906ELNS1_3gpuE6ELNS1_3repE0EEENS1_30default_config_static_selectorELNS0_4arch9wavefront6targetE1EEEvT1_
	.p2align	8
	.type	_ZN7rocprim17ROCPRIM_400000_NS6detail17trampoline_kernelINS0_14default_configENS1_20scan_config_selectorIsEEZZNS1_9scan_implILNS1_25lookback_scan_determinismE0ELb0ELb0ES3_N6thrust23THRUST_200600_302600_NS6detail15normal_iteratorINS9_10device_ptrIsEEEENS9_16discard_iteratorINS9_11use_defaultEEEs11max_functorIsEsEEDaPvRmT3_T4_T5_mT6_P12ihipStream_tbENKUlT_T0_E_clISt17integral_constantIbLb0EESW_IbLb1EEEEDaSS_ST_EUlSS_E0_NS1_11comp_targetILNS1_3genE2ELNS1_11target_archE906ELNS1_3gpuE6ELNS1_3repE0EEENS1_30default_config_static_selectorELNS0_4arch9wavefront6targetE1EEEvT1_,@function
_ZN7rocprim17ROCPRIM_400000_NS6detail17trampoline_kernelINS0_14default_configENS1_20scan_config_selectorIsEEZZNS1_9scan_implILNS1_25lookback_scan_determinismE0ELb0ELb0ES3_N6thrust23THRUST_200600_302600_NS6detail15normal_iteratorINS9_10device_ptrIsEEEENS9_16discard_iteratorINS9_11use_defaultEEEs11max_functorIsEsEEDaPvRmT3_T4_T5_mT6_P12ihipStream_tbENKUlT_T0_E_clISt17integral_constantIbLb0EESW_IbLb1EEEEDaSS_ST_EUlSS_E0_NS1_11comp_targetILNS1_3genE2ELNS1_11target_archE906ELNS1_3gpuE6ELNS1_3repE0EEENS1_30default_config_static_selectorELNS0_4arch9wavefront6targetE1EEEvT1_: ; @_ZN7rocprim17ROCPRIM_400000_NS6detail17trampoline_kernelINS0_14default_configENS1_20scan_config_selectorIsEEZZNS1_9scan_implILNS1_25lookback_scan_determinismE0ELb0ELb0ES3_N6thrust23THRUST_200600_302600_NS6detail15normal_iteratorINS9_10device_ptrIsEEEENS9_16discard_iteratorINS9_11use_defaultEEEs11max_functorIsEsEEDaPvRmT3_T4_T5_mT6_P12ihipStream_tbENKUlT_T0_E_clISt17integral_constantIbLb0EESW_IbLb1EEEEDaSS_ST_EUlSS_E0_NS1_11comp_targetILNS1_3genE2ELNS1_11target_archE906ELNS1_3gpuE6ELNS1_3repE0EEENS1_30default_config_static_selectorELNS0_4arch9wavefront6targetE1EEEvT1_
; %bb.0:
	.section	.rodata,"a",@progbits
	.p2align	6, 0x0
	.amdhsa_kernel _ZN7rocprim17ROCPRIM_400000_NS6detail17trampoline_kernelINS0_14default_configENS1_20scan_config_selectorIsEEZZNS1_9scan_implILNS1_25lookback_scan_determinismE0ELb0ELb0ES3_N6thrust23THRUST_200600_302600_NS6detail15normal_iteratorINS9_10device_ptrIsEEEENS9_16discard_iteratorINS9_11use_defaultEEEs11max_functorIsEsEEDaPvRmT3_T4_T5_mT6_P12ihipStream_tbENKUlT_T0_E_clISt17integral_constantIbLb0EESW_IbLb1EEEEDaSS_ST_EUlSS_E0_NS1_11comp_targetILNS1_3genE2ELNS1_11target_archE906ELNS1_3gpuE6ELNS1_3repE0EEENS1_30default_config_static_selectorELNS0_4arch9wavefront6targetE1EEEvT1_
		.amdhsa_group_segment_fixed_size 0
		.amdhsa_private_segment_fixed_size 0
		.amdhsa_kernarg_size 40
		.amdhsa_user_sgpr_count 6
		.amdhsa_user_sgpr_private_segment_buffer 1
		.amdhsa_user_sgpr_dispatch_ptr 0
		.amdhsa_user_sgpr_queue_ptr 0
		.amdhsa_user_sgpr_kernarg_segment_ptr 1
		.amdhsa_user_sgpr_dispatch_id 0
		.amdhsa_user_sgpr_flat_scratch_init 0
		.amdhsa_user_sgpr_kernarg_preload_length 0
		.amdhsa_user_sgpr_kernarg_preload_offset 0
		.amdhsa_user_sgpr_private_segment_size 0
		.amdhsa_uses_dynamic_stack 0
		.amdhsa_system_sgpr_private_segment_wavefront_offset 0
		.amdhsa_system_sgpr_workgroup_id_x 1
		.amdhsa_system_sgpr_workgroup_id_y 0
		.amdhsa_system_sgpr_workgroup_id_z 0
		.amdhsa_system_sgpr_workgroup_info 0
		.amdhsa_system_vgpr_workitem_id 0
		.amdhsa_next_free_vgpr 1
		.amdhsa_next_free_sgpr 0
		.amdhsa_accum_offset 4
		.amdhsa_reserve_vcc 0
		.amdhsa_reserve_flat_scratch 0
		.amdhsa_float_round_mode_32 0
		.amdhsa_float_round_mode_16_64 0
		.amdhsa_float_denorm_mode_32 3
		.amdhsa_float_denorm_mode_16_64 3
		.amdhsa_dx10_clamp 1
		.amdhsa_ieee_mode 1
		.amdhsa_fp16_overflow 0
		.amdhsa_tg_split 0
		.amdhsa_exception_fp_ieee_invalid_op 0
		.amdhsa_exception_fp_denorm_src 0
		.amdhsa_exception_fp_ieee_div_zero 0
		.amdhsa_exception_fp_ieee_overflow 0
		.amdhsa_exception_fp_ieee_underflow 0
		.amdhsa_exception_fp_ieee_inexact 0
		.amdhsa_exception_int_div_zero 0
	.end_amdhsa_kernel
	.section	.text._ZN7rocprim17ROCPRIM_400000_NS6detail17trampoline_kernelINS0_14default_configENS1_20scan_config_selectorIsEEZZNS1_9scan_implILNS1_25lookback_scan_determinismE0ELb0ELb0ES3_N6thrust23THRUST_200600_302600_NS6detail15normal_iteratorINS9_10device_ptrIsEEEENS9_16discard_iteratorINS9_11use_defaultEEEs11max_functorIsEsEEDaPvRmT3_T4_T5_mT6_P12ihipStream_tbENKUlT_T0_E_clISt17integral_constantIbLb0EESW_IbLb1EEEEDaSS_ST_EUlSS_E0_NS1_11comp_targetILNS1_3genE2ELNS1_11target_archE906ELNS1_3gpuE6ELNS1_3repE0EEENS1_30default_config_static_selectorELNS0_4arch9wavefront6targetE1EEEvT1_,"axG",@progbits,_ZN7rocprim17ROCPRIM_400000_NS6detail17trampoline_kernelINS0_14default_configENS1_20scan_config_selectorIsEEZZNS1_9scan_implILNS1_25lookback_scan_determinismE0ELb0ELb0ES3_N6thrust23THRUST_200600_302600_NS6detail15normal_iteratorINS9_10device_ptrIsEEEENS9_16discard_iteratorINS9_11use_defaultEEEs11max_functorIsEsEEDaPvRmT3_T4_T5_mT6_P12ihipStream_tbENKUlT_T0_E_clISt17integral_constantIbLb0EESW_IbLb1EEEEDaSS_ST_EUlSS_E0_NS1_11comp_targetILNS1_3genE2ELNS1_11target_archE906ELNS1_3gpuE6ELNS1_3repE0EEENS1_30default_config_static_selectorELNS0_4arch9wavefront6targetE1EEEvT1_,comdat
.Lfunc_end4065:
	.size	_ZN7rocprim17ROCPRIM_400000_NS6detail17trampoline_kernelINS0_14default_configENS1_20scan_config_selectorIsEEZZNS1_9scan_implILNS1_25lookback_scan_determinismE0ELb0ELb0ES3_N6thrust23THRUST_200600_302600_NS6detail15normal_iteratorINS9_10device_ptrIsEEEENS9_16discard_iteratorINS9_11use_defaultEEEs11max_functorIsEsEEDaPvRmT3_T4_T5_mT6_P12ihipStream_tbENKUlT_T0_E_clISt17integral_constantIbLb0EESW_IbLb1EEEEDaSS_ST_EUlSS_E0_NS1_11comp_targetILNS1_3genE2ELNS1_11target_archE906ELNS1_3gpuE6ELNS1_3repE0EEENS1_30default_config_static_selectorELNS0_4arch9wavefront6targetE1EEEvT1_, .Lfunc_end4065-_ZN7rocprim17ROCPRIM_400000_NS6detail17trampoline_kernelINS0_14default_configENS1_20scan_config_selectorIsEEZZNS1_9scan_implILNS1_25lookback_scan_determinismE0ELb0ELb0ES3_N6thrust23THRUST_200600_302600_NS6detail15normal_iteratorINS9_10device_ptrIsEEEENS9_16discard_iteratorINS9_11use_defaultEEEs11max_functorIsEsEEDaPvRmT3_T4_T5_mT6_P12ihipStream_tbENKUlT_T0_E_clISt17integral_constantIbLb0EESW_IbLb1EEEEDaSS_ST_EUlSS_E0_NS1_11comp_targetILNS1_3genE2ELNS1_11target_archE906ELNS1_3gpuE6ELNS1_3repE0EEENS1_30default_config_static_selectorELNS0_4arch9wavefront6targetE1EEEvT1_
                                        ; -- End function
	.section	.AMDGPU.csdata,"",@progbits
; Kernel info:
; codeLenInByte = 0
; NumSgprs: 4
; NumVgprs: 0
; NumAgprs: 0
; TotalNumVgprs: 0
; ScratchSize: 0
; MemoryBound: 0
; FloatMode: 240
; IeeeMode: 1
; LDSByteSize: 0 bytes/workgroup (compile time only)
; SGPRBlocks: 0
; VGPRBlocks: 0
; NumSGPRsForWavesPerEU: 4
; NumVGPRsForWavesPerEU: 1
; AccumOffset: 4
; Occupancy: 8
; WaveLimiterHint : 0
; COMPUTE_PGM_RSRC2:SCRATCH_EN: 0
; COMPUTE_PGM_RSRC2:USER_SGPR: 6
; COMPUTE_PGM_RSRC2:TRAP_HANDLER: 0
; COMPUTE_PGM_RSRC2:TGID_X_EN: 1
; COMPUTE_PGM_RSRC2:TGID_Y_EN: 0
; COMPUTE_PGM_RSRC2:TGID_Z_EN: 0
; COMPUTE_PGM_RSRC2:TIDIG_COMP_CNT: 0
; COMPUTE_PGM_RSRC3_GFX90A:ACCUM_OFFSET: 0
; COMPUTE_PGM_RSRC3_GFX90A:TG_SPLIT: 0
	.section	.text._ZN7rocprim17ROCPRIM_400000_NS6detail17trampoline_kernelINS0_14default_configENS1_20scan_config_selectorIsEEZZNS1_9scan_implILNS1_25lookback_scan_determinismE0ELb0ELb0ES3_N6thrust23THRUST_200600_302600_NS6detail15normal_iteratorINS9_10device_ptrIsEEEENS9_16discard_iteratorINS9_11use_defaultEEEs11max_functorIsEsEEDaPvRmT3_T4_T5_mT6_P12ihipStream_tbENKUlT_T0_E_clISt17integral_constantIbLb0EESW_IbLb1EEEEDaSS_ST_EUlSS_E0_NS1_11comp_targetILNS1_3genE10ELNS1_11target_archE1201ELNS1_3gpuE5ELNS1_3repE0EEENS1_30default_config_static_selectorELNS0_4arch9wavefront6targetE1EEEvT1_,"axG",@progbits,_ZN7rocprim17ROCPRIM_400000_NS6detail17trampoline_kernelINS0_14default_configENS1_20scan_config_selectorIsEEZZNS1_9scan_implILNS1_25lookback_scan_determinismE0ELb0ELb0ES3_N6thrust23THRUST_200600_302600_NS6detail15normal_iteratorINS9_10device_ptrIsEEEENS9_16discard_iteratorINS9_11use_defaultEEEs11max_functorIsEsEEDaPvRmT3_T4_T5_mT6_P12ihipStream_tbENKUlT_T0_E_clISt17integral_constantIbLb0EESW_IbLb1EEEEDaSS_ST_EUlSS_E0_NS1_11comp_targetILNS1_3genE10ELNS1_11target_archE1201ELNS1_3gpuE5ELNS1_3repE0EEENS1_30default_config_static_selectorELNS0_4arch9wavefront6targetE1EEEvT1_,comdat
	.protected	_ZN7rocprim17ROCPRIM_400000_NS6detail17trampoline_kernelINS0_14default_configENS1_20scan_config_selectorIsEEZZNS1_9scan_implILNS1_25lookback_scan_determinismE0ELb0ELb0ES3_N6thrust23THRUST_200600_302600_NS6detail15normal_iteratorINS9_10device_ptrIsEEEENS9_16discard_iteratorINS9_11use_defaultEEEs11max_functorIsEsEEDaPvRmT3_T4_T5_mT6_P12ihipStream_tbENKUlT_T0_E_clISt17integral_constantIbLb0EESW_IbLb1EEEEDaSS_ST_EUlSS_E0_NS1_11comp_targetILNS1_3genE10ELNS1_11target_archE1201ELNS1_3gpuE5ELNS1_3repE0EEENS1_30default_config_static_selectorELNS0_4arch9wavefront6targetE1EEEvT1_ ; -- Begin function _ZN7rocprim17ROCPRIM_400000_NS6detail17trampoline_kernelINS0_14default_configENS1_20scan_config_selectorIsEEZZNS1_9scan_implILNS1_25lookback_scan_determinismE0ELb0ELb0ES3_N6thrust23THRUST_200600_302600_NS6detail15normal_iteratorINS9_10device_ptrIsEEEENS9_16discard_iteratorINS9_11use_defaultEEEs11max_functorIsEsEEDaPvRmT3_T4_T5_mT6_P12ihipStream_tbENKUlT_T0_E_clISt17integral_constantIbLb0EESW_IbLb1EEEEDaSS_ST_EUlSS_E0_NS1_11comp_targetILNS1_3genE10ELNS1_11target_archE1201ELNS1_3gpuE5ELNS1_3repE0EEENS1_30default_config_static_selectorELNS0_4arch9wavefront6targetE1EEEvT1_
	.globl	_ZN7rocprim17ROCPRIM_400000_NS6detail17trampoline_kernelINS0_14default_configENS1_20scan_config_selectorIsEEZZNS1_9scan_implILNS1_25lookback_scan_determinismE0ELb0ELb0ES3_N6thrust23THRUST_200600_302600_NS6detail15normal_iteratorINS9_10device_ptrIsEEEENS9_16discard_iteratorINS9_11use_defaultEEEs11max_functorIsEsEEDaPvRmT3_T4_T5_mT6_P12ihipStream_tbENKUlT_T0_E_clISt17integral_constantIbLb0EESW_IbLb1EEEEDaSS_ST_EUlSS_E0_NS1_11comp_targetILNS1_3genE10ELNS1_11target_archE1201ELNS1_3gpuE5ELNS1_3repE0EEENS1_30default_config_static_selectorELNS0_4arch9wavefront6targetE1EEEvT1_
	.p2align	8
	.type	_ZN7rocprim17ROCPRIM_400000_NS6detail17trampoline_kernelINS0_14default_configENS1_20scan_config_selectorIsEEZZNS1_9scan_implILNS1_25lookback_scan_determinismE0ELb0ELb0ES3_N6thrust23THRUST_200600_302600_NS6detail15normal_iteratorINS9_10device_ptrIsEEEENS9_16discard_iteratorINS9_11use_defaultEEEs11max_functorIsEsEEDaPvRmT3_T4_T5_mT6_P12ihipStream_tbENKUlT_T0_E_clISt17integral_constantIbLb0EESW_IbLb1EEEEDaSS_ST_EUlSS_E0_NS1_11comp_targetILNS1_3genE10ELNS1_11target_archE1201ELNS1_3gpuE5ELNS1_3repE0EEENS1_30default_config_static_selectorELNS0_4arch9wavefront6targetE1EEEvT1_,@function
_ZN7rocprim17ROCPRIM_400000_NS6detail17trampoline_kernelINS0_14default_configENS1_20scan_config_selectorIsEEZZNS1_9scan_implILNS1_25lookback_scan_determinismE0ELb0ELb0ES3_N6thrust23THRUST_200600_302600_NS6detail15normal_iteratorINS9_10device_ptrIsEEEENS9_16discard_iteratorINS9_11use_defaultEEEs11max_functorIsEsEEDaPvRmT3_T4_T5_mT6_P12ihipStream_tbENKUlT_T0_E_clISt17integral_constantIbLb0EESW_IbLb1EEEEDaSS_ST_EUlSS_E0_NS1_11comp_targetILNS1_3genE10ELNS1_11target_archE1201ELNS1_3gpuE5ELNS1_3repE0EEENS1_30default_config_static_selectorELNS0_4arch9wavefront6targetE1EEEvT1_: ; @_ZN7rocprim17ROCPRIM_400000_NS6detail17trampoline_kernelINS0_14default_configENS1_20scan_config_selectorIsEEZZNS1_9scan_implILNS1_25lookback_scan_determinismE0ELb0ELb0ES3_N6thrust23THRUST_200600_302600_NS6detail15normal_iteratorINS9_10device_ptrIsEEEENS9_16discard_iteratorINS9_11use_defaultEEEs11max_functorIsEsEEDaPvRmT3_T4_T5_mT6_P12ihipStream_tbENKUlT_T0_E_clISt17integral_constantIbLb0EESW_IbLb1EEEEDaSS_ST_EUlSS_E0_NS1_11comp_targetILNS1_3genE10ELNS1_11target_archE1201ELNS1_3gpuE5ELNS1_3repE0EEENS1_30default_config_static_selectorELNS0_4arch9wavefront6targetE1EEEvT1_
; %bb.0:
	.section	.rodata,"a",@progbits
	.p2align	6, 0x0
	.amdhsa_kernel _ZN7rocprim17ROCPRIM_400000_NS6detail17trampoline_kernelINS0_14default_configENS1_20scan_config_selectorIsEEZZNS1_9scan_implILNS1_25lookback_scan_determinismE0ELb0ELb0ES3_N6thrust23THRUST_200600_302600_NS6detail15normal_iteratorINS9_10device_ptrIsEEEENS9_16discard_iteratorINS9_11use_defaultEEEs11max_functorIsEsEEDaPvRmT3_T4_T5_mT6_P12ihipStream_tbENKUlT_T0_E_clISt17integral_constantIbLb0EESW_IbLb1EEEEDaSS_ST_EUlSS_E0_NS1_11comp_targetILNS1_3genE10ELNS1_11target_archE1201ELNS1_3gpuE5ELNS1_3repE0EEENS1_30default_config_static_selectorELNS0_4arch9wavefront6targetE1EEEvT1_
		.amdhsa_group_segment_fixed_size 0
		.amdhsa_private_segment_fixed_size 0
		.amdhsa_kernarg_size 40
		.amdhsa_user_sgpr_count 6
		.amdhsa_user_sgpr_private_segment_buffer 1
		.amdhsa_user_sgpr_dispatch_ptr 0
		.amdhsa_user_sgpr_queue_ptr 0
		.amdhsa_user_sgpr_kernarg_segment_ptr 1
		.amdhsa_user_sgpr_dispatch_id 0
		.amdhsa_user_sgpr_flat_scratch_init 0
		.amdhsa_user_sgpr_kernarg_preload_length 0
		.amdhsa_user_sgpr_kernarg_preload_offset 0
		.amdhsa_user_sgpr_private_segment_size 0
		.amdhsa_uses_dynamic_stack 0
		.amdhsa_system_sgpr_private_segment_wavefront_offset 0
		.amdhsa_system_sgpr_workgroup_id_x 1
		.amdhsa_system_sgpr_workgroup_id_y 0
		.amdhsa_system_sgpr_workgroup_id_z 0
		.amdhsa_system_sgpr_workgroup_info 0
		.amdhsa_system_vgpr_workitem_id 0
		.amdhsa_next_free_vgpr 1
		.amdhsa_next_free_sgpr 0
		.amdhsa_accum_offset 4
		.amdhsa_reserve_vcc 0
		.amdhsa_reserve_flat_scratch 0
		.amdhsa_float_round_mode_32 0
		.amdhsa_float_round_mode_16_64 0
		.amdhsa_float_denorm_mode_32 3
		.amdhsa_float_denorm_mode_16_64 3
		.amdhsa_dx10_clamp 1
		.amdhsa_ieee_mode 1
		.amdhsa_fp16_overflow 0
		.amdhsa_tg_split 0
		.amdhsa_exception_fp_ieee_invalid_op 0
		.amdhsa_exception_fp_denorm_src 0
		.amdhsa_exception_fp_ieee_div_zero 0
		.amdhsa_exception_fp_ieee_overflow 0
		.amdhsa_exception_fp_ieee_underflow 0
		.amdhsa_exception_fp_ieee_inexact 0
		.amdhsa_exception_int_div_zero 0
	.end_amdhsa_kernel
	.section	.text._ZN7rocprim17ROCPRIM_400000_NS6detail17trampoline_kernelINS0_14default_configENS1_20scan_config_selectorIsEEZZNS1_9scan_implILNS1_25lookback_scan_determinismE0ELb0ELb0ES3_N6thrust23THRUST_200600_302600_NS6detail15normal_iteratorINS9_10device_ptrIsEEEENS9_16discard_iteratorINS9_11use_defaultEEEs11max_functorIsEsEEDaPvRmT3_T4_T5_mT6_P12ihipStream_tbENKUlT_T0_E_clISt17integral_constantIbLb0EESW_IbLb1EEEEDaSS_ST_EUlSS_E0_NS1_11comp_targetILNS1_3genE10ELNS1_11target_archE1201ELNS1_3gpuE5ELNS1_3repE0EEENS1_30default_config_static_selectorELNS0_4arch9wavefront6targetE1EEEvT1_,"axG",@progbits,_ZN7rocprim17ROCPRIM_400000_NS6detail17trampoline_kernelINS0_14default_configENS1_20scan_config_selectorIsEEZZNS1_9scan_implILNS1_25lookback_scan_determinismE0ELb0ELb0ES3_N6thrust23THRUST_200600_302600_NS6detail15normal_iteratorINS9_10device_ptrIsEEEENS9_16discard_iteratorINS9_11use_defaultEEEs11max_functorIsEsEEDaPvRmT3_T4_T5_mT6_P12ihipStream_tbENKUlT_T0_E_clISt17integral_constantIbLb0EESW_IbLb1EEEEDaSS_ST_EUlSS_E0_NS1_11comp_targetILNS1_3genE10ELNS1_11target_archE1201ELNS1_3gpuE5ELNS1_3repE0EEENS1_30default_config_static_selectorELNS0_4arch9wavefront6targetE1EEEvT1_,comdat
.Lfunc_end4066:
	.size	_ZN7rocprim17ROCPRIM_400000_NS6detail17trampoline_kernelINS0_14default_configENS1_20scan_config_selectorIsEEZZNS1_9scan_implILNS1_25lookback_scan_determinismE0ELb0ELb0ES3_N6thrust23THRUST_200600_302600_NS6detail15normal_iteratorINS9_10device_ptrIsEEEENS9_16discard_iteratorINS9_11use_defaultEEEs11max_functorIsEsEEDaPvRmT3_T4_T5_mT6_P12ihipStream_tbENKUlT_T0_E_clISt17integral_constantIbLb0EESW_IbLb1EEEEDaSS_ST_EUlSS_E0_NS1_11comp_targetILNS1_3genE10ELNS1_11target_archE1201ELNS1_3gpuE5ELNS1_3repE0EEENS1_30default_config_static_selectorELNS0_4arch9wavefront6targetE1EEEvT1_, .Lfunc_end4066-_ZN7rocprim17ROCPRIM_400000_NS6detail17trampoline_kernelINS0_14default_configENS1_20scan_config_selectorIsEEZZNS1_9scan_implILNS1_25lookback_scan_determinismE0ELb0ELb0ES3_N6thrust23THRUST_200600_302600_NS6detail15normal_iteratorINS9_10device_ptrIsEEEENS9_16discard_iteratorINS9_11use_defaultEEEs11max_functorIsEsEEDaPvRmT3_T4_T5_mT6_P12ihipStream_tbENKUlT_T0_E_clISt17integral_constantIbLb0EESW_IbLb1EEEEDaSS_ST_EUlSS_E0_NS1_11comp_targetILNS1_3genE10ELNS1_11target_archE1201ELNS1_3gpuE5ELNS1_3repE0EEENS1_30default_config_static_selectorELNS0_4arch9wavefront6targetE1EEEvT1_
                                        ; -- End function
	.section	.AMDGPU.csdata,"",@progbits
; Kernel info:
; codeLenInByte = 0
; NumSgprs: 4
; NumVgprs: 0
; NumAgprs: 0
; TotalNumVgprs: 0
; ScratchSize: 0
; MemoryBound: 0
; FloatMode: 240
; IeeeMode: 1
; LDSByteSize: 0 bytes/workgroup (compile time only)
; SGPRBlocks: 0
; VGPRBlocks: 0
; NumSGPRsForWavesPerEU: 4
; NumVGPRsForWavesPerEU: 1
; AccumOffset: 4
; Occupancy: 8
; WaveLimiterHint : 0
; COMPUTE_PGM_RSRC2:SCRATCH_EN: 0
; COMPUTE_PGM_RSRC2:USER_SGPR: 6
; COMPUTE_PGM_RSRC2:TRAP_HANDLER: 0
; COMPUTE_PGM_RSRC2:TGID_X_EN: 1
; COMPUTE_PGM_RSRC2:TGID_Y_EN: 0
; COMPUTE_PGM_RSRC2:TGID_Z_EN: 0
; COMPUTE_PGM_RSRC2:TIDIG_COMP_CNT: 0
; COMPUTE_PGM_RSRC3_GFX90A:ACCUM_OFFSET: 0
; COMPUTE_PGM_RSRC3_GFX90A:TG_SPLIT: 0
	.section	.text._ZN7rocprim17ROCPRIM_400000_NS6detail17trampoline_kernelINS0_14default_configENS1_20scan_config_selectorIsEEZZNS1_9scan_implILNS1_25lookback_scan_determinismE0ELb0ELb0ES3_N6thrust23THRUST_200600_302600_NS6detail15normal_iteratorINS9_10device_ptrIsEEEENS9_16discard_iteratorINS9_11use_defaultEEEs11max_functorIsEsEEDaPvRmT3_T4_T5_mT6_P12ihipStream_tbENKUlT_T0_E_clISt17integral_constantIbLb0EESW_IbLb1EEEEDaSS_ST_EUlSS_E0_NS1_11comp_targetILNS1_3genE10ELNS1_11target_archE1200ELNS1_3gpuE4ELNS1_3repE0EEENS1_30default_config_static_selectorELNS0_4arch9wavefront6targetE1EEEvT1_,"axG",@progbits,_ZN7rocprim17ROCPRIM_400000_NS6detail17trampoline_kernelINS0_14default_configENS1_20scan_config_selectorIsEEZZNS1_9scan_implILNS1_25lookback_scan_determinismE0ELb0ELb0ES3_N6thrust23THRUST_200600_302600_NS6detail15normal_iteratorINS9_10device_ptrIsEEEENS9_16discard_iteratorINS9_11use_defaultEEEs11max_functorIsEsEEDaPvRmT3_T4_T5_mT6_P12ihipStream_tbENKUlT_T0_E_clISt17integral_constantIbLb0EESW_IbLb1EEEEDaSS_ST_EUlSS_E0_NS1_11comp_targetILNS1_3genE10ELNS1_11target_archE1200ELNS1_3gpuE4ELNS1_3repE0EEENS1_30default_config_static_selectorELNS0_4arch9wavefront6targetE1EEEvT1_,comdat
	.protected	_ZN7rocprim17ROCPRIM_400000_NS6detail17trampoline_kernelINS0_14default_configENS1_20scan_config_selectorIsEEZZNS1_9scan_implILNS1_25lookback_scan_determinismE0ELb0ELb0ES3_N6thrust23THRUST_200600_302600_NS6detail15normal_iteratorINS9_10device_ptrIsEEEENS9_16discard_iteratorINS9_11use_defaultEEEs11max_functorIsEsEEDaPvRmT3_T4_T5_mT6_P12ihipStream_tbENKUlT_T0_E_clISt17integral_constantIbLb0EESW_IbLb1EEEEDaSS_ST_EUlSS_E0_NS1_11comp_targetILNS1_3genE10ELNS1_11target_archE1200ELNS1_3gpuE4ELNS1_3repE0EEENS1_30default_config_static_selectorELNS0_4arch9wavefront6targetE1EEEvT1_ ; -- Begin function _ZN7rocprim17ROCPRIM_400000_NS6detail17trampoline_kernelINS0_14default_configENS1_20scan_config_selectorIsEEZZNS1_9scan_implILNS1_25lookback_scan_determinismE0ELb0ELb0ES3_N6thrust23THRUST_200600_302600_NS6detail15normal_iteratorINS9_10device_ptrIsEEEENS9_16discard_iteratorINS9_11use_defaultEEEs11max_functorIsEsEEDaPvRmT3_T4_T5_mT6_P12ihipStream_tbENKUlT_T0_E_clISt17integral_constantIbLb0EESW_IbLb1EEEEDaSS_ST_EUlSS_E0_NS1_11comp_targetILNS1_3genE10ELNS1_11target_archE1200ELNS1_3gpuE4ELNS1_3repE0EEENS1_30default_config_static_selectorELNS0_4arch9wavefront6targetE1EEEvT1_
	.globl	_ZN7rocprim17ROCPRIM_400000_NS6detail17trampoline_kernelINS0_14default_configENS1_20scan_config_selectorIsEEZZNS1_9scan_implILNS1_25lookback_scan_determinismE0ELb0ELb0ES3_N6thrust23THRUST_200600_302600_NS6detail15normal_iteratorINS9_10device_ptrIsEEEENS9_16discard_iteratorINS9_11use_defaultEEEs11max_functorIsEsEEDaPvRmT3_T4_T5_mT6_P12ihipStream_tbENKUlT_T0_E_clISt17integral_constantIbLb0EESW_IbLb1EEEEDaSS_ST_EUlSS_E0_NS1_11comp_targetILNS1_3genE10ELNS1_11target_archE1200ELNS1_3gpuE4ELNS1_3repE0EEENS1_30default_config_static_selectorELNS0_4arch9wavefront6targetE1EEEvT1_
	.p2align	8
	.type	_ZN7rocprim17ROCPRIM_400000_NS6detail17trampoline_kernelINS0_14default_configENS1_20scan_config_selectorIsEEZZNS1_9scan_implILNS1_25lookback_scan_determinismE0ELb0ELb0ES3_N6thrust23THRUST_200600_302600_NS6detail15normal_iteratorINS9_10device_ptrIsEEEENS9_16discard_iteratorINS9_11use_defaultEEEs11max_functorIsEsEEDaPvRmT3_T4_T5_mT6_P12ihipStream_tbENKUlT_T0_E_clISt17integral_constantIbLb0EESW_IbLb1EEEEDaSS_ST_EUlSS_E0_NS1_11comp_targetILNS1_3genE10ELNS1_11target_archE1200ELNS1_3gpuE4ELNS1_3repE0EEENS1_30default_config_static_selectorELNS0_4arch9wavefront6targetE1EEEvT1_,@function
_ZN7rocprim17ROCPRIM_400000_NS6detail17trampoline_kernelINS0_14default_configENS1_20scan_config_selectorIsEEZZNS1_9scan_implILNS1_25lookback_scan_determinismE0ELb0ELb0ES3_N6thrust23THRUST_200600_302600_NS6detail15normal_iteratorINS9_10device_ptrIsEEEENS9_16discard_iteratorINS9_11use_defaultEEEs11max_functorIsEsEEDaPvRmT3_T4_T5_mT6_P12ihipStream_tbENKUlT_T0_E_clISt17integral_constantIbLb0EESW_IbLb1EEEEDaSS_ST_EUlSS_E0_NS1_11comp_targetILNS1_3genE10ELNS1_11target_archE1200ELNS1_3gpuE4ELNS1_3repE0EEENS1_30default_config_static_selectorELNS0_4arch9wavefront6targetE1EEEvT1_: ; @_ZN7rocprim17ROCPRIM_400000_NS6detail17trampoline_kernelINS0_14default_configENS1_20scan_config_selectorIsEEZZNS1_9scan_implILNS1_25lookback_scan_determinismE0ELb0ELb0ES3_N6thrust23THRUST_200600_302600_NS6detail15normal_iteratorINS9_10device_ptrIsEEEENS9_16discard_iteratorINS9_11use_defaultEEEs11max_functorIsEsEEDaPvRmT3_T4_T5_mT6_P12ihipStream_tbENKUlT_T0_E_clISt17integral_constantIbLb0EESW_IbLb1EEEEDaSS_ST_EUlSS_E0_NS1_11comp_targetILNS1_3genE10ELNS1_11target_archE1200ELNS1_3gpuE4ELNS1_3repE0EEENS1_30default_config_static_selectorELNS0_4arch9wavefront6targetE1EEEvT1_
; %bb.0:
	.section	.rodata,"a",@progbits
	.p2align	6, 0x0
	.amdhsa_kernel _ZN7rocprim17ROCPRIM_400000_NS6detail17trampoline_kernelINS0_14default_configENS1_20scan_config_selectorIsEEZZNS1_9scan_implILNS1_25lookback_scan_determinismE0ELb0ELb0ES3_N6thrust23THRUST_200600_302600_NS6detail15normal_iteratorINS9_10device_ptrIsEEEENS9_16discard_iteratorINS9_11use_defaultEEEs11max_functorIsEsEEDaPvRmT3_T4_T5_mT6_P12ihipStream_tbENKUlT_T0_E_clISt17integral_constantIbLb0EESW_IbLb1EEEEDaSS_ST_EUlSS_E0_NS1_11comp_targetILNS1_3genE10ELNS1_11target_archE1200ELNS1_3gpuE4ELNS1_3repE0EEENS1_30default_config_static_selectorELNS0_4arch9wavefront6targetE1EEEvT1_
		.amdhsa_group_segment_fixed_size 0
		.amdhsa_private_segment_fixed_size 0
		.amdhsa_kernarg_size 40
		.amdhsa_user_sgpr_count 6
		.amdhsa_user_sgpr_private_segment_buffer 1
		.amdhsa_user_sgpr_dispatch_ptr 0
		.amdhsa_user_sgpr_queue_ptr 0
		.amdhsa_user_sgpr_kernarg_segment_ptr 1
		.amdhsa_user_sgpr_dispatch_id 0
		.amdhsa_user_sgpr_flat_scratch_init 0
		.amdhsa_user_sgpr_kernarg_preload_length 0
		.amdhsa_user_sgpr_kernarg_preload_offset 0
		.amdhsa_user_sgpr_private_segment_size 0
		.amdhsa_uses_dynamic_stack 0
		.amdhsa_system_sgpr_private_segment_wavefront_offset 0
		.amdhsa_system_sgpr_workgroup_id_x 1
		.amdhsa_system_sgpr_workgroup_id_y 0
		.amdhsa_system_sgpr_workgroup_id_z 0
		.amdhsa_system_sgpr_workgroup_info 0
		.amdhsa_system_vgpr_workitem_id 0
		.amdhsa_next_free_vgpr 1
		.amdhsa_next_free_sgpr 0
		.amdhsa_accum_offset 4
		.amdhsa_reserve_vcc 0
		.amdhsa_reserve_flat_scratch 0
		.amdhsa_float_round_mode_32 0
		.amdhsa_float_round_mode_16_64 0
		.amdhsa_float_denorm_mode_32 3
		.amdhsa_float_denorm_mode_16_64 3
		.amdhsa_dx10_clamp 1
		.amdhsa_ieee_mode 1
		.amdhsa_fp16_overflow 0
		.amdhsa_tg_split 0
		.amdhsa_exception_fp_ieee_invalid_op 0
		.amdhsa_exception_fp_denorm_src 0
		.amdhsa_exception_fp_ieee_div_zero 0
		.amdhsa_exception_fp_ieee_overflow 0
		.amdhsa_exception_fp_ieee_underflow 0
		.amdhsa_exception_fp_ieee_inexact 0
		.amdhsa_exception_int_div_zero 0
	.end_amdhsa_kernel
	.section	.text._ZN7rocprim17ROCPRIM_400000_NS6detail17trampoline_kernelINS0_14default_configENS1_20scan_config_selectorIsEEZZNS1_9scan_implILNS1_25lookback_scan_determinismE0ELb0ELb0ES3_N6thrust23THRUST_200600_302600_NS6detail15normal_iteratorINS9_10device_ptrIsEEEENS9_16discard_iteratorINS9_11use_defaultEEEs11max_functorIsEsEEDaPvRmT3_T4_T5_mT6_P12ihipStream_tbENKUlT_T0_E_clISt17integral_constantIbLb0EESW_IbLb1EEEEDaSS_ST_EUlSS_E0_NS1_11comp_targetILNS1_3genE10ELNS1_11target_archE1200ELNS1_3gpuE4ELNS1_3repE0EEENS1_30default_config_static_selectorELNS0_4arch9wavefront6targetE1EEEvT1_,"axG",@progbits,_ZN7rocprim17ROCPRIM_400000_NS6detail17trampoline_kernelINS0_14default_configENS1_20scan_config_selectorIsEEZZNS1_9scan_implILNS1_25lookback_scan_determinismE0ELb0ELb0ES3_N6thrust23THRUST_200600_302600_NS6detail15normal_iteratorINS9_10device_ptrIsEEEENS9_16discard_iteratorINS9_11use_defaultEEEs11max_functorIsEsEEDaPvRmT3_T4_T5_mT6_P12ihipStream_tbENKUlT_T0_E_clISt17integral_constantIbLb0EESW_IbLb1EEEEDaSS_ST_EUlSS_E0_NS1_11comp_targetILNS1_3genE10ELNS1_11target_archE1200ELNS1_3gpuE4ELNS1_3repE0EEENS1_30default_config_static_selectorELNS0_4arch9wavefront6targetE1EEEvT1_,comdat
.Lfunc_end4067:
	.size	_ZN7rocprim17ROCPRIM_400000_NS6detail17trampoline_kernelINS0_14default_configENS1_20scan_config_selectorIsEEZZNS1_9scan_implILNS1_25lookback_scan_determinismE0ELb0ELb0ES3_N6thrust23THRUST_200600_302600_NS6detail15normal_iteratorINS9_10device_ptrIsEEEENS9_16discard_iteratorINS9_11use_defaultEEEs11max_functorIsEsEEDaPvRmT3_T4_T5_mT6_P12ihipStream_tbENKUlT_T0_E_clISt17integral_constantIbLb0EESW_IbLb1EEEEDaSS_ST_EUlSS_E0_NS1_11comp_targetILNS1_3genE10ELNS1_11target_archE1200ELNS1_3gpuE4ELNS1_3repE0EEENS1_30default_config_static_selectorELNS0_4arch9wavefront6targetE1EEEvT1_, .Lfunc_end4067-_ZN7rocprim17ROCPRIM_400000_NS6detail17trampoline_kernelINS0_14default_configENS1_20scan_config_selectorIsEEZZNS1_9scan_implILNS1_25lookback_scan_determinismE0ELb0ELb0ES3_N6thrust23THRUST_200600_302600_NS6detail15normal_iteratorINS9_10device_ptrIsEEEENS9_16discard_iteratorINS9_11use_defaultEEEs11max_functorIsEsEEDaPvRmT3_T4_T5_mT6_P12ihipStream_tbENKUlT_T0_E_clISt17integral_constantIbLb0EESW_IbLb1EEEEDaSS_ST_EUlSS_E0_NS1_11comp_targetILNS1_3genE10ELNS1_11target_archE1200ELNS1_3gpuE4ELNS1_3repE0EEENS1_30default_config_static_selectorELNS0_4arch9wavefront6targetE1EEEvT1_
                                        ; -- End function
	.section	.AMDGPU.csdata,"",@progbits
; Kernel info:
; codeLenInByte = 0
; NumSgprs: 4
; NumVgprs: 0
; NumAgprs: 0
; TotalNumVgprs: 0
; ScratchSize: 0
; MemoryBound: 0
; FloatMode: 240
; IeeeMode: 1
; LDSByteSize: 0 bytes/workgroup (compile time only)
; SGPRBlocks: 0
; VGPRBlocks: 0
; NumSGPRsForWavesPerEU: 4
; NumVGPRsForWavesPerEU: 1
; AccumOffset: 4
; Occupancy: 8
; WaveLimiterHint : 0
; COMPUTE_PGM_RSRC2:SCRATCH_EN: 0
; COMPUTE_PGM_RSRC2:USER_SGPR: 6
; COMPUTE_PGM_RSRC2:TRAP_HANDLER: 0
; COMPUTE_PGM_RSRC2:TGID_X_EN: 1
; COMPUTE_PGM_RSRC2:TGID_Y_EN: 0
; COMPUTE_PGM_RSRC2:TGID_Z_EN: 0
; COMPUTE_PGM_RSRC2:TIDIG_COMP_CNT: 0
; COMPUTE_PGM_RSRC3_GFX90A:ACCUM_OFFSET: 0
; COMPUTE_PGM_RSRC3_GFX90A:TG_SPLIT: 0
	.section	.text._ZN7rocprim17ROCPRIM_400000_NS6detail17trampoline_kernelINS0_14default_configENS1_20scan_config_selectorIsEEZZNS1_9scan_implILNS1_25lookback_scan_determinismE0ELb0ELb0ES3_N6thrust23THRUST_200600_302600_NS6detail15normal_iteratorINS9_10device_ptrIsEEEENS9_16discard_iteratorINS9_11use_defaultEEEs11max_functorIsEsEEDaPvRmT3_T4_T5_mT6_P12ihipStream_tbENKUlT_T0_E_clISt17integral_constantIbLb0EESW_IbLb1EEEEDaSS_ST_EUlSS_E0_NS1_11comp_targetILNS1_3genE9ELNS1_11target_archE1100ELNS1_3gpuE3ELNS1_3repE0EEENS1_30default_config_static_selectorELNS0_4arch9wavefront6targetE1EEEvT1_,"axG",@progbits,_ZN7rocprim17ROCPRIM_400000_NS6detail17trampoline_kernelINS0_14default_configENS1_20scan_config_selectorIsEEZZNS1_9scan_implILNS1_25lookback_scan_determinismE0ELb0ELb0ES3_N6thrust23THRUST_200600_302600_NS6detail15normal_iteratorINS9_10device_ptrIsEEEENS9_16discard_iteratorINS9_11use_defaultEEEs11max_functorIsEsEEDaPvRmT3_T4_T5_mT6_P12ihipStream_tbENKUlT_T0_E_clISt17integral_constantIbLb0EESW_IbLb1EEEEDaSS_ST_EUlSS_E0_NS1_11comp_targetILNS1_3genE9ELNS1_11target_archE1100ELNS1_3gpuE3ELNS1_3repE0EEENS1_30default_config_static_selectorELNS0_4arch9wavefront6targetE1EEEvT1_,comdat
	.protected	_ZN7rocprim17ROCPRIM_400000_NS6detail17trampoline_kernelINS0_14default_configENS1_20scan_config_selectorIsEEZZNS1_9scan_implILNS1_25lookback_scan_determinismE0ELb0ELb0ES3_N6thrust23THRUST_200600_302600_NS6detail15normal_iteratorINS9_10device_ptrIsEEEENS9_16discard_iteratorINS9_11use_defaultEEEs11max_functorIsEsEEDaPvRmT3_T4_T5_mT6_P12ihipStream_tbENKUlT_T0_E_clISt17integral_constantIbLb0EESW_IbLb1EEEEDaSS_ST_EUlSS_E0_NS1_11comp_targetILNS1_3genE9ELNS1_11target_archE1100ELNS1_3gpuE3ELNS1_3repE0EEENS1_30default_config_static_selectorELNS0_4arch9wavefront6targetE1EEEvT1_ ; -- Begin function _ZN7rocprim17ROCPRIM_400000_NS6detail17trampoline_kernelINS0_14default_configENS1_20scan_config_selectorIsEEZZNS1_9scan_implILNS1_25lookback_scan_determinismE0ELb0ELb0ES3_N6thrust23THRUST_200600_302600_NS6detail15normal_iteratorINS9_10device_ptrIsEEEENS9_16discard_iteratorINS9_11use_defaultEEEs11max_functorIsEsEEDaPvRmT3_T4_T5_mT6_P12ihipStream_tbENKUlT_T0_E_clISt17integral_constantIbLb0EESW_IbLb1EEEEDaSS_ST_EUlSS_E0_NS1_11comp_targetILNS1_3genE9ELNS1_11target_archE1100ELNS1_3gpuE3ELNS1_3repE0EEENS1_30default_config_static_selectorELNS0_4arch9wavefront6targetE1EEEvT1_
	.globl	_ZN7rocprim17ROCPRIM_400000_NS6detail17trampoline_kernelINS0_14default_configENS1_20scan_config_selectorIsEEZZNS1_9scan_implILNS1_25lookback_scan_determinismE0ELb0ELb0ES3_N6thrust23THRUST_200600_302600_NS6detail15normal_iteratorINS9_10device_ptrIsEEEENS9_16discard_iteratorINS9_11use_defaultEEEs11max_functorIsEsEEDaPvRmT3_T4_T5_mT6_P12ihipStream_tbENKUlT_T0_E_clISt17integral_constantIbLb0EESW_IbLb1EEEEDaSS_ST_EUlSS_E0_NS1_11comp_targetILNS1_3genE9ELNS1_11target_archE1100ELNS1_3gpuE3ELNS1_3repE0EEENS1_30default_config_static_selectorELNS0_4arch9wavefront6targetE1EEEvT1_
	.p2align	8
	.type	_ZN7rocprim17ROCPRIM_400000_NS6detail17trampoline_kernelINS0_14default_configENS1_20scan_config_selectorIsEEZZNS1_9scan_implILNS1_25lookback_scan_determinismE0ELb0ELb0ES3_N6thrust23THRUST_200600_302600_NS6detail15normal_iteratorINS9_10device_ptrIsEEEENS9_16discard_iteratorINS9_11use_defaultEEEs11max_functorIsEsEEDaPvRmT3_T4_T5_mT6_P12ihipStream_tbENKUlT_T0_E_clISt17integral_constantIbLb0EESW_IbLb1EEEEDaSS_ST_EUlSS_E0_NS1_11comp_targetILNS1_3genE9ELNS1_11target_archE1100ELNS1_3gpuE3ELNS1_3repE0EEENS1_30default_config_static_selectorELNS0_4arch9wavefront6targetE1EEEvT1_,@function
_ZN7rocprim17ROCPRIM_400000_NS6detail17trampoline_kernelINS0_14default_configENS1_20scan_config_selectorIsEEZZNS1_9scan_implILNS1_25lookback_scan_determinismE0ELb0ELb0ES3_N6thrust23THRUST_200600_302600_NS6detail15normal_iteratorINS9_10device_ptrIsEEEENS9_16discard_iteratorINS9_11use_defaultEEEs11max_functorIsEsEEDaPvRmT3_T4_T5_mT6_P12ihipStream_tbENKUlT_T0_E_clISt17integral_constantIbLb0EESW_IbLb1EEEEDaSS_ST_EUlSS_E0_NS1_11comp_targetILNS1_3genE9ELNS1_11target_archE1100ELNS1_3gpuE3ELNS1_3repE0EEENS1_30default_config_static_selectorELNS0_4arch9wavefront6targetE1EEEvT1_: ; @_ZN7rocprim17ROCPRIM_400000_NS6detail17trampoline_kernelINS0_14default_configENS1_20scan_config_selectorIsEEZZNS1_9scan_implILNS1_25lookback_scan_determinismE0ELb0ELb0ES3_N6thrust23THRUST_200600_302600_NS6detail15normal_iteratorINS9_10device_ptrIsEEEENS9_16discard_iteratorINS9_11use_defaultEEEs11max_functorIsEsEEDaPvRmT3_T4_T5_mT6_P12ihipStream_tbENKUlT_T0_E_clISt17integral_constantIbLb0EESW_IbLb1EEEEDaSS_ST_EUlSS_E0_NS1_11comp_targetILNS1_3genE9ELNS1_11target_archE1100ELNS1_3gpuE3ELNS1_3repE0EEENS1_30default_config_static_selectorELNS0_4arch9wavefront6targetE1EEEvT1_
; %bb.0:
	.section	.rodata,"a",@progbits
	.p2align	6, 0x0
	.amdhsa_kernel _ZN7rocprim17ROCPRIM_400000_NS6detail17trampoline_kernelINS0_14default_configENS1_20scan_config_selectorIsEEZZNS1_9scan_implILNS1_25lookback_scan_determinismE0ELb0ELb0ES3_N6thrust23THRUST_200600_302600_NS6detail15normal_iteratorINS9_10device_ptrIsEEEENS9_16discard_iteratorINS9_11use_defaultEEEs11max_functorIsEsEEDaPvRmT3_T4_T5_mT6_P12ihipStream_tbENKUlT_T0_E_clISt17integral_constantIbLb0EESW_IbLb1EEEEDaSS_ST_EUlSS_E0_NS1_11comp_targetILNS1_3genE9ELNS1_11target_archE1100ELNS1_3gpuE3ELNS1_3repE0EEENS1_30default_config_static_selectorELNS0_4arch9wavefront6targetE1EEEvT1_
		.amdhsa_group_segment_fixed_size 0
		.amdhsa_private_segment_fixed_size 0
		.amdhsa_kernarg_size 40
		.amdhsa_user_sgpr_count 6
		.amdhsa_user_sgpr_private_segment_buffer 1
		.amdhsa_user_sgpr_dispatch_ptr 0
		.amdhsa_user_sgpr_queue_ptr 0
		.amdhsa_user_sgpr_kernarg_segment_ptr 1
		.amdhsa_user_sgpr_dispatch_id 0
		.amdhsa_user_sgpr_flat_scratch_init 0
		.amdhsa_user_sgpr_kernarg_preload_length 0
		.amdhsa_user_sgpr_kernarg_preload_offset 0
		.amdhsa_user_sgpr_private_segment_size 0
		.amdhsa_uses_dynamic_stack 0
		.amdhsa_system_sgpr_private_segment_wavefront_offset 0
		.amdhsa_system_sgpr_workgroup_id_x 1
		.amdhsa_system_sgpr_workgroup_id_y 0
		.amdhsa_system_sgpr_workgroup_id_z 0
		.amdhsa_system_sgpr_workgroup_info 0
		.amdhsa_system_vgpr_workitem_id 0
		.amdhsa_next_free_vgpr 1
		.amdhsa_next_free_sgpr 0
		.amdhsa_accum_offset 4
		.amdhsa_reserve_vcc 0
		.amdhsa_reserve_flat_scratch 0
		.amdhsa_float_round_mode_32 0
		.amdhsa_float_round_mode_16_64 0
		.amdhsa_float_denorm_mode_32 3
		.amdhsa_float_denorm_mode_16_64 3
		.amdhsa_dx10_clamp 1
		.amdhsa_ieee_mode 1
		.amdhsa_fp16_overflow 0
		.amdhsa_tg_split 0
		.amdhsa_exception_fp_ieee_invalid_op 0
		.amdhsa_exception_fp_denorm_src 0
		.amdhsa_exception_fp_ieee_div_zero 0
		.amdhsa_exception_fp_ieee_overflow 0
		.amdhsa_exception_fp_ieee_underflow 0
		.amdhsa_exception_fp_ieee_inexact 0
		.amdhsa_exception_int_div_zero 0
	.end_amdhsa_kernel
	.section	.text._ZN7rocprim17ROCPRIM_400000_NS6detail17trampoline_kernelINS0_14default_configENS1_20scan_config_selectorIsEEZZNS1_9scan_implILNS1_25lookback_scan_determinismE0ELb0ELb0ES3_N6thrust23THRUST_200600_302600_NS6detail15normal_iteratorINS9_10device_ptrIsEEEENS9_16discard_iteratorINS9_11use_defaultEEEs11max_functorIsEsEEDaPvRmT3_T4_T5_mT6_P12ihipStream_tbENKUlT_T0_E_clISt17integral_constantIbLb0EESW_IbLb1EEEEDaSS_ST_EUlSS_E0_NS1_11comp_targetILNS1_3genE9ELNS1_11target_archE1100ELNS1_3gpuE3ELNS1_3repE0EEENS1_30default_config_static_selectorELNS0_4arch9wavefront6targetE1EEEvT1_,"axG",@progbits,_ZN7rocprim17ROCPRIM_400000_NS6detail17trampoline_kernelINS0_14default_configENS1_20scan_config_selectorIsEEZZNS1_9scan_implILNS1_25lookback_scan_determinismE0ELb0ELb0ES3_N6thrust23THRUST_200600_302600_NS6detail15normal_iteratorINS9_10device_ptrIsEEEENS9_16discard_iteratorINS9_11use_defaultEEEs11max_functorIsEsEEDaPvRmT3_T4_T5_mT6_P12ihipStream_tbENKUlT_T0_E_clISt17integral_constantIbLb0EESW_IbLb1EEEEDaSS_ST_EUlSS_E0_NS1_11comp_targetILNS1_3genE9ELNS1_11target_archE1100ELNS1_3gpuE3ELNS1_3repE0EEENS1_30default_config_static_selectorELNS0_4arch9wavefront6targetE1EEEvT1_,comdat
.Lfunc_end4068:
	.size	_ZN7rocprim17ROCPRIM_400000_NS6detail17trampoline_kernelINS0_14default_configENS1_20scan_config_selectorIsEEZZNS1_9scan_implILNS1_25lookback_scan_determinismE0ELb0ELb0ES3_N6thrust23THRUST_200600_302600_NS6detail15normal_iteratorINS9_10device_ptrIsEEEENS9_16discard_iteratorINS9_11use_defaultEEEs11max_functorIsEsEEDaPvRmT3_T4_T5_mT6_P12ihipStream_tbENKUlT_T0_E_clISt17integral_constantIbLb0EESW_IbLb1EEEEDaSS_ST_EUlSS_E0_NS1_11comp_targetILNS1_3genE9ELNS1_11target_archE1100ELNS1_3gpuE3ELNS1_3repE0EEENS1_30default_config_static_selectorELNS0_4arch9wavefront6targetE1EEEvT1_, .Lfunc_end4068-_ZN7rocprim17ROCPRIM_400000_NS6detail17trampoline_kernelINS0_14default_configENS1_20scan_config_selectorIsEEZZNS1_9scan_implILNS1_25lookback_scan_determinismE0ELb0ELb0ES3_N6thrust23THRUST_200600_302600_NS6detail15normal_iteratorINS9_10device_ptrIsEEEENS9_16discard_iteratorINS9_11use_defaultEEEs11max_functorIsEsEEDaPvRmT3_T4_T5_mT6_P12ihipStream_tbENKUlT_T0_E_clISt17integral_constantIbLb0EESW_IbLb1EEEEDaSS_ST_EUlSS_E0_NS1_11comp_targetILNS1_3genE9ELNS1_11target_archE1100ELNS1_3gpuE3ELNS1_3repE0EEENS1_30default_config_static_selectorELNS0_4arch9wavefront6targetE1EEEvT1_
                                        ; -- End function
	.section	.AMDGPU.csdata,"",@progbits
; Kernel info:
; codeLenInByte = 0
; NumSgprs: 4
; NumVgprs: 0
; NumAgprs: 0
; TotalNumVgprs: 0
; ScratchSize: 0
; MemoryBound: 0
; FloatMode: 240
; IeeeMode: 1
; LDSByteSize: 0 bytes/workgroup (compile time only)
; SGPRBlocks: 0
; VGPRBlocks: 0
; NumSGPRsForWavesPerEU: 4
; NumVGPRsForWavesPerEU: 1
; AccumOffset: 4
; Occupancy: 8
; WaveLimiterHint : 0
; COMPUTE_PGM_RSRC2:SCRATCH_EN: 0
; COMPUTE_PGM_RSRC2:USER_SGPR: 6
; COMPUTE_PGM_RSRC2:TRAP_HANDLER: 0
; COMPUTE_PGM_RSRC2:TGID_X_EN: 1
; COMPUTE_PGM_RSRC2:TGID_Y_EN: 0
; COMPUTE_PGM_RSRC2:TGID_Z_EN: 0
; COMPUTE_PGM_RSRC2:TIDIG_COMP_CNT: 0
; COMPUTE_PGM_RSRC3_GFX90A:ACCUM_OFFSET: 0
; COMPUTE_PGM_RSRC3_GFX90A:TG_SPLIT: 0
	.section	.text._ZN7rocprim17ROCPRIM_400000_NS6detail17trampoline_kernelINS0_14default_configENS1_20scan_config_selectorIsEEZZNS1_9scan_implILNS1_25lookback_scan_determinismE0ELb0ELb0ES3_N6thrust23THRUST_200600_302600_NS6detail15normal_iteratorINS9_10device_ptrIsEEEENS9_16discard_iteratorINS9_11use_defaultEEEs11max_functorIsEsEEDaPvRmT3_T4_T5_mT6_P12ihipStream_tbENKUlT_T0_E_clISt17integral_constantIbLb0EESW_IbLb1EEEEDaSS_ST_EUlSS_E0_NS1_11comp_targetILNS1_3genE8ELNS1_11target_archE1030ELNS1_3gpuE2ELNS1_3repE0EEENS1_30default_config_static_selectorELNS0_4arch9wavefront6targetE1EEEvT1_,"axG",@progbits,_ZN7rocprim17ROCPRIM_400000_NS6detail17trampoline_kernelINS0_14default_configENS1_20scan_config_selectorIsEEZZNS1_9scan_implILNS1_25lookback_scan_determinismE0ELb0ELb0ES3_N6thrust23THRUST_200600_302600_NS6detail15normal_iteratorINS9_10device_ptrIsEEEENS9_16discard_iteratorINS9_11use_defaultEEEs11max_functorIsEsEEDaPvRmT3_T4_T5_mT6_P12ihipStream_tbENKUlT_T0_E_clISt17integral_constantIbLb0EESW_IbLb1EEEEDaSS_ST_EUlSS_E0_NS1_11comp_targetILNS1_3genE8ELNS1_11target_archE1030ELNS1_3gpuE2ELNS1_3repE0EEENS1_30default_config_static_selectorELNS0_4arch9wavefront6targetE1EEEvT1_,comdat
	.protected	_ZN7rocprim17ROCPRIM_400000_NS6detail17trampoline_kernelINS0_14default_configENS1_20scan_config_selectorIsEEZZNS1_9scan_implILNS1_25lookback_scan_determinismE0ELb0ELb0ES3_N6thrust23THRUST_200600_302600_NS6detail15normal_iteratorINS9_10device_ptrIsEEEENS9_16discard_iteratorINS9_11use_defaultEEEs11max_functorIsEsEEDaPvRmT3_T4_T5_mT6_P12ihipStream_tbENKUlT_T0_E_clISt17integral_constantIbLb0EESW_IbLb1EEEEDaSS_ST_EUlSS_E0_NS1_11comp_targetILNS1_3genE8ELNS1_11target_archE1030ELNS1_3gpuE2ELNS1_3repE0EEENS1_30default_config_static_selectorELNS0_4arch9wavefront6targetE1EEEvT1_ ; -- Begin function _ZN7rocprim17ROCPRIM_400000_NS6detail17trampoline_kernelINS0_14default_configENS1_20scan_config_selectorIsEEZZNS1_9scan_implILNS1_25lookback_scan_determinismE0ELb0ELb0ES3_N6thrust23THRUST_200600_302600_NS6detail15normal_iteratorINS9_10device_ptrIsEEEENS9_16discard_iteratorINS9_11use_defaultEEEs11max_functorIsEsEEDaPvRmT3_T4_T5_mT6_P12ihipStream_tbENKUlT_T0_E_clISt17integral_constantIbLb0EESW_IbLb1EEEEDaSS_ST_EUlSS_E0_NS1_11comp_targetILNS1_3genE8ELNS1_11target_archE1030ELNS1_3gpuE2ELNS1_3repE0EEENS1_30default_config_static_selectorELNS0_4arch9wavefront6targetE1EEEvT1_
	.globl	_ZN7rocprim17ROCPRIM_400000_NS6detail17trampoline_kernelINS0_14default_configENS1_20scan_config_selectorIsEEZZNS1_9scan_implILNS1_25lookback_scan_determinismE0ELb0ELb0ES3_N6thrust23THRUST_200600_302600_NS6detail15normal_iteratorINS9_10device_ptrIsEEEENS9_16discard_iteratorINS9_11use_defaultEEEs11max_functorIsEsEEDaPvRmT3_T4_T5_mT6_P12ihipStream_tbENKUlT_T0_E_clISt17integral_constantIbLb0EESW_IbLb1EEEEDaSS_ST_EUlSS_E0_NS1_11comp_targetILNS1_3genE8ELNS1_11target_archE1030ELNS1_3gpuE2ELNS1_3repE0EEENS1_30default_config_static_selectorELNS0_4arch9wavefront6targetE1EEEvT1_
	.p2align	8
	.type	_ZN7rocprim17ROCPRIM_400000_NS6detail17trampoline_kernelINS0_14default_configENS1_20scan_config_selectorIsEEZZNS1_9scan_implILNS1_25lookback_scan_determinismE0ELb0ELb0ES3_N6thrust23THRUST_200600_302600_NS6detail15normal_iteratorINS9_10device_ptrIsEEEENS9_16discard_iteratorINS9_11use_defaultEEEs11max_functorIsEsEEDaPvRmT3_T4_T5_mT6_P12ihipStream_tbENKUlT_T0_E_clISt17integral_constantIbLb0EESW_IbLb1EEEEDaSS_ST_EUlSS_E0_NS1_11comp_targetILNS1_3genE8ELNS1_11target_archE1030ELNS1_3gpuE2ELNS1_3repE0EEENS1_30default_config_static_selectorELNS0_4arch9wavefront6targetE1EEEvT1_,@function
_ZN7rocprim17ROCPRIM_400000_NS6detail17trampoline_kernelINS0_14default_configENS1_20scan_config_selectorIsEEZZNS1_9scan_implILNS1_25lookback_scan_determinismE0ELb0ELb0ES3_N6thrust23THRUST_200600_302600_NS6detail15normal_iteratorINS9_10device_ptrIsEEEENS9_16discard_iteratorINS9_11use_defaultEEEs11max_functorIsEsEEDaPvRmT3_T4_T5_mT6_P12ihipStream_tbENKUlT_T0_E_clISt17integral_constantIbLb0EESW_IbLb1EEEEDaSS_ST_EUlSS_E0_NS1_11comp_targetILNS1_3genE8ELNS1_11target_archE1030ELNS1_3gpuE2ELNS1_3repE0EEENS1_30default_config_static_selectorELNS0_4arch9wavefront6targetE1EEEvT1_: ; @_ZN7rocprim17ROCPRIM_400000_NS6detail17trampoline_kernelINS0_14default_configENS1_20scan_config_selectorIsEEZZNS1_9scan_implILNS1_25lookback_scan_determinismE0ELb0ELb0ES3_N6thrust23THRUST_200600_302600_NS6detail15normal_iteratorINS9_10device_ptrIsEEEENS9_16discard_iteratorINS9_11use_defaultEEEs11max_functorIsEsEEDaPvRmT3_T4_T5_mT6_P12ihipStream_tbENKUlT_T0_E_clISt17integral_constantIbLb0EESW_IbLb1EEEEDaSS_ST_EUlSS_E0_NS1_11comp_targetILNS1_3genE8ELNS1_11target_archE1030ELNS1_3gpuE2ELNS1_3repE0EEENS1_30default_config_static_selectorELNS0_4arch9wavefront6targetE1EEEvT1_
; %bb.0:
	.section	.rodata,"a",@progbits
	.p2align	6, 0x0
	.amdhsa_kernel _ZN7rocprim17ROCPRIM_400000_NS6detail17trampoline_kernelINS0_14default_configENS1_20scan_config_selectorIsEEZZNS1_9scan_implILNS1_25lookback_scan_determinismE0ELb0ELb0ES3_N6thrust23THRUST_200600_302600_NS6detail15normal_iteratorINS9_10device_ptrIsEEEENS9_16discard_iteratorINS9_11use_defaultEEEs11max_functorIsEsEEDaPvRmT3_T4_T5_mT6_P12ihipStream_tbENKUlT_T0_E_clISt17integral_constantIbLb0EESW_IbLb1EEEEDaSS_ST_EUlSS_E0_NS1_11comp_targetILNS1_3genE8ELNS1_11target_archE1030ELNS1_3gpuE2ELNS1_3repE0EEENS1_30default_config_static_selectorELNS0_4arch9wavefront6targetE1EEEvT1_
		.amdhsa_group_segment_fixed_size 0
		.amdhsa_private_segment_fixed_size 0
		.amdhsa_kernarg_size 40
		.amdhsa_user_sgpr_count 6
		.amdhsa_user_sgpr_private_segment_buffer 1
		.amdhsa_user_sgpr_dispatch_ptr 0
		.amdhsa_user_sgpr_queue_ptr 0
		.amdhsa_user_sgpr_kernarg_segment_ptr 1
		.amdhsa_user_sgpr_dispatch_id 0
		.amdhsa_user_sgpr_flat_scratch_init 0
		.amdhsa_user_sgpr_kernarg_preload_length 0
		.amdhsa_user_sgpr_kernarg_preload_offset 0
		.amdhsa_user_sgpr_private_segment_size 0
		.amdhsa_uses_dynamic_stack 0
		.amdhsa_system_sgpr_private_segment_wavefront_offset 0
		.amdhsa_system_sgpr_workgroup_id_x 1
		.amdhsa_system_sgpr_workgroup_id_y 0
		.amdhsa_system_sgpr_workgroup_id_z 0
		.amdhsa_system_sgpr_workgroup_info 0
		.amdhsa_system_vgpr_workitem_id 0
		.amdhsa_next_free_vgpr 1
		.amdhsa_next_free_sgpr 0
		.amdhsa_accum_offset 4
		.amdhsa_reserve_vcc 0
		.amdhsa_reserve_flat_scratch 0
		.amdhsa_float_round_mode_32 0
		.amdhsa_float_round_mode_16_64 0
		.amdhsa_float_denorm_mode_32 3
		.amdhsa_float_denorm_mode_16_64 3
		.amdhsa_dx10_clamp 1
		.amdhsa_ieee_mode 1
		.amdhsa_fp16_overflow 0
		.amdhsa_tg_split 0
		.amdhsa_exception_fp_ieee_invalid_op 0
		.amdhsa_exception_fp_denorm_src 0
		.amdhsa_exception_fp_ieee_div_zero 0
		.amdhsa_exception_fp_ieee_overflow 0
		.amdhsa_exception_fp_ieee_underflow 0
		.amdhsa_exception_fp_ieee_inexact 0
		.amdhsa_exception_int_div_zero 0
	.end_amdhsa_kernel
	.section	.text._ZN7rocprim17ROCPRIM_400000_NS6detail17trampoline_kernelINS0_14default_configENS1_20scan_config_selectorIsEEZZNS1_9scan_implILNS1_25lookback_scan_determinismE0ELb0ELb0ES3_N6thrust23THRUST_200600_302600_NS6detail15normal_iteratorINS9_10device_ptrIsEEEENS9_16discard_iteratorINS9_11use_defaultEEEs11max_functorIsEsEEDaPvRmT3_T4_T5_mT6_P12ihipStream_tbENKUlT_T0_E_clISt17integral_constantIbLb0EESW_IbLb1EEEEDaSS_ST_EUlSS_E0_NS1_11comp_targetILNS1_3genE8ELNS1_11target_archE1030ELNS1_3gpuE2ELNS1_3repE0EEENS1_30default_config_static_selectorELNS0_4arch9wavefront6targetE1EEEvT1_,"axG",@progbits,_ZN7rocprim17ROCPRIM_400000_NS6detail17trampoline_kernelINS0_14default_configENS1_20scan_config_selectorIsEEZZNS1_9scan_implILNS1_25lookback_scan_determinismE0ELb0ELb0ES3_N6thrust23THRUST_200600_302600_NS6detail15normal_iteratorINS9_10device_ptrIsEEEENS9_16discard_iteratorINS9_11use_defaultEEEs11max_functorIsEsEEDaPvRmT3_T4_T5_mT6_P12ihipStream_tbENKUlT_T0_E_clISt17integral_constantIbLb0EESW_IbLb1EEEEDaSS_ST_EUlSS_E0_NS1_11comp_targetILNS1_3genE8ELNS1_11target_archE1030ELNS1_3gpuE2ELNS1_3repE0EEENS1_30default_config_static_selectorELNS0_4arch9wavefront6targetE1EEEvT1_,comdat
.Lfunc_end4069:
	.size	_ZN7rocprim17ROCPRIM_400000_NS6detail17trampoline_kernelINS0_14default_configENS1_20scan_config_selectorIsEEZZNS1_9scan_implILNS1_25lookback_scan_determinismE0ELb0ELb0ES3_N6thrust23THRUST_200600_302600_NS6detail15normal_iteratorINS9_10device_ptrIsEEEENS9_16discard_iteratorINS9_11use_defaultEEEs11max_functorIsEsEEDaPvRmT3_T4_T5_mT6_P12ihipStream_tbENKUlT_T0_E_clISt17integral_constantIbLb0EESW_IbLb1EEEEDaSS_ST_EUlSS_E0_NS1_11comp_targetILNS1_3genE8ELNS1_11target_archE1030ELNS1_3gpuE2ELNS1_3repE0EEENS1_30default_config_static_selectorELNS0_4arch9wavefront6targetE1EEEvT1_, .Lfunc_end4069-_ZN7rocprim17ROCPRIM_400000_NS6detail17trampoline_kernelINS0_14default_configENS1_20scan_config_selectorIsEEZZNS1_9scan_implILNS1_25lookback_scan_determinismE0ELb0ELb0ES3_N6thrust23THRUST_200600_302600_NS6detail15normal_iteratorINS9_10device_ptrIsEEEENS9_16discard_iteratorINS9_11use_defaultEEEs11max_functorIsEsEEDaPvRmT3_T4_T5_mT6_P12ihipStream_tbENKUlT_T0_E_clISt17integral_constantIbLb0EESW_IbLb1EEEEDaSS_ST_EUlSS_E0_NS1_11comp_targetILNS1_3genE8ELNS1_11target_archE1030ELNS1_3gpuE2ELNS1_3repE0EEENS1_30default_config_static_selectorELNS0_4arch9wavefront6targetE1EEEvT1_
                                        ; -- End function
	.section	.AMDGPU.csdata,"",@progbits
; Kernel info:
; codeLenInByte = 0
; NumSgprs: 4
; NumVgprs: 0
; NumAgprs: 0
; TotalNumVgprs: 0
; ScratchSize: 0
; MemoryBound: 0
; FloatMode: 240
; IeeeMode: 1
; LDSByteSize: 0 bytes/workgroup (compile time only)
; SGPRBlocks: 0
; VGPRBlocks: 0
; NumSGPRsForWavesPerEU: 4
; NumVGPRsForWavesPerEU: 1
; AccumOffset: 4
; Occupancy: 8
; WaveLimiterHint : 0
; COMPUTE_PGM_RSRC2:SCRATCH_EN: 0
; COMPUTE_PGM_RSRC2:USER_SGPR: 6
; COMPUTE_PGM_RSRC2:TRAP_HANDLER: 0
; COMPUTE_PGM_RSRC2:TGID_X_EN: 1
; COMPUTE_PGM_RSRC2:TGID_Y_EN: 0
; COMPUTE_PGM_RSRC2:TGID_Z_EN: 0
; COMPUTE_PGM_RSRC2:TIDIG_COMP_CNT: 0
; COMPUTE_PGM_RSRC3_GFX90A:ACCUM_OFFSET: 0
; COMPUTE_PGM_RSRC3_GFX90A:TG_SPLIT: 0
	.section	.text._ZN7rocprim17ROCPRIM_400000_NS6detail17trampoline_kernelINS0_14default_configENS1_20scan_config_selectorIsEEZZNS1_9scan_implILNS1_25lookback_scan_determinismE0ELb1ELb1ES3_N6thrust23THRUST_200600_302600_NS6detail15normal_iteratorINS9_10device_ptrIsEEEENS9_16discard_iteratorINS9_11use_defaultEEEs11max_functorIsEsEEDaPvRmT3_T4_T5_mT6_P12ihipStream_tbENKUlT_T0_E_clISt17integral_constantIbLb0EESX_EEDaSS_ST_EUlSS_E_NS1_11comp_targetILNS1_3genE0ELNS1_11target_archE4294967295ELNS1_3gpuE0ELNS1_3repE0EEENS1_30default_config_static_selectorELNS0_4arch9wavefront6targetE1EEEvT1_,"axG",@progbits,_ZN7rocprim17ROCPRIM_400000_NS6detail17trampoline_kernelINS0_14default_configENS1_20scan_config_selectorIsEEZZNS1_9scan_implILNS1_25lookback_scan_determinismE0ELb1ELb1ES3_N6thrust23THRUST_200600_302600_NS6detail15normal_iteratorINS9_10device_ptrIsEEEENS9_16discard_iteratorINS9_11use_defaultEEEs11max_functorIsEsEEDaPvRmT3_T4_T5_mT6_P12ihipStream_tbENKUlT_T0_E_clISt17integral_constantIbLb0EESX_EEDaSS_ST_EUlSS_E_NS1_11comp_targetILNS1_3genE0ELNS1_11target_archE4294967295ELNS1_3gpuE0ELNS1_3repE0EEENS1_30default_config_static_selectorELNS0_4arch9wavefront6targetE1EEEvT1_,comdat
	.protected	_ZN7rocprim17ROCPRIM_400000_NS6detail17trampoline_kernelINS0_14default_configENS1_20scan_config_selectorIsEEZZNS1_9scan_implILNS1_25lookback_scan_determinismE0ELb1ELb1ES3_N6thrust23THRUST_200600_302600_NS6detail15normal_iteratorINS9_10device_ptrIsEEEENS9_16discard_iteratorINS9_11use_defaultEEEs11max_functorIsEsEEDaPvRmT3_T4_T5_mT6_P12ihipStream_tbENKUlT_T0_E_clISt17integral_constantIbLb0EESX_EEDaSS_ST_EUlSS_E_NS1_11comp_targetILNS1_3genE0ELNS1_11target_archE4294967295ELNS1_3gpuE0ELNS1_3repE0EEENS1_30default_config_static_selectorELNS0_4arch9wavefront6targetE1EEEvT1_ ; -- Begin function _ZN7rocprim17ROCPRIM_400000_NS6detail17trampoline_kernelINS0_14default_configENS1_20scan_config_selectorIsEEZZNS1_9scan_implILNS1_25lookback_scan_determinismE0ELb1ELb1ES3_N6thrust23THRUST_200600_302600_NS6detail15normal_iteratorINS9_10device_ptrIsEEEENS9_16discard_iteratorINS9_11use_defaultEEEs11max_functorIsEsEEDaPvRmT3_T4_T5_mT6_P12ihipStream_tbENKUlT_T0_E_clISt17integral_constantIbLb0EESX_EEDaSS_ST_EUlSS_E_NS1_11comp_targetILNS1_3genE0ELNS1_11target_archE4294967295ELNS1_3gpuE0ELNS1_3repE0EEENS1_30default_config_static_selectorELNS0_4arch9wavefront6targetE1EEEvT1_
	.globl	_ZN7rocprim17ROCPRIM_400000_NS6detail17trampoline_kernelINS0_14default_configENS1_20scan_config_selectorIsEEZZNS1_9scan_implILNS1_25lookback_scan_determinismE0ELb1ELb1ES3_N6thrust23THRUST_200600_302600_NS6detail15normal_iteratorINS9_10device_ptrIsEEEENS9_16discard_iteratorINS9_11use_defaultEEEs11max_functorIsEsEEDaPvRmT3_T4_T5_mT6_P12ihipStream_tbENKUlT_T0_E_clISt17integral_constantIbLb0EESX_EEDaSS_ST_EUlSS_E_NS1_11comp_targetILNS1_3genE0ELNS1_11target_archE4294967295ELNS1_3gpuE0ELNS1_3repE0EEENS1_30default_config_static_selectorELNS0_4arch9wavefront6targetE1EEEvT1_
	.p2align	8
	.type	_ZN7rocprim17ROCPRIM_400000_NS6detail17trampoline_kernelINS0_14default_configENS1_20scan_config_selectorIsEEZZNS1_9scan_implILNS1_25lookback_scan_determinismE0ELb1ELb1ES3_N6thrust23THRUST_200600_302600_NS6detail15normal_iteratorINS9_10device_ptrIsEEEENS9_16discard_iteratorINS9_11use_defaultEEEs11max_functorIsEsEEDaPvRmT3_T4_T5_mT6_P12ihipStream_tbENKUlT_T0_E_clISt17integral_constantIbLb0EESX_EEDaSS_ST_EUlSS_E_NS1_11comp_targetILNS1_3genE0ELNS1_11target_archE4294967295ELNS1_3gpuE0ELNS1_3repE0EEENS1_30default_config_static_selectorELNS0_4arch9wavefront6targetE1EEEvT1_,@function
_ZN7rocprim17ROCPRIM_400000_NS6detail17trampoline_kernelINS0_14default_configENS1_20scan_config_selectorIsEEZZNS1_9scan_implILNS1_25lookback_scan_determinismE0ELb1ELb1ES3_N6thrust23THRUST_200600_302600_NS6detail15normal_iteratorINS9_10device_ptrIsEEEENS9_16discard_iteratorINS9_11use_defaultEEEs11max_functorIsEsEEDaPvRmT3_T4_T5_mT6_P12ihipStream_tbENKUlT_T0_E_clISt17integral_constantIbLb0EESX_EEDaSS_ST_EUlSS_E_NS1_11comp_targetILNS1_3genE0ELNS1_11target_archE4294967295ELNS1_3gpuE0ELNS1_3repE0EEENS1_30default_config_static_selectorELNS0_4arch9wavefront6targetE1EEEvT1_: ; @_ZN7rocprim17ROCPRIM_400000_NS6detail17trampoline_kernelINS0_14default_configENS1_20scan_config_selectorIsEEZZNS1_9scan_implILNS1_25lookback_scan_determinismE0ELb1ELb1ES3_N6thrust23THRUST_200600_302600_NS6detail15normal_iteratorINS9_10device_ptrIsEEEENS9_16discard_iteratorINS9_11use_defaultEEEs11max_functorIsEsEEDaPvRmT3_T4_T5_mT6_P12ihipStream_tbENKUlT_T0_E_clISt17integral_constantIbLb0EESX_EEDaSS_ST_EUlSS_E_NS1_11comp_targetILNS1_3genE0ELNS1_11target_archE4294967295ELNS1_3gpuE0ELNS1_3repE0EEENS1_30default_config_static_selectorELNS0_4arch9wavefront6targetE1EEEvT1_
; %bb.0:
	.section	.rodata,"a",@progbits
	.p2align	6, 0x0
	.amdhsa_kernel _ZN7rocprim17ROCPRIM_400000_NS6detail17trampoline_kernelINS0_14default_configENS1_20scan_config_selectorIsEEZZNS1_9scan_implILNS1_25lookback_scan_determinismE0ELb1ELb1ES3_N6thrust23THRUST_200600_302600_NS6detail15normal_iteratorINS9_10device_ptrIsEEEENS9_16discard_iteratorINS9_11use_defaultEEEs11max_functorIsEsEEDaPvRmT3_T4_T5_mT6_P12ihipStream_tbENKUlT_T0_E_clISt17integral_constantIbLb0EESX_EEDaSS_ST_EUlSS_E_NS1_11comp_targetILNS1_3genE0ELNS1_11target_archE4294967295ELNS1_3gpuE0ELNS1_3repE0EEENS1_30default_config_static_selectorELNS0_4arch9wavefront6targetE1EEEvT1_
		.amdhsa_group_segment_fixed_size 0
		.amdhsa_private_segment_fixed_size 0
		.amdhsa_kernarg_size 104
		.amdhsa_user_sgpr_count 6
		.amdhsa_user_sgpr_private_segment_buffer 1
		.amdhsa_user_sgpr_dispatch_ptr 0
		.amdhsa_user_sgpr_queue_ptr 0
		.amdhsa_user_sgpr_kernarg_segment_ptr 1
		.amdhsa_user_sgpr_dispatch_id 0
		.amdhsa_user_sgpr_flat_scratch_init 0
		.amdhsa_user_sgpr_kernarg_preload_length 0
		.amdhsa_user_sgpr_kernarg_preload_offset 0
		.amdhsa_user_sgpr_private_segment_size 0
		.amdhsa_uses_dynamic_stack 0
		.amdhsa_system_sgpr_private_segment_wavefront_offset 0
		.amdhsa_system_sgpr_workgroup_id_x 1
		.amdhsa_system_sgpr_workgroup_id_y 0
		.amdhsa_system_sgpr_workgroup_id_z 0
		.amdhsa_system_sgpr_workgroup_info 0
		.amdhsa_system_vgpr_workitem_id 0
		.amdhsa_next_free_vgpr 1
		.amdhsa_next_free_sgpr 0
		.amdhsa_accum_offset 4
		.amdhsa_reserve_vcc 0
		.amdhsa_reserve_flat_scratch 0
		.amdhsa_float_round_mode_32 0
		.amdhsa_float_round_mode_16_64 0
		.amdhsa_float_denorm_mode_32 3
		.amdhsa_float_denorm_mode_16_64 3
		.amdhsa_dx10_clamp 1
		.amdhsa_ieee_mode 1
		.amdhsa_fp16_overflow 0
		.amdhsa_tg_split 0
		.amdhsa_exception_fp_ieee_invalid_op 0
		.amdhsa_exception_fp_denorm_src 0
		.amdhsa_exception_fp_ieee_div_zero 0
		.amdhsa_exception_fp_ieee_overflow 0
		.amdhsa_exception_fp_ieee_underflow 0
		.amdhsa_exception_fp_ieee_inexact 0
		.amdhsa_exception_int_div_zero 0
	.end_amdhsa_kernel
	.section	.text._ZN7rocprim17ROCPRIM_400000_NS6detail17trampoline_kernelINS0_14default_configENS1_20scan_config_selectorIsEEZZNS1_9scan_implILNS1_25lookback_scan_determinismE0ELb1ELb1ES3_N6thrust23THRUST_200600_302600_NS6detail15normal_iteratorINS9_10device_ptrIsEEEENS9_16discard_iteratorINS9_11use_defaultEEEs11max_functorIsEsEEDaPvRmT3_T4_T5_mT6_P12ihipStream_tbENKUlT_T0_E_clISt17integral_constantIbLb0EESX_EEDaSS_ST_EUlSS_E_NS1_11comp_targetILNS1_3genE0ELNS1_11target_archE4294967295ELNS1_3gpuE0ELNS1_3repE0EEENS1_30default_config_static_selectorELNS0_4arch9wavefront6targetE1EEEvT1_,"axG",@progbits,_ZN7rocprim17ROCPRIM_400000_NS6detail17trampoline_kernelINS0_14default_configENS1_20scan_config_selectorIsEEZZNS1_9scan_implILNS1_25lookback_scan_determinismE0ELb1ELb1ES3_N6thrust23THRUST_200600_302600_NS6detail15normal_iteratorINS9_10device_ptrIsEEEENS9_16discard_iteratorINS9_11use_defaultEEEs11max_functorIsEsEEDaPvRmT3_T4_T5_mT6_P12ihipStream_tbENKUlT_T0_E_clISt17integral_constantIbLb0EESX_EEDaSS_ST_EUlSS_E_NS1_11comp_targetILNS1_3genE0ELNS1_11target_archE4294967295ELNS1_3gpuE0ELNS1_3repE0EEENS1_30default_config_static_selectorELNS0_4arch9wavefront6targetE1EEEvT1_,comdat
.Lfunc_end4070:
	.size	_ZN7rocprim17ROCPRIM_400000_NS6detail17trampoline_kernelINS0_14default_configENS1_20scan_config_selectorIsEEZZNS1_9scan_implILNS1_25lookback_scan_determinismE0ELb1ELb1ES3_N6thrust23THRUST_200600_302600_NS6detail15normal_iteratorINS9_10device_ptrIsEEEENS9_16discard_iteratorINS9_11use_defaultEEEs11max_functorIsEsEEDaPvRmT3_T4_T5_mT6_P12ihipStream_tbENKUlT_T0_E_clISt17integral_constantIbLb0EESX_EEDaSS_ST_EUlSS_E_NS1_11comp_targetILNS1_3genE0ELNS1_11target_archE4294967295ELNS1_3gpuE0ELNS1_3repE0EEENS1_30default_config_static_selectorELNS0_4arch9wavefront6targetE1EEEvT1_, .Lfunc_end4070-_ZN7rocprim17ROCPRIM_400000_NS6detail17trampoline_kernelINS0_14default_configENS1_20scan_config_selectorIsEEZZNS1_9scan_implILNS1_25lookback_scan_determinismE0ELb1ELb1ES3_N6thrust23THRUST_200600_302600_NS6detail15normal_iteratorINS9_10device_ptrIsEEEENS9_16discard_iteratorINS9_11use_defaultEEEs11max_functorIsEsEEDaPvRmT3_T4_T5_mT6_P12ihipStream_tbENKUlT_T0_E_clISt17integral_constantIbLb0EESX_EEDaSS_ST_EUlSS_E_NS1_11comp_targetILNS1_3genE0ELNS1_11target_archE4294967295ELNS1_3gpuE0ELNS1_3repE0EEENS1_30default_config_static_selectorELNS0_4arch9wavefront6targetE1EEEvT1_
                                        ; -- End function
	.section	.AMDGPU.csdata,"",@progbits
; Kernel info:
; codeLenInByte = 0
; NumSgprs: 4
; NumVgprs: 0
; NumAgprs: 0
; TotalNumVgprs: 0
; ScratchSize: 0
; MemoryBound: 0
; FloatMode: 240
; IeeeMode: 1
; LDSByteSize: 0 bytes/workgroup (compile time only)
; SGPRBlocks: 0
; VGPRBlocks: 0
; NumSGPRsForWavesPerEU: 4
; NumVGPRsForWavesPerEU: 1
; AccumOffset: 4
; Occupancy: 8
; WaveLimiterHint : 0
; COMPUTE_PGM_RSRC2:SCRATCH_EN: 0
; COMPUTE_PGM_RSRC2:USER_SGPR: 6
; COMPUTE_PGM_RSRC2:TRAP_HANDLER: 0
; COMPUTE_PGM_RSRC2:TGID_X_EN: 1
; COMPUTE_PGM_RSRC2:TGID_Y_EN: 0
; COMPUTE_PGM_RSRC2:TGID_Z_EN: 0
; COMPUTE_PGM_RSRC2:TIDIG_COMP_CNT: 0
; COMPUTE_PGM_RSRC3_GFX90A:ACCUM_OFFSET: 0
; COMPUTE_PGM_RSRC3_GFX90A:TG_SPLIT: 0
	.section	.text._ZN7rocprim17ROCPRIM_400000_NS6detail17trampoline_kernelINS0_14default_configENS1_20scan_config_selectorIsEEZZNS1_9scan_implILNS1_25lookback_scan_determinismE0ELb1ELb1ES3_N6thrust23THRUST_200600_302600_NS6detail15normal_iteratorINS9_10device_ptrIsEEEENS9_16discard_iteratorINS9_11use_defaultEEEs11max_functorIsEsEEDaPvRmT3_T4_T5_mT6_P12ihipStream_tbENKUlT_T0_E_clISt17integral_constantIbLb0EESX_EEDaSS_ST_EUlSS_E_NS1_11comp_targetILNS1_3genE5ELNS1_11target_archE942ELNS1_3gpuE9ELNS1_3repE0EEENS1_30default_config_static_selectorELNS0_4arch9wavefront6targetE1EEEvT1_,"axG",@progbits,_ZN7rocprim17ROCPRIM_400000_NS6detail17trampoline_kernelINS0_14default_configENS1_20scan_config_selectorIsEEZZNS1_9scan_implILNS1_25lookback_scan_determinismE0ELb1ELb1ES3_N6thrust23THRUST_200600_302600_NS6detail15normal_iteratorINS9_10device_ptrIsEEEENS9_16discard_iteratorINS9_11use_defaultEEEs11max_functorIsEsEEDaPvRmT3_T4_T5_mT6_P12ihipStream_tbENKUlT_T0_E_clISt17integral_constantIbLb0EESX_EEDaSS_ST_EUlSS_E_NS1_11comp_targetILNS1_3genE5ELNS1_11target_archE942ELNS1_3gpuE9ELNS1_3repE0EEENS1_30default_config_static_selectorELNS0_4arch9wavefront6targetE1EEEvT1_,comdat
	.protected	_ZN7rocprim17ROCPRIM_400000_NS6detail17trampoline_kernelINS0_14default_configENS1_20scan_config_selectorIsEEZZNS1_9scan_implILNS1_25lookback_scan_determinismE0ELb1ELb1ES3_N6thrust23THRUST_200600_302600_NS6detail15normal_iteratorINS9_10device_ptrIsEEEENS9_16discard_iteratorINS9_11use_defaultEEEs11max_functorIsEsEEDaPvRmT3_T4_T5_mT6_P12ihipStream_tbENKUlT_T0_E_clISt17integral_constantIbLb0EESX_EEDaSS_ST_EUlSS_E_NS1_11comp_targetILNS1_3genE5ELNS1_11target_archE942ELNS1_3gpuE9ELNS1_3repE0EEENS1_30default_config_static_selectorELNS0_4arch9wavefront6targetE1EEEvT1_ ; -- Begin function _ZN7rocprim17ROCPRIM_400000_NS6detail17trampoline_kernelINS0_14default_configENS1_20scan_config_selectorIsEEZZNS1_9scan_implILNS1_25lookback_scan_determinismE0ELb1ELb1ES3_N6thrust23THRUST_200600_302600_NS6detail15normal_iteratorINS9_10device_ptrIsEEEENS9_16discard_iteratorINS9_11use_defaultEEEs11max_functorIsEsEEDaPvRmT3_T4_T5_mT6_P12ihipStream_tbENKUlT_T0_E_clISt17integral_constantIbLb0EESX_EEDaSS_ST_EUlSS_E_NS1_11comp_targetILNS1_3genE5ELNS1_11target_archE942ELNS1_3gpuE9ELNS1_3repE0EEENS1_30default_config_static_selectorELNS0_4arch9wavefront6targetE1EEEvT1_
	.globl	_ZN7rocprim17ROCPRIM_400000_NS6detail17trampoline_kernelINS0_14default_configENS1_20scan_config_selectorIsEEZZNS1_9scan_implILNS1_25lookback_scan_determinismE0ELb1ELb1ES3_N6thrust23THRUST_200600_302600_NS6detail15normal_iteratorINS9_10device_ptrIsEEEENS9_16discard_iteratorINS9_11use_defaultEEEs11max_functorIsEsEEDaPvRmT3_T4_T5_mT6_P12ihipStream_tbENKUlT_T0_E_clISt17integral_constantIbLb0EESX_EEDaSS_ST_EUlSS_E_NS1_11comp_targetILNS1_3genE5ELNS1_11target_archE942ELNS1_3gpuE9ELNS1_3repE0EEENS1_30default_config_static_selectorELNS0_4arch9wavefront6targetE1EEEvT1_
	.p2align	8
	.type	_ZN7rocprim17ROCPRIM_400000_NS6detail17trampoline_kernelINS0_14default_configENS1_20scan_config_selectorIsEEZZNS1_9scan_implILNS1_25lookback_scan_determinismE0ELb1ELb1ES3_N6thrust23THRUST_200600_302600_NS6detail15normal_iteratorINS9_10device_ptrIsEEEENS9_16discard_iteratorINS9_11use_defaultEEEs11max_functorIsEsEEDaPvRmT3_T4_T5_mT6_P12ihipStream_tbENKUlT_T0_E_clISt17integral_constantIbLb0EESX_EEDaSS_ST_EUlSS_E_NS1_11comp_targetILNS1_3genE5ELNS1_11target_archE942ELNS1_3gpuE9ELNS1_3repE0EEENS1_30default_config_static_selectorELNS0_4arch9wavefront6targetE1EEEvT1_,@function
_ZN7rocprim17ROCPRIM_400000_NS6detail17trampoline_kernelINS0_14default_configENS1_20scan_config_selectorIsEEZZNS1_9scan_implILNS1_25lookback_scan_determinismE0ELb1ELb1ES3_N6thrust23THRUST_200600_302600_NS6detail15normal_iteratorINS9_10device_ptrIsEEEENS9_16discard_iteratorINS9_11use_defaultEEEs11max_functorIsEsEEDaPvRmT3_T4_T5_mT6_P12ihipStream_tbENKUlT_T0_E_clISt17integral_constantIbLb0EESX_EEDaSS_ST_EUlSS_E_NS1_11comp_targetILNS1_3genE5ELNS1_11target_archE942ELNS1_3gpuE9ELNS1_3repE0EEENS1_30default_config_static_selectorELNS0_4arch9wavefront6targetE1EEEvT1_: ; @_ZN7rocprim17ROCPRIM_400000_NS6detail17trampoline_kernelINS0_14default_configENS1_20scan_config_selectorIsEEZZNS1_9scan_implILNS1_25lookback_scan_determinismE0ELb1ELb1ES3_N6thrust23THRUST_200600_302600_NS6detail15normal_iteratorINS9_10device_ptrIsEEEENS9_16discard_iteratorINS9_11use_defaultEEEs11max_functorIsEsEEDaPvRmT3_T4_T5_mT6_P12ihipStream_tbENKUlT_T0_E_clISt17integral_constantIbLb0EESX_EEDaSS_ST_EUlSS_E_NS1_11comp_targetILNS1_3genE5ELNS1_11target_archE942ELNS1_3gpuE9ELNS1_3repE0EEENS1_30default_config_static_selectorELNS0_4arch9wavefront6targetE1EEEvT1_
; %bb.0:
	.section	.rodata,"a",@progbits
	.p2align	6, 0x0
	.amdhsa_kernel _ZN7rocprim17ROCPRIM_400000_NS6detail17trampoline_kernelINS0_14default_configENS1_20scan_config_selectorIsEEZZNS1_9scan_implILNS1_25lookback_scan_determinismE0ELb1ELb1ES3_N6thrust23THRUST_200600_302600_NS6detail15normal_iteratorINS9_10device_ptrIsEEEENS9_16discard_iteratorINS9_11use_defaultEEEs11max_functorIsEsEEDaPvRmT3_T4_T5_mT6_P12ihipStream_tbENKUlT_T0_E_clISt17integral_constantIbLb0EESX_EEDaSS_ST_EUlSS_E_NS1_11comp_targetILNS1_3genE5ELNS1_11target_archE942ELNS1_3gpuE9ELNS1_3repE0EEENS1_30default_config_static_selectorELNS0_4arch9wavefront6targetE1EEEvT1_
		.amdhsa_group_segment_fixed_size 0
		.amdhsa_private_segment_fixed_size 0
		.amdhsa_kernarg_size 104
		.amdhsa_user_sgpr_count 6
		.amdhsa_user_sgpr_private_segment_buffer 1
		.amdhsa_user_sgpr_dispatch_ptr 0
		.amdhsa_user_sgpr_queue_ptr 0
		.amdhsa_user_sgpr_kernarg_segment_ptr 1
		.amdhsa_user_sgpr_dispatch_id 0
		.amdhsa_user_sgpr_flat_scratch_init 0
		.amdhsa_user_sgpr_kernarg_preload_length 0
		.amdhsa_user_sgpr_kernarg_preload_offset 0
		.amdhsa_user_sgpr_private_segment_size 0
		.amdhsa_uses_dynamic_stack 0
		.amdhsa_system_sgpr_private_segment_wavefront_offset 0
		.amdhsa_system_sgpr_workgroup_id_x 1
		.amdhsa_system_sgpr_workgroup_id_y 0
		.amdhsa_system_sgpr_workgroup_id_z 0
		.amdhsa_system_sgpr_workgroup_info 0
		.amdhsa_system_vgpr_workitem_id 0
		.amdhsa_next_free_vgpr 1
		.amdhsa_next_free_sgpr 0
		.amdhsa_accum_offset 4
		.amdhsa_reserve_vcc 0
		.amdhsa_reserve_flat_scratch 0
		.amdhsa_float_round_mode_32 0
		.amdhsa_float_round_mode_16_64 0
		.amdhsa_float_denorm_mode_32 3
		.amdhsa_float_denorm_mode_16_64 3
		.amdhsa_dx10_clamp 1
		.amdhsa_ieee_mode 1
		.amdhsa_fp16_overflow 0
		.amdhsa_tg_split 0
		.amdhsa_exception_fp_ieee_invalid_op 0
		.amdhsa_exception_fp_denorm_src 0
		.amdhsa_exception_fp_ieee_div_zero 0
		.amdhsa_exception_fp_ieee_overflow 0
		.amdhsa_exception_fp_ieee_underflow 0
		.amdhsa_exception_fp_ieee_inexact 0
		.amdhsa_exception_int_div_zero 0
	.end_amdhsa_kernel
	.section	.text._ZN7rocprim17ROCPRIM_400000_NS6detail17trampoline_kernelINS0_14default_configENS1_20scan_config_selectorIsEEZZNS1_9scan_implILNS1_25lookback_scan_determinismE0ELb1ELb1ES3_N6thrust23THRUST_200600_302600_NS6detail15normal_iteratorINS9_10device_ptrIsEEEENS9_16discard_iteratorINS9_11use_defaultEEEs11max_functorIsEsEEDaPvRmT3_T4_T5_mT6_P12ihipStream_tbENKUlT_T0_E_clISt17integral_constantIbLb0EESX_EEDaSS_ST_EUlSS_E_NS1_11comp_targetILNS1_3genE5ELNS1_11target_archE942ELNS1_3gpuE9ELNS1_3repE0EEENS1_30default_config_static_selectorELNS0_4arch9wavefront6targetE1EEEvT1_,"axG",@progbits,_ZN7rocprim17ROCPRIM_400000_NS6detail17trampoline_kernelINS0_14default_configENS1_20scan_config_selectorIsEEZZNS1_9scan_implILNS1_25lookback_scan_determinismE0ELb1ELb1ES3_N6thrust23THRUST_200600_302600_NS6detail15normal_iteratorINS9_10device_ptrIsEEEENS9_16discard_iteratorINS9_11use_defaultEEEs11max_functorIsEsEEDaPvRmT3_T4_T5_mT6_P12ihipStream_tbENKUlT_T0_E_clISt17integral_constantIbLb0EESX_EEDaSS_ST_EUlSS_E_NS1_11comp_targetILNS1_3genE5ELNS1_11target_archE942ELNS1_3gpuE9ELNS1_3repE0EEENS1_30default_config_static_selectorELNS0_4arch9wavefront6targetE1EEEvT1_,comdat
.Lfunc_end4071:
	.size	_ZN7rocprim17ROCPRIM_400000_NS6detail17trampoline_kernelINS0_14default_configENS1_20scan_config_selectorIsEEZZNS1_9scan_implILNS1_25lookback_scan_determinismE0ELb1ELb1ES3_N6thrust23THRUST_200600_302600_NS6detail15normal_iteratorINS9_10device_ptrIsEEEENS9_16discard_iteratorINS9_11use_defaultEEEs11max_functorIsEsEEDaPvRmT3_T4_T5_mT6_P12ihipStream_tbENKUlT_T0_E_clISt17integral_constantIbLb0EESX_EEDaSS_ST_EUlSS_E_NS1_11comp_targetILNS1_3genE5ELNS1_11target_archE942ELNS1_3gpuE9ELNS1_3repE0EEENS1_30default_config_static_selectorELNS0_4arch9wavefront6targetE1EEEvT1_, .Lfunc_end4071-_ZN7rocprim17ROCPRIM_400000_NS6detail17trampoline_kernelINS0_14default_configENS1_20scan_config_selectorIsEEZZNS1_9scan_implILNS1_25lookback_scan_determinismE0ELb1ELb1ES3_N6thrust23THRUST_200600_302600_NS6detail15normal_iteratorINS9_10device_ptrIsEEEENS9_16discard_iteratorINS9_11use_defaultEEEs11max_functorIsEsEEDaPvRmT3_T4_T5_mT6_P12ihipStream_tbENKUlT_T0_E_clISt17integral_constantIbLb0EESX_EEDaSS_ST_EUlSS_E_NS1_11comp_targetILNS1_3genE5ELNS1_11target_archE942ELNS1_3gpuE9ELNS1_3repE0EEENS1_30default_config_static_selectorELNS0_4arch9wavefront6targetE1EEEvT1_
                                        ; -- End function
	.section	.AMDGPU.csdata,"",@progbits
; Kernel info:
; codeLenInByte = 0
; NumSgprs: 4
; NumVgprs: 0
; NumAgprs: 0
; TotalNumVgprs: 0
; ScratchSize: 0
; MemoryBound: 0
; FloatMode: 240
; IeeeMode: 1
; LDSByteSize: 0 bytes/workgroup (compile time only)
; SGPRBlocks: 0
; VGPRBlocks: 0
; NumSGPRsForWavesPerEU: 4
; NumVGPRsForWavesPerEU: 1
; AccumOffset: 4
; Occupancy: 8
; WaveLimiterHint : 0
; COMPUTE_PGM_RSRC2:SCRATCH_EN: 0
; COMPUTE_PGM_RSRC2:USER_SGPR: 6
; COMPUTE_PGM_RSRC2:TRAP_HANDLER: 0
; COMPUTE_PGM_RSRC2:TGID_X_EN: 1
; COMPUTE_PGM_RSRC2:TGID_Y_EN: 0
; COMPUTE_PGM_RSRC2:TGID_Z_EN: 0
; COMPUTE_PGM_RSRC2:TIDIG_COMP_CNT: 0
; COMPUTE_PGM_RSRC3_GFX90A:ACCUM_OFFSET: 0
; COMPUTE_PGM_RSRC3_GFX90A:TG_SPLIT: 0
	.section	.text._ZN7rocprim17ROCPRIM_400000_NS6detail17trampoline_kernelINS0_14default_configENS1_20scan_config_selectorIsEEZZNS1_9scan_implILNS1_25lookback_scan_determinismE0ELb1ELb1ES3_N6thrust23THRUST_200600_302600_NS6detail15normal_iteratorINS9_10device_ptrIsEEEENS9_16discard_iteratorINS9_11use_defaultEEEs11max_functorIsEsEEDaPvRmT3_T4_T5_mT6_P12ihipStream_tbENKUlT_T0_E_clISt17integral_constantIbLb0EESX_EEDaSS_ST_EUlSS_E_NS1_11comp_targetILNS1_3genE4ELNS1_11target_archE910ELNS1_3gpuE8ELNS1_3repE0EEENS1_30default_config_static_selectorELNS0_4arch9wavefront6targetE1EEEvT1_,"axG",@progbits,_ZN7rocprim17ROCPRIM_400000_NS6detail17trampoline_kernelINS0_14default_configENS1_20scan_config_selectorIsEEZZNS1_9scan_implILNS1_25lookback_scan_determinismE0ELb1ELb1ES3_N6thrust23THRUST_200600_302600_NS6detail15normal_iteratorINS9_10device_ptrIsEEEENS9_16discard_iteratorINS9_11use_defaultEEEs11max_functorIsEsEEDaPvRmT3_T4_T5_mT6_P12ihipStream_tbENKUlT_T0_E_clISt17integral_constantIbLb0EESX_EEDaSS_ST_EUlSS_E_NS1_11comp_targetILNS1_3genE4ELNS1_11target_archE910ELNS1_3gpuE8ELNS1_3repE0EEENS1_30default_config_static_selectorELNS0_4arch9wavefront6targetE1EEEvT1_,comdat
	.protected	_ZN7rocprim17ROCPRIM_400000_NS6detail17trampoline_kernelINS0_14default_configENS1_20scan_config_selectorIsEEZZNS1_9scan_implILNS1_25lookback_scan_determinismE0ELb1ELb1ES3_N6thrust23THRUST_200600_302600_NS6detail15normal_iteratorINS9_10device_ptrIsEEEENS9_16discard_iteratorINS9_11use_defaultEEEs11max_functorIsEsEEDaPvRmT3_T4_T5_mT6_P12ihipStream_tbENKUlT_T0_E_clISt17integral_constantIbLb0EESX_EEDaSS_ST_EUlSS_E_NS1_11comp_targetILNS1_3genE4ELNS1_11target_archE910ELNS1_3gpuE8ELNS1_3repE0EEENS1_30default_config_static_selectorELNS0_4arch9wavefront6targetE1EEEvT1_ ; -- Begin function _ZN7rocprim17ROCPRIM_400000_NS6detail17trampoline_kernelINS0_14default_configENS1_20scan_config_selectorIsEEZZNS1_9scan_implILNS1_25lookback_scan_determinismE0ELb1ELb1ES3_N6thrust23THRUST_200600_302600_NS6detail15normal_iteratorINS9_10device_ptrIsEEEENS9_16discard_iteratorINS9_11use_defaultEEEs11max_functorIsEsEEDaPvRmT3_T4_T5_mT6_P12ihipStream_tbENKUlT_T0_E_clISt17integral_constantIbLb0EESX_EEDaSS_ST_EUlSS_E_NS1_11comp_targetILNS1_3genE4ELNS1_11target_archE910ELNS1_3gpuE8ELNS1_3repE0EEENS1_30default_config_static_selectorELNS0_4arch9wavefront6targetE1EEEvT1_
	.globl	_ZN7rocprim17ROCPRIM_400000_NS6detail17trampoline_kernelINS0_14default_configENS1_20scan_config_selectorIsEEZZNS1_9scan_implILNS1_25lookback_scan_determinismE0ELb1ELb1ES3_N6thrust23THRUST_200600_302600_NS6detail15normal_iteratorINS9_10device_ptrIsEEEENS9_16discard_iteratorINS9_11use_defaultEEEs11max_functorIsEsEEDaPvRmT3_T4_T5_mT6_P12ihipStream_tbENKUlT_T0_E_clISt17integral_constantIbLb0EESX_EEDaSS_ST_EUlSS_E_NS1_11comp_targetILNS1_3genE4ELNS1_11target_archE910ELNS1_3gpuE8ELNS1_3repE0EEENS1_30default_config_static_selectorELNS0_4arch9wavefront6targetE1EEEvT1_
	.p2align	8
	.type	_ZN7rocprim17ROCPRIM_400000_NS6detail17trampoline_kernelINS0_14default_configENS1_20scan_config_selectorIsEEZZNS1_9scan_implILNS1_25lookback_scan_determinismE0ELb1ELb1ES3_N6thrust23THRUST_200600_302600_NS6detail15normal_iteratorINS9_10device_ptrIsEEEENS9_16discard_iteratorINS9_11use_defaultEEEs11max_functorIsEsEEDaPvRmT3_T4_T5_mT6_P12ihipStream_tbENKUlT_T0_E_clISt17integral_constantIbLb0EESX_EEDaSS_ST_EUlSS_E_NS1_11comp_targetILNS1_3genE4ELNS1_11target_archE910ELNS1_3gpuE8ELNS1_3repE0EEENS1_30default_config_static_selectorELNS0_4arch9wavefront6targetE1EEEvT1_,@function
_ZN7rocprim17ROCPRIM_400000_NS6detail17trampoline_kernelINS0_14default_configENS1_20scan_config_selectorIsEEZZNS1_9scan_implILNS1_25lookback_scan_determinismE0ELb1ELb1ES3_N6thrust23THRUST_200600_302600_NS6detail15normal_iteratorINS9_10device_ptrIsEEEENS9_16discard_iteratorINS9_11use_defaultEEEs11max_functorIsEsEEDaPvRmT3_T4_T5_mT6_P12ihipStream_tbENKUlT_T0_E_clISt17integral_constantIbLb0EESX_EEDaSS_ST_EUlSS_E_NS1_11comp_targetILNS1_3genE4ELNS1_11target_archE910ELNS1_3gpuE8ELNS1_3repE0EEENS1_30default_config_static_selectorELNS0_4arch9wavefront6targetE1EEEvT1_: ; @_ZN7rocprim17ROCPRIM_400000_NS6detail17trampoline_kernelINS0_14default_configENS1_20scan_config_selectorIsEEZZNS1_9scan_implILNS1_25lookback_scan_determinismE0ELb1ELb1ES3_N6thrust23THRUST_200600_302600_NS6detail15normal_iteratorINS9_10device_ptrIsEEEENS9_16discard_iteratorINS9_11use_defaultEEEs11max_functorIsEsEEDaPvRmT3_T4_T5_mT6_P12ihipStream_tbENKUlT_T0_E_clISt17integral_constantIbLb0EESX_EEDaSS_ST_EUlSS_E_NS1_11comp_targetILNS1_3genE4ELNS1_11target_archE910ELNS1_3gpuE8ELNS1_3repE0EEENS1_30default_config_static_selectorELNS0_4arch9wavefront6targetE1EEEvT1_
; %bb.0:
	s_load_dwordx4 s[0:3], s[4:5], 0x0
	s_load_dwordx2 s[8:9], s[4:5], 0x20
	s_load_dword s7, s[4:5], 0x38
	v_lshlrev_b32_e32 v1, 1, v0
	s_waitcnt lgkmcnt(0)
	s_lshl_b64 s[2:3], s[2:3], 1
	s_add_u32 s21, s0, s2
	s_addc_u32 s22, s1, s3
	s_add_i32 s2, s7, -1
	s_mul_i32 s3, s2, 0x600
	s_sub_u32 s7, s8, s3
	s_subb_u32 s20, s9, 0
	s_mul_i32 s0, s6, 0x600
	s_mov_b32 s1, 0
	s_cmp_lg_u32 s6, s2
	s_cselect_b64 s[16:17], -1, 0
	s_lshl_b64 s[0:1], s[0:1], 1
	s_add_u32 s0, s21, s0
	s_addc_u32 s1, s22, s1
	s_mov_b64 s[2:3], -1
	s_and_b64 vcc, exec, s[16:17]
	s_cbranch_vccz .LBB4072_2
; %bb.1:
	v_mov_b32_e32 v3, s1
	v_add_co_u32_e32 v2, vcc, s0, v1
	v_addc_co_u32_e32 v3, vcc, 0, v3, vcc
	flat_load_ushort v4, v[2:3]
	flat_load_ushort v5, v[2:3] offset:128
	flat_load_ushort v6, v[2:3] offset:256
	;; [unrolled: 1-line block ×23, first 2 shown]
	s_mov_b64 s[2:3], 0
	s_waitcnt vmcnt(0) lgkmcnt(0)
	ds_write_b16 v1, v4
	ds_write_b16 v1, v5 offset:128
	ds_write_b16 v1, v6 offset:256
	;; [unrolled: 1-line block ×23, first 2 shown]
	s_waitcnt lgkmcnt(0)
	; wave barrier
.LBB4072_2:
	s_load_dwordx2 s[18:19], s[4:5], 0x30
	s_andn2_b64 vcc, exec, s[2:3]
	s_cbranch_vccnz .LBB4072_52
; %bb.3:
	v_pk_mov_b32 v[2:3], s[0:1], s[0:1] op_sel:[0,1]
	flat_load_ushort v2, v[2:3]
	v_cmp_gt_u32_e32 vcc, s7, v0
	s_waitcnt vmcnt(0) lgkmcnt(0)
	v_mov_b32_e32 v3, v2
	s_and_saveexec_b64 s[2:3], vcc
	s_cbranch_execz .LBB4072_5
; %bb.4:
	v_mov_b32_e32 v3, s1
	v_add_co_u32_e32 v4, vcc, s0, v1
	v_addc_co_u32_e32 v5, vcc, 0, v3, vcc
	flat_load_ushort v3, v[4:5]
.LBB4072_5:
	s_or_b64 exec, exec, s[2:3]
	v_or_b32_e32 v4, 64, v0
	v_cmp_gt_u32_e32 vcc, s7, v4
	v_mov_b32_e32 v4, v2
	s_and_saveexec_b64 s[2:3], vcc
	s_cbranch_execz .LBB4072_7
; %bb.6:
	v_mov_b32_e32 v5, s1
	v_add_co_u32_e32 v4, vcc, s0, v1
	v_addc_co_u32_e32 v5, vcc, 0, v5, vcc
	flat_load_ushort v4, v[4:5] offset:128
.LBB4072_7:
	s_or_b64 exec, exec, s[2:3]
	v_or_b32_e32 v5, 0x80, v0
	v_cmp_gt_u32_e32 vcc, s7, v5
	v_mov_b32_e32 v5, v2
	s_and_saveexec_b64 s[2:3], vcc
	s_cbranch_execz .LBB4072_9
; %bb.8:
	v_mov_b32_e32 v5, s1
	v_add_co_u32_e32 v6, vcc, s0, v1
	v_addc_co_u32_e32 v7, vcc, 0, v5, vcc
	flat_load_ushort v5, v[6:7] offset:256
.LBB4072_9:
	;; [unrolled: 12-line block ×22, first 2 shown]
	s_or_b64 exec, exec, s[2:3]
	v_or_b32_e32 v26, 0x5c0, v0
	v_cmp_gt_u32_e32 vcc, s7, v26
	s_and_saveexec_b64 s[2:3], vcc
	s_cbranch_execz .LBB4072_51
; %bb.50:
	v_mov_b32_e32 v2, s1
	v_add_co_u32_e32 v26, vcc, s0, v1
	v_addc_co_u32_e32 v27, vcc, 0, v2, vcc
	flat_load_ushort v2, v[26:27] offset:2944
.LBB4072_51:
	s_or_b64 exec, exec, s[2:3]
	s_waitcnt vmcnt(0) lgkmcnt(0)
	ds_write_b16 v1, v3
	ds_write_b16 v1, v4 offset:128
	ds_write_b16 v1, v5 offset:256
	;; [unrolled: 1-line block ×23, first 2 shown]
	s_waitcnt lgkmcnt(0)
	; wave barrier
.LBB4072_52:
	v_mul_u32_u24_e32 v20, 24, v0
	v_lshlrev_b32_e32 v21, 1, v20
	s_waitcnt lgkmcnt(0)
	ds_read_b128 v[10:13], v21
	ds_read_b128 v[6:9], v21 offset:16
	ds_read_b128 v[2:5], v21 offset:32
	s_cmp_lg_u32 s6, 0
	v_mbcnt_lo_u32_b32 v32, -1, 0
	s_waitcnt lgkmcnt(2)
	v_lshrrev_b32_e32 v30, 16, v11
	v_max_i16_sdwa v14, v10, v10 dst_sel:DWORD dst_unused:UNUSED_PAD src0_sel:DWORD src1_sel:WORD_1
	v_lshrrev_b32_e32 v29, 16, v12
	v_lshrrev_b32_e32 v28, 16, v13
	s_waitcnt lgkmcnt(1)
	v_lshrrev_b32_e32 v27, 16, v6
	v_lshrrev_b32_e32 v26, 16, v7
	;; [unrolled: 1-line block ×4, first 2 shown]
	s_waitcnt lgkmcnt(0)
	v_lshrrev_b32_e32 v23, 16, v2
	v_lshrrev_b32_e32 v22, 16, v3
	;; [unrolled: 1-line block ×4, first 2 shown]
	v_max3_i16 v33, v14, v11, v30
	v_cmp_eq_u32_e32 vcc, 63, v0
	s_waitcnt lgkmcnt(0)
	; wave barrier
	s_cbranch_scc0 .LBB4072_75
; %bb.53:
	v_max3_i16 v14, v33, v12, v29
	v_max3_i16 v14, v14, v13, v28
	;; [unrolled: 1-line block ×10, first 2 shown]
	v_mbcnt_hi_u32_b32 v15, -1, v32
	v_and_b32_e32 v17, 0xffff, v14
	v_and_b32_e32 v16, 15, v15
	v_cmp_eq_u32_e64 s[0:1], 0, v16
	v_mov_b32_dpp v17, v17 row_shr:1 row_mask:0xf bank_mask:0xf
	v_max_i16_e32 v17, v17, v14
	v_cndmask_b32_e64 v14, v17, v14, s[0:1]
	v_and_b32_e32 v17, 0xffff, v14
	v_cmp_lt_u32_e64 s[0:1], 1, v16
	s_nop 0
	v_mov_b32_dpp v17, v17 row_shr:2 row_mask:0xf bank_mask:0xf
	v_max_i16_e32 v17, v17, v14
	v_cndmask_b32_e64 v14, v14, v17, s[0:1]
	v_and_b32_e32 v17, 0xffff, v14
	v_cmp_lt_u32_e64 s[0:1], 3, v16
	s_nop 0
	;; [unrolled: 6-line block ×3, first 2 shown]
	v_mov_b32_dpp v17, v17 row_shr:8 row_mask:0xf bank_mask:0xf
	v_max_i16_e32 v17, v17, v14
	v_cndmask_b32_e64 v14, v14, v17, s[0:1]
	v_and_b32_e32 v16, 0xffff, v14
	v_and_b32_e32 v17, 16, v15
	v_cmp_eq_u32_e64 s[0:1], 0, v17
	v_mov_b32_dpp v16, v16 row_bcast:15 row_mask:0xf bank_mask:0xf
	v_max_i16_e32 v16, v16, v14
	v_cndmask_b32_e64 v14, v16, v14, s[0:1]
	v_and_b32_e32 v16, 0xffff, v14
	v_cmp_lt_u32_e64 s[0:1], 31, v15
	s_nop 0
	v_mov_b32_dpp v16, v16 row_bcast:31 row_mask:0xf bank_mask:0xf
	v_max_i16_e32 v16, v16, v14
	v_cndmask_b32_e64 v14, v14, v16, s[0:1]
	s_and_saveexec_b64 s[0:1], vcc
	s_cbranch_execz .LBB4072_55
; %bb.54:
	v_mov_b32_e32 v16, 0
	ds_write_b16 v16, v14
.LBB4072_55:
	s_or_b64 exec, exec, s[0:1]
	v_add_u32_e32 v16, -1, v15
	v_and_b32_e32 v17, 64, v15
	v_cmp_lt_i32_e32 vcc, v16, v17
	v_cndmask_b32_e32 v16, v16, v15, vcc
	v_and_b32_e32 v14, 0xffff, v14
	v_lshlrev_b32_e32 v16, 2, v16
	ds_bpermute_b32 v34, v16, v14
	v_cmp_gt_u32_e32 vcc, 64, v0
	s_waitcnt lgkmcnt(0)
	; wave barrier
	s_waitcnt lgkmcnt(0)
	s_and_saveexec_b64 s[14:15], vcc
	s_cbranch_execz .LBB4072_74
; %bb.56:
	v_mov_b32_e32 v17, 0
	ds_read_u16 v35, v17
	s_mov_b32 s9, 0
	v_cmp_eq_u32_e64 s[0:1], 0, v15
	s_and_saveexec_b64 s[2:3], s[0:1]
	s_cbranch_execz .LBB4072_58
; %bb.57:
	s_add_i32 s8, s6, 64
	s_lshl_b64 s[8:9], s[8:9], 2
	s_add_u32 s8, s18, s8
	s_waitcnt lgkmcnt(0)
	v_or_b32_e32 v14, 0x10000, v35
	s_addc_u32 s9, s19, s9
	global_store_dword v17, v14, s[8:9]
.LBB4072_58:
	s_or_b64 exec, exec, s[2:3]
	v_xad_u32 v14, v15, -1, s6
	v_add_u32_e32 v16, 64, v14
	v_lshlrev_b64 v[18:19], 2, v[16:17]
	v_mov_b32_e32 v16, s19
	v_add_co_u32_e32 v18, vcc, s18, v18
	v_addc_co_u32_e32 v19, vcc, v16, v19, vcc
	global_load_dword v48, v[18:19], off glc
	s_waitcnt vmcnt(0)
	v_lshrrev_b32_e32 v37, 16, v48
	v_cmp_eq_u16_sdwa s[8:9], v37, v17 src0_sel:BYTE_0 src1_sel:DWORD
	s_and_saveexec_b64 s[2:3], s[8:9]
	s_cbranch_execz .LBB4072_62
; %bb.59:
	s_mov_b64 s[8:9], 0
	v_mov_b32_e32 v16, 0
.LBB4072_60:                            ; =>This Inner Loop Header: Depth=1
	global_load_dword v48, v[18:19], off glc
	s_waitcnt vmcnt(0)
	v_lshrrev_b32_e32 v37, 16, v48
	v_cmp_ne_u16_sdwa s[10:11], v37, v16 src0_sel:BYTE_0 src1_sel:DWORD
	s_or_b64 s[8:9], s[10:11], s[8:9]
	s_andn2_b64 exec, exec, s[8:9]
	s_cbranch_execnz .LBB4072_60
; %bb.61:
	s_or_b64 exec, exec, s[8:9]
.LBB4072_62:
	s_or_b64 exec, exec, s[2:3]
	v_and_b32_e32 v38, 63, v15
	v_cmp_ne_u32_e32 vcc, 63, v38
	v_mov_b32_e32 v36, 2
	v_addc_co_u32_e32 v39, vcc, 0, v15, vcc
	v_cmp_eq_u16_sdwa s[2:3], v37, v36 src0_sel:BYTE_0 src1_sel:DWORD
	v_lshlrev_b64 v[16:17], v15, -1
	v_and_b32_e32 v40, 0xffff, v48
	v_lshlrev_b32_e32 v39, 2, v39
	v_and_b32_e32 v18, s3, v17
	ds_bpermute_b32 v41, v39, v40
	v_or_b32_e32 v18, 0x80000000, v18
	v_and_b32_e32 v19, s2, v16
	v_ffbl_b32_e32 v18, v18
	v_add_u32_e32 v18, 32, v18
	v_ffbl_b32_e32 v19, v19
	v_min_u32_e32 v18, v19, v18
	s_waitcnt lgkmcnt(0)
	v_max_i16_e32 v19, v41, v48
	v_cmp_lt_u32_e32 vcc, v38, v18
	v_cmp_gt_u32_e64 s[2:3], 62, v38
	v_cndmask_b32_e32 v42, v40, v19, vcc
	v_cndmask_b32_e64 v40, 0, 1, s[2:3]
	v_lshlrev_b32_e32 v40, 1, v40
	v_add_lshl_u32 v40, v40, v15, 2
	ds_bpermute_b32 v43, v40, v42
	v_cndmask_b32_e32 v19, v48, v19, vcc
	v_add_u32_e32 v41, 2, v38
	v_cmp_gt_u32_e64 s[2:3], v41, v18
	v_cmp_gt_u32_e64 s[8:9], 60, v38
	s_waitcnt lgkmcnt(0)
	v_max_i16_e32 v43, v43, v19
	v_cndmask_b32_e64 v44, v43, v42, s[2:3]
	v_cndmask_b32_e64 v42, 0, 1, s[8:9]
	v_lshlrev_b32_e32 v42, 2, v42
	v_add_lshl_u32 v42, v42, v15, 2
	ds_bpermute_b32 v45, v42, v44
	v_cndmask_b32_e64 v19, v43, v19, s[2:3]
	v_add_u32_e32 v43, 4, v38
	v_cmp_gt_u32_e64 s[2:3], v43, v18
	v_cmp_gt_u32_e64 s[8:9], 56, v38
	s_waitcnt lgkmcnt(0)
	v_max_i16_e32 v51, v45, v19
	v_cndmask_b32_e64 v46, v51, v44, s[2:3]
	v_cndmask_b32_e64 v44, 0, 1, s[8:9]
	v_lshlrev_b32_e32 v44, 3, v44
	v_add_lshl_u32 v44, v44, v15, 2
	ds_bpermute_b32 v47, v44, v46
	v_cndmask_b32_e64 v49, v51, v19, s[2:3]
	v_add_u32_e32 v45, 8, v38
	v_cmp_gt_u32_e64 s[8:9], v45, v18
	v_cmp_gt_u32_e64 s[10:11], 48, v38
	s_waitcnt lgkmcnt(0)
	v_max_i16_e32 v52, v47, v49
	v_cndmask_b32_e64 v50, v52, v46, s[8:9]
	v_cndmask_b32_e64 v46, 0, 1, s[10:11]
	v_lshlrev_b32_e32 v46, 4, v46
	v_add_lshl_u32 v46, v46, v15, 2
	ds_bpermute_b32 v53, v46, v50
	v_cmp_gt_u32_e64 s[12:13], 32, v38
	v_cndmask_b32_e64 v54, v52, v49, s[8:9]
	v_add_u32_e32 v47, 16, v38
	v_cndmask_b32_e64 v49, 0, 1, s[12:13]
	s_waitcnt lgkmcnt(0)
	v_max_i16_e32 v53, v53, v54
	v_cmp_gt_u32_e64 s[10:11], v47, v18
	v_lshlrev_b32_e32 v49, 5, v49
	v_cndmask_b32_e64 v50, v53, v50, s[10:11]
	v_add_lshl_u32 v49, v49, v15, 2
	ds_bpermute_b32 v15, v49, v50
	v_cndmask_b32_e32 v19, v48, v19, vcc
	v_cndmask_b32_e64 v19, v51, v19, s[2:3]
	v_add_u32_e32 v50, 32, v38
	v_cndmask_b32_e64 v54, v53, v54, s[10:11]
	v_cndmask_b32_e64 v19, v52, v19, s[8:9]
	s_waitcnt lgkmcnt(0)
	v_max_i16_e32 v15, v15, v54
	v_cndmask_b32_e64 v19, v53, v19, s[10:11]
	v_cmp_gt_u32_e32 vcc, v50, v18
	v_cndmask_b32_e32 v18, v15, v19, vcc
	v_mov_b32_e32 v15, 0
	s_branch .LBB4072_64
.LBB4072_63:                            ;   in Loop: Header=BB4072_64 Depth=1
	s_or_b64 exec, exec, s[2:3]
	v_cmp_eq_u16_sdwa s[2:3], v37, v36 src0_sel:BYTE_0 src1_sel:DWORD
	v_and_b32_e32 v52, 0xffff, v51
	v_and_b32_e32 v18, s3, v17
	ds_bpermute_b32 v53, v39, v52
	v_or_b32_e32 v18, 0x80000000, v18
	v_and_b32_e32 v19, s2, v16
	v_ffbl_b32_e32 v18, v18
	v_add_u32_e32 v18, 32, v18
	v_ffbl_b32_e32 v19, v19
	v_min_u32_e32 v18, v19, v18
	s_waitcnt lgkmcnt(0)
	v_max_i16_e32 v19, v53, v51
	v_cmp_lt_u32_e32 vcc, v38, v18
	v_cndmask_b32_e32 v52, v52, v19, vcc
	ds_bpermute_b32 v53, v40, v52
	v_cndmask_b32_e32 v19, v51, v19, vcc
	v_cmp_gt_u32_e64 s[2:3], v41, v18
	v_cmp_gt_u32_e64 s[8:9], v45, v18
	v_subrev_u32_e32 v14, 64, v14
	s_waitcnt lgkmcnt(0)
	v_max_i16_e32 v53, v53, v19
	v_cndmask_b32_e64 v52, v53, v52, s[2:3]
	ds_bpermute_b32 v54, v42, v52
	v_cndmask_b32_e64 v19, v53, v19, s[2:3]
	v_cmp_gt_u32_e64 s[2:3], v43, v18
	s_waitcnt lgkmcnt(0)
	v_max_i16_e32 v53, v54, v19
	v_cndmask_b32_e64 v52, v53, v52, s[2:3]
	ds_bpermute_b32 v54, v44, v52
	v_cndmask_b32_e64 v55, v53, v19, s[2:3]
	v_cndmask_b32_e32 v19, v51, v19, vcc
	v_cmp_gt_u32_e32 vcc, v47, v18
	v_cndmask_b32_e64 v19, v53, v19, s[2:3]
	s_waitcnt lgkmcnt(0)
	v_max_i16_e32 v54, v54, v55
	v_cndmask_b32_e64 v52, v54, v52, s[8:9]
	ds_bpermute_b32 v56, v46, v52
	v_cndmask_b32_e64 v51, v54, v55, s[8:9]
	v_cndmask_b32_e64 v19, v54, v19, s[8:9]
	s_waitcnt lgkmcnt(0)
	v_max_i16_e32 v55, v56, v51
	v_cndmask_b32_e32 v52, v55, v52, vcc
	ds_bpermute_b32 v52, v49, v52
	v_cndmask_b32_e32 v51, v55, v51, vcc
	v_cndmask_b32_e32 v19, v55, v19, vcc
	v_cmp_gt_u32_e32 vcc, v50, v18
	s_waitcnt lgkmcnt(0)
	v_max_i16_e32 v51, v52, v51
	v_cndmask_b32_e32 v18, v51, v19, vcc
	v_max_i16_e32 v18, v18, v48
.LBB4072_64:                            ; =>This Loop Header: Depth=1
                                        ;     Child Loop BB4072_67 Depth 2
	v_cmp_ne_u16_sdwa s[2:3], v37, v36 src0_sel:BYTE_0 src1_sel:DWORD
	v_cndmask_b32_e64 v19, 0, 1, s[2:3]
	;;#ASMSTART
	;;#ASMEND
	v_cmp_ne_u32_e32 vcc, 0, v19
	s_cmp_lg_u64 vcc, exec
	v_mov_b32_e32 v48, v18
	s_cbranch_scc1 .LBB4072_69
; %bb.65:                               ;   in Loop: Header=BB4072_64 Depth=1
	v_lshlrev_b64 v[18:19], 2, v[14:15]
	v_mov_b32_e32 v37, s19
	v_add_co_u32_e32 v18, vcc, s18, v18
	v_addc_co_u32_e32 v19, vcc, v37, v19, vcc
	global_load_dword v51, v[18:19], off glc
	s_waitcnt vmcnt(0)
	v_lshrrev_b32_e32 v37, 16, v51
	v_cmp_eq_u16_sdwa s[8:9], v37, v15 src0_sel:BYTE_0 src1_sel:DWORD
	s_and_saveexec_b64 s[2:3], s[8:9]
	s_cbranch_execz .LBB4072_63
; %bb.66:                               ;   in Loop: Header=BB4072_64 Depth=1
	s_mov_b64 s[8:9], 0
.LBB4072_67:                            ;   Parent Loop BB4072_64 Depth=1
                                        ; =>  This Inner Loop Header: Depth=2
	global_load_dword v51, v[18:19], off glc
	s_waitcnt vmcnt(0)
	v_lshrrev_b32_e32 v37, 16, v51
	v_cmp_ne_u16_sdwa s[10:11], v37, v15 src0_sel:BYTE_0 src1_sel:DWORD
	s_or_b64 s[8:9], s[10:11], s[8:9]
	s_andn2_b64 exec, exec, s[8:9]
	s_cbranch_execnz .LBB4072_67
; %bb.68:                               ;   in Loop: Header=BB4072_64 Depth=1
	s_or_b64 exec, exec, s[8:9]
	s_branch .LBB4072_63
.LBB4072_69:                            ;   in Loop: Header=BB4072_64 Depth=1
                                        ; implicit-def: $vgpr18
                                        ; implicit-def: $vgpr37
	s_cbranch_execz .LBB4072_64
; %bb.70:
	s_and_saveexec_b64 s[2:3], s[0:1]
	s_cbranch_execz .LBB4072_72
; %bb.71:
	s_add_i32 s0, s6, 64
	s_mov_b32 s1, 0
	s_lshl_b64 s[0:1], s[0:1], 2
	v_max_i16_e32 v14, v48, v35
	s_add_u32 s0, s18, s0
	v_or_b32_e32 v14, 0x20000, v14
	s_addc_u32 s1, s19, s1
	v_mov_b32_e32 v15, 0
	global_store_dword v15, v14, s[0:1]
.LBB4072_72:
	s_or_b64 exec, exec, s[2:3]
	v_cmp_eq_u32_e32 vcc, 0, v0
	s_and_b64 exec, exec, vcc
	s_cbranch_execz .LBB4072_74
; %bb.73:
	v_mov_b32_e32 v14, 0
	ds_write_b16 v14, v48
.LBB4072_74:
	s_or_b64 exec, exec, s[14:15]
	v_mov_b32_e32 v14, 0
	s_waitcnt lgkmcnt(0)
	; wave barrier
	s_waitcnt lgkmcnt(0)
	ds_read_u16 v14, v14
	v_cmp_eq_u32_e32 vcc, 0, v0
	s_waitcnt lgkmcnt(0)
	v_max_i16_e32 v15, v14, v34
	v_cndmask_b32_e32 v15, v15, v14, vcc
	v_max_i16_e32 v14, v15, v10
	v_max_i16_sdwa v16, v14, v10 dst_sel:DWORD dst_unused:UNUSED_PAD src0_sel:DWORD src1_sel:WORD_1
	v_max_i16_e32 v17, v16, v11
	v_max_i16_e32 v18, v17, v30
	;; [unrolled: 1-line block ×21, first 2 shown]
	s_load_dwordx8 s[8:15], s[4:5], 0x40
	s_branch .LBB4072_83
.LBB4072_75:
                                        ; implicit-def: $vgpr15
                                        ; implicit-def: $vgpr14
                                        ; implicit-def: $vgpr16
                                        ; implicit-def: $vgpr17
                                        ; implicit-def: $vgpr18
                                        ; implicit-def: $vgpr34
                                        ; implicit-def: $vgpr36
                                        ; implicit-def: $vgpr38
                                        ; implicit-def: $vgpr19
                                        ; implicit-def: $vgpr35
                                        ; implicit-def: $vgpr37
                                        ; implicit-def: $vgpr39
                                        ; implicit-def: $vgpr40
                                        ; implicit-def: $vgpr42
                                        ; implicit-def: $vgpr44
                                        ; implicit-def: $vgpr46
                                        ; implicit-def: $vgpr41
                                        ; implicit-def: $vgpr43
                                        ; implicit-def: $vgpr45
                                        ; implicit-def: $vgpr47
                                        ; implicit-def: $vgpr48
                                        ; implicit-def: $vgpr49
                                        ; implicit-def: $vgpr50
                                        ; implicit-def: $vgpr51
	s_load_dwordx8 s[8:15], s[4:5], 0x40
	s_cbranch_execz .LBB4072_83
; %bb.76:
	s_load_dword s0, s[4:5], 0x28
	s_waitcnt lgkmcnt(0)
	s_cmp_eq_u64 s[12:13], 0
	v_mov_b32_e32 v51, s0
	s_cbranch_scc1 .LBB4072_78
; %bb.77:
	v_mov_b32_e32 v14, 0
	global_load_ushort v16, v14, s[8:9]
	v_mov_b32_e32 v15, s22
	v_add_co_u32_e64 v14, vcc, -2, s21
	v_addc_co_u32_e32 v15, vcc, -1, v15, vcc
	flat_load_ushort v14, v[14:15]
	s_waitcnt vmcnt(0) lgkmcnt(0)
	v_max_i16_e32 v51, v16, v14
.LBB4072_78:
	v_max3_i16 v14, v33, v12, v29
	v_max3_i16 v14, v14, v13, v28
	;; [unrolled: 1-line block ×10, first 2 shown]
	v_mbcnt_hi_u32_b32 v14, -1, v32
	v_and_b32_e32 v17, 0xffff, v15
	v_and_b32_e32 v16, 15, v14
	v_cmp_eq_u32_e32 vcc, 0, v16
	v_mov_b32_dpp v17, v17 row_shr:1 row_mask:0xf bank_mask:0xf
	v_max_i16_e32 v17, v17, v15
	v_cndmask_b32_e32 v15, v17, v15, vcc
	v_and_b32_e32 v17, 0xffff, v15
	v_cmp_lt_u32_e32 vcc, 1, v16
	s_nop 0
	v_mov_b32_dpp v17, v17 row_shr:2 row_mask:0xf bank_mask:0xf
	v_max_i16_e32 v17, v17, v15
	v_cndmask_b32_e32 v15, v15, v17, vcc
	v_and_b32_e32 v17, 0xffff, v15
	v_cmp_lt_u32_e32 vcc, 3, v16
	s_nop 0
	;; [unrolled: 6-line block ×3, first 2 shown]
	v_mov_b32_dpp v17, v17 row_shr:8 row_mask:0xf bank_mask:0xf
	v_max_i16_e32 v17, v17, v15
	v_cndmask_b32_e32 v15, v15, v17, vcc
	v_and_b32_e32 v16, 0xffff, v15
	v_and_b32_e32 v17, 16, v14
	v_cmp_eq_u32_e32 vcc, 0, v17
	v_mov_b32_dpp v16, v16 row_bcast:15 row_mask:0xf bank_mask:0xf
	v_max_i16_e32 v16, v16, v15
	v_cndmask_b32_e32 v15, v16, v15, vcc
	v_and_b32_e32 v16, 0xffff, v15
	v_cmp_lt_u32_e32 vcc, 31, v14
	s_nop 0
	v_mov_b32_dpp v16, v16 row_bcast:31 row_mask:0xf bank_mask:0xf
	v_max_i16_e32 v16, v16, v15
	v_cndmask_b32_e32 v15, v15, v16, vcc
	v_cmp_eq_u32_e32 vcc, 63, v0
	s_and_saveexec_b64 s[0:1], vcc
	s_cbranch_execz .LBB4072_80
; %bb.79:
	v_mov_b32_e32 v16, 0
	ds_write_b16 v16, v15
.LBB4072_80:
	s_or_b64 exec, exec, s[0:1]
	v_add_u32_e32 v16, -1, v14
	v_and_b32_e32 v17, 64, v14
	v_cmp_lt_i32_e32 vcc, v16, v17
	v_cndmask_b32_e32 v16, v16, v14, vcc
	v_max_i16_e32 v15, v51, v15
	v_lshlrev_b32_e32 v16, 2, v16
	ds_bpermute_b32 v15, v16, v15
	v_cmp_eq_u32_e32 vcc, 0, v14
	v_cmp_eq_u32_e64 s[0:1], 0, v0
	s_or_b64 vcc, s[0:1], vcc
	s_waitcnt lgkmcnt(0)
	v_cndmask_b32_e32 v15, v15, v51, vcc
	v_max_i16_e32 v14, v15, v10
	v_max_i16_sdwa v16, v14, v10 dst_sel:DWORD dst_unused:UNUSED_PAD src0_sel:DWORD src1_sel:WORD_1
	v_max_i16_e32 v17, v16, v11
	v_max_i16_e32 v18, v17, v30
	;; [unrolled: 1-line block ×20, first 2 shown]
	; wave barrier
	s_and_saveexec_b64 s[2:3], s[0:1]
	s_cbranch_execz .LBB4072_82
; %bb.81:
	v_mov_b32_e32 v1, 0
	ds_read_u16 v2, v1
	v_mov_b32_e32 v15, v51
	s_waitcnt lgkmcnt(0)
	v_max_i16_e32 v2, v51, v2
	v_or_b32_e32 v2, 0x20000, v2
	global_store_dword v1, v2, s[18:19] offset:256
.LBB4072_82:
	s_or_b64 exec, exec, s[2:3]
	v_max_i16_e32 v51, v50, v5
.LBB4072_83:
	s_mov_b32 s0, 0x5040100
	v_perm_b32 v5, v38, v36, s0
	v_perm_b32 v4, v34, v18, s0
	;; [unrolled: 1-line block ×4, first 2 shown]
	s_waitcnt lgkmcnt(0)
	; wave barrier
	s_waitcnt lgkmcnt(0)
	ds_write_b128 v21, v[2:5]
	v_perm_b32 v5, v46, v44, s0
	v_perm_b32 v4, v42, v40, s0
	;; [unrolled: 1-line block ×4, first 2 shown]
	ds_write_b128 v21, v[2:5] offset:16
	v_perm_b32 v5, v51, v50, s0
	v_perm_b32 v4, v49, v48, s0
	;; [unrolled: 1-line block ×4, first 2 shown]
	s_mov_b64 s[0:1], -1
	s_and_b64 vcc, exec, s[16:17]
	ds_write_b128 v21, v[2:5] offset:32
	s_waitcnt lgkmcnt(0)
	s_cbranch_vccz .LBB4072_85
; %bb.84:
	; wave barrier
	s_mov_b64 s[0:1], 0
.LBB4072_85:
	s_andn2_b64 vcc, exec, s[0:1]
	s_cbranch_vccnz .LBB4072_94
; %bb.86:
	v_cmp_lt_u64_e64 s[0:1], s[14:15], 2
	s_and_b64 vcc, exec, s[0:1]
	; wave barrier
	s_cbranch_vccnz .LBB4072_94
; %bb.87:
	s_add_u32 s0, s7, -1
	s_addc_u32 s1, s20, -1
	s_add_u32 s2, 0, 0xaaaa0000
	s_addc_u32 s3, 0, 42
	s_add_i32 s3, s3, 0xaaaaa80
	s_mul_hi_u32 s7, s2, 0xffffffe8
	s_sub_i32 s7, s7, s2
	s_mul_i32 s8, s3, 0xffffffe8
	s_mul_i32 s4, s2, 0xffffffe8
	s_add_i32 s7, s7, s8
	s_mul_hi_u32 s5, s3, s4
	s_mul_i32 s6, s3, s4
	s_mul_i32 s9, s2, s7
	s_mul_hi_u32 s4, s2, s4
	s_mul_hi_u32 s8, s2, s7
	s_add_u32 s4, s4, s9
	s_addc_u32 s8, 0, s8
	s_add_u32 s4, s4, s6
	s_mul_hi_u32 s9, s3, s7
	s_addc_u32 s4, s8, s5
	s_addc_u32 s5, s9, 0
	s_mul_i32 s6, s3, s7
	s_add_u32 s4, s4, s6
	v_mov_b32_e32 v2, s4
	s_addc_u32 s5, 0, s5
	v_add_co_u32_e32 v2, vcc, s2, v2
	s_cmp_lg_u64 vcc, 0
	s_addc_u32 s2, s3, s5
	v_readfirstlane_b32 s5, v2
	s_mul_i32 s4, s0, s2
	s_mul_hi_u32 s6, s0, s5
	s_mul_hi_u32 s3, s0, s2
	s_add_u32 s4, s6, s4
	s_addc_u32 s3, 0, s3
	s_mul_hi_u32 s7, s1, s5
	s_mul_i32 s5, s1, s5
	s_add_u32 s4, s4, s5
	s_mul_hi_u32 s6, s1, s2
	s_addc_u32 s3, s3, s7
	s_addc_u32 s4, s6, 0
	s_mul_i32 s2, s1, s2
	s_add_u32 s2, s3, s2
	s_addc_u32 s3, 0, s4
	s_add_u32 s4, s2, 1
	s_addc_u32 s5, s3, 0
	s_add_u32 s6, s2, 2
	s_mul_i32 s8, s3, 24
	s_mul_hi_u32 s9, s2, 24
	s_addc_u32 s7, s3, 0
	s_add_i32 s9, s9, s8
	s_mul_i32 s8, s2, 24
	v_mov_b32_e32 v2, s8
	v_sub_co_u32_e32 v2, vcc, s0, v2
	s_cmp_lg_u64 vcc, 0
	s_subb_u32 s8, s1, s9
	v_subrev_co_u32_e32 v3, vcc, 24, v2
	s_cmp_lg_u64 vcc, 0
	s_subb_u32 s9, s8, 0
	v_readfirstlane_b32 s12, v3
	s_cmp_gt_u32 s12, 23
	s_cselect_b32 s12, -1, 0
	s_cmp_eq_u32 s9, 0
	s_cselect_b32 s9, s12, -1
	s_cmp_lg_u32 s9, 0
	s_cselect_b32 s4, s6, s4
	v_readfirstlane_b32 s6, v2
	s_cselect_b32 s5, s7, s5
	s_cmp_gt_u32 s6, 23
	s_cselect_b32 s6, -1, 0
	s_cmp_eq_u32 s8, 0
	s_cselect_b32 s6, s6, -1
	s_cmp_lg_u32 s6, 0
	v_mov_b32_e32 v1, 0
	s_cselect_b32 s3, s5, s3
	s_cselect_b32 s2, s4, s2
	v_cmp_eq_u64_e32 vcc, s[2:3], v[0:1]
	s_and_saveexec_b64 s[2:3], vcc
	s_cbranch_execz .LBB4072_94
; %bb.88:
	s_movk_i32 s2, 0xffd2
	v_mad_i32_i24 v2, v0, s2, v21
	v_mul_hi_u32_u24_e32 v1, 24, v0
	v_mov_b32_e32 v3, s1
	v_sub_co_u32_e32 v0, vcc, s0, v20
	v_subb_co_u32_e32 v1, vcc, v3, v1, vcc
	v_cmp_lt_i64_e32 vcc, 11, v[0:1]
	s_mov_b64 s[0:1], 0
	s_mov_b64 s[8:9], 0
	;; [unrolled: 1-line block ×4, first 2 shown]
                                        ; implicit-def: $vgpr3
                                        ; implicit-def: $vgpr4
                                        ; implicit-def: $vgpr5
	s_and_saveexec_b64 s[2:3], vcc
	s_xor_b64 s[2:3], exec, s[2:3]
	s_cbranch_execnz .LBB4072_95
; %bb.89:
	s_andn2_saveexec_b64 s[2:3], s[2:3]
	s_cbranch_execnz .LBB4072_140
.LBB4072_90:
	s_or_b64 exec, exec, s[2:3]
	s_and_saveexec_b64 s[2:3], s[8:9]
	s_cbranch_execnz .LBB4072_157
.LBB4072_91:
	s_or_b64 exec, exec, s[2:3]
	s_and_saveexec_b64 s[2:3], s[6:7]
	s_cbranch_execnz .LBB4072_158
.LBB4072_92:
	s_or_b64 exec, exec, s[2:3]
	s_and_saveexec_b64 s[2:3], s[4:5]
	s_xor_b64 s[2:3], exec, s[2:3]
	s_cbranch_execnz .LBB4072_159
.LBB4072_93:
	s_or_b64 exec, exec, s[2:3]
	s_and_b64 exec, exec, s[0:1]
	s_cbranch_execnz .LBB4072_160
.LBB4072_94:
	s_endpgm
.LBB4072_95:
	v_cmp_lt_i64_e32 vcc, 17, v[0:1]
                                        ; implicit-def: $vgpr3
                                        ; implicit-def: $vgpr4
                                        ; implicit-def: $vgpr5
	s_and_saveexec_b64 s[12:13], vcc
	s_xor_b64 s[12:13], exec, s[12:13]
	s_cbranch_execz .LBB4072_117
; %bb.96:
	v_cmp_lt_i64_e32 vcc, 20, v[0:1]
                                        ; implicit-def: $vgpr3
                                        ; implicit-def: $vgpr4
	s_and_saveexec_b64 s[14:15], vcc
	s_xor_b64 s[14:15], exec, s[14:15]
	s_cbranch_execz .LBB4072_106
; %bb.97:
	v_cmp_lt_i64_e32 vcc, 21, v[0:1]
	s_mov_b64 s[16:17], 0
                                        ; implicit-def: $vgpr3
	s_and_saveexec_b64 s[4:5], vcc
	s_xor_b64 s[4:5], exec, s[4:5]
	s_cbranch_execz .LBB4072_103
; %bb.98:
	v_cmp_lt_i64_e32 vcc, 22, v[0:1]
	s_and_saveexec_b64 s[16:17], vcc
	s_xor_b64 s[16:17], exec, s[16:17]
	s_cbranch_execz .LBB4072_100
; %bb.99:
	ds_read_u16 v3, v2 offset:2944
	v_mov_b32_e32 v4, 0
	s_waitcnt lgkmcnt(0)
	global_store_short v4, v3, s[10:11]
.LBB4072_100:
	s_or_saveexec_b64 s[16:17], s[16:17]
	s_mov_b64 s[18:19], 0
                                        ; implicit-def: $vgpr3
	s_xor_b64 exec, exec, s[16:17]
	s_cbranch_execz .LBB4072_102
; %bb.101:
	ds_read_u16 v3, v2 offset:2816
	s_mov_b64 s[18:19], exec
.LBB4072_102:
	s_or_b64 exec, exec, s[16:17]
	s_and_b64 s[16:17], s[18:19], exec
.LBB4072_103:
	s_or_saveexec_b64 s[4:5], s[4:5]
                                        ; implicit-def: $vgpr4
	s_xor_b64 exec, exec, s[4:5]
	s_cbranch_execz .LBB4072_105
; %bb.104:
	ds_read_u16 v4, v2 offset:2688
	s_mov_b64 s[6:7], exec
                                        ; implicit-def: $vgpr3
.LBB4072_105:
	s_or_b64 exec, exec, s[4:5]
	s_and_b64 s[4:5], s[16:17], exec
	s_and_b64 s[6:7], s[6:7], exec
.LBB4072_106:
	s_or_saveexec_b64 s[14:15], s[14:15]
                                        ; implicit-def: $vgpr5
	s_xor_b64 exec, exec, s[14:15]
	s_cbranch_execz .LBB4072_116
; %bb.107:
	v_cmp_lt_i64_e32 vcc, 18, v[0:1]
	s_mov_b64 s[16:17], 0
                                        ; implicit-def: $vgpr5
	s_and_saveexec_b64 s[8:9], vcc
	s_xor_b64 s[8:9], exec, s[8:9]
	s_cbranch_execz .LBB4072_113
; %bb.108:
	v_cmp_lt_i64_e32 vcc, 19, v[0:1]
                                        ; implicit-def: $vgpr5
	s_and_saveexec_b64 s[18:19], vcc
	s_xor_b64 s[18:19], exec, s[18:19]
	s_cbranch_execz .LBB4072_110
; %bb.109:
	ds_read_u16 v5, v2 offset:2560
	s_mov_b64 s[16:17], exec
.LBB4072_110:
	s_andn2_saveexec_b64 s[18:19], s[18:19]
	s_cbranch_execz .LBB4072_112
; %bb.111:
	s_waitcnt lgkmcnt(0)
	ds_read_u16 v3, v2 offset:2432
	v_mov_b32_e32 v4, 0
                                        ; implicit-def: $vgpr5
	s_waitcnt lgkmcnt(0)
	global_store_short v4, v3, s[10:11]
.LBB4072_112:
	s_or_b64 exec, exec, s[18:19]
	s_and_b64 s[16:17], s[16:17], exec
.LBB4072_113:
	s_andn2_saveexec_b64 s[8:9], s[8:9]
	s_cbranch_execz .LBB4072_115
; %bb.114:
	s_waitcnt lgkmcnt(0)
	ds_read_u16 v3, v2 offset:2304
	v_mov_b32_e32 v4, 0
                                        ; implicit-def: $vgpr5
	s_waitcnt lgkmcnt(0)
	global_store_short v4, v3, s[10:11]
.LBB4072_115:
	s_or_b64 exec, exec, s[8:9]
	s_and_b64 s[8:9], s[16:17], exec
                                        ; implicit-def: $vgpr3
                                        ; implicit-def: $vgpr4
.LBB4072_116:
	s_or_b64 exec, exec, s[14:15]
	s_and_b64 s[4:5], s[4:5], exec
	s_and_b64 s[6:7], s[6:7], exec
	;; [unrolled: 1-line block ×3, first 2 shown]
.LBB4072_117:
	s_andn2_saveexec_b64 s[12:13], s[12:13]
	s_cbranch_execz .LBB4072_139
; %bb.118:
	v_cmp_lt_i64_e32 vcc, 14, v[0:1]
	s_mov_b64 s[14:15], s[4:5]
                                        ; implicit-def: $vgpr3
	s_and_saveexec_b64 s[16:17], vcc
	s_xor_b64 s[16:17], exec, s[16:17]
	s_cbranch_execz .LBB4072_128
; %bb.119:
	v_cmp_lt_i64_e32 vcc, 15, v[0:1]
	s_and_saveexec_b64 s[14:15], vcc
	s_xor_b64 s[14:15], exec, s[14:15]
	s_cbranch_execz .LBB4072_125
; %bb.120:
	v_cmp_lt_i64_e32 vcc, 16, v[0:1]
	s_and_saveexec_b64 s[18:19], vcc
	s_xor_b64 s[18:19], exec, s[18:19]
	s_cbranch_execz .LBB4072_122
; %bb.121:
	s_waitcnt lgkmcnt(0)
	ds_read_u16 v3, v2 offset:2176
	v_mov_b32_e32 v4, 0
	s_waitcnt lgkmcnt(0)
	global_store_short v4, v3, s[10:11]
.LBB4072_122:
	s_andn2_saveexec_b64 s[18:19], s[18:19]
	s_cbranch_execz .LBB4072_124
; %bb.123:
	s_waitcnt lgkmcnt(0)
	ds_read_u16 v3, v2 offset:2048
	v_mov_b32_e32 v4, 0
	s_waitcnt lgkmcnt(0)
	global_store_short v4, v3, s[10:11]
.LBB4072_124:
	s_or_b64 exec, exec, s[18:19]
.LBB4072_125:
	s_or_saveexec_b64 s[14:15], s[14:15]
	s_mov_b64 s[18:19], s[4:5]
                                        ; implicit-def: $vgpr3
	s_xor_b64 exec, exec, s[14:15]
	s_cbranch_execz .LBB4072_127
; %bb.126:
	s_waitcnt lgkmcnt(0)
	ds_read_u16 v3, v2 offset:1920
	s_or_b64 s[18:19], s[4:5], exec
.LBB4072_127:
	s_or_b64 exec, exec, s[14:15]
	s_andn2_b64 s[14:15], s[4:5], exec
	s_and_b64 s[18:19], s[18:19], exec
	s_or_b64 s[14:15], s[14:15], s[18:19]
.LBB4072_128:
	s_or_saveexec_b64 s[16:17], s[16:17]
	s_mov_b64 s[18:19], s[6:7]
                                        ; implicit-def: $vgpr4
	s_xor_b64 exec, exec, s[16:17]
	s_cbranch_execz .LBB4072_138
; %bb.129:
	v_cmp_lt_i64_e32 vcc, 12, v[0:1]
	s_mov_b64 s[20:21], s[6:7]
	s_mov_b64 s[22:23], s[14:15]
                                        ; implicit-def: $vgpr3
                                        ; implicit-def: $vgpr4
	s_and_saveexec_b64 s[18:19], vcc
	s_xor_b64 s[18:19], exec, s[18:19]
	s_cbranch_execz .LBB4072_135
; %bb.130:
	v_cmp_lt_i64_e32 vcc, 13, v[0:1]
	s_mov_b64 s[20:21], s[14:15]
                                        ; implicit-def: $vgpr3
	s_and_saveexec_b64 s[22:23], vcc
	s_xor_b64 s[22:23], exec, s[22:23]
	s_cbranch_execz .LBB4072_132
; %bb.131:
	s_waitcnt lgkmcnt(0)
	ds_read_u16 v3, v2 offset:1792
	s_or_b64 s[20:21], s[14:15], exec
.LBB4072_132:
	s_or_saveexec_b64 s[22:23], s[22:23]
	s_mov_b64 s[24:25], s[6:7]
                                        ; implicit-def: $vgpr4
	s_xor_b64 exec, exec, s[22:23]
	s_cbranch_execz .LBB4072_134
; %bb.133:
	s_waitcnt lgkmcnt(0)
	ds_read_u16 v4, v2 offset:1664
	s_or_b64 s[24:25], s[6:7], exec
                                        ; implicit-def: $vgpr3
.LBB4072_134:
	s_or_b64 exec, exec, s[22:23]
	s_andn2_b64 s[22:23], s[14:15], exec
	s_and_b64 s[20:21], s[20:21], exec
	s_or_b64 s[22:23], s[22:23], s[20:21]
	s_andn2_b64 s[20:21], s[6:7], exec
	s_and_b64 s[24:25], s[24:25], exec
	s_or_b64 s[20:21], s[20:21], s[24:25]
.LBB4072_135:
	s_andn2_saveexec_b64 s[18:19], s[18:19]
	s_cbranch_execz .LBB4072_137
; %bb.136:
	s_waitcnt lgkmcnt(0)
	ds_read_u16 v4, v2 offset:1536
	s_or_b64 s[20:21], s[20:21], exec
                                        ; implicit-def: $vgpr3
.LBB4072_137:
	s_or_b64 exec, exec, s[18:19]
	s_andn2_b64 s[14:15], s[14:15], exec
	s_and_b64 s[18:19], s[22:23], exec
	s_or_b64 s[14:15], s[14:15], s[18:19]
	s_andn2_b64 s[18:19], s[6:7], exec
	s_and_b64 s[20:21], s[20:21], exec
	s_or_b64 s[18:19], s[18:19], s[20:21]
.LBB4072_138:
	s_or_b64 exec, exec, s[16:17]
	s_andn2_b64 s[4:5], s[4:5], exec
	s_and_b64 s[14:15], s[14:15], exec
	s_or_b64 s[4:5], s[4:5], s[14:15]
	s_andn2_b64 s[6:7], s[6:7], exec
	s_and_b64 s[14:15], s[18:19], exec
	s_or_b64 s[6:7], s[6:7], s[14:15]
                                        ; implicit-def: $vgpr5
.LBB4072_139:
	s_or_b64 exec, exec, s[12:13]
	s_and_b64 s[4:5], s[4:5], exec
	s_and_b64 s[6:7], s[6:7], exec
	s_and_b64 s[8:9], s[8:9], exec
	s_andn2_saveexec_b64 s[2:3], s[2:3]
	s_cbranch_execz .LBB4072_90
.LBB4072_140:
	v_cmp_lt_i64_e32 vcc, 5, v[0:1]
	s_mov_b64 s[14:15], -1
	s_mov_b64 s[12:13], s[8:9]
	s_mov_b64 s[16:17], s[6:7]
	;; [unrolled: 1-line block ×3, first 2 shown]
                                        ; implicit-def: $vgpr3
                                        ; implicit-def: $vgpr4
                                        ; implicit-def: $vgpr5
	s_and_saveexec_b64 s[0:1], vcc
	s_cbranch_execz .LBB4072_156
; %bb.141:
	v_cmp_lt_i64_e32 vcc, 8, v[0:1]
	s_mov_b64 s[12:13], s[8:9]
                                        ; implicit-def: $vgpr5
	s_and_saveexec_b64 s[14:15], vcc
	s_xor_b64 s[14:15], exec, s[14:15]
	s_cbranch_execz .LBB4072_151
; %bb.142:
	v_cmp_lt_i64_e32 vcc, 9, v[0:1]
                                        ; implicit-def: $vgpr5
	s_and_saveexec_b64 s[12:13], vcc
	s_xor_b64 s[12:13], exec, s[12:13]
	s_cbranch_execz .LBB4072_148
; %bb.143:
	v_cmp_lt_i64_e32 vcc, 10, v[0:1]
                                        ; implicit-def: $vgpr5
	s_and_saveexec_b64 s[16:17], vcc
	s_xor_b64 s[16:17], exec, s[16:17]
	s_cbranch_execz .LBB4072_145
; %bb.144:
	s_waitcnt lgkmcnt(0)
	ds_read_u16 v5, v2 offset:1408
.LBB4072_145:
	s_andn2_saveexec_b64 s[16:17], s[16:17]
	s_cbranch_execz .LBB4072_147
; %bb.146:
	s_waitcnt lgkmcnt(0)
	ds_read_u16 v5, v2 offset:1280
.LBB4072_147:
	s_or_b64 exec, exec, s[16:17]
.LBB4072_148:
	s_andn2_saveexec_b64 s[12:13], s[12:13]
	s_cbranch_execz .LBB4072_150
; %bb.149:
	s_waitcnt lgkmcnt(0)
	ds_read_u16 v5, v2 offset:1152
.LBB4072_150:
	s_or_b64 exec, exec, s[12:13]
	s_or_b64 s[12:13], s[8:9], exec
.LBB4072_151:
	s_or_saveexec_b64 s[14:15], s[14:15]
	s_mov_b64 s[16:17], s[6:7]
	s_mov_b64 s[20:21], s[4:5]
                                        ; implicit-def: $vgpr3
                                        ; implicit-def: $vgpr4
	s_xor_b64 exec, exec, s[14:15]
	s_cbranch_execz .LBB4072_155
; %bb.152:
	s_waitcnt lgkmcnt(0)
	ds_read_u16 v3, v2 offset:768
	v_cmp_lt_i64_e32 vcc, 6, v[0:1]
	s_mov_b64 s[20:21], -1
	s_mov_b64 s[18:19], s[12:13]
	s_mov_b64 s[16:17], s[6:7]
                                        ; implicit-def: $vgpr4
                                        ; implicit-def: $vgpr5
	s_and_saveexec_b64 s[22:23], vcc
	s_cbranch_execz .LBB4072_154
; %bb.153:
	ds_read_u16 v4, v2 offset:896
	ds_read_u16 v5, v2 offset:1024
	v_cmp_lt_i64_e32 vcc, 7, v[0:1]
	s_andn2_b64 s[18:19], s[12:13], exec
	s_and_b64 s[24:25], vcc, exec
	s_xor_b64 s[20:21], exec, -1
	s_or_b64 s[16:17], s[6:7], exec
	s_or_b64 s[18:19], s[18:19], s[24:25]
                                        ; implicit-def: $vgpr3
.LBB4072_154:
	s_or_b64 exec, exec, s[22:23]
	s_andn2_b64 s[22:23], s[4:5], exec
	s_and_b64 s[20:21], s[20:21], exec
	s_or_b64 s[20:21], s[22:23], s[20:21]
	s_andn2_b64 s[22:23], s[6:7], exec
	s_and_b64 s[16:17], s[16:17], exec
	s_andn2_b64 s[12:13], s[12:13], exec
	s_and_b64 s[18:19], s[18:19], exec
	s_or_b64 s[16:17], s[22:23], s[16:17]
	s_or_b64 s[12:13], s[12:13], s[18:19]
.LBB4072_155:
	s_or_b64 exec, exec, s[14:15]
	s_andn2_b64 s[18:19], s[4:5], exec
	s_and_b64 s[20:21], s[20:21], exec
	s_or_b64 s[18:19], s[18:19], s[20:21]
	s_andn2_b64 s[20:21], s[6:7], exec
	s_and_b64 s[16:17], s[16:17], exec
	s_or_b64 s[16:17], s[20:21], s[16:17]
	s_andn2_b64 s[20:21], s[8:9], exec
	s_and_b64 s[12:13], s[12:13], exec
	s_xor_b64 s[14:15], exec, -1
	s_or_b64 s[12:13], s[20:21], s[12:13]
.LBB4072_156:
	s_or_b64 exec, exec, s[0:1]
	s_and_b64 s[0:1], s[14:15], exec
	s_andn2_b64 s[4:5], s[4:5], exec
	s_and_b64 s[14:15], s[18:19], exec
	s_or_b64 s[4:5], s[4:5], s[14:15]
	s_andn2_b64 s[6:7], s[6:7], exec
	s_and_b64 s[14:15], s[16:17], exec
	s_andn2_b64 s[8:9], s[8:9], exec
	s_and_b64 s[12:13], s[12:13], exec
	s_or_b64 s[6:7], s[6:7], s[14:15]
	s_or_b64 s[8:9], s[8:9], s[12:13]
	s_or_b64 exec, exec, s[2:3]
	s_and_saveexec_b64 s[2:3], s[8:9]
	s_cbranch_execz .LBB4072_91
.LBB4072_157:
	s_waitcnt lgkmcnt(0)
	v_mov_b32_e32 v3, 0
	s_andn2_b64 s[6:7], s[6:7], exec
	global_store_short v3, v5, s[10:11]
                                        ; implicit-def: $vgpr3
                                        ; implicit-def: $vgpr4
	s_or_b64 exec, exec, s[2:3]
	s_and_saveexec_b64 s[2:3], s[6:7]
	s_cbranch_execz .LBB4072_92
.LBB4072_158:
	s_waitcnt lgkmcnt(0)
	v_mov_b32_e32 v3, 0
	global_store_short v3, v4, s[10:11]
                                        ; implicit-def: $vgpr3
	s_or_b64 exec, exec, s[2:3]
	s_and_saveexec_b64 s[2:3], s[4:5]
	s_xor_b64 s[2:3], exec, s[2:3]
	s_cbranch_execz .LBB4072_93
.LBB4072_159:
	s_waitcnt lgkmcnt(0)
	v_mov_b32_e32 v4, 0
	global_store_short v4, v3, s[10:11]
	s_or_b64 exec, exec, s[2:3]
	s_and_b64 exec, exec, s[0:1]
	s_cbranch_execz .LBB4072_94
.LBB4072_160:
	v_cmp_lt_i64_e32 vcc, 2, v[0:1]
	s_and_saveexec_b64 s[0:1], vcc
	s_xor_b64 s[0:1], exec, s[0:1]
	s_cbranch_execz .LBB4072_170
; %bb.161:
	v_cmp_lt_i64_e32 vcc, 3, v[0:1]
	s_and_saveexec_b64 s[2:3], vcc
	s_xor_b64 s[2:3], exec, s[2:3]
	s_cbranch_execz .LBB4072_167
; %bb.162:
	;; [unrolled: 5-line block ×3, first 2 shown]
	ds_read_u16 v0, v2 offset:640
	v_mov_b32_e32 v1, 0
                                        ; implicit-def: $vgpr2
	s_waitcnt lgkmcnt(0)
	global_store_short v1, v0, s[10:11]
.LBB4072_164:
	s_andn2_saveexec_b64 s[4:5], s[4:5]
	s_cbranch_execz .LBB4072_166
; %bb.165:
	ds_read_u16 v0, v2 offset:512
	v_mov_b32_e32 v1, 0
	s_waitcnt lgkmcnt(0)
	global_store_short v1, v0, s[10:11]
.LBB4072_166:
	s_or_b64 exec, exec, s[4:5]
                                        ; implicit-def: $vgpr2
.LBB4072_167:
	s_andn2_saveexec_b64 s[2:3], s[2:3]
	s_cbranch_execz .LBB4072_169
; %bb.168:
	ds_read_u16 v0, v2 offset:384
	v_mov_b32_e32 v1, 0
	s_waitcnt lgkmcnt(0)
	global_store_short v1, v0, s[10:11]
.LBB4072_169:
	s_or_b64 exec, exec, s[2:3]
                                        ; implicit-def: $vgpr0_vgpr1
                                        ; implicit-def: $vgpr2
.LBB4072_170:
	s_andn2_saveexec_b64 s[0:1], s[0:1]
	s_cbranch_execz .LBB4072_94
; %bb.171:
	v_cmp_lt_i64_e32 vcc, 1, v[0:1]
	s_and_saveexec_b64 s[0:1], vcc
	s_xor_b64 s[0:1], exec, s[0:1]
	s_cbranch_execz .LBB4072_173
; %bb.172:
	ds_read_u16 v0, v2 offset:256
	v_mov_b32_e32 v1, 0
                                        ; implicit-def: $vgpr2
	s_waitcnt lgkmcnt(0)
	global_store_short v1, v0, s[10:11]
                                        ; implicit-def: $vgpr0_vgpr1
.LBB4072_173:
	s_andn2_saveexec_b64 s[0:1], s[0:1]
	s_cbranch_execz .LBB4072_94
; %bb.174:
	v_cmp_ne_u64_e32 vcc, 1, v[0:1]
	s_and_saveexec_b64 s[0:1], vcc
	s_xor_b64 s[0:1], exec, s[0:1]
	s_cbranch_execz .LBB4072_176
; %bb.175:
	ds_read_u16 v0, v2
	v_mov_b32_e32 v1, 0
                                        ; implicit-def: $vgpr2
	s_waitcnt lgkmcnt(0)
	global_store_short v1, v0, s[10:11]
.LBB4072_176:
	s_andn2_saveexec_b64 s[0:1], s[0:1]
	s_cbranch_execz .LBB4072_94
; %bb.177:
	ds_read_u16 v0, v2 offset:128
	v_mov_b32_e32 v1, 0
	s_waitcnt lgkmcnt(0)
	global_store_short v1, v0, s[10:11]
	s_endpgm
	.section	.rodata,"a",@progbits
	.p2align	6, 0x0
	.amdhsa_kernel _ZN7rocprim17ROCPRIM_400000_NS6detail17trampoline_kernelINS0_14default_configENS1_20scan_config_selectorIsEEZZNS1_9scan_implILNS1_25lookback_scan_determinismE0ELb1ELb1ES3_N6thrust23THRUST_200600_302600_NS6detail15normal_iteratorINS9_10device_ptrIsEEEENS9_16discard_iteratorINS9_11use_defaultEEEs11max_functorIsEsEEDaPvRmT3_T4_T5_mT6_P12ihipStream_tbENKUlT_T0_E_clISt17integral_constantIbLb0EESX_EEDaSS_ST_EUlSS_E_NS1_11comp_targetILNS1_3genE4ELNS1_11target_archE910ELNS1_3gpuE8ELNS1_3repE0EEENS1_30default_config_static_selectorELNS0_4arch9wavefront6targetE1EEEvT1_
		.amdhsa_group_segment_fixed_size 3072
		.amdhsa_private_segment_fixed_size 0
		.amdhsa_kernarg_size 104
		.amdhsa_user_sgpr_count 6
		.amdhsa_user_sgpr_private_segment_buffer 1
		.amdhsa_user_sgpr_dispatch_ptr 0
		.amdhsa_user_sgpr_queue_ptr 0
		.amdhsa_user_sgpr_kernarg_segment_ptr 1
		.amdhsa_user_sgpr_dispatch_id 0
		.amdhsa_user_sgpr_flat_scratch_init 0
		.amdhsa_user_sgpr_kernarg_preload_length 0
		.amdhsa_user_sgpr_kernarg_preload_offset 0
		.amdhsa_user_sgpr_private_segment_size 0
		.amdhsa_uses_dynamic_stack 0
		.amdhsa_system_sgpr_private_segment_wavefront_offset 0
		.amdhsa_system_sgpr_workgroup_id_x 1
		.amdhsa_system_sgpr_workgroup_id_y 0
		.amdhsa_system_sgpr_workgroup_id_z 0
		.amdhsa_system_sgpr_workgroup_info 0
		.amdhsa_system_vgpr_workitem_id 0
		.amdhsa_next_free_vgpr 57
		.amdhsa_next_free_sgpr 26
		.amdhsa_accum_offset 60
		.amdhsa_reserve_vcc 1
		.amdhsa_reserve_flat_scratch 0
		.amdhsa_float_round_mode_32 0
		.amdhsa_float_round_mode_16_64 0
		.amdhsa_float_denorm_mode_32 3
		.amdhsa_float_denorm_mode_16_64 3
		.amdhsa_dx10_clamp 1
		.amdhsa_ieee_mode 1
		.amdhsa_fp16_overflow 0
		.amdhsa_tg_split 0
		.amdhsa_exception_fp_ieee_invalid_op 0
		.amdhsa_exception_fp_denorm_src 0
		.amdhsa_exception_fp_ieee_div_zero 0
		.amdhsa_exception_fp_ieee_overflow 0
		.amdhsa_exception_fp_ieee_underflow 0
		.amdhsa_exception_fp_ieee_inexact 0
		.amdhsa_exception_int_div_zero 0
	.end_amdhsa_kernel
	.section	.text._ZN7rocprim17ROCPRIM_400000_NS6detail17trampoline_kernelINS0_14default_configENS1_20scan_config_selectorIsEEZZNS1_9scan_implILNS1_25lookback_scan_determinismE0ELb1ELb1ES3_N6thrust23THRUST_200600_302600_NS6detail15normal_iteratorINS9_10device_ptrIsEEEENS9_16discard_iteratorINS9_11use_defaultEEEs11max_functorIsEsEEDaPvRmT3_T4_T5_mT6_P12ihipStream_tbENKUlT_T0_E_clISt17integral_constantIbLb0EESX_EEDaSS_ST_EUlSS_E_NS1_11comp_targetILNS1_3genE4ELNS1_11target_archE910ELNS1_3gpuE8ELNS1_3repE0EEENS1_30default_config_static_selectorELNS0_4arch9wavefront6targetE1EEEvT1_,"axG",@progbits,_ZN7rocprim17ROCPRIM_400000_NS6detail17trampoline_kernelINS0_14default_configENS1_20scan_config_selectorIsEEZZNS1_9scan_implILNS1_25lookback_scan_determinismE0ELb1ELb1ES3_N6thrust23THRUST_200600_302600_NS6detail15normal_iteratorINS9_10device_ptrIsEEEENS9_16discard_iteratorINS9_11use_defaultEEEs11max_functorIsEsEEDaPvRmT3_T4_T5_mT6_P12ihipStream_tbENKUlT_T0_E_clISt17integral_constantIbLb0EESX_EEDaSS_ST_EUlSS_E_NS1_11comp_targetILNS1_3genE4ELNS1_11target_archE910ELNS1_3gpuE8ELNS1_3repE0EEENS1_30default_config_static_selectorELNS0_4arch9wavefront6targetE1EEEvT1_,comdat
.Lfunc_end4072:
	.size	_ZN7rocprim17ROCPRIM_400000_NS6detail17trampoline_kernelINS0_14default_configENS1_20scan_config_selectorIsEEZZNS1_9scan_implILNS1_25lookback_scan_determinismE0ELb1ELb1ES3_N6thrust23THRUST_200600_302600_NS6detail15normal_iteratorINS9_10device_ptrIsEEEENS9_16discard_iteratorINS9_11use_defaultEEEs11max_functorIsEsEEDaPvRmT3_T4_T5_mT6_P12ihipStream_tbENKUlT_T0_E_clISt17integral_constantIbLb0EESX_EEDaSS_ST_EUlSS_E_NS1_11comp_targetILNS1_3genE4ELNS1_11target_archE910ELNS1_3gpuE8ELNS1_3repE0EEENS1_30default_config_static_selectorELNS0_4arch9wavefront6targetE1EEEvT1_, .Lfunc_end4072-_ZN7rocprim17ROCPRIM_400000_NS6detail17trampoline_kernelINS0_14default_configENS1_20scan_config_selectorIsEEZZNS1_9scan_implILNS1_25lookback_scan_determinismE0ELb1ELb1ES3_N6thrust23THRUST_200600_302600_NS6detail15normal_iteratorINS9_10device_ptrIsEEEENS9_16discard_iteratorINS9_11use_defaultEEEs11max_functorIsEsEEDaPvRmT3_T4_T5_mT6_P12ihipStream_tbENKUlT_T0_E_clISt17integral_constantIbLb0EESX_EEDaSS_ST_EUlSS_E_NS1_11comp_targetILNS1_3genE4ELNS1_11target_archE910ELNS1_3gpuE8ELNS1_3repE0EEENS1_30default_config_static_selectorELNS0_4arch9wavefront6targetE1EEEvT1_
                                        ; -- End function
	.section	.AMDGPU.csdata,"",@progbits
; Kernel info:
; codeLenInByte = 6468
; NumSgprs: 30
; NumVgprs: 57
; NumAgprs: 0
; TotalNumVgprs: 57
; ScratchSize: 0
; MemoryBound: 0
; FloatMode: 240
; IeeeMode: 1
; LDSByteSize: 3072 bytes/workgroup (compile time only)
; SGPRBlocks: 3
; VGPRBlocks: 7
; NumSGPRsForWavesPerEU: 30
; NumVGPRsForWavesPerEU: 57
; AccumOffset: 60
; Occupancy: 6
; WaveLimiterHint : 1
; COMPUTE_PGM_RSRC2:SCRATCH_EN: 0
; COMPUTE_PGM_RSRC2:USER_SGPR: 6
; COMPUTE_PGM_RSRC2:TRAP_HANDLER: 0
; COMPUTE_PGM_RSRC2:TGID_X_EN: 1
; COMPUTE_PGM_RSRC2:TGID_Y_EN: 0
; COMPUTE_PGM_RSRC2:TGID_Z_EN: 0
; COMPUTE_PGM_RSRC2:TIDIG_COMP_CNT: 0
; COMPUTE_PGM_RSRC3_GFX90A:ACCUM_OFFSET: 14
; COMPUTE_PGM_RSRC3_GFX90A:TG_SPLIT: 0
	.section	.text._ZN7rocprim17ROCPRIM_400000_NS6detail17trampoline_kernelINS0_14default_configENS1_20scan_config_selectorIsEEZZNS1_9scan_implILNS1_25lookback_scan_determinismE0ELb1ELb1ES3_N6thrust23THRUST_200600_302600_NS6detail15normal_iteratorINS9_10device_ptrIsEEEENS9_16discard_iteratorINS9_11use_defaultEEEs11max_functorIsEsEEDaPvRmT3_T4_T5_mT6_P12ihipStream_tbENKUlT_T0_E_clISt17integral_constantIbLb0EESX_EEDaSS_ST_EUlSS_E_NS1_11comp_targetILNS1_3genE3ELNS1_11target_archE908ELNS1_3gpuE7ELNS1_3repE0EEENS1_30default_config_static_selectorELNS0_4arch9wavefront6targetE1EEEvT1_,"axG",@progbits,_ZN7rocprim17ROCPRIM_400000_NS6detail17trampoline_kernelINS0_14default_configENS1_20scan_config_selectorIsEEZZNS1_9scan_implILNS1_25lookback_scan_determinismE0ELb1ELb1ES3_N6thrust23THRUST_200600_302600_NS6detail15normal_iteratorINS9_10device_ptrIsEEEENS9_16discard_iteratorINS9_11use_defaultEEEs11max_functorIsEsEEDaPvRmT3_T4_T5_mT6_P12ihipStream_tbENKUlT_T0_E_clISt17integral_constantIbLb0EESX_EEDaSS_ST_EUlSS_E_NS1_11comp_targetILNS1_3genE3ELNS1_11target_archE908ELNS1_3gpuE7ELNS1_3repE0EEENS1_30default_config_static_selectorELNS0_4arch9wavefront6targetE1EEEvT1_,comdat
	.protected	_ZN7rocprim17ROCPRIM_400000_NS6detail17trampoline_kernelINS0_14default_configENS1_20scan_config_selectorIsEEZZNS1_9scan_implILNS1_25lookback_scan_determinismE0ELb1ELb1ES3_N6thrust23THRUST_200600_302600_NS6detail15normal_iteratorINS9_10device_ptrIsEEEENS9_16discard_iteratorINS9_11use_defaultEEEs11max_functorIsEsEEDaPvRmT3_T4_T5_mT6_P12ihipStream_tbENKUlT_T0_E_clISt17integral_constantIbLb0EESX_EEDaSS_ST_EUlSS_E_NS1_11comp_targetILNS1_3genE3ELNS1_11target_archE908ELNS1_3gpuE7ELNS1_3repE0EEENS1_30default_config_static_selectorELNS0_4arch9wavefront6targetE1EEEvT1_ ; -- Begin function _ZN7rocprim17ROCPRIM_400000_NS6detail17trampoline_kernelINS0_14default_configENS1_20scan_config_selectorIsEEZZNS1_9scan_implILNS1_25lookback_scan_determinismE0ELb1ELb1ES3_N6thrust23THRUST_200600_302600_NS6detail15normal_iteratorINS9_10device_ptrIsEEEENS9_16discard_iteratorINS9_11use_defaultEEEs11max_functorIsEsEEDaPvRmT3_T4_T5_mT6_P12ihipStream_tbENKUlT_T0_E_clISt17integral_constantIbLb0EESX_EEDaSS_ST_EUlSS_E_NS1_11comp_targetILNS1_3genE3ELNS1_11target_archE908ELNS1_3gpuE7ELNS1_3repE0EEENS1_30default_config_static_selectorELNS0_4arch9wavefront6targetE1EEEvT1_
	.globl	_ZN7rocprim17ROCPRIM_400000_NS6detail17trampoline_kernelINS0_14default_configENS1_20scan_config_selectorIsEEZZNS1_9scan_implILNS1_25lookback_scan_determinismE0ELb1ELb1ES3_N6thrust23THRUST_200600_302600_NS6detail15normal_iteratorINS9_10device_ptrIsEEEENS9_16discard_iteratorINS9_11use_defaultEEEs11max_functorIsEsEEDaPvRmT3_T4_T5_mT6_P12ihipStream_tbENKUlT_T0_E_clISt17integral_constantIbLb0EESX_EEDaSS_ST_EUlSS_E_NS1_11comp_targetILNS1_3genE3ELNS1_11target_archE908ELNS1_3gpuE7ELNS1_3repE0EEENS1_30default_config_static_selectorELNS0_4arch9wavefront6targetE1EEEvT1_
	.p2align	8
	.type	_ZN7rocprim17ROCPRIM_400000_NS6detail17trampoline_kernelINS0_14default_configENS1_20scan_config_selectorIsEEZZNS1_9scan_implILNS1_25lookback_scan_determinismE0ELb1ELb1ES3_N6thrust23THRUST_200600_302600_NS6detail15normal_iteratorINS9_10device_ptrIsEEEENS9_16discard_iteratorINS9_11use_defaultEEEs11max_functorIsEsEEDaPvRmT3_T4_T5_mT6_P12ihipStream_tbENKUlT_T0_E_clISt17integral_constantIbLb0EESX_EEDaSS_ST_EUlSS_E_NS1_11comp_targetILNS1_3genE3ELNS1_11target_archE908ELNS1_3gpuE7ELNS1_3repE0EEENS1_30default_config_static_selectorELNS0_4arch9wavefront6targetE1EEEvT1_,@function
_ZN7rocprim17ROCPRIM_400000_NS6detail17trampoline_kernelINS0_14default_configENS1_20scan_config_selectorIsEEZZNS1_9scan_implILNS1_25lookback_scan_determinismE0ELb1ELb1ES3_N6thrust23THRUST_200600_302600_NS6detail15normal_iteratorINS9_10device_ptrIsEEEENS9_16discard_iteratorINS9_11use_defaultEEEs11max_functorIsEsEEDaPvRmT3_T4_T5_mT6_P12ihipStream_tbENKUlT_T0_E_clISt17integral_constantIbLb0EESX_EEDaSS_ST_EUlSS_E_NS1_11comp_targetILNS1_3genE3ELNS1_11target_archE908ELNS1_3gpuE7ELNS1_3repE0EEENS1_30default_config_static_selectorELNS0_4arch9wavefront6targetE1EEEvT1_: ; @_ZN7rocprim17ROCPRIM_400000_NS6detail17trampoline_kernelINS0_14default_configENS1_20scan_config_selectorIsEEZZNS1_9scan_implILNS1_25lookback_scan_determinismE0ELb1ELb1ES3_N6thrust23THRUST_200600_302600_NS6detail15normal_iteratorINS9_10device_ptrIsEEEENS9_16discard_iteratorINS9_11use_defaultEEEs11max_functorIsEsEEDaPvRmT3_T4_T5_mT6_P12ihipStream_tbENKUlT_T0_E_clISt17integral_constantIbLb0EESX_EEDaSS_ST_EUlSS_E_NS1_11comp_targetILNS1_3genE3ELNS1_11target_archE908ELNS1_3gpuE7ELNS1_3repE0EEENS1_30default_config_static_selectorELNS0_4arch9wavefront6targetE1EEEvT1_
; %bb.0:
	.section	.rodata,"a",@progbits
	.p2align	6, 0x0
	.amdhsa_kernel _ZN7rocprim17ROCPRIM_400000_NS6detail17trampoline_kernelINS0_14default_configENS1_20scan_config_selectorIsEEZZNS1_9scan_implILNS1_25lookback_scan_determinismE0ELb1ELb1ES3_N6thrust23THRUST_200600_302600_NS6detail15normal_iteratorINS9_10device_ptrIsEEEENS9_16discard_iteratorINS9_11use_defaultEEEs11max_functorIsEsEEDaPvRmT3_T4_T5_mT6_P12ihipStream_tbENKUlT_T0_E_clISt17integral_constantIbLb0EESX_EEDaSS_ST_EUlSS_E_NS1_11comp_targetILNS1_3genE3ELNS1_11target_archE908ELNS1_3gpuE7ELNS1_3repE0EEENS1_30default_config_static_selectorELNS0_4arch9wavefront6targetE1EEEvT1_
		.amdhsa_group_segment_fixed_size 0
		.amdhsa_private_segment_fixed_size 0
		.amdhsa_kernarg_size 104
		.amdhsa_user_sgpr_count 6
		.amdhsa_user_sgpr_private_segment_buffer 1
		.amdhsa_user_sgpr_dispatch_ptr 0
		.amdhsa_user_sgpr_queue_ptr 0
		.amdhsa_user_sgpr_kernarg_segment_ptr 1
		.amdhsa_user_sgpr_dispatch_id 0
		.amdhsa_user_sgpr_flat_scratch_init 0
		.amdhsa_user_sgpr_kernarg_preload_length 0
		.amdhsa_user_sgpr_kernarg_preload_offset 0
		.amdhsa_user_sgpr_private_segment_size 0
		.amdhsa_uses_dynamic_stack 0
		.amdhsa_system_sgpr_private_segment_wavefront_offset 0
		.amdhsa_system_sgpr_workgroup_id_x 1
		.amdhsa_system_sgpr_workgroup_id_y 0
		.amdhsa_system_sgpr_workgroup_id_z 0
		.amdhsa_system_sgpr_workgroup_info 0
		.amdhsa_system_vgpr_workitem_id 0
		.amdhsa_next_free_vgpr 1
		.amdhsa_next_free_sgpr 0
		.amdhsa_accum_offset 4
		.amdhsa_reserve_vcc 0
		.amdhsa_reserve_flat_scratch 0
		.amdhsa_float_round_mode_32 0
		.amdhsa_float_round_mode_16_64 0
		.amdhsa_float_denorm_mode_32 3
		.amdhsa_float_denorm_mode_16_64 3
		.amdhsa_dx10_clamp 1
		.amdhsa_ieee_mode 1
		.amdhsa_fp16_overflow 0
		.amdhsa_tg_split 0
		.amdhsa_exception_fp_ieee_invalid_op 0
		.amdhsa_exception_fp_denorm_src 0
		.amdhsa_exception_fp_ieee_div_zero 0
		.amdhsa_exception_fp_ieee_overflow 0
		.amdhsa_exception_fp_ieee_underflow 0
		.amdhsa_exception_fp_ieee_inexact 0
		.amdhsa_exception_int_div_zero 0
	.end_amdhsa_kernel
	.section	.text._ZN7rocprim17ROCPRIM_400000_NS6detail17trampoline_kernelINS0_14default_configENS1_20scan_config_selectorIsEEZZNS1_9scan_implILNS1_25lookback_scan_determinismE0ELb1ELb1ES3_N6thrust23THRUST_200600_302600_NS6detail15normal_iteratorINS9_10device_ptrIsEEEENS9_16discard_iteratorINS9_11use_defaultEEEs11max_functorIsEsEEDaPvRmT3_T4_T5_mT6_P12ihipStream_tbENKUlT_T0_E_clISt17integral_constantIbLb0EESX_EEDaSS_ST_EUlSS_E_NS1_11comp_targetILNS1_3genE3ELNS1_11target_archE908ELNS1_3gpuE7ELNS1_3repE0EEENS1_30default_config_static_selectorELNS0_4arch9wavefront6targetE1EEEvT1_,"axG",@progbits,_ZN7rocprim17ROCPRIM_400000_NS6detail17trampoline_kernelINS0_14default_configENS1_20scan_config_selectorIsEEZZNS1_9scan_implILNS1_25lookback_scan_determinismE0ELb1ELb1ES3_N6thrust23THRUST_200600_302600_NS6detail15normal_iteratorINS9_10device_ptrIsEEEENS9_16discard_iteratorINS9_11use_defaultEEEs11max_functorIsEsEEDaPvRmT3_T4_T5_mT6_P12ihipStream_tbENKUlT_T0_E_clISt17integral_constantIbLb0EESX_EEDaSS_ST_EUlSS_E_NS1_11comp_targetILNS1_3genE3ELNS1_11target_archE908ELNS1_3gpuE7ELNS1_3repE0EEENS1_30default_config_static_selectorELNS0_4arch9wavefront6targetE1EEEvT1_,comdat
.Lfunc_end4073:
	.size	_ZN7rocprim17ROCPRIM_400000_NS6detail17trampoline_kernelINS0_14default_configENS1_20scan_config_selectorIsEEZZNS1_9scan_implILNS1_25lookback_scan_determinismE0ELb1ELb1ES3_N6thrust23THRUST_200600_302600_NS6detail15normal_iteratorINS9_10device_ptrIsEEEENS9_16discard_iteratorINS9_11use_defaultEEEs11max_functorIsEsEEDaPvRmT3_T4_T5_mT6_P12ihipStream_tbENKUlT_T0_E_clISt17integral_constantIbLb0EESX_EEDaSS_ST_EUlSS_E_NS1_11comp_targetILNS1_3genE3ELNS1_11target_archE908ELNS1_3gpuE7ELNS1_3repE0EEENS1_30default_config_static_selectorELNS0_4arch9wavefront6targetE1EEEvT1_, .Lfunc_end4073-_ZN7rocprim17ROCPRIM_400000_NS6detail17trampoline_kernelINS0_14default_configENS1_20scan_config_selectorIsEEZZNS1_9scan_implILNS1_25lookback_scan_determinismE0ELb1ELb1ES3_N6thrust23THRUST_200600_302600_NS6detail15normal_iteratorINS9_10device_ptrIsEEEENS9_16discard_iteratorINS9_11use_defaultEEEs11max_functorIsEsEEDaPvRmT3_T4_T5_mT6_P12ihipStream_tbENKUlT_T0_E_clISt17integral_constantIbLb0EESX_EEDaSS_ST_EUlSS_E_NS1_11comp_targetILNS1_3genE3ELNS1_11target_archE908ELNS1_3gpuE7ELNS1_3repE0EEENS1_30default_config_static_selectorELNS0_4arch9wavefront6targetE1EEEvT1_
                                        ; -- End function
	.section	.AMDGPU.csdata,"",@progbits
; Kernel info:
; codeLenInByte = 0
; NumSgprs: 4
; NumVgprs: 0
; NumAgprs: 0
; TotalNumVgprs: 0
; ScratchSize: 0
; MemoryBound: 0
; FloatMode: 240
; IeeeMode: 1
; LDSByteSize: 0 bytes/workgroup (compile time only)
; SGPRBlocks: 0
; VGPRBlocks: 0
; NumSGPRsForWavesPerEU: 4
; NumVGPRsForWavesPerEU: 1
; AccumOffset: 4
; Occupancy: 8
; WaveLimiterHint : 0
; COMPUTE_PGM_RSRC2:SCRATCH_EN: 0
; COMPUTE_PGM_RSRC2:USER_SGPR: 6
; COMPUTE_PGM_RSRC2:TRAP_HANDLER: 0
; COMPUTE_PGM_RSRC2:TGID_X_EN: 1
; COMPUTE_PGM_RSRC2:TGID_Y_EN: 0
; COMPUTE_PGM_RSRC2:TGID_Z_EN: 0
; COMPUTE_PGM_RSRC2:TIDIG_COMP_CNT: 0
; COMPUTE_PGM_RSRC3_GFX90A:ACCUM_OFFSET: 0
; COMPUTE_PGM_RSRC3_GFX90A:TG_SPLIT: 0
	.section	.text._ZN7rocprim17ROCPRIM_400000_NS6detail17trampoline_kernelINS0_14default_configENS1_20scan_config_selectorIsEEZZNS1_9scan_implILNS1_25lookback_scan_determinismE0ELb1ELb1ES3_N6thrust23THRUST_200600_302600_NS6detail15normal_iteratorINS9_10device_ptrIsEEEENS9_16discard_iteratorINS9_11use_defaultEEEs11max_functorIsEsEEDaPvRmT3_T4_T5_mT6_P12ihipStream_tbENKUlT_T0_E_clISt17integral_constantIbLb0EESX_EEDaSS_ST_EUlSS_E_NS1_11comp_targetILNS1_3genE2ELNS1_11target_archE906ELNS1_3gpuE6ELNS1_3repE0EEENS1_30default_config_static_selectorELNS0_4arch9wavefront6targetE1EEEvT1_,"axG",@progbits,_ZN7rocprim17ROCPRIM_400000_NS6detail17trampoline_kernelINS0_14default_configENS1_20scan_config_selectorIsEEZZNS1_9scan_implILNS1_25lookback_scan_determinismE0ELb1ELb1ES3_N6thrust23THRUST_200600_302600_NS6detail15normal_iteratorINS9_10device_ptrIsEEEENS9_16discard_iteratorINS9_11use_defaultEEEs11max_functorIsEsEEDaPvRmT3_T4_T5_mT6_P12ihipStream_tbENKUlT_T0_E_clISt17integral_constantIbLb0EESX_EEDaSS_ST_EUlSS_E_NS1_11comp_targetILNS1_3genE2ELNS1_11target_archE906ELNS1_3gpuE6ELNS1_3repE0EEENS1_30default_config_static_selectorELNS0_4arch9wavefront6targetE1EEEvT1_,comdat
	.protected	_ZN7rocprim17ROCPRIM_400000_NS6detail17trampoline_kernelINS0_14default_configENS1_20scan_config_selectorIsEEZZNS1_9scan_implILNS1_25lookback_scan_determinismE0ELb1ELb1ES3_N6thrust23THRUST_200600_302600_NS6detail15normal_iteratorINS9_10device_ptrIsEEEENS9_16discard_iteratorINS9_11use_defaultEEEs11max_functorIsEsEEDaPvRmT3_T4_T5_mT6_P12ihipStream_tbENKUlT_T0_E_clISt17integral_constantIbLb0EESX_EEDaSS_ST_EUlSS_E_NS1_11comp_targetILNS1_3genE2ELNS1_11target_archE906ELNS1_3gpuE6ELNS1_3repE0EEENS1_30default_config_static_selectorELNS0_4arch9wavefront6targetE1EEEvT1_ ; -- Begin function _ZN7rocprim17ROCPRIM_400000_NS6detail17trampoline_kernelINS0_14default_configENS1_20scan_config_selectorIsEEZZNS1_9scan_implILNS1_25lookback_scan_determinismE0ELb1ELb1ES3_N6thrust23THRUST_200600_302600_NS6detail15normal_iteratorINS9_10device_ptrIsEEEENS9_16discard_iteratorINS9_11use_defaultEEEs11max_functorIsEsEEDaPvRmT3_T4_T5_mT6_P12ihipStream_tbENKUlT_T0_E_clISt17integral_constantIbLb0EESX_EEDaSS_ST_EUlSS_E_NS1_11comp_targetILNS1_3genE2ELNS1_11target_archE906ELNS1_3gpuE6ELNS1_3repE0EEENS1_30default_config_static_selectorELNS0_4arch9wavefront6targetE1EEEvT1_
	.globl	_ZN7rocprim17ROCPRIM_400000_NS6detail17trampoline_kernelINS0_14default_configENS1_20scan_config_selectorIsEEZZNS1_9scan_implILNS1_25lookback_scan_determinismE0ELb1ELb1ES3_N6thrust23THRUST_200600_302600_NS6detail15normal_iteratorINS9_10device_ptrIsEEEENS9_16discard_iteratorINS9_11use_defaultEEEs11max_functorIsEsEEDaPvRmT3_T4_T5_mT6_P12ihipStream_tbENKUlT_T0_E_clISt17integral_constantIbLb0EESX_EEDaSS_ST_EUlSS_E_NS1_11comp_targetILNS1_3genE2ELNS1_11target_archE906ELNS1_3gpuE6ELNS1_3repE0EEENS1_30default_config_static_selectorELNS0_4arch9wavefront6targetE1EEEvT1_
	.p2align	8
	.type	_ZN7rocprim17ROCPRIM_400000_NS6detail17trampoline_kernelINS0_14default_configENS1_20scan_config_selectorIsEEZZNS1_9scan_implILNS1_25lookback_scan_determinismE0ELb1ELb1ES3_N6thrust23THRUST_200600_302600_NS6detail15normal_iteratorINS9_10device_ptrIsEEEENS9_16discard_iteratorINS9_11use_defaultEEEs11max_functorIsEsEEDaPvRmT3_T4_T5_mT6_P12ihipStream_tbENKUlT_T0_E_clISt17integral_constantIbLb0EESX_EEDaSS_ST_EUlSS_E_NS1_11comp_targetILNS1_3genE2ELNS1_11target_archE906ELNS1_3gpuE6ELNS1_3repE0EEENS1_30default_config_static_selectorELNS0_4arch9wavefront6targetE1EEEvT1_,@function
_ZN7rocprim17ROCPRIM_400000_NS6detail17trampoline_kernelINS0_14default_configENS1_20scan_config_selectorIsEEZZNS1_9scan_implILNS1_25lookback_scan_determinismE0ELb1ELb1ES3_N6thrust23THRUST_200600_302600_NS6detail15normal_iteratorINS9_10device_ptrIsEEEENS9_16discard_iteratorINS9_11use_defaultEEEs11max_functorIsEsEEDaPvRmT3_T4_T5_mT6_P12ihipStream_tbENKUlT_T0_E_clISt17integral_constantIbLb0EESX_EEDaSS_ST_EUlSS_E_NS1_11comp_targetILNS1_3genE2ELNS1_11target_archE906ELNS1_3gpuE6ELNS1_3repE0EEENS1_30default_config_static_selectorELNS0_4arch9wavefront6targetE1EEEvT1_: ; @_ZN7rocprim17ROCPRIM_400000_NS6detail17trampoline_kernelINS0_14default_configENS1_20scan_config_selectorIsEEZZNS1_9scan_implILNS1_25lookback_scan_determinismE0ELb1ELb1ES3_N6thrust23THRUST_200600_302600_NS6detail15normal_iteratorINS9_10device_ptrIsEEEENS9_16discard_iteratorINS9_11use_defaultEEEs11max_functorIsEsEEDaPvRmT3_T4_T5_mT6_P12ihipStream_tbENKUlT_T0_E_clISt17integral_constantIbLb0EESX_EEDaSS_ST_EUlSS_E_NS1_11comp_targetILNS1_3genE2ELNS1_11target_archE906ELNS1_3gpuE6ELNS1_3repE0EEENS1_30default_config_static_selectorELNS0_4arch9wavefront6targetE1EEEvT1_
; %bb.0:
	.section	.rodata,"a",@progbits
	.p2align	6, 0x0
	.amdhsa_kernel _ZN7rocprim17ROCPRIM_400000_NS6detail17trampoline_kernelINS0_14default_configENS1_20scan_config_selectorIsEEZZNS1_9scan_implILNS1_25lookback_scan_determinismE0ELb1ELb1ES3_N6thrust23THRUST_200600_302600_NS6detail15normal_iteratorINS9_10device_ptrIsEEEENS9_16discard_iteratorINS9_11use_defaultEEEs11max_functorIsEsEEDaPvRmT3_T4_T5_mT6_P12ihipStream_tbENKUlT_T0_E_clISt17integral_constantIbLb0EESX_EEDaSS_ST_EUlSS_E_NS1_11comp_targetILNS1_3genE2ELNS1_11target_archE906ELNS1_3gpuE6ELNS1_3repE0EEENS1_30default_config_static_selectorELNS0_4arch9wavefront6targetE1EEEvT1_
		.amdhsa_group_segment_fixed_size 0
		.amdhsa_private_segment_fixed_size 0
		.amdhsa_kernarg_size 104
		.amdhsa_user_sgpr_count 6
		.amdhsa_user_sgpr_private_segment_buffer 1
		.amdhsa_user_sgpr_dispatch_ptr 0
		.amdhsa_user_sgpr_queue_ptr 0
		.amdhsa_user_sgpr_kernarg_segment_ptr 1
		.amdhsa_user_sgpr_dispatch_id 0
		.amdhsa_user_sgpr_flat_scratch_init 0
		.amdhsa_user_sgpr_kernarg_preload_length 0
		.amdhsa_user_sgpr_kernarg_preload_offset 0
		.amdhsa_user_sgpr_private_segment_size 0
		.amdhsa_uses_dynamic_stack 0
		.amdhsa_system_sgpr_private_segment_wavefront_offset 0
		.amdhsa_system_sgpr_workgroup_id_x 1
		.amdhsa_system_sgpr_workgroup_id_y 0
		.amdhsa_system_sgpr_workgroup_id_z 0
		.amdhsa_system_sgpr_workgroup_info 0
		.amdhsa_system_vgpr_workitem_id 0
		.amdhsa_next_free_vgpr 1
		.amdhsa_next_free_sgpr 0
		.amdhsa_accum_offset 4
		.amdhsa_reserve_vcc 0
		.amdhsa_reserve_flat_scratch 0
		.amdhsa_float_round_mode_32 0
		.amdhsa_float_round_mode_16_64 0
		.amdhsa_float_denorm_mode_32 3
		.amdhsa_float_denorm_mode_16_64 3
		.amdhsa_dx10_clamp 1
		.amdhsa_ieee_mode 1
		.amdhsa_fp16_overflow 0
		.amdhsa_tg_split 0
		.amdhsa_exception_fp_ieee_invalid_op 0
		.amdhsa_exception_fp_denorm_src 0
		.amdhsa_exception_fp_ieee_div_zero 0
		.amdhsa_exception_fp_ieee_overflow 0
		.amdhsa_exception_fp_ieee_underflow 0
		.amdhsa_exception_fp_ieee_inexact 0
		.amdhsa_exception_int_div_zero 0
	.end_amdhsa_kernel
	.section	.text._ZN7rocprim17ROCPRIM_400000_NS6detail17trampoline_kernelINS0_14default_configENS1_20scan_config_selectorIsEEZZNS1_9scan_implILNS1_25lookback_scan_determinismE0ELb1ELb1ES3_N6thrust23THRUST_200600_302600_NS6detail15normal_iteratorINS9_10device_ptrIsEEEENS9_16discard_iteratorINS9_11use_defaultEEEs11max_functorIsEsEEDaPvRmT3_T4_T5_mT6_P12ihipStream_tbENKUlT_T0_E_clISt17integral_constantIbLb0EESX_EEDaSS_ST_EUlSS_E_NS1_11comp_targetILNS1_3genE2ELNS1_11target_archE906ELNS1_3gpuE6ELNS1_3repE0EEENS1_30default_config_static_selectorELNS0_4arch9wavefront6targetE1EEEvT1_,"axG",@progbits,_ZN7rocprim17ROCPRIM_400000_NS6detail17trampoline_kernelINS0_14default_configENS1_20scan_config_selectorIsEEZZNS1_9scan_implILNS1_25lookback_scan_determinismE0ELb1ELb1ES3_N6thrust23THRUST_200600_302600_NS6detail15normal_iteratorINS9_10device_ptrIsEEEENS9_16discard_iteratorINS9_11use_defaultEEEs11max_functorIsEsEEDaPvRmT3_T4_T5_mT6_P12ihipStream_tbENKUlT_T0_E_clISt17integral_constantIbLb0EESX_EEDaSS_ST_EUlSS_E_NS1_11comp_targetILNS1_3genE2ELNS1_11target_archE906ELNS1_3gpuE6ELNS1_3repE0EEENS1_30default_config_static_selectorELNS0_4arch9wavefront6targetE1EEEvT1_,comdat
.Lfunc_end4074:
	.size	_ZN7rocprim17ROCPRIM_400000_NS6detail17trampoline_kernelINS0_14default_configENS1_20scan_config_selectorIsEEZZNS1_9scan_implILNS1_25lookback_scan_determinismE0ELb1ELb1ES3_N6thrust23THRUST_200600_302600_NS6detail15normal_iteratorINS9_10device_ptrIsEEEENS9_16discard_iteratorINS9_11use_defaultEEEs11max_functorIsEsEEDaPvRmT3_T4_T5_mT6_P12ihipStream_tbENKUlT_T0_E_clISt17integral_constantIbLb0EESX_EEDaSS_ST_EUlSS_E_NS1_11comp_targetILNS1_3genE2ELNS1_11target_archE906ELNS1_3gpuE6ELNS1_3repE0EEENS1_30default_config_static_selectorELNS0_4arch9wavefront6targetE1EEEvT1_, .Lfunc_end4074-_ZN7rocprim17ROCPRIM_400000_NS6detail17trampoline_kernelINS0_14default_configENS1_20scan_config_selectorIsEEZZNS1_9scan_implILNS1_25lookback_scan_determinismE0ELb1ELb1ES3_N6thrust23THRUST_200600_302600_NS6detail15normal_iteratorINS9_10device_ptrIsEEEENS9_16discard_iteratorINS9_11use_defaultEEEs11max_functorIsEsEEDaPvRmT3_T4_T5_mT6_P12ihipStream_tbENKUlT_T0_E_clISt17integral_constantIbLb0EESX_EEDaSS_ST_EUlSS_E_NS1_11comp_targetILNS1_3genE2ELNS1_11target_archE906ELNS1_3gpuE6ELNS1_3repE0EEENS1_30default_config_static_selectorELNS0_4arch9wavefront6targetE1EEEvT1_
                                        ; -- End function
	.section	.AMDGPU.csdata,"",@progbits
; Kernel info:
; codeLenInByte = 0
; NumSgprs: 4
; NumVgprs: 0
; NumAgprs: 0
; TotalNumVgprs: 0
; ScratchSize: 0
; MemoryBound: 0
; FloatMode: 240
; IeeeMode: 1
; LDSByteSize: 0 bytes/workgroup (compile time only)
; SGPRBlocks: 0
; VGPRBlocks: 0
; NumSGPRsForWavesPerEU: 4
; NumVGPRsForWavesPerEU: 1
; AccumOffset: 4
; Occupancy: 8
; WaveLimiterHint : 0
; COMPUTE_PGM_RSRC2:SCRATCH_EN: 0
; COMPUTE_PGM_RSRC2:USER_SGPR: 6
; COMPUTE_PGM_RSRC2:TRAP_HANDLER: 0
; COMPUTE_PGM_RSRC2:TGID_X_EN: 1
; COMPUTE_PGM_RSRC2:TGID_Y_EN: 0
; COMPUTE_PGM_RSRC2:TGID_Z_EN: 0
; COMPUTE_PGM_RSRC2:TIDIG_COMP_CNT: 0
; COMPUTE_PGM_RSRC3_GFX90A:ACCUM_OFFSET: 0
; COMPUTE_PGM_RSRC3_GFX90A:TG_SPLIT: 0
	.section	.text._ZN7rocprim17ROCPRIM_400000_NS6detail17trampoline_kernelINS0_14default_configENS1_20scan_config_selectorIsEEZZNS1_9scan_implILNS1_25lookback_scan_determinismE0ELb1ELb1ES3_N6thrust23THRUST_200600_302600_NS6detail15normal_iteratorINS9_10device_ptrIsEEEENS9_16discard_iteratorINS9_11use_defaultEEEs11max_functorIsEsEEDaPvRmT3_T4_T5_mT6_P12ihipStream_tbENKUlT_T0_E_clISt17integral_constantIbLb0EESX_EEDaSS_ST_EUlSS_E_NS1_11comp_targetILNS1_3genE10ELNS1_11target_archE1201ELNS1_3gpuE5ELNS1_3repE0EEENS1_30default_config_static_selectorELNS0_4arch9wavefront6targetE1EEEvT1_,"axG",@progbits,_ZN7rocprim17ROCPRIM_400000_NS6detail17trampoline_kernelINS0_14default_configENS1_20scan_config_selectorIsEEZZNS1_9scan_implILNS1_25lookback_scan_determinismE0ELb1ELb1ES3_N6thrust23THRUST_200600_302600_NS6detail15normal_iteratorINS9_10device_ptrIsEEEENS9_16discard_iteratorINS9_11use_defaultEEEs11max_functorIsEsEEDaPvRmT3_T4_T5_mT6_P12ihipStream_tbENKUlT_T0_E_clISt17integral_constantIbLb0EESX_EEDaSS_ST_EUlSS_E_NS1_11comp_targetILNS1_3genE10ELNS1_11target_archE1201ELNS1_3gpuE5ELNS1_3repE0EEENS1_30default_config_static_selectorELNS0_4arch9wavefront6targetE1EEEvT1_,comdat
	.protected	_ZN7rocprim17ROCPRIM_400000_NS6detail17trampoline_kernelINS0_14default_configENS1_20scan_config_selectorIsEEZZNS1_9scan_implILNS1_25lookback_scan_determinismE0ELb1ELb1ES3_N6thrust23THRUST_200600_302600_NS6detail15normal_iteratorINS9_10device_ptrIsEEEENS9_16discard_iteratorINS9_11use_defaultEEEs11max_functorIsEsEEDaPvRmT3_T4_T5_mT6_P12ihipStream_tbENKUlT_T0_E_clISt17integral_constantIbLb0EESX_EEDaSS_ST_EUlSS_E_NS1_11comp_targetILNS1_3genE10ELNS1_11target_archE1201ELNS1_3gpuE5ELNS1_3repE0EEENS1_30default_config_static_selectorELNS0_4arch9wavefront6targetE1EEEvT1_ ; -- Begin function _ZN7rocprim17ROCPRIM_400000_NS6detail17trampoline_kernelINS0_14default_configENS1_20scan_config_selectorIsEEZZNS1_9scan_implILNS1_25lookback_scan_determinismE0ELb1ELb1ES3_N6thrust23THRUST_200600_302600_NS6detail15normal_iteratorINS9_10device_ptrIsEEEENS9_16discard_iteratorINS9_11use_defaultEEEs11max_functorIsEsEEDaPvRmT3_T4_T5_mT6_P12ihipStream_tbENKUlT_T0_E_clISt17integral_constantIbLb0EESX_EEDaSS_ST_EUlSS_E_NS1_11comp_targetILNS1_3genE10ELNS1_11target_archE1201ELNS1_3gpuE5ELNS1_3repE0EEENS1_30default_config_static_selectorELNS0_4arch9wavefront6targetE1EEEvT1_
	.globl	_ZN7rocprim17ROCPRIM_400000_NS6detail17trampoline_kernelINS0_14default_configENS1_20scan_config_selectorIsEEZZNS1_9scan_implILNS1_25lookback_scan_determinismE0ELb1ELb1ES3_N6thrust23THRUST_200600_302600_NS6detail15normal_iteratorINS9_10device_ptrIsEEEENS9_16discard_iteratorINS9_11use_defaultEEEs11max_functorIsEsEEDaPvRmT3_T4_T5_mT6_P12ihipStream_tbENKUlT_T0_E_clISt17integral_constantIbLb0EESX_EEDaSS_ST_EUlSS_E_NS1_11comp_targetILNS1_3genE10ELNS1_11target_archE1201ELNS1_3gpuE5ELNS1_3repE0EEENS1_30default_config_static_selectorELNS0_4arch9wavefront6targetE1EEEvT1_
	.p2align	8
	.type	_ZN7rocprim17ROCPRIM_400000_NS6detail17trampoline_kernelINS0_14default_configENS1_20scan_config_selectorIsEEZZNS1_9scan_implILNS1_25lookback_scan_determinismE0ELb1ELb1ES3_N6thrust23THRUST_200600_302600_NS6detail15normal_iteratorINS9_10device_ptrIsEEEENS9_16discard_iteratorINS9_11use_defaultEEEs11max_functorIsEsEEDaPvRmT3_T4_T5_mT6_P12ihipStream_tbENKUlT_T0_E_clISt17integral_constantIbLb0EESX_EEDaSS_ST_EUlSS_E_NS1_11comp_targetILNS1_3genE10ELNS1_11target_archE1201ELNS1_3gpuE5ELNS1_3repE0EEENS1_30default_config_static_selectorELNS0_4arch9wavefront6targetE1EEEvT1_,@function
_ZN7rocprim17ROCPRIM_400000_NS6detail17trampoline_kernelINS0_14default_configENS1_20scan_config_selectorIsEEZZNS1_9scan_implILNS1_25lookback_scan_determinismE0ELb1ELb1ES3_N6thrust23THRUST_200600_302600_NS6detail15normal_iteratorINS9_10device_ptrIsEEEENS9_16discard_iteratorINS9_11use_defaultEEEs11max_functorIsEsEEDaPvRmT3_T4_T5_mT6_P12ihipStream_tbENKUlT_T0_E_clISt17integral_constantIbLb0EESX_EEDaSS_ST_EUlSS_E_NS1_11comp_targetILNS1_3genE10ELNS1_11target_archE1201ELNS1_3gpuE5ELNS1_3repE0EEENS1_30default_config_static_selectorELNS0_4arch9wavefront6targetE1EEEvT1_: ; @_ZN7rocprim17ROCPRIM_400000_NS6detail17trampoline_kernelINS0_14default_configENS1_20scan_config_selectorIsEEZZNS1_9scan_implILNS1_25lookback_scan_determinismE0ELb1ELb1ES3_N6thrust23THRUST_200600_302600_NS6detail15normal_iteratorINS9_10device_ptrIsEEEENS9_16discard_iteratorINS9_11use_defaultEEEs11max_functorIsEsEEDaPvRmT3_T4_T5_mT6_P12ihipStream_tbENKUlT_T0_E_clISt17integral_constantIbLb0EESX_EEDaSS_ST_EUlSS_E_NS1_11comp_targetILNS1_3genE10ELNS1_11target_archE1201ELNS1_3gpuE5ELNS1_3repE0EEENS1_30default_config_static_selectorELNS0_4arch9wavefront6targetE1EEEvT1_
; %bb.0:
	.section	.rodata,"a",@progbits
	.p2align	6, 0x0
	.amdhsa_kernel _ZN7rocprim17ROCPRIM_400000_NS6detail17trampoline_kernelINS0_14default_configENS1_20scan_config_selectorIsEEZZNS1_9scan_implILNS1_25lookback_scan_determinismE0ELb1ELb1ES3_N6thrust23THRUST_200600_302600_NS6detail15normal_iteratorINS9_10device_ptrIsEEEENS9_16discard_iteratorINS9_11use_defaultEEEs11max_functorIsEsEEDaPvRmT3_T4_T5_mT6_P12ihipStream_tbENKUlT_T0_E_clISt17integral_constantIbLb0EESX_EEDaSS_ST_EUlSS_E_NS1_11comp_targetILNS1_3genE10ELNS1_11target_archE1201ELNS1_3gpuE5ELNS1_3repE0EEENS1_30default_config_static_selectorELNS0_4arch9wavefront6targetE1EEEvT1_
		.amdhsa_group_segment_fixed_size 0
		.amdhsa_private_segment_fixed_size 0
		.amdhsa_kernarg_size 104
		.amdhsa_user_sgpr_count 6
		.amdhsa_user_sgpr_private_segment_buffer 1
		.amdhsa_user_sgpr_dispatch_ptr 0
		.amdhsa_user_sgpr_queue_ptr 0
		.amdhsa_user_sgpr_kernarg_segment_ptr 1
		.amdhsa_user_sgpr_dispatch_id 0
		.amdhsa_user_sgpr_flat_scratch_init 0
		.amdhsa_user_sgpr_kernarg_preload_length 0
		.amdhsa_user_sgpr_kernarg_preload_offset 0
		.amdhsa_user_sgpr_private_segment_size 0
		.amdhsa_uses_dynamic_stack 0
		.amdhsa_system_sgpr_private_segment_wavefront_offset 0
		.amdhsa_system_sgpr_workgroup_id_x 1
		.amdhsa_system_sgpr_workgroup_id_y 0
		.amdhsa_system_sgpr_workgroup_id_z 0
		.amdhsa_system_sgpr_workgroup_info 0
		.amdhsa_system_vgpr_workitem_id 0
		.amdhsa_next_free_vgpr 1
		.amdhsa_next_free_sgpr 0
		.amdhsa_accum_offset 4
		.amdhsa_reserve_vcc 0
		.amdhsa_reserve_flat_scratch 0
		.amdhsa_float_round_mode_32 0
		.amdhsa_float_round_mode_16_64 0
		.amdhsa_float_denorm_mode_32 3
		.amdhsa_float_denorm_mode_16_64 3
		.amdhsa_dx10_clamp 1
		.amdhsa_ieee_mode 1
		.amdhsa_fp16_overflow 0
		.amdhsa_tg_split 0
		.amdhsa_exception_fp_ieee_invalid_op 0
		.amdhsa_exception_fp_denorm_src 0
		.amdhsa_exception_fp_ieee_div_zero 0
		.amdhsa_exception_fp_ieee_overflow 0
		.amdhsa_exception_fp_ieee_underflow 0
		.amdhsa_exception_fp_ieee_inexact 0
		.amdhsa_exception_int_div_zero 0
	.end_amdhsa_kernel
	.section	.text._ZN7rocprim17ROCPRIM_400000_NS6detail17trampoline_kernelINS0_14default_configENS1_20scan_config_selectorIsEEZZNS1_9scan_implILNS1_25lookback_scan_determinismE0ELb1ELb1ES3_N6thrust23THRUST_200600_302600_NS6detail15normal_iteratorINS9_10device_ptrIsEEEENS9_16discard_iteratorINS9_11use_defaultEEEs11max_functorIsEsEEDaPvRmT3_T4_T5_mT6_P12ihipStream_tbENKUlT_T0_E_clISt17integral_constantIbLb0EESX_EEDaSS_ST_EUlSS_E_NS1_11comp_targetILNS1_3genE10ELNS1_11target_archE1201ELNS1_3gpuE5ELNS1_3repE0EEENS1_30default_config_static_selectorELNS0_4arch9wavefront6targetE1EEEvT1_,"axG",@progbits,_ZN7rocprim17ROCPRIM_400000_NS6detail17trampoline_kernelINS0_14default_configENS1_20scan_config_selectorIsEEZZNS1_9scan_implILNS1_25lookback_scan_determinismE0ELb1ELb1ES3_N6thrust23THRUST_200600_302600_NS6detail15normal_iteratorINS9_10device_ptrIsEEEENS9_16discard_iteratorINS9_11use_defaultEEEs11max_functorIsEsEEDaPvRmT3_T4_T5_mT6_P12ihipStream_tbENKUlT_T0_E_clISt17integral_constantIbLb0EESX_EEDaSS_ST_EUlSS_E_NS1_11comp_targetILNS1_3genE10ELNS1_11target_archE1201ELNS1_3gpuE5ELNS1_3repE0EEENS1_30default_config_static_selectorELNS0_4arch9wavefront6targetE1EEEvT1_,comdat
.Lfunc_end4075:
	.size	_ZN7rocprim17ROCPRIM_400000_NS6detail17trampoline_kernelINS0_14default_configENS1_20scan_config_selectorIsEEZZNS1_9scan_implILNS1_25lookback_scan_determinismE0ELb1ELb1ES3_N6thrust23THRUST_200600_302600_NS6detail15normal_iteratorINS9_10device_ptrIsEEEENS9_16discard_iteratorINS9_11use_defaultEEEs11max_functorIsEsEEDaPvRmT3_T4_T5_mT6_P12ihipStream_tbENKUlT_T0_E_clISt17integral_constantIbLb0EESX_EEDaSS_ST_EUlSS_E_NS1_11comp_targetILNS1_3genE10ELNS1_11target_archE1201ELNS1_3gpuE5ELNS1_3repE0EEENS1_30default_config_static_selectorELNS0_4arch9wavefront6targetE1EEEvT1_, .Lfunc_end4075-_ZN7rocprim17ROCPRIM_400000_NS6detail17trampoline_kernelINS0_14default_configENS1_20scan_config_selectorIsEEZZNS1_9scan_implILNS1_25lookback_scan_determinismE0ELb1ELb1ES3_N6thrust23THRUST_200600_302600_NS6detail15normal_iteratorINS9_10device_ptrIsEEEENS9_16discard_iteratorINS9_11use_defaultEEEs11max_functorIsEsEEDaPvRmT3_T4_T5_mT6_P12ihipStream_tbENKUlT_T0_E_clISt17integral_constantIbLb0EESX_EEDaSS_ST_EUlSS_E_NS1_11comp_targetILNS1_3genE10ELNS1_11target_archE1201ELNS1_3gpuE5ELNS1_3repE0EEENS1_30default_config_static_selectorELNS0_4arch9wavefront6targetE1EEEvT1_
                                        ; -- End function
	.section	.AMDGPU.csdata,"",@progbits
; Kernel info:
; codeLenInByte = 0
; NumSgprs: 4
; NumVgprs: 0
; NumAgprs: 0
; TotalNumVgprs: 0
; ScratchSize: 0
; MemoryBound: 0
; FloatMode: 240
; IeeeMode: 1
; LDSByteSize: 0 bytes/workgroup (compile time only)
; SGPRBlocks: 0
; VGPRBlocks: 0
; NumSGPRsForWavesPerEU: 4
; NumVGPRsForWavesPerEU: 1
; AccumOffset: 4
; Occupancy: 8
; WaveLimiterHint : 0
; COMPUTE_PGM_RSRC2:SCRATCH_EN: 0
; COMPUTE_PGM_RSRC2:USER_SGPR: 6
; COMPUTE_PGM_RSRC2:TRAP_HANDLER: 0
; COMPUTE_PGM_RSRC2:TGID_X_EN: 1
; COMPUTE_PGM_RSRC2:TGID_Y_EN: 0
; COMPUTE_PGM_RSRC2:TGID_Z_EN: 0
; COMPUTE_PGM_RSRC2:TIDIG_COMP_CNT: 0
; COMPUTE_PGM_RSRC3_GFX90A:ACCUM_OFFSET: 0
; COMPUTE_PGM_RSRC3_GFX90A:TG_SPLIT: 0
	.section	.text._ZN7rocprim17ROCPRIM_400000_NS6detail17trampoline_kernelINS0_14default_configENS1_20scan_config_selectorIsEEZZNS1_9scan_implILNS1_25lookback_scan_determinismE0ELb1ELb1ES3_N6thrust23THRUST_200600_302600_NS6detail15normal_iteratorINS9_10device_ptrIsEEEENS9_16discard_iteratorINS9_11use_defaultEEEs11max_functorIsEsEEDaPvRmT3_T4_T5_mT6_P12ihipStream_tbENKUlT_T0_E_clISt17integral_constantIbLb0EESX_EEDaSS_ST_EUlSS_E_NS1_11comp_targetILNS1_3genE10ELNS1_11target_archE1200ELNS1_3gpuE4ELNS1_3repE0EEENS1_30default_config_static_selectorELNS0_4arch9wavefront6targetE1EEEvT1_,"axG",@progbits,_ZN7rocprim17ROCPRIM_400000_NS6detail17trampoline_kernelINS0_14default_configENS1_20scan_config_selectorIsEEZZNS1_9scan_implILNS1_25lookback_scan_determinismE0ELb1ELb1ES3_N6thrust23THRUST_200600_302600_NS6detail15normal_iteratorINS9_10device_ptrIsEEEENS9_16discard_iteratorINS9_11use_defaultEEEs11max_functorIsEsEEDaPvRmT3_T4_T5_mT6_P12ihipStream_tbENKUlT_T0_E_clISt17integral_constantIbLb0EESX_EEDaSS_ST_EUlSS_E_NS1_11comp_targetILNS1_3genE10ELNS1_11target_archE1200ELNS1_3gpuE4ELNS1_3repE0EEENS1_30default_config_static_selectorELNS0_4arch9wavefront6targetE1EEEvT1_,comdat
	.protected	_ZN7rocprim17ROCPRIM_400000_NS6detail17trampoline_kernelINS0_14default_configENS1_20scan_config_selectorIsEEZZNS1_9scan_implILNS1_25lookback_scan_determinismE0ELb1ELb1ES3_N6thrust23THRUST_200600_302600_NS6detail15normal_iteratorINS9_10device_ptrIsEEEENS9_16discard_iteratorINS9_11use_defaultEEEs11max_functorIsEsEEDaPvRmT3_T4_T5_mT6_P12ihipStream_tbENKUlT_T0_E_clISt17integral_constantIbLb0EESX_EEDaSS_ST_EUlSS_E_NS1_11comp_targetILNS1_3genE10ELNS1_11target_archE1200ELNS1_3gpuE4ELNS1_3repE0EEENS1_30default_config_static_selectorELNS0_4arch9wavefront6targetE1EEEvT1_ ; -- Begin function _ZN7rocprim17ROCPRIM_400000_NS6detail17trampoline_kernelINS0_14default_configENS1_20scan_config_selectorIsEEZZNS1_9scan_implILNS1_25lookback_scan_determinismE0ELb1ELb1ES3_N6thrust23THRUST_200600_302600_NS6detail15normal_iteratorINS9_10device_ptrIsEEEENS9_16discard_iteratorINS9_11use_defaultEEEs11max_functorIsEsEEDaPvRmT3_T4_T5_mT6_P12ihipStream_tbENKUlT_T0_E_clISt17integral_constantIbLb0EESX_EEDaSS_ST_EUlSS_E_NS1_11comp_targetILNS1_3genE10ELNS1_11target_archE1200ELNS1_3gpuE4ELNS1_3repE0EEENS1_30default_config_static_selectorELNS0_4arch9wavefront6targetE1EEEvT1_
	.globl	_ZN7rocprim17ROCPRIM_400000_NS6detail17trampoline_kernelINS0_14default_configENS1_20scan_config_selectorIsEEZZNS1_9scan_implILNS1_25lookback_scan_determinismE0ELb1ELb1ES3_N6thrust23THRUST_200600_302600_NS6detail15normal_iteratorINS9_10device_ptrIsEEEENS9_16discard_iteratorINS9_11use_defaultEEEs11max_functorIsEsEEDaPvRmT3_T4_T5_mT6_P12ihipStream_tbENKUlT_T0_E_clISt17integral_constantIbLb0EESX_EEDaSS_ST_EUlSS_E_NS1_11comp_targetILNS1_3genE10ELNS1_11target_archE1200ELNS1_3gpuE4ELNS1_3repE0EEENS1_30default_config_static_selectorELNS0_4arch9wavefront6targetE1EEEvT1_
	.p2align	8
	.type	_ZN7rocprim17ROCPRIM_400000_NS6detail17trampoline_kernelINS0_14default_configENS1_20scan_config_selectorIsEEZZNS1_9scan_implILNS1_25lookback_scan_determinismE0ELb1ELb1ES3_N6thrust23THRUST_200600_302600_NS6detail15normal_iteratorINS9_10device_ptrIsEEEENS9_16discard_iteratorINS9_11use_defaultEEEs11max_functorIsEsEEDaPvRmT3_T4_T5_mT6_P12ihipStream_tbENKUlT_T0_E_clISt17integral_constantIbLb0EESX_EEDaSS_ST_EUlSS_E_NS1_11comp_targetILNS1_3genE10ELNS1_11target_archE1200ELNS1_3gpuE4ELNS1_3repE0EEENS1_30default_config_static_selectorELNS0_4arch9wavefront6targetE1EEEvT1_,@function
_ZN7rocprim17ROCPRIM_400000_NS6detail17trampoline_kernelINS0_14default_configENS1_20scan_config_selectorIsEEZZNS1_9scan_implILNS1_25lookback_scan_determinismE0ELb1ELb1ES3_N6thrust23THRUST_200600_302600_NS6detail15normal_iteratorINS9_10device_ptrIsEEEENS9_16discard_iteratorINS9_11use_defaultEEEs11max_functorIsEsEEDaPvRmT3_T4_T5_mT6_P12ihipStream_tbENKUlT_T0_E_clISt17integral_constantIbLb0EESX_EEDaSS_ST_EUlSS_E_NS1_11comp_targetILNS1_3genE10ELNS1_11target_archE1200ELNS1_3gpuE4ELNS1_3repE0EEENS1_30default_config_static_selectorELNS0_4arch9wavefront6targetE1EEEvT1_: ; @_ZN7rocprim17ROCPRIM_400000_NS6detail17trampoline_kernelINS0_14default_configENS1_20scan_config_selectorIsEEZZNS1_9scan_implILNS1_25lookback_scan_determinismE0ELb1ELb1ES3_N6thrust23THRUST_200600_302600_NS6detail15normal_iteratorINS9_10device_ptrIsEEEENS9_16discard_iteratorINS9_11use_defaultEEEs11max_functorIsEsEEDaPvRmT3_T4_T5_mT6_P12ihipStream_tbENKUlT_T0_E_clISt17integral_constantIbLb0EESX_EEDaSS_ST_EUlSS_E_NS1_11comp_targetILNS1_3genE10ELNS1_11target_archE1200ELNS1_3gpuE4ELNS1_3repE0EEENS1_30default_config_static_selectorELNS0_4arch9wavefront6targetE1EEEvT1_
; %bb.0:
	.section	.rodata,"a",@progbits
	.p2align	6, 0x0
	.amdhsa_kernel _ZN7rocprim17ROCPRIM_400000_NS6detail17trampoline_kernelINS0_14default_configENS1_20scan_config_selectorIsEEZZNS1_9scan_implILNS1_25lookback_scan_determinismE0ELb1ELb1ES3_N6thrust23THRUST_200600_302600_NS6detail15normal_iteratorINS9_10device_ptrIsEEEENS9_16discard_iteratorINS9_11use_defaultEEEs11max_functorIsEsEEDaPvRmT3_T4_T5_mT6_P12ihipStream_tbENKUlT_T0_E_clISt17integral_constantIbLb0EESX_EEDaSS_ST_EUlSS_E_NS1_11comp_targetILNS1_3genE10ELNS1_11target_archE1200ELNS1_3gpuE4ELNS1_3repE0EEENS1_30default_config_static_selectorELNS0_4arch9wavefront6targetE1EEEvT1_
		.amdhsa_group_segment_fixed_size 0
		.amdhsa_private_segment_fixed_size 0
		.amdhsa_kernarg_size 104
		.amdhsa_user_sgpr_count 6
		.amdhsa_user_sgpr_private_segment_buffer 1
		.amdhsa_user_sgpr_dispatch_ptr 0
		.amdhsa_user_sgpr_queue_ptr 0
		.amdhsa_user_sgpr_kernarg_segment_ptr 1
		.amdhsa_user_sgpr_dispatch_id 0
		.amdhsa_user_sgpr_flat_scratch_init 0
		.amdhsa_user_sgpr_kernarg_preload_length 0
		.amdhsa_user_sgpr_kernarg_preload_offset 0
		.amdhsa_user_sgpr_private_segment_size 0
		.amdhsa_uses_dynamic_stack 0
		.amdhsa_system_sgpr_private_segment_wavefront_offset 0
		.amdhsa_system_sgpr_workgroup_id_x 1
		.amdhsa_system_sgpr_workgroup_id_y 0
		.amdhsa_system_sgpr_workgroup_id_z 0
		.amdhsa_system_sgpr_workgroup_info 0
		.amdhsa_system_vgpr_workitem_id 0
		.amdhsa_next_free_vgpr 1
		.amdhsa_next_free_sgpr 0
		.amdhsa_accum_offset 4
		.amdhsa_reserve_vcc 0
		.amdhsa_reserve_flat_scratch 0
		.amdhsa_float_round_mode_32 0
		.amdhsa_float_round_mode_16_64 0
		.amdhsa_float_denorm_mode_32 3
		.amdhsa_float_denorm_mode_16_64 3
		.amdhsa_dx10_clamp 1
		.amdhsa_ieee_mode 1
		.amdhsa_fp16_overflow 0
		.amdhsa_tg_split 0
		.amdhsa_exception_fp_ieee_invalid_op 0
		.amdhsa_exception_fp_denorm_src 0
		.amdhsa_exception_fp_ieee_div_zero 0
		.amdhsa_exception_fp_ieee_overflow 0
		.amdhsa_exception_fp_ieee_underflow 0
		.amdhsa_exception_fp_ieee_inexact 0
		.amdhsa_exception_int_div_zero 0
	.end_amdhsa_kernel
	.section	.text._ZN7rocprim17ROCPRIM_400000_NS6detail17trampoline_kernelINS0_14default_configENS1_20scan_config_selectorIsEEZZNS1_9scan_implILNS1_25lookback_scan_determinismE0ELb1ELb1ES3_N6thrust23THRUST_200600_302600_NS6detail15normal_iteratorINS9_10device_ptrIsEEEENS9_16discard_iteratorINS9_11use_defaultEEEs11max_functorIsEsEEDaPvRmT3_T4_T5_mT6_P12ihipStream_tbENKUlT_T0_E_clISt17integral_constantIbLb0EESX_EEDaSS_ST_EUlSS_E_NS1_11comp_targetILNS1_3genE10ELNS1_11target_archE1200ELNS1_3gpuE4ELNS1_3repE0EEENS1_30default_config_static_selectorELNS0_4arch9wavefront6targetE1EEEvT1_,"axG",@progbits,_ZN7rocprim17ROCPRIM_400000_NS6detail17trampoline_kernelINS0_14default_configENS1_20scan_config_selectorIsEEZZNS1_9scan_implILNS1_25lookback_scan_determinismE0ELb1ELb1ES3_N6thrust23THRUST_200600_302600_NS6detail15normal_iteratorINS9_10device_ptrIsEEEENS9_16discard_iteratorINS9_11use_defaultEEEs11max_functorIsEsEEDaPvRmT3_T4_T5_mT6_P12ihipStream_tbENKUlT_T0_E_clISt17integral_constantIbLb0EESX_EEDaSS_ST_EUlSS_E_NS1_11comp_targetILNS1_3genE10ELNS1_11target_archE1200ELNS1_3gpuE4ELNS1_3repE0EEENS1_30default_config_static_selectorELNS0_4arch9wavefront6targetE1EEEvT1_,comdat
.Lfunc_end4076:
	.size	_ZN7rocprim17ROCPRIM_400000_NS6detail17trampoline_kernelINS0_14default_configENS1_20scan_config_selectorIsEEZZNS1_9scan_implILNS1_25lookback_scan_determinismE0ELb1ELb1ES3_N6thrust23THRUST_200600_302600_NS6detail15normal_iteratorINS9_10device_ptrIsEEEENS9_16discard_iteratorINS9_11use_defaultEEEs11max_functorIsEsEEDaPvRmT3_T4_T5_mT6_P12ihipStream_tbENKUlT_T0_E_clISt17integral_constantIbLb0EESX_EEDaSS_ST_EUlSS_E_NS1_11comp_targetILNS1_3genE10ELNS1_11target_archE1200ELNS1_3gpuE4ELNS1_3repE0EEENS1_30default_config_static_selectorELNS0_4arch9wavefront6targetE1EEEvT1_, .Lfunc_end4076-_ZN7rocprim17ROCPRIM_400000_NS6detail17trampoline_kernelINS0_14default_configENS1_20scan_config_selectorIsEEZZNS1_9scan_implILNS1_25lookback_scan_determinismE0ELb1ELb1ES3_N6thrust23THRUST_200600_302600_NS6detail15normal_iteratorINS9_10device_ptrIsEEEENS9_16discard_iteratorINS9_11use_defaultEEEs11max_functorIsEsEEDaPvRmT3_T4_T5_mT6_P12ihipStream_tbENKUlT_T0_E_clISt17integral_constantIbLb0EESX_EEDaSS_ST_EUlSS_E_NS1_11comp_targetILNS1_3genE10ELNS1_11target_archE1200ELNS1_3gpuE4ELNS1_3repE0EEENS1_30default_config_static_selectorELNS0_4arch9wavefront6targetE1EEEvT1_
                                        ; -- End function
	.section	.AMDGPU.csdata,"",@progbits
; Kernel info:
; codeLenInByte = 0
; NumSgprs: 4
; NumVgprs: 0
; NumAgprs: 0
; TotalNumVgprs: 0
; ScratchSize: 0
; MemoryBound: 0
; FloatMode: 240
; IeeeMode: 1
; LDSByteSize: 0 bytes/workgroup (compile time only)
; SGPRBlocks: 0
; VGPRBlocks: 0
; NumSGPRsForWavesPerEU: 4
; NumVGPRsForWavesPerEU: 1
; AccumOffset: 4
; Occupancy: 8
; WaveLimiterHint : 0
; COMPUTE_PGM_RSRC2:SCRATCH_EN: 0
; COMPUTE_PGM_RSRC2:USER_SGPR: 6
; COMPUTE_PGM_RSRC2:TRAP_HANDLER: 0
; COMPUTE_PGM_RSRC2:TGID_X_EN: 1
; COMPUTE_PGM_RSRC2:TGID_Y_EN: 0
; COMPUTE_PGM_RSRC2:TGID_Z_EN: 0
; COMPUTE_PGM_RSRC2:TIDIG_COMP_CNT: 0
; COMPUTE_PGM_RSRC3_GFX90A:ACCUM_OFFSET: 0
; COMPUTE_PGM_RSRC3_GFX90A:TG_SPLIT: 0
	.section	.text._ZN7rocprim17ROCPRIM_400000_NS6detail17trampoline_kernelINS0_14default_configENS1_20scan_config_selectorIsEEZZNS1_9scan_implILNS1_25lookback_scan_determinismE0ELb1ELb1ES3_N6thrust23THRUST_200600_302600_NS6detail15normal_iteratorINS9_10device_ptrIsEEEENS9_16discard_iteratorINS9_11use_defaultEEEs11max_functorIsEsEEDaPvRmT3_T4_T5_mT6_P12ihipStream_tbENKUlT_T0_E_clISt17integral_constantIbLb0EESX_EEDaSS_ST_EUlSS_E_NS1_11comp_targetILNS1_3genE9ELNS1_11target_archE1100ELNS1_3gpuE3ELNS1_3repE0EEENS1_30default_config_static_selectorELNS0_4arch9wavefront6targetE1EEEvT1_,"axG",@progbits,_ZN7rocprim17ROCPRIM_400000_NS6detail17trampoline_kernelINS0_14default_configENS1_20scan_config_selectorIsEEZZNS1_9scan_implILNS1_25lookback_scan_determinismE0ELb1ELb1ES3_N6thrust23THRUST_200600_302600_NS6detail15normal_iteratorINS9_10device_ptrIsEEEENS9_16discard_iteratorINS9_11use_defaultEEEs11max_functorIsEsEEDaPvRmT3_T4_T5_mT6_P12ihipStream_tbENKUlT_T0_E_clISt17integral_constantIbLb0EESX_EEDaSS_ST_EUlSS_E_NS1_11comp_targetILNS1_3genE9ELNS1_11target_archE1100ELNS1_3gpuE3ELNS1_3repE0EEENS1_30default_config_static_selectorELNS0_4arch9wavefront6targetE1EEEvT1_,comdat
	.protected	_ZN7rocprim17ROCPRIM_400000_NS6detail17trampoline_kernelINS0_14default_configENS1_20scan_config_selectorIsEEZZNS1_9scan_implILNS1_25lookback_scan_determinismE0ELb1ELb1ES3_N6thrust23THRUST_200600_302600_NS6detail15normal_iteratorINS9_10device_ptrIsEEEENS9_16discard_iteratorINS9_11use_defaultEEEs11max_functorIsEsEEDaPvRmT3_T4_T5_mT6_P12ihipStream_tbENKUlT_T0_E_clISt17integral_constantIbLb0EESX_EEDaSS_ST_EUlSS_E_NS1_11comp_targetILNS1_3genE9ELNS1_11target_archE1100ELNS1_3gpuE3ELNS1_3repE0EEENS1_30default_config_static_selectorELNS0_4arch9wavefront6targetE1EEEvT1_ ; -- Begin function _ZN7rocprim17ROCPRIM_400000_NS6detail17trampoline_kernelINS0_14default_configENS1_20scan_config_selectorIsEEZZNS1_9scan_implILNS1_25lookback_scan_determinismE0ELb1ELb1ES3_N6thrust23THRUST_200600_302600_NS6detail15normal_iteratorINS9_10device_ptrIsEEEENS9_16discard_iteratorINS9_11use_defaultEEEs11max_functorIsEsEEDaPvRmT3_T4_T5_mT6_P12ihipStream_tbENKUlT_T0_E_clISt17integral_constantIbLb0EESX_EEDaSS_ST_EUlSS_E_NS1_11comp_targetILNS1_3genE9ELNS1_11target_archE1100ELNS1_3gpuE3ELNS1_3repE0EEENS1_30default_config_static_selectorELNS0_4arch9wavefront6targetE1EEEvT1_
	.globl	_ZN7rocprim17ROCPRIM_400000_NS6detail17trampoline_kernelINS0_14default_configENS1_20scan_config_selectorIsEEZZNS1_9scan_implILNS1_25lookback_scan_determinismE0ELb1ELb1ES3_N6thrust23THRUST_200600_302600_NS6detail15normal_iteratorINS9_10device_ptrIsEEEENS9_16discard_iteratorINS9_11use_defaultEEEs11max_functorIsEsEEDaPvRmT3_T4_T5_mT6_P12ihipStream_tbENKUlT_T0_E_clISt17integral_constantIbLb0EESX_EEDaSS_ST_EUlSS_E_NS1_11comp_targetILNS1_3genE9ELNS1_11target_archE1100ELNS1_3gpuE3ELNS1_3repE0EEENS1_30default_config_static_selectorELNS0_4arch9wavefront6targetE1EEEvT1_
	.p2align	8
	.type	_ZN7rocprim17ROCPRIM_400000_NS6detail17trampoline_kernelINS0_14default_configENS1_20scan_config_selectorIsEEZZNS1_9scan_implILNS1_25lookback_scan_determinismE0ELb1ELb1ES3_N6thrust23THRUST_200600_302600_NS6detail15normal_iteratorINS9_10device_ptrIsEEEENS9_16discard_iteratorINS9_11use_defaultEEEs11max_functorIsEsEEDaPvRmT3_T4_T5_mT6_P12ihipStream_tbENKUlT_T0_E_clISt17integral_constantIbLb0EESX_EEDaSS_ST_EUlSS_E_NS1_11comp_targetILNS1_3genE9ELNS1_11target_archE1100ELNS1_3gpuE3ELNS1_3repE0EEENS1_30default_config_static_selectorELNS0_4arch9wavefront6targetE1EEEvT1_,@function
_ZN7rocprim17ROCPRIM_400000_NS6detail17trampoline_kernelINS0_14default_configENS1_20scan_config_selectorIsEEZZNS1_9scan_implILNS1_25lookback_scan_determinismE0ELb1ELb1ES3_N6thrust23THRUST_200600_302600_NS6detail15normal_iteratorINS9_10device_ptrIsEEEENS9_16discard_iteratorINS9_11use_defaultEEEs11max_functorIsEsEEDaPvRmT3_T4_T5_mT6_P12ihipStream_tbENKUlT_T0_E_clISt17integral_constantIbLb0EESX_EEDaSS_ST_EUlSS_E_NS1_11comp_targetILNS1_3genE9ELNS1_11target_archE1100ELNS1_3gpuE3ELNS1_3repE0EEENS1_30default_config_static_selectorELNS0_4arch9wavefront6targetE1EEEvT1_: ; @_ZN7rocprim17ROCPRIM_400000_NS6detail17trampoline_kernelINS0_14default_configENS1_20scan_config_selectorIsEEZZNS1_9scan_implILNS1_25lookback_scan_determinismE0ELb1ELb1ES3_N6thrust23THRUST_200600_302600_NS6detail15normal_iteratorINS9_10device_ptrIsEEEENS9_16discard_iteratorINS9_11use_defaultEEEs11max_functorIsEsEEDaPvRmT3_T4_T5_mT6_P12ihipStream_tbENKUlT_T0_E_clISt17integral_constantIbLb0EESX_EEDaSS_ST_EUlSS_E_NS1_11comp_targetILNS1_3genE9ELNS1_11target_archE1100ELNS1_3gpuE3ELNS1_3repE0EEENS1_30default_config_static_selectorELNS0_4arch9wavefront6targetE1EEEvT1_
; %bb.0:
	.section	.rodata,"a",@progbits
	.p2align	6, 0x0
	.amdhsa_kernel _ZN7rocprim17ROCPRIM_400000_NS6detail17trampoline_kernelINS0_14default_configENS1_20scan_config_selectorIsEEZZNS1_9scan_implILNS1_25lookback_scan_determinismE0ELb1ELb1ES3_N6thrust23THRUST_200600_302600_NS6detail15normal_iteratorINS9_10device_ptrIsEEEENS9_16discard_iteratorINS9_11use_defaultEEEs11max_functorIsEsEEDaPvRmT3_T4_T5_mT6_P12ihipStream_tbENKUlT_T0_E_clISt17integral_constantIbLb0EESX_EEDaSS_ST_EUlSS_E_NS1_11comp_targetILNS1_3genE9ELNS1_11target_archE1100ELNS1_3gpuE3ELNS1_3repE0EEENS1_30default_config_static_selectorELNS0_4arch9wavefront6targetE1EEEvT1_
		.amdhsa_group_segment_fixed_size 0
		.amdhsa_private_segment_fixed_size 0
		.amdhsa_kernarg_size 104
		.amdhsa_user_sgpr_count 6
		.amdhsa_user_sgpr_private_segment_buffer 1
		.amdhsa_user_sgpr_dispatch_ptr 0
		.amdhsa_user_sgpr_queue_ptr 0
		.amdhsa_user_sgpr_kernarg_segment_ptr 1
		.amdhsa_user_sgpr_dispatch_id 0
		.amdhsa_user_sgpr_flat_scratch_init 0
		.amdhsa_user_sgpr_kernarg_preload_length 0
		.amdhsa_user_sgpr_kernarg_preload_offset 0
		.amdhsa_user_sgpr_private_segment_size 0
		.amdhsa_uses_dynamic_stack 0
		.amdhsa_system_sgpr_private_segment_wavefront_offset 0
		.amdhsa_system_sgpr_workgroup_id_x 1
		.amdhsa_system_sgpr_workgroup_id_y 0
		.amdhsa_system_sgpr_workgroup_id_z 0
		.amdhsa_system_sgpr_workgroup_info 0
		.amdhsa_system_vgpr_workitem_id 0
		.amdhsa_next_free_vgpr 1
		.amdhsa_next_free_sgpr 0
		.amdhsa_accum_offset 4
		.amdhsa_reserve_vcc 0
		.amdhsa_reserve_flat_scratch 0
		.amdhsa_float_round_mode_32 0
		.amdhsa_float_round_mode_16_64 0
		.amdhsa_float_denorm_mode_32 3
		.amdhsa_float_denorm_mode_16_64 3
		.amdhsa_dx10_clamp 1
		.amdhsa_ieee_mode 1
		.amdhsa_fp16_overflow 0
		.amdhsa_tg_split 0
		.amdhsa_exception_fp_ieee_invalid_op 0
		.amdhsa_exception_fp_denorm_src 0
		.amdhsa_exception_fp_ieee_div_zero 0
		.amdhsa_exception_fp_ieee_overflow 0
		.amdhsa_exception_fp_ieee_underflow 0
		.amdhsa_exception_fp_ieee_inexact 0
		.amdhsa_exception_int_div_zero 0
	.end_amdhsa_kernel
	.section	.text._ZN7rocprim17ROCPRIM_400000_NS6detail17trampoline_kernelINS0_14default_configENS1_20scan_config_selectorIsEEZZNS1_9scan_implILNS1_25lookback_scan_determinismE0ELb1ELb1ES3_N6thrust23THRUST_200600_302600_NS6detail15normal_iteratorINS9_10device_ptrIsEEEENS9_16discard_iteratorINS9_11use_defaultEEEs11max_functorIsEsEEDaPvRmT3_T4_T5_mT6_P12ihipStream_tbENKUlT_T0_E_clISt17integral_constantIbLb0EESX_EEDaSS_ST_EUlSS_E_NS1_11comp_targetILNS1_3genE9ELNS1_11target_archE1100ELNS1_3gpuE3ELNS1_3repE0EEENS1_30default_config_static_selectorELNS0_4arch9wavefront6targetE1EEEvT1_,"axG",@progbits,_ZN7rocprim17ROCPRIM_400000_NS6detail17trampoline_kernelINS0_14default_configENS1_20scan_config_selectorIsEEZZNS1_9scan_implILNS1_25lookback_scan_determinismE0ELb1ELb1ES3_N6thrust23THRUST_200600_302600_NS6detail15normal_iteratorINS9_10device_ptrIsEEEENS9_16discard_iteratorINS9_11use_defaultEEEs11max_functorIsEsEEDaPvRmT3_T4_T5_mT6_P12ihipStream_tbENKUlT_T0_E_clISt17integral_constantIbLb0EESX_EEDaSS_ST_EUlSS_E_NS1_11comp_targetILNS1_3genE9ELNS1_11target_archE1100ELNS1_3gpuE3ELNS1_3repE0EEENS1_30default_config_static_selectorELNS0_4arch9wavefront6targetE1EEEvT1_,comdat
.Lfunc_end4077:
	.size	_ZN7rocprim17ROCPRIM_400000_NS6detail17trampoline_kernelINS0_14default_configENS1_20scan_config_selectorIsEEZZNS1_9scan_implILNS1_25lookback_scan_determinismE0ELb1ELb1ES3_N6thrust23THRUST_200600_302600_NS6detail15normal_iteratorINS9_10device_ptrIsEEEENS9_16discard_iteratorINS9_11use_defaultEEEs11max_functorIsEsEEDaPvRmT3_T4_T5_mT6_P12ihipStream_tbENKUlT_T0_E_clISt17integral_constantIbLb0EESX_EEDaSS_ST_EUlSS_E_NS1_11comp_targetILNS1_3genE9ELNS1_11target_archE1100ELNS1_3gpuE3ELNS1_3repE0EEENS1_30default_config_static_selectorELNS0_4arch9wavefront6targetE1EEEvT1_, .Lfunc_end4077-_ZN7rocprim17ROCPRIM_400000_NS6detail17trampoline_kernelINS0_14default_configENS1_20scan_config_selectorIsEEZZNS1_9scan_implILNS1_25lookback_scan_determinismE0ELb1ELb1ES3_N6thrust23THRUST_200600_302600_NS6detail15normal_iteratorINS9_10device_ptrIsEEEENS9_16discard_iteratorINS9_11use_defaultEEEs11max_functorIsEsEEDaPvRmT3_T4_T5_mT6_P12ihipStream_tbENKUlT_T0_E_clISt17integral_constantIbLb0EESX_EEDaSS_ST_EUlSS_E_NS1_11comp_targetILNS1_3genE9ELNS1_11target_archE1100ELNS1_3gpuE3ELNS1_3repE0EEENS1_30default_config_static_selectorELNS0_4arch9wavefront6targetE1EEEvT1_
                                        ; -- End function
	.section	.AMDGPU.csdata,"",@progbits
; Kernel info:
; codeLenInByte = 0
; NumSgprs: 4
; NumVgprs: 0
; NumAgprs: 0
; TotalNumVgprs: 0
; ScratchSize: 0
; MemoryBound: 0
; FloatMode: 240
; IeeeMode: 1
; LDSByteSize: 0 bytes/workgroup (compile time only)
; SGPRBlocks: 0
; VGPRBlocks: 0
; NumSGPRsForWavesPerEU: 4
; NumVGPRsForWavesPerEU: 1
; AccumOffset: 4
; Occupancy: 8
; WaveLimiterHint : 0
; COMPUTE_PGM_RSRC2:SCRATCH_EN: 0
; COMPUTE_PGM_RSRC2:USER_SGPR: 6
; COMPUTE_PGM_RSRC2:TRAP_HANDLER: 0
; COMPUTE_PGM_RSRC2:TGID_X_EN: 1
; COMPUTE_PGM_RSRC2:TGID_Y_EN: 0
; COMPUTE_PGM_RSRC2:TGID_Z_EN: 0
; COMPUTE_PGM_RSRC2:TIDIG_COMP_CNT: 0
; COMPUTE_PGM_RSRC3_GFX90A:ACCUM_OFFSET: 0
; COMPUTE_PGM_RSRC3_GFX90A:TG_SPLIT: 0
	.section	.text._ZN7rocprim17ROCPRIM_400000_NS6detail17trampoline_kernelINS0_14default_configENS1_20scan_config_selectorIsEEZZNS1_9scan_implILNS1_25lookback_scan_determinismE0ELb1ELb1ES3_N6thrust23THRUST_200600_302600_NS6detail15normal_iteratorINS9_10device_ptrIsEEEENS9_16discard_iteratorINS9_11use_defaultEEEs11max_functorIsEsEEDaPvRmT3_T4_T5_mT6_P12ihipStream_tbENKUlT_T0_E_clISt17integral_constantIbLb0EESX_EEDaSS_ST_EUlSS_E_NS1_11comp_targetILNS1_3genE8ELNS1_11target_archE1030ELNS1_3gpuE2ELNS1_3repE0EEENS1_30default_config_static_selectorELNS0_4arch9wavefront6targetE1EEEvT1_,"axG",@progbits,_ZN7rocprim17ROCPRIM_400000_NS6detail17trampoline_kernelINS0_14default_configENS1_20scan_config_selectorIsEEZZNS1_9scan_implILNS1_25lookback_scan_determinismE0ELb1ELb1ES3_N6thrust23THRUST_200600_302600_NS6detail15normal_iteratorINS9_10device_ptrIsEEEENS9_16discard_iteratorINS9_11use_defaultEEEs11max_functorIsEsEEDaPvRmT3_T4_T5_mT6_P12ihipStream_tbENKUlT_T0_E_clISt17integral_constantIbLb0EESX_EEDaSS_ST_EUlSS_E_NS1_11comp_targetILNS1_3genE8ELNS1_11target_archE1030ELNS1_3gpuE2ELNS1_3repE0EEENS1_30default_config_static_selectorELNS0_4arch9wavefront6targetE1EEEvT1_,comdat
	.protected	_ZN7rocprim17ROCPRIM_400000_NS6detail17trampoline_kernelINS0_14default_configENS1_20scan_config_selectorIsEEZZNS1_9scan_implILNS1_25lookback_scan_determinismE0ELb1ELb1ES3_N6thrust23THRUST_200600_302600_NS6detail15normal_iteratorINS9_10device_ptrIsEEEENS9_16discard_iteratorINS9_11use_defaultEEEs11max_functorIsEsEEDaPvRmT3_T4_T5_mT6_P12ihipStream_tbENKUlT_T0_E_clISt17integral_constantIbLb0EESX_EEDaSS_ST_EUlSS_E_NS1_11comp_targetILNS1_3genE8ELNS1_11target_archE1030ELNS1_3gpuE2ELNS1_3repE0EEENS1_30default_config_static_selectorELNS0_4arch9wavefront6targetE1EEEvT1_ ; -- Begin function _ZN7rocprim17ROCPRIM_400000_NS6detail17trampoline_kernelINS0_14default_configENS1_20scan_config_selectorIsEEZZNS1_9scan_implILNS1_25lookback_scan_determinismE0ELb1ELb1ES3_N6thrust23THRUST_200600_302600_NS6detail15normal_iteratorINS9_10device_ptrIsEEEENS9_16discard_iteratorINS9_11use_defaultEEEs11max_functorIsEsEEDaPvRmT3_T4_T5_mT6_P12ihipStream_tbENKUlT_T0_E_clISt17integral_constantIbLb0EESX_EEDaSS_ST_EUlSS_E_NS1_11comp_targetILNS1_3genE8ELNS1_11target_archE1030ELNS1_3gpuE2ELNS1_3repE0EEENS1_30default_config_static_selectorELNS0_4arch9wavefront6targetE1EEEvT1_
	.globl	_ZN7rocprim17ROCPRIM_400000_NS6detail17trampoline_kernelINS0_14default_configENS1_20scan_config_selectorIsEEZZNS1_9scan_implILNS1_25lookback_scan_determinismE0ELb1ELb1ES3_N6thrust23THRUST_200600_302600_NS6detail15normal_iteratorINS9_10device_ptrIsEEEENS9_16discard_iteratorINS9_11use_defaultEEEs11max_functorIsEsEEDaPvRmT3_T4_T5_mT6_P12ihipStream_tbENKUlT_T0_E_clISt17integral_constantIbLb0EESX_EEDaSS_ST_EUlSS_E_NS1_11comp_targetILNS1_3genE8ELNS1_11target_archE1030ELNS1_3gpuE2ELNS1_3repE0EEENS1_30default_config_static_selectorELNS0_4arch9wavefront6targetE1EEEvT1_
	.p2align	8
	.type	_ZN7rocprim17ROCPRIM_400000_NS6detail17trampoline_kernelINS0_14default_configENS1_20scan_config_selectorIsEEZZNS1_9scan_implILNS1_25lookback_scan_determinismE0ELb1ELb1ES3_N6thrust23THRUST_200600_302600_NS6detail15normal_iteratorINS9_10device_ptrIsEEEENS9_16discard_iteratorINS9_11use_defaultEEEs11max_functorIsEsEEDaPvRmT3_T4_T5_mT6_P12ihipStream_tbENKUlT_T0_E_clISt17integral_constantIbLb0EESX_EEDaSS_ST_EUlSS_E_NS1_11comp_targetILNS1_3genE8ELNS1_11target_archE1030ELNS1_3gpuE2ELNS1_3repE0EEENS1_30default_config_static_selectorELNS0_4arch9wavefront6targetE1EEEvT1_,@function
_ZN7rocprim17ROCPRIM_400000_NS6detail17trampoline_kernelINS0_14default_configENS1_20scan_config_selectorIsEEZZNS1_9scan_implILNS1_25lookback_scan_determinismE0ELb1ELb1ES3_N6thrust23THRUST_200600_302600_NS6detail15normal_iteratorINS9_10device_ptrIsEEEENS9_16discard_iteratorINS9_11use_defaultEEEs11max_functorIsEsEEDaPvRmT3_T4_T5_mT6_P12ihipStream_tbENKUlT_T0_E_clISt17integral_constantIbLb0EESX_EEDaSS_ST_EUlSS_E_NS1_11comp_targetILNS1_3genE8ELNS1_11target_archE1030ELNS1_3gpuE2ELNS1_3repE0EEENS1_30default_config_static_selectorELNS0_4arch9wavefront6targetE1EEEvT1_: ; @_ZN7rocprim17ROCPRIM_400000_NS6detail17trampoline_kernelINS0_14default_configENS1_20scan_config_selectorIsEEZZNS1_9scan_implILNS1_25lookback_scan_determinismE0ELb1ELb1ES3_N6thrust23THRUST_200600_302600_NS6detail15normal_iteratorINS9_10device_ptrIsEEEENS9_16discard_iteratorINS9_11use_defaultEEEs11max_functorIsEsEEDaPvRmT3_T4_T5_mT6_P12ihipStream_tbENKUlT_T0_E_clISt17integral_constantIbLb0EESX_EEDaSS_ST_EUlSS_E_NS1_11comp_targetILNS1_3genE8ELNS1_11target_archE1030ELNS1_3gpuE2ELNS1_3repE0EEENS1_30default_config_static_selectorELNS0_4arch9wavefront6targetE1EEEvT1_
; %bb.0:
	.section	.rodata,"a",@progbits
	.p2align	6, 0x0
	.amdhsa_kernel _ZN7rocprim17ROCPRIM_400000_NS6detail17trampoline_kernelINS0_14default_configENS1_20scan_config_selectorIsEEZZNS1_9scan_implILNS1_25lookback_scan_determinismE0ELb1ELb1ES3_N6thrust23THRUST_200600_302600_NS6detail15normal_iteratorINS9_10device_ptrIsEEEENS9_16discard_iteratorINS9_11use_defaultEEEs11max_functorIsEsEEDaPvRmT3_T4_T5_mT6_P12ihipStream_tbENKUlT_T0_E_clISt17integral_constantIbLb0EESX_EEDaSS_ST_EUlSS_E_NS1_11comp_targetILNS1_3genE8ELNS1_11target_archE1030ELNS1_3gpuE2ELNS1_3repE0EEENS1_30default_config_static_selectorELNS0_4arch9wavefront6targetE1EEEvT1_
		.amdhsa_group_segment_fixed_size 0
		.amdhsa_private_segment_fixed_size 0
		.amdhsa_kernarg_size 104
		.amdhsa_user_sgpr_count 6
		.amdhsa_user_sgpr_private_segment_buffer 1
		.amdhsa_user_sgpr_dispatch_ptr 0
		.amdhsa_user_sgpr_queue_ptr 0
		.amdhsa_user_sgpr_kernarg_segment_ptr 1
		.amdhsa_user_sgpr_dispatch_id 0
		.amdhsa_user_sgpr_flat_scratch_init 0
		.amdhsa_user_sgpr_kernarg_preload_length 0
		.amdhsa_user_sgpr_kernarg_preload_offset 0
		.amdhsa_user_sgpr_private_segment_size 0
		.amdhsa_uses_dynamic_stack 0
		.amdhsa_system_sgpr_private_segment_wavefront_offset 0
		.amdhsa_system_sgpr_workgroup_id_x 1
		.amdhsa_system_sgpr_workgroup_id_y 0
		.amdhsa_system_sgpr_workgroup_id_z 0
		.amdhsa_system_sgpr_workgroup_info 0
		.amdhsa_system_vgpr_workitem_id 0
		.amdhsa_next_free_vgpr 1
		.amdhsa_next_free_sgpr 0
		.amdhsa_accum_offset 4
		.amdhsa_reserve_vcc 0
		.amdhsa_reserve_flat_scratch 0
		.amdhsa_float_round_mode_32 0
		.amdhsa_float_round_mode_16_64 0
		.amdhsa_float_denorm_mode_32 3
		.amdhsa_float_denorm_mode_16_64 3
		.amdhsa_dx10_clamp 1
		.amdhsa_ieee_mode 1
		.amdhsa_fp16_overflow 0
		.amdhsa_tg_split 0
		.amdhsa_exception_fp_ieee_invalid_op 0
		.amdhsa_exception_fp_denorm_src 0
		.amdhsa_exception_fp_ieee_div_zero 0
		.amdhsa_exception_fp_ieee_overflow 0
		.amdhsa_exception_fp_ieee_underflow 0
		.amdhsa_exception_fp_ieee_inexact 0
		.amdhsa_exception_int_div_zero 0
	.end_amdhsa_kernel
	.section	.text._ZN7rocprim17ROCPRIM_400000_NS6detail17trampoline_kernelINS0_14default_configENS1_20scan_config_selectorIsEEZZNS1_9scan_implILNS1_25lookback_scan_determinismE0ELb1ELb1ES3_N6thrust23THRUST_200600_302600_NS6detail15normal_iteratorINS9_10device_ptrIsEEEENS9_16discard_iteratorINS9_11use_defaultEEEs11max_functorIsEsEEDaPvRmT3_T4_T5_mT6_P12ihipStream_tbENKUlT_T0_E_clISt17integral_constantIbLb0EESX_EEDaSS_ST_EUlSS_E_NS1_11comp_targetILNS1_3genE8ELNS1_11target_archE1030ELNS1_3gpuE2ELNS1_3repE0EEENS1_30default_config_static_selectorELNS0_4arch9wavefront6targetE1EEEvT1_,"axG",@progbits,_ZN7rocprim17ROCPRIM_400000_NS6detail17trampoline_kernelINS0_14default_configENS1_20scan_config_selectorIsEEZZNS1_9scan_implILNS1_25lookback_scan_determinismE0ELb1ELb1ES3_N6thrust23THRUST_200600_302600_NS6detail15normal_iteratorINS9_10device_ptrIsEEEENS9_16discard_iteratorINS9_11use_defaultEEEs11max_functorIsEsEEDaPvRmT3_T4_T5_mT6_P12ihipStream_tbENKUlT_T0_E_clISt17integral_constantIbLb0EESX_EEDaSS_ST_EUlSS_E_NS1_11comp_targetILNS1_3genE8ELNS1_11target_archE1030ELNS1_3gpuE2ELNS1_3repE0EEENS1_30default_config_static_selectorELNS0_4arch9wavefront6targetE1EEEvT1_,comdat
.Lfunc_end4078:
	.size	_ZN7rocprim17ROCPRIM_400000_NS6detail17trampoline_kernelINS0_14default_configENS1_20scan_config_selectorIsEEZZNS1_9scan_implILNS1_25lookback_scan_determinismE0ELb1ELb1ES3_N6thrust23THRUST_200600_302600_NS6detail15normal_iteratorINS9_10device_ptrIsEEEENS9_16discard_iteratorINS9_11use_defaultEEEs11max_functorIsEsEEDaPvRmT3_T4_T5_mT6_P12ihipStream_tbENKUlT_T0_E_clISt17integral_constantIbLb0EESX_EEDaSS_ST_EUlSS_E_NS1_11comp_targetILNS1_3genE8ELNS1_11target_archE1030ELNS1_3gpuE2ELNS1_3repE0EEENS1_30default_config_static_selectorELNS0_4arch9wavefront6targetE1EEEvT1_, .Lfunc_end4078-_ZN7rocprim17ROCPRIM_400000_NS6detail17trampoline_kernelINS0_14default_configENS1_20scan_config_selectorIsEEZZNS1_9scan_implILNS1_25lookback_scan_determinismE0ELb1ELb1ES3_N6thrust23THRUST_200600_302600_NS6detail15normal_iteratorINS9_10device_ptrIsEEEENS9_16discard_iteratorINS9_11use_defaultEEEs11max_functorIsEsEEDaPvRmT3_T4_T5_mT6_P12ihipStream_tbENKUlT_T0_E_clISt17integral_constantIbLb0EESX_EEDaSS_ST_EUlSS_E_NS1_11comp_targetILNS1_3genE8ELNS1_11target_archE1030ELNS1_3gpuE2ELNS1_3repE0EEENS1_30default_config_static_selectorELNS0_4arch9wavefront6targetE1EEEvT1_
                                        ; -- End function
	.section	.AMDGPU.csdata,"",@progbits
; Kernel info:
; codeLenInByte = 0
; NumSgprs: 4
; NumVgprs: 0
; NumAgprs: 0
; TotalNumVgprs: 0
; ScratchSize: 0
; MemoryBound: 0
; FloatMode: 240
; IeeeMode: 1
; LDSByteSize: 0 bytes/workgroup (compile time only)
; SGPRBlocks: 0
; VGPRBlocks: 0
; NumSGPRsForWavesPerEU: 4
; NumVGPRsForWavesPerEU: 1
; AccumOffset: 4
; Occupancy: 8
; WaveLimiterHint : 0
; COMPUTE_PGM_RSRC2:SCRATCH_EN: 0
; COMPUTE_PGM_RSRC2:USER_SGPR: 6
; COMPUTE_PGM_RSRC2:TRAP_HANDLER: 0
; COMPUTE_PGM_RSRC2:TGID_X_EN: 1
; COMPUTE_PGM_RSRC2:TGID_Y_EN: 0
; COMPUTE_PGM_RSRC2:TGID_Z_EN: 0
; COMPUTE_PGM_RSRC2:TIDIG_COMP_CNT: 0
; COMPUTE_PGM_RSRC3_GFX90A:ACCUM_OFFSET: 0
; COMPUTE_PGM_RSRC3_GFX90A:TG_SPLIT: 0
	.section	.text._ZN7rocprim17ROCPRIM_400000_NS6detail17trampoline_kernelINS0_14default_configENS1_20scan_config_selectorIsEEZZNS1_9scan_implILNS1_25lookback_scan_determinismE0ELb1ELb1ES3_N6thrust23THRUST_200600_302600_NS6detail15normal_iteratorINS9_10device_ptrIsEEEENS9_16discard_iteratorINS9_11use_defaultEEEs11max_functorIsEsEEDaPvRmT3_T4_T5_mT6_P12ihipStream_tbENKUlT_T0_E_clISt17integral_constantIbLb0EESX_EEDaSS_ST_EUlSS_E0_NS1_11comp_targetILNS1_3genE0ELNS1_11target_archE4294967295ELNS1_3gpuE0ELNS1_3repE0EEENS1_30default_config_static_selectorELNS0_4arch9wavefront6targetE1EEEvT1_,"axG",@progbits,_ZN7rocprim17ROCPRIM_400000_NS6detail17trampoline_kernelINS0_14default_configENS1_20scan_config_selectorIsEEZZNS1_9scan_implILNS1_25lookback_scan_determinismE0ELb1ELb1ES3_N6thrust23THRUST_200600_302600_NS6detail15normal_iteratorINS9_10device_ptrIsEEEENS9_16discard_iteratorINS9_11use_defaultEEEs11max_functorIsEsEEDaPvRmT3_T4_T5_mT6_P12ihipStream_tbENKUlT_T0_E_clISt17integral_constantIbLb0EESX_EEDaSS_ST_EUlSS_E0_NS1_11comp_targetILNS1_3genE0ELNS1_11target_archE4294967295ELNS1_3gpuE0ELNS1_3repE0EEENS1_30default_config_static_selectorELNS0_4arch9wavefront6targetE1EEEvT1_,comdat
	.protected	_ZN7rocprim17ROCPRIM_400000_NS6detail17trampoline_kernelINS0_14default_configENS1_20scan_config_selectorIsEEZZNS1_9scan_implILNS1_25lookback_scan_determinismE0ELb1ELb1ES3_N6thrust23THRUST_200600_302600_NS6detail15normal_iteratorINS9_10device_ptrIsEEEENS9_16discard_iteratorINS9_11use_defaultEEEs11max_functorIsEsEEDaPvRmT3_T4_T5_mT6_P12ihipStream_tbENKUlT_T0_E_clISt17integral_constantIbLb0EESX_EEDaSS_ST_EUlSS_E0_NS1_11comp_targetILNS1_3genE0ELNS1_11target_archE4294967295ELNS1_3gpuE0ELNS1_3repE0EEENS1_30default_config_static_selectorELNS0_4arch9wavefront6targetE1EEEvT1_ ; -- Begin function _ZN7rocprim17ROCPRIM_400000_NS6detail17trampoline_kernelINS0_14default_configENS1_20scan_config_selectorIsEEZZNS1_9scan_implILNS1_25lookback_scan_determinismE0ELb1ELb1ES3_N6thrust23THRUST_200600_302600_NS6detail15normal_iteratorINS9_10device_ptrIsEEEENS9_16discard_iteratorINS9_11use_defaultEEEs11max_functorIsEsEEDaPvRmT3_T4_T5_mT6_P12ihipStream_tbENKUlT_T0_E_clISt17integral_constantIbLb0EESX_EEDaSS_ST_EUlSS_E0_NS1_11comp_targetILNS1_3genE0ELNS1_11target_archE4294967295ELNS1_3gpuE0ELNS1_3repE0EEENS1_30default_config_static_selectorELNS0_4arch9wavefront6targetE1EEEvT1_
	.globl	_ZN7rocprim17ROCPRIM_400000_NS6detail17trampoline_kernelINS0_14default_configENS1_20scan_config_selectorIsEEZZNS1_9scan_implILNS1_25lookback_scan_determinismE0ELb1ELb1ES3_N6thrust23THRUST_200600_302600_NS6detail15normal_iteratorINS9_10device_ptrIsEEEENS9_16discard_iteratorINS9_11use_defaultEEEs11max_functorIsEsEEDaPvRmT3_T4_T5_mT6_P12ihipStream_tbENKUlT_T0_E_clISt17integral_constantIbLb0EESX_EEDaSS_ST_EUlSS_E0_NS1_11comp_targetILNS1_3genE0ELNS1_11target_archE4294967295ELNS1_3gpuE0ELNS1_3repE0EEENS1_30default_config_static_selectorELNS0_4arch9wavefront6targetE1EEEvT1_
	.p2align	8
	.type	_ZN7rocprim17ROCPRIM_400000_NS6detail17trampoline_kernelINS0_14default_configENS1_20scan_config_selectorIsEEZZNS1_9scan_implILNS1_25lookback_scan_determinismE0ELb1ELb1ES3_N6thrust23THRUST_200600_302600_NS6detail15normal_iteratorINS9_10device_ptrIsEEEENS9_16discard_iteratorINS9_11use_defaultEEEs11max_functorIsEsEEDaPvRmT3_T4_T5_mT6_P12ihipStream_tbENKUlT_T0_E_clISt17integral_constantIbLb0EESX_EEDaSS_ST_EUlSS_E0_NS1_11comp_targetILNS1_3genE0ELNS1_11target_archE4294967295ELNS1_3gpuE0ELNS1_3repE0EEENS1_30default_config_static_selectorELNS0_4arch9wavefront6targetE1EEEvT1_,@function
_ZN7rocprim17ROCPRIM_400000_NS6detail17trampoline_kernelINS0_14default_configENS1_20scan_config_selectorIsEEZZNS1_9scan_implILNS1_25lookback_scan_determinismE0ELb1ELb1ES3_N6thrust23THRUST_200600_302600_NS6detail15normal_iteratorINS9_10device_ptrIsEEEENS9_16discard_iteratorINS9_11use_defaultEEEs11max_functorIsEsEEDaPvRmT3_T4_T5_mT6_P12ihipStream_tbENKUlT_T0_E_clISt17integral_constantIbLb0EESX_EEDaSS_ST_EUlSS_E0_NS1_11comp_targetILNS1_3genE0ELNS1_11target_archE4294967295ELNS1_3gpuE0ELNS1_3repE0EEENS1_30default_config_static_selectorELNS0_4arch9wavefront6targetE1EEEvT1_: ; @_ZN7rocprim17ROCPRIM_400000_NS6detail17trampoline_kernelINS0_14default_configENS1_20scan_config_selectorIsEEZZNS1_9scan_implILNS1_25lookback_scan_determinismE0ELb1ELb1ES3_N6thrust23THRUST_200600_302600_NS6detail15normal_iteratorINS9_10device_ptrIsEEEENS9_16discard_iteratorINS9_11use_defaultEEEs11max_functorIsEsEEDaPvRmT3_T4_T5_mT6_P12ihipStream_tbENKUlT_T0_E_clISt17integral_constantIbLb0EESX_EEDaSS_ST_EUlSS_E0_NS1_11comp_targetILNS1_3genE0ELNS1_11target_archE4294967295ELNS1_3gpuE0ELNS1_3repE0EEENS1_30default_config_static_selectorELNS0_4arch9wavefront6targetE1EEEvT1_
; %bb.0:
	.section	.rodata,"a",@progbits
	.p2align	6, 0x0
	.amdhsa_kernel _ZN7rocprim17ROCPRIM_400000_NS6detail17trampoline_kernelINS0_14default_configENS1_20scan_config_selectorIsEEZZNS1_9scan_implILNS1_25lookback_scan_determinismE0ELb1ELb1ES3_N6thrust23THRUST_200600_302600_NS6detail15normal_iteratorINS9_10device_ptrIsEEEENS9_16discard_iteratorINS9_11use_defaultEEEs11max_functorIsEsEEDaPvRmT3_T4_T5_mT6_P12ihipStream_tbENKUlT_T0_E_clISt17integral_constantIbLb0EESX_EEDaSS_ST_EUlSS_E0_NS1_11comp_targetILNS1_3genE0ELNS1_11target_archE4294967295ELNS1_3gpuE0ELNS1_3repE0EEENS1_30default_config_static_selectorELNS0_4arch9wavefront6targetE1EEEvT1_
		.amdhsa_group_segment_fixed_size 0
		.amdhsa_private_segment_fixed_size 0
		.amdhsa_kernarg_size 40
		.amdhsa_user_sgpr_count 6
		.amdhsa_user_sgpr_private_segment_buffer 1
		.amdhsa_user_sgpr_dispatch_ptr 0
		.amdhsa_user_sgpr_queue_ptr 0
		.amdhsa_user_sgpr_kernarg_segment_ptr 1
		.amdhsa_user_sgpr_dispatch_id 0
		.amdhsa_user_sgpr_flat_scratch_init 0
		.amdhsa_user_sgpr_kernarg_preload_length 0
		.amdhsa_user_sgpr_kernarg_preload_offset 0
		.amdhsa_user_sgpr_private_segment_size 0
		.amdhsa_uses_dynamic_stack 0
		.amdhsa_system_sgpr_private_segment_wavefront_offset 0
		.amdhsa_system_sgpr_workgroup_id_x 1
		.amdhsa_system_sgpr_workgroup_id_y 0
		.amdhsa_system_sgpr_workgroup_id_z 0
		.amdhsa_system_sgpr_workgroup_info 0
		.amdhsa_system_vgpr_workitem_id 0
		.amdhsa_next_free_vgpr 1
		.amdhsa_next_free_sgpr 0
		.amdhsa_accum_offset 4
		.amdhsa_reserve_vcc 0
		.amdhsa_reserve_flat_scratch 0
		.amdhsa_float_round_mode_32 0
		.amdhsa_float_round_mode_16_64 0
		.amdhsa_float_denorm_mode_32 3
		.amdhsa_float_denorm_mode_16_64 3
		.amdhsa_dx10_clamp 1
		.amdhsa_ieee_mode 1
		.amdhsa_fp16_overflow 0
		.amdhsa_tg_split 0
		.amdhsa_exception_fp_ieee_invalid_op 0
		.amdhsa_exception_fp_denorm_src 0
		.amdhsa_exception_fp_ieee_div_zero 0
		.amdhsa_exception_fp_ieee_overflow 0
		.amdhsa_exception_fp_ieee_underflow 0
		.amdhsa_exception_fp_ieee_inexact 0
		.amdhsa_exception_int_div_zero 0
	.end_amdhsa_kernel
	.section	.text._ZN7rocprim17ROCPRIM_400000_NS6detail17trampoline_kernelINS0_14default_configENS1_20scan_config_selectorIsEEZZNS1_9scan_implILNS1_25lookback_scan_determinismE0ELb1ELb1ES3_N6thrust23THRUST_200600_302600_NS6detail15normal_iteratorINS9_10device_ptrIsEEEENS9_16discard_iteratorINS9_11use_defaultEEEs11max_functorIsEsEEDaPvRmT3_T4_T5_mT6_P12ihipStream_tbENKUlT_T0_E_clISt17integral_constantIbLb0EESX_EEDaSS_ST_EUlSS_E0_NS1_11comp_targetILNS1_3genE0ELNS1_11target_archE4294967295ELNS1_3gpuE0ELNS1_3repE0EEENS1_30default_config_static_selectorELNS0_4arch9wavefront6targetE1EEEvT1_,"axG",@progbits,_ZN7rocprim17ROCPRIM_400000_NS6detail17trampoline_kernelINS0_14default_configENS1_20scan_config_selectorIsEEZZNS1_9scan_implILNS1_25lookback_scan_determinismE0ELb1ELb1ES3_N6thrust23THRUST_200600_302600_NS6detail15normal_iteratorINS9_10device_ptrIsEEEENS9_16discard_iteratorINS9_11use_defaultEEEs11max_functorIsEsEEDaPvRmT3_T4_T5_mT6_P12ihipStream_tbENKUlT_T0_E_clISt17integral_constantIbLb0EESX_EEDaSS_ST_EUlSS_E0_NS1_11comp_targetILNS1_3genE0ELNS1_11target_archE4294967295ELNS1_3gpuE0ELNS1_3repE0EEENS1_30default_config_static_selectorELNS0_4arch9wavefront6targetE1EEEvT1_,comdat
.Lfunc_end4079:
	.size	_ZN7rocprim17ROCPRIM_400000_NS6detail17trampoline_kernelINS0_14default_configENS1_20scan_config_selectorIsEEZZNS1_9scan_implILNS1_25lookback_scan_determinismE0ELb1ELb1ES3_N6thrust23THRUST_200600_302600_NS6detail15normal_iteratorINS9_10device_ptrIsEEEENS9_16discard_iteratorINS9_11use_defaultEEEs11max_functorIsEsEEDaPvRmT3_T4_T5_mT6_P12ihipStream_tbENKUlT_T0_E_clISt17integral_constantIbLb0EESX_EEDaSS_ST_EUlSS_E0_NS1_11comp_targetILNS1_3genE0ELNS1_11target_archE4294967295ELNS1_3gpuE0ELNS1_3repE0EEENS1_30default_config_static_selectorELNS0_4arch9wavefront6targetE1EEEvT1_, .Lfunc_end4079-_ZN7rocprim17ROCPRIM_400000_NS6detail17trampoline_kernelINS0_14default_configENS1_20scan_config_selectorIsEEZZNS1_9scan_implILNS1_25lookback_scan_determinismE0ELb1ELb1ES3_N6thrust23THRUST_200600_302600_NS6detail15normal_iteratorINS9_10device_ptrIsEEEENS9_16discard_iteratorINS9_11use_defaultEEEs11max_functorIsEsEEDaPvRmT3_T4_T5_mT6_P12ihipStream_tbENKUlT_T0_E_clISt17integral_constantIbLb0EESX_EEDaSS_ST_EUlSS_E0_NS1_11comp_targetILNS1_3genE0ELNS1_11target_archE4294967295ELNS1_3gpuE0ELNS1_3repE0EEENS1_30default_config_static_selectorELNS0_4arch9wavefront6targetE1EEEvT1_
                                        ; -- End function
	.section	.AMDGPU.csdata,"",@progbits
; Kernel info:
; codeLenInByte = 0
; NumSgprs: 4
; NumVgprs: 0
; NumAgprs: 0
; TotalNumVgprs: 0
; ScratchSize: 0
; MemoryBound: 0
; FloatMode: 240
; IeeeMode: 1
; LDSByteSize: 0 bytes/workgroup (compile time only)
; SGPRBlocks: 0
; VGPRBlocks: 0
; NumSGPRsForWavesPerEU: 4
; NumVGPRsForWavesPerEU: 1
; AccumOffset: 4
; Occupancy: 8
; WaveLimiterHint : 0
; COMPUTE_PGM_RSRC2:SCRATCH_EN: 0
; COMPUTE_PGM_RSRC2:USER_SGPR: 6
; COMPUTE_PGM_RSRC2:TRAP_HANDLER: 0
; COMPUTE_PGM_RSRC2:TGID_X_EN: 1
; COMPUTE_PGM_RSRC2:TGID_Y_EN: 0
; COMPUTE_PGM_RSRC2:TGID_Z_EN: 0
; COMPUTE_PGM_RSRC2:TIDIG_COMP_CNT: 0
; COMPUTE_PGM_RSRC3_GFX90A:ACCUM_OFFSET: 0
; COMPUTE_PGM_RSRC3_GFX90A:TG_SPLIT: 0
	.section	.text._ZN7rocprim17ROCPRIM_400000_NS6detail17trampoline_kernelINS0_14default_configENS1_20scan_config_selectorIsEEZZNS1_9scan_implILNS1_25lookback_scan_determinismE0ELb1ELb1ES3_N6thrust23THRUST_200600_302600_NS6detail15normal_iteratorINS9_10device_ptrIsEEEENS9_16discard_iteratorINS9_11use_defaultEEEs11max_functorIsEsEEDaPvRmT3_T4_T5_mT6_P12ihipStream_tbENKUlT_T0_E_clISt17integral_constantIbLb0EESX_EEDaSS_ST_EUlSS_E0_NS1_11comp_targetILNS1_3genE5ELNS1_11target_archE942ELNS1_3gpuE9ELNS1_3repE0EEENS1_30default_config_static_selectorELNS0_4arch9wavefront6targetE1EEEvT1_,"axG",@progbits,_ZN7rocprim17ROCPRIM_400000_NS6detail17trampoline_kernelINS0_14default_configENS1_20scan_config_selectorIsEEZZNS1_9scan_implILNS1_25lookback_scan_determinismE0ELb1ELb1ES3_N6thrust23THRUST_200600_302600_NS6detail15normal_iteratorINS9_10device_ptrIsEEEENS9_16discard_iteratorINS9_11use_defaultEEEs11max_functorIsEsEEDaPvRmT3_T4_T5_mT6_P12ihipStream_tbENKUlT_T0_E_clISt17integral_constantIbLb0EESX_EEDaSS_ST_EUlSS_E0_NS1_11comp_targetILNS1_3genE5ELNS1_11target_archE942ELNS1_3gpuE9ELNS1_3repE0EEENS1_30default_config_static_selectorELNS0_4arch9wavefront6targetE1EEEvT1_,comdat
	.protected	_ZN7rocprim17ROCPRIM_400000_NS6detail17trampoline_kernelINS0_14default_configENS1_20scan_config_selectorIsEEZZNS1_9scan_implILNS1_25lookback_scan_determinismE0ELb1ELb1ES3_N6thrust23THRUST_200600_302600_NS6detail15normal_iteratorINS9_10device_ptrIsEEEENS9_16discard_iteratorINS9_11use_defaultEEEs11max_functorIsEsEEDaPvRmT3_T4_T5_mT6_P12ihipStream_tbENKUlT_T0_E_clISt17integral_constantIbLb0EESX_EEDaSS_ST_EUlSS_E0_NS1_11comp_targetILNS1_3genE5ELNS1_11target_archE942ELNS1_3gpuE9ELNS1_3repE0EEENS1_30default_config_static_selectorELNS0_4arch9wavefront6targetE1EEEvT1_ ; -- Begin function _ZN7rocprim17ROCPRIM_400000_NS6detail17trampoline_kernelINS0_14default_configENS1_20scan_config_selectorIsEEZZNS1_9scan_implILNS1_25lookback_scan_determinismE0ELb1ELb1ES3_N6thrust23THRUST_200600_302600_NS6detail15normal_iteratorINS9_10device_ptrIsEEEENS9_16discard_iteratorINS9_11use_defaultEEEs11max_functorIsEsEEDaPvRmT3_T4_T5_mT6_P12ihipStream_tbENKUlT_T0_E_clISt17integral_constantIbLb0EESX_EEDaSS_ST_EUlSS_E0_NS1_11comp_targetILNS1_3genE5ELNS1_11target_archE942ELNS1_3gpuE9ELNS1_3repE0EEENS1_30default_config_static_selectorELNS0_4arch9wavefront6targetE1EEEvT1_
	.globl	_ZN7rocprim17ROCPRIM_400000_NS6detail17trampoline_kernelINS0_14default_configENS1_20scan_config_selectorIsEEZZNS1_9scan_implILNS1_25lookback_scan_determinismE0ELb1ELb1ES3_N6thrust23THRUST_200600_302600_NS6detail15normal_iteratorINS9_10device_ptrIsEEEENS9_16discard_iteratorINS9_11use_defaultEEEs11max_functorIsEsEEDaPvRmT3_T4_T5_mT6_P12ihipStream_tbENKUlT_T0_E_clISt17integral_constantIbLb0EESX_EEDaSS_ST_EUlSS_E0_NS1_11comp_targetILNS1_3genE5ELNS1_11target_archE942ELNS1_3gpuE9ELNS1_3repE0EEENS1_30default_config_static_selectorELNS0_4arch9wavefront6targetE1EEEvT1_
	.p2align	8
	.type	_ZN7rocprim17ROCPRIM_400000_NS6detail17trampoline_kernelINS0_14default_configENS1_20scan_config_selectorIsEEZZNS1_9scan_implILNS1_25lookback_scan_determinismE0ELb1ELb1ES3_N6thrust23THRUST_200600_302600_NS6detail15normal_iteratorINS9_10device_ptrIsEEEENS9_16discard_iteratorINS9_11use_defaultEEEs11max_functorIsEsEEDaPvRmT3_T4_T5_mT6_P12ihipStream_tbENKUlT_T0_E_clISt17integral_constantIbLb0EESX_EEDaSS_ST_EUlSS_E0_NS1_11comp_targetILNS1_3genE5ELNS1_11target_archE942ELNS1_3gpuE9ELNS1_3repE0EEENS1_30default_config_static_selectorELNS0_4arch9wavefront6targetE1EEEvT1_,@function
_ZN7rocprim17ROCPRIM_400000_NS6detail17trampoline_kernelINS0_14default_configENS1_20scan_config_selectorIsEEZZNS1_9scan_implILNS1_25lookback_scan_determinismE0ELb1ELb1ES3_N6thrust23THRUST_200600_302600_NS6detail15normal_iteratorINS9_10device_ptrIsEEEENS9_16discard_iteratorINS9_11use_defaultEEEs11max_functorIsEsEEDaPvRmT3_T4_T5_mT6_P12ihipStream_tbENKUlT_T0_E_clISt17integral_constantIbLb0EESX_EEDaSS_ST_EUlSS_E0_NS1_11comp_targetILNS1_3genE5ELNS1_11target_archE942ELNS1_3gpuE9ELNS1_3repE0EEENS1_30default_config_static_selectorELNS0_4arch9wavefront6targetE1EEEvT1_: ; @_ZN7rocprim17ROCPRIM_400000_NS6detail17trampoline_kernelINS0_14default_configENS1_20scan_config_selectorIsEEZZNS1_9scan_implILNS1_25lookback_scan_determinismE0ELb1ELb1ES3_N6thrust23THRUST_200600_302600_NS6detail15normal_iteratorINS9_10device_ptrIsEEEENS9_16discard_iteratorINS9_11use_defaultEEEs11max_functorIsEsEEDaPvRmT3_T4_T5_mT6_P12ihipStream_tbENKUlT_T0_E_clISt17integral_constantIbLb0EESX_EEDaSS_ST_EUlSS_E0_NS1_11comp_targetILNS1_3genE5ELNS1_11target_archE942ELNS1_3gpuE9ELNS1_3repE0EEENS1_30default_config_static_selectorELNS0_4arch9wavefront6targetE1EEEvT1_
; %bb.0:
	.section	.rodata,"a",@progbits
	.p2align	6, 0x0
	.amdhsa_kernel _ZN7rocprim17ROCPRIM_400000_NS6detail17trampoline_kernelINS0_14default_configENS1_20scan_config_selectorIsEEZZNS1_9scan_implILNS1_25lookback_scan_determinismE0ELb1ELb1ES3_N6thrust23THRUST_200600_302600_NS6detail15normal_iteratorINS9_10device_ptrIsEEEENS9_16discard_iteratorINS9_11use_defaultEEEs11max_functorIsEsEEDaPvRmT3_T4_T5_mT6_P12ihipStream_tbENKUlT_T0_E_clISt17integral_constantIbLb0EESX_EEDaSS_ST_EUlSS_E0_NS1_11comp_targetILNS1_3genE5ELNS1_11target_archE942ELNS1_3gpuE9ELNS1_3repE0EEENS1_30default_config_static_selectorELNS0_4arch9wavefront6targetE1EEEvT1_
		.amdhsa_group_segment_fixed_size 0
		.amdhsa_private_segment_fixed_size 0
		.amdhsa_kernarg_size 40
		.amdhsa_user_sgpr_count 6
		.amdhsa_user_sgpr_private_segment_buffer 1
		.amdhsa_user_sgpr_dispatch_ptr 0
		.amdhsa_user_sgpr_queue_ptr 0
		.amdhsa_user_sgpr_kernarg_segment_ptr 1
		.amdhsa_user_sgpr_dispatch_id 0
		.amdhsa_user_sgpr_flat_scratch_init 0
		.amdhsa_user_sgpr_kernarg_preload_length 0
		.amdhsa_user_sgpr_kernarg_preload_offset 0
		.amdhsa_user_sgpr_private_segment_size 0
		.amdhsa_uses_dynamic_stack 0
		.amdhsa_system_sgpr_private_segment_wavefront_offset 0
		.amdhsa_system_sgpr_workgroup_id_x 1
		.amdhsa_system_sgpr_workgroup_id_y 0
		.amdhsa_system_sgpr_workgroup_id_z 0
		.amdhsa_system_sgpr_workgroup_info 0
		.amdhsa_system_vgpr_workitem_id 0
		.amdhsa_next_free_vgpr 1
		.amdhsa_next_free_sgpr 0
		.amdhsa_accum_offset 4
		.amdhsa_reserve_vcc 0
		.amdhsa_reserve_flat_scratch 0
		.amdhsa_float_round_mode_32 0
		.amdhsa_float_round_mode_16_64 0
		.amdhsa_float_denorm_mode_32 3
		.amdhsa_float_denorm_mode_16_64 3
		.amdhsa_dx10_clamp 1
		.amdhsa_ieee_mode 1
		.amdhsa_fp16_overflow 0
		.amdhsa_tg_split 0
		.amdhsa_exception_fp_ieee_invalid_op 0
		.amdhsa_exception_fp_denorm_src 0
		.amdhsa_exception_fp_ieee_div_zero 0
		.amdhsa_exception_fp_ieee_overflow 0
		.amdhsa_exception_fp_ieee_underflow 0
		.amdhsa_exception_fp_ieee_inexact 0
		.amdhsa_exception_int_div_zero 0
	.end_amdhsa_kernel
	.section	.text._ZN7rocprim17ROCPRIM_400000_NS6detail17trampoline_kernelINS0_14default_configENS1_20scan_config_selectorIsEEZZNS1_9scan_implILNS1_25lookback_scan_determinismE0ELb1ELb1ES3_N6thrust23THRUST_200600_302600_NS6detail15normal_iteratorINS9_10device_ptrIsEEEENS9_16discard_iteratorINS9_11use_defaultEEEs11max_functorIsEsEEDaPvRmT3_T4_T5_mT6_P12ihipStream_tbENKUlT_T0_E_clISt17integral_constantIbLb0EESX_EEDaSS_ST_EUlSS_E0_NS1_11comp_targetILNS1_3genE5ELNS1_11target_archE942ELNS1_3gpuE9ELNS1_3repE0EEENS1_30default_config_static_selectorELNS0_4arch9wavefront6targetE1EEEvT1_,"axG",@progbits,_ZN7rocprim17ROCPRIM_400000_NS6detail17trampoline_kernelINS0_14default_configENS1_20scan_config_selectorIsEEZZNS1_9scan_implILNS1_25lookback_scan_determinismE0ELb1ELb1ES3_N6thrust23THRUST_200600_302600_NS6detail15normal_iteratorINS9_10device_ptrIsEEEENS9_16discard_iteratorINS9_11use_defaultEEEs11max_functorIsEsEEDaPvRmT3_T4_T5_mT6_P12ihipStream_tbENKUlT_T0_E_clISt17integral_constantIbLb0EESX_EEDaSS_ST_EUlSS_E0_NS1_11comp_targetILNS1_3genE5ELNS1_11target_archE942ELNS1_3gpuE9ELNS1_3repE0EEENS1_30default_config_static_selectorELNS0_4arch9wavefront6targetE1EEEvT1_,comdat
.Lfunc_end4080:
	.size	_ZN7rocprim17ROCPRIM_400000_NS6detail17trampoline_kernelINS0_14default_configENS1_20scan_config_selectorIsEEZZNS1_9scan_implILNS1_25lookback_scan_determinismE0ELb1ELb1ES3_N6thrust23THRUST_200600_302600_NS6detail15normal_iteratorINS9_10device_ptrIsEEEENS9_16discard_iteratorINS9_11use_defaultEEEs11max_functorIsEsEEDaPvRmT3_T4_T5_mT6_P12ihipStream_tbENKUlT_T0_E_clISt17integral_constantIbLb0EESX_EEDaSS_ST_EUlSS_E0_NS1_11comp_targetILNS1_3genE5ELNS1_11target_archE942ELNS1_3gpuE9ELNS1_3repE0EEENS1_30default_config_static_selectorELNS0_4arch9wavefront6targetE1EEEvT1_, .Lfunc_end4080-_ZN7rocprim17ROCPRIM_400000_NS6detail17trampoline_kernelINS0_14default_configENS1_20scan_config_selectorIsEEZZNS1_9scan_implILNS1_25lookback_scan_determinismE0ELb1ELb1ES3_N6thrust23THRUST_200600_302600_NS6detail15normal_iteratorINS9_10device_ptrIsEEEENS9_16discard_iteratorINS9_11use_defaultEEEs11max_functorIsEsEEDaPvRmT3_T4_T5_mT6_P12ihipStream_tbENKUlT_T0_E_clISt17integral_constantIbLb0EESX_EEDaSS_ST_EUlSS_E0_NS1_11comp_targetILNS1_3genE5ELNS1_11target_archE942ELNS1_3gpuE9ELNS1_3repE0EEENS1_30default_config_static_selectorELNS0_4arch9wavefront6targetE1EEEvT1_
                                        ; -- End function
	.section	.AMDGPU.csdata,"",@progbits
; Kernel info:
; codeLenInByte = 0
; NumSgprs: 4
; NumVgprs: 0
; NumAgprs: 0
; TotalNumVgprs: 0
; ScratchSize: 0
; MemoryBound: 0
; FloatMode: 240
; IeeeMode: 1
; LDSByteSize: 0 bytes/workgroup (compile time only)
; SGPRBlocks: 0
; VGPRBlocks: 0
; NumSGPRsForWavesPerEU: 4
; NumVGPRsForWavesPerEU: 1
; AccumOffset: 4
; Occupancy: 8
; WaveLimiterHint : 0
; COMPUTE_PGM_RSRC2:SCRATCH_EN: 0
; COMPUTE_PGM_RSRC2:USER_SGPR: 6
; COMPUTE_PGM_RSRC2:TRAP_HANDLER: 0
; COMPUTE_PGM_RSRC2:TGID_X_EN: 1
; COMPUTE_PGM_RSRC2:TGID_Y_EN: 0
; COMPUTE_PGM_RSRC2:TGID_Z_EN: 0
; COMPUTE_PGM_RSRC2:TIDIG_COMP_CNT: 0
; COMPUTE_PGM_RSRC3_GFX90A:ACCUM_OFFSET: 0
; COMPUTE_PGM_RSRC3_GFX90A:TG_SPLIT: 0
	.section	.text._ZN7rocprim17ROCPRIM_400000_NS6detail17trampoline_kernelINS0_14default_configENS1_20scan_config_selectorIsEEZZNS1_9scan_implILNS1_25lookback_scan_determinismE0ELb1ELb1ES3_N6thrust23THRUST_200600_302600_NS6detail15normal_iteratorINS9_10device_ptrIsEEEENS9_16discard_iteratorINS9_11use_defaultEEEs11max_functorIsEsEEDaPvRmT3_T4_T5_mT6_P12ihipStream_tbENKUlT_T0_E_clISt17integral_constantIbLb0EESX_EEDaSS_ST_EUlSS_E0_NS1_11comp_targetILNS1_3genE4ELNS1_11target_archE910ELNS1_3gpuE8ELNS1_3repE0EEENS1_30default_config_static_selectorELNS0_4arch9wavefront6targetE1EEEvT1_,"axG",@progbits,_ZN7rocprim17ROCPRIM_400000_NS6detail17trampoline_kernelINS0_14default_configENS1_20scan_config_selectorIsEEZZNS1_9scan_implILNS1_25lookback_scan_determinismE0ELb1ELb1ES3_N6thrust23THRUST_200600_302600_NS6detail15normal_iteratorINS9_10device_ptrIsEEEENS9_16discard_iteratorINS9_11use_defaultEEEs11max_functorIsEsEEDaPvRmT3_T4_T5_mT6_P12ihipStream_tbENKUlT_T0_E_clISt17integral_constantIbLb0EESX_EEDaSS_ST_EUlSS_E0_NS1_11comp_targetILNS1_3genE4ELNS1_11target_archE910ELNS1_3gpuE8ELNS1_3repE0EEENS1_30default_config_static_selectorELNS0_4arch9wavefront6targetE1EEEvT1_,comdat
	.protected	_ZN7rocprim17ROCPRIM_400000_NS6detail17trampoline_kernelINS0_14default_configENS1_20scan_config_selectorIsEEZZNS1_9scan_implILNS1_25lookback_scan_determinismE0ELb1ELb1ES3_N6thrust23THRUST_200600_302600_NS6detail15normal_iteratorINS9_10device_ptrIsEEEENS9_16discard_iteratorINS9_11use_defaultEEEs11max_functorIsEsEEDaPvRmT3_T4_T5_mT6_P12ihipStream_tbENKUlT_T0_E_clISt17integral_constantIbLb0EESX_EEDaSS_ST_EUlSS_E0_NS1_11comp_targetILNS1_3genE4ELNS1_11target_archE910ELNS1_3gpuE8ELNS1_3repE0EEENS1_30default_config_static_selectorELNS0_4arch9wavefront6targetE1EEEvT1_ ; -- Begin function _ZN7rocprim17ROCPRIM_400000_NS6detail17trampoline_kernelINS0_14default_configENS1_20scan_config_selectorIsEEZZNS1_9scan_implILNS1_25lookback_scan_determinismE0ELb1ELb1ES3_N6thrust23THRUST_200600_302600_NS6detail15normal_iteratorINS9_10device_ptrIsEEEENS9_16discard_iteratorINS9_11use_defaultEEEs11max_functorIsEsEEDaPvRmT3_T4_T5_mT6_P12ihipStream_tbENKUlT_T0_E_clISt17integral_constantIbLb0EESX_EEDaSS_ST_EUlSS_E0_NS1_11comp_targetILNS1_3genE4ELNS1_11target_archE910ELNS1_3gpuE8ELNS1_3repE0EEENS1_30default_config_static_selectorELNS0_4arch9wavefront6targetE1EEEvT1_
	.globl	_ZN7rocprim17ROCPRIM_400000_NS6detail17trampoline_kernelINS0_14default_configENS1_20scan_config_selectorIsEEZZNS1_9scan_implILNS1_25lookback_scan_determinismE0ELb1ELb1ES3_N6thrust23THRUST_200600_302600_NS6detail15normal_iteratorINS9_10device_ptrIsEEEENS9_16discard_iteratorINS9_11use_defaultEEEs11max_functorIsEsEEDaPvRmT3_T4_T5_mT6_P12ihipStream_tbENKUlT_T0_E_clISt17integral_constantIbLb0EESX_EEDaSS_ST_EUlSS_E0_NS1_11comp_targetILNS1_3genE4ELNS1_11target_archE910ELNS1_3gpuE8ELNS1_3repE0EEENS1_30default_config_static_selectorELNS0_4arch9wavefront6targetE1EEEvT1_
	.p2align	8
	.type	_ZN7rocprim17ROCPRIM_400000_NS6detail17trampoline_kernelINS0_14default_configENS1_20scan_config_selectorIsEEZZNS1_9scan_implILNS1_25lookback_scan_determinismE0ELb1ELb1ES3_N6thrust23THRUST_200600_302600_NS6detail15normal_iteratorINS9_10device_ptrIsEEEENS9_16discard_iteratorINS9_11use_defaultEEEs11max_functorIsEsEEDaPvRmT3_T4_T5_mT6_P12ihipStream_tbENKUlT_T0_E_clISt17integral_constantIbLb0EESX_EEDaSS_ST_EUlSS_E0_NS1_11comp_targetILNS1_3genE4ELNS1_11target_archE910ELNS1_3gpuE8ELNS1_3repE0EEENS1_30default_config_static_selectorELNS0_4arch9wavefront6targetE1EEEvT1_,@function
_ZN7rocprim17ROCPRIM_400000_NS6detail17trampoline_kernelINS0_14default_configENS1_20scan_config_selectorIsEEZZNS1_9scan_implILNS1_25lookback_scan_determinismE0ELb1ELb1ES3_N6thrust23THRUST_200600_302600_NS6detail15normal_iteratorINS9_10device_ptrIsEEEENS9_16discard_iteratorINS9_11use_defaultEEEs11max_functorIsEsEEDaPvRmT3_T4_T5_mT6_P12ihipStream_tbENKUlT_T0_E_clISt17integral_constantIbLb0EESX_EEDaSS_ST_EUlSS_E0_NS1_11comp_targetILNS1_3genE4ELNS1_11target_archE910ELNS1_3gpuE8ELNS1_3repE0EEENS1_30default_config_static_selectorELNS0_4arch9wavefront6targetE1EEEvT1_: ; @_ZN7rocprim17ROCPRIM_400000_NS6detail17trampoline_kernelINS0_14default_configENS1_20scan_config_selectorIsEEZZNS1_9scan_implILNS1_25lookback_scan_determinismE0ELb1ELb1ES3_N6thrust23THRUST_200600_302600_NS6detail15normal_iteratorINS9_10device_ptrIsEEEENS9_16discard_iteratorINS9_11use_defaultEEEs11max_functorIsEsEEDaPvRmT3_T4_T5_mT6_P12ihipStream_tbENKUlT_T0_E_clISt17integral_constantIbLb0EESX_EEDaSS_ST_EUlSS_E0_NS1_11comp_targetILNS1_3genE4ELNS1_11target_archE910ELNS1_3gpuE8ELNS1_3repE0EEENS1_30default_config_static_selectorELNS0_4arch9wavefront6targetE1EEEvT1_
; %bb.0:
	s_load_dwordx4 s[0:3], s[4:5], 0x0
	v_mov_b32_e32 v1, 0
	s_waitcnt lgkmcnt(0)
	global_load_ushort v2, v1, s[0:1]
	v_cmp_gt_u32_e32 vcc, s2, v0
	v_lshlrev_b32_e32 v1, 1, v0
	s_waitcnt vmcnt(0)
	v_mov_b32_e32 v3, v2
	s_and_saveexec_b64 s[6:7], vcc
	s_cbranch_execz .LBB4081_2
; %bb.1:
	global_load_ushort v3, v1, s[0:1]
.LBB4081_2:
	s_or_b64 exec, exec, s[6:7]
	v_or_b32_e32 v4, 64, v0
	v_cmp_gt_u32_e32 vcc, s2, v4
	v_mov_b32_e32 v4, v2
	s_and_saveexec_b64 s[6:7], vcc
	s_cbranch_execz .LBB4081_4
; %bb.3:
	global_load_ushort v4, v1, s[0:1] offset:128
.LBB4081_4:
	s_or_b64 exec, exec, s[6:7]
	v_or_b32_e32 v5, 0x80, v0
	v_cmp_gt_u32_e32 vcc, s2, v5
	v_mov_b32_e32 v5, v2
	s_and_saveexec_b64 s[6:7], vcc
	s_cbranch_execz .LBB4081_6
; %bb.5:
	global_load_ushort v5, v1, s[0:1] offset:256
.LBB4081_6:
	;; [unrolled: 9-line block ×22, first 2 shown]
	s_or_b64 exec, exec, s[6:7]
	s_load_dword s4, s[4:5], 0x10
	v_or_b32_e32 v26, 0x5c0, v0
	v_cmp_gt_u32_e32 vcc, s2, v26
	s_and_saveexec_b64 s[2:3], vcc
	s_cbranch_execz .LBB4081_48
; %bb.47:
	global_load_ushort v2, v1, s[0:1] offset:2944
.LBB4081_48:
	s_or_b64 exec, exec, s[2:3]
	s_waitcnt vmcnt(0)
	ds_write_b16 v1, v3
	ds_write_b16 v1, v4 offset:128
	ds_write_b16 v1, v5 offset:256
	;; [unrolled: 1-line block ×23, first 2 shown]
	v_mad_u32_u24 v2, v0, 46, v1
	s_waitcnt lgkmcnt(0)
	; wave barrier
	s_waitcnt lgkmcnt(0)
	ds_read_b128 v[10:13], v2
	ds_read_b128 v[6:9], v2 offset:16
	ds_read_b128 v[2:5], v2 offset:32
	v_mul_u32_u24_e32 v14, 46, v0
	s_waitcnt lgkmcnt(0)
	; wave barrier
	s_waitcnt lgkmcnt(0)
	v_lshrrev_b32_e32 v24, 16, v11
	v_max_i16_sdwa v26, v10, v10 dst_sel:DWORD dst_unused:UNUSED_PAD src0_sel:DWORD src1_sel:WORD_1
	v_lshrrev_b32_e32 v23, 16, v12
	v_max3_i16 v26, v26, v11, v24
	v_lshrrev_b32_e32 v22, 16, v13
	v_max3_i16 v26, v26, v12, v23
	;; [unrolled: 2-line block ×10, first 2 shown]
	v_max3_i16 v26, v26, v5, v25
	v_mbcnt_lo_u32_b32 v25, -1, 0
	v_mbcnt_hi_u32_b32 v25, -1, v25
	v_and_b32_e32 v28, 0xffff, v26
	v_and_b32_e32 v27, 15, v25
	v_cmp_eq_u32_e32 vcc, 0, v27
	v_mov_b32_dpp v28, v28 row_shr:1 row_mask:0xf bank_mask:0xf
	v_max_i16_e32 v28, v28, v26
	v_cndmask_b32_e32 v26, v28, v26, vcc
	v_and_b32_e32 v28, 0xffff, v26
	v_cmp_lt_u32_e32 vcc, 1, v27
	s_nop 0
	v_mov_b32_dpp v28, v28 row_shr:2 row_mask:0xf bank_mask:0xf
	v_max_i16_e32 v28, v28, v26
	v_cndmask_b32_e32 v26, v26, v28, vcc
	v_and_b32_e32 v28, 0xffff, v26
	v_cmp_lt_u32_e32 vcc, 3, v27
	s_nop 0
	;; [unrolled: 6-line block ×3, first 2 shown]
	v_mov_b32_dpp v28, v28 row_shr:8 row_mask:0xf bank_mask:0xf
	v_max_i16_e32 v28, v28, v26
	v_cndmask_b32_e32 v26, v26, v28, vcc
	v_and_b32_e32 v27, 0xffff, v26
	v_and_b32_e32 v28, 16, v25
	v_cmp_eq_u32_e32 vcc, 0, v28
	v_mov_b32_dpp v27, v27 row_bcast:15 row_mask:0xf bank_mask:0xf
	v_max_i16_e32 v27, v27, v26
	v_cndmask_b32_e32 v26, v27, v26, vcc
	v_and_b32_e32 v27, 0xffff, v26
	v_cmp_lt_u32_e32 vcc, 31, v25
	s_nop 0
	v_mov_b32_dpp v27, v27 row_bcast:31 row_mask:0xf bank_mask:0xf
	v_max_i16_e32 v27, v27, v26
	v_cndmask_b32_e32 v26, v26, v27, vcc
	v_cmp_eq_u32_e32 vcc, 63, v0
	s_and_saveexec_b64 s[0:1], vcc
	s_cbranch_execz .LBB4081_50
; %bb.49:
	v_mov_b32_e32 v27, 0
	ds_write_b16 v27, v26
.LBB4081_50:
	s_or_b64 exec, exec, s[0:1]
	v_add_u32_e32 v27, -1, v25
	v_and_b32_e32 v28, 64, v25
	v_cmp_lt_i32_e32 vcc, v27, v28
	v_cndmask_b32_e32 v27, v27, v25, vcc
	v_max_i16_e32 v26, s4, v26
	v_lshlrev_b32_e32 v27, 2, v27
	ds_bpermute_b32 v26, v27, v26
	v_cmp_eq_u32_e32 vcc, 0, v25
	v_cmp_eq_u32_e64 s[0:1], 0, v0
	v_mov_b32_e32 v0, s4
	s_or_b64 vcc, s[0:1], vcc
	s_waitcnt lgkmcnt(0)
	v_cndmask_b32_e32 v0, v26, v0, vcc
	v_max_i16_e32 v25, v0, v10
	v_max_i16_sdwa v10, v25, v10 dst_sel:DWORD dst_unused:UNUSED_PAD src0_sel:DWORD src1_sel:WORD_1
	v_max_i16_e32 v11, v10, v11
	v_max_i16_e32 v24, v11, v24
	;; [unrolled: 1-line block ×19, first 2 shown]
	s_mov_b32 s0, 0x5040100
	v_max_i16_e32 v15, v4, v15
	v_add_u32_e32 v14, v1, v14
	v_perm_b32 v0, v25, v0, s0
	v_perm_b32 v1, v11, v10, s0
	;; [unrolled: 1-line block ×4, first 2 shown]
	s_waitcnt lgkmcnt(0)
	; wave barrier
	v_max_i16_e32 v5, v15, v5
	s_waitcnt lgkmcnt(0)
	; wave barrier
	ds_write_b128 v14, v[0:3]
	v_perm_b32 v0, v6, v22, s0
	v_perm_b32 v1, v7, v21, s0
	;; [unrolled: 1-line block ×4, first 2 shown]
	ds_write_b128 v14, v[0:3] offset:16
	v_perm_b32 v0, v26, v18, s0
	v_perm_b32 v1, v27, v17, s0
	;; [unrolled: 1-line block ×4, first 2 shown]
	ds_write_b128 v14, v[0:3] offset:32
	s_waitcnt lgkmcnt(0)
	; wave barrier
	s_waitcnt lgkmcnt(0)
	s_endpgm
	.section	.rodata,"a",@progbits
	.p2align	6, 0x0
	.amdhsa_kernel _ZN7rocprim17ROCPRIM_400000_NS6detail17trampoline_kernelINS0_14default_configENS1_20scan_config_selectorIsEEZZNS1_9scan_implILNS1_25lookback_scan_determinismE0ELb1ELb1ES3_N6thrust23THRUST_200600_302600_NS6detail15normal_iteratorINS9_10device_ptrIsEEEENS9_16discard_iteratorINS9_11use_defaultEEEs11max_functorIsEsEEDaPvRmT3_T4_T5_mT6_P12ihipStream_tbENKUlT_T0_E_clISt17integral_constantIbLb0EESX_EEDaSS_ST_EUlSS_E0_NS1_11comp_targetILNS1_3genE4ELNS1_11target_archE910ELNS1_3gpuE8ELNS1_3repE0EEENS1_30default_config_static_selectorELNS0_4arch9wavefront6targetE1EEEvT1_
		.amdhsa_group_segment_fixed_size 3072
		.amdhsa_private_segment_fixed_size 0
		.amdhsa_kernarg_size 40
		.amdhsa_user_sgpr_count 6
		.amdhsa_user_sgpr_private_segment_buffer 1
		.amdhsa_user_sgpr_dispatch_ptr 0
		.amdhsa_user_sgpr_queue_ptr 0
		.amdhsa_user_sgpr_kernarg_segment_ptr 1
		.amdhsa_user_sgpr_dispatch_id 0
		.amdhsa_user_sgpr_flat_scratch_init 0
		.amdhsa_user_sgpr_kernarg_preload_length 0
		.amdhsa_user_sgpr_kernarg_preload_offset 0
		.amdhsa_user_sgpr_private_segment_size 0
		.amdhsa_uses_dynamic_stack 0
		.amdhsa_system_sgpr_private_segment_wavefront_offset 0
		.amdhsa_system_sgpr_workgroup_id_x 1
		.amdhsa_system_sgpr_workgroup_id_y 0
		.amdhsa_system_sgpr_workgroup_id_z 0
		.amdhsa_system_sgpr_workgroup_info 0
		.amdhsa_system_vgpr_workitem_id 0
		.amdhsa_next_free_vgpr 29
		.amdhsa_next_free_sgpr 8
		.amdhsa_accum_offset 32
		.amdhsa_reserve_vcc 1
		.amdhsa_reserve_flat_scratch 0
		.amdhsa_float_round_mode_32 0
		.amdhsa_float_round_mode_16_64 0
		.amdhsa_float_denorm_mode_32 3
		.amdhsa_float_denorm_mode_16_64 3
		.amdhsa_dx10_clamp 1
		.amdhsa_ieee_mode 1
		.amdhsa_fp16_overflow 0
		.amdhsa_tg_split 0
		.amdhsa_exception_fp_ieee_invalid_op 0
		.amdhsa_exception_fp_denorm_src 0
		.amdhsa_exception_fp_ieee_div_zero 0
		.amdhsa_exception_fp_ieee_overflow 0
		.amdhsa_exception_fp_ieee_underflow 0
		.amdhsa_exception_fp_ieee_inexact 0
		.amdhsa_exception_int_div_zero 0
	.end_amdhsa_kernel
	.section	.text._ZN7rocprim17ROCPRIM_400000_NS6detail17trampoline_kernelINS0_14default_configENS1_20scan_config_selectorIsEEZZNS1_9scan_implILNS1_25lookback_scan_determinismE0ELb1ELb1ES3_N6thrust23THRUST_200600_302600_NS6detail15normal_iteratorINS9_10device_ptrIsEEEENS9_16discard_iteratorINS9_11use_defaultEEEs11max_functorIsEsEEDaPvRmT3_T4_T5_mT6_P12ihipStream_tbENKUlT_T0_E_clISt17integral_constantIbLb0EESX_EEDaSS_ST_EUlSS_E0_NS1_11comp_targetILNS1_3genE4ELNS1_11target_archE910ELNS1_3gpuE8ELNS1_3repE0EEENS1_30default_config_static_selectorELNS0_4arch9wavefront6targetE1EEEvT1_,"axG",@progbits,_ZN7rocprim17ROCPRIM_400000_NS6detail17trampoline_kernelINS0_14default_configENS1_20scan_config_selectorIsEEZZNS1_9scan_implILNS1_25lookback_scan_determinismE0ELb1ELb1ES3_N6thrust23THRUST_200600_302600_NS6detail15normal_iteratorINS9_10device_ptrIsEEEENS9_16discard_iteratorINS9_11use_defaultEEEs11max_functorIsEsEEDaPvRmT3_T4_T5_mT6_P12ihipStream_tbENKUlT_T0_E_clISt17integral_constantIbLb0EESX_EEDaSS_ST_EUlSS_E0_NS1_11comp_targetILNS1_3genE4ELNS1_11target_archE910ELNS1_3gpuE8ELNS1_3repE0EEENS1_30default_config_static_selectorELNS0_4arch9wavefront6targetE1EEEvT1_,comdat
.Lfunc_end4081:
	.size	_ZN7rocprim17ROCPRIM_400000_NS6detail17trampoline_kernelINS0_14default_configENS1_20scan_config_selectorIsEEZZNS1_9scan_implILNS1_25lookback_scan_determinismE0ELb1ELb1ES3_N6thrust23THRUST_200600_302600_NS6detail15normal_iteratorINS9_10device_ptrIsEEEENS9_16discard_iteratorINS9_11use_defaultEEEs11max_functorIsEsEEDaPvRmT3_T4_T5_mT6_P12ihipStream_tbENKUlT_T0_E_clISt17integral_constantIbLb0EESX_EEDaSS_ST_EUlSS_E0_NS1_11comp_targetILNS1_3genE4ELNS1_11target_archE910ELNS1_3gpuE8ELNS1_3repE0EEENS1_30default_config_static_selectorELNS0_4arch9wavefront6targetE1EEEvT1_, .Lfunc_end4081-_ZN7rocprim17ROCPRIM_400000_NS6detail17trampoline_kernelINS0_14default_configENS1_20scan_config_selectorIsEEZZNS1_9scan_implILNS1_25lookback_scan_determinismE0ELb1ELb1ES3_N6thrust23THRUST_200600_302600_NS6detail15normal_iteratorINS9_10device_ptrIsEEEENS9_16discard_iteratorINS9_11use_defaultEEEs11max_functorIsEsEEDaPvRmT3_T4_T5_mT6_P12ihipStream_tbENKUlT_T0_E_clISt17integral_constantIbLb0EESX_EEDaSS_ST_EUlSS_E0_NS1_11comp_targetILNS1_3genE4ELNS1_11target_archE910ELNS1_3gpuE8ELNS1_3repE0EEENS1_30default_config_static_selectorELNS0_4arch9wavefront6targetE1EEEvT1_
                                        ; -- End function
	.section	.AMDGPU.csdata,"",@progbits
; Kernel info:
; codeLenInByte = 1820
; NumSgprs: 12
; NumVgprs: 29
; NumAgprs: 0
; TotalNumVgprs: 29
; ScratchSize: 0
; MemoryBound: 0
; FloatMode: 240
; IeeeMode: 1
; LDSByteSize: 3072 bytes/workgroup (compile time only)
; SGPRBlocks: 1
; VGPRBlocks: 3
; NumSGPRsForWavesPerEU: 12
; NumVGPRsForWavesPerEU: 29
; AccumOffset: 32
; Occupancy: 6
; WaveLimiterHint : 0
; COMPUTE_PGM_RSRC2:SCRATCH_EN: 0
; COMPUTE_PGM_RSRC2:USER_SGPR: 6
; COMPUTE_PGM_RSRC2:TRAP_HANDLER: 0
; COMPUTE_PGM_RSRC2:TGID_X_EN: 1
; COMPUTE_PGM_RSRC2:TGID_Y_EN: 0
; COMPUTE_PGM_RSRC2:TGID_Z_EN: 0
; COMPUTE_PGM_RSRC2:TIDIG_COMP_CNT: 0
; COMPUTE_PGM_RSRC3_GFX90A:ACCUM_OFFSET: 7
; COMPUTE_PGM_RSRC3_GFX90A:TG_SPLIT: 0
	.section	.text._ZN7rocprim17ROCPRIM_400000_NS6detail17trampoline_kernelINS0_14default_configENS1_20scan_config_selectorIsEEZZNS1_9scan_implILNS1_25lookback_scan_determinismE0ELb1ELb1ES3_N6thrust23THRUST_200600_302600_NS6detail15normal_iteratorINS9_10device_ptrIsEEEENS9_16discard_iteratorINS9_11use_defaultEEEs11max_functorIsEsEEDaPvRmT3_T4_T5_mT6_P12ihipStream_tbENKUlT_T0_E_clISt17integral_constantIbLb0EESX_EEDaSS_ST_EUlSS_E0_NS1_11comp_targetILNS1_3genE3ELNS1_11target_archE908ELNS1_3gpuE7ELNS1_3repE0EEENS1_30default_config_static_selectorELNS0_4arch9wavefront6targetE1EEEvT1_,"axG",@progbits,_ZN7rocprim17ROCPRIM_400000_NS6detail17trampoline_kernelINS0_14default_configENS1_20scan_config_selectorIsEEZZNS1_9scan_implILNS1_25lookback_scan_determinismE0ELb1ELb1ES3_N6thrust23THRUST_200600_302600_NS6detail15normal_iteratorINS9_10device_ptrIsEEEENS9_16discard_iteratorINS9_11use_defaultEEEs11max_functorIsEsEEDaPvRmT3_T4_T5_mT6_P12ihipStream_tbENKUlT_T0_E_clISt17integral_constantIbLb0EESX_EEDaSS_ST_EUlSS_E0_NS1_11comp_targetILNS1_3genE3ELNS1_11target_archE908ELNS1_3gpuE7ELNS1_3repE0EEENS1_30default_config_static_selectorELNS0_4arch9wavefront6targetE1EEEvT1_,comdat
	.protected	_ZN7rocprim17ROCPRIM_400000_NS6detail17trampoline_kernelINS0_14default_configENS1_20scan_config_selectorIsEEZZNS1_9scan_implILNS1_25lookback_scan_determinismE0ELb1ELb1ES3_N6thrust23THRUST_200600_302600_NS6detail15normal_iteratorINS9_10device_ptrIsEEEENS9_16discard_iteratorINS9_11use_defaultEEEs11max_functorIsEsEEDaPvRmT3_T4_T5_mT6_P12ihipStream_tbENKUlT_T0_E_clISt17integral_constantIbLb0EESX_EEDaSS_ST_EUlSS_E0_NS1_11comp_targetILNS1_3genE3ELNS1_11target_archE908ELNS1_3gpuE7ELNS1_3repE0EEENS1_30default_config_static_selectorELNS0_4arch9wavefront6targetE1EEEvT1_ ; -- Begin function _ZN7rocprim17ROCPRIM_400000_NS6detail17trampoline_kernelINS0_14default_configENS1_20scan_config_selectorIsEEZZNS1_9scan_implILNS1_25lookback_scan_determinismE0ELb1ELb1ES3_N6thrust23THRUST_200600_302600_NS6detail15normal_iteratorINS9_10device_ptrIsEEEENS9_16discard_iteratorINS9_11use_defaultEEEs11max_functorIsEsEEDaPvRmT3_T4_T5_mT6_P12ihipStream_tbENKUlT_T0_E_clISt17integral_constantIbLb0EESX_EEDaSS_ST_EUlSS_E0_NS1_11comp_targetILNS1_3genE3ELNS1_11target_archE908ELNS1_3gpuE7ELNS1_3repE0EEENS1_30default_config_static_selectorELNS0_4arch9wavefront6targetE1EEEvT1_
	.globl	_ZN7rocprim17ROCPRIM_400000_NS6detail17trampoline_kernelINS0_14default_configENS1_20scan_config_selectorIsEEZZNS1_9scan_implILNS1_25lookback_scan_determinismE0ELb1ELb1ES3_N6thrust23THRUST_200600_302600_NS6detail15normal_iteratorINS9_10device_ptrIsEEEENS9_16discard_iteratorINS9_11use_defaultEEEs11max_functorIsEsEEDaPvRmT3_T4_T5_mT6_P12ihipStream_tbENKUlT_T0_E_clISt17integral_constantIbLb0EESX_EEDaSS_ST_EUlSS_E0_NS1_11comp_targetILNS1_3genE3ELNS1_11target_archE908ELNS1_3gpuE7ELNS1_3repE0EEENS1_30default_config_static_selectorELNS0_4arch9wavefront6targetE1EEEvT1_
	.p2align	8
	.type	_ZN7rocprim17ROCPRIM_400000_NS6detail17trampoline_kernelINS0_14default_configENS1_20scan_config_selectorIsEEZZNS1_9scan_implILNS1_25lookback_scan_determinismE0ELb1ELb1ES3_N6thrust23THRUST_200600_302600_NS6detail15normal_iteratorINS9_10device_ptrIsEEEENS9_16discard_iteratorINS9_11use_defaultEEEs11max_functorIsEsEEDaPvRmT3_T4_T5_mT6_P12ihipStream_tbENKUlT_T0_E_clISt17integral_constantIbLb0EESX_EEDaSS_ST_EUlSS_E0_NS1_11comp_targetILNS1_3genE3ELNS1_11target_archE908ELNS1_3gpuE7ELNS1_3repE0EEENS1_30default_config_static_selectorELNS0_4arch9wavefront6targetE1EEEvT1_,@function
_ZN7rocprim17ROCPRIM_400000_NS6detail17trampoline_kernelINS0_14default_configENS1_20scan_config_selectorIsEEZZNS1_9scan_implILNS1_25lookback_scan_determinismE0ELb1ELb1ES3_N6thrust23THRUST_200600_302600_NS6detail15normal_iteratorINS9_10device_ptrIsEEEENS9_16discard_iteratorINS9_11use_defaultEEEs11max_functorIsEsEEDaPvRmT3_T4_T5_mT6_P12ihipStream_tbENKUlT_T0_E_clISt17integral_constantIbLb0EESX_EEDaSS_ST_EUlSS_E0_NS1_11comp_targetILNS1_3genE3ELNS1_11target_archE908ELNS1_3gpuE7ELNS1_3repE0EEENS1_30default_config_static_selectorELNS0_4arch9wavefront6targetE1EEEvT1_: ; @_ZN7rocprim17ROCPRIM_400000_NS6detail17trampoline_kernelINS0_14default_configENS1_20scan_config_selectorIsEEZZNS1_9scan_implILNS1_25lookback_scan_determinismE0ELb1ELb1ES3_N6thrust23THRUST_200600_302600_NS6detail15normal_iteratorINS9_10device_ptrIsEEEENS9_16discard_iteratorINS9_11use_defaultEEEs11max_functorIsEsEEDaPvRmT3_T4_T5_mT6_P12ihipStream_tbENKUlT_T0_E_clISt17integral_constantIbLb0EESX_EEDaSS_ST_EUlSS_E0_NS1_11comp_targetILNS1_3genE3ELNS1_11target_archE908ELNS1_3gpuE7ELNS1_3repE0EEENS1_30default_config_static_selectorELNS0_4arch9wavefront6targetE1EEEvT1_
; %bb.0:
	.section	.rodata,"a",@progbits
	.p2align	6, 0x0
	.amdhsa_kernel _ZN7rocprim17ROCPRIM_400000_NS6detail17trampoline_kernelINS0_14default_configENS1_20scan_config_selectorIsEEZZNS1_9scan_implILNS1_25lookback_scan_determinismE0ELb1ELb1ES3_N6thrust23THRUST_200600_302600_NS6detail15normal_iteratorINS9_10device_ptrIsEEEENS9_16discard_iteratorINS9_11use_defaultEEEs11max_functorIsEsEEDaPvRmT3_T4_T5_mT6_P12ihipStream_tbENKUlT_T0_E_clISt17integral_constantIbLb0EESX_EEDaSS_ST_EUlSS_E0_NS1_11comp_targetILNS1_3genE3ELNS1_11target_archE908ELNS1_3gpuE7ELNS1_3repE0EEENS1_30default_config_static_selectorELNS0_4arch9wavefront6targetE1EEEvT1_
		.amdhsa_group_segment_fixed_size 0
		.amdhsa_private_segment_fixed_size 0
		.amdhsa_kernarg_size 40
		.amdhsa_user_sgpr_count 6
		.amdhsa_user_sgpr_private_segment_buffer 1
		.amdhsa_user_sgpr_dispatch_ptr 0
		.amdhsa_user_sgpr_queue_ptr 0
		.amdhsa_user_sgpr_kernarg_segment_ptr 1
		.amdhsa_user_sgpr_dispatch_id 0
		.amdhsa_user_sgpr_flat_scratch_init 0
		.amdhsa_user_sgpr_kernarg_preload_length 0
		.amdhsa_user_sgpr_kernarg_preload_offset 0
		.amdhsa_user_sgpr_private_segment_size 0
		.amdhsa_uses_dynamic_stack 0
		.amdhsa_system_sgpr_private_segment_wavefront_offset 0
		.amdhsa_system_sgpr_workgroup_id_x 1
		.amdhsa_system_sgpr_workgroup_id_y 0
		.amdhsa_system_sgpr_workgroup_id_z 0
		.amdhsa_system_sgpr_workgroup_info 0
		.amdhsa_system_vgpr_workitem_id 0
		.amdhsa_next_free_vgpr 1
		.amdhsa_next_free_sgpr 0
		.amdhsa_accum_offset 4
		.amdhsa_reserve_vcc 0
		.amdhsa_reserve_flat_scratch 0
		.amdhsa_float_round_mode_32 0
		.amdhsa_float_round_mode_16_64 0
		.amdhsa_float_denorm_mode_32 3
		.amdhsa_float_denorm_mode_16_64 3
		.amdhsa_dx10_clamp 1
		.amdhsa_ieee_mode 1
		.amdhsa_fp16_overflow 0
		.amdhsa_tg_split 0
		.amdhsa_exception_fp_ieee_invalid_op 0
		.amdhsa_exception_fp_denorm_src 0
		.amdhsa_exception_fp_ieee_div_zero 0
		.amdhsa_exception_fp_ieee_overflow 0
		.amdhsa_exception_fp_ieee_underflow 0
		.amdhsa_exception_fp_ieee_inexact 0
		.amdhsa_exception_int_div_zero 0
	.end_amdhsa_kernel
	.section	.text._ZN7rocprim17ROCPRIM_400000_NS6detail17trampoline_kernelINS0_14default_configENS1_20scan_config_selectorIsEEZZNS1_9scan_implILNS1_25lookback_scan_determinismE0ELb1ELb1ES3_N6thrust23THRUST_200600_302600_NS6detail15normal_iteratorINS9_10device_ptrIsEEEENS9_16discard_iteratorINS9_11use_defaultEEEs11max_functorIsEsEEDaPvRmT3_T4_T5_mT6_P12ihipStream_tbENKUlT_T0_E_clISt17integral_constantIbLb0EESX_EEDaSS_ST_EUlSS_E0_NS1_11comp_targetILNS1_3genE3ELNS1_11target_archE908ELNS1_3gpuE7ELNS1_3repE0EEENS1_30default_config_static_selectorELNS0_4arch9wavefront6targetE1EEEvT1_,"axG",@progbits,_ZN7rocprim17ROCPRIM_400000_NS6detail17trampoline_kernelINS0_14default_configENS1_20scan_config_selectorIsEEZZNS1_9scan_implILNS1_25lookback_scan_determinismE0ELb1ELb1ES3_N6thrust23THRUST_200600_302600_NS6detail15normal_iteratorINS9_10device_ptrIsEEEENS9_16discard_iteratorINS9_11use_defaultEEEs11max_functorIsEsEEDaPvRmT3_T4_T5_mT6_P12ihipStream_tbENKUlT_T0_E_clISt17integral_constantIbLb0EESX_EEDaSS_ST_EUlSS_E0_NS1_11comp_targetILNS1_3genE3ELNS1_11target_archE908ELNS1_3gpuE7ELNS1_3repE0EEENS1_30default_config_static_selectorELNS0_4arch9wavefront6targetE1EEEvT1_,comdat
.Lfunc_end4082:
	.size	_ZN7rocprim17ROCPRIM_400000_NS6detail17trampoline_kernelINS0_14default_configENS1_20scan_config_selectorIsEEZZNS1_9scan_implILNS1_25lookback_scan_determinismE0ELb1ELb1ES3_N6thrust23THRUST_200600_302600_NS6detail15normal_iteratorINS9_10device_ptrIsEEEENS9_16discard_iteratorINS9_11use_defaultEEEs11max_functorIsEsEEDaPvRmT3_T4_T5_mT6_P12ihipStream_tbENKUlT_T0_E_clISt17integral_constantIbLb0EESX_EEDaSS_ST_EUlSS_E0_NS1_11comp_targetILNS1_3genE3ELNS1_11target_archE908ELNS1_3gpuE7ELNS1_3repE0EEENS1_30default_config_static_selectorELNS0_4arch9wavefront6targetE1EEEvT1_, .Lfunc_end4082-_ZN7rocprim17ROCPRIM_400000_NS6detail17trampoline_kernelINS0_14default_configENS1_20scan_config_selectorIsEEZZNS1_9scan_implILNS1_25lookback_scan_determinismE0ELb1ELb1ES3_N6thrust23THRUST_200600_302600_NS6detail15normal_iteratorINS9_10device_ptrIsEEEENS9_16discard_iteratorINS9_11use_defaultEEEs11max_functorIsEsEEDaPvRmT3_T4_T5_mT6_P12ihipStream_tbENKUlT_T0_E_clISt17integral_constantIbLb0EESX_EEDaSS_ST_EUlSS_E0_NS1_11comp_targetILNS1_3genE3ELNS1_11target_archE908ELNS1_3gpuE7ELNS1_3repE0EEENS1_30default_config_static_selectorELNS0_4arch9wavefront6targetE1EEEvT1_
                                        ; -- End function
	.section	.AMDGPU.csdata,"",@progbits
; Kernel info:
; codeLenInByte = 0
; NumSgprs: 4
; NumVgprs: 0
; NumAgprs: 0
; TotalNumVgprs: 0
; ScratchSize: 0
; MemoryBound: 0
; FloatMode: 240
; IeeeMode: 1
; LDSByteSize: 0 bytes/workgroup (compile time only)
; SGPRBlocks: 0
; VGPRBlocks: 0
; NumSGPRsForWavesPerEU: 4
; NumVGPRsForWavesPerEU: 1
; AccumOffset: 4
; Occupancy: 8
; WaveLimiterHint : 0
; COMPUTE_PGM_RSRC2:SCRATCH_EN: 0
; COMPUTE_PGM_RSRC2:USER_SGPR: 6
; COMPUTE_PGM_RSRC2:TRAP_HANDLER: 0
; COMPUTE_PGM_RSRC2:TGID_X_EN: 1
; COMPUTE_PGM_RSRC2:TGID_Y_EN: 0
; COMPUTE_PGM_RSRC2:TGID_Z_EN: 0
; COMPUTE_PGM_RSRC2:TIDIG_COMP_CNT: 0
; COMPUTE_PGM_RSRC3_GFX90A:ACCUM_OFFSET: 0
; COMPUTE_PGM_RSRC3_GFX90A:TG_SPLIT: 0
	.section	.text._ZN7rocprim17ROCPRIM_400000_NS6detail17trampoline_kernelINS0_14default_configENS1_20scan_config_selectorIsEEZZNS1_9scan_implILNS1_25lookback_scan_determinismE0ELb1ELb1ES3_N6thrust23THRUST_200600_302600_NS6detail15normal_iteratorINS9_10device_ptrIsEEEENS9_16discard_iteratorINS9_11use_defaultEEEs11max_functorIsEsEEDaPvRmT3_T4_T5_mT6_P12ihipStream_tbENKUlT_T0_E_clISt17integral_constantIbLb0EESX_EEDaSS_ST_EUlSS_E0_NS1_11comp_targetILNS1_3genE2ELNS1_11target_archE906ELNS1_3gpuE6ELNS1_3repE0EEENS1_30default_config_static_selectorELNS0_4arch9wavefront6targetE1EEEvT1_,"axG",@progbits,_ZN7rocprim17ROCPRIM_400000_NS6detail17trampoline_kernelINS0_14default_configENS1_20scan_config_selectorIsEEZZNS1_9scan_implILNS1_25lookback_scan_determinismE0ELb1ELb1ES3_N6thrust23THRUST_200600_302600_NS6detail15normal_iteratorINS9_10device_ptrIsEEEENS9_16discard_iteratorINS9_11use_defaultEEEs11max_functorIsEsEEDaPvRmT3_T4_T5_mT6_P12ihipStream_tbENKUlT_T0_E_clISt17integral_constantIbLb0EESX_EEDaSS_ST_EUlSS_E0_NS1_11comp_targetILNS1_3genE2ELNS1_11target_archE906ELNS1_3gpuE6ELNS1_3repE0EEENS1_30default_config_static_selectorELNS0_4arch9wavefront6targetE1EEEvT1_,comdat
	.protected	_ZN7rocprim17ROCPRIM_400000_NS6detail17trampoline_kernelINS0_14default_configENS1_20scan_config_selectorIsEEZZNS1_9scan_implILNS1_25lookback_scan_determinismE0ELb1ELb1ES3_N6thrust23THRUST_200600_302600_NS6detail15normal_iteratorINS9_10device_ptrIsEEEENS9_16discard_iteratorINS9_11use_defaultEEEs11max_functorIsEsEEDaPvRmT3_T4_T5_mT6_P12ihipStream_tbENKUlT_T0_E_clISt17integral_constantIbLb0EESX_EEDaSS_ST_EUlSS_E0_NS1_11comp_targetILNS1_3genE2ELNS1_11target_archE906ELNS1_3gpuE6ELNS1_3repE0EEENS1_30default_config_static_selectorELNS0_4arch9wavefront6targetE1EEEvT1_ ; -- Begin function _ZN7rocprim17ROCPRIM_400000_NS6detail17trampoline_kernelINS0_14default_configENS1_20scan_config_selectorIsEEZZNS1_9scan_implILNS1_25lookback_scan_determinismE0ELb1ELb1ES3_N6thrust23THRUST_200600_302600_NS6detail15normal_iteratorINS9_10device_ptrIsEEEENS9_16discard_iteratorINS9_11use_defaultEEEs11max_functorIsEsEEDaPvRmT3_T4_T5_mT6_P12ihipStream_tbENKUlT_T0_E_clISt17integral_constantIbLb0EESX_EEDaSS_ST_EUlSS_E0_NS1_11comp_targetILNS1_3genE2ELNS1_11target_archE906ELNS1_3gpuE6ELNS1_3repE0EEENS1_30default_config_static_selectorELNS0_4arch9wavefront6targetE1EEEvT1_
	.globl	_ZN7rocprim17ROCPRIM_400000_NS6detail17trampoline_kernelINS0_14default_configENS1_20scan_config_selectorIsEEZZNS1_9scan_implILNS1_25lookback_scan_determinismE0ELb1ELb1ES3_N6thrust23THRUST_200600_302600_NS6detail15normal_iteratorINS9_10device_ptrIsEEEENS9_16discard_iteratorINS9_11use_defaultEEEs11max_functorIsEsEEDaPvRmT3_T4_T5_mT6_P12ihipStream_tbENKUlT_T0_E_clISt17integral_constantIbLb0EESX_EEDaSS_ST_EUlSS_E0_NS1_11comp_targetILNS1_3genE2ELNS1_11target_archE906ELNS1_3gpuE6ELNS1_3repE0EEENS1_30default_config_static_selectorELNS0_4arch9wavefront6targetE1EEEvT1_
	.p2align	8
	.type	_ZN7rocprim17ROCPRIM_400000_NS6detail17trampoline_kernelINS0_14default_configENS1_20scan_config_selectorIsEEZZNS1_9scan_implILNS1_25lookback_scan_determinismE0ELb1ELb1ES3_N6thrust23THRUST_200600_302600_NS6detail15normal_iteratorINS9_10device_ptrIsEEEENS9_16discard_iteratorINS9_11use_defaultEEEs11max_functorIsEsEEDaPvRmT3_T4_T5_mT6_P12ihipStream_tbENKUlT_T0_E_clISt17integral_constantIbLb0EESX_EEDaSS_ST_EUlSS_E0_NS1_11comp_targetILNS1_3genE2ELNS1_11target_archE906ELNS1_3gpuE6ELNS1_3repE0EEENS1_30default_config_static_selectorELNS0_4arch9wavefront6targetE1EEEvT1_,@function
_ZN7rocprim17ROCPRIM_400000_NS6detail17trampoline_kernelINS0_14default_configENS1_20scan_config_selectorIsEEZZNS1_9scan_implILNS1_25lookback_scan_determinismE0ELb1ELb1ES3_N6thrust23THRUST_200600_302600_NS6detail15normal_iteratorINS9_10device_ptrIsEEEENS9_16discard_iteratorINS9_11use_defaultEEEs11max_functorIsEsEEDaPvRmT3_T4_T5_mT6_P12ihipStream_tbENKUlT_T0_E_clISt17integral_constantIbLb0EESX_EEDaSS_ST_EUlSS_E0_NS1_11comp_targetILNS1_3genE2ELNS1_11target_archE906ELNS1_3gpuE6ELNS1_3repE0EEENS1_30default_config_static_selectorELNS0_4arch9wavefront6targetE1EEEvT1_: ; @_ZN7rocprim17ROCPRIM_400000_NS6detail17trampoline_kernelINS0_14default_configENS1_20scan_config_selectorIsEEZZNS1_9scan_implILNS1_25lookback_scan_determinismE0ELb1ELb1ES3_N6thrust23THRUST_200600_302600_NS6detail15normal_iteratorINS9_10device_ptrIsEEEENS9_16discard_iteratorINS9_11use_defaultEEEs11max_functorIsEsEEDaPvRmT3_T4_T5_mT6_P12ihipStream_tbENKUlT_T0_E_clISt17integral_constantIbLb0EESX_EEDaSS_ST_EUlSS_E0_NS1_11comp_targetILNS1_3genE2ELNS1_11target_archE906ELNS1_3gpuE6ELNS1_3repE0EEENS1_30default_config_static_selectorELNS0_4arch9wavefront6targetE1EEEvT1_
; %bb.0:
	.section	.rodata,"a",@progbits
	.p2align	6, 0x0
	.amdhsa_kernel _ZN7rocprim17ROCPRIM_400000_NS6detail17trampoline_kernelINS0_14default_configENS1_20scan_config_selectorIsEEZZNS1_9scan_implILNS1_25lookback_scan_determinismE0ELb1ELb1ES3_N6thrust23THRUST_200600_302600_NS6detail15normal_iteratorINS9_10device_ptrIsEEEENS9_16discard_iteratorINS9_11use_defaultEEEs11max_functorIsEsEEDaPvRmT3_T4_T5_mT6_P12ihipStream_tbENKUlT_T0_E_clISt17integral_constantIbLb0EESX_EEDaSS_ST_EUlSS_E0_NS1_11comp_targetILNS1_3genE2ELNS1_11target_archE906ELNS1_3gpuE6ELNS1_3repE0EEENS1_30default_config_static_selectorELNS0_4arch9wavefront6targetE1EEEvT1_
		.amdhsa_group_segment_fixed_size 0
		.amdhsa_private_segment_fixed_size 0
		.amdhsa_kernarg_size 40
		.amdhsa_user_sgpr_count 6
		.amdhsa_user_sgpr_private_segment_buffer 1
		.amdhsa_user_sgpr_dispatch_ptr 0
		.amdhsa_user_sgpr_queue_ptr 0
		.amdhsa_user_sgpr_kernarg_segment_ptr 1
		.amdhsa_user_sgpr_dispatch_id 0
		.amdhsa_user_sgpr_flat_scratch_init 0
		.amdhsa_user_sgpr_kernarg_preload_length 0
		.amdhsa_user_sgpr_kernarg_preload_offset 0
		.amdhsa_user_sgpr_private_segment_size 0
		.amdhsa_uses_dynamic_stack 0
		.amdhsa_system_sgpr_private_segment_wavefront_offset 0
		.amdhsa_system_sgpr_workgroup_id_x 1
		.amdhsa_system_sgpr_workgroup_id_y 0
		.amdhsa_system_sgpr_workgroup_id_z 0
		.amdhsa_system_sgpr_workgroup_info 0
		.amdhsa_system_vgpr_workitem_id 0
		.amdhsa_next_free_vgpr 1
		.amdhsa_next_free_sgpr 0
		.amdhsa_accum_offset 4
		.amdhsa_reserve_vcc 0
		.amdhsa_reserve_flat_scratch 0
		.amdhsa_float_round_mode_32 0
		.amdhsa_float_round_mode_16_64 0
		.amdhsa_float_denorm_mode_32 3
		.amdhsa_float_denorm_mode_16_64 3
		.amdhsa_dx10_clamp 1
		.amdhsa_ieee_mode 1
		.amdhsa_fp16_overflow 0
		.amdhsa_tg_split 0
		.amdhsa_exception_fp_ieee_invalid_op 0
		.amdhsa_exception_fp_denorm_src 0
		.amdhsa_exception_fp_ieee_div_zero 0
		.amdhsa_exception_fp_ieee_overflow 0
		.amdhsa_exception_fp_ieee_underflow 0
		.amdhsa_exception_fp_ieee_inexact 0
		.amdhsa_exception_int_div_zero 0
	.end_amdhsa_kernel
	.section	.text._ZN7rocprim17ROCPRIM_400000_NS6detail17trampoline_kernelINS0_14default_configENS1_20scan_config_selectorIsEEZZNS1_9scan_implILNS1_25lookback_scan_determinismE0ELb1ELb1ES3_N6thrust23THRUST_200600_302600_NS6detail15normal_iteratorINS9_10device_ptrIsEEEENS9_16discard_iteratorINS9_11use_defaultEEEs11max_functorIsEsEEDaPvRmT3_T4_T5_mT6_P12ihipStream_tbENKUlT_T0_E_clISt17integral_constantIbLb0EESX_EEDaSS_ST_EUlSS_E0_NS1_11comp_targetILNS1_3genE2ELNS1_11target_archE906ELNS1_3gpuE6ELNS1_3repE0EEENS1_30default_config_static_selectorELNS0_4arch9wavefront6targetE1EEEvT1_,"axG",@progbits,_ZN7rocprim17ROCPRIM_400000_NS6detail17trampoline_kernelINS0_14default_configENS1_20scan_config_selectorIsEEZZNS1_9scan_implILNS1_25lookback_scan_determinismE0ELb1ELb1ES3_N6thrust23THRUST_200600_302600_NS6detail15normal_iteratorINS9_10device_ptrIsEEEENS9_16discard_iteratorINS9_11use_defaultEEEs11max_functorIsEsEEDaPvRmT3_T4_T5_mT6_P12ihipStream_tbENKUlT_T0_E_clISt17integral_constantIbLb0EESX_EEDaSS_ST_EUlSS_E0_NS1_11comp_targetILNS1_3genE2ELNS1_11target_archE906ELNS1_3gpuE6ELNS1_3repE0EEENS1_30default_config_static_selectorELNS0_4arch9wavefront6targetE1EEEvT1_,comdat
.Lfunc_end4083:
	.size	_ZN7rocprim17ROCPRIM_400000_NS6detail17trampoline_kernelINS0_14default_configENS1_20scan_config_selectorIsEEZZNS1_9scan_implILNS1_25lookback_scan_determinismE0ELb1ELb1ES3_N6thrust23THRUST_200600_302600_NS6detail15normal_iteratorINS9_10device_ptrIsEEEENS9_16discard_iteratorINS9_11use_defaultEEEs11max_functorIsEsEEDaPvRmT3_T4_T5_mT6_P12ihipStream_tbENKUlT_T0_E_clISt17integral_constantIbLb0EESX_EEDaSS_ST_EUlSS_E0_NS1_11comp_targetILNS1_3genE2ELNS1_11target_archE906ELNS1_3gpuE6ELNS1_3repE0EEENS1_30default_config_static_selectorELNS0_4arch9wavefront6targetE1EEEvT1_, .Lfunc_end4083-_ZN7rocprim17ROCPRIM_400000_NS6detail17trampoline_kernelINS0_14default_configENS1_20scan_config_selectorIsEEZZNS1_9scan_implILNS1_25lookback_scan_determinismE0ELb1ELb1ES3_N6thrust23THRUST_200600_302600_NS6detail15normal_iteratorINS9_10device_ptrIsEEEENS9_16discard_iteratorINS9_11use_defaultEEEs11max_functorIsEsEEDaPvRmT3_T4_T5_mT6_P12ihipStream_tbENKUlT_T0_E_clISt17integral_constantIbLb0EESX_EEDaSS_ST_EUlSS_E0_NS1_11comp_targetILNS1_3genE2ELNS1_11target_archE906ELNS1_3gpuE6ELNS1_3repE0EEENS1_30default_config_static_selectorELNS0_4arch9wavefront6targetE1EEEvT1_
                                        ; -- End function
	.section	.AMDGPU.csdata,"",@progbits
; Kernel info:
; codeLenInByte = 0
; NumSgprs: 4
; NumVgprs: 0
; NumAgprs: 0
; TotalNumVgprs: 0
; ScratchSize: 0
; MemoryBound: 0
; FloatMode: 240
; IeeeMode: 1
; LDSByteSize: 0 bytes/workgroup (compile time only)
; SGPRBlocks: 0
; VGPRBlocks: 0
; NumSGPRsForWavesPerEU: 4
; NumVGPRsForWavesPerEU: 1
; AccumOffset: 4
; Occupancy: 8
; WaveLimiterHint : 0
; COMPUTE_PGM_RSRC2:SCRATCH_EN: 0
; COMPUTE_PGM_RSRC2:USER_SGPR: 6
; COMPUTE_PGM_RSRC2:TRAP_HANDLER: 0
; COMPUTE_PGM_RSRC2:TGID_X_EN: 1
; COMPUTE_PGM_RSRC2:TGID_Y_EN: 0
; COMPUTE_PGM_RSRC2:TGID_Z_EN: 0
; COMPUTE_PGM_RSRC2:TIDIG_COMP_CNT: 0
; COMPUTE_PGM_RSRC3_GFX90A:ACCUM_OFFSET: 0
; COMPUTE_PGM_RSRC3_GFX90A:TG_SPLIT: 0
	.section	.text._ZN7rocprim17ROCPRIM_400000_NS6detail17trampoline_kernelINS0_14default_configENS1_20scan_config_selectorIsEEZZNS1_9scan_implILNS1_25lookback_scan_determinismE0ELb1ELb1ES3_N6thrust23THRUST_200600_302600_NS6detail15normal_iteratorINS9_10device_ptrIsEEEENS9_16discard_iteratorINS9_11use_defaultEEEs11max_functorIsEsEEDaPvRmT3_T4_T5_mT6_P12ihipStream_tbENKUlT_T0_E_clISt17integral_constantIbLb0EESX_EEDaSS_ST_EUlSS_E0_NS1_11comp_targetILNS1_3genE10ELNS1_11target_archE1201ELNS1_3gpuE5ELNS1_3repE0EEENS1_30default_config_static_selectorELNS0_4arch9wavefront6targetE1EEEvT1_,"axG",@progbits,_ZN7rocprim17ROCPRIM_400000_NS6detail17trampoline_kernelINS0_14default_configENS1_20scan_config_selectorIsEEZZNS1_9scan_implILNS1_25lookback_scan_determinismE0ELb1ELb1ES3_N6thrust23THRUST_200600_302600_NS6detail15normal_iteratorINS9_10device_ptrIsEEEENS9_16discard_iteratorINS9_11use_defaultEEEs11max_functorIsEsEEDaPvRmT3_T4_T5_mT6_P12ihipStream_tbENKUlT_T0_E_clISt17integral_constantIbLb0EESX_EEDaSS_ST_EUlSS_E0_NS1_11comp_targetILNS1_3genE10ELNS1_11target_archE1201ELNS1_3gpuE5ELNS1_3repE0EEENS1_30default_config_static_selectorELNS0_4arch9wavefront6targetE1EEEvT1_,comdat
	.protected	_ZN7rocprim17ROCPRIM_400000_NS6detail17trampoline_kernelINS0_14default_configENS1_20scan_config_selectorIsEEZZNS1_9scan_implILNS1_25lookback_scan_determinismE0ELb1ELb1ES3_N6thrust23THRUST_200600_302600_NS6detail15normal_iteratorINS9_10device_ptrIsEEEENS9_16discard_iteratorINS9_11use_defaultEEEs11max_functorIsEsEEDaPvRmT3_T4_T5_mT6_P12ihipStream_tbENKUlT_T0_E_clISt17integral_constantIbLb0EESX_EEDaSS_ST_EUlSS_E0_NS1_11comp_targetILNS1_3genE10ELNS1_11target_archE1201ELNS1_3gpuE5ELNS1_3repE0EEENS1_30default_config_static_selectorELNS0_4arch9wavefront6targetE1EEEvT1_ ; -- Begin function _ZN7rocprim17ROCPRIM_400000_NS6detail17trampoline_kernelINS0_14default_configENS1_20scan_config_selectorIsEEZZNS1_9scan_implILNS1_25lookback_scan_determinismE0ELb1ELb1ES3_N6thrust23THRUST_200600_302600_NS6detail15normal_iteratorINS9_10device_ptrIsEEEENS9_16discard_iteratorINS9_11use_defaultEEEs11max_functorIsEsEEDaPvRmT3_T4_T5_mT6_P12ihipStream_tbENKUlT_T0_E_clISt17integral_constantIbLb0EESX_EEDaSS_ST_EUlSS_E0_NS1_11comp_targetILNS1_3genE10ELNS1_11target_archE1201ELNS1_3gpuE5ELNS1_3repE0EEENS1_30default_config_static_selectorELNS0_4arch9wavefront6targetE1EEEvT1_
	.globl	_ZN7rocprim17ROCPRIM_400000_NS6detail17trampoline_kernelINS0_14default_configENS1_20scan_config_selectorIsEEZZNS1_9scan_implILNS1_25lookback_scan_determinismE0ELb1ELb1ES3_N6thrust23THRUST_200600_302600_NS6detail15normal_iteratorINS9_10device_ptrIsEEEENS9_16discard_iteratorINS9_11use_defaultEEEs11max_functorIsEsEEDaPvRmT3_T4_T5_mT6_P12ihipStream_tbENKUlT_T0_E_clISt17integral_constantIbLb0EESX_EEDaSS_ST_EUlSS_E0_NS1_11comp_targetILNS1_3genE10ELNS1_11target_archE1201ELNS1_3gpuE5ELNS1_3repE0EEENS1_30default_config_static_selectorELNS0_4arch9wavefront6targetE1EEEvT1_
	.p2align	8
	.type	_ZN7rocprim17ROCPRIM_400000_NS6detail17trampoline_kernelINS0_14default_configENS1_20scan_config_selectorIsEEZZNS1_9scan_implILNS1_25lookback_scan_determinismE0ELb1ELb1ES3_N6thrust23THRUST_200600_302600_NS6detail15normal_iteratorINS9_10device_ptrIsEEEENS9_16discard_iteratorINS9_11use_defaultEEEs11max_functorIsEsEEDaPvRmT3_T4_T5_mT6_P12ihipStream_tbENKUlT_T0_E_clISt17integral_constantIbLb0EESX_EEDaSS_ST_EUlSS_E0_NS1_11comp_targetILNS1_3genE10ELNS1_11target_archE1201ELNS1_3gpuE5ELNS1_3repE0EEENS1_30default_config_static_selectorELNS0_4arch9wavefront6targetE1EEEvT1_,@function
_ZN7rocprim17ROCPRIM_400000_NS6detail17trampoline_kernelINS0_14default_configENS1_20scan_config_selectorIsEEZZNS1_9scan_implILNS1_25lookback_scan_determinismE0ELb1ELb1ES3_N6thrust23THRUST_200600_302600_NS6detail15normal_iteratorINS9_10device_ptrIsEEEENS9_16discard_iteratorINS9_11use_defaultEEEs11max_functorIsEsEEDaPvRmT3_T4_T5_mT6_P12ihipStream_tbENKUlT_T0_E_clISt17integral_constantIbLb0EESX_EEDaSS_ST_EUlSS_E0_NS1_11comp_targetILNS1_3genE10ELNS1_11target_archE1201ELNS1_3gpuE5ELNS1_3repE0EEENS1_30default_config_static_selectorELNS0_4arch9wavefront6targetE1EEEvT1_: ; @_ZN7rocprim17ROCPRIM_400000_NS6detail17trampoline_kernelINS0_14default_configENS1_20scan_config_selectorIsEEZZNS1_9scan_implILNS1_25lookback_scan_determinismE0ELb1ELb1ES3_N6thrust23THRUST_200600_302600_NS6detail15normal_iteratorINS9_10device_ptrIsEEEENS9_16discard_iteratorINS9_11use_defaultEEEs11max_functorIsEsEEDaPvRmT3_T4_T5_mT6_P12ihipStream_tbENKUlT_T0_E_clISt17integral_constantIbLb0EESX_EEDaSS_ST_EUlSS_E0_NS1_11comp_targetILNS1_3genE10ELNS1_11target_archE1201ELNS1_3gpuE5ELNS1_3repE0EEENS1_30default_config_static_selectorELNS0_4arch9wavefront6targetE1EEEvT1_
; %bb.0:
	.section	.rodata,"a",@progbits
	.p2align	6, 0x0
	.amdhsa_kernel _ZN7rocprim17ROCPRIM_400000_NS6detail17trampoline_kernelINS0_14default_configENS1_20scan_config_selectorIsEEZZNS1_9scan_implILNS1_25lookback_scan_determinismE0ELb1ELb1ES3_N6thrust23THRUST_200600_302600_NS6detail15normal_iteratorINS9_10device_ptrIsEEEENS9_16discard_iteratorINS9_11use_defaultEEEs11max_functorIsEsEEDaPvRmT3_T4_T5_mT6_P12ihipStream_tbENKUlT_T0_E_clISt17integral_constantIbLb0EESX_EEDaSS_ST_EUlSS_E0_NS1_11comp_targetILNS1_3genE10ELNS1_11target_archE1201ELNS1_3gpuE5ELNS1_3repE0EEENS1_30default_config_static_selectorELNS0_4arch9wavefront6targetE1EEEvT1_
		.amdhsa_group_segment_fixed_size 0
		.amdhsa_private_segment_fixed_size 0
		.amdhsa_kernarg_size 40
		.amdhsa_user_sgpr_count 6
		.amdhsa_user_sgpr_private_segment_buffer 1
		.amdhsa_user_sgpr_dispatch_ptr 0
		.amdhsa_user_sgpr_queue_ptr 0
		.amdhsa_user_sgpr_kernarg_segment_ptr 1
		.amdhsa_user_sgpr_dispatch_id 0
		.amdhsa_user_sgpr_flat_scratch_init 0
		.amdhsa_user_sgpr_kernarg_preload_length 0
		.amdhsa_user_sgpr_kernarg_preload_offset 0
		.amdhsa_user_sgpr_private_segment_size 0
		.amdhsa_uses_dynamic_stack 0
		.amdhsa_system_sgpr_private_segment_wavefront_offset 0
		.amdhsa_system_sgpr_workgroup_id_x 1
		.amdhsa_system_sgpr_workgroup_id_y 0
		.amdhsa_system_sgpr_workgroup_id_z 0
		.amdhsa_system_sgpr_workgroup_info 0
		.amdhsa_system_vgpr_workitem_id 0
		.amdhsa_next_free_vgpr 1
		.amdhsa_next_free_sgpr 0
		.amdhsa_accum_offset 4
		.amdhsa_reserve_vcc 0
		.amdhsa_reserve_flat_scratch 0
		.amdhsa_float_round_mode_32 0
		.amdhsa_float_round_mode_16_64 0
		.amdhsa_float_denorm_mode_32 3
		.amdhsa_float_denorm_mode_16_64 3
		.amdhsa_dx10_clamp 1
		.amdhsa_ieee_mode 1
		.amdhsa_fp16_overflow 0
		.amdhsa_tg_split 0
		.amdhsa_exception_fp_ieee_invalid_op 0
		.amdhsa_exception_fp_denorm_src 0
		.amdhsa_exception_fp_ieee_div_zero 0
		.amdhsa_exception_fp_ieee_overflow 0
		.amdhsa_exception_fp_ieee_underflow 0
		.amdhsa_exception_fp_ieee_inexact 0
		.amdhsa_exception_int_div_zero 0
	.end_amdhsa_kernel
	.section	.text._ZN7rocprim17ROCPRIM_400000_NS6detail17trampoline_kernelINS0_14default_configENS1_20scan_config_selectorIsEEZZNS1_9scan_implILNS1_25lookback_scan_determinismE0ELb1ELb1ES3_N6thrust23THRUST_200600_302600_NS6detail15normal_iteratorINS9_10device_ptrIsEEEENS9_16discard_iteratorINS9_11use_defaultEEEs11max_functorIsEsEEDaPvRmT3_T4_T5_mT6_P12ihipStream_tbENKUlT_T0_E_clISt17integral_constantIbLb0EESX_EEDaSS_ST_EUlSS_E0_NS1_11comp_targetILNS1_3genE10ELNS1_11target_archE1201ELNS1_3gpuE5ELNS1_3repE0EEENS1_30default_config_static_selectorELNS0_4arch9wavefront6targetE1EEEvT1_,"axG",@progbits,_ZN7rocprim17ROCPRIM_400000_NS6detail17trampoline_kernelINS0_14default_configENS1_20scan_config_selectorIsEEZZNS1_9scan_implILNS1_25lookback_scan_determinismE0ELb1ELb1ES3_N6thrust23THRUST_200600_302600_NS6detail15normal_iteratorINS9_10device_ptrIsEEEENS9_16discard_iteratorINS9_11use_defaultEEEs11max_functorIsEsEEDaPvRmT3_T4_T5_mT6_P12ihipStream_tbENKUlT_T0_E_clISt17integral_constantIbLb0EESX_EEDaSS_ST_EUlSS_E0_NS1_11comp_targetILNS1_3genE10ELNS1_11target_archE1201ELNS1_3gpuE5ELNS1_3repE0EEENS1_30default_config_static_selectorELNS0_4arch9wavefront6targetE1EEEvT1_,comdat
.Lfunc_end4084:
	.size	_ZN7rocprim17ROCPRIM_400000_NS6detail17trampoline_kernelINS0_14default_configENS1_20scan_config_selectorIsEEZZNS1_9scan_implILNS1_25lookback_scan_determinismE0ELb1ELb1ES3_N6thrust23THRUST_200600_302600_NS6detail15normal_iteratorINS9_10device_ptrIsEEEENS9_16discard_iteratorINS9_11use_defaultEEEs11max_functorIsEsEEDaPvRmT3_T4_T5_mT6_P12ihipStream_tbENKUlT_T0_E_clISt17integral_constantIbLb0EESX_EEDaSS_ST_EUlSS_E0_NS1_11comp_targetILNS1_3genE10ELNS1_11target_archE1201ELNS1_3gpuE5ELNS1_3repE0EEENS1_30default_config_static_selectorELNS0_4arch9wavefront6targetE1EEEvT1_, .Lfunc_end4084-_ZN7rocprim17ROCPRIM_400000_NS6detail17trampoline_kernelINS0_14default_configENS1_20scan_config_selectorIsEEZZNS1_9scan_implILNS1_25lookback_scan_determinismE0ELb1ELb1ES3_N6thrust23THRUST_200600_302600_NS6detail15normal_iteratorINS9_10device_ptrIsEEEENS9_16discard_iteratorINS9_11use_defaultEEEs11max_functorIsEsEEDaPvRmT3_T4_T5_mT6_P12ihipStream_tbENKUlT_T0_E_clISt17integral_constantIbLb0EESX_EEDaSS_ST_EUlSS_E0_NS1_11comp_targetILNS1_3genE10ELNS1_11target_archE1201ELNS1_3gpuE5ELNS1_3repE0EEENS1_30default_config_static_selectorELNS0_4arch9wavefront6targetE1EEEvT1_
                                        ; -- End function
	.section	.AMDGPU.csdata,"",@progbits
; Kernel info:
; codeLenInByte = 0
; NumSgprs: 4
; NumVgprs: 0
; NumAgprs: 0
; TotalNumVgprs: 0
; ScratchSize: 0
; MemoryBound: 0
; FloatMode: 240
; IeeeMode: 1
; LDSByteSize: 0 bytes/workgroup (compile time only)
; SGPRBlocks: 0
; VGPRBlocks: 0
; NumSGPRsForWavesPerEU: 4
; NumVGPRsForWavesPerEU: 1
; AccumOffset: 4
; Occupancy: 8
; WaveLimiterHint : 0
; COMPUTE_PGM_RSRC2:SCRATCH_EN: 0
; COMPUTE_PGM_RSRC2:USER_SGPR: 6
; COMPUTE_PGM_RSRC2:TRAP_HANDLER: 0
; COMPUTE_PGM_RSRC2:TGID_X_EN: 1
; COMPUTE_PGM_RSRC2:TGID_Y_EN: 0
; COMPUTE_PGM_RSRC2:TGID_Z_EN: 0
; COMPUTE_PGM_RSRC2:TIDIG_COMP_CNT: 0
; COMPUTE_PGM_RSRC3_GFX90A:ACCUM_OFFSET: 0
; COMPUTE_PGM_RSRC3_GFX90A:TG_SPLIT: 0
	.section	.text._ZN7rocprim17ROCPRIM_400000_NS6detail17trampoline_kernelINS0_14default_configENS1_20scan_config_selectorIsEEZZNS1_9scan_implILNS1_25lookback_scan_determinismE0ELb1ELb1ES3_N6thrust23THRUST_200600_302600_NS6detail15normal_iteratorINS9_10device_ptrIsEEEENS9_16discard_iteratorINS9_11use_defaultEEEs11max_functorIsEsEEDaPvRmT3_T4_T5_mT6_P12ihipStream_tbENKUlT_T0_E_clISt17integral_constantIbLb0EESX_EEDaSS_ST_EUlSS_E0_NS1_11comp_targetILNS1_3genE10ELNS1_11target_archE1200ELNS1_3gpuE4ELNS1_3repE0EEENS1_30default_config_static_selectorELNS0_4arch9wavefront6targetE1EEEvT1_,"axG",@progbits,_ZN7rocprim17ROCPRIM_400000_NS6detail17trampoline_kernelINS0_14default_configENS1_20scan_config_selectorIsEEZZNS1_9scan_implILNS1_25lookback_scan_determinismE0ELb1ELb1ES3_N6thrust23THRUST_200600_302600_NS6detail15normal_iteratorINS9_10device_ptrIsEEEENS9_16discard_iteratorINS9_11use_defaultEEEs11max_functorIsEsEEDaPvRmT3_T4_T5_mT6_P12ihipStream_tbENKUlT_T0_E_clISt17integral_constantIbLb0EESX_EEDaSS_ST_EUlSS_E0_NS1_11comp_targetILNS1_3genE10ELNS1_11target_archE1200ELNS1_3gpuE4ELNS1_3repE0EEENS1_30default_config_static_selectorELNS0_4arch9wavefront6targetE1EEEvT1_,comdat
	.protected	_ZN7rocprim17ROCPRIM_400000_NS6detail17trampoline_kernelINS0_14default_configENS1_20scan_config_selectorIsEEZZNS1_9scan_implILNS1_25lookback_scan_determinismE0ELb1ELb1ES3_N6thrust23THRUST_200600_302600_NS6detail15normal_iteratorINS9_10device_ptrIsEEEENS9_16discard_iteratorINS9_11use_defaultEEEs11max_functorIsEsEEDaPvRmT3_T4_T5_mT6_P12ihipStream_tbENKUlT_T0_E_clISt17integral_constantIbLb0EESX_EEDaSS_ST_EUlSS_E0_NS1_11comp_targetILNS1_3genE10ELNS1_11target_archE1200ELNS1_3gpuE4ELNS1_3repE0EEENS1_30default_config_static_selectorELNS0_4arch9wavefront6targetE1EEEvT1_ ; -- Begin function _ZN7rocprim17ROCPRIM_400000_NS6detail17trampoline_kernelINS0_14default_configENS1_20scan_config_selectorIsEEZZNS1_9scan_implILNS1_25lookback_scan_determinismE0ELb1ELb1ES3_N6thrust23THRUST_200600_302600_NS6detail15normal_iteratorINS9_10device_ptrIsEEEENS9_16discard_iteratorINS9_11use_defaultEEEs11max_functorIsEsEEDaPvRmT3_T4_T5_mT6_P12ihipStream_tbENKUlT_T0_E_clISt17integral_constantIbLb0EESX_EEDaSS_ST_EUlSS_E0_NS1_11comp_targetILNS1_3genE10ELNS1_11target_archE1200ELNS1_3gpuE4ELNS1_3repE0EEENS1_30default_config_static_selectorELNS0_4arch9wavefront6targetE1EEEvT1_
	.globl	_ZN7rocprim17ROCPRIM_400000_NS6detail17trampoline_kernelINS0_14default_configENS1_20scan_config_selectorIsEEZZNS1_9scan_implILNS1_25lookback_scan_determinismE0ELb1ELb1ES3_N6thrust23THRUST_200600_302600_NS6detail15normal_iteratorINS9_10device_ptrIsEEEENS9_16discard_iteratorINS9_11use_defaultEEEs11max_functorIsEsEEDaPvRmT3_T4_T5_mT6_P12ihipStream_tbENKUlT_T0_E_clISt17integral_constantIbLb0EESX_EEDaSS_ST_EUlSS_E0_NS1_11comp_targetILNS1_3genE10ELNS1_11target_archE1200ELNS1_3gpuE4ELNS1_3repE0EEENS1_30default_config_static_selectorELNS0_4arch9wavefront6targetE1EEEvT1_
	.p2align	8
	.type	_ZN7rocprim17ROCPRIM_400000_NS6detail17trampoline_kernelINS0_14default_configENS1_20scan_config_selectorIsEEZZNS1_9scan_implILNS1_25lookback_scan_determinismE0ELb1ELb1ES3_N6thrust23THRUST_200600_302600_NS6detail15normal_iteratorINS9_10device_ptrIsEEEENS9_16discard_iteratorINS9_11use_defaultEEEs11max_functorIsEsEEDaPvRmT3_T4_T5_mT6_P12ihipStream_tbENKUlT_T0_E_clISt17integral_constantIbLb0EESX_EEDaSS_ST_EUlSS_E0_NS1_11comp_targetILNS1_3genE10ELNS1_11target_archE1200ELNS1_3gpuE4ELNS1_3repE0EEENS1_30default_config_static_selectorELNS0_4arch9wavefront6targetE1EEEvT1_,@function
_ZN7rocprim17ROCPRIM_400000_NS6detail17trampoline_kernelINS0_14default_configENS1_20scan_config_selectorIsEEZZNS1_9scan_implILNS1_25lookback_scan_determinismE0ELb1ELb1ES3_N6thrust23THRUST_200600_302600_NS6detail15normal_iteratorINS9_10device_ptrIsEEEENS9_16discard_iteratorINS9_11use_defaultEEEs11max_functorIsEsEEDaPvRmT3_T4_T5_mT6_P12ihipStream_tbENKUlT_T0_E_clISt17integral_constantIbLb0EESX_EEDaSS_ST_EUlSS_E0_NS1_11comp_targetILNS1_3genE10ELNS1_11target_archE1200ELNS1_3gpuE4ELNS1_3repE0EEENS1_30default_config_static_selectorELNS0_4arch9wavefront6targetE1EEEvT1_: ; @_ZN7rocprim17ROCPRIM_400000_NS6detail17trampoline_kernelINS0_14default_configENS1_20scan_config_selectorIsEEZZNS1_9scan_implILNS1_25lookback_scan_determinismE0ELb1ELb1ES3_N6thrust23THRUST_200600_302600_NS6detail15normal_iteratorINS9_10device_ptrIsEEEENS9_16discard_iteratorINS9_11use_defaultEEEs11max_functorIsEsEEDaPvRmT3_T4_T5_mT6_P12ihipStream_tbENKUlT_T0_E_clISt17integral_constantIbLb0EESX_EEDaSS_ST_EUlSS_E0_NS1_11comp_targetILNS1_3genE10ELNS1_11target_archE1200ELNS1_3gpuE4ELNS1_3repE0EEENS1_30default_config_static_selectorELNS0_4arch9wavefront6targetE1EEEvT1_
; %bb.0:
	.section	.rodata,"a",@progbits
	.p2align	6, 0x0
	.amdhsa_kernel _ZN7rocprim17ROCPRIM_400000_NS6detail17trampoline_kernelINS0_14default_configENS1_20scan_config_selectorIsEEZZNS1_9scan_implILNS1_25lookback_scan_determinismE0ELb1ELb1ES3_N6thrust23THRUST_200600_302600_NS6detail15normal_iteratorINS9_10device_ptrIsEEEENS9_16discard_iteratorINS9_11use_defaultEEEs11max_functorIsEsEEDaPvRmT3_T4_T5_mT6_P12ihipStream_tbENKUlT_T0_E_clISt17integral_constantIbLb0EESX_EEDaSS_ST_EUlSS_E0_NS1_11comp_targetILNS1_3genE10ELNS1_11target_archE1200ELNS1_3gpuE4ELNS1_3repE0EEENS1_30default_config_static_selectorELNS0_4arch9wavefront6targetE1EEEvT1_
		.amdhsa_group_segment_fixed_size 0
		.amdhsa_private_segment_fixed_size 0
		.amdhsa_kernarg_size 40
		.amdhsa_user_sgpr_count 6
		.amdhsa_user_sgpr_private_segment_buffer 1
		.amdhsa_user_sgpr_dispatch_ptr 0
		.amdhsa_user_sgpr_queue_ptr 0
		.amdhsa_user_sgpr_kernarg_segment_ptr 1
		.amdhsa_user_sgpr_dispatch_id 0
		.amdhsa_user_sgpr_flat_scratch_init 0
		.amdhsa_user_sgpr_kernarg_preload_length 0
		.amdhsa_user_sgpr_kernarg_preload_offset 0
		.amdhsa_user_sgpr_private_segment_size 0
		.amdhsa_uses_dynamic_stack 0
		.amdhsa_system_sgpr_private_segment_wavefront_offset 0
		.amdhsa_system_sgpr_workgroup_id_x 1
		.amdhsa_system_sgpr_workgroup_id_y 0
		.amdhsa_system_sgpr_workgroup_id_z 0
		.amdhsa_system_sgpr_workgroup_info 0
		.amdhsa_system_vgpr_workitem_id 0
		.amdhsa_next_free_vgpr 1
		.amdhsa_next_free_sgpr 0
		.amdhsa_accum_offset 4
		.amdhsa_reserve_vcc 0
		.amdhsa_reserve_flat_scratch 0
		.amdhsa_float_round_mode_32 0
		.amdhsa_float_round_mode_16_64 0
		.amdhsa_float_denorm_mode_32 3
		.amdhsa_float_denorm_mode_16_64 3
		.amdhsa_dx10_clamp 1
		.amdhsa_ieee_mode 1
		.amdhsa_fp16_overflow 0
		.amdhsa_tg_split 0
		.amdhsa_exception_fp_ieee_invalid_op 0
		.amdhsa_exception_fp_denorm_src 0
		.amdhsa_exception_fp_ieee_div_zero 0
		.amdhsa_exception_fp_ieee_overflow 0
		.amdhsa_exception_fp_ieee_underflow 0
		.amdhsa_exception_fp_ieee_inexact 0
		.amdhsa_exception_int_div_zero 0
	.end_amdhsa_kernel
	.section	.text._ZN7rocprim17ROCPRIM_400000_NS6detail17trampoline_kernelINS0_14default_configENS1_20scan_config_selectorIsEEZZNS1_9scan_implILNS1_25lookback_scan_determinismE0ELb1ELb1ES3_N6thrust23THRUST_200600_302600_NS6detail15normal_iteratorINS9_10device_ptrIsEEEENS9_16discard_iteratorINS9_11use_defaultEEEs11max_functorIsEsEEDaPvRmT3_T4_T5_mT6_P12ihipStream_tbENKUlT_T0_E_clISt17integral_constantIbLb0EESX_EEDaSS_ST_EUlSS_E0_NS1_11comp_targetILNS1_3genE10ELNS1_11target_archE1200ELNS1_3gpuE4ELNS1_3repE0EEENS1_30default_config_static_selectorELNS0_4arch9wavefront6targetE1EEEvT1_,"axG",@progbits,_ZN7rocprim17ROCPRIM_400000_NS6detail17trampoline_kernelINS0_14default_configENS1_20scan_config_selectorIsEEZZNS1_9scan_implILNS1_25lookback_scan_determinismE0ELb1ELb1ES3_N6thrust23THRUST_200600_302600_NS6detail15normal_iteratorINS9_10device_ptrIsEEEENS9_16discard_iteratorINS9_11use_defaultEEEs11max_functorIsEsEEDaPvRmT3_T4_T5_mT6_P12ihipStream_tbENKUlT_T0_E_clISt17integral_constantIbLb0EESX_EEDaSS_ST_EUlSS_E0_NS1_11comp_targetILNS1_3genE10ELNS1_11target_archE1200ELNS1_3gpuE4ELNS1_3repE0EEENS1_30default_config_static_selectorELNS0_4arch9wavefront6targetE1EEEvT1_,comdat
.Lfunc_end4085:
	.size	_ZN7rocprim17ROCPRIM_400000_NS6detail17trampoline_kernelINS0_14default_configENS1_20scan_config_selectorIsEEZZNS1_9scan_implILNS1_25lookback_scan_determinismE0ELb1ELb1ES3_N6thrust23THRUST_200600_302600_NS6detail15normal_iteratorINS9_10device_ptrIsEEEENS9_16discard_iteratorINS9_11use_defaultEEEs11max_functorIsEsEEDaPvRmT3_T4_T5_mT6_P12ihipStream_tbENKUlT_T0_E_clISt17integral_constantIbLb0EESX_EEDaSS_ST_EUlSS_E0_NS1_11comp_targetILNS1_3genE10ELNS1_11target_archE1200ELNS1_3gpuE4ELNS1_3repE0EEENS1_30default_config_static_selectorELNS0_4arch9wavefront6targetE1EEEvT1_, .Lfunc_end4085-_ZN7rocprim17ROCPRIM_400000_NS6detail17trampoline_kernelINS0_14default_configENS1_20scan_config_selectorIsEEZZNS1_9scan_implILNS1_25lookback_scan_determinismE0ELb1ELb1ES3_N6thrust23THRUST_200600_302600_NS6detail15normal_iteratorINS9_10device_ptrIsEEEENS9_16discard_iteratorINS9_11use_defaultEEEs11max_functorIsEsEEDaPvRmT3_T4_T5_mT6_P12ihipStream_tbENKUlT_T0_E_clISt17integral_constantIbLb0EESX_EEDaSS_ST_EUlSS_E0_NS1_11comp_targetILNS1_3genE10ELNS1_11target_archE1200ELNS1_3gpuE4ELNS1_3repE0EEENS1_30default_config_static_selectorELNS0_4arch9wavefront6targetE1EEEvT1_
                                        ; -- End function
	.section	.AMDGPU.csdata,"",@progbits
; Kernel info:
; codeLenInByte = 0
; NumSgprs: 4
; NumVgprs: 0
; NumAgprs: 0
; TotalNumVgprs: 0
; ScratchSize: 0
; MemoryBound: 0
; FloatMode: 240
; IeeeMode: 1
; LDSByteSize: 0 bytes/workgroup (compile time only)
; SGPRBlocks: 0
; VGPRBlocks: 0
; NumSGPRsForWavesPerEU: 4
; NumVGPRsForWavesPerEU: 1
; AccumOffset: 4
; Occupancy: 8
; WaveLimiterHint : 0
; COMPUTE_PGM_RSRC2:SCRATCH_EN: 0
; COMPUTE_PGM_RSRC2:USER_SGPR: 6
; COMPUTE_PGM_RSRC2:TRAP_HANDLER: 0
; COMPUTE_PGM_RSRC2:TGID_X_EN: 1
; COMPUTE_PGM_RSRC2:TGID_Y_EN: 0
; COMPUTE_PGM_RSRC2:TGID_Z_EN: 0
; COMPUTE_PGM_RSRC2:TIDIG_COMP_CNT: 0
; COMPUTE_PGM_RSRC3_GFX90A:ACCUM_OFFSET: 0
; COMPUTE_PGM_RSRC3_GFX90A:TG_SPLIT: 0
	.section	.text._ZN7rocprim17ROCPRIM_400000_NS6detail17trampoline_kernelINS0_14default_configENS1_20scan_config_selectorIsEEZZNS1_9scan_implILNS1_25lookback_scan_determinismE0ELb1ELb1ES3_N6thrust23THRUST_200600_302600_NS6detail15normal_iteratorINS9_10device_ptrIsEEEENS9_16discard_iteratorINS9_11use_defaultEEEs11max_functorIsEsEEDaPvRmT3_T4_T5_mT6_P12ihipStream_tbENKUlT_T0_E_clISt17integral_constantIbLb0EESX_EEDaSS_ST_EUlSS_E0_NS1_11comp_targetILNS1_3genE9ELNS1_11target_archE1100ELNS1_3gpuE3ELNS1_3repE0EEENS1_30default_config_static_selectorELNS0_4arch9wavefront6targetE1EEEvT1_,"axG",@progbits,_ZN7rocprim17ROCPRIM_400000_NS6detail17trampoline_kernelINS0_14default_configENS1_20scan_config_selectorIsEEZZNS1_9scan_implILNS1_25lookback_scan_determinismE0ELb1ELb1ES3_N6thrust23THRUST_200600_302600_NS6detail15normal_iteratorINS9_10device_ptrIsEEEENS9_16discard_iteratorINS9_11use_defaultEEEs11max_functorIsEsEEDaPvRmT3_T4_T5_mT6_P12ihipStream_tbENKUlT_T0_E_clISt17integral_constantIbLb0EESX_EEDaSS_ST_EUlSS_E0_NS1_11comp_targetILNS1_3genE9ELNS1_11target_archE1100ELNS1_3gpuE3ELNS1_3repE0EEENS1_30default_config_static_selectorELNS0_4arch9wavefront6targetE1EEEvT1_,comdat
	.protected	_ZN7rocprim17ROCPRIM_400000_NS6detail17trampoline_kernelINS0_14default_configENS1_20scan_config_selectorIsEEZZNS1_9scan_implILNS1_25lookback_scan_determinismE0ELb1ELb1ES3_N6thrust23THRUST_200600_302600_NS6detail15normal_iteratorINS9_10device_ptrIsEEEENS9_16discard_iteratorINS9_11use_defaultEEEs11max_functorIsEsEEDaPvRmT3_T4_T5_mT6_P12ihipStream_tbENKUlT_T0_E_clISt17integral_constantIbLb0EESX_EEDaSS_ST_EUlSS_E0_NS1_11comp_targetILNS1_3genE9ELNS1_11target_archE1100ELNS1_3gpuE3ELNS1_3repE0EEENS1_30default_config_static_selectorELNS0_4arch9wavefront6targetE1EEEvT1_ ; -- Begin function _ZN7rocprim17ROCPRIM_400000_NS6detail17trampoline_kernelINS0_14default_configENS1_20scan_config_selectorIsEEZZNS1_9scan_implILNS1_25lookback_scan_determinismE0ELb1ELb1ES3_N6thrust23THRUST_200600_302600_NS6detail15normal_iteratorINS9_10device_ptrIsEEEENS9_16discard_iteratorINS9_11use_defaultEEEs11max_functorIsEsEEDaPvRmT3_T4_T5_mT6_P12ihipStream_tbENKUlT_T0_E_clISt17integral_constantIbLb0EESX_EEDaSS_ST_EUlSS_E0_NS1_11comp_targetILNS1_3genE9ELNS1_11target_archE1100ELNS1_3gpuE3ELNS1_3repE0EEENS1_30default_config_static_selectorELNS0_4arch9wavefront6targetE1EEEvT1_
	.globl	_ZN7rocprim17ROCPRIM_400000_NS6detail17trampoline_kernelINS0_14default_configENS1_20scan_config_selectorIsEEZZNS1_9scan_implILNS1_25lookback_scan_determinismE0ELb1ELb1ES3_N6thrust23THRUST_200600_302600_NS6detail15normal_iteratorINS9_10device_ptrIsEEEENS9_16discard_iteratorINS9_11use_defaultEEEs11max_functorIsEsEEDaPvRmT3_T4_T5_mT6_P12ihipStream_tbENKUlT_T0_E_clISt17integral_constantIbLb0EESX_EEDaSS_ST_EUlSS_E0_NS1_11comp_targetILNS1_3genE9ELNS1_11target_archE1100ELNS1_3gpuE3ELNS1_3repE0EEENS1_30default_config_static_selectorELNS0_4arch9wavefront6targetE1EEEvT1_
	.p2align	8
	.type	_ZN7rocprim17ROCPRIM_400000_NS6detail17trampoline_kernelINS0_14default_configENS1_20scan_config_selectorIsEEZZNS1_9scan_implILNS1_25lookback_scan_determinismE0ELb1ELb1ES3_N6thrust23THRUST_200600_302600_NS6detail15normal_iteratorINS9_10device_ptrIsEEEENS9_16discard_iteratorINS9_11use_defaultEEEs11max_functorIsEsEEDaPvRmT3_T4_T5_mT6_P12ihipStream_tbENKUlT_T0_E_clISt17integral_constantIbLb0EESX_EEDaSS_ST_EUlSS_E0_NS1_11comp_targetILNS1_3genE9ELNS1_11target_archE1100ELNS1_3gpuE3ELNS1_3repE0EEENS1_30default_config_static_selectorELNS0_4arch9wavefront6targetE1EEEvT1_,@function
_ZN7rocprim17ROCPRIM_400000_NS6detail17trampoline_kernelINS0_14default_configENS1_20scan_config_selectorIsEEZZNS1_9scan_implILNS1_25lookback_scan_determinismE0ELb1ELb1ES3_N6thrust23THRUST_200600_302600_NS6detail15normal_iteratorINS9_10device_ptrIsEEEENS9_16discard_iteratorINS9_11use_defaultEEEs11max_functorIsEsEEDaPvRmT3_T4_T5_mT6_P12ihipStream_tbENKUlT_T0_E_clISt17integral_constantIbLb0EESX_EEDaSS_ST_EUlSS_E0_NS1_11comp_targetILNS1_3genE9ELNS1_11target_archE1100ELNS1_3gpuE3ELNS1_3repE0EEENS1_30default_config_static_selectorELNS0_4arch9wavefront6targetE1EEEvT1_: ; @_ZN7rocprim17ROCPRIM_400000_NS6detail17trampoline_kernelINS0_14default_configENS1_20scan_config_selectorIsEEZZNS1_9scan_implILNS1_25lookback_scan_determinismE0ELb1ELb1ES3_N6thrust23THRUST_200600_302600_NS6detail15normal_iteratorINS9_10device_ptrIsEEEENS9_16discard_iteratorINS9_11use_defaultEEEs11max_functorIsEsEEDaPvRmT3_T4_T5_mT6_P12ihipStream_tbENKUlT_T0_E_clISt17integral_constantIbLb0EESX_EEDaSS_ST_EUlSS_E0_NS1_11comp_targetILNS1_3genE9ELNS1_11target_archE1100ELNS1_3gpuE3ELNS1_3repE0EEENS1_30default_config_static_selectorELNS0_4arch9wavefront6targetE1EEEvT1_
; %bb.0:
	.section	.rodata,"a",@progbits
	.p2align	6, 0x0
	.amdhsa_kernel _ZN7rocprim17ROCPRIM_400000_NS6detail17trampoline_kernelINS0_14default_configENS1_20scan_config_selectorIsEEZZNS1_9scan_implILNS1_25lookback_scan_determinismE0ELb1ELb1ES3_N6thrust23THRUST_200600_302600_NS6detail15normal_iteratorINS9_10device_ptrIsEEEENS9_16discard_iteratorINS9_11use_defaultEEEs11max_functorIsEsEEDaPvRmT3_T4_T5_mT6_P12ihipStream_tbENKUlT_T0_E_clISt17integral_constantIbLb0EESX_EEDaSS_ST_EUlSS_E0_NS1_11comp_targetILNS1_3genE9ELNS1_11target_archE1100ELNS1_3gpuE3ELNS1_3repE0EEENS1_30default_config_static_selectorELNS0_4arch9wavefront6targetE1EEEvT1_
		.amdhsa_group_segment_fixed_size 0
		.amdhsa_private_segment_fixed_size 0
		.amdhsa_kernarg_size 40
		.amdhsa_user_sgpr_count 6
		.amdhsa_user_sgpr_private_segment_buffer 1
		.amdhsa_user_sgpr_dispatch_ptr 0
		.amdhsa_user_sgpr_queue_ptr 0
		.amdhsa_user_sgpr_kernarg_segment_ptr 1
		.amdhsa_user_sgpr_dispatch_id 0
		.amdhsa_user_sgpr_flat_scratch_init 0
		.amdhsa_user_sgpr_kernarg_preload_length 0
		.amdhsa_user_sgpr_kernarg_preload_offset 0
		.amdhsa_user_sgpr_private_segment_size 0
		.amdhsa_uses_dynamic_stack 0
		.amdhsa_system_sgpr_private_segment_wavefront_offset 0
		.amdhsa_system_sgpr_workgroup_id_x 1
		.amdhsa_system_sgpr_workgroup_id_y 0
		.amdhsa_system_sgpr_workgroup_id_z 0
		.amdhsa_system_sgpr_workgroup_info 0
		.amdhsa_system_vgpr_workitem_id 0
		.amdhsa_next_free_vgpr 1
		.amdhsa_next_free_sgpr 0
		.amdhsa_accum_offset 4
		.amdhsa_reserve_vcc 0
		.amdhsa_reserve_flat_scratch 0
		.amdhsa_float_round_mode_32 0
		.amdhsa_float_round_mode_16_64 0
		.amdhsa_float_denorm_mode_32 3
		.amdhsa_float_denorm_mode_16_64 3
		.amdhsa_dx10_clamp 1
		.amdhsa_ieee_mode 1
		.amdhsa_fp16_overflow 0
		.amdhsa_tg_split 0
		.amdhsa_exception_fp_ieee_invalid_op 0
		.amdhsa_exception_fp_denorm_src 0
		.amdhsa_exception_fp_ieee_div_zero 0
		.amdhsa_exception_fp_ieee_overflow 0
		.amdhsa_exception_fp_ieee_underflow 0
		.amdhsa_exception_fp_ieee_inexact 0
		.amdhsa_exception_int_div_zero 0
	.end_amdhsa_kernel
	.section	.text._ZN7rocprim17ROCPRIM_400000_NS6detail17trampoline_kernelINS0_14default_configENS1_20scan_config_selectorIsEEZZNS1_9scan_implILNS1_25lookback_scan_determinismE0ELb1ELb1ES3_N6thrust23THRUST_200600_302600_NS6detail15normal_iteratorINS9_10device_ptrIsEEEENS9_16discard_iteratorINS9_11use_defaultEEEs11max_functorIsEsEEDaPvRmT3_T4_T5_mT6_P12ihipStream_tbENKUlT_T0_E_clISt17integral_constantIbLb0EESX_EEDaSS_ST_EUlSS_E0_NS1_11comp_targetILNS1_3genE9ELNS1_11target_archE1100ELNS1_3gpuE3ELNS1_3repE0EEENS1_30default_config_static_selectorELNS0_4arch9wavefront6targetE1EEEvT1_,"axG",@progbits,_ZN7rocprim17ROCPRIM_400000_NS6detail17trampoline_kernelINS0_14default_configENS1_20scan_config_selectorIsEEZZNS1_9scan_implILNS1_25lookback_scan_determinismE0ELb1ELb1ES3_N6thrust23THRUST_200600_302600_NS6detail15normal_iteratorINS9_10device_ptrIsEEEENS9_16discard_iteratorINS9_11use_defaultEEEs11max_functorIsEsEEDaPvRmT3_T4_T5_mT6_P12ihipStream_tbENKUlT_T0_E_clISt17integral_constantIbLb0EESX_EEDaSS_ST_EUlSS_E0_NS1_11comp_targetILNS1_3genE9ELNS1_11target_archE1100ELNS1_3gpuE3ELNS1_3repE0EEENS1_30default_config_static_selectorELNS0_4arch9wavefront6targetE1EEEvT1_,comdat
.Lfunc_end4086:
	.size	_ZN7rocprim17ROCPRIM_400000_NS6detail17trampoline_kernelINS0_14default_configENS1_20scan_config_selectorIsEEZZNS1_9scan_implILNS1_25lookback_scan_determinismE0ELb1ELb1ES3_N6thrust23THRUST_200600_302600_NS6detail15normal_iteratorINS9_10device_ptrIsEEEENS9_16discard_iteratorINS9_11use_defaultEEEs11max_functorIsEsEEDaPvRmT3_T4_T5_mT6_P12ihipStream_tbENKUlT_T0_E_clISt17integral_constantIbLb0EESX_EEDaSS_ST_EUlSS_E0_NS1_11comp_targetILNS1_3genE9ELNS1_11target_archE1100ELNS1_3gpuE3ELNS1_3repE0EEENS1_30default_config_static_selectorELNS0_4arch9wavefront6targetE1EEEvT1_, .Lfunc_end4086-_ZN7rocprim17ROCPRIM_400000_NS6detail17trampoline_kernelINS0_14default_configENS1_20scan_config_selectorIsEEZZNS1_9scan_implILNS1_25lookback_scan_determinismE0ELb1ELb1ES3_N6thrust23THRUST_200600_302600_NS6detail15normal_iteratorINS9_10device_ptrIsEEEENS9_16discard_iteratorINS9_11use_defaultEEEs11max_functorIsEsEEDaPvRmT3_T4_T5_mT6_P12ihipStream_tbENKUlT_T0_E_clISt17integral_constantIbLb0EESX_EEDaSS_ST_EUlSS_E0_NS1_11comp_targetILNS1_3genE9ELNS1_11target_archE1100ELNS1_3gpuE3ELNS1_3repE0EEENS1_30default_config_static_selectorELNS0_4arch9wavefront6targetE1EEEvT1_
                                        ; -- End function
	.section	.AMDGPU.csdata,"",@progbits
; Kernel info:
; codeLenInByte = 0
; NumSgprs: 4
; NumVgprs: 0
; NumAgprs: 0
; TotalNumVgprs: 0
; ScratchSize: 0
; MemoryBound: 0
; FloatMode: 240
; IeeeMode: 1
; LDSByteSize: 0 bytes/workgroup (compile time only)
; SGPRBlocks: 0
; VGPRBlocks: 0
; NumSGPRsForWavesPerEU: 4
; NumVGPRsForWavesPerEU: 1
; AccumOffset: 4
; Occupancy: 8
; WaveLimiterHint : 0
; COMPUTE_PGM_RSRC2:SCRATCH_EN: 0
; COMPUTE_PGM_RSRC2:USER_SGPR: 6
; COMPUTE_PGM_RSRC2:TRAP_HANDLER: 0
; COMPUTE_PGM_RSRC2:TGID_X_EN: 1
; COMPUTE_PGM_RSRC2:TGID_Y_EN: 0
; COMPUTE_PGM_RSRC2:TGID_Z_EN: 0
; COMPUTE_PGM_RSRC2:TIDIG_COMP_CNT: 0
; COMPUTE_PGM_RSRC3_GFX90A:ACCUM_OFFSET: 0
; COMPUTE_PGM_RSRC3_GFX90A:TG_SPLIT: 0
	.section	.text._ZN7rocprim17ROCPRIM_400000_NS6detail17trampoline_kernelINS0_14default_configENS1_20scan_config_selectorIsEEZZNS1_9scan_implILNS1_25lookback_scan_determinismE0ELb1ELb1ES3_N6thrust23THRUST_200600_302600_NS6detail15normal_iteratorINS9_10device_ptrIsEEEENS9_16discard_iteratorINS9_11use_defaultEEEs11max_functorIsEsEEDaPvRmT3_T4_T5_mT6_P12ihipStream_tbENKUlT_T0_E_clISt17integral_constantIbLb0EESX_EEDaSS_ST_EUlSS_E0_NS1_11comp_targetILNS1_3genE8ELNS1_11target_archE1030ELNS1_3gpuE2ELNS1_3repE0EEENS1_30default_config_static_selectorELNS0_4arch9wavefront6targetE1EEEvT1_,"axG",@progbits,_ZN7rocprim17ROCPRIM_400000_NS6detail17trampoline_kernelINS0_14default_configENS1_20scan_config_selectorIsEEZZNS1_9scan_implILNS1_25lookback_scan_determinismE0ELb1ELb1ES3_N6thrust23THRUST_200600_302600_NS6detail15normal_iteratorINS9_10device_ptrIsEEEENS9_16discard_iteratorINS9_11use_defaultEEEs11max_functorIsEsEEDaPvRmT3_T4_T5_mT6_P12ihipStream_tbENKUlT_T0_E_clISt17integral_constantIbLb0EESX_EEDaSS_ST_EUlSS_E0_NS1_11comp_targetILNS1_3genE8ELNS1_11target_archE1030ELNS1_3gpuE2ELNS1_3repE0EEENS1_30default_config_static_selectorELNS0_4arch9wavefront6targetE1EEEvT1_,comdat
	.protected	_ZN7rocprim17ROCPRIM_400000_NS6detail17trampoline_kernelINS0_14default_configENS1_20scan_config_selectorIsEEZZNS1_9scan_implILNS1_25lookback_scan_determinismE0ELb1ELb1ES3_N6thrust23THRUST_200600_302600_NS6detail15normal_iteratorINS9_10device_ptrIsEEEENS9_16discard_iteratorINS9_11use_defaultEEEs11max_functorIsEsEEDaPvRmT3_T4_T5_mT6_P12ihipStream_tbENKUlT_T0_E_clISt17integral_constantIbLb0EESX_EEDaSS_ST_EUlSS_E0_NS1_11comp_targetILNS1_3genE8ELNS1_11target_archE1030ELNS1_3gpuE2ELNS1_3repE0EEENS1_30default_config_static_selectorELNS0_4arch9wavefront6targetE1EEEvT1_ ; -- Begin function _ZN7rocprim17ROCPRIM_400000_NS6detail17trampoline_kernelINS0_14default_configENS1_20scan_config_selectorIsEEZZNS1_9scan_implILNS1_25lookback_scan_determinismE0ELb1ELb1ES3_N6thrust23THRUST_200600_302600_NS6detail15normal_iteratorINS9_10device_ptrIsEEEENS9_16discard_iteratorINS9_11use_defaultEEEs11max_functorIsEsEEDaPvRmT3_T4_T5_mT6_P12ihipStream_tbENKUlT_T0_E_clISt17integral_constantIbLb0EESX_EEDaSS_ST_EUlSS_E0_NS1_11comp_targetILNS1_3genE8ELNS1_11target_archE1030ELNS1_3gpuE2ELNS1_3repE0EEENS1_30default_config_static_selectorELNS0_4arch9wavefront6targetE1EEEvT1_
	.globl	_ZN7rocprim17ROCPRIM_400000_NS6detail17trampoline_kernelINS0_14default_configENS1_20scan_config_selectorIsEEZZNS1_9scan_implILNS1_25lookback_scan_determinismE0ELb1ELb1ES3_N6thrust23THRUST_200600_302600_NS6detail15normal_iteratorINS9_10device_ptrIsEEEENS9_16discard_iteratorINS9_11use_defaultEEEs11max_functorIsEsEEDaPvRmT3_T4_T5_mT6_P12ihipStream_tbENKUlT_T0_E_clISt17integral_constantIbLb0EESX_EEDaSS_ST_EUlSS_E0_NS1_11comp_targetILNS1_3genE8ELNS1_11target_archE1030ELNS1_3gpuE2ELNS1_3repE0EEENS1_30default_config_static_selectorELNS0_4arch9wavefront6targetE1EEEvT1_
	.p2align	8
	.type	_ZN7rocprim17ROCPRIM_400000_NS6detail17trampoline_kernelINS0_14default_configENS1_20scan_config_selectorIsEEZZNS1_9scan_implILNS1_25lookback_scan_determinismE0ELb1ELb1ES3_N6thrust23THRUST_200600_302600_NS6detail15normal_iteratorINS9_10device_ptrIsEEEENS9_16discard_iteratorINS9_11use_defaultEEEs11max_functorIsEsEEDaPvRmT3_T4_T5_mT6_P12ihipStream_tbENKUlT_T0_E_clISt17integral_constantIbLb0EESX_EEDaSS_ST_EUlSS_E0_NS1_11comp_targetILNS1_3genE8ELNS1_11target_archE1030ELNS1_3gpuE2ELNS1_3repE0EEENS1_30default_config_static_selectorELNS0_4arch9wavefront6targetE1EEEvT1_,@function
_ZN7rocprim17ROCPRIM_400000_NS6detail17trampoline_kernelINS0_14default_configENS1_20scan_config_selectorIsEEZZNS1_9scan_implILNS1_25lookback_scan_determinismE0ELb1ELb1ES3_N6thrust23THRUST_200600_302600_NS6detail15normal_iteratorINS9_10device_ptrIsEEEENS9_16discard_iteratorINS9_11use_defaultEEEs11max_functorIsEsEEDaPvRmT3_T4_T5_mT6_P12ihipStream_tbENKUlT_T0_E_clISt17integral_constantIbLb0EESX_EEDaSS_ST_EUlSS_E0_NS1_11comp_targetILNS1_3genE8ELNS1_11target_archE1030ELNS1_3gpuE2ELNS1_3repE0EEENS1_30default_config_static_selectorELNS0_4arch9wavefront6targetE1EEEvT1_: ; @_ZN7rocprim17ROCPRIM_400000_NS6detail17trampoline_kernelINS0_14default_configENS1_20scan_config_selectorIsEEZZNS1_9scan_implILNS1_25lookback_scan_determinismE0ELb1ELb1ES3_N6thrust23THRUST_200600_302600_NS6detail15normal_iteratorINS9_10device_ptrIsEEEENS9_16discard_iteratorINS9_11use_defaultEEEs11max_functorIsEsEEDaPvRmT3_T4_T5_mT6_P12ihipStream_tbENKUlT_T0_E_clISt17integral_constantIbLb0EESX_EEDaSS_ST_EUlSS_E0_NS1_11comp_targetILNS1_3genE8ELNS1_11target_archE1030ELNS1_3gpuE2ELNS1_3repE0EEENS1_30default_config_static_selectorELNS0_4arch9wavefront6targetE1EEEvT1_
; %bb.0:
	.section	.rodata,"a",@progbits
	.p2align	6, 0x0
	.amdhsa_kernel _ZN7rocprim17ROCPRIM_400000_NS6detail17trampoline_kernelINS0_14default_configENS1_20scan_config_selectorIsEEZZNS1_9scan_implILNS1_25lookback_scan_determinismE0ELb1ELb1ES3_N6thrust23THRUST_200600_302600_NS6detail15normal_iteratorINS9_10device_ptrIsEEEENS9_16discard_iteratorINS9_11use_defaultEEEs11max_functorIsEsEEDaPvRmT3_T4_T5_mT6_P12ihipStream_tbENKUlT_T0_E_clISt17integral_constantIbLb0EESX_EEDaSS_ST_EUlSS_E0_NS1_11comp_targetILNS1_3genE8ELNS1_11target_archE1030ELNS1_3gpuE2ELNS1_3repE0EEENS1_30default_config_static_selectorELNS0_4arch9wavefront6targetE1EEEvT1_
		.amdhsa_group_segment_fixed_size 0
		.amdhsa_private_segment_fixed_size 0
		.amdhsa_kernarg_size 40
		.amdhsa_user_sgpr_count 6
		.amdhsa_user_sgpr_private_segment_buffer 1
		.amdhsa_user_sgpr_dispatch_ptr 0
		.amdhsa_user_sgpr_queue_ptr 0
		.amdhsa_user_sgpr_kernarg_segment_ptr 1
		.amdhsa_user_sgpr_dispatch_id 0
		.amdhsa_user_sgpr_flat_scratch_init 0
		.amdhsa_user_sgpr_kernarg_preload_length 0
		.amdhsa_user_sgpr_kernarg_preload_offset 0
		.amdhsa_user_sgpr_private_segment_size 0
		.amdhsa_uses_dynamic_stack 0
		.amdhsa_system_sgpr_private_segment_wavefront_offset 0
		.amdhsa_system_sgpr_workgroup_id_x 1
		.amdhsa_system_sgpr_workgroup_id_y 0
		.amdhsa_system_sgpr_workgroup_id_z 0
		.amdhsa_system_sgpr_workgroup_info 0
		.amdhsa_system_vgpr_workitem_id 0
		.amdhsa_next_free_vgpr 1
		.amdhsa_next_free_sgpr 0
		.amdhsa_accum_offset 4
		.amdhsa_reserve_vcc 0
		.amdhsa_reserve_flat_scratch 0
		.amdhsa_float_round_mode_32 0
		.amdhsa_float_round_mode_16_64 0
		.amdhsa_float_denorm_mode_32 3
		.amdhsa_float_denorm_mode_16_64 3
		.amdhsa_dx10_clamp 1
		.amdhsa_ieee_mode 1
		.amdhsa_fp16_overflow 0
		.amdhsa_tg_split 0
		.amdhsa_exception_fp_ieee_invalid_op 0
		.amdhsa_exception_fp_denorm_src 0
		.amdhsa_exception_fp_ieee_div_zero 0
		.amdhsa_exception_fp_ieee_overflow 0
		.amdhsa_exception_fp_ieee_underflow 0
		.amdhsa_exception_fp_ieee_inexact 0
		.amdhsa_exception_int_div_zero 0
	.end_amdhsa_kernel
	.section	.text._ZN7rocprim17ROCPRIM_400000_NS6detail17trampoline_kernelINS0_14default_configENS1_20scan_config_selectorIsEEZZNS1_9scan_implILNS1_25lookback_scan_determinismE0ELb1ELb1ES3_N6thrust23THRUST_200600_302600_NS6detail15normal_iteratorINS9_10device_ptrIsEEEENS9_16discard_iteratorINS9_11use_defaultEEEs11max_functorIsEsEEDaPvRmT3_T4_T5_mT6_P12ihipStream_tbENKUlT_T0_E_clISt17integral_constantIbLb0EESX_EEDaSS_ST_EUlSS_E0_NS1_11comp_targetILNS1_3genE8ELNS1_11target_archE1030ELNS1_3gpuE2ELNS1_3repE0EEENS1_30default_config_static_selectorELNS0_4arch9wavefront6targetE1EEEvT1_,"axG",@progbits,_ZN7rocprim17ROCPRIM_400000_NS6detail17trampoline_kernelINS0_14default_configENS1_20scan_config_selectorIsEEZZNS1_9scan_implILNS1_25lookback_scan_determinismE0ELb1ELb1ES3_N6thrust23THRUST_200600_302600_NS6detail15normal_iteratorINS9_10device_ptrIsEEEENS9_16discard_iteratorINS9_11use_defaultEEEs11max_functorIsEsEEDaPvRmT3_T4_T5_mT6_P12ihipStream_tbENKUlT_T0_E_clISt17integral_constantIbLb0EESX_EEDaSS_ST_EUlSS_E0_NS1_11comp_targetILNS1_3genE8ELNS1_11target_archE1030ELNS1_3gpuE2ELNS1_3repE0EEENS1_30default_config_static_selectorELNS0_4arch9wavefront6targetE1EEEvT1_,comdat
.Lfunc_end4087:
	.size	_ZN7rocprim17ROCPRIM_400000_NS6detail17trampoline_kernelINS0_14default_configENS1_20scan_config_selectorIsEEZZNS1_9scan_implILNS1_25lookback_scan_determinismE0ELb1ELb1ES3_N6thrust23THRUST_200600_302600_NS6detail15normal_iteratorINS9_10device_ptrIsEEEENS9_16discard_iteratorINS9_11use_defaultEEEs11max_functorIsEsEEDaPvRmT3_T4_T5_mT6_P12ihipStream_tbENKUlT_T0_E_clISt17integral_constantIbLb0EESX_EEDaSS_ST_EUlSS_E0_NS1_11comp_targetILNS1_3genE8ELNS1_11target_archE1030ELNS1_3gpuE2ELNS1_3repE0EEENS1_30default_config_static_selectorELNS0_4arch9wavefront6targetE1EEEvT1_, .Lfunc_end4087-_ZN7rocprim17ROCPRIM_400000_NS6detail17trampoline_kernelINS0_14default_configENS1_20scan_config_selectorIsEEZZNS1_9scan_implILNS1_25lookback_scan_determinismE0ELb1ELb1ES3_N6thrust23THRUST_200600_302600_NS6detail15normal_iteratorINS9_10device_ptrIsEEEENS9_16discard_iteratorINS9_11use_defaultEEEs11max_functorIsEsEEDaPvRmT3_T4_T5_mT6_P12ihipStream_tbENKUlT_T0_E_clISt17integral_constantIbLb0EESX_EEDaSS_ST_EUlSS_E0_NS1_11comp_targetILNS1_3genE8ELNS1_11target_archE1030ELNS1_3gpuE2ELNS1_3repE0EEENS1_30default_config_static_selectorELNS0_4arch9wavefront6targetE1EEEvT1_
                                        ; -- End function
	.section	.AMDGPU.csdata,"",@progbits
; Kernel info:
; codeLenInByte = 0
; NumSgprs: 4
; NumVgprs: 0
; NumAgprs: 0
; TotalNumVgprs: 0
; ScratchSize: 0
; MemoryBound: 0
; FloatMode: 240
; IeeeMode: 1
; LDSByteSize: 0 bytes/workgroup (compile time only)
; SGPRBlocks: 0
; VGPRBlocks: 0
; NumSGPRsForWavesPerEU: 4
; NumVGPRsForWavesPerEU: 1
; AccumOffset: 4
; Occupancy: 8
; WaveLimiterHint : 0
; COMPUTE_PGM_RSRC2:SCRATCH_EN: 0
; COMPUTE_PGM_RSRC2:USER_SGPR: 6
; COMPUTE_PGM_RSRC2:TRAP_HANDLER: 0
; COMPUTE_PGM_RSRC2:TGID_X_EN: 1
; COMPUTE_PGM_RSRC2:TGID_Y_EN: 0
; COMPUTE_PGM_RSRC2:TGID_Z_EN: 0
; COMPUTE_PGM_RSRC2:TIDIG_COMP_CNT: 0
; COMPUTE_PGM_RSRC3_GFX90A:ACCUM_OFFSET: 0
; COMPUTE_PGM_RSRC3_GFX90A:TG_SPLIT: 0
	.section	.text._ZN7rocprim17ROCPRIM_400000_NS6detail17trampoline_kernelINS0_14default_configENS1_20scan_config_selectorIsEEZZNS1_9scan_implILNS1_25lookback_scan_determinismE0ELb1ELb1ES3_N6thrust23THRUST_200600_302600_NS6detail15normal_iteratorINS9_10device_ptrIsEEEENS9_16discard_iteratorINS9_11use_defaultEEEs11max_functorIsEsEEDaPvRmT3_T4_T5_mT6_P12ihipStream_tbENKUlT_T0_E_clISt17integral_constantIbLb1EESX_EEDaSS_ST_EUlSS_E_NS1_11comp_targetILNS1_3genE0ELNS1_11target_archE4294967295ELNS1_3gpuE0ELNS1_3repE0EEENS1_30default_config_static_selectorELNS0_4arch9wavefront6targetE1EEEvT1_,"axG",@progbits,_ZN7rocprim17ROCPRIM_400000_NS6detail17trampoline_kernelINS0_14default_configENS1_20scan_config_selectorIsEEZZNS1_9scan_implILNS1_25lookback_scan_determinismE0ELb1ELb1ES3_N6thrust23THRUST_200600_302600_NS6detail15normal_iteratorINS9_10device_ptrIsEEEENS9_16discard_iteratorINS9_11use_defaultEEEs11max_functorIsEsEEDaPvRmT3_T4_T5_mT6_P12ihipStream_tbENKUlT_T0_E_clISt17integral_constantIbLb1EESX_EEDaSS_ST_EUlSS_E_NS1_11comp_targetILNS1_3genE0ELNS1_11target_archE4294967295ELNS1_3gpuE0ELNS1_3repE0EEENS1_30default_config_static_selectorELNS0_4arch9wavefront6targetE1EEEvT1_,comdat
	.protected	_ZN7rocprim17ROCPRIM_400000_NS6detail17trampoline_kernelINS0_14default_configENS1_20scan_config_selectorIsEEZZNS1_9scan_implILNS1_25lookback_scan_determinismE0ELb1ELb1ES3_N6thrust23THRUST_200600_302600_NS6detail15normal_iteratorINS9_10device_ptrIsEEEENS9_16discard_iteratorINS9_11use_defaultEEEs11max_functorIsEsEEDaPvRmT3_T4_T5_mT6_P12ihipStream_tbENKUlT_T0_E_clISt17integral_constantIbLb1EESX_EEDaSS_ST_EUlSS_E_NS1_11comp_targetILNS1_3genE0ELNS1_11target_archE4294967295ELNS1_3gpuE0ELNS1_3repE0EEENS1_30default_config_static_selectorELNS0_4arch9wavefront6targetE1EEEvT1_ ; -- Begin function _ZN7rocprim17ROCPRIM_400000_NS6detail17trampoline_kernelINS0_14default_configENS1_20scan_config_selectorIsEEZZNS1_9scan_implILNS1_25lookback_scan_determinismE0ELb1ELb1ES3_N6thrust23THRUST_200600_302600_NS6detail15normal_iteratorINS9_10device_ptrIsEEEENS9_16discard_iteratorINS9_11use_defaultEEEs11max_functorIsEsEEDaPvRmT3_T4_T5_mT6_P12ihipStream_tbENKUlT_T0_E_clISt17integral_constantIbLb1EESX_EEDaSS_ST_EUlSS_E_NS1_11comp_targetILNS1_3genE0ELNS1_11target_archE4294967295ELNS1_3gpuE0ELNS1_3repE0EEENS1_30default_config_static_selectorELNS0_4arch9wavefront6targetE1EEEvT1_
	.globl	_ZN7rocprim17ROCPRIM_400000_NS6detail17trampoline_kernelINS0_14default_configENS1_20scan_config_selectorIsEEZZNS1_9scan_implILNS1_25lookback_scan_determinismE0ELb1ELb1ES3_N6thrust23THRUST_200600_302600_NS6detail15normal_iteratorINS9_10device_ptrIsEEEENS9_16discard_iteratorINS9_11use_defaultEEEs11max_functorIsEsEEDaPvRmT3_T4_T5_mT6_P12ihipStream_tbENKUlT_T0_E_clISt17integral_constantIbLb1EESX_EEDaSS_ST_EUlSS_E_NS1_11comp_targetILNS1_3genE0ELNS1_11target_archE4294967295ELNS1_3gpuE0ELNS1_3repE0EEENS1_30default_config_static_selectorELNS0_4arch9wavefront6targetE1EEEvT1_
	.p2align	8
	.type	_ZN7rocprim17ROCPRIM_400000_NS6detail17trampoline_kernelINS0_14default_configENS1_20scan_config_selectorIsEEZZNS1_9scan_implILNS1_25lookback_scan_determinismE0ELb1ELb1ES3_N6thrust23THRUST_200600_302600_NS6detail15normal_iteratorINS9_10device_ptrIsEEEENS9_16discard_iteratorINS9_11use_defaultEEEs11max_functorIsEsEEDaPvRmT3_T4_T5_mT6_P12ihipStream_tbENKUlT_T0_E_clISt17integral_constantIbLb1EESX_EEDaSS_ST_EUlSS_E_NS1_11comp_targetILNS1_3genE0ELNS1_11target_archE4294967295ELNS1_3gpuE0ELNS1_3repE0EEENS1_30default_config_static_selectorELNS0_4arch9wavefront6targetE1EEEvT1_,@function
_ZN7rocprim17ROCPRIM_400000_NS6detail17trampoline_kernelINS0_14default_configENS1_20scan_config_selectorIsEEZZNS1_9scan_implILNS1_25lookback_scan_determinismE0ELb1ELb1ES3_N6thrust23THRUST_200600_302600_NS6detail15normal_iteratorINS9_10device_ptrIsEEEENS9_16discard_iteratorINS9_11use_defaultEEEs11max_functorIsEsEEDaPvRmT3_T4_T5_mT6_P12ihipStream_tbENKUlT_T0_E_clISt17integral_constantIbLb1EESX_EEDaSS_ST_EUlSS_E_NS1_11comp_targetILNS1_3genE0ELNS1_11target_archE4294967295ELNS1_3gpuE0ELNS1_3repE0EEENS1_30default_config_static_selectorELNS0_4arch9wavefront6targetE1EEEvT1_: ; @_ZN7rocprim17ROCPRIM_400000_NS6detail17trampoline_kernelINS0_14default_configENS1_20scan_config_selectorIsEEZZNS1_9scan_implILNS1_25lookback_scan_determinismE0ELb1ELb1ES3_N6thrust23THRUST_200600_302600_NS6detail15normal_iteratorINS9_10device_ptrIsEEEENS9_16discard_iteratorINS9_11use_defaultEEEs11max_functorIsEsEEDaPvRmT3_T4_T5_mT6_P12ihipStream_tbENKUlT_T0_E_clISt17integral_constantIbLb1EESX_EEDaSS_ST_EUlSS_E_NS1_11comp_targetILNS1_3genE0ELNS1_11target_archE4294967295ELNS1_3gpuE0ELNS1_3repE0EEENS1_30default_config_static_selectorELNS0_4arch9wavefront6targetE1EEEvT1_
; %bb.0:
	.section	.rodata,"a",@progbits
	.p2align	6, 0x0
	.amdhsa_kernel _ZN7rocprim17ROCPRIM_400000_NS6detail17trampoline_kernelINS0_14default_configENS1_20scan_config_selectorIsEEZZNS1_9scan_implILNS1_25lookback_scan_determinismE0ELb1ELb1ES3_N6thrust23THRUST_200600_302600_NS6detail15normal_iteratorINS9_10device_ptrIsEEEENS9_16discard_iteratorINS9_11use_defaultEEEs11max_functorIsEsEEDaPvRmT3_T4_T5_mT6_P12ihipStream_tbENKUlT_T0_E_clISt17integral_constantIbLb1EESX_EEDaSS_ST_EUlSS_E_NS1_11comp_targetILNS1_3genE0ELNS1_11target_archE4294967295ELNS1_3gpuE0ELNS1_3repE0EEENS1_30default_config_static_selectorELNS0_4arch9wavefront6targetE1EEEvT1_
		.amdhsa_group_segment_fixed_size 0
		.amdhsa_private_segment_fixed_size 0
		.amdhsa_kernarg_size 104
		.amdhsa_user_sgpr_count 6
		.amdhsa_user_sgpr_private_segment_buffer 1
		.amdhsa_user_sgpr_dispatch_ptr 0
		.amdhsa_user_sgpr_queue_ptr 0
		.amdhsa_user_sgpr_kernarg_segment_ptr 1
		.amdhsa_user_sgpr_dispatch_id 0
		.amdhsa_user_sgpr_flat_scratch_init 0
		.amdhsa_user_sgpr_kernarg_preload_length 0
		.amdhsa_user_sgpr_kernarg_preload_offset 0
		.amdhsa_user_sgpr_private_segment_size 0
		.amdhsa_uses_dynamic_stack 0
		.amdhsa_system_sgpr_private_segment_wavefront_offset 0
		.amdhsa_system_sgpr_workgroup_id_x 1
		.amdhsa_system_sgpr_workgroup_id_y 0
		.amdhsa_system_sgpr_workgroup_id_z 0
		.amdhsa_system_sgpr_workgroup_info 0
		.amdhsa_system_vgpr_workitem_id 0
		.amdhsa_next_free_vgpr 1
		.amdhsa_next_free_sgpr 0
		.amdhsa_accum_offset 4
		.amdhsa_reserve_vcc 0
		.amdhsa_reserve_flat_scratch 0
		.amdhsa_float_round_mode_32 0
		.amdhsa_float_round_mode_16_64 0
		.amdhsa_float_denorm_mode_32 3
		.amdhsa_float_denorm_mode_16_64 3
		.amdhsa_dx10_clamp 1
		.amdhsa_ieee_mode 1
		.amdhsa_fp16_overflow 0
		.amdhsa_tg_split 0
		.amdhsa_exception_fp_ieee_invalid_op 0
		.amdhsa_exception_fp_denorm_src 0
		.amdhsa_exception_fp_ieee_div_zero 0
		.amdhsa_exception_fp_ieee_overflow 0
		.amdhsa_exception_fp_ieee_underflow 0
		.amdhsa_exception_fp_ieee_inexact 0
		.amdhsa_exception_int_div_zero 0
	.end_amdhsa_kernel
	.section	.text._ZN7rocprim17ROCPRIM_400000_NS6detail17trampoline_kernelINS0_14default_configENS1_20scan_config_selectorIsEEZZNS1_9scan_implILNS1_25lookback_scan_determinismE0ELb1ELb1ES3_N6thrust23THRUST_200600_302600_NS6detail15normal_iteratorINS9_10device_ptrIsEEEENS9_16discard_iteratorINS9_11use_defaultEEEs11max_functorIsEsEEDaPvRmT3_T4_T5_mT6_P12ihipStream_tbENKUlT_T0_E_clISt17integral_constantIbLb1EESX_EEDaSS_ST_EUlSS_E_NS1_11comp_targetILNS1_3genE0ELNS1_11target_archE4294967295ELNS1_3gpuE0ELNS1_3repE0EEENS1_30default_config_static_selectorELNS0_4arch9wavefront6targetE1EEEvT1_,"axG",@progbits,_ZN7rocprim17ROCPRIM_400000_NS6detail17trampoline_kernelINS0_14default_configENS1_20scan_config_selectorIsEEZZNS1_9scan_implILNS1_25lookback_scan_determinismE0ELb1ELb1ES3_N6thrust23THRUST_200600_302600_NS6detail15normal_iteratorINS9_10device_ptrIsEEEENS9_16discard_iteratorINS9_11use_defaultEEEs11max_functorIsEsEEDaPvRmT3_T4_T5_mT6_P12ihipStream_tbENKUlT_T0_E_clISt17integral_constantIbLb1EESX_EEDaSS_ST_EUlSS_E_NS1_11comp_targetILNS1_3genE0ELNS1_11target_archE4294967295ELNS1_3gpuE0ELNS1_3repE0EEENS1_30default_config_static_selectorELNS0_4arch9wavefront6targetE1EEEvT1_,comdat
.Lfunc_end4088:
	.size	_ZN7rocprim17ROCPRIM_400000_NS6detail17trampoline_kernelINS0_14default_configENS1_20scan_config_selectorIsEEZZNS1_9scan_implILNS1_25lookback_scan_determinismE0ELb1ELb1ES3_N6thrust23THRUST_200600_302600_NS6detail15normal_iteratorINS9_10device_ptrIsEEEENS9_16discard_iteratorINS9_11use_defaultEEEs11max_functorIsEsEEDaPvRmT3_T4_T5_mT6_P12ihipStream_tbENKUlT_T0_E_clISt17integral_constantIbLb1EESX_EEDaSS_ST_EUlSS_E_NS1_11comp_targetILNS1_3genE0ELNS1_11target_archE4294967295ELNS1_3gpuE0ELNS1_3repE0EEENS1_30default_config_static_selectorELNS0_4arch9wavefront6targetE1EEEvT1_, .Lfunc_end4088-_ZN7rocprim17ROCPRIM_400000_NS6detail17trampoline_kernelINS0_14default_configENS1_20scan_config_selectorIsEEZZNS1_9scan_implILNS1_25lookback_scan_determinismE0ELb1ELb1ES3_N6thrust23THRUST_200600_302600_NS6detail15normal_iteratorINS9_10device_ptrIsEEEENS9_16discard_iteratorINS9_11use_defaultEEEs11max_functorIsEsEEDaPvRmT3_T4_T5_mT6_P12ihipStream_tbENKUlT_T0_E_clISt17integral_constantIbLb1EESX_EEDaSS_ST_EUlSS_E_NS1_11comp_targetILNS1_3genE0ELNS1_11target_archE4294967295ELNS1_3gpuE0ELNS1_3repE0EEENS1_30default_config_static_selectorELNS0_4arch9wavefront6targetE1EEEvT1_
                                        ; -- End function
	.section	.AMDGPU.csdata,"",@progbits
; Kernel info:
; codeLenInByte = 0
; NumSgprs: 4
; NumVgprs: 0
; NumAgprs: 0
; TotalNumVgprs: 0
; ScratchSize: 0
; MemoryBound: 0
; FloatMode: 240
; IeeeMode: 1
; LDSByteSize: 0 bytes/workgroup (compile time only)
; SGPRBlocks: 0
; VGPRBlocks: 0
; NumSGPRsForWavesPerEU: 4
; NumVGPRsForWavesPerEU: 1
; AccumOffset: 4
; Occupancy: 8
; WaveLimiterHint : 0
; COMPUTE_PGM_RSRC2:SCRATCH_EN: 0
; COMPUTE_PGM_RSRC2:USER_SGPR: 6
; COMPUTE_PGM_RSRC2:TRAP_HANDLER: 0
; COMPUTE_PGM_RSRC2:TGID_X_EN: 1
; COMPUTE_PGM_RSRC2:TGID_Y_EN: 0
; COMPUTE_PGM_RSRC2:TGID_Z_EN: 0
; COMPUTE_PGM_RSRC2:TIDIG_COMP_CNT: 0
; COMPUTE_PGM_RSRC3_GFX90A:ACCUM_OFFSET: 0
; COMPUTE_PGM_RSRC3_GFX90A:TG_SPLIT: 0
	.section	.text._ZN7rocprim17ROCPRIM_400000_NS6detail17trampoline_kernelINS0_14default_configENS1_20scan_config_selectorIsEEZZNS1_9scan_implILNS1_25lookback_scan_determinismE0ELb1ELb1ES3_N6thrust23THRUST_200600_302600_NS6detail15normal_iteratorINS9_10device_ptrIsEEEENS9_16discard_iteratorINS9_11use_defaultEEEs11max_functorIsEsEEDaPvRmT3_T4_T5_mT6_P12ihipStream_tbENKUlT_T0_E_clISt17integral_constantIbLb1EESX_EEDaSS_ST_EUlSS_E_NS1_11comp_targetILNS1_3genE5ELNS1_11target_archE942ELNS1_3gpuE9ELNS1_3repE0EEENS1_30default_config_static_selectorELNS0_4arch9wavefront6targetE1EEEvT1_,"axG",@progbits,_ZN7rocprim17ROCPRIM_400000_NS6detail17trampoline_kernelINS0_14default_configENS1_20scan_config_selectorIsEEZZNS1_9scan_implILNS1_25lookback_scan_determinismE0ELb1ELb1ES3_N6thrust23THRUST_200600_302600_NS6detail15normal_iteratorINS9_10device_ptrIsEEEENS9_16discard_iteratorINS9_11use_defaultEEEs11max_functorIsEsEEDaPvRmT3_T4_T5_mT6_P12ihipStream_tbENKUlT_T0_E_clISt17integral_constantIbLb1EESX_EEDaSS_ST_EUlSS_E_NS1_11comp_targetILNS1_3genE5ELNS1_11target_archE942ELNS1_3gpuE9ELNS1_3repE0EEENS1_30default_config_static_selectorELNS0_4arch9wavefront6targetE1EEEvT1_,comdat
	.protected	_ZN7rocprim17ROCPRIM_400000_NS6detail17trampoline_kernelINS0_14default_configENS1_20scan_config_selectorIsEEZZNS1_9scan_implILNS1_25lookback_scan_determinismE0ELb1ELb1ES3_N6thrust23THRUST_200600_302600_NS6detail15normal_iteratorINS9_10device_ptrIsEEEENS9_16discard_iteratorINS9_11use_defaultEEEs11max_functorIsEsEEDaPvRmT3_T4_T5_mT6_P12ihipStream_tbENKUlT_T0_E_clISt17integral_constantIbLb1EESX_EEDaSS_ST_EUlSS_E_NS1_11comp_targetILNS1_3genE5ELNS1_11target_archE942ELNS1_3gpuE9ELNS1_3repE0EEENS1_30default_config_static_selectorELNS0_4arch9wavefront6targetE1EEEvT1_ ; -- Begin function _ZN7rocprim17ROCPRIM_400000_NS6detail17trampoline_kernelINS0_14default_configENS1_20scan_config_selectorIsEEZZNS1_9scan_implILNS1_25lookback_scan_determinismE0ELb1ELb1ES3_N6thrust23THRUST_200600_302600_NS6detail15normal_iteratorINS9_10device_ptrIsEEEENS9_16discard_iteratorINS9_11use_defaultEEEs11max_functorIsEsEEDaPvRmT3_T4_T5_mT6_P12ihipStream_tbENKUlT_T0_E_clISt17integral_constantIbLb1EESX_EEDaSS_ST_EUlSS_E_NS1_11comp_targetILNS1_3genE5ELNS1_11target_archE942ELNS1_3gpuE9ELNS1_3repE0EEENS1_30default_config_static_selectorELNS0_4arch9wavefront6targetE1EEEvT1_
	.globl	_ZN7rocprim17ROCPRIM_400000_NS6detail17trampoline_kernelINS0_14default_configENS1_20scan_config_selectorIsEEZZNS1_9scan_implILNS1_25lookback_scan_determinismE0ELb1ELb1ES3_N6thrust23THRUST_200600_302600_NS6detail15normal_iteratorINS9_10device_ptrIsEEEENS9_16discard_iteratorINS9_11use_defaultEEEs11max_functorIsEsEEDaPvRmT3_T4_T5_mT6_P12ihipStream_tbENKUlT_T0_E_clISt17integral_constantIbLb1EESX_EEDaSS_ST_EUlSS_E_NS1_11comp_targetILNS1_3genE5ELNS1_11target_archE942ELNS1_3gpuE9ELNS1_3repE0EEENS1_30default_config_static_selectorELNS0_4arch9wavefront6targetE1EEEvT1_
	.p2align	8
	.type	_ZN7rocprim17ROCPRIM_400000_NS6detail17trampoline_kernelINS0_14default_configENS1_20scan_config_selectorIsEEZZNS1_9scan_implILNS1_25lookback_scan_determinismE0ELb1ELb1ES3_N6thrust23THRUST_200600_302600_NS6detail15normal_iteratorINS9_10device_ptrIsEEEENS9_16discard_iteratorINS9_11use_defaultEEEs11max_functorIsEsEEDaPvRmT3_T4_T5_mT6_P12ihipStream_tbENKUlT_T0_E_clISt17integral_constantIbLb1EESX_EEDaSS_ST_EUlSS_E_NS1_11comp_targetILNS1_3genE5ELNS1_11target_archE942ELNS1_3gpuE9ELNS1_3repE0EEENS1_30default_config_static_selectorELNS0_4arch9wavefront6targetE1EEEvT1_,@function
_ZN7rocprim17ROCPRIM_400000_NS6detail17trampoline_kernelINS0_14default_configENS1_20scan_config_selectorIsEEZZNS1_9scan_implILNS1_25lookback_scan_determinismE0ELb1ELb1ES3_N6thrust23THRUST_200600_302600_NS6detail15normal_iteratorINS9_10device_ptrIsEEEENS9_16discard_iteratorINS9_11use_defaultEEEs11max_functorIsEsEEDaPvRmT3_T4_T5_mT6_P12ihipStream_tbENKUlT_T0_E_clISt17integral_constantIbLb1EESX_EEDaSS_ST_EUlSS_E_NS1_11comp_targetILNS1_3genE5ELNS1_11target_archE942ELNS1_3gpuE9ELNS1_3repE0EEENS1_30default_config_static_selectorELNS0_4arch9wavefront6targetE1EEEvT1_: ; @_ZN7rocprim17ROCPRIM_400000_NS6detail17trampoline_kernelINS0_14default_configENS1_20scan_config_selectorIsEEZZNS1_9scan_implILNS1_25lookback_scan_determinismE0ELb1ELb1ES3_N6thrust23THRUST_200600_302600_NS6detail15normal_iteratorINS9_10device_ptrIsEEEENS9_16discard_iteratorINS9_11use_defaultEEEs11max_functorIsEsEEDaPvRmT3_T4_T5_mT6_P12ihipStream_tbENKUlT_T0_E_clISt17integral_constantIbLb1EESX_EEDaSS_ST_EUlSS_E_NS1_11comp_targetILNS1_3genE5ELNS1_11target_archE942ELNS1_3gpuE9ELNS1_3repE0EEENS1_30default_config_static_selectorELNS0_4arch9wavefront6targetE1EEEvT1_
; %bb.0:
	.section	.rodata,"a",@progbits
	.p2align	6, 0x0
	.amdhsa_kernel _ZN7rocprim17ROCPRIM_400000_NS6detail17trampoline_kernelINS0_14default_configENS1_20scan_config_selectorIsEEZZNS1_9scan_implILNS1_25lookback_scan_determinismE0ELb1ELb1ES3_N6thrust23THRUST_200600_302600_NS6detail15normal_iteratorINS9_10device_ptrIsEEEENS9_16discard_iteratorINS9_11use_defaultEEEs11max_functorIsEsEEDaPvRmT3_T4_T5_mT6_P12ihipStream_tbENKUlT_T0_E_clISt17integral_constantIbLb1EESX_EEDaSS_ST_EUlSS_E_NS1_11comp_targetILNS1_3genE5ELNS1_11target_archE942ELNS1_3gpuE9ELNS1_3repE0EEENS1_30default_config_static_selectorELNS0_4arch9wavefront6targetE1EEEvT1_
		.amdhsa_group_segment_fixed_size 0
		.amdhsa_private_segment_fixed_size 0
		.amdhsa_kernarg_size 104
		.amdhsa_user_sgpr_count 6
		.amdhsa_user_sgpr_private_segment_buffer 1
		.amdhsa_user_sgpr_dispatch_ptr 0
		.amdhsa_user_sgpr_queue_ptr 0
		.amdhsa_user_sgpr_kernarg_segment_ptr 1
		.amdhsa_user_sgpr_dispatch_id 0
		.amdhsa_user_sgpr_flat_scratch_init 0
		.amdhsa_user_sgpr_kernarg_preload_length 0
		.amdhsa_user_sgpr_kernarg_preload_offset 0
		.amdhsa_user_sgpr_private_segment_size 0
		.amdhsa_uses_dynamic_stack 0
		.amdhsa_system_sgpr_private_segment_wavefront_offset 0
		.amdhsa_system_sgpr_workgroup_id_x 1
		.amdhsa_system_sgpr_workgroup_id_y 0
		.amdhsa_system_sgpr_workgroup_id_z 0
		.amdhsa_system_sgpr_workgroup_info 0
		.amdhsa_system_vgpr_workitem_id 0
		.amdhsa_next_free_vgpr 1
		.amdhsa_next_free_sgpr 0
		.amdhsa_accum_offset 4
		.amdhsa_reserve_vcc 0
		.amdhsa_reserve_flat_scratch 0
		.amdhsa_float_round_mode_32 0
		.amdhsa_float_round_mode_16_64 0
		.amdhsa_float_denorm_mode_32 3
		.amdhsa_float_denorm_mode_16_64 3
		.amdhsa_dx10_clamp 1
		.amdhsa_ieee_mode 1
		.amdhsa_fp16_overflow 0
		.amdhsa_tg_split 0
		.amdhsa_exception_fp_ieee_invalid_op 0
		.amdhsa_exception_fp_denorm_src 0
		.amdhsa_exception_fp_ieee_div_zero 0
		.amdhsa_exception_fp_ieee_overflow 0
		.amdhsa_exception_fp_ieee_underflow 0
		.amdhsa_exception_fp_ieee_inexact 0
		.amdhsa_exception_int_div_zero 0
	.end_amdhsa_kernel
	.section	.text._ZN7rocprim17ROCPRIM_400000_NS6detail17trampoline_kernelINS0_14default_configENS1_20scan_config_selectorIsEEZZNS1_9scan_implILNS1_25lookback_scan_determinismE0ELb1ELb1ES3_N6thrust23THRUST_200600_302600_NS6detail15normal_iteratorINS9_10device_ptrIsEEEENS9_16discard_iteratorINS9_11use_defaultEEEs11max_functorIsEsEEDaPvRmT3_T4_T5_mT6_P12ihipStream_tbENKUlT_T0_E_clISt17integral_constantIbLb1EESX_EEDaSS_ST_EUlSS_E_NS1_11comp_targetILNS1_3genE5ELNS1_11target_archE942ELNS1_3gpuE9ELNS1_3repE0EEENS1_30default_config_static_selectorELNS0_4arch9wavefront6targetE1EEEvT1_,"axG",@progbits,_ZN7rocprim17ROCPRIM_400000_NS6detail17trampoline_kernelINS0_14default_configENS1_20scan_config_selectorIsEEZZNS1_9scan_implILNS1_25lookback_scan_determinismE0ELb1ELb1ES3_N6thrust23THRUST_200600_302600_NS6detail15normal_iteratorINS9_10device_ptrIsEEEENS9_16discard_iteratorINS9_11use_defaultEEEs11max_functorIsEsEEDaPvRmT3_T4_T5_mT6_P12ihipStream_tbENKUlT_T0_E_clISt17integral_constantIbLb1EESX_EEDaSS_ST_EUlSS_E_NS1_11comp_targetILNS1_3genE5ELNS1_11target_archE942ELNS1_3gpuE9ELNS1_3repE0EEENS1_30default_config_static_selectorELNS0_4arch9wavefront6targetE1EEEvT1_,comdat
.Lfunc_end4089:
	.size	_ZN7rocprim17ROCPRIM_400000_NS6detail17trampoline_kernelINS0_14default_configENS1_20scan_config_selectorIsEEZZNS1_9scan_implILNS1_25lookback_scan_determinismE0ELb1ELb1ES3_N6thrust23THRUST_200600_302600_NS6detail15normal_iteratorINS9_10device_ptrIsEEEENS9_16discard_iteratorINS9_11use_defaultEEEs11max_functorIsEsEEDaPvRmT3_T4_T5_mT6_P12ihipStream_tbENKUlT_T0_E_clISt17integral_constantIbLb1EESX_EEDaSS_ST_EUlSS_E_NS1_11comp_targetILNS1_3genE5ELNS1_11target_archE942ELNS1_3gpuE9ELNS1_3repE0EEENS1_30default_config_static_selectorELNS0_4arch9wavefront6targetE1EEEvT1_, .Lfunc_end4089-_ZN7rocprim17ROCPRIM_400000_NS6detail17trampoline_kernelINS0_14default_configENS1_20scan_config_selectorIsEEZZNS1_9scan_implILNS1_25lookback_scan_determinismE0ELb1ELb1ES3_N6thrust23THRUST_200600_302600_NS6detail15normal_iteratorINS9_10device_ptrIsEEEENS9_16discard_iteratorINS9_11use_defaultEEEs11max_functorIsEsEEDaPvRmT3_T4_T5_mT6_P12ihipStream_tbENKUlT_T0_E_clISt17integral_constantIbLb1EESX_EEDaSS_ST_EUlSS_E_NS1_11comp_targetILNS1_3genE5ELNS1_11target_archE942ELNS1_3gpuE9ELNS1_3repE0EEENS1_30default_config_static_selectorELNS0_4arch9wavefront6targetE1EEEvT1_
                                        ; -- End function
	.section	.AMDGPU.csdata,"",@progbits
; Kernel info:
; codeLenInByte = 0
; NumSgprs: 4
; NumVgprs: 0
; NumAgprs: 0
; TotalNumVgprs: 0
; ScratchSize: 0
; MemoryBound: 0
; FloatMode: 240
; IeeeMode: 1
; LDSByteSize: 0 bytes/workgroup (compile time only)
; SGPRBlocks: 0
; VGPRBlocks: 0
; NumSGPRsForWavesPerEU: 4
; NumVGPRsForWavesPerEU: 1
; AccumOffset: 4
; Occupancy: 8
; WaveLimiterHint : 0
; COMPUTE_PGM_RSRC2:SCRATCH_EN: 0
; COMPUTE_PGM_RSRC2:USER_SGPR: 6
; COMPUTE_PGM_RSRC2:TRAP_HANDLER: 0
; COMPUTE_PGM_RSRC2:TGID_X_EN: 1
; COMPUTE_PGM_RSRC2:TGID_Y_EN: 0
; COMPUTE_PGM_RSRC2:TGID_Z_EN: 0
; COMPUTE_PGM_RSRC2:TIDIG_COMP_CNT: 0
; COMPUTE_PGM_RSRC3_GFX90A:ACCUM_OFFSET: 0
; COMPUTE_PGM_RSRC3_GFX90A:TG_SPLIT: 0
	.section	.text._ZN7rocprim17ROCPRIM_400000_NS6detail17trampoline_kernelINS0_14default_configENS1_20scan_config_selectorIsEEZZNS1_9scan_implILNS1_25lookback_scan_determinismE0ELb1ELb1ES3_N6thrust23THRUST_200600_302600_NS6detail15normal_iteratorINS9_10device_ptrIsEEEENS9_16discard_iteratorINS9_11use_defaultEEEs11max_functorIsEsEEDaPvRmT3_T4_T5_mT6_P12ihipStream_tbENKUlT_T0_E_clISt17integral_constantIbLb1EESX_EEDaSS_ST_EUlSS_E_NS1_11comp_targetILNS1_3genE4ELNS1_11target_archE910ELNS1_3gpuE8ELNS1_3repE0EEENS1_30default_config_static_selectorELNS0_4arch9wavefront6targetE1EEEvT1_,"axG",@progbits,_ZN7rocprim17ROCPRIM_400000_NS6detail17trampoline_kernelINS0_14default_configENS1_20scan_config_selectorIsEEZZNS1_9scan_implILNS1_25lookback_scan_determinismE0ELb1ELb1ES3_N6thrust23THRUST_200600_302600_NS6detail15normal_iteratorINS9_10device_ptrIsEEEENS9_16discard_iteratorINS9_11use_defaultEEEs11max_functorIsEsEEDaPvRmT3_T4_T5_mT6_P12ihipStream_tbENKUlT_T0_E_clISt17integral_constantIbLb1EESX_EEDaSS_ST_EUlSS_E_NS1_11comp_targetILNS1_3genE4ELNS1_11target_archE910ELNS1_3gpuE8ELNS1_3repE0EEENS1_30default_config_static_selectorELNS0_4arch9wavefront6targetE1EEEvT1_,comdat
	.protected	_ZN7rocprim17ROCPRIM_400000_NS6detail17trampoline_kernelINS0_14default_configENS1_20scan_config_selectorIsEEZZNS1_9scan_implILNS1_25lookback_scan_determinismE0ELb1ELb1ES3_N6thrust23THRUST_200600_302600_NS6detail15normal_iteratorINS9_10device_ptrIsEEEENS9_16discard_iteratorINS9_11use_defaultEEEs11max_functorIsEsEEDaPvRmT3_T4_T5_mT6_P12ihipStream_tbENKUlT_T0_E_clISt17integral_constantIbLb1EESX_EEDaSS_ST_EUlSS_E_NS1_11comp_targetILNS1_3genE4ELNS1_11target_archE910ELNS1_3gpuE8ELNS1_3repE0EEENS1_30default_config_static_selectorELNS0_4arch9wavefront6targetE1EEEvT1_ ; -- Begin function _ZN7rocprim17ROCPRIM_400000_NS6detail17trampoline_kernelINS0_14default_configENS1_20scan_config_selectorIsEEZZNS1_9scan_implILNS1_25lookback_scan_determinismE0ELb1ELb1ES3_N6thrust23THRUST_200600_302600_NS6detail15normal_iteratorINS9_10device_ptrIsEEEENS9_16discard_iteratorINS9_11use_defaultEEEs11max_functorIsEsEEDaPvRmT3_T4_T5_mT6_P12ihipStream_tbENKUlT_T0_E_clISt17integral_constantIbLb1EESX_EEDaSS_ST_EUlSS_E_NS1_11comp_targetILNS1_3genE4ELNS1_11target_archE910ELNS1_3gpuE8ELNS1_3repE0EEENS1_30default_config_static_selectorELNS0_4arch9wavefront6targetE1EEEvT1_
	.globl	_ZN7rocprim17ROCPRIM_400000_NS6detail17trampoline_kernelINS0_14default_configENS1_20scan_config_selectorIsEEZZNS1_9scan_implILNS1_25lookback_scan_determinismE0ELb1ELb1ES3_N6thrust23THRUST_200600_302600_NS6detail15normal_iteratorINS9_10device_ptrIsEEEENS9_16discard_iteratorINS9_11use_defaultEEEs11max_functorIsEsEEDaPvRmT3_T4_T5_mT6_P12ihipStream_tbENKUlT_T0_E_clISt17integral_constantIbLb1EESX_EEDaSS_ST_EUlSS_E_NS1_11comp_targetILNS1_3genE4ELNS1_11target_archE910ELNS1_3gpuE8ELNS1_3repE0EEENS1_30default_config_static_selectorELNS0_4arch9wavefront6targetE1EEEvT1_
	.p2align	8
	.type	_ZN7rocprim17ROCPRIM_400000_NS6detail17trampoline_kernelINS0_14default_configENS1_20scan_config_selectorIsEEZZNS1_9scan_implILNS1_25lookback_scan_determinismE0ELb1ELb1ES3_N6thrust23THRUST_200600_302600_NS6detail15normal_iteratorINS9_10device_ptrIsEEEENS9_16discard_iteratorINS9_11use_defaultEEEs11max_functorIsEsEEDaPvRmT3_T4_T5_mT6_P12ihipStream_tbENKUlT_T0_E_clISt17integral_constantIbLb1EESX_EEDaSS_ST_EUlSS_E_NS1_11comp_targetILNS1_3genE4ELNS1_11target_archE910ELNS1_3gpuE8ELNS1_3repE0EEENS1_30default_config_static_selectorELNS0_4arch9wavefront6targetE1EEEvT1_,@function
_ZN7rocprim17ROCPRIM_400000_NS6detail17trampoline_kernelINS0_14default_configENS1_20scan_config_selectorIsEEZZNS1_9scan_implILNS1_25lookback_scan_determinismE0ELb1ELb1ES3_N6thrust23THRUST_200600_302600_NS6detail15normal_iteratorINS9_10device_ptrIsEEEENS9_16discard_iteratorINS9_11use_defaultEEEs11max_functorIsEsEEDaPvRmT3_T4_T5_mT6_P12ihipStream_tbENKUlT_T0_E_clISt17integral_constantIbLb1EESX_EEDaSS_ST_EUlSS_E_NS1_11comp_targetILNS1_3genE4ELNS1_11target_archE910ELNS1_3gpuE8ELNS1_3repE0EEENS1_30default_config_static_selectorELNS0_4arch9wavefront6targetE1EEEvT1_: ; @_ZN7rocprim17ROCPRIM_400000_NS6detail17trampoline_kernelINS0_14default_configENS1_20scan_config_selectorIsEEZZNS1_9scan_implILNS1_25lookback_scan_determinismE0ELb1ELb1ES3_N6thrust23THRUST_200600_302600_NS6detail15normal_iteratorINS9_10device_ptrIsEEEENS9_16discard_iteratorINS9_11use_defaultEEEs11max_functorIsEsEEDaPvRmT3_T4_T5_mT6_P12ihipStream_tbENKUlT_T0_E_clISt17integral_constantIbLb1EESX_EEDaSS_ST_EUlSS_E_NS1_11comp_targetILNS1_3genE4ELNS1_11target_archE910ELNS1_3gpuE8ELNS1_3repE0EEENS1_30default_config_static_selectorELNS0_4arch9wavefront6targetE1EEEvT1_
; %bb.0:
	s_load_dwordx2 s[2:3], s[4:5], 0x20
	s_load_dword s28, s[4:5], 0x28
	s_load_dwordx2 s[22:23], s[4:5], 0x30
	v_cmp_eq_u32_e64 s[0:1], 0, v0
	s_and_saveexec_b64 s[6:7], s[0:1]
	s_cbranch_execz .LBB4090_4
; %bb.1:
	s_mov_b64 s[10:11], exec
	v_mbcnt_lo_u32_b32 v1, s10, 0
	v_mbcnt_hi_u32_b32 v1, s11, v1
	v_cmp_eq_u32_e32 vcc, 0, v1
                                        ; implicit-def: $vgpr2
	s_and_saveexec_b64 s[8:9], vcc
	s_cbranch_execz .LBB4090_3
; %bb.2:
	s_load_dwordx2 s[12:13], s[4:5], 0x60
	s_bcnt1_i32_b64 s10, s[10:11]
	v_mov_b32_e32 v2, 0
	v_mov_b32_e32 v3, s10
	s_waitcnt lgkmcnt(0)
	global_atomic_add v2, v2, v3, s[12:13] glc
.LBB4090_3:
	s_or_b64 exec, exec, s[8:9]
	s_waitcnt vmcnt(0)
	v_readfirstlane_b32 s8, v2
	v_add_u32_e32 v1, s8, v1
	v_mov_b32_e32 v2, 0
	ds_write_b32 v2, v1
.LBB4090_4:
	s_or_b64 exec, exec, s[6:7]
	v_mov_b32_e32 v3, 0
	s_load_dwordx4 s[8:11], s[4:5], 0x0
	s_load_dword s6, s[4:5], 0x38
	s_load_dwordx8 s[12:19], s[4:5], 0x40
	s_waitcnt lgkmcnt(0)
	; wave barrier
	s_waitcnt lgkmcnt(0)
	ds_read_b32 v1, v3
	s_lshl_b64 s[4:5], s[10:11], 1
	s_add_u32 s29, s8, s4
	s_movk_i32 s4, 0x600
	s_addc_u32 s30, s9, s5
	s_waitcnt lgkmcnt(0)
	v_mul_lo_u32 v2, v1, s4
	s_add_i32 s4, s6, -1
	s_mul_i32 s5, s4, 0x600
	s_sub_u32 s26, s2, s5
	v_readfirstlane_b32 s31, v1
	s_subb_u32 s27, s3, 0
	v_lshlrev_b64 v[2:3], 1, v[2:3]
	s_cmp_lg_u32 s31, s4
	v_mov_b32_e32 v1, s30
	v_add_co_u32_e32 v2, vcc, s29, v2
	s_cselect_b64 s[20:21], -1, 0
	v_addc_co_u32_e32 v3, vcc, v1, v3, vcc
	s_mov_b64 s[2:3], -1
	s_and_b64 vcc, exec, s[20:21]
	v_lshlrev_b32_e32 v1, 1, v0
	s_waitcnt lgkmcnt(0)
	; wave barrier
	s_cbranch_vccz .LBB4090_6
; %bb.5:
	v_add_co_u32_e32 v4, vcc, v2, v1
	v_addc_co_u32_e32 v5, vcc, 0, v3, vcc
	flat_load_ushort v6, v[4:5]
	flat_load_ushort v7, v[4:5] offset:128
	flat_load_ushort v8, v[4:5] offset:256
	;; [unrolled: 1-line block ×23, first 2 shown]
	s_mov_b64 s[2:3], 0
	s_waitcnt vmcnt(0) lgkmcnt(0)
	ds_write_b16 v1, v6
	ds_write_b16 v1, v7 offset:128
	ds_write_b16 v1, v8 offset:256
	;; [unrolled: 1-line block ×23, first 2 shown]
	s_waitcnt lgkmcnt(0)
	; wave barrier
.LBB4090_6:
	s_andn2_b64 vcc, exec, s[2:3]
	s_cbranch_vccnz .LBB4090_56
; %bb.7:
	flat_load_ushort v4, v[2:3]
	v_cmp_gt_u32_e32 vcc, s26, v0
	s_waitcnt vmcnt(0) lgkmcnt(0)
	v_mov_b32_e32 v5, v4
	s_and_saveexec_b64 s[2:3], vcc
	s_cbranch_execz .LBB4090_9
; %bb.8:
	v_add_co_u32_e32 v6, vcc, v2, v1
	v_addc_co_u32_e32 v7, vcc, 0, v3, vcc
	flat_load_ushort v5, v[6:7]
.LBB4090_9:
	s_or_b64 exec, exec, s[2:3]
	v_or_b32_e32 v6, 64, v0
	v_cmp_gt_u32_e32 vcc, s26, v6
	v_mov_b32_e32 v6, v4
	s_and_saveexec_b64 s[2:3], vcc
	s_cbranch_execz .LBB4090_11
; %bb.10:
	v_add_co_u32_e32 v6, vcc, v2, v1
	v_addc_co_u32_e32 v7, vcc, 0, v3, vcc
	flat_load_ushort v6, v[6:7] offset:128
.LBB4090_11:
	s_or_b64 exec, exec, s[2:3]
	v_or_b32_e32 v7, 0x80, v0
	v_cmp_gt_u32_e32 vcc, s26, v7
	v_mov_b32_e32 v7, v4
	s_and_saveexec_b64 s[2:3], vcc
	s_cbranch_execz .LBB4090_13
; %bb.12:
	v_add_co_u32_e32 v8, vcc, v2, v1
	v_addc_co_u32_e32 v9, vcc, 0, v3, vcc
	flat_load_ushort v7, v[8:9] offset:256
.LBB4090_13:
	;; [unrolled: 11-line block ×22, first 2 shown]
	s_or_b64 exec, exec, s[2:3]
	v_or_b32_e32 v28, 0x5c0, v0
	v_cmp_gt_u32_e32 vcc, s26, v28
	s_and_saveexec_b64 s[2:3], vcc
	s_cbranch_execz .LBB4090_55
; %bb.54:
	v_add_co_u32_e32 v2, vcc, v2, v1
	v_addc_co_u32_e32 v3, vcc, 0, v3, vcc
	flat_load_ushort v4, v[2:3] offset:2944
.LBB4090_55:
	s_or_b64 exec, exec, s[2:3]
	s_waitcnt vmcnt(0) lgkmcnt(0)
	ds_write_b16 v1, v5
	ds_write_b16 v1, v6 offset:128
	ds_write_b16 v1, v7 offset:256
	;; [unrolled: 1-line block ×23, first 2 shown]
	s_waitcnt lgkmcnt(0)
	; wave barrier
.LBB4090_56:
	v_mul_u32_u24_e32 v20, 24, v0
	v_lshlrev_b32_e32 v21, 1, v20
	s_waitcnt lgkmcnt(0)
	ds_read_b128 v[10:13], v21
	ds_read_b128 v[6:9], v21 offset:16
	ds_read_b128 v[2:5], v21 offset:32
	s_cmp_lg_u32 s31, 0
	v_mbcnt_lo_u32_b32 v32, -1, 0
	s_waitcnt lgkmcnt(2)
	v_lshrrev_b32_e32 v30, 16, v11
	v_max_i16_sdwa v14, v10, v10 dst_sel:DWORD dst_unused:UNUSED_PAD src0_sel:DWORD src1_sel:WORD_1
	v_lshrrev_b32_e32 v29, 16, v12
	v_lshrrev_b32_e32 v28, 16, v13
	s_waitcnt lgkmcnt(1)
	v_lshrrev_b32_e32 v27, 16, v6
	v_lshrrev_b32_e32 v26, 16, v7
	;; [unrolled: 1-line block ×4, first 2 shown]
	s_waitcnt lgkmcnt(0)
	v_lshrrev_b32_e32 v23, 16, v2
	v_lshrrev_b32_e32 v22, 16, v3
	v_lshrrev_b32_e32 v1, 16, v4
	v_lshrrev_b32_e32 v31, 16, v5
	v_max3_i16 v33, v14, v11, v30
	v_cmp_eq_u32_e32 vcc, 63, v0
	s_waitcnt lgkmcnt(0)
	; wave barrier
	s_cbranch_scc0 .LBB4090_83
; %bb.57:
	v_max3_i16 v14, v33, v12, v29
	v_max3_i16 v14, v14, v13, v28
	;; [unrolled: 1-line block ×10, first 2 shown]
	v_mbcnt_hi_u32_b32 v15, -1, v32
	v_and_b32_e32 v17, 0xffff, v14
	v_and_b32_e32 v16, 15, v15
	v_cmp_eq_u32_e64 s[2:3], 0, v16
	v_mov_b32_dpp v17, v17 row_shr:1 row_mask:0xf bank_mask:0xf
	v_max_i16_e32 v17, v17, v14
	v_cndmask_b32_e64 v14, v17, v14, s[2:3]
	v_and_b32_e32 v17, 0xffff, v14
	v_cmp_lt_u32_e64 s[2:3], 1, v16
	s_nop 0
	v_mov_b32_dpp v17, v17 row_shr:2 row_mask:0xf bank_mask:0xf
	v_max_i16_e32 v17, v17, v14
	v_cndmask_b32_e64 v14, v14, v17, s[2:3]
	v_and_b32_e32 v17, 0xffff, v14
	v_cmp_lt_u32_e64 s[2:3], 3, v16
	s_nop 0
	;; [unrolled: 6-line block ×3, first 2 shown]
	v_mov_b32_dpp v17, v17 row_shr:8 row_mask:0xf bank_mask:0xf
	v_max_i16_e32 v17, v17, v14
	v_cndmask_b32_e64 v14, v14, v17, s[2:3]
	v_and_b32_e32 v16, 0xffff, v14
	v_and_b32_e32 v17, 16, v15
	v_cmp_eq_u32_e64 s[2:3], 0, v17
	v_mov_b32_dpp v16, v16 row_bcast:15 row_mask:0xf bank_mask:0xf
	v_max_i16_e32 v16, v16, v14
	v_cndmask_b32_e64 v14, v16, v14, s[2:3]
	v_and_b32_e32 v16, 0xffff, v14
	v_cmp_lt_u32_e64 s[2:3], 31, v15
	s_nop 0
	v_mov_b32_dpp v16, v16 row_bcast:31 row_mask:0xf bank_mask:0xf
	v_max_i16_e32 v16, v16, v14
	v_cndmask_b32_e64 v14, v14, v16, s[2:3]
	s_and_saveexec_b64 s[2:3], vcc
	s_cbranch_execz .LBB4090_59
; %bb.58:
	v_mov_b32_e32 v16, 0
	ds_write_b16 v16, v14
.LBB4090_59:
	s_or_b64 exec, exec, s[2:3]
	v_add_u32_e32 v16, -1, v15
	v_and_b32_e32 v17, 64, v15
	v_cmp_lt_i32_e32 vcc, v16, v17
	v_cndmask_b32_e32 v16, v16, v15, vcc
	v_and_b32_e32 v14, 0xffff, v14
	v_lshlrev_b32_e32 v16, 2, v16
	ds_bpermute_b32 v34, v16, v14
	v_cmp_gt_u32_e32 vcc, 64, v0
	s_waitcnt lgkmcnt(0)
	; wave barrier
	s_waitcnt lgkmcnt(0)
	s_and_saveexec_b64 s[24:25], vcc
	s_cbranch_execz .LBB4090_82
; %bb.60:
	v_mov_b32_e32 v19, 0
	ds_read_u16 v35, v19
	s_mov_b32 s7, 0
	v_cmp_eq_u32_e64 s[2:3], 0, v15
	s_and_saveexec_b64 s[4:5], s[2:3]
	s_cbranch_execz .LBB4090_62
; %bb.61:
	s_add_i32 s6, s31, 64
	s_lshl_b64 s[6:7], s[6:7], 2
	s_add_u32 s6, s22, s6
	s_waitcnt lgkmcnt(0)
	v_or_b32_e32 v14, 0x10000, v35
	s_addc_u32 s7, s23, s7
	global_store_dword v19, v14, s[6:7]
.LBB4090_62:
	s_or_b64 exec, exec, s[4:5]
	v_xad_u32 v14, v15, -1, s31
	v_add_u32_e32 v18, 64, v14
	v_lshlrev_b64 v[16:17], 2, v[18:19]
	v_mov_b32_e32 v18, s23
	v_add_co_u32_e32 v16, vcc, s22, v16
	v_addc_co_u32_e32 v17, vcc, v18, v17, vcc
	global_load_dword v18, v[16:17], off glc
	s_waitcnt vmcnt(0)
	v_lshrrev_b32_e32 v39, 16, v18
	v_cmp_eq_u16_sdwa s[6:7], v39, v19 src0_sel:BYTE_0 src1_sel:DWORD
	s_and_saveexec_b64 s[4:5], s[6:7]
	s_cbranch_execz .LBB4090_68
; %bb.63:
	s_mov_b32 s8, 1
	s_mov_b64 s[6:7], 0
	v_mov_b32_e32 v19, 0
.LBB4090_64:                            ; =>This Loop Header: Depth=1
                                        ;     Child Loop BB4090_65 Depth 2
	s_max_u32 s9, s8, 1
.LBB4090_65:                            ;   Parent Loop BB4090_64 Depth=1
                                        ; =>  This Inner Loop Header: Depth=2
	s_add_i32 s9, s9, -1
	s_cmp_eq_u32 s9, 0
	s_sleep 1
	s_cbranch_scc0 .LBB4090_65
; %bb.66:                               ;   in Loop: Header=BB4090_64 Depth=1
	global_load_dword v18, v[16:17], off glc
	s_cmp_lt_u32 s8, 32
	s_cselect_b64 s[10:11], -1, 0
	s_cmp_lg_u64 s[10:11], 0
	s_addc_u32 s8, s8, 0
	s_waitcnt vmcnt(0)
	v_lshrrev_b32_e32 v39, 16, v18
	v_cmp_ne_u16_sdwa s[10:11], v39, v19 src0_sel:BYTE_0 src1_sel:DWORD
	s_or_b64 s[6:7], s[10:11], s[6:7]
	s_andn2_b64 exec, exec, s[6:7]
	s_cbranch_execnz .LBB4090_64
; %bb.67:
	s_or_b64 exec, exec, s[6:7]
.LBB4090_68:
	s_or_b64 exec, exec, s[4:5]
	v_and_b32_e32 v37, 63, v15
	v_cmp_ne_u32_e32 vcc, 63, v37
	v_mov_b32_e32 v36, 2
	v_addc_co_u32_e32 v38, vcc, 0, v15, vcc
	v_cmp_eq_u16_sdwa s[4:5], v39, v36 src0_sel:BYTE_0 src1_sel:DWORD
	v_lshlrev_b64 v[16:17], v15, -1
	v_and_b32_e32 v41, 0xffff, v18
	v_lshlrev_b32_e32 v38, 2, v38
	v_and_b32_e32 v19, s5, v17
	ds_bpermute_b32 v42, v38, v41
	v_or_b32_e32 v19, 0x80000000, v19
	v_and_b32_e32 v40, s4, v16
	v_ffbl_b32_e32 v19, v19
	v_add_u32_e32 v19, 32, v19
	v_ffbl_b32_e32 v40, v40
	v_cmp_gt_u32_e64 s[4:5], 62, v37
	v_min_u32_e32 v19, v40, v19
	v_cndmask_b32_e64 v40, 0, 1, s[4:5]
	s_waitcnt lgkmcnt(0)
	v_max_i16_e32 v42, v42, v18
	v_cmp_lt_u32_e32 vcc, v37, v19
	v_lshlrev_b32_e32 v40, 1, v40
	v_cndmask_b32_e32 v43, v41, v42, vcc
	v_add_lshl_u32 v40, v40, v15, 2
	ds_bpermute_b32 v44, v40, v43
	v_cmp_gt_u32_e64 s[6:7], 60, v37
	v_cndmask_b32_e32 v45, v18, v42, vcc
	v_add_u32_e32 v41, 2, v37
	v_cndmask_b32_e64 v42, 0, 1, s[6:7]
	s_waitcnt lgkmcnt(0)
	v_max_i16_e32 v44, v44, v45
	v_cmp_gt_u32_e64 s[4:5], v41, v19
	v_lshlrev_b32_e32 v42, 2, v42
	v_cndmask_b32_e64 v46, v44, v43, s[4:5]
	v_add_lshl_u32 v42, v42, v15, 2
	ds_bpermute_b32 v47, v42, v46
	v_cmp_gt_u32_e64 s[6:7], 56, v37
	v_cndmask_b32_e64 v48, v44, v45, s[4:5]
	v_add_u32_e32 v43, 4, v37
	v_cndmask_b32_e64 v44, 0, 1, s[6:7]
	s_waitcnt lgkmcnt(0)
	v_max_i16_e32 v51, v47, v48
	v_cmp_gt_u32_e64 s[4:5], v43, v19
	v_lshlrev_b32_e32 v44, 3, v44
	v_cndmask_b32_e64 v46, v51, v46, s[4:5]
	v_add_lshl_u32 v44, v44, v15, 2
	ds_bpermute_b32 v47, v44, v46
	v_cndmask_b32_e64 v49, v51, v48, s[4:5]
	v_add_u32_e32 v45, 8, v37
	v_cmp_gt_u32_e64 s[6:7], v45, v19
	v_cmp_gt_u32_e64 s[8:9], 48, v37
	s_waitcnt lgkmcnt(0)
	v_max_i16_e32 v52, v47, v49
	v_cndmask_b32_e64 v50, v52, v46, s[6:7]
	v_cndmask_b32_e64 v46, 0, 1, s[8:9]
	v_lshlrev_b32_e32 v46, 4, v46
	v_add_lshl_u32 v46, v46, v15, 2
	ds_bpermute_b32 v53, v46, v50
	v_cmp_gt_u32_e64 s[10:11], 32, v37
	v_cndmask_b32_e64 v54, v52, v49, s[6:7]
	v_add_u32_e32 v47, 16, v37
	v_cndmask_b32_e64 v49, 0, 1, s[10:11]
	s_waitcnt lgkmcnt(0)
	v_max_i16_e32 v53, v53, v54
	v_cmp_gt_u32_e64 s[8:9], v47, v19
	v_lshlrev_b32_e32 v49, 5, v49
	v_cndmask_b32_e64 v50, v53, v50, s[8:9]
	v_add_lshl_u32 v49, v49, v15, 2
	ds_bpermute_b32 v15, v49, v50
	v_cndmask_b32_e32 v18, v18, v48, vcc
	v_cndmask_b32_e64 v18, v51, v18, s[4:5]
	v_add_u32_e32 v50, 32, v37
	v_cndmask_b32_e64 v54, v53, v54, s[8:9]
	v_cndmask_b32_e64 v18, v52, v18, s[6:7]
	s_waitcnt lgkmcnt(0)
	v_max_i16_e32 v15, v15, v54
	v_cndmask_b32_e64 v18, v53, v18, s[8:9]
	v_cmp_gt_u32_e32 vcc, v50, v19
	v_cndmask_b32_e32 v18, v15, v18, vcc
	v_mov_b32_e32 v15, 0
	s_branch .LBB4090_70
.LBB4090_69:                            ;   in Loop: Header=BB4090_70 Depth=1
	s_or_b64 exec, exec, s[4:5]
	v_cmp_eq_u16_sdwa s[4:5], v39, v36 src0_sel:BYTE_0 src1_sel:DWORD
	v_and_b32_e32 v52, 0xffff, v51
	v_and_b32_e32 v18, s5, v17
	ds_bpermute_b32 v53, v38, v52
	v_or_b32_e32 v18, 0x80000000, v18
	v_and_b32_e32 v19, s4, v16
	v_ffbl_b32_e32 v18, v18
	v_add_u32_e32 v18, 32, v18
	v_ffbl_b32_e32 v19, v19
	v_min_u32_e32 v18, v19, v18
	s_waitcnt lgkmcnt(0)
	v_max_i16_e32 v19, v53, v51
	v_cmp_lt_u32_e32 vcc, v37, v18
	v_cndmask_b32_e32 v52, v52, v19, vcc
	ds_bpermute_b32 v53, v40, v52
	v_cndmask_b32_e32 v19, v51, v19, vcc
	v_cmp_gt_u32_e64 s[4:5], v41, v18
	v_cmp_gt_u32_e64 s[6:7], v45, v18
	v_subrev_u32_e32 v14, 64, v14
	s_waitcnt lgkmcnt(0)
	v_max_i16_e32 v53, v53, v19
	v_cndmask_b32_e64 v52, v53, v52, s[4:5]
	ds_bpermute_b32 v54, v42, v52
	v_cndmask_b32_e64 v19, v53, v19, s[4:5]
	v_cmp_gt_u32_e64 s[4:5], v43, v18
	s_waitcnt lgkmcnt(0)
	v_max_i16_e32 v53, v54, v19
	v_cndmask_b32_e64 v52, v53, v52, s[4:5]
	ds_bpermute_b32 v54, v44, v52
	v_cndmask_b32_e64 v55, v53, v19, s[4:5]
	v_cndmask_b32_e32 v19, v51, v19, vcc
	v_cmp_gt_u32_e32 vcc, v47, v18
	v_cndmask_b32_e64 v19, v53, v19, s[4:5]
	s_waitcnt lgkmcnt(0)
	v_max_i16_e32 v54, v54, v55
	v_cndmask_b32_e64 v52, v54, v52, s[6:7]
	ds_bpermute_b32 v56, v46, v52
	v_cndmask_b32_e64 v51, v54, v55, s[6:7]
	v_cndmask_b32_e64 v19, v54, v19, s[6:7]
	s_waitcnt lgkmcnt(0)
	v_max_i16_e32 v55, v56, v51
	v_cndmask_b32_e32 v52, v55, v52, vcc
	ds_bpermute_b32 v52, v49, v52
	v_cndmask_b32_e32 v51, v55, v51, vcc
	v_cndmask_b32_e32 v19, v55, v19, vcc
	v_cmp_gt_u32_e32 vcc, v50, v18
	s_waitcnt lgkmcnt(0)
	v_max_i16_e32 v51, v52, v51
	v_cndmask_b32_e32 v18, v51, v19, vcc
	v_max_i16_e32 v18, v18, v48
.LBB4090_70:                            ; =>This Loop Header: Depth=1
                                        ;     Child Loop BB4090_73 Depth 2
                                        ;       Child Loop BB4090_74 Depth 3
	v_cmp_ne_u16_sdwa s[4:5], v39, v36 src0_sel:BYTE_0 src1_sel:DWORD
	v_cndmask_b32_e64 v19, 0, 1, s[4:5]
	;;#ASMSTART
	;;#ASMEND
	v_cmp_ne_u32_e32 vcc, 0, v19
	s_cmp_lg_u64 vcc, exec
	v_mov_b32_e32 v48, v18
	s_cbranch_scc1 .LBB4090_77
; %bb.71:                               ;   in Loop: Header=BB4090_70 Depth=1
	v_lshlrev_b64 v[18:19], 2, v[14:15]
	v_mov_b32_e32 v39, s23
	v_add_co_u32_e32 v18, vcc, s22, v18
	v_addc_co_u32_e32 v19, vcc, v39, v19, vcc
	global_load_dword v51, v[18:19], off glc
	s_waitcnt vmcnt(0)
	v_lshrrev_b32_e32 v39, 16, v51
	v_cmp_eq_u16_sdwa s[6:7], v39, v15 src0_sel:BYTE_0 src1_sel:DWORD
	s_and_saveexec_b64 s[4:5], s[6:7]
	s_cbranch_execz .LBB4090_69
; %bb.72:                               ;   in Loop: Header=BB4090_70 Depth=1
	s_mov_b32 s8, 1
	s_mov_b64 s[6:7], 0
.LBB4090_73:                            ;   Parent Loop BB4090_70 Depth=1
                                        ; =>  This Loop Header: Depth=2
                                        ;       Child Loop BB4090_74 Depth 3
	s_max_u32 s9, s8, 1
.LBB4090_74:                            ;   Parent Loop BB4090_70 Depth=1
                                        ;     Parent Loop BB4090_73 Depth=2
                                        ; =>    This Inner Loop Header: Depth=3
	s_add_i32 s9, s9, -1
	s_cmp_eq_u32 s9, 0
	s_sleep 1
	s_cbranch_scc0 .LBB4090_74
; %bb.75:                               ;   in Loop: Header=BB4090_73 Depth=2
	global_load_dword v51, v[18:19], off glc
	s_cmp_lt_u32 s8, 32
	s_cselect_b64 s[10:11], -1, 0
	s_cmp_lg_u64 s[10:11], 0
	s_addc_u32 s8, s8, 0
	s_waitcnt vmcnt(0)
	v_lshrrev_b32_e32 v39, 16, v51
	v_cmp_ne_u16_sdwa s[10:11], v39, v15 src0_sel:BYTE_0 src1_sel:DWORD
	s_or_b64 s[6:7], s[10:11], s[6:7]
	s_andn2_b64 exec, exec, s[6:7]
	s_cbranch_execnz .LBB4090_73
; %bb.76:                               ;   in Loop: Header=BB4090_70 Depth=1
	s_or_b64 exec, exec, s[6:7]
	s_branch .LBB4090_69
.LBB4090_77:                            ;   in Loop: Header=BB4090_70 Depth=1
                                        ; implicit-def: $vgpr18
                                        ; implicit-def: $vgpr39
	s_cbranch_execz .LBB4090_70
; %bb.78:
	s_and_saveexec_b64 s[4:5], s[2:3]
	s_cbranch_execz .LBB4090_80
; %bb.79:
	s_add_i32 s2, s31, 64
	s_mov_b32 s3, 0
	s_lshl_b64 s[2:3], s[2:3], 2
	v_max_i16_e32 v14, v48, v35
	s_add_u32 s2, s22, s2
	v_or_b32_e32 v14, 0x20000, v14
	s_addc_u32 s3, s23, s3
	v_mov_b32_e32 v15, 0
	global_store_dword v15, v14, s[2:3]
.LBB4090_80:
	s_or_b64 exec, exec, s[4:5]
	s_and_b64 exec, exec, s[0:1]
	s_cbranch_execz .LBB4090_82
; %bb.81:
	v_mov_b32_e32 v14, 0
	ds_write_b16 v14, v48
.LBB4090_82:
	s_or_b64 exec, exec, s[24:25]
	v_mov_b32_e32 v14, 0
	s_waitcnt lgkmcnt(0)
	; wave barrier
	s_waitcnt lgkmcnt(0)
	ds_read_u16 v14, v14
	s_waitcnt lgkmcnt(0)
	v_max_i16_e32 v15, v14, v34
	v_cndmask_b32_e64 v15, v15, v14, s[0:1]
	v_max_i16_e32 v14, v15, v10
	v_max_i16_sdwa v16, v14, v10 dst_sel:DWORD dst_unused:UNUSED_PAD src0_sel:DWORD src1_sel:WORD_1
	v_max_i16_e32 v17, v16, v11
	v_max_i16_e32 v18, v17, v30
	;; [unrolled: 1-line block ×21, first 2 shown]
	s_branch .LBB4090_91
.LBB4090_83:
                                        ; implicit-def: $vgpr15
                                        ; implicit-def: $vgpr14
                                        ; implicit-def: $vgpr16
                                        ; implicit-def: $vgpr17
                                        ; implicit-def: $vgpr18
                                        ; implicit-def: $vgpr34
                                        ; implicit-def: $vgpr36
                                        ; implicit-def: $vgpr38
                                        ; implicit-def: $vgpr19
                                        ; implicit-def: $vgpr35
                                        ; implicit-def: $vgpr37
                                        ; implicit-def: $vgpr39
                                        ; implicit-def: $vgpr40
                                        ; implicit-def: $vgpr42
                                        ; implicit-def: $vgpr44
                                        ; implicit-def: $vgpr46
                                        ; implicit-def: $vgpr41
                                        ; implicit-def: $vgpr43
                                        ; implicit-def: $vgpr45
                                        ; implicit-def: $vgpr47
                                        ; implicit-def: $vgpr48
                                        ; implicit-def: $vgpr49
                                        ; implicit-def: $vgpr50
                                        ; implicit-def: $vgpr51
	s_cbranch_execz .LBB4090_91
; %bb.84:
	s_cmp_eq_u64 s[16:17], 0
	v_mov_b32_e32 v51, s28
	s_cbranch_scc1 .LBB4090_86
; %bb.85:
	v_mov_b32_e32 v14, 0
	global_load_ushort v16, v14, s[12:13]
	v_mov_b32_e32 v15, s30
	v_add_co_u32_e64 v14, vcc, -2, s29
	v_addc_co_u32_e32 v15, vcc, -1, v15, vcc
	flat_load_ushort v14, v[14:15]
	s_waitcnt vmcnt(0) lgkmcnt(0)
	v_max_i16_e32 v51, v16, v14
.LBB4090_86:
	v_max3_i16 v14, v33, v12, v29
	v_max3_i16 v14, v14, v13, v28
	;; [unrolled: 1-line block ×10, first 2 shown]
	v_mbcnt_hi_u32_b32 v14, -1, v32
	v_and_b32_e32 v17, 0xffff, v15
	v_and_b32_e32 v16, 15, v14
	v_cmp_eq_u32_e32 vcc, 0, v16
	v_mov_b32_dpp v17, v17 row_shr:1 row_mask:0xf bank_mask:0xf
	v_max_i16_e32 v17, v17, v15
	v_cndmask_b32_e32 v15, v17, v15, vcc
	v_and_b32_e32 v17, 0xffff, v15
	v_cmp_lt_u32_e32 vcc, 1, v16
	s_nop 0
	v_mov_b32_dpp v17, v17 row_shr:2 row_mask:0xf bank_mask:0xf
	v_max_i16_e32 v17, v17, v15
	v_cndmask_b32_e32 v15, v15, v17, vcc
	v_and_b32_e32 v17, 0xffff, v15
	v_cmp_lt_u32_e32 vcc, 3, v16
	s_nop 0
	;; [unrolled: 6-line block ×3, first 2 shown]
	v_mov_b32_dpp v17, v17 row_shr:8 row_mask:0xf bank_mask:0xf
	v_max_i16_e32 v17, v17, v15
	v_cndmask_b32_e32 v15, v15, v17, vcc
	v_and_b32_e32 v16, 0xffff, v15
	v_and_b32_e32 v17, 16, v14
	v_cmp_eq_u32_e32 vcc, 0, v17
	v_mov_b32_dpp v16, v16 row_bcast:15 row_mask:0xf bank_mask:0xf
	v_max_i16_e32 v16, v16, v15
	v_cndmask_b32_e32 v15, v16, v15, vcc
	v_and_b32_e32 v16, 0xffff, v15
	v_cmp_lt_u32_e32 vcc, 31, v14
	s_nop 0
	v_mov_b32_dpp v16, v16 row_bcast:31 row_mask:0xf bank_mask:0xf
	v_max_i16_e32 v16, v16, v15
	v_cndmask_b32_e32 v15, v15, v16, vcc
	v_cmp_eq_u32_e32 vcc, 63, v0
	s_and_saveexec_b64 s[2:3], vcc
	s_cbranch_execz .LBB4090_88
; %bb.87:
	v_mov_b32_e32 v16, 0
	ds_write_b16 v16, v15
.LBB4090_88:
	s_or_b64 exec, exec, s[2:3]
	v_add_u32_e32 v16, -1, v14
	v_and_b32_e32 v17, 64, v14
	v_cmp_lt_i32_e32 vcc, v16, v17
	v_cndmask_b32_e32 v16, v16, v14, vcc
	v_max_i16_e32 v15, v51, v15
	v_lshlrev_b32_e32 v16, 2, v16
	ds_bpermute_b32 v15, v16, v15
	v_cmp_eq_u32_e32 vcc, 0, v14
	s_or_b64 vcc, s[0:1], vcc
	s_waitcnt lgkmcnt(0)
	; wave barrier
	s_waitcnt lgkmcnt(0)
	v_cndmask_b32_e32 v15, v15, v51, vcc
	v_max_i16_e32 v14, v15, v10
	v_max_i16_sdwa v16, v14, v10 dst_sel:DWORD dst_unused:UNUSED_PAD src0_sel:DWORD src1_sel:WORD_1
	v_max_i16_e32 v17, v16, v11
	v_max_i16_e32 v18, v17, v30
	;; [unrolled: 1-line block ×20, first 2 shown]
	s_and_saveexec_b64 s[2:3], s[0:1]
	s_cbranch_execz .LBB4090_90
; %bb.89:
	v_mov_b32_e32 v1, 0
	ds_read_u16 v2, v1
	v_mov_b32_e32 v15, v51
	s_waitcnt lgkmcnt(0)
	v_max_i16_e32 v2, v51, v2
	v_or_b32_e32 v2, 0x20000, v2
	global_store_dword v1, v2, s[22:23] offset:256
.LBB4090_90:
	s_or_b64 exec, exec, s[2:3]
	v_max_i16_e32 v51, v50, v5
.LBB4090_91:
	s_mov_b32 s0, 0x5040100
	v_perm_b32 v5, v38, v36, s0
	v_perm_b32 v4, v34, v18, s0
	v_perm_b32 v3, v17, v16, s0
	v_perm_b32 v2, v14, v15, s0
	s_waitcnt lgkmcnt(0)
	; wave barrier
	ds_write_b128 v21, v[2:5]
	v_perm_b32 v5, v46, v44, s0
	v_perm_b32 v4, v42, v40, s0
	;; [unrolled: 1-line block ×4, first 2 shown]
	ds_write_b128 v21, v[2:5] offset:16
	v_perm_b32 v5, v51, v50, s0
	v_perm_b32 v4, v49, v48, s0
	;; [unrolled: 1-line block ×4, first 2 shown]
	s_mov_b64 s[0:1], -1
	s_and_b64 vcc, exec, s[20:21]
	ds_write_b128 v21, v[2:5] offset:32
	s_waitcnt lgkmcnt(0)
	s_cbranch_vccz .LBB4090_93
; %bb.92:
	; wave barrier
	s_mov_b64 s[0:1], 0
.LBB4090_93:
	s_andn2_b64 vcc, exec, s[0:1]
	s_cbranch_vccnz .LBB4090_102
; %bb.94:
	v_cmp_lt_u64_e64 s[0:1], s[18:19], 2
	s_and_b64 vcc, exec, s[0:1]
	; wave barrier
	s_cbranch_vccnz .LBB4090_102
; %bb.95:
	s_add_u32 s0, s26, -1
	s_addc_u32 s1, s27, -1
	s_add_u32 s2, 0, 0xaaaa0000
	s_addc_u32 s3, 0, 42
	s_add_i32 s3, s3, 0xaaaaa80
	s_mul_hi_u32 s7, s2, 0xffffffe8
	s_sub_i32 s7, s7, s2
	s_mul_i32 s8, s3, 0xffffffe8
	s_mul_i32 s4, s2, 0xffffffe8
	s_add_i32 s7, s7, s8
	s_mul_hi_u32 s5, s3, s4
	s_mul_i32 s6, s3, s4
	s_mul_i32 s9, s2, s7
	s_mul_hi_u32 s4, s2, s4
	s_mul_hi_u32 s8, s2, s7
	s_add_u32 s4, s4, s9
	s_addc_u32 s8, 0, s8
	s_add_u32 s4, s4, s6
	s_mul_hi_u32 s9, s3, s7
	s_addc_u32 s4, s8, s5
	s_addc_u32 s5, s9, 0
	s_mul_i32 s6, s3, s7
	s_add_u32 s4, s4, s6
	v_mov_b32_e32 v2, s4
	s_addc_u32 s5, 0, s5
	v_add_co_u32_e32 v2, vcc, s2, v2
	s_cmp_lg_u64 vcc, 0
	s_addc_u32 s2, s3, s5
	v_readfirstlane_b32 s5, v2
	s_mul_i32 s4, s0, s2
	s_mul_hi_u32 s6, s0, s5
	s_mul_hi_u32 s3, s0, s2
	s_add_u32 s4, s6, s4
	s_addc_u32 s3, 0, s3
	s_mul_hi_u32 s7, s1, s5
	s_mul_i32 s5, s1, s5
	s_add_u32 s4, s4, s5
	s_mul_hi_u32 s6, s1, s2
	s_addc_u32 s3, s3, s7
	s_addc_u32 s4, s6, 0
	s_mul_i32 s2, s1, s2
	s_add_u32 s2, s3, s2
	s_addc_u32 s3, 0, s4
	s_add_u32 s4, s2, 1
	s_addc_u32 s5, s3, 0
	s_add_u32 s6, s2, 2
	s_mul_i32 s8, s3, 24
	s_mul_hi_u32 s9, s2, 24
	s_addc_u32 s7, s3, 0
	s_add_i32 s9, s9, s8
	s_mul_i32 s8, s2, 24
	v_mov_b32_e32 v2, s8
	v_sub_co_u32_e32 v2, vcc, s0, v2
	s_cmp_lg_u64 vcc, 0
	s_subb_u32 s8, s1, s9
	v_subrev_co_u32_e32 v3, vcc, 24, v2
	s_cmp_lg_u64 vcc, 0
	s_subb_u32 s9, s8, 0
	v_readfirstlane_b32 s10, v3
	s_cmp_gt_u32 s10, 23
	s_cselect_b32 s10, -1, 0
	s_cmp_eq_u32 s9, 0
	s_cselect_b32 s9, s10, -1
	s_cmp_lg_u32 s9, 0
	s_cselect_b32 s4, s6, s4
	v_readfirstlane_b32 s6, v2
	s_cselect_b32 s5, s7, s5
	s_cmp_gt_u32 s6, 23
	s_cselect_b32 s6, -1, 0
	s_cmp_eq_u32 s8, 0
	s_cselect_b32 s6, s6, -1
	s_cmp_lg_u32 s6, 0
	v_mov_b32_e32 v1, 0
	s_cselect_b32 s3, s5, s3
	s_cselect_b32 s2, s4, s2
	v_cmp_eq_u64_e32 vcc, s[2:3], v[0:1]
	s_and_saveexec_b64 s[2:3], vcc
	s_cbranch_execz .LBB4090_102
; %bb.96:
	s_movk_i32 s2, 0xffd2
	v_mad_i32_i24 v2, v0, s2, v21
	v_mul_hi_u32_u24_e32 v1, 24, v0
	v_mov_b32_e32 v3, s1
	v_sub_co_u32_e32 v0, vcc, s0, v20
	v_subb_co_u32_e32 v1, vcc, v3, v1, vcc
	v_cmp_lt_i64_e32 vcc, 11, v[0:1]
	s_mov_b64 s[0:1], 0
	s_mov_b64 s[8:9], 0
	;; [unrolled: 1-line block ×4, first 2 shown]
                                        ; implicit-def: $vgpr3
                                        ; implicit-def: $vgpr4
                                        ; implicit-def: $vgpr5
	s_and_saveexec_b64 s[2:3], vcc
	s_xor_b64 s[2:3], exec, s[2:3]
	s_cbranch_execnz .LBB4090_103
; %bb.97:
	s_andn2_saveexec_b64 s[2:3], s[2:3]
	s_cbranch_execnz .LBB4090_148
.LBB4090_98:
	s_or_b64 exec, exec, s[2:3]
	s_and_saveexec_b64 s[2:3], s[8:9]
	s_cbranch_execnz .LBB4090_165
.LBB4090_99:
	s_or_b64 exec, exec, s[2:3]
	s_and_saveexec_b64 s[2:3], s[6:7]
	s_cbranch_execnz .LBB4090_166
.LBB4090_100:
	s_or_b64 exec, exec, s[2:3]
	s_and_saveexec_b64 s[2:3], s[4:5]
	s_xor_b64 s[2:3], exec, s[2:3]
	s_cbranch_execnz .LBB4090_167
.LBB4090_101:
	s_or_b64 exec, exec, s[2:3]
	s_and_b64 exec, exec, s[0:1]
	s_cbranch_execnz .LBB4090_168
.LBB4090_102:
	s_endpgm
.LBB4090_103:
	v_cmp_lt_i64_e32 vcc, 17, v[0:1]
                                        ; implicit-def: $vgpr3
                                        ; implicit-def: $vgpr4
                                        ; implicit-def: $vgpr5
	s_and_saveexec_b64 s[10:11], vcc
	s_xor_b64 s[10:11], exec, s[10:11]
	s_cbranch_execz .LBB4090_125
; %bb.104:
	v_cmp_lt_i64_e32 vcc, 20, v[0:1]
                                        ; implicit-def: $vgpr3
                                        ; implicit-def: $vgpr4
	s_and_saveexec_b64 s[12:13], vcc
	s_xor_b64 s[12:13], exec, s[12:13]
	s_cbranch_execz .LBB4090_114
; %bb.105:
	v_cmp_lt_i64_e32 vcc, 21, v[0:1]
	s_mov_b64 s[16:17], 0
                                        ; implicit-def: $vgpr3
	s_and_saveexec_b64 s[4:5], vcc
	s_xor_b64 s[4:5], exec, s[4:5]
	s_cbranch_execz .LBB4090_111
; %bb.106:
	v_cmp_lt_i64_e32 vcc, 22, v[0:1]
	s_and_saveexec_b64 s[16:17], vcc
	s_xor_b64 s[16:17], exec, s[16:17]
	s_cbranch_execz .LBB4090_108
; %bb.107:
	ds_read_u16 v3, v2 offset:2944
	v_mov_b32_e32 v4, 0
	s_waitcnt lgkmcnt(0)
	global_store_short v4, v3, s[14:15]
.LBB4090_108:
	s_or_saveexec_b64 s[16:17], s[16:17]
	s_mov_b64 s[18:19], 0
                                        ; implicit-def: $vgpr3
	s_xor_b64 exec, exec, s[16:17]
	s_cbranch_execz .LBB4090_110
; %bb.109:
	ds_read_u16 v3, v2 offset:2816
	s_mov_b64 s[18:19], exec
.LBB4090_110:
	s_or_b64 exec, exec, s[16:17]
	s_and_b64 s[16:17], s[18:19], exec
.LBB4090_111:
	s_or_saveexec_b64 s[4:5], s[4:5]
                                        ; implicit-def: $vgpr4
	s_xor_b64 exec, exec, s[4:5]
	s_cbranch_execz .LBB4090_113
; %bb.112:
	ds_read_u16 v4, v2 offset:2688
	s_mov_b64 s[6:7], exec
                                        ; implicit-def: $vgpr3
.LBB4090_113:
	s_or_b64 exec, exec, s[4:5]
	s_and_b64 s[4:5], s[16:17], exec
	s_and_b64 s[6:7], s[6:7], exec
.LBB4090_114:
	s_or_saveexec_b64 s[12:13], s[12:13]
                                        ; implicit-def: $vgpr5
	s_xor_b64 exec, exec, s[12:13]
	s_cbranch_execz .LBB4090_124
; %bb.115:
	v_cmp_lt_i64_e32 vcc, 18, v[0:1]
	s_mov_b64 s[16:17], 0
                                        ; implicit-def: $vgpr5
	s_and_saveexec_b64 s[8:9], vcc
	s_xor_b64 s[8:9], exec, s[8:9]
	s_cbranch_execz .LBB4090_121
; %bb.116:
	v_cmp_lt_i64_e32 vcc, 19, v[0:1]
                                        ; implicit-def: $vgpr5
	s_and_saveexec_b64 s[18:19], vcc
	s_xor_b64 s[18:19], exec, s[18:19]
	s_cbranch_execz .LBB4090_118
; %bb.117:
	ds_read_u16 v5, v2 offset:2560
	s_mov_b64 s[16:17], exec
.LBB4090_118:
	s_andn2_saveexec_b64 s[18:19], s[18:19]
	s_cbranch_execz .LBB4090_120
; %bb.119:
	s_waitcnt lgkmcnt(0)
	ds_read_u16 v3, v2 offset:2432
	v_mov_b32_e32 v4, 0
                                        ; implicit-def: $vgpr5
	s_waitcnt lgkmcnt(0)
	global_store_short v4, v3, s[14:15]
.LBB4090_120:
	s_or_b64 exec, exec, s[18:19]
	s_and_b64 s[16:17], s[16:17], exec
.LBB4090_121:
	s_andn2_saveexec_b64 s[8:9], s[8:9]
	s_cbranch_execz .LBB4090_123
; %bb.122:
	s_waitcnt lgkmcnt(0)
	ds_read_u16 v3, v2 offset:2304
	v_mov_b32_e32 v4, 0
                                        ; implicit-def: $vgpr5
	s_waitcnt lgkmcnt(0)
	global_store_short v4, v3, s[14:15]
.LBB4090_123:
	s_or_b64 exec, exec, s[8:9]
	s_and_b64 s[8:9], s[16:17], exec
                                        ; implicit-def: $vgpr3
                                        ; implicit-def: $vgpr4
.LBB4090_124:
	s_or_b64 exec, exec, s[12:13]
	s_and_b64 s[4:5], s[4:5], exec
	s_and_b64 s[6:7], s[6:7], exec
	;; [unrolled: 1-line block ×3, first 2 shown]
.LBB4090_125:
	s_andn2_saveexec_b64 s[10:11], s[10:11]
	s_cbranch_execz .LBB4090_147
; %bb.126:
	v_cmp_lt_i64_e32 vcc, 14, v[0:1]
	s_mov_b64 s[12:13], s[4:5]
                                        ; implicit-def: $vgpr3
	s_and_saveexec_b64 s[16:17], vcc
	s_xor_b64 s[16:17], exec, s[16:17]
	s_cbranch_execz .LBB4090_136
; %bb.127:
	v_cmp_lt_i64_e32 vcc, 15, v[0:1]
	s_and_saveexec_b64 s[12:13], vcc
	s_xor_b64 s[12:13], exec, s[12:13]
	s_cbranch_execz .LBB4090_133
; %bb.128:
	v_cmp_lt_i64_e32 vcc, 16, v[0:1]
	s_and_saveexec_b64 s[18:19], vcc
	s_xor_b64 s[18:19], exec, s[18:19]
	s_cbranch_execz .LBB4090_130
; %bb.129:
	s_waitcnt lgkmcnt(0)
	ds_read_u16 v3, v2 offset:2176
	v_mov_b32_e32 v4, 0
	s_waitcnt lgkmcnt(0)
	global_store_short v4, v3, s[14:15]
.LBB4090_130:
	s_andn2_saveexec_b64 s[18:19], s[18:19]
	s_cbranch_execz .LBB4090_132
; %bb.131:
	s_waitcnt lgkmcnt(0)
	ds_read_u16 v3, v2 offset:2048
	v_mov_b32_e32 v4, 0
	s_waitcnt lgkmcnt(0)
	global_store_short v4, v3, s[14:15]
.LBB4090_132:
	s_or_b64 exec, exec, s[18:19]
.LBB4090_133:
	s_or_saveexec_b64 s[12:13], s[12:13]
	s_mov_b64 s[18:19], s[4:5]
                                        ; implicit-def: $vgpr3
	s_xor_b64 exec, exec, s[12:13]
	s_cbranch_execz .LBB4090_135
; %bb.134:
	s_waitcnt lgkmcnt(0)
	ds_read_u16 v3, v2 offset:1920
	s_or_b64 s[18:19], s[4:5], exec
.LBB4090_135:
	s_or_b64 exec, exec, s[12:13]
	s_andn2_b64 s[12:13], s[4:5], exec
	s_and_b64 s[18:19], s[18:19], exec
	s_or_b64 s[12:13], s[12:13], s[18:19]
.LBB4090_136:
	s_or_saveexec_b64 s[16:17], s[16:17]
	s_mov_b64 s[18:19], s[6:7]
                                        ; implicit-def: $vgpr4
	s_xor_b64 exec, exec, s[16:17]
	s_cbranch_execz .LBB4090_146
; %bb.137:
	v_cmp_lt_i64_e32 vcc, 12, v[0:1]
	s_mov_b64 s[20:21], s[6:7]
	s_mov_b64 s[22:23], s[12:13]
                                        ; implicit-def: $vgpr3
                                        ; implicit-def: $vgpr4
	s_and_saveexec_b64 s[18:19], vcc
	s_xor_b64 s[18:19], exec, s[18:19]
	s_cbranch_execz .LBB4090_143
; %bb.138:
	v_cmp_lt_i64_e32 vcc, 13, v[0:1]
	s_mov_b64 s[20:21], s[12:13]
                                        ; implicit-def: $vgpr3
	s_and_saveexec_b64 s[22:23], vcc
	s_xor_b64 s[22:23], exec, s[22:23]
	s_cbranch_execz .LBB4090_140
; %bb.139:
	s_waitcnt lgkmcnt(0)
	ds_read_u16 v3, v2 offset:1792
	s_or_b64 s[20:21], s[12:13], exec
.LBB4090_140:
	s_or_saveexec_b64 s[22:23], s[22:23]
	s_mov_b64 s[24:25], s[6:7]
                                        ; implicit-def: $vgpr4
	s_xor_b64 exec, exec, s[22:23]
	s_cbranch_execz .LBB4090_142
; %bb.141:
	s_waitcnt lgkmcnt(0)
	ds_read_u16 v4, v2 offset:1664
	s_or_b64 s[24:25], s[6:7], exec
                                        ; implicit-def: $vgpr3
.LBB4090_142:
	s_or_b64 exec, exec, s[22:23]
	s_andn2_b64 s[22:23], s[12:13], exec
	s_and_b64 s[20:21], s[20:21], exec
	s_or_b64 s[22:23], s[22:23], s[20:21]
	s_andn2_b64 s[20:21], s[6:7], exec
	s_and_b64 s[24:25], s[24:25], exec
	s_or_b64 s[20:21], s[20:21], s[24:25]
.LBB4090_143:
	s_andn2_saveexec_b64 s[18:19], s[18:19]
	s_cbranch_execz .LBB4090_145
; %bb.144:
	s_waitcnt lgkmcnt(0)
	ds_read_u16 v4, v2 offset:1536
	s_or_b64 s[20:21], s[20:21], exec
                                        ; implicit-def: $vgpr3
.LBB4090_145:
	s_or_b64 exec, exec, s[18:19]
	s_andn2_b64 s[12:13], s[12:13], exec
	s_and_b64 s[18:19], s[22:23], exec
	s_or_b64 s[12:13], s[12:13], s[18:19]
	s_andn2_b64 s[18:19], s[6:7], exec
	s_and_b64 s[20:21], s[20:21], exec
	s_or_b64 s[18:19], s[18:19], s[20:21]
.LBB4090_146:
	s_or_b64 exec, exec, s[16:17]
	s_andn2_b64 s[4:5], s[4:5], exec
	s_and_b64 s[12:13], s[12:13], exec
	s_or_b64 s[4:5], s[4:5], s[12:13]
	s_andn2_b64 s[6:7], s[6:7], exec
	s_and_b64 s[12:13], s[18:19], exec
	s_or_b64 s[6:7], s[6:7], s[12:13]
                                        ; implicit-def: $vgpr5
.LBB4090_147:
	s_or_b64 exec, exec, s[10:11]
	s_and_b64 s[4:5], s[4:5], exec
	s_and_b64 s[6:7], s[6:7], exec
	s_and_b64 s[8:9], s[8:9], exec
	s_andn2_saveexec_b64 s[2:3], s[2:3]
	s_cbranch_execz .LBB4090_98
.LBB4090_148:
	v_cmp_lt_i64_e32 vcc, 5, v[0:1]
	s_mov_b64 s[12:13], -1
	s_mov_b64 s[10:11], s[8:9]
	s_mov_b64 s[16:17], s[6:7]
	;; [unrolled: 1-line block ×3, first 2 shown]
                                        ; implicit-def: $vgpr3
                                        ; implicit-def: $vgpr4
                                        ; implicit-def: $vgpr5
	s_and_saveexec_b64 s[0:1], vcc
	s_cbranch_execz .LBB4090_164
; %bb.149:
	v_cmp_lt_i64_e32 vcc, 8, v[0:1]
	s_mov_b64 s[10:11], s[8:9]
                                        ; implicit-def: $vgpr5
	s_and_saveexec_b64 s[12:13], vcc
	s_xor_b64 s[12:13], exec, s[12:13]
	s_cbranch_execz .LBB4090_159
; %bb.150:
	v_cmp_lt_i64_e32 vcc, 9, v[0:1]
                                        ; implicit-def: $vgpr5
	s_and_saveexec_b64 s[10:11], vcc
	s_xor_b64 s[10:11], exec, s[10:11]
	s_cbranch_execz .LBB4090_156
; %bb.151:
	v_cmp_lt_i64_e32 vcc, 10, v[0:1]
                                        ; implicit-def: $vgpr5
	s_and_saveexec_b64 s[16:17], vcc
	s_xor_b64 s[16:17], exec, s[16:17]
	s_cbranch_execz .LBB4090_153
; %bb.152:
	s_waitcnt lgkmcnt(0)
	ds_read_u16 v5, v2 offset:1408
.LBB4090_153:
	s_andn2_saveexec_b64 s[16:17], s[16:17]
	s_cbranch_execz .LBB4090_155
; %bb.154:
	s_waitcnt lgkmcnt(0)
	ds_read_u16 v5, v2 offset:1280
.LBB4090_155:
	s_or_b64 exec, exec, s[16:17]
.LBB4090_156:
	s_andn2_saveexec_b64 s[10:11], s[10:11]
	s_cbranch_execz .LBB4090_158
; %bb.157:
	s_waitcnt lgkmcnt(0)
	ds_read_u16 v5, v2 offset:1152
.LBB4090_158:
	s_or_b64 exec, exec, s[10:11]
	s_or_b64 s[10:11], s[8:9], exec
.LBB4090_159:
	s_or_saveexec_b64 s[12:13], s[12:13]
	s_mov_b64 s[16:17], s[6:7]
	s_mov_b64 s[20:21], s[4:5]
                                        ; implicit-def: $vgpr3
                                        ; implicit-def: $vgpr4
	s_xor_b64 exec, exec, s[12:13]
	s_cbranch_execz .LBB4090_163
; %bb.160:
	s_waitcnt lgkmcnt(0)
	ds_read_u16 v3, v2 offset:768
	v_cmp_lt_i64_e32 vcc, 6, v[0:1]
	s_mov_b64 s[20:21], -1
	s_mov_b64 s[18:19], s[10:11]
	s_mov_b64 s[16:17], s[6:7]
                                        ; implicit-def: $vgpr4
                                        ; implicit-def: $vgpr5
	s_and_saveexec_b64 s[22:23], vcc
	s_cbranch_execz .LBB4090_162
; %bb.161:
	ds_read_u16 v4, v2 offset:896
	ds_read_u16 v5, v2 offset:1024
	v_cmp_lt_i64_e32 vcc, 7, v[0:1]
	s_andn2_b64 s[18:19], s[10:11], exec
	s_and_b64 s[24:25], vcc, exec
	s_xor_b64 s[20:21], exec, -1
	s_or_b64 s[16:17], s[6:7], exec
	s_or_b64 s[18:19], s[18:19], s[24:25]
                                        ; implicit-def: $vgpr3
.LBB4090_162:
	s_or_b64 exec, exec, s[22:23]
	s_andn2_b64 s[22:23], s[4:5], exec
	s_and_b64 s[20:21], s[20:21], exec
	s_or_b64 s[20:21], s[22:23], s[20:21]
	s_andn2_b64 s[22:23], s[6:7], exec
	s_and_b64 s[16:17], s[16:17], exec
	s_andn2_b64 s[10:11], s[10:11], exec
	s_and_b64 s[18:19], s[18:19], exec
	s_or_b64 s[16:17], s[22:23], s[16:17]
	s_or_b64 s[10:11], s[10:11], s[18:19]
.LBB4090_163:
	s_or_b64 exec, exec, s[12:13]
	s_andn2_b64 s[18:19], s[4:5], exec
	s_and_b64 s[20:21], s[20:21], exec
	s_or_b64 s[18:19], s[18:19], s[20:21]
	s_andn2_b64 s[20:21], s[6:7], exec
	s_and_b64 s[16:17], s[16:17], exec
	s_or_b64 s[16:17], s[20:21], s[16:17]
	s_andn2_b64 s[20:21], s[8:9], exec
	s_and_b64 s[10:11], s[10:11], exec
	s_xor_b64 s[12:13], exec, -1
	s_or_b64 s[10:11], s[20:21], s[10:11]
.LBB4090_164:
	s_or_b64 exec, exec, s[0:1]
	s_and_b64 s[0:1], s[12:13], exec
	s_andn2_b64 s[4:5], s[4:5], exec
	s_and_b64 s[12:13], s[18:19], exec
	s_or_b64 s[4:5], s[4:5], s[12:13]
	s_andn2_b64 s[6:7], s[6:7], exec
	s_and_b64 s[12:13], s[16:17], exec
	s_andn2_b64 s[8:9], s[8:9], exec
	s_and_b64 s[10:11], s[10:11], exec
	s_or_b64 s[6:7], s[6:7], s[12:13]
	s_or_b64 s[8:9], s[8:9], s[10:11]
	s_or_b64 exec, exec, s[2:3]
	s_and_saveexec_b64 s[2:3], s[8:9]
	s_cbranch_execz .LBB4090_99
.LBB4090_165:
	s_waitcnt lgkmcnt(0)
	v_mov_b32_e32 v3, 0
	s_andn2_b64 s[6:7], s[6:7], exec
	global_store_short v3, v5, s[14:15]
                                        ; implicit-def: $vgpr3
                                        ; implicit-def: $vgpr4
	s_or_b64 exec, exec, s[2:3]
	s_and_saveexec_b64 s[2:3], s[6:7]
	s_cbranch_execz .LBB4090_100
.LBB4090_166:
	s_waitcnt lgkmcnt(0)
	v_mov_b32_e32 v3, 0
	global_store_short v3, v4, s[14:15]
                                        ; implicit-def: $vgpr3
	s_or_b64 exec, exec, s[2:3]
	s_and_saveexec_b64 s[2:3], s[4:5]
	s_xor_b64 s[2:3], exec, s[2:3]
	s_cbranch_execz .LBB4090_101
.LBB4090_167:
	s_waitcnt lgkmcnt(0)
	v_mov_b32_e32 v4, 0
	global_store_short v4, v3, s[14:15]
	s_or_b64 exec, exec, s[2:3]
	s_and_b64 exec, exec, s[0:1]
	s_cbranch_execz .LBB4090_102
.LBB4090_168:
	v_cmp_lt_i64_e32 vcc, 2, v[0:1]
	s_and_saveexec_b64 s[0:1], vcc
	s_xor_b64 s[0:1], exec, s[0:1]
	s_cbranch_execz .LBB4090_178
; %bb.169:
	v_cmp_lt_i64_e32 vcc, 3, v[0:1]
	s_and_saveexec_b64 s[2:3], vcc
	s_xor_b64 s[2:3], exec, s[2:3]
	s_cbranch_execz .LBB4090_175
; %bb.170:
	;; [unrolled: 5-line block ×3, first 2 shown]
	ds_read_u16 v0, v2 offset:640
	v_mov_b32_e32 v1, 0
                                        ; implicit-def: $vgpr2
	s_waitcnt lgkmcnt(0)
	global_store_short v1, v0, s[14:15]
.LBB4090_172:
	s_andn2_saveexec_b64 s[4:5], s[4:5]
	s_cbranch_execz .LBB4090_174
; %bb.173:
	ds_read_u16 v0, v2 offset:512
	v_mov_b32_e32 v1, 0
	s_waitcnt lgkmcnt(0)
	global_store_short v1, v0, s[14:15]
.LBB4090_174:
	s_or_b64 exec, exec, s[4:5]
                                        ; implicit-def: $vgpr2
.LBB4090_175:
	s_andn2_saveexec_b64 s[2:3], s[2:3]
	s_cbranch_execz .LBB4090_177
; %bb.176:
	ds_read_u16 v0, v2 offset:384
	v_mov_b32_e32 v1, 0
	s_waitcnt lgkmcnt(0)
	global_store_short v1, v0, s[14:15]
.LBB4090_177:
	s_or_b64 exec, exec, s[2:3]
                                        ; implicit-def: $vgpr0_vgpr1
                                        ; implicit-def: $vgpr2
.LBB4090_178:
	s_andn2_saveexec_b64 s[0:1], s[0:1]
	s_cbranch_execz .LBB4090_102
; %bb.179:
	v_cmp_lt_i64_e32 vcc, 1, v[0:1]
	s_and_saveexec_b64 s[0:1], vcc
	s_xor_b64 s[0:1], exec, s[0:1]
	s_cbranch_execz .LBB4090_181
; %bb.180:
	ds_read_u16 v0, v2 offset:256
	v_mov_b32_e32 v1, 0
                                        ; implicit-def: $vgpr2
	s_waitcnt lgkmcnt(0)
	global_store_short v1, v0, s[14:15]
                                        ; implicit-def: $vgpr0_vgpr1
.LBB4090_181:
	s_andn2_saveexec_b64 s[0:1], s[0:1]
	s_cbranch_execz .LBB4090_102
; %bb.182:
	v_cmp_ne_u64_e32 vcc, 1, v[0:1]
	s_and_saveexec_b64 s[0:1], vcc
	s_xor_b64 s[0:1], exec, s[0:1]
	s_cbranch_execz .LBB4090_184
; %bb.183:
	ds_read_u16 v0, v2
	v_mov_b32_e32 v1, 0
                                        ; implicit-def: $vgpr2
	s_waitcnt lgkmcnt(0)
	global_store_short v1, v0, s[14:15]
.LBB4090_184:
	s_andn2_saveexec_b64 s[0:1], s[0:1]
	s_cbranch_execz .LBB4090_102
; %bb.185:
	ds_read_u16 v0, v2 offset:128
	v_mov_b32_e32 v1, 0
	s_waitcnt lgkmcnt(0)
	global_store_short v1, v0, s[14:15]
	s_endpgm
	.section	.rodata,"a",@progbits
	.p2align	6, 0x0
	.amdhsa_kernel _ZN7rocprim17ROCPRIM_400000_NS6detail17trampoline_kernelINS0_14default_configENS1_20scan_config_selectorIsEEZZNS1_9scan_implILNS1_25lookback_scan_determinismE0ELb1ELb1ES3_N6thrust23THRUST_200600_302600_NS6detail15normal_iteratorINS9_10device_ptrIsEEEENS9_16discard_iteratorINS9_11use_defaultEEEs11max_functorIsEsEEDaPvRmT3_T4_T5_mT6_P12ihipStream_tbENKUlT_T0_E_clISt17integral_constantIbLb1EESX_EEDaSS_ST_EUlSS_E_NS1_11comp_targetILNS1_3genE4ELNS1_11target_archE910ELNS1_3gpuE8ELNS1_3repE0EEENS1_30default_config_static_selectorELNS0_4arch9wavefront6targetE1EEEvT1_
		.amdhsa_group_segment_fixed_size 3072
		.amdhsa_private_segment_fixed_size 0
		.amdhsa_kernarg_size 104
		.amdhsa_user_sgpr_count 6
		.amdhsa_user_sgpr_private_segment_buffer 1
		.amdhsa_user_sgpr_dispatch_ptr 0
		.amdhsa_user_sgpr_queue_ptr 0
		.amdhsa_user_sgpr_kernarg_segment_ptr 1
		.amdhsa_user_sgpr_dispatch_id 0
		.amdhsa_user_sgpr_flat_scratch_init 0
		.amdhsa_user_sgpr_kernarg_preload_length 0
		.amdhsa_user_sgpr_kernarg_preload_offset 0
		.amdhsa_user_sgpr_private_segment_size 0
		.amdhsa_uses_dynamic_stack 0
		.amdhsa_system_sgpr_private_segment_wavefront_offset 0
		.amdhsa_system_sgpr_workgroup_id_x 1
		.amdhsa_system_sgpr_workgroup_id_y 0
		.amdhsa_system_sgpr_workgroup_id_z 0
		.amdhsa_system_sgpr_workgroup_info 0
		.amdhsa_system_vgpr_workitem_id 0
		.amdhsa_next_free_vgpr 57
		.amdhsa_next_free_sgpr 32
		.amdhsa_accum_offset 60
		.amdhsa_reserve_vcc 1
		.amdhsa_reserve_flat_scratch 0
		.amdhsa_float_round_mode_32 0
		.amdhsa_float_round_mode_16_64 0
		.amdhsa_float_denorm_mode_32 3
		.amdhsa_float_denorm_mode_16_64 3
		.amdhsa_dx10_clamp 1
		.amdhsa_ieee_mode 1
		.amdhsa_fp16_overflow 0
		.amdhsa_tg_split 0
		.amdhsa_exception_fp_ieee_invalid_op 0
		.amdhsa_exception_fp_denorm_src 0
		.amdhsa_exception_fp_ieee_div_zero 0
		.amdhsa_exception_fp_ieee_overflow 0
		.amdhsa_exception_fp_ieee_underflow 0
		.amdhsa_exception_fp_ieee_inexact 0
		.amdhsa_exception_int_div_zero 0
	.end_amdhsa_kernel
	.section	.text._ZN7rocprim17ROCPRIM_400000_NS6detail17trampoline_kernelINS0_14default_configENS1_20scan_config_selectorIsEEZZNS1_9scan_implILNS1_25lookback_scan_determinismE0ELb1ELb1ES3_N6thrust23THRUST_200600_302600_NS6detail15normal_iteratorINS9_10device_ptrIsEEEENS9_16discard_iteratorINS9_11use_defaultEEEs11max_functorIsEsEEDaPvRmT3_T4_T5_mT6_P12ihipStream_tbENKUlT_T0_E_clISt17integral_constantIbLb1EESX_EEDaSS_ST_EUlSS_E_NS1_11comp_targetILNS1_3genE4ELNS1_11target_archE910ELNS1_3gpuE8ELNS1_3repE0EEENS1_30default_config_static_selectorELNS0_4arch9wavefront6targetE1EEEvT1_,"axG",@progbits,_ZN7rocprim17ROCPRIM_400000_NS6detail17trampoline_kernelINS0_14default_configENS1_20scan_config_selectorIsEEZZNS1_9scan_implILNS1_25lookback_scan_determinismE0ELb1ELb1ES3_N6thrust23THRUST_200600_302600_NS6detail15normal_iteratorINS9_10device_ptrIsEEEENS9_16discard_iteratorINS9_11use_defaultEEEs11max_functorIsEsEEDaPvRmT3_T4_T5_mT6_P12ihipStream_tbENKUlT_T0_E_clISt17integral_constantIbLb1EESX_EEDaSS_ST_EUlSS_E_NS1_11comp_targetILNS1_3genE4ELNS1_11target_archE910ELNS1_3gpuE8ELNS1_3repE0EEENS1_30default_config_static_selectorELNS0_4arch9wavefront6targetE1EEEvT1_,comdat
.Lfunc_end4090:
	.size	_ZN7rocprim17ROCPRIM_400000_NS6detail17trampoline_kernelINS0_14default_configENS1_20scan_config_selectorIsEEZZNS1_9scan_implILNS1_25lookback_scan_determinismE0ELb1ELb1ES3_N6thrust23THRUST_200600_302600_NS6detail15normal_iteratorINS9_10device_ptrIsEEEENS9_16discard_iteratorINS9_11use_defaultEEEs11max_functorIsEsEEDaPvRmT3_T4_T5_mT6_P12ihipStream_tbENKUlT_T0_E_clISt17integral_constantIbLb1EESX_EEDaSS_ST_EUlSS_E_NS1_11comp_targetILNS1_3genE4ELNS1_11target_archE910ELNS1_3gpuE8ELNS1_3repE0EEENS1_30default_config_static_selectorELNS0_4arch9wavefront6targetE1EEEvT1_, .Lfunc_end4090-_ZN7rocprim17ROCPRIM_400000_NS6detail17trampoline_kernelINS0_14default_configENS1_20scan_config_selectorIsEEZZNS1_9scan_implILNS1_25lookback_scan_determinismE0ELb1ELb1ES3_N6thrust23THRUST_200600_302600_NS6detail15normal_iteratorINS9_10device_ptrIsEEEENS9_16discard_iteratorINS9_11use_defaultEEEs11max_functorIsEsEEDaPvRmT3_T4_T5_mT6_P12ihipStream_tbENKUlT_T0_E_clISt17integral_constantIbLb1EESX_EEDaSS_ST_EUlSS_E_NS1_11comp_targetILNS1_3genE4ELNS1_11target_archE910ELNS1_3gpuE8ELNS1_3repE0EEENS1_30default_config_static_selectorELNS0_4arch9wavefront6targetE1EEEvT1_
                                        ; -- End function
	.section	.AMDGPU.csdata,"",@progbits
; Kernel info:
; codeLenInByte = 6564
; NumSgprs: 36
; NumVgprs: 57
; NumAgprs: 0
; TotalNumVgprs: 57
; ScratchSize: 0
; MemoryBound: 0
; FloatMode: 240
; IeeeMode: 1
; LDSByteSize: 3072 bytes/workgroup (compile time only)
; SGPRBlocks: 4
; VGPRBlocks: 7
; NumSGPRsForWavesPerEU: 36
; NumVGPRsForWavesPerEU: 57
; AccumOffset: 60
; Occupancy: 6
; WaveLimiterHint : 1
; COMPUTE_PGM_RSRC2:SCRATCH_EN: 0
; COMPUTE_PGM_RSRC2:USER_SGPR: 6
; COMPUTE_PGM_RSRC2:TRAP_HANDLER: 0
; COMPUTE_PGM_RSRC2:TGID_X_EN: 1
; COMPUTE_PGM_RSRC2:TGID_Y_EN: 0
; COMPUTE_PGM_RSRC2:TGID_Z_EN: 0
; COMPUTE_PGM_RSRC2:TIDIG_COMP_CNT: 0
; COMPUTE_PGM_RSRC3_GFX90A:ACCUM_OFFSET: 14
; COMPUTE_PGM_RSRC3_GFX90A:TG_SPLIT: 0
	.section	.text._ZN7rocprim17ROCPRIM_400000_NS6detail17trampoline_kernelINS0_14default_configENS1_20scan_config_selectorIsEEZZNS1_9scan_implILNS1_25lookback_scan_determinismE0ELb1ELb1ES3_N6thrust23THRUST_200600_302600_NS6detail15normal_iteratorINS9_10device_ptrIsEEEENS9_16discard_iteratorINS9_11use_defaultEEEs11max_functorIsEsEEDaPvRmT3_T4_T5_mT6_P12ihipStream_tbENKUlT_T0_E_clISt17integral_constantIbLb1EESX_EEDaSS_ST_EUlSS_E_NS1_11comp_targetILNS1_3genE3ELNS1_11target_archE908ELNS1_3gpuE7ELNS1_3repE0EEENS1_30default_config_static_selectorELNS0_4arch9wavefront6targetE1EEEvT1_,"axG",@progbits,_ZN7rocprim17ROCPRIM_400000_NS6detail17trampoline_kernelINS0_14default_configENS1_20scan_config_selectorIsEEZZNS1_9scan_implILNS1_25lookback_scan_determinismE0ELb1ELb1ES3_N6thrust23THRUST_200600_302600_NS6detail15normal_iteratorINS9_10device_ptrIsEEEENS9_16discard_iteratorINS9_11use_defaultEEEs11max_functorIsEsEEDaPvRmT3_T4_T5_mT6_P12ihipStream_tbENKUlT_T0_E_clISt17integral_constantIbLb1EESX_EEDaSS_ST_EUlSS_E_NS1_11comp_targetILNS1_3genE3ELNS1_11target_archE908ELNS1_3gpuE7ELNS1_3repE0EEENS1_30default_config_static_selectorELNS0_4arch9wavefront6targetE1EEEvT1_,comdat
	.protected	_ZN7rocprim17ROCPRIM_400000_NS6detail17trampoline_kernelINS0_14default_configENS1_20scan_config_selectorIsEEZZNS1_9scan_implILNS1_25lookback_scan_determinismE0ELb1ELb1ES3_N6thrust23THRUST_200600_302600_NS6detail15normal_iteratorINS9_10device_ptrIsEEEENS9_16discard_iteratorINS9_11use_defaultEEEs11max_functorIsEsEEDaPvRmT3_T4_T5_mT6_P12ihipStream_tbENKUlT_T0_E_clISt17integral_constantIbLb1EESX_EEDaSS_ST_EUlSS_E_NS1_11comp_targetILNS1_3genE3ELNS1_11target_archE908ELNS1_3gpuE7ELNS1_3repE0EEENS1_30default_config_static_selectorELNS0_4arch9wavefront6targetE1EEEvT1_ ; -- Begin function _ZN7rocprim17ROCPRIM_400000_NS6detail17trampoline_kernelINS0_14default_configENS1_20scan_config_selectorIsEEZZNS1_9scan_implILNS1_25lookback_scan_determinismE0ELb1ELb1ES3_N6thrust23THRUST_200600_302600_NS6detail15normal_iteratorINS9_10device_ptrIsEEEENS9_16discard_iteratorINS9_11use_defaultEEEs11max_functorIsEsEEDaPvRmT3_T4_T5_mT6_P12ihipStream_tbENKUlT_T0_E_clISt17integral_constantIbLb1EESX_EEDaSS_ST_EUlSS_E_NS1_11comp_targetILNS1_3genE3ELNS1_11target_archE908ELNS1_3gpuE7ELNS1_3repE0EEENS1_30default_config_static_selectorELNS0_4arch9wavefront6targetE1EEEvT1_
	.globl	_ZN7rocprim17ROCPRIM_400000_NS6detail17trampoline_kernelINS0_14default_configENS1_20scan_config_selectorIsEEZZNS1_9scan_implILNS1_25lookback_scan_determinismE0ELb1ELb1ES3_N6thrust23THRUST_200600_302600_NS6detail15normal_iteratorINS9_10device_ptrIsEEEENS9_16discard_iteratorINS9_11use_defaultEEEs11max_functorIsEsEEDaPvRmT3_T4_T5_mT6_P12ihipStream_tbENKUlT_T0_E_clISt17integral_constantIbLb1EESX_EEDaSS_ST_EUlSS_E_NS1_11comp_targetILNS1_3genE3ELNS1_11target_archE908ELNS1_3gpuE7ELNS1_3repE0EEENS1_30default_config_static_selectorELNS0_4arch9wavefront6targetE1EEEvT1_
	.p2align	8
	.type	_ZN7rocprim17ROCPRIM_400000_NS6detail17trampoline_kernelINS0_14default_configENS1_20scan_config_selectorIsEEZZNS1_9scan_implILNS1_25lookback_scan_determinismE0ELb1ELb1ES3_N6thrust23THRUST_200600_302600_NS6detail15normal_iteratorINS9_10device_ptrIsEEEENS9_16discard_iteratorINS9_11use_defaultEEEs11max_functorIsEsEEDaPvRmT3_T4_T5_mT6_P12ihipStream_tbENKUlT_T0_E_clISt17integral_constantIbLb1EESX_EEDaSS_ST_EUlSS_E_NS1_11comp_targetILNS1_3genE3ELNS1_11target_archE908ELNS1_3gpuE7ELNS1_3repE0EEENS1_30default_config_static_selectorELNS0_4arch9wavefront6targetE1EEEvT1_,@function
_ZN7rocprim17ROCPRIM_400000_NS6detail17trampoline_kernelINS0_14default_configENS1_20scan_config_selectorIsEEZZNS1_9scan_implILNS1_25lookback_scan_determinismE0ELb1ELb1ES3_N6thrust23THRUST_200600_302600_NS6detail15normal_iteratorINS9_10device_ptrIsEEEENS9_16discard_iteratorINS9_11use_defaultEEEs11max_functorIsEsEEDaPvRmT3_T4_T5_mT6_P12ihipStream_tbENKUlT_T0_E_clISt17integral_constantIbLb1EESX_EEDaSS_ST_EUlSS_E_NS1_11comp_targetILNS1_3genE3ELNS1_11target_archE908ELNS1_3gpuE7ELNS1_3repE0EEENS1_30default_config_static_selectorELNS0_4arch9wavefront6targetE1EEEvT1_: ; @_ZN7rocprim17ROCPRIM_400000_NS6detail17trampoline_kernelINS0_14default_configENS1_20scan_config_selectorIsEEZZNS1_9scan_implILNS1_25lookback_scan_determinismE0ELb1ELb1ES3_N6thrust23THRUST_200600_302600_NS6detail15normal_iteratorINS9_10device_ptrIsEEEENS9_16discard_iteratorINS9_11use_defaultEEEs11max_functorIsEsEEDaPvRmT3_T4_T5_mT6_P12ihipStream_tbENKUlT_T0_E_clISt17integral_constantIbLb1EESX_EEDaSS_ST_EUlSS_E_NS1_11comp_targetILNS1_3genE3ELNS1_11target_archE908ELNS1_3gpuE7ELNS1_3repE0EEENS1_30default_config_static_selectorELNS0_4arch9wavefront6targetE1EEEvT1_
; %bb.0:
	.section	.rodata,"a",@progbits
	.p2align	6, 0x0
	.amdhsa_kernel _ZN7rocprim17ROCPRIM_400000_NS6detail17trampoline_kernelINS0_14default_configENS1_20scan_config_selectorIsEEZZNS1_9scan_implILNS1_25lookback_scan_determinismE0ELb1ELb1ES3_N6thrust23THRUST_200600_302600_NS6detail15normal_iteratorINS9_10device_ptrIsEEEENS9_16discard_iteratorINS9_11use_defaultEEEs11max_functorIsEsEEDaPvRmT3_T4_T5_mT6_P12ihipStream_tbENKUlT_T0_E_clISt17integral_constantIbLb1EESX_EEDaSS_ST_EUlSS_E_NS1_11comp_targetILNS1_3genE3ELNS1_11target_archE908ELNS1_3gpuE7ELNS1_3repE0EEENS1_30default_config_static_selectorELNS0_4arch9wavefront6targetE1EEEvT1_
		.amdhsa_group_segment_fixed_size 0
		.amdhsa_private_segment_fixed_size 0
		.amdhsa_kernarg_size 104
		.amdhsa_user_sgpr_count 6
		.amdhsa_user_sgpr_private_segment_buffer 1
		.amdhsa_user_sgpr_dispatch_ptr 0
		.amdhsa_user_sgpr_queue_ptr 0
		.amdhsa_user_sgpr_kernarg_segment_ptr 1
		.amdhsa_user_sgpr_dispatch_id 0
		.amdhsa_user_sgpr_flat_scratch_init 0
		.amdhsa_user_sgpr_kernarg_preload_length 0
		.amdhsa_user_sgpr_kernarg_preload_offset 0
		.amdhsa_user_sgpr_private_segment_size 0
		.amdhsa_uses_dynamic_stack 0
		.amdhsa_system_sgpr_private_segment_wavefront_offset 0
		.amdhsa_system_sgpr_workgroup_id_x 1
		.amdhsa_system_sgpr_workgroup_id_y 0
		.amdhsa_system_sgpr_workgroup_id_z 0
		.amdhsa_system_sgpr_workgroup_info 0
		.amdhsa_system_vgpr_workitem_id 0
		.amdhsa_next_free_vgpr 1
		.amdhsa_next_free_sgpr 0
		.amdhsa_accum_offset 4
		.amdhsa_reserve_vcc 0
		.amdhsa_reserve_flat_scratch 0
		.amdhsa_float_round_mode_32 0
		.amdhsa_float_round_mode_16_64 0
		.amdhsa_float_denorm_mode_32 3
		.amdhsa_float_denorm_mode_16_64 3
		.amdhsa_dx10_clamp 1
		.amdhsa_ieee_mode 1
		.amdhsa_fp16_overflow 0
		.amdhsa_tg_split 0
		.amdhsa_exception_fp_ieee_invalid_op 0
		.amdhsa_exception_fp_denorm_src 0
		.amdhsa_exception_fp_ieee_div_zero 0
		.amdhsa_exception_fp_ieee_overflow 0
		.amdhsa_exception_fp_ieee_underflow 0
		.amdhsa_exception_fp_ieee_inexact 0
		.amdhsa_exception_int_div_zero 0
	.end_amdhsa_kernel
	.section	.text._ZN7rocprim17ROCPRIM_400000_NS6detail17trampoline_kernelINS0_14default_configENS1_20scan_config_selectorIsEEZZNS1_9scan_implILNS1_25lookback_scan_determinismE0ELb1ELb1ES3_N6thrust23THRUST_200600_302600_NS6detail15normal_iteratorINS9_10device_ptrIsEEEENS9_16discard_iteratorINS9_11use_defaultEEEs11max_functorIsEsEEDaPvRmT3_T4_T5_mT6_P12ihipStream_tbENKUlT_T0_E_clISt17integral_constantIbLb1EESX_EEDaSS_ST_EUlSS_E_NS1_11comp_targetILNS1_3genE3ELNS1_11target_archE908ELNS1_3gpuE7ELNS1_3repE0EEENS1_30default_config_static_selectorELNS0_4arch9wavefront6targetE1EEEvT1_,"axG",@progbits,_ZN7rocprim17ROCPRIM_400000_NS6detail17trampoline_kernelINS0_14default_configENS1_20scan_config_selectorIsEEZZNS1_9scan_implILNS1_25lookback_scan_determinismE0ELb1ELb1ES3_N6thrust23THRUST_200600_302600_NS6detail15normal_iteratorINS9_10device_ptrIsEEEENS9_16discard_iteratorINS9_11use_defaultEEEs11max_functorIsEsEEDaPvRmT3_T4_T5_mT6_P12ihipStream_tbENKUlT_T0_E_clISt17integral_constantIbLb1EESX_EEDaSS_ST_EUlSS_E_NS1_11comp_targetILNS1_3genE3ELNS1_11target_archE908ELNS1_3gpuE7ELNS1_3repE0EEENS1_30default_config_static_selectorELNS0_4arch9wavefront6targetE1EEEvT1_,comdat
.Lfunc_end4091:
	.size	_ZN7rocprim17ROCPRIM_400000_NS6detail17trampoline_kernelINS0_14default_configENS1_20scan_config_selectorIsEEZZNS1_9scan_implILNS1_25lookback_scan_determinismE0ELb1ELb1ES3_N6thrust23THRUST_200600_302600_NS6detail15normal_iteratorINS9_10device_ptrIsEEEENS9_16discard_iteratorINS9_11use_defaultEEEs11max_functorIsEsEEDaPvRmT3_T4_T5_mT6_P12ihipStream_tbENKUlT_T0_E_clISt17integral_constantIbLb1EESX_EEDaSS_ST_EUlSS_E_NS1_11comp_targetILNS1_3genE3ELNS1_11target_archE908ELNS1_3gpuE7ELNS1_3repE0EEENS1_30default_config_static_selectorELNS0_4arch9wavefront6targetE1EEEvT1_, .Lfunc_end4091-_ZN7rocprim17ROCPRIM_400000_NS6detail17trampoline_kernelINS0_14default_configENS1_20scan_config_selectorIsEEZZNS1_9scan_implILNS1_25lookback_scan_determinismE0ELb1ELb1ES3_N6thrust23THRUST_200600_302600_NS6detail15normal_iteratorINS9_10device_ptrIsEEEENS9_16discard_iteratorINS9_11use_defaultEEEs11max_functorIsEsEEDaPvRmT3_T4_T5_mT6_P12ihipStream_tbENKUlT_T0_E_clISt17integral_constantIbLb1EESX_EEDaSS_ST_EUlSS_E_NS1_11comp_targetILNS1_3genE3ELNS1_11target_archE908ELNS1_3gpuE7ELNS1_3repE0EEENS1_30default_config_static_selectorELNS0_4arch9wavefront6targetE1EEEvT1_
                                        ; -- End function
	.section	.AMDGPU.csdata,"",@progbits
; Kernel info:
; codeLenInByte = 0
; NumSgprs: 4
; NumVgprs: 0
; NumAgprs: 0
; TotalNumVgprs: 0
; ScratchSize: 0
; MemoryBound: 0
; FloatMode: 240
; IeeeMode: 1
; LDSByteSize: 0 bytes/workgroup (compile time only)
; SGPRBlocks: 0
; VGPRBlocks: 0
; NumSGPRsForWavesPerEU: 4
; NumVGPRsForWavesPerEU: 1
; AccumOffset: 4
; Occupancy: 8
; WaveLimiterHint : 0
; COMPUTE_PGM_RSRC2:SCRATCH_EN: 0
; COMPUTE_PGM_RSRC2:USER_SGPR: 6
; COMPUTE_PGM_RSRC2:TRAP_HANDLER: 0
; COMPUTE_PGM_RSRC2:TGID_X_EN: 1
; COMPUTE_PGM_RSRC2:TGID_Y_EN: 0
; COMPUTE_PGM_RSRC2:TGID_Z_EN: 0
; COMPUTE_PGM_RSRC2:TIDIG_COMP_CNT: 0
; COMPUTE_PGM_RSRC3_GFX90A:ACCUM_OFFSET: 0
; COMPUTE_PGM_RSRC3_GFX90A:TG_SPLIT: 0
	.section	.text._ZN7rocprim17ROCPRIM_400000_NS6detail17trampoline_kernelINS0_14default_configENS1_20scan_config_selectorIsEEZZNS1_9scan_implILNS1_25lookback_scan_determinismE0ELb1ELb1ES3_N6thrust23THRUST_200600_302600_NS6detail15normal_iteratorINS9_10device_ptrIsEEEENS9_16discard_iteratorINS9_11use_defaultEEEs11max_functorIsEsEEDaPvRmT3_T4_T5_mT6_P12ihipStream_tbENKUlT_T0_E_clISt17integral_constantIbLb1EESX_EEDaSS_ST_EUlSS_E_NS1_11comp_targetILNS1_3genE2ELNS1_11target_archE906ELNS1_3gpuE6ELNS1_3repE0EEENS1_30default_config_static_selectorELNS0_4arch9wavefront6targetE1EEEvT1_,"axG",@progbits,_ZN7rocprim17ROCPRIM_400000_NS6detail17trampoline_kernelINS0_14default_configENS1_20scan_config_selectorIsEEZZNS1_9scan_implILNS1_25lookback_scan_determinismE0ELb1ELb1ES3_N6thrust23THRUST_200600_302600_NS6detail15normal_iteratorINS9_10device_ptrIsEEEENS9_16discard_iteratorINS9_11use_defaultEEEs11max_functorIsEsEEDaPvRmT3_T4_T5_mT6_P12ihipStream_tbENKUlT_T0_E_clISt17integral_constantIbLb1EESX_EEDaSS_ST_EUlSS_E_NS1_11comp_targetILNS1_3genE2ELNS1_11target_archE906ELNS1_3gpuE6ELNS1_3repE0EEENS1_30default_config_static_selectorELNS0_4arch9wavefront6targetE1EEEvT1_,comdat
	.protected	_ZN7rocprim17ROCPRIM_400000_NS6detail17trampoline_kernelINS0_14default_configENS1_20scan_config_selectorIsEEZZNS1_9scan_implILNS1_25lookback_scan_determinismE0ELb1ELb1ES3_N6thrust23THRUST_200600_302600_NS6detail15normal_iteratorINS9_10device_ptrIsEEEENS9_16discard_iteratorINS9_11use_defaultEEEs11max_functorIsEsEEDaPvRmT3_T4_T5_mT6_P12ihipStream_tbENKUlT_T0_E_clISt17integral_constantIbLb1EESX_EEDaSS_ST_EUlSS_E_NS1_11comp_targetILNS1_3genE2ELNS1_11target_archE906ELNS1_3gpuE6ELNS1_3repE0EEENS1_30default_config_static_selectorELNS0_4arch9wavefront6targetE1EEEvT1_ ; -- Begin function _ZN7rocprim17ROCPRIM_400000_NS6detail17trampoline_kernelINS0_14default_configENS1_20scan_config_selectorIsEEZZNS1_9scan_implILNS1_25lookback_scan_determinismE0ELb1ELb1ES3_N6thrust23THRUST_200600_302600_NS6detail15normal_iteratorINS9_10device_ptrIsEEEENS9_16discard_iteratorINS9_11use_defaultEEEs11max_functorIsEsEEDaPvRmT3_T4_T5_mT6_P12ihipStream_tbENKUlT_T0_E_clISt17integral_constantIbLb1EESX_EEDaSS_ST_EUlSS_E_NS1_11comp_targetILNS1_3genE2ELNS1_11target_archE906ELNS1_3gpuE6ELNS1_3repE0EEENS1_30default_config_static_selectorELNS0_4arch9wavefront6targetE1EEEvT1_
	.globl	_ZN7rocprim17ROCPRIM_400000_NS6detail17trampoline_kernelINS0_14default_configENS1_20scan_config_selectorIsEEZZNS1_9scan_implILNS1_25lookback_scan_determinismE0ELb1ELb1ES3_N6thrust23THRUST_200600_302600_NS6detail15normal_iteratorINS9_10device_ptrIsEEEENS9_16discard_iteratorINS9_11use_defaultEEEs11max_functorIsEsEEDaPvRmT3_T4_T5_mT6_P12ihipStream_tbENKUlT_T0_E_clISt17integral_constantIbLb1EESX_EEDaSS_ST_EUlSS_E_NS1_11comp_targetILNS1_3genE2ELNS1_11target_archE906ELNS1_3gpuE6ELNS1_3repE0EEENS1_30default_config_static_selectorELNS0_4arch9wavefront6targetE1EEEvT1_
	.p2align	8
	.type	_ZN7rocprim17ROCPRIM_400000_NS6detail17trampoline_kernelINS0_14default_configENS1_20scan_config_selectorIsEEZZNS1_9scan_implILNS1_25lookback_scan_determinismE0ELb1ELb1ES3_N6thrust23THRUST_200600_302600_NS6detail15normal_iteratorINS9_10device_ptrIsEEEENS9_16discard_iteratorINS9_11use_defaultEEEs11max_functorIsEsEEDaPvRmT3_T4_T5_mT6_P12ihipStream_tbENKUlT_T0_E_clISt17integral_constantIbLb1EESX_EEDaSS_ST_EUlSS_E_NS1_11comp_targetILNS1_3genE2ELNS1_11target_archE906ELNS1_3gpuE6ELNS1_3repE0EEENS1_30default_config_static_selectorELNS0_4arch9wavefront6targetE1EEEvT1_,@function
_ZN7rocprim17ROCPRIM_400000_NS6detail17trampoline_kernelINS0_14default_configENS1_20scan_config_selectorIsEEZZNS1_9scan_implILNS1_25lookback_scan_determinismE0ELb1ELb1ES3_N6thrust23THRUST_200600_302600_NS6detail15normal_iteratorINS9_10device_ptrIsEEEENS9_16discard_iteratorINS9_11use_defaultEEEs11max_functorIsEsEEDaPvRmT3_T4_T5_mT6_P12ihipStream_tbENKUlT_T0_E_clISt17integral_constantIbLb1EESX_EEDaSS_ST_EUlSS_E_NS1_11comp_targetILNS1_3genE2ELNS1_11target_archE906ELNS1_3gpuE6ELNS1_3repE0EEENS1_30default_config_static_selectorELNS0_4arch9wavefront6targetE1EEEvT1_: ; @_ZN7rocprim17ROCPRIM_400000_NS6detail17trampoline_kernelINS0_14default_configENS1_20scan_config_selectorIsEEZZNS1_9scan_implILNS1_25lookback_scan_determinismE0ELb1ELb1ES3_N6thrust23THRUST_200600_302600_NS6detail15normal_iteratorINS9_10device_ptrIsEEEENS9_16discard_iteratorINS9_11use_defaultEEEs11max_functorIsEsEEDaPvRmT3_T4_T5_mT6_P12ihipStream_tbENKUlT_T0_E_clISt17integral_constantIbLb1EESX_EEDaSS_ST_EUlSS_E_NS1_11comp_targetILNS1_3genE2ELNS1_11target_archE906ELNS1_3gpuE6ELNS1_3repE0EEENS1_30default_config_static_selectorELNS0_4arch9wavefront6targetE1EEEvT1_
; %bb.0:
	.section	.rodata,"a",@progbits
	.p2align	6, 0x0
	.amdhsa_kernel _ZN7rocprim17ROCPRIM_400000_NS6detail17trampoline_kernelINS0_14default_configENS1_20scan_config_selectorIsEEZZNS1_9scan_implILNS1_25lookback_scan_determinismE0ELb1ELb1ES3_N6thrust23THRUST_200600_302600_NS6detail15normal_iteratorINS9_10device_ptrIsEEEENS9_16discard_iteratorINS9_11use_defaultEEEs11max_functorIsEsEEDaPvRmT3_T4_T5_mT6_P12ihipStream_tbENKUlT_T0_E_clISt17integral_constantIbLb1EESX_EEDaSS_ST_EUlSS_E_NS1_11comp_targetILNS1_3genE2ELNS1_11target_archE906ELNS1_3gpuE6ELNS1_3repE0EEENS1_30default_config_static_selectorELNS0_4arch9wavefront6targetE1EEEvT1_
		.amdhsa_group_segment_fixed_size 0
		.amdhsa_private_segment_fixed_size 0
		.amdhsa_kernarg_size 104
		.amdhsa_user_sgpr_count 6
		.amdhsa_user_sgpr_private_segment_buffer 1
		.amdhsa_user_sgpr_dispatch_ptr 0
		.amdhsa_user_sgpr_queue_ptr 0
		.amdhsa_user_sgpr_kernarg_segment_ptr 1
		.amdhsa_user_sgpr_dispatch_id 0
		.amdhsa_user_sgpr_flat_scratch_init 0
		.amdhsa_user_sgpr_kernarg_preload_length 0
		.amdhsa_user_sgpr_kernarg_preload_offset 0
		.amdhsa_user_sgpr_private_segment_size 0
		.amdhsa_uses_dynamic_stack 0
		.amdhsa_system_sgpr_private_segment_wavefront_offset 0
		.amdhsa_system_sgpr_workgroup_id_x 1
		.amdhsa_system_sgpr_workgroup_id_y 0
		.amdhsa_system_sgpr_workgroup_id_z 0
		.amdhsa_system_sgpr_workgroup_info 0
		.amdhsa_system_vgpr_workitem_id 0
		.amdhsa_next_free_vgpr 1
		.amdhsa_next_free_sgpr 0
		.amdhsa_accum_offset 4
		.amdhsa_reserve_vcc 0
		.amdhsa_reserve_flat_scratch 0
		.amdhsa_float_round_mode_32 0
		.amdhsa_float_round_mode_16_64 0
		.amdhsa_float_denorm_mode_32 3
		.amdhsa_float_denorm_mode_16_64 3
		.amdhsa_dx10_clamp 1
		.amdhsa_ieee_mode 1
		.amdhsa_fp16_overflow 0
		.amdhsa_tg_split 0
		.amdhsa_exception_fp_ieee_invalid_op 0
		.amdhsa_exception_fp_denorm_src 0
		.amdhsa_exception_fp_ieee_div_zero 0
		.amdhsa_exception_fp_ieee_overflow 0
		.amdhsa_exception_fp_ieee_underflow 0
		.amdhsa_exception_fp_ieee_inexact 0
		.amdhsa_exception_int_div_zero 0
	.end_amdhsa_kernel
	.section	.text._ZN7rocprim17ROCPRIM_400000_NS6detail17trampoline_kernelINS0_14default_configENS1_20scan_config_selectorIsEEZZNS1_9scan_implILNS1_25lookback_scan_determinismE0ELb1ELb1ES3_N6thrust23THRUST_200600_302600_NS6detail15normal_iteratorINS9_10device_ptrIsEEEENS9_16discard_iteratorINS9_11use_defaultEEEs11max_functorIsEsEEDaPvRmT3_T4_T5_mT6_P12ihipStream_tbENKUlT_T0_E_clISt17integral_constantIbLb1EESX_EEDaSS_ST_EUlSS_E_NS1_11comp_targetILNS1_3genE2ELNS1_11target_archE906ELNS1_3gpuE6ELNS1_3repE0EEENS1_30default_config_static_selectorELNS0_4arch9wavefront6targetE1EEEvT1_,"axG",@progbits,_ZN7rocprim17ROCPRIM_400000_NS6detail17trampoline_kernelINS0_14default_configENS1_20scan_config_selectorIsEEZZNS1_9scan_implILNS1_25lookback_scan_determinismE0ELb1ELb1ES3_N6thrust23THRUST_200600_302600_NS6detail15normal_iteratorINS9_10device_ptrIsEEEENS9_16discard_iteratorINS9_11use_defaultEEEs11max_functorIsEsEEDaPvRmT3_T4_T5_mT6_P12ihipStream_tbENKUlT_T0_E_clISt17integral_constantIbLb1EESX_EEDaSS_ST_EUlSS_E_NS1_11comp_targetILNS1_3genE2ELNS1_11target_archE906ELNS1_3gpuE6ELNS1_3repE0EEENS1_30default_config_static_selectorELNS0_4arch9wavefront6targetE1EEEvT1_,comdat
.Lfunc_end4092:
	.size	_ZN7rocprim17ROCPRIM_400000_NS6detail17trampoline_kernelINS0_14default_configENS1_20scan_config_selectorIsEEZZNS1_9scan_implILNS1_25lookback_scan_determinismE0ELb1ELb1ES3_N6thrust23THRUST_200600_302600_NS6detail15normal_iteratorINS9_10device_ptrIsEEEENS9_16discard_iteratorINS9_11use_defaultEEEs11max_functorIsEsEEDaPvRmT3_T4_T5_mT6_P12ihipStream_tbENKUlT_T0_E_clISt17integral_constantIbLb1EESX_EEDaSS_ST_EUlSS_E_NS1_11comp_targetILNS1_3genE2ELNS1_11target_archE906ELNS1_3gpuE6ELNS1_3repE0EEENS1_30default_config_static_selectorELNS0_4arch9wavefront6targetE1EEEvT1_, .Lfunc_end4092-_ZN7rocprim17ROCPRIM_400000_NS6detail17trampoline_kernelINS0_14default_configENS1_20scan_config_selectorIsEEZZNS1_9scan_implILNS1_25lookback_scan_determinismE0ELb1ELb1ES3_N6thrust23THRUST_200600_302600_NS6detail15normal_iteratorINS9_10device_ptrIsEEEENS9_16discard_iteratorINS9_11use_defaultEEEs11max_functorIsEsEEDaPvRmT3_T4_T5_mT6_P12ihipStream_tbENKUlT_T0_E_clISt17integral_constantIbLb1EESX_EEDaSS_ST_EUlSS_E_NS1_11comp_targetILNS1_3genE2ELNS1_11target_archE906ELNS1_3gpuE6ELNS1_3repE0EEENS1_30default_config_static_selectorELNS0_4arch9wavefront6targetE1EEEvT1_
                                        ; -- End function
	.section	.AMDGPU.csdata,"",@progbits
; Kernel info:
; codeLenInByte = 0
; NumSgprs: 4
; NumVgprs: 0
; NumAgprs: 0
; TotalNumVgprs: 0
; ScratchSize: 0
; MemoryBound: 0
; FloatMode: 240
; IeeeMode: 1
; LDSByteSize: 0 bytes/workgroup (compile time only)
; SGPRBlocks: 0
; VGPRBlocks: 0
; NumSGPRsForWavesPerEU: 4
; NumVGPRsForWavesPerEU: 1
; AccumOffset: 4
; Occupancy: 8
; WaveLimiterHint : 0
; COMPUTE_PGM_RSRC2:SCRATCH_EN: 0
; COMPUTE_PGM_RSRC2:USER_SGPR: 6
; COMPUTE_PGM_RSRC2:TRAP_HANDLER: 0
; COMPUTE_PGM_RSRC2:TGID_X_EN: 1
; COMPUTE_PGM_RSRC2:TGID_Y_EN: 0
; COMPUTE_PGM_RSRC2:TGID_Z_EN: 0
; COMPUTE_PGM_RSRC2:TIDIG_COMP_CNT: 0
; COMPUTE_PGM_RSRC3_GFX90A:ACCUM_OFFSET: 0
; COMPUTE_PGM_RSRC3_GFX90A:TG_SPLIT: 0
	.section	.text._ZN7rocprim17ROCPRIM_400000_NS6detail17trampoline_kernelINS0_14default_configENS1_20scan_config_selectorIsEEZZNS1_9scan_implILNS1_25lookback_scan_determinismE0ELb1ELb1ES3_N6thrust23THRUST_200600_302600_NS6detail15normal_iteratorINS9_10device_ptrIsEEEENS9_16discard_iteratorINS9_11use_defaultEEEs11max_functorIsEsEEDaPvRmT3_T4_T5_mT6_P12ihipStream_tbENKUlT_T0_E_clISt17integral_constantIbLb1EESX_EEDaSS_ST_EUlSS_E_NS1_11comp_targetILNS1_3genE10ELNS1_11target_archE1201ELNS1_3gpuE5ELNS1_3repE0EEENS1_30default_config_static_selectorELNS0_4arch9wavefront6targetE1EEEvT1_,"axG",@progbits,_ZN7rocprim17ROCPRIM_400000_NS6detail17trampoline_kernelINS0_14default_configENS1_20scan_config_selectorIsEEZZNS1_9scan_implILNS1_25lookback_scan_determinismE0ELb1ELb1ES3_N6thrust23THRUST_200600_302600_NS6detail15normal_iteratorINS9_10device_ptrIsEEEENS9_16discard_iteratorINS9_11use_defaultEEEs11max_functorIsEsEEDaPvRmT3_T4_T5_mT6_P12ihipStream_tbENKUlT_T0_E_clISt17integral_constantIbLb1EESX_EEDaSS_ST_EUlSS_E_NS1_11comp_targetILNS1_3genE10ELNS1_11target_archE1201ELNS1_3gpuE5ELNS1_3repE0EEENS1_30default_config_static_selectorELNS0_4arch9wavefront6targetE1EEEvT1_,comdat
	.protected	_ZN7rocprim17ROCPRIM_400000_NS6detail17trampoline_kernelINS0_14default_configENS1_20scan_config_selectorIsEEZZNS1_9scan_implILNS1_25lookback_scan_determinismE0ELb1ELb1ES3_N6thrust23THRUST_200600_302600_NS6detail15normal_iteratorINS9_10device_ptrIsEEEENS9_16discard_iteratorINS9_11use_defaultEEEs11max_functorIsEsEEDaPvRmT3_T4_T5_mT6_P12ihipStream_tbENKUlT_T0_E_clISt17integral_constantIbLb1EESX_EEDaSS_ST_EUlSS_E_NS1_11comp_targetILNS1_3genE10ELNS1_11target_archE1201ELNS1_3gpuE5ELNS1_3repE0EEENS1_30default_config_static_selectorELNS0_4arch9wavefront6targetE1EEEvT1_ ; -- Begin function _ZN7rocprim17ROCPRIM_400000_NS6detail17trampoline_kernelINS0_14default_configENS1_20scan_config_selectorIsEEZZNS1_9scan_implILNS1_25lookback_scan_determinismE0ELb1ELb1ES3_N6thrust23THRUST_200600_302600_NS6detail15normal_iteratorINS9_10device_ptrIsEEEENS9_16discard_iteratorINS9_11use_defaultEEEs11max_functorIsEsEEDaPvRmT3_T4_T5_mT6_P12ihipStream_tbENKUlT_T0_E_clISt17integral_constantIbLb1EESX_EEDaSS_ST_EUlSS_E_NS1_11comp_targetILNS1_3genE10ELNS1_11target_archE1201ELNS1_3gpuE5ELNS1_3repE0EEENS1_30default_config_static_selectorELNS0_4arch9wavefront6targetE1EEEvT1_
	.globl	_ZN7rocprim17ROCPRIM_400000_NS6detail17trampoline_kernelINS0_14default_configENS1_20scan_config_selectorIsEEZZNS1_9scan_implILNS1_25lookback_scan_determinismE0ELb1ELb1ES3_N6thrust23THRUST_200600_302600_NS6detail15normal_iteratorINS9_10device_ptrIsEEEENS9_16discard_iteratorINS9_11use_defaultEEEs11max_functorIsEsEEDaPvRmT3_T4_T5_mT6_P12ihipStream_tbENKUlT_T0_E_clISt17integral_constantIbLb1EESX_EEDaSS_ST_EUlSS_E_NS1_11comp_targetILNS1_3genE10ELNS1_11target_archE1201ELNS1_3gpuE5ELNS1_3repE0EEENS1_30default_config_static_selectorELNS0_4arch9wavefront6targetE1EEEvT1_
	.p2align	8
	.type	_ZN7rocprim17ROCPRIM_400000_NS6detail17trampoline_kernelINS0_14default_configENS1_20scan_config_selectorIsEEZZNS1_9scan_implILNS1_25lookback_scan_determinismE0ELb1ELb1ES3_N6thrust23THRUST_200600_302600_NS6detail15normal_iteratorINS9_10device_ptrIsEEEENS9_16discard_iteratorINS9_11use_defaultEEEs11max_functorIsEsEEDaPvRmT3_T4_T5_mT6_P12ihipStream_tbENKUlT_T0_E_clISt17integral_constantIbLb1EESX_EEDaSS_ST_EUlSS_E_NS1_11comp_targetILNS1_3genE10ELNS1_11target_archE1201ELNS1_3gpuE5ELNS1_3repE0EEENS1_30default_config_static_selectorELNS0_4arch9wavefront6targetE1EEEvT1_,@function
_ZN7rocprim17ROCPRIM_400000_NS6detail17trampoline_kernelINS0_14default_configENS1_20scan_config_selectorIsEEZZNS1_9scan_implILNS1_25lookback_scan_determinismE0ELb1ELb1ES3_N6thrust23THRUST_200600_302600_NS6detail15normal_iteratorINS9_10device_ptrIsEEEENS9_16discard_iteratorINS9_11use_defaultEEEs11max_functorIsEsEEDaPvRmT3_T4_T5_mT6_P12ihipStream_tbENKUlT_T0_E_clISt17integral_constantIbLb1EESX_EEDaSS_ST_EUlSS_E_NS1_11comp_targetILNS1_3genE10ELNS1_11target_archE1201ELNS1_3gpuE5ELNS1_3repE0EEENS1_30default_config_static_selectorELNS0_4arch9wavefront6targetE1EEEvT1_: ; @_ZN7rocprim17ROCPRIM_400000_NS6detail17trampoline_kernelINS0_14default_configENS1_20scan_config_selectorIsEEZZNS1_9scan_implILNS1_25lookback_scan_determinismE0ELb1ELb1ES3_N6thrust23THRUST_200600_302600_NS6detail15normal_iteratorINS9_10device_ptrIsEEEENS9_16discard_iteratorINS9_11use_defaultEEEs11max_functorIsEsEEDaPvRmT3_T4_T5_mT6_P12ihipStream_tbENKUlT_T0_E_clISt17integral_constantIbLb1EESX_EEDaSS_ST_EUlSS_E_NS1_11comp_targetILNS1_3genE10ELNS1_11target_archE1201ELNS1_3gpuE5ELNS1_3repE0EEENS1_30default_config_static_selectorELNS0_4arch9wavefront6targetE1EEEvT1_
; %bb.0:
	.section	.rodata,"a",@progbits
	.p2align	6, 0x0
	.amdhsa_kernel _ZN7rocprim17ROCPRIM_400000_NS6detail17trampoline_kernelINS0_14default_configENS1_20scan_config_selectorIsEEZZNS1_9scan_implILNS1_25lookback_scan_determinismE0ELb1ELb1ES3_N6thrust23THRUST_200600_302600_NS6detail15normal_iteratorINS9_10device_ptrIsEEEENS9_16discard_iteratorINS9_11use_defaultEEEs11max_functorIsEsEEDaPvRmT3_T4_T5_mT6_P12ihipStream_tbENKUlT_T0_E_clISt17integral_constantIbLb1EESX_EEDaSS_ST_EUlSS_E_NS1_11comp_targetILNS1_3genE10ELNS1_11target_archE1201ELNS1_3gpuE5ELNS1_3repE0EEENS1_30default_config_static_selectorELNS0_4arch9wavefront6targetE1EEEvT1_
		.amdhsa_group_segment_fixed_size 0
		.amdhsa_private_segment_fixed_size 0
		.amdhsa_kernarg_size 104
		.amdhsa_user_sgpr_count 6
		.amdhsa_user_sgpr_private_segment_buffer 1
		.amdhsa_user_sgpr_dispatch_ptr 0
		.amdhsa_user_sgpr_queue_ptr 0
		.amdhsa_user_sgpr_kernarg_segment_ptr 1
		.amdhsa_user_sgpr_dispatch_id 0
		.amdhsa_user_sgpr_flat_scratch_init 0
		.amdhsa_user_sgpr_kernarg_preload_length 0
		.amdhsa_user_sgpr_kernarg_preload_offset 0
		.amdhsa_user_sgpr_private_segment_size 0
		.amdhsa_uses_dynamic_stack 0
		.amdhsa_system_sgpr_private_segment_wavefront_offset 0
		.amdhsa_system_sgpr_workgroup_id_x 1
		.amdhsa_system_sgpr_workgroup_id_y 0
		.amdhsa_system_sgpr_workgroup_id_z 0
		.amdhsa_system_sgpr_workgroup_info 0
		.amdhsa_system_vgpr_workitem_id 0
		.amdhsa_next_free_vgpr 1
		.amdhsa_next_free_sgpr 0
		.amdhsa_accum_offset 4
		.amdhsa_reserve_vcc 0
		.amdhsa_reserve_flat_scratch 0
		.amdhsa_float_round_mode_32 0
		.amdhsa_float_round_mode_16_64 0
		.amdhsa_float_denorm_mode_32 3
		.amdhsa_float_denorm_mode_16_64 3
		.amdhsa_dx10_clamp 1
		.amdhsa_ieee_mode 1
		.amdhsa_fp16_overflow 0
		.amdhsa_tg_split 0
		.amdhsa_exception_fp_ieee_invalid_op 0
		.amdhsa_exception_fp_denorm_src 0
		.amdhsa_exception_fp_ieee_div_zero 0
		.amdhsa_exception_fp_ieee_overflow 0
		.amdhsa_exception_fp_ieee_underflow 0
		.amdhsa_exception_fp_ieee_inexact 0
		.amdhsa_exception_int_div_zero 0
	.end_amdhsa_kernel
	.section	.text._ZN7rocprim17ROCPRIM_400000_NS6detail17trampoline_kernelINS0_14default_configENS1_20scan_config_selectorIsEEZZNS1_9scan_implILNS1_25lookback_scan_determinismE0ELb1ELb1ES3_N6thrust23THRUST_200600_302600_NS6detail15normal_iteratorINS9_10device_ptrIsEEEENS9_16discard_iteratorINS9_11use_defaultEEEs11max_functorIsEsEEDaPvRmT3_T4_T5_mT6_P12ihipStream_tbENKUlT_T0_E_clISt17integral_constantIbLb1EESX_EEDaSS_ST_EUlSS_E_NS1_11comp_targetILNS1_3genE10ELNS1_11target_archE1201ELNS1_3gpuE5ELNS1_3repE0EEENS1_30default_config_static_selectorELNS0_4arch9wavefront6targetE1EEEvT1_,"axG",@progbits,_ZN7rocprim17ROCPRIM_400000_NS6detail17trampoline_kernelINS0_14default_configENS1_20scan_config_selectorIsEEZZNS1_9scan_implILNS1_25lookback_scan_determinismE0ELb1ELb1ES3_N6thrust23THRUST_200600_302600_NS6detail15normal_iteratorINS9_10device_ptrIsEEEENS9_16discard_iteratorINS9_11use_defaultEEEs11max_functorIsEsEEDaPvRmT3_T4_T5_mT6_P12ihipStream_tbENKUlT_T0_E_clISt17integral_constantIbLb1EESX_EEDaSS_ST_EUlSS_E_NS1_11comp_targetILNS1_3genE10ELNS1_11target_archE1201ELNS1_3gpuE5ELNS1_3repE0EEENS1_30default_config_static_selectorELNS0_4arch9wavefront6targetE1EEEvT1_,comdat
.Lfunc_end4093:
	.size	_ZN7rocprim17ROCPRIM_400000_NS6detail17trampoline_kernelINS0_14default_configENS1_20scan_config_selectorIsEEZZNS1_9scan_implILNS1_25lookback_scan_determinismE0ELb1ELb1ES3_N6thrust23THRUST_200600_302600_NS6detail15normal_iteratorINS9_10device_ptrIsEEEENS9_16discard_iteratorINS9_11use_defaultEEEs11max_functorIsEsEEDaPvRmT3_T4_T5_mT6_P12ihipStream_tbENKUlT_T0_E_clISt17integral_constantIbLb1EESX_EEDaSS_ST_EUlSS_E_NS1_11comp_targetILNS1_3genE10ELNS1_11target_archE1201ELNS1_3gpuE5ELNS1_3repE0EEENS1_30default_config_static_selectorELNS0_4arch9wavefront6targetE1EEEvT1_, .Lfunc_end4093-_ZN7rocprim17ROCPRIM_400000_NS6detail17trampoline_kernelINS0_14default_configENS1_20scan_config_selectorIsEEZZNS1_9scan_implILNS1_25lookback_scan_determinismE0ELb1ELb1ES3_N6thrust23THRUST_200600_302600_NS6detail15normal_iteratorINS9_10device_ptrIsEEEENS9_16discard_iteratorINS9_11use_defaultEEEs11max_functorIsEsEEDaPvRmT3_T4_T5_mT6_P12ihipStream_tbENKUlT_T0_E_clISt17integral_constantIbLb1EESX_EEDaSS_ST_EUlSS_E_NS1_11comp_targetILNS1_3genE10ELNS1_11target_archE1201ELNS1_3gpuE5ELNS1_3repE0EEENS1_30default_config_static_selectorELNS0_4arch9wavefront6targetE1EEEvT1_
                                        ; -- End function
	.section	.AMDGPU.csdata,"",@progbits
; Kernel info:
; codeLenInByte = 0
; NumSgprs: 4
; NumVgprs: 0
; NumAgprs: 0
; TotalNumVgprs: 0
; ScratchSize: 0
; MemoryBound: 0
; FloatMode: 240
; IeeeMode: 1
; LDSByteSize: 0 bytes/workgroup (compile time only)
; SGPRBlocks: 0
; VGPRBlocks: 0
; NumSGPRsForWavesPerEU: 4
; NumVGPRsForWavesPerEU: 1
; AccumOffset: 4
; Occupancy: 8
; WaveLimiterHint : 0
; COMPUTE_PGM_RSRC2:SCRATCH_EN: 0
; COMPUTE_PGM_RSRC2:USER_SGPR: 6
; COMPUTE_PGM_RSRC2:TRAP_HANDLER: 0
; COMPUTE_PGM_RSRC2:TGID_X_EN: 1
; COMPUTE_PGM_RSRC2:TGID_Y_EN: 0
; COMPUTE_PGM_RSRC2:TGID_Z_EN: 0
; COMPUTE_PGM_RSRC2:TIDIG_COMP_CNT: 0
; COMPUTE_PGM_RSRC3_GFX90A:ACCUM_OFFSET: 0
; COMPUTE_PGM_RSRC3_GFX90A:TG_SPLIT: 0
	.section	.text._ZN7rocprim17ROCPRIM_400000_NS6detail17trampoline_kernelINS0_14default_configENS1_20scan_config_selectorIsEEZZNS1_9scan_implILNS1_25lookback_scan_determinismE0ELb1ELb1ES3_N6thrust23THRUST_200600_302600_NS6detail15normal_iteratorINS9_10device_ptrIsEEEENS9_16discard_iteratorINS9_11use_defaultEEEs11max_functorIsEsEEDaPvRmT3_T4_T5_mT6_P12ihipStream_tbENKUlT_T0_E_clISt17integral_constantIbLb1EESX_EEDaSS_ST_EUlSS_E_NS1_11comp_targetILNS1_3genE10ELNS1_11target_archE1200ELNS1_3gpuE4ELNS1_3repE0EEENS1_30default_config_static_selectorELNS0_4arch9wavefront6targetE1EEEvT1_,"axG",@progbits,_ZN7rocprim17ROCPRIM_400000_NS6detail17trampoline_kernelINS0_14default_configENS1_20scan_config_selectorIsEEZZNS1_9scan_implILNS1_25lookback_scan_determinismE0ELb1ELb1ES3_N6thrust23THRUST_200600_302600_NS6detail15normal_iteratorINS9_10device_ptrIsEEEENS9_16discard_iteratorINS9_11use_defaultEEEs11max_functorIsEsEEDaPvRmT3_T4_T5_mT6_P12ihipStream_tbENKUlT_T0_E_clISt17integral_constantIbLb1EESX_EEDaSS_ST_EUlSS_E_NS1_11comp_targetILNS1_3genE10ELNS1_11target_archE1200ELNS1_3gpuE4ELNS1_3repE0EEENS1_30default_config_static_selectorELNS0_4arch9wavefront6targetE1EEEvT1_,comdat
	.protected	_ZN7rocprim17ROCPRIM_400000_NS6detail17trampoline_kernelINS0_14default_configENS1_20scan_config_selectorIsEEZZNS1_9scan_implILNS1_25lookback_scan_determinismE0ELb1ELb1ES3_N6thrust23THRUST_200600_302600_NS6detail15normal_iteratorINS9_10device_ptrIsEEEENS9_16discard_iteratorINS9_11use_defaultEEEs11max_functorIsEsEEDaPvRmT3_T4_T5_mT6_P12ihipStream_tbENKUlT_T0_E_clISt17integral_constantIbLb1EESX_EEDaSS_ST_EUlSS_E_NS1_11comp_targetILNS1_3genE10ELNS1_11target_archE1200ELNS1_3gpuE4ELNS1_3repE0EEENS1_30default_config_static_selectorELNS0_4arch9wavefront6targetE1EEEvT1_ ; -- Begin function _ZN7rocprim17ROCPRIM_400000_NS6detail17trampoline_kernelINS0_14default_configENS1_20scan_config_selectorIsEEZZNS1_9scan_implILNS1_25lookback_scan_determinismE0ELb1ELb1ES3_N6thrust23THRUST_200600_302600_NS6detail15normal_iteratorINS9_10device_ptrIsEEEENS9_16discard_iteratorINS9_11use_defaultEEEs11max_functorIsEsEEDaPvRmT3_T4_T5_mT6_P12ihipStream_tbENKUlT_T0_E_clISt17integral_constantIbLb1EESX_EEDaSS_ST_EUlSS_E_NS1_11comp_targetILNS1_3genE10ELNS1_11target_archE1200ELNS1_3gpuE4ELNS1_3repE0EEENS1_30default_config_static_selectorELNS0_4arch9wavefront6targetE1EEEvT1_
	.globl	_ZN7rocprim17ROCPRIM_400000_NS6detail17trampoline_kernelINS0_14default_configENS1_20scan_config_selectorIsEEZZNS1_9scan_implILNS1_25lookback_scan_determinismE0ELb1ELb1ES3_N6thrust23THRUST_200600_302600_NS6detail15normal_iteratorINS9_10device_ptrIsEEEENS9_16discard_iteratorINS9_11use_defaultEEEs11max_functorIsEsEEDaPvRmT3_T4_T5_mT6_P12ihipStream_tbENKUlT_T0_E_clISt17integral_constantIbLb1EESX_EEDaSS_ST_EUlSS_E_NS1_11comp_targetILNS1_3genE10ELNS1_11target_archE1200ELNS1_3gpuE4ELNS1_3repE0EEENS1_30default_config_static_selectorELNS0_4arch9wavefront6targetE1EEEvT1_
	.p2align	8
	.type	_ZN7rocprim17ROCPRIM_400000_NS6detail17trampoline_kernelINS0_14default_configENS1_20scan_config_selectorIsEEZZNS1_9scan_implILNS1_25lookback_scan_determinismE0ELb1ELb1ES3_N6thrust23THRUST_200600_302600_NS6detail15normal_iteratorINS9_10device_ptrIsEEEENS9_16discard_iteratorINS9_11use_defaultEEEs11max_functorIsEsEEDaPvRmT3_T4_T5_mT6_P12ihipStream_tbENKUlT_T0_E_clISt17integral_constantIbLb1EESX_EEDaSS_ST_EUlSS_E_NS1_11comp_targetILNS1_3genE10ELNS1_11target_archE1200ELNS1_3gpuE4ELNS1_3repE0EEENS1_30default_config_static_selectorELNS0_4arch9wavefront6targetE1EEEvT1_,@function
_ZN7rocprim17ROCPRIM_400000_NS6detail17trampoline_kernelINS0_14default_configENS1_20scan_config_selectorIsEEZZNS1_9scan_implILNS1_25lookback_scan_determinismE0ELb1ELb1ES3_N6thrust23THRUST_200600_302600_NS6detail15normal_iteratorINS9_10device_ptrIsEEEENS9_16discard_iteratorINS9_11use_defaultEEEs11max_functorIsEsEEDaPvRmT3_T4_T5_mT6_P12ihipStream_tbENKUlT_T0_E_clISt17integral_constantIbLb1EESX_EEDaSS_ST_EUlSS_E_NS1_11comp_targetILNS1_3genE10ELNS1_11target_archE1200ELNS1_3gpuE4ELNS1_3repE0EEENS1_30default_config_static_selectorELNS0_4arch9wavefront6targetE1EEEvT1_: ; @_ZN7rocprim17ROCPRIM_400000_NS6detail17trampoline_kernelINS0_14default_configENS1_20scan_config_selectorIsEEZZNS1_9scan_implILNS1_25lookback_scan_determinismE0ELb1ELb1ES3_N6thrust23THRUST_200600_302600_NS6detail15normal_iteratorINS9_10device_ptrIsEEEENS9_16discard_iteratorINS9_11use_defaultEEEs11max_functorIsEsEEDaPvRmT3_T4_T5_mT6_P12ihipStream_tbENKUlT_T0_E_clISt17integral_constantIbLb1EESX_EEDaSS_ST_EUlSS_E_NS1_11comp_targetILNS1_3genE10ELNS1_11target_archE1200ELNS1_3gpuE4ELNS1_3repE0EEENS1_30default_config_static_selectorELNS0_4arch9wavefront6targetE1EEEvT1_
; %bb.0:
	.section	.rodata,"a",@progbits
	.p2align	6, 0x0
	.amdhsa_kernel _ZN7rocprim17ROCPRIM_400000_NS6detail17trampoline_kernelINS0_14default_configENS1_20scan_config_selectorIsEEZZNS1_9scan_implILNS1_25lookback_scan_determinismE0ELb1ELb1ES3_N6thrust23THRUST_200600_302600_NS6detail15normal_iteratorINS9_10device_ptrIsEEEENS9_16discard_iteratorINS9_11use_defaultEEEs11max_functorIsEsEEDaPvRmT3_T4_T5_mT6_P12ihipStream_tbENKUlT_T0_E_clISt17integral_constantIbLb1EESX_EEDaSS_ST_EUlSS_E_NS1_11comp_targetILNS1_3genE10ELNS1_11target_archE1200ELNS1_3gpuE4ELNS1_3repE0EEENS1_30default_config_static_selectorELNS0_4arch9wavefront6targetE1EEEvT1_
		.amdhsa_group_segment_fixed_size 0
		.amdhsa_private_segment_fixed_size 0
		.amdhsa_kernarg_size 104
		.amdhsa_user_sgpr_count 6
		.amdhsa_user_sgpr_private_segment_buffer 1
		.amdhsa_user_sgpr_dispatch_ptr 0
		.amdhsa_user_sgpr_queue_ptr 0
		.amdhsa_user_sgpr_kernarg_segment_ptr 1
		.amdhsa_user_sgpr_dispatch_id 0
		.amdhsa_user_sgpr_flat_scratch_init 0
		.amdhsa_user_sgpr_kernarg_preload_length 0
		.amdhsa_user_sgpr_kernarg_preload_offset 0
		.amdhsa_user_sgpr_private_segment_size 0
		.amdhsa_uses_dynamic_stack 0
		.amdhsa_system_sgpr_private_segment_wavefront_offset 0
		.amdhsa_system_sgpr_workgroup_id_x 1
		.amdhsa_system_sgpr_workgroup_id_y 0
		.amdhsa_system_sgpr_workgroup_id_z 0
		.amdhsa_system_sgpr_workgroup_info 0
		.amdhsa_system_vgpr_workitem_id 0
		.amdhsa_next_free_vgpr 1
		.amdhsa_next_free_sgpr 0
		.amdhsa_accum_offset 4
		.amdhsa_reserve_vcc 0
		.amdhsa_reserve_flat_scratch 0
		.amdhsa_float_round_mode_32 0
		.amdhsa_float_round_mode_16_64 0
		.amdhsa_float_denorm_mode_32 3
		.amdhsa_float_denorm_mode_16_64 3
		.amdhsa_dx10_clamp 1
		.amdhsa_ieee_mode 1
		.amdhsa_fp16_overflow 0
		.amdhsa_tg_split 0
		.amdhsa_exception_fp_ieee_invalid_op 0
		.amdhsa_exception_fp_denorm_src 0
		.amdhsa_exception_fp_ieee_div_zero 0
		.amdhsa_exception_fp_ieee_overflow 0
		.amdhsa_exception_fp_ieee_underflow 0
		.amdhsa_exception_fp_ieee_inexact 0
		.amdhsa_exception_int_div_zero 0
	.end_amdhsa_kernel
	.section	.text._ZN7rocprim17ROCPRIM_400000_NS6detail17trampoline_kernelINS0_14default_configENS1_20scan_config_selectorIsEEZZNS1_9scan_implILNS1_25lookback_scan_determinismE0ELb1ELb1ES3_N6thrust23THRUST_200600_302600_NS6detail15normal_iteratorINS9_10device_ptrIsEEEENS9_16discard_iteratorINS9_11use_defaultEEEs11max_functorIsEsEEDaPvRmT3_T4_T5_mT6_P12ihipStream_tbENKUlT_T0_E_clISt17integral_constantIbLb1EESX_EEDaSS_ST_EUlSS_E_NS1_11comp_targetILNS1_3genE10ELNS1_11target_archE1200ELNS1_3gpuE4ELNS1_3repE0EEENS1_30default_config_static_selectorELNS0_4arch9wavefront6targetE1EEEvT1_,"axG",@progbits,_ZN7rocprim17ROCPRIM_400000_NS6detail17trampoline_kernelINS0_14default_configENS1_20scan_config_selectorIsEEZZNS1_9scan_implILNS1_25lookback_scan_determinismE0ELb1ELb1ES3_N6thrust23THRUST_200600_302600_NS6detail15normal_iteratorINS9_10device_ptrIsEEEENS9_16discard_iteratorINS9_11use_defaultEEEs11max_functorIsEsEEDaPvRmT3_T4_T5_mT6_P12ihipStream_tbENKUlT_T0_E_clISt17integral_constantIbLb1EESX_EEDaSS_ST_EUlSS_E_NS1_11comp_targetILNS1_3genE10ELNS1_11target_archE1200ELNS1_3gpuE4ELNS1_3repE0EEENS1_30default_config_static_selectorELNS0_4arch9wavefront6targetE1EEEvT1_,comdat
.Lfunc_end4094:
	.size	_ZN7rocprim17ROCPRIM_400000_NS6detail17trampoline_kernelINS0_14default_configENS1_20scan_config_selectorIsEEZZNS1_9scan_implILNS1_25lookback_scan_determinismE0ELb1ELb1ES3_N6thrust23THRUST_200600_302600_NS6detail15normal_iteratorINS9_10device_ptrIsEEEENS9_16discard_iteratorINS9_11use_defaultEEEs11max_functorIsEsEEDaPvRmT3_T4_T5_mT6_P12ihipStream_tbENKUlT_T0_E_clISt17integral_constantIbLb1EESX_EEDaSS_ST_EUlSS_E_NS1_11comp_targetILNS1_3genE10ELNS1_11target_archE1200ELNS1_3gpuE4ELNS1_3repE0EEENS1_30default_config_static_selectorELNS0_4arch9wavefront6targetE1EEEvT1_, .Lfunc_end4094-_ZN7rocprim17ROCPRIM_400000_NS6detail17trampoline_kernelINS0_14default_configENS1_20scan_config_selectorIsEEZZNS1_9scan_implILNS1_25lookback_scan_determinismE0ELb1ELb1ES3_N6thrust23THRUST_200600_302600_NS6detail15normal_iteratorINS9_10device_ptrIsEEEENS9_16discard_iteratorINS9_11use_defaultEEEs11max_functorIsEsEEDaPvRmT3_T4_T5_mT6_P12ihipStream_tbENKUlT_T0_E_clISt17integral_constantIbLb1EESX_EEDaSS_ST_EUlSS_E_NS1_11comp_targetILNS1_3genE10ELNS1_11target_archE1200ELNS1_3gpuE4ELNS1_3repE0EEENS1_30default_config_static_selectorELNS0_4arch9wavefront6targetE1EEEvT1_
                                        ; -- End function
	.section	.AMDGPU.csdata,"",@progbits
; Kernel info:
; codeLenInByte = 0
; NumSgprs: 4
; NumVgprs: 0
; NumAgprs: 0
; TotalNumVgprs: 0
; ScratchSize: 0
; MemoryBound: 0
; FloatMode: 240
; IeeeMode: 1
; LDSByteSize: 0 bytes/workgroup (compile time only)
; SGPRBlocks: 0
; VGPRBlocks: 0
; NumSGPRsForWavesPerEU: 4
; NumVGPRsForWavesPerEU: 1
; AccumOffset: 4
; Occupancy: 8
; WaveLimiterHint : 0
; COMPUTE_PGM_RSRC2:SCRATCH_EN: 0
; COMPUTE_PGM_RSRC2:USER_SGPR: 6
; COMPUTE_PGM_RSRC2:TRAP_HANDLER: 0
; COMPUTE_PGM_RSRC2:TGID_X_EN: 1
; COMPUTE_PGM_RSRC2:TGID_Y_EN: 0
; COMPUTE_PGM_RSRC2:TGID_Z_EN: 0
; COMPUTE_PGM_RSRC2:TIDIG_COMP_CNT: 0
; COMPUTE_PGM_RSRC3_GFX90A:ACCUM_OFFSET: 0
; COMPUTE_PGM_RSRC3_GFX90A:TG_SPLIT: 0
	.section	.text._ZN7rocprim17ROCPRIM_400000_NS6detail17trampoline_kernelINS0_14default_configENS1_20scan_config_selectorIsEEZZNS1_9scan_implILNS1_25lookback_scan_determinismE0ELb1ELb1ES3_N6thrust23THRUST_200600_302600_NS6detail15normal_iteratorINS9_10device_ptrIsEEEENS9_16discard_iteratorINS9_11use_defaultEEEs11max_functorIsEsEEDaPvRmT3_T4_T5_mT6_P12ihipStream_tbENKUlT_T0_E_clISt17integral_constantIbLb1EESX_EEDaSS_ST_EUlSS_E_NS1_11comp_targetILNS1_3genE9ELNS1_11target_archE1100ELNS1_3gpuE3ELNS1_3repE0EEENS1_30default_config_static_selectorELNS0_4arch9wavefront6targetE1EEEvT1_,"axG",@progbits,_ZN7rocprim17ROCPRIM_400000_NS6detail17trampoline_kernelINS0_14default_configENS1_20scan_config_selectorIsEEZZNS1_9scan_implILNS1_25lookback_scan_determinismE0ELb1ELb1ES3_N6thrust23THRUST_200600_302600_NS6detail15normal_iteratorINS9_10device_ptrIsEEEENS9_16discard_iteratorINS9_11use_defaultEEEs11max_functorIsEsEEDaPvRmT3_T4_T5_mT6_P12ihipStream_tbENKUlT_T0_E_clISt17integral_constantIbLb1EESX_EEDaSS_ST_EUlSS_E_NS1_11comp_targetILNS1_3genE9ELNS1_11target_archE1100ELNS1_3gpuE3ELNS1_3repE0EEENS1_30default_config_static_selectorELNS0_4arch9wavefront6targetE1EEEvT1_,comdat
	.protected	_ZN7rocprim17ROCPRIM_400000_NS6detail17trampoline_kernelINS0_14default_configENS1_20scan_config_selectorIsEEZZNS1_9scan_implILNS1_25lookback_scan_determinismE0ELb1ELb1ES3_N6thrust23THRUST_200600_302600_NS6detail15normal_iteratorINS9_10device_ptrIsEEEENS9_16discard_iteratorINS9_11use_defaultEEEs11max_functorIsEsEEDaPvRmT3_T4_T5_mT6_P12ihipStream_tbENKUlT_T0_E_clISt17integral_constantIbLb1EESX_EEDaSS_ST_EUlSS_E_NS1_11comp_targetILNS1_3genE9ELNS1_11target_archE1100ELNS1_3gpuE3ELNS1_3repE0EEENS1_30default_config_static_selectorELNS0_4arch9wavefront6targetE1EEEvT1_ ; -- Begin function _ZN7rocprim17ROCPRIM_400000_NS6detail17trampoline_kernelINS0_14default_configENS1_20scan_config_selectorIsEEZZNS1_9scan_implILNS1_25lookback_scan_determinismE0ELb1ELb1ES3_N6thrust23THRUST_200600_302600_NS6detail15normal_iteratorINS9_10device_ptrIsEEEENS9_16discard_iteratorINS9_11use_defaultEEEs11max_functorIsEsEEDaPvRmT3_T4_T5_mT6_P12ihipStream_tbENKUlT_T0_E_clISt17integral_constantIbLb1EESX_EEDaSS_ST_EUlSS_E_NS1_11comp_targetILNS1_3genE9ELNS1_11target_archE1100ELNS1_3gpuE3ELNS1_3repE0EEENS1_30default_config_static_selectorELNS0_4arch9wavefront6targetE1EEEvT1_
	.globl	_ZN7rocprim17ROCPRIM_400000_NS6detail17trampoline_kernelINS0_14default_configENS1_20scan_config_selectorIsEEZZNS1_9scan_implILNS1_25lookback_scan_determinismE0ELb1ELb1ES3_N6thrust23THRUST_200600_302600_NS6detail15normal_iteratorINS9_10device_ptrIsEEEENS9_16discard_iteratorINS9_11use_defaultEEEs11max_functorIsEsEEDaPvRmT3_T4_T5_mT6_P12ihipStream_tbENKUlT_T0_E_clISt17integral_constantIbLb1EESX_EEDaSS_ST_EUlSS_E_NS1_11comp_targetILNS1_3genE9ELNS1_11target_archE1100ELNS1_3gpuE3ELNS1_3repE0EEENS1_30default_config_static_selectorELNS0_4arch9wavefront6targetE1EEEvT1_
	.p2align	8
	.type	_ZN7rocprim17ROCPRIM_400000_NS6detail17trampoline_kernelINS0_14default_configENS1_20scan_config_selectorIsEEZZNS1_9scan_implILNS1_25lookback_scan_determinismE0ELb1ELb1ES3_N6thrust23THRUST_200600_302600_NS6detail15normal_iteratorINS9_10device_ptrIsEEEENS9_16discard_iteratorINS9_11use_defaultEEEs11max_functorIsEsEEDaPvRmT3_T4_T5_mT6_P12ihipStream_tbENKUlT_T0_E_clISt17integral_constantIbLb1EESX_EEDaSS_ST_EUlSS_E_NS1_11comp_targetILNS1_3genE9ELNS1_11target_archE1100ELNS1_3gpuE3ELNS1_3repE0EEENS1_30default_config_static_selectorELNS0_4arch9wavefront6targetE1EEEvT1_,@function
_ZN7rocprim17ROCPRIM_400000_NS6detail17trampoline_kernelINS0_14default_configENS1_20scan_config_selectorIsEEZZNS1_9scan_implILNS1_25lookback_scan_determinismE0ELb1ELb1ES3_N6thrust23THRUST_200600_302600_NS6detail15normal_iteratorINS9_10device_ptrIsEEEENS9_16discard_iteratorINS9_11use_defaultEEEs11max_functorIsEsEEDaPvRmT3_T4_T5_mT6_P12ihipStream_tbENKUlT_T0_E_clISt17integral_constantIbLb1EESX_EEDaSS_ST_EUlSS_E_NS1_11comp_targetILNS1_3genE9ELNS1_11target_archE1100ELNS1_3gpuE3ELNS1_3repE0EEENS1_30default_config_static_selectorELNS0_4arch9wavefront6targetE1EEEvT1_: ; @_ZN7rocprim17ROCPRIM_400000_NS6detail17trampoline_kernelINS0_14default_configENS1_20scan_config_selectorIsEEZZNS1_9scan_implILNS1_25lookback_scan_determinismE0ELb1ELb1ES3_N6thrust23THRUST_200600_302600_NS6detail15normal_iteratorINS9_10device_ptrIsEEEENS9_16discard_iteratorINS9_11use_defaultEEEs11max_functorIsEsEEDaPvRmT3_T4_T5_mT6_P12ihipStream_tbENKUlT_T0_E_clISt17integral_constantIbLb1EESX_EEDaSS_ST_EUlSS_E_NS1_11comp_targetILNS1_3genE9ELNS1_11target_archE1100ELNS1_3gpuE3ELNS1_3repE0EEENS1_30default_config_static_selectorELNS0_4arch9wavefront6targetE1EEEvT1_
; %bb.0:
	.section	.rodata,"a",@progbits
	.p2align	6, 0x0
	.amdhsa_kernel _ZN7rocprim17ROCPRIM_400000_NS6detail17trampoline_kernelINS0_14default_configENS1_20scan_config_selectorIsEEZZNS1_9scan_implILNS1_25lookback_scan_determinismE0ELb1ELb1ES3_N6thrust23THRUST_200600_302600_NS6detail15normal_iteratorINS9_10device_ptrIsEEEENS9_16discard_iteratorINS9_11use_defaultEEEs11max_functorIsEsEEDaPvRmT3_T4_T5_mT6_P12ihipStream_tbENKUlT_T0_E_clISt17integral_constantIbLb1EESX_EEDaSS_ST_EUlSS_E_NS1_11comp_targetILNS1_3genE9ELNS1_11target_archE1100ELNS1_3gpuE3ELNS1_3repE0EEENS1_30default_config_static_selectorELNS0_4arch9wavefront6targetE1EEEvT1_
		.amdhsa_group_segment_fixed_size 0
		.amdhsa_private_segment_fixed_size 0
		.amdhsa_kernarg_size 104
		.amdhsa_user_sgpr_count 6
		.amdhsa_user_sgpr_private_segment_buffer 1
		.amdhsa_user_sgpr_dispatch_ptr 0
		.amdhsa_user_sgpr_queue_ptr 0
		.amdhsa_user_sgpr_kernarg_segment_ptr 1
		.amdhsa_user_sgpr_dispatch_id 0
		.amdhsa_user_sgpr_flat_scratch_init 0
		.amdhsa_user_sgpr_kernarg_preload_length 0
		.amdhsa_user_sgpr_kernarg_preload_offset 0
		.amdhsa_user_sgpr_private_segment_size 0
		.amdhsa_uses_dynamic_stack 0
		.amdhsa_system_sgpr_private_segment_wavefront_offset 0
		.amdhsa_system_sgpr_workgroup_id_x 1
		.amdhsa_system_sgpr_workgroup_id_y 0
		.amdhsa_system_sgpr_workgroup_id_z 0
		.amdhsa_system_sgpr_workgroup_info 0
		.amdhsa_system_vgpr_workitem_id 0
		.amdhsa_next_free_vgpr 1
		.amdhsa_next_free_sgpr 0
		.amdhsa_accum_offset 4
		.amdhsa_reserve_vcc 0
		.amdhsa_reserve_flat_scratch 0
		.amdhsa_float_round_mode_32 0
		.amdhsa_float_round_mode_16_64 0
		.amdhsa_float_denorm_mode_32 3
		.amdhsa_float_denorm_mode_16_64 3
		.amdhsa_dx10_clamp 1
		.amdhsa_ieee_mode 1
		.amdhsa_fp16_overflow 0
		.amdhsa_tg_split 0
		.amdhsa_exception_fp_ieee_invalid_op 0
		.amdhsa_exception_fp_denorm_src 0
		.amdhsa_exception_fp_ieee_div_zero 0
		.amdhsa_exception_fp_ieee_overflow 0
		.amdhsa_exception_fp_ieee_underflow 0
		.amdhsa_exception_fp_ieee_inexact 0
		.amdhsa_exception_int_div_zero 0
	.end_amdhsa_kernel
	.section	.text._ZN7rocprim17ROCPRIM_400000_NS6detail17trampoline_kernelINS0_14default_configENS1_20scan_config_selectorIsEEZZNS1_9scan_implILNS1_25lookback_scan_determinismE0ELb1ELb1ES3_N6thrust23THRUST_200600_302600_NS6detail15normal_iteratorINS9_10device_ptrIsEEEENS9_16discard_iteratorINS9_11use_defaultEEEs11max_functorIsEsEEDaPvRmT3_T4_T5_mT6_P12ihipStream_tbENKUlT_T0_E_clISt17integral_constantIbLb1EESX_EEDaSS_ST_EUlSS_E_NS1_11comp_targetILNS1_3genE9ELNS1_11target_archE1100ELNS1_3gpuE3ELNS1_3repE0EEENS1_30default_config_static_selectorELNS0_4arch9wavefront6targetE1EEEvT1_,"axG",@progbits,_ZN7rocprim17ROCPRIM_400000_NS6detail17trampoline_kernelINS0_14default_configENS1_20scan_config_selectorIsEEZZNS1_9scan_implILNS1_25lookback_scan_determinismE0ELb1ELb1ES3_N6thrust23THRUST_200600_302600_NS6detail15normal_iteratorINS9_10device_ptrIsEEEENS9_16discard_iteratorINS9_11use_defaultEEEs11max_functorIsEsEEDaPvRmT3_T4_T5_mT6_P12ihipStream_tbENKUlT_T0_E_clISt17integral_constantIbLb1EESX_EEDaSS_ST_EUlSS_E_NS1_11comp_targetILNS1_3genE9ELNS1_11target_archE1100ELNS1_3gpuE3ELNS1_3repE0EEENS1_30default_config_static_selectorELNS0_4arch9wavefront6targetE1EEEvT1_,comdat
.Lfunc_end4095:
	.size	_ZN7rocprim17ROCPRIM_400000_NS6detail17trampoline_kernelINS0_14default_configENS1_20scan_config_selectorIsEEZZNS1_9scan_implILNS1_25lookback_scan_determinismE0ELb1ELb1ES3_N6thrust23THRUST_200600_302600_NS6detail15normal_iteratorINS9_10device_ptrIsEEEENS9_16discard_iteratorINS9_11use_defaultEEEs11max_functorIsEsEEDaPvRmT3_T4_T5_mT6_P12ihipStream_tbENKUlT_T0_E_clISt17integral_constantIbLb1EESX_EEDaSS_ST_EUlSS_E_NS1_11comp_targetILNS1_3genE9ELNS1_11target_archE1100ELNS1_3gpuE3ELNS1_3repE0EEENS1_30default_config_static_selectorELNS0_4arch9wavefront6targetE1EEEvT1_, .Lfunc_end4095-_ZN7rocprim17ROCPRIM_400000_NS6detail17trampoline_kernelINS0_14default_configENS1_20scan_config_selectorIsEEZZNS1_9scan_implILNS1_25lookback_scan_determinismE0ELb1ELb1ES3_N6thrust23THRUST_200600_302600_NS6detail15normal_iteratorINS9_10device_ptrIsEEEENS9_16discard_iteratorINS9_11use_defaultEEEs11max_functorIsEsEEDaPvRmT3_T4_T5_mT6_P12ihipStream_tbENKUlT_T0_E_clISt17integral_constantIbLb1EESX_EEDaSS_ST_EUlSS_E_NS1_11comp_targetILNS1_3genE9ELNS1_11target_archE1100ELNS1_3gpuE3ELNS1_3repE0EEENS1_30default_config_static_selectorELNS0_4arch9wavefront6targetE1EEEvT1_
                                        ; -- End function
	.section	.AMDGPU.csdata,"",@progbits
; Kernel info:
; codeLenInByte = 0
; NumSgprs: 4
; NumVgprs: 0
; NumAgprs: 0
; TotalNumVgprs: 0
; ScratchSize: 0
; MemoryBound: 0
; FloatMode: 240
; IeeeMode: 1
; LDSByteSize: 0 bytes/workgroup (compile time only)
; SGPRBlocks: 0
; VGPRBlocks: 0
; NumSGPRsForWavesPerEU: 4
; NumVGPRsForWavesPerEU: 1
; AccumOffset: 4
; Occupancy: 8
; WaveLimiterHint : 0
; COMPUTE_PGM_RSRC2:SCRATCH_EN: 0
; COMPUTE_PGM_RSRC2:USER_SGPR: 6
; COMPUTE_PGM_RSRC2:TRAP_HANDLER: 0
; COMPUTE_PGM_RSRC2:TGID_X_EN: 1
; COMPUTE_PGM_RSRC2:TGID_Y_EN: 0
; COMPUTE_PGM_RSRC2:TGID_Z_EN: 0
; COMPUTE_PGM_RSRC2:TIDIG_COMP_CNT: 0
; COMPUTE_PGM_RSRC3_GFX90A:ACCUM_OFFSET: 0
; COMPUTE_PGM_RSRC3_GFX90A:TG_SPLIT: 0
	.section	.text._ZN7rocprim17ROCPRIM_400000_NS6detail17trampoline_kernelINS0_14default_configENS1_20scan_config_selectorIsEEZZNS1_9scan_implILNS1_25lookback_scan_determinismE0ELb1ELb1ES3_N6thrust23THRUST_200600_302600_NS6detail15normal_iteratorINS9_10device_ptrIsEEEENS9_16discard_iteratorINS9_11use_defaultEEEs11max_functorIsEsEEDaPvRmT3_T4_T5_mT6_P12ihipStream_tbENKUlT_T0_E_clISt17integral_constantIbLb1EESX_EEDaSS_ST_EUlSS_E_NS1_11comp_targetILNS1_3genE8ELNS1_11target_archE1030ELNS1_3gpuE2ELNS1_3repE0EEENS1_30default_config_static_selectorELNS0_4arch9wavefront6targetE1EEEvT1_,"axG",@progbits,_ZN7rocprim17ROCPRIM_400000_NS6detail17trampoline_kernelINS0_14default_configENS1_20scan_config_selectorIsEEZZNS1_9scan_implILNS1_25lookback_scan_determinismE0ELb1ELb1ES3_N6thrust23THRUST_200600_302600_NS6detail15normal_iteratorINS9_10device_ptrIsEEEENS9_16discard_iteratorINS9_11use_defaultEEEs11max_functorIsEsEEDaPvRmT3_T4_T5_mT6_P12ihipStream_tbENKUlT_T0_E_clISt17integral_constantIbLb1EESX_EEDaSS_ST_EUlSS_E_NS1_11comp_targetILNS1_3genE8ELNS1_11target_archE1030ELNS1_3gpuE2ELNS1_3repE0EEENS1_30default_config_static_selectorELNS0_4arch9wavefront6targetE1EEEvT1_,comdat
	.protected	_ZN7rocprim17ROCPRIM_400000_NS6detail17trampoline_kernelINS0_14default_configENS1_20scan_config_selectorIsEEZZNS1_9scan_implILNS1_25lookback_scan_determinismE0ELb1ELb1ES3_N6thrust23THRUST_200600_302600_NS6detail15normal_iteratorINS9_10device_ptrIsEEEENS9_16discard_iteratorINS9_11use_defaultEEEs11max_functorIsEsEEDaPvRmT3_T4_T5_mT6_P12ihipStream_tbENKUlT_T0_E_clISt17integral_constantIbLb1EESX_EEDaSS_ST_EUlSS_E_NS1_11comp_targetILNS1_3genE8ELNS1_11target_archE1030ELNS1_3gpuE2ELNS1_3repE0EEENS1_30default_config_static_selectorELNS0_4arch9wavefront6targetE1EEEvT1_ ; -- Begin function _ZN7rocprim17ROCPRIM_400000_NS6detail17trampoline_kernelINS0_14default_configENS1_20scan_config_selectorIsEEZZNS1_9scan_implILNS1_25lookback_scan_determinismE0ELb1ELb1ES3_N6thrust23THRUST_200600_302600_NS6detail15normal_iteratorINS9_10device_ptrIsEEEENS9_16discard_iteratorINS9_11use_defaultEEEs11max_functorIsEsEEDaPvRmT3_T4_T5_mT6_P12ihipStream_tbENKUlT_T0_E_clISt17integral_constantIbLb1EESX_EEDaSS_ST_EUlSS_E_NS1_11comp_targetILNS1_3genE8ELNS1_11target_archE1030ELNS1_3gpuE2ELNS1_3repE0EEENS1_30default_config_static_selectorELNS0_4arch9wavefront6targetE1EEEvT1_
	.globl	_ZN7rocprim17ROCPRIM_400000_NS6detail17trampoline_kernelINS0_14default_configENS1_20scan_config_selectorIsEEZZNS1_9scan_implILNS1_25lookback_scan_determinismE0ELb1ELb1ES3_N6thrust23THRUST_200600_302600_NS6detail15normal_iteratorINS9_10device_ptrIsEEEENS9_16discard_iteratorINS9_11use_defaultEEEs11max_functorIsEsEEDaPvRmT3_T4_T5_mT6_P12ihipStream_tbENKUlT_T0_E_clISt17integral_constantIbLb1EESX_EEDaSS_ST_EUlSS_E_NS1_11comp_targetILNS1_3genE8ELNS1_11target_archE1030ELNS1_3gpuE2ELNS1_3repE0EEENS1_30default_config_static_selectorELNS0_4arch9wavefront6targetE1EEEvT1_
	.p2align	8
	.type	_ZN7rocprim17ROCPRIM_400000_NS6detail17trampoline_kernelINS0_14default_configENS1_20scan_config_selectorIsEEZZNS1_9scan_implILNS1_25lookback_scan_determinismE0ELb1ELb1ES3_N6thrust23THRUST_200600_302600_NS6detail15normal_iteratorINS9_10device_ptrIsEEEENS9_16discard_iteratorINS9_11use_defaultEEEs11max_functorIsEsEEDaPvRmT3_T4_T5_mT6_P12ihipStream_tbENKUlT_T0_E_clISt17integral_constantIbLb1EESX_EEDaSS_ST_EUlSS_E_NS1_11comp_targetILNS1_3genE8ELNS1_11target_archE1030ELNS1_3gpuE2ELNS1_3repE0EEENS1_30default_config_static_selectorELNS0_4arch9wavefront6targetE1EEEvT1_,@function
_ZN7rocprim17ROCPRIM_400000_NS6detail17trampoline_kernelINS0_14default_configENS1_20scan_config_selectorIsEEZZNS1_9scan_implILNS1_25lookback_scan_determinismE0ELb1ELb1ES3_N6thrust23THRUST_200600_302600_NS6detail15normal_iteratorINS9_10device_ptrIsEEEENS9_16discard_iteratorINS9_11use_defaultEEEs11max_functorIsEsEEDaPvRmT3_T4_T5_mT6_P12ihipStream_tbENKUlT_T0_E_clISt17integral_constantIbLb1EESX_EEDaSS_ST_EUlSS_E_NS1_11comp_targetILNS1_3genE8ELNS1_11target_archE1030ELNS1_3gpuE2ELNS1_3repE0EEENS1_30default_config_static_selectorELNS0_4arch9wavefront6targetE1EEEvT1_: ; @_ZN7rocprim17ROCPRIM_400000_NS6detail17trampoline_kernelINS0_14default_configENS1_20scan_config_selectorIsEEZZNS1_9scan_implILNS1_25lookback_scan_determinismE0ELb1ELb1ES3_N6thrust23THRUST_200600_302600_NS6detail15normal_iteratorINS9_10device_ptrIsEEEENS9_16discard_iteratorINS9_11use_defaultEEEs11max_functorIsEsEEDaPvRmT3_T4_T5_mT6_P12ihipStream_tbENKUlT_T0_E_clISt17integral_constantIbLb1EESX_EEDaSS_ST_EUlSS_E_NS1_11comp_targetILNS1_3genE8ELNS1_11target_archE1030ELNS1_3gpuE2ELNS1_3repE0EEENS1_30default_config_static_selectorELNS0_4arch9wavefront6targetE1EEEvT1_
; %bb.0:
	.section	.rodata,"a",@progbits
	.p2align	6, 0x0
	.amdhsa_kernel _ZN7rocprim17ROCPRIM_400000_NS6detail17trampoline_kernelINS0_14default_configENS1_20scan_config_selectorIsEEZZNS1_9scan_implILNS1_25lookback_scan_determinismE0ELb1ELb1ES3_N6thrust23THRUST_200600_302600_NS6detail15normal_iteratorINS9_10device_ptrIsEEEENS9_16discard_iteratorINS9_11use_defaultEEEs11max_functorIsEsEEDaPvRmT3_T4_T5_mT6_P12ihipStream_tbENKUlT_T0_E_clISt17integral_constantIbLb1EESX_EEDaSS_ST_EUlSS_E_NS1_11comp_targetILNS1_3genE8ELNS1_11target_archE1030ELNS1_3gpuE2ELNS1_3repE0EEENS1_30default_config_static_selectorELNS0_4arch9wavefront6targetE1EEEvT1_
		.amdhsa_group_segment_fixed_size 0
		.amdhsa_private_segment_fixed_size 0
		.amdhsa_kernarg_size 104
		.amdhsa_user_sgpr_count 6
		.amdhsa_user_sgpr_private_segment_buffer 1
		.amdhsa_user_sgpr_dispatch_ptr 0
		.amdhsa_user_sgpr_queue_ptr 0
		.amdhsa_user_sgpr_kernarg_segment_ptr 1
		.amdhsa_user_sgpr_dispatch_id 0
		.amdhsa_user_sgpr_flat_scratch_init 0
		.amdhsa_user_sgpr_kernarg_preload_length 0
		.amdhsa_user_sgpr_kernarg_preload_offset 0
		.amdhsa_user_sgpr_private_segment_size 0
		.amdhsa_uses_dynamic_stack 0
		.amdhsa_system_sgpr_private_segment_wavefront_offset 0
		.amdhsa_system_sgpr_workgroup_id_x 1
		.amdhsa_system_sgpr_workgroup_id_y 0
		.amdhsa_system_sgpr_workgroup_id_z 0
		.amdhsa_system_sgpr_workgroup_info 0
		.amdhsa_system_vgpr_workitem_id 0
		.amdhsa_next_free_vgpr 1
		.amdhsa_next_free_sgpr 0
		.amdhsa_accum_offset 4
		.amdhsa_reserve_vcc 0
		.amdhsa_reserve_flat_scratch 0
		.amdhsa_float_round_mode_32 0
		.amdhsa_float_round_mode_16_64 0
		.amdhsa_float_denorm_mode_32 3
		.amdhsa_float_denorm_mode_16_64 3
		.amdhsa_dx10_clamp 1
		.amdhsa_ieee_mode 1
		.amdhsa_fp16_overflow 0
		.amdhsa_tg_split 0
		.amdhsa_exception_fp_ieee_invalid_op 0
		.amdhsa_exception_fp_denorm_src 0
		.amdhsa_exception_fp_ieee_div_zero 0
		.amdhsa_exception_fp_ieee_overflow 0
		.amdhsa_exception_fp_ieee_underflow 0
		.amdhsa_exception_fp_ieee_inexact 0
		.amdhsa_exception_int_div_zero 0
	.end_amdhsa_kernel
	.section	.text._ZN7rocprim17ROCPRIM_400000_NS6detail17trampoline_kernelINS0_14default_configENS1_20scan_config_selectorIsEEZZNS1_9scan_implILNS1_25lookback_scan_determinismE0ELb1ELb1ES3_N6thrust23THRUST_200600_302600_NS6detail15normal_iteratorINS9_10device_ptrIsEEEENS9_16discard_iteratorINS9_11use_defaultEEEs11max_functorIsEsEEDaPvRmT3_T4_T5_mT6_P12ihipStream_tbENKUlT_T0_E_clISt17integral_constantIbLb1EESX_EEDaSS_ST_EUlSS_E_NS1_11comp_targetILNS1_3genE8ELNS1_11target_archE1030ELNS1_3gpuE2ELNS1_3repE0EEENS1_30default_config_static_selectorELNS0_4arch9wavefront6targetE1EEEvT1_,"axG",@progbits,_ZN7rocprim17ROCPRIM_400000_NS6detail17trampoline_kernelINS0_14default_configENS1_20scan_config_selectorIsEEZZNS1_9scan_implILNS1_25lookback_scan_determinismE0ELb1ELb1ES3_N6thrust23THRUST_200600_302600_NS6detail15normal_iteratorINS9_10device_ptrIsEEEENS9_16discard_iteratorINS9_11use_defaultEEEs11max_functorIsEsEEDaPvRmT3_T4_T5_mT6_P12ihipStream_tbENKUlT_T0_E_clISt17integral_constantIbLb1EESX_EEDaSS_ST_EUlSS_E_NS1_11comp_targetILNS1_3genE8ELNS1_11target_archE1030ELNS1_3gpuE2ELNS1_3repE0EEENS1_30default_config_static_selectorELNS0_4arch9wavefront6targetE1EEEvT1_,comdat
.Lfunc_end4096:
	.size	_ZN7rocprim17ROCPRIM_400000_NS6detail17trampoline_kernelINS0_14default_configENS1_20scan_config_selectorIsEEZZNS1_9scan_implILNS1_25lookback_scan_determinismE0ELb1ELb1ES3_N6thrust23THRUST_200600_302600_NS6detail15normal_iteratorINS9_10device_ptrIsEEEENS9_16discard_iteratorINS9_11use_defaultEEEs11max_functorIsEsEEDaPvRmT3_T4_T5_mT6_P12ihipStream_tbENKUlT_T0_E_clISt17integral_constantIbLb1EESX_EEDaSS_ST_EUlSS_E_NS1_11comp_targetILNS1_3genE8ELNS1_11target_archE1030ELNS1_3gpuE2ELNS1_3repE0EEENS1_30default_config_static_selectorELNS0_4arch9wavefront6targetE1EEEvT1_, .Lfunc_end4096-_ZN7rocprim17ROCPRIM_400000_NS6detail17trampoline_kernelINS0_14default_configENS1_20scan_config_selectorIsEEZZNS1_9scan_implILNS1_25lookback_scan_determinismE0ELb1ELb1ES3_N6thrust23THRUST_200600_302600_NS6detail15normal_iteratorINS9_10device_ptrIsEEEENS9_16discard_iteratorINS9_11use_defaultEEEs11max_functorIsEsEEDaPvRmT3_T4_T5_mT6_P12ihipStream_tbENKUlT_T0_E_clISt17integral_constantIbLb1EESX_EEDaSS_ST_EUlSS_E_NS1_11comp_targetILNS1_3genE8ELNS1_11target_archE1030ELNS1_3gpuE2ELNS1_3repE0EEENS1_30default_config_static_selectorELNS0_4arch9wavefront6targetE1EEEvT1_
                                        ; -- End function
	.section	.AMDGPU.csdata,"",@progbits
; Kernel info:
; codeLenInByte = 0
; NumSgprs: 4
; NumVgprs: 0
; NumAgprs: 0
; TotalNumVgprs: 0
; ScratchSize: 0
; MemoryBound: 0
; FloatMode: 240
; IeeeMode: 1
; LDSByteSize: 0 bytes/workgroup (compile time only)
; SGPRBlocks: 0
; VGPRBlocks: 0
; NumSGPRsForWavesPerEU: 4
; NumVGPRsForWavesPerEU: 1
; AccumOffset: 4
; Occupancy: 8
; WaveLimiterHint : 0
; COMPUTE_PGM_RSRC2:SCRATCH_EN: 0
; COMPUTE_PGM_RSRC2:USER_SGPR: 6
; COMPUTE_PGM_RSRC2:TRAP_HANDLER: 0
; COMPUTE_PGM_RSRC2:TGID_X_EN: 1
; COMPUTE_PGM_RSRC2:TGID_Y_EN: 0
; COMPUTE_PGM_RSRC2:TGID_Z_EN: 0
; COMPUTE_PGM_RSRC2:TIDIG_COMP_CNT: 0
; COMPUTE_PGM_RSRC3_GFX90A:ACCUM_OFFSET: 0
; COMPUTE_PGM_RSRC3_GFX90A:TG_SPLIT: 0
	.section	.text._ZN7rocprim17ROCPRIM_400000_NS6detail17trampoline_kernelINS0_14default_configENS1_20scan_config_selectorIsEEZZNS1_9scan_implILNS1_25lookback_scan_determinismE0ELb1ELb1ES3_N6thrust23THRUST_200600_302600_NS6detail15normal_iteratorINS9_10device_ptrIsEEEENS9_16discard_iteratorINS9_11use_defaultEEEs11max_functorIsEsEEDaPvRmT3_T4_T5_mT6_P12ihipStream_tbENKUlT_T0_E_clISt17integral_constantIbLb1EESX_EEDaSS_ST_EUlSS_E0_NS1_11comp_targetILNS1_3genE0ELNS1_11target_archE4294967295ELNS1_3gpuE0ELNS1_3repE0EEENS1_30default_config_static_selectorELNS0_4arch9wavefront6targetE1EEEvT1_,"axG",@progbits,_ZN7rocprim17ROCPRIM_400000_NS6detail17trampoline_kernelINS0_14default_configENS1_20scan_config_selectorIsEEZZNS1_9scan_implILNS1_25lookback_scan_determinismE0ELb1ELb1ES3_N6thrust23THRUST_200600_302600_NS6detail15normal_iteratorINS9_10device_ptrIsEEEENS9_16discard_iteratorINS9_11use_defaultEEEs11max_functorIsEsEEDaPvRmT3_T4_T5_mT6_P12ihipStream_tbENKUlT_T0_E_clISt17integral_constantIbLb1EESX_EEDaSS_ST_EUlSS_E0_NS1_11comp_targetILNS1_3genE0ELNS1_11target_archE4294967295ELNS1_3gpuE0ELNS1_3repE0EEENS1_30default_config_static_selectorELNS0_4arch9wavefront6targetE1EEEvT1_,comdat
	.protected	_ZN7rocprim17ROCPRIM_400000_NS6detail17trampoline_kernelINS0_14default_configENS1_20scan_config_selectorIsEEZZNS1_9scan_implILNS1_25lookback_scan_determinismE0ELb1ELb1ES3_N6thrust23THRUST_200600_302600_NS6detail15normal_iteratorINS9_10device_ptrIsEEEENS9_16discard_iteratorINS9_11use_defaultEEEs11max_functorIsEsEEDaPvRmT3_T4_T5_mT6_P12ihipStream_tbENKUlT_T0_E_clISt17integral_constantIbLb1EESX_EEDaSS_ST_EUlSS_E0_NS1_11comp_targetILNS1_3genE0ELNS1_11target_archE4294967295ELNS1_3gpuE0ELNS1_3repE0EEENS1_30default_config_static_selectorELNS0_4arch9wavefront6targetE1EEEvT1_ ; -- Begin function _ZN7rocprim17ROCPRIM_400000_NS6detail17trampoline_kernelINS0_14default_configENS1_20scan_config_selectorIsEEZZNS1_9scan_implILNS1_25lookback_scan_determinismE0ELb1ELb1ES3_N6thrust23THRUST_200600_302600_NS6detail15normal_iteratorINS9_10device_ptrIsEEEENS9_16discard_iteratorINS9_11use_defaultEEEs11max_functorIsEsEEDaPvRmT3_T4_T5_mT6_P12ihipStream_tbENKUlT_T0_E_clISt17integral_constantIbLb1EESX_EEDaSS_ST_EUlSS_E0_NS1_11comp_targetILNS1_3genE0ELNS1_11target_archE4294967295ELNS1_3gpuE0ELNS1_3repE0EEENS1_30default_config_static_selectorELNS0_4arch9wavefront6targetE1EEEvT1_
	.globl	_ZN7rocprim17ROCPRIM_400000_NS6detail17trampoline_kernelINS0_14default_configENS1_20scan_config_selectorIsEEZZNS1_9scan_implILNS1_25lookback_scan_determinismE0ELb1ELb1ES3_N6thrust23THRUST_200600_302600_NS6detail15normal_iteratorINS9_10device_ptrIsEEEENS9_16discard_iteratorINS9_11use_defaultEEEs11max_functorIsEsEEDaPvRmT3_T4_T5_mT6_P12ihipStream_tbENKUlT_T0_E_clISt17integral_constantIbLb1EESX_EEDaSS_ST_EUlSS_E0_NS1_11comp_targetILNS1_3genE0ELNS1_11target_archE4294967295ELNS1_3gpuE0ELNS1_3repE0EEENS1_30default_config_static_selectorELNS0_4arch9wavefront6targetE1EEEvT1_
	.p2align	8
	.type	_ZN7rocprim17ROCPRIM_400000_NS6detail17trampoline_kernelINS0_14default_configENS1_20scan_config_selectorIsEEZZNS1_9scan_implILNS1_25lookback_scan_determinismE0ELb1ELb1ES3_N6thrust23THRUST_200600_302600_NS6detail15normal_iteratorINS9_10device_ptrIsEEEENS9_16discard_iteratorINS9_11use_defaultEEEs11max_functorIsEsEEDaPvRmT3_T4_T5_mT6_P12ihipStream_tbENKUlT_T0_E_clISt17integral_constantIbLb1EESX_EEDaSS_ST_EUlSS_E0_NS1_11comp_targetILNS1_3genE0ELNS1_11target_archE4294967295ELNS1_3gpuE0ELNS1_3repE0EEENS1_30default_config_static_selectorELNS0_4arch9wavefront6targetE1EEEvT1_,@function
_ZN7rocprim17ROCPRIM_400000_NS6detail17trampoline_kernelINS0_14default_configENS1_20scan_config_selectorIsEEZZNS1_9scan_implILNS1_25lookback_scan_determinismE0ELb1ELb1ES3_N6thrust23THRUST_200600_302600_NS6detail15normal_iteratorINS9_10device_ptrIsEEEENS9_16discard_iteratorINS9_11use_defaultEEEs11max_functorIsEsEEDaPvRmT3_T4_T5_mT6_P12ihipStream_tbENKUlT_T0_E_clISt17integral_constantIbLb1EESX_EEDaSS_ST_EUlSS_E0_NS1_11comp_targetILNS1_3genE0ELNS1_11target_archE4294967295ELNS1_3gpuE0ELNS1_3repE0EEENS1_30default_config_static_selectorELNS0_4arch9wavefront6targetE1EEEvT1_: ; @_ZN7rocprim17ROCPRIM_400000_NS6detail17trampoline_kernelINS0_14default_configENS1_20scan_config_selectorIsEEZZNS1_9scan_implILNS1_25lookback_scan_determinismE0ELb1ELb1ES3_N6thrust23THRUST_200600_302600_NS6detail15normal_iteratorINS9_10device_ptrIsEEEENS9_16discard_iteratorINS9_11use_defaultEEEs11max_functorIsEsEEDaPvRmT3_T4_T5_mT6_P12ihipStream_tbENKUlT_T0_E_clISt17integral_constantIbLb1EESX_EEDaSS_ST_EUlSS_E0_NS1_11comp_targetILNS1_3genE0ELNS1_11target_archE4294967295ELNS1_3gpuE0ELNS1_3repE0EEENS1_30default_config_static_selectorELNS0_4arch9wavefront6targetE1EEEvT1_
; %bb.0:
	.section	.rodata,"a",@progbits
	.p2align	6, 0x0
	.amdhsa_kernel _ZN7rocprim17ROCPRIM_400000_NS6detail17trampoline_kernelINS0_14default_configENS1_20scan_config_selectorIsEEZZNS1_9scan_implILNS1_25lookback_scan_determinismE0ELb1ELb1ES3_N6thrust23THRUST_200600_302600_NS6detail15normal_iteratorINS9_10device_ptrIsEEEENS9_16discard_iteratorINS9_11use_defaultEEEs11max_functorIsEsEEDaPvRmT3_T4_T5_mT6_P12ihipStream_tbENKUlT_T0_E_clISt17integral_constantIbLb1EESX_EEDaSS_ST_EUlSS_E0_NS1_11comp_targetILNS1_3genE0ELNS1_11target_archE4294967295ELNS1_3gpuE0ELNS1_3repE0EEENS1_30default_config_static_selectorELNS0_4arch9wavefront6targetE1EEEvT1_
		.amdhsa_group_segment_fixed_size 0
		.amdhsa_private_segment_fixed_size 0
		.amdhsa_kernarg_size 40
		.amdhsa_user_sgpr_count 6
		.amdhsa_user_sgpr_private_segment_buffer 1
		.amdhsa_user_sgpr_dispatch_ptr 0
		.amdhsa_user_sgpr_queue_ptr 0
		.amdhsa_user_sgpr_kernarg_segment_ptr 1
		.amdhsa_user_sgpr_dispatch_id 0
		.amdhsa_user_sgpr_flat_scratch_init 0
		.amdhsa_user_sgpr_kernarg_preload_length 0
		.amdhsa_user_sgpr_kernarg_preload_offset 0
		.amdhsa_user_sgpr_private_segment_size 0
		.amdhsa_uses_dynamic_stack 0
		.amdhsa_system_sgpr_private_segment_wavefront_offset 0
		.amdhsa_system_sgpr_workgroup_id_x 1
		.amdhsa_system_sgpr_workgroup_id_y 0
		.amdhsa_system_sgpr_workgroup_id_z 0
		.amdhsa_system_sgpr_workgroup_info 0
		.amdhsa_system_vgpr_workitem_id 0
		.amdhsa_next_free_vgpr 1
		.amdhsa_next_free_sgpr 0
		.amdhsa_accum_offset 4
		.amdhsa_reserve_vcc 0
		.amdhsa_reserve_flat_scratch 0
		.amdhsa_float_round_mode_32 0
		.amdhsa_float_round_mode_16_64 0
		.amdhsa_float_denorm_mode_32 3
		.amdhsa_float_denorm_mode_16_64 3
		.amdhsa_dx10_clamp 1
		.amdhsa_ieee_mode 1
		.amdhsa_fp16_overflow 0
		.amdhsa_tg_split 0
		.amdhsa_exception_fp_ieee_invalid_op 0
		.amdhsa_exception_fp_denorm_src 0
		.amdhsa_exception_fp_ieee_div_zero 0
		.amdhsa_exception_fp_ieee_overflow 0
		.amdhsa_exception_fp_ieee_underflow 0
		.amdhsa_exception_fp_ieee_inexact 0
		.amdhsa_exception_int_div_zero 0
	.end_amdhsa_kernel
	.section	.text._ZN7rocprim17ROCPRIM_400000_NS6detail17trampoline_kernelINS0_14default_configENS1_20scan_config_selectorIsEEZZNS1_9scan_implILNS1_25lookback_scan_determinismE0ELb1ELb1ES3_N6thrust23THRUST_200600_302600_NS6detail15normal_iteratorINS9_10device_ptrIsEEEENS9_16discard_iteratorINS9_11use_defaultEEEs11max_functorIsEsEEDaPvRmT3_T4_T5_mT6_P12ihipStream_tbENKUlT_T0_E_clISt17integral_constantIbLb1EESX_EEDaSS_ST_EUlSS_E0_NS1_11comp_targetILNS1_3genE0ELNS1_11target_archE4294967295ELNS1_3gpuE0ELNS1_3repE0EEENS1_30default_config_static_selectorELNS0_4arch9wavefront6targetE1EEEvT1_,"axG",@progbits,_ZN7rocprim17ROCPRIM_400000_NS6detail17trampoline_kernelINS0_14default_configENS1_20scan_config_selectorIsEEZZNS1_9scan_implILNS1_25lookback_scan_determinismE0ELb1ELb1ES3_N6thrust23THRUST_200600_302600_NS6detail15normal_iteratorINS9_10device_ptrIsEEEENS9_16discard_iteratorINS9_11use_defaultEEEs11max_functorIsEsEEDaPvRmT3_T4_T5_mT6_P12ihipStream_tbENKUlT_T0_E_clISt17integral_constantIbLb1EESX_EEDaSS_ST_EUlSS_E0_NS1_11comp_targetILNS1_3genE0ELNS1_11target_archE4294967295ELNS1_3gpuE0ELNS1_3repE0EEENS1_30default_config_static_selectorELNS0_4arch9wavefront6targetE1EEEvT1_,comdat
.Lfunc_end4097:
	.size	_ZN7rocprim17ROCPRIM_400000_NS6detail17trampoline_kernelINS0_14default_configENS1_20scan_config_selectorIsEEZZNS1_9scan_implILNS1_25lookback_scan_determinismE0ELb1ELb1ES3_N6thrust23THRUST_200600_302600_NS6detail15normal_iteratorINS9_10device_ptrIsEEEENS9_16discard_iteratorINS9_11use_defaultEEEs11max_functorIsEsEEDaPvRmT3_T4_T5_mT6_P12ihipStream_tbENKUlT_T0_E_clISt17integral_constantIbLb1EESX_EEDaSS_ST_EUlSS_E0_NS1_11comp_targetILNS1_3genE0ELNS1_11target_archE4294967295ELNS1_3gpuE0ELNS1_3repE0EEENS1_30default_config_static_selectorELNS0_4arch9wavefront6targetE1EEEvT1_, .Lfunc_end4097-_ZN7rocprim17ROCPRIM_400000_NS6detail17trampoline_kernelINS0_14default_configENS1_20scan_config_selectorIsEEZZNS1_9scan_implILNS1_25lookback_scan_determinismE0ELb1ELb1ES3_N6thrust23THRUST_200600_302600_NS6detail15normal_iteratorINS9_10device_ptrIsEEEENS9_16discard_iteratorINS9_11use_defaultEEEs11max_functorIsEsEEDaPvRmT3_T4_T5_mT6_P12ihipStream_tbENKUlT_T0_E_clISt17integral_constantIbLb1EESX_EEDaSS_ST_EUlSS_E0_NS1_11comp_targetILNS1_3genE0ELNS1_11target_archE4294967295ELNS1_3gpuE0ELNS1_3repE0EEENS1_30default_config_static_selectorELNS0_4arch9wavefront6targetE1EEEvT1_
                                        ; -- End function
	.section	.AMDGPU.csdata,"",@progbits
; Kernel info:
; codeLenInByte = 0
; NumSgprs: 4
; NumVgprs: 0
; NumAgprs: 0
; TotalNumVgprs: 0
; ScratchSize: 0
; MemoryBound: 0
; FloatMode: 240
; IeeeMode: 1
; LDSByteSize: 0 bytes/workgroup (compile time only)
; SGPRBlocks: 0
; VGPRBlocks: 0
; NumSGPRsForWavesPerEU: 4
; NumVGPRsForWavesPerEU: 1
; AccumOffset: 4
; Occupancy: 8
; WaveLimiterHint : 0
; COMPUTE_PGM_RSRC2:SCRATCH_EN: 0
; COMPUTE_PGM_RSRC2:USER_SGPR: 6
; COMPUTE_PGM_RSRC2:TRAP_HANDLER: 0
; COMPUTE_PGM_RSRC2:TGID_X_EN: 1
; COMPUTE_PGM_RSRC2:TGID_Y_EN: 0
; COMPUTE_PGM_RSRC2:TGID_Z_EN: 0
; COMPUTE_PGM_RSRC2:TIDIG_COMP_CNT: 0
; COMPUTE_PGM_RSRC3_GFX90A:ACCUM_OFFSET: 0
; COMPUTE_PGM_RSRC3_GFX90A:TG_SPLIT: 0
	.section	.text._ZN7rocprim17ROCPRIM_400000_NS6detail17trampoline_kernelINS0_14default_configENS1_20scan_config_selectorIsEEZZNS1_9scan_implILNS1_25lookback_scan_determinismE0ELb1ELb1ES3_N6thrust23THRUST_200600_302600_NS6detail15normal_iteratorINS9_10device_ptrIsEEEENS9_16discard_iteratorINS9_11use_defaultEEEs11max_functorIsEsEEDaPvRmT3_T4_T5_mT6_P12ihipStream_tbENKUlT_T0_E_clISt17integral_constantIbLb1EESX_EEDaSS_ST_EUlSS_E0_NS1_11comp_targetILNS1_3genE5ELNS1_11target_archE942ELNS1_3gpuE9ELNS1_3repE0EEENS1_30default_config_static_selectorELNS0_4arch9wavefront6targetE1EEEvT1_,"axG",@progbits,_ZN7rocprim17ROCPRIM_400000_NS6detail17trampoline_kernelINS0_14default_configENS1_20scan_config_selectorIsEEZZNS1_9scan_implILNS1_25lookback_scan_determinismE0ELb1ELb1ES3_N6thrust23THRUST_200600_302600_NS6detail15normal_iteratorINS9_10device_ptrIsEEEENS9_16discard_iteratorINS9_11use_defaultEEEs11max_functorIsEsEEDaPvRmT3_T4_T5_mT6_P12ihipStream_tbENKUlT_T0_E_clISt17integral_constantIbLb1EESX_EEDaSS_ST_EUlSS_E0_NS1_11comp_targetILNS1_3genE5ELNS1_11target_archE942ELNS1_3gpuE9ELNS1_3repE0EEENS1_30default_config_static_selectorELNS0_4arch9wavefront6targetE1EEEvT1_,comdat
	.protected	_ZN7rocprim17ROCPRIM_400000_NS6detail17trampoline_kernelINS0_14default_configENS1_20scan_config_selectorIsEEZZNS1_9scan_implILNS1_25lookback_scan_determinismE0ELb1ELb1ES3_N6thrust23THRUST_200600_302600_NS6detail15normal_iteratorINS9_10device_ptrIsEEEENS9_16discard_iteratorINS9_11use_defaultEEEs11max_functorIsEsEEDaPvRmT3_T4_T5_mT6_P12ihipStream_tbENKUlT_T0_E_clISt17integral_constantIbLb1EESX_EEDaSS_ST_EUlSS_E0_NS1_11comp_targetILNS1_3genE5ELNS1_11target_archE942ELNS1_3gpuE9ELNS1_3repE0EEENS1_30default_config_static_selectorELNS0_4arch9wavefront6targetE1EEEvT1_ ; -- Begin function _ZN7rocprim17ROCPRIM_400000_NS6detail17trampoline_kernelINS0_14default_configENS1_20scan_config_selectorIsEEZZNS1_9scan_implILNS1_25lookback_scan_determinismE0ELb1ELb1ES3_N6thrust23THRUST_200600_302600_NS6detail15normal_iteratorINS9_10device_ptrIsEEEENS9_16discard_iteratorINS9_11use_defaultEEEs11max_functorIsEsEEDaPvRmT3_T4_T5_mT6_P12ihipStream_tbENKUlT_T0_E_clISt17integral_constantIbLb1EESX_EEDaSS_ST_EUlSS_E0_NS1_11comp_targetILNS1_3genE5ELNS1_11target_archE942ELNS1_3gpuE9ELNS1_3repE0EEENS1_30default_config_static_selectorELNS0_4arch9wavefront6targetE1EEEvT1_
	.globl	_ZN7rocprim17ROCPRIM_400000_NS6detail17trampoline_kernelINS0_14default_configENS1_20scan_config_selectorIsEEZZNS1_9scan_implILNS1_25lookback_scan_determinismE0ELb1ELb1ES3_N6thrust23THRUST_200600_302600_NS6detail15normal_iteratorINS9_10device_ptrIsEEEENS9_16discard_iteratorINS9_11use_defaultEEEs11max_functorIsEsEEDaPvRmT3_T4_T5_mT6_P12ihipStream_tbENKUlT_T0_E_clISt17integral_constantIbLb1EESX_EEDaSS_ST_EUlSS_E0_NS1_11comp_targetILNS1_3genE5ELNS1_11target_archE942ELNS1_3gpuE9ELNS1_3repE0EEENS1_30default_config_static_selectorELNS0_4arch9wavefront6targetE1EEEvT1_
	.p2align	8
	.type	_ZN7rocprim17ROCPRIM_400000_NS6detail17trampoline_kernelINS0_14default_configENS1_20scan_config_selectorIsEEZZNS1_9scan_implILNS1_25lookback_scan_determinismE0ELb1ELb1ES3_N6thrust23THRUST_200600_302600_NS6detail15normal_iteratorINS9_10device_ptrIsEEEENS9_16discard_iteratorINS9_11use_defaultEEEs11max_functorIsEsEEDaPvRmT3_T4_T5_mT6_P12ihipStream_tbENKUlT_T0_E_clISt17integral_constantIbLb1EESX_EEDaSS_ST_EUlSS_E0_NS1_11comp_targetILNS1_3genE5ELNS1_11target_archE942ELNS1_3gpuE9ELNS1_3repE0EEENS1_30default_config_static_selectorELNS0_4arch9wavefront6targetE1EEEvT1_,@function
_ZN7rocprim17ROCPRIM_400000_NS6detail17trampoline_kernelINS0_14default_configENS1_20scan_config_selectorIsEEZZNS1_9scan_implILNS1_25lookback_scan_determinismE0ELb1ELb1ES3_N6thrust23THRUST_200600_302600_NS6detail15normal_iteratorINS9_10device_ptrIsEEEENS9_16discard_iteratorINS9_11use_defaultEEEs11max_functorIsEsEEDaPvRmT3_T4_T5_mT6_P12ihipStream_tbENKUlT_T0_E_clISt17integral_constantIbLb1EESX_EEDaSS_ST_EUlSS_E0_NS1_11comp_targetILNS1_3genE5ELNS1_11target_archE942ELNS1_3gpuE9ELNS1_3repE0EEENS1_30default_config_static_selectorELNS0_4arch9wavefront6targetE1EEEvT1_: ; @_ZN7rocprim17ROCPRIM_400000_NS6detail17trampoline_kernelINS0_14default_configENS1_20scan_config_selectorIsEEZZNS1_9scan_implILNS1_25lookback_scan_determinismE0ELb1ELb1ES3_N6thrust23THRUST_200600_302600_NS6detail15normal_iteratorINS9_10device_ptrIsEEEENS9_16discard_iteratorINS9_11use_defaultEEEs11max_functorIsEsEEDaPvRmT3_T4_T5_mT6_P12ihipStream_tbENKUlT_T0_E_clISt17integral_constantIbLb1EESX_EEDaSS_ST_EUlSS_E0_NS1_11comp_targetILNS1_3genE5ELNS1_11target_archE942ELNS1_3gpuE9ELNS1_3repE0EEENS1_30default_config_static_selectorELNS0_4arch9wavefront6targetE1EEEvT1_
; %bb.0:
	.section	.rodata,"a",@progbits
	.p2align	6, 0x0
	.amdhsa_kernel _ZN7rocprim17ROCPRIM_400000_NS6detail17trampoline_kernelINS0_14default_configENS1_20scan_config_selectorIsEEZZNS1_9scan_implILNS1_25lookback_scan_determinismE0ELb1ELb1ES3_N6thrust23THRUST_200600_302600_NS6detail15normal_iteratorINS9_10device_ptrIsEEEENS9_16discard_iteratorINS9_11use_defaultEEEs11max_functorIsEsEEDaPvRmT3_T4_T5_mT6_P12ihipStream_tbENKUlT_T0_E_clISt17integral_constantIbLb1EESX_EEDaSS_ST_EUlSS_E0_NS1_11comp_targetILNS1_3genE5ELNS1_11target_archE942ELNS1_3gpuE9ELNS1_3repE0EEENS1_30default_config_static_selectorELNS0_4arch9wavefront6targetE1EEEvT1_
		.amdhsa_group_segment_fixed_size 0
		.amdhsa_private_segment_fixed_size 0
		.amdhsa_kernarg_size 40
		.amdhsa_user_sgpr_count 6
		.amdhsa_user_sgpr_private_segment_buffer 1
		.amdhsa_user_sgpr_dispatch_ptr 0
		.amdhsa_user_sgpr_queue_ptr 0
		.amdhsa_user_sgpr_kernarg_segment_ptr 1
		.amdhsa_user_sgpr_dispatch_id 0
		.amdhsa_user_sgpr_flat_scratch_init 0
		.amdhsa_user_sgpr_kernarg_preload_length 0
		.amdhsa_user_sgpr_kernarg_preload_offset 0
		.amdhsa_user_sgpr_private_segment_size 0
		.amdhsa_uses_dynamic_stack 0
		.amdhsa_system_sgpr_private_segment_wavefront_offset 0
		.amdhsa_system_sgpr_workgroup_id_x 1
		.amdhsa_system_sgpr_workgroup_id_y 0
		.amdhsa_system_sgpr_workgroup_id_z 0
		.amdhsa_system_sgpr_workgroup_info 0
		.amdhsa_system_vgpr_workitem_id 0
		.amdhsa_next_free_vgpr 1
		.amdhsa_next_free_sgpr 0
		.amdhsa_accum_offset 4
		.amdhsa_reserve_vcc 0
		.amdhsa_reserve_flat_scratch 0
		.amdhsa_float_round_mode_32 0
		.amdhsa_float_round_mode_16_64 0
		.amdhsa_float_denorm_mode_32 3
		.amdhsa_float_denorm_mode_16_64 3
		.amdhsa_dx10_clamp 1
		.amdhsa_ieee_mode 1
		.amdhsa_fp16_overflow 0
		.amdhsa_tg_split 0
		.amdhsa_exception_fp_ieee_invalid_op 0
		.amdhsa_exception_fp_denorm_src 0
		.amdhsa_exception_fp_ieee_div_zero 0
		.amdhsa_exception_fp_ieee_overflow 0
		.amdhsa_exception_fp_ieee_underflow 0
		.amdhsa_exception_fp_ieee_inexact 0
		.amdhsa_exception_int_div_zero 0
	.end_amdhsa_kernel
	.section	.text._ZN7rocprim17ROCPRIM_400000_NS6detail17trampoline_kernelINS0_14default_configENS1_20scan_config_selectorIsEEZZNS1_9scan_implILNS1_25lookback_scan_determinismE0ELb1ELb1ES3_N6thrust23THRUST_200600_302600_NS6detail15normal_iteratorINS9_10device_ptrIsEEEENS9_16discard_iteratorINS9_11use_defaultEEEs11max_functorIsEsEEDaPvRmT3_T4_T5_mT6_P12ihipStream_tbENKUlT_T0_E_clISt17integral_constantIbLb1EESX_EEDaSS_ST_EUlSS_E0_NS1_11comp_targetILNS1_3genE5ELNS1_11target_archE942ELNS1_3gpuE9ELNS1_3repE0EEENS1_30default_config_static_selectorELNS0_4arch9wavefront6targetE1EEEvT1_,"axG",@progbits,_ZN7rocprim17ROCPRIM_400000_NS6detail17trampoline_kernelINS0_14default_configENS1_20scan_config_selectorIsEEZZNS1_9scan_implILNS1_25lookback_scan_determinismE0ELb1ELb1ES3_N6thrust23THRUST_200600_302600_NS6detail15normal_iteratorINS9_10device_ptrIsEEEENS9_16discard_iteratorINS9_11use_defaultEEEs11max_functorIsEsEEDaPvRmT3_T4_T5_mT6_P12ihipStream_tbENKUlT_T0_E_clISt17integral_constantIbLb1EESX_EEDaSS_ST_EUlSS_E0_NS1_11comp_targetILNS1_3genE5ELNS1_11target_archE942ELNS1_3gpuE9ELNS1_3repE0EEENS1_30default_config_static_selectorELNS0_4arch9wavefront6targetE1EEEvT1_,comdat
.Lfunc_end4098:
	.size	_ZN7rocprim17ROCPRIM_400000_NS6detail17trampoline_kernelINS0_14default_configENS1_20scan_config_selectorIsEEZZNS1_9scan_implILNS1_25lookback_scan_determinismE0ELb1ELb1ES3_N6thrust23THRUST_200600_302600_NS6detail15normal_iteratorINS9_10device_ptrIsEEEENS9_16discard_iteratorINS9_11use_defaultEEEs11max_functorIsEsEEDaPvRmT3_T4_T5_mT6_P12ihipStream_tbENKUlT_T0_E_clISt17integral_constantIbLb1EESX_EEDaSS_ST_EUlSS_E0_NS1_11comp_targetILNS1_3genE5ELNS1_11target_archE942ELNS1_3gpuE9ELNS1_3repE0EEENS1_30default_config_static_selectorELNS0_4arch9wavefront6targetE1EEEvT1_, .Lfunc_end4098-_ZN7rocprim17ROCPRIM_400000_NS6detail17trampoline_kernelINS0_14default_configENS1_20scan_config_selectorIsEEZZNS1_9scan_implILNS1_25lookback_scan_determinismE0ELb1ELb1ES3_N6thrust23THRUST_200600_302600_NS6detail15normal_iteratorINS9_10device_ptrIsEEEENS9_16discard_iteratorINS9_11use_defaultEEEs11max_functorIsEsEEDaPvRmT3_T4_T5_mT6_P12ihipStream_tbENKUlT_T0_E_clISt17integral_constantIbLb1EESX_EEDaSS_ST_EUlSS_E0_NS1_11comp_targetILNS1_3genE5ELNS1_11target_archE942ELNS1_3gpuE9ELNS1_3repE0EEENS1_30default_config_static_selectorELNS0_4arch9wavefront6targetE1EEEvT1_
                                        ; -- End function
	.section	.AMDGPU.csdata,"",@progbits
; Kernel info:
; codeLenInByte = 0
; NumSgprs: 4
; NumVgprs: 0
; NumAgprs: 0
; TotalNumVgprs: 0
; ScratchSize: 0
; MemoryBound: 0
; FloatMode: 240
; IeeeMode: 1
; LDSByteSize: 0 bytes/workgroup (compile time only)
; SGPRBlocks: 0
; VGPRBlocks: 0
; NumSGPRsForWavesPerEU: 4
; NumVGPRsForWavesPerEU: 1
; AccumOffset: 4
; Occupancy: 8
; WaveLimiterHint : 0
; COMPUTE_PGM_RSRC2:SCRATCH_EN: 0
; COMPUTE_PGM_RSRC2:USER_SGPR: 6
; COMPUTE_PGM_RSRC2:TRAP_HANDLER: 0
; COMPUTE_PGM_RSRC2:TGID_X_EN: 1
; COMPUTE_PGM_RSRC2:TGID_Y_EN: 0
; COMPUTE_PGM_RSRC2:TGID_Z_EN: 0
; COMPUTE_PGM_RSRC2:TIDIG_COMP_CNT: 0
; COMPUTE_PGM_RSRC3_GFX90A:ACCUM_OFFSET: 0
; COMPUTE_PGM_RSRC3_GFX90A:TG_SPLIT: 0
	.section	.text._ZN7rocprim17ROCPRIM_400000_NS6detail17trampoline_kernelINS0_14default_configENS1_20scan_config_selectorIsEEZZNS1_9scan_implILNS1_25lookback_scan_determinismE0ELb1ELb1ES3_N6thrust23THRUST_200600_302600_NS6detail15normal_iteratorINS9_10device_ptrIsEEEENS9_16discard_iteratorINS9_11use_defaultEEEs11max_functorIsEsEEDaPvRmT3_T4_T5_mT6_P12ihipStream_tbENKUlT_T0_E_clISt17integral_constantIbLb1EESX_EEDaSS_ST_EUlSS_E0_NS1_11comp_targetILNS1_3genE4ELNS1_11target_archE910ELNS1_3gpuE8ELNS1_3repE0EEENS1_30default_config_static_selectorELNS0_4arch9wavefront6targetE1EEEvT1_,"axG",@progbits,_ZN7rocprim17ROCPRIM_400000_NS6detail17trampoline_kernelINS0_14default_configENS1_20scan_config_selectorIsEEZZNS1_9scan_implILNS1_25lookback_scan_determinismE0ELb1ELb1ES3_N6thrust23THRUST_200600_302600_NS6detail15normal_iteratorINS9_10device_ptrIsEEEENS9_16discard_iteratorINS9_11use_defaultEEEs11max_functorIsEsEEDaPvRmT3_T4_T5_mT6_P12ihipStream_tbENKUlT_T0_E_clISt17integral_constantIbLb1EESX_EEDaSS_ST_EUlSS_E0_NS1_11comp_targetILNS1_3genE4ELNS1_11target_archE910ELNS1_3gpuE8ELNS1_3repE0EEENS1_30default_config_static_selectorELNS0_4arch9wavefront6targetE1EEEvT1_,comdat
	.protected	_ZN7rocprim17ROCPRIM_400000_NS6detail17trampoline_kernelINS0_14default_configENS1_20scan_config_selectorIsEEZZNS1_9scan_implILNS1_25lookback_scan_determinismE0ELb1ELb1ES3_N6thrust23THRUST_200600_302600_NS6detail15normal_iteratorINS9_10device_ptrIsEEEENS9_16discard_iteratorINS9_11use_defaultEEEs11max_functorIsEsEEDaPvRmT3_T4_T5_mT6_P12ihipStream_tbENKUlT_T0_E_clISt17integral_constantIbLb1EESX_EEDaSS_ST_EUlSS_E0_NS1_11comp_targetILNS1_3genE4ELNS1_11target_archE910ELNS1_3gpuE8ELNS1_3repE0EEENS1_30default_config_static_selectorELNS0_4arch9wavefront6targetE1EEEvT1_ ; -- Begin function _ZN7rocprim17ROCPRIM_400000_NS6detail17trampoline_kernelINS0_14default_configENS1_20scan_config_selectorIsEEZZNS1_9scan_implILNS1_25lookback_scan_determinismE0ELb1ELb1ES3_N6thrust23THRUST_200600_302600_NS6detail15normal_iteratorINS9_10device_ptrIsEEEENS9_16discard_iteratorINS9_11use_defaultEEEs11max_functorIsEsEEDaPvRmT3_T4_T5_mT6_P12ihipStream_tbENKUlT_T0_E_clISt17integral_constantIbLb1EESX_EEDaSS_ST_EUlSS_E0_NS1_11comp_targetILNS1_3genE4ELNS1_11target_archE910ELNS1_3gpuE8ELNS1_3repE0EEENS1_30default_config_static_selectorELNS0_4arch9wavefront6targetE1EEEvT1_
	.globl	_ZN7rocprim17ROCPRIM_400000_NS6detail17trampoline_kernelINS0_14default_configENS1_20scan_config_selectorIsEEZZNS1_9scan_implILNS1_25lookback_scan_determinismE0ELb1ELb1ES3_N6thrust23THRUST_200600_302600_NS6detail15normal_iteratorINS9_10device_ptrIsEEEENS9_16discard_iteratorINS9_11use_defaultEEEs11max_functorIsEsEEDaPvRmT3_T4_T5_mT6_P12ihipStream_tbENKUlT_T0_E_clISt17integral_constantIbLb1EESX_EEDaSS_ST_EUlSS_E0_NS1_11comp_targetILNS1_3genE4ELNS1_11target_archE910ELNS1_3gpuE8ELNS1_3repE0EEENS1_30default_config_static_selectorELNS0_4arch9wavefront6targetE1EEEvT1_
	.p2align	8
	.type	_ZN7rocprim17ROCPRIM_400000_NS6detail17trampoline_kernelINS0_14default_configENS1_20scan_config_selectorIsEEZZNS1_9scan_implILNS1_25lookback_scan_determinismE0ELb1ELb1ES3_N6thrust23THRUST_200600_302600_NS6detail15normal_iteratorINS9_10device_ptrIsEEEENS9_16discard_iteratorINS9_11use_defaultEEEs11max_functorIsEsEEDaPvRmT3_T4_T5_mT6_P12ihipStream_tbENKUlT_T0_E_clISt17integral_constantIbLb1EESX_EEDaSS_ST_EUlSS_E0_NS1_11comp_targetILNS1_3genE4ELNS1_11target_archE910ELNS1_3gpuE8ELNS1_3repE0EEENS1_30default_config_static_selectorELNS0_4arch9wavefront6targetE1EEEvT1_,@function
_ZN7rocprim17ROCPRIM_400000_NS6detail17trampoline_kernelINS0_14default_configENS1_20scan_config_selectorIsEEZZNS1_9scan_implILNS1_25lookback_scan_determinismE0ELb1ELb1ES3_N6thrust23THRUST_200600_302600_NS6detail15normal_iteratorINS9_10device_ptrIsEEEENS9_16discard_iteratorINS9_11use_defaultEEEs11max_functorIsEsEEDaPvRmT3_T4_T5_mT6_P12ihipStream_tbENKUlT_T0_E_clISt17integral_constantIbLb1EESX_EEDaSS_ST_EUlSS_E0_NS1_11comp_targetILNS1_3genE4ELNS1_11target_archE910ELNS1_3gpuE8ELNS1_3repE0EEENS1_30default_config_static_selectorELNS0_4arch9wavefront6targetE1EEEvT1_: ; @_ZN7rocprim17ROCPRIM_400000_NS6detail17trampoline_kernelINS0_14default_configENS1_20scan_config_selectorIsEEZZNS1_9scan_implILNS1_25lookback_scan_determinismE0ELb1ELb1ES3_N6thrust23THRUST_200600_302600_NS6detail15normal_iteratorINS9_10device_ptrIsEEEENS9_16discard_iteratorINS9_11use_defaultEEEs11max_functorIsEsEEDaPvRmT3_T4_T5_mT6_P12ihipStream_tbENKUlT_T0_E_clISt17integral_constantIbLb1EESX_EEDaSS_ST_EUlSS_E0_NS1_11comp_targetILNS1_3genE4ELNS1_11target_archE910ELNS1_3gpuE8ELNS1_3repE0EEENS1_30default_config_static_selectorELNS0_4arch9wavefront6targetE1EEEvT1_
; %bb.0:
	s_load_dwordx4 s[0:3], s[4:5], 0x0
	v_mov_b32_e32 v1, 0
	s_waitcnt lgkmcnt(0)
	global_load_ushort v2, v1, s[0:1]
	v_cmp_gt_u32_e32 vcc, s2, v0
	v_lshlrev_b32_e32 v1, 1, v0
	s_waitcnt vmcnt(0)
	v_mov_b32_e32 v3, v2
	s_and_saveexec_b64 s[6:7], vcc
	s_cbranch_execz .LBB4099_2
; %bb.1:
	global_load_ushort v3, v1, s[0:1]
.LBB4099_2:
	s_or_b64 exec, exec, s[6:7]
	v_or_b32_e32 v4, 64, v0
	v_cmp_gt_u32_e32 vcc, s2, v4
	v_mov_b32_e32 v4, v2
	s_and_saveexec_b64 s[6:7], vcc
	s_cbranch_execz .LBB4099_4
; %bb.3:
	global_load_ushort v4, v1, s[0:1] offset:128
.LBB4099_4:
	s_or_b64 exec, exec, s[6:7]
	v_or_b32_e32 v5, 0x80, v0
	v_cmp_gt_u32_e32 vcc, s2, v5
	v_mov_b32_e32 v5, v2
	s_and_saveexec_b64 s[6:7], vcc
	s_cbranch_execz .LBB4099_6
; %bb.5:
	global_load_ushort v5, v1, s[0:1] offset:256
.LBB4099_6:
	;; [unrolled: 9-line block ×22, first 2 shown]
	s_or_b64 exec, exec, s[6:7]
	s_load_dword s4, s[4:5], 0x10
	v_or_b32_e32 v26, 0x5c0, v0
	v_cmp_gt_u32_e32 vcc, s2, v26
	s_and_saveexec_b64 s[2:3], vcc
	s_cbranch_execz .LBB4099_48
; %bb.47:
	global_load_ushort v2, v1, s[0:1] offset:2944
.LBB4099_48:
	s_or_b64 exec, exec, s[2:3]
	s_waitcnt vmcnt(0)
	ds_write_b16 v1, v3
	ds_write_b16 v1, v4 offset:128
	ds_write_b16 v1, v5 offset:256
	;; [unrolled: 1-line block ×23, first 2 shown]
	v_mad_u32_u24 v2, v0, 46, v1
	s_waitcnt lgkmcnt(0)
	; wave barrier
	s_waitcnt lgkmcnt(0)
	ds_read_b128 v[10:13], v2
	ds_read_b128 v[6:9], v2 offset:16
	ds_read_b128 v[2:5], v2 offset:32
	v_mul_u32_u24_e32 v14, 46, v0
	s_waitcnt lgkmcnt(0)
	; wave barrier
	s_waitcnt lgkmcnt(0)
	v_lshrrev_b32_e32 v24, 16, v11
	v_max_i16_sdwa v26, v10, v10 dst_sel:DWORD dst_unused:UNUSED_PAD src0_sel:DWORD src1_sel:WORD_1
	v_lshrrev_b32_e32 v23, 16, v12
	v_max3_i16 v26, v26, v11, v24
	v_lshrrev_b32_e32 v22, 16, v13
	v_max3_i16 v26, v26, v12, v23
	;; [unrolled: 2-line block ×10, first 2 shown]
	v_max3_i16 v26, v26, v5, v25
	v_mbcnt_lo_u32_b32 v25, -1, 0
	v_mbcnt_hi_u32_b32 v25, -1, v25
	v_and_b32_e32 v28, 0xffff, v26
	v_and_b32_e32 v27, 15, v25
	v_cmp_eq_u32_e32 vcc, 0, v27
	v_mov_b32_dpp v28, v28 row_shr:1 row_mask:0xf bank_mask:0xf
	v_max_i16_e32 v28, v28, v26
	v_cndmask_b32_e32 v26, v28, v26, vcc
	v_and_b32_e32 v28, 0xffff, v26
	v_cmp_lt_u32_e32 vcc, 1, v27
	s_nop 0
	v_mov_b32_dpp v28, v28 row_shr:2 row_mask:0xf bank_mask:0xf
	v_max_i16_e32 v28, v28, v26
	v_cndmask_b32_e32 v26, v26, v28, vcc
	v_and_b32_e32 v28, 0xffff, v26
	v_cmp_lt_u32_e32 vcc, 3, v27
	s_nop 0
	v_mov_b32_dpp v28, v28 row_shr:4 row_mask:0xf bank_mask:0xf
	v_max_i16_e32 v28, v28, v26
	v_cndmask_b32_e32 v26, v26, v28, vcc
	v_and_b32_e32 v28, 0xffff, v26
	v_cmp_lt_u32_e32 vcc, 7, v27
	s_nop 0
	v_mov_b32_dpp v28, v28 row_shr:8 row_mask:0xf bank_mask:0xf
	v_max_i16_e32 v28, v28, v26
	v_cndmask_b32_e32 v26, v26, v28, vcc
	v_and_b32_e32 v27, 0xffff, v26
	v_and_b32_e32 v28, 16, v25
	v_cmp_eq_u32_e32 vcc, 0, v28
	v_mov_b32_dpp v27, v27 row_bcast:15 row_mask:0xf bank_mask:0xf
	v_max_i16_e32 v27, v27, v26
	v_cndmask_b32_e32 v26, v27, v26, vcc
	v_and_b32_e32 v27, 0xffff, v26
	v_cmp_lt_u32_e32 vcc, 31, v25
	s_nop 0
	v_mov_b32_dpp v27, v27 row_bcast:31 row_mask:0xf bank_mask:0xf
	v_max_i16_e32 v27, v27, v26
	v_cndmask_b32_e32 v26, v26, v27, vcc
	v_cmp_eq_u32_e32 vcc, 63, v0
	s_and_saveexec_b64 s[0:1], vcc
	s_cbranch_execz .LBB4099_50
; %bb.49:
	v_mov_b32_e32 v27, 0
	ds_write_b16 v27, v26
.LBB4099_50:
	s_or_b64 exec, exec, s[0:1]
	v_add_u32_e32 v27, -1, v25
	v_and_b32_e32 v28, 64, v25
	v_cmp_lt_i32_e32 vcc, v27, v28
	v_cndmask_b32_e32 v27, v27, v25, vcc
	v_max_i16_e32 v26, s4, v26
	v_lshlrev_b32_e32 v27, 2, v27
	ds_bpermute_b32 v26, v27, v26
	v_cmp_eq_u32_e32 vcc, 0, v25
	v_cmp_eq_u32_e64 s[0:1], 0, v0
	v_mov_b32_e32 v0, s4
	s_or_b64 vcc, s[0:1], vcc
	s_waitcnt lgkmcnt(0)
	v_cndmask_b32_e32 v0, v26, v0, vcc
	v_max_i16_e32 v25, v0, v10
	v_max_i16_sdwa v10, v25, v10 dst_sel:DWORD dst_unused:UNUSED_PAD src0_sel:DWORD src1_sel:WORD_1
	v_max_i16_e32 v11, v10, v11
	v_max_i16_e32 v24, v11, v24
	;; [unrolled: 1-line block ×19, first 2 shown]
	s_mov_b32 s0, 0x5040100
	v_max_i16_e32 v15, v4, v15
	v_add_u32_e32 v14, v1, v14
	v_perm_b32 v0, v25, v0, s0
	v_perm_b32 v1, v11, v10, s0
	;; [unrolled: 1-line block ×4, first 2 shown]
	s_waitcnt lgkmcnt(0)
	; wave barrier
	v_max_i16_e32 v5, v15, v5
	s_waitcnt lgkmcnt(0)
	; wave barrier
	ds_write_b128 v14, v[0:3]
	v_perm_b32 v0, v6, v22, s0
	v_perm_b32 v1, v7, v21, s0
	;; [unrolled: 1-line block ×4, first 2 shown]
	ds_write_b128 v14, v[0:3] offset:16
	v_perm_b32 v0, v26, v18, s0
	v_perm_b32 v1, v27, v17, s0
	;; [unrolled: 1-line block ×4, first 2 shown]
	ds_write_b128 v14, v[0:3] offset:32
	s_waitcnt lgkmcnt(0)
	; wave barrier
	s_waitcnt lgkmcnt(0)
	s_endpgm
	.section	.rodata,"a",@progbits
	.p2align	6, 0x0
	.amdhsa_kernel _ZN7rocprim17ROCPRIM_400000_NS6detail17trampoline_kernelINS0_14default_configENS1_20scan_config_selectorIsEEZZNS1_9scan_implILNS1_25lookback_scan_determinismE0ELb1ELb1ES3_N6thrust23THRUST_200600_302600_NS6detail15normal_iteratorINS9_10device_ptrIsEEEENS9_16discard_iteratorINS9_11use_defaultEEEs11max_functorIsEsEEDaPvRmT3_T4_T5_mT6_P12ihipStream_tbENKUlT_T0_E_clISt17integral_constantIbLb1EESX_EEDaSS_ST_EUlSS_E0_NS1_11comp_targetILNS1_3genE4ELNS1_11target_archE910ELNS1_3gpuE8ELNS1_3repE0EEENS1_30default_config_static_selectorELNS0_4arch9wavefront6targetE1EEEvT1_
		.amdhsa_group_segment_fixed_size 3072
		.amdhsa_private_segment_fixed_size 0
		.amdhsa_kernarg_size 40
		.amdhsa_user_sgpr_count 6
		.amdhsa_user_sgpr_private_segment_buffer 1
		.amdhsa_user_sgpr_dispatch_ptr 0
		.amdhsa_user_sgpr_queue_ptr 0
		.amdhsa_user_sgpr_kernarg_segment_ptr 1
		.amdhsa_user_sgpr_dispatch_id 0
		.amdhsa_user_sgpr_flat_scratch_init 0
		.amdhsa_user_sgpr_kernarg_preload_length 0
		.amdhsa_user_sgpr_kernarg_preload_offset 0
		.amdhsa_user_sgpr_private_segment_size 0
		.amdhsa_uses_dynamic_stack 0
		.amdhsa_system_sgpr_private_segment_wavefront_offset 0
		.amdhsa_system_sgpr_workgroup_id_x 1
		.amdhsa_system_sgpr_workgroup_id_y 0
		.amdhsa_system_sgpr_workgroup_id_z 0
		.amdhsa_system_sgpr_workgroup_info 0
		.amdhsa_system_vgpr_workitem_id 0
		.amdhsa_next_free_vgpr 29
		.amdhsa_next_free_sgpr 8
		.amdhsa_accum_offset 32
		.amdhsa_reserve_vcc 1
		.amdhsa_reserve_flat_scratch 0
		.amdhsa_float_round_mode_32 0
		.amdhsa_float_round_mode_16_64 0
		.amdhsa_float_denorm_mode_32 3
		.amdhsa_float_denorm_mode_16_64 3
		.amdhsa_dx10_clamp 1
		.amdhsa_ieee_mode 1
		.amdhsa_fp16_overflow 0
		.amdhsa_tg_split 0
		.amdhsa_exception_fp_ieee_invalid_op 0
		.amdhsa_exception_fp_denorm_src 0
		.amdhsa_exception_fp_ieee_div_zero 0
		.amdhsa_exception_fp_ieee_overflow 0
		.amdhsa_exception_fp_ieee_underflow 0
		.amdhsa_exception_fp_ieee_inexact 0
		.amdhsa_exception_int_div_zero 0
	.end_amdhsa_kernel
	.section	.text._ZN7rocprim17ROCPRIM_400000_NS6detail17trampoline_kernelINS0_14default_configENS1_20scan_config_selectorIsEEZZNS1_9scan_implILNS1_25lookback_scan_determinismE0ELb1ELb1ES3_N6thrust23THRUST_200600_302600_NS6detail15normal_iteratorINS9_10device_ptrIsEEEENS9_16discard_iteratorINS9_11use_defaultEEEs11max_functorIsEsEEDaPvRmT3_T4_T5_mT6_P12ihipStream_tbENKUlT_T0_E_clISt17integral_constantIbLb1EESX_EEDaSS_ST_EUlSS_E0_NS1_11comp_targetILNS1_3genE4ELNS1_11target_archE910ELNS1_3gpuE8ELNS1_3repE0EEENS1_30default_config_static_selectorELNS0_4arch9wavefront6targetE1EEEvT1_,"axG",@progbits,_ZN7rocprim17ROCPRIM_400000_NS6detail17trampoline_kernelINS0_14default_configENS1_20scan_config_selectorIsEEZZNS1_9scan_implILNS1_25lookback_scan_determinismE0ELb1ELb1ES3_N6thrust23THRUST_200600_302600_NS6detail15normal_iteratorINS9_10device_ptrIsEEEENS9_16discard_iteratorINS9_11use_defaultEEEs11max_functorIsEsEEDaPvRmT3_T4_T5_mT6_P12ihipStream_tbENKUlT_T0_E_clISt17integral_constantIbLb1EESX_EEDaSS_ST_EUlSS_E0_NS1_11comp_targetILNS1_3genE4ELNS1_11target_archE910ELNS1_3gpuE8ELNS1_3repE0EEENS1_30default_config_static_selectorELNS0_4arch9wavefront6targetE1EEEvT1_,comdat
.Lfunc_end4099:
	.size	_ZN7rocprim17ROCPRIM_400000_NS6detail17trampoline_kernelINS0_14default_configENS1_20scan_config_selectorIsEEZZNS1_9scan_implILNS1_25lookback_scan_determinismE0ELb1ELb1ES3_N6thrust23THRUST_200600_302600_NS6detail15normal_iteratorINS9_10device_ptrIsEEEENS9_16discard_iteratorINS9_11use_defaultEEEs11max_functorIsEsEEDaPvRmT3_T4_T5_mT6_P12ihipStream_tbENKUlT_T0_E_clISt17integral_constantIbLb1EESX_EEDaSS_ST_EUlSS_E0_NS1_11comp_targetILNS1_3genE4ELNS1_11target_archE910ELNS1_3gpuE8ELNS1_3repE0EEENS1_30default_config_static_selectorELNS0_4arch9wavefront6targetE1EEEvT1_, .Lfunc_end4099-_ZN7rocprim17ROCPRIM_400000_NS6detail17trampoline_kernelINS0_14default_configENS1_20scan_config_selectorIsEEZZNS1_9scan_implILNS1_25lookback_scan_determinismE0ELb1ELb1ES3_N6thrust23THRUST_200600_302600_NS6detail15normal_iteratorINS9_10device_ptrIsEEEENS9_16discard_iteratorINS9_11use_defaultEEEs11max_functorIsEsEEDaPvRmT3_T4_T5_mT6_P12ihipStream_tbENKUlT_T0_E_clISt17integral_constantIbLb1EESX_EEDaSS_ST_EUlSS_E0_NS1_11comp_targetILNS1_3genE4ELNS1_11target_archE910ELNS1_3gpuE8ELNS1_3repE0EEENS1_30default_config_static_selectorELNS0_4arch9wavefront6targetE1EEEvT1_
                                        ; -- End function
	.section	.AMDGPU.csdata,"",@progbits
; Kernel info:
; codeLenInByte = 1820
; NumSgprs: 12
; NumVgprs: 29
; NumAgprs: 0
; TotalNumVgprs: 29
; ScratchSize: 0
; MemoryBound: 0
; FloatMode: 240
; IeeeMode: 1
; LDSByteSize: 3072 bytes/workgroup (compile time only)
; SGPRBlocks: 1
; VGPRBlocks: 3
; NumSGPRsForWavesPerEU: 12
; NumVGPRsForWavesPerEU: 29
; AccumOffset: 32
; Occupancy: 6
; WaveLimiterHint : 0
; COMPUTE_PGM_RSRC2:SCRATCH_EN: 0
; COMPUTE_PGM_RSRC2:USER_SGPR: 6
; COMPUTE_PGM_RSRC2:TRAP_HANDLER: 0
; COMPUTE_PGM_RSRC2:TGID_X_EN: 1
; COMPUTE_PGM_RSRC2:TGID_Y_EN: 0
; COMPUTE_PGM_RSRC2:TGID_Z_EN: 0
; COMPUTE_PGM_RSRC2:TIDIG_COMP_CNT: 0
; COMPUTE_PGM_RSRC3_GFX90A:ACCUM_OFFSET: 7
; COMPUTE_PGM_RSRC3_GFX90A:TG_SPLIT: 0
	.section	.text._ZN7rocprim17ROCPRIM_400000_NS6detail17trampoline_kernelINS0_14default_configENS1_20scan_config_selectorIsEEZZNS1_9scan_implILNS1_25lookback_scan_determinismE0ELb1ELb1ES3_N6thrust23THRUST_200600_302600_NS6detail15normal_iteratorINS9_10device_ptrIsEEEENS9_16discard_iteratorINS9_11use_defaultEEEs11max_functorIsEsEEDaPvRmT3_T4_T5_mT6_P12ihipStream_tbENKUlT_T0_E_clISt17integral_constantIbLb1EESX_EEDaSS_ST_EUlSS_E0_NS1_11comp_targetILNS1_3genE3ELNS1_11target_archE908ELNS1_3gpuE7ELNS1_3repE0EEENS1_30default_config_static_selectorELNS0_4arch9wavefront6targetE1EEEvT1_,"axG",@progbits,_ZN7rocprim17ROCPRIM_400000_NS6detail17trampoline_kernelINS0_14default_configENS1_20scan_config_selectorIsEEZZNS1_9scan_implILNS1_25lookback_scan_determinismE0ELb1ELb1ES3_N6thrust23THRUST_200600_302600_NS6detail15normal_iteratorINS9_10device_ptrIsEEEENS9_16discard_iteratorINS9_11use_defaultEEEs11max_functorIsEsEEDaPvRmT3_T4_T5_mT6_P12ihipStream_tbENKUlT_T0_E_clISt17integral_constantIbLb1EESX_EEDaSS_ST_EUlSS_E0_NS1_11comp_targetILNS1_3genE3ELNS1_11target_archE908ELNS1_3gpuE7ELNS1_3repE0EEENS1_30default_config_static_selectorELNS0_4arch9wavefront6targetE1EEEvT1_,comdat
	.protected	_ZN7rocprim17ROCPRIM_400000_NS6detail17trampoline_kernelINS0_14default_configENS1_20scan_config_selectorIsEEZZNS1_9scan_implILNS1_25lookback_scan_determinismE0ELb1ELb1ES3_N6thrust23THRUST_200600_302600_NS6detail15normal_iteratorINS9_10device_ptrIsEEEENS9_16discard_iteratorINS9_11use_defaultEEEs11max_functorIsEsEEDaPvRmT3_T4_T5_mT6_P12ihipStream_tbENKUlT_T0_E_clISt17integral_constantIbLb1EESX_EEDaSS_ST_EUlSS_E0_NS1_11comp_targetILNS1_3genE3ELNS1_11target_archE908ELNS1_3gpuE7ELNS1_3repE0EEENS1_30default_config_static_selectorELNS0_4arch9wavefront6targetE1EEEvT1_ ; -- Begin function _ZN7rocprim17ROCPRIM_400000_NS6detail17trampoline_kernelINS0_14default_configENS1_20scan_config_selectorIsEEZZNS1_9scan_implILNS1_25lookback_scan_determinismE0ELb1ELb1ES3_N6thrust23THRUST_200600_302600_NS6detail15normal_iteratorINS9_10device_ptrIsEEEENS9_16discard_iteratorINS9_11use_defaultEEEs11max_functorIsEsEEDaPvRmT3_T4_T5_mT6_P12ihipStream_tbENKUlT_T0_E_clISt17integral_constantIbLb1EESX_EEDaSS_ST_EUlSS_E0_NS1_11comp_targetILNS1_3genE3ELNS1_11target_archE908ELNS1_3gpuE7ELNS1_3repE0EEENS1_30default_config_static_selectorELNS0_4arch9wavefront6targetE1EEEvT1_
	.globl	_ZN7rocprim17ROCPRIM_400000_NS6detail17trampoline_kernelINS0_14default_configENS1_20scan_config_selectorIsEEZZNS1_9scan_implILNS1_25lookback_scan_determinismE0ELb1ELb1ES3_N6thrust23THRUST_200600_302600_NS6detail15normal_iteratorINS9_10device_ptrIsEEEENS9_16discard_iteratorINS9_11use_defaultEEEs11max_functorIsEsEEDaPvRmT3_T4_T5_mT6_P12ihipStream_tbENKUlT_T0_E_clISt17integral_constantIbLb1EESX_EEDaSS_ST_EUlSS_E0_NS1_11comp_targetILNS1_3genE3ELNS1_11target_archE908ELNS1_3gpuE7ELNS1_3repE0EEENS1_30default_config_static_selectorELNS0_4arch9wavefront6targetE1EEEvT1_
	.p2align	8
	.type	_ZN7rocprim17ROCPRIM_400000_NS6detail17trampoline_kernelINS0_14default_configENS1_20scan_config_selectorIsEEZZNS1_9scan_implILNS1_25lookback_scan_determinismE0ELb1ELb1ES3_N6thrust23THRUST_200600_302600_NS6detail15normal_iteratorINS9_10device_ptrIsEEEENS9_16discard_iteratorINS9_11use_defaultEEEs11max_functorIsEsEEDaPvRmT3_T4_T5_mT6_P12ihipStream_tbENKUlT_T0_E_clISt17integral_constantIbLb1EESX_EEDaSS_ST_EUlSS_E0_NS1_11comp_targetILNS1_3genE3ELNS1_11target_archE908ELNS1_3gpuE7ELNS1_3repE0EEENS1_30default_config_static_selectorELNS0_4arch9wavefront6targetE1EEEvT1_,@function
_ZN7rocprim17ROCPRIM_400000_NS6detail17trampoline_kernelINS0_14default_configENS1_20scan_config_selectorIsEEZZNS1_9scan_implILNS1_25lookback_scan_determinismE0ELb1ELb1ES3_N6thrust23THRUST_200600_302600_NS6detail15normal_iteratorINS9_10device_ptrIsEEEENS9_16discard_iteratorINS9_11use_defaultEEEs11max_functorIsEsEEDaPvRmT3_T4_T5_mT6_P12ihipStream_tbENKUlT_T0_E_clISt17integral_constantIbLb1EESX_EEDaSS_ST_EUlSS_E0_NS1_11comp_targetILNS1_3genE3ELNS1_11target_archE908ELNS1_3gpuE7ELNS1_3repE0EEENS1_30default_config_static_selectorELNS0_4arch9wavefront6targetE1EEEvT1_: ; @_ZN7rocprim17ROCPRIM_400000_NS6detail17trampoline_kernelINS0_14default_configENS1_20scan_config_selectorIsEEZZNS1_9scan_implILNS1_25lookback_scan_determinismE0ELb1ELb1ES3_N6thrust23THRUST_200600_302600_NS6detail15normal_iteratorINS9_10device_ptrIsEEEENS9_16discard_iteratorINS9_11use_defaultEEEs11max_functorIsEsEEDaPvRmT3_T4_T5_mT6_P12ihipStream_tbENKUlT_T0_E_clISt17integral_constantIbLb1EESX_EEDaSS_ST_EUlSS_E0_NS1_11comp_targetILNS1_3genE3ELNS1_11target_archE908ELNS1_3gpuE7ELNS1_3repE0EEENS1_30default_config_static_selectorELNS0_4arch9wavefront6targetE1EEEvT1_
; %bb.0:
	.section	.rodata,"a",@progbits
	.p2align	6, 0x0
	.amdhsa_kernel _ZN7rocprim17ROCPRIM_400000_NS6detail17trampoline_kernelINS0_14default_configENS1_20scan_config_selectorIsEEZZNS1_9scan_implILNS1_25lookback_scan_determinismE0ELb1ELb1ES3_N6thrust23THRUST_200600_302600_NS6detail15normal_iteratorINS9_10device_ptrIsEEEENS9_16discard_iteratorINS9_11use_defaultEEEs11max_functorIsEsEEDaPvRmT3_T4_T5_mT6_P12ihipStream_tbENKUlT_T0_E_clISt17integral_constantIbLb1EESX_EEDaSS_ST_EUlSS_E0_NS1_11comp_targetILNS1_3genE3ELNS1_11target_archE908ELNS1_3gpuE7ELNS1_3repE0EEENS1_30default_config_static_selectorELNS0_4arch9wavefront6targetE1EEEvT1_
		.amdhsa_group_segment_fixed_size 0
		.amdhsa_private_segment_fixed_size 0
		.amdhsa_kernarg_size 40
		.amdhsa_user_sgpr_count 6
		.amdhsa_user_sgpr_private_segment_buffer 1
		.amdhsa_user_sgpr_dispatch_ptr 0
		.amdhsa_user_sgpr_queue_ptr 0
		.amdhsa_user_sgpr_kernarg_segment_ptr 1
		.amdhsa_user_sgpr_dispatch_id 0
		.amdhsa_user_sgpr_flat_scratch_init 0
		.amdhsa_user_sgpr_kernarg_preload_length 0
		.amdhsa_user_sgpr_kernarg_preload_offset 0
		.amdhsa_user_sgpr_private_segment_size 0
		.amdhsa_uses_dynamic_stack 0
		.amdhsa_system_sgpr_private_segment_wavefront_offset 0
		.amdhsa_system_sgpr_workgroup_id_x 1
		.amdhsa_system_sgpr_workgroup_id_y 0
		.amdhsa_system_sgpr_workgroup_id_z 0
		.amdhsa_system_sgpr_workgroup_info 0
		.amdhsa_system_vgpr_workitem_id 0
		.amdhsa_next_free_vgpr 1
		.amdhsa_next_free_sgpr 0
		.amdhsa_accum_offset 4
		.amdhsa_reserve_vcc 0
		.amdhsa_reserve_flat_scratch 0
		.amdhsa_float_round_mode_32 0
		.amdhsa_float_round_mode_16_64 0
		.amdhsa_float_denorm_mode_32 3
		.amdhsa_float_denorm_mode_16_64 3
		.amdhsa_dx10_clamp 1
		.amdhsa_ieee_mode 1
		.amdhsa_fp16_overflow 0
		.amdhsa_tg_split 0
		.amdhsa_exception_fp_ieee_invalid_op 0
		.amdhsa_exception_fp_denorm_src 0
		.amdhsa_exception_fp_ieee_div_zero 0
		.amdhsa_exception_fp_ieee_overflow 0
		.amdhsa_exception_fp_ieee_underflow 0
		.amdhsa_exception_fp_ieee_inexact 0
		.amdhsa_exception_int_div_zero 0
	.end_amdhsa_kernel
	.section	.text._ZN7rocprim17ROCPRIM_400000_NS6detail17trampoline_kernelINS0_14default_configENS1_20scan_config_selectorIsEEZZNS1_9scan_implILNS1_25lookback_scan_determinismE0ELb1ELb1ES3_N6thrust23THRUST_200600_302600_NS6detail15normal_iteratorINS9_10device_ptrIsEEEENS9_16discard_iteratorINS9_11use_defaultEEEs11max_functorIsEsEEDaPvRmT3_T4_T5_mT6_P12ihipStream_tbENKUlT_T0_E_clISt17integral_constantIbLb1EESX_EEDaSS_ST_EUlSS_E0_NS1_11comp_targetILNS1_3genE3ELNS1_11target_archE908ELNS1_3gpuE7ELNS1_3repE0EEENS1_30default_config_static_selectorELNS0_4arch9wavefront6targetE1EEEvT1_,"axG",@progbits,_ZN7rocprim17ROCPRIM_400000_NS6detail17trampoline_kernelINS0_14default_configENS1_20scan_config_selectorIsEEZZNS1_9scan_implILNS1_25lookback_scan_determinismE0ELb1ELb1ES3_N6thrust23THRUST_200600_302600_NS6detail15normal_iteratorINS9_10device_ptrIsEEEENS9_16discard_iteratorINS9_11use_defaultEEEs11max_functorIsEsEEDaPvRmT3_T4_T5_mT6_P12ihipStream_tbENKUlT_T0_E_clISt17integral_constantIbLb1EESX_EEDaSS_ST_EUlSS_E0_NS1_11comp_targetILNS1_3genE3ELNS1_11target_archE908ELNS1_3gpuE7ELNS1_3repE0EEENS1_30default_config_static_selectorELNS0_4arch9wavefront6targetE1EEEvT1_,comdat
.Lfunc_end4100:
	.size	_ZN7rocprim17ROCPRIM_400000_NS6detail17trampoline_kernelINS0_14default_configENS1_20scan_config_selectorIsEEZZNS1_9scan_implILNS1_25lookback_scan_determinismE0ELb1ELb1ES3_N6thrust23THRUST_200600_302600_NS6detail15normal_iteratorINS9_10device_ptrIsEEEENS9_16discard_iteratorINS9_11use_defaultEEEs11max_functorIsEsEEDaPvRmT3_T4_T5_mT6_P12ihipStream_tbENKUlT_T0_E_clISt17integral_constantIbLb1EESX_EEDaSS_ST_EUlSS_E0_NS1_11comp_targetILNS1_3genE3ELNS1_11target_archE908ELNS1_3gpuE7ELNS1_3repE0EEENS1_30default_config_static_selectorELNS0_4arch9wavefront6targetE1EEEvT1_, .Lfunc_end4100-_ZN7rocprim17ROCPRIM_400000_NS6detail17trampoline_kernelINS0_14default_configENS1_20scan_config_selectorIsEEZZNS1_9scan_implILNS1_25lookback_scan_determinismE0ELb1ELb1ES3_N6thrust23THRUST_200600_302600_NS6detail15normal_iteratorINS9_10device_ptrIsEEEENS9_16discard_iteratorINS9_11use_defaultEEEs11max_functorIsEsEEDaPvRmT3_T4_T5_mT6_P12ihipStream_tbENKUlT_T0_E_clISt17integral_constantIbLb1EESX_EEDaSS_ST_EUlSS_E0_NS1_11comp_targetILNS1_3genE3ELNS1_11target_archE908ELNS1_3gpuE7ELNS1_3repE0EEENS1_30default_config_static_selectorELNS0_4arch9wavefront6targetE1EEEvT1_
                                        ; -- End function
	.section	.AMDGPU.csdata,"",@progbits
; Kernel info:
; codeLenInByte = 0
; NumSgprs: 4
; NumVgprs: 0
; NumAgprs: 0
; TotalNumVgprs: 0
; ScratchSize: 0
; MemoryBound: 0
; FloatMode: 240
; IeeeMode: 1
; LDSByteSize: 0 bytes/workgroup (compile time only)
; SGPRBlocks: 0
; VGPRBlocks: 0
; NumSGPRsForWavesPerEU: 4
; NumVGPRsForWavesPerEU: 1
; AccumOffset: 4
; Occupancy: 8
; WaveLimiterHint : 0
; COMPUTE_PGM_RSRC2:SCRATCH_EN: 0
; COMPUTE_PGM_RSRC2:USER_SGPR: 6
; COMPUTE_PGM_RSRC2:TRAP_HANDLER: 0
; COMPUTE_PGM_RSRC2:TGID_X_EN: 1
; COMPUTE_PGM_RSRC2:TGID_Y_EN: 0
; COMPUTE_PGM_RSRC2:TGID_Z_EN: 0
; COMPUTE_PGM_RSRC2:TIDIG_COMP_CNT: 0
; COMPUTE_PGM_RSRC3_GFX90A:ACCUM_OFFSET: 0
; COMPUTE_PGM_RSRC3_GFX90A:TG_SPLIT: 0
	.section	.text._ZN7rocprim17ROCPRIM_400000_NS6detail17trampoline_kernelINS0_14default_configENS1_20scan_config_selectorIsEEZZNS1_9scan_implILNS1_25lookback_scan_determinismE0ELb1ELb1ES3_N6thrust23THRUST_200600_302600_NS6detail15normal_iteratorINS9_10device_ptrIsEEEENS9_16discard_iteratorINS9_11use_defaultEEEs11max_functorIsEsEEDaPvRmT3_T4_T5_mT6_P12ihipStream_tbENKUlT_T0_E_clISt17integral_constantIbLb1EESX_EEDaSS_ST_EUlSS_E0_NS1_11comp_targetILNS1_3genE2ELNS1_11target_archE906ELNS1_3gpuE6ELNS1_3repE0EEENS1_30default_config_static_selectorELNS0_4arch9wavefront6targetE1EEEvT1_,"axG",@progbits,_ZN7rocprim17ROCPRIM_400000_NS6detail17trampoline_kernelINS0_14default_configENS1_20scan_config_selectorIsEEZZNS1_9scan_implILNS1_25lookback_scan_determinismE0ELb1ELb1ES3_N6thrust23THRUST_200600_302600_NS6detail15normal_iteratorINS9_10device_ptrIsEEEENS9_16discard_iteratorINS9_11use_defaultEEEs11max_functorIsEsEEDaPvRmT3_T4_T5_mT6_P12ihipStream_tbENKUlT_T0_E_clISt17integral_constantIbLb1EESX_EEDaSS_ST_EUlSS_E0_NS1_11comp_targetILNS1_3genE2ELNS1_11target_archE906ELNS1_3gpuE6ELNS1_3repE0EEENS1_30default_config_static_selectorELNS0_4arch9wavefront6targetE1EEEvT1_,comdat
	.protected	_ZN7rocprim17ROCPRIM_400000_NS6detail17trampoline_kernelINS0_14default_configENS1_20scan_config_selectorIsEEZZNS1_9scan_implILNS1_25lookback_scan_determinismE0ELb1ELb1ES3_N6thrust23THRUST_200600_302600_NS6detail15normal_iteratorINS9_10device_ptrIsEEEENS9_16discard_iteratorINS9_11use_defaultEEEs11max_functorIsEsEEDaPvRmT3_T4_T5_mT6_P12ihipStream_tbENKUlT_T0_E_clISt17integral_constantIbLb1EESX_EEDaSS_ST_EUlSS_E0_NS1_11comp_targetILNS1_3genE2ELNS1_11target_archE906ELNS1_3gpuE6ELNS1_3repE0EEENS1_30default_config_static_selectorELNS0_4arch9wavefront6targetE1EEEvT1_ ; -- Begin function _ZN7rocprim17ROCPRIM_400000_NS6detail17trampoline_kernelINS0_14default_configENS1_20scan_config_selectorIsEEZZNS1_9scan_implILNS1_25lookback_scan_determinismE0ELb1ELb1ES3_N6thrust23THRUST_200600_302600_NS6detail15normal_iteratorINS9_10device_ptrIsEEEENS9_16discard_iteratorINS9_11use_defaultEEEs11max_functorIsEsEEDaPvRmT3_T4_T5_mT6_P12ihipStream_tbENKUlT_T0_E_clISt17integral_constantIbLb1EESX_EEDaSS_ST_EUlSS_E0_NS1_11comp_targetILNS1_3genE2ELNS1_11target_archE906ELNS1_3gpuE6ELNS1_3repE0EEENS1_30default_config_static_selectorELNS0_4arch9wavefront6targetE1EEEvT1_
	.globl	_ZN7rocprim17ROCPRIM_400000_NS6detail17trampoline_kernelINS0_14default_configENS1_20scan_config_selectorIsEEZZNS1_9scan_implILNS1_25lookback_scan_determinismE0ELb1ELb1ES3_N6thrust23THRUST_200600_302600_NS6detail15normal_iteratorINS9_10device_ptrIsEEEENS9_16discard_iteratorINS9_11use_defaultEEEs11max_functorIsEsEEDaPvRmT3_T4_T5_mT6_P12ihipStream_tbENKUlT_T0_E_clISt17integral_constantIbLb1EESX_EEDaSS_ST_EUlSS_E0_NS1_11comp_targetILNS1_3genE2ELNS1_11target_archE906ELNS1_3gpuE6ELNS1_3repE0EEENS1_30default_config_static_selectorELNS0_4arch9wavefront6targetE1EEEvT1_
	.p2align	8
	.type	_ZN7rocprim17ROCPRIM_400000_NS6detail17trampoline_kernelINS0_14default_configENS1_20scan_config_selectorIsEEZZNS1_9scan_implILNS1_25lookback_scan_determinismE0ELb1ELb1ES3_N6thrust23THRUST_200600_302600_NS6detail15normal_iteratorINS9_10device_ptrIsEEEENS9_16discard_iteratorINS9_11use_defaultEEEs11max_functorIsEsEEDaPvRmT3_T4_T5_mT6_P12ihipStream_tbENKUlT_T0_E_clISt17integral_constantIbLb1EESX_EEDaSS_ST_EUlSS_E0_NS1_11comp_targetILNS1_3genE2ELNS1_11target_archE906ELNS1_3gpuE6ELNS1_3repE0EEENS1_30default_config_static_selectorELNS0_4arch9wavefront6targetE1EEEvT1_,@function
_ZN7rocprim17ROCPRIM_400000_NS6detail17trampoline_kernelINS0_14default_configENS1_20scan_config_selectorIsEEZZNS1_9scan_implILNS1_25lookback_scan_determinismE0ELb1ELb1ES3_N6thrust23THRUST_200600_302600_NS6detail15normal_iteratorINS9_10device_ptrIsEEEENS9_16discard_iteratorINS9_11use_defaultEEEs11max_functorIsEsEEDaPvRmT3_T4_T5_mT6_P12ihipStream_tbENKUlT_T0_E_clISt17integral_constantIbLb1EESX_EEDaSS_ST_EUlSS_E0_NS1_11comp_targetILNS1_3genE2ELNS1_11target_archE906ELNS1_3gpuE6ELNS1_3repE0EEENS1_30default_config_static_selectorELNS0_4arch9wavefront6targetE1EEEvT1_: ; @_ZN7rocprim17ROCPRIM_400000_NS6detail17trampoline_kernelINS0_14default_configENS1_20scan_config_selectorIsEEZZNS1_9scan_implILNS1_25lookback_scan_determinismE0ELb1ELb1ES3_N6thrust23THRUST_200600_302600_NS6detail15normal_iteratorINS9_10device_ptrIsEEEENS9_16discard_iteratorINS9_11use_defaultEEEs11max_functorIsEsEEDaPvRmT3_T4_T5_mT6_P12ihipStream_tbENKUlT_T0_E_clISt17integral_constantIbLb1EESX_EEDaSS_ST_EUlSS_E0_NS1_11comp_targetILNS1_3genE2ELNS1_11target_archE906ELNS1_3gpuE6ELNS1_3repE0EEENS1_30default_config_static_selectorELNS0_4arch9wavefront6targetE1EEEvT1_
; %bb.0:
	.section	.rodata,"a",@progbits
	.p2align	6, 0x0
	.amdhsa_kernel _ZN7rocprim17ROCPRIM_400000_NS6detail17trampoline_kernelINS0_14default_configENS1_20scan_config_selectorIsEEZZNS1_9scan_implILNS1_25lookback_scan_determinismE0ELb1ELb1ES3_N6thrust23THRUST_200600_302600_NS6detail15normal_iteratorINS9_10device_ptrIsEEEENS9_16discard_iteratorINS9_11use_defaultEEEs11max_functorIsEsEEDaPvRmT3_T4_T5_mT6_P12ihipStream_tbENKUlT_T0_E_clISt17integral_constantIbLb1EESX_EEDaSS_ST_EUlSS_E0_NS1_11comp_targetILNS1_3genE2ELNS1_11target_archE906ELNS1_3gpuE6ELNS1_3repE0EEENS1_30default_config_static_selectorELNS0_4arch9wavefront6targetE1EEEvT1_
		.amdhsa_group_segment_fixed_size 0
		.amdhsa_private_segment_fixed_size 0
		.amdhsa_kernarg_size 40
		.amdhsa_user_sgpr_count 6
		.amdhsa_user_sgpr_private_segment_buffer 1
		.amdhsa_user_sgpr_dispatch_ptr 0
		.amdhsa_user_sgpr_queue_ptr 0
		.amdhsa_user_sgpr_kernarg_segment_ptr 1
		.amdhsa_user_sgpr_dispatch_id 0
		.amdhsa_user_sgpr_flat_scratch_init 0
		.amdhsa_user_sgpr_kernarg_preload_length 0
		.amdhsa_user_sgpr_kernarg_preload_offset 0
		.amdhsa_user_sgpr_private_segment_size 0
		.amdhsa_uses_dynamic_stack 0
		.amdhsa_system_sgpr_private_segment_wavefront_offset 0
		.amdhsa_system_sgpr_workgroup_id_x 1
		.amdhsa_system_sgpr_workgroup_id_y 0
		.amdhsa_system_sgpr_workgroup_id_z 0
		.amdhsa_system_sgpr_workgroup_info 0
		.amdhsa_system_vgpr_workitem_id 0
		.amdhsa_next_free_vgpr 1
		.amdhsa_next_free_sgpr 0
		.amdhsa_accum_offset 4
		.amdhsa_reserve_vcc 0
		.amdhsa_reserve_flat_scratch 0
		.amdhsa_float_round_mode_32 0
		.amdhsa_float_round_mode_16_64 0
		.amdhsa_float_denorm_mode_32 3
		.amdhsa_float_denorm_mode_16_64 3
		.amdhsa_dx10_clamp 1
		.amdhsa_ieee_mode 1
		.amdhsa_fp16_overflow 0
		.amdhsa_tg_split 0
		.amdhsa_exception_fp_ieee_invalid_op 0
		.amdhsa_exception_fp_denorm_src 0
		.amdhsa_exception_fp_ieee_div_zero 0
		.amdhsa_exception_fp_ieee_overflow 0
		.amdhsa_exception_fp_ieee_underflow 0
		.amdhsa_exception_fp_ieee_inexact 0
		.amdhsa_exception_int_div_zero 0
	.end_amdhsa_kernel
	.section	.text._ZN7rocprim17ROCPRIM_400000_NS6detail17trampoline_kernelINS0_14default_configENS1_20scan_config_selectorIsEEZZNS1_9scan_implILNS1_25lookback_scan_determinismE0ELb1ELb1ES3_N6thrust23THRUST_200600_302600_NS6detail15normal_iteratorINS9_10device_ptrIsEEEENS9_16discard_iteratorINS9_11use_defaultEEEs11max_functorIsEsEEDaPvRmT3_T4_T5_mT6_P12ihipStream_tbENKUlT_T0_E_clISt17integral_constantIbLb1EESX_EEDaSS_ST_EUlSS_E0_NS1_11comp_targetILNS1_3genE2ELNS1_11target_archE906ELNS1_3gpuE6ELNS1_3repE0EEENS1_30default_config_static_selectorELNS0_4arch9wavefront6targetE1EEEvT1_,"axG",@progbits,_ZN7rocprim17ROCPRIM_400000_NS6detail17trampoline_kernelINS0_14default_configENS1_20scan_config_selectorIsEEZZNS1_9scan_implILNS1_25lookback_scan_determinismE0ELb1ELb1ES3_N6thrust23THRUST_200600_302600_NS6detail15normal_iteratorINS9_10device_ptrIsEEEENS9_16discard_iteratorINS9_11use_defaultEEEs11max_functorIsEsEEDaPvRmT3_T4_T5_mT6_P12ihipStream_tbENKUlT_T0_E_clISt17integral_constantIbLb1EESX_EEDaSS_ST_EUlSS_E0_NS1_11comp_targetILNS1_3genE2ELNS1_11target_archE906ELNS1_3gpuE6ELNS1_3repE0EEENS1_30default_config_static_selectorELNS0_4arch9wavefront6targetE1EEEvT1_,comdat
.Lfunc_end4101:
	.size	_ZN7rocprim17ROCPRIM_400000_NS6detail17trampoline_kernelINS0_14default_configENS1_20scan_config_selectorIsEEZZNS1_9scan_implILNS1_25lookback_scan_determinismE0ELb1ELb1ES3_N6thrust23THRUST_200600_302600_NS6detail15normal_iteratorINS9_10device_ptrIsEEEENS9_16discard_iteratorINS9_11use_defaultEEEs11max_functorIsEsEEDaPvRmT3_T4_T5_mT6_P12ihipStream_tbENKUlT_T0_E_clISt17integral_constantIbLb1EESX_EEDaSS_ST_EUlSS_E0_NS1_11comp_targetILNS1_3genE2ELNS1_11target_archE906ELNS1_3gpuE6ELNS1_3repE0EEENS1_30default_config_static_selectorELNS0_4arch9wavefront6targetE1EEEvT1_, .Lfunc_end4101-_ZN7rocprim17ROCPRIM_400000_NS6detail17trampoline_kernelINS0_14default_configENS1_20scan_config_selectorIsEEZZNS1_9scan_implILNS1_25lookback_scan_determinismE0ELb1ELb1ES3_N6thrust23THRUST_200600_302600_NS6detail15normal_iteratorINS9_10device_ptrIsEEEENS9_16discard_iteratorINS9_11use_defaultEEEs11max_functorIsEsEEDaPvRmT3_T4_T5_mT6_P12ihipStream_tbENKUlT_T0_E_clISt17integral_constantIbLb1EESX_EEDaSS_ST_EUlSS_E0_NS1_11comp_targetILNS1_3genE2ELNS1_11target_archE906ELNS1_3gpuE6ELNS1_3repE0EEENS1_30default_config_static_selectorELNS0_4arch9wavefront6targetE1EEEvT1_
                                        ; -- End function
	.section	.AMDGPU.csdata,"",@progbits
; Kernel info:
; codeLenInByte = 0
; NumSgprs: 4
; NumVgprs: 0
; NumAgprs: 0
; TotalNumVgprs: 0
; ScratchSize: 0
; MemoryBound: 0
; FloatMode: 240
; IeeeMode: 1
; LDSByteSize: 0 bytes/workgroup (compile time only)
; SGPRBlocks: 0
; VGPRBlocks: 0
; NumSGPRsForWavesPerEU: 4
; NumVGPRsForWavesPerEU: 1
; AccumOffset: 4
; Occupancy: 8
; WaveLimiterHint : 0
; COMPUTE_PGM_RSRC2:SCRATCH_EN: 0
; COMPUTE_PGM_RSRC2:USER_SGPR: 6
; COMPUTE_PGM_RSRC2:TRAP_HANDLER: 0
; COMPUTE_PGM_RSRC2:TGID_X_EN: 1
; COMPUTE_PGM_RSRC2:TGID_Y_EN: 0
; COMPUTE_PGM_RSRC2:TGID_Z_EN: 0
; COMPUTE_PGM_RSRC2:TIDIG_COMP_CNT: 0
; COMPUTE_PGM_RSRC3_GFX90A:ACCUM_OFFSET: 0
; COMPUTE_PGM_RSRC3_GFX90A:TG_SPLIT: 0
	.section	.text._ZN7rocprim17ROCPRIM_400000_NS6detail17trampoline_kernelINS0_14default_configENS1_20scan_config_selectorIsEEZZNS1_9scan_implILNS1_25lookback_scan_determinismE0ELb1ELb1ES3_N6thrust23THRUST_200600_302600_NS6detail15normal_iteratorINS9_10device_ptrIsEEEENS9_16discard_iteratorINS9_11use_defaultEEEs11max_functorIsEsEEDaPvRmT3_T4_T5_mT6_P12ihipStream_tbENKUlT_T0_E_clISt17integral_constantIbLb1EESX_EEDaSS_ST_EUlSS_E0_NS1_11comp_targetILNS1_3genE10ELNS1_11target_archE1201ELNS1_3gpuE5ELNS1_3repE0EEENS1_30default_config_static_selectorELNS0_4arch9wavefront6targetE1EEEvT1_,"axG",@progbits,_ZN7rocprim17ROCPRIM_400000_NS6detail17trampoline_kernelINS0_14default_configENS1_20scan_config_selectorIsEEZZNS1_9scan_implILNS1_25lookback_scan_determinismE0ELb1ELb1ES3_N6thrust23THRUST_200600_302600_NS6detail15normal_iteratorINS9_10device_ptrIsEEEENS9_16discard_iteratorINS9_11use_defaultEEEs11max_functorIsEsEEDaPvRmT3_T4_T5_mT6_P12ihipStream_tbENKUlT_T0_E_clISt17integral_constantIbLb1EESX_EEDaSS_ST_EUlSS_E0_NS1_11comp_targetILNS1_3genE10ELNS1_11target_archE1201ELNS1_3gpuE5ELNS1_3repE0EEENS1_30default_config_static_selectorELNS0_4arch9wavefront6targetE1EEEvT1_,comdat
	.protected	_ZN7rocprim17ROCPRIM_400000_NS6detail17trampoline_kernelINS0_14default_configENS1_20scan_config_selectorIsEEZZNS1_9scan_implILNS1_25lookback_scan_determinismE0ELb1ELb1ES3_N6thrust23THRUST_200600_302600_NS6detail15normal_iteratorINS9_10device_ptrIsEEEENS9_16discard_iteratorINS9_11use_defaultEEEs11max_functorIsEsEEDaPvRmT3_T4_T5_mT6_P12ihipStream_tbENKUlT_T0_E_clISt17integral_constantIbLb1EESX_EEDaSS_ST_EUlSS_E0_NS1_11comp_targetILNS1_3genE10ELNS1_11target_archE1201ELNS1_3gpuE5ELNS1_3repE0EEENS1_30default_config_static_selectorELNS0_4arch9wavefront6targetE1EEEvT1_ ; -- Begin function _ZN7rocprim17ROCPRIM_400000_NS6detail17trampoline_kernelINS0_14default_configENS1_20scan_config_selectorIsEEZZNS1_9scan_implILNS1_25lookback_scan_determinismE0ELb1ELb1ES3_N6thrust23THRUST_200600_302600_NS6detail15normal_iteratorINS9_10device_ptrIsEEEENS9_16discard_iteratorINS9_11use_defaultEEEs11max_functorIsEsEEDaPvRmT3_T4_T5_mT6_P12ihipStream_tbENKUlT_T0_E_clISt17integral_constantIbLb1EESX_EEDaSS_ST_EUlSS_E0_NS1_11comp_targetILNS1_3genE10ELNS1_11target_archE1201ELNS1_3gpuE5ELNS1_3repE0EEENS1_30default_config_static_selectorELNS0_4arch9wavefront6targetE1EEEvT1_
	.globl	_ZN7rocprim17ROCPRIM_400000_NS6detail17trampoline_kernelINS0_14default_configENS1_20scan_config_selectorIsEEZZNS1_9scan_implILNS1_25lookback_scan_determinismE0ELb1ELb1ES3_N6thrust23THRUST_200600_302600_NS6detail15normal_iteratorINS9_10device_ptrIsEEEENS9_16discard_iteratorINS9_11use_defaultEEEs11max_functorIsEsEEDaPvRmT3_T4_T5_mT6_P12ihipStream_tbENKUlT_T0_E_clISt17integral_constantIbLb1EESX_EEDaSS_ST_EUlSS_E0_NS1_11comp_targetILNS1_3genE10ELNS1_11target_archE1201ELNS1_3gpuE5ELNS1_3repE0EEENS1_30default_config_static_selectorELNS0_4arch9wavefront6targetE1EEEvT1_
	.p2align	8
	.type	_ZN7rocprim17ROCPRIM_400000_NS6detail17trampoline_kernelINS0_14default_configENS1_20scan_config_selectorIsEEZZNS1_9scan_implILNS1_25lookback_scan_determinismE0ELb1ELb1ES3_N6thrust23THRUST_200600_302600_NS6detail15normal_iteratorINS9_10device_ptrIsEEEENS9_16discard_iteratorINS9_11use_defaultEEEs11max_functorIsEsEEDaPvRmT3_T4_T5_mT6_P12ihipStream_tbENKUlT_T0_E_clISt17integral_constantIbLb1EESX_EEDaSS_ST_EUlSS_E0_NS1_11comp_targetILNS1_3genE10ELNS1_11target_archE1201ELNS1_3gpuE5ELNS1_3repE0EEENS1_30default_config_static_selectorELNS0_4arch9wavefront6targetE1EEEvT1_,@function
_ZN7rocprim17ROCPRIM_400000_NS6detail17trampoline_kernelINS0_14default_configENS1_20scan_config_selectorIsEEZZNS1_9scan_implILNS1_25lookback_scan_determinismE0ELb1ELb1ES3_N6thrust23THRUST_200600_302600_NS6detail15normal_iteratorINS9_10device_ptrIsEEEENS9_16discard_iteratorINS9_11use_defaultEEEs11max_functorIsEsEEDaPvRmT3_T4_T5_mT6_P12ihipStream_tbENKUlT_T0_E_clISt17integral_constantIbLb1EESX_EEDaSS_ST_EUlSS_E0_NS1_11comp_targetILNS1_3genE10ELNS1_11target_archE1201ELNS1_3gpuE5ELNS1_3repE0EEENS1_30default_config_static_selectorELNS0_4arch9wavefront6targetE1EEEvT1_: ; @_ZN7rocprim17ROCPRIM_400000_NS6detail17trampoline_kernelINS0_14default_configENS1_20scan_config_selectorIsEEZZNS1_9scan_implILNS1_25lookback_scan_determinismE0ELb1ELb1ES3_N6thrust23THRUST_200600_302600_NS6detail15normal_iteratorINS9_10device_ptrIsEEEENS9_16discard_iteratorINS9_11use_defaultEEEs11max_functorIsEsEEDaPvRmT3_T4_T5_mT6_P12ihipStream_tbENKUlT_T0_E_clISt17integral_constantIbLb1EESX_EEDaSS_ST_EUlSS_E0_NS1_11comp_targetILNS1_3genE10ELNS1_11target_archE1201ELNS1_3gpuE5ELNS1_3repE0EEENS1_30default_config_static_selectorELNS0_4arch9wavefront6targetE1EEEvT1_
; %bb.0:
	.section	.rodata,"a",@progbits
	.p2align	6, 0x0
	.amdhsa_kernel _ZN7rocprim17ROCPRIM_400000_NS6detail17trampoline_kernelINS0_14default_configENS1_20scan_config_selectorIsEEZZNS1_9scan_implILNS1_25lookback_scan_determinismE0ELb1ELb1ES3_N6thrust23THRUST_200600_302600_NS6detail15normal_iteratorINS9_10device_ptrIsEEEENS9_16discard_iteratorINS9_11use_defaultEEEs11max_functorIsEsEEDaPvRmT3_T4_T5_mT6_P12ihipStream_tbENKUlT_T0_E_clISt17integral_constantIbLb1EESX_EEDaSS_ST_EUlSS_E0_NS1_11comp_targetILNS1_3genE10ELNS1_11target_archE1201ELNS1_3gpuE5ELNS1_3repE0EEENS1_30default_config_static_selectorELNS0_4arch9wavefront6targetE1EEEvT1_
		.amdhsa_group_segment_fixed_size 0
		.amdhsa_private_segment_fixed_size 0
		.amdhsa_kernarg_size 40
		.amdhsa_user_sgpr_count 6
		.amdhsa_user_sgpr_private_segment_buffer 1
		.amdhsa_user_sgpr_dispatch_ptr 0
		.amdhsa_user_sgpr_queue_ptr 0
		.amdhsa_user_sgpr_kernarg_segment_ptr 1
		.amdhsa_user_sgpr_dispatch_id 0
		.amdhsa_user_sgpr_flat_scratch_init 0
		.amdhsa_user_sgpr_kernarg_preload_length 0
		.amdhsa_user_sgpr_kernarg_preload_offset 0
		.amdhsa_user_sgpr_private_segment_size 0
		.amdhsa_uses_dynamic_stack 0
		.amdhsa_system_sgpr_private_segment_wavefront_offset 0
		.amdhsa_system_sgpr_workgroup_id_x 1
		.amdhsa_system_sgpr_workgroup_id_y 0
		.amdhsa_system_sgpr_workgroup_id_z 0
		.amdhsa_system_sgpr_workgroup_info 0
		.amdhsa_system_vgpr_workitem_id 0
		.amdhsa_next_free_vgpr 1
		.amdhsa_next_free_sgpr 0
		.amdhsa_accum_offset 4
		.amdhsa_reserve_vcc 0
		.amdhsa_reserve_flat_scratch 0
		.amdhsa_float_round_mode_32 0
		.amdhsa_float_round_mode_16_64 0
		.amdhsa_float_denorm_mode_32 3
		.amdhsa_float_denorm_mode_16_64 3
		.amdhsa_dx10_clamp 1
		.amdhsa_ieee_mode 1
		.amdhsa_fp16_overflow 0
		.amdhsa_tg_split 0
		.amdhsa_exception_fp_ieee_invalid_op 0
		.amdhsa_exception_fp_denorm_src 0
		.amdhsa_exception_fp_ieee_div_zero 0
		.amdhsa_exception_fp_ieee_overflow 0
		.amdhsa_exception_fp_ieee_underflow 0
		.amdhsa_exception_fp_ieee_inexact 0
		.amdhsa_exception_int_div_zero 0
	.end_amdhsa_kernel
	.section	.text._ZN7rocprim17ROCPRIM_400000_NS6detail17trampoline_kernelINS0_14default_configENS1_20scan_config_selectorIsEEZZNS1_9scan_implILNS1_25lookback_scan_determinismE0ELb1ELb1ES3_N6thrust23THRUST_200600_302600_NS6detail15normal_iteratorINS9_10device_ptrIsEEEENS9_16discard_iteratorINS9_11use_defaultEEEs11max_functorIsEsEEDaPvRmT3_T4_T5_mT6_P12ihipStream_tbENKUlT_T0_E_clISt17integral_constantIbLb1EESX_EEDaSS_ST_EUlSS_E0_NS1_11comp_targetILNS1_3genE10ELNS1_11target_archE1201ELNS1_3gpuE5ELNS1_3repE0EEENS1_30default_config_static_selectorELNS0_4arch9wavefront6targetE1EEEvT1_,"axG",@progbits,_ZN7rocprim17ROCPRIM_400000_NS6detail17trampoline_kernelINS0_14default_configENS1_20scan_config_selectorIsEEZZNS1_9scan_implILNS1_25lookback_scan_determinismE0ELb1ELb1ES3_N6thrust23THRUST_200600_302600_NS6detail15normal_iteratorINS9_10device_ptrIsEEEENS9_16discard_iteratorINS9_11use_defaultEEEs11max_functorIsEsEEDaPvRmT3_T4_T5_mT6_P12ihipStream_tbENKUlT_T0_E_clISt17integral_constantIbLb1EESX_EEDaSS_ST_EUlSS_E0_NS1_11comp_targetILNS1_3genE10ELNS1_11target_archE1201ELNS1_3gpuE5ELNS1_3repE0EEENS1_30default_config_static_selectorELNS0_4arch9wavefront6targetE1EEEvT1_,comdat
.Lfunc_end4102:
	.size	_ZN7rocprim17ROCPRIM_400000_NS6detail17trampoline_kernelINS0_14default_configENS1_20scan_config_selectorIsEEZZNS1_9scan_implILNS1_25lookback_scan_determinismE0ELb1ELb1ES3_N6thrust23THRUST_200600_302600_NS6detail15normal_iteratorINS9_10device_ptrIsEEEENS9_16discard_iteratorINS9_11use_defaultEEEs11max_functorIsEsEEDaPvRmT3_T4_T5_mT6_P12ihipStream_tbENKUlT_T0_E_clISt17integral_constantIbLb1EESX_EEDaSS_ST_EUlSS_E0_NS1_11comp_targetILNS1_3genE10ELNS1_11target_archE1201ELNS1_3gpuE5ELNS1_3repE0EEENS1_30default_config_static_selectorELNS0_4arch9wavefront6targetE1EEEvT1_, .Lfunc_end4102-_ZN7rocprim17ROCPRIM_400000_NS6detail17trampoline_kernelINS0_14default_configENS1_20scan_config_selectorIsEEZZNS1_9scan_implILNS1_25lookback_scan_determinismE0ELb1ELb1ES3_N6thrust23THRUST_200600_302600_NS6detail15normal_iteratorINS9_10device_ptrIsEEEENS9_16discard_iteratorINS9_11use_defaultEEEs11max_functorIsEsEEDaPvRmT3_T4_T5_mT6_P12ihipStream_tbENKUlT_T0_E_clISt17integral_constantIbLb1EESX_EEDaSS_ST_EUlSS_E0_NS1_11comp_targetILNS1_3genE10ELNS1_11target_archE1201ELNS1_3gpuE5ELNS1_3repE0EEENS1_30default_config_static_selectorELNS0_4arch9wavefront6targetE1EEEvT1_
                                        ; -- End function
	.section	.AMDGPU.csdata,"",@progbits
; Kernel info:
; codeLenInByte = 0
; NumSgprs: 4
; NumVgprs: 0
; NumAgprs: 0
; TotalNumVgprs: 0
; ScratchSize: 0
; MemoryBound: 0
; FloatMode: 240
; IeeeMode: 1
; LDSByteSize: 0 bytes/workgroup (compile time only)
; SGPRBlocks: 0
; VGPRBlocks: 0
; NumSGPRsForWavesPerEU: 4
; NumVGPRsForWavesPerEU: 1
; AccumOffset: 4
; Occupancy: 8
; WaveLimiterHint : 0
; COMPUTE_PGM_RSRC2:SCRATCH_EN: 0
; COMPUTE_PGM_RSRC2:USER_SGPR: 6
; COMPUTE_PGM_RSRC2:TRAP_HANDLER: 0
; COMPUTE_PGM_RSRC2:TGID_X_EN: 1
; COMPUTE_PGM_RSRC2:TGID_Y_EN: 0
; COMPUTE_PGM_RSRC2:TGID_Z_EN: 0
; COMPUTE_PGM_RSRC2:TIDIG_COMP_CNT: 0
; COMPUTE_PGM_RSRC3_GFX90A:ACCUM_OFFSET: 0
; COMPUTE_PGM_RSRC3_GFX90A:TG_SPLIT: 0
	.section	.text._ZN7rocprim17ROCPRIM_400000_NS6detail17trampoline_kernelINS0_14default_configENS1_20scan_config_selectorIsEEZZNS1_9scan_implILNS1_25lookback_scan_determinismE0ELb1ELb1ES3_N6thrust23THRUST_200600_302600_NS6detail15normal_iteratorINS9_10device_ptrIsEEEENS9_16discard_iteratorINS9_11use_defaultEEEs11max_functorIsEsEEDaPvRmT3_T4_T5_mT6_P12ihipStream_tbENKUlT_T0_E_clISt17integral_constantIbLb1EESX_EEDaSS_ST_EUlSS_E0_NS1_11comp_targetILNS1_3genE10ELNS1_11target_archE1200ELNS1_3gpuE4ELNS1_3repE0EEENS1_30default_config_static_selectorELNS0_4arch9wavefront6targetE1EEEvT1_,"axG",@progbits,_ZN7rocprim17ROCPRIM_400000_NS6detail17trampoline_kernelINS0_14default_configENS1_20scan_config_selectorIsEEZZNS1_9scan_implILNS1_25lookback_scan_determinismE0ELb1ELb1ES3_N6thrust23THRUST_200600_302600_NS6detail15normal_iteratorINS9_10device_ptrIsEEEENS9_16discard_iteratorINS9_11use_defaultEEEs11max_functorIsEsEEDaPvRmT3_T4_T5_mT6_P12ihipStream_tbENKUlT_T0_E_clISt17integral_constantIbLb1EESX_EEDaSS_ST_EUlSS_E0_NS1_11comp_targetILNS1_3genE10ELNS1_11target_archE1200ELNS1_3gpuE4ELNS1_3repE0EEENS1_30default_config_static_selectorELNS0_4arch9wavefront6targetE1EEEvT1_,comdat
	.protected	_ZN7rocprim17ROCPRIM_400000_NS6detail17trampoline_kernelINS0_14default_configENS1_20scan_config_selectorIsEEZZNS1_9scan_implILNS1_25lookback_scan_determinismE0ELb1ELb1ES3_N6thrust23THRUST_200600_302600_NS6detail15normal_iteratorINS9_10device_ptrIsEEEENS9_16discard_iteratorINS9_11use_defaultEEEs11max_functorIsEsEEDaPvRmT3_T4_T5_mT6_P12ihipStream_tbENKUlT_T0_E_clISt17integral_constantIbLb1EESX_EEDaSS_ST_EUlSS_E0_NS1_11comp_targetILNS1_3genE10ELNS1_11target_archE1200ELNS1_3gpuE4ELNS1_3repE0EEENS1_30default_config_static_selectorELNS0_4arch9wavefront6targetE1EEEvT1_ ; -- Begin function _ZN7rocprim17ROCPRIM_400000_NS6detail17trampoline_kernelINS0_14default_configENS1_20scan_config_selectorIsEEZZNS1_9scan_implILNS1_25lookback_scan_determinismE0ELb1ELb1ES3_N6thrust23THRUST_200600_302600_NS6detail15normal_iteratorINS9_10device_ptrIsEEEENS9_16discard_iteratorINS9_11use_defaultEEEs11max_functorIsEsEEDaPvRmT3_T4_T5_mT6_P12ihipStream_tbENKUlT_T0_E_clISt17integral_constantIbLb1EESX_EEDaSS_ST_EUlSS_E0_NS1_11comp_targetILNS1_3genE10ELNS1_11target_archE1200ELNS1_3gpuE4ELNS1_3repE0EEENS1_30default_config_static_selectorELNS0_4arch9wavefront6targetE1EEEvT1_
	.globl	_ZN7rocprim17ROCPRIM_400000_NS6detail17trampoline_kernelINS0_14default_configENS1_20scan_config_selectorIsEEZZNS1_9scan_implILNS1_25lookback_scan_determinismE0ELb1ELb1ES3_N6thrust23THRUST_200600_302600_NS6detail15normal_iteratorINS9_10device_ptrIsEEEENS9_16discard_iteratorINS9_11use_defaultEEEs11max_functorIsEsEEDaPvRmT3_T4_T5_mT6_P12ihipStream_tbENKUlT_T0_E_clISt17integral_constantIbLb1EESX_EEDaSS_ST_EUlSS_E0_NS1_11comp_targetILNS1_3genE10ELNS1_11target_archE1200ELNS1_3gpuE4ELNS1_3repE0EEENS1_30default_config_static_selectorELNS0_4arch9wavefront6targetE1EEEvT1_
	.p2align	8
	.type	_ZN7rocprim17ROCPRIM_400000_NS6detail17trampoline_kernelINS0_14default_configENS1_20scan_config_selectorIsEEZZNS1_9scan_implILNS1_25lookback_scan_determinismE0ELb1ELb1ES3_N6thrust23THRUST_200600_302600_NS6detail15normal_iteratorINS9_10device_ptrIsEEEENS9_16discard_iteratorINS9_11use_defaultEEEs11max_functorIsEsEEDaPvRmT3_T4_T5_mT6_P12ihipStream_tbENKUlT_T0_E_clISt17integral_constantIbLb1EESX_EEDaSS_ST_EUlSS_E0_NS1_11comp_targetILNS1_3genE10ELNS1_11target_archE1200ELNS1_3gpuE4ELNS1_3repE0EEENS1_30default_config_static_selectorELNS0_4arch9wavefront6targetE1EEEvT1_,@function
_ZN7rocprim17ROCPRIM_400000_NS6detail17trampoline_kernelINS0_14default_configENS1_20scan_config_selectorIsEEZZNS1_9scan_implILNS1_25lookback_scan_determinismE0ELb1ELb1ES3_N6thrust23THRUST_200600_302600_NS6detail15normal_iteratorINS9_10device_ptrIsEEEENS9_16discard_iteratorINS9_11use_defaultEEEs11max_functorIsEsEEDaPvRmT3_T4_T5_mT6_P12ihipStream_tbENKUlT_T0_E_clISt17integral_constantIbLb1EESX_EEDaSS_ST_EUlSS_E0_NS1_11comp_targetILNS1_3genE10ELNS1_11target_archE1200ELNS1_3gpuE4ELNS1_3repE0EEENS1_30default_config_static_selectorELNS0_4arch9wavefront6targetE1EEEvT1_: ; @_ZN7rocprim17ROCPRIM_400000_NS6detail17trampoline_kernelINS0_14default_configENS1_20scan_config_selectorIsEEZZNS1_9scan_implILNS1_25lookback_scan_determinismE0ELb1ELb1ES3_N6thrust23THRUST_200600_302600_NS6detail15normal_iteratorINS9_10device_ptrIsEEEENS9_16discard_iteratorINS9_11use_defaultEEEs11max_functorIsEsEEDaPvRmT3_T4_T5_mT6_P12ihipStream_tbENKUlT_T0_E_clISt17integral_constantIbLb1EESX_EEDaSS_ST_EUlSS_E0_NS1_11comp_targetILNS1_3genE10ELNS1_11target_archE1200ELNS1_3gpuE4ELNS1_3repE0EEENS1_30default_config_static_selectorELNS0_4arch9wavefront6targetE1EEEvT1_
; %bb.0:
	.section	.rodata,"a",@progbits
	.p2align	6, 0x0
	.amdhsa_kernel _ZN7rocprim17ROCPRIM_400000_NS6detail17trampoline_kernelINS0_14default_configENS1_20scan_config_selectorIsEEZZNS1_9scan_implILNS1_25lookback_scan_determinismE0ELb1ELb1ES3_N6thrust23THRUST_200600_302600_NS6detail15normal_iteratorINS9_10device_ptrIsEEEENS9_16discard_iteratorINS9_11use_defaultEEEs11max_functorIsEsEEDaPvRmT3_T4_T5_mT6_P12ihipStream_tbENKUlT_T0_E_clISt17integral_constantIbLb1EESX_EEDaSS_ST_EUlSS_E0_NS1_11comp_targetILNS1_3genE10ELNS1_11target_archE1200ELNS1_3gpuE4ELNS1_3repE0EEENS1_30default_config_static_selectorELNS0_4arch9wavefront6targetE1EEEvT1_
		.amdhsa_group_segment_fixed_size 0
		.amdhsa_private_segment_fixed_size 0
		.amdhsa_kernarg_size 40
		.amdhsa_user_sgpr_count 6
		.amdhsa_user_sgpr_private_segment_buffer 1
		.amdhsa_user_sgpr_dispatch_ptr 0
		.amdhsa_user_sgpr_queue_ptr 0
		.amdhsa_user_sgpr_kernarg_segment_ptr 1
		.amdhsa_user_sgpr_dispatch_id 0
		.amdhsa_user_sgpr_flat_scratch_init 0
		.amdhsa_user_sgpr_kernarg_preload_length 0
		.amdhsa_user_sgpr_kernarg_preload_offset 0
		.amdhsa_user_sgpr_private_segment_size 0
		.amdhsa_uses_dynamic_stack 0
		.amdhsa_system_sgpr_private_segment_wavefront_offset 0
		.amdhsa_system_sgpr_workgroup_id_x 1
		.amdhsa_system_sgpr_workgroup_id_y 0
		.amdhsa_system_sgpr_workgroup_id_z 0
		.amdhsa_system_sgpr_workgroup_info 0
		.amdhsa_system_vgpr_workitem_id 0
		.amdhsa_next_free_vgpr 1
		.amdhsa_next_free_sgpr 0
		.amdhsa_accum_offset 4
		.amdhsa_reserve_vcc 0
		.amdhsa_reserve_flat_scratch 0
		.amdhsa_float_round_mode_32 0
		.amdhsa_float_round_mode_16_64 0
		.amdhsa_float_denorm_mode_32 3
		.amdhsa_float_denorm_mode_16_64 3
		.amdhsa_dx10_clamp 1
		.amdhsa_ieee_mode 1
		.amdhsa_fp16_overflow 0
		.amdhsa_tg_split 0
		.amdhsa_exception_fp_ieee_invalid_op 0
		.amdhsa_exception_fp_denorm_src 0
		.amdhsa_exception_fp_ieee_div_zero 0
		.amdhsa_exception_fp_ieee_overflow 0
		.amdhsa_exception_fp_ieee_underflow 0
		.amdhsa_exception_fp_ieee_inexact 0
		.amdhsa_exception_int_div_zero 0
	.end_amdhsa_kernel
	.section	.text._ZN7rocprim17ROCPRIM_400000_NS6detail17trampoline_kernelINS0_14default_configENS1_20scan_config_selectorIsEEZZNS1_9scan_implILNS1_25lookback_scan_determinismE0ELb1ELb1ES3_N6thrust23THRUST_200600_302600_NS6detail15normal_iteratorINS9_10device_ptrIsEEEENS9_16discard_iteratorINS9_11use_defaultEEEs11max_functorIsEsEEDaPvRmT3_T4_T5_mT6_P12ihipStream_tbENKUlT_T0_E_clISt17integral_constantIbLb1EESX_EEDaSS_ST_EUlSS_E0_NS1_11comp_targetILNS1_3genE10ELNS1_11target_archE1200ELNS1_3gpuE4ELNS1_3repE0EEENS1_30default_config_static_selectorELNS0_4arch9wavefront6targetE1EEEvT1_,"axG",@progbits,_ZN7rocprim17ROCPRIM_400000_NS6detail17trampoline_kernelINS0_14default_configENS1_20scan_config_selectorIsEEZZNS1_9scan_implILNS1_25lookback_scan_determinismE0ELb1ELb1ES3_N6thrust23THRUST_200600_302600_NS6detail15normal_iteratorINS9_10device_ptrIsEEEENS9_16discard_iteratorINS9_11use_defaultEEEs11max_functorIsEsEEDaPvRmT3_T4_T5_mT6_P12ihipStream_tbENKUlT_T0_E_clISt17integral_constantIbLb1EESX_EEDaSS_ST_EUlSS_E0_NS1_11comp_targetILNS1_3genE10ELNS1_11target_archE1200ELNS1_3gpuE4ELNS1_3repE0EEENS1_30default_config_static_selectorELNS0_4arch9wavefront6targetE1EEEvT1_,comdat
.Lfunc_end4103:
	.size	_ZN7rocprim17ROCPRIM_400000_NS6detail17trampoline_kernelINS0_14default_configENS1_20scan_config_selectorIsEEZZNS1_9scan_implILNS1_25lookback_scan_determinismE0ELb1ELb1ES3_N6thrust23THRUST_200600_302600_NS6detail15normal_iteratorINS9_10device_ptrIsEEEENS9_16discard_iteratorINS9_11use_defaultEEEs11max_functorIsEsEEDaPvRmT3_T4_T5_mT6_P12ihipStream_tbENKUlT_T0_E_clISt17integral_constantIbLb1EESX_EEDaSS_ST_EUlSS_E0_NS1_11comp_targetILNS1_3genE10ELNS1_11target_archE1200ELNS1_3gpuE4ELNS1_3repE0EEENS1_30default_config_static_selectorELNS0_4arch9wavefront6targetE1EEEvT1_, .Lfunc_end4103-_ZN7rocprim17ROCPRIM_400000_NS6detail17trampoline_kernelINS0_14default_configENS1_20scan_config_selectorIsEEZZNS1_9scan_implILNS1_25lookback_scan_determinismE0ELb1ELb1ES3_N6thrust23THRUST_200600_302600_NS6detail15normal_iteratorINS9_10device_ptrIsEEEENS9_16discard_iteratorINS9_11use_defaultEEEs11max_functorIsEsEEDaPvRmT3_T4_T5_mT6_P12ihipStream_tbENKUlT_T0_E_clISt17integral_constantIbLb1EESX_EEDaSS_ST_EUlSS_E0_NS1_11comp_targetILNS1_3genE10ELNS1_11target_archE1200ELNS1_3gpuE4ELNS1_3repE0EEENS1_30default_config_static_selectorELNS0_4arch9wavefront6targetE1EEEvT1_
                                        ; -- End function
	.section	.AMDGPU.csdata,"",@progbits
; Kernel info:
; codeLenInByte = 0
; NumSgprs: 4
; NumVgprs: 0
; NumAgprs: 0
; TotalNumVgprs: 0
; ScratchSize: 0
; MemoryBound: 0
; FloatMode: 240
; IeeeMode: 1
; LDSByteSize: 0 bytes/workgroup (compile time only)
; SGPRBlocks: 0
; VGPRBlocks: 0
; NumSGPRsForWavesPerEU: 4
; NumVGPRsForWavesPerEU: 1
; AccumOffset: 4
; Occupancy: 8
; WaveLimiterHint : 0
; COMPUTE_PGM_RSRC2:SCRATCH_EN: 0
; COMPUTE_PGM_RSRC2:USER_SGPR: 6
; COMPUTE_PGM_RSRC2:TRAP_HANDLER: 0
; COMPUTE_PGM_RSRC2:TGID_X_EN: 1
; COMPUTE_PGM_RSRC2:TGID_Y_EN: 0
; COMPUTE_PGM_RSRC2:TGID_Z_EN: 0
; COMPUTE_PGM_RSRC2:TIDIG_COMP_CNT: 0
; COMPUTE_PGM_RSRC3_GFX90A:ACCUM_OFFSET: 0
; COMPUTE_PGM_RSRC3_GFX90A:TG_SPLIT: 0
	.section	.text._ZN7rocprim17ROCPRIM_400000_NS6detail17trampoline_kernelINS0_14default_configENS1_20scan_config_selectorIsEEZZNS1_9scan_implILNS1_25lookback_scan_determinismE0ELb1ELb1ES3_N6thrust23THRUST_200600_302600_NS6detail15normal_iteratorINS9_10device_ptrIsEEEENS9_16discard_iteratorINS9_11use_defaultEEEs11max_functorIsEsEEDaPvRmT3_T4_T5_mT6_P12ihipStream_tbENKUlT_T0_E_clISt17integral_constantIbLb1EESX_EEDaSS_ST_EUlSS_E0_NS1_11comp_targetILNS1_3genE9ELNS1_11target_archE1100ELNS1_3gpuE3ELNS1_3repE0EEENS1_30default_config_static_selectorELNS0_4arch9wavefront6targetE1EEEvT1_,"axG",@progbits,_ZN7rocprim17ROCPRIM_400000_NS6detail17trampoline_kernelINS0_14default_configENS1_20scan_config_selectorIsEEZZNS1_9scan_implILNS1_25lookback_scan_determinismE0ELb1ELb1ES3_N6thrust23THRUST_200600_302600_NS6detail15normal_iteratorINS9_10device_ptrIsEEEENS9_16discard_iteratorINS9_11use_defaultEEEs11max_functorIsEsEEDaPvRmT3_T4_T5_mT6_P12ihipStream_tbENKUlT_T0_E_clISt17integral_constantIbLb1EESX_EEDaSS_ST_EUlSS_E0_NS1_11comp_targetILNS1_3genE9ELNS1_11target_archE1100ELNS1_3gpuE3ELNS1_3repE0EEENS1_30default_config_static_selectorELNS0_4arch9wavefront6targetE1EEEvT1_,comdat
	.protected	_ZN7rocprim17ROCPRIM_400000_NS6detail17trampoline_kernelINS0_14default_configENS1_20scan_config_selectorIsEEZZNS1_9scan_implILNS1_25lookback_scan_determinismE0ELb1ELb1ES3_N6thrust23THRUST_200600_302600_NS6detail15normal_iteratorINS9_10device_ptrIsEEEENS9_16discard_iteratorINS9_11use_defaultEEEs11max_functorIsEsEEDaPvRmT3_T4_T5_mT6_P12ihipStream_tbENKUlT_T0_E_clISt17integral_constantIbLb1EESX_EEDaSS_ST_EUlSS_E0_NS1_11comp_targetILNS1_3genE9ELNS1_11target_archE1100ELNS1_3gpuE3ELNS1_3repE0EEENS1_30default_config_static_selectorELNS0_4arch9wavefront6targetE1EEEvT1_ ; -- Begin function _ZN7rocprim17ROCPRIM_400000_NS6detail17trampoline_kernelINS0_14default_configENS1_20scan_config_selectorIsEEZZNS1_9scan_implILNS1_25lookback_scan_determinismE0ELb1ELb1ES3_N6thrust23THRUST_200600_302600_NS6detail15normal_iteratorINS9_10device_ptrIsEEEENS9_16discard_iteratorINS9_11use_defaultEEEs11max_functorIsEsEEDaPvRmT3_T4_T5_mT6_P12ihipStream_tbENKUlT_T0_E_clISt17integral_constantIbLb1EESX_EEDaSS_ST_EUlSS_E0_NS1_11comp_targetILNS1_3genE9ELNS1_11target_archE1100ELNS1_3gpuE3ELNS1_3repE0EEENS1_30default_config_static_selectorELNS0_4arch9wavefront6targetE1EEEvT1_
	.globl	_ZN7rocprim17ROCPRIM_400000_NS6detail17trampoline_kernelINS0_14default_configENS1_20scan_config_selectorIsEEZZNS1_9scan_implILNS1_25lookback_scan_determinismE0ELb1ELb1ES3_N6thrust23THRUST_200600_302600_NS6detail15normal_iteratorINS9_10device_ptrIsEEEENS9_16discard_iteratorINS9_11use_defaultEEEs11max_functorIsEsEEDaPvRmT3_T4_T5_mT6_P12ihipStream_tbENKUlT_T0_E_clISt17integral_constantIbLb1EESX_EEDaSS_ST_EUlSS_E0_NS1_11comp_targetILNS1_3genE9ELNS1_11target_archE1100ELNS1_3gpuE3ELNS1_3repE0EEENS1_30default_config_static_selectorELNS0_4arch9wavefront6targetE1EEEvT1_
	.p2align	8
	.type	_ZN7rocprim17ROCPRIM_400000_NS6detail17trampoline_kernelINS0_14default_configENS1_20scan_config_selectorIsEEZZNS1_9scan_implILNS1_25lookback_scan_determinismE0ELb1ELb1ES3_N6thrust23THRUST_200600_302600_NS6detail15normal_iteratorINS9_10device_ptrIsEEEENS9_16discard_iteratorINS9_11use_defaultEEEs11max_functorIsEsEEDaPvRmT3_T4_T5_mT6_P12ihipStream_tbENKUlT_T0_E_clISt17integral_constantIbLb1EESX_EEDaSS_ST_EUlSS_E0_NS1_11comp_targetILNS1_3genE9ELNS1_11target_archE1100ELNS1_3gpuE3ELNS1_3repE0EEENS1_30default_config_static_selectorELNS0_4arch9wavefront6targetE1EEEvT1_,@function
_ZN7rocprim17ROCPRIM_400000_NS6detail17trampoline_kernelINS0_14default_configENS1_20scan_config_selectorIsEEZZNS1_9scan_implILNS1_25lookback_scan_determinismE0ELb1ELb1ES3_N6thrust23THRUST_200600_302600_NS6detail15normal_iteratorINS9_10device_ptrIsEEEENS9_16discard_iteratorINS9_11use_defaultEEEs11max_functorIsEsEEDaPvRmT3_T4_T5_mT6_P12ihipStream_tbENKUlT_T0_E_clISt17integral_constantIbLb1EESX_EEDaSS_ST_EUlSS_E0_NS1_11comp_targetILNS1_3genE9ELNS1_11target_archE1100ELNS1_3gpuE3ELNS1_3repE0EEENS1_30default_config_static_selectorELNS0_4arch9wavefront6targetE1EEEvT1_: ; @_ZN7rocprim17ROCPRIM_400000_NS6detail17trampoline_kernelINS0_14default_configENS1_20scan_config_selectorIsEEZZNS1_9scan_implILNS1_25lookback_scan_determinismE0ELb1ELb1ES3_N6thrust23THRUST_200600_302600_NS6detail15normal_iteratorINS9_10device_ptrIsEEEENS9_16discard_iteratorINS9_11use_defaultEEEs11max_functorIsEsEEDaPvRmT3_T4_T5_mT6_P12ihipStream_tbENKUlT_T0_E_clISt17integral_constantIbLb1EESX_EEDaSS_ST_EUlSS_E0_NS1_11comp_targetILNS1_3genE9ELNS1_11target_archE1100ELNS1_3gpuE3ELNS1_3repE0EEENS1_30default_config_static_selectorELNS0_4arch9wavefront6targetE1EEEvT1_
; %bb.0:
	.section	.rodata,"a",@progbits
	.p2align	6, 0x0
	.amdhsa_kernel _ZN7rocprim17ROCPRIM_400000_NS6detail17trampoline_kernelINS0_14default_configENS1_20scan_config_selectorIsEEZZNS1_9scan_implILNS1_25lookback_scan_determinismE0ELb1ELb1ES3_N6thrust23THRUST_200600_302600_NS6detail15normal_iteratorINS9_10device_ptrIsEEEENS9_16discard_iteratorINS9_11use_defaultEEEs11max_functorIsEsEEDaPvRmT3_T4_T5_mT6_P12ihipStream_tbENKUlT_T0_E_clISt17integral_constantIbLb1EESX_EEDaSS_ST_EUlSS_E0_NS1_11comp_targetILNS1_3genE9ELNS1_11target_archE1100ELNS1_3gpuE3ELNS1_3repE0EEENS1_30default_config_static_selectorELNS0_4arch9wavefront6targetE1EEEvT1_
		.amdhsa_group_segment_fixed_size 0
		.amdhsa_private_segment_fixed_size 0
		.amdhsa_kernarg_size 40
		.amdhsa_user_sgpr_count 6
		.amdhsa_user_sgpr_private_segment_buffer 1
		.amdhsa_user_sgpr_dispatch_ptr 0
		.amdhsa_user_sgpr_queue_ptr 0
		.amdhsa_user_sgpr_kernarg_segment_ptr 1
		.amdhsa_user_sgpr_dispatch_id 0
		.amdhsa_user_sgpr_flat_scratch_init 0
		.amdhsa_user_sgpr_kernarg_preload_length 0
		.amdhsa_user_sgpr_kernarg_preload_offset 0
		.amdhsa_user_sgpr_private_segment_size 0
		.amdhsa_uses_dynamic_stack 0
		.amdhsa_system_sgpr_private_segment_wavefront_offset 0
		.amdhsa_system_sgpr_workgroup_id_x 1
		.amdhsa_system_sgpr_workgroup_id_y 0
		.amdhsa_system_sgpr_workgroup_id_z 0
		.amdhsa_system_sgpr_workgroup_info 0
		.amdhsa_system_vgpr_workitem_id 0
		.amdhsa_next_free_vgpr 1
		.amdhsa_next_free_sgpr 0
		.amdhsa_accum_offset 4
		.amdhsa_reserve_vcc 0
		.amdhsa_reserve_flat_scratch 0
		.amdhsa_float_round_mode_32 0
		.amdhsa_float_round_mode_16_64 0
		.amdhsa_float_denorm_mode_32 3
		.amdhsa_float_denorm_mode_16_64 3
		.amdhsa_dx10_clamp 1
		.amdhsa_ieee_mode 1
		.amdhsa_fp16_overflow 0
		.amdhsa_tg_split 0
		.amdhsa_exception_fp_ieee_invalid_op 0
		.amdhsa_exception_fp_denorm_src 0
		.amdhsa_exception_fp_ieee_div_zero 0
		.amdhsa_exception_fp_ieee_overflow 0
		.amdhsa_exception_fp_ieee_underflow 0
		.amdhsa_exception_fp_ieee_inexact 0
		.amdhsa_exception_int_div_zero 0
	.end_amdhsa_kernel
	.section	.text._ZN7rocprim17ROCPRIM_400000_NS6detail17trampoline_kernelINS0_14default_configENS1_20scan_config_selectorIsEEZZNS1_9scan_implILNS1_25lookback_scan_determinismE0ELb1ELb1ES3_N6thrust23THRUST_200600_302600_NS6detail15normal_iteratorINS9_10device_ptrIsEEEENS9_16discard_iteratorINS9_11use_defaultEEEs11max_functorIsEsEEDaPvRmT3_T4_T5_mT6_P12ihipStream_tbENKUlT_T0_E_clISt17integral_constantIbLb1EESX_EEDaSS_ST_EUlSS_E0_NS1_11comp_targetILNS1_3genE9ELNS1_11target_archE1100ELNS1_3gpuE3ELNS1_3repE0EEENS1_30default_config_static_selectorELNS0_4arch9wavefront6targetE1EEEvT1_,"axG",@progbits,_ZN7rocprim17ROCPRIM_400000_NS6detail17trampoline_kernelINS0_14default_configENS1_20scan_config_selectorIsEEZZNS1_9scan_implILNS1_25lookback_scan_determinismE0ELb1ELb1ES3_N6thrust23THRUST_200600_302600_NS6detail15normal_iteratorINS9_10device_ptrIsEEEENS9_16discard_iteratorINS9_11use_defaultEEEs11max_functorIsEsEEDaPvRmT3_T4_T5_mT6_P12ihipStream_tbENKUlT_T0_E_clISt17integral_constantIbLb1EESX_EEDaSS_ST_EUlSS_E0_NS1_11comp_targetILNS1_3genE9ELNS1_11target_archE1100ELNS1_3gpuE3ELNS1_3repE0EEENS1_30default_config_static_selectorELNS0_4arch9wavefront6targetE1EEEvT1_,comdat
.Lfunc_end4104:
	.size	_ZN7rocprim17ROCPRIM_400000_NS6detail17trampoline_kernelINS0_14default_configENS1_20scan_config_selectorIsEEZZNS1_9scan_implILNS1_25lookback_scan_determinismE0ELb1ELb1ES3_N6thrust23THRUST_200600_302600_NS6detail15normal_iteratorINS9_10device_ptrIsEEEENS9_16discard_iteratorINS9_11use_defaultEEEs11max_functorIsEsEEDaPvRmT3_T4_T5_mT6_P12ihipStream_tbENKUlT_T0_E_clISt17integral_constantIbLb1EESX_EEDaSS_ST_EUlSS_E0_NS1_11comp_targetILNS1_3genE9ELNS1_11target_archE1100ELNS1_3gpuE3ELNS1_3repE0EEENS1_30default_config_static_selectorELNS0_4arch9wavefront6targetE1EEEvT1_, .Lfunc_end4104-_ZN7rocprim17ROCPRIM_400000_NS6detail17trampoline_kernelINS0_14default_configENS1_20scan_config_selectorIsEEZZNS1_9scan_implILNS1_25lookback_scan_determinismE0ELb1ELb1ES3_N6thrust23THRUST_200600_302600_NS6detail15normal_iteratorINS9_10device_ptrIsEEEENS9_16discard_iteratorINS9_11use_defaultEEEs11max_functorIsEsEEDaPvRmT3_T4_T5_mT6_P12ihipStream_tbENKUlT_T0_E_clISt17integral_constantIbLb1EESX_EEDaSS_ST_EUlSS_E0_NS1_11comp_targetILNS1_3genE9ELNS1_11target_archE1100ELNS1_3gpuE3ELNS1_3repE0EEENS1_30default_config_static_selectorELNS0_4arch9wavefront6targetE1EEEvT1_
                                        ; -- End function
	.section	.AMDGPU.csdata,"",@progbits
; Kernel info:
; codeLenInByte = 0
; NumSgprs: 4
; NumVgprs: 0
; NumAgprs: 0
; TotalNumVgprs: 0
; ScratchSize: 0
; MemoryBound: 0
; FloatMode: 240
; IeeeMode: 1
; LDSByteSize: 0 bytes/workgroup (compile time only)
; SGPRBlocks: 0
; VGPRBlocks: 0
; NumSGPRsForWavesPerEU: 4
; NumVGPRsForWavesPerEU: 1
; AccumOffset: 4
; Occupancy: 8
; WaveLimiterHint : 0
; COMPUTE_PGM_RSRC2:SCRATCH_EN: 0
; COMPUTE_PGM_RSRC2:USER_SGPR: 6
; COMPUTE_PGM_RSRC2:TRAP_HANDLER: 0
; COMPUTE_PGM_RSRC2:TGID_X_EN: 1
; COMPUTE_PGM_RSRC2:TGID_Y_EN: 0
; COMPUTE_PGM_RSRC2:TGID_Z_EN: 0
; COMPUTE_PGM_RSRC2:TIDIG_COMP_CNT: 0
; COMPUTE_PGM_RSRC3_GFX90A:ACCUM_OFFSET: 0
; COMPUTE_PGM_RSRC3_GFX90A:TG_SPLIT: 0
	.section	.text._ZN7rocprim17ROCPRIM_400000_NS6detail17trampoline_kernelINS0_14default_configENS1_20scan_config_selectorIsEEZZNS1_9scan_implILNS1_25lookback_scan_determinismE0ELb1ELb1ES3_N6thrust23THRUST_200600_302600_NS6detail15normal_iteratorINS9_10device_ptrIsEEEENS9_16discard_iteratorINS9_11use_defaultEEEs11max_functorIsEsEEDaPvRmT3_T4_T5_mT6_P12ihipStream_tbENKUlT_T0_E_clISt17integral_constantIbLb1EESX_EEDaSS_ST_EUlSS_E0_NS1_11comp_targetILNS1_3genE8ELNS1_11target_archE1030ELNS1_3gpuE2ELNS1_3repE0EEENS1_30default_config_static_selectorELNS0_4arch9wavefront6targetE1EEEvT1_,"axG",@progbits,_ZN7rocprim17ROCPRIM_400000_NS6detail17trampoline_kernelINS0_14default_configENS1_20scan_config_selectorIsEEZZNS1_9scan_implILNS1_25lookback_scan_determinismE0ELb1ELb1ES3_N6thrust23THRUST_200600_302600_NS6detail15normal_iteratorINS9_10device_ptrIsEEEENS9_16discard_iteratorINS9_11use_defaultEEEs11max_functorIsEsEEDaPvRmT3_T4_T5_mT6_P12ihipStream_tbENKUlT_T0_E_clISt17integral_constantIbLb1EESX_EEDaSS_ST_EUlSS_E0_NS1_11comp_targetILNS1_3genE8ELNS1_11target_archE1030ELNS1_3gpuE2ELNS1_3repE0EEENS1_30default_config_static_selectorELNS0_4arch9wavefront6targetE1EEEvT1_,comdat
	.protected	_ZN7rocprim17ROCPRIM_400000_NS6detail17trampoline_kernelINS0_14default_configENS1_20scan_config_selectorIsEEZZNS1_9scan_implILNS1_25lookback_scan_determinismE0ELb1ELb1ES3_N6thrust23THRUST_200600_302600_NS6detail15normal_iteratorINS9_10device_ptrIsEEEENS9_16discard_iteratorINS9_11use_defaultEEEs11max_functorIsEsEEDaPvRmT3_T4_T5_mT6_P12ihipStream_tbENKUlT_T0_E_clISt17integral_constantIbLb1EESX_EEDaSS_ST_EUlSS_E0_NS1_11comp_targetILNS1_3genE8ELNS1_11target_archE1030ELNS1_3gpuE2ELNS1_3repE0EEENS1_30default_config_static_selectorELNS0_4arch9wavefront6targetE1EEEvT1_ ; -- Begin function _ZN7rocprim17ROCPRIM_400000_NS6detail17trampoline_kernelINS0_14default_configENS1_20scan_config_selectorIsEEZZNS1_9scan_implILNS1_25lookback_scan_determinismE0ELb1ELb1ES3_N6thrust23THRUST_200600_302600_NS6detail15normal_iteratorINS9_10device_ptrIsEEEENS9_16discard_iteratorINS9_11use_defaultEEEs11max_functorIsEsEEDaPvRmT3_T4_T5_mT6_P12ihipStream_tbENKUlT_T0_E_clISt17integral_constantIbLb1EESX_EEDaSS_ST_EUlSS_E0_NS1_11comp_targetILNS1_3genE8ELNS1_11target_archE1030ELNS1_3gpuE2ELNS1_3repE0EEENS1_30default_config_static_selectorELNS0_4arch9wavefront6targetE1EEEvT1_
	.globl	_ZN7rocprim17ROCPRIM_400000_NS6detail17trampoline_kernelINS0_14default_configENS1_20scan_config_selectorIsEEZZNS1_9scan_implILNS1_25lookback_scan_determinismE0ELb1ELb1ES3_N6thrust23THRUST_200600_302600_NS6detail15normal_iteratorINS9_10device_ptrIsEEEENS9_16discard_iteratorINS9_11use_defaultEEEs11max_functorIsEsEEDaPvRmT3_T4_T5_mT6_P12ihipStream_tbENKUlT_T0_E_clISt17integral_constantIbLb1EESX_EEDaSS_ST_EUlSS_E0_NS1_11comp_targetILNS1_3genE8ELNS1_11target_archE1030ELNS1_3gpuE2ELNS1_3repE0EEENS1_30default_config_static_selectorELNS0_4arch9wavefront6targetE1EEEvT1_
	.p2align	8
	.type	_ZN7rocprim17ROCPRIM_400000_NS6detail17trampoline_kernelINS0_14default_configENS1_20scan_config_selectorIsEEZZNS1_9scan_implILNS1_25lookback_scan_determinismE0ELb1ELb1ES3_N6thrust23THRUST_200600_302600_NS6detail15normal_iteratorINS9_10device_ptrIsEEEENS9_16discard_iteratorINS9_11use_defaultEEEs11max_functorIsEsEEDaPvRmT3_T4_T5_mT6_P12ihipStream_tbENKUlT_T0_E_clISt17integral_constantIbLb1EESX_EEDaSS_ST_EUlSS_E0_NS1_11comp_targetILNS1_3genE8ELNS1_11target_archE1030ELNS1_3gpuE2ELNS1_3repE0EEENS1_30default_config_static_selectorELNS0_4arch9wavefront6targetE1EEEvT1_,@function
_ZN7rocprim17ROCPRIM_400000_NS6detail17trampoline_kernelINS0_14default_configENS1_20scan_config_selectorIsEEZZNS1_9scan_implILNS1_25lookback_scan_determinismE0ELb1ELb1ES3_N6thrust23THRUST_200600_302600_NS6detail15normal_iteratorINS9_10device_ptrIsEEEENS9_16discard_iteratorINS9_11use_defaultEEEs11max_functorIsEsEEDaPvRmT3_T4_T5_mT6_P12ihipStream_tbENKUlT_T0_E_clISt17integral_constantIbLb1EESX_EEDaSS_ST_EUlSS_E0_NS1_11comp_targetILNS1_3genE8ELNS1_11target_archE1030ELNS1_3gpuE2ELNS1_3repE0EEENS1_30default_config_static_selectorELNS0_4arch9wavefront6targetE1EEEvT1_: ; @_ZN7rocprim17ROCPRIM_400000_NS6detail17trampoline_kernelINS0_14default_configENS1_20scan_config_selectorIsEEZZNS1_9scan_implILNS1_25lookback_scan_determinismE0ELb1ELb1ES3_N6thrust23THRUST_200600_302600_NS6detail15normal_iteratorINS9_10device_ptrIsEEEENS9_16discard_iteratorINS9_11use_defaultEEEs11max_functorIsEsEEDaPvRmT3_T4_T5_mT6_P12ihipStream_tbENKUlT_T0_E_clISt17integral_constantIbLb1EESX_EEDaSS_ST_EUlSS_E0_NS1_11comp_targetILNS1_3genE8ELNS1_11target_archE1030ELNS1_3gpuE2ELNS1_3repE0EEENS1_30default_config_static_selectorELNS0_4arch9wavefront6targetE1EEEvT1_
; %bb.0:
	.section	.rodata,"a",@progbits
	.p2align	6, 0x0
	.amdhsa_kernel _ZN7rocprim17ROCPRIM_400000_NS6detail17trampoline_kernelINS0_14default_configENS1_20scan_config_selectorIsEEZZNS1_9scan_implILNS1_25lookback_scan_determinismE0ELb1ELb1ES3_N6thrust23THRUST_200600_302600_NS6detail15normal_iteratorINS9_10device_ptrIsEEEENS9_16discard_iteratorINS9_11use_defaultEEEs11max_functorIsEsEEDaPvRmT3_T4_T5_mT6_P12ihipStream_tbENKUlT_T0_E_clISt17integral_constantIbLb1EESX_EEDaSS_ST_EUlSS_E0_NS1_11comp_targetILNS1_3genE8ELNS1_11target_archE1030ELNS1_3gpuE2ELNS1_3repE0EEENS1_30default_config_static_selectorELNS0_4arch9wavefront6targetE1EEEvT1_
		.amdhsa_group_segment_fixed_size 0
		.amdhsa_private_segment_fixed_size 0
		.amdhsa_kernarg_size 40
		.amdhsa_user_sgpr_count 6
		.amdhsa_user_sgpr_private_segment_buffer 1
		.amdhsa_user_sgpr_dispatch_ptr 0
		.amdhsa_user_sgpr_queue_ptr 0
		.amdhsa_user_sgpr_kernarg_segment_ptr 1
		.amdhsa_user_sgpr_dispatch_id 0
		.amdhsa_user_sgpr_flat_scratch_init 0
		.amdhsa_user_sgpr_kernarg_preload_length 0
		.amdhsa_user_sgpr_kernarg_preload_offset 0
		.amdhsa_user_sgpr_private_segment_size 0
		.amdhsa_uses_dynamic_stack 0
		.amdhsa_system_sgpr_private_segment_wavefront_offset 0
		.amdhsa_system_sgpr_workgroup_id_x 1
		.amdhsa_system_sgpr_workgroup_id_y 0
		.amdhsa_system_sgpr_workgroup_id_z 0
		.amdhsa_system_sgpr_workgroup_info 0
		.amdhsa_system_vgpr_workitem_id 0
		.amdhsa_next_free_vgpr 1
		.amdhsa_next_free_sgpr 0
		.amdhsa_accum_offset 4
		.amdhsa_reserve_vcc 0
		.amdhsa_reserve_flat_scratch 0
		.amdhsa_float_round_mode_32 0
		.amdhsa_float_round_mode_16_64 0
		.amdhsa_float_denorm_mode_32 3
		.amdhsa_float_denorm_mode_16_64 3
		.amdhsa_dx10_clamp 1
		.amdhsa_ieee_mode 1
		.amdhsa_fp16_overflow 0
		.amdhsa_tg_split 0
		.amdhsa_exception_fp_ieee_invalid_op 0
		.amdhsa_exception_fp_denorm_src 0
		.amdhsa_exception_fp_ieee_div_zero 0
		.amdhsa_exception_fp_ieee_overflow 0
		.amdhsa_exception_fp_ieee_underflow 0
		.amdhsa_exception_fp_ieee_inexact 0
		.amdhsa_exception_int_div_zero 0
	.end_amdhsa_kernel
	.section	.text._ZN7rocprim17ROCPRIM_400000_NS6detail17trampoline_kernelINS0_14default_configENS1_20scan_config_selectorIsEEZZNS1_9scan_implILNS1_25lookback_scan_determinismE0ELb1ELb1ES3_N6thrust23THRUST_200600_302600_NS6detail15normal_iteratorINS9_10device_ptrIsEEEENS9_16discard_iteratorINS9_11use_defaultEEEs11max_functorIsEsEEDaPvRmT3_T4_T5_mT6_P12ihipStream_tbENKUlT_T0_E_clISt17integral_constantIbLb1EESX_EEDaSS_ST_EUlSS_E0_NS1_11comp_targetILNS1_3genE8ELNS1_11target_archE1030ELNS1_3gpuE2ELNS1_3repE0EEENS1_30default_config_static_selectorELNS0_4arch9wavefront6targetE1EEEvT1_,"axG",@progbits,_ZN7rocprim17ROCPRIM_400000_NS6detail17trampoline_kernelINS0_14default_configENS1_20scan_config_selectorIsEEZZNS1_9scan_implILNS1_25lookback_scan_determinismE0ELb1ELb1ES3_N6thrust23THRUST_200600_302600_NS6detail15normal_iteratorINS9_10device_ptrIsEEEENS9_16discard_iteratorINS9_11use_defaultEEEs11max_functorIsEsEEDaPvRmT3_T4_T5_mT6_P12ihipStream_tbENKUlT_T0_E_clISt17integral_constantIbLb1EESX_EEDaSS_ST_EUlSS_E0_NS1_11comp_targetILNS1_3genE8ELNS1_11target_archE1030ELNS1_3gpuE2ELNS1_3repE0EEENS1_30default_config_static_selectorELNS0_4arch9wavefront6targetE1EEEvT1_,comdat
.Lfunc_end4105:
	.size	_ZN7rocprim17ROCPRIM_400000_NS6detail17trampoline_kernelINS0_14default_configENS1_20scan_config_selectorIsEEZZNS1_9scan_implILNS1_25lookback_scan_determinismE0ELb1ELb1ES3_N6thrust23THRUST_200600_302600_NS6detail15normal_iteratorINS9_10device_ptrIsEEEENS9_16discard_iteratorINS9_11use_defaultEEEs11max_functorIsEsEEDaPvRmT3_T4_T5_mT6_P12ihipStream_tbENKUlT_T0_E_clISt17integral_constantIbLb1EESX_EEDaSS_ST_EUlSS_E0_NS1_11comp_targetILNS1_3genE8ELNS1_11target_archE1030ELNS1_3gpuE2ELNS1_3repE0EEENS1_30default_config_static_selectorELNS0_4arch9wavefront6targetE1EEEvT1_, .Lfunc_end4105-_ZN7rocprim17ROCPRIM_400000_NS6detail17trampoline_kernelINS0_14default_configENS1_20scan_config_selectorIsEEZZNS1_9scan_implILNS1_25lookback_scan_determinismE0ELb1ELb1ES3_N6thrust23THRUST_200600_302600_NS6detail15normal_iteratorINS9_10device_ptrIsEEEENS9_16discard_iteratorINS9_11use_defaultEEEs11max_functorIsEsEEDaPvRmT3_T4_T5_mT6_P12ihipStream_tbENKUlT_T0_E_clISt17integral_constantIbLb1EESX_EEDaSS_ST_EUlSS_E0_NS1_11comp_targetILNS1_3genE8ELNS1_11target_archE1030ELNS1_3gpuE2ELNS1_3repE0EEENS1_30default_config_static_selectorELNS0_4arch9wavefront6targetE1EEEvT1_
                                        ; -- End function
	.section	.AMDGPU.csdata,"",@progbits
; Kernel info:
; codeLenInByte = 0
; NumSgprs: 4
; NumVgprs: 0
; NumAgprs: 0
; TotalNumVgprs: 0
; ScratchSize: 0
; MemoryBound: 0
; FloatMode: 240
; IeeeMode: 1
; LDSByteSize: 0 bytes/workgroup (compile time only)
; SGPRBlocks: 0
; VGPRBlocks: 0
; NumSGPRsForWavesPerEU: 4
; NumVGPRsForWavesPerEU: 1
; AccumOffset: 4
; Occupancy: 8
; WaveLimiterHint : 0
; COMPUTE_PGM_RSRC2:SCRATCH_EN: 0
; COMPUTE_PGM_RSRC2:USER_SGPR: 6
; COMPUTE_PGM_RSRC2:TRAP_HANDLER: 0
; COMPUTE_PGM_RSRC2:TGID_X_EN: 1
; COMPUTE_PGM_RSRC2:TGID_Y_EN: 0
; COMPUTE_PGM_RSRC2:TGID_Z_EN: 0
; COMPUTE_PGM_RSRC2:TIDIG_COMP_CNT: 0
; COMPUTE_PGM_RSRC3_GFX90A:ACCUM_OFFSET: 0
; COMPUTE_PGM_RSRC3_GFX90A:TG_SPLIT: 0
	.section	.text._ZN7rocprim17ROCPRIM_400000_NS6detail17trampoline_kernelINS0_14default_configENS1_20scan_config_selectorIsEEZZNS1_9scan_implILNS1_25lookback_scan_determinismE0ELb1ELb1ES3_N6thrust23THRUST_200600_302600_NS6detail15normal_iteratorINS9_10device_ptrIsEEEENS9_16discard_iteratorINS9_11use_defaultEEEs11max_functorIsEsEEDaPvRmT3_T4_T5_mT6_P12ihipStream_tbENKUlT_T0_E_clISt17integral_constantIbLb1EESW_IbLb0EEEEDaSS_ST_EUlSS_E_NS1_11comp_targetILNS1_3genE0ELNS1_11target_archE4294967295ELNS1_3gpuE0ELNS1_3repE0EEENS1_30default_config_static_selectorELNS0_4arch9wavefront6targetE1EEEvT1_,"axG",@progbits,_ZN7rocprim17ROCPRIM_400000_NS6detail17trampoline_kernelINS0_14default_configENS1_20scan_config_selectorIsEEZZNS1_9scan_implILNS1_25lookback_scan_determinismE0ELb1ELb1ES3_N6thrust23THRUST_200600_302600_NS6detail15normal_iteratorINS9_10device_ptrIsEEEENS9_16discard_iteratorINS9_11use_defaultEEEs11max_functorIsEsEEDaPvRmT3_T4_T5_mT6_P12ihipStream_tbENKUlT_T0_E_clISt17integral_constantIbLb1EESW_IbLb0EEEEDaSS_ST_EUlSS_E_NS1_11comp_targetILNS1_3genE0ELNS1_11target_archE4294967295ELNS1_3gpuE0ELNS1_3repE0EEENS1_30default_config_static_selectorELNS0_4arch9wavefront6targetE1EEEvT1_,comdat
	.protected	_ZN7rocprim17ROCPRIM_400000_NS6detail17trampoline_kernelINS0_14default_configENS1_20scan_config_selectorIsEEZZNS1_9scan_implILNS1_25lookback_scan_determinismE0ELb1ELb1ES3_N6thrust23THRUST_200600_302600_NS6detail15normal_iteratorINS9_10device_ptrIsEEEENS9_16discard_iteratorINS9_11use_defaultEEEs11max_functorIsEsEEDaPvRmT3_T4_T5_mT6_P12ihipStream_tbENKUlT_T0_E_clISt17integral_constantIbLb1EESW_IbLb0EEEEDaSS_ST_EUlSS_E_NS1_11comp_targetILNS1_3genE0ELNS1_11target_archE4294967295ELNS1_3gpuE0ELNS1_3repE0EEENS1_30default_config_static_selectorELNS0_4arch9wavefront6targetE1EEEvT1_ ; -- Begin function _ZN7rocprim17ROCPRIM_400000_NS6detail17trampoline_kernelINS0_14default_configENS1_20scan_config_selectorIsEEZZNS1_9scan_implILNS1_25lookback_scan_determinismE0ELb1ELb1ES3_N6thrust23THRUST_200600_302600_NS6detail15normal_iteratorINS9_10device_ptrIsEEEENS9_16discard_iteratorINS9_11use_defaultEEEs11max_functorIsEsEEDaPvRmT3_T4_T5_mT6_P12ihipStream_tbENKUlT_T0_E_clISt17integral_constantIbLb1EESW_IbLb0EEEEDaSS_ST_EUlSS_E_NS1_11comp_targetILNS1_3genE0ELNS1_11target_archE4294967295ELNS1_3gpuE0ELNS1_3repE0EEENS1_30default_config_static_selectorELNS0_4arch9wavefront6targetE1EEEvT1_
	.globl	_ZN7rocprim17ROCPRIM_400000_NS6detail17trampoline_kernelINS0_14default_configENS1_20scan_config_selectorIsEEZZNS1_9scan_implILNS1_25lookback_scan_determinismE0ELb1ELb1ES3_N6thrust23THRUST_200600_302600_NS6detail15normal_iteratorINS9_10device_ptrIsEEEENS9_16discard_iteratorINS9_11use_defaultEEEs11max_functorIsEsEEDaPvRmT3_T4_T5_mT6_P12ihipStream_tbENKUlT_T0_E_clISt17integral_constantIbLb1EESW_IbLb0EEEEDaSS_ST_EUlSS_E_NS1_11comp_targetILNS1_3genE0ELNS1_11target_archE4294967295ELNS1_3gpuE0ELNS1_3repE0EEENS1_30default_config_static_selectorELNS0_4arch9wavefront6targetE1EEEvT1_
	.p2align	8
	.type	_ZN7rocprim17ROCPRIM_400000_NS6detail17trampoline_kernelINS0_14default_configENS1_20scan_config_selectorIsEEZZNS1_9scan_implILNS1_25lookback_scan_determinismE0ELb1ELb1ES3_N6thrust23THRUST_200600_302600_NS6detail15normal_iteratorINS9_10device_ptrIsEEEENS9_16discard_iteratorINS9_11use_defaultEEEs11max_functorIsEsEEDaPvRmT3_T4_T5_mT6_P12ihipStream_tbENKUlT_T0_E_clISt17integral_constantIbLb1EESW_IbLb0EEEEDaSS_ST_EUlSS_E_NS1_11comp_targetILNS1_3genE0ELNS1_11target_archE4294967295ELNS1_3gpuE0ELNS1_3repE0EEENS1_30default_config_static_selectorELNS0_4arch9wavefront6targetE1EEEvT1_,@function
_ZN7rocprim17ROCPRIM_400000_NS6detail17trampoline_kernelINS0_14default_configENS1_20scan_config_selectorIsEEZZNS1_9scan_implILNS1_25lookback_scan_determinismE0ELb1ELb1ES3_N6thrust23THRUST_200600_302600_NS6detail15normal_iteratorINS9_10device_ptrIsEEEENS9_16discard_iteratorINS9_11use_defaultEEEs11max_functorIsEsEEDaPvRmT3_T4_T5_mT6_P12ihipStream_tbENKUlT_T0_E_clISt17integral_constantIbLb1EESW_IbLb0EEEEDaSS_ST_EUlSS_E_NS1_11comp_targetILNS1_3genE0ELNS1_11target_archE4294967295ELNS1_3gpuE0ELNS1_3repE0EEENS1_30default_config_static_selectorELNS0_4arch9wavefront6targetE1EEEvT1_: ; @_ZN7rocprim17ROCPRIM_400000_NS6detail17trampoline_kernelINS0_14default_configENS1_20scan_config_selectorIsEEZZNS1_9scan_implILNS1_25lookback_scan_determinismE0ELb1ELb1ES3_N6thrust23THRUST_200600_302600_NS6detail15normal_iteratorINS9_10device_ptrIsEEEENS9_16discard_iteratorINS9_11use_defaultEEEs11max_functorIsEsEEDaPvRmT3_T4_T5_mT6_P12ihipStream_tbENKUlT_T0_E_clISt17integral_constantIbLb1EESW_IbLb0EEEEDaSS_ST_EUlSS_E_NS1_11comp_targetILNS1_3genE0ELNS1_11target_archE4294967295ELNS1_3gpuE0ELNS1_3repE0EEENS1_30default_config_static_selectorELNS0_4arch9wavefront6targetE1EEEvT1_
; %bb.0:
	.section	.rodata,"a",@progbits
	.p2align	6, 0x0
	.amdhsa_kernel _ZN7rocprim17ROCPRIM_400000_NS6detail17trampoline_kernelINS0_14default_configENS1_20scan_config_selectorIsEEZZNS1_9scan_implILNS1_25lookback_scan_determinismE0ELb1ELb1ES3_N6thrust23THRUST_200600_302600_NS6detail15normal_iteratorINS9_10device_ptrIsEEEENS9_16discard_iteratorINS9_11use_defaultEEEs11max_functorIsEsEEDaPvRmT3_T4_T5_mT6_P12ihipStream_tbENKUlT_T0_E_clISt17integral_constantIbLb1EESW_IbLb0EEEEDaSS_ST_EUlSS_E_NS1_11comp_targetILNS1_3genE0ELNS1_11target_archE4294967295ELNS1_3gpuE0ELNS1_3repE0EEENS1_30default_config_static_selectorELNS0_4arch9wavefront6targetE1EEEvT1_
		.amdhsa_group_segment_fixed_size 0
		.amdhsa_private_segment_fixed_size 0
		.amdhsa_kernarg_size 104
		.amdhsa_user_sgpr_count 6
		.amdhsa_user_sgpr_private_segment_buffer 1
		.amdhsa_user_sgpr_dispatch_ptr 0
		.amdhsa_user_sgpr_queue_ptr 0
		.amdhsa_user_sgpr_kernarg_segment_ptr 1
		.amdhsa_user_sgpr_dispatch_id 0
		.amdhsa_user_sgpr_flat_scratch_init 0
		.amdhsa_user_sgpr_kernarg_preload_length 0
		.amdhsa_user_sgpr_kernarg_preload_offset 0
		.amdhsa_user_sgpr_private_segment_size 0
		.amdhsa_uses_dynamic_stack 0
		.amdhsa_system_sgpr_private_segment_wavefront_offset 0
		.amdhsa_system_sgpr_workgroup_id_x 1
		.amdhsa_system_sgpr_workgroup_id_y 0
		.amdhsa_system_sgpr_workgroup_id_z 0
		.amdhsa_system_sgpr_workgroup_info 0
		.amdhsa_system_vgpr_workitem_id 0
		.amdhsa_next_free_vgpr 1
		.amdhsa_next_free_sgpr 0
		.amdhsa_accum_offset 4
		.amdhsa_reserve_vcc 0
		.amdhsa_reserve_flat_scratch 0
		.amdhsa_float_round_mode_32 0
		.amdhsa_float_round_mode_16_64 0
		.amdhsa_float_denorm_mode_32 3
		.amdhsa_float_denorm_mode_16_64 3
		.amdhsa_dx10_clamp 1
		.amdhsa_ieee_mode 1
		.amdhsa_fp16_overflow 0
		.amdhsa_tg_split 0
		.amdhsa_exception_fp_ieee_invalid_op 0
		.amdhsa_exception_fp_denorm_src 0
		.amdhsa_exception_fp_ieee_div_zero 0
		.amdhsa_exception_fp_ieee_overflow 0
		.amdhsa_exception_fp_ieee_underflow 0
		.amdhsa_exception_fp_ieee_inexact 0
		.amdhsa_exception_int_div_zero 0
	.end_amdhsa_kernel
	.section	.text._ZN7rocprim17ROCPRIM_400000_NS6detail17trampoline_kernelINS0_14default_configENS1_20scan_config_selectorIsEEZZNS1_9scan_implILNS1_25lookback_scan_determinismE0ELb1ELb1ES3_N6thrust23THRUST_200600_302600_NS6detail15normal_iteratorINS9_10device_ptrIsEEEENS9_16discard_iteratorINS9_11use_defaultEEEs11max_functorIsEsEEDaPvRmT3_T4_T5_mT6_P12ihipStream_tbENKUlT_T0_E_clISt17integral_constantIbLb1EESW_IbLb0EEEEDaSS_ST_EUlSS_E_NS1_11comp_targetILNS1_3genE0ELNS1_11target_archE4294967295ELNS1_3gpuE0ELNS1_3repE0EEENS1_30default_config_static_selectorELNS0_4arch9wavefront6targetE1EEEvT1_,"axG",@progbits,_ZN7rocprim17ROCPRIM_400000_NS6detail17trampoline_kernelINS0_14default_configENS1_20scan_config_selectorIsEEZZNS1_9scan_implILNS1_25lookback_scan_determinismE0ELb1ELb1ES3_N6thrust23THRUST_200600_302600_NS6detail15normal_iteratorINS9_10device_ptrIsEEEENS9_16discard_iteratorINS9_11use_defaultEEEs11max_functorIsEsEEDaPvRmT3_T4_T5_mT6_P12ihipStream_tbENKUlT_T0_E_clISt17integral_constantIbLb1EESW_IbLb0EEEEDaSS_ST_EUlSS_E_NS1_11comp_targetILNS1_3genE0ELNS1_11target_archE4294967295ELNS1_3gpuE0ELNS1_3repE0EEENS1_30default_config_static_selectorELNS0_4arch9wavefront6targetE1EEEvT1_,comdat
.Lfunc_end4106:
	.size	_ZN7rocprim17ROCPRIM_400000_NS6detail17trampoline_kernelINS0_14default_configENS1_20scan_config_selectorIsEEZZNS1_9scan_implILNS1_25lookback_scan_determinismE0ELb1ELb1ES3_N6thrust23THRUST_200600_302600_NS6detail15normal_iteratorINS9_10device_ptrIsEEEENS9_16discard_iteratorINS9_11use_defaultEEEs11max_functorIsEsEEDaPvRmT3_T4_T5_mT6_P12ihipStream_tbENKUlT_T0_E_clISt17integral_constantIbLb1EESW_IbLb0EEEEDaSS_ST_EUlSS_E_NS1_11comp_targetILNS1_3genE0ELNS1_11target_archE4294967295ELNS1_3gpuE0ELNS1_3repE0EEENS1_30default_config_static_selectorELNS0_4arch9wavefront6targetE1EEEvT1_, .Lfunc_end4106-_ZN7rocprim17ROCPRIM_400000_NS6detail17trampoline_kernelINS0_14default_configENS1_20scan_config_selectorIsEEZZNS1_9scan_implILNS1_25lookback_scan_determinismE0ELb1ELb1ES3_N6thrust23THRUST_200600_302600_NS6detail15normal_iteratorINS9_10device_ptrIsEEEENS9_16discard_iteratorINS9_11use_defaultEEEs11max_functorIsEsEEDaPvRmT3_T4_T5_mT6_P12ihipStream_tbENKUlT_T0_E_clISt17integral_constantIbLb1EESW_IbLb0EEEEDaSS_ST_EUlSS_E_NS1_11comp_targetILNS1_3genE0ELNS1_11target_archE4294967295ELNS1_3gpuE0ELNS1_3repE0EEENS1_30default_config_static_selectorELNS0_4arch9wavefront6targetE1EEEvT1_
                                        ; -- End function
	.section	.AMDGPU.csdata,"",@progbits
; Kernel info:
; codeLenInByte = 0
; NumSgprs: 4
; NumVgprs: 0
; NumAgprs: 0
; TotalNumVgprs: 0
; ScratchSize: 0
; MemoryBound: 0
; FloatMode: 240
; IeeeMode: 1
; LDSByteSize: 0 bytes/workgroup (compile time only)
; SGPRBlocks: 0
; VGPRBlocks: 0
; NumSGPRsForWavesPerEU: 4
; NumVGPRsForWavesPerEU: 1
; AccumOffset: 4
; Occupancy: 8
; WaveLimiterHint : 0
; COMPUTE_PGM_RSRC2:SCRATCH_EN: 0
; COMPUTE_PGM_RSRC2:USER_SGPR: 6
; COMPUTE_PGM_RSRC2:TRAP_HANDLER: 0
; COMPUTE_PGM_RSRC2:TGID_X_EN: 1
; COMPUTE_PGM_RSRC2:TGID_Y_EN: 0
; COMPUTE_PGM_RSRC2:TGID_Z_EN: 0
; COMPUTE_PGM_RSRC2:TIDIG_COMP_CNT: 0
; COMPUTE_PGM_RSRC3_GFX90A:ACCUM_OFFSET: 0
; COMPUTE_PGM_RSRC3_GFX90A:TG_SPLIT: 0
	.section	.text._ZN7rocprim17ROCPRIM_400000_NS6detail17trampoline_kernelINS0_14default_configENS1_20scan_config_selectorIsEEZZNS1_9scan_implILNS1_25lookback_scan_determinismE0ELb1ELb1ES3_N6thrust23THRUST_200600_302600_NS6detail15normal_iteratorINS9_10device_ptrIsEEEENS9_16discard_iteratorINS9_11use_defaultEEEs11max_functorIsEsEEDaPvRmT3_T4_T5_mT6_P12ihipStream_tbENKUlT_T0_E_clISt17integral_constantIbLb1EESW_IbLb0EEEEDaSS_ST_EUlSS_E_NS1_11comp_targetILNS1_3genE5ELNS1_11target_archE942ELNS1_3gpuE9ELNS1_3repE0EEENS1_30default_config_static_selectorELNS0_4arch9wavefront6targetE1EEEvT1_,"axG",@progbits,_ZN7rocprim17ROCPRIM_400000_NS6detail17trampoline_kernelINS0_14default_configENS1_20scan_config_selectorIsEEZZNS1_9scan_implILNS1_25lookback_scan_determinismE0ELb1ELb1ES3_N6thrust23THRUST_200600_302600_NS6detail15normal_iteratorINS9_10device_ptrIsEEEENS9_16discard_iteratorINS9_11use_defaultEEEs11max_functorIsEsEEDaPvRmT3_T4_T5_mT6_P12ihipStream_tbENKUlT_T0_E_clISt17integral_constantIbLb1EESW_IbLb0EEEEDaSS_ST_EUlSS_E_NS1_11comp_targetILNS1_3genE5ELNS1_11target_archE942ELNS1_3gpuE9ELNS1_3repE0EEENS1_30default_config_static_selectorELNS0_4arch9wavefront6targetE1EEEvT1_,comdat
	.protected	_ZN7rocprim17ROCPRIM_400000_NS6detail17trampoline_kernelINS0_14default_configENS1_20scan_config_selectorIsEEZZNS1_9scan_implILNS1_25lookback_scan_determinismE0ELb1ELb1ES3_N6thrust23THRUST_200600_302600_NS6detail15normal_iteratorINS9_10device_ptrIsEEEENS9_16discard_iteratorINS9_11use_defaultEEEs11max_functorIsEsEEDaPvRmT3_T4_T5_mT6_P12ihipStream_tbENKUlT_T0_E_clISt17integral_constantIbLb1EESW_IbLb0EEEEDaSS_ST_EUlSS_E_NS1_11comp_targetILNS1_3genE5ELNS1_11target_archE942ELNS1_3gpuE9ELNS1_3repE0EEENS1_30default_config_static_selectorELNS0_4arch9wavefront6targetE1EEEvT1_ ; -- Begin function _ZN7rocprim17ROCPRIM_400000_NS6detail17trampoline_kernelINS0_14default_configENS1_20scan_config_selectorIsEEZZNS1_9scan_implILNS1_25lookback_scan_determinismE0ELb1ELb1ES3_N6thrust23THRUST_200600_302600_NS6detail15normal_iteratorINS9_10device_ptrIsEEEENS9_16discard_iteratorINS9_11use_defaultEEEs11max_functorIsEsEEDaPvRmT3_T4_T5_mT6_P12ihipStream_tbENKUlT_T0_E_clISt17integral_constantIbLb1EESW_IbLb0EEEEDaSS_ST_EUlSS_E_NS1_11comp_targetILNS1_3genE5ELNS1_11target_archE942ELNS1_3gpuE9ELNS1_3repE0EEENS1_30default_config_static_selectorELNS0_4arch9wavefront6targetE1EEEvT1_
	.globl	_ZN7rocprim17ROCPRIM_400000_NS6detail17trampoline_kernelINS0_14default_configENS1_20scan_config_selectorIsEEZZNS1_9scan_implILNS1_25lookback_scan_determinismE0ELb1ELb1ES3_N6thrust23THRUST_200600_302600_NS6detail15normal_iteratorINS9_10device_ptrIsEEEENS9_16discard_iteratorINS9_11use_defaultEEEs11max_functorIsEsEEDaPvRmT3_T4_T5_mT6_P12ihipStream_tbENKUlT_T0_E_clISt17integral_constantIbLb1EESW_IbLb0EEEEDaSS_ST_EUlSS_E_NS1_11comp_targetILNS1_3genE5ELNS1_11target_archE942ELNS1_3gpuE9ELNS1_3repE0EEENS1_30default_config_static_selectorELNS0_4arch9wavefront6targetE1EEEvT1_
	.p2align	8
	.type	_ZN7rocprim17ROCPRIM_400000_NS6detail17trampoline_kernelINS0_14default_configENS1_20scan_config_selectorIsEEZZNS1_9scan_implILNS1_25lookback_scan_determinismE0ELb1ELb1ES3_N6thrust23THRUST_200600_302600_NS6detail15normal_iteratorINS9_10device_ptrIsEEEENS9_16discard_iteratorINS9_11use_defaultEEEs11max_functorIsEsEEDaPvRmT3_T4_T5_mT6_P12ihipStream_tbENKUlT_T0_E_clISt17integral_constantIbLb1EESW_IbLb0EEEEDaSS_ST_EUlSS_E_NS1_11comp_targetILNS1_3genE5ELNS1_11target_archE942ELNS1_3gpuE9ELNS1_3repE0EEENS1_30default_config_static_selectorELNS0_4arch9wavefront6targetE1EEEvT1_,@function
_ZN7rocprim17ROCPRIM_400000_NS6detail17trampoline_kernelINS0_14default_configENS1_20scan_config_selectorIsEEZZNS1_9scan_implILNS1_25lookback_scan_determinismE0ELb1ELb1ES3_N6thrust23THRUST_200600_302600_NS6detail15normal_iteratorINS9_10device_ptrIsEEEENS9_16discard_iteratorINS9_11use_defaultEEEs11max_functorIsEsEEDaPvRmT3_T4_T5_mT6_P12ihipStream_tbENKUlT_T0_E_clISt17integral_constantIbLb1EESW_IbLb0EEEEDaSS_ST_EUlSS_E_NS1_11comp_targetILNS1_3genE5ELNS1_11target_archE942ELNS1_3gpuE9ELNS1_3repE0EEENS1_30default_config_static_selectorELNS0_4arch9wavefront6targetE1EEEvT1_: ; @_ZN7rocprim17ROCPRIM_400000_NS6detail17trampoline_kernelINS0_14default_configENS1_20scan_config_selectorIsEEZZNS1_9scan_implILNS1_25lookback_scan_determinismE0ELb1ELb1ES3_N6thrust23THRUST_200600_302600_NS6detail15normal_iteratorINS9_10device_ptrIsEEEENS9_16discard_iteratorINS9_11use_defaultEEEs11max_functorIsEsEEDaPvRmT3_T4_T5_mT6_P12ihipStream_tbENKUlT_T0_E_clISt17integral_constantIbLb1EESW_IbLb0EEEEDaSS_ST_EUlSS_E_NS1_11comp_targetILNS1_3genE5ELNS1_11target_archE942ELNS1_3gpuE9ELNS1_3repE0EEENS1_30default_config_static_selectorELNS0_4arch9wavefront6targetE1EEEvT1_
; %bb.0:
	.section	.rodata,"a",@progbits
	.p2align	6, 0x0
	.amdhsa_kernel _ZN7rocprim17ROCPRIM_400000_NS6detail17trampoline_kernelINS0_14default_configENS1_20scan_config_selectorIsEEZZNS1_9scan_implILNS1_25lookback_scan_determinismE0ELb1ELb1ES3_N6thrust23THRUST_200600_302600_NS6detail15normal_iteratorINS9_10device_ptrIsEEEENS9_16discard_iteratorINS9_11use_defaultEEEs11max_functorIsEsEEDaPvRmT3_T4_T5_mT6_P12ihipStream_tbENKUlT_T0_E_clISt17integral_constantIbLb1EESW_IbLb0EEEEDaSS_ST_EUlSS_E_NS1_11comp_targetILNS1_3genE5ELNS1_11target_archE942ELNS1_3gpuE9ELNS1_3repE0EEENS1_30default_config_static_selectorELNS0_4arch9wavefront6targetE1EEEvT1_
		.amdhsa_group_segment_fixed_size 0
		.amdhsa_private_segment_fixed_size 0
		.amdhsa_kernarg_size 104
		.amdhsa_user_sgpr_count 6
		.amdhsa_user_sgpr_private_segment_buffer 1
		.amdhsa_user_sgpr_dispatch_ptr 0
		.amdhsa_user_sgpr_queue_ptr 0
		.amdhsa_user_sgpr_kernarg_segment_ptr 1
		.amdhsa_user_sgpr_dispatch_id 0
		.amdhsa_user_sgpr_flat_scratch_init 0
		.amdhsa_user_sgpr_kernarg_preload_length 0
		.amdhsa_user_sgpr_kernarg_preload_offset 0
		.amdhsa_user_sgpr_private_segment_size 0
		.amdhsa_uses_dynamic_stack 0
		.amdhsa_system_sgpr_private_segment_wavefront_offset 0
		.amdhsa_system_sgpr_workgroup_id_x 1
		.amdhsa_system_sgpr_workgroup_id_y 0
		.amdhsa_system_sgpr_workgroup_id_z 0
		.amdhsa_system_sgpr_workgroup_info 0
		.amdhsa_system_vgpr_workitem_id 0
		.amdhsa_next_free_vgpr 1
		.amdhsa_next_free_sgpr 0
		.amdhsa_accum_offset 4
		.amdhsa_reserve_vcc 0
		.amdhsa_reserve_flat_scratch 0
		.amdhsa_float_round_mode_32 0
		.amdhsa_float_round_mode_16_64 0
		.amdhsa_float_denorm_mode_32 3
		.amdhsa_float_denorm_mode_16_64 3
		.amdhsa_dx10_clamp 1
		.amdhsa_ieee_mode 1
		.amdhsa_fp16_overflow 0
		.amdhsa_tg_split 0
		.amdhsa_exception_fp_ieee_invalid_op 0
		.amdhsa_exception_fp_denorm_src 0
		.amdhsa_exception_fp_ieee_div_zero 0
		.amdhsa_exception_fp_ieee_overflow 0
		.amdhsa_exception_fp_ieee_underflow 0
		.amdhsa_exception_fp_ieee_inexact 0
		.amdhsa_exception_int_div_zero 0
	.end_amdhsa_kernel
	.section	.text._ZN7rocprim17ROCPRIM_400000_NS6detail17trampoline_kernelINS0_14default_configENS1_20scan_config_selectorIsEEZZNS1_9scan_implILNS1_25lookback_scan_determinismE0ELb1ELb1ES3_N6thrust23THRUST_200600_302600_NS6detail15normal_iteratorINS9_10device_ptrIsEEEENS9_16discard_iteratorINS9_11use_defaultEEEs11max_functorIsEsEEDaPvRmT3_T4_T5_mT6_P12ihipStream_tbENKUlT_T0_E_clISt17integral_constantIbLb1EESW_IbLb0EEEEDaSS_ST_EUlSS_E_NS1_11comp_targetILNS1_3genE5ELNS1_11target_archE942ELNS1_3gpuE9ELNS1_3repE0EEENS1_30default_config_static_selectorELNS0_4arch9wavefront6targetE1EEEvT1_,"axG",@progbits,_ZN7rocprim17ROCPRIM_400000_NS6detail17trampoline_kernelINS0_14default_configENS1_20scan_config_selectorIsEEZZNS1_9scan_implILNS1_25lookback_scan_determinismE0ELb1ELb1ES3_N6thrust23THRUST_200600_302600_NS6detail15normal_iteratorINS9_10device_ptrIsEEEENS9_16discard_iteratorINS9_11use_defaultEEEs11max_functorIsEsEEDaPvRmT3_T4_T5_mT6_P12ihipStream_tbENKUlT_T0_E_clISt17integral_constantIbLb1EESW_IbLb0EEEEDaSS_ST_EUlSS_E_NS1_11comp_targetILNS1_3genE5ELNS1_11target_archE942ELNS1_3gpuE9ELNS1_3repE0EEENS1_30default_config_static_selectorELNS0_4arch9wavefront6targetE1EEEvT1_,comdat
.Lfunc_end4107:
	.size	_ZN7rocprim17ROCPRIM_400000_NS6detail17trampoline_kernelINS0_14default_configENS1_20scan_config_selectorIsEEZZNS1_9scan_implILNS1_25lookback_scan_determinismE0ELb1ELb1ES3_N6thrust23THRUST_200600_302600_NS6detail15normal_iteratorINS9_10device_ptrIsEEEENS9_16discard_iteratorINS9_11use_defaultEEEs11max_functorIsEsEEDaPvRmT3_T4_T5_mT6_P12ihipStream_tbENKUlT_T0_E_clISt17integral_constantIbLb1EESW_IbLb0EEEEDaSS_ST_EUlSS_E_NS1_11comp_targetILNS1_3genE5ELNS1_11target_archE942ELNS1_3gpuE9ELNS1_3repE0EEENS1_30default_config_static_selectorELNS0_4arch9wavefront6targetE1EEEvT1_, .Lfunc_end4107-_ZN7rocprim17ROCPRIM_400000_NS6detail17trampoline_kernelINS0_14default_configENS1_20scan_config_selectorIsEEZZNS1_9scan_implILNS1_25lookback_scan_determinismE0ELb1ELb1ES3_N6thrust23THRUST_200600_302600_NS6detail15normal_iteratorINS9_10device_ptrIsEEEENS9_16discard_iteratorINS9_11use_defaultEEEs11max_functorIsEsEEDaPvRmT3_T4_T5_mT6_P12ihipStream_tbENKUlT_T0_E_clISt17integral_constantIbLb1EESW_IbLb0EEEEDaSS_ST_EUlSS_E_NS1_11comp_targetILNS1_3genE5ELNS1_11target_archE942ELNS1_3gpuE9ELNS1_3repE0EEENS1_30default_config_static_selectorELNS0_4arch9wavefront6targetE1EEEvT1_
                                        ; -- End function
	.section	.AMDGPU.csdata,"",@progbits
; Kernel info:
; codeLenInByte = 0
; NumSgprs: 4
; NumVgprs: 0
; NumAgprs: 0
; TotalNumVgprs: 0
; ScratchSize: 0
; MemoryBound: 0
; FloatMode: 240
; IeeeMode: 1
; LDSByteSize: 0 bytes/workgroup (compile time only)
; SGPRBlocks: 0
; VGPRBlocks: 0
; NumSGPRsForWavesPerEU: 4
; NumVGPRsForWavesPerEU: 1
; AccumOffset: 4
; Occupancy: 8
; WaveLimiterHint : 0
; COMPUTE_PGM_RSRC2:SCRATCH_EN: 0
; COMPUTE_PGM_RSRC2:USER_SGPR: 6
; COMPUTE_PGM_RSRC2:TRAP_HANDLER: 0
; COMPUTE_PGM_RSRC2:TGID_X_EN: 1
; COMPUTE_PGM_RSRC2:TGID_Y_EN: 0
; COMPUTE_PGM_RSRC2:TGID_Z_EN: 0
; COMPUTE_PGM_RSRC2:TIDIG_COMP_CNT: 0
; COMPUTE_PGM_RSRC3_GFX90A:ACCUM_OFFSET: 0
; COMPUTE_PGM_RSRC3_GFX90A:TG_SPLIT: 0
	.section	.text._ZN7rocprim17ROCPRIM_400000_NS6detail17trampoline_kernelINS0_14default_configENS1_20scan_config_selectorIsEEZZNS1_9scan_implILNS1_25lookback_scan_determinismE0ELb1ELb1ES3_N6thrust23THRUST_200600_302600_NS6detail15normal_iteratorINS9_10device_ptrIsEEEENS9_16discard_iteratorINS9_11use_defaultEEEs11max_functorIsEsEEDaPvRmT3_T4_T5_mT6_P12ihipStream_tbENKUlT_T0_E_clISt17integral_constantIbLb1EESW_IbLb0EEEEDaSS_ST_EUlSS_E_NS1_11comp_targetILNS1_3genE4ELNS1_11target_archE910ELNS1_3gpuE8ELNS1_3repE0EEENS1_30default_config_static_selectorELNS0_4arch9wavefront6targetE1EEEvT1_,"axG",@progbits,_ZN7rocprim17ROCPRIM_400000_NS6detail17trampoline_kernelINS0_14default_configENS1_20scan_config_selectorIsEEZZNS1_9scan_implILNS1_25lookback_scan_determinismE0ELb1ELb1ES3_N6thrust23THRUST_200600_302600_NS6detail15normal_iteratorINS9_10device_ptrIsEEEENS9_16discard_iteratorINS9_11use_defaultEEEs11max_functorIsEsEEDaPvRmT3_T4_T5_mT6_P12ihipStream_tbENKUlT_T0_E_clISt17integral_constantIbLb1EESW_IbLb0EEEEDaSS_ST_EUlSS_E_NS1_11comp_targetILNS1_3genE4ELNS1_11target_archE910ELNS1_3gpuE8ELNS1_3repE0EEENS1_30default_config_static_selectorELNS0_4arch9wavefront6targetE1EEEvT1_,comdat
	.protected	_ZN7rocprim17ROCPRIM_400000_NS6detail17trampoline_kernelINS0_14default_configENS1_20scan_config_selectorIsEEZZNS1_9scan_implILNS1_25lookback_scan_determinismE0ELb1ELb1ES3_N6thrust23THRUST_200600_302600_NS6detail15normal_iteratorINS9_10device_ptrIsEEEENS9_16discard_iteratorINS9_11use_defaultEEEs11max_functorIsEsEEDaPvRmT3_T4_T5_mT6_P12ihipStream_tbENKUlT_T0_E_clISt17integral_constantIbLb1EESW_IbLb0EEEEDaSS_ST_EUlSS_E_NS1_11comp_targetILNS1_3genE4ELNS1_11target_archE910ELNS1_3gpuE8ELNS1_3repE0EEENS1_30default_config_static_selectorELNS0_4arch9wavefront6targetE1EEEvT1_ ; -- Begin function _ZN7rocprim17ROCPRIM_400000_NS6detail17trampoline_kernelINS0_14default_configENS1_20scan_config_selectorIsEEZZNS1_9scan_implILNS1_25lookback_scan_determinismE0ELb1ELb1ES3_N6thrust23THRUST_200600_302600_NS6detail15normal_iteratorINS9_10device_ptrIsEEEENS9_16discard_iteratorINS9_11use_defaultEEEs11max_functorIsEsEEDaPvRmT3_T4_T5_mT6_P12ihipStream_tbENKUlT_T0_E_clISt17integral_constantIbLb1EESW_IbLb0EEEEDaSS_ST_EUlSS_E_NS1_11comp_targetILNS1_3genE4ELNS1_11target_archE910ELNS1_3gpuE8ELNS1_3repE0EEENS1_30default_config_static_selectorELNS0_4arch9wavefront6targetE1EEEvT1_
	.globl	_ZN7rocprim17ROCPRIM_400000_NS6detail17trampoline_kernelINS0_14default_configENS1_20scan_config_selectorIsEEZZNS1_9scan_implILNS1_25lookback_scan_determinismE0ELb1ELb1ES3_N6thrust23THRUST_200600_302600_NS6detail15normal_iteratorINS9_10device_ptrIsEEEENS9_16discard_iteratorINS9_11use_defaultEEEs11max_functorIsEsEEDaPvRmT3_T4_T5_mT6_P12ihipStream_tbENKUlT_T0_E_clISt17integral_constantIbLb1EESW_IbLb0EEEEDaSS_ST_EUlSS_E_NS1_11comp_targetILNS1_3genE4ELNS1_11target_archE910ELNS1_3gpuE8ELNS1_3repE0EEENS1_30default_config_static_selectorELNS0_4arch9wavefront6targetE1EEEvT1_
	.p2align	8
	.type	_ZN7rocprim17ROCPRIM_400000_NS6detail17trampoline_kernelINS0_14default_configENS1_20scan_config_selectorIsEEZZNS1_9scan_implILNS1_25lookback_scan_determinismE0ELb1ELb1ES3_N6thrust23THRUST_200600_302600_NS6detail15normal_iteratorINS9_10device_ptrIsEEEENS9_16discard_iteratorINS9_11use_defaultEEEs11max_functorIsEsEEDaPvRmT3_T4_T5_mT6_P12ihipStream_tbENKUlT_T0_E_clISt17integral_constantIbLb1EESW_IbLb0EEEEDaSS_ST_EUlSS_E_NS1_11comp_targetILNS1_3genE4ELNS1_11target_archE910ELNS1_3gpuE8ELNS1_3repE0EEENS1_30default_config_static_selectorELNS0_4arch9wavefront6targetE1EEEvT1_,@function
_ZN7rocprim17ROCPRIM_400000_NS6detail17trampoline_kernelINS0_14default_configENS1_20scan_config_selectorIsEEZZNS1_9scan_implILNS1_25lookback_scan_determinismE0ELb1ELb1ES3_N6thrust23THRUST_200600_302600_NS6detail15normal_iteratorINS9_10device_ptrIsEEEENS9_16discard_iteratorINS9_11use_defaultEEEs11max_functorIsEsEEDaPvRmT3_T4_T5_mT6_P12ihipStream_tbENKUlT_T0_E_clISt17integral_constantIbLb1EESW_IbLb0EEEEDaSS_ST_EUlSS_E_NS1_11comp_targetILNS1_3genE4ELNS1_11target_archE910ELNS1_3gpuE8ELNS1_3repE0EEENS1_30default_config_static_selectorELNS0_4arch9wavefront6targetE1EEEvT1_: ; @_ZN7rocprim17ROCPRIM_400000_NS6detail17trampoline_kernelINS0_14default_configENS1_20scan_config_selectorIsEEZZNS1_9scan_implILNS1_25lookback_scan_determinismE0ELb1ELb1ES3_N6thrust23THRUST_200600_302600_NS6detail15normal_iteratorINS9_10device_ptrIsEEEENS9_16discard_iteratorINS9_11use_defaultEEEs11max_functorIsEsEEDaPvRmT3_T4_T5_mT6_P12ihipStream_tbENKUlT_T0_E_clISt17integral_constantIbLb1EESW_IbLb0EEEEDaSS_ST_EUlSS_E_NS1_11comp_targetILNS1_3genE4ELNS1_11target_archE910ELNS1_3gpuE8ELNS1_3repE0EEENS1_30default_config_static_selectorELNS0_4arch9wavefront6targetE1EEEvT1_
; %bb.0:
	s_load_dwordx4 s[0:3], s[4:5], 0x0
	s_load_dwordx2 s[8:9], s[4:5], 0x20
	s_load_dword s7, s[4:5], 0x38
	v_lshlrev_b32_e32 v1, 1, v0
	s_waitcnt lgkmcnt(0)
	s_lshl_b64 s[2:3], s[2:3], 1
	s_add_u32 s21, s0, s2
	s_addc_u32 s22, s1, s3
	s_add_i32 s2, s7, -1
	s_mul_i32 s3, s2, 0x600
	s_sub_u32 s7, s8, s3
	s_subb_u32 s20, s9, 0
	s_mul_i32 s0, s6, 0x600
	s_mov_b32 s1, 0
	s_cmp_lg_u32 s6, s2
	s_cselect_b64 s[16:17], -1, 0
	s_lshl_b64 s[0:1], s[0:1], 1
	s_add_u32 s0, s21, s0
	s_addc_u32 s1, s22, s1
	s_mov_b64 s[2:3], -1
	s_and_b64 vcc, exec, s[16:17]
	s_cbranch_vccz .LBB4108_2
; %bb.1:
	v_mov_b32_e32 v3, s1
	v_add_co_u32_e32 v2, vcc, s0, v1
	v_addc_co_u32_e32 v3, vcc, 0, v3, vcc
	flat_load_ushort v4, v[2:3]
	flat_load_ushort v5, v[2:3] offset:128
	flat_load_ushort v6, v[2:3] offset:256
	;; [unrolled: 1-line block ×23, first 2 shown]
	s_mov_b64 s[2:3], 0
	s_waitcnt vmcnt(0) lgkmcnt(0)
	ds_write_b16 v1, v4
	ds_write_b16 v1, v5 offset:128
	ds_write_b16 v1, v6 offset:256
	;; [unrolled: 1-line block ×23, first 2 shown]
	s_waitcnt lgkmcnt(0)
	; wave barrier
.LBB4108_2:
	s_load_dwordx2 s[18:19], s[4:5], 0x30
	s_andn2_b64 vcc, exec, s[2:3]
	s_cbranch_vccnz .LBB4108_52
; %bb.3:
	v_pk_mov_b32 v[2:3], s[0:1], s[0:1] op_sel:[0,1]
	flat_load_ushort v2, v[2:3]
	v_cmp_gt_u32_e32 vcc, s7, v0
	s_waitcnt vmcnt(0) lgkmcnt(0)
	v_mov_b32_e32 v3, v2
	s_and_saveexec_b64 s[2:3], vcc
	s_cbranch_execz .LBB4108_5
; %bb.4:
	v_mov_b32_e32 v3, s1
	v_add_co_u32_e32 v4, vcc, s0, v1
	v_addc_co_u32_e32 v5, vcc, 0, v3, vcc
	flat_load_ushort v3, v[4:5]
.LBB4108_5:
	s_or_b64 exec, exec, s[2:3]
	v_or_b32_e32 v4, 64, v0
	v_cmp_gt_u32_e32 vcc, s7, v4
	v_mov_b32_e32 v4, v2
	s_and_saveexec_b64 s[2:3], vcc
	s_cbranch_execz .LBB4108_7
; %bb.6:
	v_mov_b32_e32 v5, s1
	v_add_co_u32_e32 v4, vcc, s0, v1
	v_addc_co_u32_e32 v5, vcc, 0, v5, vcc
	flat_load_ushort v4, v[4:5] offset:128
.LBB4108_7:
	s_or_b64 exec, exec, s[2:3]
	v_or_b32_e32 v5, 0x80, v0
	v_cmp_gt_u32_e32 vcc, s7, v5
	v_mov_b32_e32 v5, v2
	s_and_saveexec_b64 s[2:3], vcc
	s_cbranch_execz .LBB4108_9
; %bb.8:
	v_mov_b32_e32 v5, s1
	v_add_co_u32_e32 v6, vcc, s0, v1
	v_addc_co_u32_e32 v7, vcc, 0, v5, vcc
	flat_load_ushort v5, v[6:7] offset:256
.LBB4108_9:
	;; [unrolled: 12-line block ×22, first 2 shown]
	s_or_b64 exec, exec, s[2:3]
	v_or_b32_e32 v26, 0x5c0, v0
	v_cmp_gt_u32_e32 vcc, s7, v26
	s_and_saveexec_b64 s[2:3], vcc
	s_cbranch_execz .LBB4108_51
; %bb.50:
	v_mov_b32_e32 v2, s1
	v_add_co_u32_e32 v26, vcc, s0, v1
	v_addc_co_u32_e32 v27, vcc, 0, v2, vcc
	flat_load_ushort v2, v[26:27] offset:2944
.LBB4108_51:
	s_or_b64 exec, exec, s[2:3]
	s_waitcnt vmcnt(0) lgkmcnt(0)
	ds_write_b16 v1, v3
	ds_write_b16 v1, v4 offset:128
	ds_write_b16 v1, v5 offset:256
	;; [unrolled: 1-line block ×23, first 2 shown]
	s_waitcnt lgkmcnt(0)
	; wave barrier
.LBB4108_52:
	v_mul_u32_u24_e32 v20, 24, v0
	v_lshlrev_b32_e32 v21, 1, v20
	s_waitcnt lgkmcnt(0)
	ds_read_b128 v[10:13], v21
	ds_read_b128 v[6:9], v21 offset:16
	ds_read_b128 v[2:5], v21 offset:32
	s_cmp_lg_u32 s6, 0
	v_mbcnt_lo_u32_b32 v32, -1, 0
	s_waitcnt lgkmcnt(2)
	v_lshrrev_b32_e32 v30, 16, v11
	v_max_i16_sdwa v14, v10, v10 dst_sel:DWORD dst_unused:UNUSED_PAD src0_sel:DWORD src1_sel:WORD_1
	v_lshrrev_b32_e32 v29, 16, v12
	v_lshrrev_b32_e32 v28, 16, v13
	s_waitcnt lgkmcnt(1)
	v_lshrrev_b32_e32 v27, 16, v6
	v_lshrrev_b32_e32 v26, 16, v7
	;; [unrolled: 1-line block ×4, first 2 shown]
	s_waitcnt lgkmcnt(0)
	v_lshrrev_b32_e32 v23, 16, v2
	v_lshrrev_b32_e32 v22, 16, v3
	v_lshrrev_b32_e32 v1, 16, v4
	v_lshrrev_b32_e32 v31, 16, v5
	v_max3_i16 v33, v14, v11, v30
	v_cmp_eq_u32_e32 vcc, 63, v0
	s_waitcnt lgkmcnt(0)
	; wave barrier
	s_cbranch_scc0 .LBB4108_79
; %bb.53:
	v_max3_i16 v14, v33, v12, v29
	v_max3_i16 v14, v14, v13, v28
	;; [unrolled: 1-line block ×10, first 2 shown]
	v_mbcnt_hi_u32_b32 v15, -1, v32
	v_and_b32_e32 v17, 0xffff, v14
	v_and_b32_e32 v16, 15, v15
	v_cmp_eq_u32_e64 s[0:1], 0, v16
	v_mov_b32_dpp v17, v17 row_shr:1 row_mask:0xf bank_mask:0xf
	v_max_i16_e32 v17, v17, v14
	v_cndmask_b32_e64 v14, v17, v14, s[0:1]
	v_and_b32_e32 v17, 0xffff, v14
	v_cmp_lt_u32_e64 s[0:1], 1, v16
	s_nop 0
	v_mov_b32_dpp v17, v17 row_shr:2 row_mask:0xf bank_mask:0xf
	v_max_i16_e32 v17, v17, v14
	v_cndmask_b32_e64 v14, v14, v17, s[0:1]
	v_and_b32_e32 v17, 0xffff, v14
	v_cmp_lt_u32_e64 s[0:1], 3, v16
	s_nop 0
	;; [unrolled: 6-line block ×3, first 2 shown]
	v_mov_b32_dpp v17, v17 row_shr:8 row_mask:0xf bank_mask:0xf
	v_max_i16_e32 v17, v17, v14
	v_cndmask_b32_e64 v14, v14, v17, s[0:1]
	v_and_b32_e32 v16, 0xffff, v14
	v_and_b32_e32 v17, 16, v15
	v_cmp_eq_u32_e64 s[0:1], 0, v17
	v_mov_b32_dpp v16, v16 row_bcast:15 row_mask:0xf bank_mask:0xf
	v_max_i16_e32 v16, v16, v14
	v_cndmask_b32_e64 v14, v16, v14, s[0:1]
	v_and_b32_e32 v16, 0xffff, v14
	v_cmp_lt_u32_e64 s[0:1], 31, v15
	s_nop 0
	v_mov_b32_dpp v16, v16 row_bcast:31 row_mask:0xf bank_mask:0xf
	v_max_i16_e32 v16, v16, v14
	v_cndmask_b32_e64 v14, v14, v16, s[0:1]
	s_and_saveexec_b64 s[0:1], vcc
	s_cbranch_execz .LBB4108_55
; %bb.54:
	v_mov_b32_e32 v16, 0
	ds_write_b16 v16, v14
.LBB4108_55:
	s_or_b64 exec, exec, s[0:1]
	v_add_u32_e32 v16, -1, v15
	v_and_b32_e32 v17, 64, v15
	v_cmp_lt_i32_e32 vcc, v16, v17
	v_cndmask_b32_e32 v16, v16, v15, vcc
	v_and_b32_e32 v14, 0xffff, v14
	v_lshlrev_b32_e32 v16, 2, v16
	ds_bpermute_b32 v34, v16, v14
	v_cmp_gt_u32_e32 vcc, 64, v0
	s_waitcnt lgkmcnt(0)
	; wave barrier
	s_waitcnt lgkmcnt(0)
	s_and_saveexec_b64 s[14:15], vcc
	s_cbranch_execz .LBB4108_78
; %bb.56:
	v_mov_b32_e32 v19, 0
	ds_read_u16 v35, v19
	s_mov_b32 s9, 0
	v_cmp_eq_u32_e64 s[0:1], 0, v15
	s_and_saveexec_b64 s[2:3], s[0:1]
	s_cbranch_execz .LBB4108_58
; %bb.57:
	s_add_i32 s8, s6, 64
	s_lshl_b64 s[8:9], s[8:9], 2
	s_add_u32 s8, s18, s8
	s_waitcnt lgkmcnt(0)
	v_or_b32_e32 v14, 0x10000, v35
	s_addc_u32 s9, s19, s9
	global_store_dword v19, v14, s[8:9]
.LBB4108_58:
	s_or_b64 exec, exec, s[2:3]
	v_xad_u32 v14, v15, -1, s6
	v_add_u32_e32 v18, 64, v14
	v_lshlrev_b64 v[16:17], 2, v[18:19]
	v_mov_b32_e32 v18, s19
	v_add_co_u32_e32 v16, vcc, s18, v16
	v_addc_co_u32_e32 v17, vcc, v18, v17, vcc
	global_load_dword v18, v[16:17], off glc
	s_waitcnt vmcnt(0)
	v_lshrrev_b32_e32 v39, 16, v18
	v_cmp_eq_u16_sdwa s[8:9], v39, v19 src0_sel:BYTE_0 src1_sel:DWORD
	s_and_saveexec_b64 s[2:3], s[8:9]
	s_cbranch_execz .LBB4108_64
; %bb.59:
	s_mov_b32 s10, 1
	s_mov_b64 s[8:9], 0
	v_mov_b32_e32 v19, 0
.LBB4108_60:                            ; =>This Loop Header: Depth=1
                                        ;     Child Loop BB4108_61 Depth 2
	s_max_u32 s11, s10, 1
.LBB4108_61:                            ;   Parent Loop BB4108_60 Depth=1
                                        ; =>  This Inner Loop Header: Depth=2
	s_add_i32 s11, s11, -1
	s_cmp_eq_u32 s11, 0
	s_sleep 1
	s_cbranch_scc0 .LBB4108_61
; %bb.62:                               ;   in Loop: Header=BB4108_60 Depth=1
	global_load_dword v18, v[16:17], off glc
	s_cmp_lt_u32 s10, 32
	s_cselect_b64 s[12:13], -1, 0
	s_cmp_lg_u64 s[12:13], 0
	s_addc_u32 s10, s10, 0
	s_waitcnt vmcnt(0)
	v_lshrrev_b32_e32 v39, 16, v18
	v_cmp_ne_u16_sdwa s[12:13], v39, v19 src0_sel:BYTE_0 src1_sel:DWORD
	s_or_b64 s[8:9], s[12:13], s[8:9]
	s_andn2_b64 exec, exec, s[8:9]
	s_cbranch_execnz .LBB4108_60
; %bb.63:
	s_or_b64 exec, exec, s[8:9]
.LBB4108_64:
	s_or_b64 exec, exec, s[2:3]
	v_and_b32_e32 v37, 63, v15
	v_cmp_ne_u32_e32 vcc, 63, v37
	v_mov_b32_e32 v36, 2
	v_addc_co_u32_e32 v38, vcc, 0, v15, vcc
	v_cmp_eq_u16_sdwa s[2:3], v39, v36 src0_sel:BYTE_0 src1_sel:DWORD
	v_lshlrev_b64 v[16:17], v15, -1
	v_and_b32_e32 v41, 0xffff, v18
	v_lshlrev_b32_e32 v38, 2, v38
	v_and_b32_e32 v19, s3, v17
	ds_bpermute_b32 v42, v38, v41
	v_or_b32_e32 v19, 0x80000000, v19
	v_and_b32_e32 v40, s2, v16
	v_ffbl_b32_e32 v19, v19
	v_add_u32_e32 v19, 32, v19
	v_ffbl_b32_e32 v40, v40
	v_cmp_gt_u32_e64 s[2:3], 62, v37
	v_min_u32_e32 v19, v40, v19
	v_cndmask_b32_e64 v40, 0, 1, s[2:3]
	s_waitcnt lgkmcnt(0)
	v_max_i16_e32 v42, v42, v18
	v_cmp_lt_u32_e32 vcc, v37, v19
	v_lshlrev_b32_e32 v40, 1, v40
	v_cndmask_b32_e32 v43, v41, v42, vcc
	v_add_lshl_u32 v40, v40, v15, 2
	ds_bpermute_b32 v44, v40, v43
	v_cmp_gt_u32_e64 s[8:9], 60, v37
	v_cndmask_b32_e32 v45, v18, v42, vcc
	v_add_u32_e32 v41, 2, v37
	v_cndmask_b32_e64 v42, 0, 1, s[8:9]
	s_waitcnt lgkmcnt(0)
	v_max_i16_e32 v44, v44, v45
	v_cmp_gt_u32_e64 s[2:3], v41, v19
	v_lshlrev_b32_e32 v42, 2, v42
	v_cndmask_b32_e64 v46, v44, v43, s[2:3]
	v_add_lshl_u32 v42, v42, v15, 2
	ds_bpermute_b32 v47, v42, v46
	v_cmp_gt_u32_e64 s[8:9], 56, v37
	v_cndmask_b32_e64 v48, v44, v45, s[2:3]
	v_add_u32_e32 v43, 4, v37
	v_cndmask_b32_e64 v44, 0, 1, s[8:9]
	s_waitcnt lgkmcnt(0)
	v_max_i16_e32 v51, v47, v48
	v_cmp_gt_u32_e64 s[2:3], v43, v19
	v_lshlrev_b32_e32 v44, 3, v44
	v_cndmask_b32_e64 v46, v51, v46, s[2:3]
	v_add_lshl_u32 v44, v44, v15, 2
	ds_bpermute_b32 v47, v44, v46
	v_cndmask_b32_e64 v49, v51, v48, s[2:3]
	v_add_u32_e32 v45, 8, v37
	v_cmp_gt_u32_e64 s[8:9], v45, v19
	v_cmp_gt_u32_e64 s[10:11], 48, v37
	s_waitcnt lgkmcnt(0)
	v_max_i16_e32 v52, v47, v49
	v_cndmask_b32_e64 v50, v52, v46, s[8:9]
	v_cndmask_b32_e64 v46, 0, 1, s[10:11]
	v_lshlrev_b32_e32 v46, 4, v46
	v_add_lshl_u32 v46, v46, v15, 2
	ds_bpermute_b32 v53, v46, v50
	v_cmp_gt_u32_e64 s[12:13], 32, v37
	v_cndmask_b32_e64 v54, v52, v49, s[8:9]
	v_add_u32_e32 v47, 16, v37
	v_cndmask_b32_e64 v49, 0, 1, s[12:13]
	s_waitcnt lgkmcnt(0)
	v_max_i16_e32 v53, v53, v54
	v_cmp_gt_u32_e64 s[10:11], v47, v19
	v_lshlrev_b32_e32 v49, 5, v49
	v_cndmask_b32_e64 v50, v53, v50, s[10:11]
	v_add_lshl_u32 v49, v49, v15, 2
	ds_bpermute_b32 v15, v49, v50
	v_cndmask_b32_e32 v18, v18, v48, vcc
	v_cndmask_b32_e64 v18, v51, v18, s[2:3]
	v_add_u32_e32 v50, 32, v37
	v_cndmask_b32_e64 v54, v53, v54, s[10:11]
	v_cndmask_b32_e64 v18, v52, v18, s[8:9]
	s_waitcnt lgkmcnt(0)
	v_max_i16_e32 v15, v15, v54
	v_cndmask_b32_e64 v18, v53, v18, s[10:11]
	v_cmp_gt_u32_e32 vcc, v50, v19
	v_cndmask_b32_e32 v18, v15, v18, vcc
	v_mov_b32_e32 v15, 0
	s_branch .LBB4108_66
.LBB4108_65:                            ;   in Loop: Header=BB4108_66 Depth=1
	s_or_b64 exec, exec, s[2:3]
	v_cmp_eq_u16_sdwa s[2:3], v39, v36 src0_sel:BYTE_0 src1_sel:DWORD
	v_and_b32_e32 v52, 0xffff, v51
	v_and_b32_e32 v18, s3, v17
	ds_bpermute_b32 v53, v38, v52
	v_or_b32_e32 v18, 0x80000000, v18
	v_and_b32_e32 v19, s2, v16
	v_ffbl_b32_e32 v18, v18
	v_add_u32_e32 v18, 32, v18
	v_ffbl_b32_e32 v19, v19
	v_min_u32_e32 v18, v19, v18
	s_waitcnt lgkmcnt(0)
	v_max_i16_e32 v19, v53, v51
	v_cmp_lt_u32_e32 vcc, v37, v18
	v_cndmask_b32_e32 v52, v52, v19, vcc
	ds_bpermute_b32 v53, v40, v52
	v_cndmask_b32_e32 v19, v51, v19, vcc
	v_cmp_gt_u32_e64 s[2:3], v41, v18
	v_cmp_gt_u32_e64 s[8:9], v45, v18
	v_subrev_u32_e32 v14, 64, v14
	s_waitcnt lgkmcnt(0)
	v_max_i16_e32 v53, v53, v19
	v_cndmask_b32_e64 v52, v53, v52, s[2:3]
	ds_bpermute_b32 v54, v42, v52
	v_cndmask_b32_e64 v19, v53, v19, s[2:3]
	v_cmp_gt_u32_e64 s[2:3], v43, v18
	s_waitcnt lgkmcnt(0)
	v_max_i16_e32 v53, v54, v19
	v_cndmask_b32_e64 v52, v53, v52, s[2:3]
	ds_bpermute_b32 v54, v44, v52
	v_cndmask_b32_e64 v55, v53, v19, s[2:3]
	v_cndmask_b32_e32 v19, v51, v19, vcc
	v_cmp_gt_u32_e32 vcc, v47, v18
	v_cndmask_b32_e64 v19, v53, v19, s[2:3]
	s_waitcnt lgkmcnt(0)
	v_max_i16_e32 v54, v54, v55
	v_cndmask_b32_e64 v52, v54, v52, s[8:9]
	ds_bpermute_b32 v56, v46, v52
	v_cndmask_b32_e64 v51, v54, v55, s[8:9]
	v_cndmask_b32_e64 v19, v54, v19, s[8:9]
	s_waitcnt lgkmcnt(0)
	v_max_i16_e32 v55, v56, v51
	v_cndmask_b32_e32 v52, v55, v52, vcc
	ds_bpermute_b32 v52, v49, v52
	v_cndmask_b32_e32 v51, v55, v51, vcc
	v_cndmask_b32_e32 v19, v55, v19, vcc
	v_cmp_gt_u32_e32 vcc, v50, v18
	s_waitcnt lgkmcnt(0)
	v_max_i16_e32 v51, v52, v51
	v_cndmask_b32_e32 v18, v51, v19, vcc
	v_max_i16_e32 v18, v18, v48
.LBB4108_66:                            ; =>This Loop Header: Depth=1
                                        ;     Child Loop BB4108_69 Depth 2
                                        ;       Child Loop BB4108_70 Depth 3
	v_cmp_ne_u16_sdwa s[2:3], v39, v36 src0_sel:BYTE_0 src1_sel:DWORD
	v_cndmask_b32_e64 v19, 0, 1, s[2:3]
	;;#ASMSTART
	;;#ASMEND
	v_cmp_ne_u32_e32 vcc, 0, v19
	s_cmp_lg_u64 vcc, exec
	v_mov_b32_e32 v48, v18
	s_cbranch_scc1 .LBB4108_73
; %bb.67:                               ;   in Loop: Header=BB4108_66 Depth=1
	v_lshlrev_b64 v[18:19], 2, v[14:15]
	v_mov_b32_e32 v39, s19
	v_add_co_u32_e32 v18, vcc, s18, v18
	v_addc_co_u32_e32 v19, vcc, v39, v19, vcc
	global_load_dword v51, v[18:19], off glc
	s_waitcnt vmcnt(0)
	v_lshrrev_b32_e32 v39, 16, v51
	v_cmp_eq_u16_sdwa s[8:9], v39, v15 src0_sel:BYTE_0 src1_sel:DWORD
	s_and_saveexec_b64 s[2:3], s[8:9]
	s_cbranch_execz .LBB4108_65
; %bb.68:                               ;   in Loop: Header=BB4108_66 Depth=1
	s_mov_b32 s10, 1
	s_mov_b64 s[8:9], 0
.LBB4108_69:                            ;   Parent Loop BB4108_66 Depth=1
                                        ; =>  This Loop Header: Depth=2
                                        ;       Child Loop BB4108_70 Depth 3
	s_max_u32 s11, s10, 1
.LBB4108_70:                            ;   Parent Loop BB4108_66 Depth=1
                                        ;     Parent Loop BB4108_69 Depth=2
                                        ; =>    This Inner Loop Header: Depth=3
	s_add_i32 s11, s11, -1
	s_cmp_eq_u32 s11, 0
	s_sleep 1
	s_cbranch_scc0 .LBB4108_70
; %bb.71:                               ;   in Loop: Header=BB4108_69 Depth=2
	global_load_dword v51, v[18:19], off glc
	s_cmp_lt_u32 s10, 32
	s_cselect_b64 s[12:13], -1, 0
	s_cmp_lg_u64 s[12:13], 0
	s_addc_u32 s10, s10, 0
	s_waitcnt vmcnt(0)
	v_lshrrev_b32_e32 v39, 16, v51
	v_cmp_ne_u16_sdwa s[12:13], v39, v15 src0_sel:BYTE_0 src1_sel:DWORD
	s_or_b64 s[8:9], s[12:13], s[8:9]
	s_andn2_b64 exec, exec, s[8:9]
	s_cbranch_execnz .LBB4108_69
; %bb.72:                               ;   in Loop: Header=BB4108_66 Depth=1
	s_or_b64 exec, exec, s[8:9]
	s_branch .LBB4108_65
.LBB4108_73:                            ;   in Loop: Header=BB4108_66 Depth=1
                                        ; implicit-def: $vgpr18
                                        ; implicit-def: $vgpr39
	s_cbranch_execz .LBB4108_66
; %bb.74:
	s_and_saveexec_b64 s[2:3], s[0:1]
	s_cbranch_execz .LBB4108_76
; %bb.75:
	s_add_i32 s0, s6, 64
	s_mov_b32 s1, 0
	s_lshl_b64 s[0:1], s[0:1], 2
	v_max_i16_e32 v14, v48, v35
	s_add_u32 s0, s18, s0
	v_or_b32_e32 v14, 0x20000, v14
	s_addc_u32 s1, s19, s1
	v_mov_b32_e32 v15, 0
	global_store_dword v15, v14, s[0:1]
.LBB4108_76:
	s_or_b64 exec, exec, s[2:3]
	v_cmp_eq_u32_e32 vcc, 0, v0
	s_and_b64 exec, exec, vcc
	s_cbranch_execz .LBB4108_78
; %bb.77:
	v_mov_b32_e32 v14, 0
	ds_write_b16 v14, v48
.LBB4108_78:
	s_or_b64 exec, exec, s[14:15]
	v_mov_b32_e32 v14, 0
	s_waitcnt lgkmcnt(0)
	; wave barrier
	s_waitcnt lgkmcnt(0)
	ds_read_u16 v14, v14
	v_cmp_eq_u32_e32 vcc, 0, v0
	s_waitcnt lgkmcnt(0)
	v_max_i16_e32 v15, v14, v34
	v_cndmask_b32_e32 v15, v15, v14, vcc
	v_max_i16_e32 v14, v15, v10
	v_max_i16_sdwa v16, v14, v10 dst_sel:DWORD dst_unused:UNUSED_PAD src0_sel:DWORD src1_sel:WORD_1
	v_max_i16_e32 v17, v16, v11
	v_max_i16_e32 v18, v17, v30
	;; [unrolled: 1-line block ×21, first 2 shown]
	s_load_dwordx8 s[8:15], s[4:5], 0x40
	s_branch .LBB4108_87
.LBB4108_79:
                                        ; implicit-def: $vgpr15
                                        ; implicit-def: $vgpr14
                                        ; implicit-def: $vgpr16
                                        ; implicit-def: $vgpr17
                                        ; implicit-def: $vgpr18
                                        ; implicit-def: $vgpr34
                                        ; implicit-def: $vgpr36
                                        ; implicit-def: $vgpr38
                                        ; implicit-def: $vgpr19
                                        ; implicit-def: $vgpr35
                                        ; implicit-def: $vgpr37
                                        ; implicit-def: $vgpr39
                                        ; implicit-def: $vgpr40
                                        ; implicit-def: $vgpr42
                                        ; implicit-def: $vgpr44
                                        ; implicit-def: $vgpr46
                                        ; implicit-def: $vgpr41
                                        ; implicit-def: $vgpr43
                                        ; implicit-def: $vgpr45
                                        ; implicit-def: $vgpr47
                                        ; implicit-def: $vgpr48
                                        ; implicit-def: $vgpr49
                                        ; implicit-def: $vgpr50
                                        ; implicit-def: $vgpr51
	s_load_dwordx8 s[8:15], s[4:5], 0x40
	s_cbranch_execz .LBB4108_87
; %bb.80:
	s_load_dword s0, s[4:5], 0x28
	s_waitcnt lgkmcnt(0)
	s_cmp_eq_u64 s[12:13], 0
	v_mov_b32_e32 v51, s0
	s_cbranch_scc1 .LBB4108_82
; %bb.81:
	v_mov_b32_e32 v14, 0
	global_load_ushort v16, v14, s[8:9]
	v_mov_b32_e32 v15, s22
	v_add_co_u32_e64 v14, vcc, -2, s21
	v_addc_co_u32_e32 v15, vcc, -1, v15, vcc
	flat_load_ushort v14, v[14:15]
	s_waitcnt vmcnt(0) lgkmcnt(0)
	v_max_i16_e32 v51, v16, v14
.LBB4108_82:
	v_max3_i16 v14, v33, v12, v29
	v_max3_i16 v14, v14, v13, v28
	;; [unrolled: 1-line block ×10, first 2 shown]
	v_mbcnt_hi_u32_b32 v14, -1, v32
	v_and_b32_e32 v17, 0xffff, v15
	v_and_b32_e32 v16, 15, v14
	v_cmp_eq_u32_e32 vcc, 0, v16
	v_mov_b32_dpp v17, v17 row_shr:1 row_mask:0xf bank_mask:0xf
	v_max_i16_e32 v17, v17, v15
	v_cndmask_b32_e32 v15, v17, v15, vcc
	v_and_b32_e32 v17, 0xffff, v15
	v_cmp_lt_u32_e32 vcc, 1, v16
	s_nop 0
	v_mov_b32_dpp v17, v17 row_shr:2 row_mask:0xf bank_mask:0xf
	v_max_i16_e32 v17, v17, v15
	v_cndmask_b32_e32 v15, v15, v17, vcc
	v_and_b32_e32 v17, 0xffff, v15
	v_cmp_lt_u32_e32 vcc, 3, v16
	s_nop 0
	;; [unrolled: 6-line block ×3, first 2 shown]
	v_mov_b32_dpp v17, v17 row_shr:8 row_mask:0xf bank_mask:0xf
	v_max_i16_e32 v17, v17, v15
	v_cndmask_b32_e32 v15, v15, v17, vcc
	v_and_b32_e32 v16, 0xffff, v15
	v_and_b32_e32 v17, 16, v14
	v_cmp_eq_u32_e32 vcc, 0, v17
	v_mov_b32_dpp v16, v16 row_bcast:15 row_mask:0xf bank_mask:0xf
	v_max_i16_e32 v16, v16, v15
	v_cndmask_b32_e32 v15, v16, v15, vcc
	v_and_b32_e32 v16, 0xffff, v15
	v_cmp_lt_u32_e32 vcc, 31, v14
	s_nop 0
	v_mov_b32_dpp v16, v16 row_bcast:31 row_mask:0xf bank_mask:0xf
	v_max_i16_e32 v16, v16, v15
	v_cndmask_b32_e32 v15, v15, v16, vcc
	v_cmp_eq_u32_e32 vcc, 63, v0
	s_and_saveexec_b64 s[0:1], vcc
	s_cbranch_execz .LBB4108_84
; %bb.83:
	v_mov_b32_e32 v16, 0
	ds_write_b16 v16, v15
.LBB4108_84:
	s_or_b64 exec, exec, s[0:1]
	v_add_u32_e32 v16, -1, v14
	v_and_b32_e32 v17, 64, v14
	v_cmp_lt_i32_e32 vcc, v16, v17
	v_cndmask_b32_e32 v16, v16, v14, vcc
	v_max_i16_e32 v15, v51, v15
	v_lshlrev_b32_e32 v16, 2, v16
	ds_bpermute_b32 v15, v16, v15
	v_cmp_eq_u32_e32 vcc, 0, v14
	v_cmp_eq_u32_e64 s[0:1], 0, v0
	s_or_b64 vcc, s[0:1], vcc
	s_waitcnt lgkmcnt(0)
	v_cndmask_b32_e32 v15, v15, v51, vcc
	v_max_i16_e32 v14, v15, v10
	v_max_i16_sdwa v16, v14, v10 dst_sel:DWORD dst_unused:UNUSED_PAD src0_sel:DWORD src1_sel:WORD_1
	v_max_i16_e32 v17, v16, v11
	v_max_i16_e32 v18, v17, v30
	;; [unrolled: 1-line block ×20, first 2 shown]
	; wave barrier
	s_and_saveexec_b64 s[2:3], s[0:1]
	s_cbranch_execz .LBB4108_86
; %bb.85:
	v_mov_b32_e32 v1, 0
	ds_read_u16 v2, v1
	v_mov_b32_e32 v15, v51
	s_waitcnt lgkmcnt(0)
	v_max_i16_e32 v2, v51, v2
	v_or_b32_e32 v2, 0x20000, v2
	global_store_dword v1, v2, s[18:19] offset:256
.LBB4108_86:
	s_or_b64 exec, exec, s[2:3]
	v_max_i16_e32 v51, v50, v5
.LBB4108_87:
	s_mov_b32 s0, 0x5040100
	v_perm_b32 v5, v38, v36, s0
	v_perm_b32 v4, v34, v18, s0
	;; [unrolled: 1-line block ×4, first 2 shown]
	s_waitcnt lgkmcnt(0)
	; wave barrier
	s_waitcnt lgkmcnt(0)
	ds_write_b128 v21, v[2:5]
	v_perm_b32 v5, v46, v44, s0
	v_perm_b32 v4, v42, v40, s0
	;; [unrolled: 1-line block ×4, first 2 shown]
	ds_write_b128 v21, v[2:5] offset:16
	v_perm_b32 v5, v51, v50, s0
	v_perm_b32 v4, v49, v48, s0
	;; [unrolled: 1-line block ×4, first 2 shown]
	s_mov_b64 s[0:1], -1
	s_and_b64 vcc, exec, s[16:17]
	ds_write_b128 v21, v[2:5] offset:32
	s_waitcnt lgkmcnt(0)
	s_cbranch_vccz .LBB4108_89
; %bb.88:
	; wave barrier
	s_mov_b64 s[0:1], 0
.LBB4108_89:
	s_andn2_b64 vcc, exec, s[0:1]
	s_cbranch_vccnz .LBB4108_98
; %bb.90:
	v_cmp_lt_u64_e64 s[0:1], s[14:15], 2
	s_and_b64 vcc, exec, s[0:1]
	; wave barrier
	s_cbranch_vccnz .LBB4108_98
; %bb.91:
	s_add_u32 s0, s7, -1
	s_addc_u32 s1, s20, -1
	s_add_u32 s2, 0, 0xaaaa0000
	s_addc_u32 s3, 0, 42
	s_add_i32 s3, s3, 0xaaaaa80
	s_mul_hi_u32 s7, s2, 0xffffffe8
	s_sub_i32 s7, s7, s2
	s_mul_i32 s8, s3, 0xffffffe8
	s_mul_i32 s4, s2, 0xffffffe8
	s_add_i32 s7, s7, s8
	s_mul_hi_u32 s5, s3, s4
	s_mul_i32 s6, s3, s4
	s_mul_i32 s9, s2, s7
	s_mul_hi_u32 s4, s2, s4
	s_mul_hi_u32 s8, s2, s7
	s_add_u32 s4, s4, s9
	s_addc_u32 s8, 0, s8
	s_add_u32 s4, s4, s6
	s_mul_hi_u32 s9, s3, s7
	s_addc_u32 s4, s8, s5
	s_addc_u32 s5, s9, 0
	s_mul_i32 s6, s3, s7
	s_add_u32 s4, s4, s6
	v_mov_b32_e32 v2, s4
	s_addc_u32 s5, 0, s5
	v_add_co_u32_e32 v2, vcc, s2, v2
	s_cmp_lg_u64 vcc, 0
	s_addc_u32 s2, s3, s5
	v_readfirstlane_b32 s5, v2
	s_mul_i32 s4, s0, s2
	s_mul_hi_u32 s6, s0, s5
	s_mul_hi_u32 s3, s0, s2
	s_add_u32 s4, s6, s4
	s_addc_u32 s3, 0, s3
	s_mul_hi_u32 s7, s1, s5
	s_mul_i32 s5, s1, s5
	s_add_u32 s4, s4, s5
	s_mul_hi_u32 s6, s1, s2
	s_addc_u32 s3, s3, s7
	s_addc_u32 s4, s6, 0
	s_mul_i32 s2, s1, s2
	s_add_u32 s2, s3, s2
	s_addc_u32 s3, 0, s4
	s_add_u32 s4, s2, 1
	s_addc_u32 s5, s3, 0
	s_add_u32 s6, s2, 2
	s_mul_i32 s8, s3, 24
	s_mul_hi_u32 s9, s2, 24
	s_addc_u32 s7, s3, 0
	s_add_i32 s9, s9, s8
	s_mul_i32 s8, s2, 24
	v_mov_b32_e32 v2, s8
	v_sub_co_u32_e32 v2, vcc, s0, v2
	s_cmp_lg_u64 vcc, 0
	s_subb_u32 s8, s1, s9
	v_subrev_co_u32_e32 v3, vcc, 24, v2
	s_cmp_lg_u64 vcc, 0
	s_subb_u32 s9, s8, 0
	v_readfirstlane_b32 s12, v3
	s_cmp_gt_u32 s12, 23
	s_cselect_b32 s12, -1, 0
	s_cmp_eq_u32 s9, 0
	s_cselect_b32 s9, s12, -1
	s_cmp_lg_u32 s9, 0
	s_cselect_b32 s4, s6, s4
	v_readfirstlane_b32 s6, v2
	s_cselect_b32 s5, s7, s5
	s_cmp_gt_u32 s6, 23
	s_cselect_b32 s6, -1, 0
	s_cmp_eq_u32 s8, 0
	s_cselect_b32 s6, s6, -1
	s_cmp_lg_u32 s6, 0
	v_mov_b32_e32 v1, 0
	s_cselect_b32 s3, s5, s3
	s_cselect_b32 s2, s4, s2
	v_cmp_eq_u64_e32 vcc, s[2:3], v[0:1]
	s_and_saveexec_b64 s[2:3], vcc
	s_cbranch_execz .LBB4108_98
; %bb.92:
	s_movk_i32 s2, 0xffd2
	v_mad_i32_i24 v2, v0, s2, v21
	v_mul_hi_u32_u24_e32 v1, 24, v0
	v_mov_b32_e32 v3, s1
	v_sub_co_u32_e32 v0, vcc, s0, v20
	v_subb_co_u32_e32 v1, vcc, v3, v1, vcc
	v_cmp_lt_i64_e32 vcc, 11, v[0:1]
	s_mov_b64 s[0:1], 0
	s_mov_b64 s[8:9], 0
	;; [unrolled: 1-line block ×4, first 2 shown]
                                        ; implicit-def: $vgpr3
                                        ; implicit-def: $vgpr4
                                        ; implicit-def: $vgpr5
	s_and_saveexec_b64 s[2:3], vcc
	s_xor_b64 s[2:3], exec, s[2:3]
	s_cbranch_execnz .LBB4108_99
; %bb.93:
	s_andn2_saveexec_b64 s[2:3], s[2:3]
	s_cbranch_execnz .LBB4108_144
.LBB4108_94:
	s_or_b64 exec, exec, s[2:3]
	s_and_saveexec_b64 s[2:3], s[8:9]
	s_cbranch_execnz .LBB4108_161
.LBB4108_95:
	s_or_b64 exec, exec, s[2:3]
	s_and_saveexec_b64 s[2:3], s[6:7]
	s_cbranch_execnz .LBB4108_162
.LBB4108_96:
	s_or_b64 exec, exec, s[2:3]
	s_and_saveexec_b64 s[2:3], s[4:5]
	s_xor_b64 s[2:3], exec, s[2:3]
	s_cbranch_execnz .LBB4108_163
.LBB4108_97:
	s_or_b64 exec, exec, s[2:3]
	s_and_b64 exec, exec, s[0:1]
	s_cbranch_execnz .LBB4108_164
.LBB4108_98:
	s_endpgm
.LBB4108_99:
	v_cmp_lt_i64_e32 vcc, 17, v[0:1]
                                        ; implicit-def: $vgpr3
                                        ; implicit-def: $vgpr4
                                        ; implicit-def: $vgpr5
	s_and_saveexec_b64 s[12:13], vcc
	s_xor_b64 s[12:13], exec, s[12:13]
	s_cbranch_execz .LBB4108_121
; %bb.100:
	v_cmp_lt_i64_e32 vcc, 20, v[0:1]
                                        ; implicit-def: $vgpr3
                                        ; implicit-def: $vgpr4
	s_and_saveexec_b64 s[14:15], vcc
	s_xor_b64 s[14:15], exec, s[14:15]
	s_cbranch_execz .LBB4108_110
; %bb.101:
	v_cmp_lt_i64_e32 vcc, 21, v[0:1]
	s_mov_b64 s[16:17], 0
                                        ; implicit-def: $vgpr3
	s_and_saveexec_b64 s[4:5], vcc
	s_xor_b64 s[4:5], exec, s[4:5]
	s_cbranch_execz .LBB4108_107
; %bb.102:
	v_cmp_lt_i64_e32 vcc, 22, v[0:1]
	s_and_saveexec_b64 s[16:17], vcc
	s_xor_b64 s[16:17], exec, s[16:17]
	s_cbranch_execz .LBB4108_104
; %bb.103:
	ds_read_u16 v3, v2 offset:2944
	v_mov_b32_e32 v4, 0
	s_waitcnt lgkmcnt(0)
	global_store_short v4, v3, s[10:11]
.LBB4108_104:
	s_or_saveexec_b64 s[16:17], s[16:17]
	s_mov_b64 s[18:19], 0
                                        ; implicit-def: $vgpr3
	s_xor_b64 exec, exec, s[16:17]
	s_cbranch_execz .LBB4108_106
; %bb.105:
	ds_read_u16 v3, v2 offset:2816
	s_mov_b64 s[18:19], exec
.LBB4108_106:
	s_or_b64 exec, exec, s[16:17]
	s_and_b64 s[16:17], s[18:19], exec
.LBB4108_107:
	s_or_saveexec_b64 s[4:5], s[4:5]
                                        ; implicit-def: $vgpr4
	s_xor_b64 exec, exec, s[4:5]
	s_cbranch_execz .LBB4108_109
; %bb.108:
	ds_read_u16 v4, v2 offset:2688
	s_mov_b64 s[6:7], exec
                                        ; implicit-def: $vgpr3
.LBB4108_109:
	s_or_b64 exec, exec, s[4:5]
	s_and_b64 s[4:5], s[16:17], exec
	s_and_b64 s[6:7], s[6:7], exec
.LBB4108_110:
	s_or_saveexec_b64 s[14:15], s[14:15]
                                        ; implicit-def: $vgpr5
	s_xor_b64 exec, exec, s[14:15]
	s_cbranch_execz .LBB4108_120
; %bb.111:
	v_cmp_lt_i64_e32 vcc, 18, v[0:1]
	s_mov_b64 s[16:17], 0
                                        ; implicit-def: $vgpr5
	s_and_saveexec_b64 s[8:9], vcc
	s_xor_b64 s[8:9], exec, s[8:9]
	s_cbranch_execz .LBB4108_117
; %bb.112:
	v_cmp_lt_i64_e32 vcc, 19, v[0:1]
                                        ; implicit-def: $vgpr5
	s_and_saveexec_b64 s[18:19], vcc
	s_xor_b64 s[18:19], exec, s[18:19]
	s_cbranch_execz .LBB4108_114
; %bb.113:
	ds_read_u16 v5, v2 offset:2560
	s_mov_b64 s[16:17], exec
.LBB4108_114:
	s_andn2_saveexec_b64 s[18:19], s[18:19]
	s_cbranch_execz .LBB4108_116
; %bb.115:
	s_waitcnt lgkmcnt(0)
	ds_read_u16 v3, v2 offset:2432
	v_mov_b32_e32 v4, 0
                                        ; implicit-def: $vgpr5
	s_waitcnt lgkmcnt(0)
	global_store_short v4, v3, s[10:11]
.LBB4108_116:
	s_or_b64 exec, exec, s[18:19]
	s_and_b64 s[16:17], s[16:17], exec
.LBB4108_117:
	s_andn2_saveexec_b64 s[8:9], s[8:9]
	s_cbranch_execz .LBB4108_119
; %bb.118:
	s_waitcnt lgkmcnt(0)
	ds_read_u16 v3, v2 offset:2304
	v_mov_b32_e32 v4, 0
                                        ; implicit-def: $vgpr5
	s_waitcnt lgkmcnt(0)
	global_store_short v4, v3, s[10:11]
.LBB4108_119:
	s_or_b64 exec, exec, s[8:9]
	s_and_b64 s[8:9], s[16:17], exec
                                        ; implicit-def: $vgpr3
                                        ; implicit-def: $vgpr4
.LBB4108_120:
	s_or_b64 exec, exec, s[14:15]
	s_and_b64 s[4:5], s[4:5], exec
	s_and_b64 s[6:7], s[6:7], exec
	;; [unrolled: 1-line block ×3, first 2 shown]
.LBB4108_121:
	s_andn2_saveexec_b64 s[12:13], s[12:13]
	s_cbranch_execz .LBB4108_143
; %bb.122:
	v_cmp_lt_i64_e32 vcc, 14, v[0:1]
	s_mov_b64 s[14:15], s[4:5]
                                        ; implicit-def: $vgpr3
	s_and_saveexec_b64 s[16:17], vcc
	s_xor_b64 s[16:17], exec, s[16:17]
	s_cbranch_execz .LBB4108_132
; %bb.123:
	v_cmp_lt_i64_e32 vcc, 15, v[0:1]
	s_and_saveexec_b64 s[14:15], vcc
	s_xor_b64 s[14:15], exec, s[14:15]
	s_cbranch_execz .LBB4108_129
; %bb.124:
	v_cmp_lt_i64_e32 vcc, 16, v[0:1]
	s_and_saveexec_b64 s[18:19], vcc
	s_xor_b64 s[18:19], exec, s[18:19]
	s_cbranch_execz .LBB4108_126
; %bb.125:
	s_waitcnt lgkmcnt(0)
	ds_read_u16 v3, v2 offset:2176
	v_mov_b32_e32 v4, 0
	s_waitcnt lgkmcnt(0)
	global_store_short v4, v3, s[10:11]
.LBB4108_126:
	s_andn2_saveexec_b64 s[18:19], s[18:19]
	s_cbranch_execz .LBB4108_128
; %bb.127:
	s_waitcnt lgkmcnt(0)
	ds_read_u16 v3, v2 offset:2048
	v_mov_b32_e32 v4, 0
	s_waitcnt lgkmcnt(0)
	global_store_short v4, v3, s[10:11]
.LBB4108_128:
	s_or_b64 exec, exec, s[18:19]
.LBB4108_129:
	s_or_saveexec_b64 s[14:15], s[14:15]
	s_mov_b64 s[18:19], s[4:5]
                                        ; implicit-def: $vgpr3
	s_xor_b64 exec, exec, s[14:15]
	s_cbranch_execz .LBB4108_131
; %bb.130:
	s_waitcnt lgkmcnt(0)
	ds_read_u16 v3, v2 offset:1920
	s_or_b64 s[18:19], s[4:5], exec
.LBB4108_131:
	s_or_b64 exec, exec, s[14:15]
	s_andn2_b64 s[14:15], s[4:5], exec
	s_and_b64 s[18:19], s[18:19], exec
	s_or_b64 s[14:15], s[14:15], s[18:19]
.LBB4108_132:
	s_or_saveexec_b64 s[16:17], s[16:17]
	s_mov_b64 s[18:19], s[6:7]
                                        ; implicit-def: $vgpr4
	s_xor_b64 exec, exec, s[16:17]
	s_cbranch_execz .LBB4108_142
; %bb.133:
	v_cmp_lt_i64_e32 vcc, 12, v[0:1]
	s_mov_b64 s[20:21], s[6:7]
	s_mov_b64 s[22:23], s[14:15]
                                        ; implicit-def: $vgpr3
                                        ; implicit-def: $vgpr4
	s_and_saveexec_b64 s[18:19], vcc
	s_xor_b64 s[18:19], exec, s[18:19]
	s_cbranch_execz .LBB4108_139
; %bb.134:
	v_cmp_lt_i64_e32 vcc, 13, v[0:1]
	s_mov_b64 s[20:21], s[14:15]
                                        ; implicit-def: $vgpr3
	s_and_saveexec_b64 s[22:23], vcc
	s_xor_b64 s[22:23], exec, s[22:23]
	s_cbranch_execz .LBB4108_136
; %bb.135:
	s_waitcnt lgkmcnt(0)
	ds_read_u16 v3, v2 offset:1792
	s_or_b64 s[20:21], s[14:15], exec
.LBB4108_136:
	s_or_saveexec_b64 s[22:23], s[22:23]
	s_mov_b64 s[24:25], s[6:7]
                                        ; implicit-def: $vgpr4
	s_xor_b64 exec, exec, s[22:23]
	s_cbranch_execz .LBB4108_138
; %bb.137:
	s_waitcnt lgkmcnt(0)
	ds_read_u16 v4, v2 offset:1664
	s_or_b64 s[24:25], s[6:7], exec
                                        ; implicit-def: $vgpr3
.LBB4108_138:
	s_or_b64 exec, exec, s[22:23]
	s_andn2_b64 s[22:23], s[14:15], exec
	s_and_b64 s[20:21], s[20:21], exec
	s_or_b64 s[22:23], s[22:23], s[20:21]
	s_andn2_b64 s[20:21], s[6:7], exec
	s_and_b64 s[24:25], s[24:25], exec
	s_or_b64 s[20:21], s[20:21], s[24:25]
.LBB4108_139:
	s_andn2_saveexec_b64 s[18:19], s[18:19]
	s_cbranch_execz .LBB4108_141
; %bb.140:
	s_waitcnt lgkmcnt(0)
	ds_read_u16 v4, v2 offset:1536
	s_or_b64 s[20:21], s[20:21], exec
                                        ; implicit-def: $vgpr3
.LBB4108_141:
	s_or_b64 exec, exec, s[18:19]
	s_andn2_b64 s[14:15], s[14:15], exec
	s_and_b64 s[18:19], s[22:23], exec
	s_or_b64 s[14:15], s[14:15], s[18:19]
	s_andn2_b64 s[18:19], s[6:7], exec
	s_and_b64 s[20:21], s[20:21], exec
	s_or_b64 s[18:19], s[18:19], s[20:21]
.LBB4108_142:
	s_or_b64 exec, exec, s[16:17]
	s_andn2_b64 s[4:5], s[4:5], exec
	s_and_b64 s[14:15], s[14:15], exec
	s_or_b64 s[4:5], s[4:5], s[14:15]
	s_andn2_b64 s[6:7], s[6:7], exec
	s_and_b64 s[14:15], s[18:19], exec
	s_or_b64 s[6:7], s[6:7], s[14:15]
                                        ; implicit-def: $vgpr5
.LBB4108_143:
	s_or_b64 exec, exec, s[12:13]
	s_and_b64 s[4:5], s[4:5], exec
	s_and_b64 s[6:7], s[6:7], exec
	;; [unrolled: 1-line block ×3, first 2 shown]
	s_andn2_saveexec_b64 s[2:3], s[2:3]
	s_cbranch_execz .LBB4108_94
.LBB4108_144:
	v_cmp_lt_i64_e32 vcc, 5, v[0:1]
	s_mov_b64 s[14:15], -1
	s_mov_b64 s[12:13], s[8:9]
	s_mov_b64 s[16:17], s[6:7]
	;; [unrolled: 1-line block ×3, first 2 shown]
                                        ; implicit-def: $vgpr3
                                        ; implicit-def: $vgpr4
                                        ; implicit-def: $vgpr5
	s_and_saveexec_b64 s[0:1], vcc
	s_cbranch_execz .LBB4108_160
; %bb.145:
	v_cmp_lt_i64_e32 vcc, 8, v[0:1]
	s_mov_b64 s[12:13], s[8:9]
                                        ; implicit-def: $vgpr5
	s_and_saveexec_b64 s[14:15], vcc
	s_xor_b64 s[14:15], exec, s[14:15]
	s_cbranch_execz .LBB4108_155
; %bb.146:
	v_cmp_lt_i64_e32 vcc, 9, v[0:1]
                                        ; implicit-def: $vgpr5
	s_and_saveexec_b64 s[12:13], vcc
	s_xor_b64 s[12:13], exec, s[12:13]
	s_cbranch_execz .LBB4108_152
; %bb.147:
	v_cmp_lt_i64_e32 vcc, 10, v[0:1]
                                        ; implicit-def: $vgpr5
	s_and_saveexec_b64 s[16:17], vcc
	s_xor_b64 s[16:17], exec, s[16:17]
	s_cbranch_execz .LBB4108_149
; %bb.148:
	s_waitcnt lgkmcnt(0)
	ds_read_u16 v5, v2 offset:1408
.LBB4108_149:
	s_andn2_saveexec_b64 s[16:17], s[16:17]
	s_cbranch_execz .LBB4108_151
; %bb.150:
	s_waitcnt lgkmcnt(0)
	ds_read_u16 v5, v2 offset:1280
.LBB4108_151:
	s_or_b64 exec, exec, s[16:17]
.LBB4108_152:
	s_andn2_saveexec_b64 s[12:13], s[12:13]
	s_cbranch_execz .LBB4108_154
; %bb.153:
	s_waitcnt lgkmcnt(0)
	ds_read_u16 v5, v2 offset:1152
.LBB4108_154:
	s_or_b64 exec, exec, s[12:13]
	s_or_b64 s[12:13], s[8:9], exec
.LBB4108_155:
	s_or_saveexec_b64 s[14:15], s[14:15]
	s_mov_b64 s[16:17], s[6:7]
	s_mov_b64 s[20:21], s[4:5]
                                        ; implicit-def: $vgpr3
                                        ; implicit-def: $vgpr4
	s_xor_b64 exec, exec, s[14:15]
	s_cbranch_execz .LBB4108_159
; %bb.156:
	s_waitcnt lgkmcnt(0)
	ds_read_u16 v3, v2 offset:768
	v_cmp_lt_i64_e32 vcc, 6, v[0:1]
	s_mov_b64 s[20:21], -1
	s_mov_b64 s[18:19], s[12:13]
	s_mov_b64 s[16:17], s[6:7]
                                        ; implicit-def: $vgpr4
                                        ; implicit-def: $vgpr5
	s_and_saveexec_b64 s[22:23], vcc
	s_cbranch_execz .LBB4108_158
; %bb.157:
	ds_read_u16 v4, v2 offset:896
	ds_read_u16 v5, v2 offset:1024
	v_cmp_lt_i64_e32 vcc, 7, v[0:1]
	s_andn2_b64 s[18:19], s[12:13], exec
	s_and_b64 s[24:25], vcc, exec
	s_xor_b64 s[20:21], exec, -1
	s_or_b64 s[16:17], s[6:7], exec
	s_or_b64 s[18:19], s[18:19], s[24:25]
                                        ; implicit-def: $vgpr3
.LBB4108_158:
	s_or_b64 exec, exec, s[22:23]
	s_andn2_b64 s[22:23], s[4:5], exec
	s_and_b64 s[20:21], s[20:21], exec
	s_or_b64 s[20:21], s[22:23], s[20:21]
	s_andn2_b64 s[22:23], s[6:7], exec
	s_and_b64 s[16:17], s[16:17], exec
	s_andn2_b64 s[12:13], s[12:13], exec
	s_and_b64 s[18:19], s[18:19], exec
	s_or_b64 s[16:17], s[22:23], s[16:17]
	s_or_b64 s[12:13], s[12:13], s[18:19]
.LBB4108_159:
	s_or_b64 exec, exec, s[14:15]
	s_andn2_b64 s[18:19], s[4:5], exec
	s_and_b64 s[20:21], s[20:21], exec
	s_or_b64 s[18:19], s[18:19], s[20:21]
	s_andn2_b64 s[20:21], s[6:7], exec
	s_and_b64 s[16:17], s[16:17], exec
	s_or_b64 s[16:17], s[20:21], s[16:17]
	s_andn2_b64 s[20:21], s[8:9], exec
	s_and_b64 s[12:13], s[12:13], exec
	s_xor_b64 s[14:15], exec, -1
	s_or_b64 s[12:13], s[20:21], s[12:13]
.LBB4108_160:
	s_or_b64 exec, exec, s[0:1]
	s_and_b64 s[0:1], s[14:15], exec
	s_andn2_b64 s[4:5], s[4:5], exec
	s_and_b64 s[14:15], s[18:19], exec
	s_or_b64 s[4:5], s[4:5], s[14:15]
	s_andn2_b64 s[6:7], s[6:7], exec
	s_and_b64 s[14:15], s[16:17], exec
	s_andn2_b64 s[8:9], s[8:9], exec
	s_and_b64 s[12:13], s[12:13], exec
	s_or_b64 s[6:7], s[6:7], s[14:15]
	s_or_b64 s[8:9], s[8:9], s[12:13]
	s_or_b64 exec, exec, s[2:3]
	s_and_saveexec_b64 s[2:3], s[8:9]
	s_cbranch_execz .LBB4108_95
.LBB4108_161:
	s_waitcnt lgkmcnt(0)
	v_mov_b32_e32 v3, 0
	s_andn2_b64 s[6:7], s[6:7], exec
	global_store_short v3, v5, s[10:11]
                                        ; implicit-def: $vgpr3
                                        ; implicit-def: $vgpr4
	s_or_b64 exec, exec, s[2:3]
	s_and_saveexec_b64 s[2:3], s[6:7]
	s_cbranch_execz .LBB4108_96
.LBB4108_162:
	s_waitcnt lgkmcnt(0)
	v_mov_b32_e32 v3, 0
	global_store_short v3, v4, s[10:11]
                                        ; implicit-def: $vgpr3
	s_or_b64 exec, exec, s[2:3]
	s_and_saveexec_b64 s[2:3], s[4:5]
	s_xor_b64 s[2:3], exec, s[2:3]
	s_cbranch_execz .LBB4108_97
.LBB4108_163:
	s_waitcnt lgkmcnt(0)
	v_mov_b32_e32 v4, 0
	global_store_short v4, v3, s[10:11]
	s_or_b64 exec, exec, s[2:3]
	s_and_b64 exec, exec, s[0:1]
	s_cbranch_execz .LBB4108_98
.LBB4108_164:
	v_cmp_lt_i64_e32 vcc, 2, v[0:1]
	s_and_saveexec_b64 s[0:1], vcc
	s_xor_b64 s[0:1], exec, s[0:1]
	s_cbranch_execz .LBB4108_174
; %bb.165:
	v_cmp_lt_i64_e32 vcc, 3, v[0:1]
	s_and_saveexec_b64 s[2:3], vcc
	s_xor_b64 s[2:3], exec, s[2:3]
	s_cbranch_execz .LBB4108_171
; %bb.166:
	;; [unrolled: 5-line block ×3, first 2 shown]
	ds_read_u16 v0, v2 offset:640
	v_mov_b32_e32 v1, 0
                                        ; implicit-def: $vgpr2
	s_waitcnt lgkmcnt(0)
	global_store_short v1, v0, s[10:11]
.LBB4108_168:
	s_andn2_saveexec_b64 s[4:5], s[4:5]
	s_cbranch_execz .LBB4108_170
; %bb.169:
	ds_read_u16 v0, v2 offset:512
	v_mov_b32_e32 v1, 0
	s_waitcnt lgkmcnt(0)
	global_store_short v1, v0, s[10:11]
.LBB4108_170:
	s_or_b64 exec, exec, s[4:5]
                                        ; implicit-def: $vgpr2
.LBB4108_171:
	s_andn2_saveexec_b64 s[2:3], s[2:3]
	s_cbranch_execz .LBB4108_173
; %bb.172:
	ds_read_u16 v0, v2 offset:384
	v_mov_b32_e32 v1, 0
	s_waitcnt lgkmcnt(0)
	global_store_short v1, v0, s[10:11]
.LBB4108_173:
	s_or_b64 exec, exec, s[2:3]
                                        ; implicit-def: $vgpr0_vgpr1
                                        ; implicit-def: $vgpr2
.LBB4108_174:
	s_andn2_saveexec_b64 s[0:1], s[0:1]
	s_cbranch_execz .LBB4108_98
; %bb.175:
	v_cmp_lt_i64_e32 vcc, 1, v[0:1]
	s_and_saveexec_b64 s[0:1], vcc
	s_xor_b64 s[0:1], exec, s[0:1]
	s_cbranch_execz .LBB4108_177
; %bb.176:
	ds_read_u16 v0, v2 offset:256
	v_mov_b32_e32 v1, 0
                                        ; implicit-def: $vgpr2
	s_waitcnt lgkmcnt(0)
	global_store_short v1, v0, s[10:11]
                                        ; implicit-def: $vgpr0_vgpr1
.LBB4108_177:
	s_andn2_saveexec_b64 s[0:1], s[0:1]
	s_cbranch_execz .LBB4108_98
; %bb.178:
	v_cmp_ne_u64_e32 vcc, 1, v[0:1]
	s_and_saveexec_b64 s[0:1], vcc
	s_xor_b64 s[0:1], exec, s[0:1]
	s_cbranch_execz .LBB4108_180
; %bb.179:
	ds_read_u16 v0, v2
	v_mov_b32_e32 v1, 0
                                        ; implicit-def: $vgpr2
	s_waitcnt lgkmcnt(0)
	global_store_short v1, v0, s[10:11]
.LBB4108_180:
	s_andn2_saveexec_b64 s[0:1], s[0:1]
	s_cbranch_execz .LBB4108_98
; %bb.181:
	ds_read_u16 v0, v2 offset:128
	v_mov_b32_e32 v1, 0
	s_waitcnt lgkmcnt(0)
	global_store_short v1, v0, s[10:11]
	s_endpgm
	.section	.rodata,"a",@progbits
	.p2align	6, 0x0
	.amdhsa_kernel _ZN7rocprim17ROCPRIM_400000_NS6detail17trampoline_kernelINS0_14default_configENS1_20scan_config_selectorIsEEZZNS1_9scan_implILNS1_25lookback_scan_determinismE0ELb1ELb1ES3_N6thrust23THRUST_200600_302600_NS6detail15normal_iteratorINS9_10device_ptrIsEEEENS9_16discard_iteratorINS9_11use_defaultEEEs11max_functorIsEsEEDaPvRmT3_T4_T5_mT6_P12ihipStream_tbENKUlT_T0_E_clISt17integral_constantIbLb1EESW_IbLb0EEEEDaSS_ST_EUlSS_E_NS1_11comp_targetILNS1_3genE4ELNS1_11target_archE910ELNS1_3gpuE8ELNS1_3repE0EEENS1_30default_config_static_selectorELNS0_4arch9wavefront6targetE1EEEvT1_
		.amdhsa_group_segment_fixed_size 3072
		.amdhsa_private_segment_fixed_size 0
		.amdhsa_kernarg_size 104
		.amdhsa_user_sgpr_count 6
		.amdhsa_user_sgpr_private_segment_buffer 1
		.amdhsa_user_sgpr_dispatch_ptr 0
		.amdhsa_user_sgpr_queue_ptr 0
		.amdhsa_user_sgpr_kernarg_segment_ptr 1
		.amdhsa_user_sgpr_dispatch_id 0
		.amdhsa_user_sgpr_flat_scratch_init 0
		.amdhsa_user_sgpr_kernarg_preload_length 0
		.amdhsa_user_sgpr_kernarg_preload_offset 0
		.amdhsa_user_sgpr_private_segment_size 0
		.amdhsa_uses_dynamic_stack 0
		.amdhsa_system_sgpr_private_segment_wavefront_offset 0
		.amdhsa_system_sgpr_workgroup_id_x 1
		.amdhsa_system_sgpr_workgroup_id_y 0
		.amdhsa_system_sgpr_workgroup_id_z 0
		.amdhsa_system_sgpr_workgroup_info 0
		.amdhsa_system_vgpr_workitem_id 0
		.amdhsa_next_free_vgpr 57
		.amdhsa_next_free_sgpr 26
		.amdhsa_accum_offset 60
		.amdhsa_reserve_vcc 1
		.amdhsa_reserve_flat_scratch 0
		.amdhsa_float_round_mode_32 0
		.amdhsa_float_round_mode_16_64 0
		.amdhsa_float_denorm_mode_32 3
		.amdhsa_float_denorm_mode_16_64 3
		.amdhsa_dx10_clamp 1
		.amdhsa_ieee_mode 1
		.amdhsa_fp16_overflow 0
		.amdhsa_tg_split 0
		.amdhsa_exception_fp_ieee_invalid_op 0
		.amdhsa_exception_fp_denorm_src 0
		.amdhsa_exception_fp_ieee_div_zero 0
		.amdhsa_exception_fp_ieee_overflow 0
		.amdhsa_exception_fp_ieee_underflow 0
		.amdhsa_exception_fp_ieee_inexact 0
		.amdhsa_exception_int_div_zero 0
	.end_amdhsa_kernel
	.section	.text._ZN7rocprim17ROCPRIM_400000_NS6detail17trampoline_kernelINS0_14default_configENS1_20scan_config_selectorIsEEZZNS1_9scan_implILNS1_25lookback_scan_determinismE0ELb1ELb1ES3_N6thrust23THRUST_200600_302600_NS6detail15normal_iteratorINS9_10device_ptrIsEEEENS9_16discard_iteratorINS9_11use_defaultEEEs11max_functorIsEsEEDaPvRmT3_T4_T5_mT6_P12ihipStream_tbENKUlT_T0_E_clISt17integral_constantIbLb1EESW_IbLb0EEEEDaSS_ST_EUlSS_E_NS1_11comp_targetILNS1_3genE4ELNS1_11target_archE910ELNS1_3gpuE8ELNS1_3repE0EEENS1_30default_config_static_selectorELNS0_4arch9wavefront6targetE1EEEvT1_,"axG",@progbits,_ZN7rocprim17ROCPRIM_400000_NS6detail17trampoline_kernelINS0_14default_configENS1_20scan_config_selectorIsEEZZNS1_9scan_implILNS1_25lookback_scan_determinismE0ELb1ELb1ES3_N6thrust23THRUST_200600_302600_NS6detail15normal_iteratorINS9_10device_ptrIsEEEENS9_16discard_iteratorINS9_11use_defaultEEEs11max_functorIsEsEEDaPvRmT3_T4_T5_mT6_P12ihipStream_tbENKUlT_T0_E_clISt17integral_constantIbLb1EESW_IbLb0EEEEDaSS_ST_EUlSS_E_NS1_11comp_targetILNS1_3genE4ELNS1_11target_archE910ELNS1_3gpuE8ELNS1_3repE0EEENS1_30default_config_static_selectorELNS0_4arch9wavefront6targetE1EEEvT1_,comdat
.Lfunc_end4108:
	.size	_ZN7rocprim17ROCPRIM_400000_NS6detail17trampoline_kernelINS0_14default_configENS1_20scan_config_selectorIsEEZZNS1_9scan_implILNS1_25lookback_scan_determinismE0ELb1ELb1ES3_N6thrust23THRUST_200600_302600_NS6detail15normal_iteratorINS9_10device_ptrIsEEEENS9_16discard_iteratorINS9_11use_defaultEEEs11max_functorIsEsEEDaPvRmT3_T4_T5_mT6_P12ihipStream_tbENKUlT_T0_E_clISt17integral_constantIbLb1EESW_IbLb0EEEEDaSS_ST_EUlSS_E_NS1_11comp_targetILNS1_3genE4ELNS1_11target_archE910ELNS1_3gpuE8ELNS1_3repE0EEENS1_30default_config_static_selectorELNS0_4arch9wavefront6targetE1EEEvT1_, .Lfunc_end4108-_ZN7rocprim17ROCPRIM_400000_NS6detail17trampoline_kernelINS0_14default_configENS1_20scan_config_selectorIsEEZZNS1_9scan_implILNS1_25lookback_scan_determinismE0ELb1ELb1ES3_N6thrust23THRUST_200600_302600_NS6detail15normal_iteratorINS9_10device_ptrIsEEEENS9_16discard_iteratorINS9_11use_defaultEEEs11max_functorIsEsEEDaPvRmT3_T4_T5_mT6_P12ihipStream_tbENKUlT_T0_E_clISt17integral_constantIbLb1EESW_IbLb0EEEEDaSS_ST_EUlSS_E_NS1_11comp_targetILNS1_3genE4ELNS1_11target_archE910ELNS1_3gpuE8ELNS1_3repE0EEENS1_30default_config_static_selectorELNS0_4arch9wavefront6targetE1EEEvT1_
                                        ; -- End function
	.section	.AMDGPU.csdata,"",@progbits
; Kernel info:
; codeLenInByte = 6548
; NumSgprs: 30
; NumVgprs: 57
; NumAgprs: 0
; TotalNumVgprs: 57
; ScratchSize: 0
; MemoryBound: 0
; FloatMode: 240
; IeeeMode: 1
; LDSByteSize: 3072 bytes/workgroup (compile time only)
; SGPRBlocks: 3
; VGPRBlocks: 7
; NumSGPRsForWavesPerEU: 30
; NumVGPRsForWavesPerEU: 57
; AccumOffset: 60
; Occupancy: 6
; WaveLimiterHint : 1
; COMPUTE_PGM_RSRC2:SCRATCH_EN: 0
; COMPUTE_PGM_RSRC2:USER_SGPR: 6
; COMPUTE_PGM_RSRC2:TRAP_HANDLER: 0
; COMPUTE_PGM_RSRC2:TGID_X_EN: 1
; COMPUTE_PGM_RSRC2:TGID_Y_EN: 0
; COMPUTE_PGM_RSRC2:TGID_Z_EN: 0
; COMPUTE_PGM_RSRC2:TIDIG_COMP_CNT: 0
; COMPUTE_PGM_RSRC3_GFX90A:ACCUM_OFFSET: 14
; COMPUTE_PGM_RSRC3_GFX90A:TG_SPLIT: 0
	.section	.text._ZN7rocprim17ROCPRIM_400000_NS6detail17trampoline_kernelINS0_14default_configENS1_20scan_config_selectorIsEEZZNS1_9scan_implILNS1_25lookback_scan_determinismE0ELb1ELb1ES3_N6thrust23THRUST_200600_302600_NS6detail15normal_iteratorINS9_10device_ptrIsEEEENS9_16discard_iteratorINS9_11use_defaultEEEs11max_functorIsEsEEDaPvRmT3_T4_T5_mT6_P12ihipStream_tbENKUlT_T0_E_clISt17integral_constantIbLb1EESW_IbLb0EEEEDaSS_ST_EUlSS_E_NS1_11comp_targetILNS1_3genE3ELNS1_11target_archE908ELNS1_3gpuE7ELNS1_3repE0EEENS1_30default_config_static_selectorELNS0_4arch9wavefront6targetE1EEEvT1_,"axG",@progbits,_ZN7rocprim17ROCPRIM_400000_NS6detail17trampoline_kernelINS0_14default_configENS1_20scan_config_selectorIsEEZZNS1_9scan_implILNS1_25lookback_scan_determinismE0ELb1ELb1ES3_N6thrust23THRUST_200600_302600_NS6detail15normal_iteratorINS9_10device_ptrIsEEEENS9_16discard_iteratorINS9_11use_defaultEEEs11max_functorIsEsEEDaPvRmT3_T4_T5_mT6_P12ihipStream_tbENKUlT_T0_E_clISt17integral_constantIbLb1EESW_IbLb0EEEEDaSS_ST_EUlSS_E_NS1_11comp_targetILNS1_3genE3ELNS1_11target_archE908ELNS1_3gpuE7ELNS1_3repE0EEENS1_30default_config_static_selectorELNS0_4arch9wavefront6targetE1EEEvT1_,comdat
	.protected	_ZN7rocprim17ROCPRIM_400000_NS6detail17trampoline_kernelINS0_14default_configENS1_20scan_config_selectorIsEEZZNS1_9scan_implILNS1_25lookback_scan_determinismE0ELb1ELb1ES3_N6thrust23THRUST_200600_302600_NS6detail15normal_iteratorINS9_10device_ptrIsEEEENS9_16discard_iteratorINS9_11use_defaultEEEs11max_functorIsEsEEDaPvRmT3_T4_T5_mT6_P12ihipStream_tbENKUlT_T0_E_clISt17integral_constantIbLb1EESW_IbLb0EEEEDaSS_ST_EUlSS_E_NS1_11comp_targetILNS1_3genE3ELNS1_11target_archE908ELNS1_3gpuE7ELNS1_3repE0EEENS1_30default_config_static_selectorELNS0_4arch9wavefront6targetE1EEEvT1_ ; -- Begin function _ZN7rocprim17ROCPRIM_400000_NS6detail17trampoline_kernelINS0_14default_configENS1_20scan_config_selectorIsEEZZNS1_9scan_implILNS1_25lookback_scan_determinismE0ELb1ELb1ES3_N6thrust23THRUST_200600_302600_NS6detail15normal_iteratorINS9_10device_ptrIsEEEENS9_16discard_iteratorINS9_11use_defaultEEEs11max_functorIsEsEEDaPvRmT3_T4_T5_mT6_P12ihipStream_tbENKUlT_T0_E_clISt17integral_constantIbLb1EESW_IbLb0EEEEDaSS_ST_EUlSS_E_NS1_11comp_targetILNS1_3genE3ELNS1_11target_archE908ELNS1_3gpuE7ELNS1_3repE0EEENS1_30default_config_static_selectorELNS0_4arch9wavefront6targetE1EEEvT1_
	.globl	_ZN7rocprim17ROCPRIM_400000_NS6detail17trampoline_kernelINS0_14default_configENS1_20scan_config_selectorIsEEZZNS1_9scan_implILNS1_25lookback_scan_determinismE0ELb1ELb1ES3_N6thrust23THRUST_200600_302600_NS6detail15normal_iteratorINS9_10device_ptrIsEEEENS9_16discard_iteratorINS9_11use_defaultEEEs11max_functorIsEsEEDaPvRmT3_T4_T5_mT6_P12ihipStream_tbENKUlT_T0_E_clISt17integral_constantIbLb1EESW_IbLb0EEEEDaSS_ST_EUlSS_E_NS1_11comp_targetILNS1_3genE3ELNS1_11target_archE908ELNS1_3gpuE7ELNS1_3repE0EEENS1_30default_config_static_selectorELNS0_4arch9wavefront6targetE1EEEvT1_
	.p2align	8
	.type	_ZN7rocprim17ROCPRIM_400000_NS6detail17trampoline_kernelINS0_14default_configENS1_20scan_config_selectorIsEEZZNS1_9scan_implILNS1_25lookback_scan_determinismE0ELb1ELb1ES3_N6thrust23THRUST_200600_302600_NS6detail15normal_iteratorINS9_10device_ptrIsEEEENS9_16discard_iteratorINS9_11use_defaultEEEs11max_functorIsEsEEDaPvRmT3_T4_T5_mT6_P12ihipStream_tbENKUlT_T0_E_clISt17integral_constantIbLb1EESW_IbLb0EEEEDaSS_ST_EUlSS_E_NS1_11comp_targetILNS1_3genE3ELNS1_11target_archE908ELNS1_3gpuE7ELNS1_3repE0EEENS1_30default_config_static_selectorELNS0_4arch9wavefront6targetE1EEEvT1_,@function
_ZN7rocprim17ROCPRIM_400000_NS6detail17trampoline_kernelINS0_14default_configENS1_20scan_config_selectorIsEEZZNS1_9scan_implILNS1_25lookback_scan_determinismE0ELb1ELb1ES3_N6thrust23THRUST_200600_302600_NS6detail15normal_iteratorINS9_10device_ptrIsEEEENS9_16discard_iteratorINS9_11use_defaultEEEs11max_functorIsEsEEDaPvRmT3_T4_T5_mT6_P12ihipStream_tbENKUlT_T0_E_clISt17integral_constantIbLb1EESW_IbLb0EEEEDaSS_ST_EUlSS_E_NS1_11comp_targetILNS1_3genE3ELNS1_11target_archE908ELNS1_3gpuE7ELNS1_3repE0EEENS1_30default_config_static_selectorELNS0_4arch9wavefront6targetE1EEEvT1_: ; @_ZN7rocprim17ROCPRIM_400000_NS6detail17trampoline_kernelINS0_14default_configENS1_20scan_config_selectorIsEEZZNS1_9scan_implILNS1_25lookback_scan_determinismE0ELb1ELb1ES3_N6thrust23THRUST_200600_302600_NS6detail15normal_iteratorINS9_10device_ptrIsEEEENS9_16discard_iteratorINS9_11use_defaultEEEs11max_functorIsEsEEDaPvRmT3_T4_T5_mT6_P12ihipStream_tbENKUlT_T0_E_clISt17integral_constantIbLb1EESW_IbLb0EEEEDaSS_ST_EUlSS_E_NS1_11comp_targetILNS1_3genE3ELNS1_11target_archE908ELNS1_3gpuE7ELNS1_3repE0EEENS1_30default_config_static_selectorELNS0_4arch9wavefront6targetE1EEEvT1_
; %bb.0:
	.section	.rodata,"a",@progbits
	.p2align	6, 0x0
	.amdhsa_kernel _ZN7rocprim17ROCPRIM_400000_NS6detail17trampoline_kernelINS0_14default_configENS1_20scan_config_selectorIsEEZZNS1_9scan_implILNS1_25lookback_scan_determinismE0ELb1ELb1ES3_N6thrust23THRUST_200600_302600_NS6detail15normal_iteratorINS9_10device_ptrIsEEEENS9_16discard_iteratorINS9_11use_defaultEEEs11max_functorIsEsEEDaPvRmT3_T4_T5_mT6_P12ihipStream_tbENKUlT_T0_E_clISt17integral_constantIbLb1EESW_IbLb0EEEEDaSS_ST_EUlSS_E_NS1_11comp_targetILNS1_3genE3ELNS1_11target_archE908ELNS1_3gpuE7ELNS1_3repE0EEENS1_30default_config_static_selectorELNS0_4arch9wavefront6targetE1EEEvT1_
		.amdhsa_group_segment_fixed_size 0
		.amdhsa_private_segment_fixed_size 0
		.amdhsa_kernarg_size 104
		.amdhsa_user_sgpr_count 6
		.amdhsa_user_sgpr_private_segment_buffer 1
		.amdhsa_user_sgpr_dispatch_ptr 0
		.amdhsa_user_sgpr_queue_ptr 0
		.amdhsa_user_sgpr_kernarg_segment_ptr 1
		.amdhsa_user_sgpr_dispatch_id 0
		.amdhsa_user_sgpr_flat_scratch_init 0
		.amdhsa_user_sgpr_kernarg_preload_length 0
		.amdhsa_user_sgpr_kernarg_preload_offset 0
		.amdhsa_user_sgpr_private_segment_size 0
		.amdhsa_uses_dynamic_stack 0
		.amdhsa_system_sgpr_private_segment_wavefront_offset 0
		.amdhsa_system_sgpr_workgroup_id_x 1
		.amdhsa_system_sgpr_workgroup_id_y 0
		.amdhsa_system_sgpr_workgroup_id_z 0
		.amdhsa_system_sgpr_workgroup_info 0
		.amdhsa_system_vgpr_workitem_id 0
		.amdhsa_next_free_vgpr 1
		.amdhsa_next_free_sgpr 0
		.amdhsa_accum_offset 4
		.amdhsa_reserve_vcc 0
		.amdhsa_reserve_flat_scratch 0
		.amdhsa_float_round_mode_32 0
		.amdhsa_float_round_mode_16_64 0
		.amdhsa_float_denorm_mode_32 3
		.amdhsa_float_denorm_mode_16_64 3
		.amdhsa_dx10_clamp 1
		.amdhsa_ieee_mode 1
		.amdhsa_fp16_overflow 0
		.amdhsa_tg_split 0
		.amdhsa_exception_fp_ieee_invalid_op 0
		.amdhsa_exception_fp_denorm_src 0
		.amdhsa_exception_fp_ieee_div_zero 0
		.amdhsa_exception_fp_ieee_overflow 0
		.amdhsa_exception_fp_ieee_underflow 0
		.amdhsa_exception_fp_ieee_inexact 0
		.amdhsa_exception_int_div_zero 0
	.end_amdhsa_kernel
	.section	.text._ZN7rocprim17ROCPRIM_400000_NS6detail17trampoline_kernelINS0_14default_configENS1_20scan_config_selectorIsEEZZNS1_9scan_implILNS1_25lookback_scan_determinismE0ELb1ELb1ES3_N6thrust23THRUST_200600_302600_NS6detail15normal_iteratorINS9_10device_ptrIsEEEENS9_16discard_iteratorINS9_11use_defaultEEEs11max_functorIsEsEEDaPvRmT3_T4_T5_mT6_P12ihipStream_tbENKUlT_T0_E_clISt17integral_constantIbLb1EESW_IbLb0EEEEDaSS_ST_EUlSS_E_NS1_11comp_targetILNS1_3genE3ELNS1_11target_archE908ELNS1_3gpuE7ELNS1_3repE0EEENS1_30default_config_static_selectorELNS0_4arch9wavefront6targetE1EEEvT1_,"axG",@progbits,_ZN7rocprim17ROCPRIM_400000_NS6detail17trampoline_kernelINS0_14default_configENS1_20scan_config_selectorIsEEZZNS1_9scan_implILNS1_25lookback_scan_determinismE0ELb1ELb1ES3_N6thrust23THRUST_200600_302600_NS6detail15normal_iteratorINS9_10device_ptrIsEEEENS9_16discard_iteratorINS9_11use_defaultEEEs11max_functorIsEsEEDaPvRmT3_T4_T5_mT6_P12ihipStream_tbENKUlT_T0_E_clISt17integral_constantIbLb1EESW_IbLb0EEEEDaSS_ST_EUlSS_E_NS1_11comp_targetILNS1_3genE3ELNS1_11target_archE908ELNS1_3gpuE7ELNS1_3repE0EEENS1_30default_config_static_selectorELNS0_4arch9wavefront6targetE1EEEvT1_,comdat
.Lfunc_end4109:
	.size	_ZN7rocprim17ROCPRIM_400000_NS6detail17trampoline_kernelINS0_14default_configENS1_20scan_config_selectorIsEEZZNS1_9scan_implILNS1_25lookback_scan_determinismE0ELb1ELb1ES3_N6thrust23THRUST_200600_302600_NS6detail15normal_iteratorINS9_10device_ptrIsEEEENS9_16discard_iteratorINS9_11use_defaultEEEs11max_functorIsEsEEDaPvRmT3_T4_T5_mT6_P12ihipStream_tbENKUlT_T0_E_clISt17integral_constantIbLb1EESW_IbLb0EEEEDaSS_ST_EUlSS_E_NS1_11comp_targetILNS1_3genE3ELNS1_11target_archE908ELNS1_3gpuE7ELNS1_3repE0EEENS1_30default_config_static_selectorELNS0_4arch9wavefront6targetE1EEEvT1_, .Lfunc_end4109-_ZN7rocprim17ROCPRIM_400000_NS6detail17trampoline_kernelINS0_14default_configENS1_20scan_config_selectorIsEEZZNS1_9scan_implILNS1_25lookback_scan_determinismE0ELb1ELb1ES3_N6thrust23THRUST_200600_302600_NS6detail15normal_iteratorINS9_10device_ptrIsEEEENS9_16discard_iteratorINS9_11use_defaultEEEs11max_functorIsEsEEDaPvRmT3_T4_T5_mT6_P12ihipStream_tbENKUlT_T0_E_clISt17integral_constantIbLb1EESW_IbLb0EEEEDaSS_ST_EUlSS_E_NS1_11comp_targetILNS1_3genE3ELNS1_11target_archE908ELNS1_3gpuE7ELNS1_3repE0EEENS1_30default_config_static_selectorELNS0_4arch9wavefront6targetE1EEEvT1_
                                        ; -- End function
	.section	.AMDGPU.csdata,"",@progbits
; Kernel info:
; codeLenInByte = 0
; NumSgprs: 4
; NumVgprs: 0
; NumAgprs: 0
; TotalNumVgprs: 0
; ScratchSize: 0
; MemoryBound: 0
; FloatMode: 240
; IeeeMode: 1
; LDSByteSize: 0 bytes/workgroup (compile time only)
; SGPRBlocks: 0
; VGPRBlocks: 0
; NumSGPRsForWavesPerEU: 4
; NumVGPRsForWavesPerEU: 1
; AccumOffset: 4
; Occupancy: 8
; WaveLimiterHint : 0
; COMPUTE_PGM_RSRC2:SCRATCH_EN: 0
; COMPUTE_PGM_RSRC2:USER_SGPR: 6
; COMPUTE_PGM_RSRC2:TRAP_HANDLER: 0
; COMPUTE_PGM_RSRC2:TGID_X_EN: 1
; COMPUTE_PGM_RSRC2:TGID_Y_EN: 0
; COMPUTE_PGM_RSRC2:TGID_Z_EN: 0
; COMPUTE_PGM_RSRC2:TIDIG_COMP_CNT: 0
; COMPUTE_PGM_RSRC3_GFX90A:ACCUM_OFFSET: 0
; COMPUTE_PGM_RSRC3_GFX90A:TG_SPLIT: 0
	.section	.text._ZN7rocprim17ROCPRIM_400000_NS6detail17trampoline_kernelINS0_14default_configENS1_20scan_config_selectorIsEEZZNS1_9scan_implILNS1_25lookback_scan_determinismE0ELb1ELb1ES3_N6thrust23THRUST_200600_302600_NS6detail15normal_iteratorINS9_10device_ptrIsEEEENS9_16discard_iteratorINS9_11use_defaultEEEs11max_functorIsEsEEDaPvRmT3_T4_T5_mT6_P12ihipStream_tbENKUlT_T0_E_clISt17integral_constantIbLb1EESW_IbLb0EEEEDaSS_ST_EUlSS_E_NS1_11comp_targetILNS1_3genE2ELNS1_11target_archE906ELNS1_3gpuE6ELNS1_3repE0EEENS1_30default_config_static_selectorELNS0_4arch9wavefront6targetE1EEEvT1_,"axG",@progbits,_ZN7rocprim17ROCPRIM_400000_NS6detail17trampoline_kernelINS0_14default_configENS1_20scan_config_selectorIsEEZZNS1_9scan_implILNS1_25lookback_scan_determinismE0ELb1ELb1ES3_N6thrust23THRUST_200600_302600_NS6detail15normal_iteratorINS9_10device_ptrIsEEEENS9_16discard_iteratorINS9_11use_defaultEEEs11max_functorIsEsEEDaPvRmT3_T4_T5_mT6_P12ihipStream_tbENKUlT_T0_E_clISt17integral_constantIbLb1EESW_IbLb0EEEEDaSS_ST_EUlSS_E_NS1_11comp_targetILNS1_3genE2ELNS1_11target_archE906ELNS1_3gpuE6ELNS1_3repE0EEENS1_30default_config_static_selectorELNS0_4arch9wavefront6targetE1EEEvT1_,comdat
	.protected	_ZN7rocprim17ROCPRIM_400000_NS6detail17trampoline_kernelINS0_14default_configENS1_20scan_config_selectorIsEEZZNS1_9scan_implILNS1_25lookback_scan_determinismE0ELb1ELb1ES3_N6thrust23THRUST_200600_302600_NS6detail15normal_iteratorINS9_10device_ptrIsEEEENS9_16discard_iteratorINS9_11use_defaultEEEs11max_functorIsEsEEDaPvRmT3_T4_T5_mT6_P12ihipStream_tbENKUlT_T0_E_clISt17integral_constantIbLb1EESW_IbLb0EEEEDaSS_ST_EUlSS_E_NS1_11comp_targetILNS1_3genE2ELNS1_11target_archE906ELNS1_3gpuE6ELNS1_3repE0EEENS1_30default_config_static_selectorELNS0_4arch9wavefront6targetE1EEEvT1_ ; -- Begin function _ZN7rocprim17ROCPRIM_400000_NS6detail17trampoline_kernelINS0_14default_configENS1_20scan_config_selectorIsEEZZNS1_9scan_implILNS1_25lookback_scan_determinismE0ELb1ELb1ES3_N6thrust23THRUST_200600_302600_NS6detail15normal_iteratorINS9_10device_ptrIsEEEENS9_16discard_iteratorINS9_11use_defaultEEEs11max_functorIsEsEEDaPvRmT3_T4_T5_mT6_P12ihipStream_tbENKUlT_T0_E_clISt17integral_constantIbLb1EESW_IbLb0EEEEDaSS_ST_EUlSS_E_NS1_11comp_targetILNS1_3genE2ELNS1_11target_archE906ELNS1_3gpuE6ELNS1_3repE0EEENS1_30default_config_static_selectorELNS0_4arch9wavefront6targetE1EEEvT1_
	.globl	_ZN7rocprim17ROCPRIM_400000_NS6detail17trampoline_kernelINS0_14default_configENS1_20scan_config_selectorIsEEZZNS1_9scan_implILNS1_25lookback_scan_determinismE0ELb1ELb1ES3_N6thrust23THRUST_200600_302600_NS6detail15normal_iteratorINS9_10device_ptrIsEEEENS9_16discard_iteratorINS9_11use_defaultEEEs11max_functorIsEsEEDaPvRmT3_T4_T5_mT6_P12ihipStream_tbENKUlT_T0_E_clISt17integral_constantIbLb1EESW_IbLb0EEEEDaSS_ST_EUlSS_E_NS1_11comp_targetILNS1_3genE2ELNS1_11target_archE906ELNS1_3gpuE6ELNS1_3repE0EEENS1_30default_config_static_selectorELNS0_4arch9wavefront6targetE1EEEvT1_
	.p2align	8
	.type	_ZN7rocprim17ROCPRIM_400000_NS6detail17trampoline_kernelINS0_14default_configENS1_20scan_config_selectorIsEEZZNS1_9scan_implILNS1_25lookback_scan_determinismE0ELb1ELb1ES3_N6thrust23THRUST_200600_302600_NS6detail15normal_iteratorINS9_10device_ptrIsEEEENS9_16discard_iteratorINS9_11use_defaultEEEs11max_functorIsEsEEDaPvRmT3_T4_T5_mT6_P12ihipStream_tbENKUlT_T0_E_clISt17integral_constantIbLb1EESW_IbLb0EEEEDaSS_ST_EUlSS_E_NS1_11comp_targetILNS1_3genE2ELNS1_11target_archE906ELNS1_3gpuE6ELNS1_3repE0EEENS1_30default_config_static_selectorELNS0_4arch9wavefront6targetE1EEEvT1_,@function
_ZN7rocprim17ROCPRIM_400000_NS6detail17trampoline_kernelINS0_14default_configENS1_20scan_config_selectorIsEEZZNS1_9scan_implILNS1_25lookback_scan_determinismE0ELb1ELb1ES3_N6thrust23THRUST_200600_302600_NS6detail15normal_iteratorINS9_10device_ptrIsEEEENS9_16discard_iteratorINS9_11use_defaultEEEs11max_functorIsEsEEDaPvRmT3_T4_T5_mT6_P12ihipStream_tbENKUlT_T0_E_clISt17integral_constantIbLb1EESW_IbLb0EEEEDaSS_ST_EUlSS_E_NS1_11comp_targetILNS1_3genE2ELNS1_11target_archE906ELNS1_3gpuE6ELNS1_3repE0EEENS1_30default_config_static_selectorELNS0_4arch9wavefront6targetE1EEEvT1_: ; @_ZN7rocprim17ROCPRIM_400000_NS6detail17trampoline_kernelINS0_14default_configENS1_20scan_config_selectorIsEEZZNS1_9scan_implILNS1_25lookback_scan_determinismE0ELb1ELb1ES3_N6thrust23THRUST_200600_302600_NS6detail15normal_iteratorINS9_10device_ptrIsEEEENS9_16discard_iteratorINS9_11use_defaultEEEs11max_functorIsEsEEDaPvRmT3_T4_T5_mT6_P12ihipStream_tbENKUlT_T0_E_clISt17integral_constantIbLb1EESW_IbLb0EEEEDaSS_ST_EUlSS_E_NS1_11comp_targetILNS1_3genE2ELNS1_11target_archE906ELNS1_3gpuE6ELNS1_3repE0EEENS1_30default_config_static_selectorELNS0_4arch9wavefront6targetE1EEEvT1_
; %bb.0:
	.section	.rodata,"a",@progbits
	.p2align	6, 0x0
	.amdhsa_kernel _ZN7rocprim17ROCPRIM_400000_NS6detail17trampoline_kernelINS0_14default_configENS1_20scan_config_selectorIsEEZZNS1_9scan_implILNS1_25lookback_scan_determinismE0ELb1ELb1ES3_N6thrust23THRUST_200600_302600_NS6detail15normal_iteratorINS9_10device_ptrIsEEEENS9_16discard_iteratorINS9_11use_defaultEEEs11max_functorIsEsEEDaPvRmT3_T4_T5_mT6_P12ihipStream_tbENKUlT_T0_E_clISt17integral_constantIbLb1EESW_IbLb0EEEEDaSS_ST_EUlSS_E_NS1_11comp_targetILNS1_3genE2ELNS1_11target_archE906ELNS1_3gpuE6ELNS1_3repE0EEENS1_30default_config_static_selectorELNS0_4arch9wavefront6targetE1EEEvT1_
		.amdhsa_group_segment_fixed_size 0
		.amdhsa_private_segment_fixed_size 0
		.amdhsa_kernarg_size 104
		.amdhsa_user_sgpr_count 6
		.amdhsa_user_sgpr_private_segment_buffer 1
		.amdhsa_user_sgpr_dispatch_ptr 0
		.amdhsa_user_sgpr_queue_ptr 0
		.amdhsa_user_sgpr_kernarg_segment_ptr 1
		.amdhsa_user_sgpr_dispatch_id 0
		.amdhsa_user_sgpr_flat_scratch_init 0
		.amdhsa_user_sgpr_kernarg_preload_length 0
		.amdhsa_user_sgpr_kernarg_preload_offset 0
		.amdhsa_user_sgpr_private_segment_size 0
		.amdhsa_uses_dynamic_stack 0
		.amdhsa_system_sgpr_private_segment_wavefront_offset 0
		.amdhsa_system_sgpr_workgroup_id_x 1
		.amdhsa_system_sgpr_workgroup_id_y 0
		.amdhsa_system_sgpr_workgroup_id_z 0
		.amdhsa_system_sgpr_workgroup_info 0
		.amdhsa_system_vgpr_workitem_id 0
		.amdhsa_next_free_vgpr 1
		.amdhsa_next_free_sgpr 0
		.amdhsa_accum_offset 4
		.amdhsa_reserve_vcc 0
		.amdhsa_reserve_flat_scratch 0
		.amdhsa_float_round_mode_32 0
		.amdhsa_float_round_mode_16_64 0
		.amdhsa_float_denorm_mode_32 3
		.amdhsa_float_denorm_mode_16_64 3
		.amdhsa_dx10_clamp 1
		.amdhsa_ieee_mode 1
		.amdhsa_fp16_overflow 0
		.amdhsa_tg_split 0
		.amdhsa_exception_fp_ieee_invalid_op 0
		.amdhsa_exception_fp_denorm_src 0
		.amdhsa_exception_fp_ieee_div_zero 0
		.amdhsa_exception_fp_ieee_overflow 0
		.amdhsa_exception_fp_ieee_underflow 0
		.amdhsa_exception_fp_ieee_inexact 0
		.amdhsa_exception_int_div_zero 0
	.end_amdhsa_kernel
	.section	.text._ZN7rocprim17ROCPRIM_400000_NS6detail17trampoline_kernelINS0_14default_configENS1_20scan_config_selectorIsEEZZNS1_9scan_implILNS1_25lookback_scan_determinismE0ELb1ELb1ES3_N6thrust23THRUST_200600_302600_NS6detail15normal_iteratorINS9_10device_ptrIsEEEENS9_16discard_iteratorINS9_11use_defaultEEEs11max_functorIsEsEEDaPvRmT3_T4_T5_mT6_P12ihipStream_tbENKUlT_T0_E_clISt17integral_constantIbLb1EESW_IbLb0EEEEDaSS_ST_EUlSS_E_NS1_11comp_targetILNS1_3genE2ELNS1_11target_archE906ELNS1_3gpuE6ELNS1_3repE0EEENS1_30default_config_static_selectorELNS0_4arch9wavefront6targetE1EEEvT1_,"axG",@progbits,_ZN7rocprim17ROCPRIM_400000_NS6detail17trampoline_kernelINS0_14default_configENS1_20scan_config_selectorIsEEZZNS1_9scan_implILNS1_25lookback_scan_determinismE0ELb1ELb1ES3_N6thrust23THRUST_200600_302600_NS6detail15normal_iteratorINS9_10device_ptrIsEEEENS9_16discard_iteratorINS9_11use_defaultEEEs11max_functorIsEsEEDaPvRmT3_T4_T5_mT6_P12ihipStream_tbENKUlT_T0_E_clISt17integral_constantIbLb1EESW_IbLb0EEEEDaSS_ST_EUlSS_E_NS1_11comp_targetILNS1_3genE2ELNS1_11target_archE906ELNS1_3gpuE6ELNS1_3repE0EEENS1_30default_config_static_selectorELNS0_4arch9wavefront6targetE1EEEvT1_,comdat
.Lfunc_end4110:
	.size	_ZN7rocprim17ROCPRIM_400000_NS6detail17trampoline_kernelINS0_14default_configENS1_20scan_config_selectorIsEEZZNS1_9scan_implILNS1_25lookback_scan_determinismE0ELb1ELb1ES3_N6thrust23THRUST_200600_302600_NS6detail15normal_iteratorINS9_10device_ptrIsEEEENS9_16discard_iteratorINS9_11use_defaultEEEs11max_functorIsEsEEDaPvRmT3_T4_T5_mT6_P12ihipStream_tbENKUlT_T0_E_clISt17integral_constantIbLb1EESW_IbLb0EEEEDaSS_ST_EUlSS_E_NS1_11comp_targetILNS1_3genE2ELNS1_11target_archE906ELNS1_3gpuE6ELNS1_3repE0EEENS1_30default_config_static_selectorELNS0_4arch9wavefront6targetE1EEEvT1_, .Lfunc_end4110-_ZN7rocprim17ROCPRIM_400000_NS6detail17trampoline_kernelINS0_14default_configENS1_20scan_config_selectorIsEEZZNS1_9scan_implILNS1_25lookback_scan_determinismE0ELb1ELb1ES3_N6thrust23THRUST_200600_302600_NS6detail15normal_iteratorINS9_10device_ptrIsEEEENS9_16discard_iteratorINS9_11use_defaultEEEs11max_functorIsEsEEDaPvRmT3_T4_T5_mT6_P12ihipStream_tbENKUlT_T0_E_clISt17integral_constantIbLb1EESW_IbLb0EEEEDaSS_ST_EUlSS_E_NS1_11comp_targetILNS1_3genE2ELNS1_11target_archE906ELNS1_3gpuE6ELNS1_3repE0EEENS1_30default_config_static_selectorELNS0_4arch9wavefront6targetE1EEEvT1_
                                        ; -- End function
	.section	.AMDGPU.csdata,"",@progbits
; Kernel info:
; codeLenInByte = 0
; NumSgprs: 4
; NumVgprs: 0
; NumAgprs: 0
; TotalNumVgprs: 0
; ScratchSize: 0
; MemoryBound: 0
; FloatMode: 240
; IeeeMode: 1
; LDSByteSize: 0 bytes/workgroup (compile time only)
; SGPRBlocks: 0
; VGPRBlocks: 0
; NumSGPRsForWavesPerEU: 4
; NumVGPRsForWavesPerEU: 1
; AccumOffset: 4
; Occupancy: 8
; WaveLimiterHint : 0
; COMPUTE_PGM_RSRC2:SCRATCH_EN: 0
; COMPUTE_PGM_RSRC2:USER_SGPR: 6
; COMPUTE_PGM_RSRC2:TRAP_HANDLER: 0
; COMPUTE_PGM_RSRC2:TGID_X_EN: 1
; COMPUTE_PGM_RSRC2:TGID_Y_EN: 0
; COMPUTE_PGM_RSRC2:TGID_Z_EN: 0
; COMPUTE_PGM_RSRC2:TIDIG_COMP_CNT: 0
; COMPUTE_PGM_RSRC3_GFX90A:ACCUM_OFFSET: 0
; COMPUTE_PGM_RSRC3_GFX90A:TG_SPLIT: 0
	.section	.text._ZN7rocprim17ROCPRIM_400000_NS6detail17trampoline_kernelINS0_14default_configENS1_20scan_config_selectorIsEEZZNS1_9scan_implILNS1_25lookback_scan_determinismE0ELb1ELb1ES3_N6thrust23THRUST_200600_302600_NS6detail15normal_iteratorINS9_10device_ptrIsEEEENS9_16discard_iteratorINS9_11use_defaultEEEs11max_functorIsEsEEDaPvRmT3_T4_T5_mT6_P12ihipStream_tbENKUlT_T0_E_clISt17integral_constantIbLb1EESW_IbLb0EEEEDaSS_ST_EUlSS_E_NS1_11comp_targetILNS1_3genE10ELNS1_11target_archE1201ELNS1_3gpuE5ELNS1_3repE0EEENS1_30default_config_static_selectorELNS0_4arch9wavefront6targetE1EEEvT1_,"axG",@progbits,_ZN7rocprim17ROCPRIM_400000_NS6detail17trampoline_kernelINS0_14default_configENS1_20scan_config_selectorIsEEZZNS1_9scan_implILNS1_25lookback_scan_determinismE0ELb1ELb1ES3_N6thrust23THRUST_200600_302600_NS6detail15normal_iteratorINS9_10device_ptrIsEEEENS9_16discard_iteratorINS9_11use_defaultEEEs11max_functorIsEsEEDaPvRmT3_T4_T5_mT6_P12ihipStream_tbENKUlT_T0_E_clISt17integral_constantIbLb1EESW_IbLb0EEEEDaSS_ST_EUlSS_E_NS1_11comp_targetILNS1_3genE10ELNS1_11target_archE1201ELNS1_3gpuE5ELNS1_3repE0EEENS1_30default_config_static_selectorELNS0_4arch9wavefront6targetE1EEEvT1_,comdat
	.protected	_ZN7rocprim17ROCPRIM_400000_NS6detail17trampoline_kernelINS0_14default_configENS1_20scan_config_selectorIsEEZZNS1_9scan_implILNS1_25lookback_scan_determinismE0ELb1ELb1ES3_N6thrust23THRUST_200600_302600_NS6detail15normal_iteratorINS9_10device_ptrIsEEEENS9_16discard_iteratorINS9_11use_defaultEEEs11max_functorIsEsEEDaPvRmT3_T4_T5_mT6_P12ihipStream_tbENKUlT_T0_E_clISt17integral_constantIbLb1EESW_IbLb0EEEEDaSS_ST_EUlSS_E_NS1_11comp_targetILNS1_3genE10ELNS1_11target_archE1201ELNS1_3gpuE5ELNS1_3repE0EEENS1_30default_config_static_selectorELNS0_4arch9wavefront6targetE1EEEvT1_ ; -- Begin function _ZN7rocprim17ROCPRIM_400000_NS6detail17trampoline_kernelINS0_14default_configENS1_20scan_config_selectorIsEEZZNS1_9scan_implILNS1_25lookback_scan_determinismE0ELb1ELb1ES3_N6thrust23THRUST_200600_302600_NS6detail15normal_iteratorINS9_10device_ptrIsEEEENS9_16discard_iteratorINS9_11use_defaultEEEs11max_functorIsEsEEDaPvRmT3_T4_T5_mT6_P12ihipStream_tbENKUlT_T0_E_clISt17integral_constantIbLb1EESW_IbLb0EEEEDaSS_ST_EUlSS_E_NS1_11comp_targetILNS1_3genE10ELNS1_11target_archE1201ELNS1_3gpuE5ELNS1_3repE0EEENS1_30default_config_static_selectorELNS0_4arch9wavefront6targetE1EEEvT1_
	.globl	_ZN7rocprim17ROCPRIM_400000_NS6detail17trampoline_kernelINS0_14default_configENS1_20scan_config_selectorIsEEZZNS1_9scan_implILNS1_25lookback_scan_determinismE0ELb1ELb1ES3_N6thrust23THRUST_200600_302600_NS6detail15normal_iteratorINS9_10device_ptrIsEEEENS9_16discard_iteratorINS9_11use_defaultEEEs11max_functorIsEsEEDaPvRmT3_T4_T5_mT6_P12ihipStream_tbENKUlT_T0_E_clISt17integral_constantIbLb1EESW_IbLb0EEEEDaSS_ST_EUlSS_E_NS1_11comp_targetILNS1_3genE10ELNS1_11target_archE1201ELNS1_3gpuE5ELNS1_3repE0EEENS1_30default_config_static_selectorELNS0_4arch9wavefront6targetE1EEEvT1_
	.p2align	8
	.type	_ZN7rocprim17ROCPRIM_400000_NS6detail17trampoline_kernelINS0_14default_configENS1_20scan_config_selectorIsEEZZNS1_9scan_implILNS1_25lookback_scan_determinismE0ELb1ELb1ES3_N6thrust23THRUST_200600_302600_NS6detail15normal_iteratorINS9_10device_ptrIsEEEENS9_16discard_iteratorINS9_11use_defaultEEEs11max_functorIsEsEEDaPvRmT3_T4_T5_mT6_P12ihipStream_tbENKUlT_T0_E_clISt17integral_constantIbLb1EESW_IbLb0EEEEDaSS_ST_EUlSS_E_NS1_11comp_targetILNS1_3genE10ELNS1_11target_archE1201ELNS1_3gpuE5ELNS1_3repE0EEENS1_30default_config_static_selectorELNS0_4arch9wavefront6targetE1EEEvT1_,@function
_ZN7rocprim17ROCPRIM_400000_NS6detail17trampoline_kernelINS0_14default_configENS1_20scan_config_selectorIsEEZZNS1_9scan_implILNS1_25lookback_scan_determinismE0ELb1ELb1ES3_N6thrust23THRUST_200600_302600_NS6detail15normal_iteratorINS9_10device_ptrIsEEEENS9_16discard_iteratorINS9_11use_defaultEEEs11max_functorIsEsEEDaPvRmT3_T4_T5_mT6_P12ihipStream_tbENKUlT_T0_E_clISt17integral_constantIbLb1EESW_IbLb0EEEEDaSS_ST_EUlSS_E_NS1_11comp_targetILNS1_3genE10ELNS1_11target_archE1201ELNS1_3gpuE5ELNS1_3repE0EEENS1_30default_config_static_selectorELNS0_4arch9wavefront6targetE1EEEvT1_: ; @_ZN7rocprim17ROCPRIM_400000_NS6detail17trampoline_kernelINS0_14default_configENS1_20scan_config_selectorIsEEZZNS1_9scan_implILNS1_25lookback_scan_determinismE0ELb1ELb1ES3_N6thrust23THRUST_200600_302600_NS6detail15normal_iteratorINS9_10device_ptrIsEEEENS9_16discard_iteratorINS9_11use_defaultEEEs11max_functorIsEsEEDaPvRmT3_T4_T5_mT6_P12ihipStream_tbENKUlT_T0_E_clISt17integral_constantIbLb1EESW_IbLb0EEEEDaSS_ST_EUlSS_E_NS1_11comp_targetILNS1_3genE10ELNS1_11target_archE1201ELNS1_3gpuE5ELNS1_3repE0EEENS1_30default_config_static_selectorELNS0_4arch9wavefront6targetE1EEEvT1_
; %bb.0:
	.section	.rodata,"a",@progbits
	.p2align	6, 0x0
	.amdhsa_kernel _ZN7rocprim17ROCPRIM_400000_NS6detail17trampoline_kernelINS0_14default_configENS1_20scan_config_selectorIsEEZZNS1_9scan_implILNS1_25lookback_scan_determinismE0ELb1ELb1ES3_N6thrust23THRUST_200600_302600_NS6detail15normal_iteratorINS9_10device_ptrIsEEEENS9_16discard_iteratorINS9_11use_defaultEEEs11max_functorIsEsEEDaPvRmT3_T4_T5_mT6_P12ihipStream_tbENKUlT_T0_E_clISt17integral_constantIbLb1EESW_IbLb0EEEEDaSS_ST_EUlSS_E_NS1_11comp_targetILNS1_3genE10ELNS1_11target_archE1201ELNS1_3gpuE5ELNS1_3repE0EEENS1_30default_config_static_selectorELNS0_4arch9wavefront6targetE1EEEvT1_
		.amdhsa_group_segment_fixed_size 0
		.amdhsa_private_segment_fixed_size 0
		.amdhsa_kernarg_size 104
		.amdhsa_user_sgpr_count 6
		.amdhsa_user_sgpr_private_segment_buffer 1
		.amdhsa_user_sgpr_dispatch_ptr 0
		.amdhsa_user_sgpr_queue_ptr 0
		.amdhsa_user_sgpr_kernarg_segment_ptr 1
		.amdhsa_user_sgpr_dispatch_id 0
		.amdhsa_user_sgpr_flat_scratch_init 0
		.amdhsa_user_sgpr_kernarg_preload_length 0
		.amdhsa_user_sgpr_kernarg_preload_offset 0
		.amdhsa_user_sgpr_private_segment_size 0
		.amdhsa_uses_dynamic_stack 0
		.amdhsa_system_sgpr_private_segment_wavefront_offset 0
		.amdhsa_system_sgpr_workgroup_id_x 1
		.amdhsa_system_sgpr_workgroup_id_y 0
		.amdhsa_system_sgpr_workgroup_id_z 0
		.amdhsa_system_sgpr_workgroup_info 0
		.amdhsa_system_vgpr_workitem_id 0
		.amdhsa_next_free_vgpr 1
		.amdhsa_next_free_sgpr 0
		.amdhsa_accum_offset 4
		.amdhsa_reserve_vcc 0
		.amdhsa_reserve_flat_scratch 0
		.amdhsa_float_round_mode_32 0
		.amdhsa_float_round_mode_16_64 0
		.amdhsa_float_denorm_mode_32 3
		.amdhsa_float_denorm_mode_16_64 3
		.amdhsa_dx10_clamp 1
		.amdhsa_ieee_mode 1
		.amdhsa_fp16_overflow 0
		.amdhsa_tg_split 0
		.amdhsa_exception_fp_ieee_invalid_op 0
		.amdhsa_exception_fp_denorm_src 0
		.amdhsa_exception_fp_ieee_div_zero 0
		.amdhsa_exception_fp_ieee_overflow 0
		.amdhsa_exception_fp_ieee_underflow 0
		.amdhsa_exception_fp_ieee_inexact 0
		.amdhsa_exception_int_div_zero 0
	.end_amdhsa_kernel
	.section	.text._ZN7rocprim17ROCPRIM_400000_NS6detail17trampoline_kernelINS0_14default_configENS1_20scan_config_selectorIsEEZZNS1_9scan_implILNS1_25lookback_scan_determinismE0ELb1ELb1ES3_N6thrust23THRUST_200600_302600_NS6detail15normal_iteratorINS9_10device_ptrIsEEEENS9_16discard_iteratorINS9_11use_defaultEEEs11max_functorIsEsEEDaPvRmT3_T4_T5_mT6_P12ihipStream_tbENKUlT_T0_E_clISt17integral_constantIbLb1EESW_IbLb0EEEEDaSS_ST_EUlSS_E_NS1_11comp_targetILNS1_3genE10ELNS1_11target_archE1201ELNS1_3gpuE5ELNS1_3repE0EEENS1_30default_config_static_selectorELNS0_4arch9wavefront6targetE1EEEvT1_,"axG",@progbits,_ZN7rocprim17ROCPRIM_400000_NS6detail17trampoline_kernelINS0_14default_configENS1_20scan_config_selectorIsEEZZNS1_9scan_implILNS1_25lookback_scan_determinismE0ELb1ELb1ES3_N6thrust23THRUST_200600_302600_NS6detail15normal_iteratorINS9_10device_ptrIsEEEENS9_16discard_iteratorINS9_11use_defaultEEEs11max_functorIsEsEEDaPvRmT3_T4_T5_mT6_P12ihipStream_tbENKUlT_T0_E_clISt17integral_constantIbLb1EESW_IbLb0EEEEDaSS_ST_EUlSS_E_NS1_11comp_targetILNS1_3genE10ELNS1_11target_archE1201ELNS1_3gpuE5ELNS1_3repE0EEENS1_30default_config_static_selectorELNS0_4arch9wavefront6targetE1EEEvT1_,comdat
.Lfunc_end4111:
	.size	_ZN7rocprim17ROCPRIM_400000_NS6detail17trampoline_kernelINS0_14default_configENS1_20scan_config_selectorIsEEZZNS1_9scan_implILNS1_25lookback_scan_determinismE0ELb1ELb1ES3_N6thrust23THRUST_200600_302600_NS6detail15normal_iteratorINS9_10device_ptrIsEEEENS9_16discard_iteratorINS9_11use_defaultEEEs11max_functorIsEsEEDaPvRmT3_T4_T5_mT6_P12ihipStream_tbENKUlT_T0_E_clISt17integral_constantIbLb1EESW_IbLb0EEEEDaSS_ST_EUlSS_E_NS1_11comp_targetILNS1_3genE10ELNS1_11target_archE1201ELNS1_3gpuE5ELNS1_3repE0EEENS1_30default_config_static_selectorELNS0_4arch9wavefront6targetE1EEEvT1_, .Lfunc_end4111-_ZN7rocprim17ROCPRIM_400000_NS6detail17trampoline_kernelINS0_14default_configENS1_20scan_config_selectorIsEEZZNS1_9scan_implILNS1_25lookback_scan_determinismE0ELb1ELb1ES3_N6thrust23THRUST_200600_302600_NS6detail15normal_iteratorINS9_10device_ptrIsEEEENS9_16discard_iteratorINS9_11use_defaultEEEs11max_functorIsEsEEDaPvRmT3_T4_T5_mT6_P12ihipStream_tbENKUlT_T0_E_clISt17integral_constantIbLb1EESW_IbLb0EEEEDaSS_ST_EUlSS_E_NS1_11comp_targetILNS1_3genE10ELNS1_11target_archE1201ELNS1_3gpuE5ELNS1_3repE0EEENS1_30default_config_static_selectorELNS0_4arch9wavefront6targetE1EEEvT1_
                                        ; -- End function
	.section	.AMDGPU.csdata,"",@progbits
; Kernel info:
; codeLenInByte = 0
; NumSgprs: 4
; NumVgprs: 0
; NumAgprs: 0
; TotalNumVgprs: 0
; ScratchSize: 0
; MemoryBound: 0
; FloatMode: 240
; IeeeMode: 1
; LDSByteSize: 0 bytes/workgroup (compile time only)
; SGPRBlocks: 0
; VGPRBlocks: 0
; NumSGPRsForWavesPerEU: 4
; NumVGPRsForWavesPerEU: 1
; AccumOffset: 4
; Occupancy: 8
; WaveLimiterHint : 0
; COMPUTE_PGM_RSRC2:SCRATCH_EN: 0
; COMPUTE_PGM_RSRC2:USER_SGPR: 6
; COMPUTE_PGM_RSRC2:TRAP_HANDLER: 0
; COMPUTE_PGM_RSRC2:TGID_X_EN: 1
; COMPUTE_PGM_RSRC2:TGID_Y_EN: 0
; COMPUTE_PGM_RSRC2:TGID_Z_EN: 0
; COMPUTE_PGM_RSRC2:TIDIG_COMP_CNT: 0
; COMPUTE_PGM_RSRC3_GFX90A:ACCUM_OFFSET: 0
; COMPUTE_PGM_RSRC3_GFX90A:TG_SPLIT: 0
	.section	.text._ZN7rocprim17ROCPRIM_400000_NS6detail17trampoline_kernelINS0_14default_configENS1_20scan_config_selectorIsEEZZNS1_9scan_implILNS1_25lookback_scan_determinismE0ELb1ELb1ES3_N6thrust23THRUST_200600_302600_NS6detail15normal_iteratorINS9_10device_ptrIsEEEENS9_16discard_iteratorINS9_11use_defaultEEEs11max_functorIsEsEEDaPvRmT3_T4_T5_mT6_P12ihipStream_tbENKUlT_T0_E_clISt17integral_constantIbLb1EESW_IbLb0EEEEDaSS_ST_EUlSS_E_NS1_11comp_targetILNS1_3genE10ELNS1_11target_archE1200ELNS1_3gpuE4ELNS1_3repE0EEENS1_30default_config_static_selectorELNS0_4arch9wavefront6targetE1EEEvT1_,"axG",@progbits,_ZN7rocprim17ROCPRIM_400000_NS6detail17trampoline_kernelINS0_14default_configENS1_20scan_config_selectorIsEEZZNS1_9scan_implILNS1_25lookback_scan_determinismE0ELb1ELb1ES3_N6thrust23THRUST_200600_302600_NS6detail15normal_iteratorINS9_10device_ptrIsEEEENS9_16discard_iteratorINS9_11use_defaultEEEs11max_functorIsEsEEDaPvRmT3_T4_T5_mT6_P12ihipStream_tbENKUlT_T0_E_clISt17integral_constantIbLb1EESW_IbLb0EEEEDaSS_ST_EUlSS_E_NS1_11comp_targetILNS1_3genE10ELNS1_11target_archE1200ELNS1_3gpuE4ELNS1_3repE0EEENS1_30default_config_static_selectorELNS0_4arch9wavefront6targetE1EEEvT1_,comdat
	.protected	_ZN7rocprim17ROCPRIM_400000_NS6detail17trampoline_kernelINS0_14default_configENS1_20scan_config_selectorIsEEZZNS1_9scan_implILNS1_25lookback_scan_determinismE0ELb1ELb1ES3_N6thrust23THRUST_200600_302600_NS6detail15normal_iteratorINS9_10device_ptrIsEEEENS9_16discard_iteratorINS9_11use_defaultEEEs11max_functorIsEsEEDaPvRmT3_T4_T5_mT6_P12ihipStream_tbENKUlT_T0_E_clISt17integral_constantIbLb1EESW_IbLb0EEEEDaSS_ST_EUlSS_E_NS1_11comp_targetILNS1_3genE10ELNS1_11target_archE1200ELNS1_3gpuE4ELNS1_3repE0EEENS1_30default_config_static_selectorELNS0_4arch9wavefront6targetE1EEEvT1_ ; -- Begin function _ZN7rocprim17ROCPRIM_400000_NS6detail17trampoline_kernelINS0_14default_configENS1_20scan_config_selectorIsEEZZNS1_9scan_implILNS1_25lookback_scan_determinismE0ELb1ELb1ES3_N6thrust23THRUST_200600_302600_NS6detail15normal_iteratorINS9_10device_ptrIsEEEENS9_16discard_iteratorINS9_11use_defaultEEEs11max_functorIsEsEEDaPvRmT3_T4_T5_mT6_P12ihipStream_tbENKUlT_T0_E_clISt17integral_constantIbLb1EESW_IbLb0EEEEDaSS_ST_EUlSS_E_NS1_11comp_targetILNS1_3genE10ELNS1_11target_archE1200ELNS1_3gpuE4ELNS1_3repE0EEENS1_30default_config_static_selectorELNS0_4arch9wavefront6targetE1EEEvT1_
	.globl	_ZN7rocprim17ROCPRIM_400000_NS6detail17trampoline_kernelINS0_14default_configENS1_20scan_config_selectorIsEEZZNS1_9scan_implILNS1_25lookback_scan_determinismE0ELb1ELb1ES3_N6thrust23THRUST_200600_302600_NS6detail15normal_iteratorINS9_10device_ptrIsEEEENS9_16discard_iteratorINS9_11use_defaultEEEs11max_functorIsEsEEDaPvRmT3_T4_T5_mT6_P12ihipStream_tbENKUlT_T0_E_clISt17integral_constantIbLb1EESW_IbLb0EEEEDaSS_ST_EUlSS_E_NS1_11comp_targetILNS1_3genE10ELNS1_11target_archE1200ELNS1_3gpuE4ELNS1_3repE0EEENS1_30default_config_static_selectorELNS0_4arch9wavefront6targetE1EEEvT1_
	.p2align	8
	.type	_ZN7rocprim17ROCPRIM_400000_NS6detail17trampoline_kernelINS0_14default_configENS1_20scan_config_selectorIsEEZZNS1_9scan_implILNS1_25lookback_scan_determinismE0ELb1ELb1ES3_N6thrust23THRUST_200600_302600_NS6detail15normal_iteratorINS9_10device_ptrIsEEEENS9_16discard_iteratorINS9_11use_defaultEEEs11max_functorIsEsEEDaPvRmT3_T4_T5_mT6_P12ihipStream_tbENKUlT_T0_E_clISt17integral_constantIbLb1EESW_IbLb0EEEEDaSS_ST_EUlSS_E_NS1_11comp_targetILNS1_3genE10ELNS1_11target_archE1200ELNS1_3gpuE4ELNS1_3repE0EEENS1_30default_config_static_selectorELNS0_4arch9wavefront6targetE1EEEvT1_,@function
_ZN7rocprim17ROCPRIM_400000_NS6detail17trampoline_kernelINS0_14default_configENS1_20scan_config_selectorIsEEZZNS1_9scan_implILNS1_25lookback_scan_determinismE0ELb1ELb1ES3_N6thrust23THRUST_200600_302600_NS6detail15normal_iteratorINS9_10device_ptrIsEEEENS9_16discard_iteratorINS9_11use_defaultEEEs11max_functorIsEsEEDaPvRmT3_T4_T5_mT6_P12ihipStream_tbENKUlT_T0_E_clISt17integral_constantIbLb1EESW_IbLb0EEEEDaSS_ST_EUlSS_E_NS1_11comp_targetILNS1_3genE10ELNS1_11target_archE1200ELNS1_3gpuE4ELNS1_3repE0EEENS1_30default_config_static_selectorELNS0_4arch9wavefront6targetE1EEEvT1_: ; @_ZN7rocprim17ROCPRIM_400000_NS6detail17trampoline_kernelINS0_14default_configENS1_20scan_config_selectorIsEEZZNS1_9scan_implILNS1_25lookback_scan_determinismE0ELb1ELb1ES3_N6thrust23THRUST_200600_302600_NS6detail15normal_iteratorINS9_10device_ptrIsEEEENS9_16discard_iteratorINS9_11use_defaultEEEs11max_functorIsEsEEDaPvRmT3_T4_T5_mT6_P12ihipStream_tbENKUlT_T0_E_clISt17integral_constantIbLb1EESW_IbLb0EEEEDaSS_ST_EUlSS_E_NS1_11comp_targetILNS1_3genE10ELNS1_11target_archE1200ELNS1_3gpuE4ELNS1_3repE0EEENS1_30default_config_static_selectorELNS0_4arch9wavefront6targetE1EEEvT1_
; %bb.0:
	.section	.rodata,"a",@progbits
	.p2align	6, 0x0
	.amdhsa_kernel _ZN7rocprim17ROCPRIM_400000_NS6detail17trampoline_kernelINS0_14default_configENS1_20scan_config_selectorIsEEZZNS1_9scan_implILNS1_25lookback_scan_determinismE0ELb1ELb1ES3_N6thrust23THRUST_200600_302600_NS6detail15normal_iteratorINS9_10device_ptrIsEEEENS9_16discard_iteratorINS9_11use_defaultEEEs11max_functorIsEsEEDaPvRmT3_T4_T5_mT6_P12ihipStream_tbENKUlT_T0_E_clISt17integral_constantIbLb1EESW_IbLb0EEEEDaSS_ST_EUlSS_E_NS1_11comp_targetILNS1_3genE10ELNS1_11target_archE1200ELNS1_3gpuE4ELNS1_3repE0EEENS1_30default_config_static_selectorELNS0_4arch9wavefront6targetE1EEEvT1_
		.amdhsa_group_segment_fixed_size 0
		.amdhsa_private_segment_fixed_size 0
		.amdhsa_kernarg_size 104
		.amdhsa_user_sgpr_count 6
		.amdhsa_user_sgpr_private_segment_buffer 1
		.amdhsa_user_sgpr_dispatch_ptr 0
		.amdhsa_user_sgpr_queue_ptr 0
		.amdhsa_user_sgpr_kernarg_segment_ptr 1
		.amdhsa_user_sgpr_dispatch_id 0
		.amdhsa_user_sgpr_flat_scratch_init 0
		.amdhsa_user_sgpr_kernarg_preload_length 0
		.amdhsa_user_sgpr_kernarg_preload_offset 0
		.amdhsa_user_sgpr_private_segment_size 0
		.amdhsa_uses_dynamic_stack 0
		.amdhsa_system_sgpr_private_segment_wavefront_offset 0
		.amdhsa_system_sgpr_workgroup_id_x 1
		.amdhsa_system_sgpr_workgroup_id_y 0
		.amdhsa_system_sgpr_workgroup_id_z 0
		.amdhsa_system_sgpr_workgroup_info 0
		.amdhsa_system_vgpr_workitem_id 0
		.amdhsa_next_free_vgpr 1
		.amdhsa_next_free_sgpr 0
		.amdhsa_accum_offset 4
		.amdhsa_reserve_vcc 0
		.amdhsa_reserve_flat_scratch 0
		.amdhsa_float_round_mode_32 0
		.amdhsa_float_round_mode_16_64 0
		.amdhsa_float_denorm_mode_32 3
		.amdhsa_float_denorm_mode_16_64 3
		.amdhsa_dx10_clamp 1
		.amdhsa_ieee_mode 1
		.amdhsa_fp16_overflow 0
		.amdhsa_tg_split 0
		.amdhsa_exception_fp_ieee_invalid_op 0
		.amdhsa_exception_fp_denorm_src 0
		.amdhsa_exception_fp_ieee_div_zero 0
		.amdhsa_exception_fp_ieee_overflow 0
		.amdhsa_exception_fp_ieee_underflow 0
		.amdhsa_exception_fp_ieee_inexact 0
		.amdhsa_exception_int_div_zero 0
	.end_amdhsa_kernel
	.section	.text._ZN7rocprim17ROCPRIM_400000_NS6detail17trampoline_kernelINS0_14default_configENS1_20scan_config_selectorIsEEZZNS1_9scan_implILNS1_25lookback_scan_determinismE0ELb1ELb1ES3_N6thrust23THRUST_200600_302600_NS6detail15normal_iteratorINS9_10device_ptrIsEEEENS9_16discard_iteratorINS9_11use_defaultEEEs11max_functorIsEsEEDaPvRmT3_T4_T5_mT6_P12ihipStream_tbENKUlT_T0_E_clISt17integral_constantIbLb1EESW_IbLb0EEEEDaSS_ST_EUlSS_E_NS1_11comp_targetILNS1_3genE10ELNS1_11target_archE1200ELNS1_3gpuE4ELNS1_3repE0EEENS1_30default_config_static_selectorELNS0_4arch9wavefront6targetE1EEEvT1_,"axG",@progbits,_ZN7rocprim17ROCPRIM_400000_NS6detail17trampoline_kernelINS0_14default_configENS1_20scan_config_selectorIsEEZZNS1_9scan_implILNS1_25lookback_scan_determinismE0ELb1ELb1ES3_N6thrust23THRUST_200600_302600_NS6detail15normal_iteratorINS9_10device_ptrIsEEEENS9_16discard_iteratorINS9_11use_defaultEEEs11max_functorIsEsEEDaPvRmT3_T4_T5_mT6_P12ihipStream_tbENKUlT_T0_E_clISt17integral_constantIbLb1EESW_IbLb0EEEEDaSS_ST_EUlSS_E_NS1_11comp_targetILNS1_3genE10ELNS1_11target_archE1200ELNS1_3gpuE4ELNS1_3repE0EEENS1_30default_config_static_selectorELNS0_4arch9wavefront6targetE1EEEvT1_,comdat
.Lfunc_end4112:
	.size	_ZN7rocprim17ROCPRIM_400000_NS6detail17trampoline_kernelINS0_14default_configENS1_20scan_config_selectorIsEEZZNS1_9scan_implILNS1_25lookback_scan_determinismE0ELb1ELb1ES3_N6thrust23THRUST_200600_302600_NS6detail15normal_iteratorINS9_10device_ptrIsEEEENS9_16discard_iteratorINS9_11use_defaultEEEs11max_functorIsEsEEDaPvRmT3_T4_T5_mT6_P12ihipStream_tbENKUlT_T0_E_clISt17integral_constantIbLb1EESW_IbLb0EEEEDaSS_ST_EUlSS_E_NS1_11comp_targetILNS1_3genE10ELNS1_11target_archE1200ELNS1_3gpuE4ELNS1_3repE0EEENS1_30default_config_static_selectorELNS0_4arch9wavefront6targetE1EEEvT1_, .Lfunc_end4112-_ZN7rocprim17ROCPRIM_400000_NS6detail17trampoline_kernelINS0_14default_configENS1_20scan_config_selectorIsEEZZNS1_9scan_implILNS1_25lookback_scan_determinismE0ELb1ELb1ES3_N6thrust23THRUST_200600_302600_NS6detail15normal_iteratorINS9_10device_ptrIsEEEENS9_16discard_iteratorINS9_11use_defaultEEEs11max_functorIsEsEEDaPvRmT3_T4_T5_mT6_P12ihipStream_tbENKUlT_T0_E_clISt17integral_constantIbLb1EESW_IbLb0EEEEDaSS_ST_EUlSS_E_NS1_11comp_targetILNS1_3genE10ELNS1_11target_archE1200ELNS1_3gpuE4ELNS1_3repE0EEENS1_30default_config_static_selectorELNS0_4arch9wavefront6targetE1EEEvT1_
                                        ; -- End function
	.section	.AMDGPU.csdata,"",@progbits
; Kernel info:
; codeLenInByte = 0
; NumSgprs: 4
; NumVgprs: 0
; NumAgprs: 0
; TotalNumVgprs: 0
; ScratchSize: 0
; MemoryBound: 0
; FloatMode: 240
; IeeeMode: 1
; LDSByteSize: 0 bytes/workgroup (compile time only)
; SGPRBlocks: 0
; VGPRBlocks: 0
; NumSGPRsForWavesPerEU: 4
; NumVGPRsForWavesPerEU: 1
; AccumOffset: 4
; Occupancy: 8
; WaveLimiterHint : 0
; COMPUTE_PGM_RSRC2:SCRATCH_EN: 0
; COMPUTE_PGM_RSRC2:USER_SGPR: 6
; COMPUTE_PGM_RSRC2:TRAP_HANDLER: 0
; COMPUTE_PGM_RSRC2:TGID_X_EN: 1
; COMPUTE_PGM_RSRC2:TGID_Y_EN: 0
; COMPUTE_PGM_RSRC2:TGID_Z_EN: 0
; COMPUTE_PGM_RSRC2:TIDIG_COMP_CNT: 0
; COMPUTE_PGM_RSRC3_GFX90A:ACCUM_OFFSET: 0
; COMPUTE_PGM_RSRC3_GFX90A:TG_SPLIT: 0
	.section	.text._ZN7rocprim17ROCPRIM_400000_NS6detail17trampoline_kernelINS0_14default_configENS1_20scan_config_selectorIsEEZZNS1_9scan_implILNS1_25lookback_scan_determinismE0ELb1ELb1ES3_N6thrust23THRUST_200600_302600_NS6detail15normal_iteratorINS9_10device_ptrIsEEEENS9_16discard_iteratorINS9_11use_defaultEEEs11max_functorIsEsEEDaPvRmT3_T4_T5_mT6_P12ihipStream_tbENKUlT_T0_E_clISt17integral_constantIbLb1EESW_IbLb0EEEEDaSS_ST_EUlSS_E_NS1_11comp_targetILNS1_3genE9ELNS1_11target_archE1100ELNS1_3gpuE3ELNS1_3repE0EEENS1_30default_config_static_selectorELNS0_4arch9wavefront6targetE1EEEvT1_,"axG",@progbits,_ZN7rocprim17ROCPRIM_400000_NS6detail17trampoline_kernelINS0_14default_configENS1_20scan_config_selectorIsEEZZNS1_9scan_implILNS1_25lookback_scan_determinismE0ELb1ELb1ES3_N6thrust23THRUST_200600_302600_NS6detail15normal_iteratorINS9_10device_ptrIsEEEENS9_16discard_iteratorINS9_11use_defaultEEEs11max_functorIsEsEEDaPvRmT3_T4_T5_mT6_P12ihipStream_tbENKUlT_T0_E_clISt17integral_constantIbLb1EESW_IbLb0EEEEDaSS_ST_EUlSS_E_NS1_11comp_targetILNS1_3genE9ELNS1_11target_archE1100ELNS1_3gpuE3ELNS1_3repE0EEENS1_30default_config_static_selectorELNS0_4arch9wavefront6targetE1EEEvT1_,comdat
	.protected	_ZN7rocprim17ROCPRIM_400000_NS6detail17trampoline_kernelINS0_14default_configENS1_20scan_config_selectorIsEEZZNS1_9scan_implILNS1_25lookback_scan_determinismE0ELb1ELb1ES3_N6thrust23THRUST_200600_302600_NS6detail15normal_iteratorINS9_10device_ptrIsEEEENS9_16discard_iteratorINS9_11use_defaultEEEs11max_functorIsEsEEDaPvRmT3_T4_T5_mT6_P12ihipStream_tbENKUlT_T0_E_clISt17integral_constantIbLb1EESW_IbLb0EEEEDaSS_ST_EUlSS_E_NS1_11comp_targetILNS1_3genE9ELNS1_11target_archE1100ELNS1_3gpuE3ELNS1_3repE0EEENS1_30default_config_static_selectorELNS0_4arch9wavefront6targetE1EEEvT1_ ; -- Begin function _ZN7rocprim17ROCPRIM_400000_NS6detail17trampoline_kernelINS0_14default_configENS1_20scan_config_selectorIsEEZZNS1_9scan_implILNS1_25lookback_scan_determinismE0ELb1ELb1ES3_N6thrust23THRUST_200600_302600_NS6detail15normal_iteratorINS9_10device_ptrIsEEEENS9_16discard_iteratorINS9_11use_defaultEEEs11max_functorIsEsEEDaPvRmT3_T4_T5_mT6_P12ihipStream_tbENKUlT_T0_E_clISt17integral_constantIbLb1EESW_IbLb0EEEEDaSS_ST_EUlSS_E_NS1_11comp_targetILNS1_3genE9ELNS1_11target_archE1100ELNS1_3gpuE3ELNS1_3repE0EEENS1_30default_config_static_selectorELNS0_4arch9wavefront6targetE1EEEvT1_
	.globl	_ZN7rocprim17ROCPRIM_400000_NS6detail17trampoline_kernelINS0_14default_configENS1_20scan_config_selectorIsEEZZNS1_9scan_implILNS1_25lookback_scan_determinismE0ELb1ELb1ES3_N6thrust23THRUST_200600_302600_NS6detail15normal_iteratorINS9_10device_ptrIsEEEENS9_16discard_iteratorINS9_11use_defaultEEEs11max_functorIsEsEEDaPvRmT3_T4_T5_mT6_P12ihipStream_tbENKUlT_T0_E_clISt17integral_constantIbLb1EESW_IbLb0EEEEDaSS_ST_EUlSS_E_NS1_11comp_targetILNS1_3genE9ELNS1_11target_archE1100ELNS1_3gpuE3ELNS1_3repE0EEENS1_30default_config_static_selectorELNS0_4arch9wavefront6targetE1EEEvT1_
	.p2align	8
	.type	_ZN7rocprim17ROCPRIM_400000_NS6detail17trampoline_kernelINS0_14default_configENS1_20scan_config_selectorIsEEZZNS1_9scan_implILNS1_25lookback_scan_determinismE0ELb1ELb1ES3_N6thrust23THRUST_200600_302600_NS6detail15normal_iteratorINS9_10device_ptrIsEEEENS9_16discard_iteratorINS9_11use_defaultEEEs11max_functorIsEsEEDaPvRmT3_T4_T5_mT6_P12ihipStream_tbENKUlT_T0_E_clISt17integral_constantIbLb1EESW_IbLb0EEEEDaSS_ST_EUlSS_E_NS1_11comp_targetILNS1_3genE9ELNS1_11target_archE1100ELNS1_3gpuE3ELNS1_3repE0EEENS1_30default_config_static_selectorELNS0_4arch9wavefront6targetE1EEEvT1_,@function
_ZN7rocprim17ROCPRIM_400000_NS6detail17trampoline_kernelINS0_14default_configENS1_20scan_config_selectorIsEEZZNS1_9scan_implILNS1_25lookback_scan_determinismE0ELb1ELb1ES3_N6thrust23THRUST_200600_302600_NS6detail15normal_iteratorINS9_10device_ptrIsEEEENS9_16discard_iteratorINS9_11use_defaultEEEs11max_functorIsEsEEDaPvRmT3_T4_T5_mT6_P12ihipStream_tbENKUlT_T0_E_clISt17integral_constantIbLb1EESW_IbLb0EEEEDaSS_ST_EUlSS_E_NS1_11comp_targetILNS1_3genE9ELNS1_11target_archE1100ELNS1_3gpuE3ELNS1_3repE0EEENS1_30default_config_static_selectorELNS0_4arch9wavefront6targetE1EEEvT1_: ; @_ZN7rocprim17ROCPRIM_400000_NS6detail17trampoline_kernelINS0_14default_configENS1_20scan_config_selectorIsEEZZNS1_9scan_implILNS1_25lookback_scan_determinismE0ELb1ELb1ES3_N6thrust23THRUST_200600_302600_NS6detail15normal_iteratorINS9_10device_ptrIsEEEENS9_16discard_iteratorINS9_11use_defaultEEEs11max_functorIsEsEEDaPvRmT3_T4_T5_mT6_P12ihipStream_tbENKUlT_T0_E_clISt17integral_constantIbLb1EESW_IbLb0EEEEDaSS_ST_EUlSS_E_NS1_11comp_targetILNS1_3genE9ELNS1_11target_archE1100ELNS1_3gpuE3ELNS1_3repE0EEENS1_30default_config_static_selectorELNS0_4arch9wavefront6targetE1EEEvT1_
; %bb.0:
	.section	.rodata,"a",@progbits
	.p2align	6, 0x0
	.amdhsa_kernel _ZN7rocprim17ROCPRIM_400000_NS6detail17trampoline_kernelINS0_14default_configENS1_20scan_config_selectorIsEEZZNS1_9scan_implILNS1_25lookback_scan_determinismE0ELb1ELb1ES3_N6thrust23THRUST_200600_302600_NS6detail15normal_iteratorINS9_10device_ptrIsEEEENS9_16discard_iteratorINS9_11use_defaultEEEs11max_functorIsEsEEDaPvRmT3_T4_T5_mT6_P12ihipStream_tbENKUlT_T0_E_clISt17integral_constantIbLb1EESW_IbLb0EEEEDaSS_ST_EUlSS_E_NS1_11comp_targetILNS1_3genE9ELNS1_11target_archE1100ELNS1_3gpuE3ELNS1_3repE0EEENS1_30default_config_static_selectorELNS0_4arch9wavefront6targetE1EEEvT1_
		.amdhsa_group_segment_fixed_size 0
		.amdhsa_private_segment_fixed_size 0
		.amdhsa_kernarg_size 104
		.amdhsa_user_sgpr_count 6
		.amdhsa_user_sgpr_private_segment_buffer 1
		.amdhsa_user_sgpr_dispatch_ptr 0
		.amdhsa_user_sgpr_queue_ptr 0
		.amdhsa_user_sgpr_kernarg_segment_ptr 1
		.amdhsa_user_sgpr_dispatch_id 0
		.amdhsa_user_sgpr_flat_scratch_init 0
		.amdhsa_user_sgpr_kernarg_preload_length 0
		.amdhsa_user_sgpr_kernarg_preload_offset 0
		.amdhsa_user_sgpr_private_segment_size 0
		.amdhsa_uses_dynamic_stack 0
		.amdhsa_system_sgpr_private_segment_wavefront_offset 0
		.amdhsa_system_sgpr_workgroup_id_x 1
		.amdhsa_system_sgpr_workgroup_id_y 0
		.amdhsa_system_sgpr_workgroup_id_z 0
		.amdhsa_system_sgpr_workgroup_info 0
		.amdhsa_system_vgpr_workitem_id 0
		.amdhsa_next_free_vgpr 1
		.amdhsa_next_free_sgpr 0
		.amdhsa_accum_offset 4
		.amdhsa_reserve_vcc 0
		.amdhsa_reserve_flat_scratch 0
		.amdhsa_float_round_mode_32 0
		.amdhsa_float_round_mode_16_64 0
		.amdhsa_float_denorm_mode_32 3
		.amdhsa_float_denorm_mode_16_64 3
		.amdhsa_dx10_clamp 1
		.amdhsa_ieee_mode 1
		.amdhsa_fp16_overflow 0
		.amdhsa_tg_split 0
		.amdhsa_exception_fp_ieee_invalid_op 0
		.amdhsa_exception_fp_denorm_src 0
		.amdhsa_exception_fp_ieee_div_zero 0
		.amdhsa_exception_fp_ieee_overflow 0
		.amdhsa_exception_fp_ieee_underflow 0
		.amdhsa_exception_fp_ieee_inexact 0
		.amdhsa_exception_int_div_zero 0
	.end_amdhsa_kernel
	.section	.text._ZN7rocprim17ROCPRIM_400000_NS6detail17trampoline_kernelINS0_14default_configENS1_20scan_config_selectorIsEEZZNS1_9scan_implILNS1_25lookback_scan_determinismE0ELb1ELb1ES3_N6thrust23THRUST_200600_302600_NS6detail15normal_iteratorINS9_10device_ptrIsEEEENS9_16discard_iteratorINS9_11use_defaultEEEs11max_functorIsEsEEDaPvRmT3_T4_T5_mT6_P12ihipStream_tbENKUlT_T0_E_clISt17integral_constantIbLb1EESW_IbLb0EEEEDaSS_ST_EUlSS_E_NS1_11comp_targetILNS1_3genE9ELNS1_11target_archE1100ELNS1_3gpuE3ELNS1_3repE0EEENS1_30default_config_static_selectorELNS0_4arch9wavefront6targetE1EEEvT1_,"axG",@progbits,_ZN7rocprim17ROCPRIM_400000_NS6detail17trampoline_kernelINS0_14default_configENS1_20scan_config_selectorIsEEZZNS1_9scan_implILNS1_25lookback_scan_determinismE0ELb1ELb1ES3_N6thrust23THRUST_200600_302600_NS6detail15normal_iteratorINS9_10device_ptrIsEEEENS9_16discard_iteratorINS9_11use_defaultEEEs11max_functorIsEsEEDaPvRmT3_T4_T5_mT6_P12ihipStream_tbENKUlT_T0_E_clISt17integral_constantIbLb1EESW_IbLb0EEEEDaSS_ST_EUlSS_E_NS1_11comp_targetILNS1_3genE9ELNS1_11target_archE1100ELNS1_3gpuE3ELNS1_3repE0EEENS1_30default_config_static_selectorELNS0_4arch9wavefront6targetE1EEEvT1_,comdat
.Lfunc_end4113:
	.size	_ZN7rocprim17ROCPRIM_400000_NS6detail17trampoline_kernelINS0_14default_configENS1_20scan_config_selectorIsEEZZNS1_9scan_implILNS1_25lookback_scan_determinismE0ELb1ELb1ES3_N6thrust23THRUST_200600_302600_NS6detail15normal_iteratorINS9_10device_ptrIsEEEENS9_16discard_iteratorINS9_11use_defaultEEEs11max_functorIsEsEEDaPvRmT3_T4_T5_mT6_P12ihipStream_tbENKUlT_T0_E_clISt17integral_constantIbLb1EESW_IbLb0EEEEDaSS_ST_EUlSS_E_NS1_11comp_targetILNS1_3genE9ELNS1_11target_archE1100ELNS1_3gpuE3ELNS1_3repE0EEENS1_30default_config_static_selectorELNS0_4arch9wavefront6targetE1EEEvT1_, .Lfunc_end4113-_ZN7rocprim17ROCPRIM_400000_NS6detail17trampoline_kernelINS0_14default_configENS1_20scan_config_selectorIsEEZZNS1_9scan_implILNS1_25lookback_scan_determinismE0ELb1ELb1ES3_N6thrust23THRUST_200600_302600_NS6detail15normal_iteratorINS9_10device_ptrIsEEEENS9_16discard_iteratorINS9_11use_defaultEEEs11max_functorIsEsEEDaPvRmT3_T4_T5_mT6_P12ihipStream_tbENKUlT_T0_E_clISt17integral_constantIbLb1EESW_IbLb0EEEEDaSS_ST_EUlSS_E_NS1_11comp_targetILNS1_3genE9ELNS1_11target_archE1100ELNS1_3gpuE3ELNS1_3repE0EEENS1_30default_config_static_selectorELNS0_4arch9wavefront6targetE1EEEvT1_
                                        ; -- End function
	.section	.AMDGPU.csdata,"",@progbits
; Kernel info:
; codeLenInByte = 0
; NumSgprs: 4
; NumVgprs: 0
; NumAgprs: 0
; TotalNumVgprs: 0
; ScratchSize: 0
; MemoryBound: 0
; FloatMode: 240
; IeeeMode: 1
; LDSByteSize: 0 bytes/workgroup (compile time only)
; SGPRBlocks: 0
; VGPRBlocks: 0
; NumSGPRsForWavesPerEU: 4
; NumVGPRsForWavesPerEU: 1
; AccumOffset: 4
; Occupancy: 8
; WaveLimiterHint : 0
; COMPUTE_PGM_RSRC2:SCRATCH_EN: 0
; COMPUTE_PGM_RSRC2:USER_SGPR: 6
; COMPUTE_PGM_RSRC2:TRAP_HANDLER: 0
; COMPUTE_PGM_RSRC2:TGID_X_EN: 1
; COMPUTE_PGM_RSRC2:TGID_Y_EN: 0
; COMPUTE_PGM_RSRC2:TGID_Z_EN: 0
; COMPUTE_PGM_RSRC2:TIDIG_COMP_CNT: 0
; COMPUTE_PGM_RSRC3_GFX90A:ACCUM_OFFSET: 0
; COMPUTE_PGM_RSRC3_GFX90A:TG_SPLIT: 0
	.section	.text._ZN7rocprim17ROCPRIM_400000_NS6detail17trampoline_kernelINS0_14default_configENS1_20scan_config_selectorIsEEZZNS1_9scan_implILNS1_25lookback_scan_determinismE0ELb1ELb1ES3_N6thrust23THRUST_200600_302600_NS6detail15normal_iteratorINS9_10device_ptrIsEEEENS9_16discard_iteratorINS9_11use_defaultEEEs11max_functorIsEsEEDaPvRmT3_T4_T5_mT6_P12ihipStream_tbENKUlT_T0_E_clISt17integral_constantIbLb1EESW_IbLb0EEEEDaSS_ST_EUlSS_E_NS1_11comp_targetILNS1_3genE8ELNS1_11target_archE1030ELNS1_3gpuE2ELNS1_3repE0EEENS1_30default_config_static_selectorELNS0_4arch9wavefront6targetE1EEEvT1_,"axG",@progbits,_ZN7rocprim17ROCPRIM_400000_NS6detail17trampoline_kernelINS0_14default_configENS1_20scan_config_selectorIsEEZZNS1_9scan_implILNS1_25lookback_scan_determinismE0ELb1ELb1ES3_N6thrust23THRUST_200600_302600_NS6detail15normal_iteratorINS9_10device_ptrIsEEEENS9_16discard_iteratorINS9_11use_defaultEEEs11max_functorIsEsEEDaPvRmT3_T4_T5_mT6_P12ihipStream_tbENKUlT_T0_E_clISt17integral_constantIbLb1EESW_IbLb0EEEEDaSS_ST_EUlSS_E_NS1_11comp_targetILNS1_3genE8ELNS1_11target_archE1030ELNS1_3gpuE2ELNS1_3repE0EEENS1_30default_config_static_selectorELNS0_4arch9wavefront6targetE1EEEvT1_,comdat
	.protected	_ZN7rocprim17ROCPRIM_400000_NS6detail17trampoline_kernelINS0_14default_configENS1_20scan_config_selectorIsEEZZNS1_9scan_implILNS1_25lookback_scan_determinismE0ELb1ELb1ES3_N6thrust23THRUST_200600_302600_NS6detail15normal_iteratorINS9_10device_ptrIsEEEENS9_16discard_iteratorINS9_11use_defaultEEEs11max_functorIsEsEEDaPvRmT3_T4_T5_mT6_P12ihipStream_tbENKUlT_T0_E_clISt17integral_constantIbLb1EESW_IbLb0EEEEDaSS_ST_EUlSS_E_NS1_11comp_targetILNS1_3genE8ELNS1_11target_archE1030ELNS1_3gpuE2ELNS1_3repE0EEENS1_30default_config_static_selectorELNS0_4arch9wavefront6targetE1EEEvT1_ ; -- Begin function _ZN7rocprim17ROCPRIM_400000_NS6detail17trampoline_kernelINS0_14default_configENS1_20scan_config_selectorIsEEZZNS1_9scan_implILNS1_25lookback_scan_determinismE0ELb1ELb1ES3_N6thrust23THRUST_200600_302600_NS6detail15normal_iteratorINS9_10device_ptrIsEEEENS9_16discard_iteratorINS9_11use_defaultEEEs11max_functorIsEsEEDaPvRmT3_T4_T5_mT6_P12ihipStream_tbENKUlT_T0_E_clISt17integral_constantIbLb1EESW_IbLb0EEEEDaSS_ST_EUlSS_E_NS1_11comp_targetILNS1_3genE8ELNS1_11target_archE1030ELNS1_3gpuE2ELNS1_3repE0EEENS1_30default_config_static_selectorELNS0_4arch9wavefront6targetE1EEEvT1_
	.globl	_ZN7rocprim17ROCPRIM_400000_NS6detail17trampoline_kernelINS0_14default_configENS1_20scan_config_selectorIsEEZZNS1_9scan_implILNS1_25lookback_scan_determinismE0ELb1ELb1ES3_N6thrust23THRUST_200600_302600_NS6detail15normal_iteratorINS9_10device_ptrIsEEEENS9_16discard_iteratorINS9_11use_defaultEEEs11max_functorIsEsEEDaPvRmT3_T4_T5_mT6_P12ihipStream_tbENKUlT_T0_E_clISt17integral_constantIbLb1EESW_IbLb0EEEEDaSS_ST_EUlSS_E_NS1_11comp_targetILNS1_3genE8ELNS1_11target_archE1030ELNS1_3gpuE2ELNS1_3repE0EEENS1_30default_config_static_selectorELNS0_4arch9wavefront6targetE1EEEvT1_
	.p2align	8
	.type	_ZN7rocprim17ROCPRIM_400000_NS6detail17trampoline_kernelINS0_14default_configENS1_20scan_config_selectorIsEEZZNS1_9scan_implILNS1_25lookback_scan_determinismE0ELb1ELb1ES3_N6thrust23THRUST_200600_302600_NS6detail15normal_iteratorINS9_10device_ptrIsEEEENS9_16discard_iteratorINS9_11use_defaultEEEs11max_functorIsEsEEDaPvRmT3_T4_T5_mT6_P12ihipStream_tbENKUlT_T0_E_clISt17integral_constantIbLb1EESW_IbLb0EEEEDaSS_ST_EUlSS_E_NS1_11comp_targetILNS1_3genE8ELNS1_11target_archE1030ELNS1_3gpuE2ELNS1_3repE0EEENS1_30default_config_static_selectorELNS0_4arch9wavefront6targetE1EEEvT1_,@function
_ZN7rocprim17ROCPRIM_400000_NS6detail17trampoline_kernelINS0_14default_configENS1_20scan_config_selectorIsEEZZNS1_9scan_implILNS1_25lookback_scan_determinismE0ELb1ELb1ES3_N6thrust23THRUST_200600_302600_NS6detail15normal_iteratorINS9_10device_ptrIsEEEENS9_16discard_iteratorINS9_11use_defaultEEEs11max_functorIsEsEEDaPvRmT3_T4_T5_mT6_P12ihipStream_tbENKUlT_T0_E_clISt17integral_constantIbLb1EESW_IbLb0EEEEDaSS_ST_EUlSS_E_NS1_11comp_targetILNS1_3genE8ELNS1_11target_archE1030ELNS1_3gpuE2ELNS1_3repE0EEENS1_30default_config_static_selectorELNS0_4arch9wavefront6targetE1EEEvT1_: ; @_ZN7rocprim17ROCPRIM_400000_NS6detail17trampoline_kernelINS0_14default_configENS1_20scan_config_selectorIsEEZZNS1_9scan_implILNS1_25lookback_scan_determinismE0ELb1ELb1ES3_N6thrust23THRUST_200600_302600_NS6detail15normal_iteratorINS9_10device_ptrIsEEEENS9_16discard_iteratorINS9_11use_defaultEEEs11max_functorIsEsEEDaPvRmT3_T4_T5_mT6_P12ihipStream_tbENKUlT_T0_E_clISt17integral_constantIbLb1EESW_IbLb0EEEEDaSS_ST_EUlSS_E_NS1_11comp_targetILNS1_3genE8ELNS1_11target_archE1030ELNS1_3gpuE2ELNS1_3repE0EEENS1_30default_config_static_selectorELNS0_4arch9wavefront6targetE1EEEvT1_
; %bb.0:
	.section	.rodata,"a",@progbits
	.p2align	6, 0x0
	.amdhsa_kernel _ZN7rocprim17ROCPRIM_400000_NS6detail17trampoline_kernelINS0_14default_configENS1_20scan_config_selectorIsEEZZNS1_9scan_implILNS1_25lookback_scan_determinismE0ELb1ELb1ES3_N6thrust23THRUST_200600_302600_NS6detail15normal_iteratorINS9_10device_ptrIsEEEENS9_16discard_iteratorINS9_11use_defaultEEEs11max_functorIsEsEEDaPvRmT3_T4_T5_mT6_P12ihipStream_tbENKUlT_T0_E_clISt17integral_constantIbLb1EESW_IbLb0EEEEDaSS_ST_EUlSS_E_NS1_11comp_targetILNS1_3genE8ELNS1_11target_archE1030ELNS1_3gpuE2ELNS1_3repE0EEENS1_30default_config_static_selectorELNS0_4arch9wavefront6targetE1EEEvT1_
		.amdhsa_group_segment_fixed_size 0
		.amdhsa_private_segment_fixed_size 0
		.amdhsa_kernarg_size 104
		.amdhsa_user_sgpr_count 6
		.amdhsa_user_sgpr_private_segment_buffer 1
		.amdhsa_user_sgpr_dispatch_ptr 0
		.amdhsa_user_sgpr_queue_ptr 0
		.amdhsa_user_sgpr_kernarg_segment_ptr 1
		.amdhsa_user_sgpr_dispatch_id 0
		.amdhsa_user_sgpr_flat_scratch_init 0
		.amdhsa_user_sgpr_kernarg_preload_length 0
		.amdhsa_user_sgpr_kernarg_preload_offset 0
		.amdhsa_user_sgpr_private_segment_size 0
		.amdhsa_uses_dynamic_stack 0
		.amdhsa_system_sgpr_private_segment_wavefront_offset 0
		.amdhsa_system_sgpr_workgroup_id_x 1
		.amdhsa_system_sgpr_workgroup_id_y 0
		.amdhsa_system_sgpr_workgroup_id_z 0
		.amdhsa_system_sgpr_workgroup_info 0
		.amdhsa_system_vgpr_workitem_id 0
		.amdhsa_next_free_vgpr 1
		.amdhsa_next_free_sgpr 0
		.amdhsa_accum_offset 4
		.amdhsa_reserve_vcc 0
		.amdhsa_reserve_flat_scratch 0
		.amdhsa_float_round_mode_32 0
		.amdhsa_float_round_mode_16_64 0
		.amdhsa_float_denorm_mode_32 3
		.amdhsa_float_denorm_mode_16_64 3
		.amdhsa_dx10_clamp 1
		.amdhsa_ieee_mode 1
		.amdhsa_fp16_overflow 0
		.amdhsa_tg_split 0
		.amdhsa_exception_fp_ieee_invalid_op 0
		.amdhsa_exception_fp_denorm_src 0
		.amdhsa_exception_fp_ieee_div_zero 0
		.amdhsa_exception_fp_ieee_overflow 0
		.amdhsa_exception_fp_ieee_underflow 0
		.amdhsa_exception_fp_ieee_inexact 0
		.amdhsa_exception_int_div_zero 0
	.end_amdhsa_kernel
	.section	.text._ZN7rocprim17ROCPRIM_400000_NS6detail17trampoline_kernelINS0_14default_configENS1_20scan_config_selectorIsEEZZNS1_9scan_implILNS1_25lookback_scan_determinismE0ELb1ELb1ES3_N6thrust23THRUST_200600_302600_NS6detail15normal_iteratorINS9_10device_ptrIsEEEENS9_16discard_iteratorINS9_11use_defaultEEEs11max_functorIsEsEEDaPvRmT3_T4_T5_mT6_P12ihipStream_tbENKUlT_T0_E_clISt17integral_constantIbLb1EESW_IbLb0EEEEDaSS_ST_EUlSS_E_NS1_11comp_targetILNS1_3genE8ELNS1_11target_archE1030ELNS1_3gpuE2ELNS1_3repE0EEENS1_30default_config_static_selectorELNS0_4arch9wavefront6targetE1EEEvT1_,"axG",@progbits,_ZN7rocprim17ROCPRIM_400000_NS6detail17trampoline_kernelINS0_14default_configENS1_20scan_config_selectorIsEEZZNS1_9scan_implILNS1_25lookback_scan_determinismE0ELb1ELb1ES3_N6thrust23THRUST_200600_302600_NS6detail15normal_iteratorINS9_10device_ptrIsEEEENS9_16discard_iteratorINS9_11use_defaultEEEs11max_functorIsEsEEDaPvRmT3_T4_T5_mT6_P12ihipStream_tbENKUlT_T0_E_clISt17integral_constantIbLb1EESW_IbLb0EEEEDaSS_ST_EUlSS_E_NS1_11comp_targetILNS1_3genE8ELNS1_11target_archE1030ELNS1_3gpuE2ELNS1_3repE0EEENS1_30default_config_static_selectorELNS0_4arch9wavefront6targetE1EEEvT1_,comdat
.Lfunc_end4114:
	.size	_ZN7rocprim17ROCPRIM_400000_NS6detail17trampoline_kernelINS0_14default_configENS1_20scan_config_selectorIsEEZZNS1_9scan_implILNS1_25lookback_scan_determinismE0ELb1ELb1ES3_N6thrust23THRUST_200600_302600_NS6detail15normal_iteratorINS9_10device_ptrIsEEEENS9_16discard_iteratorINS9_11use_defaultEEEs11max_functorIsEsEEDaPvRmT3_T4_T5_mT6_P12ihipStream_tbENKUlT_T0_E_clISt17integral_constantIbLb1EESW_IbLb0EEEEDaSS_ST_EUlSS_E_NS1_11comp_targetILNS1_3genE8ELNS1_11target_archE1030ELNS1_3gpuE2ELNS1_3repE0EEENS1_30default_config_static_selectorELNS0_4arch9wavefront6targetE1EEEvT1_, .Lfunc_end4114-_ZN7rocprim17ROCPRIM_400000_NS6detail17trampoline_kernelINS0_14default_configENS1_20scan_config_selectorIsEEZZNS1_9scan_implILNS1_25lookback_scan_determinismE0ELb1ELb1ES3_N6thrust23THRUST_200600_302600_NS6detail15normal_iteratorINS9_10device_ptrIsEEEENS9_16discard_iteratorINS9_11use_defaultEEEs11max_functorIsEsEEDaPvRmT3_T4_T5_mT6_P12ihipStream_tbENKUlT_T0_E_clISt17integral_constantIbLb1EESW_IbLb0EEEEDaSS_ST_EUlSS_E_NS1_11comp_targetILNS1_3genE8ELNS1_11target_archE1030ELNS1_3gpuE2ELNS1_3repE0EEENS1_30default_config_static_selectorELNS0_4arch9wavefront6targetE1EEEvT1_
                                        ; -- End function
	.section	.AMDGPU.csdata,"",@progbits
; Kernel info:
; codeLenInByte = 0
; NumSgprs: 4
; NumVgprs: 0
; NumAgprs: 0
; TotalNumVgprs: 0
; ScratchSize: 0
; MemoryBound: 0
; FloatMode: 240
; IeeeMode: 1
; LDSByteSize: 0 bytes/workgroup (compile time only)
; SGPRBlocks: 0
; VGPRBlocks: 0
; NumSGPRsForWavesPerEU: 4
; NumVGPRsForWavesPerEU: 1
; AccumOffset: 4
; Occupancy: 8
; WaveLimiterHint : 0
; COMPUTE_PGM_RSRC2:SCRATCH_EN: 0
; COMPUTE_PGM_RSRC2:USER_SGPR: 6
; COMPUTE_PGM_RSRC2:TRAP_HANDLER: 0
; COMPUTE_PGM_RSRC2:TGID_X_EN: 1
; COMPUTE_PGM_RSRC2:TGID_Y_EN: 0
; COMPUTE_PGM_RSRC2:TGID_Z_EN: 0
; COMPUTE_PGM_RSRC2:TIDIG_COMP_CNT: 0
; COMPUTE_PGM_RSRC3_GFX90A:ACCUM_OFFSET: 0
; COMPUTE_PGM_RSRC3_GFX90A:TG_SPLIT: 0
	.section	.text._ZN7rocprim17ROCPRIM_400000_NS6detail17trampoline_kernelINS0_14default_configENS1_20scan_config_selectorIsEEZZNS1_9scan_implILNS1_25lookback_scan_determinismE0ELb1ELb1ES3_N6thrust23THRUST_200600_302600_NS6detail15normal_iteratorINS9_10device_ptrIsEEEENS9_16discard_iteratorINS9_11use_defaultEEEs11max_functorIsEsEEDaPvRmT3_T4_T5_mT6_P12ihipStream_tbENKUlT_T0_E_clISt17integral_constantIbLb1EESW_IbLb0EEEEDaSS_ST_EUlSS_E0_NS1_11comp_targetILNS1_3genE0ELNS1_11target_archE4294967295ELNS1_3gpuE0ELNS1_3repE0EEENS1_30default_config_static_selectorELNS0_4arch9wavefront6targetE1EEEvT1_,"axG",@progbits,_ZN7rocprim17ROCPRIM_400000_NS6detail17trampoline_kernelINS0_14default_configENS1_20scan_config_selectorIsEEZZNS1_9scan_implILNS1_25lookback_scan_determinismE0ELb1ELb1ES3_N6thrust23THRUST_200600_302600_NS6detail15normal_iteratorINS9_10device_ptrIsEEEENS9_16discard_iteratorINS9_11use_defaultEEEs11max_functorIsEsEEDaPvRmT3_T4_T5_mT6_P12ihipStream_tbENKUlT_T0_E_clISt17integral_constantIbLb1EESW_IbLb0EEEEDaSS_ST_EUlSS_E0_NS1_11comp_targetILNS1_3genE0ELNS1_11target_archE4294967295ELNS1_3gpuE0ELNS1_3repE0EEENS1_30default_config_static_selectorELNS0_4arch9wavefront6targetE1EEEvT1_,comdat
	.protected	_ZN7rocprim17ROCPRIM_400000_NS6detail17trampoline_kernelINS0_14default_configENS1_20scan_config_selectorIsEEZZNS1_9scan_implILNS1_25lookback_scan_determinismE0ELb1ELb1ES3_N6thrust23THRUST_200600_302600_NS6detail15normal_iteratorINS9_10device_ptrIsEEEENS9_16discard_iteratorINS9_11use_defaultEEEs11max_functorIsEsEEDaPvRmT3_T4_T5_mT6_P12ihipStream_tbENKUlT_T0_E_clISt17integral_constantIbLb1EESW_IbLb0EEEEDaSS_ST_EUlSS_E0_NS1_11comp_targetILNS1_3genE0ELNS1_11target_archE4294967295ELNS1_3gpuE0ELNS1_3repE0EEENS1_30default_config_static_selectorELNS0_4arch9wavefront6targetE1EEEvT1_ ; -- Begin function _ZN7rocprim17ROCPRIM_400000_NS6detail17trampoline_kernelINS0_14default_configENS1_20scan_config_selectorIsEEZZNS1_9scan_implILNS1_25lookback_scan_determinismE0ELb1ELb1ES3_N6thrust23THRUST_200600_302600_NS6detail15normal_iteratorINS9_10device_ptrIsEEEENS9_16discard_iteratorINS9_11use_defaultEEEs11max_functorIsEsEEDaPvRmT3_T4_T5_mT6_P12ihipStream_tbENKUlT_T0_E_clISt17integral_constantIbLb1EESW_IbLb0EEEEDaSS_ST_EUlSS_E0_NS1_11comp_targetILNS1_3genE0ELNS1_11target_archE4294967295ELNS1_3gpuE0ELNS1_3repE0EEENS1_30default_config_static_selectorELNS0_4arch9wavefront6targetE1EEEvT1_
	.globl	_ZN7rocprim17ROCPRIM_400000_NS6detail17trampoline_kernelINS0_14default_configENS1_20scan_config_selectorIsEEZZNS1_9scan_implILNS1_25lookback_scan_determinismE0ELb1ELb1ES3_N6thrust23THRUST_200600_302600_NS6detail15normal_iteratorINS9_10device_ptrIsEEEENS9_16discard_iteratorINS9_11use_defaultEEEs11max_functorIsEsEEDaPvRmT3_T4_T5_mT6_P12ihipStream_tbENKUlT_T0_E_clISt17integral_constantIbLb1EESW_IbLb0EEEEDaSS_ST_EUlSS_E0_NS1_11comp_targetILNS1_3genE0ELNS1_11target_archE4294967295ELNS1_3gpuE0ELNS1_3repE0EEENS1_30default_config_static_selectorELNS0_4arch9wavefront6targetE1EEEvT1_
	.p2align	8
	.type	_ZN7rocprim17ROCPRIM_400000_NS6detail17trampoline_kernelINS0_14default_configENS1_20scan_config_selectorIsEEZZNS1_9scan_implILNS1_25lookback_scan_determinismE0ELb1ELb1ES3_N6thrust23THRUST_200600_302600_NS6detail15normal_iteratorINS9_10device_ptrIsEEEENS9_16discard_iteratorINS9_11use_defaultEEEs11max_functorIsEsEEDaPvRmT3_T4_T5_mT6_P12ihipStream_tbENKUlT_T0_E_clISt17integral_constantIbLb1EESW_IbLb0EEEEDaSS_ST_EUlSS_E0_NS1_11comp_targetILNS1_3genE0ELNS1_11target_archE4294967295ELNS1_3gpuE0ELNS1_3repE0EEENS1_30default_config_static_selectorELNS0_4arch9wavefront6targetE1EEEvT1_,@function
_ZN7rocprim17ROCPRIM_400000_NS6detail17trampoline_kernelINS0_14default_configENS1_20scan_config_selectorIsEEZZNS1_9scan_implILNS1_25lookback_scan_determinismE0ELb1ELb1ES3_N6thrust23THRUST_200600_302600_NS6detail15normal_iteratorINS9_10device_ptrIsEEEENS9_16discard_iteratorINS9_11use_defaultEEEs11max_functorIsEsEEDaPvRmT3_T4_T5_mT6_P12ihipStream_tbENKUlT_T0_E_clISt17integral_constantIbLb1EESW_IbLb0EEEEDaSS_ST_EUlSS_E0_NS1_11comp_targetILNS1_3genE0ELNS1_11target_archE4294967295ELNS1_3gpuE0ELNS1_3repE0EEENS1_30default_config_static_selectorELNS0_4arch9wavefront6targetE1EEEvT1_: ; @_ZN7rocprim17ROCPRIM_400000_NS6detail17trampoline_kernelINS0_14default_configENS1_20scan_config_selectorIsEEZZNS1_9scan_implILNS1_25lookback_scan_determinismE0ELb1ELb1ES3_N6thrust23THRUST_200600_302600_NS6detail15normal_iteratorINS9_10device_ptrIsEEEENS9_16discard_iteratorINS9_11use_defaultEEEs11max_functorIsEsEEDaPvRmT3_T4_T5_mT6_P12ihipStream_tbENKUlT_T0_E_clISt17integral_constantIbLb1EESW_IbLb0EEEEDaSS_ST_EUlSS_E0_NS1_11comp_targetILNS1_3genE0ELNS1_11target_archE4294967295ELNS1_3gpuE0ELNS1_3repE0EEENS1_30default_config_static_selectorELNS0_4arch9wavefront6targetE1EEEvT1_
; %bb.0:
	.section	.rodata,"a",@progbits
	.p2align	6, 0x0
	.amdhsa_kernel _ZN7rocprim17ROCPRIM_400000_NS6detail17trampoline_kernelINS0_14default_configENS1_20scan_config_selectorIsEEZZNS1_9scan_implILNS1_25lookback_scan_determinismE0ELb1ELb1ES3_N6thrust23THRUST_200600_302600_NS6detail15normal_iteratorINS9_10device_ptrIsEEEENS9_16discard_iteratorINS9_11use_defaultEEEs11max_functorIsEsEEDaPvRmT3_T4_T5_mT6_P12ihipStream_tbENKUlT_T0_E_clISt17integral_constantIbLb1EESW_IbLb0EEEEDaSS_ST_EUlSS_E0_NS1_11comp_targetILNS1_3genE0ELNS1_11target_archE4294967295ELNS1_3gpuE0ELNS1_3repE0EEENS1_30default_config_static_selectorELNS0_4arch9wavefront6targetE1EEEvT1_
		.amdhsa_group_segment_fixed_size 0
		.amdhsa_private_segment_fixed_size 0
		.amdhsa_kernarg_size 40
		.amdhsa_user_sgpr_count 6
		.amdhsa_user_sgpr_private_segment_buffer 1
		.amdhsa_user_sgpr_dispatch_ptr 0
		.amdhsa_user_sgpr_queue_ptr 0
		.amdhsa_user_sgpr_kernarg_segment_ptr 1
		.amdhsa_user_sgpr_dispatch_id 0
		.amdhsa_user_sgpr_flat_scratch_init 0
		.amdhsa_user_sgpr_kernarg_preload_length 0
		.amdhsa_user_sgpr_kernarg_preload_offset 0
		.amdhsa_user_sgpr_private_segment_size 0
		.amdhsa_uses_dynamic_stack 0
		.amdhsa_system_sgpr_private_segment_wavefront_offset 0
		.amdhsa_system_sgpr_workgroup_id_x 1
		.amdhsa_system_sgpr_workgroup_id_y 0
		.amdhsa_system_sgpr_workgroup_id_z 0
		.amdhsa_system_sgpr_workgroup_info 0
		.amdhsa_system_vgpr_workitem_id 0
		.amdhsa_next_free_vgpr 1
		.amdhsa_next_free_sgpr 0
		.amdhsa_accum_offset 4
		.amdhsa_reserve_vcc 0
		.amdhsa_reserve_flat_scratch 0
		.amdhsa_float_round_mode_32 0
		.amdhsa_float_round_mode_16_64 0
		.amdhsa_float_denorm_mode_32 3
		.amdhsa_float_denorm_mode_16_64 3
		.amdhsa_dx10_clamp 1
		.amdhsa_ieee_mode 1
		.amdhsa_fp16_overflow 0
		.amdhsa_tg_split 0
		.amdhsa_exception_fp_ieee_invalid_op 0
		.amdhsa_exception_fp_denorm_src 0
		.amdhsa_exception_fp_ieee_div_zero 0
		.amdhsa_exception_fp_ieee_overflow 0
		.amdhsa_exception_fp_ieee_underflow 0
		.amdhsa_exception_fp_ieee_inexact 0
		.amdhsa_exception_int_div_zero 0
	.end_amdhsa_kernel
	.section	.text._ZN7rocprim17ROCPRIM_400000_NS6detail17trampoline_kernelINS0_14default_configENS1_20scan_config_selectorIsEEZZNS1_9scan_implILNS1_25lookback_scan_determinismE0ELb1ELb1ES3_N6thrust23THRUST_200600_302600_NS6detail15normal_iteratorINS9_10device_ptrIsEEEENS9_16discard_iteratorINS9_11use_defaultEEEs11max_functorIsEsEEDaPvRmT3_T4_T5_mT6_P12ihipStream_tbENKUlT_T0_E_clISt17integral_constantIbLb1EESW_IbLb0EEEEDaSS_ST_EUlSS_E0_NS1_11comp_targetILNS1_3genE0ELNS1_11target_archE4294967295ELNS1_3gpuE0ELNS1_3repE0EEENS1_30default_config_static_selectorELNS0_4arch9wavefront6targetE1EEEvT1_,"axG",@progbits,_ZN7rocprim17ROCPRIM_400000_NS6detail17trampoline_kernelINS0_14default_configENS1_20scan_config_selectorIsEEZZNS1_9scan_implILNS1_25lookback_scan_determinismE0ELb1ELb1ES3_N6thrust23THRUST_200600_302600_NS6detail15normal_iteratorINS9_10device_ptrIsEEEENS9_16discard_iteratorINS9_11use_defaultEEEs11max_functorIsEsEEDaPvRmT3_T4_T5_mT6_P12ihipStream_tbENKUlT_T0_E_clISt17integral_constantIbLb1EESW_IbLb0EEEEDaSS_ST_EUlSS_E0_NS1_11comp_targetILNS1_3genE0ELNS1_11target_archE4294967295ELNS1_3gpuE0ELNS1_3repE0EEENS1_30default_config_static_selectorELNS0_4arch9wavefront6targetE1EEEvT1_,comdat
.Lfunc_end4115:
	.size	_ZN7rocprim17ROCPRIM_400000_NS6detail17trampoline_kernelINS0_14default_configENS1_20scan_config_selectorIsEEZZNS1_9scan_implILNS1_25lookback_scan_determinismE0ELb1ELb1ES3_N6thrust23THRUST_200600_302600_NS6detail15normal_iteratorINS9_10device_ptrIsEEEENS9_16discard_iteratorINS9_11use_defaultEEEs11max_functorIsEsEEDaPvRmT3_T4_T5_mT6_P12ihipStream_tbENKUlT_T0_E_clISt17integral_constantIbLb1EESW_IbLb0EEEEDaSS_ST_EUlSS_E0_NS1_11comp_targetILNS1_3genE0ELNS1_11target_archE4294967295ELNS1_3gpuE0ELNS1_3repE0EEENS1_30default_config_static_selectorELNS0_4arch9wavefront6targetE1EEEvT1_, .Lfunc_end4115-_ZN7rocprim17ROCPRIM_400000_NS6detail17trampoline_kernelINS0_14default_configENS1_20scan_config_selectorIsEEZZNS1_9scan_implILNS1_25lookback_scan_determinismE0ELb1ELb1ES3_N6thrust23THRUST_200600_302600_NS6detail15normal_iteratorINS9_10device_ptrIsEEEENS9_16discard_iteratorINS9_11use_defaultEEEs11max_functorIsEsEEDaPvRmT3_T4_T5_mT6_P12ihipStream_tbENKUlT_T0_E_clISt17integral_constantIbLb1EESW_IbLb0EEEEDaSS_ST_EUlSS_E0_NS1_11comp_targetILNS1_3genE0ELNS1_11target_archE4294967295ELNS1_3gpuE0ELNS1_3repE0EEENS1_30default_config_static_selectorELNS0_4arch9wavefront6targetE1EEEvT1_
                                        ; -- End function
	.section	.AMDGPU.csdata,"",@progbits
; Kernel info:
; codeLenInByte = 0
; NumSgprs: 4
; NumVgprs: 0
; NumAgprs: 0
; TotalNumVgprs: 0
; ScratchSize: 0
; MemoryBound: 0
; FloatMode: 240
; IeeeMode: 1
; LDSByteSize: 0 bytes/workgroup (compile time only)
; SGPRBlocks: 0
; VGPRBlocks: 0
; NumSGPRsForWavesPerEU: 4
; NumVGPRsForWavesPerEU: 1
; AccumOffset: 4
; Occupancy: 8
; WaveLimiterHint : 0
; COMPUTE_PGM_RSRC2:SCRATCH_EN: 0
; COMPUTE_PGM_RSRC2:USER_SGPR: 6
; COMPUTE_PGM_RSRC2:TRAP_HANDLER: 0
; COMPUTE_PGM_RSRC2:TGID_X_EN: 1
; COMPUTE_PGM_RSRC2:TGID_Y_EN: 0
; COMPUTE_PGM_RSRC2:TGID_Z_EN: 0
; COMPUTE_PGM_RSRC2:TIDIG_COMP_CNT: 0
; COMPUTE_PGM_RSRC3_GFX90A:ACCUM_OFFSET: 0
; COMPUTE_PGM_RSRC3_GFX90A:TG_SPLIT: 0
	.section	.text._ZN7rocprim17ROCPRIM_400000_NS6detail17trampoline_kernelINS0_14default_configENS1_20scan_config_selectorIsEEZZNS1_9scan_implILNS1_25lookback_scan_determinismE0ELb1ELb1ES3_N6thrust23THRUST_200600_302600_NS6detail15normal_iteratorINS9_10device_ptrIsEEEENS9_16discard_iteratorINS9_11use_defaultEEEs11max_functorIsEsEEDaPvRmT3_T4_T5_mT6_P12ihipStream_tbENKUlT_T0_E_clISt17integral_constantIbLb1EESW_IbLb0EEEEDaSS_ST_EUlSS_E0_NS1_11comp_targetILNS1_3genE5ELNS1_11target_archE942ELNS1_3gpuE9ELNS1_3repE0EEENS1_30default_config_static_selectorELNS0_4arch9wavefront6targetE1EEEvT1_,"axG",@progbits,_ZN7rocprim17ROCPRIM_400000_NS6detail17trampoline_kernelINS0_14default_configENS1_20scan_config_selectorIsEEZZNS1_9scan_implILNS1_25lookback_scan_determinismE0ELb1ELb1ES3_N6thrust23THRUST_200600_302600_NS6detail15normal_iteratorINS9_10device_ptrIsEEEENS9_16discard_iteratorINS9_11use_defaultEEEs11max_functorIsEsEEDaPvRmT3_T4_T5_mT6_P12ihipStream_tbENKUlT_T0_E_clISt17integral_constantIbLb1EESW_IbLb0EEEEDaSS_ST_EUlSS_E0_NS1_11comp_targetILNS1_3genE5ELNS1_11target_archE942ELNS1_3gpuE9ELNS1_3repE0EEENS1_30default_config_static_selectorELNS0_4arch9wavefront6targetE1EEEvT1_,comdat
	.protected	_ZN7rocprim17ROCPRIM_400000_NS6detail17trampoline_kernelINS0_14default_configENS1_20scan_config_selectorIsEEZZNS1_9scan_implILNS1_25lookback_scan_determinismE0ELb1ELb1ES3_N6thrust23THRUST_200600_302600_NS6detail15normal_iteratorINS9_10device_ptrIsEEEENS9_16discard_iteratorINS9_11use_defaultEEEs11max_functorIsEsEEDaPvRmT3_T4_T5_mT6_P12ihipStream_tbENKUlT_T0_E_clISt17integral_constantIbLb1EESW_IbLb0EEEEDaSS_ST_EUlSS_E0_NS1_11comp_targetILNS1_3genE5ELNS1_11target_archE942ELNS1_3gpuE9ELNS1_3repE0EEENS1_30default_config_static_selectorELNS0_4arch9wavefront6targetE1EEEvT1_ ; -- Begin function _ZN7rocprim17ROCPRIM_400000_NS6detail17trampoline_kernelINS0_14default_configENS1_20scan_config_selectorIsEEZZNS1_9scan_implILNS1_25lookback_scan_determinismE0ELb1ELb1ES3_N6thrust23THRUST_200600_302600_NS6detail15normal_iteratorINS9_10device_ptrIsEEEENS9_16discard_iteratorINS9_11use_defaultEEEs11max_functorIsEsEEDaPvRmT3_T4_T5_mT6_P12ihipStream_tbENKUlT_T0_E_clISt17integral_constantIbLb1EESW_IbLb0EEEEDaSS_ST_EUlSS_E0_NS1_11comp_targetILNS1_3genE5ELNS1_11target_archE942ELNS1_3gpuE9ELNS1_3repE0EEENS1_30default_config_static_selectorELNS0_4arch9wavefront6targetE1EEEvT1_
	.globl	_ZN7rocprim17ROCPRIM_400000_NS6detail17trampoline_kernelINS0_14default_configENS1_20scan_config_selectorIsEEZZNS1_9scan_implILNS1_25lookback_scan_determinismE0ELb1ELb1ES3_N6thrust23THRUST_200600_302600_NS6detail15normal_iteratorINS9_10device_ptrIsEEEENS9_16discard_iteratorINS9_11use_defaultEEEs11max_functorIsEsEEDaPvRmT3_T4_T5_mT6_P12ihipStream_tbENKUlT_T0_E_clISt17integral_constantIbLb1EESW_IbLb0EEEEDaSS_ST_EUlSS_E0_NS1_11comp_targetILNS1_3genE5ELNS1_11target_archE942ELNS1_3gpuE9ELNS1_3repE0EEENS1_30default_config_static_selectorELNS0_4arch9wavefront6targetE1EEEvT1_
	.p2align	8
	.type	_ZN7rocprim17ROCPRIM_400000_NS6detail17trampoline_kernelINS0_14default_configENS1_20scan_config_selectorIsEEZZNS1_9scan_implILNS1_25lookback_scan_determinismE0ELb1ELb1ES3_N6thrust23THRUST_200600_302600_NS6detail15normal_iteratorINS9_10device_ptrIsEEEENS9_16discard_iteratorINS9_11use_defaultEEEs11max_functorIsEsEEDaPvRmT3_T4_T5_mT6_P12ihipStream_tbENKUlT_T0_E_clISt17integral_constantIbLb1EESW_IbLb0EEEEDaSS_ST_EUlSS_E0_NS1_11comp_targetILNS1_3genE5ELNS1_11target_archE942ELNS1_3gpuE9ELNS1_3repE0EEENS1_30default_config_static_selectorELNS0_4arch9wavefront6targetE1EEEvT1_,@function
_ZN7rocprim17ROCPRIM_400000_NS6detail17trampoline_kernelINS0_14default_configENS1_20scan_config_selectorIsEEZZNS1_9scan_implILNS1_25lookback_scan_determinismE0ELb1ELb1ES3_N6thrust23THRUST_200600_302600_NS6detail15normal_iteratorINS9_10device_ptrIsEEEENS9_16discard_iteratorINS9_11use_defaultEEEs11max_functorIsEsEEDaPvRmT3_T4_T5_mT6_P12ihipStream_tbENKUlT_T0_E_clISt17integral_constantIbLb1EESW_IbLb0EEEEDaSS_ST_EUlSS_E0_NS1_11comp_targetILNS1_3genE5ELNS1_11target_archE942ELNS1_3gpuE9ELNS1_3repE0EEENS1_30default_config_static_selectorELNS0_4arch9wavefront6targetE1EEEvT1_: ; @_ZN7rocprim17ROCPRIM_400000_NS6detail17trampoline_kernelINS0_14default_configENS1_20scan_config_selectorIsEEZZNS1_9scan_implILNS1_25lookback_scan_determinismE0ELb1ELb1ES3_N6thrust23THRUST_200600_302600_NS6detail15normal_iteratorINS9_10device_ptrIsEEEENS9_16discard_iteratorINS9_11use_defaultEEEs11max_functorIsEsEEDaPvRmT3_T4_T5_mT6_P12ihipStream_tbENKUlT_T0_E_clISt17integral_constantIbLb1EESW_IbLb0EEEEDaSS_ST_EUlSS_E0_NS1_11comp_targetILNS1_3genE5ELNS1_11target_archE942ELNS1_3gpuE9ELNS1_3repE0EEENS1_30default_config_static_selectorELNS0_4arch9wavefront6targetE1EEEvT1_
; %bb.0:
	.section	.rodata,"a",@progbits
	.p2align	6, 0x0
	.amdhsa_kernel _ZN7rocprim17ROCPRIM_400000_NS6detail17trampoline_kernelINS0_14default_configENS1_20scan_config_selectorIsEEZZNS1_9scan_implILNS1_25lookback_scan_determinismE0ELb1ELb1ES3_N6thrust23THRUST_200600_302600_NS6detail15normal_iteratorINS9_10device_ptrIsEEEENS9_16discard_iteratorINS9_11use_defaultEEEs11max_functorIsEsEEDaPvRmT3_T4_T5_mT6_P12ihipStream_tbENKUlT_T0_E_clISt17integral_constantIbLb1EESW_IbLb0EEEEDaSS_ST_EUlSS_E0_NS1_11comp_targetILNS1_3genE5ELNS1_11target_archE942ELNS1_3gpuE9ELNS1_3repE0EEENS1_30default_config_static_selectorELNS0_4arch9wavefront6targetE1EEEvT1_
		.amdhsa_group_segment_fixed_size 0
		.amdhsa_private_segment_fixed_size 0
		.amdhsa_kernarg_size 40
		.amdhsa_user_sgpr_count 6
		.amdhsa_user_sgpr_private_segment_buffer 1
		.amdhsa_user_sgpr_dispatch_ptr 0
		.amdhsa_user_sgpr_queue_ptr 0
		.amdhsa_user_sgpr_kernarg_segment_ptr 1
		.amdhsa_user_sgpr_dispatch_id 0
		.amdhsa_user_sgpr_flat_scratch_init 0
		.amdhsa_user_sgpr_kernarg_preload_length 0
		.amdhsa_user_sgpr_kernarg_preload_offset 0
		.amdhsa_user_sgpr_private_segment_size 0
		.amdhsa_uses_dynamic_stack 0
		.amdhsa_system_sgpr_private_segment_wavefront_offset 0
		.amdhsa_system_sgpr_workgroup_id_x 1
		.amdhsa_system_sgpr_workgroup_id_y 0
		.amdhsa_system_sgpr_workgroup_id_z 0
		.amdhsa_system_sgpr_workgroup_info 0
		.amdhsa_system_vgpr_workitem_id 0
		.amdhsa_next_free_vgpr 1
		.amdhsa_next_free_sgpr 0
		.amdhsa_accum_offset 4
		.amdhsa_reserve_vcc 0
		.amdhsa_reserve_flat_scratch 0
		.amdhsa_float_round_mode_32 0
		.amdhsa_float_round_mode_16_64 0
		.amdhsa_float_denorm_mode_32 3
		.amdhsa_float_denorm_mode_16_64 3
		.amdhsa_dx10_clamp 1
		.amdhsa_ieee_mode 1
		.amdhsa_fp16_overflow 0
		.amdhsa_tg_split 0
		.amdhsa_exception_fp_ieee_invalid_op 0
		.amdhsa_exception_fp_denorm_src 0
		.amdhsa_exception_fp_ieee_div_zero 0
		.amdhsa_exception_fp_ieee_overflow 0
		.amdhsa_exception_fp_ieee_underflow 0
		.amdhsa_exception_fp_ieee_inexact 0
		.amdhsa_exception_int_div_zero 0
	.end_amdhsa_kernel
	.section	.text._ZN7rocprim17ROCPRIM_400000_NS6detail17trampoline_kernelINS0_14default_configENS1_20scan_config_selectorIsEEZZNS1_9scan_implILNS1_25lookback_scan_determinismE0ELb1ELb1ES3_N6thrust23THRUST_200600_302600_NS6detail15normal_iteratorINS9_10device_ptrIsEEEENS9_16discard_iteratorINS9_11use_defaultEEEs11max_functorIsEsEEDaPvRmT3_T4_T5_mT6_P12ihipStream_tbENKUlT_T0_E_clISt17integral_constantIbLb1EESW_IbLb0EEEEDaSS_ST_EUlSS_E0_NS1_11comp_targetILNS1_3genE5ELNS1_11target_archE942ELNS1_3gpuE9ELNS1_3repE0EEENS1_30default_config_static_selectorELNS0_4arch9wavefront6targetE1EEEvT1_,"axG",@progbits,_ZN7rocprim17ROCPRIM_400000_NS6detail17trampoline_kernelINS0_14default_configENS1_20scan_config_selectorIsEEZZNS1_9scan_implILNS1_25lookback_scan_determinismE0ELb1ELb1ES3_N6thrust23THRUST_200600_302600_NS6detail15normal_iteratorINS9_10device_ptrIsEEEENS9_16discard_iteratorINS9_11use_defaultEEEs11max_functorIsEsEEDaPvRmT3_T4_T5_mT6_P12ihipStream_tbENKUlT_T0_E_clISt17integral_constantIbLb1EESW_IbLb0EEEEDaSS_ST_EUlSS_E0_NS1_11comp_targetILNS1_3genE5ELNS1_11target_archE942ELNS1_3gpuE9ELNS1_3repE0EEENS1_30default_config_static_selectorELNS0_4arch9wavefront6targetE1EEEvT1_,comdat
.Lfunc_end4116:
	.size	_ZN7rocprim17ROCPRIM_400000_NS6detail17trampoline_kernelINS0_14default_configENS1_20scan_config_selectorIsEEZZNS1_9scan_implILNS1_25lookback_scan_determinismE0ELb1ELb1ES3_N6thrust23THRUST_200600_302600_NS6detail15normal_iteratorINS9_10device_ptrIsEEEENS9_16discard_iteratorINS9_11use_defaultEEEs11max_functorIsEsEEDaPvRmT3_T4_T5_mT6_P12ihipStream_tbENKUlT_T0_E_clISt17integral_constantIbLb1EESW_IbLb0EEEEDaSS_ST_EUlSS_E0_NS1_11comp_targetILNS1_3genE5ELNS1_11target_archE942ELNS1_3gpuE9ELNS1_3repE0EEENS1_30default_config_static_selectorELNS0_4arch9wavefront6targetE1EEEvT1_, .Lfunc_end4116-_ZN7rocprim17ROCPRIM_400000_NS6detail17trampoline_kernelINS0_14default_configENS1_20scan_config_selectorIsEEZZNS1_9scan_implILNS1_25lookback_scan_determinismE0ELb1ELb1ES3_N6thrust23THRUST_200600_302600_NS6detail15normal_iteratorINS9_10device_ptrIsEEEENS9_16discard_iteratorINS9_11use_defaultEEEs11max_functorIsEsEEDaPvRmT3_T4_T5_mT6_P12ihipStream_tbENKUlT_T0_E_clISt17integral_constantIbLb1EESW_IbLb0EEEEDaSS_ST_EUlSS_E0_NS1_11comp_targetILNS1_3genE5ELNS1_11target_archE942ELNS1_3gpuE9ELNS1_3repE0EEENS1_30default_config_static_selectorELNS0_4arch9wavefront6targetE1EEEvT1_
                                        ; -- End function
	.section	.AMDGPU.csdata,"",@progbits
; Kernel info:
; codeLenInByte = 0
; NumSgprs: 4
; NumVgprs: 0
; NumAgprs: 0
; TotalNumVgprs: 0
; ScratchSize: 0
; MemoryBound: 0
; FloatMode: 240
; IeeeMode: 1
; LDSByteSize: 0 bytes/workgroup (compile time only)
; SGPRBlocks: 0
; VGPRBlocks: 0
; NumSGPRsForWavesPerEU: 4
; NumVGPRsForWavesPerEU: 1
; AccumOffset: 4
; Occupancy: 8
; WaveLimiterHint : 0
; COMPUTE_PGM_RSRC2:SCRATCH_EN: 0
; COMPUTE_PGM_RSRC2:USER_SGPR: 6
; COMPUTE_PGM_RSRC2:TRAP_HANDLER: 0
; COMPUTE_PGM_RSRC2:TGID_X_EN: 1
; COMPUTE_PGM_RSRC2:TGID_Y_EN: 0
; COMPUTE_PGM_RSRC2:TGID_Z_EN: 0
; COMPUTE_PGM_RSRC2:TIDIG_COMP_CNT: 0
; COMPUTE_PGM_RSRC3_GFX90A:ACCUM_OFFSET: 0
; COMPUTE_PGM_RSRC3_GFX90A:TG_SPLIT: 0
	.section	.text._ZN7rocprim17ROCPRIM_400000_NS6detail17trampoline_kernelINS0_14default_configENS1_20scan_config_selectorIsEEZZNS1_9scan_implILNS1_25lookback_scan_determinismE0ELb1ELb1ES3_N6thrust23THRUST_200600_302600_NS6detail15normal_iteratorINS9_10device_ptrIsEEEENS9_16discard_iteratorINS9_11use_defaultEEEs11max_functorIsEsEEDaPvRmT3_T4_T5_mT6_P12ihipStream_tbENKUlT_T0_E_clISt17integral_constantIbLb1EESW_IbLb0EEEEDaSS_ST_EUlSS_E0_NS1_11comp_targetILNS1_3genE4ELNS1_11target_archE910ELNS1_3gpuE8ELNS1_3repE0EEENS1_30default_config_static_selectorELNS0_4arch9wavefront6targetE1EEEvT1_,"axG",@progbits,_ZN7rocprim17ROCPRIM_400000_NS6detail17trampoline_kernelINS0_14default_configENS1_20scan_config_selectorIsEEZZNS1_9scan_implILNS1_25lookback_scan_determinismE0ELb1ELb1ES3_N6thrust23THRUST_200600_302600_NS6detail15normal_iteratorINS9_10device_ptrIsEEEENS9_16discard_iteratorINS9_11use_defaultEEEs11max_functorIsEsEEDaPvRmT3_T4_T5_mT6_P12ihipStream_tbENKUlT_T0_E_clISt17integral_constantIbLb1EESW_IbLb0EEEEDaSS_ST_EUlSS_E0_NS1_11comp_targetILNS1_3genE4ELNS1_11target_archE910ELNS1_3gpuE8ELNS1_3repE0EEENS1_30default_config_static_selectorELNS0_4arch9wavefront6targetE1EEEvT1_,comdat
	.protected	_ZN7rocprim17ROCPRIM_400000_NS6detail17trampoline_kernelINS0_14default_configENS1_20scan_config_selectorIsEEZZNS1_9scan_implILNS1_25lookback_scan_determinismE0ELb1ELb1ES3_N6thrust23THRUST_200600_302600_NS6detail15normal_iteratorINS9_10device_ptrIsEEEENS9_16discard_iteratorINS9_11use_defaultEEEs11max_functorIsEsEEDaPvRmT3_T4_T5_mT6_P12ihipStream_tbENKUlT_T0_E_clISt17integral_constantIbLb1EESW_IbLb0EEEEDaSS_ST_EUlSS_E0_NS1_11comp_targetILNS1_3genE4ELNS1_11target_archE910ELNS1_3gpuE8ELNS1_3repE0EEENS1_30default_config_static_selectorELNS0_4arch9wavefront6targetE1EEEvT1_ ; -- Begin function _ZN7rocprim17ROCPRIM_400000_NS6detail17trampoline_kernelINS0_14default_configENS1_20scan_config_selectorIsEEZZNS1_9scan_implILNS1_25lookback_scan_determinismE0ELb1ELb1ES3_N6thrust23THRUST_200600_302600_NS6detail15normal_iteratorINS9_10device_ptrIsEEEENS9_16discard_iteratorINS9_11use_defaultEEEs11max_functorIsEsEEDaPvRmT3_T4_T5_mT6_P12ihipStream_tbENKUlT_T0_E_clISt17integral_constantIbLb1EESW_IbLb0EEEEDaSS_ST_EUlSS_E0_NS1_11comp_targetILNS1_3genE4ELNS1_11target_archE910ELNS1_3gpuE8ELNS1_3repE0EEENS1_30default_config_static_selectorELNS0_4arch9wavefront6targetE1EEEvT1_
	.globl	_ZN7rocprim17ROCPRIM_400000_NS6detail17trampoline_kernelINS0_14default_configENS1_20scan_config_selectorIsEEZZNS1_9scan_implILNS1_25lookback_scan_determinismE0ELb1ELb1ES3_N6thrust23THRUST_200600_302600_NS6detail15normal_iteratorINS9_10device_ptrIsEEEENS9_16discard_iteratorINS9_11use_defaultEEEs11max_functorIsEsEEDaPvRmT3_T4_T5_mT6_P12ihipStream_tbENKUlT_T0_E_clISt17integral_constantIbLb1EESW_IbLb0EEEEDaSS_ST_EUlSS_E0_NS1_11comp_targetILNS1_3genE4ELNS1_11target_archE910ELNS1_3gpuE8ELNS1_3repE0EEENS1_30default_config_static_selectorELNS0_4arch9wavefront6targetE1EEEvT1_
	.p2align	8
	.type	_ZN7rocprim17ROCPRIM_400000_NS6detail17trampoline_kernelINS0_14default_configENS1_20scan_config_selectorIsEEZZNS1_9scan_implILNS1_25lookback_scan_determinismE0ELb1ELb1ES3_N6thrust23THRUST_200600_302600_NS6detail15normal_iteratorINS9_10device_ptrIsEEEENS9_16discard_iteratorINS9_11use_defaultEEEs11max_functorIsEsEEDaPvRmT3_T4_T5_mT6_P12ihipStream_tbENKUlT_T0_E_clISt17integral_constantIbLb1EESW_IbLb0EEEEDaSS_ST_EUlSS_E0_NS1_11comp_targetILNS1_3genE4ELNS1_11target_archE910ELNS1_3gpuE8ELNS1_3repE0EEENS1_30default_config_static_selectorELNS0_4arch9wavefront6targetE1EEEvT1_,@function
_ZN7rocprim17ROCPRIM_400000_NS6detail17trampoline_kernelINS0_14default_configENS1_20scan_config_selectorIsEEZZNS1_9scan_implILNS1_25lookback_scan_determinismE0ELb1ELb1ES3_N6thrust23THRUST_200600_302600_NS6detail15normal_iteratorINS9_10device_ptrIsEEEENS9_16discard_iteratorINS9_11use_defaultEEEs11max_functorIsEsEEDaPvRmT3_T4_T5_mT6_P12ihipStream_tbENKUlT_T0_E_clISt17integral_constantIbLb1EESW_IbLb0EEEEDaSS_ST_EUlSS_E0_NS1_11comp_targetILNS1_3genE4ELNS1_11target_archE910ELNS1_3gpuE8ELNS1_3repE0EEENS1_30default_config_static_selectorELNS0_4arch9wavefront6targetE1EEEvT1_: ; @_ZN7rocprim17ROCPRIM_400000_NS6detail17trampoline_kernelINS0_14default_configENS1_20scan_config_selectorIsEEZZNS1_9scan_implILNS1_25lookback_scan_determinismE0ELb1ELb1ES3_N6thrust23THRUST_200600_302600_NS6detail15normal_iteratorINS9_10device_ptrIsEEEENS9_16discard_iteratorINS9_11use_defaultEEEs11max_functorIsEsEEDaPvRmT3_T4_T5_mT6_P12ihipStream_tbENKUlT_T0_E_clISt17integral_constantIbLb1EESW_IbLb0EEEEDaSS_ST_EUlSS_E0_NS1_11comp_targetILNS1_3genE4ELNS1_11target_archE910ELNS1_3gpuE8ELNS1_3repE0EEENS1_30default_config_static_selectorELNS0_4arch9wavefront6targetE1EEEvT1_
; %bb.0:
	s_load_dwordx4 s[0:3], s[4:5], 0x0
	v_mov_b32_e32 v1, 0
	s_waitcnt lgkmcnt(0)
	global_load_ushort v2, v1, s[0:1]
	v_cmp_gt_u32_e32 vcc, s2, v0
	v_lshlrev_b32_e32 v1, 1, v0
	s_waitcnt vmcnt(0)
	v_mov_b32_e32 v3, v2
	s_and_saveexec_b64 s[6:7], vcc
	s_cbranch_execz .LBB4117_2
; %bb.1:
	global_load_ushort v3, v1, s[0:1]
.LBB4117_2:
	s_or_b64 exec, exec, s[6:7]
	v_or_b32_e32 v4, 64, v0
	v_cmp_gt_u32_e32 vcc, s2, v4
	v_mov_b32_e32 v4, v2
	s_and_saveexec_b64 s[6:7], vcc
	s_cbranch_execz .LBB4117_4
; %bb.3:
	global_load_ushort v4, v1, s[0:1] offset:128
.LBB4117_4:
	s_or_b64 exec, exec, s[6:7]
	v_or_b32_e32 v5, 0x80, v0
	v_cmp_gt_u32_e32 vcc, s2, v5
	v_mov_b32_e32 v5, v2
	s_and_saveexec_b64 s[6:7], vcc
	s_cbranch_execz .LBB4117_6
; %bb.5:
	global_load_ushort v5, v1, s[0:1] offset:256
.LBB4117_6:
	;; [unrolled: 9-line block ×22, first 2 shown]
	s_or_b64 exec, exec, s[6:7]
	s_load_dword s4, s[4:5], 0x10
	v_or_b32_e32 v26, 0x5c0, v0
	v_cmp_gt_u32_e32 vcc, s2, v26
	s_and_saveexec_b64 s[2:3], vcc
	s_cbranch_execz .LBB4117_48
; %bb.47:
	global_load_ushort v2, v1, s[0:1] offset:2944
.LBB4117_48:
	s_or_b64 exec, exec, s[2:3]
	s_waitcnt vmcnt(0)
	ds_write_b16 v1, v3
	ds_write_b16 v1, v4 offset:128
	ds_write_b16 v1, v5 offset:256
	;; [unrolled: 1-line block ×23, first 2 shown]
	v_mad_u32_u24 v2, v0, 46, v1
	s_waitcnt lgkmcnt(0)
	; wave barrier
	s_waitcnt lgkmcnt(0)
	ds_read_b128 v[10:13], v2
	ds_read_b128 v[6:9], v2 offset:16
	ds_read_b128 v[2:5], v2 offset:32
	v_mul_u32_u24_e32 v14, 46, v0
	s_waitcnt lgkmcnt(0)
	; wave barrier
	s_waitcnt lgkmcnt(0)
	v_lshrrev_b32_e32 v24, 16, v11
	v_max_i16_sdwa v26, v10, v10 dst_sel:DWORD dst_unused:UNUSED_PAD src0_sel:DWORD src1_sel:WORD_1
	v_lshrrev_b32_e32 v23, 16, v12
	v_max3_i16 v26, v26, v11, v24
	v_lshrrev_b32_e32 v22, 16, v13
	v_max3_i16 v26, v26, v12, v23
	;; [unrolled: 2-line block ×10, first 2 shown]
	v_max3_i16 v26, v26, v5, v25
	v_mbcnt_lo_u32_b32 v25, -1, 0
	v_mbcnt_hi_u32_b32 v25, -1, v25
	v_and_b32_e32 v28, 0xffff, v26
	v_and_b32_e32 v27, 15, v25
	v_cmp_eq_u32_e32 vcc, 0, v27
	v_mov_b32_dpp v28, v28 row_shr:1 row_mask:0xf bank_mask:0xf
	v_max_i16_e32 v28, v28, v26
	v_cndmask_b32_e32 v26, v28, v26, vcc
	v_and_b32_e32 v28, 0xffff, v26
	v_cmp_lt_u32_e32 vcc, 1, v27
	s_nop 0
	v_mov_b32_dpp v28, v28 row_shr:2 row_mask:0xf bank_mask:0xf
	v_max_i16_e32 v28, v28, v26
	v_cndmask_b32_e32 v26, v26, v28, vcc
	v_and_b32_e32 v28, 0xffff, v26
	v_cmp_lt_u32_e32 vcc, 3, v27
	s_nop 0
	;; [unrolled: 6-line block ×3, first 2 shown]
	v_mov_b32_dpp v28, v28 row_shr:8 row_mask:0xf bank_mask:0xf
	v_max_i16_e32 v28, v28, v26
	v_cndmask_b32_e32 v26, v26, v28, vcc
	v_and_b32_e32 v27, 0xffff, v26
	v_and_b32_e32 v28, 16, v25
	v_cmp_eq_u32_e32 vcc, 0, v28
	v_mov_b32_dpp v27, v27 row_bcast:15 row_mask:0xf bank_mask:0xf
	v_max_i16_e32 v27, v27, v26
	v_cndmask_b32_e32 v26, v27, v26, vcc
	v_and_b32_e32 v27, 0xffff, v26
	v_cmp_lt_u32_e32 vcc, 31, v25
	s_nop 0
	v_mov_b32_dpp v27, v27 row_bcast:31 row_mask:0xf bank_mask:0xf
	v_max_i16_e32 v27, v27, v26
	v_cndmask_b32_e32 v26, v26, v27, vcc
	v_cmp_eq_u32_e32 vcc, 63, v0
	s_and_saveexec_b64 s[0:1], vcc
	s_cbranch_execz .LBB4117_50
; %bb.49:
	v_mov_b32_e32 v27, 0
	ds_write_b16 v27, v26
.LBB4117_50:
	s_or_b64 exec, exec, s[0:1]
	v_add_u32_e32 v27, -1, v25
	v_and_b32_e32 v28, 64, v25
	v_cmp_lt_i32_e32 vcc, v27, v28
	v_cndmask_b32_e32 v27, v27, v25, vcc
	v_max_i16_e32 v26, s4, v26
	v_lshlrev_b32_e32 v27, 2, v27
	ds_bpermute_b32 v26, v27, v26
	v_cmp_eq_u32_e32 vcc, 0, v25
	v_cmp_eq_u32_e64 s[0:1], 0, v0
	v_mov_b32_e32 v0, s4
	s_or_b64 vcc, s[0:1], vcc
	s_waitcnt lgkmcnt(0)
	v_cndmask_b32_e32 v0, v26, v0, vcc
	v_max_i16_e32 v25, v0, v10
	v_max_i16_sdwa v10, v25, v10 dst_sel:DWORD dst_unused:UNUSED_PAD src0_sel:DWORD src1_sel:WORD_1
	v_max_i16_e32 v11, v10, v11
	v_max_i16_e32 v24, v11, v24
	;; [unrolled: 1-line block ×19, first 2 shown]
	s_mov_b32 s0, 0x5040100
	v_max_i16_e32 v15, v4, v15
	v_add_u32_e32 v14, v1, v14
	v_perm_b32 v0, v25, v0, s0
	v_perm_b32 v1, v11, v10, s0
	;; [unrolled: 1-line block ×4, first 2 shown]
	s_waitcnt lgkmcnt(0)
	; wave barrier
	v_max_i16_e32 v5, v15, v5
	s_waitcnt lgkmcnt(0)
	; wave barrier
	ds_write_b128 v14, v[0:3]
	v_perm_b32 v0, v6, v22, s0
	v_perm_b32 v1, v7, v21, s0
	;; [unrolled: 1-line block ×4, first 2 shown]
	ds_write_b128 v14, v[0:3] offset:16
	v_perm_b32 v0, v26, v18, s0
	v_perm_b32 v1, v27, v17, s0
	;; [unrolled: 1-line block ×4, first 2 shown]
	ds_write_b128 v14, v[0:3] offset:32
	s_waitcnt lgkmcnt(0)
	; wave barrier
	s_waitcnt lgkmcnt(0)
	s_endpgm
	.section	.rodata,"a",@progbits
	.p2align	6, 0x0
	.amdhsa_kernel _ZN7rocprim17ROCPRIM_400000_NS6detail17trampoline_kernelINS0_14default_configENS1_20scan_config_selectorIsEEZZNS1_9scan_implILNS1_25lookback_scan_determinismE0ELb1ELb1ES3_N6thrust23THRUST_200600_302600_NS6detail15normal_iteratorINS9_10device_ptrIsEEEENS9_16discard_iteratorINS9_11use_defaultEEEs11max_functorIsEsEEDaPvRmT3_T4_T5_mT6_P12ihipStream_tbENKUlT_T0_E_clISt17integral_constantIbLb1EESW_IbLb0EEEEDaSS_ST_EUlSS_E0_NS1_11comp_targetILNS1_3genE4ELNS1_11target_archE910ELNS1_3gpuE8ELNS1_3repE0EEENS1_30default_config_static_selectorELNS0_4arch9wavefront6targetE1EEEvT1_
		.amdhsa_group_segment_fixed_size 3072
		.amdhsa_private_segment_fixed_size 0
		.amdhsa_kernarg_size 40
		.amdhsa_user_sgpr_count 6
		.amdhsa_user_sgpr_private_segment_buffer 1
		.amdhsa_user_sgpr_dispatch_ptr 0
		.amdhsa_user_sgpr_queue_ptr 0
		.amdhsa_user_sgpr_kernarg_segment_ptr 1
		.amdhsa_user_sgpr_dispatch_id 0
		.amdhsa_user_sgpr_flat_scratch_init 0
		.amdhsa_user_sgpr_kernarg_preload_length 0
		.amdhsa_user_sgpr_kernarg_preload_offset 0
		.amdhsa_user_sgpr_private_segment_size 0
		.amdhsa_uses_dynamic_stack 0
		.amdhsa_system_sgpr_private_segment_wavefront_offset 0
		.amdhsa_system_sgpr_workgroup_id_x 1
		.amdhsa_system_sgpr_workgroup_id_y 0
		.amdhsa_system_sgpr_workgroup_id_z 0
		.amdhsa_system_sgpr_workgroup_info 0
		.amdhsa_system_vgpr_workitem_id 0
		.amdhsa_next_free_vgpr 29
		.amdhsa_next_free_sgpr 8
		.amdhsa_accum_offset 32
		.amdhsa_reserve_vcc 1
		.amdhsa_reserve_flat_scratch 0
		.amdhsa_float_round_mode_32 0
		.amdhsa_float_round_mode_16_64 0
		.amdhsa_float_denorm_mode_32 3
		.amdhsa_float_denorm_mode_16_64 3
		.amdhsa_dx10_clamp 1
		.amdhsa_ieee_mode 1
		.amdhsa_fp16_overflow 0
		.amdhsa_tg_split 0
		.amdhsa_exception_fp_ieee_invalid_op 0
		.amdhsa_exception_fp_denorm_src 0
		.amdhsa_exception_fp_ieee_div_zero 0
		.amdhsa_exception_fp_ieee_overflow 0
		.amdhsa_exception_fp_ieee_underflow 0
		.amdhsa_exception_fp_ieee_inexact 0
		.amdhsa_exception_int_div_zero 0
	.end_amdhsa_kernel
	.section	.text._ZN7rocprim17ROCPRIM_400000_NS6detail17trampoline_kernelINS0_14default_configENS1_20scan_config_selectorIsEEZZNS1_9scan_implILNS1_25lookback_scan_determinismE0ELb1ELb1ES3_N6thrust23THRUST_200600_302600_NS6detail15normal_iteratorINS9_10device_ptrIsEEEENS9_16discard_iteratorINS9_11use_defaultEEEs11max_functorIsEsEEDaPvRmT3_T4_T5_mT6_P12ihipStream_tbENKUlT_T0_E_clISt17integral_constantIbLb1EESW_IbLb0EEEEDaSS_ST_EUlSS_E0_NS1_11comp_targetILNS1_3genE4ELNS1_11target_archE910ELNS1_3gpuE8ELNS1_3repE0EEENS1_30default_config_static_selectorELNS0_4arch9wavefront6targetE1EEEvT1_,"axG",@progbits,_ZN7rocprim17ROCPRIM_400000_NS6detail17trampoline_kernelINS0_14default_configENS1_20scan_config_selectorIsEEZZNS1_9scan_implILNS1_25lookback_scan_determinismE0ELb1ELb1ES3_N6thrust23THRUST_200600_302600_NS6detail15normal_iteratorINS9_10device_ptrIsEEEENS9_16discard_iteratorINS9_11use_defaultEEEs11max_functorIsEsEEDaPvRmT3_T4_T5_mT6_P12ihipStream_tbENKUlT_T0_E_clISt17integral_constantIbLb1EESW_IbLb0EEEEDaSS_ST_EUlSS_E0_NS1_11comp_targetILNS1_3genE4ELNS1_11target_archE910ELNS1_3gpuE8ELNS1_3repE0EEENS1_30default_config_static_selectorELNS0_4arch9wavefront6targetE1EEEvT1_,comdat
.Lfunc_end4117:
	.size	_ZN7rocprim17ROCPRIM_400000_NS6detail17trampoline_kernelINS0_14default_configENS1_20scan_config_selectorIsEEZZNS1_9scan_implILNS1_25lookback_scan_determinismE0ELb1ELb1ES3_N6thrust23THRUST_200600_302600_NS6detail15normal_iteratorINS9_10device_ptrIsEEEENS9_16discard_iteratorINS9_11use_defaultEEEs11max_functorIsEsEEDaPvRmT3_T4_T5_mT6_P12ihipStream_tbENKUlT_T0_E_clISt17integral_constantIbLb1EESW_IbLb0EEEEDaSS_ST_EUlSS_E0_NS1_11comp_targetILNS1_3genE4ELNS1_11target_archE910ELNS1_3gpuE8ELNS1_3repE0EEENS1_30default_config_static_selectorELNS0_4arch9wavefront6targetE1EEEvT1_, .Lfunc_end4117-_ZN7rocprim17ROCPRIM_400000_NS6detail17trampoline_kernelINS0_14default_configENS1_20scan_config_selectorIsEEZZNS1_9scan_implILNS1_25lookback_scan_determinismE0ELb1ELb1ES3_N6thrust23THRUST_200600_302600_NS6detail15normal_iteratorINS9_10device_ptrIsEEEENS9_16discard_iteratorINS9_11use_defaultEEEs11max_functorIsEsEEDaPvRmT3_T4_T5_mT6_P12ihipStream_tbENKUlT_T0_E_clISt17integral_constantIbLb1EESW_IbLb0EEEEDaSS_ST_EUlSS_E0_NS1_11comp_targetILNS1_3genE4ELNS1_11target_archE910ELNS1_3gpuE8ELNS1_3repE0EEENS1_30default_config_static_selectorELNS0_4arch9wavefront6targetE1EEEvT1_
                                        ; -- End function
	.section	.AMDGPU.csdata,"",@progbits
; Kernel info:
; codeLenInByte = 1820
; NumSgprs: 12
; NumVgprs: 29
; NumAgprs: 0
; TotalNumVgprs: 29
; ScratchSize: 0
; MemoryBound: 0
; FloatMode: 240
; IeeeMode: 1
; LDSByteSize: 3072 bytes/workgroup (compile time only)
; SGPRBlocks: 1
; VGPRBlocks: 3
; NumSGPRsForWavesPerEU: 12
; NumVGPRsForWavesPerEU: 29
; AccumOffset: 32
; Occupancy: 6
; WaveLimiterHint : 0
; COMPUTE_PGM_RSRC2:SCRATCH_EN: 0
; COMPUTE_PGM_RSRC2:USER_SGPR: 6
; COMPUTE_PGM_RSRC2:TRAP_HANDLER: 0
; COMPUTE_PGM_RSRC2:TGID_X_EN: 1
; COMPUTE_PGM_RSRC2:TGID_Y_EN: 0
; COMPUTE_PGM_RSRC2:TGID_Z_EN: 0
; COMPUTE_PGM_RSRC2:TIDIG_COMP_CNT: 0
; COMPUTE_PGM_RSRC3_GFX90A:ACCUM_OFFSET: 7
; COMPUTE_PGM_RSRC3_GFX90A:TG_SPLIT: 0
	.section	.text._ZN7rocprim17ROCPRIM_400000_NS6detail17trampoline_kernelINS0_14default_configENS1_20scan_config_selectorIsEEZZNS1_9scan_implILNS1_25lookback_scan_determinismE0ELb1ELb1ES3_N6thrust23THRUST_200600_302600_NS6detail15normal_iteratorINS9_10device_ptrIsEEEENS9_16discard_iteratorINS9_11use_defaultEEEs11max_functorIsEsEEDaPvRmT3_T4_T5_mT6_P12ihipStream_tbENKUlT_T0_E_clISt17integral_constantIbLb1EESW_IbLb0EEEEDaSS_ST_EUlSS_E0_NS1_11comp_targetILNS1_3genE3ELNS1_11target_archE908ELNS1_3gpuE7ELNS1_3repE0EEENS1_30default_config_static_selectorELNS0_4arch9wavefront6targetE1EEEvT1_,"axG",@progbits,_ZN7rocprim17ROCPRIM_400000_NS6detail17trampoline_kernelINS0_14default_configENS1_20scan_config_selectorIsEEZZNS1_9scan_implILNS1_25lookback_scan_determinismE0ELb1ELb1ES3_N6thrust23THRUST_200600_302600_NS6detail15normal_iteratorINS9_10device_ptrIsEEEENS9_16discard_iteratorINS9_11use_defaultEEEs11max_functorIsEsEEDaPvRmT3_T4_T5_mT6_P12ihipStream_tbENKUlT_T0_E_clISt17integral_constantIbLb1EESW_IbLb0EEEEDaSS_ST_EUlSS_E0_NS1_11comp_targetILNS1_3genE3ELNS1_11target_archE908ELNS1_3gpuE7ELNS1_3repE0EEENS1_30default_config_static_selectorELNS0_4arch9wavefront6targetE1EEEvT1_,comdat
	.protected	_ZN7rocprim17ROCPRIM_400000_NS6detail17trampoline_kernelINS0_14default_configENS1_20scan_config_selectorIsEEZZNS1_9scan_implILNS1_25lookback_scan_determinismE0ELb1ELb1ES3_N6thrust23THRUST_200600_302600_NS6detail15normal_iteratorINS9_10device_ptrIsEEEENS9_16discard_iteratorINS9_11use_defaultEEEs11max_functorIsEsEEDaPvRmT3_T4_T5_mT6_P12ihipStream_tbENKUlT_T0_E_clISt17integral_constantIbLb1EESW_IbLb0EEEEDaSS_ST_EUlSS_E0_NS1_11comp_targetILNS1_3genE3ELNS1_11target_archE908ELNS1_3gpuE7ELNS1_3repE0EEENS1_30default_config_static_selectorELNS0_4arch9wavefront6targetE1EEEvT1_ ; -- Begin function _ZN7rocprim17ROCPRIM_400000_NS6detail17trampoline_kernelINS0_14default_configENS1_20scan_config_selectorIsEEZZNS1_9scan_implILNS1_25lookback_scan_determinismE0ELb1ELb1ES3_N6thrust23THRUST_200600_302600_NS6detail15normal_iteratorINS9_10device_ptrIsEEEENS9_16discard_iteratorINS9_11use_defaultEEEs11max_functorIsEsEEDaPvRmT3_T4_T5_mT6_P12ihipStream_tbENKUlT_T0_E_clISt17integral_constantIbLb1EESW_IbLb0EEEEDaSS_ST_EUlSS_E0_NS1_11comp_targetILNS1_3genE3ELNS1_11target_archE908ELNS1_3gpuE7ELNS1_3repE0EEENS1_30default_config_static_selectorELNS0_4arch9wavefront6targetE1EEEvT1_
	.globl	_ZN7rocprim17ROCPRIM_400000_NS6detail17trampoline_kernelINS0_14default_configENS1_20scan_config_selectorIsEEZZNS1_9scan_implILNS1_25lookback_scan_determinismE0ELb1ELb1ES3_N6thrust23THRUST_200600_302600_NS6detail15normal_iteratorINS9_10device_ptrIsEEEENS9_16discard_iteratorINS9_11use_defaultEEEs11max_functorIsEsEEDaPvRmT3_T4_T5_mT6_P12ihipStream_tbENKUlT_T0_E_clISt17integral_constantIbLb1EESW_IbLb0EEEEDaSS_ST_EUlSS_E0_NS1_11comp_targetILNS1_3genE3ELNS1_11target_archE908ELNS1_3gpuE7ELNS1_3repE0EEENS1_30default_config_static_selectorELNS0_4arch9wavefront6targetE1EEEvT1_
	.p2align	8
	.type	_ZN7rocprim17ROCPRIM_400000_NS6detail17trampoline_kernelINS0_14default_configENS1_20scan_config_selectorIsEEZZNS1_9scan_implILNS1_25lookback_scan_determinismE0ELb1ELb1ES3_N6thrust23THRUST_200600_302600_NS6detail15normal_iteratorINS9_10device_ptrIsEEEENS9_16discard_iteratorINS9_11use_defaultEEEs11max_functorIsEsEEDaPvRmT3_T4_T5_mT6_P12ihipStream_tbENKUlT_T0_E_clISt17integral_constantIbLb1EESW_IbLb0EEEEDaSS_ST_EUlSS_E0_NS1_11comp_targetILNS1_3genE3ELNS1_11target_archE908ELNS1_3gpuE7ELNS1_3repE0EEENS1_30default_config_static_selectorELNS0_4arch9wavefront6targetE1EEEvT1_,@function
_ZN7rocprim17ROCPRIM_400000_NS6detail17trampoline_kernelINS0_14default_configENS1_20scan_config_selectorIsEEZZNS1_9scan_implILNS1_25lookback_scan_determinismE0ELb1ELb1ES3_N6thrust23THRUST_200600_302600_NS6detail15normal_iteratorINS9_10device_ptrIsEEEENS9_16discard_iteratorINS9_11use_defaultEEEs11max_functorIsEsEEDaPvRmT3_T4_T5_mT6_P12ihipStream_tbENKUlT_T0_E_clISt17integral_constantIbLb1EESW_IbLb0EEEEDaSS_ST_EUlSS_E0_NS1_11comp_targetILNS1_3genE3ELNS1_11target_archE908ELNS1_3gpuE7ELNS1_3repE0EEENS1_30default_config_static_selectorELNS0_4arch9wavefront6targetE1EEEvT1_: ; @_ZN7rocprim17ROCPRIM_400000_NS6detail17trampoline_kernelINS0_14default_configENS1_20scan_config_selectorIsEEZZNS1_9scan_implILNS1_25lookback_scan_determinismE0ELb1ELb1ES3_N6thrust23THRUST_200600_302600_NS6detail15normal_iteratorINS9_10device_ptrIsEEEENS9_16discard_iteratorINS9_11use_defaultEEEs11max_functorIsEsEEDaPvRmT3_T4_T5_mT6_P12ihipStream_tbENKUlT_T0_E_clISt17integral_constantIbLb1EESW_IbLb0EEEEDaSS_ST_EUlSS_E0_NS1_11comp_targetILNS1_3genE3ELNS1_11target_archE908ELNS1_3gpuE7ELNS1_3repE0EEENS1_30default_config_static_selectorELNS0_4arch9wavefront6targetE1EEEvT1_
; %bb.0:
	.section	.rodata,"a",@progbits
	.p2align	6, 0x0
	.amdhsa_kernel _ZN7rocprim17ROCPRIM_400000_NS6detail17trampoline_kernelINS0_14default_configENS1_20scan_config_selectorIsEEZZNS1_9scan_implILNS1_25lookback_scan_determinismE0ELb1ELb1ES3_N6thrust23THRUST_200600_302600_NS6detail15normal_iteratorINS9_10device_ptrIsEEEENS9_16discard_iteratorINS9_11use_defaultEEEs11max_functorIsEsEEDaPvRmT3_T4_T5_mT6_P12ihipStream_tbENKUlT_T0_E_clISt17integral_constantIbLb1EESW_IbLb0EEEEDaSS_ST_EUlSS_E0_NS1_11comp_targetILNS1_3genE3ELNS1_11target_archE908ELNS1_3gpuE7ELNS1_3repE0EEENS1_30default_config_static_selectorELNS0_4arch9wavefront6targetE1EEEvT1_
		.amdhsa_group_segment_fixed_size 0
		.amdhsa_private_segment_fixed_size 0
		.amdhsa_kernarg_size 40
		.amdhsa_user_sgpr_count 6
		.amdhsa_user_sgpr_private_segment_buffer 1
		.amdhsa_user_sgpr_dispatch_ptr 0
		.amdhsa_user_sgpr_queue_ptr 0
		.amdhsa_user_sgpr_kernarg_segment_ptr 1
		.amdhsa_user_sgpr_dispatch_id 0
		.amdhsa_user_sgpr_flat_scratch_init 0
		.amdhsa_user_sgpr_kernarg_preload_length 0
		.amdhsa_user_sgpr_kernarg_preload_offset 0
		.amdhsa_user_sgpr_private_segment_size 0
		.amdhsa_uses_dynamic_stack 0
		.amdhsa_system_sgpr_private_segment_wavefront_offset 0
		.amdhsa_system_sgpr_workgroup_id_x 1
		.amdhsa_system_sgpr_workgroup_id_y 0
		.amdhsa_system_sgpr_workgroup_id_z 0
		.amdhsa_system_sgpr_workgroup_info 0
		.amdhsa_system_vgpr_workitem_id 0
		.amdhsa_next_free_vgpr 1
		.amdhsa_next_free_sgpr 0
		.amdhsa_accum_offset 4
		.amdhsa_reserve_vcc 0
		.amdhsa_reserve_flat_scratch 0
		.amdhsa_float_round_mode_32 0
		.amdhsa_float_round_mode_16_64 0
		.amdhsa_float_denorm_mode_32 3
		.amdhsa_float_denorm_mode_16_64 3
		.amdhsa_dx10_clamp 1
		.amdhsa_ieee_mode 1
		.amdhsa_fp16_overflow 0
		.amdhsa_tg_split 0
		.amdhsa_exception_fp_ieee_invalid_op 0
		.amdhsa_exception_fp_denorm_src 0
		.amdhsa_exception_fp_ieee_div_zero 0
		.amdhsa_exception_fp_ieee_overflow 0
		.amdhsa_exception_fp_ieee_underflow 0
		.amdhsa_exception_fp_ieee_inexact 0
		.amdhsa_exception_int_div_zero 0
	.end_amdhsa_kernel
	.section	.text._ZN7rocprim17ROCPRIM_400000_NS6detail17trampoline_kernelINS0_14default_configENS1_20scan_config_selectorIsEEZZNS1_9scan_implILNS1_25lookback_scan_determinismE0ELb1ELb1ES3_N6thrust23THRUST_200600_302600_NS6detail15normal_iteratorINS9_10device_ptrIsEEEENS9_16discard_iteratorINS9_11use_defaultEEEs11max_functorIsEsEEDaPvRmT3_T4_T5_mT6_P12ihipStream_tbENKUlT_T0_E_clISt17integral_constantIbLb1EESW_IbLb0EEEEDaSS_ST_EUlSS_E0_NS1_11comp_targetILNS1_3genE3ELNS1_11target_archE908ELNS1_3gpuE7ELNS1_3repE0EEENS1_30default_config_static_selectorELNS0_4arch9wavefront6targetE1EEEvT1_,"axG",@progbits,_ZN7rocprim17ROCPRIM_400000_NS6detail17trampoline_kernelINS0_14default_configENS1_20scan_config_selectorIsEEZZNS1_9scan_implILNS1_25lookback_scan_determinismE0ELb1ELb1ES3_N6thrust23THRUST_200600_302600_NS6detail15normal_iteratorINS9_10device_ptrIsEEEENS9_16discard_iteratorINS9_11use_defaultEEEs11max_functorIsEsEEDaPvRmT3_T4_T5_mT6_P12ihipStream_tbENKUlT_T0_E_clISt17integral_constantIbLb1EESW_IbLb0EEEEDaSS_ST_EUlSS_E0_NS1_11comp_targetILNS1_3genE3ELNS1_11target_archE908ELNS1_3gpuE7ELNS1_3repE0EEENS1_30default_config_static_selectorELNS0_4arch9wavefront6targetE1EEEvT1_,comdat
.Lfunc_end4118:
	.size	_ZN7rocprim17ROCPRIM_400000_NS6detail17trampoline_kernelINS0_14default_configENS1_20scan_config_selectorIsEEZZNS1_9scan_implILNS1_25lookback_scan_determinismE0ELb1ELb1ES3_N6thrust23THRUST_200600_302600_NS6detail15normal_iteratorINS9_10device_ptrIsEEEENS9_16discard_iteratorINS9_11use_defaultEEEs11max_functorIsEsEEDaPvRmT3_T4_T5_mT6_P12ihipStream_tbENKUlT_T0_E_clISt17integral_constantIbLb1EESW_IbLb0EEEEDaSS_ST_EUlSS_E0_NS1_11comp_targetILNS1_3genE3ELNS1_11target_archE908ELNS1_3gpuE7ELNS1_3repE0EEENS1_30default_config_static_selectorELNS0_4arch9wavefront6targetE1EEEvT1_, .Lfunc_end4118-_ZN7rocprim17ROCPRIM_400000_NS6detail17trampoline_kernelINS0_14default_configENS1_20scan_config_selectorIsEEZZNS1_9scan_implILNS1_25lookback_scan_determinismE0ELb1ELb1ES3_N6thrust23THRUST_200600_302600_NS6detail15normal_iteratorINS9_10device_ptrIsEEEENS9_16discard_iteratorINS9_11use_defaultEEEs11max_functorIsEsEEDaPvRmT3_T4_T5_mT6_P12ihipStream_tbENKUlT_T0_E_clISt17integral_constantIbLb1EESW_IbLb0EEEEDaSS_ST_EUlSS_E0_NS1_11comp_targetILNS1_3genE3ELNS1_11target_archE908ELNS1_3gpuE7ELNS1_3repE0EEENS1_30default_config_static_selectorELNS0_4arch9wavefront6targetE1EEEvT1_
                                        ; -- End function
	.section	.AMDGPU.csdata,"",@progbits
; Kernel info:
; codeLenInByte = 0
; NumSgprs: 4
; NumVgprs: 0
; NumAgprs: 0
; TotalNumVgprs: 0
; ScratchSize: 0
; MemoryBound: 0
; FloatMode: 240
; IeeeMode: 1
; LDSByteSize: 0 bytes/workgroup (compile time only)
; SGPRBlocks: 0
; VGPRBlocks: 0
; NumSGPRsForWavesPerEU: 4
; NumVGPRsForWavesPerEU: 1
; AccumOffset: 4
; Occupancy: 8
; WaveLimiterHint : 0
; COMPUTE_PGM_RSRC2:SCRATCH_EN: 0
; COMPUTE_PGM_RSRC2:USER_SGPR: 6
; COMPUTE_PGM_RSRC2:TRAP_HANDLER: 0
; COMPUTE_PGM_RSRC2:TGID_X_EN: 1
; COMPUTE_PGM_RSRC2:TGID_Y_EN: 0
; COMPUTE_PGM_RSRC2:TGID_Z_EN: 0
; COMPUTE_PGM_RSRC2:TIDIG_COMP_CNT: 0
; COMPUTE_PGM_RSRC3_GFX90A:ACCUM_OFFSET: 0
; COMPUTE_PGM_RSRC3_GFX90A:TG_SPLIT: 0
	.section	.text._ZN7rocprim17ROCPRIM_400000_NS6detail17trampoline_kernelINS0_14default_configENS1_20scan_config_selectorIsEEZZNS1_9scan_implILNS1_25lookback_scan_determinismE0ELb1ELb1ES3_N6thrust23THRUST_200600_302600_NS6detail15normal_iteratorINS9_10device_ptrIsEEEENS9_16discard_iteratorINS9_11use_defaultEEEs11max_functorIsEsEEDaPvRmT3_T4_T5_mT6_P12ihipStream_tbENKUlT_T0_E_clISt17integral_constantIbLb1EESW_IbLb0EEEEDaSS_ST_EUlSS_E0_NS1_11comp_targetILNS1_3genE2ELNS1_11target_archE906ELNS1_3gpuE6ELNS1_3repE0EEENS1_30default_config_static_selectorELNS0_4arch9wavefront6targetE1EEEvT1_,"axG",@progbits,_ZN7rocprim17ROCPRIM_400000_NS6detail17trampoline_kernelINS0_14default_configENS1_20scan_config_selectorIsEEZZNS1_9scan_implILNS1_25lookback_scan_determinismE0ELb1ELb1ES3_N6thrust23THRUST_200600_302600_NS6detail15normal_iteratorINS9_10device_ptrIsEEEENS9_16discard_iteratorINS9_11use_defaultEEEs11max_functorIsEsEEDaPvRmT3_T4_T5_mT6_P12ihipStream_tbENKUlT_T0_E_clISt17integral_constantIbLb1EESW_IbLb0EEEEDaSS_ST_EUlSS_E0_NS1_11comp_targetILNS1_3genE2ELNS1_11target_archE906ELNS1_3gpuE6ELNS1_3repE0EEENS1_30default_config_static_selectorELNS0_4arch9wavefront6targetE1EEEvT1_,comdat
	.protected	_ZN7rocprim17ROCPRIM_400000_NS6detail17trampoline_kernelINS0_14default_configENS1_20scan_config_selectorIsEEZZNS1_9scan_implILNS1_25lookback_scan_determinismE0ELb1ELb1ES3_N6thrust23THRUST_200600_302600_NS6detail15normal_iteratorINS9_10device_ptrIsEEEENS9_16discard_iteratorINS9_11use_defaultEEEs11max_functorIsEsEEDaPvRmT3_T4_T5_mT6_P12ihipStream_tbENKUlT_T0_E_clISt17integral_constantIbLb1EESW_IbLb0EEEEDaSS_ST_EUlSS_E0_NS1_11comp_targetILNS1_3genE2ELNS1_11target_archE906ELNS1_3gpuE6ELNS1_3repE0EEENS1_30default_config_static_selectorELNS0_4arch9wavefront6targetE1EEEvT1_ ; -- Begin function _ZN7rocprim17ROCPRIM_400000_NS6detail17trampoline_kernelINS0_14default_configENS1_20scan_config_selectorIsEEZZNS1_9scan_implILNS1_25lookback_scan_determinismE0ELb1ELb1ES3_N6thrust23THRUST_200600_302600_NS6detail15normal_iteratorINS9_10device_ptrIsEEEENS9_16discard_iteratorINS9_11use_defaultEEEs11max_functorIsEsEEDaPvRmT3_T4_T5_mT6_P12ihipStream_tbENKUlT_T0_E_clISt17integral_constantIbLb1EESW_IbLb0EEEEDaSS_ST_EUlSS_E0_NS1_11comp_targetILNS1_3genE2ELNS1_11target_archE906ELNS1_3gpuE6ELNS1_3repE0EEENS1_30default_config_static_selectorELNS0_4arch9wavefront6targetE1EEEvT1_
	.globl	_ZN7rocprim17ROCPRIM_400000_NS6detail17trampoline_kernelINS0_14default_configENS1_20scan_config_selectorIsEEZZNS1_9scan_implILNS1_25lookback_scan_determinismE0ELb1ELb1ES3_N6thrust23THRUST_200600_302600_NS6detail15normal_iteratorINS9_10device_ptrIsEEEENS9_16discard_iteratorINS9_11use_defaultEEEs11max_functorIsEsEEDaPvRmT3_T4_T5_mT6_P12ihipStream_tbENKUlT_T0_E_clISt17integral_constantIbLb1EESW_IbLb0EEEEDaSS_ST_EUlSS_E0_NS1_11comp_targetILNS1_3genE2ELNS1_11target_archE906ELNS1_3gpuE6ELNS1_3repE0EEENS1_30default_config_static_selectorELNS0_4arch9wavefront6targetE1EEEvT1_
	.p2align	8
	.type	_ZN7rocprim17ROCPRIM_400000_NS6detail17trampoline_kernelINS0_14default_configENS1_20scan_config_selectorIsEEZZNS1_9scan_implILNS1_25lookback_scan_determinismE0ELb1ELb1ES3_N6thrust23THRUST_200600_302600_NS6detail15normal_iteratorINS9_10device_ptrIsEEEENS9_16discard_iteratorINS9_11use_defaultEEEs11max_functorIsEsEEDaPvRmT3_T4_T5_mT6_P12ihipStream_tbENKUlT_T0_E_clISt17integral_constantIbLb1EESW_IbLb0EEEEDaSS_ST_EUlSS_E0_NS1_11comp_targetILNS1_3genE2ELNS1_11target_archE906ELNS1_3gpuE6ELNS1_3repE0EEENS1_30default_config_static_selectorELNS0_4arch9wavefront6targetE1EEEvT1_,@function
_ZN7rocprim17ROCPRIM_400000_NS6detail17trampoline_kernelINS0_14default_configENS1_20scan_config_selectorIsEEZZNS1_9scan_implILNS1_25lookback_scan_determinismE0ELb1ELb1ES3_N6thrust23THRUST_200600_302600_NS6detail15normal_iteratorINS9_10device_ptrIsEEEENS9_16discard_iteratorINS9_11use_defaultEEEs11max_functorIsEsEEDaPvRmT3_T4_T5_mT6_P12ihipStream_tbENKUlT_T0_E_clISt17integral_constantIbLb1EESW_IbLb0EEEEDaSS_ST_EUlSS_E0_NS1_11comp_targetILNS1_3genE2ELNS1_11target_archE906ELNS1_3gpuE6ELNS1_3repE0EEENS1_30default_config_static_selectorELNS0_4arch9wavefront6targetE1EEEvT1_: ; @_ZN7rocprim17ROCPRIM_400000_NS6detail17trampoline_kernelINS0_14default_configENS1_20scan_config_selectorIsEEZZNS1_9scan_implILNS1_25lookback_scan_determinismE0ELb1ELb1ES3_N6thrust23THRUST_200600_302600_NS6detail15normal_iteratorINS9_10device_ptrIsEEEENS9_16discard_iteratorINS9_11use_defaultEEEs11max_functorIsEsEEDaPvRmT3_T4_T5_mT6_P12ihipStream_tbENKUlT_T0_E_clISt17integral_constantIbLb1EESW_IbLb0EEEEDaSS_ST_EUlSS_E0_NS1_11comp_targetILNS1_3genE2ELNS1_11target_archE906ELNS1_3gpuE6ELNS1_3repE0EEENS1_30default_config_static_selectorELNS0_4arch9wavefront6targetE1EEEvT1_
; %bb.0:
	.section	.rodata,"a",@progbits
	.p2align	6, 0x0
	.amdhsa_kernel _ZN7rocprim17ROCPRIM_400000_NS6detail17trampoline_kernelINS0_14default_configENS1_20scan_config_selectorIsEEZZNS1_9scan_implILNS1_25lookback_scan_determinismE0ELb1ELb1ES3_N6thrust23THRUST_200600_302600_NS6detail15normal_iteratorINS9_10device_ptrIsEEEENS9_16discard_iteratorINS9_11use_defaultEEEs11max_functorIsEsEEDaPvRmT3_T4_T5_mT6_P12ihipStream_tbENKUlT_T0_E_clISt17integral_constantIbLb1EESW_IbLb0EEEEDaSS_ST_EUlSS_E0_NS1_11comp_targetILNS1_3genE2ELNS1_11target_archE906ELNS1_3gpuE6ELNS1_3repE0EEENS1_30default_config_static_selectorELNS0_4arch9wavefront6targetE1EEEvT1_
		.amdhsa_group_segment_fixed_size 0
		.amdhsa_private_segment_fixed_size 0
		.amdhsa_kernarg_size 40
		.amdhsa_user_sgpr_count 6
		.amdhsa_user_sgpr_private_segment_buffer 1
		.amdhsa_user_sgpr_dispatch_ptr 0
		.amdhsa_user_sgpr_queue_ptr 0
		.amdhsa_user_sgpr_kernarg_segment_ptr 1
		.amdhsa_user_sgpr_dispatch_id 0
		.amdhsa_user_sgpr_flat_scratch_init 0
		.amdhsa_user_sgpr_kernarg_preload_length 0
		.amdhsa_user_sgpr_kernarg_preload_offset 0
		.amdhsa_user_sgpr_private_segment_size 0
		.amdhsa_uses_dynamic_stack 0
		.amdhsa_system_sgpr_private_segment_wavefront_offset 0
		.amdhsa_system_sgpr_workgroup_id_x 1
		.amdhsa_system_sgpr_workgroup_id_y 0
		.amdhsa_system_sgpr_workgroup_id_z 0
		.amdhsa_system_sgpr_workgroup_info 0
		.amdhsa_system_vgpr_workitem_id 0
		.amdhsa_next_free_vgpr 1
		.amdhsa_next_free_sgpr 0
		.amdhsa_accum_offset 4
		.amdhsa_reserve_vcc 0
		.amdhsa_reserve_flat_scratch 0
		.amdhsa_float_round_mode_32 0
		.amdhsa_float_round_mode_16_64 0
		.amdhsa_float_denorm_mode_32 3
		.amdhsa_float_denorm_mode_16_64 3
		.amdhsa_dx10_clamp 1
		.amdhsa_ieee_mode 1
		.amdhsa_fp16_overflow 0
		.amdhsa_tg_split 0
		.amdhsa_exception_fp_ieee_invalid_op 0
		.amdhsa_exception_fp_denorm_src 0
		.amdhsa_exception_fp_ieee_div_zero 0
		.amdhsa_exception_fp_ieee_overflow 0
		.amdhsa_exception_fp_ieee_underflow 0
		.amdhsa_exception_fp_ieee_inexact 0
		.amdhsa_exception_int_div_zero 0
	.end_amdhsa_kernel
	.section	.text._ZN7rocprim17ROCPRIM_400000_NS6detail17trampoline_kernelINS0_14default_configENS1_20scan_config_selectorIsEEZZNS1_9scan_implILNS1_25lookback_scan_determinismE0ELb1ELb1ES3_N6thrust23THRUST_200600_302600_NS6detail15normal_iteratorINS9_10device_ptrIsEEEENS9_16discard_iteratorINS9_11use_defaultEEEs11max_functorIsEsEEDaPvRmT3_T4_T5_mT6_P12ihipStream_tbENKUlT_T0_E_clISt17integral_constantIbLb1EESW_IbLb0EEEEDaSS_ST_EUlSS_E0_NS1_11comp_targetILNS1_3genE2ELNS1_11target_archE906ELNS1_3gpuE6ELNS1_3repE0EEENS1_30default_config_static_selectorELNS0_4arch9wavefront6targetE1EEEvT1_,"axG",@progbits,_ZN7rocprim17ROCPRIM_400000_NS6detail17trampoline_kernelINS0_14default_configENS1_20scan_config_selectorIsEEZZNS1_9scan_implILNS1_25lookback_scan_determinismE0ELb1ELb1ES3_N6thrust23THRUST_200600_302600_NS6detail15normal_iteratorINS9_10device_ptrIsEEEENS9_16discard_iteratorINS9_11use_defaultEEEs11max_functorIsEsEEDaPvRmT3_T4_T5_mT6_P12ihipStream_tbENKUlT_T0_E_clISt17integral_constantIbLb1EESW_IbLb0EEEEDaSS_ST_EUlSS_E0_NS1_11comp_targetILNS1_3genE2ELNS1_11target_archE906ELNS1_3gpuE6ELNS1_3repE0EEENS1_30default_config_static_selectorELNS0_4arch9wavefront6targetE1EEEvT1_,comdat
.Lfunc_end4119:
	.size	_ZN7rocprim17ROCPRIM_400000_NS6detail17trampoline_kernelINS0_14default_configENS1_20scan_config_selectorIsEEZZNS1_9scan_implILNS1_25lookback_scan_determinismE0ELb1ELb1ES3_N6thrust23THRUST_200600_302600_NS6detail15normal_iteratorINS9_10device_ptrIsEEEENS9_16discard_iteratorINS9_11use_defaultEEEs11max_functorIsEsEEDaPvRmT3_T4_T5_mT6_P12ihipStream_tbENKUlT_T0_E_clISt17integral_constantIbLb1EESW_IbLb0EEEEDaSS_ST_EUlSS_E0_NS1_11comp_targetILNS1_3genE2ELNS1_11target_archE906ELNS1_3gpuE6ELNS1_3repE0EEENS1_30default_config_static_selectorELNS0_4arch9wavefront6targetE1EEEvT1_, .Lfunc_end4119-_ZN7rocprim17ROCPRIM_400000_NS6detail17trampoline_kernelINS0_14default_configENS1_20scan_config_selectorIsEEZZNS1_9scan_implILNS1_25lookback_scan_determinismE0ELb1ELb1ES3_N6thrust23THRUST_200600_302600_NS6detail15normal_iteratorINS9_10device_ptrIsEEEENS9_16discard_iteratorINS9_11use_defaultEEEs11max_functorIsEsEEDaPvRmT3_T4_T5_mT6_P12ihipStream_tbENKUlT_T0_E_clISt17integral_constantIbLb1EESW_IbLb0EEEEDaSS_ST_EUlSS_E0_NS1_11comp_targetILNS1_3genE2ELNS1_11target_archE906ELNS1_3gpuE6ELNS1_3repE0EEENS1_30default_config_static_selectorELNS0_4arch9wavefront6targetE1EEEvT1_
                                        ; -- End function
	.section	.AMDGPU.csdata,"",@progbits
; Kernel info:
; codeLenInByte = 0
; NumSgprs: 4
; NumVgprs: 0
; NumAgprs: 0
; TotalNumVgprs: 0
; ScratchSize: 0
; MemoryBound: 0
; FloatMode: 240
; IeeeMode: 1
; LDSByteSize: 0 bytes/workgroup (compile time only)
; SGPRBlocks: 0
; VGPRBlocks: 0
; NumSGPRsForWavesPerEU: 4
; NumVGPRsForWavesPerEU: 1
; AccumOffset: 4
; Occupancy: 8
; WaveLimiterHint : 0
; COMPUTE_PGM_RSRC2:SCRATCH_EN: 0
; COMPUTE_PGM_RSRC2:USER_SGPR: 6
; COMPUTE_PGM_RSRC2:TRAP_HANDLER: 0
; COMPUTE_PGM_RSRC2:TGID_X_EN: 1
; COMPUTE_PGM_RSRC2:TGID_Y_EN: 0
; COMPUTE_PGM_RSRC2:TGID_Z_EN: 0
; COMPUTE_PGM_RSRC2:TIDIG_COMP_CNT: 0
; COMPUTE_PGM_RSRC3_GFX90A:ACCUM_OFFSET: 0
; COMPUTE_PGM_RSRC3_GFX90A:TG_SPLIT: 0
	.section	.text._ZN7rocprim17ROCPRIM_400000_NS6detail17trampoline_kernelINS0_14default_configENS1_20scan_config_selectorIsEEZZNS1_9scan_implILNS1_25lookback_scan_determinismE0ELb1ELb1ES3_N6thrust23THRUST_200600_302600_NS6detail15normal_iteratorINS9_10device_ptrIsEEEENS9_16discard_iteratorINS9_11use_defaultEEEs11max_functorIsEsEEDaPvRmT3_T4_T5_mT6_P12ihipStream_tbENKUlT_T0_E_clISt17integral_constantIbLb1EESW_IbLb0EEEEDaSS_ST_EUlSS_E0_NS1_11comp_targetILNS1_3genE10ELNS1_11target_archE1201ELNS1_3gpuE5ELNS1_3repE0EEENS1_30default_config_static_selectorELNS0_4arch9wavefront6targetE1EEEvT1_,"axG",@progbits,_ZN7rocprim17ROCPRIM_400000_NS6detail17trampoline_kernelINS0_14default_configENS1_20scan_config_selectorIsEEZZNS1_9scan_implILNS1_25lookback_scan_determinismE0ELb1ELb1ES3_N6thrust23THRUST_200600_302600_NS6detail15normal_iteratorINS9_10device_ptrIsEEEENS9_16discard_iteratorINS9_11use_defaultEEEs11max_functorIsEsEEDaPvRmT3_T4_T5_mT6_P12ihipStream_tbENKUlT_T0_E_clISt17integral_constantIbLb1EESW_IbLb0EEEEDaSS_ST_EUlSS_E0_NS1_11comp_targetILNS1_3genE10ELNS1_11target_archE1201ELNS1_3gpuE5ELNS1_3repE0EEENS1_30default_config_static_selectorELNS0_4arch9wavefront6targetE1EEEvT1_,comdat
	.protected	_ZN7rocprim17ROCPRIM_400000_NS6detail17trampoline_kernelINS0_14default_configENS1_20scan_config_selectorIsEEZZNS1_9scan_implILNS1_25lookback_scan_determinismE0ELb1ELb1ES3_N6thrust23THRUST_200600_302600_NS6detail15normal_iteratorINS9_10device_ptrIsEEEENS9_16discard_iteratorINS9_11use_defaultEEEs11max_functorIsEsEEDaPvRmT3_T4_T5_mT6_P12ihipStream_tbENKUlT_T0_E_clISt17integral_constantIbLb1EESW_IbLb0EEEEDaSS_ST_EUlSS_E0_NS1_11comp_targetILNS1_3genE10ELNS1_11target_archE1201ELNS1_3gpuE5ELNS1_3repE0EEENS1_30default_config_static_selectorELNS0_4arch9wavefront6targetE1EEEvT1_ ; -- Begin function _ZN7rocprim17ROCPRIM_400000_NS6detail17trampoline_kernelINS0_14default_configENS1_20scan_config_selectorIsEEZZNS1_9scan_implILNS1_25lookback_scan_determinismE0ELb1ELb1ES3_N6thrust23THRUST_200600_302600_NS6detail15normal_iteratorINS9_10device_ptrIsEEEENS9_16discard_iteratorINS9_11use_defaultEEEs11max_functorIsEsEEDaPvRmT3_T4_T5_mT6_P12ihipStream_tbENKUlT_T0_E_clISt17integral_constantIbLb1EESW_IbLb0EEEEDaSS_ST_EUlSS_E0_NS1_11comp_targetILNS1_3genE10ELNS1_11target_archE1201ELNS1_3gpuE5ELNS1_3repE0EEENS1_30default_config_static_selectorELNS0_4arch9wavefront6targetE1EEEvT1_
	.globl	_ZN7rocprim17ROCPRIM_400000_NS6detail17trampoline_kernelINS0_14default_configENS1_20scan_config_selectorIsEEZZNS1_9scan_implILNS1_25lookback_scan_determinismE0ELb1ELb1ES3_N6thrust23THRUST_200600_302600_NS6detail15normal_iteratorINS9_10device_ptrIsEEEENS9_16discard_iteratorINS9_11use_defaultEEEs11max_functorIsEsEEDaPvRmT3_T4_T5_mT6_P12ihipStream_tbENKUlT_T0_E_clISt17integral_constantIbLb1EESW_IbLb0EEEEDaSS_ST_EUlSS_E0_NS1_11comp_targetILNS1_3genE10ELNS1_11target_archE1201ELNS1_3gpuE5ELNS1_3repE0EEENS1_30default_config_static_selectorELNS0_4arch9wavefront6targetE1EEEvT1_
	.p2align	8
	.type	_ZN7rocprim17ROCPRIM_400000_NS6detail17trampoline_kernelINS0_14default_configENS1_20scan_config_selectorIsEEZZNS1_9scan_implILNS1_25lookback_scan_determinismE0ELb1ELb1ES3_N6thrust23THRUST_200600_302600_NS6detail15normal_iteratorINS9_10device_ptrIsEEEENS9_16discard_iteratorINS9_11use_defaultEEEs11max_functorIsEsEEDaPvRmT3_T4_T5_mT6_P12ihipStream_tbENKUlT_T0_E_clISt17integral_constantIbLb1EESW_IbLb0EEEEDaSS_ST_EUlSS_E0_NS1_11comp_targetILNS1_3genE10ELNS1_11target_archE1201ELNS1_3gpuE5ELNS1_3repE0EEENS1_30default_config_static_selectorELNS0_4arch9wavefront6targetE1EEEvT1_,@function
_ZN7rocprim17ROCPRIM_400000_NS6detail17trampoline_kernelINS0_14default_configENS1_20scan_config_selectorIsEEZZNS1_9scan_implILNS1_25lookback_scan_determinismE0ELb1ELb1ES3_N6thrust23THRUST_200600_302600_NS6detail15normal_iteratorINS9_10device_ptrIsEEEENS9_16discard_iteratorINS9_11use_defaultEEEs11max_functorIsEsEEDaPvRmT3_T4_T5_mT6_P12ihipStream_tbENKUlT_T0_E_clISt17integral_constantIbLb1EESW_IbLb0EEEEDaSS_ST_EUlSS_E0_NS1_11comp_targetILNS1_3genE10ELNS1_11target_archE1201ELNS1_3gpuE5ELNS1_3repE0EEENS1_30default_config_static_selectorELNS0_4arch9wavefront6targetE1EEEvT1_: ; @_ZN7rocprim17ROCPRIM_400000_NS6detail17trampoline_kernelINS0_14default_configENS1_20scan_config_selectorIsEEZZNS1_9scan_implILNS1_25lookback_scan_determinismE0ELb1ELb1ES3_N6thrust23THRUST_200600_302600_NS6detail15normal_iteratorINS9_10device_ptrIsEEEENS9_16discard_iteratorINS9_11use_defaultEEEs11max_functorIsEsEEDaPvRmT3_T4_T5_mT6_P12ihipStream_tbENKUlT_T0_E_clISt17integral_constantIbLb1EESW_IbLb0EEEEDaSS_ST_EUlSS_E0_NS1_11comp_targetILNS1_3genE10ELNS1_11target_archE1201ELNS1_3gpuE5ELNS1_3repE0EEENS1_30default_config_static_selectorELNS0_4arch9wavefront6targetE1EEEvT1_
; %bb.0:
	.section	.rodata,"a",@progbits
	.p2align	6, 0x0
	.amdhsa_kernel _ZN7rocprim17ROCPRIM_400000_NS6detail17trampoline_kernelINS0_14default_configENS1_20scan_config_selectorIsEEZZNS1_9scan_implILNS1_25lookback_scan_determinismE0ELb1ELb1ES3_N6thrust23THRUST_200600_302600_NS6detail15normal_iteratorINS9_10device_ptrIsEEEENS9_16discard_iteratorINS9_11use_defaultEEEs11max_functorIsEsEEDaPvRmT3_T4_T5_mT6_P12ihipStream_tbENKUlT_T0_E_clISt17integral_constantIbLb1EESW_IbLb0EEEEDaSS_ST_EUlSS_E0_NS1_11comp_targetILNS1_3genE10ELNS1_11target_archE1201ELNS1_3gpuE5ELNS1_3repE0EEENS1_30default_config_static_selectorELNS0_4arch9wavefront6targetE1EEEvT1_
		.amdhsa_group_segment_fixed_size 0
		.amdhsa_private_segment_fixed_size 0
		.amdhsa_kernarg_size 40
		.amdhsa_user_sgpr_count 6
		.amdhsa_user_sgpr_private_segment_buffer 1
		.amdhsa_user_sgpr_dispatch_ptr 0
		.amdhsa_user_sgpr_queue_ptr 0
		.amdhsa_user_sgpr_kernarg_segment_ptr 1
		.amdhsa_user_sgpr_dispatch_id 0
		.amdhsa_user_sgpr_flat_scratch_init 0
		.amdhsa_user_sgpr_kernarg_preload_length 0
		.amdhsa_user_sgpr_kernarg_preload_offset 0
		.amdhsa_user_sgpr_private_segment_size 0
		.amdhsa_uses_dynamic_stack 0
		.amdhsa_system_sgpr_private_segment_wavefront_offset 0
		.amdhsa_system_sgpr_workgroup_id_x 1
		.amdhsa_system_sgpr_workgroup_id_y 0
		.amdhsa_system_sgpr_workgroup_id_z 0
		.amdhsa_system_sgpr_workgroup_info 0
		.amdhsa_system_vgpr_workitem_id 0
		.amdhsa_next_free_vgpr 1
		.amdhsa_next_free_sgpr 0
		.amdhsa_accum_offset 4
		.amdhsa_reserve_vcc 0
		.amdhsa_reserve_flat_scratch 0
		.amdhsa_float_round_mode_32 0
		.amdhsa_float_round_mode_16_64 0
		.amdhsa_float_denorm_mode_32 3
		.amdhsa_float_denorm_mode_16_64 3
		.amdhsa_dx10_clamp 1
		.amdhsa_ieee_mode 1
		.amdhsa_fp16_overflow 0
		.amdhsa_tg_split 0
		.amdhsa_exception_fp_ieee_invalid_op 0
		.amdhsa_exception_fp_denorm_src 0
		.amdhsa_exception_fp_ieee_div_zero 0
		.amdhsa_exception_fp_ieee_overflow 0
		.amdhsa_exception_fp_ieee_underflow 0
		.amdhsa_exception_fp_ieee_inexact 0
		.amdhsa_exception_int_div_zero 0
	.end_amdhsa_kernel
	.section	.text._ZN7rocprim17ROCPRIM_400000_NS6detail17trampoline_kernelINS0_14default_configENS1_20scan_config_selectorIsEEZZNS1_9scan_implILNS1_25lookback_scan_determinismE0ELb1ELb1ES3_N6thrust23THRUST_200600_302600_NS6detail15normal_iteratorINS9_10device_ptrIsEEEENS9_16discard_iteratorINS9_11use_defaultEEEs11max_functorIsEsEEDaPvRmT3_T4_T5_mT6_P12ihipStream_tbENKUlT_T0_E_clISt17integral_constantIbLb1EESW_IbLb0EEEEDaSS_ST_EUlSS_E0_NS1_11comp_targetILNS1_3genE10ELNS1_11target_archE1201ELNS1_3gpuE5ELNS1_3repE0EEENS1_30default_config_static_selectorELNS0_4arch9wavefront6targetE1EEEvT1_,"axG",@progbits,_ZN7rocprim17ROCPRIM_400000_NS6detail17trampoline_kernelINS0_14default_configENS1_20scan_config_selectorIsEEZZNS1_9scan_implILNS1_25lookback_scan_determinismE0ELb1ELb1ES3_N6thrust23THRUST_200600_302600_NS6detail15normal_iteratorINS9_10device_ptrIsEEEENS9_16discard_iteratorINS9_11use_defaultEEEs11max_functorIsEsEEDaPvRmT3_T4_T5_mT6_P12ihipStream_tbENKUlT_T0_E_clISt17integral_constantIbLb1EESW_IbLb0EEEEDaSS_ST_EUlSS_E0_NS1_11comp_targetILNS1_3genE10ELNS1_11target_archE1201ELNS1_3gpuE5ELNS1_3repE0EEENS1_30default_config_static_selectorELNS0_4arch9wavefront6targetE1EEEvT1_,comdat
.Lfunc_end4120:
	.size	_ZN7rocprim17ROCPRIM_400000_NS6detail17trampoline_kernelINS0_14default_configENS1_20scan_config_selectorIsEEZZNS1_9scan_implILNS1_25lookback_scan_determinismE0ELb1ELb1ES3_N6thrust23THRUST_200600_302600_NS6detail15normal_iteratorINS9_10device_ptrIsEEEENS9_16discard_iteratorINS9_11use_defaultEEEs11max_functorIsEsEEDaPvRmT3_T4_T5_mT6_P12ihipStream_tbENKUlT_T0_E_clISt17integral_constantIbLb1EESW_IbLb0EEEEDaSS_ST_EUlSS_E0_NS1_11comp_targetILNS1_3genE10ELNS1_11target_archE1201ELNS1_3gpuE5ELNS1_3repE0EEENS1_30default_config_static_selectorELNS0_4arch9wavefront6targetE1EEEvT1_, .Lfunc_end4120-_ZN7rocprim17ROCPRIM_400000_NS6detail17trampoline_kernelINS0_14default_configENS1_20scan_config_selectorIsEEZZNS1_9scan_implILNS1_25lookback_scan_determinismE0ELb1ELb1ES3_N6thrust23THRUST_200600_302600_NS6detail15normal_iteratorINS9_10device_ptrIsEEEENS9_16discard_iteratorINS9_11use_defaultEEEs11max_functorIsEsEEDaPvRmT3_T4_T5_mT6_P12ihipStream_tbENKUlT_T0_E_clISt17integral_constantIbLb1EESW_IbLb0EEEEDaSS_ST_EUlSS_E0_NS1_11comp_targetILNS1_3genE10ELNS1_11target_archE1201ELNS1_3gpuE5ELNS1_3repE0EEENS1_30default_config_static_selectorELNS0_4arch9wavefront6targetE1EEEvT1_
                                        ; -- End function
	.section	.AMDGPU.csdata,"",@progbits
; Kernel info:
; codeLenInByte = 0
; NumSgprs: 4
; NumVgprs: 0
; NumAgprs: 0
; TotalNumVgprs: 0
; ScratchSize: 0
; MemoryBound: 0
; FloatMode: 240
; IeeeMode: 1
; LDSByteSize: 0 bytes/workgroup (compile time only)
; SGPRBlocks: 0
; VGPRBlocks: 0
; NumSGPRsForWavesPerEU: 4
; NumVGPRsForWavesPerEU: 1
; AccumOffset: 4
; Occupancy: 8
; WaveLimiterHint : 0
; COMPUTE_PGM_RSRC2:SCRATCH_EN: 0
; COMPUTE_PGM_RSRC2:USER_SGPR: 6
; COMPUTE_PGM_RSRC2:TRAP_HANDLER: 0
; COMPUTE_PGM_RSRC2:TGID_X_EN: 1
; COMPUTE_PGM_RSRC2:TGID_Y_EN: 0
; COMPUTE_PGM_RSRC2:TGID_Z_EN: 0
; COMPUTE_PGM_RSRC2:TIDIG_COMP_CNT: 0
; COMPUTE_PGM_RSRC3_GFX90A:ACCUM_OFFSET: 0
; COMPUTE_PGM_RSRC3_GFX90A:TG_SPLIT: 0
	.section	.text._ZN7rocprim17ROCPRIM_400000_NS6detail17trampoline_kernelINS0_14default_configENS1_20scan_config_selectorIsEEZZNS1_9scan_implILNS1_25lookback_scan_determinismE0ELb1ELb1ES3_N6thrust23THRUST_200600_302600_NS6detail15normal_iteratorINS9_10device_ptrIsEEEENS9_16discard_iteratorINS9_11use_defaultEEEs11max_functorIsEsEEDaPvRmT3_T4_T5_mT6_P12ihipStream_tbENKUlT_T0_E_clISt17integral_constantIbLb1EESW_IbLb0EEEEDaSS_ST_EUlSS_E0_NS1_11comp_targetILNS1_3genE10ELNS1_11target_archE1200ELNS1_3gpuE4ELNS1_3repE0EEENS1_30default_config_static_selectorELNS0_4arch9wavefront6targetE1EEEvT1_,"axG",@progbits,_ZN7rocprim17ROCPRIM_400000_NS6detail17trampoline_kernelINS0_14default_configENS1_20scan_config_selectorIsEEZZNS1_9scan_implILNS1_25lookback_scan_determinismE0ELb1ELb1ES3_N6thrust23THRUST_200600_302600_NS6detail15normal_iteratorINS9_10device_ptrIsEEEENS9_16discard_iteratorINS9_11use_defaultEEEs11max_functorIsEsEEDaPvRmT3_T4_T5_mT6_P12ihipStream_tbENKUlT_T0_E_clISt17integral_constantIbLb1EESW_IbLb0EEEEDaSS_ST_EUlSS_E0_NS1_11comp_targetILNS1_3genE10ELNS1_11target_archE1200ELNS1_3gpuE4ELNS1_3repE0EEENS1_30default_config_static_selectorELNS0_4arch9wavefront6targetE1EEEvT1_,comdat
	.protected	_ZN7rocprim17ROCPRIM_400000_NS6detail17trampoline_kernelINS0_14default_configENS1_20scan_config_selectorIsEEZZNS1_9scan_implILNS1_25lookback_scan_determinismE0ELb1ELb1ES3_N6thrust23THRUST_200600_302600_NS6detail15normal_iteratorINS9_10device_ptrIsEEEENS9_16discard_iteratorINS9_11use_defaultEEEs11max_functorIsEsEEDaPvRmT3_T4_T5_mT6_P12ihipStream_tbENKUlT_T0_E_clISt17integral_constantIbLb1EESW_IbLb0EEEEDaSS_ST_EUlSS_E0_NS1_11comp_targetILNS1_3genE10ELNS1_11target_archE1200ELNS1_3gpuE4ELNS1_3repE0EEENS1_30default_config_static_selectorELNS0_4arch9wavefront6targetE1EEEvT1_ ; -- Begin function _ZN7rocprim17ROCPRIM_400000_NS6detail17trampoline_kernelINS0_14default_configENS1_20scan_config_selectorIsEEZZNS1_9scan_implILNS1_25lookback_scan_determinismE0ELb1ELb1ES3_N6thrust23THRUST_200600_302600_NS6detail15normal_iteratorINS9_10device_ptrIsEEEENS9_16discard_iteratorINS9_11use_defaultEEEs11max_functorIsEsEEDaPvRmT3_T4_T5_mT6_P12ihipStream_tbENKUlT_T0_E_clISt17integral_constantIbLb1EESW_IbLb0EEEEDaSS_ST_EUlSS_E0_NS1_11comp_targetILNS1_3genE10ELNS1_11target_archE1200ELNS1_3gpuE4ELNS1_3repE0EEENS1_30default_config_static_selectorELNS0_4arch9wavefront6targetE1EEEvT1_
	.globl	_ZN7rocprim17ROCPRIM_400000_NS6detail17trampoline_kernelINS0_14default_configENS1_20scan_config_selectorIsEEZZNS1_9scan_implILNS1_25lookback_scan_determinismE0ELb1ELb1ES3_N6thrust23THRUST_200600_302600_NS6detail15normal_iteratorINS9_10device_ptrIsEEEENS9_16discard_iteratorINS9_11use_defaultEEEs11max_functorIsEsEEDaPvRmT3_T4_T5_mT6_P12ihipStream_tbENKUlT_T0_E_clISt17integral_constantIbLb1EESW_IbLb0EEEEDaSS_ST_EUlSS_E0_NS1_11comp_targetILNS1_3genE10ELNS1_11target_archE1200ELNS1_3gpuE4ELNS1_3repE0EEENS1_30default_config_static_selectorELNS0_4arch9wavefront6targetE1EEEvT1_
	.p2align	8
	.type	_ZN7rocprim17ROCPRIM_400000_NS6detail17trampoline_kernelINS0_14default_configENS1_20scan_config_selectorIsEEZZNS1_9scan_implILNS1_25lookback_scan_determinismE0ELb1ELb1ES3_N6thrust23THRUST_200600_302600_NS6detail15normal_iteratorINS9_10device_ptrIsEEEENS9_16discard_iteratorINS9_11use_defaultEEEs11max_functorIsEsEEDaPvRmT3_T4_T5_mT6_P12ihipStream_tbENKUlT_T0_E_clISt17integral_constantIbLb1EESW_IbLb0EEEEDaSS_ST_EUlSS_E0_NS1_11comp_targetILNS1_3genE10ELNS1_11target_archE1200ELNS1_3gpuE4ELNS1_3repE0EEENS1_30default_config_static_selectorELNS0_4arch9wavefront6targetE1EEEvT1_,@function
_ZN7rocprim17ROCPRIM_400000_NS6detail17trampoline_kernelINS0_14default_configENS1_20scan_config_selectorIsEEZZNS1_9scan_implILNS1_25lookback_scan_determinismE0ELb1ELb1ES3_N6thrust23THRUST_200600_302600_NS6detail15normal_iteratorINS9_10device_ptrIsEEEENS9_16discard_iteratorINS9_11use_defaultEEEs11max_functorIsEsEEDaPvRmT3_T4_T5_mT6_P12ihipStream_tbENKUlT_T0_E_clISt17integral_constantIbLb1EESW_IbLb0EEEEDaSS_ST_EUlSS_E0_NS1_11comp_targetILNS1_3genE10ELNS1_11target_archE1200ELNS1_3gpuE4ELNS1_3repE0EEENS1_30default_config_static_selectorELNS0_4arch9wavefront6targetE1EEEvT1_: ; @_ZN7rocprim17ROCPRIM_400000_NS6detail17trampoline_kernelINS0_14default_configENS1_20scan_config_selectorIsEEZZNS1_9scan_implILNS1_25lookback_scan_determinismE0ELb1ELb1ES3_N6thrust23THRUST_200600_302600_NS6detail15normal_iteratorINS9_10device_ptrIsEEEENS9_16discard_iteratorINS9_11use_defaultEEEs11max_functorIsEsEEDaPvRmT3_T4_T5_mT6_P12ihipStream_tbENKUlT_T0_E_clISt17integral_constantIbLb1EESW_IbLb0EEEEDaSS_ST_EUlSS_E0_NS1_11comp_targetILNS1_3genE10ELNS1_11target_archE1200ELNS1_3gpuE4ELNS1_3repE0EEENS1_30default_config_static_selectorELNS0_4arch9wavefront6targetE1EEEvT1_
; %bb.0:
	.section	.rodata,"a",@progbits
	.p2align	6, 0x0
	.amdhsa_kernel _ZN7rocprim17ROCPRIM_400000_NS6detail17trampoline_kernelINS0_14default_configENS1_20scan_config_selectorIsEEZZNS1_9scan_implILNS1_25lookback_scan_determinismE0ELb1ELb1ES3_N6thrust23THRUST_200600_302600_NS6detail15normal_iteratorINS9_10device_ptrIsEEEENS9_16discard_iteratorINS9_11use_defaultEEEs11max_functorIsEsEEDaPvRmT3_T4_T5_mT6_P12ihipStream_tbENKUlT_T0_E_clISt17integral_constantIbLb1EESW_IbLb0EEEEDaSS_ST_EUlSS_E0_NS1_11comp_targetILNS1_3genE10ELNS1_11target_archE1200ELNS1_3gpuE4ELNS1_3repE0EEENS1_30default_config_static_selectorELNS0_4arch9wavefront6targetE1EEEvT1_
		.amdhsa_group_segment_fixed_size 0
		.amdhsa_private_segment_fixed_size 0
		.amdhsa_kernarg_size 40
		.amdhsa_user_sgpr_count 6
		.amdhsa_user_sgpr_private_segment_buffer 1
		.amdhsa_user_sgpr_dispatch_ptr 0
		.amdhsa_user_sgpr_queue_ptr 0
		.amdhsa_user_sgpr_kernarg_segment_ptr 1
		.amdhsa_user_sgpr_dispatch_id 0
		.amdhsa_user_sgpr_flat_scratch_init 0
		.amdhsa_user_sgpr_kernarg_preload_length 0
		.amdhsa_user_sgpr_kernarg_preload_offset 0
		.amdhsa_user_sgpr_private_segment_size 0
		.amdhsa_uses_dynamic_stack 0
		.amdhsa_system_sgpr_private_segment_wavefront_offset 0
		.amdhsa_system_sgpr_workgroup_id_x 1
		.amdhsa_system_sgpr_workgroup_id_y 0
		.amdhsa_system_sgpr_workgroup_id_z 0
		.amdhsa_system_sgpr_workgroup_info 0
		.amdhsa_system_vgpr_workitem_id 0
		.amdhsa_next_free_vgpr 1
		.amdhsa_next_free_sgpr 0
		.amdhsa_accum_offset 4
		.amdhsa_reserve_vcc 0
		.amdhsa_reserve_flat_scratch 0
		.amdhsa_float_round_mode_32 0
		.amdhsa_float_round_mode_16_64 0
		.amdhsa_float_denorm_mode_32 3
		.amdhsa_float_denorm_mode_16_64 3
		.amdhsa_dx10_clamp 1
		.amdhsa_ieee_mode 1
		.amdhsa_fp16_overflow 0
		.amdhsa_tg_split 0
		.amdhsa_exception_fp_ieee_invalid_op 0
		.amdhsa_exception_fp_denorm_src 0
		.amdhsa_exception_fp_ieee_div_zero 0
		.amdhsa_exception_fp_ieee_overflow 0
		.amdhsa_exception_fp_ieee_underflow 0
		.amdhsa_exception_fp_ieee_inexact 0
		.amdhsa_exception_int_div_zero 0
	.end_amdhsa_kernel
	.section	.text._ZN7rocprim17ROCPRIM_400000_NS6detail17trampoline_kernelINS0_14default_configENS1_20scan_config_selectorIsEEZZNS1_9scan_implILNS1_25lookback_scan_determinismE0ELb1ELb1ES3_N6thrust23THRUST_200600_302600_NS6detail15normal_iteratorINS9_10device_ptrIsEEEENS9_16discard_iteratorINS9_11use_defaultEEEs11max_functorIsEsEEDaPvRmT3_T4_T5_mT6_P12ihipStream_tbENKUlT_T0_E_clISt17integral_constantIbLb1EESW_IbLb0EEEEDaSS_ST_EUlSS_E0_NS1_11comp_targetILNS1_3genE10ELNS1_11target_archE1200ELNS1_3gpuE4ELNS1_3repE0EEENS1_30default_config_static_selectorELNS0_4arch9wavefront6targetE1EEEvT1_,"axG",@progbits,_ZN7rocprim17ROCPRIM_400000_NS6detail17trampoline_kernelINS0_14default_configENS1_20scan_config_selectorIsEEZZNS1_9scan_implILNS1_25lookback_scan_determinismE0ELb1ELb1ES3_N6thrust23THRUST_200600_302600_NS6detail15normal_iteratorINS9_10device_ptrIsEEEENS9_16discard_iteratorINS9_11use_defaultEEEs11max_functorIsEsEEDaPvRmT3_T4_T5_mT6_P12ihipStream_tbENKUlT_T0_E_clISt17integral_constantIbLb1EESW_IbLb0EEEEDaSS_ST_EUlSS_E0_NS1_11comp_targetILNS1_3genE10ELNS1_11target_archE1200ELNS1_3gpuE4ELNS1_3repE0EEENS1_30default_config_static_selectorELNS0_4arch9wavefront6targetE1EEEvT1_,comdat
.Lfunc_end4121:
	.size	_ZN7rocprim17ROCPRIM_400000_NS6detail17trampoline_kernelINS0_14default_configENS1_20scan_config_selectorIsEEZZNS1_9scan_implILNS1_25lookback_scan_determinismE0ELb1ELb1ES3_N6thrust23THRUST_200600_302600_NS6detail15normal_iteratorINS9_10device_ptrIsEEEENS9_16discard_iteratorINS9_11use_defaultEEEs11max_functorIsEsEEDaPvRmT3_T4_T5_mT6_P12ihipStream_tbENKUlT_T0_E_clISt17integral_constantIbLb1EESW_IbLb0EEEEDaSS_ST_EUlSS_E0_NS1_11comp_targetILNS1_3genE10ELNS1_11target_archE1200ELNS1_3gpuE4ELNS1_3repE0EEENS1_30default_config_static_selectorELNS0_4arch9wavefront6targetE1EEEvT1_, .Lfunc_end4121-_ZN7rocprim17ROCPRIM_400000_NS6detail17trampoline_kernelINS0_14default_configENS1_20scan_config_selectorIsEEZZNS1_9scan_implILNS1_25lookback_scan_determinismE0ELb1ELb1ES3_N6thrust23THRUST_200600_302600_NS6detail15normal_iteratorINS9_10device_ptrIsEEEENS9_16discard_iteratorINS9_11use_defaultEEEs11max_functorIsEsEEDaPvRmT3_T4_T5_mT6_P12ihipStream_tbENKUlT_T0_E_clISt17integral_constantIbLb1EESW_IbLb0EEEEDaSS_ST_EUlSS_E0_NS1_11comp_targetILNS1_3genE10ELNS1_11target_archE1200ELNS1_3gpuE4ELNS1_3repE0EEENS1_30default_config_static_selectorELNS0_4arch9wavefront6targetE1EEEvT1_
                                        ; -- End function
	.section	.AMDGPU.csdata,"",@progbits
; Kernel info:
; codeLenInByte = 0
; NumSgprs: 4
; NumVgprs: 0
; NumAgprs: 0
; TotalNumVgprs: 0
; ScratchSize: 0
; MemoryBound: 0
; FloatMode: 240
; IeeeMode: 1
; LDSByteSize: 0 bytes/workgroup (compile time only)
; SGPRBlocks: 0
; VGPRBlocks: 0
; NumSGPRsForWavesPerEU: 4
; NumVGPRsForWavesPerEU: 1
; AccumOffset: 4
; Occupancy: 8
; WaveLimiterHint : 0
; COMPUTE_PGM_RSRC2:SCRATCH_EN: 0
; COMPUTE_PGM_RSRC2:USER_SGPR: 6
; COMPUTE_PGM_RSRC2:TRAP_HANDLER: 0
; COMPUTE_PGM_RSRC2:TGID_X_EN: 1
; COMPUTE_PGM_RSRC2:TGID_Y_EN: 0
; COMPUTE_PGM_RSRC2:TGID_Z_EN: 0
; COMPUTE_PGM_RSRC2:TIDIG_COMP_CNT: 0
; COMPUTE_PGM_RSRC3_GFX90A:ACCUM_OFFSET: 0
; COMPUTE_PGM_RSRC3_GFX90A:TG_SPLIT: 0
	.section	.text._ZN7rocprim17ROCPRIM_400000_NS6detail17trampoline_kernelINS0_14default_configENS1_20scan_config_selectorIsEEZZNS1_9scan_implILNS1_25lookback_scan_determinismE0ELb1ELb1ES3_N6thrust23THRUST_200600_302600_NS6detail15normal_iteratorINS9_10device_ptrIsEEEENS9_16discard_iteratorINS9_11use_defaultEEEs11max_functorIsEsEEDaPvRmT3_T4_T5_mT6_P12ihipStream_tbENKUlT_T0_E_clISt17integral_constantIbLb1EESW_IbLb0EEEEDaSS_ST_EUlSS_E0_NS1_11comp_targetILNS1_3genE9ELNS1_11target_archE1100ELNS1_3gpuE3ELNS1_3repE0EEENS1_30default_config_static_selectorELNS0_4arch9wavefront6targetE1EEEvT1_,"axG",@progbits,_ZN7rocprim17ROCPRIM_400000_NS6detail17trampoline_kernelINS0_14default_configENS1_20scan_config_selectorIsEEZZNS1_9scan_implILNS1_25lookback_scan_determinismE0ELb1ELb1ES3_N6thrust23THRUST_200600_302600_NS6detail15normal_iteratorINS9_10device_ptrIsEEEENS9_16discard_iteratorINS9_11use_defaultEEEs11max_functorIsEsEEDaPvRmT3_T4_T5_mT6_P12ihipStream_tbENKUlT_T0_E_clISt17integral_constantIbLb1EESW_IbLb0EEEEDaSS_ST_EUlSS_E0_NS1_11comp_targetILNS1_3genE9ELNS1_11target_archE1100ELNS1_3gpuE3ELNS1_3repE0EEENS1_30default_config_static_selectorELNS0_4arch9wavefront6targetE1EEEvT1_,comdat
	.protected	_ZN7rocprim17ROCPRIM_400000_NS6detail17trampoline_kernelINS0_14default_configENS1_20scan_config_selectorIsEEZZNS1_9scan_implILNS1_25lookback_scan_determinismE0ELb1ELb1ES3_N6thrust23THRUST_200600_302600_NS6detail15normal_iteratorINS9_10device_ptrIsEEEENS9_16discard_iteratorINS9_11use_defaultEEEs11max_functorIsEsEEDaPvRmT3_T4_T5_mT6_P12ihipStream_tbENKUlT_T0_E_clISt17integral_constantIbLb1EESW_IbLb0EEEEDaSS_ST_EUlSS_E0_NS1_11comp_targetILNS1_3genE9ELNS1_11target_archE1100ELNS1_3gpuE3ELNS1_3repE0EEENS1_30default_config_static_selectorELNS0_4arch9wavefront6targetE1EEEvT1_ ; -- Begin function _ZN7rocprim17ROCPRIM_400000_NS6detail17trampoline_kernelINS0_14default_configENS1_20scan_config_selectorIsEEZZNS1_9scan_implILNS1_25lookback_scan_determinismE0ELb1ELb1ES3_N6thrust23THRUST_200600_302600_NS6detail15normal_iteratorINS9_10device_ptrIsEEEENS9_16discard_iteratorINS9_11use_defaultEEEs11max_functorIsEsEEDaPvRmT3_T4_T5_mT6_P12ihipStream_tbENKUlT_T0_E_clISt17integral_constantIbLb1EESW_IbLb0EEEEDaSS_ST_EUlSS_E0_NS1_11comp_targetILNS1_3genE9ELNS1_11target_archE1100ELNS1_3gpuE3ELNS1_3repE0EEENS1_30default_config_static_selectorELNS0_4arch9wavefront6targetE1EEEvT1_
	.globl	_ZN7rocprim17ROCPRIM_400000_NS6detail17trampoline_kernelINS0_14default_configENS1_20scan_config_selectorIsEEZZNS1_9scan_implILNS1_25lookback_scan_determinismE0ELb1ELb1ES3_N6thrust23THRUST_200600_302600_NS6detail15normal_iteratorINS9_10device_ptrIsEEEENS9_16discard_iteratorINS9_11use_defaultEEEs11max_functorIsEsEEDaPvRmT3_T4_T5_mT6_P12ihipStream_tbENKUlT_T0_E_clISt17integral_constantIbLb1EESW_IbLb0EEEEDaSS_ST_EUlSS_E0_NS1_11comp_targetILNS1_3genE9ELNS1_11target_archE1100ELNS1_3gpuE3ELNS1_3repE0EEENS1_30default_config_static_selectorELNS0_4arch9wavefront6targetE1EEEvT1_
	.p2align	8
	.type	_ZN7rocprim17ROCPRIM_400000_NS6detail17trampoline_kernelINS0_14default_configENS1_20scan_config_selectorIsEEZZNS1_9scan_implILNS1_25lookback_scan_determinismE0ELb1ELb1ES3_N6thrust23THRUST_200600_302600_NS6detail15normal_iteratorINS9_10device_ptrIsEEEENS9_16discard_iteratorINS9_11use_defaultEEEs11max_functorIsEsEEDaPvRmT3_T4_T5_mT6_P12ihipStream_tbENKUlT_T0_E_clISt17integral_constantIbLb1EESW_IbLb0EEEEDaSS_ST_EUlSS_E0_NS1_11comp_targetILNS1_3genE9ELNS1_11target_archE1100ELNS1_3gpuE3ELNS1_3repE0EEENS1_30default_config_static_selectorELNS0_4arch9wavefront6targetE1EEEvT1_,@function
_ZN7rocprim17ROCPRIM_400000_NS6detail17trampoline_kernelINS0_14default_configENS1_20scan_config_selectorIsEEZZNS1_9scan_implILNS1_25lookback_scan_determinismE0ELb1ELb1ES3_N6thrust23THRUST_200600_302600_NS6detail15normal_iteratorINS9_10device_ptrIsEEEENS9_16discard_iteratorINS9_11use_defaultEEEs11max_functorIsEsEEDaPvRmT3_T4_T5_mT6_P12ihipStream_tbENKUlT_T0_E_clISt17integral_constantIbLb1EESW_IbLb0EEEEDaSS_ST_EUlSS_E0_NS1_11comp_targetILNS1_3genE9ELNS1_11target_archE1100ELNS1_3gpuE3ELNS1_3repE0EEENS1_30default_config_static_selectorELNS0_4arch9wavefront6targetE1EEEvT1_: ; @_ZN7rocprim17ROCPRIM_400000_NS6detail17trampoline_kernelINS0_14default_configENS1_20scan_config_selectorIsEEZZNS1_9scan_implILNS1_25lookback_scan_determinismE0ELb1ELb1ES3_N6thrust23THRUST_200600_302600_NS6detail15normal_iteratorINS9_10device_ptrIsEEEENS9_16discard_iteratorINS9_11use_defaultEEEs11max_functorIsEsEEDaPvRmT3_T4_T5_mT6_P12ihipStream_tbENKUlT_T0_E_clISt17integral_constantIbLb1EESW_IbLb0EEEEDaSS_ST_EUlSS_E0_NS1_11comp_targetILNS1_3genE9ELNS1_11target_archE1100ELNS1_3gpuE3ELNS1_3repE0EEENS1_30default_config_static_selectorELNS0_4arch9wavefront6targetE1EEEvT1_
; %bb.0:
	.section	.rodata,"a",@progbits
	.p2align	6, 0x0
	.amdhsa_kernel _ZN7rocprim17ROCPRIM_400000_NS6detail17trampoline_kernelINS0_14default_configENS1_20scan_config_selectorIsEEZZNS1_9scan_implILNS1_25lookback_scan_determinismE0ELb1ELb1ES3_N6thrust23THRUST_200600_302600_NS6detail15normal_iteratorINS9_10device_ptrIsEEEENS9_16discard_iteratorINS9_11use_defaultEEEs11max_functorIsEsEEDaPvRmT3_T4_T5_mT6_P12ihipStream_tbENKUlT_T0_E_clISt17integral_constantIbLb1EESW_IbLb0EEEEDaSS_ST_EUlSS_E0_NS1_11comp_targetILNS1_3genE9ELNS1_11target_archE1100ELNS1_3gpuE3ELNS1_3repE0EEENS1_30default_config_static_selectorELNS0_4arch9wavefront6targetE1EEEvT1_
		.amdhsa_group_segment_fixed_size 0
		.amdhsa_private_segment_fixed_size 0
		.amdhsa_kernarg_size 40
		.amdhsa_user_sgpr_count 6
		.amdhsa_user_sgpr_private_segment_buffer 1
		.amdhsa_user_sgpr_dispatch_ptr 0
		.amdhsa_user_sgpr_queue_ptr 0
		.amdhsa_user_sgpr_kernarg_segment_ptr 1
		.amdhsa_user_sgpr_dispatch_id 0
		.amdhsa_user_sgpr_flat_scratch_init 0
		.amdhsa_user_sgpr_kernarg_preload_length 0
		.amdhsa_user_sgpr_kernarg_preload_offset 0
		.amdhsa_user_sgpr_private_segment_size 0
		.amdhsa_uses_dynamic_stack 0
		.amdhsa_system_sgpr_private_segment_wavefront_offset 0
		.amdhsa_system_sgpr_workgroup_id_x 1
		.amdhsa_system_sgpr_workgroup_id_y 0
		.amdhsa_system_sgpr_workgroup_id_z 0
		.amdhsa_system_sgpr_workgroup_info 0
		.amdhsa_system_vgpr_workitem_id 0
		.amdhsa_next_free_vgpr 1
		.amdhsa_next_free_sgpr 0
		.amdhsa_accum_offset 4
		.amdhsa_reserve_vcc 0
		.amdhsa_reserve_flat_scratch 0
		.amdhsa_float_round_mode_32 0
		.amdhsa_float_round_mode_16_64 0
		.amdhsa_float_denorm_mode_32 3
		.amdhsa_float_denorm_mode_16_64 3
		.amdhsa_dx10_clamp 1
		.amdhsa_ieee_mode 1
		.amdhsa_fp16_overflow 0
		.amdhsa_tg_split 0
		.amdhsa_exception_fp_ieee_invalid_op 0
		.amdhsa_exception_fp_denorm_src 0
		.amdhsa_exception_fp_ieee_div_zero 0
		.amdhsa_exception_fp_ieee_overflow 0
		.amdhsa_exception_fp_ieee_underflow 0
		.amdhsa_exception_fp_ieee_inexact 0
		.amdhsa_exception_int_div_zero 0
	.end_amdhsa_kernel
	.section	.text._ZN7rocprim17ROCPRIM_400000_NS6detail17trampoline_kernelINS0_14default_configENS1_20scan_config_selectorIsEEZZNS1_9scan_implILNS1_25lookback_scan_determinismE0ELb1ELb1ES3_N6thrust23THRUST_200600_302600_NS6detail15normal_iteratorINS9_10device_ptrIsEEEENS9_16discard_iteratorINS9_11use_defaultEEEs11max_functorIsEsEEDaPvRmT3_T4_T5_mT6_P12ihipStream_tbENKUlT_T0_E_clISt17integral_constantIbLb1EESW_IbLb0EEEEDaSS_ST_EUlSS_E0_NS1_11comp_targetILNS1_3genE9ELNS1_11target_archE1100ELNS1_3gpuE3ELNS1_3repE0EEENS1_30default_config_static_selectorELNS0_4arch9wavefront6targetE1EEEvT1_,"axG",@progbits,_ZN7rocprim17ROCPRIM_400000_NS6detail17trampoline_kernelINS0_14default_configENS1_20scan_config_selectorIsEEZZNS1_9scan_implILNS1_25lookback_scan_determinismE0ELb1ELb1ES3_N6thrust23THRUST_200600_302600_NS6detail15normal_iteratorINS9_10device_ptrIsEEEENS9_16discard_iteratorINS9_11use_defaultEEEs11max_functorIsEsEEDaPvRmT3_T4_T5_mT6_P12ihipStream_tbENKUlT_T0_E_clISt17integral_constantIbLb1EESW_IbLb0EEEEDaSS_ST_EUlSS_E0_NS1_11comp_targetILNS1_3genE9ELNS1_11target_archE1100ELNS1_3gpuE3ELNS1_3repE0EEENS1_30default_config_static_selectorELNS0_4arch9wavefront6targetE1EEEvT1_,comdat
.Lfunc_end4122:
	.size	_ZN7rocprim17ROCPRIM_400000_NS6detail17trampoline_kernelINS0_14default_configENS1_20scan_config_selectorIsEEZZNS1_9scan_implILNS1_25lookback_scan_determinismE0ELb1ELb1ES3_N6thrust23THRUST_200600_302600_NS6detail15normal_iteratorINS9_10device_ptrIsEEEENS9_16discard_iteratorINS9_11use_defaultEEEs11max_functorIsEsEEDaPvRmT3_T4_T5_mT6_P12ihipStream_tbENKUlT_T0_E_clISt17integral_constantIbLb1EESW_IbLb0EEEEDaSS_ST_EUlSS_E0_NS1_11comp_targetILNS1_3genE9ELNS1_11target_archE1100ELNS1_3gpuE3ELNS1_3repE0EEENS1_30default_config_static_selectorELNS0_4arch9wavefront6targetE1EEEvT1_, .Lfunc_end4122-_ZN7rocprim17ROCPRIM_400000_NS6detail17trampoline_kernelINS0_14default_configENS1_20scan_config_selectorIsEEZZNS1_9scan_implILNS1_25lookback_scan_determinismE0ELb1ELb1ES3_N6thrust23THRUST_200600_302600_NS6detail15normal_iteratorINS9_10device_ptrIsEEEENS9_16discard_iteratorINS9_11use_defaultEEEs11max_functorIsEsEEDaPvRmT3_T4_T5_mT6_P12ihipStream_tbENKUlT_T0_E_clISt17integral_constantIbLb1EESW_IbLb0EEEEDaSS_ST_EUlSS_E0_NS1_11comp_targetILNS1_3genE9ELNS1_11target_archE1100ELNS1_3gpuE3ELNS1_3repE0EEENS1_30default_config_static_selectorELNS0_4arch9wavefront6targetE1EEEvT1_
                                        ; -- End function
	.section	.AMDGPU.csdata,"",@progbits
; Kernel info:
; codeLenInByte = 0
; NumSgprs: 4
; NumVgprs: 0
; NumAgprs: 0
; TotalNumVgprs: 0
; ScratchSize: 0
; MemoryBound: 0
; FloatMode: 240
; IeeeMode: 1
; LDSByteSize: 0 bytes/workgroup (compile time only)
; SGPRBlocks: 0
; VGPRBlocks: 0
; NumSGPRsForWavesPerEU: 4
; NumVGPRsForWavesPerEU: 1
; AccumOffset: 4
; Occupancy: 8
; WaveLimiterHint : 0
; COMPUTE_PGM_RSRC2:SCRATCH_EN: 0
; COMPUTE_PGM_RSRC2:USER_SGPR: 6
; COMPUTE_PGM_RSRC2:TRAP_HANDLER: 0
; COMPUTE_PGM_RSRC2:TGID_X_EN: 1
; COMPUTE_PGM_RSRC2:TGID_Y_EN: 0
; COMPUTE_PGM_RSRC2:TGID_Z_EN: 0
; COMPUTE_PGM_RSRC2:TIDIG_COMP_CNT: 0
; COMPUTE_PGM_RSRC3_GFX90A:ACCUM_OFFSET: 0
; COMPUTE_PGM_RSRC3_GFX90A:TG_SPLIT: 0
	.section	.text._ZN7rocprim17ROCPRIM_400000_NS6detail17trampoline_kernelINS0_14default_configENS1_20scan_config_selectorIsEEZZNS1_9scan_implILNS1_25lookback_scan_determinismE0ELb1ELb1ES3_N6thrust23THRUST_200600_302600_NS6detail15normal_iteratorINS9_10device_ptrIsEEEENS9_16discard_iteratorINS9_11use_defaultEEEs11max_functorIsEsEEDaPvRmT3_T4_T5_mT6_P12ihipStream_tbENKUlT_T0_E_clISt17integral_constantIbLb1EESW_IbLb0EEEEDaSS_ST_EUlSS_E0_NS1_11comp_targetILNS1_3genE8ELNS1_11target_archE1030ELNS1_3gpuE2ELNS1_3repE0EEENS1_30default_config_static_selectorELNS0_4arch9wavefront6targetE1EEEvT1_,"axG",@progbits,_ZN7rocprim17ROCPRIM_400000_NS6detail17trampoline_kernelINS0_14default_configENS1_20scan_config_selectorIsEEZZNS1_9scan_implILNS1_25lookback_scan_determinismE0ELb1ELb1ES3_N6thrust23THRUST_200600_302600_NS6detail15normal_iteratorINS9_10device_ptrIsEEEENS9_16discard_iteratorINS9_11use_defaultEEEs11max_functorIsEsEEDaPvRmT3_T4_T5_mT6_P12ihipStream_tbENKUlT_T0_E_clISt17integral_constantIbLb1EESW_IbLb0EEEEDaSS_ST_EUlSS_E0_NS1_11comp_targetILNS1_3genE8ELNS1_11target_archE1030ELNS1_3gpuE2ELNS1_3repE0EEENS1_30default_config_static_selectorELNS0_4arch9wavefront6targetE1EEEvT1_,comdat
	.protected	_ZN7rocprim17ROCPRIM_400000_NS6detail17trampoline_kernelINS0_14default_configENS1_20scan_config_selectorIsEEZZNS1_9scan_implILNS1_25lookback_scan_determinismE0ELb1ELb1ES3_N6thrust23THRUST_200600_302600_NS6detail15normal_iteratorINS9_10device_ptrIsEEEENS9_16discard_iteratorINS9_11use_defaultEEEs11max_functorIsEsEEDaPvRmT3_T4_T5_mT6_P12ihipStream_tbENKUlT_T0_E_clISt17integral_constantIbLb1EESW_IbLb0EEEEDaSS_ST_EUlSS_E0_NS1_11comp_targetILNS1_3genE8ELNS1_11target_archE1030ELNS1_3gpuE2ELNS1_3repE0EEENS1_30default_config_static_selectorELNS0_4arch9wavefront6targetE1EEEvT1_ ; -- Begin function _ZN7rocprim17ROCPRIM_400000_NS6detail17trampoline_kernelINS0_14default_configENS1_20scan_config_selectorIsEEZZNS1_9scan_implILNS1_25lookback_scan_determinismE0ELb1ELb1ES3_N6thrust23THRUST_200600_302600_NS6detail15normal_iteratorINS9_10device_ptrIsEEEENS9_16discard_iteratorINS9_11use_defaultEEEs11max_functorIsEsEEDaPvRmT3_T4_T5_mT6_P12ihipStream_tbENKUlT_T0_E_clISt17integral_constantIbLb1EESW_IbLb0EEEEDaSS_ST_EUlSS_E0_NS1_11comp_targetILNS1_3genE8ELNS1_11target_archE1030ELNS1_3gpuE2ELNS1_3repE0EEENS1_30default_config_static_selectorELNS0_4arch9wavefront6targetE1EEEvT1_
	.globl	_ZN7rocprim17ROCPRIM_400000_NS6detail17trampoline_kernelINS0_14default_configENS1_20scan_config_selectorIsEEZZNS1_9scan_implILNS1_25lookback_scan_determinismE0ELb1ELb1ES3_N6thrust23THRUST_200600_302600_NS6detail15normal_iteratorINS9_10device_ptrIsEEEENS9_16discard_iteratorINS9_11use_defaultEEEs11max_functorIsEsEEDaPvRmT3_T4_T5_mT6_P12ihipStream_tbENKUlT_T0_E_clISt17integral_constantIbLb1EESW_IbLb0EEEEDaSS_ST_EUlSS_E0_NS1_11comp_targetILNS1_3genE8ELNS1_11target_archE1030ELNS1_3gpuE2ELNS1_3repE0EEENS1_30default_config_static_selectorELNS0_4arch9wavefront6targetE1EEEvT1_
	.p2align	8
	.type	_ZN7rocprim17ROCPRIM_400000_NS6detail17trampoline_kernelINS0_14default_configENS1_20scan_config_selectorIsEEZZNS1_9scan_implILNS1_25lookback_scan_determinismE0ELb1ELb1ES3_N6thrust23THRUST_200600_302600_NS6detail15normal_iteratorINS9_10device_ptrIsEEEENS9_16discard_iteratorINS9_11use_defaultEEEs11max_functorIsEsEEDaPvRmT3_T4_T5_mT6_P12ihipStream_tbENKUlT_T0_E_clISt17integral_constantIbLb1EESW_IbLb0EEEEDaSS_ST_EUlSS_E0_NS1_11comp_targetILNS1_3genE8ELNS1_11target_archE1030ELNS1_3gpuE2ELNS1_3repE0EEENS1_30default_config_static_selectorELNS0_4arch9wavefront6targetE1EEEvT1_,@function
_ZN7rocprim17ROCPRIM_400000_NS6detail17trampoline_kernelINS0_14default_configENS1_20scan_config_selectorIsEEZZNS1_9scan_implILNS1_25lookback_scan_determinismE0ELb1ELb1ES3_N6thrust23THRUST_200600_302600_NS6detail15normal_iteratorINS9_10device_ptrIsEEEENS9_16discard_iteratorINS9_11use_defaultEEEs11max_functorIsEsEEDaPvRmT3_T4_T5_mT6_P12ihipStream_tbENKUlT_T0_E_clISt17integral_constantIbLb1EESW_IbLb0EEEEDaSS_ST_EUlSS_E0_NS1_11comp_targetILNS1_3genE8ELNS1_11target_archE1030ELNS1_3gpuE2ELNS1_3repE0EEENS1_30default_config_static_selectorELNS0_4arch9wavefront6targetE1EEEvT1_: ; @_ZN7rocprim17ROCPRIM_400000_NS6detail17trampoline_kernelINS0_14default_configENS1_20scan_config_selectorIsEEZZNS1_9scan_implILNS1_25lookback_scan_determinismE0ELb1ELb1ES3_N6thrust23THRUST_200600_302600_NS6detail15normal_iteratorINS9_10device_ptrIsEEEENS9_16discard_iteratorINS9_11use_defaultEEEs11max_functorIsEsEEDaPvRmT3_T4_T5_mT6_P12ihipStream_tbENKUlT_T0_E_clISt17integral_constantIbLb1EESW_IbLb0EEEEDaSS_ST_EUlSS_E0_NS1_11comp_targetILNS1_3genE8ELNS1_11target_archE1030ELNS1_3gpuE2ELNS1_3repE0EEENS1_30default_config_static_selectorELNS0_4arch9wavefront6targetE1EEEvT1_
; %bb.0:
	.section	.rodata,"a",@progbits
	.p2align	6, 0x0
	.amdhsa_kernel _ZN7rocprim17ROCPRIM_400000_NS6detail17trampoline_kernelINS0_14default_configENS1_20scan_config_selectorIsEEZZNS1_9scan_implILNS1_25lookback_scan_determinismE0ELb1ELb1ES3_N6thrust23THRUST_200600_302600_NS6detail15normal_iteratorINS9_10device_ptrIsEEEENS9_16discard_iteratorINS9_11use_defaultEEEs11max_functorIsEsEEDaPvRmT3_T4_T5_mT6_P12ihipStream_tbENKUlT_T0_E_clISt17integral_constantIbLb1EESW_IbLb0EEEEDaSS_ST_EUlSS_E0_NS1_11comp_targetILNS1_3genE8ELNS1_11target_archE1030ELNS1_3gpuE2ELNS1_3repE0EEENS1_30default_config_static_selectorELNS0_4arch9wavefront6targetE1EEEvT1_
		.amdhsa_group_segment_fixed_size 0
		.amdhsa_private_segment_fixed_size 0
		.amdhsa_kernarg_size 40
		.amdhsa_user_sgpr_count 6
		.amdhsa_user_sgpr_private_segment_buffer 1
		.amdhsa_user_sgpr_dispatch_ptr 0
		.amdhsa_user_sgpr_queue_ptr 0
		.amdhsa_user_sgpr_kernarg_segment_ptr 1
		.amdhsa_user_sgpr_dispatch_id 0
		.amdhsa_user_sgpr_flat_scratch_init 0
		.amdhsa_user_sgpr_kernarg_preload_length 0
		.amdhsa_user_sgpr_kernarg_preload_offset 0
		.amdhsa_user_sgpr_private_segment_size 0
		.amdhsa_uses_dynamic_stack 0
		.amdhsa_system_sgpr_private_segment_wavefront_offset 0
		.amdhsa_system_sgpr_workgroup_id_x 1
		.amdhsa_system_sgpr_workgroup_id_y 0
		.amdhsa_system_sgpr_workgroup_id_z 0
		.amdhsa_system_sgpr_workgroup_info 0
		.amdhsa_system_vgpr_workitem_id 0
		.amdhsa_next_free_vgpr 1
		.amdhsa_next_free_sgpr 0
		.amdhsa_accum_offset 4
		.amdhsa_reserve_vcc 0
		.amdhsa_reserve_flat_scratch 0
		.amdhsa_float_round_mode_32 0
		.amdhsa_float_round_mode_16_64 0
		.amdhsa_float_denorm_mode_32 3
		.amdhsa_float_denorm_mode_16_64 3
		.amdhsa_dx10_clamp 1
		.amdhsa_ieee_mode 1
		.amdhsa_fp16_overflow 0
		.amdhsa_tg_split 0
		.amdhsa_exception_fp_ieee_invalid_op 0
		.amdhsa_exception_fp_denorm_src 0
		.amdhsa_exception_fp_ieee_div_zero 0
		.amdhsa_exception_fp_ieee_overflow 0
		.amdhsa_exception_fp_ieee_underflow 0
		.amdhsa_exception_fp_ieee_inexact 0
		.amdhsa_exception_int_div_zero 0
	.end_amdhsa_kernel
	.section	.text._ZN7rocprim17ROCPRIM_400000_NS6detail17trampoline_kernelINS0_14default_configENS1_20scan_config_selectorIsEEZZNS1_9scan_implILNS1_25lookback_scan_determinismE0ELb1ELb1ES3_N6thrust23THRUST_200600_302600_NS6detail15normal_iteratorINS9_10device_ptrIsEEEENS9_16discard_iteratorINS9_11use_defaultEEEs11max_functorIsEsEEDaPvRmT3_T4_T5_mT6_P12ihipStream_tbENKUlT_T0_E_clISt17integral_constantIbLb1EESW_IbLb0EEEEDaSS_ST_EUlSS_E0_NS1_11comp_targetILNS1_3genE8ELNS1_11target_archE1030ELNS1_3gpuE2ELNS1_3repE0EEENS1_30default_config_static_selectorELNS0_4arch9wavefront6targetE1EEEvT1_,"axG",@progbits,_ZN7rocprim17ROCPRIM_400000_NS6detail17trampoline_kernelINS0_14default_configENS1_20scan_config_selectorIsEEZZNS1_9scan_implILNS1_25lookback_scan_determinismE0ELb1ELb1ES3_N6thrust23THRUST_200600_302600_NS6detail15normal_iteratorINS9_10device_ptrIsEEEENS9_16discard_iteratorINS9_11use_defaultEEEs11max_functorIsEsEEDaPvRmT3_T4_T5_mT6_P12ihipStream_tbENKUlT_T0_E_clISt17integral_constantIbLb1EESW_IbLb0EEEEDaSS_ST_EUlSS_E0_NS1_11comp_targetILNS1_3genE8ELNS1_11target_archE1030ELNS1_3gpuE2ELNS1_3repE0EEENS1_30default_config_static_selectorELNS0_4arch9wavefront6targetE1EEEvT1_,comdat
.Lfunc_end4123:
	.size	_ZN7rocprim17ROCPRIM_400000_NS6detail17trampoline_kernelINS0_14default_configENS1_20scan_config_selectorIsEEZZNS1_9scan_implILNS1_25lookback_scan_determinismE0ELb1ELb1ES3_N6thrust23THRUST_200600_302600_NS6detail15normal_iteratorINS9_10device_ptrIsEEEENS9_16discard_iteratorINS9_11use_defaultEEEs11max_functorIsEsEEDaPvRmT3_T4_T5_mT6_P12ihipStream_tbENKUlT_T0_E_clISt17integral_constantIbLb1EESW_IbLb0EEEEDaSS_ST_EUlSS_E0_NS1_11comp_targetILNS1_3genE8ELNS1_11target_archE1030ELNS1_3gpuE2ELNS1_3repE0EEENS1_30default_config_static_selectorELNS0_4arch9wavefront6targetE1EEEvT1_, .Lfunc_end4123-_ZN7rocprim17ROCPRIM_400000_NS6detail17trampoline_kernelINS0_14default_configENS1_20scan_config_selectorIsEEZZNS1_9scan_implILNS1_25lookback_scan_determinismE0ELb1ELb1ES3_N6thrust23THRUST_200600_302600_NS6detail15normal_iteratorINS9_10device_ptrIsEEEENS9_16discard_iteratorINS9_11use_defaultEEEs11max_functorIsEsEEDaPvRmT3_T4_T5_mT6_P12ihipStream_tbENKUlT_T0_E_clISt17integral_constantIbLb1EESW_IbLb0EEEEDaSS_ST_EUlSS_E0_NS1_11comp_targetILNS1_3genE8ELNS1_11target_archE1030ELNS1_3gpuE2ELNS1_3repE0EEENS1_30default_config_static_selectorELNS0_4arch9wavefront6targetE1EEEvT1_
                                        ; -- End function
	.section	.AMDGPU.csdata,"",@progbits
; Kernel info:
; codeLenInByte = 0
; NumSgprs: 4
; NumVgprs: 0
; NumAgprs: 0
; TotalNumVgprs: 0
; ScratchSize: 0
; MemoryBound: 0
; FloatMode: 240
; IeeeMode: 1
; LDSByteSize: 0 bytes/workgroup (compile time only)
; SGPRBlocks: 0
; VGPRBlocks: 0
; NumSGPRsForWavesPerEU: 4
; NumVGPRsForWavesPerEU: 1
; AccumOffset: 4
; Occupancy: 8
; WaveLimiterHint : 0
; COMPUTE_PGM_RSRC2:SCRATCH_EN: 0
; COMPUTE_PGM_RSRC2:USER_SGPR: 6
; COMPUTE_PGM_RSRC2:TRAP_HANDLER: 0
; COMPUTE_PGM_RSRC2:TGID_X_EN: 1
; COMPUTE_PGM_RSRC2:TGID_Y_EN: 0
; COMPUTE_PGM_RSRC2:TGID_Z_EN: 0
; COMPUTE_PGM_RSRC2:TIDIG_COMP_CNT: 0
; COMPUTE_PGM_RSRC3_GFX90A:ACCUM_OFFSET: 0
; COMPUTE_PGM_RSRC3_GFX90A:TG_SPLIT: 0
	.section	.text._ZN7rocprim17ROCPRIM_400000_NS6detail17trampoline_kernelINS0_14default_configENS1_20scan_config_selectorIsEEZZNS1_9scan_implILNS1_25lookback_scan_determinismE0ELb1ELb1ES3_N6thrust23THRUST_200600_302600_NS6detail15normal_iteratorINS9_10device_ptrIsEEEENS9_16discard_iteratorINS9_11use_defaultEEEs11max_functorIsEsEEDaPvRmT3_T4_T5_mT6_P12ihipStream_tbENKUlT_T0_E_clISt17integral_constantIbLb0EESW_IbLb1EEEEDaSS_ST_EUlSS_E_NS1_11comp_targetILNS1_3genE0ELNS1_11target_archE4294967295ELNS1_3gpuE0ELNS1_3repE0EEENS1_30default_config_static_selectorELNS0_4arch9wavefront6targetE1EEEvT1_,"axG",@progbits,_ZN7rocprim17ROCPRIM_400000_NS6detail17trampoline_kernelINS0_14default_configENS1_20scan_config_selectorIsEEZZNS1_9scan_implILNS1_25lookback_scan_determinismE0ELb1ELb1ES3_N6thrust23THRUST_200600_302600_NS6detail15normal_iteratorINS9_10device_ptrIsEEEENS9_16discard_iteratorINS9_11use_defaultEEEs11max_functorIsEsEEDaPvRmT3_T4_T5_mT6_P12ihipStream_tbENKUlT_T0_E_clISt17integral_constantIbLb0EESW_IbLb1EEEEDaSS_ST_EUlSS_E_NS1_11comp_targetILNS1_3genE0ELNS1_11target_archE4294967295ELNS1_3gpuE0ELNS1_3repE0EEENS1_30default_config_static_selectorELNS0_4arch9wavefront6targetE1EEEvT1_,comdat
	.protected	_ZN7rocprim17ROCPRIM_400000_NS6detail17trampoline_kernelINS0_14default_configENS1_20scan_config_selectorIsEEZZNS1_9scan_implILNS1_25lookback_scan_determinismE0ELb1ELb1ES3_N6thrust23THRUST_200600_302600_NS6detail15normal_iteratorINS9_10device_ptrIsEEEENS9_16discard_iteratorINS9_11use_defaultEEEs11max_functorIsEsEEDaPvRmT3_T4_T5_mT6_P12ihipStream_tbENKUlT_T0_E_clISt17integral_constantIbLb0EESW_IbLb1EEEEDaSS_ST_EUlSS_E_NS1_11comp_targetILNS1_3genE0ELNS1_11target_archE4294967295ELNS1_3gpuE0ELNS1_3repE0EEENS1_30default_config_static_selectorELNS0_4arch9wavefront6targetE1EEEvT1_ ; -- Begin function _ZN7rocprim17ROCPRIM_400000_NS6detail17trampoline_kernelINS0_14default_configENS1_20scan_config_selectorIsEEZZNS1_9scan_implILNS1_25lookback_scan_determinismE0ELb1ELb1ES3_N6thrust23THRUST_200600_302600_NS6detail15normal_iteratorINS9_10device_ptrIsEEEENS9_16discard_iteratorINS9_11use_defaultEEEs11max_functorIsEsEEDaPvRmT3_T4_T5_mT6_P12ihipStream_tbENKUlT_T0_E_clISt17integral_constantIbLb0EESW_IbLb1EEEEDaSS_ST_EUlSS_E_NS1_11comp_targetILNS1_3genE0ELNS1_11target_archE4294967295ELNS1_3gpuE0ELNS1_3repE0EEENS1_30default_config_static_selectorELNS0_4arch9wavefront6targetE1EEEvT1_
	.globl	_ZN7rocprim17ROCPRIM_400000_NS6detail17trampoline_kernelINS0_14default_configENS1_20scan_config_selectorIsEEZZNS1_9scan_implILNS1_25lookback_scan_determinismE0ELb1ELb1ES3_N6thrust23THRUST_200600_302600_NS6detail15normal_iteratorINS9_10device_ptrIsEEEENS9_16discard_iteratorINS9_11use_defaultEEEs11max_functorIsEsEEDaPvRmT3_T4_T5_mT6_P12ihipStream_tbENKUlT_T0_E_clISt17integral_constantIbLb0EESW_IbLb1EEEEDaSS_ST_EUlSS_E_NS1_11comp_targetILNS1_3genE0ELNS1_11target_archE4294967295ELNS1_3gpuE0ELNS1_3repE0EEENS1_30default_config_static_selectorELNS0_4arch9wavefront6targetE1EEEvT1_
	.p2align	8
	.type	_ZN7rocprim17ROCPRIM_400000_NS6detail17trampoline_kernelINS0_14default_configENS1_20scan_config_selectorIsEEZZNS1_9scan_implILNS1_25lookback_scan_determinismE0ELb1ELb1ES3_N6thrust23THRUST_200600_302600_NS6detail15normal_iteratorINS9_10device_ptrIsEEEENS9_16discard_iteratorINS9_11use_defaultEEEs11max_functorIsEsEEDaPvRmT3_T4_T5_mT6_P12ihipStream_tbENKUlT_T0_E_clISt17integral_constantIbLb0EESW_IbLb1EEEEDaSS_ST_EUlSS_E_NS1_11comp_targetILNS1_3genE0ELNS1_11target_archE4294967295ELNS1_3gpuE0ELNS1_3repE0EEENS1_30default_config_static_selectorELNS0_4arch9wavefront6targetE1EEEvT1_,@function
_ZN7rocprim17ROCPRIM_400000_NS6detail17trampoline_kernelINS0_14default_configENS1_20scan_config_selectorIsEEZZNS1_9scan_implILNS1_25lookback_scan_determinismE0ELb1ELb1ES3_N6thrust23THRUST_200600_302600_NS6detail15normal_iteratorINS9_10device_ptrIsEEEENS9_16discard_iteratorINS9_11use_defaultEEEs11max_functorIsEsEEDaPvRmT3_T4_T5_mT6_P12ihipStream_tbENKUlT_T0_E_clISt17integral_constantIbLb0EESW_IbLb1EEEEDaSS_ST_EUlSS_E_NS1_11comp_targetILNS1_3genE0ELNS1_11target_archE4294967295ELNS1_3gpuE0ELNS1_3repE0EEENS1_30default_config_static_selectorELNS0_4arch9wavefront6targetE1EEEvT1_: ; @_ZN7rocprim17ROCPRIM_400000_NS6detail17trampoline_kernelINS0_14default_configENS1_20scan_config_selectorIsEEZZNS1_9scan_implILNS1_25lookback_scan_determinismE0ELb1ELb1ES3_N6thrust23THRUST_200600_302600_NS6detail15normal_iteratorINS9_10device_ptrIsEEEENS9_16discard_iteratorINS9_11use_defaultEEEs11max_functorIsEsEEDaPvRmT3_T4_T5_mT6_P12ihipStream_tbENKUlT_T0_E_clISt17integral_constantIbLb0EESW_IbLb1EEEEDaSS_ST_EUlSS_E_NS1_11comp_targetILNS1_3genE0ELNS1_11target_archE4294967295ELNS1_3gpuE0ELNS1_3repE0EEENS1_30default_config_static_selectorELNS0_4arch9wavefront6targetE1EEEvT1_
; %bb.0:
	.section	.rodata,"a",@progbits
	.p2align	6, 0x0
	.amdhsa_kernel _ZN7rocprim17ROCPRIM_400000_NS6detail17trampoline_kernelINS0_14default_configENS1_20scan_config_selectorIsEEZZNS1_9scan_implILNS1_25lookback_scan_determinismE0ELb1ELb1ES3_N6thrust23THRUST_200600_302600_NS6detail15normal_iteratorINS9_10device_ptrIsEEEENS9_16discard_iteratorINS9_11use_defaultEEEs11max_functorIsEsEEDaPvRmT3_T4_T5_mT6_P12ihipStream_tbENKUlT_T0_E_clISt17integral_constantIbLb0EESW_IbLb1EEEEDaSS_ST_EUlSS_E_NS1_11comp_targetILNS1_3genE0ELNS1_11target_archE4294967295ELNS1_3gpuE0ELNS1_3repE0EEENS1_30default_config_static_selectorELNS0_4arch9wavefront6targetE1EEEvT1_
		.amdhsa_group_segment_fixed_size 0
		.amdhsa_private_segment_fixed_size 0
		.amdhsa_kernarg_size 104
		.amdhsa_user_sgpr_count 6
		.amdhsa_user_sgpr_private_segment_buffer 1
		.amdhsa_user_sgpr_dispatch_ptr 0
		.amdhsa_user_sgpr_queue_ptr 0
		.amdhsa_user_sgpr_kernarg_segment_ptr 1
		.amdhsa_user_sgpr_dispatch_id 0
		.amdhsa_user_sgpr_flat_scratch_init 0
		.amdhsa_user_sgpr_kernarg_preload_length 0
		.amdhsa_user_sgpr_kernarg_preload_offset 0
		.amdhsa_user_sgpr_private_segment_size 0
		.amdhsa_uses_dynamic_stack 0
		.amdhsa_system_sgpr_private_segment_wavefront_offset 0
		.amdhsa_system_sgpr_workgroup_id_x 1
		.amdhsa_system_sgpr_workgroup_id_y 0
		.amdhsa_system_sgpr_workgroup_id_z 0
		.amdhsa_system_sgpr_workgroup_info 0
		.amdhsa_system_vgpr_workitem_id 0
		.amdhsa_next_free_vgpr 1
		.amdhsa_next_free_sgpr 0
		.amdhsa_accum_offset 4
		.amdhsa_reserve_vcc 0
		.amdhsa_reserve_flat_scratch 0
		.amdhsa_float_round_mode_32 0
		.amdhsa_float_round_mode_16_64 0
		.amdhsa_float_denorm_mode_32 3
		.amdhsa_float_denorm_mode_16_64 3
		.amdhsa_dx10_clamp 1
		.amdhsa_ieee_mode 1
		.amdhsa_fp16_overflow 0
		.amdhsa_tg_split 0
		.amdhsa_exception_fp_ieee_invalid_op 0
		.amdhsa_exception_fp_denorm_src 0
		.amdhsa_exception_fp_ieee_div_zero 0
		.amdhsa_exception_fp_ieee_overflow 0
		.amdhsa_exception_fp_ieee_underflow 0
		.amdhsa_exception_fp_ieee_inexact 0
		.amdhsa_exception_int_div_zero 0
	.end_amdhsa_kernel
	.section	.text._ZN7rocprim17ROCPRIM_400000_NS6detail17trampoline_kernelINS0_14default_configENS1_20scan_config_selectorIsEEZZNS1_9scan_implILNS1_25lookback_scan_determinismE0ELb1ELb1ES3_N6thrust23THRUST_200600_302600_NS6detail15normal_iteratorINS9_10device_ptrIsEEEENS9_16discard_iteratorINS9_11use_defaultEEEs11max_functorIsEsEEDaPvRmT3_T4_T5_mT6_P12ihipStream_tbENKUlT_T0_E_clISt17integral_constantIbLb0EESW_IbLb1EEEEDaSS_ST_EUlSS_E_NS1_11comp_targetILNS1_3genE0ELNS1_11target_archE4294967295ELNS1_3gpuE0ELNS1_3repE0EEENS1_30default_config_static_selectorELNS0_4arch9wavefront6targetE1EEEvT1_,"axG",@progbits,_ZN7rocprim17ROCPRIM_400000_NS6detail17trampoline_kernelINS0_14default_configENS1_20scan_config_selectorIsEEZZNS1_9scan_implILNS1_25lookback_scan_determinismE0ELb1ELb1ES3_N6thrust23THRUST_200600_302600_NS6detail15normal_iteratorINS9_10device_ptrIsEEEENS9_16discard_iteratorINS9_11use_defaultEEEs11max_functorIsEsEEDaPvRmT3_T4_T5_mT6_P12ihipStream_tbENKUlT_T0_E_clISt17integral_constantIbLb0EESW_IbLb1EEEEDaSS_ST_EUlSS_E_NS1_11comp_targetILNS1_3genE0ELNS1_11target_archE4294967295ELNS1_3gpuE0ELNS1_3repE0EEENS1_30default_config_static_selectorELNS0_4arch9wavefront6targetE1EEEvT1_,comdat
.Lfunc_end4124:
	.size	_ZN7rocprim17ROCPRIM_400000_NS6detail17trampoline_kernelINS0_14default_configENS1_20scan_config_selectorIsEEZZNS1_9scan_implILNS1_25lookback_scan_determinismE0ELb1ELb1ES3_N6thrust23THRUST_200600_302600_NS6detail15normal_iteratorINS9_10device_ptrIsEEEENS9_16discard_iteratorINS9_11use_defaultEEEs11max_functorIsEsEEDaPvRmT3_T4_T5_mT6_P12ihipStream_tbENKUlT_T0_E_clISt17integral_constantIbLb0EESW_IbLb1EEEEDaSS_ST_EUlSS_E_NS1_11comp_targetILNS1_3genE0ELNS1_11target_archE4294967295ELNS1_3gpuE0ELNS1_3repE0EEENS1_30default_config_static_selectorELNS0_4arch9wavefront6targetE1EEEvT1_, .Lfunc_end4124-_ZN7rocprim17ROCPRIM_400000_NS6detail17trampoline_kernelINS0_14default_configENS1_20scan_config_selectorIsEEZZNS1_9scan_implILNS1_25lookback_scan_determinismE0ELb1ELb1ES3_N6thrust23THRUST_200600_302600_NS6detail15normal_iteratorINS9_10device_ptrIsEEEENS9_16discard_iteratorINS9_11use_defaultEEEs11max_functorIsEsEEDaPvRmT3_T4_T5_mT6_P12ihipStream_tbENKUlT_T0_E_clISt17integral_constantIbLb0EESW_IbLb1EEEEDaSS_ST_EUlSS_E_NS1_11comp_targetILNS1_3genE0ELNS1_11target_archE4294967295ELNS1_3gpuE0ELNS1_3repE0EEENS1_30default_config_static_selectorELNS0_4arch9wavefront6targetE1EEEvT1_
                                        ; -- End function
	.section	.AMDGPU.csdata,"",@progbits
; Kernel info:
; codeLenInByte = 0
; NumSgprs: 4
; NumVgprs: 0
; NumAgprs: 0
; TotalNumVgprs: 0
; ScratchSize: 0
; MemoryBound: 0
; FloatMode: 240
; IeeeMode: 1
; LDSByteSize: 0 bytes/workgroup (compile time only)
; SGPRBlocks: 0
; VGPRBlocks: 0
; NumSGPRsForWavesPerEU: 4
; NumVGPRsForWavesPerEU: 1
; AccumOffset: 4
; Occupancy: 8
; WaveLimiterHint : 0
; COMPUTE_PGM_RSRC2:SCRATCH_EN: 0
; COMPUTE_PGM_RSRC2:USER_SGPR: 6
; COMPUTE_PGM_RSRC2:TRAP_HANDLER: 0
; COMPUTE_PGM_RSRC2:TGID_X_EN: 1
; COMPUTE_PGM_RSRC2:TGID_Y_EN: 0
; COMPUTE_PGM_RSRC2:TGID_Z_EN: 0
; COMPUTE_PGM_RSRC2:TIDIG_COMP_CNT: 0
; COMPUTE_PGM_RSRC3_GFX90A:ACCUM_OFFSET: 0
; COMPUTE_PGM_RSRC3_GFX90A:TG_SPLIT: 0
	.section	.text._ZN7rocprim17ROCPRIM_400000_NS6detail17trampoline_kernelINS0_14default_configENS1_20scan_config_selectorIsEEZZNS1_9scan_implILNS1_25lookback_scan_determinismE0ELb1ELb1ES3_N6thrust23THRUST_200600_302600_NS6detail15normal_iteratorINS9_10device_ptrIsEEEENS9_16discard_iteratorINS9_11use_defaultEEEs11max_functorIsEsEEDaPvRmT3_T4_T5_mT6_P12ihipStream_tbENKUlT_T0_E_clISt17integral_constantIbLb0EESW_IbLb1EEEEDaSS_ST_EUlSS_E_NS1_11comp_targetILNS1_3genE5ELNS1_11target_archE942ELNS1_3gpuE9ELNS1_3repE0EEENS1_30default_config_static_selectorELNS0_4arch9wavefront6targetE1EEEvT1_,"axG",@progbits,_ZN7rocprim17ROCPRIM_400000_NS6detail17trampoline_kernelINS0_14default_configENS1_20scan_config_selectorIsEEZZNS1_9scan_implILNS1_25lookback_scan_determinismE0ELb1ELb1ES3_N6thrust23THRUST_200600_302600_NS6detail15normal_iteratorINS9_10device_ptrIsEEEENS9_16discard_iteratorINS9_11use_defaultEEEs11max_functorIsEsEEDaPvRmT3_T4_T5_mT6_P12ihipStream_tbENKUlT_T0_E_clISt17integral_constantIbLb0EESW_IbLb1EEEEDaSS_ST_EUlSS_E_NS1_11comp_targetILNS1_3genE5ELNS1_11target_archE942ELNS1_3gpuE9ELNS1_3repE0EEENS1_30default_config_static_selectorELNS0_4arch9wavefront6targetE1EEEvT1_,comdat
	.protected	_ZN7rocprim17ROCPRIM_400000_NS6detail17trampoline_kernelINS0_14default_configENS1_20scan_config_selectorIsEEZZNS1_9scan_implILNS1_25lookback_scan_determinismE0ELb1ELb1ES3_N6thrust23THRUST_200600_302600_NS6detail15normal_iteratorINS9_10device_ptrIsEEEENS9_16discard_iteratorINS9_11use_defaultEEEs11max_functorIsEsEEDaPvRmT3_T4_T5_mT6_P12ihipStream_tbENKUlT_T0_E_clISt17integral_constantIbLb0EESW_IbLb1EEEEDaSS_ST_EUlSS_E_NS1_11comp_targetILNS1_3genE5ELNS1_11target_archE942ELNS1_3gpuE9ELNS1_3repE0EEENS1_30default_config_static_selectorELNS0_4arch9wavefront6targetE1EEEvT1_ ; -- Begin function _ZN7rocprim17ROCPRIM_400000_NS6detail17trampoline_kernelINS0_14default_configENS1_20scan_config_selectorIsEEZZNS1_9scan_implILNS1_25lookback_scan_determinismE0ELb1ELb1ES3_N6thrust23THRUST_200600_302600_NS6detail15normal_iteratorINS9_10device_ptrIsEEEENS9_16discard_iteratorINS9_11use_defaultEEEs11max_functorIsEsEEDaPvRmT3_T4_T5_mT6_P12ihipStream_tbENKUlT_T0_E_clISt17integral_constantIbLb0EESW_IbLb1EEEEDaSS_ST_EUlSS_E_NS1_11comp_targetILNS1_3genE5ELNS1_11target_archE942ELNS1_3gpuE9ELNS1_3repE0EEENS1_30default_config_static_selectorELNS0_4arch9wavefront6targetE1EEEvT1_
	.globl	_ZN7rocprim17ROCPRIM_400000_NS6detail17trampoline_kernelINS0_14default_configENS1_20scan_config_selectorIsEEZZNS1_9scan_implILNS1_25lookback_scan_determinismE0ELb1ELb1ES3_N6thrust23THRUST_200600_302600_NS6detail15normal_iteratorINS9_10device_ptrIsEEEENS9_16discard_iteratorINS9_11use_defaultEEEs11max_functorIsEsEEDaPvRmT3_T4_T5_mT6_P12ihipStream_tbENKUlT_T0_E_clISt17integral_constantIbLb0EESW_IbLb1EEEEDaSS_ST_EUlSS_E_NS1_11comp_targetILNS1_3genE5ELNS1_11target_archE942ELNS1_3gpuE9ELNS1_3repE0EEENS1_30default_config_static_selectorELNS0_4arch9wavefront6targetE1EEEvT1_
	.p2align	8
	.type	_ZN7rocprim17ROCPRIM_400000_NS6detail17trampoline_kernelINS0_14default_configENS1_20scan_config_selectorIsEEZZNS1_9scan_implILNS1_25lookback_scan_determinismE0ELb1ELb1ES3_N6thrust23THRUST_200600_302600_NS6detail15normal_iteratorINS9_10device_ptrIsEEEENS9_16discard_iteratorINS9_11use_defaultEEEs11max_functorIsEsEEDaPvRmT3_T4_T5_mT6_P12ihipStream_tbENKUlT_T0_E_clISt17integral_constantIbLb0EESW_IbLb1EEEEDaSS_ST_EUlSS_E_NS1_11comp_targetILNS1_3genE5ELNS1_11target_archE942ELNS1_3gpuE9ELNS1_3repE0EEENS1_30default_config_static_selectorELNS0_4arch9wavefront6targetE1EEEvT1_,@function
_ZN7rocprim17ROCPRIM_400000_NS6detail17trampoline_kernelINS0_14default_configENS1_20scan_config_selectorIsEEZZNS1_9scan_implILNS1_25lookback_scan_determinismE0ELb1ELb1ES3_N6thrust23THRUST_200600_302600_NS6detail15normal_iteratorINS9_10device_ptrIsEEEENS9_16discard_iteratorINS9_11use_defaultEEEs11max_functorIsEsEEDaPvRmT3_T4_T5_mT6_P12ihipStream_tbENKUlT_T0_E_clISt17integral_constantIbLb0EESW_IbLb1EEEEDaSS_ST_EUlSS_E_NS1_11comp_targetILNS1_3genE5ELNS1_11target_archE942ELNS1_3gpuE9ELNS1_3repE0EEENS1_30default_config_static_selectorELNS0_4arch9wavefront6targetE1EEEvT1_: ; @_ZN7rocprim17ROCPRIM_400000_NS6detail17trampoline_kernelINS0_14default_configENS1_20scan_config_selectorIsEEZZNS1_9scan_implILNS1_25lookback_scan_determinismE0ELb1ELb1ES3_N6thrust23THRUST_200600_302600_NS6detail15normal_iteratorINS9_10device_ptrIsEEEENS9_16discard_iteratorINS9_11use_defaultEEEs11max_functorIsEsEEDaPvRmT3_T4_T5_mT6_P12ihipStream_tbENKUlT_T0_E_clISt17integral_constantIbLb0EESW_IbLb1EEEEDaSS_ST_EUlSS_E_NS1_11comp_targetILNS1_3genE5ELNS1_11target_archE942ELNS1_3gpuE9ELNS1_3repE0EEENS1_30default_config_static_selectorELNS0_4arch9wavefront6targetE1EEEvT1_
; %bb.0:
	.section	.rodata,"a",@progbits
	.p2align	6, 0x0
	.amdhsa_kernel _ZN7rocprim17ROCPRIM_400000_NS6detail17trampoline_kernelINS0_14default_configENS1_20scan_config_selectorIsEEZZNS1_9scan_implILNS1_25lookback_scan_determinismE0ELb1ELb1ES3_N6thrust23THRUST_200600_302600_NS6detail15normal_iteratorINS9_10device_ptrIsEEEENS9_16discard_iteratorINS9_11use_defaultEEEs11max_functorIsEsEEDaPvRmT3_T4_T5_mT6_P12ihipStream_tbENKUlT_T0_E_clISt17integral_constantIbLb0EESW_IbLb1EEEEDaSS_ST_EUlSS_E_NS1_11comp_targetILNS1_3genE5ELNS1_11target_archE942ELNS1_3gpuE9ELNS1_3repE0EEENS1_30default_config_static_selectorELNS0_4arch9wavefront6targetE1EEEvT1_
		.amdhsa_group_segment_fixed_size 0
		.amdhsa_private_segment_fixed_size 0
		.amdhsa_kernarg_size 104
		.amdhsa_user_sgpr_count 6
		.amdhsa_user_sgpr_private_segment_buffer 1
		.amdhsa_user_sgpr_dispatch_ptr 0
		.amdhsa_user_sgpr_queue_ptr 0
		.amdhsa_user_sgpr_kernarg_segment_ptr 1
		.amdhsa_user_sgpr_dispatch_id 0
		.amdhsa_user_sgpr_flat_scratch_init 0
		.amdhsa_user_sgpr_kernarg_preload_length 0
		.amdhsa_user_sgpr_kernarg_preload_offset 0
		.amdhsa_user_sgpr_private_segment_size 0
		.amdhsa_uses_dynamic_stack 0
		.amdhsa_system_sgpr_private_segment_wavefront_offset 0
		.amdhsa_system_sgpr_workgroup_id_x 1
		.amdhsa_system_sgpr_workgroup_id_y 0
		.amdhsa_system_sgpr_workgroup_id_z 0
		.amdhsa_system_sgpr_workgroup_info 0
		.amdhsa_system_vgpr_workitem_id 0
		.amdhsa_next_free_vgpr 1
		.amdhsa_next_free_sgpr 0
		.amdhsa_accum_offset 4
		.amdhsa_reserve_vcc 0
		.amdhsa_reserve_flat_scratch 0
		.amdhsa_float_round_mode_32 0
		.amdhsa_float_round_mode_16_64 0
		.amdhsa_float_denorm_mode_32 3
		.amdhsa_float_denorm_mode_16_64 3
		.amdhsa_dx10_clamp 1
		.amdhsa_ieee_mode 1
		.amdhsa_fp16_overflow 0
		.amdhsa_tg_split 0
		.amdhsa_exception_fp_ieee_invalid_op 0
		.amdhsa_exception_fp_denorm_src 0
		.amdhsa_exception_fp_ieee_div_zero 0
		.amdhsa_exception_fp_ieee_overflow 0
		.amdhsa_exception_fp_ieee_underflow 0
		.amdhsa_exception_fp_ieee_inexact 0
		.amdhsa_exception_int_div_zero 0
	.end_amdhsa_kernel
	.section	.text._ZN7rocprim17ROCPRIM_400000_NS6detail17trampoline_kernelINS0_14default_configENS1_20scan_config_selectorIsEEZZNS1_9scan_implILNS1_25lookback_scan_determinismE0ELb1ELb1ES3_N6thrust23THRUST_200600_302600_NS6detail15normal_iteratorINS9_10device_ptrIsEEEENS9_16discard_iteratorINS9_11use_defaultEEEs11max_functorIsEsEEDaPvRmT3_T4_T5_mT6_P12ihipStream_tbENKUlT_T0_E_clISt17integral_constantIbLb0EESW_IbLb1EEEEDaSS_ST_EUlSS_E_NS1_11comp_targetILNS1_3genE5ELNS1_11target_archE942ELNS1_3gpuE9ELNS1_3repE0EEENS1_30default_config_static_selectorELNS0_4arch9wavefront6targetE1EEEvT1_,"axG",@progbits,_ZN7rocprim17ROCPRIM_400000_NS6detail17trampoline_kernelINS0_14default_configENS1_20scan_config_selectorIsEEZZNS1_9scan_implILNS1_25lookback_scan_determinismE0ELb1ELb1ES3_N6thrust23THRUST_200600_302600_NS6detail15normal_iteratorINS9_10device_ptrIsEEEENS9_16discard_iteratorINS9_11use_defaultEEEs11max_functorIsEsEEDaPvRmT3_T4_T5_mT6_P12ihipStream_tbENKUlT_T0_E_clISt17integral_constantIbLb0EESW_IbLb1EEEEDaSS_ST_EUlSS_E_NS1_11comp_targetILNS1_3genE5ELNS1_11target_archE942ELNS1_3gpuE9ELNS1_3repE0EEENS1_30default_config_static_selectorELNS0_4arch9wavefront6targetE1EEEvT1_,comdat
.Lfunc_end4125:
	.size	_ZN7rocprim17ROCPRIM_400000_NS6detail17trampoline_kernelINS0_14default_configENS1_20scan_config_selectorIsEEZZNS1_9scan_implILNS1_25lookback_scan_determinismE0ELb1ELb1ES3_N6thrust23THRUST_200600_302600_NS6detail15normal_iteratorINS9_10device_ptrIsEEEENS9_16discard_iteratorINS9_11use_defaultEEEs11max_functorIsEsEEDaPvRmT3_T4_T5_mT6_P12ihipStream_tbENKUlT_T0_E_clISt17integral_constantIbLb0EESW_IbLb1EEEEDaSS_ST_EUlSS_E_NS1_11comp_targetILNS1_3genE5ELNS1_11target_archE942ELNS1_3gpuE9ELNS1_3repE0EEENS1_30default_config_static_selectorELNS0_4arch9wavefront6targetE1EEEvT1_, .Lfunc_end4125-_ZN7rocprim17ROCPRIM_400000_NS6detail17trampoline_kernelINS0_14default_configENS1_20scan_config_selectorIsEEZZNS1_9scan_implILNS1_25lookback_scan_determinismE0ELb1ELb1ES3_N6thrust23THRUST_200600_302600_NS6detail15normal_iteratorINS9_10device_ptrIsEEEENS9_16discard_iteratorINS9_11use_defaultEEEs11max_functorIsEsEEDaPvRmT3_T4_T5_mT6_P12ihipStream_tbENKUlT_T0_E_clISt17integral_constantIbLb0EESW_IbLb1EEEEDaSS_ST_EUlSS_E_NS1_11comp_targetILNS1_3genE5ELNS1_11target_archE942ELNS1_3gpuE9ELNS1_3repE0EEENS1_30default_config_static_selectorELNS0_4arch9wavefront6targetE1EEEvT1_
                                        ; -- End function
	.section	.AMDGPU.csdata,"",@progbits
; Kernel info:
; codeLenInByte = 0
; NumSgprs: 4
; NumVgprs: 0
; NumAgprs: 0
; TotalNumVgprs: 0
; ScratchSize: 0
; MemoryBound: 0
; FloatMode: 240
; IeeeMode: 1
; LDSByteSize: 0 bytes/workgroup (compile time only)
; SGPRBlocks: 0
; VGPRBlocks: 0
; NumSGPRsForWavesPerEU: 4
; NumVGPRsForWavesPerEU: 1
; AccumOffset: 4
; Occupancy: 8
; WaveLimiterHint : 0
; COMPUTE_PGM_RSRC2:SCRATCH_EN: 0
; COMPUTE_PGM_RSRC2:USER_SGPR: 6
; COMPUTE_PGM_RSRC2:TRAP_HANDLER: 0
; COMPUTE_PGM_RSRC2:TGID_X_EN: 1
; COMPUTE_PGM_RSRC2:TGID_Y_EN: 0
; COMPUTE_PGM_RSRC2:TGID_Z_EN: 0
; COMPUTE_PGM_RSRC2:TIDIG_COMP_CNT: 0
; COMPUTE_PGM_RSRC3_GFX90A:ACCUM_OFFSET: 0
; COMPUTE_PGM_RSRC3_GFX90A:TG_SPLIT: 0
	.section	.text._ZN7rocprim17ROCPRIM_400000_NS6detail17trampoline_kernelINS0_14default_configENS1_20scan_config_selectorIsEEZZNS1_9scan_implILNS1_25lookback_scan_determinismE0ELb1ELb1ES3_N6thrust23THRUST_200600_302600_NS6detail15normal_iteratorINS9_10device_ptrIsEEEENS9_16discard_iteratorINS9_11use_defaultEEEs11max_functorIsEsEEDaPvRmT3_T4_T5_mT6_P12ihipStream_tbENKUlT_T0_E_clISt17integral_constantIbLb0EESW_IbLb1EEEEDaSS_ST_EUlSS_E_NS1_11comp_targetILNS1_3genE4ELNS1_11target_archE910ELNS1_3gpuE8ELNS1_3repE0EEENS1_30default_config_static_selectorELNS0_4arch9wavefront6targetE1EEEvT1_,"axG",@progbits,_ZN7rocprim17ROCPRIM_400000_NS6detail17trampoline_kernelINS0_14default_configENS1_20scan_config_selectorIsEEZZNS1_9scan_implILNS1_25lookback_scan_determinismE0ELb1ELb1ES3_N6thrust23THRUST_200600_302600_NS6detail15normal_iteratorINS9_10device_ptrIsEEEENS9_16discard_iteratorINS9_11use_defaultEEEs11max_functorIsEsEEDaPvRmT3_T4_T5_mT6_P12ihipStream_tbENKUlT_T0_E_clISt17integral_constantIbLb0EESW_IbLb1EEEEDaSS_ST_EUlSS_E_NS1_11comp_targetILNS1_3genE4ELNS1_11target_archE910ELNS1_3gpuE8ELNS1_3repE0EEENS1_30default_config_static_selectorELNS0_4arch9wavefront6targetE1EEEvT1_,comdat
	.protected	_ZN7rocprim17ROCPRIM_400000_NS6detail17trampoline_kernelINS0_14default_configENS1_20scan_config_selectorIsEEZZNS1_9scan_implILNS1_25lookback_scan_determinismE0ELb1ELb1ES3_N6thrust23THRUST_200600_302600_NS6detail15normal_iteratorINS9_10device_ptrIsEEEENS9_16discard_iteratorINS9_11use_defaultEEEs11max_functorIsEsEEDaPvRmT3_T4_T5_mT6_P12ihipStream_tbENKUlT_T0_E_clISt17integral_constantIbLb0EESW_IbLb1EEEEDaSS_ST_EUlSS_E_NS1_11comp_targetILNS1_3genE4ELNS1_11target_archE910ELNS1_3gpuE8ELNS1_3repE0EEENS1_30default_config_static_selectorELNS0_4arch9wavefront6targetE1EEEvT1_ ; -- Begin function _ZN7rocprim17ROCPRIM_400000_NS6detail17trampoline_kernelINS0_14default_configENS1_20scan_config_selectorIsEEZZNS1_9scan_implILNS1_25lookback_scan_determinismE0ELb1ELb1ES3_N6thrust23THRUST_200600_302600_NS6detail15normal_iteratorINS9_10device_ptrIsEEEENS9_16discard_iteratorINS9_11use_defaultEEEs11max_functorIsEsEEDaPvRmT3_T4_T5_mT6_P12ihipStream_tbENKUlT_T0_E_clISt17integral_constantIbLb0EESW_IbLb1EEEEDaSS_ST_EUlSS_E_NS1_11comp_targetILNS1_3genE4ELNS1_11target_archE910ELNS1_3gpuE8ELNS1_3repE0EEENS1_30default_config_static_selectorELNS0_4arch9wavefront6targetE1EEEvT1_
	.globl	_ZN7rocprim17ROCPRIM_400000_NS6detail17trampoline_kernelINS0_14default_configENS1_20scan_config_selectorIsEEZZNS1_9scan_implILNS1_25lookback_scan_determinismE0ELb1ELb1ES3_N6thrust23THRUST_200600_302600_NS6detail15normal_iteratorINS9_10device_ptrIsEEEENS9_16discard_iteratorINS9_11use_defaultEEEs11max_functorIsEsEEDaPvRmT3_T4_T5_mT6_P12ihipStream_tbENKUlT_T0_E_clISt17integral_constantIbLb0EESW_IbLb1EEEEDaSS_ST_EUlSS_E_NS1_11comp_targetILNS1_3genE4ELNS1_11target_archE910ELNS1_3gpuE8ELNS1_3repE0EEENS1_30default_config_static_selectorELNS0_4arch9wavefront6targetE1EEEvT1_
	.p2align	8
	.type	_ZN7rocprim17ROCPRIM_400000_NS6detail17trampoline_kernelINS0_14default_configENS1_20scan_config_selectorIsEEZZNS1_9scan_implILNS1_25lookback_scan_determinismE0ELb1ELb1ES3_N6thrust23THRUST_200600_302600_NS6detail15normal_iteratorINS9_10device_ptrIsEEEENS9_16discard_iteratorINS9_11use_defaultEEEs11max_functorIsEsEEDaPvRmT3_T4_T5_mT6_P12ihipStream_tbENKUlT_T0_E_clISt17integral_constantIbLb0EESW_IbLb1EEEEDaSS_ST_EUlSS_E_NS1_11comp_targetILNS1_3genE4ELNS1_11target_archE910ELNS1_3gpuE8ELNS1_3repE0EEENS1_30default_config_static_selectorELNS0_4arch9wavefront6targetE1EEEvT1_,@function
_ZN7rocprim17ROCPRIM_400000_NS6detail17trampoline_kernelINS0_14default_configENS1_20scan_config_selectorIsEEZZNS1_9scan_implILNS1_25lookback_scan_determinismE0ELb1ELb1ES3_N6thrust23THRUST_200600_302600_NS6detail15normal_iteratorINS9_10device_ptrIsEEEENS9_16discard_iteratorINS9_11use_defaultEEEs11max_functorIsEsEEDaPvRmT3_T4_T5_mT6_P12ihipStream_tbENKUlT_T0_E_clISt17integral_constantIbLb0EESW_IbLb1EEEEDaSS_ST_EUlSS_E_NS1_11comp_targetILNS1_3genE4ELNS1_11target_archE910ELNS1_3gpuE8ELNS1_3repE0EEENS1_30default_config_static_selectorELNS0_4arch9wavefront6targetE1EEEvT1_: ; @_ZN7rocprim17ROCPRIM_400000_NS6detail17trampoline_kernelINS0_14default_configENS1_20scan_config_selectorIsEEZZNS1_9scan_implILNS1_25lookback_scan_determinismE0ELb1ELb1ES3_N6thrust23THRUST_200600_302600_NS6detail15normal_iteratorINS9_10device_ptrIsEEEENS9_16discard_iteratorINS9_11use_defaultEEEs11max_functorIsEsEEDaPvRmT3_T4_T5_mT6_P12ihipStream_tbENKUlT_T0_E_clISt17integral_constantIbLb0EESW_IbLb1EEEEDaSS_ST_EUlSS_E_NS1_11comp_targetILNS1_3genE4ELNS1_11target_archE910ELNS1_3gpuE8ELNS1_3repE0EEENS1_30default_config_static_selectorELNS0_4arch9wavefront6targetE1EEEvT1_
; %bb.0:
	s_load_dwordx2 s[2:3], s[4:5], 0x20
	s_load_dword s28, s[4:5], 0x28
	s_load_dwordx2 s[22:23], s[4:5], 0x30
	v_cmp_eq_u32_e64 s[0:1], 0, v0
	s_and_saveexec_b64 s[6:7], s[0:1]
	s_cbranch_execz .LBB4126_4
; %bb.1:
	s_mov_b64 s[10:11], exec
	v_mbcnt_lo_u32_b32 v1, s10, 0
	v_mbcnt_hi_u32_b32 v1, s11, v1
	v_cmp_eq_u32_e32 vcc, 0, v1
                                        ; implicit-def: $vgpr2
	s_and_saveexec_b64 s[8:9], vcc
	s_cbranch_execz .LBB4126_3
; %bb.2:
	s_load_dwordx2 s[12:13], s[4:5], 0x60
	s_bcnt1_i32_b64 s10, s[10:11]
	v_mov_b32_e32 v2, 0
	v_mov_b32_e32 v3, s10
	s_waitcnt lgkmcnt(0)
	global_atomic_add v2, v2, v3, s[12:13] glc
.LBB4126_3:
	s_or_b64 exec, exec, s[8:9]
	s_waitcnt vmcnt(0)
	v_readfirstlane_b32 s8, v2
	v_add_u32_e32 v1, s8, v1
	v_mov_b32_e32 v2, 0
	ds_write_b32 v2, v1
.LBB4126_4:
	s_or_b64 exec, exec, s[6:7]
	v_mov_b32_e32 v3, 0
	s_load_dwordx4 s[8:11], s[4:5], 0x0
	s_load_dword s6, s[4:5], 0x38
	s_load_dwordx8 s[12:19], s[4:5], 0x40
	s_waitcnt lgkmcnt(0)
	; wave barrier
	s_waitcnt lgkmcnt(0)
	ds_read_b32 v1, v3
	s_lshl_b64 s[4:5], s[10:11], 1
	s_add_u32 s29, s8, s4
	s_movk_i32 s4, 0x600
	s_addc_u32 s30, s9, s5
	s_waitcnt lgkmcnt(0)
	v_mul_lo_u32 v2, v1, s4
	s_add_i32 s4, s6, -1
	s_mul_i32 s5, s4, 0x600
	s_sub_u32 s26, s2, s5
	v_readfirstlane_b32 s31, v1
	s_subb_u32 s27, s3, 0
	v_lshlrev_b64 v[2:3], 1, v[2:3]
	s_cmp_lg_u32 s31, s4
	v_mov_b32_e32 v1, s30
	v_add_co_u32_e32 v2, vcc, s29, v2
	s_cselect_b64 s[20:21], -1, 0
	v_addc_co_u32_e32 v3, vcc, v1, v3, vcc
	s_mov_b64 s[2:3], -1
	s_and_b64 vcc, exec, s[20:21]
	v_lshlrev_b32_e32 v1, 1, v0
	s_waitcnt lgkmcnt(0)
	; wave barrier
	s_cbranch_vccz .LBB4126_6
; %bb.5:
	v_add_co_u32_e32 v4, vcc, v2, v1
	v_addc_co_u32_e32 v5, vcc, 0, v3, vcc
	flat_load_ushort v6, v[4:5]
	flat_load_ushort v7, v[4:5] offset:128
	flat_load_ushort v8, v[4:5] offset:256
	;; [unrolled: 1-line block ×23, first 2 shown]
	s_mov_b64 s[2:3], 0
	s_waitcnt vmcnt(0) lgkmcnt(0)
	ds_write_b16 v1, v6
	ds_write_b16 v1, v7 offset:128
	ds_write_b16 v1, v8 offset:256
	ds_write_b16 v1, v9 offset:384
	ds_write_b16 v1, v10 offset:512
	ds_write_b16 v1, v11 offset:640
	ds_write_b16 v1, v12 offset:768
	ds_write_b16 v1, v13 offset:896
	ds_write_b16 v1, v14 offset:1024
	ds_write_b16 v1, v15 offset:1152
	ds_write_b16 v1, v16 offset:1280
	ds_write_b16 v1, v17 offset:1408
	ds_write_b16 v1, v18 offset:1536
	ds_write_b16 v1, v19 offset:1664
	ds_write_b16 v1, v20 offset:1792
	ds_write_b16 v1, v21 offset:1920
	ds_write_b16 v1, v22 offset:2048
	ds_write_b16 v1, v23 offset:2176
	ds_write_b16 v1, v24 offset:2304
	ds_write_b16 v1, v25 offset:2432
	ds_write_b16 v1, v26 offset:2560
	ds_write_b16 v1, v27 offset:2688
	ds_write_b16 v1, v28 offset:2816
	ds_write_b16 v1, v29 offset:2944
	s_waitcnt lgkmcnt(0)
	; wave barrier
.LBB4126_6:
	s_andn2_b64 vcc, exec, s[2:3]
	s_cbranch_vccnz .LBB4126_56
; %bb.7:
	flat_load_ushort v4, v[2:3]
	v_cmp_gt_u32_e32 vcc, s26, v0
	s_waitcnt vmcnt(0) lgkmcnt(0)
	v_mov_b32_e32 v5, v4
	s_and_saveexec_b64 s[2:3], vcc
	s_cbranch_execz .LBB4126_9
; %bb.8:
	v_add_co_u32_e32 v6, vcc, v2, v1
	v_addc_co_u32_e32 v7, vcc, 0, v3, vcc
	flat_load_ushort v5, v[6:7]
.LBB4126_9:
	s_or_b64 exec, exec, s[2:3]
	v_or_b32_e32 v6, 64, v0
	v_cmp_gt_u32_e32 vcc, s26, v6
	v_mov_b32_e32 v6, v4
	s_and_saveexec_b64 s[2:3], vcc
	s_cbranch_execz .LBB4126_11
; %bb.10:
	v_add_co_u32_e32 v6, vcc, v2, v1
	v_addc_co_u32_e32 v7, vcc, 0, v3, vcc
	flat_load_ushort v6, v[6:7] offset:128
.LBB4126_11:
	s_or_b64 exec, exec, s[2:3]
	v_or_b32_e32 v7, 0x80, v0
	v_cmp_gt_u32_e32 vcc, s26, v7
	v_mov_b32_e32 v7, v4
	s_and_saveexec_b64 s[2:3], vcc
	s_cbranch_execz .LBB4126_13
; %bb.12:
	v_add_co_u32_e32 v8, vcc, v2, v1
	v_addc_co_u32_e32 v9, vcc, 0, v3, vcc
	flat_load_ushort v7, v[8:9] offset:256
.LBB4126_13:
	;; [unrolled: 11-line block ×22, first 2 shown]
	s_or_b64 exec, exec, s[2:3]
	v_or_b32_e32 v28, 0x5c0, v0
	v_cmp_gt_u32_e32 vcc, s26, v28
	s_and_saveexec_b64 s[2:3], vcc
	s_cbranch_execz .LBB4126_55
; %bb.54:
	v_add_co_u32_e32 v2, vcc, v2, v1
	v_addc_co_u32_e32 v3, vcc, 0, v3, vcc
	flat_load_ushort v4, v[2:3] offset:2944
.LBB4126_55:
	s_or_b64 exec, exec, s[2:3]
	s_waitcnt vmcnt(0) lgkmcnt(0)
	ds_write_b16 v1, v5
	ds_write_b16 v1, v6 offset:128
	ds_write_b16 v1, v7 offset:256
	;; [unrolled: 1-line block ×23, first 2 shown]
	s_waitcnt lgkmcnt(0)
	; wave barrier
.LBB4126_56:
	v_mul_u32_u24_e32 v20, 24, v0
	v_lshlrev_b32_e32 v21, 1, v20
	s_waitcnt lgkmcnt(0)
	ds_read_b128 v[10:13], v21
	ds_read_b128 v[6:9], v21 offset:16
	ds_read_b128 v[2:5], v21 offset:32
	s_cmp_lg_u32 s31, 0
	v_mbcnt_lo_u32_b32 v32, -1, 0
	s_waitcnt lgkmcnt(2)
	v_lshrrev_b32_e32 v30, 16, v11
	v_max_i16_sdwa v14, v10, v10 dst_sel:DWORD dst_unused:UNUSED_PAD src0_sel:DWORD src1_sel:WORD_1
	v_lshrrev_b32_e32 v29, 16, v12
	v_lshrrev_b32_e32 v28, 16, v13
	s_waitcnt lgkmcnt(1)
	v_lshrrev_b32_e32 v27, 16, v6
	v_lshrrev_b32_e32 v26, 16, v7
	;; [unrolled: 1-line block ×4, first 2 shown]
	s_waitcnt lgkmcnt(0)
	v_lshrrev_b32_e32 v23, 16, v2
	v_lshrrev_b32_e32 v22, 16, v3
	;; [unrolled: 1-line block ×4, first 2 shown]
	v_max3_i16 v33, v14, v11, v30
	v_cmp_eq_u32_e32 vcc, 63, v0
	s_waitcnt lgkmcnt(0)
	; wave barrier
	s_cbranch_scc0 .LBB4126_79
; %bb.57:
	v_max3_i16 v14, v33, v12, v29
	v_max3_i16 v14, v14, v13, v28
	;; [unrolled: 1-line block ×10, first 2 shown]
	v_mbcnt_hi_u32_b32 v15, -1, v32
	v_and_b32_e32 v17, 0xffff, v14
	v_and_b32_e32 v16, 15, v15
	v_cmp_eq_u32_e64 s[2:3], 0, v16
	v_mov_b32_dpp v17, v17 row_shr:1 row_mask:0xf bank_mask:0xf
	v_max_i16_e32 v17, v17, v14
	v_cndmask_b32_e64 v14, v17, v14, s[2:3]
	v_and_b32_e32 v17, 0xffff, v14
	v_cmp_lt_u32_e64 s[2:3], 1, v16
	s_nop 0
	v_mov_b32_dpp v17, v17 row_shr:2 row_mask:0xf bank_mask:0xf
	v_max_i16_e32 v17, v17, v14
	v_cndmask_b32_e64 v14, v14, v17, s[2:3]
	v_and_b32_e32 v17, 0xffff, v14
	v_cmp_lt_u32_e64 s[2:3], 3, v16
	s_nop 0
	;; [unrolled: 6-line block ×3, first 2 shown]
	v_mov_b32_dpp v17, v17 row_shr:8 row_mask:0xf bank_mask:0xf
	v_max_i16_e32 v17, v17, v14
	v_cndmask_b32_e64 v14, v14, v17, s[2:3]
	v_and_b32_e32 v16, 0xffff, v14
	v_and_b32_e32 v17, 16, v15
	v_cmp_eq_u32_e64 s[2:3], 0, v17
	v_mov_b32_dpp v16, v16 row_bcast:15 row_mask:0xf bank_mask:0xf
	v_max_i16_e32 v16, v16, v14
	v_cndmask_b32_e64 v14, v16, v14, s[2:3]
	v_and_b32_e32 v16, 0xffff, v14
	v_cmp_lt_u32_e64 s[2:3], 31, v15
	s_nop 0
	v_mov_b32_dpp v16, v16 row_bcast:31 row_mask:0xf bank_mask:0xf
	v_max_i16_e32 v16, v16, v14
	v_cndmask_b32_e64 v14, v14, v16, s[2:3]
	s_and_saveexec_b64 s[2:3], vcc
	s_cbranch_execz .LBB4126_59
; %bb.58:
	v_mov_b32_e32 v16, 0
	ds_write_b16 v16, v14
.LBB4126_59:
	s_or_b64 exec, exec, s[2:3]
	v_add_u32_e32 v16, -1, v15
	v_and_b32_e32 v17, 64, v15
	v_cmp_lt_i32_e32 vcc, v16, v17
	v_cndmask_b32_e32 v16, v16, v15, vcc
	v_and_b32_e32 v14, 0xffff, v14
	v_lshlrev_b32_e32 v16, 2, v16
	ds_bpermute_b32 v34, v16, v14
	v_cmp_gt_u32_e32 vcc, 64, v0
	s_waitcnt lgkmcnt(0)
	; wave barrier
	s_waitcnt lgkmcnt(0)
	s_and_saveexec_b64 s[24:25], vcc
	s_cbranch_execz .LBB4126_78
; %bb.60:
	v_mov_b32_e32 v17, 0
	ds_read_u16 v35, v17
	s_mov_b32 s7, 0
	v_cmp_eq_u32_e64 s[2:3], 0, v15
	s_and_saveexec_b64 s[4:5], s[2:3]
	s_cbranch_execz .LBB4126_62
; %bb.61:
	s_add_i32 s6, s31, 64
	s_lshl_b64 s[6:7], s[6:7], 2
	s_add_u32 s6, s22, s6
	s_waitcnt lgkmcnt(0)
	v_or_b32_e32 v14, 0x10000, v35
	s_addc_u32 s7, s23, s7
	global_store_dword v17, v14, s[6:7]
.LBB4126_62:
	s_or_b64 exec, exec, s[4:5]
	v_xad_u32 v14, v15, -1, s31
	v_add_u32_e32 v16, 64, v14
	v_lshlrev_b64 v[18:19], 2, v[16:17]
	v_mov_b32_e32 v16, s23
	v_add_co_u32_e32 v18, vcc, s22, v18
	v_addc_co_u32_e32 v19, vcc, v16, v19, vcc
	global_load_dword v48, v[18:19], off glc
	s_waitcnt vmcnt(0)
	v_lshrrev_b32_e32 v37, 16, v48
	v_cmp_eq_u16_sdwa s[6:7], v37, v17 src0_sel:BYTE_0 src1_sel:DWORD
	s_and_saveexec_b64 s[4:5], s[6:7]
	s_cbranch_execz .LBB4126_66
; %bb.63:
	s_mov_b64 s[6:7], 0
	v_mov_b32_e32 v16, 0
.LBB4126_64:                            ; =>This Inner Loop Header: Depth=1
	global_load_dword v48, v[18:19], off glc
	s_waitcnt vmcnt(0)
	v_lshrrev_b32_e32 v37, 16, v48
	v_cmp_ne_u16_sdwa s[8:9], v37, v16 src0_sel:BYTE_0 src1_sel:DWORD
	s_or_b64 s[6:7], s[8:9], s[6:7]
	s_andn2_b64 exec, exec, s[6:7]
	s_cbranch_execnz .LBB4126_64
; %bb.65:
	s_or_b64 exec, exec, s[6:7]
.LBB4126_66:
	s_or_b64 exec, exec, s[4:5]
	v_and_b32_e32 v38, 63, v15
	v_cmp_ne_u32_e32 vcc, 63, v38
	v_mov_b32_e32 v36, 2
	v_addc_co_u32_e32 v39, vcc, 0, v15, vcc
	v_cmp_eq_u16_sdwa s[4:5], v37, v36 src0_sel:BYTE_0 src1_sel:DWORD
	v_lshlrev_b64 v[16:17], v15, -1
	v_and_b32_e32 v40, 0xffff, v48
	v_lshlrev_b32_e32 v39, 2, v39
	v_and_b32_e32 v18, s5, v17
	ds_bpermute_b32 v41, v39, v40
	v_or_b32_e32 v18, 0x80000000, v18
	v_and_b32_e32 v19, s4, v16
	v_ffbl_b32_e32 v18, v18
	v_add_u32_e32 v18, 32, v18
	v_ffbl_b32_e32 v19, v19
	v_min_u32_e32 v18, v19, v18
	s_waitcnt lgkmcnt(0)
	v_max_i16_e32 v19, v41, v48
	v_cmp_lt_u32_e32 vcc, v38, v18
	v_cmp_gt_u32_e64 s[4:5], 62, v38
	v_cndmask_b32_e32 v42, v40, v19, vcc
	v_cndmask_b32_e64 v40, 0, 1, s[4:5]
	v_lshlrev_b32_e32 v40, 1, v40
	v_add_lshl_u32 v40, v40, v15, 2
	ds_bpermute_b32 v43, v40, v42
	v_cndmask_b32_e32 v19, v48, v19, vcc
	v_add_u32_e32 v41, 2, v38
	v_cmp_gt_u32_e64 s[4:5], v41, v18
	v_cmp_gt_u32_e64 s[6:7], 60, v38
	s_waitcnt lgkmcnt(0)
	v_max_i16_e32 v43, v43, v19
	v_cndmask_b32_e64 v44, v43, v42, s[4:5]
	v_cndmask_b32_e64 v42, 0, 1, s[6:7]
	v_lshlrev_b32_e32 v42, 2, v42
	v_add_lshl_u32 v42, v42, v15, 2
	ds_bpermute_b32 v45, v42, v44
	v_cndmask_b32_e64 v19, v43, v19, s[4:5]
	v_add_u32_e32 v43, 4, v38
	v_cmp_gt_u32_e64 s[4:5], v43, v18
	v_cmp_gt_u32_e64 s[6:7], 56, v38
	s_waitcnt lgkmcnt(0)
	v_max_i16_e32 v51, v45, v19
	v_cndmask_b32_e64 v46, v51, v44, s[4:5]
	v_cndmask_b32_e64 v44, 0, 1, s[6:7]
	v_lshlrev_b32_e32 v44, 3, v44
	v_add_lshl_u32 v44, v44, v15, 2
	ds_bpermute_b32 v47, v44, v46
	v_cndmask_b32_e64 v49, v51, v19, s[4:5]
	v_add_u32_e32 v45, 8, v38
	v_cmp_gt_u32_e64 s[6:7], v45, v18
	v_cmp_gt_u32_e64 s[8:9], 48, v38
	s_waitcnt lgkmcnt(0)
	v_max_i16_e32 v52, v47, v49
	v_cndmask_b32_e64 v50, v52, v46, s[6:7]
	v_cndmask_b32_e64 v46, 0, 1, s[8:9]
	v_lshlrev_b32_e32 v46, 4, v46
	v_add_lshl_u32 v46, v46, v15, 2
	ds_bpermute_b32 v53, v46, v50
	v_cmp_gt_u32_e64 s[10:11], 32, v38
	v_cndmask_b32_e64 v54, v52, v49, s[6:7]
	v_add_u32_e32 v47, 16, v38
	v_cndmask_b32_e64 v49, 0, 1, s[10:11]
	s_waitcnt lgkmcnt(0)
	v_max_i16_e32 v53, v53, v54
	v_cmp_gt_u32_e64 s[8:9], v47, v18
	v_lshlrev_b32_e32 v49, 5, v49
	v_cndmask_b32_e64 v50, v53, v50, s[8:9]
	v_add_lshl_u32 v49, v49, v15, 2
	ds_bpermute_b32 v15, v49, v50
	v_cndmask_b32_e32 v19, v48, v19, vcc
	v_cndmask_b32_e64 v19, v51, v19, s[4:5]
	v_add_u32_e32 v50, 32, v38
	v_cndmask_b32_e64 v54, v53, v54, s[8:9]
	v_cndmask_b32_e64 v19, v52, v19, s[6:7]
	s_waitcnt lgkmcnt(0)
	v_max_i16_e32 v15, v15, v54
	v_cndmask_b32_e64 v19, v53, v19, s[8:9]
	v_cmp_gt_u32_e32 vcc, v50, v18
	v_cndmask_b32_e32 v18, v15, v19, vcc
	v_mov_b32_e32 v15, 0
	s_branch .LBB4126_68
.LBB4126_67:                            ;   in Loop: Header=BB4126_68 Depth=1
	s_or_b64 exec, exec, s[4:5]
	v_cmp_eq_u16_sdwa s[4:5], v37, v36 src0_sel:BYTE_0 src1_sel:DWORD
	v_and_b32_e32 v52, 0xffff, v51
	v_and_b32_e32 v18, s5, v17
	ds_bpermute_b32 v53, v39, v52
	v_or_b32_e32 v18, 0x80000000, v18
	v_and_b32_e32 v19, s4, v16
	v_ffbl_b32_e32 v18, v18
	v_add_u32_e32 v18, 32, v18
	v_ffbl_b32_e32 v19, v19
	v_min_u32_e32 v18, v19, v18
	s_waitcnt lgkmcnt(0)
	v_max_i16_e32 v19, v53, v51
	v_cmp_lt_u32_e32 vcc, v38, v18
	v_cndmask_b32_e32 v52, v52, v19, vcc
	ds_bpermute_b32 v53, v40, v52
	v_cndmask_b32_e32 v19, v51, v19, vcc
	v_cmp_gt_u32_e64 s[4:5], v41, v18
	v_cmp_gt_u32_e64 s[6:7], v45, v18
	v_subrev_u32_e32 v14, 64, v14
	s_waitcnt lgkmcnt(0)
	v_max_i16_e32 v53, v53, v19
	v_cndmask_b32_e64 v52, v53, v52, s[4:5]
	ds_bpermute_b32 v54, v42, v52
	v_cndmask_b32_e64 v19, v53, v19, s[4:5]
	v_cmp_gt_u32_e64 s[4:5], v43, v18
	s_waitcnt lgkmcnt(0)
	v_max_i16_e32 v53, v54, v19
	v_cndmask_b32_e64 v52, v53, v52, s[4:5]
	ds_bpermute_b32 v54, v44, v52
	v_cndmask_b32_e64 v55, v53, v19, s[4:5]
	v_cndmask_b32_e32 v19, v51, v19, vcc
	v_cmp_gt_u32_e32 vcc, v47, v18
	v_cndmask_b32_e64 v19, v53, v19, s[4:5]
	s_waitcnt lgkmcnt(0)
	v_max_i16_e32 v54, v54, v55
	v_cndmask_b32_e64 v52, v54, v52, s[6:7]
	ds_bpermute_b32 v56, v46, v52
	v_cndmask_b32_e64 v51, v54, v55, s[6:7]
	v_cndmask_b32_e64 v19, v54, v19, s[6:7]
	s_waitcnt lgkmcnt(0)
	v_max_i16_e32 v55, v56, v51
	v_cndmask_b32_e32 v52, v55, v52, vcc
	ds_bpermute_b32 v52, v49, v52
	v_cndmask_b32_e32 v51, v55, v51, vcc
	v_cndmask_b32_e32 v19, v55, v19, vcc
	v_cmp_gt_u32_e32 vcc, v50, v18
	s_waitcnt lgkmcnt(0)
	v_max_i16_e32 v51, v52, v51
	v_cndmask_b32_e32 v18, v51, v19, vcc
	v_max_i16_e32 v18, v18, v48
.LBB4126_68:                            ; =>This Loop Header: Depth=1
                                        ;     Child Loop BB4126_71 Depth 2
	v_cmp_ne_u16_sdwa s[4:5], v37, v36 src0_sel:BYTE_0 src1_sel:DWORD
	v_cndmask_b32_e64 v19, 0, 1, s[4:5]
	;;#ASMSTART
	;;#ASMEND
	v_cmp_ne_u32_e32 vcc, 0, v19
	s_cmp_lg_u64 vcc, exec
	v_mov_b32_e32 v48, v18
	s_cbranch_scc1 .LBB4126_73
; %bb.69:                               ;   in Loop: Header=BB4126_68 Depth=1
	v_lshlrev_b64 v[18:19], 2, v[14:15]
	v_mov_b32_e32 v37, s23
	v_add_co_u32_e32 v18, vcc, s22, v18
	v_addc_co_u32_e32 v19, vcc, v37, v19, vcc
	global_load_dword v51, v[18:19], off glc
	s_waitcnt vmcnt(0)
	v_lshrrev_b32_e32 v37, 16, v51
	v_cmp_eq_u16_sdwa s[6:7], v37, v15 src0_sel:BYTE_0 src1_sel:DWORD
	s_and_saveexec_b64 s[4:5], s[6:7]
	s_cbranch_execz .LBB4126_67
; %bb.70:                               ;   in Loop: Header=BB4126_68 Depth=1
	s_mov_b64 s[6:7], 0
.LBB4126_71:                            ;   Parent Loop BB4126_68 Depth=1
                                        ; =>  This Inner Loop Header: Depth=2
	global_load_dword v51, v[18:19], off glc
	s_waitcnt vmcnt(0)
	v_lshrrev_b32_e32 v37, 16, v51
	v_cmp_ne_u16_sdwa s[8:9], v37, v15 src0_sel:BYTE_0 src1_sel:DWORD
	s_or_b64 s[6:7], s[8:9], s[6:7]
	s_andn2_b64 exec, exec, s[6:7]
	s_cbranch_execnz .LBB4126_71
; %bb.72:                               ;   in Loop: Header=BB4126_68 Depth=1
	s_or_b64 exec, exec, s[6:7]
	s_branch .LBB4126_67
.LBB4126_73:                            ;   in Loop: Header=BB4126_68 Depth=1
                                        ; implicit-def: $vgpr18
                                        ; implicit-def: $vgpr37
	s_cbranch_execz .LBB4126_68
; %bb.74:
	s_and_saveexec_b64 s[4:5], s[2:3]
	s_cbranch_execz .LBB4126_76
; %bb.75:
	s_add_i32 s2, s31, 64
	s_mov_b32 s3, 0
	s_lshl_b64 s[2:3], s[2:3], 2
	v_max_i16_e32 v14, v48, v35
	s_add_u32 s2, s22, s2
	v_or_b32_e32 v14, 0x20000, v14
	s_addc_u32 s3, s23, s3
	v_mov_b32_e32 v15, 0
	global_store_dword v15, v14, s[2:3]
.LBB4126_76:
	s_or_b64 exec, exec, s[4:5]
	s_and_b64 exec, exec, s[0:1]
	s_cbranch_execz .LBB4126_78
; %bb.77:
	v_mov_b32_e32 v14, 0
	ds_write_b16 v14, v48
.LBB4126_78:
	s_or_b64 exec, exec, s[24:25]
	v_mov_b32_e32 v14, 0
	s_waitcnt lgkmcnt(0)
	; wave barrier
	s_waitcnt lgkmcnt(0)
	ds_read_u16 v14, v14
	s_waitcnt lgkmcnt(0)
	v_max_i16_e32 v15, v14, v34
	v_cndmask_b32_e64 v15, v15, v14, s[0:1]
	v_max_i16_e32 v14, v15, v10
	v_max_i16_sdwa v16, v14, v10 dst_sel:DWORD dst_unused:UNUSED_PAD src0_sel:DWORD src1_sel:WORD_1
	v_max_i16_e32 v17, v16, v11
	v_max_i16_e32 v18, v17, v30
	v_max_i16_e32 v34, v18, v12
	v_max_i16_e32 v36, v34, v29
	v_max_i16_e32 v38, v36, v13
	v_max_i16_e32 v19, v38, v28
	v_max_i16_e32 v35, v19, v6
	v_max_i16_e32 v37, v35, v27
	v_max_i16_e32 v39, v37, v7
	v_max_i16_e32 v40, v39, v26
	v_max_i16_e32 v42, v40, v8
	v_max_i16_e32 v44, v42, v25
	v_max_i16_e32 v46, v44, v9
	v_max_i16_e32 v41, v46, v24
	v_max_i16_e32 v43, v41, v2
	v_max_i16_e32 v45, v43, v23
	v_max_i16_e32 v47, v45, v3
	v_max_i16_e32 v48, v47, v22
	v_max_i16_e32 v49, v48, v4
	v_max_i16_e32 v50, v49, v1
	v_max_i16_e32 v51, v50, v5
	s_branch .LBB4126_87
.LBB4126_79:
                                        ; implicit-def: $vgpr15
                                        ; implicit-def: $vgpr14
                                        ; implicit-def: $vgpr16
                                        ; implicit-def: $vgpr17
                                        ; implicit-def: $vgpr18
                                        ; implicit-def: $vgpr34
                                        ; implicit-def: $vgpr36
                                        ; implicit-def: $vgpr38
                                        ; implicit-def: $vgpr19
                                        ; implicit-def: $vgpr35
                                        ; implicit-def: $vgpr37
                                        ; implicit-def: $vgpr39
                                        ; implicit-def: $vgpr40
                                        ; implicit-def: $vgpr42
                                        ; implicit-def: $vgpr44
                                        ; implicit-def: $vgpr46
                                        ; implicit-def: $vgpr41
                                        ; implicit-def: $vgpr43
                                        ; implicit-def: $vgpr45
                                        ; implicit-def: $vgpr47
                                        ; implicit-def: $vgpr48
                                        ; implicit-def: $vgpr49
                                        ; implicit-def: $vgpr50
                                        ; implicit-def: $vgpr51
	s_cbranch_execz .LBB4126_87
; %bb.80:
	s_cmp_eq_u64 s[16:17], 0
	v_mov_b32_e32 v51, s28
	s_cbranch_scc1 .LBB4126_82
; %bb.81:
	v_mov_b32_e32 v14, 0
	global_load_ushort v16, v14, s[12:13]
	v_mov_b32_e32 v15, s30
	v_add_co_u32_e64 v14, vcc, -2, s29
	v_addc_co_u32_e32 v15, vcc, -1, v15, vcc
	flat_load_ushort v14, v[14:15]
	s_waitcnt vmcnt(0) lgkmcnt(0)
	v_max_i16_e32 v51, v16, v14
.LBB4126_82:
	v_max3_i16 v14, v33, v12, v29
	v_max3_i16 v14, v14, v13, v28
	;; [unrolled: 1-line block ×10, first 2 shown]
	v_mbcnt_hi_u32_b32 v14, -1, v32
	v_and_b32_e32 v17, 0xffff, v15
	v_and_b32_e32 v16, 15, v14
	v_cmp_eq_u32_e32 vcc, 0, v16
	v_mov_b32_dpp v17, v17 row_shr:1 row_mask:0xf bank_mask:0xf
	v_max_i16_e32 v17, v17, v15
	v_cndmask_b32_e32 v15, v17, v15, vcc
	v_and_b32_e32 v17, 0xffff, v15
	v_cmp_lt_u32_e32 vcc, 1, v16
	s_nop 0
	v_mov_b32_dpp v17, v17 row_shr:2 row_mask:0xf bank_mask:0xf
	v_max_i16_e32 v17, v17, v15
	v_cndmask_b32_e32 v15, v15, v17, vcc
	v_and_b32_e32 v17, 0xffff, v15
	v_cmp_lt_u32_e32 vcc, 3, v16
	s_nop 0
	;; [unrolled: 6-line block ×3, first 2 shown]
	v_mov_b32_dpp v17, v17 row_shr:8 row_mask:0xf bank_mask:0xf
	v_max_i16_e32 v17, v17, v15
	v_cndmask_b32_e32 v15, v15, v17, vcc
	v_and_b32_e32 v16, 0xffff, v15
	v_and_b32_e32 v17, 16, v14
	v_cmp_eq_u32_e32 vcc, 0, v17
	v_mov_b32_dpp v16, v16 row_bcast:15 row_mask:0xf bank_mask:0xf
	v_max_i16_e32 v16, v16, v15
	v_cndmask_b32_e32 v15, v16, v15, vcc
	v_and_b32_e32 v16, 0xffff, v15
	v_cmp_lt_u32_e32 vcc, 31, v14
	s_nop 0
	v_mov_b32_dpp v16, v16 row_bcast:31 row_mask:0xf bank_mask:0xf
	v_max_i16_e32 v16, v16, v15
	v_cndmask_b32_e32 v15, v15, v16, vcc
	v_cmp_eq_u32_e32 vcc, 63, v0
	s_and_saveexec_b64 s[2:3], vcc
	s_cbranch_execz .LBB4126_84
; %bb.83:
	v_mov_b32_e32 v16, 0
	ds_write_b16 v16, v15
.LBB4126_84:
	s_or_b64 exec, exec, s[2:3]
	v_add_u32_e32 v16, -1, v14
	v_and_b32_e32 v17, 64, v14
	v_cmp_lt_i32_e32 vcc, v16, v17
	v_cndmask_b32_e32 v16, v16, v14, vcc
	v_max_i16_e32 v15, v51, v15
	v_lshlrev_b32_e32 v16, 2, v16
	ds_bpermute_b32 v15, v16, v15
	v_cmp_eq_u32_e32 vcc, 0, v14
	s_or_b64 vcc, s[0:1], vcc
	s_waitcnt lgkmcnt(0)
	; wave barrier
	s_waitcnt lgkmcnt(0)
	v_cndmask_b32_e32 v15, v15, v51, vcc
	v_max_i16_e32 v14, v15, v10
	v_max_i16_sdwa v16, v14, v10 dst_sel:DWORD dst_unused:UNUSED_PAD src0_sel:DWORD src1_sel:WORD_1
	v_max_i16_e32 v17, v16, v11
	v_max_i16_e32 v18, v17, v30
	;; [unrolled: 1-line block ×20, first 2 shown]
	s_and_saveexec_b64 s[2:3], s[0:1]
	s_cbranch_execz .LBB4126_86
; %bb.85:
	v_mov_b32_e32 v1, 0
	ds_read_u16 v2, v1
	v_mov_b32_e32 v15, v51
	s_waitcnt lgkmcnt(0)
	v_max_i16_e32 v2, v51, v2
	v_or_b32_e32 v2, 0x20000, v2
	global_store_dword v1, v2, s[22:23] offset:256
.LBB4126_86:
	s_or_b64 exec, exec, s[2:3]
	v_max_i16_e32 v51, v50, v5
.LBB4126_87:
	s_mov_b32 s0, 0x5040100
	v_perm_b32 v5, v38, v36, s0
	v_perm_b32 v4, v34, v18, s0
	;; [unrolled: 1-line block ×4, first 2 shown]
	s_waitcnt lgkmcnt(0)
	; wave barrier
	ds_write_b128 v21, v[2:5]
	v_perm_b32 v5, v46, v44, s0
	v_perm_b32 v4, v42, v40, s0
	;; [unrolled: 1-line block ×4, first 2 shown]
	ds_write_b128 v21, v[2:5] offset:16
	v_perm_b32 v5, v51, v50, s0
	v_perm_b32 v4, v49, v48, s0
	;; [unrolled: 1-line block ×4, first 2 shown]
	s_mov_b64 s[0:1], -1
	s_and_b64 vcc, exec, s[20:21]
	ds_write_b128 v21, v[2:5] offset:32
	s_waitcnt lgkmcnt(0)
	s_cbranch_vccz .LBB4126_89
; %bb.88:
	; wave barrier
	s_mov_b64 s[0:1], 0
.LBB4126_89:
	s_andn2_b64 vcc, exec, s[0:1]
	s_cbranch_vccnz .LBB4126_98
; %bb.90:
	v_cmp_lt_u64_e64 s[0:1], s[18:19], 2
	s_and_b64 vcc, exec, s[0:1]
	; wave barrier
	s_cbranch_vccnz .LBB4126_98
; %bb.91:
	s_add_u32 s0, s26, -1
	s_addc_u32 s1, s27, -1
	s_add_u32 s2, 0, 0xaaaa0000
	s_addc_u32 s3, 0, 42
	s_add_i32 s3, s3, 0xaaaaa80
	s_mul_hi_u32 s7, s2, 0xffffffe8
	s_sub_i32 s7, s7, s2
	s_mul_i32 s8, s3, 0xffffffe8
	s_mul_i32 s4, s2, 0xffffffe8
	s_add_i32 s7, s7, s8
	s_mul_hi_u32 s5, s3, s4
	s_mul_i32 s6, s3, s4
	s_mul_i32 s9, s2, s7
	s_mul_hi_u32 s4, s2, s4
	s_mul_hi_u32 s8, s2, s7
	s_add_u32 s4, s4, s9
	s_addc_u32 s8, 0, s8
	s_add_u32 s4, s4, s6
	s_mul_hi_u32 s9, s3, s7
	s_addc_u32 s4, s8, s5
	s_addc_u32 s5, s9, 0
	s_mul_i32 s6, s3, s7
	s_add_u32 s4, s4, s6
	v_mov_b32_e32 v2, s4
	s_addc_u32 s5, 0, s5
	v_add_co_u32_e32 v2, vcc, s2, v2
	s_cmp_lg_u64 vcc, 0
	s_addc_u32 s2, s3, s5
	v_readfirstlane_b32 s5, v2
	s_mul_i32 s4, s0, s2
	s_mul_hi_u32 s6, s0, s5
	s_mul_hi_u32 s3, s0, s2
	s_add_u32 s4, s6, s4
	s_addc_u32 s3, 0, s3
	s_mul_hi_u32 s7, s1, s5
	s_mul_i32 s5, s1, s5
	s_add_u32 s4, s4, s5
	s_mul_hi_u32 s6, s1, s2
	s_addc_u32 s3, s3, s7
	s_addc_u32 s4, s6, 0
	s_mul_i32 s2, s1, s2
	s_add_u32 s2, s3, s2
	s_addc_u32 s3, 0, s4
	s_add_u32 s4, s2, 1
	s_addc_u32 s5, s3, 0
	s_add_u32 s6, s2, 2
	s_mul_i32 s8, s3, 24
	s_mul_hi_u32 s9, s2, 24
	s_addc_u32 s7, s3, 0
	s_add_i32 s9, s9, s8
	s_mul_i32 s8, s2, 24
	v_mov_b32_e32 v2, s8
	v_sub_co_u32_e32 v2, vcc, s0, v2
	s_cmp_lg_u64 vcc, 0
	s_subb_u32 s8, s1, s9
	v_subrev_co_u32_e32 v3, vcc, 24, v2
	s_cmp_lg_u64 vcc, 0
	s_subb_u32 s9, s8, 0
	v_readfirstlane_b32 s10, v3
	s_cmp_gt_u32 s10, 23
	s_cselect_b32 s10, -1, 0
	s_cmp_eq_u32 s9, 0
	s_cselect_b32 s9, s10, -1
	s_cmp_lg_u32 s9, 0
	s_cselect_b32 s4, s6, s4
	v_readfirstlane_b32 s6, v2
	s_cselect_b32 s5, s7, s5
	s_cmp_gt_u32 s6, 23
	s_cselect_b32 s6, -1, 0
	s_cmp_eq_u32 s8, 0
	s_cselect_b32 s6, s6, -1
	s_cmp_lg_u32 s6, 0
	v_mov_b32_e32 v1, 0
	s_cselect_b32 s3, s5, s3
	s_cselect_b32 s2, s4, s2
	v_cmp_eq_u64_e32 vcc, s[2:3], v[0:1]
	s_and_saveexec_b64 s[2:3], vcc
	s_cbranch_execz .LBB4126_98
; %bb.92:
	s_movk_i32 s2, 0xffd2
	v_mad_i32_i24 v2, v0, s2, v21
	v_mul_hi_u32_u24_e32 v1, 24, v0
	v_mov_b32_e32 v3, s1
	v_sub_co_u32_e32 v0, vcc, s0, v20
	v_subb_co_u32_e32 v1, vcc, v3, v1, vcc
	v_cmp_lt_i64_e32 vcc, 11, v[0:1]
	s_mov_b64 s[0:1], 0
	s_mov_b64 s[8:9], 0
	s_mov_b64 s[6:7], 0
	s_mov_b64 s[4:5], 0
                                        ; implicit-def: $vgpr3
                                        ; implicit-def: $vgpr4
                                        ; implicit-def: $vgpr5
	s_and_saveexec_b64 s[2:3], vcc
	s_xor_b64 s[2:3], exec, s[2:3]
	s_cbranch_execnz .LBB4126_99
; %bb.93:
	s_andn2_saveexec_b64 s[2:3], s[2:3]
	s_cbranch_execnz .LBB4126_144
.LBB4126_94:
	s_or_b64 exec, exec, s[2:3]
	s_and_saveexec_b64 s[2:3], s[8:9]
	s_cbranch_execnz .LBB4126_161
.LBB4126_95:
	s_or_b64 exec, exec, s[2:3]
	s_and_saveexec_b64 s[2:3], s[6:7]
	s_cbranch_execnz .LBB4126_162
.LBB4126_96:
	s_or_b64 exec, exec, s[2:3]
	s_and_saveexec_b64 s[2:3], s[4:5]
	s_xor_b64 s[2:3], exec, s[2:3]
	s_cbranch_execnz .LBB4126_163
.LBB4126_97:
	s_or_b64 exec, exec, s[2:3]
	s_and_b64 exec, exec, s[0:1]
	s_cbranch_execnz .LBB4126_164
.LBB4126_98:
	s_endpgm
.LBB4126_99:
	v_cmp_lt_i64_e32 vcc, 17, v[0:1]
                                        ; implicit-def: $vgpr3
                                        ; implicit-def: $vgpr4
                                        ; implicit-def: $vgpr5
	s_and_saveexec_b64 s[10:11], vcc
	s_xor_b64 s[10:11], exec, s[10:11]
	s_cbranch_execz .LBB4126_121
; %bb.100:
	v_cmp_lt_i64_e32 vcc, 20, v[0:1]
                                        ; implicit-def: $vgpr3
                                        ; implicit-def: $vgpr4
	s_and_saveexec_b64 s[12:13], vcc
	s_xor_b64 s[12:13], exec, s[12:13]
	s_cbranch_execz .LBB4126_110
; %bb.101:
	v_cmp_lt_i64_e32 vcc, 21, v[0:1]
	s_mov_b64 s[16:17], 0
                                        ; implicit-def: $vgpr3
	s_and_saveexec_b64 s[4:5], vcc
	s_xor_b64 s[4:5], exec, s[4:5]
	s_cbranch_execz .LBB4126_107
; %bb.102:
	v_cmp_lt_i64_e32 vcc, 22, v[0:1]
	s_and_saveexec_b64 s[16:17], vcc
	s_xor_b64 s[16:17], exec, s[16:17]
	s_cbranch_execz .LBB4126_104
; %bb.103:
	ds_read_u16 v3, v2 offset:2944
	v_mov_b32_e32 v4, 0
	s_waitcnt lgkmcnt(0)
	global_store_short v4, v3, s[14:15]
.LBB4126_104:
	s_or_saveexec_b64 s[16:17], s[16:17]
	s_mov_b64 s[18:19], 0
                                        ; implicit-def: $vgpr3
	s_xor_b64 exec, exec, s[16:17]
	s_cbranch_execz .LBB4126_106
; %bb.105:
	ds_read_u16 v3, v2 offset:2816
	s_mov_b64 s[18:19], exec
.LBB4126_106:
	s_or_b64 exec, exec, s[16:17]
	s_and_b64 s[16:17], s[18:19], exec
.LBB4126_107:
	s_or_saveexec_b64 s[4:5], s[4:5]
                                        ; implicit-def: $vgpr4
	s_xor_b64 exec, exec, s[4:5]
	s_cbranch_execz .LBB4126_109
; %bb.108:
	ds_read_u16 v4, v2 offset:2688
	s_mov_b64 s[6:7], exec
                                        ; implicit-def: $vgpr3
.LBB4126_109:
	s_or_b64 exec, exec, s[4:5]
	s_and_b64 s[4:5], s[16:17], exec
	s_and_b64 s[6:7], s[6:7], exec
.LBB4126_110:
	s_or_saveexec_b64 s[12:13], s[12:13]
                                        ; implicit-def: $vgpr5
	s_xor_b64 exec, exec, s[12:13]
	s_cbranch_execz .LBB4126_120
; %bb.111:
	v_cmp_lt_i64_e32 vcc, 18, v[0:1]
	s_mov_b64 s[16:17], 0
                                        ; implicit-def: $vgpr5
	s_and_saveexec_b64 s[8:9], vcc
	s_xor_b64 s[8:9], exec, s[8:9]
	s_cbranch_execz .LBB4126_117
; %bb.112:
	v_cmp_lt_i64_e32 vcc, 19, v[0:1]
                                        ; implicit-def: $vgpr5
	s_and_saveexec_b64 s[18:19], vcc
	s_xor_b64 s[18:19], exec, s[18:19]
	s_cbranch_execz .LBB4126_114
; %bb.113:
	ds_read_u16 v5, v2 offset:2560
	s_mov_b64 s[16:17], exec
.LBB4126_114:
	s_andn2_saveexec_b64 s[18:19], s[18:19]
	s_cbranch_execz .LBB4126_116
; %bb.115:
	s_waitcnt lgkmcnt(0)
	ds_read_u16 v3, v2 offset:2432
	v_mov_b32_e32 v4, 0
                                        ; implicit-def: $vgpr5
	s_waitcnt lgkmcnt(0)
	global_store_short v4, v3, s[14:15]
.LBB4126_116:
	s_or_b64 exec, exec, s[18:19]
	s_and_b64 s[16:17], s[16:17], exec
.LBB4126_117:
	s_andn2_saveexec_b64 s[8:9], s[8:9]
	s_cbranch_execz .LBB4126_119
; %bb.118:
	s_waitcnt lgkmcnt(0)
	ds_read_u16 v3, v2 offset:2304
	v_mov_b32_e32 v4, 0
                                        ; implicit-def: $vgpr5
	s_waitcnt lgkmcnt(0)
	global_store_short v4, v3, s[14:15]
.LBB4126_119:
	s_or_b64 exec, exec, s[8:9]
	s_and_b64 s[8:9], s[16:17], exec
                                        ; implicit-def: $vgpr3
                                        ; implicit-def: $vgpr4
.LBB4126_120:
	s_or_b64 exec, exec, s[12:13]
	s_and_b64 s[4:5], s[4:5], exec
	s_and_b64 s[6:7], s[6:7], exec
	s_and_b64 s[8:9], s[8:9], exec
.LBB4126_121:
	s_andn2_saveexec_b64 s[10:11], s[10:11]
	s_cbranch_execz .LBB4126_143
; %bb.122:
	v_cmp_lt_i64_e32 vcc, 14, v[0:1]
	s_mov_b64 s[12:13], s[4:5]
                                        ; implicit-def: $vgpr3
	s_and_saveexec_b64 s[16:17], vcc
	s_xor_b64 s[16:17], exec, s[16:17]
	s_cbranch_execz .LBB4126_132
; %bb.123:
	v_cmp_lt_i64_e32 vcc, 15, v[0:1]
	s_and_saveexec_b64 s[12:13], vcc
	s_xor_b64 s[12:13], exec, s[12:13]
	s_cbranch_execz .LBB4126_129
; %bb.124:
	v_cmp_lt_i64_e32 vcc, 16, v[0:1]
	s_and_saveexec_b64 s[18:19], vcc
	s_xor_b64 s[18:19], exec, s[18:19]
	s_cbranch_execz .LBB4126_126
; %bb.125:
	s_waitcnt lgkmcnt(0)
	ds_read_u16 v3, v2 offset:2176
	v_mov_b32_e32 v4, 0
	s_waitcnt lgkmcnt(0)
	global_store_short v4, v3, s[14:15]
.LBB4126_126:
	s_andn2_saveexec_b64 s[18:19], s[18:19]
	s_cbranch_execz .LBB4126_128
; %bb.127:
	s_waitcnt lgkmcnt(0)
	ds_read_u16 v3, v2 offset:2048
	v_mov_b32_e32 v4, 0
	s_waitcnt lgkmcnt(0)
	global_store_short v4, v3, s[14:15]
.LBB4126_128:
	s_or_b64 exec, exec, s[18:19]
.LBB4126_129:
	s_or_saveexec_b64 s[12:13], s[12:13]
	s_mov_b64 s[18:19], s[4:5]
                                        ; implicit-def: $vgpr3
	s_xor_b64 exec, exec, s[12:13]
	s_cbranch_execz .LBB4126_131
; %bb.130:
	s_waitcnt lgkmcnt(0)
	ds_read_u16 v3, v2 offset:1920
	s_or_b64 s[18:19], s[4:5], exec
.LBB4126_131:
	s_or_b64 exec, exec, s[12:13]
	s_andn2_b64 s[12:13], s[4:5], exec
	s_and_b64 s[18:19], s[18:19], exec
	s_or_b64 s[12:13], s[12:13], s[18:19]
.LBB4126_132:
	s_or_saveexec_b64 s[16:17], s[16:17]
	s_mov_b64 s[18:19], s[6:7]
                                        ; implicit-def: $vgpr4
	s_xor_b64 exec, exec, s[16:17]
	s_cbranch_execz .LBB4126_142
; %bb.133:
	v_cmp_lt_i64_e32 vcc, 12, v[0:1]
	s_mov_b64 s[20:21], s[6:7]
	s_mov_b64 s[22:23], s[12:13]
                                        ; implicit-def: $vgpr3
                                        ; implicit-def: $vgpr4
	s_and_saveexec_b64 s[18:19], vcc
	s_xor_b64 s[18:19], exec, s[18:19]
	s_cbranch_execz .LBB4126_139
; %bb.134:
	v_cmp_lt_i64_e32 vcc, 13, v[0:1]
	s_mov_b64 s[20:21], s[12:13]
                                        ; implicit-def: $vgpr3
	s_and_saveexec_b64 s[22:23], vcc
	s_xor_b64 s[22:23], exec, s[22:23]
	s_cbranch_execz .LBB4126_136
; %bb.135:
	s_waitcnt lgkmcnt(0)
	ds_read_u16 v3, v2 offset:1792
	s_or_b64 s[20:21], s[12:13], exec
.LBB4126_136:
	s_or_saveexec_b64 s[22:23], s[22:23]
	s_mov_b64 s[24:25], s[6:7]
                                        ; implicit-def: $vgpr4
	s_xor_b64 exec, exec, s[22:23]
	s_cbranch_execz .LBB4126_138
; %bb.137:
	s_waitcnt lgkmcnt(0)
	ds_read_u16 v4, v2 offset:1664
	s_or_b64 s[24:25], s[6:7], exec
                                        ; implicit-def: $vgpr3
.LBB4126_138:
	s_or_b64 exec, exec, s[22:23]
	s_andn2_b64 s[22:23], s[12:13], exec
	s_and_b64 s[20:21], s[20:21], exec
	s_or_b64 s[22:23], s[22:23], s[20:21]
	s_andn2_b64 s[20:21], s[6:7], exec
	s_and_b64 s[24:25], s[24:25], exec
	s_or_b64 s[20:21], s[20:21], s[24:25]
.LBB4126_139:
	s_andn2_saveexec_b64 s[18:19], s[18:19]
	s_cbranch_execz .LBB4126_141
; %bb.140:
	s_waitcnt lgkmcnt(0)
	ds_read_u16 v4, v2 offset:1536
	s_or_b64 s[20:21], s[20:21], exec
                                        ; implicit-def: $vgpr3
.LBB4126_141:
	s_or_b64 exec, exec, s[18:19]
	s_andn2_b64 s[12:13], s[12:13], exec
	s_and_b64 s[18:19], s[22:23], exec
	s_or_b64 s[12:13], s[12:13], s[18:19]
	s_andn2_b64 s[18:19], s[6:7], exec
	s_and_b64 s[20:21], s[20:21], exec
	s_or_b64 s[18:19], s[18:19], s[20:21]
.LBB4126_142:
	s_or_b64 exec, exec, s[16:17]
	s_andn2_b64 s[4:5], s[4:5], exec
	s_and_b64 s[12:13], s[12:13], exec
	s_or_b64 s[4:5], s[4:5], s[12:13]
	s_andn2_b64 s[6:7], s[6:7], exec
	s_and_b64 s[12:13], s[18:19], exec
	s_or_b64 s[6:7], s[6:7], s[12:13]
                                        ; implicit-def: $vgpr5
.LBB4126_143:
	s_or_b64 exec, exec, s[10:11]
	s_and_b64 s[4:5], s[4:5], exec
	s_and_b64 s[6:7], s[6:7], exec
	;; [unrolled: 1-line block ×3, first 2 shown]
	s_andn2_saveexec_b64 s[2:3], s[2:3]
	s_cbranch_execz .LBB4126_94
.LBB4126_144:
	v_cmp_lt_i64_e32 vcc, 5, v[0:1]
	s_mov_b64 s[12:13], -1
	s_mov_b64 s[10:11], s[8:9]
	s_mov_b64 s[16:17], s[6:7]
	;; [unrolled: 1-line block ×3, first 2 shown]
                                        ; implicit-def: $vgpr3
                                        ; implicit-def: $vgpr4
                                        ; implicit-def: $vgpr5
	s_and_saveexec_b64 s[0:1], vcc
	s_cbranch_execz .LBB4126_160
; %bb.145:
	v_cmp_lt_i64_e32 vcc, 8, v[0:1]
	s_mov_b64 s[10:11], s[8:9]
                                        ; implicit-def: $vgpr5
	s_and_saveexec_b64 s[12:13], vcc
	s_xor_b64 s[12:13], exec, s[12:13]
	s_cbranch_execz .LBB4126_155
; %bb.146:
	v_cmp_lt_i64_e32 vcc, 9, v[0:1]
                                        ; implicit-def: $vgpr5
	s_and_saveexec_b64 s[10:11], vcc
	s_xor_b64 s[10:11], exec, s[10:11]
	s_cbranch_execz .LBB4126_152
; %bb.147:
	v_cmp_lt_i64_e32 vcc, 10, v[0:1]
                                        ; implicit-def: $vgpr5
	s_and_saveexec_b64 s[16:17], vcc
	s_xor_b64 s[16:17], exec, s[16:17]
	s_cbranch_execz .LBB4126_149
; %bb.148:
	s_waitcnt lgkmcnt(0)
	ds_read_u16 v5, v2 offset:1408
.LBB4126_149:
	s_andn2_saveexec_b64 s[16:17], s[16:17]
	s_cbranch_execz .LBB4126_151
; %bb.150:
	s_waitcnt lgkmcnt(0)
	ds_read_u16 v5, v2 offset:1280
.LBB4126_151:
	s_or_b64 exec, exec, s[16:17]
.LBB4126_152:
	s_andn2_saveexec_b64 s[10:11], s[10:11]
	s_cbranch_execz .LBB4126_154
; %bb.153:
	s_waitcnt lgkmcnt(0)
	ds_read_u16 v5, v2 offset:1152
.LBB4126_154:
	s_or_b64 exec, exec, s[10:11]
	s_or_b64 s[10:11], s[8:9], exec
.LBB4126_155:
	s_or_saveexec_b64 s[12:13], s[12:13]
	s_mov_b64 s[16:17], s[6:7]
	s_mov_b64 s[20:21], s[4:5]
                                        ; implicit-def: $vgpr3
                                        ; implicit-def: $vgpr4
	s_xor_b64 exec, exec, s[12:13]
	s_cbranch_execz .LBB4126_159
; %bb.156:
	s_waitcnt lgkmcnt(0)
	ds_read_u16 v3, v2 offset:768
	v_cmp_lt_i64_e32 vcc, 6, v[0:1]
	s_mov_b64 s[20:21], -1
	s_mov_b64 s[18:19], s[10:11]
	s_mov_b64 s[16:17], s[6:7]
                                        ; implicit-def: $vgpr4
                                        ; implicit-def: $vgpr5
	s_and_saveexec_b64 s[22:23], vcc
	s_cbranch_execz .LBB4126_158
; %bb.157:
	ds_read_u16 v4, v2 offset:896
	ds_read_u16 v5, v2 offset:1024
	v_cmp_lt_i64_e32 vcc, 7, v[0:1]
	s_andn2_b64 s[18:19], s[10:11], exec
	s_and_b64 s[24:25], vcc, exec
	s_xor_b64 s[20:21], exec, -1
	s_or_b64 s[16:17], s[6:7], exec
	s_or_b64 s[18:19], s[18:19], s[24:25]
                                        ; implicit-def: $vgpr3
.LBB4126_158:
	s_or_b64 exec, exec, s[22:23]
	s_andn2_b64 s[22:23], s[4:5], exec
	s_and_b64 s[20:21], s[20:21], exec
	s_or_b64 s[20:21], s[22:23], s[20:21]
	s_andn2_b64 s[22:23], s[6:7], exec
	s_and_b64 s[16:17], s[16:17], exec
	s_andn2_b64 s[10:11], s[10:11], exec
	s_and_b64 s[18:19], s[18:19], exec
	s_or_b64 s[16:17], s[22:23], s[16:17]
	s_or_b64 s[10:11], s[10:11], s[18:19]
.LBB4126_159:
	s_or_b64 exec, exec, s[12:13]
	s_andn2_b64 s[18:19], s[4:5], exec
	s_and_b64 s[20:21], s[20:21], exec
	s_or_b64 s[18:19], s[18:19], s[20:21]
	s_andn2_b64 s[20:21], s[6:7], exec
	s_and_b64 s[16:17], s[16:17], exec
	s_or_b64 s[16:17], s[20:21], s[16:17]
	s_andn2_b64 s[20:21], s[8:9], exec
	s_and_b64 s[10:11], s[10:11], exec
	s_xor_b64 s[12:13], exec, -1
	s_or_b64 s[10:11], s[20:21], s[10:11]
.LBB4126_160:
	s_or_b64 exec, exec, s[0:1]
	s_and_b64 s[0:1], s[12:13], exec
	s_andn2_b64 s[4:5], s[4:5], exec
	s_and_b64 s[12:13], s[18:19], exec
	s_or_b64 s[4:5], s[4:5], s[12:13]
	s_andn2_b64 s[6:7], s[6:7], exec
	s_and_b64 s[12:13], s[16:17], exec
	s_andn2_b64 s[8:9], s[8:9], exec
	s_and_b64 s[10:11], s[10:11], exec
	s_or_b64 s[6:7], s[6:7], s[12:13]
	s_or_b64 s[8:9], s[8:9], s[10:11]
	s_or_b64 exec, exec, s[2:3]
	s_and_saveexec_b64 s[2:3], s[8:9]
	s_cbranch_execz .LBB4126_95
.LBB4126_161:
	s_waitcnt lgkmcnt(0)
	v_mov_b32_e32 v3, 0
	s_andn2_b64 s[6:7], s[6:7], exec
	global_store_short v3, v5, s[14:15]
                                        ; implicit-def: $vgpr3
                                        ; implicit-def: $vgpr4
	s_or_b64 exec, exec, s[2:3]
	s_and_saveexec_b64 s[2:3], s[6:7]
	s_cbranch_execz .LBB4126_96
.LBB4126_162:
	s_waitcnt lgkmcnt(0)
	v_mov_b32_e32 v3, 0
	global_store_short v3, v4, s[14:15]
                                        ; implicit-def: $vgpr3
	s_or_b64 exec, exec, s[2:3]
	s_and_saveexec_b64 s[2:3], s[4:5]
	s_xor_b64 s[2:3], exec, s[2:3]
	s_cbranch_execz .LBB4126_97
.LBB4126_163:
	s_waitcnt lgkmcnt(0)
	v_mov_b32_e32 v4, 0
	global_store_short v4, v3, s[14:15]
	s_or_b64 exec, exec, s[2:3]
	s_and_b64 exec, exec, s[0:1]
	s_cbranch_execz .LBB4126_98
.LBB4126_164:
	v_cmp_lt_i64_e32 vcc, 2, v[0:1]
	s_and_saveexec_b64 s[0:1], vcc
	s_xor_b64 s[0:1], exec, s[0:1]
	s_cbranch_execz .LBB4126_174
; %bb.165:
	v_cmp_lt_i64_e32 vcc, 3, v[0:1]
	s_and_saveexec_b64 s[2:3], vcc
	s_xor_b64 s[2:3], exec, s[2:3]
	s_cbranch_execz .LBB4126_171
; %bb.166:
	;; [unrolled: 5-line block ×3, first 2 shown]
	ds_read_u16 v0, v2 offset:640
	v_mov_b32_e32 v1, 0
                                        ; implicit-def: $vgpr2
	s_waitcnt lgkmcnt(0)
	global_store_short v1, v0, s[14:15]
.LBB4126_168:
	s_andn2_saveexec_b64 s[4:5], s[4:5]
	s_cbranch_execz .LBB4126_170
; %bb.169:
	ds_read_u16 v0, v2 offset:512
	v_mov_b32_e32 v1, 0
	s_waitcnt lgkmcnt(0)
	global_store_short v1, v0, s[14:15]
.LBB4126_170:
	s_or_b64 exec, exec, s[4:5]
                                        ; implicit-def: $vgpr2
.LBB4126_171:
	s_andn2_saveexec_b64 s[2:3], s[2:3]
	s_cbranch_execz .LBB4126_173
; %bb.172:
	ds_read_u16 v0, v2 offset:384
	v_mov_b32_e32 v1, 0
	s_waitcnt lgkmcnt(0)
	global_store_short v1, v0, s[14:15]
.LBB4126_173:
	s_or_b64 exec, exec, s[2:3]
                                        ; implicit-def: $vgpr0_vgpr1
                                        ; implicit-def: $vgpr2
.LBB4126_174:
	s_andn2_saveexec_b64 s[0:1], s[0:1]
	s_cbranch_execz .LBB4126_98
; %bb.175:
	v_cmp_lt_i64_e32 vcc, 1, v[0:1]
	s_and_saveexec_b64 s[0:1], vcc
	s_xor_b64 s[0:1], exec, s[0:1]
	s_cbranch_execz .LBB4126_177
; %bb.176:
	ds_read_u16 v0, v2 offset:256
	v_mov_b32_e32 v1, 0
                                        ; implicit-def: $vgpr2
	s_waitcnt lgkmcnt(0)
	global_store_short v1, v0, s[14:15]
                                        ; implicit-def: $vgpr0_vgpr1
.LBB4126_177:
	s_andn2_saveexec_b64 s[0:1], s[0:1]
	s_cbranch_execz .LBB4126_98
; %bb.178:
	v_cmp_ne_u64_e32 vcc, 1, v[0:1]
	s_and_saveexec_b64 s[0:1], vcc
	s_xor_b64 s[0:1], exec, s[0:1]
	s_cbranch_execz .LBB4126_180
; %bb.179:
	ds_read_u16 v0, v2
	v_mov_b32_e32 v1, 0
                                        ; implicit-def: $vgpr2
	s_waitcnt lgkmcnt(0)
	global_store_short v1, v0, s[14:15]
.LBB4126_180:
	s_andn2_saveexec_b64 s[0:1], s[0:1]
	s_cbranch_execz .LBB4126_98
; %bb.181:
	ds_read_u16 v0, v2 offset:128
	v_mov_b32_e32 v1, 0
	s_waitcnt lgkmcnt(0)
	global_store_short v1, v0, s[14:15]
	s_endpgm
	.section	.rodata,"a",@progbits
	.p2align	6, 0x0
	.amdhsa_kernel _ZN7rocprim17ROCPRIM_400000_NS6detail17trampoline_kernelINS0_14default_configENS1_20scan_config_selectorIsEEZZNS1_9scan_implILNS1_25lookback_scan_determinismE0ELb1ELb1ES3_N6thrust23THRUST_200600_302600_NS6detail15normal_iteratorINS9_10device_ptrIsEEEENS9_16discard_iteratorINS9_11use_defaultEEEs11max_functorIsEsEEDaPvRmT3_T4_T5_mT6_P12ihipStream_tbENKUlT_T0_E_clISt17integral_constantIbLb0EESW_IbLb1EEEEDaSS_ST_EUlSS_E_NS1_11comp_targetILNS1_3genE4ELNS1_11target_archE910ELNS1_3gpuE8ELNS1_3repE0EEENS1_30default_config_static_selectorELNS0_4arch9wavefront6targetE1EEEvT1_
		.amdhsa_group_segment_fixed_size 3072
		.amdhsa_private_segment_fixed_size 0
		.amdhsa_kernarg_size 104
		.amdhsa_user_sgpr_count 6
		.amdhsa_user_sgpr_private_segment_buffer 1
		.amdhsa_user_sgpr_dispatch_ptr 0
		.amdhsa_user_sgpr_queue_ptr 0
		.amdhsa_user_sgpr_kernarg_segment_ptr 1
		.amdhsa_user_sgpr_dispatch_id 0
		.amdhsa_user_sgpr_flat_scratch_init 0
		.amdhsa_user_sgpr_kernarg_preload_length 0
		.amdhsa_user_sgpr_kernarg_preload_offset 0
		.amdhsa_user_sgpr_private_segment_size 0
		.amdhsa_uses_dynamic_stack 0
		.amdhsa_system_sgpr_private_segment_wavefront_offset 0
		.amdhsa_system_sgpr_workgroup_id_x 1
		.amdhsa_system_sgpr_workgroup_id_y 0
		.amdhsa_system_sgpr_workgroup_id_z 0
		.amdhsa_system_sgpr_workgroup_info 0
		.amdhsa_system_vgpr_workitem_id 0
		.amdhsa_next_free_vgpr 57
		.amdhsa_next_free_sgpr 32
		.amdhsa_accum_offset 60
		.amdhsa_reserve_vcc 1
		.amdhsa_reserve_flat_scratch 0
		.amdhsa_float_round_mode_32 0
		.amdhsa_float_round_mode_16_64 0
		.amdhsa_float_denorm_mode_32 3
		.amdhsa_float_denorm_mode_16_64 3
		.amdhsa_dx10_clamp 1
		.amdhsa_ieee_mode 1
		.amdhsa_fp16_overflow 0
		.amdhsa_tg_split 0
		.amdhsa_exception_fp_ieee_invalid_op 0
		.amdhsa_exception_fp_denorm_src 0
		.amdhsa_exception_fp_ieee_div_zero 0
		.amdhsa_exception_fp_ieee_overflow 0
		.amdhsa_exception_fp_ieee_underflow 0
		.amdhsa_exception_fp_ieee_inexact 0
		.amdhsa_exception_int_div_zero 0
	.end_amdhsa_kernel
	.section	.text._ZN7rocprim17ROCPRIM_400000_NS6detail17trampoline_kernelINS0_14default_configENS1_20scan_config_selectorIsEEZZNS1_9scan_implILNS1_25lookback_scan_determinismE0ELb1ELb1ES3_N6thrust23THRUST_200600_302600_NS6detail15normal_iteratorINS9_10device_ptrIsEEEENS9_16discard_iteratorINS9_11use_defaultEEEs11max_functorIsEsEEDaPvRmT3_T4_T5_mT6_P12ihipStream_tbENKUlT_T0_E_clISt17integral_constantIbLb0EESW_IbLb1EEEEDaSS_ST_EUlSS_E_NS1_11comp_targetILNS1_3genE4ELNS1_11target_archE910ELNS1_3gpuE8ELNS1_3repE0EEENS1_30default_config_static_selectorELNS0_4arch9wavefront6targetE1EEEvT1_,"axG",@progbits,_ZN7rocprim17ROCPRIM_400000_NS6detail17trampoline_kernelINS0_14default_configENS1_20scan_config_selectorIsEEZZNS1_9scan_implILNS1_25lookback_scan_determinismE0ELb1ELb1ES3_N6thrust23THRUST_200600_302600_NS6detail15normal_iteratorINS9_10device_ptrIsEEEENS9_16discard_iteratorINS9_11use_defaultEEEs11max_functorIsEsEEDaPvRmT3_T4_T5_mT6_P12ihipStream_tbENKUlT_T0_E_clISt17integral_constantIbLb0EESW_IbLb1EEEEDaSS_ST_EUlSS_E_NS1_11comp_targetILNS1_3genE4ELNS1_11target_archE910ELNS1_3gpuE8ELNS1_3repE0EEENS1_30default_config_static_selectorELNS0_4arch9wavefront6targetE1EEEvT1_,comdat
.Lfunc_end4126:
	.size	_ZN7rocprim17ROCPRIM_400000_NS6detail17trampoline_kernelINS0_14default_configENS1_20scan_config_selectorIsEEZZNS1_9scan_implILNS1_25lookback_scan_determinismE0ELb1ELb1ES3_N6thrust23THRUST_200600_302600_NS6detail15normal_iteratorINS9_10device_ptrIsEEEENS9_16discard_iteratorINS9_11use_defaultEEEs11max_functorIsEsEEDaPvRmT3_T4_T5_mT6_P12ihipStream_tbENKUlT_T0_E_clISt17integral_constantIbLb0EESW_IbLb1EEEEDaSS_ST_EUlSS_E_NS1_11comp_targetILNS1_3genE4ELNS1_11target_archE910ELNS1_3gpuE8ELNS1_3repE0EEENS1_30default_config_static_selectorELNS0_4arch9wavefront6targetE1EEEvT1_, .Lfunc_end4126-_ZN7rocprim17ROCPRIM_400000_NS6detail17trampoline_kernelINS0_14default_configENS1_20scan_config_selectorIsEEZZNS1_9scan_implILNS1_25lookback_scan_determinismE0ELb1ELb1ES3_N6thrust23THRUST_200600_302600_NS6detail15normal_iteratorINS9_10device_ptrIsEEEENS9_16discard_iteratorINS9_11use_defaultEEEs11max_functorIsEsEEDaPvRmT3_T4_T5_mT6_P12ihipStream_tbENKUlT_T0_E_clISt17integral_constantIbLb0EESW_IbLb1EEEEDaSS_ST_EUlSS_E_NS1_11comp_targetILNS1_3genE4ELNS1_11target_archE910ELNS1_3gpuE8ELNS1_3repE0EEENS1_30default_config_static_selectorELNS0_4arch9wavefront6targetE1EEEvT1_
                                        ; -- End function
	.section	.AMDGPU.csdata,"",@progbits
; Kernel info:
; codeLenInByte = 6484
; NumSgprs: 36
; NumVgprs: 57
; NumAgprs: 0
; TotalNumVgprs: 57
; ScratchSize: 0
; MemoryBound: 0
; FloatMode: 240
; IeeeMode: 1
; LDSByteSize: 3072 bytes/workgroup (compile time only)
; SGPRBlocks: 4
; VGPRBlocks: 7
; NumSGPRsForWavesPerEU: 36
; NumVGPRsForWavesPerEU: 57
; AccumOffset: 60
; Occupancy: 6
; WaveLimiterHint : 1
; COMPUTE_PGM_RSRC2:SCRATCH_EN: 0
; COMPUTE_PGM_RSRC2:USER_SGPR: 6
; COMPUTE_PGM_RSRC2:TRAP_HANDLER: 0
; COMPUTE_PGM_RSRC2:TGID_X_EN: 1
; COMPUTE_PGM_RSRC2:TGID_Y_EN: 0
; COMPUTE_PGM_RSRC2:TGID_Z_EN: 0
; COMPUTE_PGM_RSRC2:TIDIG_COMP_CNT: 0
; COMPUTE_PGM_RSRC3_GFX90A:ACCUM_OFFSET: 14
; COMPUTE_PGM_RSRC3_GFX90A:TG_SPLIT: 0
	.section	.text._ZN7rocprim17ROCPRIM_400000_NS6detail17trampoline_kernelINS0_14default_configENS1_20scan_config_selectorIsEEZZNS1_9scan_implILNS1_25lookback_scan_determinismE0ELb1ELb1ES3_N6thrust23THRUST_200600_302600_NS6detail15normal_iteratorINS9_10device_ptrIsEEEENS9_16discard_iteratorINS9_11use_defaultEEEs11max_functorIsEsEEDaPvRmT3_T4_T5_mT6_P12ihipStream_tbENKUlT_T0_E_clISt17integral_constantIbLb0EESW_IbLb1EEEEDaSS_ST_EUlSS_E_NS1_11comp_targetILNS1_3genE3ELNS1_11target_archE908ELNS1_3gpuE7ELNS1_3repE0EEENS1_30default_config_static_selectorELNS0_4arch9wavefront6targetE1EEEvT1_,"axG",@progbits,_ZN7rocprim17ROCPRIM_400000_NS6detail17trampoline_kernelINS0_14default_configENS1_20scan_config_selectorIsEEZZNS1_9scan_implILNS1_25lookback_scan_determinismE0ELb1ELb1ES3_N6thrust23THRUST_200600_302600_NS6detail15normal_iteratorINS9_10device_ptrIsEEEENS9_16discard_iteratorINS9_11use_defaultEEEs11max_functorIsEsEEDaPvRmT3_T4_T5_mT6_P12ihipStream_tbENKUlT_T0_E_clISt17integral_constantIbLb0EESW_IbLb1EEEEDaSS_ST_EUlSS_E_NS1_11comp_targetILNS1_3genE3ELNS1_11target_archE908ELNS1_3gpuE7ELNS1_3repE0EEENS1_30default_config_static_selectorELNS0_4arch9wavefront6targetE1EEEvT1_,comdat
	.protected	_ZN7rocprim17ROCPRIM_400000_NS6detail17trampoline_kernelINS0_14default_configENS1_20scan_config_selectorIsEEZZNS1_9scan_implILNS1_25lookback_scan_determinismE0ELb1ELb1ES3_N6thrust23THRUST_200600_302600_NS6detail15normal_iteratorINS9_10device_ptrIsEEEENS9_16discard_iteratorINS9_11use_defaultEEEs11max_functorIsEsEEDaPvRmT3_T4_T5_mT6_P12ihipStream_tbENKUlT_T0_E_clISt17integral_constantIbLb0EESW_IbLb1EEEEDaSS_ST_EUlSS_E_NS1_11comp_targetILNS1_3genE3ELNS1_11target_archE908ELNS1_3gpuE7ELNS1_3repE0EEENS1_30default_config_static_selectorELNS0_4arch9wavefront6targetE1EEEvT1_ ; -- Begin function _ZN7rocprim17ROCPRIM_400000_NS6detail17trampoline_kernelINS0_14default_configENS1_20scan_config_selectorIsEEZZNS1_9scan_implILNS1_25lookback_scan_determinismE0ELb1ELb1ES3_N6thrust23THRUST_200600_302600_NS6detail15normal_iteratorINS9_10device_ptrIsEEEENS9_16discard_iteratorINS9_11use_defaultEEEs11max_functorIsEsEEDaPvRmT3_T4_T5_mT6_P12ihipStream_tbENKUlT_T0_E_clISt17integral_constantIbLb0EESW_IbLb1EEEEDaSS_ST_EUlSS_E_NS1_11comp_targetILNS1_3genE3ELNS1_11target_archE908ELNS1_3gpuE7ELNS1_3repE0EEENS1_30default_config_static_selectorELNS0_4arch9wavefront6targetE1EEEvT1_
	.globl	_ZN7rocprim17ROCPRIM_400000_NS6detail17trampoline_kernelINS0_14default_configENS1_20scan_config_selectorIsEEZZNS1_9scan_implILNS1_25lookback_scan_determinismE0ELb1ELb1ES3_N6thrust23THRUST_200600_302600_NS6detail15normal_iteratorINS9_10device_ptrIsEEEENS9_16discard_iteratorINS9_11use_defaultEEEs11max_functorIsEsEEDaPvRmT3_T4_T5_mT6_P12ihipStream_tbENKUlT_T0_E_clISt17integral_constantIbLb0EESW_IbLb1EEEEDaSS_ST_EUlSS_E_NS1_11comp_targetILNS1_3genE3ELNS1_11target_archE908ELNS1_3gpuE7ELNS1_3repE0EEENS1_30default_config_static_selectorELNS0_4arch9wavefront6targetE1EEEvT1_
	.p2align	8
	.type	_ZN7rocprim17ROCPRIM_400000_NS6detail17trampoline_kernelINS0_14default_configENS1_20scan_config_selectorIsEEZZNS1_9scan_implILNS1_25lookback_scan_determinismE0ELb1ELb1ES3_N6thrust23THRUST_200600_302600_NS6detail15normal_iteratorINS9_10device_ptrIsEEEENS9_16discard_iteratorINS9_11use_defaultEEEs11max_functorIsEsEEDaPvRmT3_T4_T5_mT6_P12ihipStream_tbENKUlT_T0_E_clISt17integral_constantIbLb0EESW_IbLb1EEEEDaSS_ST_EUlSS_E_NS1_11comp_targetILNS1_3genE3ELNS1_11target_archE908ELNS1_3gpuE7ELNS1_3repE0EEENS1_30default_config_static_selectorELNS0_4arch9wavefront6targetE1EEEvT1_,@function
_ZN7rocprim17ROCPRIM_400000_NS6detail17trampoline_kernelINS0_14default_configENS1_20scan_config_selectorIsEEZZNS1_9scan_implILNS1_25lookback_scan_determinismE0ELb1ELb1ES3_N6thrust23THRUST_200600_302600_NS6detail15normal_iteratorINS9_10device_ptrIsEEEENS9_16discard_iteratorINS9_11use_defaultEEEs11max_functorIsEsEEDaPvRmT3_T4_T5_mT6_P12ihipStream_tbENKUlT_T0_E_clISt17integral_constantIbLb0EESW_IbLb1EEEEDaSS_ST_EUlSS_E_NS1_11comp_targetILNS1_3genE3ELNS1_11target_archE908ELNS1_3gpuE7ELNS1_3repE0EEENS1_30default_config_static_selectorELNS0_4arch9wavefront6targetE1EEEvT1_: ; @_ZN7rocprim17ROCPRIM_400000_NS6detail17trampoline_kernelINS0_14default_configENS1_20scan_config_selectorIsEEZZNS1_9scan_implILNS1_25lookback_scan_determinismE0ELb1ELb1ES3_N6thrust23THRUST_200600_302600_NS6detail15normal_iteratorINS9_10device_ptrIsEEEENS9_16discard_iteratorINS9_11use_defaultEEEs11max_functorIsEsEEDaPvRmT3_T4_T5_mT6_P12ihipStream_tbENKUlT_T0_E_clISt17integral_constantIbLb0EESW_IbLb1EEEEDaSS_ST_EUlSS_E_NS1_11comp_targetILNS1_3genE3ELNS1_11target_archE908ELNS1_3gpuE7ELNS1_3repE0EEENS1_30default_config_static_selectorELNS0_4arch9wavefront6targetE1EEEvT1_
; %bb.0:
	.section	.rodata,"a",@progbits
	.p2align	6, 0x0
	.amdhsa_kernel _ZN7rocprim17ROCPRIM_400000_NS6detail17trampoline_kernelINS0_14default_configENS1_20scan_config_selectorIsEEZZNS1_9scan_implILNS1_25lookback_scan_determinismE0ELb1ELb1ES3_N6thrust23THRUST_200600_302600_NS6detail15normal_iteratorINS9_10device_ptrIsEEEENS9_16discard_iteratorINS9_11use_defaultEEEs11max_functorIsEsEEDaPvRmT3_T4_T5_mT6_P12ihipStream_tbENKUlT_T0_E_clISt17integral_constantIbLb0EESW_IbLb1EEEEDaSS_ST_EUlSS_E_NS1_11comp_targetILNS1_3genE3ELNS1_11target_archE908ELNS1_3gpuE7ELNS1_3repE0EEENS1_30default_config_static_selectorELNS0_4arch9wavefront6targetE1EEEvT1_
		.amdhsa_group_segment_fixed_size 0
		.amdhsa_private_segment_fixed_size 0
		.amdhsa_kernarg_size 104
		.amdhsa_user_sgpr_count 6
		.amdhsa_user_sgpr_private_segment_buffer 1
		.amdhsa_user_sgpr_dispatch_ptr 0
		.amdhsa_user_sgpr_queue_ptr 0
		.amdhsa_user_sgpr_kernarg_segment_ptr 1
		.amdhsa_user_sgpr_dispatch_id 0
		.amdhsa_user_sgpr_flat_scratch_init 0
		.amdhsa_user_sgpr_kernarg_preload_length 0
		.amdhsa_user_sgpr_kernarg_preload_offset 0
		.amdhsa_user_sgpr_private_segment_size 0
		.amdhsa_uses_dynamic_stack 0
		.amdhsa_system_sgpr_private_segment_wavefront_offset 0
		.amdhsa_system_sgpr_workgroup_id_x 1
		.amdhsa_system_sgpr_workgroup_id_y 0
		.amdhsa_system_sgpr_workgroup_id_z 0
		.amdhsa_system_sgpr_workgroup_info 0
		.amdhsa_system_vgpr_workitem_id 0
		.amdhsa_next_free_vgpr 1
		.amdhsa_next_free_sgpr 0
		.amdhsa_accum_offset 4
		.amdhsa_reserve_vcc 0
		.amdhsa_reserve_flat_scratch 0
		.amdhsa_float_round_mode_32 0
		.amdhsa_float_round_mode_16_64 0
		.amdhsa_float_denorm_mode_32 3
		.amdhsa_float_denorm_mode_16_64 3
		.amdhsa_dx10_clamp 1
		.amdhsa_ieee_mode 1
		.amdhsa_fp16_overflow 0
		.amdhsa_tg_split 0
		.amdhsa_exception_fp_ieee_invalid_op 0
		.amdhsa_exception_fp_denorm_src 0
		.amdhsa_exception_fp_ieee_div_zero 0
		.amdhsa_exception_fp_ieee_overflow 0
		.amdhsa_exception_fp_ieee_underflow 0
		.amdhsa_exception_fp_ieee_inexact 0
		.amdhsa_exception_int_div_zero 0
	.end_amdhsa_kernel
	.section	.text._ZN7rocprim17ROCPRIM_400000_NS6detail17trampoline_kernelINS0_14default_configENS1_20scan_config_selectorIsEEZZNS1_9scan_implILNS1_25lookback_scan_determinismE0ELb1ELb1ES3_N6thrust23THRUST_200600_302600_NS6detail15normal_iteratorINS9_10device_ptrIsEEEENS9_16discard_iteratorINS9_11use_defaultEEEs11max_functorIsEsEEDaPvRmT3_T4_T5_mT6_P12ihipStream_tbENKUlT_T0_E_clISt17integral_constantIbLb0EESW_IbLb1EEEEDaSS_ST_EUlSS_E_NS1_11comp_targetILNS1_3genE3ELNS1_11target_archE908ELNS1_3gpuE7ELNS1_3repE0EEENS1_30default_config_static_selectorELNS0_4arch9wavefront6targetE1EEEvT1_,"axG",@progbits,_ZN7rocprim17ROCPRIM_400000_NS6detail17trampoline_kernelINS0_14default_configENS1_20scan_config_selectorIsEEZZNS1_9scan_implILNS1_25lookback_scan_determinismE0ELb1ELb1ES3_N6thrust23THRUST_200600_302600_NS6detail15normal_iteratorINS9_10device_ptrIsEEEENS9_16discard_iteratorINS9_11use_defaultEEEs11max_functorIsEsEEDaPvRmT3_T4_T5_mT6_P12ihipStream_tbENKUlT_T0_E_clISt17integral_constantIbLb0EESW_IbLb1EEEEDaSS_ST_EUlSS_E_NS1_11comp_targetILNS1_3genE3ELNS1_11target_archE908ELNS1_3gpuE7ELNS1_3repE0EEENS1_30default_config_static_selectorELNS0_4arch9wavefront6targetE1EEEvT1_,comdat
.Lfunc_end4127:
	.size	_ZN7rocprim17ROCPRIM_400000_NS6detail17trampoline_kernelINS0_14default_configENS1_20scan_config_selectorIsEEZZNS1_9scan_implILNS1_25lookback_scan_determinismE0ELb1ELb1ES3_N6thrust23THRUST_200600_302600_NS6detail15normal_iteratorINS9_10device_ptrIsEEEENS9_16discard_iteratorINS9_11use_defaultEEEs11max_functorIsEsEEDaPvRmT3_T4_T5_mT6_P12ihipStream_tbENKUlT_T0_E_clISt17integral_constantIbLb0EESW_IbLb1EEEEDaSS_ST_EUlSS_E_NS1_11comp_targetILNS1_3genE3ELNS1_11target_archE908ELNS1_3gpuE7ELNS1_3repE0EEENS1_30default_config_static_selectorELNS0_4arch9wavefront6targetE1EEEvT1_, .Lfunc_end4127-_ZN7rocprim17ROCPRIM_400000_NS6detail17trampoline_kernelINS0_14default_configENS1_20scan_config_selectorIsEEZZNS1_9scan_implILNS1_25lookback_scan_determinismE0ELb1ELb1ES3_N6thrust23THRUST_200600_302600_NS6detail15normal_iteratorINS9_10device_ptrIsEEEENS9_16discard_iteratorINS9_11use_defaultEEEs11max_functorIsEsEEDaPvRmT3_T4_T5_mT6_P12ihipStream_tbENKUlT_T0_E_clISt17integral_constantIbLb0EESW_IbLb1EEEEDaSS_ST_EUlSS_E_NS1_11comp_targetILNS1_3genE3ELNS1_11target_archE908ELNS1_3gpuE7ELNS1_3repE0EEENS1_30default_config_static_selectorELNS0_4arch9wavefront6targetE1EEEvT1_
                                        ; -- End function
	.section	.AMDGPU.csdata,"",@progbits
; Kernel info:
; codeLenInByte = 0
; NumSgprs: 4
; NumVgprs: 0
; NumAgprs: 0
; TotalNumVgprs: 0
; ScratchSize: 0
; MemoryBound: 0
; FloatMode: 240
; IeeeMode: 1
; LDSByteSize: 0 bytes/workgroup (compile time only)
; SGPRBlocks: 0
; VGPRBlocks: 0
; NumSGPRsForWavesPerEU: 4
; NumVGPRsForWavesPerEU: 1
; AccumOffset: 4
; Occupancy: 8
; WaveLimiterHint : 0
; COMPUTE_PGM_RSRC2:SCRATCH_EN: 0
; COMPUTE_PGM_RSRC2:USER_SGPR: 6
; COMPUTE_PGM_RSRC2:TRAP_HANDLER: 0
; COMPUTE_PGM_RSRC2:TGID_X_EN: 1
; COMPUTE_PGM_RSRC2:TGID_Y_EN: 0
; COMPUTE_PGM_RSRC2:TGID_Z_EN: 0
; COMPUTE_PGM_RSRC2:TIDIG_COMP_CNT: 0
; COMPUTE_PGM_RSRC3_GFX90A:ACCUM_OFFSET: 0
; COMPUTE_PGM_RSRC3_GFX90A:TG_SPLIT: 0
	.section	.text._ZN7rocprim17ROCPRIM_400000_NS6detail17trampoline_kernelINS0_14default_configENS1_20scan_config_selectorIsEEZZNS1_9scan_implILNS1_25lookback_scan_determinismE0ELb1ELb1ES3_N6thrust23THRUST_200600_302600_NS6detail15normal_iteratorINS9_10device_ptrIsEEEENS9_16discard_iteratorINS9_11use_defaultEEEs11max_functorIsEsEEDaPvRmT3_T4_T5_mT6_P12ihipStream_tbENKUlT_T0_E_clISt17integral_constantIbLb0EESW_IbLb1EEEEDaSS_ST_EUlSS_E_NS1_11comp_targetILNS1_3genE2ELNS1_11target_archE906ELNS1_3gpuE6ELNS1_3repE0EEENS1_30default_config_static_selectorELNS0_4arch9wavefront6targetE1EEEvT1_,"axG",@progbits,_ZN7rocprim17ROCPRIM_400000_NS6detail17trampoline_kernelINS0_14default_configENS1_20scan_config_selectorIsEEZZNS1_9scan_implILNS1_25lookback_scan_determinismE0ELb1ELb1ES3_N6thrust23THRUST_200600_302600_NS6detail15normal_iteratorINS9_10device_ptrIsEEEENS9_16discard_iteratorINS9_11use_defaultEEEs11max_functorIsEsEEDaPvRmT3_T4_T5_mT6_P12ihipStream_tbENKUlT_T0_E_clISt17integral_constantIbLb0EESW_IbLb1EEEEDaSS_ST_EUlSS_E_NS1_11comp_targetILNS1_3genE2ELNS1_11target_archE906ELNS1_3gpuE6ELNS1_3repE0EEENS1_30default_config_static_selectorELNS0_4arch9wavefront6targetE1EEEvT1_,comdat
	.protected	_ZN7rocprim17ROCPRIM_400000_NS6detail17trampoline_kernelINS0_14default_configENS1_20scan_config_selectorIsEEZZNS1_9scan_implILNS1_25lookback_scan_determinismE0ELb1ELb1ES3_N6thrust23THRUST_200600_302600_NS6detail15normal_iteratorINS9_10device_ptrIsEEEENS9_16discard_iteratorINS9_11use_defaultEEEs11max_functorIsEsEEDaPvRmT3_T4_T5_mT6_P12ihipStream_tbENKUlT_T0_E_clISt17integral_constantIbLb0EESW_IbLb1EEEEDaSS_ST_EUlSS_E_NS1_11comp_targetILNS1_3genE2ELNS1_11target_archE906ELNS1_3gpuE6ELNS1_3repE0EEENS1_30default_config_static_selectorELNS0_4arch9wavefront6targetE1EEEvT1_ ; -- Begin function _ZN7rocprim17ROCPRIM_400000_NS6detail17trampoline_kernelINS0_14default_configENS1_20scan_config_selectorIsEEZZNS1_9scan_implILNS1_25lookback_scan_determinismE0ELb1ELb1ES3_N6thrust23THRUST_200600_302600_NS6detail15normal_iteratorINS9_10device_ptrIsEEEENS9_16discard_iteratorINS9_11use_defaultEEEs11max_functorIsEsEEDaPvRmT3_T4_T5_mT6_P12ihipStream_tbENKUlT_T0_E_clISt17integral_constantIbLb0EESW_IbLb1EEEEDaSS_ST_EUlSS_E_NS1_11comp_targetILNS1_3genE2ELNS1_11target_archE906ELNS1_3gpuE6ELNS1_3repE0EEENS1_30default_config_static_selectorELNS0_4arch9wavefront6targetE1EEEvT1_
	.globl	_ZN7rocprim17ROCPRIM_400000_NS6detail17trampoline_kernelINS0_14default_configENS1_20scan_config_selectorIsEEZZNS1_9scan_implILNS1_25lookback_scan_determinismE0ELb1ELb1ES3_N6thrust23THRUST_200600_302600_NS6detail15normal_iteratorINS9_10device_ptrIsEEEENS9_16discard_iteratorINS9_11use_defaultEEEs11max_functorIsEsEEDaPvRmT3_T4_T5_mT6_P12ihipStream_tbENKUlT_T0_E_clISt17integral_constantIbLb0EESW_IbLb1EEEEDaSS_ST_EUlSS_E_NS1_11comp_targetILNS1_3genE2ELNS1_11target_archE906ELNS1_3gpuE6ELNS1_3repE0EEENS1_30default_config_static_selectorELNS0_4arch9wavefront6targetE1EEEvT1_
	.p2align	8
	.type	_ZN7rocprim17ROCPRIM_400000_NS6detail17trampoline_kernelINS0_14default_configENS1_20scan_config_selectorIsEEZZNS1_9scan_implILNS1_25lookback_scan_determinismE0ELb1ELb1ES3_N6thrust23THRUST_200600_302600_NS6detail15normal_iteratorINS9_10device_ptrIsEEEENS9_16discard_iteratorINS9_11use_defaultEEEs11max_functorIsEsEEDaPvRmT3_T4_T5_mT6_P12ihipStream_tbENKUlT_T0_E_clISt17integral_constantIbLb0EESW_IbLb1EEEEDaSS_ST_EUlSS_E_NS1_11comp_targetILNS1_3genE2ELNS1_11target_archE906ELNS1_3gpuE6ELNS1_3repE0EEENS1_30default_config_static_selectorELNS0_4arch9wavefront6targetE1EEEvT1_,@function
_ZN7rocprim17ROCPRIM_400000_NS6detail17trampoline_kernelINS0_14default_configENS1_20scan_config_selectorIsEEZZNS1_9scan_implILNS1_25lookback_scan_determinismE0ELb1ELb1ES3_N6thrust23THRUST_200600_302600_NS6detail15normal_iteratorINS9_10device_ptrIsEEEENS9_16discard_iteratorINS9_11use_defaultEEEs11max_functorIsEsEEDaPvRmT3_T4_T5_mT6_P12ihipStream_tbENKUlT_T0_E_clISt17integral_constantIbLb0EESW_IbLb1EEEEDaSS_ST_EUlSS_E_NS1_11comp_targetILNS1_3genE2ELNS1_11target_archE906ELNS1_3gpuE6ELNS1_3repE0EEENS1_30default_config_static_selectorELNS0_4arch9wavefront6targetE1EEEvT1_: ; @_ZN7rocprim17ROCPRIM_400000_NS6detail17trampoline_kernelINS0_14default_configENS1_20scan_config_selectorIsEEZZNS1_9scan_implILNS1_25lookback_scan_determinismE0ELb1ELb1ES3_N6thrust23THRUST_200600_302600_NS6detail15normal_iteratorINS9_10device_ptrIsEEEENS9_16discard_iteratorINS9_11use_defaultEEEs11max_functorIsEsEEDaPvRmT3_T4_T5_mT6_P12ihipStream_tbENKUlT_T0_E_clISt17integral_constantIbLb0EESW_IbLb1EEEEDaSS_ST_EUlSS_E_NS1_11comp_targetILNS1_3genE2ELNS1_11target_archE906ELNS1_3gpuE6ELNS1_3repE0EEENS1_30default_config_static_selectorELNS0_4arch9wavefront6targetE1EEEvT1_
; %bb.0:
	.section	.rodata,"a",@progbits
	.p2align	6, 0x0
	.amdhsa_kernel _ZN7rocprim17ROCPRIM_400000_NS6detail17trampoline_kernelINS0_14default_configENS1_20scan_config_selectorIsEEZZNS1_9scan_implILNS1_25lookback_scan_determinismE0ELb1ELb1ES3_N6thrust23THRUST_200600_302600_NS6detail15normal_iteratorINS9_10device_ptrIsEEEENS9_16discard_iteratorINS9_11use_defaultEEEs11max_functorIsEsEEDaPvRmT3_T4_T5_mT6_P12ihipStream_tbENKUlT_T0_E_clISt17integral_constantIbLb0EESW_IbLb1EEEEDaSS_ST_EUlSS_E_NS1_11comp_targetILNS1_3genE2ELNS1_11target_archE906ELNS1_3gpuE6ELNS1_3repE0EEENS1_30default_config_static_selectorELNS0_4arch9wavefront6targetE1EEEvT1_
		.amdhsa_group_segment_fixed_size 0
		.amdhsa_private_segment_fixed_size 0
		.amdhsa_kernarg_size 104
		.amdhsa_user_sgpr_count 6
		.amdhsa_user_sgpr_private_segment_buffer 1
		.amdhsa_user_sgpr_dispatch_ptr 0
		.amdhsa_user_sgpr_queue_ptr 0
		.amdhsa_user_sgpr_kernarg_segment_ptr 1
		.amdhsa_user_sgpr_dispatch_id 0
		.amdhsa_user_sgpr_flat_scratch_init 0
		.amdhsa_user_sgpr_kernarg_preload_length 0
		.amdhsa_user_sgpr_kernarg_preload_offset 0
		.amdhsa_user_sgpr_private_segment_size 0
		.amdhsa_uses_dynamic_stack 0
		.amdhsa_system_sgpr_private_segment_wavefront_offset 0
		.amdhsa_system_sgpr_workgroup_id_x 1
		.amdhsa_system_sgpr_workgroup_id_y 0
		.amdhsa_system_sgpr_workgroup_id_z 0
		.amdhsa_system_sgpr_workgroup_info 0
		.amdhsa_system_vgpr_workitem_id 0
		.amdhsa_next_free_vgpr 1
		.amdhsa_next_free_sgpr 0
		.amdhsa_accum_offset 4
		.amdhsa_reserve_vcc 0
		.amdhsa_reserve_flat_scratch 0
		.amdhsa_float_round_mode_32 0
		.amdhsa_float_round_mode_16_64 0
		.amdhsa_float_denorm_mode_32 3
		.amdhsa_float_denorm_mode_16_64 3
		.amdhsa_dx10_clamp 1
		.amdhsa_ieee_mode 1
		.amdhsa_fp16_overflow 0
		.amdhsa_tg_split 0
		.amdhsa_exception_fp_ieee_invalid_op 0
		.amdhsa_exception_fp_denorm_src 0
		.amdhsa_exception_fp_ieee_div_zero 0
		.amdhsa_exception_fp_ieee_overflow 0
		.amdhsa_exception_fp_ieee_underflow 0
		.amdhsa_exception_fp_ieee_inexact 0
		.amdhsa_exception_int_div_zero 0
	.end_amdhsa_kernel
	.section	.text._ZN7rocprim17ROCPRIM_400000_NS6detail17trampoline_kernelINS0_14default_configENS1_20scan_config_selectorIsEEZZNS1_9scan_implILNS1_25lookback_scan_determinismE0ELb1ELb1ES3_N6thrust23THRUST_200600_302600_NS6detail15normal_iteratorINS9_10device_ptrIsEEEENS9_16discard_iteratorINS9_11use_defaultEEEs11max_functorIsEsEEDaPvRmT3_T4_T5_mT6_P12ihipStream_tbENKUlT_T0_E_clISt17integral_constantIbLb0EESW_IbLb1EEEEDaSS_ST_EUlSS_E_NS1_11comp_targetILNS1_3genE2ELNS1_11target_archE906ELNS1_3gpuE6ELNS1_3repE0EEENS1_30default_config_static_selectorELNS0_4arch9wavefront6targetE1EEEvT1_,"axG",@progbits,_ZN7rocprim17ROCPRIM_400000_NS6detail17trampoline_kernelINS0_14default_configENS1_20scan_config_selectorIsEEZZNS1_9scan_implILNS1_25lookback_scan_determinismE0ELb1ELb1ES3_N6thrust23THRUST_200600_302600_NS6detail15normal_iteratorINS9_10device_ptrIsEEEENS9_16discard_iteratorINS9_11use_defaultEEEs11max_functorIsEsEEDaPvRmT3_T4_T5_mT6_P12ihipStream_tbENKUlT_T0_E_clISt17integral_constantIbLb0EESW_IbLb1EEEEDaSS_ST_EUlSS_E_NS1_11comp_targetILNS1_3genE2ELNS1_11target_archE906ELNS1_3gpuE6ELNS1_3repE0EEENS1_30default_config_static_selectorELNS0_4arch9wavefront6targetE1EEEvT1_,comdat
.Lfunc_end4128:
	.size	_ZN7rocprim17ROCPRIM_400000_NS6detail17trampoline_kernelINS0_14default_configENS1_20scan_config_selectorIsEEZZNS1_9scan_implILNS1_25lookback_scan_determinismE0ELb1ELb1ES3_N6thrust23THRUST_200600_302600_NS6detail15normal_iteratorINS9_10device_ptrIsEEEENS9_16discard_iteratorINS9_11use_defaultEEEs11max_functorIsEsEEDaPvRmT3_T4_T5_mT6_P12ihipStream_tbENKUlT_T0_E_clISt17integral_constantIbLb0EESW_IbLb1EEEEDaSS_ST_EUlSS_E_NS1_11comp_targetILNS1_3genE2ELNS1_11target_archE906ELNS1_3gpuE6ELNS1_3repE0EEENS1_30default_config_static_selectorELNS0_4arch9wavefront6targetE1EEEvT1_, .Lfunc_end4128-_ZN7rocprim17ROCPRIM_400000_NS6detail17trampoline_kernelINS0_14default_configENS1_20scan_config_selectorIsEEZZNS1_9scan_implILNS1_25lookback_scan_determinismE0ELb1ELb1ES3_N6thrust23THRUST_200600_302600_NS6detail15normal_iteratorINS9_10device_ptrIsEEEENS9_16discard_iteratorINS9_11use_defaultEEEs11max_functorIsEsEEDaPvRmT3_T4_T5_mT6_P12ihipStream_tbENKUlT_T0_E_clISt17integral_constantIbLb0EESW_IbLb1EEEEDaSS_ST_EUlSS_E_NS1_11comp_targetILNS1_3genE2ELNS1_11target_archE906ELNS1_3gpuE6ELNS1_3repE0EEENS1_30default_config_static_selectorELNS0_4arch9wavefront6targetE1EEEvT1_
                                        ; -- End function
	.section	.AMDGPU.csdata,"",@progbits
; Kernel info:
; codeLenInByte = 0
; NumSgprs: 4
; NumVgprs: 0
; NumAgprs: 0
; TotalNumVgprs: 0
; ScratchSize: 0
; MemoryBound: 0
; FloatMode: 240
; IeeeMode: 1
; LDSByteSize: 0 bytes/workgroup (compile time only)
; SGPRBlocks: 0
; VGPRBlocks: 0
; NumSGPRsForWavesPerEU: 4
; NumVGPRsForWavesPerEU: 1
; AccumOffset: 4
; Occupancy: 8
; WaveLimiterHint : 0
; COMPUTE_PGM_RSRC2:SCRATCH_EN: 0
; COMPUTE_PGM_RSRC2:USER_SGPR: 6
; COMPUTE_PGM_RSRC2:TRAP_HANDLER: 0
; COMPUTE_PGM_RSRC2:TGID_X_EN: 1
; COMPUTE_PGM_RSRC2:TGID_Y_EN: 0
; COMPUTE_PGM_RSRC2:TGID_Z_EN: 0
; COMPUTE_PGM_RSRC2:TIDIG_COMP_CNT: 0
; COMPUTE_PGM_RSRC3_GFX90A:ACCUM_OFFSET: 0
; COMPUTE_PGM_RSRC3_GFX90A:TG_SPLIT: 0
	.section	.text._ZN7rocprim17ROCPRIM_400000_NS6detail17trampoline_kernelINS0_14default_configENS1_20scan_config_selectorIsEEZZNS1_9scan_implILNS1_25lookback_scan_determinismE0ELb1ELb1ES3_N6thrust23THRUST_200600_302600_NS6detail15normal_iteratorINS9_10device_ptrIsEEEENS9_16discard_iteratorINS9_11use_defaultEEEs11max_functorIsEsEEDaPvRmT3_T4_T5_mT6_P12ihipStream_tbENKUlT_T0_E_clISt17integral_constantIbLb0EESW_IbLb1EEEEDaSS_ST_EUlSS_E_NS1_11comp_targetILNS1_3genE10ELNS1_11target_archE1201ELNS1_3gpuE5ELNS1_3repE0EEENS1_30default_config_static_selectorELNS0_4arch9wavefront6targetE1EEEvT1_,"axG",@progbits,_ZN7rocprim17ROCPRIM_400000_NS6detail17trampoline_kernelINS0_14default_configENS1_20scan_config_selectorIsEEZZNS1_9scan_implILNS1_25lookback_scan_determinismE0ELb1ELb1ES3_N6thrust23THRUST_200600_302600_NS6detail15normal_iteratorINS9_10device_ptrIsEEEENS9_16discard_iteratorINS9_11use_defaultEEEs11max_functorIsEsEEDaPvRmT3_T4_T5_mT6_P12ihipStream_tbENKUlT_T0_E_clISt17integral_constantIbLb0EESW_IbLb1EEEEDaSS_ST_EUlSS_E_NS1_11comp_targetILNS1_3genE10ELNS1_11target_archE1201ELNS1_3gpuE5ELNS1_3repE0EEENS1_30default_config_static_selectorELNS0_4arch9wavefront6targetE1EEEvT1_,comdat
	.protected	_ZN7rocprim17ROCPRIM_400000_NS6detail17trampoline_kernelINS0_14default_configENS1_20scan_config_selectorIsEEZZNS1_9scan_implILNS1_25lookback_scan_determinismE0ELb1ELb1ES3_N6thrust23THRUST_200600_302600_NS6detail15normal_iteratorINS9_10device_ptrIsEEEENS9_16discard_iteratorINS9_11use_defaultEEEs11max_functorIsEsEEDaPvRmT3_T4_T5_mT6_P12ihipStream_tbENKUlT_T0_E_clISt17integral_constantIbLb0EESW_IbLb1EEEEDaSS_ST_EUlSS_E_NS1_11comp_targetILNS1_3genE10ELNS1_11target_archE1201ELNS1_3gpuE5ELNS1_3repE0EEENS1_30default_config_static_selectorELNS0_4arch9wavefront6targetE1EEEvT1_ ; -- Begin function _ZN7rocprim17ROCPRIM_400000_NS6detail17trampoline_kernelINS0_14default_configENS1_20scan_config_selectorIsEEZZNS1_9scan_implILNS1_25lookback_scan_determinismE0ELb1ELb1ES3_N6thrust23THRUST_200600_302600_NS6detail15normal_iteratorINS9_10device_ptrIsEEEENS9_16discard_iteratorINS9_11use_defaultEEEs11max_functorIsEsEEDaPvRmT3_T4_T5_mT6_P12ihipStream_tbENKUlT_T0_E_clISt17integral_constantIbLb0EESW_IbLb1EEEEDaSS_ST_EUlSS_E_NS1_11comp_targetILNS1_3genE10ELNS1_11target_archE1201ELNS1_3gpuE5ELNS1_3repE0EEENS1_30default_config_static_selectorELNS0_4arch9wavefront6targetE1EEEvT1_
	.globl	_ZN7rocprim17ROCPRIM_400000_NS6detail17trampoline_kernelINS0_14default_configENS1_20scan_config_selectorIsEEZZNS1_9scan_implILNS1_25lookback_scan_determinismE0ELb1ELb1ES3_N6thrust23THRUST_200600_302600_NS6detail15normal_iteratorINS9_10device_ptrIsEEEENS9_16discard_iteratorINS9_11use_defaultEEEs11max_functorIsEsEEDaPvRmT3_T4_T5_mT6_P12ihipStream_tbENKUlT_T0_E_clISt17integral_constantIbLb0EESW_IbLb1EEEEDaSS_ST_EUlSS_E_NS1_11comp_targetILNS1_3genE10ELNS1_11target_archE1201ELNS1_3gpuE5ELNS1_3repE0EEENS1_30default_config_static_selectorELNS0_4arch9wavefront6targetE1EEEvT1_
	.p2align	8
	.type	_ZN7rocprim17ROCPRIM_400000_NS6detail17trampoline_kernelINS0_14default_configENS1_20scan_config_selectorIsEEZZNS1_9scan_implILNS1_25lookback_scan_determinismE0ELb1ELb1ES3_N6thrust23THRUST_200600_302600_NS6detail15normal_iteratorINS9_10device_ptrIsEEEENS9_16discard_iteratorINS9_11use_defaultEEEs11max_functorIsEsEEDaPvRmT3_T4_T5_mT6_P12ihipStream_tbENKUlT_T0_E_clISt17integral_constantIbLb0EESW_IbLb1EEEEDaSS_ST_EUlSS_E_NS1_11comp_targetILNS1_3genE10ELNS1_11target_archE1201ELNS1_3gpuE5ELNS1_3repE0EEENS1_30default_config_static_selectorELNS0_4arch9wavefront6targetE1EEEvT1_,@function
_ZN7rocprim17ROCPRIM_400000_NS6detail17trampoline_kernelINS0_14default_configENS1_20scan_config_selectorIsEEZZNS1_9scan_implILNS1_25lookback_scan_determinismE0ELb1ELb1ES3_N6thrust23THRUST_200600_302600_NS6detail15normal_iteratorINS9_10device_ptrIsEEEENS9_16discard_iteratorINS9_11use_defaultEEEs11max_functorIsEsEEDaPvRmT3_T4_T5_mT6_P12ihipStream_tbENKUlT_T0_E_clISt17integral_constantIbLb0EESW_IbLb1EEEEDaSS_ST_EUlSS_E_NS1_11comp_targetILNS1_3genE10ELNS1_11target_archE1201ELNS1_3gpuE5ELNS1_3repE0EEENS1_30default_config_static_selectorELNS0_4arch9wavefront6targetE1EEEvT1_: ; @_ZN7rocprim17ROCPRIM_400000_NS6detail17trampoline_kernelINS0_14default_configENS1_20scan_config_selectorIsEEZZNS1_9scan_implILNS1_25lookback_scan_determinismE0ELb1ELb1ES3_N6thrust23THRUST_200600_302600_NS6detail15normal_iteratorINS9_10device_ptrIsEEEENS9_16discard_iteratorINS9_11use_defaultEEEs11max_functorIsEsEEDaPvRmT3_T4_T5_mT6_P12ihipStream_tbENKUlT_T0_E_clISt17integral_constantIbLb0EESW_IbLb1EEEEDaSS_ST_EUlSS_E_NS1_11comp_targetILNS1_3genE10ELNS1_11target_archE1201ELNS1_3gpuE5ELNS1_3repE0EEENS1_30default_config_static_selectorELNS0_4arch9wavefront6targetE1EEEvT1_
; %bb.0:
	.section	.rodata,"a",@progbits
	.p2align	6, 0x0
	.amdhsa_kernel _ZN7rocprim17ROCPRIM_400000_NS6detail17trampoline_kernelINS0_14default_configENS1_20scan_config_selectorIsEEZZNS1_9scan_implILNS1_25lookback_scan_determinismE0ELb1ELb1ES3_N6thrust23THRUST_200600_302600_NS6detail15normal_iteratorINS9_10device_ptrIsEEEENS9_16discard_iteratorINS9_11use_defaultEEEs11max_functorIsEsEEDaPvRmT3_T4_T5_mT6_P12ihipStream_tbENKUlT_T0_E_clISt17integral_constantIbLb0EESW_IbLb1EEEEDaSS_ST_EUlSS_E_NS1_11comp_targetILNS1_3genE10ELNS1_11target_archE1201ELNS1_3gpuE5ELNS1_3repE0EEENS1_30default_config_static_selectorELNS0_4arch9wavefront6targetE1EEEvT1_
		.amdhsa_group_segment_fixed_size 0
		.amdhsa_private_segment_fixed_size 0
		.amdhsa_kernarg_size 104
		.amdhsa_user_sgpr_count 6
		.amdhsa_user_sgpr_private_segment_buffer 1
		.amdhsa_user_sgpr_dispatch_ptr 0
		.amdhsa_user_sgpr_queue_ptr 0
		.amdhsa_user_sgpr_kernarg_segment_ptr 1
		.amdhsa_user_sgpr_dispatch_id 0
		.amdhsa_user_sgpr_flat_scratch_init 0
		.amdhsa_user_sgpr_kernarg_preload_length 0
		.amdhsa_user_sgpr_kernarg_preload_offset 0
		.amdhsa_user_sgpr_private_segment_size 0
		.amdhsa_uses_dynamic_stack 0
		.amdhsa_system_sgpr_private_segment_wavefront_offset 0
		.amdhsa_system_sgpr_workgroup_id_x 1
		.amdhsa_system_sgpr_workgroup_id_y 0
		.amdhsa_system_sgpr_workgroup_id_z 0
		.amdhsa_system_sgpr_workgroup_info 0
		.amdhsa_system_vgpr_workitem_id 0
		.amdhsa_next_free_vgpr 1
		.amdhsa_next_free_sgpr 0
		.amdhsa_accum_offset 4
		.amdhsa_reserve_vcc 0
		.amdhsa_reserve_flat_scratch 0
		.amdhsa_float_round_mode_32 0
		.amdhsa_float_round_mode_16_64 0
		.amdhsa_float_denorm_mode_32 3
		.amdhsa_float_denorm_mode_16_64 3
		.amdhsa_dx10_clamp 1
		.amdhsa_ieee_mode 1
		.amdhsa_fp16_overflow 0
		.amdhsa_tg_split 0
		.amdhsa_exception_fp_ieee_invalid_op 0
		.amdhsa_exception_fp_denorm_src 0
		.amdhsa_exception_fp_ieee_div_zero 0
		.amdhsa_exception_fp_ieee_overflow 0
		.amdhsa_exception_fp_ieee_underflow 0
		.amdhsa_exception_fp_ieee_inexact 0
		.amdhsa_exception_int_div_zero 0
	.end_amdhsa_kernel
	.section	.text._ZN7rocprim17ROCPRIM_400000_NS6detail17trampoline_kernelINS0_14default_configENS1_20scan_config_selectorIsEEZZNS1_9scan_implILNS1_25lookback_scan_determinismE0ELb1ELb1ES3_N6thrust23THRUST_200600_302600_NS6detail15normal_iteratorINS9_10device_ptrIsEEEENS9_16discard_iteratorINS9_11use_defaultEEEs11max_functorIsEsEEDaPvRmT3_T4_T5_mT6_P12ihipStream_tbENKUlT_T0_E_clISt17integral_constantIbLb0EESW_IbLb1EEEEDaSS_ST_EUlSS_E_NS1_11comp_targetILNS1_3genE10ELNS1_11target_archE1201ELNS1_3gpuE5ELNS1_3repE0EEENS1_30default_config_static_selectorELNS0_4arch9wavefront6targetE1EEEvT1_,"axG",@progbits,_ZN7rocprim17ROCPRIM_400000_NS6detail17trampoline_kernelINS0_14default_configENS1_20scan_config_selectorIsEEZZNS1_9scan_implILNS1_25lookback_scan_determinismE0ELb1ELb1ES3_N6thrust23THRUST_200600_302600_NS6detail15normal_iteratorINS9_10device_ptrIsEEEENS9_16discard_iteratorINS9_11use_defaultEEEs11max_functorIsEsEEDaPvRmT3_T4_T5_mT6_P12ihipStream_tbENKUlT_T0_E_clISt17integral_constantIbLb0EESW_IbLb1EEEEDaSS_ST_EUlSS_E_NS1_11comp_targetILNS1_3genE10ELNS1_11target_archE1201ELNS1_3gpuE5ELNS1_3repE0EEENS1_30default_config_static_selectorELNS0_4arch9wavefront6targetE1EEEvT1_,comdat
.Lfunc_end4129:
	.size	_ZN7rocprim17ROCPRIM_400000_NS6detail17trampoline_kernelINS0_14default_configENS1_20scan_config_selectorIsEEZZNS1_9scan_implILNS1_25lookback_scan_determinismE0ELb1ELb1ES3_N6thrust23THRUST_200600_302600_NS6detail15normal_iteratorINS9_10device_ptrIsEEEENS9_16discard_iteratorINS9_11use_defaultEEEs11max_functorIsEsEEDaPvRmT3_T4_T5_mT6_P12ihipStream_tbENKUlT_T0_E_clISt17integral_constantIbLb0EESW_IbLb1EEEEDaSS_ST_EUlSS_E_NS1_11comp_targetILNS1_3genE10ELNS1_11target_archE1201ELNS1_3gpuE5ELNS1_3repE0EEENS1_30default_config_static_selectorELNS0_4arch9wavefront6targetE1EEEvT1_, .Lfunc_end4129-_ZN7rocprim17ROCPRIM_400000_NS6detail17trampoline_kernelINS0_14default_configENS1_20scan_config_selectorIsEEZZNS1_9scan_implILNS1_25lookback_scan_determinismE0ELb1ELb1ES3_N6thrust23THRUST_200600_302600_NS6detail15normal_iteratorINS9_10device_ptrIsEEEENS9_16discard_iteratorINS9_11use_defaultEEEs11max_functorIsEsEEDaPvRmT3_T4_T5_mT6_P12ihipStream_tbENKUlT_T0_E_clISt17integral_constantIbLb0EESW_IbLb1EEEEDaSS_ST_EUlSS_E_NS1_11comp_targetILNS1_3genE10ELNS1_11target_archE1201ELNS1_3gpuE5ELNS1_3repE0EEENS1_30default_config_static_selectorELNS0_4arch9wavefront6targetE1EEEvT1_
                                        ; -- End function
	.section	.AMDGPU.csdata,"",@progbits
; Kernel info:
; codeLenInByte = 0
; NumSgprs: 4
; NumVgprs: 0
; NumAgprs: 0
; TotalNumVgprs: 0
; ScratchSize: 0
; MemoryBound: 0
; FloatMode: 240
; IeeeMode: 1
; LDSByteSize: 0 bytes/workgroup (compile time only)
; SGPRBlocks: 0
; VGPRBlocks: 0
; NumSGPRsForWavesPerEU: 4
; NumVGPRsForWavesPerEU: 1
; AccumOffset: 4
; Occupancy: 8
; WaveLimiterHint : 0
; COMPUTE_PGM_RSRC2:SCRATCH_EN: 0
; COMPUTE_PGM_RSRC2:USER_SGPR: 6
; COMPUTE_PGM_RSRC2:TRAP_HANDLER: 0
; COMPUTE_PGM_RSRC2:TGID_X_EN: 1
; COMPUTE_PGM_RSRC2:TGID_Y_EN: 0
; COMPUTE_PGM_RSRC2:TGID_Z_EN: 0
; COMPUTE_PGM_RSRC2:TIDIG_COMP_CNT: 0
; COMPUTE_PGM_RSRC3_GFX90A:ACCUM_OFFSET: 0
; COMPUTE_PGM_RSRC3_GFX90A:TG_SPLIT: 0
	.section	.text._ZN7rocprim17ROCPRIM_400000_NS6detail17trampoline_kernelINS0_14default_configENS1_20scan_config_selectorIsEEZZNS1_9scan_implILNS1_25lookback_scan_determinismE0ELb1ELb1ES3_N6thrust23THRUST_200600_302600_NS6detail15normal_iteratorINS9_10device_ptrIsEEEENS9_16discard_iteratorINS9_11use_defaultEEEs11max_functorIsEsEEDaPvRmT3_T4_T5_mT6_P12ihipStream_tbENKUlT_T0_E_clISt17integral_constantIbLb0EESW_IbLb1EEEEDaSS_ST_EUlSS_E_NS1_11comp_targetILNS1_3genE10ELNS1_11target_archE1200ELNS1_3gpuE4ELNS1_3repE0EEENS1_30default_config_static_selectorELNS0_4arch9wavefront6targetE1EEEvT1_,"axG",@progbits,_ZN7rocprim17ROCPRIM_400000_NS6detail17trampoline_kernelINS0_14default_configENS1_20scan_config_selectorIsEEZZNS1_9scan_implILNS1_25lookback_scan_determinismE0ELb1ELb1ES3_N6thrust23THRUST_200600_302600_NS6detail15normal_iteratorINS9_10device_ptrIsEEEENS9_16discard_iteratorINS9_11use_defaultEEEs11max_functorIsEsEEDaPvRmT3_T4_T5_mT6_P12ihipStream_tbENKUlT_T0_E_clISt17integral_constantIbLb0EESW_IbLb1EEEEDaSS_ST_EUlSS_E_NS1_11comp_targetILNS1_3genE10ELNS1_11target_archE1200ELNS1_3gpuE4ELNS1_3repE0EEENS1_30default_config_static_selectorELNS0_4arch9wavefront6targetE1EEEvT1_,comdat
	.protected	_ZN7rocprim17ROCPRIM_400000_NS6detail17trampoline_kernelINS0_14default_configENS1_20scan_config_selectorIsEEZZNS1_9scan_implILNS1_25lookback_scan_determinismE0ELb1ELb1ES3_N6thrust23THRUST_200600_302600_NS6detail15normal_iteratorINS9_10device_ptrIsEEEENS9_16discard_iteratorINS9_11use_defaultEEEs11max_functorIsEsEEDaPvRmT3_T4_T5_mT6_P12ihipStream_tbENKUlT_T0_E_clISt17integral_constantIbLb0EESW_IbLb1EEEEDaSS_ST_EUlSS_E_NS1_11comp_targetILNS1_3genE10ELNS1_11target_archE1200ELNS1_3gpuE4ELNS1_3repE0EEENS1_30default_config_static_selectorELNS0_4arch9wavefront6targetE1EEEvT1_ ; -- Begin function _ZN7rocprim17ROCPRIM_400000_NS6detail17trampoline_kernelINS0_14default_configENS1_20scan_config_selectorIsEEZZNS1_9scan_implILNS1_25lookback_scan_determinismE0ELb1ELb1ES3_N6thrust23THRUST_200600_302600_NS6detail15normal_iteratorINS9_10device_ptrIsEEEENS9_16discard_iteratorINS9_11use_defaultEEEs11max_functorIsEsEEDaPvRmT3_T4_T5_mT6_P12ihipStream_tbENKUlT_T0_E_clISt17integral_constantIbLb0EESW_IbLb1EEEEDaSS_ST_EUlSS_E_NS1_11comp_targetILNS1_3genE10ELNS1_11target_archE1200ELNS1_3gpuE4ELNS1_3repE0EEENS1_30default_config_static_selectorELNS0_4arch9wavefront6targetE1EEEvT1_
	.globl	_ZN7rocprim17ROCPRIM_400000_NS6detail17trampoline_kernelINS0_14default_configENS1_20scan_config_selectorIsEEZZNS1_9scan_implILNS1_25lookback_scan_determinismE0ELb1ELb1ES3_N6thrust23THRUST_200600_302600_NS6detail15normal_iteratorINS9_10device_ptrIsEEEENS9_16discard_iteratorINS9_11use_defaultEEEs11max_functorIsEsEEDaPvRmT3_T4_T5_mT6_P12ihipStream_tbENKUlT_T0_E_clISt17integral_constantIbLb0EESW_IbLb1EEEEDaSS_ST_EUlSS_E_NS1_11comp_targetILNS1_3genE10ELNS1_11target_archE1200ELNS1_3gpuE4ELNS1_3repE0EEENS1_30default_config_static_selectorELNS0_4arch9wavefront6targetE1EEEvT1_
	.p2align	8
	.type	_ZN7rocprim17ROCPRIM_400000_NS6detail17trampoline_kernelINS0_14default_configENS1_20scan_config_selectorIsEEZZNS1_9scan_implILNS1_25lookback_scan_determinismE0ELb1ELb1ES3_N6thrust23THRUST_200600_302600_NS6detail15normal_iteratorINS9_10device_ptrIsEEEENS9_16discard_iteratorINS9_11use_defaultEEEs11max_functorIsEsEEDaPvRmT3_T4_T5_mT6_P12ihipStream_tbENKUlT_T0_E_clISt17integral_constantIbLb0EESW_IbLb1EEEEDaSS_ST_EUlSS_E_NS1_11comp_targetILNS1_3genE10ELNS1_11target_archE1200ELNS1_3gpuE4ELNS1_3repE0EEENS1_30default_config_static_selectorELNS0_4arch9wavefront6targetE1EEEvT1_,@function
_ZN7rocprim17ROCPRIM_400000_NS6detail17trampoline_kernelINS0_14default_configENS1_20scan_config_selectorIsEEZZNS1_9scan_implILNS1_25lookback_scan_determinismE0ELb1ELb1ES3_N6thrust23THRUST_200600_302600_NS6detail15normal_iteratorINS9_10device_ptrIsEEEENS9_16discard_iteratorINS9_11use_defaultEEEs11max_functorIsEsEEDaPvRmT3_T4_T5_mT6_P12ihipStream_tbENKUlT_T0_E_clISt17integral_constantIbLb0EESW_IbLb1EEEEDaSS_ST_EUlSS_E_NS1_11comp_targetILNS1_3genE10ELNS1_11target_archE1200ELNS1_3gpuE4ELNS1_3repE0EEENS1_30default_config_static_selectorELNS0_4arch9wavefront6targetE1EEEvT1_: ; @_ZN7rocprim17ROCPRIM_400000_NS6detail17trampoline_kernelINS0_14default_configENS1_20scan_config_selectorIsEEZZNS1_9scan_implILNS1_25lookback_scan_determinismE0ELb1ELb1ES3_N6thrust23THRUST_200600_302600_NS6detail15normal_iteratorINS9_10device_ptrIsEEEENS9_16discard_iteratorINS9_11use_defaultEEEs11max_functorIsEsEEDaPvRmT3_T4_T5_mT6_P12ihipStream_tbENKUlT_T0_E_clISt17integral_constantIbLb0EESW_IbLb1EEEEDaSS_ST_EUlSS_E_NS1_11comp_targetILNS1_3genE10ELNS1_11target_archE1200ELNS1_3gpuE4ELNS1_3repE0EEENS1_30default_config_static_selectorELNS0_4arch9wavefront6targetE1EEEvT1_
; %bb.0:
	.section	.rodata,"a",@progbits
	.p2align	6, 0x0
	.amdhsa_kernel _ZN7rocprim17ROCPRIM_400000_NS6detail17trampoline_kernelINS0_14default_configENS1_20scan_config_selectorIsEEZZNS1_9scan_implILNS1_25lookback_scan_determinismE0ELb1ELb1ES3_N6thrust23THRUST_200600_302600_NS6detail15normal_iteratorINS9_10device_ptrIsEEEENS9_16discard_iteratorINS9_11use_defaultEEEs11max_functorIsEsEEDaPvRmT3_T4_T5_mT6_P12ihipStream_tbENKUlT_T0_E_clISt17integral_constantIbLb0EESW_IbLb1EEEEDaSS_ST_EUlSS_E_NS1_11comp_targetILNS1_3genE10ELNS1_11target_archE1200ELNS1_3gpuE4ELNS1_3repE0EEENS1_30default_config_static_selectorELNS0_4arch9wavefront6targetE1EEEvT1_
		.amdhsa_group_segment_fixed_size 0
		.amdhsa_private_segment_fixed_size 0
		.amdhsa_kernarg_size 104
		.amdhsa_user_sgpr_count 6
		.amdhsa_user_sgpr_private_segment_buffer 1
		.amdhsa_user_sgpr_dispatch_ptr 0
		.amdhsa_user_sgpr_queue_ptr 0
		.amdhsa_user_sgpr_kernarg_segment_ptr 1
		.amdhsa_user_sgpr_dispatch_id 0
		.amdhsa_user_sgpr_flat_scratch_init 0
		.amdhsa_user_sgpr_kernarg_preload_length 0
		.amdhsa_user_sgpr_kernarg_preload_offset 0
		.amdhsa_user_sgpr_private_segment_size 0
		.amdhsa_uses_dynamic_stack 0
		.amdhsa_system_sgpr_private_segment_wavefront_offset 0
		.amdhsa_system_sgpr_workgroup_id_x 1
		.amdhsa_system_sgpr_workgroup_id_y 0
		.amdhsa_system_sgpr_workgroup_id_z 0
		.amdhsa_system_sgpr_workgroup_info 0
		.amdhsa_system_vgpr_workitem_id 0
		.amdhsa_next_free_vgpr 1
		.amdhsa_next_free_sgpr 0
		.amdhsa_accum_offset 4
		.amdhsa_reserve_vcc 0
		.amdhsa_reserve_flat_scratch 0
		.amdhsa_float_round_mode_32 0
		.amdhsa_float_round_mode_16_64 0
		.amdhsa_float_denorm_mode_32 3
		.amdhsa_float_denorm_mode_16_64 3
		.amdhsa_dx10_clamp 1
		.amdhsa_ieee_mode 1
		.amdhsa_fp16_overflow 0
		.amdhsa_tg_split 0
		.amdhsa_exception_fp_ieee_invalid_op 0
		.amdhsa_exception_fp_denorm_src 0
		.amdhsa_exception_fp_ieee_div_zero 0
		.amdhsa_exception_fp_ieee_overflow 0
		.amdhsa_exception_fp_ieee_underflow 0
		.amdhsa_exception_fp_ieee_inexact 0
		.amdhsa_exception_int_div_zero 0
	.end_amdhsa_kernel
	.section	.text._ZN7rocprim17ROCPRIM_400000_NS6detail17trampoline_kernelINS0_14default_configENS1_20scan_config_selectorIsEEZZNS1_9scan_implILNS1_25lookback_scan_determinismE0ELb1ELb1ES3_N6thrust23THRUST_200600_302600_NS6detail15normal_iteratorINS9_10device_ptrIsEEEENS9_16discard_iteratorINS9_11use_defaultEEEs11max_functorIsEsEEDaPvRmT3_T4_T5_mT6_P12ihipStream_tbENKUlT_T0_E_clISt17integral_constantIbLb0EESW_IbLb1EEEEDaSS_ST_EUlSS_E_NS1_11comp_targetILNS1_3genE10ELNS1_11target_archE1200ELNS1_3gpuE4ELNS1_3repE0EEENS1_30default_config_static_selectorELNS0_4arch9wavefront6targetE1EEEvT1_,"axG",@progbits,_ZN7rocprim17ROCPRIM_400000_NS6detail17trampoline_kernelINS0_14default_configENS1_20scan_config_selectorIsEEZZNS1_9scan_implILNS1_25lookback_scan_determinismE0ELb1ELb1ES3_N6thrust23THRUST_200600_302600_NS6detail15normal_iteratorINS9_10device_ptrIsEEEENS9_16discard_iteratorINS9_11use_defaultEEEs11max_functorIsEsEEDaPvRmT3_T4_T5_mT6_P12ihipStream_tbENKUlT_T0_E_clISt17integral_constantIbLb0EESW_IbLb1EEEEDaSS_ST_EUlSS_E_NS1_11comp_targetILNS1_3genE10ELNS1_11target_archE1200ELNS1_3gpuE4ELNS1_3repE0EEENS1_30default_config_static_selectorELNS0_4arch9wavefront6targetE1EEEvT1_,comdat
.Lfunc_end4130:
	.size	_ZN7rocprim17ROCPRIM_400000_NS6detail17trampoline_kernelINS0_14default_configENS1_20scan_config_selectorIsEEZZNS1_9scan_implILNS1_25lookback_scan_determinismE0ELb1ELb1ES3_N6thrust23THRUST_200600_302600_NS6detail15normal_iteratorINS9_10device_ptrIsEEEENS9_16discard_iteratorINS9_11use_defaultEEEs11max_functorIsEsEEDaPvRmT3_T4_T5_mT6_P12ihipStream_tbENKUlT_T0_E_clISt17integral_constantIbLb0EESW_IbLb1EEEEDaSS_ST_EUlSS_E_NS1_11comp_targetILNS1_3genE10ELNS1_11target_archE1200ELNS1_3gpuE4ELNS1_3repE0EEENS1_30default_config_static_selectorELNS0_4arch9wavefront6targetE1EEEvT1_, .Lfunc_end4130-_ZN7rocprim17ROCPRIM_400000_NS6detail17trampoline_kernelINS0_14default_configENS1_20scan_config_selectorIsEEZZNS1_9scan_implILNS1_25lookback_scan_determinismE0ELb1ELb1ES3_N6thrust23THRUST_200600_302600_NS6detail15normal_iteratorINS9_10device_ptrIsEEEENS9_16discard_iteratorINS9_11use_defaultEEEs11max_functorIsEsEEDaPvRmT3_T4_T5_mT6_P12ihipStream_tbENKUlT_T0_E_clISt17integral_constantIbLb0EESW_IbLb1EEEEDaSS_ST_EUlSS_E_NS1_11comp_targetILNS1_3genE10ELNS1_11target_archE1200ELNS1_3gpuE4ELNS1_3repE0EEENS1_30default_config_static_selectorELNS0_4arch9wavefront6targetE1EEEvT1_
                                        ; -- End function
	.section	.AMDGPU.csdata,"",@progbits
; Kernel info:
; codeLenInByte = 0
; NumSgprs: 4
; NumVgprs: 0
; NumAgprs: 0
; TotalNumVgprs: 0
; ScratchSize: 0
; MemoryBound: 0
; FloatMode: 240
; IeeeMode: 1
; LDSByteSize: 0 bytes/workgroup (compile time only)
; SGPRBlocks: 0
; VGPRBlocks: 0
; NumSGPRsForWavesPerEU: 4
; NumVGPRsForWavesPerEU: 1
; AccumOffset: 4
; Occupancy: 8
; WaveLimiterHint : 0
; COMPUTE_PGM_RSRC2:SCRATCH_EN: 0
; COMPUTE_PGM_RSRC2:USER_SGPR: 6
; COMPUTE_PGM_RSRC2:TRAP_HANDLER: 0
; COMPUTE_PGM_RSRC2:TGID_X_EN: 1
; COMPUTE_PGM_RSRC2:TGID_Y_EN: 0
; COMPUTE_PGM_RSRC2:TGID_Z_EN: 0
; COMPUTE_PGM_RSRC2:TIDIG_COMP_CNT: 0
; COMPUTE_PGM_RSRC3_GFX90A:ACCUM_OFFSET: 0
; COMPUTE_PGM_RSRC3_GFX90A:TG_SPLIT: 0
	.section	.text._ZN7rocprim17ROCPRIM_400000_NS6detail17trampoline_kernelINS0_14default_configENS1_20scan_config_selectorIsEEZZNS1_9scan_implILNS1_25lookback_scan_determinismE0ELb1ELb1ES3_N6thrust23THRUST_200600_302600_NS6detail15normal_iteratorINS9_10device_ptrIsEEEENS9_16discard_iteratorINS9_11use_defaultEEEs11max_functorIsEsEEDaPvRmT3_T4_T5_mT6_P12ihipStream_tbENKUlT_T0_E_clISt17integral_constantIbLb0EESW_IbLb1EEEEDaSS_ST_EUlSS_E_NS1_11comp_targetILNS1_3genE9ELNS1_11target_archE1100ELNS1_3gpuE3ELNS1_3repE0EEENS1_30default_config_static_selectorELNS0_4arch9wavefront6targetE1EEEvT1_,"axG",@progbits,_ZN7rocprim17ROCPRIM_400000_NS6detail17trampoline_kernelINS0_14default_configENS1_20scan_config_selectorIsEEZZNS1_9scan_implILNS1_25lookback_scan_determinismE0ELb1ELb1ES3_N6thrust23THRUST_200600_302600_NS6detail15normal_iteratorINS9_10device_ptrIsEEEENS9_16discard_iteratorINS9_11use_defaultEEEs11max_functorIsEsEEDaPvRmT3_T4_T5_mT6_P12ihipStream_tbENKUlT_T0_E_clISt17integral_constantIbLb0EESW_IbLb1EEEEDaSS_ST_EUlSS_E_NS1_11comp_targetILNS1_3genE9ELNS1_11target_archE1100ELNS1_3gpuE3ELNS1_3repE0EEENS1_30default_config_static_selectorELNS0_4arch9wavefront6targetE1EEEvT1_,comdat
	.protected	_ZN7rocprim17ROCPRIM_400000_NS6detail17trampoline_kernelINS0_14default_configENS1_20scan_config_selectorIsEEZZNS1_9scan_implILNS1_25lookback_scan_determinismE0ELb1ELb1ES3_N6thrust23THRUST_200600_302600_NS6detail15normal_iteratorINS9_10device_ptrIsEEEENS9_16discard_iteratorINS9_11use_defaultEEEs11max_functorIsEsEEDaPvRmT3_T4_T5_mT6_P12ihipStream_tbENKUlT_T0_E_clISt17integral_constantIbLb0EESW_IbLb1EEEEDaSS_ST_EUlSS_E_NS1_11comp_targetILNS1_3genE9ELNS1_11target_archE1100ELNS1_3gpuE3ELNS1_3repE0EEENS1_30default_config_static_selectorELNS0_4arch9wavefront6targetE1EEEvT1_ ; -- Begin function _ZN7rocprim17ROCPRIM_400000_NS6detail17trampoline_kernelINS0_14default_configENS1_20scan_config_selectorIsEEZZNS1_9scan_implILNS1_25lookback_scan_determinismE0ELb1ELb1ES3_N6thrust23THRUST_200600_302600_NS6detail15normal_iteratorINS9_10device_ptrIsEEEENS9_16discard_iteratorINS9_11use_defaultEEEs11max_functorIsEsEEDaPvRmT3_T4_T5_mT6_P12ihipStream_tbENKUlT_T0_E_clISt17integral_constantIbLb0EESW_IbLb1EEEEDaSS_ST_EUlSS_E_NS1_11comp_targetILNS1_3genE9ELNS1_11target_archE1100ELNS1_3gpuE3ELNS1_3repE0EEENS1_30default_config_static_selectorELNS0_4arch9wavefront6targetE1EEEvT1_
	.globl	_ZN7rocprim17ROCPRIM_400000_NS6detail17trampoline_kernelINS0_14default_configENS1_20scan_config_selectorIsEEZZNS1_9scan_implILNS1_25lookback_scan_determinismE0ELb1ELb1ES3_N6thrust23THRUST_200600_302600_NS6detail15normal_iteratorINS9_10device_ptrIsEEEENS9_16discard_iteratorINS9_11use_defaultEEEs11max_functorIsEsEEDaPvRmT3_T4_T5_mT6_P12ihipStream_tbENKUlT_T0_E_clISt17integral_constantIbLb0EESW_IbLb1EEEEDaSS_ST_EUlSS_E_NS1_11comp_targetILNS1_3genE9ELNS1_11target_archE1100ELNS1_3gpuE3ELNS1_3repE0EEENS1_30default_config_static_selectorELNS0_4arch9wavefront6targetE1EEEvT1_
	.p2align	8
	.type	_ZN7rocprim17ROCPRIM_400000_NS6detail17trampoline_kernelINS0_14default_configENS1_20scan_config_selectorIsEEZZNS1_9scan_implILNS1_25lookback_scan_determinismE0ELb1ELb1ES3_N6thrust23THRUST_200600_302600_NS6detail15normal_iteratorINS9_10device_ptrIsEEEENS9_16discard_iteratorINS9_11use_defaultEEEs11max_functorIsEsEEDaPvRmT3_T4_T5_mT6_P12ihipStream_tbENKUlT_T0_E_clISt17integral_constantIbLb0EESW_IbLb1EEEEDaSS_ST_EUlSS_E_NS1_11comp_targetILNS1_3genE9ELNS1_11target_archE1100ELNS1_3gpuE3ELNS1_3repE0EEENS1_30default_config_static_selectorELNS0_4arch9wavefront6targetE1EEEvT1_,@function
_ZN7rocprim17ROCPRIM_400000_NS6detail17trampoline_kernelINS0_14default_configENS1_20scan_config_selectorIsEEZZNS1_9scan_implILNS1_25lookback_scan_determinismE0ELb1ELb1ES3_N6thrust23THRUST_200600_302600_NS6detail15normal_iteratorINS9_10device_ptrIsEEEENS9_16discard_iteratorINS9_11use_defaultEEEs11max_functorIsEsEEDaPvRmT3_T4_T5_mT6_P12ihipStream_tbENKUlT_T0_E_clISt17integral_constantIbLb0EESW_IbLb1EEEEDaSS_ST_EUlSS_E_NS1_11comp_targetILNS1_3genE9ELNS1_11target_archE1100ELNS1_3gpuE3ELNS1_3repE0EEENS1_30default_config_static_selectorELNS0_4arch9wavefront6targetE1EEEvT1_: ; @_ZN7rocprim17ROCPRIM_400000_NS6detail17trampoline_kernelINS0_14default_configENS1_20scan_config_selectorIsEEZZNS1_9scan_implILNS1_25lookback_scan_determinismE0ELb1ELb1ES3_N6thrust23THRUST_200600_302600_NS6detail15normal_iteratorINS9_10device_ptrIsEEEENS9_16discard_iteratorINS9_11use_defaultEEEs11max_functorIsEsEEDaPvRmT3_T4_T5_mT6_P12ihipStream_tbENKUlT_T0_E_clISt17integral_constantIbLb0EESW_IbLb1EEEEDaSS_ST_EUlSS_E_NS1_11comp_targetILNS1_3genE9ELNS1_11target_archE1100ELNS1_3gpuE3ELNS1_3repE0EEENS1_30default_config_static_selectorELNS0_4arch9wavefront6targetE1EEEvT1_
; %bb.0:
	.section	.rodata,"a",@progbits
	.p2align	6, 0x0
	.amdhsa_kernel _ZN7rocprim17ROCPRIM_400000_NS6detail17trampoline_kernelINS0_14default_configENS1_20scan_config_selectorIsEEZZNS1_9scan_implILNS1_25lookback_scan_determinismE0ELb1ELb1ES3_N6thrust23THRUST_200600_302600_NS6detail15normal_iteratorINS9_10device_ptrIsEEEENS9_16discard_iteratorINS9_11use_defaultEEEs11max_functorIsEsEEDaPvRmT3_T4_T5_mT6_P12ihipStream_tbENKUlT_T0_E_clISt17integral_constantIbLb0EESW_IbLb1EEEEDaSS_ST_EUlSS_E_NS1_11comp_targetILNS1_3genE9ELNS1_11target_archE1100ELNS1_3gpuE3ELNS1_3repE0EEENS1_30default_config_static_selectorELNS0_4arch9wavefront6targetE1EEEvT1_
		.amdhsa_group_segment_fixed_size 0
		.amdhsa_private_segment_fixed_size 0
		.amdhsa_kernarg_size 104
		.amdhsa_user_sgpr_count 6
		.amdhsa_user_sgpr_private_segment_buffer 1
		.amdhsa_user_sgpr_dispatch_ptr 0
		.amdhsa_user_sgpr_queue_ptr 0
		.amdhsa_user_sgpr_kernarg_segment_ptr 1
		.amdhsa_user_sgpr_dispatch_id 0
		.amdhsa_user_sgpr_flat_scratch_init 0
		.amdhsa_user_sgpr_kernarg_preload_length 0
		.amdhsa_user_sgpr_kernarg_preload_offset 0
		.amdhsa_user_sgpr_private_segment_size 0
		.amdhsa_uses_dynamic_stack 0
		.amdhsa_system_sgpr_private_segment_wavefront_offset 0
		.amdhsa_system_sgpr_workgroup_id_x 1
		.amdhsa_system_sgpr_workgroup_id_y 0
		.amdhsa_system_sgpr_workgroup_id_z 0
		.amdhsa_system_sgpr_workgroup_info 0
		.amdhsa_system_vgpr_workitem_id 0
		.amdhsa_next_free_vgpr 1
		.amdhsa_next_free_sgpr 0
		.amdhsa_accum_offset 4
		.amdhsa_reserve_vcc 0
		.amdhsa_reserve_flat_scratch 0
		.amdhsa_float_round_mode_32 0
		.amdhsa_float_round_mode_16_64 0
		.amdhsa_float_denorm_mode_32 3
		.amdhsa_float_denorm_mode_16_64 3
		.amdhsa_dx10_clamp 1
		.amdhsa_ieee_mode 1
		.amdhsa_fp16_overflow 0
		.amdhsa_tg_split 0
		.amdhsa_exception_fp_ieee_invalid_op 0
		.amdhsa_exception_fp_denorm_src 0
		.amdhsa_exception_fp_ieee_div_zero 0
		.amdhsa_exception_fp_ieee_overflow 0
		.amdhsa_exception_fp_ieee_underflow 0
		.amdhsa_exception_fp_ieee_inexact 0
		.amdhsa_exception_int_div_zero 0
	.end_amdhsa_kernel
	.section	.text._ZN7rocprim17ROCPRIM_400000_NS6detail17trampoline_kernelINS0_14default_configENS1_20scan_config_selectorIsEEZZNS1_9scan_implILNS1_25lookback_scan_determinismE0ELb1ELb1ES3_N6thrust23THRUST_200600_302600_NS6detail15normal_iteratorINS9_10device_ptrIsEEEENS9_16discard_iteratorINS9_11use_defaultEEEs11max_functorIsEsEEDaPvRmT3_T4_T5_mT6_P12ihipStream_tbENKUlT_T0_E_clISt17integral_constantIbLb0EESW_IbLb1EEEEDaSS_ST_EUlSS_E_NS1_11comp_targetILNS1_3genE9ELNS1_11target_archE1100ELNS1_3gpuE3ELNS1_3repE0EEENS1_30default_config_static_selectorELNS0_4arch9wavefront6targetE1EEEvT1_,"axG",@progbits,_ZN7rocprim17ROCPRIM_400000_NS6detail17trampoline_kernelINS0_14default_configENS1_20scan_config_selectorIsEEZZNS1_9scan_implILNS1_25lookback_scan_determinismE0ELb1ELb1ES3_N6thrust23THRUST_200600_302600_NS6detail15normal_iteratorINS9_10device_ptrIsEEEENS9_16discard_iteratorINS9_11use_defaultEEEs11max_functorIsEsEEDaPvRmT3_T4_T5_mT6_P12ihipStream_tbENKUlT_T0_E_clISt17integral_constantIbLb0EESW_IbLb1EEEEDaSS_ST_EUlSS_E_NS1_11comp_targetILNS1_3genE9ELNS1_11target_archE1100ELNS1_3gpuE3ELNS1_3repE0EEENS1_30default_config_static_selectorELNS0_4arch9wavefront6targetE1EEEvT1_,comdat
.Lfunc_end4131:
	.size	_ZN7rocprim17ROCPRIM_400000_NS6detail17trampoline_kernelINS0_14default_configENS1_20scan_config_selectorIsEEZZNS1_9scan_implILNS1_25lookback_scan_determinismE0ELb1ELb1ES3_N6thrust23THRUST_200600_302600_NS6detail15normal_iteratorINS9_10device_ptrIsEEEENS9_16discard_iteratorINS9_11use_defaultEEEs11max_functorIsEsEEDaPvRmT3_T4_T5_mT6_P12ihipStream_tbENKUlT_T0_E_clISt17integral_constantIbLb0EESW_IbLb1EEEEDaSS_ST_EUlSS_E_NS1_11comp_targetILNS1_3genE9ELNS1_11target_archE1100ELNS1_3gpuE3ELNS1_3repE0EEENS1_30default_config_static_selectorELNS0_4arch9wavefront6targetE1EEEvT1_, .Lfunc_end4131-_ZN7rocprim17ROCPRIM_400000_NS6detail17trampoline_kernelINS0_14default_configENS1_20scan_config_selectorIsEEZZNS1_9scan_implILNS1_25lookback_scan_determinismE0ELb1ELb1ES3_N6thrust23THRUST_200600_302600_NS6detail15normal_iteratorINS9_10device_ptrIsEEEENS9_16discard_iteratorINS9_11use_defaultEEEs11max_functorIsEsEEDaPvRmT3_T4_T5_mT6_P12ihipStream_tbENKUlT_T0_E_clISt17integral_constantIbLb0EESW_IbLb1EEEEDaSS_ST_EUlSS_E_NS1_11comp_targetILNS1_3genE9ELNS1_11target_archE1100ELNS1_3gpuE3ELNS1_3repE0EEENS1_30default_config_static_selectorELNS0_4arch9wavefront6targetE1EEEvT1_
                                        ; -- End function
	.section	.AMDGPU.csdata,"",@progbits
; Kernel info:
; codeLenInByte = 0
; NumSgprs: 4
; NumVgprs: 0
; NumAgprs: 0
; TotalNumVgprs: 0
; ScratchSize: 0
; MemoryBound: 0
; FloatMode: 240
; IeeeMode: 1
; LDSByteSize: 0 bytes/workgroup (compile time only)
; SGPRBlocks: 0
; VGPRBlocks: 0
; NumSGPRsForWavesPerEU: 4
; NumVGPRsForWavesPerEU: 1
; AccumOffset: 4
; Occupancy: 8
; WaveLimiterHint : 0
; COMPUTE_PGM_RSRC2:SCRATCH_EN: 0
; COMPUTE_PGM_RSRC2:USER_SGPR: 6
; COMPUTE_PGM_RSRC2:TRAP_HANDLER: 0
; COMPUTE_PGM_RSRC2:TGID_X_EN: 1
; COMPUTE_PGM_RSRC2:TGID_Y_EN: 0
; COMPUTE_PGM_RSRC2:TGID_Z_EN: 0
; COMPUTE_PGM_RSRC2:TIDIG_COMP_CNT: 0
; COMPUTE_PGM_RSRC3_GFX90A:ACCUM_OFFSET: 0
; COMPUTE_PGM_RSRC3_GFX90A:TG_SPLIT: 0
	.section	.text._ZN7rocprim17ROCPRIM_400000_NS6detail17trampoline_kernelINS0_14default_configENS1_20scan_config_selectorIsEEZZNS1_9scan_implILNS1_25lookback_scan_determinismE0ELb1ELb1ES3_N6thrust23THRUST_200600_302600_NS6detail15normal_iteratorINS9_10device_ptrIsEEEENS9_16discard_iteratorINS9_11use_defaultEEEs11max_functorIsEsEEDaPvRmT3_T4_T5_mT6_P12ihipStream_tbENKUlT_T0_E_clISt17integral_constantIbLb0EESW_IbLb1EEEEDaSS_ST_EUlSS_E_NS1_11comp_targetILNS1_3genE8ELNS1_11target_archE1030ELNS1_3gpuE2ELNS1_3repE0EEENS1_30default_config_static_selectorELNS0_4arch9wavefront6targetE1EEEvT1_,"axG",@progbits,_ZN7rocprim17ROCPRIM_400000_NS6detail17trampoline_kernelINS0_14default_configENS1_20scan_config_selectorIsEEZZNS1_9scan_implILNS1_25lookback_scan_determinismE0ELb1ELb1ES3_N6thrust23THRUST_200600_302600_NS6detail15normal_iteratorINS9_10device_ptrIsEEEENS9_16discard_iteratorINS9_11use_defaultEEEs11max_functorIsEsEEDaPvRmT3_T4_T5_mT6_P12ihipStream_tbENKUlT_T0_E_clISt17integral_constantIbLb0EESW_IbLb1EEEEDaSS_ST_EUlSS_E_NS1_11comp_targetILNS1_3genE8ELNS1_11target_archE1030ELNS1_3gpuE2ELNS1_3repE0EEENS1_30default_config_static_selectorELNS0_4arch9wavefront6targetE1EEEvT1_,comdat
	.protected	_ZN7rocprim17ROCPRIM_400000_NS6detail17trampoline_kernelINS0_14default_configENS1_20scan_config_selectorIsEEZZNS1_9scan_implILNS1_25lookback_scan_determinismE0ELb1ELb1ES3_N6thrust23THRUST_200600_302600_NS6detail15normal_iteratorINS9_10device_ptrIsEEEENS9_16discard_iteratorINS9_11use_defaultEEEs11max_functorIsEsEEDaPvRmT3_T4_T5_mT6_P12ihipStream_tbENKUlT_T0_E_clISt17integral_constantIbLb0EESW_IbLb1EEEEDaSS_ST_EUlSS_E_NS1_11comp_targetILNS1_3genE8ELNS1_11target_archE1030ELNS1_3gpuE2ELNS1_3repE0EEENS1_30default_config_static_selectorELNS0_4arch9wavefront6targetE1EEEvT1_ ; -- Begin function _ZN7rocprim17ROCPRIM_400000_NS6detail17trampoline_kernelINS0_14default_configENS1_20scan_config_selectorIsEEZZNS1_9scan_implILNS1_25lookback_scan_determinismE0ELb1ELb1ES3_N6thrust23THRUST_200600_302600_NS6detail15normal_iteratorINS9_10device_ptrIsEEEENS9_16discard_iteratorINS9_11use_defaultEEEs11max_functorIsEsEEDaPvRmT3_T4_T5_mT6_P12ihipStream_tbENKUlT_T0_E_clISt17integral_constantIbLb0EESW_IbLb1EEEEDaSS_ST_EUlSS_E_NS1_11comp_targetILNS1_3genE8ELNS1_11target_archE1030ELNS1_3gpuE2ELNS1_3repE0EEENS1_30default_config_static_selectorELNS0_4arch9wavefront6targetE1EEEvT1_
	.globl	_ZN7rocprim17ROCPRIM_400000_NS6detail17trampoline_kernelINS0_14default_configENS1_20scan_config_selectorIsEEZZNS1_9scan_implILNS1_25lookback_scan_determinismE0ELb1ELb1ES3_N6thrust23THRUST_200600_302600_NS6detail15normal_iteratorINS9_10device_ptrIsEEEENS9_16discard_iteratorINS9_11use_defaultEEEs11max_functorIsEsEEDaPvRmT3_T4_T5_mT6_P12ihipStream_tbENKUlT_T0_E_clISt17integral_constantIbLb0EESW_IbLb1EEEEDaSS_ST_EUlSS_E_NS1_11comp_targetILNS1_3genE8ELNS1_11target_archE1030ELNS1_3gpuE2ELNS1_3repE0EEENS1_30default_config_static_selectorELNS0_4arch9wavefront6targetE1EEEvT1_
	.p2align	8
	.type	_ZN7rocprim17ROCPRIM_400000_NS6detail17trampoline_kernelINS0_14default_configENS1_20scan_config_selectorIsEEZZNS1_9scan_implILNS1_25lookback_scan_determinismE0ELb1ELb1ES3_N6thrust23THRUST_200600_302600_NS6detail15normal_iteratorINS9_10device_ptrIsEEEENS9_16discard_iteratorINS9_11use_defaultEEEs11max_functorIsEsEEDaPvRmT3_T4_T5_mT6_P12ihipStream_tbENKUlT_T0_E_clISt17integral_constantIbLb0EESW_IbLb1EEEEDaSS_ST_EUlSS_E_NS1_11comp_targetILNS1_3genE8ELNS1_11target_archE1030ELNS1_3gpuE2ELNS1_3repE0EEENS1_30default_config_static_selectorELNS0_4arch9wavefront6targetE1EEEvT1_,@function
_ZN7rocprim17ROCPRIM_400000_NS6detail17trampoline_kernelINS0_14default_configENS1_20scan_config_selectorIsEEZZNS1_9scan_implILNS1_25lookback_scan_determinismE0ELb1ELb1ES3_N6thrust23THRUST_200600_302600_NS6detail15normal_iteratorINS9_10device_ptrIsEEEENS9_16discard_iteratorINS9_11use_defaultEEEs11max_functorIsEsEEDaPvRmT3_T4_T5_mT6_P12ihipStream_tbENKUlT_T0_E_clISt17integral_constantIbLb0EESW_IbLb1EEEEDaSS_ST_EUlSS_E_NS1_11comp_targetILNS1_3genE8ELNS1_11target_archE1030ELNS1_3gpuE2ELNS1_3repE0EEENS1_30default_config_static_selectorELNS0_4arch9wavefront6targetE1EEEvT1_: ; @_ZN7rocprim17ROCPRIM_400000_NS6detail17trampoline_kernelINS0_14default_configENS1_20scan_config_selectorIsEEZZNS1_9scan_implILNS1_25lookback_scan_determinismE0ELb1ELb1ES3_N6thrust23THRUST_200600_302600_NS6detail15normal_iteratorINS9_10device_ptrIsEEEENS9_16discard_iteratorINS9_11use_defaultEEEs11max_functorIsEsEEDaPvRmT3_T4_T5_mT6_P12ihipStream_tbENKUlT_T0_E_clISt17integral_constantIbLb0EESW_IbLb1EEEEDaSS_ST_EUlSS_E_NS1_11comp_targetILNS1_3genE8ELNS1_11target_archE1030ELNS1_3gpuE2ELNS1_3repE0EEENS1_30default_config_static_selectorELNS0_4arch9wavefront6targetE1EEEvT1_
; %bb.0:
	.section	.rodata,"a",@progbits
	.p2align	6, 0x0
	.amdhsa_kernel _ZN7rocprim17ROCPRIM_400000_NS6detail17trampoline_kernelINS0_14default_configENS1_20scan_config_selectorIsEEZZNS1_9scan_implILNS1_25lookback_scan_determinismE0ELb1ELb1ES3_N6thrust23THRUST_200600_302600_NS6detail15normal_iteratorINS9_10device_ptrIsEEEENS9_16discard_iteratorINS9_11use_defaultEEEs11max_functorIsEsEEDaPvRmT3_T4_T5_mT6_P12ihipStream_tbENKUlT_T0_E_clISt17integral_constantIbLb0EESW_IbLb1EEEEDaSS_ST_EUlSS_E_NS1_11comp_targetILNS1_3genE8ELNS1_11target_archE1030ELNS1_3gpuE2ELNS1_3repE0EEENS1_30default_config_static_selectorELNS0_4arch9wavefront6targetE1EEEvT1_
		.amdhsa_group_segment_fixed_size 0
		.amdhsa_private_segment_fixed_size 0
		.amdhsa_kernarg_size 104
		.amdhsa_user_sgpr_count 6
		.amdhsa_user_sgpr_private_segment_buffer 1
		.amdhsa_user_sgpr_dispatch_ptr 0
		.amdhsa_user_sgpr_queue_ptr 0
		.amdhsa_user_sgpr_kernarg_segment_ptr 1
		.amdhsa_user_sgpr_dispatch_id 0
		.amdhsa_user_sgpr_flat_scratch_init 0
		.amdhsa_user_sgpr_kernarg_preload_length 0
		.amdhsa_user_sgpr_kernarg_preload_offset 0
		.amdhsa_user_sgpr_private_segment_size 0
		.amdhsa_uses_dynamic_stack 0
		.amdhsa_system_sgpr_private_segment_wavefront_offset 0
		.amdhsa_system_sgpr_workgroup_id_x 1
		.amdhsa_system_sgpr_workgroup_id_y 0
		.amdhsa_system_sgpr_workgroup_id_z 0
		.amdhsa_system_sgpr_workgroup_info 0
		.amdhsa_system_vgpr_workitem_id 0
		.amdhsa_next_free_vgpr 1
		.amdhsa_next_free_sgpr 0
		.amdhsa_accum_offset 4
		.amdhsa_reserve_vcc 0
		.amdhsa_reserve_flat_scratch 0
		.amdhsa_float_round_mode_32 0
		.amdhsa_float_round_mode_16_64 0
		.amdhsa_float_denorm_mode_32 3
		.amdhsa_float_denorm_mode_16_64 3
		.amdhsa_dx10_clamp 1
		.amdhsa_ieee_mode 1
		.amdhsa_fp16_overflow 0
		.amdhsa_tg_split 0
		.amdhsa_exception_fp_ieee_invalid_op 0
		.amdhsa_exception_fp_denorm_src 0
		.amdhsa_exception_fp_ieee_div_zero 0
		.amdhsa_exception_fp_ieee_overflow 0
		.amdhsa_exception_fp_ieee_underflow 0
		.amdhsa_exception_fp_ieee_inexact 0
		.amdhsa_exception_int_div_zero 0
	.end_amdhsa_kernel
	.section	.text._ZN7rocprim17ROCPRIM_400000_NS6detail17trampoline_kernelINS0_14default_configENS1_20scan_config_selectorIsEEZZNS1_9scan_implILNS1_25lookback_scan_determinismE0ELb1ELb1ES3_N6thrust23THRUST_200600_302600_NS6detail15normal_iteratorINS9_10device_ptrIsEEEENS9_16discard_iteratorINS9_11use_defaultEEEs11max_functorIsEsEEDaPvRmT3_T4_T5_mT6_P12ihipStream_tbENKUlT_T0_E_clISt17integral_constantIbLb0EESW_IbLb1EEEEDaSS_ST_EUlSS_E_NS1_11comp_targetILNS1_3genE8ELNS1_11target_archE1030ELNS1_3gpuE2ELNS1_3repE0EEENS1_30default_config_static_selectorELNS0_4arch9wavefront6targetE1EEEvT1_,"axG",@progbits,_ZN7rocprim17ROCPRIM_400000_NS6detail17trampoline_kernelINS0_14default_configENS1_20scan_config_selectorIsEEZZNS1_9scan_implILNS1_25lookback_scan_determinismE0ELb1ELb1ES3_N6thrust23THRUST_200600_302600_NS6detail15normal_iteratorINS9_10device_ptrIsEEEENS9_16discard_iteratorINS9_11use_defaultEEEs11max_functorIsEsEEDaPvRmT3_T4_T5_mT6_P12ihipStream_tbENKUlT_T0_E_clISt17integral_constantIbLb0EESW_IbLb1EEEEDaSS_ST_EUlSS_E_NS1_11comp_targetILNS1_3genE8ELNS1_11target_archE1030ELNS1_3gpuE2ELNS1_3repE0EEENS1_30default_config_static_selectorELNS0_4arch9wavefront6targetE1EEEvT1_,comdat
.Lfunc_end4132:
	.size	_ZN7rocprim17ROCPRIM_400000_NS6detail17trampoline_kernelINS0_14default_configENS1_20scan_config_selectorIsEEZZNS1_9scan_implILNS1_25lookback_scan_determinismE0ELb1ELb1ES3_N6thrust23THRUST_200600_302600_NS6detail15normal_iteratorINS9_10device_ptrIsEEEENS9_16discard_iteratorINS9_11use_defaultEEEs11max_functorIsEsEEDaPvRmT3_T4_T5_mT6_P12ihipStream_tbENKUlT_T0_E_clISt17integral_constantIbLb0EESW_IbLb1EEEEDaSS_ST_EUlSS_E_NS1_11comp_targetILNS1_3genE8ELNS1_11target_archE1030ELNS1_3gpuE2ELNS1_3repE0EEENS1_30default_config_static_selectorELNS0_4arch9wavefront6targetE1EEEvT1_, .Lfunc_end4132-_ZN7rocprim17ROCPRIM_400000_NS6detail17trampoline_kernelINS0_14default_configENS1_20scan_config_selectorIsEEZZNS1_9scan_implILNS1_25lookback_scan_determinismE0ELb1ELb1ES3_N6thrust23THRUST_200600_302600_NS6detail15normal_iteratorINS9_10device_ptrIsEEEENS9_16discard_iteratorINS9_11use_defaultEEEs11max_functorIsEsEEDaPvRmT3_T4_T5_mT6_P12ihipStream_tbENKUlT_T0_E_clISt17integral_constantIbLb0EESW_IbLb1EEEEDaSS_ST_EUlSS_E_NS1_11comp_targetILNS1_3genE8ELNS1_11target_archE1030ELNS1_3gpuE2ELNS1_3repE0EEENS1_30default_config_static_selectorELNS0_4arch9wavefront6targetE1EEEvT1_
                                        ; -- End function
	.section	.AMDGPU.csdata,"",@progbits
; Kernel info:
; codeLenInByte = 0
; NumSgprs: 4
; NumVgprs: 0
; NumAgprs: 0
; TotalNumVgprs: 0
; ScratchSize: 0
; MemoryBound: 0
; FloatMode: 240
; IeeeMode: 1
; LDSByteSize: 0 bytes/workgroup (compile time only)
; SGPRBlocks: 0
; VGPRBlocks: 0
; NumSGPRsForWavesPerEU: 4
; NumVGPRsForWavesPerEU: 1
; AccumOffset: 4
; Occupancy: 8
; WaveLimiterHint : 0
; COMPUTE_PGM_RSRC2:SCRATCH_EN: 0
; COMPUTE_PGM_RSRC2:USER_SGPR: 6
; COMPUTE_PGM_RSRC2:TRAP_HANDLER: 0
; COMPUTE_PGM_RSRC2:TGID_X_EN: 1
; COMPUTE_PGM_RSRC2:TGID_Y_EN: 0
; COMPUTE_PGM_RSRC2:TGID_Z_EN: 0
; COMPUTE_PGM_RSRC2:TIDIG_COMP_CNT: 0
; COMPUTE_PGM_RSRC3_GFX90A:ACCUM_OFFSET: 0
; COMPUTE_PGM_RSRC3_GFX90A:TG_SPLIT: 0
	.section	.text._ZN7rocprim17ROCPRIM_400000_NS6detail17trampoline_kernelINS0_14default_configENS1_20scan_config_selectorIsEEZZNS1_9scan_implILNS1_25lookback_scan_determinismE0ELb1ELb1ES3_N6thrust23THRUST_200600_302600_NS6detail15normal_iteratorINS9_10device_ptrIsEEEENS9_16discard_iteratorINS9_11use_defaultEEEs11max_functorIsEsEEDaPvRmT3_T4_T5_mT6_P12ihipStream_tbENKUlT_T0_E_clISt17integral_constantIbLb0EESW_IbLb1EEEEDaSS_ST_EUlSS_E0_NS1_11comp_targetILNS1_3genE0ELNS1_11target_archE4294967295ELNS1_3gpuE0ELNS1_3repE0EEENS1_30default_config_static_selectorELNS0_4arch9wavefront6targetE1EEEvT1_,"axG",@progbits,_ZN7rocprim17ROCPRIM_400000_NS6detail17trampoline_kernelINS0_14default_configENS1_20scan_config_selectorIsEEZZNS1_9scan_implILNS1_25lookback_scan_determinismE0ELb1ELb1ES3_N6thrust23THRUST_200600_302600_NS6detail15normal_iteratorINS9_10device_ptrIsEEEENS9_16discard_iteratorINS9_11use_defaultEEEs11max_functorIsEsEEDaPvRmT3_T4_T5_mT6_P12ihipStream_tbENKUlT_T0_E_clISt17integral_constantIbLb0EESW_IbLb1EEEEDaSS_ST_EUlSS_E0_NS1_11comp_targetILNS1_3genE0ELNS1_11target_archE4294967295ELNS1_3gpuE0ELNS1_3repE0EEENS1_30default_config_static_selectorELNS0_4arch9wavefront6targetE1EEEvT1_,comdat
	.protected	_ZN7rocprim17ROCPRIM_400000_NS6detail17trampoline_kernelINS0_14default_configENS1_20scan_config_selectorIsEEZZNS1_9scan_implILNS1_25lookback_scan_determinismE0ELb1ELb1ES3_N6thrust23THRUST_200600_302600_NS6detail15normal_iteratorINS9_10device_ptrIsEEEENS9_16discard_iteratorINS9_11use_defaultEEEs11max_functorIsEsEEDaPvRmT3_T4_T5_mT6_P12ihipStream_tbENKUlT_T0_E_clISt17integral_constantIbLb0EESW_IbLb1EEEEDaSS_ST_EUlSS_E0_NS1_11comp_targetILNS1_3genE0ELNS1_11target_archE4294967295ELNS1_3gpuE0ELNS1_3repE0EEENS1_30default_config_static_selectorELNS0_4arch9wavefront6targetE1EEEvT1_ ; -- Begin function _ZN7rocprim17ROCPRIM_400000_NS6detail17trampoline_kernelINS0_14default_configENS1_20scan_config_selectorIsEEZZNS1_9scan_implILNS1_25lookback_scan_determinismE0ELb1ELb1ES3_N6thrust23THRUST_200600_302600_NS6detail15normal_iteratorINS9_10device_ptrIsEEEENS9_16discard_iteratorINS9_11use_defaultEEEs11max_functorIsEsEEDaPvRmT3_T4_T5_mT6_P12ihipStream_tbENKUlT_T0_E_clISt17integral_constantIbLb0EESW_IbLb1EEEEDaSS_ST_EUlSS_E0_NS1_11comp_targetILNS1_3genE0ELNS1_11target_archE4294967295ELNS1_3gpuE0ELNS1_3repE0EEENS1_30default_config_static_selectorELNS0_4arch9wavefront6targetE1EEEvT1_
	.globl	_ZN7rocprim17ROCPRIM_400000_NS6detail17trampoline_kernelINS0_14default_configENS1_20scan_config_selectorIsEEZZNS1_9scan_implILNS1_25lookback_scan_determinismE0ELb1ELb1ES3_N6thrust23THRUST_200600_302600_NS6detail15normal_iteratorINS9_10device_ptrIsEEEENS9_16discard_iteratorINS9_11use_defaultEEEs11max_functorIsEsEEDaPvRmT3_T4_T5_mT6_P12ihipStream_tbENKUlT_T0_E_clISt17integral_constantIbLb0EESW_IbLb1EEEEDaSS_ST_EUlSS_E0_NS1_11comp_targetILNS1_3genE0ELNS1_11target_archE4294967295ELNS1_3gpuE0ELNS1_3repE0EEENS1_30default_config_static_selectorELNS0_4arch9wavefront6targetE1EEEvT1_
	.p2align	8
	.type	_ZN7rocprim17ROCPRIM_400000_NS6detail17trampoline_kernelINS0_14default_configENS1_20scan_config_selectorIsEEZZNS1_9scan_implILNS1_25lookback_scan_determinismE0ELb1ELb1ES3_N6thrust23THRUST_200600_302600_NS6detail15normal_iteratorINS9_10device_ptrIsEEEENS9_16discard_iteratorINS9_11use_defaultEEEs11max_functorIsEsEEDaPvRmT3_T4_T5_mT6_P12ihipStream_tbENKUlT_T0_E_clISt17integral_constantIbLb0EESW_IbLb1EEEEDaSS_ST_EUlSS_E0_NS1_11comp_targetILNS1_3genE0ELNS1_11target_archE4294967295ELNS1_3gpuE0ELNS1_3repE0EEENS1_30default_config_static_selectorELNS0_4arch9wavefront6targetE1EEEvT1_,@function
_ZN7rocprim17ROCPRIM_400000_NS6detail17trampoline_kernelINS0_14default_configENS1_20scan_config_selectorIsEEZZNS1_9scan_implILNS1_25lookback_scan_determinismE0ELb1ELb1ES3_N6thrust23THRUST_200600_302600_NS6detail15normal_iteratorINS9_10device_ptrIsEEEENS9_16discard_iteratorINS9_11use_defaultEEEs11max_functorIsEsEEDaPvRmT3_T4_T5_mT6_P12ihipStream_tbENKUlT_T0_E_clISt17integral_constantIbLb0EESW_IbLb1EEEEDaSS_ST_EUlSS_E0_NS1_11comp_targetILNS1_3genE0ELNS1_11target_archE4294967295ELNS1_3gpuE0ELNS1_3repE0EEENS1_30default_config_static_selectorELNS0_4arch9wavefront6targetE1EEEvT1_: ; @_ZN7rocprim17ROCPRIM_400000_NS6detail17trampoline_kernelINS0_14default_configENS1_20scan_config_selectorIsEEZZNS1_9scan_implILNS1_25lookback_scan_determinismE0ELb1ELb1ES3_N6thrust23THRUST_200600_302600_NS6detail15normal_iteratorINS9_10device_ptrIsEEEENS9_16discard_iteratorINS9_11use_defaultEEEs11max_functorIsEsEEDaPvRmT3_T4_T5_mT6_P12ihipStream_tbENKUlT_T0_E_clISt17integral_constantIbLb0EESW_IbLb1EEEEDaSS_ST_EUlSS_E0_NS1_11comp_targetILNS1_3genE0ELNS1_11target_archE4294967295ELNS1_3gpuE0ELNS1_3repE0EEENS1_30default_config_static_selectorELNS0_4arch9wavefront6targetE1EEEvT1_
; %bb.0:
	.section	.rodata,"a",@progbits
	.p2align	6, 0x0
	.amdhsa_kernel _ZN7rocprim17ROCPRIM_400000_NS6detail17trampoline_kernelINS0_14default_configENS1_20scan_config_selectorIsEEZZNS1_9scan_implILNS1_25lookback_scan_determinismE0ELb1ELb1ES3_N6thrust23THRUST_200600_302600_NS6detail15normal_iteratorINS9_10device_ptrIsEEEENS9_16discard_iteratorINS9_11use_defaultEEEs11max_functorIsEsEEDaPvRmT3_T4_T5_mT6_P12ihipStream_tbENKUlT_T0_E_clISt17integral_constantIbLb0EESW_IbLb1EEEEDaSS_ST_EUlSS_E0_NS1_11comp_targetILNS1_3genE0ELNS1_11target_archE4294967295ELNS1_3gpuE0ELNS1_3repE0EEENS1_30default_config_static_selectorELNS0_4arch9wavefront6targetE1EEEvT1_
		.amdhsa_group_segment_fixed_size 0
		.amdhsa_private_segment_fixed_size 0
		.amdhsa_kernarg_size 40
		.amdhsa_user_sgpr_count 6
		.amdhsa_user_sgpr_private_segment_buffer 1
		.amdhsa_user_sgpr_dispatch_ptr 0
		.amdhsa_user_sgpr_queue_ptr 0
		.amdhsa_user_sgpr_kernarg_segment_ptr 1
		.amdhsa_user_sgpr_dispatch_id 0
		.amdhsa_user_sgpr_flat_scratch_init 0
		.amdhsa_user_sgpr_kernarg_preload_length 0
		.amdhsa_user_sgpr_kernarg_preload_offset 0
		.amdhsa_user_sgpr_private_segment_size 0
		.amdhsa_uses_dynamic_stack 0
		.amdhsa_system_sgpr_private_segment_wavefront_offset 0
		.amdhsa_system_sgpr_workgroup_id_x 1
		.amdhsa_system_sgpr_workgroup_id_y 0
		.amdhsa_system_sgpr_workgroup_id_z 0
		.amdhsa_system_sgpr_workgroup_info 0
		.amdhsa_system_vgpr_workitem_id 0
		.amdhsa_next_free_vgpr 1
		.amdhsa_next_free_sgpr 0
		.amdhsa_accum_offset 4
		.amdhsa_reserve_vcc 0
		.amdhsa_reserve_flat_scratch 0
		.amdhsa_float_round_mode_32 0
		.amdhsa_float_round_mode_16_64 0
		.amdhsa_float_denorm_mode_32 3
		.amdhsa_float_denorm_mode_16_64 3
		.amdhsa_dx10_clamp 1
		.amdhsa_ieee_mode 1
		.amdhsa_fp16_overflow 0
		.amdhsa_tg_split 0
		.amdhsa_exception_fp_ieee_invalid_op 0
		.amdhsa_exception_fp_denorm_src 0
		.amdhsa_exception_fp_ieee_div_zero 0
		.amdhsa_exception_fp_ieee_overflow 0
		.amdhsa_exception_fp_ieee_underflow 0
		.amdhsa_exception_fp_ieee_inexact 0
		.amdhsa_exception_int_div_zero 0
	.end_amdhsa_kernel
	.section	.text._ZN7rocprim17ROCPRIM_400000_NS6detail17trampoline_kernelINS0_14default_configENS1_20scan_config_selectorIsEEZZNS1_9scan_implILNS1_25lookback_scan_determinismE0ELb1ELb1ES3_N6thrust23THRUST_200600_302600_NS6detail15normal_iteratorINS9_10device_ptrIsEEEENS9_16discard_iteratorINS9_11use_defaultEEEs11max_functorIsEsEEDaPvRmT3_T4_T5_mT6_P12ihipStream_tbENKUlT_T0_E_clISt17integral_constantIbLb0EESW_IbLb1EEEEDaSS_ST_EUlSS_E0_NS1_11comp_targetILNS1_3genE0ELNS1_11target_archE4294967295ELNS1_3gpuE0ELNS1_3repE0EEENS1_30default_config_static_selectorELNS0_4arch9wavefront6targetE1EEEvT1_,"axG",@progbits,_ZN7rocprim17ROCPRIM_400000_NS6detail17trampoline_kernelINS0_14default_configENS1_20scan_config_selectorIsEEZZNS1_9scan_implILNS1_25lookback_scan_determinismE0ELb1ELb1ES3_N6thrust23THRUST_200600_302600_NS6detail15normal_iteratorINS9_10device_ptrIsEEEENS9_16discard_iteratorINS9_11use_defaultEEEs11max_functorIsEsEEDaPvRmT3_T4_T5_mT6_P12ihipStream_tbENKUlT_T0_E_clISt17integral_constantIbLb0EESW_IbLb1EEEEDaSS_ST_EUlSS_E0_NS1_11comp_targetILNS1_3genE0ELNS1_11target_archE4294967295ELNS1_3gpuE0ELNS1_3repE0EEENS1_30default_config_static_selectorELNS0_4arch9wavefront6targetE1EEEvT1_,comdat
.Lfunc_end4133:
	.size	_ZN7rocprim17ROCPRIM_400000_NS6detail17trampoline_kernelINS0_14default_configENS1_20scan_config_selectorIsEEZZNS1_9scan_implILNS1_25lookback_scan_determinismE0ELb1ELb1ES3_N6thrust23THRUST_200600_302600_NS6detail15normal_iteratorINS9_10device_ptrIsEEEENS9_16discard_iteratorINS9_11use_defaultEEEs11max_functorIsEsEEDaPvRmT3_T4_T5_mT6_P12ihipStream_tbENKUlT_T0_E_clISt17integral_constantIbLb0EESW_IbLb1EEEEDaSS_ST_EUlSS_E0_NS1_11comp_targetILNS1_3genE0ELNS1_11target_archE4294967295ELNS1_3gpuE0ELNS1_3repE0EEENS1_30default_config_static_selectorELNS0_4arch9wavefront6targetE1EEEvT1_, .Lfunc_end4133-_ZN7rocprim17ROCPRIM_400000_NS6detail17trampoline_kernelINS0_14default_configENS1_20scan_config_selectorIsEEZZNS1_9scan_implILNS1_25lookback_scan_determinismE0ELb1ELb1ES3_N6thrust23THRUST_200600_302600_NS6detail15normal_iteratorINS9_10device_ptrIsEEEENS9_16discard_iteratorINS9_11use_defaultEEEs11max_functorIsEsEEDaPvRmT3_T4_T5_mT6_P12ihipStream_tbENKUlT_T0_E_clISt17integral_constantIbLb0EESW_IbLb1EEEEDaSS_ST_EUlSS_E0_NS1_11comp_targetILNS1_3genE0ELNS1_11target_archE4294967295ELNS1_3gpuE0ELNS1_3repE0EEENS1_30default_config_static_selectorELNS0_4arch9wavefront6targetE1EEEvT1_
                                        ; -- End function
	.section	.AMDGPU.csdata,"",@progbits
; Kernel info:
; codeLenInByte = 0
; NumSgprs: 4
; NumVgprs: 0
; NumAgprs: 0
; TotalNumVgprs: 0
; ScratchSize: 0
; MemoryBound: 0
; FloatMode: 240
; IeeeMode: 1
; LDSByteSize: 0 bytes/workgroup (compile time only)
; SGPRBlocks: 0
; VGPRBlocks: 0
; NumSGPRsForWavesPerEU: 4
; NumVGPRsForWavesPerEU: 1
; AccumOffset: 4
; Occupancy: 8
; WaveLimiterHint : 0
; COMPUTE_PGM_RSRC2:SCRATCH_EN: 0
; COMPUTE_PGM_RSRC2:USER_SGPR: 6
; COMPUTE_PGM_RSRC2:TRAP_HANDLER: 0
; COMPUTE_PGM_RSRC2:TGID_X_EN: 1
; COMPUTE_PGM_RSRC2:TGID_Y_EN: 0
; COMPUTE_PGM_RSRC2:TGID_Z_EN: 0
; COMPUTE_PGM_RSRC2:TIDIG_COMP_CNT: 0
; COMPUTE_PGM_RSRC3_GFX90A:ACCUM_OFFSET: 0
; COMPUTE_PGM_RSRC3_GFX90A:TG_SPLIT: 0
	.section	.text._ZN7rocprim17ROCPRIM_400000_NS6detail17trampoline_kernelINS0_14default_configENS1_20scan_config_selectorIsEEZZNS1_9scan_implILNS1_25lookback_scan_determinismE0ELb1ELb1ES3_N6thrust23THRUST_200600_302600_NS6detail15normal_iteratorINS9_10device_ptrIsEEEENS9_16discard_iteratorINS9_11use_defaultEEEs11max_functorIsEsEEDaPvRmT3_T4_T5_mT6_P12ihipStream_tbENKUlT_T0_E_clISt17integral_constantIbLb0EESW_IbLb1EEEEDaSS_ST_EUlSS_E0_NS1_11comp_targetILNS1_3genE5ELNS1_11target_archE942ELNS1_3gpuE9ELNS1_3repE0EEENS1_30default_config_static_selectorELNS0_4arch9wavefront6targetE1EEEvT1_,"axG",@progbits,_ZN7rocprim17ROCPRIM_400000_NS6detail17trampoline_kernelINS0_14default_configENS1_20scan_config_selectorIsEEZZNS1_9scan_implILNS1_25lookback_scan_determinismE0ELb1ELb1ES3_N6thrust23THRUST_200600_302600_NS6detail15normal_iteratorINS9_10device_ptrIsEEEENS9_16discard_iteratorINS9_11use_defaultEEEs11max_functorIsEsEEDaPvRmT3_T4_T5_mT6_P12ihipStream_tbENKUlT_T0_E_clISt17integral_constantIbLb0EESW_IbLb1EEEEDaSS_ST_EUlSS_E0_NS1_11comp_targetILNS1_3genE5ELNS1_11target_archE942ELNS1_3gpuE9ELNS1_3repE0EEENS1_30default_config_static_selectorELNS0_4arch9wavefront6targetE1EEEvT1_,comdat
	.protected	_ZN7rocprim17ROCPRIM_400000_NS6detail17trampoline_kernelINS0_14default_configENS1_20scan_config_selectorIsEEZZNS1_9scan_implILNS1_25lookback_scan_determinismE0ELb1ELb1ES3_N6thrust23THRUST_200600_302600_NS6detail15normal_iteratorINS9_10device_ptrIsEEEENS9_16discard_iteratorINS9_11use_defaultEEEs11max_functorIsEsEEDaPvRmT3_T4_T5_mT6_P12ihipStream_tbENKUlT_T0_E_clISt17integral_constantIbLb0EESW_IbLb1EEEEDaSS_ST_EUlSS_E0_NS1_11comp_targetILNS1_3genE5ELNS1_11target_archE942ELNS1_3gpuE9ELNS1_3repE0EEENS1_30default_config_static_selectorELNS0_4arch9wavefront6targetE1EEEvT1_ ; -- Begin function _ZN7rocprim17ROCPRIM_400000_NS6detail17trampoline_kernelINS0_14default_configENS1_20scan_config_selectorIsEEZZNS1_9scan_implILNS1_25lookback_scan_determinismE0ELb1ELb1ES3_N6thrust23THRUST_200600_302600_NS6detail15normal_iteratorINS9_10device_ptrIsEEEENS9_16discard_iteratorINS9_11use_defaultEEEs11max_functorIsEsEEDaPvRmT3_T4_T5_mT6_P12ihipStream_tbENKUlT_T0_E_clISt17integral_constantIbLb0EESW_IbLb1EEEEDaSS_ST_EUlSS_E0_NS1_11comp_targetILNS1_3genE5ELNS1_11target_archE942ELNS1_3gpuE9ELNS1_3repE0EEENS1_30default_config_static_selectorELNS0_4arch9wavefront6targetE1EEEvT1_
	.globl	_ZN7rocprim17ROCPRIM_400000_NS6detail17trampoline_kernelINS0_14default_configENS1_20scan_config_selectorIsEEZZNS1_9scan_implILNS1_25lookback_scan_determinismE0ELb1ELb1ES3_N6thrust23THRUST_200600_302600_NS6detail15normal_iteratorINS9_10device_ptrIsEEEENS9_16discard_iteratorINS9_11use_defaultEEEs11max_functorIsEsEEDaPvRmT3_T4_T5_mT6_P12ihipStream_tbENKUlT_T0_E_clISt17integral_constantIbLb0EESW_IbLb1EEEEDaSS_ST_EUlSS_E0_NS1_11comp_targetILNS1_3genE5ELNS1_11target_archE942ELNS1_3gpuE9ELNS1_3repE0EEENS1_30default_config_static_selectorELNS0_4arch9wavefront6targetE1EEEvT1_
	.p2align	8
	.type	_ZN7rocprim17ROCPRIM_400000_NS6detail17trampoline_kernelINS0_14default_configENS1_20scan_config_selectorIsEEZZNS1_9scan_implILNS1_25lookback_scan_determinismE0ELb1ELb1ES3_N6thrust23THRUST_200600_302600_NS6detail15normal_iteratorINS9_10device_ptrIsEEEENS9_16discard_iteratorINS9_11use_defaultEEEs11max_functorIsEsEEDaPvRmT3_T4_T5_mT6_P12ihipStream_tbENKUlT_T0_E_clISt17integral_constantIbLb0EESW_IbLb1EEEEDaSS_ST_EUlSS_E0_NS1_11comp_targetILNS1_3genE5ELNS1_11target_archE942ELNS1_3gpuE9ELNS1_3repE0EEENS1_30default_config_static_selectorELNS0_4arch9wavefront6targetE1EEEvT1_,@function
_ZN7rocprim17ROCPRIM_400000_NS6detail17trampoline_kernelINS0_14default_configENS1_20scan_config_selectorIsEEZZNS1_9scan_implILNS1_25lookback_scan_determinismE0ELb1ELb1ES3_N6thrust23THRUST_200600_302600_NS6detail15normal_iteratorINS9_10device_ptrIsEEEENS9_16discard_iteratorINS9_11use_defaultEEEs11max_functorIsEsEEDaPvRmT3_T4_T5_mT6_P12ihipStream_tbENKUlT_T0_E_clISt17integral_constantIbLb0EESW_IbLb1EEEEDaSS_ST_EUlSS_E0_NS1_11comp_targetILNS1_3genE5ELNS1_11target_archE942ELNS1_3gpuE9ELNS1_3repE0EEENS1_30default_config_static_selectorELNS0_4arch9wavefront6targetE1EEEvT1_: ; @_ZN7rocprim17ROCPRIM_400000_NS6detail17trampoline_kernelINS0_14default_configENS1_20scan_config_selectorIsEEZZNS1_9scan_implILNS1_25lookback_scan_determinismE0ELb1ELb1ES3_N6thrust23THRUST_200600_302600_NS6detail15normal_iteratorINS9_10device_ptrIsEEEENS9_16discard_iteratorINS9_11use_defaultEEEs11max_functorIsEsEEDaPvRmT3_T4_T5_mT6_P12ihipStream_tbENKUlT_T0_E_clISt17integral_constantIbLb0EESW_IbLb1EEEEDaSS_ST_EUlSS_E0_NS1_11comp_targetILNS1_3genE5ELNS1_11target_archE942ELNS1_3gpuE9ELNS1_3repE0EEENS1_30default_config_static_selectorELNS0_4arch9wavefront6targetE1EEEvT1_
; %bb.0:
	.section	.rodata,"a",@progbits
	.p2align	6, 0x0
	.amdhsa_kernel _ZN7rocprim17ROCPRIM_400000_NS6detail17trampoline_kernelINS0_14default_configENS1_20scan_config_selectorIsEEZZNS1_9scan_implILNS1_25lookback_scan_determinismE0ELb1ELb1ES3_N6thrust23THRUST_200600_302600_NS6detail15normal_iteratorINS9_10device_ptrIsEEEENS9_16discard_iteratorINS9_11use_defaultEEEs11max_functorIsEsEEDaPvRmT3_T4_T5_mT6_P12ihipStream_tbENKUlT_T0_E_clISt17integral_constantIbLb0EESW_IbLb1EEEEDaSS_ST_EUlSS_E0_NS1_11comp_targetILNS1_3genE5ELNS1_11target_archE942ELNS1_3gpuE9ELNS1_3repE0EEENS1_30default_config_static_selectorELNS0_4arch9wavefront6targetE1EEEvT1_
		.amdhsa_group_segment_fixed_size 0
		.amdhsa_private_segment_fixed_size 0
		.amdhsa_kernarg_size 40
		.amdhsa_user_sgpr_count 6
		.amdhsa_user_sgpr_private_segment_buffer 1
		.amdhsa_user_sgpr_dispatch_ptr 0
		.amdhsa_user_sgpr_queue_ptr 0
		.amdhsa_user_sgpr_kernarg_segment_ptr 1
		.amdhsa_user_sgpr_dispatch_id 0
		.amdhsa_user_sgpr_flat_scratch_init 0
		.amdhsa_user_sgpr_kernarg_preload_length 0
		.amdhsa_user_sgpr_kernarg_preload_offset 0
		.amdhsa_user_sgpr_private_segment_size 0
		.amdhsa_uses_dynamic_stack 0
		.amdhsa_system_sgpr_private_segment_wavefront_offset 0
		.amdhsa_system_sgpr_workgroup_id_x 1
		.amdhsa_system_sgpr_workgroup_id_y 0
		.amdhsa_system_sgpr_workgroup_id_z 0
		.amdhsa_system_sgpr_workgroup_info 0
		.amdhsa_system_vgpr_workitem_id 0
		.amdhsa_next_free_vgpr 1
		.amdhsa_next_free_sgpr 0
		.amdhsa_accum_offset 4
		.amdhsa_reserve_vcc 0
		.amdhsa_reserve_flat_scratch 0
		.amdhsa_float_round_mode_32 0
		.amdhsa_float_round_mode_16_64 0
		.amdhsa_float_denorm_mode_32 3
		.amdhsa_float_denorm_mode_16_64 3
		.amdhsa_dx10_clamp 1
		.amdhsa_ieee_mode 1
		.amdhsa_fp16_overflow 0
		.amdhsa_tg_split 0
		.amdhsa_exception_fp_ieee_invalid_op 0
		.amdhsa_exception_fp_denorm_src 0
		.amdhsa_exception_fp_ieee_div_zero 0
		.amdhsa_exception_fp_ieee_overflow 0
		.amdhsa_exception_fp_ieee_underflow 0
		.amdhsa_exception_fp_ieee_inexact 0
		.amdhsa_exception_int_div_zero 0
	.end_amdhsa_kernel
	.section	.text._ZN7rocprim17ROCPRIM_400000_NS6detail17trampoline_kernelINS0_14default_configENS1_20scan_config_selectorIsEEZZNS1_9scan_implILNS1_25lookback_scan_determinismE0ELb1ELb1ES3_N6thrust23THRUST_200600_302600_NS6detail15normal_iteratorINS9_10device_ptrIsEEEENS9_16discard_iteratorINS9_11use_defaultEEEs11max_functorIsEsEEDaPvRmT3_T4_T5_mT6_P12ihipStream_tbENKUlT_T0_E_clISt17integral_constantIbLb0EESW_IbLb1EEEEDaSS_ST_EUlSS_E0_NS1_11comp_targetILNS1_3genE5ELNS1_11target_archE942ELNS1_3gpuE9ELNS1_3repE0EEENS1_30default_config_static_selectorELNS0_4arch9wavefront6targetE1EEEvT1_,"axG",@progbits,_ZN7rocprim17ROCPRIM_400000_NS6detail17trampoline_kernelINS0_14default_configENS1_20scan_config_selectorIsEEZZNS1_9scan_implILNS1_25lookback_scan_determinismE0ELb1ELb1ES3_N6thrust23THRUST_200600_302600_NS6detail15normal_iteratorINS9_10device_ptrIsEEEENS9_16discard_iteratorINS9_11use_defaultEEEs11max_functorIsEsEEDaPvRmT3_T4_T5_mT6_P12ihipStream_tbENKUlT_T0_E_clISt17integral_constantIbLb0EESW_IbLb1EEEEDaSS_ST_EUlSS_E0_NS1_11comp_targetILNS1_3genE5ELNS1_11target_archE942ELNS1_3gpuE9ELNS1_3repE0EEENS1_30default_config_static_selectorELNS0_4arch9wavefront6targetE1EEEvT1_,comdat
.Lfunc_end4134:
	.size	_ZN7rocprim17ROCPRIM_400000_NS6detail17trampoline_kernelINS0_14default_configENS1_20scan_config_selectorIsEEZZNS1_9scan_implILNS1_25lookback_scan_determinismE0ELb1ELb1ES3_N6thrust23THRUST_200600_302600_NS6detail15normal_iteratorINS9_10device_ptrIsEEEENS9_16discard_iteratorINS9_11use_defaultEEEs11max_functorIsEsEEDaPvRmT3_T4_T5_mT6_P12ihipStream_tbENKUlT_T0_E_clISt17integral_constantIbLb0EESW_IbLb1EEEEDaSS_ST_EUlSS_E0_NS1_11comp_targetILNS1_3genE5ELNS1_11target_archE942ELNS1_3gpuE9ELNS1_3repE0EEENS1_30default_config_static_selectorELNS0_4arch9wavefront6targetE1EEEvT1_, .Lfunc_end4134-_ZN7rocprim17ROCPRIM_400000_NS6detail17trampoline_kernelINS0_14default_configENS1_20scan_config_selectorIsEEZZNS1_9scan_implILNS1_25lookback_scan_determinismE0ELb1ELb1ES3_N6thrust23THRUST_200600_302600_NS6detail15normal_iteratorINS9_10device_ptrIsEEEENS9_16discard_iteratorINS9_11use_defaultEEEs11max_functorIsEsEEDaPvRmT3_T4_T5_mT6_P12ihipStream_tbENKUlT_T0_E_clISt17integral_constantIbLb0EESW_IbLb1EEEEDaSS_ST_EUlSS_E0_NS1_11comp_targetILNS1_3genE5ELNS1_11target_archE942ELNS1_3gpuE9ELNS1_3repE0EEENS1_30default_config_static_selectorELNS0_4arch9wavefront6targetE1EEEvT1_
                                        ; -- End function
	.section	.AMDGPU.csdata,"",@progbits
; Kernel info:
; codeLenInByte = 0
; NumSgprs: 4
; NumVgprs: 0
; NumAgprs: 0
; TotalNumVgprs: 0
; ScratchSize: 0
; MemoryBound: 0
; FloatMode: 240
; IeeeMode: 1
; LDSByteSize: 0 bytes/workgroup (compile time only)
; SGPRBlocks: 0
; VGPRBlocks: 0
; NumSGPRsForWavesPerEU: 4
; NumVGPRsForWavesPerEU: 1
; AccumOffset: 4
; Occupancy: 8
; WaveLimiterHint : 0
; COMPUTE_PGM_RSRC2:SCRATCH_EN: 0
; COMPUTE_PGM_RSRC2:USER_SGPR: 6
; COMPUTE_PGM_RSRC2:TRAP_HANDLER: 0
; COMPUTE_PGM_RSRC2:TGID_X_EN: 1
; COMPUTE_PGM_RSRC2:TGID_Y_EN: 0
; COMPUTE_PGM_RSRC2:TGID_Z_EN: 0
; COMPUTE_PGM_RSRC2:TIDIG_COMP_CNT: 0
; COMPUTE_PGM_RSRC3_GFX90A:ACCUM_OFFSET: 0
; COMPUTE_PGM_RSRC3_GFX90A:TG_SPLIT: 0
	.section	.text._ZN7rocprim17ROCPRIM_400000_NS6detail17trampoline_kernelINS0_14default_configENS1_20scan_config_selectorIsEEZZNS1_9scan_implILNS1_25lookback_scan_determinismE0ELb1ELb1ES3_N6thrust23THRUST_200600_302600_NS6detail15normal_iteratorINS9_10device_ptrIsEEEENS9_16discard_iteratorINS9_11use_defaultEEEs11max_functorIsEsEEDaPvRmT3_T4_T5_mT6_P12ihipStream_tbENKUlT_T0_E_clISt17integral_constantIbLb0EESW_IbLb1EEEEDaSS_ST_EUlSS_E0_NS1_11comp_targetILNS1_3genE4ELNS1_11target_archE910ELNS1_3gpuE8ELNS1_3repE0EEENS1_30default_config_static_selectorELNS0_4arch9wavefront6targetE1EEEvT1_,"axG",@progbits,_ZN7rocprim17ROCPRIM_400000_NS6detail17trampoline_kernelINS0_14default_configENS1_20scan_config_selectorIsEEZZNS1_9scan_implILNS1_25lookback_scan_determinismE0ELb1ELb1ES3_N6thrust23THRUST_200600_302600_NS6detail15normal_iteratorINS9_10device_ptrIsEEEENS9_16discard_iteratorINS9_11use_defaultEEEs11max_functorIsEsEEDaPvRmT3_T4_T5_mT6_P12ihipStream_tbENKUlT_T0_E_clISt17integral_constantIbLb0EESW_IbLb1EEEEDaSS_ST_EUlSS_E0_NS1_11comp_targetILNS1_3genE4ELNS1_11target_archE910ELNS1_3gpuE8ELNS1_3repE0EEENS1_30default_config_static_selectorELNS0_4arch9wavefront6targetE1EEEvT1_,comdat
	.protected	_ZN7rocprim17ROCPRIM_400000_NS6detail17trampoline_kernelINS0_14default_configENS1_20scan_config_selectorIsEEZZNS1_9scan_implILNS1_25lookback_scan_determinismE0ELb1ELb1ES3_N6thrust23THRUST_200600_302600_NS6detail15normal_iteratorINS9_10device_ptrIsEEEENS9_16discard_iteratorINS9_11use_defaultEEEs11max_functorIsEsEEDaPvRmT3_T4_T5_mT6_P12ihipStream_tbENKUlT_T0_E_clISt17integral_constantIbLb0EESW_IbLb1EEEEDaSS_ST_EUlSS_E0_NS1_11comp_targetILNS1_3genE4ELNS1_11target_archE910ELNS1_3gpuE8ELNS1_3repE0EEENS1_30default_config_static_selectorELNS0_4arch9wavefront6targetE1EEEvT1_ ; -- Begin function _ZN7rocprim17ROCPRIM_400000_NS6detail17trampoline_kernelINS0_14default_configENS1_20scan_config_selectorIsEEZZNS1_9scan_implILNS1_25lookback_scan_determinismE0ELb1ELb1ES3_N6thrust23THRUST_200600_302600_NS6detail15normal_iteratorINS9_10device_ptrIsEEEENS9_16discard_iteratorINS9_11use_defaultEEEs11max_functorIsEsEEDaPvRmT3_T4_T5_mT6_P12ihipStream_tbENKUlT_T0_E_clISt17integral_constantIbLb0EESW_IbLb1EEEEDaSS_ST_EUlSS_E0_NS1_11comp_targetILNS1_3genE4ELNS1_11target_archE910ELNS1_3gpuE8ELNS1_3repE0EEENS1_30default_config_static_selectorELNS0_4arch9wavefront6targetE1EEEvT1_
	.globl	_ZN7rocprim17ROCPRIM_400000_NS6detail17trampoline_kernelINS0_14default_configENS1_20scan_config_selectorIsEEZZNS1_9scan_implILNS1_25lookback_scan_determinismE0ELb1ELb1ES3_N6thrust23THRUST_200600_302600_NS6detail15normal_iteratorINS9_10device_ptrIsEEEENS9_16discard_iteratorINS9_11use_defaultEEEs11max_functorIsEsEEDaPvRmT3_T4_T5_mT6_P12ihipStream_tbENKUlT_T0_E_clISt17integral_constantIbLb0EESW_IbLb1EEEEDaSS_ST_EUlSS_E0_NS1_11comp_targetILNS1_3genE4ELNS1_11target_archE910ELNS1_3gpuE8ELNS1_3repE0EEENS1_30default_config_static_selectorELNS0_4arch9wavefront6targetE1EEEvT1_
	.p2align	8
	.type	_ZN7rocprim17ROCPRIM_400000_NS6detail17trampoline_kernelINS0_14default_configENS1_20scan_config_selectorIsEEZZNS1_9scan_implILNS1_25lookback_scan_determinismE0ELb1ELb1ES3_N6thrust23THRUST_200600_302600_NS6detail15normal_iteratorINS9_10device_ptrIsEEEENS9_16discard_iteratorINS9_11use_defaultEEEs11max_functorIsEsEEDaPvRmT3_T4_T5_mT6_P12ihipStream_tbENKUlT_T0_E_clISt17integral_constantIbLb0EESW_IbLb1EEEEDaSS_ST_EUlSS_E0_NS1_11comp_targetILNS1_3genE4ELNS1_11target_archE910ELNS1_3gpuE8ELNS1_3repE0EEENS1_30default_config_static_selectorELNS0_4arch9wavefront6targetE1EEEvT1_,@function
_ZN7rocprim17ROCPRIM_400000_NS6detail17trampoline_kernelINS0_14default_configENS1_20scan_config_selectorIsEEZZNS1_9scan_implILNS1_25lookback_scan_determinismE0ELb1ELb1ES3_N6thrust23THRUST_200600_302600_NS6detail15normal_iteratorINS9_10device_ptrIsEEEENS9_16discard_iteratorINS9_11use_defaultEEEs11max_functorIsEsEEDaPvRmT3_T4_T5_mT6_P12ihipStream_tbENKUlT_T0_E_clISt17integral_constantIbLb0EESW_IbLb1EEEEDaSS_ST_EUlSS_E0_NS1_11comp_targetILNS1_3genE4ELNS1_11target_archE910ELNS1_3gpuE8ELNS1_3repE0EEENS1_30default_config_static_selectorELNS0_4arch9wavefront6targetE1EEEvT1_: ; @_ZN7rocprim17ROCPRIM_400000_NS6detail17trampoline_kernelINS0_14default_configENS1_20scan_config_selectorIsEEZZNS1_9scan_implILNS1_25lookback_scan_determinismE0ELb1ELb1ES3_N6thrust23THRUST_200600_302600_NS6detail15normal_iteratorINS9_10device_ptrIsEEEENS9_16discard_iteratorINS9_11use_defaultEEEs11max_functorIsEsEEDaPvRmT3_T4_T5_mT6_P12ihipStream_tbENKUlT_T0_E_clISt17integral_constantIbLb0EESW_IbLb1EEEEDaSS_ST_EUlSS_E0_NS1_11comp_targetILNS1_3genE4ELNS1_11target_archE910ELNS1_3gpuE8ELNS1_3repE0EEENS1_30default_config_static_selectorELNS0_4arch9wavefront6targetE1EEEvT1_
; %bb.0:
	s_load_dwordx4 s[0:3], s[4:5], 0x0
	v_mov_b32_e32 v1, 0
	s_waitcnt lgkmcnt(0)
	global_load_ushort v2, v1, s[0:1]
	v_cmp_gt_u32_e32 vcc, s2, v0
	v_lshlrev_b32_e32 v1, 1, v0
	s_waitcnt vmcnt(0)
	v_mov_b32_e32 v3, v2
	s_and_saveexec_b64 s[6:7], vcc
	s_cbranch_execz .LBB4135_2
; %bb.1:
	global_load_ushort v3, v1, s[0:1]
.LBB4135_2:
	s_or_b64 exec, exec, s[6:7]
	v_or_b32_e32 v4, 64, v0
	v_cmp_gt_u32_e32 vcc, s2, v4
	v_mov_b32_e32 v4, v2
	s_and_saveexec_b64 s[6:7], vcc
	s_cbranch_execz .LBB4135_4
; %bb.3:
	global_load_ushort v4, v1, s[0:1] offset:128
.LBB4135_4:
	s_or_b64 exec, exec, s[6:7]
	v_or_b32_e32 v5, 0x80, v0
	v_cmp_gt_u32_e32 vcc, s2, v5
	v_mov_b32_e32 v5, v2
	s_and_saveexec_b64 s[6:7], vcc
	s_cbranch_execz .LBB4135_6
; %bb.5:
	global_load_ushort v5, v1, s[0:1] offset:256
.LBB4135_6:
	;; [unrolled: 9-line block ×22, first 2 shown]
	s_or_b64 exec, exec, s[6:7]
	s_load_dword s4, s[4:5], 0x10
	v_or_b32_e32 v26, 0x5c0, v0
	v_cmp_gt_u32_e32 vcc, s2, v26
	s_and_saveexec_b64 s[2:3], vcc
	s_cbranch_execz .LBB4135_48
; %bb.47:
	global_load_ushort v2, v1, s[0:1] offset:2944
.LBB4135_48:
	s_or_b64 exec, exec, s[2:3]
	s_waitcnt vmcnt(0)
	ds_write_b16 v1, v3
	ds_write_b16 v1, v4 offset:128
	ds_write_b16 v1, v5 offset:256
	;; [unrolled: 1-line block ×23, first 2 shown]
	v_mad_u32_u24 v2, v0, 46, v1
	s_waitcnt lgkmcnt(0)
	; wave barrier
	s_waitcnt lgkmcnt(0)
	ds_read_b128 v[10:13], v2
	ds_read_b128 v[6:9], v2 offset:16
	ds_read_b128 v[2:5], v2 offset:32
	v_mul_u32_u24_e32 v14, 46, v0
	s_waitcnt lgkmcnt(0)
	; wave barrier
	s_waitcnt lgkmcnt(0)
	v_lshrrev_b32_e32 v24, 16, v11
	v_max_i16_sdwa v26, v10, v10 dst_sel:DWORD dst_unused:UNUSED_PAD src0_sel:DWORD src1_sel:WORD_1
	v_lshrrev_b32_e32 v23, 16, v12
	v_max3_i16 v26, v26, v11, v24
	v_lshrrev_b32_e32 v22, 16, v13
	v_max3_i16 v26, v26, v12, v23
	;; [unrolled: 2-line block ×10, first 2 shown]
	v_max3_i16 v26, v26, v5, v25
	v_mbcnt_lo_u32_b32 v25, -1, 0
	v_mbcnt_hi_u32_b32 v25, -1, v25
	v_and_b32_e32 v28, 0xffff, v26
	v_and_b32_e32 v27, 15, v25
	v_cmp_eq_u32_e32 vcc, 0, v27
	v_mov_b32_dpp v28, v28 row_shr:1 row_mask:0xf bank_mask:0xf
	v_max_i16_e32 v28, v28, v26
	v_cndmask_b32_e32 v26, v28, v26, vcc
	v_and_b32_e32 v28, 0xffff, v26
	v_cmp_lt_u32_e32 vcc, 1, v27
	s_nop 0
	v_mov_b32_dpp v28, v28 row_shr:2 row_mask:0xf bank_mask:0xf
	v_max_i16_e32 v28, v28, v26
	v_cndmask_b32_e32 v26, v26, v28, vcc
	v_and_b32_e32 v28, 0xffff, v26
	v_cmp_lt_u32_e32 vcc, 3, v27
	s_nop 0
	;; [unrolled: 6-line block ×3, first 2 shown]
	v_mov_b32_dpp v28, v28 row_shr:8 row_mask:0xf bank_mask:0xf
	v_max_i16_e32 v28, v28, v26
	v_cndmask_b32_e32 v26, v26, v28, vcc
	v_and_b32_e32 v27, 0xffff, v26
	v_and_b32_e32 v28, 16, v25
	v_cmp_eq_u32_e32 vcc, 0, v28
	v_mov_b32_dpp v27, v27 row_bcast:15 row_mask:0xf bank_mask:0xf
	v_max_i16_e32 v27, v27, v26
	v_cndmask_b32_e32 v26, v27, v26, vcc
	v_and_b32_e32 v27, 0xffff, v26
	v_cmp_lt_u32_e32 vcc, 31, v25
	s_nop 0
	v_mov_b32_dpp v27, v27 row_bcast:31 row_mask:0xf bank_mask:0xf
	v_max_i16_e32 v27, v27, v26
	v_cndmask_b32_e32 v26, v26, v27, vcc
	v_cmp_eq_u32_e32 vcc, 63, v0
	s_and_saveexec_b64 s[0:1], vcc
	s_cbranch_execz .LBB4135_50
; %bb.49:
	v_mov_b32_e32 v27, 0
	ds_write_b16 v27, v26
.LBB4135_50:
	s_or_b64 exec, exec, s[0:1]
	v_add_u32_e32 v27, -1, v25
	v_and_b32_e32 v28, 64, v25
	v_cmp_lt_i32_e32 vcc, v27, v28
	v_cndmask_b32_e32 v27, v27, v25, vcc
	v_max_i16_e32 v26, s4, v26
	v_lshlrev_b32_e32 v27, 2, v27
	ds_bpermute_b32 v26, v27, v26
	v_cmp_eq_u32_e32 vcc, 0, v25
	v_cmp_eq_u32_e64 s[0:1], 0, v0
	v_mov_b32_e32 v0, s4
	s_or_b64 vcc, s[0:1], vcc
	s_waitcnt lgkmcnt(0)
	v_cndmask_b32_e32 v0, v26, v0, vcc
	v_max_i16_e32 v25, v0, v10
	v_max_i16_sdwa v10, v25, v10 dst_sel:DWORD dst_unused:UNUSED_PAD src0_sel:DWORD src1_sel:WORD_1
	v_max_i16_e32 v11, v10, v11
	v_max_i16_e32 v24, v11, v24
	;; [unrolled: 1-line block ×19, first 2 shown]
	s_mov_b32 s0, 0x5040100
	v_max_i16_e32 v15, v4, v15
	v_add_u32_e32 v14, v1, v14
	v_perm_b32 v0, v25, v0, s0
	v_perm_b32 v1, v11, v10, s0
	;; [unrolled: 1-line block ×4, first 2 shown]
	s_waitcnt lgkmcnt(0)
	; wave barrier
	v_max_i16_e32 v5, v15, v5
	s_waitcnt lgkmcnt(0)
	; wave barrier
	ds_write_b128 v14, v[0:3]
	v_perm_b32 v0, v6, v22, s0
	v_perm_b32 v1, v7, v21, s0
	;; [unrolled: 1-line block ×4, first 2 shown]
	ds_write_b128 v14, v[0:3] offset:16
	v_perm_b32 v0, v26, v18, s0
	v_perm_b32 v1, v27, v17, s0
	;; [unrolled: 1-line block ×4, first 2 shown]
	ds_write_b128 v14, v[0:3] offset:32
	s_waitcnt lgkmcnt(0)
	; wave barrier
	s_waitcnt lgkmcnt(0)
	s_endpgm
	.section	.rodata,"a",@progbits
	.p2align	6, 0x0
	.amdhsa_kernel _ZN7rocprim17ROCPRIM_400000_NS6detail17trampoline_kernelINS0_14default_configENS1_20scan_config_selectorIsEEZZNS1_9scan_implILNS1_25lookback_scan_determinismE0ELb1ELb1ES3_N6thrust23THRUST_200600_302600_NS6detail15normal_iteratorINS9_10device_ptrIsEEEENS9_16discard_iteratorINS9_11use_defaultEEEs11max_functorIsEsEEDaPvRmT3_T4_T5_mT6_P12ihipStream_tbENKUlT_T0_E_clISt17integral_constantIbLb0EESW_IbLb1EEEEDaSS_ST_EUlSS_E0_NS1_11comp_targetILNS1_3genE4ELNS1_11target_archE910ELNS1_3gpuE8ELNS1_3repE0EEENS1_30default_config_static_selectorELNS0_4arch9wavefront6targetE1EEEvT1_
		.amdhsa_group_segment_fixed_size 3072
		.amdhsa_private_segment_fixed_size 0
		.amdhsa_kernarg_size 40
		.amdhsa_user_sgpr_count 6
		.amdhsa_user_sgpr_private_segment_buffer 1
		.amdhsa_user_sgpr_dispatch_ptr 0
		.amdhsa_user_sgpr_queue_ptr 0
		.amdhsa_user_sgpr_kernarg_segment_ptr 1
		.amdhsa_user_sgpr_dispatch_id 0
		.amdhsa_user_sgpr_flat_scratch_init 0
		.amdhsa_user_sgpr_kernarg_preload_length 0
		.amdhsa_user_sgpr_kernarg_preload_offset 0
		.amdhsa_user_sgpr_private_segment_size 0
		.amdhsa_uses_dynamic_stack 0
		.amdhsa_system_sgpr_private_segment_wavefront_offset 0
		.amdhsa_system_sgpr_workgroup_id_x 1
		.amdhsa_system_sgpr_workgroup_id_y 0
		.amdhsa_system_sgpr_workgroup_id_z 0
		.amdhsa_system_sgpr_workgroup_info 0
		.amdhsa_system_vgpr_workitem_id 0
		.amdhsa_next_free_vgpr 29
		.amdhsa_next_free_sgpr 8
		.amdhsa_accum_offset 32
		.amdhsa_reserve_vcc 1
		.amdhsa_reserve_flat_scratch 0
		.amdhsa_float_round_mode_32 0
		.amdhsa_float_round_mode_16_64 0
		.amdhsa_float_denorm_mode_32 3
		.amdhsa_float_denorm_mode_16_64 3
		.amdhsa_dx10_clamp 1
		.amdhsa_ieee_mode 1
		.amdhsa_fp16_overflow 0
		.amdhsa_tg_split 0
		.amdhsa_exception_fp_ieee_invalid_op 0
		.amdhsa_exception_fp_denorm_src 0
		.amdhsa_exception_fp_ieee_div_zero 0
		.amdhsa_exception_fp_ieee_overflow 0
		.amdhsa_exception_fp_ieee_underflow 0
		.amdhsa_exception_fp_ieee_inexact 0
		.amdhsa_exception_int_div_zero 0
	.end_amdhsa_kernel
	.section	.text._ZN7rocprim17ROCPRIM_400000_NS6detail17trampoline_kernelINS0_14default_configENS1_20scan_config_selectorIsEEZZNS1_9scan_implILNS1_25lookback_scan_determinismE0ELb1ELb1ES3_N6thrust23THRUST_200600_302600_NS6detail15normal_iteratorINS9_10device_ptrIsEEEENS9_16discard_iteratorINS9_11use_defaultEEEs11max_functorIsEsEEDaPvRmT3_T4_T5_mT6_P12ihipStream_tbENKUlT_T0_E_clISt17integral_constantIbLb0EESW_IbLb1EEEEDaSS_ST_EUlSS_E0_NS1_11comp_targetILNS1_3genE4ELNS1_11target_archE910ELNS1_3gpuE8ELNS1_3repE0EEENS1_30default_config_static_selectorELNS0_4arch9wavefront6targetE1EEEvT1_,"axG",@progbits,_ZN7rocprim17ROCPRIM_400000_NS6detail17trampoline_kernelINS0_14default_configENS1_20scan_config_selectorIsEEZZNS1_9scan_implILNS1_25lookback_scan_determinismE0ELb1ELb1ES3_N6thrust23THRUST_200600_302600_NS6detail15normal_iteratorINS9_10device_ptrIsEEEENS9_16discard_iteratorINS9_11use_defaultEEEs11max_functorIsEsEEDaPvRmT3_T4_T5_mT6_P12ihipStream_tbENKUlT_T0_E_clISt17integral_constantIbLb0EESW_IbLb1EEEEDaSS_ST_EUlSS_E0_NS1_11comp_targetILNS1_3genE4ELNS1_11target_archE910ELNS1_3gpuE8ELNS1_3repE0EEENS1_30default_config_static_selectorELNS0_4arch9wavefront6targetE1EEEvT1_,comdat
.Lfunc_end4135:
	.size	_ZN7rocprim17ROCPRIM_400000_NS6detail17trampoline_kernelINS0_14default_configENS1_20scan_config_selectorIsEEZZNS1_9scan_implILNS1_25lookback_scan_determinismE0ELb1ELb1ES3_N6thrust23THRUST_200600_302600_NS6detail15normal_iteratorINS9_10device_ptrIsEEEENS9_16discard_iteratorINS9_11use_defaultEEEs11max_functorIsEsEEDaPvRmT3_T4_T5_mT6_P12ihipStream_tbENKUlT_T0_E_clISt17integral_constantIbLb0EESW_IbLb1EEEEDaSS_ST_EUlSS_E0_NS1_11comp_targetILNS1_3genE4ELNS1_11target_archE910ELNS1_3gpuE8ELNS1_3repE0EEENS1_30default_config_static_selectorELNS0_4arch9wavefront6targetE1EEEvT1_, .Lfunc_end4135-_ZN7rocprim17ROCPRIM_400000_NS6detail17trampoline_kernelINS0_14default_configENS1_20scan_config_selectorIsEEZZNS1_9scan_implILNS1_25lookback_scan_determinismE0ELb1ELb1ES3_N6thrust23THRUST_200600_302600_NS6detail15normal_iteratorINS9_10device_ptrIsEEEENS9_16discard_iteratorINS9_11use_defaultEEEs11max_functorIsEsEEDaPvRmT3_T4_T5_mT6_P12ihipStream_tbENKUlT_T0_E_clISt17integral_constantIbLb0EESW_IbLb1EEEEDaSS_ST_EUlSS_E0_NS1_11comp_targetILNS1_3genE4ELNS1_11target_archE910ELNS1_3gpuE8ELNS1_3repE0EEENS1_30default_config_static_selectorELNS0_4arch9wavefront6targetE1EEEvT1_
                                        ; -- End function
	.section	.AMDGPU.csdata,"",@progbits
; Kernel info:
; codeLenInByte = 1820
; NumSgprs: 12
; NumVgprs: 29
; NumAgprs: 0
; TotalNumVgprs: 29
; ScratchSize: 0
; MemoryBound: 0
; FloatMode: 240
; IeeeMode: 1
; LDSByteSize: 3072 bytes/workgroup (compile time only)
; SGPRBlocks: 1
; VGPRBlocks: 3
; NumSGPRsForWavesPerEU: 12
; NumVGPRsForWavesPerEU: 29
; AccumOffset: 32
; Occupancy: 6
; WaveLimiterHint : 0
; COMPUTE_PGM_RSRC2:SCRATCH_EN: 0
; COMPUTE_PGM_RSRC2:USER_SGPR: 6
; COMPUTE_PGM_RSRC2:TRAP_HANDLER: 0
; COMPUTE_PGM_RSRC2:TGID_X_EN: 1
; COMPUTE_PGM_RSRC2:TGID_Y_EN: 0
; COMPUTE_PGM_RSRC2:TGID_Z_EN: 0
; COMPUTE_PGM_RSRC2:TIDIG_COMP_CNT: 0
; COMPUTE_PGM_RSRC3_GFX90A:ACCUM_OFFSET: 7
; COMPUTE_PGM_RSRC3_GFX90A:TG_SPLIT: 0
	.section	.text._ZN7rocprim17ROCPRIM_400000_NS6detail17trampoline_kernelINS0_14default_configENS1_20scan_config_selectorIsEEZZNS1_9scan_implILNS1_25lookback_scan_determinismE0ELb1ELb1ES3_N6thrust23THRUST_200600_302600_NS6detail15normal_iteratorINS9_10device_ptrIsEEEENS9_16discard_iteratorINS9_11use_defaultEEEs11max_functorIsEsEEDaPvRmT3_T4_T5_mT6_P12ihipStream_tbENKUlT_T0_E_clISt17integral_constantIbLb0EESW_IbLb1EEEEDaSS_ST_EUlSS_E0_NS1_11comp_targetILNS1_3genE3ELNS1_11target_archE908ELNS1_3gpuE7ELNS1_3repE0EEENS1_30default_config_static_selectorELNS0_4arch9wavefront6targetE1EEEvT1_,"axG",@progbits,_ZN7rocprim17ROCPRIM_400000_NS6detail17trampoline_kernelINS0_14default_configENS1_20scan_config_selectorIsEEZZNS1_9scan_implILNS1_25lookback_scan_determinismE0ELb1ELb1ES3_N6thrust23THRUST_200600_302600_NS6detail15normal_iteratorINS9_10device_ptrIsEEEENS9_16discard_iteratorINS9_11use_defaultEEEs11max_functorIsEsEEDaPvRmT3_T4_T5_mT6_P12ihipStream_tbENKUlT_T0_E_clISt17integral_constantIbLb0EESW_IbLb1EEEEDaSS_ST_EUlSS_E0_NS1_11comp_targetILNS1_3genE3ELNS1_11target_archE908ELNS1_3gpuE7ELNS1_3repE0EEENS1_30default_config_static_selectorELNS0_4arch9wavefront6targetE1EEEvT1_,comdat
	.protected	_ZN7rocprim17ROCPRIM_400000_NS6detail17trampoline_kernelINS0_14default_configENS1_20scan_config_selectorIsEEZZNS1_9scan_implILNS1_25lookback_scan_determinismE0ELb1ELb1ES3_N6thrust23THRUST_200600_302600_NS6detail15normal_iteratorINS9_10device_ptrIsEEEENS9_16discard_iteratorINS9_11use_defaultEEEs11max_functorIsEsEEDaPvRmT3_T4_T5_mT6_P12ihipStream_tbENKUlT_T0_E_clISt17integral_constantIbLb0EESW_IbLb1EEEEDaSS_ST_EUlSS_E0_NS1_11comp_targetILNS1_3genE3ELNS1_11target_archE908ELNS1_3gpuE7ELNS1_3repE0EEENS1_30default_config_static_selectorELNS0_4arch9wavefront6targetE1EEEvT1_ ; -- Begin function _ZN7rocprim17ROCPRIM_400000_NS6detail17trampoline_kernelINS0_14default_configENS1_20scan_config_selectorIsEEZZNS1_9scan_implILNS1_25lookback_scan_determinismE0ELb1ELb1ES3_N6thrust23THRUST_200600_302600_NS6detail15normal_iteratorINS9_10device_ptrIsEEEENS9_16discard_iteratorINS9_11use_defaultEEEs11max_functorIsEsEEDaPvRmT3_T4_T5_mT6_P12ihipStream_tbENKUlT_T0_E_clISt17integral_constantIbLb0EESW_IbLb1EEEEDaSS_ST_EUlSS_E0_NS1_11comp_targetILNS1_3genE3ELNS1_11target_archE908ELNS1_3gpuE7ELNS1_3repE0EEENS1_30default_config_static_selectorELNS0_4arch9wavefront6targetE1EEEvT1_
	.globl	_ZN7rocprim17ROCPRIM_400000_NS6detail17trampoline_kernelINS0_14default_configENS1_20scan_config_selectorIsEEZZNS1_9scan_implILNS1_25lookback_scan_determinismE0ELb1ELb1ES3_N6thrust23THRUST_200600_302600_NS6detail15normal_iteratorINS9_10device_ptrIsEEEENS9_16discard_iteratorINS9_11use_defaultEEEs11max_functorIsEsEEDaPvRmT3_T4_T5_mT6_P12ihipStream_tbENKUlT_T0_E_clISt17integral_constantIbLb0EESW_IbLb1EEEEDaSS_ST_EUlSS_E0_NS1_11comp_targetILNS1_3genE3ELNS1_11target_archE908ELNS1_3gpuE7ELNS1_3repE0EEENS1_30default_config_static_selectorELNS0_4arch9wavefront6targetE1EEEvT1_
	.p2align	8
	.type	_ZN7rocprim17ROCPRIM_400000_NS6detail17trampoline_kernelINS0_14default_configENS1_20scan_config_selectorIsEEZZNS1_9scan_implILNS1_25lookback_scan_determinismE0ELb1ELb1ES3_N6thrust23THRUST_200600_302600_NS6detail15normal_iteratorINS9_10device_ptrIsEEEENS9_16discard_iteratorINS9_11use_defaultEEEs11max_functorIsEsEEDaPvRmT3_T4_T5_mT6_P12ihipStream_tbENKUlT_T0_E_clISt17integral_constantIbLb0EESW_IbLb1EEEEDaSS_ST_EUlSS_E0_NS1_11comp_targetILNS1_3genE3ELNS1_11target_archE908ELNS1_3gpuE7ELNS1_3repE0EEENS1_30default_config_static_selectorELNS0_4arch9wavefront6targetE1EEEvT1_,@function
_ZN7rocprim17ROCPRIM_400000_NS6detail17trampoline_kernelINS0_14default_configENS1_20scan_config_selectorIsEEZZNS1_9scan_implILNS1_25lookback_scan_determinismE0ELb1ELb1ES3_N6thrust23THRUST_200600_302600_NS6detail15normal_iteratorINS9_10device_ptrIsEEEENS9_16discard_iteratorINS9_11use_defaultEEEs11max_functorIsEsEEDaPvRmT3_T4_T5_mT6_P12ihipStream_tbENKUlT_T0_E_clISt17integral_constantIbLb0EESW_IbLb1EEEEDaSS_ST_EUlSS_E0_NS1_11comp_targetILNS1_3genE3ELNS1_11target_archE908ELNS1_3gpuE7ELNS1_3repE0EEENS1_30default_config_static_selectorELNS0_4arch9wavefront6targetE1EEEvT1_: ; @_ZN7rocprim17ROCPRIM_400000_NS6detail17trampoline_kernelINS0_14default_configENS1_20scan_config_selectorIsEEZZNS1_9scan_implILNS1_25lookback_scan_determinismE0ELb1ELb1ES3_N6thrust23THRUST_200600_302600_NS6detail15normal_iteratorINS9_10device_ptrIsEEEENS9_16discard_iteratorINS9_11use_defaultEEEs11max_functorIsEsEEDaPvRmT3_T4_T5_mT6_P12ihipStream_tbENKUlT_T0_E_clISt17integral_constantIbLb0EESW_IbLb1EEEEDaSS_ST_EUlSS_E0_NS1_11comp_targetILNS1_3genE3ELNS1_11target_archE908ELNS1_3gpuE7ELNS1_3repE0EEENS1_30default_config_static_selectorELNS0_4arch9wavefront6targetE1EEEvT1_
; %bb.0:
	.section	.rodata,"a",@progbits
	.p2align	6, 0x0
	.amdhsa_kernel _ZN7rocprim17ROCPRIM_400000_NS6detail17trampoline_kernelINS0_14default_configENS1_20scan_config_selectorIsEEZZNS1_9scan_implILNS1_25lookback_scan_determinismE0ELb1ELb1ES3_N6thrust23THRUST_200600_302600_NS6detail15normal_iteratorINS9_10device_ptrIsEEEENS9_16discard_iteratorINS9_11use_defaultEEEs11max_functorIsEsEEDaPvRmT3_T4_T5_mT6_P12ihipStream_tbENKUlT_T0_E_clISt17integral_constantIbLb0EESW_IbLb1EEEEDaSS_ST_EUlSS_E0_NS1_11comp_targetILNS1_3genE3ELNS1_11target_archE908ELNS1_3gpuE7ELNS1_3repE0EEENS1_30default_config_static_selectorELNS0_4arch9wavefront6targetE1EEEvT1_
		.amdhsa_group_segment_fixed_size 0
		.amdhsa_private_segment_fixed_size 0
		.amdhsa_kernarg_size 40
		.amdhsa_user_sgpr_count 6
		.amdhsa_user_sgpr_private_segment_buffer 1
		.amdhsa_user_sgpr_dispatch_ptr 0
		.amdhsa_user_sgpr_queue_ptr 0
		.amdhsa_user_sgpr_kernarg_segment_ptr 1
		.amdhsa_user_sgpr_dispatch_id 0
		.amdhsa_user_sgpr_flat_scratch_init 0
		.amdhsa_user_sgpr_kernarg_preload_length 0
		.amdhsa_user_sgpr_kernarg_preload_offset 0
		.amdhsa_user_sgpr_private_segment_size 0
		.amdhsa_uses_dynamic_stack 0
		.amdhsa_system_sgpr_private_segment_wavefront_offset 0
		.amdhsa_system_sgpr_workgroup_id_x 1
		.amdhsa_system_sgpr_workgroup_id_y 0
		.amdhsa_system_sgpr_workgroup_id_z 0
		.amdhsa_system_sgpr_workgroup_info 0
		.amdhsa_system_vgpr_workitem_id 0
		.amdhsa_next_free_vgpr 1
		.amdhsa_next_free_sgpr 0
		.amdhsa_accum_offset 4
		.amdhsa_reserve_vcc 0
		.amdhsa_reserve_flat_scratch 0
		.amdhsa_float_round_mode_32 0
		.amdhsa_float_round_mode_16_64 0
		.amdhsa_float_denorm_mode_32 3
		.amdhsa_float_denorm_mode_16_64 3
		.amdhsa_dx10_clamp 1
		.amdhsa_ieee_mode 1
		.amdhsa_fp16_overflow 0
		.amdhsa_tg_split 0
		.amdhsa_exception_fp_ieee_invalid_op 0
		.amdhsa_exception_fp_denorm_src 0
		.amdhsa_exception_fp_ieee_div_zero 0
		.amdhsa_exception_fp_ieee_overflow 0
		.amdhsa_exception_fp_ieee_underflow 0
		.amdhsa_exception_fp_ieee_inexact 0
		.amdhsa_exception_int_div_zero 0
	.end_amdhsa_kernel
	.section	.text._ZN7rocprim17ROCPRIM_400000_NS6detail17trampoline_kernelINS0_14default_configENS1_20scan_config_selectorIsEEZZNS1_9scan_implILNS1_25lookback_scan_determinismE0ELb1ELb1ES3_N6thrust23THRUST_200600_302600_NS6detail15normal_iteratorINS9_10device_ptrIsEEEENS9_16discard_iteratorINS9_11use_defaultEEEs11max_functorIsEsEEDaPvRmT3_T4_T5_mT6_P12ihipStream_tbENKUlT_T0_E_clISt17integral_constantIbLb0EESW_IbLb1EEEEDaSS_ST_EUlSS_E0_NS1_11comp_targetILNS1_3genE3ELNS1_11target_archE908ELNS1_3gpuE7ELNS1_3repE0EEENS1_30default_config_static_selectorELNS0_4arch9wavefront6targetE1EEEvT1_,"axG",@progbits,_ZN7rocprim17ROCPRIM_400000_NS6detail17trampoline_kernelINS0_14default_configENS1_20scan_config_selectorIsEEZZNS1_9scan_implILNS1_25lookback_scan_determinismE0ELb1ELb1ES3_N6thrust23THRUST_200600_302600_NS6detail15normal_iteratorINS9_10device_ptrIsEEEENS9_16discard_iteratorINS9_11use_defaultEEEs11max_functorIsEsEEDaPvRmT3_T4_T5_mT6_P12ihipStream_tbENKUlT_T0_E_clISt17integral_constantIbLb0EESW_IbLb1EEEEDaSS_ST_EUlSS_E0_NS1_11comp_targetILNS1_3genE3ELNS1_11target_archE908ELNS1_3gpuE7ELNS1_3repE0EEENS1_30default_config_static_selectorELNS0_4arch9wavefront6targetE1EEEvT1_,comdat
.Lfunc_end4136:
	.size	_ZN7rocprim17ROCPRIM_400000_NS6detail17trampoline_kernelINS0_14default_configENS1_20scan_config_selectorIsEEZZNS1_9scan_implILNS1_25lookback_scan_determinismE0ELb1ELb1ES3_N6thrust23THRUST_200600_302600_NS6detail15normal_iteratorINS9_10device_ptrIsEEEENS9_16discard_iteratorINS9_11use_defaultEEEs11max_functorIsEsEEDaPvRmT3_T4_T5_mT6_P12ihipStream_tbENKUlT_T0_E_clISt17integral_constantIbLb0EESW_IbLb1EEEEDaSS_ST_EUlSS_E0_NS1_11comp_targetILNS1_3genE3ELNS1_11target_archE908ELNS1_3gpuE7ELNS1_3repE0EEENS1_30default_config_static_selectorELNS0_4arch9wavefront6targetE1EEEvT1_, .Lfunc_end4136-_ZN7rocprim17ROCPRIM_400000_NS6detail17trampoline_kernelINS0_14default_configENS1_20scan_config_selectorIsEEZZNS1_9scan_implILNS1_25lookback_scan_determinismE0ELb1ELb1ES3_N6thrust23THRUST_200600_302600_NS6detail15normal_iteratorINS9_10device_ptrIsEEEENS9_16discard_iteratorINS9_11use_defaultEEEs11max_functorIsEsEEDaPvRmT3_T4_T5_mT6_P12ihipStream_tbENKUlT_T0_E_clISt17integral_constantIbLb0EESW_IbLb1EEEEDaSS_ST_EUlSS_E0_NS1_11comp_targetILNS1_3genE3ELNS1_11target_archE908ELNS1_3gpuE7ELNS1_3repE0EEENS1_30default_config_static_selectorELNS0_4arch9wavefront6targetE1EEEvT1_
                                        ; -- End function
	.section	.AMDGPU.csdata,"",@progbits
; Kernel info:
; codeLenInByte = 0
; NumSgprs: 4
; NumVgprs: 0
; NumAgprs: 0
; TotalNumVgprs: 0
; ScratchSize: 0
; MemoryBound: 0
; FloatMode: 240
; IeeeMode: 1
; LDSByteSize: 0 bytes/workgroup (compile time only)
; SGPRBlocks: 0
; VGPRBlocks: 0
; NumSGPRsForWavesPerEU: 4
; NumVGPRsForWavesPerEU: 1
; AccumOffset: 4
; Occupancy: 8
; WaveLimiterHint : 0
; COMPUTE_PGM_RSRC2:SCRATCH_EN: 0
; COMPUTE_PGM_RSRC2:USER_SGPR: 6
; COMPUTE_PGM_RSRC2:TRAP_HANDLER: 0
; COMPUTE_PGM_RSRC2:TGID_X_EN: 1
; COMPUTE_PGM_RSRC2:TGID_Y_EN: 0
; COMPUTE_PGM_RSRC2:TGID_Z_EN: 0
; COMPUTE_PGM_RSRC2:TIDIG_COMP_CNT: 0
; COMPUTE_PGM_RSRC3_GFX90A:ACCUM_OFFSET: 0
; COMPUTE_PGM_RSRC3_GFX90A:TG_SPLIT: 0
	.section	.text._ZN7rocprim17ROCPRIM_400000_NS6detail17trampoline_kernelINS0_14default_configENS1_20scan_config_selectorIsEEZZNS1_9scan_implILNS1_25lookback_scan_determinismE0ELb1ELb1ES3_N6thrust23THRUST_200600_302600_NS6detail15normal_iteratorINS9_10device_ptrIsEEEENS9_16discard_iteratorINS9_11use_defaultEEEs11max_functorIsEsEEDaPvRmT3_T4_T5_mT6_P12ihipStream_tbENKUlT_T0_E_clISt17integral_constantIbLb0EESW_IbLb1EEEEDaSS_ST_EUlSS_E0_NS1_11comp_targetILNS1_3genE2ELNS1_11target_archE906ELNS1_3gpuE6ELNS1_3repE0EEENS1_30default_config_static_selectorELNS0_4arch9wavefront6targetE1EEEvT1_,"axG",@progbits,_ZN7rocprim17ROCPRIM_400000_NS6detail17trampoline_kernelINS0_14default_configENS1_20scan_config_selectorIsEEZZNS1_9scan_implILNS1_25lookback_scan_determinismE0ELb1ELb1ES3_N6thrust23THRUST_200600_302600_NS6detail15normal_iteratorINS9_10device_ptrIsEEEENS9_16discard_iteratorINS9_11use_defaultEEEs11max_functorIsEsEEDaPvRmT3_T4_T5_mT6_P12ihipStream_tbENKUlT_T0_E_clISt17integral_constantIbLb0EESW_IbLb1EEEEDaSS_ST_EUlSS_E0_NS1_11comp_targetILNS1_3genE2ELNS1_11target_archE906ELNS1_3gpuE6ELNS1_3repE0EEENS1_30default_config_static_selectorELNS0_4arch9wavefront6targetE1EEEvT1_,comdat
	.protected	_ZN7rocprim17ROCPRIM_400000_NS6detail17trampoline_kernelINS0_14default_configENS1_20scan_config_selectorIsEEZZNS1_9scan_implILNS1_25lookback_scan_determinismE0ELb1ELb1ES3_N6thrust23THRUST_200600_302600_NS6detail15normal_iteratorINS9_10device_ptrIsEEEENS9_16discard_iteratorINS9_11use_defaultEEEs11max_functorIsEsEEDaPvRmT3_T4_T5_mT6_P12ihipStream_tbENKUlT_T0_E_clISt17integral_constantIbLb0EESW_IbLb1EEEEDaSS_ST_EUlSS_E0_NS1_11comp_targetILNS1_3genE2ELNS1_11target_archE906ELNS1_3gpuE6ELNS1_3repE0EEENS1_30default_config_static_selectorELNS0_4arch9wavefront6targetE1EEEvT1_ ; -- Begin function _ZN7rocprim17ROCPRIM_400000_NS6detail17trampoline_kernelINS0_14default_configENS1_20scan_config_selectorIsEEZZNS1_9scan_implILNS1_25lookback_scan_determinismE0ELb1ELb1ES3_N6thrust23THRUST_200600_302600_NS6detail15normal_iteratorINS9_10device_ptrIsEEEENS9_16discard_iteratorINS9_11use_defaultEEEs11max_functorIsEsEEDaPvRmT3_T4_T5_mT6_P12ihipStream_tbENKUlT_T0_E_clISt17integral_constantIbLb0EESW_IbLb1EEEEDaSS_ST_EUlSS_E0_NS1_11comp_targetILNS1_3genE2ELNS1_11target_archE906ELNS1_3gpuE6ELNS1_3repE0EEENS1_30default_config_static_selectorELNS0_4arch9wavefront6targetE1EEEvT1_
	.globl	_ZN7rocprim17ROCPRIM_400000_NS6detail17trampoline_kernelINS0_14default_configENS1_20scan_config_selectorIsEEZZNS1_9scan_implILNS1_25lookback_scan_determinismE0ELb1ELb1ES3_N6thrust23THRUST_200600_302600_NS6detail15normal_iteratorINS9_10device_ptrIsEEEENS9_16discard_iteratorINS9_11use_defaultEEEs11max_functorIsEsEEDaPvRmT3_T4_T5_mT6_P12ihipStream_tbENKUlT_T0_E_clISt17integral_constantIbLb0EESW_IbLb1EEEEDaSS_ST_EUlSS_E0_NS1_11comp_targetILNS1_3genE2ELNS1_11target_archE906ELNS1_3gpuE6ELNS1_3repE0EEENS1_30default_config_static_selectorELNS0_4arch9wavefront6targetE1EEEvT1_
	.p2align	8
	.type	_ZN7rocprim17ROCPRIM_400000_NS6detail17trampoline_kernelINS0_14default_configENS1_20scan_config_selectorIsEEZZNS1_9scan_implILNS1_25lookback_scan_determinismE0ELb1ELb1ES3_N6thrust23THRUST_200600_302600_NS6detail15normal_iteratorINS9_10device_ptrIsEEEENS9_16discard_iteratorINS9_11use_defaultEEEs11max_functorIsEsEEDaPvRmT3_T4_T5_mT6_P12ihipStream_tbENKUlT_T0_E_clISt17integral_constantIbLb0EESW_IbLb1EEEEDaSS_ST_EUlSS_E0_NS1_11comp_targetILNS1_3genE2ELNS1_11target_archE906ELNS1_3gpuE6ELNS1_3repE0EEENS1_30default_config_static_selectorELNS0_4arch9wavefront6targetE1EEEvT1_,@function
_ZN7rocprim17ROCPRIM_400000_NS6detail17trampoline_kernelINS0_14default_configENS1_20scan_config_selectorIsEEZZNS1_9scan_implILNS1_25lookback_scan_determinismE0ELb1ELb1ES3_N6thrust23THRUST_200600_302600_NS6detail15normal_iteratorINS9_10device_ptrIsEEEENS9_16discard_iteratorINS9_11use_defaultEEEs11max_functorIsEsEEDaPvRmT3_T4_T5_mT6_P12ihipStream_tbENKUlT_T0_E_clISt17integral_constantIbLb0EESW_IbLb1EEEEDaSS_ST_EUlSS_E0_NS1_11comp_targetILNS1_3genE2ELNS1_11target_archE906ELNS1_3gpuE6ELNS1_3repE0EEENS1_30default_config_static_selectorELNS0_4arch9wavefront6targetE1EEEvT1_: ; @_ZN7rocprim17ROCPRIM_400000_NS6detail17trampoline_kernelINS0_14default_configENS1_20scan_config_selectorIsEEZZNS1_9scan_implILNS1_25lookback_scan_determinismE0ELb1ELb1ES3_N6thrust23THRUST_200600_302600_NS6detail15normal_iteratorINS9_10device_ptrIsEEEENS9_16discard_iteratorINS9_11use_defaultEEEs11max_functorIsEsEEDaPvRmT3_T4_T5_mT6_P12ihipStream_tbENKUlT_T0_E_clISt17integral_constantIbLb0EESW_IbLb1EEEEDaSS_ST_EUlSS_E0_NS1_11comp_targetILNS1_3genE2ELNS1_11target_archE906ELNS1_3gpuE6ELNS1_3repE0EEENS1_30default_config_static_selectorELNS0_4arch9wavefront6targetE1EEEvT1_
; %bb.0:
	.section	.rodata,"a",@progbits
	.p2align	6, 0x0
	.amdhsa_kernel _ZN7rocprim17ROCPRIM_400000_NS6detail17trampoline_kernelINS0_14default_configENS1_20scan_config_selectorIsEEZZNS1_9scan_implILNS1_25lookback_scan_determinismE0ELb1ELb1ES3_N6thrust23THRUST_200600_302600_NS6detail15normal_iteratorINS9_10device_ptrIsEEEENS9_16discard_iteratorINS9_11use_defaultEEEs11max_functorIsEsEEDaPvRmT3_T4_T5_mT6_P12ihipStream_tbENKUlT_T0_E_clISt17integral_constantIbLb0EESW_IbLb1EEEEDaSS_ST_EUlSS_E0_NS1_11comp_targetILNS1_3genE2ELNS1_11target_archE906ELNS1_3gpuE6ELNS1_3repE0EEENS1_30default_config_static_selectorELNS0_4arch9wavefront6targetE1EEEvT1_
		.amdhsa_group_segment_fixed_size 0
		.amdhsa_private_segment_fixed_size 0
		.amdhsa_kernarg_size 40
		.amdhsa_user_sgpr_count 6
		.amdhsa_user_sgpr_private_segment_buffer 1
		.amdhsa_user_sgpr_dispatch_ptr 0
		.amdhsa_user_sgpr_queue_ptr 0
		.amdhsa_user_sgpr_kernarg_segment_ptr 1
		.amdhsa_user_sgpr_dispatch_id 0
		.amdhsa_user_sgpr_flat_scratch_init 0
		.amdhsa_user_sgpr_kernarg_preload_length 0
		.amdhsa_user_sgpr_kernarg_preload_offset 0
		.amdhsa_user_sgpr_private_segment_size 0
		.amdhsa_uses_dynamic_stack 0
		.amdhsa_system_sgpr_private_segment_wavefront_offset 0
		.amdhsa_system_sgpr_workgroup_id_x 1
		.amdhsa_system_sgpr_workgroup_id_y 0
		.amdhsa_system_sgpr_workgroup_id_z 0
		.amdhsa_system_sgpr_workgroup_info 0
		.amdhsa_system_vgpr_workitem_id 0
		.amdhsa_next_free_vgpr 1
		.amdhsa_next_free_sgpr 0
		.amdhsa_accum_offset 4
		.amdhsa_reserve_vcc 0
		.amdhsa_reserve_flat_scratch 0
		.amdhsa_float_round_mode_32 0
		.amdhsa_float_round_mode_16_64 0
		.amdhsa_float_denorm_mode_32 3
		.amdhsa_float_denorm_mode_16_64 3
		.amdhsa_dx10_clamp 1
		.amdhsa_ieee_mode 1
		.amdhsa_fp16_overflow 0
		.amdhsa_tg_split 0
		.amdhsa_exception_fp_ieee_invalid_op 0
		.amdhsa_exception_fp_denorm_src 0
		.amdhsa_exception_fp_ieee_div_zero 0
		.amdhsa_exception_fp_ieee_overflow 0
		.amdhsa_exception_fp_ieee_underflow 0
		.amdhsa_exception_fp_ieee_inexact 0
		.amdhsa_exception_int_div_zero 0
	.end_amdhsa_kernel
	.section	.text._ZN7rocprim17ROCPRIM_400000_NS6detail17trampoline_kernelINS0_14default_configENS1_20scan_config_selectorIsEEZZNS1_9scan_implILNS1_25lookback_scan_determinismE0ELb1ELb1ES3_N6thrust23THRUST_200600_302600_NS6detail15normal_iteratorINS9_10device_ptrIsEEEENS9_16discard_iteratorINS9_11use_defaultEEEs11max_functorIsEsEEDaPvRmT3_T4_T5_mT6_P12ihipStream_tbENKUlT_T0_E_clISt17integral_constantIbLb0EESW_IbLb1EEEEDaSS_ST_EUlSS_E0_NS1_11comp_targetILNS1_3genE2ELNS1_11target_archE906ELNS1_3gpuE6ELNS1_3repE0EEENS1_30default_config_static_selectorELNS0_4arch9wavefront6targetE1EEEvT1_,"axG",@progbits,_ZN7rocprim17ROCPRIM_400000_NS6detail17trampoline_kernelINS0_14default_configENS1_20scan_config_selectorIsEEZZNS1_9scan_implILNS1_25lookback_scan_determinismE0ELb1ELb1ES3_N6thrust23THRUST_200600_302600_NS6detail15normal_iteratorINS9_10device_ptrIsEEEENS9_16discard_iteratorINS9_11use_defaultEEEs11max_functorIsEsEEDaPvRmT3_T4_T5_mT6_P12ihipStream_tbENKUlT_T0_E_clISt17integral_constantIbLb0EESW_IbLb1EEEEDaSS_ST_EUlSS_E0_NS1_11comp_targetILNS1_3genE2ELNS1_11target_archE906ELNS1_3gpuE6ELNS1_3repE0EEENS1_30default_config_static_selectorELNS0_4arch9wavefront6targetE1EEEvT1_,comdat
.Lfunc_end4137:
	.size	_ZN7rocprim17ROCPRIM_400000_NS6detail17trampoline_kernelINS0_14default_configENS1_20scan_config_selectorIsEEZZNS1_9scan_implILNS1_25lookback_scan_determinismE0ELb1ELb1ES3_N6thrust23THRUST_200600_302600_NS6detail15normal_iteratorINS9_10device_ptrIsEEEENS9_16discard_iteratorINS9_11use_defaultEEEs11max_functorIsEsEEDaPvRmT3_T4_T5_mT6_P12ihipStream_tbENKUlT_T0_E_clISt17integral_constantIbLb0EESW_IbLb1EEEEDaSS_ST_EUlSS_E0_NS1_11comp_targetILNS1_3genE2ELNS1_11target_archE906ELNS1_3gpuE6ELNS1_3repE0EEENS1_30default_config_static_selectorELNS0_4arch9wavefront6targetE1EEEvT1_, .Lfunc_end4137-_ZN7rocprim17ROCPRIM_400000_NS6detail17trampoline_kernelINS0_14default_configENS1_20scan_config_selectorIsEEZZNS1_9scan_implILNS1_25lookback_scan_determinismE0ELb1ELb1ES3_N6thrust23THRUST_200600_302600_NS6detail15normal_iteratorINS9_10device_ptrIsEEEENS9_16discard_iteratorINS9_11use_defaultEEEs11max_functorIsEsEEDaPvRmT3_T4_T5_mT6_P12ihipStream_tbENKUlT_T0_E_clISt17integral_constantIbLb0EESW_IbLb1EEEEDaSS_ST_EUlSS_E0_NS1_11comp_targetILNS1_3genE2ELNS1_11target_archE906ELNS1_3gpuE6ELNS1_3repE0EEENS1_30default_config_static_selectorELNS0_4arch9wavefront6targetE1EEEvT1_
                                        ; -- End function
	.section	.AMDGPU.csdata,"",@progbits
; Kernel info:
; codeLenInByte = 0
; NumSgprs: 4
; NumVgprs: 0
; NumAgprs: 0
; TotalNumVgprs: 0
; ScratchSize: 0
; MemoryBound: 0
; FloatMode: 240
; IeeeMode: 1
; LDSByteSize: 0 bytes/workgroup (compile time only)
; SGPRBlocks: 0
; VGPRBlocks: 0
; NumSGPRsForWavesPerEU: 4
; NumVGPRsForWavesPerEU: 1
; AccumOffset: 4
; Occupancy: 8
; WaveLimiterHint : 0
; COMPUTE_PGM_RSRC2:SCRATCH_EN: 0
; COMPUTE_PGM_RSRC2:USER_SGPR: 6
; COMPUTE_PGM_RSRC2:TRAP_HANDLER: 0
; COMPUTE_PGM_RSRC2:TGID_X_EN: 1
; COMPUTE_PGM_RSRC2:TGID_Y_EN: 0
; COMPUTE_PGM_RSRC2:TGID_Z_EN: 0
; COMPUTE_PGM_RSRC2:TIDIG_COMP_CNT: 0
; COMPUTE_PGM_RSRC3_GFX90A:ACCUM_OFFSET: 0
; COMPUTE_PGM_RSRC3_GFX90A:TG_SPLIT: 0
	.section	.text._ZN7rocprim17ROCPRIM_400000_NS6detail17trampoline_kernelINS0_14default_configENS1_20scan_config_selectorIsEEZZNS1_9scan_implILNS1_25lookback_scan_determinismE0ELb1ELb1ES3_N6thrust23THRUST_200600_302600_NS6detail15normal_iteratorINS9_10device_ptrIsEEEENS9_16discard_iteratorINS9_11use_defaultEEEs11max_functorIsEsEEDaPvRmT3_T4_T5_mT6_P12ihipStream_tbENKUlT_T0_E_clISt17integral_constantIbLb0EESW_IbLb1EEEEDaSS_ST_EUlSS_E0_NS1_11comp_targetILNS1_3genE10ELNS1_11target_archE1201ELNS1_3gpuE5ELNS1_3repE0EEENS1_30default_config_static_selectorELNS0_4arch9wavefront6targetE1EEEvT1_,"axG",@progbits,_ZN7rocprim17ROCPRIM_400000_NS6detail17trampoline_kernelINS0_14default_configENS1_20scan_config_selectorIsEEZZNS1_9scan_implILNS1_25lookback_scan_determinismE0ELb1ELb1ES3_N6thrust23THRUST_200600_302600_NS6detail15normal_iteratorINS9_10device_ptrIsEEEENS9_16discard_iteratorINS9_11use_defaultEEEs11max_functorIsEsEEDaPvRmT3_T4_T5_mT6_P12ihipStream_tbENKUlT_T0_E_clISt17integral_constantIbLb0EESW_IbLb1EEEEDaSS_ST_EUlSS_E0_NS1_11comp_targetILNS1_3genE10ELNS1_11target_archE1201ELNS1_3gpuE5ELNS1_3repE0EEENS1_30default_config_static_selectorELNS0_4arch9wavefront6targetE1EEEvT1_,comdat
	.protected	_ZN7rocprim17ROCPRIM_400000_NS6detail17trampoline_kernelINS0_14default_configENS1_20scan_config_selectorIsEEZZNS1_9scan_implILNS1_25lookback_scan_determinismE0ELb1ELb1ES3_N6thrust23THRUST_200600_302600_NS6detail15normal_iteratorINS9_10device_ptrIsEEEENS9_16discard_iteratorINS9_11use_defaultEEEs11max_functorIsEsEEDaPvRmT3_T4_T5_mT6_P12ihipStream_tbENKUlT_T0_E_clISt17integral_constantIbLb0EESW_IbLb1EEEEDaSS_ST_EUlSS_E0_NS1_11comp_targetILNS1_3genE10ELNS1_11target_archE1201ELNS1_3gpuE5ELNS1_3repE0EEENS1_30default_config_static_selectorELNS0_4arch9wavefront6targetE1EEEvT1_ ; -- Begin function _ZN7rocprim17ROCPRIM_400000_NS6detail17trampoline_kernelINS0_14default_configENS1_20scan_config_selectorIsEEZZNS1_9scan_implILNS1_25lookback_scan_determinismE0ELb1ELb1ES3_N6thrust23THRUST_200600_302600_NS6detail15normal_iteratorINS9_10device_ptrIsEEEENS9_16discard_iteratorINS9_11use_defaultEEEs11max_functorIsEsEEDaPvRmT3_T4_T5_mT6_P12ihipStream_tbENKUlT_T0_E_clISt17integral_constantIbLb0EESW_IbLb1EEEEDaSS_ST_EUlSS_E0_NS1_11comp_targetILNS1_3genE10ELNS1_11target_archE1201ELNS1_3gpuE5ELNS1_3repE0EEENS1_30default_config_static_selectorELNS0_4arch9wavefront6targetE1EEEvT1_
	.globl	_ZN7rocprim17ROCPRIM_400000_NS6detail17trampoline_kernelINS0_14default_configENS1_20scan_config_selectorIsEEZZNS1_9scan_implILNS1_25lookback_scan_determinismE0ELb1ELb1ES3_N6thrust23THRUST_200600_302600_NS6detail15normal_iteratorINS9_10device_ptrIsEEEENS9_16discard_iteratorINS9_11use_defaultEEEs11max_functorIsEsEEDaPvRmT3_T4_T5_mT6_P12ihipStream_tbENKUlT_T0_E_clISt17integral_constantIbLb0EESW_IbLb1EEEEDaSS_ST_EUlSS_E0_NS1_11comp_targetILNS1_3genE10ELNS1_11target_archE1201ELNS1_3gpuE5ELNS1_3repE0EEENS1_30default_config_static_selectorELNS0_4arch9wavefront6targetE1EEEvT1_
	.p2align	8
	.type	_ZN7rocprim17ROCPRIM_400000_NS6detail17trampoline_kernelINS0_14default_configENS1_20scan_config_selectorIsEEZZNS1_9scan_implILNS1_25lookback_scan_determinismE0ELb1ELb1ES3_N6thrust23THRUST_200600_302600_NS6detail15normal_iteratorINS9_10device_ptrIsEEEENS9_16discard_iteratorINS9_11use_defaultEEEs11max_functorIsEsEEDaPvRmT3_T4_T5_mT6_P12ihipStream_tbENKUlT_T0_E_clISt17integral_constantIbLb0EESW_IbLb1EEEEDaSS_ST_EUlSS_E0_NS1_11comp_targetILNS1_3genE10ELNS1_11target_archE1201ELNS1_3gpuE5ELNS1_3repE0EEENS1_30default_config_static_selectorELNS0_4arch9wavefront6targetE1EEEvT1_,@function
_ZN7rocprim17ROCPRIM_400000_NS6detail17trampoline_kernelINS0_14default_configENS1_20scan_config_selectorIsEEZZNS1_9scan_implILNS1_25lookback_scan_determinismE0ELb1ELb1ES3_N6thrust23THRUST_200600_302600_NS6detail15normal_iteratorINS9_10device_ptrIsEEEENS9_16discard_iteratorINS9_11use_defaultEEEs11max_functorIsEsEEDaPvRmT3_T4_T5_mT6_P12ihipStream_tbENKUlT_T0_E_clISt17integral_constantIbLb0EESW_IbLb1EEEEDaSS_ST_EUlSS_E0_NS1_11comp_targetILNS1_3genE10ELNS1_11target_archE1201ELNS1_3gpuE5ELNS1_3repE0EEENS1_30default_config_static_selectorELNS0_4arch9wavefront6targetE1EEEvT1_: ; @_ZN7rocprim17ROCPRIM_400000_NS6detail17trampoline_kernelINS0_14default_configENS1_20scan_config_selectorIsEEZZNS1_9scan_implILNS1_25lookback_scan_determinismE0ELb1ELb1ES3_N6thrust23THRUST_200600_302600_NS6detail15normal_iteratorINS9_10device_ptrIsEEEENS9_16discard_iteratorINS9_11use_defaultEEEs11max_functorIsEsEEDaPvRmT3_T4_T5_mT6_P12ihipStream_tbENKUlT_T0_E_clISt17integral_constantIbLb0EESW_IbLb1EEEEDaSS_ST_EUlSS_E0_NS1_11comp_targetILNS1_3genE10ELNS1_11target_archE1201ELNS1_3gpuE5ELNS1_3repE0EEENS1_30default_config_static_selectorELNS0_4arch9wavefront6targetE1EEEvT1_
; %bb.0:
	.section	.rodata,"a",@progbits
	.p2align	6, 0x0
	.amdhsa_kernel _ZN7rocprim17ROCPRIM_400000_NS6detail17trampoline_kernelINS0_14default_configENS1_20scan_config_selectorIsEEZZNS1_9scan_implILNS1_25lookback_scan_determinismE0ELb1ELb1ES3_N6thrust23THRUST_200600_302600_NS6detail15normal_iteratorINS9_10device_ptrIsEEEENS9_16discard_iteratorINS9_11use_defaultEEEs11max_functorIsEsEEDaPvRmT3_T4_T5_mT6_P12ihipStream_tbENKUlT_T0_E_clISt17integral_constantIbLb0EESW_IbLb1EEEEDaSS_ST_EUlSS_E0_NS1_11comp_targetILNS1_3genE10ELNS1_11target_archE1201ELNS1_3gpuE5ELNS1_3repE0EEENS1_30default_config_static_selectorELNS0_4arch9wavefront6targetE1EEEvT1_
		.amdhsa_group_segment_fixed_size 0
		.amdhsa_private_segment_fixed_size 0
		.amdhsa_kernarg_size 40
		.amdhsa_user_sgpr_count 6
		.amdhsa_user_sgpr_private_segment_buffer 1
		.amdhsa_user_sgpr_dispatch_ptr 0
		.amdhsa_user_sgpr_queue_ptr 0
		.amdhsa_user_sgpr_kernarg_segment_ptr 1
		.amdhsa_user_sgpr_dispatch_id 0
		.amdhsa_user_sgpr_flat_scratch_init 0
		.amdhsa_user_sgpr_kernarg_preload_length 0
		.amdhsa_user_sgpr_kernarg_preload_offset 0
		.amdhsa_user_sgpr_private_segment_size 0
		.amdhsa_uses_dynamic_stack 0
		.amdhsa_system_sgpr_private_segment_wavefront_offset 0
		.amdhsa_system_sgpr_workgroup_id_x 1
		.amdhsa_system_sgpr_workgroup_id_y 0
		.amdhsa_system_sgpr_workgroup_id_z 0
		.amdhsa_system_sgpr_workgroup_info 0
		.amdhsa_system_vgpr_workitem_id 0
		.amdhsa_next_free_vgpr 1
		.amdhsa_next_free_sgpr 0
		.amdhsa_accum_offset 4
		.amdhsa_reserve_vcc 0
		.amdhsa_reserve_flat_scratch 0
		.amdhsa_float_round_mode_32 0
		.amdhsa_float_round_mode_16_64 0
		.amdhsa_float_denorm_mode_32 3
		.amdhsa_float_denorm_mode_16_64 3
		.amdhsa_dx10_clamp 1
		.amdhsa_ieee_mode 1
		.amdhsa_fp16_overflow 0
		.amdhsa_tg_split 0
		.amdhsa_exception_fp_ieee_invalid_op 0
		.amdhsa_exception_fp_denorm_src 0
		.amdhsa_exception_fp_ieee_div_zero 0
		.amdhsa_exception_fp_ieee_overflow 0
		.amdhsa_exception_fp_ieee_underflow 0
		.amdhsa_exception_fp_ieee_inexact 0
		.amdhsa_exception_int_div_zero 0
	.end_amdhsa_kernel
	.section	.text._ZN7rocprim17ROCPRIM_400000_NS6detail17trampoline_kernelINS0_14default_configENS1_20scan_config_selectorIsEEZZNS1_9scan_implILNS1_25lookback_scan_determinismE0ELb1ELb1ES3_N6thrust23THRUST_200600_302600_NS6detail15normal_iteratorINS9_10device_ptrIsEEEENS9_16discard_iteratorINS9_11use_defaultEEEs11max_functorIsEsEEDaPvRmT3_T4_T5_mT6_P12ihipStream_tbENKUlT_T0_E_clISt17integral_constantIbLb0EESW_IbLb1EEEEDaSS_ST_EUlSS_E0_NS1_11comp_targetILNS1_3genE10ELNS1_11target_archE1201ELNS1_3gpuE5ELNS1_3repE0EEENS1_30default_config_static_selectorELNS0_4arch9wavefront6targetE1EEEvT1_,"axG",@progbits,_ZN7rocprim17ROCPRIM_400000_NS6detail17trampoline_kernelINS0_14default_configENS1_20scan_config_selectorIsEEZZNS1_9scan_implILNS1_25lookback_scan_determinismE0ELb1ELb1ES3_N6thrust23THRUST_200600_302600_NS6detail15normal_iteratorINS9_10device_ptrIsEEEENS9_16discard_iteratorINS9_11use_defaultEEEs11max_functorIsEsEEDaPvRmT3_T4_T5_mT6_P12ihipStream_tbENKUlT_T0_E_clISt17integral_constantIbLb0EESW_IbLb1EEEEDaSS_ST_EUlSS_E0_NS1_11comp_targetILNS1_3genE10ELNS1_11target_archE1201ELNS1_3gpuE5ELNS1_3repE0EEENS1_30default_config_static_selectorELNS0_4arch9wavefront6targetE1EEEvT1_,comdat
.Lfunc_end4138:
	.size	_ZN7rocprim17ROCPRIM_400000_NS6detail17trampoline_kernelINS0_14default_configENS1_20scan_config_selectorIsEEZZNS1_9scan_implILNS1_25lookback_scan_determinismE0ELb1ELb1ES3_N6thrust23THRUST_200600_302600_NS6detail15normal_iteratorINS9_10device_ptrIsEEEENS9_16discard_iteratorINS9_11use_defaultEEEs11max_functorIsEsEEDaPvRmT3_T4_T5_mT6_P12ihipStream_tbENKUlT_T0_E_clISt17integral_constantIbLb0EESW_IbLb1EEEEDaSS_ST_EUlSS_E0_NS1_11comp_targetILNS1_3genE10ELNS1_11target_archE1201ELNS1_3gpuE5ELNS1_3repE0EEENS1_30default_config_static_selectorELNS0_4arch9wavefront6targetE1EEEvT1_, .Lfunc_end4138-_ZN7rocprim17ROCPRIM_400000_NS6detail17trampoline_kernelINS0_14default_configENS1_20scan_config_selectorIsEEZZNS1_9scan_implILNS1_25lookback_scan_determinismE0ELb1ELb1ES3_N6thrust23THRUST_200600_302600_NS6detail15normal_iteratorINS9_10device_ptrIsEEEENS9_16discard_iteratorINS9_11use_defaultEEEs11max_functorIsEsEEDaPvRmT3_T4_T5_mT6_P12ihipStream_tbENKUlT_T0_E_clISt17integral_constantIbLb0EESW_IbLb1EEEEDaSS_ST_EUlSS_E0_NS1_11comp_targetILNS1_3genE10ELNS1_11target_archE1201ELNS1_3gpuE5ELNS1_3repE0EEENS1_30default_config_static_selectorELNS0_4arch9wavefront6targetE1EEEvT1_
                                        ; -- End function
	.section	.AMDGPU.csdata,"",@progbits
; Kernel info:
; codeLenInByte = 0
; NumSgprs: 4
; NumVgprs: 0
; NumAgprs: 0
; TotalNumVgprs: 0
; ScratchSize: 0
; MemoryBound: 0
; FloatMode: 240
; IeeeMode: 1
; LDSByteSize: 0 bytes/workgroup (compile time only)
; SGPRBlocks: 0
; VGPRBlocks: 0
; NumSGPRsForWavesPerEU: 4
; NumVGPRsForWavesPerEU: 1
; AccumOffset: 4
; Occupancy: 8
; WaveLimiterHint : 0
; COMPUTE_PGM_RSRC2:SCRATCH_EN: 0
; COMPUTE_PGM_RSRC2:USER_SGPR: 6
; COMPUTE_PGM_RSRC2:TRAP_HANDLER: 0
; COMPUTE_PGM_RSRC2:TGID_X_EN: 1
; COMPUTE_PGM_RSRC2:TGID_Y_EN: 0
; COMPUTE_PGM_RSRC2:TGID_Z_EN: 0
; COMPUTE_PGM_RSRC2:TIDIG_COMP_CNT: 0
; COMPUTE_PGM_RSRC3_GFX90A:ACCUM_OFFSET: 0
; COMPUTE_PGM_RSRC3_GFX90A:TG_SPLIT: 0
	.section	.text._ZN7rocprim17ROCPRIM_400000_NS6detail17trampoline_kernelINS0_14default_configENS1_20scan_config_selectorIsEEZZNS1_9scan_implILNS1_25lookback_scan_determinismE0ELb1ELb1ES3_N6thrust23THRUST_200600_302600_NS6detail15normal_iteratorINS9_10device_ptrIsEEEENS9_16discard_iteratorINS9_11use_defaultEEEs11max_functorIsEsEEDaPvRmT3_T4_T5_mT6_P12ihipStream_tbENKUlT_T0_E_clISt17integral_constantIbLb0EESW_IbLb1EEEEDaSS_ST_EUlSS_E0_NS1_11comp_targetILNS1_3genE10ELNS1_11target_archE1200ELNS1_3gpuE4ELNS1_3repE0EEENS1_30default_config_static_selectorELNS0_4arch9wavefront6targetE1EEEvT1_,"axG",@progbits,_ZN7rocprim17ROCPRIM_400000_NS6detail17trampoline_kernelINS0_14default_configENS1_20scan_config_selectorIsEEZZNS1_9scan_implILNS1_25lookback_scan_determinismE0ELb1ELb1ES3_N6thrust23THRUST_200600_302600_NS6detail15normal_iteratorINS9_10device_ptrIsEEEENS9_16discard_iteratorINS9_11use_defaultEEEs11max_functorIsEsEEDaPvRmT3_T4_T5_mT6_P12ihipStream_tbENKUlT_T0_E_clISt17integral_constantIbLb0EESW_IbLb1EEEEDaSS_ST_EUlSS_E0_NS1_11comp_targetILNS1_3genE10ELNS1_11target_archE1200ELNS1_3gpuE4ELNS1_3repE0EEENS1_30default_config_static_selectorELNS0_4arch9wavefront6targetE1EEEvT1_,comdat
	.protected	_ZN7rocprim17ROCPRIM_400000_NS6detail17trampoline_kernelINS0_14default_configENS1_20scan_config_selectorIsEEZZNS1_9scan_implILNS1_25lookback_scan_determinismE0ELb1ELb1ES3_N6thrust23THRUST_200600_302600_NS6detail15normal_iteratorINS9_10device_ptrIsEEEENS9_16discard_iteratorINS9_11use_defaultEEEs11max_functorIsEsEEDaPvRmT3_T4_T5_mT6_P12ihipStream_tbENKUlT_T0_E_clISt17integral_constantIbLb0EESW_IbLb1EEEEDaSS_ST_EUlSS_E0_NS1_11comp_targetILNS1_3genE10ELNS1_11target_archE1200ELNS1_3gpuE4ELNS1_3repE0EEENS1_30default_config_static_selectorELNS0_4arch9wavefront6targetE1EEEvT1_ ; -- Begin function _ZN7rocprim17ROCPRIM_400000_NS6detail17trampoline_kernelINS0_14default_configENS1_20scan_config_selectorIsEEZZNS1_9scan_implILNS1_25lookback_scan_determinismE0ELb1ELb1ES3_N6thrust23THRUST_200600_302600_NS6detail15normal_iteratorINS9_10device_ptrIsEEEENS9_16discard_iteratorINS9_11use_defaultEEEs11max_functorIsEsEEDaPvRmT3_T4_T5_mT6_P12ihipStream_tbENKUlT_T0_E_clISt17integral_constantIbLb0EESW_IbLb1EEEEDaSS_ST_EUlSS_E0_NS1_11comp_targetILNS1_3genE10ELNS1_11target_archE1200ELNS1_3gpuE4ELNS1_3repE0EEENS1_30default_config_static_selectorELNS0_4arch9wavefront6targetE1EEEvT1_
	.globl	_ZN7rocprim17ROCPRIM_400000_NS6detail17trampoline_kernelINS0_14default_configENS1_20scan_config_selectorIsEEZZNS1_9scan_implILNS1_25lookback_scan_determinismE0ELb1ELb1ES3_N6thrust23THRUST_200600_302600_NS6detail15normal_iteratorINS9_10device_ptrIsEEEENS9_16discard_iteratorINS9_11use_defaultEEEs11max_functorIsEsEEDaPvRmT3_T4_T5_mT6_P12ihipStream_tbENKUlT_T0_E_clISt17integral_constantIbLb0EESW_IbLb1EEEEDaSS_ST_EUlSS_E0_NS1_11comp_targetILNS1_3genE10ELNS1_11target_archE1200ELNS1_3gpuE4ELNS1_3repE0EEENS1_30default_config_static_selectorELNS0_4arch9wavefront6targetE1EEEvT1_
	.p2align	8
	.type	_ZN7rocprim17ROCPRIM_400000_NS6detail17trampoline_kernelINS0_14default_configENS1_20scan_config_selectorIsEEZZNS1_9scan_implILNS1_25lookback_scan_determinismE0ELb1ELb1ES3_N6thrust23THRUST_200600_302600_NS6detail15normal_iteratorINS9_10device_ptrIsEEEENS9_16discard_iteratorINS9_11use_defaultEEEs11max_functorIsEsEEDaPvRmT3_T4_T5_mT6_P12ihipStream_tbENKUlT_T0_E_clISt17integral_constantIbLb0EESW_IbLb1EEEEDaSS_ST_EUlSS_E0_NS1_11comp_targetILNS1_3genE10ELNS1_11target_archE1200ELNS1_3gpuE4ELNS1_3repE0EEENS1_30default_config_static_selectorELNS0_4arch9wavefront6targetE1EEEvT1_,@function
_ZN7rocprim17ROCPRIM_400000_NS6detail17trampoline_kernelINS0_14default_configENS1_20scan_config_selectorIsEEZZNS1_9scan_implILNS1_25lookback_scan_determinismE0ELb1ELb1ES3_N6thrust23THRUST_200600_302600_NS6detail15normal_iteratorINS9_10device_ptrIsEEEENS9_16discard_iteratorINS9_11use_defaultEEEs11max_functorIsEsEEDaPvRmT3_T4_T5_mT6_P12ihipStream_tbENKUlT_T0_E_clISt17integral_constantIbLb0EESW_IbLb1EEEEDaSS_ST_EUlSS_E0_NS1_11comp_targetILNS1_3genE10ELNS1_11target_archE1200ELNS1_3gpuE4ELNS1_3repE0EEENS1_30default_config_static_selectorELNS0_4arch9wavefront6targetE1EEEvT1_: ; @_ZN7rocprim17ROCPRIM_400000_NS6detail17trampoline_kernelINS0_14default_configENS1_20scan_config_selectorIsEEZZNS1_9scan_implILNS1_25lookback_scan_determinismE0ELb1ELb1ES3_N6thrust23THRUST_200600_302600_NS6detail15normal_iteratorINS9_10device_ptrIsEEEENS9_16discard_iteratorINS9_11use_defaultEEEs11max_functorIsEsEEDaPvRmT3_T4_T5_mT6_P12ihipStream_tbENKUlT_T0_E_clISt17integral_constantIbLb0EESW_IbLb1EEEEDaSS_ST_EUlSS_E0_NS1_11comp_targetILNS1_3genE10ELNS1_11target_archE1200ELNS1_3gpuE4ELNS1_3repE0EEENS1_30default_config_static_selectorELNS0_4arch9wavefront6targetE1EEEvT1_
; %bb.0:
	.section	.rodata,"a",@progbits
	.p2align	6, 0x0
	.amdhsa_kernel _ZN7rocprim17ROCPRIM_400000_NS6detail17trampoline_kernelINS0_14default_configENS1_20scan_config_selectorIsEEZZNS1_9scan_implILNS1_25lookback_scan_determinismE0ELb1ELb1ES3_N6thrust23THRUST_200600_302600_NS6detail15normal_iteratorINS9_10device_ptrIsEEEENS9_16discard_iteratorINS9_11use_defaultEEEs11max_functorIsEsEEDaPvRmT3_T4_T5_mT6_P12ihipStream_tbENKUlT_T0_E_clISt17integral_constantIbLb0EESW_IbLb1EEEEDaSS_ST_EUlSS_E0_NS1_11comp_targetILNS1_3genE10ELNS1_11target_archE1200ELNS1_3gpuE4ELNS1_3repE0EEENS1_30default_config_static_selectorELNS0_4arch9wavefront6targetE1EEEvT1_
		.amdhsa_group_segment_fixed_size 0
		.amdhsa_private_segment_fixed_size 0
		.amdhsa_kernarg_size 40
		.amdhsa_user_sgpr_count 6
		.amdhsa_user_sgpr_private_segment_buffer 1
		.amdhsa_user_sgpr_dispatch_ptr 0
		.amdhsa_user_sgpr_queue_ptr 0
		.amdhsa_user_sgpr_kernarg_segment_ptr 1
		.amdhsa_user_sgpr_dispatch_id 0
		.amdhsa_user_sgpr_flat_scratch_init 0
		.amdhsa_user_sgpr_kernarg_preload_length 0
		.amdhsa_user_sgpr_kernarg_preload_offset 0
		.amdhsa_user_sgpr_private_segment_size 0
		.amdhsa_uses_dynamic_stack 0
		.amdhsa_system_sgpr_private_segment_wavefront_offset 0
		.amdhsa_system_sgpr_workgroup_id_x 1
		.amdhsa_system_sgpr_workgroup_id_y 0
		.amdhsa_system_sgpr_workgroup_id_z 0
		.amdhsa_system_sgpr_workgroup_info 0
		.amdhsa_system_vgpr_workitem_id 0
		.amdhsa_next_free_vgpr 1
		.amdhsa_next_free_sgpr 0
		.amdhsa_accum_offset 4
		.amdhsa_reserve_vcc 0
		.amdhsa_reserve_flat_scratch 0
		.amdhsa_float_round_mode_32 0
		.amdhsa_float_round_mode_16_64 0
		.amdhsa_float_denorm_mode_32 3
		.amdhsa_float_denorm_mode_16_64 3
		.amdhsa_dx10_clamp 1
		.amdhsa_ieee_mode 1
		.amdhsa_fp16_overflow 0
		.amdhsa_tg_split 0
		.amdhsa_exception_fp_ieee_invalid_op 0
		.amdhsa_exception_fp_denorm_src 0
		.amdhsa_exception_fp_ieee_div_zero 0
		.amdhsa_exception_fp_ieee_overflow 0
		.amdhsa_exception_fp_ieee_underflow 0
		.amdhsa_exception_fp_ieee_inexact 0
		.amdhsa_exception_int_div_zero 0
	.end_amdhsa_kernel
	.section	.text._ZN7rocprim17ROCPRIM_400000_NS6detail17trampoline_kernelINS0_14default_configENS1_20scan_config_selectorIsEEZZNS1_9scan_implILNS1_25lookback_scan_determinismE0ELb1ELb1ES3_N6thrust23THRUST_200600_302600_NS6detail15normal_iteratorINS9_10device_ptrIsEEEENS9_16discard_iteratorINS9_11use_defaultEEEs11max_functorIsEsEEDaPvRmT3_T4_T5_mT6_P12ihipStream_tbENKUlT_T0_E_clISt17integral_constantIbLb0EESW_IbLb1EEEEDaSS_ST_EUlSS_E0_NS1_11comp_targetILNS1_3genE10ELNS1_11target_archE1200ELNS1_3gpuE4ELNS1_3repE0EEENS1_30default_config_static_selectorELNS0_4arch9wavefront6targetE1EEEvT1_,"axG",@progbits,_ZN7rocprim17ROCPRIM_400000_NS6detail17trampoline_kernelINS0_14default_configENS1_20scan_config_selectorIsEEZZNS1_9scan_implILNS1_25lookback_scan_determinismE0ELb1ELb1ES3_N6thrust23THRUST_200600_302600_NS6detail15normal_iteratorINS9_10device_ptrIsEEEENS9_16discard_iteratorINS9_11use_defaultEEEs11max_functorIsEsEEDaPvRmT3_T4_T5_mT6_P12ihipStream_tbENKUlT_T0_E_clISt17integral_constantIbLb0EESW_IbLb1EEEEDaSS_ST_EUlSS_E0_NS1_11comp_targetILNS1_3genE10ELNS1_11target_archE1200ELNS1_3gpuE4ELNS1_3repE0EEENS1_30default_config_static_selectorELNS0_4arch9wavefront6targetE1EEEvT1_,comdat
.Lfunc_end4139:
	.size	_ZN7rocprim17ROCPRIM_400000_NS6detail17trampoline_kernelINS0_14default_configENS1_20scan_config_selectorIsEEZZNS1_9scan_implILNS1_25lookback_scan_determinismE0ELb1ELb1ES3_N6thrust23THRUST_200600_302600_NS6detail15normal_iteratorINS9_10device_ptrIsEEEENS9_16discard_iteratorINS9_11use_defaultEEEs11max_functorIsEsEEDaPvRmT3_T4_T5_mT6_P12ihipStream_tbENKUlT_T0_E_clISt17integral_constantIbLb0EESW_IbLb1EEEEDaSS_ST_EUlSS_E0_NS1_11comp_targetILNS1_3genE10ELNS1_11target_archE1200ELNS1_3gpuE4ELNS1_3repE0EEENS1_30default_config_static_selectorELNS0_4arch9wavefront6targetE1EEEvT1_, .Lfunc_end4139-_ZN7rocprim17ROCPRIM_400000_NS6detail17trampoline_kernelINS0_14default_configENS1_20scan_config_selectorIsEEZZNS1_9scan_implILNS1_25lookback_scan_determinismE0ELb1ELb1ES3_N6thrust23THRUST_200600_302600_NS6detail15normal_iteratorINS9_10device_ptrIsEEEENS9_16discard_iteratorINS9_11use_defaultEEEs11max_functorIsEsEEDaPvRmT3_T4_T5_mT6_P12ihipStream_tbENKUlT_T0_E_clISt17integral_constantIbLb0EESW_IbLb1EEEEDaSS_ST_EUlSS_E0_NS1_11comp_targetILNS1_3genE10ELNS1_11target_archE1200ELNS1_3gpuE4ELNS1_3repE0EEENS1_30default_config_static_selectorELNS0_4arch9wavefront6targetE1EEEvT1_
                                        ; -- End function
	.section	.AMDGPU.csdata,"",@progbits
; Kernel info:
; codeLenInByte = 0
; NumSgprs: 4
; NumVgprs: 0
; NumAgprs: 0
; TotalNumVgprs: 0
; ScratchSize: 0
; MemoryBound: 0
; FloatMode: 240
; IeeeMode: 1
; LDSByteSize: 0 bytes/workgroup (compile time only)
; SGPRBlocks: 0
; VGPRBlocks: 0
; NumSGPRsForWavesPerEU: 4
; NumVGPRsForWavesPerEU: 1
; AccumOffset: 4
; Occupancy: 8
; WaveLimiterHint : 0
; COMPUTE_PGM_RSRC2:SCRATCH_EN: 0
; COMPUTE_PGM_RSRC2:USER_SGPR: 6
; COMPUTE_PGM_RSRC2:TRAP_HANDLER: 0
; COMPUTE_PGM_RSRC2:TGID_X_EN: 1
; COMPUTE_PGM_RSRC2:TGID_Y_EN: 0
; COMPUTE_PGM_RSRC2:TGID_Z_EN: 0
; COMPUTE_PGM_RSRC2:TIDIG_COMP_CNT: 0
; COMPUTE_PGM_RSRC3_GFX90A:ACCUM_OFFSET: 0
; COMPUTE_PGM_RSRC3_GFX90A:TG_SPLIT: 0
	.section	.text._ZN7rocprim17ROCPRIM_400000_NS6detail17trampoline_kernelINS0_14default_configENS1_20scan_config_selectorIsEEZZNS1_9scan_implILNS1_25lookback_scan_determinismE0ELb1ELb1ES3_N6thrust23THRUST_200600_302600_NS6detail15normal_iteratorINS9_10device_ptrIsEEEENS9_16discard_iteratorINS9_11use_defaultEEEs11max_functorIsEsEEDaPvRmT3_T4_T5_mT6_P12ihipStream_tbENKUlT_T0_E_clISt17integral_constantIbLb0EESW_IbLb1EEEEDaSS_ST_EUlSS_E0_NS1_11comp_targetILNS1_3genE9ELNS1_11target_archE1100ELNS1_3gpuE3ELNS1_3repE0EEENS1_30default_config_static_selectorELNS0_4arch9wavefront6targetE1EEEvT1_,"axG",@progbits,_ZN7rocprim17ROCPRIM_400000_NS6detail17trampoline_kernelINS0_14default_configENS1_20scan_config_selectorIsEEZZNS1_9scan_implILNS1_25lookback_scan_determinismE0ELb1ELb1ES3_N6thrust23THRUST_200600_302600_NS6detail15normal_iteratorINS9_10device_ptrIsEEEENS9_16discard_iteratorINS9_11use_defaultEEEs11max_functorIsEsEEDaPvRmT3_T4_T5_mT6_P12ihipStream_tbENKUlT_T0_E_clISt17integral_constantIbLb0EESW_IbLb1EEEEDaSS_ST_EUlSS_E0_NS1_11comp_targetILNS1_3genE9ELNS1_11target_archE1100ELNS1_3gpuE3ELNS1_3repE0EEENS1_30default_config_static_selectorELNS0_4arch9wavefront6targetE1EEEvT1_,comdat
	.protected	_ZN7rocprim17ROCPRIM_400000_NS6detail17trampoline_kernelINS0_14default_configENS1_20scan_config_selectorIsEEZZNS1_9scan_implILNS1_25lookback_scan_determinismE0ELb1ELb1ES3_N6thrust23THRUST_200600_302600_NS6detail15normal_iteratorINS9_10device_ptrIsEEEENS9_16discard_iteratorINS9_11use_defaultEEEs11max_functorIsEsEEDaPvRmT3_T4_T5_mT6_P12ihipStream_tbENKUlT_T0_E_clISt17integral_constantIbLb0EESW_IbLb1EEEEDaSS_ST_EUlSS_E0_NS1_11comp_targetILNS1_3genE9ELNS1_11target_archE1100ELNS1_3gpuE3ELNS1_3repE0EEENS1_30default_config_static_selectorELNS0_4arch9wavefront6targetE1EEEvT1_ ; -- Begin function _ZN7rocprim17ROCPRIM_400000_NS6detail17trampoline_kernelINS0_14default_configENS1_20scan_config_selectorIsEEZZNS1_9scan_implILNS1_25lookback_scan_determinismE0ELb1ELb1ES3_N6thrust23THRUST_200600_302600_NS6detail15normal_iteratorINS9_10device_ptrIsEEEENS9_16discard_iteratorINS9_11use_defaultEEEs11max_functorIsEsEEDaPvRmT3_T4_T5_mT6_P12ihipStream_tbENKUlT_T0_E_clISt17integral_constantIbLb0EESW_IbLb1EEEEDaSS_ST_EUlSS_E0_NS1_11comp_targetILNS1_3genE9ELNS1_11target_archE1100ELNS1_3gpuE3ELNS1_3repE0EEENS1_30default_config_static_selectorELNS0_4arch9wavefront6targetE1EEEvT1_
	.globl	_ZN7rocprim17ROCPRIM_400000_NS6detail17trampoline_kernelINS0_14default_configENS1_20scan_config_selectorIsEEZZNS1_9scan_implILNS1_25lookback_scan_determinismE0ELb1ELb1ES3_N6thrust23THRUST_200600_302600_NS6detail15normal_iteratorINS9_10device_ptrIsEEEENS9_16discard_iteratorINS9_11use_defaultEEEs11max_functorIsEsEEDaPvRmT3_T4_T5_mT6_P12ihipStream_tbENKUlT_T0_E_clISt17integral_constantIbLb0EESW_IbLb1EEEEDaSS_ST_EUlSS_E0_NS1_11comp_targetILNS1_3genE9ELNS1_11target_archE1100ELNS1_3gpuE3ELNS1_3repE0EEENS1_30default_config_static_selectorELNS0_4arch9wavefront6targetE1EEEvT1_
	.p2align	8
	.type	_ZN7rocprim17ROCPRIM_400000_NS6detail17trampoline_kernelINS0_14default_configENS1_20scan_config_selectorIsEEZZNS1_9scan_implILNS1_25lookback_scan_determinismE0ELb1ELb1ES3_N6thrust23THRUST_200600_302600_NS6detail15normal_iteratorINS9_10device_ptrIsEEEENS9_16discard_iteratorINS9_11use_defaultEEEs11max_functorIsEsEEDaPvRmT3_T4_T5_mT6_P12ihipStream_tbENKUlT_T0_E_clISt17integral_constantIbLb0EESW_IbLb1EEEEDaSS_ST_EUlSS_E0_NS1_11comp_targetILNS1_3genE9ELNS1_11target_archE1100ELNS1_3gpuE3ELNS1_3repE0EEENS1_30default_config_static_selectorELNS0_4arch9wavefront6targetE1EEEvT1_,@function
_ZN7rocprim17ROCPRIM_400000_NS6detail17trampoline_kernelINS0_14default_configENS1_20scan_config_selectorIsEEZZNS1_9scan_implILNS1_25lookback_scan_determinismE0ELb1ELb1ES3_N6thrust23THRUST_200600_302600_NS6detail15normal_iteratorINS9_10device_ptrIsEEEENS9_16discard_iteratorINS9_11use_defaultEEEs11max_functorIsEsEEDaPvRmT3_T4_T5_mT6_P12ihipStream_tbENKUlT_T0_E_clISt17integral_constantIbLb0EESW_IbLb1EEEEDaSS_ST_EUlSS_E0_NS1_11comp_targetILNS1_3genE9ELNS1_11target_archE1100ELNS1_3gpuE3ELNS1_3repE0EEENS1_30default_config_static_selectorELNS0_4arch9wavefront6targetE1EEEvT1_: ; @_ZN7rocprim17ROCPRIM_400000_NS6detail17trampoline_kernelINS0_14default_configENS1_20scan_config_selectorIsEEZZNS1_9scan_implILNS1_25lookback_scan_determinismE0ELb1ELb1ES3_N6thrust23THRUST_200600_302600_NS6detail15normal_iteratorINS9_10device_ptrIsEEEENS9_16discard_iteratorINS9_11use_defaultEEEs11max_functorIsEsEEDaPvRmT3_T4_T5_mT6_P12ihipStream_tbENKUlT_T0_E_clISt17integral_constantIbLb0EESW_IbLb1EEEEDaSS_ST_EUlSS_E0_NS1_11comp_targetILNS1_3genE9ELNS1_11target_archE1100ELNS1_3gpuE3ELNS1_3repE0EEENS1_30default_config_static_selectorELNS0_4arch9wavefront6targetE1EEEvT1_
; %bb.0:
	.section	.rodata,"a",@progbits
	.p2align	6, 0x0
	.amdhsa_kernel _ZN7rocprim17ROCPRIM_400000_NS6detail17trampoline_kernelINS0_14default_configENS1_20scan_config_selectorIsEEZZNS1_9scan_implILNS1_25lookback_scan_determinismE0ELb1ELb1ES3_N6thrust23THRUST_200600_302600_NS6detail15normal_iteratorINS9_10device_ptrIsEEEENS9_16discard_iteratorINS9_11use_defaultEEEs11max_functorIsEsEEDaPvRmT3_T4_T5_mT6_P12ihipStream_tbENKUlT_T0_E_clISt17integral_constantIbLb0EESW_IbLb1EEEEDaSS_ST_EUlSS_E0_NS1_11comp_targetILNS1_3genE9ELNS1_11target_archE1100ELNS1_3gpuE3ELNS1_3repE0EEENS1_30default_config_static_selectorELNS0_4arch9wavefront6targetE1EEEvT1_
		.amdhsa_group_segment_fixed_size 0
		.amdhsa_private_segment_fixed_size 0
		.amdhsa_kernarg_size 40
		.amdhsa_user_sgpr_count 6
		.amdhsa_user_sgpr_private_segment_buffer 1
		.amdhsa_user_sgpr_dispatch_ptr 0
		.amdhsa_user_sgpr_queue_ptr 0
		.amdhsa_user_sgpr_kernarg_segment_ptr 1
		.amdhsa_user_sgpr_dispatch_id 0
		.amdhsa_user_sgpr_flat_scratch_init 0
		.amdhsa_user_sgpr_kernarg_preload_length 0
		.amdhsa_user_sgpr_kernarg_preload_offset 0
		.amdhsa_user_sgpr_private_segment_size 0
		.amdhsa_uses_dynamic_stack 0
		.amdhsa_system_sgpr_private_segment_wavefront_offset 0
		.amdhsa_system_sgpr_workgroup_id_x 1
		.amdhsa_system_sgpr_workgroup_id_y 0
		.amdhsa_system_sgpr_workgroup_id_z 0
		.amdhsa_system_sgpr_workgroup_info 0
		.amdhsa_system_vgpr_workitem_id 0
		.amdhsa_next_free_vgpr 1
		.amdhsa_next_free_sgpr 0
		.amdhsa_accum_offset 4
		.amdhsa_reserve_vcc 0
		.amdhsa_reserve_flat_scratch 0
		.amdhsa_float_round_mode_32 0
		.amdhsa_float_round_mode_16_64 0
		.amdhsa_float_denorm_mode_32 3
		.amdhsa_float_denorm_mode_16_64 3
		.amdhsa_dx10_clamp 1
		.amdhsa_ieee_mode 1
		.amdhsa_fp16_overflow 0
		.amdhsa_tg_split 0
		.amdhsa_exception_fp_ieee_invalid_op 0
		.amdhsa_exception_fp_denorm_src 0
		.amdhsa_exception_fp_ieee_div_zero 0
		.amdhsa_exception_fp_ieee_overflow 0
		.amdhsa_exception_fp_ieee_underflow 0
		.amdhsa_exception_fp_ieee_inexact 0
		.amdhsa_exception_int_div_zero 0
	.end_amdhsa_kernel
	.section	.text._ZN7rocprim17ROCPRIM_400000_NS6detail17trampoline_kernelINS0_14default_configENS1_20scan_config_selectorIsEEZZNS1_9scan_implILNS1_25lookback_scan_determinismE0ELb1ELb1ES3_N6thrust23THRUST_200600_302600_NS6detail15normal_iteratorINS9_10device_ptrIsEEEENS9_16discard_iteratorINS9_11use_defaultEEEs11max_functorIsEsEEDaPvRmT3_T4_T5_mT6_P12ihipStream_tbENKUlT_T0_E_clISt17integral_constantIbLb0EESW_IbLb1EEEEDaSS_ST_EUlSS_E0_NS1_11comp_targetILNS1_3genE9ELNS1_11target_archE1100ELNS1_3gpuE3ELNS1_3repE0EEENS1_30default_config_static_selectorELNS0_4arch9wavefront6targetE1EEEvT1_,"axG",@progbits,_ZN7rocprim17ROCPRIM_400000_NS6detail17trampoline_kernelINS0_14default_configENS1_20scan_config_selectorIsEEZZNS1_9scan_implILNS1_25lookback_scan_determinismE0ELb1ELb1ES3_N6thrust23THRUST_200600_302600_NS6detail15normal_iteratorINS9_10device_ptrIsEEEENS9_16discard_iteratorINS9_11use_defaultEEEs11max_functorIsEsEEDaPvRmT3_T4_T5_mT6_P12ihipStream_tbENKUlT_T0_E_clISt17integral_constantIbLb0EESW_IbLb1EEEEDaSS_ST_EUlSS_E0_NS1_11comp_targetILNS1_3genE9ELNS1_11target_archE1100ELNS1_3gpuE3ELNS1_3repE0EEENS1_30default_config_static_selectorELNS0_4arch9wavefront6targetE1EEEvT1_,comdat
.Lfunc_end4140:
	.size	_ZN7rocprim17ROCPRIM_400000_NS6detail17trampoline_kernelINS0_14default_configENS1_20scan_config_selectorIsEEZZNS1_9scan_implILNS1_25lookback_scan_determinismE0ELb1ELb1ES3_N6thrust23THRUST_200600_302600_NS6detail15normal_iteratorINS9_10device_ptrIsEEEENS9_16discard_iteratorINS9_11use_defaultEEEs11max_functorIsEsEEDaPvRmT3_T4_T5_mT6_P12ihipStream_tbENKUlT_T0_E_clISt17integral_constantIbLb0EESW_IbLb1EEEEDaSS_ST_EUlSS_E0_NS1_11comp_targetILNS1_3genE9ELNS1_11target_archE1100ELNS1_3gpuE3ELNS1_3repE0EEENS1_30default_config_static_selectorELNS0_4arch9wavefront6targetE1EEEvT1_, .Lfunc_end4140-_ZN7rocprim17ROCPRIM_400000_NS6detail17trampoline_kernelINS0_14default_configENS1_20scan_config_selectorIsEEZZNS1_9scan_implILNS1_25lookback_scan_determinismE0ELb1ELb1ES3_N6thrust23THRUST_200600_302600_NS6detail15normal_iteratorINS9_10device_ptrIsEEEENS9_16discard_iteratorINS9_11use_defaultEEEs11max_functorIsEsEEDaPvRmT3_T4_T5_mT6_P12ihipStream_tbENKUlT_T0_E_clISt17integral_constantIbLb0EESW_IbLb1EEEEDaSS_ST_EUlSS_E0_NS1_11comp_targetILNS1_3genE9ELNS1_11target_archE1100ELNS1_3gpuE3ELNS1_3repE0EEENS1_30default_config_static_selectorELNS0_4arch9wavefront6targetE1EEEvT1_
                                        ; -- End function
	.section	.AMDGPU.csdata,"",@progbits
; Kernel info:
; codeLenInByte = 0
; NumSgprs: 4
; NumVgprs: 0
; NumAgprs: 0
; TotalNumVgprs: 0
; ScratchSize: 0
; MemoryBound: 0
; FloatMode: 240
; IeeeMode: 1
; LDSByteSize: 0 bytes/workgroup (compile time only)
; SGPRBlocks: 0
; VGPRBlocks: 0
; NumSGPRsForWavesPerEU: 4
; NumVGPRsForWavesPerEU: 1
; AccumOffset: 4
; Occupancy: 8
; WaveLimiterHint : 0
; COMPUTE_PGM_RSRC2:SCRATCH_EN: 0
; COMPUTE_PGM_RSRC2:USER_SGPR: 6
; COMPUTE_PGM_RSRC2:TRAP_HANDLER: 0
; COMPUTE_PGM_RSRC2:TGID_X_EN: 1
; COMPUTE_PGM_RSRC2:TGID_Y_EN: 0
; COMPUTE_PGM_RSRC2:TGID_Z_EN: 0
; COMPUTE_PGM_RSRC2:TIDIG_COMP_CNT: 0
; COMPUTE_PGM_RSRC3_GFX90A:ACCUM_OFFSET: 0
; COMPUTE_PGM_RSRC3_GFX90A:TG_SPLIT: 0
	.section	.text._ZN7rocprim17ROCPRIM_400000_NS6detail17trampoline_kernelINS0_14default_configENS1_20scan_config_selectorIsEEZZNS1_9scan_implILNS1_25lookback_scan_determinismE0ELb1ELb1ES3_N6thrust23THRUST_200600_302600_NS6detail15normal_iteratorINS9_10device_ptrIsEEEENS9_16discard_iteratorINS9_11use_defaultEEEs11max_functorIsEsEEDaPvRmT3_T4_T5_mT6_P12ihipStream_tbENKUlT_T0_E_clISt17integral_constantIbLb0EESW_IbLb1EEEEDaSS_ST_EUlSS_E0_NS1_11comp_targetILNS1_3genE8ELNS1_11target_archE1030ELNS1_3gpuE2ELNS1_3repE0EEENS1_30default_config_static_selectorELNS0_4arch9wavefront6targetE1EEEvT1_,"axG",@progbits,_ZN7rocprim17ROCPRIM_400000_NS6detail17trampoline_kernelINS0_14default_configENS1_20scan_config_selectorIsEEZZNS1_9scan_implILNS1_25lookback_scan_determinismE0ELb1ELb1ES3_N6thrust23THRUST_200600_302600_NS6detail15normal_iteratorINS9_10device_ptrIsEEEENS9_16discard_iteratorINS9_11use_defaultEEEs11max_functorIsEsEEDaPvRmT3_T4_T5_mT6_P12ihipStream_tbENKUlT_T0_E_clISt17integral_constantIbLb0EESW_IbLb1EEEEDaSS_ST_EUlSS_E0_NS1_11comp_targetILNS1_3genE8ELNS1_11target_archE1030ELNS1_3gpuE2ELNS1_3repE0EEENS1_30default_config_static_selectorELNS0_4arch9wavefront6targetE1EEEvT1_,comdat
	.protected	_ZN7rocprim17ROCPRIM_400000_NS6detail17trampoline_kernelINS0_14default_configENS1_20scan_config_selectorIsEEZZNS1_9scan_implILNS1_25lookback_scan_determinismE0ELb1ELb1ES3_N6thrust23THRUST_200600_302600_NS6detail15normal_iteratorINS9_10device_ptrIsEEEENS9_16discard_iteratorINS9_11use_defaultEEEs11max_functorIsEsEEDaPvRmT3_T4_T5_mT6_P12ihipStream_tbENKUlT_T0_E_clISt17integral_constantIbLb0EESW_IbLb1EEEEDaSS_ST_EUlSS_E0_NS1_11comp_targetILNS1_3genE8ELNS1_11target_archE1030ELNS1_3gpuE2ELNS1_3repE0EEENS1_30default_config_static_selectorELNS0_4arch9wavefront6targetE1EEEvT1_ ; -- Begin function _ZN7rocprim17ROCPRIM_400000_NS6detail17trampoline_kernelINS0_14default_configENS1_20scan_config_selectorIsEEZZNS1_9scan_implILNS1_25lookback_scan_determinismE0ELb1ELb1ES3_N6thrust23THRUST_200600_302600_NS6detail15normal_iteratorINS9_10device_ptrIsEEEENS9_16discard_iteratorINS9_11use_defaultEEEs11max_functorIsEsEEDaPvRmT3_T4_T5_mT6_P12ihipStream_tbENKUlT_T0_E_clISt17integral_constantIbLb0EESW_IbLb1EEEEDaSS_ST_EUlSS_E0_NS1_11comp_targetILNS1_3genE8ELNS1_11target_archE1030ELNS1_3gpuE2ELNS1_3repE0EEENS1_30default_config_static_selectorELNS0_4arch9wavefront6targetE1EEEvT1_
	.globl	_ZN7rocprim17ROCPRIM_400000_NS6detail17trampoline_kernelINS0_14default_configENS1_20scan_config_selectorIsEEZZNS1_9scan_implILNS1_25lookback_scan_determinismE0ELb1ELb1ES3_N6thrust23THRUST_200600_302600_NS6detail15normal_iteratorINS9_10device_ptrIsEEEENS9_16discard_iteratorINS9_11use_defaultEEEs11max_functorIsEsEEDaPvRmT3_T4_T5_mT6_P12ihipStream_tbENKUlT_T0_E_clISt17integral_constantIbLb0EESW_IbLb1EEEEDaSS_ST_EUlSS_E0_NS1_11comp_targetILNS1_3genE8ELNS1_11target_archE1030ELNS1_3gpuE2ELNS1_3repE0EEENS1_30default_config_static_selectorELNS0_4arch9wavefront6targetE1EEEvT1_
	.p2align	8
	.type	_ZN7rocprim17ROCPRIM_400000_NS6detail17trampoline_kernelINS0_14default_configENS1_20scan_config_selectorIsEEZZNS1_9scan_implILNS1_25lookback_scan_determinismE0ELb1ELb1ES3_N6thrust23THRUST_200600_302600_NS6detail15normal_iteratorINS9_10device_ptrIsEEEENS9_16discard_iteratorINS9_11use_defaultEEEs11max_functorIsEsEEDaPvRmT3_T4_T5_mT6_P12ihipStream_tbENKUlT_T0_E_clISt17integral_constantIbLb0EESW_IbLb1EEEEDaSS_ST_EUlSS_E0_NS1_11comp_targetILNS1_3genE8ELNS1_11target_archE1030ELNS1_3gpuE2ELNS1_3repE0EEENS1_30default_config_static_selectorELNS0_4arch9wavefront6targetE1EEEvT1_,@function
_ZN7rocprim17ROCPRIM_400000_NS6detail17trampoline_kernelINS0_14default_configENS1_20scan_config_selectorIsEEZZNS1_9scan_implILNS1_25lookback_scan_determinismE0ELb1ELb1ES3_N6thrust23THRUST_200600_302600_NS6detail15normal_iteratorINS9_10device_ptrIsEEEENS9_16discard_iteratorINS9_11use_defaultEEEs11max_functorIsEsEEDaPvRmT3_T4_T5_mT6_P12ihipStream_tbENKUlT_T0_E_clISt17integral_constantIbLb0EESW_IbLb1EEEEDaSS_ST_EUlSS_E0_NS1_11comp_targetILNS1_3genE8ELNS1_11target_archE1030ELNS1_3gpuE2ELNS1_3repE0EEENS1_30default_config_static_selectorELNS0_4arch9wavefront6targetE1EEEvT1_: ; @_ZN7rocprim17ROCPRIM_400000_NS6detail17trampoline_kernelINS0_14default_configENS1_20scan_config_selectorIsEEZZNS1_9scan_implILNS1_25lookback_scan_determinismE0ELb1ELb1ES3_N6thrust23THRUST_200600_302600_NS6detail15normal_iteratorINS9_10device_ptrIsEEEENS9_16discard_iteratorINS9_11use_defaultEEEs11max_functorIsEsEEDaPvRmT3_T4_T5_mT6_P12ihipStream_tbENKUlT_T0_E_clISt17integral_constantIbLb0EESW_IbLb1EEEEDaSS_ST_EUlSS_E0_NS1_11comp_targetILNS1_3genE8ELNS1_11target_archE1030ELNS1_3gpuE2ELNS1_3repE0EEENS1_30default_config_static_selectorELNS0_4arch9wavefront6targetE1EEEvT1_
; %bb.0:
	.section	.rodata,"a",@progbits
	.p2align	6, 0x0
	.amdhsa_kernel _ZN7rocprim17ROCPRIM_400000_NS6detail17trampoline_kernelINS0_14default_configENS1_20scan_config_selectorIsEEZZNS1_9scan_implILNS1_25lookback_scan_determinismE0ELb1ELb1ES3_N6thrust23THRUST_200600_302600_NS6detail15normal_iteratorINS9_10device_ptrIsEEEENS9_16discard_iteratorINS9_11use_defaultEEEs11max_functorIsEsEEDaPvRmT3_T4_T5_mT6_P12ihipStream_tbENKUlT_T0_E_clISt17integral_constantIbLb0EESW_IbLb1EEEEDaSS_ST_EUlSS_E0_NS1_11comp_targetILNS1_3genE8ELNS1_11target_archE1030ELNS1_3gpuE2ELNS1_3repE0EEENS1_30default_config_static_selectorELNS0_4arch9wavefront6targetE1EEEvT1_
		.amdhsa_group_segment_fixed_size 0
		.amdhsa_private_segment_fixed_size 0
		.amdhsa_kernarg_size 40
		.amdhsa_user_sgpr_count 6
		.amdhsa_user_sgpr_private_segment_buffer 1
		.amdhsa_user_sgpr_dispatch_ptr 0
		.amdhsa_user_sgpr_queue_ptr 0
		.amdhsa_user_sgpr_kernarg_segment_ptr 1
		.amdhsa_user_sgpr_dispatch_id 0
		.amdhsa_user_sgpr_flat_scratch_init 0
		.amdhsa_user_sgpr_kernarg_preload_length 0
		.amdhsa_user_sgpr_kernarg_preload_offset 0
		.amdhsa_user_sgpr_private_segment_size 0
		.amdhsa_uses_dynamic_stack 0
		.amdhsa_system_sgpr_private_segment_wavefront_offset 0
		.amdhsa_system_sgpr_workgroup_id_x 1
		.amdhsa_system_sgpr_workgroup_id_y 0
		.amdhsa_system_sgpr_workgroup_id_z 0
		.amdhsa_system_sgpr_workgroup_info 0
		.amdhsa_system_vgpr_workitem_id 0
		.amdhsa_next_free_vgpr 1
		.amdhsa_next_free_sgpr 0
		.amdhsa_accum_offset 4
		.amdhsa_reserve_vcc 0
		.amdhsa_reserve_flat_scratch 0
		.amdhsa_float_round_mode_32 0
		.amdhsa_float_round_mode_16_64 0
		.amdhsa_float_denorm_mode_32 3
		.amdhsa_float_denorm_mode_16_64 3
		.amdhsa_dx10_clamp 1
		.amdhsa_ieee_mode 1
		.amdhsa_fp16_overflow 0
		.amdhsa_tg_split 0
		.amdhsa_exception_fp_ieee_invalid_op 0
		.amdhsa_exception_fp_denorm_src 0
		.amdhsa_exception_fp_ieee_div_zero 0
		.amdhsa_exception_fp_ieee_overflow 0
		.amdhsa_exception_fp_ieee_underflow 0
		.amdhsa_exception_fp_ieee_inexact 0
		.amdhsa_exception_int_div_zero 0
	.end_amdhsa_kernel
	.section	.text._ZN7rocprim17ROCPRIM_400000_NS6detail17trampoline_kernelINS0_14default_configENS1_20scan_config_selectorIsEEZZNS1_9scan_implILNS1_25lookback_scan_determinismE0ELb1ELb1ES3_N6thrust23THRUST_200600_302600_NS6detail15normal_iteratorINS9_10device_ptrIsEEEENS9_16discard_iteratorINS9_11use_defaultEEEs11max_functorIsEsEEDaPvRmT3_T4_T5_mT6_P12ihipStream_tbENKUlT_T0_E_clISt17integral_constantIbLb0EESW_IbLb1EEEEDaSS_ST_EUlSS_E0_NS1_11comp_targetILNS1_3genE8ELNS1_11target_archE1030ELNS1_3gpuE2ELNS1_3repE0EEENS1_30default_config_static_selectorELNS0_4arch9wavefront6targetE1EEEvT1_,"axG",@progbits,_ZN7rocprim17ROCPRIM_400000_NS6detail17trampoline_kernelINS0_14default_configENS1_20scan_config_selectorIsEEZZNS1_9scan_implILNS1_25lookback_scan_determinismE0ELb1ELb1ES3_N6thrust23THRUST_200600_302600_NS6detail15normal_iteratorINS9_10device_ptrIsEEEENS9_16discard_iteratorINS9_11use_defaultEEEs11max_functorIsEsEEDaPvRmT3_T4_T5_mT6_P12ihipStream_tbENKUlT_T0_E_clISt17integral_constantIbLb0EESW_IbLb1EEEEDaSS_ST_EUlSS_E0_NS1_11comp_targetILNS1_3genE8ELNS1_11target_archE1030ELNS1_3gpuE2ELNS1_3repE0EEENS1_30default_config_static_selectorELNS0_4arch9wavefront6targetE1EEEvT1_,comdat
.Lfunc_end4141:
	.size	_ZN7rocprim17ROCPRIM_400000_NS6detail17trampoline_kernelINS0_14default_configENS1_20scan_config_selectorIsEEZZNS1_9scan_implILNS1_25lookback_scan_determinismE0ELb1ELb1ES3_N6thrust23THRUST_200600_302600_NS6detail15normal_iteratorINS9_10device_ptrIsEEEENS9_16discard_iteratorINS9_11use_defaultEEEs11max_functorIsEsEEDaPvRmT3_T4_T5_mT6_P12ihipStream_tbENKUlT_T0_E_clISt17integral_constantIbLb0EESW_IbLb1EEEEDaSS_ST_EUlSS_E0_NS1_11comp_targetILNS1_3genE8ELNS1_11target_archE1030ELNS1_3gpuE2ELNS1_3repE0EEENS1_30default_config_static_selectorELNS0_4arch9wavefront6targetE1EEEvT1_, .Lfunc_end4141-_ZN7rocprim17ROCPRIM_400000_NS6detail17trampoline_kernelINS0_14default_configENS1_20scan_config_selectorIsEEZZNS1_9scan_implILNS1_25lookback_scan_determinismE0ELb1ELb1ES3_N6thrust23THRUST_200600_302600_NS6detail15normal_iteratorINS9_10device_ptrIsEEEENS9_16discard_iteratorINS9_11use_defaultEEEs11max_functorIsEsEEDaPvRmT3_T4_T5_mT6_P12ihipStream_tbENKUlT_T0_E_clISt17integral_constantIbLb0EESW_IbLb1EEEEDaSS_ST_EUlSS_E0_NS1_11comp_targetILNS1_3genE8ELNS1_11target_archE1030ELNS1_3gpuE2ELNS1_3repE0EEENS1_30default_config_static_selectorELNS0_4arch9wavefront6targetE1EEEvT1_
                                        ; -- End function
	.section	.AMDGPU.csdata,"",@progbits
; Kernel info:
; codeLenInByte = 0
; NumSgprs: 4
; NumVgprs: 0
; NumAgprs: 0
; TotalNumVgprs: 0
; ScratchSize: 0
; MemoryBound: 0
; FloatMode: 240
; IeeeMode: 1
; LDSByteSize: 0 bytes/workgroup (compile time only)
; SGPRBlocks: 0
; VGPRBlocks: 0
; NumSGPRsForWavesPerEU: 4
; NumVGPRsForWavesPerEU: 1
; AccumOffset: 4
; Occupancy: 8
; WaveLimiterHint : 0
; COMPUTE_PGM_RSRC2:SCRATCH_EN: 0
; COMPUTE_PGM_RSRC2:USER_SGPR: 6
; COMPUTE_PGM_RSRC2:TRAP_HANDLER: 0
; COMPUTE_PGM_RSRC2:TGID_X_EN: 1
; COMPUTE_PGM_RSRC2:TGID_Y_EN: 0
; COMPUTE_PGM_RSRC2:TGID_Z_EN: 0
; COMPUTE_PGM_RSRC2:TIDIG_COMP_CNT: 0
; COMPUTE_PGM_RSRC3_GFX90A:ACCUM_OFFSET: 0
; COMPUTE_PGM_RSRC3_GFX90A:TG_SPLIT: 0
	.section	.text._ZN7rocprim17ROCPRIM_400000_NS6detail17trampoline_kernelINS0_14default_configENS1_20scan_config_selectorIdEEZZNS1_9scan_implILNS1_25lookback_scan_determinismE0ELb0ELb0ES3_N6thrust23THRUST_200600_302600_NS6detail15normal_iteratorINS9_10device_ptrIdEEEESE_dNS9_4plusIvEEdEEDaPvRmT3_T4_T5_mT6_P12ihipStream_tbENKUlT_T0_E_clISt17integral_constantIbLb0EESU_EEDaSP_SQ_EUlSP_E_NS1_11comp_targetILNS1_3genE0ELNS1_11target_archE4294967295ELNS1_3gpuE0ELNS1_3repE0EEENS1_30default_config_static_selectorELNS0_4arch9wavefront6targetE1EEEvT1_,"axG",@progbits,_ZN7rocprim17ROCPRIM_400000_NS6detail17trampoline_kernelINS0_14default_configENS1_20scan_config_selectorIdEEZZNS1_9scan_implILNS1_25lookback_scan_determinismE0ELb0ELb0ES3_N6thrust23THRUST_200600_302600_NS6detail15normal_iteratorINS9_10device_ptrIdEEEESE_dNS9_4plusIvEEdEEDaPvRmT3_T4_T5_mT6_P12ihipStream_tbENKUlT_T0_E_clISt17integral_constantIbLb0EESU_EEDaSP_SQ_EUlSP_E_NS1_11comp_targetILNS1_3genE0ELNS1_11target_archE4294967295ELNS1_3gpuE0ELNS1_3repE0EEENS1_30default_config_static_selectorELNS0_4arch9wavefront6targetE1EEEvT1_,comdat
	.protected	_ZN7rocprim17ROCPRIM_400000_NS6detail17trampoline_kernelINS0_14default_configENS1_20scan_config_selectorIdEEZZNS1_9scan_implILNS1_25lookback_scan_determinismE0ELb0ELb0ES3_N6thrust23THRUST_200600_302600_NS6detail15normal_iteratorINS9_10device_ptrIdEEEESE_dNS9_4plusIvEEdEEDaPvRmT3_T4_T5_mT6_P12ihipStream_tbENKUlT_T0_E_clISt17integral_constantIbLb0EESU_EEDaSP_SQ_EUlSP_E_NS1_11comp_targetILNS1_3genE0ELNS1_11target_archE4294967295ELNS1_3gpuE0ELNS1_3repE0EEENS1_30default_config_static_selectorELNS0_4arch9wavefront6targetE1EEEvT1_ ; -- Begin function _ZN7rocprim17ROCPRIM_400000_NS6detail17trampoline_kernelINS0_14default_configENS1_20scan_config_selectorIdEEZZNS1_9scan_implILNS1_25lookback_scan_determinismE0ELb0ELb0ES3_N6thrust23THRUST_200600_302600_NS6detail15normal_iteratorINS9_10device_ptrIdEEEESE_dNS9_4plusIvEEdEEDaPvRmT3_T4_T5_mT6_P12ihipStream_tbENKUlT_T0_E_clISt17integral_constantIbLb0EESU_EEDaSP_SQ_EUlSP_E_NS1_11comp_targetILNS1_3genE0ELNS1_11target_archE4294967295ELNS1_3gpuE0ELNS1_3repE0EEENS1_30default_config_static_selectorELNS0_4arch9wavefront6targetE1EEEvT1_
	.globl	_ZN7rocprim17ROCPRIM_400000_NS6detail17trampoline_kernelINS0_14default_configENS1_20scan_config_selectorIdEEZZNS1_9scan_implILNS1_25lookback_scan_determinismE0ELb0ELb0ES3_N6thrust23THRUST_200600_302600_NS6detail15normal_iteratorINS9_10device_ptrIdEEEESE_dNS9_4plusIvEEdEEDaPvRmT3_T4_T5_mT6_P12ihipStream_tbENKUlT_T0_E_clISt17integral_constantIbLb0EESU_EEDaSP_SQ_EUlSP_E_NS1_11comp_targetILNS1_3genE0ELNS1_11target_archE4294967295ELNS1_3gpuE0ELNS1_3repE0EEENS1_30default_config_static_selectorELNS0_4arch9wavefront6targetE1EEEvT1_
	.p2align	8
	.type	_ZN7rocprim17ROCPRIM_400000_NS6detail17trampoline_kernelINS0_14default_configENS1_20scan_config_selectorIdEEZZNS1_9scan_implILNS1_25lookback_scan_determinismE0ELb0ELb0ES3_N6thrust23THRUST_200600_302600_NS6detail15normal_iteratorINS9_10device_ptrIdEEEESE_dNS9_4plusIvEEdEEDaPvRmT3_T4_T5_mT6_P12ihipStream_tbENKUlT_T0_E_clISt17integral_constantIbLb0EESU_EEDaSP_SQ_EUlSP_E_NS1_11comp_targetILNS1_3genE0ELNS1_11target_archE4294967295ELNS1_3gpuE0ELNS1_3repE0EEENS1_30default_config_static_selectorELNS0_4arch9wavefront6targetE1EEEvT1_,@function
_ZN7rocprim17ROCPRIM_400000_NS6detail17trampoline_kernelINS0_14default_configENS1_20scan_config_selectorIdEEZZNS1_9scan_implILNS1_25lookback_scan_determinismE0ELb0ELb0ES3_N6thrust23THRUST_200600_302600_NS6detail15normal_iteratorINS9_10device_ptrIdEEEESE_dNS9_4plusIvEEdEEDaPvRmT3_T4_T5_mT6_P12ihipStream_tbENKUlT_T0_E_clISt17integral_constantIbLb0EESU_EEDaSP_SQ_EUlSP_E_NS1_11comp_targetILNS1_3genE0ELNS1_11target_archE4294967295ELNS1_3gpuE0ELNS1_3repE0EEENS1_30default_config_static_selectorELNS0_4arch9wavefront6targetE1EEEvT1_: ; @_ZN7rocprim17ROCPRIM_400000_NS6detail17trampoline_kernelINS0_14default_configENS1_20scan_config_selectorIdEEZZNS1_9scan_implILNS1_25lookback_scan_determinismE0ELb0ELb0ES3_N6thrust23THRUST_200600_302600_NS6detail15normal_iteratorINS9_10device_ptrIdEEEESE_dNS9_4plusIvEEdEEDaPvRmT3_T4_T5_mT6_P12ihipStream_tbENKUlT_T0_E_clISt17integral_constantIbLb0EESU_EEDaSP_SQ_EUlSP_E_NS1_11comp_targetILNS1_3genE0ELNS1_11target_archE4294967295ELNS1_3gpuE0ELNS1_3repE0EEENS1_30default_config_static_selectorELNS0_4arch9wavefront6targetE1EEEvT1_
; %bb.0:
	.section	.rodata,"a",@progbits
	.p2align	6, 0x0
	.amdhsa_kernel _ZN7rocprim17ROCPRIM_400000_NS6detail17trampoline_kernelINS0_14default_configENS1_20scan_config_selectorIdEEZZNS1_9scan_implILNS1_25lookback_scan_determinismE0ELb0ELb0ES3_N6thrust23THRUST_200600_302600_NS6detail15normal_iteratorINS9_10device_ptrIdEEEESE_dNS9_4plusIvEEdEEDaPvRmT3_T4_T5_mT6_P12ihipStream_tbENKUlT_T0_E_clISt17integral_constantIbLb0EESU_EEDaSP_SQ_EUlSP_E_NS1_11comp_targetILNS1_3genE0ELNS1_11target_archE4294967295ELNS1_3gpuE0ELNS1_3repE0EEENS1_30default_config_static_selectorELNS0_4arch9wavefront6targetE1EEEvT1_
		.amdhsa_group_segment_fixed_size 0
		.amdhsa_private_segment_fixed_size 0
		.amdhsa_kernarg_size 104
		.amdhsa_user_sgpr_count 6
		.amdhsa_user_sgpr_private_segment_buffer 1
		.amdhsa_user_sgpr_dispatch_ptr 0
		.amdhsa_user_sgpr_queue_ptr 0
		.amdhsa_user_sgpr_kernarg_segment_ptr 1
		.amdhsa_user_sgpr_dispatch_id 0
		.amdhsa_user_sgpr_flat_scratch_init 0
		.amdhsa_user_sgpr_kernarg_preload_length 0
		.amdhsa_user_sgpr_kernarg_preload_offset 0
		.amdhsa_user_sgpr_private_segment_size 0
		.amdhsa_uses_dynamic_stack 0
		.amdhsa_system_sgpr_private_segment_wavefront_offset 0
		.amdhsa_system_sgpr_workgroup_id_x 1
		.amdhsa_system_sgpr_workgroup_id_y 0
		.amdhsa_system_sgpr_workgroup_id_z 0
		.amdhsa_system_sgpr_workgroup_info 0
		.amdhsa_system_vgpr_workitem_id 0
		.amdhsa_next_free_vgpr 1
		.amdhsa_next_free_sgpr 0
		.amdhsa_accum_offset 4
		.amdhsa_reserve_vcc 0
		.amdhsa_reserve_flat_scratch 0
		.amdhsa_float_round_mode_32 0
		.amdhsa_float_round_mode_16_64 0
		.amdhsa_float_denorm_mode_32 3
		.amdhsa_float_denorm_mode_16_64 3
		.amdhsa_dx10_clamp 1
		.amdhsa_ieee_mode 1
		.amdhsa_fp16_overflow 0
		.amdhsa_tg_split 0
		.amdhsa_exception_fp_ieee_invalid_op 0
		.amdhsa_exception_fp_denorm_src 0
		.amdhsa_exception_fp_ieee_div_zero 0
		.amdhsa_exception_fp_ieee_overflow 0
		.amdhsa_exception_fp_ieee_underflow 0
		.amdhsa_exception_fp_ieee_inexact 0
		.amdhsa_exception_int_div_zero 0
	.end_amdhsa_kernel
	.section	.text._ZN7rocprim17ROCPRIM_400000_NS6detail17trampoline_kernelINS0_14default_configENS1_20scan_config_selectorIdEEZZNS1_9scan_implILNS1_25lookback_scan_determinismE0ELb0ELb0ES3_N6thrust23THRUST_200600_302600_NS6detail15normal_iteratorINS9_10device_ptrIdEEEESE_dNS9_4plusIvEEdEEDaPvRmT3_T4_T5_mT6_P12ihipStream_tbENKUlT_T0_E_clISt17integral_constantIbLb0EESU_EEDaSP_SQ_EUlSP_E_NS1_11comp_targetILNS1_3genE0ELNS1_11target_archE4294967295ELNS1_3gpuE0ELNS1_3repE0EEENS1_30default_config_static_selectorELNS0_4arch9wavefront6targetE1EEEvT1_,"axG",@progbits,_ZN7rocprim17ROCPRIM_400000_NS6detail17trampoline_kernelINS0_14default_configENS1_20scan_config_selectorIdEEZZNS1_9scan_implILNS1_25lookback_scan_determinismE0ELb0ELb0ES3_N6thrust23THRUST_200600_302600_NS6detail15normal_iteratorINS9_10device_ptrIdEEEESE_dNS9_4plusIvEEdEEDaPvRmT3_T4_T5_mT6_P12ihipStream_tbENKUlT_T0_E_clISt17integral_constantIbLb0EESU_EEDaSP_SQ_EUlSP_E_NS1_11comp_targetILNS1_3genE0ELNS1_11target_archE4294967295ELNS1_3gpuE0ELNS1_3repE0EEENS1_30default_config_static_selectorELNS0_4arch9wavefront6targetE1EEEvT1_,comdat
.Lfunc_end4142:
	.size	_ZN7rocprim17ROCPRIM_400000_NS6detail17trampoline_kernelINS0_14default_configENS1_20scan_config_selectorIdEEZZNS1_9scan_implILNS1_25lookback_scan_determinismE0ELb0ELb0ES3_N6thrust23THRUST_200600_302600_NS6detail15normal_iteratorINS9_10device_ptrIdEEEESE_dNS9_4plusIvEEdEEDaPvRmT3_T4_T5_mT6_P12ihipStream_tbENKUlT_T0_E_clISt17integral_constantIbLb0EESU_EEDaSP_SQ_EUlSP_E_NS1_11comp_targetILNS1_3genE0ELNS1_11target_archE4294967295ELNS1_3gpuE0ELNS1_3repE0EEENS1_30default_config_static_selectorELNS0_4arch9wavefront6targetE1EEEvT1_, .Lfunc_end4142-_ZN7rocprim17ROCPRIM_400000_NS6detail17trampoline_kernelINS0_14default_configENS1_20scan_config_selectorIdEEZZNS1_9scan_implILNS1_25lookback_scan_determinismE0ELb0ELb0ES3_N6thrust23THRUST_200600_302600_NS6detail15normal_iteratorINS9_10device_ptrIdEEEESE_dNS9_4plusIvEEdEEDaPvRmT3_T4_T5_mT6_P12ihipStream_tbENKUlT_T0_E_clISt17integral_constantIbLb0EESU_EEDaSP_SQ_EUlSP_E_NS1_11comp_targetILNS1_3genE0ELNS1_11target_archE4294967295ELNS1_3gpuE0ELNS1_3repE0EEENS1_30default_config_static_selectorELNS0_4arch9wavefront6targetE1EEEvT1_
                                        ; -- End function
	.section	.AMDGPU.csdata,"",@progbits
; Kernel info:
; codeLenInByte = 0
; NumSgprs: 4
; NumVgprs: 0
; NumAgprs: 0
; TotalNumVgprs: 0
; ScratchSize: 0
; MemoryBound: 0
; FloatMode: 240
; IeeeMode: 1
; LDSByteSize: 0 bytes/workgroup (compile time only)
; SGPRBlocks: 0
; VGPRBlocks: 0
; NumSGPRsForWavesPerEU: 4
; NumVGPRsForWavesPerEU: 1
; AccumOffset: 4
; Occupancy: 8
; WaveLimiterHint : 0
; COMPUTE_PGM_RSRC2:SCRATCH_EN: 0
; COMPUTE_PGM_RSRC2:USER_SGPR: 6
; COMPUTE_PGM_RSRC2:TRAP_HANDLER: 0
; COMPUTE_PGM_RSRC2:TGID_X_EN: 1
; COMPUTE_PGM_RSRC2:TGID_Y_EN: 0
; COMPUTE_PGM_RSRC2:TGID_Z_EN: 0
; COMPUTE_PGM_RSRC2:TIDIG_COMP_CNT: 0
; COMPUTE_PGM_RSRC3_GFX90A:ACCUM_OFFSET: 0
; COMPUTE_PGM_RSRC3_GFX90A:TG_SPLIT: 0
	.section	.text._ZN7rocprim17ROCPRIM_400000_NS6detail17trampoline_kernelINS0_14default_configENS1_20scan_config_selectorIdEEZZNS1_9scan_implILNS1_25lookback_scan_determinismE0ELb0ELb0ES3_N6thrust23THRUST_200600_302600_NS6detail15normal_iteratorINS9_10device_ptrIdEEEESE_dNS9_4plusIvEEdEEDaPvRmT3_T4_T5_mT6_P12ihipStream_tbENKUlT_T0_E_clISt17integral_constantIbLb0EESU_EEDaSP_SQ_EUlSP_E_NS1_11comp_targetILNS1_3genE5ELNS1_11target_archE942ELNS1_3gpuE9ELNS1_3repE0EEENS1_30default_config_static_selectorELNS0_4arch9wavefront6targetE1EEEvT1_,"axG",@progbits,_ZN7rocprim17ROCPRIM_400000_NS6detail17trampoline_kernelINS0_14default_configENS1_20scan_config_selectorIdEEZZNS1_9scan_implILNS1_25lookback_scan_determinismE0ELb0ELb0ES3_N6thrust23THRUST_200600_302600_NS6detail15normal_iteratorINS9_10device_ptrIdEEEESE_dNS9_4plusIvEEdEEDaPvRmT3_T4_T5_mT6_P12ihipStream_tbENKUlT_T0_E_clISt17integral_constantIbLb0EESU_EEDaSP_SQ_EUlSP_E_NS1_11comp_targetILNS1_3genE5ELNS1_11target_archE942ELNS1_3gpuE9ELNS1_3repE0EEENS1_30default_config_static_selectorELNS0_4arch9wavefront6targetE1EEEvT1_,comdat
	.protected	_ZN7rocprim17ROCPRIM_400000_NS6detail17trampoline_kernelINS0_14default_configENS1_20scan_config_selectorIdEEZZNS1_9scan_implILNS1_25lookback_scan_determinismE0ELb0ELb0ES3_N6thrust23THRUST_200600_302600_NS6detail15normal_iteratorINS9_10device_ptrIdEEEESE_dNS9_4plusIvEEdEEDaPvRmT3_T4_T5_mT6_P12ihipStream_tbENKUlT_T0_E_clISt17integral_constantIbLb0EESU_EEDaSP_SQ_EUlSP_E_NS1_11comp_targetILNS1_3genE5ELNS1_11target_archE942ELNS1_3gpuE9ELNS1_3repE0EEENS1_30default_config_static_selectorELNS0_4arch9wavefront6targetE1EEEvT1_ ; -- Begin function _ZN7rocprim17ROCPRIM_400000_NS6detail17trampoline_kernelINS0_14default_configENS1_20scan_config_selectorIdEEZZNS1_9scan_implILNS1_25lookback_scan_determinismE0ELb0ELb0ES3_N6thrust23THRUST_200600_302600_NS6detail15normal_iteratorINS9_10device_ptrIdEEEESE_dNS9_4plusIvEEdEEDaPvRmT3_T4_T5_mT6_P12ihipStream_tbENKUlT_T0_E_clISt17integral_constantIbLb0EESU_EEDaSP_SQ_EUlSP_E_NS1_11comp_targetILNS1_3genE5ELNS1_11target_archE942ELNS1_3gpuE9ELNS1_3repE0EEENS1_30default_config_static_selectorELNS0_4arch9wavefront6targetE1EEEvT1_
	.globl	_ZN7rocprim17ROCPRIM_400000_NS6detail17trampoline_kernelINS0_14default_configENS1_20scan_config_selectorIdEEZZNS1_9scan_implILNS1_25lookback_scan_determinismE0ELb0ELb0ES3_N6thrust23THRUST_200600_302600_NS6detail15normal_iteratorINS9_10device_ptrIdEEEESE_dNS9_4plusIvEEdEEDaPvRmT3_T4_T5_mT6_P12ihipStream_tbENKUlT_T0_E_clISt17integral_constantIbLb0EESU_EEDaSP_SQ_EUlSP_E_NS1_11comp_targetILNS1_3genE5ELNS1_11target_archE942ELNS1_3gpuE9ELNS1_3repE0EEENS1_30default_config_static_selectorELNS0_4arch9wavefront6targetE1EEEvT1_
	.p2align	8
	.type	_ZN7rocprim17ROCPRIM_400000_NS6detail17trampoline_kernelINS0_14default_configENS1_20scan_config_selectorIdEEZZNS1_9scan_implILNS1_25lookback_scan_determinismE0ELb0ELb0ES3_N6thrust23THRUST_200600_302600_NS6detail15normal_iteratorINS9_10device_ptrIdEEEESE_dNS9_4plusIvEEdEEDaPvRmT3_T4_T5_mT6_P12ihipStream_tbENKUlT_T0_E_clISt17integral_constantIbLb0EESU_EEDaSP_SQ_EUlSP_E_NS1_11comp_targetILNS1_3genE5ELNS1_11target_archE942ELNS1_3gpuE9ELNS1_3repE0EEENS1_30default_config_static_selectorELNS0_4arch9wavefront6targetE1EEEvT1_,@function
_ZN7rocprim17ROCPRIM_400000_NS6detail17trampoline_kernelINS0_14default_configENS1_20scan_config_selectorIdEEZZNS1_9scan_implILNS1_25lookback_scan_determinismE0ELb0ELb0ES3_N6thrust23THRUST_200600_302600_NS6detail15normal_iteratorINS9_10device_ptrIdEEEESE_dNS9_4plusIvEEdEEDaPvRmT3_T4_T5_mT6_P12ihipStream_tbENKUlT_T0_E_clISt17integral_constantIbLb0EESU_EEDaSP_SQ_EUlSP_E_NS1_11comp_targetILNS1_3genE5ELNS1_11target_archE942ELNS1_3gpuE9ELNS1_3repE0EEENS1_30default_config_static_selectorELNS0_4arch9wavefront6targetE1EEEvT1_: ; @_ZN7rocprim17ROCPRIM_400000_NS6detail17trampoline_kernelINS0_14default_configENS1_20scan_config_selectorIdEEZZNS1_9scan_implILNS1_25lookback_scan_determinismE0ELb0ELb0ES3_N6thrust23THRUST_200600_302600_NS6detail15normal_iteratorINS9_10device_ptrIdEEEESE_dNS9_4plusIvEEdEEDaPvRmT3_T4_T5_mT6_P12ihipStream_tbENKUlT_T0_E_clISt17integral_constantIbLb0EESU_EEDaSP_SQ_EUlSP_E_NS1_11comp_targetILNS1_3genE5ELNS1_11target_archE942ELNS1_3gpuE9ELNS1_3repE0EEENS1_30default_config_static_selectorELNS0_4arch9wavefront6targetE1EEEvT1_
; %bb.0:
	.section	.rodata,"a",@progbits
	.p2align	6, 0x0
	.amdhsa_kernel _ZN7rocprim17ROCPRIM_400000_NS6detail17trampoline_kernelINS0_14default_configENS1_20scan_config_selectorIdEEZZNS1_9scan_implILNS1_25lookback_scan_determinismE0ELb0ELb0ES3_N6thrust23THRUST_200600_302600_NS6detail15normal_iteratorINS9_10device_ptrIdEEEESE_dNS9_4plusIvEEdEEDaPvRmT3_T4_T5_mT6_P12ihipStream_tbENKUlT_T0_E_clISt17integral_constantIbLb0EESU_EEDaSP_SQ_EUlSP_E_NS1_11comp_targetILNS1_3genE5ELNS1_11target_archE942ELNS1_3gpuE9ELNS1_3repE0EEENS1_30default_config_static_selectorELNS0_4arch9wavefront6targetE1EEEvT1_
		.amdhsa_group_segment_fixed_size 0
		.amdhsa_private_segment_fixed_size 0
		.amdhsa_kernarg_size 104
		.amdhsa_user_sgpr_count 6
		.amdhsa_user_sgpr_private_segment_buffer 1
		.amdhsa_user_sgpr_dispatch_ptr 0
		.amdhsa_user_sgpr_queue_ptr 0
		.amdhsa_user_sgpr_kernarg_segment_ptr 1
		.amdhsa_user_sgpr_dispatch_id 0
		.amdhsa_user_sgpr_flat_scratch_init 0
		.amdhsa_user_sgpr_kernarg_preload_length 0
		.amdhsa_user_sgpr_kernarg_preload_offset 0
		.amdhsa_user_sgpr_private_segment_size 0
		.amdhsa_uses_dynamic_stack 0
		.amdhsa_system_sgpr_private_segment_wavefront_offset 0
		.amdhsa_system_sgpr_workgroup_id_x 1
		.amdhsa_system_sgpr_workgroup_id_y 0
		.amdhsa_system_sgpr_workgroup_id_z 0
		.amdhsa_system_sgpr_workgroup_info 0
		.amdhsa_system_vgpr_workitem_id 0
		.amdhsa_next_free_vgpr 1
		.amdhsa_next_free_sgpr 0
		.amdhsa_accum_offset 4
		.amdhsa_reserve_vcc 0
		.amdhsa_reserve_flat_scratch 0
		.amdhsa_float_round_mode_32 0
		.amdhsa_float_round_mode_16_64 0
		.amdhsa_float_denorm_mode_32 3
		.amdhsa_float_denorm_mode_16_64 3
		.amdhsa_dx10_clamp 1
		.amdhsa_ieee_mode 1
		.amdhsa_fp16_overflow 0
		.amdhsa_tg_split 0
		.amdhsa_exception_fp_ieee_invalid_op 0
		.amdhsa_exception_fp_denorm_src 0
		.amdhsa_exception_fp_ieee_div_zero 0
		.amdhsa_exception_fp_ieee_overflow 0
		.amdhsa_exception_fp_ieee_underflow 0
		.amdhsa_exception_fp_ieee_inexact 0
		.amdhsa_exception_int_div_zero 0
	.end_amdhsa_kernel
	.section	.text._ZN7rocprim17ROCPRIM_400000_NS6detail17trampoline_kernelINS0_14default_configENS1_20scan_config_selectorIdEEZZNS1_9scan_implILNS1_25lookback_scan_determinismE0ELb0ELb0ES3_N6thrust23THRUST_200600_302600_NS6detail15normal_iteratorINS9_10device_ptrIdEEEESE_dNS9_4plusIvEEdEEDaPvRmT3_T4_T5_mT6_P12ihipStream_tbENKUlT_T0_E_clISt17integral_constantIbLb0EESU_EEDaSP_SQ_EUlSP_E_NS1_11comp_targetILNS1_3genE5ELNS1_11target_archE942ELNS1_3gpuE9ELNS1_3repE0EEENS1_30default_config_static_selectorELNS0_4arch9wavefront6targetE1EEEvT1_,"axG",@progbits,_ZN7rocprim17ROCPRIM_400000_NS6detail17trampoline_kernelINS0_14default_configENS1_20scan_config_selectorIdEEZZNS1_9scan_implILNS1_25lookback_scan_determinismE0ELb0ELb0ES3_N6thrust23THRUST_200600_302600_NS6detail15normal_iteratorINS9_10device_ptrIdEEEESE_dNS9_4plusIvEEdEEDaPvRmT3_T4_T5_mT6_P12ihipStream_tbENKUlT_T0_E_clISt17integral_constantIbLb0EESU_EEDaSP_SQ_EUlSP_E_NS1_11comp_targetILNS1_3genE5ELNS1_11target_archE942ELNS1_3gpuE9ELNS1_3repE0EEENS1_30default_config_static_selectorELNS0_4arch9wavefront6targetE1EEEvT1_,comdat
.Lfunc_end4143:
	.size	_ZN7rocprim17ROCPRIM_400000_NS6detail17trampoline_kernelINS0_14default_configENS1_20scan_config_selectorIdEEZZNS1_9scan_implILNS1_25lookback_scan_determinismE0ELb0ELb0ES3_N6thrust23THRUST_200600_302600_NS6detail15normal_iteratorINS9_10device_ptrIdEEEESE_dNS9_4plusIvEEdEEDaPvRmT3_T4_T5_mT6_P12ihipStream_tbENKUlT_T0_E_clISt17integral_constantIbLb0EESU_EEDaSP_SQ_EUlSP_E_NS1_11comp_targetILNS1_3genE5ELNS1_11target_archE942ELNS1_3gpuE9ELNS1_3repE0EEENS1_30default_config_static_selectorELNS0_4arch9wavefront6targetE1EEEvT1_, .Lfunc_end4143-_ZN7rocprim17ROCPRIM_400000_NS6detail17trampoline_kernelINS0_14default_configENS1_20scan_config_selectorIdEEZZNS1_9scan_implILNS1_25lookback_scan_determinismE0ELb0ELb0ES3_N6thrust23THRUST_200600_302600_NS6detail15normal_iteratorINS9_10device_ptrIdEEEESE_dNS9_4plusIvEEdEEDaPvRmT3_T4_T5_mT6_P12ihipStream_tbENKUlT_T0_E_clISt17integral_constantIbLb0EESU_EEDaSP_SQ_EUlSP_E_NS1_11comp_targetILNS1_3genE5ELNS1_11target_archE942ELNS1_3gpuE9ELNS1_3repE0EEENS1_30default_config_static_selectorELNS0_4arch9wavefront6targetE1EEEvT1_
                                        ; -- End function
	.section	.AMDGPU.csdata,"",@progbits
; Kernel info:
; codeLenInByte = 0
; NumSgprs: 4
; NumVgprs: 0
; NumAgprs: 0
; TotalNumVgprs: 0
; ScratchSize: 0
; MemoryBound: 0
; FloatMode: 240
; IeeeMode: 1
; LDSByteSize: 0 bytes/workgroup (compile time only)
; SGPRBlocks: 0
; VGPRBlocks: 0
; NumSGPRsForWavesPerEU: 4
; NumVGPRsForWavesPerEU: 1
; AccumOffset: 4
; Occupancy: 8
; WaveLimiterHint : 0
; COMPUTE_PGM_RSRC2:SCRATCH_EN: 0
; COMPUTE_PGM_RSRC2:USER_SGPR: 6
; COMPUTE_PGM_RSRC2:TRAP_HANDLER: 0
; COMPUTE_PGM_RSRC2:TGID_X_EN: 1
; COMPUTE_PGM_RSRC2:TGID_Y_EN: 0
; COMPUTE_PGM_RSRC2:TGID_Z_EN: 0
; COMPUTE_PGM_RSRC2:TIDIG_COMP_CNT: 0
; COMPUTE_PGM_RSRC3_GFX90A:ACCUM_OFFSET: 0
; COMPUTE_PGM_RSRC3_GFX90A:TG_SPLIT: 0
	.section	.text._ZN7rocprim17ROCPRIM_400000_NS6detail17trampoline_kernelINS0_14default_configENS1_20scan_config_selectorIdEEZZNS1_9scan_implILNS1_25lookback_scan_determinismE0ELb0ELb0ES3_N6thrust23THRUST_200600_302600_NS6detail15normal_iteratorINS9_10device_ptrIdEEEESE_dNS9_4plusIvEEdEEDaPvRmT3_T4_T5_mT6_P12ihipStream_tbENKUlT_T0_E_clISt17integral_constantIbLb0EESU_EEDaSP_SQ_EUlSP_E_NS1_11comp_targetILNS1_3genE4ELNS1_11target_archE910ELNS1_3gpuE8ELNS1_3repE0EEENS1_30default_config_static_selectorELNS0_4arch9wavefront6targetE1EEEvT1_,"axG",@progbits,_ZN7rocprim17ROCPRIM_400000_NS6detail17trampoline_kernelINS0_14default_configENS1_20scan_config_selectorIdEEZZNS1_9scan_implILNS1_25lookback_scan_determinismE0ELb0ELb0ES3_N6thrust23THRUST_200600_302600_NS6detail15normal_iteratorINS9_10device_ptrIdEEEESE_dNS9_4plusIvEEdEEDaPvRmT3_T4_T5_mT6_P12ihipStream_tbENKUlT_T0_E_clISt17integral_constantIbLb0EESU_EEDaSP_SQ_EUlSP_E_NS1_11comp_targetILNS1_3genE4ELNS1_11target_archE910ELNS1_3gpuE8ELNS1_3repE0EEENS1_30default_config_static_selectorELNS0_4arch9wavefront6targetE1EEEvT1_,comdat
	.protected	_ZN7rocprim17ROCPRIM_400000_NS6detail17trampoline_kernelINS0_14default_configENS1_20scan_config_selectorIdEEZZNS1_9scan_implILNS1_25lookback_scan_determinismE0ELb0ELb0ES3_N6thrust23THRUST_200600_302600_NS6detail15normal_iteratorINS9_10device_ptrIdEEEESE_dNS9_4plusIvEEdEEDaPvRmT3_T4_T5_mT6_P12ihipStream_tbENKUlT_T0_E_clISt17integral_constantIbLb0EESU_EEDaSP_SQ_EUlSP_E_NS1_11comp_targetILNS1_3genE4ELNS1_11target_archE910ELNS1_3gpuE8ELNS1_3repE0EEENS1_30default_config_static_selectorELNS0_4arch9wavefront6targetE1EEEvT1_ ; -- Begin function _ZN7rocprim17ROCPRIM_400000_NS6detail17trampoline_kernelINS0_14default_configENS1_20scan_config_selectorIdEEZZNS1_9scan_implILNS1_25lookback_scan_determinismE0ELb0ELb0ES3_N6thrust23THRUST_200600_302600_NS6detail15normal_iteratorINS9_10device_ptrIdEEEESE_dNS9_4plusIvEEdEEDaPvRmT3_T4_T5_mT6_P12ihipStream_tbENKUlT_T0_E_clISt17integral_constantIbLb0EESU_EEDaSP_SQ_EUlSP_E_NS1_11comp_targetILNS1_3genE4ELNS1_11target_archE910ELNS1_3gpuE8ELNS1_3repE0EEENS1_30default_config_static_selectorELNS0_4arch9wavefront6targetE1EEEvT1_
	.globl	_ZN7rocprim17ROCPRIM_400000_NS6detail17trampoline_kernelINS0_14default_configENS1_20scan_config_selectorIdEEZZNS1_9scan_implILNS1_25lookback_scan_determinismE0ELb0ELb0ES3_N6thrust23THRUST_200600_302600_NS6detail15normal_iteratorINS9_10device_ptrIdEEEESE_dNS9_4plusIvEEdEEDaPvRmT3_T4_T5_mT6_P12ihipStream_tbENKUlT_T0_E_clISt17integral_constantIbLb0EESU_EEDaSP_SQ_EUlSP_E_NS1_11comp_targetILNS1_3genE4ELNS1_11target_archE910ELNS1_3gpuE8ELNS1_3repE0EEENS1_30default_config_static_selectorELNS0_4arch9wavefront6targetE1EEEvT1_
	.p2align	8
	.type	_ZN7rocprim17ROCPRIM_400000_NS6detail17trampoline_kernelINS0_14default_configENS1_20scan_config_selectorIdEEZZNS1_9scan_implILNS1_25lookback_scan_determinismE0ELb0ELb0ES3_N6thrust23THRUST_200600_302600_NS6detail15normal_iteratorINS9_10device_ptrIdEEEESE_dNS9_4plusIvEEdEEDaPvRmT3_T4_T5_mT6_P12ihipStream_tbENKUlT_T0_E_clISt17integral_constantIbLb0EESU_EEDaSP_SQ_EUlSP_E_NS1_11comp_targetILNS1_3genE4ELNS1_11target_archE910ELNS1_3gpuE8ELNS1_3repE0EEENS1_30default_config_static_selectorELNS0_4arch9wavefront6targetE1EEEvT1_,@function
_ZN7rocprim17ROCPRIM_400000_NS6detail17trampoline_kernelINS0_14default_configENS1_20scan_config_selectorIdEEZZNS1_9scan_implILNS1_25lookback_scan_determinismE0ELb0ELb0ES3_N6thrust23THRUST_200600_302600_NS6detail15normal_iteratorINS9_10device_ptrIdEEEESE_dNS9_4plusIvEEdEEDaPvRmT3_T4_T5_mT6_P12ihipStream_tbENKUlT_T0_E_clISt17integral_constantIbLb0EESU_EEDaSP_SQ_EUlSP_E_NS1_11comp_targetILNS1_3genE4ELNS1_11target_archE910ELNS1_3gpuE8ELNS1_3repE0EEENS1_30default_config_static_selectorELNS0_4arch9wavefront6targetE1EEEvT1_: ; @_ZN7rocprim17ROCPRIM_400000_NS6detail17trampoline_kernelINS0_14default_configENS1_20scan_config_selectorIdEEZZNS1_9scan_implILNS1_25lookback_scan_determinismE0ELb0ELb0ES3_N6thrust23THRUST_200600_302600_NS6detail15normal_iteratorINS9_10device_ptrIdEEEESE_dNS9_4plusIvEEdEEDaPvRmT3_T4_T5_mT6_P12ihipStream_tbENKUlT_T0_E_clISt17integral_constantIbLb0EESU_EEDaSP_SQ_EUlSP_E_NS1_11comp_targetILNS1_3genE4ELNS1_11target_archE910ELNS1_3gpuE8ELNS1_3repE0EEENS1_30default_config_static_selectorELNS0_4arch9wavefront6targetE1EEEvT1_
; %bb.0:
	s_load_dwordx8 s[12:19], s[4:5], 0x0
	s_load_dword s1, s[4:5], 0x38
	s_mul_i32 s0, s6, 0x500
	v_lshlrev_b32_e32 v48, 3, v0
	s_waitcnt lgkmcnt(0)
	s_lshl_b64 s[14:15], s[14:15], 3
	s_add_u32 s2, s12, s14
	s_addc_u32 s3, s13, s15
	s_add_i32 s7, s1, -1
	s_mul_i32 s8, s7, 0x500
	s_sub_u32 s26, s18, s8
	s_subb_u32 s27, s19, 0
	s_mov_b32 s1, 0
	s_cmp_lg_u32 s6, s7
	s_cselect_b64 s[18:19], -1, 0
	s_lshl_b64 s[20:21], s[0:1], 3
	s_add_u32 s2, s2, s20
	s_addc_u32 s3, s3, s21
	s_mov_b64 s[0:1], -1
	s_and_b64 vcc, exec, s[18:19]
	s_cbranch_vccz .LBB4144_2
; %bb.1:
	v_mov_b32_e32 v1, s3
	v_add_co_u32_e32 v2, vcc, s2, v48
	v_addc_co_u32_e32 v3, vcc, 0, v1, vcc
	v_add_co_u32_e32 v12, vcc, 0x1000, v2
	v_addc_co_u32_e32 v13, vcc, 0, v3, vcc
	flat_load_dwordx2 v[4:5], v[2:3]
	flat_load_dwordx2 v[6:7], v[2:3] offset:1024
	flat_load_dwordx2 v[8:9], v[2:3] offset:2048
	;; [unrolled: 1-line block ×3, first 2 shown]
	v_add_co_u32_e32 v2, vcc, 0x2000, v2
	v_addc_co_u32_e32 v3, vcc, 0, v3, vcc
	flat_load_dwordx2 v[14:15], v[12:13]
	flat_load_dwordx2 v[16:17], v[12:13] offset:1024
	flat_load_dwordx2 v[18:19], v[12:13] offset:2048
	;; [unrolled: 1-line block ×3, first 2 shown]
	s_nop 0
	flat_load_dwordx2 v[12:13], v[2:3]
	flat_load_dwordx2 v[22:23], v[2:3] offset:1024
	s_mov_b64 s[0:1], 0
	s_waitcnt vmcnt(0) lgkmcnt(0)
	ds_write2st64_b64 v48, v[4:5], v[6:7] offset1:2
	ds_write2st64_b64 v48, v[8:9], v[10:11] offset0:4 offset1:6
	ds_write2st64_b64 v48, v[14:15], v[16:17] offset0:8 offset1:10
	;; [unrolled: 1-line block ×4, first 2 shown]
	s_waitcnt lgkmcnt(0)
	s_barrier
.LBB4144_2:
	s_load_dwordx2 s[22:23], s[4:5], 0x30
	s_andn2_b64 vcc, exec, s[0:1]
	v_cmp_gt_u32_e64 s[0:1], s26, v0
	s_cbranch_vccnz .LBB4144_24
; %bb.3:
	v_pk_mov_b32 v[2:3], s[2:3], s[2:3] op_sel:[0,1]
	flat_load_dwordx2 v[2:3], v[2:3]
	s_waitcnt vmcnt(0) lgkmcnt(0)
	v_mov_b32_e32 v4, v2
	v_mov_b32_e32 v5, v3
	;; [unrolled: 1-line block ×16, first 2 shown]
	v_pk_mov_b32 v[34:35], v[30:31], v[30:31] op_sel:[0,1]
	v_pk_mov_b32 v[32:33], v[28:29], v[28:29] op_sel:[0,1]
	;; [unrolled: 1-line block ×16, first 2 shown]
	s_and_saveexec_b64 s[8:9], s[0:1]
	s_cbranch_execz .LBB4144_5
; %bb.4:
	v_mov_b32_e32 v1, s3
	v_add_co_u32_e32 v4, vcc, s2, v48
	v_addc_co_u32_e32 v5, vcc, 0, v1, vcc
	flat_load_dwordx2 v[36:37], v[4:5]
	v_mov_b32_e32 v4, v2
	v_mov_b32_e32 v5, v3
	;; [unrolled: 1-line block ×16, first 2 shown]
	v_pk_mov_b32 v[34:35], v[30:31], v[30:31] op_sel:[0,1]
	v_pk_mov_b32 v[32:33], v[28:29], v[28:29] op_sel:[0,1]
	;; [unrolled: 1-line block ×16, first 2 shown]
	s_waitcnt vmcnt(0) lgkmcnt(0)
	v_pk_mov_b32 v[2:3], v[36:37], v[36:37] op_sel:[0,1]
.LBB4144_5:
	s_or_b64 exec, exec, s[8:9]
	v_or_b32_e32 v1, 0x80, v0
	v_cmp_gt_u32_e32 vcc, s26, v1
	s_and_saveexec_b64 s[0:1], vcc
	s_cbranch_execz .LBB4144_7
; %bb.6:
	v_mov_b32_e32 v1, s3
	v_add_co_u32_e32 v4, vcc, s2, v48
	v_addc_co_u32_e32 v5, vcc, 0, v1, vcc
	flat_load_dwordx2 v[6:7], v[4:5] offset:1024
.LBB4144_7:
	s_or_b64 exec, exec, s[0:1]
	v_or_b32_e32 v1, 0x100, v0
	v_cmp_gt_u32_e32 vcc, s26, v1
	s_and_saveexec_b64 s[0:1], vcc
	s_cbranch_execz .LBB4144_9
; %bb.8:
	v_mov_b32_e32 v1, s3
	v_add_co_u32_e32 v4, vcc, s2, v48
	v_addc_co_u32_e32 v5, vcc, 0, v1, vcc
	flat_load_dwordx2 v[8:9], v[4:5] offset:2048
.LBB4144_9:
	s_or_b64 exec, exec, s[0:1]
	v_or_b32_e32 v1, 0x180, v0
	v_cmp_gt_u32_e32 vcc, s26, v1
	s_and_saveexec_b64 s[0:1], vcc
	s_cbranch_execz .LBB4144_11
; %bb.10:
	v_mov_b32_e32 v1, s3
	v_add_co_u32_e32 v4, vcc, s2, v48
	v_addc_co_u32_e32 v5, vcc, 0, v1, vcc
	flat_load_dwordx2 v[10:11], v[4:5] offset:3072
.LBB4144_11:
	s_or_b64 exec, exec, s[0:1]
	v_or_b32_e32 v1, 0x200, v0
	v_cmp_gt_u32_e32 vcc, s26, v1
	s_and_saveexec_b64 s[0:1], vcc
	s_cbranch_execz .LBB4144_13
; %bb.12:
	v_lshlrev_b32_e32 v1, 3, v1
	v_mov_b32_e32 v5, s3
	v_add_co_u32_e32 v4, vcc, s2, v1
	v_addc_co_u32_e32 v5, vcc, 0, v5, vcc
	flat_load_dwordx2 v[12:13], v[4:5]
.LBB4144_13:
	s_or_b64 exec, exec, s[0:1]
	v_or_b32_e32 v1, 0x280, v0
	v_cmp_gt_u32_e32 vcc, s26, v1
	s_and_saveexec_b64 s[0:1], vcc
	s_cbranch_execz .LBB4144_15
; %bb.14:
	v_lshlrev_b32_e32 v1, 3, v1
	v_mov_b32_e32 v5, s3
	v_add_co_u32_e32 v4, vcc, s2, v1
	v_addc_co_u32_e32 v5, vcc, 0, v5, vcc
	flat_load_dwordx2 v[14:15], v[4:5]
.LBB4144_15:
	;; [unrolled: 12-line block ×6, first 2 shown]
	s_or_b64 exec, exec, s[0:1]
	s_waitcnt vmcnt(0) lgkmcnt(0)
	ds_write2st64_b64 v48, v[2:3], v[6:7] offset1:2
	ds_write2st64_b64 v48, v[8:9], v[10:11] offset0:4 offset1:6
	ds_write2st64_b64 v48, v[12:13], v[14:15] offset0:8 offset1:10
	ds_write2st64_b64 v48, v[16:17], v[18:19] offset0:12 offset1:14
	ds_write2st64_b64 v48, v[20:21], v[22:23] offset0:16 offset1:18
	s_waitcnt lgkmcnt(0)
	s_barrier
.LBB4144_24:
	v_mul_u32_u24_e32 v49, 10, v0
	v_lshlrev_b32_e32 v50, 3, v49
	s_waitcnt lgkmcnt(0)
	ds_read_b128 v[2:5], v50
	ds_read_b128 v[14:17], v50 offset:16
	ds_read_b128 v[10:13], v50 offset:32
	;; [unrolled: 1-line block ×4, first 2 shown]
	s_cmp_lg_u32 s6, 0
	v_mbcnt_lo_u32_b32 v1, -1, 0
	s_waitcnt lgkmcnt(0)
	s_barrier
	s_cbranch_scc0 .LBB4144_53
; %bb.25:
	v_add_f64 v[22:23], v[2:3], v[4:5]
	v_add_f64 v[22:23], v[14:15], v[22:23]
	;; [unrolled: 1-line block ×9, first 2 shown]
	v_mbcnt_hi_u32_b32 v33, -1, v1
	v_and_b32_e32 v28, 15, v33
	v_mov_b32_dpp v24, v22 row_shr:1 row_mask:0xf bank_mask:0xf
	v_mov_b32_dpp v25, v23 row_shr:1 row_mask:0xf bank_mask:0xf
	v_add_f64 v[24:25], v[22:23], v[24:25]
	v_cmp_eq_u32_e32 vcc, 0, v28
	v_cndmask_b32_e32 v24, v24, v22, vcc
	v_cndmask_b32_e32 v25, v25, v23, vcc
	v_cmp_lt_u32_e32 vcc, 1, v28
	v_mov_b32_dpp v26, v24 row_shr:2 row_mask:0xf bank_mask:0xf
	v_mov_b32_dpp v27, v25 row_shr:2 row_mask:0xf bank_mask:0xf
	v_add_f64 v[26:27], v[24:25], v[26:27]
	v_cndmask_b32_e32 v24, v24, v26, vcc
	v_cndmask_b32_e32 v25, v25, v27, vcc
	v_cmp_lt_u32_e32 vcc, 3, v28
	v_mov_b32_dpp v26, v24 row_shr:4 row_mask:0xf bank_mask:0xf
	v_mov_b32_dpp v27, v25 row_shr:4 row_mask:0xf bank_mask:0xf
	v_add_f64 v[26:27], v[24:25], v[26:27]
	v_cndmask_b32_e32 v24, v24, v26, vcc
	v_cndmask_b32_e32 v25, v25, v27, vcc
	v_cmp_lt_u32_e32 vcc, 7, v28
	v_mov_b32_dpp v26, v24 row_shr:8 row_mask:0xf bank_mask:0xf
	v_mov_b32_dpp v27, v25 row_shr:8 row_mask:0xf bank_mask:0xf
	v_add_f64 v[26:27], v[24:25], v[26:27]
	v_cndmask_b32_e32 v24, v24, v26, vcc
	v_cndmask_b32_e32 v25, v25, v27, vcc
	v_and_b32_e32 v30, 16, v33
	v_mov_b32_dpp v26, v24 row_bcast:15 row_mask:0xf bank_mask:0xf
	v_mov_b32_dpp v27, v25 row_bcast:15 row_mask:0xf bank_mask:0xf
	v_add_f64 v[28:29], v[24:25], v[26:27]
	v_cmp_eq_u32_e32 vcc, 0, v30
	v_cndmask_b32_e32 v27, v29, v25, vcc
	v_cndmask_b32_e32 v26, v28, v24, vcc
	v_cmp_eq_u32_e64 s[0:1], 0, v33
	v_mov_b32_dpp v27, v27 row_bcast:31 row_mask:0xf bank_mask:0xf
	v_mov_b32_dpp v26, v26 row_bcast:31 row_mask:0xf bank_mask:0xf
	v_cmp_ne_u32_e64 s[2:3], 0, v33
	s_and_saveexec_b64 s[8:9], s[2:3]
; %bb.26:
	v_cndmask_b32_e32 v23, v29, v25, vcc
	v_cndmask_b32_e32 v22, v28, v24, vcc
	v_add_f64 v[24:25], v[22:23], v[26:27]
	v_cmp_lt_u32_e32 vcc, 31, v33
	v_cndmask_b32_e32 v23, v23, v25, vcc
	v_cndmask_b32_e32 v22, v22, v24, vcc
; %bb.27:
	s_or_b64 exec, exec, s[8:9]
	v_or_b32_e32 v25, 63, v0
	v_lshrrev_b32_e32 v24, 6, v0
	v_cmp_eq_u32_e32 vcc, v25, v0
	s_and_saveexec_b64 s[2:3], vcc
	s_cbranch_execz .LBB4144_29
; %bb.28:
	v_lshlrev_b32_e32 v25, 3, v24
	ds_write_b64 v25, v[22:23]
.LBB4144_29:
	s_or_b64 exec, exec, s[2:3]
	v_cmp_gt_u32_e32 vcc, 2, v0
	s_waitcnt lgkmcnt(0)
	s_barrier
	s_and_saveexec_b64 s[2:3], vcc
	s_cbranch_execz .LBB4144_31
; %bb.30:
	ds_read_b64 v[26:27], v48
	v_and_b32_e32 v25, 1, v33
	v_cmp_eq_u32_e32 vcc, 0, v25
	s_waitcnt lgkmcnt(0)
	v_mov_b32_dpp v28, v26 row_shr:1 row_mask:0xf bank_mask:0xf
	v_mov_b32_dpp v29, v27 row_shr:1 row_mask:0xf bank_mask:0xf
	v_add_f64 v[28:29], v[26:27], v[28:29]
	v_cndmask_b32_e32 v27, v29, v27, vcc
	v_cndmask_b32_e32 v26, v28, v26, vcc
	ds_write_b64 v48, v[26:27]
.LBB4144_31:
	s_or_b64 exec, exec, s[2:3]
	v_cmp_gt_u32_e32 vcc, 64, v0
	v_cmp_lt_u32_e64 s[2:3], 63, v0
	s_waitcnt lgkmcnt(0)
	s_barrier
	s_waitcnt lgkmcnt(0)
                                        ; implicit-def: $vgpr30_vgpr31
	s_and_saveexec_b64 s[8:9], s[2:3]
	s_cbranch_execz .LBB4144_33
; %bb.32:
	v_lshl_add_u32 v24, v24, 3, -8
	ds_read_b64 v[30:31], v24
	s_waitcnt lgkmcnt(0)
	v_add_f64 v[22:23], v[22:23], v[30:31]
.LBB4144_33:
	s_or_b64 exec, exec, s[8:9]
	v_add_u32_e32 v24, -1, v33
	v_and_b32_e32 v25, 64, v33
	v_cmp_lt_i32_e64 s[2:3], v24, v25
	v_cndmask_b32_e64 v24, v24, v33, s[2:3]
	v_lshlrev_b32_e32 v24, 2, v24
	ds_bpermute_b32 v38, v24, v22
	ds_bpermute_b32 v39, v24, v23
	s_and_saveexec_b64 s[24:25], vcc
	s_cbranch_execz .LBB4144_52
; %bb.34:
	v_mov_b32_e32 v25, 0
	ds_read_b64 v[22:23], v25 offset:8
	s_and_saveexec_b64 s[2:3], s[0:1]
	s_cbranch_execz .LBB4144_36
; %bb.35:
	s_add_i32 s8, s6, 64
	s_mov_b32 s9, 0
	s_lshl_b64 s[8:9], s[8:9], 4
	s_add_u32 s8, s22, s8
	s_addc_u32 s9, s23, s9
	v_mov_b32_e32 v24, 1
	v_pk_mov_b32 v[26:27], s[8:9], s[8:9] op_sel:[0,1]
	s_waitcnt lgkmcnt(0)
	;;#ASMSTART
	global_store_dwordx4 v[26:27], v[22:25] off	
s_waitcnt vmcnt(0)
	;;#ASMEND
.LBB4144_36:
	s_or_b64 exec, exec, s[2:3]
	v_xad_u32 v32, v33, -1, s6
	v_add_u32_e32 v24, 64, v32
	v_lshlrev_b64 v[26:27], 4, v[24:25]
	v_mov_b32_e32 v24, s23
	v_add_co_u32_e32 v34, vcc, s22, v26
	v_addc_co_u32_e32 v35, vcc, v24, v27, vcc
	;;#ASMSTART
	global_load_dwordx4 v[26:29], v[34:35] off glc	
s_waitcnt vmcnt(0)
	;;#ASMEND
	v_and_b32_e32 v24, 0xff, v27
	v_and_b32_e32 v29, 0xff00, v27
	v_or3_b32 v24, 0, v24, v29
	v_or3_b32 v26, v26, 0, 0
	v_and_b32_e32 v29, 0xff000000, v27
	v_and_b32_e32 v27, 0xff0000, v27
	v_or3_b32 v27, v24, v27, v29
	v_or3_b32 v26, v26, 0, 0
	v_cmp_eq_u16_sdwa s[8:9], v28, v25 src0_sel:BYTE_0 src1_sel:DWORD
	s_and_saveexec_b64 s[2:3], s[8:9]
	s_cbranch_execz .LBB4144_40
; %bb.37:
	s_mov_b64 s[8:9], 0
	v_mov_b32_e32 v24, 0
.LBB4144_38:                            ; =>This Inner Loop Header: Depth=1
	;;#ASMSTART
	global_load_dwordx4 v[26:29], v[34:35] off glc	
s_waitcnt vmcnt(0)
	;;#ASMEND
	v_cmp_ne_u16_sdwa s[10:11], v28, v24 src0_sel:BYTE_0 src1_sel:DWORD
	s_or_b64 s[8:9], s[10:11], s[8:9]
	s_andn2_b64 exec, exec, s[8:9]
	s_cbranch_execnz .LBB4144_38
; %bb.39:
	s_or_b64 exec, exec, s[8:9]
.LBB4144_40:
	s_or_b64 exec, exec, s[2:3]
	v_and_b32_e32 v41, 63, v33
	v_cmp_ne_u32_e32 vcc, 63, v41
	v_mov_b32_e32 v40, 2
	v_addc_co_u32_e32 v34, vcc, 0, v33, vcc
	v_cmp_eq_u16_sdwa s[2:3], v28, v40 src0_sel:BYTE_0 src1_sel:DWORD
	v_lshlrev_b64 v[24:25], v33, -1
	v_lshlrev_b32_e32 v42, 2, v34
	v_and_b32_e32 v29, s3, v25
	ds_bpermute_b32 v34, v42, v26
	ds_bpermute_b32 v35, v42, v27
	v_or_b32_e32 v29, 0x80000000, v29
	v_and_b32_e32 v36, s2, v24
	v_ffbl_b32_e32 v29, v29
	v_add_u32_e32 v29, 32, v29
	v_ffbl_b32_e32 v36, v36
	v_cmp_gt_u32_e64 s[2:3], 62, v41
	v_min_u32_e32 v29, v36, v29
	v_cndmask_b32_e64 v36, 0, 1, s[2:3]
	s_waitcnt lgkmcnt(0)
	v_add_f64 v[34:35], v[26:27], v[34:35]
	v_cmp_lt_u32_e32 vcc, v41, v29
	v_lshlrev_b32_e32 v36, 1, v36
	v_cndmask_b32_e32 v34, v26, v34, vcc
	v_cndmask_b32_e32 v35, v27, v35, vcc
	v_add_lshl_u32 v43, v36, v33, 2
	ds_bpermute_b32 v36, v43, v34
	ds_bpermute_b32 v37, v43, v35
	v_add_u32_e32 v44, 2, v41
	v_cmp_gt_u32_e64 s[2:3], v44, v29
	v_cmp_gt_u32_e64 s[8:9], 56, v41
	v_add_u32_e32 v46, 4, v41
	s_waitcnt lgkmcnt(0)
	v_add_f64 v[36:37], v[34:35], v[36:37]
	v_cndmask_b32_e64 v34, v36, v34, s[2:3]
	v_cndmask_b32_e64 v35, v37, v35, s[2:3]
	v_cmp_gt_u32_e64 s[2:3], 60, v41
	v_cndmask_b32_e64 v36, 0, 1, s[2:3]
	v_lshlrev_b32_e32 v36, 2, v36
	v_add_lshl_u32 v45, v36, v33, 2
	ds_bpermute_b32 v36, v45, v34
	ds_bpermute_b32 v37, v45, v35
	v_cndmask_b32_e64 v47, 0, 1, s[8:9]
	v_cmp_gt_u32_e64 s[2:3], v46, v29
	v_lshlrev_b32_e32 v47, 3, v47
	v_add_lshl_u32 v47, v47, v33, 2
	s_waitcnt lgkmcnt(0)
	v_add_f64 v[36:37], v[34:35], v[36:37]
	v_cndmask_b32_e64 v52, v36, v34, s[2:3]
	v_cndmask_b32_e64 v53, v37, v35, s[2:3]
	ds_bpermute_b32 v54, v47, v52
	ds_bpermute_b32 v55, v47, v53
	v_add_u32_e32 v51, 8, v41
	v_cmp_gt_u32_e64 s[8:9], v51, v29
	v_cmp_gt_u32_e64 s[10:11], 48, v41
	;; [unrolled: 1-line block ×3, first 2 shown]
	s_waitcnt lgkmcnt(0)
	v_add_f64 v[56:57], v[52:53], v[54:55]
	v_cndmask_b32_e64 v54, v56, v52, s[8:9]
	v_cndmask_b32_e64 v52, 0, 1, s[10:11]
	v_lshlrev_b32_e32 v52, 4, v52
	v_cndmask_b32_e64 v55, v57, v53, s[8:9]
	v_add_lshl_u32 v52, v52, v33, 2
	ds_bpermute_b32 v58, v52, v54
	ds_bpermute_b32 v59, v52, v55
	v_add_u32_e32 v53, 16, v41
	v_cmp_gt_u32_e64 s[10:11], v53, v29
	v_cndmask_b32_e32 v27, v27, v35, vcc
	v_cndmask_b32_e32 v26, v26, v34, vcc
	s_waitcnt lgkmcnt(0)
	v_add_f64 v[58:59], v[54:55], v[58:59]
	v_cndmask_b32_e64 v60, v58, v54, s[10:11]
	v_cndmask_b32_e64 v54, 0, 1, s[12:13]
	v_lshlrev_b32_e32 v54, 5, v54
	v_add_lshl_u32 v54, v54, v33, 2
	v_cndmask_b32_e64 v61, v59, v55, s[10:11]
	ds_bpermute_b32 v62, v54, v60
	ds_bpermute_b32 v63, v54, v61
	v_cndmask_b32_e64 v26, v36, v26, s[2:3]
	v_cndmask_b32_e64 v27, v37, v27, s[2:3]
	v_add_u32_e32 v55, 32, v41
	v_cndmask_b32_e64 v27, v57, v27, s[8:9]
	v_cndmask_b32_e64 v26, v56, v26, s[8:9]
	s_waitcnt lgkmcnt(0)
	v_add_f64 v[60:61], v[60:61], v[62:63]
	v_cndmask_b32_e64 v26, v58, v26, s[10:11]
	v_cndmask_b32_e64 v27, v59, v27, s[10:11]
	v_cmp_gt_u32_e32 vcc, v55, v29
	v_cndmask_b32_e32 v27, v61, v27, vcc
	v_cndmask_b32_e32 v26, v60, v26, vcc
	v_mov_b32_e32 v33, 0
	s_branch .LBB4144_42
.LBB4144_41:                            ;   in Loop: Header=BB4144_42 Depth=1
	s_or_b64 exec, exec, s[2:3]
	v_cmp_eq_u16_sdwa s[2:3], v28, v40 src0_sel:BYTE_0 src1_sel:DWORD
	v_and_b32_e32 v29, s3, v25
	ds_bpermute_b32 v36, v42, v26
	ds_bpermute_b32 v37, v42, v27
	v_or_b32_e32 v29, 0x80000000, v29
	v_and_b32_e32 v56, s2, v24
	v_ffbl_b32_e32 v29, v29
	v_add_u32_e32 v29, 32, v29
	v_ffbl_b32_e32 v56, v56
	v_min_u32_e32 v29, v56, v29
	s_waitcnt lgkmcnt(0)
	v_add_f64 v[36:37], v[26:27], v[36:37]
	v_cmp_lt_u32_e32 vcc, v41, v29
	v_cndmask_b32_e32 v36, v26, v36, vcc
	v_cndmask_b32_e32 v37, v27, v37, vcc
	ds_bpermute_b32 v56, v43, v36
	ds_bpermute_b32 v57, v43, v37
	v_cmp_gt_u32_e64 s[2:3], v44, v29
	v_cmp_gt_u32_e64 s[8:9], v51, v29
	;; [unrolled: 1-line block ×3, first 2 shown]
	v_subrev_u32_e32 v32, 64, v32
	s_waitcnt lgkmcnt(0)
	v_add_f64 v[56:57], v[36:37], v[56:57]
	v_cndmask_b32_e64 v36, v56, v36, s[2:3]
	v_cndmask_b32_e64 v37, v57, v37, s[2:3]
	ds_bpermute_b32 v56, v45, v36
	ds_bpermute_b32 v57, v45, v37
	v_cmp_gt_u32_e64 s[2:3], v46, v29
	v_cndmask_b32_e32 v27, v27, v37, vcc
	v_cndmask_b32_e32 v26, v26, v36, vcc
	v_cmp_gt_u32_e32 vcc, v55, v29
	s_waitcnt lgkmcnt(0)
	v_add_f64 v[56:57], v[36:37], v[56:57]
	v_cndmask_b32_e64 v58, v56, v36, s[2:3]
	v_cndmask_b32_e64 v59, v57, v37, s[2:3]
	ds_bpermute_b32 v60, v47, v58
	ds_bpermute_b32 v61, v47, v59
	v_cndmask_b32_e64 v26, v56, v26, s[2:3]
	v_cndmask_b32_e64 v27, v57, v27, s[2:3]
	s_waitcnt lgkmcnt(0)
	v_add_f64 v[60:61], v[58:59], v[60:61]
	v_cndmask_b32_e64 v58, v60, v58, s[8:9]
	v_cndmask_b32_e64 v59, v61, v59, s[8:9]
	ds_bpermute_b32 v62, v52, v58
	ds_bpermute_b32 v63, v52, v59
	v_cndmask_b32_e64 v27, v61, v27, s[8:9]
	v_cndmask_b32_e64 v26, v60, v26, s[8:9]
	;; [unrolled: 8-line block ×3, first 2 shown]
	s_waitcnt lgkmcnt(0)
	v_add_f64 v[58:59], v[58:59], v[64:65]
	v_cndmask_b32_e32 v27, v59, v27, vcc
	v_cndmask_b32_e32 v26, v58, v26, vcc
	v_add_f64 v[26:27], v[34:35], v[26:27]
.LBB4144_42:                            ; =>This Loop Header: Depth=1
                                        ;     Child Loop BB4144_45 Depth 2
	v_cmp_ne_u16_sdwa s[2:3], v28, v40 src0_sel:BYTE_0 src1_sel:DWORD
	v_cndmask_b32_e64 v28, 0, 1, s[2:3]
	;;#ASMSTART
	;;#ASMEND
	v_cmp_ne_u32_e32 vcc, 0, v28
	s_cmp_lg_u64 vcc, exec
	v_pk_mov_b32 v[34:35], v[26:27], v[26:27] op_sel:[0,1]
	s_cbranch_scc1 .LBB4144_47
; %bb.43:                               ;   in Loop: Header=BB4144_42 Depth=1
	v_lshlrev_b64 v[26:27], 4, v[32:33]
	v_mov_b32_e32 v28, s23
	v_add_co_u32_e32 v36, vcc, s22, v26
	v_addc_co_u32_e32 v37, vcc, v28, v27, vcc
	;;#ASMSTART
	global_load_dwordx4 v[26:29], v[36:37] off glc	
s_waitcnt vmcnt(0)
	;;#ASMEND
	v_and_b32_e32 v29, 0xff, v27
	v_and_b32_e32 v56, 0xff00, v27
	v_or3_b32 v29, 0, v29, v56
	v_or3_b32 v26, v26, 0, 0
	v_and_b32_e32 v56, 0xff000000, v27
	v_and_b32_e32 v27, 0xff0000, v27
	v_or3_b32 v27, v29, v27, v56
	v_or3_b32 v26, v26, 0, 0
	v_cmp_eq_u16_sdwa s[8:9], v28, v33 src0_sel:BYTE_0 src1_sel:DWORD
	s_and_saveexec_b64 s[2:3], s[8:9]
	s_cbranch_execz .LBB4144_41
; %bb.44:                               ;   in Loop: Header=BB4144_42 Depth=1
	s_mov_b64 s[8:9], 0
.LBB4144_45:                            ;   Parent Loop BB4144_42 Depth=1
                                        ; =>  This Inner Loop Header: Depth=2
	;;#ASMSTART
	global_load_dwordx4 v[26:29], v[36:37] off glc	
s_waitcnt vmcnt(0)
	;;#ASMEND
	v_cmp_ne_u16_sdwa s[10:11], v28, v33 src0_sel:BYTE_0 src1_sel:DWORD
	s_or_b64 s[8:9], s[10:11], s[8:9]
	s_andn2_b64 exec, exec, s[8:9]
	s_cbranch_execnz .LBB4144_45
; %bb.46:                               ;   in Loop: Header=BB4144_42 Depth=1
	s_or_b64 exec, exec, s[8:9]
	s_branch .LBB4144_41
.LBB4144_47:                            ;   in Loop: Header=BB4144_42 Depth=1
                                        ; implicit-def: $vgpr26_vgpr27
                                        ; implicit-def: $vgpr28
	s_cbranch_execz .LBB4144_42
; %bb.48:
	s_and_saveexec_b64 s[2:3], s[0:1]
	s_cbranch_execz .LBB4144_50
; %bb.49:
	s_add_i32 s6, s6, 64
	s_mov_b32 s7, 0
	s_lshl_b64 s[6:7], s[6:7], 4
	s_add_u32 s6, s22, s6
	s_addc_u32 s7, s23, s7
	v_add_f64 v[22:23], v[22:23], v[34:35]
	v_mov_b32_e32 v24, 2
	v_mov_b32_e32 v25, 0
	v_pk_mov_b32 v[26:27], s[6:7], s[6:7] op_sel:[0,1]
	;;#ASMSTART
	global_store_dwordx4 v[26:27], v[22:25] off	
s_waitcnt vmcnt(0)
	;;#ASMEND
.LBB4144_50:
	s_or_b64 exec, exec, s[2:3]
	v_cmp_eq_u32_e32 vcc, 0, v0
	s_and_b64 exec, exec, vcc
	s_cbranch_execz .LBB4144_52
; %bb.51:
	v_mov_b32_e32 v22, 0
	ds_write_b64 v22, v[34:35] offset:8
.LBB4144_52:
	s_or_b64 exec, exec, s[24:25]
	v_mov_b32_e32 v24, 0
	s_waitcnt lgkmcnt(0)
	s_barrier
	ds_read_b64 v[24:25], v24 offset:8
	v_cndmask_b32_e64 v23, v39, v31, s[0:1]
	v_cndmask_b32_e64 v22, v38, v30, s[0:1]
	v_add_f64 v[22:23], v[2:3], v[22:23]
	v_cmp_eq_u32_e32 vcc, 0, v0
	v_cndmask_b32_e32 v23, v23, v3, vcc
	v_cndmask_b32_e32 v22, v22, v2, vcc
	s_waitcnt lgkmcnt(0)
	v_add_f64 v[38:39], v[22:23], v[24:25]
	v_add_f64 v[40:41], v[4:5], v[38:39]
	;; [unrolled: 1-line block ×10, first 2 shown]
	s_load_dwordx8 s[4:11], s[4:5], 0x40
	s_branch .LBB4144_69
.LBB4144_53:
                                        ; implicit-def: $vgpr24_vgpr25
                                        ; implicit-def: $vgpr28_vgpr29
                                        ; implicit-def: $vgpr32_vgpr33
                                        ; implicit-def: $vgpr36_vgpr37
                                        ; implicit-def: $vgpr40_vgpr41
	s_load_dwordx8 s[4:11], s[4:5], 0x40
	s_cbranch_execz .LBB4144_69
; %bb.54:
	s_waitcnt lgkmcnt(0)
	s_cmp_lg_u64 s[8:9], 0
	s_cselect_b64 s[2:3], -1, 0
	v_cmp_eq_u32_e64 s[0:1], 0, v0
	v_cmp_ne_u32_e32 vcc, 0, v0
	s_and_b64 s[2:3], s[0:1], s[2:3]
	s_and_saveexec_b64 s[0:1], s[2:3]
	s_cbranch_execz .LBB4144_56
; %bb.55:
	v_mov_b32_e32 v22, 0
	global_load_dwordx2 v[22:23], v22, s[4:5]
	s_waitcnt vmcnt(0)
	v_add_f64 v[2:3], v[2:3], v[22:23]
.LBB4144_56:
	s_or_b64 exec, exec, s[0:1]
	v_add_f64 v[40:41], v[2:3], v[4:5]
	v_add_f64 v[34:35], v[14:15], v[40:41]
	;; [unrolled: 1-line block ×9, first 2 shown]
	v_mbcnt_hi_u32_b32 v1, -1, v1
	v_and_b32_e32 v44, 15, v1
	v_mov_b32_dpp v38, v24 row_shr:1 row_mask:0xf bank_mask:0xf
	v_mov_b32_dpp v39, v25 row_shr:1 row_mask:0xf bank_mask:0xf
	v_add_f64 v[38:39], v[24:25], v[38:39]
	v_cmp_eq_u32_e64 s[0:1], 0, v44
	v_cndmask_b32_e64 v38, v38, v24, s[0:1]
	v_cndmask_b32_e64 v39, v39, v25, s[0:1]
	v_cmp_lt_u32_e64 s[0:1], 1, v44
	v_mov_b32_dpp v42, v38 row_shr:2 row_mask:0xf bank_mask:0xf
	v_mov_b32_dpp v43, v39 row_shr:2 row_mask:0xf bank_mask:0xf
	v_add_f64 v[42:43], v[38:39], v[42:43]
	v_cndmask_b32_e64 v38, v38, v42, s[0:1]
	v_cndmask_b32_e64 v39, v39, v43, s[0:1]
	v_cmp_lt_u32_e64 s[0:1], 3, v44
	v_mov_b32_dpp v42, v38 row_shr:4 row_mask:0xf bank_mask:0xf
	v_mov_b32_dpp v43, v39 row_shr:4 row_mask:0xf bank_mask:0xf
	v_add_f64 v[42:43], v[38:39], v[42:43]
	;; [unrolled: 6-line block ×3, first 2 shown]
	v_cndmask_b32_e64 v42, v38, v42, s[0:1]
	v_cndmask_b32_e64 v43, v39, v43, s[0:1]
	v_and_b32_e32 v44, 16, v1
	v_mov_b32_dpp v38, v42 row_bcast:15 row_mask:0xf bank_mask:0xf
	v_mov_b32_dpp v39, v43 row_bcast:15 row_mask:0xf bank_mask:0xf
	v_add_f64 v[46:47], v[42:43], v[38:39]
	v_cmp_eq_u32_e64 s[2:3], 0, v44
	v_cndmask_b32_e64 v38, v47, v43, s[2:3]
	v_cndmask_b32_e64 v39, v46, v42, s[2:3]
	v_cmp_eq_u32_e64 s[0:1], 0, v1
	v_mov_b32_dpp v45, v38 row_bcast:31 row_mask:0xf bank_mask:0xf
	v_mov_b32_dpp v44, v39 row_bcast:31 row_mask:0xf bank_mask:0xf
	v_cmp_ne_u32_e64 s[4:5], 0, v1
	v_pk_mov_b32 v[38:39], v[24:25], v[24:25] op_sel:[0,1]
	s_and_saveexec_b64 s[8:9], s[4:5]
; %bb.57:
	v_cndmask_b32_e64 v39, v47, v43, s[2:3]
	v_cndmask_b32_e64 v38, v46, v42, s[2:3]
	v_add_f64 v[42:43], v[38:39], v[44:45]
	v_cmp_lt_u32_e64 s[2:3], 31, v1
	v_cndmask_b32_e64 v39, v39, v43, s[2:3]
	v_cndmask_b32_e64 v38, v38, v42, s[2:3]
; %bb.58:
	s_or_b64 exec, exec, s[8:9]
	v_or_b32_e32 v42, 63, v0
	v_lshrrev_b32_e32 v44, 6, v0
	v_cmp_eq_u32_e64 s[2:3], v42, v0
	s_and_saveexec_b64 s[4:5], s[2:3]
	s_cbranch_execz .LBB4144_60
; %bb.59:
	v_lshlrev_b32_e32 v42, 3, v44
	ds_write_b64 v42, v[38:39]
.LBB4144_60:
	s_or_b64 exec, exec, s[4:5]
	v_cmp_gt_u32_e64 s[2:3], 2, v0
	s_waitcnt lgkmcnt(0)
	s_barrier
	s_and_saveexec_b64 s[4:5], s[2:3]
	s_cbranch_execz .LBB4144_62
; %bb.61:
	s_movk_i32 s2, 0xffb8
	v_mad_i32_i24 v45, v0, s2, v50
	ds_read_b64 v[42:43], v45
	v_and_b32_e32 v51, 1, v1
	v_cmp_eq_u32_e64 s[2:3], 0, v51
	s_waitcnt lgkmcnt(0)
	v_mov_b32_dpp v46, v42 row_shr:1 row_mask:0xf bank_mask:0xf
	v_mov_b32_dpp v47, v43 row_shr:1 row_mask:0xf bank_mask:0xf
	v_add_f64 v[46:47], v[42:43], v[46:47]
	v_cndmask_b32_e64 v43, v47, v43, s[2:3]
	v_cndmask_b32_e64 v42, v46, v42, s[2:3]
	ds_write_b64 v45, v[42:43]
.LBB4144_62:
	s_or_b64 exec, exec, s[4:5]
	v_cmp_lt_u32_e64 s[2:3], 63, v0
	s_waitcnt lgkmcnt(0)
	s_barrier
	s_waitcnt lgkmcnt(0)
                                        ; implicit-def: $vgpr42_vgpr43
	s_and_saveexec_b64 s[4:5], s[2:3]
	s_cbranch_execz .LBB4144_64
; %bb.63:
	v_lshl_add_u32 v42, v44, 3, -8
	ds_read_b64 v[42:43], v42
	s_waitcnt lgkmcnt(0)
	v_add_f64 v[38:39], v[38:39], v[42:43]
.LBB4144_64:
	s_or_b64 exec, exec, s[4:5]
	v_add_u32_e32 v44, -1, v1
	v_and_b32_e32 v45, 64, v1
	v_cmp_lt_i32_e64 s[2:3], v44, v45
	v_cndmask_b32_e64 v1, v44, v1, s[2:3]
	v_lshlrev_b32_e32 v44, 2, v1
	ds_bpermute_b32 v1, v44, v38
	ds_bpermute_b32 v38, v44, v39
	s_and_saveexec_b64 s[2:3], vcc
	s_cbranch_execz .LBB4144_66
; %bb.65:
	s_waitcnt lgkmcnt(0)
	v_cndmask_b32_e64 v23, v38, v43, s[0:1]
	v_cndmask_b32_e64 v22, v1, v42, s[0:1]
	v_add_f64 v[2:3], v[2:3], v[22:23]
	v_add_f64 v[40:41], v[4:5], v[2:3]
	;; [unrolled: 1-line block ×10, first 2 shown]
	;;#ASMSTART
	;;#ASMEND
.LBB4144_66:
	s_or_b64 exec, exec, s[2:3]
	s_movk_i32 s0, 0x7f
	v_cmp_eq_u32_e32 vcc, s0, v0
	s_and_saveexec_b64 s[0:1], vcc
	s_cbranch_execz .LBB4144_68
; %bb.67:
	s_add_u32 s2, s22, 0x400
	s_addc_u32 s3, s23, 0
	v_mov_b32_e32 v6, 2
	v_mov_b32_e32 v7, 0
	;; [unrolled: 1-line block ×4, first 2 shown]
	v_pk_mov_b32 v[8:9], s[2:3], s[2:3] op_sel:[0,1]
	;;#ASMSTART
	global_store_dwordx4 v[8:9], v[4:7] off	
s_waitcnt vmcnt(0)
	;;#ASMEND
.LBB4144_68:
	s_or_b64 exec, exec, s[0:1]
	s_waitcnt lgkmcnt(0)
	v_pk_mov_b32 v[38:39], v[2:3], v[2:3] op_sel:[0,1]
.LBB4144_69:
	s_add_u32 s0, s16, s14
	s_addc_u32 s1, s17, s15
	s_add_u32 s2, s0, s20
	s_addc_u32 s3, s1, s21
	s_mov_b64 s[0:1], -1
	s_and_b64 vcc, exec, s[18:19]
	s_waitcnt lgkmcnt(0)
	s_barrier
	s_cbranch_vccz .LBB4144_71
; %bb.70:
	ds_write_b128 v50, v[38:41]
	ds_write_b128 v50, v[34:37] offset:16
	ds_write_b128 v50, v[30:33] offset:32
	;; [unrolled: 1-line block ×4, first 2 shown]
	s_waitcnt lgkmcnt(0)
	s_barrier
	ds_read2st64_b64 v[2:5], v48 offset1:2
	ds_read2st64_b64 v[6:9], v48 offset0:4 offset1:6
	ds_read2st64_b64 v[10:13], v48 offset0:8 offset1:10
	;; [unrolled: 1-line block ×4, first 2 shown]
	v_mov_b32_e32 v1, s3
	v_add_co_u32_e32 v42, vcc, s2, v48
	v_addc_co_u32_e32 v43, vcc, 0, v1, vcc
	s_movk_i32 s0, 0x1000
	s_waitcnt lgkmcnt(4)
	flat_store_dwordx2 v[42:43], v[2:3]
	flat_store_dwordx2 v[42:43], v[4:5] offset:1024
	s_waitcnt lgkmcnt(0)
	flat_store_dwordx2 v[42:43], v[6:7] offset:2048
	flat_store_dwordx2 v[42:43], v[8:9] offset:3072
	v_add_co_u32_e32 v2, vcc, s0, v42
	v_addc_co_u32_e32 v3, vcc, 0, v43, vcc
	flat_store_dwordx2 v[2:3], v[10:11]
	flat_store_dwordx2 v[2:3], v[12:13] offset:1024
	flat_store_dwordx2 v[2:3], v[14:15] offset:2048
	;; [unrolled: 1-line block ×3, first 2 shown]
	v_add_co_u32_e32 v2, vcc, 0x2000, v42
	v_addc_co_u32_e32 v3, vcc, 0, v43, vcc
	flat_store_dwordx2 v[2:3], v[18:19]
	flat_store_dwordx2 v[2:3], v[20:21] offset:1024
	s_mov_b64 s[0:1], 0
.LBB4144_71:
	s_andn2_b64 vcc, exec, s[0:1]
	s_cbranch_vccnz .LBB4144_127
; %bb.72:
	s_movk_i32 s0, 0xffb8
	v_mad_i32_i24 v18, v0, s0, v50
	ds_write_b128 v50, v[38:41]
	ds_write_b128 v50, v[34:37] offset:16
	ds_write_b128 v50, v[30:33] offset:32
	;; [unrolled: 1-line block ×4, first 2 shown]
	s_waitcnt lgkmcnt(0)
	s_barrier
	ds_read2st64_b64 v[2:5], v18 offset1:2
	ds_read2st64_b64 v[10:13], v18 offset0:4 offset1:6
	ds_read2st64_b64 v[6:9], v18 offset0:8 offset1:10
	;; [unrolled: 1-line block ×4, first 2 shown]
	v_mov_b32_e32 v23, s3
	v_add_co_u32_e32 v22, vcc, s2, v48
	v_addc_co_u32_e32 v23, vcc, 0, v23, vcc
	v_mov_b32_e32 v1, 0
	v_cmp_gt_u32_e32 vcc, s26, v0
	s_and_saveexec_b64 s[0:1], vcc
	s_cbranch_execz .LBB4144_74
; %bb.73:
	s_waitcnt lgkmcnt(0)
	flat_store_dwordx2 v[22:23], v[2:3]
.LBB4144_74:
	s_or_b64 exec, exec, s[0:1]
	v_or_b32_e32 v24, 0x80, v0
	v_cmp_gt_u32_e32 vcc, s26, v24
	s_and_saveexec_b64 s[0:1], vcc
	s_cbranch_execz .LBB4144_76
; %bb.75:
	s_waitcnt lgkmcnt(0)
	flat_store_dwordx2 v[22:23], v[4:5] offset:1024
.LBB4144_76:
	s_or_b64 exec, exec, s[0:1]
	v_or_b32_e32 v24, 0x100, v0
	v_cmp_gt_u32_e32 vcc, s26, v24
	s_and_saveexec_b64 s[0:1], vcc
	s_cbranch_execz .LBB4144_78
; %bb.77:
	s_waitcnt lgkmcnt(0)
	flat_store_dwordx2 v[22:23], v[10:11] offset:2048
.LBB4144_78:
	s_or_b64 exec, exec, s[0:1]
	v_or_b32_e32 v24, 0x180, v0
	v_cmp_gt_u32_e32 vcc, s26, v24
	s_and_saveexec_b64 s[0:1], vcc
	s_cbranch_execz .LBB4144_80
; %bb.79:
	s_waitcnt lgkmcnt(0)
	flat_store_dwordx2 v[22:23], v[12:13] offset:3072
.LBB4144_80:
	s_or_b64 exec, exec, s[0:1]
	v_or_b32_e32 v24, 0x200, v0
	v_cmp_gt_u32_e32 vcc, s26, v24
	s_and_saveexec_b64 s[0:1], vcc
	s_cbranch_execz .LBB4144_82
; %bb.81:
	v_add_co_u32_e32 v24, vcc, 0x1000, v22
	v_addc_co_u32_e32 v25, vcc, 0, v23, vcc
	s_waitcnt lgkmcnt(0)
	flat_store_dwordx2 v[24:25], v[6:7]
.LBB4144_82:
	s_or_b64 exec, exec, s[0:1]
	v_or_b32_e32 v24, 0x280, v0
	v_cmp_gt_u32_e32 vcc, s26, v24
	s_and_saveexec_b64 s[0:1], vcc
	s_cbranch_execz .LBB4144_84
; %bb.83:
	v_add_co_u32_e32 v24, vcc, 0x1000, v22
	v_addc_co_u32_e32 v25, vcc, 0, v23, vcc
	s_waitcnt lgkmcnt(0)
	flat_store_dwordx2 v[24:25], v[8:9] offset:1024
.LBB4144_84:
	s_or_b64 exec, exec, s[0:1]
	v_or_b32_e32 v24, 0x300, v0
	v_cmp_gt_u32_e32 vcc, s26, v24
	s_and_saveexec_b64 s[0:1], vcc
	s_cbranch_execz .LBB4144_86
; %bb.85:
	v_add_co_u32_e32 v24, vcc, 0x1000, v22
	v_addc_co_u32_e32 v25, vcc, 0, v23, vcc
	s_waitcnt lgkmcnt(0)
	flat_store_dwordx2 v[24:25], v[14:15] offset:2048
.LBB4144_86:
	;; [unrolled: 11-line block ×3, first 2 shown]
	s_or_b64 exec, exec, s[0:1]
	v_or_b32_e32 v24, 0x400, v0
	v_cmp_gt_u32_e32 vcc, s26, v24
	s_and_saveexec_b64 s[0:1], vcc
	s_cbranch_execz .LBB4144_90
; %bb.89:
	v_add_co_u32_e32 v24, vcc, 0x2000, v22
	v_addc_co_u32_e32 v25, vcc, 0, v23, vcc
	s_waitcnt lgkmcnt(0)
	flat_store_dwordx2 v[24:25], v[18:19]
.LBB4144_90:
	s_or_b64 exec, exec, s[0:1]
	v_or_b32_e32 v24, 0x480, v0
	v_cmp_gt_u32_e32 vcc, s26, v24
	s_and_saveexec_b64 s[0:1], vcc
	s_cbranch_execz .LBB4144_92
; %bb.91:
	v_add_co_u32_e32 v22, vcc, 0x2000, v22
	v_addc_co_u32_e32 v23, vcc, 0, v23, vcc
	s_waitcnt lgkmcnt(0)
	flat_store_dwordx2 v[22:23], v[20:21] offset:1024
.LBB4144_92:
	s_or_b64 exec, exec, s[0:1]
	v_cmp_lt_u64_e64 s[0:1], s[10:11], 2
	s_and_b64 vcc, exec, s[0:1]
	s_cbranch_vccnz .LBB4144_127
; %bb.93:
	s_add_u32 s0, s26, -1
	s_addc_u32 s1, s27, -1
	s_add_u32 s2, 0, 0x99986000
	s_addc_u32 s3, 0, 0x59
	s_add_i32 s3, s3, 0x19999940
	s_mul_hi_u32 s9, s2, -10
	s_sub_i32 s9, s9, s2
	s_mul_i32 s10, s3, -10
	s_mul_i32 s4, s2, -10
	s_add_i32 s9, s9, s10
	s_mul_hi_u32 s5, s3, s4
	s_mul_i32 s8, s3, s4
	s_mul_i32 s11, s2, s9
	s_mul_hi_u32 s4, s2, s4
	s_mul_hi_u32 s10, s2, s9
	s_add_u32 s4, s4, s11
	s_addc_u32 s10, 0, s10
	s_add_u32 s4, s4, s8
	s_mul_hi_u32 s11, s3, s9
	s_addc_u32 s4, s10, s5
	s_addc_u32 s5, s11, 0
	s_mul_i32 s8, s3, s9
	s_add_u32 s4, s4, s8
	v_mov_b32_e32 v22, s4
	s_addc_u32 s5, 0, s5
	v_add_co_u32_e32 v22, vcc, s2, v22
	s_cmp_lg_u64 vcc, 0
	s_addc_u32 s2, s3, s5
	v_readfirstlane_b32 s5, v22
	s_mul_i32 s4, s0, s2
	s_mul_hi_u32 s8, s0, s5
	s_mul_hi_u32 s3, s0, s2
	s_add_u32 s4, s8, s4
	s_addc_u32 s3, 0, s3
	s_mul_hi_u32 s9, s1, s5
	s_mul_i32 s5, s1, s5
	s_add_u32 s4, s4, s5
	s_mul_hi_u32 s8, s1, s2
	s_addc_u32 s3, s3, s9
	s_addc_u32 s4, s8, 0
	s_mul_i32 s2, s1, s2
	s_add_u32 s2, s3, s2
	s_addc_u32 s3, 0, s4
	s_add_u32 s4, s2, 1
	s_addc_u32 s5, s3, 0
	s_add_u32 s8, s2, 2
	s_mul_i32 s10, s3, 10
	s_mul_hi_u32 s11, s2, 10
	s_addc_u32 s9, s3, 0
	s_add_i32 s11, s11, s10
	s_mul_i32 s10, s2, 10
	v_mov_b32_e32 v22, s10
	v_sub_co_u32_e32 v22, vcc, s0, v22
	s_cmp_lg_u64 vcc, 0
	s_subb_u32 s10, s1, s11
	v_subrev_co_u32_e32 v23, vcc, 10, v22
	s_cmp_lg_u64 vcc, 0
	s_subb_u32 s11, s10, 0
	v_readfirstlane_b32 s12, v23
	s_cmp_gt_u32 s12, 9
	s_cselect_b32 s12, -1, 0
	s_cmp_eq_u32 s11, 0
	s_cselect_b32 s11, s12, -1
	s_cmp_lg_u32 s11, 0
	s_cselect_b32 s4, s8, s4
	v_readfirstlane_b32 s8, v22
	s_cselect_b32 s5, s9, s5
	s_cmp_gt_u32 s8, 9
	s_cselect_b32 s8, -1, 0
	s_cmp_eq_u32 s10, 0
	s_cselect_b32 s8, s8, -1
	s_cmp_lg_u32 s8, 0
	s_cselect_b32 s3, s5, s3
	s_cselect_b32 s2, s4, s2
	v_cmp_eq_u64_e32 vcc, s[2:3], v[0:1]
	s_and_saveexec_b64 s[2:3], vcc
	s_cbranch_execz .LBB4144_127
; %bb.94:
	v_mul_hi_u32_u24_e32 v1, 10, v0
	v_mov_b32_e32 v22, s1
	v_sub_co_u32_e32 v0, vcc, s0, v49
	v_subb_co_u32_e32 v1, vcc, v22, v1, vcc
	v_cmp_lt_i64_e32 vcc, 4, v[0:1]
	s_and_saveexec_b64 s[0:1], vcc
	s_xor_b64 s[0:1], exec, s[0:1]
	s_cbranch_execz .LBB4144_112
; %bb.95:
	v_cmp_lt_i64_e32 vcc, 6, v[0:1]
	s_and_saveexec_b64 s[2:3], vcc
	s_xor_b64 s[2:3], exec, s[2:3]
	s_cbranch_execz .LBB4144_105
; %bb.96:
	;; [unrolled: 5-line block ×4, first 2 shown]
	v_mov_b32_e32 v0, 0
	s_waitcnt lgkmcnt(0)
	global_store_dwordx2 v0, v[20:21], s[6:7]
                                        ; implicit-def: $vgpr18_vgpr19_vgpr20_vgpr21
.LBB4144_99:
	s_andn2_saveexec_b64 s[8:9], s[8:9]
	s_cbranch_execz .LBB4144_101
; %bb.100:
	v_mov_b32_e32 v0, 0
	s_waitcnt lgkmcnt(0)
	global_store_dwordx2 v0, v[18:19], s[6:7]
.LBB4144_101:
	s_or_b64 exec, exec, s[8:9]
                                        ; implicit-def: $vgpr14_vgpr15_vgpr16_vgpr17
.LBB4144_102:
	s_andn2_saveexec_b64 s[4:5], s[4:5]
	s_cbranch_execz .LBB4144_104
; %bb.103:
	v_mov_b32_e32 v0, 0
	s_waitcnt lgkmcnt(0)
	global_store_dwordx2 v0, v[16:17], s[6:7]
.LBB4144_104:
	s_or_b64 exec, exec, s[4:5]
                                        ; implicit-def: $vgpr6_vgpr7_vgpr8_vgpr9
                                        ; implicit-def: $vgpr0_vgpr1
                                        ; implicit-def: $vgpr14_vgpr15_vgpr16_vgpr17
.LBB4144_105:
	s_andn2_saveexec_b64 s[2:3], s[2:3]
	s_cbranch_execz .LBB4144_111
; %bb.106:
	v_cmp_lt_i64_e32 vcc, 5, v[0:1]
	s_and_saveexec_b64 s[4:5], vcc
	s_xor_b64 s[4:5], exec, s[4:5]
	s_cbranch_execz .LBB4144_108
; %bb.107:
	v_mov_b32_e32 v0, 0
	s_waitcnt lgkmcnt(0)
	global_store_dwordx2 v0, v[14:15], s[6:7]
                                        ; implicit-def: $vgpr6_vgpr7_vgpr8_vgpr9
.LBB4144_108:
	s_andn2_saveexec_b64 s[4:5], s[4:5]
	s_cbranch_execz .LBB4144_110
; %bb.109:
	v_mov_b32_e32 v0, 0
	s_waitcnt lgkmcnt(0)
	global_store_dwordx2 v0, v[8:9], s[6:7]
.LBB4144_110:
	s_or_b64 exec, exec, s[4:5]
.LBB4144_111:
	s_or_b64 exec, exec, s[2:3]
                                        ; implicit-def: $vgpr0_vgpr1
                                        ; implicit-def: $vgpr10_vgpr11_vgpr12_vgpr13
                                        ; implicit-def: $vgpr2_vgpr3_vgpr4_vgpr5
                                        ; implicit-def: $vgpr6_vgpr7_vgpr8_vgpr9
.LBB4144_112:
	s_andn2_saveexec_b64 s[0:1], s[0:1]
	s_cbranch_execz .LBB4144_127
; %bb.113:
	v_cmp_lt_i64_e32 vcc, 2, v[0:1]
	s_and_saveexec_b64 s[0:1], vcc
	s_xor_b64 s[0:1], exec, s[0:1]
	s_cbranch_execz .LBB4144_119
; %bb.114:
	v_cmp_lt_i64_e32 vcc, 3, v[0:1]
	s_and_saveexec_b64 s[2:3], vcc
	s_xor_b64 s[2:3], exec, s[2:3]
	s_cbranch_execz .LBB4144_116
; %bb.115:
	v_mov_b32_e32 v0, 0
	s_waitcnt lgkmcnt(0)
	global_store_dwordx2 v0, v[6:7], s[6:7]
                                        ; implicit-def: $vgpr10_vgpr11_vgpr12_vgpr13
.LBB4144_116:
	s_andn2_saveexec_b64 s[2:3], s[2:3]
	s_cbranch_execz .LBB4144_118
; %bb.117:
	v_mov_b32_e32 v0, 0
	s_waitcnt lgkmcnt(0)
	global_store_dwordx2 v0, v[12:13], s[6:7]
.LBB4144_118:
	s_or_b64 exec, exec, s[2:3]
                                        ; implicit-def: $vgpr0_vgpr1
                                        ; implicit-def: $vgpr10_vgpr11_vgpr12_vgpr13
                                        ; implicit-def: $vgpr2_vgpr3_vgpr4_vgpr5
.LBB4144_119:
	s_andn2_saveexec_b64 s[0:1], s[0:1]
	s_cbranch_execz .LBB4144_127
; %bb.120:
	v_cmp_lt_i64_e32 vcc, 1, v[0:1]
	s_and_saveexec_b64 s[0:1], vcc
	s_xor_b64 s[0:1], exec, s[0:1]
	s_cbranch_execz .LBB4144_122
; %bb.121:
	v_mov_b32_e32 v0, 0
	s_waitcnt lgkmcnt(0)
	global_store_dwordx2 v0, v[10:11], s[6:7]
                                        ; implicit-def: $vgpr2_vgpr3_vgpr4_vgpr5
                                        ; implicit-def: $vgpr0_vgpr1
.LBB4144_122:
	s_andn2_saveexec_b64 s[0:1], s[0:1]
	s_cbranch_execz .LBB4144_127
; %bb.123:
	v_cmp_ne_u64_e32 vcc, 1, v[0:1]
	s_and_saveexec_b64 s[0:1], vcc
	s_xor_b64 s[0:1], exec, s[0:1]
	s_cbranch_execz .LBB4144_125
; %bb.124:
	v_mov_b32_e32 v0, 0
	s_waitcnt lgkmcnt(0)
	global_store_dwordx2 v0, v[2:3], s[6:7]
                                        ; implicit-def: $vgpr2_vgpr3_vgpr4_vgpr5
.LBB4144_125:
	s_andn2_saveexec_b64 s[0:1], s[0:1]
	s_cbranch_execz .LBB4144_127
; %bb.126:
	v_mov_b32_e32 v0, 0
	s_waitcnt lgkmcnt(0)
	global_store_dwordx2 v0, v[4:5], s[6:7]
.LBB4144_127:
	s_endpgm
	.section	.rodata,"a",@progbits
	.p2align	6, 0x0
	.amdhsa_kernel _ZN7rocprim17ROCPRIM_400000_NS6detail17trampoline_kernelINS0_14default_configENS1_20scan_config_selectorIdEEZZNS1_9scan_implILNS1_25lookback_scan_determinismE0ELb0ELb0ES3_N6thrust23THRUST_200600_302600_NS6detail15normal_iteratorINS9_10device_ptrIdEEEESE_dNS9_4plusIvEEdEEDaPvRmT3_T4_T5_mT6_P12ihipStream_tbENKUlT_T0_E_clISt17integral_constantIbLb0EESU_EEDaSP_SQ_EUlSP_E_NS1_11comp_targetILNS1_3genE4ELNS1_11target_archE910ELNS1_3gpuE8ELNS1_3repE0EEENS1_30default_config_static_selectorELNS0_4arch9wavefront6targetE1EEEvT1_
		.amdhsa_group_segment_fixed_size 10240
		.amdhsa_private_segment_fixed_size 0
		.amdhsa_kernarg_size 104
		.amdhsa_user_sgpr_count 6
		.amdhsa_user_sgpr_private_segment_buffer 1
		.amdhsa_user_sgpr_dispatch_ptr 0
		.amdhsa_user_sgpr_queue_ptr 0
		.amdhsa_user_sgpr_kernarg_segment_ptr 1
		.amdhsa_user_sgpr_dispatch_id 0
		.amdhsa_user_sgpr_flat_scratch_init 0
		.amdhsa_user_sgpr_kernarg_preload_length 0
		.amdhsa_user_sgpr_kernarg_preload_offset 0
		.amdhsa_user_sgpr_private_segment_size 0
		.amdhsa_uses_dynamic_stack 0
		.amdhsa_system_sgpr_private_segment_wavefront_offset 0
		.amdhsa_system_sgpr_workgroup_id_x 1
		.amdhsa_system_sgpr_workgroup_id_y 0
		.amdhsa_system_sgpr_workgroup_id_z 0
		.amdhsa_system_sgpr_workgroup_info 0
		.amdhsa_system_vgpr_workitem_id 0
		.amdhsa_next_free_vgpr 66
		.amdhsa_next_free_sgpr 28
		.amdhsa_accum_offset 68
		.amdhsa_reserve_vcc 1
		.amdhsa_reserve_flat_scratch 0
		.amdhsa_float_round_mode_32 0
		.amdhsa_float_round_mode_16_64 0
		.amdhsa_float_denorm_mode_32 3
		.amdhsa_float_denorm_mode_16_64 3
		.amdhsa_dx10_clamp 1
		.amdhsa_ieee_mode 1
		.amdhsa_fp16_overflow 0
		.amdhsa_tg_split 0
		.amdhsa_exception_fp_ieee_invalid_op 0
		.amdhsa_exception_fp_denorm_src 0
		.amdhsa_exception_fp_ieee_div_zero 0
		.amdhsa_exception_fp_ieee_overflow 0
		.amdhsa_exception_fp_ieee_underflow 0
		.amdhsa_exception_fp_ieee_inexact 0
		.amdhsa_exception_int_div_zero 0
	.end_amdhsa_kernel
	.section	.text._ZN7rocprim17ROCPRIM_400000_NS6detail17trampoline_kernelINS0_14default_configENS1_20scan_config_selectorIdEEZZNS1_9scan_implILNS1_25lookback_scan_determinismE0ELb0ELb0ES3_N6thrust23THRUST_200600_302600_NS6detail15normal_iteratorINS9_10device_ptrIdEEEESE_dNS9_4plusIvEEdEEDaPvRmT3_T4_T5_mT6_P12ihipStream_tbENKUlT_T0_E_clISt17integral_constantIbLb0EESU_EEDaSP_SQ_EUlSP_E_NS1_11comp_targetILNS1_3genE4ELNS1_11target_archE910ELNS1_3gpuE8ELNS1_3repE0EEENS1_30default_config_static_selectorELNS0_4arch9wavefront6targetE1EEEvT1_,"axG",@progbits,_ZN7rocprim17ROCPRIM_400000_NS6detail17trampoline_kernelINS0_14default_configENS1_20scan_config_selectorIdEEZZNS1_9scan_implILNS1_25lookback_scan_determinismE0ELb0ELb0ES3_N6thrust23THRUST_200600_302600_NS6detail15normal_iteratorINS9_10device_ptrIdEEEESE_dNS9_4plusIvEEdEEDaPvRmT3_T4_T5_mT6_P12ihipStream_tbENKUlT_T0_E_clISt17integral_constantIbLb0EESU_EEDaSP_SQ_EUlSP_E_NS1_11comp_targetILNS1_3genE4ELNS1_11target_archE910ELNS1_3gpuE8ELNS1_3repE0EEENS1_30default_config_static_selectorELNS0_4arch9wavefront6targetE1EEEvT1_,comdat
.Lfunc_end4144:
	.size	_ZN7rocprim17ROCPRIM_400000_NS6detail17trampoline_kernelINS0_14default_configENS1_20scan_config_selectorIdEEZZNS1_9scan_implILNS1_25lookback_scan_determinismE0ELb0ELb0ES3_N6thrust23THRUST_200600_302600_NS6detail15normal_iteratorINS9_10device_ptrIdEEEESE_dNS9_4plusIvEEdEEDaPvRmT3_T4_T5_mT6_P12ihipStream_tbENKUlT_T0_E_clISt17integral_constantIbLb0EESU_EEDaSP_SQ_EUlSP_E_NS1_11comp_targetILNS1_3genE4ELNS1_11target_archE910ELNS1_3gpuE8ELNS1_3repE0EEENS1_30default_config_static_selectorELNS0_4arch9wavefront6targetE1EEEvT1_, .Lfunc_end4144-_ZN7rocprim17ROCPRIM_400000_NS6detail17trampoline_kernelINS0_14default_configENS1_20scan_config_selectorIdEEZZNS1_9scan_implILNS1_25lookback_scan_determinismE0ELb0ELb0ES3_N6thrust23THRUST_200600_302600_NS6detail15normal_iteratorINS9_10device_ptrIdEEEESE_dNS9_4plusIvEEdEEDaPvRmT3_T4_T5_mT6_P12ihipStream_tbENKUlT_T0_E_clISt17integral_constantIbLb0EESU_EEDaSP_SQ_EUlSP_E_NS1_11comp_targetILNS1_3genE4ELNS1_11target_archE910ELNS1_3gpuE8ELNS1_3repE0EEENS1_30default_config_static_selectorELNS0_4arch9wavefront6targetE1EEEvT1_
                                        ; -- End function
	.section	.AMDGPU.csdata,"",@progbits
; Kernel info:
; codeLenInByte = 6064
; NumSgprs: 32
; NumVgprs: 66
; NumAgprs: 0
; TotalNumVgprs: 66
; ScratchSize: 0
; MemoryBound: 0
; FloatMode: 240
; IeeeMode: 1
; LDSByteSize: 10240 bytes/workgroup (compile time only)
; SGPRBlocks: 3
; VGPRBlocks: 8
; NumSGPRsForWavesPerEU: 32
; NumVGPRsForWavesPerEU: 66
; AccumOffset: 68
; Occupancy: 3
; WaveLimiterHint : 1
; COMPUTE_PGM_RSRC2:SCRATCH_EN: 0
; COMPUTE_PGM_RSRC2:USER_SGPR: 6
; COMPUTE_PGM_RSRC2:TRAP_HANDLER: 0
; COMPUTE_PGM_RSRC2:TGID_X_EN: 1
; COMPUTE_PGM_RSRC2:TGID_Y_EN: 0
; COMPUTE_PGM_RSRC2:TGID_Z_EN: 0
; COMPUTE_PGM_RSRC2:TIDIG_COMP_CNT: 0
; COMPUTE_PGM_RSRC3_GFX90A:ACCUM_OFFSET: 16
; COMPUTE_PGM_RSRC3_GFX90A:TG_SPLIT: 0
	.section	.text._ZN7rocprim17ROCPRIM_400000_NS6detail17trampoline_kernelINS0_14default_configENS1_20scan_config_selectorIdEEZZNS1_9scan_implILNS1_25lookback_scan_determinismE0ELb0ELb0ES3_N6thrust23THRUST_200600_302600_NS6detail15normal_iteratorINS9_10device_ptrIdEEEESE_dNS9_4plusIvEEdEEDaPvRmT3_T4_T5_mT6_P12ihipStream_tbENKUlT_T0_E_clISt17integral_constantIbLb0EESU_EEDaSP_SQ_EUlSP_E_NS1_11comp_targetILNS1_3genE3ELNS1_11target_archE908ELNS1_3gpuE7ELNS1_3repE0EEENS1_30default_config_static_selectorELNS0_4arch9wavefront6targetE1EEEvT1_,"axG",@progbits,_ZN7rocprim17ROCPRIM_400000_NS6detail17trampoline_kernelINS0_14default_configENS1_20scan_config_selectorIdEEZZNS1_9scan_implILNS1_25lookback_scan_determinismE0ELb0ELb0ES3_N6thrust23THRUST_200600_302600_NS6detail15normal_iteratorINS9_10device_ptrIdEEEESE_dNS9_4plusIvEEdEEDaPvRmT3_T4_T5_mT6_P12ihipStream_tbENKUlT_T0_E_clISt17integral_constantIbLb0EESU_EEDaSP_SQ_EUlSP_E_NS1_11comp_targetILNS1_3genE3ELNS1_11target_archE908ELNS1_3gpuE7ELNS1_3repE0EEENS1_30default_config_static_selectorELNS0_4arch9wavefront6targetE1EEEvT1_,comdat
	.protected	_ZN7rocprim17ROCPRIM_400000_NS6detail17trampoline_kernelINS0_14default_configENS1_20scan_config_selectorIdEEZZNS1_9scan_implILNS1_25lookback_scan_determinismE0ELb0ELb0ES3_N6thrust23THRUST_200600_302600_NS6detail15normal_iteratorINS9_10device_ptrIdEEEESE_dNS9_4plusIvEEdEEDaPvRmT3_T4_T5_mT6_P12ihipStream_tbENKUlT_T0_E_clISt17integral_constantIbLb0EESU_EEDaSP_SQ_EUlSP_E_NS1_11comp_targetILNS1_3genE3ELNS1_11target_archE908ELNS1_3gpuE7ELNS1_3repE0EEENS1_30default_config_static_selectorELNS0_4arch9wavefront6targetE1EEEvT1_ ; -- Begin function _ZN7rocprim17ROCPRIM_400000_NS6detail17trampoline_kernelINS0_14default_configENS1_20scan_config_selectorIdEEZZNS1_9scan_implILNS1_25lookback_scan_determinismE0ELb0ELb0ES3_N6thrust23THRUST_200600_302600_NS6detail15normal_iteratorINS9_10device_ptrIdEEEESE_dNS9_4plusIvEEdEEDaPvRmT3_T4_T5_mT6_P12ihipStream_tbENKUlT_T0_E_clISt17integral_constantIbLb0EESU_EEDaSP_SQ_EUlSP_E_NS1_11comp_targetILNS1_3genE3ELNS1_11target_archE908ELNS1_3gpuE7ELNS1_3repE0EEENS1_30default_config_static_selectorELNS0_4arch9wavefront6targetE1EEEvT1_
	.globl	_ZN7rocprim17ROCPRIM_400000_NS6detail17trampoline_kernelINS0_14default_configENS1_20scan_config_selectorIdEEZZNS1_9scan_implILNS1_25lookback_scan_determinismE0ELb0ELb0ES3_N6thrust23THRUST_200600_302600_NS6detail15normal_iteratorINS9_10device_ptrIdEEEESE_dNS9_4plusIvEEdEEDaPvRmT3_T4_T5_mT6_P12ihipStream_tbENKUlT_T0_E_clISt17integral_constantIbLb0EESU_EEDaSP_SQ_EUlSP_E_NS1_11comp_targetILNS1_3genE3ELNS1_11target_archE908ELNS1_3gpuE7ELNS1_3repE0EEENS1_30default_config_static_selectorELNS0_4arch9wavefront6targetE1EEEvT1_
	.p2align	8
	.type	_ZN7rocprim17ROCPRIM_400000_NS6detail17trampoline_kernelINS0_14default_configENS1_20scan_config_selectorIdEEZZNS1_9scan_implILNS1_25lookback_scan_determinismE0ELb0ELb0ES3_N6thrust23THRUST_200600_302600_NS6detail15normal_iteratorINS9_10device_ptrIdEEEESE_dNS9_4plusIvEEdEEDaPvRmT3_T4_T5_mT6_P12ihipStream_tbENKUlT_T0_E_clISt17integral_constantIbLb0EESU_EEDaSP_SQ_EUlSP_E_NS1_11comp_targetILNS1_3genE3ELNS1_11target_archE908ELNS1_3gpuE7ELNS1_3repE0EEENS1_30default_config_static_selectorELNS0_4arch9wavefront6targetE1EEEvT1_,@function
_ZN7rocprim17ROCPRIM_400000_NS6detail17trampoline_kernelINS0_14default_configENS1_20scan_config_selectorIdEEZZNS1_9scan_implILNS1_25lookback_scan_determinismE0ELb0ELb0ES3_N6thrust23THRUST_200600_302600_NS6detail15normal_iteratorINS9_10device_ptrIdEEEESE_dNS9_4plusIvEEdEEDaPvRmT3_T4_T5_mT6_P12ihipStream_tbENKUlT_T0_E_clISt17integral_constantIbLb0EESU_EEDaSP_SQ_EUlSP_E_NS1_11comp_targetILNS1_3genE3ELNS1_11target_archE908ELNS1_3gpuE7ELNS1_3repE0EEENS1_30default_config_static_selectorELNS0_4arch9wavefront6targetE1EEEvT1_: ; @_ZN7rocprim17ROCPRIM_400000_NS6detail17trampoline_kernelINS0_14default_configENS1_20scan_config_selectorIdEEZZNS1_9scan_implILNS1_25lookback_scan_determinismE0ELb0ELb0ES3_N6thrust23THRUST_200600_302600_NS6detail15normal_iteratorINS9_10device_ptrIdEEEESE_dNS9_4plusIvEEdEEDaPvRmT3_T4_T5_mT6_P12ihipStream_tbENKUlT_T0_E_clISt17integral_constantIbLb0EESU_EEDaSP_SQ_EUlSP_E_NS1_11comp_targetILNS1_3genE3ELNS1_11target_archE908ELNS1_3gpuE7ELNS1_3repE0EEENS1_30default_config_static_selectorELNS0_4arch9wavefront6targetE1EEEvT1_
; %bb.0:
	.section	.rodata,"a",@progbits
	.p2align	6, 0x0
	.amdhsa_kernel _ZN7rocprim17ROCPRIM_400000_NS6detail17trampoline_kernelINS0_14default_configENS1_20scan_config_selectorIdEEZZNS1_9scan_implILNS1_25lookback_scan_determinismE0ELb0ELb0ES3_N6thrust23THRUST_200600_302600_NS6detail15normal_iteratorINS9_10device_ptrIdEEEESE_dNS9_4plusIvEEdEEDaPvRmT3_T4_T5_mT6_P12ihipStream_tbENKUlT_T0_E_clISt17integral_constantIbLb0EESU_EEDaSP_SQ_EUlSP_E_NS1_11comp_targetILNS1_3genE3ELNS1_11target_archE908ELNS1_3gpuE7ELNS1_3repE0EEENS1_30default_config_static_selectorELNS0_4arch9wavefront6targetE1EEEvT1_
		.amdhsa_group_segment_fixed_size 0
		.amdhsa_private_segment_fixed_size 0
		.amdhsa_kernarg_size 104
		.amdhsa_user_sgpr_count 6
		.amdhsa_user_sgpr_private_segment_buffer 1
		.amdhsa_user_sgpr_dispatch_ptr 0
		.amdhsa_user_sgpr_queue_ptr 0
		.amdhsa_user_sgpr_kernarg_segment_ptr 1
		.amdhsa_user_sgpr_dispatch_id 0
		.amdhsa_user_sgpr_flat_scratch_init 0
		.amdhsa_user_sgpr_kernarg_preload_length 0
		.amdhsa_user_sgpr_kernarg_preload_offset 0
		.amdhsa_user_sgpr_private_segment_size 0
		.amdhsa_uses_dynamic_stack 0
		.amdhsa_system_sgpr_private_segment_wavefront_offset 0
		.amdhsa_system_sgpr_workgroup_id_x 1
		.amdhsa_system_sgpr_workgroup_id_y 0
		.amdhsa_system_sgpr_workgroup_id_z 0
		.amdhsa_system_sgpr_workgroup_info 0
		.amdhsa_system_vgpr_workitem_id 0
		.amdhsa_next_free_vgpr 1
		.amdhsa_next_free_sgpr 0
		.amdhsa_accum_offset 4
		.amdhsa_reserve_vcc 0
		.amdhsa_reserve_flat_scratch 0
		.amdhsa_float_round_mode_32 0
		.amdhsa_float_round_mode_16_64 0
		.amdhsa_float_denorm_mode_32 3
		.amdhsa_float_denorm_mode_16_64 3
		.amdhsa_dx10_clamp 1
		.amdhsa_ieee_mode 1
		.amdhsa_fp16_overflow 0
		.amdhsa_tg_split 0
		.amdhsa_exception_fp_ieee_invalid_op 0
		.amdhsa_exception_fp_denorm_src 0
		.amdhsa_exception_fp_ieee_div_zero 0
		.amdhsa_exception_fp_ieee_overflow 0
		.amdhsa_exception_fp_ieee_underflow 0
		.amdhsa_exception_fp_ieee_inexact 0
		.amdhsa_exception_int_div_zero 0
	.end_amdhsa_kernel
	.section	.text._ZN7rocprim17ROCPRIM_400000_NS6detail17trampoline_kernelINS0_14default_configENS1_20scan_config_selectorIdEEZZNS1_9scan_implILNS1_25lookback_scan_determinismE0ELb0ELb0ES3_N6thrust23THRUST_200600_302600_NS6detail15normal_iteratorINS9_10device_ptrIdEEEESE_dNS9_4plusIvEEdEEDaPvRmT3_T4_T5_mT6_P12ihipStream_tbENKUlT_T0_E_clISt17integral_constantIbLb0EESU_EEDaSP_SQ_EUlSP_E_NS1_11comp_targetILNS1_3genE3ELNS1_11target_archE908ELNS1_3gpuE7ELNS1_3repE0EEENS1_30default_config_static_selectorELNS0_4arch9wavefront6targetE1EEEvT1_,"axG",@progbits,_ZN7rocprim17ROCPRIM_400000_NS6detail17trampoline_kernelINS0_14default_configENS1_20scan_config_selectorIdEEZZNS1_9scan_implILNS1_25lookback_scan_determinismE0ELb0ELb0ES3_N6thrust23THRUST_200600_302600_NS6detail15normal_iteratorINS9_10device_ptrIdEEEESE_dNS9_4plusIvEEdEEDaPvRmT3_T4_T5_mT6_P12ihipStream_tbENKUlT_T0_E_clISt17integral_constantIbLb0EESU_EEDaSP_SQ_EUlSP_E_NS1_11comp_targetILNS1_3genE3ELNS1_11target_archE908ELNS1_3gpuE7ELNS1_3repE0EEENS1_30default_config_static_selectorELNS0_4arch9wavefront6targetE1EEEvT1_,comdat
.Lfunc_end4145:
	.size	_ZN7rocprim17ROCPRIM_400000_NS6detail17trampoline_kernelINS0_14default_configENS1_20scan_config_selectorIdEEZZNS1_9scan_implILNS1_25lookback_scan_determinismE0ELb0ELb0ES3_N6thrust23THRUST_200600_302600_NS6detail15normal_iteratorINS9_10device_ptrIdEEEESE_dNS9_4plusIvEEdEEDaPvRmT3_T4_T5_mT6_P12ihipStream_tbENKUlT_T0_E_clISt17integral_constantIbLb0EESU_EEDaSP_SQ_EUlSP_E_NS1_11comp_targetILNS1_3genE3ELNS1_11target_archE908ELNS1_3gpuE7ELNS1_3repE0EEENS1_30default_config_static_selectorELNS0_4arch9wavefront6targetE1EEEvT1_, .Lfunc_end4145-_ZN7rocprim17ROCPRIM_400000_NS6detail17trampoline_kernelINS0_14default_configENS1_20scan_config_selectorIdEEZZNS1_9scan_implILNS1_25lookback_scan_determinismE0ELb0ELb0ES3_N6thrust23THRUST_200600_302600_NS6detail15normal_iteratorINS9_10device_ptrIdEEEESE_dNS9_4plusIvEEdEEDaPvRmT3_T4_T5_mT6_P12ihipStream_tbENKUlT_T0_E_clISt17integral_constantIbLb0EESU_EEDaSP_SQ_EUlSP_E_NS1_11comp_targetILNS1_3genE3ELNS1_11target_archE908ELNS1_3gpuE7ELNS1_3repE0EEENS1_30default_config_static_selectorELNS0_4arch9wavefront6targetE1EEEvT1_
                                        ; -- End function
	.section	.AMDGPU.csdata,"",@progbits
; Kernel info:
; codeLenInByte = 0
; NumSgprs: 4
; NumVgprs: 0
; NumAgprs: 0
; TotalNumVgprs: 0
; ScratchSize: 0
; MemoryBound: 0
; FloatMode: 240
; IeeeMode: 1
; LDSByteSize: 0 bytes/workgroup (compile time only)
; SGPRBlocks: 0
; VGPRBlocks: 0
; NumSGPRsForWavesPerEU: 4
; NumVGPRsForWavesPerEU: 1
; AccumOffset: 4
; Occupancy: 8
; WaveLimiterHint : 0
; COMPUTE_PGM_RSRC2:SCRATCH_EN: 0
; COMPUTE_PGM_RSRC2:USER_SGPR: 6
; COMPUTE_PGM_RSRC2:TRAP_HANDLER: 0
; COMPUTE_PGM_RSRC2:TGID_X_EN: 1
; COMPUTE_PGM_RSRC2:TGID_Y_EN: 0
; COMPUTE_PGM_RSRC2:TGID_Z_EN: 0
; COMPUTE_PGM_RSRC2:TIDIG_COMP_CNT: 0
; COMPUTE_PGM_RSRC3_GFX90A:ACCUM_OFFSET: 0
; COMPUTE_PGM_RSRC3_GFX90A:TG_SPLIT: 0
	.section	.text._ZN7rocprim17ROCPRIM_400000_NS6detail17trampoline_kernelINS0_14default_configENS1_20scan_config_selectorIdEEZZNS1_9scan_implILNS1_25lookback_scan_determinismE0ELb0ELb0ES3_N6thrust23THRUST_200600_302600_NS6detail15normal_iteratorINS9_10device_ptrIdEEEESE_dNS9_4plusIvEEdEEDaPvRmT3_T4_T5_mT6_P12ihipStream_tbENKUlT_T0_E_clISt17integral_constantIbLb0EESU_EEDaSP_SQ_EUlSP_E_NS1_11comp_targetILNS1_3genE2ELNS1_11target_archE906ELNS1_3gpuE6ELNS1_3repE0EEENS1_30default_config_static_selectorELNS0_4arch9wavefront6targetE1EEEvT1_,"axG",@progbits,_ZN7rocprim17ROCPRIM_400000_NS6detail17trampoline_kernelINS0_14default_configENS1_20scan_config_selectorIdEEZZNS1_9scan_implILNS1_25lookback_scan_determinismE0ELb0ELb0ES3_N6thrust23THRUST_200600_302600_NS6detail15normal_iteratorINS9_10device_ptrIdEEEESE_dNS9_4plusIvEEdEEDaPvRmT3_T4_T5_mT6_P12ihipStream_tbENKUlT_T0_E_clISt17integral_constantIbLb0EESU_EEDaSP_SQ_EUlSP_E_NS1_11comp_targetILNS1_3genE2ELNS1_11target_archE906ELNS1_3gpuE6ELNS1_3repE0EEENS1_30default_config_static_selectorELNS0_4arch9wavefront6targetE1EEEvT1_,comdat
	.protected	_ZN7rocprim17ROCPRIM_400000_NS6detail17trampoline_kernelINS0_14default_configENS1_20scan_config_selectorIdEEZZNS1_9scan_implILNS1_25lookback_scan_determinismE0ELb0ELb0ES3_N6thrust23THRUST_200600_302600_NS6detail15normal_iteratorINS9_10device_ptrIdEEEESE_dNS9_4plusIvEEdEEDaPvRmT3_T4_T5_mT6_P12ihipStream_tbENKUlT_T0_E_clISt17integral_constantIbLb0EESU_EEDaSP_SQ_EUlSP_E_NS1_11comp_targetILNS1_3genE2ELNS1_11target_archE906ELNS1_3gpuE6ELNS1_3repE0EEENS1_30default_config_static_selectorELNS0_4arch9wavefront6targetE1EEEvT1_ ; -- Begin function _ZN7rocprim17ROCPRIM_400000_NS6detail17trampoline_kernelINS0_14default_configENS1_20scan_config_selectorIdEEZZNS1_9scan_implILNS1_25lookback_scan_determinismE0ELb0ELb0ES3_N6thrust23THRUST_200600_302600_NS6detail15normal_iteratorINS9_10device_ptrIdEEEESE_dNS9_4plusIvEEdEEDaPvRmT3_T4_T5_mT6_P12ihipStream_tbENKUlT_T0_E_clISt17integral_constantIbLb0EESU_EEDaSP_SQ_EUlSP_E_NS1_11comp_targetILNS1_3genE2ELNS1_11target_archE906ELNS1_3gpuE6ELNS1_3repE0EEENS1_30default_config_static_selectorELNS0_4arch9wavefront6targetE1EEEvT1_
	.globl	_ZN7rocprim17ROCPRIM_400000_NS6detail17trampoline_kernelINS0_14default_configENS1_20scan_config_selectorIdEEZZNS1_9scan_implILNS1_25lookback_scan_determinismE0ELb0ELb0ES3_N6thrust23THRUST_200600_302600_NS6detail15normal_iteratorINS9_10device_ptrIdEEEESE_dNS9_4plusIvEEdEEDaPvRmT3_T4_T5_mT6_P12ihipStream_tbENKUlT_T0_E_clISt17integral_constantIbLb0EESU_EEDaSP_SQ_EUlSP_E_NS1_11comp_targetILNS1_3genE2ELNS1_11target_archE906ELNS1_3gpuE6ELNS1_3repE0EEENS1_30default_config_static_selectorELNS0_4arch9wavefront6targetE1EEEvT1_
	.p2align	8
	.type	_ZN7rocprim17ROCPRIM_400000_NS6detail17trampoline_kernelINS0_14default_configENS1_20scan_config_selectorIdEEZZNS1_9scan_implILNS1_25lookback_scan_determinismE0ELb0ELb0ES3_N6thrust23THRUST_200600_302600_NS6detail15normal_iteratorINS9_10device_ptrIdEEEESE_dNS9_4plusIvEEdEEDaPvRmT3_T4_T5_mT6_P12ihipStream_tbENKUlT_T0_E_clISt17integral_constantIbLb0EESU_EEDaSP_SQ_EUlSP_E_NS1_11comp_targetILNS1_3genE2ELNS1_11target_archE906ELNS1_3gpuE6ELNS1_3repE0EEENS1_30default_config_static_selectorELNS0_4arch9wavefront6targetE1EEEvT1_,@function
_ZN7rocprim17ROCPRIM_400000_NS6detail17trampoline_kernelINS0_14default_configENS1_20scan_config_selectorIdEEZZNS1_9scan_implILNS1_25lookback_scan_determinismE0ELb0ELb0ES3_N6thrust23THRUST_200600_302600_NS6detail15normal_iteratorINS9_10device_ptrIdEEEESE_dNS9_4plusIvEEdEEDaPvRmT3_T4_T5_mT6_P12ihipStream_tbENKUlT_T0_E_clISt17integral_constantIbLb0EESU_EEDaSP_SQ_EUlSP_E_NS1_11comp_targetILNS1_3genE2ELNS1_11target_archE906ELNS1_3gpuE6ELNS1_3repE0EEENS1_30default_config_static_selectorELNS0_4arch9wavefront6targetE1EEEvT1_: ; @_ZN7rocprim17ROCPRIM_400000_NS6detail17trampoline_kernelINS0_14default_configENS1_20scan_config_selectorIdEEZZNS1_9scan_implILNS1_25lookback_scan_determinismE0ELb0ELb0ES3_N6thrust23THRUST_200600_302600_NS6detail15normal_iteratorINS9_10device_ptrIdEEEESE_dNS9_4plusIvEEdEEDaPvRmT3_T4_T5_mT6_P12ihipStream_tbENKUlT_T0_E_clISt17integral_constantIbLb0EESU_EEDaSP_SQ_EUlSP_E_NS1_11comp_targetILNS1_3genE2ELNS1_11target_archE906ELNS1_3gpuE6ELNS1_3repE0EEENS1_30default_config_static_selectorELNS0_4arch9wavefront6targetE1EEEvT1_
; %bb.0:
	.section	.rodata,"a",@progbits
	.p2align	6, 0x0
	.amdhsa_kernel _ZN7rocprim17ROCPRIM_400000_NS6detail17trampoline_kernelINS0_14default_configENS1_20scan_config_selectorIdEEZZNS1_9scan_implILNS1_25lookback_scan_determinismE0ELb0ELb0ES3_N6thrust23THRUST_200600_302600_NS6detail15normal_iteratorINS9_10device_ptrIdEEEESE_dNS9_4plusIvEEdEEDaPvRmT3_T4_T5_mT6_P12ihipStream_tbENKUlT_T0_E_clISt17integral_constantIbLb0EESU_EEDaSP_SQ_EUlSP_E_NS1_11comp_targetILNS1_3genE2ELNS1_11target_archE906ELNS1_3gpuE6ELNS1_3repE0EEENS1_30default_config_static_selectorELNS0_4arch9wavefront6targetE1EEEvT1_
		.amdhsa_group_segment_fixed_size 0
		.amdhsa_private_segment_fixed_size 0
		.amdhsa_kernarg_size 104
		.amdhsa_user_sgpr_count 6
		.amdhsa_user_sgpr_private_segment_buffer 1
		.amdhsa_user_sgpr_dispatch_ptr 0
		.amdhsa_user_sgpr_queue_ptr 0
		.amdhsa_user_sgpr_kernarg_segment_ptr 1
		.amdhsa_user_sgpr_dispatch_id 0
		.amdhsa_user_sgpr_flat_scratch_init 0
		.amdhsa_user_sgpr_kernarg_preload_length 0
		.amdhsa_user_sgpr_kernarg_preload_offset 0
		.amdhsa_user_sgpr_private_segment_size 0
		.amdhsa_uses_dynamic_stack 0
		.amdhsa_system_sgpr_private_segment_wavefront_offset 0
		.amdhsa_system_sgpr_workgroup_id_x 1
		.amdhsa_system_sgpr_workgroup_id_y 0
		.amdhsa_system_sgpr_workgroup_id_z 0
		.amdhsa_system_sgpr_workgroup_info 0
		.amdhsa_system_vgpr_workitem_id 0
		.amdhsa_next_free_vgpr 1
		.amdhsa_next_free_sgpr 0
		.amdhsa_accum_offset 4
		.amdhsa_reserve_vcc 0
		.amdhsa_reserve_flat_scratch 0
		.amdhsa_float_round_mode_32 0
		.amdhsa_float_round_mode_16_64 0
		.amdhsa_float_denorm_mode_32 3
		.amdhsa_float_denorm_mode_16_64 3
		.amdhsa_dx10_clamp 1
		.amdhsa_ieee_mode 1
		.amdhsa_fp16_overflow 0
		.amdhsa_tg_split 0
		.amdhsa_exception_fp_ieee_invalid_op 0
		.amdhsa_exception_fp_denorm_src 0
		.amdhsa_exception_fp_ieee_div_zero 0
		.amdhsa_exception_fp_ieee_overflow 0
		.amdhsa_exception_fp_ieee_underflow 0
		.amdhsa_exception_fp_ieee_inexact 0
		.amdhsa_exception_int_div_zero 0
	.end_amdhsa_kernel
	.section	.text._ZN7rocprim17ROCPRIM_400000_NS6detail17trampoline_kernelINS0_14default_configENS1_20scan_config_selectorIdEEZZNS1_9scan_implILNS1_25lookback_scan_determinismE0ELb0ELb0ES3_N6thrust23THRUST_200600_302600_NS6detail15normal_iteratorINS9_10device_ptrIdEEEESE_dNS9_4plusIvEEdEEDaPvRmT3_T4_T5_mT6_P12ihipStream_tbENKUlT_T0_E_clISt17integral_constantIbLb0EESU_EEDaSP_SQ_EUlSP_E_NS1_11comp_targetILNS1_3genE2ELNS1_11target_archE906ELNS1_3gpuE6ELNS1_3repE0EEENS1_30default_config_static_selectorELNS0_4arch9wavefront6targetE1EEEvT1_,"axG",@progbits,_ZN7rocprim17ROCPRIM_400000_NS6detail17trampoline_kernelINS0_14default_configENS1_20scan_config_selectorIdEEZZNS1_9scan_implILNS1_25lookback_scan_determinismE0ELb0ELb0ES3_N6thrust23THRUST_200600_302600_NS6detail15normal_iteratorINS9_10device_ptrIdEEEESE_dNS9_4plusIvEEdEEDaPvRmT3_T4_T5_mT6_P12ihipStream_tbENKUlT_T0_E_clISt17integral_constantIbLb0EESU_EEDaSP_SQ_EUlSP_E_NS1_11comp_targetILNS1_3genE2ELNS1_11target_archE906ELNS1_3gpuE6ELNS1_3repE0EEENS1_30default_config_static_selectorELNS0_4arch9wavefront6targetE1EEEvT1_,comdat
.Lfunc_end4146:
	.size	_ZN7rocprim17ROCPRIM_400000_NS6detail17trampoline_kernelINS0_14default_configENS1_20scan_config_selectorIdEEZZNS1_9scan_implILNS1_25lookback_scan_determinismE0ELb0ELb0ES3_N6thrust23THRUST_200600_302600_NS6detail15normal_iteratorINS9_10device_ptrIdEEEESE_dNS9_4plusIvEEdEEDaPvRmT3_T4_T5_mT6_P12ihipStream_tbENKUlT_T0_E_clISt17integral_constantIbLb0EESU_EEDaSP_SQ_EUlSP_E_NS1_11comp_targetILNS1_3genE2ELNS1_11target_archE906ELNS1_3gpuE6ELNS1_3repE0EEENS1_30default_config_static_selectorELNS0_4arch9wavefront6targetE1EEEvT1_, .Lfunc_end4146-_ZN7rocprim17ROCPRIM_400000_NS6detail17trampoline_kernelINS0_14default_configENS1_20scan_config_selectorIdEEZZNS1_9scan_implILNS1_25lookback_scan_determinismE0ELb0ELb0ES3_N6thrust23THRUST_200600_302600_NS6detail15normal_iteratorINS9_10device_ptrIdEEEESE_dNS9_4plusIvEEdEEDaPvRmT3_T4_T5_mT6_P12ihipStream_tbENKUlT_T0_E_clISt17integral_constantIbLb0EESU_EEDaSP_SQ_EUlSP_E_NS1_11comp_targetILNS1_3genE2ELNS1_11target_archE906ELNS1_3gpuE6ELNS1_3repE0EEENS1_30default_config_static_selectorELNS0_4arch9wavefront6targetE1EEEvT1_
                                        ; -- End function
	.section	.AMDGPU.csdata,"",@progbits
; Kernel info:
; codeLenInByte = 0
; NumSgprs: 4
; NumVgprs: 0
; NumAgprs: 0
; TotalNumVgprs: 0
; ScratchSize: 0
; MemoryBound: 0
; FloatMode: 240
; IeeeMode: 1
; LDSByteSize: 0 bytes/workgroup (compile time only)
; SGPRBlocks: 0
; VGPRBlocks: 0
; NumSGPRsForWavesPerEU: 4
; NumVGPRsForWavesPerEU: 1
; AccumOffset: 4
; Occupancy: 8
; WaveLimiterHint : 0
; COMPUTE_PGM_RSRC2:SCRATCH_EN: 0
; COMPUTE_PGM_RSRC2:USER_SGPR: 6
; COMPUTE_PGM_RSRC2:TRAP_HANDLER: 0
; COMPUTE_PGM_RSRC2:TGID_X_EN: 1
; COMPUTE_PGM_RSRC2:TGID_Y_EN: 0
; COMPUTE_PGM_RSRC2:TGID_Z_EN: 0
; COMPUTE_PGM_RSRC2:TIDIG_COMP_CNT: 0
; COMPUTE_PGM_RSRC3_GFX90A:ACCUM_OFFSET: 0
; COMPUTE_PGM_RSRC3_GFX90A:TG_SPLIT: 0
	.section	.text._ZN7rocprim17ROCPRIM_400000_NS6detail17trampoline_kernelINS0_14default_configENS1_20scan_config_selectorIdEEZZNS1_9scan_implILNS1_25lookback_scan_determinismE0ELb0ELb0ES3_N6thrust23THRUST_200600_302600_NS6detail15normal_iteratorINS9_10device_ptrIdEEEESE_dNS9_4plusIvEEdEEDaPvRmT3_T4_T5_mT6_P12ihipStream_tbENKUlT_T0_E_clISt17integral_constantIbLb0EESU_EEDaSP_SQ_EUlSP_E_NS1_11comp_targetILNS1_3genE10ELNS1_11target_archE1201ELNS1_3gpuE5ELNS1_3repE0EEENS1_30default_config_static_selectorELNS0_4arch9wavefront6targetE1EEEvT1_,"axG",@progbits,_ZN7rocprim17ROCPRIM_400000_NS6detail17trampoline_kernelINS0_14default_configENS1_20scan_config_selectorIdEEZZNS1_9scan_implILNS1_25lookback_scan_determinismE0ELb0ELb0ES3_N6thrust23THRUST_200600_302600_NS6detail15normal_iteratorINS9_10device_ptrIdEEEESE_dNS9_4plusIvEEdEEDaPvRmT3_T4_T5_mT6_P12ihipStream_tbENKUlT_T0_E_clISt17integral_constantIbLb0EESU_EEDaSP_SQ_EUlSP_E_NS1_11comp_targetILNS1_3genE10ELNS1_11target_archE1201ELNS1_3gpuE5ELNS1_3repE0EEENS1_30default_config_static_selectorELNS0_4arch9wavefront6targetE1EEEvT1_,comdat
	.protected	_ZN7rocprim17ROCPRIM_400000_NS6detail17trampoline_kernelINS0_14default_configENS1_20scan_config_selectorIdEEZZNS1_9scan_implILNS1_25lookback_scan_determinismE0ELb0ELb0ES3_N6thrust23THRUST_200600_302600_NS6detail15normal_iteratorINS9_10device_ptrIdEEEESE_dNS9_4plusIvEEdEEDaPvRmT3_T4_T5_mT6_P12ihipStream_tbENKUlT_T0_E_clISt17integral_constantIbLb0EESU_EEDaSP_SQ_EUlSP_E_NS1_11comp_targetILNS1_3genE10ELNS1_11target_archE1201ELNS1_3gpuE5ELNS1_3repE0EEENS1_30default_config_static_selectorELNS0_4arch9wavefront6targetE1EEEvT1_ ; -- Begin function _ZN7rocprim17ROCPRIM_400000_NS6detail17trampoline_kernelINS0_14default_configENS1_20scan_config_selectorIdEEZZNS1_9scan_implILNS1_25lookback_scan_determinismE0ELb0ELb0ES3_N6thrust23THRUST_200600_302600_NS6detail15normal_iteratorINS9_10device_ptrIdEEEESE_dNS9_4plusIvEEdEEDaPvRmT3_T4_T5_mT6_P12ihipStream_tbENKUlT_T0_E_clISt17integral_constantIbLb0EESU_EEDaSP_SQ_EUlSP_E_NS1_11comp_targetILNS1_3genE10ELNS1_11target_archE1201ELNS1_3gpuE5ELNS1_3repE0EEENS1_30default_config_static_selectorELNS0_4arch9wavefront6targetE1EEEvT1_
	.globl	_ZN7rocprim17ROCPRIM_400000_NS6detail17trampoline_kernelINS0_14default_configENS1_20scan_config_selectorIdEEZZNS1_9scan_implILNS1_25lookback_scan_determinismE0ELb0ELb0ES3_N6thrust23THRUST_200600_302600_NS6detail15normal_iteratorINS9_10device_ptrIdEEEESE_dNS9_4plusIvEEdEEDaPvRmT3_T4_T5_mT6_P12ihipStream_tbENKUlT_T0_E_clISt17integral_constantIbLb0EESU_EEDaSP_SQ_EUlSP_E_NS1_11comp_targetILNS1_3genE10ELNS1_11target_archE1201ELNS1_3gpuE5ELNS1_3repE0EEENS1_30default_config_static_selectorELNS0_4arch9wavefront6targetE1EEEvT1_
	.p2align	8
	.type	_ZN7rocprim17ROCPRIM_400000_NS6detail17trampoline_kernelINS0_14default_configENS1_20scan_config_selectorIdEEZZNS1_9scan_implILNS1_25lookback_scan_determinismE0ELb0ELb0ES3_N6thrust23THRUST_200600_302600_NS6detail15normal_iteratorINS9_10device_ptrIdEEEESE_dNS9_4plusIvEEdEEDaPvRmT3_T4_T5_mT6_P12ihipStream_tbENKUlT_T0_E_clISt17integral_constantIbLb0EESU_EEDaSP_SQ_EUlSP_E_NS1_11comp_targetILNS1_3genE10ELNS1_11target_archE1201ELNS1_3gpuE5ELNS1_3repE0EEENS1_30default_config_static_selectorELNS0_4arch9wavefront6targetE1EEEvT1_,@function
_ZN7rocprim17ROCPRIM_400000_NS6detail17trampoline_kernelINS0_14default_configENS1_20scan_config_selectorIdEEZZNS1_9scan_implILNS1_25lookback_scan_determinismE0ELb0ELb0ES3_N6thrust23THRUST_200600_302600_NS6detail15normal_iteratorINS9_10device_ptrIdEEEESE_dNS9_4plusIvEEdEEDaPvRmT3_T4_T5_mT6_P12ihipStream_tbENKUlT_T0_E_clISt17integral_constantIbLb0EESU_EEDaSP_SQ_EUlSP_E_NS1_11comp_targetILNS1_3genE10ELNS1_11target_archE1201ELNS1_3gpuE5ELNS1_3repE0EEENS1_30default_config_static_selectorELNS0_4arch9wavefront6targetE1EEEvT1_: ; @_ZN7rocprim17ROCPRIM_400000_NS6detail17trampoline_kernelINS0_14default_configENS1_20scan_config_selectorIdEEZZNS1_9scan_implILNS1_25lookback_scan_determinismE0ELb0ELb0ES3_N6thrust23THRUST_200600_302600_NS6detail15normal_iteratorINS9_10device_ptrIdEEEESE_dNS9_4plusIvEEdEEDaPvRmT3_T4_T5_mT6_P12ihipStream_tbENKUlT_T0_E_clISt17integral_constantIbLb0EESU_EEDaSP_SQ_EUlSP_E_NS1_11comp_targetILNS1_3genE10ELNS1_11target_archE1201ELNS1_3gpuE5ELNS1_3repE0EEENS1_30default_config_static_selectorELNS0_4arch9wavefront6targetE1EEEvT1_
; %bb.0:
	.section	.rodata,"a",@progbits
	.p2align	6, 0x0
	.amdhsa_kernel _ZN7rocprim17ROCPRIM_400000_NS6detail17trampoline_kernelINS0_14default_configENS1_20scan_config_selectorIdEEZZNS1_9scan_implILNS1_25lookback_scan_determinismE0ELb0ELb0ES3_N6thrust23THRUST_200600_302600_NS6detail15normal_iteratorINS9_10device_ptrIdEEEESE_dNS9_4plusIvEEdEEDaPvRmT3_T4_T5_mT6_P12ihipStream_tbENKUlT_T0_E_clISt17integral_constantIbLb0EESU_EEDaSP_SQ_EUlSP_E_NS1_11comp_targetILNS1_3genE10ELNS1_11target_archE1201ELNS1_3gpuE5ELNS1_3repE0EEENS1_30default_config_static_selectorELNS0_4arch9wavefront6targetE1EEEvT1_
		.amdhsa_group_segment_fixed_size 0
		.amdhsa_private_segment_fixed_size 0
		.amdhsa_kernarg_size 104
		.amdhsa_user_sgpr_count 6
		.amdhsa_user_sgpr_private_segment_buffer 1
		.amdhsa_user_sgpr_dispatch_ptr 0
		.amdhsa_user_sgpr_queue_ptr 0
		.amdhsa_user_sgpr_kernarg_segment_ptr 1
		.amdhsa_user_sgpr_dispatch_id 0
		.amdhsa_user_sgpr_flat_scratch_init 0
		.amdhsa_user_sgpr_kernarg_preload_length 0
		.amdhsa_user_sgpr_kernarg_preload_offset 0
		.amdhsa_user_sgpr_private_segment_size 0
		.amdhsa_uses_dynamic_stack 0
		.amdhsa_system_sgpr_private_segment_wavefront_offset 0
		.amdhsa_system_sgpr_workgroup_id_x 1
		.amdhsa_system_sgpr_workgroup_id_y 0
		.amdhsa_system_sgpr_workgroup_id_z 0
		.amdhsa_system_sgpr_workgroup_info 0
		.amdhsa_system_vgpr_workitem_id 0
		.amdhsa_next_free_vgpr 1
		.amdhsa_next_free_sgpr 0
		.amdhsa_accum_offset 4
		.amdhsa_reserve_vcc 0
		.amdhsa_reserve_flat_scratch 0
		.amdhsa_float_round_mode_32 0
		.amdhsa_float_round_mode_16_64 0
		.amdhsa_float_denorm_mode_32 3
		.amdhsa_float_denorm_mode_16_64 3
		.amdhsa_dx10_clamp 1
		.amdhsa_ieee_mode 1
		.amdhsa_fp16_overflow 0
		.amdhsa_tg_split 0
		.amdhsa_exception_fp_ieee_invalid_op 0
		.amdhsa_exception_fp_denorm_src 0
		.amdhsa_exception_fp_ieee_div_zero 0
		.amdhsa_exception_fp_ieee_overflow 0
		.amdhsa_exception_fp_ieee_underflow 0
		.amdhsa_exception_fp_ieee_inexact 0
		.amdhsa_exception_int_div_zero 0
	.end_amdhsa_kernel
	.section	.text._ZN7rocprim17ROCPRIM_400000_NS6detail17trampoline_kernelINS0_14default_configENS1_20scan_config_selectorIdEEZZNS1_9scan_implILNS1_25lookback_scan_determinismE0ELb0ELb0ES3_N6thrust23THRUST_200600_302600_NS6detail15normal_iteratorINS9_10device_ptrIdEEEESE_dNS9_4plusIvEEdEEDaPvRmT3_T4_T5_mT6_P12ihipStream_tbENKUlT_T0_E_clISt17integral_constantIbLb0EESU_EEDaSP_SQ_EUlSP_E_NS1_11comp_targetILNS1_3genE10ELNS1_11target_archE1201ELNS1_3gpuE5ELNS1_3repE0EEENS1_30default_config_static_selectorELNS0_4arch9wavefront6targetE1EEEvT1_,"axG",@progbits,_ZN7rocprim17ROCPRIM_400000_NS6detail17trampoline_kernelINS0_14default_configENS1_20scan_config_selectorIdEEZZNS1_9scan_implILNS1_25lookback_scan_determinismE0ELb0ELb0ES3_N6thrust23THRUST_200600_302600_NS6detail15normal_iteratorINS9_10device_ptrIdEEEESE_dNS9_4plusIvEEdEEDaPvRmT3_T4_T5_mT6_P12ihipStream_tbENKUlT_T0_E_clISt17integral_constantIbLb0EESU_EEDaSP_SQ_EUlSP_E_NS1_11comp_targetILNS1_3genE10ELNS1_11target_archE1201ELNS1_3gpuE5ELNS1_3repE0EEENS1_30default_config_static_selectorELNS0_4arch9wavefront6targetE1EEEvT1_,comdat
.Lfunc_end4147:
	.size	_ZN7rocprim17ROCPRIM_400000_NS6detail17trampoline_kernelINS0_14default_configENS1_20scan_config_selectorIdEEZZNS1_9scan_implILNS1_25lookback_scan_determinismE0ELb0ELb0ES3_N6thrust23THRUST_200600_302600_NS6detail15normal_iteratorINS9_10device_ptrIdEEEESE_dNS9_4plusIvEEdEEDaPvRmT3_T4_T5_mT6_P12ihipStream_tbENKUlT_T0_E_clISt17integral_constantIbLb0EESU_EEDaSP_SQ_EUlSP_E_NS1_11comp_targetILNS1_3genE10ELNS1_11target_archE1201ELNS1_3gpuE5ELNS1_3repE0EEENS1_30default_config_static_selectorELNS0_4arch9wavefront6targetE1EEEvT1_, .Lfunc_end4147-_ZN7rocprim17ROCPRIM_400000_NS6detail17trampoline_kernelINS0_14default_configENS1_20scan_config_selectorIdEEZZNS1_9scan_implILNS1_25lookback_scan_determinismE0ELb0ELb0ES3_N6thrust23THRUST_200600_302600_NS6detail15normal_iteratorINS9_10device_ptrIdEEEESE_dNS9_4plusIvEEdEEDaPvRmT3_T4_T5_mT6_P12ihipStream_tbENKUlT_T0_E_clISt17integral_constantIbLb0EESU_EEDaSP_SQ_EUlSP_E_NS1_11comp_targetILNS1_3genE10ELNS1_11target_archE1201ELNS1_3gpuE5ELNS1_3repE0EEENS1_30default_config_static_selectorELNS0_4arch9wavefront6targetE1EEEvT1_
                                        ; -- End function
	.section	.AMDGPU.csdata,"",@progbits
; Kernel info:
; codeLenInByte = 0
; NumSgprs: 4
; NumVgprs: 0
; NumAgprs: 0
; TotalNumVgprs: 0
; ScratchSize: 0
; MemoryBound: 0
; FloatMode: 240
; IeeeMode: 1
; LDSByteSize: 0 bytes/workgroup (compile time only)
; SGPRBlocks: 0
; VGPRBlocks: 0
; NumSGPRsForWavesPerEU: 4
; NumVGPRsForWavesPerEU: 1
; AccumOffset: 4
; Occupancy: 8
; WaveLimiterHint : 0
; COMPUTE_PGM_RSRC2:SCRATCH_EN: 0
; COMPUTE_PGM_RSRC2:USER_SGPR: 6
; COMPUTE_PGM_RSRC2:TRAP_HANDLER: 0
; COMPUTE_PGM_RSRC2:TGID_X_EN: 1
; COMPUTE_PGM_RSRC2:TGID_Y_EN: 0
; COMPUTE_PGM_RSRC2:TGID_Z_EN: 0
; COMPUTE_PGM_RSRC2:TIDIG_COMP_CNT: 0
; COMPUTE_PGM_RSRC3_GFX90A:ACCUM_OFFSET: 0
; COMPUTE_PGM_RSRC3_GFX90A:TG_SPLIT: 0
	.section	.text._ZN7rocprim17ROCPRIM_400000_NS6detail17trampoline_kernelINS0_14default_configENS1_20scan_config_selectorIdEEZZNS1_9scan_implILNS1_25lookback_scan_determinismE0ELb0ELb0ES3_N6thrust23THRUST_200600_302600_NS6detail15normal_iteratorINS9_10device_ptrIdEEEESE_dNS9_4plusIvEEdEEDaPvRmT3_T4_T5_mT6_P12ihipStream_tbENKUlT_T0_E_clISt17integral_constantIbLb0EESU_EEDaSP_SQ_EUlSP_E_NS1_11comp_targetILNS1_3genE10ELNS1_11target_archE1200ELNS1_3gpuE4ELNS1_3repE0EEENS1_30default_config_static_selectorELNS0_4arch9wavefront6targetE1EEEvT1_,"axG",@progbits,_ZN7rocprim17ROCPRIM_400000_NS6detail17trampoline_kernelINS0_14default_configENS1_20scan_config_selectorIdEEZZNS1_9scan_implILNS1_25lookback_scan_determinismE0ELb0ELb0ES3_N6thrust23THRUST_200600_302600_NS6detail15normal_iteratorINS9_10device_ptrIdEEEESE_dNS9_4plusIvEEdEEDaPvRmT3_T4_T5_mT6_P12ihipStream_tbENKUlT_T0_E_clISt17integral_constantIbLb0EESU_EEDaSP_SQ_EUlSP_E_NS1_11comp_targetILNS1_3genE10ELNS1_11target_archE1200ELNS1_3gpuE4ELNS1_3repE0EEENS1_30default_config_static_selectorELNS0_4arch9wavefront6targetE1EEEvT1_,comdat
	.protected	_ZN7rocprim17ROCPRIM_400000_NS6detail17trampoline_kernelINS0_14default_configENS1_20scan_config_selectorIdEEZZNS1_9scan_implILNS1_25lookback_scan_determinismE0ELb0ELb0ES3_N6thrust23THRUST_200600_302600_NS6detail15normal_iteratorINS9_10device_ptrIdEEEESE_dNS9_4plusIvEEdEEDaPvRmT3_T4_T5_mT6_P12ihipStream_tbENKUlT_T0_E_clISt17integral_constantIbLb0EESU_EEDaSP_SQ_EUlSP_E_NS1_11comp_targetILNS1_3genE10ELNS1_11target_archE1200ELNS1_3gpuE4ELNS1_3repE0EEENS1_30default_config_static_selectorELNS0_4arch9wavefront6targetE1EEEvT1_ ; -- Begin function _ZN7rocprim17ROCPRIM_400000_NS6detail17trampoline_kernelINS0_14default_configENS1_20scan_config_selectorIdEEZZNS1_9scan_implILNS1_25lookback_scan_determinismE0ELb0ELb0ES3_N6thrust23THRUST_200600_302600_NS6detail15normal_iteratorINS9_10device_ptrIdEEEESE_dNS9_4plusIvEEdEEDaPvRmT3_T4_T5_mT6_P12ihipStream_tbENKUlT_T0_E_clISt17integral_constantIbLb0EESU_EEDaSP_SQ_EUlSP_E_NS1_11comp_targetILNS1_3genE10ELNS1_11target_archE1200ELNS1_3gpuE4ELNS1_3repE0EEENS1_30default_config_static_selectorELNS0_4arch9wavefront6targetE1EEEvT1_
	.globl	_ZN7rocprim17ROCPRIM_400000_NS6detail17trampoline_kernelINS0_14default_configENS1_20scan_config_selectorIdEEZZNS1_9scan_implILNS1_25lookback_scan_determinismE0ELb0ELb0ES3_N6thrust23THRUST_200600_302600_NS6detail15normal_iteratorINS9_10device_ptrIdEEEESE_dNS9_4plusIvEEdEEDaPvRmT3_T4_T5_mT6_P12ihipStream_tbENKUlT_T0_E_clISt17integral_constantIbLb0EESU_EEDaSP_SQ_EUlSP_E_NS1_11comp_targetILNS1_3genE10ELNS1_11target_archE1200ELNS1_3gpuE4ELNS1_3repE0EEENS1_30default_config_static_selectorELNS0_4arch9wavefront6targetE1EEEvT1_
	.p2align	8
	.type	_ZN7rocprim17ROCPRIM_400000_NS6detail17trampoline_kernelINS0_14default_configENS1_20scan_config_selectorIdEEZZNS1_9scan_implILNS1_25lookback_scan_determinismE0ELb0ELb0ES3_N6thrust23THRUST_200600_302600_NS6detail15normal_iteratorINS9_10device_ptrIdEEEESE_dNS9_4plusIvEEdEEDaPvRmT3_T4_T5_mT6_P12ihipStream_tbENKUlT_T0_E_clISt17integral_constantIbLb0EESU_EEDaSP_SQ_EUlSP_E_NS1_11comp_targetILNS1_3genE10ELNS1_11target_archE1200ELNS1_3gpuE4ELNS1_3repE0EEENS1_30default_config_static_selectorELNS0_4arch9wavefront6targetE1EEEvT1_,@function
_ZN7rocprim17ROCPRIM_400000_NS6detail17trampoline_kernelINS0_14default_configENS1_20scan_config_selectorIdEEZZNS1_9scan_implILNS1_25lookback_scan_determinismE0ELb0ELb0ES3_N6thrust23THRUST_200600_302600_NS6detail15normal_iteratorINS9_10device_ptrIdEEEESE_dNS9_4plusIvEEdEEDaPvRmT3_T4_T5_mT6_P12ihipStream_tbENKUlT_T0_E_clISt17integral_constantIbLb0EESU_EEDaSP_SQ_EUlSP_E_NS1_11comp_targetILNS1_3genE10ELNS1_11target_archE1200ELNS1_3gpuE4ELNS1_3repE0EEENS1_30default_config_static_selectorELNS0_4arch9wavefront6targetE1EEEvT1_: ; @_ZN7rocprim17ROCPRIM_400000_NS6detail17trampoline_kernelINS0_14default_configENS1_20scan_config_selectorIdEEZZNS1_9scan_implILNS1_25lookback_scan_determinismE0ELb0ELb0ES3_N6thrust23THRUST_200600_302600_NS6detail15normal_iteratorINS9_10device_ptrIdEEEESE_dNS9_4plusIvEEdEEDaPvRmT3_T4_T5_mT6_P12ihipStream_tbENKUlT_T0_E_clISt17integral_constantIbLb0EESU_EEDaSP_SQ_EUlSP_E_NS1_11comp_targetILNS1_3genE10ELNS1_11target_archE1200ELNS1_3gpuE4ELNS1_3repE0EEENS1_30default_config_static_selectorELNS0_4arch9wavefront6targetE1EEEvT1_
; %bb.0:
	.section	.rodata,"a",@progbits
	.p2align	6, 0x0
	.amdhsa_kernel _ZN7rocprim17ROCPRIM_400000_NS6detail17trampoline_kernelINS0_14default_configENS1_20scan_config_selectorIdEEZZNS1_9scan_implILNS1_25lookback_scan_determinismE0ELb0ELb0ES3_N6thrust23THRUST_200600_302600_NS6detail15normal_iteratorINS9_10device_ptrIdEEEESE_dNS9_4plusIvEEdEEDaPvRmT3_T4_T5_mT6_P12ihipStream_tbENKUlT_T0_E_clISt17integral_constantIbLb0EESU_EEDaSP_SQ_EUlSP_E_NS1_11comp_targetILNS1_3genE10ELNS1_11target_archE1200ELNS1_3gpuE4ELNS1_3repE0EEENS1_30default_config_static_selectorELNS0_4arch9wavefront6targetE1EEEvT1_
		.amdhsa_group_segment_fixed_size 0
		.amdhsa_private_segment_fixed_size 0
		.amdhsa_kernarg_size 104
		.amdhsa_user_sgpr_count 6
		.amdhsa_user_sgpr_private_segment_buffer 1
		.amdhsa_user_sgpr_dispatch_ptr 0
		.amdhsa_user_sgpr_queue_ptr 0
		.amdhsa_user_sgpr_kernarg_segment_ptr 1
		.amdhsa_user_sgpr_dispatch_id 0
		.amdhsa_user_sgpr_flat_scratch_init 0
		.amdhsa_user_sgpr_kernarg_preload_length 0
		.amdhsa_user_sgpr_kernarg_preload_offset 0
		.amdhsa_user_sgpr_private_segment_size 0
		.amdhsa_uses_dynamic_stack 0
		.amdhsa_system_sgpr_private_segment_wavefront_offset 0
		.amdhsa_system_sgpr_workgroup_id_x 1
		.amdhsa_system_sgpr_workgroup_id_y 0
		.amdhsa_system_sgpr_workgroup_id_z 0
		.amdhsa_system_sgpr_workgroup_info 0
		.amdhsa_system_vgpr_workitem_id 0
		.amdhsa_next_free_vgpr 1
		.amdhsa_next_free_sgpr 0
		.amdhsa_accum_offset 4
		.amdhsa_reserve_vcc 0
		.amdhsa_reserve_flat_scratch 0
		.amdhsa_float_round_mode_32 0
		.amdhsa_float_round_mode_16_64 0
		.amdhsa_float_denorm_mode_32 3
		.amdhsa_float_denorm_mode_16_64 3
		.amdhsa_dx10_clamp 1
		.amdhsa_ieee_mode 1
		.amdhsa_fp16_overflow 0
		.amdhsa_tg_split 0
		.amdhsa_exception_fp_ieee_invalid_op 0
		.amdhsa_exception_fp_denorm_src 0
		.amdhsa_exception_fp_ieee_div_zero 0
		.amdhsa_exception_fp_ieee_overflow 0
		.amdhsa_exception_fp_ieee_underflow 0
		.amdhsa_exception_fp_ieee_inexact 0
		.amdhsa_exception_int_div_zero 0
	.end_amdhsa_kernel
	.section	.text._ZN7rocprim17ROCPRIM_400000_NS6detail17trampoline_kernelINS0_14default_configENS1_20scan_config_selectorIdEEZZNS1_9scan_implILNS1_25lookback_scan_determinismE0ELb0ELb0ES3_N6thrust23THRUST_200600_302600_NS6detail15normal_iteratorINS9_10device_ptrIdEEEESE_dNS9_4plusIvEEdEEDaPvRmT3_T4_T5_mT6_P12ihipStream_tbENKUlT_T0_E_clISt17integral_constantIbLb0EESU_EEDaSP_SQ_EUlSP_E_NS1_11comp_targetILNS1_3genE10ELNS1_11target_archE1200ELNS1_3gpuE4ELNS1_3repE0EEENS1_30default_config_static_selectorELNS0_4arch9wavefront6targetE1EEEvT1_,"axG",@progbits,_ZN7rocprim17ROCPRIM_400000_NS6detail17trampoline_kernelINS0_14default_configENS1_20scan_config_selectorIdEEZZNS1_9scan_implILNS1_25lookback_scan_determinismE0ELb0ELb0ES3_N6thrust23THRUST_200600_302600_NS6detail15normal_iteratorINS9_10device_ptrIdEEEESE_dNS9_4plusIvEEdEEDaPvRmT3_T4_T5_mT6_P12ihipStream_tbENKUlT_T0_E_clISt17integral_constantIbLb0EESU_EEDaSP_SQ_EUlSP_E_NS1_11comp_targetILNS1_3genE10ELNS1_11target_archE1200ELNS1_3gpuE4ELNS1_3repE0EEENS1_30default_config_static_selectorELNS0_4arch9wavefront6targetE1EEEvT1_,comdat
.Lfunc_end4148:
	.size	_ZN7rocprim17ROCPRIM_400000_NS6detail17trampoline_kernelINS0_14default_configENS1_20scan_config_selectorIdEEZZNS1_9scan_implILNS1_25lookback_scan_determinismE0ELb0ELb0ES3_N6thrust23THRUST_200600_302600_NS6detail15normal_iteratorINS9_10device_ptrIdEEEESE_dNS9_4plusIvEEdEEDaPvRmT3_T4_T5_mT6_P12ihipStream_tbENKUlT_T0_E_clISt17integral_constantIbLb0EESU_EEDaSP_SQ_EUlSP_E_NS1_11comp_targetILNS1_3genE10ELNS1_11target_archE1200ELNS1_3gpuE4ELNS1_3repE0EEENS1_30default_config_static_selectorELNS0_4arch9wavefront6targetE1EEEvT1_, .Lfunc_end4148-_ZN7rocprim17ROCPRIM_400000_NS6detail17trampoline_kernelINS0_14default_configENS1_20scan_config_selectorIdEEZZNS1_9scan_implILNS1_25lookback_scan_determinismE0ELb0ELb0ES3_N6thrust23THRUST_200600_302600_NS6detail15normal_iteratorINS9_10device_ptrIdEEEESE_dNS9_4plusIvEEdEEDaPvRmT3_T4_T5_mT6_P12ihipStream_tbENKUlT_T0_E_clISt17integral_constantIbLb0EESU_EEDaSP_SQ_EUlSP_E_NS1_11comp_targetILNS1_3genE10ELNS1_11target_archE1200ELNS1_3gpuE4ELNS1_3repE0EEENS1_30default_config_static_selectorELNS0_4arch9wavefront6targetE1EEEvT1_
                                        ; -- End function
	.section	.AMDGPU.csdata,"",@progbits
; Kernel info:
; codeLenInByte = 0
; NumSgprs: 4
; NumVgprs: 0
; NumAgprs: 0
; TotalNumVgprs: 0
; ScratchSize: 0
; MemoryBound: 0
; FloatMode: 240
; IeeeMode: 1
; LDSByteSize: 0 bytes/workgroup (compile time only)
; SGPRBlocks: 0
; VGPRBlocks: 0
; NumSGPRsForWavesPerEU: 4
; NumVGPRsForWavesPerEU: 1
; AccumOffset: 4
; Occupancy: 8
; WaveLimiterHint : 0
; COMPUTE_PGM_RSRC2:SCRATCH_EN: 0
; COMPUTE_PGM_RSRC2:USER_SGPR: 6
; COMPUTE_PGM_RSRC2:TRAP_HANDLER: 0
; COMPUTE_PGM_RSRC2:TGID_X_EN: 1
; COMPUTE_PGM_RSRC2:TGID_Y_EN: 0
; COMPUTE_PGM_RSRC2:TGID_Z_EN: 0
; COMPUTE_PGM_RSRC2:TIDIG_COMP_CNT: 0
; COMPUTE_PGM_RSRC3_GFX90A:ACCUM_OFFSET: 0
; COMPUTE_PGM_RSRC3_GFX90A:TG_SPLIT: 0
	.section	.text._ZN7rocprim17ROCPRIM_400000_NS6detail17trampoline_kernelINS0_14default_configENS1_20scan_config_selectorIdEEZZNS1_9scan_implILNS1_25lookback_scan_determinismE0ELb0ELb0ES3_N6thrust23THRUST_200600_302600_NS6detail15normal_iteratorINS9_10device_ptrIdEEEESE_dNS9_4plusIvEEdEEDaPvRmT3_T4_T5_mT6_P12ihipStream_tbENKUlT_T0_E_clISt17integral_constantIbLb0EESU_EEDaSP_SQ_EUlSP_E_NS1_11comp_targetILNS1_3genE9ELNS1_11target_archE1100ELNS1_3gpuE3ELNS1_3repE0EEENS1_30default_config_static_selectorELNS0_4arch9wavefront6targetE1EEEvT1_,"axG",@progbits,_ZN7rocprim17ROCPRIM_400000_NS6detail17trampoline_kernelINS0_14default_configENS1_20scan_config_selectorIdEEZZNS1_9scan_implILNS1_25lookback_scan_determinismE0ELb0ELb0ES3_N6thrust23THRUST_200600_302600_NS6detail15normal_iteratorINS9_10device_ptrIdEEEESE_dNS9_4plusIvEEdEEDaPvRmT3_T4_T5_mT6_P12ihipStream_tbENKUlT_T0_E_clISt17integral_constantIbLb0EESU_EEDaSP_SQ_EUlSP_E_NS1_11comp_targetILNS1_3genE9ELNS1_11target_archE1100ELNS1_3gpuE3ELNS1_3repE0EEENS1_30default_config_static_selectorELNS0_4arch9wavefront6targetE1EEEvT1_,comdat
	.protected	_ZN7rocprim17ROCPRIM_400000_NS6detail17trampoline_kernelINS0_14default_configENS1_20scan_config_selectorIdEEZZNS1_9scan_implILNS1_25lookback_scan_determinismE0ELb0ELb0ES3_N6thrust23THRUST_200600_302600_NS6detail15normal_iteratorINS9_10device_ptrIdEEEESE_dNS9_4plusIvEEdEEDaPvRmT3_T4_T5_mT6_P12ihipStream_tbENKUlT_T0_E_clISt17integral_constantIbLb0EESU_EEDaSP_SQ_EUlSP_E_NS1_11comp_targetILNS1_3genE9ELNS1_11target_archE1100ELNS1_3gpuE3ELNS1_3repE0EEENS1_30default_config_static_selectorELNS0_4arch9wavefront6targetE1EEEvT1_ ; -- Begin function _ZN7rocprim17ROCPRIM_400000_NS6detail17trampoline_kernelINS0_14default_configENS1_20scan_config_selectorIdEEZZNS1_9scan_implILNS1_25lookback_scan_determinismE0ELb0ELb0ES3_N6thrust23THRUST_200600_302600_NS6detail15normal_iteratorINS9_10device_ptrIdEEEESE_dNS9_4plusIvEEdEEDaPvRmT3_T4_T5_mT6_P12ihipStream_tbENKUlT_T0_E_clISt17integral_constantIbLb0EESU_EEDaSP_SQ_EUlSP_E_NS1_11comp_targetILNS1_3genE9ELNS1_11target_archE1100ELNS1_3gpuE3ELNS1_3repE0EEENS1_30default_config_static_selectorELNS0_4arch9wavefront6targetE1EEEvT1_
	.globl	_ZN7rocprim17ROCPRIM_400000_NS6detail17trampoline_kernelINS0_14default_configENS1_20scan_config_selectorIdEEZZNS1_9scan_implILNS1_25lookback_scan_determinismE0ELb0ELb0ES3_N6thrust23THRUST_200600_302600_NS6detail15normal_iteratorINS9_10device_ptrIdEEEESE_dNS9_4plusIvEEdEEDaPvRmT3_T4_T5_mT6_P12ihipStream_tbENKUlT_T0_E_clISt17integral_constantIbLb0EESU_EEDaSP_SQ_EUlSP_E_NS1_11comp_targetILNS1_3genE9ELNS1_11target_archE1100ELNS1_3gpuE3ELNS1_3repE0EEENS1_30default_config_static_selectorELNS0_4arch9wavefront6targetE1EEEvT1_
	.p2align	8
	.type	_ZN7rocprim17ROCPRIM_400000_NS6detail17trampoline_kernelINS0_14default_configENS1_20scan_config_selectorIdEEZZNS1_9scan_implILNS1_25lookback_scan_determinismE0ELb0ELb0ES3_N6thrust23THRUST_200600_302600_NS6detail15normal_iteratorINS9_10device_ptrIdEEEESE_dNS9_4plusIvEEdEEDaPvRmT3_T4_T5_mT6_P12ihipStream_tbENKUlT_T0_E_clISt17integral_constantIbLb0EESU_EEDaSP_SQ_EUlSP_E_NS1_11comp_targetILNS1_3genE9ELNS1_11target_archE1100ELNS1_3gpuE3ELNS1_3repE0EEENS1_30default_config_static_selectorELNS0_4arch9wavefront6targetE1EEEvT1_,@function
_ZN7rocprim17ROCPRIM_400000_NS6detail17trampoline_kernelINS0_14default_configENS1_20scan_config_selectorIdEEZZNS1_9scan_implILNS1_25lookback_scan_determinismE0ELb0ELb0ES3_N6thrust23THRUST_200600_302600_NS6detail15normal_iteratorINS9_10device_ptrIdEEEESE_dNS9_4plusIvEEdEEDaPvRmT3_T4_T5_mT6_P12ihipStream_tbENKUlT_T0_E_clISt17integral_constantIbLb0EESU_EEDaSP_SQ_EUlSP_E_NS1_11comp_targetILNS1_3genE9ELNS1_11target_archE1100ELNS1_3gpuE3ELNS1_3repE0EEENS1_30default_config_static_selectorELNS0_4arch9wavefront6targetE1EEEvT1_: ; @_ZN7rocprim17ROCPRIM_400000_NS6detail17trampoline_kernelINS0_14default_configENS1_20scan_config_selectorIdEEZZNS1_9scan_implILNS1_25lookback_scan_determinismE0ELb0ELb0ES3_N6thrust23THRUST_200600_302600_NS6detail15normal_iteratorINS9_10device_ptrIdEEEESE_dNS9_4plusIvEEdEEDaPvRmT3_T4_T5_mT6_P12ihipStream_tbENKUlT_T0_E_clISt17integral_constantIbLb0EESU_EEDaSP_SQ_EUlSP_E_NS1_11comp_targetILNS1_3genE9ELNS1_11target_archE1100ELNS1_3gpuE3ELNS1_3repE0EEENS1_30default_config_static_selectorELNS0_4arch9wavefront6targetE1EEEvT1_
; %bb.0:
	.section	.rodata,"a",@progbits
	.p2align	6, 0x0
	.amdhsa_kernel _ZN7rocprim17ROCPRIM_400000_NS6detail17trampoline_kernelINS0_14default_configENS1_20scan_config_selectorIdEEZZNS1_9scan_implILNS1_25lookback_scan_determinismE0ELb0ELb0ES3_N6thrust23THRUST_200600_302600_NS6detail15normal_iteratorINS9_10device_ptrIdEEEESE_dNS9_4plusIvEEdEEDaPvRmT3_T4_T5_mT6_P12ihipStream_tbENKUlT_T0_E_clISt17integral_constantIbLb0EESU_EEDaSP_SQ_EUlSP_E_NS1_11comp_targetILNS1_3genE9ELNS1_11target_archE1100ELNS1_3gpuE3ELNS1_3repE0EEENS1_30default_config_static_selectorELNS0_4arch9wavefront6targetE1EEEvT1_
		.amdhsa_group_segment_fixed_size 0
		.amdhsa_private_segment_fixed_size 0
		.amdhsa_kernarg_size 104
		.amdhsa_user_sgpr_count 6
		.amdhsa_user_sgpr_private_segment_buffer 1
		.amdhsa_user_sgpr_dispatch_ptr 0
		.amdhsa_user_sgpr_queue_ptr 0
		.amdhsa_user_sgpr_kernarg_segment_ptr 1
		.amdhsa_user_sgpr_dispatch_id 0
		.amdhsa_user_sgpr_flat_scratch_init 0
		.amdhsa_user_sgpr_kernarg_preload_length 0
		.amdhsa_user_sgpr_kernarg_preload_offset 0
		.amdhsa_user_sgpr_private_segment_size 0
		.amdhsa_uses_dynamic_stack 0
		.amdhsa_system_sgpr_private_segment_wavefront_offset 0
		.amdhsa_system_sgpr_workgroup_id_x 1
		.amdhsa_system_sgpr_workgroup_id_y 0
		.amdhsa_system_sgpr_workgroup_id_z 0
		.amdhsa_system_sgpr_workgroup_info 0
		.amdhsa_system_vgpr_workitem_id 0
		.amdhsa_next_free_vgpr 1
		.amdhsa_next_free_sgpr 0
		.amdhsa_accum_offset 4
		.amdhsa_reserve_vcc 0
		.amdhsa_reserve_flat_scratch 0
		.amdhsa_float_round_mode_32 0
		.amdhsa_float_round_mode_16_64 0
		.amdhsa_float_denorm_mode_32 3
		.amdhsa_float_denorm_mode_16_64 3
		.amdhsa_dx10_clamp 1
		.amdhsa_ieee_mode 1
		.amdhsa_fp16_overflow 0
		.amdhsa_tg_split 0
		.amdhsa_exception_fp_ieee_invalid_op 0
		.amdhsa_exception_fp_denorm_src 0
		.amdhsa_exception_fp_ieee_div_zero 0
		.amdhsa_exception_fp_ieee_overflow 0
		.amdhsa_exception_fp_ieee_underflow 0
		.amdhsa_exception_fp_ieee_inexact 0
		.amdhsa_exception_int_div_zero 0
	.end_amdhsa_kernel
	.section	.text._ZN7rocprim17ROCPRIM_400000_NS6detail17trampoline_kernelINS0_14default_configENS1_20scan_config_selectorIdEEZZNS1_9scan_implILNS1_25lookback_scan_determinismE0ELb0ELb0ES3_N6thrust23THRUST_200600_302600_NS6detail15normal_iteratorINS9_10device_ptrIdEEEESE_dNS9_4plusIvEEdEEDaPvRmT3_T4_T5_mT6_P12ihipStream_tbENKUlT_T0_E_clISt17integral_constantIbLb0EESU_EEDaSP_SQ_EUlSP_E_NS1_11comp_targetILNS1_3genE9ELNS1_11target_archE1100ELNS1_3gpuE3ELNS1_3repE0EEENS1_30default_config_static_selectorELNS0_4arch9wavefront6targetE1EEEvT1_,"axG",@progbits,_ZN7rocprim17ROCPRIM_400000_NS6detail17trampoline_kernelINS0_14default_configENS1_20scan_config_selectorIdEEZZNS1_9scan_implILNS1_25lookback_scan_determinismE0ELb0ELb0ES3_N6thrust23THRUST_200600_302600_NS6detail15normal_iteratorINS9_10device_ptrIdEEEESE_dNS9_4plusIvEEdEEDaPvRmT3_T4_T5_mT6_P12ihipStream_tbENKUlT_T0_E_clISt17integral_constantIbLb0EESU_EEDaSP_SQ_EUlSP_E_NS1_11comp_targetILNS1_3genE9ELNS1_11target_archE1100ELNS1_3gpuE3ELNS1_3repE0EEENS1_30default_config_static_selectorELNS0_4arch9wavefront6targetE1EEEvT1_,comdat
.Lfunc_end4149:
	.size	_ZN7rocprim17ROCPRIM_400000_NS6detail17trampoline_kernelINS0_14default_configENS1_20scan_config_selectorIdEEZZNS1_9scan_implILNS1_25lookback_scan_determinismE0ELb0ELb0ES3_N6thrust23THRUST_200600_302600_NS6detail15normal_iteratorINS9_10device_ptrIdEEEESE_dNS9_4plusIvEEdEEDaPvRmT3_T4_T5_mT6_P12ihipStream_tbENKUlT_T0_E_clISt17integral_constantIbLb0EESU_EEDaSP_SQ_EUlSP_E_NS1_11comp_targetILNS1_3genE9ELNS1_11target_archE1100ELNS1_3gpuE3ELNS1_3repE0EEENS1_30default_config_static_selectorELNS0_4arch9wavefront6targetE1EEEvT1_, .Lfunc_end4149-_ZN7rocprim17ROCPRIM_400000_NS6detail17trampoline_kernelINS0_14default_configENS1_20scan_config_selectorIdEEZZNS1_9scan_implILNS1_25lookback_scan_determinismE0ELb0ELb0ES3_N6thrust23THRUST_200600_302600_NS6detail15normal_iteratorINS9_10device_ptrIdEEEESE_dNS9_4plusIvEEdEEDaPvRmT3_T4_T5_mT6_P12ihipStream_tbENKUlT_T0_E_clISt17integral_constantIbLb0EESU_EEDaSP_SQ_EUlSP_E_NS1_11comp_targetILNS1_3genE9ELNS1_11target_archE1100ELNS1_3gpuE3ELNS1_3repE0EEENS1_30default_config_static_selectorELNS0_4arch9wavefront6targetE1EEEvT1_
                                        ; -- End function
	.section	.AMDGPU.csdata,"",@progbits
; Kernel info:
; codeLenInByte = 0
; NumSgprs: 4
; NumVgprs: 0
; NumAgprs: 0
; TotalNumVgprs: 0
; ScratchSize: 0
; MemoryBound: 0
; FloatMode: 240
; IeeeMode: 1
; LDSByteSize: 0 bytes/workgroup (compile time only)
; SGPRBlocks: 0
; VGPRBlocks: 0
; NumSGPRsForWavesPerEU: 4
; NumVGPRsForWavesPerEU: 1
; AccumOffset: 4
; Occupancy: 8
; WaveLimiterHint : 0
; COMPUTE_PGM_RSRC2:SCRATCH_EN: 0
; COMPUTE_PGM_RSRC2:USER_SGPR: 6
; COMPUTE_PGM_RSRC2:TRAP_HANDLER: 0
; COMPUTE_PGM_RSRC2:TGID_X_EN: 1
; COMPUTE_PGM_RSRC2:TGID_Y_EN: 0
; COMPUTE_PGM_RSRC2:TGID_Z_EN: 0
; COMPUTE_PGM_RSRC2:TIDIG_COMP_CNT: 0
; COMPUTE_PGM_RSRC3_GFX90A:ACCUM_OFFSET: 0
; COMPUTE_PGM_RSRC3_GFX90A:TG_SPLIT: 0
	.section	.text._ZN7rocprim17ROCPRIM_400000_NS6detail17trampoline_kernelINS0_14default_configENS1_20scan_config_selectorIdEEZZNS1_9scan_implILNS1_25lookback_scan_determinismE0ELb0ELb0ES3_N6thrust23THRUST_200600_302600_NS6detail15normal_iteratorINS9_10device_ptrIdEEEESE_dNS9_4plusIvEEdEEDaPvRmT3_T4_T5_mT6_P12ihipStream_tbENKUlT_T0_E_clISt17integral_constantIbLb0EESU_EEDaSP_SQ_EUlSP_E_NS1_11comp_targetILNS1_3genE8ELNS1_11target_archE1030ELNS1_3gpuE2ELNS1_3repE0EEENS1_30default_config_static_selectorELNS0_4arch9wavefront6targetE1EEEvT1_,"axG",@progbits,_ZN7rocprim17ROCPRIM_400000_NS6detail17trampoline_kernelINS0_14default_configENS1_20scan_config_selectorIdEEZZNS1_9scan_implILNS1_25lookback_scan_determinismE0ELb0ELb0ES3_N6thrust23THRUST_200600_302600_NS6detail15normal_iteratorINS9_10device_ptrIdEEEESE_dNS9_4plusIvEEdEEDaPvRmT3_T4_T5_mT6_P12ihipStream_tbENKUlT_T0_E_clISt17integral_constantIbLb0EESU_EEDaSP_SQ_EUlSP_E_NS1_11comp_targetILNS1_3genE8ELNS1_11target_archE1030ELNS1_3gpuE2ELNS1_3repE0EEENS1_30default_config_static_selectorELNS0_4arch9wavefront6targetE1EEEvT1_,comdat
	.protected	_ZN7rocprim17ROCPRIM_400000_NS6detail17trampoline_kernelINS0_14default_configENS1_20scan_config_selectorIdEEZZNS1_9scan_implILNS1_25lookback_scan_determinismE0ELb0ELb0ES3_N6thrust23THRUST_200600_302600_NS6detail15normal_iteratorINS9_10device_ptrIdEEEESE_dNS9_4plusIvEEdEEDaPvRmT3_T4_T5_mT6_P12ihipStream_tbENKUlT_T0_E_clISt17integral_constantIbLb0EESU_EEDaSP_SQ_EUlSP_E_NS1_11comp_targetILNS1_3genE8ELNS1_11target_archE1030ELNS1_3gpuE2ELNS1_3repE0EEENS1_30default_config_static_selectorELNS0_4arch9wavefront6targetE1EEEvT1_ ; -- Begin function _ZN7rocprim17ROCPRIM_400000_NS6detail17trampoline_kernelINS0_14default_configENS1_20scan_config_selectorIdEEZZNS1_9scan_implILNS1_25lookback_scan_determinismE0ELb0ELb0ES3_N6thrust23THRUST_200600_302600_NS6detail15normal_iteratorINS9_10device_ptrIdEEEESE_dNS9_4plusIvEEdEEDaPvRmT3_T4_T5_mT6_P12ihipStream_tbENKUlT_T0_E_clISt17integral_constantIbLb0EESU_EEDaSP_SQ_EUlSP_E_NS1_11comp_targetILNS1_3genE8ELNS1_11target_archE1030ELNS1_3gpuE2ELNS1_3repE0EEENS1_30default_config_static_selectorELNS0_4arch9wavefront6targetE1EEEvT1_
	.globl	_ZN7rocprim17ROCPRIM_400000_NS6detail17trampoline_kernelINS0_14default_configENS1_20scan_config_selectorIdEEZZNS1_9scan_implILNS1_25lookback_scan_determinismE0ELb0ELb0ES3_N6thrust23THRUST_200600_302600_NS6detail15normal_iteratorINS9_10device_ptrIdEEEESE_dNS9_4plusIvEEdEEDaPvRmT3_T4_T5_mT6_P12ihipStream_tbENKUlT_T0_E_clISt17integral_constantIbLb0EESU_EEDaSP_SQ_EUlSP_E_NS1_11comp_targetILNS1_3genE8ELNS1_11target_archE1030ELNS1_3gpuE2ELNS1_3repE0EEENS1_30default_config_static_selectorELNS0_4arch9wavefront6targetE1EEEvT1_
	.p2align	8
	.type	_ZN7rocprim17ROCPRIM_400000_NS6detail17trampoline_kernelINS0_14default_configENS1_20scan_config_selectorIdEEZZNS1_9scan_implILNS1_25lookback_scan_determinismE0ELb0ELb0ES3_N6thrust23THRUST_200600_302600_NS6detail15normal_iteratorINS9_10device_ptrIdEEEESE_dNS9_4plusIvEEdEEDaPvRmT3_T4_T5_mT6_P12ihipStream_tbENKUlT_T0_E_clISt17integral_constantIbLb0EESU_EEDaSP_SQ_EUlSP_E_NS1_11comp_targetILNS1_3genE8ELNS1_11target_archE1030ELNS1_3gpuE2ELNS1_3repE0EEENS1_30default_config_static_selectorELNS0_4arch9wavefront6targetE1EEEvT1_,@function
_ZN7rocprim17ROCPRIM_400000_NS6detail17trampoline_kernelINS0_14default_configENS1_20scan_config_selectorIdEEZZNS1_9scan_implILNS1_25lookback_scan_determinismE0ELb0ELb0ES3_N6thrust23THRUST_200600_302600_NS6detail15normal_iteratorINS9_10device_ptrIdEEEESE_dNS9_4plusIvEEdEEDaPvRmT3_T4_T5_mT6_P12ihipStream_tbENKUlT_T0_E_clISt17integral_constantIbLb0EESU_EEDaSP_SQ_EUlSP_E_NS1_11comp_targetILNS1_3genE8ELNS1_11target_archE1030ELNS1_3gpuE2ELNS1_3repE0EEENS1_30default_config_static_selectorELNS0_4arch9wavefront6targetE1EEEvT1_: ; @_ZN7rocprim17ROCPRIM_400000_NS6detail17trampoline_kernelINS0_14default_configENS1_20scan_config_selectorIdEEZZNS1_9scan_implILNS1_25lookback_scan_determinismE0ELb0ELb0ES3_N6thrust23THRUST_200600_302600_NS6detail15normal_iteratorINS9_10device_ptrIdEEEESE_dNS9_4plusIvEEdEEDaPvRmT3_T4_T5_mT6_P12ihipStream_tbENKUlT_T0_E_clISt17integral_constantIbLb0EESU_EEDaSP_SQ_EUlSP_E_NS1_11comp_targetILNS1_3genE8ELNS1_11target_archE1030ELNS1_3gpuE2ELNS1_3repE0EEENS1_30default_config_static_selectorELNS0_4arch9wavefront6targetE1EEEvT1_
; %bb.0:
	.section	.rodata,"a",@progbits
	.p2align	6, 0x0
	.amdhsa_kernel _ZN7rocprim17ROCPRIM_400000_NS6detail17trampoline_kernelINS0_14default_configENS1_20scan_config_selectorIdEEZZNS1_9scan_implILNS1_25lookback_scan_determinismE0ELb0ELb0ES3_N6thrust23THRUST_200600_302600_NS6detail15normal_iteratorINS9_10device_ptrIdEEEESE_dNS9_4plusIvEEdEEDaPvRmT3_T4_T5_mT6_P12ihipStream_tbENKUlT_T0_E_clISt17integral_constantIbLb0EESU_EEDaSP_SQ_EUlSP_E_NS1_11comp_targetILNS1_3genE8ELNS1_11target_archE1030ELNS1_3gpuE2ELNS1_3repE0EEENS1_30default_config_static_selectorELNS0_4arch9wavefront6targetE1EEEvT1_
		.amdhsa_group_segment_fixed_size 0
		.amdhsa_private_segment_fixed_size 0
		.amdhsa_kernarg_size 104
		.amdhsa_user_sgpr_count 6
		.amdhsa_user_sgpr_private_segment_buffer 1
		.amdhsa_user_sgpr_dispatch_ptr 0
		.amdhsa_user_sgpr_queue_ptr 0
		.amdhsa_user_sgpr_kernarg_segment_ptr 1
		.amdhsa_user_sgpr_dispatch_id 0
		.amdhsa_user_sgpr_flat_scratch_init 0
		.amdhsa_user_sgpr_kernarg_preload_length 0
		.amdhsa_user_sgpr_kernarg_preload_offset 0
		.amdhsa_user_sgpr_private_segment_size 0
		.amdhsa_uses_dynamic_stack 0
		.amdhsa_system_sgpr_private_segment_wavefront_offset 0
		.amdhsa_system_sgpr_workgroup_id_x 1
		.amdhsa_system_sgpr_workgroup_id_y 0
		.amdhsa_system_sgpr_workgroup_id_z 0
		.amdhsa_system_sgpr_workgroup_info 0
		.amdhsa_system_vgpr_workitem_id 0
		.amdhsa_next_free_vgpr 1
		.amdhsa_next_free_sgpr 0
		.amdhsa_accum_offset 4
		.amdhsa_reserve_vcc 0
		.amdhsa_reserve_flat_scratch 0
		.amdhsa_float_round_mode_32 0
		.amdhsa_float_round_mode_16_64 0
		.amdhsa_float_denorm_mode_32 3
		.amdhsa_float_denorm_mode_16_64 3
		.amdhsa_dx10_clamp 1
		.amdhsa_ieee_mode 1
		.amdhsa_fp16_overflow 0
		.amdhsa_tg_split 0
		.amdhsa_exception_fp_ieee_invalid_op 0
		.amdhsa_exception_fp_denorm_src 0
		.amdhsa_exception_fp_ieee_div_zero 0
		.amdhsa_exception_fp_ieee_overflow 0
		.amdhsa_exception_fp_ieee_underflow 0
		.amdhsa_exception_fp_ieee_inexact 0
		.amdhsa_exception_int_div_zero 0
	.end_amdhsa_kernel
	.section	.text._ZN7rocprim17ROCPRIM_400000_NS6detail17trampoline_kernelINS0_14default_configENS1_20scan_config_selectorIdEEZZNS1_9scan_implILNS1_25lookback_scan_determinismE0ELb0ELb0ES3_N6thrust23THRUST_200600_302600_NS6detail15normal_iteratorINS9_10device_ptrIdEEEESE_dNS9_4plusIvEEdEEDaPvRmT3_T4_T5_mT6_P12ihipStream_tbENKUlT_T0_E_clISt17integral_constantIbLb0EESU_EEDaSP_SQ_EUlSP_E_NS1_11comp_targetILNS1_3genE8ELNS1_11target_archE1030ELNS1_3gpuE2ELNS1_3repE0EEENS1_30default_config_static_selectorELNS0_4arch9wavefront6targetE1EEEvT1_,"axG",@progbits,_ZN7rocprim17ROCPRIM_400000_NS6detail17trampoline_kernelINS0_14default_configENS1_20scan_config_selectorIdEEZZNS1_9scan_implILNS1_25lookback_scan_determinismE0ELb0ELb0ES3_N6thrust23THRUST_200600_302600_NS6detail15normal_iteratorINS9_10device_ptrIdEEEESE_dNS9_4plusIvEEdEEDaPvRmT3_T4_T5_mT6_P12ihipStream_tbENKUlT_T0_E_clISt17integral_constantIbLb0EESU_EEDaSP_SQ_EUlSP_E_NS1_11comp_targetILNS1_3genE8ELNS1_11target_archE1030ELNS1_3gpuE2ELNS1_3repE0EEENS1_30default_config_static_selectorELNS0_4arch9wavefront6targetE1EEEvT1_,comdat
.Lfunc_end4150:
	.size	_ZN7rocprim17ROCPRIM_400000_NS6detail17trampoline_kernelINS0_14default_configENS1_20scan_config_selectorIdEEZZNS1_9scan_implILNS1_25lookback_scan_determinismE0ELb0ELb0ES3_N6thrust23THRUST_200600_302600_NS6detail15normal_iteratorINS9_10device_ptrIdEEEESE_dNS9_4plusIvEEdEEDaPvRmT3_T4_T5_mT6_P12ihipStream_tbENKUlT_T0_E_clISt17integral_constantIbLb0EESU_EEDaSP_SQ_EUlSP_E_NS1_11comp_targetILNS1_3genE8ELNS1_11target_archE1030ELNS1_3gpuE2ELNS1_3repE0EEENS1_30default_config_static_selectorELNS0_4arch9wavefront6targetE1EEEvT1_, .Lfunc_end4150-_ZN7rocprim17ROCPRIM_400000_NS6detail17trampoline_kernelINS0_14default_configENS1_20scan_config_selectorIdEEZZNS1_9scan_implILNS1_25lookback_scan_determinismE0ELb0ELb0ES3_N6thrust23THRUST_200600_302600_NS6detail15normal_iteratorINS9_10device_ptrIdEEEESE_dNS9_4plusIvEEdEEDaPvRmT3_T4_T5_mT6_P12ihipStream_tbENKUlT_T0_E_clISt17integral_constantIbLb0EESU_EEDaSP_SQ_EUlSP_E_NS1_11comp_targetILNS1_3genE8ELNS1_11target_archE1030ELNS1_3gpuE2ELNS1_3repE0EEENS1_30default_config_static_selectorELNS0_4arch9wavefront6targetE1EEEvT1_
                                        ; -- End function
	.section	.AMDGPU.csdata,"",@progbits
; Kernel info:
; codeLenInByte = 0
; NumSgprs: 4
; NumVgprs: 0
; NumAgprs: 0
; TotalNumVgprs: 0
; ScratchSize: 0
; MemoryBound: 0
; FloatMode: 240
; IeeeMode: 1
; LDSByteSize: 0 bytes/workgroup (compile time only)
; SGPRBlocks: 0
; VGPRBlocks: 0
; NumSGPRsForWavesPerEU: 4
; NumVGPRsForWavesPerEU: 1
; AccumOffset: 4
; Occupancy: 8
; WaveLimiterHint : 0
; COMPUTE_PGM_RSRC2:SCRATCH_EN: 0
; COMPUTE_PGM_RSRC2:USER_SGPR: 6
; COMPUTE_PGM_RSRC2:TRAP_HANDLER: 0
; COMPUTE_PGM_RSRC2:TGID_X_EN: 1
; COMPUTE_PGM_RSRC2:TGID_Y_EN: 0
; COMPUTE_PGM_RSRC2:TGID_Z_EN: 0
; COMPUTE_PGM_RSRC2:TIDIG_COMP_CNT: 0
; COMPUTE_PGM_RSRC3_GFX90A:ACCUM_OFFSET: 0
; COMPUTE_PGM_RSRC3_GFX90A:TG_SPLIT: 0
	.section	.text._ZN7rocprim17ROCPRIM_400000_NS6detail17trampoline_kernelINS0_14default_configENS1_20scan_config_selectorIdEEZZNS1_9scan_implILNS1_25lookback_scan_determinismE0ELb0ELb0ES3_N6thrust23THRUST_200600_302600_NS6detail15normal_iteratorINS9_10device_ptrIdEEEESE_dNS9_4plusIvEEdEEDaPvRmT3_T4_T5_mT6_P12ihipStream_tbENKUlT_T0_E_clISt17integral_constantIbLb0EESU_EEDaSP_SQ_EUlSP_E0_NS1_11comp_targetILNS1_3genE0ELNS1_11target_archE4294967295ELNS1_3gpuE0ELNS1_3repE0EEENS1_30default_config_static_selectorELNS0_4arch9wavefront6targetE1EEEvT1_,"axG",@progbits,_ZN7rocprim17ROCPRIM_400000_NS6detail17trampoline_kernelINS0_14default_configENS1_20scan_config_selectorIdEEZZNS1_9scan_implILNS1_25lookback_scan_determinismE0ELb0ELb0ES3_N6thrust23THRUST_200600_302600_NS6detail15normal_iteratorINS9_10device_ptrIdEEEESE_dNS9_4plusIvEEdEEDaPvRmT3_T4_T5_mT6_P12ihipStream_tbENKUlT_T0_E_clISt17integral_constantIbLb0EESU_EEDaSP_SQ_EUlSP_E0_NS1_11comp_targetILNS1_3genE0ELNS1_11target_archE4294967295ELNS1_3gpuE0ELNS1_3repE0EEENS1_30default_config_static_selectorELNS0_4arch9wavefront6targetE1EEEvT1_,comdat
	.protected	_ZN7rocprim17ROCPRIM_400000_NS6detail17trampoline_kernelINS0_14default_configENS1_20scan_config_selectorIdEEZZNS1_9scan_implILNS1_25lookback_scan_determinismE0ELb0ELb0ES3_N6thrust23THRUST_200600_302600_NS6detail15normal_iteratorINS9_10device_ptrIdEEEESE_dNS9_4plusIvEEdEEDaPvRmT3_T4_T5_mT6_P12ihipStream_tbENKUlT_T0_E_clISt17integral_constantIbLb0EESU_EEDaSP_SQ_EUlSP_E0_NS1_11comp_targetILNS1_3genE0ELNS1_11target_archE4294967295ELNS1_3gpuE0ELNS1_3repE0EEENS1_30default_config_static_selectorELNS0_4arch9wavefront6targetE1EEEvT1_ ; -- Begin function _ZN7rocprim17ROCPRIM_400000_NS6detail17trampoline_kernelINS0_14default_configENS1_20scan_config_selectorIdEEZZNS1_9scan_implILNS1_25lookback_scan_determinismE0ELb0ELb0ES3_N6thrust23THRUST_200600_302600_NS6detail15normal_iteratorINS9_10device_ptrIdEEEESE_dNS9_4plusIvEEdEEDaPvRmT3_T4_T5_mT6_P12ihipStream_tbENKUlT_T0_E_clISt17integral_constantIbLb0EESU_EEDaSP_SQ_EUlSP_E0_NS1_11comp_targetILNS1_3genE0ELNS1_11target_archE4294967295ELNS1_3gpuE0ELNS1_3repE0EEENS1_30default_config_static_selectorELNS0_4arch9wavefront6targetE1EEEvT1_
	.globl	_ZN7rocprim17ROCPRIM_400000_NS6detail17trampoline_kernelINS0_14default_configENS1_20scan_config_selectorIdEEZZNS1_9scan_implILNS1_25lookback_scan_determinismE0ELb0ELb0ES3_N6thrust23THRUST_200600_302600_NS6detail15normal_iteratorINS9_10device_ptrIdEEEESE_dNS9_4plusIvEEdEEDaPvRmT3_T4_T5_mT6_P12ihipStream_tbENKUlT_T0_E_clISt17integral_constantIbLb0EESU_EEDaSP_SQ_EUlSP_E0_NS1_11comp_targetILNS1_3genE0ELNS1_11target_archE4294967295ELNS1_3gpuE0ELNS1_3repE0EEENS1_30default_config_static_selectorELNS0_4arch9wavefront6targetE1EEEvT1_
	.p2align	8
	.type	_ZN7rocprim17ROCPRIM_400000_NS6detail17trampoline_kernelINS0_14default_configENS1_20scan_config_selectorIdEEZZNS1_9scan_implILNS1_25lookback_scan_determinismE0ELb0ELb0ES3_N6thrust23THRUST_200600_302600_NS6detail15normal_iteratorINS9_10device_ptrIdEEEESE_dNS9_4plusIvEEdEEDaPvRmT3_T4_T5_mT6_P12ihipStream_tbENKUlT_T0_E_clISt17integral_constantIbLb0EESU_EEDaSP_SQ_EUlSP_E0_NS1_11comp_targetILNS1_3genE0ELNS1_11target_archE4294967295ELNS1_3gpuE0ELNS1_3repE0EEENS1_30default_config_static_selectorELNS0_4arch9wavefront6targetE1EEEvT1_,@function
_ZN7rocprim17ROCPRIM_400000_NS6detail17trampoline_kernelINS0_14default_configENS1_20scan_config_selectorIdEEZZNS1_9scan_implILNS1_25lookback_scan_determinismE0ELb0ELb0ES3_N6thrust23THRUST_200600_302600_NS6detail15normal_iteratorINS9_10device_ptrIdEEEESE_dNS9_4plusIvEEdEEDaPvRmT3_T4_T5_mT6_P12ihipStream_tbENKUlT_T0_E_clISt17integral_constantIbLb0EESU_EEDaSP_SQ_EUlSP_E0_NS1_11comp_targetILNS1_3genE0ELNS1_11target_archE4294967295ELNS1_3gpuE0ELNS1_3repE0EEENS1_30default_config_static_selectorELNS0_4arch9wavefront6targetE1EEEvT1_: ; @_ZN7rocprim17ROCPRIM_400000_NS6detail17trampoline_kernelINS0_14default_configENS1_20scan_config_selectorIdEEZZNS1_9scan_implILNS1_25lookback_scan_determinismE0ELb0ELb0ES3_N6thrust23THRUST_200600_302600_NS6detail15normal_iteratorINS9_10device_ptrIdEEEESE_dNS9_4plusIvEEdEEDaPvRmT3_T4_T5_mT6_P12ihipStream_tbENKUlT_T0_E_clISt17integral_constantIbLb0EESU_EEDaSP_SQ_EUlSP_E0_NS1_11comp_targetILNS1_3genE0ELNS1_11target_archE4294967295ELNS1_3gpuE0ELNS1_3repE0EEENS1_30default_config_static_selectorELNS0_4arch9wavefront6targetE1EEEvT1_
; %bb.0:
	.section	.rodata,"a",@progbits
	.p2align	6, 0x0
	.amdhsa_kernel _ZN7rocprim17ROCPRIM_400000_NS6detail17trampoline_kernelINS0_14default_configENS1_20scan_config_selectorIdEEZZNS1_9scan_implILNS1_25lookback_scan_determinismE0ELb0ELb0ES3_N6thrust23THRUST_200600_302600_NS6detail15normal_iteratorINS9_10device_ptrIdEEEESE_dNS9_4plusIvEEdEEDaPvRmT3_T4_T5_mT6_P12ihipStream_tbENKUlT_T0_E_clISt17integral_constantIbLb0EESU_EEDaSP_SQ_EUlSP_E0_NS1_11comp_targetILNS1_3genE0ELNS1_11target_archE4294967295ELNS1_3gpuE0ELNS1_3repE0EEENS1_30default_config_static_selectorELNS0_4arch9wavefront6targetE1EEEvT1_
		.amdhsa_group_segment_fixed_size 0
		.amdhsa_private_segment_fixed_size 0
		.amdhsa_kernarg_size 40
		.amdhsa_user_sgpr_count 6
		.amdhsa_user_sgpr_private_segment_buffer 1
		.amdhsa_user_sgpr_dispatch_ptr 0
		.amdhsa_user_sgpr_queue_ptr 0
		.amdhsa_user_sgpr_kernarg_segment_ptr 1
		.amdhsa_user_sgpr_dispatch_id 0
		.amdhsa_user_sgpr_flat_scratch_init 0
		.amdhsa_user_sgpr_kernarg_preload_length 0
		.amdhsa_user_sgpr_kernarg_preload_offset 0
		.amdhsa_user_sgpr_private_segment_size 0
		.amdhsa_uses_dynamic_stack 0
		.amdhsa_system_sgpr_private_segment_wavefront_offset 0
		.amdhsa_system_sgpr_workgroup_id_x 1
		.amdhsa_system_sgpr_workgroup_id_y 0
		.amdhsa_system_sgpr_workgroup_id_z 0
		.amdhsa_system_sgpr_workgroup_info 0
		.amdhsa_system_vgpr_workitem_id 0
		.amdhsa_next_free_vgpr 1
		.amdhsa_next_free_sgpr 0
		.amdhsa_accum_offset 4
		.amdhsa_reserve_vcc 0
		.amdhsa_reserve_flat_scratch 0
		.amdhsa_float_round_mode_32 0
		.amdhsa_float_round_mode_16_64 0
		.amdhsa_float_denorm_mode_32 3
		.amdhsa_float_denorm_mode_16_64 3
		.amdhsa_dx10_clamp 1
		.amdhsa_ieee_mode 1
		.amdhsa_fp16_overflow 0
		.amdhsa_tg_split 0
		.amdhsa_exception_fp_ieee_invalid_op 0
		.amdhsa_exception_fp_denorm_src 0
		.amdhsa_exception_fp_ieee_div_zero 0
		.amdhsa_exception_fp_ieee_overflow 0
		.amdhsa_exception_fp_ieee_underflow 0
		.amdhsa_exception_fp_ieee_inexact 0
		.amdhsa_exception_int_div_zero 0
	.end_amdhsa_kernel
	.section	.text._ZN7rocprim17ROCPRIM_400000_NS6detail17trampoline_kernelINS0_14default_configENS1_20scan_config_selectorIdEEZZNS1_9scan_implILNS1_25lookback_scan_determinismE0ELb0ELb0ES3_N6thrust23THRUST_200600_302600_NS6detail15normal_iteratorINS9_10device_ptrIdEEEESE_dNS9_4plusIvEEdEEDaPvRmT3_T4_T5_mT6_P12ihipStream_tbENKUlT_T0_E_clISt17integral_constantIbLb0EESU_EEDaSP_SQ_EUlSP_E0_NS1_11comp_targetILNS1_3genE0ELNS1_11target_archE4294967295ELNS1_3gpuE0ELNS1_3repE0EEENS1_30default_config_static_selectorELNS0_4arch9wavefront6targetE1EEEvT1_,"axG",@progbits,_ZN7rocprim17ROCPRIM_400000_NS6detail17trampoline_kernelINS0_14default_configENS1_20scan_config_selectorIdEEZZNS1_9scan_implILNS1_25lookback_scan_determinismE0ELb0ELb0ES3_N6thrust23THRUST_200600_302600_NS6detail15normal_iteratorINS9_10device_ptrIdEEEESE_dNS9_4plusIvEEdEEDaPvRmT3_T4_T5_mT6_P12ihipStream_tbENKUlT_T0_E_clISt17integral_constantIbLb0EESU_EEDaSP_SQ_EUlSP_E0_NS1_11comp_targetILNS1_3genE0ELNS1_11target_archE4294967295ELNS1_3gpuE0ELNS1_3repE0EEENS1_30default_config_static_selectorELNS0_4arch9wavefront6targetE1EEEvT1_,comdat
.Lfunc_end4151:
	.size	_ZN7rocprim17ROCPRIM_400000_NS6detail17trampoline_kernelINS0_14default_configENS1_20scan_config_selectorIdEEZZNS1_9scan_implILNS1_25lookback_scan_determinismE0ELb0ELb0ES3_N6thrust23THRUST_200600_302600_NS6detail15normal_iteratorINS9_10device_ptrIdEEEESE_dNS9_4plusIvEEdEEDaPvRmT3_T4_T5_mT6_P12ihipStream_tbENKUlT_T0_E_clISt17integral_constantIbLb0EESU_EEDaSP_SQ_EUlSP_E0_NS1_11comp_targetILNS1_3genE0ELNS1_11target_archE4294967295ELNS1_3gpuE0ELNS1_3repE0EEENS1_30default_config_static_selectorELNS0_4arch9wavefront6targetE1EEEvT1_, .Lfunc_end4151-_ZN7rocprim17ROCPRIM_400000_NS6detail17trampoline_kernelINS0_14default_configENS1_20scan_config_selectorIdEEZZNS1_9scan_implILNS1_25lookback_scan_determinismE0ELb0ELb0ES3_N6thrust23THRUST_200600_302600_NS6detail15normal_iteratorINS9_10device_ptrIdEEEESE_dNS9_4plusIvEEdEEDaPvRmT3_T4_T5_mT6_P12ihipStream_tbENKUlT_T0_E_clISt17integral_constantIbLb0EESU_EEDaSP_SQ_EUlSP_E0_NS1_11comp_targetILNS1_3genE0ELNS1_11target_archE4294967295ELNS1_3gpuE0ELNS1_3repE0EEENS1_30default_config_static_selectorELNS0_4arch9wavefront6targetE1EEEvT1_
                                        ; -- End function
	.section	.AMDGPU.csdata,"",@progbits
; Kernel info:
; codeLenInByte = 0
; NumSgprs: 4
; NumVgprs: 0
; NumAgprs: 0
; TotalNumVgprs: 0
; ScratchSize: 0
; MemoryBound: 0
; FloatMode: 240
; IeeeMode: 1
; LDSByteSize: 0 bytes/workgroup (compile time only)
; SGPRBlocks: 0
; VGPRBlocks: 0
; NumSGPRsForWavesPerEU: 4
; NumVGPRsForWavesPerEU: 1
; AccumOffset: 4
; Occupancy: 8
; WaveLimiterHint : 0
; COMPUTE_PGM_RSRC2:SCRATCH_EN: 0
; COMPUTE_PGM_RSRC2:USER_SGPR: 6
; COMPUTE_PGM_RSRC2:TRAP_HANDLER: 0
; COMPUTE_PGM_RSRC2:TGID_X_EN: 1
; COMPUTE_PGM_RSRC2:TGID_Y_EN: 0
; COMPUTE_PGM_RSRC2:TGID_Z_EN: 0
; COMPUTE_PGM_RSRC2:TIDIG_COMP_CNT: 0
; COMPUTE_PGM_RSRC3_GFX90A:ACCUM_OFFSET: 0
; COMPUTE_PGM_RSRC3_GFX90A:TG_SPLIT: 0
	.section	.text._ZN7rocprim17ROCPRIM_400000_NS6detail17trampoline_kernelINS0_14default_configENS1_20scan_config_selectorIdEEZZNS1_9scan_implILNS1_25lookback_scan_determinismE0ELb0ELb0ES3_N6thrust23THRUST_200600_302600_NS6detail15normal_iteratorINS9_10device_ptrIdEEEESE_dNS9_4plusIvEEdEEDaPvRmT3_T4_T5_mT6_P12ihipStream_tbENKUlT_T0_E_clISt17integral_constantIbLb0EESU_EEDaSP_SQ_EUlSP_E0_NS1_11comp_targetILNS1_3genE5ELNS1_11target_archE942ELNS1_3gpuE9ELNS1_3repE0EEENS1_30default_config_static_selectorELNS0_4arch9wavefront6targetE1EEEvT1_,"axG",@progbits,_ZN7rocprim17ROCPRIM_400000_NS6detail17trampoline_kernelINS0_14default_configENS1_20scan_config_selectorIdEEZZNS1_9scan_implILNS1_25lookback_scan_determinismE0ELb0ELb0ES3_N6thrust23THRUST_200600_302600_NS6detail15normal_iteratorINS9_10device_ptrIdEEEESE_dNS9_4plusIvEEdEEDaPvRmT3_T4_T5_mT6_P12ihipStream_tbENKUlT_T0_E_clISt17integral_constantIbLb0EESU_EEDaSP_SQ_EUlSP_E0_NS1_11comp_targetILNS1_3genE5ELNS1_11target_archE942ELNS1_3gpuE9ELNS1_3repE0EEENS1_30default_config_static_selectorELNS0_4arch9wavefront6targetE1EEEvT1_,comdat
	.protected	_ZN7rocprim17ROCPRIM_400000_NS6detail17trampoline_kernelINS0_14default_configENS1_20scan_config_selectorIdEEZZNS1_9scan_implILNS1_25lookback_scan_determinismE0ELb0ELb0ES3_N6thrust23THRUST_200600_302600_NS6detail15normal_iteratorINS9_10device_ptrIdEEEESE_dNS9_4plusIvEEdEEDaPvRmT3_T4_T5_mT6_P12ihipStream_tbENKUlT_T0_E_clISt17integral_constantIbLb0EESU_EEDaSP_SQ_EUlSP_E0_NS1_11comp_targetILNS1_3genE5ELNS1_11target_archE942ELNS1_3gpuE9ELNS1_3repE0EEENS1_30default_config_static_selectorELNS0_4arch9wavefront6targetE1EEEvT1_ ; -- Begin function _ZN7rocprim17ROCPRIM_400000_NS6detail17trampoline_kernelINS0_14default_configENS1_20scan_config_selectorIdEEZZNS1_9scan_implILNS1_25lookback_scan_determinismE0ELb0ELb0ES3_N6thrust23THRUST_200600_302600_NS6detail15normal_iteratorINS9_10device_ptrIdEEEESE_dNS9_4plusIvEEdEEDaPvRmT3_T4_T5_mT6_P12ihipStream_tbENKUlT_T0_E_clISt17integral_constantIbLb0EESU_EEDaSP_SQ_EUlSP_E0_NS1_11comp_targetILNS1_3genE5ELNS1_11target_archE942ELNS1_3gpuE9ELNS1_3repE0EEENS1_30default_config_static_selectorELNS0_4arch9wavefront6targetE1EEEvT1_
	.globl	_ZN7rocprim17ROCPRIM_400000_NS6detail17trampoline_kernelINS0_14default_configENS1_20scan_config_selectorIdEEZZNS1_9scan_implILNS1_25lookback_scan_determinismE0ELb0ELb0ES3_N6thrust23THRUST_200600_302600_NS6detail15normal_iteratorINS9_10device_ptrIdEEEESE_dNS9_4plusIvEEdEEDaPvRmT3_T4_T5_mT6_P12ihipStream_tbENKUlT_T0_E_clISt17integral_constantIbLb0EESU_EEDaSP_SQ_EUlSP_E0_NS1_11comp_targetILNS1_3genE5ELNS1_11target_archE942ELNS1_3gpuE9ELNS1_3repE0EEENS1_30default_config_static_selectorELNS0_4arch9wavefront6targetE1EEEvT1_
	.p2align	8
	.type	_ZN7rocprim17ROCPRIM_400000_NS6detail17trampoline_kernelINS0_14default_configENS1_20scan_config_selectorIdEEZZNS1_9scan_implILNS1_25lookback_scan_determinismE0ELb0ELb0ES3_N6thrust23THRUST_200600_302600_NS6detail15normal_iteratorINS9_10device_ptrIdEEEESE_dNS9_4plusIvEEdEEDaPvRmT3_T4_T5_mT6_P12ihipStream_tbENKUlT_T0_E_clISt17integral_constantIbLb0EESU_EEDaSP_SQ_EUlSP_E0_NS1_11comp_targetILNS1_3genE5ELNS1_11target_archE942ELNS1_3gpuE9ELNS1_3repE0EEENS1_30default_config_static_selectorELNS0_4arch9wavefront6targetE1EEEvT1_,@function
_ZN7rocprim17ROCPRIM_400000_NS6detail17trampoline_kernelINS0_14default_configENS1_20scan_config_selectorIdEEZZNS1_9scan_implILNS1_25lookback_scan_determinismE0ELb0ELb0ES3_N6thrust23THRUST_200600_302600_NS6detail15normal_iteratorINS9_10device_ptrIdEEEESE_dNS9_4plusIvEEdEEDaPvRmT3_T4_T5_mT6_P12ihipStream_tbENKUlT_T0_E_clISt17integral_constantIbLb0EESU_EEDaSP_SQ_EUlSP_E0_NS1_11comp_targetILNS1_3genE5ELNS1_11target_archE942ELNS1_3gpuE9ELNS1_3repE0EEENS1_30default_config_static_selectorELNS0_4arch9wavefront6targetE1EEEvT1_: ; @_ZN7rocprim17ROCPRIM_400000_NS6detail17trampoline_kernelINS0_14default_configENS1_20scan_config_selectorIdEEZZNS1_9scan_implILNS1_25lookback_scan_determinismE0ELb0ELb0ES3_N6thrust23THRUST_200600_302600_NS6detail15normal_iteratorINS9_10device_ptrIdEEEESE_dNS9_4plusIvEEdEEDaPvRmT3_T4_T5_mT6_P12ihipStream_tbENKUlT_T0_E_clISt17integral_constantIbLb0EESU_EEDaSP_SQ_EUlSP_E0_NS1_11comp_targetILNS1_3genE5ELNS1_11target_archE942ELNS1_3gpuE9ELNS1_3repE0EEENS1_30default_config_static_selectorELNS0_4arch9wavefront6targetE1EEEvT1_
; %bb.0:
	.section	.rodata,"a",@progbits
	.p2align	6, 0x0
	.amdhsa_kernel _ZN7rocprim17ROCPRIM_400000_NS6detail17trampoline_kernelINS0_14default_configENS1_20scan_config_selectorIdEEZZNS1_9scan_implILNS1_25lookback_scan_determinismE0ELb0ELb0ES3_N6thrust23THRUST_200600_302600_NS6detail15normal_iteratorINS9_10device_ptrIdEEEESE_dNS9_4plusIvEEdEEDaPvRmT3_T4_T5_mT6_P12ihipStream_tbENKUlT_T0_E_clISt17integral_constantIbLb0EESU_EEDaSP_SQ_EUlSP_E0_NS1_11comp_targetILNS1_3genE5ELNS1_11target_archE942ELNS1_3gpuE9ELNS1_3repE0EEENS1_30default_config_static_selectorELNS0_4arch9wavefront6targetE1EEEvT1_
		.amdhsa_group_segment_fixed_size 0
		.amdhsa_private_segment_fixed_size 0
		.amdhsa_kernarg_size 40
		.amdhsa_user_sgpr_count 6
		.amdhsa_user_sgpr_private_segment_buffer 1
		.amdhsa_user_sgpr_dispatch_ptr 0
		.amdhsa_user_sgpr_queue_ptr 0
		.amdhsa_user_sgpr_kernarg_segment_ptr 1
		.amdhsa_user_sgpr_dispatch_id 0
		.amdhsa_user_sgpr_flat_scratch_init 0
		.amdhsa_user_sgpr_kernarg_preload_length 0
		.amdhsa_user_sgpr_kernarg_preload_offset 0
		.amdhsa_user_sgpr_private_segment_size 0
		.amdhsa_uses_dynamic_stack 0
		.amdhsa_system_sgpr_private_segment_wavefront_offset 0
		.amdhsa_system_sgpr_workgroup_id_x 1
		.amdhsa_system_sgpr_workgroup_id_y 0
		.amdhsa_system_sgpr_workgroup_id_z 0
		.amdhsa_system_sgpr_workgroup_info 0
		.amdhsa_system_vgpr_workitem_id 0
		.amdhsa_next_free_vgpr 1
		.amdhsa_next_free_sgpr 0
		.amdhsa_accum_offset 4
		.amdhsa_reserve_vcc 0
		.amdhsa_reserve_flat_scratch 0
		.amdhsa_float_round_mode_32 0
		.amdhsa_float_round_mode_16_64 0
		.amdhsa_float_denorm_mode_32 3
		.amdhsa_float_denorm_mode_16_64 3
		.amdhsa_dx10_clamp 1
		.amdhsa_ieee_mode 1
		.amdhsa_fp16_overflow 0
		.amdhsa_tg_split 0
		.amdhsa_exception_fp_ieee_invalid_op 0
		.amdhsa_exception_fp_denorm_src 0
		.amdhsa_exception_fp_ieee_div_zero 0
		.amdhsa_exception_fp_ieee_overflow 0
		.amdhsa_exception_fp_ieee_underflow 0
		.amdhsa_exception_fp_ieee_inexact 0
		.amdhsa_exception_int_div_zero 0
	.end_amdhsa_kernel
	.section	.text._ZN7rocprim17ROCPRIM_400000_NS6detail17trampoline_kernelINS0_14default_configENS1_20scan_config_selectorIdEEZZNS1_9scan_implILNS1_25lookback_scan_determinismE0ELb0ELb0ES3_N6thrust23THRUST_200600_302600_NS6detail15normal_iteratorINS9_10device_ptrIdEEEESE_dNS9_4plusIvEEdEEDaPvRmT3_T4_T5_mT6_P12ihipStream_tbENKUlT_T0_E_clISt17integral_constantIbLb0EESU_EEDaSP_SQ_EUlSP_E0_NS1_11comp_targetILNS1_3genE5ELNS1_11target_archE942ELNS1_3gpuE9ELNS1_3repE0EEENS1_30default_config_static_selectorELNS0_4arch9wavefront6targetE1EEEvT1_,"axG",@progbits,_ZN7rocprim17ROCPRIM_400000_NS6detail17trampoline_kernelINS0_14default_configENS1_20scan_config_selectorIdEEZZNS1_9scan_implILNS1_25lookback_scan_determinismE0ELb0ELb0ES3_N6thrust23THRUST_200600_302600_NS6detail15normal_iteratorINS9_10device_ptrIdEEEESE_dNS9_4plusIvEEdEEDaPvRmT3_T4_T5_mT6_P12ihipStream_tbENKUlT_T0_E_clISt17integral_constantIbLb0EESU_EEDaSP_SQ_EUlSP_E0_NS1_11comp_targetILNS1_3genE5ELNS1_11target_archE942ELNS1_3gpuE9ELNS1_3repE0EEENS1_30default_config_static_selectorELNS0_4arch9wavefront6targetE1EEEvT1_,comdat
.Lfunc_end4152:
	.size	_ZN7rocprim17ROCPRIM_400000_NS6detail17trampoline_kernelINS0_14default_configENS1_20scan_config_selectorIdEEZZNS1_9scan_implILNS1_25lookback_scan_determinismE0ELb0ELb0ES3_N6thrust23THRUST_200600_302600_NS6detail15normal_iteratorINS9_10device_ptrIdEEEESE_dNS9_4plusIvEEdEEDaPvRmT3_T4_T5_mT6_P12ihipStream_tbENKUlT_T0_E_clISt17integral_constantIbLb0EESU_EEDaSP_SQ_EUlSP_E0_NS1_11comp_targetILNS1_3genE5ELNS1_11target_archE942ELNS1_3gpuE9ELNS1_3repE0EEENS1_30default_config_static_selectorELNS0_4arch9wavefront6targetE1EEEvT1_, .Lfunc_end4152-_ZN7rocprim17ROCPRIM_400000_NS6detail17trampoline_kernelINS0_14default_configENS1_20scan_config_selectorIdEEZZNS1_9scan_implILNS1_25lookback_scan_determinismE0ELb0ELb0ES3_N6thrust23THRUST_200600_302600_NS6detail15normal_iteratorINS9_10device_ptrIdEEEESE_dNS9_4plusIvEEdEEDaPvRmT3_T4_T5_mT6_P12ihipStream_tbENKUlT_T0_E_clISt17integral_constantIbLb0EESU_EEDaSP_SQ_EUlSP_E0_NS1_11comp_targetILNS1_3genE5ELNS1_11target_archE942ELNS1_3gpuE9ELNS1_3repE0EEENS1_30default_config_static_selectorELNS0_4arch9wavefront6targetE1EEEvT1_
                                        ; -- End function
	.section	.AMDGPU.csdata,"",@progbits
; Kernel info:
; codeLenInByte = 0
; NumSgprs: 4
; NumVgprs: 0
; NumAgprs: 0
; TotalNumVgprs: 0
; ScratchSize: 0
; MemoryBound: 0
; FloatMode: 240
; IeeeMode: 1
; LDSByteSize: 0 bytes/workgroup (compile time only)
; SGPRBlocks: 0
; VGPRBlocks: 0
; NumSGPRsForWavesPerEU: 4
; NumVGPRsForWavesPerEU: 1
; AccumOffset: 4
; Occupancy: 8
; WaveLimiterHint : 0
; COMPUTE_PGM_RSRC2:SCRATCH_EN: 0
; COMPUTE_PGM_RSRC2:USER_SGPR: 6
; COMPUTE_PGM_RSRC2:TRAP_HANDLER: 0
; COMPUTE_PGM_RSRC2:TGID_X_EN: 1
; COMPUTE_PGM_RSRC2:TGID_Y_EN: 0
; COMPUTE_PGM_RSRC2:TGID_Z_EN: 0
; COMPUTE_PGM_RSRC2:TIDIG_COMP_CNT: 0
; COMPUTE_PGM_RSRC3_GFX90A:ACCUM_OFFSET: 0
; COMPUTE_PGM_RSRC3_GFX90A:TG_SPLIT: 0
	.section	.text._ZN7rocprim17ROCPRIM_400000_NS6detail17trampoline_kernelINS0_14default_configENS1_20scan_config_selectorIdEEZZNS1_9scan_implILNS1_25lookback_scan_determinismE0ELb0ELb0ES3_N6thrust23THRUST_200600_302600_NS6detail15normal_iteratorINS9_10device_ptrIdEEEESE_dNS9_4plusIvEEdEEDaPvRmT3_T4_T5_mT6_P12ihipStream_tbENKUlT_T0_E_clISt17integral_constantIbLb0EESU_EEDaSP_SQ_EUlSP_E0_NS1_11comp_targetILNS1_3genE4ELNS1_11target_archE910ELNS1_3gpuE8ELNS1_3repE0EEENS1_30default_config_static_selectorELNS0_4arch9wavefront6targetE1EEEvT1_,"axG",@progbits,_ZN7rocprim17ROCPRIM_400000_NS6detail17trampoline_kernelINS0_14default_configENS1_20scan_config_selectorIdEEZZNS1_9scan_implILNS1_25lookback_scan_determinismE0ELb0ELb0ES3_N6thrust23THRUST_200600_302600_NS6detail15normal_iteratorINS9_10device_ptrIdEEEESE_dNS9_4plusIvEEdEEDaPvRmT3_T4_T5_mT6_P12ihipStream_tbENKUlT_T0_E_clISt17integral_constantIbLb0EESU_EEDaSP_SQ_EUlSP_E0_NS1_11comp_targetILNS1_3genE4ELNS1_11target_archE910ELNS1_3gpuE8ELNS1_3repE0EEENS1_30default_config_static_selectorELNS0_4arch9wavefront6targetE1EEEvT1_,comdat
	.protected	_ZN7rocprim17ROCPRIM_400000_NS6detail17trampoline_kernelINS0_14default_configENS1_20scan_config_selectorIdEEZZNS1_9scan_implILNS1_25lookback_scan_determinismE0ELb0ELb0ES3_N6thrust23THRUST_200600_302600_NS6detail15normal_iteratorINS9_10device_ptrIdEEEESE_dNS9_4plusIvEEdEEDaPvRmT3_T4_T5_mT6_P12ihipStream_tbENKUlT_T0_E_clISt17integral_constantIbLb0EESU_EEDaSP_SQ_EUlSP_E0_NS1_11comp_targetILNS1_3genE4ELNS1_11target_archE910ELNS1_3gpuE8ELNS1_3repE0EEENS1_30default_config_static_selectorELNS0_4arch9wavefront6targetE1EEEvT1_ ; -- Begin function _ZN7rocprim17ROCPRIM_400000_NS6detail17trampoline_kernelINS0_14default_configENS1_20scan_config_selectorIdEEZZNS1_9scan_implILNS1_25lookback_scan_determinismE0ELb0ELb0ES3_N6thrust23THRUST_200600_302600_NS6detail15normal_iteratorINS9_10device_ptrIdEEEESE_dNS9_4plusIvEEdEEDaPvRmT3_T4_T5_mT6_P12ihipStream_tbENKUlT_T0_E_clISt17integral_constantIbLb0EESU_EEDaSP_SQ_EUlSP_E0_NS1_11comp_targetILNS1_3genE4ELNS1_11target_archE910ELNS1_3gpuE8ELNS1_3repE0EEENS1_30default_config_static_selectorELNS0_4arch9wavefront6targetE1EEEvT1_
	.globl	_ZN7rocprim17ROCPRIM_400000_NS6detail17trampoline_kernelINS0_14default_configENS1_20scan_config_selectorIdEEZZNS1_9scan_implILNS1_25lookback_scan_determinismE0ELb0ELb0ES3_N6thrust23THRUST_200600_302600_NS6detail15normal_iteratorINS9_10device_ptrIdEEEESE_dNS9_4plusIvEEdEEDaPvRmT3_T4_T5_mT6_P12ihipStream_tbENKUlT_T0_E_clISt17integral_constantIbLb0EESU_EEDaSP_SQ_EUlSP_E0_NS1_11comp_targetILNS1_3genE4ELNS1_11target_archE910ELNS1_3gpuE8ELNS1_3repE0EEENS1_30default_config_static_selectorELNS0_4arch9wavefront6targetE1EEEvT1_
	.p2align	8
	.type	_ZN7rocprim17ROCPRIM_400000_NS6detail17trampoline_kernelINS0_14default_configENS1_20scan_config_selectorIdEEZZNS1_9scan_implILNS1_25lookback_scan_determinismE0ELb0ELb0ES3_N6thrust23THRUST_200600_302600_NS6detail15normal_iteratorINS9_10device_ptrIdEEEESE_dNS9_4plusIvEEdEEDaPvRmT3_T4_T5_mT6_P12ihipStream_tbENKUlT_T0_E_clISt17integral_constantIbLb0EESU_EEDaSP_SQ_EUlSP_E0_NS1_11comp_targetILNS1_3genE4ELNS1_11target_archE910ELNS1_3gpuE8ELNS1_3repE0EEENS1_30default_config_static_selectorELNS0_4arch9wavefront6targetE1EEEvT1_,@function
_ZN7rocprim17ROCPRIM_400000_NS6detail17trampoline_kernelINS0_14default_configENS1_20scan_config_selectorIdEEZZNS1_9scan_implILNS1_25lookback_scan_determinismE0ELb0ELb0ES3_N6thrust23THRUST_200600_302600_NS6detail15normal_iteratorINS9_10device_ptrIdEEEESE_dNS9_4plusIvEEdEEDaPvRmT3_T4_T5_mT6_P12ihipStream_tbENKUlT_T0_E_clISt17integral_constantIbLb0EESU_EEDaSP_SQ_EUlSP_E0_NS1_11comp_targetILNS1_3genE4ELNS1_11target_archE910ELNS1_3gpuE8ELNS1_3repE0EEENS1_30default_config_static_selectorELNS0_4arch9wavefront6targetE1EEEvT1_: ; @_ZN7rocprim17ROCPRIM_400000_NS6detail17trampoline_kernelINS0_14default_configENS1_20scan_config_selectorIdEEZZNS1_9scan_implILNS1_25lookback_scan_determinismE0ELb0ELb0ES3_N6thrust23THRUST_200600_302600_NS6detail15normal_iteratorINS9_10device_ptrIdEEEESE_dNS9_4plusIvEEdEEDaPvRmT3_T4_T5_mT6_P12ihipStream_tbENKUlT_T0_E_clISt17integral_constantIbLb0EESU_EEDaSP_SQ_EUlSP_E0_NS1_11comp_targetILNS1_3genE4ELNS1_11target_archE910ELNS1_3gpuE8ELNS1_3repE0EEENS1_30default_config_static_selectorELNS0_4arch9wavefront6targetE1EEEvT1_
; %bb.0:
	s_load_dwordx4 s[20:23], s[4:5], 0x0
	v_lshlrev_b32_e32 v48, 3, v0
	s_waitcnt lgkmcnt(0)
	s_load_dwordx2 s[24:25], s[20:21], 0x0
	v_cmp_gt_u32_e32 vcc, s22, v0
	s_waitcnt lgkmcnt(0)
	v_pk_mov_b32 v[2:3], s[24:25], s[24:25] op_sel:[0,1]
	s_and_saveexec_b64 s[0:1], vcc
	s_cbranch_execz .LBB4153_2
; %bb.1:
	global_load_dwordx2 v[2:3], v48, s[20:21]
.LBB4153_2:
	s_or_b64 exec, exec, s[0:1]
	v_or_b32_e32 v1, 0x80, v0
	v_cmp_gt_u32_e64 s[0:1], s22, v1
	v_pk_mov_b32 v[4:5], s[24:25], s[24:25] op_sel:[0,1]
	s_and_saveexec_b64 s[2:3], s[0:1]
	s_cbranch_execz .LBB4153_4
; %bb.3:
	global_load_dwordx2 v[4:5], v48, s[20:21] offset:1024
.LBB4153_4:
	s_or_b64 exec, exec, s[2:3]
	v_or_b32_e32 v1, 0x100, v0
	v_cmp_gt_u32_e64 s[2:3], s22, v1
	v_pk_mov_b32 v[6:7], s[24:25], s[24:25] op_sel:[0,1]
	s_and_saveexec_b64 s[6:7], s[2:3]
	s_cbranch_execz .LBB4153_6
; %bb.5:
	global_load_dwordx2 v[6:7], v48, s[20:21] offset:2048
.LBB4153_6:
	;; [unrolled: 9-line block ×3, first 2 shown]
	s_or_b64 exec, exec, s[6:7]
	v_or_b32_e32 v1, 0x200, v0
	v_cmp_gt_u32_e64 s[6:7], s22, v1
	v_pk_mov_b32 v[10:11], s[24:25], s[24:25] op_sel:[0,1]
	s_and_saveexec_b64 s[8:9], s[6:7]
	s_cbranch_execz .LBB4153_10
; %bb.9:
	v_lshlrev_b32_e32 v1, 3, v1
	global_load_dwordx2 v[10:11], v1, s[20:21]
.LBB4153_10:
	s_or_b64 exec, exec, s[8:9]
	v_or_b32_e32 v1, 0x280, v0
	v_cmp_gt_u32_e64 s[8:9], s22, v1
	v_pk_mov_b32 v[12:13], s[24:25], s[24:25] op_sel:[0,1]
	s_and_saveexec_b64 s[10:11], s[8:9]
	s_cbranch_execz .LBB4153_12
; %bb.11:
	v_lshlrev_b32_e32 v1, 3, v1
	global_load_dwordx2 v[12:13], v1, s[20:21]
.LBB4153_12:
	;; [unrolled: 10-line block ×6, first 2 shown]
	s_or_b64 exec, exec, s[22:23]
	s_movk_i32 s20, 0x48
	v_mad_u32_u24 v1, v0, s20, v48
	s_waitcnt vmcnt(0)
	ds_write2st64_b64 v48, v[2:3], v[4:5] offset1:2
	ds_write2st64_b64 v48, v[6:7], v[8:9] offset0:4 offset1:6
	ds_write2st64_b64 v48, v[10:11], v[12:13] offset0:8 offset1:10
	;; [unrolled: 1-line block ×4, first 2 shown]
	s_waitcnt lgkmcnt(0)
	s_barrier
	ds_read_b128 v[2:5], v1
	ds_read_b128 v[22:25], v1 offset:16
	ds_read_b128 v[18:21], v1 offset:32
	;; [unrolled: 1-line block ×4, first 2 shown]
	s_waitcnt lgkmcnt(4)
	v_add_f64 v[38:39], v[2:3], v[4:5]
	s_waitcnt lgkmcnt(3)
	v_add_f64 v[30:31], v[38:39], v[22:23]
	v_add_f64 v[32:33], v[30:31], v[24:25]
	s_waitcnt lgkmcnt(2)
	v_add_f64 v[26:27], v[32:33], v[18:19]
	;; [unrolled: 3-line block ×4, first 2 shown]
	v_mbcnt_lo_u32_b32 v40, -1, 0
	v_add_f64 v[8:9], v[6:7], v[36:37]
	v_mbcnt_hi_u32_b32 v49, -1, v40
	v_and_b32_e32 v44, 15, v49
	v_mov_b32_dpp v40, v8 row_shr:1 row_mask:0xf bank_mask:0xf
	v_mov_b32_dpp v41, v9 row_shr:1 row_mask:0xf bank_mask:0xf
	v_add_f64 v[40:41], v[8:9], v[40:41]
	v_cmp_eq_u32_e64 s[20:21], 0, v44
	v_cndmask_b32_e64 v40, v40, v8, s[20:21]
	v_cndmask_b32_e64 v41, v41, v9, s[20:21]
	v_cmp_lt_u32_e64 s[20:21], 1, v44
	v_mov_b32_dpp v42, v40 row_shr:2 row_mask:0xf bank_mask:0xf
	v_mov_b32_dpp v43, v41 row_shr:2 row_mask:0xf bank_mask:0xf
	v_add_f64 v[42:43], v[40:41], v[42:43]
	v_cndmask_b32_e64 v40, v40, v42, s[20:21]
	v_cndmask_b32_e64 v41, v41, v43, s[20:21]
	v_cmp_lt_u32_e64 s[20:21], 3, v44
	v_mov_b32_dpp v42, v40 row_shr:4 row_mask:0xf bank_mask:0xf
	v_mov_b32_dpp v43, v41 row_shr:4 row_mask:0xf bank_mask:0xf
	v_add_f64 v[42:43], v[40:41], v[42:43]
	;; [unrolled: 6-line block ×3, first 2 shown]
	v_cndmask_b32_e64 v42, v40, v42, s[20:21]
	v_cndmask_b32_e64 v43, v41, v43, s[20:21]
	v_and_b32_e32 v44, 16, v49
	v_mov_b32_dpp v40, v42 row_bcast:15 row_mask:0xf bank_mask:0xf
	v_mov_b32_dpp v41, v43 row_bcast:15 row_mask:0xf bank_mask:0xf
	v_add_f64 v[46:47], v[42:43], v[40:41]
	v_cmp_eq_u32_e64 s[22:23], 0, v44
	v_cndmask_b32_e64 v40, v47, v43, s[22:23]
	v_cndmask_b32_e64 v41, v46, v42, s[22:23]
	v_cmp_eq_u32_e64 s[20:21], 0, v49
	v_mov_b32_dpp v45, v40 row_bcast:31 row_mask:0xf bank_mask:0xf
	v_mov_b32_dpp v44, v41 row_bcast:31 row_mask:0xf bank_mask:0xf
	v_cmp_ne_u32_e64 s[24:25], 0, v49
	v_pk_mov_b32 v[40:41], v[8:9], v[8:9] op_sel:[0,1]
	s_barrier
	s_and_saveexec_b64 s[26:27], s[24:25]
; %bb.21:
	v_cndmask_b32_e64 v41, v47, v43, s[22:23]
	v_cndmask_b32_e64 v40, v46, v42, s[22:23]
	v_add_f64 v[42:43], v[40:41], v[44:45]
	v_cmp_lt_u32_e64 s[22:23], 31, v49
	v_cndmask_b32_e64 v41, v41, v43, s[22:23]
	v_cndmask_b32_e64 v40, v40, v42, s[22:23]
; %bb.22:
	s_or_b64 exec, exec, s[26:27]
	v_or_b32_e32 v42, 63, v0
	v_lshrrev_b32_e32 v44, 6, v0
	v_cmp_eq_u32_e64 s[22:23], v42, v0
	s_and_saveexec_b64 s[24:25], s[22:23]
	s_cbranch_execz .LBB4153_24
; %bb.23:
	v_lshlrev_b32_e32 v42, 3, v44
	ds_write_b64 v42, v[40:41]
.LBB4153_24:
	s_or_b64 exec, exec, s[24:25]
	v_cmp_gt_u32_e64 s[22:23], 2, v0
	s_waitcnt lgkmcnt(0)
	s_barrier
	s_and_saveexec_b64 s[24:25], s[22:23]
	s_cbranch_execz .LBB4153_26
; %bb.25:
	ds_read_b64 v[42:43], v48
	v_and_b32_e32 v45, 1, v49
	v_cmp_eq_u32_e64 s[22:23], 0, v45
	s_waitcnt lgkmcnt(0)
	v_mov_b32_dpp v46, v42 row_shr:1 row_mask:0xf bank_mask:0xf
	v_mov_b32_dpp v47, v43 row_shr:1 row_mask:0xf bank_mask:0xf
	v_add_f64 v[46:47], v[42:43], v[46:47]
	v_cndmask_b32_e64 v43, v47, v43, s[22:23]
	v_cndmask_b32_e64 v42, v46, v42, s[22:23]
	ds_write_b64 v48, v[42:43]
.LBB4153_26:
	s_or_b64 exec, exec, s[24:25]
	s_load_dwordx2 s[22:23], s[4:5], 0x20
	v_cmp_lt_u32_e64 s[4:5], 63, v0
	s_waitcnt lgkmcnt(0)
	s_barrier
	s_waitcnt lgkmcnt(0)
                                        ; implicit-def: $vgpr42_vgpr43
	s_and_saveexec_b64 s[24:25], s[4:5]
	s_cbranch_execz .LBB4153_28
; %bb.27:
	v_lshl_add_u32 v42, v44, 3, -8
	ds_read_b64 v[42:43], v42
	s_waitcnt lgkmcnt(0)
	v_add_f64 v[40:41], v[40:41], v[42:43]
.LBB4153_28:
	s_or_b64 exec, exec, s[24:25]
	v_add_u32_e32 v44, -1, v49
	v_and_b32_e32 v45, 64, v49
	v_cmp_lt_i32_e64 s[4:5], v44, v45
	v_cndmask_b32_e64 v44, v44, v49, s[4:5]
	v_lshlrev_b32_e32 v44, 2, v44
	ds_bpermute_b32 v40, v44, v40
	ds_bpermute_b32 v41, v44, v41
	v_cmp_ne_u32_e64 s[4:5], 0, v0
	s_and_saveexec_b64 s[24:25], s[4:5]
	s_cbranch_execz .LBB4153_30
; %bb.29:
	s_waitcnt lgkmcnt(0)
	v_cndmask_b32_e64 v7, v41, v43, s[20:21]
	v_cndmask_b32_e64 v6, v40, v42, s[20:21]
	v_add_f64 v[2:3], v[2:3], v[6:7]
	v_add_f64 v[38:39], v[4:5], v[2:3]
	;; [unrolled: 1-line block ×10, first 2 shown]
	;;#ASMSTART
	;;#ASMEND
.LBB4153_30:
	s_or_b64 exec, exec, s[24:25]
	s_movk_i32 s4, 0xffb8
	v_mov_b32_e32 v4, v38
	v_mov_b32_e32 v5, v39
	v_mad_i32_i24 v0, v0, s4, v1
	s_waitcnt lgkmcnt(0)
	s_barrier
	ds_write_b128 v1, v[2:5]
	ds_write_b128 v1, v[30:33] offset:16
	ds_write_b128 v1, v[26:29] offset:32
	;; [unrolled: 1-line block ×4, first 2 shown]
	s_waitcnt lgkmcnt(0)
	s_barrier
	ds_read2st64_b64 v[12:15], v0 offset0:2 offset1:4
	ds_read2st64_b64 v[8:11], v0 offset0:6 offset1:8
	;; [unrolled: 1-line block ×4, first 2 shown]
	ds_read_b64 v[18:19], v48 offset:8192
	v_mov_b32_e32 v17, s23
	v_add_co_u32_e64 v16, s[4:5], s22, v48
	v_addc_co_u32_e64 v17, s[4:5], 0, v17, s[4:5]
	s_and_saveexec_b64 s[4:5], vcc
	s_cbranch_execnz .LBB4153_41
; %bb.31:
	s_or_b64 exec, exec, s[4:5]
	s_and_saveexec_b64 s[4:5], s[0:1]
	s_cbranch_execnz .LBB4153_42
.LBB4153_32:
	s_or_b64 exec, exec, s[4:5]
	s_and_saveexec_b64 s[0:1], s[2:3]
	s_cbranch_execnz .LBB4153_43
.LBB4153_33:
	s_or_b64 exec, exec, s[0:1]
	s_and_saveexec_b64 s[0:1], s[18:19]
	s_cbranch_execnz .LBB4153_44
.LBB4153_34:
	s_or_b64 exec, exec, s[0:1]
	s_and_saveexec_b64 s[0:1], s[6:7]
	s_cbranch_execnz .LBB4153_45
.LBB4153_35:
	s_or_b64 exec, exec, s[0:1]
	s_and_saveexec_b64 s[0:1], s[8:9]
	s_cbranch_execnz .LBB4153_46
.LBB4153_36:
	s_or_b64 exec, exec, s[0:1]
	s_and_saveexec_b64 s[0:1], s[10:11]
	s_cbranch_execnz .LBB4153_47
.LBB4153_37:
	s_or_b64 exec, exec, s[0:1]
	s_and_saveexec_b64 s[0:1], s[12:13]
	s_cbranch_execnz .LBB4153_48
.LBB4153_38:
	s_or_b64 exec, exec, s[0:1]
	s_and_saveexec_b64 s[0:1], s[14:15]
	s_cbranch_execnz .LBB4153_49
.LBB4153_39:
	s_or_b64 exec, exec, s[0:1]
	s_and_saveexec_b64 s[0:1], s[16:17]
	s_cbranch_execnz .LBB4153_50
.LBB4153_40:
	s_endpgm
.LBB4153_41:
	ds_read_b64 v[20:21], v48
	s_waitcnt lgkmcnt(0)
	global_store_dwordx2 v[16:17], v[20:21], off
	s_or_b64 exec, exec, s[4:5]
	s_and_saveexec_b64 s[4:5], s[0:1]
	s_cbranch_execz .LBB4153_32
.LBB4153_42:
	s_waitcnt lgkmcnt(4)
	global_store_dwordx2 v[16:17], v[12:13], off offset:1024
	s_or_b64 exec, exec, s[4:5]
	s_and_saveexec_b64 s[0:1], s[2:3]
	s_cbranch_execz .LBB4153_33
.LBB4153_43:
	s_waitcnt lgkmcnt(4)
	global_store_dwordx2 v[16:17], v[14:15], off offset:2048
	s_or_b64 exec, exec, s[0:1]
	s_and_saveexec_b64 s[0:1], s[18:19]
	s_cbranch_execz .LBB4153_34
.LBB4153_44:
	s_waitcnt lgkmcnt(3)
	global_store_dwordx2 v[16:17], v[8:9], off offset:3072
	s_or_b64 exec, exec, s[0:1]
	s_and_saveexec_b64 s[0:1], s[6:7]
	s_cbranch_execz .LBB4153_35
.LBB4153_45:
	s_waitcnt lgkmcnt(3)
	v_add_co_u32_e32 v8, vcc, 0x1000, v16
	v_addc_co_u32_e32 v9, vcc, 0, v17, vcc
	global_store_dwordx2 v[8:9], v[10:11], off
	s_or_b64 exec, exec, s[0:1]
	s_and_saveexec_b64 s[0:1], s[8:9]
	s_cbranch_execz .LBB4153_36
.LBB4153_46:
	s_waitcnt lgkmcnt(3)
	v_add_co_u32_e32 v8, vcc, 0x1000, v16
	v_addc_co_u32_e32 v9, vcc, 0, v17, vcc
	s_waitcnt lgkmcnt(2)
	global_store_dwordx2 v[8:9], v[4:5], off offset:1024
	s_or_b64 exec, exec, s[0:1]
	s_and_saveexec_b64 s[0:1], s[10:11]
	s_cbranch_execz .LBB4153_37
.LBB4153_47:
	s_waitcnt lgkmcnt(2)
	v_add_co_u32_e32 v4, vcc, 0x1000, v16
	v_addc_co_u32_e32 v5, vcc, 0, v17, vcc
	global_store_dwordx2 v[4:5], v[6:7], off offset:2048
	s_or_b64 exec, exec, s[0:1]
	s_and_saveexec_b64 s[0:1], s[12:13]
	s_cbranch_execz .LBB4153_38
.LBB4153_48:
	s_waitcnt lgkmcnt(2)
	v_add_co_u32_e32 v4, vcc, 0x1000, v16
	v_addc_co_u32_e32 v5, vcc, 0, v17, vcc
	s_waitcnt lgkmcnt(1)
	global_store_dwordx2 v[4:5], v[0:1], off offset:3072
	s_or_b64 exec, exec, s[0:1]
	s_and_saveexec_b64 s[0:1], s[14:15]
	s_cbranch_execz .LBB4153_39
.LBB4153_49:
	s_waitcnt lgkmcnt(1)
	v_add_co_u32_e32 v0, vcc, 0x2000, v16
	v_addc_co_u32_e32 v1, vcc, 0, v17, vcc
	s_waitcnt lgkmcnt(0)
	global_store_dwordx2 v[0:1], v[18:19], off
	s_or_b64 exec, exec, s[0:1]
	s_and_saveexec_b64 s[0:1], s[16:17]
	s_cbranch_execz .LBB4153_40
.LBB4153_50:
	s_waitcnt lgkmcnt(1)
	v_add_co_u32_e32 v0, vcc, 0x2000, v16
	v_addc_co_u32_e32 v1, vcc, 0, v17, vcc
	global_store_dwordx2 v[0:1], v[2:3], off offset:1024
	s_endpgm
	.section	.rodata,"a",@progbits
	.p2align	6, 0x0
	.amdhsa_kernel _ZN7rocprim17ROCPRIM_400000_NS6detail17trampoline_kernelINS0_14default_configENS1_20scan_config_selectorIdEEZZNS1_9scan_implILNS1_25lookback_scan_determinismE0ELb0ELb0ES3_N6thrust23THRUST_200600_302600_NS6detail15normal_iteratorINS9_10device_ptrIdEEEESE_dNS9_4plusIvEEdEEDaPvRmT3_T4_T5_mT6_P12ihipStream_tbENKUlT_T0_E_clISt17integral_constantIbLb0EESU_EEDaSP_SQ_EUlSP_E0_NS1_11comp_targetILNS1_3genE4ELNS1_11target_archE910ELNS1_3gpuE8ELNS1_3repE0EEENS1_30default_config_static_selectorELNS0_4arch9wavefront6targetE1EEEvT1_
		.amdhsa_group_segment_fixed_size 10240
		.amdhsa_private_segment_fixed_size 0
		.amdhsa_kernarg_size 40
		.amdhsa_user_sgpr_count 6
		.amdhsa_user_sgpr_private_segment_buffer 1
		.amdhsa_user_sgpr_dispatch_ptr 0
		.amdhsa_user_sgpr_queue_ptr 0
		.amdhsa_user_sgpr_kernarg_segment_ptr 1
		.amdhsa_user_sgpr_dispatch_id 0
		.amdhsa_user_sgpr_flat_scratch_init 0
		.amdhsa_user_sgpr_kernarg_preload_length 0
		.amdhsa_user_sgpr_kernarg_preload_offset 0
		.amdhsa_user_sgpr_private_segment_size 0
		.amdhsa_uses_dynamic_stack 0
		.amdhsa_system_sgpr_private_segment_wavefront_offset 0
		.amdhsa_system_sgpr_workgroup_id_x 1
		.amdhsa_system_sgpr_workgroup_id_y 0
		.amdhsa_system_sgpr_workgroup_id_z 0
		.amdhsa_system_sgpr_workgroup_info 0
		.amdhsa_system_vgpr_workitem_id 0
		.amdhsa_next_free_vgpr 50
		.amdhsa_next_free_sgpr 28
		.amdhsa_accum_offset 52
		.amdhsa_reserve_vcc 1
		.amdhsa_reserve_flat_scratch 0
		.amdhsa_float_round_mode_32 0
		.amdhsa_float_round_mode_16_64 0
		.amdhsa_float_denorm_mode_32 3
		.amdhsa_float_denorm_mode_16_64 3
		.amdhsa_dx10_clamp 1
		.amdhsa_ieee_mode 1
		.amdhsa_fp16_overflow 0
		.amdhsa_tg_split 0
		.amdhsa_exception_fp_ieee_invalid_op 0
		.amdhsa_exception_fp_denorm_src 0
		.amdhsa_exception_fp_ieee_div_zero 0
		.amdhsa_exception_fp_ieee_overflow 0
		.amdhsa_exception_fp_ieee_underflow 0
		.amdhsa_exception_fp_ieee_inexact 0
		.amdhsa_exception_int_div_zero 0
	.end_amdhsa_kernel
	.section	.text._ZN7rocprim17ROCPRIM_400000_NS6detail17trampoline_kernelINS0_14default_configENS1_20scan_config_selectorIdEEZZNS1_9scan_implILNS1_25lookback_scan_determinismE0ELb0ELb0ES3_N6thrust23THRUST_200600_302600_NS6detail15normal_iteratorINS9_10device_ptrIdEEEESE_dNS9_4plusIvEEdEEDaPvRmT3_T4_T5_mT6_P12ihipStream_tbENKUlT_T0_E_clISt17integral_constantIbLb0EESU_EEDaSP_SQ_EUlSP_E0_NS1_11comp_targetILNS1_3genE4ELNS1_11target_archE910ELNS1_3gpuE8ELNS1_3repE0EEENS1_30default_config_static_selectorELNS0_4arch9wavefront6targetE1EEEvT1_,"axG",@progbits,_ZN7rocprim17ROCPRIM_400000_NS6detail17trampoline_kernelINS0_14default_configENS1_20scan_config_selectorIdEEZZNS1_9scan_implILNS1_25lookback_scan_determinismE0ELb0ELb0ES3_N6thrust23THRUST_200600_302600_NS6detail15normal_iteratorINS9_10device_ptrIdEEEESE_dNS9_4plusIvEEdEEDaPvRmT3_T4_T5_mT6_P12ihipStream_tbENKUlT_T0_E_clISt17integral_constantIbLb0EESU_EEDaSP_SQ_EUlSP_E0_NS1_11comp_targetILNS1_3genE4ELNS1_11target_archE910ELNS1_3gpuE8ELNS1_3repE0EEENS1_30default_config_static_selectorELNS0_4arch9wavefront6targetE1EEEvT1_,comdat
.Lfunc_end4153:
	.size	_ZN7rocprim17ROCPRIM_400000_NS6detail17trampoline_kernelINS0_14default_configENS1_20scan_config_selectorIdEEZZNS1_9scan_implILNS1_25lookback_scan_determinismE0ELb0ELb0ES3_N6thrust23THRUST_200600_302600_NS6detail15normal_iteratorINS9_10device_ptrIdEEEESE_dNS9_4plusIvEEdEEDaPvRmT3_T4_T5_mT6_P12ihipStream_tbENKUlT_T0_E_clISt17integral_constantIbLb0EESU_EEDaSP_SQ_EUlSP_E0_NS1_11comp_targetILNS1_3genE4ELNS1_11target_archE910ELNS1_3gpuE8ELNS1_3repE0EEENS1_30default_config_static_selectorELNS0_4arch9wavefront6targetE1EEEvT1_, .Lfunc_end4153-_ZN7rocprim17ROCPRIM_400000_NS6detail17trampoline_kernelINS0_14default_configENS1_20scan_config_selectorIdEEZZNS1_9scan_implILNS1_25lookback_scan_determinismE0ELb0ELb0ES3_N6thrust23THRUST_200600_302600_NS6detail15normal_iteratorINS9_10device_ptrIdEEEESE_dNS9_4plusIvEEdEEDaPvRmT3_T4_T5_mT6_P12ihipStream_tbENKUlT_T0_E_clISt17integral_constantIbLb0EESU_EEDaSP_SQ_EUlSP_E0_NS1_11comp_targetILNS1_3genE4ELNS1_11target_archE910ELNS1_3gpuE8ELNS1_3repE0EEENS1_30default_config_static_selectorELNS0_4arch9wavefront6targetE1EEEvT1_
                                        ; -- End function
	.section	.AMDGPU.csdata,"",@progbits
; Kernel info:
; codeLenInByte = 1992
; NumSgprs: 32
; NumVgprs: 50
; NumAgprs: 0
; TotalNumVgprs: 50
; ScratchSize: 0
; MemoryBound: 0
; FloatMode: 240
; IeeeMode: 1
; LDSByteSize: 10240 bytes/workgroup (compile time only)
; SGPRBlocks: 3
; VGPRBlocks: 6
; NumSGPRsForWavesPerEU: 32
; NumVGPRsForWavesPerEU: 50
; AccumOffset: 52
; Occupancy: 3
; WaveLimiterHint : 0
; COMPUTE_PGM_RSRC2:SCRATCH_EN: 0
; COMPUTE_PGM_RSRC2:USER_SGPR: 6
; COMPUTE_PGM_RSRC2:TRAP_HANDLER: 0
; COMPUTE_PGM_RSRC2:TGID_X_EN: 1
; COMPUTE_PGM_RSRC2:TGID_Y_EN: 0
; COMPUTE_PGM_RSRC2:TGID_Z_EN: 0
; COMPUTE_PGM_RSRC2:TIDIG_COMP_CNT: 0
; COMPUTE_PGM_RSRC3_GFX90A:ACCUM_OFFSET: 12
; COMPUTE_PGM_RSRC3_GFX90A:TG_SPLIT: 0
	.section	.text._ZN7rocprim17ROCPRIM_400000_NS6detail17trampoline_kernelINS0_14default_configENS1_20scan_config_selectorIdEEZZNS1_9scan_implILNS1_25lookback_scan_determinismE0ELb0ELb0ES3_N6thrust23THRUST_200600_302600_NS6detail15normal_iteratorINS9_10device_ptrIdEEEESE_dNS9_4plusIvEEdEEDaPvRmT3_T4_T5_mT6_P12ihipStream_tbENKUlT_T0_E_clISt17integral_constantIbLb0EESU_EEDaSP_SQ_EUlSP_E0_NS1_11comp_targetILNS1_3genE3ELNS1_11target_archE908ELNS1_3gpuE7ELNS1_3repE0EEENS1_30default_config_static_selectorELNS0_4arch9wavefront6targetE1EEEvT1_,"axG",@progbits,_ZN7rocprim17ROCPRIM_400000_NS6detail17trampoline_kernelINS0_14default_configENS1_20scan_config_selectorIdEEZZNS1_9scan_implILNS1_25lookback_scan_determinismE0ELb0ELb0ES3_N6thrust23THRUST_200600_302600_NS6detail15normal_iteratorINS9_10device_ptrIdEEEESE_dNS9_4plusIvEEdEEDaPvRmT3_T4_T5_mT6_P12ihipStream_tbENKUlT_T0_E_clISt17integral_constantIbLb0EESU_EEDaSP_SQ_EUlSP_E0_NS1_11comp_targetILNS1_3genE3ELNS1_11target_archE908ELNS1_3gpuE7ELNS1_3repE0EEENS1_30default_config_static_selectorELNS0_4arch9wavefront6targetE1EEEvT1_,comdat
	.protected	_ZN7rocprim17ROCPRIM_400000_NS6detail17trampoline_kernelINS0_14default_configENS1_20scan_config_selectorIdEEZZNS1_9scan_implILNS1_25lookback_scan_determinismE0ELb0ELb0ES3_N6thrust23THRUST_200600_302600_NS6detail15normal_iteratorINS9_10device_ptrIdEEEESE_dNS9_4plusIvEEdEEDaPvRmT3_T4_T5_mT6_P12ihipStream_tbENKUlT_T0_E_clISt17integral_constantIbLb0EESU_EEDaSP_SQ_EUlSP_E0_NS1_11comp_targetILNS1_3genE3ELNS1_11target_archE908ELNS1_3gpuE7ELNS1_3repE0EEENS1_30default_config_static_selectorELNS0_4arch9wavefront6targetE1EEEvT1_ ; -- Begin function _ZN7rocprim17ROCPRIM_400000_NS6detail17trampoline_kernelINS0_14default_configENS1_20scan_config_selectorIdEEZZNS1_9scan_implILNS1_25lookback_scan_determinismE0ELb0ELb0ES3_N6thrust23THRUST_200600_302600_NS6detail15normal_iteratorINS9_10device_ptrIdEEEESE_dNS9_4plusIvEEdEEDaPvRmT3_T4_T5_mT6_P12ihipStream_tbENKUlT_T0_E_clISt17integral_constantIbLb0EESU_EEDaSP_SQ_EUlSP_E0_NS1_11comp_targetILNS1_3genE3ELNS1_11target_archE908ELNS1_3gpuE7ELNS1_3repE0EEENS1_30default_config_static_selectorELNS0_4arch9wavefront6targetE1EEEvT1_
	.globl	_ZN7rocprim17ROCPRIM_400000_NS6detail17trampoline_kernelINS0_14default_configENS1_20scan_config_selectorIdEEZZNS1_9scan_implILNS1_25lookback_scan_determinismE0ELb0ELb0ES3_N6thrust23THRUST_200600_302600_NS6detail15normal_iteratorINS9_10device_ptrIdEEEESE_dNS9_4plusIvEEdEEDaPvRmT3_T4_T5_mT6_P12ihipStream_tbENKUlT_T0_E_clISt17integral_constantIbLb0EESU_EEDaSP_SQ_EUlSP_E0_NS1_11comp_targetILNS1_3genE3ELNS1_11target_archE908ELNS1_3gpuE7ELNS1_3repE0EEENS1_30default_config_static_selectorELNS0_4arch9wavefront6targetE1EEEvT1_
	.p2align	8
	.type	_ZN7rocprim17ROCPRIM_400000_NS6detail17trampoline_kernelINS0_14default_configENS1_20scan_config_selectorIdEEZZNS1_9scan_implILNS1_25lookback_scan_determinismE0ELb0ELb0ES3_N6thrust23THRUST_200600_302600_NS6detail15normal_iteratorINS9_10device_ptrIdEEEESE_dNS9_4plusIvEEdEEDaPvRmT3_T4_T5_mT6_P12ihipStream_tbENKUlT_T0_E_clISt17integral_constantIbLb0EESU_EEDaSP_SQ_EUlSP_E0_NS1_11comp_targetILNS1_3genE3ELNS1_11target_archE908ELNS1_3gpuE7ELNS1_3repE0EEENS1_30default_config_static_selectorELNS0_4arch9wavefront6targetE1EEEvT1_,@function
_ZN7rocprim17ROCPRIM_400000_NS6detail17trampoline_kernelINS0_14default_configENS1_20scan_config_selectorIdEEZZNS1_9scan_implILNS1_25lookback_scan_determinismE0ELb0ELb0ES3_N6thrust23THRUST_200600_302600_NS6detail15normal_iteratorINS9_10device_ptrIdEEEESE_dNS9_4plusIvEEdEEDaPvRmT3_T4_T5_mT6_P12ihipStream_tbENKUlT_T0_E_clISt17integral_constantIbLb0EESU_EEDaSP_SQ_EUlSP_E0_NS1_11comp_targetILNS1_3genE3ELNS1_11target_archE908ELNS1_3gpuE7ELNS1_3repE0EEENS1_30default_config_static_selectorELNS0_4arch9wavefront6targetE1EEEvT1_: ; @_ZN7rocprim17ROCPRIM_400000_NS6detail17trampoline_kernelINS0_14default_configENS1_20scan_config_selectorIdEEZZNS1_9scan_implILNS1_25lookback_scan_determinismE0ELb0ELb0ES3_N6thrust23THRUST_200600_302600_NS6detail15normal_iteratorINS9_10device_ptrIdEEEESE_dNS9_4plusIvEEdEEDaPvRmT3_T4_T5_mT6_P12ihipStream_tbENKUlT_T0_E_clISt17integral_constantIbLb0EESU_EEDaSP_SQ_EUlSP_E0_NS1_11comp_targetILNS1_3genE3ELNS1_11target_archE908ELNS1_3gpuE7ELNS1_3repE0EEENS1_30default_config_static_selectorELNS0_4arch9wavefront6targetE1EEEvT1_
; %bb.0:
	.section	.rodata,"a",@progbits
	.p2align	6, 0x0
	.amdhsa_kernel _ZN7rocprim17ROCPRIM_400000_NS6detail17trampoline_kernelINS0_14default_configENS1_20scan_config_selectorIdEEZZNS1_9scan_implILNS1_25lookback_scan_determinismE0ELb0ELb0ES3_N6thrust23THRUST_200600_302600_NS6detail15normal_iteratorINS9_10device_ptrIdEEEESE_dNS9_4plusIvEEdEEDaPvRmT3_T4_T5_mT6_P12ihipStream_tbENKUlT_T0_E_clISt17integral_constantIbLb0EESU_EEDaSP_SQ_EUlSP_E0_NS1_11comp_targetILNS1_3genE3ELNS1_11target_archE908ELNS1_3gpuE7ELNS1_3repE0EEENS1_30default_config_static_selectorELNS0_4arch9wavefront6targetE1EEEvT1_
		.amdhsa_group_segment_fixed_size 0
		.amdhsa_private_segment_fixed_size 0
		.amdhsa_kernarg_size 40
		.amdhsa_user_sgpr_count 6
		.amdhsa_user_sgpr_private_segment_buffer 1
		.amdhsa_user_sgpr_dispatch_ptr 0
		.amdhsa_user_sgpr_queue_ptr 0
		.amdhsa_user_sgpr_kernarg_segment_ptr 1
		.amdhsa_user_sgpr_dispatch_id 0
		.amdhsa_user_sgpr_flat_scratch_init 0
		.amdhsa_user_sgpr_kernarg_preload_length 0
		.amdhsa_user_sgpr_kernarg_preload_offset 0
		.amdhsa_user_sgpr_private_segment_size 0
		.amdhsa_uses_dynamic_stack 0
		.amdhsa_system_sgpr_private_segment_wavefront_offset 0
		.amdhsa_system_sgpr_workgroup_id_x 1
		.amdhsa_system_sgpr_workgroup_id_y 0
		.amdhsa_system_sgpr_workgroup_id_z 0
		.amdhsa_system_sgpr_workgroup_info 0
		.amdhsa_system_vgpr_workitem_id 0
		.amdhsa_next_free_vgpr 1
		.amdhsa_next_free_sgpr 0
		.amdhsa_accum_offset 4
		.amdhsa_reserve_vcc 0
		.amdhsa_reserve_flat_scratch 0
		.amdhsa_float_round_mode_32 0
		.amdhsa_float_round_mode_16_64 0
		.amdhsa_float_denorm_mode_32 3
		.amdhsa_float_denorm_mode_16_64 3
		.amdhsa_dx10_clamp 1
		.amdhsa_ieee_mode 1
		.amdhsa_fp16_overflow 0
		.amdhsa_tg_split 0
		.amdhsa_exception_fp_ieee_invalid_op 0
		.amdhsa_exception_fp_denorm_src 0
		.amdhsa_exception_fp_ieee_div_zero 0
		.amdhsa_exception_fp_ieee_overflow 0
		.amdhsa_exception_fp_ieee_underflow 0
		.amdhsa_exception_fp_ieee_inexact 0
		.amdhsa_exception_int_div_zero 0
	.end_amdhsa_kernel
	.section	.text._ZN7rocprim17ROCPRIM_400000_NS6detail17trampoline_kernelINS0_14default_configENS1_20scan_config_selectorIdEEZZNS1_9scan_implILNS1_25lookback_scan_determinismE0ELb0ELb0ES3_N6thrust23THRUST_200600_302600_NS6detail15normal_iteratorINS9_10device_ptrIdEEEESE_dNS9_4plusIvEEdEEDaPvRmT3_T4_T5_mT6_P12ihipStream_tbENKUlT_T0_E_clISt17integral_constantIbLb0EESU_EEDaSP_SQ_EUlSP_E0_NS1_11comp_targetILNS1_3genE3ELNS1_11target_archE908ELNS1_3gpuE7ELNS1_3repE0EEENS1_30default_config_static_selectorELNS0_4arch9wavefront6targetE1EEEvT1_,"axG",@progbits,_ZN7rocprim17ROCPRIM_400000_NS6detail17trampoline_kernelINS0_14default_configENS1_20scan_config_selectorIdEEZZNS1_9scan_implILNS1_25lookback_scan_determinismE0ELb0ELb0ES3_N6thrust23THRUST_200600_302600_NS6detail15normal_iteratorINS9_10device_ptrIdEEEESE_dNS9_4plusIvEEdEEDaPvRmT3_T4_T5_mT6_P12ihipStream_tbENKUlT_T0_E_clISt17integral_constantIbLb0EESU_EEDaSP_SQ_EUlSP_E0_NS1_11comp_targetILNS1_3genE3ELNS1_11target_archE908ELNS1_3gpuE7ELNS1_3repE0EEENS1_30default_config_static_selectorELNS0_4arch9wavefront6targetE1EEEvT1_,comdat
.Lfunc_end4154:
	.size	_ZN7rocprim17ROCPRIM_400000_NS6detail17trampoline_kernelINS0_14default_configENS1_20scan_config_selectorIdEEZZNS1_9scan_implILNS1_25lookback_scan_determinismE0ELb0ELb0ES3_N6thrust23THRUST_200600_302600_NS6detail15normal_iteratorINS9_10device_ptrIdEEEESE_dNS9_4plusIvEEdEEDaPvRmT3_T4_T5_mT6_P12ihipStream_tbENKUlT_T0_E_clISt17integral_constantIbLb0EESU_EEDaSP_SQ_EUlSP_E0_NS1_11comp_targetILNS1_3genE3ELNS1_11target_archE908ELNS1_3gpuE7ELNS1_3repE0EEENS1_30default_config_static_selectorELNS0_4arch9wavefront6targetE1EEEvT1_, .Lfunc_end4154-_ZN7rocprim17ROCPRIM_400000_NS6detail17trampoline_kernelINS0_14default_configENS1_20scan_config_selectorIdEEZZNS1_9scan_implILNS1_25lookback_scan_determinismE0ELb0ELb0ES3_N6thrust23THRUST_200600_302600_NS6detail15normal_iteratorINS9_10device_ptrIdEEEESE_dNS9_4plusIvEEdEEDaPvRmT3_T4_T5_mT6_P12ihipStream_tbENKUlT_T0_E_clISt17integral_constantIbLb0EESU_EEDaSP_SQ_EUlSP_E0_NS1_11comp_targetILNS1_3genE3ELNS1_11target_archE908ELNS1_3gpuE7ELNS1_3repE0EEENS1_30default_config_static_selectorELNS0_4arch9wavefront6targetE1EEEvT1_
                                        ; -- End function
	.section	.AMDGPU.csdata,"",@progbits
; Kernel info:
; codeLenInByte = 0
; NumSgprs: 4
; NumVgprs: 0
; NumAgprs: 0
; TotalNumVgprs: 0
; ScratchSize: 0
; MemoryBound: 0
; FloatMode: 240
; IeeeMode: 1
; LDSByteSize: 0 bytes/workgroup (compile time only)
; SGPRBlocks: 0
; VGPRBlocks: 0
; NumSGPRsForWavesPerEU: 4
; NumVGPRsForWavesPerEU: 1
; AccumOffset: 4
; Occupancy: 8
; WaveLimiterHint : 0
; COMPUTE_PGM_RSRC2:SCRATCH_EN: 0
; COMPUTE_PGM_RSRC2:USER_SGPR: 6
; COMPUTE_PGM_RSRC2:TRAP_HANDLER: 0
; COMPUTE_PGM_RSRC2:TGID_X_EN: 1
; COMPUTE_PGM_RSRC2:TGID_Y_EN: 0
; COMPUTE_PGM_RSRC2:TGID_Z_EN: 0
; COMPUTE_PGM_RSRC2:TIDIG_COMP_CNT: 0
; COMPUTE_PGM_RSRC3_GFX90A:ACCUM_OFFSET: 0
; COMPUTE_PGM_RSRC3_GFX90A:TG_SPLIT: 0
	.section	.text._ZN7rocprim17ROCPRIM_400000_NS6detail17trampoline_kernelINS0_14default_configENS1_20scan_config_selectorIdEEZZNS1_9scan_implILNS1_25lookback_scan_determinismE0ELb0ELb0ES3_N6thrust23THRUST_200600_302600_NS6detail15normal_iteratorINS9_10device_ptrIdEEEESE_dNS9_4plusIvEEdEEDaPvRmT3_T4_T5_mT6_P12ihipStream_tbENKUlT_T0_E_clISt17integral_constantIbLb0EESU_EEDaSP_SQ_EUlSP_E0_NS1_11comp_targetILNS1_3genE2ELNS1_11target_archE906ELNS1_3gpuE6ELNS1_3repE0EEENS1_30default_config_static_selectorELNS0_4arch9wavefront6targetE1EEEvT1_,"axG",@progbits,_ZN7rocprim17ROCPRIM_400000_NS6detail17trampoline_kernelINS0_14default_configENS1_20scan_config_selectorIdEEZZNS1_9scan_implILNS1_25lookback_scan_determinismE0ELb0ELb0ES3_N6thrust23THRUST_200600_302600_NS6detail15normal_iteratorINS9_10device_ptrIdEEEESE_dNS9_4plusIvEEdEEDaPvRmT3_T4_T5_mT6_P12ihipStream_tbENKUlT_T0_E_clISt17integral_constantIbLb0EESU_EEDaSP_SQ_EUlSP_E0_NS1_11comp_targetILNS1_3genE2ELNS1_11target_archE906ELNS1_3gpuE6ELNS1_3repE0EEENS1_30default_config_static_selectorELNS0_4arch9wavefront6targetE1EEEvT1_,comdat
	.protected	_ZN7rocprim17ROCPRIM_400000_NS6detail17trampoline_kernelINS0_14default_configENS1_20scan_config_selectorIdEEZZNS1_9scan_implILNS1_25lookback_scan_determinismE0ELb0ELb0ES3_N6thrust23THRUST_200600_302600_NS6detail15normal_iteratorINS9_10device_ptrIdEEEESE_dNS9_4plusIvEEdEEDaPvRmT3_T4_T5_mT6_P12ihipStream_tbENKUlT_T0_E_clISt17integral_constantIbLb0EESU_EEDaSP_SQ_EUlSP_E0_NS1_11comp_targetILNS1_3genE2ELNS1_11target_archE906ELNS1_3gpuE6ELNS1_3repE0EEENS1_30default_config_static_selectorELNS0_4arch9wavefront6targetE1EEEvT1_ ; -- Begin function _ZN7rocprim17ROCPRIM_400000_NS6detail17trampoline_kernelINS0_14default_configENS1_20scan_config_selectorIdEEZZNS1_9scan_implILNS1_25lookback_scan_determinismE0ELb0ELb0ES3_N6thrust23THRUST_200600_302600_NS6detail15normal_iteratorINS9_10device_ptrIdEEEESE_dNS9_4plusIvEEdEEDaPvRmT3_T4_T5_mT6_P12ihipStream_tbENKUlT_T0_E_clISt17integral_constantIbLb0EESU_EEDaSP_SQ_EUlSP_E0_NS1_11comp_targetILNS1_3genE2ELNS1_11target_archE906ELNS1_3gpuE6ELNS1_3repE0EEENS1_30default_config_static_selectorELNS0_4arch9wavefront6targetE1EEEvT1_
	.globl	_ZN7rocprim17ROCPRIM_400000_NS6detail17trampoline_kernelINS0_14default_configENS1_20scan_config_selectorIdEEZZNS1_9scan_implILNS1_25lookback_scan_determinismE0ELb0ELb0ES3_N6thrust23THRUST_200600_302600_NS6detail15normal_iteratorINS9_10device_ptrIdEEEESE_dNS9_4plusIvEEdEEDaPvRmT3_T4_T5_mT6_P12ihipStream_tbENKUlT_T0_E_clISt17integral_constantIbLb0EESU_EEDaSP_SQ_EUlSP_E0_NS1_11comp_targetILNS1_3genE2ELNS1_11target_archE906ELNS1_3gpuE6ELNS1_3repE0EEENS1_30default_config_static_selectorELNS0_4arch9wavefront6targetE1EEEvT1_
	.p2align	8
	.type	_ZN7rocprim17ROCPRIM_400000_NS6detail17trampoline_kernelINS0_14default_configENS1_20scan_config_selectorIdEEZZNS1_9scan_implILNS1_25lookback_scan_determinismE0ELb0ELb0ES3_N6thrust23THRUST_200600_302600_NS6detail15normal_iteratorINS9_10device_ptrIdEEEESE_dNS9_4plusIvEEdEEDaPvRmT3_T4_T5_mT6_P12ihipStream_tbENKUlT_T0_E_clISt17integral_constantIbLb0EESU_EEDaSP_SQ_EUlSP_E0_NS1_11comp_targetILNS1_3genE2ELNS1_11target_archE906ELNS1_3gpuE6ELNS1_3repE0EEENS1_30default_config_static_selectorELNS0_4arch9wavefront6targetE1EEEvT1_,@function
_ZN7rocprim17ROCPRIM_400000_NS6detail17trampoline_kernelINS0_14default_configENS1_20scan_config_selectorIdEEZZNS1_9scan_implILNS1_25lookback_scan_determinismE0ELb0ELb0ES3_N6thrust23THRUST_200600_302600_NS6detail15normal_iteratorINS9_10device_ptrIdEEEESE_dNS9_4plusIvEEdEEDaPvRmT3_T4_T5_mT6_P12ihipStream_tbENKUlT_T0_E_clISt17integral_constantIbLb0EESU_EEDaSP_SQ_EUlSP_E0_NS1_11comp_targetILNS1_3genE2ELNS1_11target_archE906ELNS1_3gpuE6ELNS1_3repE0EEENS1_30default_config_static_selectorELNS0_4arch9wavefront6targetE1EEEvT1_: ; @_ZN7rocprim17ROCPRIM_400000_NS6detail17trampoline_kernelINS0_14default_configENS1_20scan_config_selectorIdEEZZNS1_9scan_implILNS1_25lookback_scan_determinismE0ELb0ELb0ES3_N6thrust23THRUST_200600_302600_NS6detail15normal_iteratorINS9_10device_ptrIdEEEESE_dNS9_4plusIvEEdEEDaPvRmT3_T4_T5_mT6_P12ihipStream_tbENKUlT_T0_E_clISt17integral_constantIbLb0EESU_EEDaSP_SQ_EUlSP_E0_NS1_11comp_targetILNS1_3genE2ELNS1_11target_archE906ELNS1_3gpuE6ELNS1_3repE0EEENS1_30default_config_static_selectorELNS0_4arch9wavefront6targetE1EEEvT1_
; %bb.0:
	.section	.rodata,"a",@progbits
	.p2align	6, 0x0
	.amdhsa_kernel _ZN7rocprim17ROCPRIM_400000_NS6detail17trampoline_kernelINS0_14default_configENS1_20scan_config_selectorIdEEZZNS1_9scan_implILNS1_25lookback_scan_determinismE0ELb0ELb0ES3_N6thrust23THRUST_200600_302600_NS6detail15normal_iteratorINS9_10device_ptrIdEEEESE_dNS9_4plusIvEEdEEDaPvRmT3_T4_T5_mT6_P12ihipStream_tbENKUlT_T0_E_clISt17integral_constantIbLb0EESU_EEDaSP_SQ_EUlSP_E0_NS1_11comp_targetILNS1_3genE2ELNS1_11target_archE906ELNS1_3gpuE6ELNS1_3repE0EEENS1_30default_config_static_selectorELNS0_4arch9wavefront6targetE1EEEvT1_
		.amdhsa_group_segment_fixed_size 0
		.amdhsa_private_segment_fixed_size 0
		.amdhsa_kernarg_size 40
		.amdhsa_user_sgpr_count 6
		.amdhsa_user_sgpr_private_segment_buffer 1
		.amdhsa_user_sgpr_dispatch_ptr 0
		.amdhsa_user_sgpr_queue_ptr 0
		.amdhsa_user_sgpr_kernarg_segment_ptr 1
		.amdhsa_user_sgpr_dispatch_id 0
		.amdhsa_user_sgpr_flat_scratch_init 0
		.amdhsa_user_sgpr_kernarg_preload_length 0
		.amdhsa_user_sgpr_kernarg_preload_offset 0
		.amdhsa_user_sgpr_private_segment_size 0
		.amdhsa_uses_dynamic_stack 0
		.amdhsa_system_sgpr_private_segment_wavefront_offset 0
		.amdhsa_system_sgpr_workgroup_id_x 1
		.amdhsa_system_sgpr_workgroup_id_y 0
		.amdhsa_system_sgpr_workgroup_id_z 0
		.amdhsa_system_sgpr_workgroup_info 0
		.amdhsa_system_vgpr_workitem_id 0
		.amdhsa_next_free_vgpr 1
		.amdhsa_next_free_sgpr 0
		.amdhsa_accum_offset 4
		.amdhsa_reserve_vcc 0
		.amdhsa_reserve_flat_scratch 0
		.amdhsa_float_round_mode_32 0
		.amdhsa_float_round_mode_16_64 0
		.amdhsa_float_denorm_mode_32 3
		.amdhsa_float_denorm_mode_16_64 3
		.amdhsa_dx10_clamp 1
		.amdhsa_ieee_mode 1
		.amdhsa_fp16_overflow 0
		.amdhsa_tg_split 0
		.amdhsa_exception_fp_ieee_invalid_op 0
		.amdhsa_exception_fp_denorm_src 0
		.amdhsa_exception_fp_ieee_div_zero 0
		.amdhsa_exception_fp_ieee_overflow 0
		.amdhsa_exception_fp_ieee_underflow 0
		.amdhsa_exception_fp_ieee_inexact 0
		.amdhsa_exception_int_div_zero 0
	.end_amdhsa_kernel
	.section	.text._ZN7rocprim17ROCPRIM_400000_NS6detail17trampoline_kernelINS0_14default_configENS1_20scan_config_selectorIdEEZZNS1_9scan_implILNS1_25lookback_scan_determinismE0ELb0ELb0ES3_N6thrust23THRUST_200600_302600_NS6detail15normal_iteratorINS9_10device_ptrIdEEEESE_dNS9_4plusIvEEdEEDaPvRmT3_T4_T5_mT6_P12ihipStream_tbENKUlT_T0_E_clISt17integral_constantIbLb0EESU_EEDaSP_SQ_EUlSP_E0_NS1_11comp_targetILNS1_3genE2ELNS1_11target_archE906ELNS1_3gpuE6ELNS1_3repE0EEENS1_30default_config_static_selectorELNS0_4arch9wavefront6targetE1EEEvT1_,"axG",@progbits,_ZN7rocprim17ROCPRIM_400000_NS6detail17trampoline_kernelINS0_14default_configENS1_20scan_config_selectorIdEEZZNS1_9scan_implILNS1_25lookback_scan_determinismE0ELb0ELb0ES3_N6thrust23THRUST_200600_302600_NS6detail15normal_iteratorINS9_10device_ptrIdEEEESE_dNS9_4plusIvEEdEEDaPvRmT3_T4_T5_mT6_P12ihipStream_tbENKUlT_T0_E_clISt17integral_constantIbLb0EESU_EEDaSP_SQ_EUlSP_E0_NS1_11comp_targetILNS1_3genE2ELNS1_11target_archE906ELNS1_3gpuE6ELNS1_3repE0EEENS1_30default_config_static_selectorELNS0_4arch9wavefront6targetE1EEEvT1_,comdat
.Lfunc_end4155:
	.size	_ZN7rocprim17ROCPRIM_400000_NS6detail17trampoline_kernelINS0_14default_configENS1_20scan_config_selectorIdEEZZNS1_9scan_implILNS1_25lookback_scan_determinismE0ELb0ELb0ES3_N6thrust23THRUST_200600_302600_NS6detail15normal_iteratorINS9_10device_ptrIdEEEESE_dNS9_4plusIvEEdEEDaPvRmT3_T4_T5_mT6_P12ihipStream_tbENKUlT_T0_E_clISt17integral_constantIbLb0EESU_EEDaSP_SQ_EUlSP_E0_NS1_11comp_targetILNS1_3genE2ELNS1_11target_archE906ELNS1_3gpuE6ELNS1_3repE0EEENS1_30default_config_static_selectorELNS0_4arch9wavefront6targetE1EEEvT1_, .Lfunc_end4155-_ZN7rocprim17ROCPRIM_400000_NS6detail17trampoline_kernelINS0_14default_configENS1_20scan_config_selectorIdEEZZNS1_9scan_implILNS1_25lookback_scan_determinismE0ELb0ELb0ES3_N6thrust23THRUST_200600_302600_NS6detail15normal_iteratorINS9_10device_ptrIdEEEESE_dNS9_4plusIvEEdEEDaPvRmT3_T4_T5_mT6_P12ihipStream_tbENKUlT_T0_E_clISt17integral_constantIbLb0EESU_EEDaSP_SQ_EUlSP_E0_NS1_11comp_targetILNS1_3genE2ELNS1_11target_archE906ELNS1_3gpuE6ELNS1_3repE0EEENS1_30default_config_static_selectorELNS0_4arch9wavefront6targetE1EEEvT1_
                                        ; -- End function
	.section	.AMDGPU.csdata,"",@progbits
; Kernel info:
; codeLenInByte = 0
; NumSgprs: 4
; NumVgprs: 0
; NumAgprs: 0
; TotalNumVgprs: 0
; ScratchSize: 0
; MemoryBound: 0
; FloatMode: 240
; IeeeMode: 1
; LDSByteSize: 0 bytes/workgroup (compile time only)
; SGPRBlocks: 0
; VGPRBlocks: 0
; NumSGPRsForWavesPerEU: 4
; NumVGPRsForWavesPerEU: 1
; AccumOffset: 4
; Occupancy: 8
; WaveLimiterHint : 0
; COMPUTE_PGM_RSRC2:SCRATCH_EN: 0
; COMPUTE_PGM_RSRC2:USER_SGPR: 6
; COMPUTE_PGM_RSRC2:TRAP_HANDLER: 0
; COMPUTE_PGM_RSRC2:TGID_X_EN: 1
; COMPUTE_PGM_RSRC2:TGID_Y_EN: 0
; COMPUTE_PGM_RSRC2:TGID_Z_EN: 0
; COMPUTE_PGM_RSRC2:TIDIG_COMP_CNT: 0
; COMPUTE_PGM_RSRC3_GFX90A:ACCUM_OFFSET: 0
; COMPUTE_PGM_RSRC3_GFX90A:TG_SPLIT: 0
	.section	.text._ZN7rocprim17ROCPRIM_400000_NS6detail17trampoline_kernelINS0_14default_configENS1_20scan_config_selectorIdEEZZNS1_9scan_implILNS1_25lookback_scan_determinismE0ELb0ELb0ES3_N6thrust23THRUST_200600_302600_NS6detail15normal_iteratorINS9_10device_ptrIdEEEESE_dNS9_4plusIvEEdEEDaPvRmT3_T4_T5_mT6_P12ihipStream_tbENKUlT_T0_E_clISt17integral_constantIbLb0EESU_EEDaSP_SQ_EUlSP_E0_NS1_11comp_targetILNS1_3genE10ELNS1_11target_archE1201ELNS1_3gpuE5ELNS1_3repE0EEENS1_30default_config_static_selectorELNS0_4arch9wavefront6targetE1EEEvT1_,"axG",@progbits,_ZN7rocprim17ROCPRIM_400000_NS6detail17trampoline_kernelINS0_14default_configENS1_20scan_config_selectorIdEEZZNS1_9scan_implILNS1_25lookback_scan_determinismE0ELb0ELb0ES3_N6thrust23THRUST_200600_302600_NS6detail15normal_iteratorINS9_10device_ptrIdEEEESE_dNS9_4plusIvEEdEEDaPvRmT3_T4_T5_mT6_P12ihipStream_tbENKUlT_T0_E_clISt17integral_constantIbLb0EESU_EEDaSP_SQ_EUlSP_E0_NS1_11comp_targetILNS1_3genE10ELNS1_11target_archE1201ELNS1_3gpuE5ELNS1_3repE0EEENS1_30default_config_static_selectorELNS0_4arch9wavefront6targetE1EEEvT1_,comdat
	.protected	_ZN7rocprim17ROCPRIM_400000_NS6detail17trampoline_kernelINS0_14default_configENS1_20scan_config_selectorIdEEZZNS1_9scan_implILNS1_25lookback_scan_determinismE0ELb0ELb0ES3_N6thrust23THRUST_200600_302600_NS6detail15normal_iteratorINS9_10device_ptrIdEEEESE_dNS9_4plusIvEEdEEDaPvRmT3_T4_T5_mT6_P12ihipStream_tbENKUlT_T0_E_clISt17integral_constantIbLb0EESU_EEDaSP_SQ_EUlSP_E0_NS1_11comp_targetILNS1_3genE10ELNS1_11target_archE1201ELNS1_3gpuE5ELNS1_3repE0EEENS1_30default_config_static_selectorELNS0_4arch9wavefront6targetE1EEEvT1_ ; -- Begin function _ZN7rocprim17ROCPRIM_400000_NS6detail17trampoline_kernelINS0_14default_configENS1_20scan_config_selectorIdEEZZNS1_9scan_implILNS1_25lookback_scan_determinismE0ELb0ELb0ES3_N6thrust23THRUST_200600_302600_NS6detail15normal_iteratorINS9_10device_ptrIdEEEESE_dNS9_4plusIvEEdEEDaPvRmT3_T4_T5_mT6_P12ihipStream_tbENKUlT_T0_E_clISt17integral_constantIbLb0EESU_EEDaSP_SQ_EUlSP_E0_NS1_11comp_targetILNS1_3genE10ELNS1_11target_archE1201ELNS1_3gpuE5ELNS1_3repE0EEENS1_30default_config_static_selectorELNS0_4arch9wavefront6targetE1EEEvT1_
	.globl	_ZN7rocprim17ROCPRIM_400000_NS6detail17trampoline_kernelINS0_14default_configENS1_20scan_config_selectorIdEEZZNS1_9scan_implILNS1_25lookback_scan_determinismE0ELb0ELb0ES3_N6thrust23THRUST_200600_302600_NS6detail15normal_iteratorINS9_10device_ptrIdEEEESE_dNS9_4plusIvEEdEEDaPvRmT3_T4_T5_mT6_P12ihipStream_tbENKUlT_T0_E_clISt17integral_constantIbLb0EESU_EEDaSP_SQ_EUlSP_E0_NS1_11comp_targetILNS1_3genE10ELNS1_11target_archE1201ELNS1_3gpuE5ELNS1_3repE0EEENS1_30default_config_static_selectorELNS0_4arch9wavefront6targetE1EEEvT1_
	.p2align	8
	.type	_ZN7rocprim17ROCPRIM_400000_NS6detail17trampoline_kernelINS0_14default_configENS1_20scan_config_selectorIdEEZZNS1_9scan_implILNS1_25lookback_scan_determinismE0ELb0ELb0ES3_N6thrust23THRUST_200600_302600_NS6detail15normal_iteratorINS9_10device_ptrIdEEEESE_dNS9_4plusIvEEdEEDaPvRmT3_T4_T5_mT6_P12ihipStream_tbENKUlT_T0_E_clISt17integral_constantIbLb0EESU_EEDaSP_SQ_EUlSP_E0_NS1_11comp_targetILNS1_3genE10ELNS1_11target_archE1201ELNS1_3gpuE5ELNS1_3repE0EEENS1_30default_config_static_selectorELNS0_4arch9wavefront6targetE1EEEvT1_,@function
_ZN7rocprim17ROCPRIM_400000_NS6detail17trampoline_kernelINS0_14default_configENS1_20scan_config_selectorIdEEZZNS1_9scan_implILNS1_25lookback_scan_determinismE0ELb0ELb0ES3_N6thrust23THRUST_200600_302600_NS6detail15normal_iteratorINS9_10device_ptrIdEEEESE_dNS9_4plusIvEEdEEDaPvRmT3_T4_T5_mT6_P12ihipStream_tbENKUlT_T0_E_clISt17integral_constantIbLb0EESU_EEDaSP_SQ_EUlSP_E0_NS1_11comp_targetILNS1_3genE10ELNS1_11target_archE1201ELNS1_3gpuE5ELNS1_3repE0EEENS1_30default_config_static_selectorELNS0_4arch9wavefront6targetE1EEEvT1_: ; @_ZN7rocprim17ROCPRIM_400000_NS6detail17trampoline_kernelINS0_14default_configENS1_20scan_config_selectorIdEEZZNS1_9scan_implILNS1_25lookback_scan_determinismE0ELb0ELb0ES3_N6thrust23THRUST_200600_302600_NS6detail15normal_iteratorINS9_10device_ptrIdEEEESE_dNS9_4plusIvEEdEEDaPvRmT3_T4_T5_mT6_P12ihipStream_tbENKUlT_T0_E_clISt17integral_constantIbLb0EESU_EEDaSP_SQ_EUlSP_E0_NS1_11comp_targetILNS1_3genE10ELNS1_11target_archE1201ELNS1_3gpuE5ELNS1_3repE0EEENS1_30default_config_static_selectorELNS0_4arch9wavefront6targetE1EEEvT1_
; %bb.0:
	.section	.rodata,"a",@progbits
	.p2align	6, 0x0
	.amdhsa_kernel _ZN7rocprim17ROCPRIM_400000_NS6detail17trampoline_kernelINS0_14default_configENS1_20scan_config_selectorIdEEZZNS1_9scan_implILNS1_25lookback_scan_determinismE0ELb0ELb0ES3_N6thrust23THRUST_200600_302600_NS6detail15normal_iteratorINS9_10device_ptrIdEEEESE_dNS9_4plusIvEEdEEDaPvRmT3_T4_T5_mT6_P12ihipStream_tbENKUlT_T0_E_clISt17integral_constantIbLb0EESU_EEDaSP_SQ_EUlSP_E0_NS1_11comp_targetILNS1_3genE10ELNS1_11target_archE1201ELNS1_3gpuE5ELNS1_3repE0EEENS1_30default_config_static_selectorELNS0_4arch9wavefront6targetE1EEEvT1_
		.amdhsa_group_segment_fixed_size 0
		.amdhsa_private_segment_fixed_size 0
		.amdhsa_kernarg_size 40
		.amdhsa_user_sgpr_count 6
		.amdhsa_user_sgpr_private_segment_buffer 1
		.amdhsa_user_sgpr_dispatch_ptr 0
		.amdhsa_user_sgpr_queue_ptr 0
		.amdhsa_user_sgpr_kernarg_segment_ptr 1
		.amdhsa_user_sgpr_dispatch_id 0
		.amdhsa_user_sgpr_flat_scratch_init 0
		.amdhsa_user_sgpr_kernarg_preload_length 0
		.amdhsa_user_sgpr_kernarg_preload_offset 0
		.amdhsa_user_sgpr_private_segment_size 0
		.amdhsa_uses_dynamic_stack 0
		.amdhsa_system_sgpr_private_segment_wavefront_offset 0
		.amdhsa_system_sgpr_workgroup_id_x 1
		.amdhsa_system_sgpr_workgroup_id_y 0
		.amdhsa_system_sgpr_workgroup_id_z 0
		.amdhsa_system_sgpr_workgroup_info 0
		.amdhsa_system_vgpr_workitem_id 0
		.amdhsa_next_free_vgpr 1
		.amdhsa_next_free_sgpr 0
		.amdhsa_accum_offset 4
		.amdhsa_reserve_vcc 0
		.amdhsa_reserve_flat_scratch 0
		.amdhsa_float_round_mode_32 0
		.amdhsa_float_round_mode_16_64 0
		.amdhsa_float_denorm_mode_32 3
		.amdhsa_float_denorm_mode_16_64 3
		.amdhsa_dx10_clamp 1
		.amdhsa_ieee_mode 1
		.amdhsa_fp16_overflow 0
		.amdhsa_tg_split 0
		.amdhsa_exception_fp_ieee_invalid_op 0
		.amdhsa_exception_fp_denorm_src 0
		.amdhsa_exception_fp_ieee_div_zero 0
		.amdhsa_exception_fp_ieee_overflow 0
		.amdhsa_exception_fp_ieee_underflow 0
		.amdhsa_exception_fp_ieee_inexact 0
		.amdhsa_exception_int_div_zero 0
	.end_amdhsa_kernel
	.section	.text._ZN7rocprim17ROCPRIM_400000_NS6detail17trampoline_kernelINS0_14default_configENS1_20scan_config_selectorIdEEZZNS1_9scan_implILNS1_25lookback_scan_determinismE0ELb0ELb0ES3_N6thrust23THRUST_200600_302600_NS6detail15normal_iteratorINS9_10device_ptrIdEEEESE_dNS9_4plusIvEEdEEDaPvRmT3_T4_T5_mT6_P12ihipStream_tbENKUlT_T0_E_clISt17integral_constantIbLb0EESU_EEDaSP_SQ_EUlSP_E0_NS1_11comp_targetILNS1_3genE10ELNS1_11target_archE1201ELNS1_3gpuE5ELNS1_3repE0EEENS1_30default_config_static_selectorELNS0_4arch9wavefront6targetE1EEEvT1_,"axG",@progbits,_ZN7rocprim17ROCPRIM_400000_NS6detail17trampoline_kernelINS0_14default_configENS1_20scan_config_selectorIdEEZZNS1_9scan_implILNS1_25lookback_scan_determinismE0ELb0ELb0ES3_N6thrust23THRUST_200600_302600_NS6detail15normal_iteratorINS9_10device_ptrIdEEEESE_dNS9_4plusIvEEdEEDaPvRmT3_T4_T5_mT6_P12ihipStream_tbENKUlT_T0_E_clISt17integral_constantIbLb0EESU_EEDaSP_SQ_EUlSP_E0_NS1_11comp_targetILNS1_3genE10ELNS1_11target_archE1201ELNS1_3gpuE5ELNS1_3repE0EEENS1_30default_config_static_selectorELNS0_4arch9wavefront6targetE1EEEvT1_,comdat
.Lfunc_end4156:
	.size	_ZN7rocprim17ROCPRIM_400000_NS6detail17trampoline_kernelINS0_14default_configENS1_20scan_config_selectorIdEEZZNS1_9scan_implILNS1_25lookback_scan_determinismE0ELb0ELb0ES3_N6thrust23THRUST_200600_302600_NS6detail15normal_iteratorINS9_10device_ptrIdEEEESE_dNS9_4plusIvEEdEEDaPvRmT3_T4_T5_mT6_P12ihipStream_tbENKUlT_T0_E_clISt17integral_constantIbLb0EESU_EEDaSP_SQ_EUlSP_E0_NS1_11comp_targetILNS1_3genE10ELNS1_11target_archE1201ELNS1_3gpuE5ELNS1_3repE0EEENS1_30default_config_static_selectorELNS0_4arch9wavefront6targetE1EEEvT1_, .Lfunc_end4156-_ZN7rocprim17ROCPRIM_400000_NS6detail17trampoline_kernelINS0_14default_configENS1_20scan_config_selectorIdEEZZNS1_9scan_implILNS1_25lookback_scan_determinismE0ELb0ELb0ES3_N6thrust23THRUST_200600_302600_NS6detail15normal_iteratorINS9_10device_ptrIdEEEESE_dNS9_4plusIvEEdEEDaPvRmT3_T4_T5_mT6_P12ihipStream_tbENKUlT_T0_E_clISt17integral_constantIbLb0EESU_EEDaSP_SQ_EUlSP_E0_NS1_11comp_targetILNS1_3genE10ELNS1_11target_archE1201ELNS1_3gpuE5ELNS1_3repE0EEENS1_30default_config_static_selectorELNS0_4arch9wavefront6targetE1EEEvT1_
                                        ; -- End function
	.section	.AMDGPU.csdata,"",@progbits
; Kernel info:
; codeLenInByte = 0
; NumSgprs: 4
; NumVgprs: 0
; NumAgprs: 0
; TotalNumVgprs: 0
; ScratchSize: 0
; MemoryBound: 0
; FloatMode: 240
; IeeeMode: 1
; LDSByteSize: 0 bytes/workgroup (compile time only)
; SGPRBlocks: 0
; VGPRBlocks: 0
; NumSGPRsForWavesPerEU: 4
; NumVGPRsForWavesPerEU: 1
; AccumOffset: 4
; Occupancy: 8
; WaveLimiterHint : 0
; COMPUTE_PGM_RSRC2:SCRATCH_EN: 0
; COMPUTE_PGM_RSRC2:USER_SGPR: 6
; COMPUTE_PGM_RSRC2:TRAP_HANDLER: 0
; COMPUTE_PGM_RSRC2:TGID_X_EN: 1
; COMPUTE_PGM_RSRC2:TGID_Y_EN: 0
; COMPUTE_PGM_RSRC2:TGID_Z_EN: 0
; COMPUTE_PGM_RSRC2:TIDIG_COMP_CNT: 0
; COMPUTE_PGM_RSRC3_GFX90A:ACCUM_OFFSET: 0
; COMPUTE_PGM_RSRC3_GFX90A:TG_SPLIT: 0
	.section	.text._ZN7rocprim17ROCPRIM_400000_NS6detail17trampoline_kernelINS0_14default_configENS1_20scan_config_selectorIdEEZZNS1_9scan_implILNS1_25lookback_scan_determinismE0ELb0ELb0ES3_N6thrust23THRUST_200600_302600_NS6detail15normal_iteratorINS9_10device_ptrIdEEEESE_dNS9_4plusIvEEdEEDaPvRmT3_T4_T5_mT6_P12ihipStream_tbENKUlT_T0_E_clISt17integral_constantIbLb0EESU_EEDaSP_SQ_EUlSP_E0_NS1_11comp_targetILNS1_3genE10ELNS1_11target_archE1200ELNS1_3gpuE4ELNS1_3repE0EEENS1_30default_config_static_selectorELNS0_4arch9wavefront6targetE1EEEvT1_,"axG",@progbits,_ZN7rocprim17ROCPRIM_400000_NS6detail17trampoline_kernelINS0_14default_configENS1_20scan_config_selectorIdEEZZNS1_9scan_implILNS1_25lookback_scan_determinismE0ELb0ELb0ES3_N6thrust23THRUST_200600_302600_NS6detail15normal_iteratorINS9_10device_ptrIdEEEESE_dNS9_4plusIvEEdEEDaPvRmT3_T4_T5_mT6_P12ihipStream_tbENKUlT_T0_E_clISt17integral_constantIbLb0EESU_EEDaSP_SQ_EUlSP_E0_NS1_11comp_targetILNS1_3genE10ELNS1_11target_archE1200ELNS1_3gpuE4ELNS1_3repE0EEENS1_30default_config_static_selectorELNS0_4arch9wavefront6targetE1EEEvT1_,comdat
	.protected	_ZN7rocprim17ROCPRIM_400000_NS6detail17trampoline_kernelINS0_14default_configENS1_20scan_config_selectorIdEEZZNS1_9scan_implILNS1_25lookback_scan_determinismE0ELb0ELb0ES3_N6thrust23THRUST_200600_302600_NS6detail15normal_iteratorINS9_10device_ptrIdEEEESE_dNS9_4plusIvEEdEEDaPvRmT3_T4_T5_mT6_P12ihipStream_tbENKUlT_T0_E_clISt17integral_constantIbLb0EESU_EEDaSP_SQ_EUlSP_E0_NS1_11comp_targetILNS1_3genE10ELNS1_11target_archE1200ELNS1_3gpuE4ELNS1_3repE0EEENS1_30default_config_static_selectorELNS0_4arch9wavefront6targetE1EEEvT1_ ; -- Begin function _ZN7rocprim17ROCPRIM_400000_NS6detail17trampoline_kernelINS0_14default_configENS1_20scan_config_selectorIdEEZZNS1_9scan_implILNS1_25lookback_scan_determinismE0ELb0ELb0ES3_N6thrust23THRUST_200600_302600_NS6detail15normal_iteratorINS9_10device_ptrIdEEEESE_dNS9_4plusIvEEdEEDaPvRmT3_T4_T5_mT6_P12ihipStream_tbENKUlT_T0_E_clISt17integral_constantIbLb0EESU_EEDaSP_SQ_EUlSP_E0_NS1_11comp_targetILNS1_3genE10ELNS1_11target_archE1200ELNS1_3gpuE4ELNS1_3repE0EEENS1_30default_config_static_selectorELNS0_4arch9wavefront6targetE1EEEvT1_
	.globl	_ZN7rocprim17ROCPRIM_400000_NS6detail17trampoline_kernelINS0_14default_configENS1_20scan_config_selectorIdEEZZNS1_9scan_implILNS1_25lookback_scan_determinismE0ELb0ELb0ES3_N6thrust23THRUST_200600_302600_NS6detail15normal_iteratorINS9_10device_ptrIdEEEESE_dNS9_4plusIvEEdEEDaPvRmT3_T4_T5_mT6_P12ihipStream_tbENKUlT_T0_E_clISt17integral_constantIbLb0EESU_EEDaSP_SQ_EUlSP_E0_NS1_11comp_targetILNS1_3genE10ELNS1_11target_archE1200ELNS1_3gpuE4ELNS1_3repE0EEENS1_30default_config_static_selectorELNS0_4arch9wavefront6targetE1EEEvT1_
	.p2align	8
	.type	_ZN7rocprim17ROCPRIM_400000_NS6detail17trampoline_kernelINS0_14default_configENS1_20scan_config_selectorIdEEZZNS1_9scan_implILNS1_25lookback_scan_determinismE0ELb0ELb0ES3_N6thrust23THRUST_200600_302600_NS6detail15normal_iteratorINS9_10device_ptrIdEEEESE_dNS9_4plusIvEEdEEDaPvRmT3_T4_T5_mT6_P12ihipStream_tbENKUlT_T0_E_clISt17integral_constantIbLb0EESU_EEDaSP_SQ_EUlSP_E0_NS1_11comp_targetILNS1_3genE10ELNS1_11target_archE1200ELNS1_3gpuE4ELNS1_3repE0EEENS1_30default_config_static_selectorELNS0_4arch9wavefront6targetE1EEEvT1_,@function
_ZN7rocprim17ROCPRIM_400000_NS6detail17trampoline_kernelINS0_14default_configENS1_20scan_config_selectorIdEEZZNS1_9scan_implILNS1_25lookback_scan_determinismE0ELb0ELb0ES3_N6thrust23THRUST_200600_302600_NS6detail15normal_iteratorINS9_10device_ptrIdEEEESE_dNS9_4plusIvEEdEEDaPvRmT3_T4_T5_mT6_P12ihipStream_tbENKUlT_T0_E_clISt17integral_constantIbLb0EESU_EEDaSP_SQ_EUlSP_E0_NS1_11comp_targetILNS1_3genE10ELNS1_11target_archE1200ELNS1_3gpuE4ELNS1_3repE0EEENS1_30default_config_static_selectorELNS0_4arch9wavefront6targetE1EEEvT1_: ; @_ZN7rocprim17ROCPRIM_400000_NS6detail17trampoline_kernelINS0_14default_configENS1_20scan_config_selectorIdEEZZNS1_9scan_implILNS1_25lookback_scan_determinismE0ELb0ELb0ES3_N6thrust23THRUST_200600_302600_NS6detail15normal_iteratorINS9_10device_ptrIdEEEESE_dNS9_4plusIvEEdEEDaPvRmT3_T4_T5_mT6_P12ihipStream_tbENKUlT_T0_E_clISt17integral_constantIbLb0EESU_EEDaSP_SQ_EUlSP_E0_NS1_11comp_targetILNS1_3genE10ELNS1_11target_archE1200ELNS1_3gpuE4ELNS1_3repE0EEENS1_30default_config_static_selectorELNS0_4arch9wavefront6targetE1EEEvT1_
; %bb.0:
	.section	.rodata,"a",@progbits
	.p2align	6, 0x0
	.amdhsa_kernel _ZN7rocprim17ROCPRIM_400000_NS6detail17trampoline_kernelINS0_14default_configENS1_20scan_config_selectorIdEEZZNS1_9scan_implILNS1_25lookback_scan_determinismE0ELb0ELb0ES3_N6thrust23THRUST_200600_302600_NS6detail15normal_iteratorINS9_10device_ptrIdEEEESE_dNS9_4plusIvEEdEEDaPvRmT3_T4_T5_mT6_P12ihipStream_tbENKUlT_T0_E_clISt17integral_constantIbLb0EESU_EEDaSP_SQ_EUlSP_E0_NS1_11comp_targetILNS1_3genE10ELNS1_11target_archE1200ELNS1_3gpuE4ELNS1_3repE0EEENS1_30default_config_static_selectorELNS0_4arch9wavefront6targetE1EEEvT1_
		.amdhsa_group_segment_fixed_size 0
		.amdhsa_private_segment_fixed_size 0
		.amdhsa_kernarg_size 40
		.amdhsa_user_sgpr_count 6
		.amdhsa_user_sgpr_private_segment_buffer 1
		.amdhsa_user_sgpr_dispatch_ptr 0
		.amdhsa_user_sgpr_queue_ptr 0
		.amdhsa_user_sgpr_kernarg_segment_ptr 1
		.amdhsa_user_sgpr_dispatch_id 0
		.amdhsa_user_sgpr_flat_scratch_init 0
		.amdhsa_user_sgpr_kernarg_preload_length 0
		.amdhsa_user_sgpr_kernarg_preload_offset 0
		.amdhsa_user_sgpr_private_segment_size 0
		.amdhsa_uses_dynamic_stack 0
		.amdhsa_system_sgpr_private_segment_wavefront_offset 0
		.amdhsa_system_sgpr_workgroup_id_x 1
		.amdhsa_system_sgpr_workgroup_id_y 0
		.amdhsa_system_sgpr_workgroup_id_z 0
		.amdhsa_system_sgpr_workgroup_info 0
		.amdhsa_system_vgpr_workitem_id 0
		.amdhsa_next_free_vgpr 1
		.amdhsa_next_free_sgpr 0
		.amdhsa_accum_offset 4
		.amdhsa_reserve_vcc 0
		.amdhsa_reserve_flat_scratch 0
		.amdhsa_float_round_mode_32 0
		.amdhsa_float_round_mode_16_64 0
		.amdhsa_float_denorm_mode_32 3
		.amdhsa_float_denorm_mode_16_64 3
		.amdhsa_dx10_clamp 1
		.amdhsa_ieee_mode 1
		.amdhsa_fp16_overflow 0
		.amdhsa_tg_split 0
		.amdhsa_exception_fp_ieee_invalid_op 0
		.amdhsa_exception_fp_denorm_src 0
		.amdhsa_exception_fp_ieee_div_zero 0
		.amdhsa_exception_fp_ieee_overflow 0
		.amdhsa_exception_fp_ieee_underflow 0
		.amdhsa_exception_fp_ieee_inexact 0
		.amdhsa_exception_int_div_zero 0
	.end_amdhsa_kernel
	.section	.text._ZN7rocprim17ROCPRIM_400000_NS6detail17trampoline_kernelINS0_14default_configENS1_20scan_config_selectorIdEEZZNS1_9scan_implILNS1_25lookback_scan_determinismE0ELb0ELb0ES3_N6thrust23THRUST_200600_302600_NS6detail15normal_iteratorINS9_10device_ptrIdEEEESE_dNS9_4plusIvEEdEEDaPvRmT3_T4_T5_mT6_P12ihipStream_tbENKUlT_T0_E_clISt17integral_constantIbLb0EESU_EEDaSP_SQ_EUlSP_E0_NS1_11comp_targetILNS1_3genE10ELNS1_11target_archE1200ELNS1_3gpuE4ELNS1_3repE0EEENS1_30default_config_static_selectorELNS0_4arch9wavefront6targetE1EEEvT1_,"axG",@progbits,_ZN7rocprim17ROCPRIM_400000_NS6detail17trampoline_kernelINS0_14default_configENS1_20scan_config_selectorIdEEZZNS1_9scan_implILNS1_25lookback_scan_determinismE0ELb0ELb0ES3_N6thrust23THRUST_200600_302600_NS6detail15normal_iteratorINS9_10device_ptrIdEEEESE_dNS9_4plusIvEEdEEDaPvRmT3_T4_T5_mT6_P12ihipStream_tbENKUlT_T0_E_clISt17integral_constantIbLb0EESU_EEDaSP_SQ_EUlSP_E0_NS1_11comp_targetILNS1_3genE10ELNS1_11target_archE1200ELNS1_3gpuE4ELNS1_3repE0EEENS1_30default_config_static_selectorELNS0_4arch9wavefront6targetE1EEEvT1_,comdat
.Lfunc_end4157:
	.size	_ZN7rocprim17ROCPRIM_400000_NS6detail17trampoline_kernelINS0_14default_configENS1_20scan_config_selectorIdEEZZNS1_9scan_implILNS1_25lookback_scan_determinismE0ELb0ELb0ES3_N6thrust23THRUST_200600_302600_NS6detail15normal_iteratorINS9_10device_ptrIdEEEESE_dNS9_4plusIvEEdEEDaPvRmT3_T4_T5_mT6_P12ihipStream_tbENKUlT_T0_E_clISt17integral_constantIbLb0EESU_EEDaSP_SQ_EUlSP_E0_NS1_11comp_targetILNS1_3genE10ELNS1_11target_archE1200ELNS1_3gpuE4ELNS1_3repE0EEENS1_30default_config_static_selectorELNS0_4arch9wavefront6targetE1EEEvT1_, .Lfunc_end4157-_ZN7rocprim17ROCPRIM_400000_NS6detail17trampoline_kernelINS0_14default_configENS1_20scan_config_selectorIdEEZZNS1_9scan_implILNS1_25lookback_scan_determinismE0ELb0ELb0ES3_N6thrust23THRUST_200600_302600_NS6detail15normal_iteratorINS9_10device_ptrIdEEEESE_dNS9_4plusIvEEdEEDaPvRmT3_T4_T5_mT6_P12ihipStream_tbENKUlT_T0_E_clISt17integral_constantIbLb0EESU_EEDaSP_SQ_EUlSP_E0_NS1_11comp_targetILNS1_3genE10ELNS1_11target_archE1200ELNS1_3gpuE4ELNS1_3repE0EEENS1_30default_config_static_selectorELNS0_4arch9wavefront6targetE1EEEvT1_
                                        ; -- End function
	.section	.AMDGPU.csdata,"",@progbits
; Kernel info:
; codeLenInByte = 0
; NumSgprs: 4
; NumVgprs: 0
; NumAgprs: 0
; TotalNumVgprs: 0
; ScratchSize: 0
; MemoryBound: 0
; FloatMode: 240
; IeeeMode: 1
; LDSByteSize: 0 bytes/workgroup (compile time only)
; SGPRBlocks: 0
; VGPRBlocks: 0
; NumSGPRsForWavesPerEU: 4
; NumVGPRsForWavesPerEU: 1
; AccumOffset: 4
; Occupancy: 8
; WaveLimiterHint : 0
; COMPUTE_PGM_RSRC2:SCRATCH_EN: 0
; COMPUTE_PGM_RSRC2:USER_SGPR: 6
; COMPUTE_PGM_RSRC2:TRAP_HANDLER: 0
; COMPUTE_PGM_RSRC2:TGID_X_EN: 1
; COMPUTE_PGM_RSRC2:TGID_Y_EN: 0
; COMPUTE_PGM_RSRC2:TGID_Z_EN: 0
; COMPUTE_PGM_RSRC2:TIDIG_COMP_CNT: 0
; COMPUTE_PGM_RSRC3_GFX90A:ACCUM_OFFSET: 0
; COMPUTE_PGM_RSRC3_GFX90A:TG_SPLIT: 0
	.section	.text._ZN7rocprim17ROCPRIM_400000_NS6detail17trampoline_kernelINS0_14default_configENS1_20scan_config_selectorIdEEZZNS1_9scan_implILNS1_25lookback_scan_determinismE0ELb0ELb0ES3_N6thrust23THRUST_200600_302600_NS6detail15normal_iteratorINS9_10device_ptrIdEEEESE_dNS9_4plusIvEEdEEDaPvRmT3_T4_T5_mT6_P12ihipStream_tbENKUlT_T0_E_clISt17integral_constantIbLb0EESU_EEDaSP_SQ_EUlSP_E0_NS1_11comp_targetILNS1_3genE9ELNS1_11target_archE1100ELNS1_3gpuE3ELNS1_3repE0EEENS1_30default_config_static_selectorELNS0_4arch9wavefront6targetE1EEEvT1_,"axG",@progbits,_ZN7rocprim17ROCPRIM_400000_NS6detail17trampoline_kernelINS0_14default_configENS1_20scan_config_selectorIdEEZZNS1_9scan_implILNS1_25lookback_scan_determinismE0ELb0ELb0ES3_N6thrust23THRUST_200600_302600_NS6detail15normal_iteratorINS9_10device_ptrIdEEEESE_dNS9_4plusIvEEdEEDaPvRmT3_T4_T5_mT6_P12ihipStream_tbENKUlT_T0_E_clISt17integral_constantIbLb0EESU_EEDaSP_SQ_EUlSP_E0_NS1_11comp_targetILNS1_3genE9ELNS1_11target_archE1100ELNS1_3gpuE3ELNS1_3repE0EEENS1_30default_config_static_selectorELNS0_4arch9wavefront6targetE1EEEvT1_,comdat
	.protected	_ZN7rocprim17ROCPRIM_400000_NS6detail17trampoline_kernelINS0_14default_configENS1_20scan_config_selectorIdEEZZNS1_9scan_implILNS1_25lookback_scan_determinismE0ELb0ELb0ES3_N6thrust23THRUST_200600_302600_NS6detail15normal_iteratorINS9_10device_ptrIdEEEESE_dNS9_4plusIvEEdEEDaPvRmT3_T4_T5_mT6_P12ihipStream_tbENKUlT_T0_E_clISt17integral_constantIbLb0EESU_EEDaSP_SQ_EUlSP_E0_NS1_11comp_targetILNS1_3genE9ELNS1_11target_archE1100ELNS1_3gpuE3ELNS1_3repE0EEENS1_30default_config_static_selectorELNS0_4arch9wavefront6targetE1EEEvT1_ ; -- Begin function _ZN7rocprim17ROCPRIM_400000_NS6detail17trampoline_kernelINS0_14default_configENS1_20scan_config_selectorIdEEZZNS1_9scan_implILNS1_25lookback_scan_determinismE0ELb0ELb0ES3_N6thrust23THRUST_200600_302600_NS6detail15normal_iteratorINS9_10device_ptrIdEEEESE_dNS9_4plusIvEEdEEDaPvRmT3_T4_T5_mT6_P12ihipStream_tbENKUlT_T0_E_clISt17integral_constantIbLb0EESU_EEDaSP_SQ_EUlSP_E0_NS1_11comp_targetILNS1_3genE9ELNS1_11target_archE1100ELNS1_3gpuE3ELNS1_3repE0EEENS1_30default_config_static_selectorELNS0_4arch9wavefront6targetE1EEEvT1_
	.globl	_ZN7rocprim17ROCPRIM_400000_NS6detail17trampoline_kernelINS0_14default_configENS1_20scan_config_selectorIdEEZZNS1_9scan_implILNS1_25lookback_scan_determinismE0ELb0ELb0ES3_N6thrust23THRUST_200600_302600_NS6detail15normal_iteratorINS9_10device_ptrIdEEEESE_dNS9_4plusIvEEdEEDaPvRmT3_T4_T5_mT6_P12ihipStream_tbENKUlT_T0_E_clISt17integral_constantIbLb0EESU_EEDaSP_SQ_EUlSP_E0_NS1_11comp_targetILNS1_3genE9ELNS1_11target_archE1100ELNS1_3gpuE3ELNS1_3repE0EEENS1_30default_config_static_selectorELNS0_4arch9wavefront6targetE1EEEvT1_
	.p2align	8
	.type	_ZN7rocprim17ROCPRIM_400000_NS6detail17trampoline_kernelINS0_14default_configENS1_20scan_config_selectorIdEEZZNS1_9scan_implILNS1_25lookback_scan_determinismE0ELb0ELb0ES3_N6thrust23THRUST_200600_302600_NS6detail15normal_iteratorINS9_10device_ptrIdEEEESE_dNS9_4plusIvEEdEEDaPvRmT3_T4_T5_mT6_P12ihipStream_tbENKUlT_T0_E_clISt17integral_constantIbLb0EESU_EEDaSP_SQ_EUlSP_E0_NS1_11comp_targetILNS1_3genE9ELNS1_11target_archE1100ELNS1_3gpuE3ELNS1_3repE0EEENS1_30default_config_static_selectorELNS0_4arch9wavefront6targetE1EEEvT1_,@function
_ZN7rocprim17ROCPRIM_400000_NS6detail17trampoline_kernelINS0_14default_configENS1_20scan_config_selectorIdEEZZNS1_9scan_implILNS1_25lookback_scan_determinismE0ELb0ELb0ES3_N6thrust23THRUST_200600_302600_NS6detail15normal_iteratorINS9_10device_ptrIdEEEESE_dNS9_4plusIvEEdEEDaPvRmT3_T4_T5_mT6_P12ihipStream_tbENKUlT_T0_E_clISt17integral_constantIbLb0EESU_EEDaSP_SQ_EUlSP_E0_NS1_11comp_targetILNS1_3genE9ELNS1_11target_archE1100ELNS1_3gpuE3ELNS1_3repE0EEENS1_30default_config_static_selectorELNS0_4arch9wavefront6targetE1EEEvT1_: ; @_ZN7rocprim17ROCPRIM_400000_NS6detail17trampoline_kernelINS0_14default_configENS1_20scan_config_selectorIdEEZZNS1_9scan_implILNS1_25lookback_scan_determinismE0ELb0ELb0ES3_N6thrust23THRUST_200600_302600_NS6detail15normal_iteratorINS9_10device_ptrIdEEEESE_dNS9_4plusIvEEdEEDaPvRmT3_T4_T5_mT6_P12ihipStream_tbENKUlT_T0_E_clISt17integral_constantIbLb0EESU_EEDaSP_SQ_EUlSP_E0_NS1_11comp_targetILNS1_3genE9ELNS1_11target_archE1100ELNS1_3gpuE3ELNS1_3repE0EEENS1_30default_config_static_selectorELNS0_4arch9wavefront6targetE1EEEvT1_
; %bb.0:
	.section	.rodata,"a",@progbits
	.p2align	6, 0x0
	.amdhsa_kernel _ZN7rocprim17ROCPRIM_400000_NS6detail17trampoline_kernelINS0_14default_configENS1_20scan_config_selectorIdEEZZNS1_9scan_implILNS1_25lookback_scan_determinismE0ELb0ELb0ES3_N6thrust23THRUST_200600_302600_NS6detail15normal_iteratorINS9_10device_ptrIdEEEESE_dNS9_4plusIvEEdEEDaPvRmT3_T4_T5_mT6_P12ihipStream_tbENKUlT_T0_E_clISt17integral_constantIbLb0EESU_EEDaSP_SQ_EUlSP_E0_NS1_11comp_targetILNS1_3genE9ELNS1_11target_archE1100ELNS1_3gpuE3ELNS1_3repE0EEENS1_30default_config_static_selectorELNS0_4arch9wavefront6targetE1EEEvT1_
		.amdhsa_group_segment_fixed_size 0
		.amdhsa_private_segment_fixed_size 0
		.amdhsa_kernarg_size 40
		.amdhsa_user_sgpr_count 6
		.amdhsa_user_sgpr_private_segment_buffer 1
		.amdhsa_user_sgpr_dispatch_ptr 0
		.amdhsa_user_sgpr_queue_ptr 0
		.amdhsa_user_sgpr_kernarg_segment_ptr 1
		.amdhsa_user_sgpr_dispatch_id 0
		.amdhsa_user_sgpr_flat_scratch_init 0
		.amdhsa_user_sgpr_kernarg_preload_length 0
		.amdhsa_user_sgpr_kernarg_preload_offset 0
		.amdhsa_user_sgpr_private_segment_size 0
		.amdhsa_uses_dynamic_stack 0
		.amdhsa_system_sgpr_private_segment_wavefront_offset 0
		.amdhsa_system_sgpr_workgroup_id_x 1
		.amdhsa_system_sgpr_workgroup_id_y 0
		.amdhsa_system_sgpr_workgroup_id_z 0
		.amdhsa_system_sgpr_workgroup_info 0
		.amdhsa_system_vgpr_workitem_id 0
		.amdhsa_next_free_vgpr 1
		.amdhsa_next_free_sgpr 0
		.amdhsa_accum_offset 4
		.amdhsa_reserve_vcc 0
		.amdhsa_reserve_flat_scratch 0
		.amdhsa_float_round_mode_32 0
		.amdhsa_float_round_mode_16_64 0
		.amdhsa_float_denorm_mode_32 3
		.amdhsa_float_denorm_mode_16_64 3
		.amdhsa_dx10_clamp 1
		.amdhsa_ieee_mode 1
		.amdhsa_fp16_overflow 0
		.amdhsa_tg_split 0
		.amdhsa_exception_fp_ieee_invalid_op 0
		.amdhsa_exception_fp_denorm_src 0
		.amdhsa_exception_fp_ieee_div_zero 0
		.amdhsa_exception_fp_ieee_overflow 0
		.amdhsa_exception_fp_ieee_underflow 0
		.amdhsa_exception_fp_ieee_inexact 0
		.amdhsa_exception_int_div_zero 0
	.end_amdhsa_kernel
	.section	.text._ZN7rocprim17ROCPRIM_400000_NS6detail17trampoline_kernelINS0_14default_configENS1_20scan_config_selectorIdEEZZNS1_9scan_implILNS1_25lookback_scan_determinismE0ELb0ELb0ES3_N6thrust23THRUST_200600_302600_NS6detail15normal_iteratorINS9_10device_ptrIdEEEESE_dNS9_4plusIvEEdEEDaPvRmT3_T4_T5_mT6_P12ihipStream_tbENKUlT_T0_E_clISt17integral_constantIbLb0EESU_EEDaSP_SQ_EUlSP_E0_NS1_11comp_targetILNS1_3genE9ELNS1_11target_archE1100ELNS1_3gpuE3ELNS1_3repE0EEENS1_30default_config_static_selectorELNS0_4arch9wavefront6targetE1EEEvT1_,"axG",@progbits,_ZN7rocprim17ROCPRIM_400000_NS6detail17trampoline_kernelINS0_14default_configENS1_20scan_config_selectorIdEEZZNS1_9scan_implILNS1_25lookback_scan_determinismE0ELb0ELb0ES3_N6thrust23THRUST_200600_302600_NS6detail15normal_iteratorINS9_10device_ptrIdEEEESE_dNS9_4plusIvEEdEEDaPvRmT3_T4_T5_mT6_P12ihipStream_tbENKUlT_T0_E_clISt17integral_constantIbLb0EESU_EEDaSP_SQ_EUlSP_E0_NS1_11comp_targetILNS1_3genE9ELNS1_11target_archE1100ELNS1_3gpuE3ELNS1_3repE0EEENS1_30default_config_static_selectorELNS0_4arch9wavefront6targetE1EEEvT1_,comdat
.Lfunc_end4158:
	.size	_ZN7rocprim17ROCPRIM_400000_NS6detail17trampoline_kernelINS0_14default_configENS1_20scan_config_selectorIdEEZZNS1_9scan_implILNS1_25lookback_scan_determinismE0ELb0ELb0ES3_N6thrust23THRUST_200600_302600_NS6detail15normal_iteratorINS9_10device_ptrIdEEEESE_dNS9_4plusIvEEdEEDaPvRmT3_T4_T5_mT6_P12ihipStream_tbENKUlT_T0_E_clISt17integral_constantIbLb0EESU_EEDaSP_SQ_EUlSP_E0_NS1_11comp_targetILNS1_3genE9ELNS1_11target_archE1100ELNS1_3gpuE3ELNS1_3repE0EEENS1_30default_config_static_selectorELNS0_4arch9wavefront6targetE1EEEvT1_, .Lfunc_end4158-_ZN7rocprim17ROCPRIM_400000_NS6detail17trampoline_kernelINS0_14default_configENS1_20scan_config_selectorIdEEZZNS1_9scan_implILNS1_25lookback_scan_determinismE0ELb0ELb0ES3_N6thrust23THRUST_200600_302600_NS6detail15normal_iteratorINS9_10device_ptrIdEEEESE_dNS9_4plusIvEEdEEDaPvRmT3_T4_T5_mT6_P12ihipStream_tbENKUlT_T0_E_clISt17integral_constantIbLb0EESU_EEDaSP_SQ_EUlSP_E0_NS1_11comp_targetILNS1_3genE9ELNS1_11target_archE1100ELNS1_3gpuE3ELNS1_3repE0EEENS1_30default_config_static_selectorELNS0_4arch9wavefront6targetE1EEEvT1_
                                        ; -- End function
	.section	.AMDGPU.csdata,"",@progbits
; Kernel info:
; codeLenInByte = 0
; NumSgprs: 4
; NumVgprs: 0
; NumAgprs: 0
; TotalNumVgprs: 0
; ScratchSize: 0
; MemoryBound: 0
; FloatMode: 240
; IeeeMode: 1
; LDSByteSize: 0 bytes/workgroup (compile time only)
; SGPRBlocks: 0
; VGPRBlocks: 0
; NumSGPRsForWavesPerEU: 4
; NumVGPRsForWavesPerEU: 1
; AccumOffset: 4
; Occupancy: 8
; WaveLimiterHint : 0
; COMPUTE_PGM_RSRC2:SCRATCH_EN: 0
; COMPUTE_PGM_RSRC2:USER_SGPR: 6
; COMPUTE_PGM_RSRC2:TRAP_HANDLER: 0
; COMPUTE_PGM_RSRC2:TGID_X_EN: 1
; COMPUTE_PGM_RSRC2:TGID_Y_EN: 0
; COMPUTE_PGM_RSRC2:TGID_Z_EN: 0
; COMPUTE_PGM_RSRC2:TIDIG_COMP_CNT: 0
; COMPUTE_PGM_RSRC3_GFX90A:ACCUM_OFFSET: 0
; COMPUTE_PGM_RSRC3_GFX90A:TG_SPLIT: 0
	.section	.text._ZN7rocprim17ROCPRIM_400000_NS6detail17trampoline_kernelINS0_14default_configENS1_20scan_config_selectorIdEEZZNS1_9scan_implILNS1_25lookback_scan_determinismE0ELb0ELb0ES3_N6thrust23THRUST_200600_302600_NS6detail15normal_iteratorINS9_10device_ptrIdEEEESE_dNS9_4plusIvEEdEEDaPvRmT3_T4_T5_mT6_P12ihipStream_tbENKUlT_T0_E_clISt17integral_constantIbLb0EESU_EEDaSP_SQ_EUlSP_E0_NS1_11comp_targetILNS1_3genE8ELNS1_11target_archE1030ELNS1_3gpuE2ELNS1_3repE0EEENS1_30default_config_static_selectorELNS0_4arch9wavefront6targetE1EEEvT1_,"axG",@progbits,_ZN7rocprim17ROCPRIM_400000_NS6detail17trampoline_kernelINS0_14default_configENS1_20scan_config_selectorIdEEZZNS1_9scan_implILNS1_25lookback_scan_determinismE0ELb0ELb0ES3_N6thrust23THRUST_200600_302600_NS6detail15normal_iteratorINS9_10device_ptrIdEEEESE_dNS9_4plusIvEEdEEDaPvRmT3_T4_T5_mT6_P12ihipStream_tbENKUlT_T0_E_clISt17integral_constantIbLb0EESU_EEDaSP_SQ_EUlSP_E0_NS1_11comp_targetILNS1_3genE8ELNS1_11target_archE1030ELNS1_3gpuE2ELNS1_3repE0EEENS1_30default_config_static_selectorELNS0_4arch9wavefront6targetE1EEEvT1_,comdat
	.protected	_ZN7rocprim17ROCPRIM_400000_NS6detail17trampoline_kernelINS0_14default_configENS1_20scan_config_selectorIdEEZZNS1_9scan_implILNS1_25lookback_scan_determinismE0ELb0ELb0ES3_N6thrust23THRUST_200600_302600_NS6detail15normal_iteratorINS9_10device_ptrIdEEEESE_dNS9_4plusIvEEdEEDaPvRmT3_T4_T5_mT6_P12ihipStream_tbENKUlT_T0_E_clISt17integral_constantIbLb0EESU_EEDaSP_SQ_EUlSP_E0_NS1_11comp_targetILNS1_3genE8ELNS1_11target_archE1030ELNS1_3gpuE2ELNS1_3repE0EEENS1_30default_config_static_selectorELNS0_4arch9wavefront6targetE1EEEvT1_ ; -- Begin function _ZN7rocprim17ROCPRIM_400000_NS6detail17trampoline_kernelINS0_14default_configENS1_20scan_config_selectorIdEEZZNS1_9scan_implILNS1_25lookback_scan_determinismE0ELb0ELb0ES3_N6thrust23THRUST_200600_302600_NS6detail15normal_iteratorINS9_10device_ptrIdEEEESE_dNS9_4plusIvEEdEEDaPvRmT3_T4_T5_mT6_P12ihipStream_tbENKUlT_T0_E_clISt17integral_constantIbLb0EESU_EEDaSP_SQ_EUlSP_E0_NS1_11comp_targetILNS1_3genE8ELNS1_11target_archE1030ELNS1_3gpuE2ELNS1_3repE0EEENS1_30default_config_static_selectorELNS0_4arch9wavefront6targetE1EEEvT1_
	.globl	_ZN7rocprim17ROCPRIM_400000_NS6detail17trampoline_kernelINS0_14default_configENS1_20scan_config_selectorIdEEZZNS1_9scan_implILNS1_25lookback_scan_determinismE0ELb0ELb0ES3_N6thrust23THRUST_200600_302600_NS6detail15normal_iteratorINS9_10device_ptrIdEEEESE_dNS9_4plusIvEEdEEDaPvRmT3_T4_T5_mT6_P12ihipStream_tbENKUlT_T0_E_clISt17integral_constantIbLb0EESU_EEDaSP_SQ_EUlSP_E0_NS1_11comp_targetILNS1_3genE8ELNS1_11target_archE1030ELNS1_3gpuE2ELNS1_3repE0EEENS1_30default_config_static_selectorELNS0_4arch9wavefront6targetE1EEEvT1_
	.p2align	8
	.type	_ZN7rocprim17ROCPRIM_400000_NS6detail17trampoline_kernelINS0_14default_configENS1_20scan_config_selectorIdEEZZNS1_9scan_implILNS1_25lookback_scan_determinismE0ELb0ELb0ES3_N6thrust23THRUST_200600_302600_NS6detail15normal_iteratorINS9_10device_ptrIdEEEESE_dNS9_4plusIvEEdEEDaPvRmT3_T4_T5_mT6_P12ihipStream_tbENKUlT_T0_E_clISt17integral_constantIbLb0EESU_EEDaSP_SQ_EUlSP_E0_NS1_11comp_targetILNS1_3genE8ELNS1_11target_archE1030ELNS1_3gpuE2ELNS1_3repE0EEENS1_30default_config_static_selectorELNS0_4arch9wavefront6targetE1EEEvT1_,@function
_ZN7rocprim17ROCPRIM_400000_NS6detail17trampoline_kernelINS0_14default_configENS1_20scan_config_selectorIdEEZZNS1_9scan_implILNS1_25lookback_scan_determinismE0ELb0ELb0ES3_N6thrust23THRUST_200600_302600_NS6detail15normal_iteratorINS9_10device_ptrIdEEEESE_dNS9_4plusIvEEdEEDaPvRmT3_T4_T5_mT6_P12ihipStream_tbENKUlT_T0_E_clISt17integral_constantIbLb0EESU_EEDaSP_SQ_EUlSP_E0_NS1_11comp_targetILNS1_3genE8ELNS1_11target_archE1030ELNS1_3gpuE2ELNS1_3repE0EEENS1_30default_config_static_selectorELNS0_4arch9wavefront6targetE1EEEvT1_: ; @_ZN7rocprim17ROCPRIM_400000_NS6detail17trampoline_kernelINS0_14default_configENS1_20scan_config_selectorIdEEZZNS1_9scan_implILNS1_25lookback_scan_determinismE0ELb0ELb0ES3_N6thrust23THRUST_200600_302600_NS6detail15normal_iteratorINS9_10device_ptrIdEEEESE_dNS9_4plusIvEEdEEDaPvRmT3_T4_T5_mT6_P12ihipStream_tbENKUlT_T0_E_clISt17integral_constantIbLb0EESU_EEDaSP_SQ_EUlSP_E0_NS1_11comp_targetILNS1_3genE8ELNS1_11target_archE1030ELNS1_3gpuE2ELNS1_3repE0EEENS1_30default_config_static_selectorELNS0_4arch9wavefront6targetE1EEEvT1_
; %bb.0:
	.section	.rodata,"a",@progbits
	.p2align	6, 0x0
	.amdhsa_kernel _ZN7rocprim17ROCPRIM_400000_NS6detail17trampoline_kernelINS0_14default_configENS1_20scan_config_selectorIdEEZZNS1_9scan_implILNS1_25lookback_scan_determinismE0ELb0ELb0ES3_N6thrust23THRUST_200600_302600_NS6detail15normal_iteratorINS9_10device_ptrIdEEEESE_dNS9_4plusIvEEdEEDaPvRmT3_T4_T5_mT6_P12ihipStream_tbENKUlT_T0_E_clISt17integral_constantIbLb0EESU_EEDaSP_SQ_EUlSP_E0_NS1_11comp_targetILNS1_3genE8ELNS1_11target_archE1030ELNS1_3gpuE2ELNS1_3repE0EEENS1_30default_config_static_selectorELNS0_4arch9wavefront6targetE1EEEvT1_
		.amdhsa_group_segment_fixed_size 0
		.amdhsa_private_segment_fixed_size 0
		.amdhsa_kernarg_size 40
		.amdhsa_user_sgpr_count 6
		.amdhsa_user_sgpr_private_segment_buffer 1
		.amdhsa_user_sgpr_dispatch_ptr 0
		.amdhsa_user_sgpr_queue_ptr 0
		.amdhsa_user_sgpr_kernarg_segment_ptr 1
		.amdhsa_user_sgpr_dispatch_id 0
		.amdhsa_user_sgpr_flat_scratch_init 0
		.amdhsa_user_sgpr_kernarg_preload_length 0
		.amdhsa_user_sgpr_kernarg_preload_offset 0
		.amdhsa_user_sgpr_private_segment_size 0
		.amdhsa_uses_dynamic_stack 0
		.amdhsa_system_sgpr_private_segment_wavefront_offset 0
		.amdhsa_system_sgpr_workgroup_id_x 1
		.amdhsa_system_sgpr_workgroup_id_y 0
		.amdhsa_system_sgpr_workgroup_id_z 0
		.amdhsa_system_sgpr_workgroup_info 0
		.amdhsa_system_vgpr_workitem_id 0
		.amdhsa_next_free_vgpr 1
		.amdhsa_next_free_sgpr 0
		.amdhsa_accum_offset 4
		.amdhsa_reserve_vcc 0
		.amdhsa_reserve_flat_scratch 0
		.amdhsa_float_round_mode_32 0
		.amdhsa_float_round_mode_16_64 0
		.amdhsa_float_denorm_mode_32 3
		.amdhsa_float_denorm_mode_16_64 3
		.amdhsa_dx10_clamp 1
		.amdhsa_ieee_mode 1
		.amdhsa_fp16_overflow 0
		.amdhsa_tg_split 0
		.amdhsa_exception_fp_ieee_invalid_op 0
		.amdhsa_exception_fp_denorm_src 0
		.amdhsa_exception_fp_ieee_div_zero 0
		.amdhsa_exception_fp_ieee_overflow 0
		.amdhsa_exception_fp_ieee_underflow 0
		.amdhsa_exception_fp_ieee_inexact 0
		.amdhsa_exception_int_div_zero 0
	.end_amdhsa_kernel
	.section	.text._ZN7rocprim17ROCPRIM_400000_NS6detail17trampoline_kernelINS0_14default_configENS1_20scan_config_selectorIdEEZZNS1_9scan_implILNS1_25lookback_scan_determinismE0ELb0ELb0ES3_N6thrust23THRUST_200600_302600_NS6detail15normal_iteratorINS9_10device_ptrIdEEEESE_dNS9_4plusIvEEdEEDaPvRmT3_T4_T5_mT6_P12ihipStream_tbENKUlT_T0_E_clISt17integral_constantIbLb0EESU_EEDaSP_SQ_EUlSP_E0_NS1_11comp_targetILNS1_3genE8ELNS1_11target_archE1030ELNS1_3gpuE2ELNS1_3repE0EEENS1_30default_config_static_selectorELNS0_4arch9wavefront6targetE1EEEvT1_,"axG",@progbits,_ZN7rocprim17ROCPRIM_400000_NS6detail17trampoline_kernelINS0_14default_configENS1_20scan_config_selectorIdEEZZNS1_9scan_implILNS1_25lookback_scan_determinismE0ELb0ELb0ES3_N6thrust23THRUST_200600_302600_NS6detail15normal_iteratorINS9_10device_ptrIdEEEESE_dNS9_4plusIvEEdEEDaPvRmT3_T4_T5_mT6_P12ihipStream_tbENKUlT_T0_E_clISt17integral_constantIbLb0EESU_EEDaSP_SQ_EUlSP_E0_NS1_11comp_targetILNS1_3genE8ELNS1_11target_archE1030ELNS1_3gpuE2ELNS1_3repE0EEENS1_30default_config_static_selectorELNS0_4arch9wavefront6targetE1EEEvT1_,comdat
.Lfunc_end4159:
	.size	_ZN7rocprim17ROCPRIM_400000_NS6detail17trampoline_kernelINS0_14default_configENS1_20scan_config_selectorIdEEZZNS1_9scan_implILNS1_25lookback_scan_determinismE0ELb0ELb0ES3_N6thrust23THRUST_200600_302600_NS6detail15normal_iteratorINS9_10device_ptrIdEEEESE_dNS9_4plusIvEEdEEDaPvRmT3_T4_T5_mT6_P12ihipStream_tbENKUlT_T0_E_clISt17integral_constantIbLb0EESU_EEDaSP_SQ_EUlSP_E0_NS1_11comp_targetILNS1_3genE8ELNS1_11target_archE1030ELNS1_3gpuE2ELNS1_3repE0EEENS1_30default_config_static_selectorELNS0_4arch9wavefront6targetE1EEEvT1_, .Lfunc_end4159-_ZN7rocprim17ROCPRIM_400000_NS6detail17trampoline_kernelINS0_14default_configENS1_20scan_config_selectorIdEEZZNS1_9scan_implILNS1_25lookback_scan_determinismE0ELb0ELb0ES3_N6thrust23THRUST_200600_302600_NS6detail15normal_iteratorINS9_10device_ptrIdEEEESE_dNS9_4plusIvEEdEEDaPvRmT3_T4_T5_mT6_P12ihipStream_tbENKUlT_T0_E_clISt17integral_constantIbLb0EESU_EEDaSP_SQ_EUlSP_E0_NS1_11comp_targetILNS1_3genE8ELNS1_11target_archE1030ELNS1_3gpuE2ELNS1_3repE0EEENS1_30default_config_static_selectorELNS0_4arch9wavefront6targetE1EEEvT1_
                                        ; -- End function
	.section	.AMDGPU.csdata,"",@progbits
; Kernel info:
; codeLenInByte = 0
; NumSgprs: 4
; NumVgprs: 0
; NumAgprs: 0
; TotalNumVgprs: 0
; ScratchSize: 0
; MemoryBound: 0
; FloatMode: 240
; IeeeMode: 1
; LDSByteSize: 0 bytes/workgroup (compile time only)
; SGPRBlocks: 0
; VGPRBlocks: 0
; NumSGPRsForWavesPerEU: 4
; NumVGPRsForWavesPerEU: 1
; AccumOffset: 4
; Occupancy: 8
; WaveLimiterHint : 0
; COMPUTE_PGM_RSRC2:SCRATCH_EN: 0
; COMPUTE_PGM_RSRC2:USER_SGPR: 6
; COMPUTE_PGM_RSRC2:TRAP_HANDLER: 0
; COMPUTE_PGM_RSRC2:TGID_X_EN: 1
; COMPUTE_PGM_RSRC2:TGID_Y_EN: 0
; COMPUTE_PGM_RSRC2:TGID_Z_EN: 0
; COMPUTE_PGM_RSRC2:TIDIG_COMP_CNT: 0
; COMPUTE_PGM_RSRC3_GFX90A:ACCUM_OFFSET: 0
; COMPUTE_PGM_RSRC3_GFX90A:TG_SPLIT: 0
	.section	.text._ZN7rocprim17ROCPRIM_400000_NS6detail17trampoline_kernelINS0_14default_configENS1_20scan_config_selectorIdEEZZNS1_9scan_implILNS1_25lookback_scan_determinismE0ELb0ELb0ES3_N6thrust23THRUST_200600_302600_NS6detail15normal_iteratorINS9_10device_ptrIdEEEESE_dNS9_4plusIvEEdEEDaPvRmT3_T4_T5_mT6_P12ihipStream_tbENKUlT_T0_E_clISt17integral_constantIbLb1EESU_EEDaSP_SQ_EUlSP_E_NS1_11comp_targetILNS1_3genE0ELNS1_11target_archE4294967295ELNS1_3gpuE0ELNS1_3repE0EEENS1_30default_config_static_selectorELNS0_4arch9wavefront6targetE1EEEvT1_,"axG",@progbits,_ZN7rocprim17ROCPRIM_400000_NS6detail17trampoline_kernelINS0_14default_configENS1_20scan_config_selectorIdEEZZNS1_9scan_implILNS1_25lookback_scan_determinismE0ELb0ELb0ES3_N6thrust23THRUST_200600_302600_NS6detail15normal_iteratorINS9_10device_ptrIdEEEESE_dNS9_4plusIvEEdEEDaPvRmT3_T4_T5_mT6_P12ihipStream_tbENKUlT_T0_E_clISt17integral_constantIbLb1EESU_EEDaSP_SQ_EUlSP_E_NS1_11comp_targetILNS1_3genE0ELNS1_11target_archE4294967295ELNS1_3gpuE0ELNS1_3repE0EEENS1_30default_config_static_selectorELNS0_4arch9wavefront6targetE1EEEvT1_,comdat
	.protected	_ZN7rocprim17ROCPRIM_400000_NS6detail17trampoline_kernelINS0_14default_configENS1_20scan_config_selectorIdEEZZNS1_9scan_implILNS1_25lookback_scan_determinismE0ELb0ELb0ES3_N6thrust23THRUST_200600_302600_NS6detail15normal_iteratorINS9_10device_ptrIdEEEESE_dNS9_4plusIvEEdEEDaPvRmT3_T4_T5_mT6_P12ihipStream_tbENKUlT_T0_E_clISt17integral_constantIbLb1EESU_EEDaSP_SQ_EUlSP_E_NS1_11comp_targetILNS1_3genE0ELNS1_11target_archE4294967295ELNS1_3gpuE0ELNS1_3repE0EEENS1_30default_config_static_selectorELNS0_4arch9wavefront6targetE1EEEvT1_ ; -- Begin function _ZN7rocprim17ROCPRIM_400000_NS6detail17trampoline_kernelINS0_14default_configENS1_20scan_config_selectorIdEEZZNS1_9scan_implILNS1_25lookback_scan_determinismE0ELb0ELb0ES3_N6thrust23THRUST_200600_302600_NS6detail15normal_iteratorINS9_10device_ptrIdEEEESE_dNS9_4plusIvEEdEEDaPvRmT3_T4_T5_mT6_P12ihipStream_tbENKUlT_T0_E_clISt17integral_constantIbLb1EESU_EEDaSP_SQ_EUlSP_E_NS1_11comp_targetILNS1_3genE0ELNS1_11target_archE4294967295ELNS1_3gpuE0ELNS1_3repE0EEENS1_30default_config_static_selectorELNS0_4arch9wavefront6targetE1EEEvT1_
	.globl	_ZN7rocprim17ROCPRIM_400000_NS6detail17trampoline_kernelINS0_14default_configENS1_20scan_config_selectorIdEEZZNS1_9scan_implILNS1_25lookback_scan_determinismE0ELb0ELb0ES3_N6thrust23THRUST_200600_302600_NS6detail15normal_iteratorINS9_10device_ptrIdEEEESE_dNS9_4plusIvEEdEEDaPvRmT3_T4_T5_mT6_P12ihipStream_tbENKUlT_T0_E_clISt17integral_constantIbLb1EESU_EEDaSP_SQ_EUlSP_E_NS1_11comp_targetILNS1_3genE0ELNS1_11target_archE4294967295ELNS1_3gpuE0ELNS1_3repE0EEENS1_30default_config_static_selectorELNS0_4arch9wavefront6targetE1EEEvT1_
	.p2align	8
	.type	_ZN7rocprim17ROCPRIM_400000_NS6detail17trampoline_kernelINS0_14default_configENS1_20scan_config_selectorIdEEZZNS1_9scan_implILNS1_25lookback_scan_determinismE0ELb0ELb0ES3_N6thrust23THRUST_200600_302600_NS6detail15normal_iteratorINS9_10device_ptrIdEEEESE_dNS9_4plusIvEEdEEDaPvRmT3_T4_T5_mT6_P12ihipStream_tbENKUlT_T0_E_clISt17integral_constantIbLb1EESU_EEDaSP_SQ_EUlSP_E_NS1_11comp_targetILNS1_3genE0ELNS1_11target_archE4294967295ELNS1_3gpuE0ELNS1_3repE0EEENS1_30default_config_static_selectorELNS0_4arch9wavefront6targetE1EEEvT1_,@function
_ZN7rocprim17ROCPRIM_400000_NS6detail17trampoline_kernelINS0_14default_configENS1_20scan_config_selectorIdEEZZNS1_9scan_implILNS1_25lookback_scan_determinismE0ELb0ELb0ES3_N6thrust23THRUST_200600_302600_NS6detail15normal_iteratorINS9_10device_ptrIdEEEESE_dNS9_4plusIvEEdEEDaPvRmT3_T4_T5_mT6_P12ihipStream_tbENKUlT_T0_E_clISt17integral_constantIbLb1EESU_EEDaSP_SQ_EUlSP_E_NS1_11comp_targetILNS1_3genE0ELNS1_11target_archE4294967295ELNS1_3gpuE0ELNS1_3repE0EEENS1_30default_config_static_selectorELNS0_4arch9wavefront6targetE1EEEvT1_: ; @_ZN7rocprim17ROCPRIM_400000_NS6detail17trampoline_kernelINS0_14default_configENS1_20scan_config_selectorIdEEZZNS1_9scan_implILNS1_25lookback_scan_determinismE0ELb0ELb0ES3_N6thrust23THRUST_200600_302600_NS6detail15normal_iteratorINS9_10device_ptrIdEEEESE_dNS9_4plusIvEEdEEDaPvRmT3_T4_T5_mT6_P12ihipStream_tbENKUlT_T0_E_clISt17integral_constantIbLb1EESU_EEDaSP_SQ_EUlSP_E_NS1_11comp_targetILNS1_3genE0ELNS1_11target_archE4294967295ELNS1_3gpuE0ELNS1_3repE0EEENS1_30default_config_static_selectorELNS0_4arch9wavefront6targetE1EEEvT1_
; %bb.0:
	.section	.rodata,"a",@progbits
	.p2align	6, 0x0
	.amdhsa_kernel _ZN7rocprim17ROCPRIM_400000_NS6detail17trampoline_kernelINS0_14default_configENS1_20scan_config_selectorIdEEZZNS1_9scan_implILNS1_25lookback_scan_determinismE0ELb0ELb0ES3_N6thrust23THRUST_200600_302600_NS6detail15normal_iteratorINS9_10device_ptrIdEEEESE_dNS9_4plusIvEEdEEDaPvRmT3_T4_T5_mT6_P12ihipStream_tbENKUlT_T0_E_clISt17integral_constantIbLb1EESU_EEDaSP_SQ_EUlSP_E_NS1_11comp_targetILNS1_3genE0ELNS1_11target_archE4294967295ELNS1_3gpuE0ELNS1_3repE0EEENS1_30default_config_static_selectorELNS0_4arch9wavefront6targetE1EEEvT1_
		.amdhsa_group_segment_fixed_size 0
		.amdhsa_private_segment_fixed_size 0
		.amdhsa_kernarg_size 104
		.amdhsa_user_sgpr_count 6
		.amdhsa_user_sgpr_private_segment_buffer 1
		.amdhsa_user_sgpr_dispatch_ptr 0
		.amdhsa_user_sgpr_queue_ptr 0
		.amdhsa_user_sgpr_kernarg_segment_ptr 1
		.amdhsa_user_sgpr_dispatch_id 0
		.amdhsa_user_sgpr_flat_scratch_init 0
		.amdhsa_user_sgpr_kernarg_preload_length 0
		.amdhsa_user_sgpr_kernarg_preload_offset 0
		.amdhsa_user_sgpr_private_segment_size 0
		.amdhsa_uses_dynamic_stack 0
		.amdhsa_system_sgpr_private_segment_wavefront_offset 0
		.amdhsa_system_sgpr_workgroup_id_x 1
		.amdhsa_system_sgpr_workgroup_id_y 0
		.amdhsa_system_sgpr_workgroup_id_z 0
		.amdhsa_system_sgpr_workgroup_info 0
		.amdhsa_system_vgpr_workitem_id 0
		.amdhsa_next_free_vgpr 1
		.amdhsa_next_free_sgpr 0
		.amdhsa_accum_offset 4
		.amdhsa_reserve_vcc 0
		.amdhsa_reserve_flat_scratch 0
		.amdhsa_float_round_mode_32 0
		.amdhsa_float_round_mode_16_64 0
		.amdhsa_float_denorm_mode_32 3
		.amdhsa_float_denorm_mode_16_64 3
		.amdhsa_dx10_clamp 1
		.amdhsa_ieee_mode 1
		.amdhsa_fp16_overflow 0
		.amdhsa_tg_split 0
		.amdhsa_exception_fp_ieee_invalid_op 0
		.amdhsa_exception_fp_denorm_src 0
		.amdhsa_exception_fp_ieee_div_zero 0
		.amdhsa_exception_fp_ieee_overflow 0
		.amdhsa_exception_fp_ieee_underflow 0
		.amdhsa_exception_fp_ieee_inexact 0
		.amdhsa_exception_int_div_zero 0
	.end_amdhsa_kernel
	.section	.text._ZN7rocprim17ROCPRIM_400000_NS6detail17trampoline_kernelINS0_14default_configENS1_20scan_config_selectorIdEEZZNS1_9scan_implILNS1_25lookback_scan_determinismE0ELb0ELb0ES3_N6thrust23THRUST_200600_302600_NS6detail15normal_iteratorINS9_10device_ptrIdEEEESE_dNS9_4plusIvEEdEEDaPvRmT3_T4_T5_mT6_P12ihipStream_tbENKUlT_T0_E_clISt17integral_constantIbLb1EESU_EEDaSP_SQ_EUlSP_E_NS1_11comp_targetILNS1_3genE0ELNS1_11target_archE4294967295ELNS1_3gpuE0ELNS1_3repE0EEENS1_30default_config_static_selectorELNS0_4arch9wavefront6targetE1EEEvT1_,"axG",@progbits,_ZN7rocprim17ROCPRIM_400000_NS6detail17trampoline_kernelINS0_14default_configENS1_20scan_config_selectorIdEEZZNS1_9scan_implILNS1_25lookback_scan_determinismE0ELb0ELb0ES3_N6thrust23THRUST_200600_302600_NS6detail15normal_iteratorINS9_10device_ptrIdEEEESE_dNS9_4plusIvEEdEEDaPvRmT3_T4_T5_mT6_P12ihipStream_tbENKUlT_T0_E_clISt17integral_constantIbLb1EESU_EEDaSP_SQ_EUlSP_E_NS1_11comp_targetILNS1_3genE0ELNS1_11target_archE4294967295ELNS1_3gpuE0ELNS1_3repE0EEENS1_30default_config_static_selectorELNS0_4arch9wavefront6targetE1EEEvT1_,comdat
.Lfunc_end4160:
	.size	_ZN7rocprim17ROCPRIM_400000_NS6detail17trampoline_kernelINS0_14default_configENS1_20scan_config_selectorIdEEZZNS1_9scan_implILNS1_25lookback_scan_determinismE0ELb0ELb0ES3_N6thrust23THRUST_200600_302600_NS6detail15normal_iteratorINS9_10device_ptrIdEEEESE_dNS9_4plusIvEEdEEDaPvRmT3_T4_T5_mT6_P12ihipStream_tbENKUlT_T0_E_clISt17integral_constantIbLb1EESU_EEDaSP_SQ_EUlSP_E_NS1_11comp_targetILNS1_3genE0ELNS1_11target_archE4294967295ELNS1_3gpuE0ELNS1_3repE0EEENS1_30default_config_static_selectorELNS0_4arch9wavefront6targetE1EEEvT1_, .Lfunc_end4160-_ZN7rocprim17ROCPRIM_400000_NS6detail17trampoline_kernelINS0_14default_configENS1_20scan_config_selectorIdEEZZNS1_9scan_implILNS1_25lookback_scan_determinismE0ELb0ELb0ES3_N6thrust23THRUST_200600_302600_NS6detail15normal_iteratorINS9_10device_ptrIdEEEESE_dNS9_4plusIvEEdEEDaPvRmT3_T4_T5_mT6_P12ihipStream_tbENKUlT_T0_E_clISt17integral_constantIbLb1EESU_EEDaSP_SQ_EUlSP_E_NS1_11comp_targetILNS1_3genE0ELNS1_11target_archE4294967295ELNS1_3gpuE0ELNS1_3repE0EEENS1_30default_config_static_selectorELNS0_4arch9wavefront6targetE1EEEvT1_
                                        ; -- End function
	.section	.AMDGPU.csdata,"",@progbits
; Kernel info:
; codeLenInByte = 0
; NumSgprs: 4
; NumVgprs: 0
; NumAgprs: 0
; TotalNumVgprs: 0
; ScratchSize: 0
; MemoryBound: 0
; FloatMode: 240
; IeeeMode: 1
; LDSByteSize: 0 bytes/workgroup (compile time only)
; SGPRBlocks: 0
; VGPRBlocks: 0
; NumSGPRsForWavesPerEU: 4
; NumVGPRsForWavesPerEU: 1
; AccumOffset: 4
; Occupancy: 8
; WaveLimiterHint : 0
; COMPUTE_PGM_RSRC2:SCRATCH_EN: 0
; COMPUTE_PGM_RSRC2:USER_SGPR: 6
; COMPUTE_PGM_RSRC2:TRAP_HANDLER: 0
; COMPUTE_PGM_RSRC2:TGID_X_EN: 1
; COMPUTE_PGM_RSRC2:TGID_Y_EN: 0
; COMPUTE_PGM_RSRC2:TGID_Z_EN: 0
; COMPUTE_PGM_RSRC2:TIDIG_COMP_CNT: 0
; COMPUTE_PGM_RSRC3_GFX90A:ACCUM_OFFSET: 0
; COMPUTE_PGM_RSRC3_GFX90A:TG_SPLIT: 0
	.section	.text._ZN7rocprim17ROCPRIM_400000_NS6detail17trampoline_kernelINS0_14default_configENS1_20scan_config_selectorIdEEZZNS1_9scan_implILNS1_25lookback_scan_determinismE0ELb0ELb0ES3_N6thrust23THRUST_200600_302600_NS6detail15normal_iteratorINS9_10device_ptrIdEEEESE_dNS9_4plusIvEEdEEDaPvRmT3_T4_T5_mT6_P12ihipStream_tbENKUlT_T0_E_clISt17integral_constantIbLb1EESU_EEDaSP_SQ_EUlSP_E_NS1_11comp_targetILNS1_3genE5ELNS1_11target_archE942ELNS1_3gpuE9ELNS1_3repE0EEENS1_30default_config_static_selectorELNS0_4arch9wavefront6targetE1EEEvT1_,"axG",@progbits,_ZN7rocprim17ROCPRIM_400000_NS6detail17trampoline_kernelINS0_14default_configENS1_20scan_config_selectorIdEEZZNS1_9scan_implILNS1_25lookback_scan_determinismE0ELb0ELb0ES3_N6thrust23THRUST_200600_302600_NS6detail15normal_iteratorINS9_10device_ptrIdEEEESE_dNS9_4plusIvEEdEEDaPvRmT3_T4_T5_mT6_P12ihipStream_tbENKUlT_T0_E_clISt17integral_constantIbLb1EESU_EEDaSP_SQ_EUlSP_E_NS1_11comp_targetILNS1_3genE5ELNS1_11target_archE942ELNS1_3gpuE9ELNS1_3repE0EEENS1_30default_config_static_selectorELNS0_4arch9wavefront6targetE1EEEvT1_,comdat
	.protected	_ZN7rocprim17ROCPRIM_400000_NS6detail17trampoline_kernelINS0_14default_configENS1_20scan_config_selectorIdEEZZNS1_9scan_implILNS1_25lookback_scan_determinismE0ELb0ELb0ES3_N6thrust23THRUST_200600_302600_NS6detail15normal_iteratorINS9_10device_ptrIdEEEESE_dNS9_4plusIvEEdEEDaPvRmT3_T4_T5_mT6_P12ihipStream_tbENKUlT_T0_E_clISt17integral_constantIbLb1EESU_EEDaSP_SQ_EUlSP_E_NS1_11comp_targetILNS1_3genE5ELNS1_11target_archE942ELNS1_3gpuE9ELNS1_3repE0EEENS1_30default_config_static_selectorELNS0_4arch9wavefront6targetE1EEEvT1_ ; -- Begin function _ZN7rocprim17ROCPRIM_400000_NS6detail17trampoline_kernelINS0_14default_configENS1_20scan_config_selectorIdEEZZNS1_9scan_implILNS1_25lookback_scan_determinismE0ELb0ELb0ES3_N6thrust23THRUST_200600_302600_NS6detail15normal_iteratorINS9_10device_ptrIdEEEESE_dNS9_4plusIvEEdEEDaPvRmT3_T4_T5_mT6_P12ihipStream_tbENKUlT_T0_E_clISt17integral_constantIbLb1EESU_EEDaSP_SQ_EUlSP_E_NS1_11comp_targetILNS1_3genE5ELNS1_11target_archE942ELNS1_3gpuE9ELNS1_3repE0EEENS1_30default_config_static_selectorELNS0_4arch9wavefront6targetE1EEEvT1_
	.globl	_ZN7rocprim17ROCPRIM_400000_NS6detail17trampoline_kernelINS0_14default_configENS1_20scan_config_selectorIdEEZZNS1_9scan_implILNS1_25lookback_scan_determinismE0ELb0ELb0ES3_N6thrust23THRUST_200600_302600_NS6detail15normal_iteratorINS9_10device_ptrIdEEEESE_dNS9_4plusIvEEdEEDaPvRmT3_T4_T5_mT6_P12ihipStream_tbENKUlT_T0_E_clISt17integral_constantIbLb1EESU_EEDaSP_SQ_EUlSP_E_NS1_11comp_targetILNS1_3genE5ELNS1_11target_archE942ELNS1_3gpuE9ELNS1_3repE0EEENS1_30default_config_static_selectorELNS0_4arch9wavefront6targetE1EEEvT1_
	.p2align	8
	.type	_ZN7rocprim17ROCPRIM_400000_NS6detail17trampoline_kernelINS0_14default_configENS1_20scan_config_selectorIdEEZZNS1_9scan_implILNS1_25lookback_scan_determinismE0ELb0ELb0ES3_N6thrust23THRUST_200600_302600_NS6detail15normal_iteratorINS9_10device_ptrIdEEEESE_dNS9_4plusIvEEdEEDaPvRmT3_T4_T5_mT6_P12ihipStream_tbENKUlT_T0_E_clISt17integral_constantIbLb1EESU_EEDaSP_SQ_EUlSP_E_NS1_11comp_targetILNS1_3genE5ELNS1_11target_archE942ELNS1_3gpuE9ELNS1_3repE0EEENS1_30default_config_static_selectorELNS0_4arch9wavefront6targetE1EEEvT1_,@function
_ZN7rocprim17ROCPRIM_400000_NS6detail17trampoline_kernelINS0_14default_configENS1_20scan_config_selectorIdEEZZNS1_9scan_implILNS1_25lookback_scan_determinismE0ELb0ELb0ES3_N6thrust23THRUST_200600_302600_NS6detail15normal_iteratorINS9_10device_ptrIdEEEESE_dNS9_4plusIvEEdEEDaPvRmT3_T4_T5_mT6_P12ihipStream_tbENKUlT_T0_E_clISt17integral_constantIbLb1EESU_EEDaSP_SQ_EUlSP_E_NS1_11comp_targetILNS1_3genE5ELNS1_11target_archE942ELNS1_3gpuE9ELNS1_3repE0EEENS1_30default_config_static_selectorELNS0_4arch9wavefront6targetE1EEEvT1_: ; @_ZN7rocprim17ROCPRIM_400000_NS6detail17trampoline_kernelINS0_14default_configENS1_20scan_config_selectorIdEEZZNS1_9scan_implILNS1_25lookback_scan_determinismE0ELb0ELb0ES3_N6thrust23THRUST_200600_302600_NS6detail15normal_iteratorINS9_10device_ptrIdEEEESE_dNS9_4plusIvEEdEEDaPvRmT3_T4_T5_mT6_P12ihipStream_tbENKUlT_T0_E_clISt17integral_constantIbLb1EESU_EEDaSP_SQ_EUlSP_E_NS1_11comp_targetILNS1_3genE5ELNS1_11target_archE942ELNS1_3gpuE9ELNS1_3repE0EEENS1_30default_config_static_selectorELNS0_4arch9wavefront6targetE1EEEvT1_
; %bb.0:
	.section	.rodata,"a",@progbits
	.p2align	6, 0x0
	.amdhsa_kernel _ZN7rocprim17ROCPRIM_400000_NS6detail17trampoline_kernelINS0_14default_configENS1_20scan_config_selectorIdEEZZNS1_9scan_implILNS1_25lookback_scan_determinismE0ELb0ELb0ES3_N6thrust23THRUST_200600_302600_NS6detail15normal_iteratorINS9_10device_ptrIdEEEESE_dNS9_4plusIvEEdEEDaPvRmT3_T4_T5_mT6_P12ihipStream_tbENKUlT_T0_E_clISt17integral_constantIbLb1EESU_EEDaSP_SQ_EUlSP_E_NS1_11comp_targetILNS1_3genE5ELNS1_11target_archE942ELNS1_3gpuE9ELNS1_3repE0EEENS1_30default_config_static_selectorELNS0_4arch9wavefront6targetE1EEEvT1_
		.amdhsa_group_segment_fixed_size 0
		.amdhsa_private_segment_fixed_size 0
		.amdhsa_kernarg_size 104
		.amdhsa_user_sgpr_count 6
		.amdhsa_user_sgpr_private_segment_buffer 1
		.amdhsa_user_sgpr_dispatch_ptr 0
		.amdhsa_user_sgpr_queue_ptr 0
		.amdhsa_user_sgpr_kernarg_segment_ptr 1
		.amdhsa_user_sgpr_dispatch_id 0
		.amdhsa_user_sgpr_flat_scratch_init 0
		.amdhsa_user_sgpr_kernarg_preload_length 0
		.amdhsa_user_sgpr_kernarg_preload_offset 0
		.amdhsa_user_sgpr_private_segment_size 0
		.amdhsa_uses_dynamic_stack 0
		.amdhsa_system_sgpr_private_segment_wavefront_offset 0
		.amdhsa_system_sgpr_workgroup_id_x 1
		.amdhsa_system_sgpr_workgroup_id_y 0
		.amdhsa_system_sgpr_workgroup_id_z 0
		.amdhsa_system_sgpr_workgroup_info 0
		.amdhsa_system_vgpr_workitem_id 0
		.amdhsa_next_free_vgpr 1
		.amdhsa_next_free_sgpr 0
		.amdhsa_accum_offset 4
		.amdhsa_reserve_vcc 0
		.amdhsa_reserve_flat_scratch 0
		.amdhsa_float_round_mode_32 0
		.amdhsa_float_round_mode_16_64 0
		.amdhsa_float_denorm_mode_32 3
		.amdhsa_float_denorm_mode_16_64 3
		.amdhsa_dx10_clamp 1
		.amdhsa_ieee_mode 1
		.amdhsa_fp16_overflow 0
		.amdhsa_tg_split 0
		.amdhsa_exception_fp_ieee_invalid_op 0
		.amdhsa_exception_fp_denorm_src 0
		.amdhsa_exception_fp_ieee_div_zero 0
		.amdhsa_exception_fp_ieee_overflow 0
		.amdhsa_exception_fp_ieee_underflow 0
		.amdhsa_exception_fp_ieee_inexact 0
		.amdhsa_exception_int_div_zero 0
	.end_amdhsa_kernel
	.section	.text._ZN7rocprim17ROCPRIM_400000_NS6detail17trampoline_kernelINS0_14default_configENS1_20scan_config_selectorIdEEZZNS1_9scan_implILNS1_25lookback_scan_determinismE0ELb0ELb0ES3_N6thrust23THRUST_200600_302600_NS6detail15normal_iteratorINS9_10device_ptrIdEEEESE_dNS9_4plusIvEEdEEDaPvRmT3_T4_T5_mT6_P12ihipStream_tbENKUlT_T0_E_clISt17integral_constantIbLb1EESU_EEDaSP_SQ_EUlSP_E_NS1_11comp_targetILNS1_3genE5ELNS1_11target_archE942ELNS1_3gpuE9ELNS1_3repE0EEENS1_30default_config_static_selectorELNS0_4arch9wavefront6targetE1EEEvT1_,"axG",@progbits,_ZN7rocprim17ROCPRIM_400000_NS6detail17trampoline_kernelINS0_14default_configENS1_20scan_config_selectorIdEEZZNS1_9scan_implILNS1_25lookback_scan_determinismE0ELb0ELb0ES3_N6thrust23THRUST_200600_302600_NS6detail15normal_iteratorINS9_10device_ptrIdEEEESE_dNS9_4plusIvEEdEEDaPvRmT3_T4_T5_mT6_P12ihipStream_tbENKUlT_T0_E_clISt17integral_constantIbLb1EESU_EEDaSP_SQ_EUlSP_E_NS1_11comp_targetILNS1_3genE5ELNS1_11target_archE942ELNS1_3gpuE9ELNS1_3repE0EEENS1_30default_config_static_selectorELNS0_4arch9wavefront6targetE1EEEvT1_,comdat
.Lfunc_end4161:
	.size	_ZN7rocprim17ROCPRIM_400000_NS6detail17trampoline_kernelINS0_14default_configENS1_20scan_config_selectorIdEEZZNS1_9scan_implILNS1_25lookback_scan_determinismE0ELb0ELb0ES3_N6thrust23THRUST_200600_302600_NS6detail15normal_iteratorINS9_10device_ptrIdEEEESE_dNS9_4plusIvEEdEEDaPvRmT3_T4_T5_mT6_P12ihipStream_tbENKUlT_T0_E_clISt17integral_constantIbLb1EESU_EEDaSP_SQ_EUlSP_E_NS1_11comp_targetILNS1_3genE5ELNS1_11target_archE942ELNS1_3gpuE9ELNS1_3repE0EEENS1_30default_config_static_selectorELNS0_4arch9wavefront6targetE1EEEvT1_, .Lfunc_end4161-_ZN7rocprim17ROCPRIM_400000_NS6detail17trampoline_kernelINS0_14default_configENS1_20scan_config_selectorIdEEZZNS1_9scan_implILNS1_25lookback_scan_determinismE0ELb0ELb0ES3_N6thrust23THRUST_200600_302600_NS6detail15normal_iteratorINS9_10device_ptrIdEEEESE_dNS9_4plusIvEEdEEDaPvRmT3_T4_T5_mT6_P12ihipStream_tbENKUlT_T0_E_clISt17integral_constantIbLb1EESU_EEDaSP_SQ_EUlSP_E_NS1_11comp_targetILNS1_3genE5ELNS1_11target_archE942ELNS1_3gpuE9ELNS1_3repE0EEENS1_30default_config_static_selectorELNS0_4arch9wavefront6targetE1EEEvT1_
                                        ; -- End function
	.section	.AMDGPU.csdata,"",@progbits
; Kernel info:
; codeLenInByte = 0
; NumSgprs: 4
; NumVgprs: 0
; NumAgprs: 0
; TotalNumVgprs: 0
; ScratchSize: 0
; MemoryBound: 0
; FloatMode: 240
; IeeeMode: 1
; LDSByteSize: 0 bytes/workgroup (compile time only)
; SGPRBlocks: 0
; VGPRBlocks: 0
; NumSGPRsForWavesPerEU: 4
; NumVGPRsForWavesPerEU: 1
; AccumOffset: 4
; Occupancy: 8
; WaveLimiterHint : 0
; COMPUTE_PGM_RSRC2:SCRATCH_EN: 0
; COMPUTE_PGM_RSRC2:USER_SGPR: 6
; COMPUTE_PGM_RSRC2:TRAP_HANDLER: 0
; COMPUTE_PGM_RSRC2:TGID_X_EN: 1
; COMPUTE_PGM_RSRC2:TGID_Y_EN: 0
; COMPUTE_PGM_RSRC2:TGID_Z_EN: 0
; COMPUTE_PGM_RSRC2:TIDIG_COMP_CNT: 0
; COMPUTE_PGM_RSRC3_GFX90A:ACCUM_OFFSET: 0
; COMPUTE_PGM_RSRC3_GFX90A:TG_SPLIT: 0
	.section	.text._ZN7rocprim17ROCPRIM_400000_NS6detail17trampoline_kernelINS0_14default_configENS1_20scan_config_selectorIdEEZZNS1_9scan_implILNS1_25lookback_scan_determinismE0ELb0ELb0ES3_N6thrust23THRUST_200600_302600_NS6detail15normal_iteratorINS9_10device_ptrIdEEEESE_dNS9_4plusIvEEdEEDaPvRmT3_T4_T5_mT6_P12ihipStream_tbENKUlT_T0_E_clISt17integral_constantIbLb1EESU_EEDaSP_SQ_EUlSP_E_NS1_11comp_targetILNS1_3genE4ELNS1_11target_archE910ELNS1_3gpuE8ELNS1_3repE0EEENS1_30default_config_static_selectorELNS0_4arch9wavefront6targetE1EEEvT1_,"axG",@progbits,_ZN7rocprim17ROCPRIM_400000_NS6detail17trampoline_kernelINS0_14default_configENS1_20scan_config_selectorIdEEZZNS1_9scan_implILNS1_25lookback_scan_determinismE0ELb0ELb0ES3_N6thrust23THRUST_200600_302600_NS6detail15normal_iteratorINS9_10device_ptrIdEEEESE_dNS9_4plusIvEEdEEDaPvRmT3_T4_T5_mT6_P12ihipStream_tbENKUlT_T0_E_clISt17integral_constantIbLb1EESU_EEDaSP_SQ_EUlSP_E_NS1_11comp_targetILNS1_3genE4ELNS1_11target_archE910ELNS1_3gpuE8ELNS1_3repE0EEENS1_30default_config_static_selectorELNS0_4arch9wavefront6targetE1EEEvT1_,comdat
	.protected	_ZN7rocprim17ROCPRIM_400000_NS6detail17trampoline_kernelINS0_14default_configENS1_20scan_config_selectorIdEEZZNS1_9scan_implILNS1_25lookback_scan_determinismE0ELb0ELb0ES3_N6thrust23THRUST_200600_302600_NS6detail15normal_iteratorINS9_10device_ptrIdEEEESE_dNS9_4plusIvEEdEEDaPvRmT3_T4_T5_mT6_P12ihipStream_tbENKUlT_T0_E_clISt17integral_constantIbLb1EESU_EEDaSP_SQ_EUlSP_E_NS1_11comp_targetILNS1_3genE4ELNS1_11target_archE910ELNS1_3gpuE8ELNS1_3repE0EEENS1_30default_config_static_selectorELNS0_4arch9wavefront6targetE1EEEvT1_ ; -- Begin function _ZN7rocprim17ROCPRIM_400000_NS6detail17trampoline_kernelINS0_14default_configENS1_20scan_config_selectorIdEEZZNS1_9scan_implILNS1_25lookback_scan_determinismE0ELb0ELb0ES3_N6thrust23THRUST_200600_302600_NS6detail15normal_iteratorINS9_10device_ptrIdEEEESE_dNS9_4plusIvEEdEEDaPvRmT3_T4_T5_mT6_P12ihipStream_tbENKUlT_T0_E_clISt17integral_constantIbLb1EESU_EEDaSP_SQ_EUlSP_E_NS1_11comp_targetILNS1_3genE4ELNS1_11target_archE910ELNS1_3gpuE8ELNS1_3repE0EEENS1_30default_config_static_selectorELNS0_4arch9wavefront6targetE1EEEvT1_
	.globl	_ZN7rocprim17ROCPRIM_400000_NS6detail17trampoline_kernelINS0_14default_configENS1_20scan_config_selectorIdEEZZNS1_9scan_implILNS1_25lookback_scan_determinismE0ELb0ELb0ES3_N6thrust23THRUST_200600_302600_NS6detail15normal_iteratorINS9_10device_ptrIdEEEESE_dNS9_4plusIvEEdEEDaPvRmT3_T4_T5_mT6_P12ihipStream_tbENKUlT_T0_E_clISt17integral_constantIbLb1EESU_EEDaSP_SQ_EUlSP_E_NS1_11comp_targetILNS1_3genE4ELNS1_11target_archE910ELNS1_3gpuE8ELNS1_3repE0EEENS1_30default_config_static_selectorELNS0_4arch9wavefront6targetE1EEEvT1_
	.p2align	8
	.type	_ZN7rocprim17ROCPRIM_400000_NS6detail17trampoline_kernelINS0_14default_configENS1_20scan_config_selectorIdEEZZNS1_9scan_implILNS1_25lookback_scan_determinismE0ELb0ELb0ES3_N6thrust23THRUST_200600_302600_NS6detail15normal_iteratorINS9_10device_ptrIdEEEESE_dNS9_4plusIvEEdEEDaPvRmT3_T4_T5_mT6_P12ihipStream_tbENKUlT_T0_E_clISt17integral_constantIbLb1EESU_EEDaSP_SQ_EUlSP_E_NS1_11comp_targetILNS1_3genE4ELNS1_11target_archE910ELNS1_3gpuE8ELNS1_3repE0EEENS1_30default_config_static_selectorELNS0_4arch9wavefront6targetE1EEEvT1_,@function
_ZN7rocprim17ROCPRIM_400000_NS6detail17trampoline_kernelINS0_14default_configENS1_20scan_config_selectorIdEEZZNS1_9scan_implILNS1_25lookback_scan_determinismE0ELb0ELb0ES3_N6thrust23THRUST_200600_302600_NS6detail15normal_iteratorINS9_10device_ptrIdEEEESE_dNS9_4plusIvEEdEEDaPvRmT3_T4_T5_mT6_P12ihipStream_tbENKUlT_T0_E_clISt17integral_constantIbLb1EESU_EEDaSP_SQ_EUlSP_E_NS1_11comp_targetILNS1_3genE4ELNS1_11target_archE910ELNS1_3gpuE8ELNS1_3repE0EEENS1_30default_config_static_selectorELNS0_4arch9wavefront6targetE1EEEvT1_: ; @_ZN7rocprim17ROCPRIM_400000_NS6detail17trampoline_kernelINS0_14default_configENS1_20scan_config_selectorIdEEZZNS1_9scan_implILNS1_25lookback_scan_determinismE0ELb0ELb0ES3_N6thrust23THRUST_200600_302600_NS6detail15normal_iteratorINS9_10device_ptrIdEEEESE_dNS9_4plusIvEEdEEDaPvRmT3_T4_T5_mT6_P12ihipStream_tbENKUlT_T0_E_clISt17integral_constantIbLb1EESU_EEDaSP_SQ_EUlSP_E_NS1_11comp_targetILNS1_3genE4ELNS1_11target_archE910ELNS1_3gpuE8ELNS1_3repE0EEENS1_30default_config_static_selectorELNS0_4arch9wavefront6targetE1EEEvT1_
; %bb.0:
	s_load_dwordx2 s[14:15], s[4:5], 0x30
	v_cmp_ne_u32_e64 s[0:1], 0, v0
	v_cmp_eq_u32_e64 s[2:3], 0, v0
	s_and_saveexec_b64 s[6:7], s[2:3]
	s_cbranch_execz .LBB4162_4
; %bb.1:
	s_mov_b64 s[10:11], exec
	v_mbcnt_lo_u32_b32 v1, s10, 0
	v_mbcnt_hi_u32_b32 v1, s11, v1
	v_cmp_eq_u32_e32 vcc, 0, v1
                                        ; implicit-def: $vgpr2
	s_and_saveexec_b64 s[8:9], vcc
	s_cbranch_execz .LBB4162_3
; %bb.2:
	s_load_dwordx2 s[12:13], s[4:5], 0x60
	s_bcnt1_i32_b64 s10, s[10:11]
	v_mov_b32_e32 v2, 0
	v_mov_b32_e32 v3, s10
	s_waitcnt lgkmcnt(0)
	global_atomic_add v2, v2, v3, s[12:13] glc
.LBB4162_3:
	s_or_b64 exec, exec, s[8:9]
	s_waitcnt vmcnt(0)
	v_readfirstlane_b32 s8, v2
	v_add_u32_e32 v1, s8, v1
	v_mov_b32_e32 v2, 0
	ds_write_b32 v2, v1
.LBB4162_4:
	s_or_b64 exec, exec, s[6:7]
	s_load_dwordx8 s[24:31], s[4:5], 0x0
	s_load_dword s6, s[4:5], 0x38
	s_load_dwordx8 s[16:23], s[4:5], 0x40
	v_mov_b32_e32 v1, 0
	s_waitcnt lgkmcnt(0)
	s_barrier
	ds_read_b32 v1, v1
	s_lshl_b64 s[26:27], s[26:27], 3
	s_add_u32 s7, s24, s26
	s_addc_u32 s8, s25, s27
	s_add_i32 s6, s6, -1
	s_mul_i32 s9, s6, 0x500
	s_sub_u32 s33, s30, s9
	s_waitcnt lgkmcnt(0)
	v_readfirstlane_b32 s37, v1
	s_subb_u32 s36, s31, 0
	s_mul_i32 s4, s37, 0x500
	s_mov_b32 s5, 0
	s_cmp_lg_u32 s37, s6
	s_cselect_b64 s[24:25], -1, 0
	s_lshl_b64 s[30:31], s[4:5], 3
	s_add_u32 s6, s7, s30
	s_addc_u32 s7, s8, s31
	s_mov_b64 s[4:5], -1
	s_and_b64 vcc, exec, s[24:25]
	v_lshlrev_b32_e32 v48, 3, v0
	s_barrier
	s_cbranch_vccz .LBB4162_6
; %bb.5:
	v_mov_b32_e32 v1, s7
	v_add_co_u32_e32 v2, vcc, s6, v48
	v_addc_co_u32_e32 v3, vcc, 0, v1, vcc
	v_add_co_u32_e32 v12, vcc, 0x1000, v2
	v_addc_co_u32_e32 v13, vcc, 0, v3, vcc
	flat_load_dwordx2 v[4:5], v[2:3]
	flat_load_dwordx2 v[6:7], v[2:3] offset:1024
	flat_load_dwordx2 v[8:9], v[2:3] offset:2048
	;; [unrolled: 1-line block ×3, first 2 shown]
	v_add_co_u32_e32 v2, vcc, 0x2000, v2
	v_addc_co_u32_e32 v3, vcc, 0, v3, vcc
	flat_load_dwordx2 v[14:15], v[12:13]
	flat_load_dwordx2 v[16:17], v[12:13] offset:1024
	flat_load_dwordx2 v[18:19], v[12:13] offset:2048
	;; [unrolled: 1-line block ×3, first 2 shown]
	s_nop 0
	flat_load_dwordx2 v[12:13], v[2:3]
	flat_load_dwordx2 v[22:23], v[2:3] offset:1024
	s_mov_b64 s[4:5], 0
	s_waitcnt vmcnt(0) lgkmcnt(0)
	ds_write2st64_b64 v48, v[4:5], v[6:7] offset1:2
	ds_write2st64_b64 v48, v[8:9], v[10:11] offset0:4 offset1:6
	ds_write2st64_b64 v48, v[14:15], v[16:17] offset0:8 offset1:10
	;; [unrolled: 1-line block ×4, first 2 shown]
	s_waitcnt lgkmcnt(0)
	s_barrier
.LBB4162_6:
	s_andn2_b64 vcc, exec, s[4:5]
	v_cmp_gt_u32_e64 s[4:5], s33, v0
	s_cbranch_vccnz .LBB4162_28
; %bb.7:
	v_pk_mov_b32 v[2:3], s[6:7], s[6:7] op_sel:[0,1]
	flat_load_dwordx2 v[2:3], v[2:3]
	s_waitcnt vmcnt(0) lgkmcnt(0)
	v_mov_b32_e32 v4, v2
	v_mov_b32_e32 v5, v3
	v_mov_b32_e32 v6, v2
	v_mov_b32_e32 v7, v3
	v_mov_b32_e32 v8, v2
	v_mov_b32_e32 v9, v3
	v_mov_b32_e32 v10, v2
	v_mov_b32_e32 v11, v3
	v_mov_b32_e32 v12, v2
	v_mov_b32_e32 v13, v3
	v_mov_b32_e32 v14, v2
	v_mov_b32_e32 v15, v3
	v_mov_b32_e32 v16, v2
	v_mov_b32_e32 v17, v3
	v_mov_b32_e32 v18, v2
	v_mov_b32_e32 v19, v3
	v_pk_mov_b32 v[34:35], v[30:31], v[30:31] op_sel:[0,1]
	v_pk_mov_b32 v[32:33], v[28:29], v[28:29] op_sel:[0,1]
	;; [unrolled: 1-line block ×16, first 2 shown]
	s_and_saveexec_b64 s[8:9], s[4:5]
	s_cbranch_execz .LBB4162_9
; %bb.8:
	v_mov_b32_e32 v1, s7
	v_add_co_u32_e32 v4, vcc, s6, v48
	v_addc_co_u32_e32 v5, vcc, 0, v1, vcc
	flat_load_dwordx2 v[36:37], v[4:5]
	v_mov_b32_e32 v4, v2
	v_mov_b32_e32 v5, v3
	;; [unrolled: 1-line block ×16, first 2 shown]
	v_pk_mov_b32 v[34:35], v[30:31], v[30:31] op_sel:[0,1]
	v_pk_mov_b32 v[32:33], v[28:29], v[28:29] op_sel:[0,1]
	;; [unrolled: 1-line block ×16, first 2 shown]
	s_waitcnt vmcnt(0) lgkmcnt(0)
	v_pk_mov_b32 v[2:3], v[36:37], v[36:37] op_sel:[0,1]
.LBB4162_9:
	s_or_b64 exec, exec, s[8:9]
	v_or_b32_e32 v1, 0x80, v0
	v_cmp_gt_u32_e32 vcc, s33, v1
	s_and_saveexec_b64 s[4:5], vcc
	s_cbranch_execz .LBB4162_11
; %bb.10:
	v_mov_b32_e32 v1, s7
	v_add_co_u32_e32 v4, vcc, s6, v48
	v_addc_co_u32_e32 v5, vcc, 0, v1, vcc
	flat_load_dwordx2 v[6:7], v[4:5] offset:1024
.LBB4162_11:
	s_or_b64 exec, exec, s[4:5]
	v_or_b32_e32 v1, 0x100, v0
	v_cmp_gt_u32_e32 vcc, s33, v1
	s_and_saveexec_b64 s[4:5], vcc
	s_cbranch_execz .LBB4162_13
; %bb.12:
	v_mov_b32_e32 v1, s7
	v_add_co_u32_e32 v4, vcc, s6, v48
	v_addc_co_u32_e32 v5, vcc, 0, v1, vcc
	flat_load_dwordx2 v[8:9], v[4:5] offset:2048
.LBB4162_13:
	;; [unrolled: 11-line block ×3, first 2 shown]
	s_or_b64 exec, exec, s[4:5]
	v_or_b32_e32 v1, 0x200, v0
	v_cmp_gt_u32_e32 vcc, s33, v1
	s_and_saveexec_b64 s[4:5], vcc
	s_cbranch_execz .LBB4162_17
; %bb.16:
	v_lshlrev_b32_e32 v1, 3, v1
	v_mov_b32_e32 v5, s7
	v_add_co_u32_e32 v4, vcc, s6, v1
	v_addc_co_u32_e32 v5, vcc, 0, v5, vcc
	flat_load_dwordx2 v[12:13], v[4:5]
.LBB4162_17:
	s_or_b64 exec, exec, s[4:5]
	v_or_b32_e32 v1, 0x280, v0
	v_cmp_gt_u32_e32 vcc, s33, v1
	s_and_saveexec_b64 s[4:5], vcc
	s_cbranch_execz .LBB4162_19
; %bb.18:
	v_lshlrev_b32_e32 v1, 3, v1
	v_mov_b32_e32 v5, s7
	v_add_co_u32_e32 v4, vcc, s6, v1
	v_addc_co_u32_e32 v5, vcc, 0, v5, vcc
	flat_load_dwordx2 v[14:15], v[4:5]
.LBB4162_19:
	;; [unrolled: 12-line block ×6, first 2 shown]
	s_or_b64 exec, exec, s[4:5]
	s_waitcnt vmcnt(0) lgkmcnt(0)
	ds_write2st64_b64 v48, v[2:3], v[6:7] offset1:2
	ds_write2st64_b64 v48, v[8:9], v[10:11] offset0:4 offset1:6
	ds_write2st64_b64 v48, v[12:13], v[14:15] offset0:8 offset1:10
	ds_write2st64_b64 v48, v[16:17], v[18:19] offset0:12 offset1:14
	ds_write2st64_b64 v48, v[20:21], v[22:23] offset0:16 offset1:18
	s_waitcnt lgkmcnt(0)
	s_barrier
.LBB4162_28:
	v_mul_u32_u24_e32 v49, 10, v0
	v_lshlrev_b32_e32 v50, 3, v49
	ds_read_b128 v[2:5], v50
	ds_read_b128 v[14:17], v50 offset:16
	ds_read_b128 v[10:13], v50 offset:32
	;; [unrolled: 1-line block ×4, first 2 shown]
	s_cmp_lg_u32 s37, 0
	v_mbcnt_lo_u32_b32 v1, -1, 0
	s_waitcnt lgkmcnt(0)
	s_barrier
	s_cbranch_scc0 .LBB4162_61
; %bb.29:
	v_add_f64 v[22:23], v[2:3], v[4:5]
	v_add_f64 v[22:23], v[14:15], v[22:23]
	;; [unrolled: 1-line block ×9, first 2 shown]
	v_mbcnt_hi_u32_b32 v33, -1, v1
	v_and_b32_e32 v28, 15, v33
	v_mov_b32_dpp v24, v22 row_shr:1 row_mask:0xf bank_mask:0xf
	v_mov_b32_dpp v25, v23 row_shr:1 row_mask:0xf bank_mask:0xf
	v_add_f64 v[24:25], v[22:23], v[24:25]
	v_cmp_eq_u32_e32 vcc, 0, v28
	v_cndmask_b32_e32 v24, v24, v22, vcc
	v_cndmask_b32_e32 v25, v25, v23, vcc
	v_cmp_lt_u32_e32 vcc, 1, v28
	v_mov_b32_dpp v26, v24 row_shr:2 row_mask:0xf bank_mask:0xf
	v_mov_b32_dpp v27, v25 row_shr:2 row_mask:0xf bank_mask:0xf
	v_add_f64 v[26:27], v[24:25], v[26:27]
	v_cndmask_b32_e32 v24, v24, v26, vcc
	v_cndmask_b32_e32 v25, v25, v27, vcc
	v_cmp_lt_u32_e32 vcc, 3, v28
	v_mov_b32_dpp v26, v24 row_shr:4 row_mask:0xf bank_mask:0xf
	v_mov_b32_dpp v27, v25 row_shr:4 row_mask:0xf bank_mask:0xf
	v_add_f64 v[26:27], v[24:25], v[26:27]
	;; [unrolled: 6-line block ×3, first 2 shown]
	v_cndmask_b32_e32 v24, v24, v26, vcc
	v_cndmask_b32_e32 v25, v25, v27, vcc
	v_and_b32_e32 v30, 16, v33
	v_mov_b32_dpp v26, v24 row_bcast:15 row_mask:0xf bank_mask:0xf
	v_mov_b32_dpp v27, v25 row_bcast:15 row_mask:0xf bank_mask:0xf
	v_add_f64 v[28:29], v[24:25], v[26:27]
	v_cmp_eq_u32_e32 vcc, 0, v30
	v_cndmask_b32_e32 v27, v29, v25, vcc
	v_cndmask_b32_e32 v26, v28, v24, vcc
	v_cmp_eq_u32_e64 s[4:5], 0, v33
	v_mov_b32_dpp v27, v27 row_bcast:31 row_mask:0xf bank_mask:0xf
	v_mov_b32_dpp v26, v26 row_bcast:31 row_mask:0xf bank_mask:0xf
	v_cmp_ne_u32_e64 s[6:7], 0, v33
	s_and_saveexec_b64 s[8:9], s[6:7]
; %bb.30:
	v_cndmask_b32_e32 v23, v29, v25, vcc
	v_cndmask_b32_e32 v22, v28, v24, vcc
	v_add_f64 v[24:25], v[22:23], v[26:27]
	v_cmp_lt_u32_e32 vcc, 31, v33
	v_cndmask_b32_e32 v23, v23, v25, vcc
	v_cndmask_b32_e32 v22, v22, v24, vcc
; %bb.31:
	s_or_b64 exec, exec, s[8:9]
	v_or_b32_e32 v25, 63, v0
	v_lshrrev_b32_e32 v24, 6, v0
	v_cmp_eq_u32_e32 vcc, v25, v0
	s_and_saveexec_b64 s[6:7], vcc
	s_cbranch_execz .LBB4162_33
; %bb.32:
	v_lshlrev_b32_e32 v25, 3, v24
	ds_write_b64 v25, v[22:23]
.LBB4162_33:
	s_or_b64 exec, exec, s[6:7]
	v_cmp_gt_u32_e32 vcc, 2, v0
	s_waitcnt lgkmcnt(0)
	s_barrier
	s_and_saveexec_b64 s[6:7], vcc
	s_cbranch_execz .LBB4162_35
; %bb.34:
	ds_read_b64 v[26:27], v48
	v_and_b32_e32 v25, 1, v33
	v_cmp_eq_u32_e32 vcc, 0, v25
	s_waitcnt lgkmcnt(0)
	v_mov_b32_dpp v28, v26 row_shr:1 row_mask:0xf bank_mask:0xf
	v_mov_b32_dpp v29, v27 row_shr:1 row_mask:0xf bank_mask:0xf
	v_add_f64 v[28:29], v[26:27], v[28:29]
	v_cndmask_b32_e32 v27, v29, v27, vcc
	v_cndmask_b32_e32 v26, v28, v26, vcc
	ds_write_b64 v48, v[26:27]
.LBB4162_35:
	s_or_b64 exec, exec, s[6:7]
	v_cmp_gt_u32_e32 vcc, 64, v0
	v_cmp_lt_u32_e64 s[6:7], 63, v0
	s_waitcnt lgkmcnt(0)
	s_barrier
	s_waitcnt lgkmcnt(0)
                                        ; implicit-def: $vgpr30_vgpr31
	s_and_saveexec_b64 s[8:9], s[6:7]
	s_cbranch_execz .LBB4162_37
; %bb.36:
	v_lshl_add_u32 v24, v24, 3, -8
	ds_read_b64 v[30:31], v24
	s_waitcnt lgkmcnt(0)
	v_add_f64 v[22:23], v[22:23], v[30:31]
.LBB4162_37:
	s_or_b64 exec, exec, s[8:9]
	v_add_u32_e32 v24, -1, v33
	v_and_b32_e32 v25, 64, v33
	v_cmp_lt_i32_e64 s[6:7], v24, v25
	v_cndmask_b32_e64 v24, v24, v33, s[6:7]
	v_lshlrev_b32_e32 v24, 2, v24
	ds_bpermute_b32 v38, v24, v22
	ds_bpermute_b32 v39, v24, v23
	s_and_saveexec_b64 s[34:35], vcc
	s_cbranch_execz .LBB4162_60
; %bb.38:
	v_mov_b32_e32 v25, 0
	ds_read_b64 v[22:23], v25 offset:8
	s_and_saveexec_b64 s[6:7], s[4:5]
	s_cbranch_execz .LBB4162_40
; %bb.39:
	s_add_i32 s8, s37, 64
	s_mov_b32 s9, 0
	s_lshl_b64 s[8:9], s[8:9], 4
	s_add_u32 s8, s14, s8
	s_addc_u32 s9, s15, s9
	v_mov_b32_e32 v24, 1
	v_pk_mov_b32 v[26:27], s[8:9], s[8:9] op_sel:[0,1]
	s_waitcnt lgkmcnt(0)
	;;#ASMSTART
	global_store_dwordx4 v[26:27], v[22:25] off	
s_waitcnt vmcnt(0)
	;;#ASMEND
.LBB4162_40:
	s_or_b64 exec, exec, s[6:7]
	v_xad_u32 v32, v33, -1, s37
	v_add_u32_e32 v24, 64, v32
	v_lshlrev_b64 v[26:27], 4, v[24:25]
	v_mov_b32_e32 v24, s15
	v_add_co_u32_e32 v34, vcc, s14, v26
	v_addc_co_u32_e32 v35, vcc, v24, v27, vcc
	;;#ASMSTART
	global_load_dwordx4 v[26:29], v[34:35] off glc	
s_waitcnt vmcnt(0)
	;;#ASMEND
	v_and_b32_e32 v24, 0xff, v27
	v_and_b32_e32 v29, 0xff00, v27
	v_or3_b32 v24, 0, v24, v29
	v_or3_b32 v26, v26, 0, 0
	v_and_b32_e32 v29, 0xff000000, v27
	v_and_b32_e32 v27, 0xff0000, v27
	v_or3_b32 v27, v24, v27, v29
	v_or3_b32 v26, v26, 0, 0
	v_cmp_eq_u16_sdwa s[8:9], v28, v25 src0_sel:BYTE_0 src1_sel:DWORD
	s_and_saveexec_b64 s[6:7], s[8:9]
	s_cbranch_execz .LBB4162_46
; %bb.41:
	s_mov_b32 s10, 1
	s_mov_b64 s[8:9], 0
	v_mov_b32_e32 v24, 0
.LBB4162_42:                            ; =>This Loop Header: Depth=1
                                        ;     Child Loop BB4162_43 Depth 2
	s_max_u32 s11, s10, 1
.LBB4162_43:                            ;   Parent Loop BB4162_42 Depth=1
                                        ; =>  This Inner Loop Header: Depth=2
	s_add_i32 s11, s11, -1
	s_cmp_eq_u32 s11, 0
	s_sleep 1
	s_cbranch_scc0 .LBB4162_43
; %bb.44:                               ;   in Loop: Header=BB4162_42 Depth=1
	s_cmp_lt_u32 s10, 32
	s_cselect_b64 s[12:13], -1, 0
	s_cmp_lg_u64 s[12:13], 0
	s_addc_u32 s10, s10, 0
	;;#ASMSTART
	global_load_dwordx4 v[26:29], v[34:35] off glc	
s_waitcnt vmcnt(0)
	;;#ASMEND
	v_cmp_ne_u16_sdwa s[12:13], v28, v24 src0_sel:BYTE_0 src1_sel:DWORD
	s_or_b64 s[8:9], s[12:13], s[8:9]
	s_andn2_b64 exec, exec, s[8:9]
	s_cbranch_execnz .LBB4162_42
; %bb.45:
	s_or_b64 exec, exec, s[8:9]
.LBB4162_46:
	s_or_b64 exec, exec, s[6:7]
	v_and_b32_e32 v41, 63, v33
	v_cmp_ne_u32_e32 vcc, 63, v41
	v_mov_b32_e32 v40, 2
	v_addc_co_u32_e32 v34, vcc, 0, v33, vcc
	v_cmp_eq_u16_sdwa s[6:7], v28, v40 src0_sel:BYTE_0 src1_sel:DWORD
	v_lshlrev_b64 v[24:25], v33, -1
	v_lshlrev_b32_e32 v42, 2, v34
	v_and_b32_e32 v29, s7, v25
	ds_bpermute_b32 v34, v42, v26
	ds_bpermute_b32 v35, v42, v27
	v_or_b32_e32 v29, 0x80000000, v29
	v_and_b32_e32 v36, s6, v24
	v_ffbl_b32_e32 v29, v29
	v_add_u32_e32 v29, 32, v29
	v_ffbl_b32_e32 v36, v36
	v_cmp_gt_u32_e64 s[6:7], 62, v41
	v_min_u32_e32 v29, v36, v29
	v_cndmask_b32_e64 v36, 0, 1, s[6:7]
	s_waitcnt lgkmcnt(0)
	v_add_f64 v[34:35], v[26:27], v[34:35]
	v_cmp_lt_u32_e32 vcc, v41, v29
	v_lshlrev_b32_e32 v36, 1, v36
	v_cndmask_b32_e32 v34, v26, v34, vcc
	v_cndmask_b32_e32 v35, v27, v35, vcc
	v_add_lshl_u32 v43, v36, v33, 2
	ds_bpermute_b32 v36, v43, v34
	ds_bpermute_b32 v37, v43, v35
	v_add_u32_e32 v44, 2, v41
	v_cmp_gt_u32_e64 s[6:7], v44, v29
	v_cmp_gt_u32_e64 s[8:9], 56, v41
	v_add_u32_e32 v46, 4, v41
	s_waitcnt lgkmcnt(0)
	v_add_f64 v[36:37], v[34:35], v[36:37]
	v_cndmask_b32_e64 v34, v36, v34, s[6:7]
	v_cndmask_b32_e64 v35, v37, v35, s[6:7]
	v_cmp_gt_u32_e64 s[6:7], 60, v41
	v_cndmask_b32_e64 v36, 0, 1, s[6:7]
	v_lshlrev_b32_e32 v36, 2, v36
	v_add_lshl_u32 v45, v36, v33, 2
	ds_bpermute_b32 v36, v45, v34
	ds_bpermute_b32 v37, v45, v35
	v_cndmask_b32_e64 v47, 0, 1, s[8:9]
	v_cmp_gt_u32_e64 s[6:7], v46, v29
	v_lshlrev_b32_e32 v47, 3, v47
	v_add_lshl_u32 v47, v47, v33, 2
	s_waitcnt lgkmcnt(0)
	v_add_f64 v[36:37], v[34:35], v[36:37]
	v_cndmask_b32_e64 v52, v36, v34, s[6:7]
	v_cndmask_b32_e64 v53, v37, v35, s[6:7]
	ds_bpermute_b32 v54, v47, v52
	ds_bpermute_b32 v55, v47, v53
	v_add_u32_e32 v51, 8, v41
	v_cmp_gt_u32_e64 s[8:9], v51, v29
	v_cmp_gt_u32_e64 s[10:11], 48, v41
	;; [unrolled: 1-line block ×3, first 2 shown]
	s_waitcnt lgkmcnt(0)
	v_add_f64 v[56:57], v[52:53], v[54:55]
	v_cndmask_b32_e64 v54, v56, v52, s[8:9]
	v_cndmask_b32_e64 v52, 0, 1, s[10:11]
	v_lshlrev_b32_e32 v52, 4, v52
	v_cndmask_b32_e64 v55, v57, v53, s[8:9]
	v_add_lshl_u32 v52, v52, v33, 2
	ds_bpermute_b32 v58, v52, v54
	ds_bpermute_b32 v59, v52, v55
	v_add_u32_e32 v53, 16, v41
	v_cmp_gt_u32_e64 s[10:11], v53, v29
	v_cndmask_b32_e32 v27, v27, v35, vcc
	v_cndmask_b32_e32 v26, v26, v34, vcc
	s_waitcnt lgkmcnt(0)
	v_add_f64 v[58:59], v[54:55], v[58:59]
	v_cndmask_b32_e64 v60, v58, v54, s[10:11]
	v_cndmask_b32_e64 v54, 0, 1, s[12:13]
	v_lshlrev_b32_e32 v54, 5, v54
	v_add_lshl_u32 v54, v54, v33, 2
	v_cndmask_b32_e64 v61, v59, v55, s[10:11]
	ds_bpermute_b32 v62, v54, v60
	ds_bpermute_b32 v63, v54, v61
	v_cndmask_b32_e64 v26, v36, v26, s[6:7]
	v_cndmask_b32_e64 v27, v37, v27, s[6:7]
	v_add_u32_e32 v55, 32, v41
	v_cndmask_b32_e64 v27, v57, v27, s[8:9]
	v_cndmask_b32_e64 v26, v56, v26, s[8:9]
	s_waitcnt lgkmcnt(0)
	v_add_f64 v[60:61], v[60:61], v[62:63]
	v_cndmask_b32_e64 v26, v58, v26, s[10:11]
	v_cndmask_b32_e64 v27, v59, v27, s[10:11]
	v_cmp_gt_u32_e32 vcc, v55, v29
	v_cndmask_b32_e32 v27, v61, v27, vcc
	v_cndmask_b32_e32 v26, v60, v26, vcc
	v_mov_b32_e32 v33, 0
	s_branch .LBB4162_48
.LBB4162_47:                            ;   in Loop: Header=BB4162_48 Depth=1
	s_or_b64 exec, exec, s[6:7]
	v_cmp_eq_u16_sdwa s[6:7], v28, v40 src0_sel:BYTE_0 src1_sel:DWORD
	v_and_b32_e32 v29, s7, v25
	ds_bpermute_b32 v36, v42, v26
	ds_bpermute_b32 v37, v42, v27
	v_or_b32_e32 v29, 0x80000000, v29
	v_and_b32_e32 v56, s6, v24
	v_ffbl_b32_e32 v29, v29
	v_add_u32_e32 v29, 32, v29
	v_ffbl_b32_e32 v56, v56
	v_min_u32_e32 v29, v56, v29
	s_waitcnt lgkmcnt(0)
	v_add_f64 v[36:37], v[26:27], v[36:37]
	v_cmp_lt_u32_e32 vcc, v41, v29
	v_cndmask_b32_e32 v36, v26, v36, vcc
	v_cndmask_b32_e32 v37, v27, v37, vcc
	ds_bpermute_b32 v56, v43, v36
	ds_bpermute_b32 v57, v43, v37
	v_cmp_gt_u32_e64 s[6:7], v44, v29
	v_cmp_gt_u32_e64 s[8:9], v51, v29
	v_cmp_gt_u32_e64 s[10:11], v53, v29
	v_subrev_u32_e32 v32, 64, v32
	s_waitcnt lgkmcnt(0)
	v_add_f64 v[56:57], v[36:37], v[56:57]
	v_cndmask_b32_e64 v36, v56, v36, s[6:7]
	v_cndmask_b32_e64 v37, v57, v37, s[6:7]
	ds_bpermute_b32 v56, v45, v36
	ds_bpermute_b32 v57, v45, v37
	v_cmp_gt_u32_e64 s[6:7], v46, v29
	v_cndmask_b32_e32 v27, v27, v37, vcc
	v_cndmask_b32_e32 v26, v26, v36, vcc
	v_cmp_gt_u32_e32 vcc, v55, v29
	s_waitcnt lgkmcnt(0)
	v_add_f64 v[56:57], v[36:37], v[56:57]
	v_cndmask_b32_e64 v58, v56, v36, s[6:7]
	v_cndmask_b32_e64 v59, v57, v37, s[6:7]
	ds_bpermute_b32 v60, v47, v58
	ds_bpermute_b32 v61, v47, v59
	v_cndmask_b32_e64 v26, v56, v26, s[6:7]
	v_cndmask_b32_e64 v27, v57, v27, s[6:7]
	s_waitcnt lgkmcnt(0)
	v_add_f64 v[60:61], v[58:59], v[60:61]
	v_cndmask_b32_e64 v58, v60, v58, s[8:9]
	v_cndmask_b32_e64 v59, v61, v59, s[8:9]
	ds_bpermute_b32 v62, v52, v58
	ds_bpermute_b32 v63, v52, v59
	v_cndmask_b32_e64 v27, v61, v27, s[8:9]
	v_cndmask_b32_e64 v26, v60, v26, s[8:9]
	s_waitcnt lgkmcnt(0)
	v_add_f64 v[62:63], v[58:59], v[62:63]
	v_cndmask_b32_e64 v58, v62, v58, s[10:11]
	v_cndmask_b32_e64 v59, v63, v59, s[10:11]
	ds_bpermute_b32 v64, v54, v58
	ds_bpermute_b32 v65, v54, v59
	v_cndmask_b32_e64 v26, v62, v26, s[10:11]
	v_cndmask_b32_e64 v27, v63, v27, s[10:11]
	s_waitcnt lgkmcnt(0)
	v_add_f64 v[58:59], v[58:59], v[64:65]
	v_cndmask_b32_e32 v27, v59, v27, vcc
	v_cndmask_b32_e32 v26, v58, v26, vcc
	v_add_f64 v[26:27], v[34:35], v[26:27]
.LBB4162_48:                            ; =>This Loop Header: Depth=1
                                        ;     Child Loop BB4162_51 Depth 2
                                        ;       Child Loop BB4162_52 Depth 3
	v_cmp_ne_u16_sdwa s[6:7], v28, v40 src0_sel:BYTE_0 src1_sel:DWORD
	v_cndmask_b32_e64 v28, 0, 1, s[6:7]
	;;#ASMSTART
	;;#ASMEND
	v_cmp_ne_u32_e32 vcc, 0, v28
	s_cmp_lg_u64 vcc, exec
	v_pk_mov_b32 v[34:35], v[26:27], v[26:27] op_sel:[0,1]
	s_cbranch_scc1 .LBB4162_55
; %bb.49:                               ;   in Loop: Header=BB4162_48 Depth=1
	v_lshlrev_b64 v[26:27], 4, v[32:33]
	v_mov_b32_e32 v28, s15
	v_add_co_u32_e32 v36, vcc, s14, v26
	v_addc_co_u32_e32 v37, vcc, v28, v27, vcc
	;;#ASMSTART
	global_load_dwordx4 v[26:29], v[36:37] off glc	
s_waitcnt vmcnt(0)
	;;#ASMEND
	v_and_b32_e32 v29, 0xff, v27
	v_and_b32_e32 v56, 0xff00, v27
	v_or3_b32 v29, 0, v29, v56
	v_or3_b32 v26, v26, 0, 0
	v_and_b32_e32 v56, 0xff000000, v27
	v_and_b32_e32 v27, 0xff0000, v27
	v_or3_b32 v27, v29, v27, v56
	v_or3_b32 v26, v26, 0, 0
	v_cmp_eq_u16_sdwa s[8:9], v28, v33 src0_sel:BYTE_0 src1_sel:DWORD
	s_and_saveexec_b64 s[6:7], s[8:9]
	s_cbranch_execz .LBB4162_47
; %bb.50:                               ;   in Loop: Header=BB4162_48 Depth=1
	s_mov_b32 s10, 1
	s_mov_b64 s[8:9], 0
.LBB4162_51:                            ;   Parent Loop BB4162_48 Depth=1
                                        ; =>  This Loop Header: Depth=2
                                        ;       Child Loop BB4162_52 Depth 3
	s_max_u32 s11, s10, 1
.LBB4162_52:                            ;   Parent Loop BB4162_48 Depth=1
                                        ;     Parent Loop BB4162_51 Depth=2
                                        ; =>    This Inner Loop Header: Depth=3
	s_add_i32 s11, s11, -1
	s_cmp_eq_u32 s11, 0
	s_sleep 1
	s_cbranch_scc0 .LBB4162_52
; %bb.53:                               ;   in Loop: Header=BB4162_51 Depth=2
	s_cmp_lt_u32 s10, 32
	s_cselect_b64 s[12:13], -1, 0
	s_cmp_lg_u64 s[12:13], 0
	s_addc_u32 s10, s10, 0
	;;#ASMSTART
	global_load_dwordx4 v[26:29], v[36:37] off glc	
s_waitcnt vmcnt(0)
	;;#ASMEND
	v_cmp_ne_u16_sdwa s[12:13], v28, v33 src0_sel:BYTE_0 src1_sel:DWORD
	s_or_b64 s[8:9], s[12:13], s[8:9]
	s_andn2_b64 exec, exec, s[8:9]
	s_cbranch_execnz .LBB4162_51
; %bb.54:                               ;   in Loop: Header=BB4162_48 Depth=1
	s_or_b64 exec, exec, s[8:9]
	s_branch .LBB4162_47
.LBB4162_55:                            ;   in Loop: Header=BB4162_48 Depth=1
                                        ; implicit-def: $vgpr26_vgpr27
                                        ; implicit-def: $vgpr28
	s_cbranch_execz .LBB4162_48
; %bb.56:
	s_and_saveexec_b64 s[6:7], s[4:5]
	s_cbranch_execz .LBB4162_58
; %bb.57:
	s_add_i32 s8, s37, 64
	s_mov_b32 s9, 0
	s_lshl_b64 s[8:9], s[8:9], 4
	s_add_u32 s8, s14, s8
	s_addc_u32 s9, s15, s9
	v_add_f64 v[22:23], v[22:23], v[34:35]
	v_mov_b32_e32 v24, 2
	v_mov_b32_e32 v25, 0
	v_pk_mov_b32 v[26:27], s[8:9], s[8:9] op_sel:[0,1]
	;;#ASMSTART
	global_store_dwordx4 v[26:27], v[22:25] off	
s_waitcnt vmcnt(0)
	;;#ASMEND
.LBB4162_58:
	s_or_b64 exec, exec, s[6:7]
	s_and_b64 exec, exec, s[2:3]
	s_cbranch_execz .LBB4162_60
; %bb.59:
	v_mov_b32_e32 v22, 0
	ds_write_b64 v22, v[34:35] offset:8
.LBB4162_60:
	s_or_b64 exec, exec, s[34:35]
	v_mov_b32_e32 v22, 0
	s_waitcnt lgkmcnt(0)
	s_barrier
	ds_read_b64 v[24:25], v22 offset:8
	v_cndmask_b32_e64 v23, v39, v31, s[4:5]
	v_cndmask_b32_e64 v22, v38, v30, s[4:5]
	v_add_f64 v[22:23], v[2:3], v[22:23]
	v_cndmask_b32_e64 v23, v23, v3, s[2:3]
	v_cndmask_b32_e64 v22, v22, v2, s[2:3]
	s_waitcnt lgkmcnt(0)
	v_add_f64 v[38:39], v[22:23], v[24:25]
	v_add_f64 v[40:41], v[4:5], v[38:39]
	;; [unrolled: 1-line block ×10, first 2 shown]
	s_branch .LBB4162_77
.LBB4162_61:
                                        ; implicit-def: $vgpr24_vgpr25
                                        ; implicit-def: $vgpr28_vgpr29
                                        ; implicit-def: $vgpr32_vgpr33
                                        ; implicit-def: $vgpr36_vgpr37
                                        ; implicit-def: $vgpr40_vgpr41
	s_cbranch_execz .LBB4162_77
; %bb.62:
	s_cmp_lg_u64 s[20:21], 0
	s_cselect_b64 s[4:5], -1, 0
	s_and_b64 s[4:5], s[2:3], s[4:5]
	s_and_saveexec_b64 s[2:3], s[4:5]
	s_cbranch_execz .LBB4162_64
; %bb.63:
	v_mov_b32_e32 v22, 0
	global_load_dwordx2 v[22:23], v22, s[16:17]
	s_waitcnt vmcnt(0)
	v_add_f64 v[2:3], v[2:3], v[22:23]
.LBB4162_64:
	s_or_b64 exec, exec, s[2:3]
	v_add_f64 v[40:41], v[2:3], v[4:5]
	v_add_f64 v[34:35], v[14:15], v[40:41]
	;; [unrolled: 1-line block ×9, first 2 shown]
	v_mbcnt_hi_u32_b32 v1, -1, v1
	v_and_b32_e32 v44, 15, v1
	v_mov_b32_dpp v38, v24 row_shr:1 row_mask:0xf bank_mask:0xf
	v_mov_b32_dpp v39, v25 row_shr:1 row_mask:0xf bank_mask:0xf
	v_add_f64 v[38:39], v[24:25], v[38:39]
	v_cmp_eq_u32_e32 vcc, 0, v44
	v_cndmask_b32_e32 v38, v38, v24, vcc
	v_cndmask_b32_e32 v39, v39, v25, vcc
	v_cmp_lt_u32_e32 vcc, 1, v44
	v_mov_b32_dpp v42, v38 row_shr:2 row_mask:0xf bank_mask:0xf
	v_mov_b32_dpp v43, v39 row_shr:2 row_mask:0xf bank_mask:0xf
	v_add_f64 v[42:43], v[38:39], v[42:43]
	v_cndmask_b32_e32 v38, v38, v42, vcc
	v_cndmask_b32_e32 v39, v39, v43, vcc
	v_cmp_lt_u32_e32 vcc, 3, v44
	v_mov_b32_dpp v42, v38 row_shr:4 row_mask:0xf bank_mask:0xf
	v_mov_b32_dpp v43, v39 row_shr:4 row_mask:0xf bank_mask:0xf
	v_add_f64 v[42:43], v[38:39], v[42:43]
	;; [unrolled: 6-line block ×3, first 2 shown]
	v_cndmask_b32_e32 v42, v38, v42, vcc
	v_cndmask_b32_e32 v43, v39, v43, vcc
	v_and_b32_e32 v44, 16, v1
	v_mov_b32_dpp v38, v42 row_bcast:15 row_mask:0xf bank_mask:0xf
	v_mov_b32_dpp v39, v43 row_bcast:15 row_mask:0xf bank_mask:0xf
	v_add_f64 v[46:47], v[42:43], v[38:39]
	v_cmp_eq_u32_e64 s[2:3], 0, v44
	v_cndmask_b32_e64 v38, v47, v43, s[2:3]
	v_cndmask_b32_e64 v39, v46, v42, s[2:3]
	v_cmp_eq_u32_e32 vcc, 0, v1
	v_mov_b32_dpp v45, v38 row_bcast:31 row_mask:0xf bank_mask:0xf
	v_mov_b32_dpp v44, v39 row_bcast:31 row_mask:0xf bank_mask:0xf
	v_cmp_ne_u32_e64 s[4:5], 0, v1
	v_pk_mov_b32 v[38:39], v[24:25], v[24:25] op_sel:[0,1]
	s_and_saveexec_b64 s[6:7], s[4:5]
; %bb.65:
	v_cndmask_b32_e64 v39, v47, v43, s[2:3]
	v_cndmask_b32_e64 v38, v46, v42, s[2:3]
	v_add_f64 v[42:43], v[38:39], v[44:45]
	v_cmp_lt_u32_e64 s[2:3], 31, v1
	v_cndmask_b32_e64 v39, v39, v43, s[2:3]
	v_cndmask_b32_e64 v38, v38, v42, s[2:3]
; %bb.66:
	s_or_b64 exec, exec, s[6:7]
	v_or_b32_e32 v42, 63, v0
	v_lshrrev_b32_e32 v44, 6, v0
	v_cmp_eq_u32_e64 s[2:3], v42, v0
	s_and_saveexec_b64 s[4:5], s[2:3]
	s_cbranch_execz .LBB4162_68
; %bb.67:
	v_lshlrev_b32_e32 v42, 3, v44
	ds_write_b64 v42, v[38:39]
.LBB4162_68:
	s_or_b64 exec, exec, s[4:5]
	v_cmp_gt_u32_e64 s[2:3], 2, v0
	s_waitcnt lgkmcnt(0)
	s_barrier
	s_and_saveexec_b64 s[4:5], s[2:3]
	s_cbranch_execz .LBB4162_70
; %bb.69:
	s_movk_i32 s2, 0xffb8
	v_mad_i32_i24 v45, v0, s2, v50
	ds_read_b64 v[42:43], v45
	v_and_b32_e32 v51, 1, v1
	v_cmp_eq_u32_e64 s[2:3], 0, v51
	s_waitcnt lgkmcnt(0)
	v_mov_b32_dpp v46, v42 row_shr:1 row_mask:0xf bank_mask:0xf
	v_mov_b32_dpp v47, v43 row_shr:1 row_mask:0xf bank_mask:0xf
	v_add_f64 v[46:47], v[42:43], v[46:47]
	v_cndmask_b32_e64 v43, v47, v43, s[2:3]
	v_cndmask_b32_e64 v42, v46, v42, s[2:3]
	ds_write_b64 v45, v[42:43]
.LBB4162_70:
	s_or_b64 exec, exec, s[4:5]
	v_cmp_lt_u32_e64 s[2:3], 63, v0
	s_waitcnt lgkmcnt(0)
	s_barrier
	s_waitcnt lgkmcnt(0)
                                        ; implicit-def: $vgpr42_vgpr43
	s_and_saveexec_b64 s[4:5], s[2:3]
	s_cbranch_execz .LBB4162_72
; %bb.71:
	v_lshl_add_u32 v42, v44, 3, -8
	ds_read_b64 v[42:43], v42
	s_waitcnt lgkmcnt(0)
	v_add_f64 v[38:39], v[38:39], v[42:43]
.LBB4162_72:
	s_or_b64 exec, exec, s[4:5]
	v_add_u32_e32 v44, -1, v1
	v_and_b32_e32 v45, 64, v1
	v_cmp_lt_i32_e64 s[2:3], v44, v45
	v_cndmask_b32_e64 v1, v44, v1, s[2:3]
	v_lshlrev_b32_e32 v44, 2, v1
	ds_bpermute_b32 v1, v44, v38
	ds_bpermute_b32 v38, v44, v39
	s_and_saveexec_b64 s[2:3], s[0:1]
	s_cbranch_execz .LBB4162_74
; %bb.73:
	s_waitcnt lgkmcnt(0)
	v_cndmask_b32_e32 v23, v38, v43, vcc
	v_cndmask_b32_e32 v22, v1, v42, vcc
	v_add_f64 v[2:3], v[2:3], v[22:23]
	v_add_f64 v[40:41], v[4:5], v[2:3]
	;; [unrolled: 1-line block ×10, first 2 shown]
	;;#ASMSTART
	;;#ASMEND
.LBB4162_74:
	s_or_b64 exec, exec, s[2:3]
	s_movk_i32 s0, 0x7f
	v_cmp_eq_u32_e32 vcc, s0, v0
	s_and_saveexec_b64 s[0:1], vcc
	s_cbranch_execz .LBB4162_76
; %bb.75:
	s_add_u32 s2, s14, 0x400
	s_addc_u32 s3, s15, 0
	v_mov_b32_e32 v6, 2
	v_mov_b32_e32 v7, 0
	;; [unrolled: 1-line block ×4, first 2 shown]
	v_pk_mov_b32 v[8:9], s[2:3], s[2:3] op_sel:[0,1]
	;;#ASMSTART
	global_store_dwordx4 v[8:9], v[4:7] off	
s_waitcnt vmcnt(0)
	;;#ASMEND
.LBB4162_76:
	s_or_b64 exec, exec, s[0:1]
	s_waitcnt lgkmcnt(0)
	v_pk_mov_b32 v[38:39], v[2:3], v[2:3] op_sel:[0,1]
.LBB4162_77:
	s_add_u32 s0, s28, s26
	s_addc_u32 s1, s29, s27
	s_add_u32 s2, s0, s30
	s_addc_u32 s3, s1, s31
	s_mov_b64 s[0:1], -1
	s_and_b64 vcc, exec, s[24:25]
	s_barrier
	s_cbranch_vccz .LBB4162_79
; %bb.78:
	ds_write_b128 v50, v[38:41]
	ds_write_b128 v50, v[34:37] offset:16
	ds_write_b128 v50, v[30:33] offset:32
	;; [unrolled: 1-line block ×4, first 2 shown]
	s_waitcnt lgkmcnt(0)
	s_barrier
	ds_read2st64_b64 v[2:5], v48 offset1:2
	ds_read2st64_b64 v[6:9], v48 offset0:4 offset1:6
	ds_read2st64_b64 v[10:13], v48 offset0:8 offset1:10
	;; [unrolled: 1-line block ×4, first 2 shown]
	v_mov_b32_e32 v1, s3
	v_add_co_u32_e32 v42, vcc, s2, v48
	v_addc_co_u32_e32 v43, vcc, 0, v1, vcc
	s_movk_i32 s0, 0x1000
	s_waitcnt lgkmcnt(4)
	flat_store_dwordx2 v[42:43], v[2:3]
	flat_store_dwordx2 v[42:43], v[4:5] offset:1024
	s_waitcnt lgkmcnt(0)
	flat_store_dwordx2 v[42:43], v[6:7] offset:2048
	flat_store_dwordx2 v[42:43], v[8:9] offset:3072
	v_add_co_u32_e32 v2, vcc, s0, v42
	v_addc_co_u32_e32 v3, vcc, 0, v43, vcc
	flat_store_dwordx2 v[2:3], v[10:11]
	flat_store_dwordx2 v[2:3], v[12:13] offset:1024
	flat_store_dwordx2 v[2:3], v[14:15] offset:2048
	;; [unrolled: 1-line block ×3, first 2 shown]
	v_add_co_u32_e32 v2, vcc, 0x2000, v42
	v_addc_co_u32_e32 v3, vcc, 0, v43, vcc
	flat_store_dwordx2 v[2:3], v[18:19]
	flat_store_dwordx2 v[2:3], v[20:21] offset:1024
	s_mov_b64 s[0:1], 0
.LBB4162_79:
	s_andn2_b64 vcc, exec, s[0:1]
	s_cbranch_vccnz .LBB4162_135
; %bb.80:
	s_movk_i32 s0, 0xffb8
	v_mad_i32_i24 v18, v0, s0, v50
	ds_write_b128 v50, v[38:41]
	ds_write_b128 v50, v[34:37] offset:16
	ds_write_b128 v50, v[30:33] offset:32
	;; [unrolled: 1-line block ×4, first 2 shown]
	s_waitcnt lgkmcnt(0)
	s_barrier
	ds_read2st64_b64 v[2:5], v18 offset1:2
	ds_read2st64_b64 v[10:13], v18 offset0:4 offset1:6
	ds_read2st64_b64 v[6:9], v18 offset0:8 offset1:10
	;; [unrolled: 1-line block ×4, first 2 shown]
	v_mov_b32_e32 v23, s3
	v_add_co_u32_e32 v22, vcc, s2, v48
	v_addc_co_u32_e32 v23, vcc, 0, v23, vcc
	v_mov_b32_e32 v1, 0
	v_cmp_gt_u32_e32 vcc, s33, v0
	s_and_saveexec_b64 s[0:1], vcc
	s_cbranch_execz .LBB4162_82
; %bb.81:
	s_waitcnt lgkmcnt(0)
	flat_store_dwordx2 v[22:23], v[2:3]
.LBB4162_82:
	s_or_b64 exec, exec, s[0:1]
	v_or_b32_e32 v24, 0x80, v0
	v_cmp_gt_u32_e32 vcc, s33, v24
	s_and_saveexec_b64 s[0:1], vcc
	s_cbranch_execz .LBB4162_84
; %bb.83:
	s_waitcnt lgkmcnt(0)
	flat_store_dwordx2 v[22:23], v[4:5] offset:1024
.LBB4162_84:
	s_or_b64 exec, exec, s[0:1]
	v_or_b32_e32 v24, 0x100, v0
	v_cmp_gt_u32_e32 vcc, s33, v24
	s_and_saveexec_b64 s[0:1], vcc
	s_cbranch_execz .LBB4162_86
; %bb.85:
	s_waitcnt lgkmcnt(0)
	flat_store_dwordx2 v[22:23], v[10:11] offset:2048
.LBB4162_86:
	;; [unrolled: 9-line block ×3, first 2 shown]
	s_or_b64 exec, exec, s[0:1]
	v_or_b32_e32 v24, 0x200, v0
	v_cmp_gt_u32_e32 vcc, s33, v24
	s_and_saveexec_b64 s[0:1], vcc
	s_cbranch_execz .LBB4162_90
; %bb.89:
	v_add_co_u32_e32 v24, vcc, 0x1000, v22
	v_addc_co_u32_e32 v25, vcc, 0, v23, vcc
	s_waitcnt lgkmcnt(0)
	flat_store_dwordx2 v[24:25], v[6:7]
.LBB4162_90:
	s_or_b64 exec, exec, s[0:1]
	v_or_b32_e32 v24, 0x280, v0
	v_cmp_gt_u32_e32 vcc, s33, v24
	s_and_saveexec_b64 s[0:1], vcc
	s_cbranch_execz .LBB4162_92
; %bb.91:
	v_add_co_u32_e32 v24, vcc, 0x1000, v22
	v_addc_co_u32_e32 v25, vcc, 0, v23, vcc
	s_waitcnt lgkmcnt(0)
	flat_store_dwordx2 v[24:25], v[8:9] offset:1024
.LBB4162_92:
	s_or_b64 exec, exec, s[0:1]
	v_or_b32_e32 v24, 0x300, v0
	v_cmp_gt_u32_e32 vcc, s33, v24
	s_and_saveexec_b64 s[0:1], vcc
	s_cbranch_execz .LBB4162_94
; %bb.93:
	v_add_co_u32_e32 v24, vcc, 0x1000, v22
	v_addc_co_u32_e32 v25, vcc, 0, v23, vcc
	s_waitcnt lgkmcnt(0)
	flat_store_dwordx2 v[24:25], v[14:15] offset:2048
.LBB4162_94:
	;; [unrolled: 11-line block ×3, first 2 shown]
	s_or_b64 exec, exec, s[0:1]
	v_or_b32_e32 v24, 0x400, v0
	v_cmp_gt_u32_e32 vcc, s33, v24
	s_and_saveexec_b64 s[0:1], vcc
	s_cbranch_execz .LBB4162_98
; %bb.97:
	v_add_co_u32_e32 v24, vcc, 0x2000, v22
	v_addc_co_u32_e32 v25, vcc, 0, v23, vcc
	s_waitcnt lgkmcnt(0)
	flat_store_dwordx2 v[24:25], v[18:19]
.LBB4162_98:
	s_or_b64 exec, exec, s[0:1]
	v_or_b32_e32 v24, 0x480, v0
	v_cmp_gt_u32_e32 vcc, s33, v24
	s_and_saveexec_b64 s[0:1], vcc
	s_cbranch_execz .LBB4162_100
; %bb.99:
	v_add_co_u32_e32 v22, vcc, 0x2000, v22
	v_addc_co_u32_e32 v23, vcc, 0, v23, vcc
	s_waitcnt lgkmcnt(0)
	flat_store_dwordx2 v[22:23], v[20:21] offset:1024
.LBB4162_100:
	s_or_b64 exec, exec, s[0:1]
	v_cmp_lt_u64_e64 s[0:1], s[22:23], 2
	s_and_b64 vcc, exec, s[0:1]
	s_cbranch_vccnz .LBB4162_135
; %bb.101:
	s_add_u32 s0, s33, -1
	s_addc_u32 s1, s36, -1
	s_add_u32 s2, 0, 0x99986000
	s_addc_u32 s3, 0, 0x59
	s_add_i32 s3, s3, 0x19999940
	s_mul_hi_u32 s7, s2, -10
	s_sub_i32 s7, s7, s2
	s_mul_i32 s8, s3, -10
	s_mul_i32 s4, s2, -10
	s_add_i32 s7, s7, s8
	s_mul_hi_u32 s5, s3, s4
	s_mul_i32 s6, s3, s4
	s_mul_i32 s9, s2, s7
	s_mul_hi_u32 s4, s2, s4
	s_mul_hi_u32 s8, s2, s7
	s_add_u32 s4, s4, s9
	s_addc_u32 s8, 0, s8
	s_add_u32 s4, s4, s6
	s_mul_hi_u32 s9, s3, s7
	s_addc_u32 s4, s8, s5
	s_addc_u32 s5, s9, 0
	s_mul_i32 s6, s3, s7
	s_add_u32 s4, s4, s6
	v_mov_b32_e32 v22, s4
	s_addc_u32 s5, 0, s5
	v_add_co_u32_e32 v22, vcc, s2, v22
	s_cmp_lg_u64 vcc, 0
	s_addc_u32 s2, s3, s5
	v_readfirstlane_b32 s5, v22
	s_mul_i32 s4, s0, s2
	s_mul_hi_u32 s6, s0, s5
	s_mul_hi_u32 s3, s0, s2
	s_add_u32 s4, s6, s4
	s_addc_u32 s3, 0, s3
	s_mul_hi_u32 s7, s1, s5
	s_mul_i32 s5, s1, s5
	s_add_u32 s4, s4, s5
	s_mul_hi_u32 s6, s1, s2
	s_addc_u32 s3, s3, s7
	s_addc_u32 s4, s6, 0
	s_mul_i32 s2, s1, s2
	s_add_u32 s2, s3, s2
	s_addc_u32 s3, 0, s4
	s_add_u32 s4, s2, 1
	s_addc_u32 s5, s3, 0
	s_add_u32 s6, s2, 2
	s_mul_i32 s8, s3, 10
	s_mul_hi_u32 s9, s2, 10
	s_addc_u32 s7, s3, 0
	s_add_i32 s9, s9, s8
	s_mul_i32 s8, s2, 10
	v_mov_b32_e32 v22, s8
	v_sub_co_u32_e32 v22, vcc, s0, v22
	s_cmp_lg_u64 vcc, 0
	s_subb_u32 s8, s1, s9
	v_subrev_co_u32_e32 v23, vcc, 10, v22
	s_cmp_lg_u64 vcc, 0
	s_subb_u32 s9, s8, 0
	v_readfirstlane_b32 s10, v23
	s_cmp_gt_u32 s10, 9
	s_cselect_b32 s10, -1, 0
	s_cmp_eq_u32 s9, 0
	s_cselect_b32 s9, s10, -1
	s_cmp_lg_u32 s9, 0
	s_cselect_b32 s4, s6, s4
	v_readfirstlane_b32 s6, v22
	s_cselect_b32 s5, s7, s5
	s_cmp_gt_u32 s6, 9
	s_cselect_b32 s6, -1, 0
	s_cmp_eq_u32 s8, 0
	s_cselect_b32 s6, s6, -1
	s_cmp_lg_u32 s6, 0
	s_cselect_b32 s3, s5, s3
	s_cselect_b32 s2, s4, s2
	v_cmp_eq_u64_e32 vcc, s[2:3], v[0:1]
	s_and_saveexec_b64 s[2:3], vcc
	s_cbranch_execz .LBB4162_135
; %bb.102:
	v_mul_hi_u32_u24_e32 v1, 10, v0
	v_mov_b32_e32 v22, s1
	v_sub_co_u32_e32 v0, vcc, s0, v49
	v_subb_co_u32_e32 v1, vcc, v22, v1, vcc
	v_cmp_lt_i64_e32 vcc, 4, v[0:1]
	s_and_saveexec_b64 s[0:1], vcc
	s_xor_b64 s[0:1], exec, s[0:1]
	s_cbranch_execz .LBB4162_120
; %bb.103:
	v_cmp_lt_i64_e32 vcc, 6, v[0:1]
	s_and_saveexec_b64 s[2:3], vcc
	s_xor_b64 s[2:3], exec, s[2:3]
	s_cbranch_execz .LBB4162_113
; %bb.104:
	;; [unrolled: 5-line block ×4, first 2 shown]
	v_mov_b32_e32 v0, 0
	s_waitcnt lgkmcnt(0)
	global_store_dwordx2 v0, v[20:21], s[18:19]
                                        ; implicit-def: $vgpr18_vgpr19_vgpr20_vgpr21
.LBB4162_107:
	s_andn2_saveexec_b64 s[6:7], s[6:7]
	s_cbranch_execz .LBB4162_109
; %bb.108:
	v_mov_b32_e32 v0, 0
	s_waitcnt lgkmcnt(0)
	global_store_dwordx2 v0, v[18:19], s[18:19]
.LBB4162_109:
	s_or_b64 exec, exec, s[6:7]
                                        ; implicit-def: $vgpr14_vgpr15_vgpr16_vgpr17
.LBB4162_110:
	s_andn2_saveexec_b64 s[4:5], s[4:5]
	s_cbranch_execz .LBB4162_112
; %bb.111:
	v_mov_b32_e32 v0, 0
	s_waitcnt lgkmcnt(0)
	global_store_dwordx2 v0, v[16:17], s[18:19]
.LBB4162_112:
	s_or_b64 exec, exec, s[4:5]
                                        ; implicit-def: $vgpr6_vgpr7_vgpr8_vgpr9
                                        ; implicit-def: $vgpr0_vgpr1
                                        ; implicit-def: $vgpr14_vgpr15_vgpr16_vgpr17
.LBB4162_113:
	s_andn2_saveexec_b64 s[2:3], s[2:3]
	s_cbranch_execz .LBB4162_119
; %bb.114:
	v_cmp_lt_i64_e32 vcc, 5, v[0:1]
	s_and_saveexec_b64 s[4:5], vcc
	s_xor_b64 s[4:5], exec, s[4:5]
	s_cbranch_execz .LBB4162_116
; %bb.115:
	v_mov_b32_e32 v0, 0
	s_waitcnt lgkmcnt(0)
	global_store_dwordx2 v0, v[14:15], s[18:19]
                                        ; implicit-def: $vgpr6_vgpr7_vgpr8_vgpr9
.LBB4162_116:
	s_andn2_saveexec_b64 s[4:5], s[4:5]
	s_cbranch_execz .LBB4162_118
; %bb.117:
	v_mov_b32_e32 v0, 0
	s_waitcnt lgkmcnt(0)
	global_store_dwordx2 v0, v[8:9], s[18:19]
.LBB4162_118:
	s_or_b64 exec, exec, s[4:5]
.LBB4162_119:
	s_or_b64 exec, exec, s[2:3]
                                        ; implicit-def: $vgpr0_vgpr1
                                        ; implicit-def: $vgpr10_vgpr11_vgpr12_vgpr13
                                        ; implicit-def: $vgpr2_vgpr3_vgpr4_vgpr5
                                        ; implicit-def: $vgpr6_vgpr7_vgpr8_vgpr9
.LBB4162_120:
	s_andn2_saveexec_b64 s[0:1], s[0:1]
	s_cbranch_execz .LBB4162_135
; %bb.121:
	v_cmp_lt_i64_e32 vcc, 2, v[0:1]
	s_and_saveexec_b64 s[0:1], vcc
	s_xor_b64 s[0:1], exec, s[0:1]
	s_cbranch_execz .LBB4162_127
; %bb.122:
	v_cmp_lt_i64_e32 vcc, 3, v[0:1]
	s_and_saveexec_b64 s[2:3], vcc
	s_xor_b64 s[2:3], exec, s[2:3]
	s_cbranch_execz .LBB4162_124
; %bb.123:
	v_mov_b32_e32 v0, 0
	s_waitcnt lgkmcnt(0)
	global_store_dwordx2 v0, v[6:7], s[18:19]
                                        ; implicit-def: $vgpr10_vgpr11_vgpr12_vgpr13
.LBB4162_124:
	s_andn2_saveexec_b64 s[2:3], s[2:3]
	s_cbranch_execz .LBB4162_126
; %bb.125:
	v_mov_b32_e32 v0, 0
	s_waitcnt lgkmcnt(0)
	global_store_dwordx2 v0, v[12:13], s[18:19]
.LBB4162_126:
	s_or_b64 exec, exec, s[2:3]
                                        ; implicit-def: $vgpr0_vgpr1
                                        ; implicit-def: $vgpr10_vgpr11_vgpr12_vgpr13
                                        ; implicit-def: $vgpr2_vgpr3_vgpr4_vgpr5
.LBB4162_127:
	s_andn2_saveexec_b64 s[0:1], s[0:1]
	s_cbranch_execz .LBB4162_135
; %bb.128:
	v_cmp_lt_i64_e32 vcc, 1, v[0:1]
	s_and_saveexec_b64 s[0:1], vcc
	s_xor_b64 s[0:1], exec, s[0:1]
	s_cbranch_execz .LBB4162_130
; %bb.129:
	v_mov_b32_e32 v0, 0
	s_waitcnt lgkmcnt(0)
	global_store_dwordx2 v0, v[10:11], s[18:19]
                                        ; implicit-def: $vgpr2_vgpr3_vgpr4_vgpr5
                                        ; implicit-def: $vgpr0_vgpr1
.LBB4162_130:
	s_andn2_saveexec_b64 s[0:1], s[0:1]
	s_cbranch_execz .LBB4162_135
; %bb.131:
	v_cmp_ne_u64_e32 vcc, 1, v[0:1]
	s_and_saveexec_b64 s[0:1], vcc
	s_xor_b64 s[0:1], exec, s[0:1]
	s_cbranch_execz .LBB4162_133
; %bb.132:
	v_mov_b32_e32 v0, 0
	s_waitcnt lgkmcnt(0)
	global_store_dwordx2 v0, v[2:3], s[18:19]
                                        ; implicit-def: $vgpr2_vgpr3_vgpr4_vgpr5
.LBB4162_133:
	s_andn2_saveexec_b64 s[0:1], s[0:1]
	s_cbranch_execz .LBB4162_135
; %bb.134:
	v_mov_b32_e32 v0, 0
	s_waitcnt lgkmcnt(0)
	global_store_dwordx2 v0, v[4:5], s[18:19]
.LBB4162_135:
	s_endpgm
	.section	.rodata,"a",@progbits
	.p2align	6, 0x0
	.amdhsa_kernel _ZN7rocprim17ROCPRIM_400000_NS6detail17trampoline_kernelINS0_14default_configENS1_20scan_config_selectorIdEEZZNS1_9scan_implILNS1_25lookback_scan_determinismE0ELb0ELb0ES3_N6thrust23THRUST_200600_302600_NS6detail15normal_iteratorINS9_10device_ptrIdEEEESE_dNS9_4plusIvEEdEEDaPvRmT3_T4_T5_mT6_P12ihipStream_tbENKUlT_T0_E_clISt17integral_constantIbLb1EESU_EEDaSP_SQ_EUlSP_E_NS1_11comp_targetILNS1_3genE4ELNS1_11target_archE910ELNS1_3gpuE8ELNS1_3repE0EEENS1_30default_config_static_selectorELNS0_4arch9wavefront6targetE1EEEvT1_
		.amdhsa_group_segment_fixed_size 10240
		.amdhsa_private_segment_fixed_size 0
		.amdhsa_kernarg_size 104
		.amdhsa_user_sgpr_count 6
		.amdhsa_user_sgpr_private_segment_buffer 1
		.amdhsa_user_sgpr_dispatch_ptr 0
		.amdhsa_user_sgpr_queue_ptr 0
		.amdhsa_user_sgpr_kernarg_segment_ptr 1
		.amdhsa_user_sgpr_dispatch_id 0
		.amdhsa_user_sgpr_flat_scratch_init 0
		.amdhsa_user_sgpr_kernarg_preload_length 0
		.amdhsa_user_sgpr_kernarg_preload_offset 0
		.amdhsa_user_sgpr_private_segment_size 0
		.amdhsa_uses_dynamic_stack 0
		.amdhsa_system_sgpr_private_segment_wavefront_offset 0
		.amdhsa_system_sgpr_workgroup_id_x 1
		.amdhsa_system_sgpr_workgroup_id_y 0
		.amdhsa_system_sgpr_workgroup_id_z 0
		.amdhsa_system_sgpr_workgroup_info 0
		.amdhsa_system_vgpr_workitem_id 0
		.amdhsa_next_free_vgpr 66
		.amdhsa_next_free_sgpr 38
		.amdhsa_accum_offset 68
		.amdhsa_reserve_vcc 1
		.amdhsa_reserve_flat_scratch 0
		.amdhsa_float_round_mode_32 0
		.amdhsa_float_round_mode_16_64 0
		.amdhsa_float_denorm_mode_32 3
		.amdhsa_float_denorm_mode_16_64 3
		.amdhsa_dx10_clamp 1
		.amdhsa_ieee_mode 1
		.amdhsa_fp16_overflow 0
		.amdhsa_tg_split 0
		.amdhsa_exception_fp_ieee_invalid_op 0
		.amdhsa_exception_fp_denorm_src 0
		.amdhsa_exception_fp_ieee_div_zero 0
		.amdhsa_exception_fp_ieee_overflow 0
		.amdhsa_exception_fp_ieee_underflow 0
		.amdhsa_exception_fp_ieee_inexact 0
		.amdhsa_exception_int_div_zero 0
	.end_amdhsa_kernel
	.section	.text._ZN7rocprim17ROCPRIM_400000_NS6detail17trampoline_kernelINS0_14default_configENS1_20scan_config_selectorIdEEZZNS1_9scan_implILNS1_25lookback_scan_determinismE0ELb0ELb0ES3_N6thrust23THRUST_200600_302600_NS6detail15normal_iteratorINS9_10device_ptrIdEEEESE_dNS9_4plusIvEEdEEDaPvRmT3_T4_T5_mT6_P12ihipStream_tbENKUlT_T0_E_clISt17integral_constantIbLb1EESU_EEDaSP_SQ_EUlSP_E_NS1_11comp_targetILNS1_3genE4ELNS1_11target_archE910ELNS1_3gpuE8ELNS1_3repE0EEENS1_30default_config_static_selectorELNS0_4arch9wavefront6targetE1EEEvT1_,"axG",@progbits,_ZN7rocprim17ROCPRIM_400000_NS6detail17trampoline_kernelINS0_14default_configENS1_20scan_config_selectorIdEEZZNS1_9scan_implILNS1_25lookback_scan_determinismE0ELb0ELb0ES3_N6thrust23THRUST_200600_302600_NS6detail15normal_iteratorINS9_10device_ptrIdEEEESE_dNS9_4plusIvEEdEEDaPvRmT3_T4_T5_mT6_P12ihipStream_tbENKUlT_T0_E_clISt17integral_constantIbLb1EESU_EEDaSP_SQ_EUlSP_E_NS1_11comp_targetILNS1_3genE4ELNS1_11target_archE910ELNS1_3gpuE8ELNS1_3repE0EEENS1_30default_config_static_selectorELNS0_4arch9wavefront6targetE1EEEvT1_,comdat
.Lfunc_end4162:
	.size	_ZN7rocprim17ROCPRIM_400000_NS6detail17trampoline_kernelINS0_14default_configENS1_20scan_config_selectorIdEEZZNS1_9scan_implILNS1_25lookback_scan_determinismE0ELb0ELb0ES3_N6thrust23THRUST_200600_302600_NS6detail15normal_iteratorINS9_10device_ptrIdEEEESE_dNS9_4plusIvEEdEEDaPvRmT3_T4_T5_mT6_P12ihipStream_tbENKUlT_T0_E_clISt17integral_constantIbLb1EESU_EEDaSP_SQ_EUlSP_E_NS1_11comp_targetILNS1_3genE4ELNS1_11target_archE910ELNS1_3gpuE8ELNS1_3repE0EEENS1_30default_config_static_selectorELNS0_4arch9wavefront6targetE1EEEvT1_, .Lfunc_end4162-_ZN7rocprim17ROCPRIM_400000_NS6detail17trampoline_kernelINS0_14default_configENS1_20scan_config_selectorIdEEZZNS1_9scan_implILNS1_25lookback_scan_determinismE0ELb0ELb0ES3_N6thrust23THRUST_200600_302600_NS6detail15normal_iteratorINS9_10device_ptrIdEEEESE_dNS9_4plusIvEEdEEDaPvRmT3_T4_T5_mT6_P12ihipStream_tbENKUlT_T0_E_clISt17integral_constantIbLb1EESU_EEDaSP_SQ_EUlSP_E_NS1_11comp_targetILNS1_3genE4ELNS1_11target_archE910ELNS1_3gpuE8ELNS1_3repE0EEENS1_30default_config_static_selectorELNS0_4arch9wavefront6targetE1EEEvT1_
                                        ; -- End function
	.section	.AMDGPU.csdata,"",@progbits
; Kernel info:
; codeLenInByte = 6200
; NumSgprs: 42
; NumVgprs: 66
; NumAgprs: 0
; TotalNumVgprs: 66
; ScratchSize: 0
; MemoryBound: 0
; FloatMode: 240
; IeeeMode: 1
; LDSByteSize: 10240 bytes/workgroup (compile time only)
; SGPRBlocks: 5
; VGPRBlocks: 8
; NumSGPRsForWavesPerEU: 42
; NumVGPRsForWavesPerEU: 66
; AccumOffset: 68
; Occupancy: 3
; WaveLimiterHint : 1
; COMPUTE_PGM_RSRC2:SCRATCH_EN: 0
; COMPUTE_PGM_RSRC2:USER_SGPR: 6
; COMPUTE_PGM_RSRC2:TRAP_HANDLER: 0
; COMPUTE_PGM_RSRC2:TGID_X_EN: 1
; COMPUTE_PGM_RSRC2:TGID_Y_EN: 0
; COMPUTE_PGM_RSRC2:TGID_Z_EN: 0
; COMPUTE_PGM_RSRC2:TIDIG_COMP_CNT: 0
; COMPUTE_PGM_RSRC3_GFX90A:ACCUM_OFFSET: 16
; COMPUTE_PGM_RSRC3_GFX90A:TG_SPLIT: 0
	.section	.text._ZN7rocprim17ROCPRIM_400000_NS6detail17trampoline_kernelINS0_14default_configENS1_20scan_config_selectorIdEEZZNS1_9scan_implILNS1_25lookback_scan_determinismE0ELb0ELb0ES3_N6thrust23THRUST_200600_302600_NS6detail15normal_iteratorINS9_10device_ptrIdEEEESE_dNS9_4plusIvEEdEEDaPvRmT3_T4_T5_mT6_P12ihipStream_tbENKUlT_T0_E_clISt17integral_constantIbLb1EESU_EEDaSP_SQ_EUlSP_E_NS1_11comp_targetILNS1_3genE3ELNS1_11target_archE908ELNS1_3gpuE7ELNS1_3repE0EEENS1_30default_config_static_selectorELNS0_4arch9wavefront6targetE1EEEvT1_,"axG",@progbits,_ZN7rocprim17ROCPRIM_400000_NS6detail17trampoline_kernelINS0_14default_configENS1_20scan_config_selectorIdEEZZNS1_9scan_implILNS1_25lookback_scan_determinismE0ELb0ELb0ES3_N6thrust23THRUST_200600_302600_NS6detail15normal_iteratorINS9_10device_ptrIdEEEESE_dNS9_4plusIvEEdEEDaPvRmT3_T4_T5_mT6_P12ihipStream_tbENKUlT_T0_E_clISt17integral_constantIbLb1EESU_EEDaSP_SQ_EUlSP_E_NS1_11comp_targetILNS1_3genE3ELNS1_11target_archE908ELNS1_3gpuE7ELNS1_3repE0EEENS1_30default_config_static_selectorELNS0_4arch9wavefront6targetE1EEEvT1_,comdat
	.protected	_ZN7rocprim17ROCPRIM_400000_NS6detail17trampoline_kernelINS0_14default_configENS1_20scan_config_selectorIdEEZZNS1_9scan_implILNS1_25lookback_scan_determinismE0ELb0ELb0ES3_N6thrust23THRUST_200600_302600_NS6detail15normal_iteratorINS9_10device_ptrIdEEEESE_dNS9_4plusIvEEdEEDaPvRmT3_T4_T5_mT6_P12ihipStream_tbENKUlT_T0_E_clISt17integral_constantIbLb1EESU_EEDaSP_SQ_EUlSP_E_NS1_11comp_targetILNS1_3genE3ELNS1_11target_archE908ELNS1_3gpuE7ELNS1_3repE0EEENS1_30default_config_static_selectorELNS0_4arch9wavefront6targetE1EEEvT1_ ; -- Begin function _ZN7rocprim17ROCPRIM_400000_NS6detail17trampoline_kernelINS0_14default_configENS1_20scan_config_selectorIdEEZZNS1_9scan_implILNS1_25lookback_scan_determinismE0ELb0ELb0ES3_N6thrust23THRUST_200600_302600_NS6detail15normal_iteratorINS9_10device_ptrIdEEEESE_dNS9_4plusIvEEdEEDaPvRmT3_T4_T5_mT6_P12ihipStream_tbENKUlT_T0_E_clISt17integral_constantIbLb1EESU_EEDaSP_SQ_EUlSP_E_NS1_11comp_targetILNS1_3genE3ELNS1_11target_archE908ELNS1_3gpuE7ELNS1_3repE0EEENS1_30default_config_static_selectorELNS0_4arch9wavefront6targetE1EEEvT1_
	.globl	_ZN7rocprim17ROCPRIM_400000_NS6detail17trampoline_kernelINS0_14default_configENS1_20scan_config_selectorIdEEZZNS1_9scan_implILNS1_25lookback_scan_determinismE0ELb0ELb0ES3_N6thrust23THRUST_200600_302600_NS6detail15normal_iteratorINS9_10device_ptrIdEEEESE_dNS9_4plusIvEEdEEDaPvRmT3_T4_T5_mT6_P12ihipStream_tbENKUlT_T0_E_clISt17integral_constantIbLb1EESU_EEDaSP_SQ_EUlSP_E_NS1_11comp_targetILNS1_3genE3ELNS1_11target_archE908ELNS1_3gpuE7ELNS1_3repE0EEENS1_30default_config_static_selectorELNS0_4arch9wavefront6targetE1EEEvT1_
	.p2align	8
	.type	_ZN7rocprim17ROCPRIM_400000_NS6detail17trampoline_kernelINS0_14default_configENS1_20scan_config_selectorIdEEZZNS1_9scan_implILNS1_25lookback_scan_determinismE0ELb0ELb0ES3_N6thrust23THRUST_200600_302600_NS6detail15normal_iteratorINS9_10device_ptrIdEEEESE_dNS9_4plusIvEEdEEDaPvRmT3_T4_T5_mT6_P12ihipStream_tbENKUlT_T0_E_clISt17integral_constantIbLb1EESU_EEDaSP_SQ_EUlSP_E_NS1_11comp_targetILNS1_3genE3ELNS1_11target_archE908ELNS1_3gpuE7ELNS1_3repE0EEENS1_30default_config_static_selectorELNS0_4arch9wavefront6targetE1EEEvT1_,@function
_ZN7rocprim17ROCPRIM_400000_NS6detail17trampoline_kernelINS0_14default_configENS1_20scan_config_selectorIdEEZZNS1_9scan_implILNS1_25lookback_scan_determinismE0ELb0ELb0ES3_N6thrust23THRUST_200600_302600_NS6detail15normal_iteratorINS9_10device_ptrIdEEEESE_dNS9_4plusIvEEdEEDaPvRmT3_T4_T5_mT6_P12ihipStream_tbENKUlT_T0_E_clISt17integral_constantIbLb1EESU_EEDaSP_SQ_EUlSP_E_NS1_11comp_targetILNS1_3genE3ELNS1_11target_archE908ELNS1_3gpuE7ELNS1_3repE0EEENS1_30default_config_static_selectorELNS0_4arch9wavefront6targetE1EEEvT1_: ; @_ZN7rocprim17ROCPRIM_400000_NS6detail17trampoline_kernelINS0_14default_configENS1_20scan_config_selectorIdEEZZNS1_9scan_implILNS1_25lookback_scan_determinismE0ELb0ELb0ES3_N6thrust23THRUST_200600_302600_NS6detail15normal_iteratorINS9_10device_ptrIdEEEESE_dNS9_4plusIvEEdEEDaPvRmT3_T4_T5_mT6_P12ihipStream_tbENKUlT_T0_E_clISt17integral_constantIbLb1EESU_EEDaSP_SQ_EUlSP_E_NS1_11comp_targetILNS1_3genE3ELNS1_11target_archE908ELNS1_3gpuE7ELNS1_3repE0EEENS1_30default_config_static_selectorELNS0_4arch9wavefront6targetE1EEEvT1_
; %bb.0:
	.section	.rodata,"a",@progbits
	.p2align	6, 0x0
	.amdhsa_kernel _ZN7rocprim17ROCPRIM_400000_NS6detail17trampoline_kernelINS0_14default_configENS1_20scan_config_selectorIdEEZZNS1_9scan_implILNS1_25lookback_scan_determinismE0ELb0ELb0ES3_N6thrust23THRUST_200600_302600_NS6detail15normal_iteratorINS9_10device_ptrIdEEEESE_dNS9_4plusIvEEdEEDaPvRmT3_T4_T5_mT6_P12ihipStream_tbENKUlT_T0_E_clISt17integral_constantIbLb1EESU_EEDaSP_SQ_EUlSP_E_NS1_11comp_targetILNS1_3genE3ELNS1_11target_archE908ELNS1_3gpuE7ELNS1_3repE0EEENS1_30default_config_static_selectorELNS0_4arch9wavefront6targetE1EEEvT1_
		.amdhsa_group_segment_fixed_size 0
		.amdhsa_private_segment_fixed_size 0
		.amdhsa_kernarg_size 104
		.amdhsa_user_sgpr_count 6
		.amdhsa_user_sgpr_private_segment_buffer 1
		.amdhsa_user_sgpr_dispatch_ptr 0
		.amdhsa_user_sgpr_queue_ptr 0
		.amdhsa_user_sgpr_kernarg_segment_ptr 1
		.amdhsa_user_sgpr_dispatch_id 0
		.amdhsa_user_sgpr_flat_scratch_init 0
		.amdhsa_user_sgpr_kernarg_preload_length 0
		.amdhsa_user_sgpr_kernarg_preload_offset 0
		.amdhsa_user_sgpr_private_segment_size 0
		.amdhsa_uses_dynamic_stack 0
		.amdhsa_system_sgpr_private_segment_wavefront_offset 0
		.amdhsa_system_sgpr_workgroup_id_x 1
		.amdhsa_system_sgpr_workgroup_id_y 0
		.amdhsa_system_sgpr_workgroup_id_z 0
		.amdhsa_system_sgpr_workgroup_info 0
		.amdhsa_system_vgpr_workitem_id 0
		.amdhsa_next_free_vgpr 1
		.amdhsa_next_free_sgpr 0
		.amdhsa_accum_offset 4
		.amdhsa_reserve_vcc 0
		.amdhsa_reserve_flat_scratch 0
		.amdhsa_float_round_mode_32 0
		.amdhsa_float_round_mode_16_64 0
		.amdhsa_float_denorm_mode_32 3
		.amdhsa_float_denorm_mode_16_64 3
		.amdhsa_dx10_clamp 1
		.amdhsa_ieee_mode 1
		.amdhsa_fp16_overflow 0
		.amdhsa_tg_split 0
		.amdhsa_exception_fp_ieee_invalid_op 0
		.amdhsa_exception_fp_denorm_src 0
		.amdhsa_exception_fp_ieee_div_zero 0
		.amdhsa_exception_fp_ieee_overflow 0
		.amdhsa_exception_fp_ieee_underflow 0
		.amdhsa_exception_fp_ieee_inexact 0
		.amdhsa_exception_int_div_zero 0
	.end_amdhsa_kernel
	.section	.text._ZN7rocprim17ROCPRIM_400000_NS6detail17trampoline_kernelINS0_14default_configENS1_20scan_config_selectorIdEEZZNS1_9scan_implILNS1_25lookback_scan_determinismE0ELb0ELb0ES3_N6thrust23THRUST_200600_302600_NS6detail15normal_iteratorINS9_10device_ptrIdEEEESE_dNS9_4plusIvEEdEEDaPvRmT3_T4_T5_mT6_P12ihipStream_tbENKUlT_T0_E_clISt17integral_constantIbLb1EESU_EEDaSP_SQ_EUlSP_E_NS1_11comp_targetILNS1_3genE3ELNS1_11target_archE908ELNS1_3gpuE7ELNS1_3repE0EEENS1_30default_config_static_selectorELNS0_4arch9wavefront6targetE1EEEvT1_,"axG",@progbits,_ZN7rocprim17ROCPRIM_400000_NS6detail17trampoline_kernelINS0_14default_configENS1_20scan_config_selectorIdEEZZNS1_9scan_implILNS1_25lookback_scan_determinismE0ELb0ELb0ES3_N6thrust23THRUST_200600_302600_NS6detail15normal_iteratorINS9_10device_ptrIdEEEESE_dNS9_4plusIvEEdEEDaPvRmT3_T4_T5_mT6_P12ihipStream_tbENKUlT_T0_E_clISt17integral_constantIbLb1EESU_EEDaSP_SQ_EUlSP_E_NS1_11comp_targetILNS1_3genE3ELNS1_11target_archE908ELNS1_3gpuE7ELNS1_3repE0EEENS1_30default_config_static_selectorELNS0_4arch9wavefront6targetE1EEEvT1_,comdat
.Lfunc_end4163:
	.size	_ZN7rocprim17ROCPRIM_400000_NS6detail17trampoline_kernelINS0_14default_configENS1_20scan_config_selectorIdEEZZNS1_9scan_implILNS1_25lookback_scan_determinismE0ELb0ELb0ES3_N6thrust23THRUST_200600_302600_NS6detail15normal_iteratorINS9_10device_ptrIdEEEESE_dNS9_4plusIvEEdEEDaPvRmT3_T4_T5_mT6_P12ihipStream_tbENKUlT_T0_E_clISt17integral_constantIbLb1EESU_EEDaSP_SQ_EUlSP_E_NS1_11comp_targetILNS1_3genE3ELNS1_11target_archE908ELNS1_3gpuE7ELNS1_3repE0EEENS1_30default_config_static_selectorELNS0_4arch9wavefront6targetE1EEEvT1_, .Lfunc_end4163-_ZN7rocprim17ROCPRIM_400000_NS6detail17trampoline_kernelINS0_14default_configENS1_20scan_config_selectorIdEEZZNS1_9scan_implILNS1_25lookback_scan_determinismE0ELb0ELb0ES3_N6thrust23THRUST_200600_302600_NS6detail15normal_iteratorINS9_10device_ptrIdEEEESE_dNS9_4plusIvEEdEEDaPvRmT3_T4_T5_mT6_P12ihipStream_tbENKUlT_T0_E_clISt17integral_constantIbLb1EESU_EEDaSP_SQ_EUlSP_E_NS1_11comp_targetILNS1_3genE3ELNS1_11target_archE908ELNS1_3gpuE7ELNS1_3repE0EEENS1_30default_config_static_selectorELNS0_4arch9wavefront6targetE1EEEvT1_
                                        ; -- End function
	.section	.AMDGPU.csdata,"",@progbits
; Kernel info:
; codeLenInByte = 0
; NumSgprs: 4
; NumVgprs: 0
; NumAgprs: 0
; TotalNumVgprs: 0
; ScratchSize: 0
; MemoryBound: 0
; FloatMode: 240
; IeeeMode: 1
; LDSByteSize: 0 bytes/workgroup (compile time only)
; SGPRBlocks: 0
; VGPRBlocks: 0
; NumSGPRsForWavesPerEU: 4
; NumVGPRsForWavesPerEU: 1
; AccumOffset: 4
; Occupancy: 8
; WaveLimiterHint : 0
; COMPUTE_PGM_RSRC2:SCRATCH_EN: 0
; COMPUTE_PGM_RSRC2:USER_SGPR: 6
; COMPUTE_PGM_RSRC2:TRAP_HANDLER: 0
; COMPUTE_PGM_RSRC2:TGID_X_EN: 1
; COMPUTE_PGM_RSRC2:TGID_Y_EN: 0
; COMPUTE_PGM_RSRC2:TGID_Z_EN: 0
; COMPUTE_PGM_RSRC2:TIDIG_COMP_CNT: 0
; COMPUTE_PGM_RSRC3_GFX90A:ACCUM_OFFSET: 0
; COMPUTE_PGM_RSRC3_GFX90A:TG_SPLIT: 0
	.section	.text._ZN7rocprim17ROCPRIM_400000_NS6detail17trampoline_kernelINS0_14default_configENS1_20scan_config_selectorIdEEZZNS1_9scan_implILNS1_25lookback_scan_determinismE0ELb0ELb0ES3_N6thrust23THRUST_200600_302600_NS6detail15normal_iteratorINS9_10device_ptrIdEEEESE_dNS9_4plusIvEEdEEDaPvRmT3_T4_T5_mT6_P12ihipStream_tbENKUlT_T0_E_clISt17integral_constantIbLb1EESU_EEDaSP_SQ_EUlSP_E_NS1_11comp_targetILNS1_3genE2ELNS1_11target_archE906ELNS1_3gpuE6ELNS1_3repE0EEENS1_30default_config_static_selectorELNS0_4arch9wavefront6targetE1EEEvT1_,"axG",@progbits,_ZN7rocprim17ROCPRIM_400000_NS6detail17trampoline_kernelINS0_14default_configENS1_20scan_config_selectorIdEEZZNS1_9scan_implILNS1_25lookback_scan_determinismE0ELb0ELb0ES3_N6thrust23THRUST_200600_302600_NS6detail15normal_iteratorINS9_10device_ptrIdEEEESE_dNS9_4plusIvEEdEEDaPvRmT3_T4_T5_mT6_P12ihipStream_tbENKUlT_T0_E_clISt17integral_constantIbLb1EESU_EEDaSP_SQ_EUlSP_E_NS1_11comp_targetILNS1_3genE2ELNS1_11target_archE906ELNS1_3gpuE6ELNS1_3repE0EEENS1_30default_config_static_selectorELNS0_4arch9wavefront6targetE1EEEvT1_,comdat
	.protected	_ZN7rocprim17ROCPRIM_400000_NS6detail17trampoline_kernelINS0_14default_configENS1_20scan_config_selectorIdEEZZNS1_9scan_implILNS1_25lookback_scan_determinismE0ELb0ELb0ES3_N6thrust23THRUST_200600_302600_NS6detail15normal_iteratorINS9_10device_ptrIdEEEESE_dNS9_4plusIvEEdEEDaPvRmT3_T4_T5_mT6_P12ihipStream_tbENKUlT_T0_E_clISt17integral_constantIbLb1EESU_EEDaSP_SQ_EUlSP_E_NS1_11comp_targetILNS1_3genE2ELNS1_11target_archE906ELNS1_3gpuE6ELNS1_3repE0EEENS1_30default_config_static_selectorELNS0_4arch9wavefront6targetE1EEEvT1_ ; -- Begin function _ZN7rocprim17ROCPRIM_400000_NS6detail17trampoline_kernelINS0_14default_configENS1_20scan_config_selectorIdEEZZNS1_9scan_implILNS1_25lookback_scan_determinismE0ELb0ELb0ES3_N6thrust23THRUST_200600_302600_NS6detail15normal_iteratorINS9_10device_ptrIdEEEESE_dNS9_4plusIvEEdEEDaPvRmT3_T4_T5_mT6_P12ihipStream_tbENKUlT_T0_E_clISt17integral_constantIbLb1EESU_EEDaSP_SQ_EUlSP_E_NS1_11comp_targetILNS1_3genE2ELNS1_11target_archE906ELNS1_3gpuE6ELNS1_3repE0EEENS1_30default_config_static_selectorELNS0_4arch9wavefront6targetE1EEEvT1_
	.globl	_ZN7rocprim17ROCPRIM_400000_NS6detail17trampoline_kernelINS0_14default_configENS1_20scan_config_selectorIdEEZZNS1_9scan_implILNS1_25lookback_scan_determinismE0ELb0ELb0ES3_N6thrust23THRUST_200600_302600_NS6detail15normal_iteratorINS9_10device_ptrIdEEEESE_dNS9_4plusIvEEdEEDaPvRmT3_T4_T5_mT6_P12ihipStream_tbENKUlT_T0_E_clISt17integral_constantIbLb1EESU_EEDaSP_SQ_EUlSP_E_NS1_11comp_targetILNS1_3genE2ELNS1_11target_archE906ELNS1_3gpuE6ELNS1_3repE0EEENS1_30default_config_static_selectorELNS0_4arch9wavefront6targetE1EEEvT1_
	.p2align	8
	.type	_ZN7rocprim17ROCPRIM_400000_NS6detail17trampoline_kernelINS0_14default_configENS1_20scan_config_selectorIdEEZZNS1_9scan_implILNS1_25lookback_scan_determinismE0ELb0ELb0ES3_N6thrust23THRUST_200600_302600_NS6detail15normal_iteratorINS9_10device_ptrIdEEEESE_dNS9_4plusIvEEdEEDaPvRmT3_T4_T5_mT6_P12ihipStream_tbENKUlT_T0_E_clISt17integral_constantIbLb1EESU_EEDaSP_SQ_EUlSP_E_NS1_11comp_targetILNS1_3genE2ELNS1_11target_archE906ELNS1_3gpuE6ELNS1_3repE0EEENS1_30default_config_static_selectorELNS0_4arch9wavefront6targetE1EEEvT1_,@function
_ZN7rocprim17ROCPRIM_400000_NS6detail17trampoline_kernelINS0_14default_configENS1_20scan_config_selectorIdEEZZNS1_9scan_implILNS1_25lookback_scan_determinismE0ELb0ELb0ES3_N6thrust23THRUST_200600_302600_NS6detail15normal_iteratorINS9_10device_ptrIdEEEESE_dNS9_4plusIvEEdEEDaPvRmT3_T4_T5_mT6_P12ihipStream_tbENKUlT_T0_E_clISt17integral_constantIbLb1EESU_EEDaSP_SQ_EUlSP_E_NS1_11comp_targetILNS1_3genE2ELNS1_11target_archE906ELNS1_3gpuE6ELNS1_3repE0EEENS1_30default_config_static_selectorELNS0_4arch9wavefront6targetE1EEEvT1_: ; @_ZN7rocprim17ROCPRIM_400000_NS6detail17trampoline_kernelINS0_14default_configENS1_20scan_config_selectorIdEEZZNS1_9scan_implILNS1_25lookback_scan_determinismE0ELb0ELb0ES3_N6thrust23THRUST_200600_302600_NS6detail15normal_iteratorINS9_10device_ptrIdEEEESE_dNS9_4plusIvEEdEEDaPvRmT3_T4_T5_mT6_P12ihipStream_tbENKUlT_T0_E_clISt17integral_constantIbLb1EESU_EEDaSP_SQ_EUlSP_E_NS1_11comp_targetILNS1_3genE2ELNS1_11target_archE906ELNS1_3gpuE6ELNS1_3repE0EEENS1_30default_config_static_selectorELNS0_4arch9wavefront6targetE1EEEvT1_
; %bb.0:
	.section	.rodata,"a",@progbits
	.p2align	6, 0x0
	.amdhsa_kernel _ZN7rocprim17ROCPRIM_400000_NS6detail17trampoline_kernelINS0_14default_configENS1_20scan_config_selectorIdEEZZNS1_9scan_implILNS1_25lookback_scan_determinismE0ELb0ELb0ES3_N6thrust23THRUST_200600_302600_NS6detail15normal_iteratorINS9_10device_ptrIdEEEESE_dNS9_4plusIvEEdEEDaPvRmT3_T4_T5_mT6_P12ihipStream_tbENKUlT_T0_E_clISt17integral_constantIbLb1EESU_EEDaSP_SQ_EUlSP_E_NS1_11comp_targetILNS1_3genE2ELNS1_11target_archE906ELNS1_3gpuE6ELNS1_3repE0EEENS1_30default_config_static_selectorELNS0_4arch9wavefront6targetE1EEEvT1_
		.amdhsa_group_segment_fixed_size 0
		.amdhsa_private_segment_fixed_size 0
		.amdhsa_kernarg_size 104
		.amdhsa_user_sgpr_count 6
		.amdhsa_user_sgpr_private_segment_buffer 1
		.amdhsa_user_sgpr_dispatch_ptr 0
		.amdhsa_user_sgpr_queue_ptr 0
		.amdhsa_user_sgpr_kernarg_segment_ptr 1
		.amdhsa_user_sgpr_dispatch_id 0
		.amdhsa_user_sgpr_flat_scratch_init 0
		.amdhsa_user_sgpr_kernarg_preload_length 0
		.amdhsa_user_sgpr_kernarg_preload_offset 0
		.amdhsa_user_sgpr_private_segment_size 0
		.amdhsa_uses_dynamic_stack 0
		.amdhsa_system_sgpr_private_segment_wavefront_offset 0
		.amdhsa_system_sgpr_workgroup_id_x 1
		.amdhsa_system_sgpr_workgroup_id_y 0
		.amdhsa_system_sgpr_workgroup_id_z 0
		.amdhsa_system_sgpr_workgroup_info 0
		.amdhsa_system_vgpr_workitem_id 0
		.amdhsa_next_free_vgpr 1
		.amdhsa_next_free_sgpr 0
		.amdhsa_accum_offset 4
		.amdhsa_reserve_vcc 0
		.amdhsa_reserve_flat_scratch 0
		.amdhsa_float_round_mode_32 0
		.amdhsa_float_round_mode_16_64 0
		.amdhsa_float_denorm_mode_32 3
		.amdhsa_float_denorm_mode_16_64 3
		.amdhsa_dx10_clamp 1
		.amdhsa_ieee_mode 1
		.amdhsa_fp16_overflow 0
		.amdhsa_tg_split 0
		.amdhsa_exception_fp_ieee_invalid_op 0
		.amdhsa_exception_fp_denorm_src 0
		.amdhsa_exception_fp_ieee_div_zero 0
		.amdhsa_exception_fp_ieee_overflow 0
		.amdhsa_exception_fp_ieee_underflow 0
		.amdhsa_exception_fp_ieee_inexact 0
		.amdhsa_exception_int_div_zero 0
	.end_amdhsa_kernel
	.section	.text._ZN7rocprim17ROCPRIM_400000_NS6detail17trampoline_kernelINS0_14default_configENS1_20scan_config_selectorIdEEZZNS1_9scan_implILNS1_25lookback_scan_determinismE0ELb0ELb0ES3_N6thrust23THRUST_200600_302600_NS6detail15normal_iteratorINS9_10device_ptrIdEEEESE_dNS9_4plusIvEEdEEDaPvRmT3_T4_T5_mT6_P12ihipStream_tbENKUlT_T0_E_clISt17integral_constantIbLb1EESU_EEDaSP_SQ_EUlSP_E_NS1_11comp_targetILNS1_3genE2ELNS1_11target_archE906ELNS1_3gpuE6ELNS1_3repE0EEENS1_30default_config_static_selectorELNS0_4arch9wavefront6targetE1EEEvT1_,"axG",@progbits,_ZN7rocprim17ROCPRIM_400000_NS6detail17trampoline_kernelINS0_14default_configENS1_20scan_config_selectorIdEEZZNS1_9scan_implILNS1_25lookback_scan_determinismE0ELb0ELb0ES3_N6thrust23THRUST_200600_302600_NS6detail15normal_iteratorINS9_10device_ptrIdEEEESE_dNS9_4plusIvEEdEEDaPvRmT3_T4_T5_mT6_P12ihipStream_tbENKUlT_T0_E_clISt17integral_constantIbLb1EESU_EEDaSP_SQ_EUlSP_E_NS1_11comp_targetILNS1_3genE2ELNS1_11target_archE906ELNS1_3gpuE6ELNS1_3repE0EEENS1_30default_config_static_selectorELNS0_4arch9wavefront6targetE1EEEvT1_,comdat
.Lfunc_end4164:
	.size	_ZN7rocprim17ROCPRIM_400000_NS6detail17trampoline_kernelINS0_14default_configENS1_20scan_config_selectorIdEEZZNS1_9scan_implILNS1_25lookback_scan_determinismE0ELb0ELb0ES3_N6thrust23THRUST_200600_302600_NS6detail15normal_iteratorINS9_10device_ptrIdEEEESE_dNS9_4plusIvEEdEEDaPvRmT3_T4_T5_mT6_P12ihipStream_tbENKUlT_T0_E_clISt17integral_constantIbLb1EESU_EEDaSP_SQ_EUlSP_E_NS1_11comp_targetILNS1_3genE2ELNS1_11target_archE906ELNS1_3gpuE6ELNS1_3repE0EEENS1_30default_config_static_selectorELNS0_4arch9wavefront6targetE1EEEvT1_, .Lfunc_end4164-_ZN7rocprim17ROCPRIM_400000_NS6detail17trampoline_kernelINS0_14default_configENS1_20scan_config_selectorIdEEZZNS1_9scan_implILNS1_25lookback_scan_determinismE0ELb0ELb0ES3_N6thrust23THRUST_200600_302600_NS6detail15normal_iteratorINS9_10device_ptrIdEEEESE_dNS9_4plusIvEEdEEDaPvRmT3_T4_T5_mT6_P12ihipStream_tbENKUlT_T0_E_clISt17integral_constantIbLb1EESU_EEDaSP_SQ_EUlSP_E_NS1_11comp_targetILNS1_3genE2ELNS1_11target_archE906ELNS1_3gpuE6ELNS1_3repE0EEENS1_30default_config_static_selectorELNS0_4arch9wavefront6targetE1EEEvT1_
                                        ; -- End function
	.section	.AMDGPU.csdata,"",@progbits
; Kernel info:
; codeLenInByte = 0
; NumSgprs: 4
; NumVgprs: 0
; NumAgprs: 0
; TotalNumVgprs: 0
; ScratchSize: 0
; MemoryBound: 0
; FloatMode: 240
; IeeeMode: 1
; LDSByteSize: 0 bytes/workgroup (compile time only)
; SGPRBlocks: 0
; VGPRBlocks: 0
; NumSGPRsForWavesPerEU: 4
; NumVGPRsForWavesPerEU: 1
; AccumOffset: 4
; Occupancy: 8
; WaveLimiterHint : 0
; COMPUTE_PGM_RSRC2:SCRATCH_EN: 0
; COMPUTE_PGM_RSRC2:USER_SGPR: 6
; COMPUTE_PGM_RSRC2:TRAP_HANDLER: 0
; COMPUTE_PGM_RSRC2:TGID_X_EN: 1
; COMPUTE_PGM_RSRC2:TGID_Y_EN: 0
; COMPUTE_PGM_RSRC2:TGID_Z_EN: 0
; COMPUTE_PGM_RSRC2:TIDIG_COMP_CNT: 0
; COMPUTE_PGM_RSRC3_GFX90A:ACCUM_OFFSET: 0
; COMPUTE_PGM_RSRC3_GFX90A:TG_SPLIT: 0
	.section	.text._ZN7rocprim17ROCPRIM_400000_NS6detail17trampoline_kernelINS0_14default_configENS1_20scan_config_selectorIdEEZZNS1_9scan_implILNS1_25lookback_scan_determinismE0ELb0ELb0ES3_N6thrust23THRUST_200600_302600_NS6detail15normal_iteratorINS9_10device_ptrIdEEEESE_dNS9_4plusIvEEdEEDaPvRmT3_T4_T5_mT6_P12ihipStream_tbENKUlT_T0_E_clISt17integral_constantIbLb1EESU_EEDaSP_SQ_EUlSP_E_NS1_11comp_targetILNS1_3genE10ELNS1_11target_archE1201ELNS1_3gpuE5ELNS1_3repE0EEENS1_30default_config_static_selectorELNS0_4arch9wavefront6targetE1EEEvT1_,"axG",@progbits,_ZN7rocprim17ROCPRIM_400000_NS6detail17trampoline_kernelINS0_14default_configENS1_20scan_config_selectorIdEEZZNS1_9scan_implILNS1_25lookback_scan_determinismE0ELb0ELb0ES3_N6thrust23THRUST_200600_302600_NS6detail15normal_iteratorINS9_10device_ptrIdEEEESE_dNS9_4plusIvEEdEEDaPvRmT3_T4_T5_mT6_P12ihipStream_tbENKUlT_T0_E_clISt17integral_constantIbLb1EESU_EEDaSP_SQ_EUlSP_E_NS1_11comp_targetILNS1_3genE10ELNS1_11target_archE1201ELNS1_3gpuE5ELNS1_3repE0EEENS1_30default_config_static_selectorELNS0_4arch9wavefront6targetE1EEEvT1_,comdat
	.protected	_ZN7rocprim17ROCPRIM_400000_NS6detail17trampoline_kernelINS0_14default_configENS1_20scan_config_selectorIdEEZZNS1_9scan_implILNS1_25lookback_scan_determinismE0ELb0ELb0ES3_N6thrust23THRUST_200600_302600_NS6detail15normal_iteratorINS9_10device_ptrIdEEEESE_dNS9_4plusIvEEdEEDaPvRmT3_T4_T5_mT6_P12ihipStream_tbENKUlT_T0_E_clISt17integral_constantIbLb1EESU_EEDaSP_SQ_EUlSP_E_NS1_11comp_targetILNS1_3genE10ELNS1_11target_archE1201ELNS1_3gpuE5ELNS1_3repE0EEENS1_30default_config_static_selectorELNS0_4arch9wavefront6targetE1EEEvT1_ ; -- Begin function _ZN7rocprim17ROCPRIM_400000_NS6detail17trampoline_kernelINS0_14default_configENS1_20scan_config_selectorIdEEZZNS1_9scan_implILNS1_25lookback_scan_determinismE0ELb0ELb0ES3_N6thrust23THRUST_200600_302600_NS6detail15normal_iteratorINS9_10device_ptrIdEEEESE_dNS9_4plusIvEEdEEDaPvRmT3_T4_T5_mT6_P12ihipStream_tbENKUlT_T0_E_clISt17integral_constantIbLb1EESU_EEDaSP_SQ_EUlSP_E_NS1_11comp_targetILNS1_3genE10ELNS1_11target_archE1201ELNS1_3gpuE5ELNS1_3repE0EEENS1_30default_config_static_selectorELNS0_4arch9wavefront6targetE1EEEvT1_
	.globl	_ZN7rocprim17ROCPRIM_400000_NS6detail17trampoline_kernelINS0_14default_configENS1_20scan_config_selectorIdEEZZNS1_9scan_implILNS1_25lookback_scan_determinismE0ELb0ELb0ES3_N6thrust23THRUST_200600_302600_NS6detail15normal_iteratorINS9_10device_ptrIdEEEESE_dNS9_4plusIvEEdEEDaPvRmT3_T4_T5_mT6_P12ihipStream_tbENKUlT_T0_E_clISt17integral_constantIbLb1EESU_EEDaSP_SQ_EUlSP_E_NS1_11comp_targetILNS1_3genE10ELNS1_11target_archE1201ELNS1_3gpuE5ELNS1_3repE0EEENS1_30default_config_static_selectorELNS0_4arch9wavefront6targetE1EEEvT1_
	.p2align	8
	.type	_ZN7rocprim17ROCPRIM_400000_NS6detail17trampoline_kernelINS0_14default_configENS1_20scan_config_selectorIdEEZZNS1_9scan_implILNS1_25lookback_scan_determinismE0ELb0ELb0ES3_N6thrust23THRUST_200600_302600_NS6detail15normal_iteratorINS9_10device_ptrIdEEEESE_dNS9_4plusIvEEdEEDaPvRmT3_T4_T5_mT6_P12ihipStream_tbENKUlT_T0_E_clISt17integral_constantIbLb1EESU_EEDaSP_SQ_EUlSP_E_NS1_11comp_targetILNS1_3genE10ELNS1_11target_archE1201ELNS1_3gpuE5ELNS1_3repE0EEENS1_30default_config_static_selectorELNS0_4arch9wavefront6targetE1EEEvT1_,@function
_ZN7rocprim17ROCPRIM_400000_NS6detail17trampoline_kernelINS0_14default_configENS1_20scan_config_selectorIdEEZZNS1_9scan_implILNS1_25lookback_scan_determinismE0ELb0ELb0ES3_N6thrust23THRUST_200600_302600_NS6detail15normal_iteratorINS9_10device_ptrIdEEEESE_dNS9_4plusIvEEdEEDaPvRmT3_T4_T5_mT6_P12ihipStream_tbENKUlT_T0_E_clISt17integral_constantIbLb1EESU_EEDaSP_SQ_EUlSP_E_NS1_11comp_targetILNS1_3genE10ELNS1_11target_archE1201ELNS1_3gpuE5ELNS1_3repE0EEENS1_30default_config_static_selectorELNS0_4arch9wavefront6targetE1EEEvT1_: ; @_ZN7rocprim17ROCPRIM_400000_NS6detail17trampoline_kernelINS0_14default_configENS1_20scan_config_selectorIdEEZZNS1_9scan_implILNS1_25lookback_scan_determinismE0ELb0ELb0ES3_N6thrust23THRUST_200600_302600_NS6detail15normal_iteratorINS9_10device_ptrIdEEEESE_dNS9_4plusIvEEdEEDaPvRmT3_T4_T5_mT6_P12ihipStream_tbENKUlT_T0_E_clISt17integral_constantIbLb1EESU_EEDaSP_SQ_EUlSP_E_NS1_11comp_targetILNS1_3genE10ELNS1_11target_archE1201ELNS1_3gpuE5ELNS1_3repE0EEENS1_30default_config_static_selectorELNS0_4arch9wavefront6targetE1EEEvT1_
; %bb.0:
	.section	.rodata,"a",@progbits
	.p2align	6, 0x0
	.amdhsa_kernel _ZN7rocprim17ROCPRIM_400000_NS6detail17trampoline_kernelINS0_14default_configENS1_20scan_config_selectorIdEEZZNS1_9scan_implILNS1_25lookback_scan_determinismE0ELb0ELb0ES3_N6thrust23THRUST_200600_302600_NS6detail15normal_iteratorINS9_10device_ptrIdEEEESE_dNS9_4plusIvEEdEEDaPvRmT3_T4_T5_mT6_P12ihipStream_tbENKUlT_T0_E_clISt17integral_constantIbLb1EESU_EEDaSP_SQ_EUlSP_E_NS1_11comp_targetILNS1_3genE10ELNS1_11target_archE1201ELNS1_3gpuE5ELNS1_3repE0EEENS1_30default_config_static_selectorELNS0_4arch9wavefront6targetE1EEEvT1_
		.amdhsa_group_segment_fixed_size 0
		.amdhsa_private_segment_fixed_size 0
		.amdhsa_kernarg_size 104
		.amdhsa_user_sgpr_count 6
		.amdhsa_user_sgpr_private_segment_buffer 1
		.amdhsa_user_sgpr_dispatch_ptr 0
		.amdhsa_user_sgpr_queue_ptr 0
		.amdhsa_user_sgpr_kernarg_segment_ptr 1
		.amdhsa_user_sgpr_dispatch_id 0
		.amdhsa_user_sgpr_flat_scratch_init 0
		.amdhsa_user_sgpr_kernarg_preload_length 0
		.amdhsa_user_sgpr_kernarg_preload_offset 0
		.amdhsa_user_sgpr_private_segment_size 0
		.amdhsa_uses_dynamic_stack 0
		.amdhsa_system_sgpr_private_segment_wavefront_offset 0
		.amdhsa_system_sgpr_workgroup_id_x 1
		.amdhsa_system_sgpr_workgroup_id_y 0
		.amdhsa_system_sgpr_workgroup_id_z 0
		.amdhsa_system_sgpr_workgroup_info 0
		.amdhsa_system_vgpr_workitem_id 0
		.amdhsa_next_free_vgpr 1
		.amdhsa_next_free_sgpr 0
		.amdhsa_accum_offset 4
		.amdhsa_reserve_vcc 0
		.amdhsa_reserve_flat_scratch 0
		.amdhsa_float_round_mode_32 0
		.amdhsa_float_round_mode_16_64 0
		.amdhsa_float_denorm_mode_32 3
		.amdhsa_float_denorm_mode_16_64 3
		.amdhsa_dx10_clamp 1
		.amdhsa_ieee_mode 1
		.amdhsa_fp16_overflow 0
		.amdhsa_tg_split 0
		.amdhsa_exception_fp_ieee_invalid_op 0
		.amdhsa_exception_fp_denorm_src 0
		.amdhsa_exception_fp_ieee_div_zero 0
		.amdhsa_exception_fp_ieee_overflow 0
		.amdhsa_exception_fp_ieee_underflow 0
		.amdhsa_exception_fp_ieee_inexact 0
		.amdhsa_exception_int_div_zero 0
	.end_amdhsa_kernel
	.section	.text._ZN7rocprim17ROCPRIM_400000_NS6detail17trampoline_kernelINS0_14default_configENS1_20scan_config_selectorIdEEZZNS1_9scan_implILNS1_25lookback_scan_determinismE0ELb0ELb0ES3_N6thrust23THRUST_200600_302600_NS6detail15normal_iteratorINS9_10device_ptrIdEEEESE_dNS9_4plusIvEEdEEDaPvRmT3_T4_T5_mT6_P12ihipStream_tbENKUlT_T0_E_clISt17integral_constantIbLb1EESU_EEDaSP_SQ_EUlSP_E_NS1_11comp_targetILNS1_3genE10ELNS1_11target_archE1201ELNS1_3gpuE5ELNS1_3repE0EEENS1_30default_config_static_selectorELNS0_4arch9wavefront6targetE1EEEvT1_,"axG",@progbits,_ZN7rocprim17ROCPRIM_400000_NS6detail17trampoline_kernelINS0_14default_configENS1_20scan_config_selectorIdEEZZNS1_9scan_implILNS1_25lookback_scan_determinismE0ELb0ELb0ES3_N6thrust23THRUST_200600_302600_NS6detail15normal_iteratorINS9_10device_ptrIdEEEESE_dNS9_4plusIvEEdEEDaPvRmT3_T4_T5_mT6_P12ihipStream_tbENKUlT_T0_E_clISt17integral_constantIbLb1EESU_EEDaSP_SQ_EUlSP_E_NS1_11comp_targetILNS1_3genE10ELNS1_11target_archE1201ELNS1_3gpuE5ELNS1_3repE0EEENS1_30default_config_static_selectorELNS0_4arch9wavefront6targetE1EEEvT1_,comdat
.Lfunc_end4165:
	.size	_ZN7rocprim17ROCPRIM_400000_NS6detail17trampoline_kernelINS0_14default_configENS1_20scan_config_selectorIdEEZZNS1_9scan_implILNS1_25lookback_scan_determinismE0ELb0ELb0ES3_N6thrust23THRUST_200600_302600_NS6detail15normal_iteratorINS9_10device_ptrIdEEEESE_dNS9_4plusIvEEdEEDaPvRmT3_T4_T5_mT6_P12ihipStream_tbENKUlT_T0_E_clISt17integral_constantIbLb1EESU_EEDaSP_SQ_EUlSP_E_NS1_11comp_targetILNS1_3genE10ELNS1_11target_archE1201ELNS1_3gpuE5ELNS1_3repE0EEENS1_30default_config_static_selectorELNS0_4arch9wavefront6targetE1EEEvT1_, .Lfunc_end4165-_ZN7rocprim17ROCPRIM_400000_NS6detail17trampoline_kernelINS0_14default_configENS1_20scan_config_selectorIdEEZZNS1_9scan_implILNS1_25lookback_scan_determinismE0ELb0ELb0ES3_N6thrust23THRUST_200600_302600_NS6detail15normal_iteratorINS9_10device_ptrIdEEEESE_dNS9_4plusIvEEdEEDaPvRmT3_T4_T5_mT6_P12ihipStream_tbENKUlT_T0_E_clISt17integral_constantIbLb1EESU_EEDaSP_SQ_EUlSP_E_NS1_11comp_targetILNS1_3genE10ELNS1_11target_archE1201ELNS1_3gpuE5ELNS1_3repE0EEENS1_30default_config_static_selectorELNS0_4arch9wavefront6targetE1EEEvT1_
                                        ; -- End function
	.section	.AMDGPU.csdata,"",@progbits
; Kernel info:
; codeLenInByte = 0
; NumSgprs: 4
; NumVgprs: 0
; NumAgprs: 0
; TotalNumVgprs: 0
; ScratchSize: 0
; MemoryBound: 0
; FloatMode: 240
; IeeeMode: 1
; LDSByteSize: 0 bytes/workgroup (compile time only)
; SGPRBlocks: 0
; VGPRBlocks: 0
; NumSGPRsForWavesPerEU: 4
; NumVGPRsForWavesPerEU: 1
; AccumOffset: 4
; Occupancy: 8
; WaveLimiterHint : 0
; COMPUTE_PGM_RSRC2:SCRATCH_EN: 0
; COMPUTE_PGM_RSRC2:USER_SGPR: 6
; COMPUTE_PGM_RSRC2:TRAP_HANDLER: 0
; COMPUTE_PGM_RSRC2:TGID_X_EN: 1
; COMPUTE_PGM_RSRC2:TGID_Y_EN: 0
; COMPUTE_PGM_RSRC2:TGID_Z_EN: 0
; COMPUTE_PGM_RSRC2:TIDIG_COMP_CNT: 0
; COMPUTE_PGM_RSRC3_GFX90A:ACCUM_OFFSET: 0
; COMPUTE_PGM_RSRC3_GFX90A:TG_SPLIT: 0
	.section	.text._ZN7rocprim17ROCPRIM_400000_NS6detail17trampoline_kernelINS0_14default_configENS1_20scan_config_selectorIdEEZZNS1_9scan_implILNS1_25lookback_scan_determinismE0ELb0ELb0ES3_N6thrust23THRUST_200600_302600_NS6detail15normal_iteratorINS9_10device_ptrIdEEEESE_dNS9_4plusIvEEdEEDaPvRmT3_T4_T5_mT6_P12ihipStream_tbENKUlT_T0_E_clISt17integral_constantIbLb1EESU_EEDaSP_SQ_EUlSP_E_NS1_11comp_targetILNS1_3genE10ELNS1_11target_archE1200ELNS1_3gpuE4ELNS1_3repE0EEENS1_30default_config_static_selectorELNS0_4arch9wavefront6targetE1EEEvT1_,"axG",@progbits,_ZN7rocprim17ROCPRIM_400000_NS6detail17trampoline_kernelINS0_14default_configENS1_20scan_config_selectorIdEEZZNS1_9scan_implILNS1_25lookback_scan_determinismE0ELb0ELb0ES3_N6thrust23THRUST_200600_302600_NS6detail15normal_iteratorINS9_10device_ptrIdEEEESE_dNS9_4plusIvEEdEEDaPvRmT3_T4_T5_mT6_P12ihipStream_tbENKUlT_T0_E_clISt17integral_constantIbLb1EESU_EEDaSP_SQ_EUlSP_E_NS1_11comp_targetILNS1_3genE10ELNS1_11target_archE1200ELNS1_3gpuE4ELNS1_3repE0EEENS1_30default_config_static_selectorELNS0_4arch9wavefront6targetE1EEEvT1_,comdat
	.protected	_ZN7rocprim17ROCPRIM_400000_NS6detail17trampoline_kernelINS0_14default_configENS1_20scan_config_selectorIdEEZZNS1_9scan_implILNS1_25lookback_scan_determinismE0ELb0ELb0ES3_N6thrust23THRUST_200600_302600_NS6detail15normal_iteratorINS9_10device_ptrIdEEEESE_dNS9_4plusIvEEdEEDaPvRmT3_T4_T5_mT6_P12ihipStream_tbENKUlT_T0_E_clISt17integral_constantIbLb1EESU_EEDaSP_SQ_EUlSP_E_NS1_11comp_targetILNS1_3genE10ELNS1_11target_archE1200ELNS1_3gpuE4ELNS1_3repE0EEENS1_30default_config_static_selectorELNS0_4arch9wavefront6targetE1EEEvT1_ ; -- Begin function _ZN7rocprim17ROCPRIM_400000_NS6detail17trampoline_kernelINS0_14default_configENS1_20scan_config_selectorIdEEZZNS1_9scan_implILNS1_25lookback_scan_determinismE0ELb0ELb0ES3_N6thrust23THRUST_200600_302600_NS6detail15normal_iteratorINS9_10device_ptrIdEEEESE_dNS9_4plusIvEEdEEDaPvRmT3_T4_T5_mT6_P12ihipStream_tbENKUlT_T0_E_clISt17integral_constantIbLb1EESU_EEDaSP_SQ_EUlSP_E_NS1_11comp_targetILNS1_3genE10ELNS1_11target_archE1200ELNS1_3gpuE4ELNS1_3repE0EEENS1_30default_config_static_selectorELNS0_4arch9wavefront6targetE1EEEvT1_
	.globl	_ZN7rocprim17ROCPRIM_400000_NS6detail17trampoline_kernelINS0_14default_configENS1_20scan_config_selectorIdEEZZNS1_9scan_implILNS1_25lookback_scan_determinismE0ELb0ELb0ES3_N6thrust23THRUST_200600_302600_NS6detail15normal_iteratorINS9_10device_ptrIdEEEESE_dNS9_4plusIvEEdEEDaPvRmT3_T4_T5_mT6_P12ihipStream_tbENKUlT_T0_E_clISt17integral_constantIbLb1EESU_EEDaSP_SQ_EUlSP_E_NS1_11comp_targetILNS1_3genE10ELNS1_11target_archE1200ELNS1_3gpuE4ELNS1_3repE0EEENS1_30default_config_static_selectorELNS0_4arch9wavefront6targetE1EEEvT1_
	.p2align	8
	.type	_ZN7rocprim17ROCPRIM_400000_NS6detail17trampoline_kernelINS0_14default_configENS1_20scan_config_selectorIdEEZZNS1_9scan_implILNS1_25lookback_scan_determinismE0ELb0ELb0ES3_N6thrust23THRUST_200600_302600_NS6detail15normal_iteratorINS9_10device_ptrIdEEEESE_dNS9_4plusIvEEdEEDaPvRmT3_T4_T5_mT6_P12ihipStream_tbENKUlT_T0_E_clISt17integral_constantIbLb1EESU_EEDaSP_SQ_EUlSP_E_NS1_11comp_targetILNS1_3genE10ELNS1_11target_archE1200ELNS1_3gpuE4ELNS1_3repE0EEENS1_30default_config_static_selectorELNS0_4arch9wavefront6targetE1EEEvT1_,@function
_ZN7rocprim17ROCPRIM_400000_NS6detail17trampoline_kernelINS0_14default_configENS1_20scan_config_selectorIdEEZZNS1_9scan_implILNS1_25lookback_scan_determinismE0ELb0ELb0ES3_N6thrust23THRUST_200600_302600_NS6detail15normal_iteratorINS9_10device_ptrIdEEEESE_dNS9_4plusIvEEdEEDaPvRmT3_T4_T5_mT6_P12ihipStream_tbENKUlT_T0_E_clISt17integral_constantIbLb1EESU_EEDaSP_SQ_EUlSP_E_NS1_11comp_targetILNS1_3genE10ELNS1_11target_archE1200ELNS1_3gpuE4ELNS1_3repE0EEENS1_30default_config_static_selectorELNS0_4arch9wavefront6targetE1EEEvT1_: ; @_ZN7rocprim17ROCPRIM_400000_NS6detail17trampoline_kernelINS0_14default_configENS1_20scan_config_selectorIdEEZZNS1_9scan_implILNS1_25lookback_scan_determinismE0ELb0ELb0ES3_N6thrust23THRUST_200600_302600_NS6detail15normal_iteratorINS9_10device_ptrIdEEEESE_dNS9_4plusIvEEdEEDaPvRmT3_T4_T5_mT6_P12ihipStream_tbENKUlT_T0_E_clISt17integral_constantIbLb1EESU_EEDaSP_SQ_EUlSP_E_NS1_11comp_targetILNS1_3genE10ELNS1_11target_archE1200ELNS1_3gpuE4ELNS1_3repE0EEENS1_30default_config_static_selectorELNS0_4arch9wavefront6targetE1EEEvT1_
; %bb.0:
	.section	.rodata,"a",@progbits
	.p2align	6, 0x0
	.amdhsa_kernel _ZN7rocprim17ROCPRIM_400000_NS6detail17trampoline_kernelINS0_14default_configENS1_20scan_config_selectorIdEEZZNS1_9scan_implILNS1_25lookback_scan_determinismE0ELb0ELb0ES3_N6thrust23THRUST_200600_302600_NS6detail15normal_iteratorINS9_10device_ptrIdEEEESE_dNS9_4plusIvEEdEEDaPvRmT3_T4_T5_mT6_P12ihipStream_tbENKUlT_T0_E_clISt17integral_constantIbLb1EESU_EEDaSP_SQ_EUlSP_E_NS1_11comp_targetILNS1_3genE10ELNS1_11target_archE1200ELNS1_3gpuE4ELNS1_3repE0EEENS1_30default_config_static_selectorELNS0_4arch9wavefront6targetE1EEEvT1_
		.amdhsa_group_segment_fixed_size 0
		.amdhsa_private_segment_fixed_size 0
		.amdhsa_kernarg_size 104
		.amdhsa_user_sgpr_count 6
		.amdhsa_user_sgpr_private_segment_buffer 1
		.amdhsa_user_sgpr_dispatch_ptr 0
		.amdhsa_user_sgpr_queue_ptr 0
		.amdhsa_user_sgpr_kernarg_segment_ptr 1
		.amdhsa_user_sgpr_dispatch_id 0
		.amdhsa_user_sgpr_flat_scratch_init 0
		.amdhsa_user_sgpr_kernarg_preload_length 0
		.amdhsa_user_sgpr_kernarg_preload_offset 0
		.amdhsa_user_sgpr_private_segment_size 0
		.amdhsa_uses_dynamic_stack 0
		.amdhsa_system_sgpr_private_segment_wavefront_offset 0
		.amdhsa_system_sgpr_workgroup_id_x 1
		.amdhsa_system_sgpr_workgroup_id_y 0
		.amdhsa_system_sgpr_workgroup_id_z 0
		.amdhsa_system_sgpr_workgroup_info 0
		.amdhsa_system_vgpr_workitem_id 0
		.amdhsa_next_free_vgpr 1
		.amdhsa_next_free_sgpr 0
		.amdhsa_accum_offset 4
		.amdhsa_reserve_vcc 0
		.amdhsa_reserve_flat_scratch 0
		.amdhsa_float_round_mode_32 0
		.amdhsa_float_round_mode_16_64 0
		.amdhsa_float_denorm_mode_32 3
		.amdhsa_float_denorm_mode_16_64 3
		.amdhsa_dx10_clamp 1
		.amdhsa_ieee_mode 1
		.amdhsa_fp16_overflow 0
		.amdhsa_tg_split 0
		.amdhsa_exception_fp_ieee_invalid_op 0
		.amdhsa_exception_fp_denorm_src 0
		.amdhsa_exception_fp_ieee_div_zero 0
		.amdhsa_exception_fp_ieee_overflow 0
		.amdhsa_exception_fp_ieee_underflow 0
		.amdhsa_exception_fp_ieee_inexact 0
		.amdhsa_exception_int_div_zero 0
	.end_amdhsa_kernel
	.section	.text._ZN7rocprim17ROCPRIM_400000_NS6detail17trampoline_kernelINS0_14default_configENS1_20scan_config_selectorIdEEZZNS1_9scan_implILNS1_25lookback_scan_determinismE0ELb0ELb0ES3_N6thrust23THRUST_200600_302600_NS6detail15normal_iteratorINS9_10device_ptrIdEEEESE_dNS9_4plusIvEEdEEDaPvRmT3_T4_T5_mT6_P12ihipStream_tbENKUlT_T0_E_clISt17integral_constantIbLb1EESU_EEDaSP_SQ_EUlSP_E_NS1_11comp_targetILNS1_3genE10ELNS1_11target_archE1200ELNS1_3gpuE4ELNS1_3repE0EEENS1_30default_config_static_selectorELNS0_4arch9wavefront6targetE1EEEvT1_,"axG",@progbits,_ZN7rocprim17ROCPRIM_400000_NS6detail17trampoline_kernelINS0_14default_configENS1_20scan_config_selectorIdEEZZNS1_9scan_implILNS1_25lookback_scan_determinismE0ELb0ELb0ES3_N6thrust23THRUST_200600_302600_NS6detail15normal_iteratorINS9_10device_ptrIdEEEESE_dNS9_4plusIvEEdEEDaPvRmT3_T4_T5_mT6_P12ihipStream_tbENKUlT_T0_E_clISt17integral_constantIbLb1EESU_EEDaSP_SQ_EUlSP_E_NS1_11comp_targetILNS1_3genE10ELNS1_11target_archE1200ELNS1_3gpuE4ELNS1_3repE0EEENS1_30default_config_static_selectorELNS0_4arch9wavefront6targetE1EEEvT1_,comdat
.Lfunc_end4166:
	.size	_ZN7rocprim17ROCPRIM_400000_NS6detail17trampoline_kernelINS0_14default_configENS1_20scan_config_selectorIdEEZZNS1_9scan_implILNS1_25lookback_scan_determinismE0ELb0ELb0ES3_N6thrust23THRUST_200600_302600_NS6detail15normal_iteratorINS9_10device_ptrIdEEEESE_dNS9_4plusIvEEdEEDaPvRmT3_T4_T5_mT6_P12ihipStream_tbENKUlT_T0_E_clISt17integral_constantIbLb1EESU_EEDaSP_SQ_EUlSP_E_NS1_11comp_targetILNS1_3genE10ELNS1_11target_archE1200ELNS1_3gpuE4ELNS1_3repE0EEENS1_30default_config_static_selectorELNS0_4arch9wavefront6targetE1EEEvT1_, .Lfunc_end4166-_ZN7rocprim17ROCPRIM_400000_NS6detail17trampoline_kernelINS0_14default_configENS1_20scan_config_selectorIdEEZZNS1_9scan_implILNS1_25lookback_scan_determinismE0ELb0ELb0ES3_N6thrust23THRUST_200600_302600_NS6detail15normal_iteratorINS9_10device_ptrIdEEEESE_dNS9_4plusIvEEdEEDaPvRmT3_T4_T5_mT6_P12ihipStream_tbENKUlT_T0_E_clISt17integral_constantIbLb1EESU_EEDaSP_SQ_EUlSP_E_NS1_11comp_targetILNS1_3genE10ELNS1_11target_archE1200ELNS1_3gpuE4ELNS1_3repE0EEENS1_30default_config_static_selectorELNS0_4arch9wavefront6targetE1EEEvT1_
                                        ; -- End function
	.section	.AMDGPU.csdata,"",@progbits
; Kernel info:
; codeLenInByte = 0
; NumSgprs: 4
; NumVgprs: 0
; NumAgprs: 0
; TotalNumVgprs: 0
; ScratchSize: 0
; MemoryBound: 0
; FloatMode: 240
; IeeeMode: 1
; LDSByteSize: 0 bytes/workgroup (compile time only)
; SGPRBlocks: 0
; VGPRBlocks: 0
; NumSGPRsForWavesPerEU: 4
; NumVGPRsForWavesPerEU: 1
; AccumOffset: 4
; Occupancy: 8
; WaveLimiterHint : 0
; COMPUTE_PGM_RSRC2:SCRATCH_EN: 0
; COMPUTE_PGM_RSRC2:USER_SGPR: 6
; COMPUTE_PGM_RSRC2:TRAP_HANDLER: 0
; COMPUTE_PGM_RSRC2:TGID_X_EN: 1
; COMPUTE_PGM_RSRC2:TGID_Y_EN: 0
; COMPUTE_PGM_RSRC2:TGID_Z_EN: 0
; COMPUTE_PGM_RSRC2:TIDIG_COMP_CNT: 0
; COMPUTE_PGM_RSRC3_GFX90A:ACCUM_OFFSET: 0
; COMPUTE_PGM_RSRC3_GFX90A:TG_SPLIT: 0
	.section	.text._ZN7rocprim17ROCPRIM_400000_NS6detail17trampoline_kernelINS0_14default_configENS1_20scan_config_selectorIdEEZZNS1_9scan_implILNS1_25lookback_scan_determinismE0ELb0ELb0ES3_N6thrust23THRUST_200600_302600_NS6detail15normal_iteratorINS9_10device_ptrIdEEEESE_dNS9_4plusIvEEdEEDaPvRmT3_T4_T5_mT6_P12ihipStream_tbENKUlT_T0_E_clISt17integral_constantIbLb1EESU_EEDaSP_SQ_EUlSP_E_NS1_11comp_targetILNS1_3genE9ELNS1_11target_archE1100ELNS1_3gpuE3ELNS1_3repE0EEENS1_30default_config_static_selectorELNS0_4arch9wavefront6targetE1EEEvT1_,"axG",@progbits,_ZN7rocprim17ROCPRIM_400000_NS6detail17trampoline_kernelINS0_14default_configENS1_20scan_config_selectorIdEEZZNS1_9scan_implILNS1_25lookback_scan_determinismE0ELb0ELb0ES3_N6thrust23THRUST_200600_302600_NS6detail15normal_iteratorINS9_10device_ptrIdEEEESE_dNS9_4plusIvEEdEEDaPvRmT3_T4_T5_mT6_P12ihipStream_tbENKUlT_T0_E_clISt17integral_constantIbLb1EESU_EEDaSP_SQ_EUlSP_E_NS1_11comp_targetILNS1_3genE9ELNS1_11target_archE1100ELNS1_3gpuE3ELNS1_3repE0EEENS1_30default_config_static_selectorELNS0_4arch9wavefront6targetE1EEEvT1_,comdat
	.protected	_ZN7rocprim17ROCPRIM_400000_NS6detail17trampoline_kernelINS0_14default_configENS1_20scan_config_selectorIdEEZZNS1_9scan_implILNS1_25lookback_scan_determinismE0ELb0ELb0ES3_N6thrust23THRUST_200600_302600_NS6detail15normal_iteratorINS9_10device_ptrIdEEEESE_dNS9_4plusIvEEdEEDaPvRmT3_T4_T5_mT6_P12ihipStream_tbENKUlT_T0_E_clISt17integral_constantIbLb1EESU_EEDaSP_SQ_EUlSP_E_NS1_11comp_targetILNS1_3genE9ELNS1_11target_archE1100ELNS1_3gpuE3ELNS1_3repE0EEENS1_30default_config_static_selectorELNS0_4arch9wavefront6targetE1EEEvT1_ ; -- Begin function _ZN7rocprim17ROCPRIM_400000_NS6detail17trampoline_kernelINS0_14default_configENS1_20scan_config_selectorIdEEZZNS1_9scan_implILNS1_25lookback_scan_determinismE0ELb0ELb0ES3_N6thrust23THRUST_200600_302600_NS6detail15normal_iteratorINS9_10device_ptrIdEEEESE_dNS9_4plusIvEEdEEDaPvRmT3_T4_T5_mT6_P12ihipStream_tbENKUlT_T0_E_clISt17integral_constantIbLb1EESU_EEDaSP_SQ_EUlSP_E_NS1_11comp_targetILNS1_3genE9ELNS1_11target_archE1100ELNS1_3gpuE3ELNS1_3repE0EEENS1_30default_config_static_selectorELNS0_4arch9wavefront6targetE1EEEvT1_
	.globl	_ZN7rocprim17ROCPRIM_400000_NS6detail17trampoline_kernelINS0_14default_configENS1_20scan_config_selectorIdEEZZNS1_9scan_implILNS1_25lookback_scan_determinismE0ELb0ELb0ES3_N6thrust23THRUST_200600_302600_NS6detail15normal_iteratorINS9_10device_ptrIdEEEESE_dNS9_4plusIvEEdEEDaPvRmT3_T4_T5_mT6_P12ihipStream_tbENKUlT_T0_E_clISt17integral_constantIbLb1EESU_EEDaSP_SQ_EUlSP_E_NS1_11comp_targetILNS1_3genE9ELNS1_11target_archE1100ELNS1_3gpuE3ELNS1_3repE0EEENS1_30default_config_static_selectorELNS0_4arch9wavefront6targetE1EEEvT1_
	.p2align	8
	.type	_ZN7rocprim17ROCPRIM_400000_NS6detail17trampoline_kernelINS0_14default_configENS1_20scan_config_selectorIdEEZZNS1_9scan_implILNS1_25lookback_scan_determinismE0ELb0ELb0ES3_N6thrust23THRUST_200600_302600_NS6detail15normal_iteratorINS9_10device_ptrIdEEEESE_dNS9_4plusIvEEdEEDaPvRmT3_T4_T5_mT6_P12ihipStream_tbENKUlT_T0_E_clISt17integral_constantIbLb1EESU_EEDaSP_SQ_EUlSP_E_NS1_11comp_targetILNS1_3genE9ELNS1_11target_archE1100ELNS1_3gpuE3ELNS1_3repE0EEENS1_30default_config_static_selectorELNS0_4arch9wavefront6targetE1EEEvT1_,@function
_ZN7rocprim17ROCPRIM_400000_NS6detail17trampoline_kernelINS0_14default_configENS1_20scan_config_selectorIdEEZZNS1_9scan_implILNS1_25lookback_scan_determinismE0ELb0ELb0ES3_N6thrust23THRUST_200600_302600_NS6detail15normal_iteratorINS9_10device_ptrIdEEEESE_dNS9_4plusIvEEdEEDaPvRmT3_T4_T5_mT6_P12ihipStream_tbENKUlT_T0_E_clISt17integral_constantIbLb1EESU_EEDaSP_SQ_EUlSP_E_NS1_11comp_targetILNS1_3genE9ELNS1_11target_archE1100ELNS1_3gpuE3ELNS1_3repE0EEENS1_30default_config_static_selectorELNS0_4arch9wavefront6targetE1EEEvT1_: ; @_ZN7rocprim17ROCPRIM_400000_NS6detail17trampoline_kernelINS0_14default_configENS1_20scan_config_selectorIdEEZZNS1_9scan_implILNS1_25lookback_scan_determinismE0ELb0ELb0ES3_N6thrust23THRUST_200600_302600_NS6detail15normal_iteratorINS9_10device_ptrIdEEEESE_dNS9_4plusIvEEdEEDaPvRmT3_T4_T5_mT6_P12ihipStream_tbENKUlT_T0_E_clISt17integral_constantIbLb1EESU_EEDaSP_SQ_EUlSP_E_NS1_11comp_targetILNS1_3genE9ELNS1_11target_archE1100ELNS1_3gpuE3ELNS1_3repE0EEENS1_30default_config_static_selectorELNS0_4arch9wavefront6targetE1EEEvT1_
; %bb.0:
	.section	.rodata,"a",@progbits
	.p2align	6, 0x0
	.amdhsa_kernel _ZN7rocprim17ROCPRIM_400000_NS6detail17trampoline_kernelINS0_14default_configENS1_20scan_config_selectorIdEEZZNS1_9scan_implILNS1_25lookback_scan_determinismE0ELb0ELb0ES3_N6thrust23THRUST_200600_302600_NS6detail15normal_iteratorINS9_10device_ptrIdEEEESE_dNS9_4plusIvEEdEEDaPvRmT3_T4_T5_mT6_P12ihipStream_tbENKUlT_T0_E_clISt17integral_constantIbLb1EESU_EEDaSP_SQ_EUlSP_E_NS1_11comp_targetILNS1_3genE9ELNS1_11target_archE1100ELNS1_3gpuE3ELNS1_3repE0EEENS1_30default_config_static_selectorELNS0_4arch9wavefront6targetE1EEEvT1_
		.amdhsa_group_segment_fixed_size 0
		.amdhsa_private_segment_fixed_size 0
		.amdhsa_kernarg_size 104
		.amdhsa_user_sgpr_count 6
		.amdhsa_user_sgpr_private_segment_buffer 1
		.amdhsa_user_sgpr_dispatch_ptr 0
		.amdhsa_user_sgpr_queue_ptr 0
		.amdhsa_user_sgpr_kernarg_segment_ptr 1
		.amdhsa_user_sgpr_dispatch_id 0
		.amdhsa_user_sgpr_flat_scratch_init 0
		.amdhsa_user_sgpr_kernarg_preload_length 0
		.amdhsa_user_sgpr_kernarg_preload_offset 0
		.amdhsa_user_sgpr_private_segment_size 0
		.amdhsa_uses_dynamic_stack 0
		.amdhsa_system_sgpr_private_segment_wavefront_offset 0
		.amdhsa_system_sgpr_workgroup_id_x 1
		.amdhsa_system_sgpr_workgroup_id_y 0
		.amdhsa_system_sgpr_workgroup_id_z 0
		.amdhsa_system_sgpr_workgroup_info 0
		.amdhsa_system_vgpr_workitem_id 0
		.amdhsa_next_free_vgpr 1
		.amdhsa_next_free_sgpr 0
		.amdhsa_accum_offset 4
		.amdhsa_reserve_vcc 0
		.amdhsa_reserve_flat_scratch 0
		.amdhsa_float_round_mode_32 0
		.amdhsa_float_round_mode_16_64 0
		.amdhsa_float_denorm_mode_32 3
		.amdhsa_float_denorm_mode_16_64 3
		.amdhsa_dx10_clamp 1
		.amdhsa_ieee_mode 1
		.amdhsa_fp16_overflow 0
		.amdhsa_tg_split 0
		.amdhsa_exception_fp_ieee_invalid_op 0
		.amdhsa_exception_fp_denorm_src 0
		.amdhsa_exception_fp_ieee_div_zero 0
		.amdhsa_exception_fp_ieee_overflow 0
		.amdhsa_exception_fp_ieee_underflow 0
		.amdhsa_exception_fp_ieee_inexact 0
		.amdhsa_exception_int_div_zero 0
	.end_amdhsa_kernel
	.section	.text._ZN7rocprim17ROCPRIM_400000_NS6detail17trampoline_kernelINS0_14default_configENS1_20scan_config_selectorIdEEZZNS1_9scan_implILNS1_25lookback_scan_determinismE0ELb0ELb0ES3_N6thrust23THRUST_200600_302600_NS6detail15normal_iteratorINS9_10device_ptrIdEEEESE_dNS9_4plusIvEEdEEDaPvRmT3_T4_T5_mT6_P12ihipStream_tbENKUlT_T0_E_clISt17integral_constantIbLb1EESU_EEDaSP_SQ_EUlSP_E_NS1_11comp_targetILNS1_3genE9ELNS1_11target_archE1100ELNS1_3gpuE3ELNS1_3repE0EEENS1_30default_config_static_selectorELNS0_4arch9wavefront6targetE1EEEvT1_,"axG",@progbits,_ZN7rocprim17ROCPRIM_400000_NS6detail17trampoline_kernelINS0_14default_configENS1_20scan_config_selectorIdEEZZNS1_9scan_implILNS1_25lookback_scan_determinismE0ELb0ELb0ES3_N6thrust23THRUST_200600_302600_NS6detail15normal_iteratorINS9_10device_ptrIdEEEESE_dNS9_4plusIvEEdEEDaPvRmT3_T4_T5_mT6_P12ihipStream_tbENKUlT_T0_E_clISt17integral_constantIbLb1EESU_EEDaSP_SQ_EUlSP_E_NS1_11comp_targetILNS1_3genE9ELNS1_11target_archE1100ELNS1_3gpuE3ELNS1_3repE0EEENS1_30default_config_static_selectorELNS0_4arch9wavefront6targetE1EEEvT1_,comdat
.Lfunc_end4167:
	.size	_ZN7rocprim17ROCPRIM_400000_NS6detail17trampoline_kernelINS0_14default_configENS1_20scan_config_selectorIdEEZZNS1_9scan_implILNS1_25lookback_scan_determinismE0ELb0ELb0ES3_N6thrust23THRUST_200600_302600_NS6detail15normal_iteratorINS9_10device_ptrIdEEEESE_dNS9_4plusIvEEdEEDaPvRmT3_T4_T5_mT6_P12ihipStream_tbENKUlT_T0_E_clISt17integral_constantIbLb1EESU_EEDaSP_SQ_EUlSP_E_NS1_11comp_targetILNS1_3genE9ELNS1_11target_archE1100ELNS1_3gpuE3ELNS1_3repE0EEENS1_30default_config_static_selectorELNS0_4arch9wavefront6targetE1EEEvT1_, .Lfunc_end4167-_ZN7rocprim17ROCPRIM_400000_NS6detail17trampoline_kernelINS0_14default_configENS1_20scan_config_selectorIdEEZZNS1_9scan_implILNS1_25lookback_scan_determinismE0ELb0ELb0ES3_N6thrust23THRUST_200600_302600_NS6detail15normal_iteratorINS9_10device_ptrIdEEEESE_dNS9_4plusIvEEdEEDaPvRmT3_T4_T5_mT6_P12ihipStream_tbENKUlT_T0_E_clISt17integral_constantIbLb1EESU_EEDaSP_SQ_EUlSP_E_NS1_11comp_targetILNS1_3genE9ELNS1_11target_archE1100ELNS1_3gpuE3ELNS1_3repE0EEENS1_30default_config_static_selectorELNS0_4arch9wavefront6targetE1EEEvT1_
                                        ; -- End function
	.section	.AMDGPU.csdata,"",@progbits
; Kernel info:
; codeLenInByte = 0
; NumSgprs: 4
; NumVgprs: 0
; NumAgprs: 0
; TotalNumVgprs: 0
; ScratchSize: 0
; MemoryBound: 0
; FloatMode: 240
; IeeeMode: 1
; LDSByteSize: 0 bytes/workgroup (compile time only)
; SGPRBlocks: 0
; VGPRBlocks: 0
; NumSGPRsForWavesPerEU: 4
; NumVGPRsForWavesPerEU: 1
; AccumOffset: 4
; Occupancy: 8
; WaveLimiterHint : 0
; COMPUTE_PGM_RSRC2:SCRATCH_EN: 0
; COMPUTE_PGM_RSRC2:USER_SGPR: 6
; COMPUTE_PGM_RSRC2:TRAP_HANDLER: 0
; COMPUTE_PGM_RSRC2:TGID_X_EN: 1
; COMPUTE_PGM_RSRC2:TGID_Y_EN: 0
; COMPUTE_PGM_RSRC2:TGID_Z_EN: 0
; COMPUTE_PGM_RSRC2:TIDIG_COMP_CNT: 0
; COMPUTE_PGM_RSRC3_GFX90A:ACCUM_OFFSET: 0
; COMPUTE_PGM_RSRC3_GFX90A:TG_SPLIT: 0
	.section	.text._ZN7rocprim17ROCPRIM_400000_NS6detail17trampoline_kernelINS0_14default_configENS1_20scan_config_selectorIdEEZZNS1_9scan_implILNS1_25lookback_scan_determinismE0ELb0ELb0ES3_N6thrust23THRUST_200600_302600_NS6detail15normal_iteratorINS9_10device_ptrIdEEEESE_dNS9_4plusIvEEdEEDaPvRmT3_T4_T5_mT6_P12ihipStream_tbENKUlT_T0_E_clISt17integral_constantIbLb1EESU_EEDaSP_SQ_EUlSP_E_NS1_11comp_targetILNS1_3genE8ELNS1_11target_archE1030ELNS1_3gpuE2ELNS1_3repE0EEENS1_30default_config_static_selectorELNS0_4arch9wavefront6targetE1EEEvT1_,"axG",@progbits,_ZN7rocprim17ROCPRIM_400000_NS6detail17trampoline_kernelINS0_14default_configENS1_20scan_config_selectorIdEEZZNS1_9scan_implILNS1_25lookback_scan_determinismE0ELb0ELb0ES3_N6thrust23THRUST_200600_302600_NS6detail15normal_iteratorINS9_10device_ptrIdEEEESE_dNS9_4plusIvEEdEEDaPvRmT3_T4_T5_mT6_P12ihipStream_tbENKUlT_T0_E_clISt17integral_constantIbLb1EESU_EEDaSP_SQ_EUlSP_E_NS1_11comp_targetILNS1_3genE8ELNS1_11target_archE1030ELNS1_3gpuE2ELNS1_3repE0EEENS1_30default_config_static_selectorELNS0_4arch9wavefront6targetE1EEEvT1_,comdat
	.protected	_ZN7rocprim17ROCPRIM_400000_NS6detail17trampoline_kernelINS0_14default_configENS1_20scan_config_selectorIdEEZZNS1_9scan_implILNS1_25lookback_scan_determinismE0ELb0ELb0ES3_N6thrust23THRUST_200600_302600_NS6detail15normal_iteratorINS9_10device_ptrIdEEEESE_dNS9_4plusIvEEdEEDaPvRmT3_T4_T5_mT6_P12ihipStream_tbENKUlT_T0_E_clISt17integral_constantIbLb1EESU_EEDaSP_SQ_EUlSP_E_NS1_11comp_targetILNS1_3genE8ELNS1_11target_archE1030ELNS1_3gpuE2ELNS1_3repE0EEENS1_30default_config_static_selectorELNS0_4arch9wavefront6targetE1EEEvT1_ ; -- Begin function _ZN7rocprim17ROCPRIM_400000_NS6detail17trampoline_kernelINS0_14default_configENS1_20scan_config_selectorIdEEZZNS1_9scan_implILNS1_25lookback_scan_determinismE0ELb0ELb0ES3_N6thrust23THRUST_200600_302600_NS6detail15normal_iteratorINS9_10device_ptrIdEEEESE_dNS9_4plusIvEEdEEDaPvRmT3_T4_T5_mT6_P12ihipStream_tbENKUlT_T0_E_clISt17integral_constantIbLb1EESU_EEDaSP_SQ_EUlSP_E_NS1_11comp_targetILNS1_3genE8ELNS1_11target_archE1030ELNS1_3gpuE2ELNS1_3repE0EEENS1_30default_config_static_selectorELNS0_4arch9wavefront6targetE1EEEvT1_
	.globl	_ZN7rocprim17ROCPRIM_400000_NS6detail17trampoline_kernelINS0_14default_configENS1_20scan_config_selectorIdEEZZNS1_9scan_implILNS1_25lookback_scan_determinismE0ELb0ELb0ES3_N6thrust23THRUST_200600_302600_NS6detail15normal_iteratorINS9_10device_ptrIdEEEESE_dNS9_4plusIvEEdEEDaPvRmT3_T4_T5_mT6_P12ihipStream_tbENKUlT_T0_E_clISt17integral_constantIbLb1EESU_EEDaSP_SQ_EUlSP_E_NS1_11comp_targetILNS1_3genE8ELNS1_11target_archE1030ELNS1_3gpuE2ELNS1_3repE0EEENS1_30default_config_static_selectorELNS0_4arch9wavefront6targetE1EEEvT1_
	.p2align	8
	.type	_ZN7rocprim17ROCPRIM_400000_NS6detail17trampoline_kernelINS0_14default_configENS1_20scan_config_selectorIdEEZZNS1_9scan_implILNS1_25lookback_scan_determinismE0ELb0ELb0ES3_N6thrust23THRUST_200600_302600_NS6detail15normal_iteratorINS9_10device_ptrIdEEEESE_dNS9_4plusIvEEdEEDaPvRmT3_T4_T5_mT6_P12ihipStream_tbENKUlT_T0_E_clISt17integral_constantIbLb1EESU_EEDaSP_SQ_EUlSP_E_NS1_11comp_targetILNS1_3genE8ELNS1_11target_archE1030ELNS1_3gpuE2ELNS1_3repE0EEENS1_30default_config_static_selectorELNS0_4arch9wavefront6targetE1EEEvT1_,@function
_ZN7rocprim17ROCPRIM_400000_NS6detail17trampoline_kernelINS0_14default_configENS1_20scan_config_selectorIdEEZZNS1_9scan_implILNS1_25lookback_scan_determinismE0ELb0ELb0ES3_N6thrust23THRUST_200600_302600_NS6detail15normal_iteratorINS9_10device_ptrIdEEEESE_dNS9_4plusIvEEdEEDaPvRmT3_T4_T5_mT6_P12ihipStream_tbENKUlT_T0_E_clISt17integral_constantIbLb1EESU_EEDaSP_SQ_EUlSP_E_NS1_11comp_targetILNS1_3genE8ELNS1_11target_archE1030ELNS1_3gpuE2ELNS1_3repE0EEENS1_30default_config_static_selectorELNS0_4arch9wavefront6targetE1EEEvT1_: ; @_ZN7rocprim17ROCPRIM_400000_NS6detail17trampoline_kernelINS0_14default_configENS1_20scan_config_selectorIdEEZZNS1_9scan_implILNS1_25lookback_scan_determinismE0ELb0ELb0ES3_N6thrust23THRUST_200600_302600_NS6detail15normal_iteratorINS9_10device_ptrIdEEEESE_dNS9_4plusIvEEdEEDaPvRmT3_T4_T5_mT6_P12ihipStream_tbENKUlT_T0_E_clISt17integral_constantIbLb1EESU_EEDaSP_SQ_EUlSP_E_NS1_11comp_targetILNS1_3genE8ELNS1_11target_archE1030ELNS1_3gpuE2ELNS1_3repE0EEENS1_30default_config_static_selectorELNS0_4arch9wavefront6targetE1EEEvT1_
; %bb.0:
	.section	.rodata,"a",@progbits
	.p2align	6, 0x0
	.amdhsa_kernel _ZN7rocprim17ROCPRIM_400000_NS6detail17trampoline_kernelINS0_14default_configENS1_20scan_config_selectorIdEEZZNS1_9scan_implILNS1_25lookback_scan_determinismE0ELb0ELb0ES3_N6thrust23THRUST_200600_302600_NS6detail15normal_iteratorINS9_10device_ptrIdEEEESE_dNS9_4plusIvEEdEEDaPvRmT3_T4_T5_mT6_P12ihipStream_tbENKUlT_T0_E_clISt17integral_constantIbLb1EESU_EEDaSP_SQ_EUlSP_E_NS1_11comp_targetILNS1_3genE8ELNS1_11target_archE1030ELNS1_3gpuE2ELNS1_3repE0EEENS1_30default_config_static_selectorELNS0_4arch9wavefront6targetE1EEEvT1_
		.amdhsa_group_segment_fixed_size 0
		.amdhsa_private_segment_fixed_size 0
		.amdhsa_kernarg_size 104
		.amdhsa_user_sgpr_count 6
		.amdhsa_user_sgpr_private_segment_buffer 1
		.amdhsa_user_sgpr_dispatch_ptr 0
		.amdhsa_user_sgpr_queue_ptr 0
		.amdhsa_user_sgpr_kernarg_segment_ptr 1
		.amdhsa_user_sgpr_dispatch_id 0
		.amdhsa_user_sgpr_flat_scratch_init 0
		.amdhsa_user_sgpr_kernarg_preload_length 0
		.amdhsa_user_sgpr_kernarg_preload_offset 0
		.amdhsa_user_sgpr_private_segment_size 0
		.amdhsa_uses_dynamic_stack 0
		.amdhsa_system_sgpr_private_segment_wavefront_offset 0
		.amdhsa_system_sgpr_workgroup_id_x 1
		.amdhsa_system_sgpr_workgroup_id_y 0
		.amdhsa_system_sgpr_workgroup_id_z 0
		.amdhsa_system_sgpr_workgroup_info 0
		.amdhsa_system_vgpr_workitem_id 0
		.amdhsa_next_free_vgpr 1
		.amdhsa_next_free_sgpr 0
		.amdhsa_accum_offset 4
		.amdhsa_reserve_vcc 0
		.amdhsa_reserve_flat_scratch 0
		.amdhsa_float_round_mode_32 0
		.amdhsa_float_round_mode_16_64 0
		.amdhsa_float_denorm_mode_32 3
		.amdhsa_float_denorm_mode_16_64 3
		.amdhsa_dx10_clamp 1
		.amdhsa_ieee_mode 1
		.amdhsa_fp16_overflow 0
		.amdhsa_tg_split 0
		.amdhsa_exception_fp_ieee_invalid_op 0
		.amdhsa_exception_fp_denorm_src 0
		.amdhsa_exception_fp_ieee_div_zero 0
		.amdhsa_exception_fp_ieee_overflow 0
		.amdhsa_exception_fp_ieee_underflow 0
		.amdhsa_exception_fp_ieee_inexact 0
		.amdhsa_exception_int_div_zero 0
	.end_amdhsa_kernel
	.section	.text._ZN7rocprim17ROCPRIM_400000_NS6detail17trampoline_kernelINS0_14default_configENS1_20scan_config_selectorIdEEZZNS1_9scan_implILNS1_25lookback_scan_determinismE0ELb0ELb0ES3_N6thrust23THRUST_200600_302600_NS6detail15normal_iteratorINS9_10device_ptrIdEEEESE_dNS9_4plusIvEEdEEDaPvRmT3_T4_T5_mT6_P12ihipStream_tbENKUlT_T0_E_clISt17integral_constantIbLb1EESU_EEDaSP_SQ_EUlSP_E_NS1_11comp_targetILNS1_3genE8ELNS1_11target_archE1030ELNS1_3gpuE2ELNS1_3repE0EEENS1_30default_config_static_selectorELNS0_4arch9wavefront6targetE1EEEvT1_,"axG",@progbits,_ZN7rocprim17ROCPRIM_400000_NS6detail17trampoline_kernelINS0_14default_configENS1_20scan_config_selectorIdEEZZNS1_9scan_implILNS1_25lookback_scan_determinismE0ELb0ELb0ES3_N6thrust23THRUST_200600_302600_NS6detail15normal_iteratorINS9_10device_ptrIdEEEESE_dNS9_4plusIvEEdEEDaPvRmT3_T4_T5_mT6_P12ihipStream_tbENKUlT_T0_E_clISt17integral_constantIbLb1EESU_EEDaSP_SQ_EUlSP_E_NS1_11comp_targetILNS1_3genE8ELNS1_11target_archE1030ELNS1_3gpuE2ELNS1_3repE0EEENS1_30default_config_static_selectorELNS0_4arch9wavefront6targetE1EEEvT1_,comdat
.Lfunc_end4168:
	.size	_ZN7rocprim17ROCPRIM_400000_NS6detail17trampoline_kernelINS0_14default_configENS1_20scan_config_selectorIdEEZZNS1_9scan_implILNS1_25lookback_scan_determinismE0ELb0ELb0ES3_N6thrust23THRUST_200600_302600_NS6detail15normal_iteratorINS9_10device_ptrIdEEEESE_dNS9_4plusIvEEdEEDaPvRmT3_T4_T5_mT6_P12ihipStream_tbENKUlT_T0_E_clISt17integral_constantIbLb1EESU_EEDaSP_SQ_EUlSP_E_NS1_11comp_targetILNS1_3genE8ELNS1_11target_archE1030ELNS1_3gpuE2ELNS1_3repE0EEENS1_30default_config_static_selectorELNS0_4arch9wavefront6targetE1EEEvT1_, .Lfunc_end4168-_ZN7rocprim17ROCPRIM_400000_NS6detail17trampoline_kernelINS0_14default_configENS1_20scan_config_selectorIdEEZZNS1_9scan_implILNS1_25lookback_scan_determinismE0ELb0ELb0ES3_N6thrust23THRUST_200600_302600_NS6detail15normal_iteratorINS9_10device_ptrIdEEEESE_dNS9_4plusIvEEdEEDaPvRmT3_T4_T5_mT6_P12ihipStream_tbENKUlT_T0_E_clISt17integral_constantIbLb1EESU_EEDaSP_SQ_EUlSP_E_NS1_11comp_targetILNS1_3genE8ELNS1_11target_archE1030ELNS1_3gpuE2ELNS1_3repE0EEENS1_30default_config_static_selectorELNS0_4arch9wavefront6targetE1EEEvT1_
                                        ; -- End function
	.section	.AMDGPU.csdata,"",@progbits
; Kernel info:
; codeLenInByte = 0
; NumSgprs: 4
; NumVgprs: 0
; NumAgprs: 0
; TotalNumVgprs: 0
; ScratchSize: 0
; MemoryBound: 0
; FloatMode: 240
; IeeeMode: 1
; LDSByteSize: 0 bytes/workgroup (compile time only)
; SGPRBlocks: 0
; VGPRBlocks: 0
; NumSGPRsForWavesPerEU: 4
; NumVGPRsForWavesPerEU: 1
; AccumOffset: 4
; Occupancy: 8
; WaveLimiterHint : 0
; COMPUTE_PGM_RSRC2:SCRATCH_EN: 0
; COMPUTE_PGM_RSRC2:USER_SGPR: 6
; COMPUTE_PGM_RSRC2:TRAP_HANDLER: 0
; COMPUTE_PGM_RSRC2:TGID_X_EN: 1
; COMPUTE_PGM_RSRC2:TGID_Y_EN: 0
; COMPUTE_PGM_RSRC2:TGID_Z_EN: 0
; COMPUTE_PGM_RSRC2:TIDIG_COMP_CNT: 0
; COMPUTE_PGM_RSRC3_GFX90A:ACCUM_OFFSET: 0
; COMPUTE_PGM_RSRC3_GFX90A:TG_SPLIT: 0
	.section	.text._ZN7rocprim17ROCPRIM_400000_NS6detail17trampoline_kernelINS0_14default_configENS1_20scan_config_selectorIdEEZZNS1_9scan_implILNS1_25lookback_scan_determinismE0ELb0ELb0ES3_N6thrust23THRUST_200600_302600_NS6detail15normal_iteratorINS9_10device_ptrIdEEEESE_dNS9_4plusIvEEdEEDaPvRmT3_T4_T5_mT6_P12ihipStream_tbENKUlT_T0_E_clISt17integral_constantIbLb1EESU_EEDaSP_SQ_EUlSP_E0_NS1_11comp_targetILNS1_3genE0ELNS1_11target_archE4294967295ELNS1_3gpuE0ELNS1_3repE0EEENS1_30default_config_static_selectorELNS0_4arch9wavefront6targetE1EEEvT1_,"axG",@progbits,_ZN7rocprim17ROCPRIM_400000_NS6detail17trampoline_kernelINS0_14default_configENS1_20scan_config_selectorIdEEZZNS1_9scan_implILNS1_25lookback_scan_determinismE0ELb0ELb0ES3_N6thrust23THRUST_200600_302600_NS6detail15normal_iteratorINS9_10device_ptrIdEEEESE_dNS9_4plusIvEEdEEDaPvRmT3_T4_T5_mT6_P12ihipStream_tbENKUlT_T0_E_clISt17integral_constantIbLb1EESU_EEDaSP_SQ_EUlSP_E0_NS1_11comp_targetILNS1_3genE0ELNS1_11target_archE4294967295ELNS1_3gpuE0ELNS1_3repE0EEENS1_30default_config_static_selectorELNS0_4arch9wavefront6targetE1EEEvT1_,comdat
	.protected	_ZN7rocprim17ROCPRIM_400000_NS6detail17trampoline_kernelINS0_14default_configENS1_20scan_config_selectorIdEEZZNS1_9scan_implILNS1_25lookback_scan_determinismE0ELb0ELb0ES3_N6thrust23THRUST_200600_302600_NS6detail15normal_iteratorINS9_10device_ptrIdEEEESE_dNS9_4plusIvEEdEEDaPvRmT3_T4_T5_mT6_P12ihipStream_tbENKUlT_T0_E_clISt17integral_constantIbLb1EESU_EEDaSP_SQ_EUlSP_E0_NS1_11comp_targetILNS1_3genE0ELNS1_11target_archE4294967295ELNS1_3gpuE0ELNS1_3repE0EEENS1_30default_config_static_selectorELNS0_4arch9wavefront6targetE1EEEvT1_ ; -- Begin function _ZN7rocprim17ROCPRIM_400000_NS6detail17trampoline_kernelINS0_14default_configENS1_20scan_config_selectorIdEEZZNS1_9scan_implILNS1_25lookback_scan_determinismE0ELb0ELb0ES3_N6thrust23THRUST_200600_302600_NS6detail15normal_iteratorINS9_10device_ptrIdEEEESE_dNS9_4plusIvEEdEEDaPvRmT3_T4_T5_mT6_P12ihipStream_tbENKUlT_T0_E_clISt17integral_constantIbLb1EESU_EEDaSP_SQ_EUlSP_E0_NS1_11comp_targetILNS1_3genE0ELNS1_11target_archE4294967295ELNS1_3gpuE0ELNS1_3repE0EEENS1_30default_config_static_selectorELNS0_4arch9wavefront6targetE1EEEvT1_
	.globl	_ZN7rocprim17ROCPRIM_400000_NS6detail17trampoline_kernelINS0_14default_configENS1_20scan_config_selectorIdEEZZNS1_9scan_implILNS1_25lookback_scan_determinismE0ELb0ELb0ES3_N6thrust23THRUST_200600_302600_NS6detail15normal_iteratorINS9_10device_ptrIdEEEESE_dNS9_4plusIvEEdEEDaPvRmT3_T4_T5_mT6_P12ihipStream_tbENKUlT_T0_E_clISt17integral_constantIbLb1EESU_EEDaSP_SQ_EUlSP_E0_NS1_11comp_targetILNS1_3genE0ELNS1_11target_archE4294967295ELNS1_3gpuE0ELNS1_3repE0EEENS1_30default_config_static_selectorELNS0_4arch9wavefront6targetE1EEEvT1_
	.p2align	8
	.type	_ZN7rocprim17ROCPRIM_400000_NS6detail17trampoline_kernelINS0_14default_configENS1_20scan_config_selectorIdEEZZNS1_9scan_implILNS1_25lookback_scan_determinismE0ELb0ELb0ES3_N6thrust23THRUST_200600_302600_NS6detail15normal_iteratorINS9_10device_ptrIdEEEESE_dNS9_4plusIvEEdEEDaPvRmT3_T4_T5_mT6_P12ihipStream_tbENKUlT_T0_E_clISt17integral_constantIbLb1EESU_EEDaSP_SQ_EUlSP_E0_NS1_11comp_targetILNS1_3genE0ELNS1_11target_archE4294967295ELNS1_3gpuE0ELNS1_3repE0EEENS1_30default_config_static_selectorELNS0_4arch9wavefront6targetE1EEEvT1_,@function
_ZN7rocprim17ROCPRIM_400000_NS6detail17trampoline_kernelINS0_14default_configENS1_20scan_config_selectorIdEEZZNS1_9scan_implILNS1_25lookback_scan_determinismE0ELb0ELb0ES3_N6thrust23THRUST_200600_302600_NS6detail15normal_iteratorINS9_10device_ptrIdEEEESE_dNS9_4plusIvEEdEEDaPvRmT3_T4_T5_mT6_P12ihipStream_tbENKUlT_T0_E_clISt17integral_constantIbLb1EESU_EEDaSP_SQ_EUlSP_E0_NS1_11comp_targetILNS1_3genE0ELNS1_11target_archE4294967295ELNS1_3gpuE0ELNS1_3repE0EEENS1_30default_config_static_selectorELNS0_4arch9wavefront6targetE1EEEvT1_: ; @_ZN7rocprim17ROCPRIM_400000_NS6detail17trampoline_kernelINS0_14default_configENS1_20scan_config_selectorIdEEZZNS1_9scan_implILNS1_25lookback_scan_determinismE0ELb0ELb0ES3_N6thrust23THRUST_200600_302600_NS6detail15normal_iteratorINS9_10device_ptrIdEEEESE_dNS9_4plusIvEEdEEDaPvRmT3_T4_T5_mT6_P12ihipStream_tbENKUlT_T0_E_clISt17integral_constantIbLb1EESU_EEDaSP_SQ_EUlSP_E0_NS1_11comp_targetILNS1_3genE0ELNS1_11target_archE4294967295ELNS1_3gpuE0ELNS1_3repE0EEENS1_30default_config_static_selectorELNS0_4arch9wavefront6targetE1EEEvT1_
; %bb.0:
	.section	.rodata,"a",@progbits
	.p2align	6, 0x0
	.amdhsa_kernel _ZN7rocprim17ROCPRIM_400000_NS6detail17trampoline_kernelINS0_14default_configENS1_20scan_config_selectorIdEEZZNS1_9scan_implILNS1_25lookback_scan_determinismE0ELb0ELb0ES3_N6thrust23THRUST_200600_302600_NS6detail15normal_iteratorINS9_10device_ptrIdEEEESE_dNS9_4plusIvEEdEEDaPvRmT3_T4_T5_mT6_P12ihipStream_tbENKUlT_T0_E_clISt17integral_constantIbLb1EESU_EEDaSP_SQ_EUlSP_E0_NS1_11comp_targetILNS1_3genE0ELNS1_11target_archE4294967295ELNS1_3gpuE0ELNS1_3repE0EEENS1_30default_config_static_selectorELNS0_4arch9wavefront6targetE1EEEvT1_
		.amdhsa_group_segment_fixed_size 0
		.amdhsa_private_segment_fixed_size 0
		.amdhsa_kernarg_size 40
		.amdhsa_user_sgpr_count 6
		.amdhsa_user_sgpr_private_segment_buffer 1
		.amdhsa_user_sgpr_dispatch_ptr 0
		.amdhsa_user_sgpr_queue_ptr 0
		.amdhsa_user_sgpr_kernarg_segment_ptr 1
		.amdhsa_user_sgpr_dispatch_id 0
		.amdhsa_user_sgpr_flat_scratch_init 0
		.amdhsa_user_sgpr_kernarg_preload_length 0
		.amdhsa_user_sgpr_kernarg_preload_offset 0
		.amdhsa_user_sgpr_private_segment_size 0
		.amdhsa_uses_dynamic_stack 0
		.amdhsa_system_sgpr_private_segment_wavefront_offset 0
		.amdhsa_system_sgpr_workgroup_id_x 1
		.amdhsa_system_sgpr_workgroup_id_y 0
		.amdhsa_system_sgpr_workgroup_id_z 0
		.amdhsa_system_sgpr_workgroup_info 0
		.amdhsa_system_vgpr_workitem_id 0
		.amdhsa_next_free_vgpr 1
		.amdhsa_next_free_sgpr 0
		.amdhsa_accum_offset 4
		.amdhsa_reserve_vcc 0
		.amdhsa_reserve_flat_scratch 0
		.amdhsa_float_round_mode_32 0
		.amdhsa_float_round_mode_16_64 0
		.amdhsa_float_denorm_mode_32 3
		.amdhsa_float_denorm_mode_16_64 3
		.amdhsa_dx10_clamp 1
		.amdhsa_ieee_mode 1
		.amdhsa_fp16_overflow 0
		.amdhsa_tg_split 0
		.amdhsa_exception_fp_ieee_invalid_op 0
		.amdhsa_exception_fp_denorm_src 0
		.amdhsa_exception_fp_ieee_div_zero 0
		.amdhsa_exception_fp_ieee_overflow 0
		.amdhsa_exception_fp_ieee_underflow 0
		.amdhsa_exception_fp_ieee_inexact 0
		.amdhsa_exception_int_div_zero 0
	.end_amdhsa_kernel
	.section	.text._ZN7rocprim17ROCPRIM_400000_NS6detail17trampoline_kernelINS0_14default_configENS1_20scan_config_selectorIdEEZZNS1_9scan_implILNS1_25lookback_scan_determinismE0ELb0ELb0ES3_N6thrust23THRUST_200600_302600_NS6detail15normal_iteratorINS9_10device_ptrIdEEEESE_dNS9_4plusIvEEdEEDaPvRmT3_T4_T5_mT6_P12ihipStream_tbENKUlT_T0_E_clISt17integral_constantIbLb1EESU_EEDaSP_SQ_EUlSP_E0_NS1_11comp_targetILNS1_3genE0ELNS1_11target_archE4294967295ELNS1_3gpuE0ELNS1_3repE0EEENS1_30default_config_static_selectorELNS0_4arch9wavefront6targetE1EEEvT1_,"axG",@progbits,_ZN7rocprim17ROCPRIM_400000_NS6detail17trampoline_kernelINS0_14default_configENS1_20scan_config_selectorIdEEZZNS1_9scan_implILNS1_25lookback_scan_determinismE0ELb0ELb0ES3_N6thrust23THRUST_200600_302600_NS6detail15normal_iteratorINS9_10device_ptrIdEEEESE_dNS9_4plusIvEEdEEDaPvRmT3_T4_T5_mT6_P12ihipStream_tbENKUlT_T0_E_clISt17integral_constantIbLb1EESU_EEDaSP_SQ_EUlSP_E0_NS1_11comp_targetILNS1_3genE0ELNS1_11target_archE4294967295ELNS1_3gpuE0ELNS1_3repE0EEENS1_30default_config_static_selectorELNS0_4arch9wavefront6targetE1EEEvT1_,comdat
.Lfunc_end4169:
	.size	_ZN7rocprim17ROCPRIM_400000_NS6detail17trampoline_kernelINS0_14default_configENS1_20scan_config_selectorIdEEZZNS1_9scan_implILNS1_25lookback_scan_determinismE0ELb0ELb0ES3_N6thrust23THRUST_200600_302600_NS6detail15normal_iteratorINS9_10device_ptrIdEEEESE_dNS9_4plusIvEEdEEDaPvRmT3_T4_T5_mT6_P12ihipStream_tbENKUlT_T0_E_clISt17integral_constantIbLb1EESU_EEDaSP_SQ_EUlSP_E0_NS1_11comp_targetILNS1_3genE0ELNS1_11target_archE4294967295ELNS1_3gpuE0ELNS1_3repE0EEENS1_30default_config_static_selectorELNS0_4arch9wavefront6targetE1EEEvT1_, .Lfunc_end4169-_ZN7rocprim17ROCPRIM_400000_NS6detail17trampoline_kernelINS0_14default_configENS1_20scan_config_selectorIdEEZZNS1_9scan_implILNS1_25lookback_scan_determinismE0ELb0ELb0ES3_N6thrust23THRUST_200600_302600_NS6detail15normal_iteratorINS9_10device_ptrIdEEEESE_dNS9_4plusIvEEdEEDaPvRmT3_T4_T5_mT6_P12ihipStream_tbENKUlT_T0_E_clISt17integral_constantIbLb1EESU_EEDaSP_SQ_EUlSP_E0_NS1_11comp_targetILNS1_3genE0ELNS1_11target_archE4294967295ELNS1_3gpuE0ELNS1_3repE0EEENS1_30default_config_static_selectorELNS0_4arch9wavefront6targetE1EEEvT1_
                                        ; -- End function
	.section	.AMDGPU.csdata,"",@progbits
; Kernel info:
; codeLenInByte = 0
; NumSgprs: 4
; NumVgprs: 0
; NumAgprs: 0
; TotalNumVgprs: 0
; ScratchSize: 0
; MemoryBound: 0
; FloatMode: 240
; IeeeMode: 1
; LDSByteSize: 0 bytes/workgroup (compile time only)
; SGPRBlocks: 0
; VGPRBlocks: 0
; NumSGPRsForWavesPerEU: 4
; NumVGPRsForWavesPerEU: 1
; AccumOffset: 4
; Occupancy: 8
; WaveLimiterHint : 0
; COMPUTE_PGM_RSRC2:SCRATCH_EN: 0
; COMPUTE_PGM_RSRC2:USER_SGPR: 6
; COMPUTE_PGM_RSRC2:TRAP_HANDLER: 0
; COMPUTE_PGM_RSRC2:TGID_X_EN: 1
; COMPUTE_PGM_RSRC2:TGID_Y_EN: 0
; COMPUTE_PGM_RSRC2:TGID_Z_EN: 0
; COMPUTE_PGM_RSRC2:TIDIG_COMP_CNT: 0
; COMPUTE_PGM_RSRC3_GFX90A:ACCUM_OFFSET: 0
; COMPUTE_PGM_RSRC3_GFX90A:TG_SPLIT: 0
	.section	.text._ZN7rocprim17ROCPRIM_400000_NS6detail17trampoline_kernelINS0_14default_configENS1_20scan_config_selectorIdEEZZNS1_9scan_implILNS1_25lookback_scan_determinismE0ELb0ELb0ES3_N6thrust23THRUST_200600_302600_NS6detail15normal_iteratorINS9_10device_ptrIdEEEESE_dNS9_4plusIvEEdEEDaPvRmT3_T4_T5_mT6_P12ihipStream_tbENKUlT_T0_E_clISt17integral_constantIbLb1EESU_EEDaSP_SQ_EUlSP_E0_NS1_11comp_targetILNS1_3genE5ELNS1_11target_archE942ELNS1_3gpuE9ELNS1_3repE0EEENS1_30default_config_static_selectorELNS0_4arch9wavefront6targetE1EEEvT1_,"axG",@progbits,_ZN7rocprim17ROCPRIM_400000_NS6detail17trampoline_kernelINS0_14default_configENS1_20scan_config_selectorIdEEZZNS1_9scan_implILNS1_25lookback_scan_determinismE0ELb0ELb0ES3_N6thrust23THRUST_200600_302600_NS6detail15normal_iteratorINS9_10device_ptrIdEEEESE_dNS9_4plusIvEEdEEDaPvRmT3_T4_T5_mT6_P12ihipStream_tbENKUlT_T0_E_clISt17integral_constantIbLb1EESU_EEDaSP_SQ_EUlSP_E0_NS1_11comp_targetILNS1_3genE5ELNS1_11target_archE942ELNS1_3gpuE9ELNS1_3repE0EEENS1_30default_config_static_selectorELNS0_4arch9wavefront6targetE1EEEvT1_,comdat
	.protected	_ZN7rocprim17ROCPRIM_400000_NS6detail17trampoline_kernelINS0_14default_configENS1_20scan_config_selectorIdEEZZNS1_9scan_implILNS1_25lookback_scan_determinismE0ELb0ELb0ES3_N6thrust23THRUST_200600_302600_NS6detail15normal_iteratorINS9_10device_ptrIdEEEESE_dNS9_4plusIvEEdEEDaPvRmT3_T4_T5_mT6_P12ihipStream_tbENKUlT_T0_E_clISt17integral_constantIbLb1EESU_EEDaSP_SQ_EUlSP_E0_NS1_11comp_targetILNS1_3genE5ELNS1_11target_archE942ELNS1_3gpuE9ELNS1_3repE0EEENS1_30default_config_static_selectorELNS0_4arch9wavefront6targetE1EEEvT1_ ; -- Begin function _ZN7rocprim17ROCPRIM_400000_NS6detail17trampoline_kernelINS0_14default_configENS1_20scan_config_selectorIdEEZZNS1_9scan_implILNS1_25lookback_scan_determinismE0ELb0ELb0ES3_N6thrust23THRUST_200600_302600_NS6detail15normal_iteratorINS9_10device_ptrIdEEEESE_dNS9_4plusIvEEdEEDaPvRmT3_T4_T5_mT6_P12ihipStream_tbENKUlT_T0_E_clISt17integral_constantIbLb1EESU_EEDaSP_SQ_EUlSP_E0_NS1_11comp_targetILNS1_3genE5ELNS1_11target_archE942ELNS1_3gpuE9ELNS1_3repE0EEENS1_30default_config_static_selectorELNS0_4arch9wavefront6targetE1EEEvT1_
	.globl	_ZN7rocprim17ROCPRIM_400000_NS6detail17trampoline_kernelINS0_14default_configENS1_20scan_config_selectorIdEEZZNS1_9scan_implILNS1_25lookback_scan_determinismE0ELb0ELb0ES3_N6thrust23THRUST_200600_302600_NS6detail15normal_iteratorINS9_10device_ptrIdEEEESE_dNS9_4plusIvEEdEEDaPvRmT3_T4_T5_mT6_P12ihipStream_tbENKUlT_T0_E_clISt17integral_constantIbLb1EESU_EEDaSP_SQ_EUlSP_E0_NS1_11comp_targetILNS1_3genE5ELNS1_11target_archE942ELNS1_3gpuE9ELNS1_3repE0EEENS1_30default_config_static_selectorELNS0_4arch9wavefront6targetE1EEEvT1_
	.p2align	8
	.type	_ZN7rocprim17ROCPRIM_400000_NS6detail17trampoline_kernelINS0_14default_configENS1_20scan_config_selectorIdEEZZNS1_9scan_implILNS1_25lookback_scan_determinismE0ELb0ELb0ES3_N6thrust23THRUST_200600_302600_NS6detail15normal_iteratorINS9_10device_ptrIdEEEESE_dNS9_4plusIvEEdEEDaPvRmT3_T4_T5_mT6_P12ihipStream_tbENKUlT_T0_E_clISt17integral_constantIbLb1EESU_EEDaSP_SQ_EUlSP_E0_NS1_11comp_targetILNS1_3genE5ELNS1_11target_archE942ELNS1_3gpuE9ELNS1_3repE0EEENS1_30default_config_static_selectorELNS0_4arch9wavefront6targetE1EEEvT1_,@function
_ZN7rocprim17ROCPRIM_400000_NS6detail17trampoline_kernelINS0_14default_configENS1_20scan_config_selectorIdEEZZNS1_9scan_implILNS1_25lookback_scan_determinismE0ELb0ELb0ES3_N6thrust23THRUST_200600_302600_NS6detail15normal_iteratorINS9_10device_ptrIdEEEESE_dNS9_4plusIvEEdEEDaPvRmT3_T4_T5_mT6_P12ihipStream_tbENKUlT_T0_E_clISt17integral_constantIbLb1EESU_EEDaSP_SQ_EUlSP_E0_NS1_11comp_targetILNS1_3genE5ELNS1_11target_archE942ELNS1_3gpuE9ELNS1_3repE0EEENS1_30default_config_static_selectorELNS0_4arch9wavefront6targetE1EEEvT1_: ; @_ZN7rocprim17ROCPRIM_400000_NS6detail17trampoline_kernelINS0_14default_configENS1_20scan_config_selectorIdEEZZNS1_9scan_implILNS1_25lookback_scan_determinismE0ELb0ELb0ES3_N6thrust23THRUST_200600_302600_NS6detail15normal_iteratorINS9_10device_ptrIdEEEESE_dNS9_4plusIvEEdEEDaPvRmT3_T4_T5_mT6_P12ihipStream_tbENKUlT_T0_E_clISt17integral_constantIbLb1EESU_EEDaSP_SQ_EUlSP_E0_NS1_11comp_targetILNS1_3genE5ELNS1_11target_archE942ELNS1_3gpuE9ELNS1_3repE0EEENS1_30default_config_static_selectorELNS0_4arch9wavefront6targetE1EEEvT1_
; %bb.0:
	.section	.rodata,"a",@progbits
	.p2align	6, 0x0
	.amdhsa_kernel _ZN7rocprim17ROCPRIM_400000_NS6detail17trampoline_kernelINS0_14default_configENS1_20scan_config_selectorIdEEZZNS1_9scan_implILNS1_25lookback_scan_determinismE0ELb0ELb0ES3_N6thrust23THRUST_200600_302600_NS6detail15normal_iteratorINS9_10device_ptrIdEEEESE_dNS9_4plusIvEEdEEDaPvRmT3_T4_T5_mT6_P12ihipStream_tbENKUlT_T0_E_clISt17integral_constantIbLb1EESU_EEDaSP_SQ_EUlSP_E0_NS1_11comp_targetILNS1_3genE5ELNS1_11target_archE942ELNS1_3gpuE9ELNS1_3repE0EEENS1_30default_config_static_selectorELNS0_4arch9wavefront6targetE1EEEvT1_
		.amdhsa_group_segment_fixed_size 0
		.amdhsa_private_segment_fixed_size 0
		.amdhsa_kernarg_size 40
		.amdhsa_user_sgpr_count 6
		.amdhsa_user_sgpr_private_segment_buffer 1
		.amdhsa_user_sgpr_dispatch_ptr 0
		.amdhsa_user_sgpr_queue_ptr 0
		.amdhsa_user_sgpr_kernarg_segment_ptr 1
		.amdhsa_user_sgpr_dispatch_id 0
		.amdhsa_user_sgpr_flat_scratch_init 0
		.amdhsa_user_sgpr_kernarg_preload_length 0
		.amdhsa_user_sgpr_kernarg_preload_offset 0
		.amdhsa_user_sgpr_private_segment_size 0
		.amdhsa_uses_dynamic_stack 0
		.amdhsa_system_sgpr_private_segment_wavefront_offset 0
		.amdhsa_system_sgpr_workgroup_id_x 1
		.amdhsa_system_sgpr_workgroup_id_y 0
		.amdhsa_system_sgpr_workgroup_id_z 0
		.amdhsa_system_sgpr_workgroup_info 0
		.amdhsa_system_vgpr_workitem_id 0
		.amdhsa_next_free_vgpr 1
		.amdhsa_next_free_sgpr 0
		.amdhsa_accum_offset 4
		.amdhsa_reserve_vcc 0
		.amdhsa_reserve_flat_scratch 0
		.amdhsa_float_round_mode_32 0
		.amdhsa_float_round_mode_16_64 0
		.amdhsa_float_denorm_mode_32 3
		.amdhsa_float_denorm_mode_16_64 3
		.amdhsa_dx10_clamp 1
		.amdhsa_ieee_mode 1
		.amdhsa_fp16_overflow 0
		.amdhsa_tg_split 0
		.amdhsa_exception_fp_ieee_invalid_op 0
		.amdhsa_exception_fp_denorm_src 0
		.amdhsa_exception_fp_ieee_div_zero 0
		.amdhsa_exception_fp_ieee_overflow 0
		.amdhsa_exception_fp_ieee_underflow 0
		.amdhsa_exception_fp_ieee_inexact 0
		.amdhsa_exception_int_div_zero 0
	.end_amdhsa_kernel
	.section	.text._ZN7rocprim17ROCPRIM_400000_NS6detail17trampoline_kernelINS0_14default_configENS1_20scan_config_selectorIdEEZZNS1_9scan_implILNS1_25lookback_scan_determinismE0ELb0ELb0ES3_N6thrust23THRUST_200600_302600_NS6detail15normal_iteratorINS9_10device_ptrIdEEEESE_dNS9_4plusIvEEdEEDaPvRmT3_T4_T5_mT6_P12ihipStream_tbENKUlT_T0_E_clISt17integral_constantIbLb1EESU_EEDaSP_SQ_EUlSP_E0_NS1_11comp_targetILNS1_3genE5ELNS1_11target_archE942ELNS1_3gpuE9ELNS1_3repE0EEENS1_30default_config_static_selectorELNS0_4arch9wavefront6targetE1EEEvT1_,"axG",@progbits,_ZN7rocprim17ROCPRIM_400000_NS6detail17trampoline_kernelINS0_14default_configENS1_20scan_config_selectorIdEEZZNS1_9scan_implILNS1_25lookback_scan_determinismE0ELb0ELb0ES3_N6thrust23THRUST_200600_302600_NS6detail15normal_iteratorINS9_10device_ptrIdEEEESE_dNS9_4plusIvEEdEEDaPvRmT3_T4_T5_mT6_P12ihipStream_tbENKUlT_T0_E_clISt17integral_constantIbLb1EESU_EEDaSP_SQ_EUlSP_E0_NS1_11comp_targetILNS1_3genE5ELNS1_11target_archE942ELNS1_3gpuE9ELNS1_3repE0EEENS1_30default_config_static_selectorELNS0_4arch9wavefront6targetE1EEEvT1_,comdat
.Lfunc_end4170:
	.size	_ZN7rocprim17ROCPRIM_400000_NS6detail17trampoline_kernelINS0_14default_configENS1_20scan_config_selectorIdEEZZNS1_9scan_implILNS1_25lookback_scan_determinismE0ELb0ELb0ES3_N6thrust23THRUST_200600_302600_NS6detail15normal_iteratorINS9_10device_ptrIdEEEESE_dNS9_4plusIvEEdEEDaPvRmT3_T4_T5_mT6_P12ihipStream_tbENKUlT_T0_E_clISt17integral_constantIbLb1EESU_EEDaSP_SQ_EUlSP_E0_NS1_11comp_targetILNS1_3genE5ELNS1_11target_archE942ELNS1_3gpuE9ELNS1_3repE0EEENS1_30default_config_static_selectorELNS0_4arch9wavefront6targetE1EEEvT1_, .Lfunc_end4170-_ZN7rocprim17ROCPRIM_400000_NS6detail17trampoline_kernelINS0_14default_configENS1_20scan_config_selectorIdEEZZNS1_9scan_implILNS1_25lookback_scan_determinismE0ELb0ELb0ES3_N6thrust23THRUST_200600_302600_NS6detail15normal_iteratorINS9_10device_ptrIdEEEESE_dNS9_4plusIvEEdEEDaPvRmT3_T4_T5_mT6_P12ihipStream_tbENKUlT_T0_E_clISt17integral_constantIbLb1EESU_EEDaSP_SQ_EUlSP_E0_NS1_11comp_targetILNS1_3genE5ELNS1_11target_archE942ELNS1_3gpuE9ELNS1_3repE0EEENS1_30default_config_static_selectorELNS0_4arch9wavefront6targetE1EEEvT1_
                                        ; -- End function
	.section	.AMDGPU.csdata,"",@progbits
; Kernel info:
; codeLenInByte = 0
; NumSgprs: 4
; NumVgprs: 0
; NumAgprs: 0
; TotalNumVgprs: 0
; ScratchSize: 0
; MemoryBound: 0
; FloatMode: 240
; IeeeMode: 1
; LDSByteSize: 0 bytes/workgroup (compile time only)
; SGPRBlocks: 0
; VGPRBlocks: 0
; NumSGPRsForWavesPerEU: 4
; NumVGPRsForWavesPerEU: 1
; AccumOffset: 4
; Occupancy: 8
; WaveLimiterHint : 0
; COMPUTE_PGM_RSRC2:SCRATCH_EN: 0
; COMPUTE_PGM_RSRC2:USER_SGPR: 6
; COMPUTE_PGM_RSRC2:TRAP_HANDLER: 0
; COMPUTE_PGM_RSRC2:TGID_X_EN: 1
; COMPUTE_PGM_RSRC2:TGID_Y_EN: 0
; COMPUTE_PGM_RSRC2:TGID_Z_EN: 0
; COMPUTE_PGM_RSRC2:TIDIG_COMP_CNT: 0
; COMPUTE_PGM_RSRC3_GFX90A:ACCUM_OFFSET: 0
; COMPUTE_PGM_RSRC3_GFX90A:TG_SPLIT: 0
	.section	.text._ZN7rocprim17ROCPRIM_400000_NS6detail17trampoline_kernelINS0_14default_configENS1_20scan_config_selectorIdEEZZNS1_9scan_implILNS1_25lookback_scan_determinismE0ELb0ELb0ES3_N6thrust23THRUST_200600_302600_NS6detail15normal_iteratorINS9_10device_ptrIdEEEESE_dNS9_4plusIvEEdEEDaPvRmT3_T4_T5_mT6_P12ihipStream_tbENKUlT_T0_E_clISt17integral_constantIbLb1EESU_EEDaSP_SQ_EUlSP_E0_NS1_11comp_targetILNS1_3genE4ELNS1_11target_archE910ELNS1_3gpuE8ELNS1_3repE0EEENS1_30default_config_static_selectorELNS0_4arch9wavefront6targetE1EEEvT1_,"axG",@progbits,_ZN7rocprim17ROCPRIM_400000_NS6detail17trampoline_kernelINS0_14default_configENS1_20scan_config_selectorIdEEZZNS1_9scan_implILNS1_25lookback_scan_determinismE0ELb0ELb0ES3_N6thrust23THRUST_200600_302600_NS6detail15normal_iteratorINS9_10device_ptrIdEEEESE_dNS9_4plusIvEEdEEDaPvRmT3_T4_T5_mT6_P12ihipStream_tbENKUlT_T0_E_clISt17integral_constantIbLb1EESU_EEDaSP_SQ_EUlSP_E0_NS1_11comp_targetILNS1_3genE4ELNS1_11target_archE910ELNS1_3gpuE8ELNS1_3repE0EEENS1_30default_config_static_selectorELNS0_4arch9wavefront6targetE1EEEvT1_,comdat
	.protected	_ZN7rocprim17ROCPRIM_400000_NS6detail17trampoline_kernelINS0_14default_configENS1_20scan_config_selectorIdEEZZNS1_9scan_implILNS1_25lookback_scan_determinismE0ELb0ELb0ES3_N6thrust23THRUST_200600_302600_NS6detail15normal_iteratorINS9_10device_ptrIdEEEESE_dNS9_4plusIvEEdEEDaPvRmT3_T4_T5_mT6_P12ihipStream_tbENKUlT_T0_E_clISt17integral_constantIbLb1EESU_EEDaSP_SQ_EUlSP_E0_NS1_11comp_targetILNS1_3genE4ELNS1_11target_archE910ELNS1_3gpuE8ELNS1_3repE0EEENS1_30default_config_static_selectorELNS0_4arch9wavefront6targetE1EEEvT1_ ; -- Begin function _ZN7rocprim17ROCPRIM_400000_NS6detail17trampoline_kernelINS0_14default_configENS1_20scan_config_selectorIdEEZZNS1_9scan_implILNS1_25lookback_scan_determinismE0ELb0ELb0ES3_N6thrust23THRUST_200600_302600_NS6detail15normal_iteratorINS9_10device_ptrIdEEEESE_dNS9_4plusIvEEdEEDaPvRmT3_T4_T5_mT6_P12ihipStream_tbENKUlT_T0_E_clISt17integral_constantIbLb1EESU_EEDaSP_SQ_EUlSP_E0_NS1_11comp_targetILNS1_3genE4ELNS1_11target_archE910ELNS1_3gpuE8ELNS1_3repE0EEENS1_30default_config_static_selectorELNS0_4arch9wavefront6targetE1EEEvT1_
	.globl	_ZN7rocprim17ROCPRIM_400000_NS6detail17trampoline_kernelINS0_14default_configENS1_20scan_config_selectorIdEEZZNS1_9scan_implILNS1_25lookback_scan_determinismE0ELb0ELb0ES3_N6thrust23THRUST_200600_302600_NS6detail15normal_iteratorINS9_10device_ptrIdEEEESE_dNS9_4plusIvEEdEEDaPvRmT3_T4_T5_mT6_P12ihipStream_tbENKUlT_T0_E_clISt17integral_constantIbLb1EESU_EEDaSP_SQ_EUlSP_E0_NS1_11comp_targetILNS1_3genE4ELNS1_11target_archE910ELNS1_3gpuE8ELNS1_3repE0EEENS1_30default_config_static_selectorELNS0_4arch9wavefront6targetE1EEEvT1_
	.p2align	8
	.type	_ZN7rocprim17ROCPRIM_400000_NS6detail17trampoline_kernelINS0_14default_configENS1_20scan_config_selectorIdEEZZNS1_9scan_implILNS1_25lookback_scan_determinismE0ELb0ELb0ES3_N6thrust23THRUST_200600_302600_NS6detail15normal_iteratorINS9_10device_ptrIdEEEESE_dNS9_4plusIvEEdEEDaPvRmT3_T4_T5_mT6_P12ihipStream_tbENKUlT_T0_E_clISt17integral_constantIbLb1EESU_EEDaSP_SQ_EUlSP_E0_NS1_11comp_targetILNS1_3genE4ELNS1_11target_archE910ELNS1_3gpuE8ELNS1_3repE0EEENS1_30default_config_static_selectorELNS0_4arch9wavefront6targetE1EEEvT1_,@function
_ZN7rocprim17ROCPRIM_400000_NS6detail17trampoline_kernelINS0_14default_configENS1_20scan_config_selectorIdEEZZNS1_9scan_implILNS1_25lookback_scan_determinismE0ELb0ELb0ES3_N6thrust23THRUST_200600_302600_NS6detail15normal_iteratorINS9_10device_ptrIdEEEESE_dNS9_4plusIvEEdEEDaPvRmT3_T4_T5_mT6_P12ihipStream_tbENKUlT_T0_E_clISt17integral_constantIbLb1EESU_EEDaSP_SQ_EUlSP_E0_NS1_11comp_targetILNS1_3genE4ELNS1_11target_archE910ELNS1_3gpuE8ELNS1_3repE0EEENS1_30default_config_static_selectorELNS0_4arch9wavefront6targetE1EEEvT1_: ; @_ZN7rocprim17ROCPRIM_400000_NS6detail17trampoline_kernelINS0_14default_configENS1_20scan_config_selectorIdEEZZNS1_9scan_implILNS1_25lookback_scan_determinismE0ELb0ELb0ES3_N6thrust23THRUST_200600_302600_NS6detail15normal_iteratorINS9_10device_ptrIdEEEESE_dNS9_4plusIvEEdEEDaPvRmT3_T4_T5_mT6_P12ihipStream_tbENKUlT_T0_E_clISt17integral_constantIbLb1EESU_EEDaSP_SQ_EUlSP_E0_NS1_11comp_targetILNS1_3genE4ELNS1_11target_archE910ELNS1_3gpuE8ELNS1_3repE0EEENS1_30default_config_static_selectorELNS0_4arch9wavefront6targetE1EEEvT1_
; %bb.0:
	s_load_dwordx4 s[20:23], s[4:5], 0x0
	v_lshlrev_b32_e32 v48, 3, v0
	s_waitcnt lgkmcnt(0)
	s_load_dwordx2 s[24:25], s[20:21], 0x0
	v_cmp_gt_u32_e32 vcc, s22, v0
	s_waitcnt lgkmcnt(0)
	v_pk_mov_b32 v[2:3], s[24:25], s[24:25] op_sel:[0,1]
	s_and_saveexec_b64 s[0:1], vcc
	s_cbranch_execz .LBB4171_2
; %bb.1:
	global_load_dwordx2 v[2:3], v48, s[20:21]
.LBB4171_2:
	s_or_b64 exec, exec, s[0:1]
	v_or_b32_e32 v1, 0x80, v0
	v_cmp_gt_u32_e64 s[0:1], s22, v1
	v_pk_mov_b32 v[4:5], s[24:25], s[24:25] op_sel:[0,1]
	s_and_saveexec_b64 s[2:3], s[0:1]
	s_cbranch_execz .LBB4171_4
; %bb.3:
	global_load_dwordx2 v[4:5], v48, s[20:21] offset:1024
.LBB4171_4:
	s_or_b64 exec, exec, s[2:3]
	v_or_b32_e32 v1, 0x100, v0
	v_cmp_gt_u32_e64 s[2:3], s22, v1
	v_pk_mov_b32 v[6:7], s[24:25], s[24:25] op_sel:[0,1]
	s_and_saveexec_b64 s[6:7], s[2:3]
	s_cbranch_execz .LBB4171_6
; %bb.5:
	global_load_dwordx2 v[6:7], v48, s[20:21] offset:2048
.LBB4171_6:
	s_or_b64 exec, exec, s[6:7]
	v_or_b32_e32 v1, 0x180, v0
	v_cmp_gt_u32_e64 s[18:19], s22, v1
	v_pk_mov_b32 v[8:9], s[24:25], s[24:25] op_sel:[0,1]
	s_and_saveexec_b64 s[6:7], s[18:19]
	s_cbranch_execz .LBB4171_8
; %bb.7:
	global_load_dwordx2 v[8:9], v48, s[20:21] offset:3072
.LBB4171_8:
	s_or_b64 exec, exec, s[6:7]
	v_or_b32_e32 v1, 0x200, v0
	v_cmp_gt_u32_e64 s[6:7], s22, v1
	v_pk_mov_b32 v[10:11], s[24:25], s[24:25] op_sel:[0,1]
	s_and_saveexec_b64 s[8:9], s[6:7]
	s_cbranch_execz .LBB4171_10
; %bb.9:
	v_lshlrev_b32_e32 v1, 3, v1
	global_load_dwordx2 v[10:11], v1, s[20:21]
.LBB4171_10:
	s_or_b64 exec, exec, s[8:9]
	v_or_b32_e32 v1, 0x280, v0
	v_cmp_gt_u32_e64 s[8:9], s22, v1
	v_pk_mov_b32 v[12:13], s[24:25], s[24:25] op_sel:[0,1]
	s_and_saveexec_b64 s[10:11], s[8:9]
	s_cbranch_execz .LBB4171_12
; %bb.11:
	v_lshlrev_b32_e32 v1, 3, v1
	global_load_dwordx2 v[12:13], v1, s[20:21]
.LBB4171_12:
	;; [unrolled: 10-line block ×6, first 2 shown]
	s_or_b64 exec, exec, s[22:23]
	s_movk_i32 s20, 0x48
	v_mad_u32_u24 v1, v0, s20, v48
	s_waitcnt vmcnt(0)
	ds_write2st64_b64 v48, v[2:3], v[4:5] offset1:2
	ds_write2st64_b64 v48, v[6:7], v[8:9] offset0:4 offset1:6
	ds_write2st64_b64 v48, v[10:11], v[12:13] offset0:8 offset1:10
	;; [unrolled: 1-line block ×4, first 2 shown]
	s_waitcnt lgkmcnt(0)
	s_barrier
	ds_read_b128 v[2:5], v1
	ds_read_b128 v[22:25], v1 offset:16
	ds_read_b128 v[18:21], v1 offset:32
	;; [unrolled: 1-line block ×4, first 2 shown]
	s_waitcnt lgkmcnt(4)
	v_add_f64 v[38:39], v[2:3], v[4:5]
	s_waitcnt lgkmcnt(3)
	v_add_f64 v[30:31], v[38:39], v[22:23]
	v_add_f64 v[32:33], v[30:31], v[24:25]
	s_waitcnt lgkmcnt(2)
	v_add_f64 v[26:27], v[32:33], v[18:19]
	;; [unrolled: 3-line block ×4, first 2 shown]
	v_mbcnt_lo_u32_b32 v40, -1, 0
	v_add_f64 v[8:9], v[6:7], v[36:37]
	v_mbcnt_hi_u32_b32 v49, -1, v40
	v_and_b32_e32 v44, 15, v49
	v_mov_b32_dpp v40, v8 row_shr:1 row_mask:0xf bank_mask:0xf
	v_mov_b32_dpp v41, v9 row_shr:1 row_mask:0xf bank_mask:0xf
	v_add_f64 v[40:41], v[8:9], v[40:41]
	v_cmp_eq_u32_e64 s[20:21], 0, v44
	v_cndmask_b32_e64 v40, v40, v8, s[20:21]
	v_cndmask_b32_e64 v41, v41, v9, s[20:21]
	v_cmp_lt_u32_e64 s[20:21], 1, v44
	v_mov_b32_dpp v42, v40 row_shr:2 row_mask:0xf bank_mask:0xf
	v_mov_b32_dpp v43, v41 row_shr:2 row_mask:0xf bank_mask:0xf
	v_add_f64 v[42:43], v[40:41], v[42:43]
	v_cndmask_b32_e64 v40, v40, v42, s[20:21]
	v_cndmask_b32_e64 v41, v41, v43, s[20:21]
	v_cmp_lt_u32_e64 s[20:21], 3, v44
	v_mov_b32_dpp v42, v40 row_shr:4 row_mask:0xf bank_mask:0xf
	v_mov_b32_dpp v43, v41 row_shr:4 row_mask:0xf bank_mask:0xf
	v_add_f64 v[42:43], v[40:41], v[42:43]
	;; [unrolled: 6-line block ×3, first 2 shown]
	v_cndmask_b32_e64 v42, v40, v42, s[20:21]
	v_cndmask_b32_e64 v43, v41, v43, s[20:21]
	v_and_b32_e32 v44, 16, v49
	v_mov_b32_dpp v40, v42 row_bcast:15 row_mask:0xf bank_mask:0xf
	v_mov_b32_dpp v41, v43 row_bcast:15 row_mask:0xf bank_mask:0xf
	v_add_f64 v[46:47], v[42:43], v[40:41]
	v_cmp_eq_u32_e64 s[22:23], 0, v44
	v_cndmask_b32_e64 v40, v47, v43, s[22:23]
	v_cndmask_b32_e64 v41, v46, v42, s[22:23]
	v_cmp_eq_u32_e64 s[20:21], 0, v49
	v_mov_b32_dpp v45, v40 row_bcast:31 row_mask:0xf bank_mask:0xf
	v_mov_b32_dpp v44, v41 row_bcast:31 row_mask:0xf bank_mask:0xf
	v_cmp_ne_u32_e64 s[24:25], 0, v49
	v_pk_mov_b32 v[40:41], v[8:9], v[8:9] op_sel:[0,1]
	s_barrier
	s_and_saveexec_b64 s[26:27], s[24:25]
; %bb.21:
	v_cndmask_b32_e64 v41, v47, v43, s[22:23]
	v_cndmask_b32_e64 v40, v46, v42, s[22:23]
	v_add_f64 v[42:43], v[40:41], v[44:45]
	v_cmp_lt_u32_e64 s[22:23], 31, v49
	v_cndmask_b32_e64 v41, v41, v43, s[22:23]
	v_cndmask_b32_e64 v40, v40, v42, s[22:23]
; %bb.22:
	s_or_b64 exec, exec, s[26:27]
	v_or_b32_e32 v42, 63, v0
	v_lshrrev_b32_e32 v44, 6, v0
	v_cmp_eq_u32_e64 s[22:23], v42, v0
	s_and_saveexec_b64 s[24:25], s[22:23]
	s_cbranch_execz .LBB4171_24
; %bb.23:
	v_lshlrev_b32_e32 v42, 3, v44
	ds_write_b64 v42, v[40:41]
.LBB4171_24:
	s_or_b64 exec, exec, s[24:25]
	v_cmp_gt_u32_e64 s[22:23], 2, v0
	s_waitcnt lgkmcnt(0)
	s_barrier
	s_and_saveexec_b64 s[24:25], s[22:23]
	s_cbranch_execz .LBB4171_26
; %bb.25:
	ds_read_b64 v[42:43], v48
	v_and_b32_e32 v45, 1, v49
	v_cmp_eq_u32_e64 s[22:23], 0, v45
	s_waitcnt lgkmcnt(0)
	v_mov_b32_dpp v46, v42 row_shr:1 row_mask:0xf bank_mask:0xf
	v_mov_b32_dpp v47, v43 row_shr:1 row_mask:0xf bank_mask:0xf
	v_add_f64 v[46:47], v[42:43], v[46:47]
	v_cndmask_b32_e64 v43, v47, v43, s[22:23]
	v_cndmask_b32_e64 v42, v46, v42, s[22:23]
	ds_write_b64 v48, v[42:43]
.LBB4171_26:
	s_or_b64 exec, exec, s[24:25]
	s_load_dwordx2 s[22:23], s[4:5], 0x20
	v_cmp_lt_u32_e64 s[4:5], 63, v0
	s_waitcnt lgkmcnt(0)
	s_barrier
	s_waitcnt lgkmcnt(0)
                                        ; implicit-def: $vgpr42_vgpr43
	s_and_saveexec_b64 s[24:25], s[4:5]
	s_cbranch_execz .LBB4171_28
; %bb.27:
	v_lshl_add_u32 v42, v44, 3, -8
	ds_read_b64 v[42:43], v42
	s_waitcnt lgkmcnt(0)
	v_add_f64 v[40:41], v[40:41], v[42:43]
.LBB4171_28:
	s_or_b64 exec, exec, s[24:25]
	v_add_u32_e32 v44, -1, v49
	v_and_b32_e32 v45, 64, v49
	v_cmp_lt_i32_e64 s[4:5], v44, v45
	v_cndmask_b32_e64 v44, v44, v49, s[4:5]
	v_lshlrev_b32_e32 v44, 2, v44
	ds_bpermute_b32 v40, v44, v40
	ds_bpermute_b32 v41, v44, v41
	v_cmp_ne_u32_e64 s[4:5], 0, v0
	s_and_saveexec_b64 s[24:25], s[4:5]
	s_cbranch_execz .LBB4171_30
; %bb.29:
	s_waitcnt lgkmcnt(0)
	v_cndmask_b32_e64 v7, v41, v43, s[20:21]
	v_cndmask_b32_e64 v6, v40, v42, s[20:21]
	v_add_f64 v[2:3], v[2:3], v[6:7]
	v_add_f64 v[38:39], v[4:5], v[2:3]
	;; [unrolled: 1-line block ×10, first 2 shown]
	;;#ASMSTART
	;;#ASMEND
.LBB4171_30:
	s_or_b64 exec, exec, s[24:25]
	s_movk_i32 s4, 0xffb8
	v_mov_b32_e32 v4, v38
	v_mov_b32_e32 v5, v39
	v_mad_i32_i24 v0, v0, s4, v1
	s_waitcnt lgkmcnt(0)
	s_barrier
	ds_write_b128 v1, v[2:5]
	ds_write_b128 v1, v[30:33] offset:16
	ds_write_b128 v1, v[26:29] offset:32
	;; [unrolled: 1-line block ×4, first 2 shown]
	s_waitcnt lgkmcnt(0)
	s_barrier
	ds_read2st64_b64 v[12:15], v0 offset0:2 offset1:4
	ds_read2st64_b64 v[8:11], v0 offset0:6 offset1:8
	;; [unrolled: 1-line block ×4, first 2 shown]
	ds_read_b64 v[18:19], v48 offset:8192
	v_mov_b32_e32 v17, s23
	v_add_co_u32_e64 v16, s[4:5], s22, v48
	v_addc_co_u32_e64 v17, s[4:5], 0, v17, s[4:5]
	s_and_saveexec_b64 s[4:5], vcc
	s_cbranch_execnz .LBB4171_41
; %bb.31:
	s_or_b64 exec, exec, s[4:5]
	s_and_saveexec_b64 s[4:5], s[0:1]
	s_cbranch_execnz .LBB4171_42
.LBB4171_32:
	s_or_b64 exec, exec, s[4:5]
	s_and_saveexec_b64 s[0:1], s[2:3]
	s_cbranch_execnz .LBB4171_43
.LBB4171_33:
	s_or_b64 exec, exec, s[0:1]
	s_and_saveexec_b64 s[0:1], s[18:19]
	s_cbranch_execnz .LBB4171_44
.LBB4171_34:
	s_or_b64 exec, exec, s[0:1]
	s_and_saveexec_b64 s[0:1], s[6:7]
	s_cbranch_execnz .LBB4171_45
.LBB4171_35:
	s_or_b64 exec, exec, s[0:1]
	s_and_saveexec_b64 s[0:1], s[8:9]
	s_cbranch_execnz .LBB4171_46
.LBB4171_36:
	s_or_b64 exec, exec, s[0:1]
	s_and_saveexec_b64 s[0:1], s[10:11]
	s_cbranch_execnz .LBB4171_47
.LBB4171_37:
	s_or_b64 exec, exec, s[0:1]
	s_and_saveexec_b64 s[0:1], s[12:13]
	s_cbranch_execnz .LBB4171_48
.LBB4171_38:
	s_or_b64 exec, exec, s[0:1]
	s_and_saveexec_b64 s[0:1], s[14:15]
	s_cbranch_execnz .LBB4171_49
.LBB4171_39:
	s_or_b64 exec, exec, s[0:1]
	s_and_saveexec_b64 s[0:1], s[16:17]
	s_cbranch_execnz .LBB4171_50
.LBB4171_40:
	s_endpgm
.LBB4171_41:
	ds_read_b64 v[20:21], v48
	s_waitcnt lgkmcnt(0)
	global_store_dwordx2 v[16:17], v[20:21], off
	s_or_b64 exec, exec, s[4:5]
	s_and_saveexec_b64 s[4:5], s[0:1]
	s_cbranch_execz .LBB4171_32
.LBB4171_42:
	s_waitcnt lgkmcnt(4)
	global_store_dwordx2 v[16:17], v[12:13], off offset:1024
	s_or_b64 exec, exec, s[4:5]
	s_and_saveexec_b64 s[0:1], s[2:3]
	s_cbranch_execz .LBB4171_33
.LBB4171_43:
	s_waitcnt lgkmcnt(4)
	global_store_dwordx2 v[16:17], v[14:15], off offset:2048
	s_or_b64 exec, exec, s[0:1]
	s_and_saveexec_b64 s[0:1], s[18:19]
	s_cbranch_execz .LBB4171_34
.LBB4171_44:
	s_waitcnt lgkmcnt(3)
	global_store_dwordx2 v[16:17], v[8:9], off offset:3072
	s_or_b64 exec, exec, s[0:1]
	s_and_saveexec_b64 s[0:1], s[6:7]
	s_cbranch_execz .LBB4171_35
.LBB4171_45:
	s_waitcnt lgkmcnt(3)
	v_add_co_u32_e32 v8, vcc, 0x1000, v16
	v_addc_co_u32_e32 v9, vcc, 0, v17, vcc
	global_store_dwordx2 v[8:9], v[10:11], off
	s_or_b64 exec, exec, s[0:1]
	s_and_saveexec_b64 s[0:1], s[8:9]
	s_cbranch_execz .LBB4171_36
.LBB4171_46:
	s_waitcnt lgkmcnt(3)
	v_add_co_u32_e32 v8, vcc, 0x1000, v16
	v_addc_co_u32_e32 v9, vcc, 0, v17, vcc
	s_waitcnt lgkmcnt(2)
	global_store_dwordx2 v[8:9], v[4:5], off offset:1024
	s_or_b64 exec, exec, s[0:1]
	s_and_saveexec_b64 s[0:1], s[10:11]
	s_cbranch_execz .LBB4171_37
.LBB4171_47:
	s_waitcnt lgkmcnt(2)
	v_add_co_u32_e32 v4, vcc, 0x1000, v16
	v_addc_co_u32_e32 v5, vcc, 0, v17, vcc
	global_store_dwordx2 v[4:5], v[6:7], off offset:2048
	s_or_b64 exec, exec, s[0:1]
	s_and_saveexec_b64 s[0:1], s[12:13]
	s_cbranch_execz .LBB4171_38
.LBB4171_48:
	s_waitcnt lgkmcnt(2)
	v_add_co_u32_e32 v4, vcc, 0x1000, v16
	v_addc_co_u32_e32 v5, vcc, 0, v17, vcc
	s_waitcnt lgkmcnt(1)
	global_store_dwordx2 v[4:5], v[0:1], off offset:3072
	s_or_b64 exec, exec, s[0:1]
	s_and_saveexec_b64 s[0:1], s[14:15]
	s_cbranch_execz .LBB4171_39
.LBB4171_49:
	s_waitcnt lgkmcnt(1)
	v_add_co_u32_e32 v0, vcc, 0x2000, v16
	v_addc_co_u32_e32 v1, vcc, 0, v17, vcc
	s_waitcnt lgkmcnt(0)
	global_store_dwordx2 v[0:1], v[18:19], off
	s_or_b64 exec, exec, s[0:1]
	s_and_saveexec_b64 s[0:1], s[16:17]
	s_cbranch_execz .LBB4171_40
.LBB4171_50:
	s_waitcnt lgkmcnt(1)
	v_add_co_u32_e32 v0, vcc, 0x2000, v16
	v_addc_co_u32_e32 v1, vcc, 0, v17, vcc
	global_store_dwordx2 v[0:1], v[2:3], off offset:1024
	s_endpgm
	.section	.rodata,"a",@progbits
	.p2align	6, 0x0
	.amdhsa_kernel _ZN7rocprim17ROCPRIM_400000_NS6detail17trampoline_kernelINS0_14default_configENS1_20scan_config_selectorIdEEZZNS1_9scan_implILNS1_25lookback_scan_determinismE0ELb0ELb0ES3_N6thrust23THRUST_200600_302600_NS6detail15normal_iteratorINS9_10device_ptrIdEEEESE_dNS9_4plusIvEEdEEDaPvRmT3_T4_T5_mT6_P12ihipStream_tbENKUlT_T0_E_clISt17integral_constantIbLb1EESU_EEDaSP_SQ_EUlSP_E0_NS1_11comp_targetILNS1_3genE4ELNS1_11target_archE910ELNS1_3gpuE8ELNS1_3repE0EEENS1_30default_config_static_selectorELNS0_4arch9wavefront6targetE1EEEvT1_
		.amdhsa_group_segment_fixed_size 10240
		.amdhsa_private_segment_fixed_size 0
		.amdhsa_kernarg_size 40
		.amdhsa_user_sgpr_count 6
		.amdhsa_user_sgpr_private_segment_buffer 1
		.amdhsa_user_sgpr_dispatch_ptr 0
		.amdhsa_user_sgpr_queue_ptr 0
		.amdhsa_user_sgpr_kernarg_segment_ptr 1
		.amdhsa_user_sgpr_dispatch_id 0
		.amdhsa_user_sgpr_flat_scratch_init 0
		.amdhsa_user_sgpr_kernarg_preload_length 0
		.amdhsa_user_sgpr_kernarg_preload_offset 0
		.amdhsa_user_sgpr_private_segment_size 0
		.amdhsa_uses_dynamic_stack 0
		.amdhsa_system_sgpr_private_segment_wavefront_offset 0
		.amdhsa_system_sgpr_workgroup_id_x 1
		.amdhsa_system_sgpr_workgroup_id_y 0
		.amdhsa_system_sgpr_workgroup_id_z 0
		.amdhsa_system_sgpr_workgroup_info 0
		.amdhsa_system_vgpr_workitem_id 0
		.amdhsa_next_free_vgpr 50
		.amdhsa_next_free_sgpr 28
		.amdhsa_accum_offset 52
		.amdhsa_reserve_vcc 1
		.amdhsa_reserve_flat_scratch 0
		.amdhsa_float_round_mode_32 0
		.amdhsa_float_round_mode_16_64 0
		.amdhsa_float_denorm_mode_32 3
		.amdhsa_float_denorm_mode_16_64 3
		.amdhsa_dx10_clamp 1
		.amdhsa_ieee_mode 1
		.amdhsa_fp16_overflow 0
		.amdhsa_tg_split 0
		.amdhsa_exception_fp_ieee_invalid_op 0
		.amdhsa_exception_fp_denorm_src 0
		.amdhsa_exception_fp_ieee_div_zero 0
		.amdhsa_exception_fp_ieee_overflow 0
		.amdhsa_exception_fp_ieee_underflow 0
		.amdhsa_exception_fp_ieee_inexact 0
		.amdhsa_exception_int_div_zero 0
	.end_amdhsa_kernel
	.section	.text._ZN7rocprim17ROCPRIM_400000_NS6detail17trampoline_kernelINS0_14default_configENS1_20scan_config_selectorIdEEZZNS1_9scan_implILNS1_25lookback_scan_determinismE0ELb0ELb0ES3_N6thrust23THRUST_200600_302600_NS6detail15normal_iteratorINS9_10device_ptrIdEEEESE_dNS9_4plusIvEEdEEDaPvRmT3_T4_T5_mT6_P12ihipStream_tbENKUlT_T0_E_clISt17integral_constantIbLb1EESU_EEDaSP_SQ_EUlSP_E0_NS1_11comp_targetILNS1_3genE4ELNS1_11target_archE910ELNS1_3gpuE8ELNS1_3repE0EEENS1_30default_config_static_selectorELNS0_4arch9wavefront6targetE1EEEvT1_,"axG",@progbits,_ZN7rocprim17ROCPRIM_400000_NS6detail17trampoline_kernelINS0_14default_configENS1_20scan_config_selectorIdEEZZNS1_9scan_implILNS1_25lookback_scan_determinismE0ELb0ELb0ES3_N6thrust23THRUST_200600_302600_NS6detail15normal_iteratorINS9_10device_ptrIdEEEESE_dNS9_4plusIvEEdEEDaPvRmT3_T4_T5_mT6_P12ihipStream_tbENKUlT_T0_E_clISt17integral_constantIbLb1EESU_EEDaSP_SQ_EUlSP_E0_NS1_11comp_targetILNS1_3genE4ELNS1_11target_archE910ELNS1_3gpuE8ELNS1_3repE0EEENS1_30default_config_static_selectorELNS0_4arch9wavefront6targetE1EEEvT1_,comdat
.Lfunc_end4171:
	.size	_ZN7rocprim17ROCPRIM_400000_NS6detail17trampoline_kernelINS0_14default_configENS1_20scan_config_selectorIdEEZZNS1_9scan_implILNS1_25lookback_scan_determinismE0ELb0ELb0ES3_N6thrust23THRUST_200600_302600_NS6detail15normal_iteratorINS9_10device_ptrIdEEEESE_dNS9_4plusIvEEdEEDaPvRmT3_T4_T5_mT6_P12ihipStream_tbENKUlT_T0_E_clISt17integral_constantIbLb1EESU_EEDaSP_SQ_EUlSP_E0_NS1_11comp_targetILNS1_3genE4ELNS1_11target_archE910ELNS1_3gpuE8ELNS1_3repE0EEENS1_30default_config_static_selectorELNS0_4arch9wavefront6targetE1EEEvT1_, .Lfunc_end4171-_ZN7rocprim17ROCPRIM_400000_NS6detail17trampoline_kernelINS0_14default_configENS1_20scan_config_selectorIdEEZZNS1_9scan_implILNS1_25lookback_scan_determinismE0ELb0ELb0ES3_N6thrust23THRUST_200600_302600_NS6detail15normal_iteratorINS9_10device_ptrIdEEEESE_dNS9_4plusIvEEdEEDaPvRmT3_T4_T5_mT6_P12ihipStream_tbENKUlT_T0_E_clISt17integral_constantIbLb1EESU_EEDaSP_SQ_EUlSP_E0_NS1_11comp_targetILNS1_3genE4ELNS1_11target_archE910ELNS1_3gpuE8ELNS1_3repE0EEENS1_30default_config_static_selectorELNS0_4arch9wavefront6targetE1EEEvT1_
                                        ; -- End function
	.section	.AMDGPU.csdata,"",@progbits
; Kernel info:
; codeLenInByte = 1992
; NumSgprs: 32
; NumVgprs: 50
; NumAgprs: 0
; TotalNumVgprs: 50
; ScratchSize: 0
; MemoryBound: 0
; FloatMode: 240
; IeeeMode: 1
; LDSByteSize: 10240 bytes/workgroup (compile time only)
; SGPRBlocks: 3
; VGPRBlocks: 6
; NumSGPRsForWavesPerEU: 32
; NumVGPRsForWavesPerEU: 50
; AccumOffset: 52
; Occupancy: 3
; WaveLimiterHint : 0
; COMPUTE_PGM_RSRC2:SCRATCH_EN: 0
; COMPUTE_PGM_RSRC2:USER_SGPR: 6
; COMPUTE_PGM_RSRC2:TRAP_HANDLER: 0
; COMPUTE_PGM_RSRC2:TGID_X_EN: 1
; COMPUTE_PGM_RSRC2:TGID_Y_EN: 0
; COMPUTE_PGM_RSRC2:TGID_Z_EN: 0
; COMPUTE_PGM_RSRC2:TIDIG_COMP_CNT: 0
; COMPUTE_PGM_RSRC3_GFX90A:ACCUM_OFFSET: 12
; COMPUTE_PGM_RSRC3_GFX90A:TG_SPLIT: 0
	.section	.text._ZN7rocprim17ROCPRIM_400000_NS6detail17trampoline_kernelINS0_14default_configENS1_20scan_config_selectorIdEEZZNS1_9scan_implILNS1_25lookback_scan_determinismE0ELb0ELb0ES3_N6thrust23THRUST_200600_302600_NS6detail15normal_iteratorINS9_10device_ptrIdEEEESE_dNS9_4plusIvEEdEEDaPvRmT3_T4_T5_mT6_P12ihipStream_tbENKUlT_T0_E_clISt17integral_constantIbLb1EESU_EEDaSP_SQ_EUlSP_E0_NS1_11comp_targetILNS1_3genE3ELNS1_11target_archE908ELNS1_3gpuE7ELNS1_3repE0EEENS1_30default_config_static_selectorELNS0_4arch9wavefront6targetE1EEEvT1_,"axG",@progbits,_ZN7rocprim17ROCPRIM_400000_NS6detail17trampoline_kernelINS0_14default_configENS1_20scan_config_selectorIdEEZZNS1_9scan_implILNS1_25lookback_scan_determinismE0ELb0ELb0ES3_N6thrust23THRUST_200600_302600_NS6detail15normal_iteratorINS9_10device_ptrIdEEEESE_dNS9_4plusIvEEdEEDaPvRmT3_T4_T5_mT6_P12ihipStream_tbENKUlT_T0_E_clISt17integral_constantIbLb1EESU_EEDaSP_SQ_EUlSP_E0_NS1_11comp_targetILNS1_3genE3ELNS1_11target_archE908ELNS1_3gpuE7ELNS1_3repE0EEENS1_30default_config_static_selectorELNS0_4arch9wavefront6targetE1EEEvT1_,comdat
	.protected	_ZN7rocprim17ROCPRIM_400000_NS6detail17trampoline_kernelINS0_14default_configENS1_20scan_config_selectorIdEEZZNS1_9scan_implILNS1_25lookback_scan_determinismE0ELb0ELb0ES3_N6thrust23THRUST_200600_302600_NS6detail15normal_iteratorINS9_10device_ptrIdEEEESE_dNS9_4plusIvEEdEEDaPvRmT3_T4_T5_mT6_P12ihipStream_tbENKUlT_T0_E_clISt17integral_constantIbLb1EESU_EEDaSP_SQ_EUlSP_E0_NS1_11comp_targetILNS1_3genE3ELNS1_11target_archE908ELNS1_3gpuE7ELNS1_3repE0EEENS1_30default_config_static_selectorELNS0_4arch9wavefront6targetE1EEEvT1_ ; -- Begin function _ZN7rocprim17ROCPRIM_400000_NS6detail17trampoline_kernelINS0_14default_configENS1_20scan_config_selectorIdEEZZNS1_9scan_implILNS1_25lookback_scan_determinismE0ELb0ELb0ES3_N6thrust23THRUST_200600_302600_NS6detail15normal_iteratorINS9_10device_ptrIdEEEESE_dNS9_4plusIvEEdEEDaPvRmT3_T4_T5_mT6_P12ihipStream_tbENKUlT_T0_E_clISt17integral_constantIbLb1EESU_EEDaSP_SQ_EUlSP_E0_NS1_11comp_targetILNS1_3genE3ELNS1_11target_archE908ELNS1_3gpuE7ELNS1_3repE0EEENS1_30default_config_static_selectorELNS0_4arch9wavefront6targetE1EEEvT1_
	.globl	_ZN7rocprim17ROCPRIM_400000_NS6detail17trampoline_kernelINS0_14default_configENS1_20scan_config_selectorIdEEZZNS1_9scan_implILNS1_25lookback_scan_determinismE0ELb0ELb0ES3_N6thrust23THRUST_200600_302600_NS6detail15normal_iteratorINS9_10device_ptrIdEEEESE_dNS9_4plusIvEEdEEDaPvRmT3_T4_T5_mT6_P12ihipStream_tbENKUlT_T0_E_clISt17integral_constantIbLb1EESU_EEDaSP_SQ_EUlSP_E0_NS1_11comp_targetILNS1_3genE3ELNS1_11target_archE908ELNS1_3gpuE7ELNS1_3repE0EEENS1_30default_config_static_selectorELNS0_4arch9wavefront6targetE1EEEvT1_
	.p2align	8
	.type	_ZN7rocprim17ROCPRIM_400000_NS6detail17trampoline_kernelINS0_14default_configENS1_20scan_config_selectorIdEEZZNS1_9scan_implILNS1_25lookback_scan_determinismE0ELb0ELb0ES3_N6thrust23THRUST_200600_302600_NS6detail15normal_iteratorINS9_10device_ptrIdEEEESE_dNS9_4plusIvEEdEEDaPvRmT3_T4_T5_mT6_P12ihipStream_tbENKUlT_T0_E_clISt17integral_constantIbLb1EESU_EEDaSP_SQ_EUlSP_E0_NS1_11comp_targetILNS1_3genE3ELNS1_11target_archE908ELNS1_3gpuE7ELNS1_3repE0EEENS1_30default_config_static_selectorELNS0_4arch9wavefront6targetE1EEEvT1_,@function
_ZN7rocprim17ROCPRIM_400000_NS6detail17trampoline_kernelINS0_14default_configENS1_20scan_config_selectorIdEEZZNS1_9scan_implILNS1_25lookback_scan_determinismE0ELb0ELb0ES3_N6thrust23THRUST_200600_302600_NS6detail15normal_iteratorINS9_10device_ptrIdEEEESE_dNS9_4plusIvEEdEEDaPvRmT3_T4_T5_mT6_P12ihipStream_tbENKUlT_T0_E_clISt17integral_constantIbLb1EESU_EEDaSP_SQ_EUlSP_E0_NS1_11comp_targetILNS1_3genE3ELNS1_11target_archE908ELNS1_3gpuE7ELNS1_3repE0EEENS1_30default_config_static_selectorELNS0_4arch9wavefront6targetE1EEEvT1_: ; @_ZN7rocprim17ROCPRIM_400000_NS6detail17trampoline_kernelINS0_14default_configENS1_20scan_config_selectorIdEEZZNS1_9scan_implILNS1_25lookback_scan_determinismE0ELb0ELb0ES3_N6thrust23THRUST_200600_302600_NS6detail15normal_iteratorINS9_10device_ptrIdEEEESE_dNS9_4plusIvEEdEEDaPvRmT3_T4_T5_mT6_P12ihipStream_tbENKUlT_T0_E_clISt17integral_constantIbLb1EESU_EEDaSP_SQ_EUlSP_E0_NS1_11comp_targetILNS1_3genE3ELNS1_11target_archE908ELNS1_3gpuE7ELNS1_3repE0EEENS1_30default_config_static_selectorELNS0_4arch9wavefront6targetE1EEEvT1_
; %bb.0:
	.section	.rodata,"a",@progbits
	.p2align	6, 0x0
	.amdhsa_kernel _ZN7rocprim17ROCPRIM_400000_NS6detail17trampoline_kernelINS0_14default_configENS1_20scan_config_selectorIdEEZZNS1_9scan_implILNS1_25lookback_scan_determinismE0ELb0ELb0ES3_N6thrust23THRUST_200600_302600_NS6detail15normal_iteratorINS9_10device_ptrIdEEEESE_dNS9_4plusIvEEdEEDaPvRmT3_T4_T5_mT6_P12ihipStream_tbENKUlT_T0_E_clISt17integral_constantIbLb1EESU_EEDaSP_SQ_EUlSP_E0_NS1_11comp_targetILNS1_3genE3ELNS1_11target_archE908ELNS1_3gpuE7ELNS1_3repE0EEENS1_30default_config_static_selectorELNS0_4arch9wavefront6targetE1EEEvT1_
		.amdhsa_group_segment_fixed_size 0
		.amdhsa_private_segment_fixed_size 0
		.amdhsa_kernarg_size 40
		.amdhsa_user_sgpr_count 6
		.amdhsa_user_sgpr_private_segment_buffer 1
		.amdhsa_user_sgpr_dispatch_ptr 0
		.amdhsa_user_sgpr_queue_ptr 0
		.amdhsa_user_sgpr_kernarg_segment_ptr 1
		.amdhsa_user_sgpr_dispatch_id 0
		.amdhsa_user_sgpr_flat_scratch_init 0
		.amdhsa_user_sgpr_kernarg_preload_length 0
		.amdhsa_user_sgpr_kernarg_preload_offset 0
		.amdhsa_user_sgpr_private_segment_size 0
		.amdhsa_uses_dynamic_stack 0
		.amdhsa_system_sgpr_private_segment_wavefront_offset 0
		.amdhsa_system_sgpr_workgroup_id_x 1
		.amdhsa_system_sgpr_workgroup_id_y 0
		.amdhsa_system_sgpr_workgroup_id_z 0
		.amdhsa_system_sgpr_workgroup_info 0
		.amdhsa_system_vgpr_workitem_id 0
		.amdhsa_next_free_vgpr 1
		.amdhsa_next_free_sgpr 0
		.amdhsa_accum_offset 4
		.amdhsa_reserve_vcc 0
		.amdhsa_reserve_flat_scratch 0
		.amdhsa_float_round_mode_32 0
		.amdhsa_float_round_mode_16_64 0
		.amdhsa_float_denorm_mode_32 3
		.amdhsa_float_denorm_mode_16_64 3
		.amdhsa_dx10_clamp 1
		.amdhsa_ieee_mode 1
		.amdhsa_fp16_overflow 0
		.amdhsa_tg_split 0
		.amdhsa_exception_fp_ieee_invalid_op 0
		.amdhsa_exception_fp_denorm_src 0
		.amdhsa_exception_fp_ieee_div_zero 0
		.amdhsa_exception_fp_ieee_overflow 0
		.amdhsa_exception_fp_ieee_underflow 0
		.amdhsa_exception_fp_ieee_inexact 0
		.amdhsa_exception_int_div_zero 0
	.end_amdhsa_kernel
	.section	.text._ZN7rocprim17ROCPRIM_400000_NS6detail17trampoline_kernelINS0_14default_configENS1_20scan_config_selectorIdEEZZNS1_9scan_implILNS1_25lookback_scan_determinismE0ELb0ELb0ES3_N6thrust23THRUST_200600_302600_NS6detail15normal_iteratorINS9_10device_ptrIdEEEESE_dNS9_4plusIvEEdEEDaPvRmT3_T4_T5_mT6_P12ihipStream_tbENKUlT_T0_E_clISt17integral_constantIbLb1EESU_EEDaSP_SQ_EUlSP_E0_NS1_11comp_targetILNS1_3genE3ELNS1_11target_archE908ELNS1_3gpuE7ELNS1_3repE0EEENS1_30default_config_static_selectorELNS0_4arch9wavefront6targetE1EEEvT1_,"axG",@progbits,_ZN7rocprim17ROCPRIM_400000_NS6detail17trampoline_kernelINS0_14default_configENS1_20scan_config_selectorIdEEZZNS1_9scan_implILNS1_25lookback_scan_determinismE0ELb0ELb0ES3_N6thrust23THRUST_200600_302600_NS6detail15normal_iteratorINS9_10device_ptrIdEEEESE_dNS9_4plusIvEEdEEDaPvRmT3_T4_T5_mT6_P12ihipStream_tbENKUlT_T0_E_clISt17integral_constantIbLb1EESU_EEDaSP_SQ_EUlSP_E0_NS1_11comp_targetILNS1_3genE3ELNS1_11target_archE908ELNS1_3gpuE7ELNS1_3repE0EEENS1_30default_config_static_selectorELNS0_4arch9wavefront6targetE1EEEvT1_,comdat
.Lfunc_end4172:
	.size	_ZN7rocprim17ROCPRIM_400000_NS6detail17trampoline_kernelINS0_14default_configENS1_20scan_config_selectorIdEEZZNS1_9scan_implILNS1_25lookback_scan_determinismE0ELb0ELb0ES3_N6thrust23THRUST_200600_302600_NS6detail15normal_iteratorINS9_10device_ptrIdEEEESE_dNS9_4plusIvEEdEEDaPvRmT3_T4_T5_mT6_P12ihipStream_tbENKUlT_T0_E_clISt17integral_constantIbLb1EESU_EEDaSP_SQ_EUlSP_E0_NS1_11comp_targetILNS1_3genE3ELNS1_11target_archE908ELNS1_3gpuE7ELNS1_3repE0EEENS1_30default_config_static_selectorELNS0_4arch9wavefront6targetE1EEEvT1_, .Lfunc_end4172-_ZN7rocprim17ROCPRIM_400000_NS6detail17trampoline_kernelINS0_14default_configENS1_20scan_config_selectorIdEEZZNS1_9scan_implILNS1_25lookback_scan_determinismE0ELb0ELb0ES3_N6thrust23THRUST_200600_302600_NS6detail15normal_iteratorINS9_10device_ptrIdEEEESE_dNS9_4plusIvEEdEEDaPvRmT3_T4_T5_mT6_P12ihipStream_tbENKUlT_T0_E_clISt17integral_constantIbLb1EESU_EEDaSP_SQ_EUlSP_E0_NS1_11comp_targetILNS1_3genE3ELNS1_11target_archE908ELNS1_3gpuE7ELNS1_3repE0EEENS1_30default_config_static_selectorELNS0_4arch9wavefront6targetE1EEEvT1_
                                        ; -- End function
	.section	.AMDGPU.csdata,"",@progbits
; Kernel info:
; codeLenInByte = 0
; NumSgprs: 4
; NumVgprs: 0
; NumAgprs: 0
; TotalNumVgprs: 0
; ScratchSize: 0
; MemoryBound: 0
; FloatMode: 240
; IeeeMode: 1
; LDSByteSize: 0 bytes/workgroup (compile time only)
; SGPRBlocks: 0
; VGPRBlocks: 0
; NumSGPRsForWavesPerEU: 4
; NumVGPRsForWavesPerEU: 1
; AccumOffset: 4
; Occupancy: 8
; WaveLimiterHint : 0
; COMPUTE_PGM_RSRC2:SCRATCH_EN: 0
; COMPUTE_PGM_RSRC2:USER_SGPR: 6
; COMPUTE_PGM_RSRC2:TRAP_HANDLER: 0
; COMPUTE_PGM_RSRC2:TGID_X_EN: 1
; COMPUTE_PGM_RSRC2:TGID_Y_EN: 0
; COMPUTE_PGM_RSRC2:TGID_Z_EN: 0
; COMPUTE_PGM_RSRC2:TIDIG_COMP_CNT: 0
; COMPUTE_PGM_RSRC3_GFX90A:ACCUM_OFFSET: 0
; COMPUTE_PGM_RSRC3_GFX90A:TG_SPLIT: 0
	.section	.text._ZN7rocprim17ROCPRIM_400000_NS6detail17trampoline_kernelINS0_14default_configENS1_20scan_config_selectorIdEEZZNS1_9scan_implILNS1_25lookback_scan_determinismE0ELb0ELb0ES3_N6thrust23THRUST_200600_302600_NS6detail15normal_iteratorINS9_10device_ptrIdEEEESE_dNS9_4plusIvEEdEEDaPvRmT3_T4_T5_mT6_P12ihipStream_tbENKUlT_T0_E_clISt17integral_constantIbLb1EESU_EEDaSP_SQ_EUlSP_E0_NS1_11comp_targetILNS1_3genE2ELNS1_11target_archE906ELNS1_3gpuE6ELNS1_3repE0EEENS1_30default_config_static_selectorELNS0_4arch9wavefront6targetE1EEEvT1_,"axG",@progbits,_ZN7rocprim17ROCPRIM_400000_NS6detail17trampoline_kernelINS0_14default_configENS1_20scan_config_selectorIdEEZZNS1_9scan_implILNS1_25lookback_scan_determinismE0ELb0ELb0ES3_N6thrust23THRUST_200600_302600_NS6detail15normal_iteratorINS9_10device_ptrIdEEEESE_dNS9_4plusIvEEdEEDaPvRmT3_T4_T5_mT6_P12ihipStream_tbENKUlT_T0_E_clISt17integral_constantIbLb1EESU_EEDaSP_SQ_EUlSP_E0_NS1_11comp_targetILNS1_3genE2ELNS1_11target_archE906ELNS1_3gpuE6ELNS1_3repE0EEENS1_30default_config_static_selectorELNS0_4arch9wavefront6targetE1EEEvT1_,comdat
	.protected	_ZN7rocprim17ROCPRIM_400000_NS6detail17trampoline_kernelINS0_14default_configENS1_20scan_config_selectorIdEEZZNS1_9scan_implILNS1_25lookback_scan_determinismE0ELb0ELb0ES3_N6thrust23THRUST_200600_302600_NS6detail15normal_iteratorINS9_10device_ptrIdEEEESE_dNS9_4plusIvEEdEEDaPvRmT3_T4_T5_mT6_P12ihipStream_tbENKUlT_T0_E_clISt17integral_constantIbLb1EESU_EEDaSP_SQ_EUlSP_E0_NS1_11comp_targetILNS1_3genE2ELNS1_11target_archE906ELNS1_3gpuE6ELNS1_3repE0EEENS1_30default_config_static_selectorELNS0_4arch9wavefront6targetE1EEEvT1_ ; -- Begin function _ZN7rocprim17ROCPRIM_400000_NS6detail17trampoline_kernelINS0_14default_configENS1_20scan_config_selectorIdEEZZNS1_9scan_implILNS1_25lookback_scan_determinismE0ELb0ELb0ES3_N6thrust23THRUST_200600_302600_NS6detail15normal_iteratorINS9_10device_ptrIdEEEESE_dNS9_4plusIvEEdEEDaPvRmT3_T4_T5_mT6_P12ihipStream_tbENKUlT_T0_E_clISt17integral_constantIbLb1EESU_EEDaSP_SQ_EUlSP_E0_NS1_11comp_targetILNS1_3genE2ELNS1_11target_archE906ELNS1_3gpuE6ELNS1_3repE0EEENS1_30default_config_static_selectorELNS0_4arch9wavefront6targetE1EEEvT1_
	.globl	_ZN7rocprim17ROCPRIM_400000_NS6detail17trampoline_kernelINS0_14default_configENS1_20scan_config_selectorIdEEZZNS1_9scan_implILNS1_25lookback_scan_determinismE0ELb0ELb0ES3_N6thrust23THRUST_200600_302600_NS6detail15normal_iteratorINS9_10device_ptrIdEEEESE_dNS9_4plusIvEEdEEDaPvRmT3_T4_T5_mT6_P12ihipStream_tbENKUlT_T0_E_clISt17integral_constantIbLb1EESU_EEDaSP_SQ_EUlSP_E0_NS1_11comp_targetILNS1_3genE2ELNS1_11target_archE906ELNS1_3gpuE6ELNS1_3repE0EEENS1_30default_config_static_selectorELNS0_4arch9wavefront6targetE1EEEvT1_
	.p2align	8
	.type	_ZN7rocprim17ROCPRIM_400000_NS6detail17trampoline_kernelINS0_14default_configENS1_20scan_config_selectorIdEEZZNS1_9scan_implILNS1_25lookback_scan_determinismE0ELb0ELb0ES3_N6thrust23THRUST_200600_302600_NS6detail15normal_iteratorINS9_10device_ptrIdEEEESE_dNS9_4plusIvEEdEEDaPvRmT3_T4_T5_mT6_P12ihipStream_tbENKUlT_T0_E_clISt17integral_constantIbLb1EESU_EEDaSP_SQ_EUlSP_E0_NS1_11comp_targetILNS1_3genE2ELNS1_11target_archE906ELNS1_3gpuE6ELNS1_3repE0EEENS1_30default_config_static_selectorELNS0_4arch9wavefront6targetE1EEEvT1_,@function
_ZN7rocprim17ROCPRIM_400000_NS6detail17trampoline_kernelINS0_14default_configENS1_20scan_config_selectorIdEEZZNS1_9scan_implILNS1_25lookback_scan_determinismE0ELb0ELb0ES3_N6thrust23THRUST_200600_302600_NS6detail15normal_iteratorINS9_10device_ptrIdEEEESE_dNS9_4plusIvEEdEEDaPvRmT3_T4_T5_mT6_P12ihipStream_tbENKUlT_T0_E_clISt17integral_constantIbLb1EESU_EEDaSP_SQ_EUlSP_E0_NS1_11comp_targetILNS1_3genE2ELNS1_11target_archE906ELNS1_3gpuE6ELNS1_3repE0EEENS1_30default_config_static_selectorELNS0_4arch9wavefront6targetE1EEEvT1_: ; @_ZN7rocprim17ROCPRIM_400000_NS6detail17trampoline_kernelINS0_14default_configENS1_20scan_config_selectorIdEEZZNS1_9scan_implILNS1_25lookback_scan_determinismE0ELb0ELb0ES3_N6thrust23THRUST_200600_302600_NS6detail15normal_iteratorINS9_10device_ptrIdEEEESE_dNS9_4plusIvEEdEEDaPvRmT3_T4_T5_mT6_P12ihipStream_tbENKUlT_T0_E_clISt17integral_constantIbLb1EESU_EEDaSP_SQ_EUlSP_E0_NS1_11comp_targetILNS1_3genE2ELNS1_11target_archE906ELNS1_3gpuE6ELNS1_3repE0EEENS1_30default_config_static_selectorELNS0_4arch9wavefront6targetE1EEEvT1_
; %bb.0:
	.section	.rodata,"a",@progbits
	.p2align	6, 0x0
	.amdhsa_kernel _ZN7rocprim17ROCPRIM_400000_NS6detail17trampoline_kernelINS0_14default_configENS1_20scan_config_selectorIdEEZZNS1_9scan_implILNS1_25lookback_scan_determinismE0ELb0ELb0ES3_N6thrust23THRUST_200600_302600_NS6detail15normal_iteratorINS9_10device_ptrIdEEEESE_dNS9_4plusIvEEdEEDaPvRmT3_T4_T5_mT6_P12ihipStream_tbENKUlT_T0_E_clISt17integral_constantIbLb1EESU_EEDaSP_SQ_EUlSP_E0_NS1_11comp_targetILNS1_3genE2ELNS1_11target_archE906ELNS1_3gpuE6ELNS1_3repE0EEENS1_30default_config_static_selectorELNS0_4arch9wavefront6targetE1EEEvT1_
		.amdhsa_group_segment_fixed_size 0
		.amdhsa_private_segment_fixed_size 0
		.amdhsa_kernarg_size 40
		.amdhsa_user_sgpr_count 6
		.amdhsa_user_sgpr_private_segment_buffer 1
		.amdhsa_user_sgpr_dispatch_ptr 0
		.amdhsa_user_sgpr_queue_ptr 0
		.amdhsa_user_sgpr_kernarg_segment_ptr 1
		.amdhsa_user_sgpr_dispatch_id 0
		.amdhsa_user_sgpr_flat_scratch_init 0
		.amdhsa_user_sgpr_kernarg_preload_length 0
		.amdhsa_user_sgpr_kernarg_preload_offset 0
		.amdhsa_user_sgpr_private_segment_size 0
		.amdhsa_uses_dynamic_stack 0
		.amdhsa_system_sgpr_private_segment_wavefront_offset 0
		.amdhsa_system_sgpr_workgroup_id_x 1
		.amdhsa_system_sgpr_workgroup_id_y 0
		.amdhsa_system_sgpr_workgroup_id_z 0
		.amdhsa_system_sgpr_workgroup_info 0
		.amdhsa_system_vgpr_workitem_id 0
		.amdhsa_next_free_vgpr 1
		.amdhsa_next_free_sgpr 0
		.amdhsa_accum_offset 4
		.amdhsa_reserve_vcc 0
		.amdhsa_reserve_flat_scratch 0
		.amdhsa_float_round_mode_32 0
		.amdhsa_float_round_mode_16_64 0
		.amdhsa_float_denorm_mode_32 3
		.amdhsa_float_denorm_mode_16_64 3
		.amdhsa_dx10_clamp 1
		.amdhsa_ieee_mode 1
		.amdhsa_fp16_overflow 0
		.amdhsa_tg_split 0
		.amdhsa_exception_fp_ieee_invalid_op 0
		.amdhsa_exception_fp_denorm_src 0
		.amdhsa_exception_fp_ieee_div_zero 0
		.amdhsa_exception_fp_ieee_overflow 0
		.amdhsa_exception_fp_ieee_underflow 0
		.amdhsa_exception_fp_ieee_inexact 0
		.amdhsa_exception_int_div_zero 0
	.end_amdhsa_kernel
	.section	.text._ZN7rocprim17ROCPRIM_400000_NS6detail17trampoline_kernelINS0_14default_configENS1_20scan_config_selectorIdEEZZNS1_9scan_implILNS1_25lookback_scan_determinismE0ELb0ELb0ES3_N6thrust23THRUST_200600_302600_NS6detail15normal_iteratorINS9_10device_ptrIdEEEESE_dNS9_4plusIvEEdEEDaPvRmT3_T4_T5_mT6_P12ihipStream_tbENKUlT_T0_E_clISt17integral_constantIbLb1EESU_EEDaSP_SQ_EUlSP_E0_NS1_11comp_targetILNS1_3genE2ELNS1_11target_archE906ELNS1_3gpuE6ELNS1_3repE0EEENS1_30default_config_static_selectorELNS0_4arch9wavefront6targetE1EEEvT1_,"axG",@progbits,_ZN7rocprim17ROCPRIM_400000_NS6detail17trampoline_kernelINS0_14default_configENS1_20scan_config_selectorIdEEZZNS1_9scan_implILNS1_25lookback_scan_determinismE0ELb0ELb0ES3_N6thrust23THRUST_200600_302600_NS6detail15normal_iteratorINS9_10device_ptrIdEEEESE_dNS9_4plusIvEEdEEDaPvRmT3_T4_T5_mT6_P12ihipStream_tbENKUlT_T0_E_clISt17integral_constantIbLb1EESU_EEDaSP_SQ_EUlSP_E0_NS1_11comp_targetILNS1_3genE2ELNS1_11target_archE906ELNS1_3gpuE6ELNS1_3repE0EEENS1_30default_config_static_selectorELNS0_4arch9wavefront6targetE1EEEvT1_,comdat
.Lfunc_end4173:
	.size	_ZN7rocprim17ROCPRIM_400000_NS6detail17trampoline_kernelINS0_14default_configENS1_20scan_config_selectorIdEEZZNS1_9scan_implILNS1_25lookback_scan_determinismE0ELb0ELb0ES3_N6thrust23THRUST_200600_302600_NS6detail15normal_iteratorINS9_10device_ptrIdEEEESE_dNS9_4plusIvEEdEEDaPvRmT3_T4_T5_mT6_P12ihipStream_tbENKUlT_T0_E_clISt17integral_constantIbLb1EESU_EEDaSP_SQ_EUlSP_E0_NS1_11comp_targetILNS1_3genE2ELNS1_11target_archE906ELNS1_3gpuE6ELNS1_3repE0EEENS1_30default_config_static_selectorELNS0_4arch9wavefront6targetE1EEEvT1_, .Lfunc_end4173-_ZN7rocprim17ROCPRIM_400000_NS6detail17trampoline_kernelINS0_14default_configENS1_20scan_config_selectorIdEEZZNS1_9scan_implILNS1_25lookback_scan_determinismE0ELb0ELb0ES3_N6thrust23THRUST_200600_302600_NS6detail15normal_iteratorINS9_10device_ptrIdEEEESE_dNS9_4plusIvEEdEEDaPvRmT3_T4_T5_mT6_P12ihipStream_tbENKUlT_T0_E_clISt17integral_constantIbLb1EESU_EEDaSP_SQ_EUlSP_E0_NS1_11comp_targetILNS1_3genE2ELNS1_11target_archE906ELNS1_3gpuE6ELNS1_3repE0EEENS1_30default_config_static_selectorELNS0_4arch9wavefront6targetE1EEEvT1_
                                        ; -- End function
	.section	.AMDGPU.csdata,"",@progbits
; Kernel info:
; codeLenInByte = 0
; NumSgprs: 4
; NumVgprs: 0
; NumAgprs: 0
; TotalNumVgprs: 0
; ScratchSize: 0
; MemoryBound: 0
; FloatMode: 240
; IeeeMode: 1
; LDSByteSize: 0 bytes/workgroup (compile time only)
; SGPRBlocks: 0
; VGPRBlocks: 0
; NumSGPRsForWavesPerEU: 4
; NumVGPRsForWavesPerEU: 1
; AccumOffset: 4
; Occupancy: 8
; WaveLimiterHint : 0
; COMPUTE_PGM_RSRC2:SCRATCH_EN: 0
; COMPUTE_PGM_RSRC2:USER_SGPR: 6
; COMPUTE_PGM_RSRC2:TRAP_HANDLER: 0
; COMPUTE_PGM_RSRC2:TGID_X_EN: 1
; COMPUTE_PGM_RSRC2:TGID_Y_EN: 0
; COMPUTE_PGM_RSRC2:TGID_Z_EN: 0
; COMPUTE_PGM_RSRC2:TIDIG_COMP_CNT: 0
; COMPUTE_PGM_RSRC3_GFX90A:ACCUM_OFFSET: 0
; COMPUTE_PGM_RSRC3_GFX90A:TG_SPLIT: 0
	.section	.text._ZN7rocprim17ROCPRIM_400000_NS6detail17trampoline_kernelINS0_14default_configENS1_20scan_config_selectorIdEEZZNS1_9scan_implILNS1_25lookback_scan_determinismE0ELb0ELb0ES3_N6thrust23THRUST_200600_302600_NS6detail15normal_iteratorINS9_10device_ptrIdEEEESE_dNS9_4plusIvEEdEEDaPvRmT3_T4_T5_mT6_P12ihipStream_tbENKUlT_T0_E_clISt17integral_constantIbLb1EESU_EEDaSP_SQ_EUlSP_E0_NS1_11comp_targetILNS1_3genE10ELNS1_11target_archE1201ELNS1_3gpuE5ELNS1_3repE0EEENS1_30default_config_static_selectorELNS0_4arch9wavefront6targetE1EEEvT1_,"axG",@progbits,_ZN7rocprim17ROCPRIM_400000_NS6detail17trampoline_kernelINS0_14default_configENS1_20scan_config_selectorIdEEZZNS1_9scan_implILNS1_25lookback_scan_determinismE0ELb0ELb0ES3_N6thrust23THRUST_200600_302600_NS6detail15normal_iteratorINS9_10device_ptrIdEEEESE_dNS9_4plusIvEEdEEDaPvRmT3_T4_T5_mT6_P12ihipStream_tbENKUlT_T0_E_clISt17integral_constantIbLb1EESU_EEDaSP_SQ_EUlSP_E0_NS1_11comp_targetILNS1_3genE10ELNS1_11target_archE1201ELNS1_3gpuE5ELNS1_3repE0EEENS1_30default_config_static_selectorELNS0_4arch9wavefront6targetE1EEEvT1_,comdat
	.protected	_ZN7rocprim17ROCPRIM_400000_NS6detail17trampoline_kernelINS0_14default_configENS1_20scan_config_selectorIdEEZZNS1_9scan_implILNS1_25lookback_scan_determinismE0ELb0ELb0ES3_N6thrust23THRUST_200600_302600_NS6detail15normal_iteratorINS9_10device_ptrIdEEEESE_dNS9_4plusIvEEdEEDaPvRmT3_T4_T5_mT6_P12ihipStream_tbENKUlT_T0_E_clISt17integral_constantIbLb1EESU_EEDaSP_SQ_EUlSP_E0_NS1_11comp_targetILNS1_3genE10ELNS1_11target_archE1201ELNS1_3gpuE5ELNS1_3repE0EEENS1_30default_config_static_selectorELNS0_4arch9wavefront6targetE1EEEvT1_ ; -- Begin function _ZN7rocprim17ROCPRIM_400000_NS6detail17trampoline_kernelINS0_14default_configENS1_20scan_config_selectorIdEEZZNS1_9scan_implILNS1_25lookback_scan_determinismE0ELb0ELb0ES3_N6thrust23THRUST_200600_302600_NS6detail15normal_iteratorINS9_10device_ptrIdEEEESE_dNS9_4plusIvEEdEEDaPvRmT3_T4_T5_mT6_P12ihipStream_tbENKUlT_T0_E_clISt17integral_constantIbLb1EESU_EEDaSP_SQ_EUlSP_E0_NS1_11comp_targetILNS1_3genE10ELNS1_11target_archE1201ELNS1_3gpuE5ELNS1_3repE0EEENS1_30default_config_static_selectorELNS0_4arch9wavefront6targetE1EEEvT1_
	.globl	_ZN7rocprim17ROCPRIM_400000_NS6detail17trampoline_kernelINS0_14default_configENS1_20scan_config_selectorIdEEZZNS1_9scan_implILNS1_25lookback_scan_determinismE0ELb0ELb0ES3_N6thrust23THRUST_200600_302600_NS6detail15normal_iteratorINS9_10device_ptrIdEEEESE_dNS9_4plusIvEEdEEDaPvRmT3_T4_T5_mT6_P12ihipStream_tbENKUlT_T0_E_clISt17integral_constantIbLb1EESU_EEDaSP_SQ_EUlSP_E0_NS1_11comp_targetILNS1_3genE10ELNS1_11target_archE1201ELNS1_3gpuE5ELNS1_3repE0EEENS1_30default_config_static_selectorELNS0_4arch9wavefront6targetE1EEEvT1_
	.p2align	8
	.type	_ZN7rocprim17ROCPRIM_400000_NS6detail17trampoline_kernelINS0_14default_configENS1_20scan_config_selectorIdEEZZNS1_9scan_implILNS1_25lookback_scan_determinismE0ELb0ELb0ES3_N6thrust23THRUST_200600_302600_NS6detail15normal_iteratorINS9_10device_ptrIdEEEESE_dNS9_4plusIvEEdEEDaPvRmT3_T4_T5_mT6_P12ihipStream_tbENKUlT_T0_E_clISt17integral_constantIbLb1EESU_EEDaSP_SQ_EUlSP_E0_NS1_11comp_targetILNS1_3genE10ELNS1_11target_archE1201ELNS1_3gpuE5ELNS1_3repE0EEENS1_30default_config_static_selectorELNS0_4arch9wavefront6targetE1EEEvT1_,@function
_ZN7rocprim17ROCPRIM_400000_NS6detail17trampoline_kernelINS0_14default_configENS1_20scan_config_selectorIdEEZZNS1_9scan_implILNS1_25lookback_scan_determinismE0ELb0ELb0ES3_N6thrust23THRUST_200600_302600_NS6detail15normal_iteratorINS9_10device_ptrIdEEEESE_dNS9_4plusIvEEdEEDaPvRmT3_T4_T5_mT6_P12ihipStream_tbENKUlT_T0_E_clISt17integral_constantIbLb1EESU_EEDaSP_SQ_EUlSP_E0_NS1_11comp_targetILNS1_3genE10ELNS1_11target_archE1201ELNS1_3gpuE5ELNS1_3repE0EEENS1_30default_config_static_selectorELNS0_4arch9wavefront6targetE1EEEvT1_: ; @_ZN7rocprim17ROCPRIM_400000_NS6detail17trampoline_kernelINS0_14default_configENS1_20scan_config_selectorIdEEZZNS1_9scan_implILNS1_25lookback_scan_determinismE0ELb0ELb0ES3_N6thrust23THRUST_200600_302600_NS6detail15normal_iteratorINS9_10device_ptrIdEEEESE_dNS9_4plusIvEEdEEDaPvRmT3_T4_T5_mT6_P12ihipStream_tbENKUlT_T0_E_clISt17integral_constantIbLb1EESU_EEDaSP_SQ_EUlSP_E0_NS1_11comp_targetILNS1_3genE10ELNS1_11target_archE1201ELNS1_3gpuE5ELNS1_3repE0EEENS1_30default_config_static_selectorELNS0_4arch9wavefront6targetE1EEEvT1_
; %bb.0:
	.section	.rodata,"a",@progbits
	.p2align	6, 0x0
	.amdhsa_kernel _ZN7rocprim17ROCPRIM_400000_NS6detail17trampoline_kernelINS0_14default_configENS1_20scan_config_selectorIdEEZZNS1_9scan_implILNS1_25lookback_scan_determinismE0ELb0ELb0ES3_N6thrust23THRUST_200600_302600_NS6detail15normal_iteratorINS9_10device_ptrIdEEEESE_dNS9_4plusIvEEdEEDaPvRmT3_T4_T5_mT6_P12ihipStream_tbENKUlT_T0_E_clISt17integral_constantIbLb1EESU_EEDaSP_SQ_EUlSP_E0_NS1_11comp_targetILNS1_3genE10ELNS1_11target_archE1201ELNS1_3gpuE5ELNS1_3repE0EEENS1_30default_config_static_selectorELNS0_4arch9wavefront6targetE1EEEvT1_
		.amdhsa_group_segment_fixed_size 0
		.amdhsa_private_segment_fixed_size 0
		.amdhsa_kernarg_size 40
		.amdhsa_user_sgpr_count 6
		.amdhsa_user_sgpr_private_segment_buffer 1
		.amdhsa_user_sgpr_dispatch_ptr 0
		.amdhsa_user_sgpr_queue_ptr 0
		.amdhsa_user_sgpr_kernarg_segment_ptr 1
		.amdhsa_user_sgpr_dispatch_id 0
		.amdhsa_user_sgpr_flat_scratch_init 0
		.amdhsa_user_sgpr_kernarg_preload_length 0
		.amdhsa_user_sgpr_kernarg_preload_offset 0
		.amdhsa_user_sgpr_private_segment_size 0
		.amdhsa_uses_dynamic_stack 0
		.amdhsa_system_sgpr_private_segment_wavefront_offset 0
		.amdhsa_system_sgpr_workgroup_id_x 1
		.amdhsa_system_sgpr_workgroup_id_y 0
		.amdhsa_system_sgpr_workgroup_id_z 0
		.amdhsa_system_sgpr_workgroup_info 0
		.amdhsa_system_vgpr_workitem_id 0
		.amdhsa_next_free_vgpr 1
		.amdhsa_next_free_sgpr 0
		.amdhsa_accum_offset 4
		.amdhsa_reserve_vcc 0
		.amdhsa_reserve_flat_scratch 0
		.amdhsa_float_round_mode_32 0
		.amdhsa_float_round_mode_16_64 0
		.amdhsa_float_denorm_mode_32 3
		.amdhsa_float_denorm_mode_16_64 3
		.amdhsa_dx10_clamp 1
		.amdhsa_ieee_mode 1
		.amdhsa_fp16_overflow 0
		.amdhsa_tg_split 0
		.amdhsa_exception_fp_ieee_invalid_op 0
		.amdhsa_exception_fp_denorm_src 0
		.amdhsa_exception_fp_ieee_div_zero 0
		.amdhsa_exception_fp_ieee_overflow 0
		.amdhsa_exception_fp_ieee_underflow 0
		.amdhsa_exception_fp_ieee_inexact 0
		.amdhsa_exception_int_div_zero 0
	.end_amdhsa_kernel
	.section	.text._ZN7rocprim17ROCPRIM_400000_NS6detail17trampoline_kernelINS0_14default_configENS1_20scan_config_selectorIdEEZZNS1_9scan_implILNS1_25lookback_scan_determinismE0ELb0ELb0ES3_N6thrust23THRUST_200600_302600_NS6detail15normal_iteratorINS9_10device_ptrIdEEEESE_dNS9_4plusIvEEdEEDaPvRmT3_T4_T5_mT6_P12ihipStream_tbENKUlT_T0_E_clISt17integral_constantIbLb1EESU_EEDaSP_SQ_EUlSP_E0_NS1_11comp_targetILNS1_3genE10ELNS1_11target_archE1201ELNS1_3gpuE5ELNS1_3repE0EEENS1_30default_config_static_selectorELNS0_4arch9wavefront6targetE1EEEvT1_,"axG",@progbits,_ZN7rocprim17ROCPRIM_400000_NS6detail17trampoline_kernelINS0_14default_configENS1_20scan_config_selectorIdEEZZNS1_9scan_implILNS1_25lookback_scan_determinismE0ELb0ELb0ES3_N6thrust23THRUST_200600_302600_NS6detail15normal_iteratorINS9_10device_ptrIdEEEESE_dNS9_4plusIvEEdEEDaPvRmT3_T4_T5_mT6_P12ihipStream_tbENKUlT_T0_E_clISt17integral_constantIbLb1EESU_EEDaSP_SQ_EUlSP_E0_NS1_11comp_targetILNS1_3genE10ELNS1_11target_archE1201ELNS1_3gpuE5ELNS1_3repE0EEENS1_30default_config_static_selectorELNS0_4arch9wavefront6targetE1EEEvT1_,comdat
.Lfunc_end4174:
	.size	_ZN7rocprim17ROCPRIM_400000_NS6detail17trampoline_kernelINS0_14default_configENS1_20scan_config_selectorIdEEZZNS1_9scan_implILNS1_25lookback_scan_determinismE0ELb0ELb0ES3_N6thrust23THRUST_200600_302600_NS6detail15normal_iteratorINS9_10device_ptrIdEEEESE_dNS9_4plusIvEEdEEDaPvRmT3_T4_T5_mT6_P12ihipStream_tbENKUlT_T0_E_clISt17integral_constantIbLb1EESU_EEDaSP_SQ_EUlSP_E0_NS1_11comp_targetILNS1_3genE10ELNS1_11target_archE1201ELNS1_3gpuE5ELNS1_3repE0EEENS1_30default_config_static_selectorELNS0_4arch9wavefront6targetE1EEEvT1_, .Lfunc_end4174-_ZN7rocprim17ROCPRIM_400000_NS6detail17trampoline_kernelINS0_14default_configENS1_20scan_config_selectorIdEEZZNS1_9scan_implILNS1_25lookback_scan_determinismE0ELb0ELb0ES3_N6thrust23THRUST_200600_302600_NS6detail15normal_iteratorINS9_10device_ptrIdEEEESE_dNS9_4plusIvEEdEEDaPvRmT3_T4_T5_mT6_P12ihipStream_tbENKUlT_T0_E_clISt17integral_constantIbLb1EESU_EEDaSP_SQ_EUlSP_E0_NS1_11comp_targetILNS1_3genE10ELNS1_11target_archE1201ELNS1_3gpuE5ELNS1_3repE0EEENS1_30default_config_static_selectorELNS0_4arch9wavefront6targetE1EEEvT1_
                                        ; -- End function
	.section	.AMDGPU.csdata,"",@progbits
; Kernel info:
; codeLenInByte = 0
; NumSgprs: 4
; NumVgprs: 0
; NumAgprs: 0
; TotalNumVgprs: 0
; ScratchSize: 0
; MemoryBound: 0
; FloatMode: 240
; IeeeMode: 1
; LDSByteSize: 0 bytes/workgroup (compile time only)
; SGPRBlocks: 0
; VGPRBlocks: 0
; NumSGPRsForWavesPerEU: 4
; NumVGPRsForWavesPerEU: 1
; AccumOffset: 4
; Occupancy: 8
; WaveLimiterHint : 0
; COMPUTE_PGM_RSRC2:SCRATCH_EN: 0
; COMPUTE_PGM_RSRC2:USER_SGPR: 6
; COMPUTE_PGM_RSRC2:TRAP_HANDLER: 0
; COMPUTE_PGM_RSRC2:TGID_X_EN: 1
; COMPUTE_PGM_RSRC2:TGID_Y_EN: 0
; COMPUTE_PGM_RSRC2:TGID_Z_EN: 0
; COMPUTE_PGM_RSRC2:TIDIG_COMP_CNT: 0
; COMPUTE_PGM_RSRC3_GFX90A:ACCUM_OFFSET: 0
; COMPUTE_PGM_RSRC3_GFX90A:TG_SPLIT: 0
	.section	.text._ZN7rocprim17ROCPRIM_400000_NS6detail17trampoline_kernelINS0_14default_configENS1_20scan_config_selectorIdEEZZNS1_9scan_implILNS1_25lookback_scan_determinismE0ELb0ELb0ES3_N6thrust23THRUST_200600_302600_NS6detail15normal_iteratorINS9_10device_ptrIdEEEESE_dNS9_4plusIvEEdEEDaPvRmT3_T4_T5_mT6_P12ihipStream_tbENKUlT_T0_E_clISt17integral_constantIbLb1EESU_EEDaSP_SQ_EUlSP_E0_NS1_11comp_targetILNS1_3genE10ELNS1_11target_archE1200ELNS1_3gpuE4ELNS1_3repE0EEENS1_30default_config_static_selectorELNS0_4arch9wavefront6targetE1EEEvT1_,"axG",@progbits,_ZN7rocprim17ROCPRIM_400000_NS6detail17trampoline_kernelINS0_14default_configENS1_20scan_config_selectorIdEEZZNS1_9scan_implILNS1_25lookback_scan_determinismE0ELb0ELb0ES3_N6thrust23THRUST_200600_302600_NS6detail15normal_iteratorINS9_10device_ptrIdEEEESE_dNS9_4plusIvEEdEEDaPvRmT3_T4_T5_mT6_P12ihipStream_tbENKUlT_T0_E_clISt17integral_constantIbLb1EESU_EEDaSP_SQ_EUlSP_E0_NS1_11comp_targetILNS1_3genE10ELNS1_11target_archE1200ELNS1_3gpuE4ELNS1_3repE0EEENS1_30default_config_static_selectorELNS0_4arch9wavefront6targetE1EEEvT1_,comdat
	.protected	_ZN7rocprim17ROCPRIM_400000_NS6detail17trampoline_kernelINS0_14default_configENS1_20scan_config_selectorIdEEZZNS1_9scan_implILNS1_25lookback_scan_determinismE0ELb0ELb0ES3_N6thrust23THRUST_200600_302600_NS6detail15normal_iteratorINS9_10device_ptrIdEEEESE_dNS9_4plusIvEEdEEDaPvRmT3_T4_T5_mT6_P12ihipStream_tbENKUlT_T0_E_clISt17integral_constantIbLb1EESU_EEDaSP_SQ_EUlSP_E0_NS1_11comp_targetILNS1_3genE10ELNS1_11target_archE1200ELNS1_3gpuE4ELNS1_3repE0EEENS1_30default_config_static_selectorELNS0_4arch9wavefront6targetE1EEEvT1_ ; -- Begin function _ZN7rocprim17ROCPRIM_400000_NS6detail17trampoline_kernelINS0_14default_configENS1_20scan_config_selectorIdEEZZNS1_9scan_implILNS1_25lookback_scan_determinismE0ELb0ELb0ES3_N6thrust23THRUST_200600_302600_NS6detail15normal_iteratorINS9_10device_ptrIdEEEESE_dNS9_4plusIvEEdEEDaPvRmT3_T4_T5_mT6_P12ihipStream_tbENKUlT_T0_E_clISt17integral_constantIbLb1EESU_EEDaSP_SQ_EUlSP_E0_NS1_11comp_targetILNS1_3genE10ELNS1_11target_archE1200ELNS1_3gpuE4ELNS1_3repE0EEENS1_30default_config_static_selectorELNS0_4arch9wavefront6targetE1EEEvT1_
	.globl	_ZN7rocprim17ROCPRIM_400000_NS6detail17trampoline_kernelINS0_14default_configENS1_20scan_config_selectorIdEEZZNS1_9scan_implILNS1_25lookback_scan_determinismE0ELb0ELb0ES3_N6thrust23THRUST_200600_302600_NS6detail15normal_iteratorINS9_10device_ptrIdEEEESE_dNS9_4plusIvEEdEEDaPvRmT3_T4_T5_mT6_P12ihipStream_tbENKUlT_T0_E_clISt17integral_constantIbLb1EESU_EEDaSP_SQ_EUlSP_E0_NS1_11comp_targetILNS1_3genE10ELNS1_11target_archE1200ELNS1_3gpuE4ELNS1_3repE0EEENS1_30default_config_static_selectorELNS0_4arch9wavefront6targetE1EEEvT1_
	.p2align	8
	.type	_ZN7rocprim17ROCPRIM_400000_NS6detail17trampoline_kernelINS0_14default_configENS1_20scan_config_selectorIdEEZZNS1_9scan_implILNS1_25lookback_scan_determinismE0ELb0ELb0ES3_N6thrust23THRUST_200600_302600_NS6detail15normal_iteratorINS9_10device_ptrIdEEEESE_dNS9_4plusIvEEdEEDaPvRmT3_T4_T5_mT6_P12ihipStream_tbENKUlT_T0_E_clISt17integral_constantIbLb1EESU_EEDaSP_SQ_EUlSP_E0_NS1_11comp_targetILNS1_3genE10ELNS1_11target_archE1200ELNS1_3gpuE4ELNS1_3repE0EEENS1_30default_config_static_selectorELNS0_4arch9wavefront6targetE1EEEvT1_,@function
_ZN7rocprim17ROCPRIM_400000_NS6detail17trampoline_kernelINS0_14default_configENS1_20scan_config_selectorIdEEZZNS1_9scan_implILNS1_25lookback_scan_determinismE0ELb0ELb0ES3_N6thrust23THRUST_200600_302600_NS6detail15normal_iteratorINS9_10device_ptrIdEEEESE_dNS9_4plusIvEEdEEDaPvRmT3_T4_T5_mT6_P12ihipStream_tbENKUlT_T0_E_clISt17integral_constantIbLb1EESU_EEDaSP_SQ_EUlSP_E0_NS1_11comp_targetILNS1_3genE10ELNS1_11target_archE1200ELNS1_3gpuE4ELNS1_3repE0EEENS1_30default_config_static_selectorELNS0_4arch9wavefront6targetE1EEEvT1_: ; @_ZN7rocprim17ROCPRIM_400000_NS6detail17trampoline_kernelINS0_14default_configENS1_20scan_config_selectorIdEEZZNS1_9scan_implILNS1_25lookback_scan_determinismE0ELb0ELb0ES3_N6thrust23THRUST_200600_302600_NS6detail15normal_iteratorINS9_10device_ptrIdEEEESE_dNS9_4plusIvEEdEEDaPvRmT3_T4_T5_mT6_P12ihipStream_tbENKUlT_T0_E_clISt17integral_constantIbLb1EESU_EEDaSP_SQ_EUlSP_E0_NS1_11comp_targetILNS1_3genE10ELNS1_11target_archE1200ELNS1_3gpuE4ELNS1_3repE0EEENS1_30default_config_static_selectorELNS0_4arch9wavefront6targetE1EEEvT1_
; %bb.0:
	.section	.rodata,"a",@progbits
	.p2align	6, 0x0
	.amdhsa_kernel _ZN7rocprim17ROCPRIM_400000_NS6detail17trampoline_kernelINS0_14default_configENS1_20scan_config_selectorIdEEZZNS1_9scan_implILNS1_25lookback_scan_determinismE0ELb0ELb0ES3_N6thrust23THRUST_200600_302600_NS6detail15normal_iteratorINS9_10device_ptrIdEEEESE_dNS9_4plusIvEEdEEDaPvRmT3_T4_T5_mT6_P12ihipStream_tbENKUlT_T0_E_clISt17integral_constantIbLb1EESU_EEDaSP_SQ_EUlSP_E0_NS1_11comp_targetILNS1_3genE10ELNS1_11target_archE1200ELNS1_3gpuE4ELNS1_3repE0EEENS1_30default_config_static_selectorELNS0_4arch9wavefront6targetE1EEEvT1_
		.amdhsa_group_segment_fixed_size 0
		.amdhsa_private_segment_fixed_size 0
		.amdhsa_kernarg_size 40
		.amdhsa_user_sgpr_count 6
		.amdhsa_user_sgpr_private_segment_buffer 1
		.amdhsa_user_sgpr_dispatch_ptr 0
		.amdhsa_user_sgpr_queue_ptr 0
		.amdhsa_user_sgpr_kernarg_segment_ptr 1
		.amdhsa_user_sgpr_dispatch_id 0
		.amdhsa_user_sgpr_flat_scratch_init 0
		.amdhsa_user_sgpr_kernarg_preload_length 0
		.amdhsa_user_sgpr_kernarg_preload_offset 0
		.amdhsa_user_sgpr_private_segment_size 0
		.amdhsa_uses_dynamic_stack 0
		.amdhsa_system_sgpr_private_segment_wavefront_offset 0
		.amdhsa_system_sgpr_workgroup_id_x 1
		.amdhsa_system_sgpr_workgroup_id_y 0
		.amdhsa_system_sgpr_workgroup_id_z 0
		.amdhsa_system_sgpr_workgroup_info 0
		.amdhsa_system_vgpr_workitem_id 0
		.amdhsa_next_free_vgpr 1
		.amdhsa_next_free_sgpr 0
		.amdhsa_accum_offset 4
		.amdhsa_reserve_vcc 0
		.amdhsa_reserve_flat_scratch 0
		.amdhsa_float_round_mode_32 0
		.amdhsa_float_round_mode_16_64 0
		.amdhsa_float_denorm_mode_32 3
		.amdhsa_float_denorm_mode_16_64 3
		.amdhsa_dx10_clamp 1
		.amdhsa_ieee_mode 1
		.amdhsa_fp16_overflow 0
		.amdhsa_tg_split 0
		.amdhsa_exception_fp_ieee_invalid_op 0
		.amdhsa_exception_fp_denorm_src 0
		.amdhsa_exception_fp_ieee_div_zero 0
		.amdhsa_exception_fp_ieee_overflow 0
		.amdhsa_exception_fp_ieee_underflow 0
		.amdhsa_exception_fp_ieee_inexact 0
		.amdhsa_exception_int_div_zero 0
	.end_amdhsa_kernel
	.section	.text._ZN7rocprim17ROCPRIM_400000_NS6detail17trampoline_kernelINS0_14default_configENS1_20scan_config_selectorIdEEZZNS1_9scan_implILNS1_25lookback_scan_determinismE0ELb0ELb0ES3_N6thrust23THRUST_200600_302600_NS6detail15normal_iteratorINS9_10device_ptrIdEEEESE_dNS9_4plusIvEEdEEDaPvRmT3_T4_T5_mT6_P12ihipStream_tbENKUlT_T0_E_clISt17integral_constantIbLb1EESU_EEDaSP_SQ_EUlSP_E0_NS1_11comp_targetILNS1_3genE10ELNS1_11target_archE1200ELNS1_3gpuE4ELNS1_3repE0EEENS1_30default_config_static_selectorELNS0_4arch9wavefront6targetE1EEEvT1_,"axG",@progbits,_ZN7rocprim17ROCPRIM_400000_NS6detail17trampoline_kernelINS0_14default_configENS1_20scan_config_selectorIdEEZZNS1_9scan_implILNS1_25lookback_scan_determinismE0ELb0ELb0ES3_N6thrust23THRUST_200600_302600_NS6detail15normal_iteratorINS9_10device_ptrIdEEEESE_dNS9_4plusIvEEdEEDaPvRmT3_T4_T5_mT6_P12ihipStream_tbENKUlT_T0_E_clISt17integral_constantIbLb1EESU_EEDaSP_SQ_EUlSP_E0_NS1_11comp_targetILNS1_3genE10ELNS1_11target_archE1200ELNS1_3gpuE4ELNS1_3repE0EEENS1_30default_config_static_selectorELNS0_4arch9wavefront6targetE1EEEvT1_,comdat
.Lfunc_end4175:
	.size	_ZN7rocprim17ROCPRIM_400000_NS6detail17trampoline_kernelINS0_14default_configENS1_20scan_config_selectorIdEEZZNS1_9scan_implILNS1_25lookback_scan_determinismE0ELb0ELb0ES3_N6thrust23THRUST_200600_302600_NS6detail15normal_iteratorINS9_10device_ptrIdEEEESE_dNS9_4plusIvEEdEEDaPvRmT3_T4_T5_mT6_P12ihipStream_tbENKUlT_T0_E_clISt17integral_constantIbLb1EESU_EEDaSP_SQ_EUlSP_E0_NS1_11comp_targetILNS1_3genE10ELNS1_11target_archE1200ELNS1_3gpuE4ELNS1_3repE0EEENS1_30default_config_static_selectorELNS0_4arch9wavefront6targetE1EEEvT1_, .Lfunc_end4175-_ZN7rocprim17ROCPRIM_400000_NS6detail17trampoline_kernelINS0_14default_configENS1_20scan_config_selectorIdEEZZNS1_9scan_implILNS1_25lookback_scan_determinismE0ELb0ELb0ES3_N6thrust23THRUST_200600_302600_NS6detail15normal_iteratorINS9_10device_ptrIdEEEESE_dNS9_4plusIvEEdEEDaPvRmT3_T4_T5_mT6_P12ihipStream_tbENKUlT_T0_E_clISt17integral_constantIbLb1EESU_EEDaSP_SQ_EUlSP_E0_NS1_11comp_targetILNS1_3genE10ELNS1_11target_archE1200ELNS1_3gpuE4ELNS1_3repE0EEENS1_30default_config_static_selectorELNS0_4arch9wavefront6targetE1EEEvT1_
                                        ; -- End function
	.section	.AMDGPU.csdata,"",@progbits
; Kernel info:
; codeLenInByte = 0
; NumSgprs: 4
; NumVgprs: 0
; NumAgprs: 0
; TotalNumVgprs: 0
; ScratchSize: 0
; MemoryBound: 0
; FloatMode: 240
; IeeeMode: 1
; LDSByteSize: 0 bytes/workgroup (compile time only)
; SGPRBlocks: 0
; VGPRBlocks: 0
; NumSGPRsForWavesPerEU: 4
; NumVGPRsForWavesPerEU: 1
; AccumOffset: 4
; Occupancy: 8
; WaveLimiterHint : 0
; COMPUTE_PGM_RSRC2:SCRATCH_EN: 0
; COMPUTE_PGM_RSRC2:USER_SGPR: 6
; COMPUTE_PGM_RSRC2:TRAP_HANDLER: 0
; COMPUTE_PGM_RSRC2:TGID_X_EN: 1
; COMPUTE_PGM_RSRC2:TGID_Y_EN: 0
; COMPUTE_PGM_RSRC2:TGID_Z_EN: 0
; COMPUTE_PGM_RSRC2:TIDIG_COMP_CNT: 0
; COMPUTE_PGM_RSRC3_GFX90A:ACCUM_OFFSET: 0
; COMPUTE_PGM_RSRC3_GFX90A:TG_SPLIT: 0
	.section	.text._ZN7rocprim17ROCPRIM_400000_NS6detail17trampoline_kernelINS0_14default_configENS1_20scan_config_selectorIdEEZZNS1_9scan_implILNS1_25lookback_scan_determinismE0ELb0ELb0ES3_N6thrust23THRUST_200600_302600_NS6detail15normal_iteratorINS9_10device_ptrIdEEEESE_dNS9_4plusIvEEdEEDaPvRmT3_T4_T5_mT6_P12ihipStream_tbENKUlT_T0_E_clISt17integral_constantIbLb1EESU_EEDaSP_SQ_EUlSP_E0_NS1_11comp_targetILNS1_3genE9ELNS1_11target_archE1100ELNS1_3gpuE3ELNS1_3repE0EEENS1_30default_config_static_selectorELNS0_4arch9wavefront6targetE1EEEvT1_,"axG",@progbits,_ZN7rocprim17ROCPRIM_400000_NS6detail17trampoline_kernelINS0_14default_configENS1_20scan_config_selectorIdEEZZNS1_9scan_implILNS1_25lookback_scan_determinismE0ELb0ELb0ES3_N6thrust23THRUST_200600_302600_NS6detail15normal_iteratorINS9_10device_ptrIdEEEESE_dNS9_4plusIvEEdEEDaPvRmT3_T4_T5_mT6_P12ihipStream_tbENKUlT_T0_E_clISt17integral_constantIbLb1EESU_EEDaSP_SQ_EUlSP_E0_NS1_11comp_targetILNS1_3genE9ELNS1_11target_archE1100ELNS1_3gpuE3ELNS1_3repE0EEENS1_30default_config_static_selectorELNS0_4arch9wavefront6targetE1EEEvT1_,comdat
	.protected	_ZN7rocprim17ROCPRIM_400000_NS6detail17trampoline_kernelINS0_14default_configENS1_20scan_config_selectorIdEEZZNS1_9scan_implILNS1_25lookback_scan_determinismE0ELb0ELb0ES3_N6thrust23THRUST_200600_302600_NS6detail15normal_iteratorINS9_10device_ptrIdEEEESE_dNS9_4plusIvEEdEEDaPvRmT3_T4_T5_mT6_P12ihipStream_tbENKUlT_T0_E_clISt17integral_constantIbLb1EESU_EEDaSP_SQ_EUlSP_E0_NS1_11comp_targetILNS1_3genE9ELNS1_11target_archE1100ELNS1_3gpuE3ELNS1_3repE0EEENS1_30default_config_static_selectorELNS0_4arch9wavefront6targetE1EEEvT1_ ; -- Begin function _ZN7rocprim17ROCPRIM_400000_NS6detail17trampoline_kernelINS0_14default_configENS1_20scan_config_selectorIdEEZZNS1_9scan_implILNS1_25lookback_scan_determinismE0ELb0ELb0ES3_N6thrust23THRUST_200600_302600_NS6detail15normal_iteratorINS9_10device_ptrIdEEEESE_dNS9_4plusIvEEdEEDaPvRmT3_T4_T5_mT6_P12ihipStream_tbENKUlT_T0_E_clISt17integral_constantIbLb1EESU_EEDaSP_SQ_EUlSP_E0_NS1_11comp_targetILNS1_3genE9ELNS1_11target_archE1100ELNS1_3gpuE3ELNS1_3repE0EEENS1_30default_config_static_selectorELNS0_4arch9wavefront6targetE1EEEvT1_
	.globl	_ZN7rocprim17ROCPRIM_400000_NS6detail17trampoline_kernelINS0_14default_configENS1_20scan_config_selectorIdEEZZNS1_9scan_implILNS1_25lookback_scan_determinismE0ELb0ELb0ES3_N6thrust23THRUST_200600_302600_NS6detail15normal_iteratorINS9_10device_ptrIdEEEESE_dNS9_4plusIvEEdEEDaPvRmT3_T4_T5_mT6_P12ihipStream_tbENKUlT_T0_E_clISt17integral_constantIbLb1EESU_EEDaSP_SQ_EUlSP_E0_NS1_11comp_targetILNS1_3genE9ELNS1_11target_archE1100ELNS1_3gpuE3ELNS1_3repE0EEENS1_30default_config_static_selectorELNS0_4arch9wavefront6targetE1EEEvT1_
	.p2align	8
	.type	_ZN7rocprim17ROCPRIM_400000_NS6detail17trampoline_kernelINS0_14default_configENS1_20scan_config_selectorIdEEZZNS1_9scan_implILNS1_25lookback_scan_determinismE0ELb0ELb0ES3_N6thrust23THRUST_200600_302600_NS6detail15normal_iteratorINS9_10device_ptrIdEEEESE_dNS9_4plusIvEEdEEDaPvRmT3_T4_T5_mT6_P12ihipStream_tbENKUlT_T0_E_clISt17integral_constantIbLb1EESU_EEDaSP_SQ_EUlSP_E0_NS1_11comp_targetILNS1_3genE9ELNS1_11target_archE1100ELNS1_3gpuE3ELNS1_3repE0EEENS1_30default_config_static_selectorELNS0_4arch9wavefront6targetE1EEEvT1_,@function
_ZN7rocprim17ROCPRIM_400000_NS6detail17trampoline_kernelINS0_14default_configENS1_20scan_config_selectorIdEEZZNS1_9scan_implILNS1_25lookback_scan_determinismE0ELb0ELb0ES3_N6thrust23THRUST_200600_302600_NS6detail15normal_iteratorINS9_10device_ptrIdEEEESE_dNS9_4plusIvEEdEEDaPvRmT3_T4_T5_mT6_P12ihipStream_tbENKUlT_T0_E_clISt17integral_constantIbLb1EESU_EEDaSP_SQ_EUlSP_E0_NS1_11comp_targetILNS1_3genE9ELNS1_11target_archE1100ELNS1_3gpuE3ELNS1_3repE0EEENS1_30default_config_static_selectorELNS0_4arch9wavefront6targetE1EEEvT1_: ; @_ZN7rocprim17ROCPRIM_400000_NS6detail17trampoline_kernelINS0_14default_configENS1_20scan_config_selectorIdEEZZNS1_9scan_implILNS1_25lookback_scan_determinismE0ELb0ELb0ES3_N6thrust23THRUST_200600_302600_NS6detail15normal_iteratorINS9_10device_ptrIdEEEESE_dNS9_4plusIvEEdEEDaPvRmT3_T4_T5_mT6_P12ihipStream_tbENKUlT_T0_E_clISt17integral_constantIbLb1EESU_EEDaSP_SQ_EUlSP_E0_NS1_11comp_targetILNS1_3genE9ELNS1_11target_archE1100ELNS1_3gpuE3ELNS1_3repE0EEENS1_30default_config_static_selectorELNS0_4arch9wavefront6targetE1EEEvT1_
; %bb.0:
	.section	.rodata,"a",@progbits
	.p2align	6, 0x0
	.amdhsa_kernel _ZN7rocprim17ROCPRIM_400000_NS6detail17trampoline_kernelINS0_14default_configENS1_20scan_config_selectorIdEEZZNS1_9scan_implILNS1_25lookback_scan_determinismE0ELb0ELb0ES3_N6thrust23THRUST_200600_302600_NS6detail15normal_iteratorINS9_10device_ptrIdEEEESE_dNS9_4plusIvEEdEEDaPvRmT3_T4_T5_mT6_P12ihipStream_tbENKUlT_T0_E_clISt17integral_constantIbLb1EESU_EEDaSP_SQ_EUlSP_E0_NS1_11comp_targetILNS1_3genE9ELNS1_11target_archE1100ELNS1_3gpuE3ELNS1_3repE0EEENS1_30default_config_static_selectorELNS0_4arch9wavefront6targetE1EEEvT1_
		.amdhsa_group_segment_fixed_size 0
		.amdhsa_private_segment_fixed_size 0
		.amdhsa_kernarg_size 40
		.amdhsa_user_sgpr_count 6
		.amdhsa_user_sgpr_private_segment_buffer 1
		.amdhsa_user_sgpr_dispatch_ptr 0
		.amdhsa_user_sgpr_queue_ptr 0
		.amdhsa_user_sgpr_kernarg_segment_ptr 1
		.amdhsa_user_sgpr_dispatch_id 0
		.amdhsa_user_sgpr_flat_scratch_init 0
		.amdhsa_user_sgpr_kernarg_preload_length 0
		.amdhsa_user_sgpr_kernarg_preload_offset 0
		.amdhsa_user_sgpr_private_segment_size 0
		.amdhsa_uses_dynamic_stack 0
		.amdhsa_system_sgpr_private_segment_wavefront_offset 0
		.amdhsa_system_sgpr_workgroup_id_x 1
		.amdhsa_system_sgpr_workgroup_id_y 0
		.amdhsa_system_sgpr_workgroup_id_z 0
		.amdhsa_system_sgpr_workgroup_info 0
		.amdhsa_system_vgpr_workitem_id 0
		.amdhsa_next_free_vgpr 1
		.amdhsa_next_free_sgpr 0
		.amdhsa_accum_offset 4
		.amdhsa_reserve_vcc 0
		.amdhsa_reserve_flat_scratch 0
		.amdhsa_float_round_mode_32 0
		.amdhsa_float_round_mode_16_64 0
		.amdhsa_float_denorm_mode_32 3
		.amdhsa_float_denorm_mode_16_64 3
		.amdhsa_dx10_clamp 1
		.amdhsa_ieee_mode 1
		.amdhsa_fp16_overflow 0
		.amdhsa_tg_split 0
		.amdhsa_exception_fp_ieee_invalid_op 0
		.amdhsa_exception_fp_denorm_src 0
		.amdhsa_exception_fp_ieee_div_zero 0
		.amdhsa_exception_fp_ieee_overflow 0
		.amdhsa_exception_fp_ieee_underflow 0
		.amdhsa_exception_fp_ieee_inexact 0
		.amdhsa_exception_int_div_zero 0
	.end_amdhsa_kernel
	.section	.text._ZN7rocprim17ROCPRIM_400000_NS6detail17trampoline_kernelINS0_14default_configENS1_20scan_config_selectorIdEEZZNS1_9scan_implILNS1_25lookback_scan_determinismE0ELb0ELb0ES3_N6thrust23THRUST_200600_302600_NS6detail15normal_iteratorINS9_10device_ptrIdEEEESE_dNS9_4plusIvEEdEEDaPvRmT3_T4_T5_mT6_P12ihipStream_tbENKUlT_T0_E_clISt17integral_constantIbLb1EESU_EEDaSP_SQ_EUlSP_E0_NS1_11comp_targetILNS1_3genE9ELNS1_11target_archE1100ELNS1_3gpuE3ELNS1_3repE0EEENS1_30default_config_static_selectorELNS0_4arch9wavefront6targetE1EEEvT1_,"axG",@progbits,_ZN7rocprim17ROCPRIM_400000_NS6detail17trampoline_kernelINS0_14default_configENS1_20scan_config_selectorIdEEZZNS1_9scan_implILNS1_25lookback_scan_determinismE0ELb0ELb0ES3_N6thrust23THRUST_200600_302600_NS6detail15normal_iteratorINS9_10device_ptrIdEEEESE_dNS9_4plusIvEEdEEDaPvRmT3_T4_T5_mT6_P12ihipStream_tbENKUlT_T0_E_clISt17integral_constantIbLb1EESU_EEDaSP_SQ_EUlSP_E0_NS1_11comp_targetILNS1_3genE9ELNS1_11target_archE1100ELNS1_3gpuE3ELNS1_3repE0EEENS1_30default_config_static_selectorELNS0_4arch9wavefront6targetE1EEEvT1_,comdat
.Lfunc_end4176:
	.size	_ZN7rocprim17ROCPRIM_400000_NS6detail17trampoline_kernelINS0_14default_configENS1_20scan_config_selectorIdEEZZNS1_9scan_implILNS1_25lookback_scan_determinismE0ELb0ELb0ES3_N6thrust23THRUST_200600_302600_NS6detail15normal_iteratorINS9_10device_ptrIdEEEESE_dNS9_4plusIvEEdEEDaPvRmT3_T4_T5_mT6_P12ihipStream_tbENKUlT_T0_E_clISt17integral_constantIbLb1EESU_EEDaSP_SQ_EUlSP_E0_NS1_11comp_targetILNS1_3genE9ELNS1_11target_archE1100ELNS1_3gpuE3ELNS1_3repE0EEENS1_30default_config_static_selectorELNS0_4arch9wavefront6targetE1EEEvT1_, .Lfunc_end4176-_ZN7rocprim17ROCPRIM_400000_NS6detail17trampoline_kernelINS0_14default_configENS1_20scan_config_selectorIdEEZZNS1_9scan_implILNS1_25lookback_scan_determinismE0ELb0ELb0ES3_N6thrust23THRUST_200600_302600_NS6detail15normal_iteratorINS9_10device_ptrIdEEEESE_dNS9_4plusIvEEdEEDaPvRmT3_T4_T5_mT6_P12ihipStream_tbENKUlT_T0_E_clISt17integral_constantIbLb1EESU_EEDaSP_SQ_EUlSP_E0_NS1_11comp_targetILNS1_3genE9ELNS1_11target_archE1100ELNS1_3gpuE3ELNS1_3repE0EEENS1_30default_config_static_selectorELNS0_4arch9wavefront6targetE1EEEvT1_
                                        ; -- End function
	.section	.AMDGPU.csdata,"",@progbits
; Kernel info:
; codeLenInByte = 0
; NumSgprs: 4
; NumVgprs: 0
; NumAgprs: 0
; TotalNumVgprs: 0
; ScratchSize: 0
; MemoryBound: 0
; FloatMode: 240
; IeeeMode: 1
; LDSByteSize: 0 bytes/workgroup (compile time only)
; SGPRBlocks: 0
; VGPRBlocks: 0
; NumSGPRsForWavesPerEU: 4
; NumVGPRsForWavesPerEU: 1
; AccumOffset: 4
; Occupancy: 8
; WaveLimiterHint : 0
; COMPUTE_PGM_RSRC2:SCRATCH_EN: 0
; COMPUTE_PGM_RSRC2:USER_SGPR: 6
; COMPUTE_PGM_RSRC2:TRAP_HANDLER: 0
; COMPUTE_PGM_RSRC2:TGID_X_EN: 1
; COMPUTE_PGM_RSRC2:TGID_Y_EN: 0
; COMPUTE_PGM_RSRC2:TGID_Z_EN: 0
; COMPUTE_PGM_RSRC2:TIDIG_COMP_CNT: 0
; COMPUTE_PGM_RSRC3_GFX90A:ACCUM_OFFSET: 0
; COMPUTE_PGM_RSRC3_GFX90A:TG_SPLIT: 0
	.section	.text._ZN7rocprim17ROCPRIM_400000_NS6detail17trampoline_kernelINS0_14default_configENS1_20scan_config_selectorIdEEZZNS1_9scan_implILNS1_25lookback_scan_determinismE0ELb0ELb0ES3_N6thrust23THRUST_200600_302600_NS6detail15normal_iteratorINS9_10device_ptrIdEEEESE_dNS9_4plusIvEEdEEDaPvRmT3_T4_T5_mT6_P12ihipStream_tbENKUlT_T0_E_clISt17integral_constantIbLb1EESU_EEDaSP_SQ_EUlSP_E0_NS1_11comp_targetILNS1_3genE8ELNS1_11target_archE1030ELNS1_3gpuE2ELNS1_3repE0EEENS1_30default_config_static_selectorELNS0_4arch9wavefront6targetE1EEEvT1_,"axG",@progbits,_ZN7rocprim17ROCPRIM_400000_NS6detail17trampoline_kernelINS0_14default_configENS1_20scan_config_selectorIdEEZZNS1_9scan_implILNS1_25lookback_scan_determinismE0ELb0ELb0ES3_N6thrust23THRUST_200600_302600_NS6detail15normal_iteratorINS9_10device_ptrIdEEEESE_dNS9_4plusIvEEdEEDaPvRmT3_T4_T5_mT6_P12ihipStream_tbENKUlT_T0_E_clISt17integral_constantIbLb1EESU_EEDaSP_SQ_EUlSP_E0_NS1_11comp_targetILNS1_3genE8ELNS1_11target_archE1030ELNS1_3gpuE2ELNS1_3repE0EEENS1_30default_config_static_selectorELNS0_4arch9wavefront6targetE1EEEvT1_,comdat
	.protected	_ZN7rocprim17ROCPRIM_400000_NS6detail17trampoline_kernelINS0_14default_configENS1_20scan_config_selectorIdEEZZNS1_9scan_implILNS1_25lookback_scan_determinismE0ELb0ELb0ES3_N6thrust23THRUST_200600_302600_NS6detail15normal_iteratorINS9_10device_ptrIdEEEESE_dNS9_4plusIvEEdEEDaPvRmT3_T4_T5_mT6_P12ihipStream_tbENKUlT_T0_E_clISt17integral_constantIbLb1EESU_EEDaSP_SQ_EUlSP_E0_NS1_11comp_targetILNS1_3genE8ELNS1_11target_archE1030ELNS1_3gpuE2ELNS1_3repE0EEENS1_30default_config_static_selectorELNS0_4arch9wavefront6targetE1EEEvT1_ ; -- Begin function _ZN7rocprim17ROCPRIM_400000_NS6detail17trampoline_kernelINS0_14default_configENS1_20scan_config_selectorIdEEZZNS1_9scan_implILNS1_25lookback_scan_determinismE0ELb0ELb0ES3_N6thrust23THRUST_200600_302600_NS6detail15normal_iteratorINS9_10device_ptrIdEEEESE_dNS9_4plusIvEEdEEDaPvRmT3_T4_T5_mT6_P12ihipStream_tbENKUlT_T0_E_clISt17integral_constantIbLb1EESU_EEDaSP_SQ_EUlSP_E0_NS1_11comp_targetILNS1_3genE8ELNS1_11target_archE1030ELNS1_3gpuE2ELNS1_3repE0EEENS1_30default_config_static_selectorELNS0_4arch9wavefront6targetE1EEEvT1_
	.globl	_ZN7rocprim17ROCPRIM_400000_NS6detail17trampoline_kernelINS0_14default_configENS1_20scan_config_selectorIdEEZZNS1_9scan_implILNS1_25lookback_scan_determinismE0ELb0ELb0ES3_N6thrust23THRUST_200600_302600_NS6detail15normal_iteratorINS9_10device_ptrIdEEEESE_dNS9_4plusIvEEdEEDaPvRmT3_T4_T5_mT6_P12ihipStream_tbENKUlT_T0_E_clISt17integral_constantIbLb1EESU_EEDaSP_SQ_EUlSP_E0_NS1_11comp_targetILNS1_3genE8ELNS1_11target_archE1030ELNS1_3gpuE2ELNS1_3repE0EEENS1_30default_config_static_selectorELNS0_4arch9wavefront6targetE1EEEvT1_
	.p2align	8
	.type	_ZN7rocprim17ROCPRIM_400000_NS6detail17trampoline_kernelINS0_14default_configENS1_20scan_config_selectorIdEEZZNS1_9scan_implILNS1_25lookback_scan_determinismE0ELb0ELb0ES3_N6thrust23THRUST_200600_302600_NS6detail15normal_iteratorINS9_10device_ptrIdEEEESE_dNS9_4plusIvEEdEEDaPvRmT3_T4_T5_mT6_P12ihipStream_tbENKUlT_T0_E_clISt17integral_constantIbLb1EESU_EEDaSP_SQ_EUlSP_E0_NS1_11comp_targetILNS1_3genE8ELNS1_11target_archE1030ELNS1_3gpuE2ELNS1_3repE0EEENS1_30default_config_static_selectorELNS0_4arch9wavefront6targetE1EEEvT1_,@function
_ZN7rocprim17ROCPRIM_400000_NS6detail17trampoline_kernelINS0_14default_configENS1_20scan_config_selectorIdEEZZNS1_9scan_implILNS1_25lookback_scan_determinismE0ELb0ELb0ES3_N6thrust23THRUST_200600_302600_NS6detail15normal_iteratorINS9_10device_ptrIdEEEESE_dNS9_4plusIvEEdEEDaPvRmT3_T4_T5_mT6_P12ihipStream_tbENKUlT_T0_E_clISt17integral_constantIbLb1EESU_EEDaSP_SQ_EUlSP_E0_NS1_11comp_targetILNS1_3genE8ELNS1_11target_archE1030ELNS1_3gpuE2ELNS1_3repE0EEENS1_30default_config_static_selectorELNS0_4arch9wavefront6targetE1EEEvT1_: ; @_ZN7rocprim17ROCPRIM_400000_NS6detail17trampoline_kernelINS0_14default_configENS1_20scan_config_selectorIdEEZZNS1_9scan_implILNS1_25lookback_scan_determinismE0ELb0ELb0ES3_N6thrust23THRUST_200600_302600_NS6detail15normal_iteratorINS9_10device_ptrIdEEEESE_dNS9_4plusIvEEdEEDaPvRmT3_T4_T5_mT6_P12ihipStream_tbENKUlT_T0_E_clISt17integral_constantIbLb1EESU_EEDaSP_SQ_EUlSP_E0_NS1_11comp_targetILNS1_3genE8ELNS1_11target_archE1030ELNS1_3gpuE2ELNS1_3repE0EEENS1_30default_config_static_selectorELNS0_4arch9wavefront6targetE1EEEvT1_
; %bb.0:
	.section	.rodata,"a",@progbits
	.p2align	6, 0x0
	.amdhsa_kernel _ZN7rocprim17ROCPRIM_400000_NS6detail17trampoline_kernelINS0_14default_configENS1_20scan_config_selectorIdEEZZNS1_9scan_implILNS1_25lookback_scan_determinismE0ELb0ELb0ES3_N6thrust23THRUST_200600_302600_NS6detail15normal_iteratorINS9_10device_ptrIdEEEESE_dNS9_4plusIvEEdEEDaPvRmT3_T4_T5_mT6_P12ihipStream_tbENKUlT_T0_E_clISt17integral_constantIbLb1EESU_EEDaSP_SQ_EUlSP_E0_NS1_11comp_targetILNS1_3genE8ELNS1_11target_archE1030ELNS1_3gpuE2ELNS1_3repE0EEENS1_30default_config_static_selectorELNS0_4arch9wavefront6targetE1EEEvT1_
		.amdhsa_group_segment_fixed_size 0
		.amdhsa_private_segment_fixed_size 0
		.amdhsa_kernarg_size 40
		.amdhsa_user_sgpr_count 6
		.amdhsa_user_sgpr_private_segment_buffer 1
		.amdhsa_user_sgpr_dispatch_ptr 0
		.amdhsa_user_sgpr_queue_ptr 0
		.amdhsa_user_sgpr_kernarg_segment_ptr 1
		.amdhsa_user_sgpr_dispatch_id 0
		.amdhsa_user_sgpr_flat_scratch_init 0
		.amdhsa_user_sgpr_kernarg_preload_length 0
		.amdhsa_user_sgpr_kernarg_preload_offset 0
		.amdhsa_user_sgpr_private_segment_size 0
		.amdhsa_uses_dynamic_stack 0
		.amdhsa_system_sgpr_private_segment_wavefront_offset 0
		.amdhsa_system_sgpr_workgroup_id_x 1
		.amdhsa_system_sgpr_workgroup_id_y 0
		.amdhsa_system_sgpr_workgroup_id_z 0
		.amdhsa_system_sgpr_workgroup_info 0
		.amdhsa_system_vgpr_workitem_id 0
		.amdhsa_next_free_vgpr 1
		.amdhsa_next_free_sgpr 0
		.amdhsa_accum_offset 4
		.amdhsa_reserve_vcc 0
		.amdhsa_reserve_flat_scratch 0
		.amdhsa_float_round_mode_32 0
		.amdhsa_float_round_mode_16_64 0
		.amdhsa_float_denorm_mode_32 3
		.amdhsa_float_denorm_mode_16_64 3
		.amdhsa_dx10_clamp 1
		.amdhsa_ieee_mode 1
		.amdhsa_fp16_overflow 0
		.amdhsa_tg_split 0
		.amdhsa_exception_fp_ieee_invalid_op 0
		.amdhsa_exception_fp_denorm_src 0
		.amdhsa_exception_fp_ieee_div_zero 0
		.amdhsa_exception_fp_ieee_overflow 0
		.amdhsa_exception_fp_ieee_underflow 0
		.amdhsa_exception_fp_ieee_inexact 0
		.amdhsa_exception_int_div_zero 0
	.end_amdhsa_kernel
	.section	.text._ZN7rocprim17ROCPRIM_400000_NS6detail17trampoline_kernelINS0_14default_configENS1_20scan_config_selectorIdEEZZNS1_9scan_implILNS1_25lookback_scan_determinismE0ELb0ELb0ES3_N6thrust23THRUST_200600_302600_NS6detail15normal_iteratorINS9_10device_ptrIdEEEESE_dNS9_4plusIvEEdEEDaPvRmT3_T4_T5_mT6_P12ihipStream_tbENKUlT_T0_E_clISt17integral_constantIbLb1EESU_EEDaSP_SQ_EUlSP_E0_NS1_11comp_targetILNS1_3genE8ELNS1_11target_archE1030ELNS1_3gpuE2ELNS1_3repE0EEENS1_30default_config_static_selectorELNS0_4arch9wavefront6targetE1EEEvT1_,"axG",@progbits,_ZN7rocprim17ROCPRIM_400000_NS6detail17trampoline_kernelINS0_14default_configENS1_20scan_config_selectorIdEEZZNS1_9scan_implILNS1_25lookback_scan_determinismE0ELb0ELb0ES3_N6thrust23THRUST_200600_302600_NS6detail15normal_iteratorINS9_10device_ptrIdEEEESE_dNS9_4plusIvEEdEEDaPvRmT3_T4_T5_mT6_P12ihipStream_tbENKUlT_T0_E_clISt17integral_constantIbLb1EESU_EEDaSP_SQ_EUlSP_E0_NS1_11comp_targetILNS1_3genE8ELNS1_11target_archE1030ELNS1_3gpuE2ELNS1_3repE0EEENS1_30default_config_static_selectorELNS0_4arch9wavefront6targetE1EEEvT1_,comdat
.Lfunc_end4177:
	.size	_ZN7rocprim17ROCPRIM_400000_NS6detail17trampoline_kernelINS0_14default_configENS1_20scan_config_selectorIdEEZZNS1_9scan_implILNS1_25lookback_scan_determinismE0ELb0ELb0ES3_N6thrust23THRUST_200600_302600_NS6detail15normal_iteratorINS9_10device_ptrIdEEEESE_dNS9_4plusIvEEdEEDaPvRmT3_T4_T5_mT6_P12ihipStream_tbENKUlT_T0_E_clISt17integral_constantIbLb1EESU_EEDaSP_SQ_EUlSP_E0_NS1_11comp_targetILNS1_3genE8ELNS1_11target_archE1030ELNS1_3gpuE2ELNS1_3repE0EEENS1_30default_config_static_selectorELNS0_4arch9wavefront6targetE1EEEvT1_, .Lfunc_end4177-_ZN7rocprim17ROCPRIM_400000_NS6detail17trampoline_kernelINS0_14default_configENS1_20scan_config_selectorIdEEZZNS1_9scan_implILNS1_25lookback_scan_determinismE0ELb0ELb0ES3_N6thrust23THRUST_200600_302600_NS6detail15normal_iteratorINS9_10device_ptrIdEEEESE_dNS9_4plusIvEEdEEDaPvRmT3_T4_T5_mT6_P12ihipStream_tbENKUlT_T0_E_clISt17integral_constantIbLb1EESU_EEDaSP_SQ_EUlSP_E0_NS1_11comp_targetILNS1_3genE8ELNS1_11target_archE1030ELNS1_3gpuE2ELNS1_3repE0EEENS1_30default_config_static_selectorELNS0_4arch9wavefront6targetE1EEEvT1_
                                        ; -- End function
	.section	.AMDGPU.csdata,"",@progbits
; Kernel info:
; codeLenInByte = 0
; NumSgprs: 4
; NumVgprs: 0
; NumAgprs: 0
; TotalNumVgprs: 0
; ScratchSize: 0
; MemoryBound: 0
; FloatMode: 240
; IeeeMode: 1
; LDSByteSize: 0 bytes/workgroup (compile time only)
; SGPRBlocks: 0
; VGPRBlocks: 0
; NumSGPRsForWavesPerEU: 4
; NumVGPRsForWavesPerEU: 1
; AccumOffset: 4
; Occupancy: 8
; WaveLimiterHint : 0
; COMPUTE_PGM_RSRC2:SCRATCH_EN: 0
; COMPUTE_PGM_RSRC2:USER_SGPR: 6
; COMPUTE_PGM_RSRC2:TRAP_HANDLER: 0
; COMPUTE_PGM_RSRC2:TGID_X_EN: 1
; COMPUTE_PGM_RSRC2:TGID_Y_EN: 0
; COMPUTE_PGM_RSRC2:TGID_Z_EN: 0
; COMPUTE_PGM_RSRC2:TIDIG_COMP_CNT: 0
; COMPUTE_PGM_RSRC3_GFX90A:ACCUM_OFFSET: 0
; COMPUTE_PGM_RSRC3_GFX90A:TG_SPLIT: 0
	.section	.text._ZN7rocprim17ROCPRIM_400000_NS6detail17trampoline_kernelINS0_14default_configENS1_20scan_config_selectorIdEEZZNS1_9scan_implILNS1_25lookback_scan_determinismE0ELb0ELb0ES3_N6thrust23THRUST_200600_302600_NS6detail15normal_iteratorINS9_10device_ptrIdEEEESE_dNS9_4plusIvEEdEEDaPvRmT3_T4_T5_mT6_P12ihipStream_tbENKUlT_T0_E_clISt17integral_constantIbLb1EEST_IbLb0EEEEDaSP_SQ_EUlSP_E_NS1_11comp_targetILNS1_3genE0ELNS1_11target_archE4294967295ELNS1_3gpuE0ELNS1_3repE0EEENS1_30default_config_static_selectorELNS0_4arch9wavefront6targetE1EEEvT1_,"axG",@progbits,_ZN7rocprim17ROCPRIM_400000_NS6detail17trampoline_kernelINS0_14default_configENS1_20scan_config_selectorIdEEZZNS1_9scan_implILNS1_25lookback_scan_determinismE0ELb0ELb0ES3_N6thrust23THRUST_200600_302600_NS6detail15normal_iteratorINS9_10device_ptrIdEEEESE_dNS9_4plusIvEEdEEDaPvRmT3_T4_T5_mT6_P12ihipStream_tbENKUlT_T0_E_clISt17integral_constantIbLb1EEST_IbLb0EEEEDaSP_SQ_EUlSP_E_NS1_11comp_targetILNS1_3genE0ELNS1_11target_archE4294967295ELNS1_3gpuE0ELNS1_3repE0EEENS1_30default_config_static_selectorELNS0_4arch9wavefront6targetE1EEEvT1_,comdat
	.protected	_ZN7rocprim17ROCPRIM_400000_NS6detail17trampoline_kernelINS0_14default_configENS1_20scan_config_selectorIdEEZZNS1_9scan_implILNS1_25lookback_scan_determinismE0ELb0ELb0ES3_N6thrust23THRUST_200600_302600_NS6detail15normal_iteratorINS9_10device_ptrIdEEEESE_dNS9_4plusIvEEdEEDaPvRmT3_T4_T5_mT6_P12ihipStream_tbENKUlT_T0_E_clISt17integral_constantIbLb1EEST_IbLb0EEEEDaSP_SQ_EUlSP_E_NS1_11comp_targetILNS1_3genE0ELNS1_11target_archE4294967295ELNS1_3gpuE0ELNS1_3repE0EEENS1_30default_config_static_selectorELNS0_4arch9wavefront6targetE1EEEvT1_ ; -- Begin function _ZN7rocprim17ROCPRIM_400000_NS6detail17trampoline_kernelINS0_14default_configENS1_20scan_config_selectorIdEEZZNS1_9scan_implILNS1_25lookback_scan_determinismE0ELb0ELb0ES3_N6thrust23THRUST_200600_302600_NS6detail15normal_iteratorINS9_10device_ptrIdEEEESE_dNS9_4plusIvEEdEEDaPvRmT3_T4_T5_mT6_P12ihipStream_tbENKUlT_T0_E_clISt17integral_constantIbLb1EEST_IbLb0EEEEDaSP_SQ_EUlSP_E_NS1_11comp_targetILNS1_3genE0ELNS1_11target_archE4294967295ELNS1_3gpuE0ELNS1_3repE0EEENS1_30default_config_static_selectorELNS0_4arch9wavefront6targetE1EEEvT1_
	.globl	_ZN7rocprim17ROCPRIM_400000_NS6detail17trampoline_kernelINS0_14default_configENS1_20scan_config_selectorIdEEZZNS1_9scan_implILNS1_25lookback_scan_determinismE0ELb0ELb0ES3_N6thrust23THRUST_200600_302600_NS6detail15normal_iteratorINS9_10device_ptrIdEEEESE_dNS9_4plusIvEEdEEDaPvRmT3_T4_T5_mT6_P12ihipStream_tbENKUlT_T0_E_clISt17integral_constantIbLb1EEST_IbLb0EEEEDaSP_SQ_EUlSP_E_NS1_11comp_targetILNS1_3genE0ELNS1_11target_archE4294967295ELNS1_3gpuE0ELNS1_3repE0EEENS1_30default_config_static_selectorELNS0_4arch9wavefront6targetE1EEEvT1_
	.p2align	8
	.type	_ZN7rocprim17ROCPRIM_400000_NS6detail17trampoline_kernelINS0_14default_configENS1_20scan_config_selectorIdEEZZNS1_9scan_implILNS1_25lookback_scan_determinismE0ELb0ELb0ES3_N6thrust23THRUST_200600_302600_NS6detail15normal_iteratorINS9_10device_ptrIdEEEESE_dNS9_4plusIvEEdEEDaPvRmT3_T4_T5_mT6_P12ihipStream_tbENKUlT_T0_E_clISt17integral_constantIbLb1EEST_IbLb0EEEEDaSP_SQ_EUlSP_E_NS1_11comp_targetILNS1_3genE0ELNS1_11target_archE4294967295ELNS1_3gpuE0ELNS1_3repE0EEENS1_30default_config_static_selectorELNS0_4arch9wavefront6targetE1EEEvT1_,@function
_ZN7rocprim17ROCPRIM_400000_NS6detail17trampoline_kernelINS0_14default_configENS1_20scan_config_selectorIdEEZZNS1_9scan_implILNS1_25lookback_scan_determinismE0ELb0ELb0ES3_N6thrust23THRUST_200600_302600_NS6detail15normal_iteratorINS9_10device_ptrIdEEEESE_dNS9_4plusIvEEdEEDaPvRmT3_T4_T5_mT6_P12ihipStream_tbENKUlT_T0_E_clISt17integral_constantIbLb1EEST_IbLb0EEEEDaSP_SQ_EUlSP_E_NS1_11comp_targetILNS1_3genE0ELNS1_11target_archE4294967295ELNS1_3gpuE0ELNS1_3repE0EEENS1_30default_config_static_selectorELNS0_4arch9wavefront6targetE1EEEvT1_: ; @_ZN7rocprim17ROCPRIM_400000_NS6detail17trampoline_kernelINS0_14default_configENS1_20scan_config_selectorIdEEZZNS1_9scan_implILNS1_25lookback_scan_determinismE0ELb0ELb0ES3_N6thrust23THRUST_200600_302600_NS6detail15normal_iteratorINS9_10device_ptrIdEEEESE_dNS9_4plusIvEEdEEDaPvRmT3_T4_T5_mT6_P12ihipStream_tbENKUlT_T0_E_clISt17integral_constantIbLb1EEST_IbLb0EEEEDaSP_SQ_EUlSP_E_NS1_11comp_targetILNS1_3genE0ELNS1_11target_archE4294967295ELNS1_3gpuE0ELNS1_3repE0EEENS1_30default_config_static_selectorELNS0_4arch9wavefront6targetE1EEEvT1_
; %bb.0:
	.section	.rodata,"a",@progbits
	.p2align	6, 0x0
	.amdhsa_kernel _ZN7rocprim17ROCPRIM_400000_NS6detail17trampoline_kernelINS0_14default_configENS1_20scan_config_selectorIdEEZZNS1_9scan_implILNS1_25lookback_scan_determinismE0ELb0ELb0ES3_N6thrust23THRUST_200600_302600_NS6detail15normal_iteratorINS9_10device_ptrIdEEEESE_dNS9_4plusIvEEdEEDaPvRmT3_T4_T5_mT6_P12ihipStream_tbENKUlT_T0_E_clISt17integral_constantIbLb1EEST_IbLb0EEEEDaSP_SQ_EUlSP_E_NS1_11comp_targetILNS1_3genE0ELNS1_11target_archE4294967295ELNS1_3gpuE0ELNS1_3repE0EEENS1_30default_config_static_selectorELNS0_4arch9wavefront6targetE1EEEvT1_
		.amdhsa_group_segment_fixed_size 0
		.amdhsa_private_segment_fixed_size 0
		.amdhsa_kernarg_size 104
		.amdhsa_user_sgpr_count 6
		.amdhsa_user_sgpr_private_segment_buffer 1
		.amdhsa_user_sgpr_dispatch_ptr 0
		.amdhsa_user_sgpr_queue_ptr 0
		.amdhsa_user_sgpr_kernarg_segment_ptr 1
		.amdhsa_user_sgpr_dispatch_id 0
		.amdhsa_user_sgpr_flat_scratch_init 0
		.amdhsa_user_sgpr_kernarg_preload_length 0
		.amdhsa_user_sgpr_kernarg_preload_offset 0
		.amdhsa_user_sgpr_private_segment_size 0
		.amdhsa_uses_dynamic_stack 0
		.amdhsa_system_sgpr_private_segment_wavefront_offset 0
		.amdhsa_system_sgpr_workgroup_id_x 1
		.amdhsa_system_sgpr_workgroup_id_y 0
		.amdhsa_system_sgpr_workgroup_id_z 0
		.amdhsa_system_sgpr_workgroup_info 0
		.amdhsa_system_vgpr_workitem_id 0
		.amdhsa_next_free_vgpr 1
		.amdhsa_next_free_sgpr 0
		.amdhsa_accum_offset 4
		.amdhsa_reserve_vcc 0
		.amdhsa_reserve_flat_scratch 0
		.amdhsa_float_round_mode_32 0
		.amdhsa_float_round_mode_16_64 0
		.amdhsa_float_denorm_mode_32 3
		.amdhsa_float_denorm_mode_16_64 3
		.amdhsa_dx10_clamp 1
		.amdhsa_ieee_mode 1
		.amdhsa_fp16_overflow 0
		.amdhsa_tg_split 0
		.amdhsa_exception_fp_ieee_invalid_op 0
		.amdhsa_exception_fp_denorm_src 0
		.amdhsa_exception_fp_ieee_div_zero 0
		.amdhsa_exception_fp_ieee_overflow 0
		.amdhsa_exception_fp_ieee_underflow 0
		.amdhsa_exception_fp_ieee_inexact 0
		.amdhsa_exception_int_div_zero 0
	.end_amdhsa_kernel
	.section	.text._ZN7rocprim17ROCPRIM_400000_NS6detail17trampoline_kernelINS0_14default_configENS1_20scan_config_selectorIdEEZZNS1_9scan_implILNS1_25lookback_scan_determinismE0ELb0ELb0ES3_N6thrust23THRUST_200600_302600_NS6detail15normal_iteratorINS9_10device_ptrIdEEEESE_dNS9_4plusIvEEdEEDaPvRmT3_T4_T5_mT6_P12ihipStream_tbENKUlT_T0_E_clISt17integral_constantIbLb1EEST_IbLb0EEEEDaSP_SQ_EUlSP_E_NS1_11comp_targetILNS1_3genE0ELNS1_11target_archE4294967295ELNS1_3gpuE0ELNS1_3repE0EEENS1_30default_config_static_selectorELNS0_4arch9wavefront6targetE1EEEvT1_,"axG",@progbits,_ZN7rocprim17ROCPRIM_400000_NS6detail17trampoline_kernelINS0_14default_configENS1_20scan_config_selectorIdEEZZNS1_9scan_implILNS1_25lookback_scan_determinismE0ELb0ELb0ES3_N6thrust23THRUST_200600_302600_NS6detail15normal_iteratorINS9_10device_ptrIdEEEESE_dNS9_4plusIvEEdEEDaPvRmT3_T4_T5_mT6_P12ihipStream_tbENKUlT_T0_E_clISt17integral_constantIbLb1EEST_IbLb0EEEEDaSP_SQ_EUlSP_E_NS1_11comp_targetILNS1_3genE0ELNS1_11target_archE4294967295ELNS1_3gpuE0ELNS1_3repE0EEENS1_30default_config_static_selectorELNS0_4arch9wavefront6targetE1EEEvT1_,comdat
.Lfunc_end4178:
	.size	_ZN7rocprim17ROCPRIM_400000_NS6detail17trampoline_kernelINS0_14default_configENS1_20scan_config_selectorIdEEZZNS1_9scan_implILNS1_25lookback_scan_determinismE0ELb0ELb0ES3_N6thrust23THRUST_200600_302600_NS6detail15normal_iteratorINS9_10device_ptrIdEEEESE_dNS9_4plusIvEEdEEDaPvRmT3_T4_T5_mT6_P12ihipStream_tbENKUlT_T0_E_clISt17integral_constantIbLb1EEST_IbLb0EEEEDaSP_SQ_EUlSP_E_NS1_11comp_targetILNS1_3genE0ELNS1_11target_archE4294967295ELNS1_3gpuE0ELNS1_3repE0EEENS1_30default_config_static_selectorELNS0_4arch9wavefront6targetE1EEEvT1_, .Lfunc_end4178-_ZN7rocprim17ROCPRIM_400000_NS6detail17trampoline_kernelINS0_14default_configENS1_20scan_config_selectorIdEEZZNS1_9scan_implILNS1_25lookback_scan_determinismE0ELb0ELb0ES3_N6thrust23THRUST_200600_302600_NS6detail15normal_iteratorINS9_10device_ptrIdEEEESE_dNS9_4plusIvEEdEEDaPvRmT3_T4_T5_mT6_P12ihipStream_tbENKUlT_T0_E_clISt17integral_constantIbLb1EEST_IbLb0EEEEDaSP_SQ_EUlSP_E_NS1_11comp_targetILNS1_3genE0ELNS1_11target_archE4294967295ELNS1_3gpuE0ELNS1_3repE0EEENS1_30default_config_static_selectorELNS0_4arch9wavefront6targetE1EEEvT1_
                                        ; -- End function
	.section	.AMDGPU.csdata,"",@progbits
; Kernel info:
; codeLenInByte = 0
; NumSgprs: 4
; NumVgprs: 0
; NumAgprs: 0
; TotalNumVgprs: 0
; ScratchSize: 0
; MemoryBound: 0
; FloatMode: 240
; IeeeMode: 1
; LDSByteSize: 0 bytes/workgroup (compile time only)
; SGPRBlocks: 0
; VGPRBlocks: 0
; NumSGPRsForWavesPerEU: 4
; NumVGPRsForWavesPerEU: 1
; AccumOffset: 4
; Occupancy: 8
; WaveLimiterHint : 0
; COMPUTE_PGM_RSRC2:SCRATCH_EN: 0
; COMPUTE_PGM_RSRC2:USER_SGPR: 6
; COMPUTE_PGM_RSRC2:TRAP_HANDLER: 0
; COMPUTE_PGM_RSRC2:TGID_X_EN: 1
; COMPUTE_PGM_RSRC2:TGID_Y_EN: 0
; COMPUTE_PGM_RSRC2:TGID_Z_EN: 0
; COMPUTE_PGM_RSRC2:TIDIG_COMP_CNT: 0
; COMPUTE_PGM_RSRC3_GFX90A:ACCUM_OFFSET: 0
; COMPUTE_PGM_RSRC3_GFX90A:TG_SPLIT: 0
	.section	.text._ZN7rocprim17ROCPRIM_400000_NS6detail17trampoline_kernelINS0_14default_configENS1_20scan_config_selectorIdEEZZNS1_9scan_implILNS1_25lookback_scan_determinismE0ELb0ELb0ES3_N6thrust23THRUST_200600_302600_NS6detail15normal_iteratorINS9_10device_ptrIdEEEESE_dNS9_4plusIvEEdEEDaPvRmT3_T4_T5_mT6_P12ihipStream_tbENKUlT_T0_E_clISt17integral_constantIbLb1EEST_IbLb0EEEEDaSP_SQ_EUlSP_E_NS1_11comp_targetILNS1_3genE5ELNS1_11target_archE942ELNS1_3gpuE9ELNS1_3repE0EEENS1_30default_config_static_selectorELNS0_4arch9wavefront6targetE1EEEvT1_,"axG",@progbits,_ZN7rocprim17ROCPRIM_400000_NS6detail17trampoline_kernelINS0_14default_configENS1_20scan_config_selectorIdEEZZNS1_9scan_implILNS1_25lookback_scan_determinismE0ELb0ELb0ES3_N6thrust23THRUST_200600_302600_NS6detail15normal_iteratorINS9_10device_ptrIdEEEESE_dNS9_4plusIvEEdEEDaPvRmT3_T4_T5_mT6_P12ihipStream_tbENKUlT_T0_E_clISt17integral_constantIbLb1EEST_IbLb0EEEEDaSP_SQ_EUlSP_E_NS1_11comp_targetILNS1_3genE5ELNS1_11target_archE942ELNS1_3gpuE9ELNS1_3repE0EEENS1_30default_config_static_selectorELNS0_4arch9wavefront6targetE1EEEvT1_,comdat
	.protected	_ZN7rocprim17ROCPRIM_400000_NS6detail17trampoline_kernelINS0_14default_configENS1_20scan_config_selectorIdEEZZNS1_9scan_implILNS1_25lookback_scan_determinismE0ELb0ELb0ES3_N6thrust23THRUST_200600_302600_NS6detail15normal_iteratorINS9_10device_ptrIdEEEESE_dNS9_4plusIvEEdEEDaPvRmT3_T4_T5_mT6_P12ihipStream_tbENKUlT_T0_E_clISt17integral_constantIbLb1EEST_IbLb0EEEEDaSP_SQ_EUlSP_E_NS1_11comp_targetILNS1_3genE5ELNS1_11target_archE942ELNS1_3gpuE9ELNS1_3repE0EEENS1_30default_config_static_selectorELNS0_4arch9wavefront6targetE1EEEvT1_ ; -- Begin function _ZN7rocprim17ROCPRIM_400000_NS6detail17trampoline_kernelINS0_14default_configENS1_20scan_config_selectorIdEEZZNS1_9scan_implILNS1_25lookback_scan_determinismE0ELb0ELb0ES3_N6thrust23THRUST_200600_302600_NS6detail15normal_iteratorINS9_10device_ptrIdEEEESE_dNS9_4plusIvEEdEEDaPvRmT3_T4_T5_mT6_P12ihipStream_tbENKUlT_T0_E_clISt17integral_constantIbLb1EEST_IbLb0EEEEDaSP_SQ_EUlSP_E_NS1_11comp_targetILNS1_3genE5ELNS1_11target_archE942ELNS1_3gpuE9ELNS1_3repE0EEENS1_30default_config_static_selectorELNS0_4arch9wavefront6targetE1EEEvT1_
	.globl	_ZN7rocprim17ROCPRIM_400000_NS6detail17trampoline_kernelINS0_14default_configENS1_20scan_config_selectorIdEEZZNS1_9scan_implILNS1_25lookback_scan_determinismE0ELb0ELb0ES3_N6thrust23THRUST_200600_302600_NS6detail15normal_iteratorINS9_10device_ptrIdEEEESE_dNS9_4plusIvEEdEEDaPvRmT3_T4_T5_mT6_P12ihipStream_tbENKUlT_T0_E_clISt17integral_constantIbLb1EEST_IbLb0EEEEDaSP_SQ_EUlSP_E_NS1_11comp_targetILNS1_3genE5ELNS1_11target_archE942ELNS1_3gpuE9ELNS1_3repE0EEENS1_30default_config_static_selectorELNS0_4arch9wavefront6targetE1EEEvT1_
	.p2align	8
	.type	_ZN7rocprim17ROCPRIM_400000_NS6detail17trampoline_kernelINS0_14default_configENS1_20scan_config_selectorIdEEZZNS1_9scan_implILNS1_25lookback_scan_determinismE0ELb0ELb0ES3_N6thrust23THRUST_200600_302600_NS6detail15normal_iteratorINS9_10device_ptrIdEEEESE_dNS9_4plusIvEEdEEDaPvRmT3_T4_T5_mT6_P12ihipStream_tbENKUlT_T0_E_clISt17integral_constantIbLb1EEST_IbLb0EEEEDaSP_SQ_EUlSP_E_NS1_11comp_targetILNS1_3genE5ELNS1_11target_archE942ELNS1_3gpuE9ELNS1_3repE0EEENS1_30default_config_static_selectorELNS0_4arch9wavefront6targetE1EEEvT1_,@function
_ZN7rocprim17ROCPRIM_400000_NS6detail17trampoline_kernelINS0_14default_configENS1_20scan_config_selectorIdEEZZNS1_9scan_implILNS1_25lookback_scan_determinismE0ELb0ELb0ES3_N6thrust23THRUST_200600_302600_NS6detail15normal_iteratorINS9_10device_ptrIdEEEESE_dNS9_4plusIvEEdEEDaPvRmT3_T4_T5_mT6_P12ihipStream_tbENKUlT_T0_E_clISt17integral_constantIbLb1EEST_IbLb0EEEEDaSP_SQ_EUlSP_E_NS1_11comp_targetILNS1_3genE5ELNS1_11target_archE942ELNS1_3gpuE9ELNS1_3repE0EEENS1_30default_config_static_selectorELNS0_4arch9wavefront6targetE1EEEvT1_: ; @_ZN7rocprim17ROCPRIM_400000_NS6detail17trampoline_kernelINS0_14default_configENS1_20scan_config_selectorIdEEZZNS1_9scan_implILNS1_25lookback_scan_determinismE0ELb0ELb0ES3_N6thrust23THRUST_200600_302600_NS6detail15normal_iteratorINS9_10device_ptrIdEEEESE_dNS9_4plusIvEEdEEDaPvRmT3_T4_T5_mT6_P12ihipStream_tbENKUlT_T0_E_clISt17integral_constantIbLb1EEST_IbLb0EEEEDaSP_SQ_EUlSP_E_NS1_11comp_targetILNS1_3genE5ELNS1_11target_archE942ELNS1_3gpuE9ELNS1_3repE0EEENS1_30default_config_static_selectorELNS0_4arch9wavefront6targetE1EEEvT1_
; %bb.0:
	.section	.rodata,"a",@progbits
	.p2align	6, 0x0
	.amdhsa_kernel _ZN7rocprim17ROCPRIM_400000_NS6detail17trampoline_kernelINS0_14default_configENS1_20scan_config_selectorIdEEZZNS1_9scan_implILNS1_25lookback_scan_determinismE0ELb0ELb0ES3_N6thrust23THRUST_200600_302600_NS6detail15normal_iteratorINS9_10device_ptrIdEEEESE_dNS9_4plusIvEEdEEDaPvRmT3_T4_T5_mT6_P12ihipStream_tbENKUlT_T0_E_clISt17integral_constantIbLb1EEST_IbLb0EEEEDaSP_SQ_EUlSP_E_NS1_11comp_targetILNS1_3genE5ELNS1_11target_archE942ELNS1_3gpuE9ELNS1_3repE0EEENS1_30default_config_static_selectorELNS0_4arch9wavefront6targetE1EEEvT1_
		.amdhsa_group_segment_fixed_size 0
		.amdhsa_private_segment_fixed_size 0
		.amdhsa_kernarg_size 104
		.amdhsa_user_sgpr_count 6
		.amdhsa_user_sgpr_private_segment_buffer 1
		.amdhsa_user_sgpr_dispatch_ptr 0
		.amdhsa_user_sgpr_queue_ptr 0
		.amdhsa_user_sgpr_kernarg_segment_ptr 1
		.amdhsa_user_sgpr_dispatch_id 0
		.amdhsa_user_sgpr_flat_scratch_init 0
		.amdhsa_user_sgpr_kernarg_preload_length 0
		.amdhsa_user_sgpr_kernarg_preload_offset 0
		.amdhsa_user_sgpr_private_segment_size 0
		.amdhsa_uses_dynamic_stack 0
		.amdhsa_system_sgpr_private_segment_wavefront_offset 0
		.amdhsa_system_sgpr_workgroup_id_x 1
		.amdhsa_system_sgpr_workgroup_id_y 0
		.amdhsa_system_sgpr_workgroup_id_z 0
		.amdhsa_system_sgpr_workgroup_info 0
		.amdhsa_system_vgpr_workitem_id 0
		.amdhsa_next_free_vgpr 1
		.amdhsa_next_free_sgpr 0
		.amdhsa_accum_offset 4
		.amdhsa_reserve_vcc 0
		.amdhsa_reserve_flat_scratch 0
		.amdhsa_float_round_mode_32 0
		.amdhsa_float_round_mode_16_64 0
		.amdhsa_float_denorm_mode_32 3
		.amdhsa_float_denorm_mode_16_64 3
		.amdhsa_dx10_clamp 1
		.amdhsa_ieee_mode 1
		.amdhsa_fp16_overflow 0
		.amdhsa_tg_split 0
		.amdhsa_exception_fp_ieee_invalid_op 0
		.amdhsa_exception_fp_denorm_src 0
		.amdhsa_exception_fp_ieee_div_zero 0
		.amdhsa_exception_fp_ieee_overflow 0
		.amdhsa_exception_fp_ieee_underflow 0
		.amdhsa_exception_fp_ieee_inexact 0
		.amdhsa_exception_int_div_zero 0
	.end_amdhsa_kernel
	.section	.text._ZN7rocprim17ROCPRIM_400000_NS6detail17trampoline_kernelINS0_14default_configENS1_20scan_config_selectorIdEEZZNS1_9scan_implILNS1_25lookback_scan_determinismE0ELb0ELb0ES3_N6thrust23THRUST_200600_302600_NS6detail15normal_iteratorINS9_10device_ptrIdEEEESE_dNS9_4plusIvEEdEEDaPvRmT3_T4_T5_mT6_P12ihipStream_tbENKUlT_T0_E_clISt17integral_constantIbLb1EEST_IbLb0EEEEDaSP_SQ_EUlSP_E_NS1_11comp_targetILNS1_3genE5ELNS1_11target_archE942ELNS1_3gpuE9ELNS1_3repE0EEENS1_30default_config_static_selectorELNS0_4arch9wavefront6targetE1EEEvT1_,"axG",@progbits,_ZN7rocprim17ROCPRIM_400000_NS6detail17trampoline_kernelINS0_14default_configENS1_20scan_config_selectorIdEEZZNS1_9scan_implILNS1_25lookback_scan_determinismE0ELb0ELb0ES3_N6thrust23THRUST_200600_302600_NS6detail15normal_iteratorINS9_10device_ptrIdEEEESE_dNS9_4plusIvEEdEEDaPvRmT3_T4_T5_mT6_P12ihipStream_tbENKUlT_T0_E_clISt17integral_constantIbLb1EEST_IbLb0EEEEDaSP_SQ_EUlSP_E_NS1_11comp_targetILNS1_3genE5ELNS1_11target_archE942ELNS1_3gpuE9ELNS1_3repE0EEENS1_30default_config_static_selectorELNS0_4arch9wavefront6targetE1EEEvT1_,comdat
.Lfunc_end4179:
	.size	_ZN7rocprim17ROCPRIM_400000_NS6detail17trampoline_kernelINS0_14default_configENS1_20scan_config_selectorIdEEZZNS1_9scan_implILNS1_25lookback_scan_determinismE0ELb0ELb0ES3_N6thrust23THRUST_200600_302600_NS6detail15normal_iteratorINS9_10device_ptrIdEEEESE_dNS9_4plusIvEEdEEDaPvRmT3_T4_T5_mT6_P12ihipStream_tbENKUlT_T0_E_clISt17integral_constantIbLb1EEST_IbLb0EEEEDaSP_SQ_EUlSP_E_NS1_11comp_targetILNS1_3genE5ELNS1_11target_archE942ELNS1_3gpuE9ELNS1_3repE0EEENS1_30default_config_static_selectorELNS0_4arch9wavefront6targetE1EEEvT1_, .Lfunc_end4179-_ZN7rocprim17ROCPRIM_400000_NS6detail17trampoline_kernelINS0_14default_configENS1_20scan_config_selectorIdEEZZNS1_9scan_implILNS1_25lookback_scan_determinismE0ELb0ELb0ES3_N6thrust23THRUST_200600_302600_NS6detail15normal_iteratorINS9_10device_ptrIdEEEESE_dNS9_4plusIvEEdEEDaPvRmT3_T4_T5_mT6_P12ihipStream_tbENKUlT_T0_E_clISt17integral_constantIbLb1EEST_IbLb0EEEEDaSP_SQ_EUlSP_E_NS1_11comp_targetILNS1_3genE5ELNS1_11target_archE942ELNS1_3gpuE9ELNS1_3repE0EEENS1_30default_config_static_selectorELNS0_4arch9wavefront6targetE1EEEvT1_
                                        ; -- End function
	.section	.AMDGPU.csdata,"",@progbits
; Kernel info:
; codeLenInByte = 0
; NumSgprs: 4
; NumVgprs: 0
; NumAgprs: 0
; TotalNumVgprs: 0
; ScratchSize: 0
; MemoryBound: 0
; FloatMode: 240
; IeeeMode: 1
; LDSByteSize: 0 bytes/workgroup (compile time only)
; SGPRBlocks: 0
; VGPRBlocks: 0
; NumSGPRsForWavesPerEU: 4
; NumVGPRsForWavesPerEU: 1
; AccumOffset: 4
; Occupancy: 8
; WaveLimiterHint : 0
; COMPUTE_PGM_RSRC2:SCRATCH_EN: 0
; COMPUTE_PGM_RSRC2:USER_SGPR: 6
; COMPUTE_PGM_RSRC2:TRAP_HANDLER: 0
; COMPUTE_PGM_RSRC2:TGID_X_EN: 1
; COMPUTE_PGM_RSRC2:TGID_Y_EN: 0
; COMPUTE_PGM_RSRC2:TGID_Z_EN: 0
; COMPUTE_PGM_RSRC2:TIDIG_COMP_CNT: 0
; COMPUTE_PGM_RSRC3_GFX90A:ACCUM_OFFSET: 0
; COMPUTE_PGM_RSRC3_GFX90A:TG_SPLIT: 0
	.section	.text._ZN7rocprim17ROCPRIM_400000_NS6detail17trampoline_kernelINS0_14default_configENS1_20scan_config_selectorIdEEZZNS1_9scan_implILNS1_25lookback_scan_determinismE0ELb0ELb0ES3_N6thrust23THRUST_200600_302600_NS6detail15normal_iteratorINS9_10device_ptrIdEEEESE_dNS9_4plusIvEEdEEDaPvRmT3_T4_T5_mT6_P12ihipStream_tbENKUlT_T0_E_clISt17integral_constantIbLb1EEST_IbLb0EEEEDaSP_SQ_EUlSP_E_NS1_11comp_targetILNS1_3genE4ELNS1_11target_archE910ELNS1_3gpuE8ELNS1_3repE0EEENS1_30default_config_static_selectorELNS0_4arch9wavefront6targetE1EEEvT1_,"axG",@progbits,_ZN7rocprim17ROCPRIM_400000_NS6detail17trampoline_kernelINS0_14default_configENS1_20scan_config_selectorIdEEZZNS1_9scan_implILNS1_25lookback_scan_determinismE0ELb0ELb0ES3_N6thrust23THRUST_200600_302600_NS6detail15normal_iteratorINS9_10device_ptrIdEEEESE_dNS9_4plusIvEEdEEDaPvRmT3_T4_T5_mT6_P12ihipStream_tbENKUlT_T0_E_clISt17integral_constantIbLb1EEST_IbLb0EEEEDaSP_SQ_EUlSP_E_NS1_11comp_targetILNS1_3genE4ELNS1_11target_archE910ELNS1_3gpuE8ELNS1_3repE0EEENS1_30default_config_static_selectorELNS0_4arch9wavefront6targetE1EEEvT1_,comdat
	.protected	_ZN7rocprim17ROCPRIM_400000_NS6detail17trampoline_kernelINS0_14default_configENS1_20scan_config_selectorIdEEZZNS1_9scan_implILNS1_25lookback_scan_determinismE0ELb0ELb0ES3_N6thrust23THRUST_200600_302600_NS6detail15normal_iteratorINS9_10device_ptrIdEEEESE_dNS9_4plusIvEEdEEDaPvRmT3_T4_T5_mT6_P12ihipStream_tbENKUlT_T0_E_clISt17integral_constantIbLb1EEST_IbLb0EEEEDaSP_SQ_EUlSP_E_NS1_11comp_targetILNS1_3genE4ELNS1_11target_archE910ELNS1_3gpuE8ELNS1_3repE0EEENS1_30default_config_static_selectorELNS0_4arch9wavefront6targetE1EEEvT1_ ; -- Begin function _ZN7rocprim17ROCPRIM_400000_NS6detail17trampoline_kernelINS0_14default_configENS1_20scan_config_selectorIdEEZZNS1_9scan_implILNS1_25lookback_scan_determinismE0ELb0ELb0ES3_N6thrust23THRUST_200600_302600_NS6detail15normal_iteratorINS9_10device_ptrIdEEEESE_dNS9_4plusIvEEdEEDaPvRmT3_T4_T5_mT6_P12ihipStream_tbENKUlT_T0_E_clISt17integral_constantIbLb1EEST_IbLb0EEEEDaSP_SQ_EUlSP_E_NS1_11comp_targetILNS1_3genE4ELNS1_11target_archE910ELNS1_3gpuE8ELNS1_3repE0EEENS1_30default_config_static_selectorELNS0_4arch9wavefront6targetE1EEEvT1_
	.globl	_ZN7rocprim17ROCPRIM_400000_NS6detail17trampoline_kernelINS0_14default_configENS1_20scan_config_selectorIdEEZZNS1_9scan_implILNS1_25lookback_scan_determinismE0ELb0ELb0ES3_N6thrust23THRUST_200600_302600_NS6detail15normal_iteratorINS9_10device_ptrIdEEEESE_dNS9_4plusIvEEdEEDaPvRmT3_T4_T5_mT6_P12ihipStream_tbENKUlT_T0_E_clISt17integral_constantIbLb1EEST_IbLb0EEEEDaSP_SQ_EUlSP_E_NS1_11comp_targetILNS1_3genE4ELNS1_11target_archE910ELNS1_3gpuE8ELNS1_3repE0EEENS1_30default_config_static_selectorELNS0_4arch9wavefront6targetE1EEEvT1_
	.p2align	8
	.type	_ZN7rocprim17ROCPRIM_400000_NS6detail17trampoline_kernelINS0_14default_configENS1_20scan_config_selectorIdEEZZNS1_9scan_implILNS1_25lookback_scan_determinismE0ELb0ELb0ES3_N6thrust23THRUST_200600_302600_NS6detail15normal_iteratorINS9_10device_ptrIdEEEESE_dNS9_4plusIvEEdEEDaPvRmT3_T4_T5_mT6_P12ihipStream_tbENKUlT_T0_E_clISt17integral_constantIbLb1EEST_IbLb0EEEEDaSP_SQ_EUlSP_E_NS1_11comp_targetILNS1_3genE4ELNS1_11target_archE910ELNS1_3gpuE8ELNS1_3repE0EEENS1_30default_config_static_selectorELNS0_4arch9wavefront6targetE1EEEvT1_,@function
_ZN7rocprim17ROCPRIM_400000_NS6detail17trampoline_kernelINS0_14default_configENS1_20scan_config_selectorIdEEZZNS1_9scan_implILNS1_25lookback_scan_determinismE0ELb0ELb0ES3_N6thrust23THRUST_200600_302600_NS6detail15normal_iteratorINS9_10device_ptrIdEEEESE_dNS9_4plusIvEEdEEDaPvRmT3_T4_T5_mT6_P12ihipStream_tbENKUlT_T0_E_clISt17integral_constantIbLb1EEST_IbLb0EEEEDaSP_SQ_EUlSP_E_NS1_11comp_targetILNS1_3genE4ELNS1_11target_archE910ELNS1_3gpuE8ELNS1_3repE0EEENS1_30default_config_static_selectorELNS0_4arch9wavefront6targetE1EEEvT1_: ; @_ZN7rocprim17ROCPRIM_400000_NS6detail17trampoline_kernelINS0_14default_configENS1_20scan_config_selectorIdEEZZNS1_9scan_implILNS1_25lookback_scan_determinismE0ELb0ELb0ES3_N6thrust23THRUST_200600_302600_NS6detail15normal_iteratorINS9_10device_ptrIdEEEESE_dNS9_4plusIvEEdEEDaPvRmT3_T4_T5_mT6_P12ihipStream_tbENKUlT_T0_E_clISt17integral_constantIbLb1EEST_IbLb0EEEEDaSP_SQ_EUlSP_E_NS1_11comp_targetILNS1_3genE4ELNS1_11target_archE910ELNS1_3gpuE8ELNS1_3repE0EEENS1_30default_config_static_selectorELNS0_4arch9wavefront6targetE1EEEvT1_
; %bb.0:
	s_load_dwordx8 s[12:19], s[4:5], 0x0
	s_load_dword s1, s[4:5], 0x38
	s_mul_i32 s0, s6, 0x500
	v_lshlrev_b32_e32 v48, 3, v0
	s_waitcnt lgkmcnt(0)
	s_lshl_b64 s[14:15], s[14:15], 3
	s_add_u32 s2, s12, s14
	s_addc_u32 s3, s13, s15
	s_add_i32 s7, s1, -1
	s_mul_i32 s8, s7, 0x500
	s_sub_u32 s26, s18, s8
	s_subb_u32 s27, s19, 0
	s_mov_b32 s1, 0
	s_cmp_lg_u32 s6, s7
	s_cselect_b64 s[18:19], -1, 0
	s_lshl_b64 s[20:21], s[0:1], 3
	s_add_u32 s2, s2, s20
	s_addc_u32 s3, s3, s21
	s_mov_b64 s[0:1], -1
	s_and_b64 vcc, exec, s[18:19]
	s_cbranch_vccz .LBB4180_2
; %bb.1:
	v_mov_b32_e32 v1, s3
	v_add_co_u32_e32 v2, vcc, s2, v48
	v_addc_co_u32_e32 v3, vcc, 0, v1, vcc
	v_add_co_u32_e32 v12, vcc, 0x1000, v2
	v_addc_co_u32_e32 v13, vcc, 0, v3, vcc
	flat_load_dwordx2 v[4:5], v[2:3]
	flat_load_dwordx2 v[6:7], v[2:3] offset:1024
	flat_load_dwordx2 v[8:9], v[2:3] offset:2048
	;; [unrolled: 1-line block ×3, first 2 shown]
	v_add_co_u32_e32 v2, vcc, 0x2000, v2
	v_addc_co_u32_e32 v3, vcc, 0, v3, vcc
	flat_load_dwordx2 v[14:15], v[12:13]
	flat_load_dwordx2 v[16:17], v[12:13] offset:1024
	flat_load_dwordx2 v[18:19], v[12:13] offset:2048
	;; [unrolled: 1-line block ×3, first 2 shown]
	s_nop 0
	flat_load_dwordx2 v[12:13], v[2:3]
	flat_load_dwordx2 v[22:23], v[2:3] offset:1024
	s_mov_b64 s[0:1], 0
	s_waitcnt vmcnt(0) lgkmcnt(0)
	ds_write2st64_b64 v48, v[4:5], v[6:7] offset1:2
	ds_write2st64_b64 v48, v[8:9], v[10:11] offset0:4 offset1:6
	ds_write2st64_b64 v48, v[14:15], v[16:17] offset0:8 offset1:10
	;; [unrolled: 1-line block ×4, first 2 shown]
	s_waitcnt lgkmcnt(0)
	s_barrier
.LBB4180_2:
	s_load_dwordx2 s[22:23], s[4:5], 0x30
	s_andn2_b64 vcc, exec, s[0:1]
	v_cmp_gt_u32_e64 s[0:1], s26, v0
	s_cbranch_vccnz .LBB4180_24
; %bb.3:
	v_pk_mov_b32 v[2:3], s[2:3], s[2:3] op_sel:[0,1]
	flat_load_dwordx2 v[2:3], v[2:3]
	s_waitcnt vmcnt(0) lgkmcnt(0)
	v_mov_b32_e32 v4, v2
	v_mov_b32_e32 v5, v3
	;; [unrolled: 1-line block ×16, first 2 shown]
	v_pk_mov_b32 v[34:35], v[30:31], v[30:31] op_sel:[0,1]
	v_pk_mov_b32 v[32:33], v[28:29], v[28:29] op_sel:[0,1]
	;; [unrolled: 1-line block ×16, first 2 shown]
	s_and_saveexec_b64 s[8:9], s[0:1]
	s_cbranch_execz .LBB4180_5
; %bb.4:
	v_mov_b32_e32 v1, s3
	v_add_co_u32_e32 v4, vcc, s2, v48
	v_addc_co_u32_e32 v5, vcc, 0, v1, vcc
	flat_load_dwordx2 v[36:37], v[4:5]
	v_mov_b32_e32 v4, v2
	v_mov_b32_e32 v5, v3
	;; [unrolled: 1-line block ×16, first 2 shown]
	v_pk_mov_b32 v[34:35], v[30:31], v[30:31] op_sel:[0,1]
	v_pk_mov_b32 v[32:33], v[28:29], v[28:29] op_sel:[0,1]
	;; [unrolled: 1-line block ×16, first 2 shown]
	s_waitcnt vmcnt(0) lgkmcnt(0)
	v_pk_mov_b32 v[2:3], v[36:37], v[36:37] op_sel:[0,1]
.LBB4180_5:
	s_or_b64 exec, exec, s[8:9]
	v_or_b32_e32 v1, 0x80, v0
	v_cmp_gt_u32_e32 vcc, s26, v1
	s_and_saveexec_b64 s[0:1], vcc
	s_cbranch_execz .LBB4180_7
; %bb.6:
	v_mov_b32_e32 v1, s3
	v_add_co_u32_e32 v4, vcc, s2, v48
	v_addc_co_u32_e32 v5, vcc, 0, v1, vcc
	flat_load_dwordx2 v[6:7], v[4:5] offset:1024
.LBB4180_7:
	s_or_b64 exec, exec, s[0:1]
	v_or_b32_e32 v1, 0x100, v0
	v_cmp_gt_u32_e32 vcc, s26, v1
	s_and_saveexec_b64 s[0:1], vcc
	s_cbranch_execz .LBB4180_9
; %bb.8:
	v_mov_b32_e32 v1, s3
	v_add_co_u32_e32 v4, vcc, s2, v48
	v_addc_co_u32_e32 v5, vcc, 0, v1, vcc
	flat_load_dwordx2 v[8:9], v[4:5] offset:2048
.LBB4180_9:
	;; [unrolled: 11-line block ×3, first 2 shown]
	s_or_b64 exec, exec, s[0:1]
	v_or_b32_e32 v1, 0x200, v0
	v_cmp_gt_u32_e32 vcc, s26, v1
	s_and_saveexec_b64 s[0:1], vcc
	s_cbranch_execz .LBB4180_13
; %bb.12:
	v_lshlrev_b32_e32 v1, 3, v1
	v_mov_b32_e32 v5, s3
	v_add_co_u32_e32 v4, vcc, s2, v1
	v_addc_co_u32_e32 v5, vcc, 0, v5, vcc
	flat_load_dwordx2 v[12:13], v[4:5]
.LBB4180_13:
	s_or_b64 exec, exec, s[0:1]
	v_or_b32_e32 v1, 0x280, v0
	v_cmp_gt_u32_e32 vcc, s26, v1
	s_and_saveexec_b64 s[0:1], vcc
	s_cbranch_execz .LBB4180_15
; %bb.14:
	v_lshlrev_b32_e32 v1, 3, v1
	v_mov_b32_e32 v5, s3
	v_add_co_u32_e32 v4, vcc, s2, v1
	v_addc_co_u32_e32 v5, vcc, 0, v5, vcc
	flat_load_dwordx2 v[14:15], v[4:5]
.LBB4180_15:
	;; [unrolled: 12-line block ×6, first 2 shown]
	s_or_b64 exec, exec, s[0:1]
	s_waitcnt vmcnt(0) lgkmcnt(0)
	ds_write2st64_b64 v48, v[2:3], v[6:7] offset1:2
	ds_write2st64_b64 v48, v[8:9], v[10:11] offset0:4 offset1:6
	ds_write2st64_b64 v48, v[12:13], v[14:15] offset0:8 offset1:10
	;; [unrolled: 1-line block ×4, first 2 shown]
	s_waitcnt lgkmcnt(0)
	s_barrier
.LBB4180_24:
	v_mul_u32_u24_e32 v49, 10, v0
	v_lshlrev_b32_e32 v50, 3, v49
	s_waitcnt lgkmcnt(0)
	ds_read_b128 v[2:5], v50
	ds_read_b128 v[14:17], v50 offset:16
	ds_read_b128 v[10:13], v50 offset:32
	;; [unrolled: 1-line block ×4, first 2 shown]
	s_cmp_lg_u32 s6, 0
	v_mbcnt_lo_u32_b32 v1, -1, 0
	s_waitcnt lgkmcnt(0)
	s_barrier
	s_cbranch_scc0 .LBB4180_57
; %bb.25:
	v_add_f64 v[22:23], v[2:3], v[4:5]
	v_add_f64 v[22:23], v[14:15], v[22:23]
	;; [unrolled: 1-line block ×9, first 2 shown]
	v_mbcnt_hi_u32_b32 v33, -1, v1
	v_and_b32_e32 v28, 15, v33
	v_mov_b32_dpp v24, v22 row_shr:1 row_mask:0xf bank_mask:0xf
	v_mov_b32_dpp v25, v23 row_shr:1 row_mask:0xf bank_mask:0xf
	v_add_f64 v[24:25], v[22:23], v[24:25]
	v_cmp_eq_u32_e32 vcc, 0, v28
	v_cndmask_b32_e32 v24, v24, v22, vcc
	v_cndmask_b32_e32 v25, v25, v23, vcc
	v_cmp_lt_u32_e32 vcc, 1, v28
	v_mov_b32_dpp v26, v24 row_shr:2 row_mask:0xf bank_mask:0xf
	v_mov_b32_dpp v27, v25 row_shr:2 row_mask:0xf bank_mask:0xf
	v_add_f64 v[26:27], v[24:25], v[26:27]
	v_cndmask_b32_e32 v24, v24, v26, vcc
	v_cndmask_b32_e32 v25, v25, v27, vcc
	v_cmp_lt_u32_e32 vcc, 3, v28
	v_mov_b32_dpp v26, v24 row_shr:4 row_mask:0xf bank_mask:0xf
	v_mov_b32_dpp v27, v25 row_shr:4 row_mask:0xf bank_mask:0xf
	v_add_f64 v[26:27], v[24:25], v[26:27]
	;; [unrolled: 6-line block ×3, first 2 shown]
	v_cndmask_b32_e32 v24, v24, v26, vcc
	v_cndmask_b32_e32 v25, v25, v27, vcc
	v_and_b32_e32 v30, 16, v33
	v_mov_b32_dpp v26, v24 row_bcast:15 row_mask:0xf bank_mask:0xf
	v_mov_b32_dpp v27, v25 row_bcast:15 row_mask:0xf bank_mask:0xf
	v_add_f64 v[28:29], v[24:25], v[26:27]
	v_cmp_eq_u32_e32 vcc, 0, v30
	v_cndmask_b32_e32 v27, v29, v25, vcc
	v_cndmask_b32_e32 v26, v28, v24, vcc
	v_cmp_eq_u32_e64 s[0:1], 0, v33
	v_mov_b32_dpp v27, v27 row_bcast:31 row_mask:0xf bank_mask:0xf
	v_mov_b32_dpp v26, v26 row_bcast:31 row_mask:0xf bank_mask:0xf
	v_cmp_ne_u32_e64 s[2:3], 0, v33
	s_and_saveexec_b64 s[8:9], s[2:3]
; %bb.26:
	v_cndmask_b32_e32 v23, v29, v25, vcc
	v_cndmask_b32_e32 v22, v28, v24, vcc
	v_add_f64 v[24:25], v[22:23], v[26:27]
	v_cmp_lt_u32_e32 vcc, 31, v33
	v_cndmask_b32_e32 v23, v23, v25, vcc
	v_cndmask_b32_e32 v22, v22, v24, vcc
; %bb.27:
	s_or_b64 exec, exec, s[8:9]
	v_or_b32_e32 v25, 63, v0
	v_lshrrev_b32_e32 v24, 6, v0
	v_cmp_eq_u32_e32 vcc, v25, v0
	s_and_saveexec_b64 s[2:3], vcc
	s_cbranch_execz .LBB4180_29
; %bb.28:
	v_lshlrev_b32_e32 v25, 3, v24
	ds_write_b64 v25, v[22:23]
.LBB4180_29:
	s_or_b64 exec, exec, s[2:3]
	v_cmp_gt_u32_e32 vcc, 2, v0
	s_waitcnt lgkmcnt(0)
	s_barrier
	s_and_saveexec_b64 s[2:3], vcc
	s_cbranch_execz .LBB4180_31
; %bb.30:
	ds_read_b64 v[26:27], v48
	v_and_b32_e32 v25, 1, v33
	v_cmp_eq_u32_e32 vcc, 0, v25
	s_waitcnt lgkmcnt(0)
	v_mov_b32_dpp v28, v26 row_shr:1 row_mask:0xf bank_mask:0xf
	v_mov_b32_dpp v29, v27 row_shr:1 row_mask:0xf bank_mask:0xf
	v_add_f64 v[28:29], v[26:27], v[28:29]
	v_cndmask_b32_e32 v27, v29, v27, vcc
	v_cndmask_b32_e32 v26, v28, v26, vcc
	ds_write_b64 v48, v[26:27]
.LBB4180_31:
	s_or_b64 exec, exec, s[2:3]
	v_cmp_gt_u32_e32 vcc, 64, v0
	v_cmp_lt_u32_e64 s[2:3], 63, v0
	s_waitcnt lgkmcnt(0)
	s_barrier
	s_waitcnt lgkmcnt(0)
                                        ; implicit-def: $vgpr30_vgpr31
	s_and_saveexec_b64 s[8:9], s[2:3]
	s_cbranch_execz .LBB4180_33
; %bb.32:
	v_lshl_add_u32 v24, v24, 3, -8
	ds_read_b64 v[30:31], v24
	s_waitcnt lgkmcnt(0)
	v_add_f64 v[22:23], v[22:23], v[30:31]
.LBB4180_33:
	s_or_b64 exec, exec, s[8:9]
	v_add_u32_e32 v24, -1, v33
	v_and_b32_e32 v25, 64, v33
	v_cmp_lt_i32_e64 s[2:3], v24, v25
	v_cndmask_b32_e64 v24, v24, v33, s[2:3]
	v_lshlrev_b32_e32 v24, 2, v24
	ds_bpermute_b32 v38, v24, v22
	ds_bpermute_b32 v39, v24, v23
	s_and_saveexec_b64 s[24:25], vcc
	s_cbranch_execz .LBB4180_56
; %bb.34:
	v_mov_b32_e32 v25, 0
	ds_read_b64 v[22:23], v25 offset:8
	s_and_saveexec_b64 s[2:3], s[0:1]
	s_cbranch_execz .LBB4180_36
; %bb.35:
	s_add_i32 s8, s6, 64
	s_mov_b32 s9, 0
	s_lshl_b64 s[8:9], s[8:9], 4
	s_add_u32 s8, s22, s8
	s_addc_u32 s9, s23, s9
	v_mov_b32_e32 v24, 1
	v_pk_mov_b32 v[26:27], s[8:9], s[8:9] op_sel:[0,1]
	s_waitcnt lgkmcnt(0)
	;;#ASMSTART
	global_store_dwordx4 v[26:27], v[22:25] off	
s_waitcnt vmcnt(0)
	;;#ASMEND
.LBB4180_36:
	s_or_b64 exec, exec, s[2:3]
	v_xad_u32 v32, v33, -1, s6
	v_add_u32_e32 v24, 64, v32
	v_lshlrev_b64 v[26:27], 4, v[24:25]
	v_mov_b32_e32 v24, s23
	v_add_co_u32_e32 v34, vcc, s22, v26
	v_addc_co_u32_e32 v35, vcc, v24, v27, vcc
	;;#ASMSTART
	global_load_dwordx4 v[26:29], v[34:35] off glc	
s_waitcnt vmcnt(0)
	;;#ASMEND
	v_and_b32_e32 v24, 0xff, v27
	v_and_b32_e32 v29, 0xff00, v27
	v_or3_b32 v24, 0, v24, v29
	v_or3_b32 v26, v26, 0, 0
	v_and_b32_e32 v29, 0xff000000, v27
	v_and_b32_e32 v27, 0xff0000, v27
	v_or3_b32 v27, v24, v27, v29
	v_or3_b32 v26, v26, 0, 0
	v_cmp_eq_u16_sdwa s[8:9], v28, v25 src0_sel:BYTE_0 src1_sel:DWORD
	s_and_saveexec_b64 s[2:3], s[8:9]
	s_cbranch_execz .LBB4180_42
; %bb.37:
	s_mov_b32 s7, 1
	s_mov_b64 s[8:9], 0
	v_mov_b32_e32 v24, 0
.LBB4180_38:                            ; =>This Loop Header: Depth=1
                                        ;     Child Loop BB4180_39 Depth 2
	s_max_u32 s10, s7, 1
.LBB4180_39:                            ;   Parent Loop BB4180_38 Depth=1
                                        ; =>  This Inner Loop Header: Depth=2
	s_add_i32 s10, s10, -1
	s_cmp_eq_u32 s10, 0
	s_sleep 1
	s_cbranch_scc0 .LBB4180_39
; %bb.40:                               ;   in Loop: Header=BB4180_38 Depth=1
	s_cmp_lt_u32 s7, 32
	s_cselect_b64 s[10:11], -1, 0
	s_cmp_lg_u64 s[10:11], 0
	s_addc_u32 s7, s7, 0
	;;#ASMSTART
	global_load_dwordx4 v[26:29], v[34:35] off glc	
s_waitcnt vmcnt(0)
	;;#ASMEND
	v_cmp_ne_u16_sdwa s[10:11], v28, v24 src0_sel:BYTE_0 src1_sel:DWORD
	s_or_b64 s[8:9], s[10:11], s[8:9]
	s_andn2_b64 exec, exec, s[8:9]
	s_cbranch_execnz .LBB4180_38
; %bb.41:
	s_or_b64 exec, exec, s[8:9]
.LBB4180_42:
	s_or_b64 exec, exec, s[2:3]
	v_and_b32_e32 v41, 63, v33
	v_cmp_ne_u32_e32 vcc, 63, v41
	v_mov_b32_e32 v40, 2
	v_addc_co_u32_e32 v34, vcc, 0, v33, vcc
	v_cmp_eq_u16_sdwa s[2:3], v28, v40 src0_sel:BYTE_0 src1_sel:DWORD
	v_lshlrev_b64 v[24:25], v33, -1
	v_lshlrev_b32_e32 v42, 2, v34
	v_and_b32_e32 v29, s3, v25
	ds_bpermute_b32 v34, v42, v26
	ds_bpermute_b32 v35, v42, v27
	v_or_b32_e32 v29, 0x80000000, v29
	v_and_b32_e32 v36, s2, v24
	v_ffbl_b32_e32 v29, v29
	v_add_u32_e32 v29, 32, v29
	v_ffbl_b32_e32 v36, v36
	v_cmp_gt_u32_e64 s[2:3], 62, v41
	v_min_u32_e32 v29, v36, v29
	v_cndmask_b32_e64 v36, 0, 1, s[2:3]
	s_waitcnt lgkmcnt(0)
	v_add_f64 v[34:35], v[26:27], v[34:35]
	v_cmp_lt_u32_e32 vcc, v41, v29
	v_lshlrev_b32_e32 v36, 1, v36
	v_cndmask_b32_e32 v34, v26, v34, vcc
	v_cndmask_b32_e32 v35, v27, v35, vcc
	v_add_lshl_u32 v43, v36, v33, 2
	ds_bpermute_b32 v36, v43, v34
	ds_bpermute_b32 v37, v43, v35
	v_add_u32_e32 v44, 2, v41
	v_cmp_gt_u32_e64 s[2:3], v44, v29
	v_cmp_gt_u32_e64 s[8:9], 56, v41
	v_add_u32_e32 v46, 4, v41
	s_waitcnt lgkmcnt(0)
	v_add_f64 v[36:37], v[34:35], v[36:37]
	v_cndmask_b32_e64 v34, v36, v34, s[2:3]
	v_cndmask_b32_e64 v35, v37, v35, s[2:3]
	v_cmp_gt_u32_e64 s[2:3], 60, v41
	v_cndmask_b32_e64 v36, 0, 1, s[2:3]
	v_lshlrev_b32_e32 v36, 2, v36
	v_add_lshl_u32 v45, v36, v33, 2
	ds_bpermute_b32 v36, v45, v34
	ds_bpermute_b32 v37, v45, v35
	v_cndmask_b32_e64 v47, 0, 1, s[8:9]
	v_cmp_gt_u32_e64 s[2:3], v46, v29
	v_lshlrev_b32_e32 v47, 3, v47
	v_add_lshl_u32 v47, v47, v33, 2
	s_waitcnt lgkmcnt(0)
	v_add_f64 v[36:37], v[34:35], v[36:37]
	v_cndmask_b32_e64 v52, v36, v34, s[2:3]
	v_cndmask_b32_e64 v53, v37, v35, s[2:3]
	ds_bpermute_b32 v54, v47, v52
	ds_bpermute_b32 v55, v47, v53
	v_add_u32_e32 v51, 8, v41
	v_cmp_gt_u32_e64 s[8:9], v51, v29
	v_cmp_gt_u32_e64 s[10:11], 48, v41
	v_cmp_gt_u32_e64 s[12:13], 32, v41
	s_waitcnt lgkmcnt(0)
	v_add_f64 v[56:57], v[52:53], v[54:55]
	v_cndmask_b32_e64 v54, v56, v52, s[8:9]
	v_cndmask_b32_e64 v52, 0, 1, s[10:11]
	v_lshlrev_b32_e32 v52, 4, v52
	v_cndmask_b32_e64 v55, v57, v53, s[8:9]
	v_add_lshl_u32 v52, v52, v33, 2
	ds_bpermute_b32 v58, v52, v54
	ds_bpermute_b32 v59, v52, v55
	v_add_u32_e32 v53, 16, v41
	v_cmp_gt_u32_e64 s[10:11], v53, v29
	v_cndmask_b32_e32 v27, v27, v35, vcc
	v_cndmask_b32_e32 v26, v26, v34, vcc
	s_waitcnt lgkmcnt(0)
	v_add_f64 v[58:59], v[54:55], v[58:59]
	v_cndmask_b32_e64 v60, v58, v54, s[10:11]
	v_cndmask_b32_e64 v54, 0, 1, s[12:13]
	v_lshlrev_b32_e32 v54, 5, v54
	v_add_lshl_u32 v54, v54, v33, 2
	v_cndmask_b32_e64 v61, v59, v55, s[10:11]
	ds_bpermute_b32 v62, v54, v60
	ds_bpermute_b32 v63, v54, v61
	v_cndmask_b32_e64 v26, v36, v26, s[2:3]
	v_cndmask_b32_e64 v27, v37, v27, s[2:3]
	v_add_u32_e32 v55, 32, v41
	v_cndmask_b32_e64 v27, v57, v27, s[8:9]
	v_cndmask_b32_e64 v26, v56, v26, s[8:9]
	s_waitcnt lgkmcnt(0)
	v_add_f64 v[60:61], v[60:61], v[62:63]
	v_cndmask_b32_e64 v26, v58, v26, s[10:11]
	v_cndmask_b32_e64 v27, v59, v27, s[10:11]
	v_cmp_gt_u32_e32 vcc, v55, v29
	v_cndmask_b32_e32 v27, v61, v27, vcc
	v_cndmask_b32_e32 v26, v60, v26, vcc
	v_mov_b32_e32 v33, 0
	s_branch .LBB4180_44
.LBB4180_43:                            ;   in Loop: Header=BB4180_44 Depth=1
	s_or_b64 exec, exec, s[2:3]
	v_cmp_eq_u16_sdwa s[2:3], v28, v40 src0_sel:BYTE_0 src1_sel:DWORD
	v_and_b32_e32 v29, s3, v25
	ds_bpermute_b32 v36, v42, v26
	ds_bpermute_b32 v37, v42, v27
	v_or_b32_e32 v29, 0x80000000, v29
	v_and_b32_e32 v56, s2, v24
	v_ffbl_b32_e32 v29, v29
	v_add_u32_e32 v29, 32, v29
	v_ffbl_b32_e32 v56, v56
	v_min_u32_e32 v29, v56, v29
	s_waitcnt lgkmcnt(0)
	v_add_f64 v[36:37], v[26:27], v[36:37]
	v_cmp_lt_u32_e32 vcc, v41, v29
	v_cndmask_b32_e32 v36, v26, v36, vcc
	v_cndmask_b32_e32 v37, v27, v37, vcc
	ds_bpermute_b32 v56, v43, v36
	ds_bpermute_b32 v57, v43, v37
	v_cmp_gt_u32_e64 s[2:3], v44, v29
	v_cmp_gt_u32_e64 s[8:9], v51, v29
	;; [unrolled: 1-line block ×3, first 2 shown]
	v_subrev_u32_e32 v32, 64, v32
	s_waitcnt lgkmcnt(0)
	v_add_f64 v[56:57], v[36:37], v[56:57]
	v_cndmask_b32_e64 v36, v56, v36, s[2:3]
	v_cndmask_b32_e64 v37, v57, v37, s[2:3]
	ds_bpermute_b32 v56, v45, v36
	ds_bpermute_b32 v57, v45, v37
	v_cmp_gt_u32_e64 s[2:3], v46, v29
	v_cndmask_b32_e32 v27, v27, v37, vcc
	v_cndmask_b32_e32 v26, v26, v36, vcc
	v_cmp_gt_u32_e32 vcc, v55, v29
	s_waitcnt lgkmcnt(0)
	v_add_f64 v[56:57], v[36:37], v[56:57]
	v_cndmask_b32_e64 v58, v56, v36, s[2:3]
	v_cndmask_b32_e64 v59, v57, v37, s[2:3]
	ds_bpermute_b32 v60, v47, v58
	ds_bpermute_b32 v61, v47, v59
	v_cndmask_b32_e64 v26, v56, v26, s[2:3]
	v_cndmask_b32_e64 v27, v57, v27, s[2:3]
	s_waitcnt lgkmcnt(0)
	v_add_f64 v[60:61], v[58:59], v[60:61]
	v_cndmask_b32_e64 v58, v60, v58, s[8:9]
	v_cndmask_b32_e64 v59, v61, v59, s[8:9]
	ds_bpermute_b32 v62, v52, v58
	ds_bpermute_b32 v63, v52, v59
	v_cndmask_b32_e64 v27, v61, v27, s[8:9]
	v_cndmask_b32_e64 v26, v60, v26, s[8:9]
	;; [unrolled: 8-line block ×3, first 2 shown]
	s_waitcnt lgkmcnt(0)
	v_add_f64 v[58:59], v[58:59], v[64:65]
	v_cndmask_b32_e32 v27, v59, v27, vcc
	v_cndmask_b32_e32 v26, v58, v26, vcc
	v_add_f64 v[26:27], v[34:35], v[26:27]
.LBB4180_44:                            ; =>This Loop Header: Depth=1
                                        ;     Child Loop BB4180_47 Depth 2
                                        ;       Child Loop BB4180_48 Depth 3
	v_cmp_ne_u16_sdwa s[2:3], v28, v40 src0_sel:BYTE_0 src1_sel:DWORD
	v_cndmask_b32_e64 v28, 0, 1, s[2:3]
	;;#ASMSTART
	;;#ASMEND
	v_cmp_ne_u32_e32 vcc, 0, v28
	s_cmp_lg_u64 vcc, exec
	v_pk_mov_b32 v[34:35], v[26:27], v[26:27] op_sel:[0,1]
	s_cbranch_scc1 .LBB4180_51
; %bb.45:                               ;   in Loop: Header=BB4180_44 Depth=1
	v_lshlrev_b64 v[26:27], 4, v[32:33]
	v_mov_b32_e32 v28, s23
	v_add_co_u32_e32 v36, vcc, s22, v26
	v_addc_co_u32_e32 v37, vcc, v28, v27, vcc
	;;#ASMSTART
	global_load_dwordx4 v[26:29], v[36:37] off glc	
s_waitcnt vmcnt(0)
	;;#ASMEND
	v_and_b32_e32 v29, 0xff, v27
	v_and_b32_e32 v56, 0xff00, v27
	v_or3_b32 v29, 0, v29, v56
	v_or3_b32 v26, v26, 0, 0
	v_and_b32_e32 v56, 0xff000000, v27
	v_and_b32_e32 v27, 0xff0000, v27
	v_or3_b32 v27, v29, v27, v56
	v_or3_b32 v26, v26, 0, 0
	v_cmp_eq_u16_sdwa s[8:9], v28, v33 src0_sel:BYTE_0 src1_sel:DWORD
	s_and_saveexec_b64 s[2:3], s[8:9]
	s_cbranch_execz .LBB4180_43
; %bb.46:                               ;   in Loop: Header=BB4180_44 Depth=1
	s_mov_b32 s7, 1
	s_mov_b64 s[8:9], 0
.LBB4180_47:                            ;   Parent Loop BB4180_44 Depth=1
                                        ; =>  This Loop Header: Depth=2
                                        ;       Child Loop BB4180_48 Depth 3
	s_max_u32 s10, s7, 1
.LBB4180_48:                            ;   Parent Loop BB4180_44 Depth=1
                                        ;     Parent Loop BB4180_47 Depth=2
                                        ; =>    This Inner Loop Header: Depth=3
	s_add_i32 s10, s10, -1
	s_cmp_eq_u32 s10, 0
	s_sleep 1
	s_cbranch_scc0 .LBB4180_48
; %bb.49:                               ;   in Loop: Header=BB4180_47 Depth=2
	s_cmp_lt_u32 s7, 32
	s_cselect_b64 s[10:11], -1, 0
	s_cmp_lg_u64 s[10:11], 0
	s_addc_u32 s7, s7, 0
	;;#ASMSTART
	global_load_dwordx4 v[26:29], v[36:37] off glc	
s_waitcnt vmcnt(0)
	;;#ASMEND
	v_cmp_ne_u16_sdwa s[10:11], v28, v33 src0_sel:BYTE_0 src1_sel:DWORD
	s_or_b64 s[8:9], s[10:11], s[8:9]
	s_andn2_b64 exec, exec, s[8:9]
	s_cbranch_execnz .LBB4180_47
; %bb.50:                               ;   in Loop: Header=BB4180_44 Depth=1
	s_or_b64 exec, exec, s[8:9]
	s_branch .LBB4180_43
.LBB4180_51:                            ;   in Loop: Header=BB4180_44 Depth=1
                                        ; implicit-def: $vgpr26_vgpr27
                                        ; implicit-def: $vgpr28
	s_cbranch_execz .LBB4180_44
; %bb.52:
	s_and_saveexec_b64 s[2:3], s[0:1]
	s_cbranch_execz .LBB4180_54
; %bb.53:
	s_add_i32 s6, s6, 64
	s_mov_b32 s7, 0
	s_lshl_b64 s[6:7], s[6:7], 4
	s_add_u32 s6, s22, s6
	s_addc_u32 s7, s23, s7
	v_add_f64 v[22:23], v[22:23], v[34:35]
	v_mov_b32_e32 v24, 2
	v_mov_b32_e32 v25, 0
	v_pk_mov_b32 v[26:27], s[6:7], s[6:7] op_sel:[0,1]
	;;#ASMSTART
	global_store_dwordx4 v[26:27], v[22:25] off	
s_waitcnt vmcnt(0)
	;;#ASMEND
.LBB4180_54:
	s_or_b64 exec, exec, s[2:3]
	v_cmp_eq_u32_e32 vcc, 0, v0
	s_and_b64 exec, exec, vcc
	s_cbranch_execz .LBB4180_56
; %bb.55:
	v_mov_b32_e32 v22, 0
	ds_write_b64 v22, v[34:35] offset:8
.LBB4180_56:
	s_or_b64 exec, exec, s[24:25]
	v_mov_b32_e32 v24, 0
	s_waitcnt lgkmcnt(0)
	s_barrier
	ds_read_b64 v[24:25], v24 offset:8
	v_cndmask_b32_e64 v23, v39, v31, s[0:1]
	v_cndmask_b32_e64 v22, v38, v30, s[0:1]
	v_add_f64 v[22:23], v[2:3], v[22:23]
	v_cmp_eq_u32_e32 vcc, 0, v0
	v_cndmask_b32_e32 v23, v23, v3, vcc
	v_cndmask_b32_e32 v22, v22, v2, vcc
	s_waitcnt lgkmcnt(0)
	v_add_f64 v[38:39], v[22:23], v[24:25]
	v_add_f64 v[40:41], v[4:5], v[38:39]
	;; [unrolled: 1-line block ×10, first 2 shown]
	s_load_dwordx8 s[4:11], s[4:5], 0x40
	s_branch .LBB4180_73
.LBB4180_57:
                                        ; implicit-def: $vgpr24_vgpr25
                                        ; implicit-def: $vgpr28_vgpr29
                                        ; implicit-def: $vgpr32_vgpr33
                                        ; implicit-def: $vgpr36_vgpr37
                                        ; implicit-def: $vgpr40_vgpr41
	s_load_dwordx8 s[4:11], s[4:5], 0x40
	s_cbranch_execz .LBB4180_73
; %bb.58:
	s_waitcnt lgkmcnt(0)
	s_cmp_lg_u64 s[8:9], 0
	s_cselect_b64 s[2:3], -1, 0
	v_cmp_eq_u32_e64 s[0:1], 0, v0
	v_cmp_ne_u32_e32 vcc, 0, v0
	s_and_b64 s[2:3], s[0:1], s[2:3]
	s_and_saveexec_b64 s[0:1], s[2:3]
	s_cbranch_execz .LBB4180_60
; %bb.59:
	v_mov_b32_e32 v22, 0
	global_load_dwordx2 v[22:23], v22, s[4:5]
	s_waitcnt vmcnt(0)
	v_add_f64 v[2:3], v[2:3], v[22:23]
.LBB4180_60:
	s_or_b64 exec, exec, s[0:1]
	v_add_f64 v[40:41], v[2:3], v[4:5]
	v_add_f64 v[34:35], v[14:15], v[40:41]
	;; [unrolled: 1-line block ×9, first 2 shown]
	v_mbcnt_hi_u32_b32 v1, -1, v1
	v_and_b32_e32 v44, 15, v1
	v_mov_b32_dpp v38, v24 row_shr:1 row_mask:0xf bank_mask:0xf
	v_mov_b32_dpp v39, v25 row_shr:1 row_mask:0xf bank_mask:0xf
	v_add_f64 v[38:39], v[24:25], v[38:39]
	v_cmp_eq_u32_e64 s[0:1], 0, v44
	v_cndmask_b32_e64 v38, v38, v24, s[0:1]
	v_cndmask_b32_e64 v39, v39, v25, s[0:1]
	v_cmp_lt_u32_e64 s[0:1], 1, v44
	v_mov_b32_dpp v42, v38 row_shr:2 row_mask:0xf bank_mask:0xf
	v_mov_b32_dpp v43, v39 row_shr:2 row_mask:0xf bank_mask:0xf
	v_add_f64 v[42:43], v[38:39], v[42:43]
	v_cndmask_b32_e64 v38, v38, v42, s[0:1]
	v_cndmask_b32_e64 v39, v39, v43, s[0:1]
	v_cmp_lt_u32_e64 s[0:1], 3, v44
	v_mov_b32_dpp v42, v38 row_shr:4 row_mask:0xf bank_mask:0xf
	v_mov_b32_dpp v43, v39 row_shr:4 row_mask:0xf bank_mask:0xf
	v_add_f64 v[42:43], v[38:39], v[42:43]
	;; [unrolled: 6-line block ×3, first 2 shown]
	v_cndmask_b32_e64 v42, v38, v42, s[0:1]
	v_cndmask_b32_e64 v43, v39, v43, s[0:1]
	v_and_b32_e32 v44, 16, v1
	v_mov_b32_dpp v38, v42 row_bcast:15 row_mask:0xf bank_mask:0xf
	v_mov_b32_dpp v39, v43 row_bcast:15 row_mask:0xf bank_mask:0xf
	v_add_f64 v[46:47], v[42:43], v[38:39]
	v_cmp_eq_u32_e64 s[2:3], 0, v44
	v_cndmask_b32_e64 v38, v47, v43, s[2:3]
	v_cndmask_b32_e64 v39, v46, v42, s[2:3]
	v_cmp_eq_u32_e64 s[0:1], 0, v1
	v_mov_b32_dpp v45, v38 row_bcast:31 row_mask:0xf bank_mask:0xf
	v_mov_b32_dpp v44, v39 row_bcast:31 row_mask:0xf bank_mask:0xf
	v_cmp_ne_u32_e64 s[4:5], 0, v1
	v_pk_mov_b32 v[38:39], v[24:25], v[24:25] op_sel:[0,1]
	s_and_saveexec_b64 s[8:9], s[4:5]
; %bb.61:
	v_cndmask_b32_e64 v39, v47, v43, s[2:3]
	v_cndmask_b32_e64 v38, v46, v42, s[2:3]
	v_add_f64 v[42:43], v[38:39], v[44:45]
	v_cmp_lt_u32_e64 s[2:3], 31, v1
	v_cndmask_b32_e64 v39, v39, v43, s[2:3]
	v_cndmask_b32_e64 v38, v38, v42, s[2:3]
; %bb.62:
	s_or_b64 exec, exec, s[8:9]
	v_or_b32_e32 v42, 63, v0
	v_lshrrev_b32_e32 v44, 6, v0
	v_cmp_eq_u32_e64 s[2:3], v42, v0
	s_and_saveexec_b64 s[4:5], s[2:3]
	s_cbranch_execz .LBB4180_64
; %bb.63:
	v_lshlrev_b32_e32 v42, 3, v44
	ds_write_b64 v42, v[38:39]
.LBB4180_64:
	s_or_b64 exec, exec, s[4:5]
	v_cmp_gt_u32_e64 s[2:3], 2, v0
	s_waitcnt lgkmcnt(0)
	s_barrier
	s_and_saveexec_b64 s[4:5], s[2:3]
	s_cbranch_execz .LBB4180_66
; %bb.65:
	s_movk_i32 s2, 0xffb8
	v_mad_i32_i24 v45, v0, s2, v50
	ds_read_b64 v[42:43], v45
	v_and_b32_e32 v51, 1, v1
	v_cmp_eq_u32_e64 s[2:3], 0, v51
	s_waitcnt lgkmcnt(0)
	v_mov_b32_dpp v46, v42 row_shr:1 row_mask:0xf bank_mask:0xf
	v_mov_b32_dpp v47, v43 row_shr:1 row_mask:0xf bank_mask:0xf
	v_add_f64 v[46:47], v[42:43], v[46:47]
	v_cndmask_b32_e64 v43, v47, v43, s[2:3]
	v_cndmask_b32_e64 v42, v46, v42, s[2:3]
	ds_write_b64 v45, v[42:43]
.LBB4180_66:
	s_or_b64 exec, exec, s[4:5]
	v_cmp_lt_u32_e64 s[2:3], 63, v0
	s_waitcnt lgkmcnt(0)
	s_barrier
	s_waitcnt lgkmcnt(0)
                                        ; implicit-def: $vgpr42_vgpr43
	s_and_saveexec_b64 s[4:5], s[2:3]
	s_cbranch_execz .LBB4180_68
; %bb.67:
	v_lshl_add_u32 v42, v44, 3, -8
	ds_read_b64 v[42:43], v42
	s_waitcnt lgkmcnt(0)
	v_add_f64 v[38:39], v[38:39], v[42:43]
.LBB4180_68:
	s_or_b64 exec, exec, s[4:5]
	v_add_u32_e32 v44, -1, v1
	v_and_b32_e32 v45, 64, v1
	v_cmp_lt_i32_e64 s[2:3], v44, v45
	v_cndmask_b32_e64 v1, v44, v1, s[2:3]
	v_lshlrev_b32_e32 v44, 2, v1
	ds_bpermute_b32 v1, v44, v38
	ds_bpermute_b32 v38, v44, v39
	s_and_saveexec_b64 s[2:3], vcc
	s_cbranch_execz .LBB4180_70
; %bb.69:
	s_waitcnt lgkmcnt(0)
	v_cndmask_b32_e64 v23, v38, v43, s[0:1]
	v_cndmask_b32_e64 v22, v1, v42, s[0:1]
	v_add_f64 v[2:3], v[2:3], v[22:23]
	v_add_f64 v[40:41], v[4:5], v[2:3]
	;; [unrolled: 1-line block ×10, first 2 shown]
	;;#ASMSTART
	;;#ASMEND
.LBB4180_70:
	s_or_b64 exec, exec, s[2:3]
	s_movk_i32 s0, 0x7f
	v_cmp_eq_u32_e32 vcc, s0, v0
	s_and_saveexec_b64 s[0:1], vcc
	s_cbranch_execz .LBB4180_72
; %bb.71:
	s_add_u32 s2, s22, 0x400
	s_addc_u32 s3, s23, 0
	v_mov_b32_e32 v6, 2
	v_mov_b32_e32 v7, 0
	;; [unrolled: 1-line block ×4, first 2 shown]
	v_pk_mov_b32 v[8:9], s[2:3], s[2:3] op_sel:[0,1]
	;;#ASMSTART
	global_store_dwordx4 v[8:9], v[4:7] off	
s_waitcnt vmcnt(0)
	;;#ASMEND
.LBB4180_72:
	s_or_b64 exec, exec, s[0:1]
	s_waitcnt lgkmcnt(0)
	v_pk_mov_b32 v[38:39], v[2:3], v[2:3] op_sel:[0,1]
.LBB4180_73:
	s_add_u32 s0, s16, s14
	s_addc_u32 s1, s17, s15
	s_add_u32 s2, s0, s20
	s_addc_u32 s3, s1, s21
	s_mov_b64 s[0:1], -1
	s_and_b64 vcc, exec, s[18:19]
	s_waitcnt lgkmcnt(0)
	s_barrier
	s_cbranch_vccz .LBB4180_75
; %bb.74:
	ds_write_b128 v50, v[38:41]
	ds_write_b128 v50, v[34:37] offset:16
	ds_write_b128 v50, v[30:33] offset:32
	;; [unrolled: 1-line block ×4, first 2 shown]
	s_waitcnt lgkmcnt(0)
	s_barrier
	ds_read2st64_b64 v[2:5], v48 offset1:2
	ds_read2st64_b64 v[6:9], v48 offset0:4 offset1:6
	ds_read2st64_b64 v[10:13], v48 offset0:8 offset1:10
	;; [unrolled: 1-line block ×4, first 2 shown]
	v_mov_b32_e32 v1, s3
	v_add_co_u32_e32 v42, vcc, s2, v48
	v_addc_co_u32_e32 v43, vcc, 0, v1, vcc
	s_movk_i32 s0, 0x1000
	s_waitcnt lgkmcnt(4)
	flat_store_dwordx2 v[42:43], v[2:3]
	flat_store_dwordx2 v[42:43], v[4:5] offset:1024
	s_waitcnt lgkmcnt(0)
	flat_store_dwordx2 v[42:43], v[6:7] offset:2048
	flat_store_dwordx2 v[42:43], v[8:9] offset:3072
	v_add_co_u32_e32 v2, vcc, s0, v42
	v_addc_co_u32_e32 v3, vcc, 0, v43, vcc
	flat_store_dwordx2 v[2:3], v[10:11]
	flat_store_dwordx2 v[2:3], v[12:13] offset:1024
	flat_store_dwordx2 v[2:3], v[14:15] offset:2048
	flat_store_dwordx2 v[2:3], v[16:17] offset:3072
	v_add_co_u32_e32 v2, vcc, 0x2000, v42
	v_addc_co_u32_e32 v3, vcc, 0, v43, vcc
	flat_store_dwordx2 v[2:3], v[18:19]
	flat_store_dwordx2 v[2:3], v[20:21] offset:1024
	s_mov_b64 s[0:1], 0
.LBB4180_75:
	s_andn2_b64 vcc, exec, s[0:1]
	s_cbranch_vccnz .LBB4180_131
; %bb.76:
	s_movk_i32 s0, 0xffb8
	v_mad_i32_i24 v18, v0, s0, v50
	ds_write_b128 v50, v[38:41]
	ds_write_b128 v50, v[34:37] offset:16
	ds_write_b128 v50, v[30:33] offset:32
	;; [unrolled: 1-line block ×4, first 2 shown]
	s_waitcnt lgkmcnt(0)
	s_barrier
	ds_read2st64_b64 v[2:5], v18 offset1:2
	ds_read2st64_b64 v[10:13], v18 offset0:4 offset1:6
	ds_read2st64_b64 v[6:9], v18 offset0:8 offset1:10
	;; [unrolled: 1-line block ×4, first 2 shown]
	v_mov_b32_e32 v23, s3
	v_add_co_u32_e32 v22, vcc, s2, v48
	v_addc_co_u32_e32 v23, vcc, 0, v23, vcc
	v_mov_b32_e32 v1, 0
	v_cmp_gt_u32_e32 vcc, s26, v0
	s_and_saveexec_b64 s[0:1], vcc
	s_cbranch_execz .LBB4180_78
; %bb.77:
	s_waitcnt lgkmcnt(0)
	flat_store_dwordx2 v[22:23], v[2:3]
.LBB4180_78:
	s_or_b64 exec, exec, s[0:1]
	v_or_b32_e32 v24, 0x80, v0
	v_cmp_gt_u32_e32 vcc, s26, v24
	s_and_saveexec_b64 s[0:1], vcc
	s_cbranch_execz .LBB4180_80
; %bb.79:
	s_waitcnt lgkmcnt(0)
	flat_store_dwordx2 v[22:23], v[4:5] offset:1024
.LBB4180_80:
	s_or_b64 exec, exec, s[0:1]
	v_or_b32_e32 v24, 0x100, v0
	v_cmp_gt_u32_e32 vcc, s26, v24
	s_and_saveexec_b64 s[0:1], vcc
	s_cbranch_execz .LBB4180_82
; %bb.81:
	s_waitcnt lgkmcnt(0)
	flat_store_dwordx2 v[22:23], v[10:11] offset:2048
.LBB4180_82:
	;; [unrolled: 9-line block ×3, first 2 shown]
	s_or_b64 exec, exec, s[0:1]
	v_or_b32_e32 v24, 0x200, v0
	v_cmp_gt_u32_e32 vcc, s26, v24
	s_and_saveexec_b64 s[0:1], vcc
	s_cbranch_execz .LBB4180_86
; %bb.85:
	v_add_co_u32_e32 v24, vcc, 0x1000, v22
	v_addc_co_u32_e32 v25, vcc, 0, v23, vcc
	s_waitcnt lgkmcnt(0)
	flat_store_dwordx2 v[24:25], v[6:7]
.LBB4180_86:
	s_or_b64 exec, exec, s[0:1]
	v_or_b32_e32 v24, 0x280, v0
	v_cmp_gt_u32_e32 vcc, s26, v24
	s_and_saveexec_b64 s[0:1], vcc
	s_cbranch_execz .LBB4180_88
; %bb.87:
	v_add_co_u32_e32 v24, vcc, 0x1000, v22
	v_addc_co_u32_e32 v25, vcc, 0, v23, vcc
	s_waitcnt lgkmcnt(0)
	flat_store_dwordx2 v[24:25], v[8:9] offset:1024
.LBB4180_88:
	s_or_b64 exec, exec, s[0:1]
	v_or_b32_e32 v24, 0x300, v0
	v_cmp_gt_u32_e32 vcc, s26, v24
	s_and_saveexec_b64 s[0:1], vcc
	s_cbranch_execz .LBB4180_90
; %bb.89:
	v_add_co_u32_e32 v24, vcc, 0x1000, v22
	v_addc_co_u32_e32 v25, vcc, 0, v23, vcc
	s_waitcnt lgkmcnt(0)
	flat_store_dwordx2 v[24:25], v[14:15] offset:2048
.LBB4180_90:
	;; [unrolled: 11-line block ×3, first 2 shown]
	s_or_b64 exec, exec, s[0:1]
	v_or_b32_e32 v24, 0x400, v0
	v_cmp_gt_u32_e32 vcc, s26, v24
	s_and_saveexec_b64 s[0:1], vcc
	s_cbranch_execz .LBB4180_94
; %bb.93:
	v_add_co_u32_e32 v24, vcc, 0x2000, v22
	v_addc_co_u32_e32 v25, vcc, 0, v23, vcc
	s_waitcnt lgkmcnt(0)
	flat_store_dwordx2 v[24:25], v[18:19]
.LBB4180_94:
	s_or_b64 exec, exec, s[0:1]
	v_or_b32_e32 v24, 0x480, v0
	v_cmp_gt_u32_e32 vcc, s26, v24
	s_and_saveexec_b64 s[0:1], vcc
	s_cbranch_execz .LBB4180_96
; %bb.95:
	v_add_co_u32_e32 v22, vcc, 0x2000, v22
	v_addc_co_u32_e32 v23, vcc, 0, v23, vcc
	s_waitcnt lgkmcnt(0)
	flat_store_dwordx2 v[22:23], v[20:21] offset:1024
.LBB4180_96:
	s_or_b64 exec, exec, s[0:1]
	v_cmp_lt_u64_e64 s[0:1], s[10:11], 2
	s_and_b64 vcc, exec, s[0:1]
	s_cbranch_vccnz .LBB4180_131
; %bb.97:
	s_add_u32 s0, s26, -1
	s_addc_u32 s1, s27, -1
	s_add_u32 s2, 0, 0x99986000
	s_addc_u32 s3, 0, 0x59
	s_add_i32 s3, s3, 0x19999940
	s_mul_hi_u32 s9, s2, -10
	s_sub_i32 s9, s9, s2
	s_mul_i32 s10, s3, -10
	s_mul_i32 s4, s2, -10
	s_add_i32 s9, s9, s10
	s_mul_hi_u32 s5, s3, s4
	s_mul_i32 s8, s3, s4
	s_mul_i32 s11, s2, s9
	s_mul_hi_u32 s4, s2, s4
	s_mul_hi_u32 s10, s2, s9
	s_add_u32 s4, s4, s11
	s_addc_u32 s10, 0, s10
	s_add_u32 s4, s4, s8
	s_mul_hi_u32 s11, s3, s9
	s_addc_u32 s4, s10, s5
	s_addc_u32 s5, s11, 0
	s_mul_i32 s8, s3, s9
	s_add_u32 s4, s4, s8
	v_mov_b32_e32 v22, s4
	s_addc_u32 s5, 0, s5
	v_add_co_u32_e32 v22, vcc, s2, v22
	s_cmp_lg_u64 vcc, 0
	s_addc_u32 s2, s3, s5
	v_readfirstlane_b32 s5, v22
	s_mul_i32 s4, s0, s2
	s_mul_hi_u32 s8, s0, s5
	s_mul_hi_u32 s3, s0, s2
	s_add_u32 s4, s8, s4
	s_addc_u32 s3, 0, s3
	s_mul_hi_u32 s9, s1, s5
	s_mul_i32 s5, s1, s5
	s_add_u32 s4, s4, s5
	s_mul_hi_u32 s8, s1, s2
	s_addc_u32 s3, s3, s9
	s_addc_u32 s4, s8, 0
	s_mul_i32 s2, s1, s2
	s_add_u32 s2, s3, s2
	s_addc_u32 s3, 0, s4
	s_add_u32 s4, s2, 1
	s_addc_u32 s5, s3, 0
	s_add_u32 s8, s2, 2
	s_mul_i32 s10, s3, 10
	s_mul_hi_u32 s11, s2, 10
	s_addc_u32 s9, s3, 0
	s_add_i32 s11, s11, s10
	s_mul_i32 s10, s2, 10
	v_mov_b32_e32 v22, s10
	v_sub_co_u32_e32 v22, vcc, s0, v22
	s_cmp_lg_u64 vcc, 0
	s_subb_u32 s10, s1, s11
	v_subrev_co_u32_e32 v23, vcc, 10, v22
	s_cmp_lg_u64 vcc, 0
	s_subb_u32 s11, s10, 0
	v_readfirstlane_b32 s12, v23
	s_cmp_gt_u32 s12, 9
	s_cselect_b32 s12, -1, 0
	s_cmp_eq_u32 s11, 0
	s_cselect_b32 s11, s12, -1
	s_cmp_lg_u32 s11, 0
	s_cselect_b32 s4, s8, s4
	v_readfirstlane_b32 s8, v22
	s_cselect_b32 s5, s9, s5
	s_cmp_gt_u32 s8, 9
	s_cselect_b32 s8, -1, 0
	s_cmp_eq_u32 s10, 0
	s_cselect_b32 s8, s8, -1
	s_cmp_lg_u32 s8, 0
	s_cselect_b32 s3, s5, s3
	s_cselect_b32 s2, s4, s2
	v_cmp_eq_u64_e32 vcc, s[2:3], v[0:1]
	s_and_saveexec_b64 s[2:3], vcc
	s_cbranch_execz .LBB4180_131
; %bb.98:
	v_mul_hi_u32_u24_e32 v1, 10, v0
	v_mov_b32_e32 v22, s1
	v_sub_co_u32_e32 v0, vcc, s0, v49
	v_subb_co_u32_e32 v1, vcc, v22, v1, vcc
	v_cmp_lt_i64_e32 vcc, 4, v[0:1]
	s_and_saveexec_b64 s[0:1], vcc
	s_xor_b64 s[0:1], exec, s[0:1]
	s_cbranch_execz .LBB4180_116
; %bb.99:
	v_cmp_lt_i64_e32 vcc, 6, v[0:1]
	s_and_saveexec_b64 s[2:3], vcc
	s_xor_b64 s[2:3], exec, s[2:3]
	s_cbranch_execz .LBB4180_109
; %bb.100:
	;; [unrolled: 5-line block ×4, first 2 shown]
	v_mov_b32_e32 v0, 0
	s_waitcnt lgkmcnt(0)
	global_store_dwordx2 v0, v[20:21], s[6:7]
                                        ; implicit-def: $vgpr18_vgpr19_vgpr20_vgpr21
.LBB4180_103:
	s_andn2_saveexec_b64 s[8:9], s[8:9]
	s_cbranch_execz .LBB4180_105
; %bb.104:
	v_mov_b32_e32 v0, 0
	s_waitcnt lgkmcnt(0)
	global_store_dwordx2 v0, v[18:19], s[6:7]
.LBB4180_105:
	s_or_b64 exec, exec, s[8:9]
                                        ; implicit-def: $vgpr14_vgpr15_vgpr16_vgpr17
.LBB4180_106:
	s_andn2_saveexec_b64 s[4:5], s[4:5]
	s_cbranch_execz .LBB4180_108
; %bb.107:
	v_mov_b32_e32 v0, 0
	s_waitcnt lgkmcnt(0)
	global_store_dwordx2 v0, v[16:17], s[6:7]
.LBB4180_108:
	s_or_b64 exec, exec, s[4:5]
                                        ; implicit-def: $vgpr6_vgpr7_vgpr8_vgpr9
                                        ; implicit-def: $vgpr0_vgpr1
                                        ; implicit-def: $vgpr14_vgpr15_vgpr16_vgpr17
.LBB4180_109:
	s_andn2_saveexec_b64 s[2:3], s[2:3]
	s_cbranch_execz .LBB4180_115
; %bb.110:
	v_cmp_lt_i64_e32 vcc, 5, v[0:1]
	s_and_saveexec_b64 s[4:5], vcc
	s_xor_b64 s[4:5], exec, s[4:5]
	s_cbranch_execz .LBB4180_112
; %bb.111:
	v_mov_b32_e32 v0, 0
	s_waitcnt lgkmcnt(0)
	global_store_dwordx2 v0, v[14:15], s[6:7]
                                        ; implicit-def: $vgpr6_vgpr7_vgpr8_vgpr9
.LBB4180_112:
	s_andn2_saveexec_b64 s[4:5], s[4:5]
	s_cbranch_execz .LBB4180_114
; %bb.113:
	v_mov_b32_e32 v0, 0
	s_waitcnt lgkmcnt(0)
	global_store_dwordx2 v0, v[8:9], s[6:7]
.LBB4180_114:
	s_or_b64 exec, exec, s[4:5]
.LBB4180_115:
	s_or_b64 exec, exec, s[2:3]
                                        ; implicit-def: $vgpr0_vgpr1
                                        ; implicit-def: $vgpr10_vgpr11_vgpr12_vgpr13
                                        ; implicit-def: $vgpr2_vgpr3_vgpr4_vgpr5
                                        ; implicit-def: $vgpr6_vgpr7_vgpr8_vgpr9
.LBB4180_116:
	s_andn2_saveexec_b64 s[0:1], s[0:1]
	s_cbranch_execz .LBB4180_131
; %bb.117:
	v_cmp_lt_i64_e32 vcc, 2, v[0:1]
	s_and_saveexec_b64 s[0:1], vcc
	s_xor_b64 s[0:1], exec, s[0:1]
	s_cbranch_execz .LBB4180_123
; %bb.118:
	v_cmp_lt_i64_e32 vcc, 3, v[0:1]
	s_and_saveexec_b64 s[2:3], vcc
	s_xor_b64 s[2:3], exec, s[2:3]
	s_cbranch_execz .LBB4180_120
; %bb.119:
	v_mov_b32_e32 v0, 0
	s_waitcnt lgkmcnt(0)
	global_store_dwordx2 v0, v[6:7], s[6:7]
                                        ; implicit-def: $vgpr10_vgpr11_vgpr12_vgpr13
.LBB4180_120:
	s_andn2_saveexec_b64 s[2:3], s[2:3]
	s_cbranch_execz .LBB4180_122
; %bb.121:
	v_mov_b32_e32 v0, 0
	s_waitcnt lgkmcnt(0)
	global_store_dwordx2 v0, v[12:13], s[6:7]
.LBB4180_122:
	s_or_b64 exec, exec, s[2:3]
                                        ; implicit-def: $vgpr0_vgpr1
                                        ; implicit-def: $vgpr10_vgpr11_vgpr12_vgpr13
                                        ; implicit-def: $vgpr2_vgpr3_vgpr4_vgpr5
.LBB4180_123:
	s_andn2_saveexec_b64 s[0:1], s[0:1]
	s_cbranch_execz .LBB4180_131
; %bb.124:
	v_cmp_lt_i64_e32 vcc, 1, v[0:1]
	s_and_saveexec_b64 s[0:1], vcc
	s_xor_b64 s[0:1], exec, s[0:1]
	s_cbranch_execz .LBB4180_126
; %bb.125:
	v_mov_b32_e32 v0, 0
	s_waitcnt lgkmcnt(0)
	global_store_dwordx2 v0, v[10:11], s[6:7]
                                        ; implicit-def: $vgpr2_vgpr3_vgpr4_vgpr5
                                        ; implicit-def: $vgpr0_vgpr1
.LBB4180_126:
	s_andn2_saveexec_b64 s[0:1], s[0:1]
	s_cbranch_execz .LBB4180_131
; %bb.127:
	v_cmp_ne_u64_e32 vcc, 1, v[0:1]
	s_and_saveexec_b64 s[0:1], vcc
	s_xor_b64 s[0:1], exec, s[0:1]
	s_cbranch_execz .LBB4180_129
; %bb.128:
	v_mov_b32_e32 v0, 0
	s_waitcnt lgkmcnt(0)
	global_store_dwordx2 v0, v[2:3], s[6:7]
                                        ; implicit-def: $vgpr2_vgpr3_vgpr4_vgpr5
.LBB4180_129:
	s_andn2_saveexec_b64 s[0:1], s[0:1]
	s_cbranch_execz .LBB4180_131
; %bb.130:
	v_mov_b32_e32 v0, 0
	s_waitcnt lgkmcnt(0)
	global_store_dwordx2 v0, v[4:5], s[6:7]
.LBB4180_131:
	s_endpgm
	.section	.rodata,"a",@progbits
	.p2align	6, 0x0
	.amdhsa_kernel _ZN7rocprim17ROCPRIM_400000_NS6detail17trampoline_kernelINS0_14default_configENS1_20scan_config_selectorIdEEZZNS1_9scan_implILNS1_25lookback_scan_determinismE0ELb0ELb0ES3_N6thrust23THRUST_200600_302600_NS6detail15normal_iteratorINS9_10device_ptrIdEEEESE_dNS9_4plusIvEEdEEDaPvRmT3_T4_T5_mT6_P12ihipStream_tbENKUlT_T0_E_clISt17integral_constantIbLb1EEST_IbLb0EEEEDaSP_SQ_EUlSP_E_NS1_11comp_targetILNS1_3genE4ELNS1_11target_archE910ELNS1_3gpuE8ELNS1_3repE0EEENS1_30default_config_static_selectorELNS0_4arch9wavefront6targetE1EEEvT1_
		.amdhsa_group_segment_fixed_size 10240
		.amdhsa_private_segment_fixed_size 0
		.amdhsa_kernarg_size 104
		.amdhsa_user_sgpr_count 6
		.amdhsa_user_sgpr_private_segment_buffer 1
		.amdhsa_user_sgpr_dispatch_ptr 0
		.amdhsa_user_sgpr_queue_ptr 0
		.amdhsa_user_sgpr_kernarg_segment_ptr 1
		.amdhsa_user_sgpr_dispatch_id 0
		.amdhsa_user_sgpr_flat_scratch_init 0
		.amdhsa_user_sgpr_kernarg_preload_length 0
		.amdhsa_user_sgpr_kernarg_preload_offset 0
		.amdhsa_user_sgpr_private_segment_size 0
		.amdhsa_uses_dynamic_stack 0
		.amdhsa_system_sgpr_private_segment_wavefront_offset 0
		.amdhsa_system_sgpr_workgroup_id_x 1
		.amdhsa_system_sgpr_workgroup_id_y 0
		.amdhsa_system_sgpr_workgroup_id_z 0
		.amdhsa_system_sgpr_workgroup_info 0
		.amdhsa_system_vgpr_workitem_id 0
		.amdhsa_next_free_vgpr 66
		.amdhsa_next_free_sgpr 28
		.amdhsa_accum_offset 68
		.amdhsa_reserve_vcc 1
		.amdhsa_reserve_flat_scratch 0
		.amdhsa_float_round_mode_32 0
		.amdhsa_float_round_mode_16_64 0
		.amdhsa_float_denorm_mode_32 3
		.amdhsa_float_denorm_mode_16_64 3
		.amdhsa_dx10_clamp 1
		.amdhsa_ieee_mode 1
		.amdhsa_fp16_overflow 0
		.amdhsa_tg_split 0
		.amdhsa_exception_fp_ieee_invalid_op 0
		.amdhsa_exception_fp_denorm_src 0
		.amdhsa_exception_fp_ieee_div_zero 0
		.amdhsa_exception_fp_ieee_overflow 0
		.amdhsa_exception_fp_ieee_underflow 0
		.amdhsa_exception_fp_ieee_inexact 0
		.amdhsa_exception_int_div_zero 0
	.end_amdhsa_kernel
	.section	.text._ZN7rocprim17ROCPRIM_400000_NS6detail17trampoline_kernelINS0_14default_configENS1_20scan_config_selectorIdEEZZNS1_9scan_implILNS1_25lookback_scan_determinismE0ELb0ELb0ES3_N6thrust23THRUST_200600_302600_NS6detail15normal_iteratorINS9_10device_ptrIdEEEESE_dNS9_4plusIvEEdEEDaPvRmT3_T4_T5_mT6_P12ihipStream_tbENKUlT_T0_E_clISt17integral_constantIbLb1EEST_IbLb0EEEEDaSP_SQ_EUlSP_E_NS1_11comp_targetILNS1_3genE4ELNS1_11target_archE910ELNS1_3gpuE8ELNS1_3repE0EEENS1_30default_config_static_selectorELNS0_4arch9wavefront6targetE1EEEvT1_,"axG",@progbits,_ZN7rocprim17ROCPRIM_400000_NS6detail17trampoline_kernelINS0_14default_configENS1_20scan_config_selectorIdEEZZNS1_9scan_implILNS1_25lookback_scan_determinismE0ELb0ELb0ES3_N6thrust23THRUST_200600_302600_NS6detail15normal_iteratorINS9_10device_ptrIdEEEESE_dNS9_4plusIvEEdEEDaPvRmT3_T4_T5_mT6_P12ihipStream_tbENKUlT_T0_E_clISt17integral_constantIbLb1EEST_IbLb0EEEEDaSP_SQ_EUlSP_E_NS1_11comp_targetILNS1_3genE4ELNS1_11target_archE910ELNS1_3gpuE8ELNS1_3repE0EEENS1_30default_config_static_selectorELNS0_4arch9wavefront6targetE1EEEvT1_,comdat
.Lfunc_end4180:
	.size	_ZN7rocprim17ROCPRIM_400000_NS6detail17trampoline_kernelINS0_14default_configENS1_20scan_config_selectorIdEEZZNS1_9scan_implILNS1_25lookback_scan_determinismE0ELb0ELb0ES3_N6thrust23THRUST_200600_302600_NS6detail15normal_iteratorINS9_10device_ptrIdEEEESE_dNS9_4plusIvEEdEEDaPvRmT3_T4_T5_mT6_P12ihipStream_tbENKUlT_T0_E_clISt17integral_constantIbLb1EEST_IbLb0EEEEDaSP_SQ_EUlSP_E_NS1_11comp_targetILNS1_3genE4ELNS1_11target_archE910ELNS1_3gpuE8ELNS1_3repE0EEENS1_30default_config_static_selectorELNS0_4arch9wavefront6targetE1EEEvT1_, .Lfunc_end4180-_ZN7rocprim17ROCPRIM_400000_NS6detail17trampoline_kernelINS0_14default_configENS1_20scan_config_selectorIdEEZZNS1_9scan_implILNS1_25lookback_scan_determinismE0ELb0ELb0ES3_N6thrust23THRUST_200600_302600_NS6detail15normal_iteratorINS9_10device_ptrIdEEEESE_dNS9_4plusIvEEdEEDaPvRmT3_T4_T5_mT6_P12ihipStream_tbENKUlT_T0_E_clISt17integral_constantIbLb1EEST_IbLb0EEEEDaSP_SQ_EUlSP_E_NS1_11comp_targetILNS1_3genE4ELNS1_11target_archE910ELNS1_3gpuE8ELNS1_3repE0EEENS1_30default_config_static_selectorELNS0_4arch9wavefront6targetE1EEEvT1_
                                        ; -- End function
	.section	.AMDGPU.csdata,"",@progbits
; Kernel info:
; codeLenInByte = 6144
; NumSgprs: 32
; NumVgprs: 66
; NumAgprs: 0
; TotalNumVgprs: 66
; ScratchSize: 0
; MemoryBound: 0
; FloatMode: 240
; IeeeMode: 1
; LDSByteSize: 10240 bytes/workgroup (compile time only)
; SGPRBlocks: 3
; VGPRBlocks: 8
; NumSGPRsForWavesPerEU: 32
; NumVGPRsForWavesPerEU: 66
; AccumOffset: 68
; Occupancy: 3
; WaveLimiterHint : 1
; COMPUTE_PGM_RSRC2:SCRATCH_EN: 0
; COMPUTE_PGM_RSRC2:USER_SGPR: 6
; COMPUTE_PGM_RSRC2:TRAP_HANDLER: 0
; COMPUTE_PGM_RSRC2:TGID_X_EN: 1
; COMPUTE_PGM_RSRC2:TGID_Y_EN: 0
; COMPUTE_PGM_RSRC2:TGID_Z_EN: 0
; COMPUTE_PGM_RSRC2:TIDIG_COMP_CNT: 0
; COMPUTE_PGM_RSRC3_GFX90A:ACCUM_OFFSET: 16
; COMPUTE_PGM_RSRC3_GFX90A:TG_SPLIT: 0
	.section	.text._ZN7rocprim17ROCPRIM_400000_NS6detail17trampoline_kernelINS0_14default_configENS1_20scan_config_selectorIdEEZZNS1_9scan_implILNS1_25lookback_scan_determinismE0ELb0ELb0ES3_N6thrust23THRUST_200600_302600_NS6detail15normal_iteratorINS9_10device_ptrIdEEEESE_dNS9_4plusIvEEdEEDaPvRmT3_T4_T5_mT6_P12ihipStream_tbENKUlT_T0_E_clISt17integral_constantIbLb1EEST_IbLb0EEEEDaSP_SQ_EUlSP_E_NS1_11comp_targetILNS1_3genE3ELNS1_11target_archE908ELNS1_3gpuE7ELNS1_3repE0EEENS1_30default_config_static_selectorELNS0_4arch9wavefront6targetE1EEEvT1_,"axG",@progbits,_ZN7rocprim17ROCPRIM_400000_NS6detail17trampoline_kernelINS0_14default_configENS1_20scan_config_selectorIdEEZZNS1_9scan_implILNS1_25lookback_scan_determinismE0ELb0ELb0ES3_N6thrust23THRUST_200600_302600_NS6detail15normal_iteratorINS9_10device_ptrIdEEEESE_dNS9_4plusIvEEdEEDaPvRmT3_T4_T5_mT6_P12ihipStream_tbENKUlT_T0_E_clISt17integral_constantIbLb1EEST_IbLb0EEEEDaSP_SQ_EUlSP_E_NS1_11comp_targetILNS1_3genE3ELNS1_11target_archE908ELNS1_3gpuE7ELNS1_3repE0EEENS1_30default_config_static_selectorELNS0_4arch9wavefront6targetE1EEEvT1_,comdat
	.protected	_ZN7rocprim17ROCPRIM_400000_NS6detail17trampoline_kernelINS0_14default_configENS1_20scan_config_selectorIdEEZZNS1_9scan_implILNS1_25lookback_scan_determinismE0ELb0ELb0ES3_N6thrust23THRUST_200600_302600_NS6detail15normal_iteratorINS9_10device_ptrIdEEEESE_dNS9_4plusIvEEdEEDaPvRmT3_T4_T5_mT6_P12ihipStream_tbENKUlT_T0_E_clISt17integral_constantIbLb1EEST_IbLb0EEEEDaSP_SQ_EUlSP_E_NS1_11comp_targetILNS1_3genE3ELNS1_11target_archE908ELNS1_3gpuE7ELNS1_3repE0EEENS1_30default_config_static_selectorELNS0_4arch9wavefront6targetE1EEEvT1_ ; -- Begin function _ZN7rocprim17ROCPRIM_400000_NS6detail17trampoline_kernelINS0_14default_configENS1_20scan_config_selectorIdEEZZNS1_9scan_implILNS1_25lookback_scan_determinismE0ELb0ELb0ES3_N6thrust23THRUST_200600_302600_NS6detail15normal_iteratorINS9_10device_ptrIdEEEESE_dNS9_4plusIvEEdEEDaPvRmT3_T4_T5_mT6_P12ihipStream_tbENKUlT_T0_E_clISt17integral_constantIbLb1EEST_IbLb0EEEEDaSP_SQ_EUlSP_E_NS1_11comp_targetILNS1_3genE3ELNS1_11target_archE908ELNS1_3gpuE7ELNS1_3repE0EEENS1_30default_config_static_selectorELNS0_4arch9wavefront6targetE1EEEvT1_
	.globl	_ZN7rocprim17ROCPRIM_400000_NS6detail17trampoline_kernelINS0_14default_configENS1_20scan_config_selectorIdEEZZNS1_9scan_implILNS1_25lookback_scan_determinismE0ELb0ELb0ES3_N6thrust23THRUST_200600_302600_NS6detail15normal_iteratorINS9_10device_ptrIdEEEESE_dNS9_4plusIvEEdEEDaPvRmT3_T4_T5_mT6_P12ihipStream_tbENKUlT_T0_E_clISt17integral_constantIbLb1EEST_IbLb0EEEEDaSP_SQ_EUlSP_E_NS1_11comp_targetILNS1_3genE3ELNS1_11target_archE908ELNS1_3gpuE7ELNS1_3repE0EEENS1_30default_config_static_selectorELNS0_4arch9wavefront6targetE1EEEvT1_
	.p2align	8
	.type	_ZN7rocprim17ROCPRIM_400000_NS6detail17trampoline_kernelINS0_14default_configENS1_20scan_config_selectorIdEEZZNS1_9scan_implILNS1_25lookback_scan_determinismE0ELb0ELb0ES3_N6thrust23THRUST_200600_302600_NS6detail15normal_iteratorINS9_10device_ptrIdEEEESE_dNS9_4plusIvEEdEEDaPvRmT3_T4_T5_mT6_P12ihipStream_tbENKUlT_T0_E_clISt17integral_constantIbLb1EEST_IbLb0EEEEDaSP_SQ_EUlSP_E_NS1_11comp_targetILNS1_3genE3ELNS1_11target_archE908ELNS1_3gpuE7ELNS1_3repE0EEENS1_30default_config_static_selectorELNS0_4arch9wavefront6targetE1EEEvT1_,@function
_ZN7rocprim17ROCPRIM_400000_NS6detail17trampoline_kernelINS0_14default_configENS1_20scan_config_selectorIdEEZZNS1_9scan_implILNS1_25lookback_scan_determinismE0ELb0ELb0ES3_N6thrust23THRUST_200600_302600_NS6detail15normal_iteratorINS9_10device_ptrIdEEEESE_dNS9_4plusIvEEdEEDaPvRmT3_T4_T5_mT6_P12ihipStream_tbENKUlT_T0_E_clISt17integral_constantIbLb1EEST_IbLb0EEEEDaSP_SQ_EUlSP_E_NS1_11comp_targetILNS1_3genE3ELNS1_11target_archE908ELNS1_3gpuE7ELNS1_3repE0EEENS1_30default_config_static_selectorELNS0_4arch9wavefront6targetE1EEEvT1_: ; @_ZN7rocprim17ROCPRIM_400000_NS6detail17trampoline_kernelINS0_14default_configENS1_20scan_config_selectorIdEEZZNS1_9scan_implILNS1_25lookback_scan_determinismE0ELb0ELb0ES3_N6thrust23THRUST_200600_302600_NS6detail15normal_iteratorINS9_10device_ptrIdEEEESE_dNS9_4plusIvEEdEEDaPvRmT3_T4_T5_mT6_P12ihipStream_tbENKUlT_T0_E_clISt17integral_constantIbLb1EEST_IbLb0EEEEDaSP_SQ_EUlSP_E_NS1_11comp_targetILNS1_3genE3ELNS1_11target_archE908ELNS1_3gpuE7ELNS1_3repE0EEENS1_30default_config_static_selectorELNS0_4arch9wavefront6targetE1EEEvT1_
; %bb.0:
	.section	.rodata,"a",@progbits
	.p2align	6, 0x0
	.amdhsa_kernel _ZN7rocprim17ROCPRIM_400000_NS6detail17trampoline_kernelINS0_14default_configENS1_20scan_config_selectorIdEEZZNS1_9scan_implILNS1_25lookback_scan_determinismE0ELb0ELb0ES3_N6thrust23THRUST_200600_302600_NS6detail15normal_iteratorINS9_10device_ptrIdEEEESE_dNS9_4plusIvEEdEEDaPvRmT3_T4_T5_mT6_P12ihipStream_tbENKUlT_T0_E_clISt17integral_constantIbLb1EEST_IbLb0EEEEDaSP_SQ_EUlSP_E_NS1_11comp_targetILNS1_3genE3ELNS1_11target_archE908ELNS1_3gpuE7ELNS1_3repE0EEENS1_30default_config_static_selectorELNS0_4arch9wavefront6targetE1EEEvT1_
		.amdhsa_group_segment_fixed_size 0
		.amdhsa_private_segment_fixed_size 0
		.amdhsa_kernarg_size 104
		.amdhsa_user_sgpr_count 6
		.amdhsa_user_sgpr_private_segment_buffer 1
		.amdhsa_user_sgpr_dispatch_ptr 0
		.amdhsa_user_sgpr_queue_ptr 0
		.amdhsa_user_sgpr_kernarg_segment_ptr 1
		.amdhsa_user_sgpr_dispatch_id 0
		.amdhsa_user_sgpr_flat_scratch_init 0
		.amdhsa_user_sgpr_kernarg_preload_length 0
		.amdhsa_user_sgpr_kernarg_preload_offset 0
		.amdhsa_user_sgpr_private_segment_size 0
		.amdhsa_uses_dynamic_stack 0
		.amdhsa_system_sgpr_private_segment_wavefront_offset 0
		.amdhsa_system_sgpr_workgroup_id_x 1
		.amdhsa_system_sgpr_workgroup_id_y 0
		.amdhsa_system_sgpr_workgroup_id_z 0
		.amdhsa_system_sgpr_workgroup_info 0
		.amdhsa_system_vgpr_workitem_id 0
		.amdhsa_next_free_vgpr 1
		.amdhsa_next_free_sgpr 0
		.amdhsa_accum_offset 4
		.amdhsa_reserve_vcc 0
		.amdhsa_reserve_flat_scratch 0
		.amdhsa_float_round_mode_32 0
		.amdhsa_float_round_mode_16_64 0
		.amdhsa_float_denorm_mode_32 3
		.amdhsa_float_denorm_mode_16_64 3
		.amdhsa_dx10_clamp 1
		.amdhsa_ieee_mode 1
		.amdhsa_fp16_overflow 0
		.amdhsa_tg_split 0
		.amdhsa_exception_fp_ieee_invalid_op 0
		.amdhsa_exception_fp_denorm_src 0
		.amdhsa_exception_fp_ieee_div_zero 0
		.amdhsa_exception_fp_ieee_overflow 0
		.amdhsa_exception_fp_ieee_underflow 0
		.amdhsa_exception_fp_ieee_inexact 0
		.amdhsa_exception_int_div_zero 0
	.end_amdhsa_kernel
	.section	.text._ZN7rocprim17ROCPRIM_400000_NS6detail17trampoline_kernelINS0_14default_configENS1_20scan_config_selectorIdEEZZNS1_9scan_implILNS1_25lookback_scan_determinismE0ELb0ELb0ES3_N6thrust23THRUST_200600_302600_NS6detail15normal_iteratorINS9_10device_ptrIdEEEESE_dNS9_4plusIvEEdEEDaPvRmT3_T4_T5_mT6_P12ihipStream_tbENKUlT_T0_E_clISt17integral_constantIbLb1EEST_IbLb0EEEEDaSP_SQ_EUlSP_E_NS1_11comp_targetILNS1_3genE3ELNS1_11target_archE908ELNS1_3gpuE7ELNS1_3repE0EEENS1_30default_config_static_selectorELNS0_4arch9wavefront6targetE1EEEvT1_,"axG",@progbits,_ZN7rocprim17ROCPRIM_400000_NS6detail17trampoline_kernelINS0_14default_configENS1_20scan_config_selectorIdEEZZNS1_9scan_implILNS1_25lookback_scan_determinismE0ELb0ELb0ES3_N6thrust23THRUST_200600_302600_NS6detail15normal_iteratorINS9_10device_ptrIdEEEESE_dNS9_4plusIvEEdEEDaPvRmT3_T4_T5_mT6_P12ihipStream_tbENKUlT_T0_E_clISt17integral_constantIbLb1EEST_IbLb0EEEEDaSP_SQ_EUlSP_E_NS1_11comp_targetILNS1_3genE3ELNS1_11target_archE908ELNS1_3gpuE7ELNS1_3repE0EEENS1_30default_config_static_selectorELNS0_4arch9wavefront6targetE1EEEvT1_,comdat
.Lfunc_end4181:
	.size	_ZN7rocprim17ROCPRIM_400000_NS6detail17trampoline_kernelINS0_14default_configENS1_20scan_config_selectorIdEEZZNS1_9scan_implILNS1_25lookback_scan_determinismE0ELb0ELb0ES3_N6thrust23THRUST_200600_302600_NS6detail15normal_iteratorINS9_10device_ptrIdEEEESE_dNS9_4plusIvEEdEEDaPvRmT3_T4_T5_mT6_P12ihipStream_tbENKUlT_T0_E_clISt17integral_constantIbLb1EEST_IbLb0EEEEDaSP_SQ_EUlSP_E_NS1_11comp_targetILNS1_3genE3ELNS1_11target_archE908ELNS1_3gpuE7ELNS1_3repE0EEENS1_30default_config_static_selectorELNS0_4arch9wavefront6targetE1EEEvT1_, .Lfunc_end4181-_ZN7rocprim17ROCPRIM_400000_NS6detail17trampoline_kernelINS0_14default_configENS1_20scan_config_selectorIdEEZZNS1_9scan_implILNS1_25lookback_scan_determinismE0ELb0ELb0ES3_N6thrust23THRUST_200600_302600_NS6detail15normal_iteratorINS9_10device_ptrIdEEEESE_dNS9_4plusIvEEdEEDaPvRmT3_T4_T5_mT6_P12ihipStream_tbENKUlT_T0_E_clISt17integral_constantIbLb1EEST_IbLb0EEEEDaSP_SQ_EUlSP_E_NS1_11comp_targetILNS1_3genE3ELNS1_11target_archE908ELNS1_3gpuE7ELNS1_3repE0EEENS1_30default_config_static_selectorELNS0_4arch9wavefront6targetE1EEEvT1_
                                        ; -- End function
	.section	.AMDGPU.csdata,"",@progbits
; Kernel info:
; codeLenInByte = 0
; NumSgprs: 4
; NumVgprs: 0
; NumAgprs: 0
; TotalNumVgprs: 0
; ScratchSize: 0
; MemoryBound: 0
; FloatMode: 240
; IeeeMode: 1
; LDSByteSize: 0 bytes/workgroup (compile time only)
; SGPRBlocks: 0
; VGPRBlocks: 0
; NumSGPRsForWavesPerEU: 4
; NumVGPRsForWavesPerEU: 1
; AccumOffset: 4
; Occupancy: 8
; WaveLimiterHint : 0
; COMPUTE_PGM_RSRC2:SCRATCH_EN: 0
; COMPUTE_PGM_RSRC2:USER_SGPR: 6
; COMPUTE_PGM_RSRC2:TRAP_HANDLER: 0
; COMPUTE_PGM_RSRC2:TGID_X_EN: 1
; COMPUTE_PGM_RSRC2:TGID_Y_EN: 0
; COMPUTE_PGM_RSRC2:TGID_Z_EN: 0
; COMPUTE_PGM_RSRC2:TIDIG_COMP_CNT: 0
; COMPUTE_PGM_RSRC3_GFX90A:ACCUM_OFFSET: 0
; COMPUTE_PGM_RSRC3_GFX90A:TG_SPLIT: 0
	.section	.text._ZN7rocprim17ROCPRIM_400000_NS6detail17trampoline_kernelINS0_14default_configENS1_20scan_config_selectorIdEEZZNS1_9scan_implILNS1_25lookback_scan_determinismE0ELb0ELb0ES3_N6thrust23THRUST_200600_302600_NS6detail15normal_iteratorINS9_10device_ptrIdEEEESE_dNS9_4plusIvEEdEEDaPvRmT3_T4_T5_mT6_P12ihipStream_tbENKUlT_T0_E_clISt17integral_constantIbLb1EEST_IbLb0EEEEDaSP_SQ_EUlSP_E_NS1_11comp_targetILNS1_3genE2ELNS1_11target_archE906ELNS1_3gpuE6ELNS1_3repE0EEENS1_30default_config_static_selectorELNS0_4arch9wavefront6targetE1EEEvT1_,"axG",@progbits,_ZN7rocprim17ROCPRIM_400000_NS6detail17trampoline_kernelINS0_14default_configENS1_20scan_config_selectorIdEEZZNS1_9scan_implILNS1_25lookback_scan_determinismE0ELb0ELb0ES3_N6thrust23THRUST_200600_302600_NS6detail15normal_iteratorINS9_10device_ptrIdEEEESE_dNS9_4plusIvEEdEEDaPvRmT3_T4_T5_mT6_P12ihipStream_tbENKUlT_T0_E_clISt17integral_constantIbLb1EEST_IbLb0EEEEDaSP_SQ_EUlSP_E_NS1_11comp_targetILNS1_3genE2ELNS1_11target_archE906ELNS1_3gpuE6ELNS1_3repE0EEENS1_30default_config_static_selectorELNS0_4arch9wavefront6targetE1EEEvT1_,comdat
	.protected	_ZN7rocprim17ROCPRIM_400000_NS6detail17trampoline_kernelINS0_14default_configENS1_20scan_config_selectorIdEEZZNS1_9scan_implILNS1_25lookback_scan_determinismE0ELb0ELb0ES3_N6thrust23THRUST_200600_302600_NS6detail15normal_iteratorINS9_10device_ptrIdEEEESE_dNS9_4plusIvEEdEEDaPvRmT3_T4_T5_mT6_P12ihipStream_tbENKUlT_T0_E_clISt17integral_constantIbLb1EEST_IbLb0EEEEDaSP_SQ_EUlSP_E_NS1_11comp_targetILNS1_3genE2ELNS1_11target_archE906ELNS1_3gpuE6ELNS1_3repE0EEENS1_30default_config_static_selectorELNS0_4arch9wavefront6targetE1EEEvT1_ ; -- Begin function _ZN7rocprim17ROCPRIM_400000_NS6detail17trampoline_kernelINS0_14default_configENS1_20scan_config_selectorIdEEZZNS1_9scan_implILNS1_25lookback_scan_determinismE0ELb0ELb0ES3_N6thrust23THRUST_200600_302600_NS6detail15normal_iteratorINS9_10device_ptrIdEEEESE_dNS9_4plusIvEEdEEDaPvRmT3_T4_T5_mT6_P12ihipStream_tbENKUlT_T0_E_clISt17integral_constantIbLb1EEST_IbLb0EEEEDaSP_SQ_EUlSP_E_NS1_11comp_targetILNS1_3genE2ELNS1_11target_archE906ELNS1_3gpuE6ELNS1_3repE0EEENS1_30default_config_static_selectorELNS0_4arch9wavefront6targetE1EEEvT1_
	.globl	_ZN7rocprim17ROCPRIM_400000_NS6detail17trampoline_kernelINS0_14default_configENS1_20scan_config_selectorIdEEZZNS1_9scan_implILNS1_25lookback_scan_determinismE0ELb0ELb0ES3_N6thrust23THRUST_200600_302600_NS6detail15normal_iteratorINS9_10device_ptrIdEEEESE_dNS9_4plusIvEEdEEDaPvRmT3_T4_T5_mT6_P12ihipStream_tbENKUlT_T0_E_clISt17integral_constantIbLb1EEST_IbLb0EEEEDaSP_SQ_EUlSP_E_NS1_11comp_targetILNS1_3genE2ELNS1_11target_archE906ELNS1_3gpuE6ELNS1_3repE0EEENS1_30default_config_static_selectorELNS0_4arch9wavefront6targetE1EEEvT1_
	.p2align	8
	.type	_ZN7rocprim17ROCPRIM_400000_NS6detail17trampoline_kernelINS0_14default_configENS1_20scan_config_selectorIdEEZZNS1_9scan_implILNS1_25lookback_scan_determinismE0ELb0ELb0ES3_N6thrust23THRUST_200600_302600_NS6detail15normal_iteratorINS9_10device_ptrIdEEEESE_dNS9_4plusIvEEdEEDaPvRmT3_T4_T5_mT6_P12ihipStream_tbENKUlT_T0_E_clISt17integral_constantIbLb1EEST_IbLb0EEEEDaSP_SQ_EUlSP_E_NS1_11comp_targetILNS1_3genE2ELNS1_11target_archE906ELNS1_3gpuE6ELNS1_3repE0EEENS1_30default_config_static_selectorELNS0_4arch9wavefront6targetE1EEEvT1_,@function
_ZN7rocprim17ROCPRIM_400000_NS6detail17trampoline_kernelINS0_14default_configENS1_20scan_config_selectorIdEEZZNS1_9scan_implILNS1_25lookback_scan_determinismE0ELb0ELb0ES3_N6thrust23THRUST_200600_302600_NS6detail15normal_iteratorINS9_10device_ptrIdEEEESE_dNS9_4plusIvEEdEEDaPvRmT3_T4_T5_mT6_P12ihipStream_tbENKUlT_T0_E_clISt17integral_constantIbLb1EEST_IbLb0EEEEDaSP_SQ_EUlSP_E_NS1_11comp_targetILNS1_3genE2ELNS1_11target_archE906ELNS1_3gpuE6ELNS1_3repE0EEENS1_30default_config_static_selectorELNS0_4arch9wavefront6targetE1EEEvT1_: ; @_ZN7rocprim17ROCPRIM_400000_NS6detail17trampoline_kernelINS0_14default_configENS1_20scan_config_selectorIdEEZZNS1_9scan_implILNS1_25lookback_scan_determinismE0ELb0ELb0ES3_N6thrust23THRUST_200600_302600_NS6detail15normal_iteratorINS9_10device_ptrIdEEEESE_dNS9_4plusIvEEdEEDaPvRmT3_T4_T5_mT6_P12ihipStream_tbENKUlT_T0_E_clISt17integral_constantIbLb1EEST_IbLb0EEEEDaSP_SQ_EUlSP_E_NS1_11comp_targetILNS1_3genE2ELNS1_11target_archE906ELNS1_3gpuE6ELNS1_3repE0EEENS1_30default_config_static_selectorELNS0_4arch9wavefront6targetE1EEEvT1_
; %bb.0:
	.section	.rodata,"a",@progbits
	.p2align	6, 0x0
	.amdhsa_kernel _ZN7rocprim17ROCPRIM_400000_NS6detail17trampoline_kernelINS0_14default_configENS1_20scan_config_selectorIdEEZZNS1_9scan_implILNS1_25lookback_scan_determinismE0ELb0ELb0ES3_N6thrust23THRUST_200600_302600_NS6detail15normal_iteratorINS9_10device_ptrIdEEEESE_dNS9_4plusIvEEdEEDaPvRmT3_T4_T5_mT6_P12ihipStream_tbENKUlT_T0_E_clISt17integral_constantIbLb1EEST_IbLb0EEEEDaSP_SQ_EUlSP_E_NS1_11comp_targetILNS1_3genE2ELNS1_11target_archE906ELNS1_3gpuE6ELNS1_3repE0EEENS1_30default_config_static_selectorELNS0_4arch9wavefront6targetE1EEEvT1_
		.amdhsa_group_segment_fixed_size 0
		.amdhsa_private_segment_fixed_size 0
		.amdhsa_kernarg_size 104
		.amdhsa_user_sgpr_count 6
		.amdhsa_user_sgpr_private_segment_buffer 1
		.amdhsa_user_sgpr_dispatch_ptr 0
		.amdhsa_user_sgpr_queue_ptr 0
		.amdhsa_user_sgpr_kernarg_segment_ptr 1
		.amdhsa_user_sgpr_dispatch_id 0
		.amdhsa_user_sgpr_flat_scratch_init 0
		.amdhsa_user_sgpr_kernarg_preload_length 0
		.amdhsa_user_sgpr_kernarg_preload_offset 0
		.amdhsa_user_sgpr_private_segment_size 0
		.amdhsa_uses_dynamic_stack 0
		.amdhsa_system_sgpr_private_segment_wavefront_offset 0
		.amdhsa_system_sgpr_workgroup_id_x 1
		.amdhsa_system_sgpr_workgroup_id_y 0
		.amdhsa_system_sgpr_workgroup_id_z 0
		.amdhsa_system_sgpr_workgroup_info 0
		.amdhsa_system_vgpr_workitem_id 0
		.amdhsa_next_free_vgpr 1
		.amdhsa_next_free_sgpr 0
		.amdhsa_accum_offset 4
		.amdhsa_reserve_vcc 0
		.amdhsa_reserve_flat_scratch 0
		.amdhsa_float_round_mode_32 0
		.amdhsa_float_round_mode_16_64 0
		.amdhsa_float_denorm_mode_32 3
		.amdhsa_float_denorm_mode_16_64 3
		.amdhsa_dx10_clamp 1
		.amdhsa_ieee_mode 1
		.amdhsa_fp16_overflow 0
		.amdhsa_tg_split 0
		.amdhsa_exception_fp_ieee_invalid_op 0
		.amdhsa_exception_fp_denorm_src 0
		.amdhsa_exception_fp_ieee_div_zero 0
		.amdhsa_exception_fp_ieee_overflow 0
		.amdhsa_exception_fp_ieee_underflow 0
		.amdhsa_exception_fp_ieee_inexact 0
		.amdhsa_exception_int_div_zero 0
	.end_amdhsa_kernel
	.section	.text._ZN7rocprim17ROCPRIM_400000_NS6detail17trampoline_kernelINS0_14default_configENS1_20scan_config_selectorIdEEZZNS1_9scan_implILNS1_25lookback_scan_determinismE0ELb0ELb0ES3_N6thrust23THRUST_200600_302600_NS6detail15normal_iteratorINS9_10device_ptrIdEEEESE_dNS9_4plusIvEEdEEDaPvRmT3_T4_T5_mT6_P12ihipStream_tbENKUlT_T0_E_clISt17integral_constantIbLb1EEST_IbLb0EEEEDaSP_SQ_EUlSP_E_NS1_11comp_targetILNS1_3genE2ELNS1_11target_archE906ELNS1_3gpuE6ELNS1_3repE0EEENS1_30default_config_static_selectorELNS0_4arch9wavefront6targetE1EEEvT1_,"axG",@progbits,_ZN7rocprim17ROCPRIM_400000_NS6detail17trampoline_kernelINS0_14default_configENS1_20scan_config_selectorIdEEZZNS1_9scan_implILNS1_25lookback_scan_determinismE0ELb0ELb0ES3_N6thrust23THRUST_200600_302600_NS6detail15normal_iteratorINS9_10device_ptrIdEEEESE_dNS9_4plusIvEEdEEDaPvRmT3_T4_T5_mT6_P12ihipStream_tbENKUlT_T0_E_clISt17integral_constantIbLb1EEST_IbLb0EEEEDaSP_SQ_EUlSP_E_NS1_11comp_targetILNS1_3genE2ELNS1_11target_archE906ELNS1_3gpuE6ELNS1_3repE0EEENS1_30default_config_static_selectorELNS0_4arch9wavefront6targetE1EEEvT1_,comdat
.Lfunc_end4182:
	.size	_ZN7rocprim17ROCPRIM_400000_NS6detail17trampoline_kernelINS0_14default_configENS1_20scan_config_selectorIdEEZZNS1_9scan_implILNS1_25lookback_scan_determinismE0ELb0ELb0ES3_N6thrust23THRUST_200600_302600_NS6detail15normal_iteratorINS9_10device_ptrIdEEEESE_dNS9_4plusIvEEdEEDaPvRmT3_T4_T5_mT6_P12ihipStream_tbENKUlT_T0_E_clISt17integral_constantIbLb1EEST_IbLb0EEEEDaSP_SQ_EUlSP_E_NS1_11comp_targetILNS1_3genE2ELNS1_11target_archE906ELNS1_3gpuE6ELNS1_3repE0EEENS1_30default_config_static_selectorELNS0_4arch9wavefront6targetE1EEEvT1_, .Lfunc_end4182-_ZN7rocprim17ROCPRIM_400000_NS6detail17trampoline_kernelINS0_14default_configENS1_20scan_config_selectorIdEEZZNS1_9scan_implILNS1_25lookback_scan_determinismE0ELb0ELb0ES3_N6thrust23THRUST_200600_302600_NS6detail15normal_iteratorINS9_10device_ptrIdEEEESE_dNS9_4plusIvEEdEEDaPvRmT3_T4_T5_mT6_P12ihipStream_tbENKUlT_T0_E_clISt17integral_constantIbLb1EEST_IbLb0EEEEDaSP_SQ_EUlSP_E_NS1_11comp_targetILNS1_3genE2ELNS1_11target_archE906ELNS1_3gpuE6ELNS1_3repE0EEENS1_30default_config_static_selectorELNS0_4arch9wavefront6targetE1EEEvT1_
                                        ; -- End function
	.section	.AMDGPU.csdata,"",@progbits
; Kernel info:
; codeLenInByte = 0
; NumSgprs: 4
; NumVgprs: 0
; NumAgprs: 0
; TotalNumVgprs: 0
; ScratchSize: 0
; MemoryBound: 0
; FloatMode: 240
; IeeeMode: 1
; LDSByteSize: 0 bytes/workgroup (compile time only)
; SGPRBlocks: 0
; VGPRBlocks: 0
; NumSGPRsForWavesPerEU: 4
; NumVGPRsForWavesPerEU: 1
; AccumOffset: 4
; Occupancy: 8
; WaveLimiterHint : 0
; COMPUTE_PGM_RSRC2:SCRATCH_EN: 0
; COMPUTE_PGM_RSRC2:USER_SGPR: 6
; COMPUTE_PGM_RSRC2:TRAP_HANDLER: 0
; COMPUTE_PGM_RSRC2:TGID_X_EN: 1
; COMPUTE_PGM_RSRC2:TGID_Y_EN: 0
; COMPUTE_PGM_RSRC2:TGID_Z_EN: 0
; COMPUTE_PGM_RSRC2:TIDIG_COMP_CNT: 0
; COMPUTE_PGM_RSRC3_GFX90A:ACCUM_OFFSET: 0
; COMPUTE_PGM_RSRC3_GFX90A:TG_SPLIT: 0
	.section	.text._ZN7rocprim17ROCPRIM_400000_NS6detail17trampoline_kernelINS0_14default_configENS1_20scan_config_selectorIdEEZZNS1_9scan_implILNS1_25lookback_scan_determinismE0ELb0ELb0ES3_N6thrust23THRUST_200600_302600_NS6detail15normal_iteratorINS9_10device_ptrIdEEEESE_dNS9_4plusIvEEdEEDaPvRmT3_T4_T5_mT6_P12ihipStream_tbENKUlT_T0_E_clISt17integral_constantIbLb1EEST_IbLb0EEEEDaSP_SQ_EUlSP_E_NS1_11comp_targetILNS1_3genE10ELNS1_11target_archE1201ELNS1_3gpuE5ELNS1_3repE0EEENS1_30default_config_static_selectorELNS0_4arch9wavefront6targetE1EEEvT1_,"axG",@progbits,_ZN7rocprim17ROCPRIM_400000_NS6detail17trampoline_kernelINS0_14default_configENS1_20scan_config_selectorIdEEZZNS1_9scan_implILNS1_25lookback_scan_determinismE0ELb0ELb0ES3_N6thrust23THRUST_200600_302600_NS6detail15normal_iteratorINS9_10device_ptrIdEEEESE_dNS9_4plusIvEEdEEDaPvRmT3_T4_T5_mT6_P12ihipStream_tbENKUlT_T0_E_clISt17integral_constantIbLb1EEST_IbLb0EEEEDaSP_SQ_EUlSP_E_NS1_11comp_targetILNS1_3genE10ELNS1_11target_archE1201ELNS1_3gpuE5ELNS1_3repE0EEENS1_30default_config_static_selectorELNS0_4arch9wavefront6targetE1EEEvT1_,comdat
	.protected	_ZN7rocprim17ROCPRIM_400000_NS6detail17trampoline_kernelINS0_14default_configENS1_20scan_config_selectorIdEEZZNS1_9scan_implILNS1_25lookback_scan_determinismE0ELb0ELb0ES3_N6thrust23THRUST_200600_302600_NS6detail15normal_iteratorINS9_10device_ptrIdEEEESE_dNS9_4plusIvEEdEEDaPvRmT3_T4_T5_mT6_P12ihipStream_tbENKUlT_T0_E_clISt17integral_constantIbLb1EEST_IbLb0EEEEDaSP_SQ_EUlSP_E_NS1_11comp_targetILNS1_3genE10ELNS1_11target_archE1201ELNS1_3gpuE5ELNS1_3repE0EEENS1_30default_config_static_selectorELNS0_4arch9wavefront6targetE1EEEvT1_ ; -- Begin function _ZN7rocprim17ROCPRIM_400000_NS6detail17trampoline_kernelINS0_14default_configENS1_20scan_config_selectorIdEEZZNS1_9scan_implILNS1_25lookback_scan_determinismE0ELb0ELb0ES3_N6thrust23THRUST_200600_302600_NS6detail15normal_iteratorINS9_10device_ptrIdEEEESE_dNS9_4plusIvEEdEEDaPvRmT3_T4_T5_mT6_P12ihipStream_tbENKUlT_T0_E_clISt17integral_constantIbLb1EEST_IbLb0EEEEDaSP_SQ_EUlSP_E_NS1_11comp_targetILNS1_3genE10ELNS1_11target_archE1201ELNS1_3gpuE5ELNS1_3repE0EEENS1_30default_config_static_selectorELNS0_4arch9wavefront6targetE1EEEvT1_
	.globl	_ZN7rocprim17ROCPRIM_400000_NS6detail17trampoline_kernelINS0_14default_configENS1_20scan_config_selectorIdEEZZNS1_9scan_implILNS1_25lookback_scan_determinismE0ELb0ELb0ES3_N6thrust23THRUST_200600_302600_NS6detail15normal_iteratorINS9_10device_ptrIdEEEESE_dNS9_4plusIvEEdEEDaPvRmT3_T4_T5_mT6_P12ihipStream_tbENKUlT_T0_E_clISt17integral_constantIbLb1EEST_IbLb0EEEEDaSP_SQ_EUlSP_E_NS1_11comp_targetILNS1_3genE10ELNS1_11target_archE1201ELNS1_3gpuE5ELNS1_3repE0EEENS1_30default_config_static_selectorELNS0_4arch9wavefront6targetE1EEEvT1_
	.p2align	8
	.type	_ZN7rocprim17ROCPRIM_400000_NS6detail17trampoline_kernelINS0_14default_configENS1_20scan_config_selectorIdEEZZNS1_9scan_implILNS1_25lookback_scan_determinismE0ELb0ELb0ES3_N6thrust23THRUST_200600_302600_NS6detail15normal_iteratorINS9_10device_ptrIdEEEESE_dNS9_4plusIvEEdEEDaPvRmT3_T4_T5_mT6_P12ihipStream_tbENKUlT_T0_E_clISt17integral_constantIbLb1EEST_IbLb0EEEEDaSP_SQ_EUlSP_E_NS1_11comp_targetILNS1_3genE10ELNS1_11target_archE1201ELNS1_3gpuE5ELNS1_3repE0EEENS1_30default_config_static_selectorELNS0_4arch9wavefront6targetE1EEEvT1_,@function
_ZN7rocprim17ROCPRIM_400000_NS6detail17trampoline_kernelINS0_14default_configENS1_20scan_config_selectorIdEEZZNS1_9scan_implILNS1_25lookback_scan_determinismE0ELb0ELb0ES3_N6thrust23THRUST_200600_302600_NS6detail15normal_iteratorINS9_10device_ptrIdEEEESE_dNS9_4plusIvEEdEEDaPvRmT3_T4_T5_mT6_P12ihipStream_tbENKUlT_T0_E_clISt17integral_constantIbLb1EEST_IbLb0EEEEDaSP_SQ_EUlSP_E_NS1_11comp_targetILNS1_3genE10ELNS1_11target_archE1201ELNS1_3gpuE5ELNS1_3repE0EEENS1_30default_config_static_selectorELNS0_4arch9wavefront6targetE1EEEvT1_: ; @_ZN7rocprim17ROCPRIM_400000_NS6detail17trampoline_kernelINS0_14default_configENS1_20scan_config_selectorIdEEZZNS1_9scan_implILNS1_25lookback_scan_determinismE0ELb0ELb0ES3_N6thrust23THRUST_200600_302600_NS6detail15normal_iteratorINS9_10device_ptrIdEEEESE_dNS9_4plusIvEEdEEDaPvRmT3_T4_T5_mT6_P12ihipStream_tbENKUlT_T0_E_clISt17integral_constantIbLb1EEST_IbLb0EEEEDaSP_SQ_EUlSP_E_NS1_11comp_targetILNS1_3genE10ELNS1_11target_archE1201ELNS1_3gpuE5ELNS1_3repE0EEENS1_30default_config_static_selectorELNS0_4arch9wavefront6targetE1EEEvT1_
; %bb.0:
	.section	.rodata,"a",@progbits
	.p2align	6, 0x0
	.amdhsa_kernel _ZN7rocprim17ROCPRIM_400000_NS6detail17trampoline_kernelINS0_14default_configENS1_20scan_config_selectorIdEEZZNS1_9scan_implILNS1_25lookback_scan_determinismE0ELb0ELb0ES3_N6thrust23THRUST_200600_302600_NS6detail15normal_iteratorINS9_10device_ptrIdEEEESE_dNS9_4plusIvEEdEEDaPvRmT3_T4_T5_mT6_P12ihipStream_tbENKUlT_T0_E_clISt17integral_constantIbLb1EEST_IbLb0EEEEDaSP_SQ_EUlSP_E_NS1_11comp_targetILNS1_3genE10ELNS1_11target_archE1201ELNS1_3gpuE5ELNS1_3repE0EEENS1_30default_config_static_selectorELNS0_4arch9wavefront6targetE1EEEvT1_
		.amdhsa_group_segment_fixed_size 0
		.amdhsa_private_segment_fixed_size 0
		.amdhsa_kernarg_size 104
		.amdhsa_user_sgpr_count 6
		.amdhsa_user_sgpr_private_segment_buffer 1
		.amdhsa_user_sgpr_dispatch_ptr 0
		.amdhsa_user_sgpr_queue_ptr 0
		.amdhsa_user_sgpr_kernarg_segment_ptr 1
		.amdhsa_user_sgpr_dispatch_id 0
		.amdhsa_user_sgpr_flat_scratch_init 0
		.amdhsa_user_sgpr_kernarg_preload_length 0
		.amdhsa_user_sgpr_kernarg_preload_offset 0
		.amdhsa_user_sgpr_private_segment_size 0
		.amdhsa_uses_dynamic_stack 0
		.amdhsa_system_sgpr_private_segment_wavefront_offset 0
		.amdhsa_system_sgpr_workgroup_id_x 1
		.amdhsa_system_sgpr_workgroup_id_y 0
		.amdhsa_system_sgpr_workgroup_id_z 0
		.amdhsa_system_sgpr_workgroup_info 0
		.amdhsa_system_vgpr_workitem_id 0
		.amdhsa_next_free_vgpr 1
		.amdhsa_next_free_sgpr 0
		.amdhsa_accum_offset 4
		.amdhsa_reserve_vcc 0
		.amdhsa_reserve_flat_scratch 0
		.amdhsa_float_round_mode_32 0
		.amdhsa_float_round_mode_16_64 0
		.amdhsa_float_denorm_mode_32 3
		.amdhsa_float_denorm_mode_16_64 3
		.amdhsa_dx10_clamp 1
		.amdhsa_ieee_mode 1
		.amdhsa_fp16_overflow 0
		.amdhsa_tg_split 0
		.amdhsa_exception_fp_ieee_invalid_op 0
		.amdhsa_exception_fp_denorm_src 0
		.amdhsa_exception_fp_ieee_div_zero 0
		.amdhsa_exception_fp_ieee_overflow 0
		.amdhsa_exception_fp_ieee_underflow 0
		.amdhsa_exception_fp_ieee_inexact 0
		.amdhsa_exception_int_div_zero 0
	.end_amdhsa_kernel
	.section	.text._ZN7rocprim17ROCPRIM_400000_NS6detail17trampoline_kernelINS0_14default_configENS1_20scan_config_selectorIdEEZZNS1_9scan_implILNS1_25lookback_scan_determinismE0ELb0ELb0ES3_N6thrust23THRUST_200600_302600_NS6detail15normal_iteratorINS9_10device_ptrIdEEEESE_dNS9_4plusIvEEdEEDaPvRmT3_T4_T5_mT6_P12ihipStream_tbENKUlT_T0_E_clISt17integral_constantIbLb1EEST_IbLb0EEEEDaSP_SQ_EUlSP_E_NS1_11comp_targetILNS1_3genE10ELNS1_11target_archE1201ELNS1_3gpuE5ELNS1_3repE0EEENS1_30default_config_static_selectorELNS0_4arch9wavefront6targetE1EEEvT1_,"axG",@progbits,_ZN7rocprim17ROCPRIM_400000_NS6detail17trampoline_kernelINS0_14default_configENS1_20scan_config_selectorIdEEZZNS1_9scan_implILNS1_25lookback_scan_determinismE0ELb0ELb0ES3_N6thrust23THRUST_200600_302600_NS6detail15normal_iteratorINS9_10device_ptrIdEEEESE_dNS9_4plusIvEEdEEDaPvRmT3_T4_T5_mT6_P12ihipStream_tbENKUlT_T0_E_clISt17integral_constantIbLb1EEST_IbLb0EEEEDaSP_SQ_EUlSP_E_NS1_11comp_targetILNS1_3genE10ELNS1_11target_archE1201ELNS1_3gpuE5ELNS1_3repE0EEENS1_30default_config_static_selectorELNS0_4arch9wavefront6targetE1EEEvT1_,comdat
.Lfunc_end4183:
	.size	_ZN7rocprim17ROCPRIM_400000_NS6detail17trampoline_kernelINS0_14default_configENS1_20scan_config_selectorIdEEZZNS1_9scan_implILNS1_25lookback_scan_determinismE0ELb0ELb0ES3_N6thrust23THRUST_200600_302600_NS6detail15normal_iteratorINS9_10device_ptrIdEEEESE_dNS9_4plusIvEEdEEDaPvRmT3_T4_T5_mT6_P12ihipStream_tbENKUlT_T0_E_clISt17integral_constantIbLb1EEST_IbLb0EEEEDaSP_SQ_EUlSP_E_NS1_11comp_targetILNS1_3genE10ELNS1_11target_archE1201ELNS1_3gpuE5ELNS1_3repE0EEENS1_30default_config_static_selectorELNS0_4arch9wavefront6targetE1EEEvT1_, .Lfunc_end4183-_ZN7rocprim17ROCPRIM_400000_NS6detail17trampoline_kernelINS0_14default_configENS1_20scan_config_selectorIdEEZZNS1_9scan_implILNS1_25lookback_scan_determinismE0ELb0ELb0ES3_N6thrust23THRUST_200600_302600_NS6detail15normal_iteratorINS9_10device_ptrIdEEEESE_dNS9_4plusIvEEdEEDaPvRmT3_T4_T5_mT6_P12ihipStream_tbENKUlT_T0_E_clISt17integral_constantIbLb1EEST_IbLb0EEEEDaSP_SQ_EUlSP_E_NS1_11comp_targetILNS1_3genE10ELNS1_11target_archE1201ELNS1_3gpuE5ELNS1_3repE0EEENS1_30default_config_static_selectorELNS0_4arch9wavefront6targetE1EEEvT1_
                                        ; -- End function
	.section	.AMDGPU.csdata,"",@progbits
; Kernel info:
; codeLenInByte = 0
; NumSgprs: 4
; NumVgprs: 0
; NumAgprs: 0
; TotalNumVgprs: 0
; ScratchSize: 0
; MemoryBound: 0
; FloatMode: 240
; IeeeMode: 1
; LDSByteSize: 0 bytes/workgroup (compile time only)
; SGPRBlocks: 0
; VGPRBlocks: 0
; NumSGPRsForWavesPerEU: 4
; NumVGPRsForWavesPerEU: 1
; AccumOffset: 4
; Occupancy: 8
; WaveLimiterHint : 0
; COMPUTE_PGM_RSRC2:SCRATCH_EN: 0
; COMPUTE_PGM_RSRC2:USER_SGPR: 6
; COMPUTE_PGM_RSRC2:TRAP_HANDLER: 0
; COMPUTE_PGM_RSRC2:TGID_X_EN: 1
; COMPUTE_PGM_RSRC2:TGID_Y_EN: 0
; COMPUTE_PGM_RSRC2:TGID_Z_EN: 0
; COMPUTE_PGM_RSRC2:TIDIG_COMP_CNT: 0
; COMPUTE_PGM_RSRC3_GFX90A:ACCUM_OFFSET: 0
; COMPUTE_PGM_RSRC3_GFX90A:TG_SPLIT: 0
	.section	.text._ZN7rocprim17ROCPRIM_400000_NS6detail17trampoline_kernelINS0_14default_configENS1_20scan_config_selectorIdEEZZNS1_9scan_implILNS1_25lookback_scan_determinismE0ELb0ELb0ES3_N6thrust23THRUST_200600_302600_NS6detail15normal_iteratorINS9_10device_ptrIdEEEESE_dNS9_4plusIvEEdEEDaPvRmT3_T4_T5_mT6_P12ihipStream_tbENKUlT_T0_E_clISt17integral_constantIbLb1EEST_IbLb0EEEEDaSP_SQ_EUlSP_E_NS1_11comp_targetILNS1_3genE10ELNS1_11target_archE1200ELNS1_3gpuE4ELNS1_3repE0EEENS1_30default_config_static_selectorELNS0_4arch9wavefront6targetE1EEEvT1_,"axG",@progbits,_ZN7rocprim17ROCPRIM_400000_NS6detail17trampoline_kernelINS0_14default_configENS1_20scan_config_selectorIdEEZZNS1_9scan_implILNS1_25lookback_scan_determinismE0ELb0ELb0ES3_N6thrust23THRUST_200600_302600_NS6detail15normal_iteratorINS9_10device_ptrIdEEEESE_dNS9_4plusIvEEdEEDaPvRmT3_T4_T5_mT6_P12ihipStream_tbENKUlT_T0_E_clISt17integral_constantIbLb1EEST_IbLb0EEEEDaSP_SQ_EUlSP_E_NS1_11comp_targetILNS1_3genE10ELNS1_11target_archE1200ELNS1_3gpuE4ELNS1_3repE0EEENS1_30default_config_static_selectorELNS0_4arch9wavefront6targetE1EEEvT1_,comdat
	.protected	_ZN7rocprim17ROCPRIM_400000_NS6detail17trampoline_kernelINS0_14default_configENS1_20scan_config_selectorIdEEZZNS1_9scan_implILNS1_25lookback_scan_determinismE0ELb0ELb0ES3_N6thrust23THRUST_200600_302600_NS6detail15normal_iteratorINS9_10device_ptrIdEEEESE_dNS9_4plusIvEEdEEDaPvRmT3_T4_T5_mT6_P12ihipStream_tbENKUlT_T0_E_clISt17integral_constantIbLb1EEST_IbLb0EEEEDaSP_SQ_EUlSP_E_NS1_11comp_targetILNS1_3genE10ELNS1_11target_archE1200ELNS1_3gpuE4ELNS1_3repE0EEENS1_30default_config_static_selectorELNS0_4arch9wavefront6targetE1EEEvT1_ ; -- Begin function _ZN7rocprim17ROCPRIM_400000_NS6detail17trampoline_kernelINS0_14default_configENS1_20scan_config_selectorIdEEZZNS1_9scan_implILNS1_25lookback_scan_determinismE0ELb0ELb0ES3_N6thrust23THRUST_200600_302600_NS6detail15normal_iteratorINS9_10device_ptrIdEEEESE_dNS9_4plusIvEEdEEDaPvRmT3_T4_T5_mT6_P12ihipStream_tbENKUlT_T0_E_clISt17integral_constantIbLb1EEST_IbLb0EEEEDaSP_SQ_EUlSP_E_NS1_11comp_targetILNS1_3genE10ELNS1_11target_archE1200ELNS1_3gpuE4ELNS1_3repE0EEENS1_30default_config_static_selectorELNS0_4arch9wavefront6targetE1EEEvT1_
	.globl	_ZN7rocprim17ROCPRIM_400000_NS6detail17trampoline_kernelINS0_14default_configENS1_20scan_config_selectorIdEEZZNS1_9scan_implILNS1_25lookback_scan_determinismE0ELb0ELb0ES3_N6thrust23THRUST_200600_302600_NS6detail15normal_iteratorINS9_10device_ptrIdEEEESE_dNS9_4plusIvEEdEEDaPvRmT3_T4_T5_mT6_P12ihipStream_tbENKUlT_T0_E_clISt17integral_constantIbLb1EEST_IbLb0EEEEDaSP_SQ_EUlSP_E_NS1_11comp_targetILNS1_3genE10ELNS1_11target_archE1200ELNS1_3gpuE4ELNS1_3repE0EEENS1_30default_config_static_selectorELNS0_4arch9wavefront6targetE1EEEvT1_
	.p2align	8
	.type	_ZN7rocprim17ROCPRIM_400000_NS6detail17trampoline_kernelINS0_14default_configENS1_20scan_config_selectorIdEEZZNS1_9scan_implILNS1_25lookback_scan_determinismE0ELb0ELb0ES3_N6thrust23THRUST_200600_302600_NS6detail15normal_iteratorINS9_10device_ptrIdEEEESE_dNS9_4plusIvEEdEEDaPvRmT3_T4_T5_mT6_P12ihipStream_tbENKUlT_T0_E_clISt17integral_constantIbLb1EEST_IbLb0EEEEDaSP_SQ_EUlSP_E_NS1_11comp_targetILNS1_3genE10ELNS1_11target_archE1200ELNS1_3gpuE4ELNS1_3repE0EEENS1_30default_config_static_selectorELNS0_4arch9wavefront6targetE1EEEvT1_,@function
_ZN7rocprim17ROCPRIM_400000_NS6detail17trampoline_kernelINS0_14default_configENS1_20scan_config_selectorIdEEZZNS1_9scan_implILNS1_25lookback_scan_determinismE0ELb0ELb0ES3_N6thrust23THRUST_200600_302600_NS6detail15normal_iteratorINS9_10device_ptrIdEEEESE_dNS9_4plusIvEEdEEDaPvRmT3_T4_T5_mT6_P12ihipStream_tbENKUlT_T0_E_clISt17integral_constantIbLb1EEST_IbLb0EEEEDaSP_SQ_EUlSP_E_NS1_11comp_targetILNS1_3genE10ELNS1_11target_archE1200ELNS1_3gpuE4ELNS1_3repE0EEENS1_30default_config_static_selectorELNS0_4arch9wavefront6targetE1EEEvT1_: ; @_ZN7rocprim17ROCPRIM_400000_NS6detail17trampoline_kernelINS0_14default_configENS1_20scan_config_selectorIdEEZZNS1_9scan_implILNS1_25lookback_scan_determinismE0ELb0ELb0ES3_N6thrust23THRUST_200600_302600_NS6detail15normal_iteratorINS9_10device_ptrIdEEEESE_dNS9_4plusIvEEdEEDaPvRmT3_T4_T5_mT6_P12ihipStream_tbENKUlT_T0_E_clISt17integral_constantIbLb1EEST_IbLb0EEEEDaSP_SQ_EUlSP_E_NS1_11comp_targetILNS1_3genE10ELNS1_11target_archE1200ELNS1_3gpuE4ELNS1_3repE0EEENS1_30default_config_static_selectorELNS0_4arch9wavefront6targetE1EEEvT1_
; %bb.0:
	.section	.rodata,"a",@progbits
	.p2align	6, 0x0
	.amdhsa_kernel _ZN7rocprim17ROCPRIM_400000_NS6detail17trampoline_kernelINS0_14default_configENS1_20scan_config_selectorIdEEZZNS1_9scan_implILNS1_25lookback_scan_determinismE0ELb0ELb0ES3_N6thrust23THRUST_200600_302600_NS6detail15normal_iteratorINS9_10device_ptrIdEEEESE_dNS9_4plusIvEEdEEDaPvRmT3_T4_T5_mT6_P12ihipStream_tbENKUlT_T0_E_clISt17integral_constantIbLb1EEST_IbLb0EEEEDaSP_SQ_EUlSP_E_NS1_11comp_targetILNS1_3genE10ELNS1_11target_archE1200ELNS1_3gpuE4ELNS1_3repE0EEENS1_30default_config_static_selectorELNS0_4arch9wavefront6targetE1EEEvT1_
		.amdhsa_group_segment_fixed_size 0
		.amdhsa_private_segment_fixed_size 0
		.amdhsa_kernarg_size 104
		.amdhsa_user_sgpr_count 6
		.amdhsa_user_sgpr_private_segment_buffer 1
		.amdhsa_user_sgpr_dispatch_ptr 0
		.amdhsa_user_sgpr_queue_ptr 0
		.amdhsa_user_sgpr_kernarg_segment_ptr 1
		.amdhsa_user_sgpr_dispatch_id 0
		.amdhsa_user_sgpr_flat_scratch_init 0
		.amdhsa_user_sgpr_kernarg_preload_length 0
		.amdhsa_user_sgpr_kernarg_preload_offset 0
		.amdhsa_user_sgpr_private_segment_size 0
		.amdhsa_uses_dynamic_stack 0
		.amdhsa_system_sgpr_private_segment_wavefront_offset 0
		.amdhsa_system_sgpr_workgroup_id_x 1
		.amdhsa_system_sgpr_workgroup_id_y 0
		.amdhsa_system_sgpr_workgroup_id_z 0
		.amdhsa_system_sgpr_workgroup_info 0
		.amdhsa_system_vgpr_workitem_id 0
		.amdhsa_next_free_vgpr 1
		.amdhsa_next_free_sgpr 0
		.amdhsa_accum_offset 4
		.amdhsa_reserve_vcc 0
		.amdhsa_reserve_flat_scratch 0
		.amdhsa_float_round_mode_32 0
		.amdhsa_float_round_mode_16_64 0
		.amdhsa_float_denorm_mode_32 3
		.amdhsa_float_denorm_mode_16_64 3
		.amdhsa_dx10_clamp 1
		.amdhsa_ieee_mode 1
		.amdhsa_fp16_overflow 0
		.amdhsa_tg_split 0
		.amdhsa_exception_fp_ieee_invalid_op 0
		.amdhsa_exception_fp_denorm_src 0
		.amdhsa_exception_fp_ieee_div_zero 0
		.amdhsa_exception_fp_ieee_overflow 0
		.amdhsa_exception_fp_ieee_underflow 0
		.amdhsa_exception_fp_ieee_inexact 0
		.amdhsa_exception_int_div_zero 0
	.end_amdhsa_kernel
	.section	.text._ZN7rocprim17ROCPRIM_400000_NS6detail17trampoline_kernelINS0_14default_configENS1_20scan_config_selectorIdEEZZNS1_9scan_implILNS1_25lookback_scan_determinismE0ELb0ELb0ES3_N6thrust23THRUST_200600_302600_NS6detail15normal_iteratorINS9_10device_ptrIdEEEESE_dNS9_4plusIvEEdEEDaPvRmT3_T4_T5_mT6_P12ihipStream_tbENKUlT_T0_E_clISt17integral_constantIbLb1EEST_IbLb0EEEEDaSP_SQ_EUlSP_E_NS1_11comp_targetILNS1_3genE10ELNS1_11target_archE1200ELNS1_3gpuE4ELNS1_3repE0EEENS1_30default_config_static_selectorELNS0_4arch9wavefront6targetE1EEEvT1_,"axG",@progbits,_ZN7rocprim17ROCPRIM_400000_NS6detail17trampoline_kernelINS0_14default_configENS1_20scan_config_selectorIdEEZZNS1_9scan_implILNS1_25lookback_scan_determinismE0ELb0ELb0ES3_N6thrust23THRUST_200600_302600_NS6detail15normal_iteratorINS9_10device_ptrIdEEEESE_dNS9_4plusIvEEdEEDaPvRmT3_T4_T5_mT6_P12ihipStream_tbENKUlT_T0_E_clISt17integral_constantIbLb1EEST_IbLb0EEEEDaSP_SQ_EUlSP_E_NS1_11comp_targetILNS1_3genE10ELNS1_11target_archE1200ELNS1_3gpuE4ELNS1_3repE0EEENS1_30default_config_static_selectorELNS0_4arch9wavefront6targetE1EEEvT1_,comdat
.Lfunc_end4184:
	.size	_ZN7rocprim17ROCPRIM_400000_NS6detail17trampoline_kernelINS0_14default_configENS1_20scan_config_selectorIdEEZZNS1_9scan_implILNS1_25lookback_scan_determinismE0ELb0ELb0ES3_N6thrust23THRUST_200600_302600_NS6detail15normal_iteratorINS9_10device_ptrIdEEEESE_dNS9_4plusIvEEdEEDaPvRmT3_T4_T5_mT6_P12ihipStream_tbENKUlT_T0_E_clISt17integral_constantIbLb1EEST_IbLb0EEEEDaSP_SQ_EUlSP_E_NS1_11comp_targetILNS1_3genE10ELNS1_11target_archE1200ELNS1_3gpuE4ELNS1_3repE0EEENS1_30default_config_static_selectorELNS0_4arch9wavefront6targetE1EEEvT1_, .Lfunc_end4184-_ZN7rocprim17ROCPRIM_400000_NS6detail17trampoline_kernelINS0_14default_configENS1_20scan_config_selectorIdEEZZNS1_9scan_implILNS1_25lookback_scan_determinismE0ELb0ELb0ES3_N6thrust23THRUST_200600_302600_NS6detail15normal_iteratorINS9_10device_ptrIdEEEESE_dNS9_4plusIvEEdEEDaPvRmT3_T4_T5_mT6_P12ihipStream_tbENKUlT_T0_E_clISt17integral_constantIbLb1EEST_IbLb0EEEEDaSP_SQ_EUlSP_E_NS1_11comp_targetILNS1_3genE10ELNS1_11target_archE1200ELNS1_3gpuE4ELNS1_3repE0EEENS1_30default_config_static_selectorELNS0_4arch9wavefront6targetE1EEEvT1_
                                        ; -- End function
	.section	.AMDGPU.csdata,"",@progbits
; Kernel info:
; codeLenInByte = 0
; NumSgprs: 4
; NumVgprs: 0
; NumAgprs: 0
; TotalNumVgprs: 0
; ScratchSize: 0
; MemoryBound: 0
; FloatMode: 240
; IeeeMode: 1
; LDSByteSize: 0 bytes/workgroup (compile time only)
; SGPRBlocks: 0
; VGPRBlocks: 0
; NumSGPRsForWavesPerEU: 4
; NumVGPRsForWavesPerEU: 1
; AccumOffset: 4
; Occupancy: 8
; WaveLimiterHint : 0
; COMPUTE_PGM_RSRC2:SCRATCH_EN: 0
; COMPUTE_PGM_RSRC2:USER_SGPR: 6
; COMPUTE_PGM_RSRC2:TRAP_HANDLER: 0
; COMPUTE_PGM_RSRC2:TGID_X_EN: 1
; COMPUTE_PGM_RSRC2:TGID_Y_EN: 0
; COMPUTE_PGM_RSRC2:TGID_Z_EN: 0
; COMPUTE_PGM_RSRC2:TIDIG_COMP_CNT: 0
; COMPUTE_PGM_RSRC3_GFX90A:ACCUM_OFFSET: 0
; COMPUTE_PGM_RSRC3_GFX90A:TG_SPLIT: 0
	.section	.text._ZN7rocprim17ROCPRIM_400000_NS6detail17trampoline_kernelINS0_14default_configENS1_20scan_config_selectorIdEEZZNS1_9scan_implILNS1_25lookback_scan_determinismE0ELb0ELb0ES3_N6thrust23THRUST_200600_302600_NS6detail15normal_iteratorINS9_10device_ptrIdEEEESE_dNS9_4plusIvEEdEEDaPvRmT3_T4_T5_mT6_P12ihipStream_tbENKUlT_T0_E_clISt17integral_constantIbLb1EEST_IbLb0EEEEDaSP_SQ_EUlSP_E_NS1_11comp_targetILNS1_3genE9ELNS1_11target_archE1100ELNS1_3gpuE3ELNS1_3repE0EEENS1_30default_config_static_selectorELNS0_4arch9wavefront6targetE1EEEvT1_,"axG",@progbits,_ZN7rocprim17ROCPRIM_400000_NS6detail17trampoline_kernelINS0_14default_configENS1_20scan_config_selectorIdEEZZNS1_9scan_implILNS1_25lookback_scan_determinismE0ELb0ELb0ES3_N6thrust23THRUST_200600_302600_NS6detail15normal_iteratorINS9_10device_ptrIdEEEESE_dNS9_4plusIvEEdEEDaPvRmT3_T4_T5_mT6_P12ihipStream_tbENKUlT_T0_E_clISt17integral_constantIbLb1EEST_IbLb0EEEEDaSP_SQ_EUlSP_E_NS1_11comp_targetILNS1_3genE9ELNS1_11target_archE1100ELNS1_3gpuE3ELNS1_3repE0EEENS1_30default_config_static_selectorELNS0_4arch9wavefront6targetE1EEEvT1_,comdat
	.protected	_ZN7rocprim17ROCPRIM_400000_NS6detail17trampoline_kernelINS0_14default_configENS1_20scan_config_selectorIdEEZZNS1_9scan_implILNS1_25lookback_scan_determinismE0ELb0ELb0ES3_N6thrust23THRUST_200600_302600_NS6detail15normal_iteratorINS9_10device_ptrIdEEEESE_dNS9_4plusIvEEdEEDaPvRmT3_T4_T5_mT6_P12ihipStream_tbENKUlT_T0_E_clISt17integral_constantIbLb1EEST_IbLb0EEEEDaSP_SQ_EUlSP_E_NS1_11comp_targetILNS1_3genE9ELNS1_11target_archE1100ELNS1_3gpuE3ELNS1_3repE0EEENS1_30default_config_static_selectorELNS0_4arch9wavefront6targetE1EEEvT1_ ; -- Begin function _ZN7rocprim17ROCPRIM_400000_NS6detail17trampoline_kernelINS0_14default_configENS1_20scan_config_selectorIdEEZZNS1_9scan_implILNS1_25lookback_scan_determinismE0ELb0ELb0ES3_N6thrust23THRUST_200600_302600_NS6detail15normal_iteratorINS9_10device_ptrIdEEEESE_dNS9_4plusIvEEdEEDaPvRmT3_T4_T5_mT6_P12ihipStream_tbENKUlT_T0_E_clISt17integral_constantIbLb1EEST_IbLb0EEEEDaSP_SQ_EUlSP_E_NS1_11comp_targetILNS1_3genE9ELNS1_11target_archE1100ELNS1_3gpuE3ELNS1_3repE0EEENS1_30default_config_static_selectorELNS0_4arch9wavefront6targetE1EEEvT1_
	.globl	_ZN7rocprim17ROCPRIM_400000_NS6detail17trampoline_kernelINS0_14default_configENS1_20scan_config_selectorIdEEZZNS1_9scan_implILNS1_25lookback_scan_determinismE0ELb0ELb0ES3_N6thrust23THRUST_200600_302600_NS6detail15normal_iteratorINS9_10device_ptrIdEEEESE_dNS9_4plusIvEEdEEDaPvRmT3_T4_T5_mT6_P12ihipStream_tbENKUlT_T0_E_clISt17integral_constantIbLb1EEST_IbLb0EEEEDaSP_SQ_EUlSP_E_NS1_11comp_targetILNS1_3genE9ELNS1_11target_archE1100ELNS1_3gpuE3ELNS1_3repE0EEENS1_30default_config_static_selectorELNS0_4arch9wavefront6targetE1EEEvT1_
	.p2align	8
	.type	_ZN7rocprim17ROCPRIM_400000_NS6detail17trampoline_kernelINS0_14default_configENS1_20scan_config_selectorIdEEZZNS1_9scan_implILNS1_25lookback_scan_determinismE0ELb0ELb0ES3_N6thrust23THRUST_200600_302600_NS6detail15normal_iteratorINS9_10device_ptrIdEEEESE_dNS9_4plusIvEEdEEDaPvRmT3_T4_T5_mT6_P12ihipStream_tbENKUlT_T0_E_clISt17integral_constantIbLb1EEST_IbLb0EEEEDaSP_SQ_EUlSP_E_NS1_11comp_targetILNS1_3genE9ELNS1_11target_archE1100ELNS1_3gpuE3ELNS1_3repE0EEENS1_30default_config_static_selectorELNS0_4arch9wavefront6targetE1EEEvT1_,@function
_ZN7rocprim17ROCPRIM_400000_NS6detail17trampoline_kernelINS0_14default_configENS1_20scan_config_selectorIdEEZZNS1_9scan_implILNS1_25lookback_scan_determinismE0ELb0ELb0ES3_N6thrust23THRUST_200600_302600_NS6detail15normal_iteratorINS9_10device_ptrIdEEEESE_dNS9_4plusIvEEdEEDaPvRmT3_T4_T5_mT6_P12ihipStream_tbENKUlT_T0_E_clISt17integral_constantIbLb1EEST_IbLb0EEEEDaSP_SQ_EUlSP_E_NS1_11comp_targetILNS1_3genE9ELNS1_11target_archE1100ELNS1_3gpuE3ELNS1_3repE0EEENS1_30default_config_static_selectorELNS0_4arch9wavefront6targetE1EEEvT1_: ; @_ZN7rocprim17ROCPRIM_400000_NS6detail17trampoline_kernelINS0_14default_configENS1_20scan_config_selectorIdEEZZNS1_9scan_implILNS1_25lookback_scan_determinismE0ELb0ELb0ES3_N6thrust23THRUST_200600_302600_NS6detail15normal_iteratorINS9_10device_ptrIdEEEESE_dNS9_4plusIvEEdEEDaPvRmT3_T4_T5_mT6_P12ihipStream_tbENKUlT_T0_E_clISt17integral_constantIbLb1EEST_IbLb0EEEEDaSP_SQ_EUlSP_E_NS1_11comp_targetILNS1_3genE9ELNS1_11target_archE1100ELNS1_3gpuE3ELNS1_3repE0EEENS1_30default_config_static_selectorELNS0_4arch9wavefront6targetE1EEEvT1_
; %bb.0:
	.section	.rodata,"a",@progbits
	.p2align	6, 0x0
	.amdhsa_kernel _ZN7rocprim17ROCPRIM_400000_NS6detail17trampoline_kernelINS0_14default_configENS1_20scan_config_selectorIdEEZZNS1_9scan_implILNS1_25lookback_scan_determinismE0ELb0ELb0ES3_N6thrust23THRUST_200600_302600_NS6detail15normal_iteratorINS9_10device_ptrIdEEEESE_dNS9_4plusIvEEdEEDaPvRmT3_T4_T5_mT6_P12ihipStream_tbENKUlT_T0_E_clISt17integral_constantIbLb1EEST_IbLb0EEEEDaSP_SQ_EUlSP_E_NS1_11comp_targetILNS1_3genE9ELNS1_11target_archE1100ELNS1_3gpuE3ELNS1_3repE0EEENS1_30default_config_static_selectorELNS0_4arch9wavefront6targetE1EEEvT1_
		.amdhsa_group_segment_fixed_size 0
		.amdhsa_private_segment_fixed_size 0
		.amdhsa_kernarg_size 104
		.amdhsa_user_sgpr_count 6
		.amdhsa_user_sgpr_private_segment_buffer 1
		.amdhsa_user_sgpr_dispatch_ptr 0
		.amdhsa_user_sgpr_queue_ptr 0
		.amdhsa_user_sgpr_kernarg_segment_ptr 1
		.amdhsa_user_sgpr_dispatch_id 0
		.amdhsa_user_sgpr_flat_scratch_init 0
		.amdhsa_user_sgpr_kernarg_preload_length 0
		.amdhsa_user_sgpr_kernarg_preload_offset 0
		.amdhsa_user_sgpr_private_segment_size 0
		.amdhsa_uses_dynamic_stack 0
		.amdhsa_system_sgpr_private_segment_wavefront_offset 0
		.amdhsa_system_sgpr_workgroup_id_x 1
		.amdhsa_system_sgpr_workgroup_id_y 0
		.amdhsa_system_sgpr_workgroup_id_z 0
		.amdhsa_system_sgpr_workgroup_info 0
		.amdhsa_system_vgpr_workitem_id 0
		.amdhsa_next_free_vgpr 1
		.amdhsa_next_free_sgpr 0
		.amdhsa_accum_offset 4
		.amdhsa_reserve_vcc 0
		.amdhsa_reserve_flat_scratch 0
		.amdhsa_float_round_mode_32 0
		.amdhsa_float_round_mode_16_64 0
		.amdhsa_float_denorm_mode_32 3
		.amdhsa_float_denorm_mode_16_64 3
		.amdhsa_dx10_clamp 1
		.amdhsa_ieee_mode 1
		.amdhsa_fp16_overflow 0
		.amdhsa_tg_split 0
		.amdhsa_exception_fp_ieee_invalid_op 0
		.amdhsa_exception_fp_denorm_src 0
		.amdhsa_exception_fp_ieee_div_zero 0
		.amdhsa_exception_fp_ieee_overflow 0
		.amdhsa_exception_fp_ieee_underflow 0
		.amdhsa_exception_fp_ieee_inexact 0
		.amdhsa_exception_int_div_zero 0
	.end_amdhsa_kernel
	.section	.text._ZN7rocprim17ROCPRIM_400000_NS6detail17trampoline_kernelINS0_14default_configENS1_20scan_config_selectorIdEEZZNS1_9scan_implILNS1_25lookback_scan_determinismE0ELb0ELb0ES3_N6thrust23THRUST_200600_302600_NS6detail15normal_iteratorINS9_10device_ptrIdEEEESE_dNS9_4plusIvEEdEEDaPvRmT3_T4_T5_mT6_P12ihipStream_tbENKUlT_T0_E_clISt17integral_constantIbLb1EEST_IbLb0EEEEDaSP_SQ_EUlSP_E_NS1_11comp_targetILNS1_3genE9ELNS1_11target_archE1100ELNS1_3gpuE3ELNS1_3repE0EEENS1_30default_config_static_selectorELNS0_4arch9wavefront6targetE1EEEvT1_,"axG",@progbits,_ZN7rocprim17ROCPRIM_400000_NS6detail17trampoline_kernelINS0_14default_configENS1_20scan_config_selectorIdEEZZNS1_9scan_implILNS1_25lookback_scan_determinismE0ELb0ELb0ES3_N6thrust23THRUST_200600_302600_NS6detail15normal_iteratorINS9_10device_ptrIdEEEESE_dNS9_4plusIvEEdEEDaPvRmT3_T4_T5_mT6_P12ihipStream_tbENKUlT_T0_E_clISt17integral_constantIbLb1EEST_IbLb0EEEEDaSP_SQ_EUlSP_E_NS1_11comp_targetILNS1_3genE9ELNS1_11target_archE1100ELNS1_3gpuE3ELNS1_3repE0EEENS1_30default_config_static_selectorELNS0_4arch9wavefront6targetE1EEEvT1_,comdat
.Lfunc_end4185:
	.size	_ZN7rocprim17ROCPRIM_400000_NS6detail17trampoline_kernelINS0_14default_configENS1_20scan_config_selectorIdEEZZNS1_9scan_implILNS1_25lookback_scan_determinismE0ELb0ELb0ES3_N6thrust23THRUST_200600_302600_NS6detail15normal_iteratorINS9_10device_ptrIdEEEESE_dNS9_4plusIvEEdEEDaPvRmT3_T4_T5_mT6_P12ihipStream_tbENKUlT_T0_E_clISt17integral_constantIbLb1EEST_IbLb0EEEEDaSP_SQ_EUlSP_E_NS1_11comp_targetILNS1_3genE9ELNS1_11target_archE1100ELNS1_3gpuE3ELNS1_3repE0EEENS1_30default_config_static_selectorELNS0_4arch9wavefront6targetE1EEEvT1_, .Lfunc_end4185-_ZN7rocprim17ROCPRIM_400000_NS6detail17trampoline_kernelINS0_14default_configENS1_20scan_config_selectorIdEEZZNS1_9scan_implILNS1_25lookback_scan_determinismE0ELb0ELb0ES3_N6thrust23THRUST_200600_302600_NS6detail15normal_iteratorINS9_10device_ptrIdEEEESE_dNS9_4plusIvEEdEEDaPvRmT3_T4_T5_mT6_P12ihipStream_tbENKUlT_T0_E_clISt17integral_constantIbLb1EEST_IbLb0EEEEDaSP_SQ_EUlSP_E_NS1_11comp_targetILNS1_3genE9ELNS1_11target_archE1100ELNS1_3gpuE3ELNS1_3repE0EEENS1_30default_config_static_selectorELNS0_4arch9wavefront6targetE1EEEvT1_
                                        ; -- End function
	.section	.AMDGPU.csdata,"",@progbits
; Kernel info:
; codeLenInByte = 0
; NumSgprs: 4
; NumVgprs: 0
; NumAgprs: 0
; TotalNumVgprs: 0
; ScratchSize: 0
; MemoryBound: 0
; FloatMode: 240
; IeeeMode: 1
; LDSByteSize: 0 bytes/workgroup (compile time only)
; SGPRBlocks: 0
; VGPRBlocks: 0
; NumSGPRsForWavesPerEU: 4
; NumVGPRsForWavesPerEU: 1
; AccumOffset: 4
; Occupancy: 8
; WaveLimiterHint : 0
; COMPUTE_PGM_RSRC2:SCRATCH_EN: 0
; COMPUTE_PGM_RSRC2:USER_SGPR: 6
; COMPUTE_PGM_RSRC2:TRAP_HANDLER: 0
; COMPUTE_PGM_RSRC2:TGID_X_EN: 1
; COMPUTE_PGM_RSRC2:TGID_Y_EN: 0
; COMPUTE_PGM_RSRC2:TGID_Z_EN: 0
; COMPUTE_PGM_RSRC2:TIDIG_COMP_CNT: 0
; COMPUTE_PGM_RSRC3_GFX90A:ACCUM_OFFSET: 0
; COMPUTE_PGM_RSRC3_GFX90A:TG_SPLIT: 0
	.section	.text._ZN7rocprim17ROCPRIM_400000_NS6detail17trampoline_kernelINS0_14default_configENS1_20scan_config_selectorIdEEZZNS1_9scan_implILNS1_25lookback_scan_determinismE0ELb0ELb0ES3_N6thrust23THRUST_200600_302600_NS6detail15normal_iteratorINS9_10device_ptrIdEEEESE_dNS9_4plusIvEEdEEDaPvRmT3_T4_T5_mT6_P12ihipStream_tbENKUlT_T0_E_clISt17integral_constantIbLb1EEST_IbLb0EEEEDaSP_SQ_EUlSP_E_NS1_11comp_targetILNS1_3genE8ELNS1_11target_archE1030ELNS1_3gpuE2ELNS1_3repE0EEENS1_30default_config_static_selectorELNS0_4arch9wavefront6targetE1EEEvT1_,"axG",@progbits,_ZN7rocprim17ROCPRIM_400000_NS6detail17trampoline_kernelINS0_14default_configENS1_20scan_config_selectorIdEEZZNS1_9scan_implILNS1_25lookback_scan_determinismE0ELb0ELb0ES3_N6thrust23THRUST_200600_302600_NS6detail15normal_iteratorINS9_10device_ptrIdEEEESE_dNS9_4plusIvEEdEEDaPvRmT3_T4_T5_mT6_P12ihipStream_tbENKUlT_T0_E_clISt17integral_constantIbLb1EEST_IbLb0EEEEDaSP_SQ_EUlSP_E_NS1_11comp_targetILNS1_3genE8ELNS1_11target_archE1030ELNS1_3gpuE2ELNS1_3repE0EEENS1_30default_config_static_selectorELNS0_4arch9wavefront6targetE1EEEvT1_,comdat
	.protected	_ZN7rocprim17ROCPRIM_400000_NS6detail17trampoline_kernelINS0_14default_configENS1_20scan_config_selectorIdEEZZNS1_9scan_implILNS1_25lookback_scan_determinismE0ELb0ELb0ES3_N6thrust23THRUST_200600_302600_NS6detail15normal_iteratorINS9_10device_ptrIdEEEESE_dNS9_4plusIvEEdEEDaPvRmT3_T4_T5_mT6_P12ihipStream_tbENKUlT_T0_E_clISt17integral_constantIbLb1EEST_IbLb0EEEEDaSP_SQ_EUlSP_E_NS1_11comp_targetILNS1_3genE8ELNS1_11target_archE1030ELNS1_3gpuE2ELNS1_3repE0EEENS1_30default_config_static_selectorELNS0_4arch9wavefront6targetE1EEEvT1_ ; -- Begin function _ZN7rocprim17ROCPRIM_400000_NS6detail17trampoline_kernelINS0_14default_configENS1_20scan_config_selectorIdEEZZNS1_9scan_implILNS1_25lookback_scan_determinismE0ELb0ELb0ES3_N6thrust23THRUST_200600_302600_NS6detail15normal_iteratorINS9_10device_ptrIdEEEESE_dNS9_4plusIvEEdEEDaPvRmT3_T4_T5_mT6_P12ihipStream_tbENKUlT_T0_E_clISt17integral_constantIbLb1EEST_IbLb0EEEEDaSP_SQ_EUlSP_E_NS1_11comp_targetILNS1_3genE8ELNS1_11target_archE1030ELNS1_3gpuE2ELNS1_3repE0EEENS1_30default_config_static_selectorELNS0_4arch9wavefront6targetE1EEEvT1_
	.globl	_ZN7rocprim17ROCPRIM_400000_NS6detail17trampoline_kernelINS0_14default_configENS1_20scan_config_selectorIdEEZZNS1_9scan_implILNS1_25lookback_scan_determinismE0ELb0ELb0ES3_N6thrust23THRUST_200600_302600_NS6detail15normal_iteratorINS9_10device_ptrIdEEEESE_dNS9_4plusIvEEdEEDaPvRmT3_T4_T5_mT6_P12ihipStream_tbENKUlT_T0_E_clISt17integral_constantIbLb1EEST_IbLb0EEEEDaSP_SQ_EUlSP_E_NS1_11comp_targetILNS1_3genE8ELNS1_11target_archE1030ELNS1_3gpuE2ELNS1_3repE0EEENS1_30default_config_static_selectorELNS0_4arch9wavefront6targetE1EEEvT1_
	.p2align	8
	.type	_ZN7rocprim17ROCPRIM_400000_NS6detail17trampoline_kernelINS0_14default_configENS1_20scan_config_selectorIdEEZZNS1_9scan_implILNS1_25lookback_scan_determinismE0ELb0ELb0ES3_N6thrust23THRUST_200600_302600_NS6detail15normal_iteratorINS9_10device_ptrIdEEEESE_dNS9_4plusIvEEdEEDaPvRmT3_T4_T5_mT6_P12ihipStream_tbENKUlT_T0_E_clISt17integral_constantIbLb1EEST_IbLb0EEEEDaSP_SQ_EUlSP_E_NS1_11comp_targetILNS1_3genE8ELNS1_11target_archE1030ELNS1_3gpuE2ELNS1_3repE0EEENS1_30default_config_static_selectorELNS0_4arch9wavefront6targetE1EEEvT1_,@function
_ZN7rocprim17ROCPRIM_400000_NS6detail17trampoline_kernelINS0_14default_configENS1_20scan_config_selectorIdEEZZNS1_9scan_implILNS1_25lookback_scan_determinismE0ELb0ELb0ES3_N6thrust23THRUST_200600_302600_NS6detail15normal_iteratorINS9_10device_ptrIdEEEESE_dNS9_4plusIvEEdEEDaPvRmT3_T4_T5_mT6_P12ihipStream_tbENKUlT_T0_E_clISt17integral_constantIbLb1EEST_IbLb0EEEEDaSP_SQ_EUlSP_E_NS1_11comp_targetILNS1_3genE8ELNS1_11target_archE1030ELNS1_3gpuE2ELNS1_3repE0EEENS1_30default_config_static_selectorELNS0_4arch9wavefront6targetE1EEEvT1_: ; @_ZN7rocprim17ROCPRIM_400000_NS6detail17trampoline_kernelINS0_14default_configENS1_20scan_config_selectorIdEEZZNS1_9scan_implILNS1_25lookback_scan_determinismE0ELb0ELb0ES3_N6thrust23THRUST_200600_302600_NS6detail15normal_iteratorINS9_10device_ptrIdEEEESE_dNS9_4plusIvEEdEEDaPvRmT3_T4_T5_mT6_P12ihipStream_tbENKUlT_T0_E_clISt17integral_constantIbLb1EEST_IbLb0EEEEDaSP_SQ_EUlSP_E_NS1_11comp_targetILNS1_3genE8ELNS1_11target_archE1030ELNS1_3gpuE2ELNS1_3repE0EEENS1_30default_config_static_selectorELNS0_4arch9wavefront6targetE1EEEvT1_
; %bb.0:
	.section	.rodata,"a",@progbits
	.p2align	6, 0x0
	.amdhsa_kernel _ZN7rocprim17ROCPRIM_400000_NS6detail17trampoline_kernelINS0_14default_configENS1_20scan_config_selectorIdEEZZNS1_9scan_implILNS1_25lookback_scan_determinismE0ELb0ELb0ES3_N6thrust23THRUST_200600_302600_NS6detail15normal_iteratorINS9_10device_ptrIdEEEESE_dNS9_4plusIvEEdEEDaPvRmT3_T4_T5_mT6_P12ihipStream_tbENKUlT_T0_E_clISt17integral_constantIbLb1EEST_IbLb0EEEEDaSP_SQ_EUlSP_E_NS1_11comp_targetILNS1_3genE8ELNS1_11target_archE1030ELNS1_3gpuE2ELNS1_3repE0EEENS1_30default_config_static_selectorELNS0_4arch9wavefront6targetE1EEEvT1_
		.amdhsa_group_segment_fixed_size 0
		.amdhsa_private_segment_fixed_size 0
		.amdhsa_kernarg_size 104
		.amdhsa_user_sgpr_count 6
		.amdhsa_user_sgpr_private_segment_buffer 1
		.amdhsa_user_sgpr_dispatch_ptr 0
		.amdhsa_user_sgpr_queue_ptr 0
		.amdhsa_user_sgpr_kernarg_segment_ptr 1
		.amdhsa_user_sgpr_dispatch_id 0
		.amdhsa_user_sgpr_flat_scratch_init 0
		.amdhsa_user_sgpr_kernarg_preload_length 0
		.amdhsa_user_sgpr_kernarg_preload_offset 0
		.amdhsa_user_sgpr_private_segment_size 0
		.amdhsa_uses_dynamic_stack 0
		.amdhsa_system_sgpr_private_segment_wavefront_offset 0
		.amdhsa_system_sgpr_workgroup_id_x 1
		.amdhsa_system_sgpr_workgroup_id_y 0
		.amdhsa_system_sgpr_workgroup_id_z 0
		.amdhsa_system_sgpr_workgroup_info 0
		.amdhsa_system_vgpr_workitem_id 0
		.amdhsa_next_free_vgpr 1
		.amdhsa_next_free_sgpr 0
		.amdhsa_accum_offset 4
		.amdhsa_reserve_vcc 0
		.amdhsa_reserve_flat_scratch 0
		.amdhsa_float_round_mode_32 0
		.amdhsa_float_round_mode_16_64 0
		.amdhsa_float_denorm_mode_32 3
		.amdhsa_float_denorm_mode_16_64 3
		.amdhsa_dx10_clamp 1
		.amdhsa_ieee_mode 1
		.amdhsa_fp16_overflow 0
		.amdhsa_tg_split 0
		.amdhsa_exception_fp_ieee_invalid_op 0
		.amdhsa_exception_fp_denorm_src 0
		.amdhsa_exception_fp_ieee_div_zero 0
		.amdhsa_exception_fp_ieee_overflow 0
		.amdhsa_exception_fp_ieee_underflow 0
		.amdhsa_exception_fp_ieee_inexact 0
		.amdhsa_exception_int_div_zero 0
	.end_amdhsa_kernel
	.section	.text._ZN7rocprim17ROCPRIM_400000_NS6detail17trampoline_kernelINS0_14default_configENS1_20scan_config_selectorIdEEZZNS1_9scan_implILNS1_25lookback_scan_determinismE0ELb0ELb0ES3_N6thrust23THRUST_200600_302600_NS6detail15normal_iteratorINS9_10device_ptrIdEEEESE_dNS9_4plusIvEEdEEDaPvRmT3_T4_T5_mT6_P12ihipStream_tbENKUlT_T0_E_clISt17integral_constantIbLb1EEST_IbLb0EEEEDaSP_SQ_EUlSP_E_NS1_11comp_targetILNS1_3genE8ELNS1_11target_archE1030ELNS1_3gpuE2ELNS1_3repE0EEENS1_30default_config_static_selectorELNS0_4arch9wavefront6targetE1EEEvT1_,"axG",@progbits,_ZN7rocprim17ROCPRIM_400000_NS6detail17trampoline_kernelINS0_14default_configENS1_20scan_config_selectorIdEEZZNS1_9scan_implILNS1_25lookback_scan_determinismE0ELb0ELb0ES3_N6thrust23THRUST_200600_302600_NS6detail15normal_iteratorINS9_10device_ptrIdEEEESE_dNS9_4plusIvEEdEEDaPvRmT3_T4_T5_mT6_P12ihipStream_tbENKUlT_T0_E_clISt17integral_constantIbLb1EEST_IbLb0EEEEDaSP_SQ_EUlSP_E_NS1_11comp_targetILNS1_3genE8ELNS1_11target_archE1030ELNS1_3gpuE2ELNS1_3repE0EEENS1_30default_config_static_selectorELNS0_4arch9wavefront6targetE1EEEvT1_,comdat
.Lfunc_end4186:
	.size	_ZN7rocprim17ROCPRIM_400000_NS6detail17trampoline_kernelINS0_14default_configENS1_20scan_config_selectorIdEEZZNS1_9scan_implILNS1_25lookback_scan_determinismE0ELb0ELb0ES3_N6thrust23THRUST_200600_302600_NS6detail15normal_iteratorINS9_10device_ptrIdEEEESE_dNS9_4plusIvEEdEEDaPvRmT3_T4_T5_mT6_P12ihipStream_tbENKUlT_T0_E_clISt17integral_constantIbLb1EEST_IbLb0EEEEDaSP_SQ_EUlSP_E_NS1_11comp_targetILNS1_3genE8ELNS1_11target_archE1030ELNS1_3gpuE2ELNS1_3repE0EEENS1_30default_config_static_selectorELNS0_4arch9wavefront6targetE1EEEvT1_, .Lfunc_end4186-_ZN7rocprim17ROCPRIM_400000_NS6detail17trampoline_kernelINS0_14default_configENS1_20scan_config_selectorIdEEZZNS1_9scan_implILNS1_25lookback_scan_determinismE0ELb0ELb0ES3_N6thrust23THRUST_200600_302600_NS6detail15normal_iteratorINS9_10device_ptrIdEEEESE_dNS9_4plusIvEEdEEDaPvRmT3_T4_T5_mT6_P12ihipStream_tbENKUlT_T0_E_clISt17integral_constantIbLb1EEST_IbLb0EEEEDaSP_SQ_EUlSP_E_NS1_11comp_targetILNS1_3genE8ELNS1_11target_archE1030ELNS1_3gpuE2ELNS1_3repE0EEENS1_30default_config_static_selectorELNS0_4arch9wavefront6targetE1EEEvT1_
                                        ; -- End function
	.section	.AMDGPU.csdata,"",@progbits
; Kernel info:
; codeLenInByte = 0
; NumSgprs: 4
; NumVgprs: 0
; NumAgprs: 0
; TotalNumVgprs: 0
; ScratchSize: 0
; MemoryBound: 0
; FloatMode: 240
; IeeeMode: 1
; LDSByteSize: 0 bytes/workgroup (compile time only)
; SGPRBlocks: 0
; VGPRBlocks: 0
; NumSGPRsForWavesPerEU: 4
; NumVGPRsForWavesPerEU: 1
; AccumOffset: 4
; Occupancy: 8
; WaveLimiterHint : 0
; COMPUTE_PGM_RSRC2:SCRATCH_EN: 0
; COMPUTE_PGM_RSRC2:USER_SGPR: 6
; COMPUTE_PGM_RSRC2:TRAP_HANDLER: 0
; COMPUTE_PGM_RSRC2:TGID_X_EN: 1
; COMPUTE_PGM_RSRC2:TGID_Y_EN: 0
; COMPUTE_PGM_RSRC2:TGID_Z_EN: 0
; COMPUTE_PGM_RSRC2:TIDIG_COMP_CNT: 0
; COMPUTE_PGM_RSRC3_GFX90A:ACCUM_OFFSET: 0
; COMPUTE_PGM_RSRC3_GFX90A:TG_SPLIT: 0
	.section	.text._ZN7rocprim17ROCPRIM_400000_NS6detail17trampoline_kernelINS0_14default_configENS1_20scan_config_selectorIdEEZZNS1_9scan_implILNS1_25lookback_scan_determinismE0ELb0ELb0ES3_N6thrust23THRUST_200600_302600_NS6detail15normal_iteratorINS9_10device_ptrIdEEEESE_dNS9_4plusIvEEdEEDaPvRmT3_T4_T5_mT6_P12ihipStream_tbENKUlT_T0_E_clISt17integral_constantIbLb1EEST_IbLb0EEEEDaSP_SQ_EUlSP_E0_NS1_11comp_targetILNS1_3genE0ELNS1_11target_archE4294967295ELNS1_3gpuE0ELNS1_3repE0EEENS1_30default_config_static_selectorELNS0_4arch9wavefront6targetE1EEEvT1_,"axG",@progbits,_ZN7rocprim17ROCPRIM_400000_NS6detail17trampoline_kernelINS0_14default_configENS1_20scan_config_selectorIdEEZZNS1_9scan_implILNS1_25lookback_scan_determinismE0ELb0ELb0ES3_N6thrust23THRUST_200600_302600_NS6detail15normal_iteratorINS9_10device_ptrIdEEEESE_dNS9_4plusIvEEdEEDaPvRmT3_T4_T5_mT6_P12ihipStream_tbENKUlT_T0_E_clISt17integral_constantIbLb1EEST_IbLb0EEEEDaSP_SQ_EUlSP_E0_NS1_11comp_targetILNS1_3genE0ELNS1_11target_archE4294967295ELNS1_3gpuE0ELNS1_3repE0EEENS1_30default_config_static_selectorELNS0_4arch9wavefront6targetE1EEEvT1_,comdat
	.protected	_ZN7rocprim17ROCPRIM_400000_NS6detail17trampoline_kernelINS0_14default_configENS1_20scan_config_selectorIdEEZZNS1_9scan_implILNS1_25lookback_scan_determinismE0ELb0ELb0ES3_N6thrust23THRUST_200600_302600_NS6detail15normal_iteratorINS9_10device_ptrIdEEEESE_dNS9_4plusIvEEdEEDaPvRmT3_T4_T5_mT6_P12ihipStream_tbENKUlT_T0_E_clISt17integral_constantIbLb1EEST_IbLb0EEEEDaSP_SQ_EUlSP_E0_NS1_11comp_targetILNS1_3genE0ELNS1_11target_archE4294967295ELNS1_3gpuE0ELNS1_3repE0EEENS1_30default_config_static_selectorELNS0_4arch9wavefront6targetE1EEEvT1_ ; -- Begin function _ZN7rocprim17ROCPRIM_400000_NS6detail17trampoline_kernelINS0_14default_configENS1_20scan_config_selectorIdEEZZNS1_9scan_implILNS1_25lookback_scan_determinismE0ELb0ELb0ES3_N6thrust23THRUST_200600_302600_NS6detail15normal_iteratorINS9_10device_ptrIdEEEESE_dNS9_4plusIvEEdEEDaPvRmT3_T4_T5_mT6_P12ihipStream_tbENKUlT_T0_E_clISt17integral_constantIbLb1EEST_IbLb0EEEEDaSP_SQ_EUlSP_E0_NS1_11comp_targetILNS1_3genE0ELNS1_11target_archE4294967295ELNS1_3gpuE0ELNS1_3repE0EEENS1_30default_config_static_selectorELNS0_4arch9wavefront6targetE1EEEvT1_
	.globl	_ZN7rocprim17ROCPRIM_400000_NS6detail17trampoline_kernelINS0_14default_configENS1_20scan_config_selectorIdEEZZNS1_9scan_implILNS1_25lookback_scan_determinismE0ELb0ELb0ES3_N6thrust23THRUST_200600_302600_NS6detail15normal_iteratorINS9_10device_ptrIdEEEESE_dNS9_4plusIvEEdEEDaPvRmT3_T4_T5_mT6_P12ihipStream_tbENKUlT_T0_E_clISt17integral_constantIbLb1EEST_IbLb0EEEEDaSP_SQ_EUlSP_E0_NS1_11comp_targetILNS1_3genE0ELNS1_11target_archE4294967295ELNS1_3gpuE0ELNS1_3repE0EEENS1_30default_config_static_selectorELNS0_4arch9wavefront6targetE1EEEvT1_
	.p2align	8
	.type	_ZN7rocprim17ROCPRIM_400000_NS6detail17trampoline_kernelINS0_14default_configENS1_20scan_config_selectorIdEEZZNS1_9scan_implILNS1_25lookback_scan_determinismE0ELb0ELb0ES3_N6thrust23THRUST_200600_302600_NS6detail15normal_iteratorINS9_10device_ptrIdEEEESE_dNS9_4plusIvEEdEEDaPvRmT3_T4_T5_mT6_P12ihipStream_tbENKUlT_T0_E_clISt17integral_constantIbLb1EEST_IbLb0EEEEDaSP_SQ_EUlSP_E0_NS1_11comp_targetILNS1_3genE0ELNS1_11target_archE4294967295ELNS1_3gpuE0ELNS1_3repE0EEENS1_30default_config_static_selectorELNS0_4arch9wavefront6targetE1EEEvT1_,@function
_ZN7rocprim17ROCPRIM_400000_NS6detail17trampoline_kernelINS0_14default_configENS1_20scan_config_selectorIdEEZZNS1_9scan_implILNS1_25lookback_scan_determinismE0ELb0ELb0ES3_N6thrust23THRUST_200600_302600_NS6detail15normal_iteratorINS9_10device_ptrIdEEEESE_dNS9_4plusIvEEdEEDaPvRmT3_T4_T5_mT6_P12ihipStream_tbENKUlT_T0_E_clISt17integral_constantIbLb1EEST_IbLb0EEEEDaSP_SQ_EUlSP_E0_NS1_11comp_targetILNS1_3genE0ELNS1_11target_archE4294967295ELNS1_3gpuE0ELNS1_3repE0EEENS1_30default_config_static_selectorELNS0_4arch9wavefront6targetE1EEEvT1_: ; @_ZN7rocprim17ROCPRIM_400000_NS6detail17trampoline_kernelINS0_14default_configENS1_20scan_config_selectorIdEEZZNS1_9scan_implILNS1_25lookback_scan_determinismE0ELb0ELb0ES3_N6thrust23THRUST_200600_302600_NS6detail15normal_iteratorINS9_10device_ptrIdEEEESE_dNS9_4plusIvEEdEEDaPvRmT3_T4_T5_mT6_P12ihipStream_tbENKUlT_T0_E_clISt17integral_constantIbLb1EEST_IbLb0EEEEDaSP_SQ_EUlSP_E0_NS1_11comp_targetILNS1_3genE0ELNS1_11target_archE4294967295ELNS1_3gpuE0ELNS1_3repE0EEENS1_30default_config_static_selectorELNS0_4arch9wavefront6targetE1EEEvT1_
; %bb.0:
	.section	.rodata,"a",@progbits
	.p2align	6, 0x0
	.amdhsa_kernel _ZN7rocprim17ROCPRIM_400000_NS6detail17trampoline_kernelINS0_14default_configENS1_20scan_config_selectorIdEEZZNS1_9scan_implILNS1_25lookback_scan_determinismE0ELb0ELb0ES3_N6thrust23THRUST_200600_302600_NS6detail15normal_iteratorINS9_10device_ptrIdEEEESE_dNS9_4plusIvEEdEEDaPvRmT3_T4_T5_mT6_P12ihipStream_tbENKUlT_T0_E_clISt17integral_constantIbLb1EEST_IbLb0EEEEDaSP_SQ_EUlSP_E0_NS1_11comp_targetILNS1_3genE0ELNS1_11target_archE4294967295ELNS1_3gpuE0ELNS1_3repE0EEENS1_30default_config_static_selectorELNS0_4arch9wavefront6targetE1EEEvT1_
		.amdhsa_group_segment_fixed_size 0
		.amdhsa_private_segment_fixed_size 0
		.amdhsa_kernarg_size 40
		.amdhsa_user_sgpr_count 6
		.amdhsa_user_sgpr_private_segment_buffer 1
		.amdhsa_user_sgpr_dispatch_ptr 0
		.amdhsa_user_sgpr_queue_ptr 0
		.amdhsa_user_sgpr_kernarg_segment_ptr 1
		.amdhsa_user_sgpr_dispatch_id 0
		.amdhsa_user_sgpr_flat_scratch_init 0
		.amdhsa_user_sgpr_kernarg_preload_length 0
		.amdhsa_user_sgpr_kernarg_preload_offset 0
		.amdhsa_user_sgpr_private_segment_size 0
		.amdhsa_uses_dynamic_stack 0
		.amdhsa_system_sgpr_private_segment_wavefront_offset 0
		.amdhsa_system_sgpr_workgroup_id_x 1
		.amdhsa_system_sgpr_workgroup_id_y 0
		.amdhsa_system_sgpr_workgroup_id_z 0
		.amdhsa_system_sgpr_workgroup_info 0
		.amdhsa_system_vgpr_workitem_id 0
		.amdhsa_next_free_vgpr 1
		.amdhsa_next_free_sgpr 0
		.amdhsa_accum_offset 4
		.amdhsa_reserve_vcc 0
		.amdhsa_reserve_flat_scratch 0
		.amdhsa_float_round_mode_32 0
		.amdhsa_float_round_mode_16_64 0
		.amdhsa_float_denorm_mode_32 3
		.amdhsa_float_denorm_mode_16_64 3
		.amdhsa_dx10_clamp 1
		.amdhsa_ieee_mode 1
		.amdhsa_fp16_overflow 0
		.amdhsa_tg_split 0
		.amdhsa_exception_fp_ieee_invalid_op 0
		.amdhsa_exception_fp_denorm_src 0
		.amdhsa_exception_fp_ieee_div_zero 0
		.amdhsa_exception_fp_ieee_overflow 0
		.amdhsa_exception_fp_ieee_underflow 0
		.amdhsa_exception_fp_ieee_inexact 0
		.amdhsa_exception_int_div_zero 0
	.end_amdhsa_kernel
	.section	.text._ZN7rocprim17ROCPRIM_400000_NS6detail17trampoline_kernelINS0_14default_configENS1_20scan_config_selectorIdEEZZNS1_9scan_implILNS1_25lookback_scan_determinismE0ELb0ELb0ES3_N6thrust23THRUST_200600_302600_NS6detail15normal_iteratorINS9_10device_ptrIdEEEESE_dNS9_4plusIvEEdEEDaPvRmT3_T4_T5_mT6_P12ihipStream_tbENKUlT_T0_E_clISt17integral_constantIbLb1EEST_IbLb0EEEEDaSP_SQ_EUlSP_E0_NS1_11comp_targetILNS1_3genE0ELNS1_11target_archE4294967295ELNS1_3gpuE0ELNS1_3repE0EEENS1_30default_config_static_selectorELNS0_4arch9wavefront6targetE1EEEvT1_,"axG",@progbits,_ZN7rocprim17ROCPRIM_400000_NS6detail17trampoline_kernelINS0_14default_configENS1_20scan_config_selectorIdEEZZNS1_9scan_implILNS1_25lookback_scan_determinismE0ELb0ELb0ES3_N6thrust23THRUST_200600_302600_NS6detail15normal_iteratorINS9_10device_ptrIdEEEESE_dNS9_4plusIvEEdEEDaPvRmT3_T4_T5_mT6_P12ihipStream_tbENKUlT_T0_E_clISt17integral_constantIbLb1EEST_IbLb0EEEEDaSP_SQ_EUlSP_E0_NS1_11comp_targetILNS1_3genE0ELNS1_11target_archE4294967295ELNS1_3gpuE0ELNS1_3repE0EEENS1_30default_config_static_selectorELNS0_4arch9wavefront6targetE1EEEvT1_,comdat
.Lfunc_end4187:
	.size	_ZN7rocprim17ROCPRIM_400000_NS6detail17trampoline_kernelINS0_14default_configENS1_20scan_config_selectorIdEEZZNS1_9scan_implILNS1_25lookback_scan_determinismE0ELb0ELb0ES3_N6thrust23THRUST_200600_302600_NS6detail15normal_iteratorINS9_10device_ptrIdEEEESE_dNS9_4plusIvEEdEEDaPvRmT3_T4_T5_mT6_P12ihipStream_tbENKUlT_T0_E_clISt17integral_constantIbLb1EEST_IbLb0EEEEDaSP_SQ_EUlSP_E0_NS1_11comp_targetILNS1_3genE0ELNS1_11target_archE4294967295ELNS1_3gpuE0ELNS1_3repE0EEENS1_30default_config_static_selectorELNS0_4arch9wavefront6targetE1EEEvT1_, .Lfunc_end4187-_ZN7rocprim17ROCPRIM_400000_NS6detail17trampoline_kernelINS0_14default_configENS1_20scan_config_selectorIdEEZZNS1_9scan_implILNS1_25lookback_scan_determinismE0ELb0ELb0ES3_N6thrust23THRUST_200600_302600_NS6detail15normal_iteratorINS9_10device_ptrIdEEEESE_dNS9_4plusIvEEdEEDaPvRmT3_T4_T5_mT6_P12ihipStream_tbENKUlT_T0_E_clISt17integral_constantIbLb1EEST_IbLb0EEEEDaSP_SQ_EUlSP_E0_NS1_11comp_targetILNS1_3genE0ELNS1_11target_archE4294967295ELNS1_3gpuE0ELNS1_3repE0EEENS1_30default_config_static_selectorELNS0_4arch9wavefront6targetE1EEEvT1_
                                        ; -- End function
	.section	.AMDGPU.csdata,"",@progbits
; Kernel info:
; codeLenInByte = 0
; NumSgprs: 4
; NumVgprs: 0
; NumAgprs: 0
; TotalNumVgprs: 0
; ScratchSize: 0
; MemoryBound: 0
; FloatMode: 240
; IeeeMode: 1
; LDSByteSize: 0 bytes/workgroup (compile time only)
; SGPRBlocks: 0
; VGPRBlocks: 0
; NumSGPRsForWavesPerEU: 4
; NumVGPRsForWavesPerEU: 1
; AccumOffset: 4
; Occupancy: 8
; WaveLimiterHint : 0
; COMPUTE_PGM_RSRC2:SCRATCH_EN: 0
; COMPUTE_PGM_RSRC2:USER_SGPR: 6
; COMPUTE_PGM_RSRC2:TRAP_HANDLER: 0
; COMPUTE_PGM_RSRC2:TGID_X_EN: 1
; COMPUTE_PGM_RSRC2:TGID_Y_EN: 0
; COMPUTE_PGM_RSRC2:TGID_Z_EN: 0
; COMPUTE_PGM_RSRC2:TIDIG_COMP_CNT: 0
; COMPUTE_PGM_RSRC3_GFX90A:ACCUM_OFFSET: 0
; COMPUTE_PGM_RSRC3_GFX90A:TG_SPLIT: 0
	.section	.text._ZN7rocprim17ROCPRIM_400000_NS6detail17trampoline_kernelINS0_14default_configENS1_20scan_config_selectorIdEEZZNS1_9scan_implILNS1_25lookback_scan_determinismE0ELb0ELb0ES3_N6thrust23THRUST_200600_302600_NS6detail15normal_iteratorINS9_10device_ptrIdEEEESE_dNS9_4plusIvEEdEEDaPvRmT3_T4_T5_mT6_P12ihipStream_tbENKUlT_T0_E_clISt17integral_constantIbLb1EEST_IbLb0EEEEDaSP_SQ_EUlSP_E0_NS1_11comp_targetILNS1_3genE5ELNS1_11target_archE942ELNS1_3gpuE9ELNS1_3repE0EEENS1_30default_config_static_selectorELNS0_4arch9wavefront6targetE1EEEvT1_,"axG",@progbits,_ZN7rocprim17ROCPRIM_400000_NS6detail17trampoline_kernelINS0_14default_configENS1_20scan_config_selectorIdEEZZNS1_9scan_implILNS1_25lookback_scan_determinismE0ELb0ELb0ES3_N6thrust23THRUST_200600_302600_NS6detail15normal_iteratorINS9_10device_ptrIdEEEESE_dNS9_4plusIvEEdEEDaPvRmT3_T4_T5_mT6_P12ihipStream_tbENKUlT_T0_E_clISt17integral_constantIbLb1EEST_IbLb0EEEEDaSP_SQ_EUlSP_E0_NS1_11comp_targetILNS1_3genE5ELNS1_11target_archE942ELNS1_3gpuE9ELNS1_3repE0EEENS1_30default_config_static_selectorELNS0_4arch9wavefront6targetE1EEEvT1_,comdat
	.protected	_ZN7rocprim17ROCPRIM_400000_NS6detail17trampoline_kernelINS0_14default_configENS1_20scan_config_selectorIdEEZZNS1_9scan_implILNS1_25lookback_scan_determinismE0ELb0ELb0ES3_N6thrust23THRUST_200600_302600_NS6detail15normal_iteratorINS9_10device_ptrIdEEEESE_dNS9_4plusIvEEdEEDaPvRmT3_T4_T5_mT6_P12ihipStream_tbENKUlT_T0_E_clISt17integral_constantIbLb1EEST_IbLb0EEEEDaSP_SQ_EUlSP_E0_NS1_11comp_targetILNS1_3genE5ELNS1_11target_archE942ELNS1_3gpuE9ELNS1_3repE0EEENS1_30default_config_static_selectorELNS0_4arch9wavefront6targetE1EEEvT1_ ; -- Begin function _ZN7rocprim17ROCPRIM_400000_NS6detail17trampoline_kernelINS0_14default_configENS1_20scan_config_selectorIdEEZZNS1_9scan_implILNS1_25lookback_scan_determinismE0ELb0ELb0ES3_N6thrust23THRUST_200600_302600_NS6detail15normal_iteratorINS9_10device_ptrIdEEEESE_dNS9_4plusIvEEdEEDaPvRmT3_T4_T5_mT6_P12ihipStream_tbENKUlT_T0_E_clISt17integral_constantIbLb1EEST_IbLb0EEEEDaSP_SQ_EUlSP_E0_NS1_11comp_targetILNS1_3genE5ELNS1_11target_archE942ELNS1_3gpuE9ELNS1_3repE0EEENS1_30default_config_static_selectorELNS0_4arch9wavefront6targetE1EEEvT1_
	.globl	_ZN7rocprim17ROCPRIM_400000_NS6detail17trampoline_kernelINS0_14default_configENS1_20scan_config_selectorIdEEZZNS1_9scan_implILNS1_25lookback_scan_determinismE0ELb0ELb0ES3_N6thrust23THRUST_200600_302600_NS6detail15normal_iteratorINS9_10device_ptrIdEEEESE_dNS9_4plusIvEEdEEDaPvRmT3_T4_T5_mT6_P12ihipStream_tbENKUlT_T0_E_clISt17integral_constantIbLb1EEST_IbLb0EEEEDaSP_SQ_EUlSP_E0_NS1_11comp_targetILNS1_3genE5ELNS1_11target_archE942ELNS1_3gpuE9ELNS1_3repE0EEENS1_30default_config_static_selectorELNS0_4arch9wavefront6targetE1EEEvT1_
	.p2align	8
	.type	_ZN7rocprim17ROCPRIM_400000_NS6detail17trampoline_kernelINS0_14default_configENS1_20scan_config_selectorIdEEZZNS1_9scan_implILNS1_25lookback_scan_determinismE0ELb0ELb0ES3_N6thrust23THRUST_200600_302600_NS6detail15normal_iteratorINS9_10device_ptrIdEEEESE_dNS9_4plusIvEEdEEDaPvRmT3_T4_T5_mT6_P12ihipStream_tbENKUlT_T0_E_clISt17integral_constantIbLb1EEST_IbLb0EEEEDaSP_SQ_EUlSP_E0_NS1_11comp_targetILNS1_3genE5ELNS1_11target_archE942ELNS1_3gpuE9ELNS1_3repE0EEENS1_30default_config_static_selectorELNS0_4arch9wavefront6targetE1EEEvT1_,@function
_ZN7rocprim17ROCPRIM_400000_NS6detail17trampoline_kernelINS0_14default_configENS1_20scan_config_selectorIdEEZZNS1_9scan_implILNS1_25lookback_scan_determinismE0ELb0ELb0ES3_N6thrust23THRUST_200600_302600_NS6detail15normal_iteratorINS9_10device_ptrIdEEEESE_dNS9_4plusIvEEdEEDaPvRmT3_T4_T5_mT6_P12ihipStream_tbENKUlT_T0_E_clISt17integral_constantIbLb1EEST_IbLb0EEEEDaSP_SQ_EUlSP_E0_NS1_11comp_targetILNS1_3genE5ELNS1_11target_archE942ELNS1_3gpuE9ELNS1_3repE0EEENS1_30default_config_static_selectorELNS0_4arch9wavefront6targetE1EEEvT1_: ; @_ZN7rocprim17ROCPRIM_400000_NS6detail17trampoline_kernelINS0_14default_configENS1_20scan_config_selectorIdEEZZNS1_9scan_implILNS1_25lookback_scan_determinismE0ELb0ELb0ES3_N6thrust23THRUST_200600_302600_NS6detail15normal_iteratorINS9_10device_ptrIdEEEESE_dNS9_4plusIvEEdEEDaPvRmT3_T4_T5_mT6_P12ihipStream_tbENKUlT_T0_E_clISt17integral_constantIbLb1EEST_IbLb0EEEEDaSP_SQ_EUlSP_E0_NS1_11comp_targetILNS1_3genE5ELNS1_11target_archE942ELNS1_3gpuE9ELNS1_3repE0EEENS1_30default_config_static_selectorELNS0_4arch9wavefront6targetE1EEEvT1_
; %bb.0:
	.section	.rodata,"a",@progbits
	.p2align	6, 0x0
	.amdhsa_kernel _ZN7rocprim17ROCPRIM_400000_NS6detail17trampoline_kernelINS0_14default_configENS1_20scan_config_selectorIdEEZZNS1_9scan_implILNS1_25lookback_scan_determinismE0ELb0ELb0ES3_N6thrust23THRUST_200600_302600_NS6detail15normal_iteratorINS9_10device_ptrIdEEEESE_dNS9_4plusIvEEdEEDaPvRmT3_T4_T5_mT6_P12ihipStream_tbENKUlT_T0_E_clISt17integral_constantIbLb1EEST_IbLb0EEEEDaSP_SQ_EUlSP_E0_NS1_11comp_targetILNS1_3genE5ELNS1_11target_archE942ELNS1_3gpuE9ELNS1_3repE0EEENS1_30default_config_static_selectorELNS0_4arch9wavefront6targetE1EEEvT1_
		.amdhsa_group_segment_fixed_size 0
		.amdhsa_private_segment_fixed_size 0
		.amdhsa_kernarg_size 40
		.amdhsa_user_sgpr_count 6
		.amdhsa_user_sgpr_private_segment_buffer 1
		.amdhsa_user_sgpr_dispatch_ptr 0
		.amdhsa_user_sgpr_queue_ptr 0
		.amdhsa_user_sgpr_kernarg_segment_ptr 1
		.amdhsa_user_sgpr_dispatch_id 0
		.amdhsa_user_sgpr_flat_scratch_init 0
		.amdhsa_user_sgpr_kernarg_preload_length 0
		.amdhsa_user_sgpr_kernarg_preload_offset 0
		.amdhsa_user_sgpr_private_segment_size 0
		.amdhsa_uses_dynamic_stack 0
		.amdhsa_system_sgpr_private_segment_wavefront_offset 0
		.amdhsa_system_sgpr_workgroup_id_x 1
		.amdhsa_system_sgpr_workgroup_id_y 0
		.amdhsa_system_sgpr_workgroup_id_z 0
		.amdhsa_system_sgpr_workgroup_info 0
		.amdhsa_system_vgpr_workitem_id 0
		.amdhsa_next_free_vgpr 1
		.amdhsa_next_free_sgpr 0
		.amdhsa_accum_offset 4
		.amdhsa_reserve_vcc 0
		.amdhsa_reserve_flat_scratch 0
		.amdhsa_float_round_mode_32 0
		.amdhsa_float_round_mode_16_64 0
		.amdhsa_float_denorm_mode_32 3
		.amdhsa_float_denorm_mode_16_64 3
		.amdhsa_dx10_clamp 1
		.amdhsa_ieee_mode 1
		.amdhsa_fp16_overflow 0
		.amdhsa_tg_split 0
		.amdhsa_exception_fp_ieee_invalid_op 0
		.amdhsa_exception_fp_denorm_src 0
		.amdhsa_exception_fp_ieee_div_zero 0
		.amdhsa_exception_fp_ieee_overflow 0
		.amdhsa_exception_fp_ieee_underflow 0
		.amdhsa_exception_fp_ieee_inexact 0
		.amdhsa_exception_int_div_zero 0
	.end_amdhsa_kernel
	.section	.text._ZN7rocprim17ROCPRIM_400000_NS6detail17trampoline_kernelINS0_14default_configENS1_20scan_config_selectorIdEEZZNS1_9scan_implILNS1_25lookback_scan_determinismE0ELb0ELb0ES3_N6thrust23THRUST_200600_302600_NS6detail15normal_iteratorINS9_10device_ptrIdEEEESE_dNS9_4plusIvEEdEEDaPvRmT3_T4_T5_mT6_P12ihipStream_tbENKUlT_T0_E_clISt17integral_constantIbLb1EEST_IbLb0EEEEDaSP_SQ_EUlSP_E0_NS1_11comp_targetILNS1_3genE5ELNS1_11target_archE942ELNS1_3gpuE9ELNS1_3repE0EEENS1_30default_config_static_selectorELNS0_4arch9wavefront6targetE1EEEvT1_,"axG",@progbits,_ZN7rocprim17ROCPRIM_400000_NS6detail17trampoline_kernelINS0_14default_configENS1_20scan_config_selectorIdEEZZNS1_9scan_implILNS1_25lookback_scan_determinismE0ELb0ELb0ES3_N6thrust23THRUST_200600_302600_NS6detail15normal_iteratorINS9_10device_ptrIdEEEESE_dNS9_4plusIvEEdEEDaPvRmT3_T4_T5_mT6_P12ihipStream_tbENKUlT_T0_E_clISt17integral_constantIbLb1EEST_IbLb0EEEEDaSP_SQ_EUlSP_E0_NS1_11comp_targetILNS1_3genE5ELNS1_11target_archE942ELNS1_3gpuE9ELNS1_3repE0EEENS1_30default_config_static_selectorELNS0_4arch9wavefront6targetE1EEEvT1_,comdat
.Lfunc_end4188:
	.size	_ZN7rocprim17ROCPRIM_400000_NS6detail17trampoline_kernelINS0_14default_configENS1_20scan_config_selectorIdEEZZNS1_9scan_implILNS1_25lookback_scan_determinismE0ELb0ELb0ES3_N6thrust23THRUST_200600_302600_NS6detail15normal_iteratorINS9_10device_ptrIdEEEESE_dNS9_4plusIvEEdEEDaPvRmT3_T4_T5_mT6_P12ihipStream_tbENKUlT_T0_E_clISt17integral_constantIbLb1EEST_IbLb0EEEEDaSP_SQ_EUlSP_E0_NS1_11comp_targetILNS1_3genE5ELNS1_11target_archE942ELNS1_3gpuE9ELNS1_3repE0EEENS1_30default_config_static_selectorELNS0_4arch9wavefront6targetE1EEEvT1_, .Lfunc_end4188-_ZN7rocprim17ROCPRIM_400000_NS6detail17trampoline_kernelINS0_14default_configENS1_20scan_config_selectorIdEEZZNS1_9scan_implILNS1_25lookback_scan_determinismE0ELb0ELb0ES3_N6thrust23THRUST_200600_302600_NS6detail15normal_iteratorINS9_10device_ptrIdEEEESE_dNS9_4plusIvEEdEEDaPvRmT3_T4_T5_mT6_P12ihipStream_tbENKUlT_T0_E_clISt17integral_constantIbLb1EEST_IbLb0EEEEDaSP_SQ_EUlSP_E0_NS1_11comp_targetILNS1_3genE5ELNS1_11target_archE942ELNS1_3gpuE9ELNS1_3repE0EEENS1_30default_config_static_selectorELNS0_4arch9wavefront6targetE1EEEvT1_
                                        ; -- End function
	.section	.AMDGPU.csdata,"",@progbits
; Kernel info:
; codeLenInByte = 0
; NumSgprs: 4
; NumVgprs: 0
; NumAgprs: 0
; TotalNumVgprs: 0
; ScratchSize: 0
; MemoryBound: 0
; FloatMode: 240
; IeeeMode: 1
; LDSByteSize: 0 bytes/workgroup (compile time only)
; SGPRBlocks: 0
; VGPRBlocks: 0
; NumSGPRsForWavesPerEU: 4
; NumVGPRsForWavesPerEU: 1
; AccumOffset: 4
; Occupancy: 8
; WaveLimiterHint : 0
; COMPUTE_PGM_RSRC2:SCRATCH_EN: 0
; COMPUTE_PGM_RSRC2:USER_SGPR: 6
; COMPUTE_PGM_RSRC2:TRAP_HANDLER: 0
; COMPUTE_PGM_RSRC2:TGID_X_EN: 1
; COMPUTE_PGM_RSRC2:TGID_Y_EN: 0
; COMPUTE_PGM_RSRC2:TGID_Z_EN: 0
; COMPUTE_PGM_RSRC2:TIDIG_COMP_CNT: 0
; COMPUTE_PGM_RSRC3_GFX90A:ACCUM_OFFSET: 0
; COMPUTE_PGM_RSRC3_GFX90A:TG_SPLIT: 0
	.section	.text._ZN7rocprim17ROCPRIM_400000_NS6detail17trampoline_kernelINS0_14default_configENS1_20scan_config_selectorIdEEZZNS1_9scan_implILNS1_25lookback_scan_determinismE0ELb0ELb0ES3_N6thrust23THRUST_200600_302600_NS6detail15normal_iteratorINS9_10device_ptrIdEEEESE_dNS9_4plusIvEEdEEDaPvRmT3_T4_T5_mT6_P12ihipStream_tbENKUlT_T0_E_clISt17integral_constantIbLb1EEST_IbLb0EEEEDaSP_SQ_EUlSP_E0_NS1_11comp_targetILNS1_3genE4ELNS1_11target_archE910ELNS1_3gpuE8ELNS1_3repE0EEENS1_30default_config_static_selectorELNS0_4arch9wavefront6targetE1EEEvT1_,"axG",@progbits,_ZN7rocprim17ROCPRIM_400000_NS6detail17trampoline_kernelINS0_14default_configENS1_20scan_config_selectorIdEEZZNS1_9scan_implILNS1_25lookback_scan_determinismE0ELb0ELb0ES3_N6thrust23THRUST_200600_302600_NS6detail15normal_iteratorINS9_10device_ptrIdEEEESE_dNS9_4plusIvEEdEEDaPvRmT3_T4_T5_mT6_P12ihipStream_tbENKUlT_T0_E_clISt17integral_constantIbLb1EEST_IbLb0EEEEDaSP_SQ_EUlSP_E0_NS1_11comp_targetILNS1_3genE4ELNS1_11target_archE910ELNS1_3gpuE8ELNS1_3repE0EEENS1_30default_config_static_selectorELNS0_4arch9wavefront6targetE1EEEvT1_,comdat
	.protected	_ZN7rocprim17ROCPRIM_400000_NS6detail17trampoline_kernelINS0_14default_configENS1_20scan_config_selectorIdEEZZNS1_9scan_implILNS1_25lookback_scan_determinismE0ELb0ELb0ES3_N6thrust23THRUST_200600_302600_NS6detail15normal_iteratorINS9_10device_ptrIdEEEESE_dNS9_4plusIvEEdEEDaPvRmT3_T4_T5_mT6_P12ihipStream_tbENKUlT_T0_E_clISt17integral_constantIbLb1EEST_IbLb0EEEEDaSP_SQ_EUlSP_E0_NS1_11comp_targetILNS1_3genE4ELNS1_11target_archE910ELNS1_3gpuE8ELNS1_3repE0EEENS1_30default_config_static_selectorELNS0_4arch9wavefront6targetE1EEEvT1_ ; -- Begin function _ZN7rocprim17ROCPRIM_400000_NS6detail17trampoline_kernelINS0_14default_configENS1_20scan_config_selectorIdEEZZNS1_9scan_implILNS1_25lookback_scan_determinismE0ELb0ELb0ES3_N6thrust23THRUST_200600_302600_NS6detail15normal_iteratorINS9_10device_ptrIdEEEESE_dNS9_4plusIvEEdEEDaPvRmT3_T4_T5_mT6_P12ihipStream_tbENKUlT_T0_E_clISt17integral_constantIbLb1EEST_IbLb0EEEEDaSP_SQ_EUlSP_E0_NS1_11comp_targetILNS1_3genE4ELNS1_11target_archE910ELNS1_3gpuE8ELNS1_3repE0EEENS1_30default_config_static_selectorELNS0_4arch9wavefront6targetE1EEEvT1_
	.globl	_ZN7rocprim17ROCPRIM_400000_NS6detail17trampoline_kernelINS0_14default_configENS1_20scan_config_selectorIdEEZZNS1_9scan_implILNS1_25lookback_scan_determinismE0ELb0ELb0ES3_N6thrust23THRUST_200600_302600_NS6detail15normal_iteratorINS9_10device_ptrIdEEEESE_dNS9_4plusIvEEdEEDaPvRmT3_T4_T5_mT6_P12ihipStream_tbENKUlT_T0_E_clISt17integral_constantIbLb1EEST_IbLb0EEEEDaSP_SQ_EUlSP_E0_NS1_11comp_targetILNS1_3genE4ELNS1_11target_archE910ELNS1_3gpuE8ELNS1_3repE0EEENS1_30default_config_static_selectorELNS0_4arch9wavefront6targetE1EEEvT1_
	.p2align	8
	.type	_ZN7rocprim17ROCPRIM_400000_NS6detail17trampoline_kernelINS0_14default_configENS1_20scan_config_selectorIdEEZZNS1_9scan_implILNS1_25lookback_scan_determinismE0ELb0ELb0ES3_N6thrust23THRUST_200600_302600_NS6detail15normal_iteratorINS9_10device_ptrIdEEEESE_dNS9_4plusIvEEdEEDaPvRmT3_T4_T5_mT6_P12ihipStream_tbENKUlT_T0_E_clISt17integral_constantIbLb1EEST_IbLb0EEEEDaSP_SQ_EUlSP_E0_NS1_11comp_targetILNS1_3genE4ELNS1_11target_archE910ELNS1_3gpuE8ELNS1_3repE0EEENS1_30default_config_static_selectorELNS0_4arch9wavefront6targetE1EEEvT1_,@function
_ZN7rocprim17ROCPRIM_400000_NS6detail17trampoline_kernelINS0_14default_configENS1_20scan_config_selectorIdEEZZNS1_9scan_implILNS1_25lookback_scan_determinismE0ELb0ELb0ES3_N6thrust23THRUST_200600_302600_NS6detail15normal_iteratorINS9_10device_ptrIdEEEESE_dNS9_4plusIvEEdEEDaPvRmT3_T4_T5_mT6_P12ihipStream_tbENKUlT_T0_E_clISt17integral_constantIbLb1EEST_IbLb0EEEEDaSP_SQ_EUlSP_E0_NS1_11comp_targetILNS1_3genE4ELNS1_11target_archE910ELNS1_3gpuE8ELNS1_3repE0EEENS1_30default_config_static_selectorELNS0_4arch9wavefront6targetE1EEEvT1_: ; @_ZN7rocprim17ROCPRIM_400000_NS6detail17trampoline_kernelINS0_14default_configENS1_20scan_config_selectorIdEEZZNS1_9scan_implILNS1_25lookback_scan_determinismE0ELb0ELb0ES3_N6thrust23THRUST_200600_302600_NS6detail15normal_iteratorINS9_10device_ptrIdEEEESE_dNS9_4plusIvEEdEEDaPvRmT3_T4_T5_mT6_P12ihipStream_tbENKUlT_T0_E_clISt17integral_constantIbLb1EEST_IbLb0EEEEDaSP_SQ_EUlSP_E0_NS1_11comp_targetILNS1_3genE4ELNS1_11target_archE910ELNS1_3gpuE8ELNS1_3repE0EEENS1_30default_config_static_selectorELNS0_4arch9wavefront6targetE1EEEvT1_
; %bb.0:
	s_load_dwordx4 s[20:23], s[4:5], 0x0
	v_lshlrev_b32_e32 v48, 3, v0
	s_waitcnt lgkmcnt(0)
	s_load_dwordx2 s[24:25], s[20:21], 0x0
	v_cmp_gt_u32_e32 vcc, s22, v0
	s_waitcnt lgkmcnt(0)
	v_pk_mov_b32 v[2:3], s[24:25], s[24:25] op_sel:[0,1]
	s_and_saveexec_b64 s[0:1], vcc
	s_cbranch_execz .LBB4189_2
; %bb.1:
	global_load_dwordx2 v[2:3], v48, s[20:21]
.LBB4189_2:
	s_or_b64 exec, exec, s[0:1]
	v_or_b32_e32 v1, 0x80, v0
	v_cmp_gt_u32_e64 s[0:1], s22, v1
	v_pk_mov_b32 v[4:5], s[24:25], s[24:25] op_sel:[0,1]
	s_and_saveexec_b64 s[2:3], s[0:1]
	s_cbranch_execz .LBB4189_4
; %bb.3:
	global_load_dwordx2 v[4:5], v48, s[20:21] offset:1024
.LBB4189_4:
	s_or_b64 exec, exec, s[2:3]
	v_or_b32_e32 v1, 0x100, v0
	v_cmp_gt_u32_e64 s[2:3], s22, v1
	v_pk_mov_b32 v[6:7], s[24:25], s[24:25] op_sel:[0,1]
	s_and_saveexec_b64 s[6:7], s[2:3]
	s_cbranch_execz .LBB4189_6
; %bb.5:
	global_load_dwordx2 v[6:7], v48, s[20:21] offset:2048
.LBB4189_6:
	;; [unrolled: 9-line block ×3, first 2 shown]
	s_or_b64 exec, exec, s[6:7]
	v_or_b32_e32 v1, 0x200, v0
	v_cmp_gt_u32_e64 s[6:7], s22, v1
	v_pk_mov_b32 v[10:11], s[24:25], s[24:25] op_sel:[0,1]
	s_and_saveexec_b64 s[8:9], s[6:7]
	s_cbranch_execz .LBB4189_10
; %bb.9:
	v_lshlrev_b32_e32 v1, 3, v1
	global_load_dwordx2 v[10:11], v1, s[20:21]
.LBB4189_10:
	s_or_b64 exec, exec, s[8:9]
	v_or_b32_e32 v1, 0x280, v0
	v_cmp_gt_u32_e64 s[8:9], s22, v1
	v_pk_mov_b32 v[12:13], s[24:25], s[24:25] op_sel:[0,1]
	s_and_saveexec_b64 s[10:11], s[8:9]
	s_cbranch_execz .LBB4189_12
; %bb.11:
	v_lshlrev_b32_e32 v1, 3, v1
	global_load_dwordx2 v[12:13], v1, s[20:21]
.LBB4189_12:
	;; [unrolled: 10-line block ×6, first 2 shown]
	s_or_b64 exec, exec, s[22:23]
	s_movk_i32 s20, 0x48
	v_mad_u32_u24 v1, v0, s20, v48
	s_waitcnt vmcnt(0)
	ds_write2st64_b64 v48, v[2:3], v[4:5] offset1:2
	ds_write2st64_b64 v48, v[6:7], v[8:9] offset0:4 offset1:6
	ds_write2st64_b64 v48, v[10:11], v[12:13] offset0:8 offset1:10
	;; [unrolled: 1-line block ×4, first 2 shown]
	s_waitcnt lgkmcnt(0)
	s_barrier
	ds_read_b128 v[2:5], v1
	ds_read_b128 v[22:25], v1 offset:16
	ds_read_b128 v[18:21], v1 offset:32
	;; [unrolled: 1-line block ×4, first 2 shown]
	s_waitcnt lgkmcnt(4)
	v_add_f64 v[38:39], v[2:3], v[4:5]
	s_waitcnt lgkmcnt(3)
	v_add_f64 v[30:31], v[38:39], v[22:23]
	v_add_f64 v[32:33], v[30:31], v[24:25]
	s_waitcnt lgkmcnt(2)
	v_add_f64 v[26:27], v[32:33], v[18:19]
	;; [unrolled: 3-line block ×4, first 2 shown]
	v_mbcnt_lo_u32_b32 v40, -1, 0
	v_add_f64 v[8:9], v[6:7], v[36:37]
	v_mbcnt_hi_u32_b32 v49, -1, v40
	v_and_b32_e32 v44, 15, v49
	v_mov_b32_dpp v40, v8 row_shr:1 row_mask:0xf bank_mask:0xf
	v_mov_b32_dpp v41, v9 row_shr:1 row_mask:0xf bank_mask:0xf
	v_add_f64 v[40:41], v[8:9], v[40:41]
	v_cmp_eq_u32_e64 s[20:21], 0, v44
	v_cndmask_b32_e64 v40, v40, v8, s[20:21]
	v_cndmask_b32_e64 v41, v41, v9, s[20:21]
	v_cmp_lt_u32_e64 s[20:21], 1, v44
	v_mov_b32_dpp v42, v40 row_shr:2 row_mask:0xf bank_mask:0xf
	v_mov_b32_dpp v43, v41 row_shr:2 row_mask:0xf bank_mask:0xf
	v_add_f64 v[42:43], v[40:41], v[42:43]
	v_cndmask_b32_e64 v40, v40, v42, s[20:21]
	v_cndmask_b32_e64 v41, v41, v43, s[20:21]
	v_cmp_lt_u32_e64 s[20:21], 3, v44
	v_mov_b32_dpp v42, v40 row_shr:4 row_mask:0xf bank_mask:0xf
	v_mov_b32_dpp v43, v41 row_shr:4 row_mask:0xf bank_mask:0xf
	v_add_f64 v[42:43], v[40:41], v[42:43]
	;; [unrolled: 6-line block ×3, first 2 shown]
	v_cndmask_b32_e64 v42, v40, v42, s[20:21]
	v_cndmask_b32_e64 v43, v41, v43, s[20:21]
	v_and_b32_e32 v44, 16, v49
	v_mov_b32_dpp v40, v42 row_bcast:15 row_mask:0xf bank_mask:0xf
	v_mov_b32_dpp v41, v43 row_bcast:15 row_mask:0xf bank_mask:0xf
	v_add_f64 v[46:47], v[42:43], v[40:41]
	v_cmp_eq_u32_e64 s[22:23], 0, v44
	v_cndmask_b32_e64 v40, v47, v43, s[22:23]
	v_cndmask_b32_e64 v41, v46, v42, s[22:23]
	v_cmp_eq_u32_e64 s[20:21], 0, v49
	v_mov_b32_dpp v45, v40 row_bcast:31 row_mask:0xf bank_mask:0xf
	v_mov_b32_dpp v44, v41 row_bcast:31 row_mask:0xf bank_mask:0xf
	v_cmp_ne_u32_e64 s[24:25], 0, v49
	v_pk_mov_b32 v[40:41], v[8:9], v[8:9] op_sel:[0,1]
	s_barrier
	s_and_saveexec_b64 s[26:27], s[24:25]
; %bb.21:
	v_cndmask_b32_e64 v41, v47, v43, s[22:23]
	v_cndmask_b32_e64 v40, v46, v42, s[22:23]
	v_add_f64 v[42:43], v[40:41], v[44:45]
	v_cmp_lt_u32_e64 s[22:23], 31, v49
	v_cndmask_b32_e64 v41, v41, v43, s[22:23]
	v_cndmask_b32_e64 v40, v40, v42, s[22:23]
; %bb.22:
	s_or_b64 exec, exec, s[26:27]
	v_or_b32_e32 v42, 63, v0
	v_lshrrev_b32_e32 v44, 6, v0
	v_cmp_eq_u32_e64 s[22:23], v42, v0
	s_and_saveexec_b64 s[24:25], s[22:23]
	s_cbranch_execz .LBB4189_24
; %bb.23:
	v_lshlrev_b32_e32 v42, 3, v44
	ds_write_b64 v42, v[40:41]
.LBB4189_24:
	s_or_b64 exec, exec, s[24:25]
	v_cmp_gt_u32_e64 s[22:23], 2, v0
	s_waitcnt lgkmcnt(0)
	s_barrier
	s_and_saveexec_b64 s[24:25], s[22:23]
	s_cbranch_execz .LBB4189_26
; %bb.25:
	ds_read_b64 v[42:43], v48
	v_and_b32_e32 v45, 1, v49
	v_cmp_eq_u32_e64 s[22:23], 0, v45
	s_waitcnt lgkmcnt(0)
	v_mov_b32_dpp v46, v42 row_shr:1 row_mask:0xf bank_mask:0xf
	v_mov_b32_dpp v47, v43 row_shr:1 row_mask:0xf bank_mask:0xf
	v_add_f64 v[46:47], v[42:43], v[46:47]
	v_cndmask_b32_e64 v43, v47, v43, s[22:23]
	v_cndmask_b32_e64 v42, v46, v42, s[22:23]
	ds_write_b64 v48, v[42:43]
.LBB4189_26:
	s_or_b64 exec, exec, s[24:25]
	s_load_dwordx2 s[22:23], s[4:5], 0x20
	v_cmp_lt_u32_e64 s[4:5], 63, v0
	s_waitcnt lgkmcnt(0)
	s_barrier
	s_waitcnt lgkmcnt(0)
                                        ; implicit-def: $vgpr42_vgpr43
	s_and_saveexec_b64 s[24:25], s[4:5]
	s_cbranch_execz .LBB4189_28
; %bb.27:
	v_lshl_add_u32 v42, v44, 3, -8
	ds_read_b64 v[42:43], v42
	s_waitcnt lgkmcnt(0)
	v_add_f64 v[40:41], v[40:41], v[42:43]
.LBB4189_28:
	s_or_b64 exec, exec, s[24:25]
	v_add_u32_e32 v44, -1, v49
	v_and_b32_e32 v45, 64, v49
	v_cmp_lt_i32_e64 s[4:5], v44, v45
	v_cndmask_b32_e64 v44, v44, v49, s[4:5]
	v_lshlrev_b32_e32 v44, 2, v44
	ds_bpermute_b32 v40, v44, v40
	ds_bpermute_b32 v41, v44, v41
	v_cmp_ne_u32_e64 s[4:5], 0, v0
	s_and_saveexec_b64 s[24:25], s[4:5]
	s_cbranch_execz .LBB4189_30
; %bb.29:
	s_waitcnt lgkmcnt(0)
	v_cndmask_b32_e64 v7, v41, v43, s[20:21]
	v_cndmask_b32_e64 v6, v40, v42, s[20:21]
	v_add_f64 v[2:3], v[2:3], v[6:7]
	v_add_f64 v[38:39], v[4:5], v[2:3]
	;; [unrolled: 1-line block ×10, first 2 shown]
	;;#ASMSTART
	;;#ASMEND
.LBB4189_30:
	s_or_b64 exec, exec, s[24:25]
	s_movk_i32 s4, 0xffb8
	v_mov_b32_e32 v4, v38
	v_mov_b32_e32 v5, v39
	v_mad_i32_i24 v0, v0, s4, v1
	s_waitcnt lgkmcnt(0)
	s_barrier
	ds_write_b128 v1, v[2:5]
	ds_write_b128 v1, v[30:33] offset:16
	ds_write_b128 v1, v[26:29] offset:32
	;; [unrolled: 1-line block ×4, first 2 shown]
	s_waitcnt lgkmcnt(0)
	s_barrier
	ds_read2st64_b64 v[12:15], v0 offset0:2 offset1:4
	ds_read2st64_b64 v[8:11], v0 offset0:6 offset1:8
	ds_read2st64_b64 v[4:7], v0 offset0:10 offset1:12
	ds_read2st64_b64 v[0:3], v0 offset0:14 offset1:18
	ds_read_b64 v[18:19], v48 offset:8192
	v_mov_b32_e32 v17, s23
	v_add_co_u32_e64 v16, s[4:5], s22, v48
	v_addc_co_u32_e64 v17, s[4:5], 0, v17, s[4:5]
	s_and_saveexec_b64 s[4:5], vcc
	s_cbranch_execnz .LBB4189_41
; %bb.31:
	s_or_b64 exec, exec, s[4:5]
	s_and_saveexec_b64 s[4:5], s[0:1]
	s_cbranch_execnz .LBB4189_42
.LBB4189_32:
	s_or_b64 exec, exec, s[4:5]
	s_and_saveexec_b64 s[0:1], s[2:3]
	s_cbranch_execnz .LBB4189_43
.LBB4189_33:
	s_or_b64 exec, exec, s[0:1]
	s_and_saveexec_b64 s[0:1], s[18:19]
	s_cbranch_execnz .LBB4189_44
.LBB4189_34:
	s_or_b64 exec, exec, s[0:1]
	s_and_saveexec_b64 s[0:1], s[6:7]
	s_cbranch_execnz .LBB4189_45
.LBB4189_35:
	s_or_b64 exec, exec, s[0:1]
	s_and_saveexec_b64 s[0:1], s[8:9]
	s_cbranch_execnz .LBB4189_46
.LBB4189_36:
	s_or_b64 exec, exec, s[0:1]
	s_and_saveexec_b64 s[0:1], s[10:11]
	s_cbranch_execnz .LBB4189_47
.LBB4189_37:
	s_or_b64 exec, exec, s[0:1]
	s_and_saveexec_b64 s[0:1], s[12:13]
	s_cbranch_execnz .LBB4189_48
.LBB4189_38:
	s_or_b64 exec, exec, s[0:1]
	s_and_saveexec_b64 s[0:1], s[14:15]
	s_cbranch_execnz .LBB4189_49
.LBB4189_39:
	s_or_b64 exec, exec, s[0:1]
	s_and_saveexec_b64 s[0:1], s[16:17]
	s_cbranch_execnz .LBB4189_50
.LBB4189_40:
	s_endpgm
.LBB4189_41:
	ds_read_b64 v[20:21], v48
	s_waitcnt lgkmcnt(0)
	global_store_dwordx2 v[16:17], v[20:21], off
	s_or_b64 exec, exec, s[4:5]
	s_and_saveexec_b64 s[4:5], s[0:1]
	s_cbranch_execz .LBB4189_32
.LBB4189_42:
	s_waitcnt lgkmcnt(4)
	global_store_dwordx2 v[16:17], v[12:13], off offset:1024
	s_or_b64 exec, exec, s[4:5]
	s_and_saveexec_b64 s[0:1], s[2:3]
	s_cbranch_execz .LBB4189_33
.LBB4189_43:
	s_waitcnt lgkmcnt(4)
	global_store_dwordx2 v[16:17], v[14:15], off offset:2048
	s_or_b64 exec, exec, s[0:1]
	s_and_saveexec_b64 s[0:1], s[18:19]
	s_cbranch_execz .LBB4189_34
.LBB4189_44:
	s_waitcnt lgkmcnt(3)
	global_store_dwordx2 v[16:17], v[8:9], off offset:3072
	s_or_b64 exec, exec, s[0:1]
	s_and_saveexec_b64 s[0:1], s[6:7]
	s_cbranch_execz .LBB4189_35
.LBB4189_45:
	s_waitcnt lgkmcnt(3)
	v_add_co_u32_e32 v8, vcc, 0x1000, v16
	v_addc_co_u32_e32 v9, vcc, 0, v17, vcc
	global_store_dwordx2 v[8:9], v[10:11], off
	s_or_b64 exec, exec, s[0:1]
	s_and_saveexec_b64 s[0:1], s[8:9]
	s_cbranch_execz .LBB4189_36
.LBB4189_46:
	s_waitcnt lgkmcnt(3)
	v_add_co_u32_e32 v8, vcc, 0x1000, v16
	v_addc_co_u32_e32 v9, vcc, 0, v17, vcc
	s_waitcnt lgkmcnt(2)
	global_store_dwordx2 v[8:9], v[4:5], off offset:1024
	s_or_b64 exec, exec, s[0:1]
	s_and_saveexec_b64 s[0:1], s[10:11]
	s_cbranch_execz .LBB4189_37
.LBB4189_47:
	s_waitcnt lgkmcnt(2)
	v_add_co_u32_e32 v4, vcc, 0x1000, v16
	v_addc_co_u32_e32 v5, vcc, 0, v17, vcc
	global_store_dwordx2 v[4:5], v[6:7], off offset:2048
	s_or_b64 exec, exec, s[0:1]
	s_and_saveexec_b64 s[0:1], s[12:13]
	s_cbranch_execz .LBB4189_38
.LBB4189_48:
	s_waitcnt lgkmcnt(2)
	v_add_co_u32_e32 v4, vcc, 0x1000, v16
	v_addc_co_u32_e32 v5, vcc, 0, v17, vcc
	s_waitcnt lgkmcnt(1)
	global_store_dwordx2 v[4:5], v[0:1], off offset:3072
	s_or_b64 exec, exec, s[0:1]
	s_and_saveexec_b64 s[0:1], s[14:15]
	s_cbranch_execz .LBB4189_39
.LBB4189_49:
	s_waitcnt lgkmcnt(1)
	v_add_co_u32_e32 v0, vcc, 0x2000, v16
	v_addc_co_u32_e32 v1, vcc, 0, v17, vcc
	s_waitcnt lgkmcnt(0)
	global_store_dwordx2 v[0:1], v[18:19], off
	s_or_b64 exec, exec, s[0:1]
	s_and_saveexec_b64 s[0:1], s[16:17]
	s_cbranch_execz .LBB4189_40
.LBB4189_50:
	s_waitcnt lgkmcnt(1)
	v_add_co_u32_e32 v0, vcc, 0x2000, v16
	v_addc_co_u32_e32 v1, vcc, 0, v17, vcc
	global_store_dwordx2 v[0:1], v[2:3], off offset:1024
	s_endpgm
	.section	.rodata,"a",@progbits
	.p2align	6, 0x0
	.amdhsa_kernel _ZN7rocprim17ROCPRIM_400000_NS6detail17trampoline_kernelINS0_14default_configENS1_20scan_config_selectorIdEEZZNS1_9scan_implILNS1_25lookback_scan_determinismE0ELb0ELb0ES3_N6thrust23THRUST_200600_302600_NS6detail15normal_iteratorINS9_10device_ptrIdEEEESE_dNS9_4plusIvEEdEEDaPvRmT3_T4_T5_mT6_P12ihipStream_tbENKUlT_T0_E_clISt17integral_constantIbLb1EEST_IbLb0EEEEDaSP_SQ_EUlSP_E0_NS1_11comp_targetILNS1_3genE4ELNS1_11target_archE910ELNS1_3gpuE8ELNS1_3repE0EEENS1_30default_config_static_selectorELNS0_4arch9wavefront6targetE1EEEvT1_
		.amdhsa_group_segment_fixed_size 10240
		.amdhsa_private_segment_fixed_size 0
		.amdhsa_kernarg_size 40
		.amdhsa_user_sgpr_count 6
		.amdhsa_user_sgpr_private_segment_buffer 1
		.amdhsa_user_sgpr_dispatch_ptr 0
		.amdhsa_user_sgpr_queue_ptr 0
		.amdhsa_user_sgpr_kernarg_segment_ptr 1
		.amdhsa_user_sgpr_dispatch_id 0
		.amdhsa_user_sgpr_flat_scratch_init 0
		.amdhsa_user_sgpr_kernarg_preload_length 0
		.amdhsa_user_sgpr_kernarg_preload_offset 0
		.amdhsa_user_sgpr_private_segment_size 0
		.amdhsa_uses_dynamic_stack 0
		.amdhsa_system_sgpr_private_segment_wavefront_offset 0
		.amdhsa_system_sgpr_workgroup_id_x 1
		.amdhsa_system_sgpr_workgroup_id_y 0
		.amdhsa_system_sgpr_workgroup_id_z 0
		.amdhsa_system_sgpr_workgroup_info 0
		.amdhsa_system_vgpr_workitem_id 0
		.amdhsa_next_free_vgpr 50
		.amdhsa_next_free_sgpr 28
		.amdhsa_accum_offset 52
		.amdhsa_reserve_vcc 1
		.amdhsa_reserve_flat_scratch 0
		.amdhsa_float_round_mode_32 0
		.amdhsa_float_round_mode_16_64 0
		.amdhsa_float_denorm_mode_32 3
		.amdhsa_float_denorm_mode_16_64 3
		.amdhsa_dx10_clamp 1
		.amdhsa_ieee_mode 1
		.amdhsa_fp16_overflow 0
		.amdhsa_tg_split 0
		.amdhsa_exception_fp_ieee_invalid_op 0
		.amdhsa_exception_fp_denorm_src 0
		.amdhsa_exception_fp_ieee_div_zero 0
		.amdhsa_exception_fp_ieee_overflow 0
		.amdhsa_exception_fp_ieee_underflow 0
		.amdhsa_exception_fp_ieee_inexact 0
		.amdhsa_exception_int_div_zero 0
	.end_amdhsa_kernel
	.section	.text._ZN7rocprim17ROCPRIM_400000_NS6detail17trampoline_kernelINS0_14default_configENS1_20scan_config_selectorIdEEZZNS1_9scan_implILNS1_25lookback_scan_determinismE0ELb0ELb0ES3_N6thrust23THRUST_200600_302600_NS6detail15normal_iteratorINS9_10device_ptrIdEEEESE_dNS9_4plusIvEEdEEDaPvRmT3_T4_T5_mT6_P12ihipStream_tbENKUlT_T0_E_clISt17integral_constantIbLb1EEST_IbLb0EEEEDaSP_SQ_EUlSP_E0_NS1_11comp_targetILNS1_3genE4ELNS1_11target_archE910ELNS1_3gpuE8ELNS1_3repE0EEENS1_30default_config_static_selectorELNS0_4arch9wavefront6targetE1EEEvT1_,"axG",@progbits,_ZN7rocprim17ROCPRIM_400000_NS6detail17trampoline_kernelINS0_14default_configENS1_20scan_config_selectorIdEEZZNS1_9scan_implILNS1_25lookback_scan_determinismE0ELb0ELb0ES3_N6thrust23THRUST_200600_302600_NS6detail15normal_iteratorINS9_10device_ptrIdEEEESE_dNS9_4plusIvEEdEEDaPvRmT3_T4_T5_mT6_P12ihipStream_tbENKUlT_T0_E_clISt17integral_constantIbLb1EEST_IbLb0EEEEDaSP_SQ_EUlSP_E0_NS1_11comp_targetILNS1_3genE4ELNS1_11target_archE910ELNS1_3gpuE8ELNS1_3repE0EEENS1_30default_config_static_selectorELNS0_4arch9wavefront6targetE1EEEvT1_,comdat
.Lfunc_end4189:
	.size	_ZN7rocprim17ROCPRIM_400000_NS6detail17trampoline_kernelINS0_14default_configENS1_20scan_config_selectorIdEEZZNS1_9scan_implILNS1_25lookback_scan_determinismE0ELb0ELb0ES3_N6thrust23THRUST_200600_302600_NS6detail15normal_iteratorINS9_10device_ptrIdEEEESE_dNS9_4plusIvEEdEEDaPvRmT3_T4_T5_mT6_P12ihipStream_tbENKUlT_T0_E_clISt17integral_constantIbLb1EEST_IbLb0EEEEDaSP_SQ_EUlSP_E0_NS1_11comp_targetILNS1_3genE4ELNS1_11target_archE910ELNS1_3gpuE8ELNS1_3repE0EEENS1_30default_config_static_selectorELNS0_4arch9wavefront6targetE1EEEvT1_, .Lfunc_end4189-_ZN7rocprim17ROCPRIM_400000_NS6detail17trampoline_kernelINS0_14default_configENS1_20scan_config_selectorIdEEZZNS1_9scan_implILNS1_25lookback_scan_determinismE0ELb0ELb0ES3_N6thrust23THRUST_200600_302600_NS6detail15normal_iteratorINS9_10device_ptrIdEEEESE_dNS9_4plusIvEEdEEDaPvRmT3_T4_T5_mT6_P12ihipStream_tbENKUlT_T0_E_clISt17integral_constantIbLb1EEST_IbLb0EEEEDaSP_SQ_EUlSP_E0_NS1_11comp_targetILNS1_3genE4ELNS1_11target_archE910ELNS1_3gpuE8ELNS1_3repE0EEENS1_30default_config_static_selectorELNS0_4arch9wavefront6targetE1EEEvT1_
                                        ; -- End function
	.section	.AMDGPU.csdata,"",@progbits
; Kernel info:
; codeLenInByte = 1992
; NumSgprs: 32
; NumVgprs: 50
; NumAgprs: 0
; TotalNumVgprs: 50
; ScratchSize: 0
; MemoryBound: 0
; FloatMode: 240
; IeeeMode: 1
; LDSByteSize: 10240 bytes/workgroup (compile time only)
; SGPRBlocks: 3
; VGPRBlocks: 6
; NumSGPRsForWavesPerEU: 32
; NumVGPRsForWavesPerEU: 50
; AccumOffset: 52
; Occupancy: 3
; WaveLimiterHint : 0
; COMPUTE_PGM_RSRC2:SCRATCH_EN: 0
; COMPUTE_PGM_RSRC2:USER_SGPR: 6
; COMPUTE_PGM_RSRC2:TRAP_HANDLER: 0
; COMPUTE_PGM_RSRC2:TGID_X_EN: 1
; COMPUTE_PGM_RSRC2:TGID_Y_EN: 0
; COMPUTE_PGM_RSRC2:TGID_Z_EN: 0
; COMPUTE_PGM_RSRC2:TIDIG_COMP_CNT: 0
; COMPUTE_PGM_RSRC3_GFX90A:ACCUM_OFFSET: 12
; COMPUTE_PGM_RSRC3_GFX90A:TG_SPLIT: 0
	.section	.text._ZN7rocprim17ROCPRIM_400000_NS6detail17trampoline_kernelINS0_14default_configENS1_20scan_config_selectorIdEEZZNS1_9scan_implILNS1_25lookback_scan_determinismE0ELb0ELb0ES3_N6thrust23THRUST_200600_302600_NS6detail15normal_iteratorINS9_10device_ptrIdEEEESE_dNS9_4plusIvEEdEEDaPvRmT3_T4_T5_mT6_P12ihipStream_tbENKUlT_T0_E_clISt17integral_constantIbLb1EEST_IbLb0EEEEDaSP_SQ_EUlSP_E0_NS1_11comp_targetILNS1_3genE3ELNS1_11target_archE908ELNS1_3gpuE7ELNS1_3repE0EEENS1_30default_config_static_selectorELNS0_4arch9wavefront6targetE1EEEvT1_,"axG",@progbits,_ZN7rocprim17ROCPRIM_400000_NS6detail17trampoline_kernelINS0_14default_configENS1_20scan_config_selectorIdEEZZNS1_9scan_implILNS1_25lookback_scan_determinismE0ELb0ELb0ES3_N6thrust23THRUST_200600_302600_NS6detail15normal_iteratorINS9_10device_ptrIdEEEESE_dNS9_4plusIvEEdEEDaPvRmT3_T4_T5_mT6_P12ihipStream_tbENKUlT_T0_E_clISt17integral_constantIbLb1EEST_IbLb0EEEEDaSP_SQ_EUlSP_E0_NS1_11comp_targetILNS1_3genE3ELNS1_11target_archE908ELNS1_3gpuE7ELNS1_3repE0EEENS1_30default_config_static_selectorELNS0_4arch9wavefront6targetE1EEEvT1_,comdat
	.protected	_ZN7rocprim17ROCPRIM_400000_NS6detail17trampoline_kernelINS0_14default_configENS1_20scan_config_selectorIdEEZZNS1_9scan_implILNS1_25lookback_scan_determinismE0ELb0ELb0ES3_N6thrust23THRUST_200600_302600_NS6detail15normal_iteratorINS9_10device_ptrIdEEEESE_dNS9_4plusIvEEdEEDaPvRmT3_T4_T5_mT6_P12ihipStream_tbENKUlT_T0_E_clISt17integral_constantIbLb1EEST_IbLb0EEEEDaSP_SQ_EUlSP_E0_NS1_11comp_targetILNS1_3genE3ELNS1_11target_archE908ELNS1_3gpuE7ELNS1_3repE0EEENS1_30default_config_static_selectorELNS0_4arch9wavefront6targetE1EEEvT1_ ; -- Begin function _ZN7rocprim17ROCPRIM_400000_NS6detail17trampoline_kernelINS0_14default_configENS1_20scan_config_selectorIdEEZZNS1_9scan_implILNS1_25lookback_scan_determinismE0ELb0ELb0ES3_N6thrust23THRUST_200600_302600_NS6detail15normal_iteratorINS9_10device_ptrIdEEEESE_dNS9_4plusIvEEdEEDaPvRmT3_T4_T5_mT6_P12ihipStream_tbENKUlT_T0_E_clISt17integral_constantIbLb1EEST_IbLb0EEEEDaSP_SQ_EUlSP_E0_NS1_11comp_targetILNS1_3genE3ELNS1_11target_archE908ELNS1_3gpuE7ELNS1_3repE0EEENS1_30default_config_static_selectorELNS0_4arch9wavefront6targetE1EEEvT1_
	.globl	_ZN7rocprim17ROCPRIM_400000_NS6detail17trampoline_kernelINS0_14default_configENS1_20scan_config_selectorIdEEZZNS1_9scan_implILNS1_25lookback_scan_determinismE0ELb0ELb0ES3_N6thrust23THRUST_200600_302600_NS6detail15normal_iteratorINS9_10device_ptrIdEEEESE_dNS9_4plusIvEEdEEDaPvRmT3_T4_T5_mT6_P12ihipStream_tbENKUlT_T0_E_clISt17integral_constantIbLb1EEST_IbLb0EEEEDaSP_SQ_EUlSP_E0_NS1_11comp_targetILNS1_3genE3ELNS1_11target_archE908ELNS1_3gpuE7ELNS1_3repE0EEENS1_30default_config_static_selectorELNS0_4arch9wavefront6targetE1EEEvT1_
	.p2align	8
	.type	_ZN7rocprim17ROCPRIM_400000_NS6detail17trampoline_kernelINS0_14default_configENS1_20scan_config_selectorIdEEZZNS1_9scan_implILNS1_25lookback_scan_determinismE0ELb0ELb0ES3_N6thrust23THRUST_200600_302600_NS6detail15normal_iteratorINS9_10device_ptrIdEEEESE_dNS9_4plusIvEEdEEDaPvRmT3_T4_T5_mT6_P12ihipStream_tbENKUlT_T0_E_clISt17integral_constantIbLb1EEST_IbLb0EEEEDaSP_SQ_EUlSP_E0_NS1_11comp_targetILNS1_3genE3ELNS1_11target_archE908ELNS1_3gpuE7ELNS1_3repE0EEENS1_30default_config_static_selectorELNS0_4arch9wavefront6targetE1EEEvT1_,@function
_ZN7rocprim17ROCPRIM_400000_NS6detail17trampoline_kernelINS0_14default_configENS1_20scan_config_selectorIdEEZZNS1_9scan_implILNS1_25lookback_scan_determinismE0ELb0ELb0ES3_N6thrust23THRUST_200600_302600_NS6detail15normal_iteratorINS9_10device_ptrIdEEEESE_dNS9_4plusIvEEdEEDaPvRmT3_T4_T5_mT6_P12ihipStream_tbENKUlT_T0_E_clISt17integral_constantIbLb1EEST_IbLb0EEEEDaSP_SQ_EUlSP_E0_NS1_11comp_targetILNS1_3genE3ELNS1_11target_archE908ELNS1_3gpuE7ELNS1_3repE0EEENS1_30default_config_static_selectorELNS0_4arch9wavefront6targetE1EEEvT1_: ; @_ZN7rocprim17ROCPRIM_400000_NS6detail17trampoline_kernelINS0_14default_configENS1_20scan_config_selectorIdEEZZNS1_9scan_implILNS1_25lookback_scan_determinismE0ELb0ELb0ES3_N6thrust23THRUST_200600_302600_NS6detail15normal_iteratorINS9_10device_ptrIdEEEESE_dNS9_4plusIvEEdEEDaPvRmT3_T4_T5_mT6_P12ihipStream_tbENKUlT_T0_E_clISt17integral_constantIbLb1EEST_IbLb0EEEEDaSP_SQ_EUlSP_E0_NS1_11comp_targetILNS1_3genE3ELNS1_11target_archE908ELNS1_3gpuE7ELNS1_3repE0EEENS1_30default_config_static_selectorELNS0_4arch9wavefront6targetE1EEEvT1_
; %bb.0:
	.section	.rodata,"a",@progbits
	.p2align	6, 0x0
	.amdhsa_kernel _ZN7rocprim17ROCPRIM_400000_NS6detail17trampoline_kernelINS0_14default_configENS1_20scan_config_selectorIdEEZZNS1_9scan_implILNS1_25lookback_scan_determinismE0ELb0ELb0ES3_N6thrust23THRUST_200600_302600_NS6detail15normal_iteratorINS9_10device_ptrIdEEEESE_dNS9_4plusIvEEdEEDaPvRmT3_T4_T5_mT6_P12ihipStream_tbENKUlT_T0_E_clISt17integral_constantIbLb1EEST_IbLb0EEEEDaSP_SQ_EUlSP_E0_NS1_11comp_targetILNS1_3genE3ELNS1_11target_archE908ELNS1_3gpuE7ELNS1_3repE0EEENS1_30default_config_static_selectorELNS0_4arch9wavefront6targetE1EEEvT1_
		.amdhsa_group_segment_fixed_size 0
		.amdhsa_private_segment_fixed_size 0
		.amdhsa_kernarg_size 40
		.amdhsa_user_sgpr_count 6
		.amdhsa_user_sgpr_private_segment_buffer 1
		.amdhsa_user_sgpr_dispatch_ptr 0
		.amdhsa_user_sgpr_queue_ptr 0
		.amdhsa_user_sgpr_kernarg_segment_ptr 1
		.amdhsa_user_sgpr_dispatch_id 0
		.amdhsa_user_sgpr_flat_scratch_init 0
		.amdhsa_user_sgpr_kernarg_preload_length 0
		.amdhsa_user_sgpr_kernarg_preload_offset 0
		.amdhsa_user_sgpr_private_segment_size 0
		.amdhsa_uses_dynamic_stack 0
		.amdhsa_system_sgpr_private_segment_wavefront_offset 0
		.amdhsa_system_sgpr_workgroup_id_x 1
		.amdhsa_system_sgpr_workgroup_id_y 0
		.amdhsa_system_sgpr_workgroup_id_z 0
		.amdhsa_system_sgpr_workgroup_info 0
		.amdhsa_system_vgpr_workitem_id 0
		.amdhsa_next_free_vgpr 1
		.amdhsa_next_free_sgpr 0
		.amdhsa_accum_offset 4
		.amdhsa_reserve_vcc 0
		.amdhsa_reserve_flat_scratch 0
		.amdhsa_float_round_mode_32 0
		.amdhsa_float_round_mode_16_64 0
		.amdhsa_float_denorm_mode_32 3
		.amdhsa_float_denorm_mode_16_64 3
		.amdhsa_dx10_clamp 1
		.amdhsa_ieee_mode 1
		.amdhsa_fp16_overflow 0
		.amdhsa_tg_split 0
		.amdhsa_exception_fp_ieee_invalid_op 0
		.amdhsa_exception_fp_denorm_src 0
		.amdhsa_exception_fp_ieee_div_zero 0
		.amdhsa_exception_fp_ieee_overflow 0
		.amdhsa_exception_fp_ieee_underflow 0
		.amdhsa_exception_fp_ieee_inexact 0
		.amdhsa_exception_int_div_zero 0
	.end_amdhsa_kernel
	.section	.text._ZN7rocprim17ROCPRIM_400000_NS6detail17trampoline_kernelINS0_14default_configENS1_20scan_config_selectorIdEEZZNS1_9scan_implILNS1_25lookback_scan_determinismE0ELb0ELb0ES3_N6thrust23THRUST_200600_302600_NS6detail15normal_iteratorINS9_10device_ptrIdEEEESE_dNS9_4plusIvEEdEEDaPvRmT3_T4_T5_mT6_P12ihipStream_tbENKUlT_T0_E_clISt17integral_constantIbLb1EEST_IbLb0EEEEDaSP_SQ_EUlSP_E0_NS1_11comp_targetILNS1_3genE3ELNS1_11target_archE908ELNS1_3gpuE7ELNS1_3repE0EEENS1_30default_config_static_selectorELNS0_4arch9wavefront6targetE1EEEvT1_,"axG",@progbits,_ZN7rocprim17ROCPRIM_400000_NS6detail17trampoline_kernelINS0_14default_configENS1_20scan_config_selectorIdEEZZNS1_9scan_implILNS1_25lookback_scan_determinismE0ELb0ELb0ES3_N6thrust23THRUST_200600_302600_NS6detail15normal_iteratorINS9_10device_ptrIdEEEESE_dNS9_4plusIvEEdEEDaPvRmT3_T4_T5_mT6_P12ihipStream_tbENKUlT_T0_E_clISt17integral_constantIbLb1EEST_IbLb0EEEEDaSP_SQ_EUlSP_E0_NS1_11comp_targetILNS1_3genE3ELNS1_11target_archE908ELNS1_3gpuE7ELNS1_3repE0EEENS1_30default_config_static_selectorELNS0_4arch9wavefront6targetE1EEEvT1_,comdat
.Lfunc_end4190:
	.size	_ZN7rocprim17ROCPRIM_400000_NS6detail17trampoline_kernelINS0_14default_configENS1_20scan_config_selectorIdEEZZNS1_9scan_implILNS1_25lookback_scan_determinismE0ELb0ELb0ES3_N6thrust23THRUST_200600_302600_NS6detail15normal_iteratorINS9_10device_ptrIdEEEESE_dNS9_4plusIvEEdEEDaPvRmT3_T4_T5_mT6_P12ihipStream_tbENKUlT_T0_E_clISt17integral_constantIbLb1EEST_IbLb0EEEEDaSP_SQ_EUlSP_E0_NS1_11comp_targetILNS1_3genE3ELNS1_11target_archE908ELNS1_3gpuE7ELNS1_3repE0EEENS1_30default_config_static_selectorELNS0_4arch9wavefront6targetE1EEEvT1_, .Lfunc_end4190-_ZN7rocprim17ROCPRIM_400000_NS6detail17trampoline_kernelINS0_14default_configENS1_20scan_config_selectorIdEEZZNS1_9scan_implILNS1_25lookback_scan_determinismE0ELb0ELb0ES3_N6thrust23THRUST_200600_302600_NS6detail15normal_iteratorINS9_10device_ptrIdEEEESE_dNS9_4plusIvEEdEEDaPvRmT3_T4_T5_mT6_P12ihipStream_tbENKUlT_T0_E_clISt17integral_constantIbLb1EEST_IbLb0EEEEDaSP_SQ_EUlSP_E0_NS1_11comp_targetILNS1_3genE3ELNS1_11target_archE908ELNS1_3gpuE7ELNS1_3repE0EEENS1_30default_config_static_selectorELNS0_4arch9wavefront6targetE1EEEvT1_
                                        ; -- End function
	.section	.AMDGPU.csdata,"",@progbits
; Kernel info:
; codeLenInByte = 0
; NumSgprs: 4
; NumVgprs: 0
; NumAgprs: 0
; TotalNumVgprs: 0
; ScratchSize: 0
; MemoryBound: 0
; FloatMode: 240
; IeeeMode: 1
; LDSByteSize: 0 bytes/workgroup (compile time only)
; SGPRBlocks: 0
; VGPRBlocks: 0
; NumSGPRsForWavesPerEU: 4
; NumVGPRsForWavesPerEU: 1
; AccumOffset: 4
; Occupancy: 8
; WaveLimiterHint : 0
; COMPUTE_PGM_RSRC2:SCRATCH_EN: 0
; COMPUTE_PGM_RSRC2:USER_SGPR: 6
; COMPUTE_PGM_RSRC2:TRAP_HANDLER: 0
; COMPUTE_PGM_RSRC2:TGID_X_EN: 1
; COMPUTE_PGM_RSRC2:TGID_Y_EN: 0
; COMPUTE_PGM_RSRC2:TGID_Z_EN: 0
; COMPUTE_PGM_RSRC2:TIDIG_COMP_CNT: 0
; COMPUTE_PGM_RSRC3_GFX90A:ACCUM_OFFSET: 0
; COMPUTE_PGM_RSRC3_GFX90A:TG_SPLIT: 0
	.section	.text._ZN7rocprim17ROCPRIM_400000_NS6detail17trampoline_kernelINS0_14default_configENS1_20scan_config_selectorIdEEZZNS1_9scan_implILNS1_25lookback_scan_determinismE0ELb0ELb0ES3_N6thrust23THRUST_200600_302600_NS6detail15normal_iteratorINS9_10device_ptrIdEEEESE_dNS9_4plusIvEEdEEDaPvRmT3_T4_T5_mT6_P12ihipStream_tbENKUlT_T0_E_clISt17integral_constantIbLb1EEST_IbLb0EEEEDaSP_SQ_EUlSP_E0_NS1_11comp_targetILNS1_3genE2ELNS1_11target_archE906ELNS1_3gpuE6ELNS1_3repE0EEENS1_30default_config_static_selectorELNS0_4arch9wavefront6targetE1EEEvT1_,"axG",@progbits,_ZN7rocprim17ROCPRIM_400000_NS6detail17trampoline_kernelINS0_14default_configENS1_20scan_config_selectorIdEEZZNS1_9scan_implILNS1_25lookback_scan_determinismE0ELb0ELb0ES3_N6thrust23THRUST_200600_302600_NS6detail15normal_iteratorINS9_10device_ptrIdEEEESE_dNS9_4plusIvEEdEEDaPvRmT3_T4_T5_mT6_P12ihipStream_tbENKUlT_T0_E_clISt17integral_constantIbLb1EEST_IbLb0EEEEDaSP_SQ_EUlSP_E0_NS1_11comp_targetILNS1_3genE2ELNS1_11target_archE906ELNS1_3gpuE6ELNS1_3repE0EEENS1_30default_config_static_selectorELNS0_4arch9wavefront6targetE1EEEvT1_,comdat
	.protected	_ZN7rocprim17ROCPRIM_400000_NS6detail17trampoline_kernelINS0_14default_configENS1_20scan_config_selectorIdEEZZNS1_9scan_implILNS1_25lookback_scan_determinismE0ELb0ELb0ES3_N6thrust23THRUST_200600_302600_NS6detail15normal_iteratorINS9_10device_ptrIdEEEESE_dNS9_4plusIvEEdEEDaPvRmT3_T4_T5_mT6_P12ihipStream_tbENKUlT_T0_E_clISt17integral_constantIbLb1EEST_IbLb0EEEEDaSP_SQ_EUlSP_E0_NS1_11comp_targetILNS1_3genE2ELNS1_11target_archE906ELNS1_3gpuE6ELNS1_3repE0EEENS1_30default_config_static_selectorELNS0_4arch9wavefront6targetE1EEEvT1_ ; -- Begin function _ZN7rocprim17ROCPRIM_400000_NS6detail17trampoline_kernelINS0_14default_configENS1_20scan_config_selectorIdEEZZNS1_9scan_implILNS1_25lookback_scan_determinismE0ELb0ELb0ES3_N6thrust23THRUST_200600_302600_NS6detail15normal_iteratorINS9_10device_ptrIdEEEESE_dNS9_4plusIvEEdEEDaPvRmT3_T4_T5_mT6_P12ihipStream_tbENKUlT_T0_E_clISt17integral_constantIbLb1EEST_IbLb0EEEEDaSP_SQ_EUlSP_E0_NS1_11comp_targetILNS1_3genE2ELNS1_11target_archE906ELNS1_3gpuE6ELNS1_3repE0EEENS1_30default_config_static_selectorELNS0_4arch9wavefront6targetE1EEEvT1_
	.globl	_ZN7rocprim17ROCPRIM_400000_NS6detail17trampoline_kernelINS0_14default_configENS1_20scan_config_selectorIdEEZZNS1_9scan_implILNS1_25lookback_scan_determinismE0ELb0ELb0ES3_N6thrust23THRUST_200600_302600_NS6detail15normal_iteratorINS9_10device_ptrIdEEEESE_dNS9_4plusIvEEdEEDaPvRmT3_T4_T5_mT6_P12ihipStream_tbENKUlT_T0_E_clISt17integral_constantIbLb1EEST_IbLb0EEEEDaSP_SQ_EUlSP_E0_NS1_11comp_targetILNS1_3genE2ELNS1_11target_archE906ELNS1_3gpuE6ELNS1_3repE0EEENS1_30default_config_static_selectorELNS0_4arch9wavefront6targetE1EEEvT1_
	.p2align	8
	.type	_ZN7rocprim17ROCPRIM_400000_NS6detail17trampoline_kernelINS0_14default_configENS1_20scan_config_selectorIdEEZZNS1_9scan_implILNS1_25lookback_scan_determinismE0ELb0ELb0ES3_N6thrust23THRUST_200600_302600_NS6detail15normal_iteratorINS9_10device_ptrIdEEEESE_dNS9_4plusIvEEdEEDaPvRmT3_T4_T5_mT6_P12ihipStream_tbENKUlT_T0_E_clISt17integral_constantIbLb1EEST_IbLb0EEEEDaSP_SQ_EUlSP_E0_NS1_11comp_targetILNS1_3genE2ELNS1_11target_archE906ELNS1_3gpuE6ELNS1_3repE0EEENS1_30default_config_static_selectorELNS0_4arch9wavefront6targetE1EEEvT1_,@function
_ZN7rocprim17ROCPRIM_400000_NS6detail17trampoline_kernelINS0_14default_configENS1_20scan_config_selectorIdEEZZNS1_9scan_implILNS1_25lookback_scan_determinismE0ELb0ELb0ES3_N6thrust23THRUST_200600_302600_NS6detail15normal_iteratorINS9_10device_ptrIdEEEESE_dNS9_4plusIvEEdEEDaPvRmT3_T4_T5_mT6_P12ihipStream_tbENKUlT_T0_E_clISt17integral_constantIbLb1EEST_IbLb0EEEEDaSP_SQ_EUlSP_E0_NS1_11comp_targetILNS1_3genE2ELNS1_11target_archE906ELNS1_3gpuE6ELNS1_3repE0EEENS1_30default_config_static_selectorELNS0_4arch9wavefront6targetE1EEEvT1_: ; @_ZN7rocprim17ROCPRIM_400000_NS6detail17trampoline_kernelINS0_14default_configENS1_20scan_config_selectorIdEEZZNS1_9scan_implILNS1_25lookback_scan_determinismE0ELb0ELb0ES3_N6thrust23THRUST_200600_302600_NS6detail15normal_iteratorINS9_10device_ptrIdEEEESE_dNS9_4plusIvEEdEEDaPvRmT3_T4_T5_mT6_P12ihipStream_tbENKUlT_T0_E_clISt17integral_constantIbLb1EEST_IbLb0EEEEDaSP_SQ_EUlSP_E0_NS1_11comp_targetILNS1_3genE2ELNS1_11target_archE906ELNS1_3gpuE6ELNS1_3repE0EEENS1_30default_config_static_selectorELNS0_4arch9wavefront6targetE1EEEvT1_
; %bb.0:
	.section	.rodata,"a",@progbits
	.p2align	6, 0x0
	.amdhsa_kernel _ZN7rocprim17ROCPRIM_400000_NS6detail17trampoline_kernelINS0_14default_configENS1_20scan_config_selectorIdEEZZNS1_9scan_implILNS1_25lookback_scan_determinismE0ELb0ELb0ES3_N6thrust23THRUST_200600_302600_NS6detail15normal_iteratorINS9_10device_ptrIdEEEESE_dNS9_4plusIvEEdEEDaPvRmT3_T4_T5_mT6_P12ihipStream_tbENKUlT_T0_E_clISt17integral_constantIbLb1EEST_IbLb0EEEEDaSP_SQ_EUlSP_E0_NS1_11comp_targetILNS1_3genE2ELNS1_11target_archE906ELNS1_3gpuE6ELNS1_3repE0EEENS1_30default_config_static_selectorELNS0_4arch9wavefront6targetE1EEEvT1_
		.amdhsa_group_segment_fixed_size 0
		.amdhsa_private_segment_fixed_size 0
		.amdhsa_kernarg_size 40
		.amdhsa_user_sgpr_count 6
		.amdhsa_user_sgpr_private_segment_buffer 1
		.amdhsa_user_sgpr_dispatch_ptr 0
		.amdhsa_user_sgpr_queue_ptr 0
		.amdhsa_user_sgpr_kernarg_segment_ptr 1
		.amdhsa_user_sgpr_dispatch_id 0
		.amdhsa_user_sgpr_flat_scratch_init 0
		.amdhsa_user_sgpr_kernarg_preload_length 0
		.amdhsa_user_sgpr_kernarg_preload_offset 0
		.amdhsa_user_sgpr_private_segment_size 0
		.amdhsa_uses_dynamic_stack 0
		.amdhsa_system_sgpr_private_segment_wavefront_offset 0
		.amdhsa_system_sgpr_workgroup_id_x 1
		.amdhsa_system_sgpr_workgroup_id_y 0
		.amdhsa_system_sgpr_workgroup_id_z 0
		.amdhsa_system_sgpr_workgroup_info 0
		.amdhsa_system_vgpr_workitem_id 0
		.amdhsa_next_free_vgpr 1
		.amdhsa_next_free_sgpr 0
		.amdhsa_accum_offset 4
		.amdhsa_reserve_vcc 0
		.amdhsa_reserve_flat_scratch 0
		.amdhsa_float_round_mode_32 0
		.amdhsa_float_round_mode_16_64 0
		.amdhsa_float_denorm_mode_32 3
		.amdhsa_float_denorm_mode_16_64 3
		.amdhsa_dx10_clamp 1
		.amdhsa_ieee_mode 1
		.amdhsa_fp16_overflow 0
		.amdhsa_tg_split 0
		.amdhsa_exception_fp_ieee_invalid_op 0
		.amdhsa_exception_fp_denorm_src 0
		.amdhsa_exception_fp_ieee_div_zero 0
		.amdhsa_exception_fp_ieee_overflow 0
		.amdhsa_exception_fp_ieee_underflow 0
		.amdhsa_exception_fp_ieee_inexact 0
		.amdhsa_exception_int_div_zero 0
	.end_amdhsa_kernel
	.section	.text._ZN7rocprim17ROCPRIM_400000_NS6detail17trampoline_kernelINS0_14default_configENS1_20scan_config_selectorIdEEZZNS1_9scan_implILNS1_25lookback_scan_determinismE0ELb0ELb0ES3_N6thrust23THRUST_200600_302600_NS6detail15normal_iteratorINS9_10device_ptrIdEEEESE_dNS9_4plusIvEEdEEDaPvRmT3_T4_T5_mT6_P12ihipStream_tbENKUlT_T0_E_clISt17integral_constantIbLb1EEST_IbLb0EEEEDaSP_SQ_EUlSP_E0_NS1_11comp_targetILNS1_3genE2ELNS1_11target_archE906ELNS1_3gpuE6ELNS1_3repE0EEENS1_30default_config_static_selectorELNS0_4arch9wavefront6targetE1EEEvT1_,"axG",@progbits,_ZN7rocprim17ROCPRIM_400000_NS6detail17trampoline_kernelINS0_14default_configENS1_20scan_config_selectorIdEEZZNS1_9scan_implILNS1_25lookback_scan_determinismE0ELb0ELb0ES3_N6thrust23THRUST_200600_302600_NS6detail15normal_iteratorINS9_10device_ptrIdEEEESE_dNS9_4plusIvEEdEEDaPvRmT3_T4_T5_mT6_P12ihipStream_tbENKUlT_T0_E_clISt17integral_constantIbLb1EEST_IbLb0EEEEDaSP_SQ_EUlSP_E0_NS1_11comp_targetILNS1_3genE2ELNS1_11target_archE906ELNS1_3gpuE6ELNS1_3repE0EEENS1_30default_config_static_selectorELNS0_4arch9wavefront6targetE1EEEvT1_,comdat
.Lfunc_end4191:
	.size	_ZN7rocprim17ROCPRIM_400000_NS6detail17trampoline_kernelINS0_14default_configENS1_20scan_config_selectorIdEEZZNS1_9scan_implILNS1_25lookback_scan_determinismE0ELb0ELb0ES3_N6thrust23THRUST_200600_302600_NS6detail15normal_iteratorINS9_10device_ptrIdEEEESE_dNS9_4plusIvEEdEEDaPvRmT3_T4_T5_mT6_P12ihipStream_tbENKUlT_T0_E_clISt17integral_constantIbLb1EEST_IbLb0EEEEDaSP_SQ_EUlSP_E0_NS1_11comp_targetILNS1_3genE2ELNS1_11target_archE906ELNS1_3gpuE6ELNS1_3repE0EEENS1_30default_config_static_selectorELNS0_4arch9wavefront6targetE1EEEvT1_, .Lfunc_end4191-_ZN7rocprim17ROCPRIM_400000_NS6detail17trampoline_kernelINS0_14default_configENS1_20scan_config_selectorIdEEZZNS1_9scan_implILNS1_25lookback_scan_determinismE0ELb0ELb0ES3_N6thrust23THRUST_200600_302600_NS6detail15normal_iteratorINS9_10device_ptrIdEEEESE_dNS9_4plusIvEEdEEDaPvRmT3_T4_T5_mT6_P12ihipStream_tbENKUlT_T0_E_clISt17integral_constantIbLb1EEST_IbLb0EEEEDaSP_SQ_EUlSP_E0_NS1_11comp_targetILNS1_3genE2ELNS1_11target_archE906ELNS1_3gpuE6ELNS1_3repE0EEENS1_30default_config_static_selectorELNS0_4arch9wavefront6targetE1EEEvT1_
                                        ; -- End function
	.section	.AMDGPU.csdata,"",@progbits
; Kernel info:
; codeLenInByte = 0
; NumSgprs: 4
; NumVgprs: 0
; NumAgprs: 0
; TotalNumVgprs: 0
; ScratchSize: 0
; MemoryBound: 0
; FloatMode: 240
; IeeeMode: 1
; LDSByteSize: 0 bytes/workgroup (compile time only)
; SGPRBlocks: 0
; VGPRBlocks: 0
; NumSGPRsForWavesPerEU: 4
; NumVGPRsForWavesPerEU: 1
; AccumOffset: 4
; Occupancy: 8
; WaveLimiterHint : 0
; COMPUTE_PGM_RSRC2:SCRATCH_EN: 0
; COMPUTE_PGM_RSRC2:USER_SGPR: 6
; COMPUTE_PGM_RSRC2:TRAP_HANDLER: 0
; COMPUTE_PGM_RSRC2:TGID_X_EN: 1
; COMPUTE_PGM_RSRC2:TGID_Y_EN: 0
; COMPUTE_PGM_RSRC2:TGID_Z_EN: 0
; COMPUTE_PGM_RSRC2:TIDIG_COMP_CNT: 0
; COMPUTE_PGM_RSRC3_GFX90A:ACCUM_OFFSET: 0
; COMPUTE_PGM_RSRC3_GFX90A:TG_SPLIT: 0
	.section	.text._ZN7rocprim17ROCPRIM_400000_NS6detail17trampoline_kernelINS0_14default_configENS1_20scan_config_selectorIdEEZZNS1_9scan_implILNS1_25lookback_scan_determinismE0ELb0ELb0ES3_N6thrust23THRUST_200600_302600_NS6detail15normal_iteratorINS9_10device_ptrIdEEEESE_dNS9_4plusIvEEdEEDaPvRmT3_T4_T5_mT6_P12ihipStream_tbENKUlT_T0_E_clISt17integral_constantIbLb1EEST_IbLb0EEEEDaSP_SQ_EUlSP_E0_NS1_11comp_targetILNS1_3genE10ELNS1_11target_archE1201ELNS1_3gpuE5ELNS1_3repE0EEENS1_30default_config_static_selectorELNS0_4arch9wavefront6targetE1EEEvT1_,"axG",@progbits,_ZN7rocprim17ROCPRIM_400000_NS6detail17trampoline_kernelINS0_14default_configENS1_20scan_config_selectorIdEEZZNS1_9scan_implILNS1_25lookback_scan_determinismE0ELb0ELb0ES3_N6thrust23THRUST_200600_302600_NS6detail15normal_iteratorINS9_10device_ptrIdEEEESE_dNS9_4plusIvEEdEEDaPvRmT3_T4_T5_mT6_P12ihipStream_tbENKUlT_T0_E_clISt17integral_constantIbLb1EEST_IbLb0EEEEDaSP_SQ_EUlSP_E0_NS1_11comp_targetILNS1_3genE10ELNS1_11target_archE1201ELNS1_3gpuE5ELNS1_3repE0EEENS1_30default_config_static_selectorELNS0_4arch9wavefront6targetE1EEEvT1_,comdat
	.protected	_ZN7rocprim17ROCPRIM_400000_NS6detail17trampoline_kernelINS0_14default_configENS1_20scan_config_selectorIdEEZZNS1_9scan_implILNS1_25lookback_scan_determinismE0ELb0ELb0ES3_N6thrust23THRUST_200600_302600_NS6detail15normal_iteratorINS9_10device_ptrIdEEEESE_dNS9_4plusIvEEdEEDaPvRmT3_T4_T5_mT6_P12ihipStream_tbENKUlT_T0_E_clISt17integral_constantIbLb1EEST_IbLb0EEEEDaSP_SQ_EUlSP_E0_NS1_11comp_targetILNS1_3genE10ELNS1_11target_archE1201ELNS1_3gpuE5ELNS1_3repE0EEENS1_30default_config_static_selectorELNS0_4arch9wavefront6targetE1EEEvT1_ ; -- Begin function _ZN7rocprim17ROCPRIM_400000_NS6detail17trampoline_kernelINS0_14default_configENS1_20scan_config_selectorIdEEZZNS1_9scan_implILNS1_25lookback_scan_determinismE0ELb0ELb0ES3_N6thrust23THRUST_200600_302600_NS6detail15normal_iteratorINS9_10device_ptrIdEEEESE_dNS9_4plusIvEEdEEDaPvRmT3_T4_T5_mT6_P12ihipStream_tbENKUlT_T0_E_clISt17integral_constantIbLb1EEST_IbLb0EEEEDaSP_SQ_EUlSP_E0_NS1_11comp_targetILNS1_3genE10ELNS1_11target_archE1201ELNS1_3gpuE5ELNS1_3repE0EEENS1_30default_config_static_selectorELNS0_4arch9wavefront6targetE1EEEvT1_
	.globl	_ZN7rocprim17ROCPRIM_400000_NS6detail17trampoline_kernelINS0_14default_configENS1_20scan_config_selectorIdEEZZNS1_9scan_implILNS1_25lookback_scan_determinismE0ELb0ELb0ES3_N6thrust23THRUST_200600_302600_NS6detail15normal_iteratorINS9_10device_ptrIdEEEESE_dNS9_4plusIvEEdEEDaPvRmT3_T4_T5_mT6_P12ihipStream_tbENKUlT_T0_E_clISt17integral_constantIbLb1EEST_IbLb0EEEEDaSP_SQ_EUlSP_E0_NS1_11comp_targetILNS1_3genE10ELNS1_11target_archE1201ELNS1_3gpuE5ELNS1_3repE0EEENS1_30default_config_static_selectorELNS0_4arch9wavefront6targetE1EEEvT1_
	.p2align	8
	.type	_ZN7rocprim17ROCPRIM_400000_NS6detail17trampoline_kernelINS0_14default_configENS1_20scan_config_selectorIdEEZZNS1_9scan_implILNS1_25lookback_scan_determinismE0ELb0ELb0ES3_N6thrust23THRUST_200600_302600_NS6detail15normal_iteratorINS9_10device_ptrIdEEEESE_dNS9_4plusIvEEdEEDaPvRmT3_T4_T5_mT6_P12ihipStream_tbENKUlT_T0_E_clISt17integral_constantIbLb1EEST_IbLb0EEEEDaSP_SQ_EUlSP_E0_NS1_11comp_targetILNS1_3genE10ELNS1_11target_archE1201ELNS1_3gpuE5ELNS1_3repE0EEENS1_30default_config_static_selectorELNS0_4arch9wavefront6targetE1EEEvT1_,@function
_ZN7rocprim17ROCPRIM_400000_NS6detail17trampoline_kernelINS0_14default_configENS1_20scan_config_selectorIdEEZZNS1_9scan_implILNS1_25lookback_scan_determinismE0ELb0ELb0ES3_N6thrust23THRUST_200600_302600_NS6detail15normal_iteratorINS9_10device_ptrIdEEEESE_dNS9_4plusIvEEdEEDaPvRmT3_T4_T5_mT6_P12ihipStream_tbENKUlT_T0_E_clISt17integral_constantIbLb1EEST_IbLb0EEEEDaSP_SQ_EUlSP_E0_NS1_11comp_targetILNS1_3genE10ELNS1_11target_archE1201ELNS1_3gpuE5ELNS1_3repE0EEENS1_30default_config_static_selectorELNS0_4arch9wavefront6targetE1EEEvT1_: ; @_ZN7rocprim17ROCPRIM_400000_NS6detail17trampoline_kernelINS0_14default_configENS1_20scan_config_selectorIdEEZZNS1_9scan_implILNS1_25lookback_scan_determinismE0ELb0ELb0ES3_N6thrust23THRUST_200600_302600_NS6detail15normal_iteratorINS9_10device_ptrIdEEEESE_dNS9_4plusIvEEdEEDaPvRmT3_T4_T5_mT6_P12ihipStream_tbENKUlT_T0_E_clISt17integral_constantIbLb1EEST_IbLb0EEEEDaSP_SQ_EUlSP_E0_NS1_11comp_targetILNS1_3genE10ELNS1_11target_archE1201ELNS1_3gpuE5ELNS1_3repE0EEENS1_30default_config_static_selectorELNS0_4arch9wavefront6targetE1EEEvT1_
; %bb.0:
	.section	.rodata,"a",@progbits
	.p2align	6, 0x0
	.amdhsa_kernel _ZN7rocprim17ROCPRIM_400000_NS6detail17trampoline_kernelINS0_14default_configENS1_20scan_config_selectorIdEEZZNS1_9scan_implILNS1_25lookback_scan_determinismE0ELb0ELb0ES3_N6thrust23THRUST_200600_302600_NS6detail15normal_iteratorINS9_10device_ptrIdEEEESE_dNS9_4plusIvEEdEEDaPvRmT3_T4_T5_mT6_P12ihipStream_tbENKUlT_T0_E_clISt17integral_constantIbLb1EEST_IbLb0EEEEDaSP_SQ_EUlSP_E0_NS1_11comp_targetILNS1_3genE10ELNS1_11target_archE1201ELNS1_3gpuE5ELNS1_3repE0EEENS1_30default_config_static_selectorELNS0_4arch9wavefront6targetE1EEEvT1_
		.amdhsa_group_segment_fixed_size 0
		.amdhsa_private_segment_fixed_size 0
		.amdhsa_kernarg_size 40
		.amdhsa_user_sgpr_count 6
		.amdhsa_user_sgpr_private_segment_buffer 1
		.amdhsa_user_sgpr_dispatch_ptr 0
		.amdhsa_user_sgpr_queue_ptr 0
		.amdhsa_user_sgpr_kernarg_segment_ptr 1
		.amdhsa_user_sgpr_dispatch_id 0
		.amdhsa_user_sgpr_flat_scratch_init 0
		.amdhsa_user_sgpr_kernarg_preload_length 0
		.amdhsa_user_sgpr_kernarg_preload_offset 0
		.amdhsa_user_sgpr_private_segment_size 0
		.amdhsa_uses_dynamic_stack 0
		.amdhsa_system_sgpr_private_segment_wavefront_offset 0
		.amdhsa_system_sgpr_workgroup_id_x 1
		.amdhsa_system_sgpr_workgroup_id_y 0
		.amdhsa_system_sgpr_workgroup_id_z 0
		.amdhsa_system_sgpr_workgroup_info 0
		.amdhsa_system_vgpr_workitem_id 0
		.amdhsa_next_free_vgpr 1
		.amdhsa_next_free_sgpr 0
		.amdhsa_accum_offset 4
		.amdhsa_reserve_vcc 0
		.amdhsa_reserve_flat_scratch 0
		.amdhsa_float_round_mode_32 0
		.amdhsa_float_round_mode_16_64 0
		.amdhsa_float_denorm_mode_32 3
		.amdhsa_float_denorm_mode_16_64 3
		.amdhsa_dx10_clamp 1
		.amdhsa_ieee_mode 1
		.amdhsa_fp16_overflow 0
		.amdhsa_tg_split 0
		.amdhsa_exception_fp_ieee_invalid_op 0
		.amdhsa_exception_fp_denorm_src 0
		.amdhsa_exception_fp_ieee_div_zero 0
		.amdhsa_exception_fp_ieee_overflow 0
		.amdhsa_exception_fp_ieee_underflow 0
		.amdhsa_exception_fp_ieee_inexact 0
		.amdhsa_exception_int_div_zero 0
	.end_amdhsa_kernel
	.section	.text._ZN7rocprim17ROCPRIM_400000_NS6detail17trampoline_kernelINS0_14default_configENS1_20scan_config_selectorIdEEZZNS1_9scan_implILNS1_25lookback_scan_determinismE0ELb0ELb0ES3_N6thrust23THRUST_200600_302600_NS6detail15normal_iteratorINS9_10device_ptrIdEEEESE_dNS9_4plusIvEEdEEDaPvRmT3_T4_T5_mT6_P12ihipStream_tbENKUlT_T0_E_clISt17integral_constantIbLb1EEST_IbLb0EEEEDaSP_SQ_EUlSP_E0_NS1_11comp_targetILNS1_3genE10ELNS1_11target_archE1201ELNS1_3gpuE5ELNS1_3repE0EEENS1_30default_config_static_selectorELNS0_4arch9wavefront6targetE1EEEvT1_,"axG",@progbits,_ZN7rocprim17ROCPRIM_400000_NS6detail17trampoline_kernelINS0_14default_configENS1_20scan_config_selectorIdEEZZNS1_9scan_implILNS1_25lookback_scan_determinismE0ELb0ELb0ES3_N6thrust23THRUST_200600_302600_NS6detail15normal_iteratorINS9_10device_ptrIdEEEESE_dNS9_4plusIvEEdEEDaPvRmT3_T4_T5_mT6_P12ihipStream_tbENKUlT_T0_E_clISt17integral_constantIbLb1EEST_IbLb0EEEEDaSP_SQ_EUlSP_E0_NS1_11comp_targetILNS1_3genE10ELNS1_11target_archE1201ELNS1_3gpuE5ELNS1_3repE0EEENS1_30default_config_static_selectorELNS0_4arch9wavefront6targetE1EEEvT1_,comdat
.Lfunc_end4192:
	.size	_ZN7rocprim17ROCPRIM_400000_NS6detail17trampoline_kernelINS0_14default_configENS1_20scan_config_selectorIdEEZZNS1_9scan_implILNS1_25lookback_scan_determinismE0ELb0ELb0ES3_N6thrust23THRUST_200600_302600_NS6detail15normal_iteratorINS9_10device_ptrIdEEEESE_dNS9_4plusIvEEdEEDaPvRmT3_T4_T5_mT6_P12ihipStream_tbENKUlT_T0_E_clISt17integral_constantIbLb1EEST_IbLb0EEEEDaSP_SQ_EUlSP_E0_NS1_11comp_targetILNS1_3genE10ELNS1_11target_archE1201ELNS1_3gpuE5ELNS1_3repE0EEENS1_30default_config_static_selectorELNS0_4arch9wavefront6targetE1EEEvT1_, .Lfunc_end4192-_ZN7rocprim17ROCPRIM_400000_NS6detail17trampoline_kernelINS0_14default_configENS1_20scan_config_selectorIdEEZZNS1_9scan_implILNS1_25lookback_scan_determinismE0ELb0ELb0ES3_N6thrust23THRUST_200600_302600_NS6detail15normal_iteratorINS9_10device_ptrIdEEEESE_dNS9_4plusIvEEdEEDaPvRmT3_T4_T5_mT6_P12ihipStream_tbENKUlT_T0_E_clISt17integral_constantIbLb1EEST_IbLb0EEEEDaSP_SQ_EUlSP_E0_NS1_11comp_targetILNS1_3genE10ELNS1_11target_archE1201ELNS1_3gpuE5ELNS1_3repE0EEENS1_30default_config_static_selectorELNS0_4arch9wavefront6targetE1EEEvT1_
                                        ; -- End function
	.section	.AMDGPU.csdata,"",@progbits
; Kernel info:
; codeLenInByte = 0
; NumSgprs: 4
; NumVgprs: 0
; NumAgprs: 0
; TotalNumVgprs: 0
; ScratchSize: 0
; MemoryBound: 0
; FloatMode: 240
; IeeeMode: 1
; LDSByteSize: 0 bytes/workgroup (compile time only)
; SGPRBlocks: 0
; VGPRBlocks: 0
; NumSGPRsForWavesPerEU: 4
; NumVGPRsForWavesPerEU: 1
; AccumOffset: 4
; Occupancy: 8
; WaveLimiterHint : 0
; COMPUTE_PGM_RSRC2:SCRATCH_EN: 0
; COMPUTE_PGM_RSRC2:USER_SGPR: 6
; COMPUTE_PGM_RSRC2:TRAP_HANDLER: 0
; COMPUTE_PGM_RSRC2:TGID_X_EN: 1
; COMPUTE_PGM_RSRC2:TGID_Y_EN: 0
; COMPUTE_PGM_RSRC2:TGID_Z_EN: 0
; COMPUTE_PGM_RSRC2:TIDIG_COMP_CNT: 0
; COMPUTE_PGM_RSRC3_GFX90A:ACCUM_OFFSET: 0
; COMPUTE_PGM_RSRC3_GFX90A:TG_SPLIT: 0
	.section	.text._ZN7rocprim17ROCPRIM_400000_NS6detail17trampoline_kernelINS0_14default_configENS1_20scan_config_selectorIdEEZZNS1_9scan_implILNS1_25lookback_scan_determinismE0ELb0ELb0ES3_N6thrust23THRUST_200600_302600_NS6detail15normal_iteratorINS9_10device_ptrIdEEEESE_dNS9_4plusIvEEdEEDaPvRmT3_T4_T5_mT6_P12ihipStream_tbENKUlT_T0_E_clISt17integral_constantIbLb1EEST_IbLb0EEEEDaSP_SQ_EUlSP_E0_NS1_11comp_targetILNS1_3genE10ELNS1_11target_archE1200ELNS1_3gpuE4ELNS1_3repE0EEENS1_30default_config_static_selectorELNS0_4arch9wavefront6targetE1EEEvT1_,"axG",@progbits,_ZN7rocprim17ROCPRIM_400000_NS6detail17trampoline_kernelINS0_14default_configENS1_20scan_config_selectorIdEEZZNS1_9scan_implILNS1_25lookback_scan_determinismE0ELb0ELb0ES3_N6thrust23THRUST_200600_302600_NS6detail15normal_iteratorINS9_10device_ptrIdEEEESE_dNS9_4plusIvEEdEEDaPvRmT3_T4_T5_mT6_P12ihipStream_tbENKUlT_T0_E_clISt17integral_constantIbLb1EEST_IbLb0EEEEDaSP_SQ_EUlSP_E0_NS1_11comp_targetILNS1_3genE10ELNS1_11target_archE1200ELNS1_3gpuE4ELNS1_3repE0EEENS1_30default_config_static_selectorELNS0_4arch9wavefront6targetE1EEEvT1_,comdat
	.protected	_ZN7rocprim17ROCPRIM_400000_NS6detail17trampoline_kernelINS0_14default_configENS1_20scan_config_selectorIdEEZZNS1_9scan_implILNS1_25lookback_scan_determinismE0ELb0ELb0ES3_N6thrust23THRUST_200600_302600_NS6detail15normal_iteratorINS9_10device_ptrIdEEEESE_dNS9_4plusIvEEdEEDaPvRmT3_T4_T5_mT6_P12ihipStream_tbENKUlT_T0_E_clISt17integral_constantIbLb1EEST_IbLb0EEEEDaSP_SQ_EUlSP_E0_NS1_11comp_targetILNS1_3genE10ELNS1_11target_archE1200ELNS1_3gpuE4ELNS1_3repE0EEENS1_30default_config_static_selectorELNS0_4arch9wavefront6targetE1EEEvT1_ ; -- Begin function _ZN7rocprim17ROCPRIM_400000_NS6detail17trampoline_kernelINS0_14default_configENS1_20scan_config_selectorIdEEZZNS1_9scan_implILNS1_25lookback_scan_determinismE0ELb0ELb0ES3_N6thrust23THRUST_200600_302600_NS6detail15normal_iteratorINS9_10device_ptrIdEEEESE_dNS9_4plusIvEEdEEDaPvRmT3_T4_T5_mT6_P12ihipStream_tbENKUlT_T0_E_clISt17integral_constantIbLb1EEST_IbLb0EEEEDaSP_SQ_EUlSP_E0_NS1_11comp_targetILNS1_3genE10ELNS1_11target_archE1200ELNS1_3gpuE4ELNS1_3repE0EEENS1_30default_config_static_selectorELNS0_4arch9wavefront6targetE1EEEvT1_
	.globl	_ZN7rocprim17ROCPRIM_400000_NS6detail17trampoline_kernelINS0_14default_configENS1_20scan_config_selectorIdEEZZNS1_9scan_implILNS1_25lookback_scan_determinismE0ELb0ELb0ES3_N6thrust23THRUST_200600_302600_NS6detail15normal_iteratorINS9_10device_ptrIdEEEESE_dNS9_4plusIvEEdEEDaPvRmT3_T4_T5_mT6_P12ihipStream_tbENKUlT_T0_E_clISt17integral_constantIbLb1EEST_IbLb0EEEEDaSP_SQ_EUlSP_E0_NS1_11comp_targetILNS1_3genE10ELNS1_11target_archE1200ELNS1_3gpuE4ELNS1_3repE0EEENS1_30default_config_static_selectorELNS0_4arch9wavefront6targetE1EEEvT1_
	.p2align	8
	.type	_ZN7rocprim17ROCPRIM_400000_NS6detail17trampoline_kernelINS0_14default_configENS1_20scan_config_selectorIdEEZZNS1_9scan_implILNS1_25lookback_scan_determinismE0ELb0ELb0ES3_N6thrust23THRUST_200600_302600_NS6detail15normal_iteratorINS9_10device_ptrIdEEEESE_dNS9_4plusIvEEdEEDaPvRmT3_T4_T5_mT6_P12ihipStream_tbENKUlT_T0_E_clISt17integral_constantIbLb1EEST_IbLb0EEEEDaSP_SQ_EUlSP_E0_NS1_11comp_targetILNS1_3genE10ELNS1_11target_archE1200ELNS1_3gpuE4ELNS1_3repE0EEENS1_30default_config_static_selectorELNS0_4arch9wavefront6targetE1EEEvT1_,@function
_ZN7rocprim17ROCPRIM_400000_NS6detail17trampoline_kernelINS0_14default_configENS1_20scan_config_selectorIdEEZZNS1_9scan_implILNS1_25lookback_scan_determinismE0ELb0ELb0ES3_N6thrust23THRUST_200600_302600_NS6detail15normal_iteratorINS9_10device_ptrIdEEEESE_dNS9_4plusIvEEdEEDaPvRmT3_T4_T5_mT6_P12ihipStream_tbENKUlT_T0_E_clISt17integral_constantIbLb1EEST_IbLb0EEEEDaSP_SQ_EUlSP_E0_NS1_11comp_targetILNS1_3genE10ELNS1_11target_archE1200ELNS1_3gpuE4ELNS1_3repE0EEENS1_30default_config_static_selectorELNS0_4arch9wavefront6targetE1EEEvT1_: ; @_ZN7rocprim17ROCPRIM_400000_NS6detail17trampoline_kernelINS0_14default_configENS1_20scan_config_selectorIdEEZZNS1_9scan_implILNS1_25lookback_scan_determinismE0ELb0ELb0ES3_N6thrust23THRUST_200600_302600_NS6detail15normal_iteratorINS9_10device_ptrIdEEEESE_dNS9_4plusIvEEdEEDaPvRmT3_T4_T5_mT6_P12ihipStream_tbENKUlT_T0_E_clISt17integral_constantIbLb1EEST_IbLb0EEEEDaSP_SQ_EUlSP_E0_NS1_11comp_targetILNS1_3genE10ELNS1_11target_archE1200ELNS1_3gpuE4ELNS1_3repE0EEENS1_30default_config_static_selectorELNS0_4arch9wavefront6targetE1EEEvT1_
; %bb.0:
	.section	.rodata,"a",@progbits
	.p2align	6, 0x0
	.amdhsa_kernel _ZN7rocprim17ROCPRIM_400000_NS6detail17trampoline_kernelINS0_14default_configENS1_20scan_config_selectorIdEEZZNS1_9scan_implILNS1_25lookback_scan_determinismE0ELb0ELb0ES3_N6thrust23THRUST_200600_302600_NS6detail15normal_iteratorINS9_10device_ptrIdEEEESE_dNS9_4plusIvEEdEEDaPvRmT3_T4_T5_mT6_P12ihipStream_tbENKUlT_T0_E_clISt17integral_constantIbLb1EEST_IbLb0EEEEDaSP_SQ_EUlSP_E0_NS1_11comp_targetILNS1_3genE10ELNS1_11target_archE1200ELNS1_3gpuE4ELNS1_3repE0EEENS1_30default_config_static_selectorELNS0_4arch9wavefront6targetE1EEEvT1_
		.amdhsa_group_segment_fixed_size 0
		.amdhsa_private_segment_fixed_size 0
		.amdhsa_kernarg_size 40
		.amdhsa_user_sgpr_count 6
		.amdhsa_user_sgpr_private_segment_buffer 1
		.amdhsa_user_sgpr_dispatch_ptr 0
		.amdhsa_user_sgpr_queue_ptr 0
		.amdhsa_user_sgpr_kernarg_segment_ptr 1
		.amdhsa_user_sgpr_dispatch_id 0
		.amdhsa_user_sgpr_flat_scratch_init 0
		.amdhsa_user_sgpr_kernarg_preload_length 0
		.amdhsa_user_sgpr_kernarg_preload_offset 0
		.amdhsa_user_sgpr_private_segment_size 0
		.amdhsa_uses_dynamic_stack 0
		.amdhsa_system_sgpr_private_segment_wavefront_offset 0
		.amdhsa_system_sgpr_workgroup_id_x 1
		.amdhsa_system_sgpr_workgroup_id_y 0
		.amdhsa_system_sgpr_workgroup_id_z 0
		.amdhsa_system_sgpr_workgroup_info 0
		.amdhsa_system_vgpr_workitem_id 0
		.amdhsa_next_free_vgpr 1
		.amdhsa_next_free_sgpr 0
		.amdhsa_accum_offset 4
		.amdhsa_reserve_vcc 0
		.amdhsa_reserve_flat_scratch 0
		.amdhsa_float_round_mode_32 0
		.amdhsa_float_round_mode_16_64 0
		.amdhsa_float_denorm_mode_32 3
		.amdhsa_float_denorm_mode_16_64 3
		.amdhsa_dx10_clamp 1
		.amdhsa_ieee_mode 1
		.amdhsa_fp16_overflow 0
		.amdhsa_tg_split 0
		.amdhsa_exception_fp_ieee_invalid_op 0
		.amdhsa_exception_fp_denorm_src 0
		.amdhsa_exception_fp_ieee_div_zero 0
		.amdhsa_exception_fp_ieee_overflow 0
		.amdhsa_exception_fp_ieee_underflow 0
		.amdhsa_exception_fp_ieee_inexact 0
		.amdhsa_exception_int_div_zero 0
	.end_amdhsa_kernel
	.section	.text._ZN7rocprim17ROCPRIM_400000_NS6detail17trampoline_kernelINS0_14default_configENS1_20scan_config_selectorIdEEZZNS1_9scan_implILNS1_25lookback_scan_determinismE0ELb0ELb0ES3_N6thrust23THRUST_200600_302600_NS6detail15normal_iteratorINS9_10device_ptrIdEEEESE_dNS9_4plusIvEEdEEDaPvRmT3_T4_T5_mT6_P12ihipStream_tbENKUlT_T0_E_clISt17integral_constantIbLb1EEST_IbLb0EEEEDaSP_SQ_EUlSP_E0_NS1_11comp_targetILNS1_3genE10ELNS1_11target_archE1200ELNS1_3gpuE4ELNS1_3repE0EEENS1_30default_config_static_selectorELNS0_4arch9wavefront6targetE1EEEvT1_,"axG",@progbits,_ZN7rocprim17ROCPRIM_400000_NS6detail17trampoline_kernelINS0_14default_configENS1_20scan_config_selectorIdEEZZNS1_9scan_implILNS1_25lookback_scan_determinismE0ELb0ELb0ES3_N6thrust23THRUST_200600_302600_NS6detail15normal_iteratorINS9_10device_ptrIdEEEESE_dNS9_4plusIvEEdEEDaPvRmT3_T4_T5_mT6_P12ihipStream_tbENKUlT_T0_E_clISt17integral_constantIbLb1EEST_IbLb0EEEEDaSP_SQ_EUlSP_E0_NS1_11comp_targetILNS1_3genE10ELNS1_11target_archE1200ELNS1_3gpuE4ELNS1_3repE0EEENS1_30default_config_static_selectorELNS0_4arch9wavefront6targetE1EEEvT1_,comdat
.Lfunc_end4193:
	.size	_ZN7rocprim17ROCPRIM_400000_NS6detail17trampoline_kernelINS0_14default_configENS1_20scan_config_selectorIdEEZZNS1_9scan_implILNS1_25lookback_scan_determinismE0ELb0ELb0ES3_N6thrust23THRUST_200600_302600_NS6detail15normal_iteratorINS9_10device_ptrIdEEEESE_dNS9_4plusIvEEdEEDaPvRmT3_T4_T5_mT6_P12ihipStream_tbENKUlT_T0_E_clISt17integral_constantIbLb1EEST_IbLb0EEEEDaSP_SQ_EUlSP_E0_NS1_11comp_targetILNS1_3genE10ELNS1_11target_archE1200ELNS1_3gpuE4ELNS1_3repE0EEENS1_30default_config_static_selectorELNS0_4arch9wavefront6targetE1EEEvT1_, .Lfunc_end4193-_ZN7rocprim17ROCPRIM_400000_NS6detail17trampoline_kernelINS0_14default_configENS1_20scan_config_selectorIdEEZZNS1_9scan_implILNS1_25lookback_scan_determinismE0ELb0ELb0ES3_N6thrust23THRUST_200600_302600_NS6detail15normal_iteratorINS9_10device_ptrIdEEEESE_dNS9_4plusIvEEdEEDaPvRmT3_T4_T5_mT6_P12ihipStream_tbENKUlT_T0_E_clISt17integral_constantIbLb1EEST_IbLb0EEEEDaSP_SQ_EUlSP_E0_NS1_11comp_targetILNS1_3genE10ELNS1_11target_archE1200ELNS1_3gpuE4ELNS1_3repE0EEENS1_30default_config_static_selectorELNS0_4arch9wavefront6targetE1EEEvT1_
                                        ; -- End function
	.section	.AMDGPU.csdata,"",@progbits
; Kernel info:
; codeLenInByte = 0
; NumSgprs: 4
; NumVgprs: 0
; NumAgprs: 0
; TotalNumVgprs: 0
; ScratchSize: 0
; MemoryBound: 0
; FloatMode: 240
; IeeeMode: 1
; LDSByteSize: 0 bytes/workgroup (compile time only)
; SGPRBlocks: 0
; VGPRBlocks: 0
; NumSGPRsForWavesPerEU: 4
; NumVGPRsForWavesPerEU: 1
; AccumOffset: 4
; Occupancy: 8
; WaveLimiterHint : 0
; COMPUTE_PGM_RSRC2:SCRATCH_EN: 0
; COMPUTE_PGM_RSRC2:USER_SGPR: 6
; COMPUTE_PGM_RSRC2:TRAP_HANDLER: 0
; COMPUTE_PGM_RSRC2:TGID_X_EN: 1
; COMPUTE_PGM_RSRC2:TGID_Y_EN: 0
; COMPUTE_PGM_RSRC2:TGID_Z_EN: 0
; COMPUTE_PGM_RSRC2:TIDIG_COMP_CNT: 0
; COMPUTE_PGM_RSRC3_GFX90A:ACCUM_OFFSET: 0
; COMPUTE_PGM_RSRC3_GFX90A:TG_SPLIT: 0
	.section	.text._ZN7rocprim17ROCPRIM_400000_NS6detail17trampoline_kernelINS0_14default_configENS1_20scan_config_selectorIdEEZZNS1_9scan_implILNS1_25lookback_scan_determinismE0ELb0ELb0ES3_N6thrust23THRUST_200600_302600_NS6detail15normal_iteratorINS9_10device_ptrIdEEEESE_dNS9_4plusIvEEdEEDaPvRmT3_T4_T5_mT6_P12ihipStream_tbENKUlT_T0_E_clISt17integral_constantIbLb1EEST_IbLb0EEEEDaSP_SQ_EUlSP_E0_NS1_11comp_targetILNS1_3genE9ELNS1_11target_archE1100ELNS1_3gpuE3ELNS1_3repE0EEENS1_30default_config_static_selectorELNS0_4arch9wavefront6targetE1EEEvT1_,"axG",@progbits,_ZN7rocprim17ROCPRIM_400000_NS6detail17trampoline_kernelINS0_14default_configENS1_20scan_config_selectorIdEEZZNS1_9scan_implILNS1_25lookback_scan_determinismE0ELb0ELb0ES3_N6thrust23THRUST_200600_302600_NS6detail15normal_iteratorINS9_10device_ptrIdEEEESE_dNS9_4plusIvEEdEEDaPvRmT3_T4_T5_mT6_P12ihipStream_tbENKUlT_T0_E_clISt17integral_constantIbLb1EEST_IbLb0EEEEDaSP_SQ_EUlSP_E0_NS1_11comp_targetILNS1_3genE9ELNS1_11target_archE1100ELNS1_3gpuE3ELNS1_3repE0EEENS1_30default_config_static_selectorELNS0_4arch9wavefront6targetE1EEEvT1_,comdat
	.protected	_ZN7rocprim17ROCPRIM_400000_NS6detail17trampoline_kernelINS0_14default_configENS1_20scan_config_selectorIdEEZZNS1_9scan_implILNS1_25lookback_scan_determinismE0ELb0ELb0ES3_N6thrust23THRUST_200600_302600_NS6detail15normal_iteratorINS9_10device_ptrIdEEEESE_dNS9_4plusIvEEdEEDaPvRmT3_T4_T5_mT6_P12ihipStream_tbENKUlT_T0_E_clISt17integral_constantIbLb1EEST_IbLb0EEEEDaSP_SQ_EUlSP_E0_NS1_11comp_targetILNS1_3genE9ELNS1_11target_archE1100ELNS1_3gpuE3ELNS1_3repE0EEENS1_30default_config_static_selectorELNS0_4arch9wavefront6targetE1EEEvT1_ ; -- Begin function _ZN7rocprim17ROCPRIM_400000_NS6detail17trampoline_kernelINS0_14default_configENS1_20scan_config_selectorIdEEZZNS1_9scan_implILNS1_25lookback_scan_determinismE0ELb0ELb0ES3_N6thrust23THRUST_200600_302600_NS6detail15normal_iteratorINS9_10device_ptrIdEEEESE_dNS9_4plusIvEEdEEDaPvRmT3_T4_T5_mT6_P12ihipStream_tbENKUlT_T0_E_clISt17integral_constantIbLb1EEST_IbLb0EEEEDaSP_SQ_EUlSP_E0_NS1_11comp_targetILNS1_3genE9ELNS1_11target_archE1100ELNS1_3gpuE3ELNS1_3repE0EEENS1_30default_config_static_selectorELNS0_4arch9wavefront6targetE1EEEvT1_
	.globl	_ZN7rocprim17ROCPRIM_400000_NS6detail17trampoline_kernelINS0_14default_configENS1_20scan_config_selectorIdEEZZNS1_9scan_implILNS1_25lookback_scan_determinismE0ELb0ELb0ES3_N6thrust23THRUST_200600_302600_NS6detail15normal_iteratorINS9_10device_ptrIdEEEESE_dNS9_4plusIvEEdEEDaPvRmT3_T4_T5_mT6_P12ihipStream_tbENKUlT_T0_E_clISt17integral_constantIbLb1EEST_IbLb0EEEEDaSP_SQ_EUlSP_E0_NS1_11comp_targetILNS1_3genE9ELNS1_11target_archE1100ELNS1_3gpuE3ELNS1_3repE0EEENS1_30default_config_static_selectorELNS0_4arch9wavefront6targetE1EEEvT1_
	.p2align	8
	.type	_ZN7rocprim17ROCPRIM_400000_NS6detail17trampoline_kernelINS0_14default_configENS1_20scan_config_selectorIdEEZZNS1_9scan_implILNS1_25lookback_scan_determinismE0ELb0ELb0ES3_N6thrust23THRUST_200600_302600_NS6detail15normal_iteratorINS9_10device_ptrIdEEEESE_dNS9_4plusIvEEdEEDaPvRmT3_T4_T5_mT6_P12ihipStream_tbENKUlT_T0_E_clISt17integral_constantIbLb1EEST_IbLb0EEEEDaSP_SQ_EUlSP_E0_NS1_11comp_targetILNS1_3genE9ELNS1_11target_archE1100ELNS1_3gpuE3ELNS1_3repE0EEENS1_30default_config_static_selectorELNS0_4arch9wavefront6targetE1EEEvT1_,@function
_ZN7rocprim17ROCPRIM_400000_NS6detail17trampoline_kernelINS0_14default_configENS1_20scan_config_selectorIdEEZZNS1_9scan_implILNS1_25lookback_scan_determinismE0ELb0ELb0ES3_N6thrust23THRUST_200600_302600_NS6detail15normal_iteratorINS9_10device_ptrIdEEEESE_dNS9_4plusIvEEdEEDaPvRmT3_T4_T5_mT6_P12ihipStream_tbENKUlT_T0_E_clISt17integral_constantIbLb1EEST_IbLb0EEEEDaSP_SQ_EUlSP_E0_NS1_11comp_targetILNS1_3genE9ELNS1_11target_archE1100ELNS1_3gpuE3ELNS1_3repE0EEENS1_30default_config_static_selectorELNS0_4arch9wavefront6targetE1EEEvT1_: ; @_ZN7rocprim17ROCPRIM_400000_NS6detail17trampoline_kernelINS0_14default_configENS1_20scan_config_selectorIdEEZZNS1_9scan_implILNS1_25lookback_scan_determinismE0ELb0ELb0ES3_N6thrust23THRUST_200600_302600_NS6detail15normal_iteratorINS9_10device_ptrIdEEEESE_dNS9_4plusIvEEdEEDaPvRmT3_T4_T5_mT6_P12ihipStream_tbENKUlT_T0_E_clISt17integral_constantIbLb1EEST_IbLb0EEEEDaSP_SQ_EUlSP_E0_NS1_11comp_targetILNS1_3genE9ELNS1_11target_archE1100ELNS1_3gpuE3ELNS1_3repE0EEENS1_30default_config_static_selectorELNS0_4arch9wavefront6targetE1EEEvT1_
; %bb.0:
	.section	.rodata,"a",@progbits
	.p2align	6, 0x0
	.amdhsa_kernel _ZN7rocprim17ROCPRIM_400000_NS6detail17trampoline_kernelINS0_14default_configENS1_20scan_config_selectorIdEEZZNS1_9scan_implILNS1_25lookback_scan_determinismE0ELb0ELb0ES3_N6thrust23THRUST_200600_302600_NS6detail15normal_iteratorINS9_10device_ptrIdEEEESE_dNS9_4plusIvEEdEEDaPvRmT3_T4_T5_mT6_P12ihipStream_tbENKUlT_T0_E_clISt17integral_constantIbLb1EEST_IbLb0EEEEDaSP_SQ_EUlSP_E0_NS1_11comp_targetILNS1_3genE9ELNS1_11target_archE1100ELNS1_3gpuE3ELNS1_3repE0EEENS1_30default_config_static_selectorELNS0_4arch9wavefront6targetE1EEEvT1_
		.amdhsa_group_segment_fixed_size 0
		.amdhsa_private_segment_fixed_size 0
		.amdhsa_kernarg_size 40
		.amdhsa_user_sgpr_count 6
		.amdhsa_user_sgpr_private_segment_buffer 1
		.amdhsa_user_sgpr_dispatch_ptr 0
		.amdhsa_user_sgpr_queue_ptr 0
		.amdhsa_user_sgpr_kernarg_segment_ptr 1
		.amdhsa_user_sgpr_dispatch_id 0
		.amdhsa_user_sgpr_flat_scratch_init 0
		.amdhsa_user_sgpr_kernarg_preload_length 0
		.amdhsa_user_sgpr_kernarg_preload_offset 0
		.amdhsa_user_sgpr_private_segment_size 0
		.amdhsa_uses_dynamic_stack 0
		.amdhsa_system_sgpr_private_segment_wavefront_offset 0
		.amdhsa_system_sgpr_workgroup_id_x 1
		.amdhsa_system_sgpr_workgroup_id_y 0
		.amdhsa_system_sgpr_workgroup_id_z 0
		.amdhsa_system_sgpr_workgroup_info 0
		.amdhsa_system_vgpr_workitem_id 0
		.amdhsa_next_free_vgpr 1
		.amdhsa_next_free_sgpr 0
		.amdhsa_accum_offset 4
		.amdhsa_reserve_vcc 0
		.amdhsa_reserve_flat_scratch 0
		.amdhsa_float_round_mode_32 0
		.amdhsa_float_round_mode_16_64 0
		.amdhsa_float_denorm_mode_32 3
		.amdhsa_float_denorm_mode_16_64 3
		.amdhsa_dx10_clamp 1
		.amdhsa_ieee_mode 1
		.amdhsa_fp16_overflow 0
		.amdhsa_tg_split 0
		.amdhsa_exception_fp_ieee_invalid_op 0
		.amdhsa_exception_fp_denorm_src 0
		.amdhsa_exception_fp_ieee_div_zero 0
		.amdhsa_exception_fp_ieee_overflow 0
		.amdhsa_exception_fp_ieee_underflow 0
		.amdhsa_exception_fp_ieee_inexact 0
		.amdhsa_exception_int_div_zero 0
	.end_amdhsa_kernel
	.section	.text._ZN7rocprim17ROCPRIM_400000_NS6detail17trampoline_kernelINS0_14default_configENS1_20scan_config_selectorIdEEZZNS1_9scan_implILNS1_25lookback_scan_determinismE0ELb0ELb0ES3_N6thrust23THRUST_200600_302600_NS6detail15normal_iteratorINS9_10device_ptrIdEEEESE_dNS9_4plusIvEEdEEDaPvRmT3_T4_T5_mT6_P12ihipStream_tbENKUlT_T0_E_clISt17integral_constantIbLb1EEST_IbLb0EEEEDaSP_SQ_EUlSP_E0_NS1_11comp_targetILNS1_3genE9ELNS1_11target_archE1100ELNS1_3gpuE3ELNS1_3repE0EEENS1_30default_config_static_selectorELNS0_4arch9wavefront6targetE1EEEvT1_,"axG",@progbits,_ZN7rocprim17ROCPRIM_400000_NS6detail17trampoline_kernelINS0_14default_configENS1_20scan_config_selectorIdEEZZNS1_9scan_implILNS1_25lookback_scan_determinismE0ELb0ELb0ES3_N6thrust23THRUST_200600_302600_NS6detail15normal_iteratorINS9_10device_ptrIdEEEESE_dNS9_4plusIvEEdEEDaPvRmT3_T4_T5_mT6_P12ihipStream_tbENKUlT_T0_E_clISt17integral_constantIbLb1EEST_IbLb0EEEEDaSP_SQ_EUlSP_E0_NS1_11comp_targetILNS1_3genE9ELNS1_11target_archE1100ELNS1_3gpuE3ELNS1_3repE0EEENS1_30default_config_static_selectorELNS0_4arch9wavefront6targetE1EEEvT1_,comdat
.Lfunc_end4194:
	.size	_ZN7rocprim17ROCPRIM_400000_NS6detail17trampoline_kernelINS0_14default_configENS1_20scan_config_selectorIdEEZZNS1_9scan_implILNS1_25lookback_scan_determinismE0ELb0ELb0ES3_N6thrust23THRUST_200600_302600_NS6detail15normal_iteratorINS9_10device_ptrIdEEEESE_dNS9_4plusIvEEdEEDaPvRmT3_T4_T5_mT6_P12ihipStream_tbENKUlT_T0_E_clISt17integral_constantIbLb1EEST_IbLb0EEEEDaSP_SQ_EUlSP_E0_NS1_11comp_targetILNS1_3genE9ELNS1_11target_archE1100ELNS1_3gpuE3ELNS1_3repE0EEENS1_30default_config_static_selectorELNS0_4arch9wavefront6targetE1EEEvT1_, .Lfunc_end4194-_ZN7rocprim17ROCPRIM_400000_NS6detail17trampoline_kernelINS0_14default_configENS1_20scan_config_selectorIdEEZZNS1_9scan_implILNS1_25lookback_scan_determinismE0ELb0ELb0ES3_N6thrust23THRUST_200600_302600_NS6detail15normal_iteratorINS9_10device_ptrIdEEEESE_dNS9_4plusIvEEdEEDaPvRmT3_T4_T5_mT6_P12ihipStream_tbENKUlT_T0_E_clISt17integral_constantIbLb1EEST_IbLb0EEEEDaSP_SQ_EUlSP_E0_NS1_11comp_targetILNS1_3genE9ELNS1_11target_archE1100ELNS1_3gpuE3ELNS1_3repE0EEENS1_30default_config_static_selectorELNS0_4arch9wavefront6targetE1EEEvT1_
                                        ; -- End function
	.section	.AMDGPU.csdata,"",@progbits
; Kernel info:
; codeLenInByte = 0
; NumSgprs: 4
; NumVgprs: 0
; NumAgprs: 0
; TotalNumVgprs: 0
; ScratchSize: 0
; MemoryBound: 0
; FloatMode: 240
; IeeeMode: 1
; LDSByteSize: 0 bytes/workgroup (compile time only)
; SGPRBlocks: 0
; VGPRBlocks: 0
; NumSGPRsForWavesPerEU: 4
; NumVGPRsForWavesPerEU: 1
; AccumOffset: 4
; Occupancy: 8
; WaveLimiterHint : 0
; COMPUTE_PGM_RSRC2:SCRATCH_EN: 0
; COMPUTE_PGM_RSRC2:USER_SGPR: 6
; COMPUTE_PGM_RSRC2:TRAP_HANDLER: 0
; COMPUTE_PGM_RSRC2:TGID_X_EN: 1
; COMPUTE_PGM_RSRC2:TGID_Y_EN: 0
; COMPUTE_PGM_RSRC2:TGID_Z_EN: 0
; COMPUTE_PGM_RSRC2:TIDIG_COMP_CNT: 0
; COMPUTE_PGM_RSRC3_GFX90A:ACCUM_OFFSET: 0
; COMPUTE_PGM_RSRC3_GFX90A:TG_SPLIT: 0
	.section	.text._ZN7rocprim17ROCPRIM_400000_NS6detail17trampoline_kernelINS0_14default_configENS1_20scan_config_selectorIdEEZZNS1_9scan_implILNS1_25lookback_scan_determinismE0ELb0ELb0ES3_N6thrust23THRUST_200600_302600_NS6detail15normal_iteratorINS9_10device_ptrIdEEEESE_dNS9_4plusIvEEdEEDaPvRmT3_T4_T5_mT6_P12ihipStream_tbENKUlT_T0_E_clISt17integral_constantIbLb1EEST_IbLb0EEEEDaSP_SQ_EUlSP_E0_NS1_11comp_targetILNS1_3genE8ELNS1_11target_archE1030ELNS1_3gpuE2ELNS1_3repE0EEENS1_30default_config_static_selectorELNS0_4arch9wavefront6targetE1EEEvT1_,"axG",@progbits,_ZN7rocprim17ROCPRIM_400000_NS6detail17trampoline_kernelINS0_14default_configENS1_20scan_config_selectorIdEEZZNS1_9scan_implILNS1_25lookback_scan_determinismE0ELb0ELb0ES3_N6thrust23THRUST_200600_302600_NS6detail15normal_iteratorINS9_10device_ptrIdEEEESE_dNS9_4plusIvEEdEEDaPvRmT3_T4_T5_mT6_P12ihipStream_tbENKUlT_T0_E_clISt17integral_constantIbLb1EEST_IbLb0EEEEDaSP_SQ_EUlSP_E0_NS1_11comp_targetILNS1_3genE8ELNS1_11target_archE1030ELNS1_3gpuE2ELNS1_3repE0EEENS1_30default_config_static_selectorELNS0_4arch9wavefront6targetE1EEEvT1_,comdat
	.protected	_ZN7rocprim17ROCPRIM_400000_NS6detail17trampoline_kernelINS0_14default_configENS1_20scan_config_selectorIdEEZZNS1_9scan_implILNS1_25lookback_scan_determinismE0ELb0ELb0ES3_N6thrust23THRUST_200600_302600_NS6detail15normal_iteratorINS9_10device_ptrIdEEEESE_dNS9_4plusIvEEdEEDaPvRmT3_T4_T5_mT6_P12ihipStream_tbENKUlT_T0_E_clISt17integral_constantIbLb1EEST_IbLb0EEEEDaSP_SQ_EUlSP_E0_NS1_11comp_targetILNS1_3genE8ELNS1_11target_archE1030ELNS1_3gpuE2ELNS1_3repE0EEENS1_30default_config_static_selectorELNS0_4arch9wavefront6targetE1EEEvT1_ ; -- Begin function _ZN7rocprim17ROCPRIM_400000_NS6detail17trampoline_kernelINS0_14default_configENS1_20scan_config_selectorIdEEZZNS1_9scan_implILNS1_25lookback_scan_determinismE0ELb0ELb0ES3_N6thrust23THRUST_200600_302600_NS6detail15normal_iteratorINS9_10device_ptrIdEEEESE_dNS9_4plusIvEEdEEDaPvRmT3_T4_T5_mT6_P12ihipStream_tbENKUlT_T0_E_clISt17integral_constantIbLb1EEST_IbLb0EEEEDaSP_SQ_EUlSP_E0_NS1_11comp_targetILNS1_3genE8ELNS1_11target_archE1030ELNS1_3gpuE2ELNS1_3repE0EEENS1_30default_config_static_selectorELNS0_4arch9wavefront6targetE1EEEvT1_
	.globl	_ZN7rocprim17ROCPRIM_400000_NS6detail17trampoline_kernelINS0_14default_configENS1_20scan_config_selectorIdEEZZNS1_9scan_implILNS1_25lookback_scan_determinismE0ELb0ELb0ES3_N6thrust23THRUST_200600_302600_NS6detail15normal_iteratorINS9_10device_ptrIdEEEESE_dNS9_4plusIvEEdEEDaPvRmT3_T4_T5_mT6_P12ihipStream_tbENKUlT_T0_E_clISt17integral_constantIbLb1EEST_IbLb0EEEEDaSP_SQ_EUlSP_E0_NS1_11comp_targetILNS1_3genE8ELNS1_11target_archE1030ELNS1_3gpuE2ELNS1_3repE0EEENS1_30default_config_static_selectorELNS0_4arch9wavefront6targetE1EEEvT1_
	.p2align	8
	.type	_ZN7rocprim17ROCPRIM_400000_NS6detail17trampoline_kernelINS0_14default_configENS1_20scan_config_selectorIdEEZZNS1_9scan_implILNS1_25lookback_scan_determinismE0ELb0ELb0ES3_N6thrust23THRUST_200600_302600_NS6detail15normal_iteratorINS9_10device_ptrIdEEEESE_dNS9_4plusIvEEdEEDaPvRmT3_T4_T5_mT6_P12ihipStream_tbENKUlT_T0_E_clISt17integral_constantIbLb1EEST_IbLb0EEEEDaSP_SQ_EUlSP_E0_NS1_11comp_targetILNS1_3genE8ELNS1_11target_archE1030ELNS1_3gpuE2ELNS1_3repE0EEENS1_30default_config_static_selectorELNS0_4arch9wavefront6targetE1EEEvT1_,@function
_ZN7rocprim17ROCPRIM_400000_NS6detail17trampoline_kernelINS0_14default_configENS1_20scan_config_selectorIdEEZZNS1_9scan_implILNS1_25lookback_scan_determinismE0ELb0ELb0ES3_N6thrust23THRUST_200600_302600_NS6detail15normal_iteratorINS9_10device_ptrIdEEEESE_dNS9_4plusIvEEdEEDaPvRmT3_T4_T5_mT6_P12ihipStream_tbENKUlT_T0_E_clISt17integral_constantIbLb1EEST_IbLb0EEEEDaSP_SQ_EUlSP_E0_NS1_11comp_targetILNS1_3genE8ELNS1_11target_archE1030ELNS1_3gpuE2ELNS1_3repE0EEENS1_30default_config_static_selectorELNS0_4arch9wavefront6targetE1EEEvT1_: ; @_ZN7rocprim17ROCPRIM_400000_NS6detail17trampoline_kernelINS0_14default_configENS1_20scan_config_selectorIdEEZZNS1_9scan_implILNS1_25lookback_scan_determinismE0ELb0ELb0ES3_N6thrust23THRUST_200600_302600_NS6detail15normal_iteratorINS9_10device_ptrIdEEEESE_dNS9_4plusIvEEdEEDaPvRmT3_T4_T5_mT6_P12ihipStream_tbENKUlT_T0_E_clISt17integral_constantIbLb1EEST_IbLb0EEEEDaSP_SQ_EUlSP_E0_NS1_11comp_targetILNS1_3genE8ELNS1_11target_archE1030ELNS1_3gpuE2ELNS1_3repE0EEENS1_30default_config_static_selectorELNS0_4arch9wavefront6targetE1EEEvT1_
; %bb.0:
	.section	.rodata,"a",@progbits
	.p2align	6, 0x0
	.amdhsa_kernel _ZN7rocprim17ROCPRIM_400000_NS6detail17trampoline_kernelINS0_14default_configENS1_20scan_config_selectorIdEEZZNS1_9scan_implILNS1_25lookback_scan_determinismE0ELb0ELb0ES3_N6thrust23THRUST_200600_302600_NS6detail15normal_iteratorINS9_10device_ptrIdEEEESE_dNS9_4plusIvEEdEEDaPvRmT3_T4_T5_mT6_P12ihipStream_tbENKUlT_T0_E_clISt17integral_constantIbLb1EEST_IbLb0EEEEDaSP_SQ_EUlSP_E0_NS1_11comp_targetILNS1_3genE8ELNS1_11target_archE1030ELNS1_3gpuE2ELNS1_3repE0EEENS1_30default_config_static_selectorELNS0_4arch9wavefront6targetE1EEEvT1_
		.amdhsa_group_segment_fixed_size 0
		.amdhsa_private_segment_fixed_size 0
		.amdhsa_kernarg_size 40
		.amdhsa_user_sgpr_count 6
		.amdhsa_user_sgpr_private_segment_buffer 1
		.amdhsa_user_sgpr_dispatch_ptr 0
		.amdhsa_user_sgpr_queue_ptr 0
		.amdhsa_user_sgpr_kernarg_segment_ptr 1
		.amdhsa_user_sgpr_dispatch_id 0
		.amdhsa_user_sgpr_flat_scratch_init 0
		.amdhsa_user_sgpr_kernarg_preload_length 0
		.amdhsa_user_sgpr_kernarg_preload_offset 0
		.amdhsa_user_sgpr_private_segment_size 0
		.amdhsa_uses_dynamic_stack 0
		.amdhsa_system_sgpr_private_segment_wavefront_offset 0
		.amdhsa_system_sgpr_workgroup_id_x 1
		.amdhsa_system_sgpr_workgroup_id_y 0
		.amdhsa_system_sgpr_workgroup_id_z 0
		.amdhsa_system_sgpr_workgroup_info 0
		.amdhsa_system_vgpr_workitem_id 0
		.amdhsa_next_free_vgpr 1
		.amdhsa_next_free_sgpr 0
		.amdhsa_accum_offset 4
		.amdhsa_reserve_vcc 0
		.amdhsa_reserve_flat_scratch 0
		.amdhsa_float_round_mode_32 0
		.amdhsa_float_round_mode_16_64 0
		.amdhsa_float_denorm_mode_32 3
		.amdhsa_float_denorm_mode_16_64 3
		.amdhsa_dx10_clamp 1
		.amdhsa_ieee_mode 1
		.amdhsa_fp16_overflow 0
		.amdhsa_tg_split 0
		.amdhsa_exception_fp_ieee_invalid_op 0
		.amdhsa_exception_fp_denorm_src 0
		.amdhsa_exception_fp_ieee_div_zero 0
		.amdhsa_exception_fp_ieee_overflow 0
		.amdhsa_exception_fp_ieee_underflow 0
		.amdhsa_exception_fp_ieee_inexact 0
		.amdhsa_exception_int_div_zero 0
	.end_amdhsa_kernel
	.section	.text._ZN7rocprim17ROCPRIM_400000_NS6detail17trampoline_kernelINS0_14default_configENS1_20scan_config_selectorIdEEZZNS1_9scan_implILNS1_25lookback_scan_determinismE0ELb0ELb0ES3_N6thrust23THRUST_200600_302600_NS6detail15normal_iteratorINS9_10device_ptrIdEEEESE_dNS9_4plusIvEEdEEDaPvRmT3_T4_T5_mT6_P12ihipStream_tbENKUlT_T0_E_clISt17integral_constantIbLb1EEST_IbLb0EEEEDaSP_SQ_EUlSP_E0_NS1_11comp_targetILNS1_3genE8ELNS1_11target_archE1030ELNS1_3gpuE2ELNS1_3repE0EEENS1_30default_config_static_selectorELNS0_4arch9wavefront6targetE1EEEvT1_,"axG",@progbits,_ZN7rocprim17ROCPRIM_400000_NS6detail17trampoline_kernelINS0_14default_configENS1_20scan_config_selectorIdEEZZNS1_9scan_implILNS1_25lookback_scan_determinismE0ELb0ELb0ES3_N6thrust23THRUST_200600_302600_NS6detail15normal_iteratorINS9_10device_ptrIdEEEESE_dNS9_4plusIvEEdEEDaPvRmT3_T4_T5_mT6_P12ihipStream_tbENKUlT_T0_E_clISt17integral_constantIbLb1EEST_IbLb0EEEEDaSP_SQ_EUlSP_E0_NS1_11comp_targetILNS1_3genE8ELNS1_11target_archE1030ELNS1_3gpuE2ELNS1_3repE0EEENS1_30default_config_static_selectorELNS0_4arch9wavefront6targetE1EEEvT1_,comdat
.Lfunc_end4195:
	.size	_ZN7rocprim17ROCPRIM_400000_NS6detail17trampoline_kernelINS0_14default_configENS1_20scan_config_selectorIdEEZZNS1_9scan_implILNS1_25lookback_scan_determinismE0ELb0ELb0ES3_N6thrust23THRUST_200600_302600_NS6detail15normal_iteratorINS9_10device_ptrIdEEEESE_dNS9_4plusIvEEdEEDaPvRmT3_T4_T5_mT6_P12ihipStream_tbENKUlT_T0_E_clISt17integral_constantIbLb1EEST_IbLb0EEEEDaSP_SQ_EUlSP_E0_NS1_11comp_targetILNS1_3genE8ELNS1_11target_archE1030ELNS1_3gpuE2ELNS1_3repE0EEENS1_30default_config_static_selectorELNS0_4arch9wavefront6targetE1EEEvT1_, .Lfunc_end4195-_ZN7rocprim17ROCPRIM_400000_NS6detail17trampoline_kernelINS0_14default_configENS1_20scan_config_selectorIdEEZZNS1_9scan_implILNS1_25lookback_scan_determinismE0ELb0ELb0ES3_N6thrust23THRUST_200600_302600_NS6detail15normal_iteratorINS9_10device_ptrIdEEEESE_dNS9_4plusIvEEdEEDaPvRmT3_T4_T5_mT6_P12ihipStream_tbENKUlT_T0_E_clISt17integral_constantIbLb1EEST_IbLb0EEEEDaSP_SQ_EUlSP_E0_NS1_11comp_targetILNS1_3genE8ELNS1_11target_archE1030ELNS1_3gpuE2ELNS1_3repE0EEENS1_30default_config_static_selectorELNS0_4arch9wavefront6targetE1EEEvT1_
                                        ; -- End function
	.section	.AMDGPU.csdata,"",@progbits
; Kernel info:
; codeLenInByte = 0
; NumSgprs: 4
; NumVgprs: 0
; NumAgprs: 0
; TotalNumVgprs: 0
; ScratchSize: 0
; MemoryBound: 0
; FloatMode: 240
; IeeeMode: 1
; LDSByteSize: 0 bytes/workgroup (compile time only)
; SGPRBlocks: 0
; VGPRBlocks: 0
; NumSGPRsForWavesPerEU: 4
; NumVGPRsForWavesPerEU: 1
; AccumOffset: 4
; Occupancy: 8
; WaveLimiterHint : 0
; COMPUTE_PGM_RSRC2:SCRATCH_EN: 0
; COMPUTE_PGM_RSRC2:USER_SGPR: 6
; COMPUTE_PGM_RSRC2:TRAP_HANDLER: 0
; COMPUTE_PGM_RSRC2:TGID_X_EN: 1
; COMPUTE_PGM_RSRC2:TGID_Y_EN: 0
; COMPUTE_PGM_RSRC2:TGID_Z_EN: 0
; COMPUTE_PGM_RSRC2:TIDIG_COMP_CNT: 0
; COMPUTE_PGM_RSRC3_GFX90A:ACCUM_OFFSET: 0
; COMPUTE_PGM_RSRC3_GFX90A:TG_SPLIT: 0
	.section	.text._ZN7rocprim17ROCPRIM_400000_NS6detail17trampoline_kernelINS0_14default_configENS1_20scan_config_selectorIdEEZZNS1_9scan_implILNS1_25lookback_scan_determinismE0ELb0ELb0ES3_N6thrust23THRUST_200600_302600_NS6detail15normal_iteratorINS9_10device_ptrIdEEEESE_dNS9_4plusIvEEdEEDaPvRmT3_T4_T5_mT6_P12ihipStream_tbENKUlT_T0_E_clISt17integral_constantIbLb0EEST_IbLb1EEEEDaSP_SQ_EUlSP_E_NS1_11comp_targetILNS1_3genE0ELNS1_11target_archE4294967295ELNS1_3gpuE0ELNS1_3repE0EEENS1_30default_config_static_selectorELNS0_4arch9wavefront6targetE1EEEvT1_,"axG",@progbits,_ZN7rocprim17ROCPRIM_400000_NS6detail17trampoline_kernelINS0_14default_configENS1_20scan_config_selectorIdEEZZNS1_9scan_implILNS1_25lookback_scan_determinismE0ELb0ELb0ES3_N6thrust23THRUST_200600_302600_NS6detail15normal_iteratorINS9_10device_ptrIdEEEESE_dNS9_4plusIvEEdEEDaPvRmT3_T4_T5_mT6_P12ihipStream_tbENKUlT_T0_E_clISt17integral_constantIbLb0EEST_IbLb1EEEEDaSP_SQ_EUlSP_E_NS1_11comp_targetILNS1_3genE0ELNS1_11target_archE4294967295ELNS1_3gpuE0ELNS1_3repE0EEENS1_30default_config_static_selectorELNS0_4arch9wavefront6targetE1EEEvT1_,comdat
	.protected	_ZN7rocprim17ROCPRIM_400000_NS6detail17trampoline_kernelINS0_14default_configENS1_20scan_config_selectorIdEEZZNS1_9scan_implILNS1_25lookback_scan_determinismE0ELb0ELb0ES3_N6thrust23THRUST_200600_302600_NS6detail15normal_iteratorINS9_10device_ptrIdEEEESE_dNS9_4plusIvEEdEEDaPvRmT3_T4_T5_mT6_P12ihipStream_tbENKUlT_T0_E_clISt17integral_constantIbLb0EEST_IbLb1EEEEDaSP_SQ_EUlSP_E_NS1_11comp_targetILNS1_3genE0ELNS1_11target_archE4294967295ELNS1_3gpuE0ELNS1_3repE0EEENS1_30default_config_static_selectorELNS0_4arch9wavefront6targetE1EEEvT1_ ; -- Begin function _ZN7rocprim17ROCPRIM_400000_NS6detail17trampoline_kernelINS0_14default_configENS1_20scan_config_selectorIdEEZZNS1_9scan_implILNS1_25lookback_scan_determinismE0ELb0ELb0ES3_N6thrust23THRUST_200600_302600_NS6detail15normal_iteratorINS9_10device_ptrIdEEEESE_dNS9_4plusIvEEdEEDaPvRmT3_T4_T5_mT6_P12ihipStream_tbENKUlT_T0_E_clISt17integral_constantIbLb0EEST_IbLb1EEEEDaSP_SQ_EUlSP_E_NS1_11comp_targetILNS1_3genE0ELNS1_11target_archE4294967295ELNS1_3gpuE0ELNS1_3repE0EEENS1_30default_config_static_selectorELNS0_4arch9wavefront6targetE1EEEvT1_
	.globl	_ZN7rocprim17ROCPRIM_400000_NS6detail17trampoline_kernelINS0_14default_configENS1_20scan_config_selectorIdEEZZNS1_9scan_implILNS1_25lookback_scan_determinismE0ELb0ELb0ES3_N6thrust23THRUST_200600_302600_NS6detail15normal_iteratorINS9_10device_ptrIdEEEESE_dNS9_4plusIvEEdEEDaPvRmT3_T4_T5_mT6_P12ihipStream_tbENKUlT_T0_E_clISt17integral_constantIbLb0EEST_IbLb1EEEEDaSP_SQ_EUlSP_E_NS1_11comp_targetILNS1_3genE0ELNS1_11target_archE4294967295ELNS1_3gpuE0ELNS1_3repE0EEENS1_30default_config_static_selectorELNS0_4arch9wavefront6targetE1EEEvT1_
	.p2align	8
	.type	_ZN7rocprim17ROCPRIM_400000_NS6detail17trampoline_kernelINS0_14default_configENS1_20scan_config_selectorIdEEZZNS1_9scan_implILNS1_25lookback_scan_determinismE0ELb0ELb0ES3_N6thrust23THRUST_200600_302600_NS6detail15normal_iteratorINS9_10device_ptrIdEEEESE_dNS9_4plusIvEEdEEDaPvRmT3_T4_T5_mT6_P12ihipStream_tbENKUlT_T0_E_clISt17integral_constantIbLb0EEST_IbLb1EEEEDaSP_SQ_EUlSP_E_NS1_11comp_targetILNS1_3genE0ELNS1_11target_archE4294967295ELNS1_3gpuE0ELNS1_3repE0EEENS1_30default_config_static_selectorELNS0_4arch9wavefront6targetE1EEEvT1_,@function
_ZN7rocprim17ROCPRIM_400000_NS6detail17trampoline_kernelINS0_14default_configENS1_20scan_config_selectorIdEEZZNS1_9scan_implILNS1_25lookback_scan_determinismE0ELb0ELb0ES3_N6thrust23THRUST_200600_302600_NS6detail15normal_iteratorINS9_10device_ptrIdEEEESE_dNS9_4plusIvEEdEEDaPvRmT3_T4_T5_mT6_P12ihipStream_tbENKUlT_T0_E_clISt17integral_constantIbLb0EEST_IbLb1EEEEDaSP_SQ_EUlSP_E_NS1_11comp_targetILNS1_3genE0ELNS1_11target_archE4294967295ELNS1_3gpuE0ELNS1_3repE0EEENS1_30default_config_static_selectorELNS0_4arch9wavefront6targetE1EEEvT1_: ; @_ZN7rocprim17ROCPRIM_400000_NS6detail17trampoline_kernelINS0_14default_configENS1_20scan_config_selectorIdEEZZNS1_9scan_implILNS1_25lookback_scan_determinismE0ELb0ELb0ES3_N6thrust23THRUST_200600_302600_NS6detail15normal_iteratorINS9_10device_ptrIdEEEESE_dNS9_4plusIvEEdEEDaPvRmT3_T4_T5_mT6_P12ihipStream_tbENKUlT_T0_E_clISt17integral_constantIbLb0EEST_IbLb1EEEEDaSP_SQ_EUlSP_E_NS1_11comp_targetILNS1_3genE0ELNS1_11target_archE4294967295ELNS1_3gpuE0ELNS1_3repE0EEENS1_30default_config_static_selectorELNS0_4arch9wavefront6targetE1EEEvT1_
; %bb.0:
	.section	.rodata,"a",@progbits
	.p2align	6, 0x0
	.amdhsa_kernel _ZN7rocprim17ROCPRIM_400000_NS6detail17trampoline_kernelINS0_14default_configENS1_20scan_config_selectorIdEEZZNS1_9scan_implILNS1_25lookback_scan_determinismE0ELb0ELb0ES3_N6thrust23THRUST_200600_302600_NS6detail15normal_iteratorINS9_10device_ptrIdEEEESE_dNS9_4plusIvEEdEEDaPvRmT3_T4_T5_mT6_P12ihipStream_tbENKUlT_T0_E_clISt17integral_constantIbLb0EEST_IbLb1EEEEDaSP_SQ_EUlSP_E_NS1_11comp_targetILNS1_3genE0ELNS1_11target_archE4294967295ELNS1_3gpuE0ELNS1_3repE0EEENS1_30default_config_static_selectorELNS0_4arch9wavefront6targetE1EEEvT1_
		.amdhsa_group_segment_fixed_size 0
		.amdhsa_private_segment_fixed_size 0
		.amdhsa_kernarg_size 104
		.amdhsa_user_sgpr_count 6
		.amdhsa_user_sgpr_private_segment_buffer 1
		.amdhsa_user_sgpr_dispatch_ptr 0
		.amdhsa_user_sgpr_queue_ptr 0
		.amdhsa_user_sgpr_kernarg_segment_ptr 1
		.amdhsa_user_sgpr_dispatch_id 0
		.amdhsa_user_sgpr_flat_scratch_init 0
		.amdhsa_user_sgpr_kernarg_preload_length 0
		.amdhsa_user_sgpr_kernarg_preload_offset 0
		.amdhsa_user_sgpr_private_segment_size 0
		.amdhsa_uses_dynamic_stack 0
		.amdhsa_system_sgpr_private_segment_wavefront_offset 0
		.amdhsa_system_sgpr_workgroup_id_x 1
		.amdhsa_system_sgpr_workgroup_id_y 0
		.amdhsa_system_sgpr_workgroup_id_z 0
		.amdhsa_system_sgpr_workgroup_info 0
		.amdhsa_system_vgpr_workitem_id 0
		.amdhsa_next_free_vgpr 1
		.amdhsa_next_free_sgpr 0
		.amdhsa_accum_offset 4
		.amdhsa_reserve_vcc 0
		.amdhsa_reserve_flat_scratch 0
		.amdhsa_float_round_mode_32 0
		.amdhsa_float_round_mode_16_64 0
		.amdhsa_float_denorm_mode_32 3
		.amdhsa_float_denorm_mode_16_64 3
		.amdhsa_dx10_clamp 1
		.amdhsa_ieee_mode 1
		.amdhsa_fp16_overflow 0
		.amdhsa_tg_split 0
		.amdhsa_exception_fp_ieee_invalid_op 0
		.amdhsa_exception_fp_denorm_src 0
		.amdhsa_exception_fp_ieee_div_zero 0
		.amdhsa_exception_fp_ieee_overflow 0
		.amdhsa_exception_fp_ieee_underflow 0
		.amdhsa_exception_fp_ieee_inexact 0
		.amdhsa_exception_int_div_zero 0
	.end_amdhsa_kernel
	.section	.text._ZN7rocprim17ROCPRIM_400000_NS6detail17trampoline_kernelINS0_14default_configENS1_20scan_config_selectorIdEEZZNS1_9scan_implILNS1_25lookback_scan_determinismE0ELb0ELb0ES3_N6thrust23THRUST_200600_302600_NS6detail15normal_iteratorINS9_10device_ptrIdEEEESE_dNS9_4plusIvEEdEEDaPvRmT3_T4_T5_mT6_P12ihipStream_tbENKUlT_T0_E_clISt17integral_constantIbLb0EEST_IbLb1EEEEDaSP_SQ_EUlSP_E_NS1_11comp_targetILNS1_3genE0ELNS1_11target_archE4294967295ELNS1_3gpuE0ELNS1_3repE0EEENS1_30default_config_static_selectorELNS0_4arch9wavefront6targetE1EEEvT1_,"axG",@progbits,_ZN7rocprim17ROCPRIM_400000_NS6detail17trampoline_kernelINS0_14default_configENS1_20scan_config_selectorIdEEZZNS1_9scan_implILNS1_25lookback_scan_determinismE0ELb0ELb0ES3_N6thrust23THRUST_200600_302600_NS6detail15normal_iteratorINS9_10device_ptrIdEEEESE_dNS9_4plusIvEEdEEDaPvRmT3_T4_T5_mT6_P12ihipStream_tbENKUlT_T0_E_clISt17integral_constantIbLb0EEST_IbLb1EEEEDaSP_SQ_EUlSP_E_NS1_11comp_targetILNS1_3genE0ELNS1_11target_archE4294967295ELNS1_3gpuE0ELNS1_3repE0EEENS1_30default_config_static_selectorELNS0_4arch9wavefront6targetE1EEEvT1_,comdat
.Lfunc_end4196:
	.size	_ZN7rocprim17ROCPRIM_400000_NS6detail17trampoline_kernelINS0_14default_configENS1_20scan_config_selectorIdEEZZNS1_9scan_implILNS1_25lookback_scan_determinismE0ELb0ELb0ES3_N6thrust23THRUST_200600_302600_NS6detail15normal_iteratorINS9_10device_ptrIdEEEESE_dNS9_4plusIvEEdEEDaPvRmT3_T4_T5_mT6_P12ihipStream_tbENKUlT_T0_E_clISt17integral_constantIbLb0EEST_IbLb1EEEEDaSP_SQ_EUlSP_E_NS1_11comp_targetILNS1_3genE0ELNS1_11target_archE4294967295ELNS1_3gpuE0ELNS1_3repE0EEENS1_30default_config_static_selectorELNS0_4arch9wavefront6targetE1EEEvT1_, .Lfunc_end4196-_ZN7rocprim17ROCPRIM_400000_NS6detail17trampoline_kernelINS0_14default_configENS1_20scan_config_selectorIdEEZZNS1_9scan_implILNS1_25lookback_scan_determinismE0ELb0ELb0ES3_N6thrust23THRUST_200600_302600_NS6detail15normal_iteratorINS9_10device_ptrIdEEEESE_dNS9_4plusIvEEdEEDaPvRmT3_T4_T5_mT6_P12ihipStream_tbENKUlT_T0_E_clISt17integral_constantIbLb0EEST_IbLb1EEEEDaSP_SQ_EUlSP_E_NS1_11comp_targetILNS1_3genE0ELNS1_11target_archE4294967295ELNS1_3gpuE0ELNS1_3repE0EEENS1_30default_config_static_selectorELNS0_4arch9wavefront6targetE1EEEvT1_
                                        ; -- End function
	.section	.AMDGPU.csdata,"",@progbits
; Kernel info:
; codeLenInByte = 0
; NumSgprs: 4
; NumVgprs: 0
; NumAgprs: 0
; TotalNumVgprs: 0
; ScratchSize: 0
; MemoryBound: 0
; FloatMode: 240
; IeeeMode: 1
; LDSByteSize: 0 bytes/workgroup (compile time only)
; SGPRBlocks: 0
; VGPRBlocks: 0
; NumSGPRsForWavesPerEU: 4
; NumVGPRsForWavesPerEU: 1
; AccumOffset: 4
; Occupancy: 8
; WaveLimiterHint : 0
; COMPUTE_PGM_RSRC2:SCRATCH_EN: 0
; COMPUTE_PGM_RSRC2:USER_SGPR: 6
; COMPUTE_PGM_RSRC2:TRAP_HANDLER: 0
; COMPUTE_PGM_RSRC2:TGID_X_EN: 1
; COMPUTE_PGM_RSRC2:TGID_Y_EN: 0
; COMPUTE_PGM_RSRC2:TGID_Z_EN: 0
; COMPUTE_PGM_RSRC2:TIDIG_COMP_CNT: 0
; COMPUTE_PGM_RSRC3_GFX90A:ACCUM_OFFSET: 0
; COMPUTE_PGM_RSRC3_GFX90A:TG_SPLIT: 0
	.section	.text._ZN7rocprim17ROCPRIM_400000_NS6detail17trampoline_kernelINS0_14default_configENS1_20scan_config_selectorIdEEZZNS1_9scan_implILNS1_25lookback_scan_determinismE0ELb0ELb0ES3_N6thrust23THRUST_200600_302600_NS6detail15normal_iteratorINS9_10device_ptrIdEEEESE_dNS9_4plusIvEEdEEDaPvRmT3_T4_T5_mT6_P12ihipStream_tbENKUlT_T0_E_clISt17integral_constantIbLb0EEST_IbLb1EEEEDaSP_SQ_EUlSP_E_NS1_11comp_targetILNS1_3genE5ELNS1_11target_archE942ELNS1_3gpuE9ELNS1_3repE0EEENS1_30default_config_static_selectorELNS0_4arch9wavefront6targetE1EEEvT1_,"axG",@progbits,_ZN7rocprim17ROCPRIM_400000_NS6detail17trampoline_kernelINS0_14default_configENS1_20scan_config_selectorIdEEZZNS1_9scan_implILNS1_25lookback_scan_determinismE0ELb0ELb0ES3_N6thrust23THRUST_200600_302600_NS6detail15normal_iteratorINS9_10device_ptrIdEEEESE_dNS9_4plusIvEEdEEDaPvRmT3_T4_T5_mT6_P12ihipStream_tbENKUlT_T0_E_clISt17integral_constantIbLb0EEST_IbLb1EEEEDaSP_SQ_EUlSP_E_NS1_11comp_targetILNS1_3genE5ELNS1_11target_archE942ELNS1_3gpuE9ELNS1_3repE0EEENS1_30default_config_static_selectorELNS0_4arch9wavefront6targetE1EEEvT1_,comdat
	.protected	_ZN7rocprim17ROCPRIM_400000_NS6detail17trampoline_kernelINS0_14default_configENS1_20scan_config_selectorIdEEZZNS1_9scan_implILNS1_25lookback_scan_determinismE0ELb0ELb0ES3_N6thrust23THRUST_200600_302600_NS6detail15normal_iteratorINS9_10device_ptrIdEEEESE_dNS9_4plusIvEEdEEDaPvRmT3_T4_T5_mT6_P12ihipStream_tbENKUlT_T0_E_clISt17integral_constantIbLb0EEST_IbLb1EEEEDaSP_SQ_EUlSP_E_NS1_11comp_targetILNS1_3genE5ELNS1_11target_archE942ELNS1_3gpuE9ELNS1_3repE0EEENS1_30default_config_static_selectorELNS0_4arch9wavefront6targetE1EEEvT1_ ; -- Begin function _ZN7rocprim17ROCPRIM_400000_NS6detail17trampoline_kernelINS0_14default_configENS1_20scan_config_selectorIdEEZZNS1_9scan_implILNS1_25lookback_scan_determinismE0ELb0ELb0ES3_N6thrust23THRUST_200600_302600_NS6detail15normal_iteratorINS9_10device_ptrIdEEEESE_dNS9_4plusIvEEdEEDaPvRmT3_T4_T5_mT6_P12ihipStream_tbENKUlT_T0_E_clISt17integral_constantIbLb0EEST_IbLb1EEEEDaSP_SQ_EUlSP_E_NS1_11comp_targetILNS1_3genE5ELNS1_11target_archE942ELNS1_3gpuE9ELNS1_3repE0EEENS1_30default_config_static_selectorELNS0_4arch9wavefront6targetE1EEEvT1_
	.globl	_ZN7rocprim17ROCPRIM_400000_NS6detail17trampoline_kernelINS0_14default_configENS1_20scan_config_selectorIdEEZZNS1_9scan_implILNS1_25lookback_scan_determinismE0ELb0ELb0ES3_N6thrust23THRUST_200600_302600_NS6detail15normal_iteratorINS9_10device_ptrIdEEEESE_dNS9_4plusIvEEdEEDaPvRmT3_T4_T5_mT6_P12ihipStream_tbENKUlT_T0_E_clISt17integral_constantIbLb0EEST_IbLb1EEEEDaSP_SQ_EUlSP_E_NS1_11comp_targetILNS1_3genE5ELNS1_11target_archE942ELNS1_3gpuE9ELNS1_3repE0EEENS1_30default_config_static_selectorELNS0_4arch9wavefront6targetE1EEEvT1_
	.p2align	8
	.type	_ZN7rocprim17ROCPRIM_400000_NS6detail17trampoline_kernelINS0_14default_configENS1_20scan_config_selectorIdEEZZNS1_9scan_implILNS1_25lookback_scan_determinismE0ELb0ELb0ES3_N6thrust23THRUST_200600_302600_NS6detail15normal_iteratorINS9_10device_ptrIdEEEESE_dNS9_4plusIvEEdEEDaPvRmT3_T4_T5_mT6_P12ihipStream_tbENKUlT_T0_E_clISt17integral_constantIbLb0EEST_IbLb1EEEEDaSP_SQ_EUlSP_E_NS1_11comp_targetILNS1_3genE5ELNS1_11target_archE942ELNS1_3gpuE9ELNS1_3repE0EEENS1_30default_config_static_selectorELNS0_4arch9wavefront6targetE1EEEvT1_,@function
_ZN7rocprim17ROCPRIM_400000_NS6detail17trampoline_kernelINS0_14default_configENS1_20scan_config_selectorIdEEZZNS1_9scan_implILNS1_25lookback_scan_determinismE0ELb0ELb0ES3_N6thrust23THRUST_200600_302600_NS6detail15normal_iteratorINS9_10device_ptrIdEEEESE_dNS9_4plusIvEEdEEDaPvRmT3_T4_T5_mT6_P12ihipStream_tbENKUlT_T0_E_clISt17integral_constantIbLb0EEST_IbLb1EEEEDaSP_SQ_EUlSP_E_NS1_11comp_targetILNS1_3genE5ELNS1_11target_archE942ELNS1_3gpuE9ELNS1_3repE0EEENS1_30default_config_static_selectorELNS0_4arch9wavefront6targetE1EEEvT1_: ; @_ZN7rocprim17ROCPRIM_400000_NS6detail17trampoline_kernelINS0_14default_configENS1_20scan_config_selectorIdEEZZNS1_9scan_implILNS1_25lookback_scan_determinismE0ELb0ELb0ES3_N6thrust23THRUST_200600_302600_NS6detail15normal_iteratorINS9_10device_ptrIdEEEESE_dNS9_4plusIvEEdEEDaPvRmT3_T4_T5_mT6_P12ihipStream_tbENKUlT_T0_E_clISt17integral_constantIbLb0EEST_IbLb1EEEEDaSP_SQ_EUlSP_E_NS1_11comp_targetILNS1_3genE5ELNS1_11target_archE942ELNS1_3gpuE9ELNS1_3repE0EEENS1_30default_config_static_selectorELNS0_4arch9wavefront6targetE1EEEvT1_
; %bb.0:
	.section	.rodata,"a",@progbits
	.p2align	6, 0x0
	.amdhsa_kernel _ZN7rocprim17ROCPRIM_400000_NS6detail17trampoline_kernelINS0_14default_configENS1_20scan_config_selectorIdEEZZNS1_9scan_implILNS1_25lookback_scan_determinismE0ELb0ELb0ES3_N6thrust23THRUST_200600_302600_NS6detail15normal_iteratorINS9_10device_ptrIdEEEESE_dNS9_4plusIvEEdEEDaPvRmT3_T4_T5_mT6_P12ihipStream_tbENKUlT_T0_E_clISt17integral_constantIbLb0EEST_IbLb1EEEEDaSP_SQ_EUlSP_E_NS1_11comp_targetILNS1_3genE5ELNS1_11target_archE942ELNS1_3gpuE9ELNS1_3repE0EEENS1_30default_config_static_selectorELNS0_4arch9wavefront6targetE1EEEvT1_
		.amdhsa_group_segment_fixed_size 0
		.amdhsa_private_segment_fixed_size 0
		.amdhsa_kernarg_size 104
		.amdhsa_user_sgpr_count 6
		.amdhsa_user_sgpr_private_segment_buffer 1
		.amdhsa_user_sgpr_dispatch_ptr 0
		.amdhsa_user_sgpr_queue_ptr 0
		.amdhsa_user_sgpr_kernarg_segment_ptr 1
		.amdhsa_user_sgpr_dispatch_id 0
		.amdhsa_user_sgpr_flat_scratch_init 0
		.amdhsa_user_sgpr_kernarg_preload_length 0
		.amdhsa_user_sgpr_kernarg_preload_offset 0
		.amdhsa_user_sgpr_private_segment_size 0
		.amdhsa_uses_dynamic_stack 0
		.amdhsa_system_sgpr_private_segment_wavefront_offset 0
		.amdhsa_system_sgpr_workgroup_id_x 1
		.amdhsa_system_sgpr_workgroup_id_y 0
		.amdhsa_system_sgpr_workgroup_id_z 0
		.amdhsa_system_sgpr_workgroup_info 0
		.amdhsa_system_vgpr_workitem_id 0
		.amdhsa_next_free_vgpr 1
		.amdhsa_next_free_sgpr 0
		.amdhsa_accum_offset 4
		.amdhsa_reserve_vcc 0
		.amdhsa_reserve_flat_scratch 0
		.amdhsa_float_round_mode_32 0
		.amdhsa_float_round_mode_16_64 0
		.amdhsa_float_denorm_mode_32 3
		.amdhsa_float_denorm_mode_16_64 3
		.amdhsa_dx10_clamp 1
		.amdhsa_ieee_mode 1
		.amdhsa_fp16_overflow 0
		.amdhsa_tg_split 0
		.amdhsa_exception_fp_ieee_invalid_op 0
		.amdhsa_exception_fp_denorm_src 0
		.amdhsa_exception_fp_ieee_div_zero 0
		.amdhsa_exception_fp_ieee_overflow 0
		.amdhsa_exception_fp_ieee_underflow 0
		.amdhsa_exception_fp_ieee_inexact 0
		.amdhsa_exception_int_div_zero 0
	.end_amdhsa_kernel
	.section	.text._ZN7rocprim17ROCPRIM_400000_NS6detail17trampoline_kernelINS0_14default_configENS1_20scan_config_selectorIdEEZZNS1_9scan_implILNS1_25lookback_scan_determinismE0ELb0ELb0ES3_N6thrust23THRUST_200600_302600_NS6detail15normal_iteratorINS9_10device_ptrIdEEEESE_dNS9_4plusIvEEdEEDaPvRmT3_T4_T5_mT6_P12ihipStream_tbENKUlT_T0_E_clISt17integral_constantIbLb0EEST_IbLb1EEEEDaSP_SQ_EUlSP_E_NS1_11comp_targetILNS1_3genE5ELNS1_11target_archE942ELNS1_3gpuE9ELNS1_3repE0EEENS1_30default_config_static_selectorELNS0_4arch9wavefront6targetE1EEEvT1_,"axG",@progbits,_ZN7rocprim17ROCPRIM_400000_NS6detail17trampoline_kernelINS0_14default_configENS1_20scan_config_selectorIdEEZZNS1_9scan_implILNS1_25lookback_scan_determinismE0ELb0ELb0ES3_N6thrust23THRUST_200600_302600_NS6detail15normal_iteratorINS9_10device_ptrIdEEEESE_dNS9_4plusIvEEdEEDaPvRmT3_T4_T5_mT6_P12ihipStream_tbENKUlT_T0_E_clISt17integral_constantIbLb0EEST_IbLb1EEEEDaSP_SQ_EUlSP_E_NS1_11comp_targetILNS1_3genE5ELNS1_11target_archE942ELNS1_3gpuE9ELNS1_3repE0EEENS1_30default_config_static_selectorELNS0_4arch9wavefront6targetE1EEEvT1_,comdat
.Lfunc_end4197:
	.size	_ZN7rocprim17ROCPRIM_400000_NS6detail17trampoline_kernelINS0_14default_configENS1_20scan_config_selectorIdEEZZNS1_9scan_implILNS1_25lookback_scan_determinismE0ELb0ELb0ES3_N6thrust23THRUST_200600_302600_NS6detail15normal_iteratorINS9_10device_ptrIdEEEESE_dNS9_4plusIvEEdEEDaPvRmT3_T4_T5_mT6_P12ihipStream_tbENKUlT_T0_E_clISt17integral_constantIbLb0EEST_IbLb1EEEEDaSP_SQ_EUlSP_E_NS1_11comp_targetILNS1_3genE5ELNS1_11target_archE942ELNS1_3gpuE9ELNS1_3repE0EEENS1_30default_config_static_selectorELNS0_4arch9wavefront6targetE1EEEvT1_, .Lfunc_end4197-_ZN7rocprim17ROCPRIM_400000_NS6detail17trampoline_kernelINS0_14default_configENS1_20scan_config_selectorIdEEZZNS1_9scan_implILNS1_25lookback_scan_determinismE0ELb0ELb0ES3_N6thrust23THRUST_200600_302600_NS6detail15normal_iteratorINS9_10device_ptrIdEEEESE_dNS9_4plusIvEEdEEDaPvRmT3_T4_T5_mT6_P12ihipStream_tbENKUlT_T0_E_clISt17integral_constantIbLb0EEST_IbLb1EEEEDaSP_SQ_EUlSP_E_NS1_11comp_targetILNS1_3genE5ELNS1_11target_archE942ELNS1_3gpuE9ELNS1_3repE0EEENS1_30default_config_static_selectorELNS0_4arch9wavefront6targetE1EEEvT1_
                                        ; -- End function
	.section	.AMDGPU.csdata,"",@progbits
; Kernel info:
; codeLenInByte = 0
; NumSgprs: 4
; NumVgprs: 0
; NumAgprs: 0
; TotalNumVgprs: 0
; ScratchSize: 0
; MemoryBound: 0
; FloatMode: 240
; IeeeMode: 1
; LDSByteSize: 0 bytes/workgroup (compile time only)
; SGPRBlocks: 0
; VGPRBlocks: 0
; NumSGPRsForWavesPerEU: 4
; NumVGPRsForWavesPerEU: 1
; AccumOffset: 4
; Occupancy: 8
; WaveLimiterHint : 0
; COMPUTE_PGM_RSRC2:SCRATCH_EN: 0
; COMPUTE_PGM_RSRC2:USER_SGPR: 6
; COMPUTE_PGM_RSRC2:TRAP_HANDLER: 0
; COMPUTE_PGM_RSRC2:TGID_X_EN: 1
; COMPUTE_PGM_RSRC2:TGID_Y_EN: 0
; COMPUTE_PGM_RSRC2:TGID_Z_EN: 0
; COMPUTE_PGM_RSRC2:TIDIG_COMP_CNT: 0
; COMPUTE_PGM_RSRC3_GFX90A:ACCUM_OFFSET: 0
; COMPUTE_PGM_RSRC3_GFX90A:TG_SPLIT: 0
	.section	.text._ZN7rocprim17ROCPRIM_400000_NS6detail17trampoline_kernelINS0_14default_configENS1_20scan_config_selectorIdEEZZNS1_9scan_implILNS1_25lookback_scan_determinismE0ELb0ELb0ES3_N6thrust23THRUST_200600_302600_NS6detail15normal_iteratorINS9_10device_ptrIdEEEESE_dNS9_4plusIvEEdEEDaPvRmT3_T4_T5_mT6_P12ihipStream_tbENKUlT_T0_E_clISt17integral_constantIbLb0EEST_IbLb1EEEEDaSP_SQ_EUlSP_E_NS1_11comp_targetILNS1_3genE4ELNS1_11target_archE910ELNS1_3gpuE8ELNS1_3repE0EEENS1_30default_config_static_selectorELNS0_4arch9wavefront6targetE1EEEvT1_,"axG",@progbits,_ZN7rocprim17ROCPRIM_400000_NS6detail17trampoline_kernelINS0_14default_configENS1_20scan_config_selectorIdEEZZNS1_9scan_implILNS1_25lookback_scan_determinismE0ELb0ELb0ES3_N6thrust23THRUST_200600_302600_NS6detail15normal_iteratorINS9_10device_ptrIdEEEESE_dNS9_4plusIvEEdEEDaPvRmT3_T4_T5_mT6_P12ihipStream_tbENKUlT_T0_E_clISt17integral_constantIbLb0EEST_IbLb1EEEEDaSP_SQ_EUlSP_E_NS1_11comp_targetILNS1_3genE4ELNS1_11target_archE910ELNS1_3gpuE8ELNS1_3repE0EEENS1_30default_config_static_selectorELNS0_4arch9wavefront6targetE1EEEvT1_,comdat
	.protected	_ZN7rocprim17ROCPRIM_400000_NS6detail17trampoline_kernelINS0_14default_configENS1_20scan_config_selectorIdEEZZNS1_9scan_implILNS1_25lookback_scan_determinismE0ELb0ELb0ES3_N6thrust23THRUST_200600_302600_NS6detail15normal_iteratorINS9_10device_ptrIdEEEESE_dNS9_4plusIvEEdEEDaPvRmT3_T4_T5_mT6_P12ihipStream_tbENKUlT_T0_E_clISt17integral_constantIbLb0EEST_IbLb1EEEEDaSP_SQ_EUlSP_E_NS1_11comp_targetILNS1_3genE4ELNS1_11target_archE910ELNS1_3gpuE8ELNS1_3repE0EEENS1_30default_config_static_selectorELNS0_4arch9wavefront6targetE1EEEvT1_ ; -- Begin function _ZN7rocprim17ROCPRIM_400000_NS6detail17trampoline_kernelINS0_14default_configENS1_20scan_config_selectorIdEEZZNS1_9scan_implILNS1_25lookback_scan_determinismE0ELb0ELb0ES3_N6thrust23THRUST_200600_302600_NS6detail15normal_iteratorINS9_10device_ptrIdEEEESE_dNS9_4plusIvEEdEEDaPvRmT3_T4_T5_mT6_P12ihipStream_tbENKUlT_T0_E_clISt17integral_constantIbLb0EEST_IbLb1EEEEDaSP_SQ_EUlSP_E_NS1_11comp_targetILNS1_3genE4ELNS1_11target_archE910ELNS1_3gpuE8ELNS1_3repE0EEENS1_30default_config_static_selectorELNS0_4arch9wavefront6targetE1EEEvT1_
	.globl	_ZN7rocprim17ROCPRIM_400000_NS6detail17trampoline_kernelINS0_14default_configENS1_20scan_config_selectorIdEEZZNS1_9scan_implILNS1_25lookback_scan_determinismE0ELb0ELb0ES3_N6thrust23THRUST_200600_302600_NS6detail15normal_iteratorINS9_10device_ptrIdEEEESE_dNS9_4plusIvEEdEEDaPvRmT3_T4_T5_mT6_P12ihipStream_tbENKUlT_T0_E_clISt17integral_constantIbLb0EEST_IbLb1EEEEDaSP_SQ_EUlSP_E_NS1_11comp_targetILNS1_3genE4ELNS1_11target_archE910ELNS1_3gpuE8ELNS1_3repE0EEENS1_30default_config_static_selectorELNS0_4arch9wavefront6targetE1EEEvT1_
	.p2align	8
	.type	_ZN7rocprim17ROCPRIM_400000_NS6detail17trampoline_kernelINS0_14default_configENS1_20scan_config_selectorIdEEZZNS1_9scan_implILNS1_25lookback_scan_determinismE0ELb0ELb0ES3_N6thrust23THRUST_200600_302600_NS6detail15normal_iteratorINS9_10device_ptrIdEEEESE_dNS9_4plusIvEEdEEDaPvRmT3_T4_T5_mT6_P12ihipStream_tbENKUlT_T0_E_clISt17integral_constantIbLb0EEST_IbLb1EEEEDaSP_SQ_EUlSP_E_NS1_11comp_targetILNS1_3genE4ELNS1_11target_archE910ELNS1_3gpuE8ELNS1_3repE0EEENS1_30default_config_static_selectorELNS0_4arch9wavefront6targetE1EEEvT1_,@function
_ZN7rocprim17ROCPRIM_400000_NS6detail17trampoline_kernelINS0_14default_configENS1_20scan_config_selectorIdEEZZNS1_9scan_implILNS1_25lookback_scan_determinismE0ELb0ELb0ES3_N6thrust23THRUST_200600_302600_NS6detail15normal_iteratorINS9_10device_ptrIdEEEESE_dNS9_4plusIvEEdEEDaPvRmT3_T4_T5_mT6_P12ihipStream_tbENKUlT_T0_E_clISt17integral_constantIbLb0EEST_IbLb1EEEEDaSP_SQ_EUlSP_E_NS1_11comp_targetILNS1_3genE4ELNS1_11target_archE910ELNS1_3gpuE8ELNS1_3repE0EEENS1_30default_config_static_selectorELNS0_4arch9wavefront6targetE1EEEvT1_: ; @_ZN7rocprim17ROCPRIM_400000_NS6detail17trampoline_kernelINS0_14default_configENS1_20scan_config_selectorIdEEZZNS1_9scan_implILNS1_25lookback_scan_determinismE0ELb0ELb0ES3_N6thrust23THRUST_200600_302600_NS6detail15normal_iteratorINS9_10device_ptrIdEEEESE_dNS9_4plusIvEEdEEDaPvRmT3_T4_T5_mT6_P12ihipStream_tbENKUlT_T0_E_clISt17integral_constantIbLb0EEST_IbLb1EEEEDaSP_SQ_EUlSP_E_NS1_11comp_targetILNS1_3genE4ELNS1_11target_archE910ELNS1_3gpuE8ELNS1_3repE0EEENS1_30default_config_static_selectorELNS0_4arch9wavefront6targetE1EEEvT1_
; %bb.0:
	s_load_dwordx2 s[14:15], s[4:5], 0x30
	v_cmp_ne_u32_e64 s[0:1], 0, v0
	v_cmp_eq_u32_e64 s[2:3], 0, v0
	s_and_saveexec_b64 s[6:7], s[2:3]
	s_cbranch_execz .LBB4198_4
; %bb.1:
	s_mov_b64 s[10:11], exec
	v_mbcnt_lo_u32_b32 v1, s10, 0
	v_mbcnt_hi_u32_b32 v1, s11, v1
	v_cmp_eq_u32_e32 vcc, 0, v1
                                        ; implicit-def: $vgpr2
	s_and_saveexec_b64 s[8:9], vcc
	s_cbranch_execz .LBB4198_3
; %bb.2:
	s_load_dwordx2 s[12:13], s[4:5], 0x60
	s_bcnt1_i32_b64 s10, s[10:11]
	v_mov_b32_e32 v2, 0
	v_mov_b32_e32 v3, s10
	s_waitcnt lgkmcnt(0)
	global_atomic_add v2, v2, v3, s[12:13] glc
.LBB4198_3:
	s_or_b64 exec, exec, s[8:9]
	s_waitcnt vmcnt(0)
	v_readfirstlane_b32 s8, v2
	v_add_u32_e32 v1, s8, v1
	v_mov_b32_e32 v2, 0
	ds_write_b32 v2, v1
.LBB4198_4:
	s_or_b64 exec, exec, s[6:7]
	s_load_dwordx8 s[24:31], s[4:5], 0x0
	s_load_dword s6, s[4:5], 0x38
	s_load_dwordx8 s[16:23], s[4:5], 0x40
	v_mov_b32_e32 v1, 0
	s_waitcnt lgkmcnt(0)
	s_barrier
	ds_read_b32 v1, v1
	s_lshl_b64 s[26:27], s[26:27], 3
	s_add_u32 s7, s24, s26
	s_addc_u32 s8, s25, s27
	s_add_i32 s6, s6, -1
	s_mul_i32 s9, s6, 0x500
	s_sub_u32 s33, s30, s9
	s_waitcnt lgkmcnt(0)
	v_readfirstlane_b32 s37, v1
	s_subb_u32 s36, s31, 0
	s_mul_i32 s4, s37, 0x500
	s_mov_b32 s5, 0
	s_cmp_lg_u32 s37, s6
	s_cselect_b64 s[24:25], -1, 0
	s_lshl_b64 s[30:31], s[4:5], 3
	s_add_u32 s6, s7, s30
	s_addc_u32 s7, s8, s31
	s_mov_b64 s[4:5], -1
	s_and_b64 vcc, exec, s[24:25]
	v_lshlrev_b32_e32 v48, 3, v0
	s_barrier
	s_cbranch_vccz .LBB4198_6
; %bb.5:
	v_mov_b32_e32 v1, s7
	v_add_co_u32_e32 v2, vcc, s6, v48
	v_addc_co_u32_e32 v3, vcc, 0, v1, vcc
	v_add_co_u32_e32 v12, vcc, 0x1000, v2
	v_addc_co_u32_e32 v13, vcc, 0, v3, vcc
	flat_load_dwordx2 v[4:5], v[2:3]
	flat_load_dwordx2 v[6:7], v[2:3] offset:1024
	flat_load_dwordx2 v[8:9], v[2:3] offset:2048
	;; [unrolled: 1-line block ×3, first 2 shown]
	v_add_co_u32_e32 v2, vcc, 0x2000, v2
	v_addc_co_u32_e32 v3, vcc, 0, v3, vcc
	flat_load_dwordx2 v[14:15], v[12:13]
	flat_load_dwordx2 v[16:17], v[12:13] offset:1024
	flat_load_dwordx2 v[18:19], v[12:13] offset:2048
	;; [unrolled: 1-line block ×3, first 2 shown]
	s_nop 0
	flat_load_dwordx2 v[12:13], v[2:3]
	flat_load_dwordx2 v[22:23], v[2:3] offset:1024
	s_mov_b64 s[4:5], 0
	s_waitcnt vmcnt(0) lgkmcnt(0)
	ds_write2st64_b64 v48, v[4:5], v[6:7] offset1:2
	ds_write2st64_b64 v48, v[8:9], v[10:11] offset0:4 offset1:6
	ds_write2st64_b64 v48, v[14:15], v[16:17] offset0:8 offset1:10
	;; [unrolled: 1-line block ×4, first 2 shown]
	s_waitcnt lgkmcnt(0)
	s_barrier
.LBB4198_6:
	s_andn2_b64 vcc, exec, s[4:5]
	v_cmp_gt_u32_e64 s[4:5], s33, v0
	s_cbranch_vccnz .LBB4198_28
; %bb.7:
	v_pk_mov_b32 v[2:3], s[6:7], s[6:7] op_sel:[0,1]
	flat_load_dwordx2 v[2:3], v[2:3]
	s_waitcnt vmcnt(0) lgkmcnt(0)
	v_mov_b32_e32 v4, v2
	v_mov_b32_e32 v5, v3
	;; [unrolled: 1-line block ×16, first 2 shown]
	v_pk_mov_b32 v[34:35], v[30:31], v[30:31] op_sel:[0,1]
	v_pk_mov_b32 v[32:33], v[28:29], v[28:29] op_sel:[0,1]
	;; [unrolled: 1-line block ×16, first 2 shown]
	s_and_saveexec_b64 s[8:9], s[4:5]
	s_cbranch_execz .LBB4198_9
; %bb.8:
	v_mov_b32_e32 v1, s7
	v_add_co_u32_e32 v4, vcc, s6, v48
	v_addc_co_u32_e32 v5, vcc, 0, v1, vcc
	flat_load_dwordx2 v[36:37], v[4:5]
	v_mov_b32_e32 v4, v2
	v_mov_b32_e32 v5, v3
	;; [unrolled: 1-line block ×16, first 2 shown]
	v_pk_mov_b32 v[34:35], v[30:31], v[30:31] op_sel:[0,1]
	v_pk_mov_b32 v[32:33], v[28:29], v[28:29] op_sel:[0,1]
	;; [unrolled: 1-line block ×16, first 2 shown]
	s_waitcnt vmcnt(0) lgkmcnt(0)
	v_pk_mov_b32 v[2:3], v[36:37], v[36:37] op_sel:[0,1]
.LBB4198_9:
	s_or_b64 exec, exec, s[8:9]
	v_or_b32_e32 v1, 0x80, v0
	v_cmp_gt_u32_e32 vcc, s33, v1
	s_and_saveexec_b64 s[4:5], vcc
	s_cbranch_execz .LBB4198_11
; %bb.10:
	v_mov_b32_e32 v1, s7
	v_add_co_u32_e32 v4, vcc, s6, v48
	v_addc_co_u32_e32 v5, vcc, 0, v1, vcc
	flat_load_dwordx2 v[6:7], v[4:5] offset:1024
.LBB4198_11:
	s_or_b64 exec, exec, s[4:5]
	v_or_b32_e32 v1, 0x100, v0
	v_cmp_gt_u32_e32 vcc, s33, v1
	s_and_saveexec_b64 s[4:5], vcc
	s_cbranch_execz .LBB4198_13
; %bb.12:
	v_mov_b32_e32 v1, s7
	v_add_co_u32_e32 v4, vcc, s6, v48
	v_addc_co_u32_e32 v5, vcc, 0, v1, vcc
	flat_load_dwordx2 v[8:9], v[4:5] offset:2048
.LBB4198_13:
	;; [unrolled: 11-line block ×3, first 2 shown]
	s_or_b64 exec, exec, s[4:5]
	v_or_b32_e32 v1, 0x200, v0
	v_cmp_gt_u32_e32 vcc, s33, v1
	s_and_saveexec_b64 s[4:5], vcc
	s_cbranch_execz .LBB4198_17
; %bb.16:
	v_lshlrev_b32_e32 v1, 3, v1
	v_mov_b32_e32 v5, s7
	v_add_co_u32_e32 v4, vcc, s6, v1
	v_addc_co_u32_e32 v5, vcc, 0, v5, vcc
	flat_load_dwordx2 v[12:13], v[4:5]
.LBB4198_17:
	s_or_b64 exec, exec, s[4:5]
	v_or_b32_e32 v1, 0x280, v0
	v_cmp_gt_u32_e32 vcc, s33, v1
	s_and_saveexec_b64 s[4:5], vcc
	s_cbranch_execz .LBB4198_19
; %bb.18:
	v_lshlrev_b32_e32 v1, 3, v1
	v_mov_b32_e32 v5, s7
	v_add_co_u32_e32 v4, vcc, s6, v1
	v_addc_co_u32_e32 v5, vcc, 0, v5, vcc
	flat_load_dwordx2 v[14:15], v[4:5]
.LBB4198_19:
	;; [unrolled: 12-line block ×6, first 2 shown]
	s_or_b64 exec, exec, s[4:5]
	s_waitcnt vmcnt(0) lgkmcnt(0)
	ds_write2st64_b64 v48, v[2:3], v[6:7] offset1:2
	ds_write2st64_b64 v48, v[8:9], v[10:11] offset0:4 offset1:6
	ds_write2st64_b64 v48, v[12:13], v[14:15] offset0:8 offset1:10
	;; [unrolled: 1-line block ×4, first 2 shown]
	s_waitcnt lgkmcnt(0)
	s_barrier
.LBB4198_28:
	v_mul_u32_u24_e32 v49, 10, v0
	v_lshlrev_b32_e32 v50, 3, v49
	ds_read_b128 v[2:5], v50
	ds_read_b128 v[14:17], v50 offset:16
	ds_read_b128 v[10:13], v50 offset:32
	;; [unrolled: 1-line block ×4, first 2 shown]
	s_cmp_lg_u32 s37, 0
	v_mbcnt_lo_u32_b32 v1, -1, 0
	s_waitcnt lgkmcnt(0)
	s_barrier
	s_cbranch_scc0 .LBB4198_57
; %bb.29:
	v_add_f64 v[22:23], v[2:3], v[4:5]
	v_add_f64 v[22:23], v[14:15], v[22:23]
	;; [unrolled: 1-line block ×9, first 2 shown]
	v_mbcnt_hi_u32_b32 v33, -1, v1
	v_and_b32_e32 v28, 15, v33
	v_mov_b32_dpp v24, v22 row_shr:1 row_mask:0xf bank_mask:0xf
	v_mov_b32_dpp v25, v23 row_shr:1 row_mask:0xf bank_mask:0xf
	v_add_f64 v[24:25], v[22:23], v[24:25]
	v_cmp_eq_u32_e32 vcc, 0, v28
	v_cndmask_b32_e32 v24, v24, v22, vcc
	v_cndmask_b32_e32 v25, v25, v23, vcc
	v_cmp_lt_u32_e32 vcc, 1, v28
	v_mov_b32_dpp v26, v24 row_shr:2 row_mask:0xf bank_mask:0xf
	v_mov_b32_dpp v27, v25 row_shr:2 row_mask:0xf bank_mask:0xf
	v_add_f64 v[26:27], v[24:25], v[26:27]
	v_cndmask_b32_e32 v24, v24, v26, vcc
	v_cndmask_b32_e32 v25, v25, v27, vcc
	v_cmp_lt_u32_e32 vcc, 3, v28
	v_mov_b32_dpp v26, v24 row_shr:4 row_mask:0xf bank_mask:0xf
	v_mov_b32_dpp v27, v25 row_shr:4 row_mask:0xf bank_mask:0xf
	v_add_f64 v[26:27], v[24:25], v[26:27]
	;; [unrolled: 6-line block ×3, first 2 shown]
	v_cndmask_b32_e32 v24, v24, v26, vcc
	v_cndmask_b32_e32 v25, v25, v27, vcc
	v_and_b32_e32 v30, 16, v33
	v_mov_b32_dpp v26, v24 row_bcast:15 row_mask:0xf bank_mask:0xf
	v_mov_b32_dpp v27, v25 row_bcast:15 row_mask:0xf bank_mask:0xf
	v_add_f64 v[28:29], v[24:25], v[26:27]
	v_cmp_eq_u32_e32 vcc, 0, v30
	v_cndmask_b32_e32 v27, v29, v25, vcc
	v_cndmask_b32_e32 v26, v28, v24, vcc
	v_cmp_eq_u32_e64 s[4:5], 0, v33
	v_mov_b32_dpp v27, v27 row_bcast:31 row_mask:0xf bank_mask:0xf
	v_mov_b32_dpp v26, v26 row_bcast:31 row_mask:0xf bank_mask:0xf
	v_cmp_ne_u32_e64 s[6:7], 0, v33
	s_and_saveexec_b64 s[8:9], s[6:7]
; %bb.30:
	v_cndmask_b32_e32 v23, v29, v25, vcc
	v_cndmask_b32_e32 v22, v28, v24, vcc
	v_add_f64 v[24:25], v[22:23], v[26:27]
	v_cmp_lt_u32_e32 vcc, 31, v33
	v_cndmask_b32_e32 v23, v23, v25, vcc
	v_cndmask_b32_e32 v22, v22, v24, vcc
; %bb.31:
	s_or_b64 exec, exec, s[8:9]
	v_or_b32_e32 v25, 63, v0
	v_lshrrev_b32_e32 v24, 6, v0
	v_cmp_eq_u32_e32 vcc, v25, v0
	s_and_saveexec_b64 s[6:7], vcc
	s_cbranch_execz .LBB4198_33
; %bb.32:
	v_lshlrev_b32_e32 v25, 3, v24
	ds_write_b64 v25, v[22:23]
.LBB4198_33:
	s_or_b64 exec, exec, s[6:7]
	v_cmp_gt_u32_e32 vcc, 2, v0
	s_waitcnt lgkmcnt(0)
	s_barrier
	s_and_saveexec_b64 s[6:7], vcc
	s_cbranch_execz .LBB4198_35
; %bb.34:
	ds_read_b64 v[26:27], v48
	v_and_b32_e32 v25, 1, v33
	v_cmp_eq_u32_e32 vcc, 0, v25
	s_waitcnt lgkmcnt(0)
	v_mov_b32_dpp v28, v26 row_shr:1 row_mask:0xf bank_mask:0xf
	v_mov_b32_dpp v29, v27 row_shr:1 row_mask:0xf bank_mask:0xf
	v_add_f64 v[28:29], v[26:27], v[28:29]
	v_cndmask_b32_e32 v27, v29, v27, vcc
	v_cndmask_b32_e32 v26, v28, v26, vcc
	ds_write_b64 v48, v[26:27]
.LBB4198_35:
	s_or_b64 exec, exec, s[6:7]
	v_cmp_gt_u32_e32 vcc, 64, v0
	v_cmp_lt_u32_e64 s[6:7], 63, v0
	s_waitcnt lgkmcnt(0)
	s_barrier
	s_waitcnt lgkmcnt(0)
                                        ; implicit-def: $vgpr30_vgpr31
	s_and_saveexec_b64 s[8:9], s[6:7]
	s_cbranch_execz .LBB4198_37
; %bb.36:
	v_lshl_add_u32 v24, v24, 3, -8
	ds_read_b64 v[30:31], v24
	s_waitcnt lgkmcnt(0)
	v_add_f64 v[22:23], v[22:23], v[30:31]
.LBB4198_37:
	s_or_b64 exec, exec, s[8:9]
	v_add_u32_e32 v24, -1, v33
	v_and_b32_e32 v25, 64, v33
	v_cmp_lt_i32_e64 s[6:7], v24, v25
	v_cndmask_b32_e64 v24, v24, v33, s[6:7]
	v_lshlrev_b32_e32 v24, 2, v24
	ds_bpermute_b32 v38, v24, v22
	ds_bpermute_b32 v39, v24, v23
	s_and_saveexec_b64 s[34:35], vcc
	s_cbranch_execz .LBB4198_56
; %bb.38:
	v_mov_b32_e32 v25, 0
	ds_read_b64 v[22:23], v25 offset:8
	s_and_saveexec_b64 s[6:7], s[4:5]
	s_cbranch_execz .LBB4198_40
; %bb.39:
	s_add_i32 s8, s37, 64
	s_mov_b32 s9, 0
	s_lshl_b64 s[8:9], s[8:9], 4
	s_add_u32 s8, s14, s8
	s_addc_u32 s9, s15, s9
	v_mov_b32_e32 v24, 1
	v_pk_mov_b32 v[26:27], s[8:9], s[8:9] op_sel:[0,1]
	s_waitcnt lgkmcnt(0)
	;;#ASMSTART
	global_store_dwordx4 v[26:27], v[22:25] off	
s_waitcnt vmcnt(0)
	;;#ASMEND
.LBB4198_40:
	s_or_b64 exec, exec, s[6:7]
	v_xad_u32 v32, v33, -1, s37
	v_add_u32_e32 v24, 64, v32
	v_lshlrev_b64 v[26:27], 4, v[24:25]
	v_mov_b32_e32 v24, s15
	v_add_co_u32_e32 v34, vcc, s14, v26
	v_addc_co_u32_e32 v35, vcc, v24, v27, vcc
	;;#ASMSTART
	global_load_dwordx4 v[26:29], v[34:35] off glc	
s_waitcnt vmcnt(0)
	;;#ASMEND
	v_and_b32_e32 v24, 0xff, v27
	v_and_b32_e32 v29, 0xff00, v27
	v_or3_b32 v24, 0, v24, v29
	v_or3_b32 v26, v26, 0, 0
	v_and_b32_e32 v29, 0xff000000, v27
	v_and_b32_e32 v27, 0xff0000, v27
	v_or3_b32 v27, v24, v27, v29
	v_or3_b32 v26, v26, 0, 0
	v_cmp_eq_u16_sdwa s[8:9], v28, v25 src0_sel:BYTE_0 src1_sel:DWORD
	s_and_saveexec_b64 s[6:7], s[8:9]
	s_cbranch_execz .LBB4198_44
; %bb.41:
	s_mov_b64 s[8:9], 0
	v_mov_b32_e32 v24, 0
.LBB4198_42:                            ; =>This Inner Loop Header: Depth=1
	;;#ASMSTART
	global_load_dwordx4 v[26:29], v[34:35] off glc	
s_waitcnt vmcnt(0)
	;;#ASMEND
	v_cmp_ne_u16_sdwa s[10:11], v28, v24 src0_sel:BYTE_0 src1_sel:DWORD
	s_or_b64 s[8:9], s[10:11], s[8:9]
	s_andn2_b64 exec, exec, s[8:9]
	s_cbranch_execnz .LBB4198_42
; %bb.43:
	s_or_b64 exec, exec, s[8:9]
.LBB4198_44:
	s_or_b64 exec, exec, s[6:7]
	v_and_b32_e32 v41, 63, v33
	v_cmp_ne_u32_e32 vcc, 63, v41
	v_mov_b32_e32 v40, 2
	v_addc_co_u32_e32 v34, vcc, 0, v33, vcc
	v_cmp_eq_u16_sdwa s[6:7], v28, v40 src0_sel:BYTE_0 src1_sel:DWORD
	v_lshlrev_b64 v[24:25], v33, -1
	v_lshlrev_b32_e32 v42, 2, v34
	v_and_b32_e32 v29, s7, v25
	ds_bpermute_b32 v34, v42, v26
	ds_bpermute_b32 v35, v42, v27
	v_or_b32_e32 v29, 0x80000000, v29
	v_and_b32_e32 v36, s6, v24
	v_ffbl_b32_e32 v29, v29
	v_add_u32_e32 v29, 32, v29
	v_ffbl_b32_e32 v36, v36
	v_cmp_gt_u32_e64 s[6:7], 62, v41
	v_min_u32_e32 v29, v36, v29
	v_cndmask_b32_e64 v36, 0, 1, s[6:7]
	s_waitcnt lgkmcnt(0)
	v_add_f64 v[34:35], v[26:27], v[34:35]
	v_cmp_lt_u32_e32 vcc, v41, v29
	v_lshlrev_b32_e32 v36, 1, v36
	v_cndmask_b32_e32 v34, v26, v34, vcc
	v_cndmask_b32_e32 v35, v27, v35, vcc
	v_add_lshl_u32 v43, v36, v33, 2
	ds_bpermute_b32 v36, v43, v34
	ds_bpermute_b32 v37, v43, v35
	v_add_u32_e32 v44, 2, v41
	v_cmp_gt_u32_e64 s[6:7], v44, v29
	v_cmp_gt_u32_e64 s[8:9], 56, v41
	v_add_u32_e32 v46, 4, v41
	s_waitcnt lgkmcnt(0)
	v_add_f64 v[36:37], v[34:35], v[36:37]
	v_cndmask_b32_e64 v34, v36, v34, s[6:7]
	v_cndmask_b32_e64 v35, v37, v35, s[6:7]
	v_cmp_gt_u32_e64 s[6:7], 60, v41
	v_cndmask_b32_e64 v36, 0, 1, s[6:7]
	v_lshlrev_b32_e32 v36, 2, v36
	v_add_lshl_u32 v45, v36, v33, 2
	ds_bpermute_b32 v36, v45, v34
	ds_bpermute_b32 v37, v45, v35
	v_cndmask_b32_e64 v47, 0, 1, s[8:9]
	v_cmp_gt_u32_e64 s[6:7], v46, v29
	v_lshlrev_b32_e32 v47, 3, v47
	v_add_lshl_u32 v47, v47, v33, 2
	s_waitcnt lgkmcnt(0)
	v_add_f64 v[36:37], v[34:35], v[36:37]
	v_cndmask_b32_e64 v52, v36, v34, s[6:7]
	v_cndmask_b32_e64 v53, v37, v35, s[6:7]
	ds_bpermute_b32 v54, v47, v52
	ds_bpermute_b32 v55, v47, v53
	v_add_u32_e32 v51, 8, v41
	v_cmp_gt_u32_e64 s[8:9], v51, v29
	v_cmp_gt_u32_e64 s[10:11], 48, v41
	;; [unrolled: 1-line block ×3, first 2 shown]
	s_waitcnt lgkmcnt(0)
	v_add_f64 v[56:57], v[52:53], v[54:55]
	v_cndmask_b32_e64 v54, v56, v52, s[8:9]
	v_cndmask_b32_e64 v52, 0, 1, s[10:11]
	v_lshlrev_b32_e32 v52, 4, v52
	v_cndmask_b32_e64 v55, v57, v53, s[8:9]
	v_add_lshl_u32 v52, v52, v33, 2
	ds_bpermute_b32 v58, v52, v54
	ds_bpermute_b32 v59, v52, v55
	v_add_u32_e32 v53, 16, v41
	v_cmp_gt_u32_e64 s[10:11], v53, v29
	v_cndmask_b32_e32 v27, v27, v35, vcc
	v_cndmask_b32_e32 v26, v26, v34, vcc
	s_waitcnt lgkmcnt(0)
	v_add_f64 v[58:59], v[54:55], v[58:59]
	v_cndmask_b32_e64 v60, v58, v54, s[10:11]
	v_cndmask_b32_e64 v54, 0, 1, s[12:13]
	v_lshlrev_b32_e32 v54, 5, v54
	v_add_lshl_u32 v54, v54, v33, 2
	v_cndmask_b32_e64 v61, v59, v55, s[10:11]
	ds_bpermute_b32 v62, v54, v60
	ds_bpermute_b32 v63, v54, v61
	v_cndmask_b32_e64 v26, v36, v26, s[6:7]
	v_cndmask_b32_e64 v27, v37, v27, s[6:7]
	v_add_u32_e32 v55, 32, v41
	v_cndmask_b32_e64 v27, v57, v27, s[8:9]
	v_cndmask_b32_e64 v26, v56, v26, s[8:9]
	s_waitcnt lgkmcnt(0)
	v_add_f64 v[60:61], v[60:61], v[62:63]
	v_cndmask_b32_e64 v26, v58, v26, s[10:11]
	v_cndmask_b32_e64 v27, v59, v27, s[10:11]
	v_cmp_gt_u32_e32 vcc, v55, v29
	v_cndmask_b32_e32 v27, v61, v27, vcc
	v_cndmask_b32_e32 v26, v60, v26, vcc
	v_mov_b32_e32 v33, 0
	s_branch .LBB4198_46
.LBB4198_45:                            ;   in Loop: Header=BB4198_46 Depth=1
	s_or_b64 exec, exec, s[6:7]
	v_cmp_eq_u16_sdwa s[6:7], v28, v40 src0_sel:BYTE_0 src1_sel:DWORD
	v_and_b32_e32 v29, s7, v25
	ds_bpermute_b32 v36, v42, v26
	ds_bpermute_b32 v37, v42, v27
	v_or_b32_e32 v29, 0x80000000, v29
	v_and_b32_e32 v56, s6, v24
	v_ffbl_b32_e32 v29, v29
	v_add_u32_e32 v29, 32, v29
	v_ffbl_b32_e32 v56, v56
	v_min_u32_e32 v29, v56, v29
	s_waitcnt lgkmcnt(0)
	v_add_f64 v[36:37], v[26:27], v[36:37]
	v_cmp_lt_u32_e32 vcc, v41, v29
	v_cndmask_b32_e32 v36, v26, v36, vcc
	v_cndmask_b32_e32 v37, v27, v37, vcc
	ds_bpermute_b32 v56, v43, v36
	ds_bpermute_b32 v57, v43, v37
	v_cmp_gt_u32_e64 s[6:7], v44, v29
	v_cmp_gt_u32_e64 s[8:9], v51, v29
	v_cmp_gt_u32_e64 s[10:11], v53, v29
	v_subrev_u32_e32 v32, 64, v32
	s_waitcnt lgkmcnt(0)
	v_add_f64 v[56:57], v[36:37], v[56:57]
	v_cndmask_b32_e64 v36, v56, v36, s[6:7]
	v_cndmask_b32_e64 v37, v57, v37, s[6:7]
	ds_bpermute_b32 v56, v45, v36
	ds_bpermute_b32 v57, v45, v37
	v_cmp_gt_u32_e64 s[6:7], v46, v29
	v_cndmask_b32_e32 v27, v27, v37, vcc
	v_cndmask_b32_e32 v26, v26, v36, vcc
	v_cmp_gt_u32_e32 vcc, v55, v29
	s_waitcnt lgkmcnt(0)
	v_add_f64 v[56:57], v[36:37], v[56:57]
	v_cndmask_b32_e64 v58, v56, v36, s[6:7]
	v_cndmask_b32_e64 v59, v57, v37, s[6:7]
	ds_bpermute_b32 v60, v47, v58
	ds_bpermute_b32 v61, v47, v59
	v_cndmask_b32_e64 v26, v56, v26, s[6:7]
	v_cndmask_b32_e64 v27, v57, v27, s[6:7]
	s_waitcnt lgkmcnt(0)
	v_add_f64 v[60:61], v[58:59], v[60:61]
	v_cndmask_b32_e64 v58, v60, v58, s[8:9]
	v_cndmask_b32_e64 v59, v61, v59, s[8:9]
	ds_bpermute_b32 v62, v52, v58
	ds_bpermute_b32 v63, v52, v59
	v_cndmask_b32_e64 v27, v61, v27, s[8:9]
	v_cndmask_b32_e64 v26, v60, v26, s[8:9]
	;; [unrolled: 8-line block ×3, first 2 shown]
	s_waitcnt lgkmcnt(0)
	v_add_f64 v[58:59], v[58:59], v[64:65]
	v_cndmask_b32_e32 v27, v59, v27, vcc
	v_cndmask_b32_e32 v26, v58, v26, vcc
	v_add_f64 v[26:27], v[34:35], v[26:27]
.LBB4198_46:                            ; =>This Loop Header: Depth=1
                                        ;     Child Loop BB4198_49 Depth 2
	v_cmp_ne_u16_sdwa s[6:7], v28, v40 src0_sel:BYTE_0 src1_sel:DWORD
	v_cndmask_b32_e64 v28, 0, 1, s[6:7]
	;;#ASMSTART
	;;#ASMEND
	v_cmp_ne_u32_e32 vcc, 0, v28
	s_cmp_lg_u64 vcc, exec
	v_pk_mov_b32 v[34:35], v[26:27], v[26:27] op_sel:[0,1]
	s_cbranch_scc1 .LBB4198_51
; %bb.47:                               ;   in Loop: Header=BB4198_46 Depth=1
	v_lshlrev_b64 v[26:27], 4, v[32:33]
	v_mov_b32_e32 v28, s15
	v_add_co_u32_e32 v36, vcc, s14, v26
	v_addc_co_u32_e32 v37, vcc, v28, v27, vcc
	;;#ASMSTART
	global_load_dwordx4 v[26:29], v[36:37] off glc	
s_waitcnt vmcnt(0)
	;;#ASMEND
	v_and_b32_e32 v29, 0xff, v27
	v_and_b32_e32 v56, 0xff00, v27
	v_or3_b32 v29, 0, v29, v56
	v_or3_b32 v26, v26, 0, 0
	v_and_b32_e32 v56, 0xff000000, v27
	v_and_b32_e32 v27, 0xff0000, v27
	v_or3_b32 v27, v29, v27, v56
	v_or3_b32 v26, v26, 0, 0
	v_cmp_eq_u16_sdwa s[8:9], v28, v33 src0_sel:BYTE_0 src1_sel:DWORD
	s_and_saveexec_b64 s[6:7], s[8:9]
	s_cbranch_execz .LBB4198_45
; %bb.48:                               ;   in Loop: Header=BB4198_46 Depth=1
	s_mov_b64 s[8:9], 0
.LBB4198_49:                            ;   Parent Loop BB4198_46 Depth=1
                                        ; =>  This Inner Loop Header: Depth=2
	;;#ASMSTART
	global_load_dwordx4 v[26:29], v[36:37] off glc	
s_waitcnt vmcnt(0)
	;;#ASMEND
	v_cmp_ne_u16_sdwa s[10:11], v28, v33 src0_sel:BYTE_0 src1_sel:DWORD
	s_or_b64 s[8:9], s[10:11], s[8:9]
	s_andn2_b64 exec, exec, s[8:9]
	s_cbranch_execnz .LBB4198_49
; %bb.50:                               ;   in Loop: Header=BB4198_46 Depth=1
	s_or_b64 exec, exec, s[8:9]
	s_branch .LBB4198_45
.LBB4198_51:                            ;   in Loop: Header=BB4198_46 Depth=1
                                        ; implicit-def: $vgpr26_vgpr27
                                        ; implicit-def: $vgpr28
	s_cbranch_execz .LBB4198_46
; %bb.52:
	s_and_saveexec_b64 s[6:7], s[4:5]
	s_cbranch_execz .LBB4198_54
; %bb.53:
	s_add_i32 s8, s37, 64
	s_mov_b32 s9, 0
	s_lshl_b64 s[8:9], s[8:9], 4
	s_add_u32 s8, s14, s8
	s_addc_u32 s9, s15, s9
	v_add_f64 v[22:23], v[22:23], v[34:35]
	v_mov_b32_e32 v24, 2
	v_mov_b32_e32 v25, 0
	v_pk_mov_b32 v[26:27], s[8:9], s[8:9] op_sel:[0,1]
	;;#ASMSTART
	global_store_dwordx4 v[26:27], v[22:25] off	
s_waitcnt vmcnt(0)
	;;#ASMEND
.LBB4198_54:
	s_or_b64 exec, exec, s[6:7]
	s_and_b64 exec, exec, s[2:3]
	s_cbranch_execz .LBB4198_56
; %bb.55:
	v_mov_b32_e32 v22, 0
	ds_write_b64 v22, v[34:35] offset:8
.LBB4198_56:
	s_or_b64 exec, exec, s[34:35]
	v_mov_b32_e32 v22, 0
	s_waitcnt lgkmcnt(0)
	s_barrier
	ds_read_b64 v[24:25], v22 offset:8
	v_cndmask_b32_e64 v23, v39, v31, s[4:5]
	v_cndmask_b32_e64 v22, v38, v30, s[4:5]
	v_add_f64 v[22:23], v[2:3], v[22:23]
	v_cndmask_b32_e64 v23, v23, v3, s[2:3]
	v_cndmask_b32_e64 v22, v22, v2, s[2:3]
	s_waitcnt lgkmcnt(0)
	v_add_f64 v[38:39], v[22:23], v[24:25]
	v_add_f64 v[40:41], v[4:5], v[38:39]
	;; [unrolled: 1-line block ×10, first 2 shown]
	s_branch .LBB4198_73
.LBB4198_57:
                                        ; implicit-def: $vgpr24_vgpr25
                                        ; implicit-def: $vgpr28_vgpr29
                                        ; implicit-def: $vgpr32_vgpr33
                                        ; implicit-def: $vgpr36_vgpr37
                                        ; implicit-def: $vgpr40_vgpr41
	s_cbranch_execz .LBB4198_73
; %bb.58:
	s_cmp_lg_u64 s[20:21], 0
	s_cselect_b64 s[4:5], -1, 0
	s_and_b64 s[4:5], s[2:3], s[4:5]
	s_and_saveexec_b64 s[2:3], s[4:5]
	s_cbranch_execz .LBB4198_60
; %bb.59:
	v_mov_b32_e32 v22, 0
	global_load_dwordx2 v[22:23], v22, s[16:17]
	s_waitcnt vmcnt(0)
	v_add_f64 v[2:3], v[2:3], v[22:23]
.LBB4198_60:
	s_or_b64 exec, exec, s[2:3]
	v_add_f64 v[40:41], v[2:3], v[4:5]
	v_add_f64 v[34:35], v[14:15], v[40:41]
	;; [unrolled: 1-line block ×9, first 2 shown]
	v_mbcnt_hi_u32_b32 v1, -1, v1
	v_and_b32_e32 v44, 15, v1
	v_mov_b32_dpp v38, v24 row_shr:1 row_mask:0xf bank_mask:0xf
	v_mov_b32_dpp v39, v25 row_shr:1 row_mask:0xf bank_mask:0xf
	v_add_f64 v[38:39], v[24:25], v[38:39]
	v_cmp_eq_u32_e32 vcc, 0, v44
	v_cndmask_b32_e32 v38, v38, v24, vcc
	v_cndmask_b32_e32 v39, v39, v25, vcc
	v_cmp_lt_u32_e32 vcc, 1, v44
	v_mov_b32_dpp v42, v38 row_shr:2 row_mask:0xf bank_mask:0xf
	v_mov_b32_dpp v43, v39 row_shr:2 row_mask:0xf bank_mask:0xf
	v_add_f64 v[42:43], v[38:39], v[42:43]
	v_cndmask_b32_e32 v38, v38, v42, vcc
	v_cndmask_b32_e32 v39, v39, v43, vcc
	v_cmp_lt_u32_e32 vcc, 3, v44
	v_mov_b32_dpp v42, v38 row_shr:4 row_mask:0xf bank_mask:0xf
	v_mov_b32_dpp v43, v39 row_shr:4 row_mask:0xf bank_mask:0xf
	v_add_f64 v[42:43], v[38:39], v[42:43]
	;; [unrolled: 6-line block ×3, first 2 shown]
	v_cndmask_b32_e32 v42, v38, v42, vcc
	v_cndmask_b32_e32 v43, v39, v43, vcc
	v_and_b32_e32 v44, 16, v1
	v_mov_b32_dpp v38, v42 row_bcast:15 row_mask:0xf bank_mask:0xf
	v_mov_b32_dpp v39, v43 row_bcast:15 row_mask:0xf bank_mask:0xf
	v_add_f64 v[46:47], v[42:43], v[38:39]
	v_cmp_eq_u32_e64 s[2:3], 0, v44
	v_cndmask_b32_e64 v38, v47, v43, s[2:3]
	v_cndmask_b32_e64 v39, v46, v42, s[2:3]
	v_cmp_eq_u32_e32 vcc, 0, v1
	v_mov_b32_dpp v45, v38 row_bcast:31 row_mask:0xf bank_mask:0xf
	v_mov_b32_dpp v44, v39 row_bcast:31 row_mask:0xf bank_mask:0xf
	v_cmp_ne_u32_e64 s[4:5], 0, v1
	v_pk_mov_b32 v[38:39], v[24:25], v[24:25] op_sel:[0,1]
	s_and_saveexec_b64 s[6:7], s[4:5]
; %bb.61:
	v_cndmask_b32_e64 v39, v47, v43, s[2:3]
	v_cndmask_b32_e64 v38, v46, v42, s[2:3]
	v_add_f64 v[42:43], v[38:39], v[44:45]
	v_cmp_lt_u32_e64 s[2:3], 31, v1
	v_cndmask_b32_e64 v39, v39, v43, s[2:3]
	v_cndmask_b32_e64 v38, v38, v42, s[2:3]
; %bb.62:
	s_or_b64 exec, exec, s[6:7]
	v_or_b32_e32 v42, 63, v0
	v_lshrrev_b32_e32 v44, 6, v0
	v_cmp_eq_u32_e64 s[2:3], v42, v0
	s_and_saveexec_b64 s[4:5], s[2:3]
	s_cbranch_execz .LBB4198_64
; %bb.63:
	v_lshlrev_b32_e32 v42, 3, v44
	ds_write_b64 v42, v[38:39]
.LBB4198_64:
	s_or_b64 exec, exec, s[4:5]
	v_cmp_gt_u32_e64 s[2:3], 2, v0
	s_waitcnt lgkmcnt(0)
	s_barrier
	s_and_saveexec_b64 s[4:5], s[2:3]
	s_cbranch_execz .LBB4198_66
; %bb.65:
	s_movk_i32 s2, 0xffb8
	v_mad_i32_i24 v45, v0, s2, v50
	ds_read_b64 v[42:43], v45
	v_and_b32_e32 v51, 1, v1
	v_cmp_eq_u32_e64 s[2:3], 0, v51
	s_waitcnt lgkmcnt(0)
	v_mov_b32_dpp v46, v42 row_shr:1 row_mask:0xf bank_mask:0xf
	v_mov_b32_dpp v47, v43 row_shr:1 row_mask:0xf bank_mask:0xf
	v_add_f64 v[46:47], v[42:43], v[46:47]
	v_cndmask_b32_e64 v43, v47, v43, s[2:3]
	v_cndmask_b32_e64 v42, v46, v42, s[2:3]
	ds_write_b64 v45, v[42:43]
.LBB4198_66:
	s_or_b64 exec, exec, s[4:5]
	v_cmp_lt_u32_e64 s[2:3], 63, v0
	s_waitcnt lgkmcnt(0)
	s_barrier
	s_waitcnt lgkmcnt(0)
                                        ; implicit-def: $vgpr42_vgpr43
	s_and_saveexec_b64 s[4:5], s[2:3]
	s_cbranch_execz .LBB4198_68
; %bb.67:
	v_lshl_add_u32 v42, v44, 3, -8
	ds_read_b64 v[42:43], v42
	s_waitcnt lgkmcnt(0)
	v_add_f64 v[38:39], v[38:39], v[42:43]
.LBB4198_68:
	s_or_b64 exec, exec, s[4:5]
	v_add_u32_e32 v44, -1, v1
	v_and_b32_e32 v45, 64, v1
	v_cmp_lt_i32_e64 s[2:3], v44, v45
	v_cndmask_b32_e64 v1, v44, v1, s[2:3]
	v_lshlrev_b32_e32 v44, 2, v1
	ds_bpermute_b32 v1, v44, v38
	ds_bpermute_b32 v38, v44, v39
	s_and_saveexec_b64 s[2:3], s[0:1]
	s_cbranch_execz .LBB4198_70
; %bb.69:
	s_waitcnt lgkmcnt(0)
	v_cndmask_b32_e32 v23, v38, v43, vcc
	v_cndmask_b32_e32 v22, v1, v42, vcc
	v_add_f64 v[2:3], v[2:3], v[22:23]
	v_add_f64 v[40:41], v[4:5], v[2:3]
	;; [unrolled: 1-line block ×10, first 2 shown]
	;;#ASMSTART
	;;#ASMEND
.LBB4198_70:
	s_or_b64 exec, exec, s[2:3]
	s_movk_i32 s0, 0x7f
	v_cmp_eq_u32_e32 vcc, s0, v0
	s_and_saveexec_b64 s[0:1], vcc
	s_cbranch_execz .LBB4198_72
; %bb.71:
	s_add_u32 s2, s14, 0x400
	s_addc_u32 s3, s15, 0
	v_mov_b32_e32 v6, 2
	v_mov_b32_e32 v7, 0
	;; [unrolled: 1-line block ×4, first 2 shown]
	v_pk_mov_b32 v[8:9], s[2:3], s[2:3] op_sel:[0,1]
	;;#ASMSTART
	global_store_dwordx4 v[8:9], v[4:7] off	
s_waitcnt vmcnt(0)
	;;#ASMEND
.LBB4198_72:
	s_or_b64 exec, exec, s[0:1]
	s_waitcnt lgkmcnt(0)
	v_pk_mov_b32 v[38:39], v[2:3], v[2:3] op_sel:[0,1]
.LBB4198_73:
	s_add_u32 s0, s28, s26
	s_addc_u32 s1, s29, s27
	s_add_u32 s2, s0, s30
	s_addc_u32 s3, s1, s31
	s_mov_b64 s[0:1], -1
	s_and_b64 vcc, exec, s[24:25]
	s_barrier
	s_cbranch_vccz .LBB4198_75
; %bb.74:
	ds_write_b128 v50, v[38:41]
	ds_write_b128 v50, v[34:37] offset:16
	ds_write_b128 v50, v[30:33] offset:32
	;; [unrolled: 1-line block ×4, first 2 shown]
	s_waitcnt lgkmcnt(0)
	s_barrier
	ds_read2st64_b64 v[2:5], v48 offset1:2
	ds_read2st64_b64 v[6:9], v48 offset0:4 offset1:6
	ds_read2st64_b64 v[10:13], v48 offset0:8 offset1:10
	;; [unrolled: 1-line block ×4, first 2 shown]
	v_mov_b32_e32 v1, s3
	v_add_co_u32_e32 v42, vcc, s2, v48
	v_addc_co_u32_e32 v43, vcc, 0, v1, vcc
	s_movk_i32 s0, 0x1000
	s_waitcnt lgkmcnt(4)
	flat_store_dwordx2 v[42:43], v[2:3]
	flat_store_dwordx2 v[42:43], v[4:5] offset:1024
	s_waitcnt lgkmcnt(0)
	flat_store_dwordx2 v[42:43], v[6:7] offset:2048
	flat_store_dwordx2 v[42:43], v[8:9] offset:3072
	v_add_co_u32_e32 v2, vcc, s0, v42
	v_addc_co_u32_e32 v3, vcc, 0, v43, vcc
	flat_store_dwordx2 v[2:3], v[10:11]
	flat_store_dwordx2 v[2:3], v[12:13] offset:1024
	flat_store_dwordx2 v[2:3], v[14:15] offset:2048
	;; [unrolled: 1-line block ×3, first 2 shown]
	v_add_co_u32_e32 v2, vcc, 0x2000, v42
	v_addc_co_u32_e32 v3, vcc, 0, v43, vcc
	flat_store_dwordx2 v[2:3], v[18:19]
	flat_store_dwordx2 v[2:3], v[20:21] offset:1024
	s_mov_b64 s[0:1], 0
.LBB4198_75:
	s_andn2_b64 vcc, exec, s[0:1]
	s_cbranch_vccnz .LBB4198_131
; %bb.76:
	s_movk_i32 s0, 0xffb8
	v_mad_i32_i24 v18, v0, s0, v50
	ds_write_b128 v50, v[38:41]
	ds_write_b128 v50, v[34:37] offset:16
	ds_write_b128 v50, v[30:33] offset:32
	;; [unrolled: 1-line block ×4, first 2 shown]
	s_waitcnt lgkmcnt(0)
	s_barrier
	ds_read2st64_b64 v[2:5], v18 offset1:2
	ds_read2st64_b64 v[10:13], v18 offset0:4 offset1:6
	ds_read2st64_b64 v[6:9], v18 offset0:8 offset1:10
	;; [unrolled: 1-line block ×4, first 2 shown]
	v_mov_b32_e32 v23, s3
	v_add_co_u32_e32 v22, vcc, s2, v48
	v_addc_co_u32_e32 v23, vcc, 0, v23, vcc
	v_mov_b32_e32 v1, 0
	v_cmp_gt_u32_e32 vcc, s33, v0
	s_and_saveexec_b64 s[0:1], vcc
	s_cbranch_execz .LBB4198_78
; %bb.77:
	s_waitcnt lgkmcnt(0)
	flat_store_dwordx2 v[22:23], v[2:3]
.LBB4198_78:
	s_or_b64 exec, exec, s[0:1]
	v_or_b32_e32 v24, 0x80, v0
	v_cmp_gt_u32_e32 vcc, s33, v24
	s_and_saveexec_b64 s[0:1], vcc
	s_cbranch_execz .LBB4198_80
; %bb.79:
	s_waitcnt lgkmcnt(0)
	flat_store_dwordx2 v[22:23], v[4:5] offset:1024
.LBB4198_80:
	s_or_b64 exec, exec, s[0:1]
	v_or_b32_e32 v24, 0x100, v0
	v_cmp_gt_u32_e32 vcc, s33, v24
	s_and_saveexec_b64 s[0:1], vcc
	s_cbranch_execz .LBB4198_82
; %bb.81:
	s_waitcnt lgkmcnt(0)
	flat_store_dwordx2 v[22:23], v[10:11] offset:2048
.LBB4198_82:
	;; [unrolled: 9-line block ×3, first 2 shown]
	s_or_b64 exec, exec, s[0:1]
	v_or_b32_e32 v24, 0x200, v0
	v_cmp_gt_u32_e32 vcc, s33, v24
	s_and_saveexec_b64 s[0:1], vcc
	s_cbranch_execz .LBB4198_86
; %bb.85:
	v_add_co_u32_e32 v24, vcc, 0x1000, v22
	v_addc_co_u32_e32 v25, vcc, 0, v23, vcc
	s_waitcnt lgkmcnt(0)
	flat_store_dwordx2 v[24:25], v[6:7]
.LBB4198_86:
	s_or_b64 exec, exec, s[0:1]
	v_or_b32_e32 v24, 0x280, v0
	v_cmp_gt_u32_e32 vcc, s33, v24
	s_and_saveexec_b64 s[0:1], vcc
	s_cbranch_execz .LBB4198_88
; %bb.87:
	v_add_co_u32_e32 v24, vcc, 0x1000, v22
	v_addc_co_u32_e32 v25, vcc, 0, v23, vcc
	s_waitcnt lgkmcnt(0)
	flat_store_dwordx2 v[24:25], v[8:9] offset:1024
.LBB4198_88:
	s_or_b64 exec, exec, s[0:1]
	v_or_b32_e32 v24, 0x300, v0
	v_cmp_gt_u32_e32 vcc, s33, v24
	s_and_saveexec_b64 s[0:1], vcc
	s_cbranch_execz .LBB4198_90
; %bb.89:
	v_add_co_u32_e32 v24, vcc, 0x1000, v22
	v_addc_co_u32_e32 v25, vcc, 0, v23, vcc
	s_waitcnt lgkmcnt(0)
	flat_store_dwordx2 v[24:25], v[14:15] offset:2048
.LBB4198_90:
	;; [unrolled: 11-line block ×3, first 2 shown]
	s_or_b64 exec, exec, s[0:1]
	v_or_b32_e32 v24, 0x400, v0
	v_cmp_gt_u32_e32 vcc, s33, v24
	s_and_saveexec_b64 s[0:1], vcc
	s_cbranch_execz .LBB4198_94
; %bb.93:
	v_add_co_u32_e32 v24, vcc, 0x2000, v22
	v_addc_co_u32_e32 v25, vcc, 0, v23, vcc
	s_waitcnt lgkmcnt(0)
	flat_store_dwordx2 v[24:25], v[18:19]
.LBB4198_94:
	s_or_b64 exec, exec, s[0:1]
	v_or_b32_e32 v24, 0x480, v0
	v_cmp_gt_u32_e32 vcc, s33, v24
	s_and_saveexec_b64 s[0:1], vcc
	s_cbranch_execz .LBB4198_96
; %bb.95:
	v_add_co_u32_e32 v22, vcc, 0x2000, v22
	v_addc_co_u32_e32 v23, vcc, 0, v23, vcc
	s_waitcnt lgkmcnt(0)
	flat_store_dwordx2 v[22:23], v[20:21] offset:1024
.LBB4198_96:
	s_or_b64 exec, exec, s[0:1]
	v_cmp_lt_u64_e64 s[0:1], s[22:23], 2
	s_and_b64 vcc, exec, s[0:1]
	s_cbranch_vccnz .LBB4198_131
; %bb.97:
	s_add_u32 s0, s33, -1
	s_addc_u32 s1, s36, -1
	s_add_u32 s2, 0, 0x99986000
	s_addc_u32 s3, 0, 0x59
	s_add_i32 s3, s3, 0x19999940
	s_mul_hi_u32 s7, s2, -10
	s_sub_i32 s7, s7, s2
	s_mul_i32 s8, s3, -10
	s_mul_i32 s4, s2, -10
	s_add_i32 s7, s7, s8
	s_mul_hi_u32 s5, s3, s4
	s_mul_i32 s6, s3, s4
	s_mul_i32 s9, s2, s7
	s_mul_hi_u32 s4, s2, s4
	s_mul_hi_u32 s8, s2, s7
	s_add_u32 s4, s4, s9
	s_addc_u32 s8, 0, s8
	s_add_u32 s4, s4, s6
	s_mul_hi_u32 s9, s3, s7
	s_addc_u32 s4, s8, s5
	s_addc_u32 s5, s9, 0
	s_mul_i32 s6, s3, s7
	s_add_u32 s4, s4, s6
	v_mov_b32_e32 v22, s4
	s_addc_u32 s5, 0, s5
	v_add_co_u32_e32 v22, vcc, s2, v22
	s_cmp_lg_u64 vcc, 0
	s_addc_u32 s2, s3, s5
	v_readfirstlane_b32 s5, v22
	s_mul_i32 s4, s0, s2
	s_mul_hi_u32 s6, s0, s5
	s_mul_hi_u32 s3, s0, s2
	s_add_u32 s4, s6, s4
	s_addc_u32 s3, 0, s3
	s_mul_hi_u32 s7, s1, s5
	s_mul_i32 s5, s1, s5
	s_add_u32 s4, s4, s5
	s_mul_hi_u32 s6, s1, s2
	s_addc_u32 s3, s3, s7
	s_addc_u32 s4, s6, 0
	s_mul_i32 s2, s1, s2
	s_add_u32 s2, s3, s2
	s_addc_u32 s3, 0, s4
	s_add_u32 s4, s2, 1
	s_addc_u32 s5, s3, 0
	s_add_u32 s6, s2, 2
	s_mul_i32 s8, s3, 10
	s_mul_hi_u32 s9, s2, 10
	s_addc_u32 s7, s3, 0
	s_add_i32 s9, s9, s8
	s_mul_i32 s8, s2, 10
	v_mov_b32_e32 v22, s8
	v_sub_co_u32_e32 v22, vcc, s0, v22
	s_cmp_lg_u64 vcc, 0
	s_subb_u32 s8, s1, s9
	v_subrev_co_u32_e32 v23, vcc, 10, v22
	s_cmp_lg_u64 vcc, 0
	s_subb_u32 s9, s8, 0
	v_readfirstlane_b32 s10, v23
	s_cmp_gt_u32 s10, 9
	s_cselect_b32 s10, -1, 0
	s_cmp_eq_u32 s9, 0
	s_cselect_b32 s9, s10, -1
	s_cmp_lg_u32 s9, 0
	s_cselect_b32 s4, s6, s4
	v_readfirstlane_b32 s6, v22
	s_cselect_b32 s5, s7, s5
	s_cmp_gt_u32 s6, 9
	s_cselect_b32 s6, -1, 0
	s_cmp_eq_u32 s8, 0
	s_cselect_b32 s6, s6, -1
	s_cmp_lg_u32 s6, 0
	s_cselect_b32 s3, s5, s3
	s_cselect_b32 s2, s4, s2
	v_cmp_eq_u64_e32 vcc, s[2:3], v[0:1]
	s_and_saveexec_b64 s[2:3], vcc
	s_cbranch_execz .LBB4198_131
; %bb.98:
	v_mul_hi_u32_u24_e32 v1, 10, v0
	v_mov_b32_e32 v22, s1
	v_sub_co_u32_e32 v0, vcc, s0, v49
	v_subb_co_u32_e32 v1, vcc, v22, v1, vcc
	v_cmp_lt_i64_e32 vcc, 4, v[0:1]
	s_and_saveexec_b64 s[0:1], vcc
	s_xor_b64 s[0:1], exec, s[0:1]
	s_cbranch_execz .LBB4198_116
; %bb.99:
	v_cmp_lt_i64_e32 vcc, 6, v[0:1]
	s_and_saveexec_b64 s[2:3], vcc
	s_xor_b64 s[2:3], exec, s[2:3]
	s_cbranch_execz .LBB4198_109
; %bb.100:
	;; [unrolled: 5-line block ×4, first 2 shown]
	v_mov_b32_e32 v0, 0
	s_waitcnt lgkmcnt(0)
	global_store_dwordx2 v0, v[20:21], s[18:19]
                                        ; implicit-def: $vgpr18_vgpr19_vgpr20_vgpr21
.LBB4198_103:
	s_andn2_saveexec_b64 s[6:7], s[6:7]
	s_cbranch_execz .LBB4198_105
; %bb.104:
	v_mov_b32_e32 v0, 0
	s_waitcnt lgkmcnt(0)
	global_store_dwordx2 v0, v[18:19], s[18:19]
.LBB4198_105:
	s_or_b64 exec, exec, s[6:7]
                                        ; implicit-def: $vgpr14_vgpr15_vgpr16_vgpr17
.LBB4198_106:
	s_andn2_saveexec_b64 s[4:5], s[4:5]
	s_cbranch_execz .LBB4198_108
; %bb.107:
	v_mov_b32_e32 v0, 0
	s_waitcnt lgkmcnt(0)
	global_store_dwordx2 v0, v[16:17], s[18:19]
.LBB4198_108:
	s_or_b64 exec, exec, s[4:5]
                                        ; implicit-def: $vgpr6_vgpr7_vgpr8_vgpr9
                                        ; implicit-def: $vgpr0_vgpr1
                                        ; implicit-def: $vgpr14_vgpr15_vgpr16_vgpr17
.LBB4198_109:
	s_andn2_saveexec_b64 s[2:3], s[2:3]
	s_cbranch_execz .LBB4198_115
; %bb.110:
	v_cmp_lt_i64_e32 vcc, 5, v[0:1]
	s_and_saveexec_b64 s[4:5], vcc
	s_xor_b64 s[4:5], exec, s[4:5]
	s_cbranch_execz .LBB4198_112
; %bb.111:
	v_mov_b32_e32 v0, 0
	s_waitcnt lgkmcnt(0)
	global_store_dwordx2 v0, v[14:15], s[18:19]
                                        ; implicit-def: $vgpr6_vgpr7_vgpr8_vgpr9
.LBB4198_112:
	s_andn2_saveexec_b64 s[4:5], s[4:5]
	s_cbranch_execz .LBB4198_114
; %bb.113:
	v_mov_b32_e32 v0, 0
	s_waitcnt lgkmcnt(0)
	global_store_dwordx2 v0, v[8:9], s[18:19]
.LBB4198_114:
	s_or_b64 exec, exec, s[4:5]
.LBB4198_115:
	s_or_b64 exec, exec, s[2:3]
                                        ; implicit-def: $vgpr0_vgpr1
                                        ; implicit-def: $vgpr10_vgpr11_vgpr12_vgpr13
                                        ; implicit-def: $vgpr2_vgpr3_vgpr4_vgpr5
                                        ; implicit-def: $vgpr6_vgpr7_vgpr8_vgpr9
.LBB4198_116:
	s_andn2_saveexec_b64 s[0:1], s[0:1]
	s_cbranch_execz .LBB4198_131
; %bb.117:
	v_cmp_lt_i64_e32 vcc, 2, v[0:1]
	s_and_saveexec_b64 s[0:1], vcc
	s_xor_b64 s[0:1], exec, s[0:1]
	s_cbranch_execz .LBB4198_123
; %bb.118:
	v_cmp_lt_i64_e32 vcc, 3, v[0:1]
	s_and_saveexec_b64 s[2:3], vcc
	s_xor_b64 s[2:3], exec, s[2:3]
	s_cbranch_execz .LBB4198_120
; %bb.119:
	v_mov_b32_e32 v0, 0
	s_waitcnt lgkmcnt(0)
	global_store_dwordx2 v0, v[6:7], s[18:19]
                                        ; implicit-def: $vgpr10_vgpr11_vgpr12_vgpr13
.LBB4198_120:
	s_andn2_saveexec_b64 s[2:3], s[2:3]
	s_cbranch_execz .LBB4198_122
; %bb.121:
	v_mov_b32_e32 v0, 0
	s_waitcnt lgkmcnt(0)
	global_store_dwordx2 v0, v[12:13], s[18:19]
.LBB4198_122:
	s_or_b64 exec, exec, s[2:3]
                                        ; implicit-def: $vgpr0_vgpr1
                                        ; implicit-def: $vgpr10_vgpr11_vgpr12_vgpr13
                                        ; implicit-def: $vgpr2_vgpr3_vgpr4_vgpr5
.LBB4198_123:
	s_andn2_saveexec_b64 s[0:1], s[0:1]
	s_cbranch_execz .LBB4198_131
; %bb.124:
	v_cmp_lt_i64_e32 vcc, 1, v[0:1]
	s_and_saveexec_b64 s[0:1], vcc
	s_xor_b64 s[0:1], exec, s[0:1]
	s_cbranch_execz .LBB4198_126
; %bb.125:
	v_mov_b32_e32 v0, 0
	s_waitcnt lgkmcnt(0)
	global_store_dwordx2 v0, v[10:11], s[18:19]
                                        ; implicit-def: $vgpr2_vgpr3_vgpr4_vgpr5
                                        ; implicit-def: $vgpr0_vgpr1
.LBB4198_126:
	s_andn2_saveexec_b64 s[0:1], s[0:1]
	s_cbranch_execz .LBB4198_131
; %bb.127:
	v_cmp_ne_u64_e32 vcc, 1, v[0:1]
	s_and_saveexec_b64 s[0:1], vcc
	s_xor_b64 s[0:1], exec, s[0:1]
	s_cbranch_execz .LBB4198_129
; %bb.128:
	v_mov_b32_e32 v0, 0
	s_waitcnt lgkmcnt(0)
	global_store_dwordx2 v0, v[2:3], s[18:19]
                                        ; implicit-def: $vgpr2_vgpr3_vgpr4_vgpr5
.LBB4198_129:
	s_andn2_saveexec_b64 s[0:1], s[0:1]
	s_cbranch_execz .LBB4198_131
; %bb.130:
	v_mov_b32_e32 v0, 0
	s_waitcnt lgkmcnt(0)
	global_store_dwordx2 v0, v[4:5], s[18:19]
.LBB4198_131:
	s_endpgm
	.section	.rodata,"a",@progbits
	.p2align	6, 0x0
	.amdhsa_kernel _ZN7rocprim17ROCPRIM_400000_NS6detail17trampoline_kernelINS0_14default_configENS1_20scan_config_selectorIdEEZZNS1_9scan_implILNS1_25lookback_scan_determinismE0ELb0ELb0ES3_N6thrust23THRUST_200600_302600_NS6detail15normal_iteratorINS9_10device_ptrIdEEEESE_dNS9_4plusIvEEdEEDaPvRmT3_T4_T5_mT6_P12ihipStream_tbENKUlT_T0_E_clISt17integral_constantIbLb0EEST_IbLb1EEEEDaSP_SQ_EUlSP_E_NS1_11comp_targetILNS1_3genE4ELNS1_11target_archE910ELNS1_3gpuE8ELNS1_3repE0EEENS1_30default_config_static_selectorELNS0_4arch9wavefront6targetE1EEEvT1_
		.amdhsa_group_segment_fixed_size 10240
		.amdhsa_private_segment_fixed_size 0
		.amdhsa_kernarg_size 104
		.amdhsa_user_sgpr_count 6
		.amdhsa_user_sgpr_private_segment_buffer 1
		.amdhsa_user_sgpr_dispatch_ptr 0
		.amdhsa_user_sgpr_queue_ptr 0
		.amdhsa_user_sgpr_kernarg_segment_ptr 1
		.amdhsa_user_sgpr_dispatch_id 0
		.amdhsa_user_sgpr_flat_scratch_init 0
		.amdhsa_user_sgpr_kernarg_preload_length 0
		.amdhsa_user_sgpr_kernarg_preload_offset 0
		.amdhsa_user_sgpr_private_segment_size 0
		.amdhsa_uses_dynamic_stack 0
		.amdhsa_system_sgpr_private_segment_wavefront_offset 0
		.amdhsa_system_sgpr_workgroup_id_x 1
		.amdhsa_system_sgpr_workgroup_id_y 0
		.amdhsa_system_sgpr_workgroup_id_z 0
		.amdhsa_system_sgpr_workgroup_info 0
		.amdhsa_system_vgpr_workitem_id 0
		.amdhsa_next_free_vgpr 66
		.amdhsa_next_free_sgpr 38
		.amdhsa_accum_offset 68
		.amdhsa_reserve_vcc 1
		.amdhsa_reserve_flat_scratch 0
		.amdhsa_float_round_mode_32 0
		.amdhsa_float_round_mode_16_64 0
		.amdhsa_float_denorm_mode_32 3
		.amdhsa_float_denorm_mode_16_64 3
		.amdhsa_dx10_clamp 1
		.amdhsa_ieee_mode 1
		.amdhsa_fp16_overflow 0
		.amdhsa_tg_split 0
		.amdhsa_exception_fp_ieee_invalid_op 0
		.amdhsa_exception_fp_denorm_src 0
		.amdhsa_exception_fp_ieee_div_zero 0
		.amdhsa_exception_fp_ieee_overflow 0
		.amdhsa_exception_fp_ieee_underflow 0
		.amdhsa_exception_fp_ieee_inexact 0
		.amdhsa_exception_int_div_zero 0
	.end_amdhsa_kernel
	.section	.text._ZN7rocprim17ROCPRIM_400000_NS6detail17trampoline_kernelINS0_14default_configENS1_20scan_config_selectorIdEEZZNS1_9scan_implILNS1_25lookback_scan_determinismE0ELb0ELb0ES3_N6thrust23THRUST_200600_302600_NS6detail15normal_iteratorINS9_10device_ptrIdEEEESE_dNS9_4plusIvEEdEEDaPvRmT3_T4_T5_mT6_P12ihipStream_tbENKUlT_T0_E_clISt17integral_constantIbLb0EEST_IbLb1EEEEDaSP_SQ_EUlSP_E_NS1_11comp_targetILNS1_3genE4ELNS1_11target_archE910ELNS1_3gpuE8ELNS1_3repE0EEENS1_30default_config_static_selectorELNS0_4arch9wavefront6targetE1EEEvT1_,"axG",@progbits,_ZN7rocprim17ROCPRIM_400000_NS6detail17trampoline_kernelINS0_14default_configENS1_20scan_config_selectorIdEEZZNS1_9scan_implILNS1_25lookback_scan_determinismE0ELb0ELb0ES3_N6thrust23THRUST_200600_302600_NS6detail15normal_iteratorINS9_10device_ptrIdEEEESE_dNS9_4plusIvEEdEEDaPvRmT3_T4_T5_mT6_P12ihipStream_tbENKUlT_T0_E_clISt17integral_constantIbLb0EEST_IbLb1EEEEDaSP_SQ_EUlSP_E_NS1_11comp_targetILNS1_3genE4ELNS1_11target_archE910ELNS1_3gpuE8ELNS1_3repE0EEENS1_30default_config_static_selectorELNS0_4arch9wavefront6targetE1EEEvT1_,comdat
.Lfunc_end4198:
	.size	_ZN7rocprim17ROCPRIM_400000_NS6detail17trampoline_kernelINS0_14default_configENS1_20scan_config_selectorIdEEZZNS1_9scan_implILNS1_25lookback_scan_determinismE0ELb0ELb0ES3_N6thrust23THRUST_200600_302600_NS6detail15normal_iteratorINS9_10device_ptrIdEEEESE_dNS9_4plusIvEEdEEDaPvRmT3_T4_T5_mT6_P12ihipStream_tbENKUlT_T0_E_clISt17integral_constantIbLb0EEST_IbLb1EEEEDaSP_SQ_EUlSP_E_NS1_11comp_targetILNS1_3genE4ELNS1_11target_archE910ELNS1_3gpuE8ELNS1_3repE0EEENS1_30default_config_static_selectorELNS0_4arch9wavefront6targetE1EEEvT1_, .Lfunc_end4198-_ZN7rocprim17ROCPRIM_400000_NS6detail17trampoline_kernelINS0_14default_configENS1_20scan_config_selectorIdEEZZNS1_9scan_implILNS1_25lookback_scan_determinismE0ELb0ELb0ES3_N6thrust23THRUST_200600_302600_NS6detail15normal_iteratorINS9_10device_ptrIdEEEESE_dNS9_4plusIvEEdEEDaPvRmT3_T4_T5_mT6_P12ihipStream_tbENKUlT_T0_E_clISt17integral_constantIbLb0EEST_IbLb1EEEEDaSP_SQ_EUlSP_E_NS1_11comp_targetILNS1_3genE4ELNS1_11target_archE910ELNS1_3gpuE8ELNS1_3repE0EEENS1_30default_config_static_selectorELNS0_4arch9wavefront6targetE1EEEvT1_
                                        ; -- End function
	.section	.AMDGPU.csdata,"",@progbits
; Kernel info:
; codeLenInByte = 6120
; NumSgprs: 42
; NumVgprs: 66
; NumAgprs: 0
; TotalNumVgprs: 66
; ScratchSize: 0
; MemoryBound: 0
; FloatMode: 240
; IeeeMode: 1
; LDSByteSize: 10240 bytes/workgroup (compile time only)
; SGPRBlocks: 5
; VGPRBlocks: 8
; NumSGPRsForWavesPerEU: 42
; NumVGPRsForWavesPerEU: 66
; AccumOffset: 68
; Occupancy: 3
; WaveLimiterHint : 1
; COMPUTE_PGM_RSRC2:SCRATCH_EN: 0
; COMPUTE_PGM_RSRC2:USER_SGPR: 6
; COMPUTE_PGM_RSRC2:TRAP_HANDLER: 0
; COMPUTE_PGM_RSRC2:TGID_X_EN: 1
; COMPUTE_PGM_RSRC2:TGID_Y_EN: 0
; COMPUTE_PGM_RSRC2:TGID_Z_EN: 0
; COMPUTE_PGM_RSRC2:TIDIG_COMP_CNT: 0
; COMPUTE_PGM_RSRC3_GFX90A:ACCUM_OFFSET: 16
; COMPUTE_PGM_RSRC3_GFX90A:TG_SPLIT: 0
	.section	.text._ZN7rocprim17ROCPRIM_400000_NS6detail17trampoline_kernelINS0_14default_configENS1_20scan_config_selectorIdEEZZNS1_9scan_implILNS1_25lookback_scan_determinismE0ELb0ELb0ES3_N6thrust23THRUST_200600_302600_NS6detail15normal_iteratorINS9_10device_ptrIdEEEESE_dNS9_4plusIvEEdEEDaPvRmT3_T4_T5_mT6_P12ihipStream_tbENKUlT_T0_E_clISt17integral_constantIbLb0EEST_IbLb1EEEEDaSP_SQ_EUlSP_E_NS1_11comp_targetILNS1_3genE3ELNS1_11target_archE908ELNS1_3gpuE7ELNS1_3repE0EEENS1_30default_config_static_selectorELNS0_4arch9wavefront6targetE1EEEvT1_,"axG",@progbits,_ZN7rocprim17ROCPRIM_400000_NS6detail17trampoline_kernelINS0_14default_configENS1_20scan_config_selectorIdEEZZNS1_9scan_implILNS1_25lookback_scan_determinismE0ELb0ELb0ES3_N6thrust23THRUST_200600_302600_NS6detail15normal_iteratorINS9_10device_ptrIdEEEESE_dNS9_4plusIvEEdEEDaPvRmT3_T4_T5_mT6_P12ihipStream_tbENKUlT_T0_E_clISt17integral_constantIbLb0EEST_IbLb1EEEEDaSP_SQ_EUlSP_E_NS1_11comp_targetILNS1_3genE3ELNS1_11target_archE908ELNS1_3gpuE7ELNS1_3repE0EEENS1_30default_config_static_selectorELNS0_4arch9wavefront6targetE1EEEvT1_,comdat
	.protected	_ZN7rocprim17ROCPRIM_400000_NS6detail17trampoline_kernelINS0_14default_configENS1_20scan_config_selectorIdEEZZNS1_9scan_implILNS1_25lookback_scan_determinismE0ELb0ELb0ES3_N6thrust23THRUST_200600_302600_NS6detail15normal_iteratorINS9_10device_ptrIdEEEESE_dNS9_4plusIvEEdEEDaPvRmT3_T4_T5_mT6_P12ihipStream_tbENKUlT_T0_E_clISt17integral_constantIbLb0EEST_IbLb1EEEEDaSP_SQ_EUlSP_E_NS1_11comp_targetILNS1_3genE3ELNS1_11target_archE908ELNS1_3gpuE7ELNS1_3repE0EEENS1_30default_config_static_selectorELNS0_4arch9wavefront6targetE1EEEvT1_ ; -- Begin function _ZN7rocprim17ROCPRIM_400000_NS6detail17trampoline_kernelINS0_14default_configENS1_20scan_config_selectorIdEEZZNS1_9scan_implILNS1_25lookback_scan_determinismE0ELb0ELb0ES3_N6thrust23THRUST_200600_302600_NS6detail15normal_iteratorINS9_10device_ptrIdEEEESE_dNS9_4plusIvEEdEEDaPvRmT3_T4_T5_mT6_P12ihipStream_tbENKUlT_T0_E_clISt17integral_constantIbLb0EEST_IbLb1EEEEDaSP_SQ_EUlSP_E_NS1_11comp_targetILNS1_3genE3ELNS1_11target_archE908ELNS1_3gpuE7ELNS1_3repE0EEENS1_30default_config_static_selectorELNS0_4arch9wavefront6targetE1EEEvT1_
	.globl	_ZN7rocprim17ROCPRIM_400000_NS6detail17trampoline_kernelINS0_14default_configENS1_20scan_config_selectorIdEEZZNS1_9scan_implILNS1_25lookback_scan_determinismE0ELb0ELb0ES3_N6thrust23THRUST_200600_302600_NS6detail15normal_iteratorINS9_10device_ptrIdEEEESE_dNS9_4plusIvEEdEEDaPvRmT3_T4_T5_mT6_P12ihipStream_tbENKUlT_T0_E_clISt17integral_constantIbLb0EEST_IbLb1EEEEDaSP_SQ_EUlSP_E_NS1_11comp_targetILNS1_3genE3ELNS1_11target_archE908ELNS1_3gpuE7ELNS1_3repE0EEENS1_30default_config_static_selectorELNS0_4arch9wavefront6targetE1EEEvT1_
	.p2align	8
	.type	_ZN7rocprim17ROCPRIM_400000_NS6detail17trampoline_kernelINS0_14default_configENS1_20scan_config_selectorIdEEZZNS1_9scan_implILNS1_25lookback_scan_determinismE0ELb0ELb0ES3_N6thrust23THRUST_200600_302600_NS6detail15normal_iteratorINS9_10device_ptrIdEEEESE_dNS9_4plusIvEEdEEDaPvRmT3_T4_T5_mT6_P12ihipStream_tbENKUlT_T0_E_clISt17integral_constantIbLb0EEST_IbLb1EEEEDaSP_SQ_EUlSP_E_NS1_11comp_targetILNS1_3genE3ELNS1_11target_archE908ELNS1_3gpuE7ELNS1_3repE0EEENS1_30default_config_static_selectorELNS0_4arch9wavefront6targetE1EEEvT1_,@function
_ZN7rocprim17ROCPRIM_400000_NS6detail17trampoline_kernelINS0_14default_configENS1_20scan_config_selectorIdEEZZNS1_9scan_implILNS1_25lookback_scan_determinismE0ELb0ELb0ES3_N6thrust23THRUST_200600_302600_NS6detail15normal_iteratorINS9_10device_ptrIdEEEESE_dNS9_4plusIvEEdEEDaPvRmT3_T4_T5_mT6_P12ihipStream_tbENKUlT_T0_E_clISt17integral_constantIbLb0EEST_IbLb1EEEEDaSP_SQ_EUlSP_E_NS1_11comp_targetILNS1_3genE3ELNS1_11target_archE908ELNS1_3gpuE7ELNS1_3repE0EEENS1_30default_config_static_selectorELNS0_4arch9wavefront6targetE1EEEvT1_: ; @_ZN7rocprim17ROCPRIM_400000_NS6detail17trampoline_kernelINS0_14default_configENS1_20scan_config_selectorIdEEZZNS1_9scan_implILNS1_25lookback_scan_determinismE0ELb0ELb0ES3_N6thrust23THRUST_200600_302600_NS6detail15normal_iteratorINS9_10device_ptrIdEEEESE_dNS9_4plusIvEEdEEDaPvRmT3_T4_T5_mT6_P12ihipStream_tbENKUlT_T0_E_clISt17integral_constantIbLb0EEST_IbLb1EEEEDaSP_SQ_EUlSP_E_NS1_11comp_targetILNS1_3genE3ELNS1_11target_archE908ELNS1_3gpuE7ELNS1_3repE0EEENS1_30default_config_static_selectorELNS0_4arch9wavefront6targetE1EEEvT1_
; %bb.0:
	.section	.rodata,"a",@progbits
	.p2align	6, 0x0
	.amdhsa_kernel _ZN7rocprim17ROCPRIM_400000_NS6detail17trampoline_kernelINS0_14default_configENS1_20scan_config_selectorIdEEZZNS1_9scan_implILNS1_25lookback_scan_determinismE0ELb0ELb0ES3_N6thrust23THRUST_200600_302600_NS6detail15normal_iteratorINS9_10device_ptrIdEEEESE_dNS9_4plusIvEEdEEDaPvRmT3_T4_T5_mT6_P12ihipStream_tbENKUlT_T0_E_clISt17integral_constantIbLb0EEST_IbLb1EEEEDaSP_SQ_EUlSP_E_NS1_11comp_targetILNS1_3genE3ELNS1_11target_archE908ELNS1_3gpuE7ELNS1_3repE0EEENS1_30default_config_static_selectorELNS0_4arch9wavefront6targetE1EEEvT1_
		.amdhsa_group_segment_fixed_size 0
		.amdhsa_private_segment_fixed_size 0
		.amdhsa_kernarg_size 104
		.amdhsa_user_sgpr_count 6
		.amdhsa_user_sgpr_private_segment_buffer 1
		.amdhsa_user_sgpr_dispatch_ptr 0
		.amdhsa_user_sgpr_queue_ptr 0
		.amdhsa_user_sgpr_kernarg_segment_ptr 1
		.amdhsa_user_sgpr_dispatch_id 0
		.amdhsa_user_sgpr_flat_scratch_init 0
		.amdhsa_user_sgpr_kernarg_preload_length 0
		.amdhsa_user_sgpr_kernarg_preload_offset 0
		.amdhsa_user_sgpr_private_segment_size 0
		.amdhsa_uses_dynamic_stack 0
		.amdhsa_system_sgpr_private_segment_wavefront_offset 0
		.amdhsa_system_sgpr_workgroup_id_x 1
		.amdhsa_system_sgpr_workgroup_id_y 0
		.amdhsa_system_sgpr_workgroup_id_z 0
		.amdhsa_system_sgpr_workgroup_info 0
		.amdhsa_system_vgpr_workitem_id 0
		.amdhsa_next_free_vgpr 1
		.amdhsa_next_free_sgpr 0
		.amdhsa_accum_offset 4
		.amdhsa_reserve_vcc 0
		.amdhsa_reserve_flat_scratch 0
		.amdhsa_float_round_mode_32 0
		.amdhsa_float_round_mode_16_64 0
		.amdhsa_float_denorm_mode_32 3
		.amdhsa_float_denorm_mode_16_64 3
		.amdhsa_dx10_clamp 1
		.amdhsa_ieee_mode 1
		.amdhsa_fp16_overflow 0
		.amdhsa_tg_split 0
		.amdhsa_exception_fp_ieee_invalid_op 0
		.amdhsa_exception_fp_denorm_src 0
		.amdhsa_exception_fp_ieee_div_zero 0
		.amdhsa_exception_fp_ieee_overflow 0
		.amdhsa_exception_fp_ieee_underflow 0
		.amdhsa_exception_fp_ieee_inexact 0
		.amdhsa_exception_int_div_zero 0
	.end_amdhsa_kernel
	.section	.text._ZN7rocprim17ROCPRIM_400000_NS6detail17trampoline_kernelINS0_14default_configENS1_20scan_config_selectorIdEEZZNS1_9scan_implILNS1_25lookback_scan_determinismE0ELb0ELb0ES3_N6thrust23THRUST_200600_302600_NS6detail15normal_iteratorINS9_10device_ptrIdEEEESE_dNS9_4plusIvEEdEEDaPvRmT3_T4_T5_mT6_P12ihipStream_tbENKUlT_T0_E_clISt17integral_constantIbLb0EEST_IbLb1EEEEDaSP_SQ_EUlSP_E_NS1_11comp_targetILNS1_3genE3ELNS1_11target_archE908ELNS1_3gpuE7ELNS1_3repE0EEENS1_30default_config_static_selectorELNS0_4arch9wavefront6targetE1EEEvT1_,"axG",@progbits,_ZN7rocprim17ROCPRIM_400000_NS6detail17trampoline_kernelINS0_14default_configENS1_20scan_config_selectorIdEEZZNS1_9scan_implILNS1_25lookback_scan_determinismE0ELb0ELb0ES3_N6thrust23THRUST_200600_302600_NS6detail15normal_iteratorINS9_10device_ptrIdEEEESE_dNS9_4plusIvEEdEEDaPvRmT3_T4_T5_mT6_P12ihipStream_tbENKUlT_T0_E_clISt17integral_constantIbLb0EEST_IbLb1EEEEDaSP_SQ_EUlSP_E_NS1_11comp_targetILNS1_3genE3ELNS1_11target_archE908ELNS1_3gpuE7ELNS1_3repE0EEENS1_30default_config_static_selectorELNS0_4arch9wavefront6targetE1EEEvT1_,comdat
.Lfunc_end4199:
	.size	_ZN7rocprim17ROCPRIM_400000_NS6detail17trampoline_kernelINS0_14default_configENS1_20scan_config_selectorIdEEZZNS1_9scan_implILNS1_25lookback_scan_determinismE0ELb0ELb0ES3_N6thrust23THRUST_200600_302600_NS6detail15normal_iteratorINS9_10device_ptrIdEEEESE_dNS9_4plusIvEEdEEDaPvRmT3_T4_T5_mT6_P12ihipStream_tbENKUlT_T0_E_clISt17integral_constantIbLb0EEST_IbLb1EEEEDaSP_SQ_EUlSP_E_NS1_11comp_targetILNS1_3genE3ELNS1_11target_archE908ELNS1_3gpuE7ELNS1_3repE0EEENS1_30default_config_static_selectorELNS0_4arch9wavefront6targetE1EEEvT1_, .Lfunc_end4199-_ZN7rocprim17ROCPRIM_400000_NS6detail17trampoline_kernelINS0_14default_configENS1_20scan_config_selectorIdEEZZNS1_9scan_implILNS1_25lookback_scan_determinismE0ELb0ELb0ES3_N6thrust23THRUST_200600_302600_NS6detail15normal_iteratorINS9_10device_ptrIdEEEESE_dNS9_4plusIvEEdEEDaPvRmT3_T4_T5_mT6_P12ihipStream_tbENKUlT_T0_E_clISt17integral_constantIbLb0EEST_IbLb1EEEEDaSP_SQ_EUlSP_E_NS1_11comp_targetILNS1_3genE3ELNS1_11target_archE908ELNS1_3gpuE7ELNS1_3repE0EEENS1_30default_config_static_selectorELNS0_4arch9wavefront6targetE1EEEvT1_
                                        ; -- End function
	.section	.AMDGPU.csdata,"",@progbits
; Kernel info:
; codeLenInByte = 0
; NumSgprs: 4
; NumVgprs: 0
; NumAgprs: 0
; TotalNumVgprs: 0
; ScratchSize: 0
; MemoryBound: 0
; FloatMode: 240
; IeeeMode: 1
; LDSByteSize: 0 bytes/workgroup (compile time only)
; SGPRBlocks: 0
; VGPRBlocks: 0
; NumSGPRsForWavesPerEU: 4
; NumVGPRsForWavesPerEU: 1
; AccumOffset: 4
; Occupancy: 8
; WaveLimiterHint : 0
; COMPUTE_PGM_RSRC2:SCRATCH_EN: 0
; COMPUTE_PGM_RSRC2:USER_SGPR: 6
; COMPUTE_PGM_RSRC2:TRAP_HANDLER: 0
; COMPUTE_PGM_RSRC2:TGID_X_EN: 1
; COMPUTE_PGM_RSRC2:TGID_Y_EN: 0
; COMPUTE_PGM_RSRC2:TGID_Z_EN: 0
; COMPUTE_PGM_RSRC2:TIDIG_COMP_CNT: 0
; COMPUTE_PGM_RSRC3_GFX90A:ACCUM_OFFSET: 0
; COMPUTE_PGM_RSRC3_GFX90A:TG_SPLIT: 0
	.section	.text._ZN7rocprim17ROCPRIM_400000_NS6detail17trampoline_kernelINS0_14default_configENS1_20scan_config_selectorIdEEZZNS1_9scan_implILNS1_25lookback_scan_determinismE0ELb0ELb0ES3_N6thrust23THRUST_200600_302600_NS6detail15normal_iteratorINS9_10device_ptrIdEEEESE_dNS9_4plusIvEEdEEDaPvRmT3_T4_T5_mT6_P12ihipStream_tbENKUlT_T0_E_clISt17integral_constantIbLb0EEST_IbLb1EEEEDaSP_SQ_EUlSP_E_NS1_11comp_targetILNS1_3genE2ELNS1_11target_archE906ELNS1_3gpuE6ELNS1_3repE0EEENS1_30default_config_static_selectorELNS0_4arch9wavefront6targetE1EEEvT1_,"axG",@progbits,_ZN7rocprim17ROCPRIM_400000_NS6detail17trampoline_kernelINS0_14default_configENS1_20scan_config_selectorIdEEZZNS1_9scan_implILNS1_25lookback_scan_determinismE0ELb0ELb0ES3_N6thrust23THRUST_200600_302600_NS6detail15normal_iteratorINS9_10device_ptrIdEEEESE_dNS9_4plusIvEEdEEDaPvRmT3_T4_T5_mT6_P12ihipStream_tbENKUlT_T0_E_clISt17integral_constantIbLb0EEST_IbLb1EEEEDaSP_SQ_EUlSP_E_NS1_11comp_targetILNS1_3genE2ELNS1_11target_archE906ELNS1_3gpuE6ELNS1_3repE0EEENS1_30default_config_static_selectorELNS0_4arch9wavefront6targetE1EEEvT1_,comdat
	.protected	_ZN7rocprim17ROCPRIM_400000_NS6detail17trampoline_kernelINS0_14default_configENS1_20scan_config_selectorIdEEZZNS1_9scan_implILNS1_25lookback_scan_determinismE0ELb0ELb0ES3_N6thrust23THRUST_200600_302600_NS6detail15normal_iteratorINS9_10device_ptrIdEEEESE_dNS9_4plusIvEEdEEDaPvRmT3_T4_T5_mT6_P12ihipStream_tbENKUlT_T0_E_clISt17integral_constantIbLb0EEST_IbLb1EEEEDaSP_SQ_EUlSP_E_NS1_11comp_targetILNS1_3genE2ELNS1_11target_archE906ELNS1_3gpuE6ELNS1_3repE0EEENS1_30default_config_static_selectorELNS0_4arch9wavefront6targetE1EEEvT1_ ; -- Begin function _ZN7rocprim17ROCPRIM_400000_NS6detail17trampoline_kernelINS0_14default_configENS1_20scan_config_selectorIdEEZZNS1_9scan_implILNS1_25lookback_scan_determinismE0ELb0ELb0ES3_N6thrust23THRUST_200600_302600_NS6detail15normal_iteratorINS9_10device_ptrIdEEEESE_dNS9_4plusIvEEdEEDaPvRmT3_T4_T5_mT6_P12ihipStream_tbENKUlT_T0_E_clISt17integral_constantIbLb0EEST_IbLb1EEEEDaSP_SQ_EUlSP_E_NS1_11comp_targetILNS1_3genE2ELNS1_11target_archE906ELNS1_3gpuE6ELNS1_3repE0EEENS1_30default_config_static_selectorELNS0_4arch9wavefront6targetE1EEEvT1_
	.globl	_ZN7rocprim17ROCPRIM_400000_NS6detail17trampoline_kernelINS0_14default_configENS1_20scan_config_selectorIdEEZZNS1_9scan_implILNS1_25lookback_scan_determinismE0ELb0ELb0ES3_N6thrust23THRUST_200600_302600_NS6detail15normal_iteratorINS9_10device_ptrIdEEEESE_dNS9_4plusIvEEdEEDaPvRmT3_T4_T5_mT6_P12ihipStream_tbENKUlT_T0_E_clISt17integral_constantIbLb0EEST_IbLb1EEEEDaSP_SQ_EUlSP_E_NS1_11comp_targetILNS1_3genE2ELNS1_11target_archE906ELNS1_3gpuE6ELNS1_3repE0EEENS1_30default_config_static_selectorELNS0_4arch9wavefront6targetE1EEEvT1_
	.p2align	8
	.type	_ZN7rocprim17ROCPRIM_400000_NS6detail17trampoline_kernelINS0_14default_configENS1_20scan_config_selectorIdEEZZNS1_9scan_implILNS1_25lookback_scan_determinismE0ELb0ELb0ES3_N6thrust23THRUST_200600_302600_NS6detail15normal_iteratorINS9_10device_ptrIdEEEESE_dNS9_4plusIvEEdEEDaPvRmT3_T4_T5_mT6_P12ihipStream_tbENKUlT_T0_E_clISt17integral_constantIbLb0EEST_IbLb1EEEEDaSP_SQ_EUlSP_E_NS1_11comp_targetILNS1_3genE2ELNS1_11target_archE906ELNS1_3gpuE6ELNS1_3repE0EEENS1_30default_config_static_selectorELNS0_4arch9wavefront6targetE1EEEvT1_,@function
_ZN7rocprim17ROCPRIM_400000_NS6detail17trampoline_kernelINS0_14default_configENS1_20scan_config_selectorIdEEZZNS1_9scan_implILNS1_25lookback_scan_determinismE0ELb0ELb0ES3_N6thrust23THRUST_200600_302600_NS6detail15normal_iteratorINS9_10device_ptrIdEEEESE_dNS9_4plusIvEEdEEDaPvRmT3_T4_T5_mT6_P12ihipStream_tbENKUlT_T0_E_clISt17integral_constantIbLb0EEST_IbLb1EEEEDaSP_SQ_EUlSP_E_NS1_11comp_targetILNS1_3genE2ELNS1_11target_archE906ELNS1_3gpuE6ELNS1_3repE0EEENS1_30default_config_static_selectorELNS0_4arch9wavefront6targetE1EEEvT1_: ; @_ZN7rocprim17ROCPRIM_400000_NS6detail17trampoline_kernelINS0_14default_configENS1_20scan_config_selectorIdEEZZNS1_9scan_implILNS1_25lookback_scan_determinismE0ELb0ELb0ES3_N6thrust23THRUST_200600_302600_NS6detail15normal_iteratorINS9_10device_ptrIdEEEESE_dNS9_4plusIvEEdEEDaPvRmT3_T4_T5_mT6_P12ihipStream_tbENKUlT_T0_E_clISt17integral_constantIbLb0EEST_IbLb1EEEEDaSP_SQ_EUlSP_E_NS1_11comp_targetILNS1_3genE2ELNS1_11target_archE906ELNS1_3gpuE6ELNS1_3repE0EEENS1_30default_config_static_selectorELNS0_4arch9wavefront6targetE1EEEvT1_
; %bb.0:
	.section	.rodata,"a",@progbits
	.p2align	6, 0x0
	.amdhsa_kernel _ZN7rocprim17ROCPRIM_400000_NS6detail17trampoline_kernelINS0_14default_configENS1_20scan_config_selectorIdEEZZNS1_9scan_implILNS1_25lookback_scan_determinismE0ELb0ELb0ES3_N6thrust23THRUST_200600_302600_NS6detail15normal_iteratorINS9_10device_ptrIdEEEESE_dNS9_4plusIvEEdEEDaPvRmT3_T4_T5_mT6_P12ihipStream_tbENKUlT_T0_E_clISt17integral_constantIbLb0EEST_IbLb1EEEEDaSP_SQ_EUlSP_E_NS1_11comp_targetILNS1_3genE2ELNS1_11target_archE906ELNS1_3gpuE6ELNS1_3repE0EEENS1_30default_config_static_selectorELNS0_4arch9wavefront6targetE1EEEvT1_
		.amdhsa_group_segment_fixed_size 0
		.amdhsa_private_segment_fixed_size 0
		.amdhsa_kernarg_size 104
		.amdhsa_user_sgpr_count 6
		.amdhsa_user_sgpr_private_segment_buffer 1
		.amdhsa_user_sgpr_dispatch_ptr 0
		.amdhsa_user_sgpr_queue_ptr 0
		.amdhsa_user_sgpr_kernarg_segment_ptr 1
		.amdhsa_user_sgpr_dispatch_id 0
		.amdhsa_user_sgpr_flat_scratch_init 0
		.amdhsa_user_sgpr_kernarg_preload_length 0
		.amdhsa_user_sgpr_kernarg_preload_offset 0
		.amdhsa_user_sgpr_private_segment_size 0
		.amdhsa_uses_dynamic_stack 0
		.amdhsa_system_sgpr_private_segment_wavefront_offset 0
		.amdhsa_system_sgpr_workgroup_id_x 1
		.amdhsa_system_sgpr_workgroup_id_y 0
		.amdhsa_system_sgpr_workgroup_id_z 0
		.amdhsa_system_sgpr_workgroup_info 0
		.amdhsa_system_vgpr_workitem_id 0
		.amdhsa_next_free_vgpr 1
		.amdhsa_next_free_sgpr 0
		.amdhsa_accum_offset 4
		.amdhsa_reserve_vcc 0
		.amdhsa_reserve_flat_scratch 0
		.amdhsa_float_round_mode_32 0
		.amdhsa_float_round_mode_16_64 0
		.amdhsa_float_denorm_mode_32 3
		.amdhsa_float_denorm_mode_16_64 3
		.amdhsa_dx10_clamp 1
		.amdhsa_ieee_mode 1
		.amdhsa_fp16_overflow 0
		.amdhsa_tg_split 0
		.amdhsa_exception_fp_ieee_invalid_op 0
		.amdhsa_exception_fp_denorm_src 0
		.amdhsa_exception_fp_ieee_div_zero 0
		.amdhsa_exception_fp_ieee_overflow 0
		.amdhsa_exception_fp_ieee_underflow 0
		.amdhsa_exception_fp_ieee_inexact 0
		.amdhsa_exception_int_div_zero 0
	.end_amdhsa_kernel
	.section	.text._ZN7rocprim17ROCPRIM_400000_NS6detail17trampoline_kernelINS0_14default_configENS1_20scan_config_selectorIdEEZZNS1_9scan_implILNS1_25lookback_scan_determinismE0ELb0ELb0ES3_N6thrust23THRUST_200600_302600_NS6detail15normal_iteratorINS9_10device_ptrIdEEEESE_dNS9_4plusIvEEdEEDaPvRmT3_T4_T5_mT6_P12ihipStream_tbENKUlT_T0_E_clISt17integral_constantIbLb0EEST_IbLb1EEEEDaSP_SQ_EUlSP_E_NS1_11comp_targetILNS1_3genE2ELNS1_11target_archE906ELNS1_3gpuE6ELNS1_3repE0EEENS1_30default_config_static_selectorELNS0_4arch9wavefront6targetE1EEEvT1_,"axG",@progbits,_ZN7rocprim17ROCPRIM_400000_NS6detail17trampoline_kernelINS0_14default_configENS1_20scan_config_selectorIdEEZZNS1_9scan_implILNS1_25lookback_scan_determinismE0ELb0ELb0ES3_N6thrust23THRUST_200600_302600_NS6detail15normal_iteratorINS9_10device_ptrIdEEEESE_dNS9_4plusIvEEdEEDaPvRmT3_T4_T5_mT6_P12ihipStream_tbENKUlT_T0_E_clISt17integral_constantIbLb0EEST_IbLb1EEEEDaSP_SQ_EUlSP_E_NS1_11comp_targetILNS1_3genE2ELNS1_11target_archE906ELNS1_3gpuE6ELNS1_3repE0EEENS1_30default_config_static_selectorELNS0_4arch9wavefront6targetE1EEEvT1_,comdat
.Lfunc_end4200:
	.size	_ZN7rocprim17ROCPRIM_400000_NS6detail17trampoline_kernelINS0_14default_configENS1_20scan_config_selectorIdEEZZNS1_9scan_implILNS1_25lookback_scan_determinismE0ELb0ELb0ES3_N6thrust23THRUST_200600_302600_NS6detail15normal_iteratorINS9_10device_ptrIdEEEESE_dNS9_4plusIvEEdEEDaPvRmT3_T4_T5_mT6_P12ihipStream_tbENKUlT_T0_E_clISt17integral_constantIbLb0EEST_IbLb1EEEEDaSP_SQ_EUlSP_E_NS1_11comp_targetILNS1_3genE2ELNS1_11target_archE906ELNS1_3gpuE6ELNS1_3repE0EEENS1_30default_config_static_selectorELNS0_4arch9wavefront6targetE1EEEvT1_, .Lfunc_end4200-_ZN7rocprim17ROCPRIM_400000_NS6detail17trampoline_kernelINS0_14default_configENS1_20scan_config_selectorIdEEZZNS1_9scan_implILNS1_25lookback_scan_determinismE0ELb0ELb0ES3_N6thrust23THRUST_200600_302600_NS6detail15normal_iteratorINS9_10device_ptrIdEEEESE_dNS9_4plusIvEEdEEDaPvRmT3_T4_T5_mT6_P12ihipStream_tbENKUlT_T0_E_clISt17integral_constantIbLb0EEST_IbLb1EEEEDaSP_SQ_EUlSP_E_NS1_11comp_targetILNS1_3genE2ELNS1_11target_archE906ELNS1_3gpuE6ELNS1_3repE0EEENS1_30default_config_static_selectorELNS0_4arch9wavefront6targetE1EEEvT1_
                                        ; -- End function
	.section	.AMDGPU.csdata,"",@progbits
; Kernel info:
; codeLenInByte = 0
; NumSgprs: 4
; NumVgprs: 0
; NumAgprs: 0
; TotalNumVgprs: 0
; ScratchSize: 0
; MemoryBound: 0
; FloatMode: 240
; IeeeMode: 1
; LDSByteSize: 0 bytes/workgroup (compile time only)
; SGPRBlocks: 0
; VGPRBlocks: 0
; NumSGPRsForWavesPerEU: 4
; NumVGPRsForWavesPerEU: 1
; AccumOffset: 4
; Occupancy: 8
; WaveLimiterHint : 0
; COMPUTE_PGM_RSRC2:SCRATCH_EN: 0
; COMPUTE_PGM_RSRC2:USER_SGPR: 6
; COMPUTE_PGM_RSRC2:TRAP_HANDLER: 0
; COMPUTE_PGM_RSRC2:TGID_X_EN: 1
; COMPUTE_PGM_RSRC2:TGID_Y_EN: 0
; COMPUTE_PGM_RSRC2:TGID_Z_EN: 0
; COMPUTE_PGM_RSRC2:TIDIG_COMP_CNT: 0
; COMPUTE_PGM_RSRC3_GFX90A:ACCUM_OFFSET: 0
; COMPUTE_PGM_RSRC3_GFX90A:TG_SPLIT: 0
	.section	.text._ZN7rocprim17ROCPRIM_400000_NS6detail17trampoline_kernelINS0_14default_configENS1_20scan_config_selectorIdEEZZNS1_9scan_implILNS1_25lookback_scan_determinismE0ELb0ELb0ES3_N6thrust23THRUST_200600_302600_NS6detail15normal_iteratorINS9_10device_ptrIdEEEESE_dNS9_4plusIvEEdEEDaPvRmT3_T4_T5_mT6_P12ihipStream_tbENKUlT_T0_E_clISt17integral_constantIbLb0EEST_IbLb1EEEEDaSP_SQ_EUlSP_E_NS1_11comp_targetILNS1_3genE10ELNS1_11target_archE1201ELNS1_3gpuE5ELNS1_3repE0EEENS1_30default_config_static_selectorELNS0_4arch9wavefront6targetE1EEEvT1_,"axG",@progbits,_ZN7rocprim17ROCPRIM_400000_NS6detail17trampoline_kernelINS0_14default_configENS1_20scan_config_selectorIdEEZZNS1_9scan_implILNS1_25lookback_scan_determinismE0ELb0ELb0ES3_N6thrust23THRUST_200600_302600_NS6detail15normal_iteratorINS9_10device_ptrIdEEEESE_dNS9_4plusIvEEdEEDaPvRmT3_T4_T5_mT6_P12ihipStream_tbENKUlT_T0_E_clISt17integral_constantIbLb0EEST_IbLb1EEEEDaSP_SQ_EUlSP_E_NS1_11comp_targetILNS1_3genE10ELNS1_11target_archE1201ELNS1_3gpuE5ELNS1_3repE0EEENS1_30default_config_static_selectorELNS0_4arch9wavefront6targetE1EEEvT1_,comdat
	.protected	_ZN7rocprim17ROCPRIM_400000_NS6detail17trampoline_kernelINS0_14default_configENS1_20scan_config_selectorIdEEZZNS1_9scan_implILNS1_25lookback_scan_determinismE0ELb0ELb0ES3_N6thrust23THRUST_200600_302600_NS6detail15normal_iteratorINS9_10device_ptrIdEEEESE_dNS9_4plusIvEEdEEDaPvRmT3_T4_T5_mT6_P12ihipStream_tbENKUlT_T0_E_clISt17integral_constantIbLb0EEST_IbLb1EEEEDaSP_SQ_EUlSP_E_NS1_11comp_targetILNS1_3genE10ELNS1_11target_archE1201ELNS1_3gpuE5ELNS1_3repE0EEENS1_30default_config_static_selectorELNS0_4arch9wavefront6targetE1EEEvT1_ ; -- Begin function _ZN7rocprim17ROCPRIM_400000_NS6detail17trampoline_kernelINS0_14default_configENS1_20scan_config_selectorIdEEZZNS1_9scan_implILNS1_25lookback_scan_determinismE0ELb0ELb0ES3_N6thrust23THRUST_200600_302600_NS6detail15normal_iteratorINS9_10device_ptrIdEEEESE_dNS9_4plusIvEEdEEDaPvRmT3_T4_T5_mT6_P12ihipStream_tbENKUlT_T0_E_clISt17integral_constantIbLb0EEST_IbLb1EEEEDaSP_SQ_EUlSP_E_NS1_11comp_targetILNS1_3genE10ELNS1_11target_archE1201ELNS1_3gpuE5ELNS1_3repE0EEENS1_30default_config_static_selectorELNS0_4arch9wavefront6targetE1EEEvT1_
	.globl	_ZN7rocprim17ROCPRIM_400000_NS6detail17trampoline_kernelINS0_14default_configENS1_20scan_config_selectorIdEEZZNS1_9scan_implILNS1_25lookback_scan_determinismE0ELb0ELb0ES3_N6thrust23THRUST_200600_302600_NS6detail15normal_iteratorINS9_10device_ptrIdEEEESE_dNS9_4plusIvEEdEEDaPvRmT3_T4_T5_mT6_P12ihipStream_tbENKUlT_T0_E_clISt17integral_constantIbLb0EEST_IbLb1EEEEDaSP_SQ_EUlSP_E_NS1_11comp_targetILNS1_3genE10ELNS1_11target_archE1201ELNS1_3gpuE5ELNS1_3repE0EEENS1_30default_config_static_selectorELNS0_4arch9wavefront6targetE1EEEvT1_
	.p2align	8
	.type	_ZN7rocprim17ROCPRIM_400000_NS6detail17trampoline_kernelINS0_14default_configENS1_20scan_config_selectorIdEEZZNS1_9scan_implILNS1_25lookback_scan_determinismE0ELb0ELb0ES3_N6thrust23THRUST_200600_302600_NS6detail15normal_iteratorINS9_10device_ptrIdEEEESE_dNS9_4plusIvEEdEEDaPvRmT3_T4_T5_mT6_P12ihipStream_tbENKUlT_T0_E_clISt17integral_constantIbLb0EEST_IbLb1EEEEDaSP_SQ_EUlSP_E_NS1_11comp_targetILNS1_3genE10ELNS1_11target_archE1201ELNS1_3gpuE5ELNS1_3repE0EEENS1_30default_config_static_selectorELNS0_4arch9wavefront6targetE1EEEvT1_,@function
_ZN7rocprim17ROCPRIM_400000_NS6detail17trampoline_kernelINS0_14default_configENS1_20scan_config_selectorIdEEZZNS1_9scan_implILNS1_25lookback_scan_determinismE0ELb0ELb0ES3_N6thrust23THRUST_200600_302600_NS6detail15normal_iteratorINS9_10device_ptrIdEEEESE_dNS9_4plusIvEEdEEDaPvRmT3_T4_T5_mT6_P12ihipStream_tbENKUlT_T0_E_clISt17integral_constantIbLb0EEST_IbLb1EEEEDaSP_SQ_EUlSP_E_NS1_11comp_targetILNS1_3genE10ELNS1_11target_archE1201ELNS1_3gpuE5ELNS1_3repE0EEENS1_30default_config_static_selectorELNS0_4arch9wavefront6targetE1EEEvT1_: ; @_ZN7rocprim17ROCPRIM_400000_NS6detail17trampoline_kernelINS0_14default_configENS1_20scan_config_selectorIdEEZZNS1_9scan_implILNS1_25lookback_scan_determinismE0ELb0ELb0ES3_N6thrust23THRUST_200600_302600_NS6detail15normal_iteratorINS9_10device_ptrIdEEEESE_dNS9_4plusIvEEdEEDaPvRmT3_T4_T5_mT6_P12ihipStream_tbENKUlT_T0_E_clISt17integral_constantIbLb0EEST_IbLb1EEEEDaSP_SQ_EUlSP_E_NS1_11comp_targetILNS1_3genE10ELNS1_11target_archE1201ELNS1_3gpuE5ELNS1_3repE0EEENS1_30default_config_static_selectorELNS0_4arch9wavefront6targetE1EEEvT1_
; %bb.0:
	.section	.rodata,"a",@progbits
	.p2align	6, 0x0
	.amdhsa_kernel _ZN7rocprim17ROCPRIM_400000_NS6detail17trampoline_kernelINS0_14default_configENS1_20scan_config_selectorIdEEZZNS1_9scan_implILNS1_25lookback_scan_determinismE0ELb0ELb0ES3_N6thrust23THRUST_200600_302600_NS6detail15normal_iteratorINS9_10device_ptrIdEEEESE_dNS9_4plusIvEEdEEDaPvRmT3_T4_T5_mT6_P12ihipStream_tbENKUlT_T0_E_clISt17integral_constantIbLb0EEST_IbLb1EEEEDaSP_SQ_EUlSP_E_NS1_11comp_targetILNS1_3genE10ELNS1_11target_archE1201ELNS1_3gpuE5ELNS1_3repE0EEENS1_30default_config_static_selectorELNS0_4arch9wavefront6targetE1EEEvT1_
		.amdhsa_group_segment_fixed_size 0
		.amdhsa_private_segment_fixed_size 0
		.amdhsa_kernarg_size 104
		.amdhsa_user_sgpr_count 6
		.amdhsa_user_sgpr_private_segment_buffer 1
		.amdhsa_user_sgpr_dispatch_ptr 0
		.amdhsa_user_sgpr_queue_ptr 0
		.amdhsa_user_sgpr_kernarg_segment_ptr 1
		.amdhsa_user_sgpr_dispatch_id 0
		.amdhsa_user_sgpr_flat_scratch_init 0
		.amdhsa_user_sgpr_kernarg_preload_length 0
		.amdhsa_user_sgpr_kernarg_preload_offset 0
		.amdhsa_user_sgpr_private_segment_size 0
		.amdhsa_uses_dynamic_stack 0
		.amdhsa_system_sgpr_private_segment_wavefront_offset 0
		.amdhsa_system_sgpr_workgroup_id_x 1
		.amdhsa_system_sgpr_workgroup_id_y 0
		.amdhsa_system_sgpr_workgroup_id_z 0
		.amdhsa_system_sgpr_workgroup_info 0
		.amdhsa_system_vgpr_workitem_id 0
		.amdhsa_next_free_vgpr 1
		.amdhsa_next_free_sgpr 0
		.amdhsa_accum_offset 4
		.amdhsa_reserve_vcc 0
		.amdhsa_reserve_flat_scratch 0
		.amdhsa_float_round_mode_32 0
		.amdhsa_float_round_mode_16_64 0
		.amdhsa_float_denorm_mode_32 3
		.amdhsa_float_denorm_mode_16_64 3
		.amdhsa_dx10_clamp 1
		.amdhsa_ieee_mode 1
		.amdhsa_fp16_overflow 0
		.amdhsa_tg_split 0
		.amdhsa_exception_fp_ieee_invalid_op 0
		.amdhsa_exception_fp_denorm_src 0
		.amdhsa_exception_fp_ieee_div_zero 0
		.amdhsa_exception_fp_ieee_overflow 0
		.amdhsa_exception_fp_ieee_underflow 0
		.amdhsa_exception_fp_ieee_inexact 0
		.amdhsa_exception_int_div_zero 0
	.end_amdhsa_kernel
	.section	.text._ZN7rocprim17ROCPRIM_400000_NS6detail17trampoline_kernelINS0_14default_configENS1_20scan_config_selectorIdEEZZNS1_9scan_implILNS1_25lookback_scan_determinismE0ELb0ELb0ES3_N6thrust23THRUST_200600_302600_NS6detail15normal_iteratorINS9_10device_ptrIdEEEESE_dNS9_4plusIvEEdEEDaPvRmT3_T4_T5_mT6_P12ihipStream_tbENKUlT_T0_E_clISt17integral_constantIbLb0EEST_IbLb1EEEEDaSP_SQ_EUlSP_E_NS1_11comp_targetILNS1_3genE10ELNS1_11target_archE1201ELNS1_3gpuE5ELNS1_3repE0EEENS1_30default_config_static_selectorELNS0_4arch9wavefront6targetE1EEEvT1_,"axG",@progbits,_ZN7rocprim17ROCPRIM_400000_NS6detail17trampoline_kernelINS0_14default_configENS1_20scan_config_selectorIdEEZZNS1_9scan_implILNS1_25lookback_scan_determinismE0ELb0ELb0ES3_N6thrust23THRUST_200600_302600_NS6detail15normal_iteratorINS9_10device_ptrIdEEEESE_dNS9_4plusIvEEdEEDaPvRmT3_T4_T5_mT6_P12ihipStream_tbENKUlT_T0_E_clISt17integral_constantIbLb0EEST_IbLb1EEEEDaSP_SQ_EUlSP_E_NS1_11comp_targetILNS1_3genE10ELNS1_11target_archE1201ELNS1_3gpuE5ELNS1_3repE0EEENS1_30default_config_static_selectorELNS0_4arch9wavefront6targetE1EEEvT1_,comdat
.Lfunc_end4201:
	.size	_ZN7rocprim17ROCPRIM_400000_NS6detail17trampoline_kernelINS0_14default_configENS1_20scan_config_selectorIdEEZZNS1_9scan_implILNS1_25lookback_scan_determinismE0ELb0ELb0ES3_N6thrust23THRUST_200600_302600_NS6detail15normal_iteratorINS9_10device_ptrIdEEEESE_dNS9_4plusIvEEdEEDaPvRmT3_T4_T5_mT6_P12ihipStream_tbENKUlT_T0_E_clISt17integral_constantIbLb0EEST_IbLb1EEEEDaSP_SQ_EUlSP_E_NS1_11comp_targetILNS1_3genE10ELNS1_11target_archE1201ELNS1_3gpuE5ELNS1_3repE0EEENS1_30default_config_static_selectorELNS0_4arch9wavefront6targetE1EEEvT1_, .Lfunc_end4201-_ZN7rocprim17ROCPRIM_400000_NS6detail17trampoline_kernelINS0_14default_configENS1_20scan_config_selectorIdEEZZNS1_9scan_implILNS1_25lookback_scan_determinismE0ELb0ELb0ES3_N6thrust23THRUST_200600_302600_NS6detail15normal_iteratorINS9_10device_ptrIdEEEESE_dNS9_4plusIvEEdEEDaPvRmT3_T4_T5_mT6_P12ihipStream_tbENKUlT_T0_E_clISt17integral_constantIbLb0EEST_IbLb1EEEEDaSP_SQ_EUlSP_E_NS1_11comp_targetILNS1_3genE10ELNS1_11target_archE1201ELNS1_3gpuE5ELNS1_3repE0EEENS1_30default_config_static_selectorELNS0_4arch9wavefront6targetE1EEEvT1_
                                        ; -- End function
	.section	.AMDGPU.csdata,"",@progbits
; Kernel info:
; codeLenInByte = 0
; NumSgprs: 4
; NumVgprs: 0
; NumAgprs: 0
; TotalNumVgprs: 0
; ScratchSize: 0
; MemoryBound: 0
; FloatMode: 240
; IeeeMode: 1
; LDSByteSize: 0 bytes/workgroup (compile time only)
; SGPRBlocks: 0
; VGPRBlocks: 0
; NumSGPRsForWavesPerEU: 4
; NumVGPRsForWavesPerEU: 1
; AccumOffset: 4
; Occupancy: 8
; WaveLimiterHint : 0
; COMPUTE_PGM_RSRC2:SCRATCH_EN: 0
; COMPUTE_PGM_RSRC2:USER_SGPR: 6
; COMPUTE_PGM_RSRC2:TRAP_HANDLER: 0
; COMPUTE_PGM_RSRC2:TGID_X_EN: 1
; COMPUTE_PGM_RSRC2:TGID_Y_EN: 0
; COMPUTE_PGM_RSRC2:TGID_Z_EN: 0
; COMPUTE_PGM_RSRC2:TIDIG_COMP_CNT: 0
; COMPUTE_PGM_RSRC3_GFX90A:ACCUM_OFFSET: 0
; COMPUTE_PGM_RSRC3_GFX90A:TG_SPLIT: 0
	.section	.text._ZN7rocprim17ROCPRIM_400000_NS6detail17trampoline_kernelINS0_14default_configENS1_20scan_config_selectorIdEEZZNS1_9scan_implILNS1_25lookback_scan_determinismE0ELb0ELb0ES3_N6thrust23THRUST_200600_302600_NS6detail15normal_iteratorINS9_10device_ptrIdEEEESE_dNS9_4plusIvEEdEEDaPvRmT3_T4_T5_mT6_P12ihipStream_tbENKUlT_T0_E_clISt17integral_constantIbLb0EEST_IbLb1EEEEDaSP_SQ_EUlSP_E_NS1_11comp_targetILNS1_3genE10ELNS1_11target_archE1200ELNS1_3gpuE4ELNS1_3repE0EEENS1_30default_config_static_selectorELNS0_4arch9wavefront6targetE1EEEvT1_,"axG",@progbits,_ZN7rocprim17ROCPRIM_400000_NS6detail17trampoline_kernelINS0_14default_configENS1_20scan_config_selectorIdEEZZNS1_9scan_implILNS1_25lookback_scan_determinismE0ELb0ELb0ES3_N6thrust23THRUST_200600_302600_NS6detail15normal_iteratorINS9_10device_ptrIdEEEESE_dNS9_4plusIvEEdEEDaPvRmT3_T4_T5_mT6_P12ihipStream_tbENKUlT_T0_E_clISt17integral_constantIbLb0EEST_IbLb1EEEEDaSP_SQ_EUlSP_E_NS1_11comp_targetILNS1_3genE10ELNS1_11target_archE1200ELNS1_3gpuE4ELNS1_3repE0EEENS1_30default_config_static_selectorELNS0_4arch9wavefront6targetE1EEEvT1_,comdat
	.protected	_ZN7rocprim17ROCPRIM_400000_NS6detail17trampoline_kernelINS0_14default_configENS1_20scan_config_selectorIdEEZZNS1_9scan_implILNS1_25lookback_scan_determinismE0ELb0ELb0ES3_N6thrust23THRUST_200600_302600_NS6detail15normal_iteratorINS9_10device_ptrIdEEEESE_dNS9_4plusIvEEdEEDaPvRmT3_T4_T5_mT6_P12ihipStream_tbENKUlT_T0_E_clISt17integral_constantIbLb0EEST_IbLb1EEEEDaSP_SQ_EUlSP_E_NS1_11comp_targetILNS1_3genE10ELNS1_11target_archE1200ELNS1_3gpuE4ELNS1_3repE0EEENS1_30default_config_static_selectorELNS0_4arch9wavefront6targetE1EEEvT1_ ; -- Begin function _ZN7rocprim17ROCPRIM_400000_NS6detail17trampoline_kernelINS0_14default_configENS1_20scan_config_selectorIdEEZZNS1_9scan_implILNS1_25lookback_scan_determinismE0ELb0ELb0ES3_N6thrust23THRUST_200600_302600_NS6detail15normal_iteratorINS9_10device_ptrIdEEEESE_dNS9_4plusIvEEdEEDaPvRmT3_T4_T5_mT6_P12ihipStream_tbENKUlT_T0_E_clISt17integral_constantIbLb0EEST_IbLb1EEEEDaSP_SQ_EUlSP_E_NS1_11comp_targetILNS1_3genE10ELNS1_11target_archE1200ELNS1_3gpuE4ELNS1_3repE0EEENS1_30default_config_static_selectorELNS0_4arch9wavefront6targetE1EEEvT1_
	.globl	_ZN7rocprim17ROCPRIM_400000_NS6detail17trampoline_kernelINS0_14default_configENS1_20scan_config_selectorIdEEZZNS1_9scan_implILNS1_25lookback_scan_determinismE0ELb0ELb0ES3_N6thrust23THRUST_200600_302600_NS6detail15normal_iteratorINS9_10device_ptrIdEEEESE_dNS9_4plusIvEEdEEDaPvRmT3_T4_T5_mT6_P12ihipStream_tbENKUlT_T0_E_clISt17integral_constantIbLb0EEST_IbLb1EEEEDaSP_SQ_EUlSP_E_NS1_11comp_targetILNS1_3genE10ELNS1_11target_archE1200ELNS1_3gpuE4ELNS1_3repE0EEENS1_30default_config_static_selectorELNS0_4arch9wavefront6targetE1EEEvT1_
	.p2align	8
	.type	_ZN7rocprim17ROCPRIM_400000_NS6detail17trampoline_kernelINS0_14default_configENS1_20scan_config_selectorIdEEZZNS1_9scan_implILNS1_25lookback_scan_determinismE0ELb0ELb0ES3_N6thrust23THRUST_200600_302600_NS6detail15normal_iteratorINS9_10device_ptrIdEEEESE_dNS9_4plusIvEEdEEDaPvRmT3_T4_T5_mT6_P12ihipStream_tbENKUlT_T0_E_clISt17integral_constantIbLb0EEST_IbLb1EEEEDaSP_SQ_EUlSP_E_NS1_11comp_targetILNS1_3genE10ELNS1_11target_archE1200ELNS1_3gpuE4ELNS1_3repE0EEENS1_30default_config_static_selectorELNS0_4arch9wavefront6targetE1EEEvT1_,@function
_ZN7rocprim17ROCPRIM_400000_NS6detail17trampoline_kernelINS0_14default_configENS1_20scan_config_selectorIdEEZZNS1_9scan_implILNS1_25lookback_scan_determinismE0ELb0ELb0ES3_N6thrust23THRUST_200600_302600_NS6detail15normal_iteratorINS9_10device_ptrIdEEEESE_dNS9_4plusIvEEdEEDaPvRmT3_T4_T5_mT6_P12ihipStream_tbENKUlT_T0_E_clISt17integral_constantIbLb0EEST_IbLb1EEEEDaSP_SQ_EUlSP_E_NS1_11comp_targetILNS1_3genE10ELNS1_11target_archE1200ELNS1_3gpuE4ELNS1_3repE0EEENS1_30default_config_static_selectorELNS0_4arch9wavefront6targetE1EEEvT1_: ; @_ZN7rocprim17ROCPRIM_400000_NS6detail17trampoline_kernelINS0_14default_configENS1_20scan_config_selectorIdEEZZNS1_9scan_implILNS1_25lookback_scan_determinismE0ELb0ELb0ES3_N6thrust23THRUST_200600_302600_NS6detail15normal_iteratorINS9_10device_ptrIdEEEESE_dNS9_4plusIvEEdEEDaPvRmT3_T4_T5_mT6_P12ihipStream_tbENKUlT_T0_E_clISt17integral_constantIbLb0EEST_IbLb1EEEEDaSP_SQ_EUlSP_E_NS1_11comp_targetILNS1_3genE10ELNS1_11target_archE1200ELNS1_3gpuE4ELNS1_3repE0EEENS1_30default_config_static_selectorELNS0_4arch9wavefront6targetE1EEEvT1_
; %bb.0:
	.section	.rodata,"a",@progbits
	.p2align	6, 0x0
	.amdhsa_kernel _ZN7rocprim17ROCPRIM_400000_NS6detail17trampoline_kernelINS0_14default_configENS1_20scan_config_selectorIdEEZZNS1_9scan_implILNS1_25lookback_scan_determinismE0ELb0ELb0ES3_N6thrust23THRUST_200600_302600_NS6detail15normal_iteratorINS9_10device_ptrIdEEEESE_dNS9_4plusIvEEdEEDaPvRmT3_T4_T5_mT6_P12ihipStream_tbENKUlT_T0_E_clISt17integral_constantIbLb0EEST_IbLb1EEEEDaSP_SQ_EUlSP_E_NS1_11comp_targetILNS1_3genE10ELNS1_11target_archE1200ELNS1_3gpuE4ELNS1_3repE0EEENS1_30default_config_static_selectorELNS0_4arch9wavefront6targetE1EEEvT1_
		.amdhsa_group_segment_fixed_size 0
		.amdhsa_private_segment_fixed_size 0
		.amdhsa_kernarg_size 104
		.amdhsa_user_sgpr_count 6
		.amdhsa_user_sgpr_private_segment_buffer 1
		.amdhsa_user_sgpr_dispatch_ptr 0
		.amdhsa_user_sgpr_queue_ptr 0
		.amdhsa_user_sgpr_kernarg_segment_ptr 1
		.amdhsa_user_sgpr_dispatch_id 0
		.amdhsa_user_sgpr_flat_scratch_init 0
		.amdhsa_user_sgpr_kernarg_preload_length 0
		.amdhsa_user_sgpr_kernarg_preload_offset 0
		.amdhsa_user_sgpr_private_segment_size 0
		.amdhsa_uses_dynamic_stack 0
		.amdhsa_system_sgpr_private_segment_wavefront_offset 0
		.amdhsa_system_sgpr_workgroup_id_x 1
		.amdhsa_system_sgpr_workgroup_id_y 0
		.amdhsa_system_sgpr_workgroup_id_z 0
		.amdhsa_system_sgpr_workgroup_info 0
		.amdhsa_system_vgpr_workitem_id 0
		.amdhsa_next_free_vgpr 1
		.amdhsa_next_free_sgpr 0
		.amdhsa_accum_offset 4
		.amdhsa_reserve_vcc 0
		.amdhsa_reserve_flat_scratch 0
		.amdhsa_float_round_mode_32 0
		.amdhsa_float_round_mode_16_64 0
		.amdhsa_float_denorm_mode_32 3
		.amdhsa_float_denorm_mode_16_64 3
		.amdhsa_dx10_clamp 1
		.amdhsa_ieee_mode 1
		.amdhsa_fp16_overflow 0
		.amdhsa_tg_split 0
		.amdhsa_exception_fp_ieee_invalid_op 0
		.amdhsa_exception_fp_denorm_src 0
		.amdhsa_exception_fp_ieee_div_zero 0
		.amdhsa_exception_fp_ieee_overflow 0
		.amdhsa_exception_fp_ieee_underflow 0
		.amdhsa_exception_fp_ieee_inexact 0
		.amdhsa_exception_int_div_zero 0
	.end_amdhsa_kernel
	.section	.text._ZN7rocprim17ROCPRIM_400000_NS6detail17trampoline_kernelINS0_14default_configENS1_20scan_config_selectorIdEEZZNS1_9scan_implILNS1_25lookback_scan_determinismE0ELb0ELb0ES3_N6thrust23THRUST_200600_302600_NS6detail15normal_iteratorINS9_10device_ptrIdEEEESE_dNS9_4plusIvEEdEEDaPvRmT3_T4_T5_mT6_P12ihipStream_tbENKUlT_T0_E_clISt17integral_constantIbLb0EEST_IbLb1EEEEDaSP_SQ_EUlSP_E_NS1_11comp_targetILNS1_3genE10ELNS1_11target_archE1200ELNS1_3gpuE4ELNS1_3repE0EEENS1_30default_config_static_selectorELNS0_4arch9wavefront6targetE1EEEvT1_,"axG",@progbits,_ZN7rocprim17ROCPRIM_400000_NS6detail17trampoline_kernelINS0_14default_configENS1_20scan_config_selectorIdEEZZNS1_9scan_implILNS1_25lookback_scan_determinismE0ELb0ELb0ES3_N6thrust23THRUST_200600_302600_NS6detail15normal_iteratorINS9_10device_ptrIdEEEESE_dNS9_4plusIvEEdEEDaPvRmT3_T4_T5_mT6_P12ihipStream_tbENKUlT_T0_E_clISt17integral_constantIbLb0EEST_IbLb1EEEEDaSP_SQ_EUlSP_E_NS1_11comp_targetILNS1_3genE10ELNS1_11target_archE1200ELNS1_3gpuE4ELNS1_3repE0EEENS1_30default_config_static_selectorELNS0_4arch9wavefront6targetE1EEEvT1_,comdat
.Lfunc_end4202:
	.size	_ZN7rocprim17ROCPRIM_400000_NS6detail17trampoline_kernelINS0_14default_configENS1_20scan_config_selectorIdEEZZNS1_9scan_implILNS1_25lookback_scan_determinismE0ELb0ELb0ES3_N6thrust23THRUST_200600_302600_NS6detail15normal_iteratorINS9_10device_ptrIdEEEESE_dNS9_4plusIvEEdEEDaPvRmT3_T4_T5_mT6_P12ihipStream_tbENKUlT_T0_E_clISt17integral_constantIbLb0EEST_IbLb1EEEEDaSP_SQ_EUlSP_E_NS1_11comp_targetILNS1_3genE10ELNS1_11target_archE1200ELNS1_3gpuE4ELNS1_3repE0EEENS1_30default_config_static_selectorELNS0_4arch9wavefront6targetE1EEEvT1_, .Lfunc_end4202-_ZN7rocprim17ROCPRIM_400000_NS6detail17trampoline_kernelINS0_14default_configENS1_20scan_config_selectorIdEEZZNS1_9scan_implILNS1_25lookback_scan_determinismE0ELb0ELb0ES3_N6thrust23THRUST_200600_302600_NS6detail15normal_iteratorINS9_10device_ptrIdEEEESE_dNS9_4plusIvEEdEEDaPvRmT3_T4_T5_mT6_P12ihipStream_tbENKUlT_T0_E_clISt17integral_constantIbLb0EEST_IbLb1EEEEDaSP_SQ_EUlSP_E_NS1_11comp_targetILNS1_3genE10ELNS1_11target_archE1200ELNS1_3gpuE4ELNS1_3repE0EEENS1_30default_config_static_selectorELNS0_4arch9wavefront6targetE1EEEvT1_
                                        ; -- End function
	.section	.AMDGPU.csdata,"",@progbits
; Kernel info:
; codeLenInByte = 0
; NumSgprs: 4
; NumVgprs: 0
; NumAgprs: 0
; TotalNumVgprs: 0
; ScratchSize: 0
; MemoryBound: 0
; FloatMode: 240
; IeeeMode: 1
; LDSByteSize: 0 bytes/workgroup (compile time only)
; SGPRBlocks: 0
; VGPRBlocks: 0
; NumSGPRsForWavesPerEU: 4
; NumVGPRsForWavesPerEU: 1
; AccumOffset: 4
; Occupancy: 8
; WaveLimiterHint : 0
; COMPUTE_PGM_RSRC2:SCRATCH_EN: 0
; COMPUTE_PGM_RSRC2:USER_SGPR: 6
; COMPUTE_PGM_RSRC2:TRAP_HANDLER: 0
; COMPUTE_PGM_RSRC2:TGID_X_EN: 1
; COMPUTE_PGM_RSRC2:TGID_Y_EN: 0
; COMPUTE_PGM_RSRC2:TGID_Z_EN: 0
; COMPUTE_PGM_RSRC2:TIDIG_COMP_CNT: 0
; COMPUTE_PGM_RSRC3_GFX90A:ACCUM_OFFSET: 0
; COMPUTE_PGM_RSRC3_GFX90A:TG_SPLIT: 0
	.section	.text._ZN7rocprim17ROCPRIM_400000_NS6detail17trampoline_kernelINS0_14default_configENS1_20scan_config_selectorIdEEZZNS1_9scan_implILNS1_25lookback_scan_determinismE0ELb0ELb0ES3_N6thrust23THRUST_200600_302600_NS6detail15normal_iteratorINS9_10device_ptrIdEEEESE_dNS9_4plusIvEEdEEDaPvRmT3_T4_T5_mT6_P12ihipStream_tbENKUlT_T0_E_clISt17integral_constantIbLb0EEST_IbLb1EEEEDaSP_SQ_EUlSP_E_NS1_11comp_targetILNS1_3genE9ELNS1_11target_archE1100ELNS1_3gpuE3ELNS1_3repE0EEENS1_30default_config_static_selectorELNS0_4arch9wavefront6targetE1EEEvT1_,"axG",@progbits,_ZN7rocprim17ROCPRIM_400000_NS6detail17trampoline_kernelINS0_14default_configENS1_20scan_config_selectorIdEEZZNS1_9scan_implILNS1_25lookback_scan_determinismE0ELb0ELb0ES3_N6thrust23THRUST_200600_302600_NS6detail15normal_iteratorINS9_10device_ptrIdEEEESE_dNS9_4plusIvEEdEEDaPvRmT3_T4_T5_mT6_P12ihipStream_tbENKUlT_T0_E_clISt17integral_constantIbLb0EEST_IbLb1EEEEDaSP_SQ_EUlSP_E_NS1_11comp_targetILNS1_3genE9ELNS1_11target_archE1100ELNS1_3gpuE3ELNS1_3repE0EEENS1_30default_config_static_selectorELNS0_4arch9wavefront6targetE1EEEvT1_,comdat
	.protected	_ZN7rocprim17ROCPRIM_400000_NS6detail17trampoline_kernelINS0_14default_configENS1_20scan_config_selectorIdEEZZNS1_9scan_implILNS1_25lookback_scan_determinismE0ELb0ELb0ES3_N6thrust23THRUST_200600_302600_NS6detail15normal_iteratorINS9_10device_ptrIdEEEESE_dNS9_4plusIvEEdEEDaPvRmT3_T4_T5_mT6_P12ihipStream_tbENKUlT_T0_E_clISt17integral_constantIbLb0EEST_IbLb1EEEEDaSP_SQ_EUlSP_E_NS1_11comp_targetILNS1_3genE9ELNS1_11target_archE1100ELNS1_3gpuE3ELNS1_3repE0EEENS1_30default_config_static_selectorELNS0_4arch9wavefront6targetE1EEEvT1_ ; -- Begin function _ZN7rocprim17ROCPRIM_400000_NS6detail17trampoline_kernelINS0_14default_configENS1_20scan_config_selectorIdEEZZNS1_9scan_implILNS1_25lookback_scan_determinismE0ELb0ELb0ES3_N6thrust23THRUST_200600_302600_NS6detail15normal_iteratorINS9_10device_ptrIdEEEESE_dNS9_4plusIvEEdEEDaPvRmT3_T4_T5_mT6_P12ihipStream_tbENKUlT_T0_E_clISt17integral_constantIbLb0EEST_IbLb1EEEEDaSP_SQ_EUlSP_E_NS1_11comp_targetILNS1_3genE9ELNS1_11target_archE1100ELNS1_3gpuE3ELNS1_3repE0EEENS1_30default_config_static_selectorELNS0_4arch9wavefront6targetE1EEEvT1_
	.globl	_ZN7rocprim17ROCPRIM_400000_NS6detail17trampoline_kernelINS0_14default_configENS1_20scan_config_selectorIdEEZZNS1_9scan_implILNS1_25lookback_scan_determinismE0ELb0ELb0ES3_N6thrust23THRUST_200600_302600_NS6detail15normal_iteratorINS9_10device_ptrIdEEEESE_dNS9_4plusIvEEdEEDaPvRmT3_T4_T5_mT6_P12ihipStream_tbENKUlT_T0_E_clISt17integral_constantIbLb0EEST_IbLb1EEEEDaSP_SQ_EUlSP_E_NS1_11comp_targetILNS1_3genE9ELNS1_11target_archE1100ELNS1_3gpuE3ELNS1_3repE0EEENS1_30default_config_static_selectorELNS0_4arch9wavefront6targetE1EEEvT1_
	.p2align	8
	.type	_ZN7rocprim17ROCPRIM_400000_NS6detail17trampoline_kernelINS0_14default_configENS1_20scan_config_selectorIdEEZZNS1_9scan_implILNS1_25lookback_scan_determinismE0ELb0ELb0ES3_N6thrust23THRUST_200600_302600_NS6detail15normal_iteratorINS9_10device_ptrIdEEEESE_dNS9_4plusIvEEdEEDaPvRmT3_T4_T5_mT6_P12ihipStream_tbENKUlT_T0_E_clISt17integral_constantIbLb0EEST_IbLb1EEEEDaSP_SQ_EUlSP_E_NS1_11comp_targetILNS1_3genE9ELNS1_11target_archE1100ELNS1_3gpuE3ELNS1_3repE0EEENS1_30default_config_static_selectorELNS0_4arch9wavefront6targetE1EEEvT1_,@function
_ZN7rocprim17ROCPRIM_400000_NS6detail17trampoline_kernelINS0_14default_configENS1_20scan_config_selectorIdEEZZNS1_9scan_implILNS1_25lookback_scan_determinismE0ELb0ELb0ES3_N6thrust23THRUST_200600_302600_NS6detail15normal_iteratorINS9_10device_ptrIdEEEESE_dNS9_4plusIvEEdEEDaPvRmT3_T4_T5_mT6_P12ihipStream_tbENKUlT_T0_E_clISt17integral_constantIbLb0EEST_IbLb1EEEEDaSP_SQ_EUlSP_E_NS1_11comp_targetILNS1_3genE9ELNS1_11target_archE1100ELNS1_3gpuE3ELNS1_3repE0EEENS1_30default_config_static_selectorELNS0_4arch9wavefront6targetE1EEEvT1_: ; @_ZN7rocprim17ROCPRIM_400000_NS6detail17trampoline_kernelINS0_14default_configENS1_20scan_config_selectorIdEEZZNS1_9scan_implILNS1_25lookback_scan_determinismE0ELb0ELb0ES3_N6thrust23THRUST_200600_302600_NS6detail15normal_iteratorINS9_10device_ptrIdEEEESE_dNS9_4plusIvEEdEEDaPvRmT3_T4_T5_mT6_P12ihipStream_tbENKUlT_T0_E_clISt17integral_constantIbLb0EEST_IbLb1EEEEDaSP_SQ_EUlSP_E_NS1_11comp_targetILNS1_3genE9ELNS1_11target_archE1100ELNS1_3gpuE3ELNS1_3repE0EEENS1_30default_config_static_selectorELNS0_4arch9wavefront6targetE1EEEvT1_
; %bb.0:
	.section	.rodata,"a",@progbits
	.p2align	6, 0x0
	.amdhsa_kernel _ZN7rocprim17ROCPRIM_400000_NS6detail17trampoline_kernelINS0_14default_configENS1_20scan_config_selectorIdEEZZNS1_9scan_implILNS1_25lookback_scan_determinismE0ELb0ELb0ES3_N6thrust23THRUST_200600_302600_NS6detail15normal_iteratorINS9_10device_ptrIdEEEESE_dNS9_4plusIvEEdEEDaPvRmT3_T4_T5_mT6_P12ihipStream_tbENKUlT_T0_E_clISt17integral_constantIbLb0EEST_IbLb1EEEEDaSP_SQ_EUlSP_E_NS1_11comp_targetILNS1_3genE9ELNS1_11target_archE1100ELNS1_3gpuE3ELNS1_3repE0EEENS1_30default_config_static_selectorELNS0_4arch9wavefront6targetE1EEEvT1_
		.amdhsa_group_segment_fixed_size 0
		.amdhsa_private_segment_fixed_size 0
		.amdhsa_kernarg_size 104
		.amdhsa_user_sgpr_count 6
		.amdhsa_user_sgpr_private_segment_buffer 1
		.amdhsa_user_sgpr_dispatch_ptr 0
		.amdhsa_user_sgpr_queue_ptr 0
		.amdhsa_user_sgpr_kernarg_segment_ptr 1
		.amdhsa_user_sgpr_dispatch_id 0
		.amdhsa_user_sgpr_flat_scratch_init 0
		.amdhsa_user_sgpr_kernarg_preload_length 0
		.amdhsa_user_sgpr_kernarg_preload_offset 0
		.amdhsa_user_sgpr_private_segment_size 0
		.amdhsa_uses_dynamic_stack 0
		.amdhsa_system_sgpr_private_segment_wavefront_offset 0
		.amdhsa_system_sgpr_workgroup_id_x 1
		.amdhsa_system_sgpr_workgroup_id_y 0
		.amdhsa_system_sgpr_workgroup_id_z 0
		.amdhsa_system_sgpr_workgroup_info 0
		.amdhsa_system_vgpr_workitem_id 0
		.amdhsa_next_free_vgpr 1
		.amdhsa_next_free_sgpr 0
		.amdhsa_accum_offset 4
		.amdhsa_reserve_vcc 0
		.amdhsa_reserve_flat_scratch 0
		.amdhsa_float_round_mode_32 0
		.amdhsa_float_round_mode_16_64 0
		.amdhsa_float_denorm_mode_32 3
		.amdhsa_float_denorm_mode_16_64 3
		.amdhsa_dx10_clamp 1
		.amdhsa_ieee_mode 1
		.amdhsa_fp16_overflow 0
		.amdhsa_tg_split 0
		.amdhsa_exception_fp_ieee_invalid_op 0
		.amdhsa_exception_fp_denorm_src 0
		.amdhsa_exception_fp_ieee_div_zero 0
		.amdhsa_exception_fp_ieee_overflow 0
		.amdhsa_exception_fp_ieee_underflow 0
		.amdhsa_exception_fp_ieee_inexact 0
		.amdhsa_exception_int_div_zero 0
	.end_amdhsa_kernel
	.section	.text._ZN7rocprim17ROCPRIM_400000_NS6detail17trampoline_kernelINS0_14default_configENS1_20scan_config_selectorIdEEZZNS1_9scan_implILNS1_25lookback_scan_determinismE0ELb0ELb0ES3_N6thrust23THRUST_200600_302600_NS6detail15normal_iteratorINS9_10device_ptrIdEEEESE_dNS9_4plusIvEEdEEDaPvRmT3_T4_T5_mT6_P12ihipStream_tbENKUlT_T0_E_clISt17integral_constantIbLb0EEST_IbLb1EEEEDaSP_SQ_EUlSP_E_NS1_11comp_targetILNS1_3genE9ELNS1_11target_archE1100ELNS1_3gpuE3ELNS1_3repE0EEENS1_30default_config_static_selectorELNS0_4arch9wavefront6targetE1EEEvT1_,"axG",@progbits,_ZN7rocprim17ROCPRIM_400000_NS6detail17trampoline_kernelINS0_14default_configENS1_20scan_config_selectorIdEEZZNS1_9scan_implILNS1_25lookback_scan_determinismE0ELb0ELb0ES3_N6thrust23THRUST_200600_302600_NS6detail15normal_iteratorINS9_10device_ptrIdEEEESE_dNS9_4plusIvEEdEEDaPvRmT3_T4_T5_mT6_P12ihipStream_tbENKUlT_T0_E_clISt17integral_constantIbLb0EEST_IbLb1EEEEDaSP_SQ_EUlSP_E_NS1_11comp_targetILNS1_3genE9ELNS1_11target_archE1100ELNS1_3gpuE3ELNS1_3repE0EEENS1_30default_config_static_selectorELNS0_4arch9wavefront6targetE1EEEvT1_,comdat
.Lfunc_end4203:
	.size	_ZN7rocprim17ROCPRIM_400000_NS6detail17trampoline_kernelINS0_14default_configENS1_20scan_config_selectorIdEEZZNS1_9scan_implILNS1_25lookback_scan_determinismE0ELb0ELb0ES3_N6thrust23THRUST_200600_302600_NS6detail15normal_iteratorINS9_10device_ptrIdEEEESE_dNS9_4plusIvEEdEEDaPvRmT3_T4_T5_mT6_P12ihipStream_tbENKUlT_T0_E_clISt17integral_constantIbLb0EEST_IbLb1EEEEDaSP_SQ_EUlSP_E_NS1_11comp_targetILNS1_3genE9ELNS1_11target_archE1100ELNS1_3gpuE3ELNS1_3repE0EEENS1_30default_config_static_selectorELNS0_4arch9wavefront6targetE1EEEvT1_, .Lfunc_end4203-_ZN7rocprim17ROCPRIM_400000_NS6detail17trampoline_kernelINS0_14default_configENS1_20scan_config_selectorIdEEZZNS1_9scan_implILNS1_25lookback_scan_determinismE0ELb0ELb0ES3_N6thrust23THRUST_200600_302600_NS6detail15normal_iteratorINS9_10device_ptrIdEEEESE_dNS9_4plusIvEEdEEDaPvRmT3_T4_T5_mT6_P12ihipStream_tbENKUlT_T0_E_clISt17integral_constantIbLb0EEST_IbLb1EEEEDaSP_SQ_EUlSP_E_NS1_11comp_targetILNS1_3genE9ELNS1_11target_archE1100ELNS1_3gpuE3ELNS1_3repE0EEENS1_30default_config_static_selectorELNS0_4arch9wavefront6targetE1EEEvT1_
                                        ; -- End function
	.section	.AMDGPU.csdata,"",@progbits
; Kernel info:
; codeLenInByte = 0
; NumSgprs: 4
; NumVgprs: 0
; NumAgprs: 0
; TotalNumVgprs: 0
; ScratchSize: 0
; MemoryBound: 0
; FloatMode: 240
; IeeeMode: 1
; LDSByteSize: 0 bytes/workgroup (compile time only)
; SGPRBlocks: 0
; VGPRBlocks: 0
; NumSGPRsForWavesPerEU: 4
; NumVGPRsForWavesPerEU: 1
; AccumOffset: 4
; Occupancy: 8
; WaveLimiterHint : 0
; COMPUTE_PGM_RSRC2:SCRATCH_EN: 0
; COMPUTE_PGM_RSRC2:USER_SGPR: 6
; COMPUTE_PGM_RSRC2:TRAP_HANDLER: 0
; COMPUTE_PGM_RSRC2:TGID_X_EN: 1
; COMPUTE_PGM_RSRC2:TGID_Y_EN: 0
; COMPUTE_PGM_RSRC2:TGID_Z_EN: 0
; COMPUTE_PGM_RSRC2:TIDIG_COMP_CNT: 0
; COMPUTE_PGM_RSRC3_GFX90A:ACCUM_OFFSET: 0
; COMPUTE_PGM_RSRC3_GFX90A:TG_SPLIT: 0
	.section	.text._ZN7rocprim17ROCPRIM_400000_NS6detail17trampoline_kernelINS0_14default_configENS1_20scan_config_selectorIdEEZZNS1_9scan_implILNS1_25lookback_scan_determinismE0ELb0ELb0ES3_N6thrust23THRUST_200600_302600_NS6detail15normal_iteratorINS9_10device_ptrIdEEEESE_dNS9_4plusIvEEdEEDaPvRmT3_T4_T5_mT6_P12ihipStream_tbENKUlT_T0_E_clISt17integral_constantIbLb0EEST_IbLb1EEEEDaSP_SQ_EUlSP_E_NS1_11comp_targetILNS1_3genE8ELNS1_11target_archE1030ELNS1_3gpuE2ELNS1_3repE0EEENS1_30default_config_static_selectorELNS0_4arch9wavefront6targetE1EEEvT1_,"axG",@progbits,_ZN7rocprim17ROCPRIM_400000_NS6detail17trampoline_kernelINS0_14default_configENS1_20scan_config_selectorIdEEZZNS1_9scan_implILNS1_25lookback_scan_determinismE0ELb0ELb0ES3_N6thrust23THRUST_200600_302600_NS6detail15normal_iteratorINS9_10device_ptrIdEEEESE_dNS9_4plusIvEEdEEDaPvRmT3_T4_T5_mT6_P12ihipStream_tbENKUlT_T0_E_clISt17integral_constantIbLb0EEST_IbLb1EEEEDaSP_SQ_EUlSP_E_NS1_11comp_targetILNS1_3genE8ELNS1_11target_archE1030ELNS1_3gpuE2ELNS1_3repE0EEENS1_30default_config_static_selectorELNS0_4arch9wavefront6targetE1EEEvT1_,comdat
	.protected	_ZN7rocprim17ROCPRIM_400000_NS6detail17trampoline_kernelINS0_14default_configENS1_20scan_config_selectorIdEEZZNS1_9scan_implILNS1_25lookback_scan_determinismE0ELb0ELb0ES3_N6thrust23THRUST_200600_302600_NS6detail15normal_iteratorINS9_10device_ptrIdEEEESE_dNS9_4plusIvEEdEEDaPvRmT3_T4_T5_mT6_P12ihipStream_tbENKUlT_T0_E_clISt17integral_constantIbLb0EEST_IbLb1EEEEDaSP_SQ_EUlSP_E_NS1_11comp_targetILNS1_3genE8ELNS1_11target_archE1030ELNS1_3gpuE2ELNS1_3repE0EEENS1_30default_config_static_selectorELNS0_4arch9wavefront6targetE1EEEvT1_ ; -- Begin function _ZN7rocprim17ROCPRIM_400000_NS6detail17trampoline_kernelINS0_14default_configENS1_20scan_config_selectorIdEEZZNS1_9scan_implILNS1_25lookback_scan_determinismE0ELb0ELb0ES3_N6thrust23THRUST_200600_302600_NS6detail15normal_iteratorINS9_10device_ptrIdEEEESE_dNS9_4plusIvEEdEEDaPvRmT3_T4_T5_mT6_P12ihipStream_tbENKUlT_T0_E_clISt17integral_constantIbLb0EEST_IbLb1EEEEDaSP_SQ_EUlSP_E_NS1_11comp_targetILNS1_3genE8ELNS1_11target_archE1030ELNS1_3gpuE2ELNS1_3repE0EEENS1_30default_config_static_selectorELNS0_4arch9wavefront6targetE1EEEvT1_
	.globl	_ZN7rocprim17ROCPRIM_400000_NS6detail17trampoline_kernelINS0_14default_configENS1_20scan_config_selectorIdEEZZNS1_9scan_implILNS1_25lookback_scan_determinismE0ELb0ELb0ES3_N6thrust23THRUST_200600_302600_NS6detail15normal_iteratorINS9_10device_ptrIdEEEESE_dNS9_4plusIvEEdEEDaPvRmT3_T4_T5_mT6_P12ihipStream_tbENKUlT_T0_E_clISt17integral_constantIbLb0EEST_IbLb1EEEEDaSP_SQ_EUlSP_E_NS1_11comp_targetILNS1_3genE8ELNS1_11target_archE1030ELNS1_3gpuE2ELNS1_3repE0EEENS1_30default_config_static_selectorELNS0_4arch9wavefront6targetE1EEEvT1_
	.p2align	8
	.type	_ZN7rocprim17ROCPRIM_400000_NS6detail17trampoline_kernelINS0_14default_configENS1_20scan_config_selectorIdEEZZNS1_9scan_implILNS1_25lookback_scan_determinismE0ELb0ELb0ES3_N6thrust23THRUST_200600_302600_NS6detail15normal_iteratorINS9_10device_ptrIdEEEESE_dNS9_4plusIvEEdEEDaPvRmT3_T4_T5_mT6_P12ihipStream_tbENKUlT_T0_E_clISt17integral_constantIbLb0EEST_IbLb1EEEEDaSP_SQ_EUlSP_E_NS1_11comp_targetILNS1_3genE8ELNS1_11target_archE1030ELNS1_3gpuE2ELNS1_3repE0EEENS1_30default_config_static_selectorELNS0_4arch9wavefront6targetE1EEEvT1_,@function
_ZN7rocprim17ROCPRIM_400000_NS6detail17trampoline_kernelINS0_14default_configENS1_20scan_config_selectorIdEEZZNS1_9scan_implILNS1_25lookback_scan_determinismE0ELb0ELb0ES3_N6thrust23THRUST_200600_302600_NS6detail15normal_iteratorINS9_10device_ptrIdEEEESE_dNS9_4plusIvEEdEEDaPvRmT3_T4_T5_mT6_P12ihipStream_tbENKUlT_T0_E_clISt17integral_constantIbLb0EEST_IbLb1EEEEDaSP_SQ_EUlSP_E_NS1_11comp_targetILNS1_3genE8ELNS1_11target_archE1030ELNS1_3gpuE2ELNS1_3repE0EEENS1_30default_config_static_selectorELNS0_4arch9wavefront6targetE1EEEvT1_: ; @_ZN7rocprim17ROCPRIM_400000_NS6detail17trampoline_kernelINS0_14default_configENS1_20scan_config_selectorIdEEZZNS1_9scan_implILNS1_25lookback_scan_determinismE0ELb0ELb0ES3_N6thrust23THRUST_200600_302600_NS6detail15normal_iteratorINS9_10device_ptrIdEEEESE_dNS9_4plusIvEEdEEDaPvRmT3_T4_T5_mT6_P12ihipStream_tbENKUlT_T0_E_clISt17integral_constantIbLb0EEST_IbLb1EEEEDaSP_SQ_EUlSP_E_NS1_11comp_targetILNS1_3genE8ELNS1_11target_archE1030ELNS1_3gpuE2ELNS1_3repE0EEENS1_30default_config_static_selectorELNS0_4arch9wavefront6targetE1EEEvT1_
; %bb.0:
	.section	.rodata,"a",@progbits
	.p2align	6, 0x0
	.amdhsa_kernel _ZN7rocprim17ROCPRIM_400000_NS6detail17trampoline_kernelINS0_14default_configENS1_20scan_config_selectorIdEEZZNS1_9scan_implILNS1_25lookback_scan_determinismE0ELb0ELb0ES3_N6thrust23THRUST_200600_302600_NS6detail15normal_iteratorINS9_10device_ptrIdEEEESE_dNS9_4plusIvEEdEEDaPvRmT3_T4_T5_mT6_P12ihipStream_tbENKUlT_T0_E_clISt17integral_constantIbLb0EEST_IbLb1EEEEDaSP_SQ_EUlSP_E_NS1_11comp_targetILNS1_3genE8ELNS1_11target_archE1030ELNS1_3gpuE2ELNS1_3repE0EEENS1_30default_config_static_selectorELNS0_4arch9wavefront6targetE1EEEvT1_
		.amdhsa_group_segment_fixed_size 0
		.amdhsa_private_segment_fixed_size 0
		.amdhsa_kernarg_size 104
		.amdhsa_user_sgpr_count 6
		.amdhsa_user_sgpr_private_segment_buffer 1
		.amdhsa_user_sgpr_dispatch_ptr 0
		.amdhsa_user_sgpr_queue_ptr 0
		.amdhsa_user_sgpr_kernarg_segment_ptr 1
		.amdhsa_user_sgpr_dispatch_id 0
		.amdhsa_user_sgpr_flat_scratch_init 0
		.amdhsa_user_sgpr_kernarg_preload_length 0
		.amdhsa_user_sgpr_kernarg_preload_offset 0
		.amdhsa_user_sgpr_private_segment_size 0
		.amdhsa_uses_dynamic_stack 0
		.amdhsa_system_sgpr_private_segment_wavefront_offset 0
		.amdhsa_system_sgpr_workgroup_id_x 1
		.amdhsa_system_sgpr_workgroup_id_y 0
		.amdhsa_system_sgpr_workgroup_id_z 0
		.amdhsa_system_sgpr_workgroup_info 0
		.amdhsa_system_vgpr_workitem_id 0
		.amdhsa_next_free_vgpr 1
		.amdhsa_next_free_sgpr 0
		.amdhsa_accum_offset 4
		.amdhsa_reserve_vcc 0
		.amdhsa_reserve_flat_scratch 0
		.amdhsa_float_round_mode_32 0
		.amdhsa_float_round_mode_16_64 0
		.amdhsa_float_denorm_mode_32 3
		.amdhsa_float_denorm_mode_16_64 3
		.amdhsa_dx10_clamp 1
		.amdhsa_ieee_mode 1
		.amdhsa_fp16_overflow 0
		.amdhsa_tg_split 0
		.amdhsa_exception_fp_ieee_invalid_op 0
		.amdhsa_exception_fp_denorm_src 0
		.amdhsa_exception_fp_ieee_div_zero 0
		.amdhsa_exception_fp_ieee_overflow 0
		.amdhsa_exception_fp_ieee_underflow 0
		.amdhsa_exception_fp_ieee_inexact 0
		.amdhsa_exception_int_div_zero 0
	.end_amdhsa_kernel
	.section	.text._ZN7rocprim17ROCPRIM_400000_NS6detail17trampoline_kernelINS0_14default_configENS1_20scan_config_selectorIdEEZZNS1_9scan_implILNS1_25lookback_scan_determinismE0ELb0ELb0ES3_N6thrust23THRUST_200600_302600_NS6detail15normal_iteratorINS9_10device_ptrIdEEEESE_dNS9_4plusIvEEdEEDaPvRmT3_T4_T5_mT6_P12ihipStream_tbENKUlT_T0_E_clISt17integral_constantIbLb0EEST_IbLb1EEEEDaSP_SQ_EUlSP_E_NS1_11comp_targetILNS1_3genE8ELNS1_11target_archE1030ELNS1_3gpuE2ELNS1_3repE0EEENS1_30default_config_static_selectorELNS0_4arch9wavefront6targetE1EEEvT1_,"axG",@progbits,_ZN7rocprim17ROCPRIM_400000_NS6detail17trampoline_kernelINS0_14default_configENS1_20scan_config_selectorIdEEZZNS1_9scan_implILNS1_25lookback_scan_determinismE0ELb0ELb0ES3_N6thrust23THRUST_200600_302600_NS6detail15normal_iteratorINS9_10device_ptrIdEEEESE_dNS9_4plusIvEEdEEDaPvRmT3_T4_T5_mT6_P12ihipStream_tbENKUlT_T0_E_clISt17integral_constantIbLb0EEST_IbLb1EEEEDaSP_SQ_EUlSP_E_NS1_11comp_targetILNS1_3genE8ELNS1_11target_archE1030ELNS1_3gpuE2ELNS1_3repE0EEENS1_30default_config_static_selectorELNS0_4arch9wavefront6targetE1EEEvT1_,comdat
.Lfunc_end4204:
	.size	_ZN7rocprim17ROCPRIM_400000_NS6detail17trampoline_kernelINS0_14default_configENS1_20scan_config_selectorIdEEZZNS1_9scan_implILNS1_25lookback_scan_determinismE0ELb0ELb0ES3_N6thrust23THRUST_200600_302600_NS6detail15normal_iteratorINS9_10device_ptrIdEEEESE_dNS9_4plusIvEEdEEDaPvRmT3_T4_T5_mT6_P12ihipStream_tbENKUlT_T0_E_clISt17integral_constantIbLb0EEST_IbLb1EEEEDaSP_SQ_EUlSP_E_NS1_11comp_targetILNS1_3genE8ELNS1_11target_archE1030ELNS1_3gpuE2ELNS1_3repE0EEENS1_30default_config_static_selectorELNS0_4arch9wavefront6targetE1EEEvT1_, .Lfunc_end4204-_ZN7rocprim17ROCPRIM_400000_NS6detail17trampoline_kernelINS0_14default_configENS1_20scan_config_selectorIdEEZZNS1_9scan_implILNS1_25lookback_scan_determinismE0ELb0ELb0ES3_N6thrust23THRUST_200600_302600_NS6detail15normal_iteratorINS9_10device_ptrIdEEEESE_dNS9_4plusIvEEdEEDaPvRmT3_T4_T5_mT6_P12ihipStream_tbENKUlT_T0_E_clISt17integral_constantIbLb0EEST_IbLb1EEEEDaSP_SQ_EUlSP_E_NS1_11comp_targetILNS1_3genE8ELNS1_11target_archE1030ELNS1_3gpuE2ELNS1_3repE0EEENS1_30default_config_static_selectorELNS0_4arch9wavefront6targetE1EEEvT1_
                                        ; -- End function
	.section	.AMDGPU.csdata,"",@progbits
; Kernel info:
; codeLenInByte = 0
; NumSgprs: 4
; NumVgprs: 0
; NumAgprs: 0
; TotalNumVgprs: 0
; ScratchSize: 0
; MemoryBound: 0
; FloatMode: 240
; IeeeMode: 1
; LDSByteSize: 0 bytes/workgroup (compile time only)
; SGPRBlocks: 0
; VGPRBlocks: 0
; NumSGPRsForWavesPerEU: 4
; NumVGPRsForWavesPerEU: 1
; AccumOffset: 4
; Occupancy: 8
; WaveLimiterHint : 0
; COMPUTE_PGM_RSRC2:SCRATCH_EN: 0
; COMPUTE_PGM_RSRC2:USER_SGPR: 6
; COMPUTE_PGM_RSRC2:TRAP_HANDLER: 0
; COMPUTE_PGM_RSRC2:TGID_X_EN: 1
; COMPUTE_PGM_RSRC2:TGID_Y_EN: 0
; COMPUTE_PGM_RSRC2:TGID_Z_EN: 0
; COMPUTE_PGM_RSRC2:TIDIG_COMP_CNT: 0
; COMPUTE_PGM_RSRC3_GFX90A:ACCUM_OFFSET: 0
; COMPUTE_PGM_RSRC3_GFX90A:TG_SPLIT: 0
	.section	.text._ZN7rocprim17ROCPRIM_400000_NS6detail17trampoline_kernelINS0_14default_configENS1_20scan_config_selectorIdEEZZNS1_9scan_implILNS1_25lookback_scan_determinismE0ELb0ELb0ES3_N6thrust23THRUST_200600_302600_NS6detail15normal_iteratorINS9_10device_ptrIdEEEESE_dNS9_4plusIvEEdEEDaPvRmT3_T4_T5_mT6_P12ihipStream_tbENKUlT_T0_E_clISt17integral_constantIbLb0EEST_IbLb1EEEEDaSP_SQ_EUlSP_E0_NS1_11comp_targetILNS1_3genE0ELNS1_11target_archE4294967295ELNS1_3gpuE0ELNS1_3repE0EEENS1_30default_config_static_selectorELNS0_4arch9wavefront6targetE1EEEvT1_,"axG",@progbits,_ZN7rocprim17ROCPRIM_400000_NS6detail17trampoline_kernelINS0_14default_configENS1_20scan_config_selectorIdEEZZNS1_9scan_implILNS1_25lookback_scan_determinismE0ELb0ELb0ES3_N6thrust23THRUST_200600_302600_NS6detail15normal_iteratorINS9_10device_ptrIdEEEESE_dNS9_4plusIvEEdEEDaPvRmT3_T4_T5_mT6_P12ihipStream_tbENKUlT_T0_E_clISt17integral_constantIbLb0EEST_IbLb1EEEEDaSP_SQ_EUlSP_E0_NS1_11comp_targetILNS1_3genE0ELNS1_11target_archE4294967295ELNS1_3gpuE0ELNS1_3repE0EEENS1_30default_config_static_selectorELNS0_4arch9wavefront6targetE1EEEvT1_,comdat
	.protected	_ZN7rocprim17ROCPRIM_400000_NS6detail17trampoline_kernelINS0_14default_configENS1_20scan_config_selectorIdEEZZNS1_9scan_implILNS1_25lookback_scan_determinismE0ELb0ELb0ES3_N6thrust23THRUST_200600_302600_NS6detail15normal_iteratorINS9_10device_ptrIdEEEESE_dNS9_4plusIvEEdEEDaPvRmT3_T4_T5_mT6_P12ihipStream_tbENKUlT_T0_E_clISt17integral_constantIbLb0EEST_IbLb1EEEEDaSP_SQ_EUlSP_E0_NS1_11comp_targetILNS1_3genE0ELNS1_11target_archE4294967295ELNS1_3gpuE0ELNS1_3repE0EEENS1_30default_config_static_selectorELNS0_4arch9wavefront6targetE1EEEvT1_ ; -- Begin function _ZN7rocprim17ROCPRIM_400000_NS6detail17trampoline_kernelINS0_14default_configENS1_20scan_config_selectorIdEEZZNS1_9scan_implILNS1_25lookback_scan_determinismE0ELb0ELb0ES3_N6thrust23THRUST_200600_302600_NS6detail15normal_iteratorINS9_10device_ptrIdEEEESE_dNS9_4plusIvEEdEEDaPvRmT3_T4_T5_mT6_P12ihipStream_tbENKUlT_T0_E_clISt17integral_constantIbLb0EEST_IbLb1EEEEDaSP_SQ_EUlSP_E0_NS1_11comp_targetILNS1_3genE0ELNS1_11target_archE4294967295ELNS1_3gpuE0ELNS1_3repE0EEENS1_30default_config_static_selectorELNS0_4arch9wavefront6targetE1EEEvT1_
	.globl	_ZN7rocprim17ROCPRIM_400000_NS6detail17trampoline_kernelINS0_14default_configENS1_20scan_config_selectorIdEEZZNS1_9scan_implILNS1_25lookback_scan_determinismE0ELb0ELb0ES3_N6thrust23THRUST_200600_302600_NS6detail15normal_iteratorINS9_10device_ptrIdEEEESE_dNS9_4plusIvEEdEEDaPvRmT3_T4_T5_mT6_P12ihipStream_tbENKUlT_T0_E_clISt17integral_constantIbLb0EEST_IbLb1EEEEDaSP_SQ_EUlSP_E0_NS1_11comp_targetILNS1_3genE0ELNS1_11target_archE4294967295ELNS1_3gpuE0ELNS1_3repE0EEENS1_30default_config_static_selectorELNS0_4arch9wavefront6targetE1EEEvT1_
	.p2align	8
	.type	_ZN7rocprim17ROCPRIM_400000_NS6detail17trampoline_kernelINS0_14default_configENS1_20scan_config_selectorIdEEZZNS1_9scan_implILNS1_25lookback_scan_determinismE0ELb0ELb0ES3_N6thrust23THRUST_200600_302600_NS6detail15normal_iteratorINS9_10device_ptrIdEEEESE_dNS9_4plusIvEEdEEDaPvRmT3_T4_T5_mT6_P12ihipStream_tbENKUlT_T0_E_clISt17integral_constantIbLb0EEST_IbLb1EEEEDaSP_SQ_EUlSP_E0_NS1_11comp_targetILNS1_3genE0ELNS1_11target_archE4294967295ELNS1_3gpuE0ELNS1_3repE0EEENS1_30default_config_static_selectorELNS0_4arch9wavefront6targetE1EEEvT1_,@function
_ZN7rocprim17ROCPRIM_400000_NS6detail17trampoline_kernelINS0_14default_configENS1_20scan_config_selectorIdEEZZNS1_9scan_implILNS1_25lookback_scan_determinismE0ELb0ELb0ES3_N6thrust23THRUST_200600_302600_NS6detail15normal_iteratorINS9_10device_ptrIdEEEESE_dNS9_4plusIvEEdEEDaPvRmT3_T4_T5_mT6_P12ihipStream_tbENKUlT_T0_E_clISt17integral_constantIbLb0EEST_IbLb1EEEEDaSP_SQ_EUlSP_E0_NS1_11comp_targetILNS1_3genE0ELNS1_11target_archE4294967295ELNS1_3gpuE0ELNS1_3repE0EEENS1_30default_config_static_selectorELNS0_4arch9wavefront6targetE1EEEvT1_: ; @_ZN7rocprim17ROCPRIM_400000_NS6detail17trampoline_kernelINS0_14default_configENS1_20scan_config_selectorIdEEZZNS1_9scan_implILNS1_25lookback_scan_determinismE0ELb0ELb0ES3_N6thrust23THRUST_200600_302600_NS6detail15normal_iteratorINS9_10device_ptrIdEEEESE_dNS9_4plusIvEEdEEDaPvRmT3_T4_T5_mT6_P12ihipStream_tbENKUlT_T0_E_clISt17integral_constantIbLb0EEST_IbLb1EEEEDaSP_SQ_EUlSP_E0_NS1_11comp_targetILNS1_3genE0ELNS1_11target_archE4294967295ELNS1_3gpuE0ELNS1_3repE0EEENS1_30default_config_static_selectorELNS0_4arch9wavefront6targetE1EEEvT1_
; %bb.0:
	.section	.rodata,"a",@progbits
	.p2align	6, 0x0
	.amdhsa_kernel _ZN7rocprim17ROCPRIM_400000_NS6detail17trampoline_kernelINS0_14default_configENS1_20scan_config_selectorIdEEZZNS1_9scan_implILNS1_25lookback_scan_determinismE0ELb0ELb0ES3_N6thrust23THRUST_200600_302600_NS6detail15normal_iteratorINS9_10device_ptrIdEEEESE_dNS9_4plusIvEEdEEDaPvRmT3_T4_T5_mT6_P12ihipStream_tbENKUlT_T0_E_clISt17integral_constantIbLb0EEST_IbLb1EEEEDaSP_SQ_EUlSP_E0_NS1_11comp_targetILNS1_3genE0ELNS1_11target_archE4294967295ELNS1_3gpuE0ELNS1_3repE0EEENS1_30default_config_static_selectorELNS0_4arch9wavefront6targetE1EEEvT1_
		.amdhsa_group_segment_fixed_size 0
		.amdhsa_private_segment_fixed_size 0
		.amdhsa_kernarg_size 40
		.amdhsa_user_sgpr_count 6
		.amdhsa_user_sgpr_private_segment_buffer 1
		.amdhsa_user_sgpr_dispatch_ptr 0
		.amdhsa_user_sgpr_queue_ptr 0
		.amdhsa_user_sgpr_kernarg_segment_ptr 1
		.amdhsa_user_sgpr_dispatch_id 0
		.amdhsa_user_sgpr_flat_scratch_init 0
		.amdhsa_user_sgpr_kernarg_preload_length 0
		.amdhsa_user_sgpr_kernarg_preload_offset 0
		.amdhsa_user_sgpr_private_segment_size 0
		.amdhsa_uses_dynamic_stack 0
		.amdhsa_system_sgpr_private_segment_wavefront_offset 0
		.amdhsa_system_sgpr_workgroup_id_x 1
		.amdhsa_system_sgpr_workgroup_id_y 0
		.amdhsa_system_sgpr_workgroup_id_z 0
		.amdhsa_system_sgpr_workgroup_info 0
		.amdhsa_system_vgpr_workitem_id 0
		.amdhsa_next_free_vgpr 1
		.amdhsa_next_free_sgpr 0
		.amdhsa_accum_offset 4
		.amdhsa_reserve_vcc 0
		.amdhsa_reserve_flat_scratch 0
		.amdhsa_float_round_mode_32 0
		.amdhsa_float_round_mode_16_64 0
		.amdhsa_float_denorm_mode_32 3
		.amdhsa_float_denorm_mode_16_64 3
		.amdhsa_dx10_clamp 1
		.amdhsa_ieee_mode 1
		.amdhsa_fp16_overflow 0
		.amdhsa_tg_split 0
		.amdhsa_exception_fp_ieee_invalid_op 0
		.amdhsa_exception_fp_denorm_src 0
		.amdhsa_exception_fp_ieee_div_zero 0
		.amdhsa_exception_fp_ieee_overflow 0
		.amdhsa_exception_fp_ieee_underflow 0
		.amdhsa_exception_fp_ieee_inexact 0
		.amdhsa_exception_int_div_zero 0
	.end_amdhsa_kernel
	.section	.text._ZN7rocprim17ROCPRIM_400000_NS6detail17trampoline_kernelINS0_14default_configENS1_20scan_config_selectorIdEEZZNS1_9scan_implILNS1_25lookback_scan_determinismE0ELb0ELb0ES3_N6thrust23THRUST_200600_302600_NS6detail15normal_iteratorINS9_10device_ptrIdEEEESE_dNS9_4plusIvEEdEEDaPvRmT3_T4_T5_mT6_P12ihipStream_tbENKUlT_T0_E_clISt17integral_constantIbLb0EEST_IbLb1EEEEDaSP_SQ_EUlSP_E0_NS1_11comp_targetILNS1_3genE0ELNS1_11target_archE4294967295ELNS1_3gpuE0ELNS1_3repE0EEENS1_30default_config_static_selectorELNS0_4arch9wavefront6targetE1EEEvT1_,"axG",@progbits,_ZN7rocprim17ROCPRIM_400000_NS6detail17trampoline_kernelINS0_14default_configENS1_20scan_config_selectorIdEEZZNS1_9scan_implILNS1_25lookback_scan_determinismE0ELb0ELb0ES3_N6thrust23THRUST_200600_302600_NS6detail15normal_iteratorINS9_10device_ptrIdEEEESE_dNS9_4plusIvEEdEEDaPvRmT3_T4_T5_mT6_P12ihipStream_tbENKUlT_T0_E_clISt17integral_constantIbLb0EEST_IbLb1EEEEDaSP_SQ_EUlSP_E0_NS1_11comp_targetILNS1_3genE0ELNS1_11target_archE4294967295ELNS1_3gpuE0ELNS1_3repE0EEENS1_30default_config_static_selectorELNS0_4arch9wavefront6targetE1EEEvT1_,comdat
.Lfunc_end4205:
	.size	_ZN7rocprim17ROCPRIM_400000_NS6detail17trampoline_kernelINS0_14default_configENS1_20scan_config_selectorIdEEZZNS1_9scan_implILNS1_25lookback_scan_determinismE0ELb0ELb0ES3_N6thrust23THRUST_200600_302600_NS6detail15normal_iteratorINS9_10device_ptrIdEEEESE_dNS9_4plusIvEEdEEDaPvRmT3_T4_T5_mT6_P12ihipStream_tbENKUlT_T0_E_clISt17integral_constantIbLb0EEST_IbLb1EEEEDaSP_SQ_EUlSP_E0_NS1_11comp_targetILNS1_3genE0ELNS1_11target_archE4294967295ELNS1_3gpuE0ELNS1_3repE0EEENS1_30default_config_static_selectorELNS0_4arch9wavefront6targetE1EEEvT1_, .Lfunc_end4205-_ZN7rocprim17ROCPRIM_400000_NS6detail17trampoline_kernelINS0_14default_configENS1_20scan_config_selectorIdEEZZNS1_9scan_implILNS1_25lookback_scan_determinismE0ELb0ELb0ES3_N6thrust23THRUST_200600_302600_NS6detail15normal_iteratorINS9_10device_ptrIdEEEESE_dNS9_4plusIvEEdEEDaPvRmT3_T4_T5_mT6_P12ihipStream_tbENKUlT_T0_E_clISt17integral_constantIbLb0EEST_IbLb1EEEEDaSP_SQ_EUlSP_E0_NS1_11comp_targetILNS1_3genE0ELNS1_11target_archE4294967295ELNS1_3gpuE0ELNS1_3repE0EEENS1_30default_config_static_selectorELNS0_4arch9wavefront6targetE1EEEvT1_
                                        ; -- End function
	.section	.AMDGPU.csdata,"",@progbits
; Kernel info:
; codeLenInByte = 0
; NumSgprs: 4
; NumVgprs: 0
; NumAgprs: 0
; TotalNumVgprs: 0
; ScratchSize: 0
; MemoryBound: 0
; FloatMode: 240
; IeeeMode: 1
; LDSByteSize: 0 bytes/workgroup (compile time only)
; SGPRBlocks: 0
; VGPRBlocks: 0
; NumSGPRsForWavesPerEU: 4
; NumVGPRsForWavesPerEU: 1
; AccumOffset: 4
; Occupancy: 8
; WaveLimiterHint : 0
; COMPUTE_PGM_RSRC2:SCRATCH_EN: 0
; COMPUTE_PGM_RSRC2:USER_SGPR: 6
; COMPUTE_PGM_RSRC2:TRAP_HANDLER: 0
; COMPUTE_PGM_RSRC2:TGID_X_EN: 1
; COMPUTE_PGM_RSRC2:TGID_Y_EN: 0
; COMPUTE_PGM_RSRC2:TGID_Z_EN: 0
; COMPUTE_PGM_RSRC2:TIDIG_COMP_CNT: 0
; COMPUTE_PGM_RSRC3_GFX90A:ACCUM_OFFSET: 0
; COMPUTE_PGM_RSRC3_GFX90A:TG_SPLIT: 0
	.section	.text._ZN7rocprim17ROCPRIM_400000_NS6detail17trampoline_kernelINS0_14default_configENS1_20scan_config_selectorIdEEZZNS1_9scan_implILNS1_25lookback_scan_determinismE0ELb0ELb0ES3_N6thrust23THRUST_200600_302600_NS6detail15normal_iteratorINS9_10device_ptrIdEEEESE_dNS9_4plusIvEEdEEDaPvRmT3_T4_T5_mT6_P12ihipStream_tbENKUlT_T0_E_clISt17integral_constantIbLb0EEST_IbLb1EEEEDaSP_SQ_EUlSP_E0_NS1_11comp_targetILNS1_3genE5ELNS1_11target_archE942ELNS1_3gpuE9ELNS1_3repE0EEENS1_30default_config_static_selectorELNS0_4arch9wavefront6targetE1EEEvT1_,"axG",@progbits,_ZN7rocprim17ROCPRIM_400000_NS6detail17trampoline_kernelINS0_14default_configENS1_20scan_config_selectorIdEEZZNS1_9scan_implILNS1_25lookback_scan_determinismE0ELb0ELb0ES3_N6thrust23THRUST_200600_302600_NS6detail15normal_iteratorINS9_10device_ptrIdEEEESE_dNS9_4plusIvEEdEEDaPvRmT3_T4_T5_mT6_P12ihipStream_tbENKUlT_T0_E_clISt17integral_constantIbLb0EEST_IbLb1EEEEDaSP_SQ_EUlSP_E0_NS1_11comp_targetILNS1_3genE5ELNS1_11target_archE942ELNS1_3gpuE9ELNS1_3repE0EEENS1_30default_config_static_selectorELNS0_4arch9wavefront6targetE1EEEvT1_,comdat
	.protected	_ZN7rocprim17ROCPRIM_400000_NS6detail17trampoline_kernelINS0_14default_configENS1_20scan_config_selectorIdEEZZNS1_9scan_implILNS1_25lookback_scan_determinismE0ELb0ELb0ES3_N6thrust23THRUST_200600_302600_NS6detail15normal_iteratorINS9_10device_ptrIdEEEESE_dNS9_4plusIvEEdEEDaPvRmT3_T4_T5_mT6_P12ihipStream_tbENKUlT_T0_E_clISt17integral_constantIbLb0EEST_IbLb1EEEEDaSP_SQ_EUlSP_E0_NS1_11comp_targetILNS1_3genE5ELNS1_11target_archE942ELNS1_3gpuE9ELNS1_3repE0EEENS1_30default_config_static_selectorELNS0_4arch9wavefront6targetE1EEEvT1_ ; -- Begin function _ZN7rocprim17ROCPRIM_400000_NS6detail17trampoline_kernelINS0_14default_configENS1_20scan_config_selectorIdEEZZNS1_9scan_implILNS1_25lookback_scan_determinismE0ELb0ELb0ES3_N6thrust23THRUST_200600_302600_NS6detail15normal_iteratorINS9_10device_ptrIdEEEESE_dNS9_4plusIvEEdEEDaPvRmT3_T4_T5_mT6_P12ihipStream_tbENKUlT_T0_E_clISt17integral_constantIbLb0EEST_IbLb1EEEEDaSP_SQ_EUlSP_E0_NS1_11comp_targetILNS1_3genE5ELNS1_11target_archE942ELNS1_3gpuE9ELNS1_3repE0EEENS1_30default_config_static_selectorELNS0_4arch9wavefront6targetE1EEEvT1_
	.globl	_ZN7rocprim17ROCPRIM_400000_NS6detail17trampoline_kernelINS0_14default_configENS1_20scan_config_selectorIdEEZZNS1_9scan_implILNS1_25lookback_scan_determinismE0ELb0ELb0ES3_N6thrust23THRUST_200600_302600_NS6detail15normal_iteratorINS9_10device_ptrIdEEEESE_dNS9_4plusIvEEdEEDaPvRmT3_T4_T5_mT6_P12ihipStream_tbENKUlT_T0_E_clISt17integral_constantIbLb0EEST_IbLb1EEEEDaSP_SQ_EUlSP_E0_NS1_11comp_targetILNS1_3genE5ELNS1_11target_archE942ELNS1_3gpuE9ELNS1_3repE0EEENS1_30default_config_static_selectorELNS0_4arch9wavefront6targetE1EEEvT1_
	.p2align	8
	.type	_ZN7rocprim17ROCPRIM_400000_NS6detail17trampoline_kernelINS0_14default_configENS1_20scan_config_selectorIdEEZZNS1_9scan_implILNS1_25lookback_scan_determinismE0ELb0ELb0ES3_N6thrust23THRUST_200600_302600_NS6detail15normal_iteratorINS9_10device_ptrIdEEEESE_dNS9_4plusIvEEdEEDaPvRmT3_T4_T5_mT6_P12ihipStream_tbENKUlT_T0_E_clISt17integral_constantIbLb0EEST_IbLb1EEEEDaSP_SQ_EUlSP_E0_NS1_11comp_targetILNS1_3genE5ELNS1_11target_archE942ELNS1_3gpuE9ELNS1_3repE0EEENS1_30default_config_static_selectorELNS0_4arch9wavefront6targetE1EEEvT1_,@function
_ZN7rocprim17ROCPRIM_400000_NS6detail17trampoline_kernelINS0_14default_configENS1_20scan_config_selectorIdEEZZNS1_9scan_implILNS1_25lookback_scan_determinismE0ELb0ELb0ES3_N6thrust23THRUST_200600_302600_NS6detail15normal_iteratorINS9_10device_ptrIdEEEESE_dNS9_4plusIvEEdEEDaPvRmT3_T4_T5_mT6_P12ihipStream_tbENKUlT_T0_E_clISt17integral_constantIbLb0EEST_IbLb1EEEEDaSP_SQ_EUlSP_E0_NS1_11comp_targetILNS1_3genE5ELNS1_11target_archE942ELNS1_3gpuE9ELNS1_3repE0EEENS1_30default_config_static_selectorELNS0_4arch9wavefront6targetE1EEEvT1_: ; @_ZN7rocprim17ROCPRIM_400000_NS6detail17trampoline_kernelINS0_14default_configENS1_20scan_config_selectorIdEEZZNS1_9scan_implILNS1_25lookback_scan_determinismE0ELb0ELb0ES3_N6thrust23THRUST_200600_302600_NS6detail15normal_iteratorINS9_10device_ptrIdEEEESE_dNS9_4plusIvEEdEEDaPvRmT3_T4_T5_mT6_P12ihipStream_tbENKUlT_T0_E_clISt17integral_constantIbLb0EEST_IbLb1EEEEDaSP_SQ_EUlSP_E0_NS1_11comp_targetILNS1_3genE5ELNS1_11target_archE942ELNS1_3gpuE9ELNS1_3repE0EEENS1_30default_config_static_selectorELNS0_4arch9wavefront6targetE1EEEvT1_
; %bb.0:
	.section	.rodata,"a",@progbits
	.p2align	6, 0x0
	.amdhsa_kernel _ZN7rocprim17ROCPRIM_400000_NS6detail17trampoline_kernelINS0_14default_configENS1_20scan_config_selectorIdEEZZNS1_9scan_implILNS1_25lookback_scan_determinismE0ELb0ELb0ES3_N6thrust23THRUST_200600_302600_NS6detail15normal_iteratorINS9_10device_ptrIdEEEESE_dNS9_4plusIvEEdEEDaPvRmT3_T4_T5_mT6_P12ihipStream_tbENKUlT_T0_E_clISt17integral_constantIbLb0EEST_IbLb1EEEEDaSP_SQ_EUlSP_E0_NS1_11comp_targetILNS1_3genE5ELNS1_11target_archE942ELNS1_3gpuE9ELNS1_3repE0EEENS1_30default_config_static_selectorELNS0_4arch9wavefront6targetE1EEEvT1_
		.amdhsa_group_segment_fixed_size 0
		.amdhsa_private_segment_fixed_size 0
		.amdhsa_kernarg_size 40
		.amdhsa_user_sgpr_count 6
		.amdhsa_user_sgpr_private_segment_buffer 1
		.amdhsa_user_sgpr_dispatch_ptr 0
		.amdhsa_user_sgpr_queue_ptr 0
		.amdhsa_user_sgpr_kernarg_segment_ptr 1
		.amdhsa_user_sgpr_dispatch_id 0
		.amdhsa_user_sgpr_flat_scratch_init 0
		.amdhsa_user_sgpr_kernarg_preload_length 0
		.amdhsa_user_sgpr_kernarg_preload_offset 0
		.amdhsa_user_sgpr_private_segment_size 0
		.amdhsa_uses_dynamic_stack 0
		.amdhsa_system_sgpr_private_segment_wavefront_offset 0
		.amdhsa_system_sgpr_workgroup_id_x 1
		.amdhsa_system_sgpr_workgroup_id_y 0
		.amdhsa_system_sgpr_workgroup_id_z 0
		.amdhsa_system_sgpr_workgroup_info 0
		.amdhsa_system_vgpr_workitem_id 0
		.amdhsa_next_free_vgpr 1
		.amdhsa_next_free_sgpr 0
		.amdhsa_accum_offset 4
		.amdhsa_reserve_vcc 0
		.amdhsa_reserve_flat_scratch 0
		.amdhsa_float_round_mode_32 0
		.amdhsa_float_round_mode_16_64 0
		.amdhsa_float_denorm_mode_32 3
		.amdhsa_float_denorm_mode_16_64 3
		.amdhsa_dx10_clamp 1
		.amdhsa_ieee_mode 1
		.amdhsa_fp16_overflow 0
		.amdhsa_tg_split 0
		.amdhsa_exception_fp_ieee_invalid_op 0
		.amdhsa_exception_fp_denorm_src 0
		.amdhsa_exception_fp_ieee_div_zero 0
		.amdhsa_exception_fp_ieee_overflow 0
		.amdhsa_exception_fp_ieee_underflow 0
		.amdhsa_exception_fp_ieee_inexact 0
		.amdhsa_exception_int_div_zero 0
	.end_amdhsa_kernel
	.section	.text._ZN7rocprim17ROCPRIM_400000_NS6detail17trampoline_kernelINS0_14default_configENS1_20scan_config_selectorIdEEZZNS1_9scan_implILNS1_25lookback_scan_determinismE0ELb0ELb0ES3_N6thrust23THRUST_200600_302600_NS6detail15normal_iteratorINS9_10device_ptrIdEEEESE_dNS9_4plusIvEEdEEDaPvRmT3_T4_T5_mT6_P12ihipStream_tbENKUlT_T0_E_clISt17integral_constantIbLb0EEST_IbLb1EEEEDaSP_SQ_EUlSP_E0_NS1_11comp_targetILNS1_3genE5ELNS1_11target_archE942ELNS1_3gpuE9ELNS1_3repE0EEENS1_30default_config_static_selectorELNS0_4arch9wavefront6targetE1EEEvT1_,"axG",@progbits,_ZN7rocprim17ROCPRIM_400000_NS6detail17trampoline_kernelINS0_14default_configENS1_20scan_config_selectorIdEEZZNS1_9scan_implILNS1_25lookback_scan_determinismE0ELb0ELb0ES3_N6thrust23THRUST_200600_302600_NS6detail15normal_iteratorINS9_10device_ptrIdEEEESE_dNS9_4plusIvEEdEEDaPvRmT3_T4_T5_mT6_P12ihipStream_tbENKUlT_T0_E_clISt17integral_constantIbLb0EEST_IbLb1EEEEDaSP_SQ_EUlSP_E0_NS1_11comp_targetILNS1_3genE5ELNS1_11target_archE942ELNS1_3gpuE9ELNS1_3repE0EEENS1_30default_config_static_selectorELNS0_4arch9wavefront6targetE1EEEvT1_,comdat
.Lfunc_end4206:
	.size	_ZN7rocprim17ROCPRIM_400000_NS6detail17trampoline_kernelINS0_14default_configENS1_20scan_config_selectorIdEEZZNS1_9scan_implILNS1_25lookback_scan_determinismE0ELb0ELb0ES3_N6thrust23THRUST_200600_302600_NS6detail15normal_iteratorINS9_10device_ptrIdEEEESE_dNS9_4plusIvEEdEEDaPvRmT3_T4_T5_mT6_P12ihipStream_tbENKUlT_T0_E_clISt17integral_constantIbLb0EEST_IbLb1EEEEDaSP_SQ_EUlSP_E0_NS1_11comp_targetILNS1_3genE5ELNS1_11target_archE942ELNS1_3gpuE9ELNS1_3repE0EEENS1_30default_config_static_selectorELNS0_4arch9wavefront6targetE1EEEvT1_, .Lfunc_end4206-_ZN7rocprim17ROCPRIM_400000_NS6detail17trampoline_kernelINS0_14default_configENS1_20scan_config_selectorIdEEZZNS1_9scan_implILNS1_25lookback_scan_determinismE0ELb0ELb0ES3_N6thrust23THRUST_200600_302600_NS6detail15normal_iteratorINS9_10device_ptrIdEEEESE_dNS9_4plusIvEEdEEDaPvRmT3_T4_T5_mT6_P12ihipStream_tbENKUlT_T0_E_clISt17integral_constantIbLb0EEST_IbLb1EEEEDaSP_SQ_EUlSP_E0_NS1_11comp_targetILNS1_3genE5ELNS1_11target_archE942ELNS1_3gpuE9ELNS1_3repE0EEENS1_30default_config_static_selectorELNS0_4arch9wavefront6targetE1EEEvT1_
                                        ; -- End function
	.section	.AMDGPU.csdata,"",@progbits
; Kernel info:
; codeLenInByte = 0
; NumSgprs: 4
; NumVgprs: 0
; NumAgprs: 0
; TotalNumVgprs: 0
; ScratchSize: 0
; MemoryBound: 0
; FloatMode: 240
; IeeeMode: 1
; LDSByteSize: 0 bytes/workgroup (compile time only)
; SGPRBlocks: 0
; VGPRBlocks: 0
; NumSGPRsForWavesPerEU: 4
; NumVGPRsForWavesPerEU: 1
; AccumOffset: 4
; Occupancy: 8
; WaveLimiterHint : 0
; COMPUTE_PGM_RSRC2:SCRATCH_EN: 0
; COMPUTE_PGM_RSRC2:USER_SGPR: 6
; COMPUTE_PGM_RSRC2:TRAP_HANDLER: 0
; COMPUTE_PGM_RSRC2:TGID_X_EN: 1
; COMPUTE_PGM_RSRC2:TGID_Y_EN: 0
; COMPUTE_PGM_RSRC2:TGID_Z_EN: 0
; COMPUTE_PGM_RSRC2:TIDIG_COMP_CNT: 0
; COMPUTE_PGM_RSRC3_GFX90A:ACCUM_OFFSET: 0
; COMPUTE_PGM_RSRC3_GFX90A:TG_SPLIT: 0
	.section	.text._ZN7rocprim17ROCPRIM_400000_NS6detail17trampoline_kernelINS0_14default_configENS1_20scan_config_selectorIdEEZZNS1_9scan_implILNS1_25lookback_scan_determinismE0ELb0ELb0ES3_N6thrust23THRUST_200600_302600_NS6detail15normal_iteratorINS9_10device_ptrIdEEEESE_dNS9_4plusIvEEdEEDaPvRmT3_T4_T5_mT6_P12ihipStream_tbENKUlT_T0_E_clISt17integral_constantIbLb0EEST_IbLb1EEEEDaSP_SQ_EUlSP_E0_NS1_11comp_targetILNS1_3genE4ELNS1_11target_archE910ELNS1_3gpuE8ELNS1_3repE0EEENS1_30default_config_static_selectorELNS0_4arch9wavefront6targetE1EEEvT1_,"axG",@progbits,_ZN7rocprim17ROCPRIM_400000_NS6detail17trampoline_kernelINS0_14default_configENS1_20scan_config_selectorIdEEZZNS1_9scan_implILNS1_25lookback_scan_determinismE0ELb0ELb0ES3_N6thrust23THRUST_200600_302600_NS6detail15normal_iteratorINS9_10device_ptrIdEEEESE_dNS9_4plusIvEEdEEDaPvRmT3_T4_T5_mT6_P12ihipStream_tbENKUlT_T0_E_clISt17integral_constantIbLb0EEST_IbLb1EEEEDaSP_SQ_EUlSP_E0_NS1_11comp_targetILNS1_3genE4ELNS1_11target_archE910ELNS1_3gpuE8ELNS1_3repE0EEENS1_30default_config_static_selectorELNS0_4arch9wavefront6targetE1EEEvT1_,comdat
	.protected	_ZN7rocprim17ROCPRIM_400000_NS6detail17trampoline_kernelINS0_14default_configENS1_20scan_config_selectorIdEEZZNS1_9scan_implILNS1_25lookback_scan_determinismE0ELb0ELb0ES3_N6thrust23THRUST_200600_302600_NS6detail15normal_iteratorINS9_10device_ptrIdEEEESE_dNS9_4plusIvEEdEEDaPvRmT3_T4_T5_mT6_P12ihipStream_tbENKUlT_T0_E_clISt17integral_constantIbLb0EEST_IbLb1EEEEDaSP_SQ_EUlSP_E0_NS1_11comp_targetILNS1_3genE4ELNS1_11target_archE910ELNS1_3gpuE8ELNS1_3repE0EEENS1_30default_config_static_selectorELNS0_4arch9wavefront6targetE1EEEvT1_ ; -- Begin function _ZN7rocprim17ROCPRIM_400000_NS6detail17trampoline_kernelINS0_14default_configENS1_20scan_config_selectorIdEEZZNS1_9scan_implILNS1_25lookback_scan_determinismE0ELb0ELb0ES3_N6thrust23THRUST_200600_302600_NS6detail15normal_iteratorINS9_10device_ptrIdEEEESE_dNS9_4plusIvEEdEEDaPvRmT3_T4_T5_mT6_P12ihipStream_tbENKUlT_T0_E_clISt17integral_constantIbLb0EEST_IbLb1EEEEDaSP_SQ_EUlSP_E0_NS1_11comp_targetILNS1_3genE4ELNS1_11target_archE910ELNS1_3gpuE8ELNS1_3repE0EEENS1_30default_config_static_selectorELNS0_4arch9wavefront6targetE1EEEvT1_
	.globl	_ZN7rocprim17ROCPRIM_400000_NS6detail17trampoline_kernelINS0_14default_configENS1_20scan_config_selectorIdEEZZNS1_9scan_implILNS1_25lookback_scan_determinismE0ELb0ELb0ES3_N6thrust23THRUST_200600_302600_NS6detail15normal_iteratorINS9_10device_ptrIdEEEESE_dNS9_4plusIvEEdEEDaPvRmT3_T4_T5_mT6_P12ihipStream_tbENKUlT_T0_E_clISt17integral_constantIbLb0EEST_IbLb1EEEEDaSP_SQ_EUlSP_E0_NS1_11comp_targetILNS1_3genE4ELNS1_11target_archE910ELNS1_3gpuE8ELNS1_3repE0EEENS1_30default_config_static_selectorELNS0_4arch9wavefront6targetE1EEEvT1_
	.p2align	8
	.type	_ZN7rocprim17ROCPRIM_400000_NS6detail17trampoline_kernelINS0_14default_configENS1_20scan_config_selectorIdEEZZNS1_9scan_implILNS1_25lookback_scan_determinismE0ELb0ELb0ES3_N6thrust23THRUST_200600_302600_NS6detail15normal_iteratorINS9_10device_ptrIdEEEESE_dNS9_4plusIvEEdEEDaPvRmT3_T4_T5_mT6_P12ihipStream_tbENKUlT_T0_E_clISt17integral_constantIbLb0EEST_IbLb1EEEEDaSP_SQ_EUlSP_E0_NS1_11comp_targetILNS1_3genE4ELNS1_11target_archE910ELNS1_3gpuE8ELNS1_3repE0EEENS1_30default_config_static_selectorELNS0_4arch9wavefront6targetE1EEEvT1_,@function
_ZN7rocprim17ROCPRIM_400000_NS6detail17trampoline_kernelINS0_14default_configENS1_20scan_config_selectorIdEEZZNS1_9scan_implILNS1_25lookback_scan_determinismE0ELb0ELb0ES3_N6thrust23THRUST_200600_302600_NS6detail15normal_iteratorINS9_10device_ptrIdEEEESE_dNS9_4plusIvEEdEEDaPvRmT3_T4_T5_mT6_P12ihipStream_tbENKUlT_T0_E_clISt17integral_constantIbLb0EEST_IbLb1EEEEDaSP_SQ_EUlSP_E0_NS1_11comp_targetILNS1_3genE4ELNS1_11target_archE910ELNS1_3gpuE8ELNS1_3repE0EEENS1_30default_config_static_selectorELNS0_4arch9wavefront6targetE1EEEvT1_: ; @_ZN7rocprim17ROCPRIM_400000_NS6detail17trampoline_kernelINS0_14default_configENS1_20scan_config_selectorIdEEZZNS1_9scan_implILNS1_25lookback_scan_determinismE0ELb0ELb0ES3_N6thrust23THRUST_200600_302600_NS6detail15normal_iteratorINS9_10device_ptrIdEEEESE_dNS9_4plusIvEEdEEDaPvRmT3_T4_T5_mT6_P12ihipStream_tbENKUlT_T0_E_clISt17integral_constantIbLb0EEST_IbLb1EEEEDaSP_SQ_EUlSP_E0_NS1_11comp_targetILNS1_3genE4ELNS1_11target_archE910ELNS1_3gpuE8ELNS1_3repE0EEENS1_30default_config_static_selectorELNS0_4arch9wavefront6targetE1EEEvT1_
; %bb.0:
	s_load_dwordx4 s[20:23], s[4:5], 0x0
	v_lshlrev_b32_e32 v48, 3, v0
	s_waitcnt lgkmcnt(0)
	s_load_dwordx2 s[24:25], s[20:21], 0x0
	v_cmp_gt_u32_e32 vcc, s22, v0
	s_waitcnt lgkmcnt(0)
	v_pk_mov_b32 v[2:3], s[24:25], s[24:25] op_sel:[0,1]
	s_and_saveexec_b64 s[0:1], vcc
	s_cbranch_execz .LBB4207_2
; %bb.1:
	global_load_dwordx2 v[2:3], v48, s[20:21]
.LBB4207_2:
	s_or_b64 exec, exec, s[0:1]
	v_or_b32_e32 v1, 0x80, v0
	v_cmp_gt_u32_e64 s[0:1], s22, v1
	v_pk_mov_b32 v[4:5], s[24:25], s[24:25] op_sel:[0,1]
	s_and_saveexec_b64 s[2:3], s[0:1]
	s_cbranch_execz .LBB4207_4
; %bb.3:
	global_load_dwordx2 v[4:5], v48, s[20:21] offset:1024
.LBB4207_4:
	s_or_b64 exec, exec, s[2:3]
	v_or_b32_e32 v1, 0x100, v0
	v_cmp_gt_u32_e64 s[2:3], s22, v1
	v_pk_mov_b32 v[6:7], s[24:25], s[24:25] op_sel:[0,1]
	s_and_saveexec_b64 s[6:7], s[2:3]
	s_cbranch_execz .LBB4207_6
; %bb.5:
	global_load_dwordx2 v[6:7], v48, s[20:21] offset:2048
.LBB4207_6:
	;; [unrolled: 9-line block ×3, first 2 shown]
	s_or_b64 exec, exec, s[6:7]
	v_or_b32_e32 v1, 0x200, v0
	v_cmp_gt_u32_e64 s[6:7], s22, v1
	v_pk_mov_b32 v[10:11], s[24:25], s[24:25] op_sel:[0,1]
	s_and_saveexec_b64 s[8:9], s[6:7]
	s_cbranch_execz .LBB4207_10
; %bb.9:
	v_lshlrev_b32_e32 v1, 3, v1
	global_load_dwordx2 v[10:11], v1, s[20:21]
.LBB4207_10:
	s_or_b64 exec, exec, s[8:9]
	v_or_b32_e32 v1, 0x280, v0
	v_cmp_gt_u32_e64 s[8:9], s22, v1
	v_pk_mov_b32 v[12:13], s[24:25], s[24:25] op_sel:[0,1]
	s_and_saveexec_b64 s[10:11], s[8:9]
	s_cbranch_execz .LBB4207_12
; %bb.11:
	v_lshlrev_b32_e32 v1, 3, v1
	global_load_dwordx2 v[12:13], v1, s[20:21]
.LBB4207_12:
	s_or_b64 exec, exec, s[10:11]
	v_or_b32_e32 v1, 0x300, v0
	v_cmp_gt_u32_e64 s[10:11], s22, v1
	v_pk_mov_b32 v[14:15], s[24:25], s[24:25] op_sel:[0,1]
	s_and_saveexec_b64 s[12:13], s[10:11]
	s_cbranch_execz .LBB4207_14
; %bb.13:
	v_lshlrev_b32_e32 v1, 3, v1
	global_load_dwordx2 v[14:15], v1, s[20:21]
.LBB4207_14:
	s_or_b64 exec, exec, s[12:13]
	v_or_b32_e32 v1, 0x380, v0
	v_cmp_gt_u32_e64 s[12:13], s22, v1
	v_pk_mov_b32 v[16:17], s[24:25], s[24:25] op_sel:[0,1]
	s_and_saveexec_b64 s[14:15], s[12:13]
	s_cbranch_execz .LBB4207_16
; %bb.15:
	v_lshlrev_b32_e32 v1, 3, v1
	global_load_dwordx2 v[16:17], v1, s[20:21]
.LBB4207_16:
	s_or_b64 exec, exec, s[14:15]
	v_or_b32_e32 v1, 0x400, v0
	v_cmp_gt_u32_e64 s[14:15], s22, v1
	v_pk_mov_b32 v[18:19], s[24:25], s[24:25] op_sel:[0,1]
	s_and_saveexec_b64 s[16:17], s[14:15]
	s_cbranch_execz .LBB4207_18
; %bb.17:
	v_lshlrev_b32_e32 v1, 3, v1
	global_load_dwordx2 v[18:19], v1, s[20:21]
.LBB4207_18:
	s_or_b64 exec, exec, s[16:17]
	v_or_b32_e32 v1, 0x480, v0
	v_cmp_gt_u32_e64 s[16:17], s22, v1
	v_pk_mov_b32 v[20:21], s[24:25], s[24:25] op_sel:[0,1]
	s_and_saveexec_b64 s[22:23], s[16:17]
	s_cbranch_execz .LBB4207_20
; %bb.19:
	v_lshlrev_b32_e32 v1, 3, v1
	global_load_dwordx2 v[20:21], v1, s[20:21]
.LBB4207_20:
	s_or_b64 exec, exec, s[22:23]
	s_movk_i32 s20, 0x48
	v_mad_u32_u24 v1, v0, s20, v48
	s_waitcnt vmcnt(0)
	ds_write2st64_b64 v48, v[2:3], v[4:5] offset1:2
	ds_write2st64_b64 v48, v[6:7], v[8:9] offset0:4 offset1:6
	ds_write2st64_b64 v48, v[10:11], v[12:13] offset0:8 offset1:10
	;; [unrolled: 1-line block ×4, first 2 shown]
	s_waitcnt lgkmcnt(0)
	s_barrier
	ds_read_b128 v[2:5], v1
	ds_read_b128 v[22:25], v1 offset:16
	ds_read_b128 v[18:21], v1 offset:32
	;; [unrolled: 1-line block ×4, first 2 shown]
	s_waitcnt lgkmcnt(4)
	v_add_f64 v[38:39], v[2:3], v[4:5]
	s_waitcnt lgkmcnt(3)
	v_add_f64 v[30:31], v[38:39], v[22:23]
	v_add_f64 v[32:33], v[30:31], v[24:25]
	s_waitcnt lgkmcnt(2)
	v_add_f64 v[26:27], v[32:33], v[18:19]
	v_add_f64 v[28:29], v[26:27], v[20:21]
	s_waitcnt lgkmcnt(1)
	v_add_f64 v[10:11], v[28:29], v[14:15]
	v_add_f64 v[12:13], v[10:11], v[16:17]
	s_waitcnt lgkmcnt(0)
	v_add_f64 v[6:7], v[12:13], v[34:35]
	v_mbcnt_lo_u32_b32 v40, -1, 0
	v_add_f64 v[8:9], v[6:7], v[36:37]
	v_mbcnt_hi_u32_b32 v49, -1, v40
	v_and_b32_e32 v44, 15, v49
	v_mov_b32_dpp v40, v8 row_shr:1 row_mask:0xf bank_mask:0xf
	v_mov_b32_dpp v41, v9 row_shr:1 row_mask:0xf bank_mask:0xf
	v_add_f64 v[40:41], v[8:9], v[40:41]
	v_cmp_eq_u32_e64 s[20:21], 0, v44
	v_cndmask_b32_e64 v40, v40, v8, s[20:21]
	v_cndmask_b32_e64 v41, v41, v9, s[20:21]
	v_cmp_lt_u32_e64 s[20:21], 1, v44
	v_mov_b32_dpp v42, v40 row_shr:2 row_mask:0xf bank_mask:0xf
	v_mov_b32_dpp v43, v41 row_shr:2 row_mask:0xf bank_mask:0xf
	v_add_f64 v[42:43], v[40:41], v[42:43]
	v_cndmask_b32_e64 v40, v40, v42, s[20:21]
	v_cndmask_b32_e64 v41, v41, v43, s[20:21]
	v_cmp_lt_u32_e64 s[20:21], 3, v44
	v_mov_b32_dpp v42, v40 row_shr:4 row_mask:0xf bank_mask:0xf
	v_mov_b32_dpp v43, v41 row_shr:4 row_mask:0xf bank_mask:0xf
	v_add_f64 v[42:43], v[40:41], v[42:43]
	;; [unrolled: 6-line block ×3, first 2 shown]
	v_cndmask_b32_e64 v42, v40, v42, s[20:21]
	v_cndmask_b32_e64 v43, v41, v43, s[20:21]
	v_and_b32_e32 v44, 16, v49
	v_mov_b32_dpp v40, v42 row_bcast:15 row_mask:0xf bank_mask:0xf
	v_mov_b32_dpp v41, v43 row_bcast:15 row_mask:0xf bank_mask:0xf
	v_add_f64 v[46:47], v[42:43], v[40:41]
	v_cmp_eq_u32_e64 s[22:23], 0, v44
	v_cndmask_b32_e64 v40, v47, v43, s[22:23]
	v_cndmask_b32_e64 v41, v46, v42, s[22:23]
	v_cmp_eq_u32_e64 s[20:21], 0, v49
	v_mov_b32_dpp v45, v40 row_bcast:31 row_mask:0xf bank_mask:0xf
	v_mov_b32_dpp v44, v41 row_bcast:31 row_mask:0xf bank_mask:0xf
	v_cmp_ne_u32_e64 s[24:25], 0, v49
	v_pk_mov_b32 v[40:41], v[8:9], v[8:9] op_sel:[0,1]
	s_barrier
	s_and_saveexec_b64 s[26:27], s[24:25]
; %bb.21:
	v_cndmask_b32_e64 v41, v47, v43, s[22:23]
	v_cndmask_b32_e64 v40, v46, v42, s[22:23]
	v_add_f64 v[42:43], v[40:41], v[44:45]
	v_cmp_lt_u32_e64 s[22:23], 31, v49
	v_cndmask_b32_e64 v41, v41, v43, s[22:23]
	v_cndmask_b32_e64 v40, v40, v42, s[22:23]
; %bb.22:
	s_or_b64 exec, exec, s[26:27]
	v_or_b32_e32 v42, 63, v0
	v_lshrrev_b32_e32 v44, 6, v0
	v_cmp_eq_u32_e64 s[22:23], v42, v0
	s_and_saveexec_b64 s[24:25], s[22:23]
	s_cbranch_execz .LBB4207_24
; %bb.23:
	v_lshlrev_b32_e32 v42, 3, v44
	ds_write_b64 v42, v[40:41]
.LBB4207_24:
	s_or_b64 exec, exec, s[24:25]
	v_cmp_gt_u32_e64 s[22:23], 2, v0
	s_waitcnt lgkmcnt(0)
	s_barrier
	s_and_saveexec_b64 s[24:25], s[22:23]
	s_cbranch_execz .LBB4207_26
; %bb.25:
	ds_read_b64 v[42:43], v48
	v_and_b32_e32 v45, 1, v49
	v_cmp_eq_u32_e64 s[22:23], 0, v45
	s_waitcnt lgkmcnt(0)
	v_mov_b32_dpp v46, v42 row_shr:1 row_mask:0xf bank_mask:0xf
	v_mov_b32_dpp v47, v43 row_shr:1 row_mask:0xf bank_mask:0xf
	v_add_f64 v[46:47], v[42:43], v[46:47]
	v_cndmask_b32_e64 v43, v47, v43, s[22:23]
	v_cndmask_b32_e64 v42, v46, v42, s[22:23]
	ds_write_b64 v48, v[42:43]
.LBB4207_26:
	s_or_b64 exec, exec, s[24:25]
	s_load_dwordx2 s[22:23], s[4:5], 0x20
	v_cmp_lt_u32_e64 s[4:5], 63, v0
	s_waitcnt lgkmcnt(0)
	s_barrier
	s_waitcnt lgkmcnt(0)
                                        ; implicit-def: $vgpr42_vgpr43
	s_and_saveexec_b64 s[24:25], s[4:5]
	s_cbranch_execz .LBB4207_28
; %bb.27:
	v_lshl_add_u32 v42, v44, 3, -8
	ds_read_b64 v[42:43], v42
	s_waitcnt lgkmcnt(0)
	v_add_f64 v[40:41], v[40:41], v[42:43]
.LBB4207_28:
	s_or_b64 exec, exec, s[24:25]
	v_add_u32_e32 v44, -1, v49
	v_and_b32_e32 v45, 64, v49
	v_cmp_lt_i32_e64 s[4:5], v44, v45
	v_cndmask_b32_e64 v44, v44, v49, s[4:5]
	v_lshlrev_b32_e32 v44, 2, v44
	ds_bpermute_b32 v40, v44, v40
	ds_bpermute_b32 v41, v44, v41
	v_cmp_ne_u32_e64 s[4:5], 0, v0
	s_and_saveexec_b64 s[24:25], s[4:5]
	s_cbranch_execz .LBB4207_30
; %bb.29:
	s_waitcnt lgkmcnt(0)
	v_cndmask_b32_e64 v7, v41, v43, s[20:21]
	v_cndmask_b32_e64 v6, v40, v42, s[20:21]
	v_add_f64 v[2:3], v[2:3], v[6:7]
	v_add_f64 v[38:39], v[4:5], v[2:3]
	;; [unrolled: 1-line block ×10, first 2 shown]
	;;#ASMSTART
	;;#ASMEND
.LBB4207_30:
	s_or_b64 exec, exec, s[24:25]
	s_movk_i32 s4, 0xffb8
	v_mov_b32_e32 v4, v38
	v_mov_b32_e32 v5, v39
	v_mad_i32_i24 v0, v0, s4, v1
	s_waitcnt lgkmcnt(0)
	s_barrier
	ds_write_b128 v1, v[2:5]
	ds_write_b128 v1, v[30:33] offset:16
	ds_write_b128 v1, v[26:29] offset:32
	;; [unrolled: 1-line block ×4, first 2 shown]
	s_waitcnt lgkmcnt(0)
	s_barrier
	ds_read2st64_b64 v[12:15], v0 offset0:2 offset1:4
	ds_read2st64_b64 v[8:11], v0 offset0:6 offset1:8
	;; [unrolled: 1-line block ×4, first 2 shown]
	ds_read_b64 v[18:19], v48 offset:8192
	v_mov_b32_e32 v17, s23
	v_add_co_u32_e64 v16, s[4:5], s22, v48
	v_addc_co_u32_e64 v17, s[4:5], 0, v17, s[4:5]
	s_and_saveexec_b64 s[4:5], vcc
	s_cbranch_execnz .LBB4207_41
; %bb.31:
	s_or_b64 exec, exec, s[4:5]
	s_and_saveexec_b64 s[4:5], s[0:1]
	s_cbranch_execnz .LBB4207_42
.LBB4207_32:
	s_or_b64 exec, exec, s[4:5]
	s_and_saveexec_b64 s[0:1], s[2:3]
	s_cbranch_execnz .LBB4207_43
.LBB4207_33:
	s_or_b64 exec, exec, s[0:1]
	s_and_saveexec_b64 s[0:1], s[18:19]
	s_cbranch_execnz .LBB4207_44
.LBB4207_34:
	s_or_b64 exec, exec, s[0:1]
	s_and_saveexec_b64 s[0:1], s[6:7]
	s_cbranch_execnz .LBB4207_45
.LBB4207_35:
	s_or_b64 exec, exec, s[0:1]
	s_and_saveexec_b64 s[0:1], s[8:9]
	s_cbranch_execnz .LBB4207_46
.LBB4207_36:
	s_or_b64 exec, exec, s[0:1]
	s_and_saveexec_b64 s[0:1], s[10:11]
	s_cbranch_execnz .LBB4207_47
.LBB4207_37:
	s_or_b64 exec, exec, s[0:1]
	s_and_saveexec_b64 s[0:1], s[12:13]
	s_cbranch_execnz .LBB4207_48
.LBB4207_38:
	s_or_b64 exec, exec, s[0:1]
	s_and_saveexec_b64 s[0:1], s[14:15]
	s_cbranch_execnz .LBB4207_49
.LBB4207_39:
	s_or_b64 exec, exec, s[0:1]
	s_and_saveexec_b64 s[0:1], s[16:17]
	s_cbranch_execnz .LBB4207_50
.LBB4207_40:
	s_endpgm
.LBB4207_41:
	ds_read_b64 v[20:21], v48
	s_waitcnt lgkmcnt(0)
	global_store_dwordx2 v[16:17], v[20:21], off
	s_or_b64 exec, exec, s[4:5]
	s_and_saveexec_b64 s[4:5], s[0:1]
	s_cbranch_execz .LBB4207_32
.LBB4207_42:
	s_waitcnt lgkmcnt(4)
	global_store_dwordx2 v[16:17], v[12:13], off offset:1024
	s_or_b64 exec, exec, s[4:5]
	s_and_saveexec_b64 s[0:1], s[2:3]
	s_cbranch_execz .LBB4207_33
.LBB4207_43:
	s_waitcnt lgkmcnt(4)
	global_store_dwordx2 v[16:17], v[14:15], off offset:2048
	s_or_b64 exec, exec, s[0:1]
	s_and_saveexec_b64 s[0:1], s[18:19]
	s_cbranch_execz .LBB4207_34
.LBB4207_44:
	s_waitcnt lgkmcnt(3)
	global_store_dwordx2 v[16:17], v[8:9], off offset:3072
	s_or_b64 exec, exec, s[0:1]
	s_and_saveexec_b64 s[0:1], s[6:7]
	s_cbranch_execz .LBB4207_35
.LBB4207_45:
	s_waitcnt lgkmcnt(3)
	v_add_co_u32_e32 v8, vcc, 0x1000, v16
	v_addc_co_u32_e32 v9, vcc, 0, v17, vcc
	global_store_dwordx2 v[8:9], v[10:11], off
	s_or_b64 exec, exec, s[0:1]
	s_and_saveexec_b64 s[0:1], s[8:9]
	s_cbranch_execz .LBB4207_36
.LBB4207_46:
	s_waitcnt lgkmcnt(3)
	v_add_co_u32_e32 v8, vcc, 0x1000, v16
	v_addc_co_u32_e32 v9, vcc, 0, v17, vcc
	s_waitcnt lgkmcnt(2)
	global_store_dwordx2 v[8:9], v[4:5], off offset:1024
	s_or_b64 exec, exec, s[0:1]
	s_and_saveexec_b64 s[0:1], s[10:11]
	s_cbranch_execz .LBB4207_37
.LBB4207_47:
	s_waitcnt lgkmcnt(2)
	v_add_co_u32_e32 v4, vcc, 0x1000, v16
	v_addc_co_u32_e32 v5, vcc, 0, v17, vcc
	global_store_dwordx2 v[4:5], v[6:7], off offset:2048
	s_or_b64 exec, exec, s[0:1]
	s_and_saveexec_b64 s[0:1], s[12:13]
	s_cbranch_execz .LBB4207_38
.LBB4207_48:
	s_waitcnt lgkmcnt(2)
	v_add_co_u32_e32 v4, vcc, 0x1000, v16
	v_addc_co_u32_e32 v5, vcc, 0, v17, vcc
	s_waitcnt lgkmcnt(1)
	global_store_dwordx2 v[4:5], v[0:1], off offset:3072
	s_or_b64 exec, exec, s[0:1]
	s_and_saveexec_b64 s[0:1], s[14:15]
	s_cbranch_execz .LBB4207_39
.LBB4207_49:
	s_waitcnt lgkmcnt(1)
	v_add_co_u32_e32 v0, vcc, 0x2000, v16
	v_addc_co_u32_e32 v1, vcc, 0, v17, vcc
	s_waitcnt lgkmcnt(0)
	global_store_dwordx2 v[0:1], v[18:19], off
	s_or_b64 exec, exec, s[0:1]
	s_and_saveexec_b64 s[0:1], s[16:17]
	s_cbranch_execz .LBB4207_40
.LBB4207_50:
	s_waitcnt lgkmcnt(1)
	v_add_co_u32_e32 v0, vcc, 0x2000, v16
	v_addc_co_u32_e32 v1, vcc, 0, v17, vcc
	global_store_dwordx2 v[0:1], v[2:3], off offset:1024
	s_endpgm
	.section	.rodata,"a",@progbits
	.p2align	6, 0x0
	.amdhsa_kernel _ZN7rocprim17ROCPRIM_400000_NS6detail17trampoline_kernelINS0_14default_configENS1_20scan_config_selectorIdEEZZNS1_9scan_implILNS1_25lookback_scan_determinismE0ELb0ELb0ES3_N6thrust23THRUST_200600_302600_NS6detail15normal_iteratorINS9_10device_ptrIdEEEESE_dNS9_4plusIvEEdEEDaPvRmT3_T4_T5_mT6_P12ihipStream_tbENKUlT_T0_E_clISt17integral_constantIbLb0EEST_IbLb1EEEEDaSP_SQ_EUlSP_E0_NS1_11comp_targetILNS1_3genE4ELNS1_11target_archE910ELNS1_3gpuE8ELNS1_3repE0EEENS1_30default_config_static_selectorELNS0_4arch9wavefront6targetE1EEEvT1_
		.amdhsa_group_segment_fixed_size 10240
		.amdhsa_private_segment_fixed_size 0
		.amdhsa_kernarg_size 40
		.amdhsa_user_sgpr_count 6
		.amdhsa_user_sgpr_private_segment_buffer 1
		.amdhsa_user_sgpr_dispatch_ptr 0
		.amdhsa_user_sgpr_queue_ptr 0
		.amdhsa_user_sgpr_kernarg_segment_ptr 1
		.amdhsa_user_sgpr_dispatch_id 0
		.amdhsa_user_sgpr_flat_scratch_init 0
		.amdhsa_user_sgpr_kernarg_preload_length 0
		.amdhsa_user_sgpr_kernarg_preload_offset 0
		.amdhsa_user_sgpr_private_segment_size 0
		.amdhsa_uses_dynamic_stack 0
		.amdhsa_system_sgpr_private_segment_wavefront_offset 0
		.amdhsa_system_sgpr_workgroup_id_x 1
		.amdhsa_system_sgpr_workgroup_id_y 0
		.amdhsa_system_sgpr_workgroup_id_z 0
		.amdhsa_system_sgpr_workgroup_info 0
		.amdhsa_system_vgpr_workitem_id 0
		.amdhsa_next_free_vgpr 50
		.amdhsa_next_free_sgpr 28
		.amdhsa_accum_offset 52
		.amdhsa_reserve_vcc 1
		.amdhsa_reserve_flat_scratch 0
		.amdhsa_float_round_mode_32 0
		.amdhsa_float_round_mode_16_64 0
		.amdhsa_float_denorm_mode_32 3
		.amdhsa_float_denorm_mode_16_64 3
		.amdhsa_dx10_clamp 1
		.amdhsa_ieee_mode 1
		.amdhsa_fp16_overflow 0
		.amdhsa_tg_split 0
		.amdhsa_exception_fp_ieee_invalid_op 0
		.amdhsa_exception_fp_denorm_src 0
		.amdhsa_exception_fp_ieee_div_zero 0
		.amdhsa_exception_fp_ieee_overflow 0
		.amdhsa_exception_fp_ieee_underflow 0
		.amdhsa_exception_fp_ieee_inexact 0
		.amdhsa_exception_int_div_zero 0
	.end_amdhsa_kernel
	.section	.text._ZN7rocprim17ROCPRIM_400000_NS6detail17trampoline_kernelINS0_14default_configENS1_20scan_config_selectorIdEEZZNS1_9scan_implILNS1_25lookback_scan_determinismE0ELb0ELb0ES3_N6thrust23THRUST_200600_302600_NS6detail15normal_iteratorINS9_10device_ptrIdEEEESE_dNS9_4plusIvEEdEEDaPvRmT3_T4_T5_mT6_P12ihipStream_tbENKUlT_T0_E_clISt17integral_constantIbLb0EEST_IbLb1EEEEDaSP_SQ_EUlSP_E0_NS1_11comp_targetILNS1_3genE4ELNS1_11target_archE910ELNS1_3gpuE8ELNS1_3repE0EEENS1_30default_config_static_selectorELNS0_4arch9wavefront6targetE1EEEvT1_,"axG",@progbits,_ZN7rocprim17ROCPRIM_400000_NS6detail17trampoline_kernelINS0_14default_configENS1_20scan_config_selectorIdEEZZNS1_9scan_implILNS1_25lookback_scan_determinismE0ELb0ELb0ES3_N6thrust23THRUST_200600_302600_NS6detail15normal_iteratorINS9_10device_ptrIdEEEESE_dNS9_4plusIvEEdEEDaPvRmT3_T4_T5_mT6_P12ihipStream_tbENKUlT_T0_E_clISt17integral_constantIbLb0EEST_IbLb1EEEEDaSP_SQ_EUlSP_E0_NS1_11comp_targetILNS1_3genE4ELNS1_11target_archE910ELNS1_3gpuE8ELNS1_3repE0EEENS1_30default_config_static_selectorELNS0_4arch9wavefront6targetE1EEEvT1_,comdat
.Lfunc_end4207:
	.size	_ZN7rocprim17ROCPRIM_400000_NS6detail17trampoline_kernelINS0_14default_configENS1_20scan_config_selectorIdEEZZNS1_9scan_implILNS1_25lookback_scan_determinismE0ELb0ELb0ES3_N6thrust23THRUST_200600_302600_NS6detail15normal_iteratorINS9_10device_ptrIdEEEESE_dNS9_4plusIvEEdEEDaPvRmT3_T4_T5_mT6_P12ihipStream_tbENKUlT_T0_E_clISt17integral_constantIbLb0EEST_IbLb1EEEEDaSP_SQ_EUlSP_E0_NS1_11comp_targetILNS1_3genE4ELNS1_11target_archE910ELNS1_3gpuE8ELNS1_3repE0EEENS1_30default_config_static_selectorELNS0_4arch9wavefront6targetE1EEEvT1_, .Lfunc_end4207-_ZN7rocprim17ROCPRIM_400000_NS6detail17trampoline_kernelINS0_14default_configENS1_20scan_config_selectorIdEEZZNS1_9scan_implILNS1_25lookback_scan_determinismE0ELb0ELb0ES3_N6thrust23THRUST_200600_302600_NS6detail15normal_iteratorINS9_10device_ptrIdEEEESE_dNS9_4plusIvEEdEEDaPvRmT3_T4_T5_mT6_P12ihipStream_tbENKUlT_T0_E_clISt17integral_constantIbLb0EEST_IbLb1EEEEDaSP_SQ_EUlSP_E0_NS1_11comp_targetILNS1_3genE4ELNS1_11target_archE910ELNS1_3gpuE8ELNS1_3repE0EEENS1_30default_config_static_selectorELNS0_4arch9wavefront6targetE1EEEvT1_
                                        ; -- End function
	.section	.AMDGPU.csdata,"",@progbits
; Kernel info:
; codeLenInByte = 1992
; NumSgprs: 32
; NumVgprs: 50
; NumAgprs: 0
; TotalNumVgprs: 50
; ScratchSize: 0
; MemoryBound: 0
; FloatMode: 240
; IeeeMode: 1
; LDSByteSize: 10240 bytes/workgroup (compile time only)
; SGPRBlocks: 3
; VGPRBlocks: 6
; NumSGPRsForWavesPerEU: 32
; NumVGPRsForWavesPerEU: 50
; AccumOffset: 52
; Occupancy: 3
; WaveLimiterHint : 0
; COMPUTE_PGM_RSRC2:SCRATCH_EN: 0
; COMPUTE_PGM_RSRC2:USER_SGPR: 6
; COMPUTE_PGM_RSRC2:TRAP_HANDLER: 0
; COMPUTE_PGM_RSRC2:TGID_X_EN: 1
; COMPUTE_PGM_RSRC2:TGID_Y_EN: 0
; COMPUTE_PGM_RSRC2:TGID_Z_EN: 0
; COMPUTE_PGM_RSRC2:TIDIG_COMP_CNT: 0
; COMPUTE_PGM_RSRC3_GFX90A:ACCUM_OFFSET: 12
; COMPUTE_PGM_RSRC3_GFX90A:TG_SPLIT: 0
	.section	.text._ZN7rocprim17ROCPRIM_400000_NS6detail17trampoline_kernelINS0_14default_configENS1_20scan_config_selectorIdEEZZNS1_9scan_implILNS1_25lookback_scan_determinismE0ELb0ELb0ES3_N6thrust23THRUST_200600_302600_NS6detail15normal_iteratorINS9_10device_ptrIdEEEESE_dNS9_4plusIvEEdEEDaPvRmT3_T4_T5_mT6_P12ihipStream_tbENKUlT_T0_E_clISt17integral_constantIbLb0EEST_IbLb1EEEEDaSP_SQ_EUlSP_E0_NS1_11comp_targetILNS1_3genE3ELNS1_11target_archE908ELNS1_3gpuE7ELNS1_3repE0EEENS1_30default_config_static_selectorELNS0_4arch9wavefront6targetE1EEEvT1_,"axG",@progbits,_ZN7rocprim17ROCPRIM_400000_NS6detail17trampoline_kernelINS0_14default_configENS1_20scan_config_selectorIdEEZZNS1_9scan_implILNS1_25lookback_scan_determinismE0ELb0ELb0ES3_N6thrust23THRUST_200600_302600_NS6detail15normal_iteratorINS9_10device_ptrIdEEEESE_dNS9_4plusIvEEdEEDaPvRmT3_T4_T5_mT6_P12ihipStream_tbENKUlT_T0_E_clISt17integral_constantIbLb0EEST_IbLb1EEEEDaSP_SQ_EUlSP_E0_NS1_11comp_targetILNS1_3genE3ELNS1_11target_archE908ELNS1_3gpuE7ELNS1_3repE0EEENS1_30default_config_static_selectorELNS0_4arch9wavefront6targetE1EEEvT1_,comdat
	.protected	_ZN7rocprim17ROCPRIM_400000_NS6detail17trampoline_kernelINS0_14default_configENS1_20scan_config_selectorIdEEZZNS1_9scan_implILNS1_25lookback_scan_determinismE0ELb0ELb0ES3_N6thrust23THRUST_200600_302600_NS6detail15normal_iteratorINS9_10device_ptrIdEEEESE_dNS9_4plusIvEEdEEDaPvRmT3_T4_T5_mT6_P12ihipStream_tbENKUlT_T0_E_clISt17integral_constantIbLb0EEST_IbLb1EEEEDaSP_SQ_EUlSP_E0_NS1_11comp_targetILNS1_3genE3ELNS1_11target_archE908ELNS1_3gpuE7ELNS1_3repE0EEENS1_30default_config_static_selectorELNS0_4arch9wavefront6targetE1EEEvT1_ ; -- Begin function _ZN7rocprim17ROCPRIM_400000_NS6detail17trampoline_kernelINS0_14default_configENS1_20scan_config_selectorIdEEZZNS1_9scan_implILNS1_25lookback_scan_determinismE0ELb0ELb0ES3_N6thrust23THRUST_200600_302600_NS6detail15normal_iteratorINS9_10device_ptrIdEEEESE_dNS9_4plusIvEEdEEDaPvRmT3_T4_T5_mT6_P12ihipStream_tbENKUlT_T0_E_clISt17integral_constantIbLb0EEST_IbLb1EEEEDaSP_SQ_EUlSP_E0_NS1_11comp_targetILNS1_3genE3ELNS1_11target_archE908ELNS1_3gpuE7ELNS1_3repE0EEENS1_30default_config_static_selectorELNS0_4arch9wavefront6targetE1EEEvT1_
	.globl	_ZN7rocprim17ROCPRIM_400000_NS6detail17trampoline_kernelINS0_14default_configENS1_20scan_config_selectorIdEEZZNS1_9scan_implILNS1_25lookback_scan_determinismE0ELb0ELb0ES3_N6thrust23THRUST_200600_302600_NS6detail15normal_iteratorINS9_10device_ptrIdEEEESE_dNS9_4plusIvEEdEEDaPvRmT3_T4_T5_mT6_P12ihipStream_tbENKUlT_T0_E_clISt17integral_constantIbLb0EEST_IbLb1EEEEDaSP_SQ_EUlSP_E0_NS1_11comp_targetILNS1_3genE3ELNS1_11target_archE908ELNS1_3gpuE7ELNS1_3repE0EEENS1_30default_config_static_selectorELNS0_4arch9wavefront6targetE1EEEvT1_
	.p2align	8
	.type	_ZN7rocprim17ROCPRIM_400000_NS6detail17trampoline_kernelINS0_14default_configENS1_20scan_config_selectorIdEEZZNS1_9scan_implILNS1_25lookback_scan_determinismE0ELb0ELb0ES3_N6thrust23THRUST_200600_302600_NS6detail15normal_iteratorINS9_10device_ptrIdEEEESE_dNS9_4plusIvEEdEEDaPvRmT3_T4_T5_mT6_P12ihipStream_tbENKUlT_T0_E_clISt17integral_constantIbLb0EEST_IbLb1EEEEDaSP_SQ_EUlSP_E0_NS1_11comp_targetILNS1_3genE3ELNS1_11target_archE908ELNS1_3gpuE7ELNS1_3repE0EEENS1_30default_config_static_selectorELNS0_4arch9wavefront6targetE1EEEvT1_,@function
_ZN7rocprim17ROCPRIM_400000_NS6detail17trampoline_kernelINS0_14default_configENS1_20scan_config_selectorIdEEZZNS1_9scan_implILNS1_25lookback_scan_determinismE0ELb0ELb0ES3_N6thrust23THRUST_200600_302600_NS6detail15normal_iteratorINS9_10device_ptrIdEEEESE_dNS9_4plusIvEEdEEDaPvRmT3_T4_T5_mT6_P12ihipStream_tbENKUlT_T0_E_clISt17integral_constantIbLb0EEST_IbLb1EEEEDaSP_SQ_EUlSP_E0_NS1_11comp_targetILNS1_3genE3ELNS1_11target_archE908ELNS1_3gpuE7ELNS1_3repE0EEENS1_30default_config_static_selectorELNS0_4arch9wavefront6targetE1EEEvT1_: ; @_ZN7rocprim17ROCPRIM_400000_NS6detail17trampoline_kernelINS0_14default_configENS1_20scan_config_selectorIdEEZZNS1_9scan_implILNS1_25lookback_scan_determinismE0ELb0ELb0ES3_N6thrust23THRUST_200600_302600_NS6detail15normal_iteratorINS9_10device_ptrIdEEEESE_dNS9_4plusIvEEdEEDaPvRmT3_T4_T5_mT6_P12ihipStream_tbENKUlT_T0_E_clISt17integral_constantIbLb0EEST_IbLb1EEEEDaSP_SQ_EUlSP_E0_NS1_11comp_targetILNS1_3genE3ELNS1_11target_archE908ELNS1_3gpuE7ELNS1_3repE0EEENS1_30default_config_static_selectorELNS0_4arch9wavefront6targetE1EEEvT1_
; %bb.0:
	.section	.rodata,"a",@progbits
	.p2align	6, 0x0
	.amdhsa_kernel _ZN7rocprim17ROCPRIM_400000_NS6detail17trampoline_kernelINS0_14default_configENS1_20scan_config_selectorIdEEZZNS1_9scan_implILNS1_25lookback_scan_determinismE0ELb0ELb0ES3_N6thrust23THRUST_200600_302600_NS6detail15normal_iteratorINS9_10device_ptrIdEEEESE_dNS9_4plusIvEEdEEDaPvRmT3_T4_T5_mT6_P12ihipStream_tbENKUlT_T0_E_clISt17integral_constantIbLb0EEST_IbLb1EEEEDaSP_SQ_EUlSP_E0_NS1_11comp_targetILNS1_3genE3ELNS1_11target_archE908ELNS1_3gpuE7ELNS1_3repE0EEENS1_30default_config_static_selectorELNS0_4arch9wavefront6targetE1EEEvT1_
		.amdhsa_group_segment_fixed_size 0
		.amdhsa_private_segment_fixed_size 0
		.amdhsa_kernarg_size 40
		.amdhsa_user_sgpr_count 6
		.amdhsa_user_sgpr_private_segment_buffer 1
		.amdhsa_user_sgpr_dispatch_ptr 0
		.amdhsa_user_sgpr_queue_ptr 0
		.amdhsa_user_sgpr_kernarg_segment_ptr 1
		.amdhsa_user_sgpr_dispatch_id 0
		.amdhsa_user_sgpr_flat_scratch_init 0
		.amdhsa_user_sgpr_kernarg_preload_length 0
		.amdhsa_user_sgpr_kernarg_preload_offset 0
		.amdhsa_user_sgpr_private_segment_size 0
		.amdhsa_uses_dynamic_stack 0
		.amdhsa_system_sgpr_private_segment_wavefront_offset 0
		.amdhsa_system_sgpr_workgroup_id_x 1
		.amdhsa_system_sgpr_workgroup_id_y 0
		.amdhsa_system_sgpr_workgroup_id_z 0
		.amdhsa_system_sgpr_workgroup_info 0
		.amdhsa_system_vgpr_workitem_id 0
		.amdhsa_next_free_vgpr 1
		.amdhsa_next_free_sgpr 0
		.amdhsa_accum_offset 4
		.amdhsa_reserve_vcc 0
		.amdhsa_reserve_flat_scratch 0
		.amdhsa_float_round_mode_32 0
		.amdhsa_float_round_mode_16_64 0
		.amdhsa_float_denorm_mode_32 3
		.amdhsa_float_denorm_mode_16_64 3
		.amdhsa_dx10_clamp 1
		.amdhsa_ieee_mode 1
		.amdhsa_fp16_overflow 0
		.amdhsa_tg_split 0
		.amdhsa_exception_fp_ieee_invalid_op 0
		.amdhsa_exception_fp_denorm_src 0
		.amdhsa_exception_fp_ieee_div_zero 0
		.amdhsa_exception_fp_ieee_overflow 0
		.amdhsa_exception_fp_ieee_underflow 0
		.amdhsa_exception_fp_ieee_inexact 0
		.amdhsa_exception_int_div_zero 0
	.end_amdhsa_kernel
	.section	.text._ZN7rocprim17ROCPRIM_400000_NS6detail17trampoline_kernelINS0_14default_configENS1_20scan_config_selectorIdEEZZNS1_9scan_implILNS1_25lookback_scan_determinismE0ELb0ELb0ES3_N6thrust23THRUST_200600_302600_NS6detail15normal_iteratorINS9_10device_ptrIdEEEESE_dNS9_4plusIvEEdEEDaPvRmT3_T4_T5_mT6_P12ihipStream_tbENKUlT_T0_E_clISt17integral_constantIbLb0EEST_IbLb1EEEEDaSP_SQ_EUlSP_E0_NS1_11comp_targetILNS1_3genE3ELNS1_11target_archE908ELNS1_3gpuE7ELNS1_3repE0EEENS1_30default_config_static_selectorELNS0_4arch9wavefront6targetE1EEEvT1_,"axG",@progbits,_ZN7rocprim17ROCPRIM_400000_NS6detail17trampoline_kernelINS0_14default_configENS1_20scan_config_selectorIdEEZZNS1_9scan_implILNS1_25lookback_scan_determinismE0ELb0ELb0ES3_N6thrust23THRUST_200600_302600_NS6detail15normal_iteratorINS9_10device_ptrIdEEEESE_dNS9_4plusIvEEdEEDaPvRmT3_T4_T5_mT6_P12ihipStream_tbENKUlT_T0_E_clISt17integral_constantIbLb0EEST_IbLb1EEEEDaSP_SQ_EUlSP_E0_NS1_11comp_targetILNS1_3genE3ELNS1_11target_archE908ELNS1_3gpuE7ELNS1_3repE0EEENS1_30default_config_static_selectorELNS0_4arch9wavefront6targetE1EEEvT1_,comdat
.Lfunc_end4208:
	.size	_ZN7rocprim17ROCPRIM_400000_NS6detail17trampoline_kernelINS0_14default_configENS1_20scan_config_selectorIdEEZZNS1_9scan_implILNS1_25lookback_scan_determinismE0ELb0ELb0ES3_N6thrust23THRUST_200600_302600_NS6detail15normal_iteratorINS9_10device_ptrIdEEEESE_dNS9_4plusIvEEdEEDaPvRmT3_T4_T5_mT6_P12ihipStream_tbENKUlT_T0_E_clISt17integral_constantIbLb0EEST_IbLb1EEEEDaSP_SQ_EUlSP_E0_NS1_11comp_targetILNS1_3genE3ELNS1_11target_archE908ELNS1_3gpuE7ELNS1_3repE0EEENS1_30default_config_static_selectorELNS0_4arch9wavefront6targetE1EEEvT1_, .Lfunc_end4208-_ZN7rocprim17ROCPRIM_400000_NS6detail17trampoline_kernelINS0_14default_configENS1_20scan_config_selectorIdEEZZNS1_9scan_implILNS1_25lookback_scan_determinismE0ELb0ELb0ES3_N6thrust23THRUST_200600_302600_NS6detail15normal_iteratorINS9_10device_ptrIdEEEESE_dNS9_4plusIvEEdEEDaPvRmT3_T4_T5_mT6_P12ihipStream_tbENKUlT_T0_E_clISt17integral_constantIbLb0EEST_IbLb1EEEEDaSP_SQ_EUlSP_E0_NS1_11comp_targetILNS1_3genE3ELNS1_11target_archE908ELNS1_3gpuE7ELNS1_3repE0EEENS1_30default_config_static_selectorELNS0_4arch9wavefront6targetE1EEEvT1_
                                        ; -- End function
	.section	.AMDGPU.csdata,"",@progbits
; Kernel info:
; codeLenInByte = 0
; NumSgprs: 4
; NumVgprs: 0
; NumAgprs: 0
; TotalNumVgprs: 0
; ScratchSize: 0
; MemoryBound: 0
; FloatMode: 240
; IeeeMode: 1
; LDSByteSize: 0 bytes/workgroup (compile time only)
; SGPRBlocks: 0
; VGPRBlocks: 0
; NumSGPRsForWavesPerEU: 4
; NumVGPRsForWavesPerEU: 1
; AccumOffset: 4
; Occupancy: 8
; WaveLimiterHint : 0
; COMPUTE_PGM_RSRC2:SCRATCH_EN: 0
; COMPUTE_PGM_RSRC2:USER_SGPR: 6
; COMPUTE_PGM_RSRC2:TRAP_HANDLER: 0
; COMPUTE_PGM_RSRC2:TGID_X_EN: 1
; COMPUTE_PGM_RSRC2:TGID_Y_EN: 0
; COMPUTE_PGM_RSRC2:TGID_Z_EN: 0
; COMPUTE_PGM_RSRC2:TIDIG_COMP_CNT: 0
; COMPUTE_PGM_RSRC3_GFX90A:ACCUM_OFFSET: 0
; COMPUTE_PGM_RSRC3_GFX90A:TG_SPLIT: 0
	.section	.text._ZN7rocprim17ROCPRIM_400000_NS6detail17trampoline_kernelINS0_14default_configENS1_20scan_config_selectorIdEEZZNS1_9scan_implILNS1_25lookback_scan_determinismE0ELb0ELb0ES3_N6thrust23THRUST_200600_302600_NS6detail15normal_iteratorINS9_10device_ptrIdEEEESE_dNS9_4plusIvEEdEEDaPvRmT3_T4_T5_mT6_P12ihipStream_tbENKUlT_T0_E_clISt17integral_constantIbLb0EEST_IbLb1EEEEDaSP_SQ_EUlSP_E0_NS1_11comp_targetILNS1_3genE2ELNS1_11target_archE906ELNS1_3gpuE6ELNS1_3repE0EEENS1_30default_config_static_selectorELNS0_4arch9wavefront6targetE1EEEvT1_,"axG",@progbits,_ZN7rocprim17ROCPRIM_400000_NS6detail17trampoline_kernelINS0_14default_configENS1_20scan_config_selectorIdEEZZNS1_9scan_implILNS1_25lookback_scan_determinismE0ELb0ELb0ES3_N6thrust23THRUST_200600_302600_NS6detail15normal_iteratorINS9_10device_ptrIdEEEESE_dNS9_4plusIvEEdEEDaPvRmT3_T4_T5_mT6_P12ihipStream_tbENKUlT_T0_E_clISt17integral_constantIbLb0EEST_IbLb1EEEEDaSP_SQ_EUlSP_E0_NS1_11comp_targetILNS1_3genE2ELNS1_11target_archE906ELNS1_3gpuE6ELNS1_3repE0EEENS1_30default_config_static_selectorELNS0_4arch9wavefront6targetE1EEEvT1_,comdat
	.protected	_ZN7rocprim17ROCPRIM_400000_NS6detail17trampoline_kernelINS0_14default_configENS1_20scan_config_selectorIdEEZZNS1_9scan_implILNS1_25lookback_scan_determinismE0ELb0ELb0ES3_N6thrust23THRUST_200600_302600_NS6detail15normal_iteratorINS9_10device_ptrIdEEEESE_dNS9_4plusIvEEdEEDaPvRmT3_T4_T5_mT6_P12ihipStream_tbENKUlT_T0_E_clISt17integral_constantIbLb0EEST_IbLb1EEEEDaSP_SQ_EUlSP_E0_NS1_11comp_targetILNS1_3genE2ELNS1_11target_archE906ELNS1_3gpuE6ELNS1_3repE0EEENS1_30default_config_static_selectorELNS0_4arch9wavefront6targetE1EEEvT1_ ; -- Begin function _ZN7rocprim17ROCPRIM_400000_NS6detail17trampoline_kernelINS0_14default_configENS1_20scan_config_selectorIdEEZZNS1_9scan_implILNS1_25lookback_scan_determinismE0ELb0ELb0ES3_N6thrust23THRUST_200600_302600_NS6detail15normal_iteratorINS9_10device_ptrIdEEEESE_dNS9_4plusIvEEdEEDaPvRmT3_T4_T5_mT6_P12ihipStream_tbENKUlT_T0_E_clISt17integral_constantIbLb0EEST_IbLb1EEEEDaSP_SQ_EUlSP_E0_NS1_11comp_targetILNS1_3genE2ELNS1_11target_archE906ELNS1_3gpuE6ELNS1_3repE0EEENS1_30default_config_static_selectorELNS0_4arch9wavefront6targetE1EEEvT1_
	.globl	_ZN7rocprim17ROCPRIM_400000_NS6detail17trampoline_kernelINS0_14default_configENS1_20scan_config_selectorIdEEZZNS1_9scan_implILNS1_25lookback_scan_determinismE0ELb0ELb0ES3_N6thrust23THRUST_200600_302600_NS6detail15normal_iteratorINS9_10device_ptrIdEEEESE_dNS9_4plusIvEEdEEDaPvRmT3_T4_T5_mT6_P12ihipStream_tbENKUlT_T0_E_clISt17integral_constantIbLb0EEST_IbLb1EEEEDaSP_SQ_EUlSP_E0_NS1_11comp_targetILNS1_3genE2ELNS1_11target_archE906ELNS1_3gpuE6ELNS1_3repE0EEENS1_30default_config_static_selectorELNS0_4arch9wavefront6targetE1EEEvT1_
	.p2align	8
	.type	_ZN7rocprim17ROCPRIM_400000_NS6detail17trampoline_kernelINS0_14default_configENS1_20scan_config_selectorIdEEZZNS1_9scan_implILNS1_25lookback_scan_determinismE0ELb0ELb0ES3_N6thrust23THRUST_200600_302600_NS6detail15normal_iteratorINS9_10device_ptrIdEEEESE_dNS9_4plusIvEEdEEDaPvRmT3_T4_T5_mT6_P12ihipStream_tbENKUlT_T0_E_clISt17integral_constantIbLb0EEST_IbLb1EEEEDaSP_SQ_EUlSP_E0_NS1_11comp_targetILNS1_3genE2ELNS1_11target_archE906ELNS1_3gpuE6ELNS1_3repE0EEENS1_30default_config_static_selectorELNS0_4arch9wavefront6targetE1EEEvT1_,@function
_ZN7rocprim17ROCPRIM_400000_NS6detail17trampoline_kernelINS0_14default_configENS1_20scan_config_selectorIdEEZZNS1_9scan_implILNS1_25lookback_scan_determinismE0ELb0ELb0ES3_N6thrust23THRUST_200600_302600_NS6detail15normal_iteratorINS9_10device_ptrIdEEEESE_dNS9_4plusIvEEdEEDaPvRmT3_T4_T5_mT6_P12ihipStream_tbENKUlT_T0_E_clISt17integral_constantIbLb0EEST_IbLb1EEEEDaSP_SQ_EUlSP_E0_NS1_11comp_targetILNS1_3genE2ELNS1_11target_archE906ELNS1_3gpuE6ELNS1_3repE0EEENS1_30default_config_static_selectorELNS0_4arch9wavefront6targetE1EEEvT1_: ; @_ZN7rocprim17ROCPRIM_400000_NS6detail17trampoline_kernelINS0_14default_configENS1_20scan_config_selectorIdEEZZNS1_9scan_implILNS1_25lookback_scan_determinismE0ELb0ELb0ES3_N6thrust23THRUST_200600_302600_NS6detail15normal_iteratorINS9_10device_ptrIdEEEESE_dNS9_4plusIvEEdEEDaPvRmT3_T4_T5_mT6_P12ihipStream_tbENKUlT_T0_E_clISt17integral_constantIbLb0EEST_IbLb1EEEEDaSP_SQ_EUlSP_E0_NS1_11comp_targetILNS1_3genE2ELNS1_11target_archE906ELNS1_3gpuE6ELNS1_3repE0EEENS1_30default_config_static_selectorELNS0_4arch9wavefront6targetE1EEEvT1_
; %bb.0:
	.section	.rodata,"a",@progbits
	.p2align	6, 0x0
	.amdhsa_kernel _ZN7rocprim17ROCPRIM_400000_NS6detail17trampoline_kernelINS0_14default_configENS1_20scan_config_selectorIdEEZZNS1_9scan_implILNS1_25lookback_scan_determinismE0ELb0ELb0ES3_N6thrust23THRUST_200600_302600_NS6detail15normal_iteratorINS9_10device_ptrIdEEEESE_dNS9_4plusIvEEdEEDaPvRmT3_T4_T5_mT6_P12ihipStream_tbENKUlT_T0_E_clISt17integral_constantIbLb0EEST_IbLb1EEEEDaSP_SQ_EUlSP_E0_NS1_11comp_targetILNS1_3genE2ELNS1_11target_archE906ELNS1_3gpuE6ELNS1_3repE0EEENS1_30default_config_static_selectorELNS0_4arch9wavefront6targetE1EEEvT1_
		.amdhsa_group_segment_fixed_size 0
		.amdhsa_private_segment_fixed_size 0
		.amdhsa_kernarg_size 40
		.amdhsa_user_sgpr_count 6
		.amdhsa_user_sgpr_private_segment_buffer 1
		.amdhsa_user_sgpr_dispatch_ptr 0
		.amdhsa_user_sgpr_queue_ptr 0
		.amdhsa_user_sgpr_kernarg_segment_ptr 1
		.amdhsa_user_sgpr_dispatch_id 0
		.amdhsa_user_sgpr_flat_scratch_init 0
		.amdhsa_user_sgpr_kernarg_preload_length 0
		.amdhsa_user_sgpr_kernarg_preload_offset 0
		.amdhsa_user_sgpr_private_segment_size 0
		.amdhsa_uses_dynamic_stack 0
		.amdhsa_system_sgpr_private_segment_wavefront_offset 0
		.amdhsa_system_sgpr_workgroup_id_x 1
		.amdhsa_system_sgpr_workgroup_id_y 0
		.amdhsa_system_sgpr_workgroup_id_z 0
		.amdhsa_system_sgpr_workgroup_info 0
		.amdhsa_system_vgpr_workitem_id 0
		.amdhsa_next_free_vgpr 1
		.amdhsa_next_free_sgpr 0
		.amdhsa_accum_offset 4
		.amdhsa_reserve_vcc 0
		.amdhsa_reserve_flat_scratch 0
		.amdhsa_float_round_mode_32 0
		.amdhsa_float_round_mode_16_64 0
		.amdhsa_float_denorm_mode_32 3
		.amdhsa_float_denorm_mode_16_64 3
		.amdhsa_dx10_clamp 1
		.amdhsa_ieee_mode 1
		.amdhsa_fp16_overflow 0
		.amdhsa_tg_split 0
		.amdhsa_exception_fp_ieee_invalid_op 0
		.amdhsa_exception_fp_denorm_src 0
		.amdhsa_exception_fp_ieee_div_zero 0
		.amdhsa_exception_fp_ieee_overflow 0
		.amdhsa_exception_fp_ieee_underflow 0
		.amdhsa_exception_fp_ieee_inexact 0
		.amdhsa_exception_int_div_zero 0
	.end_amdhsa_kernel
	.section	.text._ZN7rocprim17ROCPRIM_400000_NS6detail17trampoline_kernelINS0_14default_configENS1_20scan_config_selectorIdEEZZNS1_9scan_implILNS1_25lookback_scan_determinismE0ELb0ELb0ES3_N6thrust23THRUST_200600_302600_NS6detail15normal_iteratorINS9_10device_ptrIdEEEESE_dNS9_4plusIvEEdEEDaPvRmT3_T4_T5_mT6_P12ihipStream_tbENKUlT_T0_E_clISt17integral_constantIbLb0EEST_IbLb1EEEEDaSP_SQ_EUlSP_E0_NS1_11comp_targetILNS1_3genE2ELNS1_11target_archE906ELNS1_3gpuE6ELNS1_3repE0EEENS1_30default_config_static_selectorELNS0_4arch9wavefront6targetE1EEEvT1_,"axG",@progbits,_ZN7rocprim17ROCPRIM_400000_NS6detail17trampoline_kernelINS0_14default_configENS1_20scan_config_selectorIdEEZZNS1_9scan_implILNS1_25lookback_scan_determinismE0ELb0ELb0ES3_N6thrust23THRUST_200600_302600_NS6detail15normal_iteratorINS9_10device_ptrIdEEEESE_dNS9_4plusIvEEdEEDaPvRmT3_T4_T5_mT6_P12ihipStream_tbENKUlT_T0_E_clISt17integral_constantIbLb0EEST_IbLb1EEEEDaSP_SQ_EUlSP_E0_NS1_11comp_targetILNS1_3genE2ELNS1_11target_archE906ELNS1_3gpuE6ELNS1_3repE0EEENS1_30default_config_static_selectorELNS0_4arch9wavefront6targetE1EEEvT1_,comdat
.Lfunc_end4209:
	.size	_ZN7rocprim17ROCPRIM_400000_NS6detail17trampoline_kernelINS0_14default_configENS1_20scan_config_selectorIdEEZZNS1_9scan_implILNS1_25lookback_scan_determinismE0ELb0ELb0ES3_N6thrust23THRUST_200600_302600_NS6detail15normal_iteratorINS9_10device_ptrIdEEEESE_dNS9_4plusIvEEdEEDaPvRmT3_T4_T5_mT6_P12ihipStream_tbENKUlT_T0_E_clISt17integral_constantIbLb0EEST_IbLb1EEEEDaSP_SQ_EUlSP_E0_NS1_11comp_targetILNS1_3genE2ELNS1_11target_archE906ELNS1_3gpuE6ELNS1_3repE0EEENS1_30default_config_static_selectorELNS0_4arch9wavefront6targetE1EEEvT1_, .Lfunc_end4209-_ZN7rocprim17ROCPRIM_400000_NS6detail17trampoline_kernelINS0_14default_configENS1_20scan_config_selectorIdEEZZNS1_9scan_implILNS1_25lookback_scan_determinismE0ELb0ELb0ES3_N6thrust23THRUST_200600_302600_NS6detail15normal_iteratorINS9_10device_ptrIdEEEESE_dNS9_4plusIvEEdEEDaPvRmT3_T4_T5_mT6_P12ihipStream_tbENKUlT_T0_E_clISt17integral_constantIbLb0EEST_IbLb1EEEEDaSP_SQ_EUlSP_E0_NS1_11comp_targetILNS1_3genE2ELNS1_11target_archE906ELNS1_3gpuE6ELNS1_3repE0EEENS1_30default_config_static_selectorELNS0_4arch9wavefront6targetE1EEEvT1_
                                        ; -- End function
	.section	.AMDGPU.csdata,"",@progbits
; Kernel info:
; codeLenInByte = 0
; NumSgprs: 4
; NumVgprs: 0
; NumAgprs: 0
; TotalNumVgprs: 0
; ScratchSize: 0
; MemoryBound: 0
; FloatMode: 240
; IeeeMode: 1
; LDSByteSize: 0 bytes/workgroup (compile time only)
; SGPRBlocks: 0
; VGPRBlocks: 0
; NumSGPRsForWavesPerEU: 4
; NumVGPRsForWavesPerEU: 1
; AccumOffset: 4
; Occupancy: 8
; WaveLimiterHint : 0
; COMPUTE_PGM_RSRC2:SCRATCH_EN: 0
; COMPUTE_PGM_RSRC2:USER_SGPR: 6
; COMPUTE_PGM_RSRC2:TRAP_HANDLER: 0
; COMPUTE_PGM_RSRC2:TGID_X_EN: 1
; COMPUTE_PGM_RSRC2:TGID_Y_EN: 0
; COMPUTE_PGM_RSRC2:TGID_Z_EN: 0
; COMPUTE_PGM_RSRC2:TIDIG_COMP_CNT: 0
; COMPUTE_PGM_RSRC3_GFX90A:ACCUM_OFFSET: 0
; COMPUTE_PGM_RSRC3_GFX90A:TG_SPLIT: 0
	.section	.text._ZN7rocprim17ROCPRIM_400000_NS6detail17trampoline_kernelINS0_14default_configENS1_20scan_config_selectorIdEEZZNS1_9scan_implILNS1_25lookback_scan_determinismE0ELb0ELb0ES3_N6thrust23THRUST_200600_302600_NS6detail15normal_iteratorINS9_10device_ptrIdEEEESE_dNS9_4plusIvEEdEEDaPvRmT3_T4_T5_mT6_P12ihipStream_tbENKUlT_T0_E_clISt17integral_constantIbLb0EEST_IbLb1EEEEDaSP_SQ_EUlSP_E0_NS1_11comp_targetILNS1_3genE10ELNS1_11target_archE1201ELNS1_3gpuE5ELNS1_3repE0EEENS1_30default_config_static_selectorELNS0_4arch9wavefront6targetE1EEEvT1_,"axG",@progbits,_ZN7rocprim17ROCPRIM_400000_NS6detail17trampoline_kernelINS0_14default_configENS1_20scan_config_selectorIdEEZZNS1_9scan_implILNS1_25lookback_scan_determinismE0ELb0ELb0ES3_N6thrust23THRUST_200600_302600_NS6detail15normal_iteratorINS9_10device_ptrIdEEEESE_dNS9_4plusIvEEdEEDaPvRmT3_T4_T5_mT6_P12ihipStream_tbENKUlT_T0_E_clISt17integral_constantIbLb0EEST_IbLb1EEEEDaSP_SQ_EUlSP_E0_NS1_11comp_targetILNS1_3genE10ELNS1_11target_archE1201ELNS1_3gpuE5ELNS1_3repE0EEENS1_30default_config_static_selectorELNS0_4arch9wavefront6targetE1EEEvT1_,comdat
	.protected	_ZN7rocprim17ROCPRIM_400000_NS6detail17trampoline_kernelINS0_14default_configENS1_20scan_config_selectorIdEEZZNS1_9scan_implILNS1_25lookback_scan_determinismE0ELb0ELb0ES3_N6thrust23THRUST_200600_302600_NS6detail15normal_iteratorINS9_10device_ptrIdEEEESE_dNS9_4plusIvEEdEEDaPvRmT3_T4_T5_mT6_P12ihipStream_tbENKUlT_T0_E_clISt17integral_constantIbLb0EEST_IbLb1EEEEDaSP_SQ_EUlSP_E0_NS1_11comp_targetILNS1_3genE10ELNS1_11target_archE1201ELNS1_3gpuE5ELNS1_3repE0EEENS1_30default_config_static_selectorELNS0_4arch9wavefront6targetE1EEEvT1_ ; -- Begin function _ZN7rocprim17ROCPRIM_400000_NS6detail17trampoline_kernelINS0_14default_configENS1_20scan_config_selectorIdEEZZNS1_9scan_implILNS1_25lookback_scan_determinismE0ELb0ELb0ES3_N6thrust23THRUST_200600_302600_NS6detail15normal_iteratorINS9_10device_ptrIdEEEESE_dNS9_4plusIvEEdEEDaPvRmT3_T4_T5_mT6_P12ihipStream_tbENKUlT_T0_E_clISt17integral_constantIbLb0EEST_IbLb1EEEEDaSP_SQ_EUlSP_E0_NS1_11comp_targetILNS1_3genE10ELNS1_11target_archE1201ELNS1_3gpuE5ELNS1_3repE0EEENS1_30default_config_static_selectorELNS0_4arch9wavefront6targetE1EEEvT1_
	.globl	_ZN7rocprim17ROCPRIM_400000_NS6detail17trampoline_kernelINS0_14default_configENS1_20scan_config_selectorIdEEZZNS1_9scan_implILNS1_25lookback_scan_determinismE0ELb0ELb0ES3_N6thrust23THRUST_200600_302600_NS6detail15normal_iteratorINS9_10device_ptrIdEEEESE_dNS9_4plusIvEEdEEDaPvRmT3_T4_T5_mT6_P12ihipStream_tbENKUlT_T0_E_clISt17integral_constantIbLb0EEST_IbLb1EEEEDaSP_SQ_EUlSP_E0_NS1_11comp_targetILNS1_3genE10ELNS1_11target_archE1201ELNS1_3gpuE5ELNS1_3repE0EEENS1_30default_config_static_selectorELNS0_4arch9wavefront6targetE1EEEvT1_
	.p2align	8
	.type	_ZN7rocprim17ROCPRIM_400000_NS6detail17trampoline_kernelINS0_14default_configENS1_20scan_config_selectorIdEEZZNS1_9scan_implILNS1_25lookback_scan_determinismE0ELb0ELb0ES3_N6thrust23THRUST_200600_302600_NS6detail15normal_iteratorINS9_10device_ptrIdEEEESE_dNS9_4plusIvEEdEEDaPvRmT3_T4_T5_mT6_P12ihipStream_tbENKUlT_T0_E_clISt17integral_constantIbLb0EEST_IbLb1EEEEDaSP_SQ_EUlSP_E0_NS1_11comp_targetILNS1_3genE10ELNS1_11target_archE1201ELNS1_3gpuE5ELNS1_3repE0EEENS1_30default_config_static_selectorELNS0_4arch9wavefront6targetE1EEEvT1_,@function
_ZN7rocprim17ROCPRIM_400000_NS6detail17trampoline_kernelINS0_14default_configENS1_20scan_config_selectorIdEEZZNS1_9scan_implILNS1_25lookback_scan_determinismE0ELb0ELb0ES3_N6thrust23THRUST_200600_302600_NS6detail15normal_iteratorINS9_10device_ptrIdEEEESE_dNS9_4plusIvEEdEEDaPvRmT3_T4_T5_mT6_P12ihipStream_tbENKUlT_T0_E_clISt17integral_constantIbLb0EEST_IbLb1EEEEDaSP_SQ_EUlSP_E0_NS1_11comp_targetILNS1_3genE10ELNS1_11target_archE1201ELNS1_3gpuE5ELNS1_3repE0EEENS1_30default_config_static_selectorELNS0_4arch9wavefront6targetE1EEEvT1_: ; @_ZN7rocprim17ROCPRIM_400000_NS6detail17trampoline_kernelINS0_14default_configENS1_20scan_config_selectorIdEEZZNS1_9scan_implILNS1_25lookback_scan_determinismE0ELb0ELb0ES3_N6thrust23THRUST_200600_302600_NS6detail15normal_iteratorINS9_10device_ptrIdEEEESE_dNS9_4plusIvEEdEEDaPvRmT3_T4_T5_mT6_P12ihipStream_tbENKUlT_T0_E_clISt17integral_constantIbLb0EEST_IbLb1EEEEDaSP_SQ_EUlSP_E0_NS1_11comp_targetILNS1_3genE10ELNS1_11target_archE1201ELNS1_3gpuE5ELNS1_3repE0EEENS1_30default_config_static_selectorELNS0_4arch9wavefront6targetE1EEEvT1_
; %bb.0:
	.section	.rodata,"a",@progbits
	.p2align	6, 0x0
	.amdhsa_kernel _ZN7rocprim17ROCPRIM_400000_NS6detail17trampoline_kernelINS0_14default_configENS1_20scan_config_selectorIdEEZZNS1_9scan_implILNS1_25lookback_scan_determinismE0ELb0ELb0ES3_N6thrust23THRUST_200600_302600_NS6detail15normal_iteratorINS9_10device_ptrIdEEEESE_dNS9_4plusIvEEdEEDaPvRmT3_T4_T5_mT6_P12ihipStream_tbENKUlT_T0_E_clISt17integral_constantIbLb0EEST_IbLb1EEEEDaSP_SQ_EUlSP_E0_NS1_11comp_targetILNS1_3genE10ELNS1_11target_archE1201ELNS1_3gpuE5ELNS1_3repE0EEENS1_30default_config_static_selectorELNS0_4arch9wavefront6targetE1EEEvT1_
		.amdhsa_group_segment_fixed_size 0
		.amdhsa_private_segment_fixed_size 0
		.amdhsa_kernarg_size 40
		.amdhsa_user_sgpr_count 6
		.amdhsa_user_sgpr_private_segment_buffer 1
		.amdhsa_user_sgpr_dispatch_ptr 0
		.amdhsa_user_sgpr_queue_ptr 0
		.amdhsa_user_sgpr_kernarg_segment_ptr 1
		.amdhsa_user_sgpr_dispatch_id 0
		.amdhsa_user_sgpr_flat_scratch_init 0
		.amdhsa_user_sgpr_kernarg_preload_length 0
		.amdhsa_user_sgpr_kernarg_preload_offset 0
		.amdhsa_user_sgpr_private_segment_size 0
		.amdhsa_uses_dynamic_stack 0
		.amdhsa_system_sgpr_private_segment_wavefront_offset 0
		.amdhsa_system_sgpr_workgroup_id_x 1
		.amdhsa_system_sgpr_workgroup_id_y 0
		.amdhsa_system_sgpr_workgroup_id_z 0
		.amdhsa_system_sgpr_workgroup_info 0
		.amdhsa_system_vgpr_workitem_id 0
		.amdhsa_next_free_vgpr 1
		.amdhsa_next_free_sgpr 0
		.amdhsa_accum_offset 4
		.amdhsa_reserve_vcc 0
		.amdhsa_reserve_flat_scratch 0
		.amdhsa_float_round_mode_32 0
		.amdhsa_float_round_mode_16_64 0
		.amdhsa_float_denorm_mode_32 3
		.amdhsa_float_denorm_mode_16_64 3
		.amdhsa_dx10_clamp 1
		.amdhsa_ieee_mode 1
		.amdhsa_fp16_overflow 0
		.amdhsa_tg_split 0
		.amdhsa_exception_fp_ieee_invalid_op 0
		.amdhsa_exception_fp_denorm_src 0
		.amdhsa_exception_fp_ieee_div_zero 0
		.amdhsa_exception_fp_ieee_overflow 0
		.amdhsa_exception_fp_ieee_underflow 0
		.amdhsa_exception_fp_ieee_inexact 0
		.amdhsa_exception_int_div_zero 0
	.end_amdhsa_kernel
	.section	.text._ZN7rocprim17ROCPRIM_400000_NS6detail17trampoline_kernelINS0_14default_configENS1_20scan_config_selectorIdEEZZNS1_9scan_implILNS1_25lookback_scan_determinismE0ELb0ELb0ES3_N6thrust23THRUST_200600_302600_NS6detail15normal_iteratorINS9_10device_ptrIdEEEESE_dNS9_4plusIvEEdEEDaPvRmT3_T4_T5_mT6_P12ihipStream_tbENKUlT_T0_E_clISt17integral_constantIbLb0EEST_IbLb1EEEEDaSP_SQ_EUlSP_E0_NS1_11comp_targetILNS1_3genE10ELNS1_11target_archE1201ELNS1_3gpuE5ELNS1_3repE0EEENS1_30default_config_static_selectorELNS0_4arch9wavefront6targetE1EEEvT1_,"axG",@progbits,_ZN7rocprim17ROCPRIM_400000_NS6detail17trampoline_kernelINS0_14default_configENS1_20scan_config_selectorIdEEZZNS1_9scan_implILNS1_25lookback_scan_determinismE0ELb0ELb0ES3_N6thrust23THRUST_200600_302600_NS6detail15normal_iteratorINS9_10device_ptrIdEEEESE_dNS9_4plusIvEEdEEDaPvRmT3_T4_T5_mT6_P12ihipStream_tbENKUlT_T0_E_clISt17integral_constantIbLb0EEST_IbLb1EEEEDaSP_SQ_EUlSP_E0_NS1_11comp_targetILNS1_3genE10ELNS1_11target_archE1201ELNS1_3gpuE5ELNS1_3repE0EEENS1_30default_config_static_selectorELNS0_4arch9wavefront6targetE1EEEvT1_,comdat
.Lfunc_end4210:
	.size	_ZN7rocprim17ROCPRIM_400000_NS6detail17trampoline_kernelINS0_14default_configENS1_20scan_config_selectorIdEEZZNS1_9scan_implILNS1_25lookback_scan_determinismE0ELb0ELb0ES3_N6thrust23THRUST_200600_302600_NS6detail15normal_iteratorINS9_10device_ptrIdEEEESE_dNS9_4plusIvEEdEEDaPvRmT3_T4_T5_mT6_P12ihipStream_tbENKUlT_T0_E_clISt17integral_constantIbLb0EEST_IbLb1EEEEDaSP_SQ_EUlSP_E0_NS1_11comp_targetILNS1_3genE10ELNS1_11target_archE1201ELNS1_3gpuE5ELNS1_3repE0EEENS1_30default_config_static_selectorELNS0_4arch9wavefront6targetE1EEEvT1_, .Lfunc_end4210-_ZN7rocprim17ROCPRIM_400000_NS6detail17trampoline_kernelINS0_14default_configENS1_20scan_config_selectorIdEEZZNS1_9scan_implILNS1_25lookback_scan_determinismE0ELb0ELb0ES3_N6thrust23THRUST_200600_302600_NS6detail15normal_iteratorINS9_10device_ptrIdEEEESE_dNS9_4plusIvEEdEEDaPvRmT3_T4_T5_mT6_P12ihipStream_tbENKUlT_T0_E_clISt17integral_constantIbLb0EEST_IbLb1EEEEDaSP_SQ_EUlSP_E0_NS1_11comp_targetILNS1_3genE10ELNS1_11target_archE1201ELNS1_3gpuE5ELNS1_3repE0EEENS1_30default_config_static_selectorELNS0_4arch9wavefront6targetE1EEEvT1_
                                        ; -- End function
	.section	.AMDGPU.csdata,"",@progbits
; Kernel info:
; codeLenInByte = 0
; NumSgprs: 4
; NumVgprs: 0
; NumAgprs: 0
; TotalNumVgprs: 0
; ScratchSize: 0
; MemoryBound: 0
; FloatMode: 240
; IeeeMode: 1
; LDSByteSize: 0 bytes/workgroup (compile time only)
; SGPRBlocks: 0
; VGPRBlocks: 0
; NumSGPRsForWavesPerEU: 4
; NumVGPRsForWavesPerEU: 1
; AccumOffset: 4
; Occupancy: 8
; WaveLimiterHint : 0
; COMPUTE_PGM_RSRC2:SCRATCH_EN: 0
; COMPUTE_PGM_RSRC2:USER_SGPR: 6
; COMPUTE_PGM_RSRC2:TRAP_HANDLER: 0
; COMPUTE_PGM_RSRC2:TGID_X_EN: 1
; COMPUTE_PGM_RSRC2:TGID_Y_EN: 0
; COMPUTE_PGM_RSRC2:TGID_Z_EN: 0
; COMPUTE_PGM_RSRC2:TIDIG_COMP_CNT: 0
; COMPUTE_PGM_RSRC3_GFX90A:ACCUM_OFFSET: 0
; COMPUTE_PGM_RSRC3_GFX90A:TG_SPLIT: 0
	.section	.text._ZN7rocprim17ROCPRIM_400000_NS6detail17trampoline_kernelINS0_14default_configENS1_20scan_config_selectorIdEEZZNS1_9scan_implILNS1_25lookback_scan_determinismE0ELb0ELb0ES3_N6thrust23THRUST_200600_302600_NS6detail15normal_iteratorINS9_10device_ptrIdEEEESE_dNS9_4plusIvEEdEEDaPvRmT3_T4_T5_mT6_P12ihipStream_tbENKUlT_T0_E_clISt17integral_constantIbLb0EEST_IbLb1EEEEDaSP_SQ_EUlSP_E0_NS1_11comp_targetILNS1_3genE10ELNS1_11target_archE1200ELNS1_3gpuE4ELNS1_3repE0EEENS1_30default_config_static_selectorELNS0_4arch9wavefront6targetE1EEEvT1_,"axG",@progbits,_ZN7rocprim17ROCPRIM_400000_NS6detail17trampoline_kernelINS0_14default_configENS1_20scan_config_selectorIdEEZZNS1_9scan_implILNS1_25lookback_scan_determinismE0ELb0ELb0ES3_N6thrust23THRUST_200600_302600_NS6detail15normal_iteratorINS9_10device_ptrIdEEEESE_dNS9_4plusIvEEdEEDaPvRmT3_T4_T5_mT6_P12ihipStream_tbENKUlT_T0_E_clISt17integral_constantIbLb0EEST_IbLb1EEEEDaSP_SQ_EUlSP_E0_NS1_11comp_targetILNS1_3genE10ELNS1_11target_archE1200ELNS1_3gpuE4ELNS1_3repE0EEENS1_30default_config_static_selectorELNS0_4arch9wavefront6targetE1EEEvT1_,comdat
	.protected	_ZN7rocprim17ROCPRIM_400000_NS6detail17trampoline_kernelINS0_14default_configENS1_20scan_config_selectorIdEEZZNS1_9scan_implILNS1_25lookback_scan_determinismE0ELb0ELb0ES3_N6thrust23THRUST_200600_302600_NS6detail15normal_iteratorINS9_10device_ptrIdEEEESE_dNS9_4plusIvEEdEEDaPvRmT3_T4_T5_mT6_P12ihipStream_tbENKUlT_T0_E_clISt17integral_constantIbLb0EEST_IbLb1EEEEDaSP_SQ_EUlSP_E0_NS1_11comp_targetILNS1_3genE10ELNS1_11target_archE1200ELNS1_3gpuE4ELNS1_3repE0EEENS1_30default_config_static_selectorELNS0_4arch9wavefront6targetE1EEEvT1_ ; -- Begin function _ZN7rocprim17ROCPRIM_400000_NS6detail17trampoline_kernelINS0_14default_configENS1_20scan_config_selectorIdEEZZNS1_9scan_implILNS1_25lookback_scan_determinismE0ELb0ELb0ES3_N6thrust23THRUST_200600_302600_NS6detail15normal_iteratorINS9_10device_ptrIdEEEESE_dNS9_4plusIvEEdEEDaPvRmT3_T4_T5_mT6_P12ihipStream_tbENKUlT_T0_E_clISt17integral_constantIbLb0EEST_IbLb1EEEEDaSP_SQ_EUlSP_E0_NS1_11comp_targetILNS1_3genE10ELNS1_11target_archE1200ELNS1_3gpuE4ELNS1_3repE0EEENS1_30default_config_static_selectorELNS0_4arch9wavefront6targetE1EEEvT1_
	.globl	_ZN7rocprim17ROCPRIM_400000_NS6detail17trampoline_kernelINS0_14default_configENS1_20scan_config_selectorIdEEZZNS1_9scan_implILNS1_25lookback_scan_determinismE0ELb0ELb0ES3_N6thrust23THRUST_200600_302600_NS6detail15normal_iteratorINS9_10device_ptrIdEEEESE_dNS9_4plusIvEEdEEDaPvRmT3_T4_T5_mT6_P12ihipStream_tbENKUlT_T0_E_clISt17integral_constantIbLb0EEST_IbLb1EEEEDaSP_SQ_EUlSP_E0_NS1_11comp_targetILNS1_3genE10ELNS1_11target_archE1200ELNS1_3gpuE4ELNS1_3repE0EEENS1_30default_config_static_selectorELNS0_4arch9wavefront6targetE1EEEvT1_
	.p2align	8
	.type	_ZN7rocprim17ROCPRIM_400000_NS6detail17trampoline_kernelINS0_14default_configENS1_20scan_config_selectorIdEEZZNS1_9scan_implILNS1_25lookback_scan_determinismE0ELb0ELb0ES3_N6thrust23THRUST_200600_302600_NS6detail15normal_iteratorINS9_10device_ptrIdEEEESE_dNS9_4plusIvEEdEEDaPvRmT3_T4_T5_mT6_P12ihipStream_tbENKUlT_T0_E_clISt17integral_constantIbLb0EEST_IbLb1EEEEDaSP_SQ_EUlSP_E0_NS1_11comp_targetILNS1_3genE10ELNS1_11target_archE1200ELNS1_3gpuE4ELNS1_3repE0EEENS1_30default_config_static_selectorELNS0_4arch9wavefront6targetE1EEEvT1_,@function
_ZN7rocprim17ROCPRIM_400000_NS6detail17trampoline_kernelINS0_14default_configENS1_20scan_config_selectorIdEEZZNS1_9scan_implILNS1_25lookback_scan_determinismE0ELb0ELb0ES3_N6thrust23THRUST_200600_302600_NS6detail15normal_iteratorINS9_10device_ptrIdEEEESE_dNS9_4plusIvEEdEEDaPvRmT3_T4_T5_mT6_P12ihipStream_tbENKUlT_T0_E_clISt17integral_constantIbLb0EEST_IbLb1EEEEDaSP_SQ_EUlSP_E0_NS1_11comp_targetILNS1_3genE10ELNS1_11target_archE1200ELNS1_3gpuE4ELNS1_3repE0EEENS1_30default_config_static_selectorELNS0_4arch9wavefront6targetE1EEEvT1_: ; @_ZN7rocprim17ROCPRIM_400000_NS6detail17trampoline_kernelINS0_14default_configENS1_20scan_config_selectorIdEEZZNS1_9scan_implILNS1_25lookback_scan_determinismE0ELb0ELb0ES3_N6thrust23THRUST_200600_302600_NS6detail15normal_iteratorINS9_10device_ptrIdEEEESE_dNS9_4plusIvEEdEEDaPvRmT3_T4_T5_mT6_P12ihipStream_tbENKUlT_T0_E_clISt17integral_constantIbLb0EEST_IbLb1EEEEDaSP_SQ_EUlSP_E0_NS1_11comp_targetILNS1_3genE10ELNS1_11target_archE1200ELNS1_3gpuE4ELNS1_3repE0EEENS1_30default_config_static_selectorELNS0_4arch9wavefront6targetE1EEEvT1_
; %bb.0:
	.section	.rodata,"a",@progbits
	.p2align	6, 0x0
	.amdhsa_kernel _ZN7rocprim17ROCPRIM_400000_NS6detail17trampoline_kernelINS0_14default_configENS1_20scan_config_selectorIdEEZZNS1_9scan_implILNS1_25lookback_scan_determinismE0ELb0ELb0ES3_N6thrust23THRUST_200600_302600_NS6detail15normal_iteratorINS9_10device_ptrIdEEEESE_dNS9_4plusIvEEdEEDaPvRmT3_T4_T5_mT6_P12ihipStream_tbENKUlT_T0_E_clISt17integral_constantIbLb0EEST_IbLb1EEEEDaSP_SQ_EUlSP_E0_NS1_11comp_targetILNS1_3genE10ELNS1_11target_archE1200ELNS1_3gpuE4ELNS1_3repE0EEENS1_30default_config_static_selectorELNS0_4arch9wavefront6targetE1EEEvT1_
		.amdhsa_group_segment_fixed_size 0
		.amdhsa_private_segment_fixed_size 0
		.amdhsa_kernarg_size 40
		.amdhsa_user_sgpr_count 6
		.amdhsa_user_sgpr_private_segment_buffer 1
		.amdhsa_user_sgpr_dispatch_ptr 0
		.amdhsa_user_sgpr_queue_ptr 0
		.amdhsa_user_sgpr_kernarg_segment_ptr 1
		.amdhsa_user_sgpr_dispatch_id 0
		.amdhsa_user_sgpr_flat_scratch_init 0
		.amdhsa_user_sgpr_kernarg_preload_length 0
		.amdhsa_user_sgpr_kernarg_preload_offset 0
		.amdhsa_user_sgpr_private_segment_size 0
		.amdhsa_uses_dynamic_stack 0
		.amdhsa_system_sgpr_private_segment_wavefront_offset 0
		.amdhsa_system_sgpr_workgroup_id_x 1
		.amdhsa_system_sgpr_workgroup_id_y 0
		.amdhsa_system_sgpr_workgroup_id_z 0
		.amdhsa_system_sgpr_workgroup_info 0
		.amdhsa_system_vgpr_workitem_id 0
		.amdhsa_next_free_vgpr 1
		.amdhsa_next_free_sgpr 0
		.amdhsa_accum_offset 4
		.amdhsa_reserve_vcc 0
		.amdhsa_reserve_flat_scratch 0
		.amdhsa_float_round_mode_32 0
		.amdhsa_float_round_mode_16_64 0
		.amdhsa_float_denorm_mode_32 3
		.amdhsa_float_denorm_mode_16_64 3
		.amdhsa_dx10_clamp 1
		.amdhsa_ieee_mode 1
		.amdhsa_fp16_overflow 0
		.amdhsa_tg_split 0
		.amdhsa_exception_fp_ieee_invalid_op 0
		.amdhsa_exception_fp_denorm_src 0
		.amdhsa_exception_fp_ieee_div_zero 0
		.amdhsa_exception_fp_ieee_overflow 0
		.amdhsa_exception_fp_ieee_underflow 0
		.amdhsa_exception_fp_ieee_inexact 0
		.amdhsa_exception_int_div_zero 0
	.end_amdhsa_kernel
	.section	.text._ZN7rocprim17ROCPRIM_400000_NS6detail17trampoline_kernelINS0_14default_configENS1_20scan_config_selectorIdEEZZNS1_9scan_implILNS1_25lookback_scan_determinismE0ELb0ELb0ES3_N6thrust23THRUST_200600_302600_NS6detail15normal_iteratorINS9_10device_ptrIdEEEESE_dNS9_4plusIvEEdEEDaPvRmT3_T4_T5_mT6_P12ihipStream_tbENKUlT_T0_E_clISt17integral_constantIbLb0EEST_IbLb1EEEEDaSP_SQ_EUlSP_E0_NS1_11comp_targetILNS1_3genE10ELNS1_11target_archE1200ELNS1_3gpuE4ELNS1_3repE0EEENS1_30default_config_static_selectorELNS0_4arch9wavefront6targetE1EEEvT1_,"axG",@progbits,_ZN7rocprim17ROCPRIM_400000_NS6detail17trampoline_kernelINS0_14default_configENS1_20scan_config_selectorIdEEZZNS1_9scan_implILNS1_25lookback_scan_determinismE0ELb0ELb0ES3_N6thrust23THRUST_200600_302600_NS6detail15normal_iteratorINS9_10device_ptrIdEEEESE_dNS9_4plusIvEEdEEDaPvRmT3_T4_T5_mT6_P12ihipStream_tbENKUlT_T0_E_clISt17integral_constantIbLb0EEST_IbLb1EEEEDaSP_SQ_EUlSP_E0_NS1_11comp_targetILNS1_3genE10ELNS1_11target_archE1200ELNS1_3gpuE4ELNS1_3repE0EEENS1_30default_config_static_selectorELNS0_4arch9wavefront6targetE1EEEvT1_,comdat
.Lfunc_end4211:
	.size	_ZN7rocprim17ROCPRIM_400000_NS6detail17trampoline_kernelINS0_14default_configENS1_20scan_config_selectorIdEEZZNS1_9scan_implILNS1_25lookback_scan_determinismE0ELb0ELb0ES3_N6thrust23THRUST_200600_302600_NS6detail15normal_iteratorINS9_10device_ptrIdEEEESE_dNS9_4plusIvEEdEEDaPvRmT3_T4_T5_mT6_P12ihipStream_tbENKUlT_T0_E_clISt17integral_constantIbLb0EEST_IbLb1EEEEDaSP_SQ_EUlSP_E0_NS1_11comp_targetILNS1_3genE10ELNS1_11target_archE1200ELNS1_3gpuE4ELNS1_3repE0EEENS1_30default_config_static_selectorELNS0_4arch9wavefront6targetE1EEEvT1_, .Lfunc_end4211-_ZN7rocprim17ROCPRIM_400000_NS6detail17trampoline_kernelINS0_14default_configENS1_20scan_config_selectorIdEEZZNS1_9scan_implILNS1_25lookback_scan_determinismE0ELb0ELb0ES3_N6thrust23THRUST_200600_302600_NS6detail15normal_iteratorINS9_10device_ptrIdEEEESE_dNS9_4plusIvEEdEEDaPvRmT3_T4_T5_mT6_P12ihipStream_tbENKUlT_T0_E_clISt17integral_constantIbLb0EEST_IbLb1EEEEDaSP_SQ_EUlSP_E0_NS1_11comp_targetILNS1_3genE10ELNS1_11target_archE1200ELNS1_3gpuE4ELNS1_3repE0EEENS1_30default_config_static_selectorELNS0_4arch9wavefront6targetE1EEEvT1_
                                        ; -- End function
	.section	.AMDGPU.csdata,"",@progbits
; Kernel info:
; codeLenInByte = 0
; NumSgprs: 4
; NumVgprs: 0
; NumAgprs: 0
; TotalNumVgprs: 0
; ScratchSize: 0
; MemoryBound: 0
; FloatMode: 240
; IeeeMode: 1
; LDSByteSize: 0 bytes/workgroup (compile time only)
; SGPRBlocks: 0
; VGPRBlocks: 0
; NumSGPRsForWavesPerEU: 4
; NumVGPRsForWavesPerEU: 1
; AccumOffset: 4
; Occupancy: 8
; WaveLimiterHint : 0
; COMPUTE_PGM_RSRC2:SCRATCH_EN: 0
; COMPUTE_PGM_RSRC2:USER_SGPR: 6
; COMPUTE_PGM_RSRC2:TRAP_HANDLER: 0
; COMPUTE_PGM_RSRC2:TGID_X_EN: 1
; COMPUTE_PGM_RSRC2:TGID_Y_EN: 0
; COMPUTE_PGM_RSRC2:TGID_Z_EN: 0
; COMPUTE_PGM_RSRC2:TIDIG_COMP_CNT: 0
; COMPUTE_PGM_RSRC3_GFX90A:ACCUM_OFFSET: 0
; COMPUTE_PGM_RSRC3_GFX90A:TG_SPLIT: 0
	.section	.text._ZN7rocprim17ROCPRIM_400000_NS6detail17trampoline_kernelINS0_14default_configENS1_20scan_config_selectorIdEEZZNS1_9scan_implILNS1_25lookback_scan_determinismE0ELb0ELb0ES3_N6thrust23THRUST_200600_302600_NS6detail15normal_iteratorINS9_10device_ptrIdEEEESE_dNS9_4plusIvEEdEEDaPvRmT3_T4_T5_mT6_P12ihipStream_tbENKUlT_T0_E_clISt17integral_constantIbLb0EEST_IbLb1EEEEDaSP_SQ_EUlSP_E0_NS1_11comp_targetILNS1_3genE9ELNS1_11target_archE1100ELNS1_3gpuE3ELNS1_3repE0EEENS1_30default_config_static_selectorELNS0_4arch9wavefront6targetE1EEEvT1_,"axG",@progbits,_ZN7rocprim17ROCPRIM_400000_NS6detail17trampoline_kernelINS0_14default_configENS1_20scan_config_selectorIdEEZZNS1_9scan_implILNS1_25lookback_scan_determinismE0ELb0ELb0ES3_N6thrust23THRUST_200600_302600_NS6detail15normal_iteratorINS9_10device_ptrIdEEEESE_dNS9_4plusIvEEdEEDaPvRmT3_T4_T5_mT6_P12ihipStream_tbENKUlT_T0_E_clISt17integral_constantIbLb0EEST_IbLb1EEEEDaSP_SQ_EUlSP_E0_NS1_11comp_targetILNS1_3genE9ELNS1_11target_archE1100ELNS1_3gpuE3ELNS1_3repE0EEENS1_30default_config_static_selectorELNS0_4arch9wavefront6targetE1EEEvT1_,comdat
	.protected	_ZN7rocprim17ROCPRIM_400000_NS6detail17trampoline_kernelINS0_14default_configENS1_20scan_config_selectorIdEEZZNS1_9scan_implILNS1_25lookback_scan_determinismE0ELb0ELb0ES3_N6thrust23THRUST_200600_302600_NS6detail15normal_iteratorINS9_10device_ptrIdEEEESE_dNS9_4plusIvEEdEEDaPvRmT3_T4_T5_mT6_P12ihipStream_tbENKUlT_T0_E_clISt17integral_constantIbLb0EEST_IbLb1EEEEDaSP_SQ_EUlSP_E0_NS1_11comp_targetILNS1_3genE9ELNS1_11target_archE1100ELNS1_3gpuE3ELNS1_3repE0EEENS1_30default_config_static_selectorELNS0_4arch9wavefront6targetE1EEEvT1_ ; -- Begin function _ZN7rocprim17ROCPRIM_400000_NS6detail17trampoline_kernelINS0_14default_configENS1_20scan_config_selectorIdEEZZNS1_9scan_implILNS1_25lookback_scan_determinismE0ELb0ELb0ES3_N6thrust23THRUST_200600_302600_NS6detail15normal_iteratorINS9_10device_ptrIdEEEESE_dNS9_4plusIvEEdEEDaPvRmT3_T4_T5_mT6_P12ihipStream_tbENKUlT_T0_E_clISt17integral_constantIbLb0EEST_IbLb1EEEEDaSP_SQ_EUlSP_E0_NS1_11comp_targetILNS1_3genE9ELNS1_11target_archE1100ELNS1_3gpuE3ELNS1_3repE0EEENS1_30default_config_static_selectorELNS0_4arch9wavefront6targetE1EEEvT1_
	.globl	_ZN7rocprim17ROCPRIM_400000_NS6detail17trampoline_kernelINS0_14default_configENS1_20scan_config_selectorIdEEZZNS1_9scan_implILNS1_25lookback_scan_determinismE0ELb0ELb0ES3_N6thrust23THRUST_200600_302600_NS6detail15normal_iteratorINS9_10device_ptrIdEEEESE_dNS9_4plusIvEEdEEDaPvRmT3_T4_T5_mT6_P12ihipStream_tbENKUlT_T0_E_clISt17integral_constantIbLb0EEST_IbLb1EEEEDaSP_SQ_EUlSP_E0_NS1_11comp_targetILNS1_3genE9ELNS1_11target_archE1100ELNS1_3gpuE3ELNS1_3repE0EEENS1_30default_config_static_selectorELNS0_4arch9wavefront6targetE1EEEvT1_
	.p2align	8
	.type	_ZN7rocprim17ROCPRIM_400000_NS6detail17trampoline_kernelINS0_14default_configENS1_20scan_config_selectorIdEEZZNS1_9scan_implILNS1_25lookback_scan_determinismE0ELb0ELb0ES3_N6thrust23THRUST_200600_302600_NS6detail15normal_iteratorINS9_10device_ptrIdEEEESE_dNS9_4plusIvEEdEEDaPvRmT3_T4_T5_mT6_P12ihipStream_tbENKUlT_T0_E_clISt17integral_constantIbLb0EEST_IbLb1EEEEDaSP_SQ_EUlSP_E0_NS1_11comp_targetILNS1_3genE9ELNS1_11target_archE1100ELNS1_3gpuE3ELNS1_3repE0EEENS1_30default_config_static_selectorELNS0_4arch9wavefront6targetE1EEEvT1_,@function
_ZN7rocprim17ROCPRIM_400000_NS6detail17trampoline_kernelINS0_14default_configENS1_20scan_config_selectorIdEEZZNS1_9scan_implILNS1_25lookback_scan_determinismE0ELb0ELb0ES3_N6thrust23THRUST_200600_302600_NS6detail15normal_iteratorINS9_10device_ptrIdEEEESE_dNS9_4plusIvEEdEEDaPvRmT3_T4_T5_mT6_P12ihipStream_tbENKUlT_T0_E_clISt17integral_constantIbLb0EEST_IbLb1EEEEDaSP_SQ_EUlSP_E0_NS1_11comp_targetILNS1_3genE9ELNS1_11target_archE1100ELNS1_3gpuE3ELNS1_3repE0EEENS1_30default_config_static_selectorELNS0_4arch9wavefront6targetE1EEEvT1_: ; @_ZN7rocprim17ROCPRIM_400000_NS6detail17trampoline_kernelINS0_14default_configENS1_20scan_config_selectorIdEEZZNS1_9scan_implILNS1_25lookback_scan_determinismE0ELb0ELb0ES3_N6thrust23THRUST_200600_302600_NS6detail15normal_iteratorINS9_10device_ptrIdEEEESE_dNS9_4plusIvEEdEEDaPvRmT3_T4_T5_mT6_P12ihipStream_tbENKUlT_T0_E_clISt17integral_constantIbLb0EEST_IbLb1EEEEDaSP_SQ_EUlSP_E0_NS1_11comp_targetILNS1_3genE9ELNS1_11target_archE1100ELNS1_3gpuE3ELNS1_3repE0EEENS1_30default_config_static_selectorELNS0_4arch9wavefront6targetE1EEEvT1_
; %bb.0:
	.section	.rodata,"a",@progbits
	.p2align	6, 0x0
	.amdhsa_kernel _ZN7rocprim17ROCPRIM_400000_NS6detail17trampoline_kernelINS0_14default_configENS1_20scan_config_selectorIdEEZZNS1_9scan_implILNS1_25lookback_scan_determinismE0ELb0ELb0ES3_N6thrust23THRUST_200600_302600_NS6detail15normal_iteratorINS9_10device_ptrIdEEEESE_dNS9_4plusIvEEdEEDaPvRmT3_T4_T5_mT6_P12ihipStream_tbENKUlT_T0_E_clISt17integral_constantIbLb0EEST_IbLb1EEEEDaSP_SQ_EUlSP_E0_NS1_11comp_targetILNS1_3genE9ELNS1_11target_archE1100ELNS1_3gpuE3ELNS1_3repE0EEENS1_30default_config_static_selectorELNS0_4arch9wavefront6targetE1EEEvT1_
		.amdhsa_group_segment_fixed_size 0
		.amdhsa_private_segment_fixed_size 0
		.amdhsa_kernarg_size 40
		.amdhsa_user_sgpr_count 6
		.amdhsa_user_sgpr_private_segment_buffer 1
		.amdhsa_user_sgpr_dispatch_ptr 0
		.amdhsa_user_sgpr_queue_ptr 0
		.amdhsa_user_sgpr_kernarg_segment_ptr 1
		.amdhsa_user_sgpr_dispatch_id 0
		.amdhsa_user_sgpr_flat_scratch_init 0
		.amdhsa_user_sgpr_kernarg_preload_length 0
		.amdhsa_user_sgpr_kernarg_preload_offset 0
		.amdhsa_user_sgpr_private_segment_size 0
		.amdhsa_uses_dynamic_stack 0
		.amdhsa_system_sgpr_private_segment_wavefront_offset 0
		.amdhsa_system_sgpr_workgroup_id_x 1
		.amdhsa_system_sgpr_workgroup_id_y 0
		.amdhsa_system_sgpr_workgroup_id_z 0
		.amdhsa_system_sgpr_workgroup_info 0
		.amdhsa_system_vgpr_workitem_id 0
		.amdhsa_next_free_vgpr 1
		.amdhsa_next_free_sgpr 0
		.amdhsa_accum_offset 4
		.amdhsa_reserve_vcc 0
		.amdhsa_reserve_flat_scratch 0
		.amdhsa_float_round_mode_32 0
		.amdhsa_float_round_mode_16_64 0
		.amdhsa_float_denorm_mode_32 3
		.amdhsa_float_denorm_mode_16_64 3
		.amdhsa_dx10_clamp 1
		.amdhsa_ieee_mode 1
		.amdhsa_fp16_overflow 0
		.amdhsa_tg_split 0
		.amdhsa_exception_fp_ieee_invalid_op 0
		.amdhsa_exception_fp_denorm_src 0
		.amdhsa_exception_fp_ieee_div_zero 0
		.amdhsa_exception_fp_ieee_overflow 0
		.amdhsa_exception_fp_ieee_underflow 0
		.amdhsa_exception_fp_ieee_inexact 0
		.amdhsa_exception_int_div_zero 0
	.end_amdhsa_kernel
	.section	.text._ZN7rocprim17ROCPRIM_400000_NS6detail17trampoline_kernelINS0_14default_configENS1_20scan_config_selectorIdEEZZNS1_9scan_implILNS1_25lookback_scan_determinismE0ELb0ELb0ES3_N6thrust23THRUST_200600_302600_NS6detail15normal_iteratorINS9_10device_ptrIdEEEESE_dNS9_4plusIvEEdEEDaPvRmT3_T4_T5_mT6_P12ihipStream_tbENKUlT_T0_E_clISt17integral_constantIbLb0EEST_IbLb1EEEEDaSP_SQ_EUlSP_E0_NS1_11comp_targetILNS1_3genE9ELNS1_11target_archE1100ELNS1_3gpuE3ELNS1_3repE0EEENS1_30default_config_static_selectorELNS0_4arch9wavefront6targetE1EEEvT1_,"axG",@progbits,_ZN7rocprim17ROCPRIM_400000_NS6detail17trampoline_kernelINS0_14default_configENS1_20scan_config_selectorIdEEZZNS1_9scan_implILNS1_25lookback_scan_determinismE0ELb0ELb0ES3_N6thrust23THRUST_200600_302600_NS6detail15normal_iteratorINS9_10device_ptrIdEEEESE_dNS9_4plusIvEEdEEDaPvRmT3_T4_T5_mT6_P12ihipStream_tbENKUlT_T0_E_clISt17integral_constantIbLb0EEST_IbLb1EEEEDaSP_SQ_EUlSP_E0_NS1_11comp_targetILNS1_3genE9ELNS1_11target_archE1100ELNS1_3gpuE3ELNS1_3repE0EEENS1_30default_config_static_selectorELNS0_4arch9wavefront6targetE1EEEvT1_,comdat
.Lfunc_end4212:
	.size	_ZN7rocprim17ROCPRIM_400000_NS6detail17trampoline_kernelINS0_14default_configENS1_20scan_config_selectorIdEEZZNS1_9scan_implILNS1_25lookback_scan_determinismE0ELb0ELb0ES3_N6thrust23THRUST_200600_302600_NS6detail15normal_iteratorINS9_10device_ptrIdEEEESE_dNS9_4plusIvEEdEEDaPvRmT3_T4_T5_mT6_P12ihipStream_tbENKUlT_T0_E_clISt17integral_constantIbLb0EEST_IbLb1EEEEDaSP_SQ_EUlSP_E0_NS1_11comp_targetILNS1_3genE9ELNS1_11target_archE1100ELNS1_3gpuE3ELNS1_3repE0EEENS1_30default_config_static_selectorELNS0_4arch9wavefront6targetE1EEEvT1_, .Lfunc_end4212-_ZN7rocprim17ROCPRIM_400000_NS6detail17trampoline_kernelINS0_14default_configENS1_20scan_config_selectorIdEEZZNS1_9scan_implILNS1_25lookback_scan_determinismE0ELb0ELb0ES3_N6thrust23THRUST_200600_302600_NS6detail15normal_iteratorINS9_10device_ptrIdEEEESE_dNS9_4plusIvEEdEEDaPvRmT3_T4_T5_mT6_P12ihipStream_tbENKUlT_T0_E_clISt17integral_constantIbLb0EEST_IbLb1EEEEDaSP_SQ_EUlSP_E0_NS1_11comp_targetILNS1_3genE9ELNS1_11target_archE1100ELNS1_3gpuE3ELNS1_3repE0EEENS1_30default_config_static_selectorELNS0_4arch9wavefront6targetE1EEEvT1_
                                        ; -- End function
	.section	.AMDGPU.csdata,"",@progbits
; Kernel info:
; codeLenInByte = 0
; NumSgprs: 4
; NumVgprs: 0
; NumAgprs: 0
; TotalNumVgprs: 0
; ScratchSize: 0
; MemoryBound: 0
; FloatMode: 240
; IeeeMode: 1
; LDSByteSize: 0 bytes/workgroup (compile time only)
; SGPRBlocks: 0
; VGPRBlocks: 0
; NumSGPRsForWavesPerEU: 4
; NumVGPRsForWavesPerEU: 1
; AccumOffset: 4
; Occupancy: 8
; WaveLimiterHint : 0
; COMPUTE_PGM_RSRC2:SCRATCH_EN: 0
; COMPUTE_PGM_RSRC2:USER_SGPR: 6
; COMPUTE_PGM_RSRC2:TRAP_HANDLER: 0
; COMPUTE_PGM_RSRC2:TGID_X_EN: 1
; COMPUTE_PGM_RSRC2:TGID_Y_EN: 0
; COMPUTE_PGM_RSRC2:TGID_Z_EN: 0
; COMPUTE_PGM_RSRC2:TIDIG_COMP_CNT: 0
; COMPUTE_PGM_RSRC3_GFX90A:ACCUM_OFFSET: 0
; COMPUTE_PGM_RSRC3_GFX90A:TG_SPLIT: 0
	.section	.text._ZN7rocprim17ROCPRIM_400000_NS6detail17trampoline_kernelINS0_14default_configENS1_20scan_config_selectorIdEEZZNS1_9scan_implILNS1_25lookback_scan_determinismE0ELb0ELb0ES3_N6thrust23THRUST_200600_302600_NS6detail15normal_iteratorINS9_10device_ptrIdEEEESE_dNS9_4plusIvEEdEEDaPvRmT3_T4_T5_mT6_P12ihipStream_tbENKUlT_T0_E_clISt17integral_constantIbLb0EEST_IbLb1EEEEDaSP_SQ_EUlSP_E0_NS1_11comp_targetILNS1_3genE8ELNS1_11target_archE1030ELNS1_3gpuE2ELNS1_3repE0EEENS1_30default_config_static_selectorELNS0_4arch9wavefront6targetE1EEEvT1_,"axG",@progbits,_ZN7rocprim17ROCPRIM_400000_NS6detail17trampoline_kernelINS0_14default_configENS1_20scan_config_selectorIdEEZZNS1_9scan_implILNS1_25lookback_scan_determinismE0ELb0ELb0ES3_N6thrust23THRUST_200600_302600_NS6detail15normal_iteratorINS9_10device_ptrIdEEEESE_dNS9_4plusIvEEdEEDaPvRmT3_T4_T5_mT6_P12ihipStream_tbENKUlT_T0_E_clISt17integral_constantIbLb0EEST_IbLb1EEEEDaSP_SQ_EUlSP_E0_NS1_11comp_targetILNS1_3genE8ELNS1_11target_archE1030ELNS1_3gpuE2ELNS1_3repE0EEENS1_30default_config_static_selectorELNS0_4arch9wavefront6targetE1EEEvT1_,comdat
	.protected	_ZN7rocprim17ROCPRIM_400000_NS6detail17trampoline_kernelINS0_14default_configENS1_20scan_config_selectorIdEEZZNS1_9scan_implILNS1_25lookback_scan_determinismE0ELb0ELb0ES3_N6thrust23THRUST_200600_302600_NS6detail15normal_iteratorINS9_10device_ptrIdEEEESE_dNS9_4plusIvEEdEEDaPvRmT3_T4_T5_mT6_P12ihipStream_tbENKUlT_T0_E_clISt17integral_constantIbLb0EEST_IbLb1EEEEDaSP_SQ_EUlSP_E0_NS1_11comp_targetILNS1_3genE8ELNS1_11target_archE1030ELNS1_3gpuE2ELNS1_3repE0EEENS1_30default_config_static_selectorELNS0_4arch9wavefront6targetE1EEEvT1_ ; -- Begin function _ZN7rocprim17ROCPRIM_400000_NS6detail17trampoline_kernelINS0_14default_configENS1_20scan_config_selectorIdEEZZNS1_9scan_implILNS1_25lookback_scan_determinismE0ELb0ELb0ES3_N6thrust23THRUST_200600_302600_NS6detail15normal_iteratorINS9_10device_ptrIdEEEESE_dNS9_4plusIvEEdEEDaPvRmT3_T4_T5_mT6_P12ihipStream_tbENKUlT_T0_E_clISt17integral_constantIbLb0EEST_IbLb1EEEEDaSP_SQ_EUlSP_E0_NS1_11comp_targetILNS1_3genE8ELNS1_11target_archE1030ELNS1_3gpuE2ELNS1_3repE0EEENS1_30default_config_static_selectorELNS0_4arch9wavefront6targetE1EEEvT1_
	.globl	_ZN7rocprim17ROCPRIM_400000_NS6detail17trampoline_kernelINS0_14default_configENS1_20scan_config_selectorIdEEZZNS1_9scan_implILNS1_25lookback_scan_determinismE0ELb0ELb0ES3_N6thrust23THRUST_200600_302600_NS6detail15normal_iteratorINS9_10device_ptrIdEEEESE_dNS9_4plusIvEEdEEDaPvRmT3_T4_T5_mT6_P12ihipStream_tbENKUlT_T0_E_clISt17integral_constantIbLb0EEST_IbLb1EEEEDaSP_SQ_EUlSP_E0_NS1_11comp_targetILNS1_3genE8ELNS1_11target_archE1030ELNS1_3gpuE2ELNS1_3repE0EEENS1_30default_config_static_selectorELNS0_4arch9wavefront6targetE1EEEvT1_
	.p2align	8
	.type	_ZN7rocprim17ROCPRIM_400000_NS6detail17trampoline_kernelINS0_14default_configENS1_20scan_config_selectorIdEEZZNS1_9scan_implILNS1_25lookback_scan_determinismE0ELb0ELb0ES3_N6thrust23THRUST_200600_302600_NS6detail15normal_iteratorINS9_10device_ptrIdEEEESE_dNS9_4plusIvEEdEEDaPvRmT3_T4_T5_mT6_P12ihipStream_tbENKUlT_T0_E_clISt17integral_constantIbLb0EEST_IbLb1EEEEDaSP_SQ_EUlSP_E0_NS1_11comp_targetILNS1_3genE8ELNS1_11target_archE1030ELNS1_3gpuE2ELNS1_3repE0EEENS1_30default_config_static_selectorELNS0_4arch9wavefront6targetE1EEEvT1_,@function
_ZN7rocprim17ROCPRIM_400000_NS6detail17trampoline_kernelINS0_14default_configENS1_20scan_config_selectorIdEEZZNS1_9scan_implILNS1_25lookback_scan_determinismE0ELb0ELb0ES3_N6thrust23THRUST_200600_302600_NS6detail15normal_iteratorINS9_10device_ptrIdEEEESE_dNS9_4plusIvEEdEEDaPvRmT3_T4_T5_mT6_P12ihipStream_tbENKUlT_T0_E_clISt17integral_constantIbLb0EEST_IbLb1EEEEDaSP_SQ_EUlSP_E0_NS1_11comp_targetILNS1_3genE8ELNS1_11target_archE1030ELNS1_3gpuE2ELNS1_3repE0EEENS1_30default_config_static_selectorELNS0_4arch9wavefront6targetE1EEEvT1_: ; @_ZN7rocprim17ROCPRIM_400000_NS6detail17trampoline_kernelINS0_14default_configENS1_20scan_config_selectorIdEEZZNS1_9scan_implILNS1_25lookback_scan_determinismE0ELb0ELb0ES3_N6thrust23THRUST_200600_302600_NS6detail15normal_iteratorINS9_10device_ptrIdEEEESE_dNS9_4plusIvEEdEEDaPvRmT3_T4_T5_mT6_P12ihipStream_tbENKUlT_T0_E_clISt17integral_constantIbLb0EEST_IbLb1EEEEDaSP_SQ_EUlSP_E0_NS1_11comp_targetILNS1_3genE8ELNS1_11target_archE1030ELNS1_3gpuE2ELNS1_3repE0EEENS1_30default_config_static_selectorELNS0_4arch9wavefront6targetE1EEEvT1_
; %bb.0:
	.section	.rodata,"a",@progbits
	.p2align	6, 0x0
	.amdhsa_kernel _ZN7rocprim17ROCPRIM_400000_NS6detail17trampoline_kernelINS0_14default_configENS1_20scan_config_selectorIdEEZZNS1_9scan_implILNS1_25lookback_scan_determinismE0ELb0ELb0ES3_N6thrust23THRUST_200600_302600_NS6detail15normal_iteratorINS9_10device_ptrIdEEEESE_dNS9_4plusIvEEdEEDaPvRmT3_T4_T5_mT6_P12ihipStream_tbENKUlT_T0_E_clISt17integral_constantIbLb0EEST_IbLb1EEEEDaSP_SQ_EUlSP_E0_NS1_11comp_targetILNS1_3genE8ELNS1_11target_archE1030ELNS1_3gpuE2ELNS1_3repE0EEENS1_30default_config_static_selectorELNS0_4arch9wavefront6targetE1EEEvT1_
		.amdhsa_group_segment_fixed_size 0
		.amdhsa_private_segment_fixed_size 0
		.amdhsa_kernarg_size 40
		.amdhsa_user_sgpr_count 6
		.amdhsa_user_sgpr_private_segment_buffer 1
		.amdhsa_user_sgpr_dispatch_ptr 0
		.amdhsa_user_sgpr_queue_ptr 0
		.amdhsa_user_sgpr_kernarg_segment_ptr 1
		.amdhsa_user_sgpr_dispatch_id 0
		.amdhsa_user_sgpr_flat_scratch_init 0
		.amdhsa_user_sgpr_kernarg_preload_length 0
		.amdhsa_user_sgpr_kernarg_preload_offset 0
		.amdhsa_user_sgpr_private_segment_size 0
		.amdhsa_uses_dynamic_stack 0
		.amdhsa_system_sgpr_private_segment_wavefront_offset 0
		.amdhsa_system_sgpr_workgroup_id_x 1
		.amdhsa_system_sgpr_workgroup_id_y 0
		.amdhsa_system_sgpr_workgroup_id_z 0
		.amdhsa_system_sgpr_workgroup_info 0
		.amdhsa_system_vgpr_workitem_id 0
		.amdhsa_next_free_vgpr 1
		.amdhsa_next_free_sgpr 0
		.amdhsa_accum_offset 4
		.amdhsa_reserve_vcc 0
		.amdhsa_reserve_flat_scratch 0
		.amdhsa_float_round_mode_32 0
		.amdhsa_float_round_mode_16_64 0
		.amdhsa_float_denorm_mode_32 3
		.amdhsa_float_denorm_mode_16_64 3
		.amdhsa_dx10_clamp 1
		.amdhsa_ieee_mode 1
		.amdhsa_fp16_overflow 0
		.amdhsa_tg_split 0
		.amdhsa_exception_fp_ieee_invalid_op 0
		.amdhsa_exception_fp_denorm_src 0
		.amdhsa_exception_fp_ieee_div_zero 0
		.amdhsa_exception_fp_ieee_overflow 0
		.amdhsa_exception_fp_ieee_underflow 0
		.amdhsa_exception_fp_ieee_inexact 0
		.amdhsa_exception_int_div_zero 0
	.end_amdhsa_kernel
	.section	.text._ZN7rocprim17ROCPRIM_400000_NS6detail17trampoline_kernelINS0_14default_configENS1_20scan_config_selectorIdEEZZNS1_9scan_implILNS1_25lookback_scan_determinismE0ELb0ELb0ES3_N6thrust23THRUST_200600_302600_NS6detail15normal_iteratorINS9_10device_ptrIdEEEESE_dNS9_4plusIvEEdEEDaPvRmT3_T4_T5_mT6_P12ihipStream_tbENKUlT_T0_E_clISt17integral_constantIbLb0EEST_IbLb1EEEEDaSP_SQ_EUlSP_E0_NS1_11comp_targetILNS1_3genE8ELNS1_11target_archE1030ELNS1_3gpuE2ELNS1_3repE0EEENS1_30default_config_static_selectorELNS0_4arch9wavefront6targetE1EEEvT1_,"axG",@progbits,_ZN7rocprim17ROCPRIM_400000_NS6detail17trampoline_kernelINS0_14default_configENS1_20scan_config_selectorIdEEZZNS1_9scan_implILNS1_25lookback_scan_determinismE0ELb0ELb0ES3_N6thrust23THRUST_200600_302600_NS6detail15normal_iteratorINS9_10device_ptrIdEEEESE_dNS9_4plusIvEEdEEDaPvRmT3_T4_T5_mT6_P12ihipStream_tbENKUlT_T0_E_clISt17integral_constantIbLb0EEST_IbLb1EEEEDaSP_SQ_EUlSP_E0_NS1_11comp_targetILNS1_3genE8ELNS1_11target_archE1030ELNS1_3gpuE2ELNS1_3repE0EEENS1_30default_config_static_selectorELNS0_4arch9wavefront6targetE1EEEvT1_,comdat
.Lfunc_end4213:
	.size	_ZN7rocprim17ROCPRIM_400000_NS6detail17trampoline_kernelINS0_14default_configENS1_20scan_config_selectorIdEEZZNS1_9scan_implILNS1_25lookback_scan_determinismE0ELb0ELb0ES3_N6thrust23THRUST_200600_302600_NS6detail15normal_iteratorINS9_10device_ptrIdEEEESE_dNS9_4plusIvEEdEEDaPvRmT3_T4_T5_mT6_P12ihipStream_tbENKUlT_T0_E_clISt17integral_constantIbLb0EEST_IbLb1EEEEDaSP_SQ_EUlSP_E0_NS1_11comp_targetILNS1_3genE8ELNS1_11target_archE1030ELNS1_3gpuE2ELNS1_3repE0EEENS1_30default_config_static_selectorELNS0_4arch9wavefront6targetE1EEEvT1_, .Lfunc_end4213-_ZN7rocprim17ROCPRIM_400000_NS6detail17trampoline_kernelINS0_14default_configENS1_20scan_config_selectorIdEEZZNS1_9scan_implILNS1_25lookback_scan_determinismE0ELb0ELb0ES3_N6thrust23THRUST_200600_302600_NS6detail15normal_iteratorINS9_10device_ptrIdEEEESE_dNS9_4plusIvEEdEEDaPvRmT3_T4_T5_mT6_P12ihipStream_tbENKUlT_T0_E_clISt17integral_constantIbLb0EEST_IbLb1EEEEDaSP_SQ_EUlSP_E0_NS1_11comp_targetILNS1_3genE8ELNS1_11target_archE1030ELNS1_3gpuE2ELNS1_3repE0EEENS1_30default_config_static_selectorELNS0_4arch9wavefront6targetE1EEEvT1_
                                        ; -- End function
	.section	.AMDGPU.csdata,"",@progbits
; Kernel info:
; codeLenInByte = 0
; NumSgprs: 4
; NumVgprs: 0
; NumAgprs: 0
; TotalNumVgprs: 0
; ScratchSize: 0
; MemoryBound: 0
; FloatMode: 240
; IeeeMode: 1
; LDSByteSize: 0 bytes/workgroup (compile time only)
; SGPRBlocks: 0
; VGPRBlocks: 0
; NumSGPRsForWavesPerEU: 4
; NumVGPRsForWavesPerEU: 1
; AccumOffset: 4
; Occupancy: 8
; WaveLimiterHint : 0
; COMPUTE_PGM_RSRC2:SCRATCH_EN: 0
; COMPUTE_PGM_RSRC2:USER_SGPR: 6
; COMPUTE_PGM_RSRC2:TRAP_HANDLER: 0
; COMPUTE_PGM_RSRC2:TGID_X_EN: 1
; COMPUTE_PGM_RSRC2:TGID_Y_EN: 0
; COMPUTE_PGM_RSRC2:TGID_Z_EN: 0
; COMPUTE_PGM_RSRC2:TIDIG_COMP_CNT: 0
; COMPUTE_PGM_RSRC3_GFX90A:ACCUM_OFFSET: 0
; COMPUTE_PGM_RSRC3_GFX90A:TG_SPLIT: 0
	.section	.text._ZN7rocprim17ROCPRIM_400000_NS6detail17trampoline_kernelINS0_14default_configENS1_20scan_config_selectorIdEEZZNS1_9scan_implILNS1_25lookback_scan_determinismE0ELb1ELb1ES3_N6thrust23THRUST_200600_302600_NS6detail15normal_iteratorINS9_10device_ptrIdEEEESE_dNS9_4plusIvEEdEEDaPvRmT3_T4_T5_mT6_P12ihipStream_tbENKUlT_T0_E_clISt17integral_constantIbLb0EESU_EEDaSP_SQ_EUlSP_E_NS1_11comp_targetILNS1_3genE0ELNS1_11target_archE4294967295ELNS1_3gpuE0ELNS1_3repE0EEENS1_30default_config_static_selectorELNS0_4arch9wavefront6targetE1EEEvT1_,"axG",@progbits,_ZN7rocprim17ROCPRIM_400000_NS6detail17trampoline_kernelINS0_14default_configENS1_20scan_config_selectorIdEEZZNS1_9scan_implILNS1_25lookback_scan_determinismE0ELb1ELb1ES3_N6thrust23THRUST_200600_302600_NS6detail15normal_iteratorINS9_10device_ptrIdEEEESE_dNS9_4plusIvEEdEEDaPvRmT3_T4_T5_mT6_P12ihipStream_tbENKUlT_T0_E_clISt17integral_constantIbLb0EESU_EEDaSP_SQ_EUlSP_E_NS1_11comp_targetILNS1_3genE0ELNS1_11target_archE4294967295ELNS1_3gpuE0ELNS1_3repE0EEENS1_30default_config_static_selectorELNS0_4arch9wavefront6targetE1EEEvT1_,comdat
	.protected	_ZN7rocprim17ROCPRIM_400000_NS6detail17trampoline_kernelINS0_14default_configENS1_20scan_config_selectorIdEEZZNS1_9scan_implILNS1_25lookback_scan_determinismE0ELb1ELb1ES3_N6thrust23THRUST_200600_302600_NS6detail15normal_iteratorINS9_10device_ptrIdEEEESE_dNS9_4plusIvEEdEEDaPvRmT3_T4_T5_mT6_P12ihipStream_tbENKUlT_T0_E_clISt17integral_constantIbLb0EESU_EEDaSP_SQ_EUlSP_E_NS1_11comp_targetILNS1_3genE0ELNS1_11target_archE4294967295ELNS1_3gpuE0ELNS1_3repE0EEENS1_30default_config_static_selectorELNS0_4arch9wavefront6targetE1EEEvT1_ ; -- Begin function _ZN7rocprim17ROCPRIM_400000_NS6detail17trampoline_kernelINS0_14default_configENS1_20scan_config_selectorIdEEZZNS1_9scan_implILNS1_25lookback_scan_determinismE0ELb1ELb1ES3_N6thrust23THRUST_200600_302600_NS6detail15normal_iteratorINS9_10device_ptrIdEEEESE_dNS9_4plusIvEEdEEDaPvRmT3_T4_T5_mT6_P12ihipStream_tbENKUlT_T0_E_clISt17integral_constantIbLb0EESU_EEDaSP_SQ_EUlSP_E_NS1_11comp_targetILNS1_3genE0ELNS1_11target_archE4294967295ELNS1_3gpuE0ELNS1_3repE0EEENS1_30default_config_static_selectorELNS0_4arch9wavefront6targetE1EEEvT1_
	.globl	_ZN7rocprim17ROCPRIM_400000_NS6detail17trampoline_kernelINS0_14default_configENS1_20scan_config_selectorIdEEZZNS1_9scan_implILNS1_25lookback_scan_determinismE0ELb1ELb1ES3_N6thrust23THRUST_200600_302600_NS6detail15normal_iteratorINS9_10device_ptrIdEEEESE_dNS9_4plusIvEEdEEDaPvRmT3_T4_T5_mT6_P12ihipStream_tbENKUlT_T0_E_clISt17integral_constantIbLb0EESU_EEDaSP_SQ_EUlSP_E_NS1_11comp_targetILNS1_3genE0ELNS1_11target_archE4294967295ELNS1_3gpuE0ELNS1_3repE0EEENS1_30default_config_static_selectorELNS0_4arch9wavefront6targetE1EEEvT1_
	.p2align	8
	.type	_ZN7rocprim17ROCPRIM_400000_NS6detail17trampoline_kernelINS0_14default_configENS1_20scan_config_selectorIdEEZZNS1_9scan_implILNS1_25lookback_scan_determinismE0ELb1ELb1ES3_N6thrust23THRUST_200600_302600_NS6detail15normal_iteratorINS9_10device_ptrIdEEEESE_dNS9_4plusIvEEdEEDaPvRmT3_T4_T5_mT6_P12ihipStream_tbENKUlT_T0_E_clISt17integral_constantIbLb0EESU_EEDaSP_SQ_EUlSP_E_NS1_11comp_targetILNS1_3genE0ELNS1_11target_archE4294967295ELNS1_3gpuE0ELNS1_3repE0EEENS1_30default_config_static_selectorELNS0_4arch9wavefront6targetE1EEEvT1_,@function
_ZN7rocprim17ROCPRIM_400000_NS6detail17trampoline_kernelINS0_14default_configENS1_20scan_config_selectorIdEEZZNS1_9scan_implILNS1_25lookback_scan_determinismE0ELb1ELb1ES3_N6thrust23THRUST_200600_302600_NS6detail15normal_iteratorINS9_10device_ptrIdEEEESE_dNS9_4plusIvEEdEEDaPvRmT3_T4_T5_mT6_P12ihipStream_tbENKUlT_T0_E_clISt17integral_constantIbLb0EESU_EEDaSP_SQ_EUlSP_E_NS1_11comp_targetILNS1_3genE0ELNS1_11target_archE4294967295ELNS1_3gpuE0ELNS1_3repE0EEENS1_30default_config_static_selectorELNS0_4arch9wavefront6targetE1EEEvT1_: ; @_ZN7rocprim17ROCPRIM_400000_NS6detail17trampoline_kernelINS0_14default_configENS1_20scan_config_selectorIdEEZZNS1_9scan_implILNS1_25lookback_scan_determinismE0ELb1ELb1ES3_N6thrust23THRUST_200600_302600_NS6detail15normal_iteratorINS9_10device_ptrIdEEEESE_dNS9_4plusIvEEdEEDaPvRmT3_T4_T5_mT6_P12ihipStream_tbENKUlT_T0_E_clISt17integral_constantIbLb0EESU_EEDaSP_SQ_EUlSP_E_NS1_11comp_targetILNS1_3genE0ELNS1_11target_archE4294967295ELNS1_3gpuE0ELNS1_3repE0EEENS1_30default_config_static_selectorELNS0_4arch9wavefront6targetE1EEEvT1_
; %bb.0:
	.section	.rodata,"a",@progbits
	.p2align	6, 0x0
	.amdhsa_kernel _ZN7rocprim17ROCPRIM_400000_NS6detail17trampoline_kernelINS0_14default_configENS1_20scan_config_selectorIdEEZZNS1_9scan_implILNS1_25lookback_scan_determinismE0ELb1ELb1ES3_N6thrust23THRUST_200600_302600_NS6detail15normal_iteratorINS9_10device_ptrIdEEEESE_dNS9_4plusIvEEdEEDaPvRmT3_T4_T5_mT6_P12ihipStream_tbENKUlT_T0_E_clISt17integral_constantIbLb0EESU_EEDaSP_SQ_EUlSP_E_NS1_11comp_targetILNS1_3genE0ELNS1_11target_archE4294967295ELNS1_3gpuE0ELNS1_3repE0EEENS1_30default_config_static_selectorELNS0_4arch9wavefront6targetE1EEEvT1_
		.amdhsa_group_segment_fixed_size 0
		.amdhsa_private_segment_fixed_size 0
		.amdhsa_kernarg_size 104
		.amdhsa_user_sgpr_count 6
		.amdhsa_user_sgpr_private_segment_buffer 1
		.amdhsa_user_sgpr_dispatch_ptr 0
		.amdhsa_user_sgpr_queue_ptr 0
		.amdhsa_user_sgpr_kernarg_segment_ptr 1
		.amdhsa_user_sgpr_dispatch_id 0
		.amdhsa_user_sgpr_flat_scratch_init 0
		.amdhsa_user_sgpr_kernarg_preload_length 0
		.amdhsa_user_sgpr_kernarg_preload_offset 0
		.amdhsa_user_sgpr_private_segment_size 0
		.amdhsa_uses_dynamic_stack 0
		.amdhsa_system_sgpr_private_segment_wavefront_offset 0
		.amdhsa_system_sgpr_workgroup_id_x 1
		.amdhsa_system_sgpr_workgroup_id_y 0
		.amdhsa_system_sgpr_workgroup_id_z 0
		.amdhsa_system_sgpr_workgroup_info 0
		.amdhsa_system_vgpr_workitem_id 0
		.amdhsa_next_free_vgpr 1
		.amdhsa_next_free_sgpr 0
		.amdhsa_accum_offset 4
		.amdhsa_reserve_vcc 0
		.amdhsa_reserve_flat_scratch 0
		.amdhsa_float_round_mode_32 0
		.amdhsa_float_round_mode_16_64 0
		.amdhsa_float_denorm_mode_32 3
		.amdhsa_float_denorm_mode_16_64 3
		.amdhsa_dx10_clamp 1
		.amdhsa_ieee_mode 1
		.amdhsa_fp16_overflow 0
		.amdhsa_tg_split 0
		.amdhsa_exception_fp_ieee_invalid_op 0
		.amdhsa_exception_fp_denorm_src 0
		.amdhsa_exception_fp_ieee_div_zero 0
		.amdhsa_exception_fp_ieee_overflow 0
		.amdhsa_exception_fp_ieee_underflow 0
		.amdhsa_exception_fp_ieee_inexact 0
		.amdhsa_exception_int_div_zero 0
	.end_amdhsa_kernel
	.section	.text._ZN7rocprim17ROCPRIM_400000_NS6detail17trampoline_kernelINS0_14default_configENS1_20scan_config_selectorIdEEZZNS1_9scan_implILNS1_25lookback_scan_determinismE0ELb1ELb1ES3_N6thrust23THRUST_200600_302600_NS6detail15normal_iteratorINS9_10device_ptrIdEEEESE_dNS9_4plusIvEEdEEDaPvRmT3_T4_T5_mT6_P12ihipStream_tbENKUlT_T0_E_clISt17integral_constantIbLb0EESU_EEDaSP_SQ_EUlSP_E_NS1_11comp_targetILNS1_3genE0ELNS1_11target_archE4294967295ELNS1_3gpuE0ELNS1_3repE0EEENS1_30default_config_static_selectorELNS0_4arch9wavefront6targetE1EEEvT1_,"axG",@progbits,_ZN7rocprim17ROCPRIM_400000_NS6detail17trampoline_kernelINS0_14default_configENS1_20scan_config_selectorIdEEZZNS1_9scan_implILNS1_25lookback_scan_determinismE0ELb1ELb1ES3_N6thrust23THRUST_200600_302600_NS6detail15normal_iteratorINS9_10device_ptrIdEEEESE_dNS9_4plusIvEEdEEDaPvRmT3_T4_T5_mT6_P12ihipStream_tbENKUlT_T0_E_clISt17integral_constantIbLb0EESU_EEDaSP_SQ_EUlSP_E_NS1_11comp_targetILNS1_3genE0ELNS1_11target_archE4294967295ELNS1_3gpuE0ELNS1_3repE0EEENS1_30default_config_static_selectorELNS0_4arch9wavefront6targetE1EEEvT1_,comdat
.Lfunc_end4214:
	.size	_ZN7rocprim17ROCPRIM_400000_NS6detail17trampoline_kernelINS0_14default_configENS1_20scan_config_selectorIdEEZZNS1_9scan_implILNS1_25lookback_scan_determinismE0ELb1ELb1ES3_N6thrust23THRUST_200600_302600_NS6detail15normal_iteratorINS9_10device_ptrIdEEEESE_dNS9_4plusIvEEdEEDaPvRmT3_T4_T5_mT6_P12ihipStream_tbENKUlT_T0_E_clISt17integral_constantIbLb0EESU_EEDaSP_SQ_EUlSP_E_NS1_11comp_targetILNS1_3genE0ELNS1_11target_archE4294967295ELNS1_3gpuE0ELNS1_3repE0EEENS1_30default_config_static_selectorELNS0_4arch9wavefront6targetE1EEEvT1_, .Lfunc_end4214-_ZN7rocprim17ROCPRIM_400000_NS6detail17trampoline_kernelINS0_14default_configENS1_20scan_config_selectorIdEEZZNS1_9scan_implILNS1_25lookback_scan_determinismE0ELb1ELb1ES3_N6thrust23THRUST_200600_302600_NS6detail15normal_iteratorINS9_10device_ptrIdEEEESE_dNS9_4plusIvEEdEEDaPvRmT3_T4_T5_mT6_P12ihipStream_tbENKUlT_T0_E_clISt17integral_constantIbLb0EESU_EEDaSP_SQ_EUlSP_E_NS1_11comp_targetILNS1_3genE0ELNS1_11target_archE4294967295ELNS1_3gpuE0ELNS1_3repE0EEENS1_30default_config_static_selectorELNS0_4arch9wavefront6targetE1EEEvT1_
                                        ; -- End function
	.section	.AMDGPU.csdata,"",@progbits
; Kernel info:
; codeLenInByte = 0
; NumSgprs: 4
; NumVgprs: 0
; NumAgprs: 0
; TotalNumVgprs: 0
; ScratchSize: 0
; MemoryBound: 0
; FloatMode: 240
; IeeeMode: 1
; LDSByteSize: 0 bytes/workgroup (compile time only)
; SGPRBlocks: 0
; VGPRBlocks: 0
; NumSGPRsForWavesPerEU: 4
; NumVGPRsForWavesPerEU: 1
; AccumOffset: 4
; Occupancy: 8
; WaveLimiterHint : 0
; COMPUTE_PGM_RSRC2:SCRATCH_EN: 0
; COMPUTE_PGM_RSRC2:USER_SGPR: 6
; COMPUTE_PGM_RSRC2:TRAP_HANDLER: 0
; COMPUTE_PGM_RSRC2:TGID_X_EN: 1
; COMPUTE_PGM_RSRC2:TGID_Y_EN: 0
; COMPUTE_PGM_RSRC2:TGID_Z_EN: 0
; COMPUTE_PGM_RSRC2:TIDIG_COMP_CNT: 0
; COMPUTE_PGM_RSRC3_GFX90A:ACCUM_OFFSET: 0
; COMPUTE_PGM_RSRC3_GFX90A:TG_SPLIT: 0
	.section	.text._ZN7rocprim17ROCPRIM_400000_NS6detail17trampoline_kernelINS0_14default_configENS1_20scan_config_selectorIdEEZZNS1_9scan_implILNS1_25lookback_scan_determinismE0ELb1ELb1ES3_N6thrust23THRUST_200600_302600_NS6detail15normal_iteratorINS9_10device_ptrIdEEEESE_dNS9_4plusIvEEdEEDaPvRmT3_T4_T5_mT6_P12ihipStream_tbENKUlT_T0_E_clISt17integral_constantIbLb0EESU_EEDaSP_SQ_EUlSP_E_NS1_11comp_targetILNS1_3genE5ELNS1_11target_archE942ELNS1_3gpuE9ELNS1_3repE0EEENS1_30default_config_static_selectorELNS0_4arch9wavefront6targetE1EEEvT1_,"axG",@progbits,_ZN7rocprim17ROCPRIM_400000_NS6detail17trampoline_kernelINS0_14default_configENS1_20scan_config_selectorIdEEZZNS1_9scan_implILNS1_25lookback_scan_determinismE0ELb1ELb1ES3_N6thrust23THRUST_200600_302600_NS6detail15normal_iteratorINS9_10device_ptrIdEEEESE_dNS9_4plusIvEEdEEDaPvRmT3_T4_T5_mT6_P12ihipStream_tbENKUlT_T0_E_clISt17integral_constantIbLb0EESU_EEDaSP_SQ_EUlSP_E_NS1_11comp_targetILNS1_3genE5ELNS1_11target_archE942ELNS1_3gpuE9ELNS1_3repE0EEENS1_30default_config_static_selectorELNS0_4arch9wavefront6targetE1EEEvT1_,comdat
	.protected	_ZN7rocprim17ROCPRIM_400000_NS6detail17trampoline_kernelINS0_14default_configENS1_20scan_config_selectorIdEEZZNS1_9scan_implILNS1_25lookback_scan_determinismE0ELb1ELb1ES3_N6thrust23THRUST_200600_302600_NS6detail15normal_iteratorINS9_10device_ptrIdEEEESE_dNS9_4plusIvEEdEEDaPvRmT3_T4_T5_mT6_P12ihipStream_tbENKUlT_T0_E_clISt17integral_constantIbLb0EESU_EEDaSP_SQ_EUlSP_E_NS1_11comp_targetILNS1_3genE5ELNS1_11target_archE942ELNS1_3gpuE9ELNS1_3repE0EEENS1_30default_config_static_selectorELNS0_4arch9wavefront6targetE1EEEvT1_ ; -- Begin function _ZN7rocprim17ROCPRIM_400000_NS6detail17trampoline_kernelINS0_14default_configENS1_20scan_config_selectorIdEEZZNS1_9scan_implILNS1_25lookback_scan_determinismE0ELb1ELb1ES3_N6thrust23THRUST_200600_302600_NS6detail15normal_iteratorINS9_10device_ptrIdEEEESE_dNS9_4plusIvEEdEEDaPvRmT3_T4_T5_mT6_P12ihipStream_tbENKUlT_T0_E_clISt17integral_constantIbLb0EESU_EEDaSP_SQ_EUlSP_E_NS1_11comp_targetILNS1_3genE5ELNS1_11target_archE942ELNS1_3gpuE9ELNS1_3repE0EEENS1_30default_config_static_selectorELNS0_4arch9wavefront6targetE1EEEvT1_
	.globl	_ZN7rocprim17ROCPRIM_400000_NS6detail17trampoline_kernelINS0_14default_configENS1_20scan_config_selectorIdEEZZNS1_9scan_implILNS1_25lookback_scan_determinismE0ELb1ELb1ES3_N6thrust23THRUST_200600_302600_NS6detail15normal_iteratorINS9_10device_ptrIdEEEESE_dNS9_4plusIvEEdEEDaPvRmT3_T4_T5_mT6_P12ihipStream_tbENKUlT_T0_E_clISt17integral_constantIbLb0EESU_EEDaSP_SQ_EUlSP_E_NS1_11comp_targetILNS1_3genE5ELNS1_11target_archE942ELNS1_3gpuE9ELNS1_3repE0EEENS1_30default_config_static_selectorELNS0_4arch9wavefront6targetE1EEEvT1_
	.p2align	8
	.type	_ZN7rocprim17ROCPRIM_400000_NS6detail17trampoline_kernelINS0_14default_configENS1_20scan_config_selectorIdEEZZNS1_9scan_implILNS1_25lookback_scan_determinismE0ELb1ELb1ES3_N6thrust23THRUST_200600_302600_NS6detail15normal_iteratorINS9_10device_ptrIdEEEESE_dNS9_4plusIvEEdEEDaPvRmT3_T4_T5_mT6_P12ihipStream_tbENKUlT_T0_E_clISt17integral_constantIbLb0EESU_EEDaSP_SQ_EUlSP_E_NS1_11comp_targetILNS1_3genE5ELNS1_11target_archE942ELNS1_3gpuE9ELNS1_3repE0EEENS1_30default_config_static_selectorELNS0_4arch9wavefront6targetE1EEEvT1_,@function
_ZN7rocprim17ROCPRIM_400000_NS6detail17trampoline_kernelINS0_14default_configENS1_20scan_config_selectorIdEEZZNS1_9scan_implILNS1_25lookback_scan_determinismE0ELb1ELb1ES3_N6thrust23THRUST_200600_302600_NS6detail15normal_iteratorINS9_10device_ptrIdEEEESE_dNS9_4plusIvEEdEEDaPvRmT3_T4_T5_mT6_P12ihipStream_tbENKUlT_T0_E_clISt17integral_constantIbLb0EESU_EEDaSP_SQ_EUlSP_E_NS1_11comp_targetILNS1_3genE5ELNS1_11target_archE942ELNS1_3gpuE9ELNS1_3repE0EEENS1_30default_config_static_selectorELNS0_4arch9wavefront6targetE1EEEvT1_: ; @_ZN7rocprim17ROCPRIM_400000_NS6detail17trampoline_kernelINS0_14default_configENS1_20scan_config_selectorIdEEZZNS1_9scan_implILNS1_25lookback_scan_determinismE0ELb1ELb1ES3_N6thrust23THRUST_200600_302600_NS6detail15normal_iteratorINS9_10device_ptrIdEEEESE_dNS9_4plusIvEEdEEDaPvRmT3_T4_T5_mT6_P12ihipStream_tbENKUlT_T0_E_clISt17integral_constantIbLb0EESU_EEDaSP_SQ_EUlSP_E_NS1_11comp_targetILNS1_3genE5ELNS1_11target_archE942ELNS1_3gpuE9ELNS1_3repE0EEENS1_30default_config_static_selectorELNS0_4arch9wavefront6targetE1EEEvT1_
; %bb.0:
	.section	.rodata,"a",@progbits
	.p2align	6, 0x0
	.amdhsa_kernel _ZN7rocprim17ROCPRIM_400000_NS6detail17trampoline_kernelINS0_14default_configENS1_20scan_config_selectorIdEEZZNS1_9scan_implILNS1_25lookback_scan_determinismE0ELb1ELb1ES3_N6thrust23THRUST_200600_302600_NS6detail15normal_iteratorINS9_10device_ptrIdEEEESE_dNS9_4plusIvEEdEEDaPvRmT3_T4_T5_mT6_P12ihipStream_tbENKUlT_T0_E_clISt17integral_constantIbLb0EESU_EEDaSP_SQ_EUlSP_E_NS1_11comp_targetILNS1_3genE5ELNS1_11target_archE942ELNS1_3gpuE9ELNS1_3repE0EEENS1_30default_config_static_selectorELNS0_4arch9wavefront6targetE1EEEvT1_
		.amdhsa_group_segment_fixed_size 0
		.amdhsa_private_segment_fixed_size 0
		.amdhsa_kernarg_size 104
		.amdhsa_user_sgpr_count 6
		.amdhsa_user_sgpr_private_segment_buffer 1
		.amdhsa_user_sgpr_dispatch_ptr 0
		.amdhsa_user_sgpr_queue_ptr 0
		.amdhsa_user_sgpr_kernarg_segment_ptr 1
		.amdhsa_user_sgpr_dispatch_id 0
		.amdhsa_user_sgpr_flat_scratch_init 0
		.amdhsa_user_sgpr_kernarg_preload_length 0
		.amdhsa_user_sgpr_kernarg_preload_offset 0
		.amdhsa_user_sgpr_private_segment_size 0
		.amdhsa_uses_dynamic_stack 0
		.amdhsa_system_sgpr_private_segment_wavefront_offset 0
		.amdhsa_system_sgpr_workgroup_id_x 1
		.amdhsa_system_sgpr_workgroup_id_y 0
		.amdhsa_system_sgpr_workgroup_id_z 0
		.amdhsa_system_sgpr_workgroup_info 0
		.amdhsa_system_vgpr_workitem_id 0
		.amdhsa_next_free_vgpr 1
		.amdhsa_next_free_sgpr 0
		.amdhsa_accum_offset 4
		.amdhsa_reserve_vcc 0
		.amdhsa_reserve_flat_scratch 0
		.amdhsa_float_round_mode_32 0
		.amdhsa_float_round_mode_16_64 0
		.amdhsa_float_denorm_mode_32 3
		.amdhsa_float_denorm_mode_16_64 3
		.amdhsa_dx10_clamp 1
		.amdhsa_ieee_mode 1
		.amdhsa_fp16_overflow 0
		.amdhsa_tg_split 0
		.amdhsa_exception_fp_ieee_invalid_op 0
		.amdhsa_exception_fp_denorm_src 0
		.amdhsa_exception_fp_ieee_div_zero 0
		.amdhsa_exception_fp_ieee_overflow 0
		.amdhsa_exception_fp_ieee_underflow 0
		.amdhsa_exception_fp_ieee_inexact 0
		.amdhsa_exception_int_div_zero 0
	.end_amdhsa_kernel
	.section	.text._ZN7rocprim17ROCPRIM_400000_NS6detail17trampoline_kernelINS0_14default_configENS1_20scan_config_selectorIdEEZZNS1_9scan_implILNS1_25lookback_scan_determinismE0ELb1ELb1ES3_N6thrust23THRUST_200600_302600_NS6detail15normal_iteratorINS9_10device_ptrIdEEEESE_dNS9_4plusIvEEdEEDaPvRmT3_T4_T5_mT6_P12ihipStream_tbENKUlT_T0_E_clISt17integral_constantIbLb0EESU_EEDaSP_SQ_EUlSP_E_NS1_11comp_targetILNS1_3genE5ELNS1_11target_archE942ELNS1_3gpuE9ELNS1_3repE0EEENS1_30default_config_static_selectorELNS0_4arch9wavefront6targetE1EEEvT1_,"axG",@progbits,_ZN7rocprim17ROCPRIM_400000_NS6detail17trampoline_kernelINS0_14default_configENS1_20scan_config_selectorIdEEZZNS1_9scan_implILNS1_25lookback_scan_determinismE0ELb1ELb1ES3_N6thrust23THRUST_200600_302600_NS6detail15normal_iteratorINS9_10device_ptrIdEEEESE_dNS9_4plusIvEEdEEDaPvRmT3_T4_T5_mT6_P12ihipStream_tbENKUlT_T0_E_clISt17integral_constantIbLb0EESU_EEDaSP_SQ_EUlSP_E_NS1_11comp_targetILNS1_3genE5ELNS1_11target_archE942ELNS1_3gpuE9ELNS1_3repE0EEENS1_30default_config_static_selectorELNS0_4arch9wavefront6targetE1EEEvT1_,comdat
.Lfunc_end4215:
	.size	_ZN7rocprim17ROCPRIM_400000_NS6detail17trampoline_kernelINS0_14default_configENS1_20scan_config_selectorIdEEZZNS1_9scan_implILNS1_25lookback_scan_determinismE0ELb1ELb1ES3_N6thrust23THRUST_200600_302600_NS6detail15normal_iteratorINS9_10device_ptrIdEEEESE_dNS9_4plusIvEEdEEDaPvRmT3_T4_T5_mT6_P12ihipStream_tbENKUlT_T0_E_clISt17integral_constantIbLb0EESU_EEDaSP_SQ_EUlSP_E_NS1_11comp_targetILNS1_3genE5ELNS1_11target_archE942ELNS1_3gpuE9ELNS1_3repE0EEENS1_30default_config_static_selectorELNS0_4arch9wavefront6targetE1EEEvT1_, .Lfunc_end4215-_ZN7rocprim17ROCPRIM_400000_NS6detail17trampoline_kernelINS0_14default_configENS1_20scan_config_selectorIdEEZZNS1_9scan_implILNS1_25lookback_scan_determinismE0ELb1ELb1ES3_N6thrust23THRUST_200600_302600_NS6detail15normal_iteratorINS9_10device_ptrIdEEEESE_dNS9_4plusIvEEdEEDaPvRmT3_T4_T5_mT6_P12ihipStream_tbENKUlT_T0_E_clISt17integral_constantIbLb0EESU_EEDaSP_SQ_EUlSP_E_NS1_11comp_targetILNS1_3genE5ELNS1_11target_archE942ELNS1_3gpuE9ELNS1_3repE0EEENS1_30default_config_static_selectorELNS0_4arch9wavefront6targetE1EEEvT1_
                                        ; -- End function
	.section	.AMDGPU.csdata,"",@progbits
; Kernel info:
; codeLenInByte = 0
; NumSgprs: 4
; NumVgprs: 0
; NumAgprs: 0
; TotalNumVgprs: 0
; ScratchSize: 0
; MemoryBound: 0
; FloatMode: 240
; IeeeMode: 1
; LDSByteSize: 0 bytes/workgroup (compile time only)
; SGPRBlocks: 0
; VGPRBlocks: 0
; NumSGPRsForWavesPerEU: 4
; NumVGPRsForWavesPerEU: 1
; AccumOffset: 4
; Occupancy: 8
; WaveLimiterHint : 0
; COMPUTE_PGM_RSRC2:SCRATCH_EN: 0
; COMPUTE_PGM_RSRC2:USER_SGPR: 6
; COMPUTE_PGM_RSRC2:TRAP_HANDLER: 0
; COMPUTE_PGM_RSRC2:TGID_X_EN: 1
; COMPUTE_PGM_RSRC2:TGID_Y_EN: 0
; COMPUTE_PGM_RSRC2:TGID_Z_EN: 0
; COMPUTE_PGM_RSRC2:TIDIG_COMP_CNT: 0
; COMPUTE_PGM_RSRC3_GFX90A:ACCUM_OFFSET: 0
; COMPUTE_PGM_RSRC3_GFX90A:TG_SPLIT: 0
	.section	.text._ZN7rocprim17ROCPRIM_400000_NS6detail17trampoline_kernelINS0_14default_configENS1_20scan_config_selectorIdEEZZNS1_9scan_implILNS1_25lookback_scan_determinismE0ELb1ELb1ES3_N6thrust23THRUST_200600_302600_NS6detail15normal_iteratorINS9_10device_ptrIdEEEESE_dNS9_4plusIvEEdEEDaPvRmT3_T4_T5_mT6_P12ihipStream_tbENKUlT_T0_E_clISt17integral_constantIbLb0EESU_EEDaSP_SQ_EUlSP_E_NS1_11comp_targetILNS1_3genE4ELNS1_11target_archE910ELNS1_3gpuE8ELNS1_3repE0EEENS1_30default_config_static_selectorELNS0_4arch9wavefront6targetE1EEEvT1_,"axG",@progbits,_ZN7rocprim17ROCPRIM_400000_NS6detail17trampoline_kernelINS0_14default_configENS1_20scan_config_selectorIdEEZZNS1_9scan_implILNS1_25lookback_scan_determinismE0ELb1ELb1ES3_N6thrust23THRUST_200600_302600_NS6detail15normal_iteratorINS9_10device_ptrIdEEEESE_dNS9_4plusIvEEdEEDaPvRmT3_T4_T5_mT6_P12ihipStream_tbENKUlT_T0_E_clISt17integral_constantIbLb0EESU_EEDaSP_SQ_EUlSP_E_NS1_11comp_targetILNS1_3genE4ELNS1_11target_archE910ELNS1_3gpuE8ELNS1_3repE0EEENS1_30default_config_static_selectorELNS0_4arch9wavefront6targetE1EEEvT1_,comdat
	.protected	_ZN7rocprim17ROCPRIM_400000_NS6detail17trampoline_kernelINS0_14default_configENS1_20scan_config_selectorIdEEZZNS1_9scan_implILNS1_25lookback_scan_determinismE0ELb1ELb1ES3_N6thrust23THRUST_200600_302600_NS6detail15normal_iteratorINS9_10device_ptrIdEEEESE_dNS9_4plusIvEEdEEDaPvRmT3_T4_T5_mT6_P12ihipStream_tbENKUlT_T0_E_clISt17integral_constantIbLb0EESU_EEDaSP_SQ_EUlSP_E_NS1_11comp_targetILNS1_3genE4ELNS1_11target_archE910ELNS1_3gpuE8ELNS1_3repE0EEENS1_30default_config_static_selectorELNS0_4arch9wavefront6targetE1EEEvT1_ ; -- Begin function _ZN7rocprim17ROCPRIM_400000_NS6detail17trampoline_kernelINS0_14default_configENS1_20scan_config_selectorIdEEZZNS1_9scan_implILNS1_25lookback_scan_determinismE0ELb1ELb1ES3_N6thrust23THRUST_200600_302600_NS6detail15normal_iteratorINS9_10device_ptrIdEEEESE_dNS9_4plusIvEEdEEDaPvRmT3_T4_T5_mT6_P12ihipStream_tbENKUlT_T0_E_clISt17integral_constantIbLb0EESU_EEDaSP_SQ_EUlSP_E_NS1_11comp_targetILNS1_3genE4ELNS1_11target_archE910ELNS1_3gpuE8ELNS1_3repE0EEENS1_30default_config_static_selectorELNS0_4arch9wavefront6targetE1EEEvT1_
	.globl	_ZN7rocprim17ROCPRIM_400000_NS6detail17trampoline_kernelINS0_14default_configENS1_20scan_config_selectorIdEEZZNS1_9scan_implILNS1_25lookback_scan_determinismE0ELb1ELb1ES3_N6thrust23THRUST_200600_302600_NS6detail15normal_iteratorINS9_10device_ptrIdEEEESE_dNS9_4plusIvEEdEEDaPvRmT3_T4_T5_mT6_P12ihipStream_tbENKUlT_T0_E_clISt17integral_constantIbLb0EESU_EEDaSP_SQ_EUlSP_E_NS1_11comp_targetILNS1_3genE4ELNS1_11target_archE910ELNS1_3gpuE8ELNS1_3repE0EEENS1_30default_config_static_selectorELNS0_4arch9wavefront6targetE1EEEvT1_
	.p2align	8
	.type	_ZN7rocprim17ROCPRIM_400000_NS6detail17trampoline_kernelINS0_14default_configENS1_20scan_config_selectorIdEEZZNS1_9scan_implILNS1_25lookback_scan_determinismE0ELb1ELb1ES3_N6thrust23THRUST_200600_302600_NS6detail15normal_iteratorINS9_10device_ptrIdEEEESE_dNS9_4plusIvEEdEEDaPvRmT3_T4_T5_mT6_P12ihipStream_tbENKUlT_T0_E_clISt17integral_constantIbLb0EESU_EEDaSP_SQ_EUlSP_E_NS1_11comp_targetILNS1_3genE4ELNS1_11target_archE910ELNS1_3gpuE8ELNS1_3repE0EEENS1_30default_config_static_selectorELNS0_4arch9wavefront6targetE1EEEvT1_,@function
_ZN7rocprim17ROCPRIM_400000_NS6detail17trampoline_kernelINS0_14default_configENS1_20scan_config_selectorIdEEZZNS1_9scan_implILNS1_25lookback_scan_determinismE0ELb1ELb1ES3_N6thrust23THRUST_200600_302600_NS6detail15normal_iteratorINS9_10device_ptrIdEEEESE_dNS9_4plusIvEEdEEDaPvRmT3_T4_T5_mT6_P12ihipStream_tbENKUlT_T0_E_clISt17integral_constantIbLb0EESU_EEDaSP_SQ_EUlSP_E_NS1_11comp_targetILNS1_3genE4ELNS1_11target_archE910ELNS1_3gpuE8ELNS1_3repE0EEENS1_30default_config_static_selectorELNS0_4arch9wavefront6targetE1EEEvT1_: ; @_ZN7rocprim17ROCPRIM_400000_NS6detail17trampoline_kernelINS0_14default_configENS1_20scan_config_selectorIdEEZZNS1_9scan_implILNS1_25lookback_scan_determinismE0ELb1ELb1ES3_N6thrust23THRUST_200600_302600_NS6detail15normal_iteratorINS9_10device_ptrIdEEEESE_dNS9_4plusIvEEdEEDaPvRmT3_T4_T5_mT6_P12ihipStream_tbENKUlT_T0_E_clISt17integral_constantIbLb0EESU_EEDaSP_SQ_EUlSP_E_NS1_11comp_targetILNS1_3genE4ELNS1_11target_archE910ELNS1_3gpuE8ELNS1_3repE0EEENS1_30default_config_static_selectorELNS0_4arch9wavefront6targetE1EEEvT1_
; %bb.0:
	s_load_dwordx8 s[12:19], s[4:5], 0x0
	s_load_dword s1, s[4:5], 0x38
	s_mul_i32 s0, s6, 0x500
	v_lshlrev_b32_e32 v44, 3, v0
	s_waitcnt lgkmcnt(0)
	s_lshl_b64 s[14:15], s[14:15], 3
	s_add_u32 s30, s12, s14
	s_addc_u32 s31, s13, s15
	s_add_i32 s2, s1, -1
	s_mul_i32 s3, s2, 0x500
	s_sub_u32 s28, s18, s3
	s_subb_u32 s29, s19, 0
	s_mov_b32 s1, 0
	s_cmp_lg_u32 s6, s2
	s_cselect_b64 s[18:19], -1, 0
	s_lshl_b64 s[20:21], s[0:1], 3
	s_add_u32 s2, s30, s20
	s_addc_u32 s3, s31, s21
	s_mov_b64 s[0:1], -1
	s_and_b64 vcc, exec, s[18:19]
	s_cbranch_vccz .LBB4216_2
; %bb.1:
	v_mov_b32_e32 v1, s3
	v_add_co_u32_e32 v2, vcc, s2, v44
	v_addc_co_u32_e32 v3, vcc, 0, v1, vcc
	v_add_co_u32_e32 v12, vcc, 0x1000, v2
	v_addc_co_u32_e32 v13, vcc, 0, v3, vcc
	flat_load_dwordx2 v[4:5], v[2:3]
	flat_load_dwordx2 v[6:7], v[2:3] offset:1024
	flat_load_dwordx2 v[8:9], v[2:3] offset:2048
	;; [unrolled: 1-line block ×3, first 2 shown]
	v_add_co_u32_e32 v2, vcc, 0x2000, v2
	v_addc_co_u32_e32 v3, vcc, 0, v3, vcc
	flat_load_dwordx2 v[14:15], v[12:13]
	flat_load_dwordx2 v[16:17], v[12:13] offset:1024
	flat_load_dwordx2 v[18:19], v[12:13] offset:2048
	;; [unrolled: 1-line block ×3, first 2 shown]
	s_nop 0
	flat_load_dwordx2 v[12:13], v[2:3]
	flat_load_dwordx2 v[22:23], v[2:3] offset:1024
	s_mov_b64 s[0:1], 0
	s_waitcnt vmcnt(0) lgkmcnt(0)
	ds_write2st64_b64 v44, v[4:5], v[6:7] offset1:2
	ds_write2st64_b64 v44, v[8:9], v[10:11] offset0:4 offset1:6
	ds_write2st64_b64 v44, v[14:15], v[16:17] offset0:8 offset1:10
	;; [unrolled: 1-line block ×4, first 2 shown]
	s_waitcnt lgkmcnt(0)
	s_barrier
.LBB4216_2:
	s_load_dwordx2 s[24:25], s[4:5], 0x20
	s_load_dwordx2 s[22:23], s[4:5], 0x30
	s_andn2_b64 vcc, exec, s[0:1]
	v_cmp_gt_u32_e64 s[0:1], s28, v0
	s_cbranch_vccnz .LBB4216_24
; %bb.3:
	v_pk_mov_b32 v[2:3], s[2:3], s[2:3] op_sel:[0,1]
	flat_load_dwordx2 v[2:3], v[2:3]
	s_waitcnt vmcnt(0) lgkmcnt(0)
	v_mov_b32_e32 v4, v2
	v_mov_b32_e32 v5, v3
	;; [unrolled: 1-line block ×16, first 2 shown]
	v_pk_mov_b32 v[34:35], v[30:31], v[30:31] op_sel:[0,1]
	v_pk_mov_b32 v[32:33], v[28:29], v[28:29] op_sel:[0,1]
	;; [unrolled: 1-line block ×16, first 2 shown]
	s_and_saveexec_b64 s[8:9], s[0:1]
	s_cbranch_execz .LBB4216_5
; %bb.4:
	v_mov_b32_e32 v1, s3
	v_add_co_u32_e32 v4, vcc, s2, v44
	v_addc_co_u32_e32 v5, vcc, 0, v1, vcc
	flat_load_dwordx2 v[36:37], v[4:5]
	v_mov_b32_e32 v4, v2
	v_mov_b32_e32 v5, v3
	;; [unrolled: 1-line block ×16, first 2 shown]
	v_pk_mov_b32 v[34:35], v[30:31], v[30:31] op_sel:[0,1]
	v_pk_mov_b32 v[32:33], v[28:29], v[28:29] op_sel:[0,1]
	;; [unrolled: 1-line block ×16, first 2 shown]
	s_waitcnt vmcnt(0) lgkmcnt(0)
	v_pk_mov_b32 v[2:3], v[36:37], v[36:37] op_sel:[0,1]
.LBB4216_5:
	s_or_b64 exec, exec, s[8:9]
	v_or_b32_e32 v1, 0x80, v0
	v_cmp_gt_u32_e32 vcc, s28, v1
	s_and_saveexec_b64 s[0:1], vcc
	s_cbranch_execz .LBB4216_7
; %bb.6:
	v_mov_b32_e32 v1, s3
	v_add_co_u32_e32 v4, vcc, s2, v44
	v_addc_co_u32_e32 v5, vcc, 0, v1, vcc
	flat_load_dwordx2 v[6:7], v[4:5] offset:1024
.LBB4216_7:
	s_or_b64 exec, exec, s[0:1]
	v_or_b32_e32 v1, 0x100, v0
	v_cmp_gt_u32_e32 vcc, s28, v1
	s_and_saveexec_b64 s[0:1], vcc
	s_cbranch_execz .LBB4216_9
; %bb.8:
	v_mov_b32_e32 v1, s3
	v_add_co_u32_e32 v4, vcc, s2, v44
	v_addc_co_u32_e32 v5, vcc, 0, v1, vcc
	flat_load_dwordx2 v[8:9], v[4:5] offset:2048
.LBB4216_9:
	;; [unrolled: 11-line block ×3, first 2 shown]
	s_or_b64 exec, exec, s[0:1]
	v_or_b32_e32 v1, 0x200, v0
	v_cmp_gt_u32_e32 vcc, s28, v1
	s_and_saveexec_b64 s[0:1], vcc
	s_cbranch_execz .LBB4216_13
; %bb.12:
	v_lshlrev_b32_e32 v1, 3, v1
	v_mov_b32_e32 v5, s3
	v_add_co_u32_e32 v4, vcc, s2, v1
	v_addc_co_u32_e32 v5, vcc, 0, v5, vcc
	flat_load_dwordx2 v[12:13], v[4:5]
.LBB4216_13:
	s_or_b64 exec, exec, s[0:1]
	v_or_b32_e32 v1, 0x280, v0
	v_cmp_gt_u32_e32 vcc, s28, v1
	s_and_saveexec_b64 s[0:1], vcc
	s_cbranch_execz .LBB4216_15
; %bb.14:
	v_lshlrev_b32_e32 v1, 3, v1
	v_mov_b32_e32 v5, s3
	v_add_co_u32_e32 v4, vcc, s2, v1
	v_addc_co_u32_e32 v5, vcc, 0, v5, vcc
	flat_load_dwordx2 v[14:15], v[4:5]
.LBB4216_15:
	;; [unrolled: 12-line block ×6, first 2 shown]
	s_or_b64 exec, exec, s[0:1]
	s_waitcnt vmcnt(0) lgkmcnt(0)
	ds_write2st64_b64 v44, v[2:3], v[6:7] offset1:2
	ds_write2st64_b64 v44, v[8:9], v[10:11] offset0:4 offset1:6
	ds_write2st64_b64 v44, v[12:13], v[14:15] offset0:8 offset1:10
	;; [unrolled: 1-line block ×4, first 2 shown]
	s_waitcnt lgkmcnt(0)
	s_barrier
.LBB4216_24:
	v_mul_u32_u24_e32 v45, 10, v0
	v_lshlrev_b32_e32 v46, 3, v45
	s_waitcnt lgkmcnt(0)
	ds_read_b128 v[14:17], v46
	ds_read_b128 v[10:13], v46 offset:16
	ds_read_b128 v[6:9], v46 offset:32
	;; [unrolled: 1-line block ×4, first 2 shown]
	s_waitcnt lgkmcnt(4)
	v_add_f64 v[22:23], v[14:15], v[16:17]
	s_cmp_lg_u32 s6, 0
	s_waitcnt lgkmcnt(3)
	v_add_f64 v[42:43], v[10:11], v[22:23]
	v_mbcnt_lo_u32_b32 v1, -1, 0
	s_waitcnt lgkmcnt(0)
	s_barrier
	s_cbranch_scc0 .LBB4216_53
; %bb.25:
	v_add_f64 v[22:23], v[12:13], v[42:43]
	v_add_f64 v[22:23], v[6:7], v[22:23]
	;; [unrolled: 1-line block ×7, first 2 shown]
	v_mbcnt_hi_u32_b32 v33, -1, v1
	v_and_b32_e32 v28, 15, v33
	v_mov_b32_dpp v24, v22 row_shr:1 row_mask:0xf bank_mask:0xf
	v_mov_b32_dpp v25, v23 row_shr:1 row_mask:0xf bank_mask:0xf
	v_add_f64 v[24:25], v[22:23], v[24:25]
	v_cmp_eq_u32_e32 vcc, 0, v28
	v_cndmask_b32_e32 v24, v24, v22, vcc
	v_cndmask_b32_e32 v25, v25, v23, vcc
	v_cmp_lt_u32_e32 vcc, 1, v28
	v_mov_b32_dpp v26, v24 row_shr:2 row_mask:0xf bank_mask:0xf
	v_mov_b32_dpp v27, v25 row_shr:2 row_mask:0xf bank_mask:0xf
	v_add_f64 v[26:27], v[24:25], v[26:27]
	v_cndmask_b32_e32 v24, v24, v26, vcc
	v_cndmask_b32_e32 v25, v25, v27, vcc
	v_cmp_lt_u32_e32 vcc, 3, v28
	v_mov_b32_dpp v26, v24 row_shr:4 row_mask:0xf bank_mask:0xf
	v_mov_b32_dpp v27, v25 row_shr:4 row_mask:0xf bank_mask:0xf
	v_add_f64 v[26:27], v[24:25], v[26:27]
	;; [unrolled: 6-line block ×3, first 2 shown]
	v_cndmask_b32_e32 v24, v24, v26, vcc
	v_cndmask_b32_e32 v25, v25, v27, vcc
	v_and_b32_e32 v30, 16, v33
	v_mov_b32_dpp v26, v24 row_bcast:15 row_mask:0xf bank_mask:0xf
	v_mov_b32_dpp v27, v25 row_bcast:15 row_mask:0xf bank_mask:0xf
	v_add_f64 v[28:29], v[24:25], v[26:27]
	v_cmp_eq_u32_e32 vcc, 0, v30
	v_cndmask_b32_e32 v27, v29, v25, vcc
	v_cndmask_b32_e32 v26, v28, v24, vcc
	v_cmp_eq_u32_e64 s[0:1], 0, v33
	v_mov_b32_dpp v27, v27 row_bcast:31 row_mask:0xf bank_mask:0xf
	v_mov_b32_dpp v26, v26 row_bcast:31 row_mask:0xf bank_mask:0xf
	v_cmp_ne_u32_e64 s[2:3], 0, v33
	s_and_saveexec_b64 s[8:9], s[2:3]
; %bb.26:
	v_cndmask_b32_e32 v23, v29, v25, vcc
	v_cndmask_b32_e32 v22, v28, v24, vcc
	v_add_f64 v[24:25], v[22:23], v[26:27]
	v_cmp_lt_u32_e32 vcc, 31, v33
	v_cndmask_b32_e32 v23, v23, v25, vcc
	v_cndmask_b32_e32 v22, v22, v24, vcc
; %bb.27:
	s_or_b64 exec, exec, s[8:9]
	v_or_b32_e32 v25, 63, v0
	v_lshrrev_b32_e32 v24, 6, v0
	v_cmp_eq_u32_e32 vcc, v25, v0
	s_and_saveexec_b64 s[2:3], vcc
	s_cbranch_execz .LBB4216_29
; %bb.28:
	v_lshlrev_b32_e32 v25, 3, v24
	ds_write_b64 v25, v[22:23]
.LBB4216_29:
	s_or_b64 exec, exec, s[2:3]
	v_cmp_gt_u32_e32 vcc, 2, v0
	s_waitcnt lgkmcnt(0)
	s_barrier
	s_and_saveexec_b64 s[2:3], vcc
	s_cbranch_execz .LBB4216_31
; %bb.30:
	ds_read_b64 v[26:27], v44
	v_and_b32_e32 v25, 1, v33
	v_cmp_eq_u32_e32 vcc, 0, v25
	s_waitcnt lgkmcnt(0)
	v_mov_b32_dpp v28, v26 row_shr:1 row_mask:0xf bank_mask:0xf
	v_mov_b32_dpp v29, v27 row_shr:1 row_mask:0xf bank_mask:0xf
	v_add_f64 v[28:29], v[26:27], v[28:29]
	v_cndmask_b32_e32 v27, v29, v27, vcc
	v_cndmask_b32_e32 v26, v28, v26, vcc
	ds_write_b64 v44, v[26:27]
.LBB4216_31:
	s_or_b64 exec, exec, s[2:3]
	v_cmp_gt_u32_e32 vcc, 64, v0
	v_cmp_lt_u32_e64 s[2:3], 63, v0
	s_waitcnt lgkmcnt(0)
	s_barrier
	s_waitcnt lgkmcnt(0)
                                        ; implicit-def: $vgpr30_vgpr31
	s_and_saveexec_b64 s[8:9], s[2:3]
	s_cbranch_execz .LBB4216_33
; %bb.32:
	v_lshl_add_u32 v24, v24, 3, -8
	ds_read_b64 v[30:31], v24
	s_waitcnt lgkmcnt(0)
	v_add_f64 v[22:23], v[22:23], v[30:31]
.LBB4216_33:
	s_or_b64 exec, exec, s[8:9]
	v_add_u32_e32 v24, -1, v33
	v_and_b32_e32 v25, 64, v33
	v_cmp_lt_i32_e64 s[2:3], v24, v25
	v_cndmask_b32_e64 v24, v24, v33, s[2:3]
	v_lshlrev_b32_e32 v24, 2, v24
	ds_bpermute_b32 v38, v24, v22
	ds_bpermute_b32 v39, v24, v23
	s_and_saveexec_b64 s[26:27], vcc
	s_cbranch_execz .LBB4216_52
; %bb.34:
	v_mov_b32_e32 v25, 0
	ds_read_b64 v[22:23], v25 offset:8
	s_and_saveexec_b64 s[2:3], s[0:1]
	s_cbranch_execz .LBB4216_36
; %bb.35:
	s_add_i32 s8, s6, 64
	s_mov_b32 s9, 0
	s_lshl_b64 s[8:9], s[8:9], 4
	s_add_u32 s8, s22, s8
	s_addc_u32 s9, s23, s9
	v_mov_b32_e32 v24, 1
	v_pk_mov_b32 v[26:27], s[8:9], s[8:9] op_sel:[0,1]
	s_waitcnt lgkmcnt(0)
	;;#ASMSTART
	global_store_dwordx4 v[26:27], v[22:25] off	
s_waitcnt vmcnt(0)
	;;#ASMEND
.LBB4216_36:
	s_or_b64 exec, exec, s[2:3]
	v_xad_u32 v32, v33, -1, s6
	v_add_u32_e32 v24, 64, v32
	v_lshlrev_b64 v[26:27], 4, v[24:25]
	v_mov_b32_e32 v24, s23
	v_add_co_u32_e32 v34, vcc, s22, v26
	v_addc_co_u32_e32 v35, vcc, v24, v27, vcc
	;;#ASMSTART
	global_load_dwordx4 v[26:29], v[34:35] off glc	
s_waitcnt vmcnt(0)
	;;#ASMEND
	v_and_b32_e32 v24, 0xff, v27
	v_and_b32_e32 v29, 0xff00, v27
	v_or3_b32 v24, 0, v24, v29
	v_or3_b32 v26, v26, 0, 0
	v_and_b32_e32 v29, 0xff000000, v27
	v_and_b32_e32 v27, 0xff0000, v27
	v_or3_b32 v27, v24, v27, v29
	v_or3_b32 v26, v26, 0, 0
	v_cmp_eq_u16_sdwa s[8:9], v28, v25 src0_sel:BYTE_0 src1_sel:DWORD
	s_and_saveexec_b64 s[2:3], s[8:9]
	s_cbranch_execz .LBB4216_40
; %bb.37:
	s_mov_b64 s[8:9], 0
	v_mov_b32_e32 v24, 0
.LBB4216_38:                            ; =>This Inner Loop Header: Depth=1
	;;#ASMSTART
	global_load_dwordx4 v[26:29], v[34:35] off glc	
s_waitcnt vmcnt(0)
	;;#ASMEND
	v_cmp_ne_u16_sdwa s[10:11], v28, v24 src0_sel:BYTE_0 src1_sel:DWORD
	s_or_b64 s[8:9], s[10:11], s[8:9]
	s_andn2_b64 exec, exec, s[8:9]
	s_cbranch_execnz .LBB4216_38
; %bb.39:
	s_or_b64 exec, exec, s[8:9]
.LBB4216_40:
	s_or_b64 exec, exec, s[2:3]
	v_and_b32_e32 v41, 63, v33
	v_cmp_ne_u32_e32 vcc, 63, v41
	v_mov_b32_e32 v40, 2
	v_addc_co_u32_e32 v34, vcc, 0, v33, vcc
	v_cmp_eq_u16_sdwa s[2:3], v28, v40 src0_sel:BYTE_0 src1_sel:DWORD
	v_lshlrev_b64 v[24:25], v33, -1
	v_lshlrev_b32_e32 v47, 2, v34
	v_and_b32_e32 v29, s3, v25
	ds_bpermute_b32 v34, v47, v26
	ds_bpermute_b32 v35, v47, v27
	v_or_b32_e32 v29, 0x80000000, v29
	v_and_b32_e32 v36, s2, v24
	v_ffbl_b32_e32 v29, v29
	v_add_u32_e32 v29, 32, v29
	v_ffbl_b32_e32 v36, v36
	v_cmp_gt_u32_e64 s[2:3], 62, v41
	v_min_u32_e32 v29, v36, v29
	v_cndmask_b32_e64 v36, 0, 1, s[2:3]
	s_waitcnt lgkmcnt(0)
	v_add_f64 v[34:35], v[26:27], v[34:35]
	v_cmp_lt_u32_e32 vcc, v41, v29
	v_lshlrev_b32_e32 v36, 1, v36
	v_cndmask_b32_e32 v34, v26, v34, vcc
	v_cndmask_b32_e32 v35, v27, v35, vcc
	v_add_lshl_u32 v48, v36, v33, 2
	ds_bpermute_b32 v36, v48, v34
	ds_bpermute_b32 v37, v48, v35
	v_add_u32_e32 v49, 2, v41
	v_cmp_gt_u32_e64 s[2:3], v49, v29
	v_cmp_gt_u32_e64 s[8:9], 56, v41
	v_add_u32_e32 v51, 4, v41
	s_waitcnt lgkmcnt(0)
	v_add_f64 v[36:37], v[34:35], v[36:37]
	v_cndmask_b32_e64 v34, v36, v34, s[2:3]
	v_cndmask_b32_e64 v35, v37, v35, s[2:3]
	v_cmp_gt_u32_e64 s[2:3], 60, v41
	v_cndmask_b32_e64 v36, 0, 1, s[2:3]
	v_lshlrev_b32_e32 v36, 2, v36
	v_add_lshl_u32 v50, v36, v33, 2
	ds_bpermute_b32 v36, v50, v34
	ds_bpermute_b32 v37, v50, v35
	v_cndmask_b32_e64 v52, 0, 1, s[8:9]
	v_cmp_gt_u32_e64 s[2:3], v51, v29
	v_lshlrev_b32_e32 v52, 3, v52
	v_add_lshl_u32 v52, v52, v33, 2
	s_waitcnt lgkmcnt(0)
	v_add_f64 v[36:37], v[34:35], v[36:37]
	v_cndmask_b32_e64 v54, v36, v34, s[2:3]
	v_cndmask_b32_e64 v55, v37, v35, s[2:3]
	ds_bpermute_b32 v56, v52, v54
	ds_bpermute_b32 v57, v52, v55
	v_add_u32_e32 v53, 8, v41
	v_cmp_gt_u32_e64 s[8:9], v53, v29
	v_cmp_gt_u32_e64 s[10:11], 48, v41
	;; [unrolled: 1-line block ×3, first 2 shown]
	s_waitcnt lgkmcnt(0)
	v_add_f64 v[58:59], v[54:55], v[56:57]
	v_cndmask_b32_e64 v56, v58, v54, s[8:9]
	v_cndmask_b32_e64 v54, 0, 1, s[10:11]
	v_lshlrev_b32_e32 v54, 4, v54
	v_cndmask_b32_e64 v57, v59, v55, s[8:9]
	v_add_lshl_u32 v54, v54, v33, 2
	ds_bpermute_b32 v60, v54, v56
	ds_bpermute_b32 v61, v54, v57
	v_add_u32_e32 v55, 16, v41
	v_cmp_gt_u32_e64 s[10:11], v55, v29
	v_cndmask_b32_e32 v27, v27, v35, vcc
	v_cndmask_b32_e32 v26, v26, v34, vcc
	s_waitcnt lgkmcnt(0)
	v_add_f64 v[60:61], v[56:57], v[60:61]
	v_cndmask_b32_e64 v62, v60, v56, s[10:11]
	v_cndmask_b32_e64 v56, 0, 1, s[12:13]
	v_lshlrev_b32_e32 v56, 5, v56
	v_add_lshl_u32 v56, v56, v33, 2
	v_cndmask_b32_e64 v63, v61, v57, s[10:11]
	ds_bpermute_b32 v64, v56, v62
	ds_bpermute_b32 v65, v56, v63
	v_cndmask_b32_e64 v26, v36, v26, s[2:3]
	v_cndmask_b32_e64 v27, v37, v27, s[2:3]
	v_add_u32_e32 v57, 32, v41
	v_cndmask_b32_e64 v27, v59, v27, s[8:9]
	v_cndmask_b32_e64 v26, v58, v26, s[8:9]
	s_waitcnt lgkmcnt(0)
	v_add_f64 v[62:63], v[62:63], v[64:65]
	v_cndmask_b32_e64 v26, v60, v26, s[10:11]
	v_cndmask_b32_e64 v27, v61, v27, s[10:11]
	v_cmp_gt_u32_e32 vcc, v57, v29
	v_cndmask_b32_e32 v27, v63, v27, vcc
	v_cndmask_b32_e32 v26, v62, v26, vcc
	v_mov_b32_e32 v33, 0
	s_branch .LBB4216_42
.LBB4216_41:                            ;   in Loop: Header=BB4216_42 Depth=1
	s_or_b64 exec, exec, s[2:3]
	v_cmp_eq_u16_sdwa s[2:3], v28, v40 src0_sel:BYTE_0 src1_sel:DWORD
	v_and_b32_e32 v29, s3, v25
	ds_bpermute_b32 v36, v47, v26
	ds_bpermute_b32 v37, v47, v27
	v_or_b32_e32 v29, 0x80000000, v29
	v_and_b32_e32 v58, s2, v24
	v_ffbl_b32_e32 v29, v29
	v_add_u32_e32 v29, 32, v29
	v_ffbl_b32_e32 v58, v58
	v_min_u32_e32 v29, v58, v29
	s_waitcnt lgkmcnt(0)
	v_add_f64 v[36:37], v[26:27], v[36:37]
	v_cmp_lt_u32_e32 vcc, v41, v29
	v_cndmask_b32_e32 v36, v26, v36, vcc
	v_cndmask_b32_e32 v37, v27, v37, vcc
	ds_bpermute_b32 v58, v48, v36
	ds_bpermute_b32 v59, v48, v37
	v_cmp_gt_u32_e64 s[2:3], v49, v29
	v_cmp_gt_u32_e64 s[8:9], v53, v29
	;; [unrolled: 1-line block ×3, first 2 shown]
	v_subrev_u32_e32 v32, 64, v32
	s_waitcnt lgkmcnt(0)
	v_add_f64 v[58:59], v[36:37], v[58:59]
	v_cndmask_b32_e64 v36, v58, v36, s[2:3]
	v_cndmask_b32_e64 v37, v59, v37, s[2:3]
	ds_bpermute_b32 v58, v50, v36
	ds_bpermute_b32 v59, v50, v37
	v_cmp_gt_u32_e64 s[2:3], v51, v29
	v_cndmask_b32_e32 v27, v27, v37, vcc
	v_cndmask_b32_e32 v26, v26, v36, vcc
	v_cmp_gt_u32_e32 vcc, v57, v29
	s_waitcnt lgkmcnt(0)
	v_add_f64 v[58:59], v[36:37], v[58:59]
	v_cndmask_b32_e64 v60, v58, v36, s[2:3]
	v_cndmask_b32_e64 v61, v59, v37, s[2:3]
	ds_bpermute_b32 v62, v52, v60
	ds_bpermute_b32 v63, v52, v61
	v_cndmask_b32_e64 v26, v58, v26, s[2:3]
	v_cndmask_b32_e64 v27, v59, v27, s[2:3]
	s_waitcnt lgkmcnt(0)
	v_add_f64 v[62:63], v[60:61], v[62:63]
	v_cndmask_b32_e64 v60, v62, v60, s[8:9]
	v_cndmask_b32_e64 v61, v63, v61, s[8:9]
	ds_bpermute_b32 v64, v54, v60
	ds_bpermute_b32 v65, v54, v61
	v_cndmask_b32_e64 v27, v63, v27, s[8:9]
	v_cndmask_b32_e64 v26, v62, v26, s[8:9]
	;; [unrolled: 8-line block ×3, first 2 shown]
	s_waitcnt lgkmcnt(0)
	v_add_f64 v[60:61], v[60:61], v[66:67]
	v_cndmask_b32_e32 v27, v61, v27, vcc
	v_cndmask_b32_e32 v26, v60, v26, vcc
	v_add_f64 v[26:27], v[34:35], v[26:27]
.LBB4216_42:                            ; =>This Loop Header: Depth=1
                                        ;     Child Loop BB4216_45 Depth 2
	v_cmp_ne_u16_sdwa s[2:3], v28, v40 src0_sel:BYTE_0 src1_sel:DWORD
	v_cndmask_b32_e64 v28, 0, 1, s[2:3]
	;;#ASMSTART
	;;#ASMEND
	v_cmp_ne_u32_e32 vcc, 0, v28
	s_cmp_lg_u64 vcc, exec
	v_pk_mov_b32 v[34:35], v[26:27], v[26:27] op_sel:[0,1]
	s_cbranch_scc1 .LBB4216_47
; %bb.43:                               ;   in Loop: Header=BB4216_42 Depth=1
	v_lshlrev_b64 v[26:27], 4, v[32:33]
	v_mov_b32_e32 v28, s23
	v_add_co_u32_e32 v36, vcc, s22, v26
	v_addc_co_u32_e32 v37, vcc, v28, v27, vcc
	;;#ASMSTART
	global_load_dwordx4 v[26:29], v[36:37] off glc	
s_waitcnt vmcnt(0)
	;;#ASMEND
	v_and_b32_e32 v29, 0xff, v27
	v_and_b32_e32 v58, 0xff00, v27
	v_or3_b32 v29, 0, v29, v58
	v_or3_b32 v26, v26, 0, 0
	v_and_b32_e32 v58, 0xff000000, v27
	v_and_b32_e32 v27, 0xff0000, v27
	v_or3_b32 v27, v29, v27, v58
	v_or3_b32 v26, v26, 0, 0
	v_cmp_eq_u16_sdwa s[8:9], v28, v33 src0_sel:BYTE_0 src1_sel:DWORD
	s_and_saveexec_b64 s[2:3], s[8:9]
	s_cbranch_execz .LBB4216_41
; %bb.44:                               ;   in Loop: Header=BB4216_42 Depth=1
	s_mov_b64 s[8:9], 0
.LBB4216_45:                            ;   Parent Loop BB4216_42 Depth=1
                                        ; =>  This Inner Loop Header: Depth=2
	;;#ASMSTART
	global_load_dwordx4 v[26:29], v[36:37] off glc	
s_waitcnt vmcnt(0)
	;;#ASMEND
	v_cmp_ne_u16_sdwa s[10:11], v28, v33 src0_sel:BYTE_0 src1_sel:DWORD
	s_or_b64 s[8:9], s[10:11], s[8:9]
	s_andn2_b64 exec, exec, s[8:9]
	s_cbranch_execnz .LBB4216_45
; %bb.46:                               ;   in Loop: Header=BB4216_42 Depth=1
	s_or_b64 exec, exec, s[8:9]
	s_branch .LBB4216_41
.LBB4216_47:                            ;   in Loop: Header=BB4216_42 Depth=1
                                        ; implicit-def: $vgpr26_vgpr27
                                        ; implicit-def: $vgpr28
	s_cbranch_execz .LBB4216_42
; %bb.48:
	s_and_saveexec_b64 s[2:3], s[0:1]
	s_cbranch_execz .LBB4216_50
; %bb.49:
	s_add_i32 s6, s6, 64
	s_mov_b32 s7, 0
	s_lshl_b64 s[6:7], s[6:7], 4
	s_add_u32 s6, s22, s6
	s_addc_u32 s7, s23, s7
	v_add_f64 v[22:23], v[22:23], v[34:35]
	v_mov_b32_e32 v24, 2
	v_mov_b32_e32 v25, 0
	v_pk_mov_b32 v[26:27], s[6:7], s[6:7] op_sel:[0,1]
	;;#ASMSTART
	global_store_dwordx4 v[26:27], v[22:25] off	
s_waitcnt vmcnt(0)
	;;#ASMEND
.LBB4216_50:
	s_or_b64 exec, exec, s[2:3]
	v_cmp_eq_u32_e32 vcc, 0, v0
	s_and_b64 exec, exec, vcc
	s_cbranch_execz .LBB4216_52
; %bb.51:
	v_mov_b32_e32 v22, 0
	ds_write_b64 v22, v[34:35] offset:8
.LBB4216_52:
	s_or_b64 exec, exec, s[26:27]
	v_mov_b32_e32 v22, 0
	s_waitcnt lgkmcnt(0)
	s_barrier
	ds_read_b64 v[22:23], v22 offset:8
	v_cndmask_b32_e64 v25, v39, v31, s[0:1]
	v_cndmask_b32_e64 v24, v38, v30, s[0:1]
	v_cmp_eq_u32_e32 vcc, 0, v0
	s_waitcnt lgkmcnt(0)
	v_add_f64 v[24:25], v[24:25], v[22:23]
	v_cndmask_b32_e32 v39, v25, v23, vcc
	v_cndmask_b32_e32 v38, v24, v22, vcc
	v_add_f64 v[40:41], v[14:15], v[38:39]
	v_add_f64 v[34:35], v[16:17], v[40:41]
	;; [unrolled: 1-line block ×9, first 2 shown]
	s_load_dwordx8 s[4:11], s[4:5], 0x40
	s_branch .LBB4216_67
.LBB4216_53:
                                        ; implicit-def: $vgpr24_vgpr25
                                        ; implicit-def: $vgpr28_vgpr29
                                        ; implicit-def: $vgpr32_vgpr33
                                        ; implicit-def: $vgpr36_vgpr37
                                        ; implicit-def: $vgpr40_vgpr41
	s_load_dwordx8 s[4:11], s[4:5], 0x40
	s_cbranch_execz .LBB4216_67
; %bb.54:
	s_waitcnt lgkmcnt(0)
	s_cmp_eq_u64 s[8:9], 0
	v_pk_mov_b32 v[24:25], s[24:25], s[24:25] op_sel:[0,1]
	s_cbranch_scc1 .LBB4216_56
; %bb.55:
	v_mov_b32_e32 v23, s31
	v_add_co_u32_e64 v22, vcc, -8, s30
	v_addc_co_u32_e32 v23, vcc, -1, v23, vcc
	v_mov_b32_e32 v28, 0
	flat_load_dwordx2 v[24:25], v[22:23]
	global_load_dwordx2 v[26:27], v28, s[4:5]
	s_waitcnt vmcnt(0) lgkmcnt(0)
	v_add_f64 v[24:25], v[24:25], v[26:27]
.LBB4216_56:
	v_add_f64 v[22:23], v[12:13], v[42:43]
	v_add_f64 v[22:23], v[6:7], v[22:23]
	;; [unrolled: 1-line block ×7, first 2 shown]
	v_mbcnt_hi_u32_b32 v1, -1, v1
	v_and_b32_e32 v28, 15, v1
	v_mov_b32_dpp v22, v20 row_shr:1 row_mask:0xf bank_mask:0xf
	v_mov_b32_dpp v23, v21 row_shr:1 row_mask:0xf bank_mask:0xf
	v_add_f64 v[22:23], v[20:21], v[22:23]
	v_cmp_eq_u32_e32 vcc, 0, v28
	v_cndmask_b32_e32 v22, v22, v20, vcc
	v_cndmask_b32_e32 v23, v23, v21, vcc
	v_cmp_lt_u32_e32 vcc, 1, v28
	v_mov_b32_dpp v26, v22 row_shr:2 row_mask:0xf bank_mask:0xf
	v_mov_b32_dpp v27, v23 row_shr:2 row_mask:0xf bank_mask:0xf
	v_add_f64 v[26:27], v[22:23], v[26:27]
	v_cndmask_b32_e32 v22, v22, v26, vcc
	v_cndmask_b32_e32 v23, v23, v27, vcc
	v_cmp_lt_u32_e32 vcc, 3, v28
	v_mov_b32_dpp v26, v22 row_shr:4 row_mask:0xf bank_mask:0xf
	v_mov_b32_dpp v27, v23 row_shr:4 row_mask:0xf bank_mask:0xf
	v_add_f64 v[26:27], v[22:23], v[26:27]
	;; [unrolled: 6-line block ×3, first 2 shown]
	v_cndmask_b32_e32 v22, v22, v26, vcc
	v_cndmask_b32_e32 v23, v23, v27, vcc
	v_and_b32_e32 v30, 16, v1
	v_mov_b32_dpp v26, v22 row_bcast:15 row_mask:0xf bank_mask:0xf
	v_mov_b32_dpp v27, v23 row_bcast:15 row_mask:0xf bank_mask:0xf
	v_add_f64 v[28:29], v[22:23], v[26:27]
	v_cmp_eq_u32_e64 s[0:1], 0, v30
	v_cndmask_b32_e64 v27, v29, v23, s[0:1]
	v_cndmask_b32_e64 v26, v28, v22, s[0:1]
	v_cmp_eq_u32_e32 vcc, 0, v1
	v_mov_b32_dpp v27, v27 row_bcast:31 row_mask:0xf bank_mask:0xf
	v_mov_b32_dpp v26, v26 row_bcast:31 row_mask:0xf bank_mask:0xf
	v_cmp_ne_u32_e64 s[2:3], 0, v1
	s_and_saveexec_b64 s[4:5], s[2:3]
; %bb.57:
	v_cndmask_b32_e64 v21, v29, v23, s[0:1]
	v_cndmask_b32_e64 v20, v28, v22, s[0:1]
	v_add_f64 v[22:23], v[20:21], v[26:27]
	v_cmp_lt_u32_e64 s[0:1], 31, v1
	v_cndmask_b32_e64 v21, v21, v23, s[0:1]
	v_cndmask_b32_e64 v20, v20, v22, s[0:1]
; %bb.58:
	s_or_b64 exec, exec, s[4:5]
	v_or_b32_e32 v22, 63, v0
	v_lshrrev_b32_e32 v26, 6, v0
	v_cmp_eq_u32_e64 s[0:1], v22, v0
	s_and_saveexec_b64 s[2:3], s[0:1]
	s_cbranch_execz .LBB4216_60
; %bb.59:
	v_lshlrev_b32_e32 v22, 3, v26
	ds_write_b64 v22, v[20:21]
.LBB4216_60:
	s_or_b64 exec, exec, s[2:3]
	v_cmp_gt_u32_e64 s[0:1], 2, v0
	s_waitcnt lgkmcnt(0)
	s_barrier
	s_and_saveexec_b64 s[2:3], s[0:1]
	s_cbranch_execz .LBB4216_62
; %bb.61:
	s_movk_i32 s0, 0xffb8
	v_mad_i32_i24 v27, v0, s0, v46
	ds_read_b64 v[22:23], v27
	v_and_b32_e32 v30, 1, v1
	v_cmp_eq_u32_e64 s[0:1], 0, v30
	s_waitcnt lgkmcnt(0)
	v_mov_b32_dpp v28, v22 row_shr:1 row_mask:0xf bank_mask:0xf
	v_mov_b32_dpp v29, v23 row_shr:1 row_mask:0xf bank_mask:0xf
	v_add_f64 v[28:29], v[22:23], v[28:29]
	v_cndmask_b32_e64 v23, v29, v23, s[0:1]
	v_cndmask_b32_e64 v22, v28, v22, s[0:1]
	ds_write_b64 v27, v[22:23]
.LBB4216_62:
	s_or_b64 exec, exec, s[2:3]
	v_cmp_lt_u32_e64 s[0:1], 63, v0
	v_pk_mov_b32 v[22:23], v[24:25], v[24:25] op_sel:[0,1]
	s_waitcnt lgkmcnt(0)
	s_barrier
	s_and_saveexec_b64 s[2:3], s[0:1]
	s_cbranch_execz .LBB4216_64
; %bb.63:
	v_lshl_add_u32 v22, v26, 3, -8
	ds_read_b64 v[22:23], v22
	s_waitcnt lgkmcnt(0)
	v_add_f64 v[22:23], v[24:25], v[22:23]
.LBB4216_64:
	s_or_b64 exec, exec, s[2:3]
	v_add_u32_e32 v26, -1, v1
	v_and_b32_e32 v27, 64, v1
	v_cmp_lt_i32_e64 s[0:1], v26, v27
	v_cndmask_b32_e64 v1, v26, v1, s[0:1]
	v_add_f64 v[20:21], v[20:21], v[22:23]
	v_lshlrev_b32_e32 v1, 2, v1
	ds_bpermute_b32 v20, v1, v20
	ds_bpermute_b32 v1, v1, v21
	s_waitcnt lgkmcnt(1)
	v_cndmask_b32_e32 v20, v20, v22, vcc
	s_waitcnt lgkmcnt(0)
	v_cndmask_b32_e32 v1, v1, v23, vcc
	v_cmp_eq_u32_e32 vcc, 0, v0
	v_cndmask_b32_e32 v39, v1, v25, vcc
	v_cndmask_b32_e32 v38, v20, v24, vcc
	v_add_f64 v[40:41], v[14:15], v[38:39]
	v_add_f64 v[34:35], v[16:17], v[40:41]
	;; [unrolled: 1-line block ×8, first 2 shown]
	s_and_saveexec_b64 s[0:1], vcc
	s_cbranch_execz .LBB4216_66
; %bb.65:
	v_mov_b32_e32 v5, 0
	ds_read_b64 v[2:3], v5 offset:8
	s_add_u32 s2, s22, 0x400
	s_addc_u32 s3, s23, 0
	v_mov_b32_e32 v4, 2
	v_pk_mov_b32 v[6:7], s[2:3], s[2:3] op_sel:[0,1]
	s_waitcnt lgkmcnt(0)
	v_add_f64 v[2:3], v[24:25], v[2:3]
	;;#ASMSTART
	global_store_dwordx4 v[6:7], v[2:5] off	
s_waitcnt vmcnt(0)
	;;#ASMEND
.LBB4216_66:
	s_or_b64 exec, exec, s[0:1]
	v_add_f64 v[24:25], v[18:19], v[22:23]
.LBB4216_67:
	s_add_u32 s0, s16, s14
	s_addc_u32 s1, s17, s15
	s_add_u32 s2, s0, s20
	s_addc_u32 s3, s1, s21
	s_mov_b64 s[0:1], -1
	s_and_b64 vcc, exec, s[18:19]
	s_waitcnt lgkmcnt(0)
	s_barrier
	s_cbranch_vccz .LBB4216_69
; %bb.68:
	ds_write_b128 v46, v[38:41]
	ds_write_b128 v46, v[34:37] offset:16
	ds_write_b128 v46, v[30:33] offset:32
	;; [unrolled: 1-line block ×4, first 2 shown]
	s_waitcnt lgkmcnt(0)
	s_barrier
	ds_read2st64_b64 v[2:5], v44 offset1:2
	ds_read2st64_b64 v[6:9], v44 offset0:4 offset1:6
	ds_read2st64_b64 v[10:13], v44 offset0:8 offset1:10
	;; [unrolled: 1-line block ×4, first 2 shown]
	v_mov_b32_e32 v1, s3
	v_add_co_u32_e32 v42, vcc, s2, v44
	v_addc_co_u32_e32 v43, vcc, 0, v1, vcc
	s_movk_i32 s0, 0x1000
	s_waitcnt lgkmcnt(4)
	flat_store_dwordx2 v[42:43], v[2:3]
	flat_store_dwordx2 v[42:43], v[4:5] offset:1024
	s_waitcnt lgkmcnt(0)
	flat_store_dwordx2 v[42:43], v[6:7] offset:2048
	flat_store_dwordx2 v[42:43], v[8:9] offset:3072
	v_add_co_u32_e32 v2, vcc, s0, v42
	v_addc_co_u32_e32 v3, vcc, 0, v43, vcc
	flat_store_dwordx2 v[2:3], v[10:11]
	flat_store_dwordx2 v[2:3], v[12:13] offset:1024
	flat_store_dwordx2 v[2:3], v[14:15] offset:2048
	;; [unrolled: 1-line block ×3, first 2 shown]
	v_add_co_u32_e32 v2, vcc, 0x2000, v42
	v_addc_co_u32_e32 v3, vcc, 0, v43, vcc
	flat_store_dwordx2 v[2:3], v[18:19]
	flat_store_dwordx2 v[2:3], v[20:21] offset:1024
	s_mov_b64 s[0:1], 0
.LBB4216_69:
	s_andn2_b64 vcc, exec, s[0:1]
	s_cbranch_vccnz .LBB4216_125
; %bb.70:
	s_movk_i32 s0, 0xffb8
	v_mad_i32_i24 v18, v0, s0, v46
	ds_write_b128 v46, v[38:41]
	ds_write_b128 v46, v[34:37] offset:16
	ds_write_b128 v46, v[30:33] offset:32
	;; [unrolled: 1-line block ×4, first 2 shown]
	s_waitcnt lgkmcnt(0)
	s_barrier
	ds_read2st64_b64 v[2:5], v18 offset1:2
	ds_read2st64_b64 v[10:13], v18 offset0:4 offset1:6
	ds_read2st64_b64 v[6:9], v18 offset0:8 offset1:10
	;; [unrolled: 1-line block ×4, first 2 shown]
	v_mov_b32_e32 v23, s3
	v_add_co_u32_e32 v22, vcc, s2, v44
	v_addc_co_u32_e32 v23, vcc, 0, v23, vcc
	v_mov_b32_e32 v1, 0
	v_cmp_gt_u32_e32 vcc, s28, v0
	s_and_saveexec_b64 s[0:1], vcc
	s_cbranch_execz .LBB4216_72
; %bb.71:
	s_waitcnt lgkmcnt(0)
	flat_store_dwordx2 v[22:23], v[2:3]
.LBB4216_72:
	s_or_b64 exec, exec, s[0:1]
	v_or_b32_e32 v24, 0x80, v0
	v_cmp_gt_u32_e32 vcc, s28, v24
	s_and_saveexec_b64 s[0:1], vcc
	s_cbranch_execz .LBB4216_74
; %bb.73:
	s_waitcnt lgkmcnt(0)
	flat_store_dwordx2 v[22:23], v[4:5] offset:1024
.LBB4216_74:
	s_or_b64 exec, exec, s[0:1]
	v_or_b32_e32 v24, 0x100, v0
	v_cmp_gt_u32_e32 vcc, s28, v24
	s_and_saveexec_b64 s[0:1], vcc
	s_cbranch_execz .LBB4216_76
; %bb.75:
	s_waitcnt lgkmcnt(0)
	flat_store_dwordx2 v[22:23], v[10:11] offset:2048
.LBB4216_76:
	;; [unrolled: 9-line block ×3, first 2 shown]
	s_or_b64 exec, exec, s[0:1]
	v_or_b32_e32 v24, 0x200, v0
	v_cmp_gt_u32_e32 vcc, s28, v24
	s_and_saveexec_b64 s[0:1], vcc
	s_cbranch_execz .LBB4216_80
; %bb.79:
	v_add_co_u32_e32 v24, vcc, 0x1000, v22
	v_addc_co_u32_e32 v25, vcc, 0, v23, vcc
	s_waitcnt lgkmcnt(0)
	flat_store_dwordx2 v[24:25], v[6:7]
.LBB4216_80:
	s_or_b64 exec, exec, s[0:1]
	v_or_b32_e32 v24, 0x280, v0
	v_cmp_gt_u32_e32 vcc, s28, v24
	s_and_saveexec_b64 s[0:1], vcc
	s_cbranch_execz .LBB4216_82
; %bb.81:
	v_add_co_u32_e32 v24, vcc, 0x1000, v22
	v_addc_co_u32_e32 v25, vcc, 0, v23, vcc
	s_waitcnt lgkmcnt(0)
	flat_store_dwordx2 v[24:25], v[8:9] offset:1024
.LBB4216_82:
	s_or_b64 exec, exec, s[0:1]
	v_or_b32_e32 v24, 0x300, v0
	v_cmp_gt_u32_e32 vcc, s28, v24
	s_and_saveexec_b64 s[0:1], vcc
	s_cbranch_execz .LBB4216_84
; %bb.83:
	v_add_co_u32_e32 v24, vcc, 0x1000, v22
	v_addc_co_u32_e32 v25, vcc, 0, v23, vcc
	s_waitcnt lgkmcnt(0)
	flat_store_dwordx2 v[24:25], v[14:15] offset:2048
.LBB4216_84:
	s_or_b64 exec, exec, s[0:1]
	v_or_b32_e32 v24, 0x380, v0
	v_cmp_gt_u32_e32 vcc, s28, v24
	s_and_saveexec_b64 s[0:1], vcc
	s_cbranch_execz .LBB4216_86
; %bb.85:
	v_add_co_u32_e32 v24, vcc, 0x1000, v22
	v_addc_co_u32_e32 v25, vcc, 0, v23, vcc
	s_waitcnt lgkmcnt(0)
	flat_store_dwordx2 v[24:25], v[16:17] offset:3072
.LBB4216_86:
	s_or_b64 exec, exec, s[0:1]
	v_or_b32_e32 v24, 0x400, v0
	v_cmp_gt_u32_e32 vcc, s28, v24
	s_and_saveexec_b64 s[0:1], vcc
	s_cbranch_execz .LBB4216_88
; %bb.87:
	v_add_co_u32_e32 v24, vcc, 0x2000, v22
	v_addc_co_u32_e32 v25, vcc, 0, v23, vcc
	s_waitcnt lgkmcnt(0)
	flat_store_dwordx2 v[24:25], v[18:19]
.LBB4216_88:
	s_or_b64 exec, exec, s[0:1]
	v_or_b32_e32 v24, 0x480, v0
	v_cmp_gt_u32_e32 vcc, s28, v24
	s_and_saveexec_b64 s[0:1], vcc
	s_cbranch_execz .LBB4216_90
; %bb.89:
	v_add_co_u32_e32 v22, vcc, 0x2000, v22
	v_addc_co_u32_e32 v23, vcc, 0, v23, vcc
	s_waitcnt lgkmcnt(0)
	flat_store_dwordx2 v[22:23], v[20:21] offset:1024
.LBB4216_90:
	s_or_b64 exec, exec, s[0:1]
	v_cmp_lt_u64_e64 s[0:1], s[10:11], 2
	s_and_b64 vcc, exec, s[0:1]
	s_cbranch_vccnz .LBB4216_125
; %bb.91:
	s_add_u32 s0, s28, -1
	s_addc_u32 s1, s29, -1
	s_add_u32 s2, 0, 0x99986000
	s_addc_u32 s3, 0, 0x59
	s_add_i32 s3, s3, 0x19999940
	s_mul_hi_u32 s9, s2, -10
	s_sub_i32 s9, s9, s2
	s_mul_i32 s10, s3, -10
	s_mul_i32 s4, s2, -10
	s_add_i32 s9, s9, s10
	s_mul_hi_u32 s5, s3, s4
	s_mul_i32 s8, s3, s4
	s_mul_i32 s11, s2, s9
	s_mul_hi_u32 s4, s2, s4
	s_mul_hi_u32 s10, s2, s9
	s_add_u32 s4, s4, s11
	s_addc_u32 s10, 0, s10
	s_add_u32 s4, s4, s8
	s_mul_hi_u32 s11, s3, s9
	s_addc_u32 s4, s10, s5
	s_addc_u32 s5, s11, 0
	s_mul_i32 s8, s3, s9
	s_add_u32 s4, s4, s8
	v_mov_b32_e32 v22, s4
	s_addc_u32 s5, 0, s5
	v_add_co_u32_e32 v22, vcc, s2, v22
	s_cmp_lg_u64 vcc, 0
	s_addc_u32 s2, s3, s5
	v_readfirstlane_b32 s5, v22
	s_mul_i32 s4, s0, s2
	s_mul_hi_u32 s8, s0, s5
	s_mul_hi_u32 s3, s0, s2
	s_add_u32 s4, s8, s4
	s_addc_u32 s3, 0, s3
	s_mul_hi_u32 s9, s1, s5
	s_mul_i32 s5, s1, s5
	s_add_u32 s4, s4, s5
	s_mul_hi_u32 s8, s1, s2
	s_addc_u32 s3, s3, s9
	s_addc_u32 s4, s8, 0
	s_mul_i32 s2, s1, s2
	s_add_u32 s2, s3, s2
	s_addc_u32 s3, 0, s4
	s_add_u32 s4, s2, 1
	s_addc_u32 s5, s3, 0
	s_add_u32 s8, s2, 2
	s_mul_i32 s10, s3, 10
	s_mul_hi_u32 s11, s2, 10
	s_addc_u32 s9, s3, 0
	s_add_i32 s11, s11, s10
	s_mul_i32 s10, s2, 10
	v_mov_b32_e32 v22, s10
	v_sub_co_u32_e32 v22, vcc, s0, v22
	s_cmp_lg_u64 vcc, 0
	s_subb_u32 s10, s1, s11
	v_subrev_co_u32_e32 v23, vcc, 10, v22
	s_cmp_lg_u64 vcc, 0
	s_subb_u32 s11, s10, 0
	v_readfirstlane_b32 s12, v23
	s_cmp_gt_u32 s12, 9
	s_cselect_b32 s12, -1, 0
	s_cmp_eq_u32 s11, 0
	s_cselect_b32 s11, s12, -1
	s_cmp_lg_u32 s11, 0
	s_cselect_b32 s4, s8, s4
	v_readfirstlane_b32 s8, v22
	s_cselect_b32 s5, s9, s5
	s_cmp_gt_u32 s8, 9
	s_cselect_b32 s8, -1, 0
	s_cmp_eq_u32 s10, 0
	s_cselect_b32 s8, s8, -1
	s_cmp_lg_u32 s8, 0
	s_cselect_b32 s3, s5, s3
	s_cselect_b32 s2, s4, s2
	v_cmp_eq_u64_e32 vcc, s[2:3], v[0:1]
	s_and_saveexec_b64 s[2:3], vcc
	s_cbranch_execz .LBB4216_125
; %bb.92:
	v_mul_hi_u32_u24_e32 v1, 10, v0
	v_mov_b32_e32 v22, s1
	v_sub_co_u32_e32 v0, vcc, s0, v45
	v_subb_co_u32_e32 v1, vcc, v22, v1, vcc
	v_cmp_lt_i64_e32 vcc, 4, v[0:1]
	s_and_saveexec_b64 s[0:1], vcc
	s_xor_b64 s[0:1], exec, s[0:1]
	s_cbranch_execz .LBB4216_110
; %bb.93:
	v_cmp_lt_i64_e32 vcc, 6, v[0:1]
	s_and_saveexec_b64 s[2:3], vcc
	s_xor_b64 s[2:3], exec, s[2:3]
	s_cbranch_execz .LBB4216_103
; %bb.94:
	;; [unrolled: 5-line block ×4, first 2 shown]
	v_mov_b32_e32 v0, 0
	s_waitcnt lgkmcnt(0)
	global_store_dwordx2 v0, v[20:21], s[6:7]
                                        ; implicit-def: $vgpr18_vgpr19_vgpr20_vgpr21
.LBB4216_97:
	s_andn2_saveexec_b64 s[8:9], s[8:9]
	s_cbranch_execz .LBB4216_99
; %bb.98:
	v_mov_b32_e32 v0, 0
	s_waitcnt lgkmcnt(0)
	global_store_dwordx2 v0, v[18:19], s[6:7]
.LBB4216_99:
	s_or_b64 exec, exec, s[8:9]
                                        ; implicit-def: $vgpr14_vgpr15_vgpr16_vgpr17
.LBB4216_100:
	s_andn2_saveexec_b64 s[4:5], s[4:5]
	s_cbranch_execz .LBB4216_102
; %bb.101:
	v_mov_b32_e32 v0, 0
	s_waitcnt lgkmcnt(0)
	global_store_dwordx2 v0, v[16:17], s[6:7]
.LBB4216_102:
	s_or_b64 exec, exec, s[4:5]
                                        ; implicit-def: $vgpr6_vgpr7_vgpr8_vgpr9
                                        ; implicit-def: $vgpr0_vgpr1
                                        ; implicit-def: $vgpr14_vgpr15_vgpr16_vgpr17
.LBB4216_103:
	s_andn2_saveexec_b64 s[2:3], s[2:3]
	s_cbranch_execz .LBB4216_109
; %bb.104:
	v_cmp_lt_i64_e32 vcc, 5, v[0:1]
	s_and_saveexec_b64 s[4:5], vcc
	s_xor_b64 s[4:5], exec, s[4:5]
	s_cbranch_execz .LBB4216_106
; %bb.105:
	v_mov_b32_e32 v0, 0
	s_waitcnt lgkmcnt(0)
	global_store_dwordx2 v0, v[14:15], s[6:7]
                                        ; implicit-def: $vgpr6_vgpr7_vgpr8_vgpr9
.LBB4216_106:
	s_andn2_saveexec_b64 s[4:5], s[4:5]
	s_cbranch_execz .LBB4216_108
; %bb.107:
	v_mov_b32_e32 v0, 0
	s_waitcnt lgkmcnt(0)
	global_store_dwordx2 v0, v[8:9], s[6:7]
.LBB4216_108:
	s_or_b64 exec, exec, s[4:5]
.LBB4216_109:
	s_or_b64 exec, exec, s[2:3]
                                        ; implicit-def: $vgpr0_vgpr1
                                        ; implicit-def: $vgpr10_vgpr11_vgpr12_vgpr13
                                        ; implicit-def: $vgpr2_vgpr3_vgpr4_vgpr5
                                        ; implicit-def: $vgpr6_vgpr7_vgpr8_vgpr9
.LBB4216_110:
	s_andn2_saveexec_b64 s[0:1], s[0:1]
	s_cbranch_execz .LBB4216_125
; %bb.111:
	v_cmp_lt_i64_e32 vcc, 2, v[0:1]
	s_and_saveexec_b64 s[0:1], vcc
	s_xor_b64 s[0:1], exec, s[0:1]
	s_cbranch_execz .LBB4216_117
; %bb.112:
	v_cmp_lt_i64_e32 vcc, 3, v[0:1]
	s_and_saveexec_b64 s[2:3], vcc
	s_xor_b64 s[2:3], exec, s[2:3]
	s_cbranch_execz .LBB4216_114
; %bb.113:
	v_mov_b32_e32 v0, 0
	s_waitcnt lgkmcnt(0)
	global_store_dwordx2 v0, v[6:7], s[6:7]
                                        ; implicit-def: $vgpr10_vgpr11_vgpr12_vgpr13
.LBB4216_114:
	s_andn2_saveexec_b64 s[2:3], s[2:3]
	s_cbranch_execz .LBB4216_116
; %bb.115:
	v_mov_b32_e32 v0, 0
	s_waitcnt lgkmcnt(0)
	global_store_dwordx2 v0, v[12:13], s[6:7]
.LBB4216_116:
	s_or_b64 exec, exec, s[2:3]
                                        ; implicit-def: $vgpr0_vgpr1
                                        ; implicit-def: $vgpr10_vgpr11_vgpr12_vgpr13
                                        ; implicit-def: $vgpr2_vgpr3_vgpr4_vgpr5
.LBB4216_117:
	s_andn2_saveexec_b64 s[0:1], s[0:1]
	s_cbranch_execz .LBB4216_125
; %bb.118:
	v_cmp_lt_i64_e32 vcc, 1, v[0:1]
	s_and_saveexec_b64 s[0:1], vcc
	s_xor_b64 s[0:1], exec, s[0:1]
	s_cbranch_execz .LBB4216_120
; %bb.119:
	v_mov_b32_e32 v0, 0
	s_waitcnt lgkmcnt(0)
	global_store_dwordx2 v0, v[10:11], s[6:7]
                                        ; implicit-def: $vgpr2_vgpr3_vgpr4_vgpr5
                                        ; implicit-def: $vgpr0_vgpr1
.LBB4216_120:
	s_andn2_saveexec_b64 s[0:1], s[0:1]
	s_cbranch_execz .LBB4216_125
; %bb.121:
	v_cmp_ne_u64_e32 vcc, 1, v[0:1]
	s_and_saveexec_b64 s[0:1], vcc
	s_xor_b64 s[0:1], exec, s[0:1]
	s_cbranch_execz .LBB4216_123
; %bb.122:
	v_mov_b32_e32 v0, 0
	s_waitcnt lgkmcnt(0)
	global_store_dwordx2 v0, v[2:3], s[6:7]
                                        ; implicit-def: $vgpr2_vgpr3_vgpr4_vgpr5
.LBB4216_123:
	s_andn2_saveexec_b64 s[0:1], s[0:1]
	s_cbranch_execz .LBB4216_125
; %bb.124:
	v_mov_b32_e32 v0, 0
	s_waitcnt lgkmcnt(0)
	global_store_dwordx2 v0, v[4:5], s[6:7]
.LBB4216_125:
	s_endpgm
	.section	.rodata,"a",@progbits
	.p2align	6, 0x0
	.amdhsa_kernel _ZN7rocprim17ROCPRIM_400000_NS6detail17trampoline_kernelINS0_14default_configENS1_20scan_config_selectorIdEEZZNS1_9scan_implILNS1_25lookback_scan_determinismE0ELb1ELb1ES3_N6thrust23THRUST_200600_302600_NS6detail15normal_iteratorINS9_10device_ptrIdEEEESE_dNS9_4plusIvEEdEEDaPvRmT3_T4_T5_mT6_P12ihipStream_tbENKUlT_T0_E_clISt17integral_constantIbLb0EESU_EEDaSP_SQ_EUlSP_E_NS1_11comp_targetILNS1_3genE4ELNS1_11target_archE910ELNS1_3gpuE8ELNS1_3repE0EEENS1_30default_config_static_selectorELNS0_4arch9wavefront6targetE1EEEvT1_
		.amdhsa_group_segment_fixed_size 10240
		.amdhsa_private_segment_fixed_size 0
		.amdhsa_kernarg_size 104
		.amdhsa_user_sgpr_count 6
		.amdhsa_user_sgpr_private_segment_buffer 1
		.amdhsa_user_sgpr_dispatch_ptr 0
		.amdhsa_user_sgpr_queue_ptr 0
		.amdhsa_user_sgpr_kernarg_segment_ptr 1
		.amdhsa_user_sgpr_dispatch_id 0
		.amdhsa_user_sgpr_flat_scratch_init 0
		.amdhsa_user_sgpr_kernarg_preload_length 0
		.amdhsa_user_sgpr_kernarg_preload_offset 0
		.amdhsa_user_sgpr_private_segment_size 0
		.amdhsa_uses_dynamic_stack 0
		.amdhsa_system_sgpr_private_segment_wavefront_offset 0
		.amdhsa_system_sgpr_workgroup_id_x 1
		.amdhsa_system_sgpr_workgroup_id_y 0
		.amdhsa_system_sgpr_workgroup_id_z 0
		.amdhsa_system_sgpr_workgroup_info 0
		.amdhsa_system_vgpr_workitem_id 0
		.amdhsa_next_free_vgpr 68
		.amdhsa_next_free_sgpr 32
		.amdhsa_accum_offset 68
		.amdhsa_reserve_vcc 1
		.amdhsa_reserve_flat_scratch 0
		.amdhsa_float_round_mode_32 0
		.amdhsa_float_round_mode_16_64 0
		.amdhsa_float_denorm_mode_32 3
		.amdhsa_float_denorm_mode_16_64 3
		.amdhsa_dx10_clamp 1
		.amdhsa_ieee_mode 1
		.amdhsa_fp16_overflow 0
		.amdhsa_tg_split 0
		.amdhsa_exception_fp_ieee_invalid_op 0
		.amdhsa_exception_fp_denorm_src 0
		.amdhsa_exception_fp_ieee_div_zero 0
		.amdhsa_exception_fp_ieee_overflow 0
		.amdhsa_exception_fp_ieee_underflow 0
		.amdhsa_exception_fp_ieee_inexact 0
		.amdhsa_exception_int_div_zero 0
	.end_amdhsa_kernel
	.section	.text._ZN7rocprim17ROCPRIM_400000_NS6detail17trampoline_kernelINS0_14default_configENS1_20scan_config_selectorIdEEZZNS1_9scan_implILNS1_25lookback_scan_determinismE0ELb1ELb1ES3_N6thrust23THRUST_200600_302600_NS6detail15normal_iteratorINS9_10device_ptrIdEEEESE_dNS9_4plusIvEEdEEDaPvRmT3_T4_T5_mT6_P12ihipStream_tbENKUlT_T0_E_clISt17integral_constantIbLb0EESU_EEDaSP_SQ_EUlSP_E_NS1_11comp_targetILNS1_3genE4ELNS1_11target_archE910ELNS1_3gpuE8ELNS1_3repE0EEENS1_30default_config_static_selectorELNS0_4arch9wavefront6targetE1EEEvT1_,"axG",@progbits,_ZN7rocprim17ROCPRIM_400000_NS6detail17trampoline_kernelINS0_14default_configENS1_20scan_config_selectorIdEEZZNS1_9scan_implILNS1_25lookback_scan_determinismE0ELb1ELb1ES3_N6thrust23THRUST_200600_302600_NS6detail15normal_iteratorINS9_10device_ptrIdEEEESE_dNS9_4plusIvEEdEEDaPvRmT3_T4_T5_mT6_P12ihipStream_tbENKUlT_T0_E_clISt17integral_constantIbLb0EESU_EEDaSP_SQ_EUlSP_E_NS1_11comp_targetILNS1_3genE4ELNS1_11target_archE910ELNS1_3gpuE8ELNS1_3repE0EEENS1_30default_config_static_selectorELNS0_4arch9wavefront6targetE1EEEvT1_,comdat
.Lfunc_end4216:
	.size	_ZN7rocprim17ROCPRIM_400000_NS6detail17trampoline_kernelINS0_14default_configENS1_20scan_config_selectorIdEEZZNS1_9scan_implILNS1_25lookback_scan_determinismE0ELb1ELb1ES3_N6thrust23THRUST_200600_302600_NS6detail15normal_iteratorINS9_10device_ptrIdEEEESE_dNS9_4plusIvEEdEEDaPvRmT3_T4_T5_mT6_P12ihipStream_tbENKUlT_T0_E_clISt17integral_constantIbLb0EESU_EEDaSP_SQ_EUlSP_E_NS1_11comp_targetILNS1_3genE4ELNS1_11target_archE910ELNS1_3gpuE8ELNS1_3repE0EEENS1_30default_config_static_selectorELNS0_4arch9wavefront6targetE1EEEvT1_, .Lfunc_end4216-_ZN7rocprim17ROCPRIM_400000_NS6detail17trampoline_kernelINS0_14default_configENS1_20scan_config_selectorIdEEZZNS1_9scan_implILNS1_25lookback_scan_determinismE0ELb1ELb1ES3_N6thrust23THRUST_200600_302600_NS6detail15normal_iteratorINS9_10device_ptrIdEEEESE_dNS9_4plusIvEEdEEDaPvRmT3_T4_T5_mT6_P12ihipStream_tbENKUlT_T0_E_clISt17integral_constantIbLb0EESU_EEDaSP_SQ_EUlSP_E_NS1_11comp_targetILNS1_3genE4ELNS1_11target_archE910ELNS1_3gpuE8ELNS1_3repE0EEENS1_30default_config_static_selectorELNS0_4arch9wavefront6targetE1EEEvT1_
                                        ; -- End function
	.section	.AMDGPU.csdata,"",@progbits
; Kernel info:
; codeLenInByte = 5992
; NumSgprs: 36
; NumVgprs: 68
; NumAgprs: 0
; TotalNumVgprs: 68
; ScratchSize: 0
; MemoryBound: 0
; FloatMode: 240
; IeeeMode: 1
; LDSByteSize: 10240 bytes/workgroup (compile time only)
; SGPRBlocks: 4
; VGPRBlocks: 8
; NumSGPRsForWavesPerEU: 36
; NumVGPRsForWavesPerEU: 68
; AccumOffset: 68
; Occupancy: 3
; WaveLimiterHint : 1
; COMPUTE_PGM_RSRC2:SCRATCH_EN: 0
; COMPUTE_PGM_RSRC2:USER_SGPR: 6
; COMPUTE_PGM_RSRC2:TRAP_HANDLER: 0
; COMPUTE_PGM_RSRC2:TGID_X_EN: 1
; COMPUTE_PGM_RSRC2:TGID_Y_EN: 0
; COMPUTE_PGM_RSRC2:TGID_Z_EN: 0
; COMPUTE_PGM_RSRC2:TIDIG_COMP_CNT: 0
; COMPUTE_PGM_RSRC3_GFX90A:ACCUM_OFFSET: 16
; COMPUTE_PGM_RSRC3_GFX90A:TG_SPLIT: 0
	.section	.text._ZN7rocprim17ROCPRIM_400000_NS6detail17trampoline_kernelINS0_14default_configENS1_20scan_config_selectorIdEEZZNS1_9scan_implILNS1_25lookback_scan_determinismE0ELb1ELb1ES3_N6thrust23THRUST_200600_302600_NS6detail15normal_iteratorINS9_10device_ptrIdEEEESE_dNS9_4plusIvEEdEEDaPvRmT3_T4_T5_mT6_P12ihipStream_tbENKUlT_T0_E_clISt17integral_constantIbLb0EESU_EEDaSP_SQ_EUlSP_E_NS1_11comp_targetILNS1_3genE3ELNS1_11target_archE908ELNS1_3gpuE7ELNS1_3repE0EEENS1_30default_config_static_selectorELNS0_4arch9wavefront6targetE1EEEvT1_,"axG",@progbits,_ZN7rocprim17ROCPRIM_400000_NS6detail17trampoline_kernelINS0_14default_configENS1_20scan_config_selectorIdEEZZNS1_9scan_implILNS1_25lookback_scan_determinismE0ELb1ELb1ES3_N6thrust23THRUST_200600_302600_NS6detail15normal_iteratorINS9_10device_ptrIdEEEESE_dNS9_4plusIvEEdEEDaPvRmT3_T4_T5_mT6_P12ihipStream_tbENKUlT_T0_E_clISt17integral_constantIbLb0EESU_EEDaSP_SQ_EUlSP_E_NS1_11comp_targetILNS1_3genE3ELNS1_11target_archE908ELNS1_3gpuE7ELNS1_3repE0EEENS1_30default_config_static_selectorELNS0_4arch9wavefront6targetE1EEEvT1_,comdat
	.protected	_ZN7rocprim17ROCPRIM_400000_NS6detail17trampoline_kernelINS0_14default_configENS1_20scan_config_selectorIdEEZZNS1_9scan_implILNS1_25lookback_scan_determinismE0ELb1ELb1ES3_N6thrust23THRUST_200600_302600_NS6detail15normal_iteratorINS9_10device_ptrIdEEEESE_dNS9_4plusIvEEdEEDaPvRmT3_T4_T5_mT6_P12ihipStream_tbENKUlT_T0_E_clISt17integral_constantIbLb0EESU_EEDaSP_SQ_EUlSP_E_NS1_11comp_targetILNS1_3genE3ELNS1_11target_archE908ELNS1_3gpuE7ELNS1_3repE0EEENS1_30default_config_static_selectorELNS0_4arch9wavefront6targetE1EEEvT1_ ; -- Begin function _ZN7rocprim17ROCPRIM_400000_NS6detail17trampoline_kernelINS0_14default_configENS1_20scan_config_selectorIdEEZZNS1_9scan_implILNS1_25lookback_scan_determinismE0ELb1ELb1ES3_N6thrust23THRUST_200600_302600_NS6detail15normal_iteratorINS9_10device_ptrIdEEEESE_dNS9_4plusIvEEdEEDaPvRmT3_T4_T5_mT6_P12ihipStream_tbENKUlT_T0_E_clISt17integral_constantIbLb0EESU_EEDaSP_SQ_EUlSP_E_NS1_11comp_targetILNS1_3genE3ELNS1_11target_archE908ELNS1_3gpuE7ELNS1_3repE0EEENS1_30default_config_static_selectorELNS0_4arch9wavefront6targetE1EEEvT1_
	.globl	_ZN7rocprim17ROCPRIM_400000_NS6detail17trampoline_kernelINS0_14default_configENS1_20scan_config_selectorIdEEZZNS1_9scan_implILNS1_25lookback_scan_determinismE0ELb1ELb1ES3_N6thrust23THRUST_200600_302600_NS6detail15normal_iteratorINS9_10device_ptrIdEEEESE_dNS9_4plusIvEEdEEDaPvRmT3_T4_T5_mT6_P12ihipStream_tbENKUlT_T0_E_clISt17integral_constantIbLb0EESU_EEDaSP_SQ_EUlSP_E_NS1_11comp_targetILNS1_3genE3ELNS1_11target_archE908ELNS1_3gpuE7ELNS1_3repE0EEENS1_30default_config_static_selectorELNS0_4arch9wavefront6targetE1EEEvT1_
	.p2align	8
	.type	_ZN7rocprim17ROCPRIM_400000_NS6detail17trampoline_kernelINS0_14default_configENS1_20scan_config_selectorIdEEZZNS1_9scan_implILNS1_25lookback_scan_determinismE0ELb1ELb1ES3_N6thrust23THRUST_200600_302600_NS6detail15normal_iteratorINS9_10device_ptrIdEEEESE_dNS9_4plusIvEEdEEDaPvRmT3_T4_T5_mT6_P12ihipStream_tbENKUlT_T0_E_clISt17integral_constantIbLb0EESU_EEDaSP_SQ_EUlSP_E_NS1_11comp_targetILNS1_3genE3ELNS1_11target_archE908ELNS1_3gpuE7ELNS1_3repE0EEENS1_30default_config_static_selectorELNS0_4arch9wavefront6targetE1EEEvT1_,@function
_ZN7rocprim17ROCPRIM_400000_NS6detail17trampoline_kernelINS0_14default_configENS1_20scan_config_selectorIdEEZZNS1_9scan_implILNS1_25lookback_scan_determinismE0ELb1ELb1ES3_N6thrust23THRUST_200600_302600_NS6detail15normal_iteratorINS9_10device_ptrIdEEEESE_dNS9_4plusIvEEdEEDaPvRmT3_T4_T5_mT6_P12ihipStream_tbENKUlT_T0_E_clISt17integral_constantIbLb0EESU_EEDaSP_SQ_EUlSP_E_NS1_11comp_targetILNS1_3genE3ELNS1_11target_archE908ELNS1_3gpuE7ELNS1_3repE0EEENS1_30default_config_static_selectorELNS0_4arch9wavefront6targetE1EEEvT1_: ; @_ZN7rocprim17ROCPRIM_400000_NS6detail17trampoline_kernelINS0_14default_configENS1_20scan_config_selectorIdEEZZNS1_9scan_implILNS1_25lookback_scan_determinismE0ELb1ELb1ES3_N6thrust23THRUST_200600_302600_NS6detail15normal_iteratorINS9_10device_ptrIdEEEESE_dNS9_4plusIvEEdEEDaPvRmT3_T4_T5_mT6_P12ihipStream_tbENKUlT_T0_E_clISt17integral_constantIbLb0EESU_EEDaSP_SQ_EUlSP_E_NS1_11comp_targetILNS1_3genE3ELNS1_11target_archE908ELNS1_3gpuE7ELNS1_3repE0EEENS1_30default_config_static_selectorELNS0_4arch9wavefront6targetE1EEEvT1_
; %bb.0:
	.section	.rodata,"a",@progbits
	.p2align	6, 0x0
	.amdhsa_kernel _ZN7rocprim17ROCPRIM_400000_NS6detail17trampoline_kernelINS0_14default_configENS1_20scan_config_selectorIdEEZZNS1_9scan_implILNS1_25lookback_scan_determinismE0ELb1ELb1ES3_N6thrust23THRUST_200600_302600_NS6detail15normal_iteratorINS9_10device_ptrIdEEEESE_dNS9_4plusIvEEdEEDaPvRmT3_T4_T5_mT6_P12ihipStream_tbENKUlT_T0_E_clISt17integral_constantIbLb0EESU_EEDaSP_SQ_EUlSP_E_NS1_11comp_targetILNS1_3genE3ELNS1_11target_archE908ELNS1_3gpuE7ELNS1_3repE0EEENS1_30default_config_static_selectorELNS0_4arch9wavefront6targetE1EEEvT1_
		.amdhsa_group_segment_fixed_size 0
		.amdhsa_private_segment_fixed_size 0
		.amdhsa_kernarg_size 104
		.amdhsa_user_sgpr_count 6
		.amdhsa_user_sgpr_private_segment_buffer 1
		.amdhsa_user_sgpr_dispatch_ptr 0
		.amdhsa_user_sgpr_queue_ptr 0
		.amdhsa_user_sgpr_kernarg_segment_ptr 1
		.amdhsa_user_sgpr_dispatch_id 0
		.amdhsa_user_sgpr_flat_scratch_init 0
		.amdhsa_user_sgpr_kernarg_preload_length 0
		.amdhsa_user_sgpr_kernarg_preload_offset 0
		.amdhsa_user_sgpr_private_segment_size 0
		.amdhsa_uses_dynamic_stack 0
		.amdhsa_system_sgpr_private_segment_wavefront_offset 0
		.amdhsa_system_sgpr_workgroup_id_x 1
		.amdhsa_system_sgpr_workgroup_id_y 0
		.amdhsa_system_sgpr_workgroup_id_z 0
		.amdhsa_system_sgpr_workgroup_info 0
		.amdhsa_system_vgpr_workitem_id 0
		.amdhsa_next_free_vgpr 1
		.amdhsa_next_free_sgpr 0
		.amdhsa_accum_offset 4
		.amdhsa_reserve_vcc 0
		.amdhsa_reserve_flat_scratch 0
		.amdhsa_float_round_mode_32 0
		.amdhsa_float_round_mode_16_64 0
		.amdhsa_float_denorm_mode_32 3
		.amdhsa_float_denorm_mode_16_64 3
		.amdhsa_dx10_clamp 1
		.amdhsa_ieee_mode 1
		.amdhsa_fp16_overflow 0
		.amdhsa_tg_split 0
		.amdhsa_exception_fp_ieee_invalid_op 0
		.amdhsa_exception_fp_denorm_src 0
		.amdhsa_exception_fp_ieee_div_zero 0
		.amdhsa_exception_fp_ieee_overflow 0
		.amdhsa_exception_fp_ieee_underflow 0
		.amdhsa_exception_fp_ieee_inexact 0
		.amdhsa_exception_int_div_zero 0
	.end_amdhsa_kernel
	.section	.text._ZN7rocprim17ROCPRIM_400000_NS6detail17trampoline_kernelINS0_14default_configENS1_20scan_config_selectorIdEEZZNS1_9scan_implILNS1_25lookback_scan_determinismE0ELb1ELb1ES3_N6thrust23THRUST_200600_302600_NS6detail15normal_iteratorINS9_10device_ptrIdEEEESE_dNS9_4plusIvEEdEEDaPvRmT3_T4_T5_mT6_P12ihipStream_tbENKUlT_T0_E_clISt17integral_constantIbLb0EESU_EEDaSP_SQ_EUlSP_E_NS1_11comp_targetILNS1_3genE3ELNS1_11target_archE908ELNS1_3gpuE7ELNS1_3repE0EEENS1_30default_config_static_selectorELNS0_4arch9wavefront6targetE1EEEvT1_,"axG",@progbits,_ZN7rocprim17ROCPRIM_400000_NS6detail17trampoline_kernelINS0_14default_configENS1_20scan_config_selectorIdEEZZNS1_9scan_implILNS1_25lookback_scan_determinismE0ELb1ELb1ES3_N6thrust23THRUST_200600_302600_NS6detail15normal_iteratorINS9_10device_ptrIdEEEESE_dNS9_4plusIvEEdEEDaPvRmT3_T4_T5_mT6_P12ihipStream_tbENKUlT_T0_E_clISt17integral_constantIbLb0EESU_EEDaSP_SQ_EUlSP_E_NS1_11comp_targetILNS1_3genE3ELNS1_11target_archE908ELNS1_3gpuE7ELNS1_3repE0EEENS1_30default_config_static_selectorELNS0_4arch9wavefront6targetE1EEEvT1_,comdat
.Lfunc_end4217:
	.size	_ZN7rocprim17ROCPRIM_400000_NS6detail17trampoline_kernelINS0_14default_configENS1_20scan_config_selectorIdEEZZNS1_9scan_implILNS1_25lookback_scan_determinismE0ELb1ELb1ES3_N6thrust23THRUST_200600_302600_NS6detail15normal_iteratorINS9_10device_ptrIdEEEESE_dNS9_4plusIvEEdEEDaPvRmT3_T4_T5_mT6_P12ihipStream_tbENKUlT_T0_E_clISt17integral_constantIbLb0EESU_EEDaSP_SQ_EUlSP_E_NS1_11comp_targetILNS1_3genE3ELNS1_11target_archE908ELNS1_3gpuE7ELNS1_3repE0EEENS1_30default_config_static_selectorELNS0_4arch9wavefront6targetE1EEEvT1_, .Lfunc_end4217-_ZN7rocprim17ROCPRIM_400000_NS6detail17trampoline_kernelINS0_14default_configENS1_20scan_config_selectorIdEEZZNS1_9scan_implILNS1_25lookback_scan_determinismE0ELb1ELb1ES3_N6thrust23THRUST_200600_302600_NS6detail15normal_iteratorINS9_10device_ptrIdEEEESE_dNS9_4plusIvEEdEEDaPvRmT3_T4_T5_mT6_P12ihipStream_tbENKUlT_T0_E_clISt17integral_constantIbLb0EESU_EEDaSP_SQ_EUlSP_E_NS1_11comp_targetILNS1_3genE3ELNS1_11target_archE908ELNS1_3gpuE7ELNS1_3repE0EEENS1_30default_config_static_selectorELNS0_4arch9wavefront6targetE1EEEvT1_
                                        ; -- End function
	.section	.AMDGPU.csdata,"",@progbits
; Kernel info:
; codeLenInByte = 0
; NumSgprs: 4
; NumVgprs: 0
; NumAgprs: 0
; TotalNumVgprs: 0
; ScratchSize: 0
; MemoryBound: 0
; FloatMode: 240
; IeeeMode: 1
; LDSByteSize: 0 bytes/workgroup (compile time only)
; SGPRBlocks: 0
; VGPRBlocks: 0
; NumSGPRsForWavesPerEU: 4
; NumVGPRsForWavesPerEU: 1
; AccumOffset: 4
; Occupancy: 8
; WaveLimiterHint : 0
; COMPUTE_PGM_RSRC2:SCRATCH_EN: 0
; COMPUTE_PGM_RSRC2:USER_SGPR: 6
; COMPUTE_PGM_RSRC2:TRAP_HANDLER: 0
; COMPUTE_PGM_RSRC2:TGID_X_EN: 1
; COMPUTE_PGM_RSRC2:TGID_Y_EN: 0
; COMPUTE_PGM_RSRC2:TGID_Z_EN: 0
; COMPUTE_PGM_RSRC2:TIDIG_COMP_CNT: 0
; COMPUTE_PGM_RSRC3_GFX90A:ACCUM_OFFSET: 0
; COMPUTE_PGM_RSRC3_GFX90A:TG_SPLIT: 0
	.section	.text._ZN7rocprim17ROCPRIM_400000_NS6detail17trampoline_kernelINS0_14default_configENS1_20scan_config_selectorIdEEZZNS1_9scan_implILNS1_25lookback_scan_determinismE0ELb1ELb1ES3_N6thrust23THRUST_200600_302600_NS6detail15normal_iteratorINS9_10device_ptrIdEEEESE_dNS9_4plusIvEEdEEDaPvRmT3_T4_T5_mT6_P12ihipStream_tbENKUlT_T0_E_clISt17integral_constantIbLb0EESU_EEDaSP_SQ_EUlSP_E_NS1_11comp_targetILNS1_3genE2ELNS1_11target_archE906ELNS1_3gpuE6ELNS1_3repE0EEENS1_30default_config_static_selectorELNS0_4arch9wavefront6targetE1EEEvT1_,"axG",@progbits,_ZN7rocprim17ROCPRIM_400000_NS6detail17trampoline_kernelINS0_14default_configENS1_20scan_config_selectorIdEEZZNS1_9scan_implILNS1_25lookback_scan_determinismE0ELb1ELb1ES3_N6thrust23THRUST_200600_302600_NS6detail15normal_iteratorINS9_10device_ptrIdEEEESE_dNS9_4plusIvEEdEEDaPvRmT3_T4_T5_mT6_P12ihipStream_tbENKUlT_T0_E_clISt17integral_constantIbLb0EESU_EEDaSP_SQ_EUlSP_E_NS1_11comp_targetILNS1_3genE2ELNS1_11target_archE906ELNS1_3gpuE6ELNS1_3repE0EEENS1_30default_config_static_selectorELNS0_4arch9wavefront6targetE1EEEvT1_,comdat
	.protected	_ZN7rocprim17ROCPRIM_400000_NS6detail17trampoline_kernelINS0_14default_configENS1_20scan_config_selectorIdEEZZNS1_9scan_implILNS1_25lookback_scan_determinismE0ELb1ELb1ES3_N6thrust23THRUST_200600_302600_NS6detail15normal_iteratorINS9_10device_ptrIdEEEESE_dNS9_4plusIvEEdEEDaPvRmT3_T4_T5_mT6_P12ihipStream_tbENKUlT_T0_E_clISt17integral_constantIbLb0EESU_EEDaSP_SQ_EUlSP_E_NS1_11comp_targetILNS1_3genE2ELNS1_11target_archE906ELNS1_3gpuE6ELNS1_3repE0EEENS1_30default_config_static_selectorELNS0_4arch9wavefront6targetE1EEEvT1_ ; -- Begin function _ZN7rocprim17ROCPRIM_400000_NS6detail17trampoline_kernelINS0_14default_configENS1_20scan_config_selectorIdEEZZNS1_9scan_implILNS1_25lookback_scan_determinismE0ELb1ELb1ES3_N6thrust23THRUST_200600_302600_NS6detail15normal_iteratorINS9_10device_ptrIdEEEESE_dNS9_4plusIvEEdEEDaPvRmT3_T4_T5_mT6_P12ihipStream_tbENKUlT_T0_E_clISt17integral_constantIbLb0EESU_EEDaSP_SQ_EUlSP_E_NS1_11comp_targetILNS1_3genE2ELNS1_11target_archE906ELNS1_3gpuE6ELNS1_3repE0EEENS1_30default_config_static_selectorELNS0_4arch9wavefront6targetE1EEEvT1_
	.globl	_ZN7rocprim17ROCPRIM_400000_NS6detail17trampoline_kernelINS0_14default_configENS1_20scan_config_selectorIdEEZZNS1_9scan_implILNS1_25lookback_scan_determinismE0ELb1ELb1ES3_N6thrust23THRUST_200600_302600_NS6detail15normal_iteratorINS9_10device_ptrIdEEEESE_dNS9_4plusIvEEdEEDaPvRmT3_T4_T5_mT6_P12ihipStream_tbENKUlT_T0_E_clISt17integral_constantIbLb0EESU_EEDaSP_SQ_EUlSP_E_NS1_11comp_targetILNS1_3genE2ELNS1_11target_archE906ELNS1_3gpuE6ELNS1_3repE0EEENS1_30default_config_static_selectorELNS0_4arch9wavefront6targetE1EEEvT1_
	.p2align	8
	.type	_ZN7rocprim17ROCPRIM_400000_NS6detail17trampoline_kernelINS0_14default_configENS1_20scan_config_selectorIdEEZZNS1_9scan_implILNS1_25lookback_scan_determinismE0ELb1ELb1ES3_N6thrust23THRUST_200600_302600_NS6detail15normal_iteratorINS9_10device_ptrIdEEEESE_dNS9_4plusIvEEdEEDaPvRmT3_T4_T5_mT6_P12ihipStream_tbENKUlT_T0_E_clISt17integral_constantIbLb0EESU_EEDaSP_SQ_EUlSP_E_NS1_11comp_targetILNS1_3genE2ELNS1_11target_archE906ELNS1_3gpuE6ELNS1_3repE0EEENS1_30default_config_static_selectorELNS0_4arch9wavefront6targetE1EEEvT1_,@function
_ZN7rocprim17ROCPRIM_400000_NS6detail17trampoline_kernelINS0_14default_configENS1_20scan_config_selectorIdEEZZNS1_9scan_implILNS1_25lookback_scan_determinismE0ELb1ELb1ES3_N6thrust23THRUST_200600_302600_NS6detail15normal_iteratorINS9_10device_ptrIdEEEESE_dNS9_4plusIvEEdEEDaPvRmT3_T4_T5_mT6_P12ihipStream_tbENKUlT_T0_E_clISt17integral_constantIbLb0EESU_EEDaSP_SQ_EUlSP_E_NS1_11comp_targetILNS1_3genE2ELNS1_11target_archE906ELNS1_3gpuE6ELNS1_3repE0EEENS1_30default_config_static_selectorELNS0_4arch9wavefront6targetE1EEEvT1_: ; @_ZN7rocprim17ROCPRIM_400000_NS6detail17trampoline_kernelINS0_14default_configENS1_20scan_config_selectorIdEEZZNS1_9scan_implILNS1_25lookback_scan_determinismE0ELb1ELb1ES3_N6thrust23THRUST_200600_302600_NS6detail15normal_iteratorINS9_10device_ptrIdEEEESE_dNS9_4plusIvEEdEEDaPvRmT3_T4_T5_mT6_P12ihipStream_tbENKUlT_T0_E_clISt17integral_constantIbLb0EESU_EEDaSP_SQ_EUlSP_E_NS1_11comp_targetILNS1_3genE2ELNS1_11target_archE906ELNS1_3gpuE6ELNS1_3repE0EEENS1_30default_config_static_selectorELNS0_4arch9wavefront6targetE1EEEvT1_
; %bb.0:
	.section	.rodata,"a",@progbits
	.p2align	6, 0x0
	.amdhsa_kernel _ZN7rocprim17ROCPRIM_400000_NS6detail17trampoline_kernelINS0_14default_configENS1_20scan_config_selectorIdEEZZNS1_9scan_implILNS1_25lookback_scan_determinismE0ELb1ELb1ES3_N6thrust23THRUST_200600_302600_NS6detail15normal_iteratorINS9_10device_ptrIdEEEESE_dNS9_4plusIvEEdEEDaPvRmT3_T4_T5_mT6_P12ihipStream_tbENKUlT_T0_E_clISt17integral_constantIbLb0EESU_EEDaSP_SQ_EUlSP_E_NS1_11comp_targetILNS1_3genE2ELNS1_11target_archE906ELNS1_3gpuE6ELNS1_3repE0EEENS1_30default_config_static_selectorELNS0_4arch9wavefront6targetE1EEEvT1_
		.amdhsa_group_segment_fixed_size 0
		.amdhsa_private_segment_fixed_size 0
		.amdhsa_kernarg_size 104
		.amdhsa_user_sgpr_count 6
		.amdhsa_user_sgpr_private_segment_buffer 1
		.amdhsa_user_sgpr_dispatch_ptr 0
		.amdhsa_user_sgpr_queue_ptr 0
		.amdhsa_user_sgpr_kernarg_segment_ptr 1
		.amdhsa_user_sgpr_dispatch_id 0
		.amdhsa_user_sgpr_flat_scratch_init 0
		.amdhsa_user_sgpr_kernarg_preload_length 0
		.amdhsa_user_sgpr_kernarg_preload_offset 0
		.amdhsa_user_sgpr_private_segment_size 0
		.amdhsa_uses_dynamic_stack 0
		.amdhsa_system_sgpr_private_segment_wavefront_offset 0
		.amdhsa_system_sgpr_workgroup_id_x 1
		.amdhsa_system_sgpr_workgroup_id_y 0
		.amdhsa_system_sgpr_workgroup_id_z 0
		.amdhsa_system_sgpr_workgroup_info 0
		.amdhsa_system_vgpr_workitem_id 0
		.amdhsa_next_free_vgpr 1
		.amdhsa_next_free_sgpr 0
		.amdhsa_accum_offset 4
		.amdhsa_reserve_vcc 0
		.amdhsa_reserve_flat_scratch 0
		.amdhsa_float_round_mode_32 0
		.amdhsa_float_round_mode_16_64 0
		.amdhsa_float_denorm_mode_32 3
		.amdhsa_float_denorm_mode_16_64 3
		.amdhsa_dx10_clamp 1
		.amdhsa_ieee_mode 1
		.amdhsa_fp16_overflow 0
		.amdhsa_tg_split 0
		.amdhsa_exception_fp_ieee_invalid_op 0
		.amdhsa_exception_fp_denorm_src 0
		.amdhsa_exception_fp_ieee_div_zero 0
		.amdhsa_exception_fp_ieee_overflow 0
		.amdhsa_exception_fp_ieee_underflow 0
		.amdhsa_exception_fp_ieee_inexact 0
		.amdhsa_exception_int_div_zero 0
	.end_amdhsa_kernel
	.section	.text._ZN7rocprim17ROCPRIM_400000_NS6detail17trampoline_kernelINS0_14default_configENS1_20scan_config_selectorIdEEZZNS1_9scan_implILNS1_25lookback_scan_determinismE0ELb1ELb1ES3_N6thrust23THRUST_200600_302600_NS6detail15normal_iteratorINS9_10device_ptrIdEEEESE_dNS9_4plusIvEEdEEDaPvRmT3_T4_T5_mT6_P12ihipStream_tbENKUlT_T0_E_clISt17integral_constantIbLb0EESU_EEDaSP_SQ_EUlSP_E_NS1_11comp_targetILNS1_3genE2ELNS1_11target_archE906ELNS1_3gpuE6ELNS1_3repE0EEENS1_30default_config_static_selectorELNS0_4arch9wavefront6targetE1EEEvT1_,"axG",@progbits,_ZN7rocprim17ROCPRIM_400000_NS6detail17trampoline_kernelINS0_14default_configENS1_20scan_config_selectorIdEEZZNS1_9scan_implILNS1_25lookback_scan_determinismE0ELb1ELb1ES3_N6thrust23THRUST_200600_302600_NS6detail15normal_iteratorINS9_10device_ptrIdEEEESE_dNS9_4plusIvEEdEEDaPvRmT3_T4_T5_mT6_P12ihipStream_tbENKUlT_T0_E_clISt17integral_constantIbLb0EESU_EEDaSP_SQ_EUlSP_E_NS1_11comp_targetILNS1_3genE2ELNS1_11target_archE906ELNS1_3gpuE6ELNS1_3repE0EEENS1_30default_config_static_selectorELNS0_4arch9wavefront6targetE1EEEvT1_,comdat
.Lfunc_end4218:
	.size	_ZN7rocprim17ROCPRIM_400000_NS6detail17trampoline_kernelINS0_14default_configENS1_20scan_config_selectorIdEEZZNS1_9scan_implILNS1_25lookback_scan_determinismE0ELb1ELb1ES3_N6thrust23THRUST_200600_302600_NS6detail15normal_iteratorINS9_10device_ptrIdEEEESE_dNS9_4plusIvEEdEEDaPvRmT3_T4_T5_mT6_P12ihipStream_tbENKUlT_T0_E_clISt17integral_constantIbLb0EESU_EEDaSP_SQ_EUlSP_E_NS1_11comp_targetILNS1_3genE2ELNS1_11target_archE906ELNS1_3gpuE6ELNS1_3repE0EEENS1_30default_config_static_selectorELNS0_4arch9wavefront6targetE1EEEvT1_, .Lfunc_end4218-_ZN7rocprim17ROCPRIM_400000_NS6detail17trampoline_kernelINS0_14default_configENS1_20scan_config_selectorIdEEZZNS1_9scan_implILNS1_25lookback_scan_determinismE0ELb1ELb1ES3_N6thrust23THRUST_200600_302600_NS6detail15normal_iteratorINS9_10device_ptrIdEEEESE_dNS9_4plusIvEEdEEDaPvRmT3_T4_T5_mT6_P12ihipStream_tbENKUlT_T0_E_clISt17integral_constantIbLb0EESU_EEDaSP_SQ_EUlSP_E_NS1_11comp_targetILNS1_3genE2ELNS1_11target_archE906ELNS1_3gpuE6ELNS1_3repE0EEENS1_30default_config_static_selectorELNS0_4arch9wavefront6targetE1EEEvT1_
                                        ; -- End function
	.section	.AMDGPU.csdata,"",@progbits
; Kernel info:
; codeLenInByte = 0
; NumSgprs: 4
; NumVgprs: 0
; NumAgprs: 0
; TotalNumVgprs: 0
; ScratchSize: 0
; MemoryBound: 0
; FloatMode: 240
; IeeeMode: 1
; LDSByteSize: 0 bytes/workgroup (compile time only)
; SGPRBlocks: 0
; VGPRBlocks: 0
; NumSGPRsForWavesPerEU: 4
; NumVGPRsForWavesPerEU: 1
; AccumOffset: 4
; Occupancy: 8
; WaveLimiterHint : 0
; COMPUTE_PGM_RSRC2:SCRATCH_EN: 0
; COMPUTE_PGM_RSRC2:USER_SGPR: 6
; COMPUTE_PGM_RSRC2:TRAP_HANDLER: 0
; COMPUTE_PGM_RSRC2:TGID_X_EN: 1
; COMPUTE_PGM_RSRC2:TGID_Y_EN: 0
; COMPUTE_PGM_RSRC2:TGID_Z_EN: 0
; COMPUTE_PGM_RSRC2:TIDIG_COMP_CNT: 0
; COMPUTE_PGM_RSRC3_GFX90A:ACCUM_OFFSET: 0
; COMPUTE_PGM_RSRC3_GFX90A:TG_SPLIT: 0
	.section	.text._ZN7rocprim17ROCPRIM_400000_NS6detail17trampoline_kernelINS0_14default_configENS1_20scan_config_selectorIdEEZZNS1_9scan_implILNS1_25lookback_scan_determinismE0ELb1ELb1ES3_N6thrust23THRUST_200600_302600_NS6detail15normal_iteratorINS9_10device_ptrIdEEEESE_dNS9_4plusIvEEdEEDaPvRmT3_T4_T5_mT6_P12ihipStream_tbENKUlT_T0_E_clISt17integral_constantIbLb0EESU_EEDaSP_SQ_EUlSP_E_NS1_11comp_targetILNS1_3genE10ELNS1_11target_archE1201ELNS1_3gpuE5ELNS1_3repE0EEENS1_30default_config_static_selectorELNS0_4arch9wavefront6targetE1EEEvT1_,"axG",@progbits,_ZN7rocprim17ROCPRIM_400000_NS6detail17trampoline_kernelINS0_14default_configENS1_20scan_config_selectorIdEEZZNS1_9scan_implILNS1_25lookback_scan_determinismE0ELb1ELb1ES3_N6thrust23THRUST_200600_302600_NS6detail15normal_iteratorINS9_10device_ptrIdEEEESE_dNS9_4plusIvEEdEEDaPvRmT3_T4_T5_mT6_P12ihipStream_tbENKUlT_T0_E_clISt17integral_constantIbLb0EESU_EEDaSP_SQ_EUlSP_E_NS1_11comp_targetILNS1_3genE10ELNS1_11target_archE1201ELNS1_3gpuE5ELNS1_3repE0EEENS1_30default_config_static_selectorELNS0_4arch9wavefront6targetE1EEEvT1_,comdat
	.protected	_ZN7rocprim17ROCPRIM_400000_NS6detail17trampoline_kernelINS0_14default_configENS1_20scan_config_selectorIdEEZZNS1_9scan_implILNS1_25lookback_scan_determinismE0ELb1ELb1ES3_N6thrust23THRUST_200600_302600_NS6detail15normal_iteratorINS9_10device_ptrIdEEEESE_dNS9_4plusIvEEdEEDaPvRmT3_T4_T5_mT6_P12ihipStream_tbENKUlT_T0_E_clISt17integral_constantIbLb0EESU_EEDaSP_SQ_EUlSP_E_NS1_11comp_targetILNS1_3genE10ELNS1_11target_archE1201ELNS1_3gpuE5ELNS1_3repE0EEENS1_30default_config_static_selectorELNS0_4arch9wavefront6targetE1EEEvT1_ ; -- Begin function _ZN7rocprim17ROCPRIM_400000_NS6detail17trampoline_kernelINS0_14default_configENS1_20scan_config_selectorIdEEZZNS1_9scan_implILNS1_25lookback_scan_determinismE0ELb1ELb1ES3_N6thrust23THRUST_200600_302600_NS6detail15normal_iteratorINS9_10device_ptrIdEEEESE_dNS9_4plusIvEEdEEDaPvRmT3_T4_T5_mT6_P12ihipStream_tbENKUlT_T0_E_clISt17integral_constantIbLb0EESU_EEDaSP_SQ_EUlSP_E_NS1_11comp_targetILNS1_3genE10ELNS1_11target_archE1201ELNS1_3gpuE5ELNS1_3repE0EEENS1_30default_config_static_selectorELNS0_4arch9wavefront6targetE1EEEvT1_
	.globl	_ZN7rocprim17ROCPRIM_400000_NS6detail17trampoline_kernelINS0_14default_configENS1_20scan_config_selectorIdEEZZNS1_9scan_implILNS1_25lookback_scan_determinismE0ELb1ELb1ES3_N6thrust23THRUST_200600_302600_NS6detail15normal_iteratorINS9_10device_ptrIdEEEESE_dNS9_4plusIvEEdEEDaPvRmT3_T4_T5_mT6_P12ihipStream_tbENKUlT_T0_E_clISt17integral_constantIbLb0EESU_EEDaSP_SQ_EUlSP_E_NS1_11comp_targetILNS1_3genE10ELNS1_11target_archE1201ELNS1_3gpuE5ELNS1_3repE0EEENS1_30default_config_static_selectorELNS0_4arch9wavefront6targetE1EEEvT1_
	.p2align	8
	.type	_ZN7rocprim17ROCPRIM_400000_NS6detail17trampoline_kernelINS0_14default_configENS1_20scan_config_selectorIdEEZZNS1_9scan_implILNS1_25lookback_scan_determinismE0ELb1ELb1ES3_N6thrust23THRUST_200600_302600_NS6detail15normal_iteratorINS9_10device_ptrIdEEEESE_dNS9_4plusIvEEdEEDaPvRmT3_T4_T5_mT6_P12ihipStream_tbENKUlT_T0_E_clISt17integral_constantIbLb0EESU_EEDaSP_SQ_EUlSP_E_NS1_11comp_targetILNS1_3genE10ELNS1_11target_archE1201ELNS1_3gpuE5ELNS1_3repE0EEENS1_30default_config_static_selectorELNS0_4arch9wavefront6targetE1EEEvT1_,@function
_ZN7rocprim17ROCPRIM_400000_NS6detail17trampoline_kernelINS0_14default_configENS1_20scan_config_selectorIdEEZZNS1_9scan_implILNS1_25lookback_scan_determinismE0ELb1ELb1ES3_N6thrust23THRUST_200600_302600_NS6detail15normal_iteratorINS9_10device_ptrIdEEEESE_dNS9_4plusIvEEdEEDaPvRmT3_T4_T5_mT6_P12ihipStream_tbENKUlT_T0_E_clISt17integral_constantIbLb0EESU_EEDaSP_SQ_EUlSP_E_NS1_11comp_targetILNS1_3genE10ELNS1_11target_archE1201ELNS1_3gpuE5ELNS1_3repE0EEENS1_30default_config_static_selectorELNS0_4arch9wavefront6targetE1EEEvT1_: ; @_ZN7rocprim17ROCPRIM_400000_NS6detail17trampoline_kernelINS0_14default_configENS1_20scan_config_selectorIdEEZZNS1_9scan_implILNS1_25lookback_scan_determinismE0ELb1ELb1ES3_N6thrust23THRUST_200600_302600_NS6detail15normal_iteratorINS9_10device_ptrIdEEEESE_dNS9_4plusIvEEdEEDaPvRmT3_T4_T5_mT6_P12ihipStream_tbENKUlT_T0_E_clISt17integral_constantIbLb0EESU_EEDaSP_SQ_EUlSP_E_NS1_11comp_targetILNS1_3genE10ELNS1_11target_archE1201ELNS1_3gpuE5ELNS1_3repE0EEENS1_30default_config_static_selectorELNS0_4arch9wavefront6targetE1EEEvT1_
; %bb.0:
	.section	.rodata,"a",@progbits
	.p2align	6, 0x0
	.amdhsa_kernel _ZN7rocprim17ROCPRIM_400000_NS6detail17trampoline_kernelINS0_14default_configENS1_20scan_config_selectorIdEEZZNS1_9scan_implILNS1_25lookback_scan_determinismE0ELb1ELb1ES3_N6thrust23THRUST_200600_302600_NS6detail15normal_iteratorINS9_10device_ptrIdEEEESE_dNS9_4plusIvEEdEEDaPvRmT3_T4_T5_mT6_P12ihipStream_tbENKUlT_T0_E_clISt17integral_constantIbLb0EESU_EEDaSP_SQ_EUlSP_E_NS1_11comp_targetILNS1_3genE10ELNS1_11target_archE1201ELNS1_3gpuE5ELNS1_3repE0EEENS1_30default_config_static_selectorELNS0_4arch9wavefront6targetE1EEEvT1_
		.amdhsa_group_segment_fixed_size 0
		.amdhsa_private_segment_fixed_size 0
		.amdhsa_kernarg_size 104
		.amdhsa_user_sgpr_count 6
		.amdhsa_user_sgpr_private_segment_buffer 1
		.amdhsa_user_sgpr_dispatch_ptr 0
		.amdhsa_user_sgpr_queue_ptr 0
		.amdhsa_user_sgpr_kernarg_segment_ptr 1
		.amdhsa_user_sgpr_dispatch_id 0
		.amdhsa_user_sgpr_flat_scratch_init 0
		.amdhsa_user_sgpr_kernarg_preload_length 0
		.amdhsa_user_sgpr_kernarg_preload_offset 0
		.amdhsa_user_sgpr_private_segment_size 0
		.amdhsa_uses_dynamic_stack 0
		.amdhsa_system_sgpr_private_segment_wavefront_offset 0
		.amdhsa_system_sgpr_workgroup_id_x 1
		.amdhsa_system_sgpr_workgroup_id_y 0
		.amdhsa_system_sgpr_workgroup_id_z 0
		.amdhsa_system_sgpr_workgroup_info 0
		.amdhsa_system_vgpr_workitem_id 0
		.amdhsa_next_free_vgpr 1
		.amdhsa_next_free_sgpr 0
		.amdhsa_accum_offset 4
		.amdhsa_reserve_vcc 0
		.amdhsa_reserve_flat_scratch 0
		.amdhsa_float_round_mode_32 0
		.amdhsa_float_round_mode_16_64 0
		.amdhsa_float_denorm_mode_32 3
		.amdhsa_float_denorm_mode_16_64 3
		.amdhsa_dx10_clamp 1
		.amdhsa_ieee_mode 1
		.amdhsa_fp16_overflow 0
		.amdhsa_tg_split 0
		.amdhsa_exception_fp_ieee_invalid_op 0
		.amdhsa_exception_fp_denorm_src 0
		.amdhsa_exception_fp_ieee_div_zero 0
		.amdhsa_exception_fp_ieee_overflow 0
		.amdhsa_exception_fp_ieee_underflow 0
		.amdhsa_exception_fp_ieee_inexact 0
		.amdhsa_exception_int_div_zero 0
	.end_amdhsa_kernel
	.section	.text._ZN7rocprim17ROCPRIM_400000_NS6detail17trampoline_kernelINS0_14default_configENS1_20scan_config_selectorIdEEZZNS1_9scan_implILNS1_25lookback_scan_determinismE0ELb1ELb1ES3_N6thrust23THRUST_200600_302600_NS6detail15normal_iteratorINS9_10device_ptrIdEEEESE_dNS9_4plusIvEEdEEDaPvRmT3_T4_T5_mT6_P12ihipStream_tbENKUlT_T0_E_clISt17integral_constantIbLb0EESU_EEDaSP_SQ_EUlSP_E_NS1_11comp_targetILNS1_3genE10ELNS1_11target_archE1201ELNS1_3gpuE5ELNS1_3repE0EEENS1_30default_config_static_selectorELNS0_4arch9wavefront6targetE1EEEvT1_,"axG",@progbits,_ZN7rocprim17ROCPRIM_400000_NS6detail17trampoline_kernelINS0_14default_configENS1_20scan_config_selectorIdEEZZNS1_9scan_implILNS1_25lookback_scan_determinismE0ELb1ELb1ES3_N6thrust23THRUST_200600_302600_NS6detail15normal_iteratorINS9_10device_ptrIdEEEESE_dNS9_4plusIvEEdEEDaPvRmT3_T4_T5_mT6_P12ihipStream_tbENKUlT_T0_E_clISt17integral_constantIbLb0EESU_EEDaSP_SQ_EUlSP_E_NS1_11comp_targetILNS1_3genE10ELNS1_11target_archE1201ELNS1_3gpuE5ELNS1_3repE0EEENS1_30default_config_static_selectorELNS0_4arch9wavefront6targetE1EEEvT1_,comdat
.Lfunc_end4219:
	.size	_ZN7rocprim17ROCPRIM_400000_NS6detail17trampoline_kernelINS0_14default_configENS1_20scan_config_selectorIdEEZZNS1_9scan_implILNS1_25lookback_scan_determinismE0ELb1ELb1ES3_N6thrust23THRUST_200600_302600_NS6detail15normal_iteratorINS9_10device_ptrIdEEEESE_dNS9_4plusIvEEdEEDaPvRmT3_T4_T5_mT6_P12ihipStream_tbENKUlT_T0_E_clISt17integral_constantIbLb0EESU_EEDaSP_SQ_EUlSP_E_NS1_11comp_targetILNS1_3genE10ELNS1_11target_archE1201ELNS1_3gpuE5ELNS1_3repE0EEENS1_30default_config_static_selectorELNS0_4arch9wavefront6targetE1EEEvT1_, .Lfunc_end4219-_ZN7rocprim17ROCPRIM_400000_NS6detail17trampoline_kernelINS0_14default_configENS1_20scan_config_selectorIdEEZZNS1_9scan_implILNS1_25lookback_scan_determinismE0ELb1ELb1ES3_N6thrust23THRUST_200600_302600_NS6detail15normal_iteratorINS9_10device_ptrIdEEEESE_dNS9_4plusIvEEdEEDaPvRmT3_T4_T5_mT6_P12ihipStream_tbENKUlT_T0_E_clISt17integral_constantIbLb0EESU_EEDaSP_SQ_EUlSP_E_NS1_11comp_targetILNS1_3genE10ELNS1_11target_archE1201ELNS1_3gpuE5ELNS1_3repE0EEENS1_30default_config_static_selectorELNS0_4arch9wavefront6targetE1EEEvT1_
                                        ; -- End function
	.section	.AMDGPU.csdata,"",@progbits
; Kernel info:
; codeLenInByte = 0
; NumSgprs: 4
; NumVgprs: 0
; NumAgprs: 0
; TotalNumVgprs: 0
; ScratchSize: 0
; MemoryBound: 0
; FloatMode: 240
; IeeeMode: 1
; LDSByteSize: 0 bytes/workgroup (compile time only)
; SGPRBlocks: 0
; VGPRBlocks: 0
; NumSGPRsForWavesPerEU: 4
; NumVGPRsForWavesPerEU: 1
; AccumOffset: 4
; Occupancy: 8
; WaveLimiterHint : 0
; COMPUTE_PGM_RSRC2:SCRATCH_EN: 0
; COMPUTE_PGM_RSRC2:USER_SGPR: 6
; COMPUTE_PGM_RSRC2:TRAP_HANDLER: 0
; COMPUTE_PGM_RSRC2:TGID_X_EN: 1
; COMPUTE_PGM_RSRC2:TGID_Y_EN: 0
; COMPUTE_PGM_RSRC2:TGID_Z_EN: 0
; COMPUTE_PGM_RSRC2:TIDIG_COMP_CNT: 0
; COMPUTE_PGM_RSRC3_GFX90A:ACCUM_OFFSET: 0
; COMPUTE_PGM_RSRC3_GFX90A:TG_SPLIT: 0
	.section	.text._ZN7rocprim17ROCPRIM_400000_NS6detail17trampoline_kernelINS0_14default_configENS1_20scan_config_selectorIdEEZZNS1_9scan_implILNS1_25lookback_scan_determinismE0ELb1ELb1ES3_N6thrust23THRUST_200600_302600_NS6detail15normal_iteratorINS9_10device_ptrIdEEEESE_dNS9_4plusIvEEdEEDaPvRmT3_T4_T5_mT6_P12ihipStream_tbENKUlT_T0_E_clISt17integral_constantIbLb0EESU_EEDaSP_SQ_EUlSP_E_NS1_11comp_targetILNS1_3genE10ELNS1_11target_archE1200ELNS1_3gpuE4ELNS1_3repE0EEENS1_30default_config_static_selectorELNS0_4arch9wavefront6targetE1EEEvT1_,"axG",@progbits,_ZN7rocprim17ROCPRIM_400000_NS6detail17trampoline_kernelINS0_14default_configENS1_20scan_config_selectorIdEEZZNS1_9scan_implILNS1_25lookback_scan_determinismE0ELb1ELb1ES3_N6thrust23THRUST_200600_302600_NS6detail15normal_iteratorINS9_10device_ptrIdEEEESE_dNS9_4plusIvEEdEEDaPvRmT3_T4_T5_mT6_P12ihipStream_tbENKUlT_T0_E_clISt17integral_constantIbLb0EESU_EEDaSP_SQ_EUlSP_E_NS1_11comp_targetILNS1_3genE10ELNS1_11target_archE1200ELNS1_3gpuE4ELNS1_3repE0EEENS1_30default_config_static_selectorELNS0_4arch9wavefront6targetE1EEEvT1_,comdat
	.protected	_ZN7rocprim17ROCPRIM_400000_NS6detail17trampoline_kernelINS0_14default_configENS1_20scan_config_selectorIdEEZZNS1_9scan_implILNS1_25lookback_scan_determinismE0ELb1ELb1ES3_N6thrust23THRUST_200600_302600_NS6detail15normal_iteratorINS9_10device_ptrIdEEEESE_dNS9_4plusIvEEdEEDaPvRmT3_T4_T5_mT6_P12ihipStream_tbENKUlT_T0_E_clISt17integral_constantIbLb0EESU_EEDaSP_SQ_EUlSP_E_NS1_11comp_targetILNS1_3genE10ELNS1_11target_archE1200ELNS1_3gpuE4ELNS1_3repE0EEENS1_30default_config_static_selectorELNS0_4arch9wavefront6targetE1EEEvT1_ ; -- Begin function _ZN7rocprim17ROCPRIM_400000_NS6detail17trampoline_kernelINS0_14default_configENS1_20scan_config_selectorIdEEZZNS1_9scan_implILNS1_25lookback_scan_determinismE0ELb1ELb1ES3_N6thrust23THRUST_200600_302600_NS6detail15normal_iteratorINS9_10device_ptrIdEEEESE_dNS9_4plusIvEEdEEDaPvRmT3_T4_T5_mT6_P12ihipStream_tbENKUlT_T0_E_clISt17integral_constantIbLb0EESU_EEDaSP_SQ_EUlSP_E_NS1_11comp_targetILNS1_3genE10ELNS1_11target_archE1200ELNS1_3gpuE4ELNS1_3repE0EEENS1_30default_config_static_selectorELNS0_4arch9wavefront6targetE1EEEvT1_
	.globl	_ZN7rocprim17ROCPRIM_400000_NS6detail17trampoline_kernelINS0_14default_configENS1_20scan_config_selectorIdEEZZNS1_9scan_implILNS1_25lookback_scan_determinismE0ELb1ELb1ES3_N6thrust23THRUST_200600_302600_NS6detail15normal_iteratorINS9_10device_ptrIdEEEESE_dNS9_4plusIvEEdEEDaPvRmT3_T4_T5_mT6_P12ihipStream_tbENKUlT_T0_E_clISt17integral_constantIbLb0EESU_EEDaSP_SQ_EUlSP_E_NS1_11comp_targetILNS1_3genE10ELNS1_11target_archE1200ELNS1_3gpuE4ELNS1_3repE0EEENS1_30default_config_static_selectorELNS0_4arch9wavefront6targetE1EEEvT1_
	.p2align	8
	.type	_ZN7rocprim17ROCPRIM_400000_NS6detail17trampoline_kernelINS0_14default_configENS1_20scan_config_selectorIdEEZZNS1_9scan_implILNS1_25lookback_scan_determinismE0ELb1ELb1ES3_N6thrust23THRUST_200600_302600_NS6detail15normal_iteratorINS9_10device_ptrIdEEEESE_dNS9_4plusIvEEdEEDaPvRmT3_T4_T5_mT6_P12ihipStream_tbENKUlT_T0_E_clISt17integral_constantIbLb0EESU_EEDaSP_SQ_EUlSP_E_NS1_11comp_targetILNS1_3genE10ELNS1_11target_archE1200ELNS1_3gpuE4ELNS1_3repE0EEENS1_30default_config_static_selectorELNS0_4arch9wavefront6targetE1EEEvT1_,@function
_ZN7rocprim17ROCPRIM_400000_NS6detail17trampoline_kernelINS0_14default_configENS1_20scan_config_selectorIdEEZZNS1_9scan_implILNS1_25lookback_scan_determinismE0ELb1ELb1ES3_N6thrust23THRUST_200600_302600_NS6detail15normal_iteratorINS9_10device_ptrIdEEEESE_dNS9_4plusIvEEdEEDaPvRmT3_T4_T5_mT6_P12ihipStream_tbENKUlT_T0_E_clISt17integral_constantIbLb0EESU_EEDaSP_SQ_EUlSP_E_NS1_11comp_targetILNS1_3genE10ELNS1_11target_archE1200ELNS1_3gpuE4ELNS1_3repE0EEENS1_30default_config_static_selectorELNS0_4arch9wavefront6targetE1EEEvT1_: ; @_ZN7rocprim17ROCPRIM_400000_NS6detail17trampoline_kernelINS0_14default_configENS1_20scan_config_selectorIdEEZZNS1_9scan_implILNS1_25lookback_scan_determinismE0ELb1ELb1ES3_N6thrust23THRUST_200600_302600_NS6detail15normal_iteratorINS9_10device_ptrIdEEEESE_dNS9_4plusIvEEdEEDaPvRmT3_T4_T5_mT6_P12ihipStream_tbENKUlT_T0_E_clISt17integral_constantIbLb0EESU_EEDaSP_SQ_EUlSP_E_NS1_11comp_targetILNS1_3genE10ELNS1_11target_archE1200ELNS1_3gpuE4ELNS1_3repE0EEENS1_30default_config_static_selectorELNS0_4arch9wavefront6targetE1EEEvT1_
; %bb.0:
	.section	.rodata,"a",@progbits
	.p2align	6, 0x0
	.amdhsa_kernel _ZN7rocprim17ROCPRIM_400000_NS6detail17trampoline_kernelINS0_14default_configENS1_20scan_config_selectorIdEEZZNS1_9scan_implILNS1_25lookback_scan_determinismE0ELb1ELb1ES3_N6thrust23THRUST_200600_302600_NS6detail15normal_iteratorINS9_10device_ptrIdEEEESE_dNS9_4plusIvEEdEEDaPvRmT3_T4_T5_mT6_P12ihipStream_tbENKUlT_T0_E_clISt17integral_constantIbLb0EESU_EEDaSP_SQ_EUlSP_E_NS1_11comp_targetILNS1_3genE10ELNS1_11target_archE1200ELNS1_3gpuE4ELNS1_3repE0EEENS1_30default_config_static_selectorELNS0_4arch9wavefront6targetE1EEEvT1_
		.amdhsa_group_segment_fixed_size 0
		.amdhsa_private_segment_fixed_size 0
		.amdhsa_kernarg_size 104
		.amdhsa_user_sgpr_count 6
		.amdhsa_user_sgpr_private_segment_buffer 1
		.amdhsa_user_sgpr_dispatch_ptr 0
		.amdhsa_user_sgpr_queue_ptr 0
		.amdhsa_user_sgpr_kernarg_segment_ptr 1
		.amdhsa_user_sgpr_dispatch_id 0
		.amdhsa_user_sgpr_flat_scratch_init 0
		.amdhsa_user_sgpr_kernarg_preload_length 0
		.amdhsa_user_sgpr_kernarg_preload_offset 0
		.amdhsa_user_sgpr_private_segment_size 0
		.amdhsa_uses_dynamic_stack 0
		.amdhsa_system_sgpr_private_segment_wavefront_offset 0
		.amdhsa_system_sgpr_workgroup_id_x 1
		.amdhsa_system_sgpr_workgroup_id_y 0
		.amdhsa_system_sgpr_workgroup_id_z 0
		.amdhsa_system_sgpr_workgroup_info 0
		.amdhsa_system_vgpr_workitem_id 0
		.amdhsa_next_free_vgpr 1
		.amdhsa_next_free_sgpr 0
		.amdhsa_accum_offset 4
		.amdhsa_reserve_vcc 0
		.amdhsa_reserve_flat_scratch 0
		.amdhsa_float_round_mode_32 0
		.amdhsa_float_round_mode_16_64 0
		.amdhsa_float_denorm_mode_32 3
		.amdhsa_float_denorm_mode_16_64 3
		.amdhsa_dx10_clamp 1
		.amdhsa_ieee_mode 1
		.amdhsa_fp16_overflow 0
		.amdhsa_tg_split 0
		.amdhsa_exception_fp_ieee_invalid_op 0
		.amdhsa_exception_fp_denorm_src 0
		.amdhsa_exception_fp_ieee_div_zero 0
		.amdhsa_exception_fp_ieee_overflow 0
		.amdhsa_exception_fp_ieee_underflow 0
		.amdhsa_exception_fp_ieee_inexact 0
		.amdhsa_exception_int_div_zero 0
	.end_amdhsa_kernel
	.section	.text._ZN7rocprim17ROCPRIM_400000_NS6detail17trampoline_kernelINS0_14default_configENS1_20scan_config_selectorIdEEZZNS1_9scan_implILNS1_25lookback_scan_determinismE0ELb1ELb1ES3_N6thrust23THRUST_200600_302600_NS6detail15normal_iteratorINS9_10device_ptrIdEEEESE_dNS9_4plusIvEEdEEDaPvRmT3_T4_T5_mT6_P12ihipStream_tbENKUlT_T0_E_clISt17integral_constantIbLb0EESU_EEDaSP_SQ_EUlSP_E_NS1_11comp_targetILNS1_3genE10ELNS1_11target_archE1200ELNS1_3gpuE4ELNS1_3repE0EEENS1_30default_config_static_selectorELNS0_4arch9wavefront6targetE1EEEvT1_,"axG",@progbits,_ZN7rocprim17ROCPRIM_400000_NS6detail17trampoline_kernelINS0_14default_configENS1_20scan_config_selectorIdEEZZNS1_9scan_implILNS1_25lookback_scan_determinismE0ELb1ELb1ES3_N6thrust23THRUST_200600_302600_NS6detail15normal_iteratorINS9_10device_ptrIdEEEESE_dNS9_4plusIvEEdEEDaPvRmT3_T4_T5_mT6_P12ihipStream_tbENKUlT_T0_E_clISt17integral_constantIbLb0EESU_EEDaSP_SQ_EUlSP_E_NS1_11comp_targetILNS1_3genE10ELNS1_11target_archE1200ELNS1_3gpuE4ELNS1_3repE0EEENS1_30default_config_static_selectorELNS0_4arch9wavefront6targetE1EEEvT1_,comdat
.Lfunc_end4220:
	.size	_ZN7rocprim17ROCPRIM_400000_NS6detail17trampoline_kernelINS0_14default_configENS1_20scan_config_selectorIdEEZZNS1_9scan_implILNS1_25lookback_scan_determinismE0ELb1ELb1ES3_N6thrust23THRUST_200600_302600_NS6detail15normal_iteratorINS9_10device_ptrIdEEEESE_dNS9_4plusIvEEdEEDaPvRmT3_T4_T5_mT6_P12ihipStream_tbENKUlT_T0_E_clISt17integral_constantIbLb0EESU_EEDaSP_SQ_EUlSP_E_NS1_11comp_targetILNS1_3genE10ELNS1_11target_archE1200ELNS1_3gpuE4ELNS1_3repE0EEENS1_30default_config_static_selectorELNS0_4arch9wavefront6targetE1EEEvT1_, .Lfunc_end4220-_ZN7rocprim17ROCPRIM_400000_NS6detail17trampoline_kernelINS0_14default_configENS1_20scan_config_selectorIdEEZZNS1_9scan_implILNS1_25lookback_scan_determinismE0ELb1ELb1ES3_N6thrust23THRUST_200600_302600_NS6detail15normal_iteratorINS9_10device_ptrIdEEEESE_dNS9_4plusIvEEdEEDaPvRmT3_T4_T5_mT6_P12ihipStream_tbENKUlT_T0_E_clISt17integral_constantIbLb0EESU_EEDaSP_SQ_EUlSP_E_NS1_11comp_targetILNS1_3genE10ELNS1_11target_archE1200ELNS1_3gpuE4ELNS1_3repE0EEENS1_30default_config_static_selectorELNS0_4arch9wavefront6targetE1EEEvT1_
                                        ; -- End function
	.section	.AMDGPU.csdata,"",@progbits
; Kernel info:
; codeLenInByte = 0
; NumSgprs: 4
; NumVgprs: 0
; NumAgprs: 0
; TotalNumVgprs: 0
; ScratchSize: 0
; MemoryBound: 0
; FloatMode: 240
; IeeeMode: 1
; LDSByteSize: 0 bytes/workgroup (compile time only)
; SGPRBlocks: 0
; VGPRBlocks: 0
; NumSGPRsForWavesPerEU: 4
; NumVGPRsForWavesPerEU: 1
; AccumOffset: 4
; Occupancy: 8
; WaveLimiterHint : 0
; COMPUTE_PGM_RSRC2:SCRATCH_EN: 0
; COMPUTE_PGM_RSRC2:USER_SGPR: 6
; COMPUTE_PGM_RSRC2:TRAP_HANDLER: 0
; COMPUTE_PGM_RSRC2:TGID_X_EN: 1
; COMPUTE_PGM_RSRC2:TGID_Y_EN: 0
; COMPUTE_PGM_RSRC2:TGID_Z_EN: 0
; COMPUTE_PGM_RSRC2:TIDIG_COMP_CNT: 0
; COMPUTE_PGM_RSRC3_GFX90A:ACCUM_OFFSET: 0
; COMPUTE_PGM_RSRC3_GFX90A:TG_SPLIT: 0
	.section	.text._ZN7rocprim17ROCPRIM_400000_NS6detail17trampoline_kernelINS0_14default_configENS1_20scan_config_selectorIdEEZZNS1_9scan_implILNS1_25lookback_scan_determinismE0ELb1ELb1ES3_N6thrust23THRUST_200600_302600_NS6detail15normal_iteratorINS9_10device_ptrIdEEEESE_dNS9_4plusIvEEdEEDaPvRmT3_T4_T5_mT6_P12ihipStream_tbENKUlT_T0_E_clISt17integral_constantIbLb0EESU_EEDaSP_SQ_EUlSP_E_NS1_11comp_targetILNS1_3genE9ELNS1_11target_archE1100ELNS1_3gpuE3ELNS1_3repE0EEENS1_30default_config_static_selectorELNS0_4arch9wavefront6targetE1EEEvT1_,"axG",@progbits,_ZN7rocprim17ROCPRIM_400000_NS6detail17trampoline_kernelINS0_14default_configENS1_20scan_config_selectorIdEEZZNS1_9scan_implILNS1_25lookback_scan_determinismE0ELb1ELb1ES3_N6thrust23THRUST_200600_302600_NS6detail15normal_iteratorINS9_10device_ptrIdEEEESE_dNS9_4plusIvEEdEEDaPvRmT3_T4_T5_mT6_P12ihipStream_tbENKUlT_T0_E_clISt17integral_constantIbLb0EESU_EEDaSP_SQ_EUlSP_E_NS1_11comp_targetILNS1_3genE9ELNS1_11target_archE1100ELNS1_3gpuE3ELNS1_3repE0EEENS1_30default_config_static_selectorELNS0_4arch9wavefront6targetE1EEEvT1_,comdat
	.protected	_ZN7rocprim17ROCPRIM_400000_NS6detail17trampoline_kernelINS0_14default_configENS1_20scan_config_selectorIdEEZZNS1_9scan_implILNS1_25lookback_scan_determinismE0ELb1ELb1ES3_N6thrust23THRUST_200600_302600_NS6detail15normal_iteratorINS9_10device_ptrIdEEEESE_dNS9_4plusIvEEdEEDaPvRmT3_T4_T5_mT6_P12ihipStream_tbENKUlT_T0_E_clISt17integral_constantIbLb0EESU_EEDaSP_SQ_EUlSP_E_NS1_11comp_targetILNS1_3genE9ELNS1_11target_archE1100ELNS1_3gpuE3ELNS1_3repE0EEENS1_30default_config_static_selectorELNS0_4arch9wavefront6targetE1EEEvT1_ ; -- Begin function _ZN7rocprim17ROCPRIM_400000_NS6detail17trampoline_kernelINS0_14default_configENS1_20scan_config_selectorIdEEZZNS1_9scan_implILNS1_25lookback_scan_determinismE0ELb1ELb1ES3_N6thrust23THRUST_200600_302600_NS6detail15normal_iteratorINS9_10device_ptrIdEEEESE_dNS9_4plusIvEEdEEDaPvRmT3_T4_T5_mT6_P12ihipStream_tbENKUlT_T0_E_clISt17integral_constantIbLb0EESU_EEDaSP_SQ_EUlSP_E_NS1_11comp_targetILNS1_3genE9ELNS1_11target_archE1100ELNS1_3gpuE3ELNS1_3repE0EEENS1_30default_config_static_selectorELNS0_4arch9wavefront6targetE1EEEvT1_
	.globl	_ZN7rocprim17ROCPRIM_400000_NS6detail17trampoline_kernelINS0_14default_configENS1_20scan_config_selectorIdEEZZNS1_9scan_implILNS1_25lookback_scan_determinismE0ELb1ELb1ES3_N6thrust23THRUST_200600_302600_NS6detail15normal_iteratorINS9_10device_ptrIdEEEESE_dNS9_4plusIvEEdEEDaPvRmT3_T4_T5_mT6_P12ihipStream_tbENKUlT_T0_E_clISt17integral_constantIbLb0EESU_EEDaSP_SQ_EUlSP_E_NS1_11comp_targetILNS1_3genE9ELNS1_11target_archE1100ELNS1_3gpuE3ELNS1_3repE0EEENS1_30default_config_static_selectorELNS0_4arch9wavefront6targetE1EEEvT1_
	.p2align	8
	.type	_ZN7rocprim17ROCPRIM_400000_NS6detail17trampoline_kernelINS0_14default_configENS1_20scan_config_selectorIdEEZZNS1_9scan_implILNS1_25lookback_scan_determinismE0ELb1ELb1ES3_N6thrust23THRUST_200600_302600_NS6detail15normal_iteratorINS9_10device_ptrIdEEEESE_dNS9_4plusIvEEdEEDaPvRmT3_T4_T5_mT6_P12ihipStream_tbENKUlT_T0_E_clISt17integral_constantIbLb0EESU_EEDaSP_SQ_EUlSP_E_NS1_11comp_targetILNS1_3genE9ELNS1_11target_archE1100ELNS1_3gpuE3ELNS1_3repE0EEENS1_30default_config_static_selectorELNS0_4arch9wavefront6targetE1EEEvT1_,@function
_ZN7rocprim17ROCPRIM_400000_NS6detail17trampoline_kernelINS0_14default_configENS1_20scan_config_selectorIdEEZZNS1_9scan_implILNS1_25lookback_scan_determinismE0ELb1ELb1ES3_N6thrust23THRUST_200600_302600_NS6detail15normal_iteratorINS9_10device_ptrIdEEEESE_dNS9_4plusIvEEdEEDaPvRmT3_T4_T5_mT6_P12ihipStream_tbENKUlT_T0_E_clISt17integral_constantIbLb0EESU_EEDaSP_SQ_EUlSP_E_NS1_11comp_targetILNS1_3genE9ELNS1_11target_archE1100ELNS1_3gpuE3ELNS1_3repE0EEENS1_30default_config_static_selectorELNS0_4arch9wavefront6targetE1EEEvT1_: ; @_ZN7rocprim17ROCPRIM_400000_NS6detail17trampoline_kernelINS0_14default_configENS1_20scan_config_selectorIdEEZZNS1_9scan_implILNS1_25lookback_scan_determinismE0ELb1ELb1ES3_N6thrust23THRUST_200600_302600_NS6detail15normal_iteratorINS9_10device_ptrIdEEEESE_dNS9_4plusIvEEdEEDaPvRmT3_T4_T5_mT6_P12ihipStream_tbENKUlT_T0_E_clISt17integral_constantIbLb0EESU_EEDaSP_SQ_EUlSP_E_NS1_11comp_targetILNS1_3genE9ELNS1_11target_archE1100ELNS1_3gpuE3ELNS1_3repE0EEENS1_30default_config_static_selectorELNS0_4arch9wavefront6targetE1EEEvT1_
; %bb.0:
	.section	.rodata,"a",@progbits
	.p2align	6, 0x0
	.amdhsa_kernel _ZN7rocprim17ROCPRIM_400000_NS6detail17trampoline_kernelINS0_14default_configENS1_20scan_config_selectorIdEEZZNS1_9scan_implILNS1_25lookback_scan_determinismE0ELb1ELb1ES3_N6thrust23THRUST_200600_302600_NS6detail15normal_iteratorINS9_10device_ptrIdEEEESE_dNS9_4plusIvEEdEEDaPvRmT3_T4_T5_mT6_P12ihipStream_tbENKUlT_T0_E_clISt17integral_constantIbLb0EESU_EEDaSP_SQ_EUlSP_E_NS1_11comp_targetILNS1_3genE9ELNS1_11target_archE1100ELNS1_3gpuE3ELNS1_3repE0EEENS1_30default_config_static_selectorELNS0_4arch9wavefront6targetE1EEEvT1_
		.amdhsa_group_segment_fixed_size 0
		.amdhsa_private_segment_fixed_size 0
		.amdhsa_kernarg_size 104
		.amdhsa_user_sgpr_count 6
		.amdhsa_user_sgpr_private_segment_buffer 1
		.amdhsa_user_sgpr_dispatch_ptr 0
		.amdhsa_user_sgpr_queue_ptr 0
		.amdhsa_user_sgpr_kernarg_segment_ptr 1
		.amdhsa_user_sgpr_dispatch_id 0
		.amdhsa_user_sgpr_flat_scratch_init 0
		.amdhsa_user_sgpr_kernarg_preload_length 0
		.amdhsa_user_sgpr_kernarg_preload_offset 0
		.amdhsa_user_sgpr_private_segment_size 0
		.amdhsa_uses_dynamic_stack 0
		.amdhsa_system_sgpr_private_segment_wavefront_offset 0
		.amdhsa_system_sgpr_workgroup_id_x 1
		.amdhsa_system_sgpr_workgroup_id_y 0
		.amdhsa_system_sgpr_workgroup_id_z 0
		.amdhsa_system_sgpr_workgroup_info 0
		.amdhsa_system_vgpr_workitem_id 0
		.amdhsa_next_free_vgpr 1
		.amdhsa_next_free_sgpr 0
		.amdhsa_accum_offset 4
		.amdhsa_reserve_vcc 0
		.amdhsa_reserve_flat_scratch 0
		.amdhsa_float_round_mode_32 0
		.amdhsa_float_round_mode_16_64 0
		.amdhsa_float_denorm_mode_32 3
		.amdhsa_float_denorm_mode_16_64 3
		.amdhsa_dx10_clamp 1
		.amdhsa_ieee_mode 1
		.amdhsa_fp16_overflow 0
		.amdhsa_tg_split 0
		.amdhsa_exception_fp_ieee_invalid_op 0
		.amdhsa_exception_fp_denorm_src 0
		.amdhsa_exception_fp_ieee_div_zero 0
		.amdhsa_exception_fp_ieee_overflow 0
		.amdhsa_exception_fp_ieee_underflow 0
		.amdhsa_exception_fp_ieee_inexact 0
		.amdhsa_exception_int_div_zero 0
	.end_amdhsa_kernel
	.section	.text._ZN7rocprim17ROCPRIM_400000_NS6detail17trampoline_kernelINS0_14default_configENS1_20scan_config_selectorIdEEZZNS1_9scan_implILNS1_25lookback_scan_determinismE0ELb1ELb1ES3_N6thrust23THRUST_200600_302600_NS6detail15normal_iteratorINS9_10device_ptrIdEEEESE_dNS9_4plusIvEEdEEDaPvRmT3_T4_T5_mT6_P12ihipStream_tbENKUlT_T0_E_clISt17integral_constantIbLb0EESU_EEDaSP_SQ_EUlSP_E_NS1_11comp_targetILNS1_3genE9ELNS1_11target_archE1100ELNS1_3gpuE3ELNS1_3repE0EEENS1_30default_config_static_selectorELNS0_4arch9wavefront6targetE1EEEvT1_,"axG",@progbits,_ZN7rocprim17ROCPRIM_400000_NS6detail17trampoline_kernelINS0_14default_configENS1_20scan_config_selectorIdEEZZNS1_9scan_implILNS1_25lookback_scan_determinismE0ELb1ELb1ES3_N6thrust23THRUST_200600_302600_NS6detail15normal_iteratorINS9_10device_ptrIdEEEESE_dNS9_4plusIvEEdEEDaPvRmT3_T4_T5_mT6_P12ihipStream_tbENKUlT_T0_E_clISt17integral_constantIbLb0EESU_EEDaSP_SQ_EUlSP_E_NS1_11comp_targetILNS1_3genE9ELNS1_11target_archE1100ELNS1_3gpuE3ELNS1_3repE0EEENS1_30default_config_static_selectorELNS0_4arch9wavefront6targetE1EEEvT1_,comdat
.Lfunc_end4221:
	.size	_ZN7rocprim17ROCPRIM_400000_NS6detail17trampoline_kernelINS0_14default_configENS1_20scan_config_selectorIdEEZZNS1_9scan_implILNS1_25lookback_scan_determinismE0ELb1ELb1ES3_N6thrust23THRUST_200600_302600_NS6detail15normal_iteratorINS9_10device_ptrIdEEEESE_dNS9_4plusIvEEdEEDaPvRmT3_T4_T5_mT6_P12ihipStream_tbENKUlT_T0_E_clISt17integral_constantIbLb0EESU_EEDaSP_SQ_EUlSP_E_NS1_11comp_targetILNS1_3genE9ELNS1_11target_archE1100ELNS1_3gpuE3ELNS1_3repE0EEENS1_30default_config_static_selectorELNS0_4arch9wavefront6targetE1EEEvT1_, .Lfunc_end4221-_ZN7rocprim17ROCPRIM_400000_NS6detail17trampoline_kernelINS0_14default_configENS1_20scan_config_selectorIdEEZZNS1_9scan_implILNS1_25lookback_scan_determinismE0ELb1ELb1ES3_N6thrust23THRUST_200600_302600_NS6detail15normal_iteratorINS9_10device_ptrIdEEEESE_dNS9_4plusIvEEdEEDaPvRmT3_T4_T5_mT6_P12ihipStream_tbENKUlT_T0_E_clISt17integral_constantIbLb0EESU_EEDaSP_SQ_EUlSP_E_NS1_11comp_targetILNS1_3genE9ELNS1_11target_archE1100ELNS1_3gpuE3ELNS1_3repE0EEENS1_30default_config_static_selectorELNS0_4arch9wavefront6targetE1EEEvT1_
                                        ; -- End function
	.section	.AMDGPU.csdata,"",@progbits
; Kernel info:
; codeLenInByte = 0
; NumSgprs: 4
; NumVgprs: 0
; NumAgprs: 0
; TotalNumVgprs: 0
; ScratchSize: 0
; MemoryBound: 0
; FloatMode: 240
; IeeeMode: 1
; LDSByteSize: 0 bytes/workgroup (compile time only)
; SGPRBlocks: 0
; VGPRBlocks: 0
; NumSGPRsForWavesPerEU: 4
; NumVGPRsForWavesPerEU: 1
; AccumOffset: 4
; Occupancy: 8
; WaveLimiterHint : 0
; COMPUTE_PGM_RSRC2:SCRATCH_EN: 0
; COMPUTE_PGM_RSRC2:USER_SGPR: 6
; COMPUTE_PGM_RSRC2:TRAP_HANDLER: 0
; COMPUTE_PGM_RSRC2:TGID_X_EN: 1
; COMPUTE_PGM_RSRC2:TGID_Y_EN: 0
; COMPUTE_PGM_RSRC2:TGID_Z_EN: 0
; COMPUTE_PGM_RSRC2:TIDIG_COMP_CNT: 0
; COMPUTE_PGM_RSRC3_GFX90A:ACCUM_OFFSET: 0
; COMPUTE_PGM_RSRC3_GFX90A:TG_SPLIT: 0
	.section	.text._ZN7rocprim17ROCPRIM_400000_NS6detail17trampoline_kernelINS0_14default_configENS1_20scan_config_selectorIdEEZZNS1_9scan_implILNS1_25lookback_scan_determinismE0ELb1ELb1ES3_N6thrust23THRUST_200600_302600_NS6detail15normal_iteratorINS9_10device_ptrIdEEEESE_dNS9_4plusIvEEdEEDaPvRmT3_T4_T5_mT6_P12ihipStream_tbENKUlT_T0_E_clISt17integral_constantIbLb0EESU_EEDaSP_SQ_EUlSP_E_NS1_11comp_targetILNS1_3genE8ELNS1_11target_archE1030ELNS1_3gpuE2ELNS1_3repE0EEENS1_30default_config_static_selectorELNS0_4arch9wavefront6targetE1EEEvT1_,"axG",@progbits,_ZN7rocprim17ROCPRIM_400000_NS6detail17trampoline_kernelINS0_14default_configENS1_20scan_config_selectorIdEEZZNS1_9scan_implILNS1_25lookback_scan_determinismE0ELb1ELb1ES3_N6thrust23THRUST_200600_302600_NS6detail15normal_iteratorINS9_10device_ptrIdEEEESE_dNS9_4plusIvEEdEEDaPvRmT3_T4_T5_mT6_P12ihipStream_tbENKUlT_T0_E_clISt17integral_constantIbLb0EESU_EEDaSP_SQ_EUlSP_E_NS1_11comp_targetILNS1_3genE8ELNS1_11target_archE1030ELNS1_3gpuE2ELNS1_3repE0EEENS1_30default_config_static_selectorELNS0_4arch9wavefront6targetE1EEEvT1_,comdat
	.protected	_ZN7rocprim17ROCPRIM_400000_NS6detail17trampoline_kernelINS0_14default_configENS1_20scan_config_selectorIdEEZZNS1_9scan_implILNS1_25lookback_scan_determinismE0ELb1ELb1ES3_N6thrust23THRUST_200600_302600_NS6detail15normal_iteratorINS9_10device_ptrIdEEEESE_dNS9_4plusIvEEdEEDaPvRmT3_T4_T5_mT6_P12ihipStream_tbENKUlT_T0_E_clISt17integral_constantIbLb0EESU_EEDaSP_SQ_EUlSP_E_NS1_11comp_targetILNS1_3genE8ELNS1_11target_archE1030ELNS1_3gpuE2ELNS1_3repE0EEENS1_30default_config_static_selectorELNS0_4arch9wavefront6targetE1EEEvT1_ ; -- Begin function _ZN7rocprim17ROCPRIM_400000_NS6detail17trampoline_kernelINS0_14default_configENS1_20scan_config_selectorIdEEZZNS1_9scan_implILNS1_25lookback_scan_determinismE0ELb1ELb1ES3_N6thrust23THRUST_200600_302600_NS6detail15normal_iteratorINS9_10device_ptrIdEEEESE_dNS9_4plusIvEEdEEDaPvRmT3_T4_T5_mT6_P12ihipStream_tbENKUlT_T0_E_clISt17integral_constantIbLb0EESU_EEDaSP_SQ_EUlSP_E_NS1_11comp_targetILNS1_3genE8ELNS1_11target_archE1030ELNS1_3gpuE2ELNS1_3repE0EEENS1_30default_config_static_selectorELNS0_4arch9wavefront6targetE1EEEvT1_
	.globl	_ZN7rocprim17ROCPRIM_400000_NS6detail17trampoline_kernelINS0_14default_configENS1_20scan_config_selectorIdEEZZNS1_9scan_implILNS1_25lookback_scan_determinismE0ELb1ELb1ES3_N6thrust23THRUST_200600_302600_NS6detail15normal_iteratorINS9_10device_ptrIdEEEESE_dNS9_4plusIvEEdEEDaPvRmT3_T4_T5_mT6_P12ihipStream_tbENKUlT_T0_E_clISt17integral_constantIbLb0EESU_EEDaSP_SQ_EUlSP_E_NS1_11comp_targetILNS1_3genE8ELNS1_11target_archE1030ELNS1_3gpuE2ELNS1_3repE0EEENS1_30default_config_static_selectorELNS0_4arch9wavefront6targetE1EEEvT1_
	.p2align	8
	.type	_ZN7rocprim17ROCPRIM_400000_NS6detail17trampoline_kernelINS0_14default_configENS1_20scan_config_selectorIdEEZZNS1_9scan_implILNS1_25lookback_scan_determinismE0ELb1ELb1ES3_N6thrust23THRUST_200600_302600_NS6detail15normal_iteratorINS9_10device_ptrIdEEEESE_dNS9_4plusIvEEdEEDaPvRmT3_T4_T5_mT6_P12ihipStream_tbENKUlT_T0_E_clISt17integral_constantIbLb0EESU_EEDaSP_SQ_EUlSP_E_NS1_11comp_targetILNS1_3genE8ELNS1_11target_archE1030ELNS1_3gpuE2ELNS1_3repE0EEENS1_30default_config_static_selectorELNS0_4arch9wavefront6targetE1EEEvT1_,@function
_ZN7rocprim17ROCPRIM_400000_NS6detail17trampoline_kernelINS0_14default_configENS1_20scan_config_selectorIdEEZZNS1_9scan_implILNS1_25lookback_scan_determinismE0ELb1ELb1ES3_N6thrust23THRUST_200600_302600_NS6detail15normal_iteratorINS9_10device_ptrIdEEEESE_dNS9_4plusIvEEdEEDaPvRmT3_T4_T5_mT6_P12ihipStream_tbENKUlT_T0_E_clISt17integral_constantIbLb0EESU_EEDaSP_SQ_EUlSP_E_NS1_11comp_targetILNS1_3genE8ELNS1_11target_archE1030ELNS1_3gpuE2ELNS1_3repE0EEENS1_30default_config_static_selectorELNS0_4arch9wavefront6targetE1EEEvT1_: ; @_ZN7rocprim17ROCPRIM_400000_NS6detail17trampoline_kernelINS0_14default_configENS1_20scan_config_selectorIdEEZZNS1_9scan_implILNS1_25lookback_scan_determinismE0ELb1ELb1ES3_N6thrust23THRUST_200600_302600_NS6detail15normal_iteratorINS9_10device_ptrIdEEEESE_dNS9_4plusIvEEdEEDaPvRmT3_T4_T5_mT6_P12ihipStream_tbENKUlT_T0_E_clISt17integral_constantIbLb0EESU_EEDaSP_SQ_EUlSP_E_NS1_11comp_targetILNS1_3genE8ELNS1_11target_archE1030ELNS1_3gpuE2ELNS1_3repE0EEENS1_30default_config_static_selectorELNS0_4arch9wavefront6targetE1EEEvT1_
; %bb.0:
	.section	.rodata,"a",@progbits
	.p2align	6, 0x0
	.amdhsa_kernel _ZN7rocprim17ROCPRIM_400000_NS6detail17trampoline_kernelINS0_14default_configENS1_20scan_config_selectorIdEEZZNS1_9scan_implILNS1_25lookback_scan_determinismE0ELb1ELb1ES3_N6thrust23THRUST_200600_302600_NS6detail15normal_iteratorINS9_10device_ptrIdEEEESE_dNS9_4plusIvEEdEEDaPvRmT3_T4_T5_mT6_P12ihipStream_tbENKUlT_T0_E_clISt17integral_constantIbLb0EESU_EEDaSP_SQ_EUlSP_E_NS1_11comp_targetILNS1_3genE8ELNS1_11target_archE1030ELNS1_3gpuE2ELNS1_3repE0EEENS1_30default_config_static_selectorELNS0_4arch9wavefront6targetE1EEEvT1_
		.amdhsa_group_segment_fixed_size 0
		.amdhsa_private_segment_fixed_size 0
		.amdhsa_kernarg_size 104
		.amdhsa_user_sgpr_count 6
		.amdhsa_user_sgpr_private_segment_buffer 1
		.amdhsa_user_sgpr_dispatch_ptr 0
		.amdhsa_user_sgpr_queue_ptr 0
		.amdhsa_user_sgpr_kernarg_segment_ptr 1
		.amdhsa_user_sgpr_dispatch_id 0
		.amdhsa_user_sgpr_flat_scratch_init 0
		.amdhsa_user_sgpr_kernarg_preload_length 0
		.amdhsa_user_sgpr_kernarg_preload_offset 0
		.amdhsa_user_sgpr_private_segment_size 0
		.amdhsa_uses_dynamic_stack 0
		.amdhsa_system_sgpr_private_segment_wavefront_offset 0
		.amdhsa_system_sgpr_workgroup_id_x 1
		.amdhsa_system_sgpr_workgroup_id_y 0
		.amdhsa_system_sgpr_workgroup_id_z 0
		.amdhsa_system_sgpr_workgroup_info 0
		.amdhsa_system_vgpr_workitem_id 0
		.amdhsa_next_free_vgpr 1
		.amdhsa_next_free_sgpr 0
		.amdhsa_accum_offset 4
		.amdhsa_reserve_vcc 0
		.amdhsa_reserve_flat_scratch 0
		.amdhsa_float_round_mode_32 0
		.amdhsa_float_round_mode_16_64 0
		.amdhsa_float_denorm_mode_32 3
		.amdhsa_float_denorm_mode_16_64 3
		.amdhsa_dx10_clamp 1
		.amdhsa_ieee_mode 1
		.amdhsa_fp16_overflow 0
		.amdhsa_tg_split 0
		.amdhsa_exception_fp_ieee_invalid_op 0
		.amdhsa_exception_fp_denorm_src 0
		.amdhsa_exception_fp_ieee_div_zero 0
		.amdhsa_exception_fp_ieee_overflow 0
		.amdhsa_exception_fp_ieee_underflow 0
		.amdhsa_exception_fp_ieee_inexact 0
		.amdhsa_exception_int_div_zero 0
	.end_amdhsa_kernel
	.section	.text._ZN7rocprim17ROCPRIM_400000_NS6detail17trampoline_kernelINS0_14default_configENS1_20scan_config_selectorIdEEZZNS1_9scan_implILNS1_25lookback_scan_determinismE0ELb1ELb1ES3_N6thrust23THRUST_200600_302600_NS6detail15normal_iteratorINS9_10device_ptrIdEEEESE_dNS9_4plusIvEEdEEDaPvRmT3_T4_T5_mT6_P12ihipStream_tbENKUlT_T0_E_clISt17integral_constantIbLb0EESU_EEDaSP_SQ_EUlSP_E_NS1_11comp_targetILNS1_3genE8ELNS1_11target_archE1030ELNS1_3gpuE2ELNS1_3repE0EEENS1_30default_config_static_selectorELNS0_4arch9wavefront6targetE1EEEvT1_,"axG",@progbits,_ZN7rocprim17ROCPRIM_400000_NS6detail17trampoline_kernelINS0_14default_configENS1_20scan_config_selectorIdEEZZNS1_9scan_implILNS1_25lookback_scan_determinismE0ELb1ELb1ES3_N6thrust23THRUST_200600_302600_NS6detail15normal_iteratorINS9_10device_ptrIdEEEESE_dNS9_4plusIvEEdEEDaPvRmT3_T4_T5_mT6_P12ihipStream_tbENKUlT_T0_E_clISt17integral_constantIbLb0EESU_EEDaSP_SQ_EUlSP_E_NS1_11comp_targetILNS1_3genE8ELNS1_11target_archE1030ELNS1_3gpuE2ELNS1_3repE0EEENS1_30default_config_static_selectorELNS0_4arch9wavefront6targetE1EEEvT1_,comdat
.Lfunc_end4222:
	.size	_ZN7rocprim17ROCPRIM_400000_NS6detail17trampoline_kernelINS0_14default_configENS1_20scan_config_selectorIdEEZZNS1_9scan_implILNS1_25lookback_scan_determinismE0ELb1ELb1ES3_N6thrust23THRUST_200600_302600_NS6detail15normal_iteratorINS9_10device_ptrIdEEEESE_dNS9_4plusIvEEdEEDaPvRmT3_T4_T5_mT6_P12ihipStream_tbENKUlT_T0_E_clISt17integral_constantIbLb0EESU_EEDaSP_SQ_EUlSP_E_NS1_11comp_targetILNS1_3genE8ELNS1_11target_archE1030ELNS1_3gpuE2ELNS1_3repE0EEENS1_30default_config_static_selectorELNS0_4arch9wavefront6targetE1EEEvT1_, .Lfunc_end4222-_ZN7rocprim17ROCPRIM_400000_NS6detail17trampoline_kernelINS0_14default_configENS1_20scan_config_selectorIdEEZZNS1_9scan_implILNS1_25lookback_scan_determinismE0ELb1ELb1ES3_N6thrust23THRUST_200600_302600_NS6detail15normal_iteratorINS9_10device_ptrIdEEEESE_dNS9_4plusIvEEdEEDaPvRmT3_T4_T5_mT6_P12ihipStream_tbENKUlT_T0_E_clISt17integral_constantIbLb0EESU_EEDaSP_SQ_EUlSP_E_NS1_11comp_targetILNS1_3genE8ELNS1_11target_archE1030ELNS1_3gpuE2ELNS1_3repE0EEENS1_30default_config_static_selectorELNS0_4arch9wavefront6targetE1EEEvT1_
                                        ; -- End function
	.section	.AMDGPU.csdata,"",@progbits
; Kernel info:
; codeLenInByte = 0
; NumSgprs: 4
; NumVgprs: 0
; NumAgprs: 0
; TotalNumVgprs: 0
; ScratchSize: 0
; MemoryBound: 0
; FloatMode: 240
; IeeeMode: 1
; LDSByteSize: 0 bytes/workgroup (compile time only)
; SGPRBlocks: 0
; VGPRBlocks: 0
; NumSGPRsForWavesPerEU: 4
; NumVGPRsForWavesPerEU: 1
; AccumOffset: 4
; Occupancy: 8
; WaveLimiterHint : 0
; COMPUTE_PGM_RSRC2:SCRATCH_EN: 0
; COMPUTE_PGM_RSRC2:USER_SGPR: 6
; COMPUTE_PGM_RSRC2:TRAP_HANDLER: 0
; COMPUTE_PGM_RSRC2:TGID_X_EN: 1
; COMPUTE_PGM_RSRC2:TGID_Y_EN: 0
; COMPUTE_PGM_RSRC2:TGID_Z_EN: 0
; COMPUTE_PGM_RSRC2:TIDIG_COMP_CNT: 0
; COMPUTE_PGM_RSRC3_GFX90A:ACCUM_OFFSET: 0
; COMPUTE_PGM_RSRC3_GFX90A:TG_SPLIT: 0
	.section	.text._ZN7rocprim17ROCPRIM_400000_NS6detail17trampoline_kernelINS0_14default_configENS1_20scan_config_selectorIdEEZZNS1_9scan_implILNS1_25lookback_scan_determinismE0ELb1ELb1ES3_N6thrust23THRUST_200600_302600_NS6detail15normal_iteratorINS9_10device_ptrIdEEEESE_dNS9_4plusIvEEdEEDaPvRmT3_T4_T5_mT6_P12ihipStream_tbENKUlT_T0_E_clISt17integral_constantIbLb0EESU_EEDaSP_SQ_EUlSP_E0_NS1_11comp_targetILNS1_3genE0ELNS1_11target_archE4294967295ELNS1_3gpuE0ELNS1_3repE0EEENS1_30default_config_static_selectorELNS0_4arch9wavefront6targetE1EEEvT1_,"axG",@progbits,_ZN7rocprim17ROCPRIM_400000_NS6detail17trampoline_kernelINS0_14default_configENS1_20scan_config_selectorIdEEZZNS1_9scan_implILNS1_25lookback_scan_determinismE0ELb1ELb1ES3_N6thrust23THRUST_200600_302600_NS6detail15normal_iteratorINS9_10device_ptrIdEEEESE_dNS9_4plusIvEEdEEDaPvRmT3_T4_T5_mT6_P12ihipStream_tbENKUlT_T0_E_clISt17integral_constantIbLb0EESU_EEDaSP_SQ_EUlSP_E0_NS1_11comp_targetILNS1_3genE0ELNS1_11target_archE4294967295ELNS1_3gpuE0ELNS1_3repE0EEENS1_30default_config_static_selectorELNS0_4arch9wavefront6targetE1EEEvT1_,comdat
	.protected	_ZN7rocprim17ROCPRIM_400000_NS6detail17trampoline_kernelINS0_14default_configENS1_20scan_config_selectorIdEEZZNS1_9scan_implILNS1_25lookback_scan_determinismE0ELb1ELb1ES3_N6thrust23THRUST_200600_302600_NS6detail15normal_iteratorINS9_10device_ptrIdEEEESE_dNS9_4plusIvEEdEEDaPvRmT3_T4_T5_mT6_P12ihipStream_tbENKUlT_T0_E_clISt17integral_constantIbLb0EESU_EEDaSP_SQ_EUlSP_E0_NS1_11comp_targetILNS1_3genE0ELNS1_11target_archE4294967295ELNS1_3gpuE0ELNS1_3repE0EEENS1_30default_config_static_selectorELNS0_4arch9wavefront6targetE1EEEvT1_ ; -- Begin function _ZN7rocprim17ROCPRIM_400000_NS6detail17trampoline_kernelINS0_14default_configENS1_20scan_config_selectorIdEEZZNS1_9scan_implILNS1_25lookback_scan_determinismE0ELb1ELb1ES3_N6thrust23THRUST_200600_302600_NS6detail15normal_iteratorINS9_10device_ptrIdEEEESE_dNS9_4plusIvEEdEEDaPvRmT3_T4_T5_mT6_P12ihipStream_tbENKUlT_T0_E_clISt17integral_constantIbLb0EESU_EEDaSP_SQ_EUlSP_E0_NS1_11comp_targetILNS1_3genE0ELNS1_11target_archE4294967295ELNS1_3gpuE0ELNS1_3repE0EEENS1_30default_config_static_selectorELNS0_4arch9wavefront6targetE1EEEvT1_
	.globl	_ZN7rocprim17ROCPRIM_400000_NS6detail17trampoline_kernelINS0_14default_configENS1_20scan_config_selectorIdEEZZNS1_9scan_implILNS1_25lookback_scan_determinismE0ELb1ELb1ES3_N6thrust23THRUST_200600_302600_NS6detail15normal_iteratorINS9_10device_ptrIdEEEESE_dNS9_4plusIvEEdEEDaPvRmT3_T4_T5_mT6_P12ihipStream_tbENKUlT_T0_E_clISt17integral_constantIbLb0EESU_EEDaSP_SQ_EUlSP_E0_NS1_11comp_targetILNS1_3genE0ELNS1_11target_archE4294967295ELNS1_3gpuE0ELNS1_3repE0EEENS1_30default_config_static_selectorELNS0_4arch9wavefront6targetE1EEEvT1_
	.p2align	8
	.type	_ZN7rocprim17ROCPRIM_400000_NS6detail17trampoline_kernelINS0_14default_configENS1_20scan_config_selectorIdEEZZNS1_9scan_implILNS1_25lookback_scan_determinismE0ELb1ELb1ES3_N6thrust23THRUST_200600_302600_NS6detail15normal_iteratorINS9_10device_ptrIdEEEESE_dNS9_4plusIvEEdEEDaPvRmT3_T4_T5_mT6_P12ihipStream_tbENKUlT_T0_E_clISt17integral_constantIbLb0EESU_EEDaSP_SQ_EUlSP_E0_NS1_11comp_targetILNS1_3genE0ELNS1_11target_archE4294967295ELNS1_3gpuE0ELNS1_3repE0EEENS1_30default_config_static_selectorELNS0_4arch9wavefront6targetE1EEEvT1_,@function
_ZN7rocprim17ROCPRIM_400000_NS6detail17trampoline_kernelINS0_14default_configENS1_20scan_config_selectorIdEEZZNS1_9scan_implILNS1_25lookback_scan_determinismE0ELb1ELb1ES3_N6thrust23THRUST_200600_302600_NS6detail15normal_iteratorINS9_10device_ptrIdEEEESE_dNS9_4plusIvEEdEEDaPvRmT3_T4_T5_mT6_P12ihipStream_tbENKUlT_T0_E_clISt17integral_constantIbLb0EESU_EEDaSP_SQ_EUlSP_E0_NS1_11comp_targetILNS1_3genE0ELNS1_11target_archE4294967295ELNS1_3gpuE0ELNS1_3repE0EEENS1_30default_config_static_selectorELNS0_4arch9wavefront6targetE1EEEvT1_: ; @_ZN7rocprim17ROCPRIM_400000_NS6detail17trampoline_kernelINS0_14default_configENS1_20scan_config_selectorIdEEZZNS1_9scan_implILNS1_25lookback_scan_determinismE0ELb1ELb1ES3_N6thrust23THRUST_200600_302600_NS6detail15normal_iteratorINS9_10device_ptrIdEEEESE_dNS9_4plusIvEEdEEDaPvRmT3_T4_T5_mT6_P12ihipStream_tbENKUlT_T0_E_clISt17integral_constantIbLb0EESU_EEDaSP_SQ_EUlSP_E0_NS1_11comp_targetILNS1_3genE0ELNS1_11target_archE4294967295ELNS1_3gpuE0ELNS1_3repE0EEENS1_30default_config_static_selectorELNS0_4arch9wavefront6targetE1EEEvT1_
; %bb.0:
	.section	.rodata,"a",@progbits
	.p2align	6, 0x0
	.amdhsa_kernel _ZN7rocprim17ROCPRIM_400000_NS6detail17trampoline_kernelINS0_14default_configENS1_20scan_config_selectorIdEEZZNS1_9scan_implILNS1_25lookback_scan_determinismE0ELb1ELb1ES3_N6thrust23THRUST_200600_302600_NS6detail15normal_iteratorINS9_10device_ptrIdEEEESE_dNS9_4plusIvEEdEEDaPvRmT3_T4_T5_mT6_P12ihipStream_tbENKUlT_T0_E_clISt17integral_constantIbLb0EESU_EEDaSP_SQ_EUlSP_E0_NS1_11comp_targetILNS1_3genE0ELNS1_11target_archE4294967295ELNS1_3gpuE0ELNS1_3repE0EEENS1_30default_config_static_selectorELNS0_4arch9wavefront6targetE1EEEvT1_
		.amdhsa_group_segment_fixed_size 0
		.amdhsa_private_segment_fixed_size 0
		.amdhsa_kernarg_size 40
		.amdhsa_user_sgpr_count 6
		.amdhsa_user_sgpr_private_segment_buffer 1
		.amdhsa_user_sgpr_dispatch_ptr 0
		.amdhsa_user_sgpr_queue_ptr 0
		.amdhsa_user_sgpr_kernarg_segment_ptr 1
		.amdhsa_user_sgpr_dispatch_id 0
		.amdhsa_user_sgpr_flat_scratch_init 0
		.amdhsa_user_sgpr_kernarg_preload_length 0
		.amdhsa_user_sgpr_kernarg_preload_offset 0
		.amdhsa_user_sgpr_private_segment_size 0
		.amdhsa_uses_dynamic_stack 0
		.amdhsa_system_sgpr_private_segment_wavefront_offset 0
		.amdhsa_system_sgpr_workgroup_id_x 1
		.amdhsa_system_sgpr_workgroup_id_y 0
		.amdhsa_system_sgpr_workgroup_id_z 0
		.amdhsa_system_sgpr_workgroup_info 0
		.amdhsa_system_vgpr_workitem_id 0
		.amdhsa_next_free_vgpr 1
		.amdhsa_next_free_sgpr 0
		.amdhsa_accum_offset 4
		.amdhsa_reserve_vcc 0
		.amdhsa_reserve_flat_scratch 0
		.amdhsa_float_round_mode_32 0
		.amdhsa_float_round_mode_16_64 0
		.amdhsa_float_denorm_mode_32 3
		.amdhsa_float_denorm_mode_16_64 3
		.amdhsa_dx10_clamp 1
		.amdhsa_ieee_mode 1
		.amdhsa_fp16_overflow 0
		.amdhsa_tg_split 0
		.amdhsa_exception_fp_ieee_invalid_op 0
		.amdhsa_exception_fp_denorm_src 0
		.amdhsa_exception_fp_ieee_div_zero 0
		.amdhsa_exception_fp_ieee_overflow 0
		.amdhsa_exception_fp_ieee_underflow 0
		.amdhsa_exception_fp_ieee_inexact 0
		.amdhsa_exception_int_div_zero 0
	.end_amdhsa_kernel
	.section	.text._ZN7rocprim17ROCPRIM_400000_NS6detail17trampoline_kernelINS0_14default_configENS1_20scan_config_selectorIdEEZZNS1_9scan_implILNS1_25lookback_scan_determinismE0ELb1ELb1ES3_N6thrust23THRUST_200600_302600_NS6detail15normal_iteratorINS9_10device_ptrIdEEEESE_dNS9_4plusIvEEdEEDaPvRmT3_T4_T5_mT6_P12ihipStream_tbENKUlT_T0_E_clISt17integral_constantIbLb0EESU_EEDaSP_SQ_EUlSP_E0_NS1_11comp_targetILNS1_3genE0ELNS1_11target_archE4294967295ELNS1_3gpuE0ELNS1_3repE0EEENS1_30default_config_static_selectorELNS0_4arch9wavefront6targetE1EEEvT1_,"axG",@progbits,_ZN7rocprim17ROCPRIM_400000_NS6detail17trampoline_kernelINS0_14default_configENS1_20scan_config_selectorIdEEZZNS1_9scan_implILNS1_25lookback_scan_determinismE0ELb1ELb1ES3_N6thrust23THRUST_200600_302600_NS6detail15normal_iteratorINS9_10device_ptrIdEEEESE_dNS9_4plusIvEEdEEDaPvRmT3_T4_T5_mT6_P12ihipStream_tbENKUlT_T0_E_clISt17integral_constantIbLb0EESU_EEDaSP_SQ_EUlSP_E0_NS1_11comp_targetILNS1_3genE0ELNS1_11target_archE4294967295ELNS1_3gpuE0ELNS1_3repE0EEENS1_30default_config_static_selectorELNS0_4arch9wavefront6targetE1EEEvT1_,comdat
.Lfunc_end4223:
	.size	_ZN7rocprim17ROCPRIM_400000_NS6detail17trampoline_kernelINS0_14default_configENS1_20scan_config_selectorIdEEZZNS1_9scan_implILNS1_25lookback_scan_determinismE0ELb1ELb1ES3_N6thrust23THRUST_200600_302600_NS6detail15normal_iteratorINS9_10device_ptrIdEEEESE_dNS9_4plusIvEEdEEDaPvRmT3_T4_T5_mT6_P12ihipStream_tbENKUlT_T0_E_clISt17integral_constantIbLb0EESU_EEDaSP_SQ_EUlSP_E0_NS1_11comp_targetILNS1_3genE0ELNS1_11target_archE4294967295ELNS1_3gpuE0ELNS1_3repE0EEENS1_30default_config_static_selectorELNS0_4arch9wavefront6targetE1EEEvT1_, .Lfunc_end4223-_ZN7rocprim17ROCPRIM_400000_NS6detail17trampoline_kernelINS0_14default_configENS1_20scan_config_selectorIdEEZZNS1_9scan_implILNS1_25lookback_scan_determinismE0ELb1ELb1ES3_N6thrust23THRUST_200600_302600_NS6detail15normal_iteratorINS9_10device_ptrIdEEEESE_dNS9_4plusIvEEdEEDaPvRmT3_T4_T5_mT6_P12ihipStream_tbENKUlT_T0_E_clISt17integral_constantIbLb0EESU_EEDaSP_SQ_EUlSP_E0_NS1_11comp_targetILNS1_3genE0ELNS1_11target_archE4294967295ELNS1_3gpuE0ELNS1_3repE0EEENS1_30default_config_static_selectorELNS0_4arch9wavefront6targetE1EEEvT1_
                                        ; -- End function
	.section	.AMDGPU.csdata,"",@progbits
; Kernel info:
; codeLenInByte = 0
; NumSgprs: 4
; NumVgprs: 0
; NumAgprs: 0
; TotalNumVgprs: 0
; ScratchSize: 0
; MemoryBound: 0
; FloatMode: 240
; IeeeMode: 1
; LDSByteSize: 0 bytes/workgroup (compile time only)
; SGPRBlocks: 0
; VGPRBlocks: 0
; NumSGPRsForWavesPerEU: 4
; NumVGPRsForWavesPerEU: 1
; AccumOffset: 4
; Occupancy: 8
; WaveLimiterHint : 0
; COMPUTE_PGM_RSRC2:SCRATCH_EN: 0
; COMPUTE_PGM_RSRC2:USER_SGPR: 6
; COMPUTE_PGM_RSRC2:TRAP_HANDLER: 0
; COMPUTE_PGM_RSRC2:TGID_X_EN: 1
; COMPUTE_PGM_RSRC2:TGID_Y_EN: 0
; COMPUTE_PGM_RSRC2:TGID_Z_EN: 0
; COMPUTE_PGM_RSRC2:TIDIG_COMP_CNT: 0
; COMPUTE_PGM_RSRC3_GFX90A:ACCUM_OFFSET: 0
; COMPUTE_PGM_RSRC3_GFX90A:TG_SPLIT: 0
	.section	.text._ZN7rocprim17ROCPRIM_400000_NS6detail17trampoline_kernelINS0_14default_configENS1_20scan_config_selectorIdEEZZNS1_9scan_implILNS1_25lookback_scan_determinismE0ELb1ELb1ES3_N6thrust23THRUST_200600_302600_NS6detail15normal_iteratorINS9_10device_ptrIdEEEESE_dNS9_4plusIvEEdEEDaPvRmT3_T4_T5_mT6_P12ihipStream_tbENKUlT_T0_E_clISt17integral_constantIbLb0EESU_EEDaSP_SQ_EUlSP_E0_NS1_11comp_targetILNS1_3genE5ELNS1_11target_archE942ELNS1_3gpuE9ELNS1_3repE0EEENS1_30default_config_static_selectorELNS0_4arch9wavefront6targetE1EEEvT1_,"axG",@progbits,_ZN7rocprim17ROCPRIM_400000_NS6detail17trampoline_kernelINS0_14default_configENS1_20scan_config_selectorIdEEZZNS1_9scan_implILNS1_25lookback_scan_determinismE0ELb1ELb1ES3_N6thrust23THRUST_200600_302600_NS6detail15normal_iteratorINS9_10device_ptrIdEEEESE_dNS9_4plusIvEEdEEDaPvRmT3_T4_T5_mT6_P12ihipStream_tbENKUlT_T0_E_clISt17integral_constantIbLb0EESU_EEDaSP_SQ_EUlSP_E0_NS1_11comp_targetILNS1_3genE5ELNS1_11target_archE942ELNS1_3gpuE9ELNS1_3repE0EEENS1_30default_config_static_selectorELNS0_4arch9wavefront6targetE1EEEvT1_,comdat
	.protected	_ZN7rocprim17ROCPRIM_400000_NS6detail17trampoline_kernelINS0_14default_configENS1_20scan_config_selectorIdEEZZNS1_9scan_implILNS1_25lookback_scan_determinismE0ELb1ELb1ES3_N6thrust23THRUST_200600_302600_NS6detail15normal_iteratorINS9_10device_ptrIdEEEESE_dNS9_4plusIvEEdEEDaPvRmT3_T4_T5_mT6_P12ihipStream_tbENKUlT_T0_E_clISt17integral_constantIbLb0EESU_EEDaSP_SQ_EUlSP_E0_NS1_11comp_targetILNS1_3genE5ELNS1_11target_archE942ELNS1_3gpuE9ELNS1_3repE0EEENS1_30default_config_static_selectorELNS0_4arch9wavefront6targetE1EEEvT1_ ; -- Begin function _ZN7rocprim17ROCPRIM_400000_NS6detail17trampoline_kernelINS0_14default_configENS1_20scan_config_selectorIdEEZZNS1_9scan_implILNS1_25lookback_scan_determinismE0ELb1ELb1ES3_N6thrust23THRUST_200600_302600_NS6detail15normal_iteratorINS9_10device_ptrIdEEEESE_dNS9_4plusIvEEdEEDaPvRmT3_T4_T5_mT6_P12ihipStream_tbENKUlT_T0_E_clISt17integral_constantIbLb0EESU_EEDaSP_SQ_EUlSP_E0_NS1_11comp_targetILNS1_3genE5ELNS1_11target_archE942ELNS1_3gpuE9ELNS1_3repE0EEENS1_30default_config_static_selectorELNS0_4arch9wavefront6targetE1EEEvT1_
	.globl	_ZN7rocprim17ROCPRIM_400000_NS6detail17trampoline_kernelINS0_14default_configENS1_20scan_config_selectorIdEEZZNS1_9scan_implILNS1_25lookback_scan_determinismE0ELb1ELb1ES3_N6thrust23THRUST_200600_302600_NS6detail15normal_iteratorINS9_10device_ptrIdEEEESE_dNS9_4plusIvEEdEEDaPvRmT3_T4_T5_mT6_P12ihipStream_tbENKUlT_T0_E_clISt17integral_constantIbLb0EESU_EEDaSP_SQ_EUlSP_E0_NS1_11comp_targetILNS1_3genE5ELNS1_11target_archE942ELNS1_3gpuE9ELNS1_3repE0EEENS1_30default_config_static_selectorELNS0_4arch9wavefront6targetE1EEEvT1_
	.p2align	8
	.type	_ZN7rocprim17ROCPRIM_400000_NS6detail17trampoline_kernelINS0_14default_configENS1_20scan_config_selectorIdEEZZNS1_9scan_implILNS1_25lookback_scan_determinismE0ELb1ELb1ES3_N6thrust23THRUST_200600_302600_NS6detail15normal_iteratorINS9_10device_ptrIdEEEESE_dNS9_4plusIvEEdEEDaPvRmT3_T4_T5_mT6_P12ihipStream_tbENKUlT_T0_E_clISt17integral_constantIbLb0EESU_EEDaSP_SQ_EUlSP_E0_NS1_11comp_targetILNS1_3genE5ELNS1_11target_archE942ELNS1_3gpuE9ELNS1_3repE0EEENS1_30default_config_static_selectorELNS0_4arch9wavefront6targetE1EEEvT1_,@function
_ZN7rocprim17ROCPRIM_400000_NS6detail17trampoline_kernelINS0_14default_configENS1_20scan_config_selectorIdEEZZNS1_9scan_implILNS1_25lookback_scan_determinismE0ELb1ELb1ES3_N6thrust23THRUST_200600_302600_NS6detail15normal_iteratorINS9_10device_ptrIdEEEESE_dNS9_4plusIvEEdEEDaPvRmT3_T4_T5_mT6_P12ihipStream_tbENKUlT_T0_E_clISt17integral_constantIbLb0EESU_EEDaSP_SQ_EUlSP_E0_NS1_11comp_targetILNS1_3genE5ELNS1_11target_archE942ELNS1_3gpuE9ELNS1_3repE0EEENS1_30default_config_static_selectorELNS0_4arch9wavefront6targetE1EEEvT1_: ; @_ZN7rocprim17ROCPRIM_400000_NS6detail17trampoline_kernelINS0_14default_configENS1_20scan_config_selectorIdEEZZNS1_9scan_implILNS1_25lookback_scan_determinismE0ELb1ELb1ES3_N6thrust23THRUST_200600_302600_NS6detail15normal_iteratorINS9_10device_ptrIdEEEESE_dNS9_4plusIvEEdEEDaPvRmT3_T4_T5_mT6_P12ihipStream_tbENKUlT_T0_E_clISt17integral_constantIbLb0EESU_EEDaSP_SQ_EUlSP_E0_NS1_11comp_targetILNS1_3genE5ELNS1_11target_archE942ELNS1_3gpuE9ELNS1_3repE0EEENS1_30default_config_static_selectorELNS0_4arch9wavefront6targetE1EEEvT1_
; %bb.0:
	.section	.rodata,"a",@progbits
	.p2align	6, 0x0
	.amdhsa_kernel _ZN7rocprim17ROCPRIM_400000_NS6detail17trampoline_kernelINS0_14default_configENS1_20scan_config_selectorIdEEZZNS1_9scan_implILNS1_25lookback_scan_determinismE0ELb1ELb1ES3_N6thrust23THRUST_200600_302600_NS6detail15normal_iteratorINS9_10device_ptrIdEEEESE_dNS9_4plusIvEEdEEDaPvRmT3_T4_T5_mT6_P12ihipStream_tbENKUlT_T0_E_clISt17integral_constantIbLb0EESU_EEDaSP_SQ_EUlSP_E0_NS1_11comp_targetILNS1_3genE5ELNS1_11target_archE942ELNS1_3gpuE9ELNS1_3repE0EEENS1_30default_config_static_selectorELNS0_4arch9wavefront6targetE1EEEvT1_
		.amdhsa_group_segment_fixed_size 0
		.amdhsa_private_segment_fixed_size 0
		.amdhsa_kernarg_size 40
		.amdhsa_user_sgpr_count 6
		.amdhsa_user_sgpr_private_segment_buffer 1
		.amdhsa_user_sgpr_dispatch_ptr 0
		.amdhsa_user_sgpr_queue_ptr 0
		.amdhsa_user_sgpr_kernarg_segment_ptr 1
		.amdhsa_user_sgpr_dispatch_id 0
		.amdhsa_user_sgpr_flat_scratch_init 0
		.amdhsa_user_sgpr_kernarg_preload_length 0
		.amdhsa_user_sgpr_kernarg_preload_offset 0
		.amdhsa_user_sgpr_private_segment_size 0
		.amdhsa_uses_dynamic_stack 0
		.amdhsa_system_sgpr_private_segment_wavefront_offset 0
		.amdhsa_system_sgpr_workgroup_id_x 1
		.amdhsa_system_sgpr_workgroup_id_y 0
		.amdhsa_system_sgpr_workgroup_id_z 0
		.amdhsa_system_sgpr_workgroup_info 0
		.amdhsa_system_vgpr_workitem_id 0
		.amdhsa_next_free_vgpr 1
		.amdhsa_next_free_sgpr 0
		.amdhsa_accum_offset 4
		.amdhsa_reserve_vcc 0
		.amdhsa_reserve_flat_scratch 0
		.amdhsa_float_round_mode_32 0
		.amdhsa_float_round_mode_16_64 0
		.amdhsa_float_denorm_mode_32 3
		.amdhsa_float_denorm_mode_16_64 3
		.amdhsa_dx10_clamp 1
		.amdhsa_ieee_mode 1
		.amdhsa_fp16_overflow 0
		.amdhsa_tg_split 0
		.amdhsa_exception_fp_ieee_invalid_op 0
		.amdhsa_exception_fp_denorm_src 0
		.amdhsa_exception_fp_ieee_div_zero 0
		.amdhsa_exception_fp_ieee_overflow 0
		.amdhsa_exception_fp_ieee_underflow 0
		.amdhsa_exception_fp_ieee_inexact 0
		.amdhsa_exception_int_div_zero 0
	.end_amdhsa_kernel
	.section	.text._ZN7rocprim17ROCPRIM_400000_NS6detail17trampoline_kernelINS0_14default_configENS1_20scan_config_selectorIdEEZZNS1_9scan_implILNS1_25lookback_scan_determinismE0ELb1ELb1ES3_N6thrust23THRUST_200600_302600_NS6detail15normal_iteratorINS9_10device_ptrIdEEEESE_dNS9_4plusIvEEdEEDaPvRmT3_T4_T5_mT6_P12ihipStream_tbENKUlT_T0_E_clISt17integral_constantIbLb0EESU_EEDaSP_SQ_EUlSP_E0_NS1_11comp_targetILNS1_3genE5ELNS1_11target_archE942ELNS1_3gpuE9ELNS1_3repE0EEENS1_30default_config_static_selectorELNS0_4arch9wavefront6targetE1EEEvT1_,"axG",@progbits,_ZN7rocprim17ROCPRIM_400000_NS6detail17trampoline_kernelINS0_14default_configENS1_20scan_config_selectorIdEEZZNS1_9scan_implILNS1_25lookback_scan_determinismE0ELb1ELb1ES3_N6thrust23THRUST_200600_302600_NS6detail15normal_iteratorINS9_10device_ptrIdEEEESE_dNS9_4plusIvEEdEEDaPvRmT3_T4_T5_mT6_P12ihipStream_tbENKUlT_T0_E_clISt17integral_constantIbLb0EESU_EEDaSP_SQ_EUlSP_E0_NS1_11comp_targetILNS1_3genE5ELNS1_11target_archE942ELNS1_3gpuE9ELNS1_3repE0EEENS1_30default_config_static_selectorELNS0_4arch9wavefront6targetE1EEEvT1_,comdat
.Lfunc_end4224:
	.size	_ZN7rocprim17ROCPRIM_400000_NS6detail17trampoline_kernelINS0_14default_configENS1_20scan_config_selectorIdEEZZNS1_9scan_implILNS1_25lookback_scan_determinismE0ELb1ELb1ES3_N6thrust23THRUST_200600_302600_NS6detail15normal_iteratorINS9_10device_ptrIdEEEESE_dNS9_4plusIvEEdEEDaPvRmT3_T4_T5_mT6_P12ihipStream_tbENKUlT_T0_E_clISt17integral_constantIbLb0EESU_EEDaSP_SQ_EUlSP_E0_NS1_11comp_targetILNS1_3genE5ELNS1_11target_archE942ELNS1_3gpuE9ELNS1_3repE0EEENS1_30default_config_static_selectorELNS0_4arch9wavefront6targetE1EEEvT1_, .Lfunc_end4224-_ZN7rocprim17ROCPRIM_400000_NS6detail17trampoline_kernelINS0_14default_configENS1_20scan_config_selectorIdEEZZNS1_9scan_implILNS1_25lookback_scan_determinismE0ELb1ELb1ES3_N6thrust23THRUST_200600_302600_NS6detail15normal_iteratorINS9_10device_ptrIdEEEESE_dNS9_4plusIvEEdEEDaPvRmT3_T4_T5_mT6_P12ihipStream_tbENKUlT_T0_E_clISt17integral_constantIbLb0EESU_EEDaSP_SQ_EUlSP_E0_NS1_11comp_targetILNS1_3genE5ELNS1_11target_archE942ELNS1_3gpuE9ELNS1_3repE0EEENS1_30default_config_static_selectorELNS0_4arch9wavefront6targetE1EEEvT1_
                                        ; -- End function
	.section	.AMDGPU.csdata,"",@progbits
; Kernel info:
; codeLenInByte = 0
; NumSgprs: 4
; NumVgprs: 0
; NumAgprs: 0
; TotalNumVgprs: 0
; ScratchSize: 0
; MemoryBound: 0
; FloatMode: 240
; IeeeMode: 1
; LDSByteSize: 0 bytes/workgroup (compile time only)
; SGPRBlocks: 0
; VGPRBlocks: 0
; NumSGPRsForWavesPerEU: 4
; NumVGPRsForWavesPerEU: 1
; AccumOffset: 4
; Occupancy: 8
; WaveLimiterHint : 0
; COMPUTE_PGM_RSRC2:SCRATCH_EN: 0
; COMPUTE_PGM_RSRC2:USER_SGPR: 6
; COMPUTE_PGM_RSRC2:TRAP_HANDLER: 0
; COMPUTE_PGM_RSRC2:TGID_X_EN: 1
; COMPUTE_PGM_RSRC2:TGID_Y_EN: 0
; COMPUTE_PGM_RSRC2:TGID_Z_EN: 0
; COMPUTE_PGM_RSRC2:TIDIG_COMP_CNT: 0
; COMPUTE_PGM_RSRC3_GFX90A:ACCUM_OFFSET: 0
; COMPUTE_PGM_RSRC3_GFX90A:TG_SPLIT: 0
	.section	.text._ZN7rocprim17ROCPRIM_400000_NS6detail17trampoline_kernelINS0_14default_configENS1_20scan_config_selectorIdEEZZNS1_9scan_implILNS1_25lookback_scan_determinismE0ELb1ELb1ES3_N6thrust23THRUST_200600_302600_NS6detail15normal_iteratorINS9_10device_ptrIdEEEESE_dNS9_4plusIvEEdEEDaPvRmT3_T4_T5_mT6_P12ihipStream_tbENKUlT_T0_E_clISt17integral_constantIbLb0EESU_EEDaSP_SQ_EUlSP_E0_NS1_11comp_targetILNS1_3genE4ELNS1_11target_archE910ELNS1_3gpuE8ELNS1_3repE0EEENS1_30default_config_static_selectorELNS0_4arch9wavefront6targetE1EEEvT1_,"axG",@progbits,_ZN7rocprim17ROCPRIM_400000_NS6detail17trampoline_kernelINS0_14default_configENS1_20scan_config_selectorIdEEZZNS1_9scan_implILNS1_25lookback_scan_determinismE0ELb1ELb1ES3_N6thrust23THRUST_200600_302600_NS6detail15normal_iteratorINS9_10device_ptrIdEEEESE_dNS9_4plusIvEEdEEDaPvRmT3_T4_T5_mT6_P12ihipStream_tbENKUlT_T0_E_clISt17integral_constantIbLb0EESU_EEDaSP_SQ_EUlSP_E0_NS1_11comp_targetILNS1_3genE4ELNS1_11target_archE910ELNS1_3gpuE8ELNS1_3repE0EEENS1_30default_config_static_selectorELNS0_4arch9wavefront6targetE1EEEvT1_,comdat
	.protected	_ZN7rocprim17ROCPRIM_400000_NS6detail17trampoline_kernelINS0_14default_configENS1_20scan_config_selectorIdEEZZNS1_9scan_implILNS1_25lookback_scan_determinismE0ELb1ELb1ES3_N6thrust23THRUST_200600_302600_NS6detail15normal_iteratorINS9_10device_ptrIdEEEESE_dNS9_4plusIvEEdEEDaPvRmT3_T4_T5_mT6_P12ihipStream_tbENKUlT_T0_E_clISt17integral_constantIbLb0EESU_EEDaSP_SQ_EUlSP_E0_NS1_11comp_targetILNS1_3genE4ELNS1_11target_archE910ELNS1_3gpuE8ELNS1_3repE0EEENS1_30default_config_static_selectorELNS0_4arch9wavefront6targetE1EEEvT1_ ; -- Begin function _ZN7rocprim17ROCPRIM_400000_NS6detail17trampoline_kernelINS0_14default_configENS1_20scan_config_selectorIdEEZZNS1_9scan_implILNS1_25lookback_scan_determinismE0ELb1ELb1ES3_N6thrust23THRUST_200600_302600_NS6detail15normal_iteratorINS9_10device_ptrIdEEEESE_dNS9_4plusIvEEdEEDaPvRmT3_T4_T5_mT6_P12ihipStream_tbENKUlT_T0_E_clISt17integral_constantIbLb0EESU_EEDaSP_SQ_EUlSP_E0_NS1_11comp_targetILNS1_3genE4ELNS1_11target_archE910ELNS1_3gpuE8ELNS1_3repE0EEENS1_30default_config_static_selectorELNS0_4arch9wavefront6targetE1EEEvT1_
	.globl	_ZN7rocprim17ROCPRIM_400000_NS6detail17trampoline_kernelINS0_14default_configENS1_20scan_config_selectorIdEEZZNS1_9scan_implILNS1_25lookback_scan_determinismE0ELb1ELb1ES3_N6thrust23THRUST_200600_302600_NS6detail15normal_iteratorINS9_10device_ptrIdEEEESE_dNS9_4plusIvEEdEEDaPvRmT3_T4_T5_mT6_P12ihipStream_tbENKUlT_T0_E_clISt17integral_constantIbLb0EESU_EEDaSP_SQ_EUlSP_E0_NS1_11comp_targetILNS1_3genE4ELNS1_11target_archE910ELNS1_3gpuE8ELNS1_3repE0EEENS1_30default_config_static_selectorELNS0_4arch9wavefront6targetE1EEEvT1_
	.p2align	8
	.type	_ZN7rocprim17ROCPRIM_400000_NS6detail17trampoline_kernelINS0_14default_configENS1_20scan_config_selectorIdEEZZNS1_9scan_implILNS1_25lookback_scan_determinismE0ELb1ELb1ES3_N6thrust23THRUST_200600_302600_NS6detail15normal_iteratorINS9_10device_ptrIdEEEESE_dNS9_4plusIvEEdEEDaPvRmT3_T4_T5_mT6_P12ihipStream_tbENKUlT_T0_E_clISt17integral_constantIbLb0EESU_EEDaSP_SQ_EUlSP_E0_NS1_11comp_targetILNS1_3genE4ELNS1_11target_archE910ELNS1_3gpuE8ELNS1_3repE0EEENS1_30default_config_static_selectorELNS0_4arch9wavefront6targetE1EEEvT1_,@function
_ZN7rocprim17ROCPRIM_400000_NS6detail17trampoline_kernelINS0_14default_configENS1_20scan_config_selectorIdEEZZNS1_9scan_implILNS1_25lookback_scan_determinismE0ELb1ELb1ES3_N6thrust23THRUST_200600_302600_NS6detail15normal_iteratorINS9_10device_ptrIdEEEESE_dNS9_4plusIvEEdEEDaPvRmT3_T4_T5_mT6_P12ihipStream_tbENKUlT_T0_E_clISt17integral_constantIbLb0EESU_EEDaSP_SQ_EUlSP_E0_NS1_11comp_targetILNS1_3genE4ELNS1_11target_archE910ELNS1_3gpuE8ELNS1_3repE0EEENS1_30default_config_static_selectorELNS0_4arch9wavefront6targetE1EEEvT1_: ; @_ZN7rocprim17ROCPRIM_400000_NS6detail17trampoline_kernelINS0_14default_configENS1_20scan_config_selectorIdEEZZNS1_9scan_implILNS1_25lookback_scan_determinismE0ELb1ELb1ES3_N6thrust23THRUST_200600_302600_NS6detail15normal_iteratorINS9_10device_ptrIdEEEESE_dNS9_4plusIvEEdEEDaPvRmT3_T4_T5_mT6_P12ihipStream_tbENKUlT_T0_E_clISt17integral_constantIbLb0EESU_EEDaSP_SQ_EUlSP_E0_NS1_11comp_targetILNS1_3genE4ELNS1_11target_archE910ELNS1_3gpuE8ELNS1_3repE0EEENS1_30default_config_static_selectorELNS0_4arch9wavefront6targetE1EEEvT1_
; %bb.0:
	s_load_dwordx4 s[20:23], s[4:5], 0x0
	v_lshlrev_b32_e32 v28, 3, v0
	s_waitcnt lgkmcnt(0)
	s_load_dwordx2 s[24:25], s[20:21], 0x0
	v_cmp_gt_u32_e32 vcc, s22, v0
	s_waitcnt lgkmcnt(0)
	v_pk_mov_b32 v[2:3], s[24:25], s[24:25] op_sel:[0,1]
	s_and_saveexec_b64 s[0:1], vcc
	s_cbranch_execz .LBB4225_2
; %bb.1:
	global_load_dwordx2 v[2:3], v28, s[20:21]
.LBB4225_2:
	s_or_b64 exec, exec, s[0:1]
	v_or_b32_e32 v1, 0x80, v0
	v_cmp_gt_u32_e64 s[0:1], s22, v1
	v_pk_mov_b32 v[4:5], s[24:25], s[24:25] op_sel:[0,1]
	s_and_saveexec_b64 s[2:3], s[0:1]
	s_cbranch_execz .LBB4225_4
; %bb.3:
	global_load_dwordx2 v[4:5], v28, s[20:21] offset:1024
.LBB4225_4:
	s_or_b64 exec, exec, s[2:3]
	v_or_b32_e32 v1, 0x100, v0
	v_cmp_gt_u32_e64 s[2:3], s22, v1
	v_pk_mov_b32 v[6:7], s[24:25], s[24:25] op_sel:[0,1]
	s_and_saveexec_b64 s[6:7], s[2:3]
	s_cbranch_execz .LBB4225_6
; %bb.5:
	global_load_dwordx2 v[6:7], v28, s[20:21] offset:2048
.LBB4225_6:
	;; [unrolled: 9-line block ×3, first 2 shown]
	s_or_b64 exec, exec, s[6:7]
	v_or_b32_e32 v1, 0x200, v0
	v_cmp_gt_u32_e64 s[6:7], s22, v1
	v_pk_mov_b32 v[10:11], s[24:25], s[24:25] op_sel:[0,1]
	s_and_saveexec_b64 s[8:9], s[6:7]
	s_cbranch_execz .LBB4225_10
; %bb.9:
	v_lshlrev_b32_e32 v1, 3, v1
	global_load_dwordx2 v[10:11], v1, s[20:21]
.LBB4225_10:
	s_or_b64 exec, exec, s[8:9]
	v_or_b32_e32 v1, 0x280, v0
	v_cmp_gt_u32_e64 s[8:9], s22, v1
	v_pk_mov_b32 v[12:13], s[24:25], s[24:25] op_sel:[0,1]
	s_and_saveexec_b64 s[10:11], s[8:9]
	s_cbranch_execz .LBB4225_12
; %bb.11:
	v_lshlrev_b32_e32 v1, 3, v1
	global_load_dwordx2 v[12:13], v1, s[20:21]
.LBB4225_12:
	;; [unrolled: 10-line block ×6, first 2 shown]
	s_or_b64 exec, exec, s[22:23]
	s_movk_i32 s20, 0x48
	v_mad_u32_u24 v1, v0, s20, v28
	s_waitcnt vmcnt(0)
	ds_write2st64_b64 v28, v[2:3], v[4:5] offset1:2
	ds_write2st64_b64 v28, v[6:7], v[8:9] offset0:4 offset1:6
	ds_write2st64_b64 v28, v[10:11], v[12:13] offset0:8 offset1:10
	;; [unrolled: 1-line block ×4, first 2 shown]
	s_waitcnt lgkmcnt(0)
	s_barrier
	ds_read_b128 v[14:17], v1
	ds_read_b128 v[10:13], v1 offset:16
	ds_read_b128 v[6:9], v1 offset:32
	;; [unrolled: 1-line block ×4, first 2 shown]
	s_waitcnt lgkmcnt(4)
	v_add_f64 v[22:23], v[14:15], v[16:17]
	s_waitcnt lgkmcnt(3)
	v_add_f64 v[22:23], v[22:23], v[10:11]
	v_add_f64 v[22:23], v[22:23], v[12:13]
	s_waitcnt lgkmcnt(2)
	v_add_f64 v[22:23], v[22:23], v[6:7]
	;; [unrolled: 3-line block ×4, first 2 shown]
	v_add_f64 v[20:21], v[22:23], v[20:21]
	v_mbcnt_lo_u32_b32 v22, -1, 0
	v_mbcnt_hi_u32_b32 v29, -1, v22
	v_and_b32_e32 v26, 15, v29
	v_mov_b32_dpp v22, v20 row_shr:1 row_mask:0xf bank_mask:0xf
	v_mov_b32_dpp v23, v21 row_shr:1 row_mask:0xf bank_mask:0xf
	v_add_f64 v[22:23], v[20:21], v[22:23]
	v_cmp_eq_u32_e64 s[20:21], 0, v26
	v_cndmask_b32_e64 v22, v22, v20, s[20:21]
	v_cndmask_b32_e64 v23, v23, v21, s[20:21]
	v_cmp_lt_u32_e64 s[20:21], 1, v26
	v_mov_b32_dpp v24, v22 row_shr:2 row_mask:0xf bank_mask:0xf
	v_mov_b32_dpp v25, v23 row_shr:2 row_mask:0xf bank_mask:0xf
	v_add_f64 v[24:25], v[22:23], v[24:25]
	v_cndmask_b32_e64 v22, v22, v24, s[20:21]
	v_cndmask_b32_e64 v23, v23, v25, s[20:21]
	v_cmp_lt_u32_e64 s[20:21], 3, v26
	v_mov_b32_dpp v24, v22 row_shr:4 row_mask:0xf bank_mask:0xf
	v_mov_b32_dpp v25, v23 row_shr:4 row_mask:0xf bank_mask:0xf
	v_add_f64 v[24:25], v[22:23], v[24:25]
	;; [unrolled: 6-line block ×3, first 2 shown]
	s_load_dwordx2 s[26:27], s[4:5], 0x10
	v_cndmask_b32_e64 v22, v22, v24, s[20:21]
	v_cndmask_b32_e64 v23, v23, v25, s[20:21]
	v_and_b32_e32 v30, 16, v29
	v_mov_b32_dpp v24, v22 row_bcast:15 row_mask:0xf bank_mask:0xf
	v_mov_b32_dpp v25, v23 row_bcast:15 row_mask:0xf bank_mask:0xf
	v_add_f64 v[26:27], v[22:23], v[24:25]
	v_cmp_eq_u32_e64 s[22:23], 0, v30
	v_cndmask_b32_e64 v25, v27, v23, s[22:23]
	v_cndmask_b32_e64 v24, v26, v22, s[22:23]
	v_cmp_eq_u32_e64 s[20:21], 0, v29
	v_mov_b32_dpp v25, v25 row_bcast:31 row_mask:0xf bank_mask:0xf
	v_mov_b32_dpp v24, v24 row_bcast:31 row_mask:0xf bank_mask:0xf
	v_cmp_ne_u32_e64 s[24:25], 0, v29
	s_waitcnt lgkmcnt(0)
	s_barrier
	s_and_saveexec_b64 s[28:29], s[24:25]
; %bb.21:
	v_cndmask_b32_e64 v21, v27, v23, s[22:23]
	v_cndmask_b32_e64 v20, v26, v22, s[22:23]
	v_add_f64 v[22:23], v[20:21], v[24:25]
	v_cmp_lt_u32_e64 s[22:23], 31, v29
	v_cndmask_b32_e64 v21, v21, v23, s[22:23]
	v_cndmask_b32_e64 v20, v20, v22, s[22:23]
; %bb.22:
	s_or_b64 exec, exec, s[28:29]
	v_or_b32_e32 v22, 63, v0
	v_lshrrev_b32_e32 v24, 6, v0
	v_cmp_eq_u32_e64 s[22:23], v22, v0
	s_and_saveexec_b64 s[24:25], s[22:23]
	s_cbranch_execz .LBB4225_24
; %bb.23:
	v_lshlrev_b32_e32 v22, 3, v24
	ds_write_b64 v22, v[20:21]
.LBB4225_24:
	s_or_b64 exec, exec, s[24:25]
	s_load_dwordx2 s[22:23], s[4:5], 0x20
	v_cmp_gt_u32_e64 s[4:5], 2, v0
	s_waitcnt lgkmcnt(0)
	s_barrier
	s_and_saveexec_b64 s[24:25], s[4:5]
	s_cbranch_execz .LBB4225_26
; %bb.25:
	ds_read_b64 v[22:23], v28
	v_and_b32_e32 v25, 1, v29
	v_cmp_eq_u32_e64 s[4:5], 0, v25
	s_waitcnt lgkmcnt(0)
	v_mov_b32_dpp v26, v22 row_shr:1 row_mask:0xf bank_mask:0xf
	v_mov_b32_dpp v27, v23 row_shr:1 row_mask:0xf bank_mask:0xf
	v_add_f64 v[26:27], v[22:23], v[26:27]
	v_cndmask_b32_e64 v23, v27, v23, s[4:5]
	v_cndmask_b32_e64 v22, v26, v22, s[4:5]
	ds_write_b64 v28, v[22:23]
.LBB4225_26:
	s_or_b64 exec, exec, s[24:25]
	v_cmp_lt_u32_e64 s[4:5], 63, v0
	v_pk_mov_b32 v[22:23], s[26:27], s[26:27] op_sel:[0,1]
	s_waitcnt lgkmcnt(0)
	s_barrier
	s_and_saveexec_b64 s[24:25], s[4:5]
	s_cbranch_execz .LBB4225_28
; %bb.27:
	v_lshl_add_u32 v22, v24, 3, -8
	ds_read_b64 v[22:23], v22
	s_waitcnt lgkmcnt(0)
	v_add_f64 v[22:23], s[26:27], v[22:23]
.LBB4225_28:
	s_or_b64 exec, exec, s[24:25]
	v_add_u32_e32 v24, -1, v29
	v_and_b32_e32 v25, 64, v29
	v_cmp_lt_i32_e64 s[4:5], v24, v25
	v_cndmask_b32_e64 v24, v24, v29, s[4:5]
	v_add_f64 v[20:21], v[20:21], v[22:23]
	v_lshlrev_b32_e32 v24, 2, v24
	ds_bpermute_b32 v20, v24, v20
	ds_bpermute_b32 v21, v24, v21
	v_cmp_eq_u32_e64 s[4:5], 0, v0
	s_waitcnt lgkmcnt(0)
	s_barrier
	v_cndmask_b32_e64 v20, v20, v22, s[20:21]
	v_cndmask_b32_e64 v21, v21, v23, s[20:21]
	v_mov_b32_e32 v22, s27
	v_cndmask_b32_e64 v21, v21, v22, s[4:5]
	v_mov_b32_e32 v22, s26
	v_cndmask_b32_e64 v20, v20, v22, s[4:5]
	v_add_f64 v[22:23], v[14:15], v[20:21]
	v_add_f64 v[14:15], v[16:17], v[22:23]
	v_add_f64 v[16:17], v[10:11], v[14:15]
	v_add_f64 v[10:11], v[12:13], v[16:17]
	v_add_f64 v[12:13], v[6:7], v[10:11]
	v_add_f64 v[6:7], v[8:9], v[12:13]
	v_add_f64 v[8:9], v[2:3], v[6:7]
	v_add_f64 v[2:3], v[4:5], v[8:9]
	s_movk_i32 s4, 0xffb8
	v_add_f64 v[4:5], v[18:19], v[2:3]
	v_mad_i32_i24 v0, v0, s4, v1
	ds_write_b128 v1, v[20:23]
	ds_write_b128 v1, v[14:17] offset:16
	ds_write_b128 v1, v[10:13] offset:32
	;; [unrolled: 1-line block ×4, first 2 shown]
	s_waitcnt lgkmcnt(0)
	s_barrier
	ds_read2st64_b64 v[12:15], v0 offset0:2 offset1:4
	ds_read2st64_b64 v[8:11], v0 offset0:6 offset1:8
	;; [unrolled: 1-line block ×4, first 2 shown]
	ds_read_b64 v[18:19], v28 offset:8192
	v_mov_b32_e32 v17, s23
	v_add_co_u32_e64 v16, s[4:5], s22, v28
	v_addc_co_u32_e64 v17, s[4:5], 0, v17, s[4:5]
	s_and_saveexec_b64 s[4:5], vcc
	s_cbranch_execnz .LBB4225_39
; %bb.29:
	s_or_b64 exec, exec, s[4:5]
	s_and_saveexec_b64 s[4:5], s[0:1]
	s_cbranch_execnz .LBB4225_40
.LBB4225_30:
	s_or_b64 exec, exec, s[4:5]
	s_and_saveexec_b64 s[0:1], s[2:3]
	s_cbranch_execnz .LBB4225_41
.LBB4225_31:
	s_or_b64 exec, exec, s[0:1]
	s_and_saveexec_b64 s[0:1], s[18:19]
	s_cbranch_execnz .LBB4225_42
.LBB4225_32:
	s_or_b64 exec, exec, s[0:1]
	s_and_saveexec_b64 s[0:1], s[6:7]
	s_cbranch_execnz .LBB4225_43
.LBB4225_33:
	s_or_b64 exec, exec, s[0:1]
	s_and_saveexec_b64 s[0:1], s[8:9]
	s_cbranch_execnz .LBB4225_44
.LBB4225_34:
	s_or_b64 exec, exec, s[0:1]
	s_and_saveexec_b64 s[0:1], s[10:11]
	s_cbranch_execnz .LBB4225_45
.LBB4225_35:
	s_or_b64 exec, exec, s[0:1]
	s_and_saveexec_b64 s[0:1], s[12:13]
	s_cbranch_execnz .LBB4225_46
.LBB4225_36:
	s_or_b64 exec, exec, s[0:1]
	s_and_saveexec_b64 s[0:1], s[14:15]
	s_cbranch_execnz .LBB4225_47
.LBB4225_37:
	s_or_b64 exec, exec, s[0:1]
	s_and_saveexec_b64 s[0:1], s[16:17]
	s_cbranch_execnz .LBB4225_48
.LBB4225_38:
	s_endpgm
.LBB4225_39:
	ds_read_b64 v[20:21], v28
	s_waitcnt lgkmcnt(0)
	global_store_dwordx2 v[16:17], v[20:21], off
	s_or_b64 exec, exec, s[4:5]
	s_and_saveexec_b64 s[4:5], s[0:1]
	s_cbranch_execz .LBB4225_30
.LBB4225_40:
	s_waitcnt lgkmcnt(4)
	global_store_dwordx2 v[16:17], v[12:13], off offset:1024
	s_or_b64 exec, exec, s[4:5]
	s_and_saveexec_b64 s[0:1], s[2:3]
	s_cbranch_execz .LBB4225_31
.LBB4225_41:
	s_waitcnt lgkmcnt(4)
	global_store_dwordx2 v[16:17], v[14:15], off offset:2048
	s_or_b64 exec, exec, s[0:1]
	s_and_saveexec_b64 s[0:1], s[18:19]
	s_cbranch_execz .LBB4225_32
.LBB4225_42:
	s_waitcnt lgkmcnt(3)
	global_store_dwordx2 v[16:17], v[8:9], off offset:3072
	s_or_b64 exec, exec, s[0:1]
	s_and_saveexec_b64 s[0:1], s[6:7]
	s_cbranch_execz .LBB4225_33
.LBB4225_43:
	s_waitcnt lgkmcnt(3)
	v_add_co_u32_e32 v8, vcc, 0x1000, v16
	v_addc_co_u32_e32 v9, vcc, 0, v17, vcc
	global_store_dwordx2 v[8:9], v[10:11], off
	s_or_b64 exec, exec, s[0:1]
	s_and_saveexec_b64 s[0:1], s[8:9]
	s_cbranch_execz .LBB4225_34
.LBB4225_44:
	s_waitcnt lgkmcnt(3)
	v_add_co_u32_e32 v8, vcc, 0x1000, v16
	v_addc_co_u32_e32 v9, vcc, 0, v17, vcc
	s_waitcnt lgkmcnt(2)
	global_store_dwordx2 v[8:9], v[4:5], off offset:1024
	s_or_b64 exec, exec, s[0:1]
	s_and_saveexec_b64 s[0:1], s[10:11]
	s_cbranch_execz .LBB4225_35
.LBB4225_45:
	s_waitcnt lgkmcnt(2)
	v_add_co_u32_e32 v4, vcc, 0x1000, v16
	v_addc_co_u32_e32 v5, vcc, 0, v17, vcc
	global_store_dwordx2 v[4:5], v[6:7], off offset:2048
	s_or_b64 exec, exec, s[0:1]
	s_and_saveexec_b64 s[0:1], s[12:13]
	s_cbranch_execz .LBB4225_36
.LBB4225_46:
	s_waitcnt lgkmcnt(2)
	v_add_co_u32_e32 v4, vcc, 0x1000, v16
	v_addc_co_u32_e32 v5, vcc, 0, v17, vcc
	s_waitcnt lgkmcnt(1)
	global_store_dwordx2 v[4:5], v[0:1], off offset:3072
	s_or_b64 exec, exec, s[0:1]
	s_and_saveexec_b64 s[0:1], s[14:15]
	s_cbranch_execz .LBB4225_37
.LBB4225_47:
	s_waitcnt lgkmcnt(1)
	v_add_co_u32_e32 v0, vcc, 0x2000, v16
	v_addc_co_u32_e32 v1, vcc, 0, v17, vcc
	s_waitcnt lgkmcnt(0)
	global_store_dwordx2 v[0:1], v[18:19], off
	s_or_b64 exec, exec, s[0:1]
	s_and_saveexec_b64 s[0:1], s[16:17]
	s_cbranch_execz .LBB4225_38
.LBB4225_48:
	s_waitcnt lgkmcnt(1)
	v_add_co_u32_e32 v0, vcc, 0x2000, v16
	v_addc_co_u32_e32 v1, vcc, 0, v17, vcc
	global_store_dwordx2 v[0:1], v[2:3], off offset:1024
	s_endpgm
	.section	.rodata,"a",@progbits
	.p2align	6, 0x0
	.amdhsa_kernel _ZN7rocprim17ROCPRIM_400000_NS6detail17trampoline_kernelINS0_14default_configENS1_20scan_config_selectorIdEEZZNS1_9scan_implILNS1_25lookback_scan_determinismE0ELb1ELb1ES3_N6thrust23THRUST_200600_302600_NS6detail15normal_iteratorINS9_10device_ptrIdEEEESE_dNS9_4plusIvEEdEEDaPvRmT3_T4_T5_mT6_P12ihipStream_tbENKUlT_T0_E_clISt17integral_constantIbLb0EESU_EEDaSP_SQ_EUlSP_E0_NS1_11comp_targetILNS1_3genE4ELNS1_11target_archE910ELNS1_3gpuE8ELNS1_3repE0EEENS1_30default_config_static_selectorELNS0_4arch9wavefront6targetE1EEEvT1_
		.amdhsa_group_segment_fixed_size 10240
		.amdhsa_private_segment_fixed_size 0
		.amdhsa_kernarg_size 40
		.amdhsa_user_sgpr_count 6
		.amdhsa_user_sgpr_private_segment_buffer 1
		.amdhsa_user_sgpr_dispatch_ptr 0
		.amdhsa_user_sgpr_queue_ptr 0
		.amdhsa_user_sgpr_kernarg_segment_ptr 1
		.amdhsa_user_sgpr_dispatch_id 0
		.amdhsa_user_sgpr_flat_scratch_init 0
		.amdhsa_user_sgpr_kernarg_preload_length 0
		.amdhsa_user_sgpr_kernarg_preload_offset 0
		.amdhsa_user_sgpr_private_segment_size 0
		.amdhsa_uses_dynamic_stack 0
		.amdhsa_system_sgpr_private_segment_wavefront_offset 0
		.amdhsa_system_sgpr_workgroup_id_x 1
		.amdhsa_system_sgpr_workgroup_id_y 0
		.amdhsa_system_sgpr_workgroup_id_z 0
		.amdhsa_system_sgpr_workgroup_info 0
		.amdhsa_system_vgpr_workitem_id 0
		.amdhsa_next_free_vgpr 31
		.amdhsa_next_free_sgpr 30
		.amdhsa_accum_offset 32
		.amdhsa_reserve_vcc 1
		.amdhsa_reserve_flat_scratch 0
		.amdhsa_float_round_mode_32 0
		.amdhsa_float_round_mode_16_64 0
		.amdhsa_float_denorm_mode_32 3
		.amdhsa_float_denorm_mode_16_64 3
		.amdhsa_dx10_clamp 1
		.amdhsa_ieee_mode 1
		.amdhsa_fp16_overflow 0
		.amdhsa_tg_split 0
		.amdhsa_exception_fp_ieee_invalid_op 0
		.amdhsa_exception_fp_denorm_src 0
		.amdhsa_exception_fp_ieee_div_zero 0
		.amdhsa_exception_fp_ieee_overflow 0
		.amdhsa_exception_fp_ieee_underflow 0
		.amdhsa_exception_fp_ieee_inexact 0
		.amdhsa_exception_int_div_zero 0
	.end_amdhsa_kernel
	.section	.text._ZN7rocprim17ROCPRIM_400000_NS6detail17trampoline_kernelINS0_14default_configENS1_20scan_config_selectorIdEEZZNS1_9scan_implILNS1_25lookback_scan_determinismE0ELb1ELb1ES3_N6thrust23THRUST_200600_302600_NS6detail15normal_iteratorINS9_10device_ptrIdEEEESE_dNS9_4plusIvEEdEEDaPvRmT3_T4_T5_mT6_P12ihipStream_tbENKUlT_T0_E_clISt17integral_constantIbLb0EESU_EEDaSP_SQ_EUlSP_E0_NS1_11comp_targetILNS1_3genE4ELNS1_11target_archE910ELNS1_3gpuE8ELNS1_3repE0EEENS1_30default_config_static_selectorELNS0_4arch9wavefront6targetE1EEEvT1_,"axG",@progbits,_ZN7rocprim17ROCPRIM_400000_NS6detail17trampoline_kernelINS0_14default_configENS1_20scan_config_selectorIdEEZZNS1_9scan_implILNS1_25lookback_scan_determinismE0ELb1ELb1ES3_N6thrust23THRUST_200600_302600_NS6detail15normal_iteratorINS9_10device_ptrIdEEEESE_dNS9_4plusIvEEdEEDaPvRmT3_T4_T5_mT6_P12ihipStream_tbENKUlT_T0_E_clISt17integral_constantIbLb0EESU_EEDaSP_SQ_EUlSP_E0_NS1_11comp_targetILNS1_3genE4ELNS1_11target_archE910ELNS1_3gpuE8ELNS1_3repE0EEENS1_30default_config_static_selectorELNS0_4arch9wavefront6targetE1EEEvT1_,comdat
.Lfunc_end4225:
	.size	_ZN7rocprim17ROCPRIM_400000_NS6detail17trampoline_kernelINS0_14default_configENS1_20scan_config_selectorIdEEZZNS1_9scan_implILNS1_25lookback_scan_determinismE0ELb1ELb1ES3_N6thrust23THRUST_200600_302600_NS6detail15normal_iteratorINS9_10device_ptrIdEEEESE_dNS9_4plusIvEEdEEDaPvRmT3_T4_T5_mT6_P12ihipStream_tbENKUlT_T0_E_clISt17integral_constantIbLb0EESU_EEDaSP_SQ_EUlSP_E0_NS1_11comp_targetILNS1_3genE4ELNS1_11target_archE910ELNS1_3gpuE8ELNS1_3repE0EEENS1_30default_config_static_selectorELNS0_4arch9wavefront6targetE1EEEvT1_, .Lfunc_end4225-_ZN7rocprim17ROCPRIM_400000_NS6detail17trampoline_kernelINS0_14default_configENS1_20scan_config_selectorIdEEZZNS1_9scan_implILNS1_25lookback_scan_determinismE0ELb1ELb1ES3_N6thrust23THRUST_200600_302600_NS6detail15normal_iteratorINS9_10device_ptrIdEEEESE_dNS9_4plusIvEEdEEDaPvRmT3_T4_T5_mT6_P12ihipStream_tbENKUlT_T0_E_clISt17integral_constantIbLb0EESU_EEDaSP_SQ_EUlSP_E0_NS1_11comp_targetILNS1_3genE4ELNS1_11target_archE910ELNS1_3gpuE8ELNS1_3repE0EEENS1_30default_config_static_selectorELNS0_4arch9wavefront6targetE1EEEvT1_
                                        ; -- End function
	.section	.AMDGPU.csdata,"",@progbits
; Kernel info:
; codeLenInByte = 2000
; NumSgprs: 34
; NumVgprs: 31
; NumAgprs: 0
; TotalNumVgprs: 31
; ScratchSize: 0
; MemoryBound: 0
; FloatMode: 240
; IeeeMode: 1
; LDSByteSize: 10240 bytes/workgroup (compile time only)
; SGPRBlocks: 4
; VGPRBlocks: 3
; NumSGPRsForWavesPerEU: 34
; NumVGPRsForWavesPerEU: 31
; AccumOffset: 32
; Occupancy: 3
; WaveLimiterHint : 0
; COMPUTE_PGM_RSRC2:SCRATCH_EN: 0
; COMPUTE_PGM_RSRC2:USER_SGPR: 6
; COMPUTE_PGM_RSRC2:TRAP_HANDLER: 0
; COMPUTE_PGM_RSRC2:TGID_X_EN: 1
; COMPUTE_PGM_RSRC2:TGID_Y_EN: 0
; COMPUTE_PGM_RSRC2:TGID_Z_EN: 0
; COMPUTE_PGM_RSRC2:TIDIG_COMP_CNT: 0
; COMPUTE_PGM_RSRC3_GFX90A:ACCUM_OFFSET: 7
; COMPUTE_PGM_RSRC3_GFX90A:TG_SPLIT: 0
	.section	.text._ZN7rocprim17ROCPRIM_400000_NS6detail17trampoline_kernelINS0_14default_configENS1_20scan_config_selectorIdEEZZNS1_9scan_implILNS1_25lookback_scan_determinismE0ELb1ELb1ES3_N6thrust23THRUST_200600_302600_NS6detail15normal_iteratorINS9_10device_ptrIdEEEESE_dNS9_4plusIvEEdEEDaPvRmT3_T4_T5_mT6_P12ihipStream_tbENKUlT_T0_E_clISt17integral_constantIbLb0EESU_EEDaSP_SQ_EUlSP_E0_NS1_11comp_targetILNS1_3genE3ELNS1_11target_archE908ELNS1_3gpuE7ELNS1_3repE0EEENS1_30default_config_static_selectorELNS0_4arch9wavefront6targetE1EEEvT1_,"axG",@progbits,_ZN7rocprim17ROCPRIM_400000_NS6detail17trampoline_kernelINS0_14default_configENS1_20scan_config_selectorIdEEZZNS1_9scan_implILNS1_25lookback_scan_determinismE0ELb1ELb1ES3_N6thrust23THRUST_200600_302600_NS6detail15normal_iteratorINS9_10device_ptrIdEEEESE_dNS9_4plusIvEEdEEDaPvRmT3_T4_T5_mT6_P12ihipStream_tbENKUlT_T0_E_clISt17integral_constantIbLb0EESU_EEDaSP_SQ_EUlSP_E0_NS1_11comp_targetILNS1_3genE3ELNS1_11target_archE908ELNS1_3gpuE7ELNS1_3repE0EEENS1_30default_config_static_selectorELNS0_4arch9wavefront6targetE1EEEvT1_,comdat
	.protected	_ZN7rocprim17ROCPRIM_400000_NS6detail17trampoline_kernelINS0_14default_configENS1_20scan_config_selectorIdEEZZNS1_9scan_implILNS1_25lookback_scan_determinismE0ELb1ELb1ES3_N6thrust23THRUST_200600_302600_NS6detail15normal_iteratorINS9_10device_ptrIdEEEESE_dNS9_4plusIvEEdEEDaPvRmT3_T4_T5_mT6_P12ihipStream_tbENKUlT_T0_E_clISt17integral_constantIbLb0EESU_EEDaSP_SQ_EUlSP_E0_NS1_11comp_targetILNS1_3genE3ELNS1_11target_archE908ELNS1_3gpuE7ELNS1_3repE0EEENS1_30default_config_static_selectorELNS0_4arch9wavefront6targetE1EEEvT1_ ; -- Begin function _ZN7rocprim17ROCPRIM_400000_NS6detail17trampoline_kernelINS0_14default_configENS1_20scan_config_selectorIdEEZZNS1_9scan_implILNS1_25lookback_scan_determinismE0ELb1ELb1ES3_N6thrust23THRUST_200600_302600_NS6detail15normal_iteratorINS9_10device_ptrIdEEEESE_dNS9_4plusIvEEdEEDaPvRmT3_T4_T5_mT6_P12ihipStream_tbENKUlT_T0_E_clISt17integral_constantIbLb0EESU_EEDaSP_SQ_EUlSP_E0_NS1_11comp_targetILNS1_3genE3ELNS1_11target_archE908ELNS1_3gpuE7ELNS1_3repE0EEENS1_30default_config_static_selectorELNS0_4arch9wavefront6targetE1EEEvT1_
	.globl	_ZN7rocprim17ROCPRIM_400000_NS6detail17trampoline_kernelINS0_14default_configENS1_20scan_config_selectorIdEEZZNS1_9scan_implILNS1_25lookback_scan_determinismE0ELb1ELb1ES3_N6thrust23THRUST_200600_302600_NS6detail15normal_iteratorINS9_10device_ptrIdEEEESE_dNS9_4plusIvEEdEEDaPvRmT3_T4_T5_mT6_P12ihipStream_tbENKUlT_T0_E_clISt17integral_constantIbLb0EESU_EEDaSP_SQ_EUlSP_E0_NS1_11comp_targetILNS1_3genE3ELNS1_11target_archE908ELNS1_3gpuE7ELNS1_3repE0EEENS1_30default_config_static_selectorELNS0_4arch9wavefront6targetE1EEEvT1_
	.p2align	8
	.type	_ZN7rocprim17ROCPRIM_400000_NS6detail17trampoline_kernelINS0_14default_configENS1_20scan_config_selectorIdEEZZNS1_9scan_implILNS1_25lookback_scan_determinismE0ELb1ELb1ES3_N6thrust23THRUST_200600_302600_NS6detail15normal_iteratorINS9_10device_ptrIdEEEESE_dNS9_4plusIvEEdEEDaPvRmT3_T4_T5_mT6_P12ihipStream_tbENKUlT_T0_E_clISt17integral_constantIbLb0EESU_EEDaSP_SQ_EUlSP_E0_NS1_11comp_targetILNS1_3genE3ELNS1_11target_archE908ELNS1_3gpuE7ELNS1_3repE0EEENS1_30default_config_static_selectorELNS0_4arch9wavefront6targetE1EEEvT1_,@function
_ZN7rocprim17ROCPRIM_400000_NS6detail17trampoline_kernelINS0_14default_configENS1_20scan_config_selectorIdEEZZNS1_9scan_implILNS1_25lookback_scan_determinismE0ELb1ELb1ES3_N6thrust23THRUST_200600_302600_NS6detail15normal_iteratorINS9_10device_ptrIdEEEESE_dNS9_4plusIvEEdEEDaPvRmT3_T4_T5_mT6_P12ihipStream_tbENKUlT_T0_E_clISt17integral_constantIbLb0EESU_EEDaSP_SQ_EUlSP_E0_NS1_11comp_targetILNS1_3genE3ELNS1_11target_archE908ELNS1_3gpuE7ELNS1_3repE0EEENS1_30default_config_static_selectorELNS0_4arch9wavefront6targetE1EEEvT1_: ; @_ZN7rocprim17ROCPRIM_400000_NS6detail17trampoline_kernelINS0_14default_configENS1_20scan_config_selectorIdEEZZNS1_9scan_implILNS1_25lookback_scan_determinismE0ELb1ELb1ES3_N6thrust23THRUST_200600_302600_NS6detail15normal_iteratorINS9_10device_ptrIdEEEESE_dNS9_4plusIvEEdEEDaPvRmT3_T4_T5_mT6_P12ihipStream_tbENKUlT_T0_E_clISt17integral_constantIbLb0EESU_EEDaSP_SQ_EUlSP_E0_NS1_11comp_targetILNS1_3genE3ELNS1_11target_archE908ELNS1_3gpuE7ELNS1_3repE0EEENS1_30default_config_static_selectorELNS0_4arch9wavefront6targetE1EEEvT1_
; %bb.0:
	.section	.rodata,"a",@progbits
	.p2align	6, 0x0
	.amdhsa_kernel _ZN7rocprim17ROCPRIM_400000_NS6detail17trampoline_kernelINS0_14default_configENS1_20scan_config_selectorIdEEZZNS1_9scan_implILNS1_25lookback_scan_determinismE0ELb1ELb1ES3_N6thrust23THRUST_200600_302600_NS6detail15normal_iteratorINS9_10device_ptrIdEEEESE_dNS9_4plusIvEEdEEDaPvRmT3_T4_T5_mT6_P12ihipStream_tbENKUlT_T0_E_clISt17integral_constantIbLb0EESU_EEDaSP_SQ_EUlSP_E0_NS1_11comp_targetILNS1_3genE3ELNS1_11target_archE908ELNS1_3gpuE7ELNS1_3repE0EEENS1_30default_config_static_selectorELNS0_4arch9wavefront6targetE1EEEvT1_
		.amdhsa_group_segment_fixed_size 0
		.amdhsa_private_segment_fixed_size 0
		.amdhsa_kernarg_size 40
		.amdhsa_user_sgpr_count 6
		.amdhsa_user_sgpr_private_segment_buffer 1
		.amdhsa_user_sgpr_dispatch_ptr 0
		.amdhsa_user_sgpr_queue_ptr 0
		.amdhsa_user_sgpr_kernarg_segment_ptr 1
		.amdhsa_user_sgpr_dispatch_id 0
		.amdhsa_user_sgpr_flat_scratch_init 0
		.amdhsa_user_sgpr_kernarg_preload_length 0
		.amdhsa_user_sgpr_kernarg_preload_offset 0
		.amdhsa_user_sgpr_private_segment_size 0
		.amdhsa_uses_dynamic_stack 0
		.amdhsa_system_sgpr_private_segment_wavefront_offset 0
		.amdhsa_system_sgpr_workgroup_id_x 1
		.amdhsa_system_sgpr_workgroup_id_y 0
		.amdhsa_system_sgpr_workgroup_id_z 0
		.amdhsa_system_sgpr_workgroup_info 0
		.amdhsa_system_vgpr_workitem_id 0
		.amdhsa_next_free_vgpr 1
		.amdhsa_next_free_sgpr 0
		.amdhsa_accum_offset 4
		.amdhsa_reserve_vcc 0
		.amdhsa_reserve_flat_scratch 0
		.amdhsa_float_round_mode_32 0
		.amdhsa_float_round_mode_16_64 0
		.amdhsa_float_denorm_mode_32 3
		.amdhsa_float_denorm_mode_16_64 3
		.amdhsa_dx10_clamp 1
		.amdhsa_ieee_mode 1
		.amdhsa_fp16_overflow 0
		.amdhsa_tg_split 0
		.amdhsa_exception_fp_ieee_invalid_op 0
		.amdhsa_exception_fp_denorm_src 0
		.amdhsa_exception_fp_ieee_div_zero 0
		.amdhsa_exception_fp_ieee_overflow 0
		.amdhsa_exception_fp_ieee_underflow 0
		.amdhsa_exception_fp_ieee_inexact 0
		.amdhsa_exception_int_div_zero 0
	.end_amdhsa_kernel
	.section	.text._ZN7rocprim17ROCPRIM_400000_NS6detail17trampoline_kernelINS0_14default_configENS1_20scan_config_selectorIdEEZZNS1_9scan_implILNS1_25lookback_scan_determinismE0ELb1ELb1ES3_N6thrust23THRUST_200600_302600_NS6detail15normal_iteratorINS9_10device_ptrIdEEEESE_dNS9_4plusIvEEdEEDaPvRmT3_T4_T5_mT6_P12ihipStream_tbENKUlT_T0_E_clISt17integral_constantIbLb0EESU_EEDaSP_SQ_EUlSP_E0_NS1_11comp_targetILNS1_3genE3ELNS1_11target_archE908ELNS1_3gpuE7ELNS1_3repE0EEENS1_30default_config_static_selectorELNS0_4arch9wavefront6targetE1EEEvT1_,"axG",@progbits,_ZN7rocprim17ROCPRIM_400000_NS6detail17trampoline_kernelINS0_14default_configENS1_20scan_config_selectorIdEEZZNS1_9scan_implILNS1_25lookback_scan_determinismE0ELb1ELb1ES3_N6thrust23THRUST_200600_302600_NS6detail15normal_iteratorINS9_10device_ptrIdEEEESE_dNS9_4plusIvEEdEEDaPvRmT3_T4_T5_mT6_P12ihipStream_tbENKUlT_T0_E_clISt17integral_constantIbLb0EESU_EEDaSP_SQ_EUlSP_E0_NS1_11comp_targetILNS1_3genE3ELNS1_11target_archE908ELNS1_3gpuE7ELNS1_3repE0EEENS1_30default_config_static_selectorELNS0_4arch9wavefront6targetE1EEEvT1_,comdat
.Lfunc_end4226:
	.size	_ZN7rocprim17ROCPRIM_400000_NS6detail17trampoline_kernelINS0_14default_configENS1_20scan_config_selectorIdEEZZNS1_9scan_implILNS1_25lookback_scan_determinismE0ELb1ELb1ES3_N6thrust23THRUST_200600_302600_NS6detail15normal_iteratorINS9_10device_ptrIdEEEESE_dNS9_4plusIvEEdEEDaPvRmT3_T4_T5_mT6_P12ihipStream_tbENKUlT_T0_E_clISt17integral_constantIbLb0EESU_EEDaSP_SQ_EUlSP_E0_NS1_11comp_targetILNS1_3genE3ELNS1_11target_archE908ELNS1_3gpuE7ELNS1_3repE0EEENS1_30default_config_static_selectorELNS0_4arch9wavefront6targetE1EEEvT1_, .Lfunc_end4226-_ZN7rocprim17ROCPRIM_400000_NS6detail17trampoline_kernelINS0_14default_configENS1_20scan_config_selectorIdEEZZNS1_9scan_implILNS1_25lookback_scan_determinismE0ELb1ELb1ES3_N6thrust23THRUST_200600_302600_NS6detail15normal_iteratorINS9_10device_ptrIdEEEESE_dNS9_4plusIvEEdEEDaPvRmT3_T4_T5_mT6_P12ihipStream_tbENKUlT_T0_E_clISt17integral_constantIbLb0EESU_EEDaSP_SQ_EUlSP_E0_NS1_11comp_targetILNS1_3genE3ELNS1_11target_archE908ELNS1_3gpuE7ELNS1_3repE0EEENS1_30default_config_static_selectorELNS0_4arch9wavefront6targetE1EEEvT1_
                                        ; -- End function
	.section	.AMDGPU.csdata,"",@progbits
; Kernel info:
; codeLenInByte = 0
; NumSgprs: 4
; NumVgprs: 0
; NumAgprs: 0
; TotalNumVgprs: 0
; ScratchSize: 0
; MemoryBound: 0
; FloatMode: 240
; IeeeMode: 1
; LDSByteSize: 0 bytes/workgroup (compile time only)
; SGPRBlocks: 0
; VGPRBlocks: 0
; NumSGPRsForWavesPerEU: 4
; NumVGPRsForWavesPerEU: 1
; AccumOffset: 4
; Occupancy: 8
; WaveLimiterHint : 0
; COMPUTE_PGM_RSRC2:SCRATCH_EN: 0
; COMPUTE_PGM_RSRC2:USER_SGPR: 6
; COMPUTE_PGM_RSRC2:TRAP_HANDLER: 0
; COMPUTE_PGM_RSRC2:TGID_X_EN: 1
; COMPUTE_PGM_RSRC2:TGID_Y_EN: 0
; COMPUTE_PGM_RSRC2:TGID_Z_EN: 0
; COMPUTE_PGM_RSRC2:TIDIG_COMP_CNT: 0
; COMPUTE_PGM_RSRC3_GFX90A:ACCUM_OFFSET: 0
; COMPUTE_PGM_RSRC3_GFX90A:TG_SPLIT: 0
	.section	.text._ZN7rocprim17ROCPRIM_400000_NS6detail17trampoline_kernelINS0_14default_configENS1_20scan_config_selectorIdEEZZNS1_9scan_implILNS1_25lookback_scan_determinismE0ELb1ELb1ES3_N6thrust23THRUST_200600_302600_NS6detail15normal_iteratorINS9_10device_ptrIdEEEESE_dNS9_4plusIvEEdEEDaPvRmT3_T4_T5_mT6_P12ihipStream_tbENKUlT_T0_E_clISt17integral_constantIbLb0EESU_EEDaSP_SQ_EUlSP_E0_NS1_11comp_targetILNS1_3genE2ELNS1_11target_archE906ELNS1_3gpuE6ELNS1_3repE0EEENS1_30default_config_static_selectorELNS0_4arch9wavefront6targetE1EEEvT1_,"axG",@progbits,_ZN7rocprim17ROCPRIM_400000_NS6detail17trampoline_kernelINS0_14default_configENS1_20scan_config_selectorIdEEZZNS1_9scan_implILNS1_25lookback_scan_determinismE0ELb1ELb1ES3_N6thrust23THRUST_200600_302600_NS6detail15normal_iteratorINS9_10device_ptrIdEEEESE_dNS9_4plusIvEEdEEDaPvRmT3_T4_T5_mT6_P12ihipStream_tbENKUlT_T0_E_clISt17integral_constantIbLb0EESU_EEDaSP_SQ_EUlSP_E0_NS1_11comp_targetILNS1_3genE2ELNS1_11target_archE906ELNS1_3gpuE6ELNS1_3repE0EEENS1_30default_config_static_selectorELNS0_4arch9wavefront6targetE1EEEvT1_,comdat
	.protected	_ZN7rocprim17ROCPRIM_400000_NS6detail17trampoline_kernelINS0_14default_configENS1_20scan_config_selectorIdEEZZNS1_9scan_implILNS1_25lookback_scan_determinismE0ELb1ELb1ES3_N6thrust23THRUST_200600_302600_NS6detail15normal_iteratorINS9_10device_ptrIdEEEESE_dNS9_4plusIvEEdEEDaPvRmT3_T4_T5_mT6_P12ihipStream_tbENKUlT_T0_E_clISt17integral_constantIbLb0EESU_EEDaSP_SQ_EUlSP_E0_NS1_11comp_targetILNS1_3genE2ELNS1_11target_archE906ELNS1_3gpuE6ELNS1_3repE0EEENS1_30default_config_static_selectorELNS0_4arch9wavefront6targetE1EEEvT1_ ; -- Begin function _ZN7rocprim17ROCPRIM_400000_NS6detail17trampoline_kernelINS0_14default_configENS1_20scan_config_selectorIdEEZZNS1_9scan_implILNS1_25lookback_scan_determinismE0ELb1ELb1ES3_N6thrust23THRUST_200600_302600_NS6detail15normal_iteratorINS9_10device_ptrIdEEEESE_dNS9_4plusIvEEdEEDaPvRmT3_T4_T5_mT6_P12ihipStream_tbENKUlT_T0_E_clISt17integral_constantIbLb0EESU_EEDaSP_SQ_EUlSP_E0_NS1_11comp_targetILNS1_3genE2ELNS1_11target_archE906ELNS1_3gpuE6ELNS1_3repE0EEENS1_30default_config_static_selectorELNS0_4arch9wavefront6targetE1EEEvT1_
	.globl	_ZN7rocprim17ROCPRIM_400000_NS6detail17trampoline_kernelINS0_14default_configENS1_20scan_config_selectorIdEEZZNS1_9scan_implILNS1_25lookback_scan_determinismE0ELb1ELb1ES3_N6thrust23THRUST_200600_302600_NS6detail15normal_iteratorINS9_10device_ptrIdEEEESE_dNS9_4plusIvEEdEEDaPvRmT3_T4_T5_mT6_P12ihipStream_tbENKUlT_T0_E_clISt17integral_constantIbLb0EESU_EEDaSP_SQ_EUlSP_E0_NS1_11comp_targetILNS1_3genE2ELNS1_11target_archE906ELNS1_3gpuE6ELNS1_3repE0EEENS1_30default_config_static_selectorELNS0_4arch9wavefront6targetE1EEEvT1_
	.p2align	8
	.type	_ZN7rocprim17ROCPRIM_400000_NS6detail17trampoline_kernelINS0_14default_configENS1_20scan_config_selectorIdEEZZNS1_9scan_implILNS1_25lookback_scan_determinismE0ELb1ELb1ES3_N6thrust23THRUST_200600_302600_NS6detail15normal_iteratorINS9_10device_ptrIdEEEESE_dNS9_4plusIvEEdEEDaPvRmT3_T4_T5_mT6_P12ihipStream_tbENKUlT_T0_E_clISt17integral_constantIbLb0EESU_EEDaSP_SQ_EUlSP_E0_NS1_11comp_targetILNS1_3genE2ELNS1_11target_archE906ELNS1_3gpuE6ELNS1_3repE0EEENS1_30default_config_static_selectorELNS0_4arch9wavefront6targetE1EEEvT1_,@function
_ZN7rocprim17ROCPRIM_400000_NS6detail17trampoline_kernelINS0_14default_configENS1_20scan_config_selectorIdEEZZNS1_9scan_implILNS1_25lookback_scan_determinismE0ELb1ELb1ES3_N6thrust23THRUST_200600_302600_NS6detail15normal_iteratorINS9_10device_ptrIdEEEESE_dNS9_4plusIvEEdEEDaPvRmT3_T4_T5_mT6_P12ihipStream_tbENKUlT_T0_E_clISt17integral_constantIbLb0EESU_EEDaSP_SQ_EUlSP_E0_NS1_11comp_targetILNS1_3genE2ELNS1_11target_archE906ELNS1_3gpuE6ELNS1_3repE0EEENS1_30default_config_static_selectorELNS0_4arch9wavefront6targetE1EEEvT1_: ; @_ZN7rocprim17ROCPRIM_400000_NS6detail17trampoline_kernelINS0_14default_configENS1_20scan_config_selectorIdEEZZNS1_9scan_implILNS1_25lookback_scan_determinismE0ELb1ELb1ES3_N6thrust23THRUST_200600_302600_NS6detail15normal_iteratorINS9_10device_ptrIdEEEESE_dNS9_4plusIvEEdEEDaPvRmT3_T4_T5_mT6_P12ihipStream_tbENKUlT_T0_E_clISt17integral_constantIbLb0EESU_EEDaSP_SQ_EUlSP_E0_NS1_11comp_targetILNS1_3genE2ELNS1_11target_archE906ELNS1_3gpuE6ELNS1_3repE0EEENS1_30default_config_static_selectorELNS0_4arch9wavefront6targetE1EEEvT1_
; %bb.0:
	.section	.rodata,"a",@progbits
	.p2align	6, 0x0
	.amdhsa_kernel _ZN7rocprim17ROCPRIM_400000_NS6detail17trampoline_kernelINS0_14default_configENS1_20scan_config_selectorIdEEZZNS1_9scan_implILNS1_25lookback_scan_determinismE0ELb1ELb1ES3_N6thrust23THRUST_200600_302600_NS6detail15normal_iteratorINS9_10device_ptrIdEEEESE_dNS9_4plusIvEEdEEDaPvRmT3_T4_T5_mT6_P12ihipStream_tbENKUlT_T0_E_clISt17integral_constantIbLb0EESU_EEDaSP_SQ_EUlSP_E0_NS1_11comp_targetILNS1_3genE2ELNS1_11target_archE906ELNS1_3gpuE6ELNS1_3repE0EEENS1_30default_config_static_selectorELNS0_4arch9wavefront6targetE1EEEvT1_
		.amdhsa_group_segment_fixed_size 0
		.amdhsa_private_segment_fixed_size 0
		.amdhsa_kernarg_size 40
		.amdhsa_user_sgpr_count 6
		.amdhsa_user_sgpr_private_segment_buffer 1
		.amdhsa_user_sgpr_dispatch_ptr 0
		.amdhsa_user_sgpr_queue_ptr 0
		.amdhsa_user_sgpr_kernarg_segment_ptr 1
		.amdhsa_user_sgpr_dispatch_id 0
		.amdhsa_user_sgpr_flat_scratch_init 0
		.amdhsa_user_sgpr_kernarg_preload_length 0
		.amdhsa_user_sgpr_kernarg_preload_offset 0
		.amdhsa_user_sgpr_private_segment_size 0
		.amdhsa_uses_dynamic_stack 0
		.amdhsa_system_sgpr_private_segment_wavefront_offset 0
		.amdhsa_system_sgpr_workgroup_id_x 1
		.amdhsa_system_sgpr_workgroup_id_y 0
		.amdhsa_system_sgpr_workgroup_id_z 0
		.amdhsa_system_sgpr_workgroup_info 0
		.amdhsa_system_vgpr_workitem_id 0
		.amdhsa_next_free_vgpr 1
		.amdhsa_next_free_sgpr 0
		.amdhsa_accum_offset 4
		.amdhsa_reserve_vcc 0
		.amdhsa_reserve_flat_scratch 0
		.amdhsa_float_round_mode_32 0
		.amdhsa_float_round_mode_16_64 0
		.amdhsa_float_denorm_mode_32 3
		.amdhsa_float_denorm_mode_16_64 3
		.amdhsa_dx10_clamp 1
		.amdhsa_ieee_mode 1
		.amdhsa_fp16_overflow 0
		.amdhsa_tg_split 0
		.amdhsa_exception_fp_ieee_invalid_op 0
		.amdhsa_exception_fp_denorm_src 0
		.amdhsa_exception_fp_ieee_div_zero 0
		.amdhsa_exception_fp_ieee_overflow 0
		.amdhsa_exception_fp_ieee_underflow 0
		.amdhsa_exception_fp_ieee_inexact 0
		.amdhsa_exception_int_div_zero 0
	.end_amdhsa_kernel
	.section	.text._ZN7rocprim17ROCPRIM_400000_NS6detail17trampoline_kernelINS0_14default_configENS1_20scan_config_selectorIdEEZZNS1_9scan_implILNS1_25lookback_scan_determinismE0ELb1ELb1ES3_N6thrust23THRUST_200600_302600_NS6detail15normal_iteratorINS9_10device_ptrIdEEEESE_dNS9_4plusIvEEdEEDaPvRmT3_T4_T5_mT6_P12ihipStream_tbENKUlT_T0_E_clISt17integral_constantIbLb0EESU_EEDaSP_SQ_EUlSP_E0_NS1_11comp_targetILNS1_3genE2ELNS1_11target_archE906ELNS1_3gpuE6ELNS1_3repE0EEENS1_30default_config_static_selectorELNS0_4arch9wavefront6targetE1EEEvT1_,"axG",@progbits,_ZN7rocprim17ROCPRIM_400000_NS6detail17trampoline_kernelINS0_14default_configENS1_20scan_config_selectorIdEEZZNS1_9scan_implILNS1_25lookback_scan_determinismE0ELb1ELb1ES3_N6thrust23THRUST_200600_302600_NS6detail15normal_iteratorINS9_10device_ptrIdEEEESE_dNS9_4plusIvEEdEEDaPvRmT3_T4_T5_mT6_P12ihipStream_tbENKUlT_T0_E_clISt17integral_constantIbLb0EESU_EEDaSP_SQ_EUlSP_E0_NS1_11comp_targetILNS1_3genE2ELNS1_11target_archE906ELNS1_3gpuE6ELNS1_3repE0EEENS1_30default_config_static_selectorELNS0_4arch9wavefront6targetE1EEEvT1_,comdat
.Lfunc_end4227:
	.size	_ZN7rocprim17ROCPRIM_400000_NS6detail17trampoline_kernelINS0_14default_configENS1_20scan_config_selectorIdEEZZNS1_9scan_implILNS1_25lookback_scan_determinismE0ELb1ELb1ES3_N6thrust23THRUST_200600_302600_NS6detail15normal_iteratorINS9_10device_ptrIdEEEESE_dNS9_4plusIvEEdEEDaPvRmT3_T4_T5_mT6_P12ihipStream_tbENKUlT_T0_E_clISt17integral_constantIbLb0EESU_EEDaSP_SQ_EUlSP_E0_NS1_11comp_targetILNS1_3genE2ELNS1_11target_archE906ELNS1_3gpuE6ELNS1_3repE0EEENS1_30default_config_static_selectorELNS0_4arch9wavefront6targetE1EEEvT1_, .Lfunc_end4227-_ZN7rocprim17ROCPRIM_400000_NS6detail17trampoline_kernelINS0_14default_configENS1_20scan_config_selectorIdEEZZNS1_9scan_implILNS1_25lookback_scan_determinismE0ELb1ELb1ES3_N6thrust23THRUST_200600_302600_NS6detail15normal_iteratorINS9_10device_ptrIdEEEESE_dNS9_4plusIvEEdEEDaPvRmT3_T4_T5_mT6_P12ihipStream_tbENKUlT_T0_E_clISt17integral_constantIbLb0EESU_EEDaSP_SQ_EUlSP_E0_NS1_11comp_targetILNS1_3genE2ELNS1_11target_archE906ELNS1_3gpuE6ELNS1_3repE0EEENS1_30default_config_static_selectorELNS0_4arch9wavefront6targetE1EEEvT1_
                                        ; -- End function
	.section	.AMDGPU.csdata,"",@progbits
; Kernel info:
; codeLenInByte = 0
; NumSgprs: 4
; NumVgprs: 0
; NumAgprs: 0
; TotalNumVgprs: 0
; ScratchSize: 0
; MemoryBound: 0
; FloatMode: 240
; IeeeMode: 1
; LDSByteSize: 0 bytes/workgroup (compile time only)
; SGPRBlocks: 0
; VGPRBlocks: 0
; NumSGPRsForWavesPerEU: 4
; NumVGPRsForWavesPerEU: 1
; AccumOffset: 4
; Occupancy: 8
; WaveLimiterHint : 0
; COMPUTE_PGM_RSRC2:SCRATCH_EN: 0
; COMPUTE_PGM_RSRC2:USER_SGPR: 6
; COMPUTE_PGM_RSRC2:TRAP_HANDLER: 0
; COMPUTE_PGM_RSRC2:TGID_X_EN: 1
; COMPUTE_PGM_RSRC2:TGID_Y_EN: 0
; COMPUTE_PGM_RSRC2:TGID_Z_EN: 0
; COMPUTE_PGM_RSRC2:TIDIG_COMP_CNT: 0
; COMPUTE_PGM_RSRC3_GFX90A:ACCUM_OFFSET: 0
; COMPUTE_PGM_RSRC3_GFX90A:TG_SPLIT: 0
	.section	.text._ZN7rocprim17ROCPRIM_400000_NS6detail17trampoline_kernelINS0_14default_configENS1_20scan_config_selectorIdEEZZNS1_9scan_implILNS1_25lookback_scan_determinismE0ELb1ELb1ES3_N6thrust23THRUST_200600_302600_NS6detail15normal_iteratorINS9_10device_ptrIdEEEESE_dNS9_4plusIvEEdEEDaPvRmT3_T4_T5_mT6_P12ihipStream_tbENKUlT_T0_E_clISt17integral_constantIbLb0EESU_EEDaSP_SQ_EUlSP_E0_NS1_11comp_targetILNS1_3genE10ELNS1_11target_archE1201ELNS1_3gpuE5ELNS1_3repE0EEENS1_30default_config_static_selectorELNS0_4arch9wavefront6targetE1EEEvT1_,"axG",@progbits,_ZN7rocprim17ROCPRIM_400000_NS6detail17trampoline_kernelINS0_14default_configENS1_20scan_config_selectorIdEEZZNS1_9scan_implILNS1_25lookback_scan_determinismE0ELb1ELb1ES3_N6thrust23THRUST_200600_302600_NS6detail15normal_iteratorINS9_10device_ptrIdEEEESE_dNS9_4plusIvEEdEEDaPvRmT3_T4_T5_mT6_P12ihipStream_tbENKUlT_T0_E_clISt17integral_constantIbLb0EESU_EEDaSP_SQ_EUlSP_E0_NS1_11comp_targetILNS1_3genE10ELNS1_11target_archE1201ELNS1_3gpuE5ELNS1_3repE0EEENS1_30default_config_static_selectorELNS0_4arch9wavefront6targetE1EEEvT1_,comdat
	.protected	_ZN7rocprim17ROCPRIM_400000_NS6detail17trampoline_kernelINS0_14default_configENS1_20scan_config_selectorIdEEZZNS1_9scan_implILNS1_25lookback_scan_determinismE0ELb1ELb1ES3_N6thrust23THRUST_200600_302600_NS6detail15normal_iteratorINS9_10device_ptrIdEEEESE_dNS9_4plusIvEEdEEDaPvRmT3_T4_T5_mT6_P12ihipStream_tbENKUlT_T0_E_clISt17integral_constantIbLb0EESU_EEDaSP_SQ_EUlSP_E0_NS1_11comp_targetILNS1_3genE10ELNS1_11target_archE1201ELNS1_3gpuE5ELNS1_3repE0EEENS1_30default_config_static_selectorELNS0_4arch9wavefront6targetE1EEEvT1_ ; -- Begin function _ZN7rocprim17ROCPRIM_400000_NS6detail17trampoline_kernelINS0_14default_configENS1_20scan_config_selectorIdEEZZNS1_9scan_implILNS1_25lookback_scan_determinismE0ELb1ELb1ES3_N6thrust23THRUST_200600_302600_NS6detail15normal_iteratorINS9_10device_ptrIdEEEESE_dNS9_4plusIvEEdEEDaPvRmT3_T4_T5_mT6_P12ihipStream_tbENKUlT_T0_E_clISt17integral_constantIbLb0EESU_EEDaSP_SQ_EUlSP_E0_NS1_11comp_targetILNS1_3genE10ELNS1_11target_archE1201ELNS1_3gpuE5ELNS1_3repE0EEENS1_30default_config_static_selectorELNS0_4arch9wavefront6targetE1EEEvT1_
	.globl	_ZN7rocprim17ROCPRIM_400000_NS6detail17trampoline_kernelINS0_14default_configENS1_20scan_config_selectorIdEEZZNS1_9scan_implILNS1_25lookback_scan_determinismE0ELb1ELb1ES3_N6thrust23THRUST_200600_302600_NS6detail15normal_iteratorINS9_10device_ptrIdEEEESE_dNS9_4plusIvEEdEEDaPvRmT3_T4_T5_mT6_P12ihipStream_tbENKUlT_T0_E_clISt17integral_constantIbLb0EESU_EEDaSP_SQ_EUlSP_E0_NS1_11comp_targetILNS1_3genE10ELNS1_11target_archE1201ELNS1_3gpuE5ELNS1_3repE0EEENS1_30default_config_static_selectorELNS0_4arch9wavefront6targetE1EEEvT1_
	.p2align	8
	.type	_ZN7rocprim17ROCPRIM_400000_NS6detail17trampoline_kernelINS0_14default_configENS1_20scan_config_selectorIdEEZZNS1_9scan_implILNS1_25lookback_scan_determinismE0ELb1ELb1ES3_N6thrust23THRUST_200600_302600_NS6detail15normal_iteratorINS9_10device_ptrIdEEEESE_dNS9_4plusIvEEdEEDaPvRmT3_T4_T5_mT6_P12ihipStream_tbENKUlT_T0_E_clISt17integral_constantIbLb0EESU_EEDaSP_SQ_EUlSP_E0_NS1_11comp_targetILNS1_3genE10ELNS1_11target_archE1201ELNS1_3gpuE5ELNS1_3repE0EEENS1_30default_config_static_selectorELNS0_4arch9wavefront6targetE1EEEvT1_,@function
_ZN7rocprim17ROCPRIM_400000_NS6detail17trampoline_kernelINS0_14default_configENS1_20scan_config_selectorIdEEZZNS1_9scan_implILNS1_25lookback_scan_determinismE0ELb1ELb1ES3_N6thrust23THRUST_200600_302600_NS6detail15normal_iteratorINS9_10device_ptrIdEEEESE_dNS9_4plusIvEEdEEDaPvRmT3_T4_T5_mT6_P12ihipStream_tbENKUlT_T0_E_clISt17integral_constantIbLb0EESU_EEDaSP_SQ_EUlSP_E0_NS1_11comp_targetILNS1_3genE10ELNS1_11target_archE1201ELNS1_3gpuE5ELNS1_3repE0EEENS1_30default_config_static_selectorELNS0_4arch9wavefront6targetE1EEEvT1_: ; @_ZN7rocprim17ROCPRIM_400000_NS6detail17trampoline_kernelINS0_14default_configENS1_20scan_config_selectorIdEEZZNS1_9scan_implILNS1_25lookback_scan_determinismE0ELb1ELb1ES3_N6thrust23THRUST_200600_302600_NS6detail15normal_iteratorINS9_10device_ptrIdEEEESE_dNS9_4plusIvEEdEEDaPvRmT3_T4_T5_mT6_P12ihipStream_tbENKUlT_T0_E_clISt17integral_constantIbLb0EESU_EEDaSP_SQ_EUlSP_E0_NS1_11comp_targetILNS1_3genE10ELNS1_11target_archE1201ELNS1_3gpuE5ELNS1_3repE0EEENS1_30default_config_static_selectorELNS0_4arch9wavefront6targetE1EEEvT1_
; %bb.0:
	.section	.rodata,"a",@progbits
	.p2align	6, 0x0
	.amdhsa_kernel _ZN7rocprim17ROCPRIM_400000_NS6detail17trampoline_kernelINS0_14default_configENS1_20scan_config_selectorIdEEZZNS1_9scan_implILNS1_25lookback_scan_determinismE0ELb1ELb1ES3_N6thrust23THRUST_200600_302600_NS6detail15normal_iteratorINS9_10device_ptrIdEEEESE_dNS9_4plusIvEEdEEDaPvRmT3_T4_T5_mT6_P12ihipStream_tbENKUlT_T0_E_clISt17integral_constantIbLb0EESU_EEDaSP_SQ_EUlSP_E0_NS1_11comp_targetILNS1_3genE10ELNS1_11target_archE1201ELNS1_3gpuE5ELNS1_3repE0EEENS1_30default_config_static_selectorELNS0_4arch9wavefront6targetE1EEEvT1_
		.amdhsa_group_segment_fixed_size 0
		.amdhsa_private_segment_fixed_size 0
		.amdhsa_kernarg_size 40
		.amdhsa_user_sgpr_count 6
		.amdhsa_user_sgpr_private_segment_buffer 1
		.amdhsa_user_sgpr_dispatch_ptr 0
		.amdhsa_user_sgpr_queue_ptr 0
		.amdhsa_user_sgpr_kernarg_segment_ptr 1
		.amdhsa_user_sgpr_dispatch_id 0
		.amdhsa_user_sgpr_flat_scratch_init 0
		.amdhsa_user_sgpr_kernarg_preload_length 0
		.amdhsa_user_sgpr_kernarg_preload_offset 0
		.amdhsa_user_sgpr_private_segment_size 0
		.amdhsa_uses_dynamic_stack 0
		.amdhsa_system_sgpr_private_segment_wavefront_offset 0
		.amdhsa_system_sgpr_workgroup_id_x 1
		.amdhsa_system_sgpr_workgroup_id_y 0
		.amdhsa_system_sgpr_workgroup_id_z 0
		.amdhsa_system_sgpr_workgroup_info 0
		.amdhsa_system_vgpr_workitem_id 0
		.amdhsa_next_free_vgpr 1
		.amdhsa_next_free_sgpr 0
		.amdhsa_accum_offset 4
		.amdhsa_reserve_vcc 0
		.amdhsa_reserve_flat_scratch 0
		.amdhsa_float_round_mode_32 0
		.amdhsa_float_round_mode_16_64 0
		.amdhsa_float_denorm_mode_32 3
		.amdhsa_float_denorm_mode_16_64 3
		.amdhsa_dx10_clamp 1
		.amdhsa_ieee_mode 1
		.amdhsa_fp16_overflow 0
		.amdhsa_tg_split 0
		.amdhsa_exception_fp_ieee_invalid_op 0
		.amdhsa_exception_fp_denorm_src 0
		.amdhsa_exception_fp_ieee_div_zero 0
		.amdhsa_exception_fp_ieee_overflow 0
		.amdhsa_exception_fp_ieee_underflow 0
		.amdhsa_exception_fp_ieee_inexact 0
		.amdhsa_exception_int_div_zero 0
	.end_amdhsa_kernel
	.section	.text._ZN7rocprim17ROCPRIM_400000_NS6detail17trampoline_kernelINS0_14default_configENS1_20scan_config_selectorIdEEZZNS1_9scan_implILNS1_25lookback_scan_determinismE0ELb1ELb1ES3_N6thrust23THRUST_200600_302600_NS6detail15normal_iteratorINS9_10device_ptrIdEEEESE_dNS9_4plusIvEEdEEDaPvRmT3_T4_T5_mT6_P12ihipStream_tbENKUlT_T0_E_clISt17integral_constantIbLb0EESU_EEDaSP_SQ_EUlSP_E0_NS1_11comp_targetILNS1_3genE10ELNS1_11target_archE1201ELNS1_3gpuE5ELNS1_3repE0EEENS1_30default_config_static_selectorELNS0_4arch9wavefront6targetE1EEEvT1_,"axG",@progbits,_ZN7rocprim17ROCPRIM_400000_NS6detail17trampoline_kernelINS0_14default_configENS1_20scan_config_selectorIdEEZZNS1_9scan_implILNS1_25lookback_scan_determinismE0ELb1ELb1ES3_N6thrust23THRUST_200600_302600_NS6detail15normal_iteratorINS9_10device_ptrIdEEEESE_dNS9_4plusIvEEdEEDaPvRmT3_T4_T5_mT6_P12ihipStream_tbENKUlT_T0_E_clISt17integral_constantIbLb0EESU_EEDaSP_SQ_EUlSP_E0_NS1_11comp_targetILNS1_3genE10ELNS1_11target_archE1201ELNS1_3gpuE5ELNS1_3repE0EEENS1_30default_config_static_selectorELNS0_4arch9wavefront6targetE1EEEvT1_,comdat
.Lfunc_end4228:
	.size	_ZN7rocprim17ROCPRIM_400000_NS6detail17trampoline_kernelINS0_14default_configENS1_20scan_config_selectorIdEEZZNS1_9scan_implILNS1_25lookback_scan_determinismE0ELb1ELb1ES3_N6thrust23THRUST_200600_302600_NS6detail15normal_iteratorINS9_10device_ptrIdEEEESE_dNS9_4plusIvEEdEEDaPvRmT3_T4_T5_mT6_P12ihipStream_tbENKUlT_T0_E_clISt17integral_constantIbLb0EESU_EEDaSP_SQ_EUlSP_E0_NS1_11comp_targetILNS1_3genE10ELNS1_11target_archE1201ELNS1_3gpuE5ELNS1_3repE0EEENS1_30default_config_static_selectorELNS0_4arch9wavefront6targetE1EEEvT1_, .Lfunc_end4228-_ZN7rocprim17ROCPRIM_400000_NS6detail17trampoline_kernelINS0_14default_configENS1_20scan_config_selectorIdEEZZNS1_9scan_implILNS1_25lookback_scan_determinismE0ELb1ELb1ES3_N6thrust23THRUST_200600_302600_NS6detail15normal_iteratorINS9_10device_ptrIdEEEESE_dNS9_4plusIvEEdEEDaPvRmT3_T4_T5_mT6_P12ihipStream_tbENKUlT_T0_E_clISt17integral_constantIbLb0EESU_EEDaSP_SQ_EUlSP_E0_NS1_11comp_targetILNS1_3genE10ELNS1_11target_archE1201ELNS1_3gpuE5ELNS1_3repE0EEENS1_30default_config_static_selectorELNS0_4arch9wavefront6targetE1EEEvT1_
                                        ; -- End function
	.section	.AMDGPU.csdata,"",@progbits
; Kernel info:
; codeLenInByte = 0
; NumSgprs: 4
; NumVgprs: 0
; NumAgprs: 0
; TotalNumVgprs: 0
; ScratchSize: 0
; MemoryBound: 0
; FloatMode: 240
; IeeeMode: 1
; LDSByteSize: 0 bytes/workgroup (compile time only)
; SGPRBlocks: 0
; VGPRBlocks: 0
; NumSGPRsForWavesPerEU: 4
; NumVGPRsForWavesPerEU: 1
; AccumOffset: 4
; Occupancy: 8
; WaveLimiterHint : 0
; COMPUTE_PGM_RSRC2:SCRATCH_EN: 0
; COMPUTE_PGM_RSRC2:USER_SGPR: 6
; COMPUTE_PGM_RSRC2:TRAP_HANDLER: 0
; COMPUTE_PGM_RSRC2:TGID_X_EN: 1
; COMPUTE_PGM_RSRC2:TGID_Y_EN: 0
; COMPUTE_PGM_RSRC2:TGID_Z_EN: 0
; COMPUTE_PGM_RSRC2:TIDIG_COMP_CNT: 0
; COMPUTE_PGM_RSRC3_GFX90A:ACCUM_OFFSET: 0
; COMPUTE_PGM_RSRC3_GFX90A:TG_SPLIT: 0
	.section	.text._ZN7rocprim17ROCPRIM_400000_NS6detail17trampoline_kernelINS0_14default_configENS1_20scan_config_selectorIdEEZZNS1_9scan_implILNS1_25lookback_scan_determinismE0ELb1ELb1ES3_N6thrust23THRUST_200600_302600_NS6detail15normal_iteratorINS9_10device_ptrIdEEEESE_dNS9_4plusIvEEdEEDaPvRmT3_T4_T5_mT6_P12ihipStream_tbENKUlT_T0_E_clISt17integral_constantIbLb0EESU_EEDaSP_SQ_EUlSP_E0_NS1_11comp_targetILNS1_3genE10ELNS1_11target_archE1200ELNS1_3gpuE4ELNS1_3repE0EEENS1_30default_config_static_selectorELNS0_4arch9wavefront6targetE1EEEvT1_,"axG",@progbits,_ZN7rocprim17ROCPRIM_400000_NS6detail17trampoline_kernelINS0_14default_configENS1_20scan_config_selectorIdEEZZNS1_9scan_implILNS1_25lookback_scan_determinismE0ELb1ELb1ES3_N6thrust23THRUST_200600_302600_NS6detail15normal_iteratorINS9_10device_ptrIdEEEESE_dNS9_4plusIvEEdEEDaPvRmT3_T4_T5_mT6_P12ihipStream_tbENKUlT_T0_E_clISt17integral_constantIbLb0EESU_EEDaSP_SQ_EUlSP_E0_NS1_11comp_targetILNS1_3genE10ELNS1_11target_archE1200ELNS1_3gpuE4ELNS1_3repE0EEENS1_30default_config_static_selectorELNS0_4arch9wavefront6targetE1EEEvT1_,comdat
	.protected	_ZN7rocprim17ROCPRIM_400000_NS6detail17trampoline_kernelINS0_14default_configENS1_20scan_config_selectorIdEEZZNS1_9scan_implILNS1_25lookback_scan_determinismE0ELb1ELb1ES3_N6thrust23THRUST_200600_302600_NS6detail15normal_iteratorINS9_10device_ptrIdEEEESE_dNS9_4plusIvEEdEEDaPvRmT3_T4_T5_mT6_P12ihipStream_tbENKUlT_T0_E_clISt17integral_constantIbLb0EESU_EEDaSP_SQ_EUlSP_E0_NS1_11comp_targetILNS1_3genE10ELNS1_11target_archE1200ELNS1_3gpuE4ELNS1_3repE0EEENS1_30default_config_static_selectorELNS0_4arch9wavefront6targetE1EEEvT1_ ; -- Begin function _ZN7rocprim17ROCPRIM_400000_NS6detail17trampoline_kernelINS0_14default_configENS1_20scan_config_selectorIdEEZZNS1_9scan_implILNS1_25lookback_scan_determinismE0ELb1ELb1ES3_N6thrust23THRUST_200600_302600_NS6detail15normal_iteratorINS9_10device_ptrIdEEEESE_dNS9_4plusIvEEdEEDaPvRmT3_T4_T5_mT6_P12ihipStream_tbENKUlT_T0_E_clISt17integral_constantIbLb0EESU_EEDaSP_SQ_EUlSP_E0_NS1_11comp_targetILNS1_3genE10ELNS1_11target_archE1200ELNS1_3gpuE4ELNS1_3repE0EEENS1_30default_config_static_selectorELNS0_4arch9wavefront6targetE1EEEvT1_
	.globl	_ZN7rocprim17ROCPRIM_400000_NS6detail17trampoline_kernelINS0_14default_configENS1_20scan_config_selectorIdEEZZNS1_9scan_implILNS1_25lookback_scan_determinismE0ELb1ELb1ES3_N6thrust23THRUST_200600_302600_NS6detail15normal_iteratorINS9_10device_ptrIdEEEESE_dNS9_4plusIvEEdEEDaPvRmT3_T4_T5_mT6_P12ihipStream_tbENKUlT_T0_E_clISt17integral_constantIbLb0EESU_EEDaSP_SQ_EUlSP_E0_NS1_11comp_targetILNS1_3genE10ELNS1_11target_archE1200ELNS1_3gpuE4ELNS1_3repE0EEENS1_30default_config_static_selectorELNS0_4arch9wavefront6targetE1EEEvT1_
	.p2align	8
	.type	_ZN7rocprim17ROCPRIM_400000_NS6detail17trampoline_kernelINS0_14default_configENS1_20scan_config_selectorIdEEZZNS1_9scan_implILNS1_25lookback_scan_determinismE0ELb1ELb1ES3_N6thrust23THRUST_200600_302600_NS6detail15normal_iteratorINS9_10device_ptrIdEEEESE_dNS9_4plusIvEEdEEDaPvRmT3_T4_T5_mT6_P12ihipStream_tbENKUlT_T0_E_clISt17integral_constantIbLb0EESU_EEDaSP_SQ_EUlSP_E0_NS1_11comp_targetILNS1_3genE10ELNS1_11target_archE1200ELNS1_3gpuE4ELNS1_3repE0EEENS1_30default_config_static_selectorELNS0_4arch9wavefront6targetE1EEEvT1_,@function
_ZN7rocprim17ROCPRIM_400000_NS6detail17trampoline_kernelINS0_14default_configENS1_20scan_config_selectorIdEEZZNS1_9scan_implILNS1_25lookback_scan_determinismE0ELb1ELb1ES3_N6thrust23THRUST_200600_302600_NS6detail15normal_iteratorINS9_10device_ptrIdEEEESE_dNS9_4plusIvEEdEEDaPvRmT3_T4_T5_mT6_P12ihipStream_tbENKUlT_T0_E_clISt17integral_constantIbLb0EESU_EEDaSP_SQ_EUlSP_E0_NS1_11comp_targetILNS1_3genE10ELNS1_11target_archE1200ELNS1_3gpuE4ELNS1_3repE0EEENS1_30default_config_static_selectorELNS0_4arch9wavefront6targetE1EEEvT1_: ; @_ZN7rocprim17ROCPRIM_400000_NS6detail17trampoline_kernelINS0_14default_configENS1_20scan_config_selectorIdEEZZNS1_9scan_implILNS1_25lookback_scan_determinismE0ELb1ELb1ES3_N6thrust23THRUST_200600_302600_NS6detail15normal_iteratorINS9_10device_ptrIdEEEESE_dNS9_4plusIvEEdEEDaPvRmT3_T4_T5_mT6_P12ihipStream_tbENKUlT_T0_E_clISt17integral_constantIbLb0EESU_EEDaSP_SQ_EUlSP_E0_NS1_11comp_targetILNS1_3genE10ELNS1_11target_archE1200ELNS1_3gpuE4ELNS1_3repE0EEENS1_30default_config_static_selectorELNS0_4arch9wavefront6targetE1EEEvT1_
; %bb.0:
	.section	.rodata,"a",@progbits
	.p2align	6, 0x0
	.amdhsa_kernel _ZN7rocprim17ROCPRIM_400000_NS6detail17trampoline_kernelINS0_14default_configENS1_20scan_config_selectorIdEEZZNS1_9scan_implILNS1_25lookback_scan_determinismE0ELb1ELb1ES3_N6thrust23THRUST_200600_302600_NS6detail15normal_iteratorINS9_10device_ptrIdEEEESE_dNS9_4plusIvEEdEEDaPvRmT3_T4_T5_mT6_P12ihipStream_tbENKUlT_T0_E_clISt17integral_constantIbLb0EESU_EEDaSP_SQ_EUlSP_E0_NS1_11comp_targetILNS1_3genE10ELNS1_11target_archE1200ELNS1_3gpuE4ELNS1_3repE0EEENS1_30default_config_static_selectorELNS0_4arch9wavefront6targetE1EEEvT1_
		.amdhsa_group_segment_fixed_size 0
		.amdhsa_private_segment_fixed_size 0
		.amdhsa_kernarg_size 40
		.amdhsa_user_sgpr_count 6
		.amdhsa_user_sgpr_private_segment_buffer 1
		.amdhsa_user_sgpr_dispatch_ptr 0
		.amdhsa_user_sgpr_queue_ptr 0
		.amdhsa_user_sgpr_kernarg_segment_ptr 1
		.amdhsa_user_sgpr_dispatch_id 0
		.amdhsa_user_sgpr_flat_scratch_init 0
		.amdhsa_user_sgpr_kernarg_preload_length 0
		.amdhsa_user_sgpr_kernarg_preload_offset 0
		.amdhsa_user_sgpr_private_segment_size 0
		.amdhsa_uses_dynamic_stack 0
		.amdhsa_system_sgpr_private_segment_wavefront_offset 0
		.amdhsa_system_sgpr_workgroup_id_x 1
		.amdhsa_system_sgpr_workgroup_id_y 0
		.amdhsa_system_sgpr_workgroup_id_z 0
		.amdhsa_system_sgpr_workgroup_info 0
		.amdhsa_system_vgpr_workitem_id 0
		.amdhsa_next_free_vgpr 1
		.amdhsa_next_free_sgpr 0
		.amdhsa_accum_offset 4
		.amdhsa_reserve_vcc 0
		.amdhsa_reserve_flat_scratch 0
		.amdhsa_float_round_mode_32 0
		.amdhsa_float_round_mode_16_64 0
		.amdhsa_float_denorm_mode_32 3
		.amdhsa_float_denorm_mode_16_64 3
		.amdhsa_dx10_clamp 1
		.amdhsa_ieee_mode 1
		.amdhsa_fp16_overflow 0
		.amdhsa_tg_split 0
		.amdhsa_exception_fp_ieee_invalid_op 0
		.amdhsa_exception_fp_denorm_src 0
		.amdhsa_exception_fp_ieee_div_zero 0
		.amdhsa_exception_fp_ieee_overflow 0
		.amdhsa_exception_fp_ieee_underflow 0
		.amdhsa_exception_fp_ieee_inexact 0
		.amdhsa_exception_int_div_zero 0
	.end_amdhsa_kernel
	.section	.text._ZN7rocprim17ROCPRIM_400000_NS6detail17trampoline_kernelINS0_14default_configENS1_20scan_config_selectorIdEEZZNS1_9scan_implILNS1_25lookback_scan_determinismE0ELb1ELb1ES3_N6thrust23THRUST_200600_302600_NS6detail15normal_iteratorINS9_10device_ptrIdEEEESE_dNS9_4plusIvEEdEEDaPvRmT3_T4_T5_mT6_P12ihipStream_tbENKUlT_T0_E_clISt17integral_constantIbLb0EESU_EEDaSP_SQ_EUlSP_E0_NS1_11comp_targetILNS1_3genE10ELNS1_11target_archE1200ELNS1_3gpuE4ELNS1_3repE0EEENS1_30default_config_static_selectorELNS0_4arch9wavefront6targetE1EEEvT1_,"axG",@progbits,_ZN7rocprim17ROCPRIM_400000_NS6detail17trampoline_kernelINS0_14default_configENS1_20scan_config_selectorIdEEZZNS1_9scan_implILNS1_25lookback_scan_determinismE0ELb1ELb1ES3_N6thrust23THRUST_200600_302600_NS6detail15normal_iteratorINS9_10device_ptrIdEEEESE_dNS9_4plusIvEEdEEDaPvRmT3_T4_T5_mT6_P12ihipStream_tbENKUlT_T0_E_clISt17integral_constantIbLb0EESU_EEDaSP_SQ_EUlSP_E0_NS1_11comp_targetILNS1_3genE10ELNS1_11target_archE1200ELNS1_3gpuE4ELNS1_3repE0EEENS1_30default_config_static_selectorELNS0_4arch9wavefront6targetE1EEEvT1_,comdat
.Lfunc_end4229:
	.size	_ZN7rocprim17ROCPRIM_400000_NS6detail17trampoline_kernelINS0_14default_configENS1_20scan_config_selectorIdEEZZNS1_9scan_implILNS1_25lookback_scan_determinismE0ELb1ELb1ES3_N6thrust23THRUST_200600_302600_NS6detail15normal_iteratorINS9_10device_ptrIdEEEESE_dNS9_4plusIvEEdEEDaPvRmT3_T4_T5_mT6_P12ihipStream_tbENKUlT_T0_E_clISt17integral_constantIbLb0EESU_EEDaSP_SQ_EUlSP_E0_NS1_11comp_targetILNS1_3genE10ELNS1_11target_archE1200ELNS1_3gpuE4ELNS1_3repE0EEENS1_30default_config_static_selectorELNS0_4arch9wavefront6targetE1EEEvT1_, .Lfunc_end4229-_ZN7rocprim17ROCPRIM_400000_NS6detail17trampoline_kernelINS0_14default_configENS1_20scan_config_selectorIdEEZZNS1_9scan_implILNS1_25lookback_scan_determinismE0ELb1ELb1ES3_N6thrust23THRUST_200600_302600_NS6detail15normal_iteratorINS9_10device_ptrIdEEEESE_dNS9_4plusIvEEdEEDaPvRmT3_T4_T5_mT6_P12ihipStream_tbENKUlT_T0_E_clISt17integral_constantIbLb0EESU_EEDaSP_SQ_EUlSP_E0_NS1_11comp_targetILNS1_3genE10ELNS1_11target_archE1200ELNS1_3gpuE4ELNS1_3repE0EEENS1_30default_config_static_selectorELNS0_4arch9wavefront6targetE1EEEvT1_
                                        ; -- End function
	.section	.AMDGPU.csdata,"",@progbits
; Kernel info:
; codeLenInByte = 0
; NumSgprs: 4
; NumVgprs: 0
; NumAgprs: 0
; TotalNumVgprs: 0
; ScratchSize: 0
; MemoryBound: 0
; FloatMode: 240
; IeeeMode: 1
; LDSByteSize: 0 bytes/workgroup (compile time only)
; SGPRBlocks: 0
; VGPRBlocks: 0
; NumSGPRsForWavesPerEU: 4
; NumVGPRsForWavesPerEU: 1
; AccumOffset: 4
; Occupancy: 8
; WaveLimiterHint : 0
; COMPUTE_PGM_RSRC2:SCRATCH_EN: 0
; COMPUTE_PGM_RSRC2:USER_SGPR: 6
; COMPUTE_PGM_RSRC2:TRAP_HANDLER: 0
; COMPUTE_PGM_RSRC2:TGID_X_EN: 1
; COMPUTE_PGM_RSRC2:TGID_Y_EN: 0
; COMPUTE_PGM_RSRC2:TGID_Z_EN: 0
; COMPUTE_PGM_RSRC2:TIDIG_COMP_CNT: 0
; COMPUTE_PGM_RSRC3_GFX90A:ACCUM_OFFSET: 0
; COMPUTE_PGM_RSRC3_GFX90A:TG_SPLIT: 0
	.section	.text._ZN7rocprim17ROCPRIM_400000_NS6detail17trampoline_kernelINS0_14default_configENS1_20scan_config_selectorIdEEZZNS1_9scan_implILNS1_25lookback_scan_determinismE0ELb1ELb1ES3_N6thrust23THRUST_200600_302600_NS6detail15normal_iteratorINS9_10device_ptrIdEEEESE_dNS9_4plusIvEEdEEDaPvRmT3_T4_T5_mT6_P12ihipStream_tbENKUlT_T0_E_clISt17integral_constantIbLb0EESU_EEDaSP_SQ_EUlSP_E0_NS1_11comp_targetILNS1_3genE9ELNS1_11target_archE1100ELNS1_3gpuE3ELNS1_3repE0EEENS1_30default_config_static_selectorELNS0_4arch9wavefront6targetE1EEEvT1_,"axG",@progbits,_ZN7rocprim17ROCPRIM_400000_NS6detail17trampoline_kernelINS0_14default_configENS1_20scan_config_selectorIdEEZZNS1_9scan_implILNS1_25lookback_scan_determinismE0ELb1ELb1ES3_N6thrust23THRUST_200600_302600_NS6detail15normal_iteratorINS9_10device_ptrIdEEEESE_dNS9_4plusIvEEdEEDaPvRmT3_T4_T5_mT6_P12ihipStream_tbENKUlT_T0_E_clISt17integral_constantIbLb0EESU_EEDaSP_SQ_EUlSP_E0_NS1_11comp_targetILNS1_3genE9ELNS1_11target_archE1100ELNS1_3gpuE3ELNS1_3repE0EEENS1_30default_config_static_selectorELNS0_4arch9wavefront6targetE1EEEvT1_,comdat
	.protected	_ZN7rocprim17ROCPRIM_400000_NS6detail17trampoline_kernelINS0_14default_configENS1_20scan_config_selectorIdEEZZNS1_9scan_implILNS1_25lookback_scan_determinismE0ELb1ELb1ES3_N6thrust23THRUST_200600_302600_NS6detail15normal_iteratorINS9_10device_ptrIdEEEESE_dNS9_4plusIvEEdEEDaPvRmT3_T4_T5_mT6_P12ihipStream_tbENKUlT_T0_E_clISt17integral_constantIbLb0EESU_EEDaSP_SQ_EUlSP_E0_NS1_11comp_targetILNS1_3genE9ELNS1_11target_archE1100ELNS1_3gpuE3ELNS1_3repE0EEENS1_30default_config_static_selectorELNS0_4arch9wavefront6targetE1EEEvT1_ ; -- Begin function _ZN7rocprim17ROCPRIM_400000_NS6detail17trampoline_kernelINS0_14default_configENS1_20scan_config_selectorIdEEZZNS1_9scan_implILNS1_25lookback_scan_determinismE0ELb1ELb1ES3_N6thrust23THRUST_200600_302600_NS6detail15normal_iteratorINS9_10device_ptrIdEEEESE_dNS9_4plusIvEEdEEDaPvRmT3_T4_T5_mT6_P12ihipStream_tbENKUlT_T0_E_clISt17integral_constantIbLb0EESU_EEDaSP_SQ_EUlSP_E0_NS1_11comp_targetILNS1_3genE9ELNS1_11target_archE1100ELNS1_3gpuE3ELNS1_3repE0EEENS1_30default_config_static_selectorELNS0_4arch9wavefront6targetE1EEEvT1_
	.globl	_ZN7rocprim17ROCPRIM_400000_NS6detail17trampoline_kernelINS0_14default_configENS1_20scan_config_selectorIdEEZZNS1_9scan_implILNS1_25lookback_scan_determinismE0ELb1ELb1ES3_N6thrust23THRUST_200600_302600_NS6detail15normal_iteratorINS9_10device_ptrIdEEEESE_dNS9_4plusIvEEdEEDaPvRmT3_T4_T5_mT6_P12ihipStream_tbENKUlT_T0_E_clISt17integral_constantIbLb0EESU_EEDaSP_SQ_EUlSP_E0_NS1_11comp_targetILNS1_3genE9ELNS1_11target_archE1100ELNS1_3gpuE3ELNS1_3repE0EEENS1_30default_config_static_selectorELNS0_4arch9wavefront6targetE1EEEvT1_
	.p2align	8
	.type	_ZN7rocprim17ROCPRIM_400000_NS6detail17trampoline_kernelINS0_14default_configENS1_20scan_config_selectorIdEEZZNS1_9scan_implILNS1_25lookback_scan_determinismE0ELb1ELb1ES3_N6thrust23THRUST_200600_302600_NS6detail15normal_iteratorINS9_10device_ptrIdEEEESE_dNS9_4plusIvEEdEEDaPvRmT3_T4_T5_mT6_P12ihipStream_tbENKUlT_T0_E_clISt17integral_constantIbLb0EESU_EEDaSP_SQ_EUlSP_E0_NS1_11comp_targetILNS1_3genE9ELNS1_11target_archE1100ELNS1_3gpuE3ELNS1_3repE0EEENS1_30default_config_static_selectorELNS0_4arch9wavefront6targetE1EEEvT1_,@function
_ZN7rocprim17ROCPRIM_400000_NS6detail17trampoline_kernelINS0_14default_configENS1_20scan_config_selectorIdEEZZNS1_9scan_implILNS1_25lookback_scan_determinismE0ELb1ELb1ES3_N6thrust23THRUST_200600_302600_NS6detail15normal_iteratorINS9_10device_ptrIdEEEESE_dNS9_4plusIvEEdEEDaPvRmT3_T4_T5_mT6_P12ihipStream_tbENKUlT_T0_E_clISt17integral_constantIbLb0EESU_EEDaSP_SQ_EUlSP_E0_NS1_11comp_targetILNS1_3genE9ELNS1_11target_archE1100ELNS1_3gpuE3ELNS1_3repE0EEENS1_30default_config_static_selectorELNS0_4arch9wavefront6targetE1EEEvT1_: ; @_ZN7rocprim17ROCPRIM_400000_NS6detail17trampoline_kernelINS0_14default_configENS1_20scan_config_selectorIdEEZZNS1_9scan_implILNS1_25lookback_scan_determinismE0ELb1ELb1ES3_N6thrust23THRUST_200600_302600_NS6detail15normal_iteratorINS9_10device_ptrIdEEEESE_dNS9_4plusIvEEdEEDaPvRmT3_T4_T5_mT6_P12ihipStream_tbENKUlT_T0_E_clISt17integral_constantIbLb0EESU_EEDaSP_SQ_EUlSP_E0_NS1_11comp_targetILNS1_3genE9ELNS1_11target_archE1100ELNS1_3gpuE3ELNS1_3repE0EEENS1_30default_config_static_selectorELNS0_4arch9wavefront6targetE1EEEvT1_
; %bb.0:
	.section	.rodata,"a",@progbits
	.p2align	6, 0x0
	.amdhsa_kernel _ZN7rocprim17ROCPRIM_400000_NS6detail17trampoline_kernelINS0_14default_configENS1_20scan_config_selectorIdEEZZNS1_9scan_implILNS1_25lookback_scan_determinismE0ELb1ELb1ES3_N6thrust23THRUST_200600_302600_NS6detail15normal_iteratorINS9_10device_ptrIdEEEESE_dNS9_4plusIvEEdEEDaPvRmT3_T4_T5_mT6_P12ihipStream_tbENKUlT_T0_E_clISt17integral_constantIbLb0EESU_EEDaSP_SQ_EUlSP_E0_NS1_11comp_targetILNS1_3genE9ELNS1_11target_archE1100ELNS1_3gpuE3ELNS1_3repE0EEENS1_30default_config_static_selectorELNS0_4arch9wavefront6targetE1EEEvT1_
		.amdhsa_group_segment_fixed_size 0
		.amdhsa_private_segment_fixed_size 0
		.amdhsa_kernarg_size 40
		.amdhsa_user_sgpr_count 6
		.amdhsa_user_sgpr_private_segment_buffer 1
		.amdhsa_user_sgpr_dispatch_ptr 0
		.amdhsa_user_sgpr_queue_ptr 0
		.amdhsa_user_sgpr_kernarg_segment_ptr 1
		.amdhsa_user_sgpr_dispatch_id 0
		.amdhsa_user_sgpr_flat_scratch_init 0
		.amdhsa_user_sgpr_kernarg_preload_length 0
		.amdhsa_user_sgpr_kernarg_preload_offset 0
		.amdhsa_user_sgpr_private_segment_size 0
		.amdhsa_uses_dynamic_stack 0
		.amdhsa_system_sgpr_private_segment_wavefront_offset 0
		.amdhsa_system_sgpr_workgroup_id_x 1
		.amdhsa_system_sgpr_workgroup_id_y 0
		.amdhsa_system_sgpr_workgroup_id_z 0
		.amdhsa_system_sgpr_workgroup_info 0
		.amdhsa_system_vgpr_workitem_id 0
		.amdhsa_next_free_vgpr 1
		.amdhsa_next_free_sgpr 0
		.amdhsa_accum_offset 4
		.amdhsa_reserve_vcc 0
		.amdhsa_reserve_flat_scratch 0
		.amdhsa_float_round_mode_32 0
		.amdhsa_float_round_mode_16_64 0
		.amdhsa_float_denorm_mode_32 3
		.amdhsa_float_denorm_mode_16_64 3
		.amdhsa_dx10_clamp 1
		.amdhsa_ieee_mode 1
		.amdhsa_fp16_overflow 0
		.amdhsa_tg_split 0
		.amdhsa_exception_fp_ieee_invalid_op 0
		.amdhsa_exception_fp_denorm_src 0
		.amdhsa_exception_fp_ieee_div_zero 0
		.amdhsa_exception_fp_ieee_overflow 0
		.amdhsa_exception_fp_ieee_underflow 0
		.amdhsa_exception_fp_ieee_inexact 0
		.amdhsa_exception_int_div_zero 0
	.end_amdhsa_kernel
	.section	.text._ZN7rocprim17ROCPRIM_400000_NS6detail17trampoline_kernelINS0_14default_configENS1_20scan_config_selectorIdEEZZNS1_9scan_implILNS1_25lookback_scan_determinismE0ELb1ELb1ES3_N6thrust23THRUST_200600_302600_NS6detail15normal_iteratorINS9_10device_ptrIdEEEESE_dNS9_4plusIvEEdEEDaPvRmT3_T4_T5_mT6_P12ihipStream_tbENKUlT_T0_E_clISt17integral_constantIbLb0EESU_EEDaSP_SQ_EUlSP_E0_NS1_11comp_targetILNS1_3genE9ELNS1_11target_archE1100ELNS1_3gpuE3ELNS1_3repE0EEENS1_30default_config_static_selectorELNS0_4arch9wavefront6targetE1EEEvT1_,"axG",@progbits,_ZN7rocprim17ROCPRIM_400000_NS6detail17trampoline_kernelINS0_14default_configENS1_20scan_config_selectorIdEEZZNS1_9scan_implILNS1_25lookback_scan_determinismE0ELb1ELb1ES3_N6thrust23THRUST_200600_302600_NS6detail15normal_iteratorINS9_10device_ptrIdEEEESE_dNS9_4plusIvEEdEEDaPvRmT3_T4_T5_mT6_P12ihipStream_tbENKUlT_T0_E_clISt17integral_constantIbLb0EESU_EEDaSP_SQ_EUlSP_E0_NS1_11comp_targetILNS1_3genE9ELNS1_11target_archE1100ELNS1_3gpuE3ELNS1_3repE0EEENS1_30default_config_static_selectorELNS0_4arch9wavefront6targetE1EEEvT1_,comdat
.Lfunc_end4230:
	.size	_ZN7rocprim17ROCPRIM_400000_NS6detail17trampoline_kernelINS0_14default_configENS1_20scan_config_selectorIdEEZZNS1_9scan_implILNS1_25lookback_scan_determinismE0ELb1ELb1ES3_N6thrust23THRUST_200600_302600_NS6detail15normal_iteratorINS9_10device_ptrIdEEEESE_dNS9_4plusIvEEdEEDaPvRmT3_T4_T5_mT6_P12ihipStream_tbENKUlT_T0_E_clISt17integral_constantIbLb0EESU_EEDaSP_SQ_EUlSP_E0_NS1_11comp_targetILNS1_3genE9ELNS1_11target_archE1100ELNS1_3gpuE3ELNS1_3repE0EEENS1_30default_config_static_selectorELNS0_4arch9wavefront6targetE1EEEvT1_, .Lfunc_end4230-_ZN7rocprim17ROCPRIM_400000_NS6detail17trampoline_kernelINS0_14default_configENS1_20scan_config_selectorIdEEZZNS1_9scan_implILNS1_25lookback_scan_determinismE0ELb1ELb1ES3_N6thrust23THRUST_200600_302600_NS6detail15normal_iteratorINS9_10device_ptrIdEEEESE_dNS9_4plusIvEEdEEDaPvRmT3_T4_T5_mT6_P12ihipStream_tbENKUlT_T0_E_clISt17integral_constantIbLb0EESU_EEDaSP_SQ_EUlSP_E0_NS1_11comp_targetILNS1_3genE9ELNS1_11target_archE1100ELNS1_3gpuE3ELNS1_3repE0EEENS1_30default_config_static_selectorELNS0_4arch9wavefront6targetE1EEEvT1_
                                        ; -- End function
	.section	.AMDGPU.csdata,"",@progbits
; Kernel info:
; codeLenInByte = 0
; NumSgprs: 4
; NumVgprs: 0
; NumAgprs: 0
; TotalNumVgprs: 0
; ScratchSize: 0
; MemoryBound: 0
; FloatMode: 240
; IeeeMode: 1
; LDSByteSize: 0 bytes/workgroup (compile time only)
; SGPRBlocks: 0
; VGPRBlocks: 0
; NumSGPRsForWavesPerEU: 4
; NumVGPRsForWavesPerEU: 1
; AccumOffset: 4
; Occupancy: 8
; WaveLimiterHint : 0
; COMPUTE_PGM_RSRC2:SCRATCH_EN: 0
; COMPUTE_PGM_RSRC2:USER_SGPR: 6
; COMPUTE_PGM_RSRC2:TRAP_HANDLER: 0
; COMPUTE_PGM_RSRC2:TGID_X_EN: 1
; COMPUTE_PGM_RSRC2:TGID_Y_EN: 0
; COMPUTE_PGM_RSRC2:TGID_Z_EN: 0
; COMPUTE_PGM_RSRC2:TIDIG_COMP_CNT: 0
; COMPUTE_PGM_RSRC3_GFX90A:ACCUM_OFFSET: 0
; COMPUTE_PGM_RSRC3_GFX90A:TG_SPLIT: 0
	.section	.text._ZN7rocprim17ROCPRIM_400000_NS6detail17trampoline_kernelINS0_14default_configENS1_20scan_config_selectorIdEEZZNS1_9scan_implILNS1_25lookback_scan_determinismE0ELb1ELb1ES3_N6thrust23THRUST_200600_302600_NS6detail15normal_iteratorINS9_10device_ptrIdEEEESE_dNS9_4plusIvEEdEEDaPvRmT3_T4_T5_mT6_P12ihipStream_tbENKUlT_T0_E_clISt17integral_constantIbLb0EESU_EEDaSP_SQ_EUlSP_E0_NS1_11comp_targetILNS1_3genE8ELNS1_11target_archE1030ELNS1_3gpuE2ELNS1_3repE0EEENS1_30default_config_static_selectorELNS0_4arch9wavefront6targetE1EEEvT1_,"axG",@progbits,_ZN7rocprim17ROCPRIM_400000_NS6detail17trampoline_kernelINS0_14default_configENS1_20scan_config_selectorIdEEZZNS1_9scan_implILNS1_25lookback_scan_determinismE0ELb1ELb1ES3_N6thrust23THRUST_200600_302600_NS6detail15normal_iteratorINS9_10device_ptrIdEEEESE_dNS9_4plusIvEEdEEDaPvRmT3_T4_T5_mT6_P12ihipStream_tbENKUlT_T0_E_clISt17integral_constantIbLb0EESU_EEDaSP_SQ_EUlSP_E0_NS1_11comp_targetILNS1_3genE8ELNS1_11target_archE1030ELNS1_3gpuE2ELNS1_3repE0EEENS1_30default_config_static_selectorELNS0_4arch9wavefront6targetE1EEEvT1_,comdat
	.protected	_ZN7rocprim17ROCPRIM_400000_NS6detail17trampoline_kernelINS0_14default_configENS1_20scan_config_selectorIdEEZZNS1_9scan_implILNS1_25lookback_scan_determinismE0ELb1ELb1ES3_N6thrust23THRUST_200600_302600_NS6detail15normal_iteratorINS9_10device_ptrIdEEEESE_dNS9_4plusIvEEdEEDaPvRmT3_T4_T5_mT6_P12ihipStream_tbENKUlT_T0_E_clISt17integral_constantIbLb0EESU_EEDaSP_SQ_EUlSP_E0_NS1_11comp_targetILNS1_3genE8ELNS1_11target_archE1030ELNS1_3gpuE2ELNS1_3repE0EEENS1_30default_config_static_selectorELNS0_4arch9wavefront6targetE1EEEvT1_ ; -- Begin function _ZN7rocprim17ROCPRIM_400000_NS6detail17trampoline_kernelINS0_14default_configENS1_20scan_config_selectorIdEEZZNS1_9scan_implILNS1_25lookback_scan_determinismE0ELb1ELb1ES3_N6thrust23THRUST_200600_302600_NS6detail15normal_iteratorINS9_10device_ptrIdEEEESE_dNS9_4plusIvEEdEEDaPvRmT3_T4_T5_mT6_P12ihipStream_tbENKUlT_T0_E_clISt17integral_constantIbLb0EESU_EEDaSP_SQ_EUlSP_E0_NS1_11comp_targetILNS1_3genE8ELNS1_11target_archE1030ELNS1_3gpuE2ELNS1_3repE0EEENS1_30default_config_static_selectorELNS0_4arch9wavefront6targetE1EEEvT1_
	.globl	_ZN7rocprim17ROCPRIM_400000_NS6detail17trampoline_kernelINS0_14default_configENS1_20scan_config_selectorIdEEZZNS1_9scan_implILNS1_25lookback_scan_determinismE0ELb1ELb1ES3_N6thrust23THRUST_200600_302600_NS6detail15normal_iteratorINS9_10device_ptrIdEEEESE_dNS9_4plusIvEEdEEDaPvRmT3_T4_T5_mT6_P12ihipStream_tbENKUlT_T0_E_clISt17integral_constantIbLb0EESU_EEDaSP_SQ_EUlSP_E0_NS1_11comp_targetILNS1_3genE8ELNS1_11target_archE1030ELNS1_3gpuE2ELNS1_3repE0EEENS1_30default_config_static_selectorELNS0_4arch9wavefront6targetE1EEEvT1_
	.p2align	8
	.type	_ZN7rocprim17ROCPRIM_400000_NS6detail17trampoline_kernelINS0_14default_configENS1_20scan_config_selectorIdEEZZNS1_9scan_implILNS1_25lookback_scan_determinismE0ELb1ELb1ES3_N6thrust23THRUST_200600_302600_NS6detail15normal_iteratorINS9_10device_ptrIdEEEESE_dNS9_4plusIvEEdEEDaPvRmT3_T4_T5_mT6_P12ihipStream_tbENKUlT_T0_E_clISt17integral_constantIbLb0EESU_EEDaSP_SQ_EUlSP_E0_NS1_11comp_targetILNS1_3genE8ELNS1_11target_archE1030ELNS1_3gpuE2ELNS1_3repE0EEENS1_30default_config_static_selectorELNS0_4arch9wavefront6targetE1EEEvT1_,@function
_ZN7rocprim17ROCPRIM_400000_NS6detail17trampoline_kernelINS0_14default_configENS1_20scan_config_selectorIdEEZZNS1_9scan_implILNS1_25lookback_scan_determinismE0ELb1ELb1ES3_N6thrust23THRUST_200600_302600_NS6detail15normal_iteratorINS9_10device_ptrIdEEEESE_dNS9_4plusIvEEdEEDaPvRmT3_T4_T5_mT6_P12ihipStream_tbENKUlT_T0_E_clISt17integral_constantIbLb0EESU_EEDaSP_SQ_EUlSP_E0_NS1_11comp_targetILNS1_3genE8ELNS1_11target_archE1030ELNS1_3gpuE2ELNS1_3repE0EEENS1_30default_config_static_selectorELNS0_4arch9wavefront6targetE1EEEvT1_: ; @_ZN7rocprim17ROCPRIM_400000_NS6detail17trampoline_kernelINS0_14default_configENS1_20scan_config_selectorIdEEZZNS1_9scan_implILNS1_25lookback_scan_determinismE0ELb1ELb1ES3_N6thrust23THRUST_200600_302600_NS6detail15normal_iteratorINS9_10device_ptrIdEEEESE_dNS9_4plusIvEEdEEDaPvRmT3_T4_T5_mT6_P12ihipStream_tbENKUlT_T0_E_clISt17integral_constantIbLb0EESU_EEDaSP_SQ_EUlSP_E0_NS1_11comp_targetILNS1_3genE8ELNS1_11target_archE1030ELNS1_3gpuE2ELNS1_3repE0EEENS1_30default_config_static_selectorELNS0_4arch9wavefront6targetE1EEEvT1_
; %bb.0:
	.section	.rodata,"a",@progbits
	.p2align	6, 0x0
	.amdhsa_kernel _ZN7rocprim17ROCPRIM_400000_NS6detail17trampoline_kernelINS0_14default_configENS1_20scan_config_selectorIdEEZZNS1_9scan_implILNS1_25lookback_scan_determinismE0ELb1ELb1ES3_N6thrust23THRUST_200600_302600_NS6detail15normal_iteratorINS9_10device_ptrIdEEEESE_dNS9_4plusIvEEdEEDaPvRmT3_T4_T5_mT6_P12ihipStream_tbENKUlT_T0_E_clISt17integral_constantIbLb0EESU_EEDaSP_SQ_EUlSP_E0_NS1_11comp_targetILNS1_3genE8ELNS1_11target_archE1030ELNS1_3gpuE2ELNS1_3repE0EEENS1_30default_config_static_selectorELNS0_4arch9wavefront6targetE1EEEvT1_
		.amdhsa_group_segment_fixed_size 0
		.amdhsa_private_segment_fixed_size 0
		.amdhsa_kernarg_size 40
		.amdhsa_user_sgpr_count 6
		.amdhsa_user_sgpr_private_segment_buffer 1
		.amdhsa_user_sgpr_dispatch_ptr 0
		.amdhsa_user_sgpr_queue_ptr 0
		.amdhsa_user_sgpr_kernarg_segment_ptr 1
		.amdhsa_user_sgpr_dispatch_id 0
		.amdhsa_user_sgpr_flat_scratch_init 0
		.amdhsa_user_sgpr_kernarg_preload_length 0
		.amdhsa_user_sgpr_kernarg_preload_offset 0
		.amdhsa_user_sgpr_private_segment_size 0
		.amdhsa_uses_dynamic_stack 0
		.amdhsa_system_sgpr_private_segment_wavefront_offset 0
		.amdhsa_system_sgpr_workgroup_id_x 1
		.amdhsa_system_sgpr_workgroup_id_y 0
		.amdhsa_system_sgpr_workgroup_id_z 0
		.amdhsa_system_sgpr_workgroup_info 0
		.amdhsa_system_vgpr_workitem_id 0
		.amdhsa_next_free_vgpr 1
		.amdhsa_next_free_sgpr 0
		.amdhsa_accum_offset 4
		.amdhsa_reserve_vcc 0
		.amdhsa_reserve_flat_scratch 0
		.amdhsa_float_round_mode_32 0
		.amdhsa_float_round_mode_16_64 0
		.amdhsa_float_denorm_mode_32 3
		.amdhsa_float_denorm_mode_16_64 3
		.amdhsa_dx10_clamp 1
		.amdhsa_ieee_mode 1
		.amdhsa_fp16_overflow 0
		.amdhsa_tg_split 0
		.amdhsa_exception_fp_ieee_invalid_op 0
		.amdhsa_exception_fp_denorm_src 0
		.amdhsa_exception_fp_ieee_div_zero 0
		.amdhsa_exception_fp_ieee_overflow 0
		.amdhsa_exception_fp_ieee_underflow 0
		.amdhsa_exception_fp_ieee_inexact 0
		.amdhsa_exception_int_div_zero 0
	.end_amdhsa_kernel
	.section	.text._ZN7rocprim17ROCPRIM_400000_NS6detail17trampoline_kernelINS0_14default_configENS1_20scan_config_selectorIdEEZZNS1_9scan_implILNS1_25lookback_scan_determinismE0ELb1ELb1ES3_N6thrust23THRUST_200600_302600_NS6detail15normal_iteratorINS9_10device_ptrIdEEEESE_dNS9_4plusIvEEdEEDaPvRmT3_T4_T5_mT6_P12ihipStream_tbENKUlT_T0_E_clISt17integral_constantIbLb0EESU_EEDaSP_SQ_EUlSP_E0_NS1_11comp_targetILNS1_3genE8ELNS1_11target_archE1030ELNS1_3gpuE2ELNS1_3repE0EEENS1_30default_config_static_selectorELNS0_4arch9wavefront6targetE1EEEvT1_,"axG",@progbits,_ZN7rocprim17ROCPRIM_400000_NS6detail17trampoline_kernelINS0_14default_configENS1_20scan_config_selectorIdEEZZNS1_9scan_implILNS1_25lookback_scan_determinismE0ELb1ELb1ES3_N6thrust23THRUST_200600_302600_NS6detail15normal_iteratorINS9_10device_ptrIdEEEESE_dNS9_4plusIvEEdEEDaPvRmT3_T4_T5_mT6_P12ihipStream_tbENKUlT_T0_E_clISt17integral_constantIbLb0EESU_EEDaSP_SQ_EUlSP_E0_NS1_11comp_targetILNS1_3genE8ELNS1_11target_archE1030ELNS1_3gpuE2ELNS1_3repE0EEENS1_30default_config_static_selectorELNS0_4arch9wavefront6targetE1EEEvT1_,comdat
.Lfunc_end4231:
	.size	_ZN7rocprim17ROCPRIM_400000_NS6detail17trampoline_kernelINS0_14default_configENS1_20scan_config_selectorIdEEZZNS1_9scan_implILNS1_25lookback_scan_determinismE0ELb1ELb1ES3_N6thrust23THRUST_200600_302600_NS6detail15normal_iteratorINS9_10device_ptrIdEEEESE_dNS9_4plusIvEEdEEDaPvRmT3_T4_T5_mT6_P12ihipStream_tbENKUlT_T0_E_clISt17integral_constantIbLb0EESU_EEDaSP_SQ_EUlSP_E0_NS1_11comp_targetILNS1_3genE8ELNS1_11target_archE1030ELNS1_3gpuE2ELNS1_3repE0EEENS1_30default_config_static_selectorELNS0_4arch9wavefront6targetE1EEEvT1_, .Lfunc_end4231-_ZN7rocprim17ROCPRIM_400000_NS6detail17trampoline_kernelINS0_14default_configENS1_20scan_config_selectorIdEEZZNS1_9scan_implILNS1_25lookback_scan_determinismE0ELb1ELb1ES3_N6thrust23THRUST_200600_302600_NS6detail15normal_iteratorINS9_10device_ptrIdEEEESE_dNS9_4plusIvEEdEEDaPvRmT3_T4_T5_mT6_P12ihipStream_tbENKUlT_T0_E_clISt17integral_constantIbLb0EESU_EEDaSP_SQ_EUlSP_E0_NS1_11comp_targetILNS1_3genE8ELNS1_11target_archE1030ELNS1_3gpuE2ELNS1_3repE0EEENS1_30default_config_static_selectorELNS0_4arch9wavefront6targetE1EEEvT1_
                                        ; -- End function
	.section	.AMDGPU.csdata,"",@progbits
; Kernel info:
; codeLenInByte = 0
; NumSgprs: 4
; NumVgprs: 0
; NumAgprs: 0
; TotalNumVgprs: 0
; ScratchSize: 0
; MemoryBound: 0
; FloatMode: 240
; IeeeMode: 1
; LDSByteSize: 0 bytes/workgroup (compile time only)
; SGPRBlocks: 0
; VGPRBlocks: 0
; NumSGPRsForWavesPerEU: 4
; NumVGPRsForWavesPerEU: 1
; AccumOffset: 4
; Occupancy: 8
; WaveLimiterHint : 0
; COMPUTE_PGM_RSRC2:SCRATCH_EN: 0
; COMPUTE_PGM_RSRC2:USER_SGPR: 6
; COMPUTE_PGM_RSRC2:TRAP_HANDLER: 0
; COMPUTE_PGM_RSRC2:TGID_X_EN: 1
; COMPUTE_PGM_RSRC2:TGID_Y_EN: 0
; COMPUTE_PGM_RSRC2:TGID_Z_EN: 0
; COMPUTE_PGM_RSRC2:TIDIG_COMP_CNT: 0
; COMPUTE_PGM_RSRC3_GFX90A:ACCUM_OFFSET: 0
; COMPUTE_PGM_RSRC3_GFX90A:TG_SPLIT: 0
	.section	.text._ZN7rocprim17ROCPRIM_400000_NS6detail17trampoline_kernelINS0_14default_configENS1_20scan_config_selectorIdEEZZNS1_9scan_implILNS1_25lookback_scan_determinismE0ELb1ELb1ES3_N6thrust23THRUST_200600_302600_NS6detail15normal_iteratorINS9_10device_ptrIdEEEESE_dNS9_4plusIvEEdEEDaPvRmT3_T4_T5_mT6_P12ihipStream_tbENKUlT_T0_E_clISt17integral_constantIbLb1EESU_EEDaSP_SQ_EUlSP_E_NS1_11comp_targetILNS1_3genE0ELNS1_11target_archE4294967295ELNS1_3gpuE0ELNS1_3repE0EEENS1_30default_config_static_selectorELNS0_4arch9wavefront6targetE1EEEvT1_,"axG",@progbits,_ZN7rocprim17ROCPRIM_400000_NS6detail17trampoline_kernelINS0_14default_configENS1_20scan_config_selectorIdEEZZNS1_9scan_implILNS1_25lookback_scan_determinismE0ELb1ELb1ES3_N6thrust23THRUST_200600_302600_NS6detail15normal_iteratorINS9_10device_ptrIdEEEESE_dNS9_4plusIvEEdEEDaPvRmT3_T4_T5_mT6_P12ihipStream_tbENKUlT_T0_E_clISt17integral_constantIbLb1EESU_EEDaSP_SQ_EUlSP_E_NS1_11comp_targetILNS1_3genE0ELNS1_11target_archE4294967295ELNS1_3gpuE0ELNS1_3repE0EEENS1_30default_config_static_selectorELNS0_4arch9wavefront6targetE1EEEvT1_,comdat
	.protected	_ZN7rocprim17ROCPRIM_400000_NS6detail17trampoline_kernelINS0_14default_configENS1_20scan_config_selectorIdEEZZNS1_9scan_implILNS1_25lookback_scan_determinismE0ELb1ELb1ES3_N6thrust23THRUST_200600_302600_NS6detail15normal_iteratorINS9_10device_ptrIdEEEESE_dNS9_4plusIvEEdEEDaPvRmT3_T4_T5_mT6_P12ihipStream_tbENKUlT_T0_E_clISt17integral_constantIbLb1EESU_EEDaSP_SQ_EUlSP_E_NS1_11comp_targetILNS1_3genE0ELNS1_11target_archE4294967295ELNS1_3gpuE0ELNS1_3repE0EEENS1_30default_config_static_selectorELNS0_4arch9wavefront6targetE1EEEvT1_ ; -- Begin function _ZN7rocprim17ROCPRIM_400000_NS6detail17trampoline_kernelINS0_14default_configENS1_20scan_config_selectorIdEEZZNS1_9scan_implILNS1_25lookback_scan_determinismE0ELb1ELb1ES3_N6thrust23THRUST_200600_302600_NS6detail15normal_iteratorINS9_10device_ptrIdEEEESE_dNS9_4plusIvEEdEEDaPvRmT3_T4_T5_mT6_P12ihipStream_tbENKUlT_T0_E_clISt17integral_constantIbLb1EESU_EEDaSP_SQ_EUlSP_E_NS1_11comp_targetILNS1_3genE0ELNS1_11target_archE4294967295ELNS1_3gpuE0ELNS1_3repE0EEENS1_30default_config_static_selectorELNS0_4arch9wavefront6targetE1EEEvT1_
	.globl	_ZN7rocprim17ROCPRIM_400000_NS6detail17trampoline_kernelINS0_14default_configENS1_20scan_config_selectorIdEEZZNS1_9scan_implILNS1_25lookback_scan_determinismE0ELb1ELb1ES3_N6thrust23THRUST_200600_302600_NS6detail15normal_iteratorINS9_10device_ptrIdEEEESE_dNS9_4plusIvEEdEEDaPvRmT3_T4_T5_mT6_P12ihipStream_tbENKUlT_T0_E_clISt17integral_constantIbLb1EESU_EEDaSP_SQ_EUlSP_E_NS1_11comp_targetILNS1_3genE0ELNS1_11target_archE4294967295ELNS1_3gpuE0ELNS1_3repE0EEENS1_30default_config_static_selectorELNS0_4arch9wavefront6targetE1EEEvT1_
	.p2align	8
	.type	_ZN7rocprim17ROCPRIM_400000_NS6detail17trampoline_kernelINS0_14default_configENS1_20scan_config_selectorIdEEZZNS1_9scan_implILNS1_25lookback_scan_determinismE0ELb1ELb1ES3_N6thrust23THRUST_200600_302600_NS6detail15normal_iteratorINS9_10device_ptrIdEEEESE_dNS9_4plusIvEEdEEDaPvRmT3_T4_T5_mT6_P12ihipStream_tbENKUlT_T0_E_clISt17integral_constantIbLb1EESU_EEDaSP_SQ_EUlSP_E_NS1_11comp_targetILNS1_3genE0ELNS1_11target_archE4294967295ELNS1_3gpuE0ELNS1_3repE0EEENS1_30default_config_static_selectorELNS0_4arch9wavefront6targetE1EEEvT1_,@function
_ZN7rocprim17ROCPRIM_400000_NS6detail17trampoline_kernelINS0_14default_configENS1_20scan_config_selectorIdEEZZNS1_9scan_implILNS1_25lookback_scan_determinismE0ELb1ELb1ES3_N6thrust23THRUST_200600_302600_NS6detail15normal_iteratorINS9_10device_ptrIdEEEESE_dNS9_4plusIvEEdEEDaPvRmT3_T4_T5_mT6_P12ihipStream_tbENKUlT_T0_E_clISt17integral_constantIbLb1EESU_EEDaSP_SQ_EUlSP_E_NS1_11comp_targetILNS1_3genE0ELNS1_11target_archE4294967295ELNS1_3gpuE0ELNS1_3repE0EEENS1_30default_config_static_selectorELNS0_4arch9wavefront6targetE1EEEvT1_: ; @_ZN7rocprim17ROCPRIM_400000_NS6detail17trampoline_kernelINS0_14default_configENS1_20scan_config_selectorIdEEZZNS1_9scan_implILNS1_25lookback_scan_determinismE0ELb1ELb1ES3_N6thrust23THRUST_200600_302600_NS6detail15normal_iteratorINS9_10device_ptrIdEEEESE_dNS9_4plusIvEEdEEDaPvRmT3_T4_T5_mT6_P12ihipStream_tbENKUlT_T0_E_clISt17integral_constantIbLb1EESU_EEDaSP_SQ_EUlSP_E_NS1_11comp_targetILNS1_3genE0ELNS1_11target_archE4294967295ELNS1_3gpuE0ELNS1_3repE0EEENS1_30default_config_static_selectorELNS0_4arch9wavefront6targetE1EEEvT1_
; %bb.0:
	.section	.rodata,"a",@progbits
	.p2align	6, 0x0
	.amdhsa_kernel _ZN7rocprim17ROCPRIM_400000_NS6detail17trampoline_kernelINS0_14default_configENS1_20scan_config_selectorIdEEZZNS1_9scan_implILNS1_25lookback_scan_determinismE0ELb1ELb1ES3_N6thrust23THRUST_200600_302600_NS6detail15normal_iteratorINS9_10device_ptrIdEEEESE_dNS9_4plusIvEEdEEDaPvRmT3_T4_T5_mT6_P12ihipStream_tbENKUlT_T0_E_clISt17integral_constantIbLb1EESU_EEDaSP_SQ_EUlSP_E_NS1_11comp_targetILNS1_3genE0ELNS1_11target_archE4294967295ELNS1_3gpuE0ELNS1_3repE0EEENS1_30default_config_static_selectorELNS0_4arch9wavefront6targetE1EEEvT1_
		.amdhsa_group_segment_fixed_size 0
		.amdhsa_private_segment_fixed_size 0
		.amdhsa_kernarg_size 104
		.amdhsa_user_sgpr_count 6
		.amdhsa_user_sgpr_private_segment_buffer 1
		.amdhsa_user_sgpr_dispatch_ptr 0
		.amdhsa_user_sgpr_queue_ptr 0
		.amdhsa_user_sgpr_kernarg_segment_ptr 1
		.amdhsa_user_sgpr_dispatch_id 0
		.amdhsa_user_sgpr_flat_scratch_init 0
		.amdhsa_user_sgpr_kernarg_preload_length 0
		.amdhsa_user_sgpr_kernarg_preload_offset 0
		.amdhsa_user_sgpr_private_segment_size 0
		.amdhsa_uses_dynamic_stack 0
		.amdhsa_system_sgpr_private_segment_wavefront_offset 0
		.amdhsa_system_sgpr_workgroup_id_x 1
		.amdhsa_system_sgpr_workgroup_id_y 0
		.amdhsa_system_sgpr_workgroup_id_z 0
		.amdhsa_system_sgpr_workgroup_info 0
		.amdhsa_system_vgpr_workitem_id 0
		.amdhsa_next_free_vgpr 1
		.amdhsa_next_free_sgpr 0
		.amdhsa_accum_offset 4
		.amdhsa_reserve_vcc 0
		.amdhsa_reserve_flat_scratch 0
		.amdhsa_float_round_mode_32 0
		.amdhsa_float_round_mode_16_64 0
		.amdhsa_float_denorm_mode_32 3
		.amdhsa_float_denorm_mode_16_64 3
		.amdhsa_dx10_clamp 1
		.amdhsa_ieee_mode 1
		.amdhsa_fp16_overflow 0
		.amdhsa_tg_split 0
		.amdhsa_exception_fp_ieee_invalid_op 0
		.amdhsa_exception_fp_denorm_src 0
		.amdhsa_exception_fp_ieee_div_zero 0
		.amdhsa_exception_fp_ieee_overflow 0
		.amdhsa_exception_fp_ieee_underflow 0
		.amdhsa_exception_fp_ieee_inexact 0
		.amdhsa_exception_int_div_zero 0
	.end_amdhsa_kernel
	.section	.text._ZN7rocprim17ROCPRIM_400000_NS6detail17trampoline_kernelINS0_14default_configENS1_20scan_config_selectorIdEEZZNS1_9scan_implILNS1_25lookback_scan_determinismE0ELb1ELb1ES3_N6thrust23THRUST_200600_302600_NS6detail15normal_iteratorINS9_10device_ptrIdEEEESE_dNS9_4plusIvEEdEEDaPvRmT3_T4_T5_mT6_P12ihipStream_tbENKUlT_T0_E_clISt17integral_constantIbLb1EESU_EEDaSP_SQ_EUlSP_E_NS1_11comp_targetILNS1_3genE0ELNS1_11target_archE4294967295ELNS1_3gpuE0ELNS1_3repE0EEENS1_30default_config_static_selectorELNS0_4arch9wavefront6targetE1EEEvT1_,"axG",@progbits,_ZN7rocprim17ROCPRIM_400000_NS6detail17trampoline_kernelINS0_14default_configENS1_20scan_config_selectorIdEEZZNS1_9scan_implILNS1_25lookback_scan_determinismE0ELb1ELb1ES3_N6thrust23THRUST_200600_302600_NS6detail15normal_iteratorINS9_10device_ptrIdEEEESE_dNS9_4plusIvEEdEEDaPvRmT3_T4_T5_mT6_P12ihipStream_tbENKUlT_T0_E_clISt17integral_constantIbLb1EESU_EEDaSP_SQ_EUlSP_E_NS1_11comp_targetILNS1_3genE0ELNS1_11target_archE4294967295ELNS1_3gpuE0ELNS1_3repE0EEENS1_30default_config_static_selectorELNS0_4arch9wavefront6targetE1EEEvT1_,comdat
.Lfunc_end4232:
	.size	_ZN7rocprim17ROCPRIM_400000_NS6detail17trampoline_kernelINS0_14default_configENS1_20scan_config_selectorIdEEZZNS1_9scan_implILNS1_25lookback_scan_determinismE0ELb1ELb1ES3_N6thrust23THRUST_200600_302600_NS6detail15normal_iteratorINS9_10device_ptrIdEEEESE_dNS9_4plusIvEEdEEDaPvRmT3_T4_T5_mT6_P12ihipStream_tbENKUlT_T0_E_clISt17integral_constantIbLb1EESU_EEDaSP_SQ_EUlSP_E_NS1_11comp_targetILNS1_3genE0ELNS1_11target_archE4294967295ELNS1_3gpuE0ELNS1_3repE0EEENS1_30default_config_static_selectorELNS0_4arch9wavefront6targetE1EEEvT1_, .Lfunc_end4232-_ZN7rocprim17ROCPRIM_400000_NS6detail17trampoline_kernelINS0_14default_configENS1_20scan_config_selectorIdEEZZNS1_9scan_implILNS1_25lookback_scan_determinismE0ELb1ELb1ES3_N6thrust23THRUST_200600_302600_NS6detail15normal_iteratorINS9_10device_ptrIdEEEESE_dNS9_4plusIvEEdEEDaPvRmT3_T4_T5_mT6_P12ihipStream_tbENKUlT_T0_E_clISt17integral_constantIbLb1EESU_EEDaSP_SQ_EUlSP_E_NS1_11comp_targetILNS1_3genE0ELNS1_11target_archE4294967295ELNS1_3gpuE0ELNS1_3repE0EEENS1_30default_config_static_selectorELNS0_4arch9wavefront6targetE1EEEvT1_
                                        ; -- End function
	.section	.AMDGPU.csdata,"",@progbits
; Kernel info:
; codeLenInByte = 0
; NumSgprs: 4
; NumVgprs: 0
; NumAgprs: 0
; TotalNumVgprs: 0
; ScratchSize: 0
; MemoryBound: 0
; FloatMode: 240
; IeeeMode: 1
; LDSByteSize: 0 bytes/workgroup (compile time only)
; SGPRBlocks: 0
; VGPRBlocks: 0
; NumSGPRsForWavesPerEU: 4
; NumVGPRsForWavesPerEU: 1
; AccumOffset: 4
; Occupancy: 8
; WaveLimiterHint : 0
; COMPUTE_PGM_RSRC2:SCRATCH_EN: 0
; COMPUTE_PGM_RSRC2:USER_SGPR: 6
; COMPUTE_PGM_RSRC2:TRAP_HANDLER: 0
; COMPUTE_PGM_RSRC2:TGID_X_EN: 1
; COMPUTE_PGM_RSRC2:TGID_Y_EN: 0
; COMPUTE_PGM_RSRC2:TGID_Z_EN: 0
; COMPUTE_PGM_RSRC2:TIDIG_COMP_CNT: 0
; COMPUTE_PGM_RSRC3_GFX90A:ACCUM_OFFSET: 0
; COMPUTE_PGM_RSRC3_GFX90A:TG_SPLIT: 0
	.section	.text._ZN7rocprim17ROCPRIM_400000_NS6detail17trampoline_kernelINS0_14default_configENS1_20scan_config_selectorIdEEZZNS1_9scan_implILNS1_25lookback_scan_determinismE0ELb1ELb1ES3_N6thrust23THRUST_200600_302600_NS6detail15normal_iteratorINS9_10device_ptrIdEEEESE_dNS9_4plusIvEEdEEDaPvRmT3_T4_T5_mT6_P12ihipStream_tbENKUlT_T0_E_clISt17integral_constantIbLb1EESU_EEDaSP_SQ_EUlSP_E_NS1_11comp_targetILNS1_3genE5ELNS1_11target_archE942ELNS1_3gpuE9ELNS1_3repE0EEENS1_30default_config_static_selectorELNS0_4arch9wavefront6targetE1EEEvT1_,"axG",@progbits,_ZN7rocprim17ROCPRIM_400000_NS6detail17trampoline_kernelINS0_14default_configENS1_20scan_config_selectorIdEEZZNS1_9scan_implILNS1_25lookback_scan_determinismE0ELb1ELb1ES3_N6thrust23THRUST_200600_302600_NS6detail15normal_iteratorINS9_10device_ptrIdEEEESE_dNS9_4plusIvEEdEEDaPvRmT3_T4_T5_mT6_P12ihipStream_tbENKUlT_T0_E_clISt17integral_constantIbLb1EESU_EEDaSP_SQ_EUlSP_E_NS1_11comp_targetILNS1_3genE5ELNS1_11target_archE942ELNS1_3gpuE9ELNS1_3repE0EEENS1_30default_config_static_selectorELNS0_4arch9wavefront6targetE1EEEvT1_,comdat
	.protected	_ZN7rocprim17ROCPRIM_400000_NS6detail17trampoline_kernelINS0_14default_configENS1_20scan_config_selectorIdEEZZNS1_9scan_implILNS1_25lookback_scan_determinismE0ELb1ELb1ES3_N6thrust23THRUST_200600_302600_NS6detail15normal_iteratorINS9_10device_ptrIdEEEESE_dNS9_4plusIvEEdEEDaPvRmT3_T4_T5_mT6_P12ihipStream_tbENKUlT_T0_E_clISt17integral_constantIbLb1EESU_EEDaSP_SQ_EUlSP_E_NS1_11comp_targetILNS1_3genE5ELNS1_11target_archE942ELNS1_3gpuE9ELNS1_3repE0EEENS1_30default_config_static_selectorELNS0_4arch9wavefront6targetE1EEEvT1_ ; -- Begin function _ZN7rocprim17ROCPRIM_400000_NS6detail17trampoline_kernelINS0_14default_configENS1_20scan_config_selectorIdEEZZNS1_9scan_implILNS1_25lookback_scan_determinismE0ELb1ELb1ES3_N6thrust23THRUST_200600_302600_NS6detail15normal_iteratorINS9_10device_ptrIdEEEESE_dNS9_4plusIvEEdEEDaPvRmT3_T4_T5_mT6_P12ihipStream_tbENKUlT_T0_E_clISt17integral_constantIbLb1EESU_EEDaSP_SQ_EUlSP_E_NS1_11comp_targetILNS1_3genE5ELNS1_11target_archE942ELNS1_3gpuE9ELNS1_3repE0EEENS1_30default_config_static_selectorELNS0_4arch9wavefront6targetE1EEEvT1_
	.globl	_ZN7rocprim17ROCPRIM_400000_NS6detail17trampoline_kernelINS0_14default_configENS1_20scan_config_selectorIdEEZZNS1_9scan_implILNS1_25lookback_scan_determinismE0ELb1ELb1ES3_N6thrust23THRUST_200600_302600_NS6detail15normal_iteratorINS9_10device_ptrIdEEEESE_dNS9_4plusIvEEdEEDaPvRmT3_T4_T5_mT6_P12ihipStream_tbENKUlT_T0_E_clISt17integral_constantIbLb1EESU_EEDaSP_SQ_EUlSP_E_NS1_11comp_targetILNS1_3genE5ELNS1_11target_archE942ELNS1_3gpuE9ELNS1_3repE0EEENS1_30default_config_static_selectorELNS0_4arch9wavefront6targetE1EEEvT1_
	.p2align	8
	.type	_ZN7rocprim17ROCPRIM_400000_NS6detail17trampoline_kernelINS0_14default_configENS1_20scan_config_selectorIdEEZZNS1_9scan_implILNS1_25lookback_scan_determinismE0ELb1ELb1ES3_N6thrust23THRUST_200600_302600_NS6detail15normal_iteratorINS9_10device_ptrIdEEEESE_dNS9_4plusIvEEdEEDaPvRmT3_T4_T5_mT6_P12ihipStream_tbENKUlT_T0_E_clISt17integral_constantIbLb1EESU_EEDaSP_SQ_EUlSP_E_NS1_11comp_targetILNS1_3genE5ELNS1_11target_archE942ELNS1_3gpuE9ELNS1_3repE0EEENS1_30default_config_static_selectorELNS0_4arch9wavefront6targetE1EEEvT1_,@function
_ZN7rocprim17ROCPRIM_400000_NS6detail17trampoline_kernelINS0_14default_configENS1_20scan_config_selectorIdEEZZNS1_9scan_implILNS1_25lookback_scan_determinismE0ELb1ELb1ES3_N6thrust23THRUST_200600_302600_NS6detail15normal_iteratorINS9_10device_ptrIdEEEESE_dNS9_4plusIvEEdEEDaPvRmT3_T4_T5_mT6_P12ihipStream_tbENKUlT_T0_E_clISt17integral_constantIbLb1EESU_EEDaSP_SQ_EUlSP_E_NS1_11comp_targetILNS1_3genE5ELNS1_11target_archE942ELNS1_3gpuE9ELNS1_3repE0EEENS1_30default_config_static_selectorELNS0_4arch9wavefront6targetE1EEEvT1_: ; @_ZN7rocprim17ROCPRIM_400000_NS6detail17trampoline_kernelINS0_14default_configENS1_20scan_config_selectorIdEEZZNS1_9scan_implILNS1_25lookback_scan_determinismE0ELb1ELb1ES3_N6thrust23THRUST_200600_302600_NS6detail15normal_iteratorINS9_10device_ptrIdEEEESE_dNS9_4plusIvEEdEEDaPvRmT3_T4_T5_mT6_P12ihipStream_tbENKUlT_T0_E_clISt17integral_constantIbLb1EESU_EEDaSP_SQ_EUlSP_E_NS1_11comp_targetILNS1_3genE5ELNS1_11target_archE942ELNS1_3gpuE9ELNS1_3repE0EEENS1_30default_config_static_selectorELNS0_4arch9wavefront6targetE1EEEvT1_
; %bb.0:
	.section	.rodata,"a",@progbits
	.p2align	6, 0x0
	.amdhsa_kernel _ZN7rocprim17ROCPRIM_400000_NS6detail17trampoline_kernelINS0_14default_configENS1_20scan_config_selectorIdEEZZNS1_9scan_implILNS1_25lookback_scan_determinismE0ELb1ELb1ES3_N6thrust23THRUST_200600_302600_NS6detail15normal_iteratorINS9_10device_ptrIdEEEESE_dNS9_4plusIvEEdEEDaPvRmT3_T4_T5_mT6_P12ihipStream_tbENKUlT_T0_E_clISt17integral_constantIbLb1EESU_EEDaSP_SQ_EUlSP_E_NS1_11comp_targetILNS1_3genE5ELNS1_11target_archE942ELNS1_3gpuE9ELNS1_3repE0EEENS1_30default_config_static_selectorELNS0_4arch9wavefront6targetE1EEEvT1_
		.amdhsa_group_segment_fixed_size 0
		.amdhsa_private_segment_fixed_size 0
		.amdhsa_kernarg_size 104
		.amdhsa_user_sgpr_count 6
		.amdhsa_user_sgpr_private_segment_buffer 1
		.amdhsa_user_sgpr_dispatch_ptr 0
		.amdhsa_user_sgpr_queue_ptr 0
		.amdhsa_user_sgpr_kernarg_segment_ptr 1
		.amdhsa_user_sgpr_dispatch_id 0
		.amdhsa_user_sgpr_flat_scratch_init 0
		.amdhsa_user_sgpr_kernarg_preload_length 0
		.amdhsa_user_sgpr_kernarg_preload_offset 0
		.amdhsa_user_sgpr_private_segment_size 0
		.amdhsa_uses_dynamic_stack 0
		.amdhsa_system_sgpr_private_segment_wavefront_offset 0
		.amdhsa_system_sgpr_workgroup_id_x 1
		.amdhsa_system_sgpr_workgroup_id_y 0
		.amdhsa_system_sgpr_workgroup_id_z 0
		.amdhsa_system_sgpr_workgroup_info 0
		.amdhsa_system_vgpr_workitem_id 0
		.amdhsa_next_free_vgpr 1
		.amdhsa_next_free_sgpr 0
		.amdhsa_accum_offset 4
		.amdhsa_reserve_vcc 0
		.amdhsa_reserve_flat_scratch 0
		.amdhsa_float_round_mode_32 0
		.amdhsa_float_round_mode_16_64 0
		.amdhsa_float_denorm_mode_32 3
		.amdhsa_float_denorm_mode_16_64 3
		.amdhsa_dx10_clamp 1
		.amdhsa_ieee_mode 1
		.amdhsa_fp16_overflow 0
		.amdhsa_tg_split 0
		.amdhsa_exception_fp_ieee_invalid_op 0
		.amdhsa_exception_fp_denorm_src 0
		.amdhsa_exception_fp_ieee_div_zero 0
		.amdhsa_exception_fp_ieee_overflow 0
		.amdhsa_exception_fp_ieee_underflow 0
		.amdhsa_exception_fp_ieee_inexact 0
		.amdhsa_exception_int_div_zero 0
	.end_amdhsa_kernel
	.section	.text._ZN7rocprim17ROCPRIM_400000_NS6detail17trampoline_kernelINS0_14default_configENS1_20scan_config_selectorIdEEZZNS1_9scan_implILNS1_25lookback_scan_determinismE0ELb1ELb1ES3_N6thrust23THRUST_200600_302600_NS6detail15normal_iteratorINS9_10device_ptrIdEEEESE_dNS9_4plusIvEEdEEDaPvRmT3_T4_T5_mT6_P12ihipStream_tbENKUlT_T0_E_clISt17integral_constantIbLb1EESU_EEDaSP_SQ_EUlSP_E_NS1_11comp_targetILNS1_3genE5ELNS1_11target_archE942ELNS1_3gpuE9ELNS1_3repE0EEENS1_30default_config_static_selectorELNS0_4arch9wavefront6targetE1EEEvT1_,"axG",@progbits,_ZN7rocprim17ROCPRIM_400000_NS6detail17trampoline_kernelINS0_14default_configENS1_20scan_config_selectorIdEEZZNS1_9scan_implILNS1_25lookback_scan_determinismE0ELb1ELb1ES3_N6thrust23THRUST_200600_302600_NS6detail15normal_iteratorINS9_10device_ptrIdEEEESE_dNS9_4plusIvEEdEEDaPvRmT3_T4_T5_mT6_P12ihipStream_tbENKUlT_T0_E_clISt17integral_constantIbLb1EESU_EEDaSP_SQ_EUlSP_E_NS1_11comp_targetILNS1_3genE5ELNS1_11target_archE942ELNS1_3gpuE9ELNS1_3repE0EEENS1_30default_config_static_selectorELNS0_4arch9wavefront6targetE1EEEvT1_,comdat
.Lfunc_end4233:
	.size	_ZN7rocprim17ROCPRIM_400000_NS6detail17trampoline_kernelINS0_14default_configENS1_20scan_config_selectorIdEEZZNS1_9scan_implILNS1_25lookback_scan_determinismE0ELb1ELb1ES3_N6thrust23THRUST_200600_302600_NS6detail15normal_iteratorINS9_10device_ptrIdEEEESE_dNS9_4plusIvEEdEEDaPvRmT3_T4_T5_mT6_P12ihipStream_tbENKUlT_T0_E_clISt17integral_constantIbLb1EESU_EEDaSP_SQ_EUlSP_E_NS1_11comp_targetILNS1_3genE5ELNS1_11target_archE942ELNS1_3gpuE9ELNS1_3repE0EEENS1_30default_config_static_selectorELNS0_4arch9wavefront6targetE1EEEvT1_, .Lfunc_end4233-_ZN7rocprim17ROCPRIM_400000_NS6detail17trampoline_kernelINS0_14default_configENS1_20scan_config_selectorIdEEZZNS1_9scan_implILNS1_25lookback_scan_determinismE0ELb1ELb1ES3_N6thrust23THRUST_200600_302600_NS6detail15normal_iteratorINS9_10device_ptrIdEEEESE_dNS9_4plusIvEEdEEDaPvRmT3_T4_T5_mT6_P12ihipStream_tbENKUlT_T0_E_clISt17integral_constantIbLb1EESU_EEDaSP_SQ_EUlSP_E_NS1_11comp_targetILNS1_3genE5ELNS1_11target_archE942ELNS1_3gpuE9ELNS1_3repE0EEENS1_30default_config_static_selectorELNS0_4arch9wavefront6targetE1EEEvT1_
                                        ; -- End function
	.section	.AMDGPU.csdata,"",@progbits
; Kernel info:
; codeLenInByte = 0
; NumSgprs: 4
; NumVgprs: 0
; NumAgprs: 0
; TotalNumVgprs: 0
; ScratchSize: 0
; MemoryBound: 0
; FloatMode: 240
; IeeeMode: 1
; LDSByteSize: 0 bytes/workgroup (compile time only)
; SGPRBlocks: 0
; VGPRBlocks: 0
; NumSGPRsForWavesPerEU: 4
; NumVGPRsForWavesPerEU: 1
; AccumOffset: 4
; Occupancy: 8
; WaveLimiterHint : 0
; COMPUTE_PGM_RSRC2:SCRATCH_EN: 0
; COMPUTE_PGM_RSRC2:USER_SGPR: 6
; COMPUTE_PGM_RSRC2:TRAP_HANDLER: 0
; COMPUTE_PGM_RSRC2:TGID_X_EN: 1
; COMPUTE_PGM_RSRC2:TGID_Y_EN: 0
; COMPUTE_PGM_RSRC2:TGID_Z_EN: 0
; COMPUTE_PGM_RSRC2:TIDIG_COMP_CNT: 0
; COMPUTE_PGM_RSRC3_GFX90A:ACCUM_OFFSET: 0
; COMPUTE_PGM_RSRC3_GFX90A:TG_SPLIT: 0
	.section	.text._ZN7rocprim17ROCPRIM_400000_NS6detail17trampoline_kernelINS0_14default_configENS1_20scan_config_selectorIdEEZZNS1_9scan_implILNS1_25lookback_scan_determinismE0ELb1ELb1ES3_N6thrust23THRUST_200600_302600_NS6detail15normal_iteratorINS9_10device_ptrIdEEEESE_dNS9_4plusIvEEdEEDaPvRmT3_T4_T5_mT6_P12ihipStream_tbENKUlT_T0_E_clISt17integral_constantIbLb1EESU_EEDaSP_SQ_EUlSP_E_NS1_11comp_targetILNS1_3genE4ELNS1_11target_archE910ELNS1_3gpuE8ELNS1_3repE0EEENS1_30default_config_static_selectorELNS0_4arch9wavefront6targetE1EEEvT1_,"axG",@progbits,_ZN7rocprim17ROCPRIM_400000_NS6detail17trampoline_kernelINS0_14default_configENS1_20scan_config_selectorIdEEZZNS1_9scan_implILNS1_25lookback_scan_determinismE0ELb1ELb1ES3_N6thrust23THRUST_200600_302600_NS6detail15normal_iteratorINS9_10device_ptrIdEEEESE_dNS9_4plusIvEEdEEDaPvRmT3_T4_T5_mT6_P12ihipStream_tbENKUlT_T0_E_clISt17integral_constantIbLb1EESU_EEDaSP_SQ_EUlSP_E_NS1_11comp_targetILNS1_3genE4ELNS1_11target_archE910ELNS1_3gpuE8ELNS1_3repE0EEENS1_30default_config_static_selectorELNS0_4arch9wavefront6targetE1EEEvT1_,comdat
	.protected	_ZN7rocprim17ROCPRIM_400000_NS6detail17trampoline_kernelINS0_14default_configENS1_20scan_config_selectorIdEEZZNS1_9scan_implILNS1_25lookback_scan_determinismE0ELb1ELb1ES3_N6thrust23THRUST_200600_302600_NS6detail15normal_iteratorINS9_10device_ptrIdEEEESE_dNS9_4plusIvEEdEEDaPvRmT3_T4_T5_mT6_P12ihipStream_tbENKUlT_T0_E_clISt17integral_constantIbLb1EESU_EEDaSP_SQ_EUlSP_E_NS1_11comp_targetILNS1_3genE4ELNS1_11target_archE910ELNS1_3gpuE8ELNS1_3repE0EEENS1_30default_config_static_selectorELNS0_4arch9wavefront6targetE1EEEvT1_ ; -- Begin function _ZN7rocprim17ROCPRIM_400000_NS6detail17trampoline_kernelINS0_14default_configENS1_20scan_config_selectorIdEEZZNS1_9scan_implILNS1_25lookback_scan_determinismE0ELb1ELb1ES3_N6thrust23THRUST_200600_302600_NS6detail15normal_iteratorINS9_10device_ptrIdEEEESE_dNS9_4plusIvEEdEEDaPvRmT3_T4_T5_mT6_P12ihipStream_tbENKUlT_T0_E_clISt17integral_constantIbLb1EESU_EEDaSP_SQ_EUlSP_E_NS1_11comp_targetILNS1_3genE4ELNS1_11target_archE910ELNS1_3gpuE8ELNS1_3repE0EEENS1_30default_config_static_selectorELNS0_4arch9wavefront6targetE1EEEvT1_
	.globl	_ZN7rocprim17ROCPRIM_400000_NS6detail17trampoline_kernelINS0_14default_configENS1_20scan_config_selectorIdEEZZNS1_9scan_implILNS1_25lookback_scan_determinismE0ELb1ELb1ES3_N6thrust23THRUST_200600_302600_NS6detail15normal_iteratorINS9_10device_ptrIdEEEESE_dNS9_4plusIvEEdEEDaPvRmT3_T4_T5_mT6_P12ihipStream_tbENKUlT_T0_E_clISt17integral_constantIbLb1EESU_EEDaSP_SQ_EUlSP_E_NS1_11comp_targetILNS1_3genE4ELNS1_11target_archE910ELNS1_3gpuE8ELNS1_3repE0EEENS1_30default_config_static_selectorELNS0_4arch9wavefront6targetE1EEEvT1_
	.p2align	8
	.type	_ZN7rocprim17ROCPRIM_400000_NS6detail17trampoline_kernelINS0_14default_configENS1_20scan_config_selectorIdEEZZNS1_9scan_implILNS1_25lookback_scan_determinismE0ELb1ELb1ES3_N6thrust23THRUST_200600_302600_NS6detail15normal_iteratorINS9_10device_ptrIdEEEESE_dNS9_4plusIvEEdEEDaPvRmT3_T4_T5_mT6_P12ihipStream_tbENKUlT_T0_E_clISt17integral_constantIbLb1EESU_EEDaSP_SQ_EUlSP_E_NS1_11comp_targetILNS1_3genE4ELNS1_11target_archE910ELNS1_3gpuE8ELNS1_3repE0EEENS1_30default_config_static_selectorELNS0_4arch9wavefront6targetE1EEEvT1_,@function
_ZN7rocprim17ROCPRIM_400000_NS6detail17trampoline_kernelINS0_14default_configENS1_20scan_config_selectorIdEEZZNS1_9scan_implILNS1_25lookback_scan_determinismE0ELb1ELb1ES3_N6thrust23THRUST_200600_302600_NS6detail15normal_iteratorINS9_10device_ptrIdEEEESE_dNS9_4plusIvEEdEEDaPvRmT3_T4_T5_mT6_P12ihipStream_tbENKUlT_T0_E_clISt17integral_constantIbLb1EESU_EEDaSP_SQ_EUlSP_E_NS1_11comp_targetILNS1_3genE4ELNS1_11target_archE910ELNS1_3gpuE8ELNS1_3repE0EEENS1_30default_config_static_selectorELNS0_4arch9wavefront6targetE1EEEvT1_: ; @_ZN7rocprim17ROCPRIM_400000_NS6detail17trampoline_kernelINS0_14default_configENS1_20scan_config_selectorIdEEZZNS1_9scan_implILNS1_25lookback_scan_determinismE0ELb1ELb1ES3_N6thrust23THRUST_200600_302600_NS6detail15normal_iteratorINS9_10device_ptrIdEEEESE_dNS9_4plusIvEEdEEDaPvRmT3_T4_T5_mT6_P12ihipStream_tbENKUlT_T0_E_clISt17integral_constantIbLb1EESU_EEDaSP_SQ_EUlSP_E_NS1_11comp_targetILNS1_3genE4ELNS1_11target_archE910ELNS1_3gpuE8ELNS1_3repE0EEENS1_30default_config_static_selectorELNS0_4arch9wavefront6targetE1EEEvT1_
; %bb.0:
	s_load_dwordx8 s[20:27], s[4:5], 0x0
	s_load_dwordx2 s[30:31], s[4:5], 0x20
	s_load_dwordx2 s[28:29], s[4:5], 0x30
	v_cmp_eq_u32_e64 s[0:1], 0, v0
	s_and_saveexec_b64 s[2:3], s[0:1]
	s_cbranch_execz .LBB4234_4
; %bb.1:
	s_mov_b64 s[8:9], exec
	v_mbcnt_lo_u32_b32 v1, s8, 0
	v_mbcnt_hi_u32_b32 v1, s9, v1
	v_cmp_eq_u32_e32 vcc, 0, v1
                                        ; implicit-def: $vgpr2
	s_and_saveexec_b64 s[6:7], vcc
	s_cbranch_execz .LBB4234_3
; %bb.2:
	s_load_dwordx2 s[10:11], s[4:5], 0x60
	s_bcnt1_i32_b64 s8, s[8:9]
	v_mov_b32_e32 v2, 0
	v_mov_b32_e32 v3, s8
	s_waitcnt lgkmcnt(0)
	global_atomic_add v2, v2, v3, s[10:11] glc
.LBB4234_3:
	s_or_b64 exec, exec, s[6:7]
	s_waitcnt vmcnt(0)
	v_readfirstlane_b32 s6, v2
	v_add_u32_e32 v1, s6, v1
	v_mov_b32_e32 v2, 0
	ds_write_b32 v2, v1
.LBB4234_4:
	s_or_b64 exec, exec, s[2:3]
	s_load_dword s2, s[4:5], 0x38
	s_load_dwordx8 s[12:19], s[4:5], 0x40
	v_mov_b32_e32 v1, 0
	s_waitcnt lgkmcnt(0)
	s_barrier
	ds_read_b32 v1, v1
	s_lshl_b64 s[22:23], s[22:23], 3
	s_add_u32 s37, s20, s22
	s_addc_u32 s38, s21, s23
	s_add_i32 s2, s2, -1
	s_mul_i32 s3, s2, 0x500
	s_sub_u32 s33, s26, s3
	s_waitcnt lgkmcnt(0)
	v_readfirstlane_b32 s39, v1
	s_subb_u32 s36, s27, 0
	s_mul_i32 s4, s39, 0x500
	s_mov_b32 s5, 0
	s_cmp_lg_u32 s39, s2
	s_cselect_b64 s[20:21], -1, 0
	s_lshl_b64 s[26:27], s[4:5], 3
	s_add_u32 s4, s37, s26
	s_addc_u32 s5, s38, s27
	s_mov_b64 s[2:3], -1
	s_and_b64 vcc, exec, s[20:21]
	v_lshlrev_b32_e32 v44, 3, v0
	s_barrier
	s_cbranch_vccz .LBB4234_6
; %bb.5:
	v_mov_b32_e32 v1, s5
	v_add_co_u32_e32 v2, vcc, s4, v44
	v_addc_co_u32_e32 v3, vcc, 0, v1, vcc
	v_add_co_u32_e32 v12, vcc, 0x1000, v2
	v_addc_co_u32_e32 v13, vcc, 0, v3, vcc
	flat_load_dwordx2 v[4:5], v[2:3]
	flat_load_dwordx2 v[6:7], v[2:3] offset:1024
	flat_load_dwordx2 v[8:9], v[2:3] offset:2048
	;; [unrolled: 1-line block ×3, first 2 shown]
	v_add_co_u32_e32 v2, vcc, 0x2000, v2
	v_addc_co_u32_e32 v3, vcc, 0, v3, vcc
	flat_load_dwordx2 v[14:15], v[12:13]
	flat_load_dwordx2 v[16:17], v[12:13] offset:1024
	flat_load_dwordx2 v[18:19], v[12:13] offset:2048
	;; [unrolled: 1-line block ×3, first 2 shown]
	s_nop 0
	flat_load_dwordx2 v[12:13], v[2:3]
	flat_load_dwordx2 v[22:23], v[2:3] offset:1024
	s_mov_b64 s[2:3], 0
	s_waitcnt vmcnt(0) lgkmcnt(0)
	ds_write2st64_b64 v44, v[4:5], v[6:7] offset1:2
	ds_write2st64_b64 v44, v[8:9], v[10:11] offset0:4 offset1:6
	ds_write2st64_b64 v44, v[14:15], v[16:17] offset0:8 offset1:10
	;; [unrolled: 1-line block ×4, first 2 shown]
	s_waitcnt lgkmcnt(0)
	s_barrier
.LBB4234_6:
	s_andn2_b64 vcc, exec, s[2:3]
	v_cmp_gt_u32_e64 s[2:3], s33, v0
	s_cbranch_vccnz .LBB4234_28
; %bb.7:
	v_pk_mov_b32 v[2:3], s[4:5], s[4:5] op_sel:[0,1]
	flat_load_dwordx2 v[2:3], v[2:3]
	s_waitcnt vmcnt(0) lgkmcnt(0)
	v_mov_b32_e32 v4, v2
	v_mov_b32_e32 v5, v3
	;; [unrolled: 1-line block ×16, first 2 shown]
	v_pk_mov_b32 v[34:35], v[30:31], v[30:31] op_sel:[0,1]
	v_pk_mov_b32 v[32:33], v[28:29], v[28:29] op_sel:[0,1]
	;; [unrolled: 1-line block ×16, first 2 shown]
	s_and_saveexec_b64 s[6:7], s[2:3]
	s_cbranch_execz .LBB4234_9
; %bb.8:
	v_mov_b32_e32 v1, s5
	v_add_co_u32_e32 v4, vcc, s4, v44
	v_addc_co_u32_e32 v5, vcc, 0, v1, vcc
	flat_load_dwordx2 v[36:37], v[4:5]
	v_mov_b32_e32 v4, v2
	v_mov_b32_e32 v5, v3
	;; [unrolled: 1-line block ×16, first 2 shown]
	v_pk_mov_b32 v[34:35], v[30:31], v[30:31] op_sel:[0,1]
	v_pk_mov_b32 v[32:33], v[28:29], v[28:29] op_sel:[0,1]
	v_pk_mov_b32 v[30:31], v[26:27], v[26:27] op_sel:[0,1]
	v_pk_mov_b32 v[28:29], v[24:25], v[24:25] op_sel:[0,1]
	v_pk_mov_b32 v[26:27], v[22:23], v[22:23] op_sel:[0,1]
	v_pk_mov_b32 v[24:25], v[20:21], v[20:21] op_sel:[0,1]
	v_pk_mov_b32 v[22:23], v[18:19], v[18:19] op_sel:[0,1]
	v_pk_mov_b32 v[20:21], v[16:17], v[16:17] op_sel:[0,1]
	v_pk_mov_b32 v[18:19], v[14:15], v[14:15] op_sel:[0,1]
	v_pk_mov_b32 v[16:17], v[12:13], v[12:13] op_sel:[0,1]
	v_pk_mov_b32 v[14:15], v[10:11], v[10:11] op_sel:[0,1]
	v_pk_mov_b32 v[12:13], v[8:9], v[8:9] op_sel:[0,1]
	v_pk_mov_b32 v[10:11], v[6:7], v[6:7] op_sel:[0,1]
	v_pk_mov_b32 v[8:9], v[4:5], v[4:5] op_sel:[0,1]
	v_pk_mov_b32 v[6:7], v[2:3], v[2:3] op_sel:[0,1]
	v_pk_mov_b32 v[4:5], v[0:1], v[0:1] op_sel:[0,1]
	s_waitcnt vmcnt(0) lgkmcnt(0)
	v_pk_mov_b32 v[2:3], v[36:37], v[36:37] op_sel:[0,1]
.LBB4234_9:
	s_or_b64 exec, exec, s[6:7]
	v_or_b32_e32 v1, 0x80, v0
	v_cmp_gt_u32_e32 vcc, s33, v1
	s_and_saveexec_b64 s[2:3], vcc
	s_cbranch_execz .LBB4234_11
; %bb.10:
	v_mov_b32_e32 v1, s5
	v_add_co_u32_e32 v4, vcc, s4, v44
	v_addc_co_u32_e32 v5, vcc, 0, v1, vcc
	flat_load_dwordx2 v[6:7], v[4:5] offset:1024
.LBB4234_11:
	s_or_b64 exec, exec, s[2:3]
	v_or_b32_e32 v1, 0x100, v0
	v_cmp_gt_u32_e32 vcc, s33, v1
	s_and_saveexec_b64 s[2:3], vcc
	s_cbranch_execz .LBB4234_13
; %bb.12:
	v_mov_b32_e32 v1, s5
	v_add_co_u32_e32 v4, vcc, s4, v44
	v_addc_co_u32_e32 v5, vcc, 0, v1, vcc
	flat_load_dwordx2 v[8:9], v[4:5] offset:2048
.LBB4234_13:
	;; [unrolled: 11-line block ×3, first 2 shown]
	s_or_b64 exec, exec, s[2:3]
	v_or_b32_e32 v1, 0x200, v0
	v_cmp_gt_u32_e32 vcc, s33, v1
	s_and_saveexec_b64 s[2:3], vcc
	s_cbranch_execz .LBB4234_17
; %bb.16:
	v_lshlrev_b32_e32 v1, 3, v1
	v_mov_b32_e32 v5, s5
	v_add_co_u32_e32 v4, vcc, s4, v1
	v_addc_co_u32_e32 v5, vcc, 0, v5, vcc
	flat_load_dwordx2 v[12:13], v[4:5]
.LBB4234_17:
	s_or_b64 exec, exec, s[2:3]
	v_or_b32_e32 v1, 0x280, v0
	v_cmp_gt_u32_e32 vcc, s33, v1
	s_and_saveexec_b64 s[2:3], vcc
	s_cbranch_execz .LBB4234_19
; %bb.18:
	v_lshlrev_b32_e32 v1, 3, v1
	v_mov_b32_e32 v5, s5
	v_add_co_u32_e32 v4, vcc, s4, v1
	v_addc_co_u32_e32 v5, vcc, 0, v5, vcc
	flat_load_dwordx2 v[14:15], v[4:5]
.LBB4234_19:
	;; [unrolled: 12-line block ×6, first 2 shown]
	s_or_b64 exec, exec, s[2:3]
	s_waitcnt vmcnt(0) lgkmcnt(0)
	ds_write2st64_b64 v44, v[2:3], v[6:7] offset1:2
	ds_write2st64_b64 v44, v[8:9], v[10:11] offset0:4 offset1:6
	ds_write2st64_b64 v44, v[12:13], v[14:15] offset0:8 offset1:10
	;; [unrolled: 1-line block ×4, first 2 shown]
	s_waitcnt lgkmcnt(0)
	s_barrier
.LBB4234_28:
	v_mul_u32_u24_e32 v45, 10, v0
	v_lshlrev_b32_e32 v46, 3, v45
	ds_read_b128 v[14:17], v46
	ds_read_b128 v[10:13], v46 offset:16
	ds_read_b128 v[6:9], v46 offset:32
	;; [unrolled: 1-line block ×4, first 2 shown]
	s_waitcnt lgkmcnt(4)
	v_add_f64 v[22:23], v[14:15], v[16:17]
	s_cmp_lg_u32 s39, 0
	s_waitcnt lgkmcnt(3)
	v_add_f64 v[42:43], v[10:11], v[22:23]
	v_mbcnt_lo_u32_b32 v1, -1, 0
	s_waitcnt lgkmcnt(0)
	s_barrier
	s_cbranch_scc0 .LBB4234_61
; %bb.29:
	v_add_f64 v[22:23], v[12:13], v[42:43]
	v_add_f64 v[22:23], v[6:7], v[22:23]
	;; [unrolled: 1-line block ×7, first 2 shown]
	v_mbcnt_hi_u32_b32 v33, -1, v1
	v_and_b32_e32 v28, 15, v33
	v_mov_b32_dpp v24, v22 row_shr:1 row_mask:0xf bank_mask:0xf
	v_mov_b32_dpp v25, v23 row_shr:1 row_mask:0xf bank_mask:0xf
	v_add_f64 v[24:25], v[22:23], v[24:25]
	v_cmp_eq_u32_e32 vcc, 0, v28
	v_cndmask_b32_e32 v24, v24, v22, vcc
	v_cndmask_b32_e32 v25, v25, v23, vcc
	v_cmp_lt_u32_e32 vcc, 1, v28
	v_mov_b32_dpp v26, v24 row_shr:2 row_mask:0xf bank_mask:0xf
	v_mov_b32_dpp v27, v25 row_shr:2 row_mask:0xf bank_mask:0xf
	v_add_f64 v[26:27], v[24:25], v[26:27]
	v_cndmask_b32_e32 v24, v24, v26, vcc
	v_cndmask_b32_e32 v25, v25, v27, vcc
	v_cmp_lt_u32_e32 vcc, 3, v28
	v_mov_b32_dpp v26, v24 row_shr:4 row_mask:0xf bank_mask:0xf
	v_mov_b32_dpp v27, v25 row_shr:4 row_mask:0xf bank_mask:0xf
	v_add_f64 v[26:27], v[24:25], v[26:27]
	;; [unrolled: 6-line block ×3, first 2 shown]
	v_cndmask_b32_e32 v24, v24, v26, vcc
	v_cndmask_b32_e32 v25, v25, v27, vcc
	v_and_b32_e32 v30, 16, v33
	v_mov_b32_dpp v26, v24 row_bcast:15 row_mask:0xf bank_mask:0xf
	v_mov_b32_dpp v27, v25 row_bcast:15 row_mask:0xf bank_mask:0xf
	v_add_f64 v[28:29], v[24:25], v[26:27]
	v_cmp_eq_u32_e32 vcc, 0, v30
	v_cndmask_b32_e32 v27, v29, v25, vcc
	v_cndmask_b32_e32 v26, v28, v24, vcc
	v_cmp_eq_u32_e64 s[2:3], 0, v33
	v_mov_b32_dpp v27, v27 row_bcast:31 row_mask:0xf bank_mask:0xf
	v_mov_b32_dpp v26, v26 row_bcast:31 row_mask:0xf bank_mask:0xf
	v_cmp_ne_u32_e64 s[4:5], 0, v33
	s_and_saveexec_b64 s[6:7], s[4:5]
; %bb.30:
	v_cndmask_b32_e32 v23, v29, v25, vcc
	v_cndmask_b32_e32 v22, v28, v24, vcc
	v_add_f64 v[24:25], v[22:23], v[26:27]
	v_cmp_lt_u32_e32 vcc, 31, v33
	v_cndmask_b32_e32 v23, v23, v25, vcc
	v_cndmask_b32_e32 v22, v22, v24, vcc
; %bb.31:
	s_or_b64 exec, exec, s[6:7]
	v_or_b32_e32 v25, 63, v0
	v_lshrrev_b32_e32 v24, 6, v0
	v_cmp_eq_u32_e32 vcc, v25, v0
	s_and_saveexec_b64 s[4:5], vcc
	s_cbranch_execz .LBB4234_33
; %bb.32:
	v_lshlrev_b32_e32 v25, 3, v24
	ds_write_b64 v25, v[22:23]
.LBB4234_33:
	s_or_b64 exec, exec, s[4:5]
	v_cmp_gt_u32_e32 vcc, 2, v0
	s_waitcnt lgkmcnt(0)
	s_barrier
	s_and_saveexec_b64 s[4:5], vcc
	s_cbranch_execz .LBB4234_35
; %bb.34:
	ds_read_b64 v[26:27], v44
	v_and_b32_e32 v25, 1, v33
	v_cmp_eq_u32_e32 vcc, 0, v25
	s_waitcnt lgkmcnt(0)
	v_mov_b32_dpp v28, v26 row_shr:1 row_mask:0xf bank_mask:0xf
	v_mov_b32_dpp v29, v27 row_shr:1 row_mask:0xf bank_mask:0xf
	v_add_f64 v[28:29], v[26:27], v[28:29]
	v_cndmask_b32_e32 v27, v29, v27, vcc
	v_cndmask_b32_e32 v26, v28, v26, vcc
	ds_write_b64 v44, v[26:27]
.LBB4234_35:
	s_or_b64 exec, exec, s[4:5]
	v_cmp_gt_u32_e32 vcc, 64, v0
	v_cmp_lt_u32_e64 s[4:5], 63, v0
	s_waitcnt lgkmcnt(0)
	s_barrier
	s_waitcnt lgkmcnt(0)
                                        ; implicit-def: $vgpr30_vgpr31
	s_and_saveexec_b64 s[6:7], s[4:5]
	s_cbranch_execz .LBB4234_37
; %bb.36:
	v_lshl_add_u32 v24, v24, 3, -8
	ds_read_b64 v[30:31], v24
	s_waitcnt lgkmcnt(0)
	v_add_f64 v[22:23], v[22:23], v[30:31]
.LBB4234_37:
	s_or_b64 exec, exec, s[6:7]
	v_add_u32_e32 v24, -1, v33
	v_and_b32_e32 v25, 64, v33
	v_cmp_lt_i32_e64 s[4:5], v24, v25
	v_cndmask_b32_e64 v24, v24, v33, s[4:5]
	v_lshlrev_b32_e32 v24, 2, v24
	ds_bpermute_b32 v38, v24, v22
	ds_bpermute_b32 v39, v24, v23
	s_and_saveexec_b64 s[34:35], vcc
	s_cbranch_execz .LBB4234_60
; %bb.38:
	v_mov_b32_e32 v25, 0
	ds_read_b64 v[22:23], v25 offset:8
	s_and_saveexec_b64 s[4:5], s[2:3]
	s_cbranch_execz .LBB4234_40
; %bb.39:
	s_add_i32 s6, s39, 64
	s_mov_b32 s7, 0
	s_lshl_b64 s[6:7], s[6:7], 4
	s_add_u32 s6, s28, s6
	s_addc_u32 s7, s29, s7
	v_mov_b32_e32 v24, 1
	v_pk_mov_b32 v[26:27], s[6:7], s[6:7] op_sel:[0,1]
	s_waitcnt lgkmcnt(0)
	;;#ASMSTART
	global_store_dwordx4 v[26:27], v[22:25] off	
s_waitcnt vmcnt(0)
	;;#ASMEND
.LBB4234_40:
	s_or_b64 exec, exec, s[4:5]
	v_xad_u32 v32, v33, -1, s39
	v_add_u32_e32 v24, 64, v32
	v_lshlrev_b64 v[26:27], 4, v[24:25]
	v_mov_b32_e32 v24, s29
	v_add_co_u32_e32 v34, vcc, s28, v26
	v_addc_co_u32_e32 v35, vcc, v24, v27, vcc
	;;#ASMSTART
	global_load_dwordx4 v[26:29], v[34:35] off glc	
s_waitcnt vmcnt(0)
	;;#ASMEND
	v_and_b32_e32 v24, 0xff, v27
	v_and_b32_e32 v29, 0xff00, v27
	v_or3_b32 v24, 0, v24, v29
	v_or3_b32 v26, v26, 0, 0
	v_and_b32_e32 v29, 0xff000000, v27
	v_and_b32_e32 v27, 0xff0000, v27
	v_or3_b32 v27, v24, v27, v29
	v_or3_b32 v26, v26, 0, 0
	v_cmp_eq_u16_sdwa s[6:7], v28, v25 src0_sel:BYTE_0 src1_sel:DWORD
	s_and_saveexec_b64 s[4:5], s[6:7]
	s_cbranch_execz .LBB4234_46
; %bb.41:
	s_mov_b32 s8, 1
	s_mov_b64 s[6:7], 0
	v_mov_b32_e32 v24, 0
.LBB4234_42:                            ; =>This Loop Header: Depth=1
                                        ;     Child Loop BB4234_43 Depth 2
	s_max_u32 s9, s8, 1
.LBB4234_43:                            ;   Parent Loop BB4234_42 Depth=1
                                        ; =>  This Inner Loop Header: Depth=2
	s_add_i32 s9, s9, -1
	s_cmp_eq_u32 s9, 0
	s_sleep 1
	s_cbranch_scc0 .LBB4234_43
; %bb.44:                               ;   in Loop: Header=BB4234_42 Depth=1
	s_cmp_lt_u32 s8, 32
	s_cselect_b64 s[10:11], -1, 0
	s_cmp_lg_u64 s[10:11], 0
	s_addc_u32 s8, s8, 0
	;;#ASMSTART
	global_load_dwordx4 v[26:29], v[34:35] off glc	
s_waitcnt vmcnt(0)
	;;#ASMEND
	v_cmp_ne_u16_sdwa s[10:11], v28, v24 src0_sel:BYTE_0 src1_sel:DWORD
	s_or_b64 s[6:7], s[10:11], s[6:7]
	s_andn2_b64 exec, exec, s[6:7]
	s_cbranch_execnz .LBB4234_42
; %bb.45:
	s_or_b64 exec, exec, s[6:7]
.LBB4234_46:
	s_or_b64 exec, exec, s[4:5]
	v_and_b32_e32 v41, 63, v33
	v_cmp_ne_u32_e32 vcc, 63, v41
	v_mov_b32_e32 v40, 2
	v_addc_co_u32_e32 v34, vcc, 0, v33, vcc
	v_cmp_eq_u16_sdwa s[4:5], v28, v40 src0_sel:BYTE_0 src1_sel:DWORD
	v_lshlrev_b64 v[24:25], v33, -1
	v_lshlrev_b32_e32 v47, 2, v34
	v_and_b32_e32 v29, s5, v25
	ds_bpermute_b32 v34, v47, v26
	ds_bpermute_b32 v35, v47, v27
	v_or_b32_e32 v29, 0x80000000, v29
	v_and_b32_e32 v36, s4, v24
	v_ffbl_b32_e32 v29, v29
	v_add_u32_e32 v29, 32, v29
	v_ffbl_b32_e32 v36, v36
	v_cmp_gt_u32_e64 s[4:5], 62, v41
	v_min_u32_e32 v29, v36, v29
	v_cndmask_b32_e64 v36, 0, 1, s[4:5]
	s_waitcnt lgkmcnt(0)
	v_add_f64 v[34:35], v[26:27], v[34:35]
	v_cmp_lt_u32_e32 vcc, v41, v29
	v_lshlrev_b32_e32 v36, 1, v36
	v_cndmask_b32_e32 v34, v26, v34, vcc
	v_cndmask_b32_e32 v35, v27, v35, vcc
	v_add_lshl_u32 v48, v36, v33, 2
	ds_bpermute_b32 v36, v48, v34
	ds_bpermute_b32 v37, v48, v35
	v_add_u32_e32 v49, 2, v41
	v_cmp_gt_u32_e64 s[4:5], v49, v29
	v_cmp_gt_u32_e64 s[6:7], 56, v41
	v_add_u32_e32 v51, 4, v41
	s_waitcnt lgkmcnt(0)
	v_add_f64 v[36:37], v[34:35], v[36:37]
	v_cndmask_b32_e64 v34, v36, v34, s[4:5]
	v_cndmask_b32_e64 v35, v37, v35, s[4:5]
	v_cmp_gt_u32_e64 s[4:5], 60, v41
	v_cndmask_b32_e64 v36, 0, 1, s[4:5]
	v_lshlrev_b32_e32 v36, 2, v36
	v_add_lshl_u32 v50, v36, v33, 2
	ds_bpermute_b32 v36, v50, v34
	ds_bpermute_b32 v37, v50, v35
	v_cndmask_b32_e64 v52, 0, 1, s[6:7]
	v_cmp_gt_u32_e64 s[4:5], v51, v29
	v_lshlrev_b32_e32 v52, 3, v52
	v_add_lshl_u32 v52, v52, v33, 2
	s_waitcnt lgkmcnt(0)
	v_add_f64 v[36:37], v[34:35], v[36:37]
	v_cndmask_b32_e64 v54, v36, v34, s[4:5]
	v_cndmask_b32_e64 v55, v37, v35, s[4:5]
	ds_bpermute_b32 v56, v52, v54
	ds_bpermute_b32 v57, v52, v55
	v_add_u32_e32 v53, 8, v41
	v_cmp_gt_u32_e64 s[6:7], v53, v29
	v_cmp_gt_u32_e64 s[8:9], 48, v41
	;; [unrolled: 1-line block ×3, first 2 shown]
	s_waitcnt lgkmcnt(0)
	v_add_f64 v[58:59], v[54:55], v[56:57]
	v_cndmask_b32_e64 v56, v58, v54, s[6:7]
	v_cndmask_b32_e64 v54, 0, 1, s[8:9]
	v_lshlrev_b32_e32 v54, 4, v54
	v_cndmask_b32_e64 v57, v59, v55, s[6:7]
	v_add_lshl_u32 v54, v54, v33, 2
	ds_bpermute_b32 v60, v54, v56
	ds_bpermute_b32 v61, v54, v57
	v_add_u32_e32 v55, 16, v41
	v_cmp_gt_u32_e64 s[8:9], v55, v29
	v_cndmask_b32_e32 v27, v27, v35, vcc
	v_cndmask_b32_e32 v26, v26, v34, vcc
	s_waitcnt lgkmcnt(0)
	v_add_f64 v[60:61], v[56:57], v[60:61]
	v_cndmask_b32_e64 v62, v60, v56, s[8:9]
	v_cndmask_b32_e64 v56, 0, 1, s[10:11]
	v_lshlrev_b32_e32 v56, 5, v56
	v_add_lshl_u32 v56, v56, v33, 2
	v_cndmask_b32_e64 v63, v61, v57, s[8:9]
	ds_bpermute_b32 v64, v56, v62
	ds_bpermute_b32 v65, v56, v63
	v_cndmask_b32_e64 v26, v36, v26, s[4:5]
	v_cndmask_b32_e64 v27, v37, v27, s[4:5]
	v_add_u32_e32 v57, 32, v41
	v_cndmask_b32_e64 v27, v59, v27, s[6:7]
	v_cndmask_b32_e64 v26, v58, v26, s[6:7]
	s_waitcnt lgkmcnt(0)
	v_add_f64 v[62:63], v[62:63], v[64:65]
	v_cndmask_b32_e64 v26, v60, v26, s[8:9]
	v_cndmask_b32_e64 v27, v61, v27, s[8:9]
	v_cmp_gt_u32_e32 vcc, v57, v29
	v_cndmask_b32_e32 v27, v63, v27, vcc
	v_cndmask_b32_e32 v26, v62, v26, vcc
	v_mov_b32_e32 v33, 0
	s_branch .LBB4234_48
.LBB4234_47:                            ;   in Loop: Header=BB4234_48 Depth=1
	s_or_b64 exec, exec, s[4:5]
	v_cmp_eq_u16_sdwa s[4:5], v28, v40 src0_sel:BYTE_0 src1_sel:DWORD
	v_and_b32_e32 v29, s5, v25
	ds_bpermute_b32 v36, v47, v26
	ds_bpermute_b32 v37, v47, v27
	v_or_b32_e32 v29, 0x80000000, v29
	v_and_b32_e32 v58, s4, v24
	v_ffbl_b32_e32 v29, v29
	v_add_u32_e32 v29, 32, v29
	v_ffbl_b32_e32 v58, v58
	v_min_u32_e32 v29, v58, v29
	s_waitcnt lgkmcnt(0)
	v_add_f64 v[36:37], v[26:27], v[36:37]
	v_cmp_lt_u32_e32 vcc, v41, v29
	v_cndmask_b32_e32 v36, v26, v36, vcc
	v_cndmask_b32_e32 v37, v27, v37, vcc
	ds_bpermute_b32 v58, v48, v36
	ds_bpermute_b32 v59, v48, v37
	v_cmp_gt_u32_e64 s[4:5], v49, v29
	v_cmp_gt_u32_e64 s[6:7], v53, v29
	;; [unrolled: 1-line block ×3, first 2 shown]
	v_subrev_u32_e32 v32, 64, v32
	s_waitcnt lgkmcnt(0)
	v_add_f64 v[58:59], v[36:37], v[58:59]
	v_cndmask_b32_e64 v36, v58, v36, s[4:5]
	v_cndmask_b32_e64 v37, v59, v37, s[4:5]
	ds_bpermute_b32 v58, v50, v36
	ds_bpermute_b32 v59, v50, v37
	v_cmp_gt_u32_e64 s[4:5], v51, v29
	v_cndmask_b32_e32 v27, v27, v37, vcc
	v_cndmask_b32_e32 v26, v26, v36, vcc
	v_cmp_gt_u32_e32 vcc, v57, v29
	s_waitcnt lgkmcnt(0)
	v_add_f64 v[58:59], v[36:37], v[58:59]
	v_cndmask_b32_e64 v60, v58, v36, s[4:5]
	v_cndmask_b32_e64 v61, v59, v37, s[4:5]
	ds_bpermute_b32 v62, v52, v60
	ds_bpermute_b32 v63, v52, v61
	v_cndmask_b32_e64 v26, v58, v26, s[4:5]
	v_cndmask_b32_e64 v27, v59, v27, s[4:5]
	s_waitcnt lgkmcnt(0)
	v_add_f64 v[62:63], v[60:61], v[62:63]
	v_cndmask_b32_e64 v60, v62, v60, s[6:7]
	v_cndmask_b32_e64 v61, v63, v61, s[6:7]
	ds_bpermute_b32 v64, v54, v60
	ds_bpermute_b32 v65, v54, v61
	v_cndmask_b32_e64 v27, v63, v27, s[6:7]
	v_cndmask_b32_e64 v26, v62, v26, s[6:7]
	s_waitcnt lgkmcnt(0)
	v_add_f64 v[64:65], v[60:61], v[64:65]
	v_cndmask_b32_e64 v60, v64, v60, s[8:9]
	v_cndmask_b32_e64 v61, v65, v61, s[8:9]
	ds_bpermute_b32 v66, v56, v60
	ds_bpermute_b32 v67, v56, v61
	v_cndmask_b32_e64 v26, v64, v26, s[8:9]
	v_cndmask_b32_e64 v27, v65, v27, s[8:9]
	s_waitcnt lgkmcnt(0)
	v_add_f64 v[60:61], v[60:61], v[66:67]
	v_cndmask_b32_e32 v27, v61, v27, vcc
	v_cndmask_b32_e32 v26, v60, v26, vcc
	v_add_f64 v[26:27], v[34:35], v[26:27]
.LBB4234_48:                            ; =>This Loop Header: Depth=1
                                        ;     Child Loop BB4234_51 Depth 2
                                        ;       Child Loop BB4234_52 Depth 3
	v_cmp_ne_u16_sdwa s[4:5], v28, v40 src0_sel:BYTE_0 src1_sel:DWORD
	v_cndmask_b32_e64 v28, 0, 1, s[4:5]
	;;#ASMSTART
	;;#ASMEND
	v_cmp_ne_u32_e32 vcc, 0, v28
	s_cmp_lg_u64 vcc, exec
	v_pk_mov_b32 v[34:35], v[26:27], v[26:27] op_sel:[0,1]
	s_cbranch_scc1 .LBB4234_55
; %bb.49:                               ;   in Loop: Header=BB4234_48 Depth=1
	v_lshlrev_b64 v[26:27], 4, v[32:33]
	v_mov_b32_e32 v28, s29
	v_add_co_u32_e32 v36, vcc, s28, v26
	v_addc_co_u32_e32 v37, vcc, v28, v27, vcc
	;;#ASMSTART
	global_load_dwordx4 v[26:29], v[36:37] off glc	
s_waitcnt vmcnt(0)
	;;#ASMEND
	v_and_b32_e32 v29, 0xff, v27
	v_and_b32_e32 v58, 0xff00, v27
	v_or3_b32 v29, 0, v29, v58
	v_or3_b32 v26, v26, 0, 0
	v_and_b32_e32 v58, 0xff000000, v27
	v_and_b32_e32 v27, 0xff0000, v27
	v_or3_b32 v27, v29, v27, v58
	v_or3_b32 v26, v26, 0, 0
	v_cmp_eq_u16_sdwa s[6:7], v28, v33 src0_sel:BYTE_0 src1_sel:DWORD
	s_and_saveexec_b64 s[4:5], s[6:7]
	s_cbranch_execz .LBB4234_47
; %bb.50:                               ;   in Loop: Header=BB4234_48 Depth=1
	s_mov_b32 s8, 1
	s_mov_b64 s[6:7], 0
.LBB4234_51:                            ;   Parent Loop BB4234_48 Depth=1
                                        ; =>  This Loop Header: Depth=2
                                        ;       Child Loop BB4234_52 Depth 3
	s_max_u32 s9, s8, 1
.LBB4234_52:                            ;   Parent Loop BB4234_48 Depth=1
                                        ;     Parent Loop BB4234_51 Depth=2
                                        ; =>    This Inner Loop Header: Depth=3
	s_add_i32 s9, s9, -1
	s_cmp_eq_u32 s9, 0
	s_sleep 1
	s_cbranch_scc0 .LBB4234_52
; %bb.53:                               ;   in Loop: Header=BB4234_51 Depth=2
	s_cmp_lt_u32 s8, 32
	s_cselect_b64 s[10:11], -1, 0
	s_cmp_lg_u64 s[10:11], 0
	s_addc_u32 s8, s8, 0
	;;#ASMSTART
	global_load_dwordx4 v[26:29], v[36:37] off glc	
s_waitcnt vmcnt(0)
	;;#ASMEND
	v_cmp_ne_u16_sdwa s[10:11], v28, v33 src0_sel:BYTE_0 src1_sel:DWORD
	s_or_b64 s[6:7], s[10:11], s[6:7]
	s_andn2_b64 exec, exec, s[6:7]
	s_cbranch_execnz .LBB4234_51
; %bb.54:                               ;   in Loop: Header=BB4234_48 Depth=1
	s_or_b64 exec, exec, s[6:7]
	s_branch .LBB4234_47
.LBB4234_55:                            ;   in Loop: Header=BB4234_48 Depth=1
                                        ; implicit-def: $vgpr26_vgpr27
                                        ; implicit-def: $vgpr28
	s_cbranch_execz .LBB4234_48
; %bb.56:
	s_and_saveexec_b64 s[4:5], s[2:3]
	s_cbranch_execz .LBB4234_58
; %bb.57:
	s_add_i32 s6, s39, 64
	s_mov_b32 s7, 0
	s_lshl_b64 s[6:7], s[6:7], 4
	s_add_u32 s6, s28, s6
	s_addc_u32 s7, s29, s7
	v_add_f64 v[22:23], v[22:23], v[34:35]
	v_mov_b32_e32 v24, 2
	v_mov_b32_e32 v25, 0
	v_pk_mov_b32 v[26:27], s[6:7], s[6:7] op_sel:[0,1]
	;;#ASMSTART
	global_store_dwordx4 v[26:27], v[22:25] off	
s_waitcnt vmcnt(0)
	;;#ASMEND
.LBB4234_58:
	s_or_b64 exec, exec, s[4:5]
	s_and_b64 exec, exec, s[0:1]
	s_cbranch_execz .LBB4234_60
; %bb.59:
	v_mov_b32_e32 v22, 0
	ds_write_b64 v22, v[34:35] offset:8
.LBB4234_60:
	s_or_b64 exec, exec, s[34:35]
	v_mov_b32_e32 v22, 0
	s_waitcnt lgkmcnt(0)
	s_barrier
	ds_read_b64 v[22:23], v22 offset:8
	v_cndmask_b32_e64 v25, v39, v31, s[2:3]
	v_cndmask_b32_e64 v24, v38, v30, s[2:3]
	s_waitcnt lgkmcnt(0)
	v_add_f64 v[24:25], v[24:25], v[22:23]
	v_cndmask_b32_e64 v39, v25, v23, s[0:1]
	v_cndmask_b32_e64 v38, v24, v22, s[0:1]
	v_add_f64 v[40:41], v[14:15], v[38:39]
	v_add_f64 v[34:35], v[16:17], v[40:41]
	v_add_f64 v[36:37], v[10:11], v[34:35]
	v_add_f64 v[30:31], v[12:13], v[36:37]
	v_add_f64 v[32:33], v[6:7], v[30:31]
	v_add_f64 v[26:27], v[8:9], v[32:33]
	v_add_f64 v[28:29], v[2:3], v[26:27]
	v_add_f64 v[22:23], v[4:5], v[28:29]
	v_add_f64 v[24:25], v[18:19], v[22:23]
	s_branch .LBB4234_75
.LBB4234_61:
                                        ; implicit-def: $vgpr24_vgpr25
                                        ; implicit-def: $vgpr28_vgpr29
                                        ; implicit-def: $vgpr32_vgpr33
                                        ; implicit-def: $vgpr36_vgpr37
                                        ; implicit-def: $vgpr40_vgpr41
	s_cbranch_execz .LBB4234_75
; %bb.62:
	s_cmp_eq_u64 s[16:17], 0
	v_pk_mov_b32 v[24:25], s[30:31], s[30:31] op_sel:[0,1]
	s_cbranch_scc1 .LBB4234_64
; %bb.63:
	v_mov_b32_e32 v23, s38
	v_add_co_u32_e64 v22, vcc, -8, s37
	v_addc_co_u32_e32 v23, vcc, -1, v23, vcc
	v_mov_b32_e32 v28, 0
	flat_load_dwordx2 v[24:25], v[22:23]
	global_load_dwordx2 v[26:27], v28, s[12:13]
	s_waitcnt vmcnt(0) lgkmcnt(0)
	v_add_f64 v[24:25], v[24:25], v[26:27]
.LBB4234_64:
	v_add_f64 v[22:23], v[12:13], v[42:43]
	v_add_f64 v[22:23], v[6:7], v[22:23]
	;; [unrolled: 1-line block ×7, first 2 shown]
	v_mbcnt_hi_u32_b32 v1, -1, v1
	v_and_b32_e32 v28, 15, v1
	v_mov_b32_dpp v22, v20 row_shr:1 row_mask:0xf bank_mask:0xf
	v_mov_b32_dpp v23, v21 row_shr:1 row_mask:0xf bank_mask:0xf
	v_add_f64 v[22:23], v[20:21], v[22:23]
	v_cmp_eq_u32_e32 vcc, 0, v28
	v_cndmask_b32_e32 v22, v22, v20, vcc
	v_cndmask_b32_e32 v23, v23, v21, vcc
	v_cmp_lt_u32_e32 vcc, 1, v28
	v_mov_b32_dpp v26, v22 row_shr:2 row_mask:0xf bank_mask:0xf
	v_mov_b32_dpp v27, v23 row_shr:2 row_mask:0xf bank_mask:0xf
	v_add_f64 v[26:27], v[22:23], v[26:27]
	v_cndmask_b32_e32 v22, v22, v26, vcc
	v_cndmask_b32_e32 v23, v23, v27, vcc
	v_cmp_lt_u32_e32 vcc, 3, v28
	v_mov_b32_dpp v26, v22 row_shr:4 row_mask:0xf bank_mask:0xf
	v_mov_b32_dpp v27, v23 row_shr:4 row_mask:0xf bank_mask:0xf
	v_add_f64 v[26:27], v[22:23], v[26:27]
	;; [unrolled: 6-line block ×3, first 2 shown]
	v_cndmask_b32_e32 v22, v22, v26, vcc
	v_cndmask_b32_e32 v23, v23, v27, vcc
	v_and_b32_e32 v30, 16, v1
	v_mov_b32_dpp v26, v22 row_bcast:15 row_mask:0xf bank_mask:0xf
	v_mov_b32_dpp v27, v23 row_bcast:15 row_mask:0xf bank_mask:0xf
	v_add_f64 v[28:29], v[22:23], v[26:27]
	v_cmp_eq_u32_e64 s[2:3], 0, v30
	v_cndmask_b32_e64 v27, v29, v23, s[2:3]
	v_cndmask_b32_e64 v26, v28, v22, s[2:3]
	v_cmp_eq_u32_e32 vcc, 0, v1
	v_mov_b32_dpp v27, v27 row_bcast:31 row_mask:0xf bank_mask:0xf
	v_mov_b32_dpp v26, v26 row_bcast:31 row_mask:0xf bank_mask:0xf
	v_cmp_ne_u32_e64 s[4:5], 0, v1
	s_and_saveexec_b64 s[6:7], s[4:5]
; %bb.65:
	v_cndmask_b32_e64 v21, v29, v23, s[2:3]
	v_cndmask_b32_e64 v20, v28, v22, s[2:3]
	v_add_f64 v[22:23], v[20:21], v[26:27]
	v_cmp_lt_u32_e64 s[2:3], 31, v1
	v_cndmask_b32_e64 v21, v21, v23, s[2:3]
	v_cndmask_b32_e64 v20, v20, v22, s[2:3]
; %bb.66:
	s_or_b64 exec, exec, s[6:7]
	v_or_b32_e32 v22, 63, v0
	v_lshrrev_b32_e32 v26, 6, v0
	v_cmp_eq_u32_e64 s[2:3], v22, v0
	s_and_saveexec_b64 s[4:5], s[2:3]
	s_cbranch_execz .LBB4234_68
; %bb.67:
	v_lshlrev_b32_e32 v22, 3, v26
	ds_write_b64 v22, v[20:21]
.LBB4234_68:
	s_or_b64 exec, exec, s[4:5]
	v_cmp_gt_u32_e64 s[2:3], 2, v0
	s_waitcnt lgkmcnt(0)
	s_barrier
	s_and_saveexec_b64 s[4:5], s[2:3]
	s_cbranch_execz .LBB4234_70
; %bb.69:
	s_movk_i32 s2, 0xffb8
	v_mad_i32_i24 v27, v0, s2, v46
	ds_read_b64 v[22:23], v27
	v_and_b32_e32 v30, 1, v1
	v_cmp_eq_u32_e64 s[2:3], 0, v30
	s_waitcnt lgkmcnt(0)
	v_mov_b32_dpp v28, v22 row_shr:1 row_mask:0xf bank_mask:0xf
	v_mov_b32_dpp v29, v23 row_shr:1 row_mask:0xf bank_mask:0xf
	v_add_f64 v[28:29], v[22:23], v[28:29]
	v_cndmask_b32_e64 v23, v29, v23, s[2:3]
	v_cndmask_b32_e64 v22, v28, v22, s[2:3]
	ds_write_b64 v27, v[22:23]
.LBB4234_70:
	s_or_b64 exec, exec, s[4:5]
	v_cmp_lt_u32_e64 s[2:3], 63, v0
	v_pk_mov_b32 v[22:23], v[24:25], v[24:25] op_sel:[0,1]
	s_waitcnt lgkmcnt(0)
	s_barrier
	s_and_saveexec_b64 s[4:5], s[2:3]
	s_cbranch_execz .LBB4234_72
; %bb.71:
	v_lshl_add_u32 v22, v26, 3, -8
	ds_read_b64 v[22:23], v22
	s_waitcnt lgkmcnt(0)
	v_add_f64 v[22:23], v[24:25], v[22:23]
.LBB4234_72:
	s_or_b64 exec, exec, s[4:5]
	v_add_u32_e32 v26, -1, v1
	v_and_b32_e32 v27, 64, v1
	v_cmp_lt_i32_e64 s[2:3], v26, v27
	v_cndmask_b32_e64 v1, v26, v1, s[2:3]
	v_add_f64 v[20:21], v[20:21], v[22:23]
	v_lshlrev_b32_e32 v1, 2, v1
	ds_bpermute_b32 v20, v1, v20
	ds_bpermute_b32 v1, v1, v21
	s_waitcnt lgkmcnt(1)
	v_cndmask_b32_e32 v20, v20, v22, vcc
	s_waitcnt lgkmcnt(0)
	v_cndmask_b32_e32 v1, v1, v23, vcc
	v_cndmask_b32_e64 v39, v1, v25, s[0:1]
	v_cndmask_b32_e64 v38, v20, v24, s[0:1]
	v_add_f64 v[40:41], v[14:15], v[38:39]
	v_add_f64 v[34:35], v[16:17], v[40:41]
	;; [unrolled: 1-line block ×8, first 2 shown]
	s_and_saveexec_b64 s[2:3], s[0:1]
	s_cbranch_execz .LBB4234_74
; %bb.73:
	v_mov_b32_e32 v5, 0
	ds_read_b64 v[2:3], v5 offset:8
	s_add_u32 s0, s28, 0x400
	s_addc_u32 s1, s29, 0
	v_mov_b32_e32 v4, 2
	v_pk_mov_b32 v[6:7], s[0:1], s[0:1] op_sel:[0,1]
	s_waitcnt lgkmcnt(0)
	v_add_f64 v[2:3], v[24:25], v[2:3]
	;;#ASMSTART
	global_store_dwordx4 v[6:7], v[2:5] off	
s_waitcnt vmcnt(0)
	;;#ASMEND
.LBB4234_74:
	s_or_b64 exec, exec, s[2:3]
	v_add_f64 v[24:25], v[18:19], v[22:23]
.LBB4234_75:
	s_add_u32 s0, s24, s22
	s_addc_u32 s1, s25, s23
	s_add_u32 s2, s0, s26
	s_addc_u32 s3, s1, s27
	s_mov_b64 s[0:1], -1
	s_and_b64 vcc, exec, s[20:21]
	s_barrier
	s_cbranch_vccz .LBB4234_77
; %bb.76:
	ds_write_b128 v46, v[38:41]
	ds_write_b128 v46, v[34:37] offset:16
	ds_write_b128 v46, v[30:33] offset:32
	ds_write_b128 v46, v[26:29] offset:48
	ds_write_b128 v46, v[22:25] offset:64
	s_waitcnt lgkmcnt(0)
	s_barrier
	ds_read2st64_b64 v[2:5], v44 offset1:2
	ds_read2st64_b64 v[6:9], v44 offset0:4 offset1:6
	ds_read2st64_b64 v[10:13], v44 offset0:8 offset1:10
	;; [unrolled: 1-line block ×4, first 2 shown]
	v_mov_b32_e32 v1, s3
	v_add_co_u32_e32 v42, vcc, s2, v44
	v_addc_co_u32_e32 v43, vcc, 0, v1, vcc
	s_movk_i32 s0, 0x1000
	s_waitcnt lgkmcnt(4)
	flat_store_dwordx2 v[42:43], v[2:3]
	flat_store_dwordx2 v[42:43], v[4:5] offset:1024
	s_waitcnt lgkmcnt(0)
	flat_store_dwordx2 v[42:43], v[6:7] offset:2048
	flat_store_dwordx2 v[42:43], v[8:9] offset:3072
	v_add_co_u32_e32 v2, vcc, s0, v42
	v_addc_co_u32_e32 v3, vcc, 0, v43, vcc
	flat_store_dwordx2 v[2:3], v[10:11]
	flat_store_dwordx2 v[2:3], v[12:13] offset:1024
	flat_store_dwordx2 v[2:3], v[14:15] offset:2048
	;; [unrolled: 1-line block ×3, first 2 shown]
	v_add_co_u32_e32 v2, vcc, 0x2000, v42
	v_addc_co_u32_e32 v3, vcc, 0, v43, vcc
	flat_store_dwordx2 v[2:3], v[18:19]
	flat_store_dwordx2 v[2:3], v[20:21] offset:1024
	s_mov_b64 s[0:1], 0
.LBB4234_77:
	s_andn2_b64 vcc, exec, s[0:1]
	s_cbranch_vccnz .LBB4234_133
; %bb.78:
	s_movk_i32 s0, 0xffb8
	v_mad_i32_i24 v18, v0, s0, v46
	ds_write_b128 v46, v[38:41]
	ds_write_b128 v46, v[34:37] offset:16
	ds_write_b128 v46, v[30:33] offset:32
	;; [unrolled: 1-line block ×4, first 2 shown]
	s_waitcnt lgkmcnt(0)
	s_barrier
	ds_read2st64_b64 v[2:5], v18 offset1:2
	ds_read2st64_b64 v[10:13], v18 offset0:4 offset1:6
	ds_read2st64_b64 v[6:9], v18 offset0:8 offset1:10
	;; [unrolled: 1-line block ×4, first 2 shown]
	v_mov_b32_e32 v23, s3
	v_add_co_u32_e32 v22, vcc, s2, v44
	v_addc_co_u32_e32 v23, vcc, 0, v23, vcc
	v_mov_b32_e32 v1, 0
	v_cmp_gt_u32_e32 vcc, s33, v0
	s_and_saveexec_b64 s[0:1], vcc
	s_cbranch_execz .LBB4234_80
; %bb.79:
	s_waitcnt lgkmcnt(0)
	flat_store_dwordx2 v[22:23], v[2:3]
.LBB4234_80:
	s_or_b64 exec, exec, s[0:1]
	v_or_b32_e32 v24, 0x80, v0
	v_cmp_gt_u32_e32 vcc, s33, v24
	s_and_saveexec_b64 s[0:1], vcc
	s_cbranch_execz .LBB4234_82
; %bb.81:
	s_waitcnt lgkmcnt(0)
	flat_store_dwordx2 v[22:23], v[4:5] offset:1024
.LBB4234_82:
	s_or_b64 exec, exec, s[0:1]
	v_or_b32_e32 v24, 0x100, v0
	v_cmp_gt_u32_e32 vcc, s33, v24
	s_and_saveexec_b64 s[0:1], vcc
	s_cbranch_execz .LBB4234_84
; %bb.83:
	s_waitcnt lgkmcnt(0)
	flat_store_dwordx2 v[22:23], v[10:11] offset:2048
.LBB4234_84:
	;; [unrolled: 9-line block ×3, first 2 shown]
	s_or_b64 exec, exec, s[0:1]
	v_or_b32_e32 v24, 0x200, v0
	v_cmp_gt_u32_e32 vcc, s33, v24
	s_and_saveexec_b64 s[0:1], vcc
	s_cbranch_execz .LBB4234_88
; %bb.87:
	v_add_co_u32_e32 v24, vcc, 0x1000, v22
	v_addc_co_u32_e32 v25, vcc, 0, v23, vcc
	s_waitcnt lgkmcnt(0)
	flat_store_dwordx2 v[24:25], v[6:7]
.LBB4234_88:
	s_or_b64 exec, exec, s[0:1]
	v_or_b32_e32 v24, 0x280, v0
	v_cmp_gt_u32_e32 vcc, s33, v24
	s_and_saveexec_b64 s[0:1], vcc
	s_cbranch_execz .LBB4234_90
; %bb.89:
	v_add_co_u32_e32 v24, vcc, 0x1000, v22
	v_addc_co_u32_e32 v25, vcc, 0, v23, vcc
	s_waitcnt lgkmcnt(0)
	flat_store_dwordx2 v[24:25], v[8:9] offset:1024
.LBB4234_90:
	s_or_b64 exec, exec, s[0:1]
	v_or_b32_e32 v24, 0x300, v0
	v_cmp_gt_u32_e32 vcc, s33, v24
	s_and_saveexec_b64 s[0:1], vcc
	s_cbranch_execz .LBB4234_92
; %bb.91:
	v_add_co_u32_e32 v24, vcc, 0x1000, v22
	v_addc_co_u32_e32 v25, vcc, 0, v23, vcc
	s_waitcnt lgkmcnt(0)
	flat_store_dwordx2 v[24:25], v[14:15] offset:2048
.LBB4234_92:
	;; [unrolled: 11-line block ×3, first 2 shown]
	s_or_b64 exec, exec, s[0:1]
	v_or_b32_e32 v24, 0x400, v0
	v_cmp_gt_u32_e32 vcc, s33, v24
	s_and_saveexec_b64 s[0:1], vcc
	s_cbranch_execz .LBB4234_96
; %bb.95:
	v_add_co_u32_e32 v24, vcc, 0x2000, v22
	v_addc_co_u32_e32 v25, vcc, 0, v23, vcc
	s_waitcnt lgkmcnt(0)
	flat_store_dwordx2 v[24:25], v[18:19]
.LBB4234_96:
	s_or_b64 exec, exec, s[0:1]
	v_or_b32_e32 v24, 0x480, v0
	v_cmp_gt_u32_e32 vcc, s33, v24
	s_and_saveexec_b64 s[0:1], vcc
	s_cbranch_execz .LBB4234_98
; %bb.97:
	v_add_co_u32_e32 v22, vcc, 0x2000, v22
	v_addc_co_u32_e32 v23, vcc, 0, v23, vcc
	s_waitcnt lgkmcnt(0)
	flat_store_dwordx2 v[22:23], v[20:21] offset:1024
.LBB4234_98:
	s_or_b64 exec, exec, s[0:1]
	v_cmp_lt_u64_e64 s[0:1], s[18:19], 2
	s_and_b64 vcc, exec, s[0:1]
	s_cbranch_vccnz .LBB4234_133
; %bb.99:
	s_add_u32 s0, s33, -1
	s_addc_u32 s1, s36, -1
	s_add_u32 s2, 0, 0x99986000
	s_addc_u32 s3, 0, 0x59
	s_add_i32 s3, s3, 0x19999940
	s_mul_hi_u32 s7, s2, -10
	s_sub_i32 s7, s7, s2
	s_mul_i32 s8, s3, -10
	s_mul_i32 s4, s2, -10
	s_add_i32 s7, s7, s8
	s_mul_hi_u32 s5, s3, s4
	s_mul_i32 s6, s3, s4
	s_mul_i32 s9, s2, s7
	s_mul_hi_u32 s4, s2, s4
	s_mul_hi_u32 s8, s2, s7
	s_add_u32 s4, s4, s9
	s_addc_u32 s8, 0, s8
	s_add_u32 s4, s4, s6
	s_mul_hi_u32 s9, s3, s7
	s_addc_u32 s4, s8, s5
	s_addc_u32 s5, s9, 0
	s_mul_i32 s6, s3, s7
	s_add_u32 s4, s4, s6
	v_mov_b32_e32 v22, s4
	s_addc_u32 s5, 0, s5
	v_add_co_u32_e32 v22, vcc, s2, v22
	s_cmp_lg_u64 vcc, 0
	s_addc_u32 s2, s3, s5
	v_readfirstlane_b32 s5, v22
	s_mul_i32 s4, s0, s2
	s_mul_hi_u32 s6, s0, s5
	s_mul_hi_u32 s3, s0, s2
	s_add_u32 s4, s6, s4
	s_addc_u32 s3, 0, s3
	s_mul_hi_u32 s7, s1, s5
	s_mul_i32 s5, s1, s5
	s_add_u32 s4, s4, s5
	s_mul_hi_u32 s6, s1, s2
	s_addc_u32 s3, s3, s7
	s_addc_u32 s4, s6, 0
	s_mul_i32 s2, s1, s2
	s_add_u32 s2, s3, s2
	s_addc_u32 s3, 0, s4
	s_add_u32 s4, s2, 1
	s_addc_u32 s5, s3, 0
	s_add_u32 s6, s2, 2
	s_mul_i32 s8, s3, 10
	s_mul_hi_u32 s9, s2, 10
	s_addc_u32 s7, s3, 0
	s_add_i32 s9, s9, s8
	s_mul_i32 s8, s2, 10
	v_mov_b32_e32 v22, s8
	v_sub_co_u32_e32 v22, vcc, s0, v22
	s_cmp_lg_u64 vcc, 0
	s_subb_u32 s8, s1, s9
	v_subrev_co_u32_e32 v23, vcc, 10, v22
	s_cmp_lg_u64 vcc, 0
	s_subb_u32 s9, s8, 0
	v_readfirstlane_b32 s10, v23
	s_cmp_gt_u32 s10, 9
	s_cselect_b32 s10, -1, 0
	s_cmp_eq_u32 s9, 0
	s_cselect_b32 s9, s10, -1
	s_cmp_lg_u32 s9, 0
	s_cselect_b32 s4, s6, s4
	v_readfirstlane_b32 s6, v22
	s_cselect_b32 s5, s7, s5
	s_cmp_gt_u32 s6, 9
	s_cselect_b32 s6, -1, 0
	s_cmp_eq_u32 s8, 0
	s_cselect_b32 s6, s6, -1
	s_cmp_lg_u32 s6, 0
	s_cselect_b32 s3, s5, s3
	s_cselect_b32 s2, s4, s2
	v_cmp_eq_u64_e32 vcc, s[2:3], v[0:1]
	s_and_saveexec_b64 s[2:3], vcc
	s_cbranch_execz .LBB4234_133
; %bb.100:
	v_mul_hi_u32_u24_e32 v1, 10, v0
	v_mov_b32_e32 v22, s1
	v_sub_co_u32_e32 v0, vcc, s0, v45
	v_subb_co_u32_e32 v1, vcc, v22, v1, vcc
	v_cmp_lt_i64_e32 vcc, 4, v[0:1]
	s_and_saveexec_b64 s[0:1], vcc
	s_xor_b64 s[0:1], exec, s[0:1]
	s_cbranch_execz .LBB4234_118
; %bb.101:
	v_cmp_lt_i64_e32 vcc, 6, v[0:1]
	s_and_saveexec_b64 s[2:3], vcc
	s_xor_b64 s[2:3], exec, s[2:3]
	s_cbranch_execz .LBB4234_111
; %bb.102:
	;; [unrolled: 5-line block ×4, first 2 shown]
	v_mov_b32_e32 v0, 0
	s_waitcnt lgkmcnt(0)
	global_store_dwordx2 v0, v[20:21], s[14:15]
                                        ; implicit-def: $vgpr18_vgpr19_vgpr20_vgpr21
.LBB4234_105:
	s_andn2_saveexec_b64 s[6:7], s[6:7]
	s_cbranch_execz .LBB4234_107
; %bb.106:
	v_mov_b32_e32 v0, 0
	s_waitcnt lgkmcnt(0)
	global_store_dwordx2 v0, v[18:19], s[14:15]
.LBB4234_107:
	s_or_b64 exec, exec, s[6:7]
                                        ; implicit-def: $vgpr14_vgpr15_vgpr16_vgpr17
.LBB4234_108:
	s_andn2_saveexec_b64 s[4:5], s[4:5]
	s_cbranch_execz .LBB4234_110
; %bb.109:
	v_mov_b32_e32 v0, 0
	s_waitcnt lgkmcnt(0)
	global_store_dwordx2 v0, v[16:17], s[14:15]
.LBB4234_110:
	s_or_b64 exec, exec, s[4:5]
                                        ; implicit-def: $vgpr6_vgpr7_vgpr8_vgpr9
                                        ; implicit-def: $vgpr0_vgpr1
                                        ; implicit-def: $vgpr14_vgpr15_vgpr16_vgpr17
.LBB4234_111:
	s_andn2_saveexec_b64 s[2:3], s[2:3]
	s_cbranch_execz .LBB4234_117
; %bb.112:
	v_cmp_lt_i64_e32 vcc, 5, v[0:1]
	s_and_saveexec_b64 s[4:5], vcc
	s_xor_b64 s[4:5], exec, s[4:5]
	s_cbranch_execz .LBB4234_114
; %bb.113:
	v_mov_b32_e32 v0, 0
	s_waitcnt lgkmcnt(0)
	global_store_dwordx2 v0, v[14:15], s[14:15]
                                        ; implicit-def: $vgpr6_vgpr7_vgpr8_vgpr9
.LBB4234_114:
	s_andn2_saveexec_b64 s[4:5], s[4:5]
	s_cbranch_execz .LBB4234_116
; %bb.115:
	v_mov_b32_e32 v0, 0
	s_waitcnt lgkmcnt(0)
	global_store_dwordx2 v0, v[8:9], s[14:15]
.LBB4234_116:
	s_or_b64 exec, exec, s[4:5]
.LBB4234_117:
	s_or_b64 exec, exec, s[2:3]
                                        ; implicit-def: $vgpr0_vgpr1
                                        ; implicit-def: $vgpr10_vgpr11_vgpr12_vgpr13
                                        ; implicit-def: $vgpr2_vgpr3_vgpr4_vgpr5
                                        ; implicit-def: $vgpr6_vgpr7_vgpr8_vgpr9
.LBB4234_118:
	s_andn2_saveexec_b64 s[0:1], s[0:1]
	s_cbranch_execz .LBB4234_133
; %bb.119:
	v_cmp_lt_i64_e32 vcc, 2, v[0:1]
	s_and_saveexec_b64 s[0:1], vcc
	s_xor_b64 s[0:1], exec, s[0:1]
	s_cbranch_execz .LBB4234_125
; %bb.120:
	v_cmp_lt_i64_e32 vcc, 3, v[0:1]
	s_and_saveexec_b64 s[2:3], vcc
	s_xor_b64 s[2:3], exec, s[2:3]
	s_cbranch_execz .LBB4234_122
; %bb.121:
	v_mov_b32_e32 v0, 0
	s_waitcnt lgkmcnt(0)
	global_store_dwordx2 v0, v[6:7], s[14:15]
                                        ; implicit-def: $vgpr10_vgpr11_vgpr12_vgpr13
.LBB4234_122:
	s_andn2_saveexec_b64 s[2:3], s[2:3]
	s_cbranch_execz .LBB4234_124
; %bb.123:
	v_mov_b32_e32 v0, 0
	s_waitcnt lgkmcnt(0)
	global_store_dwordx2 v0, v[12:13], s[14:15]
.LBB4234_124:
	s_or_b64 exec, exec, s[2:3]
                                        ; implicit-def: $vgpr0_vgpr1
                                        ; implicit-def: $vgpr10_vgpr11_vgpr12_vgpr13
                                        ; implicit-def: $vgpr2_vgpr3_vgpr4_vgpr5
.LBB4234_125:
	s_andn2_saveexec_b64 s[0:1], s[0:1]
	s_cbranch_execz .LBB4234_133
; %bb.126:
	v_cmp_lt_i64_e32 vcc, 1, v[0:1]
	s_and_saveexec_b64 s[0:1], vcc
	s_xor_b64 s[0:1], exec, s[0:1]
	s_cbranch_execz .LBB4234_128
; %bb.127:
	v_mov_b32_e32 v0, 0
	s_waitcnt lgkmcnt(0)
	global_store_dwordx2 v0, v[10:11], s[14:15]
                                        ; implicit-def: $vgpr2_vgpr3_vgpr4_vgpr5
                                        ; implicit-def: $vgpr0_vgpr1
.LBB4234_128:
	s_andn2_saveexec_b64 s[0:1], s[0:1]
	s_cbranch_execz .LBB4234_133
; %bb.129:
	v_cmp_ne_u64_e32 vcc, 1, v[0:1]
	s_and_saveexec_b64 s[0:1], vcc
	s_xor_b64 s[0:1], exec, s[0:1]
	s_cbranch_execz .LBB4234_131
; %bb.130:
	v_mov_b32_e32 v0, 0
	s_waitcnt lgkmcnt(0)
	global_store_dwordx2 v0, v[2:3], s[14:15]
                                        ; implicit-def: $vgpr2_vgpr3_vgpr4_vgpr5
.LBB4234_131:
	s_andn2_saveexec_b64 s[0:1], s[0:1]
	s_cbranch_execz .LBB4234_133
; %bb.132:
	v_mov_b32_e32 v0, 0
	s_waitcnt lgkmcnt(0)
	global_store_dwordx2 v0, v[4:5], s[14:15]
.LBB4234_133:
	s_endpgm
	.section	.rodata,"a",@progbits
	.p2align	6, 0x0
	.amdhsa_kernel _ZN7rocprim17ROCPRIM_400000_NS6detail17trampoline_kernelINS0_14default_configENS1_20scan_config_selectorIdEEZZNS1_9scan_implILNS1_25lookback_scan_determinismE0ELb1ELb1ES3_N6thrust23THRUST_200600_302600_NS6detail15normal_iteratorINS9_10device_ptrIdEEEESE_dNS9_4plusIvEEdEEDaPvRmT3_T4_T5_mT6_P12ihipStream_tbENKUlT_T0_E_clISt17integral_constantIbLb1EESU_EEDaSP_SQ_EUlSP_E_NS1_11comp_targetILNS1_3genE4ELNS1_11target_archE910ELNS1_3gpuE8ELNS1_3repE0EEENS1_30default_config_static_selectorELNS0_4arch9wavefront6targetE1EEEvT1_
		.amdhsa_group_segment_fixed_size 10240
		.amdhsa_private_segment_fixed_size 0
		.amdhsa_kernarg_size 104
		.amdhsa_user_sgpr_count 6
		.amdhsa_user_sgpr_private_segment_buffer 1
		.amdhsa_user_sgpr_dispatch_ptr 0
		.amdhsa_user_sgpr_queue_ptr 0
		.amdhsa_user_sgpr_kernarg_segment_ptr 1
		.amdhsa_user_sgpr_dispatch_id 0
		.amdhsa_user_sgpr_flat_scratch_init 0
		.amdhsa_user_sgpr_kernarg_preload_length 0
		.amdhsa_user_sgpr_kernarg_preload_offset 0
		.amdhsa_user_sgpr_private_segment_size 0
		.amdhsa_uses_dynamic_stack 0
		.amdhsa_system_sgpr_private_segment_wavefront_offset 0
		.amdhsa_system_sgpr_workgroup_id_x 1
		.amdhsa_system_sgpr_workgroup_id_y 0
		.amdhsa_system_sgpr_workgroup_id_z 0
		.amdhsa_system_sgpr_workgroup_info 0
		.amdhsa_system_vgpr_workitem_id 0
		.amdhsa_next_free_vgpr 68
		.amdhsa_next_free_sgpr 40
		.amdhsa_accum_offset 68
		.amdhsa_reserve_vcc 1
		.amdhsa_reserve_flat_scratch 0
		.amdhsa_float_round_mode_32 0
		.amdhsa_float_round_mode_16_64 0
		.amdhsa_float_denorm_mode_32 3
		.amdhsa_float_denorm_mode_16_64 3
		.amdhsa_dx10_clamp 1
		.amdhsa_ieee_mode 1
		.amdhsa_fp16_overflow 0
		.amdhsa_tg_split 0
		.amdhsa_exception_fp_ieee_invalid_op 0
		.amdhsa_exception_fp_denorm_src 0
		.amdhsa_exception_fp_ieee_div_zero 0
		.amdhsa_exception_fp_ieee_overflow 0
		.amdhsa_exception_fp_ieee_underflow 0
		.amdhsa_exception_fp_ieee_inexact 0
		.amdhsa_exception_int_div_zero 0
	.end_amdhsa_kernel
	.section	.text._ZN7rocprim17ROCPRIM_400000_NS6detail17trampoline_kernelINS0_14default_configENS1_20scan_config_selectorIdEEZZNS1_9scan_implILNS1_25lookback_scan_determinismE0ELb1ELb1ES3_N6thrust23THRUST_200600_302600_NS6detail15normal_iteratorINS9_10device_ptrIdEEEESE_dNS9_4plusIvEEdEEDaPvRmT3_T4_T5_mT6_P12ihipStream_tbENKUlT_T0_E_clISt17integral_constantIbLb1EESU_EEDaSP_SQ_EUlSP_E_NS1_11comp_targetILNS1_3genE4ELNS1_11target_archE910ELNS1_3gpuE8ELNS1_3repE0EEENS1_30default_config_static_selectorELNS0_4arch9wavefront6targetE1EEEvT1_,"axG",@progbits,_ZN7rocprim17ROCPRIM_400000_NS6detail17trampoline_kernelINS0_14default_configENS1_20scan_config_selectorIdEEZZNS1_9scan_implILNS1_25lookback_scan_determinismE0ELb1ELb1ES3_N6thrust23THRUST_200600_302600_NS6detail15normal_iteratorINS9_10device_ptrIdEEEESE_dNS9_4plusIvEEdEEDaPvRmT3_T4_T5_mT6_P12ihipStream_tbENKUlT_T0_E_clISt17integral_constantIbLb1EESU_EEDaSP_SQ_EUlSP_E_NS1_11comp_targetILNS1_3genE4ELNS1_11target_archE910ELNS1_3gpuE8ELNS1_3repE0EEENS1_30default_config_static_selectorELNS0_4arch9wavefront6targetE1EEEvT1_,comdat
.Lfunc_end4234:
	.size	_ZN7rocprim17ROCPRIM_400000_NS6detail17trampoline_kernelINS0_14default_configENS1_20scan_config_selectorIdEEZZNS1_9scan_implILNS1_25lookback_scan_determinismE0ELb1ELb1ES3_N6thrust23THRUST_200600_302600_NS6detail15normal_iteratorINS9_10device_ptrIdEEEESE_dNS9_4plusIvEEdEEDaPvRmT3_T4_T5_mT6_P12ihipStream_tbENKUlT_T0_E_clISt17integral_constantIbLb1EESU_EEDaSP_SQ_EUlSP_E_NS1_11comp_targetILNS1_3genE4ELNS1_11target_archE910ELNS1_3gpuE8ELNS1_3repE0EEENS1_30default_config_static_selectorELNS0_4arch9wavefront6targetE1EEEvT1_, .Lfunc_end4234-_ZN7rocprim17ROCPRIM_400000_NS6detail17trampoline_kernelINS0_14default_configENS1_20scan_config_selectorIdEEZZNS1_9scan_implILNS1_25lookback_scan_determinismE0ELb1ELb1ES3_N6thrust23THRUST_200600_302600_NS6detail15normal_iteratorINS9_10device_ptrIdEEEESE_dNS9_4plusIvEEdEEDaPvRmT3_T4_T5_mT6_P12ihipStream_tbENKUlT_T0_E_clISt17integral_constantIbLb1EESU_EEDaSP_SQ_EUlSP_E_NS1_11comp_targetILNS1_3genE4ELNS1_11target_archE910ELNS1_3gpuE8ELNS1_3repE0EEENS1_30default_config_static_selectorELNS0_4arch9wavefront6targetE1EEEvT1_
                                        ; -- End function
	.section	.AMDGPU.csdata,"",@progbits
; Kernel info:
; codeLenInByte = 6196
; NumSgprs: 44
; NumVgprs: 68
; NumAgprs: 0
; TotalNumVgprs: 68
; ScratchSize: 0
; MemoryBound: 0
; FloatMode: 240
; IeeeMode: 1
; LDSByteSize: 10240 bytes/workgroup (compile time only)
; SGPRBlocks: 5
; VGPRBlocks: 8
; NumSGPRsForWavesPerEU: 44
; NumVGPRsForWavesPerEU: 68
; AccumOffset: 68
; Occupancy: 3
; WaveLimiterHint : 1
; COMPUTE_PGM_RSRC2:SCRATCH_EN: 0
; COMPUTE_PGM_RSRC2:USER_SGPR: 6
; COMPUTE_PGM_RSRC2:TRAP_HANDLER: 0
; COMPUTE_PGM_RSRC2:TGID_X_EN: 1
; COMPUTE_PGM_RSRC2:TGID_Y_EN: 0
; COMPUTE_PGM_RSRC2:TGID_Z_EN: 0
; COMPUTE_PGM_RSRC2:TIDIG_COMP_CNT: 0
; COMPUTE_PGM_RSRC3_GFX90A:ACCUM_OFFSET: 16
; COMPUTE_PGM_RSRC3_GFX90A:TG_SPLIT: 0
	.section	.text._ZN7rocprim17ROCPRIM_400000_NS6detail17trampoline_kernelINS0_14default_configENS1_20scan_config_selectorIdEEZZNS1_9scan_implILNS1_25lookback_scan_determinismE0ELb1ELb1ES3_N6thrust23THRUST_200600_302600_NS6detail15normal_iteratorINS9_10device_ptrIdEEEESE_dNS9_4plusIvEEdEEDaPvRmT3_T4_T5_mT6_P12ihipStream_tbENKUlT_T0_E_clISt17integral_constantIbLb1EESU_EEDaSP_SQ_EUlSP_E_NS1_11comp_targetILNS1_3genE3ELNS1_11target_archE908ELNS1_3gpuE7ELNS1_3repE0EEENS1_30default_config_static_selectorELNS0_4arch9wavefront6targetE1EEEvT1_,"axG",@progbits,_ZN7rocprim17ROCPRIM_400000_NS6detail17trampoline_kernelINS0_14default_configENS1_20scan_config_selectorIdEEZZNS1_9scan_implILNS1_25lookback_scan_determinismE0ELb1ELb1ES3_N6thrust23THRUST_200600_302600_NS6detail15normal_iteratorINS9_10device_ptrIdEEEESE_dNS9_4plusIvEEdEEDaPvRmT3_T4_T5_mT6_P12ihipStream_tbENKUlT_T0_E_clISt17integral_constantIbLb1EESU_EEDaSP_SQ_EUlSP_E_NS1_11comp_targetILNS1_3genE3ELNS1_11target_archE908ELNS1_3gpuE7ELNS1_3repE0EEENS1_30default_config_static_selectorELNS0_4arch9wavefront6targetE1EEEvT1_,comdat
	.protected	_ZN7rocprim17ROCPRIM_400000_NS6detail17trampoline_kernelINS0_14default_configENS1_20scan_config_selectorIdEEZZNS1_9scan_implILNS1_25lookback_scan_determinismE0ELb1ELb1ES3_N6thrust23THRUST_200600_302600_NS6detail15normal_iteratorINS9_10device_ptrIdEEEESE_dNS9_4plusIvEEdEEDaPvRmT3_T4_T5_mT6_P12ihipStream_tbENKUlT_T0_E_clISt17integral_constantIbLb1EESU_EEDaSP_SQ_EUlSP_E_NS1_11comp_targetILNS1_3genE3ELNS1_11target_archE908ELNS1_3gpuE7ELNS1_3repE0EEENS1_30default_config_static_selectorELNS0_4arch9wavefront6targetE1EEEvT1_ ; -- Begin function _ZN7rocprim17ROCPRIM_400000_NS6detail17trampoline_kernelINS0_14default_configENS1_20scan_config_selectorIdEEZZNS1_9scan_implILNS1_25lookback_scan_determinismE0ELb1ELb1ES3_N6thrust23THRUST_200600_302600_NS6detail15normal_iteratorINS9_10device_ptrIdEEEESE_dNS9_4plusIvEEdEEDaPvRmT3_T4_T5_mT6_P12ihipStream_tbENKUlT_T0_E_clISt17integral_constantIbLb1EESU_EEDaSP_SQ_EUlSP_E_NS1_11comp_targetILNS1_3genE3ELNS1_11target_archE908ELNS1_3gpuE7ELNS1_3repE0EEENS1_30default_config_static_selectorELNS0_4arch9wavefront6targetE1EEEvT1_
	.globl	_ZN7rocprim17ROCPRIM_400000_NS6detail17trampoline_kernelINS0_14default_configENS1_20scan_config_selectorIdEEZZNS1_9scan_implILNS1_25lookback_scan_determinismE0ELb1ELb1ES3_N6thrust23THRUST_200600_302600_NS6detail15normal_iteratorINS9_10device_ptrIdEEEESE_dNS9_4plusIvEEdEEDaPvRmT3_T4_T5_mT6_P12ihipStream_tbENKUlT_T0_E_clISt17integral_constantIbLb1EESU_EEDaSP_SQ_EUlSP_E_NS1_11comp_targetILNS1_3genE3ELNS1_11target_archE908ELNS1_3gpuE7ELNS1_3repE0EEENS1_30default_config_static_selectorELNS0_4arch9wavefront6targetE1EEEvT1_
	.p2align	8
	.type	_ZN7rocprim17ROCPRIM_400000_NS6detail17trampoline_kernelINS0_14default_configENS1_20scan_config_selectorIdEEZZNS1_9scan_implILNS1_25lookback_scan_determinismE0ELb1ELb1ES3_N6thrust23THRUST_200600_302600_NS6detail15normal_iteratorINS9_10device_ptrIdEEEESE_dNS9_4plusIvEEdEEDaPvRmT3_T4_T5_mT6_P12ihipStream_tbENKUlT_T0_E_clISt17integral_constantIbLb1EESU_EEDaSP_SQ_EUlSP_E_NS1_11comp_targetILNS1_3genE3ELNS1_11target_archE908ELNS1_3gpuE7ELNS1_3repE0EEENS1_30default_config_static_selectorELNS0_4arch9wavefront6targetE1EEEvT1_,@function
_ZN7rocprim17ROCPRIM_400000_NS6detail17trampoline_kernelINS0_14default_configENS1_20scan_config_selectorIdEEZZNS1_9scan_implILNS1_25lookback_scan_determinismE0ELb1ELb1ES3_N6thrust23THRUST_200600_302600_NS6detail15normal_iteratorINS9_10device_ptrIdEEEESE_dNS9_4plusIvEEdEEDaPvRmT3_T4_T5_mT6_P12ihipStream_tbENKUlT_T0_E_clISt17integral_constantIbLb1EESU_EEDaSP_SQ_EUlSP_E_NS1_11comp_targetILNS1_3genE3ELNS1_11target_archE908ELNS1_3gpuE7ELNS1_3repE0EEENS1_30default_config_static_selectorELNS0_4arch9wavefront6targetE1EEEvT1_: ; @_ZN7rocprim17ROCPRIM_400000_NS6detail17trampoline_kernelINS0_14default_configENS1_20scan_config_selectorIdEEZZNS1_9scan_implILNS1_25lookback_scan_determinismE0ELb1ELb1ES3_N6thrust23THRUST_200600_302600_NS6detail15normal_iteratorINS9_10device_ptrIdEEEESE_dNS9_4plusIvEEdEEDaPvRmT3_T4_T5_mT6_P12ihipStream_tbENKUlT_T0_E_clISt17integral_constantIbLb1EESU_EEDaSP_SQ_EUlSP_E_NS1_11comp_targetILNS1_3genE3ELNS1_11target_archE908ELNS1_3gpuE7ELNS1_3repE0EEENS1_30default_config_static_selectorELNS0_4arch9wavefront6targetE1EEEvT1_
; %bb.0:
	.section	.rodata,"a",@progbits
	.p2align	6, 0x0
	.amdhsa_kernel _ZN7rocprim17ROCPRIM_400000_NS6detail17trampoline_kernelINS0_14default_configENS1_20scan_config_selectorIdEEZZNS1_9scan_implILNS1_25lookback_scan_determinismE0ELb1ELb1ES3_N6thrust23THRUST_200600_302600_NS6detail15normal_iteratorINS9_10device_ptrIdEEEESE_dNS9_4plusIvEEdEEDaPvRmT3_T4_T5_mT6_P12ihipStream_tbENKUlT_T0_E_clISt17integral_constantIbLb1EESU_EEDaSP_SQ_EUlSP_E_NS1_11comp_targetILNS1_3genE3ELNS1_11target_archE908ELNS1_3gpuE7ELNS1_3repE0EEENS1_30default_config_static_selectorELNS0_4arch9wavefront6targetE1EEEvT1_
		.amdhsa_group_segment_fixed_size 0
		.amdhsa_private_segment_fixed_size 0
		.amdhsa_kernarg_size 104
		.amdhsa_user_sgpr_count 6
		.amdhsa_user_sgpr_private_segment_buffer 1
		.amdhsa_user_sgpr_dispatch_ptr 0
		.amdhsa_user_sgpr_queue_ptr 0
		.amdhsa_user_sgpr_kernarg_segment_ptr 1
		.amdhsa_user_sgpr_dispatch_id 0
		.amdhsa_user_sgpr_flat_scratch_init 0
		.amdhsa_user_sgpr_kernarg_preload_length 0
		.amdhsa_user_sgpr_kernarg_preload_offset 0
		.amdhsa_user_sgpr_private_segment_size 0
		.amdhsa_uses_dynamic_stack 0
		.amdhsa_system_sgpr_private_segment_wavefront_offset 0
		.amdhsa_system_sgpr_workgroup_id_x 1
		.amdhsa_system_sgpr_workgroup_id_y 0
		.amdhsa_system_sgpr_workgroup_id_z 0
		.amdhsa_system_sgpr_workgroup_info 0
		.amdhsa_system_vgpr_workitem_id 0
		.amdhsa_next_free_vgpr 1
		.amdhsa_next_free_sgpr 0
		.amdhsa_accum_offset 4
		.amdhsa_reserve_vcc 0
		.amdhsa_reserve_flat_scratch 0
		.amdhsa_float_round_mode_32 0
		.amdhsa_float_round_mode_16_64 0
		.amdhsa_float_denorm_mode_32 3
		.amdhsa_float_denorm_mode_16_64 3
		.amdhsa_dx10_clamp 1
		.amdhsa_ieee_mode 1
		.amdhsa_fp16_overflow 0
		.amdhsa_tg_split 0
		.amdhsa_exception_fp_ieee_invalid_op 0
		.amdhsa_exception_fp_denorm_src 0
		.amdhsa_exception_fp_ieee_div_zero 0
		.amdhsa_exception_fp_ieee_overflow 0
		.amdhsa_exception_fp_ieee_underflow 0
		.amdhsa_exception_fp_ieee_inexact 0
		.amdhsa_exception_int_div_zero 0
	.end_amdhsa_kernel
	.section	.text._ZN7rocprim17ROCPRIM_400000_NS6detail17trampoline_kernelINS0_14default_configENS1_20scan_config_selectorIdEEZZNS1_9scan_implILNS1_25lookback_scan_determinismE0ELb1ELb1ES3_N6thrust23THRUST_200600_302600_NS6detail15normal_iteratorINS9_10device_ptrIdEEEESE_dNS9_4plusIvEEdEEDaPvRmT3_T4_T5_mT6_P12ihipStream_tbENKUlT_T0_E_clISt17integral_constantIbLb1EESU_EEDaSP_SQ_EUlSP_E_NS1_11comp_targetILNS1_3genE3ELNS1_11target_archE908ELNS1_3gpuE7ELNS1_3repE0EEENS1_30default_config_static_selectorELNS0_4arch9wavefront6targetE1EEEvT1_,"axG",@progbits,_ZN7rocprim17ROCPRIM_400000_NS6detail17trampoline_kernelINS0_14default_configENS1_20scan_config_selectorIdEEZZNS1_9scan_implILNS1_25lookback_scan_determinismE0ELb1ELb1ES3_N6thrust23THRUST_200600_302600_NS6detail15normal_iteratorINS9_10device_ptrIdEEEESE_dNS9_4plusIvEEdEEDaPvRmT3_T4_T5_mT6_P12ihipStream_tbENKUlT_T0_E_clISt17integral_constantIbLb1EESU_EEDaSP_SQ_EUlSP_E_NS1_11comp_targetILNS1_3genE3ELNS1_11target_archE908ELNS1_3gpuE7ELNS1_3repE0EEENS1_30default_config_static_selectorELNS0_4arch9wavefront6targetE1EEEvT1_,comdat
.Lfunc_end4235:
	.size	_ZN7rocprim17ROCPRIM_400000_NS6detail17trampoline_kernelINS0_14default_configENS1_20scan_config_selectorIdEEZZNS1_9scan_implILNS1_25lookback_scan_determinismE0ELb1ELb1ES3_N6thrust23THRUST_200600_302600_NS6detail15normal_iteratorINS9_10device_ptrIdEEEESE_dNS9_4plusIvEEdEEDaPvRmT3_T4_T5_mT6_P12ihipStream_tbENKUlT_T0_E_clISt17integral_constantIbLb1EESU_EEDaSP_SQ_EUlSP_E_NS1_11comp_targetILNS1_3genE3ELNS1_11target_archE908ELNS1_3gpuE7ELNS1_3repE0EEENS1_30default_config_static_selectorELNS0_4arch9wavefront6targetE1EEEvT1_, .Lfunc_end4235-_ZN7rocprim17ROCPRIM_400000_NS6detail17trampoline_kernelINS0_14default_configENS1_20scan_config_selectorIdEEZZNS1_9scan_implILNS1_25lookback_scan_determinismE0ELb1ELb1ES3_N6thrust23THRUST_200600_302600_NS6detail15normal_iteratorINS9_10device_ptrIdEEEESE_dNS9_4plusIvEEdEEDaPvRmT3_T4_T5_mT6_P12ihipStream_tbENKUlT_T0_E_clISt17integral_constantIbLb1EESU_EEDaSP_SQ_EUlSP_E_NS1_11comp_targetILNS1_3genE3ELNS1_11target_archE908ELNS1_3gpuE7ELNS1_3repE0EEENS1_30default_config_static_selectorELNS0_4arch9wavefront6targetE1EEEvT1_
                                        ; -- End function
	.section	.AMDGPU.csdata,"",@progbits
; Kernel info:
; codeLenInByte = 0
; NumSgprs: 4
; NumVgprs: 0
; NumAgprs: 0
; TotalNumVgprs: 0
; ScratchSize: 0
; MemoryBound: 0
; FloatMode: 240
; IeeeMode: 1
; LDSByteSize: 0 bytes/workgroup (compile time only)
; SGPRBlocks: 0
; VGPRBlocks: 0
; NumSGPRsForWavesPerEU: 4
; NumVGPRsForWavesPerEU: 1
; AccumOffset: 4
; Occupancy: 8
; WaveLimiterHint : 0
; COMPUTE_PGM_RSRC2:SCRATCH_EN: 0
; COMPUTE_PGM_RSRC2:USER_SGPR: 6
; COMPUTE_PGM_RSRC2:TRAP_HANDLER: 0
; COMPUTE_PGM_RSRC2:TGID_X_EN: 1
; COMPUTE_PGM_RSRC2:TGID_Y_EN: 0
; COMPUTE_PGM_RSRC2:TGID_Z_EN: 0
; COMPUTE_PGM_RSRC2:TIDIG_COMP_CNT: 0
; COMPUTE_PGM_RSRC3_GFX90A:ACCUM_OFFSET: 0
; COMPUTE_PGM_RSRC3_GFX90A:TG_SPLIT: 0
	.section	.text._ZN7rocprim17ROCPRIM_400000_NS6detail17trampoline_kernelINS0_14default_configENS1_20scan_config_selectorIdEEZZNS1_9scan_implILNS1_25lookback_scan_determinismE0ELb1ELb1ES3_N6thrust23THRUST_200600_302600_NS6detail15normal_iteratorINS9_10device_ptrIdEEEESE_dNS9_4plusIvEEdEEDaPvRmT3_T4_T5_mT6_P12ihipStream_tbENKUlT_T0_E_clISt17integral_constantIbLb1EESU_EEDaSP_SQ_EUlSP_E_NS1_11comp_targetILNS1_3genE2ELNS1_11target_archE906ELNS1_3gpuE6ELNS1_3repE0EEENS1_30default_config_static_selectorELNS0_4arch9wavefront6targetE1EEEvT1_,"axG",@progbits,_ZN7rocprim17ROCPRIM_400000_NS6detail17trampoline_kernelINS0_14default_configENS1_20scan_config_selectorIdEEZZNS1_9scan_implILNS1_25lookback_scan_determinismE0ELb1ELb1ES3_N6thrust23THRUST_200600_302600_NS6detail15normal_iteratorINS9_10device_ptrIdEEEESE_dNS9_4plusIvEEdEEDaPvRmT3_T4_T5_mT6_P12ihipStream_tbENKUlT_T0_E_clISt17integral_constantIbLb1EESU_EEDaSP_SQ_EUlSP_E_NS1_11comp_targetILNS1_3genE2ELNS1_11target_archE906ELNS1_3gpuE6ELNS1_3repE0EEENS1_30default_config_static_selectorELNS0_4arch9wavefront6targetE1EEEvT1_,comdat
	.protected	_ZN7rocprim17ROCPRIM_400000_NS6detail17trampoline_kernelINS0_14default_configENS1_20scan_config_selectorIdEEZZNS1_9scan_implILNS1_25lookback_scan_determinismE0ELb1ELb1ES3_N6thrust23THRUST_200600_302600_NS6detail15normal_iteratorINS9_10device_ptrIdEEEESE_dNS9_4plusIvEEdEEDaPvRmT3_T4_T5_mT6_P12ihipStream_tbENKUlT_T0_E_clISt17integral_constantIbLb1EESU_EEDaSP_SQ_EUlSP_E_NS1_11comp_targetILNS1_3genE2ELNS1_11target_archE906ELNS1_3gpuE6ELNS1_3repE0EEENS1_30default_config_static_selectorELNS0_4arch9wavefront6targetE1EEEvT1_ ; -- Begin function _ZN7rocprim17ROCPRIM_400000_NS6detail17trampoline_kernelINS0_14default_configENS1_20scan_config_selectorIdEEZZNS1_9scan_implILNS1_25lookback_scan_determinismE0ELb1ELb1ES3_N6thrust23THRUST_200600_302600_NS6detail15normal_iteratorINS9_10device_ptrIdEEEESE_dNS9_4plusIvEEdEEDaPvRmT3_T4_T5_mT6_P12ihipStream_tbENKUlT_T0_E_clISt17integral_constantIbLb1EESU_EEDaSP_SQ_EUlSP_E_NS1_11comp_targetILNS1_3genE2ELNS1_11target_archE906ELNS1_3gpuE6ELNS1_3repE0EEENS1_30default_config_static_selectorELNS0_4arch9wavefront6targetE1EEEvT1_
	.globl	_ZN7rocprim17ROCPRIM_400000_NS6detail17trampoline_kernelINS0_14default_configENS1_20scan_config_selectorIdEEZZNS1_9scan_implILNS1_25lookback_scan_determinismE0ELb1ELb1ES3_N6thrust23THRUST_200600_302600_NS6detail15normal_iteratorINS9_10device_ptrIdEEEESE_dNS9_4plusIvEEdEEDaPvRmT3_T4_T5_mT6_P12ihipStream_tbENKUlT_T0_E_clISt17integral_constantIbLb1EESU_EEDaSP_SQ_EUlSP_E_NS1_11comp_targetILNS1_3genE2ELNS1_11target_archE906ELNS1_3gpuE6ELNS1_3repE0EEENS1_30default_config_static_selectorELNS0_4arch9wavefront6targetE1EEEvT1_
	.p2align	8
	.type	_ZN7rocprim17ROCPRIM_400000_NS6detail17trampoline_kernelINS0_14default_configENS1_20scan_config_selectorIdEEZZNS1_9scan_implILNS1_25lookback_scan_determinismE0ELb1ELb1ES3_N6thrust23THRUST_200600_302600_NS6detail15normal_iteratorINS9_10device_ptrIdEEEESE_dNS9_4plusIvEEdEEDaPvRmT3_T4_T5_mT6_P12ihipStream_tbENKUlT_T0_E_clISt17integral_constantIbLb1EESU_EEDaSP_SQ_EUlSP_E_NS1_11comp_targetILNS1_3genE2ELNS1_11target_archE906ELNS1_3gpuE6ELNS1_3repE0EEENS1_30default_config_static_selectorELNS0_4arch9wavefront6targetE1EEEvT1_,@function
_ZN7rocprim17ROCPRIM_400000_NS6detail17trampoline_kernelINS0_14default_configENS1_20scan_config_selectorIdEEZZNS1_9scan_implILNS1_25lookback_scan_determinismE0ELb1ELb1ES3_N6thrust23THRUST_200600_302600_NS6detail15normal_iteratorINS9_10device_ptrIdEEEESE_dNS9_4plusIvEEdEEDaPvRmT3_T4_T5_mT6_P12ihipStream_tbENKUlT_T0_E_clISt17integral_constantIbLb1EESU_EEDaSP_SQ_EUlSP_E_NS1_11comp_targetILNS1_3genE2ELNS1_11target_archE906ELNS1_3gpuE6ELNS1_3repE0EEENS1_30default_config_static_selectorELNS0_4arch9wavefront6targetE1EEEvT1_: ; @_ZN7rocprim17ROCPRIM_400000_NS6detail17trampoline_kernelINS0_14default_configENS1_20scan_config_selectorIdEEZZNS1_9scan_implILNS1_25lookback_scan_determinismE0ELb1ELb1ES3_N6thrust23THRUST_200600_302600_NS6detail15normal_iteratorINS9_10device_ptrIdEEEESE_dNS9_4plusIvEEdEEDaPvRmT3_T4_T5_mT6_P12ihipStream_tbENKUlT_T0_E_clISt17integral_constantIbLb1EESU_EEDaSP_SQ_EUlSP_E_NS1_11comp_targetILNS1_3genE2ELNS1_11target_archE906ELNS1_3gpuE6ELNS1_3repE0EEENS1_30default_config_static_selectorELNS0_4arch9wavefront6targetE1EEEvT1_
; %bb.0:
	.section	.rodata,"a",@progbits
	.p2align	6, 0x0
	.amdhsa_kernel _ZN7rocprim17ROCPRIM_400000_NS6detail17trampoline_kernelINS0_14default_configENS1_20scan_config_selectorIdEEZZNS1_9scan_implILNS1_25lookback_scan_determinismE0ELb1ELb1ES3_N6thrust23THRUST_200600_302600_NS6detail15normal_iteratorINS9_10device_ptrIdEEEESE_dNS9_4plusIvEEdEEDaPvRmT3_T4_T5_mT6_P12ihipStream_tbENKUlT_T0_E_clISt17integral_constantIbLb1EESU_EEDaSP_SQ_EUlSP_E_NS1_11comp_targetILNS1_3genE2ELNS1_11target_archE906ELNS1_3gpuE6ELNS1_3repE0EEENS1_30default_config_static_selectorELNS0_4arch9wavefront6targetE1EEEvT1_
		.amdhsa_group_segment_fixed_size 0
		.amdhsa_private_segment_fixed_size 0
		.amdhsa_kernarg_size 104
		.amdhsa_user_sgpr_count 6
		.amdhsa_user_sgpr_private_segment_buffer 1
		.amdhsa_user_sgpr_dispatch_ptr 0
		.amdhsa_user_sgpr_queue_ptr 0
		.amdhsa_user_sgpr_kernarg_segment_ptr 1
		.amdhsa_user_sgpr_dispatch_id 0
		.amdhsa_user_sgpr_flat_scratch_init 0
		.amdhsa_user_sgpr_kernarg_preload_length 0
		.amdhsa_user_sgpr_kernarg_preload_offset 0
		.amdhsa_user_sgpr_private_segment_size 0
		.amdhsa_uses_dynamic_stack 0
		.amdhsa_system_sgpr_private_segment_wavefront_offset 0
		.amdhsa_system_sgpr_workgroup_id_x 1
		.amdhsa_system_sgpr_workgroup_id_y 0
		.amdhsa_system_sgpr_workgroup_id_z 0
		.amdhsa_system_sgpr_workgroup_info 0
		.amdhsa_system_vgpr_workitem_id 0
		.amdhsa_next_free_vgpr 1
		.amdhsa_next_free_sgpr 0
		.amdhsa_accum_offset 4
		.amdhsa_reserve_vcc 0
		.amdhsa_reserve_flat_scratch 0
		.amdhsa_float_round_mode_32 0
		.amdhsa_float_round_mode_16_64 0
		.amdhsa_float_denorm_mode_32 3
		.amdhsa_float_denorm_mode_16_64 3
		.amdhsa_dx10_clamp 1
		.amdhsa_ieee_mode 1
		.amdhsa_fp16_overflow 0
		.amdhsa_tg_split 0
		.amdhsa_exception_fp_ieee_invalid_op 0
		.amdhsa_exception_fp_denorm_src 0
		.amdhsa_exception_fp_ieee_div_zero 0
		.amdhsa_exception_fp_ieee_overflow 0
		.amdhsa_exception_fp_ieee_underflow 0
		.amdhsa_exception_fp_ieee_inexact 0
		.amdhsa_exception_int_div_zero 0
	.end_amdhsa_kernel
	.section	.text._ZN7rocprim17ROCPRIM_400000_NS6detail17trampoline_kernelINS0_14default_configENS1_20scan_config_selectorIdEEZZNS1_9scan_implILNS1_25lookback_scan_determinismE0ELb1ELb1ES3_N6thrust23THRUST_200600_302600_NS6detail15normal_iteratorINS9_10device_ptrIdEEEESE_dNS9_4plusIvEEdEEDaPvRmT3_T4_T5_mT6_P12ihipStream_tbENKUlT_T0_E_clISt17integral_constantIbLb1EESU_EEDaSP_SQ_EUlSP_E_NS1_11comp_targetILNS1_3genE2ELNS1_11target_archE906ELNS1_3gpuE6ELNS1_3repE0EEENS1_30default_config_static_selectorELNS0_4arch9wavefront6targetE1EEEvT1_,"axG",@progbits,_ZN7rocprim17ROCPRIM_400000_NS6detail17trampoline_kernelINS0_14default_configENS1_20scan_config_selectorIdEEZZNS1_9scan_implILNS1_25lookback_scan_determinismE0ELb1ELb1ES3_N6thrust23THRUST_200600_302600_NS6detail15normal_iteratorINS9_10device_ptrIdEEEESE_dNS9_4plusIvEEdEEDaPvRmT3_T4_T5_mT6_P12ihipStream_tbENKUlT_T0_E_clISt17integral_constantIbLb1EESU_EEDaSP_SQ_EUlSP_E_NS1_11comp_targetILNS1_3genE2ELNS1_11target_archE906ELNS1_3gpuE6ELNS1_3repE0EEENS1_30default_config_static_selectorELNS0_4arch9wavefront6targetE1EEEvT1_,comdat
.Lfunc_end4236:
	.size	_ZN7rocprim17ROCPRIM_400000_NS6detail17trampoline_kernelINS0_14default_configENS1_20scan_config_selectorIdEEZZNS1_9scan_implILNS1_25lookback_scan_determinismE0ELb1ELb1ES3_N6thrust23THRUST_200600_302600_NS6detail15normal_iteratorINS9_10device_ptrIdEEEESE_dNS9_4plusIvEEdEEDaPvRmT3_T4_T5_mT6_P12ihipStream_tbENKUlT_T0_E_clISt17integral_constantIbLb1EESU_EEDaSP_SQ_EUlSP_E_NS1_11comp_targetILNS1_3genE2ELNS1_11target_archE906ELNS1_3gpuE6ELNS1_3repE0EEENS1_30default_config_static_selectorELNS0_4arch9wavefront6targetE1EEEvT1_, .Lfunc_end4236-_ZN7rocprim17ROCPRIM_400000_NS6detail17trampoline_kernelINS0_14default_configENS1_20scan_config_selectorIdEEZZNS1_9scan_implILNS1_25lookback_scan_determinismE0ELb1ELb1ES3_N6thrust23THRUST_200600_302600_NS6detail15normal_iteratorINS9_10device_ptrIdEEEESE_dNS9_4plusIvEEdEEDaPvRmT3_T4_T5_mT6_P12ihipStream_tbENKUlT_T0_E_clISt17integral_constantIbLb1EESU_EEDaSP_SQ_EUlSP_E_NS1_11comp_targetILNS1_3genE2ELNS1_11target_archE906ELNS1_3gpuE6ELNS1_3repE0EEENS1_30default_config_static_selectorELNS0_4arch9wavefront6targetE1EEEvT1_
                                        ; -- End function
	.section	.AMDGPU.csdata,"",@progbits
; Kernel info:
; codeLenInByte = 0
; NumSgprs: 4
; NumVgprs: 0
; NumAgprs: 0
; TotalNumVgprs: 0
; ScratchSize: 0
; MemoryBound: 0
; FloatMode: 240
; IeeeMode: 1
; LDSByteSize: 0 bytes/workgroup (compile time only)
; SGPRBlocks: 0
; VGPRBlocks: 0
; NumSGPRsForWavesPerEU: 4
; NumVGPRsForWavesPerEU: 1
; AccumOffset: 4
; Occupancy: 8
; WaveLimiterHint : 0
; COMPUTE_PGM_RSRC2:SCRATCH_EN: 0
; COMPUTE_PGM_RSRC2:USER_SGPR: 6
; COMPUTE_PGM_RSRC2:TRAP_HANDLER: 0
; COMPUTE_PGM_RSRC2:TGID_X_EN: 1
; COMPUTE_PGM_RSRC2:TGID_Y_EN: 0
; COMPUTE_PGM_RSRC2:TGID_Z_EN: 0
; COMPUTE_PGM_RSRC2:TIDIG_COMP_CNT: 0
; COMPUTE_PGM_RSRC3_GFX90A:ACCUM_OFFSET: 0
; COMPUTE_PGM_RSRC3_GFX90A:TG_SPLIT: 0
	.section	.text._ZN7rocprim17ROCPRIM_400000_NS6detail17trampoline_kernelINS0_14default_configENS1_20scan_config_selectorIdEEZZNS1_9scan_implILNS1_25lookback_scan_determinismE0ELb1ELb1ES3_N6thrust23THRUST_200600_302600_NS6detail15normal_iteratorINS9_10device_ptrIdEEEESE_dNS9_4plusIvEEdEEDaPvRmT3_T4_T5_mT6_P12ihipStream_tbENKUlT_T0_E_clISt17integral_constantIbLb1EESU_EEDaSP_SQ_EUlSP_E_NS1_11comp_targetILNS1_3genE10ELNS1_11target_archE1201ELNS1_3gpuE5ELNS1_3repE0EEENS1_30default_config_static_selectorELNS0_4arch9wavefront6targetE1EEEvT1_,"axG",@progbits,_ZN7rocprim17ROCPRIM_400000_NS6detail17trampoline_kernelINS0_14default_configENS1_20scan_config_selectorIdEEZZNS1_9scan_implILNS1_25lookback_scan_determinismE0ELb1ELb1ES3_N6thrust23THRUST_200600_302600_NS6detail15normal_iteratorINS9_10device_ptrIdEEEESE_dNS9_4plusIvEEdEEDaPvRmT3_T4_T5_mT6_P12ihipStream_tbENKUlT_T0_E_clISt17integral_constantIbLb1EESU_EEDaSP_SQ_EUlSP_E_NS1_11comp_targetILNS1_3genE10ELNS1_11target_archE1201ELNS1_3gpuE5ELNS1_3repE0EEENS1_30default_config_static_selectorELNS0_4arch9wavefront6targetE1EEEvT1_,comdat
	.protected	_ZN7rocprim17ROCPRIM_400000_NS6detail17trampoline_kernelINS0_14default_configENS1_20scan_config_selectorIdEEZZNS1_9scan_implILNS1_25lookback_scan_determinismE0ELb1ELb1ES3_N6thrust23THRUST_200600_302600_NS6detail15normal_iteratorINS9_10device_ptrIdEEEESE_dNS9_4plusIvEEdEEDaPvRmT3_T4_T5_mT6_P12ihipStream_tbENKUlT_T0_E_clISt17integral_constantIbLb1EESU_EEDaSP_SQ_EUlSP_E_NS1_11comp_targetILNS1_3genE10ELNS1_11target_archE1201ELNS1_3gpuE5ELNS1_3repE0EEENS1_30default_config_static_selectorELNS0_4arch9wavefront6targetE1EEEvT1_ ; -- Begin function _ZN7rocprim17ROCPRIM_400000_NS6detail17trampoline_kernelINS0_14default_configENS1_20scan_config_selectorIdEEZZNS1_9scan_implILNS1_25lookback_scan_determinismE0ELb1ELb1ES3_N6thrust23THRUST_200600_302600_NS6detail15normal_iteratorINS9_10device_ptrIdEEEESE_dNS9_4plusIvEEdEEDaPvRmT3_T4_T5_mT6_P12ihipStream_tbENKUlT_T0_E_clISt17integral_constantIbLb1EESU_EEDaSP_SQ_EUlSP_E_NS1_11comp_targetILNS1_3genE10ELNS1_11target_archE1201ELNS1_3gpuE5ELNS1_3repE0EEENS1_30default_config_static_selectorELNS0_4arch9wavefront6targetE1EEEvT1_
	.globl	_ZN7rocprim17ROCPRIM_400000_NS6detail17trampoline_kernelINS0_14default_configENS1_20scan_config_selectorIdEEZZNS1_9scan_implILNS1_25lookback_scan_determinismE0ELb1ELb1ES3_N6thrust23THRUST_200600_302600_NS6detail15normal_iteratorINS9_10device_ptrIdEEEESE_dNS9_4plusIvEEdEEDaPvRmT3_T4_T5_mT6_P12ihipStream_tbENKUlT_T0_E_clISt17integral_constantIbLb1EESU_EEDaSP_SQ_EUlSP_E_NS1_11comp_targetILNS1_3genE10ELNS1_11target_archE1201ELNS1_3gpuE5ELNS1_3repE0EEENS1_30default_config_static_selectorELNS0_4arch9wavefront6targetE1EEEvT1_
	.p2align	8
	.type	_ZN7rocprim17ROCPRIM_400000_NS6detail17trampoline_kernelINS0_14default_configENS1_20scan_config_selectorIdEEZZNS1_9scan_implILNS1_25lookback_scan_determinismE0ELb1ELb1ES3_N6thrust23THRUST_200600_302600_NS6detail15normal_iteratorINS9_10device_ptrIdEEEESE_dNS9_4plusIvEEdEEDaPvRmT3_T4_T5_mT6_P12ihipStream_tbENKUlT_T0_E_clISt17integral_constantIbLb1EESU_EEDaSP_SQ_EUlSP_E_NS1_11comp_targetILNS1_3genE10ELNS1_11target_archE1201ELNS1_3gpuE5ELNS1_3repE0EEENS1_30default_config_static_selectorELNS0_4arch9wavefront6targetE1EEEvT1_,@function
_ZN7rocprim17ROCPRIM_400000_NS6detail17trampoline_kernelINS0_14default_configENS1_20scan_config_selectorIdEEZZNS1_9scan_implILNS1_25lookback_scan_determinismE0ELb1ELb1ES3_N6thrust23THRUST_200600_302600_NS6detail15normal_iteratorINS9_10device_ptrIdEEEESE_dNS9_4plusIvEEdEEDaPvRmT3_T4_T5_mT6_P12ihipStream_tbENKUlT_T0_E_clISt17integral_constantIbLb1EESU_EEDaSP_SQ_EUlSP_E_NS1_11comp_targetILNS1_3genE10ELNS1_11target_archE1201ELNS1_3gpuE5ELNS1_3repE0EEENS1_30default_config_static_selectorELNS0_4arch9wavefront6targetE1EEEvT1_: ; @_ZN7rocprim17ROCPRIM_400000_NS6detail17trampoline_kernelINS0_14default_configENS1_20scan_config_selectorIdEEZZNS1_9scan_implILNS1_25lookback_scan_determinismE0ELb1ELb1ES3_N6thrust23THRUST_200600_302600_NS6detail15normal_iteratorINS9_10device_ptrIdEEEESE_dNS9_4plusIvEEdEEDaPvRmT3_T4_T5_mT6_P12ihipStream_tbENKUlT_T0_E_clISt17integral_constantIbLb1EESU_EEDaSP_SQ_EUlSP_E_NS1_11comp_targetILNS1_3genE10ELNS1_11target_archE1201ELNS1_3gpuE5ELNS1_3repE0EEENS1_30default_config_static_selectorELNS0_4arch9wavefront6targetE1EEEvT1_
; %bb.0:
	.section	.rodata,"a",@progbits
	.p2align	6, 0x0
	.amdhsa_kernel _ZN7rocprim17ROCPRIM_400000_NS6detail17trampoline_kernelINS0_14default_configENS1_20scan_config_selectorIdEEZZNS1_9scan_implILNS1_25lookback_scan_determinismE0ELb1ELb1ES3_N6thrust23THRUST_200600_302600_NS6detail15normal_iteratorINS9_10device_ptrIdEEEESE_dNS9_4plusIvEEdEEDaPvRmT3_T4_T5_mT6_P12ihipStream_tbENKUlT_T0_E_clISt17integral_constantIbLb1EESU_EEDaSP_SQ_EUlSP_E_NS1_11comp_targetILNS1_3genE10ELNS1_11target_archE1201ELNS1_3gpuE5ELNS1_3repE0EEENS1_30default_config_static_selectorELNS0_4arch9wavefront6targetE1EEEvT1_
		.amdhsa_group_segment_fixed_size 0
		.amdhsa_private_segment_fixed_size 0
		.amdhsa_kernarg_size 104
		.amdhsa_user_sgpr_count 6
		.amdhsa_user_sgpr_private_segment_buffer 1
		.amdhsa_user_sgpr_dispatch_ptr 0
		.amdhsa_user_sgpr_queue_ptr 0
		.amdhsa_user_sgpr_kernarg_segment_ptr 1
		.amdhsa_user_sgpr_dispatch_id 0
		.amdhsa_user_sgpr_flat_scratch_init 0
		.amdhsa_user_sgpr_kernarg_preload_length 0
		.amdhsa_user_sgpr_kernarg_preload_offset 0
		.amdhsa_user_sgpr_private_segment_size 0
		.amdhsa_uses_dynamic_stack 0
		.amdhsa_system_sgpr_private_segment_wavefront_offset 0
		.amdhsa_system_sgpr_workgroup_id_x 1
		.amdhsa_system_sgpr_workgroup_id_y 0
		.amdhsa_system_sgpr_workgroup_id_z 0
		.amdhsa_system_sgpr_workgroup_info 0
		.amdhsa_system_vgpr_workitem_id 0
		.amdhsa_next_free_vgpr 1
		.amdhsa_next_free_sgpr 0
		.amdhsa_accum_offset 4
		.amdhsa_reserve_vcc 0
		.amdhsa_reserve_flat_scratch 0
		.amdhsa_float_round_mode_32 0
		.amdhsa_float_round_mode_16_64 0
		.amdhsa_float_denorm_mode_32 3
		.amdhsa_float_denorm_mode_16_64 3
		.amdhsa_dx10_clamp 1
		.amdhsa_ieee_mode 1
		.amdhsa_fp16_overflow 0
		.amdhsa_tg_split 0
		.amdhsa_exception_fp_ieee_invalid_op 0
		.amdhsa_exception_fp_denorm_src 0
		.amdhsa_exception_fp_ieee_div_zero 0
		.amdhsa_exception_fp_ieee_overflow 0
		.amdhsa_exception_fp_ieee_underflow 0
		.amdhsa_exception_fp_ieee_inexact 0
		.amdhsa_exception_int_div_zero 0
	.end_amdhsa_kernel
	.section	.text._ZN7rocprim17ROCPRIM_400000_NS6detail17trampoline_kernelINS0_14default_configENS1_20scan_config_selectorIdEEZZNS1_9scan_implILNS1_25lookback_scan_determinismE0ELb1ELb1ES3_N6thrust23THRUST_200600_302600_NS6detail15normal_iteratorINS9_10device_ptrIdEEEESE_dNS9_4plusIvEEdEEDaPvRmT3_T4_T5_mT6_P12ihipStream_tbENKUlT_T0_E_clISt17integral_constantIbLb1EESU_EEDaSP_SQ_EUlSP_E_NS1_11comp_targetILNS1_3genE10ELNS1_11target_archE1201ELNS1_3gpuE5ELNS1_3repE0EEENS1_30default_config_static_selectorELNS0_4arch9wavefront6targetE1EEEvT1_,"axG",@progbits,_ZN7rocprim17ROCPRIM_400000_NS6detail17trampoline_kernelINS0_14default_configENS1_20scan_config_selectorIdEEZZNS1_9scan_implILNS1_25lookback_scan_determinismE0ELb1ELb1ES3_N6thrust23THRUST_200600_302600_NS6detail15normal_iteratorINS9_10device_ptrIdEEEESE_dNS9_4plusIvEEdEEDaPvRmT3_T4_T5_mT6_P12ihipStream_tbENKUlT_T0_E_clISt17integral_constantIbLb1EESU_EEDaSP_SQ_EUlSP_E_NS1_11comp_targetILNS1_3genE10ELNS1_11target_archE1201ELNS1_3gpuE5ELNS1_3repE0EEENS1_30default_config_static_selectorELNS0_4arch9wavefront6targetE1EEEvT1_,comdat
.Lfunc_end4237:
	.size	_ZN7rocprim17ROCPRIM_400000_NS6detail17trampoline_kernelINS0_14default_configENS1_20scan_config_selectorIdEEZZNS1_9scan_implILNS1_25lookback_scan_determinismE0ELb1ELb1ES3_N6thrust23THRUST_200600_302600_NS6detail15normal_iteratorINS9_10device_ptrIdEEEESE_dNS9_4plusIvEEdEEDaPvRmT3_T4_T5_mT6_P12ihipStream_tbENKUlT_T0_E_clISt17integral_constantIbLb1EESU_EEDaSP_SQ_EUlSP_E_NS1_11comp_targetILNS1_3genE10ELNS1_11target_archE1201ELNS1_3gpuE5ELNS1_3repE0EEENS1_30default_config_static_selectorELNS0_4arch9wavefront6targetE1EEEvT1_, .Lfunc_end4237-_ZN7rocprim17ROCPRIM_400000_NS6detail17trampoline_kernelINS0_14default_configENS1_20scan_config_selectorIdEEZZNS1_9scan_implILNS1_25lookback_scan_determinismE0ELb1ELb1ES3_N6thrust23THRUST_200600_302600_NS6detail15normal_iteratorINS9_10device_ptrIdEEEESE_dNS9_4plusIvEEdEEDaPvRmT3_T4_T5_mT6_P12ihipStream_tbENKUlT_T0_E_clISt17integral_constantIbLb1EESU_EEDaSP_SQ_EUlSP_E_NS1_11comp_targetILNS1_3genE10ELNS1_11target_archE1201ELNS1_3gpuE5ELNS1_3repE0EEENS1_30default_config_static_selectorELNS0_4arch9wavefront6targetE1EEEvT1_
                                        ; -- End function
	.section	.AMDGPU.csdata,"",@progbits
; Kernel info:
; codeLenInByte = 0
; NumSgprs: 4
; NumVgprs: 0
; NumAgprs: 0
; TotalNumVgprs: 0
; ScratchSize: 0
; MemoryBound: 0
; FloatMode: 240
; IeeeMode: 1
; LDSByteSize: 0 bytes/workgroup (compile time only)
; SGPRBlocks: 0
; VGPRBlocks: 0
; NumSGPRsForWavesPerEU: 4
; NumVGPRsForWavesPerEU: 1
; AccumOffset: 4
; Occupancy: 8
; WaveLimiterHint : 0
; COMPUTE_PGM_RSRC2:SCRATCH_EN: 0
; COMPUTE_PGM_RSRC2:USER_SGPR: 6
; COMPUTE_PGM_RSRC2:TRAP_HANDLER: 0
; COMPUTE_PGM_RSRC2:TGID_X_EN: 1
; COMPUTE_PGM_RSRC2:TGID_Y_EN: 0
; COMPUTE_PGM_RSRC2:TGID_Z_EN: 0
; COMPUTE_PGM_RSRC2:TIDIG_COMP_CNT: 0
; COMPUTE_PGM_RSRC3_GFX90A:ACCUM_OFFSET: 0
; COMPUTE_PGM_RSRC3_GFX90A:TG_SPLIT: 0
	.section	.text._ZN7rocprim17ROCPRIM_400000_NS6detail17trampoline_kernelINS0_14default_configENS1_20scan_config_selectorIdEEZZNS1_9scan_implILNS1_25lookback_scan_determinismE0ELb1ELb1ES3_N6thrust23THRUST_200600_302600_NS6detail15normal_iteratorINS9_10device_ptrIdEEEESE_dNS9_4plusIvEEdEEDaPvRmT3_T4_T5_mT6_P12ihipStream_tbENKUlT_T0_E_clISt17integral_constantIbLb1EESU_EEDaSP_SQ_EUlSP_E_NS1_11comp_targetILNS1_3genE10ELNS1_11target_archE1200ELNS1_3gpuE4ELNS1_3repE0EEENS1_30default_config_static_selectorELNS0_4arch9wavefront6targetE1EEEvT1_,"axG",@progbits,_ZN7rocprim17ROCPRIM_400000_NS6detail17trampoline_kernelINS0_14default_configENS1_20scan_config_selectorIdEEZZNS1_9scan_implILNS1_25lookback_scan_determinismE0ELb1ELb1ES3_N6thrust23THRUST_200600_302600_NS6detail15normal_iteratorINS9_10device_ptrIdEEEESE_dNS9_4plusIvEEdEEDaPvRmT3_T4_T5_mT6_P12ihipStream_tbENKUlT_T0_E_clISt17integral_constantIbLb1EESU_EEDaSP_SQ_EUlSP_E_NS1_11comp_targetILNS1_3genE10ELNS1_11target_archE1200ELNS1_3gpuE4ELNS1_3repE0EEENS1_30default_config_static_selectorELNS0_4arch9wavefront6targetE1EEEvT1_,comdat
	.protected	_ZN7rocprim17ROCPRIM_400000_NS6detail17trampoline_kernelINS0_14default_configENS1_20scan_config_selectorIdEEZZNS1_9scan_implILNS1_25lookback_scan_determinismE0ELb1ELb1ES3_N6thrust23THRUST_200600_302600_NS6detail15normal_iteratorINS9_10device_ptrIdEEEESE_dNS9_4plusIvEEdEEDaPvRmT3_T4_T5_mT6_P12ihipStream_tbENKUlT_T0_E_clISt17integral_constantIbLb1EESU_EEDaSP_SQ_EUlSP_E_NS1_11comp_targetILNS1_3genE10ELNS1_11target_archE1200ELNS1_3gpuE4ELNS1_3repE0EEENS1_30default_config_static_selectorELNS0_4arch9wavefront6targetE1EEEvT1_ ; -- Begin function _ZN7rocprim17ROCPRIM_400000_NS6detail17trampoline_kernelINS0_14default_configENS1_20scan_config_selectorIdEEZZNS1_9scan_implILNS1_25lookback_scan_determinismE0ELb1ELb1ES3_N6thrust23THRUST_200600_302600_NS6detail15normal_iteratorINS9_10device_ptrIdEEEESE_dNS9_4plusIvEEdEEDaPvRmT3_T4_T5_mT6_P12ihipStream_tbENKUlT_T0_E_clISt17integral_constantIbLb1EESU_EEDaSP_SQ_EUlSP_E_NS1_11comp_targetILNS1_3genE10ELNS1_11target_archE1200ELNS1_3gpuE4ELNS1_3repE0EEENS1_30default_config_static_selectorELNS0_4arch9wavefront6targetE1EEEvT1_
	.globl	_ZN7rocprim17ROCPRIM_400000_NS6detail17trampoline_kernelINS0_14default_configENS1_20scan_config_selectorIdEEZZNS1_9scan_implILNS1_25lookback_scan_determinismE0ELb1ELb1ES3_N6thrust23THRUST_200600_302600_NS6detail15normal_iteratorINS9_10device_ptrIdEEEESE_dNS9_4plusIvEEdEEDaPvRmT3_T4_T5_mT6_P12ihipStream_tbENKUlT_T0_E_clISt17integral_constantIbLb1EESU_EEDaSP_SQ_EUlSP_E_NS1_11comp_targetILNS1_3genE10ELNS1_11target_archE1200ELNS1_3gpuE4ELNS1_3repE0EEENS1_30default_config_static_selectorELNS0_4arch9wavefront6targetE1EEEvT1_
	.p2align	8
	.type	_ZN7rocprim17ROCPRIM_400000_NS6detail17trampoline_kernelINS0_14default_configENS1_20scan_config_selectorIdEEZZNS1_9scan_implILNS1_25lookback_scan_determinismE0ELb1ELb1ES3_N6thrust23THRUST_200600_302600_NS6detail15normal_iteratorINS9_10device_ptrIdEEEESE_dNS9_4plusIvEEdEEDaPvRmT3_T4_T5_mT6_P12ihipStream_tbENKUlT_T0_E_clISt17integral_constantIbLb1EESU_EEDaSP_SQ_EUlSP_E_NS1_11comp_targetILNS1_3genE10ELNS1_11target_archE1200ELNS1_3gpuE4ELNS1_3repE0EEENS1_30default_config_static_selectorELNS0_4arch9wavefront6targetE1EEEvT1_,@function
_ZN7rocprim17ROCPRIM_400000_NS6detail17trampoline_kernelINS0_14default_configENS1_20scan_config_selectorIdEEZZNS1_9scan_implILNS1_25lookback_scan_determinismE0ELb1ELb1ES3_N6thrust23THRUST_200600_302600_NS6detail15normal_iteratorINS9_10device_ptrIdEEEESE_dNS9_4plusIvEEdEEDaPvRmT3_T4_T5_mT6_P12ihipStream_tbENKUlT_T0_E_clISt17integral_constantIbLb1EESU_EEDaSP_SQ_EUlSP_E_NS1_11comp_targetILNS1_3genE10ELNS1_11target_archE1200ELNS1_3gpuE4ELNS1_3repE0EEENS1_30default_config_static_selectorELNS0_4arch9wavefront6targetE1EEEvT1_: ; @_ZN7rocprim17ROCPRIM_400000_NS6detail17trampoline_kernelINS0_14default_configENS1_20scan_config_selectorIdEEZZNS1_9scan_implILNS1_25lookback_scan_determinismE0ELb1ELb1ES3_N6thrust23THRUST_200600_302600_NS6detail15normal_iteratorINS9_10device_ptrIdEEEESE_dNS9_4plusIvEEdEEDaPvRmT3_T4_T5_mT6_P12ihipStream_tbENKUlT_T0_E_clISt17integral_constantIbLb1EESU_EEDaSP_SQ_EUlSP_E_NS1_11comp_targetILNS1_3genE10ELNS1_11target_archE1200ELNS1_3gpuE4ELNS1_3repE0EEENS1_30default_config_static_selectorELNS0_4arch9wavefront6targetE1EEEvT1_
; %bb.0:
	.section	.rodata,"a",@progbits
	.p2align	6, 0x0
	.amdhsa_kernel _ZN7rocprim17ROCPRIM_400000_NS6detail17trampoline_kernelINS0_14default_configENS1_20scan_config_selectorIdEEZZNS1_9scan_implILNS1_25lookback_scan_determinismE0ELb1ELb1ES3_N6thrust23THRUST_200600_302600_NS6detail15normal_iteratorINS9_10device_ptrIdEEEESE_dNS9_4plusIvEEdEEDaPvRmT3_T4_T5_mT6_P12ihipStream_tbENKUlT_T0_E_clISt17integral_constantIbLb1EESU_EEDaSP_SQ_EUlSP_E_NS1_11comp_targetILNS1_3genE10ELNS1_11target_archE1200ELNS1_3gpuE4ELNS1_3repE0EEENS1_30default_config_static_selectorELNS0_4arch9wavefront6targetE1EEEvT1_
		.amdhsa_group_segment_fixed_size 0
		.amdhsa_private_segment_fixed_size 0
		.amdhsa_kernarg_size 104
		.amdhsa_user_sgpr_count 6
		.amdhsa_user_sgpr_private_segment_buffer 1
		.amdhsa_user_sgpr_dispatch_ptr 0
		.amdhsa_user_sgpr_queue_ptr 0
		.amdhsa_user_sgpr_kernarg_segment_ptr 1
		.amdhsa_user_sgpr_dispatch_id 0
		.amdhsa_user_sgpr_flat_scratch_init 0
		.amdhsa_user_sgpr_kernarg_preload_length 0
		.amdhsa_user_sgpr_kernarg_preload_offset 0
		.amdhsa_user_sgpr_private_segment_size 0
		.amdhsa_uses_dynamic_stack 0
		.amdhsa_system_sgpr_private_segment_wavefront_offset 0
		.amdhsa_system_sgpr_workgroup_id_x 1
		.amdhsa_system_sgpr_workgroup_id_y 0
		.amdhsa_system_sgpr_workgroup_id_z 0
		.amdhsa_system_sgpr_workgroup_info 0
		.amdhsa_system_vgpr_workitem_id 0
		.amdhsa_next_free_vgpr 1
		.amdhsa_next_free_sgpr 0
		.amdhsa_accum_offset 4
		.amdhsa_reserve_vcc 0
		.amdhsa_reserve_flat_scratch 0
		.amdhsa_float_round_mode_32 0
		.amdhsa_float_round_mode_16_64 0
		.amdhsa_float_denorm_mode_32 3
		.amdhsa_float_denorm_mode_16_64 3
		.amdhsa_dx10_clamp 1
		.amdhsa_ieee_mode 1
		.amdhsa_fp16_overflow 0
		.amdhsa_tg_split 0
		.amdhsa_exception_fp_ieee_invalid_op 0
		.amdhsa_exception_fp_denorm_src 0
		.amdhsa_exception_fp_ieee_div_zero 0
		.amdhsa_exception_fp_ieee_overflow 0
		.amdhsa_exception_fp_ieee_underflow 0
		.amdhsa_exception_fp_ieee_inexact 0
		.amdhsa_exception_int_div_zero 0
	.end_amdhsa_kernel
	.section	.text._ZN7rocprim17ROCPRIM_400000_NS6detail17trampoline_kernelINS0_14default_configENS1_20scan_config_selectorIdEEZZNS1_9scan_implILNS1_25lookback_scan_determinismE0ELb1ELb1ES3_N6thrust23THRUST_200600_302600_NS6detail15normal_iteratorINS9_10device_ptrIdEEEESE_dNS9_4plusIvEEdEEDaPvRmT3_T4_T5_mT6_P12ihipStream_tbENKUlT_T0_E_clISt17integral_constantIbLb1EESU_EEDaSP_SQ_EUlSP_E_NS1_11comp_targetILNS1_3genE10ELNS1_11target_archE1200ELNS1_3gpuE4ELNS1_3repE0EEENS1_30default_config_static_selectorELNS0_4arch9wavefront6targetE1EEEvT1_,"axG",@progbits,_ZN7rocprim17ROCPRIM_400000_NS6detail17trampoline_kernelINS0_14default_configENS1_20scan_config_selectorIdEEZZNS1_9scan_implILNS1_25lookback_scan_determinismE0ELb1ELb1ES3_N6thrust23THRUST_200600_302600_NS6detail15normal_iteratorINS9_10device_ptrIdEEEESE_dNS9_4plusIvEEdEEDaPvRmT3_T4_T5_mT6_P12ihipStream_tbENKUlT_T0_E_clISt17integral_constantIbLb1EESU_EEDaSP_SQ_EUlSP_E_NS1_11comp_targetILNS1_3genE10ELNS1_11target_archE1200ELNS1_3gpuE4ELNS1_3repE0EEENS1_30default_config_static_selectorELNS0_4arch9wavefront6targetE1EEEvT1_,comdat
.Lfunc_end4238:
	.size	_ZN7rocprim17ROCPRIM_400000_NS6detail17trampoline_kernelINS0_14default_configENS1_20scan_config_selectorIdEEZZNS1_9scan_implILNS1_25lookback_scan_determinismE0ELb1ELb1ES3_N6thrust23THRUST_200600_302600_NS6detail15normal_iteratorINS9_10device_ptrIdEEEESE_dNS9_4plusIvEEdEEDaPvRmT3_T4_T5_mT6_P12ihipStream_tbENKUlT_T0_E_clISt17integral_constantIbLb1EESU_EEDaSP_SQ_EUlSP_E_NS1_11comp_targetILNS1_3genE10ELNS1_11target_archE1200ELNS1_3gpuE4ELNS1_3repE0EEENS1_30default_config_static_selectorELNS0_4arch9wavefront6targetE1EEEvT1_, .Lfunc_end4238-_ZN7rocprim17ROCPRIM_400000_NS6detail17trampoline_kernelINS0_14default_configENS1_20scan_config_selectorIdEEZZNS1_9scan_implILNS1_25lookback_scan_determinismE0ELb1ELb1ES3_N6thrust23THRUST_200600_302600_NS6detail15normal_iteratorINS9_10device_ptrIdEEEESE_dNS9_4plusIvEEdEEDaPvRmT3_T4_T5_mT6_P12ihipStream_tbENKUlT_T0_E_clISt17integral_constantIbLb1EESU_EEDaSP_SQ_EUlSP_E_NS1_11comp_targetILNS1_3genE10ELNS1_11target_archE1200ELNS1_3gpuE4ELNS1_3repE0EEENS1_30default_config_static_selectorELNS0_4arch9wavefront6targetE1EEEvT1_
                                        ; -- End function
	.section	.AMDGPU.csdata,"",@progbits
; Kernel info:
; codeLenInByte = 0
; NumSgprs: 4
; NumVgprs: 0
; NumAgprs: 0
; TotalNumVgprs: 0
; ScratchSize: 0
; MemoryBound: 0
; FloatMode: 240
; IeeeMode: 1
; LDSByteSize: 0 bytes/workgroup (compile time only)
; SGPRBlocks: 0
; VGPRBlocks: 0
; NumSGPRsForWavesPerEU: 4
; NumVGPRsForWavesPerEU: 1
; AccumOffset: 4
; Occupancy: 8
; WaveLimiterHint : 0
; COMPUTE_PGM_RSRC2:SCRATCH_EN: 0
; COMPUTE_PGM_RSRC2:USER_SGPR: 6
; COMPUTE_PGM_RSRC2:TRAP_HANDLER: 0
; COMPUTE_PGM_RSRC2:TGID_X_EN: 1
; COMPUTE_PGM_RSRC2:TGID_Y_EN: 0
; COMPUTE_PGM_RSRC2:TGID_Z_EN: 0
; COMPUTE_PGM_RSRC2:TIDIG_COMP_CNT: 0
; COMPUTE_PGM_RSRC3_GFX90A:ACCUM_OFFSET: 0
; COMPUTE_PGM_RSRC3_GFX90A:TG_SPLIT: 0
	.section	.text._ZN7rocprim17ROCPRIM_400000_NS6detail17trampoline_kernelINS0_14default_configENS1_20scan_config_selectorIdEEZZNS1_9scan_implILNS1_25lookback_scan_determinismE0ELb1ELb1ES3_N6thrust23THRUST_200600_302600_NS6detail15normal_iteratorINS9_10device_ptrIdEEEESE_dNS9_4plusIvEEdEEDaPvRmT3_T4_T5_mT6_P12ihipStream_tbENKUlT_T0_E_clISt17integral_constantIbLb1EESU_EEDaSP_SQ_EUlSP_E_NS1_11comp_targetILNS1_3genE9ELNS1_11target_archE1100ELNS1_3gpuE3ELNS1_3repE0EEENS1_30default_config_static_selectorELNS0_4arch9wavefront6targetE1EEEvT1_,"axG",@progbits,_ZN7rocprim17ROCPRIM_400000_NS6detail17trampoline_kernelINS0_14default_configENS1_20scan_config_selectorIdEEZZNS1_9scan_implILNS1_25lookback_scan_determinismE0ELb1ELb1ES3_N6thrust23THRUST_200600_302600_NS6detail15normal_iteratorINS9_10device_ptrIdEEEESE_dNS9_4plusIvEEdEEDaPvRmT3_T4_T5_mT6_P12ihipStream_tbENKUlT_T0_E_clISt17integral_constantIbLb1EESU_EEDaSP_SQ_EUlSP_E_NS1_11comp_targetILNS1_3genE9ELNS1_11target_archE1100ELNS1_3gpuE3ELNS1_3repE0EEENS1_30default_config_static_selectorELNS0_4arch9wavefront6targetE1EEEvT1_,comdat
	.protected	_ZN7rocprim17ROCPRIM_400000_NS6detail17trampoline_kernelINS0_14default_configENS1_20scan_config_selectorIdEEZZNS1_9scan_implILNS1_25lookback_scan_determinismE0ELb1ELb1ES3_N6thrust23THRUST_200600_302600_NS6detail15normal_iteratorINS9_10device_ptrIdEEEESE_dNS9_4plusIvEEdEEDaPvRmT3_T4_T5_mT6_P12ihipStream_tbENKUlT_T0_E_clISt17integral_constantIbLb1EESU_EEDaSP_SQ_EUlSP_E_NS1_11comp_targetILNS1_3genE9ELNS1_11target_archE1100ELNS1_3gpuE3ELNS1_3repE0EEENS1_30default_config_static_selectorELNS0_4arch9wavefront6targetE1EEEvT1_ ; -- Begin function _ZN7rocprim17ROCPRIM_400000_NS6detail17trampoline_kernelINS0_14default_configENS1_20scan_config_selectorIdEEZZNS1_9scan_implILNS1_25lookback_scan_determinismE0ELb1ELb1ES3_N6thrust23THRUST_200600_302600_NS6detail15normal_iteratorINS9_10device_ptrIdEEEESE_dNS9_4plusIvEEdEEDaPvRmT3_T4_T5_mT6_P12ihipStream_tbENKUlT_T0_E_clISt17integral_constantIbLb1EESU_EEDaSP_SQ_EUlSP_E_NS1_11comp_targetILNS1_3genE9ELNS1_11target_archE1100ELNS1_3gpuE3ELNS1_3repE0EEENS1_30default_config_static_selectorELNS0_4arch9wavefront6targetE1EEEvT1_
	.globl	_ZN7rocprim17ROCPRIM_400000_NS6detail17trampoline_kernelINS0_14default_configENS1_20scan_config_selectorIdEEZZNS1_9scan_implILNS1_25lookback_scan_determinismE0ELb1ELb1ES3_N6thrust23THRUST_200600_302600_NS6detail15normal_iteratorINS9_10device_ptrIdEEEESE_dNS9_4plusIvEEdEEDaPvRmT3_T4_T5_mT6_P12ihipStream_tbENKUlT_T0_E_clISt17integral_constantIbLb1EESU_EEDaSP_SQ_EUlSP_E_NS1_11comp_targetILNS1_3genE9ELNS1_11target_archE1100ELNS1_3gpuE3ELNS1_3repE0EEENS1_30default_config_static_selectorELNS0_4arch9wavefront6targetE1EEEvT1_
	.p2align	8
	.type	_ZN7rocprim17ROCPRIM_400000_NS6detail17trampoline_kernelINS0_14default_configENS1_20scan_config_selectorIdEEZZNS1_9scan_implILNS1_25lookback_scan_determinismE0ELb1ELb1ES3_N6thrust23THRUST_200600_302600_NS6detail15normal_iteratorINS9_10device_ptrIdEEEESE_dNS9_4plusIvEEdEEDaPvRmT3_T4_T5_mT6_P12ihipStream_tbENKUlT_T0_E_clISt17integral_constantIbLb1EESU_EEDaSP_SQ_EUlSP_E_NS1_11comp_targetILNS1_3genE9ELNS1_11target_archE1100ELNS1_3gpuE3ELNS1_3repE0EEENS1_30default_config_static_selectorELNS0_4arch9wavefront6targetE1EEEvT1_,@function
_ZN7rocprim17ROCPRIM_400000_NS6detail17trampoline_kernelINS0_14default_configENS1_20scan_config_selectorIdEEZZNS1_9scan_implILNS1_25lookback_scan_determinismE0ELb1ELb1ES3_N6thrust23THRUST_200600_302600_NS6detail15normal_iteratorINS9_10device_ptrIdEEEESE_dNS9_4plusIvEEdEEDaPvRmT3_T4_T5_mT6_P12ihipStream_tbENKUlT_T0_E_clISt17integral_constantIbLb1EESU_EEDaSP_SQ_EUlSP_E_NS1_11comp_targetILNS1_3genE9ELNS1_11target_archE1100ELNS1_3gpuE3ELNS1_3repE0EEENS1_30default_config_static_selectorELNS0_4arch9wavefront6targetE1EEEvT1_: ; @_ZN7rocprim17ROCPRIM_400000_NS6detail17trampoline_kernelINS0_14default_configENS1_20scan_config_selectorIdEEZZNS1_9scan_implILNS1_25lookback_scan_determinismE0ELb1ELb1ES3_N6thrust23THRUST_200600_302600_NS6detail15normal_iteratorINS9_10device_ptrIdEEEESE_dNS9_4plusIvEEdEEDaPvRmT3_T4_T5_mT6_P12ihipStream_tbENKUlT_T0_E_clISt17integral_constantIbLb1EESU_EEDaSP_SQ_EUlSP_E_NS1_11comp_targetILNS1_3genE9ELNS1_11target_archE1100ELNS1_3gpuE3ELNS1_3repE0EEENS1_30default_config_static_selectorELNS0_4arch9wavefront6targetE1EEEvT1_
; %bb.0:
	.section	.rodata,"a",@progbits
	.p2align	6, 0x0
	.amdhsa_kernel _ZN7rocprim17ROCPRIM_400000_NS6detail17trampoline_kernelINS0_14default_configENS1_20scan_config_selectorIdEEZZNS1_9scan_implILNS1_25lookback_scan_determinismE0ELb1ELb1ES3_N6thrust23THRUST_200600_302600_NS6detail15normal_iteratorINS9_10device_ptrIdEEEESE_dNS9_4plusIvEEdEEDaPvRmT3_T4_T5_mT6_P12ihipStream_tbENKUlT_T0_E_clISt17integral_constantIbLb1EESU_EEDaSP_SQ_EUlSP_E_NS1_11comp_targetILNS1_3genE9ELNS1_11target_archE1100ELNS1_3gpuE3ELNS1_3repE0EEENS1_30default_config_static_selectorELNS0_4arch9wavefront6targetE1EEEvT1_
		.amdhsa_group_segment_fixed_size 0
		.amdhsa_private_segment_fixed_size 0
		.amdhsa_kernarg_size 104
		.amdhsa_user_sgpr_count 6
		.amdhsa_user_sgpr_private_segment_buffer 1
		.amdhsa_user_sgpr_dispatch_ptr 0
		.amdhsa_user_sgpr_queue_ptr 0
		.amdhsa_user_sgpr_kernarg_segment_ptr 1
		.amdhsa_user_sgpr_dispatch_id 0
		.amdhsa_user_sgpr_flat_scratch_init 0
		.amdhsa_user_sgpr_kernarg_preload_length 0
		.amdhsa_user_sgpr_kernarg_preload_offset 0
		.amdhsa_user_sgpr_private_segment_size 0
		.amdhsa_uses_dynamic_stack 0
		.amdhsa_system_sgpr_private_segment_wavefront_offset 0
		.amdhsa_system_sgpr_workgroup_id_x 1
		.amdhsa_system_sgpr_workgroup_id_y 0
		.amdhsa_system_sgpr_workgroup_id_z 0
		.amdhsa_system_sgpr_workgroup_info 0
		.amdhsa_system_vgpr_workitem_id 0
		.amdhsa_next_free_vgpr 1
		.amdhsa_next_free_sgpr 0
		.amdhsa_accum_offset 4
		.amdhsa_reserve_vcc 0
		.amdhsa_reserve_flat_scratch 0
		.amdhsa_float_round_mode_32 0
		.amdhsa_float_round_mode_16_64 0
		.amdhsa_float_denorm_mode_32 3
		.amdhsa_float_denorm_mode_16_64 3
		.amdhsa_dx10_clamp 1
		.amdhsa_ieee_mode 1
		.amdhsa_fp16_overflow 0
		.amdhsa_tg_split 0
		.amdhsa_exception_fp_ieee_invalid_op 0
		.amdhsa_exception_fp_denorm_src 0
		.amdhsa_exception_fp_ieee_div_zero 0
		.amdhsa_exception_fp_ieee_overflow 0
		.amdhsa_exception_fp_ieee_underflow 0
		.amdhsa_exception_fp_ieee_inexact 0
		.amdhsa_exception_int_div_zero 0
	.end_amdhsa_kernel
	.section	.text._ZN7rocprim17ROCPRIM_400000_NS6detail17trampoline_kernelINS0_14default_configENS1_20scan_config_selectorIdEEZZNS1_9scan_implILNS1_25lookback_scan_determinismE0ELb1ELb1ES3_N6thrust23THRUST_200600_302600_NS6detail15normal_iteratorINS9_10device_ptrIdEEEESE_dNS9_4plusIvEEdEEDaPvRmT3_T4_T5_mT6_P12ihipStream_tbENKUlT_T0_E_clISt17integral_constantIbLb1EESU_EEDaSP_SQ_EUlSP_E_NS1_11comp_targetILNS1_3genE9ELNS1_11target_archE1100ELNS1_3gpuE3ELNS1_3repE0EEENS1_30default_config_static_selectorELNS0_4arch9wavefront6targetE1EEEvT1_,"axG",@progbits,_ZN7rocprim17ROCPRIM_400000_NS6detail17trampoline_kernelINS0_14default_configENS1_20scan_config_selectorIdEEZZNS1_9scan_implILNS1_25lookback_scan_determinismE0ELb1ELb1ES3_N6thrust23THRUST_200600_302600_NS6detail15normal_iteratorINS9_10device_ptrIdEEEESE_dNS9_4plusIvEEdEEDaPvRmT3_T4_T5_mT6_P12ihipStream_tbENKUlT_T0_E_clISt17integral_constantIbLb1EESU_EEDaSP_SQ_EUlSP_E_NS1_11comp_targetILNS1_3genE9ELNS1_11target_archE1100ELNS1_3gpuE3ELNS1_3repE0EEENS1_30default_config_static_selectorELNS0_4arch9wavefront6targetE1EEEvT1_,comdat
.Lfunc_end4239:
	.size	_ZN7rocprim17ROCPRIM_400000_NS6detail17trampoline_kernelINS0_14default_configENS1_20scan_config_selectorIdEEZZNS1_9scan_implILNS1_25lookback_scan_determinismE0ELb1ELb1ES3_N6thrust23THRUST_200600_302600_NS6detail15normal_iteratorINS9_10device_ptrIdEEEESE_dNS9_4plusIvEEdEEDaPvRmT3_T4_T5_mT6_P12ihipStream_tbENKUlT_T0_E_clISt17integral_constantIbLb1EESU_EEDaSP_SQ_EUlSP_E_NS1_11comp_targetILNS1_3genE9ELNS1_11target_archE1100ELNS1_3gpuE3ELNS1_3repE0EEENS1_30default_config_static_selectorELNS0_4arch9wavefront6targetE1EEEvT1_, .Lfunc_end4239-_ZN7rocprim17ROCPRIM_400000_NS6detail17trampoline_kernelINS0_14default_configENS1_20scan_config_selectorIdEEZZNS1_9scan_implILNS1_25lookback_scan_determinismE0ELb1ELb1ES3_N6thrust23THRUST_200600_302600_NS6detail15normal_iteratorINS9_10device_ptrIdEEEESE_dNS9_4plusIvEEdEEDaPvRmT3_T4_T5_mT6_P12ihipStream_tbENKUlT_T0_E_clISt17integral_constantIbLb1EESU_EEDaSP_SQ_EUlSP_E_NS1_11comp_targetILNS1_3genE9ELNS1_11target_archE1100ELNS1_3gpuE3ELNS1_3repE0EEENS1_30default_config_static_selectorELNS0_4arch9wavefront6targetE1EEEvT1_
                                        ; -- End function
	.section	.AMDGPU.csdata,"",@progbits
; Kernel info:
; codeLenInByte = 0
; NumSgprs: 4
; NumVgprs: 0
; NumAgprs: 0
; TotalNumVgprs: 0
; ScratchSize: 0
; MemoryBound: 0
; FloatMode: 240
; IeeeMode: 1
; LDSByteSize: 0 bytes/workgroup (compile time only)
; SGPRBlocks: 0
; VGPRBlocks: 0
; NumSGPRsForWavesPerEU: 4
; NumVGPRsForWavesPerEU: 1
; AccumOffset: 4
; Occupancy: 8
; WaveLimiterHint : 0
; COMPUTE_PGM_RSRC2:SCRATCH_EN: 0
; COMPUTE_PGM_RSRC2:USER_SGPR: 6
; COMPUTE_PGM_RSRC2:TRAP_HANDLER: 0
; COMPUTE_PGM_RSRC2:TGID_X_EN: 1
; COMPUTE_PGM_RSRC2:TGID_Y_EN: 0
; COMPUTE_PGM_RSRC2:TGID_Z_EN: 0
; COMPUTE_PGM_RSRC2:TIDIG_COMP_CNT: 0
; COMPUTE_PGM_RSRC3_GFX90A:ACCUM_OFFSET: 0
; COMPUTE_PGM_RSRC3_GFX90A:TG_SPLIT: 0
	.section	.text._ZN7rocprim17ROCPRIM_400000_NS6detail17trampoline_kernelINS0_14default_configENS1_20scan_config_selectorIdEEZZNS1_9scan_implILNS1_25lookback_scan_determinismE0ELb1ELb1ES3_N6thrust23THRUST_200600_302600_NS6detail15normal_iteratorINS9_10device_ptrIdEEEESE_dNS9_4plusIvEEdEEDaPvRmT3_T4_T5_mT6_P12ihipStream_tbENKUlT_T0_E_clISt17integral_constantIbLb1EESU_EEDaSP_SQ_EUlSP_E_NS1_11comp_targetILNS1_3genE8ELNS1_11target_archE1030ELNS1_3gpuE2ELNS1_3repE0EEENS1_30default_config_static_selectorELNS0_4arch9wavefront6targetE1EEEvT1_,"axG",@progbits,_ZN7rocprim17ROCPRIM_400000_NS6detail17trampoline_kernelINS0_14default_configENS1_20scan_config_selectorIdEEZZNS1_9scan_implILNS1_25lookback_scan_determinismE0ELb1ELb1ES3_N6thrust23THRUST_200600_302600_NS6detail15normal_iteratorINS9_10device_ptrIdEEEESE_dNS9_4plusIvEEdEEDaPvRmT3_T4_T5_mT6_P12ihipStream_tbENKUlT_T0_E_clISt17integral_constantIbLb1EESU_EEDaSP_SQ_EUlSP_E_NS1_11comp_targetILNS1_3genE8ELNS1_11target_archE1030ELNS1_3gpuE2ELNS1_3repE0EEENS1_30default_config_static_selectorELNS0_4arch9wavefront6targetE1EEEvT1_,comdat
	.protected	_ZN7rocprim17ROCPRIM_400000_NS6detail17trampoline_kernelINS0_14default_configENS1_20scan_config_selectorIdEEZZNS1_9scan_implILNS1_25lookback_scan_determinismE0ELb1ELb1ES3_N6thrust23THRUST_200600_302600_NS6detail15normal_iteratorINS9_10device_ptrIdEEEESE_dNS9_4plusIvEEdEEDaPvRmT3_T4_T5_mT6_P12ihipStream_tbENKUlT_T0_E_clISt17integral_constantIbLb1EESU_EEDaSP_SQ_EUlSP_E_NS1_11comp_targetILNS1_3genE8ELNS1_11target_archE1030ELNS1_3gpuE2ELNS1_3repE0EEENS1_30default_config_static_selectorELNS0_4arch9wavefront6targetE1EEEvT1_ ; -- Begin function _ZN7rocprim17ROCPRIM_400000_NS6detail17trampoline_kernelINS0_14default_configENS1_20scan_config_selectorIdEEZZNS1_9scan_implILNS1_25lookback_scan_determinismE0ELb1ELb1ES3_N6thrust23THRUST_200600_302600_NS6detail15normal_iteratorINS9_10device_ptrIdEEEESE_dNS9_4plusIvEEdEEDaPvRmT3_T4_T5_mT6_P12ihipStream_tbENKUlT_T0_E_clISt17integral_constantIbLb1EESU_EEDaSP_SQ_EUlSP_E_NS1_11comp_targetILNS1_3genE8ELNS1_11target_archE1030ELNS1_3gpuE2ELNS1_3repE0EEENS1_30default_config_static_selectorELNS0_4arch9wavefront6targetE1EEEvT1_
	.globl	_ZN7rocprim17ROCPRIM_400000_NS6detail17trampoline_kernelINS0_14default_configENS1_20scan_config_selectorIdEEZZNS1_9scan_implILNS1_25lookback_scan_determinismE0ELb1ELb1ES3_N6thrust23THRUST_200600_302600_NS6detail15normal_iteratorINS9_10device_ptrIdEEEESE_dNS9_4plusIvEEdEEDaPvRmT3_T4_T5_mT6_P12ihipStream_tbENKUlT_T0_E_clISt17integral_constantIbLb1EESU_EEDaSP_SQ_EUlSP_E_NS1_11comp_targetILNS1_3genE8ELNS1_11target_archE1030ELNS1_3gpuE2ELNS1_3repE0EEENS1_30default_config_static_selectorELNS0_4arch9wavefront6targetE1EEEvT1_
	.p2align	8
	.type	_ZN7rocprim17ROCPRIM_400000_NS6detail17trampoline_kernelINS0_14default_configENS1_20scan_config_selectorIdEEZZNS1_9scan_implILNS1_25lookback_scan_determinismE0ELb1ELb1ES3_N6thrust23THRUST_200600_302600_NS6detail15normal_iteratorINS9_10device_ptrIdEEEESE_dNS9_4plusIvEEdEEDaPvRmT3_T4_T5_mT6_P12ihipStream_tbENKUlT_T0_E_clISt17integral_constantIbLb1EESU_EEDaSP_SQ_EUlSP_E_NS1_11comp_targetILNS1_3genE8ELNS1_11target_archE1030ELNS1_3gpuE2ELNS1_3repE0EEENS1_30default_config_static_selectorELNS0_4arch9wavefront6targetE1EEEvT1_,@function
_ZN7rocprim17ROCPRIM_400000_NS6detail17trampoline_kernelINS0_14default_configENS1_20scan_config_selectorIdEEZZNS1_9scan_implILNS1_25lookback_scan_determinismE0ELb1ELb1ES3_N6thrust23THRUST_200600_302600_NS6detail15normal_iteratorINS9_10device_ptrIdEEEESE_dNS9_4plusIvEEdEEDaPvRmT3_T4_T5_mT6_P12ihipStream_tbENKUlT_T0_E_clISt17integral_constantIbLb1EESU_EEDaSP_SQ_EUlSP_E_NS1_11comp_targetILNS1_3genE8ELNS1_11target_archE1030ELNS1_3gpuE2ELNS1_3repE0EEENS1_30default_config_static_selectorELNS0_4arch9wavefront6targetE1EEEvT1_: ; @_ZN7rocprim17ROCPRIM_400000_NS6detail17trampoline_kernelINS0_14default_configENS1_20scan_config_selectorIdEEZZNS1_9scan_implILNS1_25lookback_scan_determinismE0ELb1ELb1ES3_N6thrust23THRUST_200600_302600_NS6detail15normal_iteratorINS9_10device_ptrIdEEEESE_dNS9_4plusIvEEdEEDaPvRmT3_T4_T5_mT6_P12ihipStream_tbENKUlT_T0_E_clISt17integral_constantIbLb1EESU_EEDaSP_SQ_EUlSP_E_NS1_11comp_targetILNS1_3genE8ELNS1_11target_archE1030ELNS1_3gpuE2ELNS1_3repE0EEENS1_30default_config_static_selectorELNS0_4arch9wavefront6targetE1EEEvT1_
; %bb.0:
	.section	.rodata,"a",@progbits
	.p2align	6, 0x0
	.amdhsa_kernel _ZN7rocprim17ROCPRIM_400000_NS6detail17trampoline_kernelINS0_14default_configENS1_20scan_config_selectorIdEEZZNS1_9scan_implILNS1_25lookback_scan_determinismE0ELb1ELb1ES3_N6thrust23THRUST_200600_302600_NS6detail15normal_iteratorINS9_10device_ptrIdEEEESE_dNS9_4plusIvEEdEEDaPvRmT3_T4_T5_mT6_P12ihipStream_tbENKUlT_T0_E_clISt17integral_constantIbLb1EESU_EEDaSP_SQ_EUlSP_E_NS1_11comp_targetILNS1_3genE8ELNS1_11target_archE1030ELNS1_3gpuE2ELNS1_3repE0EEENS1_30default_config_static_selectorELNS0_4arch9wavefront6targetE1EEEvT1_
		.amdhsa_group_segment_fixed_size 0
		.amdhsa_private_segment_fixed_size 0
		.amdhsa_kernarg_size 104
		.amdhsa_user_sgpr_count 6
		.amdhsa_user_sgpr_private_segment_buffer 1
		.amdhsa_user_sgpr_dispatch_ptr 0
		.amdhsa_user_sgpr_queue_ptr 0
		.amdhsa_user_sgpr_kernarg_segment_ptr 1
		.amdhsa_user_sgpr_dispatch_id 0
		.amdhsa_user_sgpr_flat_scratch_init 0
		.amdhsa_user_sgpr_kernarg_preload_length 0
		.amdhsa_user_sgpr_kernarg_preload_offset 0
		.amdhsa_user_sgpr_private_segment_size 0
		.amdhsa_uses_dynamic_stack 0
		.amdhsa_system_sgpr_private_segment_wavefront_offset 0
		.amdhsa_system_sgpr_workgroup_id_x 1
		.amdhsa_system_sgpr_workgroup_id_y 0
		.amdhsa_system_sgpr_workgroup_id_z 0
		.amdhsa_system_sgpr_workgroup_info 0
		.amdhsa_system_vgpr_workitem_id 0
		.amdhsa_next_free_vgpr 1
		.amdhsa_next_free_sgpr 0
		.amdhsa_accum_offset 4
		.amdhsa_reserve_vcc 0
		.amdhsa_reserve_flat_scratch 0
		.amdhsa_float_round_mode_32 0
		.amdhsa_float_round_mode_16_64 0
		.amdhsa_float_denorm_mode_32 3
		.amdhsa_float_denorm_mode_16_64 3
		.amdhsa_dx10_clamp 1
		.amdhsa_ieee_mode 1
		.amdhsa_fp16_overflow 0
		.amdhsa_tg_split 0
		.amdhsa_exception_fp_ieee_invalid_op 0
		.amdhsa_exception_fp_denorm_src 0
		.amdhsa_exception_fp_ieee_div_zero 0
		.amdhsa_exception_fp_ieee_overflow 0
		.amdhsa_exception_fp_ieee_underflow 0
		.amdhsa_exception_fp_ieee_inexact 0
		.amdhsa_exception_int_div_zero 0
	.end_amdhsa_kernel
	.section	.text._ZN7rocprim17ROCPRIM_400000_NS6detail17trampoline_kernelINS0_14default_configENS1_20scan_config_selectorIdEEZZNS1_9scan_implILNS1_25lookback_scan_determinismE0ELb1ELb1ES3_N6thrust23THRUST_200600_302600_NS6detail15normal_iteratorINS9_10device_ptrIdEEEESE_dNS9_4plusIvEEdEEDaPvRmT3_T4_T5_mT6_P12ihipStream_tbENKUlT_T0_E_clISt17integral_constantIbLb1EESU_EEDaSP_SQ_EUlSP_E_NS1_11comp_targetILNS1_3genE8ELNS1_11target_archE1030ELNS1_3gpuE2ELNS1_3repE0EEENS1_30default_config_static_selectorELNS0_4arch9wavefront6targetE1EEEvT1_,"axG",@progbits,_ZN7rocprim17ROCPRIM_400000_NS6detail17trampoline_kernelINS0_14default_configENS1_20scan_config_selectorIdEEZZNS1_9scan_implILNS1_25lookback_scan_determinismE0ELb1ELb1ES3_N6thrust23THRUST_200600_302600_NS6detail15normal_iteratorINS9_10device_ptrIdEEEESE_dNS9_4plusIvEEdEEDaPvRmT3_T4_T5_mT6_P12ihipStream_tbENKUlT_T0_E_clISt17integral_constantIbLb1EESU_EEDaSP_SQ_EUlSP_E_NS1_11comp_targetILNS1_3genE8ELNS1_11target_archE1030ELNS1_3gpuE2ELNS1_3repE0EEENS1_30default_config_static_selectorELNS0_4arch9wavefront6targetE1EEEvT1_,comdat
.Lfunc_end4240:
	.size	_ZN7rocprim17ROCPRIM_400000_NS6detail17trampoline_kernelINS0_14default_configENS1_20scan_config_selectorIdEEZZNS1_9scan_implILNS1_25lookback_scan_determinismE0ELb1ELb1ES3_N6thrust23THRUST_200600_302600_NS6detail15normal_iteratorINS9_10device_ptrIdEEEESE_dNS9_4plusIvEEdEEDaPvRmT3_T4_T5_mT6_P12ihipStream_tbENKUlT_T0_E_clISt17integral_constantIbLb1EESU_EEDaSP_SQ_EUlSP_E_NS1_11comp_targetILNS1_3genE8ELNS1_11target_archE1030ELNS1_3gpuE2ELNS1_3repE0EEENS1_30default_config_static_selectorELNS0_4arch9wavefront6targetE1EEEvT1_, .Lfunc_end4240-_ZN7rocprim17ROCPRIM_400000_NS6detail17trampoline_kernelINS0_14default_configENS1_20scan_config_selectorIdEEZZNS1_9scan_implILNS1_25lookback_scan_determinismE0ELb1ELb1ES3_N6thrust23THRUST_200600_302600_NS6detail15normal_iteratorINS9_10device_ptrIdEEEESE_dNS9_4plusIvEEdEEDaPvRmT3_T4_T5_mT6_P12ihipStream_tbENKUlT_T0_E_clISt17integral_constantIbLb1EESU_EEDaSP_SQ_EUlSP_E_NS1_11comp_targetILNS1_3genE8ELNS1_11target_archE1030ELNS1_3gpuE2ELNS1_3repE0EEENS1_30default_config_static_selectorELNS0_4arch9wavefront6targetE1EEEvT1_
                                        ; -- End function
	.section	.AMDGPU.csdata,"",@progbits
; Kernel info:
; codeLenInByte = 0
; NumSgprs: 4
; NumVgprs: 0
; NumAgprs: 0
; TotalNumVgprs: 0
; ScratchSize: 0
; MemoryBound: 0
; FloatMode: 240
; IeeeMode: 1
; LDSByteSize: 0 bytes/workgroup (compile time only)
; SGPRBlocks: 0
; VGPRBlocks: 0
; NumSGPRsForWavesPerEU: 4
; NumVGPRsForWavesPerEU: 1
; AccumOffset: 4
; Occupancy: 8
; WaveLimiterHint : 0
; COMPUTE_PGM_RSRC2:SCRATCH_EN: 0
; COMPUTE_PGM_RSRC2:USER_SGPR: 6
; COMPUTE_PGM_RSRC2:TRAP_HANDLER: 0
; COMPUTE_PGM_RSRC2:TGID_X_EN: 1
; COMPUTE_PGM_RSRC2:TGID_Y_EN: 0
; COMPUTE_PGM_RSRC2:TGID_Z_EN: 0
; COMPUTE_PGM_RSRC2:TIDIG_COMP_CNT: 0
; COMPUTE_PGM_RSRC3_GFX90A:ACCUM_OFFSET: 0
; COMPUTE_PGM_RSRC3_GFX90A:TG_SPLIT: 0
	.section	.text._ZN7rocprim17ROCPRIM_400000_NS6detail17trampoline_kernelINS0_14default_configENS1_20scan_config_selectorIdEEZZNS1_9scan_implILNS1_25lookback_scan_determinismE0ELb1ELb1ES3_N6thrust23THRUST_200600_302600_NS6detail15normal_iteratorINS9_10device_ptrIdEEEESE_dNS9_4plusIvEEdEEDaPvRmT3_T4_T5_mT6_P12ihipStream_tbENKUlT_T0_E_clISt17integral_constantIbLb1EESU_EEDaSP_SQ_EUlSP_E0_NS1_11comp_targetILNS1_3genE0ELNS1_11target_archE4294967295ELNS1_3gpuE0ELNS1_3repE0EEENS1_30default_config_static_selectorELNS0_4arch9wavefront6targetE1EEEvT1_,"axG",@progbits,_ZN7rocprim17ROCPRIM_400000_NS6detail17trampoline_kernelINS0_14default_configENS1_20scan_config_selectorIdEEZZNS1_9scan_implILNS1_25lookback_scan_determinismE0ELb1ELb1ES3_N6thrust23THRUST_200600_302600_NS6detail15normal_iteratorINS9_10device_ptrIdEEEESE_dNS9_4plusIvEEdEEDaPvRmT3_T4_T5_mT6_P12ihipStream_tbENKUlT_T0_E_clISt17integral_constantIbLb1EESU_EEDaSP_SQ_EUlSP_E0_NS1_11comp_targetILNS1_3genE0ELNS1_11target_archE4294967295ELNS1_3gpuE0ELNS1_3repE0EEENS1_30default_config_static_selectorELNS0_4arch9wavefront6targetE1EEEvT1_,comdat
	.protected	_ZN7rocprim17ROCPRIM_400000_NS6detail17trampoline_kernelINS0_14default_configENS1_20scan_config_selectorIdEEZZNS1_9scan_implILNS1_25lookback_scan_determinismE0ELb1ELb1ES3_N6thrust23THRUST_200600_302600_NS6detail15normal_iteratorINS9_10device_ptrIdEEEESE_dNS9_4plusIvEEdEEDaPvRmT3_T4_T5_mT6_P12ihipStream_tbENKUlT_T0_E_clISt17integral_constantIbLb1EESU_EEDaSP_SQ_EUlSP_E0_NS1_11comp_targetILNS1_3genE0ELNS1_11target_archE4294967295ELNS1_3gpuE0ELNS1_3repE0EEENS1_30default_config_static_selectorELNS0_4arch9wavefront6targetE1EEEvT1_ ; -- Begin function _ZN7rocprim17ROCPRIM_400000_NS6detail17trampoline_kernelINS0_14default_configENS1_20scan_config_selectorIdEEZZNS1_9scan_implILNS1_25lookback_scan_determinismE0ELb1ELb1ES3_N6thrust23THRUST_200600_302600_NS6detail15normal_iteratorINS9_10device_ptrIdEEEESE_dNS9_4plusIvEEdEEDaPvRmT3_T4_T5_mT6_P12ihipStream_tbENKUlT_T0_E_clISt17integral_constantIbLb1EESU_EEDaSP_SQ_EUlSP_E0_NS1_11comp_targetILNS1_3genE0ELNS1_11target_archE4294967295ELNS1_3gpuE0ELNS1_3repE0EEENS1_30default_config_static_selectorELNS0_4arch9wavefront6targetE1EEEvT1_
	.globl	_ZN7rocprim17ROCPRIM_400000_NS6detail17trampoline_kernelINS0_14default_configENS1_20scan_config_selectorIdEEZZNS1_9scan_implILNS1_25lookback_scan_determinismE0ELb1ELb1ES3_N6thrust23THRUST_200600_302600_NS6detail15normal_iteratorINS9_10device_ptrIdEEEESE_dNS9_4plusIvEEdEEDaPvRmT3_T4_T5_mT6_P12ihipStream_tbENKUlT_T0_E_clISt17integral_constantIbLb1EESU_EEDaSP_SQ_EUlSP_E0_NS1_11comp_targetILNS1_3genE0ELNS1_11target_archE4294967295ELNS1_3gpuE0ELNS1_3repE0EEENS1_30default_config_static_selectorELNS0_4arch9wavefront6targetE1EEEvT1_
	.p2align	8
	.type	_ZN7rocprim17ROCPRIM_400000_NS6detail17trampoline_kernelINS0_14default_configENS1_20scan_config_selectorIdEEZZNS1_9scan_implILNS1_25lookback_scan_determinismE0ELb1ELb1ES3_N6thrust23THRUST_200600_302600_NS6detail15normal_iteratorINS9_10device_ptrIdEEEESE_dNS9_4plusIvEEdEEDaPvRmT3_T4_T5_mT6_P12ihipStream_tbENKUlT_T0_E_clISt17integral_constantIbLb1EESU_EEDaSP_SQ_EUlSP_E0_NS1_11comp_targetILNS1_3genE0ELNS1_11target_archE4294967295ELNS1_3gpuE0ELNS1_3repE0EEENS1_30default_config_static_selectorELNS0_4arch9wavefront6targetE1EEEvT1_,@function
_ZN7rocprim17ROCPRIM_400000_NS6detail17trampoline_kernelINS0_14default_configENS1_20scan_config_selectorIdEEZZNS1_9scan_implILNS1_25lookback_scan_determinismE0ELb1ELb1ES3_N6thrust23THRUST_200600_302600_NS6detail15normal_iteratorINS9_10device_ptrIdEEEESE_dNS9_4plusIvEEdEEDaPvRmT3_T4_T5_mT6_P12ihipStream_tbENKUlT_T0_E_clISt17integral_constantIbLb1EESU_EEDaSP_SQ_EUlSP_E0_NS1_11comp_targetILNS1_3genE0ELNS1_11target_archE4294967295ELNS1_3gpuE0ELNS1_3repE0EEENS1_30default_config_static_selectorELNS0_4arch9wavefront6targetE1EEEvT1_: ; @_ZN7rocprim17ROCPRIM_400000_NS6detail17trampoline_kernelINS0_14default_configENS1_20scan_config_selectorIdEEZZNS1_9scan_implILNS1_25lookback_scan_determinismE0ELb1ELb1ES3_N6thrust23THRUST_200600_302600_NS6detail15normal_iteratorINS9_10device_ptrIdEEEESE_dNS9_4plusIvEEdEEDaPvRmT3_T4_T5_mT6_P12ihipStream_tbENKUlT_T0_E_clISt17integral_constantIbLb1EESU_EEDaSP_SQ_EUlSP_E0_NS1_11comp_targetILNS1_3genE0ELNS1_11target_archE4294967295ELNS1_3gpuE0ELNS1_3repE0EEENS1_30default_config_static_selectorELNS0_4arch9wavefront6targetE1EEEvT1_
; %bb.0:
	.section	.rodata,"a",@progbits
	.p2align	6, 0x0
	.amdhsa_kernel _ZN7rocprim17ROCPRIM_400000_NS6detail17trampoline_kernelINS0_14default_configENS1_20scan_config_selectorIdEEZZNS1_9scan_implILNS1_25lookback_scan_determinismE0ELb1ELb1ES3_N6thrust23THRUST_200600_302600_NS6detail15normal_iteratorINS9_10device_ptrIdEEEESE_dNS9_4plusIvEEdEEDaPvRmT3_T4_T5_mT6_P12ihipStream_tbENKUlT_T0_E_clISt17integral_constantIbLb1EESU_EEDaSP_SQ_EUlSP_E0_NS1_11comp_targetILNS1_3genE0ELNS1_11target_archE4294967295ELNS1_3gpuE0ELNS1_3repE0EEENS1_30default_config_static_selectorELNS0_4arch9wavefront6targetE1EEEvT1_
		.amdhsa_group_segment_fixed_size 0
		.amdhsa_private_segment_fixed_size 0
		.amdhsa_kernarg_size 40
		.amdhsa_user_sgpr_count 6
		.amdhsa_user_sgpr_private_segment_buffer 1
		.amdhsa_user_sgpr_dispatch_ptr 0
		.amdhsa_user_sgpr_queue_ptr 0
		.amdhsa_user_sgpr_kernarg_segment_ptr 1
		.amdhsa_user_sgpr_dispatch_id 0
		.amdhsa_user_sgpr_flat_scratch_init 0
		.amdhsa_user_sgpr_kernarg_preload_length 0
		.amdhsa_user_sgpr_kernarg_preload_offset 0
		.amdhsa_user_sgpr_private_segment_size 0
		.amdhsa_uses_dynamic_stack 0
		.amdhsa_system_sgpr_private_segment_wavefront_offset 0
		.amdhsa_system_sgpr_workgroup_id_x 1
		.amdhsa_system_sgpr_workgroup_id_y 0
		.amdhsa_system_sgpr_workgroup_id_z 0
		.amdhsa_system_sgpr_workgroup_info 0
		.amdhsa_system_vgpr_workitem_id 0
		.amdhsa_next_free_vgpr 1
		.amdhsa_next_free_sgpr 0
		.amdhsa_accum_offset 4
		.amdhsa_reserve_vcc 0
		.amdhsa_reserve_flat_scratch 0
		.amdhsa_float_round_mode_32 0
		.amdhsa_float_round_mode_16_64 0
		.amdhsa_float_denorm_mode_32 3
		.amdhsa_float_denorm_mode_16_64 3
		.amdhsa_dx10_clamp 1
		.amdhsa_ieee_mode 1
		.amdhsa_fp16_overflow 0
		.amdhsa_tg_split 0
		.amdhsa_exception_fp_ieee_invalid_op 0
		.amdhsa_exception_fp_denorm_src 0
		.amdhsa_exception_fp_ieee_div_zero 0
		.amdhsa_exception_fp_ieee_overflow 0
		.amdhsa_exception_fp_ieee_underflow 0
		.amdhsa_exception_fp_ieee_inexact 0
		.amdhsa_exception_int_div_zero 0
	.end_amdhsa_kernel
	.section	.text._ZN7rocprim17ROCPRIM_400000_NS6detail17trampoline_kernelINS0_14default_configENS1_20scan_config_selectorIdEEZZNS1_9scan_implILNS1_25lookback_scan_determinismE0ELb1ELb1ES3_N6thrust23THRUST_200600_302600_NS6detail15normal_iteratorINS9_10device_ptrIdEEEESE_dNS9_4plusIvEEdEEDaPvRmT3_T4_T5_mT6_P12ihipStream_tbENKUlT_T0_E_clISt17integral_constantIbLb1EESU_EEDaSP_SQ_EUlSP_E0_NS1_11comp_targetILNS1_3genE0ELNS1_11target_archE4294967295ELNS1_3gpuE0ELNS1_3repE0EEENS1_30default_config_static_selectorELNS0_4arch9wavefront6targetE1EEEvT1_,"axG",@progbits,_ZN7rocprim17ROCPRIM_400000_NS6detail17trampoline_kernelINS0_14default_configENS1_20scan_config_selectorIdEEZZNS1_9scan_implILNS1_25lookback_scan_determinismE0ELb1ELb1ES3_N6thrust23THRUST_200600_302600_NS6detail15normal_iteratorINS9_10device_ptrIdEEEESE_dNS9_4plusIvEEdEEDaPvRmT3_T4_T5_mT6_P12ihipStream_tbENKUlT_T0_E_clISt17integral_constantIbLb1EESU_EEDaSP_SQ_EUlSP_E0_NS1_11comp_targetILNS1_3genE0ELNS1_11target_archE4294967295ELNS1_3gpuE0ELNS1_3repE0EEENS1_30default_config_static_selectorELNS0_4arch9wavefront6targetE1EEEvT1_,comdat
.Lfunc_end4241:
	.size	_ZN7rocprim17ROCPRIM_400000_NS6detail17trampoline_kernelINS0_14default_configENS1_20scan_config_selectorIdEEZZNS1_9scan_implILNS1_25lookback_scan_determinismE0ELb1ELb1ES3_N6thrust23THRUST_200600_302600_NS6detail15normal_iteratorINS9_10device_ptrIdEEEESE_dNS9_4plusIvEEdEEDaPvRmT3_T4_T5_mT6_P12ihipStream_tbENKUlT_T0_E_clISt17integral_constantIbLb1EESU_EEDaSP_SQ_EUlSP_E0_NS1_11comp_targetILNS1_3genE0ELNS1_11target_archE4294967295ELNS1_3gpuE0ELNS1_3repE0EEENS1_30default_config_static_selectorELNS0_4arch9wavefront6targetE1EEEvT1_, .Lfunc_end4241-_ZN7rocprim17ROCPRIM_400000_NS6detail17trampoline_kernelINS0_14default_configENS1_20scan_config_selectorIdEEZZNS1_9scan_implILNS1_25lookback_scan_determinismE0ELb1ELb1ES3_N6thrust23THRUST_200600_302600_NS6detail15normal_iteratorINS9_10device_ptrIdEEEESE_dNS9_4plusIvEEdEEDaPvRmT3_T4_T5_mT6_P12ihipStream_tbENKUlT_T0_E_clISt17integral_constantIbLb1EESU_EEDaSP_SQ_EUlSP_E0_NS1_11comp_targetILNS1_3genE0ELNS1_11target_archE4294967295ELNS1_3gpuE0ELNS1_3repE0EEENS1_30default_config_static_selectorELNS0_4arch9wavefront6targetE1EEEvT1_
                                        ; -- End function
	.section	.AMDGPU.csdata,"",@progbits
; Kernel info:
; codeLenInByte = 0
; NumSgprs: 4
; NumVgprs: 0
; NumAgprs: 0
; TotalNumVgprs: 0
; ScratchSize: 0
; MemoryBound: 0
; FloatMode: 240
; IeeeMode: 1
; LDSByteSize: 0 bytes/workgroup (compile time only)
; SGPRBlocks: 0
; VGPRBlocks: 0
; NumSGPRsForWavesPerEU: 4
; NumVGPRsForWavesPerEU: 1
; AccumOffset: 4
; Occupancy: 8
; WaveLimiterHint : 0
; COMPUTE_PGM_RSRC2:SCRATCH_EN: 0
; COMPUTE_PGM_RSRC2:USER_SGPR: 6
; COMPUTE_PGM_RSRC2:TRAP_HANDLER: 0
; COMPUTE_PGM_RSRC2:TGID_X_EN: 1
; COMPUTE_PGM_RSRC2:TGID_Y_EN: 0
; COMPUTE_PGM_RSRC2:TGID_Z_EN: 0
; COMPUTE_PGM_RSRC2:TIDIG_COMP_CNT: 0
; COMPUTE_PGM_RSRC3_GFX90A:ACCUM_OFFSET: 0
; COMPUTE_PGM_RSRC3_GFX90A:TG_SPLIT: 0
	.section	.text._ZN7rocprim17ROCPRIM_400000_NS6detail17trampoline_kernelINS0_14default_configENS1_20scan_config_selectorIdEEZZNS1_9scan_implILNS1_25lookback_scan_determinismE0ELb1ELb1ES3_N6thrust23THRUST_200600_302600_NS6detail15normal_iteratorINS9_10device_ptrIdEEEESE_dNS9_4plusIvEEdEEDaPvRmT3_T4_T5_mT6_P12ihipStream_tbENKUlT_T0_E_clISt17integral_constantIbLb1EESU_EEDaSP_SQ_EUlSP_E0_NS1_11comp_targetILNS1_3genE5ELNS1_11target_archE942ELNS1_3gpuE9ELNS1_3repE0EEENS1_30default_config_static_selectorELNS0_4arch9wavefront6targetE1EEEvT1_,"axG",@progbits,_ZN7rocprim17ROCPRIM_400000_NS6detail17trampoline_kernelINS0_14default_configENS1_20scan_config_selectorIdEEZZNS1_9scan_implILNS1_25lookback_scan_determinismE0ELb1ELb1ES3_N6thrust23THRUST_200600_302600_NS6detail15normal_iteratorINS9_10device_ptrIdEEEESE_dNS9_4plusIvEEdEEDaPvRmT3_T4_T5_mT6_P12ihipStream_tbENKUlT_T0_E_clISt17integral_constantIbLb1EESU_EEDaSP_SQ_EUlSP_E0_NS1_11comp_targetILNS1_3genE5ELNS1_11target_archE942ELNS1_3gpuE9ELNS1_3repE0EEENS1_30default_config_static_selectorELNS0_4arch9wavefront6targetE1EEEvT1_,comdat
	.protected	_ZN7rocprim17ROCPRIM_400000_NS6detail17trampoline_kernelINS0_14default_configENS1_20scan_config_selectorIdEEZZNS1_9scan_implILNS1_25lookback_scan_determinismE0ELb1ELb1ES3_N6thrust23THRUST_200600_302600_NS6detail15normal_iteratorINS9_10device_ptrIdEEEESE_dNS9_4plusIvEEdEEDaPvRmT3_T4_T5_mT6_P12ihipStream_tbENKUlT_T0_E_clISt17integral_constantIbLb1EESU_EEDaSP_SQ_EUlSP_E0_NS1_11comp_targetILNS1_3genE5ELNS1_11target_archE942ELNS1_3gpuE9ELNS1_3repE0EEENS1_30default_config_static_selectorELNS0_4arch9wavefront6targetE1EEEvT1_ ; -- Begin function _ZN7rocprim17ROCPRIM_400000_NS6detail17trampoline_kernelINS0_14default_configENS1_20scan_config_selectorIdEEZZNS1_9scan_implILNS1_25lookback_scan_determinismE0ELb1ELb1ES3_N6thrust23THRUST_200600_302600_NS6detail15normal_iteratorINS9_10device_ptrIdEEEESE_dNS9_4plusIvEEdEEDaPvRmT3_T4_T5_mT6_P12ihipStream_tbENKUlT_T0_E_clISt17integral_constantIbLb1EESU_EEDaSP_SQ_EUlSP_E0_NS1_11comp_targetILNS1_3genE5ELNS1_11target_archE942ELNS1_3gpuE9ELNS1_3repE0EEENS1_30default_config_static_selectorELNS0_4arch9wavefront6targetE1EEEvT1_
	.globl	_ZN7rocprim17ROCPRIM_400000_NS6detail17trampoline_kernelINS0_14default_configENS1_20scan_config_selectorIdEEZZNS1_9scan_implILNS1_25lookback_scan_determinismE0ELb1ELb1ES3_N6thrust23THRUST_200600_302600_NS6detail15normal_iteratorINS9_10device_ptrIdEEEESE_dNS9_4plusIvEEdEEDaPvRmT3_T4_T5_mT6_P12ihipStream_tbENKUlT_T0_E_clISt17integral_constantIbLb1EESU_EEDaSP_SQ_EUlSP_E0_NS1_11comp_targetILNS1_3genE5ELNS1_11target_archE942ELNS1_3gpuE9ELNS1_3repE0EEENS1_30default_config_static_selectorELNS0_4arch9wavefront6targetE1EEEvT1_
	.p2align	8
	.type	_ZN7rocprim17ROCPRIM_400000_NS6detail17trampoline_kernelINS0_14default_configENS1_20scan_config_selectorIdEEZZNS1_9scan_implILNS1_25lookback_scan_determinismE0ELb1ELb1ES3_N6thrust23THRUST_200600_302600_NS6detail15normal_iteratorINS9_10device_ptrIdEEEESE_dNS9_4plusIvEEdEEDaPvRmT3_T4_T5_mT6_P12ihipStream_tbENKUlT_T0_E_clISt17integral_constantIbLb1EESU_EEDaSP_SQ_EUlSP_E0_NS1_11comp_targetILNS1_3genE5ELNS1_11target_archE942ELNS1_3gpuE9ELNS1_3repE0EEENS1_30default_config_static_selectorELNS0_4arch9wavefront6targetE1EEEvT1_,@function
_ZN7rocprim17ROCPRIM_400000_NS6detail17trampoline_kernelINS0_14default_configENS1_20scan_config_selectorIdEEZZNS1_9scan_implILNS1_25lookback_scan_determinismE0ELb1ELb1ES3_N6thrust23THRUST_200600_302600_NS6detail15normal_iteratorINS9_10device_ptrIdEEEESE_dNS9_4plusIvEEdEEDaPvRmT3_T4_T5_mT6_P12ihipStream_tbENKUlT_T0_E_clISt17integral_constantIbLb1EESU_EEDaSP_SQ_EUlSP_E0_NS1_11comp_targetILNS1_3genE5ELNS1_11target_archE942ELNS1_3gpuE9ELNS1_3repE0EEENS1_30default_config_static_selectorELNS0_4arch9wavefront6targetE1EEEvT1_: ; @_ZN7rocprim17ROCPRIM_400000_NS6detail17trampoline_kernelINS0_14default_configENS1_20scan_config_selectorIdEEZZNS1_9scan_implILNS1_25lookback_scan_determinismE0ELb1ELb1ES3_N6thrust23THRUST_200600_302600_NS6detail15normal_iteratorINS9_10device_ptrIdEEEESE_dNS9_4plusIvEEdEEDaPvRmT3_T4_T5_mT6_P12ihipStream_tbENKUlT_T0_E_clISt17integral_constantIbLb1EESU_EEDaSP_SQ_EUlSP_E0_NS1_11comp_targetILNS1_3genE5ELNS1_11target_archE942ELNS1_3gpuE9ELNS1_3repE0EEENS1_30default_config_static_selectorELNS0_4arch9wavefront6targetE1EEEvT1_
; %bb.0:
	.section	.rodata,"a",@progbits
	.p2align	6, 0x0
	.amdhsa_kernel _ZN7rocprim17ROCPRIM_400000_NS6detail17trampoline_kernelINS0_14default_configENS1_20scan_config_selectorIdEEZZNS1_9scan_implILNS1_25lookback_scan_determinismE0ELb1ELb1ES3_N6thrust23THRUST_200600_302600_NS6detail15normal_iteratorINS9_10device_ptrIdEEEESE_dNS9_4plusIvEEdEEDaPvRmT3_T4_T5_mT6_P12ihipStream_tbENKUlT_T0_E_clISt17integral_constantIbLb1EESU_EEDaSP_SQ_EUlSP_E0_NS1_11comp_targetILNS1_3genE5ELNS1_11target_archE942ELNS1_3gpuE9ELNS1_3repE0EEENS1_30default_config_static_selectorELNS0_4arch9wavefront6targetE1EEEvT1_
		.amdhsa_group_segment_fixed_size 0
		.amdhsa_private_segment_fixed_size 0
		.amdhsa_kernarg_size 40
		.amdhsa_user_sgpr_count 6
		.amdhsa_user_sgpr_private_segment_buffer 1
		.amdhsa_user_sgpr_dispatch_ptr 0
		.amdhsa_user_sgpr_queue_ptr 0
		.amdhsa_user_sgpr_kernarg_segment_ptr 1
		.amdhsa_user_sgpr_dispatch_id 0
		.amdhsa_user_sgpr_flat_scratch_init 0
		.amdhsa_user_sgpr_kernarg_preload_length 0
		.amdhsa_user_sgpr_kernarg_preload_offset 0
		.amdhsa_user_sgpr_private_segment_size 0
		.amdhsa_uses_dynamic_stack 0
		.amdhsa_system_sgpr_private_segment_wavefront_offset 0
		.amdhsa_system_sgpr_workgroup_id_x 1
		.amdhsa_system_sgpr_workgroup_id_y 0
		.amdhsa_system_sgpr_workgroup_id_z 0
		.amdhsa_system_sgpr_workgroup_info 0
		.amdhsa_system_vgpr_workitem_id 0
		.amdhsa_next_free_vgpr 1
		.amdhsa_next_free_sgpr 0
		.amdhsa_accum_offset 4
		.amdhsa_reserve_vcc 0
		.amdhsa_reserve_flat_scratch 0
		.amdhsa_float_round_mode_32 0
		.amdhsa_float_round_mode_16_64 0
		.amdhsa_float_denorm_mode_32 3
		.amdhsa_float_denorm_mode_16_64 3
		.amdhsa_dx10_clamp 1
		.amdhsa_ieee_mode 1
		.amdhsa_fp16_overflow 0
		.amdhsa_tg_split 0
		.amdhsa_exception_fp_ieee_invalid_op 0
		.amdhsa_exception_fp_denorm_src 0
		.amdhsa_exception_fp_ieee_div_zero 0
		.amdhsa_exception_fp_ieee_overflow 0
		.amdhsa_exception_fp_ieee_underflow 0
		.amdhsa_exception_fp_ieee_inexact 0
		.amdhsa_exception_int_div_zero 0
	.end_amdhsa_kernel
	.section	.text._ZN7rocprim17ROCPRIM_400000_NS6detail17trampoline_kernelINS0_14default_configENS1_20scan_config_selectorIdEEZZNS1_9scan_implILNS1_25lookback_scan_determinismE0ELb1ELb1ES3_N6thrust23THRUST_200600_302600_NS6detail15normal_iteratorINS9_10device_ptrIdEEEESE_dNS9_4plusIvEEdEEDaPvRmT3_T4_T5_mT6_P12ihipStream_tbENKUlT_T0_E_clISt17integral_constantIbLb1EESU_EEDaSP_SQ_EUlSP_E0_NS1_11comp_targetILNS1_3genE5ELNS1_11target_archE942ELNS1_3gpuE9ELNS1_3repE0EEENS1_30default_config_static_selectorELNS0_4arch9wavefront6targetE1EEEvT1_,"axG",@progbits,_ZN7rocprim17ROCPRIM_400000_NS6detail17trampoline_kernelINS0_14default_configENS1_20scan_config_selectorIdEEZZNS1_9scan_implILNS1_25lookback_scan_determinismE0ELb1ELb1ES3_N6thrust23THRUST_200600_302600_NS6detail15normal_iteratorINS9_10device_ptrIdEEEESE_dNS9_4plusIvEEdEEDaPvRmT3_T4_T5_mT6_P12ihipStream_tbENKUlT_T0_E_clISt17integral_constantIbLb1EESU_EEDaSP_SQ_EUlSP_E0_NS1_11comp_targetILNS1_3genE5ELNS1_11target_archE942ELNS1_3gpuE9ELNS1_3repE0EEENS1_30default_config_static_selectorELNS0_4arch9wavefront6targetE1EEEvT1_,comdat
.Lfunc_end4242:
	.size	_ZN7rocprim17ROCPRIM_400000_NS6detail17trampoline_kernelINS0_14default_configENS1_20scan_config_selectorIdEEZZNS1_9scan_implILNS1_25lookback_scan_determinismE0ELb1ELb1ES3_N6thrust23THRUST_200600_302600_NS6detail15normal_iteratorINS9_10device_ptrIdEEEESE_dNS9_4plusIvEEdEEDaPvRmT3_T4_T5_mT6_P12ihipStream_tbENKUlT_T0_E_clISt17integral_constantIbLb1EESU_EEDaSP_SQ_EUlSP_E0_NS1_11comp_targetILNS1_3genE5ELNS1_11target_archE942ELNS1_3gpuE9ELNS1_3repE0EEENS1_30default_config_static_selectorELNS0_4arch9wavefront6targetE1EEEvT1_, .Lfunc_end4242-_ZN7rocprim17ROCPRIM_400000_NS6detail17trampoline_kernelINS0_14default_configENS1_20scan_config_selectorIdEEZZNS1_9scan_implILNS1_25lookback_scan_determinismE0ELb1ELb1ES3_N6thrust23THRUST_200600_302600_NS6detail15normal_iteratorINS9_10device_ptrIdEEEESE_dNS9_4plusIvEEdEEDaPvRmT3_T4_T5_mT6_P12ihipStream_tbENKUlT_T0_E_clISt17integral_constantIbLb1EESU_EEDaSP_SQ_EUlSP_E0_NS1_11comp_targetILNS1_3genE5ELNS1_11target_archE942ELNS1_3gpuE9ELNS1_3repE0EEENS1_30default_config_static_selectorELNS0_4arch9wavefront6targetE1EEEvT1_
                                        ; -- End function
	.section	.AMDGPU.csdata,"",@progbits
; Kernel info:
; codeLenInByte = 0
; NumSgprs: 4
; NumVgprs: 0
; NumAgprs: 0
; TotalNumVgprs: 0
; ScratchSize: 0
; MemoryBound: 0
; FloatMode: 240
; IeeeMode: 1
; LDSByteSize: 0 bytes/workgroup (compile time only)
; SGPRBlocks: 0
; VGPRBlocks: 0
; NumSGPRsForWavesPerEU: 4
; NumVGPRsForWavesPerEU: 1
; AccumOffset: 4
; Occupancy: 8
; WaveLimiterHint : 0
; COMPUTE_PGM_RSRC2:SCRATCH_EN: 0
; COMPUTE_PGM_RSRC2:USER_SGPR: 6
; COMPUTE_PGM_RSRC2:TRAP_HANDLER: 0
; COMPUTE_PGM_RSRC2:TGID_X_EN: 1
; COMPUTE_PGM_RSRC2:TGID_Y_EN: 0
; COMPUTE_PGM_RSRC2:TGID_Z_EN: 0
; COMPUTE_PGM_RSRC2:TIDIG_COMP_CNT: 0
; COMPUTE_PGM_RSRC3_GFX90A:ACCUM_OFFSET: 0
; COMPUTE_PGM_RSRC3_GFX90A:TG_SPLIT: 0
	.section	.text._ZN7rocprim17ROCPRIM_400000_NS6detail17trampoline_kernelINS0_14default_configENS1_20scan_config_selectorIdEEZZNS1_9scan_implILNS1_25lookback_scan_determinismE0ELb1ELb1ES3_N6thrust23THRUST_200600_302600_NS6detail15normal_iteratorINS9_10device_ptrIdEEEESE_dNS9_4plusIvEEdEEDaPvRmT3_T4_T5_mT6_P12ihipStream_tbENKUlT_T0_E_clISt17integral_constantIbLb1EESU_EEDaSP_SQ_EUlSP_E0_NS1_11comp_targetILNS1_3genE4ELNS1_11target_archE910ELNS1_3gpuE8ELNS1_3repE0EEENS1_30default_config_static_selectorELNS0_4arch9wavefront6targetE1EEEvT1_,"axG",@progbits,_ZN7rocprim17ROCPRIM_400000_NS6detail17trampoline_kernelINS0_14default_configENS1_20scan_config_selectorIdEEZZNS1_9scan_implILNS1_25lookback_scan_determinismE0ELb1ELb1ES3_N6thrust23THRUST_200600_302600_NS6detail15normal_iteratorINS9_10device_ptrIdEEEESE_dNS9_4plusIvEEdEEDaPvRmT3_T4_T5_mT6_P12ihipStream_tbENKUlT_T0_E_clISt17integral_constantIbLb1EESU_EEDaSP_SQ_EUlSP_E0_NS1_11comp_targetILNS1_3genE4ELNS1_11target_archE910ELNS1_3gpuE8ELNS1_3repE0EEENS1_30default_config_static_selectorELNS0_4arch9wavefront6targetE1EEEvT1_,comdat
	.protected	_ZN7rocprim17ROCPRIM_400000_NS6detail17trampoline_kernelINS0_14default_configENS1_20scan_config_selectorIdEEZZNS1_9scan_implILNS1_25lookback_scan_determinismE0ELb1ELb1ES3_N6thrust23THRUST_200600_302600_NS6detail15normal_iteratorINS9_10device_ptrIdEEEESE_dNS9_4plusIvEEdEEDaPvRmT3_T4_T5_mT6_P12ihipStream_tbENKUlT_T0_E_clISt17integral_constantIbLb1EESU_EEDaSP_SQ_EUlSP_E0_NS1_11comp_targetILNS1_3genE4ELNS1_11target_archE910ELNS1_3gpuE8ELNS1_3repE0EEENS1_30default_config_static_selectorELNS0_4arch9wavefront6targetE1EEEvT1_ ; -- Begin function _ZN7rocprim17ROCPRIM_400000_NS6detail17trampoline_kernelINS0_14default_configENS1_20scan_config_selectorIdEEZZNS1_9scan_implILNS1_25lookback_scan_determinismE0ELb1ELb1ES3_N6thrust23THRUST_200600_302600_NS6detail15normal_iteratorINS9_10device_ptrIdEEEESE_dNS9_4plusIvEEdEEDaPvRmT3_T4_T5_mT6_P12ihipStream_tbENKUlT_T0_E_clISt17integral_constantIbLb1EESU_EEDaSP_SQ_EUlSP_E0_NS1_11comp_targetILNS1_3genE4ELNS1_11target_archE910ELNS1_3gpuE8ELNS1_3repE0EEENS1_30default_config_static_selectorELNS0_4arch9wavefront6targetE1EEEvT1_
	.globl	_ZN7rocprim17ROCPRIM_400000_NS6detail17trampoline_kernelINS0_14default_configENS1_20scan_config_selectorIdEEZZNS1_9scan_implILNS1_25lookback_scan_determinismE0ELb1ELb1ES3_N6thrust23THRUST_200600_302600_NS6detail15normal_iteratorINS9_10device_ptrIdEEEESE_dNS9_4plusIvEEdEEDaPvRmT3_T4_T5_mT6_P12ihipStream_tbENKUlT_T0_E_clISt17integral_constantIbLb1EESU_EEDaSP_SQ_EUlSP_E0_NS1_11comp_targetILNS1_3genE4ELNS1_11target_archE910ELNS1_3gpuE8ELNS1_3repE0EEENS1_30default_config_static_selectorELNS0_4arch9wavefront6targetE1EEEvT1_
	.p2align	8
	.type	_ZN7rocprim17ROCPRIM_400000_NS6detail17trampoline_kernelINS0_14default_configENS1_20scan_config_selectorIdEEZZNS1_9scan_implILNS1_25lookback_scan_determinismE0ELb1ELb1ES3_N6thrust23THRUST_200600_302600_NS6detail15normal_iteratorINS9_10device_ptrIdEEEESE_dNS9_4plusIvEEdEEDaPvRmT3_T4_T5_mT6_P12ihipStream_tbENKUlT_T0_E_clISt17integral_constantIbLb1EESU_EEDaSP_SQ_EUlSP_E0_NS1_11comp_targetILNS1_3genE4ELNS1_11target_archE910ELNS1_3gpuE8ELNS1_3repE0EEENS1_30default_config_static_selectorELNS0_4arch9wavefront6targetE1EEEvT1_,@function
_ZN7rocprim17ROCPRIM_400000_NS6detail17trampoline_kernelINS0_14default_configENS1_20scan_config_selectorIdEEZZNS1_9scan_implILNS1_25lookback_scan_determinismE0ELb1ELb1ES3_N6thrust23THRUST_200600_302600_NS6detail15normal_iteratorINS9_10device_ptrIdEEEESE_dNS9_4plusIvEEdEEDaPvRmT3_T4_T5_mT6_P12ihipStream_tbENKUlT_T0_E_clISt17integral_constantIbLb1EESU_EEDaSP_SQ_EUlSP_E0_NS1_11comp_targetILNS1_3genE4ELNS1_11target_archE910ELNS1_3gpuE8ELNS1_3repE0EEENS1_30default_config_static_selectorELNS0_4arch9wavefront6targetE1EEEvT1_: ; @_ZN7rocprim17ROCPRIM_400000_NS6detail17trampoline_kernelINS0_14default_configENS1_20scan_config_selectorIdEEZZNS1_9scan_implILNS1_25lookback_scan_determinismE0ELb1ELb1ES3_N6thrust23THRUST_200600_302600_NS6detail15normal_iteratorINS9_10device_ptrIdEEEESE_dNS9_4plusIvEEdEEDaPvRmT3_T4_T5_mT6_P12ihipStream_tbENKUlT_T0_E_clISt17integral_constantIbLb1EESU_EEDaSP_SQ_EUlSP_E0_NS1_11comp_targetILNS1_3genE4ELNS1_11target_archE910ELNS1_3gpuE8ELNS1_3repE0EEENS1_30default_config_static_selectorELNS0_4arch9wavefront6targetE1EEEvT1_
; %bb.0:
	s_load_dwordx4 s[20:23], s[4:5], 0x0
	v_lshlrev_b32_e32 v28, 3, v0
	s_waitcnt lgkmcnt(0)
	s_load_dwordx2 s[24:25], s[20:21], 0x0
	v_cmp_gt_u32_e32 vcc, s22, v0
	s_waitcnt lgkmcnt(0)
	v_pk_mov_b32 v[2:3], s[24:25], s[24:25] op_sel:[0,1]
	s_and_saveexec_b64 s[0:1], vcc
	s_cbranch_execz .LBB4243_2
; %bb.1:
	global_load_dwordx2 v[2:3], v28, s[20:21]
.LBB4243_2:
	s_or_b64 exec, exec, s[0:1]
	v_or_b32_e32 v1, 0x80, v0
	v_cmp_gt_u32_e64 s[0:1], s22, v1
	v_pk_mov_b32 v[4:5], s[24:25], s[24:25] op_sel:[0,1]
	s_and_saveexec_b64 s[2:3], s[0:1]
	s_cbranch_execz .LBB4243_4
; %bb.3:
	global_load_dwordx2 v[4:5], v28, s[20:21] offset:1024
.LBB4243_4:
	s_or_b64 exec, exec, s[2:3]
	v_or_b32_e32 v1, 0x100, v0
	v_cmp_gt_u32_e64 s[2:3], s22, v1
	v_pk_mov_b32 v[6:7], s[24:25], s[24:25] op_sel:[0,1]
	s_and_saveexec_b64 s[6:7], s[2:3]
	s_cbranch_execz .LBB4243_6
; %bb.5:
	global_load_dwordx2 v[6:7], v28, s[20:21] offset:2048
.LBB4243_6:
	;; [unrolled: 9-line block ×3, first 2 shown]
	s_or_b64 exec, exec, s[6:7]
	v_or_b32_e32 v1, 0x200, v0
	v_cmp_gt_u32_e64 s[6:7], s22, v1
	v_pk_mov_b32 v[10:11], s[24:25], s[24:25] op_sel:[0,1]
	s_and_saveexec_b64 s[8:9], s[6:7]
	s_cbranch_execz .LBB4243_10
; %bb.9:
	v_lshlrev_b32_e32 v1, 3, v1
	global_load_dwordx2 v[10:11], v1, s[20:21]
.LBB4243_10:
	s_or_b64 exec, exec, s[8:9]
	v_or_b32_e32 v1, 0x280, v0
	v_cmp_gt_u32_e64 s[8:9], s22, v1
	v_pk_mov_b32 v[12:13], s[24:25], s[24:25] op_sel:[0,1]
	s_and_saveexec_b64 s[10:11], s[8:9]
	s_cbranch_execz .LBB4243_12
; %bb.11:
	v_lshlrev_b32_e32 v1, 3, v1
	global_load_dwordx2 v[12:13], v1, s[20:21]
.LBB4243_12:
	;; [unrolled: 10-line block ×6, first 2 shown]
	s_or_b64 exec, exec, s[22:23]
	s_movk_i32 s20, 0x48
	v_mad_u32_u24 v1, v0, s20, v28
	s_waitcnt vmcnt(0)
	ds_write2st64_b64 v28, v[2:3], v[4:5] offset1:2
	ds_write2st64_b64 v28, v[6:7], v[8:9] offset0:4 offset1:6
	ds_write2st64_b64 v28, v[10:11], v[12:13] offset0:8 offset1:10
	ds_write2st64_b64 v28, v[14:15], v[16:17] offset0:12 offset1:14
	ds_write2st64_b64 v28, v[18:19], v[20:21] offset0:16 offset1:18
	s_waitcnt lgkmcnt(0)
	s_barrier
	ds_read_b128 v[14:17], v1
	ds_read_b128 v[10:13], v1 offset:16
	ds_read_b128 v[6:9], v1 offset:32
	;; [unrolled: 1-line block ×4, first 2 shown]
	s_waitcnt lgkmcnt(4)
	v_add_f64 v[22:23], v[14:15], v[16:17]
	s_waitcnt lgkmcnt(3)
	v_add_f64 v[22:23], v[22:23], v[10:11]
	v_add_f64 v[22:23], v[22:23], v[12:13]
	s_waitcnt lgkmcnt(2)
	v_add_f64 v[22:23], v[22:23], v[6:7]
	;; [unrolled: 3-line block ×4, first 2 shown]
	v_add_f64 v[20:21], v[22:23], v[20:21]
	v_mbcnt_lo_u32_b32 v22, -1, 0
	v_mbcnt_hi_u32_b32 v29, -1, v22
	v_and_b32_e32 v26, 15, v29
	v_mov_b32_dpp v22, v20 row_shr:1 row_mask:0xf bank_mask:0xf
	v_mov_b32_dpp v23, v21 row_shr:1 row_mask:0xf bank_mask:0xf
	v_add_f64 v[22:23], v[20:21], v[22:23]
	v_cmp_eq_u32_e64 s[20:21], 0, v26
	v_cndmask_b32_e64 v22, v22, v20, s[20:21]
	v_cndmask_b32_e64 v23, v23, v21, s[20:21]
	v_cmp_lt_u32_e64 s[20:21], 1, v26
	v_mov_b32_dpp v24, v22 row_shr:2 row_mask:0xf bank_mask:0xf
	v_mov_b32_dpp v25, v23 row_shr:2 row_mask:0xf bank_mask:0xf
	v_add_f64 v[24:25], v[22:23], v[24:25]
	v_cndmask_b32_e64 v22, v22, v24, s[20:21]
	v_cndmask_b32_e64 v23, v23, v25, s[20:21]
	v_cmp_lt_u32_e64 s[20:21], 3, v26
	v_mov_b32_dpp v24, v22 row_shr:4 row_mask:0xf bank_mask:0xf
	v_mov_b32_dpp v25, v23 row_shr:4 row_mask:0xf bank_mask:0xf
	v_add_f64 v[24:25], v[22:23], v[24:25]
	;; [unrolled: 6-line block ×3, first 2 shown]
	s_load_dwordx2 s[26:27], s[4:5], 0x10
	v_cndmask_b32_e64 v22, v22, v24, s[20:21]
	v_cndmask_b32_e64 v23, v23, v25, s[20:21]
	v_and_b32_e32 v30, 16, v29
	v_mov_b32_dpp v24, v22 row_bcast:15 row_mask:0xf bank_mask:0xf
	v_mov_b32_dpp v25, v23 row_bcast:15 row_mask:0xf bank_mask:0xf
	v_add_f64 v[26:27], v[22:23], v[24:25]
	v_cmp_eq_u32_e64 s[22:23], 0, v30
	v_cndmask_b32_e64 v25, v27, v23, s[22:23]
	v_cndmask_b32_e64 v24, v26, v22, s[22:23]
	v_cmp_eq_u32_e64 s[20:21], 0, v29
	v_mov_b32_dpp v25, v25 row_bcast:31 row_mask:0xf bank_mask:0xf
	v_mov_b32_dpp v24, v24 row_bcast:31 row_mask:0xf bank_mask:0xf
	v_cmp_ne_u32_e64 s[24:25], 0, v29
	s_waitcnt lgkmcnt(0)
	s_barrier
	s_and_saveexec_b64 s[28:29], s[24:25]
; %bb.21:
	v_cndmask_b32_e64 v21, v27, v23, s[22:23]
	v_cndmask_b32_e64 v20, v26, v22, s[22:23]
	v_add_f64 v[22:23], v[20:21], v[24:25]
	v_cmp_lt_u32_e64 s[22:23], 31, v29
	v_cndmask_b32_e64 v21, v21, v23, s[22:23]
	v_cndmask_b32_e64 v20, v20, v22, s[22:23]
; %bb.22:
	s_or_b64 exec, exec, s[28:29]
	v_or_b32_e32 v22, 63, v0
	v_lshrrev_b32_e32 v24, 6, v0
	v_cmp_eq_u32_e64 s[22:23], v22, v0
	s_and_saveexec_b64 s[24:25], s[22:23]
	s_cbranch_execz .LBB4243_24
; %bb.23:
	v_lshlrev_b32_e32 v22, 3, v24
	ds_write_b64 v22, v[20:21]
.LBB4243_24:
	s_or_b64 exec, exec, s[24:25]
	s_load_dwordx2 s[22:23], s[4:5], 0x20
	v_cmp_gt_u32_e64 s[4:5], 2, v0
	s_waitcnt lgkmcnt(0)
	s_barrier
	s_and_saveexec_b64 s[24:25], s[4:5]
	s_cbranch_execz .LBB4243_26
; %bb.25:
	ds_read_b64 v[22:23], v28
	v_and_b32_e32 v25, 1, v29
	v_cmp_eq_u32_e64 s[4:5], 0, v25
	s_waitcnt lgkmcnt(0)
	v_mov_b32_dpp v26, v22 row_shr:1 row_mask:0xf bank_mask:0xf
	v_mov_b32_dpp v27, v23 row_shr:1 row_mask:0xf bank_mask:0xf
	v_add_f64 v[26:27], v[22:23], v[26:27]
	v_cndmask_b32_e64 v23, v27, v23, s[4:5]
	v_cndmask_b32_e64 v22, v26, v22, s[4:5]
	ds_write_b64 v28, v[22:23]
.LBB4243_26:
	s_or_b64 exec, exec, s[24:25]
	v_cmp_lt_u32_e64 s[4:5], 63, v0
	v_pk_mov_b32 v[22:23], s[26:27], s[26:27] op_sel:[0,1]
	s_waitcnt lgkmcnt(0)
	s_barrier
	s_and_saveexec_b64 s[24:25], s[4:5]
	s_cbranch_execz .LBB4243_28
; %bb.27:
	v_lshl_add_u32 v22, v24, 3, -8
	ds_read_b64 v[22:23], v22
	s_waitcnt lgkmcnt(0)
	v_add_f64 v[22:23], s[26:27], v[22:23]
.LBB4243_28:
	s_or_b64 exec, exec, s[24:25]
	v_add_u32_e32 v24, -1, v29
	v_and_b32_e32 v25, 64, v29
	v_cmp_lt_i32_e64 s[4:5], v24, v25
	v_cndmask_b32_e64 v24, v24, v29, s[4:5]
	v_add_f64 v[20:21], v[20:21], v[22:23]
	v_lshlrev_b32_e32 v24, 2, v24
	ds_bpermute_b32 v20, v24, v20
	ds_bpermute_b32 v21, v24, v21
	v_cmp_eq_u32_e64 s[4:5], 0, v0
	s_waitcnt lgkmcnt(0)
	s_barrier
	v_cndmask_b32_e64 v20, v20, v22, s[20:21]
	v_cndmask_b32_e64 v21, v21, v23, s[20:21]
	v_mov_b32_e32 v22, s27
	v_cndmask_b32_e64 v21, v21, v22, s[4:5]
	v_mov_b32_e32 v22, s26
	v_cndmask_b32_e64 v20, v20, v22, s[4:5]
	v_add_f64 v[22:23], v[14:15], v[20:21]
	v_add_f64 v[14:15], v[16:17], v[22:23]
	;; [unrolled: 1-line block ×8, first 2 shown]
	s_movk_i32 s4, 0xffb8
	v_add_f64 v[4:5], v[18:19], v[2:3]
	v_mad_i32_i24 v0, v0, s4, v1
	ds_write_b128 v1, v[20:23]
	ds_write_b128 v1, v[14:17] offset:16
	ds_write_b128 v1, v[10:13] offset:32
	ds_write_b128 v1, v[6:9] offset:48
	ds_write_b128 v1, v[2:5] offset:64
	s_waitcnt lgkmcnt(0)
	s_barrier
	ds_read2st64_b64 v[12:15], v0 offset0:2 offset1:4
	ds_read2st64_b64 v[8:11], v0 offset0:6 offset1:8
	;; [unrolled: 1-line block ×4, first 2 shown]
	ds_read_b64 v[18:19], v28 offset:8192
	v_mov_b32_e32 v17, s23
	v_add_co_u32_e64 v16, s[4:5], s22, v28
	v_addc_co_u32_e64 v17, s[4:5], 0, v17, s[4:5]
	s_and_saveexec_b64 s[4:5], vcc
	s_cbranch_execnz .LBB4243_39
; %bb.29:
	s_or_b64 exec, exec, s[4:5]
	s_and_saveexec_b64 s[4:5], s[0:1]
	s_cbranch_execnz .LBB4243_40
.LBB4243_30:
	s_or_b64 exec, exec, s[4:5]
	s_and_saveexec_b64 s[0:1], s[2:3]
	s_cbranch_execnz .LBB4243_41
.LBB4243_31:
	s_or_b64 exec, exec, s[0:1]
	s_and_saveexec_b64 s[0:1], s[18:19]
	s_cbranch_execnz .LBB4243_42
.LBB4243_32:
	s_or_b64 exec, exec, s[0:1]
	s_and_saveexec_b64 s[0:1], s[6:7]
	s_cbranch_execnz .LBB4243_43
.LBB4243_33:
	s_or_b64 exec, exec, s[0:1]
	s_and_saveexec_b64 s[0:1], s[8:9]
	s_cbranch_execnz .LBB4243_44
.LBB4243_34:
	s_or_b64 exec, exec, s[0:1]
	s_and_saveexec_b64 s[0:1], s[10:11]
	s_cbranch_execnz .LBB4243_45
.LBB4243_35:
	s_or_b64 exec, exec, s[0:1]
	s_and_saveexec_b64 s[0:1], s[12:13]
	s_cbranch_execnz .LBB4243_46
.LBB4243_36:
	s_or_b64 exec, exec, s[0:1]
	s_and_saveexec_b64 s[0:1], s[14:15]
	s_cbranch_execnz .LBB4243_47
.LBB4243_37:
	s_or_b64 exec, exec, s[0:1]
	s_and_saveexec_b64 s[0:1], s[16:17]
	s_cbranch_execnz .LBB4243_48
.LBB4243_38:
	s_endpgm
.LBB4243_39:
	ds_read_b64 v[20:21], v28
	s_waitcnt lgkmcnt(0)
	global_store_dwordx2 v[16:17], v[20:21], off
	s_or_b64 exec, exec, s[4:5]
	s_and_saveexec_b64 s[4:5], s[0:1]
	s_cbranch_execz .LBB4243_30
.LBB4243_40:
	s_waitcnt lgkmcnt(4)
	global_store_dwordx2 v[16:17], v[12:13], off offset:1024
	s_or_b64 exec, exec, s[4:5]
	s_and_saveexec_b64 s[0:1], s[2:3]
	s_cbranch_execz .LBB4243_31
.LBB4243_41:
	s_waitcnt lgkmcnt(4)
	global_store_dwordx2 v[16:17], v[14:15], off offset:2048
	s_or_b64 exec, exec, s[0:1]
	s_and_saveexec_b64 s[0:1], s[18:19]
	s_cbranch_execz .LBB4243_32
.LBB4243_42:
	s_waitcnt lgkmcnt(3)
	global_store_dwordx2 v[16:17], v[8:9], off offset:3072
	s_or_b64 exec, exec, s[0:1]
	s_and_saveexec_b64 s[0:1], s[6:7]
	s_cbranch_execz .LBB4243_33
.LBB4243_43:
	s_waitcnt lgkmcnt(3)
	v_add_co_u32_e32 v8, vcc, 0x1000, v16
	v_addc_co_u32_e32 v9, vcc, 0, v17, vcc
	global_store_dwordx2 v[8:9], v[10:11], off
	s_or_b64 exec, exec, s[0:1]
	s_and_saveexec_b64 s[0:1], s[8:9]
	s_cbranch_execz .LBB4243_34
.LBB4243_44:
	s_waitcnt lgkmcnt(3)
	v_add_co_u32_e32 v8, vcc, 0x1000, v16
	v_addc_co_u32_e32 v9, vcc, 0, v17, vcc
	s_waitcnt lgkmcnt(2)
	global_store_dwordx2 v[8:9], v[4:5], off offset:1024
	s_or_b64 exec, exec, s[0:1]
	s_and_saveexec_b64 s[0:1], s[10:11]
	s_cbranch_execz .LBB4243_35
.LBB4243_45:
	s_waitcnt lgkmcnt(2)
	v_add_co_u32_e32 v4, vcc, 0x1000, v16
	v_addc_co_u32_e32 v5, vcc, 0, v17, vcc
	global_store_dwordx2 v[4:5], v[6:7], off offset:2048
	s_or_b64 exec, exec, s[0:1]
	s_and_saveexec_b64 s[0:1], s[12:13]
	s_cbranch_execz .LBB4243_36
.LBB4243_46:
	s_waitcnt lgkmcnt(2)
	v_add_co_u32_e32 v4, vcc, 0x1000, v16
	v_addc_co_u32_e32 v5, vcc, 0, v17, vcc
	s_waitcnt lgkmcnt(1)
	global_store_dwordx2 v[4:5], v[0:1], off offset:3072
	s_or_b64 exec, exec, s[0:1]
	s_and_saveexec_b64 s[0:1], s[14:15]
	s_cbranch_execz .LBB4243_37
.LBB4243_47:
	s_waitcnt lgkmcnt(1)
	v_add_co_u32_e32 v0, vcc, 0x2000, v16
	v_addc_co_u32_e32 v1, vcc, 0, v17, vcc
	s_waitcnt lgkmcnt(0)
	global_store_dwordx2 v[0:1], v[18:19], off
	s_or_b64 exec, exec, s[0:1]
	s_and_saveexec_b64 s[0:1], s[16:17]
	s_cbranch_execz .LBB4243_38
.LBB4243_48:
	s_waitcnt lgkmcnt(1)
	v_add_co_u32_e32 v0, vcc, 0x2000, v16
	v_addc_co_u32_e32 v1, vcc, 0, v17, vcc
	global_store_dwordx2 v[0:1], v[2:3], off offset:1024
	s_endpgm
	.section	.rodata,"a",@progbits
	.p2align	6, 0x0
	.amdhsa_kernel _ZN7rocprim17ROCPRIM_400000_NS6detail17trampoline_kernelINS0_14default_configENS1_20scan_config_selectorIdEEZZNS1_9scan_implILNS1_25lookback_scan_determinismE0ELb1ELb1ES3_N6thrust23THRUST_200600_302600_NS6detail15normal_iteratorINS9_10device_ptrIdEEEESE_dNS9_4plusIvEEdEEDaPvRmT3_T4_T5_mT6_P12ihipStream_tbENKUlT_T0_E_clISt17integral_constantIbLb1EESU_EEDaSP_SQ_EUlSP_E0_NS1_11comp_targetILNS1_3genE4ELNS1_11target_archE910ELNS1_3gpuE8ELNS1_3repE0EEENS1_30default_config_static_selectorELNS0_4arch9wavefront6targetE1EEEvT1_
		.amdhsa_group_segment_fixed_size 10240
		.amdhsa_private_segment_fixed_size 0
		.amdhsa_kernarg_size 40
		.amdhsa_user_sgpr_count 6
		.amdhsa_user_sgpr_private_segment_buffer 1
		.amdhsa_user_sgpr_dispatch_ptr 0
		.amdhsa_user_sgpr_queue_ptr 0
		.amdhsa_user_sgpr_kernarg_segment_ptr 1
		.amdhsa_user_sgpr_dispatch_id 0
		.amdhsa_user_sgpr_flat_scratch_init 0
		.amdhsa_user_sgpr_kernarg_preload_length 0
		.amdhsa_user_sgpr_kernarg_preload_offset 0
		.amdhsa_user_sgpr_private_segment_size 0
		.amdhsa_uses_dynamic_stack 0
		.amdhsa_system_sgpr_private_segment_wavefront_offset 0
		.amdhsa_system_sgpr_workgroup_id_x 1
		.amdhsa_system_sgpr_workgroup_id_y 0
		.amdhsa_system_sgpr_workgroup_id_z 0
		.amdhsa_system_sgpr_workgroup_info 0
		.amdhsa_system_vgpr_workitem_id 0
		.amdhsa_next_free_vgpr 31
		.amdhsa_next_free_sgpr 30
		.amdhsa_accum_offset 32
		.amdhsa_reserve_vcc 1
		.amdhsa_reserve_flat_scratch 0
		.amdhsa_float_round_mode_32 0
		.amdhsa_float_round_mode_16_64 0
		.amdhsa_float_denorm_mode_32 3
		.amdhsa_float_denorm_mode_16_64 3
		.amdhsa_dx10_clamp 1
		.amdhsa_ieee_mode 1
		.amdhsa_fp16_overflow 0
		.amdhsa_tg_split 0
		.amdhsa_exception_fp_ieee_invalid_op 0
		.amdhsa_exception_fp_denorm_src 0
		.amdhsa_exception_fp_ieee_div_zero 0
		.amdhsa_exception_fp_ieee_overflow 0
		.amdhsa_exception_fp_ieee_underflow 0
		.amdhsa_exception_fp_ieee_inexact 0
		.amdhsa_exception_int_div_zero 0
	.end_amdhsa_kernel
	.section	.text._ZN7rocprim17ROCPRIM_400000_NS6detail17trampoline_kernelINS0_14default_configENS1_20scan_config_selectorIdEEZZNS1_9scan_implILNS1_25lookback_scan_determinismE0ELb1ELb1ES3_N6thrust23THRUST_200600_302600_NS6detail15normal_iteratorINS9_10device_ptrIdEEEESE_dNS9_4plusIvEEdEEDaPvRmT3_T4_T5_mT6_P12ihipStream_tbENKUlT_T0_E_clISt17integral_constantIbLb1EESU_EEDaSP_SQ_EUlSP_E0_NS1_11comp_targetILNS1_3genE4ELNS1_11target_archE910ELNS1_3gpuE8ELNS1_3repE0EEENS1_30default_config_static_selectorELNS0_4arch9wavefront6targetE1EEEvT1_,"axG",@progbits,_ZN7rocprim17ROCPRIM_400000_NS6detail17trampoline_kernelINS0_14default_configENS1_20scan_config_selectorIdEEZZNS1_9scan_implILNS1_25lookback_scan_determinismE0ELb1ELb1ES3_N6thrust23THRUST_200600_302600_NS6detail15normal_iteratorINS9_10device_ptrIdEEEESE_dNS9_4plusIvEEdEEDaPvRmT3_T4_T5_mT6_P12ihipStream_tbENKUlT_T0_E_clISt17integral_constantIbLb1EESU_EEDaSP_SQ_EUlSP_E0_NS1_11comp_targetILNS1_3genE4ELNS1_11target_archE910ELNS1_3gpuE8ELNS1_3repE0EEENS1_30default_config_static_selectorELNS0_4arch9wavefront6targetE1EEEvT1_,comdat
.Lfunc_end4243:
	.size	_ZN7rocprim17ROCPRIM_400000_NS6detail17trampoline_kernelINS0_14default_configENS1_20scan_config_selectorIdEEZZNS1_9scan_implILNS1_25lookback_scan_determinismE0ELb1ELb1ES3_N6thrust23THRUST_200600_302600_NS6detail15normal_iteratorINS9_10device_ptrIdEEEESE_dNS9_4plusIvEEdEEDaPvRmT3_T4_T5_mT6_P12ihipStream_tbENKUlT_T0_E_clISt17integral_constantIbLb1EESU_EEDaSP_SQ_EUlSP_E0_NS1_11comp_targetILNS1_3genE4ELNS1_11target_archE910ELNS1_3gpuE8ELNS1_3repE0EEENS1_30default_config_static_selectorELNS0_4arch9wavefront6targetE1EEEvT1_, .Lfunc_end4243-_ZN7rocprim17ROCPRIM_400000_NS6detail17trampoline_kernelINS0_14default_configENS1_20scan_config_selectorIdEEZZNS1_9scan_implILNS1_25lookback_scan_determinismE0ELb1ELb1ES3_N6thrust23THRUST_200600_302600_NS6detail15normal_iteratorINS9_10device_ptrIdEEEESE_dNS9_4plusIvEEdEEDaPvRmT3_T4_T5_mT6_P12ihipStream_tbENKUlT_T0_E_clISt17integral_constantIbLb1EESU_EEDaSP_SQ_EUlSP_E0_NS1_11comp_targetILNS1_3genE4ELNS1_11target_archE910ELNS1_3gpuE8ELNS1_3repE0EEENS1_30default_config_static_selectorELNS0_4arch9wavefront6targetE1EEEvT1_
                                        ; -- End function
	.section	.AMDGPU.csdata,"",@progbits
; Kernel info:
; codeLenInByte = 2000
; NumSgprs: 34
; NumVgprs: 31
; NumAgprs: 0
; TotalNumVgprs: 31
; ScratchSize: 0
; MemoryBound: 0
; FloatMode: 240
; IeeeMode: 1
; LDSByteSize: 10240 bytes/workgroup (compile time only)
; SGPRBlocks: 4
; VGPRBlocks: 3
; NumSGPRsForWavesPerEU: 34
; NumVGPRsForWavesPerEU: 31
; AccumOffset: 32
; Occupancy: 3
; WaveLimiterHint : 0
; COMPUTE_PGM_RSRC2:SCRATCH_EN: 0
; COMPUTE_PGM_RSRC2:USER_SGPR: 6
; COMPUTE_PGM_RSRC2:TRAP_HANDLER: 0
; COMPUTE_PGM_RSRC2:TGID_X_EN: 1
; COMPUTE_PGM_RSRC2:TGID_Y_EN: 0
; COMPUTE_PGM_RSRC2:TGID_Z_EN: 0
; COMPUTE_PGM_RSRC2:TIDIG_COMP_CNT: 0
; COMPUTE_PGM_RSRC3_GFX90A:ACCUM_OFFSET: 7
; COMPUTE_PGM_RSRC3_GFX90A:TG_SPLIT: 0
	.section	.text._ZN7rocprim17ROCPRIM_400000_NS6detail17trampoline_kernelINS0_14default_configENS1_20scan_config_selectorIdEEZZNS1_9scan_implILNS1_25lookback_scan_determinismE0ELb1ELb1ES3_N6thrust23THRUST_200600_302600_NS6detail15normal_iteratorINS9_10device_ptrIdEEEESE_dNS9_4plusIvEEdEEDaPvRmT3_T4_T5_mT6_P12ihipStream_tbENKUlT_T0_E_clISt17integral_constantIbLb1EESU_EEDaSP_SQ_EUlSP_E0_NS1_11comp_targetILNS1_3genE3ELNS1_11target_archE908ELNS1_3gpuE7ELNS1_3repE0EEENS1_30default_config_static_selectorELNS0_4arch9wavefront6targetE1EEEvT1_,"axG",@progbits,_ZN7rocprim17ROCPRIM_400000_NS6detail17trampoline_kernelINS0_14default_configENS1_20scan_config_selectorIdEEZZNS1_9scan_implILNS1_25lookback_scan_determinismE0ELb1ELb1ES3_N6thrust23THRUST_200600_302600_NS6detail15normal_iteratorINS9_10device_ptrIdEEEESE_dNS9_4plusIvEEdEEDaPvRmT3_T4_T5_mT6_P12ihipStream_tbENKUlT_T0_E_clISt17integral_constantIbLb1EESU_EEDaSP_SQ_EUlSP_E0_NS1_11comp_targetILNS1_3genE3ELNS1_11target_archE908ELNS1_3gpuE7ELNS1_3repE0EEENS1_30default_config_static_selectorELNS0_4arch9wavefront6targetE1EEEvT1_,comdat
	.protected	_ZN7rocprim17ROCPRIM_400000_NS6detail17trampoline_kernelINS0_14default_configENS1_20scan_config_selectorIdEEZZNS1_9scan_implILNS1_25lookback_scan_determinismE0ELb1ELb1ES3_N6thrust23THRUST_200600_302600_NS6detail15normal_iteratorINS9_10device_ptrIdEEEESE_dNS9_4plusIvEEdEEDaPvRmT3_T4_T5_mT6_P12ihipStream_tbENKUlT_T0_E_clISt17integral_constantIbLb1EESU_EEDaSP_SQ_EUlSP_E0_NS1_11comp_targetILNS1_3genE3ELNS1_11target_archE908ELNS1_3gpuE7ELNS1_3repE0EEENS1_30default_config_static_selectorELNS0_4arch9wavefront6targetE1EEEvT1_ ; -- Begin function _ZN7rocprim17ROCPRIM_400000_NS6detail17trampoline_kernelINS0_14default_configENS1_20scan_config_selectorIdEEZZNS1_9scan_implILNS1_25lookback_scan_determinismE0ELb1ELb1ES3_N6thrust23THRUST_200600_302600_NS6detail15normal_iteratorINS9_10device_ptrIdEEEESE_dNS9_4plusIvEEdEEDaPvRmT3_T4_T5_mT6_P12ihipStream_tbENKUlT_T0_E_clISt17integral_constantIbLb1EESU_EEDaSP_SQ_EUlSP_E0_NS1_11comp_targetILNS1_3genE3ELNS1_11target_archE908ELNS1_3gpuE7ELNS1_3repE0EEENS1_30default_config_static_selectorELNS0_4arch9wavefront6targetE1EEEvT1_
	.globl	_ZN7rocprim17ROCPRIM_400000_NS6detail17trampoline_kernelINS0_14default_configENS1_20scan_config_selectorIdEEZZNS1_9scan_implILNS1_25lookback_scan_determinismE0ELb1ELb1ES3_N6thrust23THRUST_200600_302600_NS6detail15normal_iteratorINS9_10device_ptrIdEEEESE_dNS9_4plusIvEEdEEDaPvRmT3_T4_T5_mT6_P12ihipStream_tbENKUlT_T0_E_clISt17integral_constantIbLb1EESU_EEDaSP_SQ_EUlSP_E0_NS1_11comp_targetILNS1_3genE3ELNS1_11target_archE908ELNS1_3gpuE7ELNS1_3repE0EEENS1_30default_config_static_selectorELNS0_4arch9wavefront6targetE1EEEvT1_
	.p2align	8
	.type	_ZN7rocprim17ROCPRIM_400000_NS6detail17trampoline_kernelINS0_14default_configENS1_20scan_config_selectorIdEEZZNS1_9scan_implILNS1_25lookback_scan_determinismE0ELb1ELb1ES3_N6thrust23THRUST_200600_302600_NS6detail15normal_iteratorINS9_10device_ptrIdEEEESE_dNS9_4plusIvEEdEEDaPvRmT3_T4_T5_mT6_P12ihipStream_tbENKUlT_T0_E_clISt17integral_constantIbLb1EESU_EEDaSP_SQ_EUlSP_E0_NS1_11comp_targetILNS1_3genE3ELNS1_11target_archE908ELNS1_3gpuE7ELNS1_3repE0EEENS1_30default_config_static_selectorELNS0_4arch9wavefront6targetE1EEEvT1_,@function
_ZN7rocprim17ROCPRIM_400000_NS6detail17trampoline_kernelINS0_14default_configENS1_20scan_config_selectorIdEEZZNS1_9scan_implILNS1_25lookback_scan_determinismE0ELb1ELb1ES3_N6thrust23THRUST_200600_302600_NS6detail15normal_iteratorINS9_10device_ptrIdEEEESE_dNS9_4plusIvEEdEEDaPvRmT3_T4_T5_mT6_P12ihipStream_tbENKUlT_T0_E_clISt17integral_constantIbLb1EESU_EEDaSP_SQ_EUlSP_E0_NS1_11comp_targetILNS1_3genE3ELNS1_11target_archE908ELNS1_3gpuE7ELNS1_3repE0EEENS1_30default_config_static_selectorELNS0_4arch9wavefront6targetE1EEEvT1_: ; @_ZN7rocprim17ROCPRIM_400000_NS6detail17trampoline_kernelINS0_14default_configENS1_20scan_config_selectorIdEEZZNS1_9scan_implILNS1_25lookback_scan_determinismE0ELb1ELb1ES3_N6thrust23THRUST_200600_302600_NS6detail15normal_iteratorINS9_10device_ptrIdEEEESE_dNS9_4plusIvEEdEEDaPvRmT3_T4_T5_mT6_P12ihipStream_tbENKUlT_T0_E_clISt17integral_constantIbLb1EESU_EEDaSP_SQ_EUlSP_E0_NS1_11comp_targetILNS1_3genE3ELNS1_11target_archE908ELNS1_3gpuE7ELNS1_3repE0EEENS1_30default_config_static_selectorELNS0_4arch9wavefront6targetE1EEEvT1_
; %bb.0:
	.section	.rodata,"a",@progbits
	.p2align	6, 0x0
	.amdhsa_kernel _ZN7rocprim17ROCPRIM_400000_NS6detail17trampoline_kernelINS0_14default_configENS1_20scan_config_selectorIdEEZZNS1_9scan_implILNS1_25lookback_scan_determinismE0ELb1ELb1ES3_N6thrust23THRUST_200600_302600_NS6detail15normal_iteratorINS9_10device_ptrIdEEEESE_dNS9_4plusIvEEdEEDaPvRmT3_T4_T5_mT6_P12ihipStream_tbENKUlT_T0_E_clISt17integral_constantIbLb1EESU_EEDaSP_SQ_EUlSP_E0_NS1_11comp_targetILNS1_3genE3ELNS1_11target_archE908ELNS1_3gpuE7ELNS1_3repE0EEENS1_30default_config_static_selectorELNS0_4arch9wavefront6targetE1EEEvT1_
		.amdhsa_group_segment_fixed_size 0
		.amdhsa_private_segment_fixed_size 0
		.amdhsa_kernarg_size 40
		.amdhsa_user_sgpr_count 6
		.amdhsa_user_sgpr_private_segment_buffer 1
		.amdhsa_user_sgpr_dispatch_ptr 0
		.amdhsa_user_sgpr_queue_ptr 0
		.amdhsa_user_sgpr_kernarg_segment_ptr 1
		.amdhsa_user_sgpr_dispatch_id 0
		.amdhsa_user_sgpr_flat_scratch_init 0
		.amdhsa_user_sgpr_kernarg_preload_length 0
		.amdhsa_user_sgpr_kernarg_preload_offset 0
		.amdhsa_user_sgpr_private_segment_size 0
		.amdhsa_uses_dynamic_stack 0
		.amdhsa_system_sgpr_private_segment_wavefront_offset 0
		.amdhsa_system_sgpr_workgroup_id_x 1
		.amdhsa_system_sgpr_workgroup_id_y 0
		.amdhsa_system_sgpr_workgroup_id_z 0
		.amdhsa_system_sgpr_workgroup_info 0
		.amdhsa_system_vgpr_workitem_id 0
		.amdhsa_next_free_vgpr 1
		.amdhsa_next_free_sgpr 0
		.amdhsa_accum_offset 4
		.amdhsa_reserve_vcc 0
		.amdhsa_reserve_flat_scratch 0
		.amdhsa_float_round_mode_32 0
		.amdhsa_float_round_mode_16_64 0
		.amdhsa_float_denorm_mode_32 3
		.amdhsa_float_denorm_mode_16_64 3
		.amdhsa_dx10_clamp 1
		.amdhsa_ieee_mode 1
		.amdhsa_fp16_overflow 0
		.amdhsa_tg_split 0
		.amdhsa_exception_fp_ieee_invalid_op 0
		.amdhsa_exception_fp_denorm_src 0
		.amdhsa_exception_fp_ieee_div_zero 0
		.amdhsa_exception_fp_ieee_overflow 0
		.amdhsa_exception_fp_ieee_underflow 0
		.amdhsa_exception_fp_ieee_inexact 0
		.amdhsa_exception_int_div_zero 0
	.end_amdhsa_kernel
	.section	.text._ZN7rocprim17ROCPRIM_400000_NS6detail17trampoline_kernelINS0_14default_configENS1_20scan_config_selectorIdEEZZNS1_9scan_implILNS1_25lookback_scan_determinismE0ELb1ELb1ES3_N6thrust23THRUST_200600_302600_NS6detail15normal_iteratorINS9_10device_ptrIdEEEESE_dNS9_4plusIvEEdEEDaPvRmT3_T4_T5_mT6_P12ihipStream_tbENKUlT_T0_E_clISt17integral_constantIbLb1EESU_EEDaSP_SQ_EUlSP_E0_NS1_11comp_targetILNS1_3genE3ELNS1_11target_archE908ELNS1_3gpuE7ELNS1_3repE0EEENS1_30default_config_static_selectorELNS0_4arch9wavefront6targetE1EEEvT1_,"axG",@progbits,_ZN7rocprim17ROCPRIM_400000_NS6detail17trampoline_kernelINS0_14default_configENS1_20scan_config_selectorIdEEZZNS1_9scan_implILNS1_25lookback_scan_determinismE0ELb1ELb1ES3_N6thrust23THRUST_200600_302600_NS6detail15normal_iteratorINS9_10device_ptrIdEEEESE_dNS9_4plusIvEEdEEDaPvRmT3_T4_T5_mT6_P12ihipStream_tbENKUlT_T0_E_clISt17integral_constantIbLb1EESU_EEDaSP_SQ_EUlSP_E0_NS1_11comp_targetILNS1_3genE3ELNS1_11target_archE908ELNS1_3gpuE7ELNS1_3repE0EEENS1_30default_config_static_selectorELNS0_4arch9wavefront6targetE1EEEvT1_,comdat
.Lfunc_end4244:
	.size	_ZN7rocprim17ROCPRIM_400000_NS6detail17trampoline_kernelINS0_14default_configENS1_20scan_config_selectorIdEEZZNS1_9scan_implILNS1_25lookback_scan_determinismE0ELb1ELb1ES3_N6thrust23THRUST_200600_302600_NS6detail15normal_iteratorINS9_10device_ptrIdEEEESE_dNS9_4plusIvEEdEEDaPvRmT3_T4_T5_mT6_P12ihipStream_tbENKUlT_T0_E_clISt17integral_constantIbLb1EESU_EEDaSP_SQ_EUlSP_E0_NS1_11comp_targetILNS1_3genE3ELNS1_11target_archE908ELNS1_3gpuE7ELNS1_3repE0EEENS1_30default_config_static_selectorELNS0_4arch9wavefront6targetE1EEEvT1_, .Lfunc_end4244-_ZN7rocprim17ROCPRIM_400000_NS6detail17trampoline_kernelINS0_14default_configENS1_20scan_config_selectorIdEEZZNS1_9scan_implILNS1_25lookback_scan_determinismE0ELb1ELb1ES3_N6thrust23THRUST_200600_302600_NS6detail15normal_iteratorINS9_10device_ptrIdEEEESE_dNS9_4plusIvEEdEEDaPvRmT3_T4_T5_mT6_P12ihipStream_tbENKUlT_T0_E_clISt17integral_constantIbLb1EESU_EEDaSP_SQ_EUlSP_E0_NS1_11comp_targetILNS1_3genE3ELNS1_11target_archE908ELNS1_3gpuE7ELNS1_3repE0EEENS1_30default_config_static_selectorELNS0_4arch9wavefront6targetE1EEEvT1_
                                        ; -- End function
	.section	.AMDGPU.csdata,"",@progbits
; Kernel info:
; codeLenInByte = 0
; NumSgprs: 4
; NumVgprs: 0
; NumAgprs: 0
; TotalNumVgprs: 0
; ScratchSize: 0
; MemoryBound: 0
; FloatMode: 240
; IeeeMode: 1
; LDSByteSize: 0 bytes/workgroup (compile time only)
; SGPRBlocks: 0
; VGPRBlocks: 0
; NumSGPRsForWavesPerEU: 4
; NumVGPRsForWavesPerEU: 1
; AccumOffset: 4
; Occupancy: 8
; WaveLimiterHint : 0
; COMPUTE_PGM_RSRC2:SCRATCH_EN: 0
; COMPUTE_PGM_RSRC2:USER_SGPR: 6
; COMPUTE_PGM_RSRC2:TRAP_HANDLER: 0
; COMPUTE_PGM_RSRC2:TGID_X_EN: 1
; COMPUTE_PGM_RSRC2:TGID_Y_EN: 0
; COMPUTE_PGM_RSRC2:TGID_Z_EN: 0
; COMPUTE_PGM_RSRC2:TIDIG_COMP_CNT: 0
; COMPUTE_PGM_RSRC3_GFX90A:ACCUM_OFFSET: 0
; COMPUTE_PGM_RSRC3_GFX90A:TG_SPLIT: 0
	.section	.text._ZN7rocprim17ROCPRIM_400000_NS6detail17trampoline_kernelINS0_14default_configENS1_20scan_config_selectorIdEEZZNS1_9scan_implILNS1_25lookback_scan_determinismE0ELb1ELb1ES3_N6thrust23THRUST_200600_302600_NS6detail15normal_iteratorINS9_10device_ptrIdEEEESE_dNS9_4plusIvEEdEEDaPvRmT3_T4_T5_mT6_P12ihipStream_tbENKUlT_T0_E_clISt17integral_constantIbLb1EESU_EEDaSP_SQ_EUlSP_E0_NS1_11comp_targetILNS1_3genE2ELNS1_11target_archE906ELNS1_3gpuE6ELNS1_3repE0EEENS1_30default_config_static_selectorELNS0_4arch9wavefront6targetE1EEEvT1_,"axG",@progbits,_ZN7rocprim17ROCPRIM_400000_NS6detail17trampoline_kernelINS0_14default_configENS1_20scan_config_selectorIdEEZZNS1_9scan_implILNS1_25lookback_scan_determinismE0ELb1ELb1ES3_N6thrust23THRUST_200600_302600_NS6detail15normal_iteratorINS9_10device_ptrIdEEEESE_dNS9_4plusIvEEdEEDaPvRmT3_T4_T5_mT6_P12ihipStream_tbENKUlT_T0_E_clISt17integral_constantIbLb1EESU_EEDaSP_SQ_EUlSP_E0_NS1_11comp_targetILNS1_3genE2ELNS1_11target_archE906ELNS1_3gpuE6ELNS1_3repE0EEENS1_30default_config_static_selectorELNS0_4arch9wavefront6targetE1EEEvT1_,comdat
	.protected	_ZN7rocprim17ROCPRIM_400000_NS6detail17trampoline_kernelINS0_14default_configENS1_20scan_config_selectorIdEEZZNS1_9scan_implILNS1_25lookback_scan_determinismE0ELb1ELb1ES3_N6thrust23THRUST_200600_302600_NS6detail15normal_iteratorINS9_10device_ptrIdEEEESE_dNS9_4plusIvEEdEEDaPvRmT3_T4_T5_mT6_P12ihipStream_tbENKUlT_T0_E_clISt17integral_constantIbLb1EESU_EEDaSP_SQ_EUlSP_E0_NS1_11comp_targetILNS1_3genE2ELNS1_11target_archE906ELNS1_3gpuE6ELNS1_3repE0EEENS1_30default_config_static_selectorELNS0_4arch9wavefront6targetE1EEEvT1_ ; -- Begin function _ZN7rocprim17ROCPRIM_400000_NS6detail17trampoline_kernelINS0_14default_configENS1_20scan_config_selectorIdEEZZNS1_9scan_implILNS1_25lookback_scan_determinismE0ELb1ELb1ES3_N6thrust23THRUST_200600_302600_NS6detail15normal_iteratorINS9_10device_ptrIdEEEESE_dNS9_4plusIvEEdEEDaPvRmT3_T4_T5_mT6_P12ihipStream_tbENKUlT_T0_E_clISt17integral_constantIbLb1EESU_EEDaSP_SQ_EUlSP_E0_NS1_11comp_targetILNS1_3genE2ELNS1_11target_archE906ELNS1_3gpuE6ELNS1_3repE0EEENS1_30default_config_static_selectorELNS0_4arch9wavefront6targetE1EEEvT1_
	.globl	_ZN7rocprim17ROCPRIM_400000_NS6detail17trampoline_kernelINS0_14default_configENS1_20scan_config_selectorIdEEZZNS1_9scan_implILNS1_25lookback_scan_determinismE0ELb1ELb1ES3_N6thrust23THRUST_200600_302600_NS6detail15normal_iteratorINS9_10device_ptrIdEEEESE_dNS9_4plusIvEEdEEDaPvRmT3_T4_T5_mT6_P12ihipStream_tbENKUlT_T0_E_clISt17integral_constantIbLb1EESU_EEDaSP_SQ_EUlSP_E0_NS1_11comp_targetILNS1_3genE2ELNS1_11target_archE906ELNS1_3gpuE6ELNS1_3repE0EEENS1_30default_config_static_selectorELNS0_4arch9wavefront6targetE1EEEvT1_
	.p2align	8
	.type	_ZN7rocprim17ROCPRIM_400000_NS6detail17trampoline_kernelINS0_14default_configENS1_20scan_config_selectorIdEEZZNS1_9scan_implILNS1_25lookback_scan_determinismE0ELb1ELb1ES3_N6thrust23THRUST_200600_302600_NS6detail15normal_iteratorINS9_10device_ptrIdEEEESE_dNS9_4plusIvEEdEEDaPvRmT3_T4_T5_mT6_P12ihipStream_tbENKUlT_T0_E_clISt17integral_constantIbLb1EESU_EEDaSP_SQ_EUlSP_E0_NS1_11comp_targetILNS1_3genE2ELNS1_11target_archE906ELNS1_3gpuE6ELNS1_3repE0EEENS1_30default_config_static_selectorELNS0_4arch9wavefront6targetE1EEEvT1_,@function
_ZN7rocprim17ROCPRIM_400000_NS6detail17trampoline_kernelINS0_14default_configENS1_20scan_config_selectorIdEEZZNS1_9scan_implILNS1_25lookback_scan_determinismE0ELb1ELb1ES3_N6thrust23THRUST_200600_302600_NS6detail15normal_iteratorINS9_10device_ptrIdEEEESE_dNS9_4plusIvEEdEEDaPvRmT3_T4_T5_mT6_P12ihipStream_tbENKUlT_T0_E_clISt17integral_constantIbLb1EESU_EEDaSP_SQ_EUlSP_E0_NS1_11comp_targetILNS1_3genE2ELNS1_11target_archE906ELNS1_3gpuE6ELNS1_3repE0EEENS1_30default_config_static_selectorELNS0_4arch9wavefront6targetE1EEEvT1_: ; @_ZN7rocprim17ROCPRIM_400000_NS6detail17trampoline_kernelINS0_14default_configENS1_20scan_config_selectorIdEEZZNS1_9scan_implILNS1_25lookback_scan_determinismE0ELb1ELb1ES3_N6thrust23THRUST_200600_302600_NS6detail15normal_iteratorINS9_10device_ptrIdEEEESE_dNS9_4plusIvEEdEEDaPvRmT3_T4_T5_mT6_P12ihipStream_tbENKUlT_T0_E_clISt17integral_constantIbLb1EESU_EEDaSP_SQ_EUlSP_E0_NS1_11comp_targetILNS1_3genE2ELNS1_11target_archE906ELNS1_3gpuE6ELNS1_3repE0EEENS1_30default_config_static_selectorELNS0_4arch9wavefront6targetE1EEEvT1_
; %bb.0:
	.section	.rodata,"a",@progbits
	.p2align	6, 0x0
	.amdhsa_kernel _ZN7rocprim17ROCPRIM_400000_NS6detail17trampoline_kernelINS0_14default_configENS1_20scan_config_selectorIdEEZZNS1_9scan_implILNS1_25lookback_scan_determinismE0ELb1ELb1ES3_N6thrust23THRUST_200600_302600_NS6detail15normal_iteratorINS9_10device_ptrIdEEEESE_dNS9_4plusIvEEdEEDaPvRmT3_T4_T5_mT6_P12ihipStream_tbENKUlT_T0_E_clISt17integral_constantIbLb1EESU_EEDaSP_SQ_EUlSP_E0_NS1_11comp_targetILNS1_3genE2ELNS1_11target_archE906ELNS1_3gpuE6ELNS1_3repE0EEENS1_30default_config_static_selectorELNS0_4arch9wavefront6targetE1EEEvT1_
		.amdhsa_group_segment_fixed_size 0
		.amdhsa_private_segment_fixed_size 0
		.amdhsa_kernarg_size 40
		.amdhsa_user_sgpr_count 6
		.amdhsa_user_sgpr_private_segment_buffer 1
		.amdhsa_user_sgpr_dispatch_ptr 0
		.amdhsa_user_sgpr_queue_ptr 0
		.amdhsa_user_sgpr_kernarg_segment_ptr 1
		.amdhsa_user_sgpr_dispatch_id 0
		.amdhsa_user_sgpr_flat_scratch_init 0
		.amdhsa_user_sgpr_kernarg_preload_length 0
		.amdhsa_user_sgpr_kernarg_preload_offset 0
		.amdhsa_user_sgpr_private_segment_size 0
		.amdhsa_uses_dynamic_stack 0
		.amdhsa_system_sgpr_private_segment_wavefront_offset 0
		.amdhsa_system_sgpr_workgroup_id_x 1
		.amdhsa_system_sgpr_workgroup_id_y 0
		.amdhsa_system_sgpr_workgroup_id_z 0
		.amdhsa_system_sgpr_workgroup_info 0
		.amdhsa_system_vgpr_workitem_id 0
		.amdhsa_next_free_vgpr 1
		.amdhsa_next_free_sgpr 0
		.amdhsa_accum_offset 4
		.amdhsa_reserve_vcc 0
		.amdhsa_reserve_flat_scratch 0
		.amdhsa_float_round_mode_32 0
		.amdhsa_float_round_mode_16_64 0
		.amdhsa_float_denorm_mode_32 3
		.amdhsa_float_denorm_mode_16_64 3
		.amdhsa_dx10_clamp 1
		.amdhsa_ieee_mode 1
		.amdhsa_fp16_overflow 0
		.amdhsa_tg_split 0
		.amdhsa_exception_fp_ieee_invalid_op 0
		.amdhsa_exception_fp_denorm_src 0
		.amdhsa_exception_fp_ieee_div_zero 0
		.amdhsa_exception_fp_ieee_overflow 0
		.amdhsa_exception_fp_ieee_underflow 0
		.amdhsa_exception_fp_ieee_inexact 0
		.amdhsa_exception_int_div_zero 0
	.end_amdhsa_kernel
	.section	.text._ZN7rocprim17ROCPRIM_400000_NS6detail17trampoline_kernelINS0_14default_configENS1_20scan_config_selectorIdEEZZNS1_9scan_implILNS1_25lookback_scan_determinismE0ELb1ELb1ES3_N6thrust23THRUST_200600_302600_NS6detail15normal_iteratorINS9_10device_ptrIdEEEESE_dNS9_4plusIvEEdEEDaPvRmT3_T4_T5_mT6_P12ihipStream_tbENKUlT_T0_E_clISt17integral_constantIbLb1EESU_EEDaSP_SQ_EUlSP_E0_NS1_11comp_targetILNS1_3genE2ELNS1_11target_archE906ELNS1_3gpuE6ELNS1_3repE0EEENS1_30default_config_static_selectorELNS0_4arch9wavefront6targetE1EEEvT1_,"axG",@progbits,_ZN7rocprim17ROCPRIM_400000_NS6detail17trampoline_kernelINS0_14default_configENS1_20scan_config_selectorIdEEZZNS1_9scan_implILNS1_25lookback_scan_determinismE0ELb1ELb1ES3_N6thrust23THRUST_200600_302600_NS6detail15normal_iteratorINS9_10device_ptrIdEEEESE_dNS9_4plusIvEEdEEDaPvRmT3_T4_T5_mT6_P12ihipStream_tbENKUlT_T0_E_clISt17integral_constantIbLb1EESU_EEDaSP_SQ_EUlSP_E0_NS1_11comp_targetILNS1_3genE2ELNS1_11target_archE906ELNS1_3gpuE6ELNS1_3repE0EEENS1_30default_config_static_selectorELNS0_4arch9wavefront6targetE1EEEvT1_,comdat
.Lfunc_end4245:
	.size	_ZN7rocprim17ROCPRIM_400000_NS6detail17trampoline_kernelINS0_14default_configENS1_20scan_config_selectorIdEEZZNS1_9scan_implILNS1_25lookback_scan_determinismE0ELb1ELb1ES3_N6thrust23THRUST_200600_302600_NS6detail15normal_iteratorINS9_10device_ptrIdEEEESE_dNS9_4plusIvEEdEEDaPvRmT3_T4_T5_mT6_P12ihipStream_tbENKUlT_T0_E_clISt17integral_constantIbLb1EESU_EEDaSP_SQ_EUlSP_E0_NS1_11comp_targetILNS1_3genE2ELNS1_11target_archE906ELNS1_3gpuE6ELNS1_3repE0EEENS1_30default_config_static_selectorELNS0_4arch9wavefront6targetE1EEEvT1_, .Lfunc_end4245-_ZN7rocprim17ROCPRIM_400000_NS6detail17trampoline_kernelINS0_14default_configENS1_20scan_config_selectorIdEEZZNS1_9scan_implILNS1_25lookback_scan_determinismE0ELb1ELb1ES3_N6thrust23THRUST_200600_302600_NS6detail15normal_iteratorINS9_10device_ptrIdEEEESE_dNS9_4plusIvEEdEEDaPvRmT3_T4_T5_mT6_P12ihipStream_tbENKUlT_T0_E_clISt17integral_constantIbLb1EESU_EEDaSP_SQ_EUlSP_E0_NS1_11comp_targetILNS1_3genE2ELNS1_11target_archE906ELNS1_3gpuE6ELNS1_3repE0EEENS1_30default_config_static_selectorELNS0_4arch9wavefront6targetE1EEEvT1_
                                        ; -- End function
	.section	.AMDGPU.csdata,"",@progbits
; Kernel info:
; codeLenInByte = 0
; NumSgprs: 4
; NumVgprs: 0
; NumAgprs: 0
; TotalNumVgprs: 0
; ScratchSize: 0
; MemoryBound: 0
; FloatMode: 240
; IeeeMode: 1
; LDSByteSize: 0 bytes/workgroup (compile time only)
; SGPRBlocks: 0
; VGPRBlocks: 0
; NumSGPRsForWavesPerEU: 4
; NumVGPRsForWavesPerEU: 1
; AccumOffset: 4
; Occupancy: 8
; WaveLimiterHint : 0
; COMPUTE_PGM_RSRC2:SCRATCH_EN: 0
; COMPUTE_PGM_RSRC2:USER_SGPR: 6
; COMPUTE_PGM_RSRC2:TRAP_HANDLER: 0
; COMPUTE_PGM_RSRC2:TGID_X_EN: 1
; COMPUTE_PGM_RSRC2:TGID_Y_EN: 0
; COMPUTE_PGM_RSRC2:TGID_Z_EN: 0
; COMPUTE_PGM_RSRC2:TIDIG_COMP_CNT: 0
; COMPUTE_PGM_RSRC3_GFX90A:ACCUM_OFFSET: 0
; COMPUTE_PGM_RSRC3_GFX90A:TG_SPLIT: 0
	.section	.text._ZN7rocprim17ROCPRIM_400000_NS6detail17trampoline_kernelINS0_14default_configENS1_20scan_config_selectorIdEEZZNS1_9scan_implILNS1_25lookback_scan_determinismE0ELb1ELb1ES3_N6thrust23THRUST_200600_302600_NS6detail15normal_iteratorINS9_10device_ptrIdEEEESE_dNS9_4plusIvEEdEEDaPvRmT3_T4_T5_mT6_P12ihipStream_tbENKUlT_T0_E_clISt17integral_constantIbLb1EESU_EEDaSP_SQ_EUlSP_E0_NS1_11comp_targetILNS1_3genE10ELNS1_11target_archE1201ELNS1_3gpuE5ELNS1_3repE0EEENS1_30default_config_static_selectorELNS0_4arch9wavefront6targetE1EEEvT1_,"axG",@progbits,_ZN7rocprim17ROCPRIM_400000_NS6detail17trampoline_kernelINS0_14default_configENS1_20scan_config_selectorIdEEZZNS1_9scan_implILNS1_25lookback_scan_determinismE0ELb1ELb1ES3_N6thrust23THRUST_200600_302600_NS6detail15normal_iteratorINS9_10device_ptrIdEEEESE_dNS9_4plusIvEEdEEDaPvRmT3_T4_T5_mT6_P12ihipStream_tbENKUlT_T0_E_clISt17integral_constantIbLb1EESU_EEDaSP_SQ_EUlSP_E0_NS1_11comp_targetILNS1_3genE10ELNS1_11target_archE1201ELNS1_3gpuE5ELNS1_3repE0EEENS1_30default_config_static_selectorELNS0_4arch9wavefront6targetE1EEEvT1_,comdat
	.protected	_ZN7rocprim17ROCPRIM_400000_NS6detail17trampoline_kernelINS0_14default_configENS1_20scan_config_selectorIdEEZZNS1_9scan_implILNS1_25lookback_scan_determinismE0ELb1ELb1ES3_N6thrust23THRUST_200600_302600_NS6detail15normal_iteratorINS9_10device_ptrIdEEEESE_dNS9_4plusIvEEdEEDaPvRmT3_T4_T5_mT6_P12ihipStream_tbENKUlT_T0_E_clISt17integral_constantIbLb1EESU_EEDaSP_SQ_EUlSP_E0_NS1_11comp_targetILNS1_3genE10ELNS1_11target_archE1201ELNS1_3gpuE5ELNS1_3repE0EEENS1_30default_config_static_selectorELNS0_4arch9wavefront6targetE1EEEvT1_ ; -- Begin function _ZN7rocprim17ROCPRIM_400000_NS6detail17trampoline_kernelINS0_14default_configENS1_20scan_config_selectorIdEEZZNS1_9scan_implILNS1_25lookback_scan_determinismE0ELb1ELb1ES3_N6thrust23THRUST_200600_302600_NS6detail15normal_iteratorINS9_10device_ptrIdEEEESE_dNS9_4plusIvEEdEEDaPvRmT3_T4_T5_mT6_P12ihipStream_tbENKUlT_T0_E_clISt17integral_constantIbLb1EESU_EEDaSP_SQ_EUlSP_E0_NS1_11comp_targetILNS1_3genE10ELNS1_11target_archE1201ELNS1_3gpuE5ELNS1_3repE0EEENS1_30default_config_static_selectorELNS0_4arch9wavefront6targetE1EEEvT1_
	.globl	_ZN7rocprim17ROCPRIM_400000_NS6detail17trampoline_kernelINS0_14default_configENS1_20scan_config_selectorIdEEZZNS1_9scan_implILNS1_25lookback_scan_determinismE0ELb1ELb1ES3_N6thrust23THRUST_200600_302600_NS6detail15normal_iteratorINS9_10device_ptrIdEEEESE_dNS9_4plusIvEEdEEDaPvRmT3_T4_T5_mT6_P12ihipStream_tbENKUlT_T0_E_clISt17integral_constantIbLb1EESU_EEDaSP_SQ_EUlSP_E0_NS1_11comp_targetILNS1_3genE10ELNS1_11target_archE1201ELNS1_3gpuE5ELNS1_3repE0EEENS1_30default_config_static_selectorELNS0_4arch9wavefront6targetE1EEEvT1_
	.p2align	8
	.type	_ZN7rocprim17ROCPRIM_400000_NS6detail17trampoline_kernelINS0_14default_configENS1_20scan_config_selectorIdEEZZNS1_9scan_implILNS1_25lookback_scan_determinismE0ELb1ELb1ES3_N6thrust23THRUST_200600_302600_NS6detail15normal_iteratorINS9_10device_ptrIdEEEESE_dNS9_4plusIvEEdEEDaPvRmT3_T4_T5_mT6_P12ihipStream_tbENKUlT_T0_E_clISt17integral_constantIbLb1EESU_EEDaSP_SQ_EUlSP_E0_NS1_11comp_targetILNS1_3genE10ELNS1_11target_archE1201ELNS1_3gpuE5ELNS1_3repE0EEENS1_30default_config_static_selectorELNS0_4arch9wavefront6targetE1EEEvT1_,@function
_ZN7rocprim17ROCPRIM_400000_NS6detail17trampoline_kernelINS0_14default_configENS1_20scan_config_selectorIdEEZZNS1_9scan_implILNS1_25lookback_scan_determinismE0ELb1ELb1ES3_N6thrust23THRUST_200600_302600_NS6detail15normal_iteratorINS9_10device_ptrIdEEEESE_dNS9_4plusIvEEdEEDaPvRmT3_T4_T5_mT6_P12ihipStream_tbENKUlT_T0_E_clISt17integral_constantIbLb1EESU_EEDaSP_SQ_EUlSP_E0_NS1_11comp_targetILNS1_3genE10ELNS1_11target_archE1201ELNS1_3gpuE5ELNS1_3repE0EEENS1_30default_config_static_selectorELNS0_4arch9wavefront6targetE1EEEvT1_: ; @_ZN7rocprim17ROCPRIM_400000_NS6detail17trampoline_kernelINS0_14default_configENS1_20scan_config_selectorIdEEZZNS1_9scan_implILNS1_25lookback_scan_determinismE0ELb1ELb1ES3_N6thrust23THRUST_200600_302600_NS6detail15normal_iteratorINS9_10device_ptrIdEEEESE_dNS9_4plusIvEEdEEDaPvRmT3_T4_T5_mT6_P12ihipStream_tbENKUlT_T0_E_clISt17integral_constantIbLb1EESU_EEDaSP_SQ_EUlSP_E0_NS1_11comp_targetILNS1_3genE10ELNS1_11target_archE1201ELNS1_3gpuE5ELNS1_3repE0EEENS1_30default_config_static_selectorELNS0_4arch9wavefront6targetE1EEEvT1_
; %bb.0:
	.section	.rodata,"a",@progbits
	.p2align	6, 0x0
	.amdhsa_kernel _ZN7rocprim17ROCPRIM_400000_NS6detail17trampoline_kernelINS0_14default_configENS1_20scan_config_selectorIdEEZZNS1_9scan_implILNS1_25lookback_scan_determinismE0ELb1ELb1ES3_N6thrust23THRUST_200600_302600_NS6detail15normal_iteratorINS9_10device_ptrIdEEEESE_dNS9_4plusIvEEdEEDaPvRmT3_T4_T5_mT6_P12ihipStream_tbENKUlT_T0_E_clISt17integral_constantIbLb1EESU_EEDaSP_SQ_EUlSP_E0_NS1_11comp_targetILNS1_3genE10ELNS1_11target_archE1201ELNS1_3gpuE5ELNS1_3repE0EEENS1_30default_config_static_selectorELNS0_4arch9wavefront6targetE1EEEvT1_
		.amdhsa_group_segment_fixed_size 0
		.amdhsa_private_segment_fixed_size 0
		.amdhsa_kernarg_size 40
		.amdhsa_user_sgpr_count 6
		.amdhsa_user_sgpr_private_segment_buffer 1
		.amdhsa_user_sgpr_dispatch_ptr 0
		.amdhsa_user_sgpr_queue_ptr 0
		.amdhsa_user_sgpr_kernarg_segment_ptr 1
		.amdhsa_user_sgpr_dispatch_id 0
		.amdhsa_user_sgpr_flat_scratch_init 0
		.amdhsa_user_sgpr_kernarg_preload_length 0
		.amdhsa_user_sgpr_kernarg_preload_offset 0
		.amdhsa_user_sgpr_private_segment_size 0
		.amdhsa_uses_dynamic_stack 0
		.amdhsa_system_sgpr_private_segment_wavefront_offset 0
		.amdhsa_system_sgpr_workgroup_id_x 1
		.amdhsa_system_sgpr_workgroup_id_y 0
		.amdhsa_system_sgpr_workgroup_id_z 0
		.amdhsa_system_sgpr_workgroup_info 0
		.amdhsa_system_vgpr_workitem_id 0
		.amdhsa_next_free_vgpr 1
		.amdhsa_next_free_sgpr 0
		.amdhsa_accum_offset 4
		.amdhsa_reserve_vcc 0
		.amdhsa_reserve_flat_scratch 0
		.amdhsa_float_round_mode_32 0
		.amdhsa_float_round_mode_16_64 0
		.amdhsa_float_denorm_mode_32 3
		.amdhsa_float_denorm_mode_16_64 3
		.amdhsa_dx10_clamp 1
		.amdhsa_ieee_mode 1
		.amdhsa_fp16_overflow 0
		.amdhsa_tg_split 0
		.amdhsa_exception_fp_ieee_invalid_op 0
		.amdhsa_exception_fp_denorm_src 0
		.amdhsa_exception_fp_ieee_div_zero 0
		.amdhsa_exception_fp_ieee_overflow 0
		.amdhsa_exception_fp_ieee_underflow 0
		.amdhsa_exception_fp_ieee_inexact 0
		.amdhsa_exception_int_div_zero 0
	.end_amdhsa_kernel
	.section	.text._ZN7rocprim17ROCPRIM_400000_NS6detail17trampoline_kernelINS0_14default_configENS1_20scan_config_selectorIdEEZZNS1_9scan_implILNS1_25lookback_scan_determinismE0ELb1ELb1ES3_N6thrust23THRUST_200600_302600_NS6detail15normal_iteratorINS9_10device_ptrIdEEEESE_dNS9_4plusIvEEdEEDaPvRmT3_T4_T5_mT6_P12ihipStream_tbENKUlT_T0_E_clISt17integral_constantIbLb1EESU_EEDaSP_SQ_EUlSP_E0_NS1_11comp_targetILNS1_3genE10ELNS1_11target_archE1201ELNS1_3gpuE5ELNS1_3repE0EEENS1_30default_config_static_selectorELNS0_4arch9wavefront6targetE1EEEvT1_,"axG",@progbits,_ZN7rocprim17ROCPRIM_400000_NS6detail17trampoline_kernelINS0_14default_configENS1_20scan_config_selectorIdEEZZNS1_9scan_implILNS1_25lookback_scan_determinismE0ELb1ELb1ES3_N6thrust23THRUST_200600_302600_NS6detail15normal_iteratorINS9_10device_ptrIdEEEESE_dNS9_4plusIvEEdEEDaPvRmT3_T4_T5_mT6_P12ihipStream_tbENKUlT_T0_E_clISt17integral_constantIbLb1EESU_EEDaSP_SQ_EUlSP_E0_NS1_11comp_targetILNS1_3genE10ELNS1_11target_archE1201ELNS1_3gpuE5ELNS1_3repE0EEENS1_30default_config_static_selectorELNS0_4arch9wavefront6targetE1EEEvT1_,comdat
.Lfunc_end4246:
	.size	_ZN7rocprim17ROCPRIM_400000_NS6detail17trampoline_kernelINS0_14default_configENS1_20scan_config_selectorIdEEZZNS1_9scan_implILNS1_25lookback_scan_determinismE0ELb1ELb1ES3_N6thrust23THRUST_200600_302600_NS6detail15normal_iteratorINS9_10device_ptrIdEEEESE_dNS9_4plusIvEEdEEDaPvRmT3_T4_T5_mT6_P12ihipStream_tbENKUlT_T0_E_clISt17integral_constantIbLb1EESU_EEDaSP_SQ_EUlSP_E0_NS1_11comp_targetILNS1_3genE10ELNS1_11target_archE1201ELNS1_3gpuE5ELNS1_3repE0EEENS1_30default_config_static_selectorELNS0_4arch9wavefront6targetE1EEEvT1_, .Lfunc_end4246-_ZN7rocprim17ROCPRIM_400000_NS6detail17trampoline_kernelINS0_14default_configENS1_20scan_config_selectorIdEEZZNS1_9scan_implILNS1_25lookback_scan_determinismE0ELb1ELb1ES3_N6thrust23THRUST_200600_302600_NS6detail15normal_iteratorINS9_10device_ptrIdEEEESE_dNS9_4plusIvEEdEEDaPvRmT3_T4_T5_mT6_P12ihipStream_tbENKUlT_T0_E_clISt17integral_constantIbLb1EESU_EEDaSP_SQ_EUlSP_E0_NS1_11comp_targetILNS1_3genE10ELNS1_11target_archE1201ELNS1_3gpuE5ELNS1_3repE0EEENS1_30default_config_static_selectorELNS0_4arch9wavefront6targetE1EEEvT1_
                                        ; -- End function
	.section	.AMDGPU.csdata,"",@progbits
; Kernel info:
; codeLenInByte = 0
; NumSgprs: 4
; NumVgprs: 0
; NumAgprs: 0
; TotalNumVgprs: 0
; ScratchSize: 0
; MemoryBound: 0
; FloatMode: 240
; IeeeMode: 1
; LDSByteSize: 0 bytes/workgroup (compile time only)
; SGPRBlocks: 0
; VGPRBlocks: 0
; NumSGPRsForWavesPerEU: 4
; NumVGPRsForWavesPerEU: 1
; AccumOffset: 4
; Occupancy: 8
; WaveLimiterHint : 0
; COMPUTE_PGM_RSRC2:SCRATCH_EN: 0
; COMPUTE_PGM_RSRC2:USER_SGPR: 6
; COMPUTE_PGM_RSRC2:TRAP_HANDLER: 0
; COMPUTE_PGM_RSRC2:TGID_X_EN: 1
; COMPUTE_PGM_RSRC2:TGID_Y_EN: 0
; COMPUTE_PGM_RSRC2:TGID_Z_EN: 0
; COMPUTE_PGM_RSRC2:TIDIG_COMP_CNT: 0
; COMPUTE_PGM_RSRC3_GFX90A:ACCUM_OFFSET: 0
; COMPUTE_PGM_RSRC3_GFX90A:TG_SPLIT: 0
	.section	.text._ZN7rocprim17ROCPRIM_400000_NS6detail17trampoline_kernelINS0_14default_configENS1_20scan_config_selectorIdEEZZNS1_9scan_implILNS1_25lookback_scan_determinismE0ELb1ELb1ES3_N6thrust23THRUST_200600_302600_NS6detail15normal_iteratorINS9_10device_ptrIdEEEESE_dNS9_4plusIvEEdEEDaPvRmT3_T4_T5_mT6_P12ihipStream_tbENKUlT_T0_E_clISt17integral_constantIbLb1EESU_EEDaSP_SQ_EUlSP_E0_NS1_11comp_targetILNS1_3genE10ELNS1_11target_archE1200ELNS1_3gpuE4ELNS1_3repE0EEENS1_30default_config_static_selectorELNS0_4arch9wavefront6targetE1EEEvT1_,"axG",@progbits,_ZN7rocprim17ROCPRIM_400000_NS6detail17trampoline_kernelINS0_14default_configENS1_20scan_config_selectorIdEEZZNS1_9scan_implILNS1_25lookback_scan_determinismE0ELb1ELb1ES3_N6thrust23THRUST_200600_302600_NS6detail15normal_iteratorINS9_10device_ptrIdEEEESE_dNS9_4plusIvEEdEEDaPvRmT3_T4_T5_mT6_P12ihipStream_tbENKUlT_T0_E_clISt17integral_constantIbLb1EESU_EEDaSP_SQ_EUlSP_E0_NS1_11comp_targetILNS1_3genE10ELNS1_11target_archE1200ELNS1_3gpuE4ELNS1_3repE0EEENS1_30default_config_static_selectorELNS0_4arch9wavefront6targetE1EEEvT1_,comdat
	.protected	_ZN7rocprim17ROCPRIM_400000_NS6detail17trampoline_kernelINS0_14default_configENS1_20scan_config_selectorIdEEZZNS1_9scan_implILNS1_25lookback_scan_determinismE0ELb1ELb1ES3_N6thrust23THRUST_200600_302600_NS6detail15normal_iteratorINS9_10device_ptrIdEEEESE_dNS9_4plusIvEEdEEDaPvRmT3_T4_T5_mT6_P12ihipStream_tbENKUlT_T0_E_clISt17integral_constantIbLb1EESU_EEDaSP_SQ_EUlSP_E0_NS1_11comp_targetILNS1_3genE10ELNS1_11target_archE1200ELNS1_3gpuE4ELNS1_3repE0EEENS1_30default_config_static_selectorELNS0_4arch9wavefront6targetE1EEEvT1_ ; -- Begin function _ZN7rocprim17ROCPRIM_400000_NS6detail17trampoline_kernelINS0_14default_configENS1_20scan_config_selectorIdEEZZNS1_9scan_implILNS1_25lookback_scan_determinismE0ELb1ELb1ES3_N6thrust23THRUST_200600_302600_NS6detail15normal_iteratorINS9_10device_ptrIdEEEESE_dNS9_4plusIvEEdEEDaPvRmT3_T4_T5_mT6_P12ihipStream_tbENKUlT_T0_E_clISt17integral_constantIbLb1EESU_EEDaSP_SQ_EUlSP_E0_NS1_11comp_targetILNS1_3genE10ELNS1_11target_archE1200ELNS1_3gpuE4ELNS1_3repE0EEENS1_30default_config_static_selectorELNS0_4arch9wavefront6targetE1EEEvT1_
	.globl	_ZN7rocprim17ROCPRIM_400000_NS6detail17trampoline_kernelINS0_14default_configENS1_20scan_config_selectorIdEEZZNS1_9scan_implILNS1_25lookback_scan_determinismE0ELb1ELb1ES3_N6thrust23THRUST_200600_302600_NS6detail15normal_iteratorINS9_10device_ptrIdEEEESE_dNS9_4plusIvEEdEEDaPvRmT3_T4_T5_mT6_P12ihipStream_tbENKUlT_T0_E_clISt17integral_constantIbLb1EESU_EEDaSP_SQ_EUlSP_E0_NS1_11comp_targetILNS1_3genE10ELNS1_11target_archE1200ELNS1_3gpuE4ELNS1_3repE0EEENS1_30default_config_static_selectorELNS0_4arch9wavefront6targetE1EEEvT1_
	.p2align	8
	.type	_ZN7rocprim17ROCPRIM_400000_NS6detail17trampoline_kernelINS0_14default_configENS1_20scan_config_selectorIdEEZZNS1_9scan_implILNS1_25lookback_scan_determinismE0ELb1ELb1ES3_N6thrust23THRUST_200600_302600_NS6detail15normal_iteratorINS9_10device_ptrIdEEEESE_dNS9_4plusIvEEdEEDaPvRmT3_T4_T5_mT6_P12ihipStream_tbENKUlT_T0_E_clISt17integral_constantIbLb1EESU_EEDaSP_SQ_EUlSP_E0_NS1_11comp_targetILNS1_3genE10ELNS1_11target_archE1200ELNS1_3gpuE4ELNS1_3repE0EEENS1_30default_config_static_selectorELNS0_4arch9wavefront6targetE1EEEvT1_,@function
_ZN7rocprim17ROCPRIM_400000_NS6detail17trampoline_kernelINS0_14default_configENS1_20scan_config_selectorIdEEZZNS1_9scan_implILNS1_25lookback_scan_determinismE0ELb1ELb1ES3_N6thrust23THRUST_200600_302600_NS6detail15normal_iteratorINS9_10device_ptrIdEEEESE_dNS9_4plusIvEEdEEDaPvRmT3_T4_T5_mT6_P12ihipStream_tbENKUlT_T0_E_clISt17integral_constantIbLb1EESU_EEDaSP_SQ_EUlSP_E0_NS1_11comp_targetILNS1_3genE10ELNS1_11target_archE1200ELNS1_3gpuE4ELNS1_3repE0EEENS1_30default_config_static_selectorELNS0_4arch9wavefront6targetE1EEEvT1_: ; @_ZN7rocprim17ROCPRIM_400000_NS6detail17trampoline_kernelINS0_14default_configENS1_20scan_config_selectorIdEEZZNS1_9scan_implILNS1_25lookback_scan_determinismE0ELb1ELb1ES3_N6thrust23THRUST_200600_302600_NS6detail15normal_iteratorINS9_10device_ptrIdEEEESE_dNS9_4plusIvEEdEEDaPvRmT3_T4_T5_mT6_P12ihipStream_tbENKUlT_T0_E_clISt17integral_constantIbLb1EESU_EEDaSP_SQ_EUlSP_E0_NS1_11comp_targetILNS1_3genE10ELNS1_11target_archE1200ELNS1_3gpuE4ELNS1_3repE0EEENS1_30default_config_static_selectorELNS0_4arch9wavefront6targetE1EEEvT1_
; %bb.0:
	.section	.rodata,"a",@progbits
	.p2align	6, 0x0
	.amdhsa_kernel _ZN7rocprim17ROCPRIM_400000_NS6detail17trampoline_kernelINS0_14default_configENS1_20scan_config_selectorIdEEZZNS1_9scan_implILNS1_25lookback_scan_determinismE0ELb1ELb1ES3_N6thrust23THRUST_200600_302600_NS6detail15normal_iteratorINS9_10device_ptrIdEEEESE_dNS9_4plusIvEEdEEDaPvRmT3_T4_T5_mT6_P12ihipStream_tbENKUlT_T0_E_clISt17integral_constantIbLb1EESU_EEDaSP_SQ_EUlSP_E0_NS1_11comp_targetILNS1_3genE10ELNS1_11target_archE1200ELNS1_3gpuE4ELNS1_3repE0EEENS1_30default_config_static_selectorELNS0_4arch9wavefront6targetE1EEEvT1_
		.amdhsa_group_segment_fixed_size 0
		.amdhsa_private_segment_fixed_size 0
		.amdhsa_kernarg_size 40
		.amdhsa_user_sgpr_count 6
		.amdhsa_user_sgpr_private_segment_buffer 1
		.amdhsa_user_sgpr_dispatch_ptr 0
		.amdhsa_user_sgpr_queue_ptr 0
		.amdhsa_user_sgpr_kernarg_segment_ptr 1
		.amdhsa_user_sgpr_dispatch_id 0
		.amdhsa_user_sgpr_flat_scratch_init 0
		.amdhsa_user_sgpr_kernarg_preload_length 0
		.amdhsa_user_sgpr_kernarg_preload_offset 0
		.amdhsa_user_sgpr_private_segment_size 0
		.amdhsa_uses_dynamic_stack 0
		.amdhsa_system_sgpr_private_segment_wavefront_offset 0
		.amdhsa_system_sgpr_workgroup_id_x 1
		.amdhsa_system_sgpr_workgroup_id_y 0
		.amdhsa_system_sgpr_workgroup_id_z 0
		.amdhsa_system_sgpr_workgroup_info 0
		.amdhsa_system_vgpr_workitem_id 0
		.amdhsa_next_free_vgpr 1
		.amdhsa_next_free_sgpr 0
		.amdhsa_accum_offset 4
		.amdhsa_reserve_vcc 0
		.amdhsa_reserve_flat_scratch 0
		.amdhsa_float_round_mode_32 0
		.amdhsa_float_round_mode_16_64 0
		.amdhsa_float_denorm_mode_32 3
		.amdhsa_float_denorm_mode_16_64 3
		.amdhsa_dx10_clamp 1
		.amdhsa_ieee_mode 1
		.amdhsa_fp16_overflow 0
		.amdhsa_tg_split 0
		.amdhsa_exception_fp_ieee_invalid_op 0
		.amdhsa_exception_fp_denorm_src 0
		.amdhsa_exception_fp_ieee_div_zero 0
		.amdhsa_exception_fp_ieee_overflow 0
		.amdhsa_exception_fp_ieee_underflow 0
		.amdhsa_exception_fp_ieee_inexact 0
		.amdhsa_exception_int_div_zero 0
	.end_amdhsa_kernel
	.section	.text._ZN7rocprim17ROCPRIM_400000_NS6detail17trampoline_kernelINS0_14default_configENS1_20scan_config_selectorIdEEZZNS1_9scan_implILNS1_25lookback_scan_determinismE0ELb1ELb1ES3_N6thrust23THRUST_200600_302600_NS6detail15normal_iteratorINS9_10device_ptrIdEEEESE_dNS9_4plusIvEEdEEDaPvRmT3_T4_T5_mT6_P12ihipStream_tbENKUlT_T0_E_clISt17integral_constantIbLb1EESU_EEDaSP_SQ_EUlSP_E0_NS1_11comp_targetILNS1_3genE10ELNS1_11target_archE1200ELNS1_3gpuE4ELNS1_3repE0EEENS1_30default_config_static_selectorELNS0_4arch9wavefront6targetE1EEEvT1_,"axG",@progbits,_ZN7rocprim17ROCPRIM_400000_NS6detail17trampoline_kernelINS0_14default_configENS1_20scan_config_selectorIdEEZZNS1_9scan_implILNS1_25lookback_scan_determinismE0ELb1ELb1ES3_N6thrust23THRUST_200600_302600_NS6detail15normal_iteratorINS9_10device_ptrIdEEEESE_dNS9_4plusIvEEdEEDaPvRmT3_T4_T5_mT6_P12ihipStream_tbENKUlT_T0_E_clISt17integral_constantIbLb1EESU_EEDaSP_SQ_EUlSP_E0_NS1_11comp_targetILNS1_3genE10ELNS1_11target_archE1200ELNS1_3gpuE4ELNS1_3repE0EEENS1_30default_config_static_selectorELNS0_4arch9wavefront6targetE1EEEvT1_,comdat
.Lfunc_end4247:
	.size	_ZN7rocprim17ROCPRIM_400000_NS6detail17trampoline_kernelINS0_14default_configENS1_20scan_config_selectorIdEEZZNS1_9scan_implILNS1_25lookback_scan_determinismE0ELb1ELb1ES3_N6thrust23THRUST_200600_302600_NS6detail15normal_iteratorINS9_10device_ptrIdEEEESE_dNS9_4plusIvEEdEEDaPvRmT3_T4_T5_mT6_P12ihipStream_tbENKUlT_T0_E_clISt17integral_constantIbLb1EESU_EEDaSP_SQ_EUlSP_E0_NS1_11comp_targetILNS1_3genE10ELNS1_11target_archE1200ELNS1_3gpuE4ELNS1_3repE0EEENS1_30default_config_static_selectorELNS0_4arch9wavefront6targetE1EEEvT1_, .Lfunc_end4247-_ZN7rocprim17ROCPRIM_400000_NS6detail17trampoline_kernelINS0_14default_configENS1_20scan_config_selectorIdEEZZNS1_9scan_implILNS1_25lookback_scan_determinismE0ELb1ELb1ES3_N6thrust23THRUST_200600_302600_NS6detail15normal_iteratorINS9_10device_ptrIdEEEESE_dNS9_4plusIvEEdEEDaPvRmT3_T4_T5_mT6_P12ihipStream_tbENKUlT_T0_E_clISt17integral_constantIbLb1EESU_EEDaSP_SQ_EUlSP_E0_NS1_11comp_targetILNS1_3genE10ELNS1_11target_archE1200ELNS1_3gpuE4ELNS1_3repE0EEENS1_30default_config_static_selectorELNS0_4arch9wavefront6targetE1EEEvT1_
                                        ; -- End function
	.section	.AMDGPU.csdata,"",@progbits
; Kernel info:
; codeLenInByte = 0
; NumSgprs: 4
; NumVgprs: 0
; NumAgprs: 0
; TotalNumVgprs: 0
; ScratchSize: 0
; MemoryBound: 0
; FloatMode: 240
; IeeeMode: 1
; LDSByteSize: 0 bytes/workgroup (compile time only)
; SGPRBlocks: 0
; VGPRBlocks: 0
; NumSGPRsForWavesPerEU: 4
; NumVGPRsForWavesPerEU: 1
; AccumOffset: 4
; Occupancy: 8
; WaveLimiterHint : 0
; COMPUTE_PGM_RSRC2:SCRATCH_EN: 0
; COMPUTE_PGM_RSRC2:USER_SGPR: 6
; COMPUTE_PGM_RSRC2:TRAP_HANDLER: 0
; COMPUTE_PGM_RSRC2:TGID_X_EN: 1
; COMPUTE_PGM_RSRC2:TGID_Y_EN: 0
; COMPUTE_PGM_RSRC2:TGID_Z_EN: 0
; COMPUTE_PGM_RSRC2:TIDIG_COMP_CNT: 0
; COMPUTE_PGM_RSRC3_GFX90A:ACCUM_OFFSET: 0
; COMPUTE_PGM_RSRC3_GFX90A:TG_SPLIT: 0
	.section	.text._ZN7rocprim17ROCPRIM_400000_NS6detail17trampoline_kernelINS0_14default_configENS1_20scan_config_selectorIdEEZZNS1_9scan_implILNS1_25lookback_scan_determinismE0ELb1ELb1ES3_N6thrust23THRUST_200600_302600_NS6detail15normal_iteratorINS9_10device_ptrIdEEEESE_dNS9_4plusIvEEdEEDaPvRmT3_T4_T5_mT6_P12ihipStream_tbENKUlT_T0_E_clISt17integral_constantIbLb1EESU_EEDaSP_SQ_EUlSP_E0_NS1_11comp_targetILNS1_3genE9ELNS1_11target_archE1100ELNS1_3gpuE3ELNS1_3repE0EEENS1_30default_config_static_selectorELNS0_4arch9wavefront6targetE1EEEvT1_,"axG",@progbits,_ZN7rocprim17ROCPRIM_400000_NS6detail17trampoline_kernelINS0_14default_configENS1_20scan_config_selectorIdEEZZNS1_9scan_implILNS1_25lookback_scan_determinismE0ELb1ELb1ES3_N6thrust23THRUST_200600_302600_NS6detail15normal_iteratorINS9_10device_ptrIdEEEESE_dNS9_4plusIvEEdEEDaPvRmT3_T4_T5_mT6_P12ihipStream_tbENKUlT_T0_E_clISt17integral_constantIbLb1EESU_EEDaSP_SQ_EUlSP_E0_NS1_11comp_targetILNS1_3genE9ELNS1_11target_archE1100ELNS1_3gpuE3ELNS1_3repE0EEENS1_30default_config_static_selectorELNS0_4arch9wavefront6targetE1EEEvT1_,comdat
	.protected	_ZN7rocprim17ROCPRIM_400000_NS6detail17trampoline_kernelINS0_14default_configENS1_20scan_config_selectorIdEEZZNS1_9scan_implILNS1_25lookback_scan_determinismE0ELb1ELb1ES3_N6thrust23THRUST_200600_302600_NS6detail15normal_iteratorINS9_10device_ptrIdEEEESE_dNS9_4plusIvEEdEEDaPvRmT3_T4_T5_mT6_P12ihipStream_tbENKUlT_T0_E_clISt17integral_constantIbLb1EESU_EEDaSP_SQ_EUlSP_E0_NS1_11comp_targetILNS1_3genE9ELNS1_11target_archE1100ELNS1_3gpuE3ELNS1_3repE0EEENS1_30default_config_static_selectorELNS0_4arch9wavefront6targetE1EEEvT1_ ; -- Begin function _ZN7rocprim17ROCPRIM_400000_NS6detail17trampoline_kernelINS0_14default_configENS1_20scan_config_selectorIdEEZZNS1_9scan_implILNS1_25lookback_scan_determinismE0ELb1ELb1ES3_N6thrust23THRUST_200600_302600_NS6detail15normal_iteratorINS9_10device_ptrIdEEEESE_dNS9_4plusIvEEdEEDaPvRmT3_T4_T5_mT6_P12ihipStream_tbENKUlT_T0_E_clISt17integral_constantIbLb1EESU_EEDaSP_SQ_EUlSP_E0_NS1_11comp_targetILNS1_3genE9ELNS1_11target_archE1100ELNS1_3gpuE3ELNS1_3repE0EEENS1_30default_config_static_selectorELNS0_4arch9wavefront6targetE1EEEvT1_
	.globl	_ZN7rocprim17ROCPRIM_400000_NS6detail17trampoline_kernelINS0_14default_configENS1_20scan_config_selectorIdEEZZNS1_9scan_implILNS1_25lookback_scan_determinismE0ELb1ELb1ES3_N6thrust23THRUST_200600_302600_NS6detail15normal_iteratorINS9_10device_ptrIdEEEESE_dNS9_4plusIvEEdEEDaPvRmT3_T4_T5_mT6_P12ihipStream_tbENKUlT_T0_E_clISt17integral_constantIbLb1EESU_EEDaSP_SQ_EUlSP_E0_NS1_11comp_targetILNS1_3genE9ELNS1_11target_archE1100ELNS1_3gpuE3ELNS1_3repE0EEENS1_30default_config_static_selectorELNS0_4arch9wavefront6targetE1EEEvT1_
	.p2align	8
	.type	_ZN7rocprim17ROCPRIM_400000_NS6detail17trampoline_kernelINS0_14default_configENS1_20scan_config_selectorIdEEZZNS1_9scan_implILNS1_25lookback_scan_determinismE0ELb1ELb1ES3_N6thrust23THRUST_200600_302600_NS6detail15normal_iteratorINS9_10device_ptrIdEEEESE_dNS9_4plusIvEEdEEDaPvRmT3_T4_T5_mT6_P12ihipStream_tbENKUlT_T0_E_clISt17integral_constantIbLb1EESU_EEDaSP_SQ_EUlSP_E0_NS1_11comp_targetILNS1_3genE9ELNS1_11target_archE1100ELNS1_3gpuE3ELNS1_3repE0EEENS1_30default_config_static_selectorELNS0_4arch9wavefront6targetE1EEEvT1_,@function
_ZN7rocprim17ROCPRIM_400000_NS6detail17trampoline_kernelINS0_14default_configENS1_20scan_config_selectorIdEEZZNS1_9scan_implILNS1_25lookback_scan_determinismE0ELb1ELb1ES3_N6thrust23THRUST_200600_302600_NS6detail15normal_iteratorINS9_10device_ptrIdEEEESE_dNS9_4plusIvEEdEEDaPvRmT3_T4_T5_mT6_P12ihipStream_tbENKUlT_T0_E_clISt17integral_constantIbLb1EESU_EEDaSP_SQ_EUlSP_E0_NS1_11comp_targetILNS1_3genE9ELNS1_11target_archE1100ELNS1_3gpuE3ELNS1_3repE0EEENS1_30default_config_static_selectorELNS0_4arch9wavefront6targetE1EEEvT1_: ; @_ZN7rocprim17ROCPRIM_400000_NS6detail17trampoline_kernelINS0_14default_configENS1_20scan_config_selectorIdEEZZNS1_9scan_implILNS1_25lookback_scan_determinismE0ELb1ELb1ES3_N6thrust23THRUST_200600_302600_NS6detail15normal_iteratorINS9_10device_ptrIdEEEESE_dNS9_4plusIvEEdEEDaPvRmT3_T4_T5_mT6_P12ihipStream_tbENKUlT_T0_E_clISt17integral_constantIbLb1EESU_EEDaSP_SQ_EUlSP_E0_NS1_11comp_targetILNS1_3genE9ELNS1_11target_archE1100ELNS1_3gpuE3ELNS1_3repE0EEENS1_30default_config_static_selectorELNS0_4arch9wavefront6targetE1EEEvT1_
; %bb.0:
	.section	.rodata,"a",@progbits
	.p2align	6, 0x0
	.amdhsa_kernel _ZN7rocprim17ROCPRIM_400000_NS6detail17trampoline_kernelINS0_14default_configENS1_20scan_config_selectorIdEEZZNS1_9scan_implILNS1_25lookback_scan_determinismE0ELb1ELb1ES3_N6thrust23THRUST_200600_302600_NS6detail15normal_iteratorINS9_10device_ptrIdEEEESE_dNS9_4plusIvEEdEEDaPvRmT3_T4_T5_mT6_P12ihipStream_tbENKUlT_T0_E_clISt17integral_constantIbLb1EESU_EEDaSP_SQ_EUlSP_E0_NS1_11comp_targetILNS1_3genE9ELNS1_11target_archE1100ELNS1_3gpuE3ELNS1_3repE0EEENS1_30default_config_static_selectorELNS0_4arch9wavefront6targetE1EEEvT1_
		.amdhsa_group_segment_fixed_size 0
		.amdhsa_private_segment_fixed_size 0
		.amdhsa_kernarg_size 40
		.amdhsa_user_sgpr_count 6
		.amdhsa_user_sgpr_private_segment_buffer 1
		.amdhsa_user_sgpr_dispatch_ptr 0
		.amdhsa_user_sgpr_queue_ptr 0
		.amdhsa_user_sgpr_kernarg_segment_ptr 1
		.amdhsa_user_sgpr_dispatch_id 0
		.amdhsa_user_sgpr_flat_scratch_init 0
		.amdhsa_user_sgpr_kernarg_preload_length 0
		.amdhsa_user_sgpr_kernarg_preload_offset 0
		.amdhsa_user_sgpr_private_segment_size 0
		.amdhsa_uses_dynamic_stack 0
		.amdhsa_system_sgpr_private_segment_wavefront_offset 0
		.amdhsa_system_sgpr_workgroup_id_x 1
		.amdhsa_system_sgpr_workgroup_id_y 0
		.amdhsa_system_sgpr_workgroup_id_z 0
		.amdhsa_system_sgpr_workgroup_info 0
		.amdhsa_system_vgpr_workitem_id 0
		.amdhsa_next_free_vgpr 1
		.amdhsa_next_free_sgpr 0
		.amdhsa_accum_offset 4
		.amdhsa_reserve_vcc 0
		.amdhsa_reserve_flat_scratch 0
		.amdhsa_float_round_mode_32 0
		.amdhsa_float_round_mode_16_64 0
		.amdhsa_float_denorm_mode_32 3
		.amdhsa_float_denorm_mode_16_64 3
		.amdhsa_dx10_clamp 1
		.amdhsa_ieee_mode 1
		.amdhsa_fp16_overflow 0
		.amdhsa_tg_split 0
		.amdhsa_exception_fp_ieee_invalid_op 0
		.amdhsa_exception_fp_denorm_src 0
		.amdhsa_exception_fp_ieee_div_zero 0
		.amdhsa_exception_fp_ieee_overflow 0
		.amdhsa_exception_fp_ieee_underflow 0
		.amdhsa_exception_fp_ieee_inexact 0
		.amdhsa_exception_int_div_zero 0
	.end_amdhsa_kernel
	.section	.text._ZN7rocprim17ROCPRIM_400000_NS6detail17trampoline_kernelINS0_14default_configENS1_20scan_config_selectorIdEEZZNS1_9scan_implILNS1_25lookback_scan_determinismE0ELb1ELb1ES3_N6thrust23THRUST_200600_302600_NS6detail15normal_iteratorINS9_10device_ptrIdEEEESE_dNS9_4plusIvEEdEEDaPvRmT3_T4_T5_mT6_P12ihipStream_tbENKUlT_T0_E_clISt17integral_constantIbLb1EESU_EEDaSP_SQ_EUlSP_E0_NS1_11comp_targetILNS1_3genE9ELNS1_11target_archE1100ELNS1_3gpuE3ELNS1_3repE0EEENS1_30default_config_static_selectorELNS0_4arch9wavefront6targetE1EEEvT1_,"axG",@progbits,_ZN7rocprim17ROCPRIM_400000_NS6detail17trampoline_kernelINS0_14default_configENS1_20scan_config_selectorIdEEZZNS1_9scan_implILNS1_25lookback_scan_determinismE0ELb1ELb1ES3_N6thrust23THRUST_200600_302600_NS6detail15normal_iteratorINS9_10device_ptrIdEEEESE_dNS9_4plusIvEEdEEDaPvRmT3_T4_T5_mT6_P12ihipStream_tbENKUlT_T0_E_clISt17integral_constantIbLb1EESU_EEDaSP_SQ_EUlSP_E0_NS1_11comp_targetILNS1_3genE9ELNS1_11target_archE1100ELNS1_3gpuE3ELNS1_3repE0EEENS1_30default_config_static_selectorELNS0_4arch9wavefront6targetE1EEEvT1_,comdat
.Lfunc_end4248:
	.size	_ZN7rocprim17ROCPRIM_400000_NS6detail17trampoline_kernelINS0_14default_configENS1_20scan_config_selectorIdEEZZNS1_9scan_implILNS1_25lookback_scan_determinismE0ELb1ELb1ES3_N6thrust23THRUST_200600_302600_NS6detail15normal_iteratorINS9_10device_ptrIdEEEESE_dNS9_4plusIvEEdEEDaPvRmT3_T4_T5_mT6_P12ihipStream_tbENKUlT_T0_E_clISt17integral_constantIbLb1EESU_EEDaSP_SQ_EUlSP_E0_NS1_11comp_targetILNS1_3genE9ELNS1_11target_archE1100ELNS1_3gpuE3ELNS1_3repE0EEENS1_30default_config_static_selectorELNS0_4arch9wavefront6targetE1EEEvT1_, .Lfunc_end4248-_ZN7rocprim17ROCPRIM_400000_NS6detail17trampoline_kernelINS0_14default_configENS1_20scan_config_selectorIdEEZZNS1_9scan_implILNS1_25lookback_scan_determinismE0ELb1ELb1ES3_N6thrust23THRUST_200600_302600_NS6detail15normal_iteratorINS9_10device_ptrIdEEEESE_dNS9_4plusIvEEdEEDaPvRmT3_T4_T5_mT6_P12ihipStream_tbENKUlT_T0_E_clISt17integral_constantIbLb1EESU_EEDaSP_SQ_EUlSP_E0_NS1_11comp_targetILNS1_3genE9ELNS1_11target_archE1100ELNS1_3gpuE3ELNS1_3repE0EEENS1_30default_config_static_selectorELNS0_4arch9wavefront6targetE1EEEvT1_
                                        ; -- End function
	.section	.AMDGPU.csdata,"",@progbits
; Kernel info:
; codeLenInByte = 0
; NumSgprs: 4
; NumVgprs: 0
; NumAgprs: 0
; TotalNumVgprs: 0
; ScratchSize: 0
; MemoryBound: 0
; FloatMode: 240
; IeeeMode: 1
; LDSByteSize: 0 bytes/workgroup (compile time only)
; SGPRBlocks: 0
; VGPRBlocks: 0
; NumSGPRsForWavesPerEU: 4
; NumVGPRsForWavesPerEU: 1
; AccumOffset: 4
; Occupancy: 8
; WaveLimiterHint : 0
; COMPUTE_PGM_RSRC2:SCRATCH_EN: 0
; COMPUTE_PGM_RSRC2:USER_SGPR: 6
; COMPUTE_PGM_RSRC2:TRAP_HANDLER: 0
; COMPUTE_PGM_RSRC2:TGID_X_EN: 1
; COMPUTE_PGM_RSRC2:TGID_Y_EN: 0
; COMPUTE_PGM_RSRC2:TGID_Z_EN: 0
; COMPUTE_PGM_RSRC2:TIDIG_COMP_CNT: 0
; COMPUTE_PGM_RSRC3_GFX90A:ACCUM_OFFSET: 0
; COMPUTE_PGM_RSRC3_GFX90A:TG_SPLIT: 0
	.section	.text._ZN7rocprim17ROCPRIM_400000_NS6detail17trampoline_kernelINS0_14default_configENS1_20scan_config_selectorIdEEZZNS1_9scan_implILNS1_25lookback_scan_determinismE0ELb1ELb1ES3_N6thrust23THRUST_200600_302600_NS6detail15normal_iteratorINS9_10device_ptrIdEEEESE_dNS9_4plusIvEEdEEDaPvRmT3_T4_T5_mT6_P12ihipStream_tbENKUlT_T0_E_clISt17integral_constantIbLb1EESU_EEDaSP_SQ_EUlSP_E0_NS1_11comp_targetILNS1_3genE8ELNS1_11target_archE1030ELNS1_3gpuE2ELNS1_3repE0EEENS1_30default_config_static_selectorELNS0_4arch9wavefront6targetE1EEEvT1_,"axG",@progbits,_ZN7rocprim17ROCPRIM_400000_NS6detail17trampoline_kernelINS0_14default_configENS1_20scan_config_selectorIdEEZZNS1_9scan_implILNS1_25lookback_scan_determinismE0ELb1ELb1ES3_N6thrust23THRUST_200600_302600_NS6detail15normal_iteratorINS9_10device_ptrIdEEEESE_dNS9_4plusIvEEdEEDaPvRmT3_T4_T5_mT6_P12ihipStream_tbENKUlT_T0_E_clISt17integral_constantIbLb1EESU_EEDaSP_SQ_EUlSP_E0_NS1_11comp_targetILNS1_3genE8ELNS1_11target_archE1030ELNS1_3gpuE2ELNS1_3repE0EEENS1_30default_config_static_selectorELNS0_4arch9wavefront6targetE1EEEvT1_,comdat
	.protected	_ZN7rocprim17ROCPRIM_400000_NS6detail17trampoline_kernelINS0_14default_configENS1_20scan_config_selectorIdEEZZNS1_9scan_implILNS1_25lookback_scan_determinismE0ELb1ELb1ES3_N6thrust23THRUST_200600_302600_NS6detail15normal_iteratorINS9_10device_ptrIdEEEESE_dNS9_4plusIvEEdEEDaPvRmT3_T4_T5_mT6_P12ihipStream_tbENKUlT_T0_E_clISt17integral_constantIbLb1EESU_EEDaSP_SQ_EUlSP_E0_NS1_11comp_targetILNS1_3genE8ELNS1_11target_archE1030ELNS1_3gpuE2ELNS1_3repE0EEENS1_30default_config_static_selectorELNS0_4arch9wavefront6targetE1EEEvT1_ ; -- Begin function _ZN7rocprim17ROCPRIM_400000_NS6detail17trampoline_kernelINS0_14default_configENS1_20scan_config_selectorIdEEZZNS1_9scan_implILNS1_25lookback_scan_determinismE0ELb1ELb1ES3_N6thrust23THRUST_200600_302600_NS6detail15normal_iteratorINS9_10device_ptrIdEEEESE_dNS9_4plusIvEEdEEDaPvRmT3_T4_T5_mT6_P12ihipStream_tbENKUlT_T0_E_clISt17integral_constantIbLb1EESU_EEDaSP_SQ_EUlSP_E0_NS1_11comp_targetILNS1_3genE8ELNS1_11target_archE1030ELNS1_3gpuE2ELNS1_3repE0EEENS1_30default_config_static_selectorELNS0_4arch9wavefront6targetE1EEEvT1_
	.globl	_ZN7rocprim17ROCPRIM_400000_NS6detail17trampoline_kernelINS0_14default_configENS1_20scan_config_selectorIdEEZZNS1_9scan_implILNS1_25lookback_scan_determinismE0ELb1ELb1ES3_N6thrust23THRUST_200600_302600_NS6detail15normal_iteratorINS9_10device_ptrIdEEEESE_dNS9_4plusIvEEdEEDaPvRmT3_T4_T5_mT6_P12ihipStream_tbENKUlT_T0_E_clISt17integral_constantIbLb1EESU_EEDaSP_SQ_EUlSP_E0_NS1_11comp_targetILNS1_3genE8ELNS1_11target_archE1030ELNS1_3gpuE2ELNS1_3repE0EEENS1_30default_config_static_selectorELNS0_4arch9wavefront6targetE1EEEvT1_
	.p2align	8
	.type	_ZN7rocprim17ROCPRIM_400000_NS6detail17trampoline_kernelINS0_14default_configENS1_20scan_config_selectorIdEEZZNS1_9scan_implILNS1_25lookback_scan_determinismE0ELb1ELb1ES3_N6thrust23THRUST_200600_302600_NS6detail15normal_iteratorINS9_10device_ptrIdEEEESE_dNS9_4plusIvEEdEEDaPvRmT3_T4_T5_mT6_P12ihipStream_tbENKUlT_T0_E_clISt17integral_constantIbLb1EESU_EEDaSP_SQ_EUlSP_E0_NS1_11comp_targetILNS1_3genE8ELNS1_11target_archE1030ELNS1_3gpuE2ELNS1_3repE0EEENS1_30default_config_static_selectorELNS0_4arch9wavefront6targetE1EEEvT1_,@function
_ZN7rocprim17ROCPRIM_400000_NS6detail17trampoline_kernelINS0_14default_configENS1_20scan_config_selectorIdEEZZNS1_9scan_implILNS1_25lookback_scan_determinismE0ELb1ELb1ES3_N6thrust23THRUST_200600_302600_NS6detail15normal_iteratorINS9_10device_ptrIdEEEESE_dNS9_4plusIvEEdEEDaPvRmT3_T4_T5_mT6_P12ihipStream_tbENKUlT_T0_E_clISt17integral_constantIbLb1EESU_EEDaSP_SQ_EUlSP_E0_NS1_11comp_targetILNS1_3genE8ELNS1_11target_archE1030ELNS1_3gpuE2ELNS1_3repE0EEENS1_30default_config_static_selectorELNS0_4arch9wavefront6targetE1EEEvT1_: ; @_ZN7rocprim17ROCPRIM_400000_NS6detail17trampoline_kernelINS0_14default_configENS1_20scan_config_selectorIdEEZZNS1_9scan_implILNS1_25lookback_scan_determinismE0ELb1ELb1ES3_N6thrust23THRUST_200600_302600_NS6detail15normal_iteratorINS9_10device_ptrIdEEEESE_dNS9_4plusIvEEdEEDaPvRmT3_T4_T5_mT6_P12ihipStream_tbENKUlT_T0_E_clISt17integral_constantIbLb1EESU_EEDaSP_SQ_EUlSP_E0_NS1_11comp_targetILNS1_3genE8ELNS1_11target_archE1030ELNS1_3gpuE2ELNS1_3repE0EEENS1_30default_config_static_selectorELNS0_4arch9wavefront6targetE1EEEvT1_
; %bb.0:
	.section	.rodata,"a",@progbits
	.p2align	6, 0x0
	.amdhsa_kernel _ZN7rocprim17ROCPRIM_400000_NS6detail17trampoline_kernelINS0_14default_configENS1_20scan_config_selectorIdEEZZNS1_9scan_implILNS1_25lookback_scan_determinismE0ELb1ELb1ES3_N6thrust23THRUST_200600_302600_NS6detail15normal_iteratorINS9_10device_ptrIdEEEESE_dNS9_4plusIvEEdEEDaPvRmT3_T4_T5_mT6_P12ihipStream_tbENKUlT_T0_E_clISt17integral_constantIbLb1EESU_EEDaSP_SQ_EUlSP_E0_NS1_11comp_targetILNS1_3genE8ELNS1_11target_archE1030ELNS1_3gpuE2ELNS1_3repE0EEENS1_30default_config_static_selectorELNS0_4arch9wavefront6targetE1EEEvT1_
		.amdhsa_group_segment_fixed_size 0
		.amdhsa_private_segment_fixed_size 0
		.amdhsa_kernarg_size 40
		.amdhsa_user_sgpr_count 6
		.amdhsa_user_sgpr_private_segment_buffer 1
		.amdhsa_user_sgpr_dispatch_ptr 0
		.amdhsa_user_sgpr_queue_ptr 0
		.amdhsa_user_sgpr_kernarg_segment_ptr 1
		.amdhsa_user_sgpr_dispatch_id 0
		.amdhsa_user_sgpr_flat_scratch_init 0
		.amdhsa_user_sgpr_kernarg_preload_length 0
		.amdhsa_user_sgpr_kernarg_preload_offset 0
		.amdhsa_user_sgpr_private_segment_size 0
		.amdhsa_uses_dynamic_stack 0
		.amdhsa_system_sgpr_private_segment_wavefront_offset 0
		.amdhsa_system_sgpr_workgroup_id_x 1
		.amdhsa_system_sgpr_workgroup_id_y 0
		.amdhsa_system_sgpr_workgroup_id_z 0
		.amdhsa_system_sgpr_workgroup_info 0
		.amdhsa_system_vgpr_workitem_id 0
		.amdhsa_next_free_vgpr 1
		.amdhsa_next_free_sgpr 0
		.amdhsa_accum_offset 4
		.amdhsa_reserve_vcc 0
		.amdhsa_reserve_flat_scratch 0
		.amdhsa_float_round_mode_32 0
		.amdhsa_float_round_mode_16_64 0
		.amdhsa_float_denorm_mode_32 3
		.amdhsa_float_denorm_mode_16_64 3
		.amdhsa_dx10_clamp 1
		.amdhsa_ieee_mode 1
		.amdhsa_fp16_overflow 0
		.amdhsa_tg_split 0
		.amdhsa_exception_fp_ieee_invalid_op 0
		.amdhsa_exception_fp_denorm_src 0
		.amdhsa_exception_fp_ieee_div_zero 0
		.amdhsa_exception_fp_ieee_overflow 0
		.amdhsa_exception_fp_ieee_underflow 0
		.amdhsa_exception_fp_ieee_inexact 0
		.amdhsa_exception_int_div_zero 0
	.end_amdhsa_kernel
	.section	.text._ZN7rocprim17ROCPRIM_400000_NS6detail17trampoline_kernelINS0_14default_configENS1_20scan_config_selectorIdEEZZNS1_9scan_implILNS1_25lookback_scan_determinismE0ELb1ELb1ES3_N6thrust23THRUST_200600_302600_NS6detail15normal_iteratorINS9_10device_ptrIdEEEESE_dNS9_4plusIvEEdEEDaPvRmT3_T4_T5_mT6_P12ihipStream_tbENKUlT_T0_E_clISt17integral_constantIbLb1EESU_EEDaSP_SQ_EUlSP_E0_NS1_11comp_targetILNS1_3genE8ELNS1_11target_archE1030ELNS1_3gpuE2ELNS1_3repE0EEENS1_30default_config_static_selectorELNS0_4arch9wavefront6targetE1EEEvT1_,"axG",@progbits,_ZN7rocprim17ROCPRIM_400000_NS6detail17trampoline_kernelINS0_14default_configENS1_20scan_config_selectorIdEEZZNS1_9scan_implILNS1_25lookback_scan_determinismE0ELb1ELb1ES3_N6thrust23THRUST_200600_302600_NS6detail15normal_iteratorINS9_10device_ptrIdEEEESE_dNS9_4plusIvEEdEEDaPvRmT3_T4_T5_mT6_P12ihipStream_tbENKUlT_T0_E_clISt17integral_constantIbLb1EESU_EEDaSP_SQ_EUlSP_E0_NS1_11comp_targetILNS1_3genE8ELNS1_11target_archE1030ELNS1_3gpuE2ELNS1_3repE0EEENS1_30default_config_static_selectorELNS0_4arch9wavefront6targetE1EEEvT1_,comdat
.Lfunc_end4249:
	.size	_ZN7rocprim17ROCPRIM_400000_NS6detail17trampoline_kernelINS0_14default_configENS1_20scan_config_selectorIdEEZZNS1_9scan_implILNS1_25lookback_scan_determinismE0ELb1ELb1ES3_N6thrust23THRUST_200600_302600_NS6detail15normal_iteratorINS9_10device_ptrIdEEEESE_dNS9_4plusIvEEdEEDaPvRmT3_T4_T5_mT6_P12ihipStream_tbENKUlT_T0_E_clISt17integral_constantIbLb1EESU_EEDaSP_SQ_EUlSP_E0_NS1_11comp_targetILNS1_3genE8ELNS1_11target_archE1030ELNS1_3gpuE2ELNS1_3repE0EEENS1_30default_config_static_selectorELNS0_4arch9wavefront6targetE1EEEvT1_, .Lfunc_end4249-_ZN7rocprim17ROCPRIM_400000_NS6detail17trampoline_kernelINS0_14default_configENS1_20scan_config_selectorIdEEZZNS1_9scan_implILNS1_25lookback_scan_determinismE0ELb1ELb1ES3_N6thrust23THRUST_200600_302600_NS6detail15normal_iteratorINS9_10device_ptrIdEEEESE_dNS9_4plusIvEEdEEDaPvRmT3_T4_T5_mT6_P12ihipStream_tbENKUlT_T0_E_clISt17integral_constantIbLb1EESU_EEDaSP_SQ_EUlSP_E0_NS1_11comp_targetILNS1_3genE8ELNS1_11target_archE1030ELNS1_3gpuE2ELNS1_3repE0EEENS1_30default_config_static_selectorELNS0_4arch9wavefront6targetE1EEEvT1_
                                        ; -- End function
	.section	.AMDGPU.csdata,"",@progbits
; Kernel info:
; codeLenInByte = 0
; NumSgprs: 4
; NumVgprs: 0
; NumAgprs: 0
; TotalNumVgprs: 0
; ScratchSize: 0
; MemoryBound: 0
; FloatMode: 240
; IeeeMode: 1
; LDSByteSize: 0 bytes/workgroup (compile time only)
; SGPRBlocks: 0
; VGPRBlocks: 0
; NumSGPRsForWavesPerEU: 4
; NumVGPRsForWavesPerEU: 1
; AccumOffset: 4
; Occupancy: 8
; WaveLimiterHint : 0
; COMPUTE_PGM_RSRC2:SCRATCH_EN: 0
; COMPUTE_PGM_RSRC2:USER_SGPR: 6
; COMPUTE_PGM_RSRC2:TRAP_HANDLER: 0
; COMPUTE_PGM_RSRC2:TGID_X_EN: 1
; COMPUTE_PGM_RSRC2:TGID_Y_EN: 0
; COMPUTE_PGM_RSRC2:TGID_Z_EN: 0
; COMPUTE_PGM_RSRC2:TIDIG_COMP_CNT: 0
; COMPUTE_PGM_RSRC3_GFX90A:ACCUM_OFFSET: 0
; COMPUTE_PGM_RSRC3_GFX90A:TG_SPLIT: 0
	.section	.text._ZN7rocprim17ROCPRIM_400000_NS6detail17trampoline_kernelINS0_14default_configENS1_20scan_config_selectorIdEEZZNS1_9scan_implILNS1_25lookback_scan_determinismE0ELb1ELb1ES3_N6thrust23THRUST_200600_302600_NS6detail15normal_iteratorINS9_10device_ptrIdEEEESE_dNS9_4plusIvEEdEEDaPvRmT3_T4_T5_mT6_P12ihipStream_tbENKUlT_T0_E_clISt17integral_constantIbLb1EEST_IbLb0EEEEDaSP_SQ_EUlSP_E_NS1_11comp_targetILNS1_3genE0ELNS1_11target_archE4294967295ELNS1_3gpuE0ELNS1_3repE0EEENS1_30default_config_static_selectorELNS0_4arch9wavefront6targetE1EEEvT1_,"axG",@progbits,_ZN7rocprim17ROCPRIM_400000_NS6detail17trampoline_kernelINS0_14default_configENS1_20scan_config_selectorIdEEZZNS1_9scan_implILNS1_25lookback_scan_determinismE0ELb1ELb1ES3_N6thrust23THRUST_200600_302600_NS6detail15normal_iteratorINS9_10device_ptrIdEEEESE_dNS9_4plusIvEEdEEDaPvRmT3_T4_T5_mT6_P12ihipStream_tbENKUlT_T0_E_clISt17integral_constantIbLb1EEST_IbLb0EEEEDaSP_SQ_EUlSP_E_NS1_11comp_targetILNS1_3genE0ELNS1_11target_archE4294967295ELNS1_3gpuE0ELNS1_3repE0EEENS1_30default_config_static_selectorELNS0_4arch9wavefront6targetE1EEEvT1_,comdat
	.protected	_ZN7rocprim17ROCPRIM_400000_NS6detail17trampoline_kernelINS0_14default_configENS1_20scan_config_selectorIdEEZZNS1_9scan_implILNS1_25lookback_scan_determinismE0ELb1ELb1ES3_N6thrust23THRUST_200600_302600_NS6detail15normal_iteratorINS9_10device_ptrIdEEEESE_dNS9_4plusIvEEdEEDaPvRmT3_T4_T5_mT6_P12ihipStream_tbENKUlT_T0_E_clISt17integral_constantIbLb1EEST_IbLb0EEEEDaSP_SQ_EUlSP_E_NS1_11comp_targetILNS1_3genE0ELNS1_11target_archE4294967295ELNS1_3gpuE0ELNS1_3repE0EEENS1_30default_config_static_selectorELNS0_4arch9wavefront6targetE1EEEvT1_ ; -- Begin function _ZN7rocprim17ROCPRIM_400000_NS6detail17trampoline_kernelINS0_14default_configENS1_20scan_config_selectorIdEEZZNS1_9scan_implILNS1_25lookback_scan_determinismE0ELb1ELb1ES3_N6thrust23THRUST_200600_302600_NS6detail15normal_iteratorINS9_10device_ptrIdEEEESE_dNS9_4plusIvEEdEEDaPvRmT3_T4_T5_mT6_P12ihipStream_tbENKUlT_T0_E_clISt17integral_constantIbLb1EEST_IbLb0EEEEDaSP_SQ_EUlSP_E_NS1_11comp_targetILNS1_3genE0ELNS1_11target_archE4294967295ELNS1_3gpuE0ELNS1_3repE0EEENS1_30default_config_static_selectorELNS0_4arch9wavefront6targetE1EEEvT1_
	.globl	_ZN7rocprim17ROCPRIM_400000_NS6detail17trampoline_kernelINS0_14default_configENS1_20scan_config_selectorIdEEZZNS1_9scan_implILNS1_25lookback_scan_determinismE0ELb1ELb1ES3_N6thrust23THRUST_200600_302600_NS6detail15normal_iteratorINS9_10device_ptrIdEEEESE_dNS9_4plusIvEEdEEDaPvRmT3_T4_T5_mT6_P12ihipStream_tbENKUlT_T0_E_clISt17integral_constantIbLb1EEST_IbLb0EEEEDaSP_SQ_EUlSP_E_NS1_11comp_targetILNS1_3genE0ELNS1_11target_archE4294967295ELNS1_3gpuE0ELNS1_3repE0EEENS1_30default_config_static_selectorELNS0_4arch9wavefront6targetE1EEEvT1_
	.p2align	8
	.type	_ZN7rocprim17ROCPRIM_400000_NS6detail17trampoline_kernelINS0_14default_configENS1_20scan_config_selectorIdEEZZNS1_9scan_implILNS1_25lookback_scan_determinismE0ELb1ELb1ES3_N6thrust23THRUST_200600_302600_NS6detail15normal_iteratorINS9_10device_ptrIdEEEESE_dNS9_4plusIvEEdEEDaPvRmT3_T4_T5_mT6_P12ihipStream_tbENKUlT_T0_E_clISt17integral_constantIbLb1EEST_IbLb0EEEEDaSP_SQ_EUlSP_E_NS1_11comp_targetILNS1_3genE0ELNS1_11target_archE4294967295ELNS1_3gpuE0ELNS1_3repE0EEENS1_30default_config_static_selectorELNS0_4arch9wavefront6targetE1EEEvT1_,@function
_ZN7rocprim17ROCPRIM_400000_NS6detail17trampoline_kernelINS0_14default_configENS1_20scan_config_selectorIdEEZZNS1_9scan_implILNS1_25lookback_scan_determinismE0ELb1ELb1ES3_N6thrust23THRUST_200600_302600_NS6detail15normal_iteratorINS9_10device_ptrIdEEEESE_dNS9_4plusIvEEdEEDaPvRmT3_T4_T5_mT6_P12ihipStream_tbENKUlT_T0_E_clISt17integral_constantIbLb1EEST_IbLb0EEEEDaSP_SQ_EUlSP_E_NS1_11comp_targetILNS1_3genE0ELNS1_11target_archE4294967295ELNS1_3gpuE0ELNS1_3repE0EEENS1_30default_config_static_selectorELNS0_4arch9wavefront6targetE1EEEvT1_: ; @_ZN7rocprim17ROCPRIM_400000_NS6detail17trampoline_kernelINS0_14default_configENS1_20scan_config_selectorIdEEZZNS1_9scan_implILNS1_25lookback_scan_determinismE0ELb1ELb1ES3_N6thrust23THRUST_200600_302600_NS6detail15normal_iteratorINS9_10device_ptrIdEEEESE_dNS9_4plusIvEEdEEDaPvRmT3_T4_T5_mT6_P12ihipStream_tbENKUlT_T0_E_clISt17integral_constantIbLb1EEST_IbLb0EEEEDaSP_SQ_EUlSP_E_NS1_11comp_targetILNS1_3genE0ELNS1_11target_archE4294967295ELNS1_3gpuE0ELNS1_3repE0EEENS1_30default_config_static_selectorELNS0_4arch9wavefront6targetE1EEEvT1_
; %bb.0:
	.section	.rodata,"a",@progbits
	.p2align	6, 0x0
	.amdhsa_kernel _ZN7rocprim17ROCPRIM_400000_NS6detail17trampoline_kernelINS0_14default_configENS1_20scan_config_selectorIdEEZZNS1_9scan_implILNS1_25lookback_scan_determinismE0ELb1ELb1ES3_N6thrust23THRUST_200600_302600_NS6detail15normal_iteratorINS9_10device_ptrIdEEEESE_dNS9_4plusIvEEdEEDaPvRmT3_T4_T5_mT6_P12ihipStream_tbENKUlT_T0_E_clISt17integral_constantIbLb1EEST_IbLb0EEEEDaSP_SQ_EUlSP_E_NS1_11comp_targetILNS1_3genE0ELNS1_11target_archE4294967295ELNS1_3gpuE0ELNS1_3repE0EEENS1_30default_config_static_selectorELNS0_4arch9wavefront6targetE1EEEvT1_
		.amdhsa_group_segment_fixed_size 0
		.amdhsa_private_segment_fixed_size 0
		.amdhsa_kernarg_size 104
		.amdhsa_user_sgpr_count 6
		.amdhsa_user_sgpr_private_segment_buffer 1
		.amdhsa_user_sgpr_dispatch_ptr 0
		.amdhsa_user_sgpr_queue_ptr 0
		.amdhsa_user_sgpr_kernarg_segment_ptr 1
		.amdhsa_user_sgpr_dispatch_id 0
		.amdhsa_user_sgpr_flat_scratch_init 0
		.amdhsa_user_sgpr_kernarg_preload_length 0
		.amdhsa_user_sgpr_kernarg_preload_offset 0
		.amdhsa_user_sgpr_private_segment_size 0
		.amdhsa_uses_dynamic_stack 0
		.amdhsa_system_sgpr_private_segment_wavefront_offset 0
		.amdhsa_system_sgpr_workgroup_id_x 1
		.amdhsa_system_sgpr_workgroup_id_y 0
		.amdhsa_system_sgpr_workgroup_id_z 0
		.amdhsa_system_sgpr_workgroup_info 0
		.amdhsa_system_vgpr_workitem_id 0
		.amdhsa_next_free_vgpr 1
		.amdhsa_next_free_sgpr 0
		.amdhsa_accum_offset 4
		.amdhsa_reserve_vcc 0
		.amdhsa_reserve_flat_scratch 0
		.amdhsa_float_round_mode_32 0
		.amdhsa_float_round_mode_16_64 0
		.amdhsa_float_denorm_mode_32 3
		.amdhsa_float_denorm_mode_16_64 3
		.amdhsa_dx10_clamp 1
		.amdhsa_ieee_mode 1
		.amdhsa_fp16_overflow 0
		.amdhsa_tg_split 0
		.amdhsa_exception_fp_ieee_invalid_op 0
		.amdhsa_exception_fp_denorm_src 0
		.amdhsa_exception_fp_ieee_div_zero 0
		.amdhsa_exception_fp_ieee_overflow 0
		.amdhsa_exception_fp_ieee_underflow 0
		.amdhsa_exception_fp_ieee_inexact 0
		.amdhsa_exception_int_div_zero 0
	.end_amdhsa_kernel
	.section	.text._ZN7rocprim17ROCPRIM_400000_NS6detail17trampoline_kernelINS0_14default_configENS1_20scan_config_selectorIdEEZZNS1_9scan_implILNS1_25lookback_scan_determinismE0ELb1ELb1ES3_N6thrust23THRUST_200600_302600_NS6detail15normal_iteratorINS9_10device_ptrIdEEEESE_dNS9_4plusIvEEdEEDaPvRmT3_T4_T5_mT6_P12ihipStream_tbENKUlT_T0_E_clISt17integral_constantIbLb1EEST_IbLb0EEEEDaSP_SQ_EUlSP_E_NS1_11comp_targetILNS1_3genE0ELNS1_11target_archE4294967295ELNS1_3gpuE0ELNS1_3repE0EEENS1_30default_config_static_selectorELNS0_4arch9wavefront6targetE1EEEvT1_,"axG",@progbits,_ZN7rocprim17ROCPRIM_400000_NS6detail17trampoline_kernelINS0_14default_configENS1_20scan_config_selectorIdEEZZNS1_9scan_implILNS1_25lookback_scan_determinismE0ELb1ELb1ES3_N6thrust23THRUST_200600_302600_NS6detail15normal_iteratorINS9_10device_ptrIdEEEESE_dNS9_4plusIvEEdEEDaPvRmT3_T4_T5_mT6_P12ihipStream_tbENKUlT_T0_E_clISt17integral_constantIbLb1EEST_IbLb0EEEEDaSP_SQ_EUlSP_E_NS1_11comp_targetILNS1_3genE0ELNS1_11target_archE4294967295ELNS1_3gpuE0ELNS1_3repE0EEENS1_30default_config_static_selectorELNS0_4arch9wavefront6targetE1EEEvT1_,comdat
.Lfunc_end4250:
	.size	_ZN7rocprim17ROCPRIM_400000_NS6detail17trampoline_kernelINS0_14default_configENS1_20scan_config_selectorIdEEZZNS1_9scan_implILNS1_25lookback_scan_determinismE0ELb1ELb1ES3_N6thrust23THRUST_200600_302600_NS6detail15normal_iteratorINS9_10device_ptrIdEEEESE_dNS9_4plusIvEEdEEDaPvRmT3_T4_T5_mT6_P12ihipStream_tbENKUlT_T0_E_clISt17integral_constantIbLb1EEST_IbLb0EEEEDaSP_SQ_EUlSP_E_NS1_11comp_targetILNS1_3genE0ELNS1_11target_archE4294967295ELNS1_3gpuE0ELNS1_3repE0EEENS1_30default_config_static_selectorELNS0_4arch9wavefront6targetE1EEEvT1_, .Lfunc_end4250-_ZN7rocprim17ROCPRIM_400000_NS6detail17trampoline_kernelINS0_14default_configENS1_20scan_config_selectorIdEEZZNS1_9scan_implILNS1_25lookback_scan_determinismE0ELb1ELb1ES3_N6thrust23THRUST_200600_302600_NS6detail15normal_iteratorINS9_10device_ptrIdEEEESE_dNS9_4plusIvEEdEEDaPvRmT3_T4_T5_mT6_P12ihipStream_tbENKUlT_T0_E_clISt17integral_constantIbLb1EEST_IbLb0EEEEDaSP_SQ_EUlSP_E_NS1_11comp_targetILNS1_3genE0ELNS1_11target_archE4294967295ELNS1_3gpuE0ELNS1_3repE0EEENS1_30default_config_static_selectorELNS0_4arch9wavefront6targetE1EEEvT1_
                                        ; -- End function
	.section	.AMDGPU.csdata,"",@progbits
; Kernel info:
; codeLenInByte = 0
; NumSgprs: 4
; NumVgprs: 0
; NumAgprs: 0
; TotalNumVgprs: 0
; ScratchSize: 0
; MemoryBound: 0
; FloatMode: 240
; IeeeMode: 1
; LDSByteSize: 0 bytes/workgroup (compile time only)
; SGPRBlocks: 0
; VGPRBlocks: 0
; NumSGPRsForWavesPerEU: 4
; NumVGPRsForWavesPerEU: 1
; AccumOffset: 4
; Occupancy: 8
; WaveLimiterHint : 0
; COMPUTE_PGM_RSRC2:SCRATCH_EN: 0
; COMPUTE_PGM_RSRC2:USER_SGPR: 6
; COMPUTE_PGM_RSRC2:TRAP_HANDLER: 0
; COMPUTE_PGM_RSRC2:TGID_X_EN: 1
; COMPUTE_PGM_RSRC2:TGID_Y_EN: 0
; COMPUTE_PGM_RSRC2:TGID_Z_EN: 0
; COMPUTE_PGM_RSRC2:TIDIG_COMP_CNT: 0
; COMPUTE_PGM_RSRC3_GFX90A:ACCUM_OFFSET: 0
; COMPUTE_PGM_RSRC3_GFX90A:TG_SPLIT: 0
	.section	.text._ZN7rocprim17ROCPRIM_400000_NS6detail17trampoline_kernelINS0_14default_configENS1_20scan_config_selectorIdEEZZNS1_9scan_implILNS1_25lookback_scan_determinismE0ELb1ELb1ES3_N6thrust23THRUST_200600_302600_NS6detail15normal_iteratorINS9_10device_ptrIdEEEESE_dNS9_4plusIvEEdEEDaPvRmT3_T4_T5_mT6_P12ihipStream_tbENKUlT_T0_E_clISt17integral_constantIbLb1EEST_IbLb0EEEEDaSP_SQ_EUlSP_E_NS1_11comp_targetILNS1_3genE5ELNS1_11target_archE942ELNS1_3gpuE9ELNS1_3repE0EEENS1_30default_config_static_selectorELNS0_4arch9wavefront6targetE1EEEvT1_,"axG",@progbits,_ZN7rocprim17ROCPRIM_400000_NS6detail17trampoline_kernelINS0_14default_configENS1_20scan_config_selectorIdEEZZNS1_9scan_implILNS1_25lookback_scan_determinismE0ELb1ELb1ES3_N6thrust23THRUST_200600_302600_NS6detail15normal_iteratorINS9_10device_ptrIdEEEESE_dNS9_4plusIvEEdEEDaPvRmT3_T4_T5_mT6_P12ihipStream_tbENKUlT_T0_E_clISt17integral_constantIbLb1EEST_IbLb0EEEEDaSP_SQ_EUlSP_E_NS1_11comp_targetILNS1_3genE5ELNS1_11target_archE942ELNS1_3gpuE9ELNS1_3repE0EEENS1_30default_config_static_selectorELNS0_4arch9wavefront6targetE1EEEvT1_,comdat
	.protected	_ZN7rocprim17ROCPRIM_400000_NS6detail17trampoline_kernelINS0_14default_configENS1_20scan_config_selectorIdEEZZNS1_9scan_implILNS1_25lookback_scan_determinismE0ELb1ELb1ES3_N6thrust23THRUST_200600_302600_NS6detail15normal_iteratorINS9_10device_ptrIdEEEESE_dNS9_4plusIvEEdEEDaPvRmT3_T4_T5_mT6_P12ihipStream_tbENKUlT_T0_E_clISt17integral_constantIbLb1EEST_IbLb0EEEEDaSP_SQ_EUlSP_E_NS1_11comp_targetILNS1_3genE5ELNS1_11target_archE942ELNS1_3gpuE9ELNS1_3repE0EEENS1_30default_config_static_selectorELNS0_4arch9wavefront6targetE1EEEvT1_ ; -- Begin function _ZN7rocprim17ROCPRIM_400000_NS6detail17trampoline_kernelINS0_14default_configENS1_20scan_config_selectorIdEEZZNS1_9scan_implILNS1_25lookback_scan_determinismE0ELb1ELb1ES3_N6thrust23THRUST_200600_302600_NS6detail15normal_iteratorINS9_10device_ptrIdEEEESE_dNS9_4plusIvEEdEEDaPvRmT3_T4_T5_mT6_P12ihipStream_tbENKUlT_T0_E_clISt17integral_constantIbLb1EEST_IbLb0EEEEDaSP_SQ_EUlSP_E_NS1_11comp_targetILNS1_3genE5ELNS1_11target_archE942ELNS1_3gpuE9ELNS1_3repE0EEENS1_30default_config_static_selectorELNS0_4arch9wavefront6targetE1EEEvT1_
	.globl	_ZN7rocprim17ROCPRIM_400000_NS6detail17trampoline_kernelINS0_14default_configENS1_20scan_config_selectorIdEEZZNS1_9scan_implILNS1_25lookback_scan_determinismE0ELb1ELb1ES3_N6thrust23THRUST_200600_302600_NS6detail15normal_iteratorINS9_10device_ptrIdEEEESE_dNS9_4plusIvEEdEEDaPvRmT3_T4_T5_mT6_P12ihipStream_tbENKUlT_T0_E_clISt17integral_constantIbLb1EEST_IbLb0EEEEDaSP_SQ_EUlSP_E_NS1_11comp_targetILNS1_3genE5ELNS1_11target_archE942ELNS1_3gpuE9ELNS1_3repE0EEENS1_30default_config_static_selectorELNS0_4arch9wavefront6targetE1EEEvT1_
	.p2align	8
	.type	_ZN7rocprim17ROCPRIM_400000_NS6detail17trampoline_kernelINS0_14default_configENS1_20scan_config_selectorIdEEZZNS1_9scan_implILNS1_25lookback_scan_determinismE0ELb1ELb1ES3_N6thrust23THRUST_200600_302600_NS6detail15normal_iteratorINS9_10device_ptrIdEEEESE_dNS9_4plusIvEEdEEDaPvRmT3_T4_T5_mT6_P12ihipStream_tbENKUlT_T0_E_clISt17integral_constantIbLb1EEST_IbLb0EEEEDaSP_SQ_EUlSP_E_NS1_11comp_targetILNS1_3genE5ELNS1_11target_archE942ELNS1_3gpuE9ELNS1_3repE0EEENS1_30default_config_static_selectorELNS0_4arch9wavefront6targetE1EEEvT1_,@function
_ZN7rocprim17ROCPRIM_400000_NS6detail17trampoline_kernelINS0_14default_configENS1_20scan_config_selectorIdEEZZNS1_9scan_implILNS1_25lookback_scan_determinismE0ELb1ELb1ES3_N6thrust23THRUST_200600_302600_NS6detail15normal_iteratorINS9_10device_ptrIdEEEESE_dNS9_4plusIvEEdEEDaPvRmT3_T4_T5_mT6_P12ihipStream_tbENKUlT_T0_E_clISt17integral_constantIbLb1EEST_IbLb0EEEEDaSP_SQ_EUlSP_E_NS1_11comp_targetILNS1_3genE5ELNS1_11target_archE942ELNS1_3gpuE9ELNS1_3repE0EEENS1_30default_config_static_selectorELNS0_4arch9wavefront6targetE1EEEvT1_: ; @_ZN7rocprim17ROCPRIM_400000_NS6detail17trampoline_kernelINS0_14default_configENS1_20scan_config_selectorIdEEZZNS1_9scan_implILNS1_25lookback_scan_determinismE0ELb1ELb1ES3_N6thrust23THRUST_200600_302600_NS6detail15normal_iteratorINS9_10device_ptrIdEEEESE_dNS9_4plusIvEEdEEDaPvRmT3_T4_T5_mT6_P12ihipStream_tbENKUlT_T0_E_clISt17integral_constantIbLb1EEST_IbLb0EEEEDaSP_SQ_EUlSP_E_NS1_11comp_targetILNS1_3genE5ELNS1_11target_archE942ELNS1_3gpuE9ELNS1_3repE0EEENS1_30default_config_static_selectorELNS0_4arch9wavefront6targetE1EEEvT1_
; %bb.0:
	.section	.rodata,"a",@progbits
	.p2align	6, 0x0
	.amdhsa_kernel _ZN7rocprim17ROCPRIM_400000_NS6detail17trampoline_kernelINS0_14default_configENS1_20scan_config_selectorIdEEZZNS1_9scan_implILNS1_25lookback_scan_determinismE0ELb1ELb1ES3_N6thrust23THRUST_200600_302600_NS6detail15normal_iteratorINS9_10device_ptrIdEEEESE_dNS9_4plusIvEEdEEDaPvRmT3_T4_T5_mT6_P12ihipStream_tbENKUlT_T0_E_clISt17integral_constantIbLb1EEST_IbLb0EEEEDaSP_SQ_EUlSP_E_NS1_11comp_targetILNS1_3genE5ELNS1_11target_archE942ELNS1_3gpuE9ELNS1_3repE0EEENS1_30default_config_static_selectorELNS0_4arch9wavefront6targetE1EEEvT1_
		.amdhsa_group_segment_fixed_size 0
		.amdhsa_private_segment_fixed_size 0
		.amdhsa_kernarg_size 104
		.amdhsa_user_sgpr_count 6
		.amdhsa_user_sgpr_private_segment_buffer 1
		.amdhsa_user_sgpr_dispatch_ptr 0
		.amdhsa_user_sgpr_queue_ptr 0
		.amdhsa_user_sgpr_kernarg_segment_ptr 1
		.amdhsa_user_sgpr_dispatch_id 0
		.amdhsa_user_sgpr_flat_scratch_init 0
		.amdhsa_user_sgpr_kernarg_preload_length 0
		.amdhsa_user_sgpr_kernarg_preload_offset 0
		.amdhsa_user_sgpr_private_segment_size 0
		.amdhsa_uses_dynamic_stack 0
		.amdhsa_system_sgpr_private_segment_wavefront_offset 0
		.amdhsa_system_sgpr_workgroup_id_x 1
		.amdhsa_system_sgpr_workgroup_id_y 0
		.amdhsa_system_sgpr_workgroup_id_z 0
		.amdhsa_system_sgpr_workgroup_info 0
		.amdhsa_system_vgpr_workitem_id 0
		.amdhsa_next_free_vgpr 1
		.amdhsa_next_free_sgpr 0
		.amdhsa_accum_offset 4
		.amdhsa_reserve_vcc 0
		.amdhsa_reserve_flat_scratch 0
		.amdhsa_float_round_mode_32 0
		.amdhsa_float_round_mode_16_64 0
		.amdhsa_float_denorm_mode_32 3
		.amdhsa_float_denorm_mode_16_64 3
		.amdhsa_dx10_clamp 1
		.amdhsa_ieee_mode 1
		.amdhsa_fp16_overflow 0
		.amdhsa_tg_split 0
		.amdhsa_exception_fp_ieee_invalid_op 0
		.amdhsa_exception_fp_denorm_src 0
		.amdhsa_exception_fp_ieee_div_zero 0
		.amdhsa_exception_fp_ieee_overflow 0
		.amdhsa_exception_fp_ieee_underflow 0
		.amdhsa_exception_fp_ieee_inexact 0
		.amdhsa_exception_int_div_zero 0
	.end_amdhsa_kernel
	.section	.text._ZN7rocprim17ROCPRIM_400000_NS6detail17trampoline_kernelINS0_14default_configENS1_20scan_config_selectorIdEEZZNS1_9scan_implILNS1_25lookback_scan_determinismE0ELb1ELb1ES3_N6thrust23THRUST_200600_302600_NS6detail15normal_iteratorINS9_10device_ptrIdEEEESE_dNS9_4plusIvEEdEEDaPvRmT3_T4_T5_mT6_P12ihipStream_tbENKUlT_T0_E_clISt17integral_constantIbLb1EEST_IbLb0EEEEDaSP_SQ_EUlSP_E_NS1_11comp_targetILNS1_3genE5ELNS1_11target_archE942ELNS1_3gpuE9ELNS1_3repE0EEENS1_30default_config_static_selectorELNS0_4arch9wavefront6targetE1EEEvT1_,"axG",@progbits,_ZN7rocprim17ROCPRIM_400000_NS6detail17trampoline_kernelINS0_14default_configENS1_20scan_config_selectorIdEEZZNS1_9scan_implILNS1_25lookback_scan_determinismE0ELb1ELb1ES3_N6thrust23THRUST_200600_302600_NS6detail15normal_iteratorINS9_10device_ptrIdEEEESE_dNS9_4plusIvEEdEEDaPvRmT3_T4_T5_mT6_P12ihipStream_tbENKUlT_T0_E_clISt17integral_constantIbLb1EEST_IbLb0EEEEDaSP_SQ_EUlSP_E_NS1_11comp_targetILNS1_3genE5ELNS1_11target_archE942ELNS1_3gpuE9ELNS1_3repE0EEENS1_30default_config_static_selectorELNS0_4arch9wavefront6targetE1EEEvT1_,comdat
.Lfunc_end4251:
	.size	_ZN7rocprim17ROCPRIM_400000_NS6detail17trampoline_kernelINS0_14default_configENS1_20scan_config_selectorIdEEZZNS1_9scan_implILNS1_25lookback_scan_determinismE0ELb1ELb1ES3_N6thrust23THRUST_200600_302600_NS6detail15normal_iteratorINS9_10device_ptrIdEEEESE_dNS9_4plusIvEEdEEDaPvRmT3_T4_T5_mT6_P12ihipStream_tbENKUlT_T0_E_clISt17integral_constantIbLb1EEST_IbLb0EEEEDaSP_SQ_EUlSP_E_NS1_11comp_targetILNS1_3genE5ELNS1_11target_archE942ELNS1_3gpuE9ELNS1_3repE0EEENS1_30default_config_static_selectorELNS0_4arch9wavefront6targetE1EEEvT1_, .Lfunc_end4251-_ZN7rocprim17ROCPRIM_400000_NS6detail17trampoline_kernelINS0_14default_configENS1_20scan_config_selectorIdEEZZNS1_9scan_implILNS1_25lookback_scan_determinismE0ELb1ELb1ES3_N6thrust23THRUST_200600_302600_NS6detail15normal_iteratorINS9_10device_ptrIdEEEESE_dNS9_4plusIvEEdEEDaPvRmT3_T4_T5_mT6_P12ihipStream_tbENKUlT_T0_E_clISt17integral_constantIbLb1EEST_IbLb0EEEEDaSP_SQ_EUlSP_E_NS1_11comp_targetILNS1_3genE5ELNS1_11target_archE942ELNS1_3gpuE9ELNS1_3repE0EEENS1_30default_config_static_selectorELNS0_4arch9wavefront6targetE1EEEvT1_
                                        ; -- End function
	.section	.AMDGPU.csdata,"",@progbits
; Kernel info:
; codeLenInByte = 0
; NumSgprs: 4
; NumVgprs: 0
; NumAgprs: 0
; TotalNumVgprs: 0
; ScratchSize: 0
; MemoryBound: 0
; FloatMode: 240
; IeeeMode: 1
; LDSByteSize: 0 bytes/workgroup (compile time only)
; SGPRBlocks: 0
; VGPRBlocks: 0
; NumSGPRsForWavesPerEU: 4
; NumVGPRsForWavesPerEU: 1
; AccumOffset: 4
; Occupancy: 8
; WaveLimiterHint : 0
; COMPUTE_PGM_RSRC2:SCRATCH_EN: 0
; COMPUTE_PGM_RSRC2:USER_SGPR: 6
; COMPUTE_PGM_RSRC2:TRAP_HANDLER: 0
; COMPUTE_PGM_RSRC2:TGID_X_EN: 1
; COMPUTE_PGM_RSRC2:TGID_Y_EN: 0
; COMPUTE_PGM_RSRC2:TGID_Z_EN: 0
; COMPUTE_PGM_RSRC2:TIDIG_COMP_CNT: 0
; COMPUTE_PGM_RSRC3_GFX90A:ACCUM_OFFSET: 0
; COMPUTE_PGM_RSRC3_GFX90A:TG_SPLIT: 0
	.section	.text._ZN7rocprim17ROCPRIM_400000_NS6detail17trampoline_kernelINS0_14default_configENS1_20scan_config_selectorIdEEZZNS1_9scan_implILNS1_25lookback_scan_determinismE0ELb1ELb1ES3_N6thrust23THRUST_200600_302600_NS6detail15normal_iteratorINS9_10device_ptrIdEEEESE_dNS9_4plusIvEEdEEDaPvRmT3_T4_T5_mT6_P12ihipStream_tbENKUlT_T0_E_clISt17integral_constantIbLb1EEST_IbLb0EEEEDaSP_SQ_EUlSP_E_NS1_11comp_targetILNS1_3genE4ELNS1_11target_archE910ELNS1_3gpuE8ELNS1_3repE0EEENS1_30default_config_static_selectorELNS0_4arch9wavefront6targetE1EEEvT1_,"axG",@progbits,_ZN7rocprim17ROCPRIM_400000_NS6detail17trampoline_kernelINS0_14default_configENS1_20scan_config_selectorIdEEZZNS1_9scan_implILNS1_25lookback_scan_determinismE0ELb1ELb1ES3_N6thrust23THRUST_200600_302600_NS6detail15normal_iteratorINS9_10device_ptrIdEEEESE_dNS9_4plusIvEEdEEDaPvRmT3_T4_T5_mT6_P12ihipStream_tbENKUlT_T0_E_clISt17integral_constantIbLb1EEST_IbLb0EEEEDaSP_SQ_EUlSP_E_NS1_11comp_targetILNS1_3genE4ELNS1_11target_archE910ELNS1_3gpuE8ELNS1_3repE0EEENS1_30default_config_static_selectorELNS0_4arch9wavefront6targetE1EEEvT1_,comdat
	.protected	_ZN7rocprim17ROCPRIM_400000_NS6detail17trampoline_kernelINS0_14default_configENS1_20scan_config_selectorIdEEZZNS1_9scan_implILNS1_25lookback_scan_determinismE0ELb1ELb1ES3_N6thrust23THRUST_200600_302600_NS6detail15normal_iteratorINS9_10device_ptrIdEEEESE_dNS9_4plusIvEEdEEDaPvRmT3_T4_T5_mT6_P12ihipStream_tbENKUlT_T0_E_clISt17integral_constantIbLb1EEST_IbLb0EEEEDaSP_SQ_EUlSP_E_NS1_11comp_targetILNS1_3genE4ELNS1_11target_archE910ELNS1_3gpuE8ELNS1_3repE0EEENS1_30default_config_static_selectorELNS0_4arch9wavefront6targetE1EEEvT1_ ; -- Begin function _ZN7rocprim17ROCPRIM_400000_NS6detail17trampoline_kernelINS0_14default_configENS1_20scan_config_selectorIdEEZZNS1_9scan_implILNS1_25lookback_scan_determinismE0ELb1ELb1ES3_N6thrust23THRUST_200600_302600_NS6detail15normal_iteratorINS9_10device_ptrIdEEEESE_dNS9_4plusIvEEdEEDaPvRmT3_T4_T5_mT6_P12ihipStream_tbENKUlT_T0_E_clISt17integral_constantIbLb1EEST_IbLb0EEEEDaSP_SQ_EUlSP_E_NS1_11comp_targetILNS1_3genE4ELNS1_11target_archE910ELNS1_3gpuE8ELNS1_3repE0EEENS1_30default_config_static_selectorELNS0_4arch9wavefront6targetE1EEEvT1_
	.globl	_ZN7rocprim17ROCPRIM_400000_NS6detail17trampoline_kernelINS0_14default_configENS1_20scan_config_selectorIdEEZZNS1_9scan_implILNS1_25lookback_scan_determinismE0ELb1ELb1ES3_N6thrust23THRUST_200600_302600_NS6detail15normal_iteratorINS9_10device_ptrIdEEEESE_dNS9_4plusIvEEdEEDaPvRmT3_T4_T5_mT6_P12ihipStream_tbENKUlT_T0_E_clISt17integral_constantIbLb1EEST_IbLb0EEEEDaSP_SQ_EUlSP_E_NS1_11comp_targetILNS1_3genE4ELNS1_11target_archE910ELNS1_3gpuE8ELNS1_3repE0EEENS1_30default_config_static_selectorELNS0_4arch9wavefront6targetE1EEEvT1_
	.p2align	8
	.type	_ZN7rocprim17ROCPRIM_400000_NS6detail17trampoline_kernelINS0_14default_configENS1_20scan_config_selectorIdEEZZNS1_9scan_implILNS1_25lookback_scan_determinismE0ELb1ELb1ES3_N6thrust23THRUST_200600_302600_NS6detail15normal_iteratorINS9_10device_ptrIdEEEESE_dNS9_4plusIvEEdEEDaPvRmT3_T4_T5_mT6_P12ihipStream_tbENKUlT_T0_E_clISt17integral_constantIbLb1EEST_IbLb0EEEEDaSP_SQ_EUlSP_E_NS1_11comp_targetILNS1_3genE4ELNS1_11target_archE910ELNS1_3gpuE8ELNS1_3repE0EEENS1_30default_config_static_selectorELNS0_4arch9wavefront6targetE1EEEvT1_,@function
_ZN7rocprim17ROCPRIM_400000_NS6detail17trampoline_kernelINS0_14default_configENS1_20scan_config_selectorIdEEZZNS1_9scan_implILNS1_25lookback_scan_determinismE0ELb1ELb1ES3_N6thrust23THRUST_200600_302600_NS6detail15normal_iteratorINS9_10device_ptrIdEEEESE_dNS9_4plusIvEEdEEDaPvRmT3_T4_T5_mT6_P12ihipStream_tbENKUlT_T0_E_clISt17integral_constantIbLb1EEST_IbLb0EEEEDaSP_SQ_EUlSP_E_NS1_11comp_targetILNS1_3genE4ELNS1_11target_archE910ELNS1_3gpuE8ELNS1_3repE0EEENS1_30default_config_static_selectorELNS0_4arch9wavefront6targetE1EEEvT1_: ; @_ZN7rocprim17ROCPRIM_400000_NS6detail17trampoline_kernelINS0_14default_configENS1_20scan_config_selectorIdEEZZNS1_9scan_implILNS1_25lookback_scan_determinismE0ELb1ELb1ES3_N6thrust23THRUST_200600_302600_NS6detail15normal_iteratorINS9_10device_ptrIdEEEESE_dNS9_4plusIvEEdEEDaPvRmT3_T4_T5_mT6_P12ihipStream_tbENKUlT_T0_E_clISt17integral_constantIbLb1EEST_IbLb0EEEEDaSP_SQ_EUlSP_E_NS1_11comp_targetILNS1_3genE4ELNS1_11target_archE910ELNS1_3gpuE8ELNS1_3repE0EEENS1_30default_config_static_selectorELNS0_4arch9wavefront6targetE1EEEvT1_
; %bb.0:
	s_load_dwordx8 s[12:19], s[4:5], 0x0
	s_load_dword s1, s[4:5], 0x38
	s_mul_i32 s0, s6, 0x500
	v_lshlrev_b32_e32 v44, 3, v0
	s_waitcnt lgkmcnt(0)
	s_lshl_b64 s[14:15], s[14:15], 3
	s_add_u32 s30, s12, s14
	s_addc_u32 s31, s13, s15
	s_add_i32 s2, s1, -1
	s_mul_i32 s3, s2, 0x500
	s_sub_u32 s28, s18, s3
	s_subb_u32 s29, s19, 0
	s_mov_b32 s1, 0
	s_cmp_lg_u32 s6, s2
	s_cselect_b64 s[18:19], -1, 0
	s_lshl_b64 s[20:21], s[0:1], 3
	s_add_u32 s2, s30, s20
	s_addc_u32 s3, s31, s21
	s_mov_b64 s[0:1], -1
	s_and_b64 vcc, exec, s[18:19]
	s_cbranch_vccz .LBB4252_2
; %bb.1:
	v_mov_b32_e32 v1, s3
	v_add_co_u32_e32 v2, vcc, s2, v44
	v_addc_co_u32_e32 v3, vcc, 0, v1, vcc
	v_add_co_u32_e32 v12, vcc, 0x1000, v2
	v_addc_co_u32_e32 v13, vcc, 0, v3, vcc
	flat_load_dwordx2 v[4:5], v[2:3]
	flat_load_dwordx2 v[6:7], v[2:3] offset:1024
	flat_load_dwordx2 v[8:9], v[2:3] offset:2048
	flat_load_dwordx2 v[10:11], v[2:3] offset:3072
	v_add_co_u32_e32 v2, vcc, 0x2000, v2
	v_addc_co_u32_e32 v3, vcc, 0, v3, vcc
	flat_load_dwordx2 v[14:15], v[12:13]
	flat_load_dwordx2 v[16:17], v[12:13] offset:1024
	flat_load_dwordx2 v[18:19], v[12:13] offset:2048
	flat_load_dwordx2 v[20:21], v[12:13] offset:3072
	s_nop 0
	flat_load_dwordx2 v[12:13], v[2:3]
	flat_load_dwordx2 v[22:23], v[2:3] offset:1024
	s_mov_b64 s[0:1], 0
	s_waitcnt vmcnt(0) lgkmcnt(0)
	ds_write2st64_b64 v44, v[4:5], v[6:7] offset1:2
	ds_write2st64_b64 v44, v[8:9], v[10:11] offset0:4 offset1:6
	ds_write2st64_b64 v44, v[14:15], v[16:17] offset0:8 offset1:10
	;; [unrolled: 1-line block ×4, first 2 shown]
	s_waitcnt lgkmcnt(0)
	s_barrier
.LBB4252_2:
	s_load_dwordx2 s[24:25], s[4:5], 0x20
	s_load_dwordx2 s[22:23], s[4:5], 0x30
	s_andn2_b64 vcc, exec, s[0:1]
	v_cmp_gt_u32_e64 s[0:1], s28, v0
	s_cbranch_vccnz .LBB4252_24
; %bb.3:
	v_pk_mov_b32 v[2:3], s[2:3], s[2:3] op_sel:[0,1]
	flat_load_dwordx2 v[2:3], v[2:3]
	s_waitcnt vmcnt(0) lgkmcnt(0)
	v_mov_b32_e32 v4, v2
	v_mov_b32_e32 v5, v3
	;; [unrolled: 1-line block ×16, first 2 shown]
	v_pk_mov_b32 v[34:35], v[30:31], v[30:31] op_sel:[0,1]
	v_pk_mov_b32 v[32:33], v[28:29], v[28:29] op_sel:[0,1]
	;; [unrolled: 1-line block ×16, first 2 shown]
	s_and_saveexec_b64 s[8:9], s[0:1]
	s_cbranch_execz .LBB4252_5
; %bb.4:
	v_mov_b32_e32 v1, s3
	v_add_co_u32_e32 v4, vcc, s2, v44
	v_addc_co_u32_e32 v5, vcc, 0, v1, vcc
	flat_load_dwordx2 v[36:37], v[4:5]
	v_mov_b32_e32 v4, v2
	v_mov_b32_e32 v5, v3
	;; [unrolled: 1-line block ×16, first 2 shown]
	v_pk_mov_b32 v[34:35], v[30:31], v[30:31] op_sel:[0,1]
	v_pk_mov_b32 v[32:33], v[28:29], v[28:29] op_sel:[0,1]
	;; [unrolled: 1-line block ×16, first 2 shown]
	s_waitcnt vmcnt(0) lgkmcnt(0)
	v_pk_mov_b32 v[2:3], v[36:37], v[36:37] op_sel:[0,1]
.LBB4252_5:
	s_or_b64 exec, exec, s[8:9]
	v_or_b32_e32 v1, 0x80, v0
	v_cmp_gt_u32_e32 vcc, s28, v1
	s_and_saveexec_b64 s[0:1], vcc
	s_cbranch_execz .LBB4252_7
; %bb.6:
	v_mov_b32_e32 v1, s3
	v_add_co_u32_e32 v4, vcc, s2, v44
	v_addc_co_u32_e32 v5, vcc, 0, v1, vcc
	flat_load_dwordx2 v[6:7], v[4:5] offset:1024
.LBB4252_7:
	s_or_b64 exec, exec, s[0:1]
	v_or_b32_e32 v1, 0x100, v0
	v_cmp_gt_u32_e32 vcc, s28, v1
	s_and_saveexec_b64 s[0:1], vcc
	s_cbranch_execz .LBB4252_9
; %bb.8:
	v_mov_b32_e32 v1, s3
	v_add_co_u32_e32 v4, vcc, s2, v44
	v_addc_co_u32_e32 v5, vcc, 0, v1, vcc
	flat_load_dwordx2 v[8:9], v[4:5] offset:2048
.LBB4252_9:
	;; [unrolled: 11-line block ×3, first 2 shown]
	s_or_b64 exec, exec, s[0:1]
	v_or_b32_e32 v1, 0x200, v0
	v_cmp_gt_u32_e32 vcc, s28, v1
	s_and_saveexec_b64 s[0:1], vcc
	s_cbranch_execz .LBB4252_13
; %bb.12:
	v_lshlrev_b32_e32 v1, 3, v1
	v_mov_b32_e32 v5, s3
	v_add_co_u32_e32 v4, vcc, s2, v1
	v_addc_co_u32_e32 v5, vcc, 0, v5, vcc
	flat_load_dwordx2 v[12:13], v[4:5]
.LBB4252_13:
	s_or_b64 exec, exec, s[0:1]
	v_or_b32_e32 v1, 0x280, v0
	v_cmp_gt_u32_e32 vcc, s28, v1
	s_and_saveexec_b64 s[0:1], vcc
	s_cbranch_execz .LBB4252_15
; %bb.14:
	v_lshlrev_b32_e32 v1, 3, v1
	v_mov_b32_e32 v5, s3
	v_add_co_u32_e32 v4, vcc, s2, v1
	v_addc_co_u32_e32 v5, vcc, 0, v5, vcc
	flat_load_dwordx2 v[14:15], v[4:5]
.LBB4252_15:
	;; [unrolled: 12-line block ×6, first 2 shown]
	s_or_b64 exec, exec, s[0:1]
	s_waitcnt vmcnt(0) lgkmcnt(0)
	ds_write2st64_b64 v44, v[2:3], v[6:7] offset1:2
	ds_write2st64_b64 v44, v[8:9], v[10:11] offset0:4 offset1:6
	ds_write2st64_b64 v44, v[12:13], v[14:15] offset0:8 offset1:10
	;; [unrolled: 1-line block ×4, first 2 shown]
	s_waitcnt lgkmcnt(0)
	s_barrier
.LBB4252_24:
	v_mul_u32_u24_e32 v45, 10, v0
	v_lshlrev_b32_e32 v46, 3, v45
	s_waitcnt lgkmcnt(0)
	ds_read_b128 v[14:17], v46
	ds_read_b128 v[10:13], v46 offset:16
	ds_read_b128 v[6:9], v46 offset:32
	;; [unrolled: 1-line block ×4, first 2 shown]
	s_waitcnt lgkmcnt(4)
	v_add_f64 v[22:23], v[14:15], v[16:17]
	s_cmp_lg_u32 s6, 0
	s_waitcnt lgkmcnt(3)
	v_add_f64 v[42:43], v[10:11], v[22:23]
	v_mbcnt_lo_u32_b32 v1, -1, 0
	s_waitcnt lgkmcnt(0)
	s_barrier
	s_cbranch_scc0 .LBB4252_57
; %bb.25:
	v_add_f64 v[22:23], v[12:13], v[42:43]
	v_add_f64 v[22:23], v[6:7], v[22:23]
	v_add_f64 v[22:23], v[8:9], v[22:23]
	v_add_f64 v[22:23], v[2:3], v[22:23]
	v_add_f64 v[22:23], v[4:5], v[22:23]
	v_add_f64 v[22:23], v[18:19], v[22:23]
	v_add_f64 v[22:23], v[20:21], v[22:23]
	v_mbcnt_hi_u32_b32 v33, -1, v1
	v_and_b32_e32 v28, 15, v33
	v_mov_b32_dpp v24, v22 row_shr:1 row_mask:0xf bank_mask:0xf
	v_mov_b32_dpp v25, v23 row_shr:1 row_mask:0xf bank_mask:0xf
	v_add_f64 v[24:25], v[22:23], v[24:25]
	v_cmp_eq_u32_e32 vcc, 0, v28
	v_cndmask_b32_e32 v24, v24, v22, vcc
	v_cndmask_b32_e32 v25, v25, v23, vcc
	v_cmp_lt_u32_e32 vcc, 1, v28
	v_mov_b32_dpp v26, v24 row_shr:2 row_mask:0xf bank_mask:0xf
	v_mov_b32_dpp v27, v25 row_shr:2 row_mask:0xf bank_mask:0xf
	v_add_f64 v[26:27], v[24:25], v[26:27]
	v_cndmask_b32_e32 v24, v24, v26, vcc
	v_cndmask_b32_e32 v25, v25, v27, vcc
	v_cmp_lt_u32_e32 vcc, 3, v28
	v_mov_b32_dpp v26, v24 row_shr:4 row_mask:0xf bank_mask:0xf
	v_mov_b32_dpp v27, v25 row_shr:4 row_mask:0xf bank_mask:0xf
	v_add_f64 v[26:27], v[24:25], v[26:27]
	;; [unrolled: 6-line block ×3, first 2 shown]
	v_cndmask_b32_e32 v24, v24, v26, vcc
	v_cndmask_b32_e32 v25, v25, v27, vcc
	v_and_b32_e32 v30, 16, v33
	v_mov_b32_dpp v26, v24 row_bcast:15 row_mask:0xf bank_mask:0xf
	v_mov_b32_dpp v27, v25 row_bcast:15 row_mask:0xf bank_mask:0xf
	v_add_f64 v[28:29], v[24:25], v[26:27]
	v_cmp_eq_u32_e32 vcc, 0, v30
	v_cndmask_b32_e32 v27, v29, v25, vcc
	v_cndmask_b32_e32 v26, v28, v24, vcc
	v_cmp_eq_u32_e64 s[0:1], 0, v33
	v_mov_b32_dpp v27, v27 row_bcast:31 row_mask:0xf bank_mask:0xf
	v_mov_b32_dpp v26, v26 row_bcast:31 row_mask:0xf bank_mask:0xf
	v_cmp_ne_u32_e64 s[2:3], 0, v33
	s_and_saveexec_b64 s[8:9], s[2:3]
; %bb.26:
	v_cndmask_b32_e32 v23, v29, v25, vcc
	v_cndmask_b32_e32 v22, v28, v24, vcc
	v_add_f64 v[24:25], v[22:23], v[26:27]
	v_cmp_lt_u32_e32 vcc, 31, v33
	v_cndmask_b32_e32 v23, v23, v25, vcc
	v_cndmask_b32_e32 v22, v22, v24, vcc
; %bb.27:
	s_or_b64 exec, exec, s[8:9]
	v_or_b32_e32 v25, 63, v0
	v_lshrrev_b32_e32 v24, 6, v0
	v_cmp_eq_u32_e32 vcc, v25, v0
	s_and_saveexec_b64 s[2:3], vcc
	s_cbranch_execz .LBB4252_29
; %bb.28:
	v_lshlrev_b32_e32 v25, 3, v24
	ds_write_b64 v25, v[22:23]
.LBB4252_29:
	s_or_b64 exec, exec, s[2:3]
	v_cmp_gt_u32_e32 vcc, 2, v0
	s_waitcnt lgkmcnt(0)
	s_barrier
	s_and_saveexec_b64 s[2:3], vcc
	s_cbranch_execz .LBB4252_31
; %bb.30:
	ds_read_b64 v[26:27], v44
	v_and_b32_e32 v25, 1, v33
	v_cmp_eq_u32_e32 vcc, 0, v25
	s_waitcnt lgkmcnt(0)
	v_mov_b32_dpp v28, v26 row_shr:1 row_mask:0xf bank_mask:0xf
	v_mov_b32_dpp v29, v27 row_shr:1 row_mask:0xf bank_mask:0xf
	v_add_f64 v[28:29], v[26:27], v[28:29]
	v_cndmask_b32_e32 v27, v29, v27, vcc
	v_cndmask_b32_e32 v26, v28, v26, vcc
	ds_write_b64 v44, v[26:27]
.LBB4252_31:
	s_or_b64 exec, exec, s[2:3]
	v_cmp_gt_u32_e32 vcc, 64, v0
	v_cmp_lt_u32_e64 s[2:3], 63, v0
	s_waitcnt lgkmcnt(0)
	s_barrier
	s_waitcnt lgkmcnt(0)
                                        ; implicit-def: $vgpr30_vgpr31
	s_and_saveexec_b64 s[8:9], s[2:3]
	s_cbranch_execz .LBB4252_33
; %bb.32:
	v_lshl_add_u32 v24, v24, 3, -8
	ds_read_b64 v[30:31], v24
	s_waitcnt lgkmcnt(0)
	v_add_f64 v[22:23], v[22:23], v[30:31]
.LBB4252_33:
	s_or_b64 exec, exec, s[8:9]
	v_add_u32_e32 v24, -1, v33
	v_and_b32_e32 v25, 64, v33
	v_cmp_lt_i32_e64 s[2:3], v24, v25
	v_cndmask_b32_e64 v24, v24, v33, s[2:3]
	v_lshlrev_b32_e32 v24, 2, v24
	ds_bpermute_b32 v38, v24, v22
	ds_bpermute_b32 v39, v24, v23
	s_and_saveexec_b64 s[26:27], vcc
	s_cbranch_execz .LBB4252_56
; %bb.34:
	v_mov_b32_e32 v25, 0
	ds_read_b64 v[22:23], v25 offset:8
	s_and_saveexec_b64 s[2:3], s[0:1]
	s_cbranch_execz .LBB4252_36
; %bb.35:
	s_add_i32 s8, s6, 64
	s_mov_b32 s9, 0
	s_lshl_b64 s[8:9], s[8:9], 4
	s_add_u32 s8, s22, s8
	s_addc_u32 s9, s23, s9
	v_mov_b32_e32 v24, 1
	v_pk_mov_b32 v[26:27], s[8:9], s[8:9] op_sel:[0,1]
	s_waitcnt lgkmcnt(0)
	;;#ASMSTART
	global_store_dwordx4 v[26:27], v[22:25] off	
s_waitcnt vmcnt(0)
	;;#ASMEND
.LBB4252_36:
	s_or_b64 exec, exec, s[2:3]
	v_xad_u32 v32, v33, -1, s6
	v_add_u32_e32 v24, 64, v32
	v_lshlrev_b64 v[26:27], 4, v[24:25]
	v_mov_b32_e32 v24, s23
	v_add_co_u32_e32 v34, vcc, s22, v26
	v_addc_co_u32_e32 v35, vcc, v24, v27, vcc
	;;#ASMSTART
	global_load_dwordx4 v[26:29], v[34:35] off glc	
s_waitcnt vmcnt(0)
	;;#ASMEND
	v_and_b32_e32 v24, 0xff, v27
	v_and_b32_e32 v29, 0xff00, v27
	v_or3_b32 v24, 0, v24, v29
	v_or3_b32 v26, v26, 0, 0
	v_and_b32_e32 v29, 0xff000000, v27
	v_and_b32_e32 v27, 0xff0000, v27
	v_or3_b32 v27, v24, v27, v29
	v_or3_b32 v26, v26, 0, 0
	v_cmp_eq_u16_sdwa s[8:9], v28, v25 src0_sel:BYTE_0 src1_sel:DWORD
	s_and_saveexec_b64 s[2:3], s[8:9]
	s_cbranch_execz .LBB4252_42
; %bb.37:
	s_mov_b32 s7, 1
	s_mov_b64 s[8:9], 0
	v_mov_b32_e32 v24, 0
.LBB4252_38:                            ; =>This Loop Header: Depth=1
                                        ;     Child Loop BB4252_39 Depth 2
	s_max_u32 s10, s7, 1
.LBB4252_39:                            ;   Parent Loop BB4252_38 Depth=1
                                        ; =>  This Inner Loop Header: Depth=2
	s_add_i32 s10, s10, -1
	s_cmp_eq_u32 s10, 0
	s_sleep 1
	s_cbranch_scc0 .LBB4252_39
; %bb.40:                               ;   in Loop: Header=BB4252_38 Depth=1
	s_cmp_lt_u32 s7, 32
	s_cselect_b64 s[10:11], -1, 0
	s_cmp_lg_u64 s[10:11], 0
	s_addc_u32 s7, s7, 0
	;;#ASMSTART
	global_load_dwordx4 v[26:29], v[34:35] off glc	
s_waitcnt vmcnt(0)
	;;#ASMEND
	v_cmp_ne_u16_sdwa s[10:11], v28, v24 src0_sel:BYTE_0 src1_sel:DWORD
	s_or_b64 s[8:9], s[10:11], s[8:9]
	s_andn2_b64 exec, exec, s[8:9]
	s_cbranch_execnz .LBB4252_38
; %bb.41:
	s_or_b64 exec, exec, s[8:9]
.LBB4252_42:
	s_or_b64 exec, exec, s[2:3]
	v_and_b32_e32 v41, 63, v33
	v_cmp_ne_u32_e32 vcc, 63, v41
	v_mov_b32_e32 v40, 2
	v_addc_co_u32_e32 v34, vcc, 0, v33, vcc
	v_cmp_eq_u16_sdwa s[2:3], v28, v40 src0_sel:BYTE_0 src1_sel:DWORD
	v_lshlrev_b64 v[24:25], v33, -1
	v_lshlrev_b32_e32 v47, 2, v34
	v_and_b32_e32 v29, s3, v25
	ds_bpermute_b32 v34, v47, v26
	ds_bpermute_b32 v35, v47, v27
	v_or_b32_e32 v29, 0x80000000, v29
	v_and_b32_e32 v36, s2, v24
	v_ffbl_b32_e32 v29, v29
	v_add_u32_e32 v29, 32, v29
	v_ffbl_b32_e32 v36, v36
	v_cmp_gt_u32_e64 s[2:3], 62, v41
	v_min_u32_e32 v29, v36, v29
	v_cndmask_b32_e64 v36, 0, 1, s[2:3]
	s_waitcnt lgkmcnt(0)
	v_add_f64 v[34:35], v[26:27], v[34:35]
	v_cmp_lt_u32_e32 vcc, v41, v29
	v_lshlrev_b32_e32 v36, 1, v36
	v_cndmask_b32_e32 v34, v26, v34, vcc
	v_cndmask_b32_e32 v35, v27, v35, vcc
	v_add_lshl_u32 v48, v36, v33, 2
	ds_bpermute_b32 v36, v48, v34
	ds_bpermute_b32 v37, v48, v35
	v_add_u32_e32 v49, 2, v41
	v_cmp_gt_u32_e64 s[2:3], v49, v29
	v_cmp_gt_u32_e64 s[8:9], 56, v41
	v_add_u32_e32 v51, 4, v41
	s_waitcnt lgkmcnt(0)
	v_add_f64 v[36:37], v[34:35], v[36:37]
	v_cndmask_b32_e64 v34, v36, v34, s[2:3]
	v_cndmask_b32_e64 v35, v37, v35, s[2:3]
	v_cmp_gt_u32_e64 s[2:3], 60, v41
	v_cndmask_b32_e64 v36, 0, 1, s[2:3]
	v_lshlrev_b32_e32 v36, 2, v36
	v_add_lshl_u32 v50, v36, v33, 2
	ds_bpermute_b32 v36, v50, v34
	ds_bpermute_b32 v37, v50, v35
	v_cndmask_b32_e64 v52, 0, 1, s[8:9]
	v_cmp_gt_u32_e64 s[2:3], v51, v29
	v_lshlrev_b32_e32 v52, 3, v52
	v_add_lshl_u32 v52, v52, v33, 2
	s_waitcnt lgkmcnt(0)
	v_add_f64 v[36:37], v[34:35], v[36:37]
	v_cndmask_b32_e64 v54, v36, v34, s[2:3]
	v_cndmask_b32_e64 v55, v37, v35, s[2:3]
	ds_bpermute_b32 v56, v52, v54
	ds_bpermute_b32 v57, v52, v55
	v_add_u32_e32 v53, 8, v41
	v_cmp_gt_u32_e64 s[8:9], v53, v29
	v_cmp_gt_u32_e64 s[10:11], 48, v41
	;; [unrolled: 1-line block ×3, first 2 shown]
	s_waitcnt lgkmcnt(0)
	v_add_f64 v[58:59], v[54:55], v[56:57]
	v_cndmask_b32_e64 v56, v58, v54, s[8:9]
	v_cndmask_b32_e64 v54, 0, 1, s[10:11]
	v_lshlrev_b32_e32 v54, 4, v54
	v_cndmask_b32_e64 v57, v59, v55, s[8:9]
	v_add_lshl_u32 v54, v54, v33, 2
	ds_bpermute_b32 v60, v54, v56
	ds_bpermute_b32 v61, v54, v57
	v_add_u32_e32 v55, 16, v41
	v_cmp_gt_u32_e64 s[10:11], v55, v29
	v_cndmask_b32_e32 v27, v27, v35, vcc
	v_cndmask_b32_e32 v26, v26, v34, vcc
	s_waitcnt lgkmcnt(0)
	v_add_f64 v[60:61], v[56:57], v[60:61]
	v_cndmask_b32_e64 v62, v60, v56, s[10:11]
	v_cndmask_b32_e64 v56, 0, 1, s[12:13]
	v_lshlrev_b32_e32 v56, 5, v56
	v_add_lshl_u32 v56, v56, v33, 2
	v_cndmask_b32_e64 v63, v61, v57, s[10:11]
	ds_bpermute_b32 v64, v56, v62
	ds_bpermute_b32 v65, v56, v63
	v_cndmask_b32_e64 v26, v36, v26, s[2:3]
	v_cndmask_b32_e64 v27, v37, v27, s[2:3]
	v_add_u32_e32 v57, 32, v41
	v_cndmask_b32_e64 v27, v59, v27, s[8:9]
	v_cndmask_b32_e64 v26, v58, v26, s[8:9]
	s_waitcnt lgkmcnt(0)
	v_add_f64 v[62:63], v[62:63], v[64:65]
	v_cndmask_b32_e64 v26, v60, v26, s[10:11]
	v_cndmask_b32_e64 v27, v61, v27, s[10:11]
	v_cmp_gt_u32_e32 vcc, v57, v29
	v_cndmask_b32_e32 v27, v63, v27, vcc
	v_cndmask_b32_e32 v26, v62, v26, vcc
	v_mov_b32_e32 v33, 0
	s_branch .LBB4252_44
.LBB4252_43:                            ;   in Loop: Header=BB4252_44 Depth=1
	s_or_b64 exec, exec, s[2:3]
	v_cmp_eq_u16_sdwa s[2:3], v28, v40 src0_sel:BYTE_0 src1_sel:DWORD
	v_and_b32_e32 v29, s3, v25
	ds_bpermute_b32 v36, v47, v26
	ds_bpermute_b32 v37, v47, v27
	v_or_b32_e32 v29, 0x80000000, v29
	v_and_b32_e32 v58, s2, v24
	v_ffbl_b32_e32 v29, v29
	v_add_u32_e32 v29, 32, v29
	v_ffbl_b32_e32 v58, v58
	v_min_u32_e32 v29, v58, v29
	s_waitcnt lgkmcnt(0)
	v_add_f64 v[36:37], v[26:27], v[36:37]
	v_cmp_lt_u32_e32 vcc, v41, v29
	v_cndmask_b32_e32 v36, v26, v36, vcc
	v_cndmask_b32_e32 v37, v27, v37, vcc
	ds_bpermute_b32 v58, v48, v36
	ds_bpermute_b32 v59, v48, v37
	v_cmp_gt_u32_e64 s[2:3], v49, v29
	v_cmp_gt_u32_e64 s[8:9], v53, v29
	;; [unrolled: 1-line block ×3, first 2 shown]
	v_subrev_u32_e32 v32, 64, v32
	s_waitcnt lgkmcnt(0)
	v_add_f64 v[58:59], v[36:37], v[58:59]
	v_cndmask_b32_e64 v36, v58, v36, s[2:3]
	v_cndmask_b32_e64 v37, v59, v37, s[2:3]
	ds_bpermute_b32 v58, v50, v36
	ds_bpermute_b32 v59, v50, v37
	v_cmp_gt_u32_e64 s[2:3], v51, v29
	v_cndmask_b32_e32 v27, v27, v37, vcc
	v_cndmask_b32_e32 v26, v26, v36, vcc
	v_cmp_gt_u32_e32 vcc, v57, v29
	s_waitcnt lgkmcnt(0)
	v_add_f64 v[58:59], v[36:37], v[58:59]
	v_cndmask_b32_e64 v60, v58, v36, s[2:3]
	v_cndmask_b32_e64 v61, v59, v37, s[2:3]
	ds_bpermute_b32 v62, v52, v60
	ds_bpermute_b32 v63, v52, v61
	v_cndmask_b32_e64 v26, v58, v26, s[2:3]
	v_cndmask_b32_e64 v27, v59, v27, s[2:3]
	s_waitcnt lgkmcnt(0)
	v_add_f64 v[62:63], v[60:61], v[62:63]
	v_cndmask_b32_e64 v60, v62, v60, s[8:9]
	v_cndmask_b32_e64 v61, v63, v61, s[8:9]
	ds_bpermute_b32 v64, v54, v60
	ds_bpermute_b32 v65, v54, v61
	v_cndmask_b32_e64 v27, v63, v27, s[8:9]
	v_cndmask_b32_e64 v26, v62, v26, s[8:9]
	;; [unrolled: 8-line block ×3, first 2 shown]
	s_waitcnt lgkmcnt(0)
	v_add_f64 v[60:61], v[60:61], v[66:67]
	v_cndmask_b32_e32 v27, v61, v27, vcc
	v_cndmask_b32_e32 v26, v60, v26, vcc
	v_add_f64 v[26:27], v[34:35], v[26:27]
.LBB4252_44:                            ; =>This Loop Header: Depth=1
                                        ;     Child Loop BB4252_47 Depth 2
                                        ;       Child Loop BB4252_48 Depth 3
	v_cmp_ne_u16_sdwa s[2:3], v28, v40 src0_sel:BYTE_0 src1_sel:DWORD
	v_cndmask_b32_e64 v28, 0, 1, s[2:3]
	;;#ASMSTART
	;;#ASMEND
	v_cmp_ne_u32_e32 vcc, 0, v28
	s_cmp_lg_u64 vcc, exec
	v_pk_mov_b32 v[34:35], v[26:27], v[26:27] op_sel:[0,1]
	s_cbranch_scc1 .LBB4252_51
; %bb.45:                               ;   in Loop: Header=BB4252_44 Depth=1
	v_lshlrev_b64 v[26:27], 4, v[32:33]
	v_mov_b32_e32 v28, s23
	v_add_co_u32_e32 v36, vcc, s22, v26
	v_addc_co_u32_e32 v37, vcc, v28, v27, vcc
	;;#ASMSTART
	global_load_dwordx4 v[26:29], v[36:37] off glc	
s_waitcnt vmcnt(0)
	;;#ASMEND
	v_and_b32_e32 v29, 0xff, v27
	v_and_b32_e32 v58, 0xff00, v27
	v_or3_b32 v29, 0, v29, v58
	v_or3_b32 v26, v26, 0, 0
	v_and_b32_e32 v58, 0xff000000, v27
	v_and_b32_e32 v27, 0xff0000, v27
	v_or3_b32 v27, v29, v27, v58
	v_or3_b32 v26, v26, 0, 0
	v_cmp_eq_u16_sdwa s[8:9], v28, v33 src0_sel:BYTE_0 src1_sel:DWORD
	s_and_saveexec_b64 s[2:3], s[8:9]
	s_cbranch_execz .LBB4252_43
; %bb.46:                               ;   in Loop: Header=BB4252_44 Depth=1
	s_mov_b32 s7, 1
	s_mov_b64 s[8:9], 0
.LBB4252_47:                            ;   Parent Loop BB4252_44 Depth=1
                                        ; =>  This Loop Header: Depth=2
                                        ;       Child Loop BB4252_48 Depth 3
	s_max_u32 s10, s7, 1
.LBB4252_48:                            ;   Parent Loop BB4252_44 Depth=1
                                        ;     Parent Loop BB4252_47 Depth=2
                                        ; =>    This Inner Loop Header: Depth=3
	s_add_i32 s10, s10, -1
	s_cmp_eq_u32 s10, 0
	s_sleep 1
	s_cbranch_scc0 .LBB4252_48
; %bb.49:                               ;   in Loop: Header=BB4252_47 Depth=2
	s_cmp_lt_u32 s7, 32
	s_cselect_b64 s[10:11], -1, 0
	s_cmp_lg_u64 s[10:11], 0
	s_addc_u32 s7, s7, 0
	;;#ASMSTART
	global_load_dwordx4 v[26:29], v[36:37] off glc	
s_waitcnt vmcnt(0)
	;;#ASMEND
	v_cmp_ne_u16_sdwa s[10:11], v28, v33 src0_sel:BYTE_0 src1_sel:DWORD
	s_or_b64 s[8:9], s[10:11], s[8:9]
	s_andn2_b64 exec, exec, s[8:9]
	s_cbranch_execnz .LBB4252_47
; %bb.50:                               ;   in Loop: Header=BB4252_44 Depth=1
	s_or_b64 exec, exec, s[8:9]
	s_branch .LBB4252_43
.LBB4252_51:                            ;   in Loop: Header=BB4252_44 Depth=1
                                        ; implicit-def: $vgpr26_vgpr27
                                        ; implicit-def: $vgpr28
	s_cbranch_execz .LBB4252_44
; %bb.52:
	s_and_saveexec_b64 s[2:3], s[0:1]
	s_cbranch_execz .LBB4252_54
; %bb.53:
	s_add_i32 s6, s6, 64
	s_mov_b32 s7, 0
	s_lshl_b64 s[6:7], s[6:7], 4
	s_add_u32 s6, s22, s6
	s_addc_u32 s7, s23, s7
	v_add_f64 v[22:23], v[22:23], v[34:35]
	v_mov_b32_e32 v24, 2
	v_mov_b32_e32 v25, 0
	v_pk_mov_b32 v[26:27], s[6:7], s[6:7] op_sel:[0,1]
	;;#ASMSTART
	global_store_dwordx4 v[26:27], v[22:25] off	
s_waitcnt vmcnt(0)
	;;#ASMEND
.LBB4252_54:
	s_or_b64 exec, exec, s[2:3]
	v_cmp_eq_u32_e32 vcc, 0, v0
	s_and_b64 exec, exec, vcc
	s_cbranch_execz .LBB4252_56
; %bb.55:
	v_mov_b32_e32 v22, 0
	ds_write_b64 v22, v[34:35] offset:8
.LBB4252_56:
	s_or_b64 exec, exec, s[26:27]
	v_mov_b32_e32 v22, 0
	s_waitcnt lgkmcnt(0)
	s_barrier
	ds_read_b64 v[22:23], v22 offset:8
	v_cndmask_b32_e64 v25, v39, v31, s[0:1]
	v_cndmask_b32_e64 v24, v38, v30, s[0:1]
	v_cmp_eq_u32_e32 vcc, 0, v0
	s_waitcnt lgkmcnt(0)
	v_add_f64 v[24:25], v[24:25], v[22:23]
	v_cndmask_b32_e32 v39, v25, v23, vcc
	v_cndmask_b32_e32 v38, v24, v22, vcc
	v_add_f64 v[40:41], v[14:15], v[38:39]
	v_add_f64 v[34:35], v[16:17], v[40:41]
	;; [unrolled: 1-line block ×9, first 2 shown]
	s_load_dwordx8 s[4:11], s[4:5], 0x40
	s_branch .LBB4252_71
.LBB4252_57:
                                        ; implicit-def: $vgpr24_vgpr25
                                        ; implicit-def: $vgpr28_vgpr29
                                        ; implicit-def: $vgpr32_vgpr33
                                        ; implicit-def: $vgpr36_vgpr37
                                        ; implicit-def: $vgpr40_vgpr41
	s_load_dwordx8 s[4:11], s[4:5], 0x40
	s_cbranch_execz .LBB4252_71
; %bb.58:
	s_waitcnt lgkmcnt(0)
	s_cmp_eq_u64 s[8:9], 0
	v_pk_mov_b32 v[24:25], s[24:25], s[24:25] op_sel:[0,1]
	s_cbranch_scc1 .LBB4252_60
; %bb.59:
	v_mov_b32_e32 v23, s31
	v_add_co_u32_e64 v22, vcc, -8, s30
	v_addc_co_u32_e32 v23, vcc, -1, v23, vcc
	v_mov_b32_e32 v28, 0
	flat_load_dwordx2 v[24:25], v[22:23]
	global_load_dwordx2 v[26:27], v28, s[4:5]
	s_waitcnt vmcnt(0) lgkmcnt(0)
	v_add_f64 v[24:25], v[24:25], v[26:27]
.LBB4252_60:
	v_add_f64 v[22:23], v[12:13], v[42:43]
	v_add_f64 v[22:23], v[6:7], v[22:23]
	;; [unrolled: 1-line block ×7, first 2 shown]
	v_mbcnt_hi_u32_b32 v1, -1, v1
	v_and_b32_e32 v28, 15, v1
	v_mov_b32_dpp v22, v20 row_shr:1 row_mask:0xf bank_mask:0xf
	v_mov_b32_dpp v23, v21 row_shr:1 row_mask:0xf bank_mask:0xf
	v_add_f64 v[22:23], v[20:21], v[22:23]
	v_cmp_eq_u32_e32 vcc, 0, v28
	v_cndmask_b32_e32 v22, v22, v20, vcc
	v_cndmask_b32_e32 v23, v23, v21, vcc
	v_cmp_lt_u32_e32 vcc, 1, v28
	v_mov_b32_dpp v26, v22 row_shr:2 row_mask:0xf bank_mask:0xf
	v_mov_b32_dpp v27, v23 row_shr:2 row_mask:0xf bank_mask:0xf
	v_add_f64 v[26:27], v[22:23], v[26:27]
	v_cndmask_b32_e32 v22, v22, v26, vcc
	v_cndmask_b32_e32 v23, v23, v27, vcc
	v_cmp_lt_u32_e32 vcc, 3, v28
	v_mov_b32_dpp v26, v22 row_shr:4 row_mask:0xf bank_mask:0xf
	v_mov_b32_dpp v27, v23 row_shr:4 row_mask:0xf bank_mask:0xf
	v_add_f64 v[26:27], v[22:23], v[26:27]
	;; [unrolled: 6-line block ×3, first 2 shown]
	v_cndmask_b32_e32 v22, v22, v26, vcc
	v_cndmask_b32_e32 v23, v23, v27, vcc
	v_and_b32_e32 v30, 16, v1
	v_mov_b32_dpp v26, v22 row_bcast:15 row_mask:0xf bank_mask:0xf
	v_mov_b32_dpp v27, v23 row_bcast:15 row_mask:0xf bank_mask:0xf
	v_add_f64 v[28:29], v[22:23], v[26:27]
	v_cmp_eq_u32_e64 s[0:1], 0, v30
	v_cndmask_b32_e64 v27, v29, v23, s[0:1]
	v_cndmask_b32_e64 v26, v28, v22, s[0:1]
	v_cmp_eq_u32_e32 vcc, 0, v1
	v_mov_b32_dpp v27, v27 row_bcast:31 row_mask:0xf bank_mask:0xf
	v_mov_b32_dpp v26, v26 row_bcast:31 row_mask:0xf bank_mask:0xf
	v_cmp_ne_u32_e64 s[2:3], 0, v1
	s_and_saveexec_b64 s[4:5], s[2:3]
; %bb.61:
	v_cndmask_b32_e64 v21, v29, v23, s[0:1]
	v_cndmask_b32_e64 v20, v28, v22, s[0:1]
	v_add_f64 v[22:23], v[20:21], v[26:27]
	v_cmp_lt_u32_e64 s[0:1], 31, v1
	v_cndmask_b32_e64 v21, v21, v23, s[0:1]
	v_cndmask_b32_e64 v20, v20, v22, s[0:1]
; %bb.62:
	s_or_b64 exec, exec, s[4:5]
	v_or_b32_e32 v22, 63, v0
	v_lshrrev_b32_e32 v26, 6, v0
	v_cmp_eq_u32_e64 s[0:1], v22, v0
	s_and_saveexec_b64 s[2:3], s[0:1]
	s_cbranch_execz .LBB4252_64
; %bb.63:
	v_lshlrev_b32_e32 v22, 3, v26
	ds_write_b64 v22, v[20:21]
.LBB4252_64:
	s_or_b64 exec, exec, s[2:3]
	v_cmp_gt_u32_e64 s[0:1], 2, v0
	s_waitcnt lgkmcnt(0)
	s_barrier
	s_and_saveexec_b64 s[2:3], s[0:1]
	s_cbranch_execz .LBB4252_66
; %bb.65:
	s_movk_i32 s0, 0xffb8
	v_mad_i32_i24 v27, v0, s0, v46
	ds_read_b64 v[22:23], v27
	v_and_b32_e32 v30, 1, v1
	v_cmp_eq_u32_e64 s[0:1], 0, v30
	s_waitcnt lgkmcnt(0)
	v_mov_b32_dpp v28, v22 row_shr:1 row_mask:0xf bank_mask:0xf
	v_mov_b32_dpp v29, v23 row_shr:1 row_mask:0xf bank_mask:0xf
	v_add_f64 v[28:29], v[22:23], v[28:29]
	v_cndmask_b32_e64 v23, v29, v23, s[0:1]
	v_cndmask_b32_e64 v22, v28, v22, s[0:1]
	ds_write_b64 v27, v[22:23]
.LBB4252_66:
	s_or_b64 exec, exec, s[2:3]
	v_cmp_lt_u32_e64 s[0:1], 63, v0
	v_pk_mov_b32 v[22:23], v[24:25], v[24:25] op_sel:[0,1]
	s_waitcnt lgkmcnt(0)
	s_barrier
	s_and_saveexec_b64 s[2:3], s[0:1]
	s_cbranch_execz .LBB4252_68
; %bb.67:
	v_lshl_add_u32 v22, v26, 3, -8
	ds_read_b64 v[22:23], v22
	s_waitcnt lgkmcnt(0)
	v_add_f64 v[22:23], v[24:25], v[22:23]
.LBB4252_68:
	s_or_b64 exec, exec, s[2:3]
	v_add_u32_e32 v26, -1, v1
	v_and_b32_e32 v27, 64, v1
	v_cmp_lt_i32_e64 s[0:1], v26, v27
	v_cndmask_b32_e64 v1, v26, v1, s[0:1]
	v_add_f64 v[20:21], v[20:21], v[22:23]
	v_lshlrev_b32_e32 v1, 2, v1
	ds_bpermute_b32 v20, v1, v20
	ds_bpermute_b32 v1, v1, v21
	s_waitcnt lgkmcnt(1)
	v_cndmask_b32_e32 v20, v20, v22, vcc
	s_waitcnt lgkmcnt(0)
	v_cndmask_b32_e32 v1, v1, v23, vcc
	v_cmp_eq_u32_e32 vcc, 0, v0
	v_cndmask_b32_e32 v39, v1, v25, vcc
	v_cndmask_b32_e32 v38, v20, v24, vcc
	v_add_f64 v[40:41], v[14:15], v[38:39]
	v_add_f64 v[34:35], v[16:17], v[40:41]
	v_add_f64 v[36:37], v[10:11], v[34:35]
	v_add_f64 v[30:31], v[12:13], v[36:37]
	v_add_f64 v[32:33], v[6:7], v[30:31]
	v_add_f64 v[26:27], v[8:9], v[32:33]
	v_add_f64 v[28:29], v[2:3], v[26:27]
	v_add_f64 v[22:23], v[4:5], v[28:29]
	s_and_saveexec_b64 s[0:1], vcc
	s_cbranch_execz .LBB4252_70
; %bb.69:
	v_mov_b32_e32 v5, 0
	ds_read_b64 v[2:3], v5 offset:8
	s_add_u32 s2, s22, 0x400
	s_addc_u32 s3, s23, 0
	v_mov_b32_e32 v4, 2
	v_pk_mov_b32 v[6:7], s[2:3], s[2:3] op_sel:[0,1]
	s_waitcnt lgkmcnt(0)
	v_add_f64 v[2:3], v[24:25], v[2:3]
	;;#ASMSTART
	global_store_dwordx4 v[6:7], v[2:5] off	
s_waitcnt vmcnt(0)
	;;#ASMEND
.LBB4252_70:
	s_or_b64 exec, exec, s[0:1]
	v_add_f64 v[24:25], v[18:19], v[22:23]
.LBB4252_71:
	s_add_u32 s0, s16, s14
	s_addc_u32 s1, s17, s15
	s_add_u32 s2, s0, s20
	s_addc_u32 s3, s1, s21
	s_mov_b64 s[0:1], -1
	s_and_b64 vcc, exec, s[18:19]
	s_waitcnt lgkmcnt(0)
	s_barrier
	s_cbranch_vccz .LBB4252_73
; %bb.72:
	ds_write_b128 v46, v[38:41]
	ds_write_b128 v46, v[34:37] offset:16
	ds_write_b128 v46, v[30:33] offset:32
	;; [unrolled: 1-line block ×4, first 2 shown]
	s_waitcnt lgkmcnt(0)
	s_barrier
	ds_read2st64_b64 v[2:5], v44 offset1:2
	ds_read2st64_b64 v[6:9], v44 offset0:4 offset1:6
	ds_read2st64_b64 v[10:13], v44 offset0:8 offset1:10
	;; [unrolled: 1-line block ×4, first 2 shown]
	v_mov_b32_e32 v1, s3
	v_add_co_u32_e32 v42, vcc, s2, v44
	v_addc_co_u32_e32 v43, vcc, 0, v1, vcc
	s_movk_i32 s0, 0x1000
	s_waitcnt lgkmcnt(4)
	flat_store_dwordx2 v[42:43], v[2:3]
	flat_store_dwordx2 v[42:43], v[4:5] offset:1024
	s_waitcnt lgkmcnt(0)
	flat_store_dwordx2 v[42:43], v[6:7] offset:2048
	flat_store_dwordx2 v[42:43], v[8:9] offset:3072
	v_add_co_u32_e32 v2, vcc, s0, v42
	v_addc_co_u32_e32 v3, vcc, 0, v43, vcc
	flat_store_dwordx2 v[2:3], v[10:11]
	flat_store_dwordx2 v[2:3], v[12:13] offset:1024
	flat_store_dwordx2 v[2:3], v[14:15] offset:2048
	;; [unrolled: 1-line block ×3, first 2 shown]
	v_add_co_u32_e32 v2, vcc, 0x2000, v42
	v_addc_co_u32_e32 v3, vcc, 0, v43, vcc
	flat_store_dwordx2 v[2:3], v[18:19]
	flat_store_dwordx2 v[2:3], v[20:21] offset:1024
	s_mov_b64 s[0:1], 0
.LBB4252_73:
	s_andn2_b64 vcc, exec, s[0:1]
	s_cbranch_vccnz .LBB4252_129
; %bb.74:
	s_movk_i32 s0, 0xffb8
	v_mad_i32_i24 v18, v0, s0, v46
	ds_write_b128 v46, v[38:41]
	ds_write_b128 v46, v[34:37] offset:16
	ds_write_b128 v46, v[30:33] offset:32
	;; [unrolled: 1-line block ×4, first 2 shown]
	s_waitcnt lgkmcnt(0)
	s_barrier
	ds_read2st64_b64 v[2:5], v18 offset1:2
	ds_read2st64_b64 v[10:13], v18 offset0:4 offset1:6
	ds_read2st64_b64 v[6:9], v18 offset0:8 offset1:10
	;; [unrolled: 1-line block ×4, first 2 shown]
	v_mov_b32_e32 v23, s3
	v_add_co_u32_e32 v22, vcc, s2, v44
	v_addc_co_u32_e32 v23, vcc, 0, v23, vcc
	v_mov_b32_e32 v1, 0
	v_cmp_gt_u32_e32 vcc, s28, v0
	s_and_saveexec_b64 s[0:1], vcc
	s_cbranch_execz .LBB4252_76
; %bb.75:
	s_waitcnt lgkmcnt(0)
	flat_store_dwordx2 v[22:23], v[2:3]
.LBB4252_76:
	s_or_b64 exec, exec, s[0:1]
	v_or_b32_e32 v24, 0x80, v0
	v_cmp_gt_u32_e32 vcc, s28, v24
	s_and_saveexec_b64 s[0:1], vcc
	s_cbranch_execz .LBB4252_78
; %bb.77:
	s_waitcnt lgkmcnt(0)
	flat_store_dwordx2 v[22:23], v[4:5] offset:1024
.LBB4252_78:
	s_or_b64 exec, exec, s[0:1]
	v_or_b32_e32 v24, 0x100, v0
	v_cmp_gt_u32_e32 vcc, s28, v24
	s_and_saveexec_b64 s[0:1], vcc
	s_cbranch_execz .LBB4252_80
; %bb.79:
	s_waitcnt lgkmcnt(0)
	flat_store_dwordx2 v[22:23], v[10:11] offset:2048
.LBB4252_80:
	;; [unrolled: 9-line block ×3, first 2 shown]
	s_or_b64 exec, exec, s[0:1]
	v_or_b32_e32 v24, 0x200, v0
	v_cmp_gt_u32_e32 vcc, s28, v24
	s_and_saveexec_b64 s[0:1], vcc
	s_cbranch_execz .LBB4252_84
; %bb.83:
	v_add_co_u32_e32 v24, vcc, 0x1000, v22
	v_addc_co_u32_e32 v25, vcc, 0, v23, vcc
	s_waitcnt lgkmcnt(0)
	flat_store_dwordx2 v[24:25], v[6:7]
.LBB4252_84:
	s_or_b64 exec, exec, s[0:1]
	v_or_b32_e32 v24, 0x280, v0
	v_cmp_gt_u32_e32 vcc, s28, v24
	s_and_saveexec_b64 s[0:1], vcc
	s_cbranch_execz .LBB4252_86
; %bb.85:
	v_add_co_u32_e32 v24, vcc, 0x1000, v22
	v_addc_co_u32_e32 v25, vcc, 0, v23, vcc
	s_waitcnt lgkmcnt(0)
	flat_store_dwordx2 v[24:25], v[8:9] offset:1024
.LBB4252_86:
	s_or_b64 exec, exec, s[0:1]
	v_or_b32_e32 v24, 0x300, v0
	v_cmp_gt_u32_e32 vcc, s28, v24
	s_and_saveexec_b64 s[0:1], vcc
	s_cbranch_execz .LBB4252_88
; %bb.87:
	v_add_co_u32_e32 v24, vcc, 0x1000, v22
	v_addc_co_u32_e32 v25, vcc, 0, v23, vcc
	s_waitcnt lgkmcnt(0)
	flat_store_dwordx2 v[24:25], v[14:15] offset:2048
.LBB4252_88:
	;; [unrolled: 11-line block ×3, first 2 shown]
	s_or_b64 exec, exec, s[0:1]
	v_or_b32_e32 v24, 0x400, v0
	v_cmp_gt_u32_e32 vcc, s28, v24
	s_and_saveexec_b64 s[0:1], vcc
	s_cbranch_execz .LBB4252_92
; %bb.91:
	v_add_co_u32_e32 v24, vcc, 0x2000, v22
	v_addc_co_u32_e32 v25, vcc, 0, v23, vcc
	s_waitcnt lgkmcnt(0)
	flat_store_dwordx2 v[24:25], v[18:19]
.LBB4252_92:
	s_or_b64 exec, exec, s[0:1]
	v_or_b32_e32 v24, 0x480, v0
	v_cmp_gt_u32_e32 vcc, s28, v24
	s_and_saveexec_b64 s[0:1], vcc
	s_cbranch_execz .LBB4252_94
; %bb.93:
	v_add_co_u32_e32 v22, vcc, 0x2000, v22
	v_addc_co_u32_e32 v23, vcc, 0, v23, vcc
	s_waitcnt lgkmcnt(0)
	flat_store_dwordx2 v[22:23], v[20:21] offset:1024
.LBB4252_94:
	s_or_b64 exec, exec, s[0:1]
	v_cmp_lt_u64_e64 s[0:1], s[10:11], 2
	s_and_b64 vcc, exec, s[0:1]
	s_cbranch_vccnz .LBB4252_129
; %bb.95:
	s_add_u32 s0, s28, -1
	s_addc_u32 s1, s29, -1
	s_add_u32 s2, 0, 0x99986000
	s_addc_u32 s3, 0, 0x59
	s_add_i32 s3, s3, 0x19999940
	s_mul_hi_u32 s9, s2, -10
	s_sub_i32 s9, s9, s2
	s_mul_i32 s10, s3, -10
	s_mul_i32 s4, s2, -10
	s_add_i32 s9, s9, s10
	s_mul_hi_u32 s5, s3, s4
	s_mul_i32 s8, s3, s4
	s_mul_i32 s11, s2, s9
	s_mul_hi_u32 s4, s2, s4
	s_mul_hi_u32 s10, s2, s9
	s_add_u32 s4, s4, s11
	s_addc_u32 s10, 0, s10
	s_add_u32 s4, s4, s8
	s_mul_hi_u32 s11, s3, s9
	s_addc_u32 s4, s10, s5
	s_addc_u32 s5, s11, 0
	s_mul_i32 s8, s3, s9
	s_add_u32 s4, s4, s8
	v_mov_b32_e32 v22, s4
	s_addc_u32 s5, 0, s5
	v_add_co_u32_e32 v22, vcc, s2, v22
	s_cmp_lg_u64 vcc, 0
	s_addc_u32 s2, s3, s5
	v_readfirstlane_b32 s5, v22
	s_mul_i32 s4, s0, s2
	s_mul_hi_u32 s8, s0, s5
	s_mul_hi_u32 s3, s0, s2
	s_add_u32 s4, s8, s4
	s_addc_u32 s3, 0, s3
	s_mul_hi_u32 s9, s1, s5
	s_mul_i32 s5, s1, s5
	s_add_u32 s4, s4, s5
	s_mul_hi_u32 s8, s1, s2
	s_addc_u32 s3, s3, s9
	s_addc_u32 s4, s8, 0
	s_mul_i32 s2, s1, s2
	s_add_u32 s2, s3, s2
	s_addc_u32 s3, 0, s4
	s_add_u32 s4, s2, 1
	s_addc_u32 s5, s3, 0
	s_add_u32 s8, s2, 2
	s_mul_i32 s10, s3, 10
	s_mul_hi_u32 s11, s2, 10
	s_addc_u32 s9, s3, 0
	s_add_i32 s11, s11, s10
	s_mul_i32 s10, s2, 10
	v_mov_b32_e32 v22, s10
	v_sub_co_u32_e32 v22, vcc, s0, v22
	s_cmp_lg_u64 vcc, 0
	s_subb_u32 s10, s1, s11
	v_subrev_co_u32_e32 v23, vcc, 10, v22
	s_cmp_lg_u64 vcc, 0
	s_subb_u32 s11, s10, 0
	v_readfirstlane_b32 s12, v23
	s_cmp_gt_u32 s12, 9
	s_cselect_b32 s12, -1, 0
	s_cmp_eq_u32 s11, 0
	s_cselect_b32 s11, s12, -1
	s_cmp_lg_u32 s11, 0
	s_cselect_b32 s4, s8, s4
	v_readfirstlane_b32 s8, v22
	s_cselect_b32 s5, s9, s5
	s_cmp_gt_u32 s8, 9
	s_cselect_b32 s8, -1, 0
	s_cmp_eq_u32 s10, 0
	s_cselect_b32 s8, s8, -1
	s_cmp_lg_u32 s8, 0
	s_cselect_b32 s3, s5, s3
	s_cselect_b32 s2, s4, s2
	v_cmp_eq_u64_e32 vcc, s[2:3], v[0:1]
	s_and_saveexec_b64 s[2:3], vcc
	s_cbranch_execz .LBB4252_129
; %bb.96:
	v_mul_hi_u32_u24_e32 v1, 10, v0
	v_mov_b32_e32 v22, s1
	v_sub_co_u32_e32 v0, vcc, s0, v45
	v_subb_co_u32_e32 v1, vcc, v22, v1, vcc
	v_cmp_lt_i64_e32 vcc, 4, v[0:1]
	s_and_saveexec_b64 s[0:1], vcc
	s_xor_b64 s[0:1], exec, s[0:1]
	s_cbranch_execz .LBB4252_114
; %bb.97:
	v_cmp_lt_i64_e32 vcc, 6, v[0:1]
	s_and_saveexec_b64 s[2:3], vcc
	s_xor_b64 s[2:3], exec, s[2:3]
	s_cbranch_execz .LBB4252_107
; %bb.98:
	;; [unrolled: 5-line block ×4, first 2 shown]
	v_mov_b32_e32 v0, 0
	s_waitcnt lgkmcnt(0)
	global_store_dwordx2 v0, v[20:21], s[6:7]
                                        ; implicit-def: $vgpr18_vgpr19_vgpr20_vgpr21
.LBB4252_101:
	s_andn2_saveexec_b64 s[8:9], s[8:9]
	s_cbranch_execz .LBB4252_103
; %bb.102:
	v_mov_b32_e32 v0, 0
	s_waitcnt lgkmcnt(0)
	global_store_dwordx2 v0, v[18:19], s[6:7]
.LBB4252_103:
	s_or_b64 exec, exec, s[8:9]
                                        ; implicit-def: $vgpr14_vgpr15_vgpr16_vgpr17
.LBB4252_104:
	s_andn2_saveexec_b64 s[4:5], s[4:5]
	s_cbranch_execz .LBB4252_106
; %bb.105:
	v_mov_b32_e32 v0, 0
	s_waitcnt lgkmcnt(0)
	global_store_dwordx2 v0, v[16:17], s[6:7]
.LBB4252_106:
	s_or_b64 exec, exec, s[4:5]
                                        ; implicit-def: $vgpr6_vgpr7_vgpr8_vgpr9
                                        ; implicit-def: $vgpr0_vgpr1
                                        ; implicit-def: $vgpr14_vgpr15_vgpr16_vgpr17
.LBB4252_107:
	s_andn2_saveexec_b64 s[2:3], s[2:3]
	s_cbranch_execz .LBB4252_113
; %bb.108:
	v_cmp_lt_i64_e32 vcc, 5, v[0:1]
	s_and_saveexec_b64 s[4:5], vcc
	s_xor_b64 s[4:5], exec, s[4:5]
	s_cbranch_execz .LBB4252_110
; %bb.109:
	v_mov_b32_e32 v0, 0
	s_waitcnt lgkmcnt(0)
	global_store_dwordx2 v0, v[14:15], s[6:7]
                                        ; implicit-def: $vgpr6_vgpr7_vgpr8_vgpr9
.LBB4252_110:
	s_andn2_saveexec_b64 s[4:5], s[4:5]
	s_cbranch_execz .LBB4252_112
; %bb.111:
	v_mov_b32_e32 v0, 0
	s_waitcnt lgkmcnt(0)
	global_store_dwordx2 v0, v[8:9], s[6:7]
.LBB4252_112:
	s_or_b64 exec, exec, s[4:5]
.LBB4252_113:
	s_or_b64 exec, exec, s[2:3]
                                        ; implicit-def: $vgpr0_vgpr1
                                        ; implicit-def: $vgpr10_vgpr11_vgpr12_vgpr13
                                        ; implicit-def: $vgpr2_vgpr3_vgpr4_vgpr5
                                        ; implicit-def: $vgpr6_vgpr7_vgpr8_vgpr9
.LBB4252_114:
	s_andn2_saveexec_b64 s[0:1], s[0:1]
	s_cbranch_execz .LBB4252_129
; %bb.115:
	v_cmp_lt_i64_e32 vcc, 2, v[0:1]
	s_and_saveexec_b64 s[0:1], vcc
	s_xor_b64 s[0:1], exec, s[0:1]
	s_cbranch_execz .LBB4252_121
; %bb.116:
	v_cmp_lt_i64_e32 vcc, 3, v[0:1]
	s_and_saveexec_b64 s[2:3], vcc
	s_xor_b64 s[2:3], exec, s[2:3]
	s_cbranch_execz .LBB4252_118
; %bb.117:
	v_mov_b32_e32 v0, 0
	s_waitcnt lgkmcnt(0)
	global_store_dwordx2 v0, v[6:7], s[6:7]
                                        ; implicit-def: $vgpr10_vgpr11_vgpr12_vgpr13
.LBB4252_118:
	s_andn2_saveexec_b64 s[2:3], s[2:3]
	s_cbranch_execz .LBB4252_120
; %bb.119:
	v_mov_b32_e32 v0, 0
	s_waitcnt lgkmcnt(0)
	global_store_dwordx2 v0, v[12:13], s[6:7]
.LBB4252_120:
	s_or_b64 exec, exec, s[2:3]
                                        ; implicit-def: $vgpr0_vgpr1
                                        ; implicit-def: $vgpr10_vgpr11_vgpr12_vgpr13
                                        ; implicit-def: $vgpr2_vgpr3_vgpr4_vgpr5
.LBB4252_121:
	s_andn2_saveexec_b64 s[0:1], s[0:1]
	s_cbranch_execz .LBB4252_129
; %bb.122:
	v_cmp_lt_i64_e32 vcc, 1, v[0:1]
	s_and_saveexec_b64 s[0:1], vcc
	s_xor_b64 s[0:1], exec, s[0:1]
	s_cbranch_execz .LBB4252_124
; %bb.123:
	v_mov_b32_e32 v0, 0
	s_waitcnt lgkmcnt(0)
	global_store_dwordx2 v0, v[10:11], s[6:7]
                                        ; implicit-def: $vgpr2_vgpr3_vgpr4_vgpr5
                                        ; implicit-def: $vgpr0_vgpr1
.LBB4252_124:
	s_andn2_saveexec_b64 s[0:1], s[0:1]
	s_cbranch_execz .LBB4252_129
; %bb.125:
	v_cmp_ne_u64_e32 vcc, 1, v[0:1]
	s_and_saveexec_b64 s[0:1], vcc
	s_xor_b64 s[0:1], exec, s[0:1]
	s_cbranch_execz .LBB4252_127
; %bb.126:
	v_mov_b32_e32 v0, 0
	s_waitcnt lgkmcnt(0)
	global_store_dwordx2 v0, v[2:3], s[6:7]
                                        ; implicit-def: $vgpr2_vgpr3_vgpr4_vgpr5
.LBB4252_127:
	s_andn2_saveexec_b64 s[0:1], s[0:1]
	s_cbranch_execz .LBB4252_129
; %bb.128:
	v_mov_b32_e32 v0, 0
	s_waitcnt lgkmcnt(0)
	global_store_dwordx2 v0, v[4:5], s[6:7]
.LBB4252_129:
	s_endpgm
	.section	.rodata,"a",@progbits
	.p2align	6, 0x0
	.amdhsa_kernel _ZN7rocprim17ROCPRIM_400000_NS6detail17trampoline_kernelINS0_14default_configENS1_20scan_config_selectorIdEEZZNS1_9scan_implILNS1_25lookback_scan_determinismE0ELb1ELb1ES3_N6thrust23THRUST_200600_302600_NS6detail15normal_iteratorINS9_10device_ptrIdEEEESE_dNS9_4plusIvEEdEEDaPvRmT3_T4_T5_mT6_P12ihipStream_tbENKUlT_T0_E_clISt17integral_constantIbLb1EEST_IbLb0EEEEDaSP_SQ_EUlSP_E_NS1_11comp_targetILNS1_3genE4ELNS1_11target_archE910ELNS1_3gpuE8ELNS1_3repE0EEENS1_30default_config_static_selectorELNS0_4arch9wavefront6targetE1EEEvT1_
		.amdhsa_group_segment_fixed_size 10240
		.amdhsa_private_segment_fixed_size 0
		.amdhsa_kernarg_size 104
		.amdhsa_user_sgpr_count 6
		.amdhsa_user_sgpr_private_segment_buffer 1
		.amdhsa_user_sgpr_dispatch_ptr 0
		.amdhsa_user_sgpr_queue_ptr 0
		.amdhsa_user_sgpr_kernarg_segment_ptr 1
		.amdhsa_user_sgpr_dispatch_id 0
		.amdhsa_user_sgpr_flat_scratch_init 0
		.amdhsa_user_sgpr_kernarg_preload_length 0
		.amdhsa_user_sgpr_kernarg_preload_offset 0
		.amdhsa_user_sgpr_private_segment_size 0
		.amdhsa_uses_dynamic_stack 0
		.amdhsa_system_sgpr_private_segment_wavefront_offset 0
		.amdhsa_system_sgpr_workgroup_id_x 1
		.amdhsa_system_sgpr_workgroup_id_y 0
		.amdhsa_system_sgpr_workgroup_id_z 0
		.amdhsa_system_sgpr_workgroup_info 0
		.amdhsa_system_vgpr_workitem_id 0
		.amdhsa_next_free_vgpr 68
		.amdhsa_next_free_sgpr 32
		.amdhsa_accum_offset 68
		.amdhsa_reserve_vcc 1
		.amdhsa_reserve_flat_scratch 0
		.amdhsa_float_round_mode_32 0
		.amdhsa_float_round_mode_16_64 0
		.amdhsa_float_denorm_mode_32 3
		.amdhsa_float_denorm_mode_16_64 3
		.amdhsa_dx10_clamp 1
		.amdhsa_ieee_mode 1
		.amdhsa_fp16_overflow 0
		.amdhsa_tg_split 0
		.amdhsa_exception_fp_ieee_invalid_op 0
		.amdhsa_exception_fp_denorm_src 0
		.amdhsa_exception_fp_ieee_div_zero 0
		.amdhsa_exception_fp_ieee_overflow 0
		.amdhsa_exception_fp_ieee_underflow 0
		.amdhsa_exception_fp_ieee_inexact 0
		.amdhsa_exception_int_div_zero 0
	.end_amdhsa_kernel
	.section	.text._ZN7rocprim17ROCPRIM_400000_NS6detail17trampoline_kernelINS0_14default_configENS1_20scan_config_selectorIdEEZZNS1_9scan_implILNS1_25lookback_scan_determinismE0ELb1ELb1ES3_N6thrust23THRUST_200600_302600_NS6detail15normal_iteratorINS9_10device_ptrIdEEEESE_dNS9_4plusIvEEdEEDaPvRmT3_T4_T5_mT6_P12ihipStream_tbENKUlT_T0_E_clISt17integral_constantIbLb1EEST_IbLb0EEEEDaSP_SQ_EUlSP_E_NS1_11comp_targetILNS1_3genE4ELNS1_11target_archE910ELNS1_3gpuE8ELNS1_3repE0EEENS1_30default_config_static_selectorELNS0_4arch9wavefront6targetE1EEEvT1_,"axG",@progbits,_ZN7rocprim17ROCPRIM_400000_NS6detail17trampoline_kernelINS0_14default_configENS1_20scan_config_selectorIdEEZZNS1_9scan_implILNS1_25lookback_scan_determinismE0ELb1ELb1ES3_N6thrust23THRUST_200600_302600_NS6detail15normal_iteratorINS9_10device_ptrIdEEEESE_dNS9_4plusIvEEdEEDaPvRmT3_T4_T5_mT6_P12ihipStream_tbENKUlT_T0_E_clISt17integral_constantIbLb1EEST_IbLb0EEEEDaSP_SQ_EUlSP_E_NS1_11comp_targetILNS1_3genE4ELNS1_11target_archE910ELNS1_3gpuE8ELNS1_3repE0EEENS1_30default_config_static_selectorELNS0_4arch9wavefront6targetE1EEEvT1_,comdat
.Lfunc_end4252:
	.size	_ZN7rocprim17ROCPRIM_400000_NS6detail17trampoline_kernelINS0_14default_configENS1_20scan_config_selectorIdEEZZNS1_9scan_implILNS1_25lookback_scan_determinismE0ELb1ELb1ES3_N6thrust23THRUST_200600_302600_NS6detail15normal_iteratorINS9_10device_ptrIdEEEESE_dNS9_4plusIvEEdEEDaPvRmT3_T4_T5_mT6_P12ihipStream_tbENKUlT_T0_E_clISt17integral_constantIbLb1EEST_IbLb0EEEEDaSP_SQ_EUlSP_E_NS1_11comp_targetILNS1_3genE4ELNS1_11target_archE910ELNS1_3gpuE8ELNS1_3repE0EEENS1_30default_config_static_selectorELNS0_4arch9wavefront6targetE1EEEvT1_, .Lfunc_end4252-_ZN7rocprim17ROCPRIM_400000_NS6detail17trampoline_kernelINS0_14default_configENS1_20scan_config_selectorIdEEZZNS1_9scan_implILNS1_25lookback_scan_determinismE0ELb1ELb1ES3_N6thrust23THRUST_200600_302600_NS6detail15normal_iteratorINS9_10device_ptrIdEEEESE_dNS9_4plusIvEEdEEDaPvRmT3_T4_T5_mT6_P12ihipStream_tbENKUlT_T0_E_clISt17integral_constantIbLb1EEST_IbLb0EEEEDaSP_SQ_EUlSP_E_NS1_11comp_targetILNS1_3genE4ELNS1_11target_archE910ELNS1_3gpuE8ELNS1_3repE0EEENS1_30default_config_static_selectorELNS0_4arch9wavefront6targetE1EEEvT1_
                                        ; -- End function
	.section	.AMDGPU.csdata,"",@progbits
; Kernel info:
; codeLenInByte = 6072
; NumSgprs: 36
; NumVgprs: 68
; NumAgprs: 0
; TotalNumVgprs: 68
; ScratchSize: 0
; MemoryBound: 0
; FloatMode: 240
; IeeeMode: 1
; LDSByteSize: 10240 bytes/workgroup (compile time only)
; SGPRBlocks: 4
; VGPRBlocks: 8
; NumSGPRsForWavesPerEU: 36
; NumVGPRsForWavesPerEU: 68
; AccumOffset: 68
; Occupancy: 3
; WaveLimiterHint : 1
; COMPUTE_PGM_RSRC2:SCRATCH_EN: 0
; COMPUTE_PGM_RSRC2:USER_SGPR: 6
; COMPUTE_PGM_RSRC2:TRAP_HANDLER: 0
; COMPUTE_PGM_RSRC2:TGID_X_EN: 1
; COMPUTE_PGM_RSRC2:TGID_Y_EN: 0
; COMPUTE_PGM_RSRC2:TGID_Z_EN: 0
; COMPUTE_PGM_RSRC2:TIDIG_COMP_CNT: 0
; COMPUTE_PGM_RSRC3_GFX90A:ACCUM_OFFSET: 16
; COMPUTE_PGM_RSRC3_GFX90A:TG_SPLIT: 0
	.section	.text._ZN7rocprim17ROCPRIM_400000_NS6detail17trampoline_kernelINS0_14default_configENS1_20scan_config_selectorIdEEZZNS1_9scan_implILNS1_25lookback_scan_determinismE0ELb1ELb1ES3_N6thrust23THRUST_200600_302600_NS6detail15normal_iteratorINS9_10device_ptrIdEEEESE_dNS9_4plusIvEEdEEDaPvRmT3_T4_T5_mT6_P12ihipStream_tbENKUlT_T0_E_clISt17integral_constantIbLb1EEST_IbLb0EEEEDaSP_SQ_EUlSP_E_NS1_11comp_targetILNS1_3genE3ELNS1_11target_archE908ELNS1_3gpuE7ELNS1_3repE0EEENS1_30default_config_static_selectorELNS0_4arch9wavefront6targetE1EEEvT1_,"axG",@progbits,_ZN7rocprim17ROCPRIM_400000_NS6detail17trampoline_kernelINS0_14default_configENS1_20scan_config_selectorIdEEZZNS1_9scan_implILNS1_25lookback_scan_determinismE0ELb1ELb1ES3_N6thrust23THRUST_200600_302600_NS6detail15normal_iteratorINS9_10device_ptrIdEEEESE_dNS9_4plusIvEEdEEDaPvRmT3_T4_T5_mT6_P12ihipStream_tbENKUlT_T0_E_clISt17integral_constantIbLb1EEST_IbLb0EEEEDaSP_SQ_EUlSP_E_NS1_11comp_targetILNS1_3genE3ELNS1_11target_archE908ELNS1_3gpuE7ELNS1_3repE0EEENS1_30default_config_static_selectorELNS0_4arch9wavefront6targetE1EEEvT1_,comdat
	.protected	_ZN7rocprim17ROCPRIM_400000_NS6detail17trampoline_kernelINS0_14default_configENS1_20scan_config_selectorIdEEZZNS1_9scan_implILNS1_25lookback_scan_determinismE0ELb1ELb1ES3_N6thrust23THRUST_200600_302600_NS6detail15normal_iteratorINS9_10device_ptrIdEEEESE_dNS9_4plusIvEEdEEDaPvRmT3_T4_T5_mT6_P12ihipStream_tbENKUlT_T0_E_clISt17integral_constantIbLb1EEST_IbLb0EEEEDaSP_SQ_EUlSP_E_NS1_11comp_targetILNS1_3genE3ELNS1_11target_archE908ELNS1_3gpuE7ELNS1_3repE0EEENS1_30default_config_static_selectorELNS0_4arch9wavefront6targetE1EEEvT1_ ; -- Begin function _ZN7rocprim17ROCPRIM_400000_NS6detail17trampoline_kernelINS0_14default_configENS1_20scan_config_selectorIdEEZZNS1_9scan_implILNS1_25lookback_scan_determinismE0ELb1ELb1ES3_N6thrust23THRUST_200600_302600_NS6detail15normal_iteratorINS9_10device_ptrIdEEEESE_dNS9_4plusIvEEdEEDaPvRmT3_T4_T5_mT6_P12ihipStream_tbENKUlT_T0_E_clISt17integral_constantIbLb1EEST_IbLb0EEEEDaSP_SQ_EUlSP_E_NS1_11comp_targetILNS1_3genE3ELNS1_11target_archE908ELNS1_3gpuE7ELNS1_3repE0EEENS1_30default_config_static_selectorELNS0_4arch9wavefront6targetE1EEEvT1_
	.globl	_ZN7rocprim17ROCPRIM_400000_NS6detail17trampoline_kernelINS0_14default_configENS1_20scan_config_selectorIdEEZZNS1_9scan_implILNS1_25lookback_scan_determinismE0ELb1ELb1ES3_N6thrust23THRUST_200600_302600_NS6detail15normal_iteratorINS9_10device_ptrIdEEEESE_dNS9_4plusIvEEdEEDaPvRmT3_T4_T5_mT6_P12ihipStream_tbENKUlT_T0_E_clISt17integral_constantIbLb1EEST_IbLb0EEEEDaSP_SQ_EUlSP_E_NS1_11comp_targetILNS1_3genE3ELNS1_11target_archE908ELNS1_3gpuE7ELNS1_3repE0EEENS1_30default_config_static_selectorELNS0_4arch9wavefront6targetE1EEEvT1_
	.p2align	8
	.type	_ZN7rocprim17ROCPRIM_400000_NS6detail17trampoline_kernelINS0_14default_configENS1_20scan_config_selectorIdEEZZNS1_9scan_implILNS1_25lookback_scan_determinismE0ELb1ELb1ES3_N6thrust23THRUST_200600_302600_NS6detail15normal_iteratorINS9_10device_ptrIdEEEESE_dNS9_4plusIvEEdEEDaPvRmT3_T4_T5_mT6_P12ihipStream_tbENKUlT_T0_E_clISt17integral_constantIbLb1EEST_IbLb0EEEEDaSP_SQ_EUlSP_E_NS1_11comp_targetILNS1_3genE3ELNS1_11target_archE908ELNS1_3gpuE7ELNS1_3repE0EEENS1_30default_config_static_selectorELNS0_4arch9wavefront6targetE1EEEvT1_,@function
_ZN7rocprim17ROCPRIM_400000_NS6detail17trampoline_kernelINS0_14default_configENS1_20scan_config_selectorIdEEZZNS1_9scan_implILNS1_25lookback_scan_determinismE0ELb1ELb1ES3_N6thrust23THRUST_200600_302600_NS6detail15normal_iteratorINS9_10device_ptrIdEEEESE_dNS9_4plusIvEEdEEDaPvRmT3_T4_T5_mT6_P12ihipStream_tbENKUlT_T0_E_clISt17integral_constantIbLb1EEST_IbLb0EEEEDaSP_SQ_EUlSP_E_NS1_11comp_targetILNS1_3genE3ELNS1_11target_archE908ELNS1_3gpuE7ELNS1_3repE0EEENS1_30default_config_static_selectorELNS0_4arch9wavefront6targetE1EEEvT1_: ; @_ZN7rocprim17ROCPRIM_400000_NS6detail17trampoline_kernelINS0_14default_configENS1_20scan_config_selectorIdEEZZNS1_9scan_implILNS1_25lookback_scan_determinismE0ELb1ELb1ES3_N6thrust23THRUST_200600_302600_NS6detail15normal_iteratorINS9_10device_ptrIdEEEESE_dNS9_4plusIvEEdEEDaPvRmT3_T4_T5_mT6_P12ihipStream_tbENKUlT_T0_E_clISt17integral_constantIbLb1EEST_IbLb0EEEEDaSP_SQ_EUlSP_E_NS1_11comp_targetILNS1_3genE3ELNS1_11target_archE908ELNS1_3gpuE7ELNS1_3repE0EEENS1_30default_config_static_selectorELNS0_4arch9wavefront6targetE1EEEvT1_
; %bb.0:
	.section	.rodata,"a",@progbits
	.p2align	6, 0x0
	.amdhsa_kernel _ZN7rocprim17ROCPRIM_400000_NS6detail17trampoline_kernelINS0_14default_configENS1_20scan_config_selectorIdEEZZNS1_9scan_implILNS1_25lookback_scan_determinismE0ELb1ELb1ES3_N6thrust23THRUST_200600_302600_NS6detail15normal_iteratorINS9_10device_ptrIdEEEESE_dNS9_4plusIvEEdEEDaPvRmT3_T4_T5_mT6_P12ihipStream_tbENKUlT_T0_E_clISt17integral_constantIbLb1EEST_IbLb0EEEEDaSP_SQ_EUlSP_E_NS1_11comp_targetILNS1_3genE3ELNS1_11target_archE908ELNS1_3gpuE7ELNS1_3repE0EEENS1_30default_config_static_selectorELNS0_4arch9wavefront6targetE1EEEvT1_
		.amdhsa_group_segment_fixed_size 0
		.amdhsa_private_segment_fixed_size 0
		.amdhsa_kernarg_size 104
		.amdhsa_user_sgpr_count 6
		.amdhsa_user_sgpr_private_segment_buffer 1
		.amdhsa_user_sgpr_dispatch_ptr 0
		.amdhsa_user_sgpr_queue_ptr 0
		.amdhsa_user_sgpr_kernarg_segment_ptr 1
		.amdhsa_user_sgpr_dispatch_id 0
		.amdhsa_user_sgpr_flat_scratch_init 0
		.amdhsa_user_sgpr_kernarg_preload_length 0
		.amdhsa_user_sgpr_kernarg_preload_offset 0
		.amdhsa_user_sgpr_private_segment_size 0
		.amdhsa_uses_dynamic_stack 0
		.amdhsa_system_sgpr_private_segment_wavefront_offset 0
		.amdhsa_system_sgpr_workgroup_id_x 1
		.amdhsa_system_sgpr_workgroup_id_y 0
		.amdhsa_system_sgpr_workgroup_id_z 0
		.amdhsa_system_sgpr_workgroup_info 0
		.amdhsa_system_vgpr_workitem_id 0
		.amdhsa_next_free_vgpr 1
		.amdhsa_next_free_sgpr 0
		.amdhsa_accum_offset 4
		.amdhsa_reserve_vcc 0
		.amdhsa_reserve_flat_scratch 0
		.amdhsa_float_round_mode_32 0
		.amdhsa_float_round_mode_16_64 0
		.amdhsa_float_denorm_mode_32 3
		.amdhsa_float_denorm_mode_16_64 3
		.amdhsa_dx10_clamp 1
		.amdhsa_ieee_mode 1
		.amdhsa_fp16_overflow 0
		.amdhsa_tg_split 0
		.amdhsa_exception_fp_ieee_invalid_op 0
		.amdhsa_exception_fp_denorm_src 0
		.amdhsa_exception_fp_ieee_div_zero 0
		.amdhsa_exception_fp_ieee_overflow 0
		.amdhsa_exception_fp_ieee_underflow 0
		.amdhsa_exception_fp_ieee_inexact 0
		.amdhsa_exception_int_div_zero 0
	.end_amdhsa_kernel
	.section	.text._ZN7rocprim17ROCPRIM_400000_NS6detail17trampoline_kernelINS0_14default_configENS1_20scan_config_selectorIdEEZZNS1_9scan_implILNS1_25lookback_scan_determinismE0ELb1ELb1ES3_N6thrust23THRUST_200600_302600_NS6detail15normal_iteratorINS9_10device_ptrIdEEEESE_dNS9_4plusIvEEdEEDaPvRmT3_T4_T5_mT6_P12ihipStream_tbENKUlT_T0_E_clISt17integral_constantIbLb1EEST_IbLb0EEEEDaSP_SQ_EUlSP_E_NS1_11comp_targetILNS1_3genE3ELNS1_11target_archE908ELNS1_3gpuE7ELNS1_3repE0EEENS1_30default_config_static_selectorELNS0_4arch9wavefront6targetE1EEEvT1_,"axG",@progbits,_ZN7rocprim17ROCPRIM_400000_NS6detail17trampoline_kernelINS0_14default_configENS1_20scan_config_selectorIdEEZZNS1_9scan_implILNS1_25lookback_scan_determinismE0ELb1ELb1ES3_N6thrust23THRUST_200600_302600_NS6detail15normal_iteratorINS9_10device_ptrIdEEEESE_dNS9_4plusIvEEdEEDaPvRmT3_T4_T5_mT6_P12ihipStream_tbENKUlT_T0_E_clISt17integral_constantIbLb1EEST_IbLb0EEEEDaSP_SQ_EUlSP_E_NS1_11comp_targetILNS1_3genE3ELNS1_11target_archE908ELNS1_3gpuE7ELNS1_3repE0EEENS1_30default_config_static_selectorELNS0_4arch9wavefront6targetE1EEEvT1_,comdat
.Lfunc_end4253:
	.size	_ZN7rocprim17ROCPRIM_400000_NS6detail17trampoline_kernelINS0_14default_configENS1_20scan_config_selectorIdEEZZNS1_9scan_implILNS1_25lookback_scan_determinismE0ELb1ELb1ES3_N6thrust23THRUST_200600_302600_NS6detail15normal_iteratorINS9_10device_ptrIdEEEESE_dNS9_4plusIvEEdEEDaPvRmT3_T4_T5_mT6_P12ihipStream_tbENKUlT_T0_E_clISt17integral_constantIbLb1EEST_IbLb0EEEEDaSP_SQ_EUlSP_E_NS1_11comp_targetILNS1_3genE3ELNS1_11target_archE908ELNS1_3gpuE7ELNS1_3repE0EEENS1_30default_config_static_selectorELNS0_4arch9wavefront6targetE1EEEvT1_, .Lfunc_end4253-_ZN7rocprim17ROCPRIM_400000_NS6detail17trampoline_kernelINS0_14default_configENS1_20scan_config_selectorIdEEZZNS1_9scan_implILNS1_25lookback_scan_determinismE0ELb1ELb1ES3_N6thrust23THRUST_200600_302600_NS6detail15normal_iteratorINS9_10device_ptrIdEEEESE_dNS9_4plusIvEEdEEDaPvRmT3_T4_T5_mT6_P12ihipStream_tbENKUlT_T0_E_clISt17integral_constantIbLb1EEST_IbLb0EEEEDaSP_SQ_EUlSP_E_NS1_11comp_targetILNS1_3genE3ELNS1_11target_archE908ELNS1_3gpuE7ELNS1_3repE0EEENS1_30default_config_static_selectorELNS0_4arch9wavefront6targetE1EEEvT1_
                                        ; -- End function
	.section	.AMDGPU.csdata,"",@progbits
; Kernel info:
; codeLenInByte = 0
; NumSgprs: 4
; NumVgprs: 0
; NumAgprs: 0
; TotalNumVgprs: 0
; ScratchSize: 0
; MemoryBound: 0
; FloatMode: 240
; IeeeMode: 1
; LDSByteSize: 0 bytes/workgroup (compile time only)
; SGPRBlocks: 0
; VGPRBlocks: 0
; NumSGPRsForWavesPerEU: 4
; NumVGPRsForWavesPerEU: 1
; AccumOffset: 4
; Occupancy: 8
; WaveLimiterHint : 0
; COMPUTE_PGM_RSRC2:SCRATCH_EN: 0
; COMPUTE_PGM_RSRC2:USER_SGPR: 6
; COMPUTE_PGM_RSRC2:TRAP_HANDLER: 0
; COMPUTE_PGM_RSRC2:TGID_X_EN: 1
; COMPUTE_PGM_RSRC2:TGID_Y_EN: 0
; COMPUTE_PGM_RSRC2:TGID_Z_EN: 0
; COMPUTE_PGM_RSRC2:TIDIG_COMP_CNT: 0
; COMPUTE_PGM_RSRC3_GFX90A:ACCUM_OFFSET: 0
; COMPUTE_PGM_RSRC3_GFX90A:TG_SPLIT: 0
	.section	.text._ZN7rocprim17ROCPRIM_400000_NS6detail17trampoline_kernelINS0_14default_configENS1_20scan_config_selectorIdEEZZNS1_9scan_implILNS1_25lookback_scan_determinismE0ELb1ELb1ES3_N6thrust23THRUST_200600_302600_NS6detail15normal_iteratorINS9_10device_ptrIdEEEESE_dNS9_4plusIvEEdEEDaPvRmT3_T4_T5_mT6_P12ihipStream_tbENKUlT_T0_E_clISt17integral_constantIbLb1EEST_IbLb0EEEEDaSP_SQ_EUlSP_E_NS1_11comp_targetILNS1_3genE2ELNS1_11target_archE906ELNS1_3gpuE6ELNS1_3repE0EEENS1_30default_config_static_selectorELNS0_4arch9wavefront6targetE1EEEvT1_,"axG",@progbits,_ZN7rocprim17ROCPRIM_400000_NS6detail17trampoline_kernelINS0_14default_configENS1_20scan_config_selectorIdEEZZNS1_9scan_implILNS1_25lookback_scan_determinismE0ELb1ELb1ES3_N6thrust23THRUST_200600_302600_NS6detail15normal_iteratorINS9_10device_ptrIdEEEESE_dNS9_4plusIvEEdEEDaPvRmT3_T4_T5_mT6_P12ihipStream_tbENKUlT_T0_E_clISt17integral_constantIbLb1EEST_IbLb0EEEEDaSP_SQ_EUlSP_E_NS1_11comp_targetILNS1_3genE2ELNS1_11target_archE906ELNS1_3gpuE6ELNS1_3repE0EEENS1_30default_config_static_selectorELNS0_4arch9wavefront6targetE1EEEvT1_,comdat
	.protected	_ZN7rocprim17ROCPRIM_400000_NS6detail17trampoline_kernelINS0_14default_configENS1_20scan_config_selectorIdEEZZNS1_9scan_implILNS1_25lookback_scan_determinismE0ELb1ELb1ES3_N6thrust23THRUST_200600_302600_NS6detail15normal_iteratorINS9_10device_ptrIdEEEESE_dNS9_4plusIvEEdEEDaPvRmT3_T4_T5_mT6_P12ihipStream_tbENKUlT_T0_E_clISt17integral_constantIbLb1EEST_IbLb0EEEEDaSP_SQ_EUlSP_E_NS1_11comp_targetILNS1_3genE2ELNS1_11target_archE906ELNS1_3gpuE6ELNS1_3repE0EEENS1_30default_config_static_selectorELNS0_4arch9wavefront6targetE1EEEvT1_ ; -- Begin function _ZN7rocprim17ROCPRIM_400000_NS6detail17trampoline_kernelINS0_14default_configENS1_20scan_config_selectorIdEEZZNS1_9scan_implILNS1_25lookback_scan_determinismE0ELb1ELb1ES3_N6thrust23THRUST_200600_302600_NS6detail15normal_iteratorINS9_10device_ptrIdEEEESE_dNS9_4plusIvEEdEEDaPvRmT3_T4_T5_mT6_P12ihipStream_tbENKUlT_T0_E_clISt17integral_constantIbLb1EEST_IbLb0EEEEDaSP_SQ_EUlSP_E_NS1_11comp_targetILNS1_3genE2ELNS1_11target_archE906ELNS1_3gpuE6ELNS1_3repE0EEENS1_30default_config_static_selectorELNS0_4arch9wavefront6targetE1EEEvT1_
	.globl	_ZN7rocprim17ROCPRIM_400000_NS6detail17trampoline_kernelINS0_14default_configENS1_20scan_config_selectorIdEEZZNS1_9scan_implILNS1_25lookback_scan_determinismE0ELb1ELb1ES3_N6thrust23THRUST_200600_302600_NS6detail15normal_iteratorINS9_10device_ptrIdEEEESE_dNS9_4plusIvEEdEEDaPvRmT3_T4_T5_mT6_P12ihipStream_tbENKUlT_T0_E_clISt17integral_constantIbLb1EEST_IbLb0EEEEDaSP_SQ_EUlSP_E_NS1_11comp_targetILNS1_3genE2ELNS1_11target_archE906ELNS1_3gpuE6ELNS1_3repE0EEENS1_30default_config_static_selectorELNS0_4arch9wavefront6targetE1EEEvT1_
	.p2align	8
	.type	_ZN7rocprim17ROCPRIM_400000_NS6detail17trampoline_kernelINS0_14default_configENS1_20scan_config_selectorIdEEZZNS1_9scan_implILNS1_25lookback_scan_determinismE0ELb1ELb1ES3_N6thrust23THRUST_200600_302600_NS6detail15normal_iteratorINS9_10device_ptrIdEEEESE_dNS9_4plusIvEEdEEDaPvRmT3_T4_T5_mT6_P12ihipStream_tbENKUlT_T0_E_clISt17integral_constantIbLb1EEST_IbLb0EEEEDaSP_SQ_EUlSP_E_NS1_11comp_targetILNS1_3genE2ELNS1_11target_archE906ELNS1_3gpuE6ELNS1_3repE0EEENS1_30default_config_static_selectorELNS0_4arch9wavefront6targetE1EEEvT1_,@function
_ZN7rocprim17ROCPRIM_400000_NS6detail17trampoline_kernelINS0_14default_configENS1_20scan_config_selectorIdEEZZNS1_9scan_implILNS1_25lookback_scan_determinismE0ELb1ELb1ES3_N6thrust23THRUST_200600_302600_NS6detail15normal_iteratorINS9_10device_ptrIdEEEESE_dNS9_4plusIvEEdEEDaPvRmT3_T4_T5_mT6_P12ihipStream_tbENKUlT_T0_E_clISt17integral_constantIbLb1EEST_IbLb0EEEEDaSP_SQ_EUlSP_E_NS1_11comp_targetILNS1_3genE2ELNS1_11target_archE906ELNS1_3gpuE6ELNS1_3repE0EEENS1_30default_config_static_selectorELNS0_4arch9wavefront6targetE1EEEvT1_: ; @_ZN7rocprim17ROCPRIM_400000_NS6detail17trampoline_kernelINS0_14default_configENS1_20scan_config_selectorIdEEZZNS1_9scan_implILNS1_25lookback_scan_determinismE0ELb1ELb1ES3_N6thrust23THRUST_200600_302600_NS6detail15normal_iteratorINS9_10device_ptrIdEEEESE_dNS9_4plusIvEEdEEDaPvRmT3_T4_T5_mT6_P12ihipStream_tbENKUlT_T0_E_clISt17integral_constantIbLb1EEST_IbLb0EEEEDaSP_SQ_EUlSP_E_NS1_11comp_targetILNS1_3genE2ELNS1_11target_archE906ELNS1_3gpuE6ELNS1_3repE0EEENS1_30default_config_static_selectorELNS0_4arch9wavefront6targetE1EEEvT1_
; %bb.0:
	.section	.rodata,"a",@progbits
	.p2align	6, 0x0
	.amdhsa_kernel _ZN7rocprim17ROCPRIM_400000_NS6detail17trampoline_kernelINS0_14default_configENS1_20scan_config_selectorIdEEZZNS1_9scan_implILNS1_25lookback_scan_determinismE0ELb1ELb1ES3_N6thrust23THRUST_200600_302600_NS6detail15normal_iteratorINS9_10device_ptrIdEEEESE_dNS9_4plusIvEEdEEDaPvRmT3_T4_T5_mT6_P12ihipStream_tbENKUlT_T0_E_clISt17integral_constantIbLb1EEST_IbLb0EEEEDaSP_SQ_EUlSP_E_NS1_11comp_targetILNS1_3genE2ELNS1_11target_archE906ELNS1_3gpuE6ELNS1_3repE0EEENS1_30default_config_static_selectorELNS0_4arch9wavefront6targetE1EEEvT1_
		.amdhsa_group_segment_fixed_size 0
		.amdhsa_private_segment_fixed_size 0
		.amdhsa_kernarg_size 104
		.amdhsa_user_sgpr_count 6
		.amdhsa_user_sgpr_private_segment_buffer 1
		.amdhsa_user_sgpr_dispatch_ptr 0
		.amdhsa_user_sgpr_queue_ptr 0
		.amdhsa_user_sgpr_kernarg_segment_ptr 1
		.amdhsa_user_sgpr_dispatch_id 0
		.amdhsa_user_sgpr_flat_scratch_init 0
		.amdhsa_user_sgpr_kernarg_preload_length 0
		.amdhsa_user_sgpr_kernarg_preload_offset 0
		.amdhsa_user_sgpr_private_segment_size 0
		.amdhsa_uses_dynamic_stack 0
		.amdhsa_system_sgpr_private_segment_wavefront_offset 0
		.amdhsa_system_sgpr_workgroup_id_x 1
		.amdhsa_system_sgpr_workgroup_id_y 0
		.amdhsa_system_sgpr_workgroup_id_z 0
		.amdhsa_system_sgpr_workgroup_info 0
		.amdhsa_system_vgpr_workitem_id 0
		.amdhsa_next_free_vgpr 1
		.amdhsa_next_free_sgpr 0
		.amdhsa_accum_offset 4
		.amdhsa_reserve_vcc 0
		.amdhsa_reserve_flat_scratch 0
		.amdhsa_float_round_mode_32 0
		.amdhsa_float_round_mode_16_64 0
		.amdhsa_float_denorm_mode_32 3
		.amdhsa_float_denorm_mode_16_64 3
		.amdhsa_dx10_clamp 1
		.amdhsa_ieee_mode 1
		.amdhsa_fp16_overflow 0
		.amdhsa_tg_split 0
		.amdhsa_exception_fp_ieee_invalid_op 0
		.amdhsa_exception_fp_denorm_src 0
		.amdhsa_exception_fp_ieee_div_zero 0
		.amdhsa_exception_fp_ieee_overflow 0
		.amdhsa_exception_fp_ieee_underflow 0
		.amdhsa_exception_fp_ieee_inexact 0
		.amdhsa_exception_int_div_zero 0
	.end_amdhsa_kernel
	.section	.text._ZN7rocprim17ROCPRIM_400000_NS6detail17trampoline_kernelINS0_14default_configENS1_20scan_config_selectorIdEEZZNS1_9scan_implILNS1_25lookback_scan_determinismE0ELb1ELb1ES3_N6thrust23THRUST_200600_302600_NS6detail15normal_iteratorINS9_10device_ptrIdEEEESE_dNS9_4plusIvEEdEEDaPvRmT3_T4_T5_mT6_P12ihipStream_tbENKUlT_T0_E_clISt17integral_constantIbLb1EEST_IbLb0EEEEDaSP_SQ_EUlSP_E_NS1_11comp_targetILNS1_3genE2ELNS1_11target_archE906ELNS1_3gpuE6ELNS1_3repE0EEENS1_30default_config_static_selectorELNS0_4arch9wavefront6targetE1EEEvT1_,"axG",@progbits,_ZN7rocprim17ROCPRIM_400000_NS6detail17trampoline_kernelINS0_14default_configENS1_20scan_config_selectorIdEEZZNS1_9scan_implILNS1_25lookback_scan_determinismE0ELb1ELb1ES3_N6thrust23THRUST_200600_302600_NS6detail15normal_iteratorINS9_10device_ptrIdEEEESE_dNS9_4plusIvEEdEEDaPvRmT3_T4_T5_mT6_P12ihipStream_tbENKUlT_T0_E_clISt17integral_constantIbLb1EEST_IbLb0EEEEDaSP_SQ_EUlSP_E_NS1_11comp_targetILNS1_3genE2ELNS1_11target_archE906ELNS1_3gpuE6ELNS1_3repE0EEENS1_30default_config_static_selectorELNS0_4arch9wavefront6targetE1EEEvT1_,comdat
.Lfunc_end4254:
	.size	_ZN7rocprim17ROCPRIM_400000_NS6detail17trampoline_kernelINS0_14default_configENS1_20scan_config_selectorIdEEZZNS1_9scan_implILNS1_25lookback_scan_determinismE0ELb1ELb1ES3_N6thrust23THRUST_200600_302600_NS6detail15normal_iteratorINS9_10device_ptrIdEEEESE_dNS9_4plusIvEEdEEDaPvRmT3_T4_T5_mT6_P12ihipStream_tbENKUlT_T0_E_clISt17integral_constantIbLb1EEST_IbLb0EEEEDaSP_SQ_EUlSP_E_NS1_11comp_targetILNS1_3genE2ELNS1_11target_archE906ELNS1_3gpuE6ELNS1_3repE0EEENS1_30default_config_static_selectorELNS0_4arch9wavefront6targetE1EEEvT1_, .Lfunc_end4254-_ZN7rocprim17ROCPRIM_400000_NS6detail17trampoline_kernelINS0_14default_configENS1_20scan_config_selectorIdEEZZNS1_9scan_implILNS1_25lookback_scan_determinismE0ELb1ELb1ES3_N6thrust23THRUST_200600_302600_NS6detail15normal_iteratorINS9_10device_ptrIdEEEESE_dNS9_4plusIvEEdEEDaPvRmT3_T4_T5_mT6_P12ihipStream_tbENKUlT_T0_E_clISt17integral_constantIbLb1EEST_IbLb0EEEEDaSP_SQ_EUlSP_E_NS1_11comp_targetILNS1_3genE2ELNS1_11target_archE906ELNS1_3gpuE6ELNS1_3repE0EEENS1_30default_config_static_selectorELNS0_4arch9wavefront6targetE1EEEvT1_
                                        ; -- End function
	.section	.AMDGPU.csdata,"",@progbits
; Kernel info:
; codeLenInByte = 0
; NumSgprs: 4
; NumVgprs: 0
; NumAgprs: 0
; TotalNumVgprs: 0
; ScratchSize: 0
; MemoryBound: 0
; FloatMode: 240
; IeeeMode: 1
; LDSByteSize: 0 bytes/workgroup (compile time only)
; SGPRBlocks: 0
; VGPRBlocks: 0
; NumSGPRsForWavesPerEU: 4
; NumVGPRsForWavesPerEU: 1
; AccumOffset: 4
; Occupancy: 8
; WaveLimiterHint : 0
; COMPUTE_PGM_RSRC2:SCRATCH_EN: 0
; COMPUTE_PGM_RSRC2:USER_SGPR: 6
; COMPUTE_PGM_RSRC2:TRAP_HANDLER: 0
; COMPUTE_PGM_RSRC2:TGID_X_EN: 1
; COMPUTE_PGM_RSRC2:TGID_Y_EN: 0
; COMPUTE_PGM_RSRC2:TGID_Z_EN: 0
; COMPUTE_PGM_RSRC2:TIDIG_COMP_CNT: 0
; COMPUTE_PGM_RSRC3_GFX90A:ACCUM_OFFSET: 0
; COMPUTE_PGM_RSRC3_GFX90A:TG_SPLIT: 0
	.section	.text._ZN7rocprim17ROCPRIM_400000_NS6detail17trampoline_kernelINS0_14default_configENS1_20scan_config_selectorIdEEZZNS1_9scan_implILNS1_25lookback_scan_determinismE0ELb1ELb1ES3_N6thrust23THRUST_200600_302600_NS6detail15normal_iteratorINS9_10device_ptrIdEEEESE_dNS9_4plusIvEEdEEDaPvRmT3_T4_T5_mT6_P12ihipStream_tbENKUlT_T0_E_clISt17integral_constantIbLb1EEST_IbLb0EEEEDaSP_SQ_EUlSP_E_NS1_11comp_targetILNS1_3genE10ELNS1_11target_archE1201ELNS1_3gpuE5ELNS1_3repE0EEENS1_30default_config_static_selectorELNS0_4arch9wavefront6targetE1EEEvT1_,"axG",@progbits,_ZN7rocprim17ROCPRIM_400000_NS6detail17trampoline_kernelINS0_14default_configENS1_20scan_config_selectorIdEEZZNS1_9scan_implILNS1_25lookback_scan_determinismE0ELb1ELb1ES3_N6thrust23THRUST_200600_302600_NS6detail15normal_iteratorINS9_10device_ptrIdEEEESE_dNS9_4plusIvEEdEEDaPvRmT3_T4_T5_mT6_P12ihipStream_tbENKUlT_T0_E_clISt17integral_constantIbLb1EEST_IbLb0EEEEDaSP_SQ_EUlSP_E_NS1_11comp_targetILNS1_3genE10ELNS1_11target_archE1201ELNS1_3gpuE5ELNS1_3repE0EEENS1_30default_config_static_selectorELNS0_4arch9wavefront6targetE1EEEvT1_,comdat
	.protected	_ZN7rocprim17ROCPRIM_400000_NS6detail17trampoline_kernelINS0_14default_configENS1_20scan_config_selectorIdEEZZNS1_9scan_implILNS1_25lookback_scan_determinismE0ELb1ELb1ES3_N6thrust23THRUST_200600_302600_NS6detail15normal_iteratorINS9_10device_ptrIdEEEESE_dNS9_4plusIvEEdEEDaPvRmT3_T4_T5_mT6_P12ihipStream_tbENKUlT_T0_E_clISt17integral_constantIbLb1EEST_IbLb0EEEEDaSP_SQ_EUlSP_E_NS1_11comp_targetILNS1_3genE10ELNS1_11target_archE1201ELNS1_3gpuE5ELNS1_3repE0EEENS1_30default_config_static_selectorELNS0_4arch9wavefront6targetE1EEEvT1_ ; -- Begin function _ZN7rocprim17ROCPRIM_400000_NS6detail17trampoline_kernelINS0_14default_configENS1_20scan_config_selectorIdEEZZNS1_9scan_implILNS1_25lookback_scan_determinismE0ELb1ELb1ES3_N6thrust23THRUST_200600_302600_NS6detail15normal_iteratorINS9_10device_ptrIdEEEESE_dNS9_4plusIvEEdEEDaPvRmT3_T4_T5_mT6_P12ihipStream_tbENKUlT_T0_E_clISt17integral_constantIbLb1EEST_IbLb0EEEEDaSP_SQ_EUlSP_E_NS1_11comp_targetILNS1_3genE10ELNS1_11target_archE1201ELNS1_3gpuE5ELNS1_3repE0EEENS1_30default_config_static_selectorELNS0_4arch9wavefront6targetE1EEEvT1_
	.globl	_ZN7rocprim17ROCPRIM_400000_NS6detail17trampoline_kernelINS0_14default_configENS1_20scan_config_selectorIdEEZZNS1_9scan_implILNS1_25lookback_scan_determinismE0ELb1ELb1ES3_N6thrust23THRUST_200600_302600_NS6detail15normal_iteratorINS9_10device_ptrIdEEEESE_dNS9_4plusIvEEdEEDaPvRmT3_T4_T5_mT6_P12ihipStream_tbENKUlT_T0_E_clISt17integral_constantIbLb1EEST_IbLb0EEEEDaSP_SQ_EUlSP_E_NS1_11comp_targetILNS1_3genE10ELNS1_11target_archE1201ELNS1_3gpuE5ELNS1_3repE0EEENS1_30default_config_static_selectorELNS0_4arch9wavefront6targetE1EEEvT1_
	.p2align	8
	.type	_ZN7rocprim17ROCPRIM_400000_NS6detail17trampoline_kernelINS0_14default_configENS1_20scan_config_selectorIdEEZZNS1_9scan_implILNS1_25lookback_scan_determinismE0ELb1ELb1ES3_N6thrust23THRUST_200600_302600_NS6detail15normal_iteratorINS9_10device_ptrIdEEEESE_dNS9_4plusIvEEdEEDaPvRmT3_T4_T5_mT6_P12ihipStream_tbENKUlT_T0_E_clISt17integral_constantIbLb1EEST_IbLb0EEEEDaSP_SQ_EUlSP_E_NS1_11comp_targetILNS1_3genE10ELNS1_11target_archE1201ELNS1_3gpuE5ELNS1_3repE0EEENS1_30default_config_static_selectorELNS0_4arch9wavefront6targetE1EEEvT1_,@function
_ZN7rocprim17ROCPRIM_400000_NS6detail17trampoline_kernelINS0_14default_configENS1_20scan_config_selectorIdEEZZNS1_9scan_implILNS1_25lookback_scan_determinismE0ELb1ELb1ES3_N6thrust23THRUST_200600_302600_NS6detail15normal_iteratorINS9_10device_ptrIdEEEESE_dNS9_4plusIvEEdEEDaPvRmT3_T4_T5_mT6_P12ihipStream_tbENKUlT_T0_E_clISt17integral_constantIbLb1EEST_IbLb0EEEEDaSP_SQ_EUlSP_E_NS1_11comp_targetILNS1_3genE10ELNS1_11target_archE1201ELNS1_3gpuE5ELNS1_3repE0EEENS1_30default_config_static_selectorELNS0_4arch9wavefront6targetE1EEEvT1_: ; @_ZN7rocprim17ROCPRIM_400000_NS6detail17trampoline_kernelINS0_14default_configENS1_20scan_config_selectorIdEEZZNS1_9scan_implILNS1_25lookback_scan_determinismE0ELb1ELb1ES3_N6thrust23THRUST_200600_302600_NS6detail15normal_iteratorINS9_10device_ptrIdEEEESE_dNS9_4plusIvEEdEEDaPvRmT3_T4_T5_mT6_P12ihipStream_tbENKUlT_T0_E_clISt17integral_constantIbLb1EEST_IbLb0EEEEDaSP_SQ_EUlSP_E_NS1_11comp_targetILNS1_3genE10ELNS1_11target_archE1201ELNS1_3gpuE5ELNS1_3repE0EEENS1_30default_config_static_selectorELNS0_4arch9wavefront6targetE1EEEvT1_
; %bb.0:
	.section	.rodata,"a",@progbits
	.p2align	6, 0x0
	.amdhsa_kernel _ZN7rocprim17ROCPRIM_400000_NS6detail17trampoline_kernelINS0_14default_configENS1_20scan_config_selectorIdEEZZNS1_9scan_implILNS1_25lookback_scan_determinismE0ELb1ELb1ES3_N6thrust23THRUST_200600_302600_NS6detail15normal_iteratorINS9_10device_ptrIdEEEESE_dNS9_4plusIvEEdEEDaPvRmT3_T4_T5_mT6_P12ihipStream_tbENKUlT_T0_E_clISt17integral_constantIbLb1EEST_IbLb0EEEEDaSP_SQ_EUlSP_E_NS1_11comp_targetILNS1_3genE10ELNS1_11target_archE1201ELNS1_3gpuE5ELNS1_3repE0EEENS1_30default_config_static_selectorELNS0_4arch9wavefront6targetE1EEEvT1_
		.amdhsa_group_segment_fixed_size 0
		.amdhsa_private_segment_fixed_size 0
		.amdhsa_kernarg_size 104
		.amdhsa_user_sgpr_count 6
		.amdhsa_user_sgpr_private_segment_buffer 1
		.amdhsa_user_sgpr_dispatch_ptr 0
		.amdhsa_user_sgpr_queue_ptr 0
		.amdhsa_user_sgpr_kernarg_segment_ptr 1
		.amdhsa_user_sgpr_dispatch_id 0
		.amdhsa_user_sgpr_flat_scratch_init 0
		.amdhsa_user_sgpr_kernarg_preload_length 0
		.amdhsa_user_sgpr_kernarg_preload_offset 0
		.amdhsa_user_sgpr_private_segment_size 0
		.amdhsa_uses_dynamic_stack 0
		.amdhsa_system_sgpr_private_segment_wavefront_offset 0
		.amdhsa_system_sgpr_workgroup_id_x 1
		.amdhsa_system_sgpr_workgroup_id_y 0
		.amdhsa_system_sgpr_workgroup_id_z 0
		.amdhsa_system_sgpr_workgroup_info 0
		.amdhsa_system_vgpr_workitem_id 0
		.amdhsa_next_free_vgpr 1
		.amdhsa_next_free_sgpr 0
		.amdhsa_accum_offset 4
		.amdhsa_reserve_vcc 0
		.amdhsa_reserve_flat_scratch 0
		.amdhsa_float_round_mode_32 0
		.amdhsa_float_round_mode_16_64 0
		.amdhsa_float_denorm_mode_32 3
		.amdhsa_float_denorm_mode_16_64 3
		.amdhsa_dx10_clamp 1
		.amdhsa_ieee_mode 1
		.amdhsa_fp16_overflow 0
		.amdhsa_tg_split 0
		.amdhsa_exception_fp_ieee_invalid_op 0
		.amdhsa_exception_fp_denorm_src 0
		.amdhsa_exception_fp_ieee_div_zero 0
		.amdhsa_exception_fp_ieee_overflow 0
		.amdhsa_exception_fp_ieee_underflow 0
		.amdhsa_exception_fp_ieee_inexact 0
		.amdhsa_exception_int_div_zero 0
	.end_amdhsa_kernel
	.section	.text._ZN7rocprim17ROCPRIM_400000_NS6detail17trampoline_kernelINS0_14default_configENS1_20scan_config_selectorIdEEZZNS1_9scan_implILNS1_25lookback_scan_determinismE0ELb1ELb1ES3_N6thrust23THRUST_200600_302600_NS6detail15normal_iteratorINS9_10device_ptrIdEEEESE_dNS9_4plusIvEEdEEDaPvRmT3_T4_T5_mT6_P12ihipStream_tbENKUlT_T0_E_clISt17integral_constantIbLb1EEST_IbLb0EEEEDaSP_SQ_EUlSP_E_NS1_11comp_targetILNS1_3genE10ELNS1_11target_archE1201ELNS1_3gpuE5ELNS1_3repE0EEENS1_30default_config_static_selectorELNS0_4arch9wavefront6targetE1EEEvT1_,"axG",@progbits,_ZN7rocprim17ROCPRIM_400000_NS6detail17trampoline_kernelINS0_14default_configENS1_20scan_config_selectorIdEEZZNS1_9scan_implILNS1_25lookback_scan_determinismE0ELb1ELb1ES3_N6thrust23THRUST_200600_302600_NS6detail15normal_iteratorINS9_10device_ptrIdEEEESE_dNS9_4plusIvEEdEEDaPvRmT3_T4_T5_mT6_P12ihipStream_tbENKUlT_T0_E_clISt17integral_constantIbLb1EEST_IbLb0EEEEDaSP_SQ_EUlSP_E_NS1_11comp_targetILNS1_3genE10ELNS1_11target_archE1201ELNS1_3gpuE5ELNS1_3repE0EEENS1_30default_config_static_selectorELNS0_4arch9wavefront6targetE1EEEvT1_,comdat
.Lfunc_end4255:
	.size	_ZN7rocprim17ROCPRIM_400000_NS6detail17trampoline_kernelINS0_14default_configENS1_20scan_config_selectorIdEEZZNS1_9scan_implILNS1_25lookback_scan_determinismE0ELb1ELb1ES3_N6thrust23THRUST_200600_302600_NS6detail15normal_iteratorINS9_10device_ptrIdEEEESE_dNS9_4plusIvEEdEEDaPvRmT3_T4_T5_mT6_P12ihipStream_tbENKUlT_T0_E_clISt17integral_constantIbLb1EEST_IbLb0EEEEDaSP_SQ_EUlSP_E_NS1_11comp_targetILNS1_3genE10ELNS1_11target_archE1201ELNS1_3gpuE5ELNS1_3repE0EEENS1_30default_config_static_selectorELNS0_4arch9wavefront6targetE1EEEvT1_, .Lfunc_end4255-_ZN7rocprim17ROCPRIM_400000_NS6detail17trampoline_kernelINS0_14default_configENS1_20scan_config_selectorIdEEZZNS1_9scan_implILNS1_25lookback_scan_determinismE0ELb1ELb1ES3_N6thrust23THRUST_200600_302600_NS6detail15normal_iteratorINS9_10device_ptrIdEEEESE_dNS9_4plusIvEEdEEDaPvRmT3_T4_T5_mT6_P12ihipStream_tbENKUlT_T0_E_clISt17integral_constantIbLb1EEST_IbLb0EEEEDaSP_SQ_EUlSP_E_NS1_11comp_targetILNS1_3genE10ELNS1_11target_archE1201ELNS1_3gpuE5ELNS1_3repE0EEENS1_30default_config_static_selectorELNS0_4arch9wavefront6targetE1EEEvT1_
                                        ; -- End function
	.section	.AMDGPU.csdata,"",@progbits
; Kernel info:
; codeLenInByte = 0
; NumSgprs: 4
; NumVgprs: 0
; NumAgprs: 0
; TotalNumVgprs: 0
; ScratchSize: 0
; MemoryBound: 0
; FloatMode: 240
; IeeeMode: 1
; LDSByteSize: 0 bytes/workgroup (compile time only)
; SGPRBlocks: 0
; VGPRBlocks: 0
; NumSGPRsForWavesPerEU: 4
; NumVGPRsForWavesPerEU: 1
; AccumOffset: 4
; Occupancy: 8
; WaveLimiterHint : 0
; COMPUTE_PGM_RSRC2:SCRATCH_EN: 0
; COMPUTE_PGM_RSRC2:USER_SGPR: 6
; COMPUTE_PGM_RSRC2:TRAP_HANDLER: 0
; COMPUTE_PGM_RSRC2:TGID_X_EN: 1
; COMPUTE_PGM_RSRC2:TGID_Y_EN: 0
; COMPUTE_PGM_RSRC2:TGID_Z_EN: 0
; COMPUTE_PGM_RSRC2:TIDIG_COMP_CNT: 0
; COMPUTE_PGM_RSRC3_GFX90A:ACCUM_OFFSET: 0
; COMPUTE_PGM_RSRC3_GFX90A:TG_SPLIT: 0
	.section	.text._ZN7rocprim17ROCPRIM_400000_NS6detail17trampoline_kernelINS0_14default_configENS1_20scan_config_selectorIdEEZZNS1_9scan_implILNS1_25lookback_scan_determinismE0ELb1ELb1ES3_N6thrust23THRUST_200600_302600_NS6detail15normal_iteratorINS9_10device_ptrIdEEEESE_dNS9_4plusIvEEdEEDaPvRmT3_T4_T5_mT6_P12ihipStream_tbENKUlT_T0_E_clISt17integral_constantIbLb1EEST_IbLb0EEEEDaSP_SQ_EUlSP_E_NS1_11comp_targetILNS1_3genE10ELNS1_11target_archE1200ELNS1_3gpuE4ELNS1_3repE0EEENS1_30default_config_static_selectorELNS0_4arch9wavefront6targetE1EEEvT1_,"axG",@progbits,_ZN7rocprim17ROCPRIM_400000_NS6detail17trampoline_kernelINS0_14default_configENS1_20scan_config_selectorIdEEZZNS1_9scan_implILNS1_25lookback_scan_determinismE0ELb1ELb1ES3_N6thrust23THRUST_200600_302600_NS6detail15normal_iteratorINS9_10device_ptrIdEEEESE_dNS9_4plusIvEEdEEDaPvRmT3_T4_T5_mT6_P12ihipStream_tbENKUlT_T0_E_clISt17integral_constantIbLb1EEST_IbLb0EEEEDaSP_SQ_EUlSP_E_NS1_11comp_targetILNS1_3genE10ELNS1_11target_archE1200ELNS1_3gpuE4ELNS1_3repE0EEENS1_30default_config_static_selectorELNS0_4arch9wavefront6targetE1EEEvT1_,comdat
	.protected	_ZN7rocprim17ROCPRIM_400000_NS6detail17trampoline_kernelINS0_14default_configENS1_20scan_config_selectorIdEEZZNS1_9scan_implILNS1_25lookback_scan_determinismE0ELb1ELb1ES3_N6thrust23THRUST_200600_302600_NS6detail15normal_iteratorINS9_10device_ptrIdEEEESE_dNS9_4plusIvEEdEEDaPvRmT3_T4_T5_mT6_P12ihipStream_tbENKUlT_T0_E_clISt17integral_constantIbLb1EEST_IbLb0EEEEDaSP_SQ_EUlSP_E_NS1_11comp_targetILNS1_3genE10ELNS1_11target_archE1200ELNS1_3gpuE4ELNS1_3repE0EEENS1_30default_config_static_selectorELNS0_4arch9wavefront6targetE1EEEvT1_ ; -- Begin function _ZN7rocprim17ROCPRIM_400000_NS6detail17trampoline_kernelINS0_14default_configENS1_20scan_config_selectorIdEEZZNS1_9scan_implILNS1_25lookback_scan_determinismE0ELb1ELb1ES3_N6thrust23THRUST_200600_302600_NS6detail15normal_iteratorINS9_10device_ptrIdEEEESE_dNS9_4plusIvEEdEEDaPvRmT3_T4_T5_mT6_P12ihipStream_tbENKUlT_T0_E_clISt17integral_constantIbLb1EEST_IbLb0EEEEDaSP_SQ_EUlSP_E_NS1_11comp_targetILNS1_3genE10ELNS1_11target_archE1200ELNS1_3gpuE4ELNS1_3repE0EEENS1_30default_config_static_selectorELNS0_4arch9wavefront6targetE1EEEvT1_
	.globl	_ZN7rocprim17ROCPRIM_400000_NS6detail17trampoline_kernelINS0_14default_configENS1_20scan_config_selectorIdEEZZNS1_9scan_implILNS1_25lookback_scan_determinismE0ELb1ELb1ES3_N6thrust23THRUST_200600_302600_NS6detail15normal_iteratorINS9_10device_ptrIdEEEESE_dNS9_4plusIvEEdEEDaPvRmT3_T4_T5_mT6_P12ihipStream_tbENKUlT_T0_E_clISt17integral_constantIbLb1EEST_IbLb0EEEEDaSP_SQ_EUlSP_E_NS1_11comp_targetILNS1_3genE10ELNS1_11target_archE1200ELNS1_3gpuE4ELNS1_3repE0EEENS1_30default_config_static_selectorELNS0_4arch9wavefront6targetE1EEEvT1_
	.p2align	8
	.type	_ZN7rocprim17ROCPRIM_400000_NS6detail17trampoline_kernelINS0_14default_configENS1_20scan_config_selectorIdEEZZNS1_9scan_implILNS1_25lookback_scan_determinismE0ELb1ELb1ES3_N6thrust23THRUST_200600_302600_NS6detail15normal_iteratorINS9_10device_ptrIdEEEESE_dNS9_4plusIvEEdEEDaPvRmT3_T4_T5_mT6_P12ihipStream_tbENKUlT_T0_E_clISt17integral_constantIbLb1EEST_IbLb0EEEEDaSP_SQ_EUlSP_E_NS1_11comp_targetILNS1_3genE10ELNS1_11target_archE1200ELNS1_3gpuE4ELNS1_3repE0EEENS1_30default_config_static_selectorELNS0_4arch9wavefront6targetE1EEEvT1_,@function
_ZN7rocprim17ROCPRIM_400000_NS6detail17trampoline_kernelINS0_14default_configENS1_20scan_config_selectorIdEEZZNS1_9scan_implILNS1_25lookback_scan_determinismE0ELb1ELb1ES3_N6thrust23THRUST_200600_302600_NS6detail15normal_iteratorINS9_10device_ptrIdEEEESE_dNS9_4plusIvEEdEEDaPvRmT3_T4_T5_mT6_P12ihipStream_tbENKUlT_T0_E_clISt17integral_constantIbLb1EEST_IbLb0EEEEDaSP_SQ_EUlSP_E_NS1_11comp_targetILNS1_3genE10ELNS1_11target_archE1200ELNS1_3gpuE4ELNS1_3repE0EEENS1_30default_config_static_selectorELNS0_4arch9wavefront6targetE1EEEvT1_: ; @_ZN7rocprim17ROCPRIM_400000_NS6detail17trampoline_kernelINS0_14default_configENS1_20scan_config_selectorIdEEZZNS1_9scan_implILNS1_25lookback_scan_determinismE0ELb1ELb1ES3_N6thrust23THRUST_200600_302600_NS6detail15normal_iteratorINS9_10device_ptrIdEEEESE_dNS9_4plusIvEEdEEDaPvRmT3_T4_T5_mT6_P12ihipStream_tbENKUlT_T0_E_clISt17integral_constantIbLb1EEST_IbLb0EEEEDaSP_SQ_EUlSP_E_NS1_11comp_targetILNS1_3genE10ELNS1_11target_archE1200ELNS1_3gpuE4ELNS1_3repE0EEENS1_30default_config_static_selectorELNS0_4arch9wavefront6targetE1EEEvT1_
; %bb.0:
	.section	.rodata,"a",@progbits
	.p2align	6, 0x0
	.amdhsa_kernel _ZN7rocprim17ROCPRIM_400000_NS6detail17trampoline_kernelINS0_14default_configENS1_20scan_config_selectorIdEEZZNS1_9scan_implILNS1_25lookback_scan_determinismE0ELb1ELb1ES3_N6thrust23THRUST_200600_302600_NS6detail15normal_iteratorINS9_10device_ptrIdEEEESE_dNS9_4plusIvEEdEEDaPvRmT3_T4_T5_mT6_P12ihipStream_tbENKUlT_T0_E_clISt17integral_constantIbLb1EEST_IbLb0EEEEDaSP_SQ_EUlSP_E_NS1_11comp_targetILNS1_3genE10ELNS1_11target_archE1200ELNS1_3gpuE4ELNS1_3repE0EEENS1_30default_config_static_selectorELNS0_4arch9wavefront6targetE1EEEvT1_
		.amdhsa_group_segment_fixed_size 0
		.amdhsa_private_segment_fixed_size 0
		.amdhsa_kernarg_size 104
		.amdhsa_user_sgpr_count 6
		.amdhsa_user_sgpr_private_segment_buffer 1
		.amdhsa_user_sgpr_dispatch_ptr 0
		.amdhsa_user_sgpr_queue_ptr 0
		.amdhsa_user_sgpr_kernarg_segment_ptr 1
		.amdhsa_user_sgpr_dispatch_id 0
		.amdhsa_user_sgpr_flat_scratch_init 0
		.amdhsa_user_sgpr_kernarg_preload_length 0
		.amdhsa_user_sgpr_kernarg_preload_offset 0
		.amdhsa_user_sgpr_private_segment_size 0
		.amdhsa_uses_dynamic_stack 0
		.amdhsa_system_sgpr_private_segment_wavefront_offset 0
		.amdhsa_system_sgpr_workgroup_id_x 1
		.amdhsa_system_sgpr_workgroup_id_y 0
		.amdhsa_system_sgpr_workgroup_id_z 0
		.amdhsa_system_sgpr_workgroup_info 0
		.amdhsa_system_vgpr_workitem_id 0
		.amdhsa_next_free_vgpr 1
		.amdhsa_next_free_sgpr 0
		.amdhsa_accum_offset 4
		.amdhsa_reserve_vcc 0
		.amdhsa_reserve_flat_scratch 0
		.amdhsa_float_round_mode_32 0
		.amdhsa_float_round_mode_16_64 0
		.amdhsa_float_denorm_mode_32 3
		.amdhsa_float_denorm_mode_16_64 3
		.amdhsa_dx10_clamp 1
		.amdhsa_ieee_mode 1
		.amdhsa_fp16_overflow 0
		.amdhsa_tg_split 0
		.amdhsa_exception_fp_ieee_invalid_op 0
		.amdhsa_exception_fp_denorm_src 0
		.amdhsa_exception_fp_ieee_div_zero 0
		.amdhsa_exception_fp_ieee_overflow 0
		.amdhsa_exception_fp_ieee_underflow 0
		.amdhsa_exception_fp_ieee_inexact 0
		.amdhsa_exception_int_div_zero 0
	.end_amdhsa_kernel
	.section	.text._ZN7rocprim17ROCPRIM_400000_NS6detail17trampoline_kernelINS0_14default_configENS1_20scan_config_selectorIdEEZZNS1_9scan_implILNS1_25lookback_scan_determinismE0ELb1ELb1ES3_N6thrust23THRUST_200600_302600_NS6detail15normal_iteratorINS9_10device_ptrIdEEEESE_dNS9_4plusIvEEdEEDaPvRmT3_T4_T5_mT6_P12ihipStream_tbENKUlT_T0_E_clISt17integral_constantIbLb1EEST_IbLb0EEEEDaSP_SQ_EUlSP_E_NS1_11comp_targetILNS1_3genE10ELNS1_11target_archE1200ELNS1_3gpuE4ELNS1_3repE0EEENS1_30default_config_static_selectorELNS0_4arch9wavefront6targetE1EEEvT1_,"axG",@progbits,_ZN7rocprim17ROCPRIM_400000_NS6detail17trampoline_kernelINS0_14default_configENS1_20scan_config_selectorIdEEZZNS1_9scan_implILNS1_25lookback_scan_determinismE0ELb1ELb1ES3_N6thrust23THRUST_200600_302600_NS6detail15normal_iteratorINS9_10device_ptrIdEEEESE_dNS9_4plusIvEEdEEDaPvRmT3_T4_T5_mT6_P12ihipStream_tbENKUlT_T0_E_clISt17integral_constantIbLb1EEST_IbLb0EEEEDaSP_SQ_EUlSP_E_NS1_11comp_targetILNS1_3genE10ELNS1_11target_archE1200ELNS1_3gpuE4ELNS1_3repE0EEENS1_30default_config_static_selectorELNS0_4arch9wavefront6targetE1EEEvT1_,comdat
.Lfunc_end4256:
	.size	_ZN7rocprim17ROCPRIM_400000_NS6detail17trampoline_kernelINS0_14default_configENS1_20scan_config_selectorIdEEZZNS1_9scan_implILNS1_25lookback_scan_determinismE0ELb1ELb1ES3_N6thrust23THRUST_200600_302600_NS6detail15normal_iteratorINS9_10device_ptrIdEEEESE_dNS9_4plusIvEEdEEDaPvRmT3_T4_T5_mT6_P12ihipStream_tbENKUlT_T0_E_clISt17integral_constantIbLb1EEST_IbLb0EEEEDaSP_SQ_EUlSP_E_NS1_11comp_targetILNS1_3genE10ELNS1_11target_archE1200ELNS1_3gpuE4ELNS1_3repE0EEENS1_30default_config_static_selectorELNS0_4arch9wavefront6targetE1EEEvT1_, .Lfunc_end4256-_ZN7rocprim17ROCPRIM_400000_NS6detail17trampoline_kernelINS0_14default_configENS1_20scan_config_selectorIdEEZZNS1_9scan_implILNS1_25lookback_scan_determinismE0ELb1ELb1ES3_N6thrust23THRUST_200600_302600_NS6detail15normal_iteratorINS9_10device_ptrIdEEEESE_dNS9_4plusIvEEdEEDaPvRmT3_T4_T5_mT6_P12ihipStream_tbENKUlT_T0_E_clISt17integral_constantIbLb1EEST_IbLb0EEEEDaSP_SQ_EUlSP_E_NS1_11comp_targetILNS1_3genE10ELNS1_11target_archE1200ELNS1_3gpuE4ELNS1_3repE0EEENS1_30default_config_static_selectorELNS0_4arch9wavefront6targetE1EEEvT1_
                                        ; -- End function
	.section	.AMDGPU.csdata,"",@progbits
; Kernel info:
; codeLenInByte = 0
; NumSgprs: 4
; NumVgprs: 0
; NumAgprs: 0
; TotalNumVgprs: 0
; ScratchSize: 0
; MemoryBound: 0
; FloatMode: 240
; IeeeMode: 1
; LDSByteSize: 0 bytes/workgroup (compile time only)
; SGPRBlocks: 0
; VGPRBlocks: 0
; NumSGPRsForWavesPerEU: 4
; NumVGPRsForWavesPerEU: 1
; AccumOffset: 4
; Occupancy: 8
; WaveLimiterHint : 0
; COMPUTE_PGM_RSRC2:SCRATCH_EN: 0
; COMPUTE_PGM_RSRC2:USER_SGPR: 6
; COMPUTE_PGM_RSRC2:TRAP_HANDLER: 0
; COMPUTE_PGM_RSRC2:TGID_X_EN: 1
; COMPUTE_PGM_RSRC2:TGID_Y_EN: 0
; COMPUTE_PGM_RSRC2:TGID_Z_EN: 0
; COMPUTE_PGM_RSRC2:TIDIG_COMP_CNT: 0
; COMPUTE_PGM_RSRC3_GFX90A:ACCUM_OFFSET: 0
; COMPUTE_PGM_RSRC3_GFX90A:TG_SPLIT: 0
	.section	.text._ZN7rocprim17ROCPRIM_400000_NS6detail17trampoline_kernelINS0_14default_configENS1_20scan_config_selectorIdEEZZNS1_9scan_implILNS1_25lookback_scan_determinismE0ELb1ELb1ES3_N6thrust23THRUST_200600_302600_NS6detail15normal_iteratorINS9_10device_ptrIdEEEESE_dNS9_4plusIvEEdEEDaPvRmT3_T4_T5_mT6_P12ihipStream_tbENKUlT_T0_E_clISt17integral_constantIbLb1EEST_IbLb0EEEEDaSP_SQ_EUlSP_E_NS1_11comp_targetILNS1_3genE9ELNS1_11target_archE1100ELNS1_3gpuE3ELNS1_3repE0EEENS1_30default_config_static_selectorELNS0_4arch9wavefront6targetE1EEEvT1_,"axG",@progbits,_ZN7rocprim17ROCPRIM_400000_NS6detail17trampoline_kernelINS0_14default_configENS1_20scan_config_selectorIdEEZZNS1_9scan_implILNS1_25lookback_scan_determinismE0ELb1ELb1ES3_N6thrust23THRUST_200600_302600_NS6detail15normal_iteratorINS9_10device_ptrIdEEEESE_dNS9_4plusIvEEdEEDaPvRmT3_T4_T5_mT6_P12ihipStream_tbENKUlT_T0_E_clISt17integral_constantIbLb1EEST_IbLb0EEEEDaSP_SQ_EUlSP_E_NS1_11comp_targetILNS1_3genE9ELNS1_11target_archE1100ELNS1_3gpuE3ELNS1_3repE0EEENS1_30default_config_static_selectorELNS0_4arch9wavefront6targetE1EEEvT1_,comdat
	.protected	_ZN7rocprim17ROCPRIM_400000_NS6detail17trampoline_kernelINS0_14default_configENS1_20scan_config_selectorIdEEZZNS1_9scan_implILNS1_25lookback_scan_determinismE0ELb1ELb1ES3_N6thrust23THRUST_200600_302600_NS6detail15normal_iteratorINS9_10device_ptrIdEEEESE_dNS9_4plusIvEEdEEDaPvRmT3_T4_T5_mT6_P12ihipStream_tbENKUlT_T0_E_clISt17integral_constantIbLb1EEST_IbLb0EEEEDaSP_SQ_EUlSP_E_NS1_11comp_targetILNS1_3genE9ELNS1_11target_archE1100ELNS1_3gpuE3ELNS1_3repE0EEENS1_30default_config_static_selectorELNS0_4arch9wavefront6targetE1EEEvT1_ ; -- Begin function _ZN7rocprim17ROCPRIM_400000_NS6detail17trampoline_kernelINS0_14default_configENS1_20scan_config_selectorIdEEZZNS1_9scan_implILNS1_25lookback_scan_determinismE0ELb1ELb1ES3_N6thrust23THRUST_200600_302600_NS6detail15normal_iteratorINS9_10device_ptrIdEEEESE_dNS9_4plusIvEEdEEDaPvRmT3_T4_T5_mT6_P12ihipStream_tbENKUlT_T0_E_clISt17integral_constantIbLb1EEST_IbLb0EEEEDaSP_SQ_EUlSP_E_NS1_11comp_targetILNS1_3genE9ELNS1_11target_archE1100ELNS1_3gpuE3ELNS1_3repE0EEENS1_30default_config_static_selectorELNS0_4arch9wavefront6targetE1EEEvT1_
	.globl	_ZN7rocprim17ROCPRIM_400000_NS6detail17trampoline_kernelINS0_14default_configENS1_20scan_config_selectorIdEEZZNS1_9scan_implILNS1_25lookback_scan_determinismE0ELb1ELb1ES3_N6thrust23THRUST_200600_302600_NS6detail15normal_iteratorINS9_10device_ptrIdEEEESE_dNS9_4plusIvEEdEEDaPvRmT3_T4_T5_mT6_P12ihipStream_tbENKUlT_T0_E_clISt17integral_constantIbLb1EEST_IbLb0EEEEDaSP_SQ_EUlSP_E_NS1_11comp_targetILNS1_3genE9ELNS1_11target_archE1100ELNS1_3gpuE3ELNS1_3repE0EEENS1_30default_config_static_selectorELNS0_4arch9wavefront6targetE1EEEvT1_
	.p2align	8
	.type	_ZN7rocprim17ROCPRIM_400000_NS6detail17trampoline_kernelINS0_14default_configENS1_20scan_config_selectorIdEEZZNS1_9scan_implILNS1_25lookback_scan_determinismE0ELb1ELb1ES3_N6thrust23THRUST_200600_302600_NS6detail15normal_iteratorINS9_10device_ptrIdEEEESE_dNS9_4plusIvEEdEEDaPvRmT3_T4_T5_mT6_P12ihipStream_tbENKUlT_T0_E_clISt17integral_constantIbLb1EEST_IbLb0EEEEDaSP_SQ_EUlSP_E_NS1_11comp_targetILNS1_3genE9ELNS1_11target_archE1100ELNS1_3gpuE3ELNS1_3repE0EEENS1_30default_config_static_selectorELNS0_4arch9wavefront6targetE1EEEvT1_,@function
_ZN7rocprim17ROCPRIM_400000_NS6detail17trampoline_kernelINS0_14default_configENS1_20scan_config_selectorIdEEZZNS1_9scan_implILNS1_25lookback_scan_determinismE0ELb1ELb1ES3_N6thrust23THRUST_200600_302600_NS6detail15normal_iteratorINS9_10device_ptrIdEEEESE_dNS9_4plusIvEEdEEDaPvRmT3_T4_T5_mT6_P12ihipStream_tbENKUlT_T0_E_clISt17integral_constantIbLb1EEST_IbLb0EEEEDaSP_SQ_EUlSP_E_NS1_11comp_targetILNS1_3genE9ELNS1_11target_archE1100ELNS1_3gpuE3ELNS1_3repE0EEENS1_30default_config_static_selectorELNS0_4arch9wavefront6targetE1EEEvT1_: ; @_ZN7rocprim17ROCPRIM_400000_NS6detail17trampoline_kernelINS0_14default_configENS1_20scan_config_selectorIdEEZZNS1_9scan_implILNS1_25lookback_scan_determinismE0ELb1ELb1ES3_N6thrust23THRUST_200600_302600_NS6detail15normal_iteratorINS9_10device_ptrIdEEEESE_dNS9_4plusIvEEdEEDaPvRmT3_T4_T5_mT6_P12ihipStream_tbENKUlT_T0_E_clISt17integral_constantIbLb1EEST_IbLb0EEEEDaSP_SQ_EUlSP_E_NS1_11comp_targetILNS1_3genE9ELNS1_11target_archE1100ELNS1_3gpuE3ELNS1_3repE0EEENS1_30default_config_static_selectorELNS0_4arch9wavefront6targetE1EEEvT1_
; %bb.0:
	.section	.rodata,"a",@progbits
	.p2align	6, 0x0
	.amdhsa_kernel _ZN7rocprim17ROCPRIM_400000_NS6detail17trampoline_kernelINS0_14default_configENS1_20scan_config_selectorIdEEZZNS1_9scan_implILNS1_25lookback_scan_determinismE0ELb1ELb1ES3_N6thrust23THRUST_200600_302600_NS6detail15normal_iteratorINS9_10device_ptrIdEEEESE_dNS9_4plusIvEEdEEDaPvRmT3_T4_T5_mT6_P12ihipStream_tbENKUlT_T0_E_clISt17integral_constantIbLb1EEST_IbLb0EEEEDaSP_SQ_EUlSP_E_NS1_11comp_targetILNS1_3genE9ELNS1_11target_archE1100ELNS1_3gpuE3ELNS1_3repE0EEENS1_30default_config_static_selectorELNS0_4arch9wavefront6targetE1EEEvT1_
		.amdhsa_group_segment_fixed_size 0
		.amdhsa_private_segment_fixed_size 0
		.amdhsa_kernarg_size 104
		.amdhsa_user_sgpr_count 6
		.amdhsa_user_sgpr_private_segment_buffer 1
		.amdhsa_user_sgpr_dispatch_ptr 0
		.amdhsa_user_sgpr_queue_ptr 0
		.amdhsa_user_sgpr_kernarg_segment_ptr 1
		.amdhsa_user_sgpr_dispatch_id 0
		.amdhsa_user_sgpr_flat_scratch_init 0
		.amdhsa_user_sgpr_kernarg_preload_length 0
		.amdhsa_user_sgpr_kernarg_preload_offset 0
		.amdhsa_user_sgpr_private_segment_size 0
		.amdhsa_uses_dynamic_stack 0
		.amdhsa_system_sgpr_private_segment_wavefront_offset 0
		.amdhsa_system_sgpr_workgroup_id_x 1
		.amdhsa_system_sgpr_workgroup_id_y 0
		.amdhsa_system_sgpr_workgroup_id_z 0
		.amdhsa_system_sgpr_workgroup_info 0
		.amdhsa_system_vgpr_workitem_id 0
		.amdhsa_next_free_vgpr 1
		.amdhsa_next_free_sgpr 0
		.amdhsa_accum_offset 4
		.amdhsa_reserve_vcc 0
		.amdhsa_reserve_flat_scratch 0
		.amdhsa_float_round_mode_32 0
		.amdhsa_float_round_mode_16_64 0
		.amdhsa_float_denorm_mode_32 3
		.amdhsa_float_denorm_mode_16_64 3
		.amdhsa_dx10_clamp 1
		.amdhsa_ieee_mode 1
		.amdhsa_fp16_overflow 0
		.amdhsa_tg_split 0
		.amdhsa_exception_fp_ieee_invalid_op 0
		.amdhsa_exception_fp_denorm_src 0
		.amdhsa_exception_fp_ieee_div_zero 0
		.amdhsa_exception_fp_ieee_overflow 0
		.amdhsa_exception_fp_ieee_underflow 0
		.amdhsa_exception_fp_ieee_inexact 0
		.amdhsa_exception_int_div_zero 0
	.end_amdhsa_kernel
	.section	.text._ZN7rocprim17ROCPRIM_400000_NS6detail17trampoline_kernelINS0_14default_configENS1_20scan_config_selectorIdEEZZNS1_9scan_implILNS1_25lookback_scan_determinismE0ELb1ELb1ES3_N6thrust23THRUST_200600_302600_NS6detail15normal_iteratorINS9_10device_ptrIdEEEESE_dNS9_4plusIvEEdEEDaPvRmT3_T4_T5_mT6_P12ihipStream_tbENKUlT_T0_E_clISt17integral_constantIbLb1EEST_IbLb0EEEEDaSP_SQ_EUlSP_E_NS1_11comp_targetILNS1_3genE9ELNS1_11target_archE1100ELNS1_3gpuE3ELNS1_3repE0EEENS1_30default_config_static_selectorELNS0_4arch9wavefront6targetE1EEEvT1_,"axG",@progbits,_ZN7rocprim17ROCPRIM_400000_NS6detail17trampoline_kernelINS0_14default_configENS1_20scan_config_selectorIdEEZZNS1_9scan_implILNS1_25lookback_scan_determinismE0ELb1ELb1ES3_N6thrust23THRUST_200600_302600_NS6detail15normal_iteratorINS9_10device_ptrIdEEEESE_dNS9_4plusIvEEdEEDaPvRmT3_T4_T5_mT6_P12ihipStream_tbENKUlT_T0_E_clISt17integral_constantIbLb1EEST_IbLb0EEEEDaSP_SQ_EUlSP_E_NS1_11comp_targetILNS1_3genE9ELNS1_11target_archE1100ELNS1_3gpuE3ELNS1_3repE0EEENS1_30default_config_static_selectorELNS0_4arch9wavefront6targetE1EEEvT1_,comdat
.Lfunc_end4257:
	.size	_ZN7rocprim17ROCPRIM_400000_NS6detail17trampoline_kernelINS0_14default_configENS1_20scan_config_selectorIdEEZZNS1_9scan_implILNS1_25lookback_scan_determinismE0ELb1ELb1ES3_N6thrust23THRUST_200600_302600_NS6detail15normal_iteratorINS9_10device_ptrIdEEEESE_dNS9_4plusIvEEdEEDaPvRmT3_T4_T5_mT6_P12ihipStream_tbENKUlT_T0_E_clISt17integral_constantIbLb1EEST_IbLb0EEEEDaSP_SQ_EUlSP_E_NS1_11comp_targetILNS1_3genE9ELNS1_11target_archE1100ELNS1_3gpuE3ELNS1_3repE0EEENS1_30default_config_static_selectorELNS0_4arch9wavefront6targetE1EEEvT1_, .Lfunc_end4257-_ZN7rocprim17ROCPRIM_400000_NS6detail17trampoline_kernelINS0_14default_configENS1_20scan_config_selectorIdEEZZNS1_9scan_implILNS1_25lookback_scan_determinismE0ELb1ELb1ES3_N6thrust23THRUST_200600_302600_NS6detail15normal_iteratorINS9_10device_ptrIdEEEESE_dNS9_4plusIvEEdEEDaPvRmT3_T4_T5_mT6_P12ihipStream_tbENKUlT_T0_E_clISt17integral_constantIbLb1EEST_IbLb0EEEEDaSP_SQ_EUlSP_E_NS1_11comp_targetILNS1_3genE9ELNS1_11target_archE1100ELNS1_3gpuE3ELNS1_3repE0EEENS1_30default_config_static_selectorELNS0_4arch9wavefront6targetE1EEEvT1_
                                        ; -- End function
	.section	.AMDGPU.csdata,"",@progbits
; Kernel info:
; codeLenInByte = 0
; NumSgprs: 4
; NumVgprs: 0
; NumAgprs: 0
; TotalNumVgprs: 0
; ScratchSize: 0
; MemoryBound: 0
; FloatMode: 240
; IeeeMode: 1
; LDSByteSize: 0 bytes/workgroup (compile time only)
; SGPRBlocks: 0
; VGPRBlocks: 0
; NumSGPRsForWavesPerEU: 4
; NumVGPRsForWavesPerEU: 1
; AccumOffset: 4
; Occupancy: 8
; WaveLimiterHint : 0
; COMPUTE_PGM_RSRC2:SCRATCH_EN: 0
; COMPUTE_PGM_RSRC2:USER_SGPR: 6
; COMPUTE_PGM_RSRC2:TRAP_HANDLER: 0
; COMPUTE_PGM_RSRC2:TGID_X_EN: 1
; COMPUTE_PGM_RSRC2:TGID_Y_EN: 0
; COMPUTE_PGM_RSRC2:TGID_Z_EN: 0
; COMPUTE_PGM_RSRC2:TIDIG_COMP_CNT: 0
; COMPUTE_PGM_RSRC3_GFX90A:ACCUM_OFFSET: 0
; COMPUTE_PGM_RSRC3_GFX90A:TG_SPLIT: 0
	.section	.text._ZN7rocprim17ROCPRIM_400000_NS6detail17trampoline_kernelINS0_14default_configENS1_20scan_config_selectorIdEEZZNS1_9scan_implILNS1_25lookback_scan_determinismE0ELb1ELb1ES3_N6thrust23THRUST_200600_302600_NS6detail15normal_iteratorINS9_10device_ptrIdEEEESE_dNS9_4plusIvEEdEEDaPvRmT3_T4_T5_mT6_P12ihipStream_tbENKUlT_T0_E_clISt17integral_constantIbLb1EEST_IbLb0EEEEDaSP_SQ_EUlSP_E_NS1_11comp_targetILNS1_3genE8ELNS1_11target_archE1030ELNS1_3gpuE2ELNS1_3repE0EEENS1_30default_config_static_selectorELNS0_4arch9wavefront6targetE1EEEvT1_,"axG",@progbits,_ZN7rocprim17ROCPRIM_400000_NS6detail17trampoline_kernelINS0_14default_configENS1_20scan_config_selectorIdEEZZNS1_9scan_implILNS1_25lookback_scan_determinismE0ELb1ELb1ES3_N6thrust23THRUST_200600_302600_NS6detail15normal_iteratorINS9_10device_ptrIdEEEESE_dNS9_4plusIvEEdEEDaPvRmT3_T4_T5_mT6_P12ihipStream_tbENKUlT_T0_E_clISt17integral_constantIbLb1EEST_IbLb0EEEEDaSP_SQ_EUlSP_E_NS1_11comp_targetILNS1_3genE8ELNS1_11target_archE1030ELNS1_3gpuE2ELNS1_3repE0EEENS1_30default_config_static_selectorELNS0_4arch9wavefront6targetE1EEEvT1_,comdat
	.protected	_ZN7rocprim17ROCPRIM_400000_NS6detail17trampoline_kernelINS0_14default_configENS1_20scan_config_selectorIdEEZZNS1_9scan_implILNS1_25lookback_scan_determinismE0ELb1ELb1ES3_N6thrust23THRUST_200600_302600_NS6detail15normal_iteratorINS9_10device_ptrIdEEEESE_dNS9_4plusIvEEdEEDaPvRmT3_T4_T5_mT6_P12ihipStream_tbENKUlT_T0_E_clISt17integral_constantIbLb1EEST_IbLb0EEEEDaSP_SQ_EUlSP_E_NS1_11comp_targetILNS1_3genE8ELNS1_11target_archE1030ELNS1_3gpuE2ELNS1_3repE0EEENS1_30default_config_static_selectorELNS0_4arch9wavefront6targetE1EEEvT1_ ; -- Begin function _ZN7rocprim17ROCPRIM_400000_NS6detail17trampoline_kernelINS0_14default_configENS1_20scan_config_selectorIdEEZZNS1_9scan_implILNS1_25lookback_scan_determinismE0ELb1ELb1ES3_N6thrust23THRUST_200600_302600_NS6detail15normal_iteratorINS9_10device_ptrIdEEEESE_dNS9_4plusIvEEdEEDaPvRmT3_T4_T5_mT6_P12ihipStream_tbENKUlT_T0_E_clISt17integral_constantIbLb1EEST_IbLb0EEEEDaSP_SQ_EUlSP_E_NS1_11comp_targetILNS1_3genE8ELNS1_11target_archE1030ELNS1_3gpuE2ELNS1_3repE0EEENS1_30default_config_static_selectorELNS0_4arch9wavefront6targetE1EEEvT1_
	.globl	_ZN7rocprim17ROCPRIM_400000_NS6detail17trampoline_kernelINS0_14default_configENS1_20scan_config_selectorIdEEZZNS1_9scan_implILNS1_25lookback_scan_determinismE0ELb1ELb1ES3_N6thrust23THRUST_200600_302600_NS6detail15normal_iteratorINS9_10device_ptrIdEEEESE_dNS9_4plusIvEEdEEDaPvRmT3_T4_T5_mT6_P12ihipStream_tbENKUlT_T0_E_clISt17integral_constantIbLb1EEST_IbLb0EEEEDaSP_SQ_EUlSP_E_NS1_11comp_targetILNS1_3genE8ELNS1_11target_archE1030ELNS1_3gpuE2ELNS1_3repE0EEENS1_30default_config_static_selectorELNS0_4arch9wavefront6targetE1EEEvT1_
	.p2align	8
	.type	_ZN7rocprim17ROCPRIM_400000_NS6detail17trampoline_kernelINS0_14default_configENS1_20scan_config_selectorIdEEZZNS1_9scan_implILNS1_25lookback_scan_determinismE0ELb1ELb1ES3_N6thrust23THRUST_200600_302600_NS6detail15normal_iteratorINS9_10device_ptrIdEEEESE_dNS9_4plusIvEEdEEDaPvRmT3_T4_T5_mT6_P12ihipStream_tbENKUlT_T0_E_clISt17integral_constantIbLb1EEST_IbLb0EEEEDaSP_SQ_EUlSP_E_NS1_11comp_targetILNS1_3genE8ELNS1_11target_archE1030ELNS1_3gpuE2ELNS1_3repE0EEENS1_30default_config_static_selectorELNS0_4arch9wavefront6targetE1EEEvT1_,@function
_ZN7rocprim17ROCPRIM_400000_NS6detail17trampoline_kernelINS0_14default_configENS1_20scan_config_selectorIdEEZZNS1_9scan_implILNS1_25lookback_scan_determinismE0ELb1ELb1ES3_N6thrust23THRUST_200600_302600_NS6detail15normal_iteratorINS9_10device_ptrIdEEEESE_dNS9_4plusIvEEdEEDaPvRmT3_T4_T5_mT6_P12ihipStream_tbENKUlT_T0_E_clISt17integral_constantIbLb1EEST_IbLb0EEEEDaSP_SQ_EUlSP_E_NS1_11comp_targetILNS1_3genE8ELNS1_11target_archE1030ELNS1_3gpuE2ELNS1_3repE0EEENS1_30default_config_static_selectorELNS0_4arch9wavefront6targetE1EEEvT1_: ; @_ZN7rocprim17ROCPRIM_400000_NS6detail17trampoline_kernelINS0_14default_configENS1_20scan_config_selectorIdEEZZNS1_9scan_implILNS1_25lookback_scan_determinismE0ELb1ELb1ES3_N6thrust23THRUST_200600_302600_NS6detail15normal_iteratorINS9_10device_ptrIdEEEESE_dNS9_4plusIvEEdEEDaPvRmT3_T4_T5_mT6_P12ihipStream_tbENKUlT_T0_E_clISt17integral_constantIbLb1EEST_IbLb0EEEEDaSP_SQ_EUlSP_E_NS1_11comp_targetILNS1_3genE8ELNS1_11target_archE1030ELNS1_3gpuE2ELNS1_3repE0EEENS1_30default_config_static_selectorELNS0_4arch9wavefront6targetE1EEEvT1_
; %bb.0:
	.section	.rodata,"a",@progbits
	.p2align	6, 0x0
	.amdhsa_kernel _ZN7rocprim17ROCPRIM_400000_NS6detail17trampoline_kernelINS0_14default_configENS1_20scan_config_selectorIdEEZZNS1_9scan_implILNS1_25lookback_scan_determinismE0ELb1ELb1ES3_N6thrust23THRUST_200600_302600_NS6detail15normal_iteratorINS9_10device_ptrIdEEEESE_dNS9_4plusIvEEdEEDaPvRmT3_T4_T5_mT6_P12ihipStream_tbENKUlT_T0_E_clISt17integral_constantIbLb1EEST_IbLb0EEEEDaSP_SQ_EUlSP_E_NS1_11comp_targetILNS1_3genE8ELNS1_11target_archE1030ELNS1_3gpuE2ELNS1_3repE0EEENS1_30default_config_static_selectorELNS0_4arch9wavefront6targetE1EEEvT1_
		.amdhsa_group_segment_fixed_size 0
		.amdhsa_private_segment_fixed_size 0
		.amdhsa_kernarg_size 104
		.amdhsa_user_sgpr_count 6
		.amdhsa_user_sgpr_private_segment_buffer 1
		.amdhsa_user_sgpr_dispatch_ptr 0
		.amdhsa_user_sgpr_queue_ptr 0
		.amdhsa_user_sgpr_kernarg_segment_ptr 1
		.amdhsa_user_sgpr_dispatch_id 0
		.amdhsa_user_sgpr_flat_scratch_init 0
		.amdhsa_user_sgpr_kernarg_preload_length 0
		.amdhsa_user_sgpr_kernarg_preload_offset 0
		.amdhsa_user_sgpr_private_segment_size 0
		.amdhsa_uses_dynamic_stack 0
		.amdhsa_system_sgpr_private_segment_wavefront_offset 0
		.amdhsa_system_sgpr_workgroup_id_x 1
		.amdhsa_system_sgpr_workgroup_id_y 0
		.amdhsa_system_sgpr_workgroup_id_z 0
		.amdhsa_system_sgpr_workgroup_info 0
		.amdhsa_system_vgpr_workitem_id 0
		.amdhsa_next_free_vgpr 1
		.amdhsa_next_free_sgpr 0
		.amdhsa_accum_offset 4
		.amdhsa_reserve_vcc 0
		.amdhsa_reserve_flat_scratch 0
		.amdhsa_float_round_mode_32 0
		.amdhsa_float_round_mode_16_64 0
		.amdhsa_float_denorm_mode_32 3
		.amdhsa_float_denorm_mode_16_64 3
		.amdhsa_dx10_clamp 1
		.amdhsa_ieee_mode 1
		.amdhsa_fp16_overflow 0
		.amdhsa_tg_split 0
		.amdhsa_exception_fp_ieee_invalid_op 0
		.amdhsa_exception_fp_denorm_src 0
		.amdhsa_exception_fp_ieee_div_zero 0
		.amdhsa_exception_fp_ieee_overflow 0
		.amdhsa_exception_fp_ieee_underflow 0
		.amdhsa_exception_fp_ieee_inexact 0
		.amdhsa_exception_int_div_zero 0
	.end_amdhsa_kernel
	.section	.text._ZN7rocprim17ROCPRIM_400000_NS6detail17trampoline_kernelINS0_14default_configENS1_20scan_config_selectorIdEEZZNS1_9scan_implILNS1_25lookback_scan_determinismE0ELb1ELb1ES3_N6thrust23THRUST_200600_302600_NS6detail15normal_iteratorINS9_10device_ptrIdEEEESE_dNS9_4plusIvEEdEEDaPvRmT3_T4_T5_mT6_P12ihipStream_tbENKUlT_T0_E_clISt17integral_constantIbLb1EEST_IbLb0EEEEDaSP_SQ_EUlSP_E_NS1_11comp_targetILNS1_3genE8ELNS1_11target_archE1030ELNS1_3gpuE2ELNS1_3repE0EEENS1_30default_config_static_selectorELNS0_4arch9wavefront6targetE1EEEvT1_,"axG",@progbits,_ZN7rocprim17ROCPRIM_400000_NS6detail17trampoline_kernelINS0_14default_configENS1_20scan_config_selectorIdEEZZNS1_9scan_implILNS1_25lookback_scan_determinismE0ELb1ELb1ES3_N6thrust23THRUST_200600_302600_NS6detail15normal_iteratorINS9_10device_ptrIdEEEESE_dNS9_4plusIvEEdEEDaPvRmT3_T4_T5_mT6_P12ihipStream_tbENKUlT_T0_E_clISt17integral_constantIbLb1EEST_IbLb0EEEEDaSP_SQ_EUlSP_E_NS1_11comp_targetILNS1_3genE8ELNS1_11target_archE1030ELNS1_3gpuE2ELNS1_3repE0EEENS1_30default_config_static_selectorELNS0_4arch9wavefront6targetE1EEEvT1_,comdat
.Lfunc_end4258:
	.size	_ZN7rocprim17ROCPRIM_400000_NS6detail17trampoline_kernelINS0_14default_configENS1_20scan_config_selectorIdEEZZNS1_9scan_implILNS1_25lookback_scan_determinismE0ELb1ELb1ES3_N6thrust23THRUST_200600_302600_NS6detail15normal_iteratorINS9_10device_ptrIdEEEESE_dNS9_4plusIvEEdEEDaPvRmT3_T4_T5_mT6_P12ihipStream_tbENKUlT_T0_E_clISt17integral_constantIbLb1EEST_IbLb0EEEEDaSP_SQ_EUlSP_E_NS1_11comp_targetILNS1_3genE8ELNS1_11target_archE1030ELNS1_3gpuE2ELNS1_3repE0EEENS1_30default_config_static_selectorELNS0_4arch9wavefront6targetE1EEEvT1_, .Lfunc_end4258-_ZN7rocprim17ROCPRIM_400000_NS6detail17trampoline_kernelINS0_14default_configENS1_20scan_config_selectorIdEEZZNS1_9scan_implILNS1_25lookback_scan_determinismE0ELb1ELb1ES3_N6thrust23THRUST_200600_302600_NS6detail15normal_iteratorINS9_10device_ptrIdEEEESE_dNS9_4plusIvEEdEEDaPvRmT3_T4_T5_mT6_P12ihipStream_tbENKUlT_T0_E_clISt17integral_constantIbLb1EEST_IbLb0EEEEDaSP_SQ_EUlSP_E_NS1_11comp_targetILNS1_3genE8ELNS1_11target_archE1030ELNS1_3gpuE2ELNS1_3repE0EEENS1_30default_config_static_selectorELNS0_4arch9wavefront6targetE1EEEvT1_
                                        ; -- End function
	.section	.AMDGPU.csdata,"",@progbits
; Kernel info:
; codeLenInByte = 0
; NumSgprs: 4
; NumVgprs: 0
; NumAgprs: 0
; TotalNumVgprs: 0
; ScratchSize: 0
; MemoryBound: 0
; FloatMode: 240
; IeeeMode: 1
; LDSByteSize: 0 bytes/workgroup (compile time only)
; SGPRBlocks: 0
; VGPRBlocks: 0
; NumSGPRsForWavesPerEU: 4
; NumVGPRsForWavesPerEU: 1
; AccumOffset: 4
; Occupancy: 8
; WaveLimiterHint : 0
; COMPUTE_PGM_RSRC2:SCRATCH_EN: 0
; COMPUTE_PGM_RSRC2:USER_SGPR: 6
; COMPUTE_PGM_RSRC2:TRAP_HANDLER: 0
; COMPUTE_PGM_RSRC2:TGID_X_EN: 1
; COMPUTE_PGM_RSRC2:TGID_Y_EN: 0
; COMPUTE_PGM_RSRC2:TGID_Z_EN: 0
; COMPUTE_PGM_RSRC2:TIDIG_COMP_CNT: 0
; COMPUTE_PGM_RSRC3_GFX90A:ACCUM_OFFSET: 0
; COMPUTE_PGM_RSRC3_GFX90A:TG_SPLIT: 0
	.section	.text._ZN7rocprim17ROCPRIM_400000_NS6detail17trampoline_kernelINS0_14default_configENS1_20scan_config_selectorIdEEZZNS1_9scan_implILNS1_25lookback_scan_determinismE0ELb1ELb1ES3_N6thrust23THRUST_200600_302600_NS6detail15normal_iteratorINS9_10device_ptrIdEEEESE_dNS9_4plusIvEEdEEDaPvRmT3_T4_T5_mT6_P12ihipStream_tbENKUlT_T0_E_clISt17integral_constantIbLb1EEST_IbLb0EEEEDaSP_SQ_EUlSP_E0_NS1_11comp_targetILNS1_3genE0ELNS1_11target_archE4294967295ELNS1_3gpuE0ELNS1_3repE0EEENS1_30default_config_static_selectorELNS0_4arch9wavefront6targetE1EEEvT1_,"axG",@progbits,_ZN7rocprim17ROCPRIM_400000_NS6detail17trampoline_kernelINS0_14default_configENS1_20scan_config_selectorIdEEZZNS1_9scan_implILNS1_25lookback_scan_determinismE0ELb1ELb1ES3_N6thrust23THRUST_200600_302600_NS6detail15normal_iteratorINS9_10device_ptrIdEEEESE_dNS9_4plusIvEEdEEDaPvRmT3_T4_T5_mT6_P12ihipStream_tbENKUlT_T0_E_clISt17integral_constantIbLb1EEST_IbLb0EEEEDaSP_SQ_EUlSP_E0_NS1_11comp_targetILNS1_3genE0ELNS1_11target_archE4294967295ELNS1_3gpuE0ELNS1_3repE0EEENS1_30default_config_static_selectorELNS0_4arch9wavefront6targetE1EEEvT1_,comdat
	.protected	_ZN7rocprim17ROCPRIM_400000_NS6detail17trampoline_kernelINS0_14default_configENS1_20scan_config_selectorIdEEZZNS1_9scan_implILNS1_25lookback_scan_determinismE0ELb1ELb1ES3_N6thrust23THRUST_200600_302600_NS6detail15normal_iteratorINS9_10device_ptrIdEEEESE_dNS9_4plusIvEEdEEDaPvRmT3_T4_T5_mT6_P12ihipStream_tbENKUlT_T0_E_clISt17integral_constantIbLb1EEST_IbLb0EEEEDaSP_SQ_EUlSP_E0_NS1_11comp_targetILNS1_3genE0ELNS1_11target_archE4294967295ELNS1_3gpuE0ELNS1_3repE0EEENS1_30default_config_static_selectorELNS0_4arch9wavefront6targetE1EEEvT1_ ; -- Begin function _ZN7rocprim17ROCPRIM_400000_NS6detail17trampoline_kernelINS0_14default_configENS1_20scan_config_selectorIdEEZZNS1_9scan_implILNS1_25lookback_scan_determinismE0ELb1ELb1ES3_N6thrust23THRUST_200600_302600_NS6detail15normal_iteratorINS9_10device_ptrIdEEEESE_dNS9_4plusIvEEdEEDaPvRmT3_T4_T5_mT6_P12ihipStream_tbENKUlT_T0_E_clISt17integral_constantIbLb1EEST_IbLb0EEEEDaSP_SQ_EUlSP_E0_NS1_11comp_targetILNS1_3genE0ELNS1_11target_archE4294967295ELNS1_3gpuE0ELNS1_3repE0EEENS1_30default_config_static_selectorELNS0_4arch9wavefront6targetE1EEEvT1_
	.globl	_ZN7rocprim17ROCPRIM_400000_NS6detail17trampoline_kernelINS0_14default_configENS1_20scan_config_selectorIdEEZZNS1_9scan_implILNS1_25lookback_scan_determinismE0ELb1ELb1ES3_N6thrust23THRUST_200600_302600_NS6detail15normal_iteratorINS9_10device_ptrIdEEEESE_dNS9_4plusIvEEdEEDaPvRmT3_T4_T5_mT6_P12ihipStream_tbENKUlT_T0_E_clISt17integral_constantIbLb1EEST_IbLb0EEEEDaSP_SQ_EUlSP_E0_NS1_11comp_targetILNS1_3genE0ELNS1_11target_archE4294967295ELNS1_3gpuE0ELNS1_3repE0EEENS1_30default_config_static_selectorELNS0_4arch9wavefront6targetE1EEEvT1_
	.p2align	8
	.type	_ZN7rocprim17ROCPRIM_400000_NS6detail17trampoline_kernelINS0_14default_configENS1_20scan_config_selectorIdEEZZNS1_9scan_implILNS1_25lookback_scan_determinismE0ELb1ELb1ES3_N6thrust23THRUST_200600_302600_NS6detail15normal_iteratorINS9_10device_ptrIdEEEESE_dNS9_4plusIvEEdEEDaPvRmT3_T4_T5_mT6_P12ihipStream_tbENKUlT_T0_E_clISt17integral_constantIbLb1EEST_IbLb0EEEEDaSP_SQ_EUlSP_E0_NS1_11comp_targetILNS1_3genE0ELNS1_11target_archE4294967295ELNS1_3gpuE0ELNS1_3repE0EEENS1_30default_config_static_selectorELNS0_4arch9wavefront6targetE1EEEvT1_,@function
_ZN7rocprim17ROCPRIM_400000_NS6detail17trampoline_kernelINS0_14default_configENS1_20scan_config_selectorIdEEZZNS1_9scan_implILNS1_25lookback_scan_determinismE0ELb1ELb1ES3_N6thrust23THRUST_200600_302600_NS6detail15normal_iteratorINS9_10device_ptrIdEEEESE_dNS9_4plusIvEEdEEDaPvRmT3_T4_T5_mT6_P12ihipStream_tbENKUlT_T0_E_clISt17integral_constantIbLb1EEST_IbLb0EEEEDaSP_SQ_EUlSP_E0_NS1_11comp_targetILNS1_3genE0ELNS1_11target_archE4294967295ELNS1_3gpuE0ELNS1_3repE0EEENS1_30default_config_static_selectorELNS0_4arch9wavefront6targetE1EEEvT1_: ; @_ZN7rocprim17ROCPRIM_400000_NS6detail17trampoline_kernelINS0_14default_configENS1_20scan_config_selectorIdEEZZNS1_9scan_implILNS1_25lookback_scan_determinismE0ELb1ELb1ES3_N6thrust23THRUST_200600_302600_NS6detail15normal_iteratorINS9_10device_ptrIdEEEESE_dNS9_4plusIvEEdEEDaPvRmT3_T4_T5_mT6_P12ihipStream_tbENKUlT_T0_E_clISt17integral_constantIbLb1EEST_IbLb0EEEEDaSP_SQ_EUlSP_E0_NS1_11comp_targetILNS1_3genE0ELNS1_11target_archE4294967295ELNS1_3gpuE0ELNS1_3repE0EEENS1_30default_config_static_selectorELNS0_4arch9wavefront6targetE1EEEvT1_
; %bb.0:
	.section	.rodata,"a",@progbits
	.p2align	6, 0x0
	.amdhsa_kernel _ZN7rocprim17ROCPRIM_400000_NS6detail17trampoline_kernelINS0_14default_configENS1_20scan_config_selectorIdEEZZNS1_9scan_implILNS1_25lookback_scan_determinismE0ELb1ELb1ES3_N6thrust23THRUST_200600_302600_NS6detail15normal_iteratorINS9_10device_ptrIdEEEESE_dNS9_4plusIvEEdEEDaPvRmT3_T4_T5_mT6_P12ihipStream_tbENKUlT_T0_E_clISt17integral_constantIbLb1EEST_IbLb0EEEEDaSP_SQ_EUlSP_E0_NS1_11comp_targetILNS1_3genE0ELNS1_11target_archE4294967295ELNS1_3gpuE0ELNS1_3repE0EEENS1_30default_config_static_selectorELNS0_4arch9wavefront6targetE1EEEvT1_
		.amdhsa_group_segment_fixed_size 0
		.amdhsa_private_segment_fixed_size 0
		.amdhsa_kernarg_size 40
		.amdhsa_user_sgpr_count 6
		.amdhsa_user_sgpr_private_segment_buffer 1
		.amdhsa_user_sgpr_dispatch_ptr 0
		.amdhsa_user_sgpr_queue_ptr 0
		.amdhsa_user_sgpr_kernarg_segment_ptr 1
		.amdhsa_user_sgpr_dispatch_id 0
		.amdhsa_user_sgpr_flat_scratch_init 0
		.amdhsa_user_sgpr_kernarg_preload_length 0
		.amdhsa_user_sgpr_kernarg_preload_offset 0
		.amdhsa_user_sgpr_private_segment_size 0
		.amdhsa_uses_dynamic_stack 0
		.amdhsa_system_sgpr_private_segment_wavefront_offset 0
		.amdhsa_system_sgpr_workgroup_id_x 1
		.amdhsa_system_sgpr_workgroup_id_y 0
		.amdhsa_system_sgpr_workgroup_id_z 0
		.amdhsa_system_sgpr_workgroup_info 0
		.amdhsa_system_vgpr_workitem_id 0
		.amdhsa_next_free_vgpr 1
		.amdhsa_next_free_sgpr 0
		.amdhsa_accum_offset 4
		.amdhsa_reserve_vcc 0
		.amdhsa_reserve_flat_scratch 0
		.amdhsa_float_round_mode_32 0
		.amdhsa_float_round_mode_16_64 0
		.amdhsa_float_denorm_mode_32 3
		.amdhsa_float_denorm_mode_16_64 3
		.amdhsa_dx10_clamp 1
		.amdhsa_ieee_mode 1
		.amdhsa_fp16_overflow 0
		.amdhsa_tg_split 0
		.amdhsa_exception_fp_ieee_invalid_op 0
		.amdhsa_exception_fp_denorm_src 0
		.amdhsa_exception_fp_ieee_div_zero 0
		.amdhsa_exception_fp_ieee_overflow 0
		.amdhsa_exception_fp_ieee_underflow 0
		.amdhsa_exception_fp_ieee_inexact 0
		.amdhsa_exception_int_div_zero 0
	.end_amdhsa_kernel
	.section	.text._ZN7rocprim17ROCPRIM_400000_NS6detail17trampoline_kernelINS0_14default_configENS1_20scan_config_selectorIdEEZZNS1_9scan_implILNS1_25lookback_scan_determinismE0ELb1ELb1ES3_N6thrust23THRUST_200600_302600_NS6detail15normal_iteratorINS9_10device_ptrIdEEEESE_dNS9_4plusIvEEdEEDaPvRmT3_T4_T5_mT6_P12ihipStream_tbENKUlT_T0_E_clISt17integral_constantIbLb1EEST_IbLb0EEEEDaSP_SQ_EUlSP_E0_NS1_11comp_targetILNS1_3genE0ELNS1_11target_archE4294967295ELNS1_3gpuE0ELNS1_3repE0EEENS1_30default_config_static_selectorELNS0_4arch9wavefront6targetE1EEEvT1_,"axG",@progbits,_ZN7rocprim17ROCPRIM_400000_NS6detail17trampoline_kernelINS0_14default_configENS1_20scan_config_selectorIdEEZZNS1_9scan_implILNS1_25lookback_scan_determinismE0ELb1ELb1ES3_N6thrust23THRUST_200600_302600_NS6detail15normal_iteratorINS9_10device_ptrIdEEEESE_dNS9_4plusIvEEdEEDaPvRmT3_T4_T5_mT6_P12ihipStream_tbENKUlT_T0_E_clISt17integral_constantIbLb1EEST_IbLb0EEEEDaSP_SQ_EUlSP_E0_NS1_11comp_targetILNS1_3genE0ELNS1_11target_archE4294967295ELNS1_3gpuE0ELNS1_3repE0EEENS1_30default_config_static_selectorELNS0_4arch9wavefront6targetE1EEEvT1_,comdat
.Lfunc_end4259:
	.size	_ZN7rocprim17ROCPRIM_400000_NS6detail17trampoline_kernelINS0_14default_configENS1_20scan_config_selectorIdEEZZNS1_9scan_implILNS1_25lookback_scan_determinismE0ELb1ELb1ES3_N6thrust23THRUST_200600_302600_NS6detail15normal_iteratorINS9_10device_ptrIdEEEESE_dNS9_4plusIvEEdEEDaPvRmT3_T4_T5_mT6_P12ihipStream_tbENKUlT_T0_E_clISt17integral_constantIbLb1EEST_IbLb0EEEEDaSP_SQ_EUlSP_E0_NS1_11comp_targetILNS1_3genE0ELNS1_11target_archE4294967295ELNS1_3gpuE0ELNS1_3repE0EEENS1_30default_config_static_selectorELNS0_4arch9wavefront6targetE1EEEvT1_, .Lfunc_end4259-_ZN7rocprim17ROCPRIM_400000_NS6detail17trampoline_kernelINS0_14default_configENS1_20scan_config_selectorIdEEZZNS1_9scan_implILNS1_25lookback_scan_determinismE0ELb1ELb1ES3_N6thrust23THRUST_200600_302600_NS6detail15normal_iteratorINS9_10device_ptrIdEEEESE_dNS9_4plusIvEEdEEDaPvRmT3_T4_T5_mT6_P12ihipStream_tbENKUlT_T0_E_clISt17integral_constantIbLb1EEST_IbLb0EEEEDaSP_SQ_EUlSP_E0_NS1_11comp_targetILNS1_3genE0ELNS1_11target_archE4294967295ELNS1_3gpuE0ELNS1_3repE0EEENS1_30default_config_static_selectorELNS0_4arch9wavefront6targetE1EEEvT1_
                                        ; -- End function
	.section	.AMDGPU.csdata,"",@progbits
; Kernel info:
; codeLenInByte = 0
; NumSgprs: 4
; NumVgprs: 0
; NumAgprs: 0
; TotalNumVgprs: 0
; ScratchSize: 0
; MemoryBound: 0
; FloatMode: 240
; IeeeMode: 1
; LDSByteSize: 0 bytes/workgroup (compile time only)
; SGPRBlocks: 0
; VGPRBlocks: 0
; NumSGPRsForWavesPerEU: 4
; NumVGPRsForWavesPerEU: 1
; AccumOffset: 4
; Occupancy: 8
; WaveLimiterHint : 0
; COMPUTE_PGM_RSRC2:SCRATCH_EN: 0
; COMPUTE_PGM_RSRC2:USER_SGPR: 6
; COMPUTE_PGM_RSRC2:TRAP_HANDLER: 0
; COMPUTE_PGM_RSRC2:TGID_X_EN: 1
; COMPUTE_PGM_RSRC2:TGID_Y_EN: 0
; COMPUTE_PGM_RSRC2:TGID_Z_EN: 0
; COMPUTE_PGM_RSRC2:TIDIG_COMP_CNT: 0
; COMPUTE_PGM_RSRC3_GFX90A:ACCUM_OFFSET: 0
; COMPUTE_PGM_RSRC3_GFX90A:TG_SPLIT: 0
	.section	.text._ZN7rocprim17ROCPRIM_400000_NS6detail17trampoline_kernelINS0_14default_configENS1_20scan_config_selectorIdEEZZNS1_9scan_implILNS1_25lookback_scan_determinismE0ELb1ELb1ES3_N6thrust23THRUST_200600_302600_NS6detail15normal_iteratorINS9_10device_ptrIdEEEESE_dNS9_4plusIvEEdEEDaPvRmT3_T4_T5_mT6_P12ihipStream_tbENKUlT_T0_E_clISt17integral_constantIbLb1EEST_IbLb0EEEEDaSP_SQ_EUlSP_E0_NS1_11comp_targetILNS1_3genE5ELNS1_11target_archE942ELNS1_3gpuE9ELNS1_3repE0EEENS1_30default_config_static_selectorELNS0_4arch9wavefront6targetE1EEEvT1_,"axG",@progbits,_ZN7rocprim17ROCPRIM_400000_NS6detail17trampoline_kernelINS0_14default_configENS1_20scan_config_selectorIdEEZZNS1_9scan_implILNS1_25lookback_scan_determinismE0ELb1ELb1ES3_N6thrust23THRUST_200600_302600_NS6detail15normal_iteratorINS9_10device_ptrIdEEEESE_dNS9_4plusIvEEdEEDaPvRmT3_T4_T5_mT6_P12ihipStream_tbENKUlT_T0_E_clISt17integral_constantIbLb1EEST_IbLb0EEEEDaSP_SQ_EUlSP_E0_NS1_11comp_targetILNS1_3genE5ELNS1_11target_archE942ELNS1_3gpuE9ELNS1_3repE0EEENS1_30default_config_static_selectorELNS0_4arch9wavefront6targetE1EEEvT1_,comdat
	.protected	_ZN7rocprim17ROCPRIM_400000_NS6detail17trampoline_kernelINS0_14default_configENS1_20scan_config_selectorIdEEZZNS1_9scan_implILNS1_25lookback_scan_determinismE0ELb1ELb1ES3_N6thrust23THRUST_200600_302600_NS6detail15normal_iteratorINS9_10device_ptrIdEEEESE_dNS9_4plusIvEEdEEDaPvRmT3_T4_T5_mT6_P12ihipStream_tbENKUlT_T0_E_clISt17integral_constantIbLb1EEST_IbLb0EEEEDaSP_SQ_EUlSP_E0_NS1_11comp_targetILNS1_3genE5ELNS1_11target_archE942ELNS1_3gpuE9ELNS1_3repE0EEENS1_30default_config_static_selectorELNS0_4arch9wavefront6targetE1EEEvT1_ ; -- Begin function _ZN7rocprim17ROCPRIM_400000_NS6detail17trampoline_kernelINS0_14default_configENS1_20scan_config_selectorIdEEZZNS1_9scan_implILNS1_25lookback_scan_determinismE0ELb1ELb1ES3_N6thrust23THRUST_200600_302600_NS6detail15normal_iteratorINS9_10device_ptrIdEEEESE_dNS9_4plusIvEEdEEDaPvRmT3_T4_T5_mT6_P12ihipStream_tbENKUlT_T0_E_clISt17integral_constantIbLb1EEST_IbLb0EEEEDaSP_SQ_EUlSP_E0_NS1_11comp_targetILNS1_3genE5ELNS1_11target_archE942ELNS1_3gpuE9ELNS1_3repE0EEENS1_30default_config_static_selectorELNS0_4arch9wavefront6targetE1EEEvT1_
	.globl	_ZN7rocprim17ROCPRIM_400000_NS6detail17trampoline_kernelINS0_14default_configENS1_20scan_config_selectorIdEEZZNS1_9scan_implILNS1_25lookback_scan_determinismE0ELb1ELb1ES3_N6thrust23THRUST_200600_302600_NS6detail15normal_iteratorINS9_10device_ptrIdEEEESE_dNS9_4plusIvEEdEEDaPvRmT3_T4_T5_mT6_P12ihipStream_tbENKUlT_T0_E_clISt17integral_constantIbLb1EEST_IbLb0EEEEDaSP_SQ_EUlSP_E0_NS1_11comp_targetILNS1_3genE5ELNS1_11target_archE942ELNS1_3gpuE9ELNS1_3repE0EEENS1_30default_config_static_selectorELNS0_4arch9wavefront6targetE1EEEvT1_
	.p2align	8
	.type	_ZN7rocprim17ROCPRIM_400000_NS6detail17trampoline_kernelINS0_14default_configENS1_20scan_config_selectorIdEEZZNS1_9scan_implILNS1_25lookback_scan_determinismE0ELb1ELb1ES3_N6thrust23THRUST_200600_302600_NS6detail15normal_iteratorINS9_10device_ptrIdEEEESE_dNS9_4plusIvEEdEEDaPvRmT3_T4_T5_mT6_P12ihipStream_tbENKUlT_T0_E_clISt17integral_constantIbLb1EEST_IbLb0EEEEDaSP_SQ_EUlSP_E0_NS1_11comp_targetILNS1_3genE5ELNS1_11target_archE942ELNS1_3gpuE9ELNS1_3repE0EEENS1_30default_config_static_selectorELNS0_4arch9wavefront6targetE1EEEvT1_,@function
_ZN7rocprim17ROCPRIM_400000_NS6detail17trampoline_kernelINS0_14default_configENS1_20scan_config_selectorIdEEZZNS1_9scan_implILNS1_25lookback_scan_determinismE0ELb1ELb1ES3_N6thrust23THRUST_200600_302600_NS6detail15normal_iteratorINS9_10device_ptrIdEEEESE_dNS9_4plusIvEEdEEDaPvRmT3_T4_T5_mT6_P12ihipStream_tbENKUlT_T0_E_clISt17integral_constantIbLb1EEST_IbLb0EEEEDaSP_SQ_EUlSP_E0_NS1_11comp_targetILNS1_3genE5ELNS1_11target_archE942ELNS1_3gpuE9ELNS1_3repE0EEENS1_30default_config_static_selectorELNS0_4arch9wavefront6targetE1EEEvT1_: ; @_ZN7rocprim17ROCPRIM_400000_NS6detail17trampoline_kernelINS0_14default_configENS1_20scan_config_selectorIdEEZZNS1_9scan_implILNS1_25lookback_scan_determinismE0ELb1ELb1ES3_N6thrust23THRUST_200600_302600_NS6detail15normal_iteratorINS9_10device_ptrIdEEEESE_dNS9_4plusIvEEdEEDaPvRmT3_T4_T5_mT6_P12ihipStream_tbENKUlT_T0_E_clISt17integral_constantIbLb1EEST_IbLb0EEEEDaSP_SQ_EUlSP_E0_NS1_11comp_targetILNS1_3genE5ELNS1_11target_archE942ELNS1_3gpuE9ELNS1_3repE0EEENS1_30default_config_static_selectorELNS0_4arch9wavefront6targetE1EEEvT1_
; %bb.0:
	.section	.rodata,"a",@progbits
	.p2align	6, 0x0
	.amdhsa_kernel _ZN7rocprim17ROCPRIM_400000_NS6detail17trampoline_kernelINS0_14default_configENS1_20scan_config_selectorIdEEZZNS1_9scan_implILNS1_25lookback_scan_determinismE0ELb1ELb1ES3_N6thrust23THRUST_200600_302600_NS6detail15normal_iteratorINS9_10device_ptrIdEEEESE_dNS9_4plusIvEEdEEDaPvRmT3_T4_T5_mT6_P12ihipStream_tbENKUlT_T0_E_clISt17integral_constantIbLb1EEST_IbLb0EEEEDaSP_SQ_EUlSP_E0_NS1_11comp_targetILNS1_3genE5ELNS1_11target_archE942ELNS1_3gpuE9ELNS1_3repE0EEENS1_30default_config_static_selectorELNS0_4arch9wavefront6targetE1EEEvT1_
		.amdhsa_group_segment_fixed_size 0
		.amdhsa_private_segment_fixed_size 0
		.amdhsa_kernarg_size 40
		.amdhsa_user_sgpr_count 6
		.amdhsa_user_sgpr_private_segment_buffer 1
		.amdhsa_user_sgpr_dispatch_ptr 0
		.amdhsa_user_sgpr_queue_ptr 0
		.amdhsa_user_sgpr_kernarg_segment_ptr 1
		.amdhsa_user_sgpr_dispatch_id 0
		.amdhsa_user_sgpr_flat_scratch_init 0
		.amdhsa_user_sgpr_kernarg_preload_length 0
		.amdhsa_user_sgpr_kernarg_preload_offset 0
		.amdhsa_user_sgpr_private_segment_size 0
		.amdhsa_uses_dynamic_stack 0
		.amdhsa_system_sgpr_private_segment_wavefront_offset 0
		.amdhsa_system_sgpr_workgroup_id_x 1
		.amdhsa_system_sgpr_workgroup_id_y 0
		.amdhsa_system_sgpr_workgroup_id_z 0
		.amdhsa_system_sgpr_workgroup_info 0
		.amdhsa_system_vgpr_workitem_id 0
		.amdhsa_next_free_vgpr 1
		.amdhsa_next_free_sgpr 0
		.amdhsa_accum_offset 4
		.amdhsa_reserve_vcc 0
		.amdhsa_reserve_flat_scratch 0
		.amdhsa_float_round_mode_32 0
		.amdhsa_float_round_mode_16_64 0
		.amdhsa_float_denorm_mode_32 3
		.amdhsa_float_denorm_mode_16_64 3
		.amdhsa_dx10_clamp 1
		.amdhsa_ieee_mode 1
		.amdhsa_fp16_overflow 0
		.amdhsa_tg_split 0
		.amdhsa_exception_fp_ieee_invalid_op 0
		.amdhsa_exception_fp_denorm_src 0
		.amdhsa_exception_fp_ieee_div_zero 0
		.amdhsa_exception_fp_ieee_overflow 0
		.amdhsa_exception_fp_ieee_underflow 0
		.amdhsa_exception_fp_ieee_inexact 0
		.amdhsa_exception_int_div_zero 0
	.end_amdhsa_kernel
	.section	.text._ZN7rocprim17ROCPRIM_400000_NS6detail17trampoline_kernelINS0_14default_configENS1_20scan_config_selectorIdEEZZNS1_9scan_implILNS1_25lookback_scan_determinismE0ELb1ELb1ES3_N6thrust23THRUST_200600_302600_NS6detail15normal_iteratorINS9_10device_ptrIdEEEESE_dNS9_4plusIvEEdEEDaPvRmT3_T4_T5_mT6_P12ihipStream_tbENKUlT_T0_E_clISt17integral_constantIbLb1EEST_IbLb0EEEEDaSP_SQ_EUlSP_E0_NS1_11comp_targetILNS1_3genE5ELNS1_11target_archE942ELNS1_3gpuE9ELNS1_3repE0EEENS1_30default_config_static_selectorELNS0_4arch9wavefront6targetE1EEEvT1_,"axG",@progbits,_ZN7rocprim17ROCPRIM_400000_NS6detail17trampoline_kernelINS0_14default_configENS1_20scan_config_selectorIdEEZZNS1_9scan_implILNS1_25lookback_scan_determinismE0ELb1ELb1ES3_N6thrust23THRUST_200600_302600_NS6detail15normal_iteratorINS9_10device_ptrIdEEEESE_dNS9_4plusIvEEdEEDaPvRmT3_T4_T5_mT6_P12ihipStream_tbENKUlT_T0_E_clISt17integral_constantIbLb1EEST_IbLb0EEEEDaSP_SQ_EUlSP_E0_NS1_11comp_targetILNS1_3genE5ELNS1_11target_archE942ELNS1_3gpuE9ELNS1_3repE0EEENS1_30default_config_static_selectorELNS0_4arch9wavefront6targetE1EEEvT1_,comdat
.Lfunc_end4260:
	.size	_ZN7rocprim17ROCPRIM_400000_NS6detail17trampoline_kernelINS0_14default_configENS1_20scan_config_selectorIdEEZZNS1_9scan_implILNS1_25lookback_scan_determinismE0ELb1ELb1ES3_N6thrust23THRUST_200600_302600_NS6detail15normal_iteratorINS9_10device_ptrIdEEEESE_dNS9_4plusIvEEdEEDaPvRmT3_T4_T5_mT6_P12ihipStream_tbENKUlT_T0_E_clISt17integral_constantIbLb1EEST_IbLb0EEEEDaSP_SQ_EUlSP_E0_NS1_11comp_targetILNS1_3genE5ELNS1_11target_archE942ELNS1_3gpuE9ELNS1_3repE0EEENS1_30default_config_static_selectorELNS0_4arch9wavefront6targetE1EEEvT1_, .Lfunc_end4260-_ZN7rocprim17ROCPRIM_400000_NS6detail17trampoline_kernelINS0_14default_configENS1_20scan_config_selectorIdEEZZNS1_9scan_implILNS1_25lookback_scan_determinismE0ELb1ELb1ES3_N6thrust23THRUST_200600_302600_NS6detail15normal_iteratorINS9_10device_ptrIdEEEESE_dNS9_4plusIvEEdEEDaPvRmT3_T4_T5_mT6_P12ihipStream_tbENKUlT_T0_E_clISt17integral_constantIbLb1EEST_IbLb0EEEEDaSP_SQ_EUlSP_E0_NS1_11comp_targetILNS1_3genE5ELNS1_11target_archE942ELNS1_3gpuE9ELNS1_3repE0EEENS1_30default_config_static_selectorELNS0_4arch9wavefront6targetE1EEEvT1_
                                        ; -- End function
	.section	.AMDGPU.csdata,"",@progbits
; Kernel info:
; codeLenInByte = 0
; NumSgprs: 4
; NumVgprs: 0
; NumAgprs: 0
; TotalNumVgprs: 0
; ScratchSize: 0
; MemoryBound: 0
; FloatMode: 240
; IeeeMode: 1
; LDSByteSize: 0 bytes/workgroup (compile time only)
; SGPRBlocks: 0
; VGPRBlocks: 0
; NumSGPRsForWavesPerEU: 4
; NumVGPRsForWavesPerEU: 1
; AccumOffset: 4
; Occupancy: 8
; WaveLimiterHint : 0
; COMPUTE_PGM_RSRC2:SCRATCH_EN: 0
; COMPUTE_PGM_RSRC2:USER_SGPR: 6
; COMPUTE_PGM_RSRC2:TRAP_HANDLER: 0
; COMPUTE_PGM_RSRC2:TGID_X_EN: 1
; COMPUTE_PGM_RSRC2:TGID_Y_EN: 0
; COMPUTE_PGM_RSRC2:TGID_Z_EN: 0
; COMPUTE_PGM_RSRC2:TIDIG_COMP_CNT: 0
; COMPUTE_PGM_RSRC3_GFX90A:ACCUM_OFFSET: 0
; COMPUTE_PGM_RSRC3_GFX90A:TG_SPLIT: 0
	.section	.text._ZN7rocprim17ROCPRIM_400000_NS6detail17trampoline_kernelINS0_14default_configENS1_20scan_config_selectorIdEEZZNS1_9scan_implILNS1_25lookback_scan_determinismE0ELb1ELb1ES3_N6thrust23THRUST_200600_302600_NS6detail15normal_iteratorINS9_10device_ptrIdEEEESE_dNS9_4plusIvEEdEEDaPvRmT3_T4_T5_mT6_P12ihipStream_tbENKUlT_T0_E_clISt17integral_constantIbLb1EEST_IbLb0EEEEDaSP_SQ_EUlSP_E0_NS1_11comp_targetILNS1_3genE4ELNS1_11target_archE910ELNS1_3gpuE8ELNS1_3repE0EEENS1_30default_config_static_selectorELNS0_4arch9wavefront6targetE1EEEvT1_,"axG",@progbits,_ZN7rocprim17ROCPRIM_400000_NS6detail17trampoline_kernelINS0_14default_configENS1_20scan_config_selectorIdEEZZNS1_9scan_implILNS1_25lookback_scan_determinismE0ELb1ELb1ES3_N6thrust23THRUST_200600_302600_NS6detail15normal_iteratorINS9_10device_ptrIdEEEESE_dNS9_4plusIvEEdEEDaPvRmT3_T4_T5_mT6_P12ihipStream_tbENKUlT_T0_E_clISt17integral_constantIbLb1EEST_IbLb0EEEEDaSP_SQ_EUlSP_E0_NS1_11comp_targetILNS1_3genE4ELNS1_11target_archE910ELNS1_3gpuE8ELNS1_3repE0EEENS1_30default_config_static_selectorELNS0_4arch9wavefront6targetE1EEEvT1_,comdat
	.protected	_ZN7rocprim17ROCPRIM_400000_NS6detail17trampoline_kernelINS0_14default_configENS1_20scan_config_selectorIdEEZZNS1_9scan_implILNS1_25lookback_scan_determinismE0ELb1ELb1ES3_N6thrust23THRUST_200600_302600_NS6detail15normal_iteratorINS9_10device_ptrIdEEEESE_dNS9_4plusIvEEdEEDaPvRmT3_T4_T5_mT6_P12ihipStream_tbENKUlT_T0_E_clISt17integral_constantIbLb1EEST_IbLb0EEEEDaSP_SQ_EUlSP_E0_NS1_11comp_targetILNS1_3genE4ELNS1_11target_archE910ELNS1_3gpuE8ELNS1_3repE0EEENS1_30default_config_static_selectorELNS0_4arch9wavefront6targetE1EEEvT1_ ; -- Begin function _ZN7rocprim17ROCPRIM_400000_NS6detail17trampoline_kernelINS0_14default_configENS1_20scan_config_selectorIdEEZZNS1_9scan_implILNS1_25lookback_scan_determinismE0ELb1ELb1ES3_N6thrust23THRUST_200600_302600_NS6detail15normal_iteratorINS9_10device_ptrIdEEEESE_dNS9_4plusIvEEdEEDaPvRmT3_T4_T5_mT6_P12ihipStream_tbENKUlT_T0_E_clISt17integral_constantIbLb1EEST_IbLb0EEEEDaSP_SQ_EUlSP_E0_NS1_11comp_targetILNS1_3genE4ELNS1_11target_archE910ELNS1_3gpuE8ELNS1_3repE0EEENS1_30default_config_static_selectorELNS0_4arch9wavefront6targetE1EEEvT1_
	.globl	_ZN7rocprim17ROCPRIM_400000_NS6detail17trampoline_kernelINS0_14default_configENS1_20scan_config_selectorIdEEZZNS1_9scan_implILNS1_25lookback_scan_determinismE0ELb1ELb1ES3_N6thrust23THRUST_200600_302600_NS6detail15normal_iteratorINS9_10device_ptrIdEEEESE_dNS9_4plusIvEEdEEDaPvRmT3_T4_T5_mT6_P12ihipStream_tbENKUlT_T0_E_clISt17integral_constantIbLb1EEST_IbLb0EEEEDaSP_SQ_EUlSP_E0_NS1_11comp_targetILNS1_3genE4ELNS1_11target_archE910ELNS1_3gpuE8ELNS1_3repE0EEENS1_30default_config_static_selectorELNS0_4arch9wavefront6targetE1EEEvT1_
	.p2align	8
	.type	_ZN7rocprim17ROCPRIM_400000_NS6detail17trampoline_kernelINS0_14default_configENS1_20scan_config_selectorIdEEZZNS1_9scan_implILNS1_25lookback_scan_determinismE0ELb1ELb1ES3_N6thrust23THRUST_200600_302600_NS6detail15normal_iteratorINS9_10device_ptrIdEEEESE_dNS9_4plusIvEEdEEDaPvRmT3_T4_T5_mT6_P12ihipStream_tbENKUlT_T0_E_clISt17integral_constantIbLb1EEST_IbLb0EEEEDaSP_SQ_EUlSP_E0_NS1_11comp_targetILNS1_3genE4ELNS1_11target_archE910ELNS1_3gpuE8ELNS1_3repE0EEENS1_30default_config_static_selectorELNS0_4arch9wavefront6targetE1EEEvT1_,@function
_ZN7rocprim17ROCPRIM_400000_NS6detail17trampoline_kernelINS0_14default_configENS1_20scan_config_selectorIdEEZZNS1_9scan_implILNS1_25lookback_scan_determinismE0ELb1ELb1ES3_N6thrust23THRUST_200600_302600_NS6detail15normal_iteratorINS9_10device_ptrIdEEEESE_dNS9_4plusIvEEdEEDaPvRmT3_T4_T5_mT6_P12ihipStream_tbENKUlT_T0_E_clISt17integral_constantIbLb1EEST_IbLb0EEEEDaSP_SQ_EUlSP_E0_NS1_11comp_targetILNS1_3genE4ELNS1_11target_archE910ELNS1_3gpuE8ELNS1_3repE0EEENS1_30default_config_static_selectorELNS0_4arch9wavefront6targetE1EEEvT1_: ; @_ZN7rocprim17ROCPRIM_400000_NS6detail17trampoline_kernelINS0_14default_configENS1_20scan_config_selectorIdEEZZNS1_9scan_implILNS1_25lookback_scan_determinismE0ELb1ELb1ES3_N6thrust23THRUST_200600_302600_NS6detail15normal_iteratorINS9_10device_ptrIdEEEESE_dNS9_4plusIvEEdEEDaPvRmT3_T4_T5_mT6_P12ihipStream_tbENKUlT_T0_E_clISt17integral_constantIbLb1EEST_IbLb0EEEEDaSP_SQ_EUlSP_E0_NS1_11comp_targetILNS1_3genE4ELNS1_11target_archE910ELNS1_3gpuE8ELNS1_3repE0EEENS1_30default_config_static_selectorELNS0_4arch9wavefront6targetE1EEEvT1_
; %bb.0:
	s_load_dwordx4 s[20:23], s[4:5], 0x0
	v_lshlrev_b32_e32 v28, 3, v0
	s_waitcnt lgkmcnt(0)
	s_load_dwordx2 s[24:25], s[20:21], 0x0
	v_cmp_gt_u32_e32 vcc, s22, v0
	s_waitcnt lgkmcnt(0)
	v_pk_mov_b32 v[2:3], s[24:25], s[24:25] op_sel:[0,1]
	s_and_saveexec_b64 s[0:1], vcc
	s_cbranch_execz .LBB4261_2
; %bb.1:
	global_load_dwordx2 v[2:3], v28, s[20:21]
.LBB4261_2:
	s_or_b64 exec, exec, s[0:1]
	v_or_b32_e32 v1, 0x80, v0
	v_cmp_gt_u32_e64 s[0:1], s22, v1
	v_pk_mov_b32 v[4:5], s[24:25], s[24:25] op_sel:[0,1]
	s_and_saveexec_b64 s[2:3], s[0:1]
	s_cbranch_execz .LBB4261_4
; %bb.3:
	global_load_dwordx2 v[4:5], v28, s[20:21] offset:1024
.LBB4261_4:
	s_or_b64 exec, exec, s[2:3]
	v_or_b32_e32 v1, 0x100, v0
	v_cmp_gt_u32_e64 s[2:3], s22, v1
	v_pk_mov_b32 v[6:7], s[24:25], s[24:25] op_sel:[0,1]
	s_and_saveexec_b64 s[6:7], s[2:3]
	s_cbranch_execz .LBB4261_6
; %bb.5:
	global_load_dwordx2 v[6:7], v28, s[20:21] offset:2048
.LBB4261_6:
	;; [unrolled: 9-line block ×3, first 2 shown]
	s_or_b64 exec, exec, s[6:7]
	v_or_b32_e32 v1, 0x200, v0
	v_cmp_gt_u32_e64 s[6:7], s22, v1
	v_pk_mov_b32 v[10:11], s[24:25], s[24:25] op_sel:[0,1]
	s_and_saveexec_b64 s[8:9], s[6:7]
	s_cbranch_execz .LBB4261_10
; %bb.9:
	v_lshlrev_b32_e32 v1, 3, v1
	global_load_dwordx2 v[10:11], v1, s[20:21]
.LBB4261_10:
	s_or_b64 exec, exec, s[8:9]
	v_or_b32_e32 v1, 0x280, v0
	v_cmp_gt_u32_e64 s[8:9], s22, v1
	v_pk_mov_b32 v[12:13], s[24:25], s[24:25] op_sel:[0,1]
	s_and_saveexec_b64 s[10:11], s[8:9]
	s_cbranch_execz .LBB4261_12
; %bb.11:
	v_lshlrev_b32_e32 v1, 3, v1
	global_load_dwordx2 v[12:13], v1, s[20:21]
.LBB4261_12:
	s_or_b64 exec, exec, s[10:11]
	v_or_b32_e32 v1, 0x300, v0
	v_cmp_gt_u32_e64 s[10:11], s22, v1
	v_pk_mov_b32 v[14:15], s[24:25], s[24:25] op_sel:[0,1]
	s_and_saveexec_b64 s[12:13], s[10:11]
	s_cbranch_execz .LBB4261_14
; %bb.13:
	v_lshlrev_b32_e32 v1, 3, v1
	global_load_dwordx2 v[14:15], v1, s[20:21]
.LBB4261_14:
	s_or_b64 exec, exec, s[12:13]
	v_or_b32_e32 v1, 0x380, v0
	v_cmp_gt_u32_e64 s[12:13], s22, v1
	v_pk_mov_b32 v[16:17], s[24:25], s[24:25] op_sel:[0,1]
	s_and_saveexec_b64 s[14:15], s[12:13]
	s_cbranch_execz .LBB4261_16
; %bb.15:
	v_lshlrev_b32_e32 v1, 3, v1
	global_load_dwordx2 v[16:17], v1, s[20:21]
.LBB4261_16:
	s_or_b64 exec, exec, s[14:15]
	v_or_b32_e32 v1, 0x400, v0
	v_cmp_gt_u32_e64 s[14:15], s22, v1
	v_pk_mov_b32 v[18:19], s[24:25], s[24:25] op_sel:[0,1]
	s_and_saveexec_b64 s[16:17], s[14:15]
	s_cbranch_execz .LBB4261_18
; %bb.17:
	v_lshlrev_b32_e32 v1, 3, v1
	global_load_dwordx2 v[18:19], v1, s[20:21]
.LBB4261_18:
	s_or_b64 exec, exec, s[16:17]
	v_or_b32_e32 v1, 0x480, v0
	v_cmp_gt_u32_e64 s[16:17], s22, v1
	v_pk_mov_b32 v[20:21], s[24:25], s[24:25] op_sel:[0,1]
	s_and_saveexec_b64 s[22:23], s[16:17]
	s_cbranch_execz .LBB4261_20
; %bb.19:
	v_lshlrev_b32_e32 v1, 3, v1
	global_load_dwordx2 v[20:21], v1, s[20:21]
.LBB4261_20:
	s_or_b64 exec, exec, s[22:23]
	s_movk_i32 s20, 0x48
	v_mad_u32_u24 v1, v0, s20, v28
	s_waitcnt vmcnt(0)
	ds_write2st64_b64 v28, v[2:3], v[4:5] offset1:2
	ds_write2st64_b64 v28, v[6:7], v[8:9] offset0:4 offset1:6
	ds_write2st64_b64 v28, v[10:11], v[12:13] offset0:8 offset1:10
	;; [unrolled: 1-line block ×4, first 2 shown]
	s_waitcnt lgkmcnt(0)
	s_barrier
	ds_read_b128 v[14:17], v1
	ds_read_b128 v[10:13], v1 offset:16
	ds_read_b128 v[6:9], v1 offset:32
	;; [unrolled: 1-line block ×4, first 2 shown]
	s_waitcnt lgkmcnt(4)
	v_add_f64 v[22:23], v[14:15], v[16:17]
	s_waitcnt lgkmcnt(3)
	v_add_f64 v[22:23], v[22:23], v[10:11]
	v_add_f64 v[22:23], v[22:23], v[12:13]
	s_waitcnt lgkmcnt(2)
	v_add_f64 v[22:23], v[22:23], v[6:7]
	;; [unrolled: 3-line block ×4, first 2 shown]
	v_add_f64 v[20:21], v[22:23], v[20:21]
	v_mbcnt_lo_u32_b32 v22, -1, 0
	v_mbcnt_hi_u32_b32 v29, -1, v22
	v_and_b32_e32 v26, 15, v29
	v_mov_b32_dpp v22, v20 row_shr:1 row_mask:0xf bank_mask:0xf
	v_mov_b32_dpp v23, v21 row_shr:1 row_mask:0xf bank_mask:0xf
	v_add_f64 v[22:23], v[20:21], v[22:23]
	v_cmp_eq_u32_e64 s[20:21], 0, v26
	v_cndmask_b32_e64 v22, v22, v20, s[20:21]
	v_cndmask_b32_e64 v23, v23, v21, s[20:21]
	v_cmp_lt_u32_e64 s[20:21], 1, v26
	v_mov_b32_dpp v24, v22 row_shr:2 row_mask:0xf bank_mask:0xf
	v_mov_b32_dpp v25, v23 row_shr:2 row_mask:0xf bank_mask:0xf
	v_add_f64 v[24:25], v[22:23], v[24:25]
	v_cndmask_b32_e64 v22, v22, v24, s[20:21]
	v_cndmask_b32_e64 v23, v23, v25, s[20:21]
	v_cmp_lt_u32_e64 s[20:21], 3, v26
	v_mov_b32_dpp v24, v22 row_shr:4 row_mask:0xf bank_mask:0xf
	v_mov_b32_dpp v25, v23 row_shr:4 row_mask:0xf bank_mask:0xf
	v_add_f64 v[24:25], v[22:23], v[24:25]
	;; [unrolled: 6-line block ×3, first 2 shown]
	s_load_dwordx2 s[26:27], s[4:5], 0x10
	v_cndmask_b32_e64 v22, v22, v24, s[20:21]
	v_cndmask_b32_e64 v23, v23, v25, s[20:21]
	v_and_b32_e32 v30, 16, v29
	v_mov_b32_dpp v24, v22 row_bcast:15 row_mask:0xf bank_mask:0xf
	v_mov_b32_dpp v25, v23 row_bcast:15 row_mask:0xf bank_mask:0xf
	v_add_f64 v[26:27], v[22:23], v[24:25]
	v_cmp_eq_u32_e64 s[22:23], 0, v30
	v_cndmask_b32_e64 v25, v27, v23, s[22:23]
	v_cndmask_b32_e64 v24, v26, v22, s[22:23]
	v_cmp_eq_u32_e64 s[20:21], 0, v29
	v_mov_b32_dpp v25, v25 row_bcast:31 row_mask:0xf bank_mask:0xf
	v_mov_b32_dpp v24, v24 row_bcast:31 row_mask:0xf bank_mask:0xf
	v_cmp_ne_u32_e64 s[24:25], 0, v29
	s_waitcnt lgkmcnt(0)
	s_barrier
	s_and_saveexec_b64 s[28:29], s[24:25]
; %bb.21:
	v_cndmask_b32_e64 v21, v27, v23, s[22:23]
	v_cndmask_b32_e64 v20, v26, v22, s[22:23]
	v_add_f64 v[22:23], v[20:21], v[24:25]
	v_cmp_lt_u32_e64 s[22:23], 31, v29
	v_cndmask_b32_e64 v21, v21, v23, s[22:23]
	v_cndmask_b32_e64 v20, v20, v22, s[22:23]
; %bb.22:
	s_or_b64 exec, exec, s[28:29]
	v_or_b32_e32 v22, 63, v0
	v_lshrrev_b32_e32 v24, 6, v0
	v_cmp_eq_u32_e64 s[22:23], v22, v0
	s_and_saveexec_b64 s[24:25], s[22:23]
	s_cbranch_execz .LBB4261_24
; %bb.23:
	v_lshlrev_b32_e32 v22, 3, v24
	ds_write_b64 v22, v[20:21]
.LBB4261_24:
	s_or_b64 exec, exec, s[24:25]
	s_load_dwordx2 s[22:23], s[4:5], 0x20
	v_cmp_gt_u32_e64 s[4:5], 2, v0
	s_waitcnt lgkmcnt(0)
	s_barrier
	s_and_saveexec_b64 s[24:25], s[4:5]
	s_cbranch_execz .LBB4261_26
; %bb.25:
	ds_read_b64 v[22:23], v28
	v_and_b32_e32 v25, 1, v29
	v_cmp_eq_u32_e64 s[4:5], 0, v25
	s_waitcnt lgkmcnt(0)
	v_mov_b32_dpp v26, v22 row_shr:1 row_mask:0xf bank_mask:0xf
	v_mov_b32_dpp v27, v23 row_shr:1 row_mask:0xf bank_mask:0xf
	v_add_f64 v[26:27], v[22:23], v[26:27]
	v_cndmask_b32_e64 v23, v27, v23, s[4:5]
	v_cndmask_b32_e64 v22, v26, v22, s[4:5]
	ds_write_b64 v28, v[22:23]
.LBB4261_26:
	s_or_b64 exec, exec, s[24:25]
	v_cmp_lt_u32_e64 s[4:5], 63, v0
	v_pk_mov_b32 v[22:23], s[26:27], s[26:27] op_sel:[0,1]
	s_waitcnt lgkmcnt(0)
	s_barrier
	s_and_saveexec_b64 s[24:25], s[4:5]
	s_cbranch_execz .LBB4261_28
; %bb.27:
	v_lshl_add_u32 v22, v24, 3, -8
	ds_read_b64 v[22:23], v22
	s_waitcnt lgkmcnt(0)
	v_add_f64 v[22:23], s[26:27], v[22:23]
.LBB4261_28:
	s_or_b64 exec, exec, s[24:25]
	v_add_u32_e32 v24, -1, v29
	v_and_b32_e32 v25, 64, v29
	v_cmp_lt_i32_e64 s[4:5], v24, v25
	v_cndmask_b32_e64 v24, v24, v29, s[4:5]
	v_add_f64 v[20:21], v[20:21], v[22:23]
	v_lshlrev_b32_e32 v24, 2, v24
	ds_bpermute_b32 v20, v24, v20
	ds_bpermute_b32 v21, v24, v21
	v_cmp_eq_u32_e64 s[4:5], 0, v0
	s_waitcnt lgkmcnt(0)
	s_barrier
	v_cndmask_b32_e64 v20, v20, v22, s[20:21]
	v_cndmask_b32_e64 v21, v21, v23, s[20:21]
	v_mov_b32_e32 v22, s27
	v_cndmask_b32_e64 v21, v21, v22, s[4:5]
	v_mov_b32_e32 v22, s26
	v_cndmask_b32_e64 v20, v20, v22, s[4:5]
	v_add_f64 v[22:23], v[14:15], v[20:21]
	v_add_f64 v[14:15], v[16:17], v[22:23]
	;; [unrolled: 1-line block ×8, first 2 shown]
	s_movk_i32 s4, 0xffb8
	v_add_f64 v[4:5], v[18:19], v[2:3]
	v_mad_i32_i24 v0, v0, s4, v1
	ds_write_b128 v1, v[20:23]
	ds_write_b128 v1, v[14:17] offset:16
	ds_write_b128 v1, v[10:13] offset:32
	;; [unrolled: 1-line block ×4, first 2 shown]
	s_waitcnt lgkmcnt(0)
	s_barrier
	ds_read2st64_b64 v[12:15], v0 offset0:2 offset1:4
	ds_read2st64_b64 v[8:11], v0 offset0:6 offset1:8
	;; [unrolled: 1-line block ×4, first 2 shown]
	ds_read_b64 v[18:19], v28 offset:8192
	v_mov_b32_e32 v17, s23
	v_add_co_u32_e64 v16, s[4:5], s22, v28
	v_addc_co_u32_e64 v17, s[4:5], 0, v17, s[4:5]
	s_and_saveexec_b64 s[4:5], vcc
	s_cbranch_execnz .LBB4261_39
; %bb.29:
	s_or_b64 exec, exec, s[4:5]
	s_and_saveexec_b64 s[4:5], s[0:1]
	s_cbranch_execnz .LBB4261_40
.LBB4261_30:
	s_or_b64 exec, exec, s[4:5]
	s_and_saveexec_b64 s[0:1], s[2:3]
	s_cbranch_execnz .LBB4261_41
.LBB4261_31:
	s_or_b64 exec, exec, s[0:1]
	s_and_saveexec_b64 s[0:1], s[18:19]
	s_cbranch_execnz .LBB4261_42
.LBB4261_32:
	s_or_b64 exec, exec, s[0:1]
	s_and_saveexec_b64 s[0:1], s[6:7]
	s_cbranch_execnz .LBB4261_43
.LBB4261_33:
	s_or_b64 exec, exec, s[0:1]
	s_and_saveexec_b64 s[0:1], s[8:9]
	s_cbranch_execnz .LBB4261_44
.LBB4261_34:
	s_or_b64 exec, exec, s[0:1]
	s_and_saveexec_b64 s[0:1], s[10:11]
	s_cbranch_execnz .LBB4261_45
.LBB4261_35:
	s_or_b64 exec, exec, s[0:1]
	s_and_saveexec_b64 s[0:1], s[12:13]
	s_cbranch_execnz .LBB4261_46
.LBB4261_36:
	s_or_b64 exec, exec, s[0:1]
	s_and_saveexec_b64 s[0:1], s[14:15]
	s_cbranch_execnz .LBB4261_47
.LBB4261_37:
	s_or_b64 exec, exec, s[0:1]
	s_and_saveexec_b64 s[0:1], s[16:17]
	s_cbranch_execnz .LBB4261_48
.LBB4261_38:
	s_endpgm
.LBB4261_39:
	ds_read_b64 v[20:21], v28
	s_waitcnt lgkmcnt(0)
	global_store_dwordx2 v[16:17], v[20:21], off
	s_or_b64 exec, exec, s[4:5]
	s_and_saveexec_b64 s[4:5], s[0:1]
	s_cbranch_execz .LBB4261_30
.LBB4261_40:
	s_waitcnt lgkmcnt(4)
	global_store_dwordx2 v[16:17], v[12:13], off offset:1024
	s_or_b64 exec, exec, s[4:5]
	s_and_saveexec_b64 s[0:1], s[2:3]
	s_cbranch_execz .LBB4261_31
.LBB4261_41:
	s_waitcnt lgkmcnt(4)
	global_store_dwordx2 v[16:17], v[14:15], off offset:2048
	s_or_b64 exec, exec, s[0:1]
	s_and_saveexec_b64 s[0:1], s[18:19]
	s_cbranch_execz .LBB4261_32
.LBB4261_42:
	s_waitcnt lgkmcnt(3)
	global_store_dwordx2 v[16:17], v[8:9], off offset:3072
	s_or_b64 exec, exec, s[0:1]
	s_and_saveexec_b64 s[0:1], s[6:7]
	s_cbranch_execz .LBB4261_33
.LBB4261_43:
	s_waitcnt lgkmcnt(3)
	v_add_co_u32_e32 v8, vcc, 0x1000, v16
	v_addc_co_u32_e32 v9, vcc, 0, v17, vcc
	global_store_dwordx2 v[8:9], v[10:11], off
	s_or_b64 exec, exec, s[0:1]
	s_and_saveexec_b64 s[0:1], s[8:9]
	s_cbranch_execz .LBB4261_34
.LBB4261_44:
	s_waitcnt lgkmcnt(3)
	v_add_co_u32_e32 v8, vcc, 0x1000, v16
	v_addc_co_u32_e32 v9, vcc, 0, v17, vcc
	s_waitcnt lgkmcnt(2)
	global_store_dwordx2 v[8:9], v[4:5], off offset:1024
	s_or_b64 exec, exec, s[0:1]
	s_and_saveexec_b64 s[0:1], s[10:11]
	s_cbranch_execz .LBB4261_35
.LBB4261_45:
	s_waitcnt lgkmcnt(2)
	v_add_co_u32_e32 v4, vcc, 0x1000, v16
	v_addc_co_u32_e32 v5, vcc, 0, v17, vcc
	global_store_dwordx2 v[4:5], v[6:7], off offset:2048
	s_or_b64 exec, exec, s[0:1]
	s_and_saveexec_b64 s[0:1], s[12:13]
	s_cbranch_execz .LBB4261_36
.LBB4261_46:
	s_waitcnt lgkmcnt(2)
	v_add_co_u32_e32 v4, vcc, 0x1000, v16
	v_addc_co_u32_e32 v5, vcc, 0, v17, vcc
	s_waitcnt lgkmcnt(1)
	global_store_dwordx2 v[4:5], v[0:1], off offset:3072
	s_or_b64 exec, exec, s[0:1]
	s_and_saveexec_b64 s[0:1], s[14:15]
	s_cbranch_execz .LBB4261_37
.LBB4261_47:
	s_waitcnt lgkmcnt(1)
	v_add_co_u32_e32 v0, vcc, 0x2000, v16
	v_addc_co_u32_e32 v1, vcc, 0, v17, vcc
	s_waitcnt lgkmcnt(0)
	global_store_dwordx2 v[0:1], v[18:19], off
	s_or_b64 exec, exec, s[0:1]
	s_and_saveexec_b64 s[0:1], s[16:17]
	s_cbranch_execz .LBB4261_38
.LBB4261_48:
	s_waitcnt lgkmcnt(1)
	v_add_co_u32_e32 v0, vcc, 0x2000, v16
	v_addc_co_u32_e32 v1, vcc, 0, v17, vcc
	global_store_dwordx2 v[0:1], v[2:3], off offset:1024
	s_endpgm
	.section	.rodata,"a",@progbits
	.p2align	6, 0x0
	.amdhsa_kernel _ZN7rocprim17ROCPRIM_400000_NS6detail17trampoline_kernelINS0_14default_configENS1_20scan_config_selectorIdEEZZNS1_9scan_implILNS1_25lookback_scan_determinismE0ELb1ELb1ES3_N6thrust23THRUST_200600_302600_NS6detail15normal_iteratorINS9_10device_ptrIdEEEESE_dNS9_4plusIvEEdEEDaPvRmT3_T4_T5_mT6_P12ihipStream_tbENKUlT_T0_E_clISt17integral_constantIbLb1EEST_IbLb0EEEEDaSP_SQ_EUlSP_E0_NS1_11comp_targetILNS1_3genE4ELNS1_11target_archE910ELNS1_3gpuE8ELNS1_3repE0EEENS1_30default_config_static_selectorELNS0_4arch9wavefront6targetE1EEEvT1_
		.amdhsa_group_segment_fixed_size 10240
		.amdhsa_private_segment_fixed_size 0
		.amdhsa_kernarg_size 40
		.amdhsa_user_sgpr_count 6
		.amdhsa_user_sgpr_private_segment_buffer 1
		.amdhsa_user_sgpr_dispatch_ptr 0
		.amdhsa_user_sgpr_queue_ptr 0
		.amdhsa_user_sgpr_kernarg_segment_ptr 1
		.amdhsa_user_sgpr_dispatch_id 0
		.amdhsa_user_sgpr_flat_scratch_init 0
		.amdhsa_user_sgpr_kernarg_preload_length 0
		.amdhsa_user_sgpr_kernarg_preload_offset 0
		.amdhsa_user_sgpr_private_segment_size 0
		.amdhsa_uses_dynamic_stack 0
		.amdhsa_system_sgpr_private_segment_wavefront_offset 0
		.amdhsa_system_sgpr_workgroup_id_x 1
		.amdhsa_system_sgpr_workgroup_id_y 0
		.amdhsa_system_sgpr_workgroup_id_z 0
		.amdhsa_system_sgpr_workgroup_info 0
		.amdhsa_system_vgpr_workitem_id 0
		.amdhsa_next_free_vgpr 31
		.amdhsa_next_free_sgpr 30
		.amdhsa_accum_offset 32
		.amdhsa_reserve_vcc 1
		.amdhsa_reserve_flat_scratch 0
		.amdhsa_float_round_mode_32 0
		.amdhsa_float_round_mode_16_64 0
		.amdhsa_float_denorm_mode_32 3
		.amdhsa_float_denorm_mode_16_64 3
		.amdhsa_dx10_clamp 1
		.amdhsa_ieee_mode 1
		.amdhsa_fp16_overflow 0
		.amdhsa_tg_split 0
		.amdhsa_exception_fp_ieee_invalid_op 0
		.amdhsa_exception_fp_denorm_src 0
		.amdhsa_exception_fp_ieee_div_zero 0
		.amdhsa_exception_fp_ieee_overflow 0
		.amdhsa_exception_fp_ieee_underflow 0
		.amdhsa_exception_fp_ieee_inexact 0
		.amdhsa_exception_int_div_zero 0
	.end_amdhsa_kernel
	.section	.text._ZN7rocprim17ROCPRIM_400000_NS6detail17trampoline_kernelINS0_14default_configENS1_20scan_config_selectorIdEEZZNS1_9scan_implILNS1_25lookback_scan_determinismE0ELb1ELb1ES3_N6thrust23THRUST_200600_302600_NS6detail15normal_iteratorINS9_10device_ptrIdEEEESE_dNS9_4plusIvEEdEEDaPvRmT3_T4_T5_mT6_P12ihipStream_tbENKUlT_T0_E_clISt17integral_constantIbLb1EEST_IbLb0EEEEDaSP_SQ_EUlSP_E0_NS1_11comp_targetILNS1_3genE4ELNS1_11target_archE910ELNS1_3gpuE8ELNS1_3repE0EEENS1_30default_config_static_selectorELNS0_4arch9wavefront6targetE1EEEvT1_,"axG",@progbits,_ZN7rocprim17ROCPRIM_400000_NS6detail17trampoline_kernelINS0_14default_configENS1_20scan_config_selectorIdEEZZNS1_9scan_implILNS1_25lookback_scan_determinismE0ELb1ELb1ES3_N6thrust23THRUST_200600_302600_NS6detail15normal_iteratorINS9_10device_ptrIdEEEESE_dNS9_4plusIvEEdEEDaPvRmT3_T4_T5_mT6_P12ihipStream_tbENKUlT_T0_E_clISt17integral_constantIbLb1EEST_IbLb0EEEEDaSP_SQ_EUlSP_E0_NS1_11comp_targetILNS1_3genE4ELNS1_11target_archE910ELNS1_3gpuE8ELNS1_3repE0EEENS1_30default_config_static_selectorELNS0_4arch9wavefront6targetE1EEEvT1_,comdat
.Lfunc_end4261:
	.size	_ZN7rocprim17ROCPRIM_400000_NS6detail17trampoline_kernelINS0_14default_configENS1_20scan_config_selectorIdEEZZNS1_9scan_implILNS1_25lookback_scan_determinismE0ELb1ELb1ES3_N6thrust23THRUST_200600_302600_NS6detail15normal_iteratorINS9_10device_ptrIdEEEESE_dNS9_4plusIvEEdEEDaPvRmT3_T4_T5_mT6_P12ihipStream_tbENKUlT_T0_E_clISt17integral_constantIbLb1EEST_IbLb0EEEEDaSP_SQ_EUlSP_E0_NS1_11comp_targetILNS1_3genE4ELNS1_11target_archE910ELNS1_3gpuE8ELNS1_3repE0EEENS1_30default_config_static_selectorELNS0_4arch9wavefront6targetE1EEEvT1_, .Lfunc_end4261-_ZN7rocprim17ROCPRIM_400000_NS6detail17trampoline_kernelINS0_14default_configENS1_20scan_config_selectorIdEEZZNS1_9scan_implILNS1_25lookback_scan_determinismE0ELb1ELb1ES3_N6thrust23THRUST_200600_302600_NS6detail15normal_iteratorINS9_10device_ptrIdEEEESE_dNS9_4plusIvEEdEEDaPvRmT3_T4_T5_mT6_P12ihipStream_tbENKUlT_T0_E_clISt17integral_constantIbLb1EEST_IbLb0EEEEDaSP_SQ_EUlSP_E0_NS1_11comp_targetILNS1_3genE4ELNS1_11target_archE910ELNS1_3gpuE8ELNS1_3repE0EEENS1_30default_config_static_selectorELNS0_4arch9wavefront6targetE1EEEvT1_
                                        ; -- End function
	.section	.AMDGPU.csdata,"",@progbits
; Kernel info:
; codeLenInByte = 2000
; NumSgprs: 34
; NumVgprs: 31
; NumAgprs: 0
; TotalNumVgprs: 31
; ScratchSize: 0
; MemoryBound: 0
; FloatMode: 240
; IeeeMode: 1
; LDSByteSize: 10240 bytes/workgroup (compile time only)
; SGPRBlocks: 4
; VGPRBlocks: 3
; NumSGPRsForWavesPerEU: 34
; NumVGPRsForWavesPerEU: 31
; AccumOffset: 32
; Occupancy: 3
; WaveLimiterHint : 0
; COMPUTE_PGM_RSRC2:SCRATCH_EN: 0
; COMPUTE_PGM_RSRC2:USER_SGPR: 6
; COMPUTE_PGM_RSRC2:TRAP_HANDLER: 0
; COMPUTE_PGM_RSRC2:TGID_X_EN: 1
; COMPUTE_PGM_RSRC2:TGID_Y_EN: 0
; COMPUTE_PGM_RSRC2:TGID_Z_EN: 0
; COMPUTE_PGM_RSRC2:TIDIG_COMP_CNT: 0
; COMPUTE_PGM_RSRC3_GFX90A:ACCUM_OFFSET: 7
; COMPUTE_PGM_RSRC3_GFX90A:TG_SPLIT: 0
	.section	.text._ZN7rocprim17ROCPRIM_400000_NS6detail17trampoline_kernelINS0_14default_configENS1_20scan_config_selectorIdEEZZNS1_9scan_implILNS1_25lookback_scan_determinismE0ELb1ELb1ES3_N6thrust23THRUST_200600_302600_NS6detail15normal_iteratorINS9_10device_ptrIdEEEESE_dNS9_4plusIvEEdEEDaPvRmT3_T4_T5_mT6_P12ihipStream_tbENKUlT_T0_E_clISt17integral_constantIbLb1EEST_IbLb0EEEEDaSP_SQ_EUlSP_E0_NS1_11comp_targetILNS1_3genE3ELNS1_11target_archE908ELNS1_3gpuE7ELNS1_3repE0EEENS1_30default_config_static_selectorELNS0_4arch9wavefront6targetE1EEEvT1_,"axG",@progbits,_ZN7rocprim17ROCPRIM_400000_NS6detail17trampoline_kernelINS0_14default_configENS1_20scan_config_selectorIdEEZZNS1_9scan_implILNS1_25lookback_scan_determinismE0ELb1ELb1ES3_N6thrust23THRUST_200600_302600_NS6detail15normal_iteratorINS9_10device_ptrIdEEEESE_dNS9_4plusIvEEdEEDaPvRmT3_T4_T5_mT6_P12ihipStream_tbENKUlT_T0_E_clISt17integral_constantIbLb1EEST_IbLb0EEEEDaSP_SQ_EUlSP_E0_NS1_11comp_targetILNS1_3genE3ELNS1_11target_archE908ELNS1_3gpuE7ELNS1_3repE0EEENS1_30default_config_static_selectorELNS0_4arch9wavefront6targetE1EEEvT1_,comdat
	.protected	_ZN7rocprim17ROCPRIM_400000_NS6detail17trampoline_kernelINS0_14default_configENS1_20scan_config_selectorIdEEZZNS1_9scan_implILNS1_25lookback_scan_determinismE0ELb1ELb1ES3_N6thrust23THRUST_200600_302600_NS6detail15normal_iteratorINS9_10device_ptrIdEEEESE_dNS9_4plusIvEEdEEDaPvRmT3_T4_T5_mT6_P12ihipStream_tbENKUlT_T0_E_clISt17integral_constantIbLb1EEST_IbLb0EEEEDaSP_SQ_EUlSP_E0_NS1_11comp_targetILNS1_3genE3ELNS1_11target_archE908ELNS1_3gpuE7ELNS1_3repE0EEENS1_30default_config_static_selectorELNS0_4arch9wavefront6targetE1EEEvT1_ ; -- Begin function _ZN7rocprim17ROCPRIM_400000_NS6detail17trampoline_kernelINS0_14default_configENS1_20scan_config_selectorIdEEZZNS1_9scan_implILNS1_25lookback_scan_determinismE0ELb1ELb1ES3_N6thrust23THRUST_200600_302600_NS6detail15normal_iteratorINS9_10device_ptrIdEEEESE_dNS9_4plusIvEEdEEDaPvRmT3_T4_T5_mT6_P12ihipStream_tbENKUlT_T0_E_clISt17integral_constantIbLb1EEST_IbLb0EEEEDaSP_SQ_EUlSP_E0_NS1_11comp_targetILNS1_3genE3ELNS1_11target_archE908ELNS1_3gpuE7ELNS1_3repE0EEENS1_30default_config_static_selectorELNS0_4arch9wavefront6targetE1EEEvT1_
	.globl	_ZN7rocprim17ROCPRIM_400000_NS6detail17trampoline_kernelINS0_14default_configENS1_20scan_config_selectorIdEEZZNS1_9scan_implILNS1_25lookback_scan_determinismE0ELb1ELb1ES3_N6thrust23THRUST_200600_302600_NS6detail15normal_iteratorINS9_10device_ptrIdEEEESE_dNS9_4plusIvEEdEEDaPvRmT3_T4_T5_mT6_P12ihipStream_tbENKUlT_T0_E_clISt17integral_constantIbLb1EEST_IbLb0EEEEDaSP_SQ_EUlSP_E0_NS1_11comp_targetILNS1_3genE3ELNS1_11target_archE908ELNS1_3gpuE7ELNS1_3repE0EEENS1_30default_config_static_selectorELNS0_4arch9wavefront6targetE1EEEvT1_
	.p2align	8
	.type	_ZN7rocprim17ROCPRIM_400000_NS6detail17trampoline_kernelINS0_14default_configENS1_20scan_config_selectorIdEEZZNS1_9scan_implILNS1_25lookback_scan_determinismE0ELb1ELb1ES3_N6thrust23THRUST_200600_302600_NS6detail15normal_iteratorINS9_10device_ptrIdEEEESE_dNS9_4plusIvEEdEEDaPvRmT3_T4_T5_mT6_P12ihipStream_tbENKUlT_T0_E_clISt17integral_constantIbLb1EEST_IbLb0EEEEDaSP_SQ_EUlSP_E0_NS1_11comp_targetILNS1_3genE3ELNS1_11target_archE908ELNS1_3gpuE7ELNS1_3repE0EEENS1_30default_config_static_selectorELNS0_4arch9wavefront6targetE1EEEvT1_,@function
_ZN7rocprim17ROCPRIM_400000_NS6detail17trampoline_kernelINS0_14default_configENS1_20scan_config_selectorIdEEZZNS1_9scan_implILNS1_25lookback_scan_determinismE0ELb1ELb1ES3_N6thrust23THRUST_200600_302600_NS6detail15normal_iteratorINS9_10device_ptrIdEEEESE_dNS9_4plusIvEEdEEDaPvRmT3_T4_T5_mT6_P12ihipStream_tbENKUlT_T0_E_clISt17integral_constantIbLb1EEST_IbLb0EEEEDaSP_SQ_EUlSP_E0_NS1_11comp_targetILNS1_3genE3ELNS1_11target_archE908ELNS1_3gpuE7ELNS1_3repE0EEENS1_30default_config_static_selectorELNS0_4arch9wavefront6targetE1EEEvT1_: ; @_ZN7rocprim17ROCPRIM_400000_NS6detail17trampoline_kernelINS0_14default_configENS1_20scan_config_selectorIdEEZZNS1_9scan_implILNS1_25lookback_scan_determinismE0ELb1ELb1ES3_N6thrust23THRUST_200600_302600_NS6detail15normal_iteratorINS9_10device_ptrIdEEEESE_dNS9_4plusIvEEdEEDaPvRmT3_T4_T5_mT6_P12ihipStream_tbENKUlT_T0_E_clISt17integral_constantIbLb1EEST_IbLb0EEEEDaSP_SQ_EUlSP_E0_NS1_11comp_targetILNS1_3genE3ELNS1_11target_archE908ELNS1_3gpuE7ELNS1_3repE0EEENS1_30default_config_static_selectorELNS0_4arch9wavefront6targetE1EEEvT1_
; %bb.0:
	.section	.rodata,"a",@progbits
	.p2align	6, 0x0
	.amdhsa_kernel _ZN7rocprim17ROCPRIM_400000_NS6detail17trampoline_kernelINS0_14default_configENS1_20scan_config_selectorIdEEZZNS1_9scan_implILNS1_25lookback_scan_determinismE0ELb1ELb1ES3_N6thrust23THRUST_200600_302600_NS6detail15normal_iteratorINS9_10device_ptrIdEEEESE_dNS9_4plusIvEEdEEDaPvRmT3_T4_T5_mT6_P12ihipStream_tbENKUlT_T0_E_clISt17integral_constantIbLb1EEST_IbLb0EEEEDaSP_SQ_EUlSP_E0_NS1_11comp_targetILNS1_3genE3ELNS1_11target_archE908ELNS1_3gpuE7ELNS1_3repE0EEENS1_30default_config_static_selectorELNS0_4arch9wavefront6targetE1EEEvT1_
		.amdhsa_group_segment_fixed_size 0
		.amdhsa_private_segment_fixed_size 0
		.amdhsa_kernarg_size 40
		.amdhsa_user_sgpr_count 6
		.amdhsa_user_sgpr_private_segment_buffer 1
		.amdhsa_user_sgpr_dispatch_ptr 0
		.amdhsa_user_sgpr_queue_ptr 0
		.amdhsa_user_sgpr_kernarg_segment_ptr 1
		.amdhsa_user_sgpr_dispatch_id 0
		.amdhsa_user_sgpr_flat_scratch_init 0
		.amdhsa_user_sgpr_kernarg_preload_length 0
		.amdhsa_user_sgpr_kernarg_preload_offset 0
		.amdhsa_user_sgpr_private_segment_size 0
		.amdhsa_uses_dynamic_stack 0
		.amdhsa_system_sgpr_private_segment_wavefront_offset 0
		.amdhsa_system_sgpr_workgroup_id_x 1
		.amdhsa_system_sgpr_workgroup_id_y 0
		.amdhsa_system_sgpr_workgroup_id_z 0
		.amdhsa_system_sgpr_workgroup_info 0
		.amdhsa_system_vgpr_workitem_id 0
		.amdhsa_next_free_vgpr 1
		.amdhsa_next_free_sgpr 0
		.amdhsa_accum_offset 4
		.amdhsa_reserve_vcc 0
		.amdhsa_reserve_flat_scratch 0
		.amdhsa_float_round_mode_32 0
		.amdhsa_float_round_mode_16_64 0
		.amdhsa_float_denorm_mode_32 3
		.amdhsa_float_denorm_mode_16_64 3
		.amdhsa_dx10_clamp 1
		.amdhsa_ieee_mode 1
		.amdhsa_fp16_overflow 0
		.amdhsa_tg_split 0
		.amdhsa_exception_fp_ieee_invalid_op 0
		.amdhsa_exception_fp_denorm_src 0
		.amdhsa_exception_fp_ieee_div_zero 0
		.amdhsa_exception_fp_ieee_overflow 0
		.amdhsa_exception_fp_ieee_underflow 0
		.amdhsa_exception_fp_ieee_inexact 0
		.amdhsa_exception_int_div_zero 0
	.end_amdhsa_kernel
	.section	.text._ZN7rocprim17ROCPRIM_400000_NS6detail17trampoline_kernelINS0_14default_configENS1_20scan_config_selectorIdEEZZNS1_9scan_implILNS1_25lookback_scan_determinismE0ELb1ELb1ES3_N6thrust23THRUST_200600_302600_NS6detail15normal_iteratorINS9_10device_ptrIdEEEESE_dNS9_4plusIvEEdEEDaPvRmT3_T4_T5_mT6_P12ihipStream_tbENKUlT_T0_E_clISt17integral_constantIbLb1EEST_IbLb0EEEEDaSP_SQ_EUlSP_E0_NS1_11comp_targetILNS1_3genE3ELNS1_11target_archE908ELNS1_3gpuE7ELNS1_3repE0EEENS1_30default_config_static_selectorELNS0_4arch9wavefront6targetE1EEEvT1_,"axG",@progbits,_ZN7rocprim17ROCPRIM_400000_NS6detail17trampoline_kernelINS0_14default_configENS1_20scan_config_selectorIdEEZZNS1_9scan_implILNS1_25lookback_scan_determinismE0ELb1ELb1ES3_N6thrust23THRUST_200600_302600_NS6detail15normal_iteratorINS9_10device_ptrIdEEEESE_dNS9_4plusIvEEdEEDaPvRmT3_T4_T5_mT6_P12ihipStream_tbENKUlT_T0_E_clISt17integral_constantIbLb1EEST_IbLb0EEEEDaSP_SQ_EUlSP_E0_NS1_11comp_targetILNS1_3genE3ELNS1_11target_archE908ELNS1_3gpuE7ELNS1_3repE0EEENS1_30default_config_static_selectorELNS0_4arch9wavefront6targetE1EEEvT1_,comdat
.Lfunc_end4262:
	.size	_ZN7rocprim17ROCPRIM_400000_NS6detail17trampoline_kernelINS0_14default_configENS1_20scan_config_selectorIdEEZZNS1_9scan_implILNS1_25lookback_scan_determinismE0ELb1ELb1ES3_N6thrust23THRUST_200600_302600_NS6detail15normal_iteratorINS9_10device_ptrIdEEEESE_dNS9_4plusIvEEdEEDaPvRmT3_T4_T5_mT6_P12ihipStream_tbENKUlT_T0_E_clISt17integral_constantIbLb1EEST_IbLb0EEEEDaSP_SQ_EUlSP_E0_NS1_11comp_targetILNS1_3genE3ELNS1_11target_archE908ELNS1_3gpuE7ELNS1_3repE0EEENS1_30default_config_static_selectorELNS0_4arch9wavefront6targetE1EEEvT1_, .Lfunc_end4262-_ZN7rocprim17ROCPRIM_400000_NS6detail17trampoline_kernelINS0_14default_configENS1_20scan_config_selectorIdEEZZNS1_9scan_implILNS1_25lookback_scan_determinismE0ELb1ELb1ES3_N6thrust23THRUST_200600_302600_NS6detail15normal_iteratorINS9_10device_ptrIdEEEESE_dNS9_4plusIvEEdEEDaPvRmT3_T4_T5_mT6_P12ihipStream_tbENKUlT_T0_E_clISt17integral_constantIbLb1EEST_IbLb0EEEEDaSP_SQ_EUlSP_E0_NS1_11comp_targetILNS1_3genE3ELNS1_11target_archE908ELNS1_3gpuE7ELNS1_3repE0EEENS1_30default_config_static_selectorELNS0_4arch9wavefront6targetE1EEEvT1_
                                        ; -- End function
	.section	.AMDGPU.csdata,"",@progbits
; Kernel info:
; codeLenInByte = 0
; NumSgprs: 4
; NumVgprs: 0
; NumAgprs: 0
; TotalNumVgprs: 0
; ScratchSize: 0
; MemoryBound: 0
; FloatMode: 240
; IeeeMode: 1
; LDSByteSize: 0 bytes/workgroup (compile time only)
; SGPRBlocks: 0
; VGPRBlocks: 0
; NumSGPRsForWavesPerEU: 4
; NumVGPRsForWavesPerEU: 1
; AccumOffset: 4
; Occupancy: 8
; WaveLimiterHint : 0
; COMPUTE_PGM_RSRC2:SCRATCH_EN: 0
; COMPUTE_PGM_RSRC2:USER_SGPR: 6
; COMPUTE_PGM_RSRC2:TRAP_HANDLER: 0
; COMPUTE_PGM_RSRC2:TGID_X_EN: 1
; COMPUTE_PGM_RSRC2:TGID_Y_EN: 0
; COMPUTE_PGM_RSRC2:TGID_Z_EN: 0
; COMPUTE_PGM_RSRC2:TIDIG_COMP_CNT: 0
; COMPUTE_PGM_RSRC3_GFX90A:ACCUM_OFFSET: 0
; COMPUTE_PGM_RSRC3_GFX90A:TG_SPLIT: 0
	.section	.text._ZN7rocprim17ROCPRIM_400000_NS6detail17trampoline_kernelINS0_14default_configENS1_20scan_config_selectorIdEEZZNS1_9scan_implILNS1_25lookback_scan_determinismE0ELb1ELb1ES3_N6thrust23THRUST_200600_302600_NS6detail15normal_iteratorINS9_10device_ptrIdEEEESE_dNS9_4plusIvEEdEEDaPvRmT3_T4_T5_mT6_P12ihipStream_tbENKUlT_T0_E_clISt17integral_constantIbLb1EEST_IbLb0EEEEDaSP_SQ_EUlSP_E0_NS1_11comp_targetILNS1_3genE2ELNS1_11target_archE906ELNS1_3gpuE6ELNS1_3repE0EEENS1_30default_config_static_selectorELNS0_4arch9wavefront6targetE1EEEvT1_,"axG",@progbits,_ZN7rocprim17ROCPRIM_400000_NS6detail17trampoline_kernelINS0_14default_configENS1_20scan_config_selectorIdEEZZNS1_9scan_implILNS1_25lookback_scan_determinismE0ELb1ELb1ES3_N6thrust23THRUST_200600_302600_NS6detail15normal_iteratorINS9_10device_ptrIdEEEESE_dNS9_4plusIvEEdEEDaPvRmT3_T4_T5_mT6_P12ihipStream_tbENKUlT_T0_E_clISt17integral_constantIbLb1EEST_IbLb0EEEEDaSP_SQ_EUlSP_E0_NS1_11comp_targetILNS1_3genE2ELNS1_11target_archE906ELNS1_3gpuE6ELNS1_3repE0EEENS1_30default_config_static_selectorELNS0_4arch9wavefront6targetE1EEEvT1_,comdat
	.protected	_ZN7rocprim17ROCPRIM_400000_NS6detail17trampoline_kernelINS0_14default_configENS1_20scan_config_selectorIdEEZZNS1_9scan_implILNS1_25lookback_scan_determinismE0ELb1ELb1ES3_N6thrust23THRUST_200600_302600_NS6detail15normal_iteratorINS9_10device_ptrIdEEEESE_dNS9_4plusIvEEdEEDaPvRmT3_T4_T5_mT6_P12ihipStream_tbENKUlT_T0_E_clISt17integral_constantIbLb1EEST_IbLb0EEEEDaSP_SQ_EUlSP_E0_NS1_11comp_targetILNS1_3genE2ELNS1_11target_archE906ELNS1_3gpuE6ELNS1_3repE0EEENS1_30default_config_static_selectorELNS0_4arch9wavefront6targetE1EEEvT1_ ; -- Begin function _ZN7rocprim17ROCPRIM_400000_NS6detail17trampoline_kernelINS0_14default_configENS1_20scan_config_selectorIdEEZZNS1_9scan_implILNS1_25lookback_scan_determinismE0ELb1ELb1ES3_N6thrust23THRUST_200600_302600_NS6detail15normal_iteratorINS9_10device_ptrIdEEEESE_dNS9_4plusIvEEdEEDaPvRmT3_T4_T5_mT6_P12ihipStream_tbENKUlT_T0_E_clISt17integral_constantIbLb1EEST_IbLb0EEEEDaSP_SQ_EUlSP_E0_NS1_11comp_targetILNS1_3genE2ELNS1_11target_archE906ELNS1_3gpuE6ELNS1_3repE0EEENS1_30default_config_static_selectorELNS0_4arch9wavefront6targetE1EEEvT1_
	.globl	_ZN7rocprim17ROCPRIM_400000_NS6detail17trampoline_kernelINS0_14default_configENS1_20scan_config_selectorIdEEZZNS1_9scan_implILNS1_25lookback_scan_determinismE0ELb1ELb1ES3_N6thrust23THRUST_200600_302600_NS6detail15normal_iteratorINS9_10device_ptrIdEEEESE_dNS9_4plusIvEEdEEDaPvRmT3_T4_T5_mT6_P12ihipStream_tbENKUlT_T0_E_clISt17integral_constantIbLb1EEST_IbLb0EEEEDaSP_SQ_EUlSP_E0_NS1_11comp_targetILNS1_3genE2ELNS1_11target_archE906ELNS1_3gpuE6ELNS1_3repE0EEENS1_30default_config_static_selectorELNS0_4arch9wavefront6targetE1EEEvT1_
	.p2align	8
	.type	_ZN7rocprim17ROCPRIM_400000_NS6detail17trampoline_kernelINS0_14default_configENS1_20scan_config_selectorIdEEZZNS1_9scan_implILNS1_25lookback_scan_determinismE0ELb1ELb1ES3_N6thrust23THRUST_200600_302600_NS6detail15normal_iteratorINS9_10device_ptrIdEEEESE_dNS9_4plusIvEEdEEDaPvRmT3_T4_T5_mT6_P12ihipStream_tbENKUlT_T0_E_clISt17integral_constantIbLb1EEST_IbLb0EEEEDaSP_SQ_EUlSP_E0_NS1_11comp_targetILNS1_3genE2ELNS1_11target_archE906ELNS1_3gpuE6ELNS1_3repE0EEENS1_30default_config_static_selectorELNS0_4arch9wavefront6targetE1EEEvT1_,@function
_ZN7rocprim17ROCPRIM_400000_NS6detail17trampoline_kernelINS0_14default_configENS1_20scan_config_selectorIdEEZZNS1_9scan_implILNS1_25lookback_scan_determinismE0ELb1ELb1ES3_N6thrust23THRUST_200600_302600_NS6detail15normal_iteratorINS9_10device_ptrIdEEEESE_dNS9_4plusIvEEdEEDaPvRmT3_T4_T5_mT6_P12ihipStream_tbENKUlT_T0_E_clISt17integral_constantIbLb1EEST_IbLb0EEEEDaSP_SQ_EUlSP_E0_NS1_11comp_targetILNS1_3genE2ELNS1_11target_archE906ELNS1_3gpuE6ELNS1_3repE0EEENS1_30default_config_static_selectorELNS0_4arch9wavefront6targetE1EEEvT1_: ; @_ZN7rocprim17ROCPRIM_400000_NS6detail17trampoline_kernelINS0_14default_configENS1_20scan_config_selectorIdEEZZNS1_9scan_implILNS1_25lookback_scan_determinismE0ELb1ELb1ES3_N6thrust23THRUST_200600_302600_NS6detail15normal_iteratorINS9_10device_ptrIdEEEESE_dNS9_4plusIvEEdEEDaPvRmT3_T4_T5_mT6_P12ihipStream_tbENKUlT_T0_E_clISt17integral_constantIbLb1EEST_IbLb0EEEEDaSP_SQ_EUlSP_E0_NS1_11comp_targetILNS1_3genE2ELNS1_11target_archE906ELNS1_3gpuE6ELNS1_3repE0EEENS1_30default_config_static_selectorELNS0_4arch9wavefront6targetE1EEEvT1_
; %bb.0:
	.section	.rodata,"a",@progbits
	.p2align	6, 0x0
	.amdhsa_kernel _ZN7rocprim17ROCPRIM_400000_NS6detail17trampoline_kernelINS0_14default_configENS1_20scan_config_selectorIdEEZZNS1_9scan_implILNS1_25lookback_scan_determinismE0ELb1ELb1ES3_N6thrust23THRUST_200600_302600_NS6detail15normal_iteratorINS9_10device_ptrIdEEEESE_dNS9_4plusIvEEdEEDaPvRmT3_T4_T5_mT6_P12ihipStream_tbENKUlT_T0_E_clISt17integral_constantIbLb1EEST_IbLb0EEEEDaSP_SQ_EUlSP_E0_NS1_11comp_targetILNS1_3genE2ELNS1_11target_archE906ELNS1_3gpuE6ELNS1_3repE0EEENS1_30default_config_static_selectorELNS0_4arch9wavefront6targetE1EEEvT1_
		.amdhsa_group_segment_fixed_size 0
		.amdhsa_private_segment_fixed_size 0
		.amdhsa_kernarg_size 40
		.amdhsa_user_sgpr_count 6
		.amdhsa_user_sgpr_private_segment_buffer 1
		.amdhsa_user_sgpr_dispatch_ptr 0
		.amdhsa_user_sgpr_queue_ptr 0
		.amdhsa_user_sgpr_kernarg_segment_ptr 1
		.amdhsa_user_sgpr_dispatch_id 0
		.amdhsa_user_sgpr_flat_scratch_init 0
		.amdhsa_user_sgpr_kernarg_preload_length 0
		.amdhsa_user_sgpr_kernarg_preload_offset 0
		.amdhsa_user_sgpr_private_segment_size 0
		.amdhsa_uses_dynamic_stack 0
		.amdhsa_system_sgpr_private_segment_wavefront_offset 0
		.amdhsa_system_sgpr_workgroup_id_x 1
		.amdhsa_system_sgpr_workgroup_id_y 0
		.amdhsa_system_sgpr_workgroup_id_z 0
		.amdhsa_system_sgpr_workgroup_info 0
		.amdhsa_system_vgpr_workitem_id 0
		.amdhsa_next_free_vgpr 1
		.amdhsa_next_free_sgpr 0
		.amdhsa_accum_offset 4
		.amdhsa_reserve_vcc 0
		.amdhsa_reserve_flat_scratch 0
		.amdhsa_float_round_mode_32 0
		.amdhsa_float_round_mode_16_64 0
		.amdhsa_float_denorm_mode_32 3
		.amdhsa_float_denorm_mode_16_64 3
		.amdhsa_dx10_clamp 1
		.amdhsa_ieee_mode 1
		.amdhsa_fp16_overflow 0
		.amdhsa_tg_split 0
		.amdhsa_exception_fp_ieee_invalid_op 0
		.amdhsa_exception_fp_denorm_src 0
		.amdhsa_exception_fp_ieee_div_zero 0
		.amdhsa_exception_fp_ieee_overflow 0
		.amdhsa_exception_fp_ieee_underflow 0
		.amdhsa_exception_fp_ieee_inexact 0
		.amdhsa_exception_int_div_zero 0
	.end_amdhsa_kernel
	.section	.text._ZN7rocprim17ROCPRIM_400000_NS6detail17trampoline_kernelINS0_14default_configENS1_20scan_config_selectorIdEEZZNS1_9scan_implILNS1_25lookback_scan_determinismE0ELb1ELb1ES3_N6thrust23THRUST_200600_302600_NS6detail15normal_iteratorINS9_10device_ptrIdEEEESE_dNS9_4plusIvEEdEEDaPvRmT3_T4_T5_mT6_P12ihipStream_tbENKUlT_T0_E_clISt17integral_constantIbLb1EEST_IbLb0EEEEDaSP_SQ_EUlSP_E0_NS1_11comp_targetILNS1_3genE2ELNS1_11target_archE906ELNS1_3gpuE6ELNS1_3repE0EEENS1_30default_config_static_selectorELNS0_4arch9wavefront6targetE1EEEvT1_,"axG",@progbits,_ZN7rocprim17ROCPRIM_400000_NS6detail17trampoline_kernelINS0_14default_configENS1_20scan_config_selectorIdEEZZNS1_9scan_implILNS1_25lookback_scan_determinismE0ELb1ELb1ES3_N6thrust23THRUST_200600_302600_NS6detail15normal_iteratorINS9_10device_ptrIdEEEESE_dNS9_4plusIvEEdEEDaPvRmT3_T4_T5_mT6_P12ihipStream_tbENKUlT_T0_E_clISt17integral_constantIbLb1EEST_IbLb0EEEEDaSP_SQ_EUlSP_E0_NS1_11comp_targetILNS1_3genE2ELNS1_11target_archE906ELNS1_3gpuE6ELNS1_3repE0EEENS1_30default_config_static_selectorELNS0_4arch9wavefront6targetE1EEEvT1_,comdat
.Lfunc_end4263:
	.size	_ZN7rocprim17ROCPRIM_400000_NS6detail17trampoline_kernelINS0_14default_configENS1_20scan_config_selectorIdEEZZNS1_9scan_implILNS1_25lookback_scan_determinismE0ELb1ELb1ES3_N6thrust23THRUST_200600_302600_NS6detail15normal_iteratorINS9_10device_ptrIdEEEESE_dNS9_4plusIvEEdEEDaPvRmT3_T4_T5_mT6_P12ihipStream_tbENKUlT_T0_E_clISt17integral_constantIbLb1EEST_IbLb0EEEEDaSP_SQ_EUlSP_E0_NS1_11comp_targetILNS1_3genE2ELNS1_11target_archE906ELNS1_3gpuE6ELNS1_3repE0EEENS1_30default_config_static_selectorELNS0_4arch9wavefront6targetE1EEEvT1_, .Lfunc_end4263-_ZN7rocprim17ROCPRIM_400000_NS6detail17trampoline_kernelINS0_14default_configENS1_20scan_config_selectorIdEEZZNS1_9scan_implILNS1_25lookback_scan_determinismE0ELb1ELb1ES3_N6thrust23THRUST_200600_302600_NS6detail15normal_iteratorINS9_10device_ptrIdEEEESE_dNS9_4plusIvEEdEEDaPvRmT3_T4_T5_mT6_P12ihipStream_tbENKUlT_T0_E_clISt17integral_constantIbLb1EEST_IbLb0EEEEDaSP_SQ_EUlSP_E0_NS1_11comp_targetILNS1_3genE2ELNS1_11target_archE906ELNS1_3gpuE6ELNS1_3repE0EEENS1_30default_config_static_selectorELNS0_4arch9wavefront6targetE1EEEvT1_
                                        ; -- End function
	.section	.AMDGPU.csdata,"",@progbits
; Kernel info:
; codeLenInByte = 0
; NumSgprs: 4
; NumVgprs: 0
; NumAgprs: 0
; TotalNumVgprs: 0
; ScratchSize: 0
; MemoryBound: 0
; FloatMode: 240
; IeeeMode: 1
; LDSByteSize: 0 bytes/workgroup (compile time only)
; SGPRBlocks: 0
; VGPRBlocks: 0
; NumSGPRsForWavesPerEU: 4
; NumVGPRsForWavesPerEU: 1
; AccumOffset: 4
; Occupancy: 8
; WaveLimiterHint : 0
; COMPUTE_PGM_RSRC2:SCRATCH_EN: 0
; COMPUTE_PGM_RSRC2:USER_SGPR: 6
; COMPUTE_PGM_RSRC2:TRAP_HANDLER: 0
; COMPUTE_PGM_RSRC2:TGID_X_EN: 1
; COMPUTE_PGM_RSRC2:TGID_Y_EN: 0
; COMPUTE_PGM_RSRC2:TGID_Z_EN: 0
; COMPUTE_PGM_RSRC2:TIDIG_COMP_CNT: 0
; COMPUTE_PGM_RSRC3_GFX90A:ACCUM_OFFSET: 0
; COMPUTE_PGM_RSRC3_GFX90A:TG_SPLIT: 0
	.section	.text._ZN7rocprim17ROCPRIM_400000_NS6detail17trampoline_kernelINS0_14default_configENS1_20scan_config_selectorIdEEZZNS1_9scan_implILNS1_25lookback_scan_determinismE0ELb1ELb1ES3_N6thrust23THRUST_200600_302600_NS6detail15normal_iteratorINS9_10device_ptrIdEEEESE_dNS9_4plusIvEEdEEDaPvRmT3_T4_T5_mT6_P12ihipStream_tbENKUlT_T0_E_clISt17integral_constantIbLb1EEST_IbLb0EEEEDaSP_SQ_EUlSP_E0_NS1_11comp_targetILNS1_3genE10ELNS1_11target_archE1201ELNS1_3gpuE5ELNS1_3repE0EEENS1_30default_config_static_selectorELNS0_4arch9wavefront6targetE1EEEvT1_,"axG",@progbits,_ZN7rocprim17ROCPRIM_400000_NS6detail17trampoline_kernelINS0_14default_configENS1_20scan_config_selectorIdEEZZNS1_9scan_implILNS1_25lookback_scan_determinismE0ELb1ELb1ES3_N6thrust23THRUST_200600_302600_NS6detail15normal_iteratorINS9_10device_ptrIdEEEESE_dNS9_4plusIvEEdEEDaPvRmT3_T4_T5_mT6_P12ihipStream_tbENKUlT_T0_E_clISt17integral_constantIbLb1EEST_IbLb0EEEEDaSP_SQ_EUlSP_E0_NS1_11comp_targetILNS1_3genE10ELNS1_11target_archE1201ELNS1_3gpuE5ELNS1_3repE0EEENS1_30default_config_static_selectorELNS0_4arch9wavefront6targetE1EEEvT1_,comdat
	.protected	_ZN7rocprim17ROCPRIM_400000_NS6detail17trampoline_kernelINS0_14default_configENS1_20scan_config_selectorIdEEZZNS1_9scan_implILNS1_25lookback_scan_determinismE0ELb1ELb1ES3_N6thrust23THRUST_200600_302600_NS6detail15normal_iteratorINS9_10device_ptrIdEEEESE_dNS9_4plusIvEEdEEDaPvRmT3_T4_T5_mT6_P12ihipStream_tbENKUlT_T0_E_clISt17integral_constantIbLb1EEST_IbLb0EEEEDaSP_SQ_EUlSP_E0_NS1_11comp_targetILNS1_3genE10ELNS1_11target_archE1201ELNS1_3gpuE5ELNS1_3repE0EEENS1_30default_config_static_selectorELNS0_4arch9wavefront6targetE1EEEvT1_ ; -- Begin function _ZN7rocprim17ROCPRIM_400000_NS6detail17trampoline_kernelINS0_14default_configENS1_20scan_config_selectorIdEEZZNS1_9scan_implILNS1_25lookback_scan_determinismE0ELb1ELb1ES3_N6thrust23THRUST_200600_302600_NS6detail15normal_iteratorINS9_10device_ptrIdEEEESE_dNS9_4plusIvEEdEEDaPvRmT3_T4_T5_mT6_P12ihipStream_tbENKUlT_T0_E_clISt17integral_constantIbLb1EEST_IbLb0EEEEDaSP_SQ_EUlSP_E0_NS1_11comp_targetILNS1_3genE10ELNS1_11target_archE1201ELNS1_3gpuE5ELNS1_3repE0EEENS1_30default_config_static_selectorELNS0_4arch9wavefront6targetE1EEEvT1_
	.globl	_ZN7rocprim17ROCPRIM_400000_NS6detail17trampoline_kernelINS0_14default_configENS1_20scan_config_selectorIdEEZZNS1_9scan_implILNS1_25lookback_scan_determinismE0ELb1ELb1ES3_N6thrust23THRUST_200600_302600_NS6detail15normal_iteratorINS9_10device_ptrIdEEEESE_dNS9_4plusIvEEdEEDaPvRmT3_T4_T5_mT6_P12ihipStream_tbENKUlT_T0_E_clISt17integral_constantIbLb1EEST_IbLb0EEEEDaSP_SQ_EUlSP_E0_NS1_11comp_targetILNS1_3genE10ELNS1_11target_archE1201ELNS1_3gpuE5ELNS1_3repE0EEENS1_30default_config_static_selectorELNS0_4arch9wavefront6targetE1EEEvT1_
	.p2align	8
	.type	_ZN7rocprim17ROCPRIM_400000_NS6detail17trampoline_kernelINS0_14default_configENS1_20scan_config_selectorIdEEZZNS1_9scan_implILNS1_25lookback_scan_determinismE0ELb1ELb1ES3_N6thrust23THRUST_200600_302600_NS6detail15normal_iteratorINS9_10device_ptrIdEEEESE_dNS9_4plusIvEEdEEDaPvRmT3_T4_T5_mT6_P12ihipStream_tbENKUlT_T0_E_clISt17integral_constantIbLb1EEST_IbLb0EEEEDaSP_SQ_EUlSP_E0_NS1_11comp_targetILNS1_3genE10ELNS1_11target_archE1201ELNS1_3gpuE5ELNS1_3repE0EEENS1_30default_config_static_selectorELNS0_4arch9wavefront6targetE1EEEvT1_,@function
_ZN7rocprim17ROCPRIM_400000_NS6detail17trampoline_kernelINS0_14default_configENS1_20scan_config_selectorIdEEZZNS1_9scan_implILNS1_25lookback_scan_determinismE0ELb1ELb1ES3_N6thrust23THRUST_200600_302600_NS6detail15normal_iteratorINS9_10device_ptrIdEEEESE_dNS9_4plusIvEEdEEDaPvRmT3_T4_T5_mT6_P12ihipStream_tbENKUlT_T0_E_clISt17integral_constantIbLb1EEST_IbLb0EEEEDaSP_SQ_EUlSP_E0_NS1_11comp_targetILNS1_3genE10ELNS1_11target_archE1201ELNS1_3gpuE5ELNS1_3repE0EEENS1_30default_config_static_selectorELNS0_4arch9wavefront6targetE1EEEvT1_: ; @_ZN7rocprim17ROCPRIM_400000_NS6detail17trampoline_kernelINS0_14default_configENS1_20scan_config_selectorIdEEZZNS1_9scan_implILNS1_25lookback_scan_determinismE0ELb1ELb1ES3_N6thrust23THRUST_200600_302600_NS6detail15normal_iteratorINS9_10device_ptrIdEEEESE_dNS9_4plusIvEEdEEDaPvRmT3_T4_T5_mT6_P12ihipStream_tbENKUlT_T0_E_clISt17integral_constantIbLb1EEST_IbLb0EEEEDaSP_SQ_EUlSP_E0_NS1_11comp_targetILNS1_3genE10ELNS1_11target_archE1201ELNS1_3gpuE5ELNS1_3repE0EEENS1_30default_config_static_selectorELNS0_4arch9wavefront6targetE1EEEvT1_
; %bb.0:
	.section	.rodata,"a",@progbits
	.p2align	6, 0x0
	.amdhsa_kernel _ZN7rocprim17ROCPRIM_400000_NS6detail17trampoline_kernelINS0_14default_configENS1_20scan_config_selectorIdEEZZNS1_9scan_implILNS1_25lookback_scan_determinismE0ELb1ELb1ES3_N6thrust23THRUST_200600_302600_NS6detail15normal_iteratorINS9_10device_ptrIdEEEESE_dNS9_4plusIvEEdEEDaPvRmT3_T4_T5_mT6_P12ihipStream_tbENKUlT_T0_E_clISt17integral_constantIbLb1EEST_IbLb0EEEEDaSP_SQ_EUlSP_E0_NS1_11comp_targetILNS1_3genE10ELNS1_11target_archE1201ELNS1_3gpuE5ELNS1_3repE0EEENS1_30default_config_static_selectorELNS0_4arch9wavefront6targetE1EEEvT1_
		.amdhsa_group_segment_fixed_size 0
		.amdhsa_private_segment_fixed_size 0
		.amdhsa_kernarg_size 40
		.amdhsa_user_sgpr_count 6
		.amdhsa_user_sgpr_private_segment_buffer 1
		.amdhsa_user_sgpr_dispatch_ptr 0
		.amdhsa_user_sgpr_queue_ptr 0
		.amdhsa_user_sgpr_kernarg_segment_ptr 1
		.amdhsa_user_sgpr_dispatch_id 0
		.amdhsa_user_sgpr_flat_scratch_init 0
		.amdhsa_user_sgpr_kernarg_preload_length 0
		.amdhsa_user_sgpr_kernarg_preload_offset 0
		.amdhsa_user_sgpr_private_segment_size 0
		.amdhsa_uses_dynamic_stack 0
		.amdhsa_system_sgpr_private_segment_wavefront_offset 0
		.amdhsa_system_sgpr_workgroup_id_x 1
		.amdhsa_system_sgpr_workgroup_id_y 0
		.amdhsa_system_sgpr_workgroup_id_z 0
		.amdhsa_system_sgpr_workgroup_info 0
		.amdhsa_system_vgpr_workitem_id 0
		.amdhsa_next_free_vgpr 1
		.amdhsa_next_free_sgpr 0
		.amdhsa_accum_offset 4
		.amdhsa_reserve_vcc 0
		.amdhsa_reserve_flat_scratch 0
		.amdhsa_float_round_mode_32 0
		.amdhsa_float_round_mode_16_64 0
		.amdhsa_float_denorm_mode_32 3
		.amdhsa_float_denorm_mode_16_64 3
		.amdhsa_dx10_clamp 1
		.amdhsa_ieee_mode 1
		.amdhsa_fp16_overflow 0
		.amdhsa_tg_split 0
		.amdhsa_exception_fp_ieee_invalid_op 0
		.amdhsa_exception_fp_denorm_src 0
		.amdhsa_exception_fp_ieee_div_zero 0
		.amdhsa_exception_fp_ieee_overflow 0
		.amdhsa_exception_fp_ieee_underflow 0
		.amdhsa_exception_fp_ieee_inexact 0
		.amdhsa_exception_int_div_zero 0
	.end_amdhsa_kernel
	.section	.text._ZN7rocprim17ROCPRIM_400000_NS6detail17trampoline_kernelINS0_14default_configENS1_20scan_config_selectorIdEEZZNS1_9scan_implILNS1_25lookback_scan_determinismE0ELb1ELb1ES3_N6thrust23THRUST_200600_302600_NS6detail15normal_iteratorINS9_10device_ptrIdEEEESE_dNS9_4plusIvEEdEEDaPvRmT3_T4_T5_mT6_P12ihipStream_tbENKUlT_T0_E_clISt17integral_constantIbLb1EEST_IbLb0EEEEDaSP_SQ_EUlSP_E0_NS1_11comp_targetILNS1_3genE10ELNS1_11target_archE1201ELNS1_3gpuE5ELNS1_3repE0EEENS1_30default_config_static_selectorELNS0_4arch9wavefront6targetE1EEEvT1_,"axG",@progbits,_ZN7rocprim17ROCPRIM_400000_NS6detail17trampoline_kernelINS0_14default_configENS1_20scan_config_selectorIdEEZZNS1_9scan_implILNS1_25lookback_scan_determinismE0ELb1ELb1ES3_N6thrust23THRUST_200600_302600_NS6detail15normal_iteratorINS9_10device_ptrIdEEEESE_dNS9_4plusIvEEdEEDaPvRmT3_T4_T5_mT6_P12ihipStream_tbENKUlT_T0_E_clISt17integral_constantIbLb1EEST_IbLb0EEEEDaSP_SQ_EUlSP_E0_NS1_11comp_targetILNS1_3genE10ELNS1_11target_archE1201ELNS1_3gpuE5ELNS1_3repE0EEENS1_30default_config_static_selectorELNS0_4arch9wavefront6targetE1EEEvT1_,comdat
.Lfunc_end4264:
	.size	_ZN7rocprim17ROCPRIM_400000_NS6detail17trampoline_kernelINS0_14default_configENS1_20scan_config_selectorIdEEZZNS1_9scan_implILNS1_25lookback_scan_determinismE0ELb1ELb1ES3_N6thrust23THRUST_200600_302600_NS6detail15normal_iteratorINS9_10device_ptrIdEEEESE_dNS9_4plusIvEEdEEDaPvRmT3_T4_T5_mT6_P12ihipStream_tbENKUlT_T0_E_clISt17integral_constantIbLb1EEST_IbLb0EEEEDaSP_SQ_EUlSP_E0_NS1_11comp_targetILNS1_3genE10ELNS1_11target_archE1201ELNS1_3gpuE5ELNS1_3repE0EEENS1_30default_config_static_selectorELNS0_4arch9wavefront6targetE1EEEvT1_, .Lfunc_end4264-_ZN7rocprim17ROCPRIM_400000_NS6detail17trampoline_kernelINS0_14default_configENS1_20scan_config_selectorIdEEZZNS1_9scan_implILNS1_25lookback_scan_determinismE0ELb1ELb1ES3_N6thrust23THRUST_200600_302600_NS6detail15normal_iteratorINS9_10device_ptrIdEEEESE_dNS9_4plusIvEEdEEDaPvRmT3_T4_T5_mT6_P12ihipStream_tbENKUlT_T0_E_clISt17integral_constantIbLb1EEST_IbLb0EEEEDaSP_SQ_EUlSP_E0_NS1_11comp_targetILNS1_3genE10ELNS1_11target_archE1201ELNS1_3gpuE5ELNS1_3repE0EEENS1_30default_config_static_selectorELNS0_4arch9wavefront6targetE1EEEvT1_
                                        ; -- End function
	.section	.AMDGPU.csdata,"",@progbits
; Kernel info:
; codeLenInByte = 0
; NumSgprs: 4
; NumVgprs: 0
; NumAgprs: 0
; TotalNumVgprs: 0
; ScratchSize: 0
; MemoryBound: 0
; FloatMode: 240
; IeeeMode: 1
; LDSByteSize: 0 bytes/workgroup (compile time only)
; SGPRBlocks: 0
; VGPRBlocks: 0
; NumSGPRsForWavesPerEU: 4
; NumVGPRsForWavesPerEU: 1
; AccumOffset: 4
; Occupancy: 8
; WaveLimiterHint : 0
; COMPUTE_PGM_RSRC2:SCRATCH_EN: 0
; COMPUTE_PGM_RSRC2:USER_SGPR: 6
; COMPUTE_PGM_RSRC2:TRAP_HANDLER: 0
; COMPUTE_PGM_RSRC2:TGID_X_EN: 1
; COMPUTE_PGM_RSRC2:TGID_Y_EN: 0
; COMPUTE_PGM_RSRC2:TGID_Z_EN: 0
; COMPUTE_PGM_RSRC2:TIDIG_COMP_CNT: 0
; COMPUTE_PGM_RSRC3_GFX90A:ACCUM_OFFSET: 0
; COMPUTE_PGM_RSRC3_GFX90A:TG_SPLIT: 0
	.section	.text._ZN7rocprim17ROCPRIM_400000_NS6detail17trampoline_kernelINS0_14default_configENS1_20scan_config_selectorIdEEZZNS1_9scan_implILNS1_25lookback_scan_determinismE0ELb1ELb1ES3_N6thrust23THRUST_200600_302600_NS6detail15normal_iteratorINS9_10device_ptrIdEEEESE_dNS9_4plusIvEEdEEDaPvRmT3_T4_T5_mT6_P12ihipStream_tbENKUlT_T0_E_clISt17integral_constantIbLb1EEST_IbLb0EEEEDaSP_SQ_EUlSP_E0_NS1_11comp_targetILNS1_3genE10ELNS1_11target_archE1200ELNS1_3gpuE4ELNS1_3repE0EEENS1_30default_config_static_selectorELNS0_4arch9wavefront6targetE1EEEvT1_,"axG",@progbits,_ZN7rocprim17ROCPRIM_400000_NS6detail17trampoline_kernelINS0_14default_configENS1_20scan_config_selectorIdEEZZNS1_9scan_implILNS1_25lookback_scan_determinismE0ELb1ELb1ES3_N6thrust23THRUST_200600_302600_NS6detail15normal_iteratorINS9_10device_ptrIdEEEESE_dNS9_4plusIvEEdEEDaPvRmT3_T4_T5_mT6_P12ihipStream_tbENKUlT_T0_E_clISt17integral_constantIbLb1EEST_IbLb0EEEEDaSP_SQ_EUlSP_E0_NS1_11comp_targetILNS1_3genE10ELNS1_11target_archE1200ELNS1_3gpuE4ELNS1_3repE0EEENS1_30default_config_static_selectorELNS0_4arch9wavefront6targetE1EEEvT1_,comdat
	.protected	_ZN7rocprim17ROCPRIM_400000_NS6detail17trampoline_kernelINS0_14default_configENS1_20scan_config_selectorIdEEZZNS1_9scan_implILNS1_25lookback_scan_determinismE0ELb1ELb1ES3_N6thrust23THRUST_200600_302600_NS6detail15normal_iteratorINS9_10device_ptrIdEEEESE_dNS9_4plusIvEEdEEDaPvRmT3_T4_T5_mT6_P12ihipStream_tbENKUlT_T0_E_clISt17integral_constantIbLb1EEST_IbLb0EEEEDaSP_SQ_EUlSP_E0_NS1_11comp_targetILNS1_3genE10ELNS1_11target_archE1200ELNS1_3gpuE4ELNS1_3repE0EEENS1_30default_config_static_selectorELNS0_4arch9wavefront6targetE1EEEvT1_ ; -- Begin function _ZN7rocprim17ROCPRIM_400000_NS6detail17trampoline_kernelINS0_14default_configENS1_20scan_config_selectorIdEEZZNS1_9scan_implILNS1_25lookback_scan_determinismE0ELb1ELb1ES3_N6thrust23THRUST_200600_302600_NS6detail15normal_iteratorINS9_10device_ptrIdEEEESE_dNS9_4plusIvEEdEEDaPvRmT3_T4_T5_mT6_P12ihipStream_tbENKUlT_T0_E_clISt17integral_constantIbLb1EEST_IbLb0EEEEDaSP_SQ_EUlSP_E0_NS1_11comp_targetILNS1_3genE10ELNS1_11target_archE1200ELNS1_3gpuE4ELNS1_3repE0EEENS1_30default_config_static_selectorELNS0_4arch9wavefront6targetE1EEEvT1_
	.globl	_ZN7rocprim17ROCPRIM_400000_NS6detail17trampoline_kernelINS0_14default_configENS1_20scan_config_selectorIdEEZZNS1_9scan_implILNS1_25lookback_scan_determinismE0ELb1ELb1ES3_N6thrust23THRUST_200600_302600_NS6detail15normal_iteratorINS9_10device_ptrIdEEEESE_dNS9_4plusIvEEdEEDaPvRmT3_T4_T5_mT6_P12ihipStream_tbENKUlT_T0_E_clISt17integral_constantIbLb1EEST_IbLb0EEEEDaSP_SQ_EUlSP_E0_NS1_11comp_targetILNS1_3genE10ELNS1_11target_archE1200ELNS1_3gpuE4ELNS1_3repE0EEENS1_30default_config_static_selectorELNS0_4arch9wavefront6targetE1EEEvT1_
	.p2align	8
	.type	_ZN7rocprim17ROCPRIM_400000_NS6detail17trampoline_kernelINS0_14default_configENS1_20scan_config_selectorIdEEZZNS1_9scan_implILNS1_25lookback_scan_determinismE0ELb1ELb1ES3_N6thrust23THRUST_200600_302600_NS6detail15normal_iteratorINS9_10device_ptrIdEEEESE_dNS9_4plusIvEEdEEDaPvRmT3_T4_T5_mT6_P12ihipStream_tbENKUlT_T0_E_clISt17integral_constantIbLb1EEST_IbLb0EEEEDaSP_SQ_EUlSP_E0_NS1_11comp_targetILNS1_3genE10ELNS1_11target_archE1200ELNS1_3gpuE4ELNS1_3repE0EEENS1_30default_config_static_selectorELNS0_4arch9wavefront6targetE1EEEvT1_,@function
_ZN7rocprim17ROCPRIM_400000_NS6detail17trampoline_kernelINS0_14default_configENS1_20scan_config_selectorIdEEZZNS1_9scan_implILNS1_25lookback_scan_determinismE0ELb1ELb1ES3_N6thrust23THRUST_200600_302600_NS6detail15normal_iteratorINS9_10device_ptrIdEEEESE_dNS9_4plusIvEEdEEDaPvRmT3_T4_T5_mT6_P12ihipStream_tbENKUlT_T0_E_clISt17integral_constantIbLb1EEST_IbLb0EEEEDaSP_SQ_EUlSP_E0_NS1_11comp_targetILNS1_3genE10ELNS1_11target_archE1200ELNS1_3gpuE4ELNS1_3repE0EEENS1_30default_config_static_selectorELNS0_4arch9wavefront6targetE1EEEvT1_: ; @_ZN7rocprim17ROCPRIM_400000_NS6detail17trampoline_kernelINS0_14default_configENS1_20scan_config_selectorIdEEZZNS1_9scan_implILNS1_25lookback_scan_determinismE0ELb1ELb1ES3_N6thrust23THRUST_200600_302600_NS6detail15normal_iteratorINS9_10device_ptrIdEEEESE_dNS9_4plusIvEEdEEDaPvRmT3_T4_T5_mT6_P12ihipStream_tbENKUlT_T0_E_clISt17integral_constantIbLb1EEST_IbLb0EEEEDaSP_SQ_EUlSP_E0_NS1_11comp_targetILNS1_3genE10ELNS1_11target_archE1200ELNS1_3gpuE4ELNS1_3repE0EEENS1_30default_config_static_selectorELNS0_4arch9wavefront6targetE1EEEvT1_
; %bb.0:
	.section	.rodata,"a",@progbits
	.p2align	6, 0x0
	.amdhsa_kernel _ZN7rocprim17ROCPRIM_400000_NS6detail17trampoline_kernelINS0_14default_configENS1_20scan_config_selectorIdEEZZNS1_9scan_implILNS1_25lookback_scan_determinismE0ELb1ELb1ES3_N6thrust23THRUST_200600_302600_NS6detail15normal_iteratorINS9_10device_ptrIdEEEESE_dNS9_4plusIvEEdEEDaPvRmT3_T4_T5_mT6_P12ihipStream_tbENKUlT_T0_E_clISt17integral_constantIbLb1EEST_IbLb0EEEEDaSP_SQ_EUlSP_E0_NS1_11comp_targetILNS1_3genE10ELNS1_11target_archE1200ELNS1_3gpuE4ELNS1_3repE0EEENS1_30default_config_static_selectorELNS0_4arch9wavefront6targetE1EEEvT1_
		.amdhsa_group_segment_fixed_size 0
		.amdhsa_private_segment_fixed_size 0
		.amdhsa_kernarg_size 40
		.amdhsa_user_sgpr_count 6
		.amdhsa_user_sgpr_private_segment_buffer 1
		.amdhsa_user_sgpr_dispatch_ptr 0
		.amdhsa_user_sgpr_queue_ptr 0
		.amdhsa_user_sgpr_kernarg_segment_ptr 1
		.amdhsa_user_sgpr_dispatch_id 0
		.amdhsa_user_sgpr_flat_scratch_init 0
		.amdhsa_user_sgpr_kernarg_preload_length 0
		.amdhsa_user_sgpr_kernarg_preload_offset 0
		.amdhsa_user_sgpr_private_segment_size 0
		.amdhsa_uses_dynamic_stack 0
		.amdhsa_system_sgpr_private_segment_wavefront_offset 0
		.amdhsa_system_sgpr_workgroup_id_x 1
		.amdhsa_system_sgpr_workgroup_id_y 0
		.amdhsa_system_sgpr_workgroup_id_z 0
		.amdhsa_system_sgpr_workgroup_info 0
		.amdhsa_system_vgpr_workitem_id 0
		.amdhsa_next_free_vgpr 1
		.amdhsa_next_free_sgpr 0
		.amdhsa_accum_offset 4
		.amdhsa_reserve_vcc 0
		.amdhsa_reserve_flat_scratch 0
		.amdhsa_float_round_mode_32 0
		.amdhsa_float_round_mode_16_64 0
		.amdhsa_float_denorm_mode_32 3
		.amdhsa_float_denorm_mode_16_64 3
		.amdhsa_dx10_clamp 1
		.amdhsa_ieee_mode 1
		.amdhsa_fp16_overflow 0
		.amdhsa_tg_split 0
		.amdhsa_exception_fp_ieee_invalid_op 0
		.amdhsa_exception_fp_denorm_src 0
		.amdhsa_exception_fp_ieee_div_zero 0
		.amdhsa_exception_fp_ieee_overflow 0
		.amdhsa_exception_fp_ieee_underflow 0
		.amdhsa_exception_fp_ieee_inexact 0
		.amdhsa_exception_int_div_zero 0
	.end_amdhsa_kernel
	.section	.text._ZN7rocprim17ROCPRIM_400000_NS6detail17trampoline_kernelINS0_14default_configENS1_20scan_config_selectorIdEEZZNS1_9scan_implILNS1_25lookback_scan_determinismE0ELb1ELb1ES3_N6thrust23THRUST_200600_302600_NS6detail15normal_iteratorINS9_10device_ptrIdEEEESE_dNS9_4plusIvEEdEEDaPvRmT3_T4_T5_mT6_P12ihipStream_tbENKUlT_T0_E_clISt17integral_constantIbLb1EEST_IbLb0EEEEDaSP_SQ_EUlSP_E0_NS1_11comp_targetILNS1_3genE10ELNS1_11target_archE1200ELNS1_3gpuE4ELNS1_3repE0EEENS1_30default_config_static_selectorELNS0_4arch9wavefront6targetE1EEEvT1_,"axG",@progbits,_ZN7rocprim17ROCPRIM_400000_NS6detail17trampoline_kernelINS0_14default_configENS1_20scan_config_selectorIdEEZZNS1_9scan_implILNS1_25lookback_scan_determinismE0ELb1ELb1ES3_N6thrust23THRUST_200600_302600_NS6detail15normal_iteratorINS9_10device_ptrIdEEEESE_dNS9_4plusIvEEdEEDaPvRmT3_T4_T5_mT6_P12ihipStream_tbENKUlT_T0_E_clISt17integral_constantIbLb1EEST_IbLb0EEEEDaSP_SQ_EUlSP_E0_NS1_11comp_targetILNS1_3genE10ELNS1_11target_archE1200ELNS1_3gpuE4ELNS1_3repE0EEENS1_30default_config_static_selectorELNS0_4arch9wavefront6targetE1EEEvT1_,comdat
.Lfunc_end4265:
	.size	_ZN7rocprim17ROCPRIM_400000_NS6detail17trampoline_kernelINS0_14default_configENS1_20scan_config_selectorIdEEZZNS1_9scan_implILNS1_25lookback_scan_determinismE0ELb1ELb1ES3_N6thrust23THRUST_200600_302600_NS6detail15normal_iteratorINS9_10device_ptrIdEEEESE_dNS9_4plusIvEEdEEDaPvRmT3_T4_T5_mT6_P12ihipStream_tbENKUlT_T0_E_clISt17integral_constantIbLb1EEST_IbLb0EEEEDaSP_SQ_EUlSP_E0_NS1_11comp_targetILNS1_3genE10ELNS1_11target_archE1200ELNS1_3gpuE4ELNS1_3repE0EEENS1_30default_config_static_selectorELNS0_4arch9wavefront6targetE1EEEvT1_, .Lfunc_end4265-_ZN7rocprim17ROCPRIM_400000_NS6detail17trampoline_kernelINS0_14default_configENS1_20scan_config_selectorIdEEZZNS1_9scan_implILNS1_25lookback_scan_determinismE0ELb1ELb1ES3_N6thrust23THRUST_200600_302600_NS6detail15normal_iteratorINS9_10device_ptrIdEEEESE_dNS9_4plusIvEEdEEDaPvRmT3_T4_T5_mT6_P12ihipStream_tbENKUlT_T0_E_clISt17integral_constantIbLb1EEST_IbLb0EEEEDaSP_SQ_EUlSP_E0_NS1_11comp_targetILNS1_3genE10ELNS1_11target_archE1200ELNS1_3gpuE4ELNS1_3repE0EEENS1_30default_config_static_selectorELNS0_4arch9wavefront6targetE1EEEvT1_
                                        ; -- End function
	.section	.AMDGPU.csdata,"",@progbits
; Kernel info:
; codeLenInByte = 0
; NumSgprs: 4
; NumVgprs: 0
; NumAgprs: 0
; TotalNumVgprs: 0
; ScratchSize: 0
; MemoryBound: 0
; FloatMode: 240
; IeeeMode: 1
; LDSByteSize: 0 bytes/workgroup (compile time only)
; SGPRBlocks: 0
; VGPRBlocks: 0
; NumSGPRsForWavesPerEU: 4
; NumVGPRsForWavesPerEU: 1
; AccumOffset: 4
; Occupancy: 8
; WaveLimiterHint : 0
; COMPUTE_PGM_RSRC2:SCRATCH_EN: 0
; COMPUTE_PGM_RSRC2:USER_SGPR: 6
; COMPUTE_PGM_RSRC2:TRAP_HANDLER: 0
; COMPUTE_PGM_RSRC2:TGID_X_EN: 1
; COMPUTE_PGM_RSRC2:TGID_Y_EN: 0
; COMPUTE_PGM_RSRC2:TGID_Z_EN: 0
; COMPUTE_PGM_RSRC2:TIDIG_COMP_CNT: 0
; COMPUTE_PGM_RSRC3_GFX90A:ACCUM_OFFSET: 0
; COMPUTE_PGM_RSRC3_GFX90A:TG_SPLIT: 0
	.section	.text._ZN7rocprim17ROCPRIM_400000_NS6detail17trampoline_kernelINS0_14default_configENS1_20scan_config_selectorIdEEZZNS1_9scan_implILNS1_25lookback_scan_determinismE0ELb1ELb1ES3_N6thrust23THRUST_200600_302600_NS6detail15normal_iteratorINS9_10device_ptrIdEEEESE_dNS9_4plusIvEEdEEDaPvRmT3_T4_T5_mT6_P12ihipStream_tbENKUlT_T0_E_clISt17integral_constantIbLb1EEST_IbLb0EEEEDaSP_SQ_EUlSP_E0_NS1_11comp_targetILNS1_3genE9ELNS1_11target_archE1100ELNS1_3gpuE3ELNS1_3repE0EEENS1_30default_config_static_selectorELNS0_4arch9wavefront6targetE1EEEvT1_,"axG",@progbits,_ZN7rocprim17ROCPRIM_400000_NS6detail17trampoline_kernelINS0_14default_configENS1_20scan_config_selectorIdEEZZNS1_9scan_implILNS1_25lookback_scan_determinismE0ELb1ELb1ES3_N6thrust23THRUST_200600_302600_NS6detail15normal_iteratorINS9_10device_ptrIdEEEESE_dNS9_4plusIvEEdEEDaPvRmT3_T4_T5_mT6_P12ihipStream_tbENKUlT_T0_E_clISt17integral_constantIbLb1EEST_IbLb0EEEEDaSP_SQ_EUlSP_E0_NS1_11comp_targetILNS1_3genE9ELNS1_11target_archE1100ELNS1_3gpuE3ELNS1_3repE0EEENS1_30default_config_static_selectorELNS0_4arch9wavefront6targetE1EEEvT1_,comdat
	.protected	_ZN7rocprim17ROCPRIM_400000_NS6detail17trampoline_kernelINS0_14default_configENS1_20scan_config_selectorIdEEZZNS1_9scan_implILNS1_25lookback_scan_determinismE0ELb1ELb1ES3_N6thrust23THRUST_200600_302600_NS6detail15normal_iteratorINS9_10device_ptrIdEEEESE_dNS9_4plusIvEEdEEDaPvRmT3_T4_T5_mT6_P12ihipStream_tbENKUlT_T0_E_clISt17integral_constantIbLb1EEST_IbLb0EEEEDaSP_SQ_EUlSP_E0_NS1_11comp_targetILNS1_3genE9ELNS1_11target_archE1100ELNS1_3gpuE3ELNS1_3repE0EEENS1_30default_config_static_selectorELNS0_4arch9wavefront6targetE1EEEvT1_ ; -- Begin function _ZN7rocprim17ROCPRIM_400000_NS6detail17trampoline_kernelINS0_14default_configENS1_20scan_config_selectorIdEEZZNS1_9scan_implILNS1_25lookback_scan_determinismE0ELb1ELb1ES3_N6thrust23THRUST_200600_302600_NS6detail15normal_iteratorINS9_10device_ptrIdEEEESE_dNS9_4plusIvEEdEEDaPvRmT3_T4_T5_mT6_P12ihipStream_tbENKUlT_T0_E_clISt17integral_constantIbLb1EEST_IbLb0EEEEDaSP_SQ_EUlSP_E0_NS1_11comp_targetILNS1_3genE9ELNS1_11target_archE1100ELNS1_3gpuE3ELNS1_3repE0EEENS1_30default_config_static_selectorELNS0_4arch9wavefront6targetE1EEEvT1_
	.globl	_ZN7rocprim17ROCPRIM_400000_NS6detail17trampoline_kernelINS0_14default_configENS1_20scan_config_selectorIdEEZZNS1_9scan_implILNS1_25lookback_scan_determinismE0ELb1ELb1ES3_N6thrust23THRUST_200600_302600_NS6detail15normal_iteratorINS9_10device_ptrIdEEEESE_dNS9_4plusIvEEdEEDaPvRmT3_T4_T5_mT6_P12ihipStream_tbENKUlT_T0_E_clISt17integral_constantIbLb1EEST_IbLb0EEEEDaSP_SQ_EUlSP_E0_NS1_11comp_targetILNS1_3genE9ELNS1_11target_archE1100ELNS1_3gpuE3ELNS1_3repE0EEENS1_30default_config_static_selectorELNS0_4arch9wavefront6targetE1EEEvT1_
	.p2align	8
	.type	_ZN7rocprim17ROCPRIM_400000_NS6detail17trampoline_kernelINS0_14default_configENS1_20scan_config_selectorIdEEZZNS1_9scan_implILNS1_25lookback_scan_determinismE0ELb1ELb1ES3_N6thrust23THRUST_200600_302600_NS6detail15normal_iteratorINS9_10device_ptrIdEEEESE_dNS9_4plusIvEEdEEDaPvRmT3_T4_T5_mT6_P12ihipStream_tbENKUlT_T0_E_clISt17integral_constantIbLb1EEST_IbLb0EEEEDaSP_SQ_EUlSP_E0_NS1_11comp_targetILNS1_3genE9ELNS1_11target_archE1100ELNS1_3gpuE3ELNS1_3repE0EEENS1_30default_config_static_selectorELNS0_4arch9wavefront6targetE1EEEvT1_,@function
_ZN7rocprim17ROCPRIM_400000_NS6detail17trampoline_kernelINS0_14default_configENS1_20scan_config_selectorIdEEZZNS1_9scan_implILNS1_25lookback_scan_determinismE0ELb1ELb1ES3_N6thrust23THRUST_200600_302600_NS6detail15normal_iteratorINS9_10device_ptrIdEEEESE_dNS9_4plusIvEEdEEDaPvRmT3_T4_T5_mT6_P12ihipStream_tbENKUlT_T0_E_clISt17integral_constantIbLb1EEST_IbLb0EEEEDaSP_SQ_EUlSP_E0_NS1_11comp_targetILNS1_3genE9ELNS1_11target_archE1100ELNS1_3gpuE3ELNS1_3repE0EEENS1_30default_config_static_selectorELNS0_4arch9wavefront6targetE1EEEvT1_: ; @_ZN7rocprim17ROCPRIM_400000_NS6detail17trampoline_kernelINS0_14default_configENS1_20scan_config_selectorIdEEZZNS1_9scan_implILNS1_25lookback_scan_determinismE0ELb1ELb1ES3_N6thrust23THRUST_200600_302600_NS6detail15normal_iteratorINS9_10device_ptrIdEEEESE_dNS9_4plusIvEEdEEDaPvRmT3_T4_T5_mT6_P12ihipStream_tbENKUlT_T0_E_clISt17integral_constantIbLb1EEST_IbLb0EEEEDaSP_SQ_EUlSP_E0_NS1_11comp_targetILNS1_3genE9ELNS1_11target_archE1100ELNS1_3gpuE3ELNS1_3repE0EEENS1_30default_config_static_selectorELNS0_4arch9wavefront6targetE1EEEvT1_
; %bb.0:
	.section	.rodata,"a",@progbits
	.p2align	6, 0x0
	.amdhsa_kernel _ZN7rocprim17ROCPRIM_400000_NS6detail17trampoline_kernelINS0_14default_configENS1_20scan_config_selectorIdEEZZNS1_9scan_implILNS1_25lookback_scan_determinismE0ELb1ELb1ES3_N6thrust23THRUST_200600_302600_NS6detail15normal_iteratorINS9_10device_ptrIdEEEESE_dNS9_4plusIvEEdEEDaPvRmT3_T4_T5_mT6_P12ihipStream_tbENKUlT_T0_E_clISt17integral_constantIbLb1EEST_IbLb0EEEEDaSP_SQ_EUlSP_E0_NS1_11comp_targetILNS1_3genE9ELNS1_11target_archE1100ELNS1_3gpuE3ELNS1_3repE0EEENS1_30default_config_static_selectorELNS0_4arch9wavefront6targetE1EEEvT1_
		.amdhsa_group_segment_fixed_size 0
		.amdhsa_private_segment_fixed_size 0
		.amdhsa_kernarg_size 40
		.amdhsa_user_sgpr_count 6
		.amdhsa_user_sgpr_private_segment_buffer 1
		.amdhsa_user_sgpr_dispatch_ptr 0
		.amdhsa_user_sgpr_queue_ptr 0
		.amdhsa_user_sgpr_kernarg_segment_ptr 1
		.amdhsa_user_sgpr_dispatch_id 0
		.amdhsa_user_sgpr_flat_scratch_init 0
		.amdhsa_user_sgpr_kernarg_preload_length 0
		.amdhsa_user_sgpr_kernarg_preload_offset 0
		.amdhsa_user_sgpr_private_segment_size 0
		.amdhsa_uses_dynamic_stack 0
		.amdhsa_system_sgpr_private_segment_wavefront_offset 0
		.amdhsa_system_sgpr_workgroup_id_x 1
		.amdhsa_system_sgpr_workgroup_id_y 0
		.amdhsa_system_sgpr_workgroup_id_z 0
		.amdhsa_system_sgpr_workgroup_info 0
		.amdhsa_system_vgpr_workitem_id 0
		.amdhsa_next_free_vgpr 1
		.amdhsa_next_free_sgpr 0
		.amdhsa_accum_offset 4
		.amdhsa_reserve_vcc 0
		.amdhsa_reserve_flat_scratch 0
		.amdhsa_float_round_mode_32 0
		.amdhsa_float_round_mode_16_64 0
		.amdhsa_float_denorm_mode_32 3
		.amdhsa_float_denorm_mode_16_64 3
		.amdhsa_dx10_clamp 1
		.amdhsa_ieee_mode 1
		.amdhsa_fp16_overflow 0
		.amdhsa_tg_split 0
		.amdhsa_exception_fp_ieee_invalid_op 0
		.amdhsa_exception_fp_denorm_src 0
		.amdhsa_exception_fp_ieee_div_zero 0
		.amdhsa_exception_fp_ieee_overflow 0
		.amdhsa_exception_fp_ieee_underflow 0
		.amdhsa_exception_fp_ieee_inexact 0
		.amdhsa_exception_int_div_zero 0
	.end_amdhsa_kernel
	.section	.text._ZN7rocprim17ROCPRIM_400000_NS6detail17trampoline_kernelINS0_14default_configENS1_20scan_config_selectorIdEEZZNS1_9scan_implILNS1_25lookback_scan_determinismE0ELb1ELb1ES3_N6thrust23THRUST_200600_302600_NS6detail15normal_iteratorINS9_10device_ptrIdEEEESE_dNS9_4plusIvEEdEEDaPvRmT3_T4_T5_mT6_P12ihipStream_tbENKUlT_T0_E_clISt17integral_constantIbLb1EEST_IbLb0EEEEDaSP_SQ_EUlSP_E0_NS1_11comp_targetILNS1_3genE9ELNS1_11target_archE1100ELNS1_3gpuE3ELNS1_3repE0EEENS1_30default_config_static_selectorELNS0_4arch9wavefront6targetE1EEEvT1_,"axG",@progbits,_ZN7rocprim17ROCPRIM_400000_NS6detail17trampoline_kernelINS0_14default_configENS1_20scan_config_selectorIdEEZZNS1_9scan_implILNS1_25lookback_scan_determinismE0ELb1ELb1ES3_N6thrust23THRUST_200600_302600_NS6detail15normal_iteratorINS9_10device_ptrIdEEEESE_dNS9_4plusIvEEdEEDaPvRmT3_T4_T5_mT6_P12ihipStream_tbENKUlT_T0_E_clISt17integral_constantIbLb1EEST_IbLb0EEEEDaSP_SQ_EUlSP_E0_NS1_11comp_targetILNS1_3genE9ELNS1_11target_archE1100ELNS1_3gpuE3ELNS1_3repE0EEENS1_30default_config_static_selectorELNS0_4arch9wavefront6targetE1EEEvT1_,comdat
.Lfunc_end4266:
	.size	_ZN7rocprim17ROCPRIM_400000_NS6detail17trampoline_kernelINS0_14default_configENS1_20scan_config_selectorIdEEZZNS1_9scan_implILNS1_25lookback_scan_determinismE0ELb1ELb1ES3_N6thrust23THRUST_200600_302600_NS6detail15normal_iteratorINS9_10device_ptrIdEEEESE_dNS9_4plusIvEEdEEDaPvRmT3_T4_T5_mT6_P12ihipStream_tbENKUlT_T0_E_clISt17integral_constantIbLb1EEST_IbLb0EEEEDaSP_SQ_EUlSP_E0_NS1_11comp_targetILNS1_3genE9ELNS1_11target_archE1100ELNS1_3gpuE3ELNS1_3repE0EEENS1_30default_config_static_selectorELNS0_4arch9wavefront6targetE1EEEvT1_, .Lfunc_end4266-_ZN7rocprim17ROCPRIM_400000_NS6detail17trampoline_kernelINS0_14default_configENS1_20scan_config_selectorIdEEZZNS1_9scan_implILNS1_25lookback_scan_determinismE0ELb1ELb1ES3_N6thrust23THRUST_200600_302600_NS6detail15normal_iteratorINS9_10device_ptrIdEEEESE_dNS9_4plusIvEEdEEDaPvRmT3_T4_T5_mT6_P12ihipStream_tbENKUlT_T0_E_clISt17integral_constantIbLb1EEST_IbLb0EEEEDaSP_SQ_EUlSP_E0_NS1_11comp_targetILNS1_3genE9ELNS1_11target_archE1100ELNS1_3gpuE3ELNS1_3repE0EEENS1_30default_config_static_selectorELNS0_4arch9wavefront6targetE1EEEvT1_
                                        ; -- End function
	.section	.AMDGPU.csdata,"",@progbits
; Kernel info:
; codeLenInByte = 0
; NumSgprs: 4
; NumVgprs: 0
; NumAgprs: 0
; TotalNumVgprs: 0
; ScratchSize: 0
; MemoryBound: 0
; FloatMode: 240
; IeeeMode: 1
; LDSByteSize: 0 bytes/workgroup (compile time only)
; SGPRBlocks: 0
; VGPRBlocks: 0
; NumSGPRsForWavesPerEU: 4
; NumVGPRsForWavesPerEU: 1
; AccumOffset: 4
; Occupancy: 8
; WaveLimiterHint : 0
; COMPUTE_PGM_RSRC2:SCRATCH_EN: 0
; COMPUTE_PGM_RSRC2:USER_SGPR: 6
; COMPUTE_PGM_RSRC2:TRAP_HANDLER: 0
; COMPUTE_PGM_RSRC2:TGID_X_EN: 1
; COMPUTE_PGM_RSRC2:TGID_Y_EN: 0
; COMPUTE_PGM_RSRC2:TGID_Z_EN: 0
; COMPUTE_PGM_RSRC2:TIDIG_COMP_CNT: 0
; COMPUTE_PGM_RSRC3_GFX90A:ACCUM_OFFSET: 0
; COMPUTE_PGM_RSRC3_GFX90A:TG_SPLIT: 0
	.section	.text._ZN7rocprim17ROCPRIM_400000_NS6detail17trampoline_kernelINS0_14default_configENS1_20scan_config_selectorIdEEZZNS1_9scan_implILNS1_25lookback_scan_determinismE0ELb1ELb1ES3_N6thrust23THRUST_200600_302600_NS6detail15normal_iteratorINS9_10device_ptrIdEEEESE_dNS9_4plusIvEEdEEDaPvRmT3_T4_T5_mT6_P12ihipStream_tbENKUlT_T0_E_clISt17integral_constantIbLb1EEST_IbLb0EEEEDaSP_SQ_EUlSP_E0_NS1_11comp_targetILNS1_3genE8ELNS1_11target_archE1030ELNS1_3gpuE2ELNS1_3repE0EEENS1_30default_config_static_selectorELNS0_4arch9wavefront6targetE1EEEvT1_,"axG",@progbits,_ZN7rocprim17ROCPRIM_400000_NS6detail17trampoline_kernelINS0_14default_configENS1_20scan_config_selectorIdEEZZNS1_9scan_implILNS1_25lookback_scan_determinismE0ELb1ELb1ES3_N6thrust23THRUST_200600_302600_NS6detail15normal_iteratorINS9_10device_ptrIdEEEESE_dNS9_4plusIvEEdEEDaPvRmT3_T4_T5_mT6_P12ihipStream_tbENKUlT_T0_E_clISt17integral_constantIbLb1EEST_IbLb0EEEEDaSP_SQ_EUlSP_E0_NS1_11comp_targetILNS1_3genE8ELNS1_11target_archE1030ELNS1_3gpuE2ELNS1_3repE0EEENS1_30default_config_static_selectorELNS0_4arch9wavefront6targetE1EEEvT1_,comdat
	.protected	_ZN7rocprim17ROCPRIM_400000_NS6detail17trampoline_kernelINS0_14default_configENS1_20scan_config_selectorIdEEZZNS1_9scan_implILNS1_25lookback_scan_determinismE0ELb1ELb1ES3_N6thrust23THRUST_200600_302600_NS6detail15normal_iteratorINS9_10device_ptrIdEEEESE_dNS9_4plusIvEEdEEDaPvRmT3_T4_T5_mT6_P12ihipStream_tbENKUlT_T0_E_clISt17integral_constantIbLb1EEST_IbLb0EEEEDaSP_SQ_EUlSP_E0_NS1_11comp_targetILNS1_3genE8ELNS1_11target_archE1030ELNS1_3gpuE2ELNS1_3repE0EEENS1_30default_config_static_selectorELNS0_4arch9wavefront6targetE1EEEvT1_ ; -- Begin function _ZN7rocprim17ROCPRIM_400000_NS6detail17trampoline_kernelINS0_14default_configENS1_20scan_config_selectorIdEEZZNS1_9scan_implILNS1_25lookback_scan_determinismE0ELb1ELb1ES3_N6thrust23THRUST_200600_302600_NS6detail15normal_iteratorINS9_10device_ptrIdEEEESE_dNS9_4plusIvEEdEEDaPvRmT3_T4_T5_mT6_P12ihipStream_tbENKUlT_T0_E_clISt17integral_constantIbLb1EEST_IbLb0EEEEDaSP_SQ_EUlSP_E0_NS1_11comp_targetILNS1_3genE8ELNS1_11target_archE1030ELNS1_3gpuE2ELNS1_3repE0EEENS1_30default_config_static_selectorELNS0_4arch9wavefront6targetE1EEEvT1_
	.globl	_ZN7rocprim17ROCPRIM_400000_NS6detail17trampoline_kernelINS0_14default_configENS1_20scan_config_selectorIdEEZZNS1_9scan_implILNS1_25lookback_scan_determinismE0ELb1ELb1ES3_N6thrust23THRUST_200600_302600_NS6detail15normal_iteratorINS9_10device_ptrIdEEEESE_dNS9_4plusIvEEdEEDaPvRmT3_T4_T5_mT6_P12ihipStream_tbENKUlT_T0_E_clISt17integral_constantIbLb1EEST_IbLb0EEEEDaSP_SQ_EUlSP_E0_NS1_11comp_targetILNS1_3genE8ELNS1_11target_archE1030ELNS1_3gpuE2ELNS1_3repE0EEENS1_30default_config_static_selectorELNS0_4arch9wavefront6targetE1EEEvT1_
	.p2align	8
	.type	_ZN7rocprim17ROCPRIM_400000_NS6detail17trampoline_kernelINS0_14default_configENS1_20scan_config_selectorIdEEZZNS1_9scan_implILNS1_25lookback_scan_determinismE0ELb1ELb1ES3_N6thrust23THRUST_200600_302600_NS6detail15normal_iteratorINS9_10device_ptrIdEEEESE_dNS9_4plusIvEEdEEDaPvRmT3_T4_T5_mT6_P12ihipStream_tbENKUlT_T0_E_clISt17integral_constantIbLb1EEST_IbLb0EEEEDaSP_SQ_EUlSP_E0_NS1_11comp_targetILNS1_3genE8ELNS1_11target_archE1030ELNS1_3gpuE2ELNS1_3repE0EEENS1_30default_config_static_selectorELNS0_4arch9wavefront6targetE1EEEvT1_,@function
_ZN7rocprim17ROCPRIM_400000_NS6detail17trampoline_kernelINS0_14default_configENS1_20scan_config_selectorIdEEZZNS1_9scan_implILNS1_25lookback_scan_determinismE0ELb1ELb1ES3_N6thrust23THRUST_200600_302600_NS6detail15normal_iteratorINS9_10device_ptrIdEEEESE_dNS9_4plusIvEEdEEDaPvRmT3_T4_T5_mT6_P12ihipStream_tbENKUlT_T0_E_clISt17integral_constantIbLb1EEST_IbLb0EEEEDaSP_SQ_EUlSP_E0_NS1_11comp_targetILNS1_3genE8ELNS1_11target_archE1030ELNS1_3gpuE2ELNS1_3repE0EEENS1_30default_config_static_selectorELNS0_4arch9wavefront6targetE1EEEvT1_: ; @_ZN7rocprim17ROCPRIM_400000_NS6detail17trampoline_kernelINS0_14default_configENS1_20scan_config_selectorIdEEZZNS1_9scan_implILNS1_25lookback_scan_determinismE0ELb1ELb1ES3_N6thrust23THRUST_200600_302600_NS6detail15normal_iteratorINS9_10device_ptrIdEEEESE_dNS9_4plusIvEEdEEDaPvRmT3_T4_T5_mT6_P12ihipStream_tbENKUlT_T0_E_clISt17integral_constantIbLb1EEST_IbLb0EEEEDaSP_SQ_EUlSP_E0_NS1_11comp_targetILNS1_3genE8ELNS1_11target_archE1030ELNS1_3gpuE2ELNS1_3repE0EEENS1_30default_config_static_selectorELNS0_4arch9wavefront6targetE1EEEvT1_
; %bb.0:
	.section	.rodata,"a",@progbits
	.p2align	6, 0x0
	.amdhsa_kernel _ZN7rocprim17ROCPRIM_400000_NS6detail17trampoline_kernelINS0_14default_configENS1_20scan_config_selectorIdEEZZNS1_9scan_implILNS1_25lookback_scan_determinismE0ELb1ELb1ES3_N6thrust23THRUST_200600_302600_NS6detail15normal_iteratorINS9_10device_ptrIdEEEESE_dNS9_4plusIvEEdEEDaPvRmT3_T4_T5_mT6_P12ihipStream_tbENKUlT_T0_E_clISt17integral_constantIbLb1EEST_IbLb0EEEEDaSP_SQ_EUlSP_E0_NS1_11comp_targetILNS1_3genE8ELNS1_11target_archE1030ELNS1_3gpuE2ELNS1_3repE0EEENS1_30default_config_static_selectorELNS0_4arch9wavefront6targetE1EEEvT1_
		.amdhsa_group_segment_fixed_size 0
		.amdhsa_private_segment_fixed_size 0
		.amdhsa_kernarg_size 40
		.amdhsa_user_sgpr_count 6
		.amdhsa_user_sgpr_private_segment_buffer 1
		.amdhsa_user_sgpr_dispatch_ptr 0
		.amdhsa_user_sgpr_queue_ptr 0
		.amdhsa_user_sgpr_kernarg_segment_ptr 1
		.amdhsa_user_sgpr_dispatch_id 0
		.amdhsa_user_sgpr_flat_scratch_init 0
		.amdhsa_user_sgpr_kernarg_preload_length 0
		.amdhsa_user_sgpr_kernarg_preload_offset 0
		.amdhsa_user_sgpr_private_segment_size 0
		.amdhsa_uses_dynamic_stack 0
		.amdhsa_system_sgpr_private_segment_wavefront_offset 0
		.amdhsa_system_sgpr_workgroup_id_x 1
		.amdhsa_system_sgpr_workgroup_id_y 0
		.amdhsa_system_sgpr_workgroup_id_z 0
		.amdhsa_system_sgpr_workgroup_info 0
		.amdhsa_system_vgpr_workitem_id 0
		.amdhsa_next_free_vgpr 1
		.amdhsa_next_free_sgpr 0
		.amdhsa_accum_offset 4
		.amdhsa_reserve_vcc 0
		.amdhsa_reserve_flat_scratch 0
		.amdhsa_float_round_mode_32 0
		.amdhsa_float_round_mode_16_64 0
		.amdhsa_float_denorm_mode_32 3
		.amdhsa_float_denorm_mode_16_64 3
		.amdhsa_dx10_clamp 1
		.amdhsa_ieee_mode 1
		.amdhsa_fp16_overflow 0
		.amdhsa_tg_split 0
		.amdhsa_exception_fp_ieee_invalid_op 0
		.amdhsa_exception_fp_denorm_src 0
		.amdhsa_exception_fp_ieee_div_zero 0
		.amdhsa_exception_fp_ieee_overflow 0
		.amdhsa_exception_fp_ieee_underflow 0
		.amdhsa_exception_fp_ieee_inexact 0
		.amdhsa_exception_int_div_zero 0
	.end_amdhsa_kernel
	.section	.text._ZN7rocprim17ROCPRIM_400000_NS6detail17trampoline_kernelINS0_14default_configENS1_20scan_config_selectorIdEEZZNS1_9scan_implILNS1_25lookback_scan_determinismE0ELb1ELb1ES3_N6thrust23THRUST_200600_302600_NS6detail15normal_iteratorINS9_10device_ptrIdEEEESE_dNS9_4plusIvEEdEEDaPvRmT3_T4_T5_mT6_P12ihipStream_tbENKUlT_T0_E_clISt17integral_constantIbLb1EEST_IbLb0EEEEDaSP_SQ_EUlSP_E0_NS1_11comp_targetILNS1_3genE8ELNS1_11target_archE1030ELNS1_3gpuE2ELNS1_3repE0EEENS1_30default_config_static_selectorELNS0_4arch9wavefront6targetE1EEEvT1_,"axG",@progbits,_ZN7rocprim17ROCPRIM_400000_NS6detail17trampoline_kernelINS0_14default_configENS1_20scan_config_selectorIdEEZZNS1_9scan_implILNS1_25lookback_scan_determinismE0ELb1ELb1ES3_N6thrust23THRUST_200600_302600_NS6detail15normal_iteratorINS9_10device_ptrIdEEEESE_dNS9_4plusIvEEdEEDaPvRmT3_T4_T5_mT6_P12ihipStream_tbENKUlT_T0_E_clISt17integral_constantIbLb1EEST_IbLb0EEEEDaSP_SQ_EUlSP_E0_NS1_11comp_targetILNS1_3genE8ELNS1_11target_archE1030ELNS1_3gpuE2ELNS1_3repE0EEENS1_30default_config_static_selectorELNS0_4arch9wavefront6targetE1EEEvT1_,comdat
.Lfunc_end4267:
	.size	_ZN7rocprim17ROCPRIM_400000_NS6detail17trampoline_kernelINS0_14default_configENS1_20scan_config_selectorIdEEZZNS1_9scan_implILNS1_25lookback_scan_determinismE0ELb1ELb1ES3_N6thrust23THRUST_200600_302600_NS6detail15normal_iteratorINS9_10device_ptrIdEEEESE_dNS9_4plusIvEEdEEDaPvRmT3_T4_T5_mT6_P12ihipStream_tbENKUlT_T0_E_clISt17integral_constantIbLb1EEST_IbLb0EEEEDaSP_SQ_EUlSP_E0_NS1_11comp_targetILNS1_3genE8ELNS1_11target_archE1030ELNS1_3gpuE2ELNS1_3repE0EEENS1_30default_config_static_selectorELNS0_4arch9wavefront6targetE1EEEvT1_, .Lfunc_end4267-_ZN7rocprim17ROCPRIM_400000_NS6detail17trampoline_kernelINS0_14default_configENS1_20scan_config_selectorIdEEZZNS1_9scan_implILNS1_25lookback_scan_determinismE0ELb1ELb1ES3_N6thrust23THRUST_200600_302600_NS6detail15normal_iteratorINS9_10device_ptrIdEEEESE_dNS9_4plusIvEEdEEDaPvRmT3_T4_T5_mT6_P12ihipStream_tbENKUlT_T0_E_clISt17integral_constantIbLb1EEST_IbLb0EEEEDaSP_SQ_EUlSP_E0_NS1_11comp_targetILNS1_3genE8ELNS1_11target_archE1030ELNS1_3gpuE2ELNS1_3repE0EEENS1_30default_config_static_selectorELNS0_4arch9wavefront6targetE1EEEvT1_
                                        ; -- End function
	.section	.AMDGPU.csdata,"",@progbits
; Kernel info:
; codeLenInByte = 0
; NumSgprs: 4
; NumVgprs: 0
; NumAgprs: 0
; TotalNumVgprs: 0
; ScratchSize: 0
; MemoryBound: 0
; FloatMode: 240
; IeeeMode: 1
; LDSByteSize: 0 bytes/workgroup (compile time only)
; SGPRBlocks: 0
; VGPRBlocks: 0
; NumSGPRsForWavesPerEU: 4
; NumVGPRsForWavesPerEU: 1
; AccumOffset: 4
; Occupancy: 8
; WaveLimiterHint : 0
; COMPUTE_PGM_RSRC2:SCRATCH_EN: 0
; COMPUTE_PGM_RSRC2:USER_SGPR: 6
; COMPUTE_PGM_RSRC2:TRAP_HANDLER: 0
; COMPUTE_PGM_RSRC2:TGID_X_EN: 1
; COMPUTE_PGM_RSRC2:TGID_Y_EN: 0
; COMPUTE_PGM_RSRC2:TGID_Z_EN: 0
; COMPUTE_PGM_RSRC2:TIDIG_COMP_CNT: 0
; COMPUTE_PGM_RSRC3_GFX90A:ACCUM_OFFSET: 0
; COMPUTE_PGM_RSRC3_GFX90A:TG_SPLIT: 0
	.section	.text._ZN7rocprim17ROCPRIM_400000_NS6detail17trampoline_kernelINS0_14default_configENS1_20scan_config_selectorIdEEZZNS1_9scan_implILNS1_25lookback_scan_determinismE0ELb1ELb1ES3_N6thrust23THRUST_200600_302600_NS6detail15normal_iteratorINS9_10device_ptrIdEEEESE_dNS9_4plusIvEEdEEDaPvRmT3_T4_T5_mT6_P12ihipStream_tbENKUlT_T0_E_clISt17integral_constantIbLb0EEST_IbLb1EEEEDaSP_SQ_EUlSP_E_NS1_11comp_targetILNS1_3genE0ELNS1_11target_archE4294967295ELNS1_3gpuE0ELNS1_3repE0EEENS1_30default_config_static_selectorELNS0_4arch9wavefront6targetE1EEEvT1_,"axG",@progbits,_ZN7rocprim17ROCPRIM_400000_NS6detail17trampoline_kernelINS0_14default_configENS1_20scan_config_selectorIdEEZZNS1_9scan_implILNS1_25lookback_scan_determinismE0ELb1ELb1ES3_N6thrust23THRUST_200600_302600_NS6detail15normal_iteratorINS9_10device_ptrIdEEEESE_dNS9_4plusIvEEdEEDaPvRmT3_T4_T5_mT6_P12ihipStream_tbENKUlT_T0_E_clISt17integral_constantIbLb0EEST_IbLb1EEEEDaSP_SQ_EUlSP_E_NS1_11comp_targetILNS1_3genE0ELNS1_11target_archE4294967295ELNS1_3gpuE0ELNS1_3repE0EEENS1_30default_config_static_selectorELNS0_4arch9wavefront6targetE1EEEvT1_,comdat
	.protected	_ZN7rocprim17ROCPRIM_400000_NS6detail17trampoline_kernelINS0_14default_configENS1_20scan_config_selectorIdEEZZNS1_9scan_implILNS1_25lookback_scan_determinismE0ELb1ELb1ES3_N6thrust23THRUST_200600_302600_NS6detail15normal_iteratorINS9_10device_ptrIdEEEESE_dNS9_4plusIvEEdEEDaPvRmT3_T4_T5_mT6_P12ihipStream_tbENKUlT_T0_E_clISt17integral_constantIbLb0EEST_IbLb1EEEEDaSP_SQ_EUlSP_E_NS1_11comp_targetILNS1_3genE0ELNS1_11target_archE4294967295ELNS1_3gpuE0ELNS1_3repE0EEENS1_30default_config_static_selectorELNS0_4arch9wavefront6targetE1EEEvT1_ ; -- Begin function _ZN7rocprim17ROCPRIM_400000_NS6detail17trampoline_kernelINS0_14default_configENS1_20scan_config_selectorIdEEZZNS1_9scan_implILNS1_25lookback_scan_determinismE0ELb1ELb1ES3_N6thrust23THRUST_200600_302600_NS6detail15normal_iteratorINS9_10device_ptrIdEEEESE_dNS9_4plusIvEEdEEDaPvRmT3_T4_T5_mT6_P12ihipStream_tbENKUlT_T0_E_clISt17integral_constantIbLb0EEST_IbLb1EEEEDaSP_SQ_EUlSP_E_NS1_11comp_targetILNS1_3genE0ELNS1_11target_archE4294967295ELNS1_3gpuE0ELNS1_3repE0EEENS1_30default_config_static_selectorELNS0_4arch9wavefront6targetE1EEEvT1_
	.globl	_ZN7rocprim17ROCPRIM_400000_NS6detail17trampoline_kernelINS0_14default_configENS1_20scan_config_selectorIdEEZZNS1_9scan_implILNS1_25lookback_scan_determinismE0ELb1ELb1ES3_N6thrust23THRUST_200600_302600_NS6detail15normal_iteratorINS9_10device_ptrIdEEEESE_dNS9_4plusIvEEdEEDaPvRmT3_T4_T5_mT6_P12ihipStream_tbENKUlT_T0_E_clISt17integral_constantIbLb0EEST_IbLb1EEEEDaSP_SQ_EUlSP_E_NS1_11comp_targetILNS1_3genE0ELNS1_11target_archE4294967295ELNS1_3gpuE0ELNS1_3repE0EEENS1_30default_config_static_selectorELNS0_4arch9wavefront6targetE1EEEvT1_
	.p2align	8
	.type	_ZN7rocprim17ROCPRIM_400000_NS6detail17trampoline_kernelINS0_14default_configENS1_20scan_config_selectorIdEEZZNS1_9scan_implILNS1_25lookback_scan_determinismE0ELb1ELb1ES3_N6thrust23THRUST_200600_302600_NS6detail15normal_iteratorINS9_10device_ptrIdEEEESE_dNS9_4plusIvEEdEEDaPvRmT3_T4_T5_mT6_P12ihipStream_tbENKUlT_T0_E_clISt17integral_constantIbLb0EEST_IbLb1EEEEDaSP_SQ_EUlSP_E_NS1_11comp_targetILNS1_3genE0ELNS1_11target_archE4294967295ELNS1_3gpuE0ELNS1_3repE0EEENS1_30default_config_static_selectorELNS0_4arch9wavefront6targetE1EEEvT1_,@function
_ZN7rocprim17ROCPRIM_400000_NS6detail17trampoline_kernelINS0_14default_configENS1_20scan_config_selectorIdEEZZNS1_9scan_implILNS1_25lookback_scan_determinismE0ELb1ELb1ES3_N6thrust23THRUST_200600_302600_NS6detail15normal_iteratorINS9_10device_ptrIdEEEESE_dNS9_4plusIvEEdEEDaPvRmT3_T4_T5_mT6_P12ihipStream_tbENKUlT_T0_E_clISt17integral_constantIbLb0EEST_IbLb1EEEEDaSP_SQ_EUlSP_E_NS1_11comp_targetILNS1_3genE0ELNS1_11target_archE4294967295ELNS1_3gpuE0ELNS1_3repE0EEENS1_30default_config_static_selectorELNS0_4arch9wavefront6targetE1EEEvT1_: ; @_ZN7rocprim17ROCPRIM_400000_NS6detail17trampoline_kernelINS0_14default_configENS1_20scan_config_selectorIdEEZZNS1_9scan_implILNS1_25lookback_scan_determinismE0ELb1ELb1ES3_N6thrust23THRUST_200600_302600_NS6detail15normal_iteratorINS9_10device_ptrIdEEEESE_dNS9_4plusIvEEdEEDaPvRmT3_T4_T5_mT6_P12ihipStream_tbENKUlT_T0_E_clISt17integral_constantIbLb0EEST_IbLb1EEEEDaSP_SQ_EUlSP_E_NS1_11comp_targetILNS1_3genE0ELNS1_11target_archE4294967295ELNS1_3gpuE0ELNS1_3repE0EEENS1_30default_config_static_selectorELNS0_4arch9wavefront6targetE1EEEvT1_
; %bb.0:
	.section	.rodata,"a",@progbits
	.p2align	6, 0x0
	.amdhsa_kernel _ZN7rocprim17ROCPRIM_400000_NS6detail17trampoline_kernelINS0_14default_configENS1_20scan_config_selectorIdEEZZNS1_9scan_implILNS1_25lookback_scan_determinismE0ELb1ELb1ES3_N6thrust23THRUST_200600_302600_NS6detail15normal_iteratorINS9_10device_ptrIdEEEESE_dNS9_4plusIvEEdEEDaPvRmT3_T4_T5_mT6_P12ihipStream_tbENKUlT_T0_E_clISt17integral_constantIbLb0EEST_IbLb1EEEEDaSP_SQ_EUlSP_E_NS1_11comp_targetILNS1_3genE0ELNS1_11target_archE4294967295ELNS1_3gpuE0ELNS1_3repE0EEENS1_30default_config_static_selectorELNS0_4arch9wavefront6targetE1EEEvT1_
		.amdhsa_group_segment_fixed_size 0
		.amdhsa_private_segment_fixed_size 0
		.amdhsa_kernarg_size 104
		.amdhsa_user_sgpr_count 6
		.amdhsa_user_sgpr_private_segment_buffer 1
		.amdhsa_user_sgpr_dispatch_ptr 0
		.amdhsa_user_sgpr_queue_ptr 0
		.amdhsa_user_sgpr_kernarg_segment_ptr 1
		.amdhsa_user_sgpr_dispatch_id 0
		.amdhsa_user_sgpr_flat_scratch_init 0
		.amdhsa_user_sgpr_kernarg_preload_length 0
		.amdhsa_user_sgpr_kernarg_preload_offset 0
		.amdhsa_user_sgpr_private_segment_size 0
		.amdhsa_uses_dynamic_stack 0
		.amdhsa_system_sgpr_private_segment_wavefront_offset 0
		.amdhsa_system_sgpr_workgroup_id_x 1
		.amdhsa_system_sgpr_workgroup_id_y 0
		.amdhsa_system_sgpr_workgroup_id_z 0
		.amdhsa_system_sgpr_workgroup_info 0
		.amdhsa_system_vgpr_workitem_id 0
		.amdhsa_next_free_vgpr 1
		.amdhsa_next_free_sgpr 0
		.amdhsa_accum_offset 4
		.amdhsa_reserve_vcc 0
		.amdhsa_reserve_flat_scratch 0
		.amdhsa_float_round_mode_32 0
		.amdhsa_float_round_mode_16_64 0
		.amdhsa_float_denorm_mode_32 3
		.amdhsa_float_denorm_mode_16_64 3
		.amdhsa_dx10_clamp 1
		.amdhsa_ieee_mode 1
		.amdhsa_fp16_overflow 0
		.amdhsa_tg_split 0
		.amdhsa_exception_fp_ieee_invalid_op 0
		.amdhsa_exception_fp_denorm_src 0
		.amdhsa_exception_fp_ieee_div_zero 0
		.amdhsa_exception_fp_ieee_overflow 0
		.amdhsa_exception_fp_ieee_underflow 0
		.amdhsa_exception_fp_ieee_inexact 0
		.amdhsa_exception_int_div_zero 0
	.end_amdhsa_kernel
	.section	.text._ZN7rocprim17ROCPRIM_400000_NS6detail17trampoline_kernelINS0_14default_configENS1_20scan_config_selectorIdEEZZNS1_9scan_implILNS1_25lookback_scan_determinismE0ELb1ELb1ES3_N6thrust23THRUST_200600_302600_NS6detail15normal_iteratorINS9_10device_ptrIdEEEESE_dNS9_4plusIvEEdEEDaPvRmT3_T4_T5_mT6_P12ihipStream_tbENKUlT_T0_E_clISt17integral_constantIbLb0EEST_IbLb1EEEEDaSP_SQ_EUlSP_E_NS1_11comp_targetILNS1_3genE0ELNS1_11target_archE4294967295ELNS1_3gpuE0ELNS1_3repE0EEENS1_30default_config_static_selectorELNS0_4arch9wavefront6targetE1EEEvT1_,"axG",@progbits,_ZN7rocprim17ROCPRIM_400000_NS6detail17trampoline_kernelINS0_14default_configENS1_20scan_config_selectorIdEEZZNS1_9scan_implILNS1_25lookback_scan_determinismE0ELb1ELb1ES3_N6thrust23THRUST_200600_302600_NS6detail15normal_iteratorINS9_10device_ptrIdEEEESE_dNS9_4plusIvEEdEEDaPvRmT3_T4_T5_mT6_P12ihipStream_tbENKUlT_T0_E_clISt17integral_constantIbLb0EEST_IbLb1EEEEDaSP_SQ_EUlSP_E_NS1_11comp_targetILNS1_3genE0ELNS1_11target_archE4294967295ELNS1_3gpuE0ELNS1_3repE0EEENS1_30default_config_static_selectorELNS0_4arch9wavefront6targetE1EEEvT1_,comdat
.Lfunc_end4268:
	.size	_ZN7rocprim17ROCPRIM_400000_NS6detail17trampoline_kernelINS0_14default_configENS1_20scan_config_selectorIdEEZZNS1_9scan_implILNS1_25lookback_scan_determinismE0ELb1ELb1ES3_N6thrust23THRUST_200600_302600_NS6detail15normal_iteratorINS9_10device_ptrIdEEEESE_dNS9_4plusIvEEdEEDaPvRmT3_T4_T5_mT6_P12ihipStream_tbENKUlT_T0_E_clISt17integral_constantIbLb0EEST_IbLb1EEEEDaSP_SQ_EUlSP_E_NS1_11comp_targetILNS1_3genE0ELNS1_11target_archE4294967295ELNS1_3gpuE0ELNS1_3repE0EEENS1_30default_config_static_selectorELNS0_4arch9wavefront6targetE1EEEvT1_, .Lfunc_end4268-_ZN7rocprim17ROCPRIM_400000_NS6detail17trampoline_kernelINS0_14default_configENS1_20scan_config_selectorIdEEZZNS1_9scan_implILNS1_25lookback_scan_determinismE0ELb1ELb1ES3_N6thrust23THRUST_200600_302600_NS6detail15normal_iteratorINS9_10device_ptrIdEEEESE_dNS9_4plusIvEEdEEDaPvRmT3_T4_T5_mT6_P12ihipStream_tbENKUlT_T0_E_clISt17integral_constantIbLb0EEST_IbLb1EEEEDaSP_SQ_EUlSP_E_NS1_11comp_targetILNS1_3genE0ELNS1_11target_archE4294967295ELNS1_3gpuE0ELNS1_3repE0EEENS1_30default_config_static_selectorELNS0_4arch9wavefront6targetE1EEEvT1_
                                        ; -- End function
	.section	.AMDGPU.csdata,"",@progbits
; Kernel info:
; codeLenInByte = 0
; NumSgprs: 4
; NumVgprs: 0
; NumAgprs: 0
; TotalNumVgprs: 0
; ScratchSize: 0
; MemoryBound: 0
; FloatMode: 240
; IeeeMode: 1
; LDSByteSize: 0 bytes/workgroup (compile time only)
; SGPRBlocks: 0
; VGPRBlocks: 0
; NumSGPRsForWavesPerEU: 4
; NumVGPRsForWavesPerEU: 1
; AccumOffset: 4
; Occupancy: 8
; WaveLimiterHint : 0
; COMPUTE_PGM_RSRC2:SCRATCH_EN: 0
; COMPUTE_PGM_RSRC2:USER_SGPR: 6
; COMPUTE_PGM_RSRC2:TRAP_HANDLER: 0
; COMPUTE_PGM_RSRC2:TGID_X_EN: 1
; COMPUTE_PGM_RSRC2:TGID_Y_EN: 0
; COMPUTE_PGM_RSRC2:TGID_Z_EN: 0
; COMPUTE_PGM_RSRC2:TIDIG_COMP_CNT: 0
; COMPUTE_PGM_RSRC3_GFX90A:ACCUM_OFFSET: 0
; COMPUTE_PGM_RSRC3_GFX90A:TG_SPLIT: 0
	.section	.text._ZN7rocprim17ROCPRIM_400000_NS6detail17trampoline_kernelINS0_14default_configENS1_20scan_config_selectorIdEEZZNS1_9scan_implILNS1_25lookback_scan_determinismE0ELb1ELb1ES3_N6thrust23THRUST_200600_302600_NS6detail15normal_iteratorINS9_10device_ptrIdEEEESE_dNS9_4plusIvEEdEEDaPvRmT3_T4_T5_mT6_P12ihipStream_tbENKUlT_T0_E_clISt17integral_constantIbLb0EEST_IbLb1EEEEDaSP_SQ_EUlSP_E_NS1_11comp_targetILNS1_3genE5ELNS1_11target_archE942ELNS1_3gpuE9ELNS1_3repE0EEENS1_30default_config_static_selectorELNS0_4arch9wavefront6targetE1EEEvT1_,"axG",@progbits,_ZN7rocprim17ROCPRIM_400000_NS6detail17trampoline_kernelINS0_14default_configENS1_20scan_config_selectorIdEEZZNS1_9scan_implILNS1_25lookback_scan_determinismE0ELb1ELb1ES3_N6thrust23THRUST_200600_302600_NS6detail15normal_iteratorINS9_10device_ptrIdEEEESE_dNS9_4plusIvEEdEEDaPvRmT3_T4_T5_mT6_P12ihipStream_tbENKUlT_T0_E_clISt17integral_constantIbLb0EEST_IbLb1EEEEDaSP_SQ_EUlSP_E_NS1_11comp_targetILNS1_3genE5ELNS1_11target_archE942ELNS1_3gpuE9ELNS1_3repE0EEENS1_30default_config_static_selectorELNS0_4arch9wavefront6targetE1EEEvT1_,comdat
	.protected	_ZN7rocprim17ROCPRIM_400000_NS6detail17trampoline_kernelINS0_14default_configENS1_20scan_config_selectorIdEEZZNS1_9scan_implILNS1_25lookback_scan_determinismE0ELb1ELb1ES3_N6thrust23THRUST_200600_302600_NS6detail15normal_iteratorINS9_10device_ptrIdEEEESE_dNS9_4plusIvEEdEEDaPvRmT3_T4_T5_mT6_P12ihipStream_tbENKUlT_T0_E_clISt17integral_constantIbLb0EEST_IbLb1EEEEDaSP_SQ_EUlSP_E_NS1_11comp_targetILNS1_3genE5ELNS1_11target_archE942ELNS1_3gpuE9ELNS1_3repE0EEENS1_30default_config_static_selectorELNS0_4arch9wavefront6targetE1EEEvT1_ ; -- Begin function _ZN7rocprim17ROCPRIM_400000_NS6detail17trampoline_kernelINS0_14default_configENS1_20scan_config_selectorIdEEZZNS1_9scan_implILNS1_25lookback_scan_determinismE0ELb1ELb1ES3_N6thrust23THRUST_200600_302600_NS6detail15normal_iteratorINS9_10device_ptrIdEEEESE_dNS9_4plusIvEEdEEDaPvRmT3_T4_T5_mT6_P12ihipStream_tbENKUlT_T0_E_clISt17integral_constantIbLb0EEST_IbLb1EEEEDaSP_SQ_EUlSP_E_NS1_11comp_targetILNS1_3genE5ELNS1_11target_archE942ELNS1_3gpuE9ELNS1_3repE0EEENS1_30default_config_static_selectorELNS0_4arch9wavefront6targetE1EEEvT1_
	.globl	_ZN7rocprim17ROCPRIM_400000_NS6detail17trampoline_kernelINS0_14default_configENS1_20scan_config_selectorIdEEZZNS1_9scan_implILNS1_25lookback_scan_determinismE0ELb1ELb1ES3_N6thrust23THRUST_200600_302600_NS6detail15normal_iteratorINS9_10device_ptrIdEEEESE_dNS9_4plusIvEEdEEDaPvRmT3_T4_T5_mT6_P12ihipStream_tbENKUlT_T0_E_clISt17integral_constantIbLb0EEST_IbLb1EEEEDaSP_SQ_EUlSP_E_NS1_11comp_targetILNS1_3genE5ELNS1_11target_archE942ELNS1_3gpuE9ELNS1_3repE0EEENS1_30default_config_static_selectorELNS0_4arch9wavefront6targetE1EEEvT1_
	.p2align	8
	.type	_ZN7rocprim17ROCPRIM_400000_NS6detail17trampoline_kernelINS0_14default_configENS1_20scan_config_selectorIdEEZZNS1_9scan_implILNS1_25lookback_scan_determinismE0ELb1ELb1ES3_N6thrust23THRUST_200600_302600_NS6detail15normal_iteratorINS9_10device_ptrIdEEEESE_dNS9_4plusIvEEdEEDaPvRmT3_T4_T5_mT6_P12ihipStream_tbENKUlT_T0_E_clISt17integral_constantIbLb0EEST_IbLb1EEEEDaSP_SQ_EUlSP_E_NS1_11comp_targetILNS1_3genE5ELNS1_11target_archE942ELNS1_3gpuE9ELNS1_3repE0EEENS1_30default_config_static_selectorELNS0_4arch9wavefront6targetE1EEEvT1_,@function
_ZN7rocprim17ROCPRIM_400000_NS6detail17trampoline_kernelINS0_14default_configENS1_20scan_config_selectorIdEEZZNS1_9scan_implILNS1_25lookback_scan_determinismE0ELb1ELb1ES3_N6thrust23THRUST_200600_302600_NS6detail15normal_iteratorINS9_10device_ptrIdEEEESE_dNS9_4plusIvEEdEEDaPvRmT3_T4_T5_mT6_P12ihipStream_tbENKUlT_T0_E_clISt17integral_constantIbLb0EEST_IbLb1EEEEDaSP_SQ_EUlSP_E_NS1_11comp_targetILNS1_3genE5ELNS1_11target_archE942ELNS1_3gpuE9ELNS1_3repE0EEENS1_30default_config_static_selectorELNS0_4arch9wavefront6targetE1EEEvT1_: ; @_ZN7rocprim17ROCPRIM_400000_NS6detail17trampoline_kernelINS0_14default_configENS1_20scan_config_selectorIdEEZZNS1_9scan_implILNS1_25lookback_scan_determinismE0ELb1ELb1ES3_N6thrust23THRUST_200600_302600_NS6detail15normal_iteratorINS9_10device_ptrIdEEEESE_dNS9_4plusIvEEdEEDaPvRmT3_T4_T5_mT6_P12ihipStream_tbENKUlT_T0_E_clISt17integral_constantIbLb0EEST_IbLb1EEEEDaSP_SQ_EUlSP_E_NS1_11comp_targetILNS1_3genE5ELNS1_11target_archE942ELNS1_3gpuE9ELNS1_3repE0EEENS1_30default_config_static_selectorELNS0_4arch9wavefront6targetE1EEEvT1_
; %bb.0:
	.section	.rodata,"a",@progbits
	.p2align	6, 0x0
	.amdhsa_kernel _ZN7rocprim17ROCPRIM_400000_NS6detail17trampoline_kernelINS0_14default_configENS1_20scan_config_selectorIdEEZZNS1_9scan_implILNS1_25lookback_scan_determinismE0ELb1ELb1ES3_N6thrust23THRUST_200600_302600_NS6detail15normal_iteratorINS9_10device_ptrIdEEEESE_dNS9_4plusIvEEdEEDaPvRmT3_T4_T5_mT6_P12ihipStream_tbENKUlT_T0_E_clISt17integral_constantIbLb0EEST_IbLb1EEEEDaSP_SQ_EUlSP_E_NS1_11comp_targetILNS1_3genE5ELNS1_11target_archE942ELNS1_3gpuE9ELNS1_3repE0EEENS1_30default_config_static_selectorELNS0_4arch9wavefront6targetE1EEEvT1_
		.amdhsa_group_segment_fixed_size 0
		.amdhsa_private_segment_fixed_size 0
		.amdhsa_kernarg_size 104
		.amdhsa_user_sgpr_count 6
		.amdhsa_user_sgpr_private_segment_buffer 1
		.amdhsa_user_sgpr_dispatch_ptr 0
		.amdhsa_user_sgpr_queue_ptr 0
		.amdhsa_user_sgpr_kernarg_segment_ptr 1
		.amdhsa_user_sgpr_dispatch_id 0
		.amdhsa_user_sgpr_flat_scratch_init 0
		.amdhsa_user_sgpr_kernarg_preload_length 0
		.amdhsa_user_sgpr_kernarg_preload_offset 0
		.amdhsa_user_sgpr_private_segment_size 0
		.amdhsa_uses_dynamic_stack 0
		.amdhsa_system_sgpr_private_segment_wavefront_offset 0
		.amdhsa_system_sgpr_workgroup_id_x 1
		.amdhsa_system_sgpr_workgroup_id_y 0
		.amdhsa_system_sgpr_workgroup_id_z 0
		.amdhsa_system_sgpr_workgroup_info 0
		.amdhsa_system_vgpr_workitem_id 0
		.amdhsa_next_free_vgpr 1
		.amdhsa_next_free_sgpr 0
		.amdhsa_accum_offset 4
		.amdhsa_reserve_vcc 0
		.amdhsa_reserve_flat_scratch 0
		.amdhsa_float_round_mode_32 0
		.amdhsa_float_round_mode_16_64 0
		.amdhsa_float_denorm_mode_32 3
		.amdhsa_float_denorm_mode_16_64 3
		.amdhsa_dx10_clamp 1
		.amdhsa_ieee_mode 1
		.amdhsa_fp16_overflow 0
		.amdhsa_tg_split 0
		.amdhsa_exception_fp_ieee_invalid_op 0
		.amdhsa_exception_fp_denorm_src 0
		.amdhsa_exception_fp_ieee_div_zero 0
		.amdhsa_exception_fp_ieee_overflow 0
		.amdhsa_exception_fp_ieee_underflow 0
		.amdhsa_exception_fp_ieee_inexact 0
		.amdhsa_exception_int_div_zero 0
	.end_amdhsa_kernel
	.section	.text._ZN7rocprim17ROCPRIM_400000_NS6detail17trampoline_kernelINS0_14default_configENS1_20scan_config_selectorIdEEZZNS1_9scan_implILNS1_25lookback_scan_determinismE0ELb1ELb1ES3_N6thrust23THRUST_200600_302600_NS6detail15normal_iteratorINS9_10device_ptrIdEEEESE_dNS9_4plusIvEEdEEDaPvRmT3_T4_T5_mT6_P12ihipStream_tbENKUlT_T0_E_clISt17integral_constantIbLb0EEST_IbLb1EEEEDaSP_SQ_EUlSP_E_NS1_11comp_targetILNS1_3genE5ELNS1_11target_archE942ELNS1_3gpuE9ELNS1_3repE0EEENS1_30default_config_static_selectorELNS0_4arch9wavefront6targetE1EEEvT1_,"axG",@progbits,_ZN7rocprim17ROCPRIM_400000_NS6detail17trampoline_kernelINS0_14default_configENS1_20scan_config_selectorIdEEZZNS1_9scan_implILNS1_25lookback_scan_determinismE0ELb1ELb1ES3_N6thrust23THRUST_200600_302600_NS6detail15normal_iteratorINS9_10device_ptrIdEEEESE_dNS9_4plusIvEEdEEDaPvRmT3_T4_T5_mT6_P12ihipStream_tbENKUlT_T0_E_clISt17integral_constantIbLb0EEST_IbLb1EEEEDaSP_SQ_EUlSP_E_NS1_11comp_targetILNS1_3genE5ELNS1_11target_archE942ELNS1_3gpuE9ELNS1_3repE0EEENS1_30default_config_static_selectorELNS0_4arch9wavefront6targetE1EEEvT1_,comdat
.Lfunc_end4269:
	.size	_ZN7rocprim17ROCPRIM_400000_NS6detail17trampoline_kernelINS0_14default_configENS1_20scan_config_selectorIdEEZZNS1_9scan_implILNS1_25lookback_scan_determinismE0ELb1ELb1ES3_N6thrust23THRUST_200600_302600_NS6detail15normal_iteratorINS9_10device_ptrIdEEEESE_dNS9_4plusIvEEdEEDaPvRmT3_T4_T5_mT6_P12ihipStream_tbENKUlT_T0_E_clISt17integral_constantIbLb0EEST_IbLb1EEEEDaSP_SQ_EUlSP_E_NS1_11comp_targetILNS1_3genE5ELNS1_11target_archE942ELNS1_3gpuE9ELNS1_3repE0EEENS1_30default_config_static_selectorELNS0_4arch9wavefront6targetE1EEEvT1_, .Lfunc_end4269-_ZN7rocprim17ROCPRIM_400000_NS6detail17trampoline_kernelINS0_14default_configENS1_20scan_config_selectorIdEEZZNS1_9scan_implILNS1_25lookback_scan_determinismE0ELb1ELb1ES3_N6thrust23THRUST_200600_302600_NS6detail15normal_iteratorINS9_10device_ptrIdEEEESE_dNS9_4plusIvEEdEEDaPvRmT3_T4_T5_mT6_P12ihipStream_tbENKUlT_T0_E_clISt17integral_constantIbLb0EEST_IbLb1EEEEDaSP_SQ_EUlSP_E_NS1_11comp_targetILNS1_3genE5ELNS1_11target_archE942ELNS1_3gpuE9ELNS1_3repE0EEENS1_30default_config_static_selectorELNS0_4arch9wavefront6targetE1EEEvT1_
                                        ; -- End function
	.section	.AMDGPU.csdata,"",@progbits
; Kernel info:
; codeLenInByte = 0
; NumSgprs: 4
; NumVgprs: 0
; NumAgprs: 0
; TotalNumVgprs: 0
; ScratchSize: 0
; MemoryBound: 0
; FloatMode: 240
; IeeeMode: 1
; LDSByteSize: 0 bytes/workgroup (compile time only)
; SGPRBlocks: 0
; VGPRBlocks: 0
; NumSGPRsForWavesPerEU: 4
; NumVGPRsForWavesPerEU: 1
; AccumOffset: 4
; Occupancy: 8
; WaveLimiterHint : 0
; COMPUTE_PGM_RSRC2:SCRATCH_EN: 0
; COMPUTE_PGM_RSRC2:USER_SGPR: 6
; COMPUTE_PGM_RSRC2:TRAP_HANDLER: 0
; COMPUTE_PGM_RSRC2:TGID_X_EN: 1
; COMPUTE_PGM_RSRC2:TGID_Y_EN: 0
; COMPUTE_PGM_RSRC2:TGID_Z_EN: 0
; COMPUTE_PGM_RSRC2:TIDIG_COMP_CNT: 0
; COMPUTE_PGM_RSRC3_GFX90A:ACCUM_OFFSET: 0
; COMPUTE_PGM_RSRC3_GFX90A:TG_SPLIT: 0
	.section	.text._ZN7rocprim17ROCPRIM_400000_NS6detail17trampoline_kernelINS0_14default_configENS1_20scan_config_selectorIdEEZZNS1_9scan_implILNS1_25lookback_scan_determinismE0ELb1ELb1ES3_N6thrust23THRUST_200600_302600_NS6detail15normal_iteratorINS9_10device_ptrIdEEEESE_dNS9_4plusIvEEdEEDaPvRmT3_T4_T5_mT6_P12ihipStream_tbENKUlT_T0_E_clISt17integral_constantIbLb0EEST_IbLb1EEEEDaSP_SQ_EUlSP_E_NS1_11comp_targetILNS1_3genE4ELNS1_11target_archE910ELNS1_3gpuE8ELNS1_3repE0EEENS1_30default_config_static_selectorELNS0_4arch9wavefront6targetE1EEEvT1_,"axG",@progbits,_ZN7rocprim17ROCPRIM_400000_NS6detail17trampoline_kernelINS0_14default_configENS1_20scan_config_selectorIdEEZZNS1_9scan_implILNS1_25lookback_scan_determinismE0ELb1ELb1ES3_N6thrust23THRUST_200600_302600_NS6detail15normal_iteratorINS9_10device_ptrIdEEEESE_dNS9_4plusIvEEdEEDaPvRmT3_T4_T5_mT6_P12ihipStream_tbENKUlT_T0_E_clISt17integral_constantIbLb0EEST_IbLb1EEEEDaSP_SQ_EUlSP_E_NS1_11comp_targetILNS1_3genE4ELNS1_11target_archE910ELNS1_3gpuE8ELNS1_3repE0EEENS1_30default_config_static_selectorELNS0_4arch9wavefront6targetE1EEEvT1_,comdat
	.protected	_ZN7rocprim17ROCPRIM_400000_NS6detail17trampoline_kernelINS0_14default_configENS1_20scan_config_selectorIdEEZZNS1_9scan_implILNS1_25lookback_scan_determinismE0ELb1ELb1ES3_N6thrust23THRUST_200600_302600_NS6detail15normal_iteratorINS9_10device_ptrIdEEEESE_dNS9_4plusIvEEdEEDaPvRmT3_T4_T5_mT6_P12ihipStream_tbENKUlT_T0_E_clISt17integral_constantIbLb0EEST_IbLb1EEEEDaSP_SQ_EUlSP_E_NS1_11comp_targetILNS1_3genE4ELNS1_11target_archE910ELNS1_3gpuE8ELNS1_3repE0EEENS1_30default_config_static_selectorELNS0_4arch9wavefront6targetE1EEEvT1_ ; -- Begin function _ZN7rocprim17ROCPRIM_400000_NS6detail17trampoline_kernelINS0_14default_configENS1_20scan_config_selectorIdEEZZNS1_9scan_implILNS1_25lookback_scan_determinismE0ELb1ELb1ES3_N6thrust23THRUST_200600_302600_NS6detail15normal_iteratorINS9_10device_ptrIdEEEESE_dNS9_4plusIvEEdEEDaPvRmT3_T4_T5_mT6_P12ihipStream_tbENKUlT_T0_E_clISt17integral_constantIbLb0EEST_IbLb1EEEEDaSP_SQ_EUlSP_E_NS1_11comp_targetILNS1_3genE4ELNS1_11target_archE910ELNS1_3gpuE8ELNS1_3repE0EEENS1_30default_config_static_selectorELNS0_4arch9wavefront6targetE1EEEvT1_
	.globl	_ZN7rocprim17ROCPRIM_400000_NS6detail17trampoline_kernelINS0_14default_configENS1_20scan_config_selectorIdEEZZNS1_9scan_implILNS1_25lookback_scan_determinismE0ELb1ELb1ES3_N6thrust23THRUST_200600_302600_NS6detail15normal_iteratorINS9_10device_ptrIdEEEESE_dNS9_4plusIvEEdEEDaPvRmT3_T4_T5_mT6_P12ihipStream_tbENKUlT_T0_E_clISt17integral_constantIbLb0EEST_IbLb1EEEEDaSP_SQ_EUlSP_E_NS1_11comp_targetILNS1_3genE4ELNS1_11target_archE910ELNS1_3gpuE8ELNS1_3repE0EEENS1_30default_config_static_selectorELNS0_4arch9wavefront6targetE1EEEvT1_
	.p2align	8
	.type	_ZN7rocprim17ROCPRIM_400000_NS6detail17trampoline_kernelINS0_14default_configENS1_20scan_config_selectorIdEEZZNS1_9scan_implILNS1_25lookback_scan_determinismE0ELb1ELb1ES3_N6thrust23THRUST_200600_302600_NS6detail15normal_iteratorINS9_10device_ptrIdEEEESE_dNS9_4plusIvEEdEEDaPvRmT3_T4_T5_mT6_P12ihipStream_tbENKUlT_T0_E_clISt17integral_constantIbLb0EEST_IbLb1EEEEDaSP_SQ_EUlSP_E_NS1_11comp_targetILNS1_3genE4ELNS1_11target_archE910ELNS1_3gpuE8ELNS1_3repE0EEENS1_30default_config_static_selectorELNS0_4arch9wavefront6targetE1EEEvT1_,@function
_ZN7rocprim17ROCPRIM_400000_NS6detail17trampoline_kernelINS0_14default_configENS1_20scan_config_selectorIdEEZZNS1_9scan_implILNS1_25lookback_scan_determinismE0ELb1ELb1ES3_N6thrust23THRUST_200600_302600_NS6detail15normal_iteratorINS9_10device_ptrIdEEEESE_dNS9_4plusIvEEdEEDaPvRmT3_T4_T5_mT6_P12ihipStream_tbENKUlT_T0_E_clISt17integral_constantIbLb0EEST_IbLb1EEEEDaSP_SQ_EUlSP_E_NS1_11comp_targetILNS1_3genE4ELNS1_11target_archE910ELNS1_3gpuE8ELNS1_3repE0EEENS1_30default_config_static_selectorELNS0_4arch9wavefront6targetE1EEEvT1_: ; @_ZN7rocprim17ROCPRIM_400000_NS6detail17trampoline_kernelINS0_14default_configENS1_20scan_config_selectorIdEEZZNS1_9scan_implILNS1_25lookback_scan_determinismE0ELb1ELb1ES3_N6thrust23THRUST_200600_302600_NS6detail15normal_iteratorINS9_10device_ptrIdEEEESE_dNS9_4plusIvEEdEEDaPvRmT3_T4_T5_mT6_P12ihipStream_tbENKUlT_T0_E_clISt17integral_constantIbLb0EEST_IbLb1EEEEDaSP_SQ_EUlSP_E_NS1_11comp_targetILNS1_3genE4ELNS1_11target_archE910ELNS1_3gpuE8ELNS1_3repE0EEENS1_30default_config_static_selectorELNS0_4arch9wavefront6targetE1EEEvT1_
; %bb.0:
	s_load_dwordx8 s[20:27], s[4:5], 0x0
	s_load_dwordx2 s[30:31], s[4:5], 0x20
	s_load_dwordx2 s[28:29], s[4:5], 0x30
	v_cmp_eq_u32_e64 s[0:1], 0, v0
	s_and_saveexec_b64 s[2:3], s[0:1]
	s_cbranch_execz .LBB4270_4
; %bb.1:
	s_mov_b64 s[8:9], exec
	v_mbcnt_lo_u32_b32 v1, s8, 0
	v_mbcnt_hi_u32_b32 v1, s9, v1
	v_cmp_eq_u32_e32 vcc, 0, v1
                                        ; implicit-def: $vgpr2
	s_and_saveexec_b64 s[6:7], vcc
	s_cbranch_execz .LBB4270_3
; %bb.2:
	s_load_dwordx2 s[10:11], s[4:5], 0x60
	s_bcnt1_i32_b64 s8, s[8:9]
	v_mov_b32_e32 v2, 0
	v_mov_b32_e32 v3, s8
	s_waitcnt lgkmcnt(0)
	global_atomic_add v2, v2, v3, s[10:11] glc
.LBB4270_3:
	s_or_b64 exec, exec, s[6:7]
	s_waitcnt vmcnt(0)
	v_readfirstlane_b32 s6, v2
	v_add_u32_e32 v1, s6, v1
	v_mov_b32_e32 v2, 0
	ds_write_b32 v2, v1
.LBB4270_4:
	s_or_b64 exec, exec, s[2:3]
	s_load_dword s2, s[4:5], 0x38
	s_load_dwordx8 s[12:19], s[4:5], 0x40
	v_mov_b32_e32 v1, 0
	s_waitcnt lgkmcnt(0)
	s_barrier
	ds_read_b32 v1, v1
	s_lshl_b64 s[22:23], s[22:23], 3
	s_add_u32 s37, s20, s22
	s_addc_u32 s38, s21, s23
	s_add_i32 s2, s2, -1
	s_mul_i32 s3, s2, 0x500
	s_sub_u32 s33, s26, s3
	s_waitcnt lgkmcnt(0)
	v_readfirstlane_b32 s39, v1
	s_subb_u32 s36, s27, 0
	s_mul_i32 s4, s39, 0x500
	s_mov_b32 s5, 0
	s_cmp_lg_u32 s39, s2
	s_cselect_b64 s[20:21], -1, 0
	s_lshl_b64 s[26:27], s[4:5], 3
	s_add_u32 s4, s37, s26
	s_addc_u32 s5, s38, s27
	s_mov_b64 s[2:3], -1
	s_and_b64 vcc, exec, s[20:21]
	v_lshlrev_b32_e32 v44, 3, v0
	s_barrier
	s_cbranch_vccz .LBB4270_6
; %bb.5:
	v_mov_b32_e32 v1, s5
	v_add_co_u32_e32 v2, vcc, s4, v44
	v_addc_co_u32_e32 v3, vcc, 0, v1, vcc
	v_add_co_u32_e32 v12, vcc, 0x1000, v2
	v_addc_co_u32_e32 v13, vcc, 0, v3, vcc
	flat_load_dwordx2 v[4:5], v[2:3]
	flat_load_dwordx2 v[6:7], v[2:3] offset:1024
	flat_load_dwordx2 v[8:9], v[2:3] offset:2048
	;; [unrolled: 1-line block ×3, first 2 shown]
	v_add_co_u32_e32 v2, vcc, 0x2000, v2
	v_addc_co_u32_e32 v3, vcc, 0, v3, vcc
	flat_load_dwordx2 v[14:15], v[12:13]
	flat_load_dwordx2 v[16:17], v[12:13] offset:1024
	flat_load_dwordx2 v[18:19], v[12:13] offset:2048
	;; [unrolled: 1-line block ×3, first 2 shown]
	s_nop 0
	flat_load_dwordx2 v[12:13], v[2:3]
	flat_load_dwordx2 v[22:23], v[2:3] offset:1024
	s_mov_b64 s[2:3], 0
	s_waitcnt vmcnt(0) lgkmcnt(0)
	ds_write2st64_b64 v44, v[4:5], v[6:7] offset1:2
	ds_write2st64_b64 v44, v[8:9], v[10:11] offset0:4 offset1:6
	ds_write2st64_b64 v44, v[14:15], v[16:17] offset0:8 offset1:10
	;; [unrolled: 1-line block ×4, first 2 shown]
	s_waitcnt lgkmcnt(0)
	s_barrier
.LBB4270_6:
	s_andn2_b64 vcc, exec, s[2:3]
	v_cmp_gt_u32_e64 s[2:3], s33, v0
	s_cbranch_vccnz .LBB4270_28
; %bb.7:
	v_pk_mov_b32 v[2:3], s[4:5], s[4:5] op_sel:[0,1]
	flat_load_dwordx2 v[2:3], v[2:3]
	s_waitcnt vmcnt(0) lgkmcnt(0)
	v_mov_b32_e32 v4, v2
	v_mov_b32_e32 v5, v3
	;; [unrolled: 1-line block ×16, first 2 shown]
	v_pk_mov_b32 v[34:35], v[30:31], v[30:31] op_sel:[0,1]
	v_pk_mov_b32 v[32:33], v[28:29], v[28:29] op_sel:[0,1]
	;; [unrolled: 1-line block ×16, first 2 shown]
	s_and_saveexec_b64 s[6:7], s[2:3]
	s_cbranch_execz .LBB4270_9
; %bb.8:
	v_mov_b32_e32 v1, s5
	v_add_co_u32_e32 v4, vcc, s4, v44
	v_addc_co_u32_e32 v5, vcc, 0, v1, vcc
	flat_load_dwordx2 v[36:37], v[4:5]
	v_mov_b32_e32 v4, v2
	v_mov_b32_e32 v5, v3
	;; [unrolled: 1-line block ×16, first 2 shown]
	v_pk_mov_b32 v[34:35], v[30:31], v[30:31] op_sel:[0,1]
	v_pk_mov_b32 v[32:33], v[28:29], v[28:29] op_sel:[0,1]
	;; [unrolled: 1-line block ×16, first 2 shown]
	s_waitcnt vmcnt(0) lgkmcnt(0)
	v_pk_mov_b32 v[2:3], v[36:37], v[36:37] op_sel:[0,1]
.LBB4270_9:
	s_or_b64 exec, exec, s[6:7]
	v_or_b32_e32 v1, 0x80, v0
	v_cmp_gt_u32_e32 vcc, s33, v1
	s_and_saveexec_b64 s[2:3], vcc
	s_cbranch_execz .LBB4270_11
; %bb.10:
	v_mov_b32_e32 v1, s5
	v_add_co_u32_e32 v4, vcc, s4, v44
	v_addc_co_u32_e32 v5, vcc, 0, v1, vcc
	flat_load_dwordx2 v[6:7], v[4:5] offset:1024
.LBB4270_11:
	s_or_b64 exec, exec, s[2:3]
	v_or_b32_e32 v1, 0x100, v0
	v_cmp_gt_u32_e32 vcc, s33, v1
	s_and_saveexec_b64 s[2:3], vcc
	s_cbranch_execz .LBB4270_13
; %bb.12:
	v_mov_b32_e32 v1, s5
	v_add_co_u32_e32 v4, vcc, s4, v44
	v_addc_co_u32_e32 v5, vcc, 0, v1, vcc
	flat_load_dwordx2 v[8:9], v[4:5] offset:2048
.LBB4270_13:
	s_or_b64 exec, exec, s[2:3]
	v_or_b32_e32 v1, 0x180, v0
	v_cmp_gt_u32_e32 vcc, s33, v1
	s_and_saveexec_b64 s[2:3], vcc
	s_cbranch_execz .LBB4270_15
; %bb.14:
	v_mov_b32_e32 v1, s5
	v_add_co_u32_e32 v4, vcc, s4, v44
	v_addc_co_u32_e32 v5, vcc, 0, v1, vcc
	flat_load_dwordx2 v[10:11], v[4:5] offset:3072
.LBB4270_15:
	s_or_b64 exec, exec, s[2:3]
	v_or_b32_e32 v1, 0x200, v0
	v_cmp_gt_u32_e32 vcc, s33, v1
	s_and_saveexec_b64 s[2:3], vcc
	s_cbranch_execz .LBB4270_17
; %bb.16:
	v_lshlrev_b32_e32 v1, 3, v1
	v_mov_b32_e32 v5, s5
	v_add_co_u32_e32 v4, vcc, s4, v1
	v_addc_co_u32_e32 v5, vcc, 0, v5, vcc
	flat_load_dwordx2 v[12:13], v[4:5]
.LBB4270_17:
	s_or_b64 exec, exec, s[2:3]
	v_or_b32_e32 v1, 0x280, v0
	v_cmp_gt_u32_e32 vcc, s33, v1
	s_and_saveexec_b64 s[2:3], vcc
	s_cbranch_execz .LBB4270_19
; %bb.18:
	v_lshlrev_b32_e32 v1, 3, v1
	v_mov_b32_e32 v5, s5
	v_add_co_u32_e32 v4, vcc, s4, v1
	v_addc_co_u32_e32 v5, vcc, 0, v5, vcc
	flat_load_dwordx2 v[14:15], v[4:5]
.LBB4270_19:
	;; [unrolled: 12-line block ×6, first 2 shown]
	s_or_b64 exec, exec, s[2:3]
	s_waitcnt vmcnt(0) lgkmcnt(0)
	ds_write2st64_b64 v44, v[2:3], v[6:7] offset1:2
	ds_write2st64_b64 v44, v[8:9], v[10:11] offset0:4 offset1:6
	ds_write2st64_b64 v44, v[12:13], v[14:15] offset0:8 offset1:10
	;; [unrolled: 1-line block ×4, first 2 shown]
	s_waitcnt lgkmcnt(0)
	s_barrier
.LBB4270_28:
	v_mul_u32_u24_e32 v45, 10, v0
	v_lshlrev_b32_e32 v46, 3, v45
	ds_read_b128 v[14:17], v46
	ds_read_b128 v[10:13], v46 offset:16
	ds_read_b128 v[6:9], v46 offset:32
	;; [unrolled: 1-line block ×4, first 2 shown]
	s_waitcnt lgkmcnt(4)
	v_add_f64 v[22:23], v[14:15], v[16:17]
	s_cmp_lg_u32 s39, 0
	s_waitcnt lgkmcnt(3)
	v_add_f64 v[42:43], v[10:11], v[22:23]
	v_mbcnt_lo_u32_b32 v1, -1, 0
	s_waitcnt lgkmcnt(0)
	s_barrier
	s_cbranch_scc0 .LBB4270_57
; %bb.29:
	v_add_f64 v[22:23], v[12:13], v[42:43]
	v_add_f64 v[22:23], v[6:7], v[22:23]
	;; [unrolled: 1-line block ×7, first 2 shown]
	v_mbcnt_hi_u32_b32 v33, -1, v1
	v_and_b32_e32 v28, 15, v33
	v_mov_b32_dpp v24, v22 row_shr:1 row_mask:0xf bank_mask:0xf
	v_mov_b32_dpp v25, v23 row_shr:1 row_mask:0xf bank_mask:0xf
	v_add_f64 v[24:25], v[22:23], v[24:25]
	v_cmp_eq_u32_e32 vcc, 0, v28
	v_cndmask_b32_e32 v24, v24, v22, vcc
	v_cndmask_b32_e32 v25, v25, v23, vcc
	v_cmp_lt_u32_e32 vcc, 1, v28
	v_mov_b32_dpp v26, v24 row_shr:2 row_mask:0xf bank_mask:0xf
	v_mov_b32_dpp v27, v25 row_shr:2 row_mask:0xf bank_mask:0xf
	v_add_f64 v[26:27], v[24:25], v[26:27]
	v_cndmask_b32_e32 v24, v24, v26, vcc
	v_cndmask_b32_e32 v25, v25, v27, vcc
	v_cmp_lt_u32_e32 vcc, 3, v28
	v_mov_b32_dpp v26, v24 row_shr:4 row_mask:0xf bank_mask:0xf
	v_mov_b32_dpp v27, v25 row_shr:4 row_mask:0xf bank_mask:0xf
	v_add_f64 v[26:27], v[24:25], v[26:27]
	;; [unrolled: 6-line block ×3, first 2 shown]
	v_cndmask_b32_e32 v24, v24, v26, vcc
	v_cndmask_b32_e32 v25, v25, v27, vcc
	v_and_b32_e32 v30, 16, v33
	v_mov_b32_dpp v26, v24 row_bcast:15 row_mask:0xf bank_mask:0xf
	v_mov_b32_dpp v27, v25 row_bcast:15 row_mask:0xf bank_mask:0xf
	v_add_f64 v[28:29], v[24:25], v[26:27]
	v_cmp_eq_u32_e32 vcc, 0, v30
	v_cndmask_b32_e32 v27, v29, v25, vcc
	v_cndmask_b32_e32 v26, v28, v24, vcc
	v_cmp_eq_u32_e64 s[2:3], 0, v33
	v_mov_b32_dpp v27, v27 row_bcast:31 row_mask:0xf bank_mask:0xf
	v_mov_b32_dpp v26, v26 row_bcast:31 row_mask:0xf bank_mask:0xf
	v_cmp_ne_u32_e64 s[4:5], 0, v33
	s_and_saveexec_b64 s[6:7], s[4:5]
; %bb.30:
	v_cndmask_b32_e32 v23, v29, v25, vcc
	v_cndmask_b32_e32 v22, v28, v24, vcc
	v_add_f64 v[24:25], v[22:23], v[26:27]
	v_cmp_lt_u32_e32 vcc, 31, v33
	v_cndmask_b32_e32 v23, v23, v25, vcc
	v_cndmask_b32_e32 v22, v22, v24, vcc
; %bb.31:
	s_or_b64 exec, exec, s[6:7]
	v_or_b32_e32 v25, 63, v0
	v_lshrrev_b32_e32 v24, 6, v0
	v_cmp_eq_u32_e32 vcc, v25, v0
	s_and_saveexec_b64 s[4:5], vcc
	s_cbranch_execz .LBB4270_33
; %bb.32:
	v_lshlrev_b32_e32 v25, 3, v24
	ds_write_b64 v25, v[22:23]
.LBB4270_33:
	s_or_b64 exec, exec, s[4:5]
	v_cmp_gt_u32_e32 vcc, 2, v0
	s_waitcnt lgkmcnt(0)
	s_barrier
	s_and_saveexec_b64 s[4:5], vcc
	s_cbranch_execz .LBB4270_35
; %bb.34:
	ds_read_b64 v[26:27], v44
	v_and_b32_e32 v25, 1, v33
	v_cmp_eq_u32_e32 vcc, 0, v25
	s_waitcnt lgkmcnt(0)
	v_mov_b32_dpp v28, v26 row_shr:1 row_mask:0xf bank_mask:0xf
	v_mov_b32_dpp v29, v27 row_shr:1 row_mask:0xf bank_mask:0xf
	v_add_f64 v[28:29], v[26:27], v[28:29]
	v_cndmask_b32_e32 v27, v29, v27, vcc
	v_cndmask_b32_e32 v26, v28, v26, vcc
	ds_write_b64 v44, v[26:27]
.LBB4270_35:
	s_or_b64 exec, exec, s[4:5]
	v_cmp_gt_u32_e32 vcc, 64, v0
	v_cmp_lt_u32_e64 s[4:5], 63, v0
	s_waitcnt lgkmcnt(0)
	s_barrier
	s_waitcnt lgkmcnt(0)
                                        ; implicit-def: $vgpr30_vgpr31
	s_and_saveexec_b64 s[6:7], s[4:5]
	s_cbranch_execz .LBB4270_37
; %bb.36:
	v_lshl_add_u32 v24, v24, 3, -8
	ds_read_b64 v[30:31], v24
	s_waitcnt lgkmcnt(0)
	v_add_f64 v[22:23], v[22:23], v[30:31]
.LBB4270_37:
	s_or_b64 exec, exec, s[6:7]
	v_add_u32_e32 v24, -1, v33
	v_and_b32_e32 v25, 64, v33
	v_cmp_lt_i32_e64 s[4:5], v24, v25
	v_cndmask_b32_e64 v24, v24, v33, s[4:5]
	v_lshlrev_b32_e32 v24, 2, v24
	ds_bpermute_b32 v38, v24, v22
	ds_bpermute_b32 v39, v24, v23
	s_and_saveexec_b64 s[34:35], vcc
	s_cbranch_execz .LBB4270_56
; %bb.38:
	v_mov_b32_e32 v25, 0
	ds_read_b64 v[22:23], v25 offset:8
	s_and_saveexec_b64 s[4:5], s[2:3]
	s_cbranch_execz .LBB4270_40
; %bb.39:
	s_add_i32 s6, s39, 64
	s_mov_b32 s7, 0
	s_lshl_b64 s[6:7], s[6:7], 4
	s_add_u32 s6, s28, s6
	s_addc_u32 s7, s29, s7
	v_mov_b32_e32 v24, 1
	v_pk_mov_b32 v[26:27], s[6:7], s[6:7] op_sel:[0,1]
	s_waitcnt lgkmcnt(0)
	;;#ASMSTART
	global_store_dwordx4 v[26:27], v[22:25] off	
s_waitcnt vmcnt(0)
	;;#ASMEND
.LBB4270_40:
	s_or_b64 exec, exec, s[4:5]
	v_xad_u32 v32, v33, -1, s39
	v_add_u32_e32 v24, 64, v32
	v_lshlrev_b64 v[26:27], 4, v[24:25]
	v_mov_b32_e32 v24, s29
	v_add_co_u32_e32 v34, vcc, s28, v26
	v_addc_co_u32_e32 v35, vcc, v24, v27, vcc
	;;#ASMSTART
	global_load_dwordx4 v[26:29], v[34:35] off glc	
s_waitcnt vmcnt(0)
	;;#ASMEND
	v_and_b32_e32 v24, 0xff, v27
	v_and_b32_e32 v29, 0xff00, v27
	v_or3_b32 v24, 0, v24, v29
	v_or3_b32 v26, v26, 0, 0
	v_and_b32_e32 v29, 0xff000000, v27
	v_and_b32_e32 v27, 0xff0000, v27
	v_or3_b32 v27, v24, v27, v29
	v_or3_b32 v26, v26, 0, 0
	v_cmp_eq_u16_sdwa s[6:7], v28, v25 src0_sel:BYTE_0 src1_sel:DWORD
	s_and_saveexec_b64 s[4:5], s[6:7]
	s_cbranch_execz .LBB4270_44
; %bb.41:
	s_mov_b64 s[6:7], 0
	v_mov_b32_e32 v24, 0
.LBB4270_42:                            ; =>This Inner Loop Header: Depth=1
	;;#ASMSTART
	global_load_dwordx4 v[26:29], v[34:35] off glc	
s_waitcnt vmcnt(0)
	;;#ASMEND
	v_cmp_ne_u16_sdwa s[8:9], v28, v24 src0_sel:BYTE_0 src1_sel:DWORD
	s_or_b64 s[6:7], s[8:9], s[6:7]
	s_andn2_b64 exec, exec, s[6:7]
	s_cbranch_execnz .LBB4270_42
; %bb.43:
	s_or_b64 exec, exec, s[6:7]
.LBB4270_44:
	s_or_b64 exec, exec, s[4:5]
	v_and_b32_e32 v41, 63, v33
	v_cmp_ne_u32_e32 vcc, 63, v41
	v_mov_b32_e32 v40, 2
	v_addc_co_u32_e32 v34, vcc, 0, v33, vcc
	v_cmp_eq_u16_sdwa s[4:5], v28, v40 src0_sel:BYTE_0 src1_sel:DWORD
	v_lshlrev_b64 v[24:25], v33, -1
	v_lshlrev_b32_e32 v47, 2, v34
	v_and_b32_e32 v29, s5, v25
	ds_bpermute_b32 v34, v47, v26
	ds_bpermute_b32 v35, v47, v27
	v_or_b32_e32 v29, 0x80000000, v29
	v_and_b32_e32 v36, s4, v24
	v_ffbl_b32_e32 v29, v29
	v_add_u32_e32 v29, 32, v29
	v_ffbl_b32_e32 v36, v36
	v_cmp_gt_u32_e64 s[4:5], 62, v41
	v_min_u32_e32 v29, v36, v29
	v_cndmask_b32_e64 v36, 0, 1, s[4:5]
	s_waitcnt lgkmcnt(0)
	v_add_f64 v[34:35], v[26:27], v[34:35]
	v_cmp_lt_u32_e32 vcc, v41, v29
	v_lshlrev_b32_e32 v36, 1, v36
	v_cndmask_b32_e32 v34, v26, v34, vcc
	v_cndmask_b32_e32 v35, v27, v35, vcc
	v_add_lshl_u32 v48, v36, v33, 2
	ds_bpermute_b32 v36, v48, v34
	ds_bpermute_b32 v37, v48, v35
	v_add_u32_e32 v49, 2, v41
	v_cmp_gt_u32_e64 s[4:5], v49, v29
	v_cmp_gt_u32_e64 s[6:7], 56, v41
	v_add_u32_e32 v51, 4, v41
	s_waitcnt lgkmcnt(0)
	v_add_f64 v[36:37], v[34:35], v[36:37]
	v_cndmask_b32_e64 v34, v36, v34, s[4:5]
	v_cndmask_b32_e64 v35, v37, v35, s[4:5]
	v_cmp_gt_u32_e64 s[4:5], 60, v41
	v_cndmask_b32_e64 v36, 0, 1, s[4:5]
	v_lshlrev_b32_e32 v36, 2, v36
	v_add_lshl_u32 v50, v36, v33, 2
	ds_bpermute_b32 v36, v50, v34
	ds_bpermute_b32 v37, v50, v35
	v_cndmask_b32_e64 v52, 0, 1, s[6:7]
	v_cmp_gt_u32_e64 s[4:5], v51, v29
	v_lshlrev_b32_e32 v52, 3, v52
	v_add_lshl_u32 v52, v52, v33, 2
	s_waitcnt lgkmcnt(0)
	v_add_f64 v[36:37], v[34:35], v[36:37]
	v_cndmask_b32_e64 v54, v36, v34, s[4:5]
	v_cndmask_b32_e64 v55, v37, v35, s[4:5]
	ds_bpermute_b32 v56, v52, v54
	ds_bpermute_b32 v57, v52, v55
	v_add_u32_e32 v53, 8, v41
	v_cmp_gt_u32_e64 s[6:7], v53, v29
	v_cmp_gt_u32_e64 s[8:9], 48, v41
	;; [unrolled: 1-line block ×3, first 2 shown]
	s_waitcnt lgkmcnt(0)
	v_add_f64 v[58:59], v[54:55], v[56:57]
	v_cndmask_b32_e64 v56, v58, v54, s[6:7]
	v_cndmask_b32_e64 v54, 0, 1, s[8:9]
	v_lshlrev_b32_e32 v54, 4, v54
	v_cndmask_b32_e64 v57, v59, v55, s[6:7]
	v_add_lshl_u32 v54, v54, v33, 2
	ds_bpermute_b32 v60, v54, v56
	ds_bpermute_b32 v61, v54, v57
	v_add_u32_e32 v55, 16, v41
	v_cmp_gt_u32_e64 s[8:9], v55, v29
	v_cndmask_b32_e32 v27, v27, v35, vcc
	v_cndmask_b32_e32 v26, v26, v34, vcc
	s_waitcnt lgkmcnt(0)
	v_add_f64 v[60:61], v[56:57], v[60:61]
	v_cndmask_b32_e64 v62, v60, v56, s[8:9]
	v_cndmask_b32_e64 v56, 0, 1, s[10:11]
	v_lshlrev_b32_e32 v56, 5, v56
	v_add_lshl_u32 v56, v56, v33, 2
	v_cndmask_b32_e64 v63, v61, v57, s[8:9]
	ds_bpermute_b32 v64, v56, v62
	ds_bpermute_b32 v65, v56, v63
	v_cndmask_b32_e64 v26, v36, v26, s[4:5]
	v_cndmask_b32_e64 v27, v37, v27, s[4:5]
	v_add_u32_e32 v57, 32, v41
	v_cndmask_b32_e64 v27, v59, v27, s[6:7]
	v_cndmask_b32_e64 v26, v58, v26, s[6:7]
	s_waitcnt lgkmcnt(0)
	v_add_f64 v[62:63], v[62:63], v[64:65]
	v_cndmask_b32_e64 v26, v60, v26, s[8:9]
	v_cndmask_b32_e64 v27, v61, v27, s[8:9]
	v_cmp_gt_u32_e32 vcc, v57, v29
	v_cndmask_b32_e32 v27, v63, v27, vcc
	v_cndmask_b32_e32 v26, v62, v26, vcc
	v_mov_b32_e32 v33, 0
	s_branch .LBB4270_46
.LBB4270_45:                            ;   in Loop: Header=BB4270_46 Depth=1
	s_or_b64 exec, exec, s[4:5]
	v_cmp_eq_u16_sdwa s[4:5], v28, v40 src0_sel:BYTE_0 src1_sel:DWORD
	v_and_b32_e32 v29, s5, v25
	ds_bpermute_b32 v36, v47, v26
	ds_bpermute_b32 v37, v47, v27
	v_or_b32_e32 v29, 0x80000000, v29
	v_and_b32_e32 v58, s4, v24
	v_ffbl_b32_e32 v29, v29
	v_add_u32_e32 v29, 32, v29
	v_ffbl_b32_e32 v58, v58
	v_min_u32_e32 v29, v58, v29
	s_waitcnt lgkmcnt(0)
	v_add_f64 v[36:37], v[26:27], v[36:37]
	v_cmp_lt_u32_e32 vcc, v41, v29
	v_cndmask_b32_e32 v36, v26, v36, vcc
	v_cndmask_b32_e32 v37, v27, v37, vcc
	ds_bpermute_b32 v58, v48, v36
	ds_bpermute_b32 v59, v48, v37
	v_cmp_gt_u32_e64 s[4:5], v49, v29
	v_cmp_gt_u32_e64 s[6:7], v53, v29
	;; [unrolled: 1-line block ×3, first 2 shown]
	v_subrev_u32_e32 v32, 64, v32
	s_waitcnt lgkmcnt(0)
	v_add_f64 v[58:59], v[36:37], v[58:59]
	v_cndmask_b32_e64 v36, v58, v36, s[4:5]
	v_cndmask_b32_e64 v37, v59, v37, s[4:5]
	ds_bpermute_b32 v58, v50, v36
	ds_bpermute_b32 v59, v50, v37
	v_cmp_gt_u32_e64 s[4:5], v51, v29
	v_cndmask_b32_e32 v27, v27, v37, vcc
	v_cndmask_b32_e32 v26, v26, v36, vcc
	v_cmp_gt_u32_e32 vcc, v57, v29
	s_waitcnt lgkmcnt(0)
	v_add_f64 v[58:59], v[36:37], v[58:59]
	v_cndmask_b32_e64 v60, v58, v36, s[4:5]
	v_cndmask_b32_e64 v61, v59, v37, s[4:5]
	ds_bpermute_b32 v62, v52, v60
	ds_bpermute_b32 v63, v52, v61
	v_cndmask_b32_e64 v26, v58, v26, s[4:5]
	v_cndmask_b32_e64 v27, v59, v27, s[4:5]
	s_waitcnt lgkmcnt(0)
	v_add_f64 v[62:63], v[60:61], v[62:63]
	v_cndmask_b32_e64 v60, v62, v60, s[6:7]
	v_cndmask_b32_e64 v61, v63, v61, s[6:7]
	ds_bpermute_b32 v64, v54, v60
	ds_bpermute_b32 v65, v54, v61
	v_cndmask_b32_e64 v27, v63, v27, s[6:7]
	v_cndmask_b32_e64 v26, v62, v26, s[6:7]
	;; [unrolled: 8-line block ×3, first 2 shown]
	s_waitcnt lgkmcnt(0)
	v_add_f64 v[60:61], v[60:61], v[66:67]
	v_cndmask_b32_e32 v27, v61, v27, vcc
	v_cndmask_b32_e32 v26, v60, v26, vcc
	v_add_f64 v[26:27], v[34:35], v[26:27]
.LBB4270_46:                            ; =>This Loop Header: Depth=1
                                        ;     Child Loop BB4270_49 Depth 2
	v_cmp_ne_u16_sdwa s[4:5], v28, v40 src0_sel:BYTE_0 src1_sel:DWORD
	v_cndmask_b32_e64 v28, 0, 1, s[4:5]
	;;#ASMSTART
	;;#ASMEND
	v_cmp_ne_u32_e32 vcc, 0, v28
	s_cmp_lg_u64 vcc, exec
	v_pk_mov_b32 v[34:35], v[26:27], v[26:27] op_sel:[0,1]
	s_cbranch_scc1 .LBB4270_51
; %bb.47:                               ;   in Loop: Header=BB4270_46 Depth=1
	v_lshlrev_b64 v[26:27], 4, v[32:33]
	v_mov_b32_e32 v28, s29
	v_add_co_u32_e32 v36, vcc, s28, v26
	v_addc_co_u32_e32 v37, vcc, v28, v27, vcc
	;;#ASMSTART
	global_load_dwordx4 v[26:29], v[36:37] off glc	
s_waitcnt vmcnt(0)
	;;#ASMEND
	v_and_b32_e32 v29, 0xff, v27
	v_and_b32_e32 v58, 0xff00, v27
	v_or3_b32 v29, 0, v29, v58
	v_or3_b32 v26, v26, 0, 0
	v_and_b32_e32 v58, 0xff000000, v27
	v_and_b32_e32 v27, 0xff0000, v27
	v_or3_b32 v27, v29, v27, v58
	v_or3_b32 v26, v26, 0, 0
	v_cmp_eq_u16_sdwa s[6:7], v28, v33 src0_sel:BYTE_0 src1_sel:DWORD
	s_and_saveexec_b64 s[4:5], s[6:7]
	s_cbranch_execz .LBB4270_45
; %bb.48:                               ;   in Loop: Header=BB4270_46 Depth=1
	s_mov_b64 s[6:7], 0
.LBB4270_49:                            ;   Parent Loop BB4270_46 Depth=1
                                        ; =>  This Inner Loop Header: Depth=2
	;;#ASMSTART
	global_load_dwordx4 v[26:29], v[36:37] off glc	
s_waitcnt vmcnt(0)
	;;#ASMEND
	v_cmp_ne_u16_sdwa s[8:9], v28, v33 src0_sel:BYTE_0 src1_sel:DWORD
	s_or_b64 s[6:7], s[8:9], s[6:7]
	s_andn2_b64 exec, exec, s[6:7]
	s_cbranch_execnz .LBB4270_49
; %bb.50:                               ;   in Loop: Header=BB4270_46 Depth=1
	s_or_b64 exec, exec, s[6:7]
	s_branch .LBB4270_45
.LBB4270_51:                            ;   in Loop: Header=BB4270_46 Depth=1
                                        ; implicit-def: $vgpr26_vgpr27
                                        ; implicit-def: $vgpr28
	s_cbranch_execz .LBB4270_46
; %bb.52:
	s_and_saveexec_b64 s[4:5], s[2:3]
	s_cbranch_execz .LBB4270_54
; %bb.53:
	s_add_i32 s6, s39, 64
	s_mov_b32 s7, 0
	s_lshl_b64 s[6:7], s[6:7], 4
	s_add_u32 s6, s28, s6
	s_addc_u32 s7, s29, s7
	v_add_f64 v[22:23], v[22:23], v[34:35]
	v_mov_b32_e32 v24, 2
	v_mov_b32_e32 v25, 0
	v_pk_mov_b32 v[26:27], s[6:7], s[6:7] op_sel:[0,1]
	;;#ASMSTART
	global_store_dwordx4 v[26:27], v[22:25] off	
s_waitcnt vmcnt(0)
	;;#ASMEND
.LBB4270_54:
	s_or_b64 exec, exec, s[4:5]
	s_and_b64 exec, exec, s[0:1]
	s_cbranch_execz .LBB4270_56
; %bb.55:
	v_mov_b32_e32 v22, 0
	ds_write_b64 v22, v[34:35] offset:8
.LBB4270_56:
	s_or_b64 exec, exec, s[34:35]
	v_mov_b32_e32 v22, 0
	s_waitcnt lgkmcnt(0)
	s_barrier
	ds_read_b64 v[22:23], v22 offset:8
	v_cndmask_b32_e64 v25, v39, v31, s[2:3]
	v_cndmask_b32_e64 v24, v38, v30, s[2:3]
	s_waitcnt lgkmcnt(0)
	v_add_f64 v[24:25], v[24:25], v[22:23]
	v_cndmask_b32_e64 v39, v25, v23, s[0:1]
	v_cndmask_b32_e64 v38, v24, v22, s[0:1]
	v_add_f64 v[40:41], v[14:15], v[38:39]
	v_add_f64 v[34:35], v[16:17], v[40:41]
	;; [unrolled: 1-line block ×9, first 2 shown]
	s_branch .LBB4270_71
.LBB4270_57:
                                        ; implicit-def: $vgpr24_vgpr25
                                        ; implicit-def: $vgpr28_vgpr29
                                        ; implicit-def: $vgpr32_vgpr33
                                        ; implicit-def: $vgpr36_vgpr37
                                        ; implicit-def: $vgpr40_vgpr41
	s_cbranch_execz .LBB4270_71
; %bb.58:
	s_cmp_eq_u64 s[16:17], 0
	v_pk_mov_b32 v[24:25], s[30:31], s[30:31] op_sel:[0,1]
	s_cbranch_scc1 .LBB4270_60
; %bb.59:
	v_mov_b32_e32 v23, s38
	v_add_co_u32_e64 v22, vcc, -8, s37
	v_addc_co_u32_e32 v23, vcc, -1, v23, vcc
	v_mov_b32_e32 v28, 0
	flat_load_dwordx2 v[24:25], v[22:23]
	global_load_dwordx2 v[26:27], v28, s[12:13]
	s_waitcnt vmcnt(0) lgkmcnt(0)
	v_add_f64 v[24:25], v[24:25], v[26:27]
.LBB4270_60:
	v_add_f64 v[22:23], v[12:13], v[42:43]
	v_add_f64 v[22:23], v[6:7], v[22:23]
	;; [unrolled: 1-line block ×7, first 2 shown]
	v_mbcnt_hi_u32_b32 v1, -1, v1
	v_and_b32_e32 v28, 15, v1
	v_mov_b32_dpp v22, v20 row_shr:1 row_mask:0xf bank_mask:0xf
	v_mov_b32_dpp v23, v21 row_shr:1 row_mask:0xf bank_mask:0xf
	v_add_f64 v[22:23], v[20:21], v[22:23]
	v_cmp_eq_u32_e32 vcc, 0, v28
	v_cndmask_b32_e32 v22, v22, v20, vcc
	v_cndmask_b32_e32 v23, v23, v21, vcc
	v_cmp_lt_u32_e32 vcc, 1, v28
	v_mov_b32_dpp v26, v22 row_shr:2 row_mask:0xf bank_mask:0xf
	v_mov_b32_dpp v27, v23 row_shr:2 row_mask:0xf bank_mask:0xf
	v_add_f64 v[26:27], v[22:23], v[26:27]
	v_cndmask_b32_e32 v22, v22, v26, vcc
	v_cndmask_b32_e32 v23, v23, v27, vcc
	v_cmp_lt_u32_e32 vcc, 3, v28
	v_mov_b32_dpp v26, v22 row_shr:4 row_mask:0xf bank_mask:0xf
	v_mov_b32_dpp v27, v23 row_shr:4 row_mask:0xf bank_mask:0xf
	v_add_f64 v[26:27], v[22:23], v[26:27]
	v_cndmask_b32_e32 v22, v22, v26, vcc
	v_cndmask_b32_e32 v23, v23, v27, vcc
	v_cmp_lt_u32_e32 vcc, 7, v28
	v_mov_b32_dpp v26, v22 row_shr:8 row_mask:0xf bank_mask:0xf
	v_mov_b32_dpp v27, v23 row_shr:8 row_mask:0xf bank_mask:0xf
	v_add_f64 v[26:27], v[22:23], v[26:27]
	v_cndmask_b32_e32 v22, v22, v26, vcc
	v_cndmask_b32_e32 v23, v23, v27, vcc
	v_and_b32_e32 v30, 16, v1
	v_mov_b32_dpp v26, v22 row_bcast:15 row_mask:0xf bank_mask:0xf
	v_mov_b32_dpp v27, v23 row_bcast:15 row_mask:0xf bank_mask:0xf
	v_add_f64 v[28:29], v[22:23], v[26:27]
	v_cmp_eq_u32_e64 s[2:3], 0, v30
	v_cndmask_b32_e64 v27, v29, v23, s[2:3]
	v_cndmask_b32_e64 v26, v28, v22, s[2:3]
	v_cmp_eq_u32_e32 vcc, 0, v1
	v_mov_b32_dpp v27, v27 row_bcast:31 row_mask:0xf bank_mask:0xf
	v_mov_b32_dpp v26, v26 row_bcast:31 row_mask:0xf bank_mask:0xf
	v_cmp_ne_u32_e64 s[4:5], 0, v1
	s_and_saveexec_b64 s[6:7], s[4:5]
; %bb.61:
	v_cndmask_b32_e64 v21, v29, v23, s[2:3]
	v_cndmask_b32_e64 v20, v28, v22, s[2:3]
	v_add_f64 v[22:23], v[20:21], v[26:27]
	v_cmp_lt_u32_e64 s[2:3], 31, v1
	v_cndmask_b32_e64 v21, v21, v23, s[2:3]
	v_cndmask_b32_e64 v20, v20, v22, s[2:3]
; %bb.62:
	s_or_b64 exec, exec, s[6:7]
	v_or_b32_e32 v22, 63, v0
	v_lshrrev_b32_e32 v26, 6, v0
	v_cmp_eq_u32_e64 s[2:3], v22, v0
	s_and_saveexec_b64 s[4:5], s[2:3]
	s_cbranch_execz .LBB4270_64
; %bb.63:
	v_lshlrev_b32_e32 v22, 3, v26
	ds_write_b64 v22, v[20:21]
.LBB4270_64:
	s_or_b64 exec, exec, s[4:5]
	v_cmp_gt_u32_e64 s[2:3], 2, v0
	s_waitcnt lgkmcnt(0)
	s_barrier
	s_and_saveexec_b64 s[4:5], s[2:3]
	s_cbranch_execz .LBB4270_66
; %bb.65:
	s_movk_i32 s2, 0xffb8
	v_mad_i32_i24 v27, v0, s2, v46
	ds_read_b64 v[22:23], v27
	v_and_b32_e32 v30, 1, v1
	v_cmp_eq_u32_e64 s[2:3], 0, v30
	s_waitcnt lgkmcnt(0)
	v_mov_b32_dpp v28, v22 row_shr:1 row_mask:0xf bank_mask:0xf
	v_mov_b32_dpp v29, v23 row_shr:1 row_mask:0xf bank_mask:0xf
	v_add_f64 v[28:29], v[22:23], v[28:29]
	v_cndmask_b32_e64 v23, v29, v23, s[2:3]
	v_cndmask_b32_e64 v22, v28, v22, s[2:3]
	ds_write_b64 v27, v[22:23]
.LBB4270_66:
	s_or_b64 exec, exec, s[4:5]
	v_cmp_lt_u32_e64 s[2:3], 63, v0
	v_pk_mov_b32 v[22:23], v[24:25], v[24:25] op_sel:[0,1]
	s_waitcnt lgkmcnt(0)
	s_barrier
	s_and_saveexec_b64 s[4:5], s[2:3]
	s_cbranch_execz .LBB4270_68
; %bb.67:
	v_lshl_add_u32 v22, v26, 3, -8
	ds_read_b64 v[22:23], v22
	s_waitcnt lgkmcnt(0)
	v_add_f64 v[22:23], v[24:25], v[22:23]
.LBB4270_68:
	s_or_b64 exec, exec, s[4:5]
	v_add_u32_e32 v26, -1, v1
	v_and_b32_e32 v27, 64, v1
	v_cmp_lt_i32_e64 s[2:3], v26, v27
	v_cndmask_b32_e64 v1, v26, v1, s[2:3]
	v_add_f64 v[20:21], v[20:21], v[22:23]
	v_lshlrev_b32_e32 v1, 2, v1
	ds_bpermute_b32 v20, v1, v20
	ds_bpermute_b32 v1, v1, v21
	s_waitcnt lgkmcnt(1)
	v_cndmask_b32_e32 v20, v20, v22, vcc
	s_waitcnt lgkmcnt(0)
	v_cndmask_b32_e32 v1, v1, v23, vcc
	v_cndmask_b32_e64 v39, v1, v25, s[0:1]
	v_cndmask_b32_e64 v38, v20, v24, s[0:1]
	v_add_f64 v[40:41], v[14:15], v[38:39]
	v_add_f64 v[34:35], v[16:17], v[40:41]
	;; [unrolled: 1-line block ×8, first 2 shown]
	s_and_saveexec_b64 s[2:3], s[0:1]
	s_cbranch_execz .LBB4270_70
; %bb.69:
	v_mov_b32_e32 v5, 0
	ds_read_b64 v[2:3], v5 offset:8
	s_add_u32 s0, s28, 0x400
	s_addc_u32 s1, s29, 0
	v_mov_b32_e32 v4, 2
	v_pk_mov_b32 v[6:7], s[0:1], s[0:1] op_sel:[0,1]
	s_waitcnt lgkmcnt(0)
	v_add_f64 v[2:3], v[24:25], v[2:3]
	;;#ASMSTART
	global_store_dwordx4 v[6:7], v[2:5] off	
s_waitcnt vmcnt(0)
	;;#ASMEND
.LBB4270_70:
	s_or_b64 exec, exec, s[2:3]
	v_add_f64 v[24:25], v[18:19], v[22:23]
.LBB4270_71:
	s_add_u32 s0, s24, s22
	s_addc_u32 s1, s25, s23
	s_add_u32 s2, s0, s26
	s_addc_u32 s3, s1, s27
	s_mov_b64 s[0:1], -1
	s_and_b64 vcc, exec, s[20:21]
	s_barrier
	s_cbranch_vccz .LBB4270_73
; %bb.72:
	ds_write_b128 v46, v[38:41]
	ds_write_b128 v46, v[34:37] offset:16
	ds_write_b128 v46, v[30:33] offset:32
	ds_write_b128 v46, v[26:29] offset:48
	ds_write_b128 v46, v[22:25] offset:64
	s_waitcnt lgkmcnt(0)
	s_barrier
	ds_read2st64_b64 v[2:5], v44 offset1:2
	ds_read2st64_b64 v[6:9], v44 offset0:4 offset1:6
	ds_read2st64_b64 v[10:13], v44 offset0:8 offset1:10
	;; [unrolled: 1-line block ×4, first 2 shown]
	v_mov_b32_e32 v1, s3
	v_add_co_u32_e32 v42, vcc, s2, v44
	v_addc_co_u32_e32 v43, vcc, 0, v1, vcc
	s_movk_i32 s0, 0x1000
	s_waitcnt lgkmcnt(4)
	flat_store_dwordx2 v[42:43], v[2:3]
	flat_store_dwordx2 v[42:43], v[4:5] offset:1024
	s_waitcnt lgkmcnt(0)
	flat_store_dwordx2 v[42:43], v[6:7] offset:2048
	flat_store_dwordx2 v[42:43], v[8:9] offset:3072
	v_add_co_u32_e32 v2, vcc, s0, v42
	v_addc_co_u32_e32 v3, vcc, 0, v43, vcc
	flat_store_dwordx2 v[2:3], v[10:11]
	flat_store_dwordx2 v[2:3], v[12:13] offset:1024
	flat_store_dwordx2 v[2:3], v[14:15] offset:2048
	;; [unrolled: 1-line block ×3, first 2 shown]
	v_add_co_u32_e32 v2, vcc, 0x2000, v42
	v_addc_co_u32_e32 v3, vcc, 0, v43, vcc
	flat_store_dwordx2 v[2:3], v[18:19]
	flat_store_dwordx2 v[2:3], v[20:21] offset:1024
	s_mov_b64 s[0:1], 0
.LBB4270_73:
	s_andn2_b64 vcc, exec, s[0:1]
	s_cbranch_vccnz .LBB4270_129
; %bb.74:
	s_movk_i32 s0, 0xffb8
	v_mad_i32_i24 v18, v0, s0, v46
	ds_write_b128 v46, v[38:41]
	ds_write_b128 v46, v[34:37] offset:16
	ds_write_b128 v46, v[30:33] offset:32
	;; [unrolled: 1-line block ×4, first 2 shown]
	s_waitcnt lgkmcnt(0)
	s_barrier
	ds_read2st64_b64 v[2:5], v18 offset1:2
	ds_read2st64_b64 v[10:13], v18 offset0:4 offset1:6
	ds_read2st64_b64 v[6:9], v18 offset0:8 offset1:10
	;; [unrolled: 1-line block ×4, first 2 shown]
	v_mov_b32_e32 v23, s3
	v_add_co_u32_e32 v22, vcc, s2, v44
	v_addc_co_u32_e32 v23, vcc, 0, v23, vcc
	v_mov_b32_e32 v1, 0
	v_cmp_gt_u32_e32 vcc, s33, v0
	s_and_saveexec_b64 s[0:1], vcc
	s_cbranch_execz .LBB4270_76
; %bb.75:
	s_waitcnt lgkmcnt(0)
	flat_store_dwordx2 v[22:23], v[2:3]
.LBB4270_76:
	s_or_b64 exec, exec, s[0:1]
	v_or_b32_e32 v24, 0x80, v0
	v_cmp_gt_u32_e32 vcc, s33, v24
	s_and_saveexec_b64 s[0:1], vcc
	s_cbranch_execz .LBB4270_78
; %bb.77:
	s_waitcnt lgkmcnt(0)
	flat_store_dwordx2 v[22:23], v[4:5] offset:1024
.LBB4270_78:
	s_or_b64 exec, exec, s[0:1]
	v_or_b32_e32 v24, 0x100, v0
	v_cmp_gt_u32_e32 vcc, s33, v24
	s_and_saveexec_b64 s[0:1], vcc
	s_cbranch_execz .LBB4270_80
; %bb.79:
	s_waitcnt lgkmcnt(0)
	flat_store_dwordx2 v[22:23], v[10:11] offset:2048
.LBB4270_80:
	;; [unrolled: 9-line block ×3, first 2 shown]
	s_or_b64 exec, exec, s[0:1]
	v_or_b32_e32 v24, 0x200, v0
	v_cmp_gt_u32_e32 vcc, s33, v24
	s_and_saveexec_b64 s[0:1], vcc
	s_cbranch_execz .LBB4270_84
; %bb.83:
	v_add_co_u32_e32 v24, vcc, 0x1000, v22
	v_addc_co_u32_e32 v25, vcc, 0, v23, vcc
	s_waitcnt lgkmcnt(0)
	flat_store_dwordx2 v[24:25], v[6:7]
.LBB4270_84:
	s_or_b64 exec, exec, s[0:1]
	v_or_b32_e32 v24, 0x280, v0
	v_cmp_gt_u32_e32 vcc, s33, v24
	s_and_saveexec_b64 s[0:1], vcc
	s_cbranch_execz .LBB4270_86
; %bb.85:
	v_add_co_u32_e32 v24, vcc, 0x1000, v22
	v_addc_co_u32_e32 v25, vcc, 0, v23, vcc
	s_waitcnt lgkmcnt(0)
	flat_store_dwordx2 v[24:25], v[8:9] offset:1024
.LBB4270_86:
	s_or_b64 exec, exec, s[0:1]
	v_or_b32_e32 v24, 0x300, v0
	v_cmp_gt_u32_e32 vcc, s33, v24
	s_and_saveexec_b64 s[0:1], vcc
	s_cbranch_execz .LBB4270_88
; %bb.87:
	v_add_co_u32_e32 v24, vcc, 0x1000, v22
	v_addc_co_u32_e32 v25, vcc, 0, v23, vcc
	s_waitcnt lgkmcnt(0)
	flat_store_dwordx2 v[24:25], v[14:15] offset:2048
.LBB4270_88:
	;; [unrolled: 11-line block ×3, first 2 shown]
	s_or_b64 exec, exec, s[0:1]
	v_or_b32_e32 v24, 0x400, v0
	v_cmp_gt_u32_e32 vcc, s33, v24
	s_and_saveexec_b64 s[0:1], vcc
	s_cbranch_execz .LBB4270_92
; %bb.91:
	v_add_co_u32_e32 v24, vcc, 0x2000, v22
	v_addc_co_u32_e32 v25, vcc, 0, v23, vcc
	s_waitcnt lgkmcnt(0)
	flat_store_dwordx2 v[24:25], v[18:19]
.LBB4270_92:
	s_or_b64 exec, exec, s[0:1]
	v_or_b32_e32 v24, 0x480, v0
	v_cmp_gt_u32_e32 vcc, s33, v24
	s_and_saveexec_b64 s[0:1], vcc
	s_cbranch_execz .LBB4270_94
; %bb.93:
	v_add_co_u32_e32 v22, vcc, 0x2000, v22
	v_addc_co_u32_e32 v23, vcc, 0, v23, vcc
	s_waitcnt lgkmcnt(0)
	flat_store_dwordx2 v[22:23], v[20:21] offset:1024
.LBB4270_94:
	s_or_b64 exec, exec, s[0:1]
	v_cmp_lt_u64_e64 s[0:1], s[18:19], 2
	s_and_b64 vcc, exec, s[0:1]
	s_cbranch_vccnz .LBB4270_129
; %bb.95:
	s_add_u32 s0, s33, -1
	s_addc_u32 s1, s36, -1
	s_add_u32 s2, 0, 0x99986000
	s_addc_u32 s3, 0, 0x59
	s_add_i32 s3, s3, 0x19999940
	s_mul_hi_u32 s7, s2, -10
	s_sub_i32 s7, s7, s2
	s_mul_i32 s8, s3, -10
	s_mul_i32 s4, s2, -10
	s_add_i32 s7, s7, s8
	s_mul_hi_u32 s5, s3, s4
	s_mul_i32 s6, s3, s4
	s_mul_i32 s9, s2, s7
	s_mul_hi_u32 s4, s2, s4
	s_mul_hi_u32 s8, s2, s7
	s_add_u32 s4, s4, s9
	s_addc_u32 s8, 0, s8
	s_add_u32 s4, s4, s6
	s_mul_hi_u32 s9, s3, s7
	s_addc_u32 s4, s8, s5
	s_addc_u32 s5, s9, 0
	s_mul_i32 s6, s3, s7
	s_add_u32 s4, s4, s6
	v_mov_b32_e32 v22, s4
	s_addc_u32 s5, 0, s5
	v_add_co_u32_e32 v22, vcc, s2, v22
	s_cmp_lg_u64 vcc, 0
	s_addc_u32 s2, s3, s5
	v_readfirstlane_b32 s5, v22
	s_mul_i32 s4, s0, s2
	s_mul_hi_u32 s6, s0, s5
	s_mul_hi_u32 s3, s0, s2
	s_add_u32 s4, s6, s4
	s_addc_u32 s3, 0, s3
	s_mul_hi_u32 s7, s1, s5
	s_mul_i32 s5, s1, s5
	s_add_u32 s4, s4, s5
	s_mul_hi_u32 s6, s1, s2
	s_addc_u32 s3, s3, s7
	s_addc_u32 s4, s6, 0
	s_mul_i32 s2, s1, s2
	s_add_u32 s2, s3, s2
	s_addc_u32 s3, 0, s4
	s_add_u32 s4, s2, 1
	s_addc_u32 s5, s3, 0
	s_add_u32 s6, s2, 2
	s_mul_i32 s8, s3, 10
	s_mul_hi_u32 s9, s2, 10
	s_addc_u32 s7, s3, 0
	s_add_i32 s9, s9, s8
	s_mul_i32 s8, s2, 10
	v_mov_b32_e32 v22, s8
	v_sub_co_u32_e32 v22, vcc, s0, v22
	s_cmp_lg_u64 vcc, 0
	s_subb_u32 s8, s1, s9
	v_subrev_co_u32_e32 v23, vcc, 10, v22
	s_cmp_lg_u64 vcc, 0
	s_subb_u32 s9, s8, 0
	v_readfirstlane_b32 s10, v23
	s_cmp_gt_u32 s10, 9
	s_cselect_b32 s10, -1, 0
	s_cmp_eq_u32 s9, 0
	s_cselect_b32 s9, s10, -1
	s_cmp_lg_u32 s9, 0
	s_cselect_b32 s4, s6, s4
	v_readfirstlane_b32 s6, v22
	s_cselect_b32 s5, s7, s5
	s_cmp_gt_u32 s6, 9
	s_cselect_b32 s6, -1, 0
	s_cmp_eq_u32 s8, 0
	s_cselect_b32 s6, s6, -1
	s_cmp_lg_u32 s6, 0
	s_cselect_b32 s3, s5, s3
	s_cselect_b32 s2, s4, s2
	v_cmp_eq_u64_e32 vcc, s[2:3], v[0:1]
	s_and_saveexec_b64 s[2:3], vcc
	s_cbranch_execz .LBB4270_129
; %bb.96:
	v_mul_hi_u32_u24_e32 v1, 10, v0
	v_mov_b32_e32 v22, s1
	v_sub_co_u32_e32 v0, vcc, s0, v45
	v_subb_co_u32_e32 v1, vcc, v22, v1, vcc
	v_cmp_lt_i64_e32 vcc, 4, v[0:1]
	s_and_saveexec_b64 s[0:1], vcc
	s_xor_b64 s[0:1], exec, s[0:1]
	s_cbranch_execz .LBB4270_114
; %bb.97:
	v_cmp_lt_i64_e32 vcc, 6, v[0:1]
	s_and_saveexec_b64 s[2:3], vcc
	s_xor_b64 s[2:3], exec, s[2:3]
	s_cbranch_execz .LBB4270_107
; %bb.98:
	;; [unrolled: 5-line block ×4, first 2 shown]
	v_mov_b32_e32 v0, 0
	s_waitcnt lgkmcnt(0)
	global_store_dwordx2 v0, v[20:21], s[14:15]
                                        ; implicit-def: $vgpr18_vgpr19_vgpr20_vgpr21
.LBB4270_101:
	s_andn2_saveexec_b64 s[6:7], s[6:7]
	s_cbranch_execz .LBB4270_103
; %bb.102:
	v_mov_b32_e32 v0, 0
	s_waitcnt lgkmcnt(0)
	global_store_dwordx2 v0, v[18:19], s[14:15]
.LBB4270_103:
	s_or_b64 exec, exec, s[6:7]
                                        ; implicit-def: $vgpr14_vgpr15_vgpr16_vgpr17
.LBB4270_104:
	s_andn2_saveexec_b64 s[4:5], s[4:5]
	s_cbranch_execz .LBB4270_106
; %bb.105:
	v_mov_b32_e32 v0, 0
	s_waitcnt lgkmcnt(0)
	global_store_dwordx2 v0, v[16:17], s[14:15]
.LBB4270_106:
	s_or_b64 exec, exec, s[4:5]
                                        ; implicit-def: $vgpr6_vgpr7_vgpr8_vgpr9
                                        ; implicit-def: $vgpr0_vgpr1
                                        ; implicit-def: $vgpr14_vgpr15_vgpr16_vgpr17
.LBB4270_107:
	s_andn2_saveexec_b64 s[2:3], s[2:3]
	s_cbranch_execz .LBB4270_113
; %bb.108:
	v_cmp_lt_i64_e32 vcc, 5, v[0:1]
	s_and_saveexec_b64 s[4:5], vcc
	s_xor_b64 s[4:5], exec, s[4:5]
	s_cbranch_execz .LBB4270_110
; %bb.109:
	v_mov_b32_e32 v0, 0
	s_waitcnt lgkmcnt(0)
	global_store_dwordx2 v0, v[14:15], s[14:15]
                                        ; implicit-def: $vgpr6_vgpr7_vgpr8_vgpr9
.LBB4270_110:
	s_andn2_saveexec_b64 s[4:5], s[4:5]
	s_cbranch_execz .LBB4270_112
; %bb.111:
	v_mov_b32_e32 v0, 0
	s_waitcnt lgkmcnt(0)
	global_store_dwordx2 v0, v[8:9], s[14:15]
.LBB4270_112:
	s_or_b64 exec, exec, s[4:5]
.LBB4270_113:
	s_or_b64 exec, exec, s[2:3]
                                        ; implicit-def: $vgpr0_vgpr1
                                        ; implicit-def: $vgpr10_vgpr11_vgpr12_vgpr13
                                        ; implicit-def: $vgpr2_vgpr3_vgpr4_vgpr5
                                        ; implicit-def: $vgpr6_vgpr7_vgpr8_vgpr9
.LBB4270_114:
	s_andn2_saveexec_b64 s[0:1], s[0:1]
	s_cbranch_execz .LBB4270_129
; %bb.115:
	v_cmp_lt_i64_e32 vcc, 2, v[0:1]
	s_and_saveexec_b64 s[0:1], vcc
	s_xor_b64 s[0:1], exec, s[0:1]
	s_cbranch_execz .LBB4270_121
; %bb.116:
	v_cmp_lt_i64_e32 vcc, 3, v[0:1]
	s_and_saveexec_b64 s[2:3], vcc
	s_xor_b64 s[2:3], exec, s[2:3]
	s_cbranch_execz .LBB4270_118
; %bb.117:
	v_mov_b32_e32 v0, 0
	s_waitcnt lgkmcnt(0)
	global_store_dwordx2 v0, v[6:7], s[14:15]
                                        ; implicit-def: $vgpr10_vgpr11_vgpr12_vgpr13
.LBB4270_118:
	s_andn2_saveexec_b64 s[2:3], s[2:3]
	s_cbranch_execz .LBB4270_120
; %bb.119:
	v_mov_b32_e32 v0, 0
	s_waitcnt lgkmcnt(0)
	global_store_dwordx2 v0, v[12:13], s[14:15]
.LBB4270_120:
	s_or_b64 exec, exec, s[2:3]
                                        ; implicit-def: $vgpr0_vgpr1
                                        ; implicit-def: $vgpr10_vgpr11_vgpr12_vgpr13
                                        ; implicit-def: $vgpr2_vgpr3_vgpr4_vgpr5
.LBB4270_121:
	s_andn2_saveexec_b64 s[0:1], s[0:1]
	s_cbranch_execz .LBB4270_129
; %bb.122:
	v_cmp_lt_i64_e32 vcc, 1, v[0:1]
	s_and_saveexec_b64 s[0:1], vcc
	s_xor_b64 s[0:1], exec, s[0:1]
	s_cbranch_execz .LBB4270_124
; %bb.123:
	v_mov_b32_e32 v0, 0
	s_waitcnt lgkmcnt(0)
	global_store_dwordx2 v0, v[10:11], s[14:15]
                                        ; implicit-def: $vgpr2_vgpr3_vgpr4_vgpr5
                                        ; implicit-def: $vgpr0_vgpr1
.LBB4270_124:
	s_andn2_saveexec_b64 s[0:1], s[0:1]
	s_cbranch_execz .LBB4270_129
; %bb.125:
	v_cmp_ne_u64_e32 vcc, 1, v[0:1]
	s_and_saveexec_b64 s[0:1], vcc
	s_xor_b64 s[0:1], exec, s[0:1]
	s_cbranch_execz .LBB4270_127
; %bb.126:
	v_mov_b32_e32 v0, 0
	s_waitcnt lgkmcnt(0)
	global_store_dwordx2 v0, v[2:3], s[14:15]
                                        ; implicit-def: $vgpr2_vgpr3_vgpr4_vgpr5
.LBB4270_127:
	s_andn2_saveexec_b64 s[0:1], s[0:1]
	s_cbranch_execz .LBB4270_129
; %bb.128:
	v_mov_b32_e32 v0, 0
	s_waitcnt lgkmcnt(0)
	global_store_dwordx2 v0, v[4:5], s[14:15]
.LBB4270_129:
	s_endpgm
	.section	.rodata,"a",@progbits
	.p2align	6, 0x0
	.amdhsa_kernel _ZN7rocprim17ROCPRIM_400000_NS6detail17trampoline_kernelINS0_14default_configENS1_20scan_config_selectorIdEEZZNS1_9scan_implILNS1_25lookback_scan_determinismE0ELb1ELb1ES3_N6thrust23THRUST_200600_302600_NS6detail15normal_iteratorINS9_10device_ptrIdEEEESE_dNS9_4plusIvEEdEEDaPvRmT3_T4_T5_mT6_P12ihipStream_tbENKUlT_T0_E_clISt17integral_constantIbLb0EEST_IbLb1EEEEDaSP_SQ_EUlSP_E_NS1_11comp_targetILNS1_3genE4ELNS1_11target_archE910ELNS1_3gpuE8ELNS1_3repE0EEENS1_30default_config_static_selectorELNS0_4arch9wavefront6targetE1EEEvT1_
		.amdhsa_group_segment_fixed_size 10240
		.amdhsa_private_segment_fixed_size 0
		.amdhsa_kernarg_size 104
		.amdhsa_user_sgpr_count 6
		.amdhsa_user_sgpr_private_segment_buffer 1
		.amdhsa_user_sgpr_dispatch_ptr 0
		.amdhsa_user_sgpr_queue_ptr 0
		.amdhsa_user_sgpr_kernarg_segment_ptr 1
		.amdhsa_user_sgpr_dispatch_id 0
		.amdhsa_user_sgpr_flat_scratch_init 0
		.amdhsa_user_sgpr_kernarg_preload_length 0
		.amdhsa_user_sgpr_kernarg_preload_offset 0
		.amdhsa_user_sgpr_private_segment_size 0
		.amdhsa_uses_dynamic_stack 0
		.amdhsa_system_sgpr_private_segment_wavefront_offset 0
		.amdhsa_system_sgpr_workgroup_id_x 1
		.amdhsa_system_sgpr_workgroup_id_y 0
		.amdhsa_system_sgpr_workgroup_id_z 0
		.amdhsa_system_sgpr_workgroup_info 0
		.amdhsa_system_vgpr_workitem_id 0
		.amdhsa_next_free_vgpr 68
		.amdhsa_next_free_sgpr 40
		.amdhsa_accum_offset 68
		.amdhsa_reserve_vcc 1
		.amdhsa_reserve_flat_scratch 0
		.amdhsa_float_round_mode_32 0
		.amdhsa_float_round_mode_16_64 0
		.amdhsa_float_denorm_mode_32 3
		.amdhsa_float_denorm_mode_16_64 3
		.amdhsa_dx10_clamp 1
		.amdhsa_ieee_mode 1
		.amdhsa_fp16_overflow 0
		.amdhsa_tg_split 0
		.amdhsa_exception_fp_ieee_invalid_op 0
		.amdhsa_exception_fp_denorm_src 0
		.amdhsa_exception_fp_ieee_div_zero 0
		.amdhsa_exception_fp_ieee_overflow 0
		.amdhsa_exception_fp_ieee_underflow 0
		.amdhsa_exception_fp_ieee_inexact 0
		.amdhsa_exception_int_div_zero 0
	.end_amdhsa_kernel
	.section	.text._ZN7rocprim17ROCPRIM_400000_NS6detail17trampoline_kernelINS0_14default_configENS1_20scan_config_selectorIdEEZZNS1_9scan_implILNS1_25lookback_scan_determinismE0ELb1ELb1ES3_N6thrust23THRUST_200600_302600_NS6detail15normal_iteratorINS9_10device_ptrIdEEEESE_dNS9_4plusIvEEdEEDaPvRmT3_T4_T5_mT6_P12ihipStream_tbENKUlT_T0_E_clISt17integral_constantIbLb0EEST_IbLb1EEEEDaSP_SQ_EUlSP_E_NS1_11comp_targetILNS1_3genE4ELNS1_11target_archE910ELNS1_3gpuE8ELNS1_3repE0EEENS1_30default_config_static_selectorELNS0_4arch9wavefront6targetE1EEEvT1_,"axG",@progbits,_ZN7rocprim17ROCPRIM_400000_NS6detail17trampoline_kernelINS0_14default_configENS1_20scan_config_selectorIdEEZZNS1_9scan_implILNS1_25lookback_scan_determinismE0ELb1ELb1ES3_N6thrust23THRUST_200600_302600_NS6detail15normal_iteratorINS9_10device_ptrIdEEEESE_dNS9_4plusIvEEdEEDaPvRmT3_T4_T5_mT6_P12ihipStream_tbENKUlT_T0_E_clISt17integral_constantIbLb0EEST_IbLb1EEEEDaSP_SQ_EUlSP_E_NS1_11comp_targetILNS1_3genE4ELNS1_11target_archE910ELNS1_3gpuE8ELNS1_3repE0EEENS1_30default_config_static_selectorELNS0_4arch9wavefront6targetE1EEEvT1_,comdat
.Lfunc_end4270:
	.size	_ZN7rocprim17ROCPRIM_400000_NS6detail17trampoline_kernelINS0_14default_configENS1_20scan_config_selectorIdEEZZNS1_9scan_implILNS1_25lookback_scan_determinismE0ELb1ELb1ES3_N6thrust23THRUST_200600_302600_NS6detail15normal_iteratorINS9_10device_ptrIdEEEESE_dNS9_4plusIvEEdEEDaPvRmT3_T4_T5_mT6_P12ihipStream_tbENKUlT_T0_E_clISt17integral_constantIbLb0EEST_IbLb1EEEEDaSP_SQ_EUlSP_E_NS1_11comp_targetILNS1_3genE4ELNS1_11target_archE910ELNS1_3gpuE8ELNS1_3repE0EEENS1_30default_config_static_selectorELNS0_4arch9wavefront6targetE1EEEvT1_, .Lfunc_end4270-_ZN7rocprim17ROCPRIM_400000_NS6detail17trampoline_kernelINS0_14default_configENS1_20scan_config_selectorIdEEZZNS1_9scan_implILNS1_25lookback_scan_determinismE0ELb1ELb1ES3_N6thrust23THRUST_200600_302600_NS6detail15normal_iteratorINS9_10device_ptrIdEEEESE_dNS9_4plusIvEEdEEDaPvRmT3_T4_T5_mT6_P12ihipStream_tbENKUlT_T0_E_clISt17integral_constantIbLb0EEST_IbLb1EEEEDaSP_SQ_EUlSP_E_NS1_11comp_targetILNS1_3genE4ELNS1_11target_archE910ELNS1_3gpuE8ELNS1_3repE0EEENS1_30default_config_static_selectorELNS0_4arch9wavefront6targetE1EEEvT1_
                                        ; -- End function
	.section	.AMDGPU.csdata,"",@progbits
; Kernel info:
; codeLenInByte = 6116
; NumSgprs: 44
; NumVgprs: 68
; NumAgprs: 0
; TotalNumVgprs: 68
; ScratchSize: 0
; MemoryBound: 0
; FloatMode: 240
; IeeeMode: 1
; LDSByteSize: 10240 bytes/workgroup (compile time only)
; SGPRBlocks: 5
; VGPRBlocks: 8
; NumSGPRsForWavesPerEU: 44
; NumVGPRsForWavesPerEU: 68
; AccumOffset: 68
; Occupancy: 3
; WaveLimiterHint : 1
; COMPUTE_PGM_RSRC2:SCRATCH_EN: 0
; COMPUTE_PGM_RSRC2:USER_SGPR: 6
; COMPUTE_PGM_RSRC2:TRAP_HANDLER: 0
; COMPUTE_PGM_RSRC2:TGID_X_EN: 1
; COMPUTE_PGM_RSRC2:TGID_Y_EN: 0
; COMPUTE_PGM_RSRC2:TGID_Z_EN: 0
; COMPUTE_PGM_RSRC2:TIDIG_COMP_CNT: 0
; COMPUTE_PGM_RSRC3_GFX90A:ACCUM_OFFSET: 16
; COMPUTE_PGM_RSRC3_GFX90A:TG_SPLIT: 0
	.section	.text._ZN7rocprim17ROCPRIM_400000_NS6detail17trampoline_kernelINS0_14default_configENS1_20scan_config_selectorIdEEZZNS1_9scan_implILNS1_25lookback_scan_determinismE0ELb1ELb1ES3_N6thrust23THRUST_200600_302600_NS6detail15normal_iteratorINS9_10device_ptrIdEEEESE_dNS9_4plusIvEEdEEDaPvRmT3_T4_T5_mT6_P12ihipStream_tbENKUlT_T0_E_clISt17integral_constantIbLb0EEST_IbLb1EEEEDaSP_SQ_EUlSP_E_NS1_11comp_targetILNS1_3genE3ELNS1_11target_archE908ELNS1_3gpuE7ELNS1_3repE0EEENS1_30default_config_static_selectorELNS0_4arch9wavefront6targetE1EEEvT1_,"axG",@progbits,_ZN7rocprim17ROCPRIM_400000_NS6detail17trampoline_kernelINS0_14default_configENS1_20scan_config_selectorIdEEZZNS1_9scan_implILNS1_25lookback_scan_determinismE0ELb1ELb1ES3_N6thrust23THRUST_200600_302600_NS6detail15normal_iteratorINS9_10device_ptrIdEEEESE_dNS9_4plusIvEEdEEDaPvRmT3_T4_T5_mT6_P12ihipStream_tbENKUlT_T0_E_clISt17integral_constantIbLb0EEST_IbLb1EEEEDaSP_SQ_EUlSP_E_NS1_11comp_targetILNS1_3genE3ELNS1_11target_archE908ELNS1_3gpuE7ELNS1_3repE0EEENS1_30default_config_static_selectorELNS0_4arch9wavefront6targetE1EEEvT1_,comdat
	.protected	_ZN7rocprim17ROCPRIM_400000_NS6detail17trampoline_kernelINS0_14default_configENS1_20scan_config_selectorIdEEZZNS1_9scan_implILNS1_25lookback_scan_determinismE0ELb1ELb1ES3_N6thrust23THRUST_200600_302600_NS6detail15normal_iteratorINS9_10device_ptrIdEEEESE_dNS9_4plusIvEEdEEDaPvRmT3_T4_T5_mT6_P12ihipStream_tbENKUlT_T0_E_clISt17integral_constantIbLb0EEST_IbLb1EEEEDaSP_SQ_EUlSP_E_NS1_11comp_targetILNS1_3genE3ELNS1_11target_archE908ELNS1_3gpuE7ELNS1_3repE0EEENS1_30default_config_static_selectorELNS0_4arch9wavefront6targetE1EEEvT1_ ; -- Begin function _ZN7rocprim17ROCPRIM_400000_NS6detail17trampoline_kernelINS0_14default_configENS1_20scan_config_selectorIdEEZZNS1_9scan_implILNS1_25lookback_scan_determinismE0ELb1ELb1ES3_N6thrust23THRUST_200600_302600_NS6detail15normal_iteratorINS9_10device_ptrIdEEEESE_dNS9_4plusIvEEdEEDaPvRmT3_T4_T5_mT6_P12ihipStream_tbENKUlT_T0_E_clISt17integral_constantIbLb0EEST_IbLb1EEEEDaSP_SQ_EUlSP_E_NS1_11comp_targetILNS1_3genE3ELNS1_11target_archE908ELNS1_3gpuE7ELNS1_3repE0EEENS1_30default_config_static_selectorELNS0_4arch9wavefront6targetE1EEEvT1_
	.globl	_ZN7rocprim17ROCPRIM_400000_NS6detail17trampoline_kernelINS0_14default_configENS1_20scan_config_selectorIdEEZZNS1_9scan_implILNS1_25lookback_scan_determinismE0ELb1ELb1ES3_N6thrust23THRUST_200600_302600_NS6detail15normal_iteratorINS9_10device_ptrIdEEEESE_dNS9_4plusIvEEdEEDaPvRmT3_T4_T5_mT6_P12ihipStream_tbENKUlT_T0_E_clISt17integral_constantIbLb0EEST_IbLb1EEEEDaSP_SQ_EUlSP_E_NS1_11comp_targetILNS1_3genE3ELNS1_11target_archE908ELNS1_3gpuE7ELNS1_3repE0EEENS1_30default_config_static_selectorELNS0_4arch9wavefront6targetE1EEEvT1_
	.p2align	8
	.type	_ZN7rocprim17ROCPRIM_400000_NS6detail17trampoline_kernelINS0_14default_configENS1_20scan_config_selectorIdEEZZNS1_9scan_implILNS1_25lookback_scan_determinismE0ELb1ELb1ES3_N6thrust23THRUST_200600_302600_NS6detail15normal_iteratorINS9_10device_ptrIdEEEESE_dNS9_4plusIvEEdEEDaPvRmT3_T4_T5_mT6_P12ihipStream_tbENKUlT_T0_E_clISt17integral_constantIbLb0EEST_IbLb1EEEEDaSP_SQ_EUlSP_E_NS1_11comp_targetILNS1_3genE3ELNS1_11target_archE908ELNS1_3gpuE7ELNS1_3repE0EEENS1_30default_config_static_selectorELNS0_4arch9wavefront6targetE1EEEvT1_,@function
_ZN7rocprim17ROCPRIM_400000_NS6detail17trampoline_kernelINS0_14default_configENS1_20scan_config_selectorIdEEZZNS1_9scan_implILNS1_25lookback_scan_determinismE0ELb1ELb1ES3_N6thrust23THRUST_200600_302600_NS6detail15normal_iteratorINS9_10device_ptrIdEEEESE_dNS9_4plusIvEEdEEDaPvRmT3_T4_T5_mT6_P12ihipStream_tbENKUlT_T0_E_clISt17integral_constantIbLb0EEST_IbLb1EEEEDaSP_SQ_EUlSP_E_NS1_11comp_targetILNS1_3genE3ELNS1_11target_archE908ELNS1_3gpuE7ELNS1_3repE0EEENS1_30default_config_static_selectorELNS0_4arch9wavefront6targetE1EEEvT1_: ; @_ZN7rocprim17ROCPRIM_400000_NS6detail17trampoline_kernelINS0_14default_configENS1_20scan_config_selectorIdEEZZNS1_9scan_implILNS1_25lookback_scan_determinismE0ELb1ELb1ES3_N6thrust23THRUST_200600_302600_NS6detail15normal_iteratorINS9_10device_ptrIdEEEESE_dNS9_4plusIvEEdEEDaPvRmT3_T4_T5_mT6_P12ihipStream_tbENKUlT_T0_E_clISt17integral_constantIbLb0EEST_IbLb1EEEEDaSP_SQ_EUlSP_E_NS1_11comp_targetILNS1_3genE3ELNS1_11target_archE908ELNS1_3gpuE7ELNS1_3repE0EEENS1_30default_config_static_selectorELNS0_4arch9wavefront6targetE1EEEvT1_
; %bb.0:
	.section	.rodata,"a",@progbits
	.p2align	6, 0x0
	.amdhsa_kernel _ZN7rocprim17ROCPRIM_400000_NS6detail17trampoline_kernelINS0_14default_configENS1_20scan_config_selectorIdEEZZNS1_9scan_implILNS1_25lookback_scan_determinismE0ELb1ELb1ES3_N6thrust23THRUST_200600_302600_NS6detail15normal_iteratorINS9_10device_ptrIdEEEESE_dNS9_4plusIvEEdEEDaPvRmT3_T4_T5_mT6_P12ihipStream_tbENKUlT_T0_E_clISt17integral_constantIbLb0EEST_IbLb1EEEEDaSP_SQ_EUlSP_E_NS1_11comp_targetILNS1_3genE3ELNS1_11target_archE908ELNS1_3gpuE7ELNS1_3repE0EEENS1_30default_config_static_selectorELNS0_4arch9wavefront6targetE1EEEvT1_
		.amdhsa_group_segment_fixed_size 0
		.amdhsa_private_segment_fixed_size 0
		.amdhsa_kernarg_size 104
		.amdhsa_user_sgpr_count 6
		.amdhsa_user_sgpr_private_segment_buffer 1
		.amdhsa_user_sgpr_dispatch_ptr 0
		.amdhsa_user_sgpr_queue_ptr 0
		.amdhsa_user_sgpr_kernarg_segment_ptr 1
		.amdhsa_user_sgpr_dispatch_id 0
		.amdhsa_user_sgpr_flat_scratch_init 0
		.amdhsa_user_sgpr_kernarg_preload_length 0
		.amdhsa_user_sgpr_kernarg_preload_offset 0
		.amdhsa_user_sgpr_private_segment_size 0
		.amdhsa_uses_dynamic_stack 0
		.amdhsa_system_sgpr_private_segment_wavefront_offset 0
		.amdhsa_system_sgpr_workgroup_id_x 1
		.amdhsa_system_sgpr_workgroup_id_y 0
		.amdhsa_system_sgpr_workgroup_id_z 0
		.amdhsa_system_sgpr_workgroup_info 0
		.amdhsa_system_vgpr_workitem_id 0
		.amdhsa_next_free_vgpr 1
		.amdhsa_next_free_sgpr 0
		.amdhsa_accum_offset 4
		.amdhsa_reserve_vcc 0
		.amdhsa_reserve_flat_scratch 0
		.amdhsa_float_round_mode_32 0
		.amdhsa_float_round_mode_16_64 0
		.amdhsa_float_denorm_mode_32 3
		.amdhsa_float_denorm_mode_16_64 3
		.amdhsa_dx10_clamp 1
		.amdhsa_ieee_mode 1
		.amdhsa_fp16_overflow 0
		.amdhsa_tg_split 0
		.amdhsa_exception_fp_ieee_invalid_op 0
		.amdhsa_exception_fp_denorm_src 0
		.amdhsa_exception_fp_ieee_div_zero 0
		.amdhsa_exception_fp_ieee_overflow 0
		.amdhsa_exception_fp_ieee_underflow 0
		.amdhsa_exception_fp_ieee_inexact 0
		.amdhsa_exception_int_div_zero 0
	.end_amdhsa_kernel
	.section	.text._ZN7rocprim17ROCPRIM_400000_NS6detail17trampoline_kernelINS0_14default_configENS1_20scan_config_selectorIdEEZZNS1_9scan_implILNS1_25lookback_scan_determinismE0ELb1ELb1ES3_N6thrust23THRUST_200600_302600_NS6detail15normal_iteratorINS9_10device_ptrIdEEEESE_dNS9_4plusIvEEdEEDaPvRmT3_T4_T5_mT6_P12ihipStream_tbENKUlT_T0_E_clISt17integral_constantIbLb0EEST_IbLb1EEEEDaSP_SQ_EUlSP_E_NS1_11comp_targetILNS1_3genE3ELNS1_11target_archE908ELNS1_3gpuE7ELNS1_3repE0EEENS1_30default_config_static_selectorELNS0_4arch9wavefront6targetE1EEEvT1_,"axG",@progbits,_ZN7rocprim17ROCPRIM_400000_NS6detail17trampoline_kernelINS0_14default_configENS1_20scan_config_selectorIdEEZZNS1_9scan_implILNS1_25lookback_scan_determinismE0ELb1ELb1ES3_N6thrust23THRUST_200600_302600_NS6detail15normal_iteratorINS9_10device_ptrIdEEEESE_dNS9_4plusIvEEdEEDaPvRmT3_T4_T5_mT6_P12ihipStream_tbENKUlT_T0_E_clISt17integral_constantIbLb0EEST_IbLb1EEEEDaSP_SQ_EUlSP_E_NS1_11comp_targetILNS1_3genE3ELNS1_11target_archE908ELNS1_3gpuE7ELNS1_3repE0EEENS1_30default_config_static_selectorELNS0_4arch9wavefront6targetE1EEEvT1_,comdat
.Lfunc_end4271:
	.size	_ZN7rocprim17ROCPRIM_400000_NS6detail17trampoline_kernelINS0_14default_configENS1_20scan_config_selectorIdEEZZNS1_9scan_implILNS1_25lookback_scan_determinismE0ELb1ELb1ES3_N6thrust23THRUST_200600_302600_NS6detail15normal_iteratorINS9_10device_ptrIdEEEESE_dNS9_4plusIvEEdEEDaPvRmT3_T4_T5_mT6_P12ihipStream_tbENKUlT_T0_E_clISt17integral_constantIbLb0EEST_IbLb1EEEEDaSP_SQ_EUlSP_E_NS1_11comp_targetILNS1_3genE3ELNS1_11target_archE908ELNS1_3gpuE7ELNS1_3repE0EEENS1_30default_config_static_selectorELNS0_4arch9wavefront6targetE1EEEvT1_, .Lfunc_end4271-_ZN7rocprim17ROCPRIM_400000_NS6detail17trampoline_kernelINS0_14default_configENS1_20scan_config_selectorIdEEZZNS1_9scan_implILNS1_25lookback_scan_determinismE0ELb1ELb1ES3_N6thrust23THRUST_200600_302600_NS6detail15normal_iteratorINS9_10device_ptrIdEEEESE_dNS9_4plusIvEEdEEDaPvRmT3_T4_T5_mT6_P12ihipStream_tbENKUlT_T0_E_clISt17integral_constantIbLb0EEST_IbLb1EEEEDaSP_SQ_EUlSP_E_NS1_11comp_targetILNS1_3genE3ELNS1_11target_archE908ELNS1_3gpuE7ELNS1_3repE0EEENS1_30default_config_static_selectorELNS0_4arch9wavefront6targetE1EEEvT1_
                                        ; -- End function
	.section	.AMDGPU.csdata,"",@progbits
; Kernel info:
; codeLenInByte = 0
; NumSgprs: 4
; NumVgprs: 0
; NumAgprs: 0
; TotalNumVgprs: 0
; ScratchSize: 0
; MemoryBound: 0
; FloatMode: 240
; IeeeMode: 1
; LDSByteSize: 0 bytes/workgroup (compile time only)
; SGPRBlocks: 0
; VGPRBlocks: 0
; NumSGPRsForWavesPerEU: 4
; NumVGPRsForWavesPerEU: 1
; AccumOffset: 4
; Occupancy: 8
; WaveLimiterHint : 0
; COMPUTE_PGM_RSRC2:SCRATCH_EN: 0
; COMPUTE_PGM_RSRC2:USER_SGPR: 6
; COMPUTE_PGM_RSRC2:TRAP_HANDLER: 0
; COMPUTE_PGM_RSRC2:TGID_X_EN: 1
; COMPUTE_PGM_RSRC2:TGID_Y_EN: 0
; COMPUTE_PGM_RSRC2:TGID_Z_EN: 0
; COMPUTE_PGM_RSRC2:TIDIG_COMP_CNT: 0
; COMPUTE_PGM_RSRC3_GFX90A:ACCUM_OFFSET: 0
; COMPUTE_PGM_RSRC3_GFX90A:TG_SPLIT: 0
	.section	.text._ZN7rocprim17ROCPRIM_400000_NS6detail17trampoline_kernelINS0_14default_configENS1_20scan_config_selectorIdEEZZNS1_9scan_implILNS1_25lookback_scan_determinismE0ELb1ELb1ES3_N6thrust23THRUST_200600_302600_NS6detail15normal_iteratorINS9_10device_ptrIdEEEESE_dNS9_4plusIvEEdEEDaPvRmT3_T4_T5_mT6_P12ihipStream_tbENKUlT_T0_E_clISt17integral_constantIbLb0EEST_IbLb1EEEEDaSP_SQ_EUlSP_E_NS1_11comp_targetILNS1_3genE2ELNS1_11target_archE906ELNS1_3gpuE6ELNS1_3repE0EEENS1_30default_config_static_selectorELNS0_4arch9wavefront6targetE1EEEvT1_,"axG",@progbits,_ZN7rocprim17ROCPRIM_400000_NS6detail17trampoline_kernelINS0_14default_configENS1_20scan_config_selectorIdEEZZNS1_9scan_implILNS1_25lookback_scan_determinismE0ELb1ELb1ES3_N6thrust23THRUST_200600_302600_NS6detail15normal_iteratorINS9_10device_ptrIdEEEESE_dNS9_4plusIvEEdEEDaPvRmT3_T4_T5_mT6_P12ihipStream_tbENKUlT_T0_E_clISt17integral_constantIbLb0EEST_IbLb1EEEEDaSP_SQ_EUlSP_E_NS1_11comp_targetILNS1_3genE2ELNS1_11target_archE906ELNS1_3gpuE6ELNS1_3repE0EEENS1_30default_config_static_selectorELNS0_4arch9wavefront6targetE1EEEvT1_,comdat
	.protected	_ZN7rocprim17ROCPRIM_400000_NS6detail17trampoline_kernelINS0_14default_configENS1_20scan_config_selectorIdEEZZNS1_9scan_implILNS1_25lookback_scan_determinismE0ELb1ELb1ES3_N6thrust23THRUST_200600_302600_NS6detail15normal_iteratorINS9_10device_ptrIdEEEESE_dNS9_4plusIvEEdEEDaPvRmT3_T4_T5_mT6_P12ihipStream_tbENKUlT_T0_E_clISt17integral_constantIbLb0EEST_IbLb1EEEEDaSP_SQ_EUlSP_E_NS1_11comp_targetILNS1_3genE2ELNS1_11target_archE906ELNS1_3gpuE6ELNS1_3repE0EEENS1_30default_config_static_selectorELNS0_4arch9wavefront6targetE1EEEvT1_ ; -- Begin function _ZN7rocprim17ROCPRIM_400000_NS6detail17trampoline_kernelINS0_14default_configENS1_20scan_config_selectorIdEEZZNS1_9scan_implILNS1_25lookback_scan_determinismE0ELb1ELb1ES3_N6thrust23THRUST_200600_302600_NS6detail15normal_iteratorINS9_10device_ptrIdEEEESE_dNS9_4plusIvEEdEEDaPvRmT3_T4_T5_mT6_P12ihipStream_tbENKUlT_T0_E_clISt17integral_constantIbLb0EEST_IbLb1EEEEDaSP_SQ_EUlSP_E_NS1_11comp_targetILNS1_3genE2ELNS1_11target_archE906ELNS1_3gpuE6ELNS1_3repE0EEENS1_30default_config_static_selectorELNS0_4arch9wavefront6targetE1EEEvT1_
	.globl	_ZN7rocprim17ROCPRIM_400000_NS6detail17trampoline_kernelINS0_14default_configENS1_20scan_config_selectorIdEEZZNS1_9scan_implILNS1_25lookback_scan_determinismE0ELb1ELb1ES3_N6thrust23THRUST_200600_302600_NS6detail15normal_iteratorINS9_10device_ptrIdEEEESE_dNS9_4plusIvEEdEEDaPvRmT3_T4_T5_mT6_P12ihipStream_tbENKUlT_T0_E_clISt17integral_constantIbLb0EEST_IbLb1EEEEDaSP_SQ_EUlSP_E_NS1_11comp_targetILNS1_3genE2ELNS1_11target_archE906ELNS1_3gpuE6ELNS1_3repE0EEENS1_30default_config_static_selectorELNS0_4arch9wavefront6targetE1EEEvT1_
	.p2align	8
	.type	_ZN7rocprim17ROCPRIM_400000_NS6detail17trampoline_kernelINS0_14default_configENS1_20scan_config_selectorIdEEZZNS1_9scan_implILNS1_25lookback_scan_determinismE0ELb1ELb1ES3_N6thrust23THRUST_200600_302600_NS6detail15normal_iteratorINS9_10device_ptrIdEEEESE_dNS9_4plusIvEEdEEDaPvRmT3_T4_T5_mT6_P12ihipStream_tbENKUlT_T0_E_clISt17integral_constantIbLb0EEST_IbLb1EEEEDaSP_SQ_EUlSP_E_NS1_11comp_targetILNS1_3genE2ELNS1_11target_archE906ELNS1_3gpuE6ELNS1_3repE0EEENS1_30default_config_static_selectorELNS0_4arch9wavefront6targetE1EEEvT1_,@function
_ZN7rocprim17ROCPRIM_400000_NS6detail17trampoline_kernelINS0_14default_configENS1_20scan_config_selectorIdEEZZNS1_9scan_implILNS1_25lookback_scan_determinismE0ELb1ELb1ES3_N6thrust23THRUST_200600_302600_NS6detail15normal_iteratorINS9_10device_ptrIdEEEESE_dNS9_4plusIvEEdEEDaPvRmT3_T4_T5_mT6_P12ihipStream_tbENKUlT_T0_E_clISt17integral_constantIbLb0EEST_IbLb1EEEEDaSP_SQ_EUlSP_E_NS1_11comp_targetILNS1_3genE2ELNS1_11target_archE906ELNS1_3gpuE6ELNS1_3repE0EEENS1_30default_config_static_selectorELNS0_4arch9wavefront6targetE1EEEvT1_: ; @_ZN7rocprim17ROCPRIM_400000_NS6detail17trampoline_kernelINS0_14default_configENS1_20scan_config_selectorIdEEZZNS1_9scan_implILNS1_25lookback_scan_determinismE0ELb1ELb1ES3_N6thrust23THRUST_200600_302600_NS6detail15normal_iteratorINS9_10device_ptrIdEEEESE_dNS9_4plusIvEEdEEDaPvRmT3_T4_T5_mT6_P12ihipStream_tbENKUlT_T0_E_clISt17integral_constantIbLb0EEST_IbLb1EEEEDaSP_SQ_EUlSP_E_NS1_11comp_targetILNS1_3genE2ELNS1_11target_archE906ELNS1_3gpuE6ELNS1_3repE0EEENS1_30default_config_static_selectorELNS0_4arch9wavefront6targetE1EEEvT1_
; %bb.0:
	.section	.rodata,"a",@progbits
	.p2align	6, 0x0
	.amdhsa_kernel _ZN7rocprim17ROCPRIM_400000_NS6detail17trampoline_kernelINS0_14default_configENS1_20scan_config_selectorIdEEZZNS1_9scan_implILNS1_25lookback_scan_determinismE0ELb1ELb1ES3_N6thrust23THRUST_200600_302600_NS6detail15normal_iteratorINS9_10device_ptrIdEEEESE_dNS9_4plusIvEEdEEDaPvRmT3_T4_T5_mT6_P12ihipStream_tbENKUlT_T0_E_clISt17integral_constantIbLb0EEST_IbLb1EEEEDaSP_SQ_EUlSP_E_NS1_11comp_targetILNS1_3genE2ELNS1_11target_archE906ELNS1_3gpuE6ELNS1_3repE0EEENS1_30default_config_static_selectorELNS0_4arch9wavefront6targetE1EEEvT1_
		.amdhsa_group_segment_fixed_size 0
		.amdhsa_private_segment_fixed_size 0
		.amdhsa_kernarg_size 104
		.amdhsa_user_sgpr_count 6
		.amdhsa_user_sgpr_private_segment_buffer 1
		.amdhsa_user_sgpr_dispatch_ptr 0
		.amdhsa_user_sgpr_queue_ptr 0
		.amdhsa_user_sgpr_kernarg_segment_ptr 1
		.amdhsa_user_sgpr_dispatch_id 0
		.amdhsa_user_sgpr_flat_scratch_init 0
		.amdhsa_user_sgpr_kernarg_preload_length 0
		.amdhsa_user_sgpr_kernarg_preload_offset 0
		.amdhsa_user_sgpr_private_segment_size 0
		.amdhsa_uses_dynamic_stack 0
		.amdhsa_system_sgpr_private_segment_wavefront_offset 0
		.amdhsa_system_sgpr_workgroup_id_x 1
		.amdhsa_system_sgpr_workgroup_id_y 0
		.amdhsa_system_sgpr_workgroup_id_z 0
		.amdhsa_system_sgpr_workgroup_info 0
		.amdhsa_system_vgpr_workitem_id 0
		.amdhsa_next_free_vgpr 1
		.amdhsa_next_free_sgpr 0
		.amdhsa_accum_offset 4
		.amdhsa_reserve_vcc 0
		.amdhsa_reserve_flat_scratch 0
		.amdhsa_float_round_mode_32 0
		.amdhsa_float_round_mode_16_64 0
		.amdhsa_float_denorm_mode_32 3
		.amdhsa_float_denorm_mode_16_64 3
		.amdhsa_dx10_clamp 1
		.amdhsa_ieee_mode 1
		.amdhsa_fp16_overflow 0
		.amdhsa_tg_split 0
		.amdhsa_exception_fp_ieee_invalid_op 0
		.amdhsa_exception_fp_denorm_src 0
		.amdhsa_exception_fp_ieee_div_zero 0
		.amdhsa_exception_fp_ieee_overflow 0
		.amdhsa_exception_fp_ieee_underflow 0
		.amdhsa_exception_fp_ieee_inexact 0
		.amdhsa_exception_int_div_zero 0
	.end_amdhsa_kernel
	.section	.text._ZN7rocprim17ROCPRIM_400000_NS6detail17trampoline_kernelINS0_14default_configENS1_20scan_config_selectorIdEEZZNS1_9scan_implILNS1_25lookback_scan_determinismE0ELb1ELb1ES3_N6thrust23THRUST_200600_302600_NS6detail15normal_iteratorINS9_10device_ptrIdEEEESE_dNS9_4plusIvEEdEEDaPvRmT3_T4_T5_mT6_P12ihipStream_tbENKUlT_T0_E_clISt17integral_constantIbLb0EEST_IbLb1EEEEDaSP_SQ_EUlSP_E_NS1_11comp_targetILNS1_3genE2ELNS1_11target_archE906ELNS1_3gpuE6ELNS1_3repE0EEENS1_30default_config_static_selectorELNS0_4arch9wavefront6targetE1EEEvT1_,"axG",@progbits,_ZN7rocprim17ROCPRIM_400000_NS6detail17trampoline_kernelINS0_14default_configENS1_20scan_config_selectorIdEEZZNS1_9scan_implILNS1_25lookback_scan_determinismE0ELb1ELb1ES3_N6thrust23THRUST_200600_302600_NS6detail15normal_iteratorINS9_10device_ptrIdEEEESE_dNS9_4plusIvEEdEEDaPvRmT3_T4_T5_mT6_P12ihipStream_tbENKUlT_T0_E_clISt17integral_constantIbLb0EEST_IbLb1EEEEDaSP_SQ_EUlSP_E_NS1_11comp_targetILNS1_3genE2ELNS1_11target_archE906ELNS1_3gpuE6ELNS1_3repE0EEENS1_30default_config_static_selectorELNS0_4arch9wavefront6targetE1EEEvT1_,comdat
.Lfunc_end4272:
	.size	_ZN7rocprim17ROCPRIM_400000_NS6detail17trampoline_kernelINS0_14default_configENS1_20scan_config_selectorIdEEZZNS1_9scan_implILNS1_25lookback_scan_determinismE0ELb1ELb1ES3_N6thrust23THRUST_200600_302600_NS6detail15normal_iteratorINS9_10device_ptrIdEEEESE_dNS9_4plusIvEEdEEDaPvRmT3_T4_T5_mT6_P12ihipStream_tbENKUlT_T0_E_clISt17integral_constantIbLb0EEST_IbLb1EEEEDaSP_SQ_EUlSP_E_NS1_11comp_targetILNS1_3genE2ELNS1_11target_archE906ELNS1_3gpuE6ELNS1_3repE0EEENS1_30default_config_static_selectorELNS0_4arch9wavefront6targetE1EEEvT1_, .Lfunc_end4272-_ZN7rocprim17ROCPRIM_400000_NS6detail17trampoline_kernelINS0_14default_configENS1_20scan_config_selectorIdEEZZNS1_9scan_implILNS1_25lookback_scan_determinismE0ELb1ELb1ES3_N6thrust23THRUST_200600_302600_NS6detail15normal_iteratorINS9_10device_ptrIdEEEESE_dNS9_4plusIvEEdEEDaPvRmT3_T4_T5_mT6_P12ihipStream_tbENKUlT_T0_E_clISt17integral_constantIbLb0EEST_IbLb1EEEEDaSP_SQ_EUlSP_E_NS1_11comp_targetILNS1_3genE2ELNS1_11target_archE906ELNS1_3gpuE6ELNS1_3repE0EEENS1_30default_config_static_selectorELNS0_4arch9wavefront6targetE1EEEvT1_
                                        ; -- End function
	.section	.AMDGPU.csdata,"",@progbits
; Kernel info:
; codeLenInByte = 0
; NumSgprs: 4
; NumVgprs: 0
; NumAgprs: 0
; TotalNumVgprs: 0
; ScratchSize: 0
; MemoryBound: 0
; FloatMode: 240
; IeeeMode: 1
; LDSByteSize: 0 bytes/workgroup (compile time only)
; SGPRBlocks: 0
; VGPRBlocks: 0
; NumSGPRsForWavesPerEU: 4
; NumVGPRsForWavesPerEU: 1
; AccumOffset: 4
; Occupancy: 8
; WaveLimiterHint : 0
; COMPUTE_PGM_RSRC2:SCRATCH_EN: 0
; COMPUTE_PGM_RSRC2:USER_SGPR: 6
; COMPUTE_PGM_RSRC2:TRAP_HANDLER: 0
; COMPUTE_PGM_RSRC2:TGID_X_EN: 1
; COMPUTE_PGM_RSRC2:TGID_Y_EN: 0
; COMPUTE_PGM_RSRC2:TGID_Z_EN: 0
; COMPUTE_PGM_RSRC2:TIDIG_COMP_CNT: 0
; COMPUTE_PGM_RSRC3_GFX90A:ACCUM_OFFSET: 0
; COMPUTE_PGM_RSRC3_GFX90A:TG_SPLIT: 0
	.section	.text._ZN7rocprim17ROCPRIM_400000_NS6detail17trampoline_kernelINS0_14default_configENS1_20scan_config_selectorIdEEZZNS1_9scan_implILNS1_25lookback_scan_determinismE0ELb1ELb1ES3_N6thrust23THRUST_200600_302600_NS6detail15normal_iteratorINS9_10device_ptrIdEEEESE_dNS9_4plusIvEEdEEDaPvRmT3_T4_T5_mT6_P12ihipStream_tbENKUlT_T0_E_clISt17integral_constantIbLb0EEST_IbLb1EEEEDaSP_SQ_EUlSP_E_NS1_11comp_targetILNS1_3genE10ELNS1_11target_archE1201ELNS1_3gpuE5ELNS1_3repE0EEENS1_30default_config_static_selectorELNS0_4arch9wavefront6targetE1EEEvT1_,"axG",@progbits,_ZN7rocprim17ROCPRIM_400000_NS6detail17trampoline_kernelINS0_14default_configENS1_20scan_config_selectorIdEEZZNS1_9scan_implILNS1_25lookback_scan_determinismE0ELb1ELb1ES3_N6thrust23THRUST_200600_302600_NS6detail15normal_iteratorINS9_10device_ptrIdEEEESE_dNS9_4plusIvEEdEEDaPvRmT3_T4_T5_mT6_P12ihipStream_tbENKUlT_T0_E_clISt17integral_constantIbLb0EEST_IbLb1EEEEDaSP_SQ_EUlSP_E_NS1_11comp_targetILNS1_3genE10ELNS1_11target_archE1201ELNS1_3gpuE5ELNS1_3repE0EEENS1_30default_config_static_selectorELNS0_4arch9wavefront6targetE1EEEvT1_,comdat
	.protected	_ZN7rocprim17ROCPRIM_400000_NS6detail17trampoline_kernelINS0_14default_configENS1_20scan_config_selectorIdEEZZNS1_9scan_implILNS1_25lookback_scan_determinismE0ELb1ELb1ES3_N6thrust23THRUST_200600_302600_NS6detail15normal_iteratorINS9_10device_ptrIdEEEESE_dNS9_4plusIvEEdEEDaPvRmT3_T4_T5_mT6_P12ihipStream_tbENKUlT_T0_E_clISt17integral_constantIbLb0EEST_IbLb1EEEEDaSP_SQ_EUlSP_E_NS1_11comp_targetILNS1_3genE10ELNS1_11target_archE1201ELNS1_3gpuE5ELNS1_3repE0EEENS1_30default_config_static_selectorELNS0_4arch9wavefront6targetE1EEEvT1_ ; -- Begin function _ZN7rocprim17ROCPRIM_400000_NS6detail17trampoline_kernelINS0_14default_configENS1_20scan_config_selectorIdEEZZNS1_9scan_implILNS1_25lookback_scan_determinismE0ELb1ELb1ES3_N6thrust23THRUST_200600_302600_NS6detail15normal_iteratorINS9_10device_ptrIdEEEESE_dNS9_4plusIvEEdEEDaPvRmT3_T4_T5_mT6_P12ihipStream_tbENKUlT_T0_E_clISt17integral_constantIbLb0EEST_IbLb1EEEEDaSP_SQ_EUlSP_E_NS1_11comp_targetILNS1_3genE10ELNS1_11target_archE1201ELNS1_3gpuE5ELNS1_3repE0EEENS1_30default_config_static_selectorELNS0_4arch9wavefront6targetE1EEEvT1_
	.globl	_ZN7rocprim17ROCPRIM_400000_NS6detail17trampoline_kernelINS0_14default_configENS1_20scan_config_selectorIdEEZZNS1_9scan_implILNS1_25lookback_scan_determinismE0ELb1ELb1ES3_N6thrust23THRUST_200600_302600_NS6detail15normal_iteratorINS9_10device_ptrIdEEEESE_dNS9_4plusIvEEdEEDaPvRmT3_T4_T5_mT6_P12ihipStream_tbENKUlT_T0_E_clISt17integral_constantIbLb0EEST_IbLb1EEEEDaSP_SQ_EUlSP_E_NS1_11comp_targetILNS1_3genE10ELNS1_11target_archE1201ELNS1_3gpuE5ELNS1_3repE0EEENS1_30default_config_static_selectorELNS0_4arch9wavefront6targetE1EEEvT1_
	.p2align	8
	.type	_ZN7rocprim17ROCPRIM_400000_NS6detail17trampoline_kernelINS0_14default_configENS1_20scan_config_selectorIdEEZZNS1_9scan_implILNS1_25lookback_scan_determinismE0ELb1ELb1ES3_N6thrust23THRUST_200600_302600_NS6detail15normal_iteratorINS9_10device_ptrIdEEEESE_dNS9_4plusIvEEdEEDaPvRmT3_T4_T5_mT6_P12ihipStream_tbENKUlT_T0_E_clISt17integral_constantIbLb0EEST_IbLb1EEEEDaSP_SQ_EUlSP_E_NS1_11comp_targetILNS1_3genE10ELNS1_11target_archE1201ELNS1_3gpuE5ELNS1_3repE0EEENS1_30default_config_static_selectorELNS0_4arch9wavefront6targetE1EEEvT1_,@function
_ZN7rocprim17ROCPRIM_400000_NS6detail17trampoline_kernelINS0_14default_configENS1_20scan_config_selectorIdEEZZNS1_9scan_implILNS1_25lookback_scan_determinismE0ELb1ELb1ES3_N6thrust23THRUST_200600_302600_NS6detail15normal_iteratorINS9_10device_ptrIdEEEESE_dNS9_4plusIvEEdEEDaPvRmT3_T4_T5_mT6_P12ihipStream_tbENKUlT_T0_E_clISt17integral_constantIbLb0EEST_IbLb1EEEEDaSP_SQ_EUlSP_E_NS1_11comp_targetILNS1_3genE10ELNS1_11target_archE1201ELNS1_3gpuE5ELNS1_3repE0EEENS1_30default_config_static_selectorELNS0_4arch9wavefront6targetE1EEEvT1_: ; @_ZN7rocprim17ROCPRIM_400000_NS6detail17trampoline_kernelINS0_14default_configENS1_20scan_config_selectorIdEEZZNS1_9scan_implILNS1_25lookback_scan_determinismE0ELb1ELb1ES3_N6thrust23THRUST_200600_302600_NS6detail15normal_iteratorINS9_10device_ptrIdEEEESE_dNS9_4plusIvEEdEEDaPvRmT3_T4_T5_mT6_P12ihipStream_tbENKUlT_T0_E_clISt17integral_constantIbLb0EEST_IbLb1EEEEDaSP_SQ_EUlSP_E_NS1_11comp_targetILNS1_3genE10ELNS1_11target_archE1201ELNS1_3gpuE5ELNS1_3repE0EEENS1_30default_config_static_selectorELNS0_4arch9wavefront6targetE1EEEvT1_
; %bb.0:
	.section	.rodata,"a",@progbits
	.p2align	6, 0x0
	.amdhsa_kernel _ZN7rocprim17ROCPRIM_400000_NS6detail17trampoline_kernelINS0_14default_configENS1_20scan_config_selectorIdEEZZNS1_9scan_implILNS1_25lookback_scan_determinismE0ELb1ELb1ES3_N6thrust23THRUST_200600_302600_NS6detail15normal_iteratorINS9_10device_ptrIdEEEESE_dNS9_4plusIvEEdEEDaPvRmT3_T4_T5_mT6_P12ihipStream_tbENKUlT_T0_E_clISt17integral_constantIbLb0EEST_IbLb1EEEEDaSP_SQ_EUlSP_E_NS1_11comp_targetILNS1_3genE10ELNS1_11target_archE1201ELNS1_3gpuE5ELNS1_3repE0EEENS1_30default_config_static_selectorELNS0_4arch9wavefront6targetE1EEEvT1_
		.amdhsa_group_segment_fixed_size 0
		.amdhsa_private_segment_fixed_size 0
		.amdhsa_kernarg_size 104
		.amdhsa_user_sgpr_count 6
		.amdhsa_user_sgpr_private_segment_buffer 1
		.amdhsa_user_sgpr_dispatch_ptr 0
		.amdhsa_user_sgpr_queue_ptr 0
		.amdhsa_user_sgpr_kernarg_segment_ptr 1
		.amdhsa_user_sgpr_dispatch_id 0
		.amdhsa_user_sgpr_flat_scratch_init 0
		.amdhsa_user_sgpr_kernarg_preload_length 0
		.amdhsa_user_sgpr_kernarg_preload_offset 0
		.amdhsa_user_sgpr_private_segment_size 0
		.amdhsa_uses_dynamic_stack 0
		.amdhsa_system_sgpr_private_segment_wavefront_offset 0
		.amdhsa_system_sgpr_workgroup_id_x 1
		.amdhsa_system_sgpr_workgroup_id_y 0
		.amdhsa_system_sgpr_workgroup_id_z 0
		.amdhsa_system_sgpr_workgroup_info 0
		.amdhsa_system_vgpr_workitem_id 0
		.amdhsa_next_free_vgpr 1
		.amdhsa_next_free_sgpr 0
		.amdhsa_accum_offset 4
		.amdhsa_reserve_vcc 0
		.amdhsa_reserve_flat_scratch 0
		.amdhsa_float_round_mode_32 0
		.amdhsa_float_round_mode_16_64 0
		.amdhsa_float_denorm_mode_32 3
		.amdhsa_float_denorm_mode_16_64 3
		.amdhsa_dx10_clamp 1
		.amdhsa_ieee_mode 1
		.amdhsa_fp16_overflow 0
		.amdhsa_tg_split 0
		.amdhsa_exception_fp_ieee_invalid_op 0
		.amdhsa_exception_fp_denorm_src 0
		.amdhsa_exception_fp_ieee_div_zero 0
		.amdhsa_exception_fp_ieee_overflow 0
		.amdhsa_exception_fp_ieee_underflow 0
		.amdhsa_exception_fp_ieee_inexact 0
		.amdhsa_exception_int_div_zero 0
	.end_amdhsa_kernel
	.section	.text._ZN7rocprim17ROCPRIM_400000_NS6detail17trampoline_kernelINS0_14default_configENS1_20scan_config_selectorIdEEZZNS1_9scan_implILNS1_25lookback_scan_determinismE0ELb1ELb1ES3_N6thrust23THRUST_200600_302600_NS6detail15normal_iteratorINS9_10device_ptrIdEEEESE_dNS9_4plusIvEEdEEDaPvRmT3_T4_T5_mT6_P12ihipStream_tbENKUlT_T0_E_clISt17integral_constantIbLb0EEST_IbLb1EEEEDaSP_SQ_EUlSP_E_NS1_11comp_targetILNS1_3genE10ELNS1_11target_archE1201ELNS1_3gpuE5ELNS1_3repE0EEENS1_30default_config_static_selectorELNS0_4arch9wavefront6targetE1EEEvT1_,"axG",@progbits,_ZN7rocprim17ROCPRIM_400000_NS6detail17trampoline_kernelINS0_14default_configENS1_20scan_config_selectorIdEEZZNS1_9scan_implILNS1_25lookback_scan_determinismE0ELb1ELb1ES3_N6thrust23THRUST_200600_302600_NS6detail15normal_iteratorINS9_10device_ptrIdEEEESE_dNS9_4plusIvEEdEEDaPvRmT3_T4_T5_mT6_P12ihipStream_tbENKUlT_T0_E_clISt17integral_constantIbLb0EEST_IbLb1EEEEDaSP_SQ_EUlSP_E_NS1_11comp_targetILNS1_3genE10ELNS1_11target_archE1201ELNS1_3gpuE5ELNS1_3repE0EEENS1_30default_config_static_selectorELNS0_4arch9wavefront6targetE1EEEvT1_,comdat
.Lfunc_end4273:
	.size	_ZN7rocprim17ROCPRIM_400000_NS6detail17trampoline_kernelINS0_14default_configENS1_20scan_config_selectorIdEEZZNS1_9scan_implILNS1_25lookback_scan_determinismE0ELb1ELb1ES3_N6thrust23THRUST_200600_302600_NS6detail15normal_iteratorINS9_10device_ptrIdEEEESE_dNS9_4plusIvEEdEEDaPvRmT3_T4_T5_mT6_P12ihipStream_tbENKUlT_T0_E_clISt17integral_constantIbLb0EEST_IbLb1EEEEDaSP_SQ_EUlSP_E_NS1_11comp_targetILNS1_3genE10ELNS1_11target_archE1201ELNS1_3gpuE5ELNS1_3repE0EEENS1_30default_config_static_selectorELNS0_4arch9wavefront6targetE1EEEvT1_, .Lfunc_end4273-_ZN7rocprim17ROCPRIM_400000_NS6detail17trampoline_kernelINS0_14default_configENS1_20scan_config_selectorIdEEZZNS1_9scan_implILNS1_25lookback_scan_determinismE0ELb1ELb1ES3_N6thrust23THRUST_200600_302600_NS6detail15normal_iteratorINS9_10device_ptrIdEEEESE_dNS9_4plusIvEEdEEDaPvRmT3_T4_T5_mT6_P12ihipStream_tbENKUlT_T0_E_clISt17integral_constantIbLb0EEST_IbLb1EEEEDaSP_SQ_EUlSP_E_NS1_11comp_targetILNS1_3genE10ELNS1_11target_archE1201ELNS1_3gpuE5ELNS1_3repE0EEENS1_30default_config_static_selectorELNS0_4arch9wavefront6targetE1EEEvT1_
                                        ; -- End function
	.section	.AMDGPU.csdata,"",@progbits
; Kernel info:
; codeLenInByte = 0
; NumSgprs: 4
; NumVgprs: 0
; NumAgprs: 0
; TotalNumVgprs: 0
; ScratchSize: 0
; MemoryBound: 0
; FloatMode: 240
; IeeeMode: 1
; LDSByteSize: 0 bytes/workgroup (compile time only)
; SGPRBlocks: 0
; VGPRBlocks: 0
; NumSGPRsForWavesPerEU: 4
; NumVGPRsForWavesPerEU: 1
; AccumOffset: 4
; Occupancy: 8
; WaveLimiterHint : 0
; COMPUTE_PGM_RSRC2:SCRATCH_EN: 0
; COMPUTE_PGM_RSRC2:USER_SGPR: 6
; COMPUTE_PGM_RSRC2:TRAP_HANDLER: 0
; COMPUTE_PGM_RSRC2:TGID_X_EN: 1
; COMPUTE_PGM_RSRC2:TGID_Y_EN: 0
; COMPUTE_PGM_RSRC2:TGID_Z_EN: 0
; COMPUTE_PGM_RSRC2:TIDIG_COMP_CNT: 0
; COMPUTE_PGM_RSRC3_GFX90A:ACCUM_OFFSET: 0
; COMPUTE_PGM_RSRC3_GFX90A:TG_SPLIT: 0
	.section	.text._ZN7rocprim17ROCPRIM_400000_NS6detail17trampoline_kernelINS0_14default_configENS1_20scan_config_selectorIdEEZZNS1_9scan_implILNS1_25lookback_scan_determinismE0ELb1ELb1ES3_N6thrust23THRUST_200600_302600_NS6detail15normal_iteratorINS9_10device_ptrIdEEEESE_dNS9_4plusIvEEdEEDaPvRmT3_T4_T5_mT6_P12ihipStream_tbENKUlT_T0_E_clISt17integral_constantIbLb0EEST_IbLb1EEEEDaSP_SQ_EUlSP_E_NS1_11comp_targetILNS1_3genE10ELNS1_11target_archE1200ELNS1_3gpuE4ELNS1_3repE0EEENS1_30default_config_static_selectorELNS0_4arch9wavefront6targetE1EEEvT1_,"axG",@progbits,_ZN7rocprim17ROCPRIM_400000_NS6detail17trampoline_kernelINS0_14default_configENS1_20scan_config_selectorIdEEZZNS1_9scan_implILNS1_25lookback_scan_determinismE0ELb1ELb1ES3_N6thrust23THRUST_200600_302600_NS6detail15normal_iteratorINS9_10device_ptrIdEEEESE_dNS9_4plusIvEEdEEDaPvRmT3_T4_T5_mT6_P12ihipStream_tbENKUlT_T0_E_clISt17integral_constantIbLb0EEST_IbLb1EEEEDaSP_SQ_EUlSP_E_NS1_11comp_targetILNS1_3genE10ELNS1_11target_archE1200ELNS1_3gpuE4ELNS1_3repE0EEENS1_30default_config_static_selectorELNS0_4arch9wavefront6targetE1EEEvT1_,comdat
	.protected	_ZN7rocprim17ROCPRIM_400000_NS6detail17trampoline_kernelINS0_14default_configENS1_20scan_config_selectorIdEEZZNS1_9scan_implILNS1_25lookback_scan_determinismE0ELb1ELb1ES3_N6thrust23THRUST_200600_302600_NS6detail15normal_iteratorINS9_10device_ptrIdEEEESE_dNS9_4plusIvEEdEEDaPvRmT3_T4_T5_mT6_P12ihipStream_tbENKUlT_T0_E_clISt17integral_constantIbLb0EEST_IbLb1EEEEDaSP_SQ_EUlSP_E_NS1_11comp_targetILNS1_3genE10ELNS1_11target_archE1200ELNS1_3gpuE4ELNS1_3repE0EEENS1_30default_config_static_selectorELNS0_4arch9wavefront6targetE1EEEvT1_ ; -- Begin function _ZN7rocprim17ROCPRIM_400000_NS6detail17trampoline_kernelINS0_14default_configENS1_20scan_config_selectorIdEEZZNS1_9scan_implILNS1_25lookback_scan_determinismE0ELb1ELb1ES3_N6thrust23THRUST_200600_302600_NS6detail15normal_iteratorINS9_10device_ptrIdEEEESE_dNS9_4plusIvEEdEEDaPvRmT3_T4_T5_mT6_P12ihipStream_tbENKUlT_T0_E_clISt17integral_constantIbLb0EEST_IbLb1EEEEDaSP_SQ_EUlSP_E_NS1_11comp_targetILNS1_3genE10ELNS1_11target_archE1200ELNS1_3gpuE4ELNS1_3repE0EEENS1_30default_config_static_selectorELNS0_4arch9wavefront6targetE1EEEvT1_
	.globl	_ZN7rocprim17ROCPRIM_400000_NS6detail17trampoline_kernelINS0_14default_configENS1_20scan_config_selectorIdEEZZNS1_9scan_implILNS1_25lookback_scan_determinismE0ELb1ELb1ES3_N6thrust23THRUST_200600_302600_NS6detail15normal_iteratorINS9_10device_ptrIdEEEESE_dNS9_4plusIvEEdEEDaPvRmT3_T4_T5_mT6_P12ihipStream_tbENKUlT_T0_E_clISt17integral_constantIbLb0EEST_IbLb1EEEEDaSP_SQ_EUlSP_E_NS1_11comp_targetILNS1_3genE10ELNS1_11target_archE1200ELNS1_3gpuE4ELNS1_3repE0EEENS1_30default_config_static_selectorELNS0_4arch9wavefront6targetE1EEEvT1_
	.p2align	8
	.type	_ZN7rocprim17ROCPRIM_400000_NS6detail17trampoline_kernelINS0_14default_configENS1_20scan_config_selectorIdEEZZNS1_9scan_implILNS1_25lookback_scan_determinismE0ELb1ELb1ES3_N6thrust23THRUST_200600_302600_NS6detail15normal_iteratorINS9_10device_ptrIdEEEESE_dNS9_4plusIvEEdEEDaPvRmT3_T4_T5_mT6_P12ihipStream_tbENKUlT_T0_E_clISt17integral_constantIbLb0EEST_IbLb1EEEEDaSP_SQ_EUlSP_E_NS1_11comp_targetILNS1_3genE10ELNS1_11target_archE1200ELNS1_3gpuE4ELNS1_3repE0EEENS1_30default_config_static_selectorELNS0_4arch9wavefront6targetE1EEEvT1_,@function
_ZN7rocprim17ROCPRIM_400000_NS6detail17trampoline_kernelINS0_14default_configENS1_20scan_config_selectorIdEEZZNS1_9scan_implILNS1_25lookback_scan_determinismE0ELb1ELb1ES3_N6thrust23THRUST_200600_302600_NS6detail15normal_iteratorINS9_10device_ptrIdEEEESE_dNS9_4plusIvEEdEEDaPvRmT3_T4_T5_mT6_P12ihipStream_tbENKUlT_T0_E_clISt17integral_constantIbLb0EEST_IbLb1EEEEDaSP_SQ_EUlSP_E_NS1_11comp_targetILNS1_3genE10ELNS1_11target_archE1200ELNS1_3gpuE4ELNS1_3repE0EEENS1_30default_config_static_selectorELNS0_4arch9wavefront6targetE1EEEvT1_: ; @_ZN7rocprim17ROCPRIM_400000_NS6detail17trampoline_kernelINS0_14default_configENS1_20scan_config_selectorIdEEZZNS1_9scan_implILNS1_25lookback_scan_determinismE0ELb1ELb1ES3_N6thrust23THRUST_200600_302600_NS6detail15normal_iteratorINS9_10device_ptrIdEEEESE_dNS9_4plusIvEEdEEDaPvRmT3_T4_T5_mT6_P12ihipStream_tbENKUlT_T0_E_clISt17integral_constantIbLb0EEST_IbLb1EEEEDaSP_SQ_EUlSP_E_NS1_11comp_targetILNS1_3genE10ELNS1_11target_archE1200ELNS1_3gpuE4ELNS1_3repE0EEENS1_30default_config_static_selectorELNS0_4arch9wavefront6targetE1EEEvT1_
; %bb.0:
	.section	.rodata,"a",@progbits
	.p2align	6, 0x0
	.amdhsa_kernel _ZN7rocprim17ROCPRIM_400000_NS6detail17trampoline_kernelINS0_14default_configENS1_20scan_config_selectorIdEEZZNS1_9scan_implILNS1_25lookback_scan_determinismE0ELb1ELb1ES3_N6thrust23THRUST_200600_302600_NS6detail15normal_iteratorINS9_10device_ptrIdEEEESE_dNS9_4plusIvEEdEEDaPvRmT3_T4_T5_mT6_P12ihipStream_tbENKUlT_T0_E_clISt17integral_constantIbLb0EEST_IbLb1EEEEDaSP_SQ_EUlSP_E_NS1_11comp_targetILNS1_3genE10ELNS1_11target_archE1200ELNS1_3gpuE4ELNS1_3repE0EEENS1_30default_config_static_selectorELNS0_4arch9wavefront6targetE1EEEvT1_
		.amdhsa_group_segment_fixed_size 0
		.amdhsa_private_segment_fixed_size 0
		.amdhsa_kernarg_size 104
		.amdhsa_user_sgpr_count 6
		.amdhsa_user_sgpr_private_segment_buffer 1
		.amdhsa_user_sgpr_dispatch_ptr 0
		.amdhsa_user_sgpr_queue_ptr 0
		.amdhsa_user_sgpr_kernarg_segment_ptr 1
		.amdhsa_user_sgpr_dispatch_id 0
		.amdhsa_user_sgpr_flat_scratch_init 0
		.amdhsa_user_sgpr_kernarg_preload_length 0
		.amdhsa_user_sgpr_kernarg_preload_offset 0
		.amdhsa_user_sgpr_private_segment_size 0
		.amdhsa_uses_dynamic_stack 0
		.amdhsa_system_sgpr_private_segment_wavefront_offset 0
		.amdhsa_system_sgpr_workgroup_id_x 1
		.amdhsa_system_sgpr_workgroup_id_y 0
		.amdhsa_system_sgpr_workgroup_id_z 0
		.amdhsa_system_sgpr_workgroup_info 0
		.amdhsa_system_vgpr_workitem_id 0
		.amdhsa_next_free_vgpr 1
		.amdhsa_next_free_sgpr 0
		.amdhsa_accum_offset 4
		.amdhsa_reserve_vcc 0
		.amdhsa_reserve_flat_scratch 0
		.amdhsa_float_round_mode_32 0
		.amdhsa_float_round_mode_16_64 0
		.amdhsa_float_denorm_mode_32 3
		.amdhsa_float_denorm_mode_16_64 3
		.amdhsa_dx10_clamp 1
		.amdhsa_ieee_mode 1
		.amdhsa_fp16_overflow 0
		.amdhsa_tg_split 0
		.amdhsa_exception_fp_ieee_invalid_op 0
		.amdhsa_exception_fp_denorm_src 0
		.amdhsa_exception_fp_ieee_div_zero 0
		.amdhsa_exception_fp_ieee_overflow 0
		.amdhsa_exception_fp_ieee_underflow 0
		.amdhsa_exception_fp_ieee_inexact 0
		.amdhsa_exception_int_div_zero 0
	.end_amdhsa_kernel
	.section	.text._ZN7rocprim17ROCPRIM_400000_NS6detail17trampoline_kernelINS0_14default_configENS1_20scan_config_selectorIdEEZZNS1_9scan_implILNS1_25lookback_scan_determinismE0ELb1ELb1ES3_N6thrust23THRUST_200600_302600_NS6detail15normal_iteratorINS9_10device_ptrIdEEEESE_dNS9_4plusIvEEdEEDaPvRmT3_T4_T5_mT6_P12ihipStream_tbENKUlT_T0_E_clISt17integral_constantIbLb0EEST_IbLb1EEEEDaSP_SQ_EUlSP_E_NS1_11comp_targetILNS1_3genE10ELNS1_11target_archE1200ELNS1_3gpuE4ELNS1_3repE0EEENS1_30default_config_static_selectorELNS0_4arch9wavefront6targetE1EEEvT1_,"axG",@progbits,_ZN7rocprim17ROCPRIM_400000_NS6detail17trampoline_kernelINS0_14default_configENS1_20scan_config_selectorIdEEZZNS1_9scan_implILNS1_25lookback_scan_determinismE0ELb1ELb1ES3_N6thrust23THRUST_200600_302600_NS6detail15normal_iteratorINS9_10device_ptrIdEEEESE_dNS9_4plusIvEEdEEDaPvRmT3_T4_T5_mT6_P12ihipStream_tbENKUlT_T0_E_clISt17integral_constantIbLb0EEST_IbLb1EEEEDaSP_SQ_EUlSP_E_NS1_11comp_targetILNS1_3genE10ELNS1_11target_archE1200ELNS1_3gpuE4ELNS1_3repE0EEENS1_30default_config_static_selectorELNS0_4arch9wavefront6targetE1EEEvT1_,comdat
.Lfunc_end4274:
	.size	_ZN7rocprim17ROCPRIM_400000_NS6detail17trampoline_kernelINS0_14default_configENS1_20scan_config_selectorIdEEZZNS1_9scan_implILNS1_25lookback_scan_determinismE0ELb1ELb1ES3_N6thrust23THRUST_200600_302600_NS6detail15normal_iteratorINS9_10device_ptrIdEEEESE_dNS9_4plusIvEEdEEDaPvRmT3_T4_T5_mT6_P12ihipStream_tbENKUlT_T0_E_clISt17integral_constantIbLb0EEST_IbLb1EEEEDaSP_SQ_EUlSP_E_NS1_11comp_targetILNS1_3genE10ELNS1_11target_archE1200ELNS1_3gpuE4ELNS1_3repE0EEENS1_30default_config_static_selectorELNS0_4arch9wavefront6targetE1EEEvT1_, .Lfunc_end4274-_ZN7rocprim17ROCPRIM_400000_NS6detail17trampoline_kernelINS0_14default_configENS1_20scan_config_selectorIdEEZZNS1_9scan_implILNS1_25lookback_scan_determinismE0ELb1ELb1ES3_N6thrust23THRUST_200600_302600_NS6detail15normal_iteratorINS9_10device_ptrIdEEEESE_dNS9_4plusIvEEdEEDaPvRmT3_T4_T5_mT6_P12ihipStream_tbENKUlT_T0_E_clISt17integral_constantIbLb0EEST_IbLb1EEEEDaSP_SQ_EUlSP_E_NS1_11comp_targetILNS1_3genE10ELNS1_11target_archE1200ELNS1_3gpuE4ELNS1_3repE0EEENS1_30default_config_static_selectorELNS0_4arch9wavefront6targetE1EEEvT1_
                                        ; -- End function
	.section	.AMDGPU.csdata,"",@progbits
; Kernel info:
; codeLenInByte = 0
; NumSgprs: 4
; NumVgprs: 0
; NumAgprs: 0
; TotalNumVgprs: 0
; ScratchSize: 0
; MemoryBound: 0
; FloatMode: 240
; IeeeMode: 1
; LDSByteSize: 0 bytes/workgroup (compile time only)
; SGPRBlocks: 0
; VGPRBlocks: 0
; NumSGPRsForWavesPerEU: 4
; NumVGPRsForWavesPerEU: 1
; AccumOffset: 4
; Occupancy: 8
; WaveLimiterHint : 0
; COMPUTE_PGM_RSRC2:SCRATCH_EN: 0
; COMPUTE_PGM_RSRC2:USER_SGPR: 6
; COMPUTE_PGM_RSRC2:TRAP_HANDLER: 0
; COMPUTE_PGM_RSRC2:TGID_X_EN: 1
; COMPUTE_PGM_RSRC2:TGID_Y_EN: 0
; COMPUTE_PGM_RSRC2:TGID_Z_EN: 0
; COMPUTE_PGM_RSRC2:TIDIG_COMP_CNT: 0
; COMPUTE_PGM_RSRC3_GFX90A:ACCUM_OFFSET: 0
; COMPUTE_PGM_RSRC3_GFX90A:TG_SPLIT: 0
	.section	.text._ZN7rocprim17ROCPRIM_400000_NS6detail17trampoline_kernelINS0_14default_configENS1_20scan_config_selectorIdEEZZNS1_9scan_implILNS1_25lookback_scan_determinismE0ELb1ELb1ES3_N6thrust23THRUST_200600_302600_NS6detail15normal_iteratorINS9_10device_ptrIdEEEESE_dNS9_4plusIvEEdEEDaPvRmT3_T4_T5_mT6_P12ihipStream_tbENKUlT_T0_E_clISt17integral_constantIbLb0EEST_IbLb1EEEEDaSP_SQ_EUlSP_E_NS1_11comp_targetILNS1_3genE9ELNS1_11target_archE1100ELNS1_3gpuE3ELNS1_3repE0EEENS1_30default_config_static_selectorELNS0_4arch9wavefront6targetE1EEEvT1_,"axG",@progbits,_ZN7rocprim17ROCPRIM_400000_NS6detail17trampoline_kernelINS0_14default_configENS1_20scan_config_selectorIdEEZZNS1_9scan_implILNS1_25lookback_scan_determinismE0ELb1ELb1ES3_N6thrust23THRUST_200600_302600_NS6detail15normal_iteratorINS9_10device_ptrIdEEEESE_dNS9_4plusIvEEdEEDaPvRmT3_T4_T5_mT6_P12ihipStream_tbENKUlT_T0_E_clISt17integral_constantIbLb0EEST_IbLb1EEEEDaSP_SQ_EUlSP_E_NS1_11comp_targetILNS1_3genE9ELNS1_11target_archE1100ELNS1_3gpuE3ELNS1_3repE0EEENS1_30default_config_static_selectorELNS0_4arch9wavefront6targetE1EEEvT1_,comdat
	.protected	_ZN7rocprim17ROCPRIM_400000_NS6detail17trampoline_kernelINS0_14default_configENS1_20scan_config_selectorIdEEZZNS1_9scan_implILNS1_25lookback_scan_determinismE0ELb1ELb1ES3_N6thrust23THRUST_200600_302600_NS6detail15normal_iteratorINS9_10device_ptrIdEEEESE_dNS9_4plusIvEEdEEDaPvRmT3_T4_T5_mT6_P12ihipStream_tbENKUlT_T0_E_clISt17integral_constantIbLb0EEST_IbLb1EEEEDaSP_SQ_EUlSP_E_NS1_11comp_targetILNS1_3genE9ELNS1_11target_archE1100ELNS1_3gpuE3ELNS1_3repE0EEENS1_30default_config_static_selectorELNS0_4arch9wavefront6targetE1EEEvT1_ ; -- Begin function _ZN7rocprim17ROCPRIM_400000_NS6detail17trampoline_kernelINS0_14default_configENS1_20scan_config_selectorIdEEZZNS1_9scan_implILNS1_25lookback_scan_determinismE0ELb1ELb1ES3_N6thrust23THRUST_200600_302600_NS6detail15normal_iteratorINS9_10device_ptrIdEEEESE_dNS9_4plusIvEEdEEDaPvRmT3_T4_T5_mT6_P12ihipStream_tbENKUlT_T0_E_clISt17integral_constantIbLb0EEST_IbLb1EEEEDaSP_SQ_EUlSP_E_NS1_11comp_targetILNS1_3genE9ELNS1_11target_archE1100ELNS1_3gpuE3ELNS1_3repE0EEENS1_30default_config_static_selectorELNS0_4arch9wavefront6targetE1EEEvT1_
	.globl	_ZN7rocprim17ROCPRIM_400000_NS6detail17trampoline_kernelINS0_14default_configENS1_20scan_config_selectorIdEEZZNS1_9scan_implILNS1_25lookback_scan_determinismE0ELb1ELb1ES3_N6thrust23THRUST_200600_302600_NS6detail15normal_iteratorINS9_10device_ptrIdEEEESE_dNS9_4plusIvEEdEEDaPvRmT3_T4_T5_mT6_P12ihipStream_tbENKUlT_T0_E_clISt17integral_constantIbLb0EEST_IbLb1EEEEDaSP_SQ_EUlSP_E_NS1_11comp_targetILNS1_3genE9ELNS1_11target_archE1100ELNS1_3gpuE3ELNS1_3repE0EEENS1_30default_config_static_selectorELNS0_4arch9wavefront6targetE1EEEvT1_
	.p2align	8
	.type	_ZN7rocprim17ROCPRIM_400000_NS6detail17trampoline_kernelINS0_14default_configENS1_20scan_config_selectorIdEEZZNS1_9scan_implILNS1_25lookback_scan_determinismE0ELb1ELb1ES3_N6thrust23THRUST_200600_302600_NS6detail15normal_iteratorINS9_10device_ptrIdEEEESE_dNS9_4plusIvEEdEEDaPvRmT3_T4_T5_mT6_P12ihipStream_tbENKUlT_T0_E_clISt17integral_constantIbLb0EEST_IbLb1EEEEDaSP_SQ_EUlSP_E_NS1_11comp_targetILNS1_3genE9ELNS1_11target_archE1100ELNS1_3gpuE3ELNS1_3repE0EEENS1_30default_config_static_selectorELNS0_4arch9wavefront6targetE1EEEvT1_,@function
_ZN7rocprim17ROCPRIM_400000_NS6detail17trampoline_kernelINS0_14default_configENS1_20scan_config_selectorIdEEZZNS1_9scan_implILNS1_25lookback_scan_determinismE0ELb1ELb1ES3_N6thrust23THRUST_200600_302600_NS6detail15normal_iteratorINS9_10device_ptrIdEEEESE_dNS9_4plusIvEEdEEDaPvRmT3_T4_T5_mT6_P12ihipStream_tbENKUlT_T0_E_clISt17integral_constantIbLb0EEST_IbLb1EEEEDaSP_SQ_EUlSP_E_NS1_11comp_targetILNS1_3genE9ELNS1_11target_archE1100ELNS1_3gpuE3ELNS1_3repE0EEENS1_30default_config_static_selectorELNS0_4arch9wavefront6targetE1EEEvT1_: ; @_ZN7rocprim17ROCPRIM_400000_NS6detail17trampoline_kernelINS0_14default_configENS1_20scan_config_selectorIdEEZZNS1_9scan_implILNS1_25lookback_scan_determinismE0ELb1ELb1ES3_N6thrust23THRUST_200600_302600_NS6detail15normal_iteratorINS9_10device_ptrIdEEEESE_dNS9_4plusIvEEdEEDaPvRmT3_T4_T5_mT6_P12ihipStream_tbENKUlT_T0_E_clISt17integral_constantIbLb0EEST_IbLb1EEEEDaSP_SQ_EUlSP_E_NS1_11comp_targetILNS1_3genE9ELNS1_11target_archE1100ELNS1_3gpuE3ELNS1_3repE0EEENS1_30default_config_static_selectorELNS0_4arch9wavefront6targetE1EEEvT1_
; %bb.0:
	.section	.rodata,"a",@progbits
	.p2align	6, 0x0
	.amdhsa_kernel _ZN7rocprim17ROCPRIM_400000_NS6detail17trampoline_kernelINS0_14default_configENS1_20scan_config_selectorIdEEZZNS1_9scan_implILNS1_25lookback_scan_determinismE0ELb1ELb1ES3_N6thrust23THRUST_200600_302600_NS6detail15normal_iteratorINS9_10device_ptrIdEEEESE_dNS9_4plusIvEEdEEDaPvRmT3_T4_T5_mT6_P12ihipStream_tbENKUlT_T0_E_clISt17integral_constantIbLb0EEST_IbLb1EEEEDaSP_SQ_EUlSP_E_NS1_11comp_targetILNS1_3genE9ELNS1_11target_archE1100ELNS1_3gpuE3ELNS1_3repE0EEENS1_30default_config_static_selectorELNS0_4arch9wavefront6targetE1EEEvT1_
		.amdhsa_group_segment_fixed_size 0
		.amdhsa_private_segment_fixed_size 0
		.amdhsa_kernarg_size 104
		.amdhsa_user_sgpr_count 6
		.amdhsa_user_sgpr_private_segment_buffer 1
		.amdhsa_user_sgpr_dispatch_ptr 0
		.amdhsa_user_sgpr_queue_ptr 0
		.amdhsa_user_sgpr_kernarg_segment_ptr 1
		.amdhsa_user_sgpr_dispatch_id 0
		.amdhsa_user_sgpr_flat_scratch_init 0
		.amdhsa_user_sgpr_kernarg_preload_length 0
		.amdhsa_user_sgpr_kernarg_preload_offset 0
		.amdhsa_user_sgpr_private_segment_size 0
		.amdhsa_uses_dynamic_stack 0
		.amdhsa_system_sgpr_private_segment_wavefront_offset 0
		.amdhsa_system_sgpr_workgroup_id_x 1
		.amdhsa_system_sgpr_workgroup_id_y 0
		.amdhsa_system_sgpr_workgroup_id_z 0
		.amdhsa_system_sgpr_workgroup_info 0
		.amdhsa_system_vgpr_workitem_id 0
		.amdhsa_next_free_vgpr 1
		.amdhsa_next_free_sgpr 0
		.amdhsa_accum_offset 4
		.amdhsa_reserve_vcc 0
		.amdhsa_reserve_flat_scratch 0
		.amdhsa_float_round_mode_32 0
		.amdhsa_float_round_mode_16_64 0
		.amdhsa_float_denorm_mode_32 3
		.amdhsa_float_denorm_mode_16_64 3
		.amdhsa_dx10_clamp 1
		.amdhsa_ieee_mode 1
		.amdhsa_fp16_overflow 0
		.amdhsa_tg_split 0
		.amdhsa_exception_fp_ieee_invalid_op 0
		.amdhsa_exception_fp_denorm_src 0
		.amdhsa_exception_fp_ieee_div_zero 0
		.amdhsa_exception_fp_ieee_overflow 0
		.amdhsa_exception_fp_ieee_underflow 0
		.amdhsa_exception_fp_ieee_inexact 0
		.amdhsa_exception_int_div_zero 0
	.end_amdhsa_kernel
	.section	.text._ZN7rocprim17ROCPRIM_400000_NS6detail17trampoline_kernelINS0_14default_configENS1_20scan_config_selectorIdEEZZNS1_9scan_implILNS1_25lookback_scan_determinismE0ELb1ELb1ES3_N6thrust23THRUST_200600_302600_NS6detail15normal_iteratorINS9_10device_ptrIdEEEESE_dNS9_4plusIvEEdEEDaPvRmT3_T4_T5_mT6_P12ihipStream_tbENKUlT_T0_E_clISt17integral_constantIbLb0EEST_IbLb1EEEEDaSP_SQ_EUlSP_E_NS1_11comp_targetILNS1_3genE9ELNS1_11target_archE1100ELNS1_3gpuE3ELNS1_3repE0EEENS1_30default_config_static_selectorELNS0_4arch9wavefront6targetE1EEEvT1_,"axG",@progbits,_ZN7rocprim17ROCPRIM_400000_NS6detail17trampoline_kernelINS0_14default_configENS1_20scan_config_selectorIdEEZZNS1_9scan_implILNS1_25lookback_scan_determinismE0ELb1ELb1ES3_N6thrust23THRUST_200600_302600_NS6detail15normal_iteratorINS9_10device_ptrIdEEEESE_dNS9_4plusIvEEdEEDaPvRmT3_T4_T5_mT6_P12ihipStream_tbENKUlT_T0_E_clISt17integral_constantIbLb0EEST_IbLb1EEEEDaSP_SQ_EUlSP_E_NS1_11comp_targetILNS1_3genE9ELNS1_11target_archE1100ELNS1_3gpuE3ELNS1_3repE0EEENS1_30default_config_static_selectorELNS0_4arch9wavefront6targetE1EEEvT1_,comdat
.Lfunc_end4275:
	.size	_ZN7rocprim17ROCPRIM_400000_NS6detail17trampoline_kernelINS0_14default_configENS1_20scan_config_selectorIdEEZZNS1_9scan_implILNS1_25lookback_scan_determinismE0ELb1ELb1ES3_N6thrust23THRUST_200600_302600_NS6detail15normal_iteratorINS9_10device_ptrIdEEEESE_dNS9_4plusIvEEdEEDaPvRmT3_T4_T5_mT6_P12ihipStream_tbENKUlT_T0_E_clISt17integral_constantIbLb0EEST_IbLb1EEEEDaSP_SQ_EUlSP_E_NS1_11comp_targetILNS1_3genE9ELNS1_11target_archE1100ELNS1_3gpuE3ELNS1_3repE0EEENS1_30default_config_static_selectorELNS0_4arch9wavefront6targetE1EEEvT1_, .Lfunc_end4275-_ZN7rocprim17ROCPRIM_400000_NS6detail17trampoline_kernelINS0_14default_configENS1_20scan_config_selectorIdEEZZNS1_9scan_implILNS1_25lookback_scan_determinismE0ELb1ELb1ES3_N6thrust23THRUST_200600_302600_NS6detail15normal_iteratorINS9_10device_ptrIdEEEESE_dNS9_4plusIvEEdEEDaPvRmT3_T4_T5_mT6_P12ihipStream_tbENKUlT_T0_E_clISt17integral_constantIbLb0EEST_IbLb1EEEEDaSP_SQ_EUlSP_E_NS1_11comp_targetILNS1_3genE9ELNS1_11target_archE1100ELNS1_3gpuE3ELNS1_3repE0EEENS1_30default_config_static_selectorELNS0_4arch9wavefront6targetE1EEEvT1_
                                        ; -- End function
	.section	.AMDGPU.csdata,"",@progbits
; Kernel info:
; codeLenInByte = 0
; NumSgprs: 4
; NumVgprs: 0
; NumAgprs: 0
; TotalNumVgprs: 0
; ScratchSize: 0
; MemoryBound: 0
; FloatMode: 240
; IeeeMode: 1
; LDSByteSize: 0 bytes/workgroup (compile time only)
; SGPRBlocks: 0
; VGPRBlocks: 0
; NumSGPRsForWavesPerEU: 4
; NumVGPRsForWavesPerEU: 1
; AccumOffset: 4
; Occupancy: 8
; WaveLimiterHint : 0
; COMPUTE_PGM_RSRC2:SCRATCH_EN: 0
; COMPUTE_PGM_RSRC2:USER_SGPR: 6
; COMPUTE_PGM_RSRC2:TRAP_HANDLER: 0
; COMPUTE_PGM_RSRC2:TGID_X_EN: 1
; COMPUTE_PGM_RSRC2:TGID_Y_EN: 0
; COMPUTE_PGM_RSRC2:TGID_Z_EN: 0
; COMPUTE_PGM_RSRC2:TIDIG_COMP_CNT: 0
; COMPUTE_PGM_RSRC3_GFX90A:ACCUM_OFFSET: 0
; COMPUTE_PGM_RSRC3_GFX90A:TG_SPLIT: 0
	.section	.text._ZN7rocprim17ROCPRIM_400000_NS6detail17trampoline_kernelINS0_14default_configENS1_20scan_config_selectorIdEEZZNS1_9scan_implILNS1_25lookback_scan_determinismE0ELb1ELb1ES3_N6thrust23THRUST_200600_302600_NS6detail15normal_iteratorINS9_10device_ptrIdEEEESE_dNS9_4plusIvEEdEEDaPvRmT3_T4_T5_mT6_P12ihipStream_tbENKUlT_T0_E_clISt17integral_constantIbLb0EEST_IbLb1EEEEDaSP_SQ_EUlSP_E_NS1_11comp_targetILNS1_3genE8ELNS1_11target_archE1030ELNS1_3gpuE2ELNS1_3repE0EEENS1_30default_config_static_selectorELNS0_4arch9wavefront6targetE1EEEvT1_,"axG",@progbits,_ZN7rocprim17ROCPRIM_400000_NS6detail17trampoline_kernelINS0_14default_configENS1_20scan_config_selectorIdEEZZNS1_9scan_implILNS1_25lookback_scan_determinismE0ELb1ELb1ES3_N6thrust23THRUST_200600_302600_NS6detail15normal_iteratorINS9_10device_ptrIdEEEESE_dNS9_4plusIvEEdEEDaPvRmT3_T4_T5_mT6_P12ihipStream_tbENKUlT_T0_E_clISt17integral_constantIbLb0EEST_IbLb1EEEEDaSP_SQ_EUlSP_E_NS1_11comp_targetILNS1_3genE8ELNS1_11target_archE1030ELNS1_3gpuE2ELNS1_3repE0EEENS1_30default_config_static_selectorELNS0_4arch9wavefront6targetE1EEEvT1_,comdat
	.protected	_ZN7rocprim17ROCPRIM_400000_NS6detail17trampoline_kernelINS0_14default_configENS1_20scan_config_selectorIdEEZZNS1_9scan_implILNS1_25lookback_scan_determinismE0ELb1ELb1ES3_N6thrust23THRUST_200600_302600_NS6detail15normal_iteratorINS9_10device_ptrIdEEEESE_dNS9_4plusIvEEdEEDaPvRmT3_T4_T5_mT6_P12ihipStream_tbENKUlT_T0_E_clISt17integral_constantIbLb0EEST_IbLb1EEEEDaSP_SQ_EUlSP_E_NS1_11comp_targetILNS1_3genE8ELNS1_11target_archE1030ELNS1_3gpuE2ELNS1_3repE0EEENS1_30default_config_static_selectorELNS0_4arch9wavefront6targetE1EEEvT1_ ; -- Begin function _ZN7rocprim17ROCPRIM_400000_NS6detail17trampoline_kernelINS0_14default_configENS1_20scan_config_selectorIdEEZZNS1_9scan_implILNS1_25lookback_scan_determinismE0ELb1ELb1ES3_N6thrust23THRUST_200600_302600_NS6detail15normal_iteratorINS9_10device_ptrIdEEEESE_dNS9_4plusIvEEdEEDaPvRmT3_T4_T5_mT6_P12ihipStream_tbENKUlT_T0_E_clISt17integral_constantIbLb0EEST_IbLb1EEEEDaSP_SQ_EUlSP_E_NS1_11comp_targetILNS1_3genE8ELNS1_11target_archE1030ELNS1_3gpuE2ELNS1_3repE0EEENS1_30default_config_static_selectorELNS0_4arch9wavefront6targetE1EEEvT1_
	.globl	_ZN7rocprim17ROCPRIM_400000_NS6detail17trampoline_kernelINS0_14default_configENS1_20scan_config_selectorIdEEZZNS1_9scan_implILNS1_25lookback_scan_determinismE0ELb1ELb1ES3_N6thrust23THRUST_200600_302600_NS6detail15normal_iteratorINS9_10device_ptrIdEEEESE_dNS9_4plusIvEEdEEDaPvRmT3_T4_T5_mT6_P12ihipStream_tbENKUlT_T0_E_clISt17integral_constantIbLb0EEST_IbLb1EEEEDaSP_SQ_EUlSP_E_NS1_11comp_targetILNS1_3genE8ELNS1_11target_archE1030ELNS1_3gpuE2ELNS1_3repE0EEENS1_30default_config_static_selectorELNS0_4arch9wavefront6targetE1EEEvT1_
	.p2align	8
	.type	_ZN7rocprim17ROCPRIM_400000_NS6detail17trampoline_kernelINS0_14default_configENS1_20scan_config_selectorIdEEZZNS1_9scan_implILNS1_25lookback_scan_determinismE0ELb1ELb1ES3_N6thrust23THRUST_200600_302600_NS6detail15normal_iteratorINS9_10device_ptrIdEEEESE_dNS9_4plusIvEEdEEDaPvRmT3_T4_T5_mT6_P12ihipStream_tbENKUlT_T0_E_clISt17integral_constantIbLb0EEST_IbLb1EEEEDaSP_SQ_EUlSP_E_NS1_11comp_targetILNS1_3genE8ELNS1_11target_archE1030ELNS1_3gpuE2ELNS1_3repE0EEENS1_30default_config_static_selectorELNS0_4arch9wavefront6targetE1EEEvT1_,@function
_ZN7rocprim17ROCPRIM_400000_NS6detail17trampoline_kernelINS0_14default_configENS1_20scan_config_selectorIdEEZZNS1_9scan_implILNS1_25lookback_scan_determinismE0ELb1ELb1ES3_N6thrust23THRUST_200600_302600_NS6detail15normal_iteratorINS9_10device_ptrIdEEEESE_dNS9_4plusIvEEdEEDaPvRmT3_T4_T5_mT6_P12ihipStream_tbENKUlT_T0_E_clISt17integral_constantIbLb0EEST_IbLb1EEEEDaSP_SQ_EUlSP_E_NS1_11comp_targetILNS1_3genE8ELNS1_11target_archE1030ELNS1_3gpuE2ELNS1_3repE0EEENS1_30default_config_static_selectorELNS0_4arch9wavefront6targetE1EEEvT1_: ; @_ZN7rocprim17ROCPRIM_400000_NS6detail17trampoline_kernelINS0_14default_configENS1_20scan_config_selectorIdEEZZNS1_9scan_implILNS1_25lookback_scan_determinismE0ELb1ELb1ES3_N6thrust23THRUST_200600_302600_NS6detail15normal_iteratorINS9_10device_ptrIdEEEESE_dNS9_4plusIvEEdEEDaPvRmT3_T4_T5_mT6_P12ihipStream_tbENKUlT_T0_E_clISt17integral_constantIbLb0EEST_IbLb1EEEEDaSP_SQ_EUlSP_E_NS1_11comp_targetILNS1_3genE8ELNS1_11target_archE1030ELNS1_3gpuE2ELNS1_3repE0EEENS1_30default_config_static_selectorELNS0_4arch9wavefront6targetE1EEEvT1_
; %bb.0:
	.section	.rodata,"a",@progbits
	.p2align	6, 0x0
	.amdhsa_kernel _ZN7rocprim17ROCPRIM_400000_NS6detail17trampoline_kernelINS0_14default_configENS1_20scan_config_selectorIdEEZZNS1_9scan_implILNS1_25lookback_scan_determinismE0ELb1ELb1ES3_N6thrust23THRUST_200600_302600_NS6detail15normal_iteratorINS9_10device_ptrIdEEEESE_dNS9_4plusIvEEdEEDaPvRmT3_T4_T5_mT6_P12ihipStream_tbENKUlT_T0_E_clISt17integral_constantIbLb0EEST_IbLb1EEEEDaSP_SQ_EUlSP_E_NS1_11comp_targetILNS1_3genE8ELNS1_11target_archE1030ELNS1_3gpuE2ELNS1_3repE0EEENS1_30default_config_static_selectorELNS0_4arch9wavefront6targetE1EEEvT1_
		.amdhsa_group_segment_fixed_size 0
		.amdhsa_private_segment_fixed_size 0
		.amdhsa_kernarg_size 104
		.amdhsa_user_sgpr_count 6
		.amdhsa_user_sgpr_private_segment_buffer 1
		.amdhsa_user_sgpr_dispatch_ptr 0
		.amdhsa_user_sgpr_queue_ptr 0
		.amdhsa_user_sgpr_kernarg_segment_ptr 1
		.amdhsa_user_sgpr_dispatch_id 0
		.amdhsa_user_sgpr_flat_scratch_init 0
		.amdhsa_user_sgpr_kernarg_preload_length 0
		.amdhsa_user_sgpr_kernarg_preload_offset 0
		.amdhsa_user_sgpr_private_segment_size 0
		.amdhsa_uses_dynamic_stack 0
		.amdhsa_system_sgpr_private_segment_wavefront_offset 0
		.amdhsa_system_sgpr_workgroup_id_x 1
		.amdhsa_system_sgpr_workgroup_id_y 0
		.amdhsa_system_sgpr_workgroup_id_z 0
		.amdhsa_system_sgpr_workgroup_info 0
		.amdhsa_system_vgpr_workitem_id 0
		.amdhsa_next_free_vgpr 1
		.amdhsa_next_free_sgpr 0
		.amdhsa_accum_offset 4
		.amdhsa_reserve_vcc 0
		.amdhsa_reserve_flat_scratch 0
		.amdhsa_float_round_mode_32 0
		.amdhsa_float_round_mode_16_64 0
		.amdhsa_float_denorm_mode_32 3
		.amdhsa_float_denorm_mode_16_64 3
		.amdhsa_dx10_clamp 1
		.amdhsa_ieee_mode 1
		.amdhsa_fp16_overflow 0
		.amdhsa_tg_split 0
		.amdhsa_exception_fp_ieee_invalid_op 0
		.amdhsa_exception_fp_denorm_src 0
		.amdhsa_exception_fp_ieee_div_zero 0
		.amdhsa_exception_fp_ieee_overflow 0
		.amdhsa_exception_fp_ieee_underflow 0
		.amdhsa_exception_fp_ieee_inexact 0
		.amdhsa_exception_int_div_zero 0
	.end_amdhsa_kernel
	.section	.text._ZN7rocprim17ROCPRIM_400000_NS6detail17trampoline_kernelINS0_14default_configENS1_20scan_config_selectorIdEEZZNS1_9scan_implILNS1_25lookback_scan_determinismE0ELb1ELb1ES3_N6thrust23THRUST_200600_302600_NS6detail15normal_iteratorINS9_10device_ptrIdEEEESE_dNS9_4plusIvEEdEEDaPvRmT3_T4_T5_mT6_P12ihipStream_tbENKUlT_T0_E_clISt17integral_constantIbLb0EEST_IbLb1EEEEDaSP_SQ_EUlSP_E_NS1_11comp_targetILNS1_3genE8ELNS1_11target_archE1030ELNS1_3gpuE2ELNS1_3repE0EEENS1_30default_config_static_selectorELNS0_4arch9wavefront6targetE1EEEvT1_,"axG",@progbits,_ZN7rocprim17ROCPRIM_400000_NS6detail17trampoline_kernelINS0_14default_configENS1_20scan_config_selectorIdEEZZNS1_9scan_implILNS1_25lookback_scan_determinismE0ELb1ELb1ES3_N6thrust23THRUST_200600_302600_NS6detail15normal_iteratorINS9_10device_ptrIdEEEESE_dNS9_4plusIvEEdEEDaPvRmT3_T4_T5_mT6_P12ihipStream_tbENKUlT_T0_E_clISt17integral_constantIbLb0EEST_IbLb1EEEEDaSP_SQ_EUlSP_E_NS1_11comp_targetILNS1_3genE8ELNS1_11target_archE1030ELNS1_3gpuE2ELNS1_3repE0EEENS1_30default_config_static_selectorELNS0_4arch9wavefront6targetE1EEEvT1_,comdat
.Lfunc_end4276:
	.size	_ZN7rocprim17ROCPRIM_400000_NS6detail17trampoline_kernelINS0_14default_configENS1_20scan_config_selectorIdEEZZNS1_9scan_implILNS1_25lookback_scan_determinismE0ELb1ELb1ES3_N6thrust23THRUST_200600_302600_NS6detail15normal_iteratorINS9_10device_ptrIdEEEESE_dNS9_4plusIvEEdEEDaPvRmT3_T4_T5_mT6_P12ihipStream_tbENKUlT_T0_E_clISt17integral_constantIbLb0EEST_IbLb1EEEEDaSP_SQ_EUlSP_E_NS1_11comp_targetILNS1_3genE8ELNS1_11target_archE1030ELNS1_3gpuE2ELNS1_3repE0EEENS1_30default_config_static_selectorELNS0_4arch9wavefront6targetE1EEEvT1_, .Lfunc_end4276-_ZN7rocprim17ROCPRIM_400000_NS6detail17trampoline_kernelINS0_14default_configENS1_20scan_config_selectorIdEEZZNS1_9scan_implILNS1_25lookback_scan_determinismE0ELb1ELb1ES3_N6thrust23THRUST_200600_302600_NS6detail15normal_iteratorINS9_10device_ptrIdEEEESE_dNS9_4plusIvEEdEEDaPvRmT3_T4_T5_mT6_P12ihipStream_tbENKUlT_T0_E_clISt17integral_constantIbLb0EEST_IbLb1EEEEDaSP_SQ_EUlSP_E_NS1_11comp_targetILNS1_3genE8ELNS1_11target_archE1030ELNS1_3gpuE2ELNS1_3repE0EEENS1_30default_config_static_selectorELNS0_4arch9wavefront6targetE1EEEvT1_
                                        ; -- End function
	.section	.AMDGPU.csdata,"",@progbits
; Kernel info:
; codeLenInByte = 0
; NumSgprs: 4
; NumVgprs: 0
; NumAgprs: 0
; TotalNumVgprs: 0
; ScratchSize: 0
; MemoryBound: 0
; FloatMode: 240
; IeeeMode: 1
; LDSByteSize: 0 bytes/workgroup (compile time only)
; SGPRBlocks: 0
; VGPRBlocks: 0
; NumSGPRsForWavesPerEU: 4
; NumVGPRsForWavesPerEU: 1
; AccumOffset: 4
; Occupancy: 8
; WaveLimiterHint : 0
; COMPUTE_PGM_RSRC2:SCRATCH_EN: 0
; COMPUTE_PGM_RSRC2:USER_SGPR: 6
; COMPUTE_PGM_RSRC2:TRAP_HANDLER: 0
; COMPUTE_PGM_RSRC2:TGID_X_EN: 1
; COMPUTE_PGM_RSRC2:TGID_Y_EN: 0
; COMPUTE_PGM_RSRC2:TGID_Z_EN: 0
; COMPUTE_PGM_RSRC2:TIDIG_COMP_CNT: 0
; COMPUTE_PGM_RSRC3_GFX90A:ACCUM_OFFSET: 0
; COMPUTE_PGM_RSRC3_GFX90A:TG_SPLIT: 0
	.section	.text._ZN7rocprim17ROCPRIM_400000_NS6detail17trampoline_kernelINS0_14default_configENS1_20scan_config_selectorIdEEZZNS1_9scan_implILNS1_25lookback_scan_determinismE0ELb1ELb1ES3_N6thrust23THRUST_200600_302600_NS6detail15normal_iteratorINS9_10device_ptrIdEEEESE_dNS9_4plusIvEEdEEDaPvRmT3_T4_T5_mT6_P12ihipStream_tbENKUlT_T0_E_clISt17integral_constantIbLb0EEST_IbLb1EEEEDaSP_SQ_EUlSP_E0_NS1_11comp_targetILNS1_3genE0ELNS1_11target_archE4294967295ELNS1_3gpuE0ELNS1_3repE0EEENS1_30default_config_static_selectorELNS0_4arch9wavefront6targetE1EEEvT1_,"axG",@progbits,_ZN7rocprim17ROCPRIM_400000_NS6detail17trampoline_kernelINS0_14default_configENS1_20scan_config_selectorIdEEZZNS1_9scan_implILNS1_25lookback_scan_determinismE0ELb1ELb1ES3_N6thrust23THRUST_200600_302600_NS6detail15normal_iteratorINS9_10device_ptrIdEEEESE_dNS9_4plusIvEEdEEDaPvRmT3_T4_T5_mT6_P12ihipStream_tbENKUlT_T0_E_clISt17integral_constantIbLb0EEST_IbLb1EEEEDaSP_SQ_EUlSP_E0_NS1_11comp_targetILNS1_3genE0ELNS1_11target_archE4294967295ELNS1_3gpuE0ELNS1_3repE0EEENS1_30default_config_static_selectorELNS0_4arch9wavefront6targetE1EEEvT1_,comdat
	.protected	_ZN7rocprim17ROCPRIM_400000_NS6detail17trampoline_kernelINS0_14default_configENS1_20scan_config_selectorIdEEZZNS1_9scan_implILNS1_25lookback_scan_determinismE0ELb1ELb1ES3_N6thrust23THRUST_200600_302600_NS6detail15normal_iteratorINS9_10device_ptrIdEEEESE_dNS9_4plusIvEEdEEDaPvRmT3_T4_T5_mT6_P12ihipStream_tbENKUlT_T0_E_clISt17integral_constantIbLb0EEST_IbLb1EEEEDaSP_SQ_EUlSP_E0_NS1_11comp_targetILNS1_3genE0ELNS1_11target_archE4294967295ELNS1_3gpuE0ELNS1_3repE0EEENS1_30default_config_static_selectorELNS0_4arch9wavefront6targetE1EEEvT1_ ; -- Begin function _ZN7rocprim17ROCPRIM_400000_NS6detail17trampoline_kernelINS0_14default_configENS1_20scan_config_selectorIdEEZZNS1_9scan_implILNS1_25lookback_scan_determinismE0ELb1ELb1ES3_N6thrust23THRUST_200600_302600_NS6detail15normal_iteratorINS9_10device_ptrIdEEEESE_dNS9_4plusIvEEdEEDaPvRmT3_T4_T5_mT6_P12ihipStream_tbENKUlT_T0_E_clISt17integral_constantIbLb0EEST_IbLb1EEEEDaSP_SQ_EUlSP_E0_NS1_11comp_targetILNS1_3genE0ELNS1_11target_archE4294967295ELNS1_3gpuE0ELNS1_3repE0EEENS1_30default_config_static_selectorELNS0_4arch9wavefront6targetE1EEEvT1_
	.globl	_ZN7rocprim17ROCPRIM_400000_NS6detail17trampoline_kernelINS0_14default_configENS1_20scan_config_selectorIdEEZZNS1_9scan_implILNS1_25lookback_scan_determinismE0ELb1ELb1ES3_N6thrust23THRUST_200600_302600_NS6detail15normal_iteratorINS9_10device_ptrIdEEEESE_dNS9_4plusIvEEdEEDaPvRmT3_T4_T5_mT6_P12ihipStream_tbENKUlT_T0_E_clISt17integral_constantIbLb0EEST_IbLb1EEEEDaSP_SQ_EUlSP_E0_NS1_11comp_targetILNS1_3genE0ELNS1_11target_archE4294967295ELNS1_3gpuE0ELNS1_3repE0EEENS1_30default_config_static_selectorELNS0_4arch9wavefront6targetE1EEEvT1_
	.p2align	8
	.type	_ZN7rocprim17ROCPRIM_400000_NS6detail17trampoline_kernelINS0_14default_configENS1_20scan_config_selectorIdEEZZNS1_9scan_implILNS1_25lookback_scan_determinismE0ELb1ELb1ES3_N6thrust23THRUST_200600_302600_NS6detail15normal_iteratorINS9_10device_ptrIdEEEESE_dNS9_4plusIvEEdEEDaPvRmT3_T4_T5_mT6_P12ihipStream_tbENKUlT_T0_E_clISt17integral_constantIbLb0EEST_IbLb1EEEEDaSP_SQ_EUlSP_E0_NS1_11comp_targetILNS1_3genE0ELNS1_11target_archE4294967295ELNS1_3gpuE0ELNS1_3repE0EEENS1_30default_config_static_selectorELNS0_4arch9wavefront6targetE1EEEvT1_,@function
_ZN7rocprim17ROCPRIM_400000_NS6detail17trampoline_kernelINS0_14default_configENS1_20scan_config_selectorIdEEZZNS1_9scan_implILNS1_25lookback_scan_determinismE0ELb1ELb1ES3_N6thrust23THRUST_200600_302600_NS6detail15normal_iteratorINS9_10device_ptrIdEEEESE_dNS9_4plusIvEEdEEDaPvRmT3_T4_T5_mT6_P12ihipStream_tbENKUlT_T0_E_clISt17integral_constantIbLb0EEST_IbLb1EEEEDaSP_SQ_EUlSP_E0_NS1_11comp_targetILNS1_3genE0ELNS1_11target_archE4294967295ELNS1_3gpuE0ELNS1_3repE0EEENS1_30default_config_static_selectorELNS0_4arch9wavefront6targetE1EEEvT1_: ; @_ZN7rocprim17ROCPRIM_400000_NS6detail17trampoline_kernelINS0_14default_configENS1_20scan_config_selectorIdEEZZNS1_9scan_implILNS1_25lookback_scan_determinismE0ELb1ELb1ES3_N6thrust23THRUST_200600_302600_NS6detail15normal_iteratorINS9_10device_ptrIdEEEESE_dNS9_4plusIvEEdEEDaPvRmT3_T4_T5_mT6_P12ihipStream_tbENKUlT_T0_E_clISt17integral_constantIbLb0EEST_IbLb1EEEEDaSP_SQ_EUlSP_E0_NS1_11comp_targetILNS1_3genE0ELNS1_11target_archE4294967295ELNS1_3gpuE0ELNS1_3repE0EEENS1_30default_config_static_selectorELNS0_4arch9wavefront6targetE1EEEvT1_
; %bb.0:
	.section	.rodata,"a",@progbits
	.p2align	6, 0x0
	.amdhsa_kernel _ZN7rocprim17ROCPRIM_400000_NS6detail17trampoline_kernelINS0_14default_configENS1_20scan_config_selectorIdEEZZNS1_9scan_implILNS1_25lookback_scan_determinismE0ELb1ELb1ES3_N6thrust23THRUST_200600_302600_NS6detail15normal_iteratorINS9_10device_ptrIdEEEESE_dNS9_4plusIvEEdEEDaPvRmT3_T4_T5_mT6_P12ihipStream_tbENKUlT_T0_E_clISt17integral_constantIbLb0EEST_IbLb1EEEEDaSP_SQ_EUlSP_E0_NS1_11comp_targetILNS1_3genE0ELNS1_11target_archE4294967295ELNS1_3gpuE0ELNS1_3repE0EEENS1_30default_config_static_selectorELNS0_4arch9wavefront6targetE1EEEvT1_
		.amdhsa_group_segment_fixed_size 0
		.amdhsa_private_segment_fixed_size 0
		.amdhsa_kernarg_size 40
		.amdhsa_user_sgpr_count 6
		.amdhsa_user_sgpr_private_segment_buffer 1
		.amdhsa_user_sgpr_dispatch_ptr 0
		.amdhsa_user_sgpr_queue_ptr 0
		.amdhsa_user_sgpr_kernarg_segment_ptr 1
		.amdhsa_user_sgpr_dispatch_id 0
		.amdhsa_user_sgpr_flat_scratch_init 0
		.amdhsa_user_sgpr_kernarg_preload_length 0
		.amdhsa_user_sgpr_kernarg_preload_offset 0
		.amdhsa_user_sgpr_private_segment_size 0
		.amdhsa_uses_dynamic_stack 0
		.amdhsa_system_sgpr_private_segment_wavefront_offset 0
		.amdhsa_system_sgpr_workgroup_id_x 1
		.amdhsa_system_sgpr_workgroup_id_y 0
		.amdhsa_system_sgpr_workgroup_id_z 0
		.amdhsa_system_sgpr_workgroup_info 0
		.amdhsa_system_vgpr_workitem_id 0
		.amdhsa_next_free_vgpr 1
		.amdhsa_next_free_sgpr 0
		.amdhsa_accum_offset 4
		.amdhsa_reserve_vcc 0
		.amdhsa_reserve_flat_scratch 0
		.amdhsa_float_round_mode_32 0
		.amdhsa_float_round_mode_16_64 0
		.amdhsa_float_denorm_mode_32 3
		.amdhsa_float_denorm_mode_16_64 3
		.amdhsa_dx10_clamp 1
		.amdhsa_ieee_mode 1
		.amdhsa_fp16_overflow 0
		.amdhsa_tg_split 0
		.amdhsa_exception_fp_ieee_invalid_op 0
		.amdhsa_exception_fp_denorm_src 0
		.amdhsa_exception_fp_ieee_div_zero 0
		.amdhsa_exception_fp_ieee_overflow 0
		.amdhsa_exception_fp_ieee_underflow 0
		.amdhsa_exception_fp_ieee_inexact 0
		.amdhsa_exception_int_div_zero 0
	.end_amdhsa_kernel
	.section	.text._ZN7rocprim17ROCPRIM_400000_NS6detail17trampoline_kernelINS0_14default_configENS1_20scan_config_selectorIdEEZZNS1_9scan_implILNS1_25lookback_scan_determinismE0ELb1ELb1ES3_N6thrust23THRUST_200600_302600_NS6detail15normal_iteratorINS9_10device_ptrIdEEEESE_dNS9_4plusIvEEdEEDaPvRmT3_T4_T5_mT6_P12ihipStream_tbENKUlT_T0_E_clISt17integral_constantIbLb0EEST_IbLb1EEEEDaSP_SQ_EUlSP_E0_NS1_11comp_targetILNS1_3genE0ELNS1_11target_archE4294967295ELNS1_3gpuE0ELNS1_3repE0EEENS1_30default_config_static_selectorELNS0_4arch9wavefront6targetE1EEEvT1_,"axG",@progbits,_ZN7rocprim17ROCPRIM_400000_NS6detail17trampoline_kernelINS0_14default_configENS1_20scan_config_selectorIdEEZZNS1_9scan_implILNS1_25lookback_scan_determinismE0ELb1ELb1ES3_N6thrust23THRUST_200600_302600_NS6detail15normal_iteratorINS9_10device_ptrIdEEEESE_dNS9_4plusIvEEdEEDaPvRmT3_T4_T5_mT6_P12ihipStream_tbENKUlT_T0_E_clISt17integral_constantIbLb0EEST_IbLb1EEEEDaSP_SQ_EUlSP_E0_NS1_11comp_targetILNS1_3genE0ELNS1_11target_archE4294967295ELNS1_3gpuE0ELNS1_3repE0EEENS1_30default_config_static_selectorELNS0_4arch9wavefront6targetE1EEEvT1_,comdat
.Lfunc_end4277:
	.size	_ZN7rocprim17ROCPRIM_400000_NS6detail17trampoline_kernelINS0_14default_configENS1_20scan_config_selectorIdEEZZNS1_9scan_implILNS1_25lookback_scan_determinismE0ELb1ELb1ES3_N6thrust23THRUST_200600_302600_NS6detail15normal_iteratorINS9_10device_ptrIdEEEESE_dNS9_4plusIvEEdEEDaPvRmT3_T4_T5_mT6_P12ihipStream_tbENKUlT_T0_E_clISt17integral_constantIbLb0EEST_IbLb1EEEEDaSP_SQ_EUlSP_E0_NS1_11comp_targetILNS1_3genE0ELNS1_11target_archE4294967295ELNS1_3gpuE0ELNS1_3repE0EEENS1_30default_config_static_selectorELNS0_4arch9wavefront6targetE1EEEvT1_, .Lfunc_end4277-_ZN7rocprim17ROCPRIM_400000_NS6detail17trampoline_kernelINS0_14default_configENS1_20scan_config_selectorIdEEZZNS1_9scan_implILNS1_25lookback_scan_determinismE0ELb1ELb1ES3_N6thrust23THRUST_200600_302600_NS6detail15normal_iteratorINS9_10device_ptrIdEEEESE_dNS9_4plusIvEEdEEDaPvRmT3_T4_T5_mT6_P12ihipStream_tbENKUlT_T0_E_clISt17integral_constantIbLb0EEST_IbLb1EEEEDaSP_SQ_EUlSP_E0_NS1_11comp_targetILNS1_3genE0ELNS1_11target_archE4294967295ELNS1_3gpuE0ELNS1_3repE0EEENS1_30default_config_static_selectorELNS0_4arch9wavefront6targetE1EEEvT1_
                                        ; -- End function
	.section	.AMDGPU.csdata,"",@progbits
; Kernel info:
; codeLenInByte = 0
; NumSgprs: 4
; NumVgprs: 0
; NumAgprs: 0
; TotalNumVgprs: 0
; ScratchSize: 0
; MemoryBound: 0
; FloatMode: 240
; IeeeMode: 1
; LDSByteSize: 0 bytes/workgroup (compile time only)
; SGPRBlocks: 0
; VGPRBlocks: 0
; NumSGPRsForWavesPerEU: 4
; NumVGPRsForWavesPerEU: 1
; AccumOffset: 4
; Occupancy: 8
; WaveLimiterHint : 0
; COMPUTE_PGM_RSRC2:SCRATCH_EN: 0
; COMPUTE_PGM_RSRC2:USER_SGPR: 6
; COMPUTE_PGM_RSRC2:TRAP_HANDLER: 0
; COMPUTE_PGM_RSRC2:TGID_X_EN: 1
; COMPUTE_PGM_RSRC2:TGID_Y_EN: 0
; COMPUTE_PGM_RSRC2:TGID_Z_EN: 0
; COMPUTE_PGM_RSRC2:TIDIG_COMP_CNT: 0
; COMPUTE_PGM_RSRC3_GFX90A:ACCUM_OFFSET: 0
; COMPUTE_PGM_RSRC3_GFX90A:TG_SPLIT: 0
	.section	.text._ZN7rocprim17ROCPRIM_400000_NS6detail17trampoline_kernelINS0_14default_configENS1_20scan_config_selectorIdEEZZNS1_9scan_implILNS1_25lookback_scan_determinismE0ELb1ELb1ES3_N6thrust23THRUST_200600_302600_NS6detail15normal_iteratorINS9_10device_ptrIdEEEESE_dNS9_4plusIvEEdEEDaPvRmT3_T4_T5_mT6_P12ihipStream_tbENKUlT_T0_E_clISt17integral_constantIbLb0EEST_IbLb1EEEEDaSP_SQ_EUlSP_E0_NS1_11comp_targetILNS1_3genE5ELNS1_11target_archE942ELNS1_3gpuE9ELNS1_3repE0EEENS1_30default_config_static_selectorELNS0_4arch9wavefront6targetE1EEEvT1_,"axG",@progbits,_ZN7rocprim17ROCPRIM_400000_NS6detail17trampoline_kernelINS0_14default_configENS1_20scan_config_selectorIdEEZZNS1_9scan_implILNS1_25lookback_scan_determinismE0ELb1ELb1ES3_N6thrust23THRUST_200600_302600_NS6detail15normal_iteratorINS9_10device_ptrIdEEEESE_dNS9_4plusIvEEdEEDaPvRmT3_T4_T5_mT6_P12ihipStream_tbENKUlT_T0_E_clISt17integral_constantIbLb0EEST_IbLb1EEEEDaSP_SQ_EUlSP_E0_NS1_11comp_targetILNS1_3genE5ELNS1_11target_archE942ELNS1_3gpuE9ELNS1_3repE0EEENS1_30default_config_static_selectorELNS0_4arch9wavefront6targetE1EEEvT1_,comdat
	.protected	_ZN7rocprim17ROCPRIM_400000_NS6detail17trampoline_kernelINS0_14default_configENS1_20scan_config_selectorIdEEZZNS1_9scan_implILNS1_25lookback_scan_determinismE0ELb1ELb1ES3_N6thrust23THRUST_200600_302600_NS6detail15normal_iteratorINS9_10device_ptrIdEEEESE_dNS9_4plusIvEEdEEDaPvRmT3_T4_T5_mT6_P12ihipStream_tbENKUlT_T0_E_clISt17integral_constantIbLb0EEST_IbLb1EEEEDaSP_SQ_EUlSP_E0_NS1_11comp_targetILNS1_3genE5ELNS1_11target_archE942ELNS1_3gpuE9ELNS1_3repE0EEENS1_30default_config_static_selectorELNS0_4arch9wavefront6targetE1EEEvT1_ ; -- Begin function _ZN7rocprim17ROCPRIM_400000_NS6detail17trampoline_kernelINS0_14default_configENS1_20scan_config_selectorIdEEZZNS1_9scan_implILNS1_25lookback_scan_determinismE0ELb1ELb1ES3_N6thrust23THRUST_200600_302600_NS6detail15normal_iteratorINS9_10device_ptrIdEEEESE_dNS9_4plusIvEEdEEDaPvRmT3_T4_T5_mT6_P12ihipStream_tbENKUlT_T0_E_clISt17integral_constantIbLb0EEST_IbLb1EEEEDaSP_SQ_EUlSP_E0_NS1_11comp_targetILNS1_3genE5ELNS1_11target_archE942ELNS1_3gpuE9ELNS1_3repE0EEENS1_30default_config_static_selectorELNS0_4arch9wavefront6targetE1EEEvT1_
	.globl	_ZN7rocprim17ROCPRIM_400000_NS6detail17trampoline_kernelINS0_14default_configENS1_20scan_config_selectorIdEEZZNS1_9scan_implILNS1_25lookback_scan_determinismE0ELb1ELb1ES3_N6thrust23THRUST_200600_302600_NS6detail15normal_iteratorINS9_10device_ptrIdEEEESE_dNS9_4plusIvEEdEEDaPvRmT3_T4_T5_mT6_P12ihipStream_tbENKUlT_T0_E_clISt17integral_constantIbLb0EEST_IbLb1EEEEDaSP_SQ_EUlSP_E0_NS1_11comp_targetILNS1_3genE5ELNS1_11target_archE942ELNS1_3gpuE9ELNS1_3repE0EEENS1_30default_config_static_selectorELNS0_4arch9wavefront6targetE1EEEvT1_
	.p2align	8
	.type	_ZN7rocprim17ROCPRIM_400000_NS6detail17trampoline_kernelINS0_14default_configENS1_20scan_config_selectorIdEEZZNS1_9scan_implILNS1_25lookback_scan_determinismE0ELb1ELb1ES3_N6thrust23THRUST_200600_302600_NS6detail15normal_iteratorINS9_10device_ptrIdEEEESE_dNS9_4plusIvEEdEEDaPvRmT3_T4_T5_mT6_P12ihipStream_tbENKUlT_T0_E_clISt17integral_constantIbLb0EEST_IbLb1EEEEDaSP_SQ_EUlSP_E0_NS1_11comp_targetILNS1_3genE5ELNS1_11target_archE942ELNS1_3gpuE9ELNS1_3repE0EEENS1_30default_config_static_selectorELNS0_4arch9wavefront6targetE1EEEvT1_,@function
_ZN7rocprim17ROCPRIM_400000_NS6detail17trampoline_kernelINS0_14default_configENS1_20scan_config_selectorIdEEZZNS1_9scan_implILNS1_25lookback_scan_determinismE0ELb1ELb1ES3_N6thrust23THRUST_200600_302600_NS6detail15normal_iteratorINS9_10device_ptrIdEEEESE_dNS9_4plusIvEEdEEDaPvRmT3_T4_T5_mT6_P12ihipStream_tbENKUlT_T0_E_clISt17integral_constantIbLb0EEST_IbLb1EEEEDaSP_SQ_EUlSP_E0_NS1_11comp_targetILNS1_3genE5ELNS1_11target_archE942ELNS1_3gpuE9ELNS1_3repE0EEENS1_30default_config_static_selectorELNS0_4arch9wavefront6targetE1EEEvT1_: ; @_ZN7rocprim17ROCPRIM_400000_NS6detail17trampoline_kernelINS0_14default_configENS1_20scan_config_selectorIdEEZZNS1_9scan_implILNS1_25lookback_scan_determinismE0ELb1ELb1ES3_N6thrust23THRUST_200600_302600_NS6detail15normal_iteratorINS9_10device_ptrIdEEEESE_dNS9_4plusIvEEdEEDaPvRmT3_T4_T5_mT6_P12ihipStream_tbENKUlT_T0_E_clISt17integral_constantIbLb0EEST_IbLb1EEEEDaSP_SQ_EUlSP_E0_NS1_11comp_targetILNS1_3genE5ELNS1_11target_archE942ELNS1_3gpuE9ELNS1_3repE0EEENS1_30default_config_static_selectorELNS0_4arch9wavefront6targetE1EEEvT1_
; %bb.0:
	.section	.rodata,"a",@progbits
	.p2align	6, 0x0
	.amdhsa_kernel _ZN7rocprim17ROCPRIM_400000_NS6detail17trampoline_kernelINS0_14default_configENS1_20scan_config_selectorIdEEZZNS1_9scan_implILNS1_25lookback_scan_determinismE0ELb1ELb1ES3_N6thrust23THRUST_200600_302600_NS6detail15normal_iteratorINS9_10device_ptrIdEEEESE_dNS9_4plusIvEEdEEDaPvRmT3_T4_T5_mT6_P12ihipStream_tbENKUlT_T0_E_clISt17integral_constantIbLb0EEST_IbLb1EEEEDaSP_SQ_EUlSP_E0_NS1_11comp_targetILNS1_3genE5ELNS1_11target_archE942ELNS1_3gpuE9ELNS1_3repE0EEENS1_30default_config_static_selectorELNS0_4arch9wavefront6targetE1EEEvT1_
		.amdhsa_group_segment_fixed_size 0
		.amdhsa_private_segment_fixed_size 0
		.amdhsa_kernarg_size 40
		.amdhsa_user_sgpr_count 6
		.amdhsa_user_sgpr_private_segment_buffer 1
		.amdhsa_user_sgpr_dispatch_ptr 0
		.amdhsa_user_sgpr_queue_ptr 0
		.amdhsa_user_sgpr_kernarg_segment_ptr 1
		.amdhsa_user_sgpr_dispatch_id 0
		.amdhsa_user_sgpr_flat_scratch_init 0
		.amdhsa_user_sgpr_kernarg_preload_length 0
		.amdhsa_user_sgpr_kernarg_preload_offset 0
		.amdhsa_user_sgpr_private_segment_size 0
		.amdhsa_uses_dynamic_stack 0
		.amdhsa_system_sgpr_private_segment_wavefront_offset 0
		.amdhsa_system_sgpr_workgroup_id_x 1
		.amdhsa_system_sgpr_workgroup_id_y 0
		.amdhsa_system_sgpr_workgroup_id_z 0
		.amdhsa_system_sgpr_workgroup_info 0
		.amdhsa_system_vgpr_workitem_id 0
		.amdhsa_next_free_vgpr 1
		.amdhsa_next_free_sgpr 0
		.amdhsa_accum_offset 4
		.amdhsa_reserve_vcc 0
		.amdhsa_reserve_flat_scratch 0
		.amdhsa_float_round_mode_32 0
		.amdhsa_float_round_mode_16_64 0
		.amdhsa_float_denorm_mode_32 3
		.amdhsa_float_denorm_mode_16_64 3
		.amdhsa_dx10_clamp 1
		.amdhsa_ieee_mode 1
		.amdhsa_fp16_overflow 0
		.amdhsa_tg_split 0
		.amdhsa_exception_fp_ieee_invalid_op 0
		.amdhsa_exception_fp_denorm_src 0
		.amdhsa_exception_fp_ieee_div_zero 0
		.amdhsa_exception_fp_ieee_overflow 0
		.amdhsa_exception_fp_ieee_underflow 0
		.amdhsa_exception_fp_ieee_inexact 0
		.amdhsa_exception_int_div_zero 0
	.end_amdhsa_kernel
	.section	.text._ZN7rocprim17ROCPRIM_400000_NS6detail17trampoline_kernelINS0_14default_configENS1_20scan_config_selectorIdEEZZNS1_9scan_implILNS1_25lookback_scan_determinismE0ELb1ELb1ES3_N6thrust23THRUST_200600_302600_NS6detail15normal_iteratorINS9_10device_ptrIdEEEESE_dNS9_4plusIvEEdEEDaPvRmT3_T4_T5_mT6_P12ihipStream_tbENKUlT_T0_E_clISt17integral_constantIbLb0EEST_IbLb1EEEEDaSP_SQ_EUlSP_E0_NS1_11comp_targetILNS1_3genE5ELNS1_11target_archE942ELNS1_3gpuE9ELNS1_3repE0EEENS1_30default_config_static_selectorELNS0_4arch9wavefront6targetE1EEEvT1_,"axG",@progbits,_ZN7rocprim17ROCPRIM_400000_NS6detail17trampoline_kernelINS0_14default_configENS1_20scan_config_selectorIdEEZZNS1_9scan_implILNS1_25lookback_scan_determinismE0ELb1ELb1ES3_N6thrust23THRUST_200600_302600_NS6detail15normal_iteratorINS9_10device_ptrIdEEEESE_dNS9_4plusIvEEdEEDaPvRmT3_T4_T5_mT6_P12ihipStream_tbENKUlT_T0_E_clISt17integral_constantIbLb0EEST_IbLb1EEEEDaSP_SQ_EUlSP_E0_NS1_11comp_targetILNS1_3genE5ELNS1_11target_archE942ELNS1_3gpuE9ELNS1_3repE0EEENS1_30default_config_static_selectorELNS0_4arch9wavefront6targetE1EEEvT1_,comdat
.Lfunc_end4278:
	.size	_ZN7rocprim17ROCPRIM_400000_NS6detail17trampoline_kernelINS0_14default_configENS1_20scan_config_selectorIdEEZZNS1_9scan_implILNS1_25lookback_scan_determinismE0ELb1ELb1ES3_N6thrust23THRUST_200600_302600_NS6detail15normal_iteratorINS9_10device_ptrIdEEEESE_dNS9_4plusIvEEdEEDaPvRmT3_T4_T5_mT6_P12ihipStream_tbENKUlT_T0_E_clISt17integral_constantIbLb0EEST_IbLb1EEEEDaSP_SQ_EUlSP_E0_NS1_11comp_targetILNS1_3genE5ELNS1_11target_archE942ELNS1_3gpuE9ELNS1_3repE0EEENS1_30default_config_static_selectorELNS0_4arch9wavefront6targetE1EEEvT1_, .Lfunc_end4278-_ZN7rocprim17ROCPRIM_400000_NS6detail17trampoline_kernelINS0_14default_configENS1_20scan_config_selectorIdEEZZNS1_9scan_implILNS1_25lookback_scan_determinismE0ELb1ELb1ES3_N6thrust23THRUST_200600_302600_NS6detail15normal_iteratorINS9_10device_ptrIdEEEESE_dNS9_4plusIvEEdEEDaPvRmT3_T4_T5_mT6_P12ihipStream_tbENKUlT_T0_E_clISt17integral_constantIbLb0EEST_IbLb1EEEEDaSP_SQ_EUlSP_E0_NS1_11comp_targetILNS1_3genE5ELNS1_11target_archE942ELNS1_3gpuE9ELNS1_3repE0EEENS1_30default_config_static_selectorELNS0_4arch9wavefront6targetE1EEEvT1_
                                        ; -- End function
	.section	.AMDGPU.csdata,"",@progbits
; Kernel info:
; codeLenInByte = 0
; NumSgprs: 4
; NumVgprs: 0
; NumAgprs: 0
; TotalNumVgprs: 0
; ScratchSize: 0
; MemoryBound: 0
; FloatMode: 240
; IeeeMode: 1
; LDSByteSize: 0 bytes/workgroup (compile time only)
; SGPRBlocks: 0
; VGPRBlocks: 0
; NumSGPRsForWavesPerEU: 4
; NumVGPRsForWavesPerEU: 1
; AccumOffset: 4
; Occupancy: 8
; WaveLimiterHint : 0
; COMPUTE_PGM_RSRC2:SCRATCH_EN: 0
; COMPUTE_PGM_RSRC2:USER_SGPR: 6
; COMPUTE_PGM_RSRC2:TRAP_HANDLER: 0
; COMPUTE_PGM_RSRC2:TGID_X_EN: 1
; COMPUTE_PGM_RSRC2:TGID_Y_EN: 0
; COMPUTE_PGM_RSRC2:TGID_Z_EN: 0
; COMPUTE_PGM_RSRC2:TIDIG_COMP_CNT: 0
; COMPUTE_PGM_RSRC3_GFX90A:ACCUM_OFFSET: 0
; COMPUTE_PGM_RSRC3_GFX90A:TG_SPLIT: 0
	.section	.text._ZN7rocprim17ROCPRIM_400000_NS6detail17trampoline_kernelINS0_14default_configENS1_20scan_config_selectorIdEEZZNS1_9scan_implILNS1_25lookback_scan_determinismE0ELb1ELb1ES3_N6thrust23THRUST_200600_302600_NS6detail15normal_iteratorINS9_10device_ptrIdEEEESE_dNS9_4plusIvEEdEEDaPvRmT3_T4_T5_mT6_P12ihipStream_tbENKUlT_T0_E_clISt17integral_constantIbLb0EEST_IbLb1EEEEDaSP_SQ_EUlSP_E0_NS1_11comp_targetILNS1_3genE4ELNS1_11target_archE910ELNS1_3gpuE8ELNS1_3repE0EEENS1_30default_config_static_selectorELNS0_4arch9wavefront6targetE1EEEvT1_,"axG",@progbits,_ZN7rocprim17ROCPRIM_400000_NS6detail17trampoline_kernelINS0_14default_configENS1_20scan_config_selectorIdEEZZNS1_9scan_implILNS1_25lookback_scan_determinismE0ELb1ELb1ES3_N6thrust23THRUST_200600_302600_NS6detail15normal_iteratorINS9_10device_ptrIdEEEESE_dNS9_4plusIvEEdEEDaPvRmT3_T4_T5_mT6_P12ihipStream_tbENKUlT_T0_E_clISt17integral_constantIbLb0EEST_IbLb1EEEEDaSP_SQ_EUlSP_E0_NS1_11comp_targetILNS1_3genE4ELNS1_11target_archE910ELNS1_3gpuE8ELNS1_3repE0EEENS1_30default_config_static_selectorELNS0_4arch9wavefront6targetE1EEEvT1_,comdat
	.protected	_ZN7rocprim17ROCPRIM_400000_NS6detail17trampoline_kernelINS0_14default_configENS1_20scan_config_selectorIdEEZZNS1_9scan_implILNS1_25lookback_scan_determinismE0ELb1ELb1ES3_N6thrust23THRUST_200600_302600_NS6detail15normal_iteratorINS9_10device_ptrIdEEEESE_dNS9_4plusIvEEdEEDaPvRmT3_T4_T5_mT6_P12ihipStream_tbENKUlT_T0_E_clISt17integral_constantIbLb0EEST_IbLb1EEEEDaSP_SQ_EUlSP_E0_NS1_11comp_targetILNS1_3genE4ELNS1_11target_archE910ELNS1_3gpuE8ELNS1_3repE0EEENS1_30default_config_static_selectorELNS0_4arch9wavefront6targetE1EEEvT1_ ; -- Begin function _ZN7rocprim17ROCPRIM_400000_NS6detail17trampoline_kernelINS0_14default_configENS1_20scan_config_selectorIdEEZZNS1_9scan_implILNS1_25lookback_scan_determinismE0ELb1ELb1ES3_N6thrust23THRUST_200600_302600_NS6detail15normal_iteratorINS9_10device_ptrIdEEEESE_dNS9_4plusIvEEdEEDaPvRmT3_T4_T5_mT6_P12ihipStream_tbENKUlT_T0_E_clISt17integral_constantIbLb0EEST_IbLb1EEEEDaSP_SQ_EUlSP_E0_NS1_11comp_targetILNS1_3genE4ELNS1_11target_archE910ELNS1_3gpuE8ELNS1_3repE0EEENS1_30default_config_static_selectorELNS0_4arch9wavefront6targetE1EEEvT1_
	.globl	_ZN7rocprim17ROCPRIM_400000_NS6detail17trampoline_kernelINS0_14default_configENS1_20scan_config_selectorIdEEZZNS1_9scan_implILNS1_25lookback_scan_determinismE0ELb1ELb1ES3_N6thrust23THRUST_200600_302600_NS6detail15normal_iteratorINS9_10device_ptrIdEEEESE_dNS9_4plusIvEEdEEDaPvRmT3_T4_T5_mT6_P12ihipStream_tbENKUlT_T0_E_clISt17integral_constantIbLb0EEST_IbLb1EEEEDaSP_SQ_EUlSP_E0_NS1_11comp_targetILNS1_3genE4ELNS1_11target_archE910ELNS1_3gpuE8ELNS1_3repE0EEENS1_30default_config_static_selectorELNS0_4arch9wavefront6targetE1EEEvT1_
	.p2align	8
	.type	_ZN7rocprim17ROCPRIM_400000_NS6detail17trampoline_kernelINS0_14default_configENS1_20scan_config_selectorIdEEZZNS1_9scan_implILNS1_25lookback_scan_determinismE0ELb1ELb1ES3_N6thrust23THRUST_200600_302600_NS6detail15normal_iteratorINS9_10device_ptrIdEEEESE_dNS9_4plusIvEEdEEDaPvRmT3_T4_T5_mT6_P12ihipStream_tbENKUlT_T0_E_clISt17integral_constantIbLb0EEST_IbLb1EEEEDaSP_SQ_EUlSP_E0_NS1_11comp_targetILNS1_3genE4ELNS1_11target_archE910ELNS1_3gpuE8ELNS1_3repE0EEENS1_30default_config_static_selectorELNS0_4arch9wavefront6targetE1EEEvT1_,@function
_ZN7rocprim17ROCPRIM_400000_NS6detail17trampoline_kernelINS0_14default_configENS1_20scan_config_selectorIdEEZZNS1_9scan_implILNS1_25lookback_scan_determinismE0ELb1ELb1ES3_N6thrust23THRUST_200600_302600_NS6detail15normal_iteratorINS9_10device_ptrIdEEEESE_dNS9_4plusIvEEdEEDaPvRmT3_T4_T5_mT6_P12ihipStream_tbENKUlT_T0_E_clISt17integral_constantIbLb0EEST_IbLb1EEEEDaSP_SQ_EUlSP_E0_NS1_11comp_targetILNS1_3genE4ELNS1_11target_archE910ELNS1_3gpuE8ELNS1_3repE0EEENS1_30default_config_static_selectorELNS0_4arch9wavefront6targetE1EEEvT1_: ; @_ZN7rocprim17ROCPRIM_400000_NS6detail17trampoline_kernelINS0_14default_configENS1_20scan_config_selectorIdEEZZNS1_9scan_implILNS1_25lookback_scan_determinismE0ELb1ELb1ES3_N6thrust23THRUST_200600_302600_NS6detail15normal_iteratorINS9_10device_ptrIdEEEESE_dNS9_4plusIvEEdEEDaPvRmT3_T4_T5_mT6_P12ihipStream_tbENKUlT_T0_E_clISt17integral_constantIbLb0EEST_IbLb1EEEEDaSP_SQ_EUlSP_E0_NS1_11comp_targetILNS1_3genE4ELNS1_11target_archE910ELNS1_3gpuE8ELNS1_3repE0EEENS1_30default_config_static_selectorELNS0_4arch9wavefront6targetE1EEEvT1_
; %bb.0:
	s_load_dwordx4 s[20:23], s[4:5], 0x0
	v_lshlrev_b32_e32 v28, 3, v0
	s_waitcnt lgkmcnt(0)
	s_load_dwordx2 s[24:25], s[20:21], 0x0
	v_cmp_gt_u32_e32 vcc, s22, v0
	s_waitcnt lgkmcnt(0)
	v_pk_mov_b32 v[2:3], s[24:25], s[24:25] op_sel:[0,1]
	s_and_saveexec_b64 s[0:1], vcc
	s_cbranch_execz .LBB4279_2
; %bb.1:
	global_load_dwordx2 v[2:3], v28, s[20:21]
.LBB4279_2:
	s_or_b64 exec, exec, s[0:1]
	v_or_b32_e32 v1, 0x80, v0
	v_cmp_gt_u32_e64 s[0:1], s22, v1
	v_pk_mov_b32 v[4:5], s[24:25], s[24:25] op_sel:[0,1]
	s_and_saveexec_b64 s[2:3], s[0:1]
	s_cbranch_execz .LBB4279_4
; %bb.3:
	global_load_dwordx2 v[4:5], v28, s[20:21] offset:1024
.LBB4279_4:
	s_or_b64 exec, exec, s[2:3]
	v_or_b32_e32 v1, 0x100, v0
	v_cmp_gt_u32_e64 s[2:3], s22, v1
	v_pk_mov_b32 v[6:7], s[24:25], s[24:25] op_sel:[0,1]
	s_and_saveexec_b64 s[6:7], s[2:3]
	s_cbranch_execz .LBB4279_6
; %bb.5:
	global_load_dwordx2 v[6:7], v28, s[20:21] offset:2048
.LBB4279_6:
	;; [unrolled: 9-line block ×3, first 2 shown]
	s_or_b64 exec, exec, s[6:7]
	v_or_b32_e32 v1, 0x200, v0
	v_cmp_gt_u32_e64 s[6:7], s22, v1
	v_pk_mov_b32 v[10:11], s[24:25], s[24:25] op_sel:[0,1]
	s_and_saveexec_b64 s[8:9], s[6:7]
	s_cbranch_execz .LBB4279_10
; %bb.9:
	v_lshlrev_b32_e32 v1, 3, v1
	global_load_dwordx2 v[10:11], v1, s[20:21]
.LBB4279_10:
	s_or_b64 exec, exec, s[8:9]
	v_or_b32_e32 v1, 0x280, v0
	v_cmp_gt_u32_e64 s[8:9], s22, v1
	v_pk_mov_b32 v[12:13], s[24:25], s[24:25] op_sel:[0,1]
	s_and_saveexec_b64 s[10:11], s[8:9]
	s_cbranch_execz .LBB4279_12
; %bb.11:
	v_lshlrev_b32_e32 v1, 3, v1
	global_load_dwordx2 v[12:13], v1, s[20:21]
.LBB4279_12:
	;; [unrolled: 10-line block ×6, first 2 shown]
	s_or_b64 exec, exec, s[22:23]
	s_movk_i32 s20, 0x48
	v_mad_u32_u24 v1, v0, s20, v28
	s_waitcnt vmcnt(0)
	ds_write2st64_b64 v28, v[2:3], v[4:5] offset1:2
	ds_write2st64_b64 v28, v[6:7], v[8:9] offset0:4 offset1:6
	ds_write2st64_b64 v28, v[10:11], v[12:13] offset0:8 offset1:10
	;; [unrolled: 1-line block ×4, first 2 shown]
	s_waitcnt lgkmcnt(0)
	s_barrier
	ds_read_b128 v[14:17], v1
	ds_read_b128 v[10:13], v1 offset:16
	ds_read_b128 v[6:9], v1 offset:32
	ds_read_b128 v[2:5], v1 offset:48
	ds_read_b128 v[18:21], v1 offset:64
	s_waitcnt lgkmcnt(4)
	v_add_f64 v[22:23], v[14:15], v[16:17]
	s_waitcnt lgkmcnt(3)
	v_add_f64 v[22:23], v[22:23], v[10:11]
	v_add_f64 v[22:23], v[22:23], v[12:13]
	s_waitcnt lgkmcnt(2)
	v_add_f64 v[22:23], v[22:23], v[6:7]
	;; [unrolled: 3-line block ×4, first 2 shown]
	v_add_f64 v[20:21], v[22:23], v[20:21]
	v_mbcnt_lo_u32_b32 v22, -1, 0
	v_mbcnt_hi_u32_b32 v29, -1, v22
	v_and_b32_e32 v26, 15, v29
	v_mov_b32_dpp v22, v20 row_shr:1 row_mask:0xf bank_mask:0xf
	v_mov_b32_dpp v23, v21 row_shr:1 row_mask:0xf bank_mask:0xf
	v_add_f64 v[22:23], v[20:21], v[22:23]
	v_cmp_eq_u32_e64 s[20:21], 0, v26
	v_cndmask_b32_e64 v22, v22, v20, s[20:21]
	v_cndmask_b32_e64 v23, v23, v21, s[20:21]
	v_cmp_lt_u32_e64 s[20:21], 1, v26
	v_mov_b32_dpp v24, v22 row_shr:2 row_mask:0xf bank_mask:0xf
	v_mov_b32_dpp v25, v23 row_shr:2 row_mask:0xf bank_mask:0xf
	v_add_f64 v[24:25], v[22:23], v[24:25]
	v_cndmask_b32_e64 v22, v22, v24, s[20:21]
	v_cndmask_b32_e64 v23, v23, v25, s[20:21]
	v_cmp_lt_u32_e64 s[20:21], 3, v26
	v_mov_b32_dpp v24, v22 row_shr:4 row_mask:0xf bank_mask:0xf
	v_mov_b32_dpp v25, v23 row_shr:4 row_mask:0xf bank_mask:0xf
	v_add_f64 v[24:25], v[22:23], v[24:25]
	;; [unrolled: 6-line block ×3, first 2 shown]
	s_load_dwordx2 s[26:27], s[4:5], 0x10
	v_cndmask_b32_e64 v22, v22, v24, s[20:21]
	v_cndmask_b32_e64 v23, v23, v25, s[20:21]
	v_and_b32_e32 v30, 16, v29
	v_mov_b32_dpp v24, v22 row_bcast:15 row_mask:0xf bank_mask:0xf
	v_mov_b32_dpp v25, v23 row_bcast:15 row_mask:0xf bank_mask:0xf
	v_add_f64 v[26:27], v[22:23], v[24:25]
	v_cmp_eq_u32_e64 s[22:23], 0, v30
	v_cndmask_b32_e64 v25, v27, v23, s[22:23]
	v_cndmask_b32_e64 v24, v26, v22, s[22:23]
	v_cmp_eq_u32_e64 s[20:21], 0, v29
	v_mov_b32_dpp v25, v25 row_bcast:31 row_mask:0xf bank_mask:0xf
	v_mov_b32_dpp v24, v24 row_bcast:31 row_mask:0xf bank_mask:0xf
	v_cmp_ne_u32_e64 s[24:25], 0, v29
	s_waitcnt lgkmcnt(0)
	s_barrier
	s_and_saveexec_b64 s[28:29], s[24:25]
; %bb.21:
	v_cndmask_b32_e64 v21, v27, v23, s[22:23]
	v_cndmask_b32_e64 v20, v26, v22, s[22:23]
	v_add_f64 v[22:23], v[20:21], v[24:25]
	v_cmp_lt_u32_e64 s[22:23], 31, v29
	v_cndmask_b32_e64 v21, v21, v23, s[22:23]
	v_cndmask_b32_e64 v20, v20, v22, s[22:23]
; %bb.22:
	s_or_b64 exec, exec, s[28:29]
	v_or_b32_e32 v22, 63, v0
	v_lshrrev_b32_e32 v24, 6, v0
	v_cmp_eq_u32_e64 s[22:23], v22, v0
	s_and_saveexec_b64 s[24:25], s[22:23]
	s_cbranch_execz .LBB4279_24
; %bb.23:
	v_lshlrev_b32_e32 v22, 3, v24
	ds_write_b64 v22, v[20:21]
.LBB4279_24:
	s_or_b64 exec, exec, s[24:25]
	s_load_dwordx2 s[22:23], s[4:5], 0x20
	v_cmp_gt_u32_e64 s[4:5], 2, v0
	s_waitcnt lgkmcnt(0)
	s_barrier
	s_and_saveexec_b64 s[24:25], s[4:5]
	s_cbranch_execz .LBB4279_26
; %bb.25:
	ds_read_b64 v[22:23], v28
	v_and_b32_e32 v25, 1, v29
	v_cmp_eq_u32_e64 s[4:5], 0, v25
	s_waitcnt lgkmcnt(0)
	v_mov_b32_dpp v26, v22 row_shr:1 row_mask:0xf bank_mask:0xf
	v_mov_b32_dpp v27, v23 row_shr:1 row_mask:0xf bank_mask:0xf
	v_add_f64 v[26:27], v[22:23], v[26:27]
	v_cndmask_b32_e64 v23, v27, v23, s[4:5]
	v_cndmask_b32_e64 v22, v26, v22, s[4:5]
	ds_write_b64 v28, v[22:23]
.LBB4279_26:
	s_or_b64 exec, exec, s[24:25]
	v_cmp_lt_u32_e64 s[4:5], 63, v0
	v_pk_mov_b32 v[22:23], s[26:27], s[26:27] op_sel:[0,1]
	s_waitcnt lgkmcnt(0)
	s_barrier
	s_and_saveexec_b64 s[24:25], s[4:5]
	s_cbranch_execz .LBB4279_28
; %bb.27:
	v_lshl_add_u32 v22, v24, 3, -8
	ds_read_b64 v[22:23], v22
	s_waitcnt lgkmcnt(0)
	v_add_f64 v[22:23], s[26:27], v[22:23]
.LBB4279_28:
	s_or_b64 exec, exec, s[24:25]
	v_add_u32_e32 v24, -1, v29
	v_and_b32_e32 v25, 64, v29
	v_cmp_lt_i32_e64 s[4:5], v24, v25
	v_cndmask_b32_e64 v24, v24, v29, s[4:5]
	v_add_f64 v[20:21], v[20:21], v[22:23]
	v_lshlrev_b32_e32 v24, 2, v24
	ds_bpermute_b32 v20, v24, v20
	ds_bpermute_b32 v21, v24, v21
	v_cmp_eq_u32_e64 s[4:5], 0, v0
	s_waitcnt lgkmcnt(0)
	s_barrier
	v_cndmask_b32_e64 v20, v20, v22, s[20:21]
	v_cndmask_b32_e64 v21, v21, v23, s[20:21]
	v_mov_b32_e32 v22, s27
	v_cndmask_b32_e64 v21, v21, v22, s[4:5]
	v_mov_b32_e32 v22, s26
	v_cndmask_b32_e64 v20, v20, v22, s[4:5]
	v_add_f64 v[22:23], v[14:15], v[20:21]
	v_add_f64 v[14:15], v[16:17], v[22:23]
	;; [unrolled: 1-line block ×8, first 2 shown]
	s_movk_i32 s4, 0xffb8
	v_add_f64 v[4:5], v[18:19], v[2:3]
	v_mad_i32_i24 v0, v0, s4, v1
	ds_write_b128 v1, v[20:23]
	ds_write_b128 v1, v[14:17] offset:16
	ds_write_b128 v1, v[10:13] offset:32
	;; [unrolled: 1-line block ×4, first 2 shown]
	s_waitcnt lgkmcnt(0)
	s_barrier
	ds_read2st64_b64 v[12:15], v0 offset0:2 offset1:4
	ds_read2st64_b64 v[8:11], v0 offset0:6 offset1:8
	;; [unrolled: 1-line block ×4, first 2 shown]
	ds_read_b64 v[18:19], v28 offset:8192
	v_mov_b32_e32 v17, s23
	v_add_co_u32_e64 v16, s[4:5], s22, v28
	v_addc_co_u32_e64 v17, s[4:5], 0, v17, s[4:5]
	s_and_saveexec_b64 s[4:5], vcc
	s_cbranch_execnz .LBB4279_39
; %bb.29:
	s_or_b64 exec, exec, s[4:5]
	s_and_saveexec_b64 s[4:5], s[0:1]
	s_cbranch_execnz .LBB4279_40
.LBB4279_30:
	s_or_b64 exec, exec, s[4:5]
	s_and_saveexec_b64 s[0:1], s[2:3]
	s_cbranch_execnz .LBB4279_41
.LBB4279_31:
	s_or_b64 exec, exec, s[0:1]
	s_and_saveexec_b64 s[0:1], s[18:19]
	s_cbranch_execnz .LBB4279_42
.LBB4279_32:
	s_or_b64 exec, exec, s[0:1]
	s_and_saveexec_b64 s[0:1], s[6:7]
	s_cbranch_execnz .LBB4279_43
.LBB4279_33:
	s_or_b64 exec, exec, s[0:1]
	s_and_saveexec_b64 s[0:1], s[8:9]
	s_cbranch_execnz .LBB4279_44
.LBB4279_34:
	s_or_b64 exec, exec, s[0:1]
	s_and_saveexec_b64 s[0:1], s[10:11]
	s_cbranch_execnz .LBB4279_45
.LBB4279_35:
	s_or_b64 exec, exec, s[0:1]
	s_and_saveexec_b64 s[0:1], s[12:13]
	s_cbranch_execnz .LBB4279_46
.LBB4279_36:
	s_or_b64 exec, exec, s[0:1]
	s_and_saveexec_b64 s[0:1], s[14:15]
	s_cbranch_execnz .LBB4279_47
.LBB4279_37:
	s_or_b64 exec, exec, s[0:1]
	s_and_saveexec_b64 s[0:1], s[16:17]
	s_cbranch_execnz .LBB4279_48
.LBB4279_38:
	s_endpgm
.LBB4279_39:
	ds_read_b64 v[20:21], v28
	s_waitcnt lgkmcnt(0)
	global_store_dwordx2 v[16:17], v[20:21], off
	s_or_b64 exec, exec, s[4:5]
	s_and_saveexec_b64 s[4:5], s[0:1]
	s_cbranch_execz .LBB4279_30
.LBB4279_40:
	s_waitcnt lgkmcnt(4)
	global_store_dwordx2 v[16:17], v[12:13], off offset:1024
	s_or_b64 exec, exec, s[4:5]
	s_and_saveexec_b64 s[0:1], s[2:3]
	s_cbranch_execz .LBB4279_31
.LBB4279_41:
	s_waitcnt lgkmcnt(4)
	global_store_dwordx2 v[16:17], v[14:15], off offset:2048
	s_or_b64 exec, exec, s[0:1]
	s_and_saveexec_b64 s[0:1], s[18:19]
	s_cbranch_execz .LBB4279_32
.LBB4279_42:
	s_waitcnt lgkmcnt(3)
	global_store_dwordx2 v[16:17], v[8:9], off offset:3072
	s_or_b64 exec, exec, s[0:1]
	s_and_saveexec_b64 s[0:1], s[6:7]
	s_cbranch_execz .LBB4279_33
.LBB4279_43:
	s_waitcnt lgkmcnt(3)
	v_add_co_u32_e32 v8, vcc, 0x1000, v16
	v_addc_co_u32_e32 v9, vcc, 0, v17, vcc
	global_store_dwordx2 v[8:9], v[10:11], off
	s_or_b64 exec, exec, s[0:1]
	s_and_saveexec_b64 s[0:1], s[8:9]
	s_cbranch_execz .LBB4279_34
.LBB4279_44:
	s_waitcnt lgkmcnt(3)
	v_add_co_u32_e32 v8, vcc, 0x1000, v16
	v_addc_co_u32_e32 v9, vcc, 0, v17, vcc
	s_waitcnt lgkmcnt(2)
	global_store_dwordx2 v[8:9], v[4:5], off offset:1024
	s_or_b64 exec, exec, s[0:1]
	s_and_saveexec_b64 s[0:1], s[10:11]
	s_cbranch_execz .LBB4279_35
.LBB4279_45:
	s_waitcnt lgkmcnt(2)
	v_add_co_u32_e32 v4, vcc, 0x1000, v16
	v_addc_co_u32_e32 v5, vcc, 0, v17, vcc
	global_store_dwordx2 v[4:5], v[6:7], off offset:2048
	s_or_b64 exec, exec, s[0:1]
	s_and_saveexec_b64 s[0:1], s[12:13]
	s_cbranch_execz .LBB4279_36
.LBB4279_46:
	s_waitcnt lgkmcnt(2)
	v_add_co_u32_e32 v4, vcc, 0x1000, v16
	v_addc_co_u32_e32 v5, vcc, 0, v17, vcc
	s_waitcnt lgkmcnt(1)
	global_store_dwordx2 v[4:5], v[0:1], off offset:3072
	s_or_b64 exec, exec, s[0:1]
	s_and_saveexec_b64 s[0:1], s[14:15]
	s_cbranch_execz .LBB4279_37
.LBB4279_47:
	s_waitcnt lgkmcnt(1)
	v_add_co_u32_e32 v0, vcc, 0x2000, v16
	v_addc_co_u32_e32 v1, vcc, 0, v17, vcc
	s_waitcnt lgkmcnt(0)
	global_store_dwordx2 v[0:1], v[18:19], off
	s_or_b64 exec, exec, s[0:1]
	s_and_saveexec_b64 s[0:1], s[16:17]
	s_cbranch_execz .LBB4279_38
.LBB4279_48:
	s_waitcnt lgkmcnt(1)
	v_add_co_u32_e32 v0, vcc, 0x2000, v16
	v_addc_co_u32_e32 v1, vcc, 0, v17, vcc
	global_store_dwordx2 v[0:1], v[2:3], off offset:1024
	s_endpgm
	.section	.rodata,"a",@progbits
	.p2align	6, 0x0
	.amdhsa_kernel _ZN7rocprim17ROCPRIM_400000_NS6detail17trampoline_kernelINS0_14default_configENS1_20scan_config_selectorIdEEZZNS1_9scan_implILNS1_25lookback_scan_determinismE0ELb1ELb1ES3_N6thrust23THRUST_200600_302600_NS6detail15normal_iteratorINS9_10device_ptrIdEEEESE_dNS9_4plusIvEEdEEDaPvRmT3_T4_T5_mT6_P12ihipStream_tbENKUlT_T0_E_clISt17integral_constantIbLb0EEST_IbLb1EEEEDaSP_SQ_EUlSP_E0_NS1_11comp_targetILNS1_3genE4ELNS1_11target_archE910ELNS1_3gpuE8ELNS1_3repE0EEENS1_30default_config_static_selectorELNS0_4arch9wavefront6targetE1EEEvT1_
		.amdhsa_group_segment_fixed_size 10240
		.amdhsa_private_segment_fixed_size 0
		.amdhsa_kernarg_size 40
		.amdhsa_user_sgpr_count 6
		.amdhsa_user_sgpr_private_segment_buffer 1
		.amdhsa_user_sgpr_dispatch_ptr 0
		.amdhsa_user_sgpr_queue_ptr 0
		.amdhsa_user_sgpr_kernarg_segment_ptr 1
		.amdhsa_user_sgpr_dispatch_id 0
		.amdhsa_user_sgpr_flat_scratch_init 0
		.amdhsa_user_sgpr_kernarg_preload_length 0
		.amdhsa_user_sgpr_kernarg_preload_offset 0
		.amdhsa_user_sgpr_private_segment_size 0
		.amdhsa_uses_dynamic_stack 0
		.amdhsa_system_sgpr_private_segment_wavefront_offset 0
		.amdhsa_system_sgpr_workgroup_id_x 1
		.amdhsa_system_sgpr_workgroup_id_y 0
		.amdhsa_system_sgpr_workgroup_id_z 0
		.amdhsa_system_sgpr_workgroup_info 0
		.amdhsa_system_vgpr_workitem_id 0
		.amdhsa_next_free_vgpr 31
		.amdhsa_next_free_sgpr 30
		.amdhsa_accum_offset 32
		.amdhsa_reserve_vcc 1
		.amdhsa_reserve_flat_scratch 0
		.amdhsa_float_round_mode_32 0
		.amdhsa_float_round_mode_16_64 0
		.amdhsa_float_denorm_mode_32 3
		.amdhsa_float_denorm_mode_16_64 3
		.amdhsa_dx10_clamp 1
		.amdhsa_ieee_mode 1
		.amdhsa_fp16_overflow 0
		.amdhsa_tg_split 0
		.amdhsa_exception_fp_ieee_invalid_op 0
		.amdhsa_exception_fp_denorm_src 0
		.amdhsa_exception_fp_ieee_div_zero 0
		.amdhsa_exception_fp_ieee_overflow 0
		.amdhsa_exception_fp_ieee_underflow 0
		.amdhsa_exception_fp_ieee_inexact 0
		.amdhsa_exception_int_div_zero 0
	.end_amdhsa_kernel
	.section	.text._ZN7rocprim17ROCPRIM_400000_NS6detail17trampoline_kernelINS0_14default_configENS1_20scan_config_selectorIdEEZZNS1_9scan_implILNS1_25lookback_scan_determinismE0ELb1ELb1ES3_N6thrust23THRUST_200600_302600_NS6detail15normal_iteratorINS9_10device_ptrIdEEEESE_dNS9_4plusIvEEdEEDaPvRmT3_T4_T5_mT6_P12ihipStream_tbENKUlT_T0_E_clISt17integral_constantIbLb0EEST_IbLb1EEEEDaSP_SQ_EUlSP_E0_NS1_11comp_targetILNS1_3genE4ELNS1_11target_archE910ELNS1_3gpuE8ELNS1_3repE0EEENS1_30default_config_static_selectorELNS0_4arch9wavefront6targetE1EEEvT1_,"axG",@progbits,_ZN7rocprim17ROCPRIM_400000_NS6detail17trampoline_kernelINS0_14default_configENS1_20scan_config_selectorIdEEZZNS1_9scan_implILNS1_25lookback_scan_determinismE0ELb1ELb1ES3_N6thrust23THRUST_200600_302600_NS6detail15normal_iteratorINS9_10device_ptrIdEEEESE_dNS9_4plusIvEEdEEDaPvRmT3_T4_T5_mT6_P12ihipStream_tbENKUlT_T0_E_clISt17integral_constantIbLb0EEST_IbLb1EEEEDaSP_SQ_EUlSP_E0_NS1_11comp_targetILNS1_3genE4ELNS1_11target_archE910ELNS1_3gpuE8ELNS1_3repE0EEENS1_30default_config_static_selectorELNS0_4arch9wavefront6targetE1EEEvT1_,comdat
.Lfunc_end4279:
	.size	_ZN7rocprim17ROCPRIM_400000_NS6detail17trampoline_kernelINS0_14default_configENS1_20scan_config_selectorIdEEZZNS1_9scan_implILNS1_25lookback_scan_determinismE0ELb1ELb1ES3_N6thrust23THRUST_200600_302600_NS6detail15normal_iteratorINS9_10device_ptrIdEEEESE_dNS9_4plusIvEEdEEDaPvRmT3_T4_T5_mT6_P12ihipStream_tbENKUlT_T0_E_clISt17integral_constantIbLb0EEST_IbLb1EEEEDaSP_SQ_EUlSP_E0_NS1_11comp_targetILNS1_3genE4ELNS1_11target_archE910ELNS1_3gpuE8ELNS1_3repE0EEENS1_30default_config_static_selectorELNS0_4arch9wavefront6targetE1EEEvT1_, .Lfunc_end4279-_ZN7rocprim17ROCPRIM_400000_NS6detail17trampoline_kernelINS0_14default_configENS1_20scan_config_selectorIdEEZZNS1_9scan_implILNS1_25lookback_scan_determinismE0ELb1ELb1ES3_N6thrust23THRUST_200600_302600_NS6detail15normal_iteratorINS9_10device_ptrIdEEEESE_dNS9_4plusIvEEdEEDaPvRmT3_T4_T5_mT6_P12ihipStream_tbENKUlT_T0_E_clISt17integral_constantIbLb0EEST_IbLb1EEEEDaSP_SQ_EUlSP_E0_NS1_11comp_targetILNS1_3genE4ELNS1_11target_archE910ELNS1_3gpuE8ELNS1_3repE0EEENS1_30default_config_static_selectorELNS0_4arch9wavefront6targetE1EEEvT1_
                                        ; -- End function
	.section	.AMDGPU.csdata,"",@progbits
; Kernel info:
; codeLenInByte = 2000
; NumSgprs: 34
; NumVgprs: 31
; NumAgprs: 0
; TotalNumVgprs: 31
; ScratchSize: 0
; MemoryBound: 0
; FloatMode: 240
; IeeeMode: 1
; LDSByteSize: 10240 bytes/workgroup (compile time only)
; SGPRBlocks: 4
; VGPRBlocks: 3
; NumSGPRsForWavesPerEU: 34
; NumVGPRsForWavesPerEU: 31
; AccumOffset: 32
; Occupancy: 3
; WaveLimiterHint : 0
; COMPUTE_PGM_RSRC2:SCRATCH_EN: 0
; COMPUTE_PGM_RSRC2:USER_SGPR: 6
; COMPUTE_PGM_RSRC2:TRAP_HANDLER: 0
; COMPUTE_PGM_RSRC2:TGID_X_EN: 1
; COMPUTE_PGM_RSRC2:TGID_Y_EN: 0
; COMPUTE_PGM_RSRC2:TGID_Z_EN: 0
; COMPUTE_PGM_RSRC2:TIDIG_COMP_CNT: 0
; COMPUTE_PGM_RSRC3_GFX90A:ACCUM_OFFSET: 7
; COMPUTE_PGM_RSRC3_GFX90A:TG_SPLIT: 0
	.section	.text._ZN7rocprim17ROCPRIM_400000_NS6detail17trampoline_kernelINS0_14default_configENS1_20scan_config_selectorIdEEZZNS1_9scan_implILNS1_25lookback_scan_determinismE0ELb1ELb1ES3_N6thrust23THRUST_200600_302600_NS6detail15normal_iteratorINS9_10device_ptrIdEEEESE_dNS9_4plusIvEEdEEDaPvRmT3_T4_T5_mT6_P12ihipStream_tbENKUlT_T0_E_clISt17integral_constantIbLb0EEST_IbLb1EEEEDaSP_SQ_EUlSP_E0_NS1_11comp_targetILNS1_3genE3ELNS1_11target_archE908ELNS1_3gpuE7ELNS1_3repE0EEENS1_30default_config_static_selectorELNS0_4arch9wavefront6targetE1EEEvT1_,"axG",@progbits,_ZN7rocprim17ROCPRIM_400000_NS6detail17trampoline_kernelINS0_14default_configENS1_20scan_config_selectorIdEEZZNS1_9scan_implILNS1_25lookback_scan_determinismE0ELb1ELb1ES3_N6thrust23THRUST_200600_302600_NS6detail15normal_iteratorINS9_10device_ptrIdEEEESE_dNS9_4plusIvEEdEEDaPvRmT3_T4_T5_mT6_P12ihipStream_tbENKUlT_T0_E_clISt17integral_constantIbLb0EEST_IbLb1EEEEDaSP_SQ_EUlSP_E0_NS1_11comp_targetILNS1_3genE3ELNS1_11target_archE908ELNS1_3gpuE7ELNS1_3repE0EEENS1_30default_config_static_selectorELNS0_4arch9wavefront6targetE1EEEvT1_,comdat
	.protected	_ZN7rocprim17ROCPRIM_400000_NS6detail17trampoline_kernelINS0_14default_configENS1_20scan_config_selectorIdEEZZNS1_9scan_implILNS1_25lookback_scan_determinismE0ELb1ELb1ES3_N6thrust23THRUST_200600_302600_NS6detail15normal_iteratorINS9_10device_ptrIdEEEESE_dNS9_4plusIvEEdEEDaPvRmT3_T4_T5_mT6_P12ihipStream_tbENKUlT_T0_E_clISt17integral_constantIbLb0EEST_IbLb1EEEEDaSP_SQ_EUlSP_E0_NS1_11comp_targetILNS1_3genE3ELNS1_11target_archE908ELNS1_3gpuE7ELNS1_3repE0EEENS1_30default_config_static_selectorELNS0_4arch9wavefront6targetE1EEEvT1_ ; -- Begin function _ZN7rocprim17ROCPRIM_400000_NS6detail17trampoline_kernelINS0_14default_configENS1_20scan_config_selectorIdEEZZNS1_9scan_implILNS1_25lookback_scan_determinismE0ELb1ELb1ES3_N6thrust23THRUST_200600_302600_NS6detail15normal_iteratorINS9_10device_ptrIdEEEESE_dNS9_4plusIvEEdEEDaPvRmT3_T4_T5_mT6_P12ihipStream_tbENKUlT_T0_E_clISt17integral_constantIbLb0EEST_IbLb1EEEEDaSP_SQ_EUlSP_E0_NS1_11comp_targetILNS1_3genE3ELNS1_11target_archE908ELNS1_3gpuE7ELNS1_3repE0EEENS1_30default_config_static_selectorELNS0_4arch9wavefront6targetE1EEEvT1_
	.globl	_ZN7rocprim17ROCPRIM_400000_NS6detail17trampoline_kernelINS0_14default_configENS1_20scan_config_selectorIdEEZZNS1_9scan_implILNS1_25lookback_scan_determinismE0ELb1ELb1ES3_N6thrust23THRUST_200600_302600_NS6detail15normal_iteratorINS9_10device_ptrIdEEEESE_dNS9_4plusIvEEdEEDaPvRmT3_T4_T5_mT6_P12ihipStream_tbENKUlT_T0_E_clISt17integral_constantIbLb0EEST_IbLb1EEEEDaSP_SQ_EUlSP_E0_NS1_11comp_targetILNS1_3genE3ELNS1_11target_archE908ELNS1_3gpuE7ELNS1_3repE0EEENS1_30default_config_static_selectorELNS0_4arch9wavefront6targetE1EEEvT1_
	.p2align	8
	.type	_ZN7rocprim17ROCPRIM_400000_NS6detail17trampoline_kernelINS0_14default_configENS1_20scan_config_selectorIdEEZZNS1_9scan_implILNS1_25lookback_scan_determinismE0ELb1ELb1ES3_N6thrust23THRUST_200600_302600_NS6detail15normal_iteratorINS9_10device_ptrIdEEEESE_dNS9_4plusIvEEdEEDaPvRmT3_T4_T5_mT6_P12ihipStream_tbENKUlT_T0_E_clISt17integral_constantIbLb0EEST_IbLb1EEEEDaSP_SQ_EUlSP_E0_NS1_11comp_targetILNS1_3genE3ELNS1_11target_archE908ELNS1_3gpuE7ELNS1_3repE0EEENS1_30default_config_static_selectorELNS0_4arch9wavefront6targetE1EEEvT1_,@function
_ZN7rocprim17ROCPRIM_400000_NS6detail17trampoline_kernelINS0_14default_configENS1_20scan_config_selectorIdEEZZNS1_9scan_implILNS1_25lookback_scan_determinismE0ELb1ELb1ES3_N6thrust23THRUST_200600_302600_NS6detail15normal_iteratorINS9_10device_ptrIdEEEESE_dNS9_4plusIvEEdEEDaPvRmT3_T4_T5_mT6_P12ihipStream_tbENKUlT_T0_E_clISt17integral_constantIbLb0EEST_IbLb1EEEEDaSP_SQ_EUlSP_E0_NS1_11comp_targetILNS1_3genE3ELNS1_11target_archE908ELNS1_3gpuE7ELNS1_3repE0EEENS1_30default_config_static_selectorELNS0_4arch9wavefront6targetE1EEEvT1_: ; @_ZN7rocprim17ROCPRIM_400000_NS6detail17trampoline_kernelINS0_14default_configENS1_20scan_config_selectorIdEEZZNS1_9scan_implILNS1_25lookback_scan_determinismE0ELb1ELb1ES3_N6thrust23THRUST_200600_302600_NS6detail15normal_iteratorINS9_10device_ptrIdEEEESE_dNS9_4plusIvEEdEEDaPvRmT3_T4_T5_mT6_P12ihipStream_tbENKUlT_T0_E_clISt17integral_constantIbLb0EEST_IbLb1EEEEDaSP_SQ_EUlSP_E0_NS1_11comp_targetILNS1_3genE3ELNS1_11target_archE908ELNS1_3gpuE7ELNS1_3repE0EEENS1_30default_config_static_selectorELNS0_4arch9wavefront6targetE1EEEvT1_
; %bb.0:
	.section	.rodata,"a",@progbits
	.p2align	6, 0x0
	.amdhsa_kernel _ZN7rocprim17ROCPRIM_400000_NS6detail17trampoline_kernelINS0_14default_configENS1_20scan_config_selectorIdEEZZNS1_9scan_implILNS1_25lookback_scan_determinismE0ELb1ELb1ES3_N6thrust23THRUST_200600_302600_NS6detail15normal_iteratorINS9_10device_ptrIdEEEESE_dNS9_4plusIvEEdEEDaPvRmT3_T4_T5_mT6_P12ihipStream_tbENKUlT_T0_E_clISt17integral_constantIbLb0EEST_IbLb1EEEEDaSP_SQ_EUlSP_E0_NS1_11comp_targetILNS1_3genE3ELNS1_11target_archE908ELNS1_3gpuE7ELNS1_3repE0EEENS1_30default_config_static_selectorELNS0_4arch9wavefront6targetE1EEEvT1_
		.amdhsa_group_segment_fixed_size 0
		.amdhsa_private_segment_fixed_size 0
		.amdhsa_kernarg_size 40
		.amdhsa_user_sgpr_count 6
		.amdhsa_user_sgpr_private_segment_buffer 1
		.amdhsa_user_sgpr_dispatch_ptr 0
		.amdhsa_user_sgpr_queue_ptr 0
		.amdhsa_user_sgpr_kernarg_segment_ptr 1
		.amdhsa_user_sgpr_dispatch_id 0
		.amdhsa_user_sgpr_flat_scratch_init 0
		.amdhsa_user_sgpr_kernarg_preload_length 0
		.amdhsa_user_sgpr_kernarg_preload_offset 0
		.amdhsa_user_sgpr_private_segment_size 0
		.amdhsa_uses_dynamic_stack 0
		.amdhsa_system_sgpr_private_segment_wavefront_offset 0
		.amdhsa_system_sgpr_workgroup_id_x 1
		.amdhsa_system_sgpr_workgroup_id_y 0
		.amdhsa_system_sgpr_workgroup_id_z 0
		.amdhsa_system_sgpr_workgroup_info 0
		.amdhsa_system_vgpr_workitem_id 0
		.amdhsa_next_free_vgpr 1
		.amdhsa_next_free_sgpr 0
		.amdhsa_accum_offset 4
		.amdhsa_reserve_vcc 0
		.amdhsa_reserve_flat_scratch 0
		.amdhsa_float_round_mode_32 0
		.amdhsa_float_round_mode_16_64 0
		.amdhsa_float_denorm_mode_32 3
		.amdhsa_float_denorm_mode_16_64 3
		.amdhsa_dx10_clamp 1
		.amdhsa_ieee_mode 1
		.amdhsa_fp16_overflow 0
		.amdhsa_tg_split 0
		.amdhsa_exception_fp_ieee_invalid_op 0
		.amdhsa_exception_fp_denorm_src 0
		.amdhsa_exception_fp_ieee_div_zero 0
		.amdhsa_exception_fp_ieee_overflow 0
		.amdhsa_exception_fp_ieee_underflow 0
		.amdhsa_exception_fp_ieee_inexact 0
		.amdhsa_exception_int_div_zero 0
	.end_amdhsa_kernel
	.section	.text._ZN7rocprim17ROCPRIM_400000_NS6detail17trampoline_kernelINS0_14default_configENS1_20scan_config_selectorIdEEZZNS1_9scan_implILNS1_25lookback_scan_determinismE0ELb1ELb1ES3_N6thrust23THRUST_200600_302600_NS6detail15normal_iteratorINS9_10device_ptrIdEEEESE_dNS9_4plusIvEEdEEDaPvRmT3_T4_T5_mT6_P12ihipStream_tbENKUlT_T0_E_clISt17integral_constantIbLb0EEST_IbLb1EEEEDaSP_SQ_EUlSP_E0_NS1_11comp_targetILNS1_3genE3ELNS1_11target_archE908ELNS1_3gpuE7ELNS1_3repE0EEENS1_30default_config_static_selectorELNS0_4arch9wavefront6targetE1EEEvT1_,"axG",@progbits,_ZN7rocprim17ROCPRIM_400000_NS6detail17trampoline_kernelINS0_14default_configENS1_20scan_config_selectorIdEEZZNS1_9scan_implILNS1_25lookback_scan_determinismE0ELb1ELb1ES3_N6thrust23THRUST_200600_302600_NS6detail15normal_iteratorINS9_10device_ptrIdEEEESE_dNS9_4plusIvEEdEEDaPvRmT3_T4_T5_mT6_P12ihipStream_tbENKUlT_T0_E_clISt17integral_constantIbLb0EEST_IbLb1EEEEDaSP_SQ_EUlSP_E0_NS1_11comp_targetILNS1_3genE3ELNS1_11target_archE908ELNS1_3gpuE7ELNS1_3repE0EEENS1_30default_config_static_selectorELNS0_4arch9wavefront6targetE1EEEvT1_,comdat
.Lfunc_end4280:
	.size	_ZN7rocprim17ROCPRIM_400000_NS6detail17trampoline_kernelINS0_14default_configENS1_20scan_config_selectorIdEEZZNS1_9scan_implILNS1_25lookback_scan_determinismE0ELb1ELb1ES3_N6thrust23THRUST_200600_302600_NS6detail15normal_iteratorINS9_10device_ptrIdEEEESE_dNS9_4plusIvEEdEEDaPvRmT3_T4_T5_mT6_P12ihipStream_tbENKUlT_T0_E_clISt17integral_constantIbLb0EEST_IbLb1EEEEDaSP_SQ_EUlSP_E0_NS1_11comp_targetILNS1_3genE3ELNS1_11target_archE908ELNS1_3gpuE7ELNS1_3repE0EEENS1_30default_config_static_selectorELNS0_4arch9wavefront6targetE1EEEvT1_, .Lfunc_end4280-_ZN7rocprim17ROCPRIM_400000_NS6detail17trampoline_kernelINS0_14default_configENS1_20scan_config_selectorIdEEZZNS1_9scan_implILNS1_25lookback_scan_determinismE0ELb1ELb1ES3_N6thrust23THRUST_200600_302600_NS6detail15normal_iteratorINS9_10device_ptrIdEEEESE_dNS9_4plusIvEEdEEDaPvRmT3_T4_T5_mT6_P12ihipStream_tbENKUlT_T0_E_clISt17integral_constantIbLb0EEST_IbLb1EEEEDaSP_SQ_EUlSP_E0_NS1_11comp_targetILNS1_3genE3ELNS1_11target_archE908ELNS1_3gpuE7ELNS1_3repE0EEENS1_30default_config_static_selectorELNS0_4arch9wavefront6targetE1EEEvT1_
                                        ; -- End function
	.section	.AMDGPU.csdata,"",@progbits
; Kernel info:
; codeLenInByte = 0
; NumSgprs: 4
; NumVgprs: 0
; NumAgprs: 0
; TotalNumVgprs: 0
; ScratchSize: 0
; MemoryBound: 0
; FloatMode: 240
; IeeeMode: 1
; LDSByteSize: 0 bytes/workgroup (compile time only)
; SGPRBlocks: 0
; VGPRBlocks: 0
; NumSGPRsForWavesPerEU: 4
; NumVGPRsForWavesPerEU: 1
; AccumOffset: 4
; Occupancy: 8
; WaveLimiterHint : 0
; COMPUTE_PGM_RSRC2:SCRATCH_EN: 0
; COMPUTE_PGM_RSRC2:USER_SGPR: 6
; COMPUTE_PGM_RSRC2:TRAP_HANDLER: 0
; COMPUTE_PGM_RSRC2:TGID_X_EN: 1
; COMPUTE_PGM_RSRC2:TGID_Y_EN: 0
; COMPUTE_PGM_RSRC2:TGID_Z_EN: 0
; COMPUTE_PGM_RSRC2:TIDIG_COMP_CNT: 0
; COMPUTE_PGM_RSRC3_GFX90A:ACCUM_OFFSET: 0
; COMPUTE_PGM_RSRC3_GFX90A:TG_SPLIT: 0
	.section	.text._ZN7rocprim17ROCPRIM_400000_NS6detail17trampoline_kernelINS0_14default_configENS1_20scan_config_selectorIdEEZZNS1_9scan_implILNS1_25lookback_scan_determinismE0ELb1ELb1ES3_N6thrust23THRUST_200600_302600_NS6detail15normal_iteratorINS9_10device_ptrIdEEEESE_dNS9_4plusIvEEdEEDaPvRmT3_T4_T5_mT6_P12ihipStream_tbENKUlT_T0_E_clISt17integral_constantIbLb0EEST_IbLb1EEEEDaSP_SQ_EUlSP_E0_NS1_11comp_targetILNS1_3genE2ELNS1_11target_archE906ELNS1_3gpuE6ELNS1_3repE0EEENS1_30default_config_static_selectorELNS0_4arch9wavefront6targetE1EEEvT1_,"axG",@progbits,_ZN7rocprim17ROCPRIM_400000_NS6detail17trampoline_kernelINS0_14default_configENS1_20scan_config_selectorIdEEZZNS1_9scan_implILNS1_25lookback_scan_determinismE0ELb1ELb1ES3_N6thrust23THRUST_200600_302600_NS6detail15normal_iteratorINS9_10device_ptrIdEEEESE_dNS9_4plusIvEEdEEDaPvRmT3_T4_T5_mT6_P12ihipStream_tbENKUlT_T0_E_clISt17integral_constantIbLb0EEST_IbLb1EEEEDaSP_SQ_EUlSP_E0_NS1_11comp_targetILNS1_3genE2ELNS1_11target_archE906ELNS1_3gpuE6ELNS1_3repE0EEENS1_30default_config_static_selectorELNS0_4arch9wavefront6targetE1EEEvT1_,comdat
	.protected	_ZN7rocprim17ROCPRIM_400000_NS6detail17trampoline_kernelINS0_14default_configENS1_20scan_config_selectorIdEEZZNS1_9scan_implILNS1_25lookback_scan_determinismE0ELb1ELb1ES3_N6thrust23THRUST_200600_302600_NS6detail15normal_iteratorINS9_10device_ptrIdEEEESE_dNS9_4plusIvEEdEEDaPvRmT3_T4_T5_mT6_P12ihipStream_tbENKUlT_T0_E_clISt17integral_constantIbLb0EEST_IbLb1EEEEDaSP_SQ_EUlSP_E0_NS1_11comp_targetILNS1_3genE2ELNS1_11target_archE906ELNS1_3gpuE6ELNS1_3repE0EEENS1_30default_config_static_selectorELNS0_4arch9wavefront6targetE1EEEvT1_ ; -- Begin function _ZN7rocprim17ROCPRIM_400000_NS6detail17trampoline_kernelINS0_14default_configENS1_20scan_config_selectorIdEEZZNS1_9scan_implILNS1_25lookback_scan_determinismE0ELb1ELb1ES3_N6thrust23THRUST_200600_302600_NS6detail15normal_iteratorINS9_10device_ptrIdEEEESE_dNS9_4plusIvEEdEEDaPvRmT3_T4_T5_mT6_P12ihipStream_tbENKUlT_T0_E_clISt17integral_constantIbLb0EEST_IbLb1EEEEDaSP_SQ_EUlSP_E0_NS1_11comp_targetILNS1_3genE2ELNS1_11target_archE906ELNS1_3gpuE6ELNS1_3repE0EEENS1_30default_config_static_selectorELNS0_4arch9wavefront6targetE1EEEvT1_
	.globl	_ZN7rocprim17ROCPRIM_400000_NS6detail17trampoline_kernelINS0_14default_configENS1_20scan_config_selectorIdEEZZNS1_9scan_implILNS1_25lookback_scan_determinismE0ELb1ELb1ES3_N6thrust23THRUST_200600_302600_NS6detail15normal_iteratorINS9_10device_ptrIdEEEESE_dNS9_4plusIvEEdEEDaPvRmT3_T4_T5_mT6_P12ihipStream_tbENKUlT_T0_E_clISt17integral_constantIbLb0EEST_IbLb1EEEEDaSP_SQ_EUlSP_E0_NS1_11comp_targetILNS1_3genE2ELNS1_11target_archE906ELNS1_3gpuE6ELNS1_3repE0EEENS1_30default_config_static_selectorELNS0_4arch9wavefront6targetE1EEEvT1_
	.p2align	8
	.type	_ZN7rocprim17ROCPRIM_400000_NS6detail17trampoline_kernelINS0_14default_configENS1_20scan_config_selectorIdEEZZNS1_9scan_implILNS1_25lookback_scan_determinismE0ELb1ELb1ES3_N6thrust23THRUST_200600_302600_NS6detail15normal_iteratorINS9_10device_ptrIdEEEESE_dNS9_4plusIvEEdEEDaPvRmT3_T4_T5_mT6_P12ihipStream_tbENKUlT_T0_E_clISt17integral_constantIbLb0EEST_IbLb1EEEEDaSP_SQ_EUlSP_E0_NS1_11comp_targetILNS1_3genE2ELNS1_11target_archE906ELNS1_3gpuE6ELNS1_3repE0EEENS1_30default_config_static_selectorELNS0_4arch9wavefront6targetE1EEEvT1_,@function
_ZN7rocprim17ROCPRIM_400000_NS6detail17trampoline_kernelINS0_14default_configENS1_20scan_config_selectorIdEEZZNS1_9scan_implILNS1_25lookback_scan_determinismE0ELb1ELb1ES3_N6thrust23THRUST_200600_302600_NS6detail15normal_iteratorINS9_10device_ptrIdEEEESE_dNS9_4plusIvEEdEEDaPvRmT3_T4_T5_mT6_P12ihipStream_tbENKUlT_T0_E_clISt17integral_constantIbLb0EEST_IbLb1EEEEDaSP_SQ_EUlSP_E0_NS1_11comp_targetILNS1_3genE2ELNS1_11target_archE906ELNS1_3gpuE6ELNS1_3repE0EEENS1_30default_config_static_selectorELNS0_4arch9wavefront6targetE1EEEvT1_: ; @_ZN7rocprim17ROCPRIM_400000_NS6detail17trampoline_kernelINS0_14default_configENS1_20scan_config_selectorIdEEZZNS1_9scan_implILNS1_25lookback_scan_determinismE0ELb1ELb1ES3_N6thrust23THRUST_200600_302600_NS6detail15normal_iteratorINS9_10device_ptrIdEEEESE_dNS9_4plusIvEEdEEDaPvRmT3_T4_T5_mT6_P12ihipStream_tbENKUlT_T0_E_clISt17integral_constantIbLb0EEST_IbLb1EEEEDaSP_SQ_EUlSP_E0_NS1_11comp_targetILNS1_3genE2ELNS1_11target_archE906ELNS1_3gpuE6ELNS1_3repE0EEENS1_30default_config_static_selectorELNS0_4arch9wavefront6targetE1EEEvT1_
; %bb.0:
	.section	.rodata,"a",@progbits
	.p2align	6, 0x0
	.amdhsa_kernel _ZN7rocprim17ROCPRIM_400000_NS6detail17trampoline_kernelINS0_14default_configENS1_20scan_config_selectorIdEEZZNS1_9scan_implILNS1_25lookback_scan_determinismE0ELb1ELb1ES3_N6thrust23THRUST_200600_302600_NS6detail15normal_iteratorINS9_10device_ptrIdEEEESE_dNS9_4plusIvEEdEEDaPvRmT3_T4_T5_mT6_P12ihipStream_tbENKUlT_T0_E_clISt17integral_constantIbLb0EEST_IbLb1EEEEDaSP_SQ_EUlSP_E0_NS1_11comp_targetILNS1_3genE2ELNS1_11target_archE906ELNS1_3gpuE6ELNS1_3repE0EEENS1_30default_config_static_selectorELNS0_4arch9wavefront6targetE1EEEvT1_
		.amdhsa_group_segment_fixed_size 0
		.amdhsa_private_segment_fixed_size 0
		.amdhsa_kernarg_size 40
		.amdhsa_user_sgpr_count 6
		.amdhsa_user_sgpr_private_segment_buffer 1
		.amdhsa_user_sgpr_dispatch_ptr 0
		.amdhsa_user_sgpr_queue_ptr 0
		.amdhsa_user_sgpr_kernarg_segment_ptr 1
		.amdhsa_user_sgpr_dispatch_id 0
		.amdhsa_user_sgpr_flat_scratch_init 0
		.amdhsa_user_sgpr_kernarg_preload_length 0
		.amdhsa_user_sgpr_kernarg_preload_offset 0
		.amdhsa_user_sgpr_private_segment_size 0
		.amdhsa_uses_dynamic_stack 0
		.amdhsa_system_sgpr_private_segment_wavefront_offset 0
		.amdhsa_system_sgpr_workgroup_id_x 1
		.amdhsa_system_sgpr_workgroup_id_y 0
		.amdhsa_system_sgpr_workgroup_id_z 0
		.amdhsa_system_sgpr_workgroup_info 0
		.amdhsa_system_vgpr_workitem_id 0
		.amdhsa_next_free_vgpr 1
		.amdhsa_next_free_sgpr 0
		.amdhsa_accum_offset 4
		.amdhsa_reserve_vcc 0
		.amdhsa_reserve_flat_scratch 0
		.amdhsa_float_round_mode_32 0
		.amdhsa_float_round_mode_16_64 0
		.amdhsa_float_denorm_mode_32 3
		.amdhsa_float_denorm_mode_16_64 3
		.amdhsa_dx10_clamp 1
		.amdhsa_ieee_mode 1
		.amdhsa_fp16_overflow 0
		.amdhsa_tg_split 0
		.amdhsa_exception_fp_ieee_invalid_op 0
		.amdhsa_exception_fp_denorm_src 0
		.amdhsa_exception_fp_ieee_div_zero 0
		.amdhsa_exception_fp_ieee_overflow 0
		.amdhsa_exception_fp_ieee_underflow 0
		.amdhsa_exception_fp_ieee_inexact 0
		.amdhsa_exception_int_div_zero 0
	.end_amdhsa_kernel
	.section	.text._ZN7rocprim17ROCPRIM_400000_NS6detail17trampoline_kernelINS0_14default_configENS1_20scan_config_selectorIdEEZZNS1_9scan_implILNS1_25lookback_scan_determinismE0ELb1ELb1ES3_N6thrust23THRUST_200600_302600_NS6detail15normal_iteratorINS9_10device_ptrIdEEEESE_dNS9_4plusIvEEdEEDaPvRmT3_T4_T5_mT6_P12ihipStream_tbENKUlT_T0_E_clISt17integral_constantIbLb0EEST_IbLb1EEEEDaSP_SQ_EUlSP_E0_NS1_11comp_targetILNS1_3genE2ELNS1_11target_archE906ELNS1_3gpuE6ELNS1_3repE0EEENS1_30default_config_static_selectorELNS0_4arch9wavefront6targetE1EEEvT1_,"axG",@progbits,_ZN7rocprim17ROCPRIM_400000_NS6detail17trampoline_kernelINS0_14default_configENS1_20scan_config_selectorIdEEZZNS1_9scan_implILNS1_25lookback_scan_determinismE0ELb1ELb1ES3_N6thrust23THRUST_200600_302600_NS6detail15normal_iteratorINS9_10device_ptrIdEEEESE_dNS9_4plusIvEEdEEDaPvRmT3_T4_T5_mT6_P12ihipStream_tbENKUlT_T0_E_clISt17integral_constantIbLb0EEST_IbLb1EEEEDaSP_SQ_EUlSP_E0_NS1_11comp_targetILNS1_3genE2ELNS1_11target_archE906ELNS1_3gpuE6ELNS1_3repE0EEENS1_30default_config_static_selectorELNS0_4arch9wavefront6targetE1EEEvT1_,comdat
.Lfunc_end4281:
	.size	_ZN7rocprim17ROCPRIM_400000_NS6detail17trampoline_kernelINS0_14default_configENS1_20scan_config_selectorIdEEZZNS1_9scan_implILNS1_25lookback_scan_determinismE0ELb1ELb1ES3_N6thrust23THRUST_200600_302600_NS6detail15normal_iteratorINS9_10device_ptrIdEEEESE_dNS9_4plusIvEEdEEDaPvRmT3_T4_T5_mT6_P12ihipStream_tbENKUlT_T0_E_clISt17integral_constantIbLb0EEST_IbLb1EEEEDaSP_SQ_EUlSP_E0_NS1_11comp_targetILNS1_3genE2ELNS1_11target_archE906ELNS1_3gpuE6ELNS1_3repE0EEENS1_30default_config_static_selectorELNS0_4arch9wavefront6targetE1EEEvT1_, .Lfunc_end4281-_ZN7rocprim17ROCPRIM_400000_NS6detail17trampoline_kernelINS0_14default_configENS1_20scan_config_selectorIdEEZZNS1_9scan_implILNS1_25lookback_scan_determinismE0ELb1ELb1ES3_N6thrust23THRUST_200600_302600_NS6detail15normal_iteratorINS9_10device_ptrIdEEEESE_dNS9_4plusIvEEdEEDaPvRmT3_T4_T5_mT6_P12ihipStream_tbENKUlT_T0_E_clISt17integral_constantIbLb0EEST_IbLb1EEEEDaSP_SQ_EUlSP_E0_NS1_11comp_targetILNS1_3genE2ELNS1_11target_archE906ELNS1_3gpuE6ELNS1_3repE0EEENS1_30default_config_static_selectorELNS0_4arch9wavefront6targetE1EEEvT1_
                                        ; -- End function
	.section	.AMDGPU.csdata,"",@progbits
; Kernel info:
; codeLenInByte = 0
; NumSgprs: 4
; NumVgprs: 0
; NumAgprs: 0
; TotalNumVgprs: 0
; ScratchSize: 0
; MemoryBound: 0
; FloatMode: 240
; IeeeMode: 1
; LDSByteSize: 0 bytes/workgroup (compile time only)
; SGPRBlocks: 0
; VGPRBlocks: 0
; NumSGPRsForWavesPerEU: 4
; NumVGPRsForWavesPerEU: 1
; AccumOffset: 4
; Occupancy: 8
; WaveLimiterHint : 0
; COMPUTE_PGM_RSRC2:SCRATCH_EN: 0
; COMPUTE_PGM_RSRC2:USER_SGPR: 6
; COMPUTE_PGM_RSRC2:TRAP_HANDLER: 0
; COMPUTE_PGM_RSRC2:TGID_X_EN: 1
; COMPUTE_PGM_RSRC2:TGID_Y_EN: 0
; COMPUTE_PGM_RSRC2:TGID_Z_EN: 0
; COMPUTE_PGM_RSRC2:TIDIG_COMP_CNT: 0
; COMPUTE_PGM_RSRC3_GFX90A:ACCUM_OFFSET: 0
; COMPUTE_PGM_RSRC3_GFX90A:TG_SPLIT: 0
	.section	.text._ZN7rocprim17ROCPRIM_400000_NS6detail17trampoline_kernelINS0_14default_configENS1_20scan_config_selectorIdEEZZNS1_9scan_implILNS1_25lookback_scan_determinismE0ELb1ELb1ES3_N6thrust23THRUST_200600_302600_NS6detail15normal_iteratorINS9_10device_ptrIdEEEESE_dNS9_4plusIvEEdEEDaPvRmT3_T4_T5_mT6_P12ihipStream_tbENKUlT_T0_E_clISt17integral_constantIbLb0EEST_IbLb1EEEEDaSP_SQ_EUlSP_E0_NS1_11comp_targetILNS1_3genE10ELNS1_11target_archE1201ELNS1_3gpuE5ELNS1_3repE0EEENS1_30default_config_static_selectorELNS0_4arch9wavefront6targetE1EEEvT1_,"axG",@progbits,_ZN7rocprim17ROCPRIM_400000_NS6detail17trampoline_kernelINS0_14default_configENS1_20scan_config_selectorIdEEZZNS1_9scan_implILNS1_25lookback_scan_determinismE0ELb1ELb1ES3_N6thrust23THRUST_200600_302600_NS6detail15normal_iteratorINS9_10device_ptrIdEEEESE_dNS9_4plusIvEEdEEDaPvRmT3_T4_T5_mT6_P12ihipStream_tbENKUlT_T0_E_clISt17integral_constantIbLb0EEST_IbLb1EEEEDaSP_SQ_EUlSP_E0_NS1_11comp_targetILNS1_3genE10ELNS1_11target_archE1201ELNS1_3gpuE5ELNS1_3repE0EEENS1_30default_config_static_selectorELNS0_4arch9wavefront6targetE1EEEvT1_,comdat
	.protected	_ZN7rocprim17ROCPRIM_400000_NS6detail17trampoline_kernelINS0_14default_configENS1_20scan_config_selectorIdEEZZNS1_9scan_implILNS1_25lookback_scan_determinismE0ELb1ELb1ES3_N6thrust23THRUST_200600_302600_NS6detail15normal_iteratorINS9_10device_ptrIdEEEESE_dNS9_4plusIvEEdEEDaPvRmT3_T4_T5_mT6_P12ihipStream_tbENKUlT_T0_E_clISt17integral_constantIbLb0EEST_IbLb1EEEEDaSP_SQ_EUlSP_E0_NS1_11comp_targetILNS1_3genE10ELNS1_11target_archE1201ELNS1_3gpuE5ELNS1_3repE0EEENS1_30default_config_static_selectorELNS0_4arch9wavefront6targetE1EEEvT1_ ; -- Begin function _ZN7rocprim17ROCPRIM_400000_NS6detail17trampoline_kernelINS0_14default_configENS1_20scan_config_selectorIdEEZZNS1_9scan_implILNS1_25lookback_scan_determinismE0ELb1ELb1ES3_N6thrust23THRUST_200600_302600_NS6detail15normal_iteratorINS9_10device_ptrIdEEEESE_dNS9_4plusIvEEdEEDaPvRmT3_T4_T5_mT6_P12ihipStream_tbENKUlT_T0_E_clISt17integral_constantIbLb0EEST_IbLb1EEEEDaSP_SQ_EUlSP_E0_NS1_11comp_targetILNS1_3genE10ELNS1_11target_archE1201ELNS1_3gpuE5ELNS1_3repE0EEENS1_30default_config_static_selectorELNS0_4arch9wavefront6targetE1EEEvT1_
	.globl	_ZN7rocprim17ROCPRIM_400000_NS6detail17trampoline_kernelINS0_14default_configENS1_20scan_config_selectorIdEEZZNS1_9scan_implILNS1_25lookback_scan_determinismE0ELb1ELb1ES3_N6thrust23THRUST_200600_302600_NS6detail15normal_iteratorINS9_10device_ptrIdEEEESE_dNS9_4plusIvEEdEEDaPvRmT3_T4_T5_mT6_P12ihipStream_tbENKUlT_T0_E_clISt17integral_constantIbLb0EEST_IbLb1EEEEDaSP_SQ_EUlSP_E0_NS1_11comp_targetILNS1_3genE10ELNS1_11target_archE1201ELNS1_3gpuE5ELNS1_3repE0EEENS1_30default_config_static_selectorELNS0_4arch9wavefront6targetE1EEEvT1_
	.p2align	8
	.type	_ZN7rocprim17ROCPRIM_400000_NS6detail17trampoline_kernelINS0_14default_configENS1_20scan_config_selectorIdEEZZNS1_9scan_implILNS1_25lookback_scan_determinismE0ELb1ELb1ES3_N6thrust23THRUST_200600_302600_NS6detail15normal_iteratorINS9_10device_ptrIdEEEESE_dNS9_4plusIvEEdEEDaPvRmT3_T4_T5_mT6_P12ihipStream_tbENKUlT_T0_E_clISt17integral_constantIbLb0EEST_IbLb1EEEEDaSP_SQ_EUlSP_E0_NS1_11comp_targetILNS1_3genE10ELNS1_11target_archE1201ELNS1_3gpuE5ELNS1_3repE0EEENS1_30default_config_static_selectorELNS0_4arch9wavefront6targetE1EEEvT1_,@function
_ZN7rocprim17ROCPRIM_400000_NS6detail17trampoline_kernelINS0_14default_configENS1_20scan_config_selectorIdEEZZNS1_9scan_implILNS1_25lookback_scan_determinismE0ELb1ELb1ES3_N6thrust23THRUST_200600_302600_NS6detail15normal_iteratorINS9_10device_ptrIdEEEESE_dNS9_4plusIvEEdEEDaPvRmT3_T4_T5_mT6_P12ihipStream_tbENKUlT_T0_E_clISt17integral_constantIbLb0EEST_IbLb1EEEEDaSP_SQ_EUlSP_E0_NS1_11comp_targetILNS1_3genE10ELNS1_11target_archE1201ELNS1_3gpuE5ELNS1_3repE0EEENS1_30default_config_static_selectorELNS0_4arch9wavefront6targetE1EEEvT1_: ; @_ZN7rocprim17ROCPRIM_400000_NS6detail17trampoline_kernelINS0_14default_configENS1_20scan_config_selectorIdEEZZNS1_9scan_implILNS1_25lookback_scan_determinismE0ELb1ELb1ES3_N6thrust23THRUST_200600_302600_NS6detail15normal_iteratorINS9_10device_ptrIdEEEESE_dNS9_4plusIvEEdEEDaPvRmT3_T4_T5_mT6_P12ihipStream_tbENKUlT_T0_E_clISt17integral_constantIbLb0EEST_IbLb1EEEEDaSP_SQ_EUlSP_E0_NS1_11comp_targetILNS1_3genE10ELNS1_11target_archE1201ELNS1_3gpuE5ELNS1_3repE0EEENS1_30default_config_static_selectorELNS0_4arch9wavefront6targetE1EEEvT1_
; %bb.0:
	.section	.rodata,"a",@progbits
	.p2align	6, 0x0
	.amdhsa_kernel _ZN7rocprim17ROCPRIM_400000_NS6detail17trampoline_kernelINS0_14default_configENS1_20scan_config_selectorIdEEZZNS1_9scan_implILNS1_25lookback_scan_determinismE0ELb1ELb1ES3_N6thrust23THRUST_200600_302600_NS6detail15normal_iteratorINS9_10device_ptrIdEEEESE_dNS9_4plusIvEEdEEDaPvRmT3_T4_T5_mT6_P12ihipStream_tbENKUlT_T0_E_clISt17integral_constantIbLb0EEST_IbLb1EEEEDaSP_SQ_EUlSP_E0_NS1_11comp_targetILNS1_3genE10ELNS1_11target_archE1201ELNS1_3gpuE5ELNS1_3repE0EEENS1_30default_config_static_selectorELNS0_4arch9wavefront6targetE1EEEvT1_
		.amdhsa_group_segment_fixed_size 0
		.amdhsa_private_segment_fixed_size 0
		.amdhsa_kernarg_size 40
		.amdhsa_user_sgpr_count 6
		.amdhsa_user_sgpr_private_segment_buffer 1
		.amdhsa_user_sgpr_dispatch_ptr 0
		.amdhsa_user_sgpr_queue_ptr 0
		.amdhsa_user_sgpr_kernarg_segment_ptr 1
		.amdhsa_user_sgpr_dispatch_id 0
		.amdhsa_user_sgpr_flat_scratch_init 0
		.amdhsa_user_sgpr_kernarg_preload_length 0
		.amdhsa_user_sgpr_kernarg_preload_offset 0
		.amdhsa_user_sgpr_private_segment_size 0
		.amdhsa_uses_dynamic_stack 0
		.amdhsa_system_sgpr_private_segment_wavefront_offset 0
		.amdhsa_system_sgpr_workgroup_id_x 1
		.amdhsa_system_sgpr_workgroup_id_y 0
		.amdhsa_system_sgpr_workgroup_id_z 0
		.amdhsa_system_sgpr_workgroup_info 0
		.amdhsa_system_vgpr_workitem_id 0
		.amdhsa_next_free_vgpr 1
		.amdhsa_next_free_sgpr 0
		.amdhsa_accum_offset 4
		.amdhsa_reserve_vcc 0
		.amdhsa_reserve_flat_scratch 0
		.amdhsa_float_round_mode_32 0
		.amdhsa_float_round_mode_16_64 0
		.amdhsa_float_denorm_mode_32 3
		.amdhsa_float_denorm_mode_16_64 3
		.amdhsa_dx10_clamp 1
		.amdhsa_ieee_mode 1
		.amdhsa_fp16_overflow 0
		.amdhsa_tg_split 0
		.amdhsa_exception_fp_ieee_invalid_op 0
		.amdhsa_exception_fp_denorm_src 0
		.amdhsa_exception_fp_ieee_div_zero 0
		.amdhsa_exception_fp_ieee_overflow 0
		.amdhsa_exception_fp_ieee_underflow 0
		.amdhsa_exception_fp_ieee_inexact 0
		.amdhsa_exception_int_div_zero 0
	.end_amdhsa_kernel
	.section	.text._ZN7rocprim17ROCPRIM_400000_NS6detail17trampoline_kernelINS0_14default_configENS1_20scan_config_selectorIdEEZZNS1_9scan_implILNS1_25lookback_scan_determinismE0ELb1ELb1ES3_N6thrust23THRUST_200600_302600_NS6detail15normal_iteratorINS9_10device_ptrIdEEEESE_dNS9_4plusIvEEdEEDaPvRmT3_T4_T5_mT6_P12ihipStream_tbENKUlT_T0_E_clISt17integral_constantIbLb0EEST_IbLb1EEEEDaSP_SQ_EUlSP_E0_NS1_11comp_targetILNS1_3genE10ELNS1_11target_archE1201ELNS1_3gpuE5ELNS1_3repE0EEENS1_30default_config_static_selectorELNS0_4arch9wavefront6targetE1EEEvT1_,"axG",@progbits,_ZN7rocprim17ROCPRIM_400000_NS6detail17trampoline_kernelINS0_14default_configENS1_20scan_config_selectorIdEEZZNS1_9scan_implILNS1_25lookback_scan_determinismE0ELb1ELb1ES3_N6thrust23THRUST_200600_302600_NS6detail15normal_iteratorINS9_10device_ptrIdEEEESE_dNS9_4plusIvEEdEEDaPvRmT3_T4_T5_mT6_P12ihipStream_tbENKUlT_T0_E_clISt17integral_constantIbLb0EEST_IbLb1EEEEDaSP_SQ_EUlSP_E0_NS1_11comp_targetILNS1_3genE10ELNS1_11target_archE1201ELNS1_3gpuE5ELNS1_3repE0EEENS1_30default_config_static_selectorELNS0_4arch9wavefront6targetE1EEEvT1_,comdat
.Lfunc_end4282:
	.size	_ZN7rocprim17ROCPRIM_400000_NS6detail17trampoline_kernelINS0_14default_configENS1_20scan_config_selectorIdEEZZNS1_9scan_implILNS1_25lookback_scan_determinismE0ELb1ELb1ES3_N6thrust23THRUST_200600_302600_NS6detail15normal_iteratorINS9_10device_ptrIdEEEESE_dNS9_4plusIvEEdEEDaPvRmT3_T4_T5_mT6_P12ihipStream_tbENKUlT_T0_E_clISt17integral_constantIbLb0EEST_IbLb1EEEEDaSP_SQ_EUlSP_E0_NS1_11comp_targetILNS1_3genE10ELNS1_11target_archE1201ELNS1_3gpuE5ELNS1_3repE0EEENS1_30default_config_static_selectorELNS0_4arch9wavefront6targetE1EEEvT1_, .Lfunc_end4282-_ZN7rocprim17ROCPRIM_400000_NS6detail17trampoline_kernelINS0_14default_configENS1_20scan_config_selectorIdEEZZNS1_9scan_implILNS1_25lookback_scan_determinismE0ELb1ELb1ES3_N6thrust23THRUST_200600_302600_NS6detail15normal_iteratorINS9_10device_ptrIdEEEESE_dNS9_4plusIvEEdEEDaPvRmT3_T4_T5_mT6_P12ihipStream_tbENKUlT_T0_E_clISt17integral_constantIbLb0EEST_IbLb1EEEEDaSP_SQ_EUlSP_E0_NS1_11comp_targetILNS1_3genE10ELNS1_11target_archE1201ELNS1_3gpuE5ELNS1_3repE0EEENS1_30default_config_static_selectorELNS0_4arch9wavefront6targetE1EEEvT1_
                                        ; -- End function
	.section	.AMDGPU.csdata,"",@progbits
; Kernel info:
; codeLenInByte = 0
; NumSgprs: 4
; NumVgprs: 0
; NumAgprs: 0
; TotalNumVgprs: 0
; ScratchSize: 0
; MemoryBound: 0
; FloatMode: 240
; IeeeMode: 1
; LDSByteSize: 0 bytes/workgroup (compile time only)
; SGPRBlocks: 0
; VGPRBlocks: 0
; NumSGPRsForWavesPerEU: 4
; NumVGPRsForWavesPerEU: 1
; AccumOffset: 4
; Occupancy: 8
; WaveLimiterHint : 0
; COMPUTE_PGM_RSRC2:SCRATCH_EN: 0
; COMPUTE_PGM_RSRC2:USER_SGPR: 6
; COMPUTE_PGM_RSRC2:TRAP_HANDLER: 0
; COMPUTE_PGM_RSRC2:TGID_X_EN: 1
; COMPUTE_PGM_RSRC2:TGID_Y_EN: 0
; COMPUTE_PGM_RSRC2:TGID_Z_EN: 0
; COMPUTE_PGM_RSRC2:TIDIG_COMP_CNT: 0
; COMPUTE_PGM_RSRC3_GFX90A:ACCUM_OFFSET: 0
; COMPUTE_PGM_RSRC3_GFX90A:TG_SPLIT: 0
	.section	.text._ZN7rocprim17ROCPRIM_400000_NS6detail17trampoline_kernelINS0_14default_configENS1_20scan_config_selectorIdEEZZNS1_9scan_implILNS1_25lookback_scan_determinismE0ELb1ELb1ES3_N6thrust23THRUST_200600_302600_NS6detail15normal_iteratorINS9_10device_ptrIdEEEESE_dNS9_4plusIvEEdEEDaPvRmT3_T4_T5_mT6_P12ihipStream_tbENKUlT_T0_E_clISt17integral_constantIbLb0EEST_IbLb1EEEEDaSP_SQ_EUlSP_E0_NS1_11comp_targetILNS1_3genE10ELNS1_11target_archE1200ELNS1_3gpuE4ELNS1_3repE0EEENS1_30default_config_static_selectorELNS0_4arch9wavefront6targetE1EEEvT1_,"axG",@progbits,_ZN7rocprim17ROCPRIM_400000_NS6detail17trampoline_kernelINS0_14default_configENS1_20scan_config_selectorIdEEZZNS1_9scan_implILNS1_25lookback_scan_determinismE0ELb1ELb1ES3_N6thrust23THRUST_200600_302600_NS6detail15normal_iteratorINS9_10device_ptrIdEEEESE_dNS9_4plusIvEEdEEDaPvRmT3_T4_T5_mT6_P12ihipStream_tbENKUlT_T0_E_clISt17integral_constantIbLb0EEST_IbLb1EEEEDaSP_SQ_EUlSP_E0_NS1_11comp_targetILNS1_3genE10ELNS1_11target_archE1200ELNS1_3gpuE4ELNS1_3repE0EEENS1_30default_config_static_selectorELNS0_4arch9wavefront6targetE1EEEvT1_,comdat
	.protected	_ZN7rocprim17ROCPRIM_400000_NS6detail17trampoline_kernelINS0_14default_configENS1_20scan_config_selectorIdEEZZNS1_9scan_implILNS1_25lookback_scan_determinismE0ELb1ELb1ES3_N6thrust23THRUST_200600_302600_NS6detail15normal_iteratorINS9_10device_ptrIdEEEESE_dNS9_4plusIvEEdEEDaPvRmT3_T4_T5_mT6_P12ihipStream_tbENKUlT_T0_E_clISt17integral_constantIbLb0EEST_IbLb1EEEEDaSP_SQ_EUlSP_E0_NS1_11comp_targetILNS1_3genE10ELNS1_11target_archE1200ELNS1_3gpuE4ELNS1_3repE0EEENS1_30default_config_static_selectorELNS0_4arch9wavefront6targetE1EEEvT1_ ; -- Begin function _ZN7rocprim17ROCPRIM_400000_NS6detail17trampoline_kernelINS0_14default_configENS1_20scan_config_selectorIdEEZZNS1_9scan_implILNS1_25lookback_scan_determinismE0ELb1ELb1ES3_N6thrust23THRUST_200600_302600_NS6detail15normal_iteratorINS9_10device_ptrIdEEEESE_dNS9_4plusIvEEdEEDaPvRmT3_T4_T5_mT6_P12ihipStream_tbENKUlT_T0_E_clISt17integral_constantIbLb0EEST_IbLb1EEEEDaSP_SQ_EUlSP_E0_NS1_11comp_targetILNS1_3genE10ELNS1_11target_archE1200ELNS1_3gpuE4ELNS1_3repE0EEENS1_30default_config_static_selectorELNS0_4arch9wavefront6targetE1EEEvT1_
	.globl	_ZN7rocprim17ROCPRIM_400000_NS6detail17trampoline_kernelINS0_14default_configENS1_20scan_config_selectorIdEEZZNS1_9scan_implILNS1_25lookback_scan_determinismE0ELb1ELb1ES3_N6thrust23THRUST_200600_302600_NS6detail15normal_iteratorINS9_10device_ptrIdEEEESE_dNS9_4plusIvEEdEEDaPvRmT3_T4_T5_mT6_P12ihipStream_tbENKUlT_T0_E_clISt17integral_constantIbLb0EEST_IbLb1EEEEDaSP_SQ_EUlSP_E0_NS1_11comp_targetILNS1_3genE10ELNS1_11target_archE1200ELNS1_3gpuE4ELNS1_3repE0EEENS1_30default_config_static_selectorELNS0_4arch9wavefront6targetE1EEEvT1_
	.p2align	8
	.type	_ZN7rocprim17ROCPRIM_400000_NS6detail17trampoline_kernelINS0_14default_configENS1_20scan_config_selectorIdEEZZNS1_9scan_implILNS1_25lookback_scan_determinismE0ELb1ELb1ES3_N6thrust23THRUST_200600_302600_NS6detail15normal_iteratorINS9_10device_ptrIdEEEESE_dNS9_4plusIvEEdEEDaPvRmT3_T4_T5_mT6_P12ihipStream_tbENKUlT_T0_E_clISt17integral_constantIbLb0EEST_IbLb1EEEEDaSP_SQ_EUlSP_E0_NS1_11comp_targetILNS1_3genE10ELNS1_11target_archE1200ELNS1_3gpuE4ELNS1_3repE0EEENS1_30default_config_static_selectorELNS0_4arch9wavefront6targetE1EEEvT1_,@function
_ZN7rocprim17ROCPRIM_400000_NS6detail17trampoline_kernelINS0_14default_configENS1_20scan_config_selectorIdEEZZNS1_9scan_implILNS1_25lookback_scan_determinismE0ELb1ELb1ES3_N6thrust23THRUST_200600_302600_NS6detail15normal_iteratorINS9_10device_ptrIdEEEESE_dNS9_4plusIvEEdEEDaPvRmT3_T4_T5_mT6_P12ihipStream_tbENKUlT_T0_E_clISt17integral_constantIbLb0EEST_IbLb1EEEEDaSP_SQ_EUlSP_E0_NS1_11comp_targetILNS1_3genE10ELNS1_11target_archE1200ELNS1_3gpuE4ELNS1_3repE0EEENS1_30default_config_static_selectorELNS0_4arch9wavefront6targetE1EEEvT1_: ; @_ZN7rocprim17ROCPRIM_400000_NS6detail17trampoline_kernelINS0_14default_configENS1_20scan_config_selectorIdEEZZNS1_9scan_implILNS1_25lookback_scan_determinismE0ELb1ELb1ES3_N6thrust23THRUST_200600_302600_NS6detail15normal_iteratorINS9_10device_ptrIdEEEESE_dNS9_4plusIvEEdEEDaPvRmT3_T4_T5_mT6_P12ihipStream_tbENKUlT_T0_E_clISt17integral_constantIbLb0EEST_IbLb1EEEEDaSP_SQ_EUlSP_E0_NS1_11comp_targetILNS1_3genE10ELNS1_11target_archE1200ELNS1_3gpuE4ELNS1_3repE0EEENS1_30default_config_static_selectorELNS0_4arch9wavefront6targetE1EEEvT1_
; %bb.0:
	.section	.rodata,"a",@progbits
	.p2align	6, 0x0
	.amdhsa_kernel _ZN7rocprim17ROCPRIM_400000_NS6detail17trampoline_kernelINS0_14default_configENS1_20scan_config_selectorIdEEZZNS1_9scan_implILNS1_25lookback_scan_determinismE0ELb1ELb1ES3_N6thrust23THRUST_200600_302600_NS6detail15normal_iteratorINS9_10device_ptrIdEEEESE_dNS9_4plusIvEEdEEDaPvRmT3_T4_T5_mT6_P12ihipStream_tbENKUlT_T0_E_clISt17integral_constantIbLb0EEST_IbLb1EEEEDaSP_SQ_EUlSP_E0_NS1_11comp_targetILNS1_3genE10ELNS1_11target_archE1200ELNS1_3gpuE4ELNS1_3repE0EEENS1_30default_config_static_selectorELNS0_4arch9wavefront6targetE1EEEvT1_
		.amdhsa_group_segment_fixed_size 0
		.amdhsa_private_segment_fixed_size 0
		.amdhsa_kernarg_size 40
		.amdhsa_user_sgpr_count 6
		.amdhsa_user_sgpr_private_segment_buffer 1
		.amdhsa_user_sgpr_dispatch_ptr 0
		.amdhsa_user_sgpr_queue_ptr 0
		.amdhsa_user_sgpr_kernarg_segment_ptr 1
		.amdhsa_user_sgpr_dispatch_id 0
		.amdhsa_user_sgpr_flat_scratch_init 0
		.amdhsa_user_sgpr_kernarg_preload_length 0
		.amdhsa_user_sgpr_kernarg_preload_offset 0
		.amdhsa_user_sgpr_private_segment_size 0
		.amdhsa_uses_dynamic_stack 0
		.amdhsa_system_sgpr_private_segment_wavefront_offset 0
		.amdhsa_system_sgpr_workgroup_id_x 1
		.amdhsa_system_sgpr_workgroup_id_y 0
		.amdhsa_system_sgpr_workgroup_id_z 0
		.amdhsa_system_sgpr_workgroup_info 0
		.amdhsa_system_vgpr_workitem_id 0
		.amdhsa_next_free_vgpr 1
		.amdhsa_next_free_sgpr 0
		.amdhsa_accum_offset 4
		.amdhsa_reserve_vcc 0
		.amdhsa_reserve_flat_scratch 0
		.amdhsa_float_round_mode_32 0
		.amdhsa_float_round_mode_16_64 0
		.amdhsa_float_denorm_mode_32 3
		.amdhsa_float_denorm_mode_16_64 3
		.amdhsa_dx10_clamp 1
		.amdhsa_ieee_mode 1
		.amdhsa_fp16_overflow 0
		.amdhsa_tg_split 0
		.amdhsa_exception_fp_ieee_invalid_op 0
		.amdhsa_exception_fp_denorm_src 0
		.amdhsa_exception_fp_ieee_div_zero 0
		.amdhsa_exception_fp_ieee_overflow 0
		.amdhsa_exception_fp_ieee_underflow 0
		.amdhsa_exception_fp_ieee_inexact 0
		.amdhsa_exception_int_div_zero 0
	.end_amdhsa_kernel
	.section	.text._ZN7rocprim17ROCPRIM_400000_NS6detail17trampoline_kernelINS0_14default_configENS1_20scan_config_selectorIdEEZZNS1_9scan_implILNS1_25lookback_scan_determinismE0ELb1ELb1ES3_N6thrust23THRUST_200600_302600_NS6detail15normal_iteratorINS9_10device_ptrIdEEEESE_dNS9_4plusIvEEdEEDaPvRmT3_T4_T5_mT6_P12ihipStream_tbENKUlT_T0_E_clISt17integral_constantIbLb0EEST_IbLb1EEEEDaSP_SQ_EUlSP_E0_NS1_11comp_targetILNS1_3genE10ELNS1_11target_archE1200ELNS1_3gpuE4ELNS1_3repE0EEENS1_30default_config_static_selectorELNS0_4arch9wavefront6targetE1EEEvT1_,"axG",@progbits,_ZN7rocprim17ROCPRIM_400000_NS6detail17trampoline_kernelINS0_14default_configENS1_20scan_config_selectorIdEEZZNS1_9scan_implILNS1_25lookback_scan_determinismE0ELb1ELb1ES3_N6thrust23THRUST_200600_302600_NS6detail15normal_iteratorINS9_10device_ptrIdEEEESE_dNS9_4plusIvEEdEEDaPvRmT3_T4_T5_mT6_P12ihipStream_tbENKUlT_T0_E_clISt17integral_constantIbLb0EEST_IbLb1EEEEDaSP_SQ_EUlSP_E0_NS1_11comp_targetILNS1_3genE10ELNS1_11target_archE1200ELNS1_3gpuE4ELNS1_3repE0EEENS1_30default_config_static_selectorELNS0_4arch9wavefront6targetE1EEEvT1_,comdat
.Lfunc_end4283:
	.size	_ZN7rocprim17ROCPRIM_400000_NS6detail17trampoline_kernelINS0_14default_configENS1_20scan_config_selectorIdEEZZNS1_9scan_implILNS1_25lookback_scan_determinismE0ELb1ELb1ES3_N6thrust23THRUST_200600_302600_NS6detail15normal_iteratorINS9_10device_ptrIdEEEESE_dNS9_4plusIvEEdEEDaPvRmT3_T4_T5_mT6_P12ihipStream_tbENKUlT_T0_E_clISt17integral_constantIbLb0EEST_IbLb1EEEEDaSP_SQ_EUlSP_E0_NS1_11comp_targetILNS1_3genE10ELNS1_11target_archE1200ELNS1_3gpuE4ELNS1_3repE0EEENS1_30default_config_static_selectorELNS0_4arch9wavefront6targetE1EEEvT1_, .Lfunc_end4283-_ZN7rocprim17ROCPRIM_400000_NS6detail17trampoline_kernelINS0_14default_configENS1_20scan_config_selectorIdEEZZNS1_9scan_implILNS1_25lookback_scan_determinismE0ELb1ELb1ES3_N6thrust23THRUST_200600_302600_NS6detail15normal_iteratorINS9_10device_ptrIdEEEESE_dNS9_4plusIvEEdEEDaPvRmT3_T4_T5_mT6_P12ihipStream_tbENKUlT_T0_E_clISt17integral_constantIbLb0EEST_IbLb1EEEEDaSP_SQ_EUlSP_E0_NS1_11comp_targetILNS1_3genE10ELNS1_11target_archE1200ELNS1_3gpuE4ELNS1_3repE0EEENS1_30default_config_static_selectorELNS0_4arch9wavefront6targetE1EEEvT1_
                                        ; -- End function
	.section	.AMDGPU.csdata,"",@progbits
; Kernel info:
; codeLenInByte = 0
; NumSgprs: 4
; NumVgprs: 0
; NumAgprs: 0
; TotalNumVgprs: 0
; ScratchSize: 0
; MemoryBound: 0
; FloatMode: 240
; IeeeMode: 1
; LDSByteSize: 0 bytes/workgroup (compile time only)
; SGPRBlocks: 0
; VGPRBlocks: 0
; NumSGPRsForWavesPerEU: 4
; NumVGPRsForWavesPerEU: 1
; AccumOffset: 4
; Occupancy: 8
; WaveLimiterHint : 0
; COMPUTE_PGM_RSRC2:SCRATCH_EN: 0
; COMPUTE_PGM_RSRC2:USER_SGPR: 6
; COMPUTE_PGM_RSRC2:TRAP_HANDLER: 0
; COMPUTE_PGM_RSRC2:TGID_X_EN: 1
; COMPUTE_PGM_RSRC2:TGID_Y_EN: 0
; COMPUTE_PGM_RSRC2:TGID_Z_EN: 0
; COMPUTE_PGM_RSRC2:TIDIG_COMP_CNT: 0
; COMPUTE_PGM_RSRC3_GFX90A:ACCUM_OFFSET: 0
; COMPUTE_PGM_RSRC3_GFX90A:TG_SPLIT: 0
	.section	.text._ZN7rocprim17ROCPRIM_400000_NS6detail17trampoline_kernelINS0_14default_configENS1_20scan_config_selectorIdEEZZNS1_9scan_implILNS1_25lookback_scan_determinismE0ELb1ELb1ES3_N6thrust23THRUST_200600_302600_NS6detail15normal_iteratorINS9_10device_ptrIdEEEESE_dNS9_4plusIvEEdEEDaPvRmT3_T4_T5_mT6_P12ihipStream_tbENKUlT_T0_E_clISt17integral_constantIbLb0EEST_IbLb1EEEEDaSP_SQ_EUlSP_E0_NS1_11comp_targetILNS1_3genE9ELNS1_11target_archE1100ELNS1_3gpuE3ELNS1_3repE0EEENS1_30default_config_static_selectorELNS0_4arch9wavefront6targetE1EEEvT1_,"axG",@progbits,_ZN7rocprim17ROCPRIM_400000_NS6detail17trampoline_kernelINS0_14default_configENS1_20scan_config_selectorIdEEZZNS1_9scan_implILNS1_25lookback_scan_determinismE0ELb1ELb1ES3_N6thrust23THRUST_200600_302600_NS6detail15normal_iteratorINS9_10device_ptrIdEEEESE_dNS9_4plusIvEEdEEDaPvRmT3_T4_T5_mT6_P12ihipStream_tbENKUlT_T0_E_clISt17integral_constantIbLb0EEST_IbLb1EEEEDaSP_SQ_EUlSP_E0_NS1_11comp_targetILNS1_3genE9ELNS1_11target_archE1100ELNS1_3gpuE3ELNS1_3repE0EEENS1_30default_config_static_selectorELNS0_4arch9wavefront6targetE1EEEvT1_,comdat
	.protected	_ZN7rocprim17ROCPRIM_400000_NS6detail17trampoline_kernelINS0_14default_configENS1_20scan_config_selectorIdEEZZNS1_9scan_implILNS1_25lookback_scan_determinismE0ELb1ELb1ES3_N6thrust23THRUST_200600_302600_NS6detail15normal_iteratorINS9_10device_ptrIdEEEESE_dNS9_4plusIvEEdEEDaPvRmT3_T4_T5_mT6_P12ihipStream_tbENKUlT_T0_E_clISt17integral_constantIbLb0EEST_IbLb1EEEEDaSP_SQ_EUlSP_E0_NS1_11comp_targetILNS1_3genE9ELNS1_11target_archE1100ELNS1_3gpuE3ELNS1_3repE0EEENS1_30default_config_static_selectorELNS0_4arch9wavefront6targetE1EEEvT1_ ; -- Begin function _ZN7rocprim17ROCPRIM_400000_NS6detail17trampoline_kernelINS0_14default_configENS1_20scan_config_selectorIdEEZZNS1_9scan_implILNS1_25lookback_scan_determinismE0ELb1ELb1ES3_N6thrust23THRUST_200600_302600_NS6detail15normal_iteratorINS9_10device_ptrIdEEEESE_dNS9_4plusIvEEdEEDaPvRmT3_T4_T5_mT6_P12ihipStream_tbENKUlT_T0_E_clISt17integral_constantIbLb0EEST_IbLb1EEEEDaSP_SQ_EUlSP_E0_NS1_11comp_targetILNS1_3genE9ELNS1_11target_archE1100ELNS1_3gpuE3ELNS1_3repE0EEENS1_30default_config_static_selectorELNS0_4arch9wavefront6targetE1EEEvT1_
	.globl	_ZN7rocprim17ROCPRIM_400000_NS6detail17trampoline_kernelINS0_14default_configENS1_20scan_config_selectorIdEEZZNS1_9scan_implILNS1_25lookback_scan_determinismE0ELb1ELb1ES3_N6thrust23THRUST_200600_302600_NS6detail15normal_iteratorINS9_10device_ptrIdEEEESE_dNS9_4plusIvEEdEEDaPvRmT3_T4_T5_mT6_P12ihipStream_tbENKUlT_T0_E_clISt17integral_constantIbLb0EEST_IbLb1EEEEDaSP_SQ_EUlSP_E0_NS1_11comp_targetILNS1_3genE9ELNS1_11target_archE1100ELNS1_3gpuE3ELNS1_3repE0EEENS1_30default_config_static_selectorELNS0_4arch9wavefront6targetE1EEEvT1_
	.p2align	8
	.type	_ZN7rocprim17ROCPRIM_400000_NS6detail17trampoline_kernelINS0_14default_configENS1_20scan_config_selectorIdEEZZNS1_9scan_implILNS1_25lookback_scan_determinismE0ELb1ELb1ES3_N6thrust23THRUST_200600_302600_NS6detail15normal_iteratorINS9_10device_ptrIdEEEESE_dNS9_4plusIvEEdEEDaPvRmT3_T4_T5_mT6_P12ihipStream_tbENKUlT_T0_E_clISt17integral_constantIbLb0EEST_IbLb1EEEEDaSP_SQ_EUlSP_E0_NS1_11comp_targetILNS1_3genE9ELNS1_11target_archE1100ELNS1_3gpuE3ELNS1_3repE0EEENS1_30default_config_static_selectorELNS0_4arch9wavefront6targetE1EEEvT1_,@function
_ZN7rocprim17ROCPRIM_400000_NS6detail17trampoline_kernelINS0_14default_configENS1_20scan_config_selectorIdEEZZNS1_9scan_implILNS1_25lookback_scan_determinismE0ELb1ELb1ES3_N6thrust23THRUST_200600_302600_NS6detail15normal_iteratorINS9_10device_ptrIdEEEESE_dNS9_4plusIvEEdEEDaPvRmT3_T4_T5_mT6_P12ihipStream_tbENKUlT_T0_E_clISt17integral_constantIbLb0EEST_IbLb1EEEEDaSP_SQ_EUlSP_E0_NS1_11comp_targetILNS1_3genE9ELNS1_11target_archE1100ELNS1_3gpuE3ELNS1_3repE0EEENS1_30default_config_static_selectorELNS0_4arch9wavefront6targetE1EEEvT1_: ; @_ZN7rocprim17ROCPRIM_400000_NS6detail17trampoline_kernelINS0_14default_configENS1_20scan_config_selectorIdEEZZNS1_9scan_implILNS1_25lookback_scan_determinismE0ELb1ELb1ES3_N6thrust23THRUST_200600_302600_NS6detail15normal_iteratorINS9_10device_ptrIdEEEESE_dNS9_4plusIvEEdEEDaPvRmT3_T4_T5_mT6_P12ihipStream_tbENKUlT_T0_E_clISt17integral_constantIbLb0EEST_IbLb1EEEEDaSP_SQ_EUlSP_E0_NS1_11comp_targetILNS1_3genE9ELNS1_11target_archE1100ELNS1_3gpuE3ELNS1_3repE0EEENS1_30default_config_static_selectorELNS0_4arch9wavefront6targetE1EEEvT1_
; %bb.0:
	.section	.rodata,"a",@progbits
	.p2align	6, 0x0
	.amdhsa_kernel _ZN7rocprim17ROCPRIM_400000_NS6detail17trampoline_kernelINS0_14default_configENS1_20scan_config_selectorIdEEZZNS1_9scan_implILNS1_25lookback_scan_determinismE0ELb1ELb1ES3_N6thrust23THRUST_200600_302600_NS6detail15normal_iteratorINS9_10device_ptrIdEEEESE_dNS9_4plusIvEEdEEDaPvRmT3_T4_T5_mT6_P12ihipStream_tbENKUlT_T0_E_clISt17integral_constantIbLb0EEST_IbLb1EEEEDaSP_SQ_EUlSP_E0_NS1_11comp_targetILNS1_3genE9ELNS1_11target_archE1100ELNS1_3gpuE3ELNS1_3repE0EEENS1_30default_config_static_selectorELNS0_4arch9wavefront6targetE1EEEvT1_
		.amdhsa_group_segment_fixed_size 0
		.amdhsa_private_segment_fixed_size 0
		.amdhsa_kernarg_size 40
		.amdhsa_user_sgpr_count 6
		.amdhsa_user_sgpr_private_segment_buffer 1
		.amdhsa_user_sgpr_dispatch_ptr 0
		.amdhsa_user_sgpr_queue_ptr 0
		.amdhsa_user_sgpr_kernarg_segment_ptr 1
		.amdhsa_user_sgpr_dispatch_id 0
		.amdhsa_user_sgpr_flat_scratch_init 0
		.amdhsa_user_sgpr_kernarg_preload_length 0
		.amdhsa_user_sgpr_kernarg_preload_offset 0
		.amdhsa_user_sgpr_private_segment_size 0
		.amdhsa_uses_dynamic_stack 0
		.amdhsa_system_sgpr_private_segment_wavefront_offset 0
		.amdhsa_system_sgpr_workgroup_id_x 1
		.amdhsa_system_sgpr_workgroup_id_y 0
		.amdhsa_system_sgpr_workgroup_id_z 0
		.amdhsa_system_sgpr_workgroup_info 0
		.amdhsa_system_vgpr_workitem_id 0
		.amdhsa_next_free_vgpr 1
		.amdhsa_next_free_sgpr 0
		.amdhsa_accum_offset 4
		.amdhsa_reserve_vcc 0
		.amdhsa_reserve_flat_scratch 0
		.amdhsa_float_round_mode_32 0
		.amdhsa_float_round_mode_16_64 0
		.amdhsa_float_denorm_mode_32 3
		.amdhsa_float_denorm_mode_16_64 3
		.amdhsa_dx10_clamp 1
		.amdhsa_ieee_mode 1
		.amdhsa_fp16_overflow 0
		.amdhsa_tg_split 0
		.amdhsa_exception_fp_ieee_invalid_op 0
		.amdhsa_exception_fp_denorm_src 0
		.amdhsa_exception_fp_ieee_div_zero 0
		.amdhsa_exception_fp_ieee_overflow 0
		.amdhsa_exception_fp_ieee_underflow 0
		.amdhsa_exception_fp_ieee_inexact 0
		.amdhsa_exception_int_div_zero 0
	.end_amdhsa_kernel
	.section	.text._ZN7rocprim17ROCPRIM_400000_NS6detail17trampoline_kernelINS0_14default_configENS1_20scan_config_selectorIdEEZZNS1_9scan_implILNS1_25lookback_scan_determinismE0ELb1ELb1ES3_N6thrust23THRUST_200600_302600_NS6detail15normal_iteratorINS9_10device_ptrIdEEEESE_dNS9_4plusIvEEdEEDaPvRmT3_T4_T5_mT6_P12ihipStream_tbENKUlT_T0_E_clISt17integral_constantIbLb0EEST_IbLb1EEEEDaSP_SQ_EUlSP_E0_NS1_11comp_targetILNS1_3genE9ELNS1_11target_archE1100ELNS1_3gpuE3ELNS1_3repE0EEENS1_30default_config_static_selectorELNS0_4arch9wavefront6targetE1EEEvT1_,"axG",@progbits,_ZN7rocprim17ROCPRIM_400000_NS6detail17trampoline_kernelINS0_14default_configENS1_20scan_config_selectorIdEEZZNS1_9scan_implILNS1_25lookback_scan_determinismE0ELb1ELb1ES3_N6thrust23THRUST_200600_302600_NS6detail15normal_iteratorINS9_10device_ptrIdEEEESE_dNS9_4plusIvEEdEEDaPvRmT3_T4_T5_mT6_P12ihipStream_tbENKUlT_T0_E_clISt17integral_constantIbLb0EEST_IbLb1EEEEDaSP_SQ_EUlSP_E0_NS1_11comp_targetILNS1_3genE9ELNS1_11target_archE1100ELNS1_3gpuE3ELNS1_3repE0EEENS1_30default_config_static_selectorELNS0_4arch9wavefront6targetE1EEEvT1_,comdat
.Lfunc_end4284:
	.size	_ZN7rocprim17ROCPRIM_400000_NS6detail17trampoline_kernelINS0_14default_configENS1_20scan_config_selectorIdEEZZNS1_9scan_implILNS1_25lookback_scan_determinismE0ELb1ELb1ES3_N6thrust23THRUST_200600_302600_NS6detail15normal_iteratorINS9_10device_ptrIdEEEESE_dNS9_4plusIvEEdEEDaPvRmT3_T4_T5_mT6_P12ihipStream_tbENKUlT_T0_E_clISt17integral_constantIbLb0EEST_IbLb1EEEEDaSP_SQ_EUlSP_E0_NS1_11comp_targetILNS1_3genE9ELNS1_11target_archE1100ELNS1_3gpuE3ELNS1_3repE0EEENS1_30default_config_static_selectorELNS0_4arch9wavefront6targetE1EEEvT1_, .Lfunc_end4284-_ZN7rocprim17ROCPRIM_400000_NS6detail17trampoline_kernelINS0_14default_configENS1_20scan_config_selectorIdEEZZNS1_9scan_implILNS1_25lookback_scan_determinismE0ELb1ELb1ES3_N6thrust23THRUST_200600_302600_NS6detail15normal_iteratorINS9_10device_ptrIdEEEESE_dNS9_4plusIvEEdEEDaPvRmT3_T4_T5_mT6_P12ihipStream_tbENKUlT_T0_E_clISt17integral_constantIbLb0EEST_IbLb1EEEEDaSP_SQ_EUlSP_E0_NS1_11comp_targetILNS1_3genE9ELNS1_11target_archE1100ELNS1_3gpuE3ELNS1_3repE0EEENS1_30default_config_static_selectorELNS0_4arch9wavefront6targetE1EEEvT1_
                                        ; -- End function
	.section	.AMDGPU.csdata,"",@progbits
; Kernel info:
; codeLenInByte = 0
; NumSgprs: 4
; NumVgprs: 0
; NumAgprs: 0
; TotalNumVgprs: 0
; ScratchSize: 0
; MemoryBound: 0
; FloatMode: 240
; IeeeMode: 1
; LDSByteSize: 0 bytes/workgroup (compile time only)
; SGPRBlocks: 0
; VGPRBlocks: 0
; NumSGPRsForWavesPerEU: 4
; NumVGPRsForWavesPerEU: 1
; AccumOffset: 4
; Occupancy: 8
; WaveLimiterHint : 0
; COMPUTE_PGM_RSRC2:SCRATCH_EN: 0
; COMPUTE_PGM_RSRC2:USER_SGPR: 6
; COMPUTE_PGM_RSRC2:TRAP_HANDLER: 0
; COMPUTE_PGM_RSRC2:TGID_X_EN: 1
; COMPUTE_PGM_RSRC2:TGID_Y_EN: 0
; COMPUTE_PGM_RSRC2:TGID_Z_EN: 0
; COMPUTE_PGM_RSRC2:TIDIG_COMP_CNT: 0
; COMPUTE_PGM_RSRC3_GFX90A:ACCUM_OFFSET: 0
; COMPUTE_PGM_RSRC3_GFX90A:TG_SPLIT: 0
	.section	.text._ZN7rocprim17ROCPRIM_400000_NS6detail17trampoline_kernelINS0_14default_configENS1_20scan_config_selectorIdEEZZNS1_9scan_implILNS1_25lookback_scan_determinismE0ELb1ELb1ES3_N6thrust23THRUST_200600_302600_NS6detail15normal_iteratorINS9_10device_ptrIdEEEESE_dNS9_4plusIvEEdEEDaPvRmT3_T4_T5_mT6_P12ihipStream_tbENKUlT_T0_E_clISt17integral_constantIbLb0EEST_IbLb1EEEEDaSP_SQ_EUlSP_E0_NS1_11comp_targetILNS1_3genE8ELNS1_11target_archE1030ELNS1_3gpuE2ELNS1_3repE0EEENS1_30default_config_static_selectorELNS0_4arch9wavefront6targetE1EEEvT1_,"axG",@progbits,_ZN7rocprim17ROCPRIM_400000_NS6detail17trampoline_kernelINS0_14default_configENS1_20scan_config_selectorIdEEZZNS1_9scan_implILNS1_25lookback_scan_determinismE0ELb1ELb1ES3_N6thrust23THRUST_200600_302600_NS6detail15normal_iteratorINS9_10device_ptrIdEEEESE_dNS9_4plusIvEEdEEDaPvRmT3_T4_T5_mT6_P12ihipStream_tbENKUlT_T0_E_clISt17integral_constantIbLb0EEST_IbLb1EEEEDaSP_SQ_EUlSP_E0_NS1_11comp_targetILNS1_3genE8ELNS1_11target_archE1030ELNS1_3gpuE2ELNS1_3repE0EEENS1_30default_config_static_selectorELNS0_4arch9wavefront6targetE1EEEvT1_,comdat
	.protected	_ZN7rocprim17ROCPRIM_400000_NS6detail17trampoline_kernelINS0_14default_configENS1_20scan_config_selectorIdEEZZNS1_9scan_implILNS1_25lookback_scan_determinismE0ELb1ELb1ES3_N6thrust23THRUST_200600_302600_NS6detail15normal_iteratorINS9_10device_ptrIdEEEESE_dNS9_4plusIvEEdEEDaPvRmT3_T4_T5_mT6_P12ihipStream_tbENKUlT_T0_E_clISt17integral_constantIbLb0EEST_IbLb1EEEEDaSP_SQ_EUlSP_E0_NS1_11comp_targetILNS1_3genE8ELNS1_11target_archE1030ELNS1_3gpuE2ELNS1_3repE0EEENS1_30default_config_static_selectorELNS0_4arch9wavefront6targetE1EEEvT1_ ; -- Begin function _ZN7rocprim17ROCPRIM_400000_NS6detail17trampoline_kernelINS0_14default_configENS1_20scan_config_selectorIdEEZZNS1_9scan_implILNS1_25lookback_scan_determinismE0ELb1ELb1ES3_N6thrust23THRUST_200600_302600_NS6detail15normal_iteratorINS9_10device_ptrIdEEEESE_dNS9_4plusIvEEdEEDaPvRmT3_T4_T5_mT6_P12ihipStream_tbENKUlT_T0_E_clISt17integral_constantIbLb0EEST_IbLb1EEEEDaSP_SQ_EUlSP_E0_NS1_11comp_targetILNS1_3genE8ELNS1_11target_archE1030ELNS1_3gpuE2ELNS1_3repE0EEENS1_30default_config_static_selectorELNS0_4arch9wavefront6targetE1EEEvT1_
	.globl	_ZN7rocprim17ROCPRIM_400000_NS6detail17trampoline_kernelINS0_14default_configENS1_20scan_config_selectorIdEEZZNS1_9scan_implILNS1_25lookback_scan_determinismE0ELb1ELb1ES3_N6thrust23THRUST_200600_302600_NS6detail15normal_iteratorINS9_10device_ptrIdEEEESE_dNS9_4plusIvEEdEEDaPvRmT3_T4_T5_mT6_P12ihipStream_tbENKUlT_T0_E_clISt17integral_constantIbLb0EEST_IbLb1EEEEDaSP_SQ_EUlSP_E0_NS1_11comp_targetILNS1_3genE8ELNS1_11target_archE1030ELNS1_3gpuE2ELNS1_3repE0EEENS1_30default_config_static_selectorELNS0_4arch9wavefront6targetE1EEEvT1_
	.p2align	8
	.type	_ZN7rocprim17ROCPRIM_400000_NS6detail17trampoline_kernelINS0_14default_configENS1_20scan_config_selectorIdEEZZNS1_9scan_implILNS1_25lookback_scan_determinismE0ELb1ELb1ES3_N6thrust23THRUST_200600_302600_NS6detail15normal_iteratorINS9_10device_ptrIdEEEESE_dNS9_4plusIvEEdEEDaPvRmT3_T4_T5_mT6_P12ihipStream_tbENKUlT_T0_E_clISt17integral_constantIbLb0EEST_IbLb1EEEEDaSP_SQ_EUlSP_E0_NS1_11comp_targetILNS1_3genE8ELNS1_11target_archE1030ELNS1_3gpuE2ELNS1_3repE0EEENS1_30default_config_static_selectorELNS0_4arch9wavefront6targetE1EEEvT1_,@function
_ZN7rocprim17ROCPRIM_400000_NS6detail17trampoline_kernelINS0_14default_configENS1_20scan_config_selectorIdEEZZNS1_9scan_implILNS1_25lookback_scan_determinismE0ELb1ELb1ES3_N6thrust23THRUST_200600_302600_NS6detail15normal_iteratorINS9_10device_ptrIdEEEESE_dNS9_4plusIvEEdEEDaPvRmT3_T4_T5_mT6_P12ihipStream_tbENKUlT_T0_E_clISt17integral_constantIbLb0EEST_IbLb1EEEEDaSP_SQ_EUlSP_E0_NS1_11comp_targetILNS1_3genE8ELNS1_11target_archE1030ELNS1_3gpuE2ELNS1_3repE0EEENS1_30default_config_static_selectorELNS0_4arch9wavefront6targetE1EEEvT1_: ; @_ZN7rocprim17ROCPRIM_400000_NS6detail17trampoline_kernelINS0_14default_configENS1_20scan_config_selectorIdEEZZNS1_9scan_implILNS1_25lookback_scan_determinismE0ELb1ELb1ES3_N6thrust23THRUST_200600_302600_NS6detail15normal_iteratorINS9_10device_ptrIdEEEESE_dNS9_4plusIvEEdEEDaPvRmT3_T4_T5_mT6_P12ihipStream_tbENKUlT_T0_E_clISt17integral_constantIbLb0EEST_IbLb1EEEEDaSP_SQ_EUlSP_E0_NS1_11comp_targetILNS1_3genE8ELNS1_11target_archE1030ELNS1_3gpuE2ELNS1_3repE0EEENS1_30default_config_static_selectorELNS0_4arch9wavefront6targetE1EEEvT1_
; %bb.0:
	.section	.rodata,"a",@progbits
	.p2align	6, 0x0
	.amdhsa_kernel _ZN7rocprim17ROCPRIM_400000_NS6detail17trampoline_kernelINS0_14default_configENS1_20scan_config_selectorIdEEZZNS1_9scan_implILNS1_25lookback_scan_determinismE0ELb1ELb1ES3_N6thrust23THRUST_200600_302600_NS6detail15normal_iteratorINS9_10device_ptrIdEEEESE_dNS9_4plusIvEEdEEDaPvRmT3_T4_T5_mT6_P12ihipStream_tbENKUlT_T0_E_clISt17integral_constantIbLb0EEST_IbLb1EEEEDaSP_SQ_EUlSP_E0_NS1_11comp_targetILNS1_3genE8ELNS1_11target_archE1030ELNS1_3gpuE2ELNS1_3repE0EEENS1_30default_config_static_selectorELNS0_4arch9wavefront6targetE1EEEvT1_
		.amdhsa_group_segment_fixed_size 0
		.amdhsa_private_segment_fixed_size 0
		.amdhsa_kernarg_size 40
		.amdhsa_user_sgpr_count 6
		.amdhsa_user_sgpr_private_segment_buffer 1
		.amdhsa_user_sgpr_dispatch_ptr 0
		.amdhsa_user_sgpr_queue_ptr 0
		.amdhsa_user_sgpr_kernarg_segment_ptr 1
		.amdhsa_user_sgpr_dispatch_id 0
		.amdhsa_user_sgpr_flat_scratch_init 0
		.amdhsa_user_sgpr_kernarg_preload_length 0
		.amdhsa_user_sgpr_kernarg_preload_offset 0
		.amdhsa_user_sgpr_private_segment_size 0
		.amdhsa_uses_dynamic_stack 0
		.amdhsa_system_sgpr_private_segment_wavefront_offset 0
		.amdhsa_system_sgpr_workgroup_id_x 1
		.amdhsa_system_sgpr_workgroup_id_y 0
		.amdhsa_system_sgpr_workgroup_id_z 0
		.amdhsa_system_sgpr_workgroup_info 0
		.amdhsa_system_vgpr_workitem_id 0
		.amdhsa_next_free_vgpr 1
		.amdhsa_next_free_sgpr 0
		.amdhsa_accum_offset 4
		.amdhsa_reserve_vcc 0
		.amdhsa_reserve_flat_scratch 0
		.amdhsa_float_round_mode_32 0
		.amdhsa_float_round_mode_16_64 0
		.amdhsa_float_denorm_mode_32 3
		.amdhsa_float_denorm_mode_16_64 3
		.amdhsa_dx10_clamp 1
		.amdhsa_ieee_mode 1
		.amdhsa_fp16_overflow 0
		.amdhsa_tg_split 0
		.amdhsa_exception_fp_ieee_invalid_op 0
		.amdhsa_exception_fp_denorm_src 0
		.amdhsa_exception_fp_ieee_div_zero 0
		.amdhsa_exception_fp_ieee_overflow 0
		.amdhsa_exception_fp_ieee_underflow 0
		.amdhsa_exception_fp_ieee_inexact 0
		.amdhsa_exception_int_div_zero 0
	.end_amdhsa_kernel
	.section	.text._ZN7rocprim17ROCPRIM_400000_NS6detail17trampoline_kernelINS0_14default_configENS1_20scan_config_selectorIdEEZZNS1_9scan_implILNS1_25lookback_scan_determinismE0ELb1ELb1ES3_N6thrust23THRUST_200600_302600_NS6detail15normal_iteratorINS9_10device_ptrIdEEEESE_dNS9_4plusIvEEdEEDaPvRmT3_T4_T5_mT6_P12ihipStream_tbENKUlT_T0_E_clISt17integral_constantIbLb0EEST_IbLb1EEEEDaSP_SQ_EUlSP_E0_NS1_11comp_targetILNS1_3genE8ELNS1_11target_archE1030ELNS1_3gpuE2ELNS1_3repE0EEENS1_30default_config_static_selectorELNS0_4arch9wavefront6targetE1EEEvT1_,"axG",@progbits,_ZN7rocprim17ROCPRIM_400000_NS6detail17trampoline_kernelINS0_14default_configENS1_20scan_config_selectorIdEEZZNS1_9scan_implILNS1_25lookback_scan_determinismE0ELb1ELb1ES3_N6thrust23THRUST_200600_302600_NS6detail15normal_iteratorINS9_10device_ptrIdEEEESE_dNS9_4plusIvEEdEEDaPvRmT3_T4_T5_mT6_P12ihipStream_tbENKUlT_T0_E_clISt17integral_constantIbLb0EEST_IbLb1EEEEDaSP_SQ_EUlSP_E0_NS1_11comp_targetILNS1_3genE8ELNS1_11target_archE1030ELNS1_3gpuE2ELNS1_3repE0EEENS1_30default_config_static_selectorELNS0_4arch9wavefront6targetE1EEEvT1_,comdat
.Lfunc_end4285:
	.size	_ZN7rocprim17ROCPRIM_400000_NS6detail17trampoline_kernelINS0_14default_configENS1_20scan_config_selectorIdEEZZNS1_9scan_implILNS1_25lookback_scan_determinismE0ELb1ELb1ES3_N6thrust23THRUST_200600_302600_NS6detail15normal_iteratorINS9_10device_ptrIdEEEESE_dNS9_4plusIvEEdEEDaPvRmT3_T4_T5_mT6_P12ihipStream_tbENKUlT_T0_E_clISt17integral_constantIbLb0EEST_IbLb1EEEEDaSP_SQ_EUlSP_E0_NS1_11comp_targetILNS1_3genE8ELNS1_11target_archE1030ELNS1_3gpuE2ELNS1_3repE0EEENS1_30default_config_static_selectorELNS0_4arch9wavefront6targetE1EEEvT1_, .Lfunc_end4285-_ZN7rocprim17ROCPRIM_400000_NS6detail17trampoline_kernelINS0_14default_configENS1_20scan_config_selectorIdEEZZNS1_9scan_implILNS1_25lookback_scan_determinismE0ELb1ELb1ES3_N6thrust23THRUST_200600_302600_NS6detail15normal_iteratorINS9_10device_ptrIdEEEESE_dNS9_4plusIvEEdEEDaPvRmT3_T4_T5_mT6_P12ihipStream_tbENKUlT_T0_E_clISt17integral_constantIbLb0EEST_IbLb1EEEEDaSP_SQ_EUlSP_E0_NS1_11comp_targetILNS1_3genE8ELNS1_11target_archE1030ELNS1_3gpuE2ELNS1_3repE0EEENS1_30default_config_static_selectorELNS0_4arch9wavefront6targetE1EEEvT1_
                                        ; -- End function
	.section	.AMDGPU.csdata,"",@progbits
; Kernel info:
; codeLenInByte = 0
; NumSgprs: 4
; NumVgprs: 0
; NumAgprs: 0
; TotalNumVgprs: 0
; ScratchSize: 0
; MemoryBound: 0
; FloatMode: 240
; IeeeMode: 1
; LDSByteSize: 0 bytes/workgroup (compile time only)
; SGPRBlocks: 0
; VGPRBlocks: 0
; NumSGPRsForWavesPerEU: 4
; NumVGPRsForWavesPerEU: 1
; AccumOffset: 4
; Occupancy: 8
; WaveLimiterHint : 0
; COMPUTE_PGM_RSRC2:SCRATCH_EN: 0
; COMPUTE_PGM_RSRC2:USER_SGPR: 6
; COMPUTE_PGM_RSRC2:TRAP_HANDLER: 0
; COMPUTE_PGM_RSRC2:TGID_X_EN: 1
; COMPUTE_PGM_RSRC2:TGID_Y_EN: 0
; COMPUTE_PGM_RSRC2:TGID_Z_EN: 0
; COMPUTE_PGM_RSRC2:TIDIG_COMP_CNT: 0
; COMPUTE_PGM_RSRC3_GFX90A:ACCUM_OFFSET: 0
; COMPUTE_PGM_RSRC3_GFX90A:TG_SPLIT: 0
	.section	.text._ZN7rocprim17ROCPRIM_400000_NS6detail17trampoline_kernelINS0_14default_configENS1_20scan_config_selectorIfEEZZNS1_9scan_implILNS1_25lookback_scan_determinismE0ELb0ELb0ES3_N6thrust23THRUST_200600_302600_NS6detail15normal_iteratorINS9_10device_ptrIfEEEESE_fNS9_4plusIvEEfEEDaPvRmT3_T4_T5_mT6_P12ihipStream_tbENKUlT_T0_E_clISt17integral_constantIbLb0EESU_EEDaSP_SQ_EUlSP_E_NS1_11comp_targetILNS1_3genE0ELNS1_11target_archE4294967295ELNS1_3gpuE0ELNS1_3repE0EEENS1_30default_config_static_selectorELNS0_4arch9wavefront6targetE1EEEvT1_,"axG",@progbits,_ZN7rocprim17ROCPRIM_400000_NS6detail17trampoline_kernelINS0_14default_configENS1_20scan_config_selectorIfEEZZNS1_9scan_implILNS1_25lookback_scan_determinismE0ELb0ELb0ES3_N6thrust23THRUST_200600_302600_NS6detail15normal_iteratorINS9_10device_ptrIfEEEESE_fNS9_4plusIvEEfEEDaPvRmT3_T4_T5_mT6_P12ihipStream_tbENKUlT_T0_E_clISt17integral_constantIbLb0EESU_EEDaSP_SQ_EUlSP_E_NS1_11comp_targetILNS1_3genE0ELNS1_11target_archE4294967295ELNS1_3gpuE0ELNS1_3repE0EEENS1_30default_config_static_selectorELNS0_4arch9wavefront6targetE1EEEvT1_,comdat
	.protected	_ZN7rocprim17ROCPRIM_400000_NS6detail17trampoline_kernelINS0_14default_configENS1_20scan_config_selectorIfEEZZNS1_9scan_implILNS1_25lookback_scan_determinismE0ELb0ELb0ES3_N6thrust23THRUST_200600_302600_NS6detail15normal_iteratorINS9_10device_ptrIfEEEESE_fNS9_4plusIvEEfEEDaPvRmT3_T4_T5_mT6_P12ihipStream_tbENKUlT_T0_E_clISt17integral_constantIbLb0EESU_EEDaSP_SQ_EUlSP_E_NS1_11comp_targetILNS1_3genE0ELNS1_11target_archE4294967295ELNS1_3gpuE0ELNS1_3repE0EEENS1_30default_config_static_selectorELNS0_4arch9wavefront6targetE1EEEvT1_ ; -- Begin function _ZN7rocprim17ROCPRIM_400000_NS6detail17trampoline_kernelINS0_14default_configENS1_20scan_config_selectorIfEEZZNS1_9scan_implILNS1_25lookback_scan_determinismE0ELb0ELb0ES3_N6thrust23THRUST_200600_302600_NS6detail15normal_iteratorINS9_10device_ptrIfEEEESE_fNS9_4plusIvEEfEEDaPvRmT3_T4_T5_mT6_P12ihipStream_tbENKUlT_T0_E_clISt17integral_constantIbLb0EESU_EEDaSP_SQ_EUlSP_E_NS1_11comp_targetILNS1_3genE0ELNS1_11target_archE4294967295ELNS1_3gpuE0ELNS1_3repE0EEENS1_30default_config_static_selectorELNS0_4arch9wavefront6targetE1EEEvT1_
	.globl	_ZN7rocprim17ROCPRIM_400000_NS6detail17trampoline_kernelINS0_14default_configENS1_20scan_config_selectorIfEEZZNS1_9scan_implILNS1_25lookback_scan_determinismE0ELb0ELb0ES3_N6thrust23THRUST_200600_302600_NS6detail15normal_iteratorINS9_10device_ptrIfEEEESE_fNS9_4plusIvEEfEEDaPvRmT3_T4_T5_mT6_P12ihipStream_tbENKUlT_T0_E_clISt17integral_constantIbLb0EESU_EEDaSP_SQ_EUlSP_E_NS1_11comp_targetILNS1_3genE0ELNS1_11target_archE4294967295ELNS1_3gpuE0ELNS1_3repE0EEENS1_30default_config_static_selectorELNS0_4arch9wavefront6targetE1EEEvT1_
	.p2align	8
	.type	_ZN7rocprim17ROCPRIM_400000_NS6detail17trampoline_kernelINS0_14default_configENS1_20scan_config_selectorIfEEZZNS1_9scan_implILNS1_25lookback_scan_determinismE0ELb0ELb0ES3_N6thrust23THRUST_200600_302600_NS6detail15normal_iteratorINS9_10device_ptrIfEEEESE_fNS9_4plusIvEEfEEDaPvRmT3_T4_T5_mT6_P12ihipStream_tbENKUlT_T0_E_clISt17integral_constantIbLb0EESU_EEDaSP_SQ_EUlSP_E_NS1_11comp_targetILNS1_3genE0ELNS1_11target_archE4294967295ELNS1_3gpuE0ELNS1_3repE0EEENS1_30default_config_static_selectorELNS0_4arch9wavefront6targetE1EEEvT1_,@function
_ZN7rocprim17ROCPRIM_400000_NS6detail17trampoline_kernelINS0_14default_configENS1_20scan_config_selectorIfEEZZNS1_9scan_implILNS1_25lookback_scan_determinismE0ELb0ELb0ES3_N6thrust23THRUST_200600_302600_NS6detail15normal_iteratorINS9_10device_ptrIfEEEESE_fNS9_4plusIvEEfEEDaPvRmT3_T4_T5_mT6_P12ihipStream_tbENKUlT_T0_E_clISt17integral_constantIbLb0EESU_EEDaSP_SQ_EUlSP_E_NS1_11comp_targetILNS1_3genE0ELNS1_11target_archE4294967295ELNS1_3gpuE0ELNS1_3repE0EEENS1_30default_config_static_selectorELNS0_4arch9wavefront6targetE1EEEvT1_: ; @_ZN7rocprim17ROCPRIM_400000_NS6detail17trampoline_kernelINS0_14default_configENS1_20scan_config_selectorIfEEZZNS1_9scan_implILNS1_25lookback_scan_determinismE0ELb0ELb0ES3_N6thrust23THRUST_200600_302600_NS6detail15normal_iteratorINS9_10device_ptrIfEEEESE_fNS9_4plusIvEEfEEDaPvRmT3_T4_T5_mT6_P12ihipStream_tbENKUlT_T0_E_clISt17integral_constantIbLb0EESU_EEDaSP_SQ_EUlSP_E_NS1_11comp_targetILNS1_3genE0ELNS1_11target_archE4294967295ELNS1_3gpuE0ELNS1_3repE0EEENS1_30default_config_static_selectorELNS0_4arch9wavefront6targetE1EEEvT1_
; %bb.0:
	.section	.rodata,"a",@progbits
	.p2align	6, 0x0
	.amdhsa_kernel _ZN7rocprim17ROCPRIM_400000_NS6detail17trampoline_kernelINS0_14default_configENS1_20scan_config_selectorIfEEZZNS1_9scan_implILNS1_25lookback_scan_determinismE0ELb0ELb0ES3_N6thrust23THRUST_200600_302600_NS6detail15normal_iteratorINS9_10device_ptrIfEEEESE_fNS9_4plusIvEEfEEDaPvRmT3_T4_T5_mT6_P12ihipStream_tbENKUlT_T0_E_clISt17integral_constantIbLb0EESU_EEDaSP_SQ_EUlSP_E_NS1_11comp_targetILNS1_3genE0ELNS1_11target_archE4294967295ELNS1_3gpuE0ELNS1_3repE0EEENS1_30default_config_static_selectorELNS0_4arch9wavefront6targetE1EEEvT1_
		.amdhsa_group_segment_fixed_size 0
		.amdhsa_private_segment_fixed_size 0
		.amdhsa_kernarg_size 96
		.amdhsa_user_sgpr_count 6
		.amdhsa_user_sgpr_private_segment_buffer 1
		.amdhsa_user_sgpr_dispatch_ptr 0
		.amdhsa_user_sgpr_queue_ptr 0
		.amdhsa_user_sgpr_kernarg_segment_ptr 1
		.amdhsa_user_sgpr_dispatch_id 0
		.amdhsa_user_sgpr_flat_scratch_init 0
		.amdhsa_user_sgpr_kernarg_preload_length 0
		.amdhsa_user_sgpr_kernarg_preload_offset 0
		.amdhsa_user_sgpr_private_segment_size 0
		.amdhsa_uses_dynamic_stack 0
		.amdhsa_system_sgpr_private_segment_wavefront_offset 0
		.amdhsa_system_sgpr_workgroup_id_x 1
		.amdhsa_system_sgpr_workgroup_id_y 0
		.amdhsa_system_sgpr_workgroup_id_z 0
		.amdhsa_system_sgpr_workgroup_info 0
		.amdhsa_system_vgpr_workitem_id 0
		.amdhsa_next_free_vgpr 1
		.amdhsa_next_free_sgpr 0
		.amdhsa_accum_offset 4
		.amdhsa_reserve_vcc 0
		.amdhsa_reserve_flat_scratch 0
		.amdhsa_float_round_mode_32 0
		.amdhsa_float_round_mode_16_64 0
		.amdhsa_float_denorm_mode_32 3
		.amdhsa_float_denorm_mode_16_64 3
		.amdhsa_dx10_clamp 1
		.amdhsa_ieee_mode 1
		.amdhsa_fp16_overflow 0
		.amdhsa_tg_split 0
		.amdhsa_exception_fp_ieee_invalid_op 0
		.amdhsa_exception_fp_denorm_src 0
		.amdhsa_exception_fp_ieee_div_zero 0
		.amdhsa_exception_fp_ieee_overflow 0
		.amdhsa_exception_fp_ieee_underflow 0
		.amdhsa_exception_fp_ieee_inexact 0
		.amdhsa_exception_int_div_zero 0
	.end_amdhsa_kernel
	.section	.text._ZN7rocprim17ROCPRIM_400000_NS6detail17trampoline_kernelINS0_14default_configENS1_20scan_config_selectorIfEEZZNS1_9scan_implILNS1_25lookback_scan_determinismE0ELb0ELb0ES3_N6thrust23THRUST_200600_302600_NS6detail15normal_iteratorINS9_10device_ptrIfEEEESE_fNS9_4plusIvEEfEEDaPvRmT3_T4_T5_mT6_P12ihipStream_tbENKUlT_T0_E_clISt17integral_constantIbLb0EESU_EEDaSP_SQ_EUlSP_E_NS1_11comp_targetILNS1_3genE0ELNS1_11target_archE4294967295ELNS1_3gpuE0ELNS1_3repE0EEENS1_30default_config_static_selectorELNS0_4arch9wavefront6targetE1EEEvT1_,"axG",@progbits,_ZN7rocprim17ROCPRIM_400000_NS6detail17trampoline_kernelINS0_14default_configENS1_20scan_config_selectorIfEEZZNS1_9scan_implILNS1_25lookback_scan_determinismE0ELb0ELb0ES3_N6thrust23THRUST_200600_302600_NS6detail15normal_iteratorINS9_10device_ptrIfEEEESE_fNS9_4plusIvEEfEEDaPvRmT3_T4_T5_mT6_P12ihipStream_tbENKUlT_T0_E_clISt17integral_constantIbLb0EESU_EEDaSP_SQ_EUlSP_E_NS1_11comp_targetILNS1_3genE0ELNS1_11target_archE4294967295ELNS1_3gpuE0ELNS1_3repE0EEENS1_30default_config_static_selectorELNS0_4arch9wavefront6targetE1EEEvT1_,comdat
.Lfunc_end4286:
	.size	_ZN7rocprim17ROCPRIM_400000_NS6detail17trampoline_kernelINS0_14default_configENS1_20scan_config_selectorIfEEZZNS1_9scan_implILNS1_25lookback_scan_determinismE0ELb0ELb0ES3_N6thrust23THRUST_200600_302600_NS6detail15normal_iteratorINS9_10device_ptrIfEEEESE_fNS9_4plusIvEEfEEDaPvRmT3_T4_T5_mT6_P12ihipStream_tbENKUlT_T0_E_clISt17integral_constantIbLb0EESU_EEDaSP_SQ_EUlSP_E_NS1_11comp_targetILNS1_3genE0ELNS1_11target_archE4294967295ELNS1_3gpuE0ELNS1_3repE0EEENS1_30default_config_static_selectorELNS0_4arch9wavefront6targetE1EEEvT1_, .Lfunc_end4286-_ZN7rocprim17ROCPRIM_400000_NS6detail17trampoline_kernelINS0_14default_configENS1_20scan_config_selectorIfEEZZNS1_9scan_implILNS1_25lookback_scan_determinismE0ELb0ELb0ES3_N6thrust23THRUST_200600_302600_NS6detail15normal_iteratorINS9_10device_ptrIfEEEESE_fNS9_4plusIvEEfEEDaPvRmT3_T4_T5_mT6_P12ihipStream_tbENKUlT_T0_E_clISt17integral_constantIbLb0EESU_EEDaSP_SQ_EUlSP_E_NS1_11comp_targetILNS1_3genE0ELNS1_11target_archE4294967295ELNS1_3gpuE0ELNS1_3repE0EEENS1_30default_config_static_selectorELNS0_4arch9wavefront6targetE1EEEvT1_
                                        ; -- End function
	.section	.AMDGPU.csdata,"",@progbits
; Kernel info:
; codeLenInByte = 0
; NumSgprs: 4
; NumVgprs: 0
; NumAgprs: 0
; TotalNumVgprs: 0
; ScratchSize: 0
; MemoryBound: 0
; FloatMode: 240
; IeeeMode: 1
; LDSByteSize: 0 bytes/workgroup (compile time only)
; SGPRBlocks: 0
; VGPRBlocks: 0
; NumSGPRsForWavesPerEU: 4
; NumVGPRsForWavesPerEU: 1
; AccumOffset: 4
; Occupancy: 8
; WaveLimiterHint : 0
; COMPUTE_PGM_RSRC2:SCRATCH_EN: 0
; COMPUTE_PGM_RSRC2:USER_SGPR: 6
; COMPUTE_PGM_RSRC2:TRAP_HANDLER: 0
; COMPUTE_PGM_RSRC2:TGID_X_EN: 1
; COMPUTE_PGM_RSRC2:TGID_Y_EN: 0
; COMPUTE_PGM_RSRC2:TGID_Z_EN: 0
; COMPUTE_PGM_RSRC2:TIDIG_COMP_CNT: 0
; COMPUTE_PGM_RSRC3_GFX90A:ACCUM_OFFSET: 0
; COMPUTE_PGM_RSRC3_GFX90A:TG_SPLIT: 0
	.section	.text._ZN7rocprim17ROCPRIM_400000_NS6detail17trampoline_kernelINS0_14default_configENS1_20scan_config_selectorIfEEZZNS1_9scan_implILNS1_25lookback_scan_determinismE0ELb0ELb0ES3_N6thrust23THRUST_200600_302600_NS6detail15normal_iteratorINS9_10device_ptrIfEEEESE_fNS9_4plusIvEEfEEDaPvRmT3_T4_T5_mT6_P12ihipStream_tbENKUlT_T0_E_clISt17integral_constantIbLb0EESU_EEDaSP_SQ_EUlSP_E_NS1_11comp_targetILNS1_3genE5ELNS1_11target_archE942ELNS1_3gpuE9ELNS1_3repE0EEENS1_30default_config_static_selectorELNS0_4arch9wavefront6targetE1EEEvT1_,"axG",@progbits,_ZN7rocprim17ROCPRIM_400000_NS6detail17trampoline_kernelINS0_14default_configENS1_20scan_config_selectorIfEEZZNS1_9scan_implILNS1_25lookback_scan_determinismE0ELb0ELb0ES3_N6thrust23THRUST_200600_302600_NS6detail15normal_iteratorINS9_10device_ptrIfEEEESE_fNS9_4plusIvEEfEEDaPvRmT3_T4_T5_mT6_P12ihipStream_tbENKUlT_T0_E_clISt17integral_constantIbLb0EESU_EEDaSP_SQ_EUlSP_E_NS1_11comp_targetILNS1_3genE5ELNS1_11target_archE942ELNS1_3gpuE9ELNS1_3repE0EEENS1_30default_config_static_selectorELNS0_4arch9wavefront6targetE1EEEvT1_,comdat
	.protected	_ZN7rocprim17ROCPRIM_400000_NS6detail17trampoline_kernelINS0_14default_configENS1_20scan_config_selectorIfEEZZNS1_9scan_implILNS1_25lookback_scan_determinismE0ELb0ELb0ES3_N6thrust23THRUST_200600_302600_NS6detail15normal_iteratorINS9_10device_ptrIfEEEESE_fNS9_4plusIvEEfEEDaPvRmT3_T4_T5_mT6_P12ihipStream_tbENKUlT_T0_E_clISt17integral_constantIbLb0EESU_EEDaSP_SQ_EUlSP_E_NS1_11comp_targetILNS1_3genE5ELNS1_11target_archE942ELNS1_3gpuE9ELNS1_3repE0EEENS1_30default_config_static_selectorELNS0_4arch9wavefront6targetE1EEEvT1_ ; -- Begin function _ZN7rocprim17ROCPRIM_400000_NS6detail17trampoline_kernelINS0_14default_configENS1_20scan_config_selectorIfEEZZNS1_9scan_implILNS1_25lookback_scan_determinismE0ELb0ELb0ES3_N6thrust23THRUST_200600_302600_NS6detail15normal_iteratorINS9_10device_ptrIfEEEESE_fNS9_4plusIvEEfEEDaPvRmT3_T4_T5_mT6_P12ihipStream_tbENKUlT_T0_E_clISt17integral_constantIbLb0EESU_EEDaSP_SQ_EUlSP_E_NS1_11comp_targetILNS1_3genE5ELNS1_11target_archE942ELNS1_3gpuE9ELNS1_3repE0EEENS1_30default_config_static_selectorELNS0_4arch9wavefront6targetE1EEEvT1_
	.globl	_ZN7rocprim17ROCPRIM_400000_NS6detail17trampoline_kernelINS0_14default_configENS1_20scan_config_selectorIfEEZZNS1_9scan_implILNS1_25lookback_scan_determinismE0ELb0ELb0ES3_N6thrust23THRUST_200600_302600_NS6detail15normal_iteratorINS9_10device_ptrIfEEEESE_fNS9_4plusIvEEfEEDaPvRmT3_T4_T5_mT6_P12ihipStream_tbENKUlT_T0_E_clISt17integral_constantIbLb0EESU_EEDaSP_SQ_EUlSP_E_NS1_11comp_targetILNS1_3genE5ELNS1_11target_archE942ELNS1_3gpuE9ELNS1_3repE0EEENS1_30default_config_static_selectorELNS0_4arch9wavefront6targetE1EEEvT1_
	.p2align	8
	.type	_ZN7rocprim17ROCPRIM_400000_NS6detail17trampoline_kernelINS0_14default_configENS1_20scan_config_selectorIfEEZZNS1_9scan_implILNS1_25lookback_scan_determinismE0ELb0ELb0ES3_N6thrust23THRUST_200600_302600_NS6detail15normal_iteratorINS9_10device_ptrIfEEEESE_fNS9_4plusIvEEfEEDaPvRmT3_T4_T5_mT6_P12ihipStream_tbENKUlT_T0_E_clISt17integral_constantIbLb0EESU_EEDaSP_SQ_EUlSP_E_NS1_11comp_targetILNS1_3genE5ELNS1_11target_archE942ELNS1_3gpuE9ELNS1_3repE0EEENS1_30default_config_static_selectorELNS0_4arch9wavefront6targetE1EEEvT1_,@function
_ZN7rocprim17ROCPRIM_400000_NS6detail17trampoline_kernelINS0_14default_configENS1_20scan_config_selectorIfEEZZNS1_9scan_implILNS1_25lookback_scan_determinismE0ELb0ELb0ES3_N6thrust23THRUST_200600_302600_NS6detail15normal_iteratorINS9_10device_ptrIfEEEESE_fNS9_4plusIvEEfEEDaPvRmT3_T4_T5_mT6_P12ihipStream_tbENKUlT_T0_E_clISt17integral_constantIbLb0EESU_EEDaSP_SQ_EUlSP_E_NS1_11comp_targetILNS1_3genE5ELNS1_11target_archE942ELNS1_3gpuE9ELNS1_3repE0EEENS1_30default_config_static_selectorELNS0_4arch9wavefront6targetE1EEEvT1_: ; @_ZN7rocprim17ROCPRIM_400000_NS6detail17trampoline_kernelINS0_14default_configENS1_20scan_config_selectorIfEEZZNS1_9scan_implILNS1_25lookback_scan_determinismE0ELb0ELb0ES3_N6thrust23THRUST_200600_302600_NS6detail15normal_iteratorINS9_10device_ptrIfEEEESE_fNS9_4plusIvEEfEEDaPvRmT3_T4_T5_mT6_P12ihipStream_tbENKUlT_T0_E_clISt17integral_constantIbLb0EESU_EEDaSP_SQ_EUlSP_E_NS1_11comp_targetILNS1_3genE5ELNS1_11target_archE942ELNS1_3gpuE9ELNS1_3repE0EEENS1_30default_config_static_selectorELNS0_4arch9wavefront6targetE1EEEvT1_
; %bb.0:
	.section	.rodata,"a",@progbits
	.p2align	6, 0x0
	.amdhsa_kernel _ZN7rocprim17ROCPRIM_400000_NS6detail17trampoline_kernelINS0_14default_configENS1_20scan_config_selectorIfEEZZNS1_9scan_implILNS1_25lookback_scan_determinismE0ELb0ELb0ES3_N6thrust23THRUST_200600_302600_NS6detail15normal_iteratorINS9_10device_ptrIfEEEESE_fNS9_4plusIvEEfEEDaPvRmT3_T4_T5_mT6_P12ihipStream_tbENKUlT_T0_E_clISt17integral_constantIbLb0EESU_EEDaSP_SQ_EUlSP_E_NS1_11comp_targetILNS1_3genE5ELNS1_11target_archE942ELNS1_3gpuE9ELNS1_3repE0EEENS1_30default_config_static_selectorELNS0_4arch9wavefront6targetE1EEEvT1_
		.amdhsa_group_segment_fixed_size 0
		.amdhsa_private_segment_fixed_size 0
		.amdhsa_kernarg_size 96
		.amdhsa_user_sgpr_count 6
		.amdhsa_user_sgpr_private_segment_buffer 1
		.amdhsa_user_sgpr_dispatch_ptr 0
		.amdhsa_user_sgpr_queue_ptr 0
		.amdhsa_user_sgpr_kernarg_segment_ptr 1
		.amdhsa_user_sgpr_dispatch_id 0
		.amdhsa_user_sgpr_flat_scratch_init 0
		.amdhsa_user_sgpr_kernarg_preload_length 0
		.amdhsa_user_sgpr_kernarg_preload_offset 0
		.amdhsa_user_sgpr_private_segment_size 0
		.amdhsa_uses_dynamic_stack 0
		.amdhsa_system_sgpr_private_segment_wavefront_offset 0
		.amdhsa_system_sgpr_workgroup_id_x 1
		.amdhsa_system_sgpr_workgroup_id_y 0
		.amdhsa_system_sgpr_workgroup_id_z 0
		.amdhsa_system_sgpr_workgroup_info 0
		.amdhsa_system_vgpr_workitem_id 0
		.amdhsa_next_free_vgpr 1
		.amdhsa_next_free_sgpr 0
		.amdhsa_accum_offset 4
		.amdhsa_reserve_vcc 0
		.amdhsa_reserve_flat_scratch 0
		.amdhsa_float_round_mode_32 0
		.amdhsa_float_round_mode_16_64 0
		.amdhsa_float_denorm_mode_32 3
		.amdhsa_float_denorm_mode_16_64 3
		.amdhsa_dx10_clamp 1
		.amdhsa_ieee_mode 1
		.amdhsa_fp16_overflow 0
		.amdhsa_tg_split 0
		.amdhsa_exception_fp_ieee_invalid_op 0
		.amdhsa_exception_fp_denorm_src 0
		.amdhsa_exception_fp_ieee_div_zero 0
		.amdhsa_exception_fp_ieee_overflow 0
		.amdhsa_exception_fp_ieee_underflow 0
		.amdhsa_exception_fp_ieee_inexact 0
		.amdhsa_exception_int_div_zero 0
	.end_amdhsa_kernel
	.section	.text._ZN7rocprim17ROCPRIM_400000_NS6detail17trampoline_kernelINS0_14default_configENS1_20scan_config_selectorIfEEZZNS1_9scan_implILNS1_25lookback_scan_determinismE0ELb0ELb0ES3_N6thrust23THRUST_200600_302600_NS6detail15normal_iteratorINS9_10device_ptrIfEEEESE_fNS9_4plusIvEEfEEDaPvRmT3_T4_T5_mT6_P12ihipStream_tbENKUlT_T0_E_clISt17integral_constantIbLb0EESU_EEDaSP_SQ_EUlSP_E_NS1_11comp_targetILNS1_3genE5ELNS1_11target_archE942ELNS1_3gpuE9ELNS1_3repE0EEENS1_30default_config_static_selectorELNS0_4arch9wavefront6targetE1EEEvT1_,"axG",@progbits,_ZN7rocprim17ROCPRIM_400000_NS6detail17trampoline_kernelINS0_14default_configENS1_20scan_config_selectorIfEEZZNS1_9scan_implILNS1_25lookback_scan_determinismE0ELb0ELb0ES3_N6thrust23THRUST_200600_302600_NS6detail15normal_iteratorINS9_10device_ptrIfEEEESE_fNS9_4plusIvEEfEEDaPvRmT3_T4_T5_mT6_P12ihipStream_tbENKUlT_T0_E_clISt17integral_constantIbLb0EESU_EEDaSP_SQ_EUlSP_E_NS1_11comp_targetILNS1_3genE5ELNS1_11target_archE942ELNS1_3gpuE9ELNS1_3repE0EEENS1_30default_config_static_selectorELNS0_4arch9wavefront6targetE1EEEvT1_,comdat
.Lfunc_end4287:
	.size	_ZN7rocprim17ROCPRIM_400000_NS6detail17trampoline_kernelINS0_14default_configENS1_20scan_config_selectorIfEEZZNS1_9scan_implILNS1_25lookback_scan_determinismE0ELb0ELb0ES3_N6thrust23THRUST_200600_302600_NS6detail15normal_iteratorINS9_10device_ptrIfEEEESE_fNS9_4plusIvEEfEEDaPvRmT3_T4_T5_mT6_P12ihipStream_tbENKUlT_T0_E_clISt17integral_constantIbLb0EESU_EEDaSP_SQ_EUlSP_E_NS1_11comp_targetILNS1_3genE5ELNS1_11target_archE942ELNS1_3gpuE9ELNS1_3repE0EEENS1_30default_config_static_selectorELNS0_4arch9wavefront6targetE1EEEvT1_, .Lfunc_end4287-_ZN7rocprim17ROCPRIM_400000_NS6detail17trampoline_kernelINS0_14default_configENS1_20scan_config_selectorIfEEZZNS1_9scan_implILNS1_25lookback_scan_determinismE0ELb0ELb0ES3_N6thrust23THRUST_200600_302600_NS6detail15normal_iteratorINS9_10device_ptrIfEEEESE_fNS9_4plusIvEEfEEDaPvRmT3_T4_T5_mT6_P12ihipStream_tbENKUlT_T0_E_clISt17integral_constantIbLb0EESU_EEDaSP_SQ_EUlSP_E_NS1_11comp_targetILNS1_3genE5ELNS1_11target_archE942ELNS1_3gpuE9ELNS1_3repE0EEENS1_30default_config_static_selectorELNS0_4arch9wavefront6targetE1EEEvT1_
                                        ; -- End function
	.section	.AMDGPU.csdata,"",@progbits
; Kernel info:
; codeLenInByte = 0
; NumSgprs: 4
; NumVgprs: 0
; NumAgprs: 0
; TotalNumVgprs: 0
; ScratchSize: 0
; MemoryBound: 0
; FloatMode: 240
; IeeeMode: 1
; LDSByteSize: 0 bytes/workgroup (compile time only)
; SGPRBlocks: 0
; VGPRBlocks: 0
; NumSGPRsForWavesPerEU: 4
; NumVGPRsForWavesPerEU: 1
; AccumOffset: 4
; Occupancy: 8
; WaveLimiterHint : 0
; COMPUTE_PGM_RSRC2:SCRATCH_EN: 0
; COMPUTE_PGM_RSRC2:USER_SGPR: 6
; COMPUTE_PGM_RSRC2:TRAP_HANDLER: 0
; COMPUTE_PGM_RSRC2:TGID_X_EN: 1
; COMPUTE_PGM_RSRC2:TGID_Y_EN: 0
; COMPUTE_PGM_RSRC2:TGID_Z_EN: 0
; COMPUTE_PGM_RSRC2:TIDIG_COMP_CNT: 0
; COMPUTE_PGM_RSRC3_GFX90A:ACCUM_OFFSET: 0
; COMPUTE_PGM_RSRC3_GFX90A:TG_SPLIT: 0
	.section	.text._ZN7rocprim17ROCPRIM_400000_NS6detail17trampoline_kernelINS0_14default_configENS1_20scan_config_selectorIfEEZZNS1_9scan_implILNS1_25lookback_scan_determinismE0ELb0ELb0ES3_N6thrust23THRUST_200600_302600_NS6detail15normal_iteratorINS9_10device_ptrIfEEEESE_fNS9_4plusIvEEfEEDaPvRmT3_T4_T5_mT6_P12ihipStream_tbENKUlT_T0_E_clISt17integral_constantIbLb0EESU_EEDaSP_SQ_EUlSP_E_NS1_11comp_targetILNS1_3genE4ELNS1_11target_archE910ELNS1_3gpuE8ELNS1_3repE0EEENS1_30default_config_static_selectorELNS0_4arch9wavefront6targetE1EEEvT1_,"axG",@progbits,_ZN7rocprim17ROCPRIM_400000_NS6detail17trampoline_kernelINS0_14default_configENS1_20scan_config_selectorIfEEZZNS1_9scan_implILNS1_25lookback_scan_determinismE0ELb0ELb0ES3_N6thrust23THRUST_200600_302600_NS6detail15normal_iteratorINS9_10device_ptrIfEEEESE_fNS9_4plusIvEEfEEDaPvRmT3_T4_T5_mT6_P12ihipStream_tbENKUlT_T0_E_clISt17integral_constantIbLb0EESU_EEDaSP_SQ_EUlSP_E_NS1_11comp_targetILNS1_3genE4ELNS1_11target_archE910ELNS1_3gpuE8ELNS1_3repE0EEENS1_30default_config_static_selectorELNS0_4arch9wavefront6targetE1EEEvT1_,comdat
	.protected	_ZN7rocprim17ROCPRIM_400000_NS6detail17trampoline_kernelINS0_14default_configENS1_20scan_config_selectorIfEEZZNS1_9scan_implILNS1_25lookback_scan_determinismE0ELb0ELb0ES3_N6thrust23THRUST_200600_302600_NS6detail15normal_iteratorINS9_10device_ptrIfEEEESE_fNS9_4plusIvEEfEEDaPvRmT3_T4_T5_mT6_P12ihipStream_tbENKUlT_T0_E_clISt17integral_constantIbLb0EESU_EEDaSP_SQ_EUlSP_E_NS1_11comp_targetILNS1_3genE4ELNS1_11target_archE910ELNS1_3gpuE8ELNS1_3repE0EEENS1_30default_config_static_selectorELNS0_4arch9wavefront6targetE1EEEvT1_ ; -- Begin function _ZN7rocprim17ROCPRIM_400000_NS6detail17trampoline_kernelINS0_14default_configENS1_20scan_config_selectorIfEEZZNS1_9scan_implILNS1_25lookback_scan_determinismE0ELb0ELb0ES3_N6thrust23THRUST_200600_302600_NS6detail15normal_iteratorINS9_10device_ptrIfEEEESE_fNS9_4plusIvEEfEEDaPvRmT3_T4_T5_mT6_P12ihipStream_tbENKUlT_T0_E_clISt17integral_constantIbLb0EESU_EEDaSP_SQ_EUlSP_E_NS1_11comp_targetILNS1_3genE4ELNS1_11target_archE910ELNS1_3gpuE8ELNS1_3repE0EEENS1_30default_config_static_selectorELNS0_4arch9wavefront6targetE1EEEvT1_
	.globl	_ZN7rocprim17ROCPRIM_400000_NS6detail17trampoline_kernelINS0_14default_configENS1_20scan_config_selectorIfEEZZNS1_9scan_implILNS1_25lookback_scan_determinismE0ELb0ELb0ES3_N6thrust23THRUST_200600_302600_NS6detail15normal_iteratorINS9_10device_ptrIfEEEESE_fNS9_4plusIvEEfEEDaPvRmT3_T4_T5_mT6_P12ihipStream_tbENKUlT_T0_E_clISt17integral_constantIbLb0EESU_EEDaSP_SQ_EUlSP_E_NS1_11comp_targetILNS1_3genE4ELNS1_11target_archE910ELNS1_3gpuE8ELNS1_3repE0EEENS1_30default_config_static_selectorELNS0_4arch9wavefront6targetE1EEEvT1_
	.p2align	8
	.type	_ZN7rocprim17ROCPRIM_400000_NS6detail17trampoline_kernelINS0_14default_configENS1_20scan_config_selectorIfEEZZNS1_9scan_implILNS1_25lookback_scan_determinismE0ELb0ELb0ES3_N6thrust23THRUST_200600_302600_NS6detail15normal_iteratorINS9_10device_ptrIfEEEESE_fNS9_4plusIvEEfEEDaPvRmT3_T4_T5_mT6_P12ihipStream_tbENKUlT_T0_E_clISt17integral_constantIbLb0EESU_EEDaSP_SQ_EUlSP_E_NS1_11comp_targetILNS1_3genE4ELNS1_11target_archE910ELNS1_3gpuE8ELNS1_3repE0EEENS1_30default_config_static_selectorELNS0_4arch9wavefront6targetE1EEEvT1_,@function
_ZN7rocprim17ROCPRIM_400000_NS6detail17trampoline_kernelINS0_14default_configENS1_20scan_config_selectorIfEEZZNS1_9scan_implILNS1_25lookback_scan_determinismE0ELb0ELb0ES3_N6thrust23THRUST_200600_302600_NS6detail15normal_iteratorINS9_10device_ptrIfEEEESE_fNS9_4plusIvEEfEEDaPvRmT3_T4_T5_mT6_P12ihipStream_tbENKUlT_T0_E_clISt17integral_constantIbLb0EESU_EEDaSP_SQ_EUlSP_E_NS1_11comp_targetILNS1_3genE4ELNS1_11target_archE910ELNS1_3gpuE8ELNS1_3repE0EEENS1_30default_config_static_selectorELNS0_4arch9wavefront6targetE1EEEvT1_: ; @_ZN7rocprim17ROCPRIM_400000_NS6detail17trampoline_kernelINS0_14default_configENS1_20scan_config_selectorIfEEZZNS1_9scan_implILNS1_25lookback_scan_determinismE0ELb0ELb0ES3_N6thrust23THRUST_200600_302600_NS6detail15normal_iteratorINS9_10device_ptrIfEEEESE_fNS9_4plusIvEEfEEDaPvRmT3_T4_T5_mT6_P12ihipStream_tbENKUlT_T0_E_clISt17integral_constantIbLb0EESU_EEDaSP_SQ_EUlSP_E_NS1_11comp_targetILNS1_3genE4ELNS1_11target_archE910ELNS1_3gpuE8ELNS1_3repE0EEENS1_30default_config_static_selectorELNS0_4arch9wavefront6targetE1EEEvT1_
; %bb.0:
	s_load_dwordx8 s[12:19], s[4:5], 0x0
	s_load_dword s1, s[4:5], 0x30
	s_mul_i32 s0, s6, 0x700
	v_lshlrev_b32_e32 v32, 2, v0
	s_waitcnt lgkmcnt(0)
	s_lshl_b64 s[20:21], s[14:15], 2
	s_add_u32 s2, s12, s20
	s_addc_u32 s3, s13, s21
	s_add_i32 s7, s1, -1
	s_mul_i32 s8, s7, 0x700
	s_sub_u32 s28, s18, s8
	s_subb_u32 s29, s19, 0
	s_mov_b32 s1, 0
	s_cmp_lg_u32 s6, s7
	s_cselect_b64 s[18:19], -1, 0
	s_lshl_b64 s[22:23], s[0:1], 2
	s_add_u32 s2, s2, s22
	s_addc_u32 s3, s3, s23
	s_mov_b64 s[0:1], -1
	s_and_b64 vcc, exec, s[18:19]
	s_cbranch_vccz .LBB4288_2
; %bb.1:
	v_mov_b32_e32 v1, s3
	v_add_co_u32_e32 v2, vcc, s2, v32
	v_addc_co_u32_e32 v3, vcc, 0, v1, vcc
	flat_load_dword v1, v[2:3]
	flat_load_dword v4, v[2:3] offset:512
	flat_load_dword v5, v[2:3] offset:1024
	;; [unrolled: 1-line block ×7, first 2 shown]
	v_add_co_u32_e32 v2, vcc, 0x1000, v2
	v_addc_co_u32_e32 v3, vcc, 0, v3, vcc
	flat_load_dword v11, v[2:3]
	flat_load_dword v12, v[2:3] offset:512
	flat_load_dword v13, v[2:3] offset:1024
	;; [unrolled: 1-line block ×5, first 2 shown]
	s_mov_b64 s[0:1], 0
	s_waitcnt vmcnt(0) lgkmcnt(0)
	ds_write2st64_b32 v32, v1, v4 offset1:2
	ds_write2st64_b32 v32, v5, v6 offset0:4 offset1:6
	ds_write2st64_b32 v32, v7, v8 offset0:8 offset1:10
	;; [unrolled: 1-line block ×6, first 2 shown]
	s_waitcnt lgkmcnt(0)
	s_barrier
.LBB4288_2:
	s_load_dwordx2 s[24:25], s[4:5], 0x28
	s_andn2_b64 vcc, exec, s[0:1]
	v_cmp_gt_u32_e64 s[0:1], s28, v0
	s_cbranch_vccnz .LBB4288_32
; %bb.3:
	v_pk_mov_b32 v[2:3], s[2:3], s[2:3] op_sel:[0,1]
	flat_load_dword v1, v[2:3]
	s_waitcnt vmcnt(0) lgkmcnt(0)
	v_mov_b32_e32 v2, v1
	v_mov_b32_e32 v3, v1
	;; [unrolled: 1-line block ×12, first 2 shown]
	v_pk_mov_b32 v[16:17], v[14:15], v[14:15] op_sel:[0,1]
	v_pk_mov_b32 v[14:15], v[12:13], v[12:13] op_sel:[0,1]
	;; [unrolled: 1-line block ×8, first 2 shown]
	s_and_saveexec_b64 s[8:9], s[0:1]
	s_cbranch_execz .LBB4288_5
; %bb.4:
	v_mov_b32_e32 v3, s3
	v_add_co_u32_e32 v2, vcc, s2, v32
	v_addc_co_u32_e32 v3, vcc, 0, v3, vcc
	flat_load_dword v18, v[2:3]
	v_mov_b32_e32 v2, v1
	v_mov_b32_e32 v3, v1
	;; [unrolled: 1-line block ×12, first 2 shown]
	v_pk_mov_b32 v[16:17], v[14:15], v[14:15] op_sel:[0,1]
	v_pk_mov_b32 v[14:15], v[12:13], v[12:13] op_sel:[0,1]
	;; [unrolled: 1-line block ×8, first 2 shown]
	s_waitcnt vmcnt(0) lgkmcnt(0)
	v_mov_b32_e32 v1, v18
.LBB4288_5:
	s_or_b64 exec, exec, s[8:9]
	v_or_b32_e32 v2, 0x80, v0
	v_cmp_gt_u32_e32 vcc, s28, v2
	s_and_saveexec_b64 s[0:1], vcc
	s_cbranch_execz .LBB4288_7
; %bb.6:
	v_mov_b32_e32 v3, s3
	v_add_co_u32_e32 v2, vcc, s2, v32
	v_addc_co_u32_e32 v3, vcc, 0, v3, vcc
	flat_load_dword v3, v[2:3] offset:512
.LBB4288_7:
	s_or_b64 exec, exec, s[0:1]
	v_or_b32_e32 v2, 0x100, v0
	v_cmp_gt_u32_e32 vcc, s28, v2
	s_and_saveexec_b64 s[0:1], vcc
	s_cbranch_execz .LBB4288_9
; %bb.8:
	v_mov_b32_e32 v2, s3
	v_add_co_u32_e32 v16, vcc, s2, v32
	v_addc_co_u32_e32 v17, vcc, 0, v2, vcc
	flat_load_dword v4, v[16:17] offset:1024
.LBB4288_9:
	s_or_b64 exec, exec, s[0:1]
	v_or_b32_e32 v2, 0x180, v0
	v_cmp_gt_u32_e32 vcc, s28, v2
	s_and_saveexec_b64 s[0:1], vcc
	s_cbranch_execz .LBB4288_11
; %bb.10:
	v_mov_b32_e32 v2, s3
	v_add_co_u32_e32 v16, vcc, s2, v32
	v_addc_co_u32_e32 v17, vcc, 0, v2, vcc
	flat_load_dword v5, v[16:17] offset:1536
.LBB4288_11:
	s_or_b64 exec, exec, s[0:1]
	v_or_b32_e32 v2, 0x200, v0
	v_cmp_gt_u32_e32 vcc, s28, v2
	s_and_saveexec_b64 s[0:1], vcc
	s_cbranch_execz .LBB4288_13
; %bb.12:
	v_mov_b32_e32 v2, s3
	v_add_co_u32_e32 v16, vcc, s2, v32
	v_addc_co_u32_e32 v17, vcc, 0, v2, vcc
	flat_load_dword v6, v[16:17] offset:2048
.LBB4288_13:
	s_or_b64 exec, exec, s[0:1]
	v_or_b32_e32 v2, 0x280, v0
	v_cmp_gt_u32_e32 vcc, s28, v2
	s_and_saveexec_b64 s[0:1], vcc
	s_cbranch_execz .LBB4288_15
; %bb.14:
	v_mov_b32_e32 v2, s3
	v_add_co_u32_e32 v16, vcc, s2, v32
	v_addc_co_u32_e32 v17, vcc, 0, v2, vcc
	flat_load_dword v7, v[16:17] offset:2560
.LBB4288_15:
	s_or_b64 exec, exec, s[0:1]
	v_or_b32_e32 v2, 0x300, v0
	v_cmp_gt_u32_e32 vcc, s28, v2
	s_and_saveexec_b64 s[0:1], vcc
	s_cbranch_execz .LBB4288_17
; %bb.16:
	v_mov_b32_e32 v2, s3
	v_add_co_u32_e32 v16, vcc, s2, v32
	v_addc_co_u32_e32 v17, vcc, 0, v2, vcc
	flat_load_dword v8, v[16:17] offset:3072
.LBB4288_17:
	s_or_b64 exec, exec, s[0:1]
	v_or_b32_e32 v2, 0x380, v0
	v_cmp_gt_u32_e32 vcc, s28, v2
	s_and_saveexec_b64 s[0:1], vcc
	s_cbranch_execz .LBB4288_19
; %bb.18:
	v_mov_b32_e32 v2, s3
	v_add_co_u32_e32 v16, vcc, s2, v32
	v_addc_co_u32_e32 v17, vcc, 0, v2, vcc
	flat_load_dword v9, v[16:17] offset:3584
.LBB4288_19:
	s_or_b64 exec, exec, s[0:1]
	v_or_b32_e32 v2, 0x400, v0
	v_cmp_gt_u32_e32 vcc, s28, v2
	s_and_saveexec_b64 s[0:1], vcc
	s_cbranch_execz .LBB4288_21
; %bb.20:
	v_lshlrev_b32_e32 v2, 2, v2
	v_mov_b32_e32 v10, s3
	v_add_co_u32_e32 v16, vcc, s2, v2
	v_addc_co_u32_e32 v17, vcc, 0, v10, vcc
	flat_load_dword v10, v[16:17]
.LBB4288_21:
	s_or_b64 exec, exec, s[0:1]
	v_or_b32_e32 v2, 0x480, v0
	v_cmp_gt_u32_e32 vcc, s28, v2
	s_and_saveexec_b64 s[0:1], vcc
	s_cbranch_execz .LBB4288_23
; %bb.22:
	v_lshlrev_b32_e32 v2, 2, v2
	v_mov_b32_e32 v11, s3
	v_add_co_u32_e32 v16, vcc, s2, v2
	v_addc_co_u32_e32 v17, vcc, 0, v11, vcc
	flat_load_dword v11, v[16:17]
.LBB4288_23:
	;; [unrolled: 12-line block ×6, first 2 shown]
	s_or_b64 exec, exec, s[0:1]
	s_waitcnt vmcnt(0) lgkmcnt(0)
	ds_write2st64_b32 v32, v1, v3 offset1:2
	ds_write2st64_b32 v32, v4, v5 offset0:4 offset1:6
	ds_write2st64_b32 v32, v6, v7 offset0:8 offset1:10
	;; [unrolled: 1-line block ×6, first 2 shown]
	s_waitcnt lgkmcnt(0)
	s_barrier
.LBB4288_32:
	v_mul_u32_u24_e32 v33, 14, v0
	v_lshlrev_b32_e32 v34, 2, v33
	s_waitcnt lgkmcnt(0)
	ds_read2_b64 v[2:5], v34 offset1:1
	ds_read2_b64 v[26:29], v34 offset0:2 offset1:3
	ds_read2_b64 v[22:25], v34 offset0:4 offset1:5
	ds_read_b64 v[30:31], v34 offset:48
	s_cmp_lg_u32 s6, 0
	v_lshrrev_b32_e32 v1, 5, v0
	v_cmp_gt_u32_e32 vcc, 64, v0
	s_waitcnt lgkmcnt(0)
	s_barrier
	s_cbranch_scc0 .LBB4288_57
; %bb.33:
	v_add_f32_e32 v6, v2, v3
	v_add_f32_e32 v6, v4, v6
	;; [unrolled: 1-line block ×13, first 2 shown]
	v_add_lshl_u32 v6, v1, v0, 2
	ds_write_b32 v6, v16
	s_waitcnt lgkmcnt(0)
	s_barrier
	s_and_saveexec_b64 s[10:11], vcc
	s_cbranch_execz .LBB4288_35
; %bb.34:
	v_lshlrev_b32_e32 v6, 1, v0
	v_lshrrev_b32_e32 v7, 4, v0
	v_add_lshl_u32 v8, v7, v6, 2
	ds_read2_b32 v[6:7], v8 offset1:1
	v_mbcnt_lo_u32_b32 v9, -1, 0
	v_mbcnt_hi_u32_b32 v9, -1, v9
	v_and_b32_e32 v10, 15, v9
	v_cmp_eq_u32_e64 s[0:1], 0, v10
	s_waitcnt lgkmcnt(0)
	v_add_f32_e32 v7, v6, v7
	v_cmp_lt_u32_e64 s[2:3], 3, v10
	v_cmp_lt_u32_e64 s[8:9], 31, v9
	v_mov_b32_dpp v11, v7 row_shr:1 row_mask:0xf bank_mask:0xf
	v_add_f32_e32 v11, v7, v11
	v_cndmask_b32_e64 v7, v11, v7, s[0:1]
	v_cmp_lt_u32_e64 s[0:1], 1, v10
	s_nop 0
	v_mov_b32_dpp v11, v7 row_shr:2 row_mask:0xf bank_mask:0xf
	v_add_f32_e32 v11, v7, v11
	v_cndmask_b32_e64 v11, v7, v11, s[0:1]
	; wave barrier
	s_nop 1
	v_mov_b32_dpp v12, v11 row_shr:4 row_mask:0xf bank_mask:0xf
	v_add_f32_e32 v12, v11, v12
	v_cndmask_b32_e64 v11, v11, v12, s[2:3]
	v_cmp_lt_u32_e64 s[2:3], 7, v10
	s_nop 0
	v_mov_b32_dpp v12, v11 row_shr:8 row_mask:0xf bank_mask:0xf
	v_add_f32_e32 v12, v11, v12
	v_cndmask_b32_e64 v10, v11, v12, s[2:3]
	v_and_b32_e32 v12, 16, v9
	v_cmp_eq_u32_e64 s[2:3], 0, v12
	v_mov_b32_dpp v11, v10 row_bcast:15 row_mask:0xf bank_mask:0xf
	v_add_f32_e32 v11, v10, v11
	v_cndmask_b32_e64 v10, v11, v10, s[2:3]
	v_cmp_lt_u32_e64 s[2:3], 15, v9
	s_or_b64 s[0:1], s[2:3], s[0:1]
	v_mov_b32_dpp v11, v10 row_bcast:31 row_mask:0xf bank_mask:0xf
	v_add_f32_e32 v11, v10, v11
	v_cndmask_b32_e64 v10, v10, v11, s[8:9]
	v_cndmask_b32_e64 v7, v7, v10, s[0:1]
	v_add_u32_e32 v10, -1, v9
	v_and_b32_e32 v11, 64, v9
	v_cmp_lt_i32_e64 s[0:1], v10, v11
	v_cndmask_b32_e64 v9, v10, v9, s[0:1]
	v_lshlrev_b32_e32 v9, 2, v9
	ds_bpermute_b32 v7, v9, v7
	v_cmp_eq_u32_e64 s[0:1], 0, v0
	s_waitcnt lgkmcnt(0)
	v_add_f32_e32 v6, v6, v7
	v_cndmask_b32_e64 v6, v6, v16, s[0:1]
	ds_write_b32 v8, v6
	; wave barrier
	ds_read_b32 v7, v8 offset:4
	s_waitcnt lgkmcnt(0)
	v_add_f32_e32 v6, v6, v7
	ds_write_b32 v8, v6 offset:4
.LBB4288_35:
	s_or_b64 exec, exec, s[10:11]
	v_cmp_eq_u32_e64 s[0:1], 0, v0
	v_cmp_ne_u32_e64 s[2:3], 0, v0
	s_waitcnt lgkmcnt(0)
	s_barrier
	s_and_saveexec_b64 s[8:9], s[2:3]
	s_cbranch_execz .LBB4288_37
; %bb.36:
	v_add_u32_e32 v6, -1, v0
	v_lshrrev_b32_e32 v7, 5, v6
	v_add_lshl_u32 v6, v7, v6, 2
	ds_read_b32 v16, v6
.LBB4288_37:
	s_or_b64 exec, exec, s[8:9]
	s_and_saveexec_b64 s[26:27], vcc
	s_cbranch_execz .LBB4288_56
; %bb.38:
	v_mov_b32_e32 v13, 0
	ds_read_b32 v6, v13 offset:520
	v_mbcnt_lo_u32_b32 v7, -1, 0
	v_mbcnt_hi_u32_b32 v9, -1, v7
	s_mov_b32 s11, 0
	v_cmp_eq_u32_e64 s[2:3], 0, v9
	s_and_saveexec_b64 s[8:9], s[2:3]
	s_cbranch_execz .LBB4288_40
; %bb.39:
	s_add_i32 s10, s6, 64
	s_lshl_b64 s[10:11], s[10:11], 3
	s_add_u32 s10, s24, s10
	v_mov_b32_e32 v7, 1
	s_addc_u32 s11, s25, s11
	s_waitcnt lgkmcnt(0)
	global_store_dwordx2 v13, v[6:7], s[10:11]
.LBB4288_40:
	s_or_b64 exec, exec, s[8:9]
	v_xad_u32 v8, v9, -1, s6
	v_add_u32_e32 v12, 64, v8
	v_lshlrev_b64 v[10:11], 3, v[12:13]
	v_mov_b32_e32 v7, s25
	v_add_co_u32_e32 v14, vcc, s24, v10
	v_addc_co_u32_e32 v15, vcc, v7, v11, vcc
	global_load_dwordx2 v[10:11], v[14:15], off glc
	s_waitcnt vmcnt(0)
	v_cmp_eq_u16_sdwa s[10:11], v11, v13 src0_sel:BYTE_0 src1_sel:DWORD
	s_and_saveexec_b64 s[8:9], s[10:11]
	s_cbranch_execz .LBB4288_44
; %bb.41:
	s_mov_b64 s[10:11], 0
	v_mov_b32_e32 v7, 0
.LBB4288_42:                            ; =>This Inner Loop Header: Depth=1
	global_load_dwordx2 v[10:11], v[14:15], off glc
	s_waitcnt vmcnt(0)
	v_cmp_ne_u16_sdwa s[12:13], v11, v7 src0_sel:BYTE_0 src1_sel:DWORD
	s_or_b64 s[10:11], s[12:13], s[10:11]
	s_andn2_b64 exec, exec, s[10:11]
	s_cbranch_execnz .LBB4288_42
; %bb.43:
	s_or_b64 exec, exec, s[10:11]
.LBB4288_44:
	s_or_b64 exec, exec, s[8:9]
	v_and_b32_e32 v17, 63, v9
	v_cmp_ne_u32_e32 vcc, 63, v17
	v_addc_co_u32_e32 v18, vcc, 0, v9, vcc
	v_mov_b32_e32 v7, 2
	v_lshlrev_b32_e32 v18, 2, v18
	v_cmp_eq_u16_sdwa s[8:9], v11, v7 src0_sel:BYTE_0 src1_sel:DWORD
	v_lshlrev_b64 v[12:13], v9, -1
	ds_bpermute_b32 v19, v18, v10
	v_and_b32_e32 v14, s9, v13
	v_or_b32_e32 v14, 0x80000000, v14
	v_and_b32_e32 v15, s8, v12
	v_ffbl_b32_e32 v14, v14
	v_add_u32_e32 v14, 32, v14
	v_ffbl_b32_e32 v15, v15
	v_cmp_gt_u32_e64 s[8:9], 62, v17
	v_min_u32_e32 v14, v15, v14
	s_waitcnt lgkmcnt(0)
	v_add_f32_e32 v15, v10, v19
	v_cndmask_b32_e64 v19, 0, 1, s[8:9]
	v_cmp_lt_u32_e32 vcc, v17, v14
	v_lshlrev_b32_e32 v19, 1, v19
	v_cndmask_b32_e32 v15, v10, v15, vcc
	v_add_lshl_u32 v19, v19, v9, 2
	ds_bpermute_b32 v21, v19, v15
	v_add_u32_e32 v20, 2, v17
	v_cmp_gt_u32_e64 s[8:9], v20, v14
	v_cmp_gt_u32_e64 s[10:11], 56, v17
	v_add_u32_e32 v35, 4, v17
	s_waitcnt lgkmcnt(0)
	v_add_f32_e32 v21, v15, v21
	v_cndmask_b32_e64 v15, v21, v15, s[8:9]
	v_cmp_gt_u32_e64 s[8:9], 60, v17
	v_cndmask_b32_e64 v21, 0, 1, s[8:9]
	v_lshlrev_b32_e32 v21, 2, v21
	v_add_lshl_u32 v21, v21, v9, 2
	ds_bpermute_b32 v36, v21, v15
	v_cmp_gt_u32_e64 s[8:9], v35, v14
	v_add_u32_e32 v37, 8, v17
	v_cmp_gt_u32_e64 s[12:13], 48, v17
	v_cmp_gt_u32_e64 s[14:15], 32, v17
	s_waitcnt lgkmcnt(0)
	v_add_f32_e32 v40, v15, v36
	v_cndmask_b32_e64 v36, 0, 1, s[10:11]
	v_lshlrev_b32_e32 v36, 3, v36
	v_cndmask_b32_e64 v38, v40, v15, s[8:9]
	v_add_lshl_u32 v36, v36, v9, 2
	ds_bpermute_b32 v39, v36, v38
	v_cmp_gt_u32_e64 s[10:11], v37, v14
	v_cndmask_b32_e32 v10, v10, v15, vcc
	v_cndmask_b32_e64 v10, v40, v10, s[8:9]
	s_waitcnt lgkmcnt(0)
	v_add_f32_e32 v43, v38, v39
	v_cndmask_b32_e64 v41, v43, v38, s[10:11]
	v_cndmask_b32_e64 v38, 0, 1, s[12:13]
	v_lshlrev_b32_e32 v38, 4, v38
	v_add_lshl_u32 v38, v38, v9, 2
	ds_bpermute_b32 v42, v38, v41
	v_add_u32_e32 v39, 16, v17
	v_cmp_gt_u32_e64 s[12:13], v39, v14
	v_cndmask_b32_e64 v10, v43, v10, s[10:11]
	s_waitcnt lgkmcnt(0)
	v_add_f32_e32 v44, v41, v42
	v_cndmask_b32_e64 v45, v44, v41, s[12:13]
	v_cndmask_b32_e64 v41, 0, 1, s[14:15]
	v_lshlrev_b32_e32 v41, 5, v41
	v_add_lshl_u32 v41, v41, v9, 2
	ds_bpermute_b32 v9, v41, v45
	v_add_u32_e32 v42, 32, v17
	v_cndmask_b32_e64 v10, v44, v10, s[12:13]
	v_cmp_gt_u32_e32 vcc, v42, v14
	s_waitcnt lgkmcnt(0)
	v_add_f32_e32 v9, v45, v9
	v_cndmask_b32_e32 v10, v9, v10, vcc
	v_mov_b32_e32 v9, 0
	s_branch .LBB4288_46
.LBB4288_45:                            ;   in Loop: Header=BB4288_46 Depth=1
	s_or_b64 exec, exec, s[8:9]
	v_cmp_eq_u16_sdwa s[8:9], v11, v7 src0_sel:BYTE_0 src1_sel:DWORD
	v_and_b32_e32 v14, s9, v13
	ds_bpermute_b32 v43, v18, v10
	v_or_b32_e32 v14, 0x80000000, v14
	v_and_b32_e32 v15, s8, v12
	v_ffbl_b32_e32 v14, v14
	v_add_u32_e32 v14, 32, v14
	v_ffbl_b32_e32 v15, v15
	v_min_u32_e32 v14, v15, v14
	s_waitcnt lgkmcnt(0)
	v_add_f32_e32 v15, v10, v43
	v_cmp_lt_u32_e32 vcc, v17, v14
	v_cndmask_b32_e32 v15, v10, v15, vcc
	ds_bpermute_b32 v43, v19, v15
	v_cmp_gt_u32_e64 s[8:9], v20, v14
	v_cmp_gt_u32_e64 s[10:11], v37, v14
	;; [unrolled: 1-line block ×3, first 2 shown]
	v_subrev_u32_e32 v8, 64, v8
	s_waitcnt lgkmcnt(0)
	v_add_f32_e32 v43, v15, v43
	v_cndmask_b32_e64 v15, v43, v15, s[8:9]
	ds_bpermute_b32 v43, v21, v15
	v_cmp_gt_u32_e64 s[8:9], v35, v14
	v_cndmask_b32_e32 v10, v10, v15, vcc
	v_cmp_gt_u32_e32 vcc, v42, v14
	s_waitcnt lgkmcnt(0)
	v_add_f32_e32 v43, v15, v43
	v_cndmask_b32_e64 v44, v43, v15, s[8:9]
	ds_bpermute_b32 v45, v36, v44
	v_cndmask_b32_e64 v10, v43, v10, s[8:9]
	s_waitcnt lgkmcnt(0)
	v_add_f32_e32 v45, v44, v45
	v_cndmask_b32_e64 v44, v45, v44, s[10:11]
	ds_bpermute_b32 v46, v38, v44
	v_cndmask_b32_e64 v10, v45, v10, s[10:11]
	;; [unrolled: 5-line block ×3, first 2 shown]
	s_waitcnt lgkmcnt(0)
	v_add_f32_e32 v15, v44, v47
	v_cndmask_b32_e32 v10, v15, v10, vcc
	v_add_f32_e32 v10, v40, v10
.LBB4288_46:                            ; =>This Loop Header: Depth=1
                                        ;     Child Loop BB4288_49 Depth 2
	v_cmp_ne_u16_sdwa s[8:9], v11, v7 src0_sel:BYTE_0 src1_sel:DWORD
	v_cndmask_b32_e64 v11, 0, 1, s[8:9]
	;;#ASMSTART
	;;#ASMEND
	v_cmp_ne_u32_e32 vcc, 0, v11
	s_cmp_lg_u64 vcc, exec
	v_mov_b32_e32 v40, v10
	s_cbranch_scc1 .LBB4288_51
; %bb.47:                               ;   in Loop: Header=BB4288_46 Depth=1
	v_lshlrev_b64 v[10:11], 3, v[8:9]
	v_mov_b32_e32 v15, s25
	v_add_co_u32_e32 v14, vcc, s24, v10
	v_addc_co_u32_e32 v15, vcc, v15, v11, vcc
	global_load_dwordx2 v[10:11], v[14:15], off glc
	s_waitcnt vmcnt(0)
	v_cmp_eq_u16_sdwa s[10:11], v11, v9 src0_sel:BYTE_0 src1_sel:DWORD
	s_and_saveexec_b64 s[8:9], s[10:11]
	s_cbranch_execz .LBB4288_45
; %bb.48:                               ;   in Loop: Header=BB4288_46 Depth=1
	s_mov_b64 s[10:11], 0
.LBB4288_49:                            ;   Parent Loop BB4288_46 Depth=1
                                        ; =>  This Inner Loop Header: Depth=2
	global_load_dwordx2 v[10:11], v[14:15], off glc
	s_waitcnt vmcnt(0)
	v_cmp_ne_u16_sdwa s[12:13], v11, v9 src0_sel:BYTE_0 src1_sel:DWORD
	s_or_b64 s[10:11], s[12:13], s[10:11]
	s_andn2_b64 exec, exec, s[10:11]
	s_cbranch_execnz .LBB4288_49
; %bb.50:                               ;   in Loop: Header=BB4288_46 Depth=1
	s_or_b64 exec, exec, s[10:11]
	s_branch .LBB4288_45
.LBB4288_51:                            ;   in Loop: Header=BB4288_46 Depth=1
                                        ; implicit-def: $vgpr10
                                        ; implicit-def: $vgpr11
	s_cbranch_execz .LBB4288_46
; %bb.52:
	s_and_saveexec_b64 s[8:9], s[2:3]
	s_cbranch_execz .LBB4288_54
; %bb.53:
	s_add_i32 s2, s6, 64
	s_mov_b32 s3, 0
	s_lshl_b64 s[2:3], s[2:3], 3
	s_add_u32 s2, s24, s2
	v_add_f32_e32 v6, v6, v40
	v_mov_b32_e32 v7, 2
	s_addc_u32 s3, s25, s3
	v_mov_b32_e32 v8, 0
	global_store_dwordx2 v8, v[6:7], s[2:3]
.LBB4288_54:
	s_or_b64 exec, exec, s[8:9]
	s_and_b64 exec, exec, s[0:1]
	s_cbranch_execz .LBB4288_56
; %bb.55:
	v_mov_b32_e32 v6, 0
	ds_write_b32 v6, v40
.LBB4288_56:
	s_or_b64 exec, exec, s[26:27]
	v_mov_b32_e32 v6, 0
	s_waitcnt lgkmcnt(0)
	s_barrier
	ds_read_b32 v6, v6
	v_add_f32_e32 v7, v2, v16
	v_cndmask_b32_e64 v7, v7, v2, s[0:1]
	s_waitcnt lgkmcnt(0)
	v_add_f32_e32 v6, v7, v6
	v_add_f32_e32 v7, v3, v6
	;; [unrolled: 1-line block ×14, first 2 shown]
	s_load_dwordx8 s[8:15], s[4:5], 0x38
	s_branch .LBB4288_69
.LBB4288_57:
                                        ; implicit-def: $vgpr6_vgpr7_vgpr8_vgpr9_vgpr10_vgpr11_vgpr12_vgpr13_vgpr14_vgpr15_vgpr16_vgpr17_vgpr18_vgpr19_vgpr20_vgpr21
	s_load_dwordx8 s[8:15], s[4:5], 0x38
	s_cbranch_execz .LBB4288_69
; %bb.58:
	s_waitcnt lgkmcnt(0)
	s_cmp_lg_u64 s[12:13], 0
	s_cselect_b64 s[2:3], -1, 0
	v_cmp_eq_u32_e64 s[0:1], 0, v0
	v_cmp_ne_u32_e32 vcc, 0, v0
	s_and_b64 s[4:5], s[0:1], s[2:3]
	s_and_saveexec_b64 s[2:3], s[4:5]
	s_cbranch_execz .LBB4288_60
; %bb.59:
	v_mov_b32_e32 v6, 0
	global_load_dword v6, v6, s[8:9]
	s_waitcnt vmcnt(0)
	v_add_f32_e32 v2, v2, v6
.LBB4288_60:
	s_or_b64 exec, exec, s[2:3]
	v_add_f32_e32 v16, v2, v3
	v_add_f32_e32 v17, v4, v16
	;; [unrolled: 1-line block ×13, first 2 shown]
	v_add_lshl_u32 v1, v1, v0, 2
	v_cmp_gt_u32_e64 s[2:3], 64, v0
	ds_write_b32 v1, v15
	s_waitcnt lgkmcnt(0)
	s_barrier
	s_and_saveexec_b64 s[8:9], s[2:3]
	s_cbranch_execz .LBB4288_62
; %bb.61:
	v_lshlrev_b32_e32 v1, 1, v0
	v_lshrrev_b32_e32 v19, 4, v0
	v_add_lshl_u32 v1, v19, v1, 2
	ds_read2_b32 v[20:21], v1 offset1:1
	v_mbcnt_lo_u32_b32 v19, -1, 0
	v_mbcnt_hi_u32_b32 v19, -1, v19
	v_and_b32_e32 v35, 15, v19
	v_cmp_eq_u32_e64 s[2:3], 0, v35
	s_waitcnt lgkmcnt(0)
	v_add_f32_e32 v21, v20, v21
	v_cmp_lt_u32_e64 s[4:5], 3, v35
	v_cmp_lt_u32_e64 s[6:7], 31, v19
	v_mov_b32_dpp v36, v21 row_shr:1 row_mask:0xf bank_mask:0xf
	v_add_f32_e32 v36, v21, v36
	v_cndmask_b32_e64 v21, v36, v21, s[2:3]
	v_cmp_lt_u32_e64 s[2:3], 1, v35
	s_nop 0
	v_mov_b32_dpp v36, v21 row_shr:2 row_mask:0xf bank_mask:0xf
	v_add_f32_e32 v36, v21, v36
	v_cndmask_b32_e64 v36, v21, v36, s[2:3]
	; wave barrier
	s_nop 1
	v_mov_b32_dpp v37, v36 row_shr:4 row_mask:0xf bank_mask:0xf
	v_add_f32_e32 v37, v36, v37
	v_cndmask_b32_e64 v36, v36, v37, s[4:5]
	v_cmp_lt_u32_e64 s[4:5], 7, v35
	s_nop 0
	v_mov_b32_dpp v37, v36 row_shr:8 row_mask:0xf bank_mask:0xf
	v_add_f32_e32 v37, v36, v37
	v_cndmask_b32_e64 v35, v36, v37, s[4:5]
	v_and_b32_e32 v37, 16, v19
	v_cmp_eq_u32_e64 s[4:5], 0, v37
	v_mov_b32_dpp v36, v35 row_bcast:15 row_mask:0xf bank_mask:0xf
	v_add_f32_e32 v36, v35, v36
	v_cndmask_b32_e64 v35, v36, v35, s[4:5]
	v_cmp_lt_u32_e64 s[4:5], 15, v19
	s_or_b64 s[2:3], s[4:5], s[2:3]
	v_mov_b32_dpp v36, v35 row_bcast:31 row_mask:0xf bank_mask:0xf
	v_add_f32_e32 v36, v35, v36
	v_cndmask_b32_e64 v35, v35, v36, s[6:7]
	v_cndmask_b32_e64 v21, v21, v35, s[2:3]
	v_add_u32_e32 v35, -1, v19
	v_and_b32_e32 v36, 64, v19
	v_cmp_lt_i32_e64 s[2:3], v35, v36
	v_cndmask_b32_e64 v19, v35, v19, s[2:3]
	v_lshlrev_b32_e32 v19, 2, v19
	ds_bpermute_b32 v19, v19, v21
	s_waitcnt lgkmcnt(0)
	v_add_f32_e32 v19, v20, v19
	v_cndmask_b32_e64 v19, v19, v15, s[0:1]
	ds_write_b32 v1, v19
	; wave barrier
	ds_read_b32 v20, v1 offset:4
	s_waitcnt lgkmcnt(0)
	v_add_f32_e32 v19, v19, v20
	ds_write_b32 v1, v19 offset:4
.LBB4288_62:
	s_or_b64 exec, exec, s[8:9]
	v_mov_b32_e32 v1, v15
	s_waitcnt lgkmcnt(0)
	s_barrier
	s_and_saveexec_b64 s[0:1], vcc
	s_cbranch_execz .LBB4288_64
; %bb.63:
	v_add_u32_e32 v1, -1, v0
	v_lshrrev_b32_e32 v19, 5, v1
	v_add_lshl_u32 v1, v19, v1, 2
	ds_read_b32 v1, v1
.LBB4288_64:
	s_or_b64 exec, exec, s[0:1]
	s_and_saveexec_b64 s[0:1], vcc
	s_cbranch_execz .LBB4288_66
; %bb.65:
	s_waitcnt lgkmcnt(0)
	v_add_f32_e32 v2, v2, v1
	v_add_f32_e32 v16, v3, v2
	;; [unrolled: 1-line block ×14, first 2 shown]
	;;#ASMSTART
	;;#ASMEND
.LBB4288_66:
	s_or_b64 exec, exec, s[0:1]
	s_movk_i32 s0, 0x7f
	v_cmp_eq_u32_e32 vcc, s0, v0
	s_and_saveexec_b64 s[0:1], vcc
	s_cbranch_execz .LBB4288_68
; %bb.67:
	s_waitcnt lgkmcnt(0)
	v_mov_b32_e32 v1, 0
	v_mov_b32_e32 v5, 2
	;; [unrolled: 1-line block ×3, first 2 shown]
	global_store_dwordx2 v1, v[4:5], s[24:25] offset:512
.LBB4288_68:
	s_or_b64 exec, exec, s[0:1]
	v_mov_b32_e32 v3, v16
	v_mov_b32_e32 v4, v17
	;; [unrolled: 1-line block ×3, first 2 shown]
	v_pk_mov_b32 v[20:21], v[16:17], v[16:17] op_sel:[0,1]
	v_pk_mov_b32 v[18:19], v[14:15], v[14:15] op_sel:[0,1]
	;; [unrolled: 1-line block ×8, first 2 shown]
.LBB4288_69:
	s_add_u32 s0, s16, s20
	s_addc_u32 s1, s17, s21
	s_add_u32 s2, s0, s22
	s_addc_u32 s3, s1, s23
	s_mov_b64 s[0:1], -1
	s_and_b64 vcc, exec, s[18:19]
	s_waitcnt lgkmcnt(0)
	s_barrier
	s_cbranch_vccz .LBB4288_71
; %bb.70:
	ds_write2_b64 v34, v[6:7], v[8:9] offset1:1
	ds_write2_b64 v34, v[10:11], v[12:13] offset0:2 offset1:3
	ds_write2_b64 v34, v[14:15], v[16:17] offset0:4 offset1:5
	ds_write_b64 v34, v[18:19] offset:48
	s_waitcnt lgkmcnt(0)
	s_barrier
	ds_read2st64_b32 v[2:3], v32 offset1:2
	ds_read2st64_b32 v[4:5], v32 offset0:4 offset1:6
	ds_read2st64_b32 v[20:21], v32 offset0:8 offset1:10
	ds_read2st64_b32 v[22:23], v32 offset0:12 offset1:14
	ds_read2st64_b32 v[24:25], v32 offset0:16 offset1:18
	ds_read2st64_b32 v[26:27], v32 offset0:20 offset1:22
	ds_read2st64_b32 v[28:29], v32 offset0:24 offset1:26
	v_mov_b32_e32 v1, s3
	v_add_co_u32_e32 v30, vcc, s2, v32
	v_addc_co_u32_e32 v31, vcc, 0, v1, vcc
	s_waitcnt lgkmcnt(6)
	flat_store_dword v[30:31], v2
	flat_store_dword v[30:31], v3 offset:512
	s_waitcnt lgkmcnt(0)
	flat_store_dword v[30:31], v4 offset:1024
	flat_store_dword v[30:31], v5 offset:1536
	;; [unrolled: 1-line block ×6, first 2 shown]
	v_add_co_u32_e32 v2, vcc, 0x1000, v30
	v_addc_co_u32_e32 v3, vcc, 0, v31, vcc
	flat_store_dword v[2:3], v24
	flat_store_dword v[2:3], v25 offset:512
	flat_store_dword v[2:3], v26 offset:1024
	;; [unrolled: 1-line block ×5, first 2 shown]
	s_mov_b64 s[0:1], 0
.LBB4288_71:
	s_andn2_b64 vcc, exec, s[0:1]
	s_cbranch_vccnz .LBB4288_151
; %bb.72:
	s_movk_i32 s0, 0xffcc
	ds_write2_b64 v34, v[6:7], v[8:9] offset1:1
	ds_write2_b64 v34, v[10:11], v[12:13] offset0:2 offset1:3
	ds_write2_b64 v34, v[14:15], v[16:17] offset0:4 offset1:5
	ds_write_b64 v34, v[18:19] offset:48
	v_mad_i32_i24 v14, v0, s0, v34
	s_waitcnt lgkmcnt(0)
	s_barrier
	ds_read2st64_b32 v[4:5], v14 offset1:2
	ds_read2st64_b32 v[6:7], v14 offset0:4 offset1:6
	ds_read2st64_b32 v[8:9], v14 offset0:8 offset1:10
	;; [unrolled: 1-line block ×6, first 2 shown]
	v_mov_b32_e32 v17, s3
	v_add_co_u32_e32 v16, vcc, s2, v32
	v_addc_co_u32_e32 v17, vcc, 0, v17, vcc
	v_mov_b32_e32 v1, 0
	v_cmp_gt_u32_e32 vcc, s28, v0
	s_and_saveexec_b64 s[0:1], vcc
	s_cbranch_execz .LBB4288_74
; %bb.73:
	s_waitcnt lgkmcnt(0)
	flat_store_dword v[16:17], v4
.LBB4288_74:
	s_or_b64 exec, exec, s[0:1]
	v_or_b32_e32 v18, 0x80, v0
	v_cmp_gt_u32_e32 vcc, s28, v18
	s_and_saveexec_b64 s[0:1], vcc
	s_cbranch_execz .LBB4288_76
; %bb.75:
	s_waitcnt lgkmcnt(0)
	flat_store_dword v[16:17], v5 offset:512
.LBB4288_76:
	s_or_b64 exec, exec, s[0:1]
	v_or_b32_e32 v18, 0x100, v0
	v_cmp_gt_u32_e32 vcc, s28, v18
	s_and_saveexec_b64 s[0:1], vcc
	s_cbranch_execz .LBB4288_78
; %bb.77:
	s_waitcnt lgkmcnt(0)
	flat_store_dword v[16:17], v6 offset:1024
.LBB4288_78:
	;; [unrolled: 9-line block ×7, first 2 shown]
	s_or_b64 exec, exec, s[0:1]
	v_or_b32_e32 v18, 0x400, v0
	v_cmp_gt_u32_e32 vcc, s28, v18
	s_and_saveexec_b64 s[0:1], vcc
	s_cbranch_execz .LBB4288_90
; %bb.89:
	v_add_co_u32_e32 v18, vcc, 0x1000, v16
	v_addc_co_u32_e32 v19, vcc, 0, v17, vcc
	s_waitcnt lgkmcnt(0)
	flat_store_dword v[18:19], v12
.LBB4288_90:
	s_or_b64 exec, exec, s[0:1]
	v_or_b32_e32 v18, 0x480, v0
	v_cmp_gt_u32_e32 vcc, s28, v18
	s_and_saveexec_b64 s[0:1], vcc
	s_cbranch_execz .LBB4288_92
; %bb.91:
	v_add_co_u32_e32 v18, vcc, 0x1000, v16
	v_addc_co_u32_e32 v19, vcc, 0, v17, vcc
	s_waitcnt lgkmcnt(0)
	flat_store_dword v[18:19], v13 offset:512
.LBB4288_92:
	s_or_b64 exec, exec, s[0:1]
	v_or_b32_e32 v18, 0x500, v0
	v_cmp_gt_u32_e32 vcc, s28, v18
	s_and_saveexec_b64 s[0:1], vcc
	s_cbranch_execz .LBB4288_94
; %bb.93:
	v_add_co_u32_e32 v18, vcc, 0x1000, v16
	v_addc_co_u32_e32 v19, vcc, 0, v17, vcc
	s_waitcnt lgkmcnt(0)
	flat_store_dword v[18:19], v10 offset:1024
.LBB4288_94:
	;; [unrolled: 11-line block ×5, first 2 shown]
	s_or_b64 exec, exec, s[0:1]
	v_cmp_lt_u64_e64 s[0:1], s[14:15], 2
	s_and_b64 vcc, exec, s[0:1]
	s_cbranch_vccnz .LBB4288_151
; %bb.101:
	s_add_u32 s0, s28, -1
	s_addc_u32 s1, s29, -1
	s_add_u32 s2, 0, 0x49240800
	s_addc_u32 s3, 0, 50
	s_add_i32 s3, s3, 0x12492460
	s_mul_hi_u32 s7, s2, -14
	s_sub_i32 s7, s7, s2
	s_mul_i32 s8, s3, -14
	s_mul_i32 s4, s2, -14
	s_add_i32 s7, s7, s8
	s_mul_hi_u32 s5, s3, s4
	s_mul_i32 s6, s3, s4
	s_mul_i32 s9, s2, s7
	s_mul_hi_u32 s4, s2, s4
	s_mul_hi_u32 s8, s2, s7
	s_add_u32 s4, s4, s9
	s_addc_u32 s8, 0, s8
	s_add_u32 s4, s4, s6
	s_mul_hi_u32 s9, s3, s7
	s_addc_u32 s4, s8, s5
	s_addc_u32 s5, s9, 0
	s_mul_i32 s6, s3, s7
	s_add_u32 s4, s4, s6
	v_mov_b32_e32 v16, s4
	s_addc_u32 s5, 0, s5
	v_add_co_u32_e32 v16, vcc, s2, v16
	s_cmp_lg_u64 vcc, 0
	s_addc_u32 s2, s3, s5
	v_readfirstlane_b32 s5, v16
	s_mul_i32 s4, s0, s2
	s_mul_hi_u32 s6, s0, s5
	s_mul_hi_u32 s3, s0, s2
	s_add_u32 s4, s6, s4
	s_addc_u32 s3, 0, s3
	s_mul_hi_u32 s7, s1, s5
	s_mul_i32 s5, s1, s5
	s_add_u32 s4, s4, s5
	s_mul_hi_u32 s6, s1, s2
	s_addc_u32 s3, s3, s7
	s_addc_u32 s4, s6, 0
	s_mul_i32 s2, s1, s2
	s_add_u32 s2, s3, s2
	s_addc_u32 s3, 0, s4
	s_add_u32 s4, s2, 1
	s_addc_u32 s5, s3, 0
	s_add_u32 s6, s2, 2
	s_mul_i32 s8, s3, 14
	s_mul_hi_u32 s9, s2, 14
	s_addc_u32 s7, s3, 0
	s_add_i32 s9, s9, s8
	s_mul_i32 s8, s2, 14
	v_mov_b32_e32 v16, s8
	v_sub_co_u32_e32 v16, vcc, s0, v16
	s_cmp_lg_u64 vcc, 0
	s_subb_u32 s8, s1, s9
	v_subrev_co_u32_e32 v17, vcc, 14, v16
	s_cmp_lg_u64 vcc, 0
	s_subb_u32 s9, s8, 0
	v_readfirstlane_b32 s12, v17
	s_cmp_gt_u32 s12, 13
	s_cselect_b32 s12, -1, 0
	s_cmp_eq_u32 s9, 0
	s_cselect_b32 s9, s12, -1
	s_cmp_lg_u32 s9, 0
	s_cselect_b32 s4, s6, s4
	v_readfirstlane_b32 s6, v16
	s_cselect_b32 s5, s7, s5
	s_cmp_gt_u32 s6, 13
	s_cselect_b32 s6, -1, 0
	s_cmp_eq_u32 s8, 0
	s_cselect_b32 s6, s6, -1
	s_cmp_lg_u32 s6, 0
	s_cselect_b32 s3, s5, s3
	s_cselect_b32 s2, s4, s2
	v_cmp_eq_u64_e32 vcc, s[2:3], v[0:1]
	s_and_saveexec_b64 s[2:3], vcc
	s_cbranch_execz .LBB4288_151
; %bb.102:
	v_mul_hi_u32_u24_e32 v1, 14, v0
	v_mov_b32_e32 v16, s1
	v_sub_co_u32_e32 v0, vcc, s0, v33
	v_subb_co_u32_e32 v1, vcc, v16, v1, vcc
	v_cmp_lt_i64_e32 vcc, 6, v[0:1]
	s_and_saveexec_b64 s[0:1], vcc
	s_xor_b64 s[0:1], exec, s[0:1]
	s_cbranch_execz .LBB4288_128
; %bb.103:
	v_cmp_lt_i64_e32 vcc, 9, v[0:1]
	s_and_saveexec_b64 s[2:3], vcc
	s_xor_b64 s[2:3], exec, s[2:3]
	s_cbranch_execz .LBB4288_117
; %bb.104:
	;; [unrolled: 5-line block ×4, first 2 shown]
	v_mov_b32_e32 v0, 0
	s_waitcnt lgkmcnt(0)
	global_store_dword v0, v15, s[10:11]
                                        ; implicit-def: $vgpr14_vgpr15
.LBB4288_107:
	s_andn2_saveexec_b64 s[6:7], s[6:7]
	s_cbranch_execz .LBB4288_109
; %bb.108:
	v_mov_b32_e32 v0, 0
	s_waitcnt lgkmcnt(0)
	global_store_dword v0, v14, s[10:11]
.LBB4288_109:
	s_or_b64 exec, exec, s[6:7]
                                        ; implicit-def: $vgpr10_vgpr11
                                        ; implicit-def: $vgpr0_vgpr1
.LBB4288_110:
	s_andn2_saveexec_b64 s[4:5], s[4:5]
	s_cbranch_execz .LBB4288_116
; %bb.111:
	v_cmp_lt_i64_e32 vcc, 10, v[0:1]
	s_and_saveexec_b64 s[6:7], vcc
	s_xor_b64 s[6:7], exec, s[6:7]
	s_cbranch_execz .LBB4288_113
; %bb.112:
	v_mov_b32_e32 v0, 0
	s_waitcnt lgkmcnt(0)
	global_store_dword v0, v11, s[10:11]
                                        ; implicit-def: $vgpr10_vgpr11
.LBB4288_113:
	s_andn2_saveexec_b64 s[6:7], s[6:7]
	s_cbranch_execz .LBB4288_115
; %bb.114:
	v_mov_b32_e32 v0, 0
	s_waitcnt lgkmcnt(0)
	global_store_dword v0, v10, s[10:11]
.LBB4288_115:
	s_or_b64 exec, exec, s[6:7]
.LBB4288_116:
	s_or_b64 exec, exec, s[4:5]
                                        ; implicit-def: $vgpr2_vgpr3
                                        ; implicit-def: $vgpr0_vgpr1
                                        ; implicit-def: $vgpr12_vgpr13
.LBB4288_117:
	s_andn2_saveexec_b64 s[2:3], s[2:3]
	s_cbranch_execz .LBB4288_127
; %bb.118:
	v_cmp_lt_i64_e32 vcc, 7, v[0:1]
	s_and_saveexec_b64 s[4:5], vcc
	s_xor_b64 s[4:5], exec, s[4:5]
	s_cbranch_execz .LBB4288_124
; %bb.119:
	v_cmp_lt_i64_e32 vcc, 8, v[0:1]
	s_and_saveexec_b64 s[6:7], vcc
	s_xor_b64 s[6:7], exec, s[6:7]
	s_cbranch_execz .LBB4288_121
; %bb.120:
	v_mov_b32_e32 v0, 0
	s_waitcnt lgkmcnt(0)
	global_store_dword v0, v13, s[10:11]
                                        ; implicit-def: $vgpr12_vgpr13
.LBB4288_121:
	s_andn2_saveexec_b64 s[6:7], s[6:7]
	s_cbranch_execz .LBB4288_123
; %bb.122:
	v_mov_b32_e32 v0, 0
	s_waitcnt lgkmcnt(0)
	global_store_dword v0, v12, s[10:11]
.LBB4288_123:
	s_or_b64 exec, exec, s[6:7]
                                        ; implicit-def: $vgpr2_vgpr3
.LBB4288_124:
	s_andn2_saveexec_b64 s[4:5], s[4:5]
	s_cbranch_execz .LBB4288_126
; %bb.125:
	v_mov_b32_e32 v0, 0
	s_waitcnt lgkmcnt(0)
	global_store_dword v0, v3, s[10:11]
.LBB4288_126:
	s_or_b64 exec, exec, s[4:5]
.LBB4288_127:
	s_or_b64 exec, exec, s[2:3]
                                        ; implicit-def: $vgpr0_vgpr1
                                        ; implicit-def: $vgpr8_vgpr9
                                        ; implicit-def: $vgpr4_vgpr5
                                        ; implicit-def: $vgpr6_vgpr7
                                        ; implicit-def: $vgpr2_vgpr3
.LBB4288_128:
	s_andn2_saveexec_b64 s[0:1], s[0:1]
	s_cbranch_execz .LBB4288_151
; %bb.129:
	v_cmp_lt_i64_e32 vcc, 3, v[0:1]
	s_and_saveexec_b64 s[0:1], vcc
	s_xor_b64 s[0:1], exec, s[0:1]
	s_cbranch_execz .LBB4288_139
; %bb.130:
	v_cmp_lt_i64_e32 vcc, 4, v[0:1]
	s_and_saveexec_b64 s[2:3], vcc
	s_xor_b64 s[2:3], exec, s[2:3]
	;; [unrolled: 5-line block ×3, first 2 shown]
	s_cbranch_execz .LBB4288_133
; %bb.132:
	v_mov_b32_e32 v0, 0
	s_waitcnt lgkmcnt(0)
	global_store_dword v0, v2, s[10:11]
                                        ; implicit-def: $vgpr8_vgpr9
.LBB4288_133:
	s_andn2_saveexec_b64 s[4:5], s[4:5]
	s_cbranch_execz .LBB4288_135
; %bb.134:
	v_mov_b32_e32 v0, 0
	s_waitcnt lgkmcnt(0)
	global_store_dword v0, v9, s[10:11]
.LBB4288_135:
	s_or_b64 exec, exec, s[4:5]
                                        ; implicit-def: $vgpr8_vgpr9
.LBB4288_136:
	s_andn2_saveexec_b64 s[2:3], s[2:3]
	s_cbranch_execz .LBB4288_138
; %bb.137:
	v_mov_b32_e32 v0, 0
	s_waitcnt lgkmcnt(0)
	global_store_dword v0, v8, s[10:11]
.LBB4288_138:
	s_or_b64 exec, exec, s[2:3]
                                        ; implicit-def: $vgpr0_vgpr1
                                        ; implicit-def: $vgpr4_vgpr5
                                        ; implicit-def: $vgpr6_vgpr7
.LBB4288_139:
	s_andn2_saveexec_b64 s[0:1], s[0:1]
	s_cbranch_execz .LBB4288_151
; %bb.140:
	v_cmp_lt_i64_e32 vcc, 1, v[0:1]
	s_and_saveexec_b64 s[0:1], vcc
	s_xor_b64 s[0:1], exec, s[0:1]
	s_cbranch_execz .LBB4288_146
; %bb.141:
	v_cmp_lt_i64_e32 vcc, 2, v[0:1]
	s_and_saveexec_b64 s[2:3], vcc
	s_xor_b64 s[2:3], exec, s[2:3]
	s_cbranch_execz .LBB4288_143
; %bb.142:
	v_mov_b32_e32 v0, 0
	s_waitcnt lgkmcnt(0)
	global_store_dword v0, v7, s[10:11]
                                        ; implicit-def: $vgpr6_vgpr7
.LBB4288_143:
	s_andn2_saveexec_b64 s[2:3], s[2:3]
	s_cbranch_execz .LBB4288_145
; %bb.144:
	v_mov_b32_e32 v0, 0
	s_waitcnt lgkmcnt(0)
	global_store_dword v0, v6, s[10:11]
.LBB4288_145:
	s_or_b64 exec, exec, s[2:3]
                                        ; implicit-def: $vgpr4_vgpr5
                                        ; implicit-def: $vgpr0_vgpr1
.LBB4288_146:
	s_andn2_saveexec_b64 s[0:1], s[0:1]
	s_cbranch_execz .LBB4288_151
; %bb.147:
	v_cmp_ne_u64_e32 vcc, 1, v[0:1]
	s_and_saveexec_b64 s[0:1], vcc
	s_xor_b64 s[0:1], exec, s[0:1]
	s_cbranch_execz .LBB4288_149
; %bb.148:
	v_mov_b32_e32 v0, 0
	s_waitcnt lgkmcnt(0)
	global_store_dword v0, v4, s[10:11]
                                        ; implicit-def: $vgpr4_vgpr5
.LBB4288_149:
	s_andn2_saveexec_b64 s[0:1], s[0:1]
	s_cbranch_execz .LBB4288_151
; %bb.150:
	v_mov_b32_e32 v0, 0
	s_waitcnt lgkmcnt(0)
	global_store_dword v0, v5, s[10:11]
.LBB4288_151:
	s_endpgm
	.section	.rodata,"a",@progbits
	.p2align	6, 0x0
	.amdhsa_kernel _ZN7rocprim17ROCPRIM_400000_NS6detail17trampoline_kernelINS0_14default_configENS1_20scan_config_selectorIfEEZZNS1_9scan_implILNS1_25lookback_scan_determinismE0ELb0ELb0ES3_N6thrust23THRUST_200600_302600_NS6detail15normal_iteratorINS9_10device_ptrIfEEEESE_fNS9_4plusIvEEfEEDaPvRmT3_T4_T5_mT6_P12ihipStream_tbENKUlT_T0_E_clISt17integral_constantIbLb0EESU_EEDaSP_SQ_EUlSP_E_NS1_11comp_targetILNS1_3genE4ELNS1_11target_archE910ELNS1_3gpuE8ELNS1_3repE0EEENS1_30default_config_static_selectorELNS0_4arch9wavefront6targetE1EEEvT1_
		.amdhsa_group_segment_fixed_size 7168
		.amdhsa_private_segment_fixed_size 0
		.amdhsa_kernarg_size 96
		.amdhsa_user_sgpr_count 6
		.amdhsa_user_sgpr_private_segment_buffer 1
		.amdhsa_user_sgpr_dispatch_ptr 0
		.amdhsa_user_sgpr_queue_ptr 0
		.amdhsa_user_sgpr_kernarg_segment_ptr 1
		.amdhsa_user_sgpr_dispatch_id 0
		.amdhsa_user_sgpr_flat_scratch_init 0
		.amdhsa_user_sgpr_kernarg_preload_length 0
		.amdhsa_user_sgpr_kernarg_preload_offset 0
		.amdhsa_user_sgpr_private_segment_size 0
		.amdhsa_uses_dynamic_stack 0
		.amdhsa_system_sgpr_private_segment_wavefront_offset 0
		.amdhsa_system_sgpr_workgroup_id_x 1
		.amdhsa_system_sgpr_workgroup_id_y 0
		.amdhsa_system_sgpr_workgroup_id_z 0
		.amdhsa_system_sgpr_workgroup_info 0
		.amdhsa_system_vgpr_workitem_id 0
		.amdhsa_next_free_vgpr 48
		.amdhsa_next_free_sgpr 30
		.amdhsa_accum_offset 48
		.amdhsa_reserve_vcc 1
		.amdhsa_reserve_flat_scratch 0
		.amdhsa_float_round_mode_32 0
		.amdhsa_float_round_mode_16_64 0
		.amdhsa_float_denorm_mode_32 3
		.amdhsa_float_denorm_mode_16_64 3
		.amdhsa_dx10_clamp 1
		.amdhsa_ieee_mode 1
		.amdhsa_fp16_overflow 0
		.amdhsa_tg_split 0
		.amdhsa_exception_fp_ieee_invalid_op 0
		.amdhsa_exception_fp_denorm_src 0
		.amdhsa_exception_fp_ieee_div_zero 0
		.amdhsa_exception_fp_ieee_overflow 0
		.amdhsa_exception_fp_ieee_underflow 0
		.amdhsa_exception_fp_ieee_inexact 0
		.amdhsa_exception_int_div_zero 0
	.end_amdhsa_kernel
	.section	.text._ZN7rocprim17ROCPRIM_400000_NS6detail17trampoline_kernelINS0_14default_configENS1_20scan_config_selectorIfEEZZNS1_9scan_implILNS1_25lookback_scan_determinismE0ELb0ELb0ES3_N6thrust23THRUST_200600_302600_NS6detail15normal_iteratorINS9_10device_ptrIfEEEESE_fNS9_4plusIvEEfEEDaPvRmT3_T4_T5_mT6_P12ihipStream_tbENKUlT_T0_E_clISt17integral_constantIbLb0EESU_EEDaSP_SQ_EUlSP_E_NS1_11comp_targetILNS1_3genE4ELNS1_11target_archE910ELNS1_3gpuE8ELNS1_3repE0EEENS1_30default_config_static_selectorELNS0_4arch9wavefront6targetE1EEEvT1_,"axG",@progbits,_ZN7rocprim17ROCPRIM_400000_NS6detail17trampoline_kernelINS0_14default_configENS1_20scan_config_selectorIfEEZZNS1_9scan_implILNS1_25lookback_scan_determinismE0ELb0ELb0ES3_N6thrust23THRUST_200600_302600_NS6detail15normal_iteratorINS9_10device_ptrIfEEEESE_fNS9_4plusIvEEfEEDaPvRmT3_T4_T5_mT6_P12ihipStream_tbENKUlT_T0_E_clISt17integral_constantIbLb0EESU_EEDaSP_SQ_EUlSP_E_NS1_11comp_targetILNS1_3genE4ELNS1_11target_archE910ELNS1_3gpuE8ELNS1_3repE0EEENS1_30default_config_static_selectorELNS0_4arch9wavefront6targetE1EEEvT1_,comdat
.Lfunc_end4288:
	.size	_ZN7rocprim17ROCPRIM_400000_NS6detail17trampoline_kernelINS0_14default_configENS1_20scan_config_selectorIfEEZZNS1_9scan_implILNS1_25lookback_scan_determinismE0ELb0ELb0ES3_N6thrust23THRUST_200600_302600_NS6detail15normal_iteratorINS9_10device_ptrIfEEEESE_fNS9_4plusIvEEfEEDaPvRmT3_T4_T5_mT6_P12ihipStream_tbENKUlT_T0_E_clISt17integral_constantIbLb0EESU_EEDaSP_SQ_EUlSP_E_NS1_11comp_targetILNS1_3genE4ELNS1_11target_archE910ELNS1_3gpuE8ELNS1_3repE0EEENS1_30default_config_static_selectorELNS0_4arch9wavefront6targetE1EEEvT1_, .Lfunc_end4288-_ZN7rocprim17ROCPRIM_400000_NS6detail17trampoline_kernelINS0_14default_configENS1_20scan_config_selectorIfEEZZNS1_9scan_implILNS1_25lookback_scan_determinismE0ELb0ELb0ES3_N6thrust23THRUST_200600_302600_NS6detail15normal_iteratorINS9_10device_ptrIfEEEESE_fNS9_4plusIvEEfEEDaPvRmT3_T4_T5_mT6_P12ihipStream_tbENKUlT_T0_E_clISt17integral_constantIbLb0EESU_EEDaSP_SQ_EUlSP_E_NS1_11comp_targetILNS1_3genE4ELNS1_11target_archE910ELNS1_3gpuE8ELNS1_3repE0EEENS1_30default_config_static_selectorELNS0_4arch9wavefront6targetE1EEEvT1_
                                        ; -- End function
	.section	.AMDGPU.csdata,"",@progbits
; Kernel info:
; codeLenInByte = 5700
; NumSgprs: 34
; NumVgprs: 48
; NumAgprs: 0
; TotalNumVgprs: 48
; ScratchSize: 0
; MemoryBound: 0
; FloatMode: 240
; IeeeMode: 1
; LDSByteSize: 7168 bytes/workgroup (compile time only)
; SGPRBlocks: 4
; VGPRBlocks: 5
; NumSGPRsForWavesPerEU: 34
; NumVGPRsForWavesPerEU: 48
; AccumOffset: 48
; Occupancy: 5
; WaveLimiterHint : 1
; COMPUTE_PGM_RSRC2:SCRATCH_EN: 0
; COMPUTE_PGM_RSRC2:USER_SGPR: 6
; COMPUTE_PGM_RSRC2:TRAP_HANDLER: 0
; COMPUTE_PGM_RSRC2:TGID_X_EN: 1
; COMPUTE_PGM_RSRC2:TGID_Y_EN: 0
; COMPUTE_PGM_RSRC2:TGID_Z_EN: 0
; COMPUTE_PGM_RSRC2:TIDIG_COMP_CNT: 0
; COMPUTE_PGM_RSRC3_GFX90A:ACCUM_OFFSET: 11
; COMPUTE_PGM_RSRC3_GFX90A:TG_SPLIT: 0
	.section	.text._ZN7rocprim17ROCPRIM_400000_NS6detail17trampoline_kernelINS0_14default_configENS1_20scan_config_selectorIfEEZZNS1_9scan_implILNS1_25lookback_scan_determinismE0ELb0ELb0ES3_N6thrust23THRUST_200600_302600_NS6detail15normal_iteratorINS9_10device_ptrIfEEEESE_fNS9_4plusIvEEfEEDaPvRmT3_T4_T5_mT6_P12ihipStream_tbENKUlT_T0_E_clISt17integral_constantIbLb0EESU_EEDaSP_SQ_EUlSP_E_NS1_11comp_targetILNS1_3genE3ELNS1_11target_archE908ELNS1_3gpuE7ELNS1_3repE0EEENS1_30default_config_static_selectorELNS0_4arch9wavefront6targetE1EEEvT1_,"axG",@progbits,_ZN7rocprim17ROCPRIM_400000_NS6detail17trampoline_kernelINS0_14default_configENS1_20scan_config_selectorIfEEZZNS1_9scan_implILNS1_25lookback_scan_determinismE0ELb0ELb0ES3_N6thrust23THRUST_200600_302600_NS6detail15normal_iteratorINS9_10device_ptrIfEEEESE_fNS9_4plusIvEEfEEDaPvRmT3_T4_T5_mT6_P12ihipStream_tbENKUlT_T0_E_clISt17integral_constantIbLb0EESU_EEDaSP_SQ_EUlSP_E_NS1_11comp_targetILNS1_3genE3ELNS1_11target_archE908ELNS1_3gpuE7ELNS1_3repE0EEENS1_30default_config_static_selectorELNS0_4arch9wavefront6targetE1EEEvT1_,comdat
	.protected	_ZN7rocprim17ROCPRIM_400000_NS6detail17trampoline_kernelINS0_14default_configENS1_20scan_config_selectorIfEEZZNS1_9scan_implILNS1_25lookback_scan_determinismE0ELb0ELb0ES3_N6thrust23THRUST_200600_302600_NS6detail15normal_iteratorINS9_10device_ptrIfEEEESE_fNS9_4plusIvEEfEEDaPvRmT3_T4_T5_mT6_P12ihipStream_tbENKUlT_T0_E_clISt17integral_constantIbLb0EESU_EEDaSP_SQ_EUlSP_E_NS1_11comp_targetILNS1_3genE3ELNS1_11target_archE908ELNS1_3gpuE7ELNS1_3repE0EEENS1_30default_config_static_selectorELNS0_4arch9wavefront6targetE1EEEvT1_ ; -- Begin function _ZN7rocprim17ROCPRIM_400000_NS6detail17trampoline_kernelINS0_14default_configENS1_20scan_config_selectorIfEEZZNS1_9scan_implILNS1_25lookback_scan_determinismE0ELb0ELb0ES3_N6thrust23THRUST_200600_302600_NS6detail15normal_iteratorINS9_10device_ptrIfEEEESE_fNS9_4plusIvEEfEEDaPvRmT3_T4_T5_mT6_P12ihipStream_tbENKUlT_T0_E_clISt17integral_constantIbLb0EESU_EEDaSP_SQ_EUlSP_E_NS1_11comp_targetILNS1_3genE3ELNS1_11target_archE908ELNS1_3gpuE7ELNS1_3repE0EEENS1_30default_config_static_selectorELNS0_4arch9wavefront6targetE1EEEvT1_
	.globl	_ZN7rocprim17ROCPRIM_400000_NS6detail17trampoline_kernelINS0_14default_configENS1_20scan_config_selectorIfEEZZNS1_9scan_implILNS1_25lookback_scan_determinismE0ELb0ELb0ES3_N6thrust23THRUST_200600_302600_NS6detail15normal_iteratorINS9_10device_ptrIfEEEESE_fNS9_4plusIvEEfEEDaPvRmT3_T4_T5_mT6_P12ihipStream_tbENKUlT_T0_E_clISt17integral_constantIbLb0EESU_EEDaSP_SQ_EUlSP_E_NS1_11comp_targetILNS1_3genE3ELNS1_11target_archE908ELNS1_3gpuE7ELNS1_3repE0EEENS1_30default_config_static_selectorELNS0_4arch9wavefront6targetE1EEEvT1_
	.p2align	8
	.type	_ZN7rocprim17ROCPRIM_400000_NS6detail17trampoline_kernelINS0_14default_configENS1_20scan_config_selectorIfEEZZNS1_9scan_implILNS1_25lookback_scan_determinismE0ELb0ELb0ES3_N6thrust23THRUST_200600_302600_NS6detail15normal_iteratorINS9_10device_ptrIfEEEESE_fNS9_4plusIvEEfEEDaPvRmT3_T4_T5_mT6_P12ihipStream_tbENKUlT_T0_E_clISt17integral_constantIbLb0EESU_EEDaSP_SQ_EUlSP_E_NS1_11comp_targetILNS1_3genE3ELNS1_11target_archE908ELNS1_3gpuE7ELNS1_3repE0EEENS1_30default_config_static_selectorELNS0_4arch9wavefront6targetE1EEEvT1_,@function
_ZN7rocprim17ROCPRIM_400000_NS6detail17trampoline_kernelINS0_14default_configENS1_20scan_config_selectorIfEEZZNS1_9scan_implILNS1_25lookback_scan_determinismE0ELb0ELb0ES3_N6thrust23THRUST_200600_302600_NS6detail15normal_iteratorINS9_10device_ptrIfEEEESE_fNS9_4plusIvEEfEEDaPvRmT3_T4_T5_mT6_P12ihipStream_tbENKUlT_T0_E_clISt17integral_constantIbLb0EESU_EEDaSP_SQ_EUlSP_E_NS1_11comp_targetILNS1_3genE3ELNS1_11target_archE908ELNS1_3gpuE7ELNS1_3repE0EEENS1_30default_config_static_selectorELNS0_4arch9wavefront6targetE1EEEvT1_: ; @_ZN7rocprim17ROCPRIM_400000_NS6detail17trampoline_kernelINS0_14default_configENS1_20scan_config_selectorIfEEZZNS1_9scan_implILNS1_25lookback_scan_determinismE0ELb0ELb0ES3_N6thrust23THRUST_200600_302600_NS6detail15normal_iteratorINS9_10device_ptrIfEEEESE_fNS9_4plusIvEEfEEDaPvRmT3_T4_T5_mT6_P12ihipStream_tbENKUlT_T0_E_clISt17integral_constantIbLb0EESU_EEDaSP_SQ_EUlSP_E_NS1_11comp_targetILNS1_3genE3ELNS1_11target_archE908ELNS1_3gpuE7ELNS1_3repE0EEENS1_30default_config_static_selectorELNS0_4arch9wavefront6targetE1EEEvT1_
; %bb.0:
	.section	.rodata,"a",@progbits
	.p2align	6, 0x0
	.amdhsa_kernel _ZN7rocprim17ROCPRIM_400000_NS6detail17trampoline_kernelINS0_14default_configENS1_20scan_config_selectorIfEEZZNS1_9scan_implILNS1_25lookback_scan_determinismE0ELb0ELb0ES3_N6thrust23THRUST_200600_302600_NS6detail15normal_iteratorINS9_10device_ptrIfEEEESE_fNS9_4plusIvEEfEEDaPvRmT3_T4_T5_mT6_P12ihipStream_tbENKUlT_T0_E_clISt17integral_constantIbLb0EESU_EEDaSP_SQ_EUlSP_E_NS1_11comp_targetILNS1_3genE3ELNS1_11target_archE908ELNS1_3gpuE7ELNS1_3repE0EEENS1_30default_config_static_selectorELNS0_4arch9wavefront6targetE1EEEvT1_
		.amdhsa_group_segment_fixed_size 0
		.amdhsa_private_segment_fixed_size 0
		.amdhsa_kernarg_size 96
		.amdhsa_user_sgpr_count 6
		.amdhsa_user_sgpr_private_segment_buffer 1
		.amdhsa_user_sgpr_dispatch_ptr 0
		.amdhsa_user_sgpr_queue_ptr 0
		.amdhsa_user_sgpr_kernarg_segment_ptr 1
		.amdhsa_user_sgpr_dispatch_id 0
		.amdhsa_user_sgpr_flat_scratch_init 0
		.amdhsa_user_sgpr_kernarg_preload_length 0
		.amdhsa_user_sgpr_kernarg_preload_offset 0
		.amdhsa_user_sgpr_private_segment_size 0
		.amdhsa_uses_dynamic_stack 0
		.amdhsa_system_sgpr_private_segment_wavefront_offset 0
		.amdhsa_system_sgpr_workgroup_id_x 1
		.amdhsa_system_sgpr_workgroup_id_y 0
		.amdhsa_system_sgpr_workgroup_id_z 0
		.amdhsa_system_sgpr_workgroup_info 0
		.amdhsa_system_vgpr_workitem_id 0
		.amdhsa_next_free_vgpr 1
		.amdhsa_next_free_sgpr 0
		.amdhsa_accum_offset 4
		.amdhsa_reserve_vcc 0
		.amdhsa_reserve_flat_scratch 0
		.amdhsa_float_round_mode_32 0
		.amdhsa_float_round_mode_16_64 0
		.amdhsa_float_denorm_mode_32 3
		.amdhsa_float_denorm_mode_16_64 3
		.amdhsa_dx10_clamp 1
		.amdhsa_ieee_mode 1
		.amdhsa_fp16_overflow 0
		.amdhsa_tg_split 0
		.amdhsa_exception_fp_ieee_invalid_op 0
		.amdhsa_exception_fp_denorm_src 0
		.amdhsa_exception_fp_ieee_div_zero 0
		.amdhsa_exception_fp_ieee_overflow 0
		.amdhsa_exception_fp_ieee_underflow 0
		.amdhsa_exception_fp_ieee_inexact 0
		.amdhsa_exception_int_div_zero 0
	.end_amdhsa_kernel
	.section	.text._ZN7rocprim17ROCPRIM_400000_NS6detail17trampoline_kernelINS0_14default_configENS1_20scan_config_selectorIfEEZZNS1_9scan_implILNS1_25lookback_scan_determinismE0ELb0ELb0ES3_N6thrust23THRUST_200600_302600_NS6detail15normal_iteratorINS9_10device_ptrIfEEEESE_fNS9_4plusIvEEfEEDaPvRmT3_T4_T5_mT6_P12ihipStream_tbENKUlT_T0_E_clISt17integral_constantIbLb0EESU_EEDaSP_SQ_EUlSP_E_NS1_11comp_targetILNS1_3genE3ELNS1_11target_archE908ELNS1_3gpuE7ELNS1_3repE0EEENS1_30default_config_static_selectorELNS0_4arch9wavefront6targetE1EEEvT1_,"axG",@progbits,_ZN7rocprim17ROCPRIM_400000_NS6detail17trampoline_kernelINS0_14default_configENS1_20scan_config_selectorIfEEZZNS1_9scan_implILNS1_25lookback_scan_determinismE0ELb0ELb0ES3_N6thrust23THRUST_200600_302600_NS6detail15normal_iteratorINS9_10device_ptrIfEEEESE_fNS9_4plusIvEEfEEDaPvRmT3_T4_T5_mT6_P12ihipStream_tbENKUlT_T0_E_clISt17integral_constantIbLb0EESU_EEDaSP_SQ_EUlSP_E_NS1_11comp_targetILNS1_3genE3ELNS1_11target_archE908ELNS1_3gpuE7ELNS1_3repE0EEENS1_30default_config_static_selectorELNS0_4arch9wavefront6targetE1EEEvT1_,comdat
.Lfunc_end4289:
	.size	_ZN7rocprim17ROCPRIM_400000_NS6detail17trampoline_kernelINS0_14default_configENS1_20scan_config_selectorIfEEZZNS1_9scan_implILNS1_25lookback_scan_determinismE0ELb0ELb0ES3_N6thrust23THRUST_200600_302600_NS6detail15normal_iteratorINS9_10device_ptrIfEEEESE_fNS9_4plusIvEEfEEDaPvRmT3_T4_T5_mT6_P12ihipStream_tbENKUlT_T0_E_clISt17integral_constantIbLb0EESU_EEDaSP_SQ_EUlSP_E_NS1_11comp_targetILNS1_3genE3ELNS1_11target_archE908ELNS1_3gpuE7ELNS1_3repE0EEENS1_30default_config_static_selectorELNS0_4arch9wavefront6targetE1EEEvT1_, .Lfunc_end4289-_ZN7rocprim17ROCPRIM_400000_NS6detail17trampoline_kernelINS0_14default_configENS1_20scan_config_selectorIfEEZZNS1_9scan_implILNS1_25lookback_scan_determinismE0ELb0ELb0ES3_N6thrust23THRUST_200600_302600_NS6detail15normal_iteratorINS9_10device_ptrIfEEEESE_fNS9_4plusIvEEfEEDaPvRmT3_T4_T5_mT6_P12ihipStream_tbENKUlT_T0_E_clISt17integral_constantIbLb0EESU_EEDaSP_SQ_EUlSP_E_NS1_11comp_targetILNS1_3genE3ELNS1_11target_archE908ELNS1_3gpuE7ELNS1_3repE0EEENS1_30default_config_static_selectorELNS0_4arch9wavefront6targetE1EEEvT1_
                                        ; -- End function
	.section	.AMDGPU.csdata,"",@progbits
; Kernel info:
; codeLenInByte = 0
; NumSgprs: 4
; NumVgprs: 0
; NumAgprs: 0
; TotalNumVgprs: 0
; ScratchSize: 0
; MemoryBound: 0
; FloatMode: 240
; IeeeMode: 1
; LDSByteSize: 0 bytes/workgroup (compile time only)
; SGPRBlocks: 0
; VGPRBlocks: 0
; NumSGPRsForWavesPerEU: 4
; NumVGPRsForWavesPerEU: 1
; AccumOffset: 4
; Occupancy: 8
; WaveLimiterHint : 0
; COMPUTE_PGM_RSRC2:SCRATCH_EN: 0
; COMPUTE_PGM_RSRC2:USER_SGPR: 6
; COMPUTE_PGM_RSRC2:TRAP_HANDLER: 0
; COMPUTE_PGM_RSRC2:TGID_X_EN: 1
; COMPUTE_PGM_RSRC2:TGID_Y_EN: 0
; COMPUTE_PGM_RSRC2:TGID_Z_EN: 0
; COMPUTE_PGM_RSRC2:TIDIG_COMP_CNT: 0
; COMPUTE_PGM_RSRC3_GFX90A:ACCUM_OFFSET: 0
; COMPUTE_PGM_RSRC3_GFX90A:TG_SPLIT: 0
	.section	.text._ZN7rocprim17ROCPRIM_400000_NS6detail17trampoline_kernelINS0_14default_configENS1_20scan_config_selectorIfEEZZNS1_9scan_implILNS1_25lookback_scan_determinismE0ELb0ELb0ES3_N6thrust23THRUST_200600_302600_NS6detail15normal_iteratorINS9_10device_ptrIfEEEESE_fNS9_4plusIvEEfEEDaPvRmT3_T4_T5_mT6_P12ihipStream_tbENKUlT_T0_E_clISt17integral_constantIbLb0EESU_EEDaSP_SQ_EUlSP_E_NS1_11comp_targetILNS1_3genE2ELNS1_11target_archE906ELNS1_3gpuE6ELNS1_3repE0EEENS1_30default_config_static_selectorELNS0_4arch9wavefront6targetE1EEEvT1_,"axG",@progbits,_ZN7rocprim17ROCPRIM_400000_NS6detail17trampoline_kernelINS0_14default_configENS1_20scan_config_selectorIfEEZZNS1_9scan_implILNS1_25lookback_scan_determinismE0ELb0ELb0ES3_N6thrust23THRUST_200600_302600_NS6detail15normal_iteratorINS9_10device_ptrIfEEEESE_fNS9_4plusIvEEfEEDaPvRmT3_T4_T5_mT6_P12ihipStream_tbENKUlT_T0_E_clISt17integral_constantIbLb0EESU_EEDaSP_SQ_EUlSP_E_NS1_11comp_targetILNS1_3genE2ELNS1_11target_archE906ELNS1_3gpuE6ELNS1_3repE0EEENS1_30default_config_static_selectorELNS0_4arch9wavefront6targetE1EEEvT1_,comdat
	.protected	_ZN7rocprim17ROCPRIM_400000_NS6detail17trampoline_kernelINS0_14default_configENS1_20scan_config_selectorIfEEZZNS1_9scan_implILNS1_25lookback_scan_determinismE0ELb0ELb0ES3_N6thrust23THRUST_200600_302600_NS6detail15normal_iteratorINS9_10device_ptrIfEEEESE_fNS9_4plusIvEEfEEDaPvRmT3_T4_T5_mT6_P12ihipStream_tbENKUlT_T0_E_clISt17integral_constantIbLb0EESU_EEDaSP_SQ_EUlSP_E_NS1_11comp_targetILNS1_3genE2ELNS1_11target_archE906ELNS1_3gpuE6ELNS1_3repE0EEENS1_30default_config_static_selectorELNS0_4arch9wavefront6targetE1EEEvT1_ ; -- Begin function _ZN7rocprim17ROCPRIM_400000_NS6detail17trampoline_kernelINS0_14default_configENS1_20scan_config_selectorIfEEZZNS1_9scan_implILNS1_25lookback_scan_determinismE0ELb0ELb0ES3_N6thrust23THRUST_200600_302600_NS6detail15normal_iteratorINS9_10device_ptrIfEEEESE_fNS9_4plusIvEEfEEDaPvRmT3_T4_T5_mT6_P12ihipStream_tbENKUlT_T0_E_clISt17integral_constantIbLb0EESU_EEDaSP_SQ_EUlSP_E_NS1_11comp_targetILNS1_3genE2ELNS1_11target_archE906ELNS1_3gpuE6ELNS1_3repE0EEENS1_30default_config_static_selectorELNS0_4arch9wavefront6targetE1EEEvT1_
	.globl	_ZN7rocprim17ROCPRIM_400000_NS6detail17trampoline_kernelINS0_14default_configENS1_20scan_config_selectorIfEEZZNS1_9scan_implILNS1_25lookback_scan_determinismE0ELb0ELb0ES3_N6thrust23THRUST_200600_302600_NS6detail15normal_iteratorINS9_10device_ptrIfEEEESE_fNS9_4plusIvEEfEEDaPvRmT3_T4_T5_mT6_P12ihipStream_tbENKUlT_T0_E_clISt17integral_constantIbLb0EESU_EEDaSP_SQ_EUlSP_E_NS1_11comp_targetILNS1_3genE2ELNS1_11target_archE906ELNS1_3gpuE6ELNS1_3repE0EEENS1_30default_config_static_selectorELNS0_4arch9wavefront6targetE1EEEvT1_
	.p2align	8
	.type	_ZN7rocprim17ROCPRIM_400000_NS6detail17trampoline_kernelINS0_14default_configENS1_20scan_config_selectorIfEEZZNS1_9scan_implILNS1_25lookback_scan_determinismE0ELb0ELb0ES3_N6thrust23THRUST_200600_302600_NS6detail15normal_iteratorINS9_10device_ptrIfEEEESE_fNS9_4plusIvEEfEEDaPvRmT3_T4_T5_mT6_P12ihipStream_tbENKUlT_T0_E_clISt17integral_constantIbLb0EESU_EEDaSP_SQ_EUlSP_E_NS1_11comp_targetILNS1_3genE2ELNS1_11target_archE906ELNS1_3gpuE6ELNS1_3repE0EEENS1_30default_config_static_selectorELNS0_4arch9wavefront6targetE1EEEvT1_,@function
_ZN7rocprim17ROCPRIM_400000_NS6detail17trampoline_kernelINS0_14default_configENS1_20scan_config_selectorIfEEZZNS1_9scan_implILNS1_25lookback_scan_determinismE0ELb0ELb0ES3_N6thrust23THRUST_200600_302600_NS6detail15normal_iteratorINS9_10device_ptrIfEEEESE_fNS9_4plusIvEEfEEDaPvRmT3_T4_T5_mT6_P12ihipStream_tbENKUlT_T0_E_clISt17integral_constantIbLb0EESU_EEDaSP_SQ_EUlSP_E_NS1_11comp_targetILNS1_3genE2ELNS1_11target_archE906ELNS1_3gpuE6ELNS1_3repE0EEENS1_30default_config_static_selectorELNS0_4arch9wavefront6targetE1EEEvT1_: ; @_ZN7rocprim17ROCPRIM_400000_NS6detail17trampoline_kernelINS0_14default_configENS1_20scan_config_selectorIfEEZZNS1_9scan_implILNS1_25lookback_scan_determinismE0ELb0ELb0ES3_N6thrust23THRUST_200600_302600_NS6detail15normal_iteratorINS9_10device_ptrIfEEEESE_fNS9_4plusIvEEfEEDaPvRmT3_T4_T5_mT6_P12ihipStream_tbENKUlT_T0_E_clISt17integral_constantIbLb0EESU_EEDaSP_SQ_EUlSP_E_NS1_11comp_targetILNS1_3genE2ELNS1_11target_archE906ELNS1_3gpuE6ELNS1_3repE0EEENS1_30default_config_static_selectorELNS0_4arch9wavefront6targetE1EEEvT1_
; %bb.0:
	.section	.rodata,"a",@progbits
	.p2align	6, 0x0
	.amdhsa_kernel _ZN7rocprim17ROCPRIM_400000_NS6detail17trampoline_kernelINS0_14default_configENS1_20scan_config_selectorIfEEZZNS1_9scan_implILNS1_25lookback_scan_determinismE0ELb0ELb0ES3_N6thrust23THRUST_200600_302600_NS6detail15normal_iteratorINS9_10device_ptrIfEEEESE_fNS9_4plusIvEEfEEDaPvRmT3_T4_T5_mT6_P12ihipStream_tbENKUlT_T0_E_clISt17integral_constantIbLb0EESU_EEDaSP_SQ_EUlSP_E_NS1_11comp_targetILNS1_3genE2ELNS1_11target_archE906ELNS1_3gpuE6ELNS1_3repE0EEENS1_30default_config_static_selectorELNS0_4arch9wavefront6targetE1EEEvT1_
		.amdhsa_group_segment_fixed_size 0
		.amdhsa_private_segment_fixed_size 0
		.amdhsa_kernarg_size 96
		.amdhsa_user_sgpr_count 6
		.amdhsa_user_sgpr_private_segment_buffer 1
		.amdhsa_user_sgpr_dispatch_ptr 0
		.amdhsa_user_sgpr_queue_ptr 0
		.amdhsa_user_sgpr_kernarg_segment_ptr 1
		.amdhsa_user_sgpr_dispatch_id 0
		.amdhsa_user_sgpr_flat_scratch_init 0
		.amdhsa_user_sgpr_kernarg_preload_length 0
		.amdhsa_user_sgpr_kernarg_preload_offset 0
		.amdhsa_user_sgpr_private_segment_size 0
		.amdhsa_uses_dynamic_stack 0
		.amdhsa_system_sgpr_private_segment_wavefront_offset 0
		.amdhsa_system_sgpr_workgroup_id_x 1
		.amdhsa_system_sgpr_workgroup_id_y 0
		.amdhsa_system_sgpr_workgroup_id_z 0
		.amdhsa_system_sgpr_workgroup_info 0
		.amdhsa_system_vgpr_workitem_id 0
		.amdhsa_next_free_vgpr 1
		.amdhsa_next_free_sgpr 0
		.amdhsa_accum_offset 4
		.amdhsa_reserve_vcc 0
		.amdhsa_reserve_flat_scratch 0
		.amdhsa_float_round_mode_32 0
		.amdhsa_float_round_mode_16_64 0
		.amdhsa_float_denorm_mode_32 3
		.amdhsa_float_denorm_mode_16_64 3
		.amdhsa_dx10_clamp 1
		.amdhsa_ieee_mode 1
		.amdhsa_fp16_overflow 0
		.amdhsa_tg_split 0
		.amdhsa_exception_fp_ieee_invalid_op 0
		.amdhsa_exception_fp_denorm_src 0
		.amdhsa_exception_fp_ieee_div_zero 0
		.amdhsa_exception_fp_ieee_overflow 0
		.amdhsa_exception_fp_ieee_underflow 0
		.amdhsa_exception_fp_ieee_inexact 0
		.amdhsa_exception_int_div_zero 0
	.end_amdhsa_kernel
	.section	.text._ZN7rocprim17ROCPRIM_400000_NS6detail17trampoline_kernelINS0_14default_configENS1_20scan_config_selectorIfEEZZNS1_9scan_implILNS1_25lookback_scan_determinismE0ELb0ELb0ES3_N6thrust23THRUST_200600_302600_NS6detail15normal_iteratorINS9_10device_ptrIfEEEESE_fNS9_4plusIvEEfEEDaPvRmT3_T4_T5_mT6_P12ihipStream_tbENKUlT_T0_E_clISt17integral_constantIbLb0EESU_EEDaSP_SQ_EUlSP_E_NS1_11comp_targetILNS1_3genE2ELNS1_11target_archE906ELNS1_3gpuE6ELNS1_3repE0EEENS1_30default_config_static_selectorELNS0_4arch9wavefront6targetE1EEEvT1_,"axG",@progbits,_ZN7rocprim17ROCPRIM_400000_NS6detail17trampoline_kernelINS0_14default_configENS1_20scan_config_selectorIfEEZZNS1_9scan_implILNS1_25lookback_scan_determinismE0ELb0ELb0ES3_N6thrust23THRUST_200600_302600_NS6detail15normal_iteratorINS9_10device_ptrIfEEEESE_fNS9_4plusIvEEfEEDaPvRmT3_T4_T5_mT6_P12ihipStream_tbENKUlT_T0_E_clISt17integral_constantIbLb0EESU_EEDaSP_SQ_EUlSP_E_NS1_11comp_targetILNS1_3genE2ELNS1_11target_archE906ELNS1_3gpuE6ELNS1_3repE0EEENS1_30default_config_static_selectorELNS0_4arch9wavefront6targetE1EEEvT1_,comdat
.Lfunc_end4290:
	.size	_ZN7rocprim17ROCPRIM_400000_NS6detail17trampoline_kernelINS0_14default_configENS1_20scan_config_selectorIfEEZZNS1_9scan_implILNS1_25lookback_scan_determinismE0ELb0ELb0ES3_N6thrust23THRUST_200600_302600_NS6detail15normal_iteratorINS9_10device_ptrIfEEEESE_fNS9_4plusIvEEfEEDaPvRmT3_T4_T5_mT6_P12ihipStream_tbENKUlT_T0_E_clISt17integral_constantIbLb0EESU_EEDaSP_SQ_EUlSP_E_NS1_11comp_targetILNS1_3genE2ELNS1_11target_archE906ELNS1_3gpuE6ELNS1_3repE0EEENS1_30default_config_static_selectorELNS0_4arch9wavefront6targetE1EEEvT1_, .Lfunc_end4290-_ZN7rocprim17ROCPRIM_400000_NS6detail17trampoline_kernelINS0_14default_configENS1_20scan_config_selectorIfEEZZNS1_9scan_implILNS1_25lookback_scan_determinismE0ELb0ELb0ES3_N6thrust23THRUST_200600_302600_NS6detail15normal_iteratorINS9_10device_ptrIfEEEESE_fNS9_4plusIvEEfEEDaPvRmT3_T4_T5_mT6_P12ihipStream_tbENKUlT_T0_E_clISt17integral_constantIbLb0EESU_EEDaSP_SQ_EUlSP_E_NS1_11comp_targetILNS1_3genE2ELNS1_11target_archE906ELNS1_3gpuE6ELNS1_3repE0EEENS1_30default_config_static_selectorELNS0_4arch9wavefront6targetE1EEEvT1_
                                        ; -- End function
	.section	.AMDGPU.csdata,"",@progbits
; Kernel info:
; codeLenInByte = 0
; NumSgprs: 4
; NumVgprs: 0
; NumAgprs: 0
; TotalNumVgprs: 0
; ScratchSize: 0
; MemoryBound: 0
; FloatMode: 240
; IeeeMode: 1
; LDSByteSize: 0 bytes/workgroup (compile time only)
; SGPRBlocks: 0
; VGPRBlocks: 0
; NumSGPRsForWavesPerEU: 4
; NumVGPRsForWavesPerEU: 1
; AccumOffset: 4
; Occupancy: 8
; WaveLimiterHint : 0
; COMPUTE_PGM_RSRC2:SCRATCH_EN: 0
; COMPUTE_PGM_RSRC2:USER_SGPR: 6
; COMPUTE_PGM_RSRC2:TRAP_HANDLER: 0
; COMPUTE_PGM_RSRC2:TGID_X_EN: 1
; COMPUTE_PGM_RSRC2:TGID_Y_EN: 0
; COMPUTE_PGM_RSRC2:TGID_Z_EN: 0
; COMPUTE_PGM_RSRC2:TIDIG_COMP_CNT: 0
; COMPUTE_PGM_RSRC3_GFX90A:ACCUM_OFFSET: 0
; COMPUTE_PGM_RSRC3_GFX90A:TG_SPLIT: 0
	.section	.text._ZN7rocprim17ROCPRIM_400000_NS6detail17trampoline_kernelINS0_14default_configENS1_20scan_config_selectorIfEEZZNS1_9scan_implILNS1_25lookback_scan_determinismE0ELb0ELb0ES3_N6thrust23THRUST_200600_302600_NS6detail15normal_iteratorINS9_10device_ptrIfEEEESE_fNS9_4plusIvEEfEEDaPvRmT3_T4_T5_mT6_P12ihipStream_tbENKUlT_T0_E_clISt17integral_constantIbLb0EESU_EEDaSP_SQ_EUlSP_E_NS1_11comp_targetILNS1_3genE10ELNS1_11target_archE1201ELNS1_3gpuE5ELNS1_3repE0EEENS1_30default_config_static_selectorELNS0_4arch9wavefront6targetE1EEEvT1_,"axG",@progbits,_ZN7rocprim17ROCPRIM_400000_NS6detail17trampoline_kernelINS0_14default_configENS1_20scan_config_selectorIfEEZZNS1_9scan_implILNS1_25lookback_scan_determinismE0ELb0ELb0ES3_N6thrust23THRUST_200600_302600_NS6detail15normal_iteratorINS9_10device_ptrIfEEEESE_fNS9_4plusIvEEfEEDaPvRmT3_T4_T5_mT6_P12ihipStream_tbENKUlT_T0_E_clISt17integral_constantIbLb0EESU_EEDaSP_SQ_EUlSP_E_NS1_11comp_targetILNS1_3genE10ELNS1_11target_archE1201ELNS1_3gpuE5ELNS1_3repE0EEENS1_30default_config_static_selectorELNS0_4arch9wavefront6targetE1EEEvT1_,comdat
	.protected	_ZN7rocprim17ROCPRIM_400000_NS6detail17trampoline_kernelINS0_14default_configENS1_20scan_config_selectorIfEEZZNS1_9scan_implILNS1_25lookback_scan_determinismE0ELb0ELb0ES3_N6thrust23THRUST_200600_302600_NS6detail15normal_iteratorINS9_10device_ptrIfEEEESE_fNS9_4plusIvEEfEEDaPvRmT3_T4_T5_mT6_P12ihipStream_tbENKUlT_T0_E_clISt17integral_constantIbLb0EESU_EEDaSP_SQ_EUlSP_E_NS1_11comp_targetILNS1_3genE10ELNS1_11target_archE1201ELNS1_3gpuE5ELNS1_3repE0EEENS1_30default_config_static_selectorELNS0_4arch9wavefront6targetE1EEEvT1_ ; -- Begin function _ZN7rocprim17ROCPRIM_400000_NS6detail17trampoline_kernelINS0_14default_configENS1_20scan_config_selectorIfEEZZNS1_9scan_implILNS1_25lookback_scan_determinismE0ELb0ELb0ES3_N6thrust23THRUST_200600_302600_NS6detail15normal_iteratorINS9_10device_ptrIfEEEESE_fNS9_4plusIvEEfEEDaPvRmT3_T4_T5_mT6_P12ihipStream_tbENKUlT_T0_E_clISt17integral_constantIbLb0EESU_EEDaSP_SQ_EUlSP_E_NS1_11comp_targetILNS1_3genE10ELNS1_11target_archE1201ELNS1_3gpuE5ELNS1_3repE0EEENS1_30default_config_static_selectorELNS0_4arch9wavefront6targetE1EEEvT1_
	.globl	_ZN7rocprim17ROCPRIM_400000_NS6detail17trampoline_kernelINS0_14default_configENS1_20scan_config_selectorIfEEZZNS1_9scan_implILNS1_25lookback_scan_determinismE0ELb0ELb0ES3_N6thrust23THRUST_200600_302600_NS6detail15normal_iteratorINS9_10device_ptrIfEEEESE_fNS9_4plusIvEEfEEDaPvRmT3_T4_T5_mT6_P12ihipStream_tbENKUlT_T0_E_clISt17integral_constantIbLb0EESU_EEDaSP_SQ_EUlSP_E_NS1_11comp_targetILNS1_3genE10ELNS1_11target_archE1201ELNS1_3gpuE5ELNS1_3repE0EEENS1_30default_config_static_selectorELNS0_4arch9wavefront6targetE1EEEvT1_
	.p2align	8
	.type	_ZN7rocprim17ROCPRIM_400000_NS6detail17trampoline_kernelINS0_14default_configENS1_20scan_config_selectorIfEEZZNS1_9scan_implILNS1_25lookback_scan_determinismE0ELb0ELb0ES3_N6thrust23THRUST_200600_302600_NS6detail15normal_iteratorINS9_10device_ptrIfEEEESE_fNS9_4plusIvEEfEEDaPvRmT3_T4_T5_mT6_P12ihipStream_tbENKUlT_T0_E_clISt17integral_constantIbLb0EESU_EEDaSP_SQ_EUlSP_E_NS1_11comp_targetILNS1_3genE10ELNS1_11target_archE1201ELNS1_3gpuE5ELNS1_3repE0EEENS1_30default_config_static_selectorELNS0_4arch9wavefront6targetE1EEEvT1_,@function
_ZN7rocprim17ROCPRIM_400000_NS6detail17trampoline_kernelINS0_14default_configENS1_20scan_config_selectorIfEEZZNS1_9scan_implILNS1_25lookback_scan_determinismE0ELb0ELb0ES3_N6thrust23THRUST_200600_302600_NS6detail15normal_iteratorINS9_10device_ptrIfEEEESE_fNS9_4plusIvEEfEEDaPvRmT3_T4_T5_mT6_P12ihipStream_tbENKUlT_T0_E_clISt17integral_constantIbLb0EESU_EEDaSP_SQ_EUlSP_E_NS1_11comp_targetILNS1_3genE10ELNS1_11target_archE1201ELNS1_3gpuE5ELNS1_3repE0EEENS1_30default_config_static_selectorELNS0_4arch9wavefront6targetE1EEEvT1_: ; @_ZN7rocprim17ROCPRIM_400000_NS6detail17trampoline_kernelINS0_14default_configENS1_20scan_config_selectorIfEEZZNS1_9scan_implILNS1_25lookback_scan_determinismE0ELb0ELb0ES3_N6thrust23THRUST_200600_302600_NS6detail15normal_iteratorINS9_10device_ptrIfEEEESE_fNS9_4plusIvEEfEEDaPvRmT3_T4_T5_mT6_P12ihipStream_tbENKUlT_T0_E_clISt17integral_constantIbLb0EESU_EEDaSP_SQ_EUlSP_E_NS1_11comp_targetILNS1_3genE10ELNS1_11target_archE1201ELNS1_3gpuE5ELNS1_3repE0EEENS1_30default_config_static_selectorELNS0_4arch9wavefront6targetE1EEEvT1_
; %bb.0:
	.section	.rodata,"a",@progbits
	.p2align	6, 0x0
	.amdhsa_kernel _ZN7rocprim17ROCPRIM_400000_NS6detail17trampoline_kernelINS0_14default_configENS1_20scan_config_selectorIfEEZZNS1_9scan_implILNS1_25lookback_scan_determinismE0ELb0ELb0ES3_N6thrust23THRUST_200600_302600_NS6detail15normal_iteratorINS9_10device_ptrIfEEEESE_fNS9_4plusIvEEfEEDaPvRmT3_T4_T5_mT6_P12ihipStream_tbENKUlT_T0_E_clISt17integral_constantIbLb0EESU_EEDaSP_SQ_EUlSP_E_NS1_11comp_targetILNS1_3genE10ELNS1_11target_archE1201ELNS1_3gpuE5ELNS1_3repE0EEENS1_30default_config_static_selectorELNS0_4arch9wavefront6targetE1EEEvT1_
		.amdhsa_group_segment_fixed_size 0
		.amdhsa_private_segment_fixed_size 0
		.amdhsa_kernarg_size 96
		.amdhsa_user_sgpr_count 6
		.amdhsa_user_sgpr_private_segment_buffer 1
		.amdhsa_user_sgpr_dispatch_ptr 0
		.amdhsa_user_sgpr_queue_ptr 0
		.amdhsa_user_sgpr_kernarg_segment_ptr 1
		.amdhsa_user_sgpr_dispatch_id 0
		.amdhsa_user_sgpr_flat_scratch_init 0
		.amdhsa_user_sgpr_kernarg_preload_length 0
		.amdhsa_user_sgpr_kernarg_preload_offset 0
		.amdhsa_user_sgpr_private_segment_size 0
		.amdhsa_uses_dynamic_stack 0
		.amdhsa_system_sgpr_private_segment_wavefront_offset 0
		.amdhsa_system_sgpr_workgroup_id_x 1
		.amdhsa_system_sgpr_workgroup_id_y 0
		.amdhsa_system_sgpr_workgroup_id_z 0
		.amdhsa_system_sgpr_workgroup_info 0
		.amdhsa_system_vgpr_workitem_id 0
		.amdhsa_next_free_vgpr 1
		.amdhsa_next_free_sgpr 0
		.amdhsa_accum_offset 4
		.amdhsa_reserve_vcc 0
		.amdhsa_reserve_flat_scratch 0
		.amdhsa_float_round_mode_32 0
		.amdhsa_float_round_mode_16_64 0
		.amdhsa_float_denorm_mode_32 3
		.amdhsa_float_denorm_mode_16_64 3
		.amdhsa_dx10_clamp 1
		.amdhsa_ieee_mode 1
		.amdhsa_fp16_overflow 0
		.amdhsa_tg_split 0
		.amdhsa_exception_fp_ieee_invalid_op 0
		.amdhsa_exception_fp_denorm_src 0
		.amdhsa_exception_fp_ieee_div_zero 0
		.amdhsa_exception_fp_ieee_overflow 0
		.amdhsa_exception_fp_ieee_underflow 0
		.amdhsa_exception_fp_ieee_inexact 0
		.amdhsa_exception_int_div_zero 0
	.end_amdhsa_kernel
	.section	.text._ZN7rocprim17ROCPRIM_400000_NS6detail17trampoline_kernelINS0_14default_configENS1_20scan_config_selectorIfEEZZNS1_9scan_implILNS1_25lookback_scan_determinismE0ELb0ELb0ES3_N6thrust23THRUST_200600_302600_NS6detail15normal_iteratorINS9_10device_ptrIfEEEESE_fNS9_4plusIvEEfEEDaPvRmT3_T4_T5_mT6_P12ihipStream_tbENKUlT_T0_E_clISt17integral_constantIbLb0EESU_EEDaSP_SQ_EUlSP_E_NS1_11comp_targetILNS1_3genE10ELNS1_11target_archE1201ELNS1_3gpuE5ELNS1_3repE0EEENS1_30default_config_static_selectorELNS0_4arch9wavefront6targetE1EEEvT1_,"axG",@progbits,_ZN7rocprim17ROCPRIM_400000_NS6detail17trampoline_kernelINS0_14default_configENS1_20scan_config_selectorIfEEZZNS1_9scan_implILNS1_25lookback_scan_determinismE0ELb0ELb0ES3_N6thrust23THRUST_200600_302600_NS6detail15normal_iteratorINS9_10device_ptrIfEEEESE_fNS9_4plusIvEEfEEDaPvRmT3_T4_T5_mT6_P12ihipStream_tbENKUlT_T0_E_clISt17integral_constantIbLb0EESU_EEDaSP_SQ_EUlSP_E_NS1_11comp_targetILNS1_3genE10ELNS1_11target_archE1201ELNS1_3gpuE5ELNS1_3repE0EEENS1_30default_config_static_selectorELNS0_4arch9wavefront6targetE1EEEvT1_,comdat
.Lfunc_end4291:
	.size	_ZN7rocprim17ROCPRIM_400000_NS6detail17trampoline_kernelINS0_14default_configENS1_20scan_config_selectorIfEEZZNS1_9scan_implILNS1_25lookback_scan_determinismE0ELb0ELb0ES3_N6thrust23THRUST_200600_302600_NS6detail15normal_iteratorINS9_10device_ptrIfEEEESE_fNS9_4plusIvEEfEEDaPvRmT3_T4_T5_mT6_P12ihipStream_tbENKUlT_T0_E_clISt17integral_constantIbLb0EESU_EEDaSP_SQ_EUlSP_E_NS1_11comp_targetILNS1_3genE10ELNS1_11target_archE1201ELNS1_3gpuE5ELNS1_3repE0EEENS1_30default_config_static_selectorELNS0_4arch9wavefront6targetE1EEEvT1_, .Lfunc_end4291-_ZN7rocprim17ROCPRIM_400000_NS6detail17trampoline_kernelINS0_14default_configENS1_20scan_config_selectorIfEEZZNS1_9scan_implILNS1_25lookback_scan_determinismE0ELb0ELb0ES3_N6thrust23THRUST_200600_302600_NS6detail15normal_iteratorINS9_10device_ptrIfEEEESE_fNS9_4plusIvEEfEEDaPvRmT3_T4_T5_mT6_P12ihipStream_tbENKUlT_T0_E_clISt17integral_constantIbLb0EESU_EEDaSP_SQ_EUlSP_E_NS1_11comp_targetILNS1_3genE10ELNS1_11target_archE1201ELNS1_3gpuE5ELNS1_3repE0EEENS1_30default_config_static_selectorELNS0_4arch9wavefront6targetE1EEEvT1_
                                        ; -- End function
	.section	.AMDGPU.csdata,"",@progbits
; Kernel info:
; codeLenInByte = 0
; NumSgprs: 4
; NumVgprs: 0
; NumAgprs: 0
; TotalNumVgprs: 0
; ScratchSize: 0
; MemoryBound: 0
; FloatMode: 240
; IeeeMode: 1
; LDSByteSize: 0 bytes/workgroup (compile time only)
; SGPRBlocks: 0
; VGPRBlocks: 0
; NumSGPRsForWavesPerEU: 4
; NumVGPRsForWavesPerEU: 1
; AccumOffset: 4
; Occupancy: 8
; WaveLimiterHint : 0
; COMPUTE_PGM_RSRC2:SCRATCH_EN: 0
; COMPUTE_PGM_RSRC2:USER_SGPR: 6
; COMPUTE_PGM_RSRC2:TRAP_HANDLER: 0
; COMPUTE_PGM_RSRC2:TGID_X_EN: 1
; COMPUTE_PGM_RSRC2:TGID_Y_EN: 0
; COMPUTE_PGM_RSRC2:TGID_Z_EN: 0
; COMPUTE_PGM_RSRC2:TIDIG_COMP_CNT: 0
; COMPUTE_PGM_RSRC3_GFX90A:ACCUM_OFFSET: 0
; COMPUTE_PGM_RSRC3_GFX90A:TG_SPLIT: 0
	.section	.text._ZN7rocprim17ROCPRIM_400000_NS6detail17trampoline_kernelINS0_14default_configENS1_20scan_config_selectorIfEEZZNS1_9scan_implILNS1_25lookback_scan_determinismE0ELb0ELb0ES3_N6thrust23THRUST_200600_302600_NS6detail15normal_iteratorINS9_10device_ptrIfEEEESE_fNS9_4plusIvEEfEEDaPvRmT3_T4_T5_mT6_P12ihipStream_tbENKUlT_T0_E_clISt17integral_constantIbLb0EESU_EEDaSP_SQ_EUlSP_E_NS1_11comp_targetILNS1_3genE10ELNS1_11target_archE1200ELNS1_3gpuE4ELNS1_3repE0EEENS1_30default_config_static_selectorELNS0_4arch9wavefront6targetE1EEEvT1_,"axG",@progbits,_ZN7rocprim17ROCPRIM_400000_NS6detail17trampoline_kernelINS0_14default_configENS1_20scan_config_selectorIfEEZZNS1_9scan_implILNS1_25lookback_scan_determinismE0ELb0ELb0ES3_N6thrust23THRUST_200600_302600_NS6detail15normal_iteratorINS9_10device_ptrIfEEEESE_fNS9_4plusIvEEfEEDaPvRmT3_T4_T5_mT6_P12ihipStream_tbENKUlT_T0_E_clISt17integral_constantIbLb0EESU_EEDaSP_SQ_EUlSP_E_NS1_11comp_targetILNS1_3genE10ELNS1_11target_archE1200ELNS1_3gpuE4ELNS1_3repE0EEENS1_30default_config_static_selectorELNS0_4arch9wavefront6targetE1EEEvT1_,comdat
	.protected	_ZN7rocprim17ROCPRIM_400000_NS6detail17trampoline_kernelINS0_14default_configENS1_20scan_config_selectorIfEEZZNS1_9scan_implILNS1_25lookback_scan_determinismE0ELb0ELb0ES3_N6thrust23THRUST_200600_302600_NS6detail15normal_iteratorINS9_10device_ptrIfEEEESE_fNS9_4plusIvEEfEEDaPvRmT3_T4_T5_mT6_P12ihipStream_tbENKUlT_T0_E_clISt17integral_constantIbLb0EESU_EEDaSP_SQ_EUlSP_E_NS1_11comp_targetILNS1_3genE10ELNS1_11target_archE1200ELNS1_3gpuE4ELNS1_3repE0EEENS1_30default_config_static_selectorELNS0_4arch9wavefront6targetE1EEEvT1_ ; -- Begin function _ZN7rocprim17ROCPRIM_400000_NS6detail17trampoline_kernelINS0_14default_configENS1_20scan_config_selectorIfEEZZNS1_9scan_implILNS1_25lookback_scan_determinismE0ELb0ELb0ES3_N6thrust23THRUST_200600_302600_NS6detail15normal_iteratorINS9_10device_ptrIfEEEESE_fNS9_4plusIvEEfEEDaPvRmT3_T4_T5_mT6_P12ihipStream_tbENKUlT_T0_E_clISt17integral_constantIbLb0EESU_EEDaSP_SQ_EUlSP_E_NS1_11comp_targetILNS1_3genE10ELNS1_11target_archE1200ELNS1_3gpuE4ELNS1_3repE0EEENS1_30default_config_static_selectorELNS0_4arch9wavefront6targetE1EEEvT1_
	.globl	_ZN7rocprim17ROCPRIM_400000_NS6detail17trampoline_kernelINS0_14default_configENS1_20scan_config_selectorIfEEZZNS1_9scan_implILNS1_25lookback_scan_determinismE0ELb0ELb0ES3_N6thrust23THRUST_200600_302600_NS6detail15normal_iteratorINS9_10device_ptrIfEEEESE_fNS9_4plusIvEEfEEDaPvRmT3_T4_T5_mT6_P12ihipStream_tbENKUlT_T0_E_clISt17integral_constantIbLb0EESU_EEDaSP_SQ_EUlSP_E_NS1_11comp_targetILNS1_3genE10ELNS1_11target_archE1200ELNS1_3gpuE4ELNS1_3repE0EEENS1_30default_config_static_selectorELNS0_4arch9wavefront6targetE1EEEvT1_
	.p2align	8
	.type	_ZN7rocprim17ROCPRIM_400000_NS6detail17trampoline_kernelINS0_14default_configENS1_20scan_config_selectorIfEEZZNS1_9scan_implILNS1_25lookback_scan_determinismE0ELb0ELb0ES3_N6thrust23THRUST_200600_302600_NS6detail15normal_iteratorINS9_10device_ptrIfEEEESE_fNS9_4plusIvEEfEEDaPvRmT3_T4_T5_mT6_P12ihipStream_tbENKUlT_T0_E_clISt17integral_constantIbLb0EESU_EEDaSP_SQ_EUlSP_E_NS1_11comp_targetILNS1_3genE10ELNS1_11target_archE1200ELNS1_3gpuE4ELNS1_3repE0EEENS1_30default_config_static_selectorELNS0_4arch9wavefront6targetE1EEEvT1_,@function
_ZN7rocprim17ROCPRIM_400000_NS6detail17trampoline_kernelINS0_14default_configENS1_20scan_config_selectorIfEEZZNS1_9scan_implILNS1_25lookback_scan_determinismE0ELb0ELb0ES3_N6thrust23THRUST_200600_302600_NS6detail15normal_iteratorINS9_10device_ptrIfEEEESE_fNS9_4plusIvEEfEEDaPvRmT3_T4_T5_mT6_P12ihipStream_tbENKUlT_T0_E_clISt17integral_constantIbLb0EESU_EEDaSP_SQ_EUlSP_E_NS1_11comp_targetILNS1_3genE10ELNS1_11target_archE1200ELNS1_3gpuE4ELNS1_3repE0EEENS1_30default_config_static_selectorELNS0_4arch9wavefront6targetE1EEEvT1_: ; @_ZN7rocprim17ROCPRIM_400000_NS6detail17trampoline_kernelINS0_14default_configENS1_20scan_config_selectorIfEEZZNS1_9scan_implILNS1_25lookback_scan_determinismE0ELb0ELb0ES3_N6thrust23THRUST_200600_302600_NS6detail15normal_iteratorINS9_10device_ptrIfEEEESE_fNS9_4plusIvEEfEEDaPvRmT3_T4_T5_mT6_P12ihipStream_tbENKUlT_T0_E_clISt17integral_constantIbLb0EESU_EEDaSP_SQ_EUlSP_E_NS1_11comp_targetILNS1_3genE10ELNS1_11target_archE1200ELNS1_3gpuE4ELNS1_3repE0EEENS1_30default_config_static_selectorELNS0_4arch9wavefront6targetE1EEEvT1_
; %bb.0:
	.section	.rodata,"a",@progbits
	.p2align	6, 0x0
	.amdhsa_kernel _ZN7rocprim17ROCPRIM_400000_NS6detail17trampoline_kernelINS0_14default_configENS1_20scan_config_selectorIfEEZZNS1_9scan_implILNS1_25lookback_scan_determinismE0ELb0ELb0ES3_N6thrust23THRUST_200600_302600_NS6detail15normal_iteratorINS9_10device_ptrIfEEEESE_fNS9_4plusIvEEfEEDaPvRmT3_T4_T5_mT6_P12ihipStream_tbENKUlT_T0_E_clISt17integral_constantIbLb0EESU_EEDaSP_SQ_EUlSP_E_NS1_11comp_targetILNS1_3genE10ELNS1_11target_archE1200ELNS1_3gpuE4ELNS1_3repE0EEENS1_30default_config_static_selectorELNS0_4arch9wavefront6targetE1EEEvT1_
		.amdhsa_group_segment_fixed_size 0
		.amdhsa_private_segment_fixed_size 0
		.amdhsa_kernarg_size 96
		.amdhsa_user_sgpr_count 6
		.amdhsa_user_sgpr_private_segment_buffer 1
		.amdhsa_user_sgpr_dispatch_ptr 0
		.amdhsa_user_sgpr_queue_ptr 0
		.amdhsa_user_sgpr_kernarg_segment_ptr 1
		.amdhsa_user_sgpr_dispatch_id 0
		.amdhsa_user_sgpr_flat_scratch_init 0
		.amdhsa_user_sgpr_kernarg_preload_length 0
		.amdhsa_user_sgpr_kernarg_preload_offset 0
		.amdhsa_user_sgpr_private_segment_size 0
		.amdhsa_uses_dynamic_stack 0
		.amdhsa_system_sgpr_private_segment_wavefront_offset 0
		.amdhsa_system_sgpr_workgroup_id_x 1
		.amdhsa_system_sgpr_workgroup_id_y 0
		.amdhsa_system_sgpr_workgroup_id_z 0
		.amdhsa_system_sgpr_workgroup_info 0
		.amdhsa_system_vgpr_workitem_id 0
		.amdhsa_next_free_vgpr 1
		.amdhsa_next_free_sgpr 0
		.amdhsa_accum_offset 4
		.amdhsa_reserve_vcc 0
		.amdhsa_reserve_flat_scratch 0
		.amdhsa_float_round_mode_32 0
		.amdhsa_float_round_mode_16_64 0
		.amdhsa_float_denorm_mode_32 3
		.amdhsa_float_denorm_mode_16_64 3
		.amdhsa_dx10_clamp 1
		.amdhsa_ieee_mode 1
		.amdhsa_fp16_overflow 0
		.amdhsa_tg_split 0
		.amdhsa_exception_fp_ieee_invalid_op 0
		.amdhsa_exception_fp_denorm_src 0
		.amdhsa_exception_fp_ieee_div_zero 0
		.amdhsa_exception_fp_ieee_overflow 0
		.amdhsa_exception_fp_ieee_underflow 0
		.amdhsa_exception_fp_ieee_inexact 0
		.amdhsa_exception_int_div_zero 0
	.end_amdhsa_kernel
	.section	.text._ZN7rocprim17ROCPRIM_400000_NS6detail17trampoline_kernelINS0_14default_configENS1_20scan_config_selectorIfEEZZNS1_9scan_implILNS1_25lookback_scan_determinismE0ELb0ELb0ES3_N6thrust23THRUST_200600_302600_NS6detail15normal_iteratorINS9_10device_ptrIfEEEESE_fNS9_4plusIvEEfEEDaPvRmT3_T4_T5_mT6_P12ihipStream_tbENKUlT_T0_E_clISt17integral_constantIbLb0EESU_EEDaSP_SQ_EUlSP_E_NS1_11comp_targetILNS1_3genE10ELNS1_11target_archE1200ELNS1_3gpuE4ELNS1_3repE0EEENS1_30default_config_static_selectorELNS0_4arch9wavefront6targetE1EEEvT1_,"axG",@progbits,_ZN7rocprim17ROCPRIM_400000_NS6detail17trampoline_kernelINS0_14default_configENS1_20scan_config_selectorIfEEZZNS1_9scan_implILNS1_25lookback_scan_determinismE0ELb0ELb0ES3_N6thrust23THRUST_200600_302600_NS6detail15normal_iteratorINS9_10device_ptrIfEEEESE_fNS9_4plusIvEEfEEDaPvRmT3_T4_T5_mT6_P12ihipStream_tbENKUlT_T0_E_clISt17integral_constantIbLb0EESU_EEDaSP_SQ_EUlSP_E_NS1_11comp_targetILNS1_3genE10ELNS1_11target_archE1200ELNS1_3gpuE4ELNS1_3repE0EEENS1_30default_config_static_selectorELNS0_4arch9wavefront6targetE1EEEvT1_,comdat
.Lfunc_end4292:
	.size	_ZN7rocprim17ROCPRIM_400000_NS6detail17trampoline_kernelINS0_14default_configENS1_20scan_config_selectorIfEEZZNS1_9scan_implILNS1_25lookback_scan_determinismE0ELb0ELb0ES3_N6thrust23THRUST_200600_302600_NS6detail15normal_iteratorINS9_10device_ptrIfEEEESE_fNS9_4plusIvEEfEEDaPvRmT3_T4_T5_mT6_P12ihipStream_tbENKUlT_T0_E_clISt17integral_constantIbLb0EESU_EEDaSP_SQ_EUlSP_E_NS1_11comp_targetILNS1_3genE10ELNS1_11target_archE1200ELNS1_3gpuE4ELNS1_3repE0EEENS1_30default_config_static_selectorELNS0_4arch9wavefront6targetE1EEEvT1_, .Lfunc_end4292-_ZN7rocprim17ROCPRIM_400000_NS6detail17trampoline_kernelINS0_14default_configENS1_20scan_config_selectorIfEEZZNS1_9scan_implILNS1_25lookback_scan_determinismE0ELb0ELb0ES3_N6thrust23THRUST_200600_302600_NS6detail15normal_iteratorINS9_10device_ptrIfEEEESE_fNS9_4plusIvEEfEEDaPvRmT3_T4_T5_mT6_P12ihipStream_tbENKUlT_T0_E_clISt17integral_constantIbLb0EESU_EEDaSP_SQ_EUlSP_E_NS1_11comp_targetILNS1_3genE10ELNS1_11target_archE1200ELNS1_3gpuE4ELNS1_3repE0EEENS1_30default_config_static_selectorELNS0_4arch9wavefront6targetE1EEEvT1_
                                        ; -- End function
	.section	.AMDGPU.csdata,"",@progbits
; Kernel info:
; codeLenInByte = 0
; NumSgprs: 4
; NumVgprs: 0
; NumAgprs: 0
; TotalNumVgprs: 0
; ScratchSize: 0
; MemoryBound: 0
; FloatMode: 240
; IeeeMode: 1
; LDSByteSize: 0 bytes/workgroup (compile time only)
; SGPRBlocks: 0
; VGPRBlocks: 0
; NumSGPRsForWavesPerEU: 4
; NumVGPRsForWavesPerEU: 1
; AccumOffset: 4
; Occupancy: 8
; WaveLimiterHint : 0
; COMPUTE_PGM_RSRC2:SCRATCH_EN: 0
; COMPUTE_PGM_RSRC2:USER_SGPR: 6
; COMPUTE_PGM_RSRC2:TRAP_HANDLER: 0
; COMPUTE_PGM_RSRC2:TGID_X_EN: 1
; COMPUTE_PGM_RSRC2:TGID_Y_EN: 0
; COMPUTE_PGM_RSRC2:TGID_Z_EN: 0
; COMPUTE_PGM_RSRC2:TIDIG_COMP_CNT: 0
; COMPUTE_PGM_RSRC3_GFX90A:ACCUM_OFFSET: 0
; COMPUTE_PGM_RSRC3_GFX90A:TG_SPLIT: 0
	.section	.text._ZN7rocprim17ROCPRIM_400000_NS6detail17trampoline_kernelINS0_14default_configENS1_20scan_config_selectorIfEEZZNS1_9scan_implILNS1_25lookback_scan_determinismE0ELb0ELb0ES3_N6thrust23THRUST_200600_302600_NS6detail15normal_iteratorINS9_10device_ptrIfEEEESE_fNS9_4plusIvEEfEEDaPvRmT3_T4_T5_mT6_P12ihipStream_tbENKUlT_T0_E_clISt17integral_constantIbLb0EESU_EEDaSP_SQ_EUlSP_E_NS1_11comp_targetILNS1_3genE9ELNS1_11target_archE1100ELNS1_3gpuE3ELNS1_3repE0EEENS1_30default_config_static_selectorELNS0_4arch9wavefront6targetE1EEEvT1_,"axG",@progbits,_ZN7rocprim17ROCPRIM_400000_NS6detail17trampoline_kernelINS0_14default_configENS1_20scan_config_selectorIfEEZZNS1_9scan_implILNS1_25lookback_scan_determinismE0ELb0ELb0ES3_N6thrust23THRUST_200600_302600_NS6detail15normal_iteratorINS9_10device_ptrIfEEEESE_fNS9_4plusIvEEfEEDaPvRmT3_T4_T5_mT6_P12ihipStream_tbENKUlT_T0_E_clISt17integral_constantIbLb0EESU_EEDaSP_SQ_EUlSP_E_NS1_11comp_targetILNS1_3genE9ELNS1_11target_archE1100ELNS1_3gpuE3ELNS1_3repE0EEENS1_30default_config_static_selectorELNS0_4arch9wavefront6targetE1EEEvT1_,comdat
	.protected	_ZN7rocprim17ROCPRIM_400000_NS6detail17trampoline_kernelINS0_14default_configENS1_20scan_config_selectorIfEEZZNS1_9scan_implILNS1_25lookback_scan_determinismE0ELb0ELb0ES3_N6thrust23THRUST_200600_302600_NS6detail15normal_iteratorINS9_10device_ptrIfEEEESE_fNS9_4plusIvEEfEEDaPvRmT3_T4_T5_mT6_P12ihipStream_tbENKUlT_T0_E_clISt17integral_constantIbLb0EESU_EEDaSP_SQ_EUlSP_E_NS1_11comp_targetILNS1_3genE9ELNS1_11target_archE1100ELNS1_3gpuE3ELNS1_3repE0EEENS1_30default_config_static_selectorELNS0_4arch9wavefront6targetE1EEEvT1_ ; -- Begin function _ZN7rocprim17ROCPRIM_400000_NS6detail17trampoline_kernelINS0_14default_configENS1_20scan_config_selectorIfEEZZNS1_9scan_implILNS1_25lookback_scan_determinismE0ELb0ELb0ES3_N6thrust23THRUST_200600_302600_NS6detail15normal_iteratorINS9_10device_ptrIfEEEESE_fNS9_4plusIvEEfEEDaPvRmT3_T4_T5_mT6_P12ihipStream_tbENKUlT_T0_E_clISt17integral_constantIbLb0EESU_EEDaSP_SQ_EUlSP_E_NS1_11comp_targetILNS1_3genE9ELNS1_11target_archE1100ELNS1_3gpuE3ELNS1_3repE0EEENS1_30default_config_static_selectorELNS0_4arch9wavefront6targetE1EEEvT1_
	.globl	_ZN7rocprim17ROCPRIM_400000_NS6detail17trampoline_kernelINS0_14default_configENS1_20scan_config_selectorIfEEZZNS1_9scan_implILNS1_25lookback_scan_determinismE0ELb0ELb0ES3_N6thrust23THRUST_200600_302600_NS6detail15normal_iteratorINS9_10device_ptrIfEEEESE_fNS9_4plusIvEEfEEDaPvRmT3_T4_T5_mT6_P12ihipStream_tbENKUlT_T0_E_clISt17integral_constantIbLb0EESU_EEDaSP_SQ_EUlSP_E_NS1_11comp_targetILNS1_3genE9ELNS1_11target_archE1100ELNS1_3gpuE3ELNS1_3repE0EEENS1_30default_config_static_selectorELNS0_4arch9wavefront6targetE1EEEvT1_
	.p2align	8
	.type	_ZN7rocprim17ROCPRIM_400000_NS6detail17trampoline_kernelINS0_14default_configENS1_20scan_config_selectorIfEEZZNS1_9scan_implILNS1_25lookback_scan_determinismE0ELb0ELb0ES3_N6thrust23THRUST_200600_302600_NS6detail15normal_iteratorINS9_10device_ptrIfEEEESE_fNS9_4plusIvEEfEEDaPvRmT3_T4_T5_mT6_P12ihipStream_tbENKUlT_T0_E_clISt17integral_constantIbLb0EESU_EEDaSP_SQ_EUlSP_E_NS1_11comp_targetILNS1_3genE9ELNS1_11target_archE1100ELNS1_3gpuE3ELNS1_3repE0EEENS1_30default_config_static_selectorELNS0_4arch9wavefront6targetE1EEEvT1_,@function
_ZN7rocprim17ROCPRIM_400000_NS6detail17trampoline_kernelINS0_14default_configENS1_20scan_config_selectorIfEEZZNS1_9scan_implILNS1_25lookback_scan_determinismE0ELb0ELb0ES3_N6thrust23THRUST_200600_302600_NS6detail15normal_iteratorINS9_10device_ptrIfEEEESE_fNS9_4plusIvEEfEEDaPvRmT3_T4_T5_mT6_P12ihipStream_tbENKUlT_T0_E_clISt17integral_constantIbLb0EESU_EEDaSP_SQ_EUlSP_E_NS1_11comp_targetILNS1_3genE9ELNS1_11target_archE1100ELNS1_3gpuE3ELNS1_3repE0EEENS1_30default_config_static_selectorELNS0_4arch9wavefront6targetE1EEEvT1_: ; @_ZN7rocprim17ROCPRIM_400000_NS6detail17trampoline_kernelINS0_14default_configENS1_20scan_config_selectorIfEEZZNS1_9scan_implILNS1_25lookback_scan_determinismE0ELb0ELb0ES3_N6thrust23THRUST_200600_302600_NS6detail15normal_iteratorINS9_10device_ptrIfEEEESE_fNS9_4plusIvEEfEEDaPvRmT3_T4_T5_mT6_P12ihipStream_tbENKUlT_T0_E_clISt17integral_constantIbLb0EESU_EEDaSP_SQ_EUlSP_E_NS1_11comp_targetILNS1_3genE9ELNS1_11target_archE1100ELNS1_3gpuE3ELNS1_3repE0EEENS1_30default_config_static_selectorELNS0_4arch9wavefront6targetE1EEEvT1_
; %bb.0:
	.section	.rodata,"a",@progbits
	.p2align	6, 0x0
	.amdhsa_kernel _ZN7rocprim17ROCPRIM_400000_NS6detail17trampoline_kernelINS0_14default_configENS1_20scan_config_selectorIfEEZZNS1_9scan_implILNS1_25lookback_scan_determinismE0ELb0ELb0ES3_N6thrust23THRUST_200600_302600_NS6detail15normal_iteratorINS9_10device_ptrIfEEEESE_fNS9_4plusIvEEfEEDaPvRmT3_T4_T5_mT6_P12ihipStream_tbENKUlT_T0_E_clISt17integral_constantIbLb0EESU_EEDaSP_SQ_EUlSP_E_NS1_11comp_targetILNS1_3genE9ELNS1_11target_archE1100ELNS1_3gpuE3ELNS1_3repE0EEENS1_30default_config_static_selectorELNS0_4arch9wavefront6targetE1EEEvT1_
		.amdhsa_group_segment_fixed_size 0
		.amdhsa_private_segment_fixed_size 0
		.amdhsa_kernarg_size 96
		.amdhsa_user_sgpr_count 6
		.amdhsa_user_sgpr_private_segment_buffer 1
		.amdhsa_user_sgpr_dispatch_ptr 0
		.amdhsa_user_sgpr_queue_ptr 0
		.amdhsa_user_sgpr_kernarg_segment_ptr 1
		.amdhsa_user_sgpr_dispatch_id 0
		.amdhsa_user_sgpr_flat_scratch_init 0
		.amdhsa_user_sgpr_kernarg_preload_length 0
		.amdhsa_user_sgpr_kernarg_preload_offset 0
		.amdhsa_user_sgpr_private_segment_size 0
		.amdhsa_uses_dynamic_stack 0
		.amdhsa_system_sgpr_private_segment_wavefront_offset 0
		.amdhsa_system_sgpr_workgroup_id_x 1
		.amdhsa_system_sgpr_workgroup_id_y 0
		.amdhsa_system_sgpr_workgroup_id_z 0
		.amdhsa_system_sgpr_workgroup_info 0
		.amdhsa_system_vgpr_workitem_id 0
		.amdhsa_next_free_vgpr 1
		.amdhsa_next_free_sgpr 0
		.amdhsa_accum_offset 4
		.amdhsa_reserve_vcc 0
		.amdhsa_reserve_flat_scratch 0
		.amdhsa_float_round_mode_32 0
		.amdhsa_float_round_mode_16_64 0
		.amdhsa_float_denorm_mode_32 3
		.amdhsa_float_denorm_mode_16_64 3
		.amdhsa_dx10_clamp 1
		.amdhsa_ieee_mode 1
		.amdhsa_fp16_overflow 0
		.amdhsa_tg_split 0
		.amdhsa_exception_fp_ieee_invalid_op 0
		.amdhsa_exception_fp_denorm_src 0
		.amdhsa_exception_fp_ieee_div_zero 0
		.amdhsa_exception_fp_ieee_overflow 0
		.amdhsa_exception_fp_ieee_underflow 0
		.amdhsa_exception_fp_ieee_inexact 0
		.amdhsa_exception_int_div_zero 0
	.end_amdhsa_kernel
	.section	.text._ZN7rocprim17ROCPRIM_400000_NS6detail17trampoline_kernelINS0_14default_configENS1_20scan_config_selectorIfEEZZNS1_9scan_implILNS1_25lookback_scan_determinismE0ELb0ELb0ES3_N6thrust23THRUST_200600_302600_NS6detail15normal_iteratorINS9_10device_ptrIfEEEESE_fNS9_4plusIvEEfEEDaPvRmT3_T4_T5_mT6_P12ihipStream_tbENKUlT_T0_E_clISt17integral_constantIbLb0EESU_EEDaSP_SQ_EUlSP_E_NS1_11comp_targetILNS1_3genE9ELNS1_11target_archE1100ELNS1_3gpuE3ELNS1_3repE0EEENS1_30default_config_static_selectorELNS0_4arch9wavefront6targetE1EEEvT1_,"axG",@progbits,_ZN7rocprim17ROCPRIM_400000_NS6detail17trampoline_kernelINS0_14default_configENS1_20scan_config_selectorIfEEZZNS1_9scan_implILNS1_25lookback_scan_determinismE0ELb0ELb0ES3_N6thrust23THRUST_200600_302600_NS6detail15normal_iteratorINS9_10device_ptrIfEEEESE_fNS9_4plusIvEEfEEDaPvRmT3_T4_T5_mT6_P12ihipStream_tbENKUlT_T0_E_clISt17integral_constantIbLb0EESU_EEDaSP_SQ_EUlSP_E_NS1_11comp_targetILNS1_3genE9ELNS1_11target_archE1100ELNS1_3gpuE3ELNS1_3repE0EEENS1_30default_config_static_selectorELNS0_4arch9wavefront6targetE1EEEvT1_,comdat
.Lfunc_end4293:
	.size	_ZN7rocprim17ROCPRIM_400000_NS6detail17trampoline_kernelINS0_14default_configENS1_20scan_config_selectorIfEEZZNS1_9scan_implILNS1_25lookback_scan_determinismE0ELb0ELb0ES3_N6thrust23THRUST_200600_302600_NS6detail15normal_iteratorINS9_10device_ptrIfEEEESE_fNS9_4plusIvEEfEEDaPvRmT3_T4_T5_mT6_P12ihipStream_tbENKUlT_T0_E_clISt17integral_constantIbLb0EESU_EEDaSP_SQ_EUlSP_E_NS1_11comp_targetILNS1_3genE9ELNS1_11target_archE1100ELNS1_3gpuE3ELNS1_3repE0EEENS1_30default_config_static_selectorELNS0_4arch9wavefront6targetE1EEEvT1_, .Lfunc_end4293-_ZN7rocprim17ROCPRIM_400000_NS6detail17trampoline_kernelINS0_14default_configENS1_20scan_config_selectorIfEEZZNS1_9scan_implILNS1_25lookback_scan_determinismE0ELb0ELb0ES3_N6thrust23THRUST_200600_302600_NS6detail15normal_iteratorINS9_10device_ptrIfEEEESE_fNS9_4plusIvEEfEEDaPvRmT3_T4_T5_mT6_P12ihipStream_tbENKUlT_T0_E_clISt17integral_constantIbLb0EESU_EEDaSP_SQ_EUlSP_E_NS1_11comp_targetILNS1_3genE9ELNS1_11target_archE1100ELNS1_3gpuE3ELNS1_3repE0EEENS1_30default_config_static_selectorELNS0_4arch9wavefront6targetE1EEEvT1_
                                        ; -- End function
	.section	.AMDGPU.csdata,"",@progbits
; Kernel info:
; codeLenInByte = 0
; NumSgprs: 4
; NumVgprs: 0
; NumAgprs: 0
; TotalNumVgprs: 0
; ScratchSize: 0
; MemoryBound: 0
; FloatMode: 240
; IeeeMode: 1
; LDSByteSize: 0 bytes/workgroup (compile time only)
; SGPRBlocks: 0
; VGPRBlocks: 0
; NumSGPRsForWavesPerEU: 4
; NumVGPRsForWavesPerEU: 1
; AccumOffset: 4
; Occupancy: 8
; WaveLimiterHint : 0
; COMPUTE_PGM_RSRC2:SCRATCH_EN: 0
; COMPUTE_PGM_RSRC2:USER_SGPR: 6
; COMPUTE_PGM_RSRC2:TRAP_HANDLER: 0
; COMPUTE_PGM_RSRC2:TGID_X_EN: 1
; COMPUTE_PGM_RSRC2:TGID_Y_EN: 0
; COMPUTE_PGM_RSRC2:TGID_Z_EN: 0
; COMPUTE_PGM_RSRC2:TIDIG_COMP_CNT: 0
; COMPUTE_PGM_RSRC3_GFX90A:ACCUM_OFFSET: 0
; COMPUTE_PGM_RSRC3_GFX90A:TG_SPLIT: 0
	.section	.text._ZN7rocprim17ROCPRIM_400000_NS6detail17trampoline_kernelINS0_14default_configENS1_20scan_config_selectorIfEEZZNS1_9scan_implILNS1_25lookback_scan_determinismE0ELb0ELb0ES3_N6thrust23THRUST_200600_302600_NS6detail15normal_iteratorINS9_10device_ptrIfEEEESE_fNS9_4plusIvEEfEEDaPvRmT3_T4_T5_mT6_P12ihipStream_tbENKUlT_T0_E_clISt17integral_constantIbLb0EESU_EEDaSP_SQ_EUlSP_E_NS1_11comp_targetILNS1_3genE8ELNS1_11target_archE1030ELNS1_3gpuE2ELNS1_3repE0EEENS1_30default_config_static_selectorELNS0_4arch9wavefront6targetE1EEEvT1_,"axG",@progbits,_ZN7rocprim17ROCPRIM_400000_NS6detail17trampoline_kernelINS0_14default_configENS1_20scan_config_selectorIfEEZZNS1_9scan_implILNS1_25lookback_scan_determinismE0ELb0ELb0ES3_N6thrust23THRUST_200600_302600_NS6detail15normal_iteratorINS9_10device_ptrIfEEEESE_fNS9_4plusIvEEfEEDaPvRmT3_T4_T5_mT6_P12ihipStream_tbENKUlT_T0_E_clISt17integral_constantIbLb0EESU_EEDaSP_SQ_EUlSP_E_NS1_11comp_targetILNS1_3genE8ELNS1_11target_archE1030ELNS1_3gpuE2ELNS1_3repE0EEENS1_30default_config_static_selectorELNS0_4arch9wavefront6targetE1EEEvT1_,comdat
	.protected	_ZN7rocprim17ROCPRIM_400000_NS6detail17trampoline_kernelINS0_14default_configENS1_20scan_config_selectorIfEEZZNS1_9scan_implILNS1_25lookback_scan_determinismE0ELb0ELb0ES3_N6thrust23THRUST_200600_302600_NS6detail15normal_iteratorINS9_10device_ptrIfEEEESE_fNS9_4plusIvEEfEEDaPvRmT3_T4_T5_mT6_P12ihipStream_tbENKUlT_T0_E_clISt17integral_constantIbLb0EESU_EEDaSP_SQ_EUlSP_E_NS1_11comp_targetILNS1_3genE8ELNS1_11target_archE1030ELNS1_3gpuE2ELNS1_3repE0EEENS1_30default_config_static_selectorELNS0_4arch9wavefront6targetE1EEEvT1_ ; -- Begin function _ZN7rocprim17ROCPRIM_400000_NS6detail17trampoline_kernelINS0_14default_configENS1_20scan_config_selectorIfEEZZNS1_9scan_implILNS1_25lookback_scan_determinismE0ELb0ELb0ES3_N6thrust23THRUST_200600_302600_NS6detail15normal_iteratorINS9_10device_ptrIfEEEESE_fNS9_4plusIvEEfEEDaPvRmT3_T4_T5_mT6_P12ihipStream_tbENKUlT_T0_E_clISt17integral_constantIbLb0EESU_EEDaSP_SQ_EUlSP_E_NS1_11comp_targetILNS1_3genE8ELNS1_11target_archE1030ELNS1_3gpuE2ELNS1_3repE0EEENS1_30default_config_static_selectorELNS0_4arch9wavefront6targetE1EEEvT1_
	.globl	_ZN7rocprim17ROCPRIM_400000_NS6detail17trampoline_kernelINS0_14default_configENS1_20scan_config_selectorIfEEZZNS1_9scan_implILNS1_25lookback_scan_determinismE0ELb0ELb0ES3_N6thrust23THRUST_200600_302600_NS6detail15normal_iteratorINS9_10device_ptrIfEEEESE_fNS9_4plusIvEEfEEDaPvRmT3_T4_T5_mT6_P12ihipStream_tbENKUlT_T0_E_clISt17integral_constantIbLb0EESU_EEDaSP_SQ_EUlSP_E_NS1_11comp_targetILNS1_3genE8ELNS1_11target_archE1030ELNS1_3gpuE2ELNS1_3repE0EEENS1_30default_config_static_selectorELNS0_4arch9wavefront6targetE1EEEvT1_
	.p2align	8
	.type	_ZN7rocprim17ROCPRIM_400000_NS6detail17trampoline_kernelINS0_14default_configENS1_20scan_config_selectorIfEEZZNS1_9scan_implILNS1_25lookback_scan_determinismE0ELb0ELb0ES3_N6thrust23THRUST_200600_302600_NS6detail15normal_iteratorINS9_10device_ptrIfEEEESE_fNS9_4plusIvEEfEEDaPvRmT3_T4_T5_mT6_P12ihipStream_tbENKUlT_T0_E_clISt17integral_constantIbLb0EESU_EEDaSP_SQ_EUlSP_E_NS1_11comp_targetILNS1_3genE8ELNS1_11target_archE1030ELNS1_3gpuE2ELNS1_3repE0EEENS1_30default_config_static_selectorELNS0_4arch9wavefront6targetE1EEEvT1_,@function
_ZN7rocprim17ROCPRIM_400000_NS6detail17trampoline_kernelINS0_14default_configENS1_20scan_config_selectorIfEEZZNS1_9scan_implILNS1_25lookback_scan_determinismE0ELb0ELb0ES3_N6thrust23THRUST_200600_302600_NS6detail15normal_iteratorINS9_10device_ptrIfEEEESE_fNS9_4plusIvEEfEEDaPvRmT3_T4_T5_mT6_P12ihipStream_tbENKUlT_T0_E_clISt17integral_constantIbLb0EESU_EEDaSP_SQ_EUlSP_E_NS1_11comp_targetILNS1_3genE8ELNS1_11target_archE1030ELNS1_3gpuE2ELNS1_3repE0EEENS1_30default_config_static_selectorELNS0_4arch9wavefront6targetE1EEEvT1_: ; @_ZN7rocprim17ROCPRIM_400000_NS6detail17trampoline_kernelINS0_14default_configENS1_20scan_config_selectorIfEEZZNS1_9scan_implILNS1_25lookback_scan_determinismE0ELb0ELb0ES3_N6thrust23THRUST_200600_302600_NS6detail15normal_iteratorINS9_10device_ptrIfEEEESE_fNS9_4plusIvEEfEEDaPvRmT3_T4_T5_mT6_P12ihipStream_tbENKUlT_T0_E_clISt17integral_constantIbLb0EESU_EEDaSP_SQ_EUlSP_E_NS1_11comp_targetILNS1_3genE8ELNS1_11target_archE1030ELNS1_3gpuE2ELNS1_3repE0EEENS1_30default_config_static_selectorELNS0_4arch9wavefront6targetE1EEEvT1_
; %bb.0:
	.section	.rodata,"a",@progbits
	.p2align	6, 0x0
	.amdhsa_kernel _ZN7rocprim17ROCPRIM_400000_NS6detail17trampoline_kernelINS0_14default_configENS1_20scan_config_selectorIfEEZZNS1_9scan_implILNS1_25lookback_scan_determinismE0ELb0ELb0ES3_N6thrust23THRUST_200600_302600_NS6detail15normal_iteratorINS9_10device_ptrIfEEEESE_fNS9_4plusIvEEfEEDaPvRmT3_T4_T5_mT6_P12ihipStream_tbENKUlT_T0_E_clISt17integral_constantIbLb0EESU_EEDaSP_SQ_EUlSP_E_NS1_11comp_targetILNS1_3genE8ELNS1_11target_archE1030ELNS1_3gpuE2ELNS1_3repE0EEENS1_30default_config_static_selectorELNS0_4arch9wavefront6targetE1EEEvT1_
		.amdhsa_group_segment_fixed_size 0
		.amdhsa_private_segment_fixed_size 0
		.amdhsa_kernarg_size 96
		.amdhsa_user_sgpr_count 6
		.amdhsa_user_sgpr_private_segment_buffer 1
		.amdhsa_user_sgpr_dispatch_ptr 0
		.amdhsa_user_sgpr_queue_ptr 0
		.amdhsa_user_sgpr_kernarg_segment_ptr 1
		.amdhsa_user_sgpr_dispatch_id 0
		.amdhsa_user_sgpr_flat_scratch_init 0
		.amdhsa_user_sgpr_kernarg_preload_length 0
		.amdhsa_user_sgpr_kernarg_preload_offset 0
		.amdhsa_user_sgpr_private_segment_size 0
		.amdhsa_uses_dynamic_stack 0
		.amdhsa_system_sgpr_private_segment_wavefront_offset 0
		.amdhsa_system_sgpr_workgroup_id_x 1
		.amdhsa_system_sgpr_workgroup_id_y 0
		.amdhsa_system_sgpr_workgroup_id_z 0
		.amdhsa_system_sgpr_workgroup_info 0
		.amdhsa_system_vgpr_workitem_id 0
		.amdhsa_next_free_vgpr 1
		.amdhsa_next_free_sgpr 0
		.amdhsa_accum_offset 4
		.amdhsa_reserve_vcc 0
		.amdhsa_reserve_flat_scratch 0
		.amdhsa_float_round_mode_32 0
		.amdhsa_float_round_mode_16_64 0
		.amdhsa_float_denorm_mode_32 3
		.amdhsa_float_denorm_mode_16_64 3
		.amdhsa_dx10_clamp 1
		.amdhsa_ieee_mode 1
		.amdhsa_fp16_overflow 0
		.amdhsa_tg_split 0
		.amdhsa_exception_fp_ieee_invalid_op 0
		.amdhsa_exception_fp_denorm_src 0
		.amdhsa_exception_fp_ieee_div_zero 0
		.amdhsa_exception_fp_ieee_overflow 0
		.amdhsa_exception_fp_ieee_underflow 0
		.amdhsa_exception_fp_ieee_inexact 0
		.amdhsa_exception_int_div_zero 0
	.end_amdhsa_kernel
	.section	.text._ZN7rocprim17ROCPRIM_400000_NS6detail17trampoline_kernelINS0_14default_configENS1_20scan_config_selectorIfEEZZNS1_9scan_implILNS1_25lookback_scan_determinismE0ELb0ELb0ES3_N6thrust23THRUST_200600_302600_NS6detail15normal_iteratorINS9_10device_ptrIfEEEESE_fNS9_4plusIvEEfEEDaPvRmT3_T4_T5_mT6_P12ihipStream_tbENKUlT_T0_E_clISt17integral_constantIbLb0EESU_EEDaSP_SQ_EUlSP_E_NS1_11comp_targetILNS1_3genE8ELNS1_11target_archE1030ELNS1_3gpuE2ELNS1_3repE0EEENS1_30default_config_static_selectorELNS0_4arch9wavefront6targetE1EEEvT1_,"axG",@progbits,_ZN7rocprim17ROCPRIM_400000_NS6detail17trampoline_kernelINS0_14default_configENS1_20scan_config_selectorIfEEZZNS1_9scan_implILNS1_25lookback_scan_determinismE0ELb0ELb0ES3_N6thrust23THRUST_200600_302600_NS6detail15normal_iteratorINS9_10device_ptrIfEEEESE_fNS9_4plusIvEEfEEDaPvRmT3_T4_T5_mT6_P12ihipStream_tbENKUlT_T0_E_clISt17integral_constantIbLb0EESU_EEDaSP_SQ_EUlSP_E_NS1_11comp_targetILNS1_3genE8ELNS1_11target_archE1030ELNS1_3gpuE2ELNS1_3repE0EEENS1_30default_config_static_selectorELNS0_4arch9wavefront6targetE1EEEvT1_,comdat
.Lfunc_end4294:
	.size	_ZN7rocprim17ROCPRIM_400000_NS6detail17trampoline_kernelINS0_14default_configENS1_20scan_config_selectorIfEEZZNS1_9scan_implILNS1_25lookback_scan_determinismE0ELb0ELb0ES3_N6thrust23THRUST_200600_302600_NS6detail15normal_iteratorINS9_10device_ptrIfEEEESE_fNS9_4plusIvEEfEEDaPvRmT3_T4_T5_mT6_P12ihipStream_tbENKUlT_T0_E_clISt17integral_constantIbLb0EESU_EEDaSP_SQ_EUlSP_E_NS1_11comp_targetILNS1_3genE8ELNS1_11target_archE1030ELNS1_3gpuE2ELNS1_3repE0EEENS1_30default_config_static_selectorELNS0_4arch9wavefront6targetE1EEEvT1_, .Lfunc_end4294-_ZN7rocprim17ROCPRIM_400000_NS6detail17trampoline_kernelINS0_14default_configENS1_20scan_config_selectorIfEEZZNS1_9scan_implILNS1_25lookback_scan_determinismE0ELb0ELb0ES3_N6thrust23THRUST_200600_302600_NS6detail15normal_iteratorINS9_10device_ptrIfEEEESE_fNS9_4plusIvEEfEEDaPvRmT3_T4_T5_mT6_P12ihipStream_tbENKUlT_T0_E_clISt17integral_constantIbLb0EESU_EEDaSP_SQ_EUlSP_E_NS1_11comp_targetILNS1_3genE8ELNS1_11target_archE1030ELNS1_3gpuE2ELNS1_3repE0EEENS1_30default_config_static_selectorELNS0_4arch9wavefront6targetE1EEEvT1_
                                        ; -- End function
	.section	.AMDGPU.csdata,"",@progbits
; Kernel info:
; codeLenInByte = 0
; NumSgprs: 4
; NumVgprs: 0
; NumAgprs: 0
; TotalNumVgprs: 0
; ScratchSize: 0
; MemoryBound: 0
; FloatMode: 240
; IeeeMode: 1
; LDSByteSize: 0 bytes/workgroup (compile time only)
; SGPRBlocks: 0
; VGPRBlocks: 0
; NumSGPRsForWavesPerEU: 4
; NumVGPRsForWavesPerEU: 1
; AccumOffset: 4
; Occupancy: 8
; WaveLimiterHint : 0
; COMPUTE_PGM_RSRC2:SCRATCH_EN: 0
; COMPUTE_PGM_RSRC2:USER_SGPR: 6
; COMPUTE_PGM_RSRC2:TRAP_HANDLER: 0
; COMPUTE_PGM_RSRC2:TGID_X_EN: 1
; COMPUTE_PGM_RSRC2:TGID_Y_EN: 0
; COMPUTE_PGM_RSRC2:TGID_Z_EN: 0
; COMPUTE_PGM_RSRC2:TIDIG_COMP_CNT: 0
; COMPUTE_PGM_RSRC3_GFX90A:ACCUM_OFFSET: 0
; COMPUTE_PGM_RSRC3_GFX90A:TG_SPLIT: 0
	.section	.text._ZN7rocprim17ROCPRIM_400000_NS6detail17trampoline_kernelINS0_14default_configENS1_20scan_config_selectorIfEEZZNS1_9scan_implILNS1_25lookback_scan_determinismE0ELb0ELb0ES3_N6thrust23THRUST_200600_302600_NS6detail15normal_iteratorINS9_10device_ptrIfEEEESE_fNS9_4plusIvEEfEEDaPvRmT3_T4_T5_mT6_P12ihipStream_tbENKUlT_T0_E_clISt17integral_constantIbLb0EESU_EEDaSP_SQ_EUlSP_E0_NS1_11comp_targetILNS1_3genE0ELNS1_11target_archE4294967295ELNS1_3gpuE0ELNS1_3repE0EEENS1_30default_config_static_selectorELNS0_4arch9wavefront6targetE1EEEvT1_,"axG",@progbits,_ZN7rocprim17ROCPRIM_400000_NS6detail17trampoline_kernelINS0_14default_configENS1_20scan_config_selectorIfEEZZNS1_9scan_implILNS1_25lookback_scan_determinismE0ELb0ELb0ES3_N6thrust23THRUST_200600_302600_NS6detail15normal_iteratorINS9_10device_ptrIfEEEESE_fNS9_4plusIvEEfEEDaPvRmT3_T4_T5_mT6_P12ihipStream_tbENKUlT_T0_E_clISt17integral_constantIbLb0EESU_EEDaSP_SQ_EUlSP_E0_NS1_11comp_targetILNS1_3genE0ELNS1_11target_archE4294967295ELNS1_3gpuE0ELNS1_3repE0EEENS1_30default_config_static_selectorELNS0_4arch9wavefront6targetE1EEEvT1_,comdat
	.protected	_ZN7rocprim17ROCPRIM_400000_NS6detail17trampoline_kernelINS0_14default_configENS1_20scan_config_selectorIfEEZZNS1_9scan_implILNS1_25lookback_scan_determinismE0ELb0ELb0ES3_N6thrust23THRUST_200600_302600_NS6detail15normal_iteratorINS9_10device_ptrIfEEEESE_fNS9_4plusIvEEfEEDaPvRmT3_T4_T5_mT6_P12ihipStream_tbENKUlT_T0_E_clISt17integral_constantIbLb0EESU_EEDaSP_SQ_EUlSP_E0_NS1_11comp_targetILNS1_3genE0ELNS1_11target_archE4294967295ELNS1_3gpuE0ELNS1_3repE0EEENS1_30default_config_static_selectorELNS0_4arch9wavefront6targetE1EEEvT1_ ; -- Begin function _ZN7rocprim17ROCPRIM_400000_NS6detail17trampoline_kernelINS0_14default_configENS1_20scan_config_selectorIfEEZZNS1_9scan_implILNS1_25lookback_scan_determinismE0ELb0ELb0ES3_N6thrust23THRUST_200600_302600_NS6detail15normal_iteratorINS9_10device_ptrIfEEEESE_fNS9_4plusIvEEfEEDaPvRmT3_T4_T5_mT6_P12ihipStream_tbENKUlT_T0_E_clISt17integral_constantIbLb0EESU_EEDaSP_SQ_EUlSP_E0_NS1_11comp_targetILNS1_3genE0ELNS1_11target_archE4294967295ELNS1_3gpuE0ELNS1_3repE0EEENS1_30default_config_static_selectorELNS0_4arch9wavefront6targetE1EEEvT1_
	.globl	_ZN7rocprim17ROCPRIM_400000_NS6detail17trampoline_kernelINS0_14default_configENS1_20scan_config_selectorIfEEZZNS1_9scan_implILNS1_25lookback_scan_determinismE0ELb0ELb0ES3_N6thrust23THRUST_200600_302600_NS6detail15normal_iteratorINS9_10device_ptrIfEEEESE_fNS9_4plusIvEEfEEDaPvRmT3_T4_T5_mT6_P12ihipStream_tbENKUlT_T0_E_clISt17integral_constantIbLb0EESU_EEDaSP_SQ_EUlSP_E0_NS1_11comp_targetILNS1_3genE0ELNS1_11target_archE4294967295ELNS1_3gpuE0ELNS1_3repE0EEENS1_30default_config_static_selectorELNS0_4arch9wavefront6targetE1EEEvT1_
	.p2align	8
	.type	_ZN7rocprim17ROCPRIM_400000_NS6detail17trampoline_kernelINS0_14default_configENS1_20scan_config_selectorIfEEZZNS1_9scan_implILNS1_25lookback_scan_determinismE0ELb0ELb0ES3_N6thrust23THRUST_200600_302600_NS6detail15normal_iteratorINS9_10device_ptrIfEEEESE_fNS9_4plusIvEEfEEDaPvRmT3_T4_T5_mT6_P12ihipStream_tbENKUlT_T0_E_clISt17integral_constantIbLb0EESU_EEDaSP_SQ_EUlSP_E0_NS1_11comp_targetILNS1_3genE0ELNS1_11target_archE4294967295ELNS1_3gpuE0ELNS1_3repE0EEENS1_30default_config_static_selectorELNS0_4arch9wavefront6targetE1EEEvT1_,@function
_ZN7rocprim17ROCPRIM_400000_NS6detail17trampoline_kernelINS0_14default_configENS1_20scan_config_selectorIfEEZZNS1_9scan_implILNS1_25lookback_scan_determinismE0ELb0ELb0ES3_N6thrust23THRUST_200600_302600_NS6detail15normal_iteratorINS9_10device_ptrIfEEEESE_fNS9_4plusIvEEfEEDaPvRmT3_T4_T5_mT6_P12ihipStream_tbENKUlT_T0_E_clISt17integral_constantIbLb0EESU_EEDaSP_SQ_EUlSP_E0_NS1_11comp_targetILNS1_3genE0ELNS1_11target_archE4294967295ELNS1_3gpuE0ELNS1_3repE0EEENS1_30default_config_static_selectorELNS0_4arch9wavefront6targetE1EEEvT1_: ; @_ZN7rocprim17ROCPRIM_400000_NS6detail17trampoline_kernelINS0_14default_configENS1_20scan_config_selectorIfEEZZNS1_9scan_implILNS1_25lookback_scan_determinismE0ELb0ELb0ES3_N6thrust23THRUST_200600_302600_NS6detail15normal_iteratorINS9_10device_ptrIfEEEESE_fNS9_4plusIvEEfEEDaPvRmT3_T4_T5_mT6_P12ihipStream_tbENKUlT_T0_E_clISt17integral_constantIbLb0EESU_EEDaSP_SQ_EUlSP_E0_NS1_11comp_targetILNS1_3genE0ELNS1_11target_archE4294967295ELNS1_3gpuE0ELNS1_3repE0EEENS1_30default_config_static_selectorELNS0_4arch9wavefront6targetE1EEEvT1_
; %bb.0:
	.section	.rodata,"a",@progbits
	.p2align	6, 0x0
	.amdhsa_kernel _ZN7rocprim17ROCPRIM_400000_NS6detail17trampoline_kernelINS0_14default_configENS1_20scan_config_selectorIfEEZZNS1_9scan_implILNS1_25lookback_scan_determinismE0ELb0ELb0ES3_N6thrust23THRUST_200600_302600_NS6detail15normal_iteratorINS9_10device_ptrIfEEEESE_fNS9_4plusIvEEfEEDaPvRmT3_T4_T5_mT6_P12ihipStream_tbENKUlT_T0_E_clISt17integral_constantIbLb0EESU_EEDaSP_SQ_EUlSP_E0_NS1_11comp_targetILNS1_3genE0ELNS1_11target_archE4294967295ELNS1_3gpuE0ELNS1_3repE0EEENS1_30default_config_static_selectorELNS0_4arch9wavefront6targetE1EEEvT1_
		.amdhsa_group_segment_fixed_size 0
		.amdhsa_private_segment_fixed_size 0
		.amdhsa_kernarg_size 32
		.amdhsa_user_sgpr_count 6
		.amdhsa_user_sgpr_private_segment_buffer 1
		.amdhsa_user_sgpr_dispatch_ptr 0
		.amdhsa_user_sgpr_queue_ptr 0
		.amdhsa_user_sgpr_kernarg_segment_ptr 1
		.amdhsa_user_sgpr_dispatch_id 0
		.amdhsa_user_sgpr_flat_scratch_init 0
		.amdhsa_user_sgpr_kernarg_preload_length 0
		.amdhsa_user_sgpr_kernarg_preload_offset 0
		.amdhsa_user_sgpr_private_segment_size 0
		.amdhsa_uses_dynamic_stack 0
		.amdhsa_system_sgpr_private_segment_wavefront_offset 0
		.amdhsa_system_sgpr_workgroup_id_x 1
		.amdhsa_system_sgpr_workgroup_id_y 0
		.amdhsa_system_sgpr_workgroup_id_z 0
		.amdhsa_system_sgpr_workgroup_info 0
		.amdhsa_system_vgpr_workitem_id 0
		.amdhsa_next_free_vgpr 1
		.amdhsa_next_free_sgpr 0
		.amdhsa_accum_offset 4
		.amdhsa_reserve_vcc 0
		.amdhsa_reserve_flat_scratch 0
		.amdhsa_float_round_mode_32 0
		.amdhsa_float_round_mode_16_64 0
		.amdhsa_float_denorm_mode_32 3
		.amdhsa_float_denorm_mode_16_64 3
		.amdhsa_dx10_clamp 1
		.amdhsa_ieee_mode 1
		.amdhsa_fp16_overflow 0
		.amdhsa_tg_split 0
		.amdhsa_exception_fp_ieee_invalid_op 0
		.amdhsa_exception_fp_denorm_src 0
		.amdhsa_exception_fp_ieee_div_zero 0
		.amdhsa_exception_fp_ieee_overflow 0
		.amdhsa_exception_fp_ieee_underflow 0
		.amdhsa_exception_fp_ieee_inexact 0
		.amdhsa_exception_int_div_zero 0
	.end_amdhsa_kernel
	.section	.text._ZN7rocprim17ROCPRIM_400000_NS6detail17trampoline_kernelINS0_14default_configENS1_20scan_config_selectorIfEEZZNS1_9scan_implILNS1_25lookback_scan_determinismE0ELb0ELb0ES3_N6thrust23THRUST_200600_302600_NS6detail15normal_iteratorINS9_10device_ptrIfEEEESE_fNS9_4plusIvEEfEEDaPvRmT3_T4_T5_mT6_P12ihipStream_tbENKUlT_T0_E_clISt17integral_constantIbLb0EESU_EEDaSP_SQ_EUlSP_E0_NS1_11comp_targetILNS1_3genE0ELNS1_11target_archE4294967295ELNS1_3gpuE0ELNS1_3repE0EEENS1_30default_config_static_selectorELNS0_4arch9wavefront6targetE1EEEvT1_,"axG",@progbits,_ZN7rocprim17ROCPRIM_400000_NS6detail17trampoline_kernelINS0_14default_configENS1_20scan_config_selectorIfEEZZNS1_9scan_implILNS1_25lookback_scan_determinismE0ELb0ELb0ES3_N6thrust23THRUST_200600_302600_NS6detail15normal_iteratorINS9_10device_ptrIfEEEESE_fNS9_4plusIvEEfEEDaPvRmT3_T4_T5_mT6_P12ihipStream_tbENKUlT_T0_E_clISt17integral_constantIbLb0EESU_EEDaSP_SQ_EUlSP_E0_NS1_11comp_targetILNS1_3genE0ELNS1_11target_archE4294967295ELNS1_3gpuE0ELNS1_3repE0EEENS1_30default_config_static_selectorELNS0_4arch9wavefront6targetE1EEEvT1_,comdat
.Lfunc_end4295:
	.size	_ZN7rocprim17ROCPRIM_400000_NS6detail17trampoline_kernelINS0_14default_configENS1_20scan_config_selectorIfEEZZNS1_9scan_implILNS1_25lookback_scan_determinismE0ELb0ELb0ES3_N6thrust23THRUST_200600_302600_NS6detail15normal_iteratorINS9_10device_ptrIfEEEESE_fNS9_4plusIvEEfEEDaPvRmT3_T4_T5_mT6_P12ihipStream_tbENKUlT_T0_E_clISt17integral_constantIbLb0EESU_EEDaSP_SQ_EUlSP_E0_NS1_11comp_targetILNS1_3genE0ELNS1_11target_archE4294967295ELNS1_3gpuE0ELNS1_3repE0EEENS1_30default_config_static_selectorELNS0_4arch9wavefront6targetE1EEEvT1_, .Lfunc_end4295-_ZN7rocprim17ROCPRIM_400000_NS6detail17trampoline_kernelINS0_14default_configENS1_20scan_config_selectorIfEEZZNS1_9scan_implILNS1_25lookback_scan_determinismE0ELb0ELb0ES3_N6thrust23THRUST_200600_302600_NS6detail15normal_iteratorINS9_10device_ptrIfEEEESE_fNS9_4plusIvEEfEEDaPvRmT3_T4_T5_mT6_P12ihipStream_tbENKUlT_T0_E_clISt17integral_constantIbLb0EESU_EEDaSP_SQ_EUlSP_E0_NS1_11comp_targetILNS1_3genE0ELNS1_11target_archE4294967295ELNS1_3gpuE0ELNS1_3repE0EEENS1_30default_config_static_selectorELNS0_4arch9wavefront6targetE1EEEvT1_
                                        ; -- End function
	.section	.AMDGPU.csdata,"",@progbits
; Kernel info:
; codeLenInByte = 0
; NumSgprs: 4
; NumVgprs: 0
; NumAgprs: 0
; TotalNumVgprs: 0
; ScratchSize: 0
; MemoryBound: 0
; FloatMode: 240
; IeeeMode: 1
; LDSByteSize: 0 bytes/workgroup (compile time only)
; SGPRBlocks: 0
; VGPRBlocks: 0
; NumSGPRsForWavesPerEU: 4
; NumVGPRsForWavesPerEU: 1
; AccumOffset: 4
; Occupancy: 8
; WaveLimiterHint : 0
; COMPUTE_PGM_RSRC2:SCRATCH_EN: 0
; COMPUTE_PGM_RSRC2:USER_SGPR: 6
; COMPUTE_PGM_RSRC2:TRAP_HANDLER: 0
; COMPUTE_PGM_RSRC2:TGID_X_EN: 1
; COMPUTE_PGM_RSRC2:TGID_Y_EN: 0
; COMPUTE_PGM_RSRC2:TGID_Z_EN: 0
; COMPUTE_PGM_RSRC2:TIDIG_COMP_CNT: 0
; COMPUTE_PGM_RSRC3_GFX90A:ACCUM_OFFSET: 0
; COMPUTE_PGM_RSRC3_GFX90A:TG_SPLIT: 0
	.section	.text._ZN7rocprim17ROCPRIM_400000_NS6detail17trampoline_kernelINS0_14default_configENS1_20scan_config_selectorIfEEZZNS1_9scan_implILNS1_25lookback_scan_determinismE0ELb0ELb0ES3_N6thrust23THRUST_200600_302600_NS6detail15normal_iteratorINS9_10device_ptrIfEEEESE_fNS9_4plusIvEEfEEDaPvRmT3_T4_T5_mT6_P12ihipStream_tbENKUlT_T0_E_clISt17integral_constantIbLb0EESU_EEDaSP_SQ_EUlSP_E0_NS1_11comp_targetILNS1_3genE5ELNS1_11target_archE942ELNS1_3gpuE9ELNS1_3repE0EEENS1_30default_config_static_selectorELNS0_4arch9wavefront6targetE1EEEvT1_,"axG",@progbits,_ZN7rocprim17ROCPRIM_400000_NS6detail17trampoline_kernelINS0_14default_configENS1_20scan_config_selectorIfEEZZNS1_9scan_implILNS1_25lookback_scan_determinismE0ELb0ELb0ES3_N6thrust23THRUST_200600_302600_NS6detail15normal_iteratorINS9_10device_ptrIfEEEESE_fNS9_4plusIvEEfEEDaPvRmT3_T4_T5_mT6_P12ihipStream_tbENKUlT_T0_E_clISt17integral_constantIbLb0EESU_EEDaSP_SQ_EUlSP_E0_NS1_11comp_targetILNS1_3genE5ELNS1_11target_archE942ELNS1_3gpuE9ELNS1_3repE0EEENS1_30default_config_static_selectorELNS0_4arch9wavefront6targetE1EEEvT1_,comdat
	.protected	_ZN7rocprim17ROCPRIM_400000_NS6detail17trampoline_kernelINS0_14default_configENS1_20scan_config_selectorIfEEZZNS1_9scan_implILNS1_25lookback_scan_determinismE0ELb0ELb0ES3_N6thrust23THRUST_200600_302600_NS6detail15normal_iteratorINS9_10device_ptrIfEEEESE_fNS9_4plusIvEEfEEDaPvRmT3_T4_T5_mT6_P12ihipStream_tbENKUlT_T0_E_clISt17integral_constantIbLb0EESU_EEDaSP_SQ_EUlSP_E0_NS1_11comp_targetILNS1_3genE5ELNS1_11target_archE942ELNS1_3gpuE9ELNS1_3repE0EEENS1_30default_config_static_selectorELNS0_4arch9wavefront6targetE1EEEvT1_ ; -- Begin function _ZN7rocprim17ROCPRIM_400000_NS6detail17trampoline_kernelINS0_14default_configENS1_20scan_config_selectorIfEEZZNS1_9scan_implILNS1_25lookback_scan_determinismE0ELb0ELb0ES3_N6thrust23THRUST_200600_302600_NS6detail15normal_iteratorINS9_10device_ptrIfEEEESE_fNS9_4plusIvEEfEEDaPvRmT3_T4_T5_mT6_P12ihipStream_tbENKUlT_T0_E_clISt17integral_constantIbLb0EESU_EEDaSP_SQ_EUlSP_E0_NS1_11comp_targetILNS1_3genE5ELNS1_11target_archE942ELNS1_3gpuE9ELNS1_3repE0EEENS1_30default_config_static_selectorELNS0_4arch9wavefront6targetE1EEEvT1_
	.globl	_ZN7rocprim17ROCPRIM_400000_NS6detail17trampoline_kernelINS0_14default_configENS1_20scan_config_selectorIfEEZZNS1_9scan_implILNS1_25lookback_scan_determinismE0ELb0ELb0ES3_N6thrust23THRUST_200600_302600_NS6detail15normal_iteratorINS9_10device_ptrIfEEEESE_fNS9_4plusIvEEfEEDaPvRmT3_T4_T5_mT6_P12ihipStream_tbENKUlT_T0_E_clISt17integral_constantIbLb0EESU_EEDaSP_SQ_EUlSP_E0_NS1_11comp_targetILNS1_3genE5ELNS1_11target_archE942ELNS1_3gpuE9ELNS1_3repE0EEENS1_30default_config_static_selectorELNS0_4arch9wavefront6targetE1EEEvT1_
	.p2align	8
	.type	_ZN7rocprim17ROCPRIM_400000_NS6detail17trampoline_kernelINS0_14default_configENS1_20scan_config_selectorIfEEZZNS1_9scan_implILNS1_25lookback_scan_determinismE0ELb0ELb0ES3_N6thrust23THRUST_200600_302600_NS6detail15normal_iteratorINS9_10device_ptrIfEEEESE_fNS9_4plusIvEEfEEDaPvRmT3_T4_T5_mT6_P12ihipStream_tbENKUlT_T0_E_clISt17integral_constantIbLb0EESU_EEDaSP_SQ_EUlSP_E0_NS1_11comp_targetILNS1_3genE5ELNS1_11target_archE942ELNS1_3gpuE9ELNS1_3repE0EEENS1_30default_config_static_selectorELNS0_4arch9wavefront6targetE1EEEvT1_,@function
_ZN7rocprim17ROCPRIM_400000_NS6detail17trampoline_kernelINS0_14default_configENS1_20scan_config_selectorIfEEZZNS1_9scan_implILNS1_25lookback_scan_determinismE0ELb0ELb0ES3_N6thrust23THRUST_200600_302600_NS6detail15normal_iteratorINS9_10device_ptrIfEEEESE_fNS9_4plusIvEEfEEDaPvRmT3_T4_T5_mT6_P12ihipStream_tbENKUlT_T0_E_clISt17integral_constantIbLb0EESU_EEDaSP_SQ_EUlSP_E0_NS1_11comp_targetILNS1_3genE5ELNS1_11target_archE942ELNS1_3gpuE9ELNS1_3repE0EEENS1_30default_config_static_selectorELNS0_4arch9wavefront6targetE1EEEvT1_: ; @_ZN7rocprim17ROCPRIM_400000_NS6detail17trampoline_kernelINS0_14default_configENS1_20scan_config_selectorIfEEZZNS1_9scan_implILNS1_25lookback_scan_determinismE0ELb0ELb0ES3_N6thrust23THRUST_200600_302600_NS6detail15normal_iteratorINS9_10device_ptrIfEEEESE_fNS9_4plusIvEEfEEDaPvRmT3_T4_T5_mT6_P12ihipStream_tbENKUlT_T0_E_clISt17integral_constantIbLb0EESU_EEDaSP_SQ_EUlSP_E0_NS1_11comp_targetILNS1_3genE5ELNS1_11target_archE942ELNS1_3gpuE9ELNS1_3repE0EEENS1_30default_config_static_selectorELNS0_4arch9wavefront6targetE1EEEvT1_
; %bb.0:
	.section	.rodata,"a",@progbits
	.p2align	6, 0x0
	.amdhsa_kernel _ZN7rocprim17ROCPRIM_400000_NS6detail17trampoline_kernelINS0_14default_configENS1_20scan_config_selectorIfEEZZNS1_9scan_implILNS1_25lookback_scan_determinismE0ELb0ELb0ES3_N6thrust23THRUST_200600_302600_NS6detail15normal_iteratorINS9_10device_ptrIfEEEESE_fNS9_4plusIvEEfEEDaPvRmT3_T4_T5_mT6_P12ihipStream_tbENKUlT_T0_E_clISt17integral_constantIbLb0EESU_EEDaSP_SQ_EUlSP_E0_NS1_11comp_targetILNS1_3genE5ELNS1_11target_archE942ELNS1_3gpuE9ELNS1_3repE0EEENS1_30default_config_static_selectorELNS0_4arch9wavefront6targetE1EEEvT1_
		.amdhsa_group_segment_fixed_size 0
		.amdhsa_private_segment_fixed_size 0
		.amdhsa_kernarg_size 32
		.amdhsa_user_sgpr_count 6
		.amdhsa_user_sgpr_private_segment_buffer 1
		.amdhsa_user_sgpr_dispatch_ptr 0
		.amdhsa_user_sgpr_queue_ptr 0
		.amdhsa_user_sgpr_kernarg_segment_ptr 1
		.amdhsa_user_sgpr_dispatch_id 0
		.amdhsa_user_sgpr_flat_scratch_init 0
		.amdhsa_user_sgpr_kernarg_preload_length 0
		.amdhsa_user_sgpr_kernarg_preload_offset 0
		.amdhsa_user_sgpr_private_segment_size 0
		.amdhsa_uses_dynamic_stack 0
		.amdhsa_system_sgpr_private_segment_wavefront_offset 0
		.amdhsa_system_sgpr_workgroup_id_x 1
		.amdhsa_system_sgpr_workgroup_id_y 0
		.amdhsa_system_sgpr_workgroup_id_z 0
		.amdhsa_system_sgpr_workgroup_info 0
		.amdhsa_system_vgpr_workitem_id 0
		.amdhsa_next_free_vgpr 1
		.amdhsa_next_free_sgpr 0
		.amdhsa_accum_offset 4
		.amdhsa_reserve_vcc 0
		.amdhsa_reserve_flat_scratch 0
		.amdhsa_float_round_mode_32 0
		.amdhsa_float_round_mode_16_64 0
		.amdhsa_float_denorm_mode_32 3
		.amdhsa_float_denorm_mode_16_64 3
		.amdhsa_dx10_clamp 1
		.amdhsa_ieee_mode 1
		.amdhsa_fp16_overflow 0
		.amdhsa_tg_split 0
		.amdhsa_exception_fp_ieee_invalid_op 0
		.amdhsa_exception_fp_denorm_src 0
		.amdhsa_exception_fp_ieee_div_zero 0
		.amdhsa_exception_fp_ieee_overflow 0
		.amdhsa_exception_fp_ieee_underflow 0
		.amdhsa_exception_fp_ieee_inexact 0
		.amdhsa_exception_int_div_zero 0
	.end_amdhsa_kernel
	.section	.text._ZN7rocprim17ROCPRIM_400000_NS6detail17trampoline_kernelINS0_14default_configENS1_20scan_config_selectorIfEEZZNS1_9scan_implILNS1_25lookback_scan_determinismE0ELb0ELb0ES3_N6thrust23THRUST_200600_302600_NS6detail15normal_iteratorINS9_10device_ptrIfEEEESE_fNS9_4plusIvEEfEEDaPvRmT3_T4_T5_mT6_P12ihipStream_tbENKUlT_T0_E_clISt17integral_constantIbLb0EESU_EEDaSP_SQ_EUlSP_E0_NS1_11comp_targetILNS1_3genE5ELNS1_11target_archE942ELNS1_3gpuE9ELNS1_3repE0EEENS1_30default_config_static_selectorELNS0_4arch9wavefront6targetE1EEEvT1_,"axG",@progbits,_ZN7rocprim17ROCPRIM_400000_NS6detail17trampoline_kernelINS0_14default_configENS1_20scan_config_selectorIfEEZZNS1_9scan_implILNS1_25lookback_scan_determinismE0ELb0ELb0ES3_N6thrust23THRUST_200600_302600_NS6detail15normal_iteratorINS9_10device_ptrIfEEEESE_fNS9_4plusIvEEfEEDaPvRmT3_T4_T5_mT6_P12ihipStream_tbENKUlT_T0_E_clISt17integral_constantIbLb0EESU_EEDaSP_SQ_EUlSP_E0_NS1_11comp_targetILNS1_3genE5ELNS1_11target_archE942ELNS1_3gpuE9ELNS1_3repE0EEENS1_30default_config_static_selectorELNS0_4arch9wavefront6targetE1EEEvT1_,comdat
.Lfunc_end4296:
	.size	_ZN7rocprim17ROCPRIM_400000_NS6detail17trampoline_kernelINS0_14default_configENS1_20scan_config_selectorIfEEZZNS1_9scan_implILNS1_25lookback_scan_determinismE0ELb0ELb0ES3_N6thrust23THRUST_200600_302600_NS6detail15normal_iteratorINS9_10device_ptrIfEEEESE_fNS9_4plusIvEEfEEDaPvRmT3_T4_T5_mT6_P12ihipStream_tbENKUlT_T0_E_clISt17integral_constantIbLb0EESU_EEDaSP_SQ_EUlSP_E0_NS1_11comp_targetILNS1_3genE5ELNS1_11target_archE942ELNS1_3gpuE9ELNS1_3repE0EEENS1_30default_config_static_selectorELNS0_4arch9wavefront6targetE1EEEvT1_, .Lfunc_end4296-_ZN7rocprim17ROCPRIM_400000_NS6detail17trampoline_kernelINS0_14default_configENS1_20scan_config_selectorIfEEZZNS1_9scan_implILNS1_25lookback_scan_determinismE0ELb0ELb0ES3_N6thrust23THRUST_200600_302600_NS6detail15normal_iteratorINS9_10device_ptrIfEEEESE_fNS9_4plusIvEEfEEDaPvRmT3_T4_T5_mT6_P12ihipStream_tbENKUlT_T0_E_clISt17integral_constantIbLb0EESU_EEDaSP_SQ_EUlSP_E0_NS1_11comp_targetILNS1_3genE5ELNS1_11target_archE942ELNS1_3gpuE9ELNS1_3repE0EEENS1_30default_config_static_selectorELNS0_4arch9wavefront6targetE1EEEvT1_
                                        ; -- End function
	.section	.AMDGPU.csdata,"",@progbits
; Kernel info:
; codeLenInByte = 0
; NumSgprs: 4
; NumVgprs: 0
; NumAgprs: 0
; TotalNumVgprs: 0
; ScratchSize: 0
; MemoryBound: 0
; FloatMode: 240
; IeeeMode: 1
; LDSByteSize: 0 bytes/workgroup (compile time only)
; SGPRBlocks: 0
; VGPRBlocks: 0
; NumSGPRsForWavesPerEU: 4
; NumVGPRsForWavesPerEU: 1
; AccumOffset: 4
; Occupancy: 8
; WaveLimiterHint : 0
; COMPUTE_PGM_RSRC2:SCRATCH_EN: 0
; COMPUTE_PGM_RSRC2:USER_SGPR: 6
; COMPUTE_PGM_RSRC2:TRAP_HANDLER: 0
; COMPUTE_PGM_RSRC2:TGID_X_EN: 1
; COMPUTE_PGM_RSRC2:TGID_Y_EN: 0
; COMPUTE_PGM_RSRC2:TGID_Z_EN: 0
; COMPUTE_PGM_RSRC2:TIDIG_COMP_CNT: 0
; COMPUTE_PGM_RSRC3_GFX90A:ACCUM_OFFSET: 0
; COMPUTE_PGM_RSRC3_GFX90A:TG_SPLIT: 0
	.section	.text._ZN7rocprim17ROCPRIM_400000_NS6detail17trampoline_kernelINS0_14default_configENS1_20scan_config_selectorIfEEZZNS1_9scan_implILNS1_25lookback_scan_determinismE0ELb0ELb0ES3_N6thrust23THRUST_200600_302600_NS6detail15normal_iteratorINS9_10device_ptrIfEEEESE_fNS9_4plusIvEEfEEDaPvRmT3_T4_T5_mT6_P12ihipStream_tbENKUlT_T0_E_clISt17integral_constantIbLb0EESU_EEDaSP_SQ_EUlSP_E0_NS1_11comp_targetILNS1_3genE4ELNS1_11target_archE910ELNS1_3gpuE8ELNS1_3repE0EEENS1_30default_config_static_selectorELNS0_4arch9wavefront6targetE1EEEvT1_,"axG",@progbits,_ZN7rocprim17ROCPRIM_400000_NS6detail17trampoline_kernelINS0_14default_configENS1_20scan_config_selectorIfEEZZNS1_9scan_implILNS1_25lookback_scan_determinismE0ELb0ELb0ES3_N6thrust23THRUST_200600_302600_NS6detail15normal_iteratorINS9_10device_ptrIfEEEESE_fNS9_4plusIvEEfEEDaPvRmT3_T4_T5_mT6_P12ihipStream_tbENKUlT_T0_E_clISt17integral_constantIbLb0EESU_EEDaSP_SQ_EUlSP_E0_NS1_11comp_targetILNS1_3genE4ELNS1_11target_archE910ELNS1_3gpuE8ELNS1_3repE0EEENS1_30default_config_static_selectorELNS0_4arch9wavefront6targetE1EEEvT1_,comdat
	.protected	_ZN7rocprim17ROCPRIM_400000_NS6detail17trampoline_kernelINS0_14default_configENS1_20scan_config_selectorIfEEZZNS1_9scan_implILNS1_25lookback_scan_determinismE0ELb0ELb0ES3_N6thrust23THRUST_200600_302600_NS6detail15normal_iteratorINS9_10device_ptrIfEEEESE_fNS9_4plusIvEEfEEDaPvRmT3_T4_T5_mT6_P12ihipStream_tbENKUlT_T0_E_clISt17integral_constantIbLb0EESU_EEDaSP_SQ_EUlSP_E0_NS1_11comp_targetILNS1_3genE4ELNS1_11target_archE910ELNS1_3gpuE8ELNS1_3repE0EEENS1_30default_config_static_selectorELNS0_4arch9wavefront6targetE1EEEvT1_ ; -- Begin function _ZN7rocprim17ROCPRIM_400000_NS6detail17trampoline_kernelINS0_14default_configENS1_20scan_config_selectorIfEEZZNS1_9scan_implILNS1_25lookback_scan_determinismE0ELb0ELb0ES3_N6thrust23THRUST_200600_302600_NS6detail15normal_iteratorINS9_10device_ptrIfEEEESE_fNS9_4plusIvEEfEEDaPvRmT3_T4_T5_mT6_P12ihipStream_tbENKUlT_T0_E_clISt17integral_constantIbLb0EESU_EEDaSP_SQ_EUlSP_E0_NS1_11comp_targetILNS1_3genE4ELNS1_11target_archE910ELNS1_3gpuE8ELNS1_3repE0EEENS1_30default_config_static_selectorELNS0_4arch9wavefront6targetE1EEEvT1_
	.globl	_ZN7rocprim17ROCPRIM_400000_NS6detail17trampoline_kernelINS0_14default_configENS1_20scan_config_selectorIfEEZZNS1_9scan_implILNS1_25lookback_scan_determinismE0ELb0ELb0ES3_N6thrust23THRUST_200600_302600_NS6detail15normal_iteratorINS9_10device_ptrIfEEEESE_fNS9_4plusIvEEfEEDaPvRmT3_T4_T5_mT6_P12ihipStream_tbENKUlT_T0_E_clISt17integral_constantIbLb0EESU_EEDaSP_SQ_EUlSP_E0_NS1_11comp_targetILNS1_3genE4ELNS1_11target_archE910ELNS1_3gpuE8ELNS1_3repE0EEENS1_30default_config_static_selectorELNS0_4arch9wavefront6targetE1EEEvT1_
	.p2align	8
	.type	_ZN7rocprim17ROCPRIM_400000_NS6detail17trampoline_kernelINS0_14default_configENS1_20scan_config_selectorIfEEZZNS1_9scan_implILNS1_25lookback_scan_determinismE0ELb0ELb0ES3_N6thrust23THRUST_200600_302600_NS6detail15normal_iteratorINS9_10device_ptrIfEEEESE_fNS9_4plusIvEEfEEDaPvRmT3_T4_T5_mT6_P12ihipStream_tbENKUlT_T0_E_clISt17integral_constantIbLb0EESU_EEDaSP_SQ_EUlSP_E0_NS1_11comp_targetILNS1_3genE4ELNS1_11target_archE910ELNS1_3gpuE8ELNS1_3repE0EEENS1_30default_config_static_selectorELNS0_4arch9wavefront6targetE1EEEvT1_,@function
_ZN7rocprim17ROCPRIM_400000_NS6detail17trampoline_kernelINS0_14default_configENS1_20scan_config_selectorIfEEZZNS1_9scan_implILNS1_25lookback_scan_determinismE0ELb0ELb0ES3_N6thrust23THRUST_200600_302600_NS6detail15normal_iteratorINS9_10device_ptrIfEEEESE_fNS9_4plusIvEEfEEDaPvRmT3_T4_T5_mT6_P12ihipStream_tbENKUlT_T0_E_clISt17integral_constantIbLb0EESU_EEDaSP_SQ_EUlSP_E0_NS1_11comp_targetILNS1_3genE4ELNS1_11target_archE910ELNS1_3gpuE8ELNS1_3repE0EEENS1_30default_config_static_selectorELNS0_4arch9wavefront6targetE1EEEvT1_: ; @_ZN7rocprim17ROCPRIM_400000_NS6detail17trampoline_kernelINS0_14default_configENS1_20scan_config_selectorIfEEZZNS1_9scan_implILNS1_25lookback_scan_determinismE0ELb0ELb0ES3_N6thrust23THRUST_200600_302600_NS6detail15normal_iteratorINS9_10device_ptrIfEEEESE_fNS9_4plusIvEEfEEDaPvRmT3_T4_T5_mT6_P12ihipStream_tbENKUlT_T0_E_clISt17integral_constantIbLb0EESU_EEDaSP_SQ_EUlSP_E0_NS1_11comp_targetILNS1_3genE4ELNS1_11target_archE910ELNS1_3gpuE8ELNS1_3repE0EEENS1_30default_config_static_selectorELNS0_4arch9wavefront6targetE1EEEvT1_
; %bb.0:
	s_load_dwordx4 s[28:31], s[4:5], 0x0
	v_lshlrev_b32_e32 v30, 2, v0
	s_waitcnt lgkmcnt(0)
	s_load_dword s31, s[28:29], 0x0
	v_cmp_gt_u32_e32 vcc, s30, v0
	s_waitcnt lgkmcnt(0)
	v_mov_b32_e32 v1, s31
	s_and_saveexec_b64 s[0:1], vcc
	s_cbranch_execz .LBB4297_2
; %bb.1:
	global_load_dword v1, v30, s[28:29]
.LBB4297_2:
	s_or_b64 exec, exec, s[0:1]
	v_or_b32_e32 v2, 0x80, v0
	v_cmp_gt_u32_e64 s[0:1], s30, v2
	v_mov_b32_e32 v2, s31
	s_and_saveexec_b64 s[2:3], s[0:1]
	s_cbranch_execz .LBB4297_4
; %bb.3:
	global_load_dword v2, v30, s[28:29] offset:512
.LBB4297_4:
	s_or_b64 exec, exec, s[2:3]
	v_or_b32_e32 v3, 0x100, v0
	v_cmp_gt_u32_e64 s[2:3], s30, v3
	v_mov_b32_e32 v3, s31
	s_and_saveexec_b64 s[6:7], s[2:3]
	s_cbranch_execz .LBB4297_6
; %bb.5:
	global_load_dword v3, v30, s[28:29] offset:1024
.LBB4297_6:
	;; [unrolled: 9-line block ×7, first 2 shown]
	s_or_b64 exec, exec, s[14:15]
	v_or_b32_e32 v10, 0x400, v0
	v_cmp_gt_u32_e64 s[14:15], s30, v10
	v_mov_b32_e32 v9, s31
	s_and_saveexec_b64 s[16:17], s[14:15]
	s_cbranch_execz .LBB4297_18
; %bb.17:
	v_lshlrev_b32_e32 v9, 2, v10
	global_load_dword v9, v9, s[28:29]
.LBB4297_18:
	s_or_b64 exec, exec, s[16:17]
	v_or_b32_e32 v11, 0x480, v0
	v_cmp_gt_u32_e64 s[16:17], s30, v11
	v_mov_b32_e32 v10, s31
	s_and_saveexec_b64 s[18:19], s[16:17]
	s_cbranch_execz .LBB4297_20
; %bb.19:
	v_lshlrev_b32_e32 v10, 2, v11
	global_load_dword v10, v10, s[28:29]
.LBB4297_20:
	s_or_b64 exec, exec, s[18:19]
	v_or_b32_e32 v12, 0x500, v0
	v_cmp_gt_u32_e64 s[18:19], s30, v12
	v_mov_b32_e32 v11, s31
	s_and_saveexec_b64 s[20:21], s[18:19]
	s_cbranch_execz .LBB4297_22
; %bb.21:
	v_lshlrev_b32_e32 v11, 2, v12
	global_load_dword v11, v11, s[28:29]
.LBB4297_22:
	s_or_b64 exec, exec, s[20:21]
	v_or_b32_e32 v13, 0x580, v0
	v_cmp_gt_u32_e64 s[20:21], s30, v13
	v_mov_b32_e32 v12, s31
	s_and_saveexec_b64 s[22:23], s[20:21]
	s_cbranch_execz .LBB4297_24
; %bb.23:
	v_lshlrev_b32_e32 v12, 2, v13
	global_load_dword v12, v12, s[28:29]
.LBB4297_24:
	s_or_b64 exec, exec, s[22:23]
	v_or_b32_e32 v14, 0x600, v0
	v_cmp_gt_u32_e64 s[22:23], s30, v14
	v_mov_b32_e32 v13, s31
	s_and_saveexec_b64 s[24:25], s[22:23]
	s_cbranch_execz .LBB4297_26
; %bb.25:
	v_lshlrev_b32_e32 v13, 2, v14
	global_load_dword v13, v13, s[28:29]
.LBB4297_26:
	s_or_b64 exec, exec, s[24:25]
	v_or_b32_e32 v15, 0x680, v0
	v_cmp_gt_u32_e64 s[24:25], s30, v15
	v_mov_b32_e32 v14, s31
	s_and_saveexec_b64 s[30:31], s[24:25]
	s_cbranch_execz .LBB4297_28
; %bb.27:
	v_lshlrev_b32_e32 v14, 2, v15
	global_load_dword v14, v14, s[28:29]
.LBB4297_28:
	s_or_b64 exec, exec, s[30:31]
	s_waitcnt vmcnt(0)
	ds_write2st64_b32 v30, v1, v2 offset1:2
	ds_write2st64_b32 v30, v3, v4 offset0:4 offset1:6
	ds_write2st64_b32 v30, v5, v6 offset0:8 offset1:10
	;; [unrolled: 1-line block ×6, first 2 shown]
	v_mad_u32_u24 v1, v0, 52, v30
	s_waitcnt lgkmcnt(0)
	s_barrier
	ds_read2_b64 v[10:13], v1 offset1:1
	ds_read2_b64 v[6:9], v1 offset0:2 offset1:3
	ds_read2_b64 v[2:5], v1 offset0:4 offset1:5
	ds_read_b64 v[28:29], v1 offset:48
	v_lshrrev_b32_e32 v18, 3, v0
	s_waitcnt lgkmcnt(3)
	v_add_f32_e32 v19, v10, v11
	v_add_f32_e32 v24, v19, v12
	v_add_f32_e32 v25, v24, v13
	s_waitcnt lgkmcnt(2)
	v_add_f32_e32 v16, v25, v6
	v_add_f32_e32 v17, v16, v7
	v_add_f32_e32 v22, v17, v8
	v_add_f32_e32 v23, v22, v9
	s_waitcnt lgkmcnt(1)
	v_add_f32_e32 v14, v23, v2
	;; [unrolled: 5-line block ×3, first 2 shown]
	v_and_b32_e32 v18, 12, v18
	v_add_f32_e32 v27, v26, v29
	v_add_u32_e32 v18, v30, v18
	v_cmp_gt_u32_e64 s[28:29], 64, v0
	s_barrier
	ds_write_b32 v18, v27
	s_waitcnt lgkmcnt(0)
	s_barrier
	s_and_saveexec_b64 s[36:37], s[28:29]
	s_cbranch_execz .LBB4297_30
; %bb.29:
	v_lshlrev_b32_e32 v18, 1, v0
	v_lshrrev_b32_e32 v31, 4, v0
	v_add_lshl_u32 v18, v31, v18, 2
	ds_read2_b32 v[32:33], v18 offset1:1
	v_mbcnt_lo_u32_b32 v31, -1, 0
	v_mbcnt_hi_u32_b32 v31, -1, v31
	v_and_b32_e32 v34, 15, v31
	v_cmp_eq_u32_e64 s[28:29], 0, v34
	s_waitcnt lgkmcnt(0)
	v_add_f32_e32 v33, v32, v33
	v_cmp_lt_u32_e64 s[30:31], 3, v34
	v_cmp_lt_u32_e64 s[34:35], 31, v31
	v_mov_b32_dpp v35, v33 row_shr:1 row_mask:0xf bank_mask:0xf
	v_add_f32_e32 v35, v33, v35
	v_cndmask_b32_e64 v33, v35, v33, s[28:29]
	v_cmp_lt_u32_e64 s[28:29], 1, v34
	s_nop 0
	v_mov_b32_dpp v35, v33 row_shr:2 row_mask:0xf bank_mask:0xf
	v_add_f32_e32 v35, v33, v35
	v_cndmask_b32_e64 v35, v33, v35, s[28:29]
	; wave barrier
	s_nop 1
	v_mov_b32_dpp v36, v35 row_shr:4 row_mask:0xf bank_mask:0xf
	v_add_f32_e32 v36, v35, v36
	v_cndmask_b32_e64 v35, v35, v36, s[30:31]
	v_cmp_lt_u32_e64 s[30:31], 7, v34
	s_nop 0
	v_mov_b32_dpp v36, v35 row_shr:8 row_mask:0xf bank_mask:0xf
	v_add_f32_e32 v36, v35, v36
	v_cndmask_b32_e64 v34, v35, v36, s[30:31]
	v_and_b32_e32 v36, 16, v31
	v_cmp_eq_u32_e64 s[30:31], 0, v36
	v_mov_b32_dpp v35, v34 row_bcast:15 row_mask:0xf bank_mask:0xf
	v_add_f32_e32 v35, v34, v35
	v_cndmask_b32_e64 v34, v35, v34, s[30:31]
	v_cmp_lt_u32_e64 s[30:31], 15, v31
	s_or_b64 s[28:29], s[30:31], s[28:29]
	v_mov_b32_dpp v35, v34 row_bcast:31 row_mask:0xf bank_mask:0xf
	v_add_f32_e32 v35, v34, v35
	v_cndmask_b32_e64 v34, v34, v35, s[34:35]
	v_cndmask_b32_e64 v33, v33, v34, s[28:29]
	v_add_u32_e32 v34, -1, v31
	v_and_b32_e32 v35, 64, v31
	v_cmp_lt_i32_e64 s[28:29], v34, v35
	v_cndmask_b32_e64 v31, v34, v31, s[28:29]
	v_lshlrev_b32_e32 v31, 2, v31
	ds_bpermute_b32 v31, v31, v33
	v_cmp_eq_u32_e64 s[28:29], 0, v0
	s_waitcnt lgkmcnt(0)
	v_add_f32_e32 v31, v32, v31
	v_cndmask_b32_e64 v31, v31, v27, s[28:29]
	ds_write_b32 v18, v31
	; wave barrier
	ds_read_b32 v32, v18 offset:4
	s_waitcnt lgkmcnt(0)
	v_add_f32_e32 v31, v31, v32
	ds_write_b32 v18, v31 offset:4
.LBB4297_30:
	s_or_b64 exec, exec, s[36:37]
	s_load_dwordx2 s[28:29], s[4:5], 0x18
	v_cmp_ne_u32_e64 s[4:5], 0, v0
	v_mov_b32_e32 v31, v27
	s_waitcnt lgkmcnt(0)
	s_barrier
	s_and_saveexec_b64 s[30:31], s[4:5]
	s_cbranch_execz .LBB4297_32
; %bb.31:
	v_add_u32_e32 v18, -1, v0
	v_lshrrev_b32_e32 v31, 5, v18
	v_add_lshl_u32 v18, v31, v18, 2
	ds_read_b32 v31, v18
.LBB4297_32:
	s_or_b64 exec, exec, s[30:31]
	v_mov_b32_e32 v18, v10
	s_and_saveexec_b64 s[30:31], s[4:5]
	s_cbranch_execz .LBB4297_34
; %bb.33:
	s_waitcnt lgkmcnt(0)
	v_add_f32_e32 v18, v10, v31
	v_add_f32_e32 v19, v11, v18
	;; [unrolled: 1-line block ×14, first 2 shown]
	;;#ASMSTART
	;;#ASMEND
.LBB4297_34:
	s_or_b64 exec, exec, s[30:31]
	s_movk_i32 s4, 0xffcc
	v_mad_i32_i24 v0, v0, s4, v1
	s_waitcnt lgkmcnt(0)
	s_barrier
	ds_write2_b64 v1, v[18:19], v[24:25] offset1:1
	ds_write2_b64 v1, v[16:17], v[22:23] offset0:2 offset1:3
	ds_write2_b64 v1, v[14:15], v[20:21] offset0:4 offset1:5
	ds_write_b64 v1, v[26:27] offset:48
	s_waitcnt lgkmcnt(0)
	s_barrier
	ds_read2st64_b32 v[12:13], v0 offset0:2 offset1:4
	ds_read2st64_b32 v[10:11], v0 offset0:6 offset1:8
	;; [unrolled: 1-line block ×4, first 2 shown]
	ds_read_b32 v14, v30 offset:4096
	ds_read2st64_b32 v[4:5], v0 offset0:20 offset1:22
	ds_read2st64_b32 v[0:1], v0 offset0:24 offset1:26
	v_mov_b32_e32 v3, s29
	v_add_co_u32_e64 v2, s[4:5], s28, v30
	v_addc_co_u32_e64 v3, s[4:5], 0, v3, s[4:5]
	s_and_saveexec_b64 s[4:5], vcc
	s_cbranch_execnz .LBB4297_49
; %bb.35:
	s_or_b64 exec, exec, s[4:5]
	s_and_saveexec_b64 s[4:5], s[0:1]
	s_cbranch_execnz .LBB4297_50
.LBB4297_36:
	s_or_b64 exec, exec, s[4:5]
	s_and_saveexec_b64 s[0:1], s[2:3]
	s_cbranch_execnz .LBB4297_51
.LBB4297_37:
	s_or_b64 exec, exec, s[0:1]
	s_and_saveexec_b64 s[0:1], s[26:27]
	s_cbranch_execnz .LBB4297_52
.LBB4297_38:
	s_or_b64 exec, exec, s[0:1]
	s_and_saveexec_b64 s[0:1], s[6:7]
	s_cbranch_execnz .LBB4297_53
.LBB4297_39:
	s_or_b64 exec, exec, s[0:1]
	s_and_saveexec_b64 s[0:1], s[8:9]
	s_cbranch_execnz .LBB4297_54
.LBB4297_40:
	s_or_b64 exec, exec, s[0:1]
	s_and_saveexec_b64 s[0:1], s[10:11]
	s_cbranch_execnz .LBB4297_55
.LBB4297_41:
	s_or_b64 exec, exec, s[0:1]
	s_and_saveexec_b64 s[0:1], s[12:13]
	s_cbranch_execnz .LBB4297_56
.LBB4297_42:
	s_or_b64 exec, exec, s[0:1]
	s_and_saveexec_b64 s[0:1], s[14:15]
	s_cbranch_execnz .LBB4297_57
.LBB4297_43:
	s_or_b64 exec, exec, s[0:1]
	s_and_saveexec_b64 s[0:1], s[16:17]
	s_cbranch_execnz .LBB4297_58
.LBB4297_44:
	s_or_b64 exec, exec, s[0:1]
	s_and_saveexec_b64 s[0:1], s[18:19]
	s_cbranch_execnz .LBB4297_59
.LBB4297_45:
	s_or_b64 exec, exec, s[0:1]
	s_and_saveexec_b64 s[0:1], s[20:21]
	s_cbranch_execnz .LBB4297_60
.LBB4297_46:
	s_or_b64 exec, exec, s[0:1]
	s_and_saveexec_b64 s[0:1], s[22:23]
	s_cbranch_execnz .LBB4297_61
.LBB4297_47:
	s_or_b64 exec, exec, s[0:1]
	s_and_saveexec_b64 s[0:1], s[24:25]
	s_cbranch_execnz .LBB4297_62
.LBB4297_48:
	s_endpgm
.LBB4297_49:
	ds_read_b32 v15, v30
	s_waitcnt lgkmcnt(0)
	global_store_dword v[2:3], v15, off
	s_or_b64 exec, exec, s[4:5]
	s_and_saveexec_b64 s[4:5], s[0:1]
	s_cbranch_execz .LBB4297_36
.LBB4297_50:
	s_waitcnt lgkmcnt(6)
	global_store_dword v[2:3], v12, off offset:512
	s_or_b64 exec, exec, s[4:5]
	s_and_saveexec_b64 s[0:1], s[2:3]
	s_cbranch_execz .LBB4297_37
.LBB4297_51:
	s_waitcnt lgkmcnt(6)
	global_store_dword v[2:3], v13, off offset:1024
	s_or_b64 exec, exec, s[0:1]
	s_and_saveexec_b64 s[0:1], s[26:27]
	s_cbranch_execz .LBB4297_38
.LBB4297_52:
	s_waitcnt lgkmcnt(5)
	global_store_dword v[2:3], v10, off offset:1536
	s_or_b64 exec, exec, s[0:1]
	s_and_saveexec_b64 s[0:1], s[6:7]
	s_cbranch_execz .LBB4297_39
.LBB4297_53:
	s_waitcnt lgkmcnt(5)
	global_store_dword v[2:3], v11, off offset:2048
	s_or_b64 exec, exec, s[0:1]
	s_and_saveexec_b64 s[0:1], s[8:9]
	s_cbranch_execz .LBB4297_40
.LBB4297_54:
	s_waitcnt lgkmcnt(4)
	global_store_dword v[2:3], v8, off offset:2560
	s_or_b64 exec, exec, s[0:1]
	s_and_saveexec_b64 s[0:1], s[10:11]
	s_cbranch_execz .LBB4297_41
.LBB4297_55:
	s_waitcnt lgkmcnt(4)
	global_store_dword v[2:3], v9, off offset:3072
	s_or_b64 exec, exec, s[0:1]
	s_and_saveexec_b64 s[0:1], s[12:13]
	s_cbranch_execz .LBB4297_42
.LBB4297_56:
	s_waitcnt lgkmcnt(3)
	global_store_dword v[2:3], v6, off offset:3584
	s_or_b64 exec, exec, s[0:1]
	s_and_saveexec_b64 s[0:1], s[14:15]
	s_cbranch_execz .LBB4297_43
.LBB4297_57:
	s_waitcnt lgkmcnt(4)
	v_add_co_u32_e32 v8, vcc, 0x1000, v2
	v_addc_co_u32_e32 v9, vcc, 0, v3, vcc
	s_waitcnt lgkmcnt(2)
	global_store_dword v[8:9], v14, off
	s_or_b64 exec, exec, s[0:1]
	s_and_saveexec_b64 s[0:1], s[16:17]
	s_cbranch_execz .LBB4297_44
.LBB4297_58:
	s_waitcnt lgkmcnt(4)
	v_add_co_u32_e32 v8, vcc, 0x1000, v2
	v_addc_co_u32_e32 v9, vcc, 0, v3, vcc
	s_waitcnt lgkmcnt(3)
	global_store_dword v[8:9], v7, off offset:512
	s_or_b64 exec, exec, s[0:1]
	s_and_saveexec_b64 s[0:1], s[18:19]
	s_cbranch_execz .LBB4297_45
.LBB4297_59:
	s_waitcnt lgkmcnt(3)
	v_add_co_u32_e32 v6, vcc, 0x1000, v2
	v_addc_co_u32_e32 v7, vcc, 0, v3, vcc
	s_waitcnt lgkmcnt(1)
	global_store_dword v[6:7], v4, off offset:1024
	s_or_b64 exec, exec, s[0:1]
	s_and_saveexec_b64 s[0:1], s[20:21]
	s_cbranch_execz .LBB4297_46
.LBB4297_60:
	s_waitcnt lgkmcnt(3)
	v_add_co_u32_e32 v6, vcc, 0x1000, v2
	v_addc_co_u32_e32 v7, vcc, 0, v3, vcc
	s_waitcnt lgkmcnt(1)
	global_store_dword v[6:7], v5, off offset:1536
	s_or_b64 exec, exec, s[0:1]
	s_and_saveexec_b64 s[0:1], s[22:23]
	s_cbranch_execz .LBB4297_47
.LBB4297_61:
	s_waitcnt lgkmcnt(1)
	v_add_co_u32_e32 v4, vcc, 0x1000, v2
	v_addc_co_u32_e32 v5, vcc, 0, v3, vcc
	s_waitcnt lgkmcnt(0)
	global_store_dword v[4:5], v0, off offset:2048
	s_or_b64 exec, exec, s[0:1]
	s_and_saveexec_b64 s[0:1], s[24:25]
	s_cbranch_execz .LBB4297_48
.LBB4297_62:
	v_add_co_u32_e32 v2, vcc, 0x1000, v2
	v_addc_co_u32_e32 v3, vcc, 0, v3, vcc
	s_waitcnt lgkmcnt(0)
	global_store_dword v[2:3], v1, off offset:2560
	s_endpgm
	.section	.rodata,"a",@progbits
	.p2align	6, 0x0
	.amdhsa_kernel _ZN7rocprim17ROCPRIM_400000_NS6detail17trampoline_kernelINS0_14default_configENS1_20scan_config_selectorIfEEZZNS1_9scan_implILNS1_25lookback_scan_determinismE0ELb0ELb0ES3_N6thrust23THRUST_200600_302600_NS6detail15normal_iteratorINS9_10device_ptrIfEEEESE_fNS9_4plusIvEEfEEDaPvRmT3_T4_T5_mT6_P12ihipStream_tbENKUlT_T0_E_clISt17integral_constantIbLb0EESU_EEDaSP_SQ_EUlSP_E0_NS1_11comp_targetILNS1_3genE4ELNS1_11target_archE910ELNS1_3gpuE8ELNS1_3repE0EEENS1_30default_config_static_selectorELNS0_4arch9wavefront6targetE1EEEvT1_
		.amdhsa_group_segment_fixed_size 7168
		.amdhsa_private_segment_fixed_size 0
		.amdhsa_kernarg_size 32
		.amdhsa_user_sgpr_count 6
		.amdhsa_user_sgpr_private_segment_buffer 1
		.amdhsa_user_sgpr_dispatch_ptr 0
		.amdhsa_user_sgpr_queue_ptr 0
		.amdhsa_user_sgpr_kernarg_segment_ptr 1
		.amdhsa_user_sgpr_dispatch_id 0
		.amdhsa_user_sgpr_flat_scratch_init 0
		.amdhsa_user_sgpr_kernarg_preload_length 0
		.amdhsa_user_sgpr_kernarg_preload_offset 0
		.amdhsa_user_sgpr_private_segment_size 0
		.amdhsa_uses_dynamic_stack 0
		.amdhsa_system_sgpr_private_segment_wavefront_offset 0
		.amdhsa_system_sgpr_workgroup_id_x 1
		.amdhsa_system_sgpr_workgroup_id_y 0
		.amdhsa_system_sgpr_workgroup_id_z 0
		.amdhsa_system_sgpr_workgroup_info 0
		.amdhsa_system_vgpr_workitem_id 0
		.amdhsa_next_free_vgpr 37
		.amdhsa_next_free_sgpr 38
		.amdhsa_accum_offset 40
		.amdhsa_reserve_vcc 1
		.amdhsa_reserve_flat_scratch 0
		.amdhsa_float_round_mode_32 0
		.amdhsa_float_round_mode_16_64 0
		.amdhsa_float_denorm_mode_32 3
		.amdhsa_float_denorm_mode_16_64 3
		.amdhsa_dx10_clamp 1
		.amdhsa_ieee_mode 1
		.amdhsa_fp16_overflow 0
		.amdhsa_tg_split 0
		.amdhsa_exception_fp_ieee_invalid_op 0
		.amdhsa_exception_fp_denorm_src 0
		.amdhsa_exception_fp_ieee_div_zero 0
		.amdhsa_exception_fp_ieee_overflow 0
		.amdhsa_exception_fp_ieee_underflow 0
		.amdhsa_exception_fp_ieee_inexact 0
		.amdhsa_exception_int_div_zero 0
	.end_amdhsa_kernel
	.section	.text._ZN7rocprim17ROCPRIM_400000_NS6detail17trampoline_kernelINS0_14default_configENS1_20scan_config_selectorIfEEZZNS1_9scan_implILNS1_25lookback_scan_determinismE0ELb0ELb0ES3_N6thrust23THRUST_200600_302600_NS6detail15normal_iteratorINS9_10device_ptrIfEEEESE_fNS9_4plusIvEEfEEDaPvRmT3_T4_T5_mT6_P12ihipStream_tbENKUlT_T0_E_clISt17integral_constantIbLb0EESU_EEDaSP_SQ_EUlSP_E0_NS1_11comp_targetILNS1_3genE4ELNS1_11target_archE910ELNS1_3gpuE8ELNS1_3repE0EEENS1_30default_config_static_selectorELNS0_4arch9wavefront6targetE1EEEvT1_,"axG",@progbits,_ZN7rocprim17ROCPRIM_400000_NS6detail17trampoline_kernelINS0_14default_configENS1_20scan_config_selectorIfEEZZNS1_9scan_implILNS1_25lookback_scan_determinismE0ELb0ELb0ES3_N6thrust23THRUST_200600_302600_NS6detail15normal_iteratorINS9_10device_ptrIfEEEESE_fNS9_4plusIvEEfEEDaPvRmT3_T4_T5_mT6_P12ihipStream_tbENKUlT_T0_E_clISt17integral_constantIbLb0EESU_EEDaSP_SQ_EUlSP_E0_NS1_11comp_targetILNS1_3genE4ELNS1_11target_archE910ELNS1_3gpuE8ELNS1_3repE0EEENS1_30default_config_static_selectorELNS0_4arch9wavefront6targetE1EEEvT1_,comdat
.Lfunc_end4297:
	.size	_ZN7rocprim17ROCPRIM_400000_NS6detail17trampoline_kernelINS0_14default_configENS1_20scan_config_selectorIfEEZZNS1_9scan_implILNS1_25lookback_scan_determinismE0ELb0ELb0ES3_N6thrust23THRUST_200600_302600_NS6detail15normal_iteratorINS9_10device_ptrIfEEEESE_fNS9_4plusIvEEfEEDaPvRmT3_T4_T5_mT6_P12ihipStream_tbENKUlT_T0_E_clISt17integral_constantIbLb0EESU_EEDaSP_SQ_EUlSP_E0_NS1_11comp_targetILNS1_3genE4ELNS1_11target_archE910ELNS1_3gpuE8ELNS1_3repE0EEENS1_30default_config_static_selectorELNS0_4arch9wavefront6targetE1EEEvT1_, .Lfunc_end4297-_ZN7rocprim17ROCPRIM_400000_NS6detail17trampoline_kernelINS0_14default_configENS1_20scan_config_selectorIfEEZZNS1_9scan_implILNS1_25lookback_scan_determinismE0ELb0ELb0ES3_N6thrust23THRUST_200600_302600_NS6detail15normal_iteratorINS9_10device_ptrIfEEEESE_fNS9_4plusIvEEfEEDaPvRmT3_T4_T5_mT6_P12ihipStream_tbENKUlT_T0_E_clISt17integral_constantIbLb0EESU_EEDaSP_SQ_EUlSP_E0_NS1_11comp_targetILNS1_3genE4ELNS1_11target_archE910ELNS1_3gpuE8ELNS1_3repE0EEENS1_30default_config_static_selectorELNS0_4arch9wavefront6targetE1EEEvT1_
                                        ; -- End function
	.section	.AMDGPU.csdata,"",@progbits
; Kernel info:
; codeLenInByte = 2048
; NumSgprs: 42
; NumVgprs: 37
; NumAgprs: 0
; TotalNumVgprs: 37
; ScratchSize: 0
; MemoryBound: 0
; FloatMode: 240
; IeeeMode: 1
; LDSByteSize: 7168 bytes/workgroup (compile time only)
; SGPRBlocks: 5
; VGPRBlocks: 4
; NumSGPRsForWavesPerEU: 42
; NumVGPRsForWavesPerEU: 37
; AccumOffset: 40
; Occupancy: 5
; WaveLimiterHint : 0
; COMPUTE_PGM_RSRC2:SCRATCH_EN: 0
; COMPUTE_PGM_RSRC2:USER_SGPR: 6
; COMPUTE_PGM_RSRC2:TRAP_HANDLER: 0
; COMPUTE_PGM_RSRC2:TGID_X_EN: 1
; COMPUTE_PGM_RSRC2:TGID_Y_EN: 0
; COMPUTE_PGM_RSRC2:TGID_Z_EN: 0
; COMPUTE_PGM_RSRC2:TIDIG_COMP_CNT: 0
; COMPUTE_PGM_RSRC3_GFX90A:ACCUM_OFFSET: 9
; COMPUTE_PGM_RSRC3_GFX90A:TG_SPLIT: 0
	.section	.text._ZN7rocprim17ROCPRIM_400000_NS6detail17trampoline_kernelINS0_14default_configENS1_20scan_config_selectorIfEEZZNS1_9scan_implILNS1_25lookback_scan_determinismE0ELb0ELb0ES3_N6thrust23THRUST_200600_302600_NS6detail15normal_iteratorINS9_10device_ptrIfEEEESE_fNS9_4plusIvEEfEEDaPvRmT3_T4_T5_mT6_P12ihipStream_tbENKUlT_T0_E_clISt17integral_constantIbLb0EESU_EEDaSP_SQ_EUlSP_E0_NS1_11comp_targetILNS1_3genE3ELNS1_11target_archE908ELNS1_3gpuE7ELNS1_3repE0EEENS1_30default_config_static_selectorELNS0_4arch9wavefront6targetE1EEEvT1_,"axG",@progbits,_ZN7rocprim17ROCPRIM_400000_NS6detail17trampoline_kernelINS0_14default_configENS1_20scan_config_selectorIfEEZZNS1_9scan_implILNS1_25lookback_scan_determinismE0ELb0ELb0ES3_N6thrust23THRUST_200600_302600_NS6detail15normal_iteratorINS9_10device_ptrIfEEEESE_fNS9_4plusIvEEfEEDaPvRmT3_T4_T5_mT6_P12ihipStream_tbENKUlT_T0_E_clISt17integral_constantIbLb0EESU_EEDaSP_SQ_EUlSP_E0_NS1_11comp_targetILNS1_3genE3ELNS1_11target_archE908ELNS1_3gpuE7ELNS1_3repE0EEENS1_30default_config_static_selectorELNS0_4arch9wavefront6targetE1EEEvT1_,comdat
	.protected	_ZN7rocprim17ROCPRIM_400000_NS6detail17trampoline_kernelINS0_14default_configENS1_20scan_config_selectorIfEEZZNS1_9scan_implILNS1_25lookback_scan_determinismE0ELb0ELb0ES3_N6thrust23THRUST_200600_302600_NS6detail15normal_iteratorINS9_10device_ptrIfEEEESE_fNS9_4plusIvEEfEEDaPvRmT3_T4_T5_mT6_P12ihipStream_tbENKUlT_T0_E_clISt17integral_constantIbLb0EESU_EEDaSP_SQ_EUlSP_E0_NS1_11comp_targetILNS1_3genE3ELNS1_11target_archE908ELNS1_3gpuE7ELNS1_3repE0EEENS1_30default_config_static_selectorELNS0_4arch9wavefront6targetE1EEEvT1_ ; -- Begin function _ZN7rocprim17ROCPRIM_400000_NS6detail17trampoline_kernelINS0_14default_configENS1_20scan_config_selectorIfEEZZNS1_9scan_implILNS1_25lookback_scan_determinismE0ELb0ELb0ES3_N6thrust23THRUST_200600_302600_NS6detail15normal_iteratorINS9_10device_ptrIfEEEESE_fNS9_4plusIvEEfEEDaPvRmT3_T4_T5_mT6_P12ihipStream_tbENKUlT_T0_E_clISt17integral_constantIbLb0EESU_EEDaSP_SQ_EUlSP_E0_NS1_11comp_targetILNS1_3genE3ELNS1_11target_archE908ELNS1_3gpuE7ELNS1_3repE0EEENS1_30default_config_static_selectorELNS0_4arch9wavefront6targetE1EEEvT1_
	.globl	_ZN7rocprim17ROCPRIM_400000_NS6detail17trampoline_kernelINS0_14default_configENS1_20scan_config_selectorIfEEZZNS1_9scan_implILNS1_25lookback_scan_determinismE0ELb0ELb0ES3_N6thrust23THRUST_200600_302600_NS6detail15normal_iteratorINS9_10device_ptrIfEEEESE_fNS9_4plusIvEEfEEDaPvRmT3_T4_T5_mT6_P12ihipStream_tbENKUlT_T0_E_clISt17integral_constantIbLb0EESU_EEDaSP_SQ_EUlSP_E0_NS1_11comp_targetILNS1_3genE3ELNS1_11target_archE908ELNS1_3gpuE7ELNS1_3repE0EEENS1_30default_config_static_selectorELNS0_4arch9wavefront6targetE1EEEvT1_
	.p2align	8
	.type	_ZN7rocprim17ROCPRIM_400000_NS6detail17trampoline_kernelINS0_14default_configENS1_20scan_config_selectorIfEEZZNS1_9scan_implILNS1_25lookback_scan_determinismE0ELb0ELb0ES3_N6thrust23THRUST_200600_302600_NS6detail15normal_iteratorINS9_10device_ptrIfEEEESE_fNS9_4plusIvEEfEEDaPvRmT3_T4_T5_mT6_P12ihipStream_tbENKUlT_T0_E_clISt17integral_constantIbLb0EESU_EEDaSP_SQ_EUlSP_E0_NS1_11comp_targetILNS1_3genE3ELNS1_11target_archE908ELNS1_3gpuE7ELNS1_3repE0EEENS1_30default_config_static_selectorELNS0_4arch9wavefront6targetE1EEEvT1_,@function
_ZN7rocprim17ROCPRIM_400000_NS6detail17trampoline_kernelINS0_14default_configENS1_20scan_config_selectorIfEEZZNS1_9scan_implILNS1_25lookback_scan_determinismE0ELb0ELb0ES3_N6thrust23THRUST_200600_302600_NS6detail15normal_iteratorINS9_10device_ptrIfEEEESE_fNS9_4plusIvEEfEEDaPvRmT3_T4_T5_mT6_P12ihipStream_tbENKUlT_T0_E_clISt17integral_constantIbLb0EESU_EEDaSP_SQ_EUlSP_E0_NS1_11comp_targetILNS1_3genE3ELNS1_11target_archE908ELNS1_3gpuE7ELNS1_3repE0EEENS1_30default_config_static_selectorELNS0_4arch9wavefront6targetE1EEEvT1_: ; @_ZN7rocprim17ROCPRIM_400000_NS6detail17trampoline_kernelINS0_14default_configENS1_20scan_config_selectorIfEEZZNS1_9scan_implILNS1_25lookback_scan_determinismE0ELb0ELb0ES3_N6thrust23THRUST_200600_302600_NS6detail15normal_iteratorINS9_10device_ptrIfEEEESE_fNS9_4plusIvEEfEEDaPvRmT3_T4_T5_mT6_P12ihipStream_tbENKUlT_T0_E_clISt17integral_constantIbLb0EESU_EEDaSP_SQ_EUlSP_E0_NS1_11comp_targetILNS1_3genE3ELNS1_11target_archE908ELNS1_3gpuE7ELNS1_3repE0EEENS1_30default_config_static_selectorELNS0_4arch9wavefront6targetE1EEEvT1_
; %bb.0:
	.section	.rodata,"a",@progbits
	.p2align	6, 0x0
	.amdhsa_kernel _ZN7rocprim17ROCPRIM_400000_NS6detail17trampoline_kernelINS0_14default_configENS1_20scan_config_selectorIfEEZZNS1_9scan_implILNS1_25lookback_scan_determinismE0ELb0ELb0ES3_N6thrust23THRUST_200600_302600_NS6detail15normal_iteratorINS9_10device_ptrIfEEEESE_fNS9_4plusIvEEfEEDaPvRmT3_T4_T5_mT6_P12ihipStream_tbENKUlT_T0_E_clISt17integral_constantIbLb0EESU_EEDaSP_SQ_EUlSP_E0_NS1_11comp_targetILNS1_3genE3ELNS1_11target_archE908ELNS1_3gpuE7ELNS1_3repE0EEENS1_30default_config_static_selectorELNS0_4arch9wavefront6targetE1EEEvT1_
		.amdhsa_group_segment_fixed_size 0
		.amdhsa_private_segment_fixed_size 0
		.amdhsa_kernarg_size 32
		.amdhsa_user_sgpr_count 6
		.amdhsa_user_sgpr_private_segment_buffer 1
		.amdhsa_user_sgpr_dispatch_ptr 0
		.amdhsa_user_sgpr_queue_ptr 0
		.amdhsa_user_sgpr_kernarg_segment_ptr 1
		.amdhsa_user_sgpr_dispatch_id 0
		.amdhsa_user_sgpr_flat_scratch_init 0
		.amdhsa_user_sgpr_kernarg_preload_length 0
		.amdhsa_user_sgpr_kernarg_preload_offset 0
		.amdhsa_user_sgpr_private_segment_size 0
		.amdhsa_uses_dynamic_stack 0
		.amdhsa_system_sgpr_private_segment_wavefront_offset 0
		.amdhsa_system_sgpr_workgroup_id_x 1
		.amdhsa_system_sgpr_workgroup_id_y 0
		.amdhsa_system_sgpr_workgroup_id_z 0
		.amdhsa_system_sgpr_workgroup_info 0
		.amdhsa_system_vgpr_workitem_id 0
		.amdhsa_next_free_vgpr 1
		.amdhsa_next_free_sgpr 0
		.amdhsa_accum_offset 4
		.amdhsa_reserve_vcc 0
		.amdhsa_reserve_flat_scratch 0
		.amdhsa_float_round_mode_32 0
		.amdhsa_float_round_mode_16_64 0
		.amdhsa_float_denorm_mode_32 3
		.amdhsa_float_denorm_mode_16_64 3
		.amdhsa_dx10_clamp 1
		.amdhsa_ieee_mode 1
		.amdhsa_fp16_overflow 0
		.amdhsa_tg_split 0
		.amdhsa_exception_fp_ieee_invalid_op 0
		.amdhsa_exception_fp_denorm_src 0
		.amdhsa_exception_fp_ieee_div_zero 0
		.amdhsa_exception_fp_ieee_overflow 0
		.amdhsa_exception_fp_ieee_underflow 0
		.amdhsa_exception_fp_ieee_inexact 0
		.amdhsa_exception_int_div_zero 0
	.end_amdhsa_kernel
	.section	.text._ZN7rocprim17ROCPRIM_400000_NS6detail17trampoline_kernelINS0_14default_configENS1_20scan_config_selectorIfEEZZNS1_9scan_implILNS1_25lookback_scan_determinismE0ELb0ELb0ES3_N6thrust23THRUST_200600_302600_NS6detail15normal_iteratorINS9_10device_ptrIfEEEESE_fNS9_4plusIvEEfEEDaPvRmT3_T4_T5_mT6_P12ihipStream_tbENKUlT_T0_E_clISt17integral_constantIbLb0EESU_EEDaSP_SQ_EUlSP_E0_NS1_11comp_targetILNS1_3genE3ELNS1_11target_archE908ELNS1_3gpuE7ELNS1_3repE0EEENS1_30default_config_static_selectorELNS0_4arch9wavefront6targetE1EEEvT1_,"axG",@progbits,_ZN7rocprim17ROCPRIM_400000_NS6detail17trampoline_kernelINS0_14default_configENS1_20scan_config_selectorIfEEZZNS1_9scan_implILNS1_25lookback_scan_determinismE0ELb0ELb0ES3_N6thrust23THRUST_200600_302600_NS6detail15normal_iteratorINS9_10device_ptrIfEEEESE_fNS9_4plusIvEEfEEDaPvRmT3_T4_T5_mT6_P12ihipStream_tbENKUlT_T0_E_clISt17integral_constantIbLb0EESU_EEDaSP_SQ_EUlSP_E0_NS1_11comp_targetILNS1_3genE3ELNS1_11target_archE908ELNS1_3gpuE7ELNS1_3repE0EEENS1_30default_config_static_selectorELNS0_4arch9wavefront6targetE1EEEvT1_,comdat
.Lfunc_end4298:
	.size	_ZN7rocprim17ROCPRIM_400000_NS6detail17trampoline_kernelINS0_14default_configENS1_20scan_config_selectorIfEEZZNS1_9scan_implILNS1_25lookback_scan_determinismE0ELb0ELb0ES3_N6thrust23THRUST_200600_302600_NS6detail15normal_iteratorINS9_10device_ptrIfEEEESE_fNS9_4plusIvEEfEEDaPvRmT3_T4_T5_mT6_P12ihipStream_tbENKUlT_T0_E_clISt17integral_constantIbLb0EESU_EEDaSP_SQ_EUlSP_E0_NS1_11comp_targetILNS1_3genE3ELNS1_11target_archE908ELNS1_3gpuE7ELNS1_3repE0EEENS1_30default_config_static_selectorELNS0_4arch9wavefront6targetE1EEEvT1_, .Lfunc_end4298-_ZN7rocprim17ROCPRIM_400000_NS6detail17trampoline_kernelINS0_14default_configENS1_20scan_config_selectorIfEEZZNS1_9scan_implILNS1_25lookback_scan_determinismE0ELb0ELb0ES3_N6thrust23THRUST_200600_302600_NS6detail15normal_iteratorINS9_10device_ptrIfEEEESE_fNS9_4plusIvEEfEEDaPvRmT3_T4_T5_mT6_P12ihipStream_tbENKUlT_T0_E_clISt17integral_constantIbLb0EESU_EEDaSP_SQ_EUlSP_E0_NS1_11comp_targetILNS1_3genE3ELNS1_11target_archE908ELNS1_3gpuE7ELNS1_3repE0EEENS1_30default_config_static_selectorELNS0_4arch9wavefront6targetE1EEEvT1_
                                        ; -- End function
	.section	.AMDGPU.csdata,"",@progbits
; Kernel info:
; codeLenInByte = 0
; NumSgprs: 4
; NumVgprs: 0
; NumAgprs: 0
; TotalNumVgprs: 0
; ScratchSize: 0
; MemoryBound: 0
; FloatMode: 240
; IeeeMode: 1
; LDSByteSize: 0 bytes/workgroup (compile time only)
; SGPRBlocks: 0
; VGPRBlocks: 0
; NumSGPRsForWavesPerEU: 4
; NumVGPRsForWavesPerEU: 1
; AccumOffset: 4
; Occupancy: 8
; WaveLimiterHint : 0
; COMPUTE_PGM_RSRC2:SCRATCH_EN: 0
; COMPUTE_PGM_RSRC2:USER_SGPR: 6
; COMPUTE_PGM_RSRC2:TRAP_HANDLER: 0
; COMPUTE_PGM_RSRC2:TGID_X_EN: 1
; COMPUTE_PGM_RSRC2:TGID_Y_EN: 0
; COMPUTE_PGM_RSRC2:TGID_Z_EN: 0
; COMPUTE_PGM_RSRC2:TIDIG_COMP_CNT: 0
; COMPUTE_PGM_RSRC3_GFX90A:ACCUM_OFFSET: 0
; COMPUTE_PGM_RSRC3_GFX90A:TG_SPLIT: 0
	.section	.text._ZN7rocprim17ROCPRIM_400000_NS6detail17trampoline_kernelINS0_14default_configENS1_20scan_config_selectorIfEEZZNS1_9scan_implILNS1_25lookback_scan_determinismE0ELb0ELb0ES3_N6thrust23THRUST_200600_302600_NS6detail15normal_iteratorINS9_10device_ptrIfEEEESE_fNS9_4plusIvEEfEEDaPvRmT3_T4_T5_mT6_P12ihipStream_tbENKUlT_T0_E_clISt17integral_constantIbLb0EESU_EEDaSP_SQ_EUlSP_E0_NS1_11comp_targetILNS1_3genE2ELNS1_11target_archE906ELNS1_3gpuE6ELNS1_3repE0EEENS1_30default_config_static_selectorELNS0_4arch9wavefront6targetE1EEEvT1_,"axG",@progbits,_ZN7rocprim17ROCPRIM_400000_NS6detail17trampoline_kernelINS0_14default_configENS1_20scan_config_selectorIfEEZZNS1_9scan_implILNS1_25lookback_scan_determinismE0ELb0ELb0ES3_N6thrust23THRUST_200600_302600_NS6detail15normal_iteratorINS9_10device_ptrIfEEEESE_fNS9_4plusIvEEfEEDaPvRmT3_T4_T5_mT6_P12ihipStream_tbENKUlT_T0_E_clISt17integral_constantIbLb0EESU_EEDaSP_SQ_EUlSP_E0_NS1_11comp_targetILNS1_3genE2ELNS1_11target_archE906ELNS1_3gpuE6ELNS1_3repE0EEENS1_30default_config_static_selectorELNS0_4arch9wavefront6targetE1EEEvT1_,comdat
	.protected	_ZN7rocprim17ROCPRIM_400000_NS6detail17trampoline_kernelINS0_14default_configENS1_20scan_config_selectorIfEEZZNS1_9scan_implILNS1_25lookback_scan_determinismE0ELb0ELb0ES3_N6thrust23THRUST_200600_302600_NS6detail15normal_iteratorINS9_10device_ptrIfEEEESE_fNS9_4plusIvEEfEEDaPvRmT3_T4_T5_mT6_P12ihipStream_tbENKUlT_T0_E_clISt17integral_constantIbLb0EESU_EEDaSP_SQ_EUlSP_E0_NS1_11comp_targetILNS1_3genE2ELNS1_11target_archE906ELNS1_3gpuE6ELNS1_3repE0EEENS1_30default_config_static_selectorELNS0_4arch9wavefront6targetE1EEEvT1_ ; -- Begin function _ZN7rocprim17ROCPRIM_400000_NS6detail17trampoline_kernelINS0_14default_configENS1_20scan_config_selectorIfEEZZNS1_9scan_implILNS1_25lookback_scan_determinismE0ELb0ELb0ES3_N6thrust23THRUST_200600_302600_NS6detail15normal_iteratorINS9_10device_ptrIfEEEESE_fNS9_4plusIvEEfEEDaPvRmT3_T4_T5_mT6_P12ihipStream_tbENKUlT_T0_E_clISt17integral_constantIbLb0EESU_EEDaSP_SQ_EUlSP_E0_NS1_11comp_targetILNS1_3genE2ELNS1_11target_archE906ELNS1_3gpuE6ELNS1_3repE0EEENS1_30default_config_static_selectorELNS0_4arch9wavefront6targetE1EEEvT1_
	.globl	_ZN7rocprim17ROCPRIM_400000_NS6detail17trampoline_kernelINS0_14default_configENS1_20scan_config_selectorIfEEZZNS1_9scan_implILNS1_25lookback_scan_determinismE0ELb0ELb0ES3_N6thrust23THRUST_200600_302600_NS6detail15normal_iteratorINS9_10device_ptrIfEEEESE_fNS9_4plusIvEEfEEDaPvRmT3_T4_T5_mT6_P12ihipStream_tbENKUlT_T0_E_clISt17integral_constantIbLb0EESU_EEDaSP_SQ_EUlSP_E0_NS1_11comp_targetILNS1_3genE2ELNS1_11target_archE906ELNS1_3gpuE6ELNS1_3repE0EEENS1_30default_config_static_selectorELNS0_4arch9wavefront6targetE1EEEvT1_
	.p2align	8
	.type	_ZN7rocprim17ROCPRIM_400000_NS6detail17trampoline_kernelINS0_14default_configENS1_20scan_config_selectorIfEEZZNS1_9scan_implILNS1_25lookback_scan_determinismE0ELb0ELb0ES3_N6thrust23THRUST_200600_302600_NS6detail15normal_iteratorINS9_10device_ptrIfEEEESE_fNS9_4plusIvEEfEEDaPvRmT3_T4_T5_mT6_P12ihipStream_tbENKUlT_T0_E_clISt17integral_constantIbLb0EESU_EEDaSP_SQ_EUlSP_E0_NS1_11comp_targetILNS1_3genE2ELNS1_11target_archE906ELNS1_3gpuE6ELNS1_3repE0EEENS1_30default_config_static_selectorELNS0_4arch9wavefront6targetE1EEEvT1_,@function
_ZN7rocprim17ROCPRIM_400000_NS6detail17trampoline_kernelINS0_14default_configENS1_20scan_config_selectorIfEEZZNS1_9scan_implILNS1_25lookback_scan_determinismE0ELb0ELb0ES3_N6thrust23THRUST_200600_302600_NS6detail15normal_iteratorINS9_10device_ptrIfEEEESE_fNS9_4plusIvEEfEEDaPvRmT3_T4_T5_mT6_P12ihipStream_tbENKUlT_T0_E_clISt17integral_constantIbLb0EESU_EEDaSP_SQ_EUlSP_E0_NS1_11comp_targetILNS1_3genE2ELNS1_11target_archE906ELNS1_3gpuE6ELNS1_3repE0EEENS1_30default_config_static_selectorELNS0_4arch9wavefront6targetE1EEEvT1_: ; @_ZN7rocprim17ROCPRIM_400000_NS6detail17trampoline_kernelINS0_14default_configENS1_20scan_config_selectorIfEEZZNS1_9scan_implILNS1_25lookback_scan_determinismE0ELb0ELb0ES3_N6thrust23THRUST_200600_302600_NS6detail15normal_iteratorINS9_10device_ptrIfEEEESE_fNS9_4plusIvEEfEEDaPvRmT3_T4_T5_mT6_P12ihipStream_tbENKUlT_T0_E_clISt17integral_constantIbLb0EESU_EEDaSP_SQ_EUlSP_E0_NS1_11comp_targetILNS1_3genE2ELNS1_11target_archE906ELNS1_3gpuE6ELNS1_3repE0EEENS1_30default_config_static_selectorELNS0_4arch9wavefront6targetE1EEEvT1_
; %bb.0:
	.section	.rodata,"a",@progbits
	.p2align	6, 0x0
	.amdhsa_kernel _ZN7rocprim17ROCPRIM_400000_NS6detail17trampoline_kernelINS0_14default_configENS1_20scan_config_selectorIfEEZZNS1_9scan_implILNS1_25lookback_scan_determinismE0ELb0ELb0ES3_N6thrust23THRUST_200600_302600_NS6detail15normal_iteratorINS9_10device_ptrIfEEEESE_fNS9_4plusIvEEfEEDaPvRmT3_T4_T5_mT6_P12ihipStream_tbENKUlT_T0_E_clISt17integral_constantIbLb0EESU_EEDaSP_SQ_EUlSP_E0_NS1_11comp_targetILNS1_3genE2ELNS1_11target_archE906ELNS1_3gpuE6ELNS1_3repE0EEENS1_30default_config_static_selectorELNS0_4arch9wavefront6targetE1EEEvT1_
		.amdhsa_group_segment_fixed_size 0
		.amdhsa_private_segment_fixed_size 0
		.amdhsa_kernarg_size 32
		.amdhsa_user_sgpr_count 6
		.amdhsa_user_sgpr_private_segment_buffer 1
		.amdhsa_user_sgpr_dispatch_ptr 0
		.amdhsa_user_sgpr_queue_ptr 0
		.amdhsa_user_sgpr_kernarg_segment_ptr 1
		.amdhsa_user_sgpr_dispatch_id 0
		.amdhsa_user_sgpr_flat_scratch_init 0
		.amdhsa_user_sgpr_kernarg_preload_length 0
		.amdhsa_user_sgpr_kernarg_preload_offset 0
		.amdhsa_user_sgpr_private_segment_size 0
		.amdhsa_uses_dynamic_stack 0
		.amdhsa_system_sgpr_private_segment_wavefront_offset 0
		.amdhsa_system_sgpr_workgroup_id_x 1
		.amdhsa_system_sgpr_workgroup_id_y 0
		.amdhsa_system_sgpr_workgroup_id_z 0
		.amdhsa_system_sgpr_workgroup_info 0
		.amdhsa_system_vgpr_workitem_id 0
		.amdhsa_next_free_vgpr 1
		.amdhsa_next_free_sgpr 0
		.amdhsa_accum_offset 4
		.amdhsa_reserve_vcc 0
		.amdhsa_reserve_flat_scratch 0
		.amdhsa_float_round_mode_32 0
		.amdhsa_float_round_mode_16_64 0
		.amdhsa_float_denorm_mode_32 3
		.amdhsa_float_denorm_mode_16_64 3
		.amdhsa_dx10_clamp 1
		.amdhsa_ieee_mode 1
		.amdhsa_fp16_overflow 0
		.amdhsa_tg_split 0
		.amdhsa_exception_fp_ieee_invalid_op 0
		.amdhsa_exception_fp_denorm_src 0
		.amdhsa_exception_fp_ieee_div_zero 0
		.amdhsa_exception_fp_ieee_overflow 0
		.amdhsa_exception_fp_ieee_underflow 0
		.amdhsa_exception_fp_ieee_inexact 0
		.amdhsa_exception_int_div_zero 0
	.end_amdhsa_kernel
	.section	.text._ZN7rocprim17ROCPRIM_400000_NS6detail17trampoline_kernelINS0_14default_configENS1_20scan_config_selectorIfEEZZNS1_9scan_implILNS1_25lookback_scan_determinismE0ELb0ELb0ES3_N6thrust23THRUST_200600_302600_NS6detail15normal_iteratorINS9_10device_ptrIfEEEESE_fNS9_4plusIvEEfEEDaPvRmT3_T4_T5_mT6_P12ihipStream_tbENKUlT_T0_E_clISt17integral_constantIbLb0EESU_EEDaSP_SQ_EUlSP_E0_NS1_11comp_targetILNS1_3genE2ELNS1_11target_archE906ELNS1_3gpuE6ELNS1_3repE0EEENS1_30default_config_static_selectorELNS0_4arch9wavefront6targetE1EEEvT1_,"axG",@progbits,_ZN7rocprim17ROCPRIM_400000_NS6detail17trampoline_kernelINS0_14default_configENS1_20scan_config_selectorIfEEZZNS1_9scan_implILNS1_25lookback_scan_determinismE0ELb0ELb0ES3_N6thrust23THRUST_200600_302600_NS6detail15normal_iteratorINS9_10device_ptrIfEEEESE_fNS9_4plusIvEEfEEDaPvRmT3_T4_T5_mT6_P12ihipStream_tbENKUlT_T0_E_clISt17integral_constantIbLb0EESU_EEDaSP_SQ_EUlSP_E0_NS1_11comp_targetILNS1_3genE2ELNS1_11target_archE906ELNS1_3gpuE6ELNS1_3repE0EEENS1_30default_config_static_selectorELNS0_4arch9wavefront6targetE1EEEvT1_,comdat
.Lfunc_end4299:
	.size	_ZN7rocprim17ROCPRIM_400000_NS6detail17trampoline_kernelINS0_14default_configENS1_20scan_config_selectorIfEEZZNS1_9scan_implILNS1_25lookback_scan_determinismE0ELb0ELb0ES3_N6thrust23THRUST_200600_302600_NS6detail15normal_iteratorINS9_10device_ptrIfEEEESE_fNS9_4plusIvEEfEEDaPvRmT3_T4_T5_mT6_P12ihipStream_tbENKUlT_T0_E_clISt17integral_constantIbLb0EESU_EEDaSP_SQ_EUlSP_E0_NS1_11comp_targetILNS1_3genE2ELNS1_11target_archE906ELNS1_3gpuE6ELNS1_3repE0EEENS1_30default_config_static_selectorELNS0_4arch9wavefront6targetE1EEEvT1_, .Lfunc_end4299-_ZN7rocprim17ROCPRIM_400000_NS6detail17trampoline_kernelINS0_14default_configENS1_20scan_config_selectorIfEEZZNS1_9scan_implILNS1_25lookback_scan_determinismE0ELb0ELb0ES3_N6thrust23THRUST_200600_302600_NS6detail15normal_iteratorINS9_10device_ptrIfEEEESE_fNS9_4plusIvEEfEEDaPvRmT3_T4_T5_mT6_P12ihipStream_tbENKUlT_T0_E_clISt17integral_constantIbLb0EESU_EEDaSP_SQ_EUlSP_E0_NS1_11comp_targetILNS1_3genE2ELNS1_11target_archE906ELNS1_3gpuE6ELNS1_3repE0EEENS1_30default_config_static_selectorELNS0_4arch9wavefront6targetE1EEEvT1_
                                        ; -- End function
	.section	.AMDGPU.csdata,"",@progbits
; Kernel info:
; codeLenInByte = 0
; NumSgprs: 4
; NumVgprs: 0
; NumAgprs: 0
; TotalNumVgprs: 0
; ScratchSize: 0
; MemoryBound: 0
; FloatMode: 240
; IeeeMode: 1
; LDSByteSize: 0 bytes/workgroup (compile time only)
; SGPRBlocks: 0
; VGPRBlocks: 0
; NumSGPRsForWavesPerEU: 4
; NumVGPRsForWavesPerEU: 1
; AccumOffset: 4
; Occupancy: 8
; WaveLimiterHint : 0
; COMPUTE_PGM_RSRC2:SCRATCH_EN: 0
; COMPUTE_PGM_RSRC2:USER_SGPR: 6
; COMPUTE_PGM_RSRC2:TRAP_HANDLER: 0
; COMPUTE_PGM_RSRC2:TGID_X_EN: 1
; COMPUTE_PGM_RSRC2:TGID_Y_EN: 0
; COMPUTE_PGM_RSRC2:TGID_Z_EN: 0
; COMPUTE_PGM_RSRC2:TIDIG_COMP_CNT: 0
; COMPUTE_PGM_RSRC3_GFX90A:ACCUM_OFFSET: 0
; COMPUTE_PGM_RSRC3_GFX90A:TG_SPLIT: 0
	.section	.text._ZN7rocprim17ROCPRIM_400000_NS6detail17trampoline_kernelINS0_14default_configENS1_20scan_config_selectorIfEEZZNS1_9scan_implILNS1_25lookback_scan_determinismE0ELb0ELb0ES3_N6thrust23THRUST_200600_302600_NS6detail15normal_iteratorINS9_10device_ptrIfEEEESE_fNS9_4plusIvEEfEEDaPvRmT3_T4_T5_mT6_P12ihipStream_tbENKUlT_T0_E_clISt17integral_constantIbLb0EESU_EEDaSP_SQ_EUlSP_E0_NS1_11comp_targetILNS1_3genE10ELNS1_11target_archE1201ELNS1_3gpuE5ELNS1_3repE0EEENS1_30default_config_static_selectorELNS0_4arch9wavefront6targetE1EEEvT1_,"axG",@progbits,_ZN7rocprim17ROCPRIM_400000_NS6detail17trampoline_kernelINS0_14default_configENS1_20scan_config_selectorIfEEZZNS1_9scan_implILNS1_25lookback_scan_determinismE0ELb0ELb0ES3_N6thrust23THRUST_200600_302600_NS6detail15normal_iteratorINS9_10device_ptrIfEEEESE_fNS9_4plusIvEEfEEDaPvRmT3_T4_T5_mT6_P12ihipStream_tbENKUlT_T0_E_clISt17integral_constantIbLb0EESU_EEDaSP_SQ_EUlSP_E0_NS1_11comp_targetILNS1_3genE10ELNS1_11target_archE1201ELNS1_3gpuE5ELNS1_3repE0EEENS1_30default_config_static_selectorELNS0_4arch9wavefront6targetE1EEEvT1_,comdat
	.protected	_ZN7rocprim17ROCPRIM_400000_NS6detail17trampoline_kernelINS0_14default_configENS1_20scan_config_selectorIfEEZZNS1_9scan_implILNS1_25lookback_scan_determinismE0ELb0ELb0ES3_N6thrust23THRUST_200600_302600_NS6detail15normal_iteratorINS9_10device_ptrIfEEEESE_fNS9_4plusIvEEfEEDaPvRmT3_T4_T5_mT6_P12ihipStream_tbENKUlT_T0_E_clISt17integral_constantIbLb0EESU_EEDaSP_SQ_EUlSP_E0_NS1_11comp_targetILNS1_3genE10ELNS1_11target_archE1201ELNS1_3gpuE5ELNS1_3repE0EEENS1_30default_config_static_selectorELNS0_4arch9wavefront6targetE1EEEvT1_ ; -- Begin function _ZN7rocprim17ROCPRIM_400000_NS6detail17trampoline_kernelINS0_14default_configENS1_20scan_config_selectorIfEEZZNS1_9scan_implILNS1_25lookback_scan_determinismE0ELb0ELb0ES3_N6thrust23THRUST_200600_302600_NS6detail15normal_iteratorINS9_10device_ptrIfEEEESE_fNS9_4plusIvEEfEEDaPvRmT3_T4_T5_mT6_P12ihipStream_tbENKUlT_T0_E_clISt17integral_constantIbLb0EESU_EEDaSP_SQ_EUlSP_E0_NS1_11comp_targetILNS1_3genE10ELNS1_11target_archE1201ELNS1_3gpuE5ELNS1_3repE0EEENS1_30default_config_static_selectorELNS0_4arch9wavefront6targetE1EEEvT1_
	.globl	_ZN7rocprim17ROCPRIM_400000_NS6detail17trampoline_kernelINS0_14default_configENS1_20scan_config_selectorIfEEZZNS1_9scan_implILNS1_25lookback_scan_determinismE0ELb0ELb0ES3_N6thrust23THRUST_200600_302600_NS6detail15normal_iteratorINS9_10device_ptrIfEEEESE_fNS9_4plusIvEEfEEDaPvRmT3_T4_T5_mT6_P12ihipStream_tbENKUlT_T0_E_clISt17integral_constantIbLb0EESU_EEDaSP_SQ_EUlSP_E0_NS1_11comp_targetILNS1_3genE10ELNS1_11target_archE1201ELNS1_3gpuE5ELNS1_3repE0EEENS1_30default_config_static_selectorELNS0_4arch9wavefront6targetE1EEEvT1_
	.p2align	8
	.type	_ZN7rocprim17ROCPRIM_400000_NS6detail17trampoline_kernelINS0_14default_configENS1_20scan_config_selectorIfEEZZNS1_9scan_implILNS1_25lookback_scan_determinismE0ELb0ELb0ES3_N6thrust23THRUST_200600_302600_NS6detail15normal_iteratorINS9_10device_ptrIfEEEESE_fNS9_4plusIvEEfEEDaPvRmT3_T4_T5_mT6_P12ihipStream_tbENKUlT_T0_E_clISt17integral_constantIbLb0EESU_EEDaSP_SQ_EUlSP_E0_NS1_11comp_targetILNS1_3genE10ELNS1_11target_archE1201ELNS1_3gpuE5ELNS1_3repE0EEENS1_30default_config_static_selectorELNS0_4arch9wavefront6targetE1EEEvT1_,@function
_ZN7rocprim17ROCPRIM_400000_NS6detail17trampoline_kernelINS0_14default_configENS1_20scan_config_selectorIfEEZZNS1_9scan_implILNS1_25lookback_scan_determinismE0ELb0ELb0ES3_N6thrust23THRUST_200600_302600_NS6detail15normal_iteratorINS9_10device_ptrIfEEEESE_fNS9_4plusIvEEfEEDaPvRmT3_T4_T5_mT6_P12ihipStream_tbENKUlT_T0_E_clISt17integral_constantIbLb0EESU_EEDaSP_SQ_EUlSP_E0_NS1_11comp_targetILNS1_3genE10ELNS1_11target_archE1201ELNS1_3gpuE5ELNS1_3repE0EEENS1_30default_config_static_selectorELNS0_4arch9wavefront6targetE1EEEvT1_: ; @_ZN7rocprim17ROCPRIM_400000_NS6detail17trampoline_kernelINS0_14default_configENS1_20scan_config_selectorIfEEZZNS1_9scan_implILNS1_25lookback_scan_determinismE0ELb0ELb0ES3_N6thrust23THRUST_200600_302600_NS6detail15normal_iteratorINS9_10device_ptrIfEEEESE_fNS9_4plusIvEEfEEDaPvRmT3_T4_T5_mT6_P12ihipStream_tbENKUlT_T0_E_clISt17integral_constantIbLb0EESU_EEDaSP_SQ_EUlSP_E0_NS1_11comp_targetILNS1_3genE10ELNS1_11target_archE1201ELNS1_3gpuE5ELNS1_3repE0EEENS1_30default_config_static_selectorELNS0_4arch9wavefront6targetE1EEEvT1_
; %bb.0:
	.section	.rodata,"a",@progbits
	.p2align	6, 0x0
	.amdhsa_kernel _ZN7rocprim17ROCPRIM_400000_NS6detail17trampoline_kernelINS0_14default_configENS1_20scan_config_selectorIfEEZZNS1_9scan_implILNS1_25lookback_scan_determinismE0ELb0ELb0ES3_N6thrust23THRUST_200600_302600_NS6detail15normal_iteratorINS9_10device_ptrIfEEEESE_fNS9_4plusIvEEfEEDaPvRmT3_T4_T5_mT6_P12ihipStream_tbENKUlT_T0_E_clISt17integral_constantIbLb0EESU_EEDaSP_SQ_EUlSP_E0_NS1_11comp_targetILNS1_3genE10ELNS1_11target_archE1201ELNS1_3gpuE5ELNS1_3repE0EEENS1_30default_config_static_selectorELNS0_4arch9wavefront6targetE1EEEvT1_
		.amdhsa_group_segment_fixed_size 0
		.amdhsa_private_segment_fixed_size 0
		.amdhsa_kernarg_size 32
		.amdhsa_user_sgpr_count 6
		.amdhsa_user_sgpr_private_segment_buffer 1
		.amdhsa_user_sgpr_dispatch_ptr 0
		.amdhsa_user_sgpr_queue_ptr 0
		.amdhsa_user_sgpr_kernarg_segment_ptr 1
		.amdhsa_user_sgpr_dispatch_id 0
		.amdhsa_user_sgpr_flat_scratch_init 0
		.amdhsa_user_sgpr_kernarg_preload_length 0
		.amdhsa_user_sgpr_kernarg_preload_offset 0
		.amdhsa_user_sgpr_private_segment_size 0
		.amdhsa_uses_dynamic_stack 0
		.amdhsa_system_sgpr_private_segment_wavefront_offset 0
		.amdhsa_system_sgpr_workgroup_id_x 1
		.amdhsa_system_sgpr_workgroup_id_y 0
		.amdhsa_system_sgpr_workgroup_id_z 0
		.amdhsa_system_sgpr_workgroup_info 0
		.amdhsa_system_vgpr_workitem_id 0
		.amdhsa_next_free_vgpr 1
		.amdhsa_next_free_sgpr 0
		.amdhsa_accum_offset 4
		.amdhsa_reserve_vcc 0
		.amdhsa_reserve_flat_scratch 0
		.amdhsa_float_round_mode_32 0
		.amdhsa_float_round_mode_16_64 0
		.amdhsa_float_denorm_mode_32 3
		.amdhsa_float_denorm_mode_16_64 3
		.amdhsa_dx10_clamp 1
		.amdhsa_ieee_mode 1
		.amdhsa_fp16_overflow 0
		.amdhsa_tg_split 0
		.amdhsa_exception_fp_ieee_invalid_op 0
		.amdhsa_exception_fp_denorm_src 0
		.amdhsa_exception_fp_ieee_div_zero 0
		.amdhsa_exception_fp_ieee_overflow 0
		.amdhsa_exception_fp_ieee_underflow 0
		.amdhsa_exception_fp_ieee_inexact 0
		.amdhsa_exception_int_div_zero 0
	.end_amdhsa_kernel
	.section	.text._ZN7rocprim17ROCPRIM_400000_NS6detail17trampoline_kernelINS0_14default_configENS1_20scan_config_selectorIfEEZZNS1_9scan_implILNS1_25lookback_scan_determinismE0ELb0ELb0ES3_N6thrust23THRUST_200600_302600_NS6detail15normal_iteratorINS9_10device_ptrIfEEEESE_fNS9_4plusIvEEfEEDaPvRmT3_T4_T5_mT6_P12ihipStream_tbENKUlT_T0_E_clISt17integral_constantIbLb0EESU_EEDaSP_SQ_EUlSP_E0_NS1_11comp_targetILNS1_3genE10ELNS1_11target_archE1201ELNS1_3gpuE5ELNS1_3repE0EEENS1_30default_config_static_selectorELNS0_4arch9wavefront6targetE1EEEvT1_,"axG",@progbits,_ZN7rocprim17ROCPRIM_400000_NS6detail17trampoline_kernelINS0_14default_configENS1_20scan_config_selectorIfEEZZNS1_9scan_implILNS1_25lookback_scan_determinismE0ELb0ELb0ES3_N6thrust23THRUST_200600_302600_NS6detail15normal_iteratorINS9_10device_ptrIfEEEESE_fNS9_4plusIvEEfEEDaPvRmT3_T4_T5_mT6_P12ihipStream_tbENKUlT_T0_E_clISt17integral_constantIbLb0EESU_EEDaSP_SQ_EUlSP_E0_NS1_11comp_targetILNS1_3genE10ELNS1_11target_archE1201ELNS1_3gpuE5ELNS1_3repE0EEENS1_30default_config_static_selectorELNS0_4arch9wavefront6targetE1EEEvT1_,comdat
.Lfunc_end4300:
	.size	_ZN7rocprim17ROCPRIM_400000_NS6detail17trampoline_kernelINS0_14default_configENS1_20scan_config_selectorIfEEZZNS1_9scan_implILNS1_25lookback_scan_determinismE0ELb0ELb0ES3_N6thrust23THRUST_200600_302600_NS6detail15normal_iteratorINS9_10device_ptrIfEEEESE_fNS9_4plusIvEEfEEDaPvRmT3_T4_T5_mT6_P12ihipStream_tbENKUlT_T0_E_clISt17integral_constantIbLb0EESU_EEDaSP_SQ_EUlSP_E0_NS1_11comp_targetILNS1_3genE10ELNS1_11target_archE1201ELNS1_3gpuE5ELNS1_3repE0EEENS1_30default_config_static_selectorELNS0_4arch9wavefront6targetE1EEEvT1_, .Lfunc_end4300-_ZN7rocprim17ROCPRIM_400000_NS6detail17trampoline_kernelINS0_14default_configENS1_20scan_config_selectorIfEEZZNS1_9scan_implILNS1_25lookback_scan_determinismE0ELb0ELb0ES3_N6thrust23THRUST_200600_302600_NS6detail15normal_iteratorINS9_10device_ptrIfEEEESE_fNS9_4plusIvEEfEEDaPvRmT3_T4_T5_mT6_P12ihipStream_tbENKUlT_T0_E_clISt17integral_constantIbLb0EESU_EEDaSP_SQ_EUlSP_E0_NS1_11comp_targetILNS1_3genE10ELNS1_11target_archE1201ELNS1_3gpuE5ELNS1_3repE0EEENS1_30default_config_static_selectorELNS0_4arch9wavefront6targetE1EEEvT1_
                                        ; -- End function
	.section	.AMDGPU.csdata,"",@progbits
; Kernel info:
; codeLenInByte = 0
; NumSgprs: 4
; NumVgprs: 0
; NumAgprs: 0
; TotalNumVgprs: 0
; ScratchSize: 0
; MemoryBound: 0
; FloatMode: 240
; IeeeMode: 1
; LDSByteSize: 0 bytes/workgroup (compile time only)
; SGPRBlocks: 0
; VGPRBlocks: 0
; NumSGPRsForWavesPerEU: 4
; NumVGPRsForWavesPerEU: 1
; AccumOffset: 4
; Occupancy: 8
; WaveLimiterHint : 0
; COMPUTE_PGM_RSRC2:SCRATCH_EN: 0
; COMPUTE_PGM_RSRC2:USER_SGPR: 6
; COMPUTE_PGM_RSRC2:TRAP_HANDLER: 0
; COMPUTE_PGM_RSRC2:TGID_X_EN: 1
; COMPUTE_PGM_RSRC2:TGID_Y_EN: 0
; COMPUTE_PGM_RSRC2:TGID_Z_EN: 0
; COMPUTE_PGM_RSRC2:TIDIG_COMP_CNT: 0
; COMPUTE_PGM_RSRC3_GFX90A:ACCUM_OFFSET: 0
; COMPUTE_PGM_RSRC3_GFX90A:TG_SPLIT: 0
	.section	.text._ZN7rocprim17ROCPRIM_400000_NS6detail17trampoline_kernelINS0_14default_configENS1_20scan_config_selectorIfEEZZNS1_9scan_implILNS1_25lookback_scan_determinismE0ELb0ELb0ES3_N6thrust23THRUST_200600_302600_NS6detail15normal_iteratorINS9_10device_ptrIfEEEESE_fNS9_4plusIvEEfEEDaPvRmT3_T4_T5_mT6_P12ihipStream_tbENKUlT_T0_E_clISt17integral_constantIbLb0EESU_EEDaSP_SQ_EUlSP_E0_NS1_11comp_targetILNS1_3genE10ELNS1_11target_archE1200ELNS1_3gpuE4ELNS1_3repE0EEENS1_30default_config_static_selectorELNS0_4arch9wavefront6targetE1EEEvT1_,"axG",@progbits,_ZN7rocprim17ROCPRIM_400000_NS6detail17trampoline_kernelINS0_14default_configENS1_20scan_config_selectorIfEEZZNS1_9scan_implILNS1_25lookback_scan_determinismE0ELb0ELb0ES3_N6thrust23THRUST_200600_302600_NS6detail15normal_iteratorINS9_10device_ptrIfEEEESE_fNS9_4plusIvEEfEEDaPvRmT3_T4_T5_mT6_P12ihipStream_tbENKUlT_T0_E_clISt17integral_constantIbLb0EESU_EEDaSP_SQ_EUlSP_E0_NS1_11comp_targetILNS1_3genE10ELNS1_11target_archE1200ELNS1_3gpuE4ELNS1_3repE0EEENS1_30default_config_static_selectorELNS0_4arch9wavefront6targetE1EEEvT1_,comdat
	.protected	_ZN7rocprim17ROCPRIM_400000_NS6detail17trampoline_kernelINS0_14default_configENS1_20scan_config_selectorIfEEZZNS1_9scan_implILNS1_25lookback_scan_determinismE0ELb0ELb0ES3_N6thrust23THRUST_200600_302600_NS6detail15normal_iteratorINS9_10device_ptrIfEEEESE_fNS9_4plusIvEEfEEDaPvRmT3_T4_T5_mT6_P12ihipStream_tbENKUlT_T0_E_clISt17integral_constantIbLb0EESU_EEDaSP_SQ_EUlSP_E0_NS1_11comp_targetILNS1_3genE10ELNS1_11target_archE1200ELNS1_3gpuE4ELNS1_3repE0EEENS1_30default_config_static_selectorELNS0_4arch9wavefront6targetE1EEEvT1_ ; -- Begin function _ZN7rocprim17ROCPRIM_400000_NS6detail17trampoline_kernelINS0_14default_configENS1_20scan_config_selectorIfEEZZNS1_9scan_implILNS1_25lookback_scan_determinismE0ELb0ELb0ES3_N6thrust23THRUST_200600_302600_NS6detail15normal_iteratorINS9_10device_ptrIfEEEESE_fNS9_4plusIvEEfEEDaPvRmT3_T4_T5_mT6_P12ihipStream_tbENKUlT_T0_E_clISt17integral_constantIbLb0EESU_EEDaSP_SQ_EUlSP_E0_NS1_11comp_targetILNS1_3genE10ELNS1_11target_archE1200ELNS1_3gpuE4ELNS1_3repE0EEENS1_30default_config_static_selectorELNS0_4arch9wavefront6targetE1EEEvT1_
	.globl	_ZN7rocprim17ROCPRIM_400000_NS6detail17trampoline_kernelINS0_14default_configENS1_20scan_config_selectorIfEEZZNS1_9scan_implILNS1_25lookback_scan_determinismE0ELb0ELb0ES3_N6thrust23THRUST_200600_302600_NS6detail15normal_iteratorINS9_10device_ptrIfEEEESE_fNS9_4plusIvEEfEEDaPvRmT3_T4_T5_mT6_P12ihipStream_tbENKUlT_T0_E_clISt17integral_constantIbLb0EESU_EEDaSP_SQ_EUlSP_E0_NS1_11comp_targetILNS1_3genE10ELNS1_11target_archE1200ELNS1_3gpuE4ELNS1_3repE0EEENS1_30default_config_static_selectorELNS0_4arch9wavefront6targetE1EEEvT1_
	.p2align	8
	.type	_ZN7rocprim17ROCPRIM_400000_NS6detail17trampoline_kernelINS0_14default_configENS1_20scan_config_selectorIfEEZZNS1_9scan_implILNS1_25lookback_scan_determinismE0ELb0ELb0ES3_N6thrust23THRUST_200600_302600_NS6detail15normal_iteratorINS9_10device_ptrIfEEEESE_fNS9_4plusIvEEfEEDaPvRmT3_T4_T5_mT6_P12ihipStream_tbENKUlT_T0_E_clISt17integral_constantIbLb0EESU_EEDaSP_SQ_EUlSP_E0_NS1_11comp_targetILNS1_3genE10ELNS1_11target_archE1200ELNS1_3gpuE4ELNS1_3repE0EEENS1_30default_config_static_selectorELNS0_4arch9wavefront6targetE1EEEvT1_,@function
_ZN7rocprim17ROCPRIM_400000_NS6detail17trampoline_kernelINS0_14default_configENS1_20scan_config_selectorIfEEZZNS1_9scan_implILNS1_25lookback_scan_determinismE0ELb0ELb0ES3_N6thrust23THRUST_200600_302600_NS6detail15normal_iteratorINS9_10device_ptrIfEEEESE_fNS9_4plusIvEEfEEDaPvRmT3_T4_T5_mT6_P12ihipStream_tbENKUlT_T0_E_clISt17integral_constantIbLb0EESU_EEDaSP_SQ_EUlSP_E0_NS1_11comp_targetILNS1_3genE10ELNS1_11target_archE1200ELNS1_3gpuE4ELNS1_3repE0EEENS1_30default_config_static_selectorELNS0_4arch9wavefront6targetE1EEEvT1_: ; @_ZN7rocprim17ROCPRIM_400000_NS6detail17trampoline_kernelINS0_14default_configENS1_20scan_config_selectorIfEEZZNS1_9scan_implILNS1_25lookback_scan_determinismE0ELb0ELb0ES3_N6thrust23THRUST_200600_302600_NS6detail15normal_iteratorINS9_10device_ptrIfEEEESE_fNS9_4plusIvEEfEEDaPvRmT3_T4_T5_mT6_P12ihipStream_tbENKUlT_T0_E_clISt17integral_constantIbLb0EESU_EEDaSP_SQ_EUlSP_E0_NS1_11comp_targetILNS1_3genE10ELNS1_11target_archE1200ELNS1_3gpuE4ELNS1_3repE0EEENS1_30default_config_static_selectorELNS0_4arch9wavefront6targetE1EEEvT1_
; %bb.0:
	.section	.rodata,"a",@progbits
	.p2align	6, 0x0
	.amdhsa_kernel _ZN7rocprim17ROCPRIM_400000_NS6detail17trampoline_kernelINS0_14default_configENS1_20scan_config_selectorIfEEZZNS1_9scan_implILNS1_25lookback_scan_determinismE0ELb0ELb0ES3_N6thrust23THRUST_200600_302600_NS6detail15normal_iteratorINS9_10device_ptrIfEEEESE_fNS9_4plusIvEEfEEDaPvRmT3_T4_T5_mT6_P12ihipStream_tbENKUlT_T0_E_clISt17integral_constantIbLb0EESU_EEDaSP_SQ_EUlSP_E0_NS1_11comp_targetILNS1_3genE10ELNS1_11target_archE1200ELNS1_3gpuE4ELNS1_3repE0EEENS1_30default_config_static_selectorELNS0_4arch9wavefront6targetE1EEEvT1_
		.amdhsa_group_segment_fixed_size 0
		.amdhsa_private_segment_fixed_size 0
		.amdhsa_kernarg_size 32
		.amdhsa_user_sgpr_count 6
		.amdhsa_user_sgpr_private_segment_buffer 1
		.amdhsa_user_sgpr_dispatch_ptr 0
		.amdhsa_user_sgpr_queue_ptr 0
		.amdhsa_user_sgpr_kernarg_segment_ptr 1
		.amdhsa_user_sgpr_dispatch_id 0
		.amdhsa_user_sgpr_flat_scratch_init 0
		.amdhsa_user_sgpr_kernarg_preload_length 0
		.amdhsa_user_sgpr_kernarg_preload_offset 0
		.amdhsa_user_sgpr_private_segment_size 0
		.amdhsa_uses_dynamic_stack 0
		.amdhsa_system_sgpr_private_segment_wavefront_offset 0
		.amdhsa_system_sgpr_workgroup_id_x 1
		.amdhsa_system_sgpr_workgroup_id_y 0
		.amdhsa_system_sgpr_workgroup_id_z 0
		.amdhsa_system_sgpr_workgroup_info 0
		.amdhsa_system_vgpr_workitem_id 0
		.amdhsa_next_free_vgpr 1
		.amdhsa_next_free_sgpr 0
		.amdhsa_accum_offset 4
		.amdhsa_reserve_vcc 0
		.amdhsa_reserve_flat_scratch 0
		.amdhsa_float_round_mode_32 0
		.amdhsa_float_round_mode_16_64 0
		.amdhsa_float_denorm_mode_32 3
		.amdhsa_float_denorm_mode_16_64 3
		.amdhsa_dx10_clamp 1
		.amdhsa_ieee_mode 1
		.amdhsa_fp16_overflow 0
		.amdhsa_tg_split 0
		.amdhsa_exception_fp_ieee_invalid_op 0
		.amdhsa_exception_fp_denorm_src 0
		.amdhsa_exception_fp_ieee_div_zero 0
		.amdhsa_exception_fp_ieee_overflow 0
		.amdhsa_exception_fp_ieee_underflow 0
		.amdhsa_exception_fp_ieee_inexact 0
		.amdhsa_exception_int_div_zero 0
	.end_amdhsa_kernel
	.section	.text._ZN7rocprim17ROCPRIM_400000_NS6detail17trampoline_kernelINS0_14default_configENS1_20scan_config_selectorIfEEZZNS1_9scan_implILNS1_25lookback_scan_determinismE0ELb0ELb0ES3_N6thrust23THRUST_200600_302600_NS6detail15normal_iteratorINS9_10device_ptrIfEEEESE_fNS9_4plusIvEEfEEDaPvRmT3_T4_T5_mT6_P12ihipStream_tbENKUlT_T0_E_clISt17integral_constantIbLb0EESU_EEDaSP_SQ_EUlSP_E0_NS1_11comp_targetILNS1_3genE10ELNS1_11target_archE1200ELNS1_3gpuE4ELNS1_3repE0EEENS1_30default_config_static_selectorELNS0_4arch9wavefront6targetE1EEEvT1_,"axG",@progbits,_ZN7rocprim17ROCPRIM_400000_NS6detail17trampoline_kernelINS0_14default_configENS1_20scan_config_selectorIfEEZZNS1_9scan_implILNS1_25lookback_scan_determinismE0ELb0ELb0ES3_N6thrust23THRUST_200600_302600_NS6detail15normal_iteratorINS9_10device_ptrIfEEEESE_fNS9_4plusIvEEfEEDaPvRmT3_T4_T5_mT6_P12ihipStream_tbENKUlT_T0_E_clISt17integral_constantIbLb0EESU_EEDaSP_SQ_EUlSP_E0_NS1_11comp_targetILNS1_3genE10ELNS1_11target_archE1200ELNS1_3gpuE4ELNS1_3repE0EEENS1_30default_config_static_selectorELNS0_4arch9wavefront6targetE1EEEvT1_,comdat
.Lfunc_end4301:
	.size	_ZN7rocprim17ROCPRIM_400000_NS6detail17trampoline_kernelINS0_14default_configENS1_20scan_config_selectorIfEEZZNS1_9scan_implILNS1_25lookback_scan_determinismE0ELb0ELb0ES3_N6thrust23THRUST_200600_302600_NS6detail15normal_iteratorINS9_10device_ptrIfEEEESE_fNS9_4plusIvEEfEEDaPvRmT3_T4_T5_mT6_P12ihipStream_tbENKUlT_T0_E_clISt17integral_constantIbLb0EESU_EEDaSP_SQ_EUlSP_E0_NS1_11comp_targetILNS1_3genE10ELNS1_11target_archE1200ELNS1_3gpuE4ELNS1_3repE0EEENS1_30default_config_static_selectorELNS0_4arch9wavefront6targetE1EEEvT1_, .Lfunc_end4301-_ZN7rocprim17ROCPRIM_400000_NS6detail17trampoline_kernelINS0_14default_configENS1_20scan_config_selectorIfEEZZNS1_9scan_implILNS1_25lookback_scan_determinismE0ELb0ELb0ES3_N6thrust23THRUST_200600_302600_NS6detail15normal_iteratorINS9_10device_ptrIfEEEESE_fNS9_4plusIvEEfEEDaPvRmT3_T4_T5_mT6_P12ihipStream_tbENKUlT_T0_E_clISt17integral_constantIbLb0EESU_EEDaSP_SQ_EUlSP_E0_NS1_11comp_targetILNS1_3genE10ELNS1_11target_archE1200ELNS1_3gpuE4ELNS1_3repE0EEENS1_30default_config_static_selectorELNS0_4arch9wavefront6targetE1EEEvT1_
                                        ; -- End function
	.section	.AMDGPU.csdata,"",@progbits
; Kernel info:
; codeLenInByte = 0
; NumSgprs: 4
; NumVgprs: 0
; NumAgprs: 0
; TotalNumVgprs: 0
; ScratchSize: 0
; MemoryBound: 0
; FloatMode: 240
; IeeeMode: 1
; LDSByteSize: 0 bytes/workgroup (compile time only)
; SGPRBlocks: 0
; VGPRBlocks: 0
; NumSGPRsForWavesPerEU: 4
; NumVGPRsForWavesPerEU: 1
; AccumOffset: 4
; Occupancy: 8
; WaveLimiterHint : 0
; COMPUTE_PGM_RSRC2:SCRATCH_EN: 0
; COMPUTE_PGM_RSRC2:USER_SGPR: 6
; COMPUTE_PGM_RSRC2:TRAP_HANDLER: 0
; COMPUTE_PGM_RSRC2:TGID_X_EN: 1
; COMPUTE_PGM_RSRC2:TGID_Y_EN: 0
; COMPUTE_PGM_RSRC2:TGID_Z_EN: 0
; COMPUTE_PGM_RSRC2:TIDIG_COMP_CNT: 0
; COMPUTE_PGM_RSRC3_GFX90A:ACCUM_OFFSET: 0
; COMPUTE_PGM_RSRC3_GFX90A:TG_SPLIT: 0
	.section	.text._ZN7rocprim17ROCPRIM_400000_NS6detail17trampoline_kernelINS0_14default_configENS1_20scan_config_selectorIfEEZZNS1_9scan_implILNS1_25lookback_scan_determinismE0ELb0ELb0ES3_N6thrust23THRUST_200600_302600_NS6detail15normal_iteratorINS9_10device_ptrIfEEEESE_fNS9_4plusIvEEfEEDaPvRmT3_T4_T5_mT6_P12ihipStream_tbENKUlT_T0_E_clISt17integral_constantIbLb0EESU_EEDaSP_SQ_EUlSP_E0_NS1_11comp_targetILNS1_3genE9ELNS1_11target_archE1100ELNS1_3gpuE3ELNS1_3repE0EEENS1_30default_config_static_selectorELNS0_4arch9wavefront6targetE1EEEvT1_,"axG",@progbits,_ZN7rocprim17ROCPRIM_400000_NS6detail17trampoline_kernelINS0_14default_configENS1_20scan_config_selectorIfEEZZNS1_9scan_implILNS1_25lookback_scan_determinismE0ELb0ELb0ES3_N6thrust23THRUST_200600_302600_NS6detail15normal_iteratorINS9_10device_ptrIfEEEESE_fNS9_4plusIvEEfEEDaPvRmT3_T4_T5_mT6_P12ihipStream_tbENKUlT_T0_E_clISt17integral_constantIbLb0EESU_EEDaSP_SQ_EUlSP_E0_NS1_11comp_targetILNS1_3genE9ELNS1_11target_archE1100ELNS1_3gpuE3ELNS1_3repE0EEENS1_30default_config_static_selectorELNS0_4arch9wavefront6targetE1EEEvT1_,comdat
	.protected	_ZN7rocprim17ROCPRIM_400000_NS6detail17trampoline_kernelINS0_14default_configENS1_20scan_config_selectorIfEEZZNS1_9scan_implILNS1_25lookback_scan_determinismE0ELb0ELb0ES3_N6thrust23THRUST_200600_302600_NS6detail15normal_iteratorINS9_10device_ptrIfEEEESE_fNS9_4plusIvEEfEEDaPvRmT3_T4_T5_mT6_P12ihipStream_tbENKUlT_T0_E_clISt17integral_constantIbLb0EESU_EEDaSP_SQ_EUlSP_E0_NS1_11comp_targetILNS1_3genE9ELNS1_11target_archE1100ELNS1_3gpuE3ELNS1_3repE0EEENS1_30default_config_static_selectorELNS0_4arch9wavefront6targetE1EEEvT1_ ; -- Begin function _ZN7rocprim17ROCPRIM_400000_NS6detail17trampoline_kernelINS0_14default_configENS1_20scan_config_selectorIfEEZZNS1_9scan_implILNS1_25lookback_scan_determinismE0ELb0ELb0ES3_N6thrust23THRUST_200600_302600_NS6detail15normal_iteratorINS9_10device_ptrIfEEEESE_fNS9_4plusIvEEfEEDaPvRmT3_T4_T5_mT6_P12ihipStream_tbENKUlT_T0_E_clISt17integral_constantIbLb0EESU_EEDaSP_SQ_EUlSP_E0_NS1_11comp_targetILNS1_3genE9ELNS1_11target_archE1100ELNS1_3gpuE3ELNS1_3repE0EEENS1_30default_config_static_selectorELNS0_4arch9wavefront6targetE1EEEvT1_
	.globl	_ZN7rocprim17ROCPRIM_400000_NS6detail17trampoline_kernelINS0_14default_configENS1_20scan_config_selectorIfEEZZNS1_9scan_implILNS1_25lookback_scan_determinismE0ELb0ELb0ES3_N6thrust23THRUST_200600_302600_NS6detail15normal_iteratorINS9_10device_ptrIfEEEESE_fNS9_4plusIvEEfEEDaPvRmT3_T4_T5_mT6_P12ihipStream_tbENKUlT_T0_E_clISt17integral_constantIbLb0EESU_EEDaSP_SQ_EUlSP_E0_NS1_11comp_targetILNS1_3genE9ELNS1_11target_archE1100ELNS1_3gpuE3ELNS1_3repE0EEENS1_30default_config_static_selectorELNS0_4arch9wavefront6targetE1EEEvT1_
	.p2align	8
	.type	_ZN7rocprim17ROCPRIM_400000_NS6detail17trampoline_kernelINS0_14default_configENS1_20scan_config_selectorIfEEZZNS1_9scan_implILNS1_25lookback_scan_determinismE0ELb0ELb0ES3_N6thrust23THRUST_200600_302600_NS6detail15normal_iteratorINS9_10device_ptrIfEEEESE_fNS9_4plusIvEEfEEDaPvRmT3_T4_T5_mT6_P12ihipStream_tbENKUlT_T0_E_clISt17integral_constantIbLb0EESU_EEDaSP_SQ_EUlSP_E0_NS1_11comp_targetILNS1_3genE9ELNS1_11target_archE1100ELNS1_3gpuE3ELNS1_3repE0EEENS1_30default_config_static_selectorELNS0_4arch9wavefront6targetE1EEEvT1_,@function
_ZN7rocprim17ROCPRIM_400000_NS6detail17trampoline_kernelINS0_14default_configENS1_20scan_config_selectorIfEEZZNS1_9scan_implILNS1_25lookback_scan_determinismE0ELb0ELb0ES3_N6thrust23THRUST_200600_302600_NS6detail15normal_iteratorINS9_10device_ptrIfEEEESE_fNS9_4plusIvEEfEEDaPvRmT3_T4_T5_mT6_P12ihipStream_tbENKUlT_T0_E_clISt17integral_constantIbLb0EESU_EEDaSP_SQ_EUlSP_E0_NS1_11comp_targetILNS1_3genE9ELNS1_11target_archE1100ELNS1_3gpuE3ELNS1_3repE0EEENS1_30default_config_static_selectorELNS0_4arch9wavefront6targetE1EEEvT1_: ; @_ZN7rocprim17ROCPRIM_400000_NS6detail17trampoline_kernelINS0_14default_configENS1_20scan_config_selectorIfEEZZNS1_9scan_implILNS1_25lookback_scan_determinismE0ELb0ELb0ES3_N6thrust23THRUST_200600_302600_NS6detail15normal_iteratorINS9_10device_ptrIfEEEESE_fNS9_4plusIvEEfEEDaPvRmT3_T4_T5_mT6_P12ihipStream_tbENKUlT_T0_E_clISt17integral_constantIbLb0EESU_EEDaSP_SQ_EUlSP_E0_NS1_11comp_targetILNS1_3genE9ELNS1_11target_archE1100ELNS1_3gpuE3ELNS1_3repE0EEENS1_30default_config_static_selectorELNS0_4arch9wavefront6targetE1EEEvT1_
; %bb.0:
	.section	.rodata,"a",@progbits
	.p2align	6, 0x0
	.amdhsa_kernel _ZN7rocprim17ROCPRIM_400000_NS6detail17trampoline_kernelINS0_14default_configENS1_20scan_config_selectorIfEEZZNS1_9scan_implILNS1_25lookback_scan_determinismE0ELb0ELb0ES3_N6thrust23THRUST_200600_302600_NS6detail15normal_iteratorINS9_10device_ptrIfEEEESE_fNS9_4plusIvEEfEEDaPvRmT3_T4_T5_mT6_P12ihipStream_tbENKUlT_T0_E_clISt17integral_constantIbLb0EESU_EEDaSP_SQ_EUlSP_E0_NS1_11comp_targetILNS1_3genE9ELNS1_11target_archE1100ELNS1_3gpuE3ELNS1_3repE0EEENS1_30default_config_static_selectorELNS0_4arch9wavefront6targetE1EEEvT1_
		.amdhsa_group_segment_fixed_size 0
		.amdhsa_private_segment_fixed_size 0
		.amdhsa_kernarg_size 32
		.amdhsa_user_sgpr_count 6
		.amdhsa_user_sgpr_private_segment_buffer 1
		.amdhsa_user_sgpr_dispatch_ptr 0
		.amdhsa_user_sgpr_queue_ptr 0
		.amdhsa_user_sgpr_kernarg_segment_ptr 1
		.amdhsa_user_sgpr_dispatch_id 0
		.amdhsa_user_sgpr_flat_scratch_init 0
		.amdhsa_user_sgpr_kernarg_preload_length 0
		.amdhsa_user_sgpr_kernarg_preload_offset 0
		.amdhsa_user_sgpr_private_segment_size 0
		.amdhsa_uses_dynamic_stack 0
		.amdhsa_system_sgpr_private_segment_wavefront_offset 0
		.amdhsa_system_sgpr_workgroup_id_x 1
		.amdhsa_system_sgpr_workgroup_id_y 0
		.amdhsa_system_sgpr_workgroup_id_z 0
		.amdhsa_system_sgpr_workgroup_info 0
		.amdhsa_system_vgpr_workitem_id 0
		.amdhsa_next_free_vgpr 1
		.amdhsa_next_free_sgpr 0
		.amdhsa_accum_offset 4
		.amdhsa_reserve_vcc 0
		.amdhsa_reserve_flat_scratch 0
		.amdhsa_float_round_mode_32 0
		.amdhsa_float_round_mode_16_64 0
		.amdhsa_float_denorm_mode_32 3
		.amdhsa_float_denorm_mode_16_64 3
		.amdhsa_dx10_clamp 1
		.amdhsa_ieee_mode 1
		.amdhsa_fp16_overflow 0
		.amdhsa_tg_split 0
		.amdhsa_exception_fp_ieee_invalid_op 0
		.amdhsa_exception_fp_denorm_src 0
		.amdhsa_exception_fp_ieee_div_zero 0
		.amdhsa_exception_fp_ieee_overflow 0
		.amdhsa_exception_fp_ieee_underflow 0
		.amdhsa_exception_fp_ieee_inexact 0
		.amdhsa_exception_int_div_zero 0
	.end_amdhsa_kernel
	.section	.text._ZN7rocprim17ROCPRIM_400000_NS6detail17trampoline_kernelINS0_14default_configENS1_20scan_config_selectorIfEEZZNS1_9scan_implILNS1_25lookback_scan_determinismE0ELb0ELb0ES3_N6thrust23THRUST_200600_302600_NS6detail15normal_iteratorINS9_10device_ptrIfEEEESE_fNS9_4plusIvEEfEEDaPvRmT3_T4_T5_mT6_P12ihipStream_tbENKUlT_T0_E_clISt17integral_constantIbLb0EESU_EEDaSP_SQ_EUlSP_E0_NS1_11comp_targetILNS1_3genE9ELNS1_11target_archE1100ELNS1_3gpuE3ELNS1_3repE0EEENS1_30default_config_static_selectorELNS0_4arch9wavefront6targetE1EEEvT1_,"axG",@progbits,_ZN7rocprim17ROCPRIM_400000_NS6detail17trampoline_kernelINS0_14default_configENS1_20scan_config_selectorIfEEZZNS1_9scan_implILNS1_25lookback_scan_determinismE0ELb0ELb0ES3_N6thrust23THRUST_200600_302600_NS6detail15normal_iteratorINS9_10device_ptrIfEEEESE_fNS9_4plusIvEEfEEDaPvRmT3_T4_T5_mT6_P12ihipStream_tbENKUlT_T0_E_clISt17integral_constantIbLb0EESU_EEDaSP_SQ_EUlSP_E0_NS1_11comp_targetILNS1_3genE9ELNS1_11target_archE1100ELNS1_3gpuE3ELNS1_3repE0EEENS1_30default_config_static_selectorELNS0_4arch9wavefront6targetE1EEEvT1_,comdat
.Lfunc_end4302:
	.size	_ZN7rocprim17ROCPRIM_400000_NS6detail17trampoline_kernelINS0_14default_configENS1_20scan_config_selectorIfEEZZNS1_9scan_implILNS1_25lookback_scan_determinismE0ELb0ELb0ES3_N6thrust23THRUST_200600_302600_NS6detail15normal_iteratorINS9_10device_ptrIfEEEESE_fNS9_4plusIvEEfEEDaPvRmT3_T4_T5_mT6_P12ihipStream_tbENKUlT_T0_E_clISt17integral_constantIbLb0EESU_EEDaSP_SQ_EUlSP_E0_NS1_11comp_targetILNS1_3genE9ELNS1_11target_archE1100ELNS1_3gpuE3ELNS1_3repE0EEENS1_30default_config_static_selectorELNS0_4arch9wavefront6targetE1EEEvT1_, .Lfunc_end4302-_ZN7rocprim17ROCPRIM_400000_NS6detail17trampoline_kernelINS0_14default_configENS1_20scan_config_selectorIfEEZZNS1_9scan_implILNS1_25lookback_scan_determinismE0ELb0ELb0ES3_N6thrust23THRUST_200600_302600_NS6detail15normal_iteratorINS9_10device_ptrIfEEEESE_fNS9_4plusIvEEfEEDaPvRmT3_T4_T5_mT6_P12ihipStream_tbENKUlT_T0_E_clISt17integral_constantIbLb0EESU_EEDaSP_SQ_EUlSP_E0_NS1_11comp_targetILNS1_3genE9ELNS1_11target_archE1100ELNS1_3gpuE3ELNS1_3repE0EEENS1_30default_config_static_selectorELNS0_4arch9wavefront6targetE1EEEvT1_
                                        ; -- End function
	.section	.AMDGPU.csdata,"",@progbits
; Kernel info:
; codeLenInByte = 0
; NumSgprs: 4
; NumVgprs: 0
; NumAgprs: 0
; TotalNumVgprs: 0
; ScratchSize: 0
; MemoryBound: 0
; FloatMode: 240
; IeeeMode: 1
; LDSByteSize: 0 bytes/workgroup (compile time only)
; SGPRBlocks: 0
; VGPRBlocks: 0
; NumSGPRsForWavesPerEU: 4
; NumVGPRsForWavesPerEU: 1
; AccumOffset: 4
; Occupancy: 8
; WaveLimiterHint : 0
; COMPUTE_PGM_RSRC2:SCRATCH_EN: 0
; COMPUTE_PGM_RSRC2:USER_SGPR: 6
; COMPUTE_PGM_RSRC2:TRAP_HANDLER: 0
; COMPUTE_PGM_RSRC2:TGID_X_EN: 1
; COMPUTE_PGM_RSRC2:TGID_Y_EN: 0
; COMPUTE_PGM_RSRC2:TGID_Z_EN: 0
; COMPUTE_PGM_RSRC2:TIDIG_COMP_CNT: 0
; COMPUTE_PGM_RSRC3_GFX90A:ACCUM_OFFSET: 0
; COMPUTE_PGM_RSRC3_GFX90A:TG_SPLIT: 0
	.section	.text._ZN7rocprim17ROCPRIM_400000_NS6detail17trampoline_kernelINS0_14default_configENS1_20scan_config_selectorIfEEZZNS1_9scan_implILNS1_25lookback_scan_determinismE0ELb0ELb0ES3_N6thrust23THRUST_200600_302600_NS6detail15normal_iteratorINS9_10device_ptrIfEEEESE_fNS9_4plusIvEEfEEDaPvRmT3_T4_T5_mT6_P12ihipStream_tbENKUlT_T0_E_clISt17integral_constantIbLb0EESU_EEDaSP_SQ_EUlSP_E0_NS1_11comp_targetILNS1_3genE8ELNS1_11target_archE1030ELNS1_3gpuE2ELNS1_3repE0EEENS1_30default_config_static_selectorELNS0_4arch9wavefront6targetE1EEEvT1_,"axG",@progbits,_ZN7rocprim17ROCPRIM_400000_NS6detail17trampoline_kernelINS0_14default_configENS1_20scan_config_selectorIfEEZZNS1_9scan_implILNS1_25lookback_scan_determinismE0ELb0ELb0ES3_N6thrust23THRUST_200600_302600_NS6detail15normal_iteratorINS9_10device_ptrIfEEEESE_fNS9_4plusIvEEfEEDaPvRmT3_T4_T5_mT6_P12ihipStream_tbENKUlT_T0_E_clISt17integral_constantIbLb0EESU_EEDaSP_SQ_EUlSP_E0_NS1_11comp_targetILNS1_3genE8ELNS1_11target_archE1030ELNS1_3gpuE2ELNS1_3repE0EEENS1_30default_config_static_selectorELNS0_4arch9wavefront6targetE1EEEvT1_,comdat
	.protected	_ZN7rocprim17ROCPRIM_400000_NS6detail17trampoline_kernelINS0_14default_configENS1_20scan_config_selectorIfEEZZNS1_9scan_implILNS1_25lookback_scan_determinismE0ELb0ELb0ES3_N6thrust23THRUST_200600_302600_NS6detail15normal_iteratorINS9_10device_ptrIfEEEESE_fNS9_4plusIvEEfEEDaPvRmT3_T4_T5_mT6_P12ihipStream_tbENKUlT_T0_E_clISt17integral_constantIbLb0EESU_EEDaSP_SQ_EUlSP_E0_NS1_11comp_targetILNS1_3genE8ELNS1_11target_archE1030ELNS1_3gpuE2ELNS1_3repE0EEENS1_30default_config_static_selectorELNS0_4arch9wavefront6targetE1EEEvT1_ ; -- Begin function _ZN7rocprim17ROCPRIM_400000_NS6detail17trampoline_kernelINS0_14default_configENS1_20scan_config_selectorIfEEZZNS1_9scan_implILNS1_25lookback_scan_determinismE0ELb0ELb0ES3_N6thrust23THRUST_200600_302600_NS6detail15normal_iteratorINS9_10device_ptrIfEEEESE_fNS9_4plusIvEEfEEDaPvRmT3_T4_T5_mT6_P12ihipStream_tbENKUlT_T0_E_clISt17integral_constantIbLb0EESU_EEDaSP_SQ_EUlSP_E0_NS1_11comp_targetILNS1_3genE8ELNS1_11target_archE1030ELNS1_3gpuE2ELNS1_3repE0EEENS1_30default_config_static_selectorELNS0_4arch9wavefront6targetE1EEEvT1_
	.globl	_ZN7rocprim17ROCPRIM_400000_NS6detail17trampoline_kernelINS0_14default_configENS1_20scan_config_selectorIfEEZZNS1_9scan_implILNS1_25lookback_scan_determinismE0ELb0ELb0ES3_N6thrust23THRUST_200600_302600_NS6detail15normal_iteratorINS9_10device_ptrIfEEEESE_fNS9_4plusIvEEfEEDaPvRmT3_T4_T5_mT6_P12ihipStream_tbENKUlT_T0_E_clISt17integral_constantIbLb0EESU_EEDaSP_SQ_EUlSP_E0_NS1_11comp_targetILNS1_3genE8ELNS1_11target_archE1030ELNS1_3gpuE2ELNS1_3repE0EEENS1_30default_config_static_selectorELNS0_4arch9wavefront6targetE1EEEvT1_
	.p2align	8
	.type	_ZN7rocprim17ROCPRIM_400000_NS6detail17trampoline_kernelINS0_14default_configENS1_20scan_config_selectorIfEEZZNS1_9scan_implILNS1_25lookback_scan_determinismE0ELb0ELb0ES3_N6thrust23THRUST_200600_302600_NS6detail15normal_iteratorINS9_10device_ptrIfEEEESE_fNS9_4plusIvEEfEEDaPvRmT3_T4_T5_mT6_P12ihipStream_tbENKUlT_T0_E_clISt17integral_constantIbLb0EESU_EEDaSP_SQ_EUlSP_E0_NS1_11comp_targetILNS1_3genE8ELNS1_11target_archE1030ELNS1_3gpuE2ELNS1_3repE0EEENS1_30default_config_static_selectorELNS0_4arch9wavefront6targetE1EEEvT1_,@function
_ZN7rocprim17ROCPRIM_400000_NS6detail17trampoline_kernelINS0_14default_configENS1_20scan_config_selectorIfEEZZNS1_9scan_implILNS1_25lookback_scan_determinismE0ELb0ELb0ES3_N6thrust23THRUST_200600_302600_NS6detail15normal_iteratorINS9_10device_ptrIfEEEESE_fNS9_4plusIvEEfEEDaPvRmT3_T4_T5_mT6_P12ihipStream_tbENKUlT_T0_E_clISt17integral_constantIbLb0EESU_EEDaSP_SQ_EUlSP_E0_NS1_11comp_targetILNS1_3genE8ELNS1_11target_archE1030ELNS1_3gpuE2ELNS1_3repE0EEENS1_30default_config_static_selectorELNS0_4arch9wavefront6targetE1EEEvT1_: ; @_ZN7rocprim17ROCPRIM_400000_NS6detail17trampoline_kernelINS0_14default_configENS1_20scan_config_selectorIfEEZZNS1_9scan_implILNS1_25lookback_scan_determinismE0ELb0ELb0ES3_N6thrust23THRUST_200600_302600_NS6detail15normal_iteratorINS9_10device_ptrIfEEEESE_fNS9_4plusIvEEfEEDaPvRmT3_T4_T5_mT6_P12ihipStream_tbENKUlT_T0_E_clISt17integral_constantIbLb0EESU_EEDaSP_SQ_EUlSP_E0_NS1_11comp_targetILNS1_3genE8ELNS1_11target_archE1030ELNS1_3gpuE2ELNS1_3repE0EEENS1_30default_config_static_selectorELNS0_4arch9wavefront6targetE1EEEvT1_
; %bb.0:
	.section	.rodata,"a",@progbits
	.p2align	6, 0x0
	.amdhsa_kernel _ZN7rocprim17ROCPRIM_400000_NS6detail17trampoline_kernelINS0_14default_configENS1_20scan_config_selectorIfEEZZNS1_9scan_implILNS1_25lookback_scan_determinismE0ELb0ELb0ES3_N6thrust23THRUST_200600_302600_NS6detail15normal_iteratorINS9_10device_ptrIfEEEESE_fNS9_4plusIvEEfEEDaPvRmT3_T4_T5_mT6_P12ihipStream_tbENKUlT_T0_E_clISt17integral_constantIbLb0EESU_EEDaSP_SQ_EUlSP_E0_NS1_11comp_targetILNS1_3genE8ELNS1_11target_archE1030ELNS1_3gpuE2ELNS1_3repE0EEENS1_30default_config_static_selectorELNS0_4arch9wavefront6targetE1EEEvT1_
		.amdhsa_group_segment_fixed_size 0
		.amdhsa_private_segment_fixed_size 0
		.amdhsa_kernarg_size 32
		.amdhsa_user_sgpr_count 6
		.amdhsa_user_sgpr_private_segment_buffer 1
		.amdhsa_user_sgpr_dispatch_ptr 0
		.amdhsa_user_sgpr_queue_ptr 0
		.amdhsa_user_sgpr_kernarg_segment_ptr 1
		.amdhsa_user_sgpr_dispatch_id 0
		.amdhsa_user_sgpr_flat_scratch_init 0
		.amdhsa_user_sgpr_kernarg_preload_length 0
		.amdhsa_user_sgpr_kernarg_preload_offset 0
		.amdhsa_user_sgpr_private_segment_size 0
		.amdhsa_uses_dynamic_stack 0
		.amdhsa_system_sgpr_private_segment_wavefront_offset 0
		.amdhsa_system_sgpr_workgroup_id_x 1
		.amdhsa_system_sgpr_workgroup_id_y 0
		.amdhsa_system_sgpr_workgroup_id_z 0
		.amdhsa_system_sgpr_workgroup_info 0
		.amdhsa_system_vgpr_workitem_id 0
		.amdhsa_next_free_vgpr 1
		.amdhsa_next_free_sgpr 0
		.amdhsa_accum_offset 4
		.amdhsa_reserve_vcc 0
		.amdhsa_reserve_flat_scratch 0
		.amdhsa_float_round_mode_32 0
		.amdhsa_float_round_mode_16_64 0
		.amdhsa_float_denorm_mode_32 3
		.amdhsa_float_denorm_mode_16_64 3
		.amdhsa_dx10_clamp 1
		.amdhsa_ieee_mode 1
		.amdhsa_fp16_overflow 0
		.amdhsa_tg_split 0
		.amdhsa_exception_fp_ieee_invalid_op 0
		.amdhsa_exception_fp_denorm_src 0
		.amdhsa_exception_fp_ieee_div_zero 0
		.amdhsa_exception_fp_ieee_overflow 0
		.amdhsa_exception_fp_ieee_underflow 0
		.amdhsa_exception_fp_ieee_inexact 0
		.amdhsa_exception_int_div_zero 0
	.end_amdhsa_kernel
	.section	.text._ZN7rocprim17ROCPRIM_400000_NS6detail17trampoline_kernelINS0_14default_configENS1_20scan_config_selectorIfEEZZNS1_9scan_implILNS1_25lookback_scan_determinismE0ELb0ELb0ES3_N6thrust23THRUST_200600_302600_NS6detail15normal_iteratorINS9_10device_ptrIfEEEESE_fNS9_4plusIvEEfEEDaPvRmT3_T4_T5_mT6_P12ihipStream_tbENKUlT_T0_E_clISt17integral_constantIbLb0EESU_EEDaSP_SQ_EUlSP_E0_NS1_11comp_targetILNS1_3genE8ELNS1_11target_archE1030ELNS1_3gpuE2ELNS1_3repE0EEENS1_30default_config_static_selectorELNS0_4arch9wavefront6targetE1EEEvT1_,"axG",@progbits,_ZN7rocprim17ROCPRIM_400000_NS6detail17trampoline_kernelINS0_14default_configENS1_20scan_config_selectorIfEEZZNS1_9scan_implILNS1_25lookback_scan_determinismE0ELb0ELb0ES3_N6thrust23THRUST_200600_302600_NS6detail15normal_iteratorINS9_10device_ptrIfEEEESE_fNS9_4plusIvEEfEEDaPvRmT3_T4_T5_mT6_P12ihipStream_tbENKUlT_T0_E_clISt17integral_constantIbLb0EESU_EEDaSP_SQ_EUlSP_E0_NS1_11comp_targetILNS1_3genE8ELNS1_11target_archE1030ELNS1_3gpuE2ELNS1_3repE0EEENS1_30default_config_static_selectorELNS0_4arch9wavefront6targetE1EEEvT1_,comdat
.Lfunc_end4303:
	.size	_ZN7rocprim17ROCPRIM_400000_NS6detail17trampoline_kernelINS0_14default_configENS1_20scan_config_selectorIfEEZZNS1_9scan_implILNS1_25lookback_scan_determinismE0ELb0ELb0ES3_N6thrust23THRUST_200600_302600_NS6detail15normal_iteratorINS9_10device_ptrIfEEEESE_fNS9_4plusIvEEfEEDaPvRmT3_T4_T5_mT6_P12ihipStream_tbENKUlT_T0_E_clISt17integral_constantIbLb0EESU_EEDaSP_SQ_EUlSP_E0_NS1_11comp_targetILNS1_3genE8ELNS1_11target_archE1030ELNS1_3gpuE2ELNS1_3repE0EEENS1_30default_config_static_selectorELNS0_4arch9wavefront6targetE1EEEvT1_, .Lfunc_end4303-_ZN7rocprim17ROCPRIM_400000_NS6detail17trampoline_kernelINS0_14default_configENS1_20scan_config_selectorIfEEZZNS1_9scan_implILNS1_25lookback_scan_determinismE0ELb0ELb0ES3_N6thrust23THRUST_200600_302600_NS6detail15normal_iteratorINS9_10device_ptrIfEEEESE_fNS9_4plusIvEEfEEDaPvRmT3_T4_T5_mT6_P12ihipStream_tbENKUlT_T0_E_clISt17integral_constantIbLb0EESU_EEDaSP_SQ_EUlSP_E0_NS1_11comp_targetILNS1_3genE8ELNS1_11target_archE1030ELNS1_3gpuE2ELNS1_3repE0EEENS1_30default_config_static_selectorELNS0_4arch9wavefront6targetE1EEEvT1_
                                        ; -- End function
	.section	.AMDGPU.csdata,"",@progbits
; Kernel info:
; codeLenInByte = 0
; NumSgprs: 4
; NumVgprs: 0
; NumAgprs: 0
; TotalNumVgprs: 0
; ScratchSize: 0
; MemoryBound: 0
; FloatMode: 240
; IeeeMode: 1
; LDSByteSize: 0 bytes/workgroup (compile time only)
; SGPRBlocks: 0
; VGPRBlocks: 0
; NumSGPRsForWavesPerEU: 4
; NumVGPRsForWavesPerEU: 1
; AccumOffset: 4
; Occupancy: 8
; WaveLimiterHint : 0
; COMPUTE_PGM_RSRC2:SCRATCH_EN: 0
; COMPUTE_PGM_RSRC2:USER_SGPR: 6
; COMPUTE_PGM_RSRC2:TRAP_HANDLER: 0
; COMPUTE_PGM_RSRC2:TGID_X_EN: 1
; COMPUTE_PGM_RSRC2:TGID_Y_EN: 0
; COMPUTE_PGM_RSRC2:TGID_Z_EN: 0
; COMPUTE_PGM_RSRC2:TIDIG_COMP_CNT: 0
; COMPUTE_PGM_RSRC3_GFX90A:ACCUM_OFFSET: 0
; COMPUTE_PGM_RSRC3_GFX90A:TG_SPLIT: 0
	.section	.text._ZN7rocprim17ROCPRIM_400000_NS6detail17trampoline_kernelINS0_14default_configENS1_20scan_config_selectorIfEEZZNS1_9scan_implILNS1_25lookback_scan_determinismE0ELb0ELb0ES3_N6thrust23THRUST_200600_302600_NS6detail15normal_iteratorINS9_10device_ptrIfEEEESE_fNS9_4plusIvEEfEEDaPvRmT3_T4_T5_mT6_P12ihipStream_tbENKUlT_T0_E_clISt17integral_constantIbLb1EESU_EEDaSP_SQ_EUlSP_E_NS1_11comp_targetILNS1_3genE0ELNS1_11target_archE4294967295ELNS1_3gpuE0ELNS1_3repE0EEENS1_30default_config_static_selectorELNS0_4arch9wavefront6targetE1EEEvT1_,"axG",@progbits,_ZN7rocprim17ROCPRIM_400000_NS6detail17trampoline_kernelINS0_14default_configENS1_20scan_config_selectorIfEEZZNS1_9scan_implILNS1_25lookback_scan_determinismE0ELb0ELb0ES3_N6thrust23THRUST_200600_302600_NS6detail15normal_iteratorINS9_10device_ptrIfEEEESE_fNS9_4plusIvEEfEEDaPvRmT3_T4_T5_mT6_P12ihipStream_tbENKUlT_T0_E_clISt17integral_constantIbLb1EESU_EEDaSP_SQ_EUlSP_E_NS1_11comp_targetILNS1_3genE0ELNS1_11target_archE4294967295ELNS1_3gpuE0ELNS1_3repE0EEENS1_30default_config_static_selectorELNS0_4arch9wavefront6targetE1EEEvT1_,comdat
	.protected	_ZN7rocprim17ROCPRIM_400000_NS6detail17trampoline_kernelINS0_14default_configENS1_20scan_config_selectorIfEEZZNS1_9scan_implILNS1_25lookback_scan_determinismE0ELb0ELb0ES3_N6thrust23THRUST_200600_302600_NS6detail15normal_iteratorINS9_10device_ptrIfEEEESE_fNS9_4plusIvEEfEEDaPvRmT3_T4_T5_mT6_P12ihipStream_tbENKUlT_T0_E_clISt17integral_constantIbLb1EESU_EEDaSP_SQ_EUlSP_E_NS1_11comp_targetILNS1_3genE0ELNS1_11target_archE4294967295ELNS1_3gpuE0ELNS1_3repE0EEENS1_30default_config_static_selectorELNS0_4arch9wavefront6targetE1EEEvT1_ ; -- Begin function _ZN7rocprim17ROCPRIM_400000_NS6detail17trampoline_kernelINS0_14default_configENS1_20scan_config_selectorIfEEZZNS1_9scan_implILNS1_25lookback_scan_determinismE0ELb0ELb0ES3_N6thrust23THRUST_200600_302600_NS6detail15normal_iteratorINS9_10device_ptrIfEEEESE_fNS9_4plusIvEEfEEDaPvRmT3_T4_T5_mT6_P12ihipStream_tbENKUlT_T0_E_clISt17integral_constantIbLb1EESU_EEDaSP_SQ_EUlSP_E_NS1_11comp_targetILNS1_3genE0ELNS1_11target_archE4294967295ELNS1_3gpuE0ELNS1_3repE0EEENS1_30default_config_static_selectorELNS0_4arch9wavefront6targetE1EEEvT1_
	.globl	_ZN7rocprim17ROCPRIM_400000_NS6detail17trampoline_kernelINS0_14default_configENS1_20scan_config_selectorIfEEZZNS1_9scan_implILNS1_25lookback_scan_determinismE0ELb0ELb0ES3_N6thrust23THRUST_200600_302600_NS6detail15normal_iteratorINS9_10device_ptrIfEEEESE_fNS9_4plusIvEEfEEDaPvRmT3_T4_T5_mT6_P12ihipStream_tbENKUlT_T0_E_clISt17integral_constantIbLb1EESU_EEDaSP_SQ_EUlSP_E_NS1_11comp_targetILNS1_3genE0ELNS1_11target_archE4294967295ELNS1_3gpuE0ELNS1_3repE0EEENS1_30default_config_static_selectorELNS0_4arch9wavefront6targetE1EEEvT1_
	.p2align	8
	.type	_ZN7rocprim17ROCPRIM_400000_NS6detail17trampoline_kernelINS0_14default_configENS1_20scan_config_selectorIfEEZZNS1_9scan_implILNS1_25lookback_scan_determinismE0ELb0ELb0ES3_N6thrust23THRUST_200600_302600_NS6detail15normal_iteratorINS9_10device_ptrIfEEEESE_fNS9_4plusIvEEfEEDaPvRmT3_T4_T5_mT6_P12ihipStream_tbENKUlT_T0_E_clISt17integral_constantIbLb1EESU_EEDaSP_SQ_EUlSP_E_NS1_11comp_targetILNS1_3genE0ELNS1_11target_archE4294967295ELNS1_3gpuE0ELNS1_3repE0EEENS1_30default_config_static_selectorELNS0_4arch9wavefront6targetE1EEEvT1_,@function
_ZN7rocprim17ROCPRIM_400000_NS6detail17trampoline_kernelINS0_14default_configENS1_20scan_config_selectorIfEEZZNS1_9scan_implILNS1_25lookback_scan_determinismE0ELb0ELb0ES3_N6thrust23THRUST_200600_302600_NS6detail15normal_iteratorINS9_10device_ptrIfEEEESE_fNS9_4plusIvEEfEEDaPvRmT3_T4_T5_mT6_P12ihipStream_tbENKUlT_T0_E_clISt17integral_constantIbLb1EESU_EEDaSP_SQ_EUlSP_E_NS1_11comp_targetILNS1_3genE0ELNS1_11target_archE4294967295ELNS1_3gpuE0ELNS1_3repE0EEENS1_30default_config_static_selectorELNS0_4arch9wavefront6targetE1EEEvT1_: ; @_ZN7rocprim17ROCPRIM_400000_NS6detail17trampoline_kernelINS0_14default_configENS1_20scan_config_selectorIfEEZZNS1_9scan_implILNS1_25lookback_scan_determinismE0ELb0ELb0ES3_N6thrust23THRUST_200600_302600_NS6detail15normal_iteratorINS9_10device_ptrIfEEEESE_fNS9_4plusIvEEfEEDaPvRmT3_T4_T5_mT6_P12ihipStream_tbENKUlT_T0_E_clISt17integral_constantIbLb1EESU_EEDaSP_SQ_EUlSP_E_NS1_11comp_targetILNS1_3genE0ELNS1_11target_archE4294967295ELNS1_3gpuE0ELNS1_3repE0EEENS1_30default_config_static_selectorELNS0_4arch9wavefront6targetE1EEEvT1_
; %bb.0:
	.section	.rodata,"a",@progbits
	.p2align	6, 0x0
	.amdhsa_kernel _ZN7rocprim17ROCPRIM_400000_NS6detail17trampoline_kernelINS0_14default_configENS1_20scan_config_selectorIfEEZZNS1_9scan_implILNS1_25lookback_scan_determinismE0ELb0ELb0ES3_N6thrust23THRUST_200600_302600_NS6detail15normal_iteratorINS9_10device_ptrIfEEEESE_fNS9_4plusIvEEfEEDaPvRmT3_T4_T5_mT6_P12ihipStream_tbENKUlT_T0_E_clISt17integral_constantIbLb1EESU_EEDaSP_SQ_EUlSP_E_NS1_11comp_targetILNS1_3genE0ELNS1_11target_archE4294967295ELNS1_3gpuE0ELNS1_3repE0EEENS1_30default_config_static_selectorELNS0_4arch9wavefront6targetE1EEEvT1_
		.amdhsa_group_segment_fixed_size 0
		.amdhsa_private_segment_fixed_size 0
		.amdhsa_kernarg_size 96
		.amdhsa_user_sgpr_count 6
		.amdhsa_user_sgpr_private_segment_buffer 1
		.amdhsa_user_sgpr_dispatch_ptr 0
		.amdhsa_user_sgpr_queue_ptr 0
		.amdhsa_user_sgpr_kernarg_segment_ptr 1
		.amdhsa_user_sgpr_dispatch_id 0
		.amdhsa_user_sgpr_flat_scratch_init 0
		.amdhsa_user_sgpr_kernarg_preload_length 0
		.amdhsa_user_sgpr_kernarg_preload_offset 0
		.amdhsa_user_sgpr_private_segment_size 0
		.amdhsa_uses_dynamic_stack 0
		.amdhsa_system_sgpr_private_segment_wavefront_offset 0
		.amdhsa_system_sgpr_workgroup_id_x 1
		.amdhsa_system_sgpr_workgroup_id_y 0
		.amdhsa_system_sgpr_workgroup_id_z 0
		.amdhsa_system_sgpr_workgroup_info 0
		.amdhsa_system_vgpr_workitem_id 0
		.amdhsa_next_free_vgpr 1
		.amdhsa_next_free_sgpr 0
		.amdhsa_accum_offset 4
		.amdhsa_reserve_vcc 0
		.amdhsa_reserve_flat_scratch 0
		.amdhsa_float_round_mode_32 0
		.amdhsa_float_round_mode_16_64 0
		.amdhsa_float_denorm_mode_32 3
		.amdhsa_float_denorm_mode_16_64 3
		.amdhsa_dx10_clamp 1
		.amdhsa_ieee_mode 1
		.amdhsa_fp16_overflow 0
		.amdhsa_tg_split 0
		.amdhsa_exception_fp_ieee_invalid_op 0
		.amdhsa_exception_fp_denorm_src 0
		.amdhsa_exception_fp_ieee_div_zero 0
		.amdhsa_exception_fp_ieee_overflow 0
		.amdhsa_exception_fp_ieee_underflow 0
		.amdhsa_exception_fp_ieee_inexact 0
		.amdhsa_exception_int_div_zero 0
	.end_amdhsa_kernel
	.section	.text._ZN7rocprim17ROCPRIM_400000_NS6detail17trampoline_kernelINS0_14default_configENS1_20scan_config_selectorIfEEZZNS1_9scan_implILNS1_25lookback_scan_determinismE0ELb0ELb0ES3_N6thrust23THRUST_200600_302600_NS6detail15normal_iteratorINS9_10device_ptrIfEEEESE_fNS9_4plusIvEEfEEDaPvRmT3_T4_T5_mT6_P12ihipStream_tbENKUlT_T0_E_clISt17integral_constantIbLb1EESU_EEDaSP_SQ_EUlSP_E_NS1_11comp_targetILNS1_3genE0ELNS1_11target_archE4294967295ELNS1_3gpuE0ELNS1_3repE0EEENS1_30default_config_static_selectorELNS0_4arch9wavefront6targetE1EEEvT1_,"axG",@progbits,_ZN7rocprim17ROCPRIM_400000_NS6detail17trampoline_kernelINS0_14default_configENS1_20scan_config_selectorIfEEZZNS1_9scan_implILNS1_25lookback_scan_determinismE0ELb0ELb0ES3_N6thrust23THRUST_200600_302600_NS6detail15normal_iteratorINS9_10device_ptrIfEEEESE_fNS9_4plusIvEEfEEDaPvRmT3_T4_T5_mT6_P12ihipStream_tbENKUlT_T0_E_clISt17integral_constantIbLb1EESU_EEDaSP_SQ_EUlSP_E_NS1_11comp_targetILNS1_3genE0ELNS1_11target_archE4294967295ELNS1_3gpuE0ELNS1_3repE0EEENS1_30default_config_static_selectorELNS0_4arch9wavefront6targetE1EEEvT1_,comdat
.Lfunc_end4304:
	.size	_ZN7rocprim17ROCPRIM_400000_NS6detail17trampoline_kernelINS0_14default_configENS1_20scan_config_selectorIfEEZZNS1_9scan_implILNS1_25lookback_scan_determinismE0ELb0ELb0ES3_N6thrust23THRUST_200600_302600_NS6detail15normal_iteratorINS9_10device_ptrIfEEEESE_fNS9_4plusIvEEfEEDaPvRmT3_T4_T5_mT6_P12ihipStream_tbENKUlT_T0_E_clISt17integral_constantIbLb1EESU_EEDaSP_SQ_EUlSP_E_NS1_11comp_targetILNS1_3genE0ELNS1_11target_archE4294967295ELNS1_3gpuE0ELNS1_3repE0EEENS1_30default_config_static_selectorELNS0_4arch9wavefront6targetE1EEEvT1_, .Lfunc_end4304-_ZN7rocprim17ROCPRIM_400000_NS6detail17trampoline_kernelINS0_14default_configENS1_20scan_config_selectorIfEEZZNS1_9scan_implILNS1_25lookback_scan_determinismE0ELb0ELb0ES3_N6thrust23THRUST_200600_302600_NS6detail15normal_iteratorINS9_10device_ptrIfEEEESE_fNS9_4plusIvEEfEEDaPvRmT3_T4_T5_mT6_P12ihipStream_tbENKUlT_T0_E_clISt17integral_constantIbLb1EESU_EEDaSP_SQ_EUlSP_E_NS1_11comp_targetILNS1_3genE0ELNS1_11target_archE4294967295ELNS1_3gpuE0ELNS1_3repE0EEENS1_30default_config_static_selectorELNS0_4arch9wavefront6targetE1EEEvT1_
                                        ; -- End function
	.section	.AMDGPU.csdata,"",@progbits
; Kernel info:
; codeLenInByte = 0
; NumSgprs: 4
; NumVgprs: 0
; NumAgprs: 0
; TotalNumVgprs: 0
; ScratchSize: 0
; MemoryBound: 0
; FloatMode: 240
; IeeeMode: 1
; LDSByteSize: 0 bytes/workgroup (compile time only)
; SGPRBlocks: 0
; VGPRBlocks: 0
; NumSGPRsForWavesPerEU: 4
; NumVGPRsForWavesPerEU: 1
; AccumOffset: 4
; Occupancy: 8
; WaveLimiterHint : 0
; COMPUTE_PGM_RSRC2:SCRATCH_EN: 0
; COMPUTE_PGM_RSRC2:USER_SGPR: 6
; COMPUTE_PGM_RSRC2:TRAP_HANDLER: 0
; COMPUTE_PGM_RSRC2:TGID_X_EN: 1
; COMPUTE_PGM_RSRC2:TGID_Y_EN: 0
; COMPUTE_PGM_RSRC2:TGID_Z_EN: 0
; COMPUTE_PGM_RSRC2:TIDIG_COMP_CNT: 0
; COMPUTE_PGM_RSRC3_GFX90A:ACCUM_OFFSET: 0
; COMPUTE_PGM_RSRC3_GFX90A:TG_SPLIT: 0
	.section	.text._ZN7rocprim17ROCPRIM_400000_NS6detail17trampoline_kernelINS0_14default_configENS1_20scan_config_selectorIfEEZZNS1_9scan_implILNS1_25lookback_scan_determinismE0ELb0ELb0ES3_N6thrust23THRUST_200600_302600_NS6detail15normal_iteratorINS9_10device_ptrIfEEEESE_fNS9_4plusIvEEfEEDaPvRmT3_T4_T5_mT6_P12ihipStream_tbENKUlT_T0_E_clISt17integral_constantIbLb1EESU_EEDaSP_SQ_EUlSP_E_NS1_11comp_targetILNS1_3genE5ELNS1_11target_archE942ELNS1_3gpuE9ELNS1_3repE0EEENS1_30default_config_static_selectorELNS0_4arch9wavefront6targetE1EEEvT1_,"axG",@progbits,_ZN7rocprim17ROCPRIM_400000_NS6detail17trampoline_kernelINS0_14default_configENS1_20scan_config_selectorIfEEZZNS1_9scan_implILNS1_25lookback_scan_determinismE0ELb0ELb0ES3_N6thrust23THRUST_200600_302600_NS6detail15normal_iteratorINS9_10device_ptrIfEEEESE_fNS9_4plusIvEEfEEDaPvRmT3_T4_T5_mT6_P12ihipStream_tbENKUlT_T0_E_clISt17integral_constantIbLb1EESU_EEDaSP_SQ_EUlSP_E_NS1_11comp_targetILNS1_3genE5ELNS1_11target_archE942ELNS1_3gpuE9ELNS1_3repE0EEENS1_30default_config_static_selectorELNS0_4arch9wavefront6targetE1EEEvT1_,comdat
	.protected	_ZN7rocprim17ROCPRIM_400000_NS6detail17trampoline_kernelINS0_14default_configENS1_20scan_config_selectorIfEEZZNS1_9scan_implILNS1_25lookback_scan_determinismE0ELb0ELb0ES3_N6thrust23THRUST_200600_302600_NS6detail15normal_iteratorINS9_10device_ptrIfEEEESE_fNS9_4plusIvEEfEEDaPvRmT3_T4_T5_mT6_P12ihipStream_tbENKUlT_T0_E_clISt17integral_constantIbLb1EESU_EEDaSP_SQ_EUlSP_E_NS1_11comp_targetILNS1_3genE5ELNS1_11target_archE942ELNS1_3gpuE9ELNS1_3repE0EEENS1_30default_config_static_selectorELNS0_4arch9wavefront6targetE1EEEvT1_ ; -- Begin function _ZN7rocprim17ROCPRIM_400000_NS6detail17trampoline_kernelINS0_14default_configENS1_20scan_config_selectorIfEEZZNS1_9scan_implILNS1_25lookback_scan_determinismE0ELb0ELb0ES3_N6thrust23THRUST_200600_302600_NS6detail15normal_iteratorINS9_10device_ptrIfEEEESE_fNS9_4plusIvEEfEEDaPvRmT3_T4_T5_mT6_P12ihipStream_tbENKUlT_T0_E_clISt17integral_constantIbLb1EESU_EEDaSP_SQ_EUlSP_E_NS1_11comp_targetILNS1_3genE5ELNS1_11target_archE942ELNS1_3gpuE9ELNS1_3repE0EEENS1_30default_config_static_selectorELNS0_4arch9wavefront6targetE1EEEvT1_
	.globl	_ZN7rocprim17ROCPRIM_400000_NS6detail17trampoline_kernelINS0_14default_configENS1_20scan_config_selectorIfEEZZNS1_9scan_implILNS1_25lookback_scan_determinismE0ELb0ELb0ES3_N6thrust23THRUST_200600_302600_NS6detail15normal_iteratorINS9_10device_ptrIfEEEESE_fNS9_4plusIvEEfEEDaPvRmT3_T4_T5_mT6_P12ihipStream_tbENKUlT_T0_E_clISt17integral_constantIbLb1EESU_EEDaSP_SQ_EUlSP_E_NS1_11comp_targetILNS1_3genE5ELNS1_11target_archE942ELNS1_3gpuE9ELNS1_3repE0EEENS1_30default_config_static_selectorELNS0_4arch9wavefront6targetE1EEEvT1_
	.p2align	8
	.type	_ZN7rocprim17ROCPRIM_400000_NS6detail17trampoline_kernelINS0_14default_configENS1_20scan_config_selectorIfEEZZNS1_9scan_implILNS1_25lookback_scan_determinismE0ELb0ELb0ES3_N6thrust23THRUST_200600_302600_NS6detail15normal_iteratorINS9_10device_ptrIfEEEESE_fNS9_4plusIvEEfEEDaPvRmT3_T4_T5_mT6_P12ihipStream_tbENKUlT_T0_E_clISt17integral_constantIbLb1EESU_EEDaSP_SQ_EUlSP_E_NS1_11comp_targetILNS1_3genE5ELNS1_11target_archE942ELNS1_3gpuE9ELNS1_3repE0EEENS1_30default_config_static_selectorELNS0_4arch9wavefront6targetE1EEEvT1_,@function
_ZN7rocprim17ROCPRIM_400000_NS6detail17trampoline_kernelINS0_14default_configENS1_20scan_config_selectorIfEEZZNS1_9scan_implILNS1_25lookback_scan_determinismE0ELb0ELb0ES3_N6thrust23THRUST_200600_302600_NS6detail15normal_iteratorINS9_10device_ptrIfEEEESE_fNS9_4plusIvEEfEEDaPvRmT3_T4_T5_mT6_P12ihipStream_tbENKUlT_T0_E_clISt17integral_constantIbLb1EESU_EEDaSP_SQ_EUlSP_E_NS1_11comp_targetILNS1_3genE5ELNS1_11target_archE942ELNS1_3gpuE9ELNS1_3repE0EEENS1_30default_config_static_selectorELNS0_4arch9wavefront6targetE1EEEvT1_: ; @_ZN7rocprim17ROCPRIM_400000_NS6detail17trampoline_kernelINS0_14default_configENS1_20scan_config_selectorIfEEZZNS1_9scan_implILNS1_25lookback_scan_determinismE0ELb0ELb0ES3_N6thrust23THRUST_200600_302600_NS6detail15normal_iteratorINS9_10device_ptrIfEEEESE_fNS9_4plusIvEEfEEDaPvRmT3_T4_T5_mT6_P12ihipStream_tbENKUlT_T0_E_clISt17integral_constantIbLb1EESU_EEDaSP_SQ_EUlSP_E_NS1_11comp_targetILNS1_3genE5ELNS1_11target_archE942ELNS1_3gpuE9ELNS1_3repE0EEENS1_30default_config_static_selectorELNS0_4arch9wavefront6targetE1EEEvT1_
; %bb.0:
	.section	.rodata,"a",@progbits
	.p2align	6, 0x0
	.amdhsa_kernel _ZN7rocprim17ROCPRIM_400000_NS6detail17trampoline_kernelINS0_14default_configENS1_20scan_config_selectorIfEEZZNS1_9scan_implILNS1_25lookback_scan_determinismE0ELb0ELb0ES3_N6thrust23THRUST_200600_302600_NS6detail15normal_iteratorINS9_10device_ptrIfEEEESE_fNS9_4plusIvEEfEEDaPvRmT3_T4_T5_mT6_P12ihipStream_tbENKUlT_T0_E_clISt17integral_constantIbLb1EESU_EEDaSP_SQ_EUlSP_E_NS1_11comp_targetILNS1_3genE5ELNS1_11target_archE942ELNS1_3gpuE9ELNS1_3repE0EEENS1_30default_config_static_selectorELNS0_4arch9wavefront6targetE1EEEvT1_
		.amdhsa_group_segment_fixed_size 0
		.amdhsa_private_segment_fixed_size 0
		.amdhsa_kernarg_size 96
		.amdhsa_user_sgpr_count 6
		.amdhsa_user_sgpr_private_segment_buffer 1
		.amdhsa_user_sgpr_dispatch_ptr 0
		.amdhsa_user_sgpr_queue_ptr 0
		.amdhsa_user_sgpr_kernarg_segment_ptr 1
		.amdhsa_user_sgpr_dispatch_id 0
		.amdhsa_user_sgpr_flat_scratch_init 0
		.amdhsa_user_sgpr_kernarg_preload_length 0
		.amdhsa_user_sgpr_kernarg_preload_offset 0
		.amdhsa_user_sgpr_private_segment_size 0
		.amdhsa_uses_dynamic_stack 0
		.amdhsa_system_sgpr_private_segment_wavefront_offset 0
		.amdhsa_system_sgpr_workgroup_id_x 1
		.amdhsa_system_sgpr_workgroup_id_y 0
		.amdhsa_system_sgpr_workgroup_id_z 0
		.amdhsa_system_sgpr_workgroup_info 0
		.amdhsa_system_vgpr_workitem_id 0
		.amdhsa_next_free_vgpr 1
		.amdhsa_next_free_sgpr 0
		.amdhsa_accum_offset 4
		.amdhsa_reserve_vcc 0
		.amdhsa_reserve_flat_scratch 0
		.amdhsa_float_round_mode_32 0
		.amdhsa_float_round_mode_16_64 0
		.amdhsa_float_denorm_mode_32 3
		.amdhsa_float_denorm_mode_16_64 3
		.amdhsa_dx10_clamp 1
		.amdhsa_ieee_mode 1
		.amdhsa_fp16_overflow 0
		.amdhsa_tg_split 0
		.amdhsa_exception_fp_ieee_invalid_op 0
		.amdhsa_exception_fp_denorm_src 0
		.amdhsa_exception_fp_ieee_div_zero 0
		.amdhsa_exception_fp_ieee_overflow 0
		.amdhsa_exception_fp_ieee_underflow 0
		.amdhsa_exception_fp_ieee_inexact 0
		.amdhsa_exception_int_div_zero 0
	.end_amdhsa_kernel
	.section	.text._ZN7rocprim17ROCPRIM_400000_NS6detail17trampoline_kernelINS0_14default_configENS1_20scan_config_selectorIfEEZZNS1_9scan_implILNS1_25lookback_scan_determinismE0ELb0ELb0ES3_N6thrust23THRUST_200600_302600_NS6detail15normal_iteratorINS9_10device_ptrIfEEEESE_fNS9_4plusIvEEfEEDaPvRmT3_T4_T5_mT6_P12ihipStream_tbENKUlT_T0_E_clISt17integral_constantIbLb1EESU_EEDaSP_SQ_EUlSP_E_NS1_11comp_targetILNS1_3genE5ELNS1_11target_archE942ELNS1_3gpuE9ELNS1_3repE0EEENS1_30default_config_static_selectorELNS0_4arch9wavefront6targetE1EEEvT1_,"axG",@progbits,_ZN7rocprim17ROCPRIM_400000_NS6detail17trampoline_kernelINS0_14default_configENS1_20scan_config_selectorIfEEZZNS1_9scan_implILNS1_25lookback_scan_determinismE0ELb0ELb0ES3_N6thrust23THRUST_200600_302600_NS6detail15normal_iteratorINS9_10device_ptrIfEEEESE_fNS9_4plusIvEEfEEDaPvRmT3_T4_T5_mT6_P12ihipStream_tbENKUlT_T0_E_clISt17integral_constantIbLb1EESU_EEDaSP_SQ_EUlSP_E_NS1_11comp_targetILNS1_3genE5ELNS1_11target_archE942ELNS1_3gpuE9ELNS1_3repE0EEENS1_30default_config_static_selectorELNS0_4arch9wavefront6targetE1EEEvT1_,comdat
.Lfunc_end4305:
	.size	_ZN7rocprim17ROCPRIM_400000_NS6detail17trampoline_kernelINS0_14default_configENS1_20scan_config_selectorIfEEZZNS1_9scan_implILNS1_25lookback_scan_determinismE0ELb0ELb0ES3_N6thrust23THRUST_200600_302600_NS6detail15normal_iteratorINS9_10device_ptrIfEEEESE_fNS9_4plusIvEEfEEDaPvRmT3_T4_T5_mT6_P12ihipStream_tbENKUlT_T0_E_clISt17integral_constantIbLb1EESU_EEDaSP_SQ_EUlSP_E_NS1_11comp_targetILNS1_3genE5ELNS1_11target_archE942ELNS1_3gpuE9ELNS1_3repE0EEENS1_30default_config_static_selectorELNS0_4arch9wavefront6targetE1EEEvT1_, .Lfunc_end4305-_ZN7rocprim17ROCPRIM_400000_NS6detail17trampoline_kernelINS0_14default_configENS1_20scan_config_selectorIfEEZZNS1_9scan_implILNS1_25lookback_scan_determinismE0ELb0ELb0ES3_N6thrust23THRUST_200600_302600_NS6detail15normal_iteratorINS9_10device_ptrIfEEEESE_fNS9_4plusIvEEfEEDaPvRmT3_T4_T5_mT6_P12ihipStream_tbENKUlT_T0_E_clISt17integral_constantIbLb1EESU_EEDaSP_SQ_EUlSP_E_NS1_11comp_targetILNS1_3genE5ELNS1_11target_archE942ELNS1_3gpuE9ELNS1_3repE0EEENS1_30default_config_static_selectorELNS0_4arch9wavefront6targetE1EEEvT1_
                                        ; -- End function
	.section	.AMDGPU.csdata,"",@progbits
; Kernel info:
; codeLenInByte = 0
; NumSgprs: 4
; NumVgprs: 0
; NumAgprs: 0
; TotalNumVgprs: 0
; ScratchSize: 0
; MemoryBound: 0
; FloatMode: 240
; IeeeMode: 1
; LDSByteSize: 0 bytes/workgroup (compile time only)
; SGPRBlocks: 0
; VGPRBlocks: 0
; NumSGPRsForWavesPerEU: 4
; NumVGPRsForWavesPerEU: 1
; AccumOffset: 4
; Occupancy: 8
; WaveLimiterHint : 0
; COMPUTE_PGM_RSRC2:SCRATCH_EN: 0
; COMPUTE_PGM_RSRC2:USER_SGPR: 6
; COMPUTE_PGM_RSRC2:TRAP_HANDLER: 0
; COMPUTE_PGM_RSRC2:TGID_X_EN: 1
; COMPUTE_PGM_RSRC2:TGID_Y_EN: 0
; COMPUTE_PGM_RSRC2:TGID_Z_EN: 0
; COMPUTE_PGM_RSRC2:TIDIG_COMP_CNT: 0
; COMPUTE_PGM_RSRC3_GFX90A:ACCUM_OFFSET: 0
; COMPUTE_PGM_RSRC3_GFX90A:TG_SPLIT: 0
	.section	.text._ZN7rocprim17ROCPRIM_400000_NS6detail17trampoline_kernelINS0_14default_configENS1_20scan_config_selectorIfEEZZNS1_9scan_implILNS1_25lookback_scan_determinismE0ELb0ELb0ES3_N6thrust23THRUST_200600_302600_NS6detail15normal_iteratorINS9_10device_ptrIfEEEESE_fNS9_4plusIvEEfEEDaPvRmT3_T4_T5_mT6_P12ihipStream_tbENKUlT_T0_E_clISt17integral_constantIbLb1EESU_EEDaSP_SQ_EUlSP_E_NS1_11comp_targetILNS1_3genE4ELNS1_11target_archE910ELNS1_3gpuE8ELNS1_3repE0EEENS1_30default_config_static_selectorELNS0_4arch9wavefront6targetE1EEEvT1_,"axG",@progbits,_ZN7rocprim17ROCPRIM_400000_NS6detail17trampoline_kernelINS0_14default_configENS1_20scan_config_selectorIfEEZZNS1_9scan_implILNS1_25lookback_scan_determinismE0ELb0ELb0ES3_N6thrust23THRUST_200600_302600_NS6detail15normal_iteratorINS9_10device_ptrIfEEEESE_fNS9_4plusIvEEfEEDaPvRmT3_T4_T5_mT6_P12ihipStream_tbENKUlT_T0_E_clISt17integral_constantIbLb1EESU_EEDaSP_SQ_EUlSP_E_NS1_11comp_targetILNS1_3genE4ELNS1_11target_archE910ELNS1_3gpuE8ELNS1_3repE0EEENS1_30default_config_static_selectorELNS0_4arch9wavefront6targetE1EEEvT1_,comdat
	.protected	_ZN7rocprim17ROCPRIM_400000_NS6detail17trampoline_kernelINS0_14default_configENS1_20scan_config_selectorIfEEZZNS1_9scan_implILNS1_25lookback_scan_determinismE0ELb0ELb0ES3_N6thrust23THRUST_200600_302600_NS6detail15normal_iteratorINS9_10device_ptrIfEEEESE_fNS9_4plusIvEEfEEDaPvRmT3_T4_T5_mT6_P12ihipStream_tbENKUlT_T0_E_clISt17integral_constantIbLb1EESU_EEDaSP_SQ_EUlSP_E_NS1_11comp_targetILNS1_3genE4ELNS1_11target_archE910ELNS1_3gpuE8ELNS1_3repE0EEENS1_30default_config_static_selectorELNS0_4arch9wavefront6targetE1EEEvT1_ ; -- Begin function _ZN7rocprim17ROCPRIM_400000_NS6detail17trampoline_kernelINS0_14default_configENS1_20scan_config_selectorIfEEZZNS1_9scan_implILNS1_25lookback_scan_determinismE0ELb0ELb0ES3_N6thrust23THRUST_200600_302600_NS6detail15normal_iteratorINS9_10device_ptrIfEEEESE_fNS9_4plusIvEEfEEDaPvRmT3_T4_T5_mT6_P12ihipStream_tbENKUlT_T0_E_clISt17integral_constantIbLb1EESU_EEDaSP_SQ_EUlSP_E_NS1_11comp_targetILNS1_3genE4ELNS1_11target_archE910ELNS1_3gpuE8ELNS1_3repE0EEENS1_30default_config_static_selectorELNS0_4arch9wavefront6targetE1EEEvT1_
	.globl	_ZN7rocprim17ROCPRIM_400000_NS6detail17trampoline_kernelINS0_14default_configENS1_20scan_config_selectorIfEEZZNS1_9scan_implILNS1_25lookback_scan_determinismE0ELb0ELb0ES3_N6thrust23THRUST_200600_302600_NS6detail15normal_iteratorINS9_10device_ptrIfEEEESE_fNS9_4plusIvEEfEEDaPvRmT3_T4_T5_mT6_P12ihipStream_tbENKUlT_T0_E_clISt17integral_constantIbLb1EESU_EEDaSP_SQ_EUlSP_E_NS1_11comp_targetILNS1_3genE4ELNS1_11target_archE910ELNS1_3gpuE8ELNS1_3repE0EEENS1_30default_config_static_selectorELNS0_4arch9wavefront6targetE1EEEvT1_
	.p2align	8
	.type	_ZN7rocprim17ROCPRIM_400000_NS6detail17trampoline_kernelINS0_14default_configENS1_20scan_config_selectorIfEEZZNS1_9scan_implILNS1_25lookback_scan_determinismE0ELb0ELb0ES3_N6thrust23THRUST_200600_302600_NS6detail15normal_iteratorINS9_10device_ptrIfEEEESE_fNS9_4plusIvEEfEEDaPvRmT3_T4_T5_mT6_P12ihipStream_tbENKUlT_T0_E_clISt17integral_constantIbLb1EESU_EEDaSP_SQ_EUlSP_E_NS1_11comp_targetILNS1_3genE4ELNS1_11target_archE910ELNS1_3gpuE8ELNS1_3repE0EEENS1_30default_config_static_selectorELNS0_4arch9wavefront6targetE1EEEvT1_,@function
_ZN7rocprim17ROCPRIM_400000_NS6detail17trampoline_kernelINS0_14default_configENS1_20scan_config_selectorIfEEZZNS1_9scan_implILNS1_25lookback_scan_determinismE0ELb0ELb0ES3_N6thrust23THRUST_200600_302600_NS6detail15normal_iteratorINS9_10device_ptrIfEEEESE_fNS9_4plusIvEEfEEDaPvRmT3_T4_T5_mT6_P12ihipStream_tbENKUlT_T0_E_clISt17integral_constantIbLb1EESU_EEDaSP_SQ_EUlSP_E_NS1_11comp_targetILNS1_3genE4ELNS1_11target_archE910ELNS1_3gpuE8ELNS1_3repE0EEENS1_30default_config_static_selectorELNS0_4arch9wavefront6targetE1EEEvT1_: ; @_ZN7rocprim17ROCPRIM_400000_NS6detail17trampoline_kernelINS0_14default_configENS1_20scan_config_selectorIfEEZZNS1_9scan_implILNS1_25lookback_scan_determinismE0ELb0ELb0ES3_N6thrust23THRUST_200600_302600_NS6detail15normal_iteratorINS9_10device_ptrIfEEEESE_fNS9_4plusIvEEfEEDaPvRmT3_T4_T5_mT6_P12ihipStream_tbENKUlT_T0_E_clISt17integral_constantIbLb1EESU_EEDaSP_SQ_EUlSP_E_NS1_11comp_targetILNS1_3genE4ELNS1_11target_archE910ELNS1_3gpuE8ELNS1_3repE0EEENS1_30default_config_static_selectorELNS0_4arch9wavefront6targetE1EEEvT1_
; %bb.0:
	s_load_dwordx2 s[14:15], s[4:5], 0x28
	v_cmp_ne_u32_e64 s[0:1], 0, v0
	v_cmp_eq_u32_e64 s[2:3], 0, v0
	s_and_saveexec_b64 s[6:7], s[2:3]
	s_cbranch_execz .LBB4306_4
; %bb.1:
	s_mov_b64 s[10:11], exec
	v_mbcnt_lo_u32_b32 v1, s10, 0
	v_mbcnt_hi_u32_b32 v1, s11, v1
	v_cmp_eq_u32_e32 vcc, 0, v1
                                        ; implicit-def: $vgpr2
	s_and_saveexec_b64 s[8:9], vcc
	s_cbranch_execz .LBB4306_3
; %bb.2:
	s_load_dwordx2 s[12:13], s[4:5], 0x58
	s_bcnt1_i32_b64 s10, s[10:11]
	v_mov_b32_e32 v2, 0
	v_mov_b32_e32 v3, s10
	s_waitcnt lgkmcnt(0)
	global_atomic_add v2, v2, v3, s[12:13] glc
.LBB4306_3:
	s_or_b64 exec, exec, s[8:9]
	s_waitcnt vmcnt(0)
	v_readfirstlane_b32 s8, v2
	v_add_u32_e32 v1, s8, v1
	v_mov_b32_e32 v2, 0
	ds_write_b32 v2, v1
.LBB4306_4:
	s_or_b64 exec, exec, s[6:7]
	s_load_dwordx8 s[24:31], s[4:5], 0x0
	s_load_dword s6, s[4:5], 0x30
	s_load_dwordx8 s[16:23], s[4:5], 0x38
	v_mov_b32_e32 v1, 0
	s_waitcnt lgkmcnt(0)
	s_barrier
	ds_read_b32 v1, v1
	s_lshl_b64 s[26:27], s[26:27], 2
	s_add_u32 s7, s24, s26
	s_addc_u32 s8, s25, s27
	s_add_i32 s6, s6, -1
	s_mul_i32 s9, s6, 0x700
	s_sub_u32 s33, s30, s9
	s_waitcnt lgkmcnt(0)
	v_readfirstlane_b32 s37, v1
	s_subb_u32 s36, s31, 0
	s_mul_i32 s4, s37, 0x700
	s_mov_b32 s5, 0
	s_cmp_lg_u32 s37, s6
	s_cselect_b64 s[24:25], -1, 0
	s_lshl_b64 s[30:31], s[4:5], 2
	s_add_u32 s6, s7, s30
	s_addc_u32 s7, s8, s31
	s_mov_b64 s[4:5], -1
	s_and_b64 vcc, exec, s[24:25]
	v_lshlrev_b32_e32 v32, 2, v0
	s_barrier
	s_cbranch_vccz .LBB4306_6
; %bb.5:
	v_mov_b32_e32 v1, s7
	v_add_co_u32_e32 v2, vcc, s6, v32
	v_addc_co_u32_e32 v3, vcc, 0, v1, vcc
	flat_load_dword v1, v[2:3]
	flat_load_dword v4, v[2:3] offset:512
	flat_load_dword v5, v[2:3] offset:1024
	;; [unrolled: 1-line block ×7, first 2 shown]
	v_add_co_u32_e32 v2, vcc, 0x1000, v2
	v_addc_co_u32_e32 v3, vcc, 0, v3, vcc
	flat_load_dword v11, v[2:3]
	flat_load_dword v12, v[2:3] offset:512
	flat_load_dword v13, v[2:3] offset:1024
	;; [unrolled: 1-line block ×5, first 2 shown]
	s_mov_b64 s[4:5], 0
	s_waitcnt vmcnt(0) lgkmcnt(0)
	ds_write2st64_b32 v32, v1, v4 offset1:2
	ds_write2st64_b32 v32, v5, v6 offset0:4 offset1:6
	ds_write2st64_b32 v32, v7, v8 offset0:8 offset1:10
	;; [unrolled: 1-line block ×6, first 2 shown]
	s_waitcnt lgkmcnt(0)
	s_barrier
.LBB4306_6:
	s_andn2_b64 vcc, exec, s[4:5]
	v_cmp_gt_u32_e64 s[4:5], s33, v0
	s_cbranch_vccnz .LBB4306_36
; %bb.7:
	v_pk_mov_b32 v[2:3], s[6:7], s[6:7] op_sel:[0,1]
	flat_load_dword v1, v[2:3]
	s_waitcnt vmcnt(0) lgkmcnt(0)
	v_mov_b32_e32 v2, v1
	v_mov_b32_e32 v3, v1
	;; [unrolled: 1-line block ×12, first 2 shown]
	v_pk_mov_b32 v[16:17], v[14:15], v[14:15] op_sel:[0,1]
	v_pk_mov_b32 v[14:15], v[12:13], v[12:13] op_sel:[0,1]
	;; [unrolled: 1-line block ×8, first 2 shown]
	s_and_saveexec_b64 s[8:9], s[4:5]
	s_cbranch_execz .LBB4306_9
; %bb.8:
	v_mov_b32_e32 v3, s7
	v_add_co_u32_e32 v2, vcc, s6, v32
	v_addc_co_u32_e32 v3, vcc, 0, v3, vcc
	flat_load_dword v18, v[2:3]
	v_mov_b32_e32 v2, v1
	v_mov_b32_e32 v3, v1
	v_mov_b32_e32 v4, v1
	v_mov_b32_e32 v5, v1
	v_mov_b32_e32 v6, v1
	v_mov_b32_e32 v7, v1
	v_mov_b32_e32 v8, v1
	v_mov_b32_e32 v9, v1
	v_mov_b32_e32 v10, v1
	v_mov_b32_e32 v11, v1
	v_mov_b32_e32 v12, v1
	v_mov_b32_e32 v13, v1
	v_pk_mov_b32 v[16:17], v[14:15], v[14:15] op_sel:[0,1]
	v_pk_mov_b32 v[14:15], v[12:13], v[12:13] op_sel:[0,1]
	;; [unrolled: 1-line block ×8, first 2 shown]
	s_waitcnt vmcnt(0) lgkmcnt(0)
	v_mov_b32_e32 v1, v18
.LBB4306_9:
	s_or_b64 exec, exec, s[8:9]
	v_or_b32_e32 v2, 0x80, v0
	v_cmp_gt_u32_e32 vcc, s33, v2
	s_and_saveexec_b64 s[4:5], vcc
	s_cbranch_execz .LBB4306_11
; %bb.10:
	v_mov_b32_e32 v3, s7
	v_add_co_u32_e32 v2, vcc, s6, v32
	v_addc_co_u32_e32 v3, vcc, 0, v3, vcc
	flat_load_dword v3, v[2:3] offset:512
.LBB4306_11:
	s_or_b64 exec, exec, s[4:5]
	v_or_b32_e32 v2, 0x100, v0
	v_cmp_gt_u32_e32 vcc, s33, v2
	s_and_saveexec_b64 s[4:5], vcc
	s_cbranch_execz .LBB4306_13
; %bb.12:
	v_mov_b32_e32 v2, s7
	v_add_co_u32_e32 v16, vcc, s6, v32
	v_addc_co_u32_e32 v17, vcc, 0, v2, vcc
	flat_load_dword v4, v[16:17] offset:1024
.LBB4306_13:
	s_or_b64 exec, exec, s[4:5]
	v_or_b32_e32 v2, 0x180, v0
	v_cmp_gt_u32_e32 vcc, s33, v2
	s_and_saveexec_b64 s[4:5], vcc
	s_cbranch_execz .LBB4306_15
; %bb.14:
	v_mov_b32_e32 v2, s7
	v_add_co_u32_e32 v16, vcc, s6, v32
	v_addc_co_u32_e32 v17, vcc, 0, v2, vcc
	flat_load_dword v5, v[16:17] offset:1536
.LBB4306_15:
	s_or_b64 exec, exec, s[4:5]
	v_or_b32_e32 v2, 0x200, v0
	v_cmp_gt_u32_e32 vcc, s33, v2
	s_and_saveexec_b64 s[4:5], vcc
	s_cbranch_execz .LBB4306_17
; %bb.16:
	v_mov_b32_e32 v2, s7
	v_add_co_u32_e32 v16, vcc, s6, v32
	v_addc_co_u32_e32 v17, vcc, 0, v2, vcc
	flat_load_dword v6, v[16:17] offset:2048
.LBB4306_17:
	s_or_b64 exec, exec, s[4:5]
	v_or_b32_e32 v2, 0x280, v0
	v_cmp_gt_u32_e32 vcc, s33, v2
	s_and_saveexec_b64 s[4:5], vcc
	s_cbranch_execz .LBB4306_19
; %bb.18:
	v_mov_b32_e32 v2, s7
	v_add_co_u32_e32 v16, vcc, s6, v32
	v_addc_co_u32_e32 v17, vcc, 0, v2, vcc
	flat_load_dword v7, v[16:17] offset:2560
.LBB4306_19:
	s_or_b64 exec, exec, s[4:5]
	v_or_b32_e32 v2, 0x300, v0
	v_cmp_gt_u32_e32 vcc, s33, v2
	s_and_saveexec_b64 s[4:5], vcc
	s_cbranch_execz .LBB4306_21
; %bb.20:
	v_mov_b32_e32 v2, s7
	v_add_co_u32_e32 v16, vcc, s6, v32
	v_addc_co_u32_e32 v17, vcc, 0, v2, vcc
	flat_load_dword v8, v[16:17] offset:3072
.LBB4306_21:
	s_or_b64 exec, exec, s[4:5]
	v_or_b32_e32 v2, 0x380, v0
	v_cmp_gt_u32_e32 vcc, s33, v2
	s_and_saveexec_b64 s[4:5], vcc
	s_cbranch_execz .LBB4306_23
; %bb.22:
	v_mov_b32_e32 v2, s7
	v_add_co_u32_e32 v16, vcc, s6, v32
	v_addc_co_u32_e32 v17, vcc, 0, v2, vcc
	flat_load_dword v9, v[16:17] offset:3584
.LBB4306_23:
	s_or_b64 exec, exec, s[4:5]
	v_or_b32_e32 v2, 0x400, v0
	v_cmp_gt_u32_e32 vcc, s33, v2
	s_and_saveexec_b64 s[4:5], vcc
	s_cbranch_execz .LBB4306_25
; %bb.24:
	v_lshlrev_b32_e32 v2, 2, v2
	v_mov_b32_e32 v10, s7
	v_add_co_u32_e32 v16, vcc, s6, v2
	v_addc_co_u32_e32 v17, vcc, 0, v10, vcc
	flat_load_dword v10, v[16:17]
.LBB4306_25:
	s_or_b64 exec, exec, s[4:5]
	v_or_b32_e32 v2, 0x480, v0
	v_cmp_gt_u32_e32 vcc, s33, v2
	s_and_saveexec_b64 s[4:5], vcc
	s_cbranch_execz .LBB4306_27
; %bb.26:
	v_lshlrev_b32_e32 v2, 2, v2
	v_mov_b32_e32 v11, s7
	v_add_co_u32_e32 v16, vcc, s6, v2
	v_addc_co_u32_e32 v17, vcc, 0, v11, vcc
	flat_load_dword v11, v[16:17]
.LBB4306_27:
	;; [unrolled: 12-line block ×6, first 2 shown]
	s_or_b64 exec, exec, s[4:5]
	s_waitcnt vmcnt(0) lgkmcnt(0)
	ds_write2st64_b32 v32, v1, v3 offset1:2
	ds_write2st64_b32 v32, v4, v5 offset0:4 offset1:6
	ds_write2st64_b32 v32, v6, v7 offset0:8 offset1:10
	;; [unrolled: 1-line block ×6, first 2 shown]
	s_waitcnt lgkmcnt(0)
	s_barrier
.LBB4306_36:
	v_mul_u32_u24_e32 v33, 14, v0
	v_lshlrev_b32_e32 v34, 2, v33
	ds_read2_b64 v[2:5], v34 offset1:1
	ds_read2_b64 v[26:29], v34 offset0:2 offset1:3
	ds_read2_b64 v[22:25], v34 offset0:4 offset1:5
	ds_read_b64 v[30:31], v34 offset:48
	s_cmp_lg_u32 s37, 0
	v_lshrrev_b32_e32 v1, 5, v0
	v_cmp_gt_u32_e32 vcc, 64, v0
	s_waitcnt lgkmcnt(0)
	s_barrier
	s_cbranch_scc0 .LBB4306_65
; %bb.37:
	v_add_f32_e32 v6, v2, v3
	v_add_f32_e32 v6, v4, v6
	;; [unrolled: 1-line block ×13, first 2 shown]
	v_add_lshl_u32 v6, v1, v0, 2
	ds_write_b32 v6, v16
	s_waitcnt lgkmcnt(0)
	s_barrier
	s_and_saveexec_b64 s[10:11], vcc
	s_cbranch_execz .LBB4306_39
; %bb.38:
	v_lshlrev_b32_e32 v6, 1, v0
	v_lshrrev_b32_e32 v7, 4, v0
	v_add_lshl_u32 v8, v7, v6, 2
	ds_read2_b32 v[6:7], v8 offset1:1
	v_mbcnt_lo_u32_b32 v9, -1, 0
	v_mbcnt_hi_u32_b32 v9, -1, v9
	v_and_b32_e32 v10, 15, v9
	v_cmp_eq_u32_e64 s[4:5], 0, v10
	s_waitcnt lgkmcnt(0)
	v_add_f32_e32 v7, v6, v7
	v_cmp_lt_u32_e64 s[6:7], 3, v10
	v_cmp_lt_u32_e64 s[8:9], 31, v9
	v_mov_b32_dpp v11, v7 row_shr:1 row_mask:0xf bank_mask:0xf
	v_add_f32_e32 v11, v7, v11
	v_cndmask_b32_e64 v7, v11, v7, s[4:5]
	v_cmp_lt_u32_e64 s[4:5], 1, v10
	s_nop 0
	v_mov_b32_dpp v11, v7 row_shr:2 row_mask:0xf bank_mask:0xf
	v_add_f32_e32 v11, v7, v11
	v_cndmask_b32_e64 v11, v7, v11, s[4:5]
	; wave barrier
	s_nop 1
	v_mov_b32_dpp v12, v11 row_shr:4 row_mask:0xf bank_mask:0xf
	v_add_f32_e32 v12, v11, v12
	v_cndmask_b32_e64 v11, v11, v12, s[6:7]
	v_cmp_lt_u32_e64 s[6:7], 7, v10
	s_nop 0
	v_mov_b32_dpp v12, v11 row_shr:8 row_mask:0xf bank_mask:0xf
	v_add_f32_e32 v12, v11, v12
	v_cndmask_b32_e64 v10, v11, v12, s[6:7]
	v_and_b32_e32 v12, 16, v9
	v_cmp_eq_u32_e64 s[6:7], 0, v12
	v_mov_b32_dpp v11, v10 row_bcast:15 row_mask:0xf bank_mask:0xf
	v_add_f32_e32 v11, v10, v11
	v_cndmask_b32_e64 v10, v11, v10, s[6:7]
	v_cmp_lt_u32_e64 s[6:7], 15, v9
	s_or_b64 s[4:5], s[6:7], s[4:5]
	v_mov_b32_dpp v11, v10 row_bcast:31 row_mask:0xf bank_mask:0xf
	v_add_f32_e32 v11, v10, v11
	v_cndmask_b32_e64 v10, v10, v11, s[8:9]
	v_cndmask_b32_e64 v7, v7, v10, s[4:5]
	v_add_u32_e32 v10, -1, v9
	v_and_b32_e32 v11, 64, v9
	v_cmp_lt_i32_e64 s[4:5], v10, v11
	v_cndmask_b32_e64 v9, v10, v9, s[4:5]
	v_lshlrev_b32_e32 v9, 2, v9
	ds_bpermute_b32 v7, v9, v7
	s_waitcnt lgkmcnt(0)
	v_add_f32_e32 v6, v6, v7
	v_cndmask_b32_e64 v6, v6, v16, s[2:3]
	ds_write_b32 v8, v6
	; wave barrier
	ds_read_b32 v7, v8 offset:4
	s_waitcnt lgkmcnt(0)
	v_add_f32_e32 v6, v6, v7
	ds_write_b32 v8, v6 offset:4
.LBB4306_39:
	s_or_b64 exec, exec, s[10:11]
	s_waitcnt lgkmcnt(0)
	s_barrier
	s_and_saveexec_b64 s[4:5], s[0:1]
	s_cbranch_execz .LBB4306_41
; %bb.40:
	v_add_u32_e32 v6, -1, v0
	v_lshrrev_b32_e32 v7, 5, v6
	v_add_lshl_u32 v6, v7, v6, 2
	ds_read_b32 v16, v6
.LBB4306_41:
	s_or_b64 exec, exec, s[4:5]
	s_and_saveexec_b64 s[34:35], vcc
	s_cbranch_execz .LBB4306_64
; %bb.42:
	v_mov_b32_e32 v15, 0
	ds_read_b32 v6, v15 offset:520
	v_mbcnt_lo_u32_b32 v7, -1, 0
	v_mbcnt_hi_u32_b32 v9, -1, v7
	s_mov_b32 s9, 0
	v_cmp_eq_u32_e64 s[4:5], 0, v9
	s_and_saveexec_b64 s[6:7], s[4:5]
	s_cbranch_execz .LBB4306_44
; %bb.43:
	s_add_i32 s8, s37, 64
	s_lshl_b64 s[8:9], s[8:9], 3
	s_add_u32 s8, s14, s8
	v_mov_b32_e32 v7, 1
	s_addc_u32 s9, s15, s9
	s_waitcnt lgkmcnt(0)
	global_store_dwordx2 v15, v[6:7], s[8:9]
.LBB4306_44:
	s_or_b64 exec, exec, s[6:7]
	v_xad_u32 v8, v9, -1, s37
	v_add_u32_e32 v14, 64, v8
	v_lshlrev_b64 v[10:11], 3, v[14:15]
	v_mov_b32_e32 v7, s15
	v_add_co_u32_e32 v10, vcc, s14, v10
	v_addc_co_u32_e32 v11, vcc, v7, v11, vcc
	global_load_dwordx2 v[12:13], v[10:11], off glc
	s_waitcnt vmcnt(0)
	v_cmp_eq_u16_sdwa s[8:9], v13, v15 src0_sel:BYTE_0 src1_sel:DWORD
	s_and_saveexec_b64 s[6:7], s[8:9]
	s_cbranch_execz .LBB4306_50
; %bb.45:
	s_mov_b32 s10, 1
	s_mov_b64 s[8:9], 0
	v_mov_b32_e32 v7, 0
.LBB4306_46:                            ; =>This Loop Header: Depth=1
                                        ;     Child Loop BB4306_47 Depth 2
	s_max_u32 s11, s10, 1
.LBB4306_47:                            ;   Parent Loop BB4306_46 Depth=1
                                        ; =>  This Inner Loop Header: Depth=2
	s_add_i32 s11, s11, -1
	s_cmp_eq_u32 s11, 0
	s_sleep 1
	s_cbranch_scc0 .LBB4306_47
; %bb.48:                               ;   in Loop: Header=BB4306_46 Depth=1
	global_load_dwordx2 v[12:13], v[10:11], off glc
	s_cmp_lt_u32 s10, 32
	s_cselect_b64 s[12:13], -1, 0
	s_cmp_lg_u64 s[12:13], 0
	s_addc_u32 s10, s10, 0
	s_waitcnt vmcnt(0)
	v_cmp_ne_u16_sdwa s[12:13], v13, v7 src0_sel:BYTE_0 src1_sel:DWORD
	s_or_b64 s[8:9], s[12:13], s[8:9]
	s_andn2_b64 exec, exec, s[8:9]
	s_cbranch_execnz .LBB4306_46
; %bb.49:
	s_or_b64 exec, exec, s[8:9]
.LBB4306_50:
	s_or_b64 exec, exec, s[6:7]
	v_and_b32_e32 v17, 63, v9
	v_cmp_ne_u32_e32 vcc, 63, v17
	v_addc_co_u32_e32 v18, vcc, 0, v9, vcc
	v_mov_b32_e32 v7, 2
	v_lshlrev_b32_e32 v18, 2, v18
	v_cmp_eq_u16_sdwa s[6:7], v13, v7 src0_sel:BYTE_0 src1_sel:DWORD
	v_lshlrev_b64 v[10:11], v9, -1
	ds_bpermute_b32 v19, v18, v12
	v_and_b32_e32 v14, s7, v11
	v_or_b32_e32 v14, 0x80000000, v14
	v_and_b32_e32 v15, s6, v10
	v_ffbl_b32_e32 v14, v14
	v_add_u32_e32 v14, 32, v14
	v_ffbl_b32_e32 v15, v15
	v_cmp_gt_u32_e64 s[6:7], 62, v17
	v_min_u32_e32 v14, v15, v14
	s_waitcnt lgkmcnt(0)
	v_add_f32_e32 v15, v12, v19
	v_cndmask_b32_e64 v19, 0, 1, s[6:7]
	v_cmp_lt_u32_e32 vcc, v17, v14
	v_lshlrev_b32_e32 v19, 1, v19
	v_cndmask_b32_e32 v15, v12, v15, vcc
	v_add_lshl_u32 v19, v19, v9, 2
	ds_bpermute_b32 v21, v19, v15
	v_add_u32_e32 v20, 2, v17
	v_cmp_gt_u32_e64 s[6:7], v20, v14
	v_cmp_gt_u32_e64 s[8:9], 56, v17
	v_add_u32_e32 v35, 4, v17
	s_waitcnt lgkmcnt(0)
	v_add_f32_e32 v21, v15, v21
	v_cndmask_b32_e64 v15, v21, v15, s[6:7]
	v_cmp_gt_u32_e64 s[6:7], 60, v17
	v_cndmask_b32_e64 v21, 0, 1, s[6:7]
	v_lshlrev_b32_e32 v21, 2, v21
	v_add_lshl_u32 v21, v21, v9, 2
	ds_bpermute_b32 v36, v21, v15
	v_cmp_gt_u32_e64 s[6:7], v35, v14
	v_add_u32_e32 v37, 8, v17
	v_cmp_gt_u32_e64 s[10:11], 48, v17
	v_cmp_gt_u32_e64 s[12:13], 32, v17
	s_waitcnt lgkmcnt(0)
	v_add_f32_e32 v40, v15, v36
	v_cndmask_b32_e64 v36, 0, 1, s[8:9]
	v_lshlrev_b32_e32 v36, 3, v36
	v_cndmask_b32_e64 v38, v40, v15, s[6:7]
	v_add_lshl_u32 v36, v36, v9, 2
	ds_bpermute_b32 v39, v36, v38
	v_cmp_gt_u32_e64 s[8:9], v37, v14
	v_cndmask_b32_e32 v12, v12, v15, vcc
	v_cndmask_b32_e64 v12, v40, v12, s[6:7]
	s_waitcnt lgkmcnt(0)
	v_add_f32_e32 v43, v38, v39
	v_cndmask_b32_e64 v41, v43, v38, s[8:9]
	v_cndmask_b32_e64 v38, 0, 1, s[10:11]
	v_lshlrev_b32_e32 v38, 4, v38
	v_add_lshl_u32 v38, v38, v9, 2
	ds_bpermute_b32 v42, v38, v41
	v_add_u32_e32 v39, 16, v17
	v_cmp_gt_u32_e64 s[10:11], v39, v14
	v_cndmask_b32_e64 v12, v43, v12, s[8:9]
	s_waitcnt lgkmcnt(0)
	v_add_f32_e32 v44, v41, v42
	v_cndmask_b32_e64 v45, v44, v41, s[10:11]
	v_cndmask_b32_e64 v41, 0, 1, s[12:13]
	v_lshlrev_b32_e32 v41, 5, v41
	v_add_lshl_u32 v41, v41, v9, 2
	ds_bpermute_b32 v9, v41, v45
	v_add_u32_e32 v42, 32, v17
	v_cndmask_b32_e64 v12, v44, v12, s[10:11]
	v_cmp_gt_u32_e32 vcc, v42, v14
	s_waitcnt lgkmcnt(0)
	v_add_f32_e32 v9, v45, v9
	v_cndmask_b32_e32 v12, v9, v12, vcc
	v_mov_b32_e32 v9, 0
	s_branch .LBB4306_52
.LBB4306_51:                            ;   in Loop: Header=BB4306_52 Depth=1
	s_or_b64 exec, exec, s[6:7]
	v_cmp_eq_u16_sdwa s[6:7], v13, v7 src0_sel:BYTE_0 src1_sel:DWORD
	v_and_b32_e32 v14, s7, v11
	ds_bpermute_b32 v43, v18, v12
	v_or_b32_e32 v14, 0x80000000, v14
	v_and_b32_e32 v15, s6, v10
	v_ffbl_b32_e32 v14, v14
	v_add_u32_e32 v14, 32, v14
	v_ffbl_b32_e32 v15, v15
	v_min_u32_e32 v14, v15, v14
	s_waitcnt lgkmcnt(0)
	v_add_f32_e32 v15, v12, v43
	v_cmp_lt_u32_e32 vcc, v17, v14
	v_cndmask_b32_e32 v15, v12, v15, vcc
	ds_bpermute_b32 v43, v19, v15
	v_cmp_gt_u32_e64 s[6:7], v20, v14
	v_cmp_gt_u32_e64 s[8:9], v37, v14
	;; [unrolled: 1-line block ×3, first 2 shown]
	v_subrev_u32_e32 v8, 64, v8
	s_waitcnt lgkmcnt(0)
	v_add_f32_e32 v43, v15, v43
	v_cndmask_b32_e64 v15, v43, v15, s[6:7]
	ds_bpermute_b32 v43, v21, v15
	v_cmp_gt_u32_e64 s[6:7], v35, v14
	v_cndmask_b32_e32 v12, v12, v15, vcc
	v_cmp_gt_u32_e32 vcc, v42, v14
	s_waitcnt lgkmcnt(0)
	v_add_f32_e32 v43, v15, v43
	v_cndmask_b32_e64 v44, v43, v15, s[6:7]
	ds_bpermute_b32 v45, v36, v44
	v_cndmask_b32_e64 v12, v43, v12, s[6:7]
	s_waitcnt lgkmcnt(0)
	v_add_f32_e32 v45, v44, v45
	v_cndmask_b32_e64 v44, v45, v44, s[8:9]
	ds_bpermute_b32 v46, v38, v44
	v_cndmask_b32_e64 v12, v45, v12, s[8:9]
	;; [unrolled: 5-line block ×3, first 2 shown]
	s_waitcnt lgkmcnt(0)
	v_add_f32_e32 v15, v44, v47
	v_cndmask_b32_e32 v12, v15, v12, vcc
	v_add_f32_e32 v12, v40, v12
.LBB4306_52:                            ; =>This Loop Header: Depth=1
                                        ;     Child Loop BB4306_55 Depth 2
                                        ;       Child Loop BB4306_56 Depth 3
	v_cmp_ne_u16_sdwa s[6:7], v13, v7 src0_sel:BYTE_0 src1_sel:DWORD
	v_cndmask_b32_e64 v13, 0, 1, s[6:7]
	;;#ASMSTART
	;;#ASMEND
	v_cmp_ne_u32_e32 vcc, 0, v13
	s_cmp_lg_u64 vcc, exec
	v_mov_b32_e32 v40, v12
	s_cbranch_scc1 .LBB4306_59
; %bb.53:                               ;   in Loop: Header=BB4306_52 Depth=1
	v_lshlrev_b64 v[12:13], 3, v[8:9]
	v_mov_b32_e32 v15, s15
	v_add_co_u32_e32 v14, vcc, s14, v12
	v_addc_co_u32_e32 v15, vcc, v15, v13, vcc
	global_load_dwordx2 v[12:13], v[14:15], off glc
	s_waitcnt vmcnt(0)
	v_cmp_eq_u16_sdwa s[8:9], v13, v9 src0_sel:BYTE_0 src1_sel:DWORD
	s_and_saveexec_b64 s[6:7], s[8:9]
	s_cbranch_execz .LBB4306_51
; %bb.54:                               ;   in Loop: Header=BB4306_52 Depth=1
	s_mov_b32 s10, 1
	s_mov_b64 s[8:9], 0
.LBB4306_55:                            ;   Parent Loop BB4306_52 Depth=1
                                        ; =>  This Loop Header: Depth=2
                                        ;       Child Loop BB4306_56 Depth 3
	s_max_u32 s11, s10, 1
.LBB4306_56:                            ;   Parent Loop BB4306_52 Depth=1
                                        ;     Parent Loop BB4306_55 Depth=2
                                        ; =>    This Inner Loop Header: Depth=3
	s_add_i32 s11, s11, -1
	s_cmp_eq_u32 s11, 0
	s_sleep 1
	s_cbranch_scc0 .LBB4306_56
; %bb.57:                               ;   in Loop: Header=BB4306_55 Depth=2
	global_load_dwordx2 v[12:13], v[14:15], off glc
	s_cmp_lt_u32 s10, 32
	s_cselect_b64 s[12:13], -1, 0
	s_cmp_lg_u64 s[12:13], 0
	s_addc_u32 s10, s10, 0
	s_waitcnt vmcnt(0)
	v_cmp_ne_u16_sdwa s[12:13], v13, v9 src0_sel:BYTE_0 src1_sel:DWORD
	s_or_b64 s[8:9], s[12:13], s[8:9]
	s_andn2_b64 exec, exec, s[8:9]
	s_cbranch_execnz .LBB4306_55
; %bb.58:                               ;   in Loop: Header=BB4306_52 Depth=1
	s_or_b64 exec, exec, s[8:9]
	s_branch .LBB4306_51
.LBB4306_59:                            ;   in Loop: Header=BB4306_52 Depth=1
                                        ; implicit-def: $vgpr12
                                        ; implicit-def: $vgpr13
	s_cbranch_execz .LBB4306_52
; %bb.60:
	s_and_saveexec_b64 s[6:7], s[4:5]
	s_cbranch_execz .LBB4306_62
; %bb.61:
	s_add_i32 s4, s37, 64
	s_mov_b32 s5, 0
	s_lshl_b64 s[4:5], s[4:5], 3
	s_add_u32 s4, s14, s4
	v_add_f32_e32 v6, v6, v40
	v_mov_b32_e32 v7, 2
	s_addc_u32 s5, s15, s5
	v_mov_b32_e32 v8, 0
	global_store_dwordx2 v8, v[6:7], s[4:5]
.LBB4306_62:
	s_or_b64 exec, exec, s[6:7]
	s_and_b64 exec, exec, s[2:3]
	s_cbranch_execz .LBB4306_64
; %bb.63:
	v_mov_b32_e32 v6, 0
	ds_write_b32 v6, v40
.LBB4306_64:
	s_or_b64 exec, exec, s[34:35]
	v_mov_b32_e32 v6, 0
	s_waitcnt lgkmcnt(0)
	s_barrier
	ds_read_b32 v6, v6
	v_add_f32_e32 v7, v2, v16
	v_cndmask_b32_e64 v7, v7, v2, s[2:3]
	s_waitcnt lgkmcnt(0)
	v_add_f32_e32 v6, v7, v6
	v_add_f32_e32 v7, v3, v6
	;; [unrolled: 1-line block ×14, first 2 shown]
	s_branch .LBB4306_77
.LBB4306_65:
                                        ; implicit-def: $vgpr6_vgpr7_vgpr8_vgpr9_vgpr10_vgpr11_vgpr12_vgpr13_vgpr14_vgpr15_vgpr16_vgpr17_vgpr18_vgpr19_vgpr20_vgpr21
	s_cbranch_execz .LBB4306_77
; %bb.66:
	s_cmp_lg_u64 s[20:21], 0
	s_cselect_b64 s[4:5], -1, 0
	s_and_b64 s[6:7], s[2:3], s[4:5]
	s_and_saveexec_b64 s[4:5], s[6:7]
	s_cbranch_execz .LBB4306_68
; %bb.67:
	v_mov_b32_e32 v6, 0
	global_load_dword v6, v6, s[16:17]
	s_waitcnt vmcnt(0)
	v_add_f32_e32 v2, v2, v6
.LBB4306_68:
	s_or_b64 exec, exec, s[4:5]
	v_add_f32_e32 v16, v2, v3
	v_add_f32_e32 v17, v4, v16
	;; [unrolled: 1-line block ×13, first 2 shown]
	v_add_lshl_u32 v1, v1, v0, 2
	v_cmp_gt_u32_e32 vcc, 64, v0
	ds_write_b32 v1, v15
	s_waitcnt lgkmcnt(0)
	s_barrier
	s_and_saveexec_b64 s[8:9], vcc
	s_cbranch_execz .LBB4306_70
; %bb.69:
	v_lshlrev_b32_e32 v1, 1, v0
	v_lshrrev_b32_e32 v19, 4, v0
	v_add_lshl_u32 v1, v19, v1, 2
	ds_read2_b32 v[20:21], v1 offset1:1
	v_mbcnt_lo_u32_b32 v19, -1, 0
	v_mbcnt_hi_u32_b32 v19, -1, v19
	v_and_b32_e32 v35, 15, v19
	v_cmp_eq_u32_e32 vcc, 0, v35
	s_waitcnt lgkmcnt(0)
	v_add_f32_e32 v21, v20, v21
	v_cmp_lt_u32_e64 s[4:5], 3, v35
	v_cmp_lt_u32_e64 s[6:7], 31, v19
	v_mov_b32_dpp v36, v21 row_shr:1 row_mask:0xf bank_mask:0xf
	v_add_f32_e32 v36, v21, v36
	v_cndmask_b32_e32 v21, v36, v21, vcc
	v_cmp_lt_u32_e32 vcc, 1, v35
	s_nop 0
	v_mov_b32_dpp v36, v21 row_shr:2 row_mask:0xf bank_mask:0xf
	v_add_f32_e32 v36, v21, v36
	v_cndmask_b32_e32 v36, v21, v36, vcc
	; wave barrier
	s_nop 1
	v_mov_b32_dpp v37, v36 row_shr:4 row_mask:0xf bank_mask:0xf
	v_add_f32_e32 v37, v36, v37
	v_cndmask_b32_e64 v36, v36, v37, s[4:5]
	v_cmp_lt_u32_e64 s[4:5], 7, v35
	s_nop 0
	v_mov_b32_dpp v37, v36 row_shr:8 row_mask:0xf bank_mask:0xf
	v_add_f32_e32 v37, v36, v37
	v_cndmask_b32_e64 v35, v36, v37, s[4:5]
	v_and_b32_e32 v37, 16, v19
	v_cmp_eq_u32_e64 s[4:5], 0, v37
	v_mov_b32_dpp v36, v35 row_bcast:15 row_mask:0xf bank_mask:0xf
	v_add_f32_e32 v36, v35, v36
	v_cndmask_b32_e64 v35, v36, v35, s[4:5]
	v_cmp_lt_u32_e64 s[4:5], 15, v19
	s_or_b64 vcc, s[4:5], vcc
	v_mov_b32_dpp v36, v35 row_bcast:31 row_mask:0xf bank_mask:0xf
	v_add_f32_e32 v36, v35, v36
	v_cndmask_b32_e64 v35, v35, v36, s[6:7]
	v_cndmask_b32_e32 v21, v21, v35, vcc
	v_add_u32_e32 v35, -1, v19
	v_and_b32_e32 v36, 64, v19
	v_cmp_lt_i32_e32 vcc, v35, v36
	v_cndmask_b32_e32 v19, v35, v19, vcc
	v_lshlrev_b32_e32 v19, 2, v19
	ds_bpermute_b32 v19, v19, v21
	s_waitcnt lgkmcnt(0)
	v_add_f32_e32 v19, v20, v19
	v_cndmask_b32_e64 v19, v19, v15, s[2:3]
	ds_write_b32 v1, v19
	; wave barrier
	ds_read_b32 v20, v1 offset:4
	s_waitcnt lgkmcnt(0)
	v_add_f32_e32 v19, v19, v20
	ds_write_b32 v1, v19 offset:4
.LBB4306_70:
	s_or_b64 exec, exec, s[8:9]
	v_mov_b32_e32 v1, v15
	s_waitcnt lgkmcnt(0)
	s_barrier
	s_and_saveexec_b64 s[2:3], s[0:1]
	s_cbranch_execz .LBB4306_72
; %bb.71:
	v_add_u32_e32 v1, -1, v0
	v_lshrrev_b32_e32 v19, 5, v1
	v_add_lshl_u32 v1, v19, v1, 2
	ds_read_b32 v1, v1
.LBB4306_72:
	s_or_b64 exec, exec, s[2:3]
	s_and_saveexec_b64 s[2:3], s[0:1]
	s_cbranch_execz .LBB4306_74
; %bb.73:
	s_waitcnt lgkmcnt(0)
	v_add_f32_e32 v2, v2, v1
	v_add_f32_e32 v16, v3, v2
	;; [unrolled: 1-line block ×14, first 2 shown]
	;;#ASMSTART
	;;#ASMEND
.LBB4306_74:
	s_or_b64 exec, exec, s[2:3]
	s_movk_i32 s0, 0x7f
	v_cmp_eq_u32_e32 vcc, s0, v0
	s_and_saveexec_b64 s[0:1], vcc
	s_cbranch_execz .LBB4306_76
; %bb.75:
	s_waitcnt lgkmcnt(0)
	v_mov_b32_e32 v1, 0
	v_mov_b32_e32 v5, 2
	;; [unrolled: 1-line block ×3, first 2 shown]
	global_store_dwordx2 v1, v[4:5], s[14:15] offset:512
.LBB4306_76:
	s_or_b64 exec, exec, s[0:1]
	v_mov_b32_e32 v3, v16
	v_mov_b32_e32 v4, v17
	;; [unrolled: 1-line block ×3, first 2 shown]
	v_pk_mov_b32 v[20:21], v[16:17], v[16:17] op_sel:[0,1]
	v_pk_mov_b32 v[18:19], v[14:15], v[14:15] op_sel:[0,1]
	;; [unrolled: 1-line block ×8, first 2 shown]
.LBB4306_77:
	s_add_u32 s0, s28, s26
	s_addc_u32 s1, s29, s27
	s_add_u32 s2, s0, s30
	s_addc_u32 s3, s1, s31
	s_mov_b64 s[0:1], -1
	s_and_b64 vcc, exec, s[24:25]
	s_waitcnt lgkmcnt(0)
	s_barrier
	s_cbranch_vccz .LBB4306_79
; %bb.78:
	ds_write2_b64 v34, v[6:7], v[8:9] offset1:1
	ds_write2_b64 v34, v[10:11], v[12:13] offset0:2 offset1:3
	ds_write2_b64 v34, v[14:15], v[16:17] offset0:4 offset1:5
	ds_write_b64 v34, v[18:19] offset:48
	s_waitcnt lgkmcnt(0)
	s_barrier
	ds_read2st64_b32 v[2:3], v32 offset1:2
	ds_read2st64_b32 v[4:5], v32 offset0:4 offset1:6
	ds_read2st64_b32 v[20:21], v32 offset0:8 offset1:10
	;; [unrolled: 1-line block ×6, first 2 shown]
	v_mov_b32_e32 v1, s3
	v_add_co_u32_e32 v30, vcc, s2, v32
	v_addc_co_u32_e32 v31, vcc, 0, v1, vcc
	s_waitcnt lgkmcnt(6)
	flat_store_dword v[30:31], v2
	flat_store_dword v[30:31], v3 offset:512
	s_waitcnt lgkmcnt(0)
	flat_store_dword v[30:31], v4 offset:1024
	flat_store_dword v[30:31], v5 offset:1536
	flat_store_dword v[30:31], v20 offset:2048
	flat_store_dword v[30:31], v21 offset:2560
	flat_store_dword v[30:31], v22 offset:3072
	flat_store_dword v[30:31], v23 offset:3584
	v_add_co_u32_e32 v2, vcc, 0x1000, v30
	v_addc_co_u32_e32 v3, vcc, 0, v31, vcc
	flat_store_dword v[2:3], v24
	flat_store_dword v[2:3], v25 offset:512
	flat_store_dword v[2:3], v26 offset:1024
	;; [unrolled: 1-line block ×5, first 2 shown]
	s_mov_b64 s[0:1], 0
.LBB4306_79:
	s_andn2_b64 vcc, exec, s[0:1]
	s_cbranch_vccnz .LBB4306_159
; %bb.80:
	s_movk_i32 s0, 0xffcc
	ds_write2_b64 v34, v[6:7], v[8:9] offset1:1
	ds_write2_b64 v34, v[10:11], v[12:13] offset0:2 offset1:3
	ds_write2_b64 v34, v[14:15], v[16:17] offset0:4 offset1:5
	ds_write_b64 v34, v[18:19] offset:48
	v_mad_i32_i24 v14, v0, s0, v34
	s_waitcnt lgkmcnt(0)
	s_barrier
	ds_read2st64_b32 v[4:5], v14 offset1:2
	ds_read2st64_b32 v[6:7], v14 offset0:4 offset1:6
	ds_read2st64_b32 v[8:9], v14 offset0:8 offset1:10
	;; [unrolled: 1-line block ×6, first 2 shown]
	v_mov_b32_e32 v17, s3
	v_add_co_u32_e32 v16, vcc, s2, v32
	v_addc_co_u32_e32 v17, vcc, 0, v17, vcc
	v_mov_b32_e32 v1, 0
	v_cmp_gt_u32_e32 vcc, s33, v0
	s_and_saveexec_b64 s[0:1], vcc
	s_cbranch_execz .LBB4306_82
; %bb.81:
	s_waitcnt lgkmcnt(0)
	flat_store_dword v[16:17], v4
.LBB4306_82:
	s_or_b64 exec, exec, s[0:1]
	v_or_b32_e32 v18, 0x80, v0
	v_cmp_gt_u32_e32 vcc, s33, v18
	s_and_saveexec_b64 s[0:1], vcc
	s_cbranch_execz .LBB4306_84
; %bb.83:
	s_waitcnt lgkmcnt(0)
	flat_store_dword v[16:17], v5 offset:512
.LBB4306_84:
	s_or_b64 exec, exec, s[0:1]
	v_or_b32_e32 v18, 0x100, v0
	v_cmp_gt_u32_e32 vcc, s33, v18
	s_and_saveexec_b64 s[0:1], vcc
	s_cbranch_execz .LBB4306_86
; %bb.85:
	s_waitcnt lgkmcnt(0)
	flat_store_dword v[16:17], v6 offset:1024
.LBB4306_86:
	s_or_b64 exec, exec, s[0:1]
	v_or_b32_e32 v18, 0x180, v0
	v_cmp_gt_u32_e32 vcc, s33, v18
	s_and_saveexec_b64 s[0:1], vcc
	s_cbranch_execz .LBB4306_88
; %bb.87:
	s_waitcnt lgkmcnt(0)
	flat_store_dword v[16:17], v7 offset:1536
.LBB4306_88:
	s_or_b64 exec, exec, s[0:1]
	v_or_b32_e32 v18, 0x200, v0
	v_cmp_gt_u32_e32 vcc, s33, v18
	s_and_saveexec_b64 s[0:1], vcc
	s_cbranch_execz .LBB4306_90
; %bb.89:
	s_waitcnt lgkmcnt(0)
	flat_store_dword v[16:17], v8 offset:2048
.LBB4306_90:
	s_or_b64 exec, exec, s[0:1]
	v_or_b32_e32 v18, 0x280, v0
	v_cmp_gt_u32_e32 vcc, s33, v18
	s_and_saveexec_b64 s[0:1], vcc
	s_cbranch_execz .LBB4306_92
; %bb.91:
	s_waitcnt lgkmcnt(0)
	flat_store_dword v[16:17], v9 offset:2560
.LBB4306_92:
	s_or_b64 exec, exec, s[0:1]
	v_or_b32_e32 v18, 0x300, v0
	v_cmp_gt_u32_e32 vcc, s33, v18
	s_and_saveexec_b64 s[0:1], vcc
	s_cbranch_execz .LBB4306_94
; %bb.93:
	s_waitcnt lgkmcnt(0)
	flat_store_dword v[16:17], v2 offset:3072
.LBB4306_94:
	s_or_b64 exec, exec, s[0:1]
	v_or_b32_e32 v18, 0x380, v0
	v_cmp_gt_u32_e32 vcc, s33, v18
	s_and_saveexec_b64 s[0:1], vcc
	s_cbranch_execz .LBB4306_96
; %bb.95:
	s_waitcnt lgkmcnt(0)
	flat_store_dword v[16:17], v3 offset:3584
.LBB4306_96:
	s_or_b64 exec, exec, s[0:1]
	v_or_b32_e32 v18, 0x400, v0
	v_cmp_gt_u32_e32 vcc, s33, v18
	s_and_saveexec_b64 s[0:1], vcc
	s_cbranch_execz .LBB4306_98
; %bb.97:
	v_add_co_u32_e32 v18, vcc, 0x1000, v16
	v_addc_co_u32_e32 v19, vcc, 0, v17, vcc
	s_waitcnt lgkmcnt(0)
	flat_store_dword v[18:19], v12
.LBB4306_98:
	s_or_b64 exec, exec, s[0:1]
	v_or_b32_e32 v18, 0x480, v0
	v_cmp_gt_u32_e32 vcc, s33, v18
	s_and_saveexec_b64 s[0:1], vcc
	s_cbranch_execz .LBB4306_100
; %bb.99:
	v_add_co_u32_e32 v18, vcc, 0x1000, v16
	v_addc_co_u32_e32 v19, vcc, 0, v17, vcc
	s_waitcnt lgkmcnt(0)
	flat_store_dword v[18:19], v13 offset:512
.LBB4306_100:
	s_or_b64 exec, exec, s[0:1]
	v_or_b32_e32 v18, 0x500, v0
	v_cmp_gt_u32_e32 vcc, s33, v18
	s_and_saveexec_b64 s[0:1], vcc
	s_cbranch_execz .LBB4306_102
; %bb.101:
	v_add_co_u32_e32 v18, vcc, 0x1000, v16
	v_addc_co_u32_e32 v19, vcc, 0, v17, vcc
	s_waitcnt lgkmcnt(0)
	flat_store_dword v[18:19], v10 offset:1024
.LBB4306_102:
	;; [unrolled: 11-line block ×5, first 2 shown]
	s_or_b64 exec, exec, s[0:1]
	v_cmp_lt_u64_e64 s[0:1], s[22:23], 2
	s_and_b64 vcc, exec, s[0:1]
	s_cbranch_vccnz .LBB4306_159
; %bb.109:
	s_add_u32 s0, s33, -1
	s_addc_u32 s1, s36, -1
	s_add_u32 s2, 0, 0x49240800
	s_addc_u32 s3, 0, 50
	s_add_i32 s3, s3, 0x12492460
	s_mul_hi_u32 s7, s2, -14
	s_sub_i32 s7, s7, s2
	s_mul_i32 s8, s3, -14
	s_mul_i32 s4, s2, -14
	s_add_i32 s7, s7, s8
	s_mul_hi_u32 s5, s3, s4
	s_mul_i32 s6, s3, s4
	s_mul_i32 s9, s2, s7
	s_mul_hi_u32 s4, s2, s4
	s_mul_hi_u32 s8, s2, s7
	s_add_u32 s4, s4, s9
	s_addc_u32 s8, 0, s8
	s_add_u32 s4, s4, s6
	s_mul_hi_u32 s9, s3, s7
	s_addc_u32 s4, s8, s5
	s_addc_u32 s5, s9, 0
	s_mul_i32 s6, s3, s7
	s_add_u32 s4, s4, s6
	v_mov_b32_e32 v16, s4
	s_addc_u32 s5, 0, s5
	v_add_co_u32_e32 v16, vcc, s2, v16
	s_cmp_lg_u64 vcc, 0
	s_addc_u32 s2, s3, s5
	v_readfirstlane_b32 s5, v16
	s_mul_i32 s4, s0, s2
	s_mul_hi_u32 s6, s0, s5
	s_mul_hi_u32 s3, s0, s2
	s_add_u32 s4, s6, s4
	s_addc_u32 s3, 0, s3
	s_mul_hi_u32 s7, s1, s5
	s_mul_i32 s5, s1, s5
	s_add_u32 s4, s4, s5
	s_mul_hi_u32 s6, s1, s2
	s_addc_u32 s3, s3, s7
	s_addc_u32 s4, s6, 0
	s_mul_i32 s2, s1, s2
	s_add_u32 s2, s3, s2
	s_addc_u32 s3, 0, s4
	s_add_u32 s4, s2, 1
	s_addc_u32 s5, s3, 0
	s_add_u32 s6, s2, 2
	s_mul_i32 s8, s3, 14
	s_mul_hi_u32 s9, s2, 14
	s_addc_u32 s7, s3, 0
	s_add_i32 s9, s9, s8
	s_mul_i32 s8, s2, 14
	v_mov_b32_e32 v16, s8
	v_sub_co_u32_e32 v16, vcc, s0, v16
	s_cmp_lg_u64 vcc, 0
	s_subb_u32 s8, s1, s9
	v_subrev_co_u32_e32 v17, vcc, 14, v16
	s_cmp_lg_u64 vcc, 0
	s_subb_u32 s9, s8, 0
	v_readfirstlane_b32 s10, v17
	s_cmp_gt_u32 s10, 13
	s_cselect_b32 s10, -1, 0
	s_cmp_eq_u32 s9, 0
	s_cselect_b32 s9, s10, -1
	s_cmp_lg_u32 s9, 0
	s_cselect_b32 s4, s6, s4
	v_readfirstlane_b32 s6, v16
	s_cselect_b32 s5, s7, s5
	s_cmp_gt_u32 s6, 13
	s_cselect_b32 s6, -1, 0
	s_cmp_eq_u32 s8, 0
	s_cselect_b32 s6, s6, -1
	s_cmp_lg_u32 s6, 0
	s_cselect_b32 s3, s5, s3
	s_cselect_b32 s2, s4, s2
	v_cmp_eq_u64_e32 vcc, s[2:3], v[0:1]
	s_and_saveexec_b64 s[2:3], vcc
	s_cbranch_execz .LBB4306_159
; %bb.110:
	v_mul_hi_u32_u24_e32 v1, 14, v0
	v_mov_b32_e32 v16, s1
	v_sub_co_u32_e32 v0, vcc, s0, v33
	v_subb_co_u32_e32 v1, vcc, v16, v1, vcc
	v_cmp_lt_i64_e32 vcc, 6, v[0:1]
	s_and_saveexec_b64 s[0:1], vcc
	s_xor_b64 s[0:1], exec, s[0:1]
	s_cbranch_execz .LBB4306_136
; %bb.111:
	v_cmp_lt_i64_e32 vcc, 9, v[0:1]
	s_and_saveexec_b64 s[2:3], vcc
	s_xor_b64 s[2:3], exec, s[2:3]
	s_cbranch_execz .LBB4306_125
; %bb.112:
	;; [unrolled: 5-line block ×4, first 2 shown]
	v_mov_b32_e32 v0, 0
	s_waitcnt lgkmcnt(0)
	global_store_dword v0, v15, s[18:19]
                                        ; implicit-def: $vgpr14_vgpr15
.LBB4306_115:
	s_andn2_saveexec_b64 s[6:7], s[6:7]
	s_cbranch_execz .LBB4306_117
; %bb.116:
	v_mov_b32_e32 v0, 0
	s_waitcnt lgkmcnt(0)
	global_store_dword v0, v14, s[18:19]
.LBB4306_117:
	s_or_b64 exec, exec, s[6:7]
                                        ; implicit-def: $vgpr10_vgpr11
                                        ; implicit-def: $vgpr0_vgpr1
.LBB4306_118:
	s_andn2_saveexec_b64 s[4:5], s[4:5]
	s_cbranch_execz .LBB4306_124
; %bb.119:
	v_cmp_lt_i64_e32 vcc, 10, v[0:1]
	s_and_saveexec_b64 s[6:7], vcc
	s_xor_b64 s[6:7], exec, s[6:7]
	s_cbranch_execz .LBB4306_121
; %bb.120:
	v_mov_b32_e32 v0, 0
	s_waitcnt lgkmcnt(0)
	global_store_dword v0, v11, s[18:19]
                                        ; implicit-def: $vgpr10_vgpr11
.LBB4306_121:
	s_andn2_saveexec_b64 s[6:7], s[6:7]
	s_cbranch_execz .LBB4306_123
; %bb.122:
	v_mov_b32_e32 v0, 0
	s_waitcnt lgkmcnt(0)
	global_store_dword v0, v10, s[18:19]
.LBB4306_123:
	s_or_b64 exec, exec, s[6:7]
.LBB4306_124:
	s_or_b64 exec, exec, s[4:5]
                                        ; implicit-def: $vgpr2_vgpr3
                                        ; implicit-def: $vgpr0_vgpr1
                                        ; implicit-def: $vgpr12_vgpr13
.LBB4306_125:
	s_andn2_saveexec_b64 s[2:3], s[2:3]
	s_cbranch_execz .LBB4306_135
; %bb.126:
	v_cmp_lt_i64_e32 vcc, 7, v[0:1]
	s_and_saveexec_b64 s[4:5], vcc
	s_xor_b64 s[4:5], exec, s[4:5]
	s_cbranch_execz .LBB4306_132
; %bb.127:
	v_cmp_lt_i64_e32 vcc, 8, v[0:1]
	s_and_saveexec_b64 s[6:7], vcc
	s_xor_b64 s[6:7], exec, s[6:7]
	s_cbranch_execz .LBB4306_129
; %bb.128:
	v_mov_b32_e32 v0, 0
	s_waitcnt lgkmcnt(0)
	global_store_dword v0, v13, s[18:19]
                                        ; implicit-def: $vgpr12_vgpr13
.LBB4306_129:
	s_andn2_saveexec_b64 s[6:7], s[6:7]
	s_cbranch_execz .LBB4306_131
; %bb.130:
	v_mov_b32_e32 v0, 0
	s_waitcnt lgkmcnt(0)
	global_store_dword v0, v12, s[18:19]
.LBB4306_131:
	s_or_b64 exec, exec, s[6:7]
                                        ; implicit-def: $vgpr2_vgpr3
.LBB4306_132:
	s_andn2_saveexec_b64 s[4:5], s[4:5]
	s_cbranch_execz .LBB4306_134
; %bb.133:
	v_mov_b32_e32 v0, 0
	s_waitcnt lgkmcnt(0)
	global_store_dword v0, v3, s[18:19]
.LBB4306_134:
	s_or_b64 exec, exec, s[4:5]
.LBB4306_135:
	s_or_b64 exec, exec, s[2:3]
                                        ; implicit-def: $vgpr0_vgpr1
                                        ; implicit-def: $vgpr8_vgpr9
                                        ; implicit-def: $vgpr4_vgpr5
                                        ; implicit-def: $vgpr6_vgpr7
                                        ; implicit-def: $vgpr2_vgpr3
.LBB4306_136:
	s_andn2_saveexec_b64 s[0:1], s[0:1]
	s_cbranch_execz .LBB4306_159
; %bb.137:
	v_cmp_lt_i64_e32 vcc, 3, v[0:1]
	s_and_saveexec_b64 s[0:1], vcc
	s_xor_b64 s[0:1], exec, s[0:1]
	s_cbranch_execz .LBB4306_147
; %bb.138:
	v_cmp_lt_i64_e32 vcc, 4, v[0:1]
	s_and_saveexec_b64 s[2:3], vcc
	s_xor_b64 s[2:3], exec, s[2:3]
	;; [unrolled: 5-line block ×3, first 2 shown]
	s_cbranch_execz .LBB4306_141
; %bb.140:
	v_mov_b32_e32 v0, 0
	s_waitcnt lgkmcnt(0)
	global_store_dword v0, v2, s[18:19]
                                        ; implicit-def: $vgpr8_vgpr9
.LBB4306_141:
	s_andn2_saveexec_b64 s[4:5], s[4:5]
	s_cbranch_execz .LBB4306_143
; %bb.142:
	v_mov_b32_e32 v0, 0
	s_waitcnt lgkmcnt(0)
	global_store_dword v0, v9, s[18:19]
.LBB4306_143:
	s_or_b64 exec, exec, s[4:5]
                                        ; implicit-def: $vgpr8_vgpr9
.LBB4306_144:
	s_andn2_saveexec_b64 s[2:3], s[2:3]
	s_cbranch_execz .LBB4306_146
; %bb.145:
	v_mov_b32_e32 v0, 0
	s_waitcnt lgkmcnt(0)
	global_store_dword v0, v8, s[18:19]
.LBB4306_146:
	s_or_b64 exec, exec, s[2:3]
                                        ; implicit-def: $vgpr0_vgpr1
                                        ; implicit-def: $vgpr4_vgpr5
                                        ; implicit-def: $vgpr6_vgpr7
.LBB4306_147:
	s_andn2_saveexec_b64 s[0:1], s[0:1]
	s_cbranch_execz .LBB4306_159
; %bb.148:
	v_cmp_lt_i64_e32 vcc, 1, v[0:1]
	s_and_saveexec_b64 s[0:1], vcc
	s_xor_b64 s[0:1], exec, s[0:1]
	s_cbranch_execz .LBB4306_154
; %bb.149:
	v_cmp_lt_i64_e32 vcc, 2, v[0:1]
	s_and_saveexec_b64 s[2:3], vcc
	s_xor_b64 s[2:3], exec, s[2:3]
	s_cbranch_execz .LBB4306_151
; %bb.150:
	v_mov_b32_e32 v0, 0
	s_waitcnt lgkmcnt(0)
	global_store_dword v0, v7, s[18:19]
                                        ; implicit-def: $vgpr6_vgpr7
.LBB4306_151:
	s_andn2_saveexec_b64 s[2:3], s[2:3]
	s_cbranch_execz .LBB4306_153
; %bb.152:
	v_mov_b32_e32 v0, 0
	s_waitcnt lgkmcnt(0)
	global_store_dword v0, v6, s[18:19]
.LBB4306_153:
	s_or_b64 exec, exec, s[2:3]
                                        ; implicit-def: $vgpr4_vgpr5
                                        ; implicit-def: $vgpr0_vgpr1
.LBB4306_154:
	s_andn2_saveexec_b64 s[0:1], s[0:1]
	s_cbranch_execz .LBB4306_159
; %bb.155:
	v_cmp_ne_u64_e32 vcc, 1, v[0:1]
	s_and_saveexec_b64 s[0:1], vcc
	s_xor_b64 s[0:1], exec, s[0:1]
	s_cbranch_execz .LBB4306_157
; %bb.156:
	v_mov_b32_e32 v0, 0
	s_waitcnt lgkmcnt(0)
	global_store_dword v0, v4, s[18:19]
                                        ; implicit-def: $vgpr4_vgpr5
.LBB4306_157:
	s_andn2_saveexec_b64 s[0:1], s[0:1]
	s_cbranch_execz .LBB4306_159
; %bb.158:
	v_mov_b32_e32 v0, 0
	s_waitcnt lgkmcnt(0)
	global_store_dword v0, v5, s[18:19]
.LBB4306_159:
	s_endpgm
	.section	.rodata,"a",@progbits
	.p2align	6, 0x0
	.amdhsa_kernel _ZN7rocprim17ROCPRIM_400000_NS6detail17trampoline_kernelINS0_14default_configENS1_20scan_config_selectorIfEEZZNS1_9scan_implILNS1_25lookback_scan_determinismE0ELb0ELb0ES3_N6thrust23THRUST_200600_302600_NS6detail15normal_iteratorINS9_10device_ptrIfEEEESE_fNS9_4plusIvEEfEEDaPvRmT3_T4_T5_mT6_P12ihipStream_tbENKUlT_T0_E_clISt17integral_constantIbLb1EESU_EEDaSP_SQ_EUlSP_E_NS1_11comp_targetILNS1_3genE4ELNS1_11target_archE910ELNS1_3gpuE8ELNS1_3repE0EEENS1_30default_config_static_selectorELNS0_4arch9wavefront6targetE1EEEvT1_
		.amdhsa_group_segment_fixed_size 7168
		.amdhsa_private_segment_fixed_size 0
		.amdhsa_kernarg_size 96
		.amdhsa_user_sgpr_count 6
		.amdhsa_user_sgpr_private_segment_buffer 1
		.amdhsa_user_sgpr_dispatch_ptr 0
		.amdhsa_user_sgpr_queue_ptr 0
		.amdhsa_user_sgpr_kernarg_segment_ptr 1
		.amdhsa_user_sgpr_dispatch_id 0
		.amdhsa_user_sgpr_flat_scratch_init 0
		.amdhsa_user_sgpr_kernarg_preload_length 0
		.amdhsa_user_sgpr_kernarg_preload_offset 0
		.amdhsa_user_sgpr_private_segment_size 0
		.amdhsa_uses_dynamic_stack 0
		.amdhsa_system_sgpr_private_segment_wavefront_offset 0
		.amdhsa_system_sgpr_workgroup_id_x 1
		.amdhsa_system_sgpr_workgroup_id_y 0
		.amdhsa_system_sgpr_workgroup_id_z 0
		.amdhsa_system_sgpr_workgroup_info 0
		.amdhsa_system_vgpr_workitem_id 0
		.amdhsa_next_free_vgpr 48
		.amdhsa_next_free_sgpr 38
		.amdhsa_accum_offset 48
		.amdhsa_reserve_vcc 1
		.amdhsa_reserve_flat_scratch 0
		.amdhsa_float_round_mode_32 0
		.amdhsa_float_round_mode_16_64 0
		.amdhsa_float_denorm_mode_32 3
		.amdhsa_float_denorm_mode_16_64 3
		.amdhsa_dx10_clamp 1
		.amdhsa_ieee_mode 1
		.amdhsa_fp16_overflow 0
		.amdhsa_tg_split 0
		.amdhsa_exception_fp_ieee_invalid_op 0
		.amdhsa_exception_fp_denorm_src 0
		.amdhsa_exception_fp_ieee_div_zero 0
		.amdhsa_exception_fp_ieee_overflow 0
		.amdhsa_exception_fp_ieee_underflow 0
		.amdhsa_exception_fp_ieee_inexact 0
		.amdhsa_exception_int_div_zero 0
	.end_amdhsa_kernel
	.section	.text._ZN7rocprim17ROCPRIM_400000_NS6detail17trampoline_kernelINS0_14default_configENS1_20scan_config_selectorIfEEZZNS1_9scan_implILNS1_25lookback_scan_determinismE0ELb0ELb0ES3_N6thrust23THRUST_200600_302600_NS6detail15normal_iteratorINS9_10device_ptrIfEEEESE_fNS9_4plusIvEEfEEDaPvRmT3_T4_T5_mT6_P12ihipStream_tbENKUlT_T0_E_clISt17integral_constantIbLb1EESU_EEDaSP_SQ_EUlSP_E_NS1_11comp_targetILNS1_3genE4ELNS1_11target_archE910ELNS1_3gpuE8ELNS1_3repE0EEENS1_30default_config_static_selectorELNS0_4arch9wavefront6targetE1EEEvT1_,"axG",@progbits,_ZN7rocprim17ROCPRIM_400000_NS6detail17trampoline_kernelINS0_14default_configENS1_20scan_config_selectorIfEEZZNS1_9scan_implILNS1_25lookback_scan_determinismE0ELb0ELb0ES3_N6thrust23THRUST_200600_302600_NS6detail15normal_iteratorINS9_10device_ptrIfEEEESE_fNS9_4plusIvEEfEEDaPvRmT3_T4_T5_mT6_P12ihipStream_tbENKUlT_T0_E_clISt17integral_constantIbLb1EESU_EEDaSP_SQ_EUlSP_E_NS1_11comp_targetILNS1_3genE4ELNS1_11target_archE910ELNS1_3gpuE8ELNS1_3repE0EEENS1_30default_config_static_selectorELNS0_4arch9wavefront6targetE1EEEvT1_,comdat
.Lfunc_end4306:
	.size	_ZN7rocprim17ROCPRIM_400000_NS6detail17trampoline_kernelINS0_14default_configENS1_20scan_config_selectorIfEEZZNS1_9scan_implILNS1_25lookback_scan_determinismE0ELb0ELb0ES3_N6thrust23THRUST_200600_302600_NS6detail15normal_iteratorINS9_10device_ptrIfEEEESE_fNS9_4plusIvEEfEEDaPvRmT3_T4_T5_mT6_P12ihipStream_tbENKUlT_T0_E_clISt17integral_constantIbLb1EESU_EEDaSP_SQ_EUlSP_E_NS1_11comp_targetILNS1_3genE4ELNS1_11target_archE910ELNS1_3gpuE8ELNS1_3repE0EEENS1_30default_config_static_selectorELNS0_4arch9wavefront6targetE1EEEvT1_, .Lfunc_end4306-_ZN7rocprim17ROCPRIM_400000_NS6detail17trampoline_kernelINS0_14default_configENS1_20scan_config_selectorIfEEZZNS1_9scan_implILNS1_25lookback_scan_determinismE0ELb0ELb0ES3_N6thrust23THRUST_200600_302600_NS6detail15normal_iteratorINS9_10device_ptrIfEEEESE_fNS9_4plusIvEEfEEDaPvRmT3_T4_T5_mT6_P12ihipStream_tbENKUlT_T0_E_clISt17integral_constantIbLb1EESU_EEDaSP_SQ_EUlSP_E_NS1_11comp_targetILNS1_3genE4ELNS1_11target_archE910ELNS1_3gpuE8ELNS1_3repE0EEENS1_30default_config_static_selectorELNS0_4arch9wavefront6targetE1EEEvT1_
                                        ; -- End function
	.section	.AMDGPU.csdata,"",@progbits
; Kernel info:
; codeLenInByte = 5844
; NumSgprs: 42
; NumVgprs: 48
; NumAgprs: 0
; TotalNumVgprs: 48
; ScratchSize: 0
; MemoryBound: 0
; FloatMode: 240
; IeeeMode: 1
; LDSByteSize: 7168 bytes/workgroup (compile time only)
; SGPRBlocks: 5
; VGPRBlocks: 5
; NumSGPRsForWavesPerEU: 42
; NumVGPRsForWavesPerEU: 48
; AccumOffset: 48
; Occupancy: 5
; WaveLimiterHint : 1
; COMPUTE_PGM_RSRC2:SCRATCH_EN: 0
; COMPUTE_PGM_RSRC2:USER_SGPR: 6
; COMPUTE_PGM_RSRC2:TRAP_HANDLER: 0
; COMPUTE_PGM_RSRC2:TGID_X_EN: 1
; COMPUTE_PGM_RSRC2:TGID_Y_EN: 0
; COMPUTE_PGM_RSRC2:TGID_Z_EN: 0
; COMPUTE_PGM_RSRC2:TIDIG_COMP_CNT: 0
; COMPUTE_PGM_RSRC3_GFX90A:ACCUM_OFFSET: 11
; COMPUTE_PGM_RSRC3_GFX90A:TG_SPLIT: 0
	.section	.text._ZN7rocprim17ROCPRIM_400000_NS6detail17trampoline_kernelINS0_14default_configENS1_20scan_config_selectorIfEEZZNS1_9scan_implILNS1_25lookback_scan_determinismE0ELb0ELb0ES3_N6thrust23THRUST_200600_302600_NS6detail15normal_iteratorINS9_10device_ptrIfEEEESE_fNS9_4plusIvEEfEEDaPvRmT3_T4_T5_mT6_P12ihipStream_tbENKUlT_T0_E_clISt17integral_constantIbLb1EESU_EEDaSP_SQ_EUlSP_E_NS1_11comp_targetILNS1_3genE3ELNS1_11target_archE908ELNS1_3gpuE7ELNS1_3repE0EEENS1_30default_config_static_selectorELNS0_4arch9wavefront6targetE1EEEvT1_,"axG",@progbits,_ZN7rocprim17ROCPRIM_400000_NS6detail17trampoline_kernelINS0_14default_configENS1_20scan_config_selectorIfEEZZNS1_9scan_implILNS1_25lookback_scan_determinismE0ELb0ELb0ES3_N6thrust23THRUST_200600_302600_NS6detail15normal_iteratorINS9_10device_ptrIfEEEESE_fNS9_4plusIvEEfEEDaPvRmT3_T4_T5_mT6_P12ihipStream_tbENKUlT_T0_E_clISt17integral_constantIbLb1EESU_EEDaSP_SQ_EUlSP_E_NS1_11comp_targetILNS1_3genE3ELNS1_11target_archE908ELNS1_3gpuE7ELNS1_3repE0EEENS1_30default_config_static_selectorELNS0_4arch9wavefront6targetE1EEEvT1_,comdat
	.protected	_ZN7rocprim17ROCPRIM_400000_NS6detail17trampoline_kernelINS0_14default_configENS1_20scan_config_selectorIfEEZZNS1_9scan_implILNS1_25lookback_scan_determinismE0ELb0ELb0ES3_N6thrust23THRUST_200600_302600_NS6detail15normal_iteratorINS9_10device_ptrIfEEEESE_fNS9_4plusIvEEfEEDaPvRmT3_T4_T5_mT6_P12ihipStream_tbENKUlT_T0_E_clISt17integral_constantIbLb1EESU_EEDaSP_SQ_EUlSP_E_NS1_11comp_targetILNS1_3genE3ELNS1_11target_archE908ELNS1_3gpuE7ELNS1_3repE0EEENS1_30default_config_static_selectorELNS0_4arch9wavefront6targetE1EEEvT1_ ; -- Begin function _ZN7rocprim17ROCPRIM_400000_NS6detail17trampoline_kernelINS0_14default_configENS1_20scan_config_selectorIfEEZZNS1_9scan_implILNS1_25lookback_scan_determinismE0ELb0ELb0ES3_N6thrust23THRUST_200600_302600_NS6detail15normal_iteratorINS9_10device_ptrIfEEEESE_fNS9_4plusIvEEfEEDaPvRmT3_T4_T5_mT6_P12ihipStream_tbENKUlT_T0_E_clISt17integral_constantIbLb1EESU_EEDaSP_SQ_EUlSP_E_NS1_11comp_targetILNS1_3genE3ELNS1_11target_archE908ELNS1_3gpuE7ELNS1_3repE0EEENS1_30default_config_static_selectorELNS0_4arch9wavefront6targetE1EEEvT1_
	.globl	_ZN7rocprim17ROCPRIM_400000_NS6detail17trampoline_kernelINS0_14default_configENS1_20scan_config_selectorIfEEZZNS1_9scan_implILNS1_25lookback_scan_determinismE0ELb0ELb0ES3_N6thrust23THRUST_200600_302600_NS6detail15normal_iteratorINS9_10device_ptrIfEEEESE_fNS9_4plusIvEEfEEDaPvRmT3_T4_T5_mT6_P12ihipStream_tbENKUlT_T0_E_clISt17integral_constantIbLb1EESU_EEDaSP_SQ_EUlSP_E_NS1_11comp_targetILNS1_3genE3ELNS1_11target_archE908ELNS1_3gpuE7ELNS1_3repE0EEENS1_30default_config_static_selectorELNS0_4arch9wavefront6targetE1EEEvT1_
	.p2align	8
	.type	_ZN7rocprim17ROCPRIM_400000_NS6detail17trampoline_kernelINS0_14default_configENS1_20scan_config_selectorIfEEZZNS1_9scan_implILNS1_25lookback_scan_determinismE0ELb0ELb0ES3_N6thrust23THRUST_200600_302600_NS6detail15normal_iteratorINS9_10device_ptrIfEEEESE_fNS9_4plusIvEEfEEDaPvRmT3_T4_T5_mT6_P12ihipStream_tbENKUlT_T0_E_clISt17integral_constantIbLb1EESU_EEDaSP_SQ_EUlSP_E_NS1_11comp_targetILNS1_3genE3ELNS1_11target_archE908ELNS1_3gpuE7ELNS1_3repE0EEENS1_30default_config_static_selectorELNS0_4arch9wavefront6targetE1EEEvT1_,@function
_ZN7rocprim17ROCPRIM_400000_NS6detail17trampoline_kernelINS0_14default_configENS1_20scan_config_selectorIfEEZZNS1_9scan_implILNS1_25lookback_scan_determinismE0ELb0ELb0ES3_N6thrust23THRUST_200600_302600_NS6detail15normal_iteratorINS9_10device_ptrIfEEEESE_fNS9_4plusIvEEfEEDaPvRmT3_T4_T5_mT6_P12ihipStream_tbENKUlT_T0_E_clISt17integral_constantIbLb1EESU_EEDaSP_SQ_EUlSP_E_NS1_11comp_targetILNS1_3genE3ELNS1_11target_archE908ELNS1_3gpuE7ELNS1_3repE0EEENS1_30default_config_static_selectorELNS0_4arch9wavefront6targetE1EEEvT1_: ; @_ZN7rocprim17ROCPRIM_400000_NS6detail17trampoline_kernelINS0_14default_configENS1_20scan_config_selectorIfEEZZNS1_9scan_implILNS1_25lookback_scan_determinismE0ELb0ELb0ES3_N6thrust23THRUST_200600_302600_NS6detail15normal_iteratorINS9_10device_ptrIfEEEESE_fNS9_4plusIvEEfEEDaPvRmT3_T4_T5_mT6_P12ihipStream_tbENKUlT_T0_E_clISt17integral_constantIbLb1EESU_EEDaSP_SQ_EUlSP_E_NS1_11comp_targetILNS1_3genE3ELNS1_11target_archE908ELNS1_3gpuE7ELNS1_3repE0EEENS1_30default_config_static_selectorELNS0_4arch9wavefront6targetE1EEEvT1_
; %bb.0:
	.section	.rodata,"a",@progbits
	.p2align	6, 0x0
	.amdhsa_kernel _ZN7rocprim17ROCPRIM_400000_NS6detail17trampoline_kernelINS0_14default_configENS1_20scan_config_selectorIfEEZZNS1_9scan_implILNS1_25lookback_scan_determinismE0ELb0ELb0ES3_N6thrust23THRUST_200600_302600_NS6detail15normal_iteratorINS9_10device_ptrIfEEEESE_fNS9_4plusIvEEfEEDaPvRmT3_T4_T5_mT6_P12ihipStream_tbENKUlT_T0_E_clISt17integral_constantIbLb1EESU_EEDaSP_SQ_EUlSP_E_NS1_11comp_targetILNS1_3genE3ELNS1_11target_archE908ELNS1_3gpuE7ELNS1_3repE0EEENS1_30default_config_static_selectorELNS0_4arch9wavefront6targetE1EEEvT1_
		.amdhsa_group_segment_fixed_size 0
		.amdhsa_private_segment_fixed_size 0
		.amdhsa_kernarg_size 96
		.amdhsa_user_sgpr_count 6
		.amdhsa_user_sgpr_private_segment_buffer 1
		.amdhsa_user_sgpr_dispatch_ptr 0
		.amdhsa_user_sgpr_queue_ptr 0
		.amdhsa_user_sgpr_kernarg_segment_ptr 1
		.amdhsa_user_sgpr_dispatch_id 0
		.amdhsa_user_sgpr_flat_scratch_init 0
		.amdhsa_user_sgpr_kernarg_preload_length 0
		.amdhsa_user_sgpr_kernarg_preload_offset 0
		.amdhsa_user_sgpr_private_segment_size 0
		.amdhsa_uses_dynamic_stack 0
		.amdhsa_system_sgpr_private_segment_wavefront_offset 0
		.amdhsa_system_sgpr_workgroup_id_x 1
		.amdhsa_system_sgpr_workgroup_id_y 0
		.amdhsa_system_sgpr_workgroup_id_z 0
		.amdhsa_system_sgpr_workgroup_info 0
		.amdhsa_system_vgpr_workitem_id 0
		.amdhsa_next_free_vgpr 1
		.amdhsa_next_free_sgpr 0
		.amdhsa_accum_offset 4
		.amdhsa_reserve_vcc 0
		.amdhsa_reserve_flat_scratch 0
		.amdhsa_float_round_mode_32 0
		.amdhsa_float_round_mode_16_64 0
		.amdhsa_float_denorm_mode_32 3
		.amdhsa_float_denorm_mode_16_64 3
		.amdhsa_dx10_clamp 1
		.amdhsa_ieee_mode 1
		.amdhsa_fp16_overflow 0
		.amdhsa_tg_split 0
		.amdhsa_exception_fp_ieee_invalid_op 0
		.amdhsa_exception_fp_denorm_src 0
		.amdhsa_exception_fp_ieee_div_zero 0
		.amdhsa_exception_fp_ieee_overflow 0
		.amdhsa_exception_fp_ieee_underflow 0
		.amdhsa_exception_fp_ieee_inexact 0
		.amdhsa_exception_int_div_zero 0
	.end_amdhsa_kernel
	.section	.text._ZN7rocprim17ROCPRIM_400000_NS6detail17trampoline_kernelINS0_14default_configENS1_20scan_config_selectorIfEEZZNS1_9scan_implILNS1_25lookback_scan_determinismE0ELb0ELb0ES3_N6thrust23THRUST_200600_302600_NS6detail15normal_iteratorINS9_10device_ptrIfEEEESE_fNS9_4plusIvEEfEEDaPvRmT3_T4_T5_mT6_P12ihipStream_tbENKUlT_T0_E_clISt17integral_constantIbLb1EESU_EEDaSP_SQ_EUlSP_E_NS1_11comp_targetILNS1_3genE3ELNS1_11target_archE908ELNS1_3gpuE7ELNS1_3repE0EEENS1_30default_config_static_selectorELNS0_4arch9wavefront6targetE1EEEvT1_,"axG",@progbits,_ZN7rocprim17ROCPRIM_400000_NS6detail17trampoline_kernelINS0_14default_configENS1_20scan_config_selectorIfEEZZNS1_9scan_implILNS1_25lookback_scan_determinismE0ELb0ELb0ES3_N6thrust23THRUST_200600_302600_NS6detail15normal_iteratorINS9_10device_ptrIfEEEESE_fNS9_4plusIvEEfEEDaPvRmT3_T4_T5_mT6_P12ihipStream_tbENKUlT_T0_E_clISt17integral_constantIbLb1EESU_EEDaSP_SQ_EUlSP_E_NS1_11comp_targetILNS1_3genE3ELNS1_11target_archE908ELNS1_3gpuE7ELNS1_3repE0EEENS1_30default_config_static_selectorELNS0_4arch9wavefront6targetE1EEEvT1_,comdat
.Lfunc_end4307:
	.size	_ZN7rocprim17ROCPRIM_400000_NS6detail17trampoline_kernelINS0_14default_configENS1_20scan_config_selectorIfEEZZNS1_9scan_implILNS1_25lookback_scan_determinismE0ELb0ELb0ES3_N6thrust23THRUST_200600_302600_NS6detail15normal_iteratorINS9_10device_ptrIfEEEESE_fNS9_4plusIvEEfEEDaPvRmT3_T4_T5_mT6_P12ihipStream_tbENKUlT_T0_E_clISt17integral_constantIbLb1EESU_EEDaSP_SQ_EUlSP_E_NS1_11comp_targetILNS1_3genE3ELNS1_11target_archE908ELNS1_3gpuE7ELNS1_3repE0EEENS1_30default_config_static_selectorELNS0_4arch9wavefront6targetE1EEEvT1_, .Lfunc_end4307-_ZN7rocprim17ROCPRIM_400000_NS6detail17trampoline_kernelINS0_14default_configENS1_20scan_config_selectorIfEEZZNS1_9scan_implILNS1_25lookback_scan_determinismE0ELb0ELb0ES3_N6thrust23THRUST_200600_302600_NS6detail15normal_iteratorINS9_10device_ptrIfEEEESE_fNS9_4plusIvEEfEEDaPvRmT3_T4_T5_mT6_P12ihipStream_tbENKUlT_T0_E_clISt17integral_constantIbLb1EESU_EEDaSP_SQ_EUlSP_E_NS1_11comp_targetILNS1_3genE3ELNS1_11target_archE908ELNS1_3gpuE7ELNS1_3repE0EEENS1_30default_config_static_selectorELNS0_4arch9wavefront6targetE1EEEvT1_
                                        ; -- End function
	.section	.AMDGPU.csdata,"",@progbits
; Kernel info:
; codeLenInByte = 0
; NumSgprs: 4
; NumVgprs: 0
; NumAgprs: 0
; TotalNumVgprs: 0
; ScratchSize: 0
; MemoryBound: 0
; FloatMode: 240
; IeeeMode: 1
; LDSByteSize: 0 bytes/workgroup (compile time only)
; SGPRBlocks: 0
; VGPRBlocks: 0
; NumSGPRsForWavesPerEU: 4
; NumVGPRsForWavesPerEU: 1
; AccumOffset: 4
; Occupancy: 8
; WaveLimiterHint : 0
; COMPUTE_PGM_RSRC2:SCRATCH_EN: 0
; COMPUTE_PGM_RSRC2:USER_SGPR: 6
; COMPUTE_PGM_RSRC2:TRAP_HANDLER: 0
; COMPUTE_PGM_RSRC2:TGID_X_EN: 1
; COMPUTE_PGM_RSRC2:TGID_Y_EN: 0
; COMPUTE_PGM_RSRC2:TGID_Z_EN: 0
; COMPUTE_PGM_RSRC2:TIDIG_COMP_CNT: 0
; COMPUTE_PGM_RSRC3_GFX90A:ACCUM_OFFSET: 0
; COMPUTE_PGM_RSRC3_GFX90A:TG_SPLIT: 0
	.section	.text._ZN7rocprim17ROCPRIM_400000_NS6detail17trampoline_kernelINS0_14default_configENS1_20scan_config_selectorIfEEZZNS1_9scan_implILNS1_25lookback_scan_determinismE0ELb0ELb0ES3_N6thrust23THRUST_200600_302600_NS6detail15normal_iteratorINS9_10device_ptrIfEEEESE_fNS9_4plusIvEEfEEDaPvRmT3_T4_T5_mT6_P12ihipStream_tbENKUlT_T0_E_clISt17integral_constantIbLb1EESU_EEDaSP_SQ_EUlSP_E_NS1_11comp_targetILNS1_3genE2ELNS1_11target_archE906ELNS1_3gpuE6ELNS1_3repE0EEENS1_30default_config_static_selectorELNS0_4arch9wavefront6targetE1EEEvT1_,"axG",@progbits,_ZN7rocprim17ROCPRIM_400000_NS6detail17trampoline_kernelINS0_14default_configENS1_20scan_config_selectorIfEEZZNS1_9scan_implILNS1_25lookback_scan_determinismE0ELb0ELb0ES3_N6thrust23THRUST_200600_302600_NS6detail15normal_iteratorINS9_10device_ptrIfEEEESE_fNS9_4plusIvEEfEEDaPvRmT3_T4_T5_mT6_P12ihipStream_tbENKUlT_T0_E_clISt17integral_constantIbLb1EESU_EEDaSP_SQ_EUlSP_E_NS1_11comp_targetILNS1_3genE2ELNS1_11target_archE906ELNS1_3gpuE6ELNS1_3repE0EEENS1_30default_config_static_selectorELNS0_4arch9wavefront6targetE1EEEvT1_,comdat
	.protected	_ZN7rocprim17ROCPRIM_400000_NS6detail17trampoline_kernelINS0_14default_configENS1_20scan_config_selectorIfEEZZNS1_9scan_implILNS1_25lookback_scan_determinismE0ELb0ELb0ES3_N6thrust23THRUST_200600_302600_NS6detail15normal_iteratorINS9_10device_ptrIfEEEESE_fNS9_4plusIvEEfEEDaPvRmT3_T4_T5_mT6_P12ihipStream_tbENKUlT_T0_E_clISt17integral_constantIbLb1EESU_EEDaSP_SQ_EUlSP_E_NS1_11comp_targetILNS1_3genE2ELNS1_11target_archE906ELNS1_3gpuE6ELNS1_3repE0EEENS1_30default_config_static_selectorELNS0_4arch9wavefront6targetE1EEEvT1_ ; -- Begin function _ZN7rocprim17ROCPRIM_400000_NS6detail17trampoline_kernelINS0_14default_configENS1_20scan_config_selectorIfEEZZNS1_9scan_implILNS1_25lookback_scan_determinismE0ELb0ELb0ES3_N6thrust23THRUST_200600_302600_NS6detail15normal_iteratorINS9_10device_ptrIfEEEESE_fNS9_4plusIvEEfEEDaPvRmT3_T4_T5_mT6_P12ihipStream_tbENKUlT_T0_E_clISt17integral_constantIbLb1EESU_EEDaSP_SQ_EUlSP_E_NS1_11comp_targetILNS1_3genE2ELNS1_11target_archE906ELNS1_3gpuE6ELNS1_3repE0EEENS1_30default_config_static_selectorELNS0_4arch9wavefront6targetE1EEEvT1_
	.globl	_ZN7rocprim17ROCPRIM_400000_NS6detail17trampoline_kernelINS0_14default_configENS1_20scan_config_selectorIfEEZZNS1_9scan_implILNS1_25lookback_scan_determinismE0ELb0ELb0ES3_N6thrust23THRUST_200600_302600_NS6detail15normal_iteratorINS9_10device_ptrIfEEEESE_fNS9_4plusIvEEfEEDaPvRmT3_T4_T5_mT6_P12ihipStream_tbENKUlT_T0_E_clISt17integral_constantIbLb1EESU_EEDaSP_SQ_EUlSP_E_NS1_11comp_targetILNS1_3genE2ELNS1_11target_archE906ELNS1_3gpuE6ELNS1_3repE0EEENS1_30default_config_static_selectorELNS0_4arch9wavefront6targetE1EEEvT1_
	.p2align	8
	.type	_ZN7rocprim17ROCPRIM_400000_NS6detail17trampoline_kernelINS0_14default_configENS1_20scan_config_selectorIfEEZZNS1_9scan_implILNS1_25lookback_scan_determinismE0ELb0ELb0ES3_N6thrust23THRUST_200600_302600_NS6detail15normal_iteratorINS9_10device_ptrIfEEEESE_fNS9_4plusIvEEfEEDaPvRmT3_T4_T5_mT6_P12ihipStream_tbENKUlT_T0_E_clISt17integral_constantIbLb1EESU_EEDaSP_SQ_EUlSP_E_NS1_11comp_targetILNS1_3genE2ELNS1_11target_archE906ELNS1_3gpuE6ELNS1_3repE0EEENS1_30default_config_static_selectorELNS0_4arch9wavefront6targetE1EEEvT1_,@function
_ZN7rocprim17ROCPRIM_400000_NS6detail17trampoline_kernelINS0_14default_configENS1_20scan_config_selectorIfEEZZNS1_9scan_implILNS1_25lookback_scan_determinismE0ELb0ELb0ES3_N6thrust23THRUST_200600_302600_NS6detail15normal_iteratorINS9_10device_ptrIfEEEESE_fNS9_4plusIvEEfEEDaPvRmT3_T4_T5_mT6_P12ihipStream_tbENKUlT_T0_E_clISt17integral_constantIbLb1EESU_EEDaSP_SQ_EUlSP_E_NS1_11comp_targetILNS1_3genE2ELNS1_11target_archE906ELNS1_3gpuE6ELNS1_3repE0EEENS1_30default_config_static_selectorELNS0_4arch9wavefront6targetE1EEEvT1_: ; @_ZN7rocprim17ROCPRIM_400000_NS6detail17trampoline_kernelINS0_14default_configENS1_20scan_config_selectorIfEEZZNS1_9scan_implILNS1_25lookback_scan_determinismE0ELb0ELb0ES3_N6thrust23THRUST_200600_302600_NS6detail15normal_iteratorINS9_10device_ptrIfEEEESE_fNS9_4plusIvEEfEEDaPvRmT3_T4_T5_mT6_P12ihipStream_tbENKUlT_T0_E_clISt17integral_constantIbLb1EESU_EEDaSP_SQ_EUlSP_E_NS1_11comp_targetILNS1_3genE2ELNS1_11target_archE906ELNS1_3gpuE6ELNS1_3repE0EEENS1_30default_config_static_selectorELNS0_4arch9wavefront6targetE1EEEvT1_
; %bb.0:
	.section	.rodata,"a",@progbits
	.p2align	6, 0x0
	.amdhsa_kernel _ZN7rocprim17ROCPRIM_400000_NS6detail17trampoline_kernelINS0_14default_configENS1_20scan_config_selectorIfEEZZNS1_9scan_implILNS1_25lookback_scan_determinismE0ELb0ELb0ES3_N6thrust23THRUST_200600_302600_NS6detail15normal_iteratorINS9_10device_ptrIfEEEESE_fNS9_4plusIvEEfEEDaPvRmT3_T4_T5_mT6_P12ihipStream_tbENKUlT_T0_E_clISt17integral_constantIbLb1EESU_EEDaSP_SQ_EUlSP_E_NS1_11comp_targetILNS1_3genE2ELNS1_11target_archE906ELNS1_3gpuE6ELNS1_3repE0EEENS1_30default_config_static_selectorELNS0_4arch9wavefront6targetE1EEEvT1_
		.amdhsa_group_segment_fixed_size 0
		.amdhsa_private_segment_fixed_size 0
		.amdhsa_kernarg_size 96
		.amdhsa_user_sgpr_count 6
		.amdhsa_user_sgpr_private_segment_buffer 1
		.amdhsa_user_sgpr_dispatch_ptr 0
		.amdhsa_user_sgpr_queue_ptr 0
		.amdhsa_user_sgpr_kernarg_segment_ptr 1
		.amdhsa_user_sgpr_dispatch_id 0
		.amdhsa_user_sgpr_flat_scratch_init 0
		.amdhsa_user_sgpr_kernarg_preload_length 0
		.amdhsa_user_sgpr_kernarg_preload_offset 0
		.amdhsa_user_sgpr_private_segment_size 0
		.amdhsa_uses_dynamic_stack 0
		.amdhsa_system_sgpr_private_segment_wavefront_offset 0
		.amdhsa_system_sgpr_workgroup_id_x 1
		.amdhsa_system_sgpr_workgroup_id_y 0
		.amdhsa_system_sgpr_workgroup_id_z 0
		.amdhsa_system_sgpr_workgroup_info 0
		.amdhsa_system_vgpr_workitem_id 0
		.amdhsa_next_free_vgpr 1
		.amdhsa_next_free_sgpr 0
		.amdhsa_accum_offset 4
		.amdhsa_reserve_vcc 0
		.amdhsa_reserve_flat_scratch 0
		.amdhsa_float_round_mode_32 0
		.amdhsa_float_round_mode_16_64 0
		.amdhsa_float_denorm_mode_32 3
		.amdhsa_float_denorm_mode_16_64 3
		.amdhsa_dx10_clamp 1
		.amdhsa_ieee_mode 1
		.amdhsa_fp16_overflow 0
		.amdhsa_tg_split 0
		.amdhsa_exception_fp_ieee_invalid_op 0
		.amdhsa_exception_fp_denorm_src 0
		.amdhsa_exception_fp_ieee_div_zero 0
		.amdhsa_exception_fp_ieee_overflow 0
		.amdhsa_exception_fp_ieee_underflow 0
		.amdhsa_exception_fp_ieee_inexact 0
		.amdhsa_exception_int_div_zero 0
	.end_amdhsa_kernel
	.section	.text._ZN7rocprim17ROCPRIM_400000_NS6detail17trampoline_kernelINS0_14default_configENS1_20scan_config_selectorIfEEZZNS1_9scan_implILNS1_25lookback_scan_determinismE0ELb0ELb0ES3_N6thrust23THRUST_200600_302600_NS6detail15normal_iteratorINS9_10device_ptrIfEEEESE_fNS9_4plusIvEEfEEDaPvRmT3_T4_T5_mT6_P12ihipStream_tbENKUlT_T0_E_clISt17integral_constantIbLb1EESU_EEDaSP_SQ_EUlSP_E_NS1_11comp_targetILNS1_3genE2ELNS1_11target_archE906ELNS1_3gpuE6ELNS1_3repE0EEENS1_30default_config_static_selectorELNS0_4arch9wavefront6targetE1EEEvT1_,"axG",@progbits,_ZN7rocprim17ROCPRIM_400000_NS6detail17trampoline_kernelINS0_14default_configENS1_20scan_config_selectorIfEEZZNS1_9scan_implILNS1_25lookback_scan_determinismE0ELb0ELb0ES3_N6thrust23THRUST_200600_302600_NS6detail15normal_iteratorINS9_10device_ptrIfEEEESE_fNS9_4plusIvEEfEEDaPvRmT3_T4_T5_mT6_P12ihipStream_tbENKUlT_T0_E_clISt17integral_constantIbLb1EESU_EEDaSP_SQ_EUlSP_E_NS1_11comp_targetILNS1_3genE2ELNS1_11target_archE906ELNS1_3gpuE6ELNS1_3repE0EEENS1_30default_config_static_selectorELNS0_4arch9wavefront6targetE1EEEvT1_,comdat
.Lfunc_end4308:
	.size	_ZN7rocprim17ROCPRIM_400000_NS6detail17trampoline_kernelINS0_14default_configENS1_20scan_config_selectorIfEEZZNS1_9scan_implILNS1_25lookback_scan_determinismE0ELb0ELb0ES3_N6thrust23THRUST_200600_302600_NS6detail15normal_iteratorINS9_10device_ptrIfEEEESE_fNS9_4plusIvEEfEEDaPvRmT3_T4_T5_mT6_P12ihipStream_tbENKUlT_T0_E_clISt17integral_constantIbLb1EESU_EEDaSP_SQ_EUlSP_E_NS1_11comp_targetILNS1_3genE2ELNS1_11target_archE906ELNS1_3gpuE6ELNS1_3repE0EEENS1_30default_config_static_selectorELNS0_4arch9wavefront6targetE1EEEvT1_, .Lfunc_end4308-_ZN7rocprim17ROCPRIM_400000_NS6detail17trampoline_kernelINS0_14default_configENS1_20scan_config_selectorIfEEZZNS1_9scan_implILNS1_25lookback_scan_determinismE0ELb0ELb0ES3_N6thrust23THRUST_200600_302600_NS6detail15normal_iteratorINS9_10device_ptrIfEEEESE_fNS9_4plusIvEEfEEDaPvRmT3_T4_T5_mT6_P12ihipStream_tbENKUlT_T0_E_clISt17integral_constantIbLb1EESU_EEDaSP_SQ_EUlSP_E_NS1_11comp_targetILNS1_3genE2ELNS1_11target_archE906ELNS1_3gpuE6ELNS1_3repE0EEENS1_30default_config_static_selectorELNS0_4arch9wavefront6targetE1EEEvT1_
                                        ; -- End function
	.section	.AMDGPU.csdata,"",@progbits
; Kernel info:
; codeLenInByte = 0
; NumSgprs: 4
; NumVgprs: 0
; NumAgprs: 0
; TotalNumVgprs: 0
; ScratchSize: 0
; MemoryBound: 0
; FloatMode: 240
; IeeeMode: 1
; LDSByteSize: 0 bytes/workgroup (compile time only)
; SGPRBlocks: 0
; VGPRBlocks: 0
; NumSGPRsForWavesPerEU: 4
; NumVGPRsForWavesPerEU: 1
; AccumOffset: 4
; Occupancy: 8
; WaveLimiterHint : 0
; COMPUTE_PGM_RSRC2:SCRATCH_EN: 0
; COMPUTE_PGM_RSRC2:USER_SGPR: 6
; COMPUTE_PGM_RSRC2:TRAP_HANDLER: 0
; COMPUTE_PGM_RSRC2:TGID_X_EN: 1
; COMPUTE_PGM_RSRC2:TGID_Y_EN: 0
; COMPUTE_PGM_RSRC2:TGID_Z_EN: 0
; COMPUTE_PGM_RSRC2:TIDIG_COMP_CNT: 0
; COMPUTE_PGM_RSRC3_GFX90A:ACCUM_OFFSET: 0
; COMPUTE_PGM_RSRC3_GFX90A:TG_SPLIT: 0
	.section	.text._ZN7rocprim17ROCPRIM_400000_NS6detail17trampoline_kernelINS0_14default_configENS1_20scan_config_selectorIfEEZZNS1_9scan_implILNS1_25lookback_scan_determinismE0ELb0ELb0ES3_N6thrust23THRUST_200600_302600_NS6detail15normal_iteratorINS9_10device_ptrIfEEEESE_fNS9_4plusIvEEfEEDaPvRmT3_T4_T5_mT6_P12ihipStream_tbENKUlT_T0_E_clISt17integral_constantIbLb1EESU_EEDaSP_SQ_EUlSP_E_NS1_11comp_targetILNS1_3genE10ELNS1_11target_archE1201ELNS1_3gpuE5ELNS1_3repE0EEENS1_30default_config_static_selectorELNS0_4arch9wavefront6targetE1EEEvT1_,"axG",@progbits,_ZN7rocprim17ROCPRIM_400000_NS6detail17trampoline_kernelINS0_14default_configENS1_20scan_config_selectorIfEEZZNS1_9scan_implILNS1_25lookback_scan_determinismE0ELb0ELb0ES3_N6thrust23THRUST_200600_302600_NS6detail15normal_iteratorINS9_10device_ptrIfEEEESE_fNS9_4plusIvEEfEEDaPvRmT3_T4_T5_mT6_P12ihipStream_tbENKUlT_T0_E_clISt17integral_constantIbLb1EESU_EEDaSP_SQ_EUlSP_E_NS1_11comp_targetILNS1_3genE10ELNS1_11target_archE1201ELNS1_3gpuE5ELNS1_3repE0EEENS1_30default_config_static_selectorELNS0_4arch9wavefront6targetE1EEEvT1_,comdat
	.protected	_ZN7rocprim17ROCPRIM_400000_NS6detail17trampoline_kernelINS0_14default_configENS1_20scan_config_selectorIfEEZZNS1_9scan_implILNS1_25lookback_scan_determinismE0ELb0ELb0ES3_N6thrust23THRUST_200600_302600_NS6detail15normal_iteratorINS9_10device_ptrIfEEEESE_fNS9_4plusIvEEfEEDaPvRmT3_T4_T5_mT6_P12ihipStream_tbENKUlT_T0_E_clISt17integral_constantIbLb1EESU_EEDaSP_SQ_EUlSP_E_NS1_11comp_targetILNS1_3genE10ELNS1_11target_archE1201ELNS1_3gpuE5ELNS1_3repE0EEENS1_30default_config_static_selectorELNS0_4arch9wavefront6targetE1EEEvT1_ ; -- Begin function _ZN7rocprim17ROCPRIM_400000_NS6detail17trampoline_kernelINS0_14default_configENS1_20scan_config_selectorIfEEZZNS1_9scan_implILNS1_25lookback_scan_determinismE0ELb0ELb0ES3_N6thrust23THRUST_200600_302600_NS6detail15normal_iteratorINS9_10device_ptrIfEEEESE_fNS9_4plusIvEEfEEDaPvRmT3_T4_T5_mT6_P12ihipStream_tbENKUlT_T0_E_clISt17integral_constantIbLb1EESU_EEDaSP_SQ_EUlSP_E_NS1_11comp_targetILNS1_3genE10ELNS1_11target_archE1201ELNS1_3gpuE5ELNS1_3repE0EEENS1_30default_config_static_selectorELNS0_4arch9wavefront6targetE1EEEvT1_
	.globl	_ZN7rocprim17ROCPRIM_400000_NS6detail17trampoline_kernelINS0_14default_configENS1_20scan_config_selectorIfEEZZNS1_9scan_implILNS1_25lookback_scan_determinismE0ELb0ELb0ES3_N6thrust23THRUST_200600_302600_NS6detail15normal_iteratorINS9_10device_ptrIfEEEESE_fNS9_4plusIvEEfEEDaPvRmT3_T4_T5_mT6_P12ihipStream_tbENKUlT_T0_E_clISt17integral_constantIbLb1EESU_EEDaSP_SQ_EUlSP_E_NS1_11comp_targetILNS1_3genE10ELNS1_11target_archE1201ELNS1_3gpuE5ELNS1_3repE0EEENS1_30default_config_static_selectorELNS0_4arch9wavefront6targetE1EEEvT1_
	.p2align	8
	.type	_ZN7rocprim17ROCPRIM_400000_NS6detail17trampoline_kernelINS0_14default_configENS1_20scan_config_selectorIfEEZZNS1_9scan_implILNS1_25lookback_scan_determinismE0ELb0ELb0ES3_N6thrust23THRUST_200600_302600_NS6detail15normal_iteratorINS9_10device_ptrIfEEEESE_fNS9_4plusIvEEfEEDaPvRmT3_T4_T5_mT6_P12ihipStream_tbENKUlT_T0_E_clISt17integral_constantIbLb1EESU_EEDaSP_SQ_EUlSP_E_NS1_11comp_targetILNS1_3genE10ELNS1_11target_archE1201ELNS1_3gpuE5ELNS1_3repE0EEENS1_30default_config_static_selectorELNS0_4arch9wavefront6targetE1EEEvT1_,@function
_ZN7rocprim17ROCPRIM_400000_NS6detail17trampoline_kernelINS0_14default_configENS1_20scan_config_selectorIfEEZZNS1_9scan_implILNS1_25lookback_scan_determinismE0ELb0ELb0ES3_N6thrust23THRUST_200600_302600_NS6detail15normal_iteratorINS9_10device_ptrIfEEEESE_fNS9_4plusIvEEfEEDaPvRmT3_T4_T5_mT6_P12ihipStream_tbENKUlT_T0_E_clISt17integral_constantIbLb1EESU_EEDaSP_SQ_EUlSP_E_NS1_11comp_targetILNS1_3genE10ELNS1_11target_archE1201ELNS1_3gpuE5ELNS1_3repE0EEENS1_30default_config_static_selectorELNS0_4arch9wavefront6targetE1EEEvT1_: ; @_ZN7rocprim17ROCPRIM_400000_NS6detail17trampoline_kernelINS0_14default_configENS1_20scan_config_selectorIfEEZZNS1_9scan_implILNS1_25lookback_scan_determinismE0ELb0ELb0ES3_N6thrust23THRUST_200600_302600_NS6detail15normal_iteratorINS9_10device_ptrIfEEEESE_fNS9_4plusIvEEfEEDaPvRmT3_T4_T5_mT6_P12ihipStream_tbENKUlT_T0_E_clISt17integral_constantIbLb1EESU_EEDaSP_SQ_EUlSP_E_NS1_11comp_targetILNS1_3genE10ELNS1_11target_archE1201ELNS1_3gpuE5ELNS1_3repE0EEENS1_30default_config_static_selectorELNS0_4arch9wavefront6targetE1EEEvT1_
; %bb.0:
	.section	.rodata,"a",@progbits
	.p2align	6, 0x0
	.amdhsa_kernel _ZN7rocprim17ROCPRIM_400000_NS6detail17trampoline_kernelINS0_14default_configENS1_20scan_config_selectorIfEEZZNS1_9scan_implILNS1_25lookback_scan_determinismE0ELb0ELb0ES3_N6thrust23THRUST_200600_302600_NS6detail15normal_iteratorINS9_10device_ptrIfEEEESE_fNS9_4plusIvEEfEEDaPvRmT3_T4_T5_mT6_P12ihipStream_tbENKUlT_T0_E_clISt17integral_constantIbLb1EESU_EEDaSP_SQ_EUlSP_E_NS1_11comp_targetILNS1_3genE10ELNS1_11target_archE1201ELNS1_3gpuE5ELNS1_3repE0EEENS1_30default_config_static_selectorELNS0_4arch9wavefront6targetE1EEEvT1_
		.amdhsa_group_segment_fixed_size 0
		.amdhsa_private_segment_fixed_size 0
		.amdhsa_kernarg_size 96
		.amdhsa_user_sgpr_count 6
		.amdhsa_user_sgpr_private_segment_buffer 1
		.amdhsa_user_sgpr_dispatch_ptr 0
		.amdhsa_user_sgpr_queue_ptr 0
		.amdhsa_user_sgpr_kernarg_segment_ptr 1
		.amdhsa_user_sgpr_dispatch_id 0
		.amdhsa_user_sgpr_flat_scratch_init 0
		.amdhsa_user_sgpr_kernarg_preload_length 0
		.amdhsa_user_sgpr_kernarg_preload_offset 0
		.amdhsa_user_sgpr_private_segment_size 0
		.amdhsa_uses_dynamic_stack 0
		.amdhsa_system_sgpr_private_segment_wavefront_offset 0
		.amdhsa_system_sgpr_workgroup_id_x 1
		.amdhsa_system_sgpr_workgroup_id_y 0
		.amdhsa_system_sgpr_workgroup_id_z 0
		.amdhsa_system_sgpr_workgroup_info 0
		.amdhsa_system_vgpr_workitem_id 0
		.amdhsa_next_free_vgpr 1
		.amdhsa_next_free_sgpr 0
		.amdhsa_accum_offset 4
		.amdhsa_reserve_vcc 0
		.amdhsa_reserve_flat_scratch 0
		.amdhsa_float_round_mode_32 0
		.amdhsa_float_round_mode_16_64 0
		.amdhsa_float_denorm_mode_32 3
		.amdhsa_float_denorm_mode_16_64 3
		.amdhsa_dx10_clamp 1
		.amdhsa_ieee_mode 1
		.amdhsa_fp16_overflow 0
		.amdhsa_tg_split 0
		.amdhsa_exception_fp_ieee_invalid_op 0
		.amdhsa_exception_fp_denorm_src 0
		.amdhsa_exception_fp_ieee_div_zero 0
		.amdhsa_exception_fp_ieee_overflow 0
		.amdhsa_exception_fp_ieee_underflow 0
		.amdhsa_exception_fp_ieee_inexact 0
		.amdhsa_exception_int_div_zero 0
	.end_amdhsa_kernel
	.section	.text._ZN7rocprim17ROCPRIM_400000_NS6detail17trampoline_kernelINS0_14default_configENS1_20scan_config_selectorIfEEZZNS1_9scan_implILNS1_25lookback_scan_determinismE0ELb0ELb0ES3_N6thrust23THRUST_200600_302600_NS6detail15normal_iteratorINS9_10device_ptrIfEEEESE_fNS9_4plusIvEEfEEDaPvRmT3_T4_T5_mT6_P12ihipStream_tbENKUlT_T0_E_clISt17integral_constantIbLb1EESU_EEDaSP_SQ_EUlSP_E_NS1_11comp_targetILNS1_3genE10ELNS1_11target_archE1201ELNS1_3gpuE5ELNS1_3repE0EEENS1_30default_config_static_selectorELNS0_4arch9wavefront6targetE1EEEvT1_,"axG",@progbits,_ZN7rocprim17ROCPRIM_400000_NS6detail17trampoline_kernelINS0_14default_configENS1_20scan_config_selectorIfEEZZNS1_9scan_implILNS1_25lookback_scan_determinismE0ELb0ELb0ES3_N6thrust23THRUST_200600_302600_NS6detail15normal_iteratorINS9_10device_ptrIfEEEESE_fNS9_4plusIvEEfEEDaPvRmT3_T4_T5_mT6_P12ihipStream_tbENKUlT_T0_E_clISt17integral_constantIbLb1EESU_EEDaSP_SQ_EUlSP_E_NS1_11comp_targetILNS1_3genE10ELNS1_11target_archE1201ELNS1_3gpuE5ELNS1_3repE0EEENS1_30default_config_static_selectorELNS0_4arch9wavefront6targetE1EEEvT1_,comdat
.Lfunc_end4309:
	.size	_ZN7rocprim17ROCPRIM_400000_NS6detail17trampoline_kernelINS0_14default_configENS1_20scan_config_selectorIfEEZZNS1_9scan_implILNS1_25lookback_scan_determinismE0ELb0ELb0ES3_N6thrust23THRUST_200600_302600_NS6detail15normal_iteratorINS9_10device_ptrIfEEEESE_fNS9_4plusIvEEfEEDaPvRmT3_T4_T5_mT6_P12ihipStream_tbENKUlT_T0_E_clISt17integral_constantIbLb1EESU_EEDaSP_SQ_EUlSP_E_NS1_11comp_targetILNS1_3genE10ELNS1_11target_archE1201ELNS1_3gpuE5ELNS1_3repE0EEENS1_30default_config_static_selectorELNS0_4arch9wavefront6targetE1EEEvT1_, .Lfunc_end4309-_ZN7rocprim17ROCPRIM_400000_NS6detail17trampoline_kernelINS0_14default_configENS1_20scan_config_selectorIfEEZZNS1_9scan_implILNS1_25lookback_scan_determinismE0ELb0ELb0ES3_N6thrust23THRUST_200600_302600_NS6detail15normal_iteratorINS9_10device_ptrIfEEEESE_fNS9_4plusIvEEfEEDaPvRmT3_T4_T5_mT6_P12ihipStream_tbENKUlT_T0_E_clISt17integral_constantIbLb1EESU_EEDaSP_SQ_EUlSP_E_NS1_11comp_targetILNS1_3genE10ELNS1_11target_archE1201ELNS1_3gpuE5ELNS1_3repE0EEENS1_30default_config_static_selectorELNS0_4arch9wavefront6targetE1EEEvT1_
                                        ; -- End function
	.section	.AMDGPU.csdata,"",@progbits
; Kernel info:
; codeLenInByte = 0
; NumSgprs: 4
; NumVgprs: 0
; NumAgprs: 0
; TotalNumVgprs: 0
; ScratchSize: 0
; MemoryBound: 0
; FloatMode: 240
; IeeeMode: 1
; LDSByteSize: 0 bytes/workgroup (compile time only)
; SGPRBlocks: 0
; VGPRBlocks: 0
; NumSGPRsForWavesPerEU: 4
; NumVGPRsForWavesPerEU: 1
; AccumOffset: 4
; Occupancy: 8
; WaveLimiterHint : 0
; COMPUTE_PGM_RSRC2:SCRATCH_EN: 0
; COMPUTE_PGM_RSRC2:USER_SGPR: 6
; COMPUTE_PGM_RSRC2:TRAP_HANDLER: 0
; COMPUTE_PGM_RSRC2:TGID_X_EN: 1
; COMPUTE_PGM_RSRC2:TGID_Y_EN: 0
; COMPUTE_PGM_RSRC2:TGID_Z_EN: 0
; COMPUTE_PGM_RSRC2:TIDIG_COMP_CNT: 0
; COMPUTE_PGM_RSRC3_GFX90A:ACCUM_OFFSET: 0
; COMPUTE_PGM_RSRC3_GFX90A:TG_SPLIT: 0
	.section	.text._ZN7rocprim17ROCPRIM_400000_NS6detail17trampoline_kernelINS0_14default_configENS1_20scan_config_selectorIfEEZZNS1_9scan_implILNS1_25lookback_scan_determinismE0ELb0ELb0ES3_N6thrust23THRUST_200600_302600_NS6detail15normal_iteratorINS9_10device_ptrIfEEEESE_fNS9_4plusIvEEfEEDaPvRmT3_T4_T5_mT6_P12ihipStream_tbENKUlT_T0_E_clISt17integral_constantIbLb1EESU_EEDaSP_SQ_EUlSP_E_NS1_11comp_targetILNS1_3genE10ELNS1_11target_archE1200ELNS1_3gpuE4ELNS1_3repE0EEENS1_30default_config_static_selectorELNS0_4arch9wavefront6targetE1EEEvT1_,"axG",@progbits,_ZN7rocprim17ROCPRIM_400000_NS6detail17trampoline_kernelINS0_14default_configENS1_20scan_config_selectorIfEEZZNS1_9scan_implILNS1_25lookback_scan_determinismE0ELb0ELb0ES3_N6thrust23THRUST_200600_302600_NS6detail15normal_iteratorINS9_10device_ptrIfEEEESE_fNS9_4plusIvEEfEEDaPvRmT3_T4_T5_mT6_P12ihipStream_tbENKUlT_T0_E_clISt17integral_constantIbLb1EESU_EEDaSP_SQ_EUlSP_E_NS1_11comp_targetILNS1_3genE10ELNS1_11target_archE1200ELNS1_3gpuE4ELNS1_3repE0EEENS1_30default_config_static_selectorELNS0_4arch9wavefront6targetE1EEEvT1_,comdat
	.protected	_ZN7rocprim17ROCPRIM_400000_NS6detail17trampoline_kernelINS0_14default_configENS1_20scan_config_selectorIfEEZZNS1_9scan_implILNS1_25lookback_scan_determinismE0ELb0ELb0ES3_N6thrust23THRUST_200600_302600_NS6detail15normal_iteratorINS9_10device_ptrIfEEEESE_fNS9_4plusIvEEfEEDaPvRmT3_T4_T5_mT6_P12ihipStream_tbENKUlT_T0_E_clISt17integral_constantIbLb1EESU_EEDaSP_SQ_EUlSP_E_NS1_11comp_targetILNS1_3genE10ELNS1_11target_archE1200ELNS1_3gpuE4ELNS1_3repE0EEENS1_30default_config_static_selectorELNS0_4arch9wavefront6targetE1EEEvT1_ ; -- Begin function _ZN7rocprim17ROCPRIM_400000_NS6detail17trampoline_kernelINS0_14default_configENS1_20scan_config_selectorIfEEZZNS1_9scan_implILNS1_25lookback_scan_determinismE0ELb0ELb0ES3_N6thrust23THRUST_200600_302600_NS6detail15normal_iteratorINS9_10device_ptrIfEEEESE_fNS9_4plusIvEEfEEDaPvRmT3_T4_T5_mT6_P12ihipStream_tbENKUlT_T0_E_clISt17integral_constantIbLb1EESU_EEDaSP_SQ_EUlSP_E_NS1_11comp_targetILNS1_3genE10ELNS1_11target_archE1200ELNS1_3gpuE4ELNS1_3repE0EEENS1_30default_config_static_selectorELNS0_4arch9wavefront6targetE1EEEvT1_
	.globl	_ZN7rocprim17ROCPRIM_400000_NS6detail17trampoline_kernelINS0_14default_configENS1_20scan_config_selectorIfEEZZNS1_9scan_implILNS1_25lookback_scan_determinismE0ELb0ELb0ES3_N6thrust23THRUST_200600_302600_NS6detail15normal_iteratorINS9_10device_ptrIfEEEESE_fNS9_4plusIvEEfEEDaPvRmT3_T4_T5_mT6_P12ihipStream_tbENKUlT_T0_E_clISt17integral_constantIbLb1EESU_EEDaSP_SQ_EUlSP_E_NS1_11comp_targetILNS1_3genE10ELNS1_11target_archE1200ELNS1_3gpuE4ELNS1_3repE0EEENS1_30default_config_static_selectorELNS0_4arch9wavefront6targetE1EEEvT1_
	.p2align	8
	.type	_ZN7rocprim17ROCPRIM_400000_NS6detail17trampoline_kernelINS0_14default_configENS1_20scan_config_selectorIfEEZZNS1_9scan_implILNS1_25lookback_scan_determinismE0ELb0ELb0ES3_N6thrust23THRUST_200600_302600_NS6detail15normal_iteratorINS9_10device_ptrIfEEEESE_fNS9_4plusIvEEfEEDaPvRmT3_T4_T5_mT6_P12ihipStream_tbENKUlT_T0_E_clISt17integral_constantIbLb1EESU_EEDaSP_SQ_EUlSP_E_NS1_11comp_targetILNS1_3genE10ELNS1_11target_archE1200ELNS1_3gpuE4ELNS1_3repE0EEENS1_30default_config_static_selectorELNS0_4arch9wavefront6targetE1EEEvT1_,@function
_ZN7rocprim17ROCPRIM_400000_NS6detail17trampoline_kernelINS0_14default_configENS1_20scan_config_selectorIfEEZZNS1_9scan_implILNS1_25lookback_scan_determinismE0ELb0ELb0ES3_N6thrust23THRUST_200600_302600_NS6detail15normal_iteratorINS9_10device_ptrIfEEEESE_fNS9_4plusIvEEfEEDaPvRmT3_T4_T5_mT6_P12ihipStream_tbENKUlT_T0_E_clISt17integral_constantIbLb1EESU_EEDaSP_SQ_EUlSP_E_NS1_11comp_targetILNS1_3genE10ELNS1_11target_archE1200ELNS1_3gpuE4ELNS1_3repE0EEENS1_30default_config_static_selectorELNS0_4arch9wavefront6targetE1EEEvT1_: ; @_ZN7rocprim17ROCPRIM_400000_NS6detail17trampoline_kernelINS0_14default_configENS1_20scan_config_selectorIfEEZZNS1_9scan_implILNS1_25lookback_scan_determinismE0ELb0ELb0ES3_N6thrust23THRUST_200600_302600_NS6detail15normal_iteratorINS9_10device_ptrIfEEEESE_fNS9_4plusIvEEfEEDaPvRmT3_T4_T5_mT6_P12ihipStream_tbENKUlT_T0_E_clISt17integral_constantIbLb1EESU_EEDaSP_SQ_EUlSP_E_NS1_11comp_targetILNS1_3genE10ELNS1_11target_archE1200ELNS1_3gpuE4ELNS1_3repE0EEENS1_30default_config_static_selectorELNS0_4arch9wavefront6targetE1EEEvT1_
; %bb.0:
	.section	.rodata,"a",@progbits
	.p2align	6, 0x0
	.amdhsa_kernel _ZN7rocprim17ROCPRIM_400000_NS6detail17trampoline_kernelINS0_14default_configENS1_20scan_config_selectorIfEEZZNS1_9scan_implILNS1_25lookback_scan_determinismE0ELb0ELb0ES3_N6thrust23THRUST_200600_302600_NS6detail15normal_iteratorINS9_10device_ptrIfEEEESE_fNS9_4plusIvEEfEEDaPvRmT3_T4_T5_mT6_P12ihipStream_tbENKUlT_T0_E_clISt17integral_constantIbLb1EESU_EEDaSP_SQ_EUlSP_E_NS1_11comp_targetILNS1_3genE10ELNS1_11target_archE1200ELNS1_3gpuE4ELNS1_3repE0EEENS1_30default_config_static_selectorELNS0_4arch9wavefront6targetE1EEEvT1_
		.amdhsa_group_segment_fixed_size 0
		.amdhsa_private_segment_fixed_size 0
		.amdhsa_kernarg_size 96
		.amdhsa_user_sgpr_count 6
		.amdhsa_user_sgpr_private_segment_buffer 1
		.amdhsa_user_sgpr_dispatch_ptr 0
		.amdhsa_user_sgpr_queue_ptr 0
		.amdhsa_user_sgpr_kernarg_segment_ptr 1
		.amdhsa_user_sgpr_dispatch_id 0
		.amdhsa_user_sgpr_flat_scratch_init 0
		.amdhsa_user_sgpr_kernarg_preload_length 0
		.amdhsa_user_sgpr_kernarg_preload_offset 0
		.amdhsa_user_sgpr_private_segment_size 0
		.amdhsa_uses_dynamic_stack 0
		.amdhsa_system_sgpr_private_segment_wavefront_offset 0
		.amdhsa_system_sgpr_workgroup_id_x 1
		.amdhsa_system_sgpr_workgroup_id_y 0
		.amdhsa_system_sgpr_workgroup_id_z 0
		.amdhsa_system_sgpr_workgroup_info 0
		.amdhsa_system_vgpr_workitem_id 0
		.amdhsa_next_free_vgpr 1
		.amdhsa_next_free_sgpr 0
		.amdhsa_accum_offset 4
		.amdhsa_reserve_vcc 0
		.amdhsa_reserve_flat_scratch 0
		.amdhsa_float_round_mode_32 0
		.amdhsa_float_round_mode_16_64 0
		.amdhsa_float_denorm_mode_32 3
		.amdhsa_float_denorm_mode_16_64 3
		.amdhsa_dx10_clamp 1
		.amdhsa_ieee_mode 1
		.amdhsa_fp16_overflow 0
		.amdhsa_tg_split 0
		.amdhsa_exception_fp_ieee_invalid_op 0
		.amdhsa_exception_fp_denorm_src 0
		.amdhsa_exception_fp_ieee_div_zero 0
		.amdhsa_exception_fp_ieee_overflow 0
		.amdhsa_exception_fp_ieee_underflow 0
		.amdhsa_exception_fp_ieee_inexact 0
		.amdhsa_exception_int_div_zero 0
	.end_amdhsa_kernel
	.section	.text._ZN7rocprim17ROCPRIM_400000_NS6detail17trampoline_kernelINS0_14default_configENS1_20scan_config_selectorIfEEZZNS1_9scan_implILNS1_25lookback_scan_determinismE0ELb0ELb0ES3_N6thrust23THRUST_200600_302600_NS6detail15normal_iteratorINS9_10device_ptrIfEEEESE_fNS9_4plusIvEEfEEDaPvRmT3_T4_T5_mT6_P12ihipStream_tbENKUlT_T0_E_clISt17integral_constantIbLb1EESU_EEDaSP_SQ_EUlSP_E_NS1_11comp_targetILNS1_3genE10ELNS1_11target_archE1200ELNS1_3gpuE4ELNS1_3repE0EEENS1_30default_config_static_selectorELNS0_4arch9wavefront6targetE1EEEvT1_,"axG",@progbits,_ZN7rocprim17ROCPRIM_400000_NS6detail17trampoline_kernelINS0_14default_configENS1_20scan_config_selectorIfEEZZNS1_9scan_implILNS1_25lookback_scan_determinismE0ELb0ELb0ES3_N6thrust23THRUST_200600_302600_NS6detail15normal_iteratorINS9_10device_ptrIfEEEESE_fNS9_4plusIvEEfEEDaPvRmT3_T4_T5_mT6_P12ihipStream_tbENKUlT_T0_E_clISt17integral_constantIbLb1EESU_EEDaSP_SQ_EUlSP_E_NS1_11comp_targetILNS1_3genE10ELNS1_11target_archE1200ELNS1_3gpuE4ELNS1_3repE0EEENS1_30default_config_static_selectorELNS0_4arch9wavefront6targetE1EEEvT1_,comdat
.Lfunc_end4310:
	.size	_ZN7rocprim17ROCPRIM_400000_NS6detail17trampoline_kernelINS0_14default_configENS1_20scan_config_selectorIfEEZZNS1_9scan_implILNS1_25lookback_scan_determinismE0ELb0ELb0ES3_N6thrust23THRUST_200600_302600_NS6detail15normal_iteratorINS9_10device_ptrIfEEEESE_fNS9_4plusIvEEfEEDaPvRmT3_T4_T5_mT6_P12ihipStream_tbENKUlT_T0_E_clISt17integral_constantIbLb1EESU_EEDaSP_SQ_EUlSP_E_NS1_11comp_targetILNS1_3genE10ELNS1_11target_archE1200ELNS1_3gpuE4ELNS1_3repE0EEENS1_30default_config_static_selectorELNS0_4arch9wavefront6targetE1EEEvT1_, .Lfunc_end4310-_ZN7rocprim17ROCPRIM_400000_NS6detail17trampoline_kernelINS0_14default_configENS1_20scan_config_selectorIfEEZZNS1_9scan_implILNS1_25lookback_scan_determinismE0ELb0ELb0ES3_N6thrust23THRUST_200600_302600_NS6detail15normal_iteratorINS9_10device_ptrIfEEEESE_fNS9_4plusIvEEfEEDaPvRmT3_T4_T5_mT6_P12ihipStream_tbENKUlT_T0_E_clISt17integral_constantIbLb1EESU_EEDaSP_SQ_EUlSP_E_NS1_11comp_targetILNS1_3genE10ELNS1_11target_archE1200ELNS1_3gpuE4ELNS1_3repE0EEENS1_30default_config_static_selectorELNS0_4arch9wavefront6targetE1EEEvT1_
                                        ; -- End function
	.section	.AMDGPU.csdata,"",@progbits
; Kernel info:
; codeLenInByte = 0
; NumSgprs: 4
; NumVgprs: 0
; NumAgprs: 0
; TotalNumVgprs: 0
; ScratchSize: 0
; MemoryBound: 0
; FloatMode: 240
; IeeeMode: 1
; LDSByteSize: 0 bytes/workgroup (compile time only)
; SGPRBlocks: 0
; VGPRBlocks: 0
; NumSGPRsForWavesPerEU: 4
; NumVGPRsForWavesPerEU: 1
; AccumOffset: 4
; Occupancy: 8
; WaveLimiterHint : 0
; COMPUTE_PGM_RSRC2:SCRATCH_EN: 0
; COMPUTE_PGM_RSRC2:USER_SGPR: 6
; COMPUTE_PGM_RSRC2:TRAP_HANDLER: 0
; COMPUTE_PGM_RSRC2:TGID_X_EN: 1
; COMPUTE_PGM_RSRC2:TGID_Y_EN: 0
; COMPUTE_PGM_RSRC2:TGID_Z_EN: 0
; COMPUTE_PGM_RSRC2:TIDIG_COMP_CNT: 0
; COMPUTE_PGM_RSRC3_GFX90A:ACCUM_OFFSET: 0
; COMPUTE_PGM_RSRC3_GFX90A:TG_SPLIT: 0
	.section	.text._ZN7rocprim17ROCPRIM_400000_NS6detail17trampoline_kernelINS0_14default_configENS1_20scan_config_selectorIfEEZZNS1_9scan_implILNS1_25lookback_scan_determinismE0ELb0ELb0ES3_N6thrust23THRUST_200600_302600_NS6detail15normal_iteratorINS9_10device_ptrIfEEEESE_fNS9_4plusIvEEfEEDaPvRmT3_T4_T5_mT6_P12ihipStream_tbENKUlT_T0_E_clISt17integral_constantIbLb1EESU_EEDaSP_SQ_EUlSP_E_NS1_11comp_targetILNS1_3genE9ELNS1_11target_archE1100ELNS1_3gpuE3ELNS1_3repE0EEENS1_30default_config_static_selectorELNS0_4arch9wavefront6targetE1EEEvT1_,"axG",@progbits,_ZN7rocprim17ROCPRIM_400000_NS6detail17trampoline_kernelINS0_14default_configENS1_20scan_config_selectorIfEEZZNS1_9scan_implILNS1_25lookback_scan_determinismE0ELb0ELb0ES3_N6thrust23THRUST_200600_302600_NS6detail15normal_iteratorINS9_10device_ptrIfEEEESE_fNS9_4plusIvEEfEEDaPvRmT3_T4_T5_mT6_P12ihipStream_tbENKUlT_T0_E_clISt17integral_constantIbLb1EESU_EEDaSP_SQ_EUlSP_E_NS1_11comp_targetILNS1_3genE9ELNS1_11target_archE1100ELNS1_3gpuE3ELNS1_3repE0EEENS1_30default_config_static_selectorELNS0_4arch9wavefront6targetE1EEEvT1_,comdat
	.protected	_ZN7rocprim17ROCPRIM_400000_NS6detail17trampoline_kernelINS0_14default_configENS1_20scan_config_selectorIfEEZZNS1_9scan_implILNS1_25lookback_scan_determinismE0ELb0ELb0ES3_N6thrust23THRUST_200600_302600_NS6detail15normal_iteratorINS9_10device_ptrIfEEEESE_fNS9_4plusIvEEfEEDaPvRmT3_T4_T5_mT6_P12ihipStream_tbENKUlT_T0_E_clISt17integral_constantIbLb1EESU_EEDaSP_SQ_EUlSP_E_NS1_11comp_targetILNS1_3genE9ELNS1_11target_archE1100ELNS1_3gpuE3ELNS1_3repE0EEENS1_30default_config_static_selectorELNS0_4arch9wavefront6targetE1EEEvT1_ ; -- Begin function _ZN7rocprim17ROCPRIM_400000_NS6detail17trampoline_kernelINS0_14default_configENS1_20scan_config_selectorIfEEZZNS1_9scan_implILNS1_25lookback_scan_determinismE0ELb0ELb0ES3_N6thrust23THRUST_200600_302600_NS6detail15normal_iteratorINS9_10device_ptrIfEEEESE_fNS9_4plusIvEEfEEDaPvRmT3_T4_T5_mT6_P12ihipStream_tbENKUlT_T0_E_clISt17integral_constantIbLb1EESU_EEDaSP_SQ_EUlSP_E_NS1_11comp_targetILNS1_3genE9ELNS1_11target_archE1100ELNS1_3gpuE3ELNS1_3repE0EEENS1_30default_config_static_selectorELNS0_4arch9wavefront6targetE1EEEvT1_
	.globl	_ZN7rocprim17ROCPRIM_400000_NS6detail17trampoline_kernelINS0_14default_configENS1_20scan_config_selectorIfEEZZNS1_9scan_implILNS1_25lookback_scan_determinismE0ELb0ELb0ES3_N6thrust23THRUST_200600_302600_NS6detail15normal_iteratorINS9_10device_ptrIfEEEESE_fNS9_4plusIvEEfEEDaPvRmT3_T4_T5_mT6_P12ihipStream_tbENKUlT_T0_E_clISt17integral_constantIbLb1EESU_EEDaSP_SQ_EUlSP_E_NS1_11comp_targetILNS1_3genE9ELNS1_11target_archE1100ELNS1_3gpuE3ELNS1_3repE0EEENS1_30default_config_static_selectorELNS0_4arch9wavefront6targetE1EEEvT1_
	.p2align	8
	.type	_ZN7rocprim17ROCPRIM_400000_NS6detail17trampoline_kernelINS0_14default_configENS1_20scan_config_selectorIfEEZZNS1_9scan_implILNS1_25lookback_scan_determinismE0ELb0ELb0ES3_N6thrust23THRUST_200600_302600_NS6detail15normal_iteratorINS9_10device_ptrIfEEEESE_fNS9_4plusIvEEfEEDaPvRmT3_T4_T5_mT6_P12ihipStream_tbENKUlT_T0_E_clISt17integral_constantIbLb1EESU_EEDaSP_SQ_EUlSP_E_NS1_11comp_targetILNS1_3genE9ELNS1_11target_archE1100ELNS1_3gpuE3ELNS1_3repE0EEENS1_30default_config_static_selectorELNS0_4arch9wavefront6targetE1EEEvT1_,@function
_ZN7rocprim17ROCPRIM_400000_NS6detail17trampoline_kernelINS0_14default_configENS1_20scan_config_selectorIfEEZZNS1_9scan_implILNS1_25lookback_scan_determinismE0ELb0ELb0ES3_N6thrust23THRUST_200600_302600_NS6detail15normal_iteratorINS9_10device_ptrIfEEEESE_fNS9_4plusIvEEfEEDaPvRmT3_T4_T5_mT6_P12ihipStream_tbENKUlT_T0_E_clISt17integral_constantIbLb1EESU_EEDaSP_SQ_EUlSP_E_NS1_11comp_targetILNS1_3genE9ELNS1_11target_archE1100ELNS1_3gpuE3ELNS1_3repE0EEENS1_30default_config_static_selectorELNS0_4arch9wavefront6targetE1EEEvT1_: ; @_ZN7rocprim17ROCPRIM_400000_NS6detail17trampoline_kernelINS0_14default_configENS1_20scan_config_selectorIfEEZZNS1_9scan_implILNS1_25lookback_scan_determinismE0ELb0ELb0ES3_N6thrust23THRUST_200600_302600_NS6detail15normal_iteratorINS9_10device_ptrIfEEEESE_fNS9_4plusIvEEfEEDaPvRmT3_T4_T5_mT6_P12ihipStream_tbENKUlT_T0_E_clISt17integral_constantIbLb1EESU_EEDaSP_SQ_EUlSP_E_NS1_11comp_targetILNS1_3genE9ELNS1_11target_archE1100ELNS1_3gpuE3ELNS1_3repE0EEENS1_30default_config_static_selectorELNS0_4arch9wavefront6targetE1EEEvT1_
; %bb.0:
	.section	.rodata,"a",@progbits
	.p2align	6, 0x0
	.amdhsa_kernel _ZN7rocprim17ROCPRIM_400000_NS6detail17trampoline_kernelINS0_14default_configENS1_20scan_config_selectorIfEEZZNS1_9scan_implILNS1_25lookback_scan_determinismE0ELb0ELb0ES3_N6thrust23THRUST_200600_302600_NS6detail15normal_iteratorINS9_10device_ptrIfEEEESE_fNS9_4plusIvEEfEEDaPvRmT3_T4_T5_mT6_P12ihipStream_tbENKUlT_T0_E_clISt17integral_constantIbLb1EESU_EEDaSP_SQ_EUlSP_E_NS1_11comp_targetILNS1_3genE9ELNS1_11target_archE1100ELNS1_3gpuE3ELNS1_3repE0EEENS1_30default_config_static_selectorELNS0_4arch9wavefront6targetE1EEEvT1_
		.amdhsa_group_segment_fixed_size 0
		.amdhsa_private_segment_fixed_size 0
		.amdhsa_kernarg_size 96
		.amdhsa_user_sgpr_count 6
		.amdhsa_user_sgpr_private_segment_buffer 1
		.amdhsa_user_sgpr_dispatch_ptr 0
		.amdhsa_user_sgpr_queue_ptr 0
		.amdhsa_user_sgpr_kernarg_segment_ptr 1
		.amdhsa_user_sgpr_dispatch_id 0
		.amdhsa_user_sgpr_flat_scratch_init 0
		.amdhsa_user_sgpr_kernarg_preload_length 0
		.amdhsa_user_sgpr_kernarg_preload_offset 0
		.amdhsa_user_sgpr_private_segment_size 0
		.amdhsa_uses_dynamic_stack 0
		.amdhsa_system_sgpr_private_segment_wavefront_offset 0
		.amdhsa_system_sgpr_workgroup_id_x 1
		.amdhsa_system_sgpr_workgroup_id_y 0
		.amdhsa_system_sgpr_workgroup_id_z 0
		.amdhsa_system_sgpr_workgroup_info 0
		.amdhsa_system_vgpr_workitem_id 0
		.amdhsa_next_free_vgpr 1
		.amdhsa_next_free_sgpr 0
		.amdhsa_accum_offset 4
		.amdhsa_reserve_vcc 0
		.amdhsa_reserve_flat_scratch 0
		.amdhsa_float_round_mode_32 0
		.amdhsa_float_round_mode_16_64 0
		.amdhsa_float_denorm_mode_32 3
		.amdhsa_float_denorm_mode_16_64 3
		.amdhsa_dx10_clamp 1
		.amdhsa_ieee_mode 1
		.amdhsa_fp16_overflow 0
		.amdhsa_tg_split 0
		.amdhsa_exception_fp_ieee_invalid_op 0
		.amdhsa_exception_fp_denorm_src 0
		.amdhsa_exception_fp_ieee_div_zero 0
		.amdhsa_exception_fp_ieee_overflow 0
		.amdhsa_exception_fp_ieee_underflow 0
		.amdhsa_exception_fp_ieee_inexact 0
		.amdhsa_exception_int_div_zero 0
	.end_amdhsa_kernel
	.section	.text._ZN7rocprim17ROCPRIM_400000_NS6detail17trampoline_kernelINS0_14default_configENS1_20scan_config_selectorIfEEZZNS1_9scan_implILNS1_25lookback_scan_determinismE0ELb0ELb0ES3_N6thrust23THRUST_200600_302600_NS6detail15normal_iteratorINS9_10device_ptrIfEEEESE_fNS9_4plusIvEEfEEDaPvRmT3_T4_T5_mT6_P12ihipStream_tbENKUlT_T0_E_clISt17integral_constantIbLb1EESU_EEDaSP_SQ_EUlSP_E_NS1_11comp_targetILNS1_3genE9ELNS1_11target_archE1100ELNS1_3gpuE3ELNS1_3repE0EEENS1_30default_config_static_selectorELNS0_4arch9wavefront6targetE1EEEvT1_,"axG",@progbits,_ZN7rocprim17ROCPRIM_400000_NS6detail17trampoline_kernelINS0_14default_configENS1_20scan_config_selectorIfEEZZNS1_9scan_implILNS1_25lookback_scan_determinismE0ELb0ELb0ES3_N6thrust23THRUST_200600_302600_NS6detail15normal_iteratorINS9_10device_ptrIfEEEESE_fNS9_4plusIvEEfEEDaPvRmT3_T4_T5_mT6_P12ihipStream_tbENKUlT_T0_E_clISt17integral_constantIbLb1EESU_EEDaSP_SQ_EUlSP_E_NS1_11comp_targetILNS1_3genE9ELNS1_11target_archE1100ELNS1_3gpuE3ELNS1_3repE0EEENS1_30default_config_static_selectorELNS0_4arch9wavefront6targetE1EEEvT1_,comdat
.Lfunc_end4311:
	.size	_ZN7rocprim17ROCPRIM_400000_NS6detail17trampoline_kernelINS0_14default_configENS1_20scan_config_selectorIfEEZZNS1_9scan_implILNS1_25lookback_scan_determinismE0ELb0ELb0ES3_N6thrust23THRUST_200600_302600_NS6detail15normal_iteratorINS9_10device_ptrIfEEEESE_fNS9_4plusIvEEfEEDaPvRmT3_T4_T5_mT6_P12ihipStream_tbENKUlT_T0_E_clISt17integral_constantIbLb1EESU_EEDaSP_SQ_EUlSP_E_NS1_11comp_targetILNS1_3genE9ELNS1_11target_archE1100ELNS1_3gpuE3ELNS1_3repE0EEENS1_30default_config_static_selectorELNS0_4arch9wavefront6targetE1EEEvT1_, .Lfunc_end4311-_ZN7rocprim17ROCPRIM_400000_NS6detail17trampoline_kernelINS0_14default_configENS1_20scan_config_selectorIfEEZZNS1_9scan_implILNS1_25lookback_scan_determinismE0ELb0ELb0ES3_N6thrust23THRUST_200600_302600_NS6detail15normal_iteratorINS9_10device_ptrIfEEEESE_fNS9_4plusIvEEfEEDaPvRmT3_T4_T5_mT6_P12ihipStream_tbENKUlT_T0_E_clISt17integral_constantIbLb1EESU_EEDaSP_SQ_EUlSP_E_NS1_11comp_targetILNS1_3genE9ELNS1_11target_archE1100ELNS1_3gpuE3ELNS1_3repE0EEENS1_30default_config_static_selectorELNS0_4arch9wavefront6targetE1EEEvT1_
                                        ; -- End function
	.section	.AMDGPU.csdata,"",@progbits
; Kernel info:
; codeLenInByte = 0
; NumSgprs: 4
; NumVgprs: 0
; NumAgprs: 0
; TotalNumVgprs: 0
; ScratchSize: 0
; MemoryBound: 0
; FloatMode: 240
; IeeeMode: 1
; LDSByteSize: 0 bytes/workgroup (compile time only)
; SGPRBlocks: 0
; VGPRBlocks: 0
; NumSGPRsForWavesPerEU: 4
; NumVGPRsForWavesPerEU: 1
; AccumOffset: 4
; Occupancy: 8
; WaveLimiterHint : 0
; COMPUTE_PGM_RSRC2:SCRATCH_EN: 0
; COMPUTE_PGM_RSRC2:USER_SGPR: 6
; COMPUTE_PGM_RSRC2:TRAP_HANDLER: 0
; COMPUTE_PGM_RSRC2:TGID_X_EN: 1
; COMPUTE_PGM_RSRC2:TGID_Y_EN: 0
; COMPUTE_PGM_RSRC2:TGID_Z_EN: 0
; COMPUTE_PGM_RSRC2:TIDIG_COMP_CNT: 0
; COMPUTE_PGM_RSRC3_GFX90A:ACCUM_OFFSET: 0
; COMPUTE_PGM_RSRC3_GFX90A:TG_SPLIT: 0
	.section	.text._ZN7rocprim17ROCPRIM_400000_NS6detail17trampoline_kernelINS0_14default_configENS1_20scan_config_selectorIfEEZZNS1_9scan_implILNS1_25lookback_scan_determinismE0ELb0ELb0ES3_N6thrust23THRUST_200600_302600_NS6detail15normal_iteratorINS9_10device_ptrIfEEEESE_fNS9_4plusIvEEfEEDaPvRmT3_T4_T5_mT6_P12ihipStream_tbENKUlT_T0_E_clISt17integral_constantIbLb1EESU_EEDaSP_SQ_EUlSP_E_NS1_11comp_targetILNS1_3genE8ELNS1_11target_archE1030ELNS1_3gpuE2ELNS1_3repE0EEENS1_30default_config_static_selectorELNS0_4arch9wavefront6targetE1EEEvT1_,"axG",@progbits,_ZN7rocprim17ROCPRIM_400000_NS6detail17trampoline_kernelINS0_14default_configENS1_20scan_config_selectorIfEEZZNS1_9scan_implILNS1_25lookback_scan_determinismE0ELb0ELb0ES3_N6thrust23THRUST_200600_302600_NS6detail15normal_iteratorINS9_10device_ptrIfEEEESE_fNS9_4plusIvEEfEEDaPvRmT3_T4_T5_mT6_P12ihipStream_tbENKUlT_T0_E_clISt17integral_constantIbLb1EESU_EEDaSP_SQ_EUlSP_E_NS1_11comp_targetILNS1_3genE8ELNS1_11target_archE1030ELNS1_3gpuE2ELNS1_3repE0EEENS1_30default_config_static_selectorELNS0_4arch9wavefront6targetE1EEEvT1_,comdat
	.protected	_ZN7rocprim17ROCPRIM_400000_NS6detail17trampoline_kernelINS0_14default_configENS1_20scan_config_selectorIfEEZZNS1_9scan_implILNS1_25lookback_scan_determinismE0ELb0ELb0ES3_N6thrust23THRUST_200600_302600_NS6detail15normal_iteratorINS9_10device_ptrIfEEEESE_fNS9_4plusIvEEfEEDaPvRmT3_T4_T5_mT6_P12ihipStream_tbENKUlT_T0_E_clISt17integral_constantIbLb1EESU_EEDaSP_SQ_EUlSP_E_NS1_11comp_targetILNS1_3genE8ELNS1_11target_archE1030ELNS1_3gpuE2ELNS1_3repE0EEENS1_30default_config_static_selectorELNS0_4arch9wavefront6targetE1EEEvT1_ ; -- Begin function _ZN7rocprim17ROCPRIM_400000_NS6detail17trampoline_kernelINS0_14default_configENS1_20scan_config_selectorIfEEZZNS1_9scan_implILNS1_25lookback_scan_determinismE0ELb0ELb0ES3_N6thrust23THRUST_200600_302600_NS6detail15normal_iteratorINS9_10device_ptrIfEEEESE_fNS9_4plusIvEEfEEDaPvRmT3_T4_T5_mT6_P12ihipStream_tbENKUlT_T0_E_clISt17integral_constantIbLb1EESU_EEDaSP_SQ_EUlSP_E_NS1_11comp_targetILNS1_3genE8ELNS1_11target_archE1030ELNS1_3gpuE2ELNS1_3repE0EEENS1_30default_config_static_selectorELNS0_4arch9wavefront6targetE1EEEvT1_
	.globl	_ZN7rocprim17ROCPRIM_400000_NS6detail17trampoline_kernelINS0_14default_configENS1_20scan_config_selectorIfEEZZNS1_9scan_implILNS1_25lookback_scan_determinismE0ELb0ELb0ES3_N6thrust23THRUST_200600_302600_NS6detail15normal_iteratorINS9_10device_ptrIfEEEESE_fNS9_4plusIvEEfEEDaPvRmT3_T4_T5_mT6_P12ihipStream_tbENKUlT_T0_E_clISt17integral_constantIbLb1EESU_EEDaSP_SQ_EUlSP_E_NS1_11comp_targetILNS1_3genE8ELNS1_11target_archE1030ELNS1_3gpuE2ELNS1_3repE0EEENS1_30default_config_static_selectorELNS0_4arch9wavefront6targetE1EEEvT1_
	.p2align	8
	.type	_ZN7rocprim17ROCPRIM_400000_NS6detail17trampoline_kernelINS0_14default_configENS1_20scan_config_selectorIfEEZZNS1_9scan_implILNS1_25lookback_scan_determinismE0ELb0ELb0ES3_N6thrust23THRUST_200600_302600_NS6detail15normal_iteratorINS9_10device_ptrIfEEEESE_fNS9_4plusIvEEfEEDaPvRmT3_T4_T5_mT6_P12ihipStream_tbENKUlT_T0_E_clISt17integral_constantIbLb1EESU_EEDaSP_SQ_EUlSP_E_NS1_11comp_targetILNS1_3genE8ELNS1_11target_archE1030ELNS1_3gpuE2ELNS1_3repE0EEENS1_30default_config_static_selectorELNS0_4arch9wavefront6targetE1EEEvT1_,@function
_ZN7rocprim17ROCPRIM_400000_NS6detail17trampoline_kernelINS0_14default_configENS1_20scan_config_selectorIfEEZZNS1_9scan_implILNS1_25lookback_scan_determinismE0ELb0ELb0ES3_N6thrust23THRUST_200600_302600_NS6detail15normal_iteratorINS9_10device_ptrIfEEEESE_fNS9_4plusIvEEfEEDaPvRmT3_T4_T5_mT6_P12ihipStream_tbENKUlT_T0_E_clISt17integral_constantIbLb1EESU_EEDaSP_SQ_EUlSP_E_NS1_11comp_targetILNS1_3genE8ELNS1_11target_archE1030ELNS1_3gpuE2ELNS1_3repE0EEENS1_30default_config_static_selectorELNS0_4arch9wavefront6targetE1EEEvT1_: ; @_ZN7rocprim17ROCPRIM_400000_NS6detail17trampoline_kernelINS0_14default_configENS1_20scan_config_selectorIfEEZZNS1_9scan_implILNS1_25lookback_scan_determinismE0ELb0ELb0ES3_N6thrust23THRUST_200600_302600_NS6detail15normal_iteratorINS9_10device_ptrIfEEEESE_fNS9_4plusIvEEfEEDaPvRmT3_T4_T5_mT6_P12ihipStream_tbENKUlT_T0_E_clISt17integral_constantIbLb1EESU_EEDaSP_SQ_EUlSP_E_NS1_11comp_targetILNS1_3genE8ELNS1_11target_archE1030ELNS1_3gpuE2ELNS1_3repE0EEENS1_30default_config_static_selectorELNS0_4arch9wavefront6targetE1EEEvT1_
; %bb.0:
	.section	.rodata,"a",@progbits
	.p2align	6, 0x0
	.amdhsa_kernel _ZN7rocprim17ROCPRIM_400000_NS6detail17trampoline_kernelINS0_14default_configENS1_20scan_config_selectorIfEEZZNS1_9scan_implILNS1_25lookback_scan_determinismE0ELb0ELb0ES3_N6thrust23THRUST_200600_302600_NS6detail15normal_iteratorINS9_10device_ptrIfEEEESE_fNS9_4plusIvEEfEEDaPvRmT3_T4_T5_mT6_P12ihipStream_tbENKUlT_T0_E_clISt17integral_constantIbLb1EESU_EEDaSP_SQ_EUlSP_E_NS1_11comp_targetILNS1_3genE8ELNS1_11target_archE1030ELNS1_3gpuE2ELNS1_3repE0EEENS1_30default_config_static_selectorELNS0_4arch9wavefront6targetE1EEEvT1_
		.amdhsa_group_segment_fixed_size 0
		.amdhsa_private_segment_fixed_size 0
		.amdhsa_kernarg_size 96
		.amdhsa_user_sgpr_count 6
		.amdhsa_user_sgpr_private_segment_buffer 1
		.amdhsa_user_sgpr_dispatch_ptr 0
		.amdhsa_user_sgpr_queue_ptr 0
		.amdhsa_user_sgpr_kernarg_segment_ptr 1
		.amdhsa_user_sgpr_dispatch_id 0
		.amdhsa_user_sgpr_flat_scratch_init 0
		.amdhsa_user_sgpr_kernarg_preload_length 0
		.amdhsa_user_sgpr_kernarg_preload_offset 0
		.amdhsa_user_sgpr_private_segment_size 0
		.amdhsa_uses_dynamic_stack 0
		.amdhsa_system_sgpr_private_segment_wavefront_offset 0
		.amdhsa_system_sgpr_workgroup_id_x 1
		.amdhsa_system_sgpr_workgroup_id_y 0
		.amdhsa_system_sgpr_workgroup_id_z 0
		.amdhsa_system_sgpr_workgroup_info 0
		.amdhsa_system_vgpr_workitem_id 0
		.amdhsa_next_free_vgpr 1
		.amdhsa_next_free_sgpr 0
		.amdhsa_accum_offset 4
		.amdhsa_reserve_vcc 0
		.amdhsa_reserve_flat_scratch 0
		.amdhsa_float_round_mode_32 0
		.amdhsa_float_round_mode_16_64 0
		.amdhsa_float_denorm_mode_32 3
		.amdhsa_float_denorm_mode_16_64 3
		.amdhsa_dx10_clamp 1
		.amdhsa_ieee_mode 1
		.amdhsa_fp16_overflow 0
		.amdhsa_tg_split 0
		.amdhsa_exception_fp_ieee_invalid_op 0
		.amdhsa_exception_fp_denorm_src 0
		.amdhsa_exception_fp_ieee_div_zero 0
		.amdhsa_exception_fp_ieee_overflow 0
		.amdhsa_exception_fp_ieee_underflow 0
		.amdhsa_exception_fp_ieee_inexact 0
		.amdhsa_exception_int_div_zero 0
	.end_amdhsa_kernel
	.section	.text._ZN7rocprim17ROCPRIM_400000_NS6detail17trampoline_kernelINS0_14default_configENS1_20scan_config_selectorIfEEZZNS1_9scan_implILNS1_25lookback_scan_determinismE0ELb0ELb0ES3_N6thrust23THRUST_200600_302600_NS6detail15normal_iteratorINS9_10device_ptrIfEEEESE_fNS9_4plusIvEEfEEDaPvRmT3_T4_T5_mT6_P12ihipStream_tbENKUlT_T0_E_clISt17integral_constantIbLb1EESU_EEDaSP_SQ_EUlSP_E_NS1_11comp_targetILNS1_3genE8ELNS1_11target_archE1030ELNS1_3gpuE2ELNS1_3repE0EEENS1_30default_config_static_selectorELNS0_4arch9wavefront6targetE1EEEvT1_,"axG",@progbits,_ZN7rocprim17ROCPRIM_400000_NS6detail17trampoline_kernelINS0_14default_configENS1_20scan_config_selectorIfEEZZNS1_9scan_implILNS1_25lookback_scan_determinismE0ELb0ELb0ES3_N6thrust23THRUST_200600_302600_NS6detail15normal_iteratorINS9_10device_ptrIfEEEESE_fNS9_4plusIvEEfEEDaPvRmT3_T4_T5_mT6_P12ihipStream_tbENKUlT_T0_E_clISt17integral_constantIbLb1EESU_EEDaSP_SQ_EUlSP_E_NS1_11comp_targetILNS1_3genE8ELNS1_11target_archE1030ELNS1_3gpuE2ELNS1_3repE0EEENS1_30default_config_static_selectorELNS0_4arch9wavefront6targetE1EEEvT1_,comdat
.Lfunc_end4312:
	.size	_ZN7rocprim17ROCPRIM_400000_NS6detail17trampoline_kernelINS0_14default_configENS1_20scan_config_selectorIfEEZZNS1_9scan_implILNS1_25lookback_scan_determinismE0ELb0ELb0ES3_N6thrust23THRUST_200600_302600_NS6detail15normal_iteratorINS9_10device_ptrIfEEEESE_fNS9_4plusIvEEfEEDaPvRmT3_T4_T5_mT6_P12ihipStream_tbENKUlT_T0_E_clISt17integral_constantIbLb1EESU_EEDaSP_SQ_EUlSP_E_NS1_11comp_targetILNS1_3genE8ELNS1_11target_archE1030ELNS1_3gpuE2ELNS1_3repE0EEENS1_30default_config_static_selectorELNS0_4arch9wavefront6targetE1EEEvT1_, .Lfunc_end4312-_ZN7rocprim17ROCPRIM_400000_NS6detail17trampoline_kernelINS0_14default_configENS1_20scan_config_selectorIfEEZZNS1_9scan_implILNS1_25lookback_scan_determinismE0ELb0ELb0ES3_N6thrust23THRUST_200600_302600_NS6detail15normal_iteratorINS9_10device_ptrIfEEEESE_fNS9_4plusIvEEfEEDaPvRmT3_T4_T5_mT6_P12ihipStream_tbENKUlT_T0_E_clISt17integral_constantIbLb1EESU_EEDaSP_SQ_EUlSP_E_NS1_11comp_targetILNS1_3genE8ELNS1_11target_archE1030ELNS1_3gpuE2ELNS1_3repE0EEENS1_30default_config_static_selectorELNS0_4arch9wavefront6targetE1EEEvT1_
                                        ; -- End function
	.section	.AMDGPU.csdata,"",@progbits
; Kernel info:
; codeLenInByte = 0
; NumSgprs: 4
; NumVgprs: 0
; NumAgprs: 0
; TotalNumVgprs: 0
; ScratchSize: 0
; MemoryBound: 0
; FloatMode: 240
; IeeeMode: 1
; LDSByteSize: 0 bytes/workgroup (compile time only)
; SGPRBlocks: 0
; VGPRBlocks: 0
; NumSGPRsForWavesPerEU: 4
; NumVGPRsForWavesPerEU: 1
; AccumOffset: 4
; Occupancy: 8
; WaveLimiterHint : 0
; COMPUTE_PGM_RSRC2:SCRATCH_EN: 0
; COMPUTE_PGM_RSRC2:USER_SGPR: 6
; COMPUTE_PGM_RSRC2:TRAP_HANDLER: 0
; COMPUTE_PGM_RSRC2:TGID_X_EN: 1
; COMPUTE_PGM_RSRC2:TGID_Y_EN: 0
; COMPUTE_PGM_RSRC2:TGID_Z_EN: 0
; COMPUTE_PGM_RSRC2:TIDIG_COMP_CNT: 0
; COMPUTE_PGM_RSRC3_GFX90A:ACCUM_OFFSET: 0
; COMPUTE_PGM_RSRC3_GFX90A:TG_SPLIT: 0
	.section	.text._ZN7rocprim17ROCPRIM_400000_NS6detail17trampoline_kernelINS0_14default_configENS1_20scan_config_selectorIfEEZZNS1_9scan_implILNS1_25lookback_scan_determinismE0ELb0ELb0ES3_N6thrust23THRUST_200600_302600_NS6detail15normal_iteratorINS9_10device_ptrIfEEEESE_fNS9_4plusIvEEfEEDaPvRmT3_T4_T5_mT6_P12ihipStream_tbENKUlT_T0_E_clISt17integral_constantIbLb1EESU_EEDaSP_SQ_EUlSP_E0_NS1_11comp_targetILNS1_3genE0ELNS1_11target_archE4294967295ELNS1_3gpuE0ELNS1_3repE0EEENS1_30default_config_static_selectorELNS0_4arch9wavefront6targetE1EEEvT1_,"axG",@progbits,_ZN7rocprim17ROCPRIM_400000_NS6detail17trampoline_kernelINS0_14default_configENS1_20scan_config_selectorIfEEZZNS1_9scan_implILNS1_25lookback_scan_determinismE0ELb0ELb0ES3_N6thrust23THRUST_200600_302600_NS6detail15normal_iteratorINS9_10device_ptrIfEEEESE_fNS9_4plusIvEEfEEDaPvRmT3_T4_T5_mT6_P12ihipStream_tbENKUlT_T0_E_clISt17integral_constantIbLb1EESU_EEDaSP_SQ_EUlSP_E0_NS1_11comp_targetILNS1_3genE0ELNS1_11target_archE4294967295ELNS1_3gpuE0ELNS1_3repE0EEENS1_30default_config_static_selectorELNS0_4arch9wavefront6targetE1EEEvT1_,comdat
	.protected	_ZN7rocprim17ROCPRIM_400000_NS6detail17trampoline_kernelINS0_14default_configENS1_20scan_config_selectorIfEEZZNS1_9scan_implILNS1_25lookback_scan_determinismE0ELb0ELb0ES3_N6thrust23THRUST_200600_302600_NS6detail15normal_iteratorINS9_10device_ptrIfEEEESE_fNS9_4plusIvEEfEEDaPvRmT3_T4_T5_mT6_P12ihipStream_tbENKUlT_T0_E_clISt17integral_constantIbLb1EESU_EEDaSP_SQ_EUlSP_E0_NS1_11comp_targetILNS1_3genE0ELNS1_11target_archE4294967295ELNS1_3gpuE0ELNS1_3repE0EEENS1_30default_config_static_selectorELNS0_4arch9wavefront6targetE1EEEvT1_ ; -- Begin function _ZN7rocprim17ROCPRIM_400000_NS6detail17trampoline_kernelINS0_14default_configENS1_20scan_config_selectorIfEEZZNS1_9scan_implILNS1_25lookback_scan_determinismE0ELb0ELb0ES3_N6thrust23THRUST_200600_302600_NS6detail15normal_iteratorINS9_10device_ptrIfEEEESE_fNS9_4plusIvEEfEEDaPvRmT3_T4_T5_mT6_P12ihipStream_tbENKUlT_T0_E_clISt17integral_constantIbLb1EESU_EEDaSP_SQ_EUlSP_E0_NS1_11comp_targetILNS1_3genE0ELNS1_11target_archE4294967295ELNS1_3gpuE0ELNS1_3repE0EEENS1_30default_config_static_selectorELNS0_4arch9wavefront6targetE1EEEvT1_
	.globl	_ZN7rocprim17ROCPRIM_400000_NS6detail17trampoline_kernelINS0_14default_configENS1_20scan_config_selectorIfEEZZNS1_9scan_implILNS1_25lookback_scan_determinismE0ELb0ELb0ES3_N6thrust23THRUST_200600_302600_NS6detail15normal_iteratorINS9_10device_ptrIfEEEESE_fNS9_4plusIvEEfEEDaPvRmT3_T4_T5_mT6_P12ihipStream_tbENKUlT_T0_E_clISt17integral_constantIbLb1EESU_EEDaSP_SQ_EUlSP_E0_NS1_11comp_targetILNS1_3genE0ELNS1_11target_archE4294967295ELNS1_3gpuE0ELNS1_3repE0EEENS1_30default_config_static_selectorELNS0_4arch9wavefront6targetE1EEEvT1_
	.p2align	8
	.type	_ZN7rocprim17ROCPRIM_400000_NS6detail17trampoline_kernelINS0_14default_configENS1_20scan_config_selectorIfEEZZNS1_9scan_implILNS1_25lookback_scan_determinismE0ELb0ELb0ES3_N6thrust23THRUST_200600_302600_NS6detail15normal_iteratorINS9_10device_ptrIfEEEESE_fNS9_4plusIvEEfEEDaPvRmT3_T4_T5_mT6_P12ihipStream_tbENKUlT_T0_E_clISt17integral_constantIbLb1EESU_EEDaSP_SQ_EUlSP_E0_NS1_11comp_targetILNS1_3genE0ELNS1_11target_archE4294967295ELNS1_3gpuE0ELNS1_3repE0EEENS1_30default_config_static_selectorELNS0_4arch9wavefront6targetE1EEEvT1_,@function
_ZN7rocprim17ROCPRIM_400000_NS6detail17trampoline_kernelINS0_14default_configENS1_20scan_config_selectorIfEEZZNS1_9scan_implILNS1_25lookback_scan_determinismE0ELb0ELb0ES3_N6thrust23THRUST_200600_302600_NS6detail15normal_iteratorINS9_10device_ptrIfEEEESE_fNS9_4plusIvEEfEEDaPvRmT3_T4_T5_mT6_P12ihipStream_tbENKUlT_T0_E_clISt17integral_constantIbLb1EESU_EEDaSP_SQ_EUlSP_E0_NS1_11comp_targetILNS1_3genE0ELNS1_11target_archE4294967295ELNS1_3gpuE0ELNS1_3repE0EEENS1_30default_config_static_selectorELNS0_4arch9wavefront6targetE1EEEvT1_: ; @_ZN7rocprim17ROCPRIM_400000_NS6detail17trampoline_kernelINS0_14default_configENS1_20scan_config_selectorIfEEZZNS1_9scan_implILNS1_25lookback_scan_determinismE0ELb0ELb0ES3_N6thrust23THRUST_200600_302600_NS6detail15normal_iteratorINS9_10device_ptrIfEEEESE_fNS9_4plusIvEEfEEDaPvRmT3_T4_T5_mT6_P12ihipStream_tbENKUlT_T0_E_clISt17integral_constantIbLb1EESU_EEDaSP_SQ_EUlSP_E0_NS1_11comp_targetILNS1_3genE0ELNS1_11target_archE4294967295ELNS1_3gpuE0ELNS1_3repE0EEENS1_30default_config_static_selectorELNS0_4arch9wavefront6targetE1EEEvT1_
; %bb.0:
	.section	.rodata,"a",@progbits
	.p2align	6, 0x0
	.amdhsa_kernel _ZN7rocprim17ROCPRIM_400000_NS6detail17trampoline_kernelINS0_14default_configENS1_20scan_config_selectorIfEEZZNS1_9scan_implILNS1_25lookback_scan_determinismE0ELb0ELb0ES3_N6thrust23THRUST_200600_302600_NS6detail15normal_iteratorINS9_10device_ptrIfEEEESE_fNS9_4plusIvEEfEEDaPvRmT3_T4_T5_mT6_P12ihipStream_tbENKUlT_T0_E_clISt17integral_constantIbLb1EESU_EEDaSP_SQ_EUlSP_E0_NS1_11comp_targetILNS1_3genE0ELNS1_11target_archE4294967295ELNS1_3gpuE0ELNS1_3repE0EEENS1_30default_config_static_selectorELNS0_4arch9wavefront6targetE1EEEvT1_
		.amdhsa_group_segment_fixed_size 0
		.amdhsa_private_segment_fixed_size 0
		.amdhsa_kernarg_size 32
		.amdhsa_user_sgpr_count 6
		.amdhsa_user_sgpr_private_segment_buffer 1
		.amdhsa_user_sgpr_dispatch_ptr 0
		.amdhsa_user_sgpr_queue_ptr 0
		.amdhsa_user_sgpr_kernarg_segment_ptr 1
		.amdhsa_user_sgpr_dispatch_id 0
		.amdhsa_user_sgpr_flat_scratch_init 0
		.amdhsa_user_sgpr_kernarg_preload_length 0
		.amdhsa_user_sgpr_kernarg_preload_offset 0
		.amdhsa_user_sgpr_private_segment_size 0
		.amdhsa_uses_dynamic_stack 0
		.amdhsa_system_sgpr_private_segment_wavefront_offset 0
		.amdhsa_system_sgpr_workgroup_id_x 1
		.amdhsa_system_sgpr_workgroup_id_y 0
		.amdhsa_system_sgpr_workgroup_id_z 0
		.amdhsa_system_sgpr_workgroup_info 0
		.amdhsa_system_vgpr_workitem_id 0
		.amdhsa_next_free_vgpr 1
		.amdhsa_next_free_sgpr 0
		.amdhsa_accum_offset 4
		.amdhsa_reserve_vcc 0
		.amdhsa_reserve_flat_scratch 0
		.amdhsa_float_round_mode_32 0
		.amdhsa_float_round_mode_16_64 0
		.amdhsa_float_denorm_mode_32 3
		.amdhsa_float_denorm_mode_16_64 3
		.amdhsa_dx10_clamp 1
		.amdhsa_ieee_mode 1
		.amdhsa_fp16_overflow 0
		.amdhsa_tg_split 0
		.amdhsa_exception_fp_ieee_invalid_op 0
		.amdhsa_exception_fp_denorm_src 0
		.amdhsa_exception_fp_ieee_div_zero 0
		.amdhsa_exception_fp_ieee_overflow 0
		.amdhsa_exception_fp_ieee_underflow 0
		.amdhsa_exception_fp_ieee_inexact 0
		.amdhsa_exception_int_div_zero 0
	.end_amdhsa_kernel
	.section	.text._ZN7rocprim17ROCPRIM_400000_NS6detail17trampoline_kernelINS0_14default_configENS1_20scan_config_selectorIfEEZZNS1_9scan_implILNS1_25lookback_scan_determinismE0ELb0ELb0ES3_N6thrust23THRUST_200600_302600_NS6detail15normal_iteratorINS9_10device_ptrIfEEEESE_fNS9_4plusIvEEfEEDaPvRmT3_T4_T5_mT6_P12ihipStream_tbENKUlT_T0_E_clISt17integral_constantIbLb1EESU_EEDaSP_SQ_EUlSP_E0_NS1_11comp_targetILNS1_3genE0ELNS1_11target_archE4294967295ELNS1_3gpuE0ELNS1_3repE0EEENS1_30default_config_static_selectorELNS0_4arch9wavefront6targetE1EEEvT1_,"axG",@progbits,_ZN7rocprim17ROCPRIM_400000_NS6detail17trampoline_kernelINS0_14default_configENS1_20scan_config_selectorIfEEZZNS1_9scan_implILNS1_25lookback_scan_determinismE0ELb0ELb0ES3_N6thrust23THRUST_200600_302600_NS6detail15normal_iteratorINS9_10device_ptrIfEEEESE_fNS9_4plusIvEEfEEDaPvRmT3_T4_T5_mT6_P12ihipStream_tbENKUlT_T0_E_clISt17integral_constantIbLb1EESU_EEDaSP_SQ_EUlSP_E0_NS1_11comp_targetILNS1_3genE0ELNS1_11target_archE4294967295ELNS1_3gpuE0ELNS1_3repE0EEENS1_30default_config_static_selectorELNS0_4arch9wavefront6targetE1EEEvT1_,comdat
.Lfunc_end4313:
	.size	_ZN7rocprim17ROCPRIM_400000_NS6detail17trampoline_kernelINS0_14default_configENS1_20scan_config_selectorIfEEZZNS1_9scan_implILNS1_25lookback_scan_determinismE0ELb0ELb0ES3_N6thrust23THRUST_200600_302600_NS6detail15normal_iteratorINS9_10device_ptrIfEEEESE_fNS9_4plusIvEEfEEDaPvRmT3_T4_T5_mT6_P12ihipStream_tbENKUlT_T0_E_clISt17integral_constantIbLb1EESU_EEDaSP_SQ_EUlSP_E0_NS1_11comp_targetILNS1_3genE0ELNS1_11target_archE4294967295ELNS1_3gpuE0ELNS1_3repE0EEENS1_30default_config_static_selectorELNS0_4arch9wavefront6targetE1EEEvT1_, .Lfunc_end4313-_ZN7rocprim17ROCPRIM_400000_NS6detail17trampoline_kernelINS0_14default_configENS1_20scan_config_selectorIfEEZZNS1_9scan_implILNS1_25lookback_scan_determinismE0ELb0ELb0ES3_N6thrust23THRUST_200600_302600_NS6detail15normal_iteratorINS9_10device_ptrIfEEEESE_fNS9_4plusIvEEfEEDaPvRmT3_T4_T5_mT6_P12ihipStream_tbENKUlT_T0_E_clISt17integral_constantIbLb1EESU_EEDaSP_SQ_EUlSP_E0_NS1_11comp_targetILNS1_3genE0ELNS1_11target_archE4294967295ELNS1_3gpuE0ELNS1_3repE0EEENS1_30default_config_static_selectorELNS0_4arch9wavefront6targetE1EEEvT1_
                                        ; -- End function
	.section	.AMDGPU.csdata,"",@progbits
; Kernel info:
; codeLenInByte = 0
; NumSgprs: 4
; NumVgprs: 0
; NumAgprs: 0
; TotalNumVgprs: 0
; ScratchSize: 0
; MemoryBound: 0
; FloatMode: 240
; IeeeMode: 1
; LDSByteSize: 0 bytes/workgroup (compile time only)
; SGPRBlocks: 0
; VGPRBlocks: 0
; NumSGPRsForWavesPerEU: 4
; NumVGPRsForWavesPerEU: 1
; AccumOffset: 4
; Occupancy: 8
; WaveLimiterHint : 0
; COMPUTE_PGM_RSRC2:SCRATCH_EN: 0
; COMPUTE_PGM_RSRC2:USER_SGPR: 6
; COMPUTE_PGM_RSRC2:TRAP_HANDLER: 0
; COMPUTE_PGM_RSRC2:TGID_X_EN: 1
; COMPUTE_PGM_RSRC2:TGID_Y_EN: 0
; COMPUTE_PGM_RSRC2:TGID_Z_EN: 0
; COMPUTE_PGM_RSRC2:TIDIG_COMP_CNT: 0
; COMPUTE_PGM_RSRC3_GFX90A:ACCUM_OFFSET: 0
; COMPUTE_PGM_RSRC3_GFX90A:TG_SPLIT: 0
	.section	.text._ZN7rocprim17ROCPRIM_400000_NS6detail17trampoline_kernelINS0_14default_configENS1_20scan_config_selectorIfEEZZNS1_9scan_implILNS1_25lookback_scan_determinismE0ELb0ELb0ES3_N6thrust23THRUST_200600_302600_NS6detail15normal_iteratorINS9_10device_ptrIfEEEESE_fNS9_4plusIvEEfEEDaPvRmT3_T4_T5_mT6_P12ihipStream_tbENKUlT_T0_E_clISt17integral_constantIbLb1EESU_EEDaSP_SQ_EUlSP_E0_NS1_11comp_targetILNS1_3genE5ELNS1_11target_archE942ELNS1_3gpuE9ELNS1_3repE0EEENS1_30default_config_static_selectorELNS0_4arch9wavefront6targetE1EEEvT1_,"axG",@progbits,_ZN7rocprim17ROCPRIM_400000_NS6detail17trampoline_kernelINS0_14default_configENS1_20scan_config_selectorIfEEZZNS1_9scan_implILNS1_25lookback_scan_determinismE0ELb0ELb0ES3_N6thrust23THRUST_200600_302600_NS6detail15normal_iteratorINS9_10device_ptrIfEEEESE_fNS9_4plusIvEEfEEDaPvRmT3_T4_T5_mT6_P12ihipStream_tbENKUlT_T0_E_clISt17integral_constantIbLb1EESU_EEDaSP_SQ_EUlSP_E0_NS1_11comp_targetILNS1_3genE5ELNS1_11target_archE942ELNS1_3gpuE9ELNS1_3repE0EEENS1_30default_config_static_selectorELNS0_4arch9wavefront6targetE1EEEvT1_,comdat
	.protected	_ZN7rocprim17ROCPRIM_400000_NS6detail17trampoline_kernelINS0_14default_configENS1_20scan_config_selectorIfEEZZNS1_9scan_implILNS1_25lookback_scan_determinismE0ELb0ELb0ES3_N6thrust23THRUST_200600_302600_NS6detail15normal_iteratorINS9_10device_ptrIfEEEESE_fNS9_4plusIvEEfEEDaPvRmT3_T4_T5_mT6_P12ihipStream_tbENKUlT_T0_E_clISt17integral_constantIbLb1EESU_EEDaSP_SQ_EUlSP_E0_NS1_11comp_targetILNS1_3genE5ELNS1_11target_archE942ELNS1_3gpuE9ELNS1_3repE0EEENS1_30default_config_static_selectorELNS0_4arch9wavefront6targetE1EEEvT1_ ; -- Begin function _ZN7rocprim17ROCPRIM_400000_NS6detail17trampoline_kernelINS0_14default_configENS1_20scan_config_selectorIfEEZZNS1_9scan_implILNS1_25lookback_scan_determinismE0ELb0ELb0ES3_N6thrust23THRUST_200600_302600_NS6detail15normal_iteratorINS9_10device_ptrIfEEEESE_fNS9_4plusIvEEfEEDaPvRmT3_T4_T5_mT6_P12ihipStream_tbENKUlT_T0_E_clISt17integral_constantIbLb1EESU_EEDaSP_SQ_EUlSP_E0_NS1_11comp_targetILNS1_3genE5ELNS1_11target_archE942ELNS1_3gpuE9ELNS1_3repE0EEENS1_30default_config_static_selectorELNS0_4arch9wavefront6targetE1EEEvT1_
	.globl	_ZN7rocprim17ROCPRIM_400000_NS6detail17trampoline_kernelINS0_14default_configENS1_20scan_config_selectorIfEEZZNS1_9scan_implILNS1_25lookback_scan_determinismE0ELb0ELb0ES3_N6thrust23THRUST_200600_302600_NS6detail15normal_iteratorINS9_10device_ptrIfEEEESE_fNS9_4plusIvEEfEEDaPvRmT3_T4_T5_mT6_P12ihipStream_tbENKUlT_T0_E_clISt17integral_constantIbLb1EESU_EEDaSP_SQ_EUlSP_E0_NS1_11comp_targetILNS1_3genE5ELNS1_11target_archE942ELNS1_3gpuE9ELNS1_3repE0EEENS1_30default_config_static_selectorELNS0_4arch9wavefront6targetE1EEEvT1_
	.p2align	8
	.type	_ZN7rocprim17ROCPRIM_400000_NS6detail17trampoline_kernelINS0_14default_configENS1_20scan_config_selectorIfEEZZNS1_9scan_implILNS1_25lookback_scan_determinismE0ELb0ELb0ES3_N6thrust23THRUST_200600_302600_NS6detail15normal_iteratorINS9_10device_ptrIfEEEESE_fNS9_4plusIvEEfEEDaPvRmT3_T4_T5_mT6_P12ihipStream_tbENKUlT_T0_E_clISt17integral_constantIbLb1EESU_EEDaSP_SQ_EUlSP_E0_NS1_11comp_targetILNS1_3genE5ELNS1_11target_archE942ELNS1_3gpuE9ELNS1_3repE0EEENS1_30default_config_static_selectorELNS0_4arch9wavefront6targetE1EEEvT1_,@function
_ZN7rocprim17ROCPRIM_400000_NS6detail17trampoline_kernelINS0_14default_configENS1_20scan_config_selectorIfEEZZNS1_9scan_implILNS1_25lookback_scan_determinismE0ELb0ELb0ES3_N6thrust23THRUST_200600_302600_NS6detail15normal_iteratorINS9_10device_ptrIfEEEESE_fNS9_4plusIvEEfEEDaPvRmT3_T4_T5_mT6_P12ihipStream_tbENKUlT_T0_E_clISt17integral_constantIbLb1EESU_EEDaSP_SQ_EUlSP_E0_NS1_11comp_targetILNS1_3genE5ELNS1_11target_archE942ELNS1_3gpuE9ELNS1_3repE0EEENS1_30default_config_static_selectorELNS0_4arch9wavefront6targetE1EEEvT1_: ; @_ZN7rocprim17ROCPRIM_400000_NS6detail17trampoline_kernelINS0_14default_configENS1_20scan_config_selectorIfEEZZNS1_9scan_implILNS1_25lookback_scan_determinismE0ELb0ELb0ES3_N6thrust23THRUST_200600_302600_NS6detail15normal_iteratorINS9_10device_ptrIfEEEESE_fNS9_4plusIvEEfEEDaPvRmT3_T4_T5_mT6_P12ihipStream_tbENKUlT_T0_E_clISt17integral_constantIbLb1EESU_EEDaSP_SQ_EUlSP_E0_NS1_11comp_targetILNS1_3genE5ELNS1_11target_archE942ELNS1_3gpuE9ELNS1_3repE0EEENS1_30default_config_static_selectorELNS0_4arch9wavefront6targetE1EEEvT1_
; %bb.0:
	.section	.rodata,"a",@progbits
	.p2align	6, 0x0
	.amdhsa_kernel _ZN7rocprim17ROCPRIM_400000_NS6detail17trampoline_kernelINS0_14default_configENS1_20scan_config_selectorIfEEZZNS1_9scan_implILNS1_25lookback_scan_determinismE0ELb0ELb0ES3_N6thrust23THRUST_200600_302600_NS6detail15normal_iteratorINS9_10device_ptrIfEEEESE_fNS9_4plusIvEEfEEDaPvRmT3_T4_T5_mT6_P12ihipStream_tbENKUlT_T0_E_clISt17integral_constantIbLb1EESU_EEDaSP_SQ_EUlSP_E0_NS1_11comp_targetILNS1_3genE5ELNS1_11target_archE942ELNS1_3gpuE9ELNS1_3repE0EEENS1_30default_config_static_selectorELNS0_4arch9wavefront6targetE1EEEvT1_
		.amdhsa_group_segment_fixed_size 0
		.amdhsa_private_segment_fixed_size 0
		.amdhsa_kernarg_size 32
		.amdhsa_user_sgpr_count 6
		.amdhsa_user_sgpr_private_segment_buffer 1
		.amdhsa_user_sgpr_dispatch_ptr 0
		.amdhsa_user_sgpr_queue_ptr 0
		.amdhsa_user_sgpr_kernarg_segment_ptr 1
		.amdhsa_user_sgpr_dispatch_id 0
		.amdhsa_user_sgpr_flat_scratch_init 0
		.amdhsa_user_sgpr_kernarg_preload_length 0
		.amdhsa_user_sgpr_kernarg_preload_offset 0
		.amdhsa_user_sgpr_private_segment_size 0
		.amdhsa_uses_dynamic_stack 0
		.amdhsa_system_sgpr_private_segment_wavefront_offset 0
		.amdhsa_system_sgpr_workgroup_id_x 1
		.amdhsa_system_sgpr_workgroup_id_y 0
		.amdhsa_system_sgpr_workgroup_id_z 0
		.amdhsa_system_sgpr_workgroup_info 0
		.amdhsa_system_vgpr_workitem_id 0
		.amdhsa_next_free_vgpr 1
		.amdhsa_next_free_sgpr 0
		.amdhsa_accum_offset 4
		.amdhsa_reserve_vcc 0
		.amdhsa_reserve_flat_scratch 0
		.amdhsa_float_round_mode_32 0
		.amdhsa_float_round_mode_16_64 0
		.amdhsa_float_denorm_mode_32 3
		.amdhsa_float_denorm_mode_16_64 3
		.amdhsa_dx10_clamp 1
		.amdhsa_ieee_mode 1
		.amdhsa_fp16_overflow 0
		.amdhsa_tg_split 0
		.amdhsa_exception_fp_ieee_invalid_op 0
		.amdhsa_exception_fp_denorm_src 0
		.amdhsa_exception_fp_ieee_div_zero 0
		.amdhsa_exception_fp_ieee_overflow 0
		.amdhsa_exception_fp_ieee_underflow 0
		.amdhsa_exception_fp_ieee_inexact 0
		.amdhsa_exception_int_div_zero 0
	.end_amdhsa_kernel
	.section	.text._ZN7rocprim17ROCPRIM_400000_NS6detail17trampoline_kernelINS0_14default_configENS1_20scan_config_selectorIfEEZZNS1_9scan_implILNS1_25lookback_scan_determinismE0ELb0ELb0ES3_N6thrust23THRUST_200600_302600_NS6detail15normal_iteratorINS9_10device_ptrIfEEEESE_fNS9_4plusIvEEfEEDaPvRmT3_T4_T5_mT6_P12ihipStream_tbENKUlT_T0_E_clISt17integral_constantIbLb1EESU_EEDaSP_SQ_EUlSP_E0_NS1_11comp_targetILNS1_3genE5ELNS1_11target_archE942ELNS1_3gpuE9ELNS1_3repE0EEENS1_30default_config_static_selectorELNS0_4arch9wavefront6targetE1EEEvT1_,"axG",@progbits,_ZN7rocprim17ROCPRIM_400000_NS6detail17trampoline_kernelINS0_14default_configENS1_20scan_config_selectorIfEEZZNS1_9scan_implILNS1_25lookback_scan_determinismE0ELb0ELb0ES3_N6thrust23THRUST_200600_302600_NS6detail15normal_iteratorINS9_10device_ptrIfEEEESE_fNS9_4plusIvEEfEEDaPvRmT3_T4_T5_mT6_P12ihipStream_tbENKUlT_T0_E_clISt17integral_constantIbLb1EESU_EEDaSP_SQ_EUlSP_E0_NS1_11comp_targetILNS1_3genE5ELNS1_11target_archE942ELNS1_3gpuE9ELNS1_3repE0EEENS1_30default_config_static_selectorELNS0_4arch9wavefront6targetE1EEEvT1_,comdat
.Lfunc_end4314:
	.size	_ZN7rocprim17ROCPRIM_400000_NS6detail17trampoline_kernelINS0_14default_configENS1_20scan_config_selectorIfEEZZNS1_9scan_implILNS1_25lookback_scan_determinismE0ELb0ELb0ES3_N6thrust23THRUST_200600_302600_NS6detail15normal_iteratorINS9_10device_ptrIfEEEESE_fNS9_4plusIvEEfEEDaPvRmT3_T4_T5_mT6_P12ihipStream_tbENKUlT_T0_E_clISt17integral_constantIbLb1EESU_EEDaSP_SQ_EUlSP_E0_NS1_11comp_targetILNS1_3genE5ELNS1_11target_archE942ELNS1_3gpuE9ELNS1_3repE0EEENS1_30default_config_static_selectorELNS0_4arch9wavefront6targetE1EEEvT1_, .Lfunc_end4314-_ZN7rocprim17ROCPRIM_400000_NS6detail17trampoline_kernelINS0_14default_configENS1_20scan_config_selectorIfEEZZNS1_9scan_implILNS1_25lookback_scan_determinismE0ELb0ELb0ES3_N6thrust23THRUST_200600_302600_NS6detail15normal_iteratorINS9_10device_ptrIfEEEESE_fNS9_4plusIvEEfEEDaPvRmT3_T4_T5_mT6_P12ihipStream_tbENKUlT_T0_E_clISt17integral_constantIbLb1EESU_EEDaSP_SQ_EUlSP_E0_NS1_11comp_targetILNS1_3genE5ELNS1_11target_archE942ELNS1_3gpuE9ELNS1_3repE0EEENS1_30default_config_static_selectorELNS0_4arch9wavefront6targetE1EEEvT1_
                                        ; -- End function
	.section	.AMDGPU.csdata,"",@progbits
; Kernel info:
; codeLenInByte = 0
; NumSgprs: 4
; NumVgprs: 0
; NumAgprs: 0
; TotalNumVgprs: 0
; ScratchSize: 0
; MemoryBound: 0
; FloatMode: 240
; IeeeMode: 1
; LDSByteSize: 0 bytes/workgroup (compile time only)
; SGPRBlocks: 0
; VGPRBlocks: 0
; NumSGPRsForWavesPerEU: 4
; NumVGPRsForWavesPerEU: 1
; AccumOffset: 4
; Occupancy: 8
; WaveLimiterHint : 0
; COMPUTE_PGM_RSRC2:SCRATCH_EN: 0
; COMPUTE_PGM_RSRC2:USER_SGPR: 6
; COMPUTE_PGM_RSRC2:TRAP_HANDLER: 0
; COMPUTE_PGM_RSRC2:TGID_X_EN: 1
; COMPUTE_PGM_RSRC2:TGID_Y_EN: 0
; COMPUTE_PGM_RSRC2:TGID_Z_EN: 0
; COMPUTE_PGM_RSRC2:TIDIG_COMP_CNT: 0
; COMPUTE_PGM_RSRC3_GFX90A:ACCUM_OFFSET: 0
; COMPUTE_PGM_RSRC3_GFX90A:TG_SPLIT: 0
	.section	.text._ZN7rocprim17ROCPRIM_400000_NS6detail17trampoline_kernelINS0_14default_configENS1_20scan_config_selectorIfEEZZNS1_9scan_implILNS1_25lookback_scan_determinismE0ELb0ELb0ES3_N6thrust23THRUST_200600_302600_NS6detail15normal_iteratorINS9_10device_ptrIfEEEESE_fNS9_4plusIvEEfEEDaPvRmT3_T4_T5_mT6_P12ihipStream_tbENKUlT_T0_E_clISt17integral_constantIbLb1EESU_EEDaSP_SQ_EUlSP_E0_NS1_11comp_targetILNS1_3genE4ELNS1_11target_archE910ELNS1_3gpuE8ELNS1_3repE0EEENS1_30default_config_static_selectorELNS0_4arch9wavefront6targetE1EEEvT1_,"axG",@progbits,_ZN7rocprim17ROCPRIM_400000_NS6detail17trampoline_kernelINS0_14default_configENS1_20scan_config_selectorIfEEZZNS1_9scan_implILNS1_25lookback_scan_determinismE0ELb0ELb0ES3_N6thrust23THRUST_200600_302600_NS6detail15normal_iteratorINS9_10device_ptrIfEEEESE_fNS9_4plusIvEEfEEDaPvRmT3_T4_T5_mT6_P12ihipStream_tbENKUlT_T0_E_clISt17integral_constantIbLb1EESU_EEDaSP_SQ_EUlSP_E0_NS1_11comp_targetILNS1_3genE4ELNS1_11target_archE910ELNS1_3gpuE8ELNS1_3repE0EEENS1_30default_config_static_selectorELNS0_4arch9wavefront6targetE1EEEvT1_,comdat
	.protected	_ZN7rocprim17ROCPRIM_400000_NS6detail17trampoline_kernelINS0_14default_configENS1_20scan_config_selectorIfEEZZNS1_9scan_implILNS1_25lookback_scan_determinismE0ELb0ELb0ES3_N6thrust23THRUST_200600_302600_NS6detail15normal_iteratorINS9_10device_ptrIfEEEESE_fNS9_4plusIvEEfEEDaPvRmT3_T4_T5_mT6_P12ihipStream_tbENKUlT_T0_E_clISt17integral_constantIbLb1EESU_EEDaSP_SQ_EUlSP_E0_NS1_11comp_targetILNS1_3genE4ELNS1_11target_archE910ELNS1_3gpuE8ELNS1_3repE0EEENS1_30default_config_static_selectorELNS0_4arch9wavefront6targetE1EEEvT1_ ; -- Begin function _ZN7rocprim17ROCPRIM_400000_NS6detail17trampoline_kernelINS0_14default_configENS1_20scan_config_selectorIfEEZZNS1_9scan_implILNS1_25lookback_scan_determinismE0ELb0ELb0ES3_N6thrust23THRUST_200600_302600_NS6detail15normal_iteratorINS9_10device_ptrIfEEEESE_fNS9_4plusIvEEfEEDaPvRmT3_T4_T5_mT6_P12ihipStream_tbENKUlT_T0_E_clISt17integral_constantIbLb1EESU_EEDaSP_SQ_EUlSP_E0_NS1_11comp_targetILNS1_3genE4ELNS1_11target_archE910ELNS1_3gpuE8ELNS1_3repE0EEENS1_30default_config_static_selectorELNS0_4arch9wavefront6targetE1EEEvT1_
	.globl	_ZN7rocprim17ROCPRIM_400000_NS6detail17trampoline_kernelINS0_14default_configENS1_20scan_config_selectorIfEEZZNS1_9scan_implILNS1_25lookback_scan_determinismE0ELb0ELb0ES3_N6thrust23THRUST_200600_302600_NS6detail15normal_iteratorINS9_10device_ptrIfEEEESE_fNS9_4plusIvEEfEEDaPvRmT3_T4_T5_mT6_P12ihipStream_tbENKUlT_T0_E_clISt17integral_constantIbLb1EESU_EEDaSP_SQ_EUlSP_E0_NS1_11comp_targetILNS1_3genE4ELNS1_11target_archE910ELNS1_3gpuE8ELNS1_3repE0EEENS1_30default_config_static_selectorELNS0_4arch9wavefront6targetE1EEEvT1_
	.p2align	8
	.type	_ZN7rocprim17ROCPRIM_400000_NS6detail17trampoline_kernelINS0_14default_configENS1_20scan_config_selectorIfEEZZNS1_9scan_implILNS1_25lookback_scan_determinismE0ELb0ELb0ES3_N6thrust23THRUST_200600_302600_NS6detail15normal_iteratorINS9_10device_ptrIfEEEESE_fNS9_4plusIvEEfEEDaPvRmT3_T4_T5_mT6_P12ihipStream_tbENKUlT_T0_E_clISt17integral_constantIbLb1EESU_EEDaSP_SQ_EUlSP_E0_NS1_11comp_targetILNS1_3genE4ELNS1_11target_archE910ELNS1_3gpuE8ELNS1_3repE0EEENS1_30default_config_static_selectorELNS0_4arch9wavefront6targetE1EEEvT1_,@function
_ZN7rocprim17ROCPRIM_400000_NS6detail17trampoline_kernelINS0_14default_configENS1_20scan_config_selectorIfEEZZNS1_9scan_implILNS1_25lookback_scan_determinismE0ELb0ELb0ES3_N6thrust23THRUST_200600_302600_NS6detail15normal_iteratorINS9_10device_ptrIfEEEESE_fNS9_4plusIvEEfEEDaPvRmT3_T4_T5_mT6_P12ihipStream_tbENKUlT_T0_E_clISt17integral_constantIbLb1EESU_EEDaSP_SQ_EUlSP_E0_NS1_11comp_targetILNS1_3genE4ELNS1_11target_archE910ELNS1_3gpuE8ELNS1_3repE0EEENS1_30default_config_static_selectorELNS0_4arch9wavefront6targetE1EEEvT1_: ; @_ZN7rocprim17ROCPRIM_400000_NS6detail17trampoline_kernelINS0_14default_configENS1_20scan_config_selectorIfEEZZNS1_9scan_implILNS1_25lookback_scan_determinismE0ELb0ELb0ES3_N6thrust23THRUST_200600_302600_NS6detail15normal_iteratorINS9_10device_ptrIfEEEESE_fNS9_4plusIvEEfEEDaPvRmT3_T4_T5_mT6_P12ihipStream_tbENKUlT_T0_E_clISt17integral_constantIbLb1EESU_EEDaSP_SQ_EUlSP_E0_NS1_11comp_targetILNS1_3genE4ELNS1_11target_archE910ELNS1_3gpuE8ELNS1_3repE0EEENS1_30default_config_static_selectorELNS0_4arch9wavefront6targetE1EEEvT1_
; %bb.0:
	s_load_dwordx4 s[28:31], s[4:5], 0x0
	v_lshlrev_b32_e32 v30, 2, v0
	s_waitcnt lgkmcnt(0)
	s_load_dword s31, s[28:29], 0x0
	v_cmp_gt_u32_e32 vcc, s30, v0
	s_waitcnt lgkmcnt(0)
	v_mov_b32_e32 v1, s31
	s_and_saveexec_b64 s[0:1], vcc
	s_cbranch_execz .LBB4315_2
; %bb.1:
	global_load_dword v1, v30, s[28:29]
.LBB4315_2:
	s_or_b64 exec, exec, s[0:1]
	v_or_b32_e32 v2, 0x80, v0
	v_cmp_gt_u32_e64 s[0:1], s30, v2
	v_mov_b32_e32 v2, s31
	s_and_saveexec_b64 s[2:3], s[0:1]
	s_cbranch_execz .LBB4315_4
; %bb.3:
	global_load_dword v2, v30, s[28:29] offset:512
.LBB4315_4:
	s_or_b64 exec, exec, s[2:3]
	v_or_b32_e32 v3, 0x100, v0
	v_cmp_gt_u32_e64 s[2:3], s30, v3
	v_mov_b32_e32 v3, s31
	s_and_saveexec_b64 s[6:7], s[2:3]
	s_cbranch_execz .LBB4315_6
; %bb.5:
	global_load_dword v3, v30, s[28:29] offset:1024
.LBB4315_6:
	;; [unrolled: 9-line block ×7, first 2 shown]
	s_or_b64 exec, exec, s[14:15]
	v_or_b32_e32 v10, 0x400, v0
	v_cmp_gt_u32_e64 s[14:15], s30, v10
	v_mov_b32_e32 v9, s31
	s_and_saveexec_b64 s[16:17], s[14:15]
	s_cbranch_execz .LBB4315_18
; %bb.17:
	v_lshlrev_b32_e32 v9, 2, v10
	global_load_dword v9, v9, s[28:29]
.LBB4315_18:
	s_or_b64 exec, exec, s[16:17]
	v_or_b32_e32 v11, 0x480, v0
	v_cmp_gt_u32_e64 s[16:17], s30, v11
	v_mov_b32_e32 v10, s31
	s_and_saveexec_b64 s[18:19], s[16:17]
	s_cbranch_execz .LBB4315_20
; %bb.19:
	v_lshlrev_b32_e32 v10, 2, v11
	global_load_dword v10, v10, s[28:29]
.LBB4315_20:
	;; [unrolled: 10-line block ×6, first 2 shown]
	s_or_b64 exec, exec, s[30:31]
	s_waitcnt vmcnt(0)
	ds_write2st64_b32 v30, v1, v2 offset1:2
	ds_write2st64_b32 v30, v3, v4 offset0:4 offset1:6
	ds_write2st64_b32 v30, v5, v6 offset0:8 offset1:10
	;; [unrolled: 1-line block ×6, first 2 shown]
	v_mad_u32_u24 v1, v0, 52, v30
	s_waitcnt lgkmcnt(0)
	s_barrier
	ds_read2_b64 v[10:13], v1 offset1:1
	ds_read2_b64 v[6:9], v1 offset0:2 offset1:3
	ds_read2_b64 v[2:5], v1 offset0:4 offset1:5
	ds_read_b64 v[28:29], v1 offset:48
	v_lshrrev_b32_e32 v18, 3, v0
	s_waitcnt lgkmcnt(3)
	v_add_f32_e32 v19, v10, v11
	v_add_f32_e32 v24, v19, v12
	v_add_f32_e32 v25, v24, v13
	s_waitcnt lgkmcnt(2)
	v_add_f32_e32 v16, v25, v6
	v_add_f32_e32 v17, v16, v7
	v_add_f32_e32 v22, v17, v8
	v_add_f32_e32 v23, v22, v9
	s_waitcnt lgkmcnt(1)
	v_add_f32_e32 v14, v23, v2
	;; [unrolled: 5-line block ×3, first 2 shown]
	v_and_b32_e32 v18, 12, v18
	v_add_f32_e32 v27, v26, v29
	v_add_u32_e32 v18, v30, v18
	v_cmp_gt_u32_e64 s[28:29], 64, v0
	s_barrier
	ds_write_b32 v18, v27
	s_waitcnt lgkmcnt(0)
	s_barrier
	s_and_saveexec_b64 s[36:37], s[28:29]
	s_cbranch_execz .LBB4315_30
; %bb.29:
	v_lshlrev_b32_e32 v18, 1, v0
	v_lshrrev_b32_e32 v31, 4, v0
	v_add_lshl_u32 v18, v31, v18, 2
	ds_read2_b32 v[32:33], v18 offset1:1
	v_mbcnt_lo_u32_b32 v31, -1, 0
	v_mbcnt_hi_u32_b32 v31, -1, v31
	v_and_b32_e32 v34, 15, v31
	v_cmp_eq_u32_e64 s[28:29], 0, v34
	s_waitcnt lgkmcnt(0)
	v_add_f32_e32 v33, v32, v33
	v_cmp_lt_u32_e64 s[30:31], 3, v34
	v_cmp_lt_u32_e64 s[34:35], 31, v31
	v_mov_b32_dpp v35, v33 row_shr:1 row_mask:0xf bank_mask:0xf
	v_add_f32_e32 v35, v33, v35
	v_cndmask_b32_e64 v33, v35, v33, s[28:29]
	v_cmp_lt_u32_e64 s[28:29], 1, v34
	s_nop 0
	v_mov_b32_dpp v35, v33 row_shr:2 row_mask:0xf bank_mask:0xf
	v_add_f32_e32 v35, v33, v35
	v_cndmask_b32_e64 v35, v33, v35, s[28:29]
	; wave barrier
	s_nop 1
	v_mov_b32_dpp v36, v35 row_shr:4 row_mask:0xf bank_mask:0xf
	v_add_f32_e32 v36, v35, v36
	v_cndmask_b32_e64 v35, v35, v36, s[30:31]
	v_cmp_lt_u32_e64 s[30:31], 7, v34
	s_nop 0
	v_mov_b32_dpp v36, v35 row_shr:8 row_mask:0xf bank_mask:0xf
	v_add_f32_e32 v36, v35, v36
	v_cndmask_b32_e64 v34, v35, v36, s[30:31]
	v_and_b32_e32 v36, 16, v31
	v_cmp_eq_u32_e64 s[30:31], 0, v36
	v_mov_b32_dpp v35, v34 row_bcast:15 row_mask:0xf bank_mask:0xf
	v_add_f32_e32 v35, v34, v35
	v_cndmask_b32_e64 v34, v35, v34, s[30:31]
	v_cmp_lt_u32_e64 s[30:31], 15, v31
	s_or_b64 s[28:29], s[30:31], s[28:29]
	v_mov_b32_dpp v35, v34 row_bcast:31 row_mask:0xf bank_mask:0xf
	v_add_f32_e32 v35, v34, v35
	v_cndmask_b32_e64 v34, v34, v35, s[34:35]
	v_cndmask_b32_e64 v33, v33, v34, s[28:29]
	v_add_u32_e32 v34, -1, v31
	v_and_b32_e32 v35, 64, v31
	v_cmp_lt_i32_e64 s[28:29], v34, v35
	v_cndmask_b32_e64 v31, v34, v31, s[28:29]
	v_lshlrev_b32_e32 v31, 2, v31
	ds_bpermute_b32 v31, v31, v33
	v_cmp_eq_u32_e64 s[28:29], 0, v0
	s_waitcnt lgkmcnt(0)
	v_add_f32_e32 v31, v32, v31
	v_cndmask_b32_e64 v31, v31, v27, s[28:29]
	ds_write_b32 v18, v31
	; wave barrier
	ds_read_b32 v32, v18 offset:4
	s_waitcnt lgkmcnt(0)
	v_add_f32_e32 v31, v31, v32
	ds_write_b32 v18, v31 offset:4
.LBB4315_30:
	s_or_b64 exec, exec, s[36:37]
	s_load_dwordx2 s[28:29], s[4:5], 0x18
	v_cmp_ne_u32_e64 s[4:5], 0, v0
	v_mov_b32_e32 v31, v27
	s_waitcnt lgkmcnt(0)
	s_barrier
	s_and_saveexec_b64 s[30:31], s[4:5]
	s_cbranch_execz .LBB4315_32
; %bb.31:
	v_add_u32_e32 v18, -1, v0
	v_lshrrev_b32_e32 v31, 5, v18
	v_add_lshl_u32 v18, v31, v18, 2
	ds_read_b32 v31, v18
.LBB4315_32:
	s_or_b64 exec, exec, s[30:31]
	v_mov_b32_e32 v18, v10
	s_and_saveexec_b64 s[30:31], s[4:5]
	s_cbranch_execz .LBB4315_34
; %bb.33:
	s_waitcnt lgkmcnt(0)
	v_add_f32_e32 v18, v10, v31
	v_add_f32_e32 v19, v11, v18
	;; [unrolled: 1-line block ×14, first 2 shown]
	;;#ASMSTART
	;;#ASMEND
.LBB4315_34:
	s_or_b64 exec, exec, s[30:31]
	s_movk_i32 s4, 0xffcc
	v_mad_i32_i24 v0, v0, s4, v1
	s_waitcnt lgkmcnt(0)
	s_barrier
	ds_write2_b64 v1, v[18:19], v[24:25] offset1:1
	ds_write2_b64 v1, v[16:17], v[22:23] offset0:2 offset1:3
	ds_write2_b64 v1, v[14:15], v[20:21] offset0:4 offset1:5
	ds_write_b64 v1, v[26:27] offset:48
	s_waitcnt lgkmcnt(0)
	s_barrier
	ds_read2st64_b32 v[12:13], v0 offset0:2 offset1:4
	ds_read2st64_b32 v[10:11], v0 offset0:6 offset1:8
	;; [unrolled: 1-line block ×4, first 2 shown]
	ds_read_b32 v14, v30 offset:4096
	ds_read2st64_b32 v[4:5], v0 offset0:20 offset1:22
	ds_read2st64_b32 v[0:1], v0 offset0:24 offset1:26
	v_mov_b32_e32 v3, s29
	v_add_co_u32_e64 v2, s[4:5], s28, v30
	v_addc_co_u32_e64 v3, s[4:5], 0, v3, s[4:5]
	s_and_saveexec_b64 s[4:5], vcc
	s_cbranch_execnz .LBB4315_49
; %bb.35:
	s_or_b64 exec, exec, s[4:5]
	s_and_saveexec_b64 s[4:5], s[0:1]
	s_cbranch_execnz .LBB4315_50
.LBB4315_36:
	s_or_b64 exec, exec, s[4:5]
	s_and_saveexec_b64 s[0:1], s[2:3]
	s_cbranch_execnz .LBB4315_51
.LBB4315_37:
	s_or_b64 exec, exec, s[0:1]
	s_and_saveexec_b64 s[0:1], s[26:27]
	s_cbranch_execnz .LBB4315_52
.LBB4315_38:
	s_or_b64 exec, exec, s[0:1]
	s_and_saveexec_b64 s[0:1], s[6:7]
	s_cbranch_execnz .LBB4315_53
.LBB4315_39:
	s_or_b64 exec, exec, s[0:1]
	s_and_saveexec_b64 s[0:1], s[8:9]
	s_cbranch_execnz .LBB4315_54
.LBB4315_40:
	s_or_b64 exec, exec, s[0:1]
	s_and_saveexec_b64 s[0:1], s[10:11]
	s_cbranch_execnz .LBB4315_55
.LBB4315_41:
	s_or_b64 exec, exec, s[0:1]
	s_and_saveexec_b64 s[0:1], s[12:13]
	s_cbranch_execnz .LBB4315_56
.LBB4315_42:
	s_or_b64 exec, exec, s[0:1]
	s_and_saveexec_b64 s[0:1], s[14:15]
	s_cbranch_execnz .LBB4315_57
.LBB4315_43:
	s_or_b64 exec, exec, s[0:1]
	s_and_saveexec_b64 s[0:1], s[16:17]
	s_cbranch_execnz .LBB4315_58
.LBB4315_44:
	s_or_b64 exec, exec, s[0:1]
	s_and_saveexec_b64 s[0:1], s[18:19]
	s_cbranch_execnz .LBB4315_59
.LBB4315_45:
	s_or_b64 exec, exec, s[0:1]
	s_and_saveexec_b64 s[0:1], s[20:21]
	s_cbranch_execnz .LBB4315_60
.LBB4315_46:
	s_or_b64 exec, exec, s[0:1]
	s_and_saveexec_b64 s[0:1], s[22:23]
	s_cbranch_execnz .LBB4315_61
.LBB4315_47:
	s_or_b64 exec, exec, s[0:1]
	s_and_saveexec_b64 s[0:1], s[24:25]
	s_cbranch_execnz .LBB4315_62
.LBB4315_48:
	s_endpgm
.LBB4315_49:
	ds_read_b32 v15, v30
	s_waitcnt lgkmcnt(0)
	global_store_dword v[2:3], v15, off
	s_or_b64 exec, exec, s[4:5]
	s_and_saveexec_b64 s[4:5], s[0:1]
	s_cbranch_execz .LBB4315_36
.LBB4315_50:
	s_waitcnt lgkmcnt(6)
	global_store_dword v[2:3], v12, off offset:512
	s_or_b64 exec, exec, s[4:5]
	s_and_saveexec_b64 s[0:1], s[2:3]
	s_cbranch_execz .LBB4315_37
.LBB4315_51:
	s_waitcnt lgkmcnt(6)
	global_store_dword v[2:3], v13, off offset:1024
	s_or_b64 exec, exec, s[0:1]
	s_and_saveexec_b64 s[0:1], s[26:27]
	s_cbranch_execz .LBB4315_38
.LBB4315_52:
	s_waitcnt lgkmcnt(5)
	global_store_dword v[2:3], v10, off offset:1536
	s_or_b64 exec, exec, s[0:1]
	s_and_saveexec_b64 s[0:1], s[6:7]
	s_cbranch_execz .LBB4315_39
.LBB4315_53:
	s_waitcnt lgkmcnt(5)
	global_store_dword v[2:3], v11, off offset:2048
	s_or_b64 exec, exec, s[0:1]
	s_and_saveexec_b64 s[0:1], s[8:9]
	s_cbranch_execz .LBB4315_40
.LBB4315_54:
	s_waitcnt lgkmcnt(4)
	global_store_dword v[2:3], v8, off offset:2560
	s_or_b64 exec, exec, s[0:1]
	s_and_saveexec_b64 s[0:1], s[10:11]
	s_cbranch_execz .LBB4315_41
.LBB4315_55:
	s_waitcnt lgkmcnt(4)
	global_store_dword v[2:3], v9, off offset:3072
	s_or_b64 exec, exec, s[0:1]
	s_and_saveexec_b64 s[0:1], s[12:13]
	s_cbranch_execz .LBB4315_42
.LBB4315_56:
	s_waitcnt lgkmcnt(3)
	global_store_dword v[2:3], v6, off offset:3584
	s_or_b64 exec, exec, s[0:1]
	s_and_saveexec_b64 s[0:1], s[14:15]
	s_cbranch_execz .LBB4315_43
.LBB4315_57:
	s_waitcnt lgkmcnt(4)
	v_add_co_u32_e32 v8, vcc, 0x1000, v2
	v_addc_co_u32_e32 v9, vcc, 0, v3, vcc
	s_waitcnt lgkmcnt(2)
	global_store_dword v[8:9], v14, off
	s_or_b64 exec, exec, s[0:1]
	s_and_saveexec_b64 s[0:1], s[16:17]
	s_cbranch_execz .LBB4315_44
.LBB4315_58:
	s_waitcnt lgkmcnt(4)
	v_add_co_u32_e32 v8, vcc, 0x1000, v2
	v_addc_co_u32_e32 v9, vcc, 0, v3, vcc
	s_waitcnt lgkmcnt(3)
	global_store_dword v[8:9], v7, off offset:512
	s_or_b64 exec, exec, s[0:1]
	s_and_saveexec_b64 s[0:1], s[18:19]
	s_cbranch_execz .LBB4315_45
.LBB4315_59:
	s_waitcnt lgkmcnt(3)
	v_add_co_u32_e32 v6, vcc, 0x1000, v2
	v_addc_co_u32_e32 v7, vcc, 0, v3, vcc
	s_waitcnt lgkmcnt(1)
	global_store_dword v[6:7], v4, off offset:1024
	s_or_b64 exec, exec, s[0:1]
	s_and_saveexec_b64 s[0:1], s[20:21]
	s_cbranch_execz .LBB4315_46
.LBB4315_60:
	s_waitcnt lgkmcnt(3)
	v_add_co_u32_e32 v6, vcc, 0x1000, v2
	v_addc_co_u32_e32 v7, vcc, 0, v3, vcc
	s_waitcnt lgkmcnt(1)
	global_store_dword v[6:7], v5, off offset:1536
	s_or_b64 exec, exec, s[0:1]
	s_and_saveexec_b64 s[0:1], s[22:23]
	s_cbranch_execz .LBB4315_47
.LBB4315_61:
	s_waitcnt lgkmcnt(1)
	v_add_co_u32_e32 v4, vcc, 0x1000, v2
	v_addc_co_u32_e32 v5, vcc, 0, v3, vcc
	s_waitcnt lgkmcnt(0)
	global_store_dword v[4:5], v0, off offset:2048
	s_or_b64 exec, exec, s[0:1]
	s_and_saveexec_b64 s[0:1], s[24:25]
	s_cbranch_execz .LBB4315_48
.LBB4315_62:
	v_add_co_u32_e32 v2, vcc, 0x1000, v2
	v_addc_co_u32_e32 v3, vcc, 0, v3, vcc
	s_waitcnt lgkmcnt(0)
	global_store_dword v[2:3], v1, off offset:2560
	s_endpgm
	.section	.rodata,"a",@progbits
	.p2align	6, 0x0
	.amdhsa_kernel _ZN7rocprim17ROCPRIM_400000_NS6detail17trampoline_kernelINS0_14default_configENS1_20scan_config_selectorIfEEZZNS1_9scan_implILNS1_25lookback_scan_determinismE0ELb0ELb0ES3_N6thrust23THRUST_200600_302600_NS6detail15normal_iteratorINS9_10device_ptrIfEEEESE_fNS9_4plusIvEEfEEDaPvRmT3_T4_T5_mT6_P12ihipStream_tbENKUlT_T0_E_clISt17integral_constantIbLb1EESU_EEDaSP_SQ_EUlSP_E0_NS1_11comp_targetILNS1_3genE4ELNS1_11target_archE910ELNS1_3gpuE8ELNS1_3repE0EEENS1_30default_config_static_selectorELNS0_4arch9wavefront6targetE1EEEvT1_
		.amdhsa_group_segment_fixed_size 7168
		.amdhsa_private_segment_fixed_size 0
		.amdhsa_kernarg_size 32
		.amdhsa_user_sgpr_count 6
		.amdhsa_user_sgpr_private_segment_buffer 1
		.amdhsa_user_sgpr_dispatch_ptr 0
		.amdhsa_user_sgpr_queue_ptr 0
		.amdhsa_user_sgpr_kernarg_segment_ptr 1
		.amdhsa_user_sgpr_dispatch_id 0
		.amdhsa_user_sgpr_flat_scratch_init 0
		.amdhsa_user_sgpr_kernarg_preload_length 0
		.amdhsa_user_sgpr_kernarg_preload_offset 0
		.amdhsa_user_sgpr_private_segment_size 0
		.amdhsa_uses_dynamic_stack 0
		.amdhsa_system_sgpr_private_segment_wavefront_offset 0
		.amdhsa_system_sgpr_workgroup_id_x 1
		.amdhsa_system_sgpr_workgroup_id_y 0
		.amdhsa_system_sgpr_workgroup_id_z 0
		.amdhsa_system_sgpr_workgroup_info 0
		.amdhsa_system_vgpr_workitem_id 0
		.amdhsa_next_free_vgpr 37
		.amdhsa_next_free_sgpr 38
		.amdhsa_accum_offset 40
		.amdhsa_reserve_vcc 1
		.amdhsa_reserve_flat_scratch 0
		.amdhsa_float_round_mode_32 0
		.amdhsa_float_round_mode_16_64 0
		.amdhsa_float_denorm_mode_32 3
		.amdhsa_float_denorm_mode_16_64 3
		.amdhsa_dx10_clamp 1
		.amdhsa_ieee_mode 1
		.amdhsa_fp16_overflow 0
		.amdhsa_tg_split 0
		.amdhsa_exception_fp_ieee_invalid_op 0
		.amdhsa_exception_fp_denorm_src 0
		.amdhsa_exception_fp_ieee_div_zero 0
		.amdhsa_exception_fp_ieee_overflow 0
		.amdhsa_exception_fp_ieee_underflow 0
		.amdhsa_exception_fp_ieee_inexact 0
		.amdhsa_exception_int_div_zero 0
	.end_amdhsa_kernel
	.section	.text._ZN7rocprim17ROCPRIM_400000_NS6detail17trampoline_kernelINS0_14default_configENS1_20scan_config_selectorIfEEZZNS1_9scan_implILNS1_25lookback_scan_determinismE0ELb0ELb0ES3_N6thrust23THRUST_200600_302600_NS6detail15normal_iteratorINS9_10device_ptrIfEEEESE_fNS9_4plusIvEEfEEDaPvRmT3_T4_T5_mT6_P12ihipStream_tbENKUlT_T0_E_clISt17integral_constantIbLb1EESU_EEDaSP_SQ_EUlSP_E0_NS1_11comp_targetILNS1_3genE4ELNS1_11target_archE910ELNS1_3gpuE8ELNS1_3repE0EEENS1_30default_config_static_selectorELNS0_4arch9wavefront6targetE1EEEvT1_,"axG",@progbits,_ZN7rocprim17ROCPRIM_400000_NS6detail17trampoline_kernelINS0_14default_configENS1_20scan_config_selectorIfEEZZNS1_9scan_implILNS1_25lookback_scan_determinismE0ELb0ELb0ES3_N6thrust23THRUST_200600_302600_NS6detail15normal_iteratorINS9_10device_ptrIfEEEESE_fNS9_4plusIvEEfEEDaPvRmT3_T4_T5_mT6_P12ihipStream_tbENKUlT_T0_E_clISt17integral_constantIbLb1EESU_EEDaSP_SQ_EUlSP_E0_NS1_11comp_targetILNS1_3genE4ELNS1_11target_archE910ELNS1_3gpuE8ELNS1_3repE0EEENS1_30default_config_static_selectorELNS0_4arch9wavefront6targetE1EEEvT1_,comdat
.Lfunc_end4315:
	.size	_ZN7rocprim17ROCPRIM_400000_NS6detail17trampoline_kernelINS0_14default_configENS1_20scan_config_selectorIfEEZZNS1_9scan_implILNS1_25lookback_scan_determinismE0ELb0ELb0ES3_N6thrust23THRUST_200600_302600_NS6detail15normal_iteratorINS9_10device_ptrIfEEEESE_fNS9_4plusIvEEfEEDaPvRmT3_T4_T5_mT6_P12ihipStream_tbENKUlT_T0_E_clISt17integral_constantIbLb1EESU_EEDaSP_SQ_EUlSP_E0_NS1_11comp_targetILNS1_3genE4ELNS1_11target_archE910ELNS1_3gpuE8ELNS1_3repE0EEENS1_30default_config_static_selectorELNS0_4arch9wavefront6targetE1EEEvT1_, .Lfunc_end4315-_ZN7rocprim17ROCPRIM_400000_NS6detail17trampoline_kernelINS0_14default_configENS1_20scan_config_selectorIfEEZZNS1_9scan_implILNS1_25lookback_scan_determinismE0ELb0ELb0ES3_N6thrust23THRUST_200600_302600_NS6detail15normal_iteratorINS9_10device_ptrIfEEEESE_fNS9_4plusIvEEfEEDaPvRmT3_T4_T5_mT6_P12ihipStream_tbENKUlT_T0_E_clISt17integral_constantIbLb1EESU_EEDaSP_SQ_EUlSP_E0_NS1_11comp_targetILNS1_3genE4ELNS1_11target_archE910ELNS1_3gpuE8ELNS1_3repE0EEENS1_30default_config_static_selectorELNS0_4arch9wavefront6targetE1EEEvT1_
                                        ; -- End function
	.section	.AMDGPU.csdata,"",@progbits
; Kernel info:
; codeLenInByte = 2048
; NumSgprs: 42
; NumVgprs: 37
; NumAgprs: 0
; TotalNumVgprs: 37
; ScratchSize: 0
; MemoryBound: 0
; FloatMode: 240
; IeeeMode: 1
; LDSByteSize: 7168 bytes/workgroup (compile time only)
; SGPRBlocks: 5
; VGPRBlocks: 4
; NumSGPRsForWavesPerEU: 42
; NumVGPRsForWavesPerEU: 37
; AccumOffset: 40
; Occupancy: 5
; WaveLimiterHint : 0
; COMPUTE_PGM_RSRC2:SCRATCH_EN: 0
; COMPUTE_PGM_RSRC2:USER_SGPR: 6
; COMPUTE_PGM_RSRC2:TRAP_HANDLER: 0
; COMPUTE_PGM_RSRC2:TGID_X_EN: 1
; COMPUTE_PGM_RSRC2:TGID_Y_EN: 0
; COMPUTE_PGM_RSRC2:TGID_Z_EN: 0
; COMPUTE_PGM_RSRC2:TIDIG_COMP_CNT: 0
; COMPUTE_PGM_RSRC3_GFX90A:ACCUM_OFFSET: 9
; COMPUTE_PGM_RSRC3_GFX90A:TG_SPLIT: 0
	.section	.text._ZN7rocprim17ROCPRIM_400000_NS6detail17trampoline_kernelINS0_14default_configENS1_20scan_config_selectorIfEEZZNS1_9scan_implILNS1_25lookback_scan_determinismE0ELb0ELb0ES3_N6thrust23THRUST_200600_302600_NS6detail15normal_iteratorINS9_10device_ptrIfEEEESE_fNS9_4plusIvEEfEEDaPvRmT3_T4_T5_mT6_P12ihipStream_tbENKUlT_T0_E_clISt17integral_constantIbLb1EESU_EEDaSP_SQ_EUlSP_E0_NS1_11comp_targetILNS1_3genE3ELNS1_11target_archE908ELNS1_3gpuE7ELNS1_3repE0EEENS1_30default_config_static_selectorELNS0_4arch9wavefront6targetE1EEEvT1_,"axG",@progbits,_ZN7rocprim17ROCPRIM_400000_NS6detail17trampoline_kernelINS0_14default_configENS1_20scan_config_selectorIfEEZZNS1_9scan_implILNS1_25lookback_scan_determinismE0ELb0ELb0ES3_N6thrust23THRUST_200600_302600_NS6detail15normal_iteratorINS9_10device_ptrIfEEEESE_fNS9_4plusIvEEfEEDaPvRmT3_T4_T5_mT6_P12ihipStream_tbENKUlT_T0_E_clISt17integral_constantIbLb1EESU_EEDaSP_SQ_EUlSP_E0_NS1_11comp_targetILNS1_3genE3ELNS1_11target_archE908ELNS1_3gpuE7ELNS1_3repE0EEENS1_30default_config_static_selectorELNS0_4arch9wavefront6targetE1EEEvT1_,comdat
	.protected	_ZN7rocprim17ROCPRIM_400000_NS6detail17trampoline_kernelINS0_14default_configENS1_20scan_config_selectorIfEEZZNS1_9scan_implILNS1_25lookback_scan_determinismE0ELb0ELb0ES3_N6thrust23THRUST_200600_302600_NS6detail15normal_iteratorINS9_10device_ptrIfEEEESE_fNS9_4plusIvEEfEEDaPvRmT3_T4_T5_mT6_P12ihipStream_tbENKUlT_T0_E_clISt17integral_constantIbLb1EESU_EEDaSP_SQ_EUlSP_E0_NS1_11comp_targetILNS1_3genE3ELNS1_11target_archE908ELNS1_3gpuE7ELNS1_3repE0EEENS1_30default_config_static_selectorELNS0_4arch9wavefront6targetE1EEEvT1_ ; -- Begin function _ZN7rocprim17ROCPRIM_400000_NS6detail17trampoline_kernelINS0_14default_configENS1_20scan_config_selectorIfEEZZNS1_9scan_implILNS1_25lookback_scan_determinismE0ELb0ELb0ES3_N6thrust23THRUST_200600_302600_NS6detail15normal_iteratorINS9_10device_ptrIfEEEESE_fNS9_4plusIvEEfEEDaPvRmT3_T4_T5_mT6_P12ihipStream_tbENKUlT_T0_E_clISt17integral_constantIbLb1EESU_EEDaSP_SQ_EUlSP_E0_NS1_11comp_targetILNS1_3genE3ELNS1_11target_archE908ELNS1_3gpuE7ELNS1_3repE0EEENS1_30default_config_static_selectorELNS0_4arch9wavefront6targetE1EEEvT1_
	.globl	_ZN7rocprim17ROCPRIM_400000_NS6detail17trampoline_kernelINS0_14default_configENS1_20scan_config_selectorIfEEZZNS1_9scan_implILNS1_25lookback_scan_determinismE0ELb0ELb0ES3_N6thrust23THRUST_200600_302600_NS6detail15normal_iteratorINS9_10device_ptrIfEEEESE_fNS9_4plusIvEEfEEDaPvRmT3_T4_T5_mT6_P12ihipStream_tbENKUlT_T0_E_clISt17integral_constantIbLb1EESU_EEDaSP_SQ_EUlSP_E0_NS1_11comp_targetILNS1_3genE3ELNS1_11target_archE908ELNS1_3gpuE7ELNS1_3repE0EEENS1_30default_config_static_selectorELNS0_4arch9wavefront6targetE1EEEvT1_
	.p2align	8
	.type	_ZN7rocprim17ROCPRIM_400000_NS6detail17trampoline_kernelINS0_14default_configENS1_20scan_config_selectorIfEEZZNS1_9scan_implILNS1_25lookback_scan_determinismE0ELb0ELb0ES3_N6thrust23THRUST_200600_302600_NS6detail15normal_iteratorINS9_10device_ptrIfEEEESE_fNS9_4plusIvEEfEEDaPvRmT3_T4_T5_mT6_P12ihipStream_tbENKUlT_T0_E_clISt17integral_constantIbLb1EESU_EEDaSP_SQ_EUlSP_E0_NS1_11comp_targetILNS1_3genE3ELNS1_11target_archE908ELNS1_3gpuE7ELNS1_3repE0EEENS1_30default_config_static_selectorELNS0_4arch9wavefront6targetE1EEEvT1_,@function
_ZN7rocprim17ROCPRIM_400000_NS6detail17trampoline_kernelINS0_14default_configENS1_20scan_config_selectorIfEEZZNS1_9scan_implILNS1_25lookback_scan_determinismE0ELb0ELb0ES3_N6thrust23THRUST_200600_302600_NS6detail15normal_iteratorINS9_10device_ptrIfEEEESE_fNS9_4plusIvEEfEEDaPvRmT3_T4_T5_mT6_P12ihipStream_tbENKUlT_T0_E_clISt17integral_constantIbLb1EESU_EEDaSP_SQ_EUlSP_E0_NS1_11comp_targetILNS1_3genE3ELNS1_11target_archE908ELNS1_3gpuE7ELNS1_3repE0EEENS1_30default_config_static_selectorELNS0_4arch9wavefront6targetE1EEEvT1_: ; @_ZN7rocprim17ROCPRIM_400000_NS6detail17trampoline_kernelINS0_14default_configENS1_20scan_config_selectorIfEEZZNS1_9scan_implILNS1_25lookback_scan_determinismE0ELb0ELb0ES3_N6thrust23THRUST_200600_302600_NS6detail15normal_iteratorINS9_10device_ptrIfEEEESE_fNS9_4plusIvEEfEEDaPvRmT3_T4_T5_mT6_P12ihipStream_tbENKUlT_T0_E_clISt17integral_constantIbLb1EESU_EEDaSP_SQ_EUlSP_E0_NS1_11comp_targetILNS1_3genE3ELNS1_11target_archE908ELNS1_3gpuE7ELNS1_3repE0EEENS1_30default_config_static_selectorELNS0_4arch9wavefront6targetE1EEEvT1_
; %bb.0:
	.section	.rodata,"a",@progbits
	.p2align	6, 0x0
	.amdhsa_kernel _ZN7rocprim17ROCPRIM_400000_NS6detail17trampoline_kernelINS0_14default_configENS1_20scan_config_selectorIfEEZZNS1_9scan_implILNS1_25lookback_scan_determinismE0ELb0ELb0ES3_N6thrust23THRUST_200600_302600_NS6detail15normal_iteratorINS9_10device_ptrIfEEEESE_fNS9_4plusIvEEfEEDaPvRmT3_T4_T5_mT6_P12ihipStream_tbENKUlT_T0_E_clISt17integral_constantIbLb1EESU_EEDaSP_SQ_EUlSP_E0_NS1_11comp_targetILNS1_3genE3ELNS1_11target_archE908ELNS1_3gpuE7ELNS1_3repE0EEENS1_30default_config_static_selectorELNS0_4arch9wavefront6targetE1EEEvT1_
		.amdhsa_group_segment_fixed_size 0
		.amdhsa_private_segment_fixed_size 0
		.amdhsa_kernarg_size 32
		.amdhsa_user_sgpr_count 6
		.amdhsa_user_sgpr_private_segment_buffer 1
		.amdhsa_user_sgpr_dispatch_ptr 0
		.amdhsa_user_sgpr_queue_ptr 0
		.amdhsa_user_sgpr_kernarg_segment_ptr 1
		.amdhsa_user_sgpr_dispatch_id 0
		.amdhsa_user_sgpr_flat_scratch_init 0
		.amdhsa_user_sgpr_kernarg_preload_length 0
		.amdhsa_user_sgpr_kernarg_preload_offset 0
		.amdhsa_user_sgpr_private_segment_size 0
		.amdhsa_uses_dynamic_stack 0
		.amdhsa_system_sgpr_private_segment_wavefront_offset 0
		.amdhsa_system_sgpr_workgroup_id_x 1
		.amdhsa_system_sgpr_workgroup_id_y 0
		.amdhsa_system_sgpr_workgroup_id_z 0
		.amdhsa_system_sgpr_workgroup_info 0
		.amdhsa_system_vgpr_workitem_id 0
		.amdhsa_next_free_vgpr 1
		.amdhsa_next_free_sgpr 0
		.amdhsa_accum_offset 4
		.amdhsa_reserve_vcc 0
		.amdhsa_reserve_flat_scratch 0
		.amdhsa_float_round_mode_32 0
		.amdhsa_float_round_mode_16_64 0
		.amdhsa_float_denorm_mode_32 3
		.amdhsa_float_denorm_mode_16_64 3
		.amdhsa_dx10_clamp 1
		.amdhsa_ieee_mode 1
		.amdhsa_fp16_overflow 0
		.amdhsa_tg_split 0
		.amdhsa_exception_fp_ieee_invalid_op 0
		.amdhsa_exception_fp_denorm_src 0
		.amdhsa_exception_fp_ieee_div_zero 0
		.amdhsa_exception_fp_ieee_overflow 0
		.amdhsa_exception_fp_ieee_underflow 0
		.amdhsa_exception_fp_ieee_inexact 0
		.amdhsa_exception_int_div_zero 0
	.end_amdhsa_kernel
	.section	.text._ZN7rocprim17ROCPRIM_400000_NS6detail17trampoline_kernelINS0_14default_configENS1_20scan_config_selectorIfEEZZNS1_9scan_implILNS1_25lookback_scan_determinismE0ELb0ELb0ES3_N6thrust23THRUST_200600_302600_NS6detail15normal_iteratorINS9_10device_ptrIfEEEESE_fNS9_4plusIvEEfEEDaPvRmT3_T4_T5_mT6_P12ihipStream_tbENKUlT_T0_E_clISt17integral_constantIbLb1EESU_EEDaSP_SQ_EUlSP_E0_NS1_11comp_targetILNS1_3genE3ELNS1_11target_archE908ELNS1_3gpuE7ELNS1_3repE0EEENS1_30default_config_static_selectorELNS0_4arch9wavefront6targetE1EEEvT1_,"axG",@progbits,_ZN7rocprim17ROCPRIM_400000_NS6detail17trampoline_kernelINS0_14default_configENS1_20scan_config_selectorIfEEZZNS1_9scan_implILNS1_25lookback_scan_determinismE0ELb0ELb0ES3_N6thrust23THRUST_200600_302600_NS6detail15normal_iteratorINS9_10device_ptrIfEEEESE_fNS9_4plusIvEEfEEDaPvRmT3_T4_T5_mT6_P12ihipStream_tbENKUlT_T0_E_clISt17integral_constantIbLb1EESU_EEDaSP_SQ_EUlSP_E0_NS1_11comp_targetILNS1_3genE3ELNS1_11target_archE908ELNS1_3gpuE7ELNS1_3repE0EEENS1_30default_config_static_selectorELNS0_4arch9wavefront6targetE1EEEvT1_,comdat
.Lfunc_end4316:
	.size	_ZN7rocprim17ROCPRIM_400000_NS6detail17trampoline_kernelINS0_14default_configENS1_20scan_config_selectorIfEEZZNS1_9scan_implILNS1_25lookback_scan_determinismE0ELb0ELb0ES3_N6thrust23THRUST_200600_302600_NS6detail15normal_iteratorINS9_10device_ptrIfEEEESE_fNS9_4plusIvEEfEEDaPvRmT3_T4_T5_mT6_P12ihipStream_tbENKUlT_T0_E_clISt17integral_constantIbLb1EESU_EEDaSP_SQ_EUlSP_E0_NS1_11comp_targetILNS1_3genE3ELNS1_11target_archE908ELNS1_3gpuE7ELNS1_3repE0EEENS1_30default_config_static_selectorELNS0_4arch9wavefront6targetE1EEEvT1_, .Lfunc_end4316-_ZN7rocprim17ROCPRIM_400000_NS6detail17trampoline_kernelINS0_14default_configENS1_20scan_config_selectorIfEEZZNS1_9scan_implILNS1_25lookback_scan_determinismE0ELb0ELb0ES3_N6thrust23THRUST_200600_302600_NS6detail15normal_iteratorINS9_10device_ptrIfEEEESE_fNS9_4plusIvEEfEEDaPvRmT3_T4_T5_mT6_P12ihipStream_tbENKUlT_T0_E_clISt17integral_constantIbLb1EESU_EEDaSP_SQ_EUlSP_E0_NS1_11comp_targetILNS1_3genE3ELNS1_11target_archE908ELNS1_3gpuE7ELNS1_3repE0EEENS1_30default_config_static_selectorELNS0_4arch9wavefront6targetE1EEEvT1_
                                        ; -- End function
	.section	.AMDGPU.csdata,"",@progbits
; Kernel info:
; codeLenInByte = 0
; NumSgprs: 4
; NumVgprs: 0
; NumAgprs: 0
; TotalNumVgprs: 0
; ScratchSize: 0
; MemoryBound: 0
; FloatMode: 240
; IeeeMode: 1
; LDSByteSize: 0 bytes/workgroup (compile time only)
; SGPRBlocks: 0
; VGPRBlocks: 0
; NumSGPRsForWavesPerEU: 4
; NumVGPRsForWavesPerEU: 1
; AccumOffset: 4
; Occupancy: 8
; WaveLimiterHint : 0
; COMPUTE_PGM_RSRC2:SCRATCH_EN: 0
; COMPUTE_PGM_RSRC2:USER_SGPR: 6
; COMPUTE_PGM_RSRC2:TRAP_HANDLER: 0
; COMPUTE_PGM_RSRC2:TGID_X_EN: 1
; COMPUTE_PGM_RSRC2:TGID_Y_EN: 0
; COMPUTE_PGM_RSRC2:TGID_Z_EN: 0
; COMPUTE_PGM_RSRC2:TIDIG_COMP_CNT: 0
; COMPUTE_PGM_RSRC3_GFX90A:ACCUM_OFFSET: 0
; COMPUTE_PGM_RSRC3_GFX90A:TG_SPLIT: 0
	.section	.text._ZN7rocprim17ROCPRIM_400000_NS6detail17trampoline_kernelINS0_14default_configENS1_20scan_config_selectorIfEEZZNS1_9scan_implILNS1_25lookback_scan_determinismE0ELb0ELb0ES3_N6thrust23THRUST_200600_302600_NS6detail15normal_iteratorINS9_10device_ptrIfEEEESE_fNS9_4plusIvEEfEEDaPvRmT3_T4_T5_mT6_P12ihipStream_tbENKUlT_T0_E_clISt17integral_constantIbLb1EESU_EEDaSP_SQ_EUlSP_E0_NS1_11comp_targetILNS1_3genE2ELNS1_11target_archE906ELNS1_3gpuE6ELNS1_3repE0EEENS1_30default_config_static_selectorELNS0_4arch9wavefront6targetE1EEEvT1_,"axG",@progbits,_ZN7rocprim17ROCPRIM_400000_NS6detail17trampoline_kernelINS0_14default_configENS1_20scan_config_selectorIfEEZZNS1_9scan_implILNS1_25lookback_scan_determinismE0ELb0ELb0ES3_N6thrust23THRUST_200600_302600_NS6detail15normal_iteratorINS9_10device_ptrIfEEEESE_fNS9_4plusIvEEfEEDaPvRmT3_T4_T5_mT6_P12ihipStream_tbENKUlT_T0_E_clISt17integral_constantIbLb1EESU_EEDaSP_SQ_EUlSP_E0_NS1_11comp_targetILNS1_3genE2ELNS1_11target_archE906ELNS1_3gpuE6ELNS1_3repE0EEENS1_30default_config_static_selectorELNS0_4arch9wavefront6targetE1EEEvT1_,comdat
	.protected	_ZN7rocprim17ROCPRIM_400000_NS6detail17trampoline_kernelINS0_14default_configENS1_20scan_config_selectorIfEEZZNS1_9scan_implILNS1_25lookback_scan_determinismE0ELb0ELb0ES3_N6thrust23THRUST_200600_302600_NS6detail15normal_iteratorINS9_10device_ptrIfEEEESE_fNS9_4plusIvEEfEEDaPvRmT3_T4_T5_mT6_P12ihipStream_tbENKUlT_T0_E_clISt17integral_constantIbLb1EESU_EEDaSP_SQ_EUlSP_E0_NS1_11comp_targetILNS1_3genE2ELNS1_11target_archE906ELNS1_3gpuE6ELNS1_3repE0EEENS1_30default_config_static_selectorELNS0_4arch9wavefront6targetE1EEEvT1_ ; -- Begin function _ZN7rocprim17ROCPRIM_400000_NS6detail17trampoline_kernelINS0_14default_configENS1_20scan_config_selectorIfEEZZNS1_9scan_implILNS1_25lookback_scan_determinismE0ELb0ELb0ES3_N6thrust23THRUST_200600_302600_NS6detail15normal_iteratorINS9_10device_ptrIfEEEESE_fNS9_4plusIvEEfEEDaPvRmT3_T4_T5_mT6_P12ihipStream_tbENKUlT_T0_E_clISt17integral_constantIbLb1EESU_EEDaSP_SQ_EUlSP_E0_NS1_11comp_targetILNS1_3genE2ELNS1_11target_archE906ELNS1_3gpuE6ELNS1_3repE0EEENS1_30default_config_static_selectorELNS0_4arch9wavefront6targetE1EEEvT1_
	.globl	_ZN7rocprim17ROCPRIM_400000_NS6detail17trampoline_kernelINS0_14default_configENS1_20scan_config_selectorIfEEZZNS1_9scan_implILNS1_25lookback_scan_determinismE0ELb0ELb0ES3_N6thrust23THRUST_200600_302600_NS6detail15normal_iteratorINS9_10device_ptrIfEEEESE_fNS9_4plusIvEEfEEDaPvRmT3_T4_T5_mT6_P12ihipStream_tbENKUlT_T0_E_clISt17integral_constantIbLb1EESU_EEDaSP_SQ_EUlSP_E0_NS1_11comp_targetILNS1_3genE2ELNS1_11target_archE906ELNS1_3gpuE6ELNS1_3repE0EEENS1_30default_config_static_selectorELNS0_4arch9wavefront6targetE1EEEvT1_
	.p2align	8
	.type	_ZN7rocprim17ROCPRIM_400000_NS6detail17trampoline_kernelINS0_14default_configENS1_20scan_config_selectorIfEEZZNS1_9scan_implILNS1_25lookback_scan_determinismE0ELb0ELb0ES3_N6thrust23THRUST_200600_302600_NS6detail15normal_iteratorINS9_10device_ptrIfEEEESE_fNS9_4plusIvEEfEEDaPvRmT3_T4_T5_mT6_P12ihipStream_tbENKUlT_T0_E_clISt17integral_constantIbLb1EESU_EEDaSP_SQ_EUlSP_E0_NS1_11comp_targetILNS1_3genE2ELNS1_11target_archE906ELNS1_3gpuE6ELNS1_3repE0EEENS1_30default_config_static_selectorELNS0_4arch9wavefront6targetE1EEEvT1_,@function
_ZN7rocprim17ROCPRIM_400000_NS6detail17trampoline_kernelINS0_14default_configENS1_20scan_config_selectorIfEEZZNS1_9scan_implILNS1_25lookback_scan_determinismE0ELb0ELb0ES3_N6thrust23THRUST_200600_302600_NS6detail15normal_iteratorINS9_10device_ptrIfEEEESE_fNS9_4plusIvEEfEEDaPvRmT3_T4_T5_mT6_P12ihipStream_tbENKUlT_T0_E_clISt17integral_constantIbLb1EESU_EEDaSP_SQ_EUlSP_E0_NS1_11comp_targetILNS1_3genE2ELNS1_11target_archE906ELNS1_3gpuE6ELNS1_3repE0EEENS1_30default_config_static_selectorELNS0_4arch9wavefront6targetE1EEEvT1_: ; @_ZN7rocprim17ROCPRIM_400000_NS6detail17trampoline_kernelINS0_14default_configENS1_20scan_config_selectorIfEEZZNS1_9scan_implILNS1_25lookback_scan_determinismE0ELb0ELb0ES3_N6thrust23THRUST_200600_302600_NS6detail15normal_iteratorINS9_10device_ptrIfEEEESE_fNS9_4plusIvEEfEEDaPvRmT3_T4_T5_mT6_P12ihipStream_tbENKUlT_T0_E_clISt17integral_constantIbLb1EESU_EEDaSP_SQ_EUlSP_E0_NS1_11comp_targetILNS1_3genE2ELNS1_11target_archE906ELNS1_3gpuE6ELNS1_3repE0EEENS1_30default_config_static_selectorELNS0_4arch9wavefront6targetE1EEEvT1_
; %bb.0:
	.section	.rodata,"a",@progbits
	.p2align	6, 0x0
	.amdhsa_kernel _ZN7rocprim17ROCPRIM_400000_NS6detail17trampoline_kernelINS0_14default_configENS1_20scan_config_selectorIfEEZZNS1_9scan_implILNS1_25lookback_scan_determinismE0ELb0ELb0ES3_N6thrust23THRUST_200600_302600_NS6detail15normal_iteratorINS9_10device_ptrIfEEEESE_fNS9_4plusIvEEfEEDaPvRmT3_T4_T5_mT6_P12ihipStream_tbENKUlT_T0_E_clISt17integral_constantIbLb1EESU_EEDaSP_SQ_EUlSP_E0_NS1_11comp_targetILNS1_3genE2ELNS1_11target_archE906ELNS1_3gpuE6ELNS1_3repE0EEENS1_30default_config_static_selectorELNS0_4arch9wavefront6targetE1EEEvT1_
		.amdhsa_group_segment_fixed_size 0
		.amdhsa_private_segment_fixed_size 0
		.amdhsa_kernarg_size 32
		.amdhsa_user_sgpr_count 6
		.amdhsa_user_sgpr_private_segment_buffer 1
		.amdhsa_user_sgpr_dispatch_ptr 0
		.amdhsa_user_sgpr_queue_ptr 0
		.amdhsa_user_sgpr_kernarg_segment_ptr 1
		.amdhsa_user_sgpr_dispatch_id 0
		.amdhsa_user_sgpr_flat_scratch_init 0
		.amdhsa_user_sgpr_kernarg_preload_length 0
		.amdhsa_user_sgpr_kernarg_preload_offset 0
		.amdhsa_user_sgpr_private_segment_size 0
		.amdhsa_uses_dynamic_stack 0
		.amdhsa_system_sgpr_private_segment_wavefront_offset 0
		.amdhsa_system_sgpr_workgroup_id_x 1
		.amdhsa_system_sgpr_workgroup_id_y 0
		.amdhsa_system_sgpr_workgroup_id_z 0
		.amdhsa_system_sgpr_workgroup_info 0
		.amdhsa_system_vgpr_workitem_id 0
		.amdhsa_next_free_vgpr 1
		.amdhsa_next_free_sgpr 0
		.amdhsa_accum_offset 4
		.amdhsa_reserve_vcc 0
		.amdhsa_reserve_flat_scratch 0
		.amdhsa_float_round_mode_32 0
		.amdhsa_float_round_mode_16_64 0
		.amdhsa_float_denorm_mode_32 3
		.amdhsa_float_denorm_mode_16_64 3
		.amdhsa_dx10_clamp 1
		.amdhsa_ieee_mode 1
		.amdhsa_fp16_overflow 0
		.amdhsa_tg_split 0
		.amdhsa_exception_fp_ieee_invalid_op 0
		.amdhsa_exception_fp_denorm_src 0
		.amdhsa_exception_fp_ieee_div_zero 0
		.amdhsa_exception_fp_ieee_overflow 0
		.amdhsa_exception_fp_ieee_underflow 0
		.amdhsa_exception_fp_ieee_inexact 0
		.amdhsa_exception_int_div_zero 0
	.end_amdhsa_kernel
	.section	.text._ZN7rocprim17ROCPRIM_400000_NS6detail17trampoline_kernelINS0_14default_configENS1_20scan_config_selectorIfEEZZNS1_9scan_implILNS1_25lookback_scan_determinismE0ELb0ELb0ES3_N6thrust23THRUST_200600_302600_NS6detail15normal_iteratorINS9_10device_ptrIfEEEESE_fNS9_4plusIvEEfEEDaPvRmT3_T4_T5_mT6_P12ihipStream_tbENKUlT_T0_E_clISt17integral_constantIbLb1EESU_EEDaSP_SQ_EUlSP_E0_NS1_11comp_targetILNS1_3genE2ELNS1_11target_archE906ELNS1_3gpuE6ELNS1_3repE0EEENS1_30default_config_static_selectorELNS0_4arch9wavefront6targetE1EEEvT1_,"axG",@progbits,_ZN7rocprim17ROCPRIM_400000_NS6detail17trampoline_kernelINS0_14default_configENS1_20scan_config_selectorIfEEZZNS1_9scan_implILNS1_25lookback_scan_determinismE0ELb0ELb0ES3_N6thrust23THRUST_200600_302600_NS6detail15normal_iteratorINS9_10device_ptrIfEEEESE_fNS9_4plusIvEEfEEDaPvRmT3_T4_T5_mT6_P12ihipStream_tbENKUlT_T0_E_clISt17integral_constantIbLb1EESU_EEDaSP_SQ_EUlSP_E0_NS1_11comp_targetILNS1_3genE2ELNS1_11target_archE906ELNS1_3gpuE6ELNS1_3repE0EEENS1_30default_config_static_selectorELNS0_4arch9wavefront6targetE1EEEvT1_,comdat
.Lfunc_end4317:
	.size	_ZN7rocprim17ROCPRIM_400000_NS6detail17trampoline_kernelINS0_14default_configENS1_20scan_config_selectorIfEEZZNS1_9scan_implILNS1_25lookback_scan_determinismE0ELb0ELb0ES3_N6thrust23THRUST_200600_302600_NS6detail15normal_iteratorINS9_10device_ptrIfEEEESE_fNS9_4plusIvEEfEEDaPvRmT3_T4_T5_mT6_P12ihipStream_tbENKUlT_T0_E_clISt17integral_constantIbLb1EESU_EEDaSP_SQ_EUlSP_E0_NS1_11comp_targetILNS1_3genE2ELNS1_11target_archE906ELNS1_3gpuE6ELNS1_3repE0EEENS1_30default_config_static_selectorELNS0_4arch9wavefront6targetE1EEEvT1_, .Lfunc_end4317-_ZN7rocprim17ROCPRIM_400000_NS6detail17trampoline_kernelINS0_14default_configENS1_20scan_config_selectorIfEEZZNS1_9scan_implILNS1_25lookback_scan_determinismE0ELb0ELb0ES3_N6thrust23THRUST_200600_302600_NS6detail15normal_iteratorINS9_10device_ptrIfEEEESE_fNS9_4plusIvEEfEEDaPvRmT3_T4_T5_mT6_P12ihipStream_tbENKUlT_T0_E_clISt17integral_constantIbLb1EESU_EEDaSP_SQ_EUlSP_E0_NS1_11comp_targetILNS1_3genE2ELNS1_11target_archE906ELNS1_3gpuE6ELNS1_3repE0EEENS1_30default_config_static_selectorELNS0_4arch9wavefront6targetE1EEEvT1_
                                        ; -- End function
	.section	.AMDGPU.csdata,"",@progbits
; Kernel info:
; codeLenInByte = 0
; NumSgprs: 4
; NumVgprs: 0
; NumAgprs: 0
; TotalNumVgprs: 0
; ScratchSize: 0
; MemoryBound: 0
; FloatMode: 240
; IeeeMode: 1
; LDSByteSize: 0 bytes/workgroup (compile time only)
; SGPRBlocks: 0
; VGPRBlocks: 0
; NumSGPRsForWavesPerEU: 4
; NumVGPRsForWavesPerEU: 1
; AccumOffset: 4
; Occupancy: 8
; WaveLimiterHint : 0
; COMPUTE_PGM_RSRC2:SCRATCH_EN: 0
; COMPUTE_PGM_RSRC2:USER_SGPR: 6
; COMPUTE_PGM_RSRC2:TRAP_HANDLER: 0
; COMPUTE_PGM_RSRC2:TGID_X_EN: 1
; COMPUTE_PGM_RSRC2:TGID_Y_EN: 0
; COMPUTE_PGM_RSRC2:TGID_Z_EN: 0
; COMPUTE_PGM_RSRC2:TIDIG_COMP_CNT: 0
; COMPUTE_PGM_RSRC3_GFX90A:ACCUM_OFFSET: 0
; COMPUTE_PGM_RSRC3_GFX90A:TG_SPLIT: 0
	.section	.text._ZN7rocprim17ROCPRIM_400000_NS6detail17trampoline_kernelINS0_14default_configENS1_20scan_config_selectorIfEEZZNS1_9scan_implILNS1_25lookback_scan_determinismE0ELb0ELb0ES3_N6thrust23THRUST_200600_302600_NS6detail15normal_iteratorINS9_10device_ptrIfEEEESE_fNS9_4plusIvEEfEEDaPvRmT3_T4_T5_mT6_P12ihipStream_tbENKUlT_T0_E_clISt17integral_constantIbLb1EESU_EEDaSP_SQ_EUlSP_E0_NS1_11comp_targetILNS1_3genE10ELNS1_11target_archE1201ELNS1_3gpuE5ELNS1_3repE0EEENS1_30default_config_static_selectorELNS0_4arch9wavefront6targetE1EEEvT1_,"axG",@progbits,_ZN7rocprim17ROCPRIM_400000_NS6detail17trampoline_kernelINS0_14default_configENS1_20scan_config_selectorIfEEZZNS1_9scan_implILNS1_25lookback_scan_determinismE0ELb0ELb0ES3_N6thrust23THRUST_200600_302600_NS6detail15normal_iteratorINS9_10device_ptrIfEEEESE_fNS9_4plusIvEEfEEDaPvRmT3_T4_T5_mT6_P12ihipStream_tbENKUlT_T0_E_clISt17integral_constantIbLb1EESU_EEDaSP_SQ_EUlSP_E0_NS1_11comp_targetILNS1_3genE10ELNS1_11target_archE1201ELNS1_3gpuE5ELNS1_3repE0EEENS1_30default_config_static_selectorELNS0_4arch9wavefront6targetE1EEEvT1_,comdat
	.protected	_ZN7rocprim17ROCPRIM_400000_NS6detail17trampoline_kernelINS0_14default_configENS1_20scan_config_selectorIfEEZZNS1_9scan_implILNS1_25lookback_scan_determinismE0ELb0ELb0ES3_N6thrust23THRUST_200600_302600_NS6detail15normal_iteratorINS9_10device_ptrIfEEEESE_fNS9_4plusIvEEfEEDaPvRmT3_T4_T5_mT6_P12ihipStream_tbENKUlT_T0_E_clISt17integral_constantIbLb1EESU_EEDaSP_SQ_EUlSP_E0_NS1_11comp_targetILNS1_3genE10ELNS1_11target_archE1201ELNS1_3gpuE5ELNS1_3repE0EEENS1_30default_config_static_selectorELNS0_4arch9wavefront6targetE1EEEvT1_ ; -- Begin function _ZN7rocprim17ROCPRIM_400000_NS6detail17trampoline_kernelINS0_14default_configENS1_20scan_config_selectorIfEEZZNS1_9scan_implILNS1_25lookback_scan_determinismE0ELb0ELb0ES3_N6thrust23THRUST_200600_302600_NS6detail15normal_iteratorINS9_10device_ptrIfEEEESE_fNS9_4plusIvEEfEEDaPvRmT3_T4_T5_mT6_P12ihipStream_tbENKUlT_T0_E_clISt17integral_constantIbLb1EESU_EEDaSP_SQ_EUlSP_E0_NS1_11comp_targetILNS1_3genE10ELNS1_11target_archE1201ELNS1_3gpuE5ELNS1_3repE0EEENS1_30default_config_static_selectorELNS0_4arch9wavefront6targetE1EEEvT1_
	.globl	_ZN7rocprim17ROCPRIM_400000_NS6detail17trampoline_kernelINS0_14default_configENS1_20scan_config_selectorIfEEZZNS1_9scan_implILNS1_25lookback_scan_determinismE0ELb0ELb0ES3_N6thrust23THRUST_200600_302600_NS6detail15normal_iteratorINS9_10device_ptrIfEEEESE_fNS9_4plusIvEEfEEDaPvRmT3_T4_T5_mT6_P12ihipStream_tbENKUlT_T0_E_clISt17integral_constantIbLb1EESU_EEDaSP_SQ_EUlSP_E0_NS1_11comp_targetILNS1_3genE10ELNS1_11target_archE1201ELNS1_3gpuE5ELNS1_3repE0EEENS1_30default_config_static_selectorELNS0_4arch9wavefront6targetE1EEEvT1_
	.p2align	8
	.type	_ZN7rocprim17ROCPRIM_400000_NS6detail17trampoline_kernelINS0_14default_configENS1_20scan_config_selectorIfEEZZNS1_9scan_implILNS1_25lookback_scan_determinismE0ELb0ELb0ES3_N6thrust23THRUST_200600_302600_NS6detail15normal_iteratorINS9_10device_ptrIfEEEESE_fNS9_4plusIvEEfEEDaPvRmT3_T4_T5_mT6_P12ihipStream_tbENKUlT_T0_E_clISt17integral_constantIbLb1EESU_EEDaSP_SQ_EUlSP_E0_NS1_11comp_targetILNS1_3genE10ELNS1_11target_archE1201ELNS1_3gpuE5ELNS1_3repE0EEENS1_30default_config_static_selectorELNS0_4arch9wavefront6targetE1EEEvT1_,@function
_ZN7rocprim17ROCPRIM_400000_NS6detail17trampoline_kernelINS0_14default_configENS1_20scan_config_selectorIfEEZZNS1_9scan_implILNS1_25lookback_scan_determinismE0ELb0ELb0ES3_N6thrust23THRUST_200600_302600_NS6detail15normal_iteratorINS9_10device_ptrIfEEEESE_fNS9_4plusIvEEfEEDaPvRmT3_T4_T5_mT6_P12ihipStream_tbENKUlT_T0_E_clISt17integral_constantIbLb1EESU_EEDaSP_SQ_EUlSP_E0_NS1_11comp_targetILNS1_3genE10ELNS1_11target_archE1201ELNS1_3gpuE5ELNS1_3repE0EEENS1_30default_config_static_selectorELNS0_4arch9wavefront6targetE1EEEvT1_: ; @_ZN7rocprim17ROCPRIM_400000_NS6detail17trampoline_kernelINS0_14default_configENS1_20scan_config_selectorIfEEZZNS1_9scan_implILNS1_25lookback_scan_determinismE0ELb0ELb0ES3_N6thrust23THRUST_200600_302600_NS6detail15normal_iteratorINS9_10device_ptrIfEEEESE_fNS9_4plusIvEEfEEDaPvRmT3_T4_T5_mT6_P12ihipStream_tbENKUlT_T0_E_clISt17integral_constantIbLb1EESU_EEDaSP_SQ_EUlSP_E0_NS1_11comp_targetILNS1_3genE10ELNS1_11target_archE1201ELNS1_3gpuE5ELNS1_3repE0EEENS1_30default_config_static_selectorELNS0_4arch9wavefront6targetE1EEEvT1_
; %bb.0:
	.section	.rodata,"a",@progbits
	.p2align	6, 0x0
	.amdhsa_kernel _ZN7rocprim17ROCPRIM_400000_NS6detail17trampoline_kernelINS0_14default_configENS1_20scan_config_selectorIfEEZZNS1_9scan_implILNS1_25lookback_scan_determinismE0ELb0ELb0ES3_N6thrust23THRUST_200600_302600_NS6detail15normal_iteratorINS9_10device_ptrIfEEEESE_fNS9_4plusIvEEfEEDaPvRmT3_T4_T5_mT6_P12ihipStream_tbENKUlT_T0_E_clISt17integral_constantIbLb1EESU_EEDaSP_SQ_EUlSP_E0_NS1_11comp_targetILNS1_3genE10ELNS1_11target_archE1201ELNS1_3gpuE5ELNS1_3repE0EEENS1_30default_config_static_selectorELNS0_4arch9wavefront6targetE1EEEvT1_
		.amdhsa_group_segment_fixed_size 0
		.amdhsa_private_segment_fixed_size 0
		.amdhsa_kernarg_size 32
		.amdhsa_user_sgpr_count 6
		.amdhsa_user_sgpr_private_segment_buffer 1
		.amdhsa_user_sgpr_dispatch_ptr 0
		.amdhsa_user_sgpr_queue_ptr 0
		.amdhsa_user_sgpr_kernarg_segment_ptr 1
		.amdhsa_user_sgpr_dispatch_id 0
		.amdhsa_user_sgpr_flat_scratch_init 0
		.amdhsa_user_sgpr_kernarg_preload_length 0
		.amdhsa_user_sgpr_kernarg_preload_offset 0
		.amdhsa_user_sgpr_private_segment_size 0
		.amdhsa_uses_dynamic_stack 0
		.amdhsa_system_sgpr_private_segment_wavefront_offset 0
		.amdhsa_system_sgpr_workgroup_id_x 1
		.amdhsa_system_sgpr_workgroup_id_y 0
		.amdhsa_system_sgpr_workgroup_id_z 0
		.amdhsa_system_sgpr_workgroup_info 0
		.amdhsa_system_vgpr_workitem_id 0
		.amdhsa_next_free_vgpr 1
		.amdhsa_next_free_sgpr 0
		.amdhsa_accum_offset 4
		.amdhsa_reserve_vcc 0
		.amdhsa_reserve_flat_scratch 0
		.amdhsa_float_round_mode_32 0
		.amdhsa_float_round_mode_16_64 0
		.amdhsa_float_denorm_mode_32 3
		.amdhsa_float_denorm_mode_16_64 3
		.amdhsa_dx10_clamp 1
		.amdhsa_ieee_mode 1
		.amdhsa_fp16_overflow 0
		.amdhsa_tg_split 0
		.amdhsa_exception_fp_ieee_invalid_op 0
		.amdhsa_exception_fp_denorm_src 0
		.amdhsa_exception_fp_ieee_div_zero 0
		.amdhsa_exception_fp_ieee_overflow 0
		.amdhsa_exception_fp_ieee_underflow 0
		.amdhsa_exception_fp_ieee_inexact 0
		.amdhsa_exception_int_div_zero 0
	.end_amdhsa_kernel
	.section	.text._ZN7rocprim17ROCPRIM_400000_NS6detail17trampoline_kernelINS0_14default_configENS1_20scan_config_selectorIfEEZZNS1_9scan_implILNS1_25lookback_scan_determinismE0ELb0ELb0ES3_N6thrust23THRUST_200600_302600_NS6detail15normal_iteratorINS9_10device_ptrIfEEEESE_fNS9_4plusIvEEfEEDaPvRmT3_T4_T5_mT6_P12ihipStream_tbENKUlT_T0_E_clISt17integral_constantIbLb1EESU_EEDaSP_SQ_EUlSP_E0_NS1_11comp_targetILNS1_3genE10ELNS1_11target_archE1201ELNS1_3gpuE5ELNS1_3repE0EEENS1_30default_config_static_selectorELNS0_4arch9wavefront6targetE1EEEvT1_,"axG",@progbits,_ZN7rocprim17ROCPRIM_400000_NS6detail17trampoline_kernelINS0_14default_configENS1_20scan_config_selectorIfEEZZNS1_9scan_implILNS1_25lookback_scan_determinismE0ELb0ELb0ES3_N6thrust23THRUST_200600_302600_NS6detail15normal_iteratorINS9_10device_ptrIfEEEESE_fNS9_4plusIvEEfEEDaPvRmT3_T4_T5_mT6_P12ihipStream_tbENKUlT_T0_E_clISt17integral_constantIbLb1EESU_EEDaSP_SQ_EUlSP_E0_NS1_11comp_targetILNS1_3genE10ELNS1_11target_archE1201ELNS1_3gpuE5ELNS1_3repE0EEENS1_30default_config_static_selectorELNS0_4arch9wavefront6targetE1EEEvT1_,comdat
.Lfunc_end4318:
	.size	_ZN7rocprim17ROCPRIM_400000_NS6detail17trampoline_kernelINS0_14default_configENS1_20scan_config_selectorIfEEZZNS1_9scan_implILNS1_25lookback_scan_determinismE0ELb0ELb0ES3_N6thrust23THRUST_200600_302600_NS6detail15normal_iteratorINS9_10device_ptrIfEEEESE_fNS9_4plusIvEEfEEDaPvRmT3_T4_T5_mT6_P12ihipStream_tbENKUlT_T0_E_clISt17integral_constantIbLb1EESU_EEDaSP_SQ_EUlSP_E0_NS1_11comp_targetILNS1_3genE10ELNS1_11target_archE1201ELNS1_3gpuE5ELNS1_3repE0EEENS1_30default_config_static_selectorELNS0_4arch9wavefront6targetE1EEEvT1_, .Lfunc_end4318-_ZN7rocprim17ROCPRIM_400000_NS6detail17trampoline_kernelINS0_14default_configENS1_20scan_config_selectorIfEEZZNS1_9scan_implILNS1_25lookback_scan_determinismE0ELb0ELb0ES3_N6thrust23THRUST_200600_302600_NS6detail15normal_iteratorINS9_10device_ptrIfEEEESE_fNS9_4plusIvEEfEEDaPvRmT3_T4_T5_mT6_P12ihipStream_tbENKUlT_T0_E_clISt17integral_constantIbLb1EESU_EEDaSP_SQ_EUlSP_E0_NS1_11comp_targetILNS1_3genE10ELNS1_11target_archE1201ELNS1_3gpuE5ELNS1_3repE0EEENS1_30default_config_static_selectorELNS0_4arch9wavefront6targetE1EEEvT1_
                                        ; -- End function
	.section	.AMDGPU.csdata,"",@progbits
; Kernel info:
; codeLenInByte = 0
; NumSgprs: 4
; NumVgprs: 0
; NumAgprs: 0
; TotalNumVgprs: 0
; ScratchSize: 0
; MemoryBound: 0
; FloatMode: 240
; IeeeMode: 1
; LDSByteSize: 0 bytes/workgroup (compile time only)
; SGPRBlocks: 0
; VGPRBlocks: 0
; NumSGPRsForWavesPerEU: 4
; NumVGPRsForWavesPerEU: 1
; AccumOffset: 4
; Occupancy: 8
; WaveLimiterHint : 0
; COMPUTE_PGM_RSRC2:SCRATCH_EN: 0
; COMPUTE_PGM_RSRC2:USER_SGPR: 6
; COMPUTE_PGM_RSRC2:TRAP_HANDLER: 0
; COMPUTE_PGM_RSRC2:TGID_X_EN: 1
; COMPUTE_PGM_RSRC2:TGID_Y_EN: 0
; COMPUTE_PGM_RSRC2:TGID_Z_EN: 0
; COMPUTE_PGM_RSRC2:TIDIG_COMP_CNT: 0
; COMPUTE_PGM_RSRC3_GFX90A:ACCUM_OFFSET: 0
; COMPUTE_PGM_RSRC3_GFX90A:TG_SPLIT: 0
	.section	.text._ZN7rocprim17ROCPRIM_400000_NS6detail17trampoline_kernelINS0_14default_configENS1_20scan_config_selectorIfEEZZNS1_9scan_implILNS1_25lookback_scan_determinismE0ELb0ELb0ES3_N6thrust23THRUST_200600_302600_NS6detail15normal_iteratorINS9_10device_ptrIfEEEESE_fNS9_4plusIvEEfEEDaPvRmT3_T4_T5_mT6_P12ihipStream_tbENKUlT_T0_E_clISt17integral_constantIbLb1EESU_EEDaSP_SQ_EUlSP_E0_NS1_11comp_targetILNS1_3genE10ELNS1_11target_archE1200ELNS1_3gpuE4ELNS1_3repE0EEENS1_30default_config_static_selectorELNS0_4arch9wavefront6targetE1EEEvT1_,"axG",@progbits,_ZN7rocprim17ROCPRIM_400000_NS6detail17trampoline_kernelINS0_14default_configENS1_20scan_config_selectorIfEEZZNS1_9scan_implILNS1_25lookback_scan_determinismE0ELb0ELb0ES3_N6thrust23THRUST_200600_302600_NS6detail15normal_iteratorINS9_10device_ptrIfEEEESE_fNS9_4plusIvEEfEEDaPvRmT3_T4_T5_mT6_P12ihipStream_tbENKUlT_T0_E_clISt17integral_constantIbLb1EESU_EEDaSP_SQ_EUlSP_E0_NS1_11comp_targetILNS1_3genE10ELNS1_11target_archE1200ELNS1_3gpuE4ELNS1_3repE0EEENS1_30default_config_static_selectorELNS0_4arch9wavefront6targetE1EEEvT1_,comdat
	.protected	_ZN7rocprim17ROCPRIM_400000_NS6detail17trampoline_kernelINS0_14default_configENS1_20scan_config_selectorIfEEZZNS1_9scan_implILNS1_25lookback_scan_determinismE0ELb0ELb0ES3_N6thrust23THRUST_200600_302600_NS6detail15normal_iteratorINS9_10device_ptrIfEEEESE_fNS9_4plusIvEEfEEDaPvRmT3_T4_T5_mT6_P12ihipStream_tbENKUlT_T0_E_clISt17integral_constantIbLb1EESU_EEDaSP_SQ_EUlSP_E0_NS1_11comp_targetILNS1_3genE10ELNS1_11target_archE1200ELNS1_3gpuE4ELNS1_3repE0EEENS1_30default_config_static_selectorELNS0_4arch9wavefront6targetE1EEEvT1_ ; -- Begin function _ZN7rocprim17ROCPRIM_400000_NS6detail17trampoline_kernelINS0_14default_configENS1_20scan_config_selectorIfEEZZNS1_9scan_implILNS1_25lookback_scan_determinismE0ELb0ELb0ES3_N6thrust23THRUST_200600_302600_NS6detail15normal_iteratorINS9_10device_ptrIfEEEESE_fNS9_4plusIvEEfEEDaPvRmT3_T4_T5_mT6_P12ihipStream_tbENKUlT_T0_E_clISt17integral_constantIbLb1EESU_EEDaSP_SQ_EUlSP_E0_NS1_11comp_targetILNS1_3genE10ELNS1_11target_archE1200ELNS1_3gpuE4ELNS1_3repE0EEENS1_30default_config_static_selectorELNS0_4arch9wavefront6targetE1EEEvT1_
	.globl	_ZN7rocprim17ROCPRIM_400000_NS6detail17trampoline_kernelINS0_14default_configENS1_20scan_config_selectorIfEEZZNS1_9scan_implILNS1_25lookback_scan_determinismE0ELb0ELb0ES3_N6thrust23THRUST_200600_302600_NS6detail15normal_iteratorINS9_10device_ptrIfEEEESE_fNS9_4plusIvEEfEEDaPvRmT3_T4_T5_mT6_P12ihipStream_tbENKUlT_T0_E_clISt17integral_constantIbLb1EESU_EEDaSP_SQ_EUlSP_E0_NS1_11comp_targetILNS1_3genE10ELNS1_11target_archE1200ELNS1_3gpuE4ELNS1_3repE0EEENS1_30default_config_static_selectorELNS0_4arch9wavefront6targetE1EEEvT1_
	.p2align	8
	.type	_ZN7rocprim17ROCPRIM_400000_NS6detail17trampoline_kernelINS0_14default_configENS1_20scan_config_selectorIfEEZZNS1_9scan_implILNS1_25lookback_scan_determinismE0ELb0ELb0ES3_N6thrust23THRUST_200600_302600_NS6detail15normal_iteratorINS9_10device_ptrIfEEEESE_fNS9_4plusIvEEfEEDaPvRmT3_T4_T5_mT6_P12ihipStream_tbENKUlT_T0_E_clISt17integral_constantIbLb1EESU_EEDaSP_SQ_EUlSP_E0_NS1_11comp_targetILNS1_3genE10ELNS1_11target_archE1200ELNS1_3gpuE4ELNS1_3repE0EEENS1_30default_config_static_selectorELNS0_4arch9wavefront6targetE1EEEvT1_,@function
_ZN7rocprim17ROCPRIM_400000_NS6detail17trampoline_kernelINS0_14default_configENS1_20scan_config_selectorIfEEZZNS1_9scan_implILNS1_25lookback_scan_determinismE0ELb0ELb0ES3_N6thrust23THRUST_200600_302600_NS6detail15normal_iteratorINS9_10device_ptrIfEEEESE_fNS9_4plusIvEEfEEDaPvRmT3_T4_T5_mT6_P12ihipStream_tbENKUlT_T0_E_clISt17integral_constantIbLb1EESU_EEDaSP_SQ_EUlSP_E0_NS1_11comp_targetILNS1_3genE10ELNS1_11target_archE1200ELNS1_3gpuE4ELNS1_3repE0EEENS1_30default_config_static_selectorELNS0_4arch9wavefront6targetE1EEEvT1_: ; @_ZN7rocprim17ROCPRIM_400000_NS6detail17trampoline_kernelINS0_14default_configENS1_20scan_config_selectorIfEEZZNS1_9scan_implILNS1_25lookback_scan_determinismE0ELb0ELb0ES3_N6thrust23THRUST_200600_302600_NS6detail15normal_iteratorINS9_10device_ptrIfEEEESE_fNS9_4plusIvEEfEEDaPvRmT3_T4_T5_mT6_P12ihipStream_tbENKUlT_T0_E_clISt17integral_constantIbLb1EESU_EEDaSP_SQ_EUlSP_E0_NS1_11comp_targetILNS1_3genE10ELNS1_11target_archE1200ELNS1_3gpuE4ELNS1_3repE0EEENS1_30default_config_static_selectorELNS0_4arch9wavefront6targetE1EEEvT1_
; %bb.0:
	.section	.rodata,"a",@progbits
	.p2align	6, 0x0
	.amdhsa_kernel _ZN7rocprim17ROCPRIM_400000_NS6detail17trampoline_kernelINS0_14default_configENS1_20scan_config_selectorIfEEZZNS1_9scan_implILNS1_25lookback_scan_determinismE0ELb0ELb0ES3_N6thrust23THRUST_200600_302600_NS6detail15normal_iteratorINS9_10device_ptrIfEEEESE_fNS9_4plusIvEEfEEDaPvRmT3_T4_T5_mT6_P12ihipStream_tbENKUlT_T0_E_clISt17integral_constantIbLb1EESU_EEDaSP_SQ_EUlSP_E0_NS1_11comp_targetILNS1_3genE10ELNS1_11target_archE1200ELNS1_3gpuE4ELNS1_3repE0EEENS1_30default_config_static_selectorELNS0_4arch9wavefront6targetE1EEEvT1_
		.amdhsa_group_segment_fixed_size 0
		.amdhsa_private_segment_fixed_size 0
		.amdhsa_kernarg_size 32
		.amdhsa_user_sgpr_count 6
		.amdhsa_user_sgpr_private_segment_buffer 1
		.amdhsa_user_sgpr_dispatch_ptr 0
		.amdhsa_user_sgpr_queue_ptr 0
		.amdhsa_user_sgpr_kernarg_segment_ptr 1
		.amdhsa_user_sgpr_dispatch_id 0
		.amdhsa_user_sgpr_flat_scratch_init 0
		.amdhsa_user_sgpr_kernarg_preload_length 0
		.amdhsa_user_sgpr_kernarg_preload_offset 0
		.amdhsa_user_sgpr_private_segment_size 0
		.amdhsa_uses_dynamic_stack 0
		.amdhsa_system_sgpr_private_segment_wavefront_offset 0
		.amdhsa_system_sgpr_workgroup_id_x 1
		.amdhsa_system_sgpr_workgroup_id_y 0
		.amdhsa_system_sgpr_workgroup_id_z 0
		.amdhsa_system_sgpr_workgroup_info 0
		.amdhsa_system_vgpr_workitem_id 0
		.amdhsa_next_free_vgpr 1
		.amdhsa_next_free_sgpr 0
		.amdhsa_accum_offset 4
		.amdhsa_reserve_vcc 0
		.amdhsa_reserve_flat_scratch 0
		.amdhsa_float_round_mode_32 0
		.amdhsa_float_round_mode_16_64 0
		.amdhsa_float_denorm_mode_32 3
		.amdhsa_float_denorm_mode_16_64 3
		.amdhsa_dx10_clamp 1
		.amdhsa_ieee_mode 1
		.amdhsa_fp16_overflow 0
		.amdhsa_tg_split 0
		.amdhsa_exception_fp_ieee_invalid_op 0
		.amdhsa_exception_fp_denorm_src 0
		.amdhsa_exception_fp_ieee_div_zero 0
		.amdhsa_exception_fp_ieee_overflow 0
		.amdhsa_exception_fp_ieee_underflow 0
		.amdhsa_exception_fp_ieee_inexact 0
		.amdhsa_exception_int_div_zero 0
	.end_amdhsa_kernel
	.section	.text._ZN7rocprim17ROCPRIM_400000_NS6detail17trampoline_kernelINS0_14default_configENS1_20scan_config_selectorIfEEZZNS1_9scan_implILNS1_25lookback_scan_determinismE0ELb0ELb0ES3_N6thrust23THRUST_200600_302600_NS6detail15normal_iteratorINS9_10device_ptrIfEEEESE_fNS9_4plusIvEEfEEDaPvRmT3_T4_T5_mT6_P12ihipStream_tbENKUlT_T0_E_clISt17integral_constantIbLb1EESU_EEDaSP_SQ_EUlSP_E0_NS1_11comp_targetILNS1_3genE10ELNS1_11target_archE1200ELNS1_3gpuE4ELNS1_3repE0EEENS1_30default_config_static_selectorELNS0_4arch9wavefront6targetE1EEEvT1_,"axG",@progbits,_ZN7rocprim17ROCPRIM_400000_NS6detail17trampoline_kernelINS0_14default_configENS1_20scan_config_selectorIfEEZZNS1_9scan_implILNS1_25lookback_scan_determinismE0ELb0ELb0ES3_N6thrust23THRUST_200600_302600_NS6detail15normal_iteratorINS9_10device_ptrIfEEEESE_fNS9_4plusIvEEfEEDaPvRmT3_T4_T5_mT6_P12ihipStream_tbENKUlT_T0_E_clISt17integral_constantIbLb1EESU_EEDaSP_SQ_EUlSP_E0_NS1_11comp_targetILNS1_3genE10ELNS1_11target_archE1200ELNS1_3gpuE4ELNS1_3repE0EEENS1_30default_config_static_selectorELNS0_4arch9wavefront6targetE1EEEvT1_,comdat
.Lfunc_end4319:
	.size	_ZN7rocprim17ROCPRIM_400000_NS6detail17trampoline_kernelINS0_14default_configENS1_20scan_config_selectorIfEEZZNS1_9scan_implILNS1_25lookback_scan_determinismE0ELb0ELb0ES3_N6thrust23THRUST_200600_302600_NS6detail15normal_iteratorINS9_10device_ptrIfEEEESE_fNS9_4plusIvEEfEEDaPvRmT3_T4_T5_mT6_P12ihipStream_tbENKUlT_T0_E_clISt17integral_constantIbLb1EESU_EEDaSP_SQ_EUlSP_E0_NS1_11comp_targetILNS1_3genE10ELNS1_11target_archE1200ELNS1_3gpuE4ELNS1_3repE0EEENS1_30default_config_static_selectorELNS0_4arch9wavefront6targetE1EEEvT1_, .Lfunc_end4319-_ZN7rocprim17ROCPRIM_400000_NS6detail17trampoline_kernelINS0_14default_configENS1_20scan_config_selectorIfEEZZNS1_9scan_implILNS1_25lookback_scan_determinismE0ELb0ELb0ES3_N6thrust23THRUST_200600_302600_NS6detail15normal_iteratorINS9_10device_ptrIfEEEESE_fNS9_4plusIvEEfEEDaPvRmT3_T4_T5_mT6_P12ihipStream_tbENKUlT_T0_E_clISt17integral_constantIbLb1EESU_EEDaSP_SQ_EUlSP_E0_NS1_11comp_targetILNS1_3genE10ELNS1_11target_archE1200ELNS1_3gpuE4ELNS1_3repE0EEENS1_30default_config_static_selectorELNS0_4arch9wavefront6targetE1EEEvT1_
                                        ; -- End function
	.section	.AMDGPU.csdata,"",@progbits
; Kernel info:
; codeLenInByte = 0
; NumSgprs: 4
; NumVgprs: 0
; NumAgprs: 0
; TotalNumVgprs: 0
; ScratchSize: 0
; MemoryBound: 0
; FloatMode: 240
; IeeeMode: 1
; LDSByteSize: 0 bytes/workgroup (compile time only)
; SGPRBlocks: 0
; VGPRBlocks: 0
; NumSGPRsForWavesPerEU: 4
; NumVGPRsForWavesPerEU: 1
; AccumOffset: 4
; Occupancy: 8
; WaveLimiterHint : 0
; COMPUTE_PGM_RSRC2:SCRATCH_EN: 0
; COMPUTE_PGM_RSRC2:USER_SGPR: 6
; COMPUTE_PGM_RSRC2:TRAP_HANDLER: 0
; COMPUTE_PGM_RSRC2:TGID_X_EN: 1
; COMPUTE_PGM_RSRC2:TGID_Y_EN: 0
; COMPUTE_PGM_RSRC2:TGID_Z_EN: 0
; COMPUTE_PGM_RSRC2:TIDIG_COMP_CNT: 0
; COMPUTE_PGM_RSRC3_GFX90A:ACCUM_OFFSET: 0
; COMPUTE_PGM_RSRC3_GFX90A:TG_SPLIT: 0
	.section	.text._ZN7rocprim17ROCPRIM_400000_NS6detail17trampoline_kernelINS0_14default_configENS1_20scan_config_selectorIfEEZZNS1_9scan_implILNS1_25lookback_scan_determinismE0ELb0ELb0ES3_N6thrust23THRUST_200600_302600_NS6detail15normal_iteratorINS9_10device_ptrIfEEEESE_fNS9_4plusIvEEfEEDaPvRmT3_T4_T5_mT6_P12ihipStream_tbENKUlT_T0_E_clISt17integral_constantIbLb1EESU_EEDaSP_SQ_EUlSP_E0_NS1_11comp_targetILNS1_3genE9ELNS1_11target_archE1100ELNS1_3gpuE3ELNS1_3repE0EEENS1_30default_config_static_selectorELNS0_4arch9wavefront6targetE1EEEvT1_,"axG",@progbits,_ZN7rocprim17ROCPRIM_400000_NS6detail17trampoline_kernelINS0_14default_configENS1_20scan_config_selectorIfEEZZNS1_9scan_implILNS1_25lookback_scan_determinismE0ELb0ELb0ES3_N6thrust23THRUST_200600_302600_NS6detail15normal_iteratorINS9_10device_ptrIfEEEESE_fNS9_4plusIvEEfEEDaPvRmT3_T4_T5_mT6_P12ihipStream_tbENKUlT_T0_E_clISt17integral_constantIbLb1EESU_EEDaSP_SQ_EUlSP_E0_NS1_11comp_targetILNS1_3genE9ELNS1_11target_archE1100ELNS1_3gpuE3ELNS1_3repE0EEENS1_30default_config_static_selectorELNS0_4arch9wavefront6targetE1EEEvT1_,comdat
	.protected	_ZN7rocprim17ROCPRIM_400000_NS6detail17trampoline_kernelINS0_14default_configENS1_20scan_config_selectorIfEEZZNS1_9scan_implILNS1_25lookback_scan_determinismE0ELb0ELb0ES3_N6thrust23THRUST_200600_302600_NS6detail15normal_iteratorINS9_10device_ptrIfEEEESE_fNS9_4plusIvEEfEEDaPvRmT3_T4_T5_mT6_P12ihipStream_tbENKUlT_T0_E_clISt17integral_constantIbLb1EESU_EEDaSP_SQ_EUlSP_E0_NS1_11comp_targetILNS1_3genE9ELNS1_11target_archE1100ELNS1_3gpuE3ELNS1_3repE0EEENS1_30default_config_static_selectorELNS0_4arch9wavefront6targetE1EEEvT1_ ; -- Begin function _ZN7rocprim17ROCPRIM_400000_NS6detail17trampoline_kernelINS0_14default_configENS1_20scan_config_selectorIfEEZZNS1_9scan_implILNS1_25lookback_scan_determinismE0ELb0ELb0ES3_N6thrust23THRUST_200600_302600_NS6detail15normal_iteratorINS9_10device_ptrIfEEEESE_fNS9_4plusIvEEfEEDaPvRmT3_T4_T5_mT6_P12ihipStream_tbENKUlT_T0_E_clISt17integral_constantIbLb1EESU_EEDaSP_SQ_EUlSP_E0_NS1_11comp_targetILNS1_3genE9ELNS1_11target_archE1100ELNS1_3gpuE3ELNS1_3repE0EEENS1_30default_config_static_selectorELNS0_4arch9wavefront6targetE1EEEvT1_
	.globl	_ZN7rocprim17ROCPRIM_400000_NS6detail17trampoline_kernelINS0_14default_configENS1_20scan_config_selectorIfEEZZNS1_9scan_implILNS1_25lookback_scan_determinismE0ELb0ELb0ES3_N6thrust23THRUST_200600_302600_NS6detail15normal_iteratorINS9_10device_ptrIfEEEESE_fNS9_4plusIvEEfEEDaPvRmT3_T4_T5_mT6_P12ihipStream_tbENKUlT_T0_E_clISt17integral_constantIbLb1EESU_EEDaSP_SQ_EUlSP_E0_NS1_11comp_targetILNS1_3genE9ELNS1_11target_archE1100ELNS1_3gpuE3ELNS1_3repE0EEENS1_30default_config_static_selectorELNS0_4arch9wavefront6targetE1EEEvT1_
	.p2align	8
	.type	_ZN7rocprim17ROCPRIM_400000_NS6detail17trampoline_kernelINS0_14default_configENS1_20scan_config_selectorIfEEZZNS1_9scan_implILNS1_25lookback_scan_determinismE0ELb0ELb0ES3_N6thrust23THRUST_200600_302600_NS6detail15normal_iteratorINS9_10device_ptrIfEEEESE_fNS9_4plusIvEEfEEDaPvRmT3_T4_T5_mT6_P12ihipStream_tbENKUlT_T0_E_clISt17integral_constantIbLb1EESU_EEDaSP_SQ_EUlSP_E0_NS1_11comp_targetILNS1_3genE9ELNS1_11target_archE1100ELNS1_3gpuE3ELNS1_3repE0EEENS1_30default_config_static_selectorELNS0_4arch9wavefront6targetE1EEEvT1_,@function
_ZN7rocprim17ROCPRIM_400000_NS6detail17trampoline_kernelINS0_14default_configENS1_20scan_config_selectorIfEEZZNS1_9scan_implILNS1_25lookback_scan_determinismE0ELb0ELb0ES3_N6thrust23THRUST_200600_302600_NS6detail15normal_iteratorINS9_10device_ptrIfEEEESE_fNS9_4plusIvEEfEEDaPvRmT3_T4_T5_mT6_P12ihipStream_tbENKUlT_T0_E_clISt17integral_constantIbLb1EESU_EEDaSP_SQ_EUlSP_E0_NS1_11comp_targetILNS1_3genE9ELNS1_11target_archE1100ELNS1_3gpuE3ELNS1_3repE0EEENS1_30default_config_static_selectorELNS0_4arch9wavefront6targetE1EEEvT1_: ; @_ZN7rocprim17ROCPRIM_400000_NS6detail17trampoline_kernelINS0_14default_configENS1_20scan_config_selectorIfEEZZNS1_9scan_implILNS1_25lookback_scan_determinismE0ELb0ELb0ES3_N6thrust23THRUST_200600_302600_NS6detail15normal_iteratorINS9_10device_ptrIfEEEESE_fNS9_4plusIvEEfEEDaPvRmT3_T4_T5_mT6_P12ihipStream_tbENKUlT_T0_E_clISt17integral_constantIbLb1EESU_EEDaSP_SQ_EUlSP_E0_NS1_11comp_targetILNS1_3genE9ELNS1_11target_archE1100ELNS1_3gpuE3ELNS1_3repE0EEENS1_30default_config_static_selectorELNS0_4arch9wavefront6targetE1EEEvT1_
; %bb.0:
	.section	.rodata,"a",@progbits
	.p2align	6, 0x0
	.amdhsa_kernel _ZN7rocprim17ROCPRIM_400000_NS6detail17trampoline_kernelINS0_14default_configENS1_20scan_config_selectorIfEEZZNS1_9scan_implILNS1_25lookback_scan_determinismE0ELb0ELb0ES3_N6thrust23THRUST_200600_302600_NS6detail15normal_iteratorINS9_10device_ptrIfEEEESE_fNS9_4plusIvEEfEEDaPvRmT3_T4_T5_mT6_P12ihipStream_tbENKUlT_T0_E_clISt17integral_constantIbLb1EESU_EEDaSP_SQ_EUlSP_E0_NS1_11comp_targetILNS1_3genE9ELNS1_11target_archE1100ELNS1_3gpuE3ELNS1_3repE0EEENS1_30default_config_static_selectorELNS0_4arch9wavefront6targetE1EEEvT1_
		.amdhsa_group_segment_fixed_size 0
		.amdhsa_private_segment_fixed_size 0
		.amdhsa_kernarg_size 32
		.amdhsa_user_sgpr_count 6
		.amdhsa_user_sgpr_private_segment_buffer 1
		.amdhsa_user_sgpr_dispatch_ptr 0
		.amdhsa_user_sgpr_queue_ptr 0
		.amdhsa_user_sgpr_kernarg_segment_ptr 1
		.amdhsa_user_sgpr_dispatch_id 0
		.amdhsa_user_sgpr_flat_scratch_init 0
		.amdhsa_user_sgpr_kernarg_preload_length 0
		.amdhsa_user_sgpr_kernarg_preload_offset 0
		.amdhsa_user_sgpr_private_segment_size 0
		.amdhsa_uses_dynamic_stack 0
		.amdhsa_system_sgpr_private_segment_wavefront_offset 0
		.amdhsa_system_sgpr_workgroup_id_x 1
		.amdhsa_system_sgpr_workgroup_id_y 0
		.amdhsa_system_sgpr_workgroup_id_z 0
		.amdhsa_system_sgpr_workgroup_info 0
		.amdhsa_system_vgpr_workitem_id 0
		.amdhsa_next_free_vgpr 1
		.amdhsa_next_free_sgpr 0
		.amdhsa_accum_offset 4
		.amdhsa_reserve_vcc 0
		.amdhsa_reserve_flat_scratch 0
		.amdhsa_float_round_mode_32 0
		.amdhsa_float_round_mode_16_64 0
		.amdhsa_float_denorm_mode_32 3
		.amdhsa_float_denorm_mode_16_64 3
		.amdhsa_dx10_clamp 1
		.amdhsa_ieee_mode 1
		.amdhsa_fp16_overflow 0
		.amdhsa_tg_split 0
		.amdhsa_exception_fp_ieee_invalid_op 0
		.amdhsa_exception_fp_denorm_src 0
		.amdhsa_exception_fp_ieee_div_zero 0
		.amdhsa_exception_fp_ieee_overflow 0
		.amdhsa_exception_fp_ieee_underflow 0
		.amdhsa_exception_fp_ieee_inexact 0
		.amdhsa_exception_int_div_zero 0
	.end_amdhsa_kernel
	.section	.text._ZN7rocprim17ROCPRIM_400000_NS6detail17trampoline_kernelINS0_14default_configENS1_20scan_config_selectorIfEEZZNS1_9scan_implILNS1_25lookback_scan_determinismE0ELb0ELb0ES3_N6thrust23THRUST_200600_302600_NS6detail15normal_iteratorINS9_10device_ptrIfEEEESE_fNS9_4plusIvEEfEEDaPvRmT3_T4_T5_mT6_P12ihipStream_tbENKUlT_T0_E_clISt17integral_constantIbLb1EESU_EEDaSP_SQ_EUlSP_E0_NS1_11comp_targetILNS1_3genE9ELNS1_11target_archE1100ELNS1_3gpuE3ELNS1_3repE0EEENS1_30default_config_static_selectorELNS0_4arch9wavefront6targetE1EEEvT1_,"axG",@progbits,_ZN7rocprim17ROCPRIM_400000_NS6detail17trampoline_kernelINS0_14default_configENS1_20scan_config_selectorIfEEZZNS1_9scan_implILNS1_25lookback_scan_determinismE0ELb0ELb0ES3_N6thrust23THRUST_200600_302600_NS6detail15normal_iteratorINS9_10device_ptrIfEEEESE_fNS9_4plusIvEEfEEDaPvRmT3_T4_T5_mT6_P12ihipStream_tbENKUlT_T0_E_clISt17integral_constantIbLb1EESU_EEDaSP_SQ_EUlSP_E0_NS1_11comp_targetILNS1_3genE9ELNS1_11target_archE1100ELNS1_3gpuE3ELNS1_3repE0EEENS1_30default_config_static_selectorELNS0_4arch9wavefront6targetE1EEEvT1_,comdat
.Lfunc_end4320:
	.size	_ZN7rocprim17ROCPRIM_400000_NS6detail17trampoline_kernelINS0_14default_configENS1_20scan_config_selectorIfEEZZNS1_9scan_implILNS1_25lookback_scan_determinismE0ELb0ELb0ES3_N6thrust23THRUST_200600_302600_NS6detail15normal_iteratorINS9_10device_ptrIfEEEESE_fNS9_4plusIvEEfEEDaPvRmT3_T4_T5_mT6_P12ihipStream_tbENKUlT_T0_E_clISt17integral_constantIbLb1EESU_EEDaSP_SQ_EUlSP_E0_NS1_11comp_targetILNS1_3genE9ELNS1_11target_archE1100ELNS1_3gpuE3ELNS1_3repE0EEENS1_30default_config_static_selectorELNS0_4arch9wavefront6targetE1EEEvT1_, .Lfunc_end4320-_ZN7rocprim17ROCPRIM_400000_NS6detail17trampoline_kernelINS0_14default_configENS1_20scan_config_selectorIfEEZZNS1_9scan_implILNS1_25lookback_scan_determinismE0ELb0ELb0ES3_N6thrust23THRUST_200600_302600_NS6detail15normal_iteratorINS9_10device_ptrIfEEEESE_fNS9_4plusIvEEfEEDaPvRmT3_T4_T5_mT6_P12ihipStream_tbENKUlT_T0_E_clISt17integral_constantIbLb1EESU_EEDaSP_SQ_EUlSP_E0_NS1_11comp_targetILNS1_3genE9ELNS1_11target_archE1100ELNS1_3gpuE3ELNS1_3repE0EEENS1_30default_config_static_selectorELNS0_4arch9wavefront6targetE1EEEvT1_
                                        ; -- End function
	.section	.AMDGPU.csdata,"",@progbits
; Kernel info:
; codeLenInByte = 0
; NumSgprs: 4
; NumVgprs: 0
; NumAgprs: 0
; TotalNumVgprs: 0
; ScratchSize: 0
; MemoryBound: 0
; FloatMode: 240
; IeeeMode: 1
; LDSByteSize: 0 bytes/workgroup (compile time only)
; SGPRBlocks: 0
; VGPRBlocks: 0
; NumSGPRsForWavesPerEU: 4
; NumVGPRsForWavesPerEU: 1
; AccumOffset: 4
; Occupancy: 8
; WaveLimiterHint : 0
; COMPUTE_PGM_RSRC2:SCRATCH_EN: 0
; COMPUTE_PGM_RSRC2:USER_SGPR: 6
; COMPUTE_PGM_RSRC2:TRAP_HANDLER: 0
; COMPUTE_PGM_RSRC2:TGID_X_EN: 1
; COMPUTE_PGM_RSRC2:TGID_Y_EN: 0
; COMPUTE_PGM_RSRC2:TGID_Z_EN: 0
; COMPUTE_PGM_RSRC2:TIDIG_COMP_CNT: 0
; COMPUTE_PGM_RSRC3_GFX90A:ACCUM_OFFSET: 0
; COMPUTE_PGM_RSRC3_GFX90A:TG_SPLIT: 0
	.section	.text._ZN7rocprim17ROCPRIM_400000_NS6detail17trampoline_kernelINS0_14default_configENS1_20scan_config_selectorIfEEZZNS1_9scan_implILNS1_25lookback_scan_determinismE0ELb0ELb0ES3_N6thrust23THRUST_200600_302600_NS6detail15normal_iteratorINS9_10device_ptrIfEEEESE_fNS9_4plusIvEEfEEDaPvRmT3_T4_T5_mT6_P12ihipStream_tbENKUlT_T0_E_clISt17integral_constantIbLb1EESU_EEDaSP_SQ_EUlSP_E0_NS1_11comp_targetILNS1_3genE8ELNS1_11target_archE1030ELNS1_3gpuE2ELNS1_3repE0EEENS1_30default_config_static_selectorELNS0_4arch9wavefront6targetE1EEEvT1_,"axG",@progbits,_ZN7rocprim17ROCPRIM_400000_NS6detail17trampoline_kernelINS0_14default_configENS1_20scan_config_selectorIfEEZZNS1_9scan_implILNS1_25lookback_scan_determinismE0ELb0ELb0ES3_N6thrust23THRUST_200600_302600_NS6detail15normal_iteratorINS9_10device_ptrIfEEEESE_fNS9_4plusIvEEfEEDaPvRmT3_T4_T5_mT6_P12ihipStream_tbENKUlT_T0_E_clISt17integral_constantIbLb1EESU_EEDaSP_SQ_EUlSP_E0_NS1_11comp_targetILNS1_3genE8ELNS1_11target_archE1030ELNS1_3gpuE2ELNS1_3repE0EEENS1_30default_config_static_selectorELNS0_4arch9wavefront6targetE1EEEvT1_,comdat
	.protected	_ZN7rocprim17ROCPRIM_400000_NS6detail17trampoline_kernelINS0_14default_configENS1_20scan_config_selectorIfEEZZNS1_9scan_implILNS1_25lookback_scan_determinismE0ELb0ELb0ES3_N6thrust23THRUST_200600_302600_NS6detail15normal_iteratorINS9_10device_ptrIfEEEESE_fNS9_4plusIvEEfEEDaPvRmT3_T4_T5_mT6_P12ihipStream_tbENKUlT_T0_E_clISt17integral_constantIbLb1EESU_EEDaSP_SQ_EUlSP_E0_NS1_11comp_targetILNS1_3genE8ELNS1_11target_archE1030ELNS1_3gpuE2ELNS1_3repE0EEENS1_30default_config_static_selectorELNS0_4arch9wavefront6targetE1EEEvT1_ ; -- Begin function _ZN7rocprim17ROCPRIM_400000_NS6detail17trampoline_kernelINS0_14default_configENS1_20scan_config_selectorIfEEZZNS1_9scan_implILNS1_25lookback_scan_determinismE0ELb0ELb0ES3_N6thrust23THRUST_200600_302600_NS6detail15normal_iteratorINS9_10device_ptrIfEEEESE_fNS9_4plusIvEEfEEDaPvRmT3_T4_T5_mT6_P12ihipStream_tbENKUlT_T0_E_clISt17integral_constantIbLb1EESU_EEDaSP_SQ_EUlSP_E0_NS1_11comp_targetILNS1_3genE8ELNS1_11target_archE1030ELNS1_3gpuE2ELNS1_3repE0EEENS1_30default_config_static_selectorELNS0_4arch9wavefront6targetE1EEEvT1_
	.globl	_ZN7rocprim17ROCPRIM_400000_NS6detail17trampoline_kernelINS0_14default_configENS1_20scan_config_selectorIfEEZZNS1_9scan_implILNS1_25lookback_scan_determinismE0ELb0ELb0ES3_N6thrust23THRUST_200600_302600_NS6detail15normal_iteratorINS9_10device_ptrIfEEEESE_fNS9_4plusIvEEfEEDaPvRmT3_T4_T5_mT6_P12ihipStream_tbENKUlT_T0_E_clISt17integral_constantIbLb1EESU_EEDaSP_SQ_EUlSP_E0_NS1_11comp_targetILNS1_3genE8ELNS1_11target_archE1030ELNS1_3gpuE2ELNS1_3repE0EEENS1_30default_config_static_selectorELNS0_4arch9wavefront6targetE1EEEvT1_
	.p2align	8
	.type	_ZN7rocprim17ROCPRIM_400000_NS6detail17trampoline_kernelINS0_14default_configENS1_20scan_config_selectorIfEEZZNS1_9scan_implILNS1_25lookback_scan_determinismE0ELb0ELb0ES3_N6thrust23THRUST_200600_302600_NS6detail15normal_iteratorINS9_10device_ptrIfEEEESE_fNS9_4plusIvEEfEEDaPvRmT3_T4_T5_mT6_P12ihipStream_tbENKUlT_T0_E_clISt17integral_constantIbLb1EESU_EEDaSP_SQ_EUlSP_E0_NS1_11comp_targetILNS1_3genE8ELNS1_11target_archE1030ELNS1_3gpuE2ELNS1_3repE0EEENS1_30default_config_static_selectorELNS0_4arch9wavefront6targetE1EEEvT1_,@function
_ZN7rocprim17ROCPRIM_400000_NS6detail17trampoline_kernelINS0_14default_configENS1_20scan_config_selectorIfEEZZNS1_9scan_implILNS1_25lookback_scan_determinismE0ELb0ELb0ES3_N6thrust23THRUST_200600_302600_NS6detail15normal_iteratorINS9_10device_ptrIfEEEESE_fNS9_4plusIvEEfEEDaPvRmT3_T4_T5_mT6_P12ihipStream_tbENKUlT_T0_E_clISt17integral_constantIbLb1EESU_EEDaSP_SQ_EUlSP_E0_NS1_11comp_targetILNS1_3genE8ELNS1_11target_archE1030ELNS1_3gpuE2ELNS1_3repE0EEENS1_30default_config_static_selectorELNS0_4arch9wavefront6targetE1EEEvT1_: ; @_ZN7rocprim17ROCPRIM_400000_NS6detail17trampoline_kernelINS0_14default_configENS1_20scan_config_selectorIfEEZZNS1_9scan_implILNS1_25lookback_scan_determinismE0ELb0ELb0ES3_N6thrust23THRUST_200600_302600_NS6detail15normal_iteratorINS9_10device_ptrIfEEEESE_fNS9_4plusIvEEfEEDaPvRmT3_T4_T5_mT6_P12ihipStream_tbENKUlT_T0_E_clISt17integral_constantIbLb1EESU_EEDaSP_SQ_EUlSP_E0_NS1_11comp_targetILNS1_3genE8ELNS1_11target_archE1030ELNS1_3gpuE2ELNS1_3repE0EEENS1_30default_config_static_selectorELNS0_4arch9wavefront6targetE1EEEvT1_
; %bb.0:
	.section	.rodata,"a",@progbits
	.p2align	6, 0x0
	.amdhsa_kernel _ZN7rocprim17ROCPRIM_400000_NS6detail17trampoline_kernelINS0_14default_configENS1_20scan_config_selectorIfEEZZNS1_9scan_implILNS1_25lookback_scan_determinismE0ELb0ELb0ES3_N6thrust23THRUST_200600_302600_NS6detail15normal_iteratorINS9_10device_ptrIfEEEESE_fNS9_4plusIvEEfEEDaPvRmT3_T4_T5_mT6_P12ihipStream_tbENKUlT_T0_E_clISt17integral_constantIbLb1EESU_EEDaSP_SQ_EUlSP_E0_NS1_11comp_targetILNS1_3genE8ELNS1_11target_archE1030ELNS1_3gpuE2ELNS1_3repE0EEENS1_30default_config_static_selectorELNS0_4arch9wavefront6targetE1EEEvT1_
		.amdhsa_group_segment_fixed_size 0
		.amdhsa_private_segment_fixed_size 0
		.amdhsa_kernarg_size 32
		.amdhsa_user_sgpr_count 6
		.amdhsa_user_sgpr_private_segment_buffer 1
		.amdhsa_user_sgpr_dispatch_ptr 0
		.amdhsa_user_sgpr_queue_ptr 0
		.amdhsa_user_sgpr_kernarg_segment_ptr 1
		.amdhsa_user_sgpr_dispatch_id 0
		.amdhsa_user_sgpr_flat_scratch_init 0
		.amdhsa_user_sgpr_kernarg_preload_length 0
		.amdhsa_user_sgpr_kernarg_preload_offset 0
		.amdhsa_user_sgpr_private_segment_size 0
		.amdhsa_uses_dynamic_stack 0
		.amdhsa_system_sgpr_private_segment_wavefront_offset 0
		.amdhsa_system_sgpr_workgroup_id_x 1
		.amdhsa_system_sgpr_workgroup_id_y 0
		.amdhsa_system_sgpr_workgroup_id_z 0
		.amdhsa_system_sgpr_workgroup_info 0
		.amdhsa_system_vgpr_workitem_id 0
		.amdhsa_next_free_vgpr 1
		.amdhsa_next_free_sgpr 0
		.amdhsa_accum_offset 4
		.amdhsa_reserve_vcc 0
		.amdhsa_reserve_flat_scratch 0
		.amdhsa_float_round_mode_32 0
		.amdhsa_float_round_mode_16_64 0
		.amdhsa_float_denorm_mode_32 3
		.amdhsa_float_denorm_mode_16_64 3
		.amdhsa_dx10_clamp 1
		.amdhsa_ieee_mode 1
		.amdhsa_fp16_overflow 0
		.amdhsa_tg_split 0
		.amdhsa_exception_fp_ieee_invalid_op 0
		.amdhsa_exception_fp_denorm_src 0
		.amdhsa_exception_fp_ieee_div_zero 0
		.amdhsa_exception_fp_ieee_overflow 0
		.amdhsa_exception_fp_ieee_underflow 0
		.amdhsa_exception_fp_ieee_inexact 0
		.amdhsa_exception_int_div_zero 0
	.end_amdhsa_kernel
	.section	.text._ZN7rocprim17ROCPRIM_400000_NS6detail17trampoline_kernelINS0_14default_configENS1_20scan_config_selectorIfEEZZNS1_9scan_implILNS1_25lookback_scan_determinismE0ELb0ELb0ES3_N6thrust23THRUST_200600_302600_NS6detail15normal_iteratorINS9_10device_ptrIfEEEESE_fNS9_4plusIvEEfEEDaPvRmT3_T4_T5_mT6_P12ihipStream_tbENKUlT_T0_E_clISt17integral_constantIbLb1EESU_EEDaSP_SQ_EUlSP_E0_NS1_11comp_targetILNS1_3genE8ELNS1_11target_archE1030ELNS1_3gpuE2ELNS1_3repE0EEENS1_30default_config_static_selectorELNS0_4arch9wavefront6targetE1EEEvT1_,"axG",@progbits,_ZN7rocprim17ROCPRIM_400000_NS6detail17trampoline_kernelINS0_14default_configENS1_20scan_config_selectorIfEEZZNS1_9scan_implILNS1_25lookback_scan_determinismE0ELb0ELb0ES3_N6thrust23THRUST_200600_302600_NS6detail15normal_iteratorINS9_10device_ptrIfEEEESE_fNS9_4plusIvEEfEEDaPvRmT3_T4_T5_mT6_P12ihipStream_tbENKUlT_T0_E_clISt17integral_constantIbLb1EESU_EEDaSP_SQ_EUlSP_E0_NS1_11comp_targetILNS1_3genE8ELNS1_11target_archE1030ELNS1_3gpuE2ELNS1_3repE0EEENS1_30default_config_static_selectorELNS0_4arch9wavefront6targetE1EEEvT1_,comdat
.Lfunc_end4321:
	.size	_ZN7rocprim17ROCPRIM_400000_NS6detail17trampoline_kernelINS0_14default_configENS1_20scan_config_selectorIfEEZZNS1_9scan_implILNS1_25lookback_scan_determinismE0ELb0ELb0ES3_N6thrust23THRUST_200600_302600_NS6detail15normal_iteratorINS9_10device_ptrIfEEEESE_fNS9_4plusIvEEfEEDaPvRmT3_T4_T5_mT6_P12ihipStream_tbENKUlT_T0_E_clISt17integral_constantIbLb1EESU_EEDaSP_SQ_EUlSP_E0_NS1_11comp_targetILNS1_3genE8ELNS1_11target_archE1030ELNS1_3gpuE2ELNS1_3repE0EEENS1_30default_config_static_selectorELNS0_4arch9wavefront6targetE1EEEvT1_, .Lfunc_end4321-_ZN7rocprim17ROCPRIM_400000_NS6detail17trampoline_kernelINS0_14default_configENS1_20scan_config_selectorIfEEZZNS1_9scan_implILNS1_25lookback_scan_determinismE0ELb0ELb0ES3_N6thrust23THRUST_200600_302600_NS6detail15normal_iteratorINS9_10device_ptrIfEEEESE_fNS9_4plusIvEEfEEDaPvRmT3_T4_T5_mT6_P12ihipStream_tbENKUlT_T0_E_clISt17integral_constantIbLb1EESU_EEDaSP_SQ_EUlSP_E0_NS1_11comp_targetILNS1_3genE8ELNS1_11target_archE1030ELNS1_3gpuE2ELNS1_3repE0EEENS1_30default_config_static_selectorELNS0_4arch9wavefront6targetE1EEEvT1_
                                        ; -- End function
	.section	.AMDGPU.csdata,"",@progbits
; Kernel info:
; codeLenInByte = 0
; NumSgprs: 4
; NumVgprs: 0
; NumAgprs: 0
; TotalNumVgprs: 0
; ScratchSize: 0
; MemoryBound: 0
; FloatMode: 240
; IeeeMode: 1
; LDSByteSize: 0 bytes/workgroup (compile time only)
; SGPRBlocks: 0
; VGPRBlocks: 0
; NumSGPRsForWavesPerEU: 4
; NumVGPRsForWavesPerEU: 1
; AccumOffset: 4
; Occupancy: 8
; WaveLimiterHint : 0
; COMPUTE_PGM_RSRC2:SCRATCH_EN: 0
; COMPUTE_PGM_RSRC2:USER_SGPR: 6
; COMPUTE_PGM_RSRC2:TRAP_HANDLER: 0
; COMPUTE_PGM_RSRC2:TGID_X_EN: 1
; COMPUTE_PGM_RSRC2:TGID_Y_EN: 0
; COMPUTE_PGM_RSRC2:TGID_Z_EN: 0
; COMPUTE_PGM_RSRC2:TIDIG_COMP_CNT: 0
; COMPUTE_PGM_RSRC3_GFX90A:ACCUM_OFFSET: 0
; COMPUTE_PGM_RSRC3_GFX90A:TG_SPLIT: 0
	.section	.text._ZN7rocprim17ROCPRIM_400000_NS6detail17trampoline_kernelINS0_14default_configENS1_20scan_config_selectorIfEEZZNS1_9scan_implILNS1_25lookback_scan_determinismE0ELb0ELb0ES3_N6thrust23THRUST_200600_302600_NS6detail15normal_iteratorINS9_10device_ptrIfEEEESE_fNS9_4plusIvEEfEEDaPvRmT3_T4_T5_mT6_P12ihipStream_tbENKUlT_T0_E_clISt17integral_constantIbLb1EEST_IbLb0EEEEDaSP_SQ_EUlSP_E_NS1_11comp_targetILNS1_3genE0ELNS1_11target_archE4294967295ELNS1_3gpuE0ELNS1_3repE0EEENS1_30default_config_static_selectorELNS0_4arch9wavefront6targetE1EEEvT1_,"axG",@progbits,_ZN7rocprim17ROCPRIM_400000_NS6detail17trampoline_kernelINS0_14default_configENS1_20scan_config_selectorIfEEZZNS1_9scan_implILNS1_25lookback_scan_determinismE0ELb0ELb0ES3_N6thrust23THRUST_200600_302600_NS6detail15normal_iteratorINS9_10device_ptrIfEEEESE_fNS9_4plusIvEEfEEDaPvRmT3_T4_T5_mT6_P12ihipStream_tbENKUlT_T0_E_clISt17integral_constantIbLb1EEST_IbLb0EEEEDaSP_SQ_EUlSP_E_NS1_11comp_targetILNS1_3genE0ELNS1_11target_archE4294967295ELNS1_3gpuE0ELNS1_3repE0EEENS1_30default_config_static_selectorELNS0_4arch9wavefront6targetE1EEEvT1_,comdat
	.protected	_ZN7rocprim17ROCPRIM_400000_NS6detail17trampoline_kernelINS0_14default_configENS1_20scan_config_selectorIfEEZZNS1_9scan_implILNS1_25lookback_scan_determinismE0ELb0ELb0ES3_N6thrust23THRUST_200600_302600_NS6detail15normal_iteratorINS9_10device_ptrIfEEEESE_fNS9_4plusIvEEfEEDaPvRmT3_T4_T5_mT6_P12ihipStream_tbENKUlT_T0_E_clISt17integral_constantIbLb1EEST_IbLb0EEEEDaSP_SQ_EUlSP_E_NS1_11comp_targetILNS1_3genE0ELNS1_11target_archE4294967295ELNS1_3gpuE0ELNS1_3repE0EEENS1_30default_config_static_selectorELNS0_4arch9wavefront6targetE1EEEvT1_ ; -- Begin function _ZN7rocprim17ROCPRIM_400000_NS6detail17trampoline_kernelINS0_14default_configENS1_20scan_config_selectorIfEEZZNS1_9scan_implILNS1_25lookback_scan_determinismE0ELb0ELb0ES3_N6thrust23THRUST_200600_302600_NS6detail15normal_iteratorINS9_10device_ptrIfEEEESE_fNS9_4plusIvEEfEEDaPvRmT3_T4_T5_mT6_P12ihipStream_tbENKUlT_T0_E_clISt17integral_constantIbLb1EEST_IbLb0EEEEDaSP_SQ_EUlSP_E_NS1_11comp_targetILNS1_3genE0ELNS1_11target_archE4294967295ELNS1_3gpuE0ELNS1_3repE0EEENS1_30default_config_static_selectorELNS0_4arch9wavefront6targetE1EEEvT1_
	.globl	_ZN7rocprim17ROCPRIM_400000_NS6detail17trampoline_kernelINS0_14default_configENS1_20scan_config_selectorIfEEZZNS1_9scan_implILNS1_25lookback_scan_determinismE0ELb0ELb0ES3_N6thrust23THRUST_200600_302600_NS6detail15normal_iteratorINS9_10device_ptrIfEEEESE_fNS9_4plusIvEEfEEDaPvRmT3_T4_T5_mT6_P12ihipStream_tbENKUlT_T0_E_clISt17integral_constantIbLb1EEST_IbLb0EEEEDaSP_SQ_EUlSP_E_NS1_11comp_targetILNS1_3genE0ELNS1_11target_archE4294967295ELNS1_3gpuE0ELNS1_3repE0EEENS1_30default_config_static_selectorELNS0_4arch9wavefront6targetE1EEEvT1_
	.p2align	8
	.type	_ZN7rocprim17ROCPRIM_400000_NS6detail17trampoline_kernelINS0_14default_configENS1_20scan_config_selectorIfEEZZNS1_9scan_implILNS1_25lookback_scan_determinismE0ELb0ELb0ES3_N6thrust23THRUST_200600_302600_NS6detail15normal_iteratorINS9_10device_ptrIfEEEESE_fNS9_4plusIvEEfEEDaPvRmT3_T4_T5_mT6_P12ihipStream_tbENKUlT_T0_E_clISt17integral_constantIbLb1EEST_IbLb0EEEEDaSP_SQ_EUlSP_E_NS1_11comp_targetILNS1_3genE0ELNS1_11target_archE4294967295ELNS1_3gpuE0ELNS1_3repE0EEENS1_30default_config_static_selectorELNS0_4arch9wavefront6targetE1EEEvT1_,@function
_ZN7rocprim17ROCPRIM_400000_NS6detail17trampoline_kernelINS0_14default_configENS1_20scan_config_selectorIfEEZZNS1_9scan_implILNS1_25lookback_scan_determinismE0ELb0ELb0ES3_N6thrust23THRUST_200600_302600_NS6detail15normal_iteratorINS9_10device_ptrIfEEEESE_fNS9_4plusIvEEfEEDaPvRmT3_T4_T5_mT6_P12ihipStream_tbENKUlT_T0_E_clISt17integral_constantIbLb1EEST_IbLb0EEEEDaSP_SQ_EUlSP_E_NS1_11comp_targetILNS1_3genE0ELNS1_11target_archE4294967295ELNS1_3gpuE0ELNS1_3repE0EEENS1_30default_config_static_selectorELNS0_4arch9wavefront6targetE1EEEvT1_: ; @_ZN7rocprim17ROCPRIM_400000_NS6detail17trampoline_kernelINS0_14default_configENS1_20scan_config_selectorIfEEZZNS1_9scan_implILNS1_25lookback_scan_determinismE0ELb0ELb0ES3_N6thrust23THRUST_200600_302600_NS6detail15normal_iteratorINS9_10device_ptrIfEEEESE_fNS9_4plusIvEEfEEDaPvRmT3_T4_T5_mT6_P12ihipStream_tbENKUlT_T0_E_clISt17integral_constantIbLb1EEST_IbLb0EEEEDaSP_SQ_EUlSP_E_NS1_11comp_targetILNS1_3genE0ELNS1_11target_archE4294967295ELNS1_3gpuE0ELNS1_3repE0EEENS1_30default_config_static_selectorELNS0_4arch9wavefront6targetE1EEEvT1_
; %bb.0:
	.section	.rodata,"a",@progbits
	.p2align	6, 0x0
	.amdhsa_kernel _ZN7rocprim17ROCPRIM_400000_NS6detail17trampoline_kernelINS0_14default_configENS1_20scan_config_selectorIfEEZZNS1_9scan_implILNS1_25lookback_scan_determinismE0ELb0ELb0ES3_N6thrust23THRUST_200600_302600_NS6detail15normal_iteratorINS9_10device_ptrIfEEEESE_fNS9_4plusIvEEfEEDaPvRmT3_T4_T5_mT6_P12ihipStream_tbENKUlT_T0_E_clISt17integral_constantIbLb1EEST_IbLb0EEEEDaSP_SQ_EUlSP_E_NS1_11comp_targetILNS1_3genE0ELNS1_11target_archE4294967295ELNS1_3gpuE0ELNS1_3repE0EEENS1_30default_config_static_selectorELNS0_4arch9wavefront6targetE1EEEvT1_
		.amdhsa_group_segment_fixed_size 0
		.amdhsa_private_segment_fixed_size 0
		.amdhsa_kernarg_size 96
		.amdhsa_user_sgpr_count 6
		.amdhsa_user_sgpr_private_segment_buffer 1
		.amdhsa_user_sgpr_dispatch_ptr 0
		.amdhsa_user_sgpr_queue_ptr 0
		.amdhsa_user_sgpr_kernarg_segment_ptr 1
		.amdhsa_user_sgpr_dispatch_id 0
		.amdhsa_user_sgpr_flat_scratch_init 0
		.amdhsa_user_sgpr_kernarg_preload_length 0
		.amdhsa_user_sgpr_kernarg_preload_offset 0
		.amdhsa_user_sgpr_private_segment_size 0
		.amdhsa_uses_dynamic_stack 0
		.amdhsa_system_sgpr_private_segment_wavefront_offset 0
		.amdhsa_system_sgpr_workgroup_id_x 1
		.amdhsa_system_sgpr_workgroup_id_y 0
		.amdhsa_system_sgpr_workgroup_id_z 0
		.amdhsa_system_sgpr_workgroup_info 0
		.amdhsa_system_vgpr_workitem_id 0
		.amdhsa_next_free_vgpr 1
		.amdhsa_next_free_sgpr 0
		.amdhsa_accum_offset 4
		.amdhsa_reserve_vcc 0
		.amdhsa_reserve_flat_scratch 0
		.amdhsa_float_round_mode_32 0
		.amdhsa_float_round_mode_16_64 0
		.amdhsa_float_denorm_mode_32 3
		.amdhsa_float_denorm_mode_16_64 3
		.amdhsa_dx10_clamp 1
		.amdhsa_ieee_mode 1
		.amdhsa_fp16_overflow 0
		.amdhsa_tg_split 0
		.amdhsa_exception_fp_ieee_invalid_op 0
		.amdhsa_exception_fp_denorm_src 0
		.amdhsa_exception_fp_ieee_div_zero 0
		.amdhsa_exception_fp_ieee_overflow 0
		.amdhsa_exception_fp_ieee_underflow 0
		.amdhsa_exception_fp_ieee_inexact 0
		.amdhsa_exception_int_div_zero 0
	.end_amdhsa_kernel
	.section	.text._ZN7rocprim17ROCPRIM_400000_NS6detail17trampoline_kernelINS0_14default_configENS1_20scan_config_selectorIfEEZZNS1_9scan_implILNS1_25lookback_scan_determinismE0ELb0ELb0ES3_N6thrust23THRUST_200600_302600_NS6detail15normal_iteratorINS9_10device_ptrIfEEEESE_fNS9_4plusIvEEfEEDaPvRmT3_T4_T5_mT6_P12ihipStream_tbENKUlT_T0_E_clISt17integral_constantIbLb1EEST_IbLb0EEEEDaSP_SQ_EUlSP_E_NS1_11comp_targetILNS1_3genE0ELNS1_11target_archE4294967295ELNS1_3gpuE0ELNS1_3repE0EEENS1_30default_config_static_selectorELNS0_4arch9wavefront6targetE1EEEvT1_,"axG",@progbits,_ZN7rocprim17ROCPRIM_400000_NS6detail17trampoline_kernelINS0_14default_configENS1_20scan_config_selectorIfEEZZNS1_9scan_implILNS1_25lookback_scan_determinismE0ELb0ELb0ES3_N6thrust23THRUST_200600_302600_NS6detail15normal_iteratorINS9_10device_ptrIfEEEESE_fNS9_4plusIvEEfEEDaPvRmT3_T4_T5_mT6_P12ihipStream_tbENKUlT_T0_E_clISt17integral_constantIbLb1EEST_IbLb0EEEEDaSP_SQ_EUlSP_E_NS1_11comp_targetILNS1_3genE0ELNS1_11target_archE4294967295ELNS1_3gpuE0ELNS1_3repE0EEENS1_30default_config_static_selectorELNS0_4arch9wavefront6targetE1EEEvT1_,comdat
.Lfunc_end4322:
	.size	_ZN7rocprim17ROCPRIM_400000_NS6detail17trampoline_kernelINS0_14default_configENS1_20scan_config_selectorIfEEZZNS1_9scan_implILNS1_25lookback_scan_determinismE0ELb0ELb0ES3_N6thrust23THRUST_200600_302600_NS6detail15normal_iteratorINS9_10device_ptrIfEEEESE_fNS9_4plusIvEEfEEDaPvRmT3_T4_T5_mT6_P12ihipStream_tbENKUlT_T0_E_clISt17integral_constantIbLb1EEST_IbLb0EEEEDaSP_SQ_EUlSP_E_NS1_11comp_targetILNS1_3genE0ELNS1_11target_archE4294967295ELNS1_3gpuE0ELNS1_3repE0EEENS1_30default_config_static_selectorELNS0_4arch9wavefront6targetE1EEEvT1_, .Lfunc_end4322-_ZN7rocprim17ROCPRIM_400000_NS6detail17trampoline_kernelINS0_14default_configENS1_20scan_config_selectorIfEEZZNS1_9scan_implILNS1_25lookback_scan_determinismE0ELb0ELb0ES3_N6thrust23THRUST_200600_302600_NS6detail15normal_iteratorINS9_10device_ptrIfEEEESE_fNS9_4plusIvEEfEEDaPvRmT3_T4_T5_mT6_P12ihipStream_tbENKUlT_T0_E_clISt17integral_constantIbLb1EEST_IbLb0EEEEDaSP_SQ_EUlSP_E_NS1_11comp_targetILNS1_3genE0ELNS1_11target_archE4294967295ELNS1_3gpuE0ELNS1_3repE0EEENS1_30default_config_static_selectorELNS0_4arch9wavefront6targetE1EEEvT1_
                                        ; -- End function
	.section	.AMDGPU.csdata,"",@progbits
; Kernel info:
; codeLenInByte = 0
; NumSgprs: 4
; NumVgprs: 0
; NumAgprs: 0
; TotalNumVgprs: 0
; ScratchSize: 0
; MemoryBound: 0
; FloatMode: 240
; IeeeMode: 1
; LDSByteSize: 0 bytes/workgroup (compile time only)
; SGPRBlocks: 0
; VGPRBlocks: 0
; NumSGPRsForWavesPerEU: 4
; NumVGPRsForWavesPerEU: 1
; AccumOffset: 4
; Occupancy: 8
; WaveLimiterHint : 0
; COMPUTE_PGM_RSRC2:SCRATCH_EN: 0
; COMPUTE_PGM_RSRC2:USER_SGPR: 6
; COMPUTE_PGM_RSRC2:TRAP_HANDLER: 0
; COMPUTE_PGM_RSRC2:TGID_X_EN: 1
; COMPUTE_PGM_RSRC2:TGID_Y_EN: 0
; COMPUTE_PGM_RSRC2:TGID_Z_EN: 0
; COMPUTE_PGM_RSRC2:TIDIG_COMP_CNT: 0
; COMPUTE_PGM_RSRC3_GFX90A:ACCUM_OFFSET: 0
; COMPUTE_PGM_RSRC3_GFX90A:TG_SPLIT: 0
	.section	.text._ZN7rocprim17ROCPRIM_400000_NS6detail17trampoline_kernelINS0_14default_configENS1_20scan_config_selectorIfEEZZNS1_9scan_implILNS1_25lookback_scan_determinismE0ELb0ELb0ES3_N6thrust23THRUST_200600_302600_NS6detail15normal_iteratorINS9_10device_ptrIfEEEESE_fNS9_4plusIvEEfEEDaPvRmT3_T4_T5_mT6_P12ihipStream_tbENKUlT_T0_E_clISt17integral_constantIbLb1EEST_IbLb0EEEEDaSP_SQ_EUlSP_E_NS1_11comp_targetILNS1_3genE5ELNS1_11target_archE942ELNS1_3gpuE9ELNS1_3repE0EEENS1_30default_config_static_selectorELNS0_4arch9wavefront6targetE1EEEvT1_,"axG",@progbits,_ZN7rocprim17ROCPRIM_400000_NS6detail17trampoline_kernelINS0_14default_configENS1_20scan_config_selectorIfEEZZNS1_9scan_implILNS1_25lookback_scan_determinismE0ELb0ELb0ES3_N6thrust23THRUST_200600_302600_NS6detail15normal_iteratorINS9_10device_ptrIfEEEESE_fNS9_4plusIvEEfEEDaPvRmT3_T4_T5_mT6_P12ihipStream_tbENKUlT_T0_E_clISt17integral_constantIbLb1EEST_IbLb0EEEEDaSP_SQ_EUlSP_E_NS1_11comp_targetILNS1_3genE5ELNS1_11target_archE942ELNS1_3gpuE9ELNS1_3repE0EEENS1_30default_config_static_selectorELNS0_4arch9wavefront6targetE1EEEvT1_,comdat
	.protected	_ZN7rocprim17ROCPRIM_400000_NS6detail17trampoline_kernelINS0_14default_configENS1_20scan_config_selectorIfEEZZNS1_9scan_implILNS1_25lookback_scan_determinismE0ELb0ELb0ES3_N6thrust23THRUST_200600_302600_NS6detail15normal_iteratorINS9_10device_ptrIfEEEESE_fNS9_4plusIvEEfEEDaPvRmT3_T4_T5_mT6_P12ihipStream_tbENKUlT_T0_E_clISt17integral_constantIbLb1EEST_IbLb0EEEEDaSP_SQ_EUlSP_E_NS1_11comp_targetILNS1_3genE5ELNS1_11target_archE942ELNS1_3gpuE9ELNS1_3repE0EEENS1_30default_config_static_selectorELNS0_4arch9wavefront6targetE1EEEvT1_ ; -- Begin function _ZN7rocprim17ROCPRIM_400000_NS6detail17trampoline_kernelINS0_14default_configENS1_20scan_config_selectorIfEEZZNS1_9scan_implILNS1_25lookback_scan_determinismE0ELb0ELb0ES3_N6thrust23THRUST_200600_302600_NS6detail15normal_iteratorINS9_10device_ptrIfEEEESE_fNS9_4plusIvEEfEEDaPvRmT3_T4_T5_mT6_P12ihipStream_tbENKUlT_T0_E_clISt17integral_constantIbLb1EEST_IbLb0EEEEDaSP_SQ_EUlSP_E_NS1_11comp_targetILNS1_3genE5ELNS1_11target_archE942ELNS1_3gpuE9ELNS1_3repE0EEENS1_30default_config_static_selectorELNS0_4arch9wavefront6targetE1EEEvT1_
	.globl	_ZN7rocprim17ROCPRIM_400000_NS6detail17trampoline_kernelINS0_14default_configENS1_20scan_config_selectorIfEEZZNS1_9scan_implILNS1_25lookback_scan_determinismE0ELb0ELb0ES3_N6thrust23THRUST_200600_302600_NS6detail15normal_iteratorINS9_10device_ptrIfEEEESE_fNS9_4plusIvEEfEEDaPvRmT3_T4_T5_mT6_P12ihipStream_tbENKUlT_T0_E_clISt17integral_constantIbLb1EEST_IbLb0EEEEDaSP_SQ_EUlSP_E_NS1_11comp_targetILNS1_3genE5ELNS1_11target_archE942ELNS1_3gpuE9ELNS1_3repE0EEENS1_30default_config_static_selectorELNS0_4arch9wavefront6targetE1EEEvT1_
	.p2align	8
	.type	_ZN7rocprim17ROCPRIM_400000_NS6detail17trampoline_kernelINS0_14default_configENS1_20scan_config_selectorIfEEZZNS1_9scan_implILNS1_25lookback_scan_determinismE0ELb0ELb0ES3_N6thrust23THRUST_200600_302600_NS6detail15normal_iteratorINS9_10device_ptrIfEEEESE_fNS9_4plusIvEEfEEDaPvRmT3_T4_T5_mT6_P12ihipStream_tbENKUlT_T0_E_clISt17integral_constantIbLb1EEST_IbLb0EEEEDaSP_SQ_EUlSP_E_NS1_11comp_targetILNS1_3genE5ELNS1_11target_archE942ELNS1_3gpuE9ELNS1_3repE0EEENS1_30default_config_static_selectorELNS0_4arch9wavefront6targetE1EEEvT1_,@function
_ZN7rocprim17ROCPRIM_400000_NS6detail17trampoline_kernelINS0_14default_configENS1_20scan_config_selectorIfEEZZNS1_9scan_implILNS1_25lookback_scan_determinismE0ELb0ELb0ES3_N6thrust23THRUST_200600_302600_NS6detail15normal_iteratorINS9_10device_ptrIfEEEESE_fNS9_4plusIvEEfEEDaPvRmT3_T4_T5_mT6_P12ihipStream_tbENKUlT_T0_E_clISt17integral_constantIbLb1EEST_IbLb0EEEEDaSP_SQ_EUlSP_E_NS1_11comp_targetILNS1_3genE5ELNS1_11target_archE942ELNS1_3gpuE9ELNS1_3repE0EEENS1_30default_config_static_selectorELNS0_4arch9wavefront6targetE1EEEvT1_: ; @_ZN7rocprim17ROCPRIM_400000_NS6detail17trampoline_kernelINS0_14default_configENS1_20scan_config_selectorIfEEZZNS1_9scan_implILNS1_25lookback_scan_determinismE0ELb0ELb0ES3_N6thrust23THRUST_200600_302600_NS6detail15normal_iteratorINS9_10device_ptrIfEEEESE_fNS9_4plusIvEEfEEDaPvRmT3_T4_T5_mT6_P12ihipStream_tbENKUlT_T0_E_clISt17integral_constantIbLb1EEST_IbLb0EEEEDaSP_SQ_EUlSP_E_NS1_11comp_targetILNS1_3genE5ELNS1_11target_archE942ELNS1_3gpuE9ELNS1_3repE0EEENS1_30default_config_static_selectorELNS0_4arch9wavefront6targetE1EEEvT1_
; %bb.0:
	.section	.rodata,"a",@progbits
	.p2align	6, 0x0
	.amdhsa_kernel _ZN7rocprim17ROCPRIM_400000_NS6detail17trampoline_kernelINS0_14default_configENS1_20scan_config_selectorIfEEZZNS1_9scan_implILNS1_25lookback_scan_determinismE0ELb0ELb0ES3_N6thrust23THRUST_200600_302600_NS6detail15normal_iteratorINS9_10device_ptrIfEEEESE_fNS9_4plusIvEEfEEDaPvRmT3_T4_T5_mT6_P12ihipStream_tbENKUlT_T0_E_clISt17integral_constantIbLb1EEST_IbLb0EEEEDaSP_SQ_EUlSP_E_NS1_11comp_targetILNS1_3genE5ELNS1_11target_archE942ELNS1_3gpuE9ELNS1_3repE0EEENS1_30default_config_static_selectorELNS0_4arch9wavefront6targetE1EEEvT1_
		.amdhsa_group_segment_fixed_size 0
		.amdhsa_private_segment_fixed_size 0
		.amdhsa_kernarg_size 96
		.amdhsa_user_sgpr_count 6
		.amdhsa_user_sgpr_private_segment_buffer 1
		.amdhsa_user_sgpr_dispatch_ptr 0
		.amdhsa_user_sgpr_queue_ptr 0
		.amdhsa_user_sgpr_kernarg_segment_ptr 1
		.amdhsa_user_sgpr_dispatch_id 0
		.amdhsa_user_sgpr_flat_scratch_init 0
		.amdhsa_user_sgpr_kernarg_preload_length 0
		.amdhsa_user_sgpr_kernarg_preload_offset 0
		.amdhsa_user_sgpr_private_segment_size 0
		.amdhsa_uses_dynamic_stack 0
		.amdhsa_system_sgpr_private_segment_wavefront_offset 0
		.amdhsa_system_sgpr_workgroup_id_x 1
		.amdhsa_system_sgpr_workgroup_id_y 0
		.amdhsa_system_sgpr_workgroup_id_z 0
		.amdhsa_system_sgpr_workgroup_info 0
		.amdhsa_system_vgpr_workitem_id 0
		.amdhsa_next_free_vgpr 1
		.amdhsa_next_free_sgpr 0
		.amdhsa_accum_offset 4
		.amdhsa_reserve_vcc 0
		.amdhsa_reserve_flat_scratch 0
		.amdhsa_float_round_mode_32 0
		.amdhsa_float_round_mode_16_64 0
		.amdhsa_float_denorm_mode_32 3
		.amdhsa_float_denorm_mode_16_64 3
		.amdhsa_dx10_clamp 1
		.amdhsa_ieee_mode 1
		.amdhsa_fp16_overflow 0
		.amdhsa_tg_split 0
		.amdhsa_exception_fp_ieee_invalid_op 0
		.amdhsa_exception_fp_denorm_src 0
		.amdhsa_exception_fp_ieee_div_zero 0
		.amdhsa_exception_fp_ieee_overflow 0
		.amdhsa_exception_fp_ieee_underflow 0
		.amdhsa_exception_fp_ieee_inexact 0
		.amdhsa_exception_int_div_zero 0
	.end_amdhsa_kernel
	.section	.text._ZN7rocprim17ROCPRIM_400000_NS6detail17trampoline_kernelINS0_14default_configENS1_20scan_config_selectorIfEEZZNS1_9scan_implILNS1_25lookback_scan_determinismE0ELb0ELb0ES3_N6thrust23THRUST_200600_302600_NS6detail15normal_iteratorINS9_10device_ptrIfEEEESE_fNS9_4plusIvEEfEEDaPvRmT3_T4_T5_mT6_P12ihipStream_tbENKUlT_T0_E_clISt17integral_constantIbLb1EEST_IbLb0EEEEDaSP_SQ_EUlSP_E_NS1_11comp_targetILNS1_3genE5ELNS1_11target_archE942ELNS1_3gpuE9ELNS1_3repE0EEENS1_30default_config_static_selectorELNS0_4arch9wavefront6targetE1EEEvT1_,"axG",@progbits,_ZN7rocprim17ROCPRIM_400000_NS6detail17trampoline_kernelINS0_14default_configENS1_20scan_config_selectorIfEEZZNS1_9scan_implILNS1_25lookback_scan_determinismE0ELb0ELb0ES3_N6thrust23THRUST_200600_302600_NS6detail15normal_iteratorINS9_10device_ptrIfEEEESE_fNS9_4plusIvEEfEEDaPvRmT3_T4_T5_mT6_P12ihipStream_tbENKUlT_T0_E_clISt17integral_constantIbLb1EEST_IbLb0EEEEDaSP_SQ_EUlSP_E_NS1_11comp_targetILNS1_3genE5ELNS1_11target_archE942ELNS1_3gpuE9ELNS1_3repE0EEENS1_30default_config_static_selectorELNS0_4arch9wavefront6targetE1EEEvT1_,comdat
.Lfunc_end4323:
	.size	_ZN7rocprim17ROCPRIM_400000_NS6detail17trampoline_kernelINS0_14default_configENS1_20scan_config_selectorIfEEZZNS1_9scan_implILNS1_25lookback_scan_determinismE0ELb0ELb0ES3_N6thrust23THRUST_200600_302600_NS6detail15normal_iteratorINS9_10device_ptrIfEEEESE_fNS9_4plusIvEEfEEDaPvRmT3_T4_T5_mT6_P12ihipStream_tbENKUlT_T0_E_clISt17integral_constantIbLb1EEST_IbLb0EEEEDaSP_SQ_EUlSP_E_NS1_11comp_targetILNS1_3genE5ELNS1_11target_archE942ELNS1_3gpuE9ELNS1_3repE0EEENS1_30default_config_static_selectorELNS0_4arch9wavefront6targetE1EEEvT1_, .Lfunc_end4323-_ZN7rocprim17ROCPRIM_400000_NS6detail17trampoline_kernelINS0_14default_configENS1_20scan_config_selectorIfEEZZNS1_9scan_implILNS1_25lookback_scan_determinismE0ELb0ELb0ES3_N6thrust23THRUST_200600_302600_NS6detail15normal_iteratorINS9_10device_ptrIfEEEESE_fNS9_4plusIvEEfEEDaPvRmT3_T4_T5_mT6_P12ihipStream_tbENKUlT_T0_E_clISt17integral_constantIbLb1EEST_IbLb0EEEEDaSP_SQ_EUlSP_E_NS1_11comp_targetILNS1_3genE5ELNS1_11target_archE942ELNS1_3gpuE9ELNS1_3repE0EEENS1_30default_config_static_selectorELNS0_4arch9wavefront6targetE1EEEvT1_
                                        ; -- End function
	.section	.AMDGPU.csdata,"",@progbits
; Kernel info:
; codeLenInByte = 0
; NumSgprs: 4
; NumVgprs: 0
; NumAgprs: 0
; TotalNumVgprs: 0
; ScratchSize: 0
; MemoryBound: 0
; FloatMode: 240
; IeeeMode: 1
; LDSByteSize: 0 bytes/workgroup (compile time only)
; SGPRBlocks: 0
; VGPRBlocks: 0
; NumSGPRsForWavesPerEU: 4
; NumVGPRsForWavesPerEU: 1
; AccumOffset: 4
; Occupancy: 8
; WaveLimiterHint : 0
; COMPUTE_PGM_RSRC2:SCRATCH_EN: 0
; COMPUTE_PGM_RSRC2:USER_SGPR: 6
; COMPUTE_PGM_RSRC2:TRAP_HANDLER: 0
; COMPUTE_PGM_RSRC2:TGID_X_EN: 1
; COMPUTE_PGM_RSRC2:TGID_Y_EN: 0
; COMPUTE_PGM_RSRC2:TGID_Z_EN: 0
; COMPUTE_PGM_RSRC2:TIDIG_COMP_CNT: 0
; COMPUTE_PGM_RSRC3_GFX90A:ACCUM_OFFSET: 0
; COMPUTE_PGM_RSRC3_GFX90A:TG_SPLIT: 0
	.section	.text._ZN7rocprim17ROCPRIM_400000_NS6detail17trampoline_kernelINS0_14default_configENS1_20scan_config_selectorIfEEZZNS1_9scan_implILNS1_25lookback_scan_determinismE0ELb0ELb0ES3_N6thrust23THRUST_200600_302600_NS6detail15normal_iteratorINS9_10device_ptrIfEEEESE_fNS9_4plusIvEEfEEDaPvRmT3_T4_T5_mT6_P12ihipStream_tbENKUlT_T0_E_clISt17integral_constantIbLb1EEST_IbLb0EEEEDaSP_SQ_EUlSP_E_NS1_11comp_targetILNS1_3genE4ELNS1_11target_archE910ELNS1_3gpuE8ELNS1_3repE0EEENS1_30default_config_static_selectorELNS0_4arch9wavefront6targetE1EEEvT1_,"axG",@progbits,_ZN7rocprim17ROCPRIM_400000_NS6detail17trampoline_kernelINS0_14default_configENS1_20scan_config_selectorIfEEZZNS1_9scan_implILNS1_25lookback_scan_determinismE0ELb0ELb0ES3_N6thrust23THRUST_200600_302600_NS6detail15normal_iteratorINS9_10device_ptrIfEEEESE_fNS9_4plusIvEEfEEDaPvRmT3_T4_T5_mT6_P12ihipStream_tbENKUlT_T0_E_clISt17integral_constantIbLb1EEST_IbLb0EEEEDaSP_SQ_EUlSP_E_NS1_11comp_targetILNS1_3genE4ELNS1_11target_archE910ELNS1_3gpuE8ELNS1_3repE0EEENS1_30default_config_static_selectorELNS0_4arch9wavefront6targetE1EEEvT1_,comdat
	.protected	_ZN7rocprim17ROCPRIM_400000_NS6detail17trampoline_kernelINS0_14default_configENS1_20scan_config_selectorIfEEZZNS1_9scan_implILNS1_25lookback_scan_determinismE0ELb0ELb0ES3_N6thrust23THRUST_200600_302600_NS6detail15normal_iteratorINS9_10device_ptrIfEEEESE_fNS9_4plusIvEEfEEDaPvRmT3_T4_T5_mT6_P12ihipStream_tbENKUlT_T0_E_clISt17integral_constantIbLb1EEST_IbLb0EEEEDaSP_SQ_EUlSP_E_NS1_11comp_targetILNS1_3genE4ELNS1_11target_archE910ELNS1_3gpuE8ELNS1_3repE0EEENS1_30default_config_static_selectorELNS0_4arch9wavefront6targetE1EEEvT1_ ; -- Begin function _ZN7rocprim17ROCPRIM_400000_NS6detail17trampoline_kernelINS0_14default_configENS1_20scan_config_selectorIfEEZZNS1_9scan_implILNS1_25lookback_scan_determinismE0ELb0ELb0ES3_N6thrust23THRUST_200600_302600_NS6detail15normal_iteratorINS9_10device_ptrIfEEEESE_fNS9_4plusIvEEfEEDaPvRmT3_T4_T5_mT6_P12ihipStream_tbENKUlT_T0_E_clISt17integral_constantIbLb1EEST_IbLb0EEEEDaSP_SQ_EUlSP_E_NS1_11comp_targetILNS1_3genE4ELNS1_11target_archE910ELNS1_3gpuE8ELNS1_3repE0EEENS1_30default_config_static_selectorELNS0_4arch9wavefront6targetE1EEEvT1_
	.globl	_ZN7rocprim17ROCPRIM_400000_NS6detail17trampoline_kernelINS0_14default_configENS1_20scan_config_selectorIfEEZZNS1_9scan_implILNS1_25lookback_scan_determinismE0ELb0ELb0ES3_N6thrust23THRUST_200600_302600_NS6detail15normal_iteratorINS9_10device_ptrIfEEEESE_fNS9_4plusIvEEfEEDaPvRmT3_T4_T5_mT6_P12ihipStream_tbENKUlT_T0_E_clISt17integral_constantIbLb1EEST_IbLb0EEEEDaSP_SQ_EUlSP_E_NS1_11comp_targetILNS1_3genE4ELNS1_11target_archE910ELNS1_3gpuE8ELNS1_3repE0EEENS1_30default_config_static_selectorELNS0_4arch9wavefront6targetE1EEEvT1_
	.p2align	8
	.type	_ZN7rocprim17ROCPRIM_400000_NS6detail17trampoline_kernelINS0_14default_configENS1_20scan_config_selectorIfEEZZNS1_9scan_implILNS1_25lookback_scan_determinismE0ELb0ELb0ES3_N6thrust23THRUST_200600_302600_NS6detail15normal_iteratorINS9_10device_ptrIfEEEESE_fNS9_4plusIvEEfEEDaPvRmT3_T4_T5_mT6_P12ihipStream_tbENKUlT_T0_E_clISt17integral_constantIbLb1EEST_IbLb0EEEEDaSP_SQ_EUlSP_E_NS1_11comp_targetILNS1_3genE4ELNS1_11target_archE910ELNS1_3gpuE8ELNS1_3repE0EEENS1_30default_config_static_selectorELNS0_4arch9wavefront6targetE1EEEvT1_,@function
_ZN7rocprim17ROCPRIM_400000_NS6detail17trampoline_kernelINS0_14default_configENS1_20scan_config_selectorIfEEZZNS1_9scan_implILNS1_25lookback_scan_determinismE0ELb0ELb0ES3_N6thrust23THRUST_200600_302600_NS6detail15normal_iteratorINS9_10device_ptrIfEEEESE_fNS9_4plusIvEEfEEDaPvRmT3_T4_T5_mT6_P12ihipStream_tbENKUlT_T0_E_clISt17integral_constantIbLb1EEST_IbLb0EEEEDaSP_SQ_EUlSP_E_NS1_11comp_targetILNS1_3genE4ELNS1_11target_archE910ELNS1_3gpuE8ELNS1_3repE0EEENS1_30default_config_static_selectorELNS0_4arch9wavefront6targetE1EEEvT1_: ; @_ZN7rocprim17ROCPRIM_400000_NS6detail17trampoline_kernelINS0_14default_configENS1_20scan_config_selectorIfEEZZNS1_9scan_implILNS1_25lookback_scan_determinismE0ELb0ELb0ES3_N6thrust23THRUST_200600_302600_NS6detail15normal_iteratorINS9_10device_ptrIfEEEESE_fNS9_4plusIvEEfEEDaPvRmT3_T4_T5_mT6_P12ihipStream_tbENKUlT_T0_E_clISt17integral_constantIbLb1EEST_IbLb0EEEEDaSP_SQ_EUlSP_E_NS1_11comp_targetILNS1_3genE4ELNS1_11target_archE910ELNS1_3gpuE8ELNS1_3repE0EEENS1_30default_config_static_selectorELNS0_4arch9wavefront6targetE1EEEvT1_
; %bb.0:
	s_load_dwordx8 s[12:19], s[4:5], 0x0
	s_load_dword s1, s[4:5], 0x30
	s_mul_i32 s0, s6, 0x700
	v_lshlrev_b32_e32 v32, 2, v0
	s_waitcnt lgkmcnt(0)
	s_lshl_b64 s[20:21], s[14:15], 2
	s_add_u32 s2, s12, s20
	s_addc_u32 s3, s13, s21
	s_add_i32 s7, s1, -1
	s_mul_i32 s8, s7, 0x700
	s_sub_u32 s28, s18, s8
	s_subb_u32 s29, s19, 0
	s_mov_b32 s1, 0
	s_cmp_lg_u32 s6, s7
	s_cselect_b64 s[18:19], -1, 0
	s_lshl_b64 s[22:23], s[0:1], 2
	s_add_u32 s2, s2, s22
	s_addc_u32 s3, s3, s23
	s_mov_b64 s[0:1], -1
	s_and_b64 vcc, exec, s[18:19]
	s_cbranch_vccz .LBB4324_2
; %bb.1:
	v_mov_b32_e32 v1, s3
	v_add_co_u32_e32 v2, vcc, s2, v32
	v_addc_co_u32_e32 v3, vcc, 0, v1, vcc
	flat_load_dword v1, v[2:3]
	flat_load_dword v4, v[2:3] offset:512
	flat_load_dword v5, v[2:3] offset:1024
	;; [unrolled: 1-line block ×7, first 2 shown]
	v_add_co_u32_e32 v2, vcc, 0x1000, v2
	v_addc_co_u32_e32 v3, vcc, 0, v3, vcc
	flat_load_dword v11, v[2:3]
	flat_load_dword v12, v[2:3] offset:512
	flat_load_dword v13, v[2:3] offset:1024
	;; [unrolled: 1-line block ×5, first 2 shown]
	s_mov_b64 s[0:1], 0
	s_waitcnt vmcnt(0) lgkmcnt(0)
	ds_write2st64_b32 v32, v1, v4 offset1:2
	ds_write2st64_b32 v32, v5, v6 offset0:4 offset1:6
	ds_write2st64_b32 v32, v7, v8 offset0:8 offset1:10
	;; [unrolled: 1-line block ×6, first 2 shown]
	s_waitcnt lgkmcnt(0)
	s_barrier
.LBB4324_2:
	s_load_dwordx2 s[24:25], s[4:5], 0x28
	s_andn2_b64 vcc, exec, s[0:1]
	v_cmp_gt_u32_e64 s[0:1], s28, v0
	s_cbranch_vccnz .LBB4324_32
; %bb.3:
	v_pk_mov_b32 v[2:3], s[2:3], s[2:3] op_sel:[0,1]
	flat_load_dword v1, v[2:3]
	s_waitcnt vmcnt(0) lgkmcnt(0)
	v_mov_b32_e32 v2, v1
	v_mov_b32_e32 v3, v1
	;; [unrolled: 1-line block ×12, first 2 shown]
	v_pk_mov_b32 v[16:17], v[14:15], v[14:15] op_sel:[0,1]
	v_pk_mov_b32 v[14:15], v[12:13], v[12:13] op_sel:[0,1]
	;; [unrolled: 1-line block ×8, first 2 shown]
	s_and_saveexec_b64 s[8:9], s[0:1]
	s_cbranch_execz .LBB4324_5
; %bb.4:
	v_mov_b32_e32 v3, s3
	v_add_co_u32_e32 v2, vcc, s2, v32
	v_addc_co_u32_e32 v3, vcc, 0, v3, vcc
	flat_load_dword v18, v[2:3]
	v_mov_b32_e32 v2, v1
	v_mov_b32_e32 v3, v1
	;; [unrolled: 1-line block ×12, first 2 shown]
	v_pk_mov_b32 v[16:17], v[14:15], v[14:15] op_sel:[0,1]
	v_pk_mov_b32 v[14:15], v[12:13], v[12:13] op_sel:[0,1]
	;; [unrolled: 1-line block ×8, first 2 shown]
	s_waitcnt vmcnt(0) lgkmcnt(0)
	v_mov_b32_e32 v1, v18
.LBB4324_5:
	s_or_b64 exec, exec, s[8:9]
	v_or_b32_e32 v2, 0x80, v0
	v_cmp_gt_u32_e32 vcc, s28, v2
	s_and_saveexec_b64 s[0:1], vcc
	s_cbranch_execz .LBB4324_7
; %bb.6:
	v_mov_b32_e32 v3, s3
	v_add_co_u32_e32 v2, vcc, s2, v32
	v_addc_co_u32_e32 v3, vcc, 0, v3, vcc
	flat_load_dword v3, v[2:3] offset:512
.LBB4324_7:
	s_or_b64 exec, exec, s[0:1]
	v_or_b32_e32 v2, 0x100, v0
	v_cmp_gt_u32_e32 vcc, s28, v2
	s_and_saveexec_b64 s[0:1], vcc
	s_cbranch_execz .LBB4324_9
; %bb.8:
	v_mov_b32_e32 v2, s3
	v_add_co_u32_e32 v16, vcc, s2, v32
	v_addc_co_u32_e32 v17, vcc, 0, v2, vcc
	flat_load_dword v4, v[16:17] offset:1024
.LBB4324_9:
	;; [unrolled: 11-line block ×7, first 2 shown]
	s_or_b64 exec, exec, s[0:1]
	v_or_b32_e32 v2, 0x400, v0
	v_cmp_gt_u32_e32 vcc, s28, v2
	s_and_saveexec_b64 s[0:1], vcc
	s_cbranch_execz .LBB4324_21
; %bb.20:
	v_lshlrev_b32_e32 v2, 2, v2
	v_mov_b32_e32 v10, s3
	v_add_co_u32_e32 v16, vcc, s2, v2
	v_addc_co_u32_e32 v17, vcc, 0, v10, vcc
	flat_load_dword v10, v[16:17]
.LBB4324_21:
	s_or_b64 exec, exec, s[0:1]
	v_or_b32_e32 v2, 0x480, v0
	v_cmp_gt_u32_e32 vcc, s28, v2
	s_and_saveexec_b64 s[0:1], vcc
	s_cbranch_execz .LBB4324_23
; %bb.22:
	v_lshlrev_b32_e32 v2, 2, v2
	v_mov_b32_e32 v11, s3
	v_add_co_u32_e32 v16, vcc, s2, v2
	v_addc_co_u32_e32 v17, vcc, 0, v11, vcc
	flat_load_dword v11, v[16:17]
.LBB4324_23:
	;; [unrolled: 12-line block ×6, first 2 shown]
	s_or_b64 exec, exec, s[0:1]
	s_waitcnt vmcnt(0) lgkmcnt(0)
	ds_write2st64_b32 v32, v1, v3 offset1:2
	ds_write2st64_b32 v32, v4, v5 offset0:4 offset1:6
	ds_write2st64_b32 v32, v6, v7 offset0:8 offset1:10
	ds_write2st64_b32 v32, v8, v9 offset0:12 offset1:14
	ds_write2st64_b32 v32, v10, v11 offset0:16 offset1:18
	ds_write2st64_b32 v32, v12, v13 offset0:20 offset1:22
	ds_write2st64_b32 v32, v14, v15 offset0:24 offset1:26
	s_waitcnt lgkmcnt(0)
	s_barrier
.LBB4324_32:
	v_mul_u32_u24_e32 v33, 14, v0
	v_lshlrev_b32_e32 v34, 2, v33
	s_waitcnt lgkmcnt(0)
	ds_read2_b64 v[2:5], v34 offset1:1
	ds_read2_b64 v[26:29], v34 offset0:2 offset1:3
	ds_read2_b64 v[22:25], v34 offset0:4 offset1:5
	ds_read_b64 v[30:31], v34 offset:48
	s_cmp_lg_u32 s6, 0
	v_lshrrev_b32_e32 v1, 5, v0
	v_cmp_gt_u32_e32 vcc, 64, v0
	s_waitcnt lgkmcnt(0)
	s_barrier
	s_cbranch_scc0 .LBB4324_61
; %bb.33:
	v_add_f32_e32 v6, v2, v3
	v_add_f32_e32 v6, v4, v6
	;; [unrolled: 1-line block ×13, first 2 shown]
	v_add_lshl_u32 v6, v1, v0, 2
	ds_write_b32 v6, v16
	s_waitcnt lgkmcnt(0)
	s_barrier
	s_and_saveexec_b64 s[10:11], vcc
	s_cbranch_execz .LBB4324_35
; %bb.34:
	v_lshlrev_b32_e32 v6, 1, v0
	v_lshrrev_b32_e32 v7, 4, v0
	v_add_lshl_u32 v8, v7, v6, 2
	ds_read2_b32 v[6:7], v8 offset1:1
	v_mbcnt_lo_u32_b32 v9, -1, 0
	v_mbcnt_hi_u32_b32 v9, -1, v9
	v_and_b32_e32 v10, 15, v9
	v_cmp_eq_u32_e64 s[0:1], 0, v10
	s_waitcnt lgkmcnt(0)
	v_add_f32_e32 v7, v6, v7
	v_cmp_lt_u32_e64 s[2:3], 3, v10
	v_cmp_lt_u32_e64 s[8:9], 31, v9
	v_mov_b32_dpp v11, v7 row_shr:1 row_mask:0xf bank_mask:0xf
	v_add_f32_e32 v11, v7, v11
	v_cndmask_b32_e64 v7, v11, v7, s[0:1]
	v_cmp_lt_u32_e64 s[0:1], 1, v10
	s_nop 0
	v_mov_b32_dpp v11, v7 row_shr:2 row_mask:0xf bank_mask:0xf
	v_add_f32_e32 v11, v7, v11
	v_cndmask_b32_e64 v11, v7, v11, s[0:1]
	; wave barrier
	s_nop 1
	v_mov_b32_dpp v12, v11 row_shr:4 row_mask:0xf bank_mask:0xf
	v_add_f32_e32 v12, v11, v12
	v_cndmask_b32_e64 v11, v11, v12, s[2:3]
	v_cmp_lt_u32_e64 s[2:3], 7, v10
	s_nop 0
	v_mov_b32_dpp v12, v11 row_shr:8 row_mask:0xf bank_mask:0xf
	v_add_f32_e32 v12, v11, v12
	v_cndmask_b32_e64 v10, v11, v12, s[2:3]
	v_and_b32_e32 v12, 16, v9
	v_cmp_eq_u32_e64 s[2:3], 0, v12
	v_mov_b32_dpp v11, v10 row_bcast:15 row_mask:0xf bank_mask:0xf
	v_add_f32_e32 v11, v10, v11
	v_cndmask_b32_e64 v10, v11, v10, s[2:3]
	v_cmp_lt_u32_e64 s[2:3], 15, v9
	s_or_b64 s[0:1], s[2:3], s[0:1]
	v_mov_b32_dpp v11, v10 row_bcast:31 row_mask:0xf bank_mask:0xf
	v_add_f32_e32 v11, v10, v11
	v_cndmask_b32_e64 v10, v10, v11, s[8:9]
	v_cndmask_b32_e64 v7, v7, v10, s[0:1]
	v_add_u32_e32 v10, -1, v9
	v_and_b32_e32 v11, 64, v9
	v_cmp_lt_i32_e64 s[0:1], v10, v11
	v_cndmask_b32_e64 v9, v10, v9, s[0:1]
	v_lshlrev_b32_e32 v9, 2, v9
	ds_bpermute_b32 v7, v9, v7
	v_cmp_eq_u32_e64 s[0:1], 0, v0
	s_waitcnt lgkmcnt(0)
	v_add_f32_e32 v6, v6, v7
	v_cndmask_b32_e64 v6, v6, v16, s[0:1]
	ds_write_b32 v8, v6
	; wave barrier
	ds_read_b32 v7, v8 offset:4
	s_waitcnt lgkmcnt(0)
	v_add_f32_e32 v6, v6, v7
	ds_write_b32 v8, v6 offset:4
.LBB4324_35:
	s_or_b64 exec, exec, s[10:11]
	v_cmp_eq_u32_e64 s[0:1], 0, v0
	v_cmp_ne_u32_e64 s[2:3], 0, v0
	s_waitcnt lgkmcnt(0)
	s_barrier
	s_and_saveexec_b64 s[8:9], s[2:3]
	s_cbranch_execz .LBB4324_37
; %bb.36:
	v_add_u32_e32 v6, -1, v0
	v_lshrrev_b32_e32 v7, 5, v6
	v_add_lshl_u32 v6, v7, v6, 2
	ds_read_b32 v16, v6
.LBB4324_37:
	s_or_b64 exec, exec, s[8:9]
	s_and_saveexec_b64 s[26:27], vcc
	s_cbranch_execz .LBB4324_60
; %bb.38:
	v_mov_b32_e32 v15, 0
	ds_read_b32 v6, v15 offset:520
	v_mbcnt_lo_u32_b32 v7, -1, 0
	v_mbcnt_hi_u32_b32 v9, -1, v7
	s_mov_b32 s11, 0
	v_cmp_eq_u32_e64 s[2:3], 0, v9
	s_and_saveexec_b64 s[8:9], s[2:3]
	s_cbranch_execz .LBB4324_40
; %bb.39:
	s_add_i32 s10, s6, 64
	s_lshl_b64 s[10:11], s[10:11], 3
	s_add_u32 s10, s24, s10
	v_mov_b32_e32 v7, 1
	s_addc_u32 s11, s25, s11
	s_waitcnt lgkmcnt(0)
	global_store_dwordx2 v15, v[6:7], s[10:11]
.LBB4324_40:
	s_or_b64 exec, exec, s[8:9]
	v_xad_u32 v8, v9, -1, s6
	v_add_u32_e32 v14, 64, v8
	v_lshlrev_b64 v[10:11], 3, v[14:15]
	v_mov_b32_e32 v7, s25
	v_add_co_u32_e32 v10, vcc, s24, v10
	v_addc_co_u32_e32 v11, vcc, v7, v11, vcc
	global_load_dwordx2 v[12:13], v[10:11], off glc
	s_waitcnt vmcnt(0)
	v_cmp_eq_u16_sdwa s[10:11], v13, v15 src0_sel:BYTE_0 src1_sel:DWORD
	s_and_saveexec_b64 s[8:9], s[10:11]
	s_cbranch_execz .LBB4324_46
; %bb.41:
	s_mov_b32 s7, 1
	s_mov_b64 s[10:11], 0
	v_mov_b32_e32 v7, 0
.LBB4324_42:                            ; =>This Loop Header: Depth=1
                                        ;     Child Loop BB4324_43 Depth 2
	s_max_u32 s12, s7, 1
.LBB4324_43:                            ;   Parent Loop BB4324_42 Depth=1
                                        ; =>  This Inner Loop Header: Depth=2
	s_add_i32 s12, s12, -1
	s_cmp_eq_u32 s12, 0
	s_sleep 1
	s_cbranch_scc0 .LBB4324_43
; %bb.44:                               ;   in Loop: Header=BB4324_42 Depth=1
	global_load_dwordx2 v[12:13], v[10:11], off glc
	s_cmp_lt_u32 s7, 32
	s_cselect_b64 s[12:13], -1, 0
	s_cmp_lg_u64 s[12:13], 0
	s_addc_u32 s7, s7, 0
	s_waitcnt vmcnt(0)
	v_cmp_ne_u16_sdwa s[12:13], v13, v7 src0_sel:BYTE_0 src1_sel:DWORD
	s_or_b64 s[10:11], s[12:13], s[10:11]
	s_andn2_b64 exec, exec, s[10:11]
	s_cbranch_execnz .LBB4324_42
; %bb.45:
	s_or_b64 exec, exec, s[10:11]
.LBB4324_46:
	s_or_b64 exec, exec, s[8:9]
	v_and_b32_e32 v17, 63, v9
	v_cmp_ne_u32_e32 vcc, 63, v17
	v_addc_co_u32_e32 v18, vcc, 0, v9, vcc
	v_mov_b32_e32 v7, 2
	v_lshlrev_b32_e32 v18, 2, v18
	v_cmp_eq_u16_sdwa s[8:9], v13, v7 src0_sel:BYTE_0 src1_sel:DWORD
	v_lshlrev_b64 v[10:11], v9, -1
	ds_bpermute_b32 v19, v18, v12
	v_and_b32_e32 v14, s9, v11
	v_or_b32_e32 v14, 0x80000000, v14
	v_and_b32_e32 v15, s8, v10
	v_ffbl_b32_e32 v14, v14
	v_add_u32_e32 v14, 32, v14
	v_ffbl_b32_e32 v15, v15
	v_cmp_gt_u32_e64 s[8:9], 62, v17
	v_min_u32_e32 v14, v15, v14
	s_waitcnt lgkmcnt(0)
	v_add_f32_e32 v15, v12, v19
	v_cndmask_b32_e64 v19, 0, 1, s[8:9]
	v_cmp_lt_u32_e32 vcc, v17, v14
	v_lshlrev_b32_e32 v19, 1, v19
	v_cndmask_b32_e32 v15, v12, v15, vcc
	v_add_lshl_u32 v19, v19, v9, 2
	ds_bpermute_b32 v21, v19, v15
	v_add_u32_e32 v20, 2, v17
	v_cmp_gt_u32_e64 s[8:9], v20, v14
	v_cmp_gt_u32_e64 s[10:11], 56, v17
	v_add_u32_e32 v35, 4, v17
	s_waitcnt lgkmcnt(0)
	v_add_f32_e32 v21, v15, v21
	v_cndmask_b32_e64 v15, v21, v15, s[8:9]
	v_cmp_gt_u32_e64 s[8:9], 60, v17
	v_cndmask_b32_e64 v21, 0, 1, s[8:9]
	v_lshlrev_b32_e32 v21, 2, v21
	v_add_lshl_u32 v21, v21, v9, 2
	ds_bpermute_b32 v36, v21, v15
	v_cmp_gt_u32_e64 s[8:9], v35, v14
	v_add_u32_e32 v37, 8, v17
	v_cmp_gt_u32_e64 s[12:13], 48, v17
	v_cmp_gt_u32_e64 s[14:15], 32, v17
	s_waitcnt lgkmcnt(0)
	v_add_f32_e32 v40, v15, v36
	v_cndmask_b32_e64 v36, 0, 1, s[10:11]
	v_lshlrev_b32_e32 v36, 3, v36
	v_cndmask_b32_e64 v38, v40, v15, s[8:9]
	v_add_lshl_u32 v36, v36, v9, 2
	ds_bpermute_b32 v39, v36, v38
	v_cmp_gt_u32_e64 s[10:11], v37, v14
	v_cndmask_b32_e32 v12, v12, v15, vcc
	v_cndmask_b32_e64 v12, v40, v12, s[8:9]
	s_waitcnt lgkmcnt(0)
	v_add_f32_e32 v43, v38, v39
	v_cndmask_b32_e64 v41, v43, v38, s[10:11]
	v_cndmask_b32_e64 v38, 0, 1, s[12:13]
	v_lshlrev_b32_e32 v38, 4, v38
	v_add_lshl_u32 v38, v38, v9, 2
	ds_bpermute_b32 v42, v38, v41
	v_add_u32_e32 v39, 16, v17
	v_cmp_gt_u32_e64 s[12:13], v39, v14
	v_cndmask_b32_e64 v12, v43, v12, s[10:11]
	s_waitcnt lgkmcnt(0)
	v_add_f32_e32 v44, v41, v42
	v_cndmask_b32_e64 v45, v44, v41, s[12:13]
	v_cndmask_b32_e64 v41, 0, 1, s[14:15]
	v_lshlrev_b32_e32 v41, 5, v41
	v_add_lshl_u32 v41, v41, v9, 2
	ds_bpermute_b32 v9, v41, v45
	v_add_u32_e32 v42, 32, v17
	v_cndmask_b32_e64 v12, v44, v12, s[12:13]
	v_cmp_gt_u32_e32 vcc, v42, v14
	s_waitcnt lgkmcnt(0)
	v_add_f32_e32 v9, v45, v9
	v_cndmask_b32_e32 v12, v9, v12, vcc
	v_mov_b32_e32 v9, 0
	s_branch .LBB4324_48
.LBB4324_47:                            ;   in Loop: Header=BB4324_48 Depth=1
	s_or_b64 exec, exec, s[8:9]
	v_cmp_eq_u16_sdwa s[8:9], v13, v7 src0_sel:BYTE_0 src1_sel:DWORD
	v_and_b32_e32 v14, s9, v11
	ds_bpermute_b32 v43, v18, v12
	v_or_b32_e32 v14, 0x80000000, v14
	v_and_b32_e32 v15, s8, v10
	v_ffbl_b32_e32 v14, v14
	v_add_u32_e32 v14, 32, v14
	v_ffbl_b32_e32 v15, v15
	v_min_u32_e32 v14, v15, v14
	s_waitcnt lgkmcnt(0)
	v_add_f32_e32 v15, v12, v43
	v_cmp_lt_u32_e32 vcc, v17, v14
	v_cndmask_b32_e32 v15, v12, v15, vcc
	ds_bpermute_b32 v43, v19, v15
	v_cmp_gt_u32_e64 s[8:9], v20, v14
	v_cmp_gt_u32_e64 s[10:11], v37, v14
	;; [unrolled: 1-line block ×3, first 2 shown]
	v_subrev_u32_e32 v8, 64, v8
	s_waitcnt lgkmcnt(0)
	v_add_f32_e32 v43, v15, v43
	v_cndmask_b32_e64 v15, v43, v15, s[8:9]
	ds_bpermute_b32 v43, v21, v15
	v_cmp_gt_u32_e64 s[8:9], v35, v14
	v_cndmask_b32_e32 v12, v12, v15, vcc
	v_cmp_gt_u32_e32 vcc, v42, v14
	s_waitcnt lgkmcnt(0)
	v_add_f32_e32 v43, v15, v43
	v_cndmask_b32_e64 v44, v43, v15, s[8:9]
	ds_bpermute_b32 v45, v36, v44
	v_cndmask_b32_e64 v12, v43, v12, s[8:9]
	s_waitcnt lgkmcnt(0)
	v_add_f32_e32 v45, v44, v45
	v_cndmask_b32_e64 v44, v45, v44, s[10:11]
	ds_bpermute_b32 v46, v38, v44
	v_cndmask_b32_e64 v12, v45, v12, s[10:11]
	;; [unrolled: 5-line block ×3, first 2 shown]
	s_waitcnt lgkmcnt(0)
	v_add_f32_e32 v15, v44, v47
	v_cndmask_b32_e32 v12, v15, v12, vcc
	v_add_f32_e32 v12, v40, v12
.LBB4324_48:                            ; =>This Loop Header: Depth=1
                                        ;     Child Loop BB4324_51 Depth 2
                                        ;       Child Loop BB4324_52 Depth 3
	v_cmp_ne_u16_sdwa s[8:9], v13, v7 src0_sel:BYTE_0 src1_sel:DWORD
	v_cndmask_b32_e64 v13, 0, 1, s[8:9]
	;;#ASMSTART
	;;#ASMEND
	v_cmp_ne_u32_e32 vcc, 0, v13
	s_cmp_lg_u64 vcc, exec
	v_mov_b32_e32 v40, v12
	s_cbranch_scc1 .LBB4324_55
; %bb.49:                               ;   in Loop: Header=BB4324_48 Depth=1
	v_lshlrev_b64 v[12:13], 3, v[8:9]
	v_mov_b32_e32 v15, s25
	v_add_co_u32_e32 v14, vcc, s24, v12
	v_addc_co_u32_e32 v15, vcc, v15, v13, vcc
	global_load_dwordx2 v[12:13], v[14:15], off glc
	s_waitcnt vmcnt(0)
	v_cmp_eq_u16_sdwa s[10:11], v13, v9 src0_sel:BYTE_0 src1_sel:DWORD
	s_and_saveexec_b64 s[8:9], s[10:11]
	s_cbranch_execz .LBB4324_47
; %bb.50:                               ;   in Loop: Header=BB4324_48 Depth=1
	s_mov_b32 s7, 1
	s_mov_b64 s[10:11], 0
.LBB4324_51:                            ;   Parent Loop BB4324_48 Depth=1
                                        ; =>  This Loop Header: Depth=2
                                        ;       Child Loop BB4324_52 Depth 3
	s_max_u32 s12, s7, 1
.LBB4324_52:                            ;   Parent Loop BB4324_48 Depth=1
                                        ;     Parent Loop BB4324_51 Depth=2
                                        ; =>    This Inner Loop Header: Depth=3
	s_add_i32 s12, s12, -1
	s_cmp_eq_u32 s12, 0
	s_sleep 1
	s_cbranch_scc0 .LBB4324_52
; %bb.53:                               ;   in Loop: Header=BB4324_51 Depth=2
	global_load_dwordx2 v[12:13], v[14:15], off glc
	s_cmp_lt_u32 s7, 32
	s_cselect_b64 s[12:13], -1, 0
	s_cmp_lg_u64 s[12:13], 0
	s_addc_u32 s7, s7, 0
	s_waitcnt vmcnt(0)
	v_cmp_ne_u16_sdwa s[12:13], v13, v9 src0_sel:BYTE_0 src1_sel:DWORD
	s_or_b64 s[10:11], s[12:13], s[10:11]
	s_andn2_b64 exec, exec, s[10:11]
	s_cbranch_execnz .LBB4324_51
; %bb.54:                               ;   in Loop: Header=BB4324_48 Depth=1
	s_or_b64 exec, exec, s[10:11]
	s_branch .LBB4324_47
.LBB4324_55:                            ;   in Loop: Header=BB4324_48 Depth=1
                                        ; implicit-def: $vgpr12
                                        ; implicit-def: $vgpr13
	s_cbranch_execz .LBB4324_48
; %bb.56:
	s_and_saveexec_b64 s[8:9], s[2:3]
	s_cbranch_execz .LBB4324_58
; %bb.57:
	s_add_i32 s2, s6, 64
	s_mov_b32 s3, 0
	s_lshl_b64 s[2:3], s[2:3], 3
	s_add_u32 s2, s24, s2
	v_add_f32_e32 v6, v6, v40
	v_mov_b32_e32 v7, 2
	s_addc_u32 s3, s25, s3
	v_mov_b32_e32 v8, 0
	global_store_dwordx2 v8, v[6:7], s[2:3]
.LBB4324_58:
	s_or_b64 exec, exec, s[8:9]
	s_and_b64 exec, exec, s[0:1]
	s_cbranch_execz .LBB4324_60
; %bb.59:
	v_mov_b32_e32 v6, 0
	ds_write_b32 v6, v40
.LBB4324_60:
	s_or_b64 exec, exec, s[26:27]
	v_mov_b32_e32 v6, 0
	s_waitcnt lgkmcnt(0)
	s_barrier
	ds_read_b32 v6, v6
	v_add_f32_e32 v7, v2, v16
	v_cndmask_b32_e64 v7, v7, v2, s[0:1]
	s_waitcnt lgkmcnt(0)
	v_add_f32_e32 v6, v7, v6
	v_add_f32_e32 v7, v3, v6
	v_add_f32_e32 v8, v4, v7
	v_add_f32_e32 v9, v5, v8
	v_add_f32_e32 v10, v26, v9
	v_add_f32_e32 v11, v27, v10
	v_add_f32_e32 v12, v28, v11
	v_add_f32_e32 v13, v29, v12
	v_add_f32_e32 v14, v22, v13
	v_add_f32_e32 v15, v23, v14
	v_add_f32_e32 v16, v24, v15
	v_add_f32_e32 v17, v25, v16
	v_add_f32_e32 v18, v30, v17
	v_add_f32_e32 v19, v31, v18
	s_load_dwordx8 s[8:15], s[4:5], 0x38
	s_branch .LBB4324_73
.LBB4324_61:
                                        ; implicit-def: $vgpr6_vgpr7_vgpr8_vgpr9_vgpr10_vgpr11_vgpr12_vgpr13_vgpr14_vgpr15_vgpr16_vgpr17_vgpr18_vgpr19_vgpr20_vgpr21
	s_load_dwordx8 s[8:15], s[4:5], 0x38
	s_cbranch_execz .LBB4324_73
; %bb.62:
	s_waitcnt lgkmcnt(0)
	s_cmp_lg_u64 s[12:13], 0
	s_cselect_b64 s[2:3], -1, 0
	v_cmp_eq_u32_e64 s[0:1], 0, v0
	v_cmp_ne_u32_e32 vcc, 0, v0
	s_and_b64 s[4:5], s[0:1], s[2:3]
	s_and_saveexec_b64 s[2:3], s[4:5]
	s_cbranch_execz .LBB4324_64
; %bb.63:
	v_mov_b32_e32 v6, 0
	global_load_dword v6, v6, s[8:9]
	s_waitcnt vmcnt(0)
	v_add_f32_e32 v2, v2, v6
.LBB4324_64:
	s_or_b64 exec, exec, s[2:3]
	v_add_f32_e32 v16, v2, v3
	v_add_f32_e32 v17, v4, v16
	v_add_f32_e32 v18, v5, v17
	v_add_f32_e32 v6, v26, v18
	v_add_f32_e32 v7, v27, v6
	v_add_f32_e32 v8, v28, v7
	v_add_f32_e32 v9, v29, v8
	v_add_f32_e32 v10, v22, v9
	v_add_f32_e32 v11, v23, v10
	v_add_f32_e32 v12, v24, v11
	v_add_f32_e32 v13, v25, v12
	v_add_f32_e32 v14, v30, v13
	v_add_f32_e32 v15, v31, v14
	v_add_lshl_u32 v1, v1, v0, 2
	v_cmp_gt_u32_e64 s[2:3], 64, v0
	ds_write_b32 v1, v15
	s_waitcnt lgkmcnt(0)
	s_barrier
	s_and_saveexec_b64 s[8:9], s[2:3]
	s_cbranch_execz .LBB4324_66
; %bb.65:
	v_lshlrev_b32_e32 v1, 1, v0
	v_lshrrev_b32_e32 v19, 4, v0
	v_add_lshl_u32 v1, v19, v1, 2
	ds_read2_b32 v[20:21], v1 offset1:1
	v_mbcnt_lo_u32_b32 v19, -1, 0
	v_mbcnt_hi_u32_b32 v19, -1, v19
	v_and_b32_e32 v35, 15, v19
	v_cmp_eq_u32_e64 s[2:3], 0, v35
	s_waitcnt lgkmcnt(0)
	v_add_f32_e32 v21, v20, v21
	v_cmp_lt_u32_e64 s[4:5], 3, v35
	v_cmp_lt_u32_e64 s[6:7], 31, v19
	v_mov_b32_dpp v36, v21 row_shr:1 row_mask:0xf bank_mask:0xf
	v_add_f32_e32 v36, v21, v36
	v_cndmask_b32_e64 v21, v36, v21, s[2:3]
	v_cmp_lt_u32_e64 s[2:3], 1, v35
	s_nop 0
	v_mov_b32_dpp v36, v21 row_shr:2 row_mask:0xf bank_mask:0xf
	v_add_f32_e32 v36, v21, v36
	v_cndmask_b32_e64 v36, v21, v36, s[2:3]
	; wave barrier
	s_nop 1
	v_mov_b32_dpp v37, v36 row_shr:4 row_mask:0xf bank_mask:0xf
	v_add_f32_e32 v37, v36, v37
	v_cndmask_b32_e64 v36, v36, v37, s[4:5]
	v_cmp_lt_u32_e64 s[4:5], 7, v35
	s_nop 0
	v_mov_b32_dpp v37, v36 row_shr:8 row_mask:0xf bank_mask:0xf
	v_add_f32_e32 v37, v36, v37
	v_cndmask_b32_e64 v35, v36, v37, s[4:5]
	v_and_b32_e32 v37, 16, v19
	v_cmp_eq_u32_e64 s[4:5], 0, v37
	v_mov_b32_dpp v36, v35 row_bcast:15 row_mask:0xf bank_mask:0xf
	v_add_f32_e32 v36, v35, v36
	v_cndmask_b32_e64 v35, v36, v35, s[4:5]
	v_cmp_lt_u32_e64 s[4:5], 15, v19
	s_or_b64 s[2:3], s[4:5], s[2:3]
	v_mov_b32_dpp v36, v35 row_bcast:31 row_mask:0xf bank_mask:0xf
	v_add_f32_e32 v36, v35, v36
	v_cndmask_b32_e64 v35, v35, v36, s[6:7]
	v_cndmask_b32_e64 v21, v21, v35, s[2:3]
	v_add_u32_e32 v35, -1, v19
	v_and_b32_e32 v36, 64, v19
	v_cmp_lt_i32_e64 s[2:3], v35, v36
	v_cndmask_b32_e64 v19, v35, v19, s[2:3]
	v_lshlrev_b32_e32 v19, 2, v19
	ds_bpermute_b32 v19, v19, v21
	s_waitcnt lgkmcnt(0)
	v_add_f32_e32 v19, v20, v19
	v_cndmask_b32_e64 v19, v19, v15, s[0:1]
	ds_write_b32 v1, v19
	; wave barrier
	ds_read_b32 v20, v1 offset:4
	s_waitcnt lgkmcnt(0)
	v_add_f32_e32 v19, v19, v20
	ds_write_b32 v1, v19 offset:4
.LBB4324_66:
	s_or_b64 exec, exec, s[8:9]
	v_mov_b32_e32 v1, v15
	s_waitcnt lgkmcnt(0)
	s_barrier
	s_and_saveexec_b64 s[0:1], vcc
	s_cbranch_execz .LBB4324_68
; %bb.67:
	v_add_u32_e32 v1, -1, v0
	v_lshrrev_b32_e32 v19, 5, v1
	v_add_lshl_u32 v1, v19, v1, 2
	ds_read_b32 v1, v1
.LBB4324_68:
	s_or_b64 exec, exec, s[0:1]
	s_and_saveexec_b64 s[0:1], vcc
	s_cbranch_execz .LBB4324_70
; %bb.69:
	s_waitcnt lgkmcnt(0)
	v_add_f32_e32 v2, v2, v1
	v_add_f32_e32 v16, v3, v2
	;; [unrolled: 1-line block ×14, first 2 shown]
	;;#ASMSTART
	;;#ASMEND
.LBB4324_70:
	s_or_b64 exec, exec, s[0:1]
	s_movk_i32 s0, 0x7f
	v_cmp_eq_u32_e32 vcc, s0, v0
	s_and_saveexec_b64 s[0:1], vcc
	s_cbranch_execz .LBB4324_72
; %bb.71:
	s_waitcnt lgkmcnt(0)
	v_mov_b32_e32 v1, 0
	v_mov_b32_e32 v5, 2
	v_mov_b32_e32 v4, v15
	global_store_dwordx2 v1, v[4:5], s[24:25] offset:512
.LBB4324_72:
	s_or_b64 exec, exec, s[0:1]
	v_mov_b32_e32 v3, v16
	v_mov_b32_e32 v4, v17
	;; [unrolled: 1-line block ×3, first 2 shown]
	v_pk_mov_b32 v[20:21], v[16:17], v[16:17] op_sel:[0,1]
	v_pk_mov_b32 v[18:19], v[14:15], v[14:15] op_sel:[0,1]
	;; [unrolled: 1-line block ×8, first 2 shown]
.LBB4324_73:
	s_add_u32 s0, s16, s20
	s_addc_u32 s1, s17, s21
	s_add_u32 s2, s0, s22
	s_addc_u32 s3, s1, s23
	s_mov_b64 s[0:1], -1
	s_and_b64 vcc, exec, s[18:19]
	s_waitcnt lgkmcnt(0)
	s_barrier
	s_cbranch_vccz .LBB4324_75
; %bb.74:
	ds_write2_b64 v34, v[6:7], v[8:9] offset1:1
	ds_write2_b64 v34, v[10:11], v[12:13] offset0:2 offset1:3
	ds_write2_b64 v34, v[14:15], v[16:17] offset0:4 offset1:5
	ds_write_b64 v34, v[18:19] offset:48
	s_waitcnt lgkmcnt(0)
	s_barrier
	ds_read2st64_b32 v[2:3], v32 offset1:2
	ds_read2st64_b32 v[4:5], v32 offset0:4 offset1:6
	ds_read2st64_b32 v[20:21], v32 offset0:8 offset1:10
	;; [unrolled: 1-line block ×6, first 2 shown]
	v_mov_b32_e32 v1, s3
	v_add_co_u32_e32 v30, vcc, s2, v32
	v_addc_co_u32_e32 v31, vcc, 0, v1, vcc
	s_waitcnt lgkmcnt(6)
	flat_store_dword v[30:31], v2
	flat_store_dword v[30:31], v3 offset:512
	s_waitcnt lgkmcnt(0)
	flat_store_dword v[30:31], v4 offset:1024
	flat_store_dword v[30:31], v5 offset:1536
	flat_store_dword v[30:31], v20 offset:2048
	flat_store_dword v[30:31], v21 offset:2560
	flat_store_dword v[30:31], v22 offset:3072
	flat_store_dword v[30:31], v23 offset:3584
	v_add_co_u32_e32 v2, vcc, 0x1000, v30
	v_addc_co_u32_e32 v3, vcc, 0, v31, vcc
	flat_store_dword v[2:3], v24
	flat_store_dword v[2:3], v25 offset:512
	flat_store_dword v[2:3], v26 offset:1024
	;; [unrolled: 1-line block ×5, first 2 shown]
	s_mov_b64 s[0:1], 0
.LBB4324_75:
	s_andn2_b64 vcc, exec, s[0:1]
	s_cbranch_vccnz .LBB4324_155
; %bb.76:
	s_movk_i32 s0, 0xffcc
	ds_write2_b64 v34, v[6:7], v[8:9] offset1:1
	ds_write2_b64 v34, v[10:11], v[12:13] offset0:2 offset1:3
	ds_write2_b64 v34, v[14:15], v[16:17] offset0:4 offset1:5
	ds_write_b64 v34, v[18:19] offset:48
	v_mad_i32_i24 v14, v0, s0, v34
	s_waitcnt lgkmcnt(0)
	s_barrier
	ds_read2st64_b32 v[4:5], v14 offset1:2
	ds_read2st64_b32 v[6:7], v14 offset0:4 offset1:6
	ds_read2st64_b32 v[8:9], v14 offset0:8 offset1:10
	;; [unrolled: 1-line block ×6, first 2 shown]
	v_mov_b32_e32 v17, s3
	v_add_co_u32_e32 v16, vcc, s2, v32
	v_addc_co_u32_e32 v17, vcc, 0, v17, vcc
	v_mov_b32_e32 v1, 0
	v_cmp_gt_u32_e32 vcc, s28, v0
	s_and_saveexec_b64 s[0:1], vcc
	s_cbranch_execz .LBB4324_78
; %bb.77:
	s_waitcnt lgkmcnt(0)
	flat_store_dword v[16:17], v4
.LBB4324_78:
	s_or_b64 exec, exec, s[0:1]
	v_or_b32_e32 v18, 0x80, v0
	v_cmp_gt_u32_e32 vcc, s28, v18
	s_and_saveexec_b64 s[0:1], vcc
	s_cbranch_execz .LBB4324_80
; %bb.79:
	s_waitcnt lgkmcnt(0)
	flat_store_dword v[16:17], v5 offset:512
.LBB4324_80:
	s_or_b64 exec, exec, s[0:1]
	v_or_b32_e32 v18, 0x100, v0
	v_cmp_gt_u32_e32 vcc, s28, v18
	s_and_saveexec_b64 s[0:1], vcc
	s_cbranch_execz .LBB4324_82
; %bb.81:
	s_waitcnt lgkmcnt(0)
	flat_store_dword v[16:17], v6 offset:1024
.LBB4324_82:
	;; [unrolled: 9-line block ×7, first 2 shown]
	s_or_b64 exec, exec, s[0:1]
	v_or_b32_e32 v18, 0x400, v0
	v_cmp_gt_u32_e32 vcc, s28, v18
	s_and_saveexec_b64 s[0:1], vcc
	s_cbranch_execz .LBB4324_94
; %bb.93:
	v_add_co_u32_e32 v18, vcc, 0x1000, v16
	v_addc_co_u32_e32 v19, vcc, 0, v17, vcc
	s_waitcnt lgkmcnt(0)
	flat_store_dword v[18:19], v12
.LBB4324_94:
	s_or_b64 exec, exec, s[0:1]
	v_or_b32_e32 v18, 0x480, v0
	v_cmp_gt_u32_e32 vcc, s28, v18
	s_and_saveexec_b64 s[0:1], vcc
	s_cbranch_execz .LBB4324_96
; %bb.95:
	v_add_co_u32_e32 v18, vcc, 0x1000, v16
	v_addc_co_u32_e32 v19, vcc, 0, v17, vcc
	s_waitcnt lgkmcnt(0)
	flat_store_dword v[18:19], v13 offset:512
.LBB4324_96:
	s_or_b64 exec, exec, s[0:1]
	v_or_b32_e32 v18, 0x500, v0
	v_cmp_gt_u32_e32 vcc, s28, v18
	s_and_saveexec_b64 s[0:1], vcc
	s_cbranch_execz .LBB4324_98
; %bb.97:
	v_add_co_u32_e32 v18, vcc, 0x1000, v16
	v_addc_co_u32_e32 v19, vcc, 0, v17, vcc
	s_waitcnt lgkmcnt(0)
	flat_store_dword v[18:19], v10 offset:1024
.LBB4324_98:
	;; [unrolled: 11-line block ×5, first 2 shown]
	s_or_b64 exec, exec, s[0:1]
	v_cmp_lt_u64_e64 s[0:1], s[14:15], 2
	s_and_b64 vcc, exec, s[0:1]
	s_cbranch_vccnz .LBB4324_155
; %bb.105:
	s_add_u32 s0, s28, -1
	s_addc_u32 s1, s29, -1
	s_add_u32 s2, 0, 0x49240800
	s_addc_u32 s3, 0, 50
	s_add_i32 s3, s3, 0x12492460
	s_mul_hi_u32 s7, s2, -14
	s_sub_i32 s7, s7, s2
	s_mul_i32 s8, s3, -14
	s_mul_i32 s4, s2, -14
	s_add_i32 s7, s7, s8
	s_mul_hi_u32 s5, s3, s4
	s_mul_i32 s6, s3, s4
	s_mul_i32 s9, s2, s7
	s_mul_hi_u32 s4, s2, s4
	s_mul_hi_u32 s8, s2, s7
	s_add_u32 s4, s4, s9
	s_addc_u32 s8, 0, s8
	s_add_u32 s4, s4, s6
	s_mul_hi_u32 s9, s3, s7
	s_addc_u32 s4, s8, s5
	s_addc_u32 s5, s9, 0
	s_mul_i32 s6, s3, s7
	s_add_u32 s4, s4, s6
	v_mov_b32_e32 v16, s4
	s_addc_u32 s5, 0, s5
	v_add_co_u32_e32 v16, vcc, s2, v16
	s_cmp_lg_u64 vcc, 0
	s_addc_u32 s2, s3, s5
	v_readfirstlane_b32 s5, v16
	s_mul_i32 s4, s0, s2
	s_mul_hi_u32 s6, s0, s5
	s_mul_hi_u32 s3, s0, s2
	s_add_u32 s4, s6, s4
	s_addc_u32 s3, 0, s3
	s_mul_hi_u32 s7, s1, s5
	s_mul_i32 s5, s1, s5
	s_add_u32 s4, s4, s5
	s_mul_hi_u32 s6, s1, s2
	s_addc_u32 s3, s3, s7
	s_addc_u32 s4, s6, 0
	s_mul_i32 s2, s1, s2
	s_add_u32 s2, s3, s2
	s_addc_u32 s3, 0, s4
	s_add_u32 s4, s2, 1
	s_addc_u32 s5, s3, 0
	s_add_u32 s6, s2, 2
	s_mul_i32 s8, s3, 14
	s_mul_hi_u32 s9, s2, 14
	s_addc_u32 s7, s3, 0
	s_add_i32 s9, s9, s8
	s_mul_i32 s8, s2, 14
	v_mov_b32_e32 v16, s8
	v_sub_co_u32_e32 v16, vcc, s0, v16
	s_cmp_lg_u64 vcc, 0
	s_subb_u32 s8, s1, s9
	v_subrev_co_u32_e32 v17, vcc, 14, v16
	s_cmp_lg_u64 vcc, 0
	s_subb_u32 s9, s8, 0
	v_readfirstlane_b32 s12, v17
	s_cmp_gt_u32 s12, 13
	s_cselect_b32 s12, -1, 0
	s_cmp_eq_u32 s9, 0
	s_cselect_b32 s9, s12, -1
	s_cmp_lg_u32 s9, 0
	s_cselect_b32 s4, s6, s4
	v_readfirstlane_b32 s6, v16
	s_cselect_b32 s5, s7, s5
	s_cmp_gt_u32 s6, 13
	s_cselect_b32 s6, -1, 0
	s_cmp_eq_u32 s8, 0
	s_cselect_b32 s6, s6, -1
	s_cmp_lg_u32 s6, 0
	s_cselect_b32 s3, s5, s3
	s_cselect_b32 s2, s4, s2
	v_cmp_eq_u64_e32 vcc, s[2:3], v[0:1]
	s_and_saveexec_b64 s[2:3], vcc
	s_cbranch_execz .LBB4324_155
; %bb.106:
	v_mul_hi_u32_u24_e32 v1, 14, v0
	v_mov_b32_e32 v16, s1
	v_sub_co_u32_e32 v0, vcc, s0, v33
	v_subb_co_u32_e32 v1, vcc, v16, v1, vcc
	v_cmp_lt_i64_e32 vcc, 6, v[0:1]
	s_and_saveexec_b64 s[0:1], vcc
	s_xor_b64 s[0:1], exec, s[0:1]
	s_cbranch_execz .LBB4324_132
; %bb.107:
	v_cmp_lt_i64_e32 vcc, 9, v[0:1]
	s_and_saveexec_b64 s[2:3], vcc
	s_xor_b64 s[2:3], exec, s[2:3]
	s_cbranch_execz .LBB4324_121
; %bb.108:
	;; [unrolled: 5-line block ×4, first 2 shown]
	v_mov_b32_e32 v0, 0
	s_waitcnt lgkmcnt(0)
	global_store_dword v0, v15, s[10:11]
                                        ; implicit-def: $vgpr14_vgpr15
.LBB4324_111:
	s_andn2_saveexec_b64 s[6:7], s[6:7]
	s_cbranch_execz .LBB4324_113
; %bb.112:
	v_mov_b32_e32 v0, 0
	s_waitcnt lgkmcnt(0)
	global_store_dword v0, v14, s[10:11]
.LBB4324_113:
	s_or_b64 exec, exec, s[6:7]
                                        ; implicit-def: $vgpr10_vgpr11
                                        ; implicit-def: $vgpr0_vgpr1
.LBB4324_114:
	s_andn2_saveexec_b64 s[4:5], s[4:5]
	s_cbranch_execz .LBB4324_120
; %bb.115:
	v_cmp_lt_i64_e32 vcc, 10, v[0:1]
	s_and_saveexec_b64 s[6:7], vcc
	s_xor_b64 s[6:7], exec, s[6:7]
	s_cbranch_execz .LBB4324_117
; %bb.116:
	v_mov_b32_e32 v0, 0
	s_waitcnt lgkmcnt(0)
	global_store_dword v0, v11, s[10:11]
                                        ; implicit-def: $vgpr10_vgpr11
.LBB4324_117:
	s_andn2_saveexec_b64 s[6:7], s[6:7]
	s_cbranch_execz .LBB4324_119
; %bb.118:
	v_mov_b32_e32 v0, 0
	s_waitcnt lgkmcnt(0)
	global_store_dword v0, v10, s[10:11]
.LBB4324_119:
	s_or_b64 exec, exec, s[6:7]
.LBB4324_120:
	s_or_b64 exec, exec, s[4:5]
                                        ; implicit-def: $vgpr2_vgpr3
                                        ; implicit-def: $vgpr0_vgpr1
                                        ; implicit-def: $vgpr12_vgpr13
.LBB4324_121:
	s_andn2_saveexec_b64 s[2:3], s[2:3]
	s_cbranch_execz .LBB4324_131
; %bb.122:
	v_cmp_lt_i64_e32 vcc, 7, v[0:1]
	s_and_saveexec_b64 s[4:5], vcc
	s_xor_b64 s[4:5], exec, s[4:5]
	s_cbranch_execz .LBB4324_128
; %bb.123:
	v_cmp_lt_i64_e32 vcc, 8, v[0:1]
	s_and_saveexec_b64 s[6:7], vcc
	s_xor_b64 s[6:7], exec, s[6:7]
	s_cbranch_execz .LBB4324_125
; %bb.124:
	v_mov_b32_e32 v0, 0
	s_waitcnt lgkmcnt(0)
	global_store_dword v0, v13, s[10:11]
                                        ; implicit-def: $vgpr12_vgpr13
.LBB4324_125:
	s_andn2_saveexec_b64 s[6:7], s[6:7]
	s_cbranch_execz .LBB4324_127
; %bb.126:
	v_mov_b32_e32 v0, 0
	s_waitcnt lgkmcnt(0)
	global_store_dword v0, v12, s[10:11]
.LBB4324_127:
	s_or_b64 exec, exec, s[6:7]
                                        ; implicit-def: $vgpr2_vgpr3
.LBB4324_128:
	s_andn2_saveexec_b64 s[4:5], s[4:5]
	s_cbranch_execz .LBB4324_130
; %bb.129:
	v_mov_b32_e32 v0, 0
	s_waitcnt lgkmcnt(0)
	global_store_dword v0, v3, s[10:11]
.LBB4324_130:
	s_or_b64 exec, exec, s[4:5]
.LBB4324_131:
	s_or_b64 exec, exec, s[2:3]
                                        ; implicit-def: $vgpr0_vgpr1
                                        ; implicit-def: $vgpr8_vgpr9
                                        ; implicit-def: $vgpr4_vgpr5
                                        ; implicit-def: $vgpr6_vgpr7
                                        ; implicit-def: $vgpr2_vgpr3
.LBB4324_132:
	s_andn2_saveexec_b64 s[0:1], s[0:1]
	s_cbranch_execz .LBB4324_155
; %bb.133:
	v_cmp_lt_i64_e32 vcc, 3, v[0:1]
	s_and_saveexec_b64 s[0:1], vcc
	s_xor_b64 s[0:1], exec, s[0:1]
	s_cbranch_execz .LBB4324_143
; %bb.134:
	v_cmp_lt_i64_e32 vcc, 4, v[0:1]
	s_and_saveexec_b64 s[2:3], vcc
	s_xor_b64 s[2:3], exec, s[2:3]
	;; [unrolled: 5-line block ×3, first 2 shown]
	s_cbranch_execz .LBB4324_137
; %bb.136:
	v_mov_b32_e32 v0, 0
	s_waitcnt lgkmcnt(0)
	global_store_dword v0, v2, s[10:11]
                                        ; implicit-def: $vgpr8_vgpr9
.LBB4324_137:
	s_andn2_saveexec_b64 s[4:5], s[4:5]
	s_cbranch_execz .LBB4324_139
; %bb.138:
	v_mov_b32_e32 v0, 0
	s_waitcnt lgkmcnt(0)
	global_store_dword v0, v9, s[10:11]
.LBB4324_139:
	s_or_b64 exec, exec, s[4:5]
                                        ; implicit-def: $vgpr8_vgpr9
.LBB4324_140:
	s_andn2_saveexec_b64 s[2:3], s[2:3]
	s_cbranch_execz .LBB4324_142
; %bb.141:
	v_mov_b32_e32 v0, 0
	s_waitcnt lgkmcnt(0)
	global_store_dword v0, v8, s[10:11]
.LBB4324_142:
	s_or_b64 exec, exec, s[2:3]
                                        ; implicit-def: $vgpr0_vgpr1
                                        ; implicit-def: $vgpr4_vgpr5
                                        ; implicit-def: $vgpr6_vgpr7
.LBB4324_143:
	s_andn2_saveexec_b64 s[0:1], s[0:1]
	s_cbranch_execz .LBB4324_155
; %bb.144:
	v_cmp_lt_i64_e32 vcc, 1, v[0:1]
	s_and_saveexec_b64 s[0:1], vcc
	s_xor_b64 s[0:1], exec, s[0:1]
	s_cbranch_execz .LBB4324_150
; %bb.145:
	v_cmp_lt_i64_e32 vcc, 2, v[0:1]
	s_and_saveexec_b64 s[2:3], vcc
	s_xor_b64 s[2:3], exec, s[2:3]
	s_cbranch_execz .LBB4324_147
; %bb.146:
	v_mov_b32_e32 v0, 0
	s_waitcnt lgkmcnt(0)
	global_store_dword v0, v7, s[10:11]
                                        ; implicit-def: $vgpr6_vgpr7
.LBB4324_147:
	s_andn2_saveexec_b64 s[2:3], s[2:3]
	s_cbranch_execz .LBB4324_149
; %bb.148:
	v_mov_b32_e32 v0, 0
	s_waitcnt lgkmcnt(0)
	global_store_dword v0, v6, s[10:11]
.LBB4324_149:
	s_or_b64 exec, exec, s[2:3]
                                        ; implicit-def: $vgpr4_vgpr5
                                        ; implicit-def: $vgpr0_vgpr1
.LBB4324_150:
	s_andn2_saveexec_b64 s[0:1], s[0:1]
	s_cbranch_execz .LBB4324_155
; %bb.151:
	v_cmp_ne_u64_e32 vcc, 1, v[0:1]
	s_and_saveexec_b64 s[0:1], vcc
	s_xor_b64 s[0:1], exec, s[0:1]
	s_cbranch_execz .LBB4324_153
; %bb.152:
	v_mov_b32_e32 v0, 0
	s_waitcnt lgkmcnt(0)
	global_store_dword v0, v4, s[10:11]
                                        ; implicit-def: $vgpr4_vgpr5
.LBB4324_153:
	s_andn2_saveexec_b64 s[0:1], s[0:1]
	s_cbranch_execz .LBB4324_155
; %bb.154:
	v_mov_b32_e32 v0, 0
	s_waitcnt lgkmcnt(0)
	global_store_dword v0, v5, s[10:11]
.LBB4324_155:
	s_endpgm
	.section	.rodata,"a",@progbits
	.p2align	6, 0x0
	.amdhsa_kernel _ZN7rocprim17ROCPRIM_400000_NS6detail17trampoline_kernelINS0_14default_configENS1_20scan_config_selectorIfEEZZNS1_9scan_implILNS1_25lookback_scan_determinismE0ELb0ELb0ES3_N6thrust23THRUST_200600_302600_NS6detail15normal_iteratorINS9_10device_ptrIfEEEESE_fNS9_4plusIvEEfEEDaPvRmT3_T4_T5_mT6_P12ihipStream_tbENKUlT_T0_E_clISt17integral_constantIbLb1EEST_IbLb0EEEEDaSP_SQ_EUlSP_E_NS1_11comp_targetILNS1_3genE4ELNS1_11target_archE910ELNS1_3gpuE8ELNS1_3repE0EEENS1_30default_config_static_selectorELNS0_4arch9wavefront6targetE1EEEvT1_
		.amdhsa_group_segment_fixed_size 7168
		.amdhsa_private_segment_fixed_size 0
		.amdhsa_kernarg_size 96
		.amdhsa_user_sgpr_count 6
		.amdhsa_user_sgpr_private_segment_buffer 1
		.amdhsa_user_sgpr_dispatch_ptr 0
		.amdhsa_user_sgpr_queue_ptr 0
		.amdhsa_user_sgpr_kernarg_segment_ptr 1
		.amdhsa_user_sgpr_dispatch_id 0
		.amdhsa_user_sgpr_flat_scratch_init 0
		.amdhsa_user_sgpr_kernarg_preload_length 0
		.amdhsa_user_sgpr_kernarg_preload_offset 0
		.amdhsa_user_sgpr_private_segment_size 0
		.amdhsa_uses_dynamic_stack 0
		.amdhsa_system_sgpr_private_segment_wavefront_offset 0
		.amdhsa_system_sgpr_workgroup_id_x 1
		.amdhsa_system_sgpr_workgroup_id_y 0
		.amdhsa_system_sgpr_workgroup_id_z 0
		.amdhsa_system_sgpr_workgroup_info 0
		.amdhsa_system_vgpr_workitem_id 0
		.amdhsa_next_free_vgpr 48
		.amdhsa_next_free_sgpr 30
		.amdhsa_accum_offset 48
		.amdhsa_reserve_vcc 1
		.amdhsa_reserve_flat_scratch 0
		.amdhsa_float_round_mode_32 0
		.amdhsa_float_round_mode_16_64 0
		.amdhsa_float_denorm_mode_32 3
		.amdhsa_float_denorm_mode_16_64 3
		.amdhsa_dx10_clamp 1
		.amdhsa_ieee_mode 1
		.amdhsa_fp16_overflow 0
		.amdhsa_tg_split 0
		.amdhsa_exception_fp_ieee_invalid_op 0
		.amdhsa_exception_fp_denorm_src 0
		.amdhsa_exception_fp_ieee_div_zero 0
		.amdhsa_exception_fp_ieee_overflow 0
		.amdhsa_exception_fp_ieee_underflow 0
		.amdhsa_exception_fp_ieee_inexact 0
		.amdhsa_exception_int_div_zero 0
	.end_amdhsa_kernel
	.section	.text._ZN7rocprim17ROCPRIM_400000_NS6detail17trampoline_kernelINS0_14default_configENS1_20scan_config_selectorIfEEZZNS1_9scan_implILNS1_25lookback_scan_determinismE0ELb0ELb0ES3_N6thrust23THRUST_200600_302600_NS6detail15normal_iteratorINS9_10device_ptrIfEEEESE_fNS9_4plusIvEEfEEDaPvRmT3_T4_T5_mT6_P12ihipStream_tbENKUlT_T0_E_clISt17integral_constantIbLb1EEST_IbLb0EEEEDaSP_SQ_EUlSP_E_NS1_11comp_targetILNS1_3genE4ELNS1_11target_archE910ELNS1_3gpuE8ELNS1_3repE0EEENS1_30default_config_static_selectorELNS0_4arch9wavefront6targetE1EEEvT1_,"axG",@progbits,_ZN7rocprim17ROCPRIM_400000_NS6detail17trampoline_kernelINS0_14default_configENS1_20scan_config_selectorIfEEZZNS1_9scan_implILNS1_25lookback_scan_determinismE0ELb0ELb0ES3_N6thrust23THRUST_200600_302600_NS6detail15normal_iteratorINS9_10device_ptrIfEEEESE_fNS9_4plusIvEEfEEDaPvRmT3_T4_T5_mT6_P12ihipStream_tbENKUlT_T0_E_clISt17integral_constantIbLb1EEST_IbLb0EEEEDaSP_SQ_EUlSP_E_NS1_11comp_targetILNS1_3genE4ELNS1_11target_archE910ELNS1_3gpuE8ELNS1_3repE0EEENS1_30default_config_static_selectorELNS0_4arch9wavefront6targetE1EEEvT1_,comdat
.Lfunc_end4324:
	.size	_ZN7rocprim17ROCPRIM_400000_NS6detail17trampoline_kernelINS0_14default_configENS1_20scan_config_selectorIfEEZZNS1_9scan_implILNS1_25lookback_scan_determinismE0ELb0ELb0ES3_N6thrust23THRUST_200600_302600_NS6detail15normal_iteratorINS9_10device_ptrIfEEEESE_fNS9_4plusIvEEfEEDaPvRmT3_T4_T5_mT6_P12ihipStream_tbENKUlT_T0_E_clISt17integral_constantIbLb1EEST_IbLb0EEEEDaSP_SQ_EUlSP_E_NS1_11comp_targetILNS1_3genE4ELNS1_11target_archE910ELNS1_3gpuE8ELNS1_3repE0EEENS1_30default_config_static_selectorELNS0_4arch9wavefront6targetE1EEEvT1_, .Lfunc_end4324-_ZN7rocprim17ROCPRIM_400000_NS6detail17trampoline_kernelINS0_14default_configENS1_20scan_config_selectorIfEEZZNS1_9scan_implILNS1_25lookback_scan_determinismE0ELb0ELb0ES3_N6thrust23THRUST_200600_302600_NS6detail15normal_iteratorINS9_10device_ptrIfEEEESE_fNS9_4plusIvEEfEEDaPvRmT3_T4_T5_mT6_P12ihipStream_tbENKUlT_T0_E_clISt17integral_constantIbLb1EEST_IbLb0EEEEDaSP_SQ_EUlSP_E_NS1_11comp_targetILNS1_3genE4ELNS1_11target_archE910ELNS1_3gpuE8ELNS1_3repE0EEENS1_30default_config_static_selectorELNS0_4arch9wavefront6targetE1EEEvT1_
                                        ; -- End function
	.section	.AMDGPU.csdata,"",@progbits
; Kernel info:
; codeLenInByte = 5780
; NumSgprs: 34
; NumVgprs: 48
; NumAgprs: 0
; TotalNumVgprs: 48
; ScratchSize: 0
; MemoryBound: 0
; FloatMode: 240
; IeeeMode: 1
; LDSByteSize: 7168 bytes/workgroup (compile time only)
; SGPRBlocks: 4
; VGPRBlocks: 5
; NumSGPRsForWavesPerEU: 34
; NumVGPRsForWavesPerEU: 48
; AccumOffset: 48
; Occupancy: 5
; WaveLimiterHint : 1
; COMPUTE_PGM_RSRC2:SCRATCH_EN: 0
; COMPUTE_PGM_RSRC2:USER_SGPR: 6
; COMPUTE_PGM_RSRC2:TRAP_HANDLER: 0
; COMPUTE_PGM_RSRC2:TGID_X_EN: 1
; COMPUTE_PGM_RSRC2:TGID_Y_EN: 0
; COMPUTE_PGM_RSRC2:TGID_Z_EN: 0
; COMPUTE_PGM_RSRC2:TIDIG_COMP_CNT: 0
; COMPUTE_PGM_RSRC3_GFX90A:ACCUM_OFFSET: 11
; COMPUTE_PGM_RSRC3_GFX90A:TG_SPLIT: 0
	.section	.text._ZN7rocprim17ROCPRIM_400000_NS6detail17trampoline_kernelINS0_14default_configENS1_20scan_config_selectorIfEEZZNS1_9scan_implILNS1_25lookback_scan_determinismE0ELb0ELb0ES3_N6thrust23THRUST_200600_302600_NS6detail15normal_iteratorINS9_10device_ptrIfEEEESE_fNS9_4plusIvEEfEEDaPvRmT3_T4_T5_mT6_P12ihipStream_tbENKUlT_T0_E_clISt17integral_constantIbLb1EEST_IbLb0EEEEDaSP_SQ_EUlSP_E_NS1_11comp_targetILNS1_3genE3ELNS1_11target_archE908ELNS1_3gpuE7ELNS1_3repE0EEENS1_30default_config_static_selectorELNS0_4arch9wavefront6targetE1EEEvT1_,"axG",@progbits,_ZN7rocprim17ROCPRIM_400000_NS6detail17trampoline_kernelINS0_14default_configENS1_20scan_config_selectorIfEEZZNS1_9scan_implILNS1_25lookback_scan_determinismE0ELb0ELb0ES3_N6thrust23THRUST_200600_302600_NS6detail15normal_iteratorINS9_10device_ptrIfEEEESE_fNS9_4plusIvEEfEEDaPvRmT3_T4_T5_mT6_P12ihipStream_tbENKUlT_T0_E_clISt17integral_constantIbLb1EEST_IbLb0EEEEDaSP_SQ_EUlSP_E_NS1_11comp_targetILNS1_3genE3ELNS1_11target_archE908ELNS1_3gpuE7ELNS1_3repE0EEENS1_30default_config_static_selectorELNS0_4arch9wavefront6targetE1EEEvT1_,comdat
	.protected	_ZN7rocprim17ROCPRIM_400000_NS6detail17trampoline_kernelINS0_14default_configENS1_20scan_config_selectorIfEEZZNS1_9scan_implILNS1_25lookback_scan_determinismE0ELb0ELb0ES3_N6thrust23THRUST_200600_302600_NS6detail15normal_iteratorINS9_10device_ptrIfEEEESE_fNS9_4plusIvEEfEEDaPvRmT3_T4_T5_mT6_P12ihipStream_tbENKUlT_T0_E_clISt17integral_constantIbLb1EEST_IbLb0EEEEDaSP_SQ_EUlSP_E_NS1_11comp_targetILNS1_3genE3ELNS1_11target_archE908ELNS1_3gpuE7ELNS1_3repE0EEENS1_30default_config_static_selectorELNS0_4arch9wavefront6targetE1EEEvT1_ ; -- Begin function _ZN7rocprim17ROCPRIM_400000_NS6detail17trampoline_kernelINS0_14default_configENS1_20scan_config_selectorIfEEZZNS1_9scan_implILNS1_25lookback_scan_determinismE0ELb0ELb0ES3_N6thrust23THRUST_200600_302600_NS6detail15normal_iteratorINS9_10device_ptrIfEEEESE_fNS9_4plusIvEEfEEDaPvRmT3_T4_T5_mT6_P12ihipStream_tbENKUlT_T0_E_clISt17integral_constantIbLb1EEST_IbLb0EEEEDaSP_SQ_EUlSP_E_NS1_11comp_targetILNS1_3genE3ELNS1_11target_archE908ELNS1_3gpuE7ELNS1_3repE0EEENS1_30default_config_static_selectorELNS0_4arch9wavefront6targetE1EEEvT1_
	.globl	_ZN7rocprim17ROCPRIM_400000_NS6detail17trampoline_kernelINS0_14default_configENS1_20scan_config_selectorIfEEZZNS1_9scan_implILNS1_25lookback_scan_determinismE0ELb0ELb0ES3_N6thrust23THRUST_200600_302600_NS6detail15normal_iteratorINS9_10device_ptrIfEEEESE_fNS9_4plusIvEEfEEDaPvRmT3_T4_T5_mT6_P12ihipStream_tbENKUlT_T0_E_clISt17integral_constantIbLb1EEST_IbLb0EEEEDaSP_SQ_EUlSP_E_NS1_11comp_targetILNS1_3genE3ELNS1_11target_archE908ELNS1_3gpuE7ELNS1_3repE0EEENS1_30default_config_static_selectorELNS0_4arch9wavefront6targetE1EEEvT1_
	.p2align	8
	.type	_ZN7rocprim17ROCPRIM_400000_NS6detail17trampoline_kernelINS0_14default_configENS1_20scan_config_selectorIfEEZZNS1_9scan_implILNS1_25lookback_scan_determinismE0ELb0ELb0ES3_N6thrust23THRUST_200600_302600_NS6detail15normal_iteratorINS9_10device_ptrIfEEEESE_fNS9_4plusIvEEfEEDaPvRmT3_T4_T5_mT6_P12ihipStream_tbENKUlT_T0_E_clISt17integral_constantIbLb1EEST_IbLb0EEEEDaSP_SQ_EUlSP_E_NS1_11comp_targetILNS1_3genE3ELNS1_11target_archE908ELNS1_3gpuE7ELNS1_3repE0EEENS1_30default_config_static_selectorELNS0_4arch9wavefront6targetE1EEEvT1_,@function
_ZN7rocprim17ROCPRIM_400000_NS6detail17trampoline_kernelINS0_14default_configENS1_20scan_config_selectorIfEEZZNS1_9scan_implILNS1_25lookback_scan_determinismE0ELb0ELb0ES3_N6thrust23THRUST_200600_302600_NS6detail15normal_iteratorINS9_10device_ptrIfEEEESE_fNS9_4plusIvEEfEEDaPvRmT3_T4_T5_mT6_P12ihipStream_tbENKUlT_T0_E_clISt17integral_constantIbLb1EEST_IbLb0EEEEDaSP_SQ_EUlSP_E_NS1_11comp_targetILNS1_3genE3ELNS1_11target_archE908ELNS1_3gpuE7ELNS1_3repE0EEENS1_30default_config_static_selectorELNS0_4arch9wavefront6targetE1EEEvT1_: ; @_ZN7rocprim17ROCPRIM_400000_NS6detail17trampoline_kernelINS0_14default_configENS1_20scan_config_selectorIfEEZZNS1_9scan_implILNS1_25lookback_scan_determinismE0ELb0ELb0ES3_N6thrust23THRUST_200600_302600_NS6detail15normal_iteratorINS9_10device_ptrIfEEEESE_fNS9_4plusIvEEfEEDaPvRmT3_T4_T5_mT6_P12ihipStream_tbENKUlT_T0_E_clISt17integral_constantIbLb1EEST_IbLb0EEEEDaSP_SQ_EUlSP_E_NS1_11comp_targetILNS1_3genE3ELNS1_11target_archE908ELNS1_3gpuE7ELNS1_3repE0EEENS1_30default_config_static_selectorELNS0_4arch9wavefront6targetE1EEEvT1_
; %bb.0:
	.section	.rodata,"a",@progbits
	.p2align	6, 0x0
	.amdhsa_kernel _ZN7rocprim17ROCPRIM_400000_NS6detail17trampoline_kernelINS0_14default_configENS1_20scan_config_selectorIfEEZZNS1_9scan_implILNS1_25lookback_scan_determinismE0ELb0ELb0ES3_N6thrust23THRUST_200600_302600_NS6detail15normal_iteratorINS9_10device_ptrIfEEEESE_fNS9_4plusIvEEfEEDaPvRmT3_T4_T5_mT6_P12ihipStream_tbENKUlT_T0_E_clISt17integral_constantIbLb1EEST_IbLb0EEEEDaSP_SQ_EUlSP_E_NS1_11comp_targetILNS1_3genE3ELNS1_11target_archE908ELNS1_3gpuE7ELNS1_3repE0EEENS1_30default_config_static_selectorELNS0_4arch9wavefront6targetE1EEEvT1_
		.amdhsa_group_segment_fixed_size 0
		.amdhsa_private_segment_fixed_size 0
		.amdhsa_kernarg_size 96
		.amdhsa_user_sgpr_count 6
		.amdhsa_user_sgpr_private_segment_buffer 1
		.amdhsa_user_sgpr_dispatch_ptr 0
		.amdhsa_user_sgpr_queue_ptr 0
		.amdhsa_user_sgpr_kernarg_segment_ptr 1
		.amdhsa_user_sgpr_dispatch_id 0
		.amdhsa_user_sgpr_flat_scratch_init 0
		.amdhsa_user_sgpr_kernarg_preload_length 0
		.amdhsa_user_sgpr_kernarg_preload_offset 0
		.amdhsa_user_sgpr_private_segment_size 0
		.amdhsa_uses_dynamic_stack 0
		.amdhsa_system_sgpr_private_segment_wavefront_offset 0
		.amdhsa_system_sgpr_workgroup_id_x 1
		.amdhsa_system_sgpr_workgroup_id_y 0
		.amdhsa_system_sgpr_workgroup_id_z 0
		.amdhsa_system_sgpr_workgroup_info 0
		.amdhsa_system_vgpr_workitem_id 0
		.amdhsa_next_free_vgpr 1
		.amdhsa_next_free_sgpr 0
		.amdhsa_accum_offset 4
		.amdhsa_reserve_vcc 0
		.amdhsa_reserve_flat_scratch 0
		.amdhsa_float_round_mode_32 0
		.amdhsa_float_round_mode_16_64 0
		.amdhsa_float_denorm_mode_32 3
		.amdhsa_float_denorm_mode_16_64 3
		.amdhsa_dx10_clamp 1
		.amdhsa_ieee_mode 1
		.amdhsa_fp16_overflow 0
		.amdhsa_tg_split 0
		.amdhsa_exception_fp_ieee_invalid_op 0
		.amdhsa_exception_fp_denorm_src 0
		.amdhsa_exception_fp_ieee_div_zero 0
		.amdhsa_exception_fp_ieee_overflow 0
		.amdhsa_exception_fp_ieee_underflow 0
		.amdhsa_exception_fp_ieee_inexact 0
		.amdhsa_exception_int_div_zero 0
	.end_amdhsa_kernel
	.section	.text._ZN7rocprim17ROCPRIM_400000_NS6detail17trampoline_kernelINS0_14default_configENS1_20scan_config_selectorIfEEZZNS1_9scan_implILNS1_25lookback_scan_determinismE0ELb0ELb0ES3_N6thrust23THRUST_200600_302600_NS6detail15normal_iteratorINS9_10device_ptrIfEEEESE_fNS9_4plusIvEEfEEDaPvRmT3_T4_T5_mT6_P12ihipStream_tbENKUlT_T0_E_clISt17integral_constantIbLb1EEST_IbLb0EEEEDaSP_SQ_EUlSP_E_NS1_11comp_targetILNS1_3genE3ELNS1_11target_archE908ELNS1_3gpuE7ELNS1_3repE0EEENS1_30default_config_static_selectorELNS0_4arch9wavefront6targetE1EEEvT1_,"axG",@progbits,_ZN7rocprim17ROCPRIM_400000_NS6detail17trampoline_kernelINS0_14default_configENS1_20scan_config_selectorIfEEZZNS1_9scan_implILNS1_25lookback_scan_determinismE0ELb0ELb0ES3_N6thrust23THRUST_200600_302600_NS6detail15normal_iteratorINS9_10device_ptrIfEEEESE_fNS9_4plusIvEEfEEDaPvRmT3_T4_T5_mT6_P12ihipStream_tbENKUlT_T0_E_clISt17integral_constantIbLb1EEST_IbLb0EEEEDaSP_SQ_EUlSP_E_NS1_11comp_targetILNS1_3genE3ELNS1_11target_archE908ELNS1_3gpuE7ELNS1_3repE0EEENS1_30default_config_static_selectorELNS0_4arch9wavefront6targetE1EEEvT1_,comdat
.Lfunc_end4325:
	.size	_ZN7rocprim17ROCPRIM_400000_NS6detail17trampoline_kernelINS0_14default_configENS1_20scan_config_selectorIfEEZZNS1_9scan_implILNS1_25lookback_scan_determinismE0ELb0ELb0ES3_N6thrust23THRUST_200600_302600_NS6detail15normal_iteratorINS9_10device_ptrIfEEEESE_fNS9_4plusIvEEfEEDaPvRmT3_T4_T5_mT6_P12ihipStream_tbENKUlT_T0_E_clISt17integral_constantIbLb1EEST_IbLb0EEEEDaSP_SQ_EUlSP_E_NS1_11comp_targetILNS1_3genE3ELNS1_11target_archE908ELNS1_3gpuE7ELNS1_3repE0EEENS1_30default_config_static_selectorELNS0_4arch9wavefront6targetE1EEEvT1_, .Lfunc_end4325-_ZN7rocprim17ROCPRIM_400000_NS6detail17trampoline_kernelINS0_14default_configENS1_20scan_config_selectorIfEEZZNS1_9scan_implILNS1_25lookback_scan_determinismE0ELb0ELb0ES3_N6thrust23THRUST_200600_302600_NS6detail15normal_iteratorINS9_10device_ptrIfEEEESE_fNS9_4plusIvEEfEEDaPvRmT3_T4_T5_mT6_P12ihipStream_tbENKUlT_T0_E_clISt17integral_constantIbLb1EEST_IbLb0EEEEDaSP_SQ_EUlSP_E_NS1_11comp_targetILNS1_3genE3ELNS1_11target_archE908ELNS1_3gpuE7ELNS1_3repE0EEENS1_30default_config_static_selectorELNS0_4arch9wavefront6targetE1EEEvT1_
                                        ; -- End function
	.section	.AMDGPU.csdata,"",@progbits
; Kernel info:
; codeLenInByte = 0
; NumSgprs: 4
; NumVgprs: 0
; NumAgprs: 0
; TotalNumVgprs: 0
; ScratchSize: 0
; MemoryBound: 0
; FloatMode: 240
; IeeeMode: 1
; LDSByteSize: 0 bytes/workgroup (compile time only)
; SGPRBlocks: 0
; VGPRBlocks: 0
; NumSGPRsForWavesPerEU: 4
; NumVGPRsForWavesPerEU: 1
; AccumOffset: 4
; Occupancy: 8
; WaveLimiterHint : 0
; COMPUTE_PGM_RSRC2:SCRATCH_EN: 0
; COMPUTE_PGM_RSRC2:USER_SGPR: 6
; COMPUTE_PGM_RSRC2:TRAP_HANDLER: 0
; COMPUTE_PGM_RSRC2:TGID_X_EN: 1
; COMPUTE_PGM_RSRC2:TGID_Y_EN: 0
; COMPUTE_PGM_RSRC2:TGID_Z_EN: 0
; COMPUTE_PGM_RSRC2:TIDIG_COMP_CNT: 0
; COMPUTE_PGM_RSRC3_GFX90A:ACCUM_OFFSET: 0
; COMPUTE_PGM_RSRC3_GFX90A:TG_SPLIT: 0
	.section	.text._ZN7rocprim17ROCPRIM_400000_NS6detail17trampoline_kernelINS0_14default_configENS1_20scan_config_selectorIfEEZZNS1_9scan_implILNS1_25lookback_scan_determinismE0ELb0ELb0ES3_N6thrust23THRUST_200600_302600_NS6detail15normal_iteratorINS9_10device_ptrIfEEEESE_fNS9_4plusIvEEfEEDaPvRmT3_T4_T5_mT6_P12ihipStream_tbENKUlT_T0_E_clISt17integral_constantIbLb1EEST_IbLb0EEEEDaSP_SQ_EUlSP_E_NS1_11comp_targetILNS1_3genE2ELNS1_11target_archE906ELNS1_3gpuE6ELNS1_3repE0EEENS1_30default_config_static_selectorELNS0_4arch9wavefront6targetE1EEEvT1_,"axG",@progbits,_ZN7rocprim17ROCPRIM_400000_NS6detail17trampoline_kernelINS0_14default_configENS1_20scan_config_selectorIfEEZZNS1_9scan_implILNS1_25lookback_scan_determinismE0ELb0ELb0ES3_N6thrust23THRUST_200600_302600_NS6detail15normal_iteratorINS9_10device_ptrIfEEEESE_fNS9_4plusIvEEfEEDaPvRmT3_T4_T5_mT6_P12ihipStream_tbENKUlT_T0_E_clISt17integral_constantIbLb1EEST_IbLb0EEEEDaSP_SQ_EUlSP_E_NS1_11comp_targetILNS1_3genE2ELNS1_11target_archE906ELNS1_3gpuE6ELNS1_3repE0EEENS1_30default_config_static_selectorELNS0_4arch9wavefront6targetE1EEEvT1_,comdat
	.protected	_ZN7rocprim17ROCPRIM_400000_NS6detail17trampoline_kernelINS0_14default_configENS1_20scan_config_selectorIfEEZZNS1_9scan_implILNS1_25lookback_scan_determinismE0ELb0ELb0ES3_N6thrust23THRUST_200600_302600_NS6detail15normal_iteratorINS9_10device_ptrIfEEEESE_fNS9_4plusIvEEfEEDaPvRmT3_T4_T5_mT6_P12ihipStream_tbENKUlT_T0_E_clISt17integral_constantIbLb1EEST_IbLb0EEEEDaSP_SQ_EUlSP_E_NS1_11comp_targetILNS1_3genE2ELNS1_11target_archE906ELNS1_3gpuE6ELNS1_3repE0EEENS1_30default_config_static_selectorELNS0_4arch9wavefront6targetE1EEEvT1_ ; -- Begin function _ZN7rocprim17ROCPRIM_400000_NS6detail17trampoline_kernelINS0_14default_configENS1_20scan_config_selectorIfEEZZNS1_9scan_implILNS1_25lookback_scan_determinismE0ELb0ELb0ES3_N6thrust23THRUST_200600_302600_NS6detail15normal_iteratorINS9_10device_ptrIfEEEESE_fNS9_4plusIvEEfEEDaPvRmT3_T4_T5_mT6_P12ihipStream_tbENKUlT_T0_E_clISt17integral_constantIbLb1EEST_IbLb0EEEEDaSP_SQ_EUlSP_E_NS1_11comp_targetILNS1_3genE2ELNS1_11target_archE906ELNS1_3gpuE6ELNS1_3repE0EEENS1_30default_config_static_selectorELNS0_4arch9wavefront6targetE1EEEvT1_
	.globl	_ZN7rocprim17ROCPRIM_400000_NS6detail17trampoline_kernelINS0_14default_configENS1_20scan_config_selectorIfEEZZNS1_9scan_implILNS1_25lookback_scan_determinismE0ELb0ELb0ES3_N6thrust23THRUST_200600_302600_NS6detail15normal_iteratorINS9_10device_ptrIfEEEESE_fNS9_4plusIvEEfEEDaPvRmT3_T4_T5_mT6_P12ihipStream_tbENKUlT_T0_E_clISt17integral_constantIbLb1EEST_IbLb0EEEEDaSP_SQ_EUlSP_E_NS1_11comp_targetILNS1_3genE2ELNS1_11target_archE906ELNS1_3gpuE6ELNS1_3repE0EEENS1_30default_config_static_selectorELNS0_4arch9wavefront6targetE1EEEvT1_
	.p2align	8
	.type	_ZN7rocprim17ROCPRIM_400000_NS6detail17trampoline_kernelINS0_14default_configENS1_20scan_config_selectorIfEEZZNS1_9scan_implILNS1_25lookback_scan_determinismE0ELb0ELb0ES3_N6thrust23THRUST_200600_302600_NS6detail15normal_iteratorINS9_10device_ptrIfEEEESE_fNS9_4plusIvEEfEEDaPvRmT3_T4_T5_mT6_P12ihipStream_tbENKUlT_T0_E_clISt17integral_constantIbLb1EEST_IbLb0EEEEDaSP_SQ_EUlSP_E_NS1_11comp_targetILNS1_3genE2ELNS1_11target_archE906ELNS1_3gpuE6ELNS1_3repE0EEENS1_30default_config_static_selectorELNS0_4arch9wavefront6targetE1EEEvT1_,@function
_ZN7rocprim17ROCPRIM_400000_NS6detail17trampoline_kernelINS0_14default_configENS1_20scan_config_selectorIfEEZZNS1_9scan_implILNS1_25lookback_scan_determinismE0ELb0ELb0ES3_N6thrust23THRUST_200600_302600_NS6detail15normal_iteratorINS9_10device_ptrIfEEEESE_fNS9_4plusIvEEfEEDaPvRmT3_T4_T5_mT6_P12ihipStream_tbENKUlT_T0_E_clISt17integral_constantIbLb1EEST_IbLb0EEEEDaSP_SQ_EUlSP_E_NS1_11comp_targetILNS1_3genE2ELNS1_11target_archE906ELNS1_3gpuE6ELNS1_3repE0EEENS1_30default_config_static_selectorELNS0_4arch9wavefront6targetE1EEEvT1_: ; @_ZN7rocprim17ROCPRIM_400000_NS6detail17trampoline_kernelINS0_14default_configENS1_20scan_config_selectorIfEEZZNS1_9scan_implILNS1_25lookback_scan_determinismE0ELb0ELb0ES3_N6thrust23THRUST_200600_302600_NS6detail15normal_iteratorINS9_10device_ptrIfEEEESE_fNS9_4plusIvEEfEEDaPvRmT3_T4_T5_mT6_P12ihipStream_tbENKUlT_T0_E_clISt17integral_constantIbLb1EEST_IbLb0EEEEDaSP_SQ_EUlSP_E_NS1_11comp_targetILNS1_3genE2ELNS1_11target_archE906ELNS1_3gpuE6ELNS1_3repE0EEENS1_30default_config_static_selectorELNS0_4arch9wavefront6targetE1EEEvT1_
; %bb.0:
	.section	.rodata,"a",@progbits
	.p2align	6, 0x0
	.amdhsa_kernel _ZN7rocprim17ROCPRIM_400000_NS6detail17trampoline_kernelINS0_14default_configENS1_20scan_config_selectorIfEEZZNS1_9scan_implILNS1_25lookback_scan_determinismE0ELb0ELb0ES3_N6thrust23THRUST_200600_302600_NS6detail15normal_iteratorINS9_10device_ptrIfEEEESE_fNS9_4plusIvEEfEEDaPvRmT3_T4_T5_mT6_P12ihipStream_tbENKUlT_T0_E_clISt17integral_constantIbLb1EEST_IbLb0EEEEDaSP_SQ_EUlSP_E_NS1_11comp_targetILNS1_3genE2ELNS1_11target_archE906ELNS1_3gpuE6ELNS1_3repE0EEENS1_30default_config_static_selectorELNS0_4arch9wavefront6targetE1EEEvT1_
		.amdhsa_group_segment_fixed_size 0
		.amdhsa_private_segment_fixed_size 0
		.amdhsa_kernarg_size 96
		.amdhsa_user_sgpr_count 6
		.amdhsa_user_sgpr_private_segment_buffer 1
		.amdhsa_user_sgpr_dispatch_ptr 0
		.amdhsa_user_sgpr_queue_ptr 0
		.amdhsa_user_sgpr_kernarg_segment_ptr 1
		.amdhsa_user_sgpr_dispatch_id 0
		.amdhsa_user_sgpr_flat_scratch_init 0
		.amdhsa_user_sgpr_kernarg_preload_length 0
		.amdhsa_user_sgpr_kernarg_preload_offset 0
		.amdhsa_user_sgpr_private_segment_size 0
		.amdhsa_uses_dynamic_stack 0
		.amdhsa_system_sgpr_private_segment_wavefront_offset 0
		.amdhsa_system_sgpr_workgroup_id_x 1
		.amdhsa_system_sgpr_workgroup_id_y 0
		.amdhsa_system_sgpr_workgroup_id_z 0
		.amdhsa_system_sgpr_workgroup_info 0
		.amdhsa_system_vgpr_workitem_id 0
		.amdhsa_next_free_vgpr 1
		.amdhsa_next_free_sgpr 0
		.amdhsa_accum_offset 4
		.amdhsa_reserve_vcc 0
		.amdhsa_reserve_flat_scratch 0
		.amdhsa_float_round_mode_32 0
		.amdhsa_float_round_mode_16_64 0
		.amdhsa_float_denorm_mode_32 3
		.amdhsa_float_denorm_mode_16_64 3
		.amdhsa_dx10_clamp 1
		.amdhsa_ieee_mode 1
		.amdhsa_fp16_overflow 0
		.amdhsa_tg_split 0
		.amdhsa_exception_fp_ieee_invalid_op 0
		.amdhsa_exception_fp_denorm_src 0
		.amdhsa_exception_fp_ieee_div_zero 0
		.amdhsa_exception_fp_ieee_overflow 0
		.amdhsa_exception_fp_ieee_underflow 0
		.amdhsa_exception_fp_ieee_inexact 0
		.amdhsa_exception_int_div_zero 0
	.end_amdhsa_kernel
	.section	.text._ZN7rocprim17ROCPRIM_400000_NS6detail17trampoline_kernelINS0_14default_configENS1_20scan_config_selectorIfEEZZNS1_9scan_implILNS1_25lookback_scan_determinismE0ELb0ELb0ES3_N6thrust23THRUST_200600_302600_NS6detail15normal_iteratorINS9_10device_ptrIfEEEESE_fNS9_4plusIvEEfEEDaPvRmT3_T4_T5_mT6_P12ihipStream_tbENKUlT_T0_E_clISt17integral_constantIbLb1EEST_IbLb0EEEEDaSP_SQ_EUlSP_E_NS1_11comp_targetILNS1_3genE2ELNS1_11target_archE906ELNS1_3gpuE6ELNS1_3repE0EEENS1_30default_config_static_selectorELNS0_4arch9wavefront6targetE1EEEvT1_,"axG",@progbits,_ZN7rocprim17ROCPRIM_400000_NS6detail17trampoline_kernelINS0_14default_configENS1_20scan_config_selectorIfEEZZNS1_9scan_implILNS1_25lookback_scan_determinismE0ELb0ELb0ES3_N6thrust23THRUST_200600_302600_NS6detail15normal_iteratorINS9_10device_ptrIfEEEESE_fNS9_4plusIvEEfEEDaPvRmT3_T4_T5_mT6_P12ihipStream_tbENKUlT_T0_E_clISt17integral_constantIbLb1EEST_IbLb0EEEEDaSP_SQ_EUlSP_E_NS1_11comp_targetILNS1_3genE2ELNS1_11target_archE906ELNS1_3gpuE6ELNS1_3repE0EEENS1_30default_config_static_selectorELNS0_4arch9wavefront6targetE1EEEvT1_,comdat
.Lfunc_end4326:
	.size	_ZN7rocprim17ROCPRIM_400000_NS6detail17trampoline_kernelINS0_14default_configENS1_20scan_config_selectorIfEEZZNS1_9scan_implILNS1_25lookback_scan_determinismE0ELb0ELb0ES3_N6thrust23THRUST_200600_302600_NS6detail15normal_iteratorINS9_10device_ptrIfEEEESE_fNS9_4plusIvEEfEEDaPvRmT3_T4_T5_mT6_P12ihipStream_tbENKUlT_T0_E_clISt17integral_constantIbLb1EEST_IbLb0EEEEDaSP_SQ_EUlSP_E_NS1_11comp_targetILNS1_3genE2ELNS1_11target_archE906ELNS1_3gpuE6ELNS1_3repE0EEENS1_30default_config_static_selectorELNS0_4arch9wavefront6targetE1EEEvT1_, .Lfunc_end4326-_ZN7rocprim17ROCPRIM_400000_NS6detail17trampoline_kernelINS0_14default_configENS1_20scan_config_selectorIfEEZZNS1_9scan_implILNS1_25lookback_scan_determinismE0ELb0ELb0ES3_N6thrust23THRUST_200600_302600_NS6detail15normal_iteratorINS9_10device_ptrIfEEEESE_fNS9_4plusIvEEfEEDaPvRmT3_T4_T5_mT6_P12ihipStream_tbENKUlT_T0_E_clISt17integral_constantIbLb1EEST_IbLb0EEEEDaSP_SQ_EUlSP_E_NS1_11comp_targetILNS1_3genE2ELNS1_11target_archE906ELNS1_3gpuE6ELNS1_3repE0EEENS1_30default_config_static_selectorELNS0_4arch9wavefront6targetE1EEEvT1_
                                        ; -- End function
	.section	.AMDGPU.csdata,"",@progbits
; Kernel info:
; codeLenInByte = 0
; NumSgprs: 4
; NumVgprs: 0
; NumAgprs: 0
; TotalNumVgprs: 0
; ScratchSize: 0
; MemoryBound: 0
; FloatMode: 240
; IeeeMode: 1
; LDSByteSize: 0 bytes/workgroup (compile time only)
; SGPRBlocks: 0
; VGPRBlocks: 0
; NumSGPRsForWavesPerEU: 4
; NumVGPRsForWavesPerEU: 1
; AccumOffset: 4
; Occupancy: 8
; WaveLimiterHint : 0
; COMPUTE_PGM_RSRC2:SCRATCH_EN: 0
; COMPUTE_PGM_RSRC2:USER_SGPR: 6
; COMPUTE_PGM_RSRC2:TRAP_HANDLER: 0
; COMPUTE_PGM_RSRC2:TGID_X_EN: 1
; COMPUTE_PGM_RSRC2:TGID_Y_EN: 0
; COMPUTE_PGM_RSRC2:TGID_Z_EN: 0
; COMPUTE_PGM_RSRC2:TIDIG_COMP_CNT: 0
; COMPUTE_PGM_RSRC3_GFX90A:ACCUM_OFFSET: 0
; COMPUTE_PGM_RSRC3_GFX90A:TG_SPLIT: 0
	.section	.text._ZN7rocprim17ROCPRIM_400000_NS6detail17trampoline_kernelINS0_14default_configENS1_20scan_config_selectorIfEEZZNS1_9scan_implILNS1_25lookback_scan_determinismE0ELb0ELb0ES3_N6thrust23THRUST_200600_302600_NS6detail15normal_iteratorINS9_10device_ptrIfEEEESE_fNS9_4plusIvEEfEEDaPvRmT3_T4_T5_mT6_P12ihipStream_tbENKUlT_T0_E_clISt17integral_constantIbLb1EEST_IbLb0EEEEDaSP_SQ_EUlSP_E_NS1_11comp_targetILNS1_3genE10ELNS1_11target_archE1201ELNS1_3gpuE5ELNS1_3repE0EEENS1_30default_config_static_selectorELNS0_4arch9wavefront6targetE1EEEvT1_,"axG",@progbits,_ZN7rocprim17ROCPRIM_400000_NS6detail17trampoline_kernelINS0_14default_configENS1_20scan_config_selectorIfEEZZNS1_9scan_implILNS1_25lookback_scan_determinismE0ELb0ELb0ES3_N6thrust23THRUST_200600_302600_NS6detail15normal_iteratorINS9_10device_ptrIfEEEESE_fNS9_4plusIvEEfEEDaPvRmT3_T4_T5_mT6_P12ihipStream_tbENKUlT_T0_E_clISt17integral_constantIbLb1EEST_IbLb0EEEEDaSP_SQ_EUlSP_E_NS1_11comp_targetILNS1_3genE10ELNS1_11target_archE1201ELNS1_3gpuE5ELNS1_3repE0EEENS1_30default_config_static_selectorELNS0_4arch9wavefront6targetE1EEEvT1_,comdat
	.protected	_ZN7rocprim17ROCPRIM_400000_NS6detail17trampoline_kernelINS0_14default_configENS1_20scan_config_selectorIfEEZZNS1_9scan_implILNS1_25lookback_scan_determinismE0ELb0ELb0ES3_N6thrust23THRUST_200600_302600_NS6detail15normal_iteratorINS9_10device_ptrIfEEEESE_fNS9_4plusIvEEfEEDaPvRmT3_T4_T5_mT6_P12ihipStream_tbENKUlT_T0_E_clISt17integral_constantIbLb1EEST_IbLb0EEEEDaSP_SQ_EUlSP_E_NS1_11comp_targetILNS1_3genE10ELNS1_11target_archE1201ELNS1_3gpuE5ELNS1_3repE0EEENS1_30default_config_static_selectorELNS0_4arch9wavefront6targetE1EEEvT1_ ; -- Begin function _ZN7rocprim17ROCPRIM_400000_NS6detail17trampoline_kernelINS0_14default_configENS1_20scan_config_selectorIfEEZZNS1_9scan_implILNS1_25lookback_scan_determinismE0ELb0ELb0ES3_N6thrust23THRUST_200600_302600_NS6detail15normal_iteratorINS9_10device_ptrIfEEEESE_fNS9_4plusIvEEfEEDaPvRmT3_T4_T5_mT6_P12ihipStream_tbENKUlT_T0_E_clISt17integral_constantIbLb1EEST_IbLb0EEEEDaSP_SQ_EUlSP_E_NS1_11comp_targetILNS1_3genE10ELNS1_11target_archE1201ELNS1_3gpuE5ELNS1_3repE0EEENS1_30default_config_static_selectorELNS0_4arch9wavefront6targetE1EEEvT1_
	.globl	_ZN7rocprim17ROCPRIM_400000_NS6detail17trampoline_kernelINS0_14default_configENS1_20scan_config_selectorIfEEZZNS1_9scan_implILNS1_25lookback_scan_determinismE0ELb0ELb0ES3_N6thrust23THRUST_200600_302600_NS6detail15normal_iteratorINS9_10device_ptrIfEEEESE_fNS9_4plusIvEEfEEDaPvRmT3_T4_T5_mT6_P12ihipStream_tbENKUlT_T0_E_clISt17integral_constantIbLb1EEST_IbLb0EEEEDaSP_SQ_EUlSP_E_NS1_11comp_targetILNS1_3genE10ELNS1_11target_archE1201ELNS1_3gpuE5ELNS1_3repE0EEENS1_30default_config_static_selectorELNS0_4arch9wavefront6targetE1EEEvT1_
	.p2align	8
	.type	_ZN7rocprim17ROCPRIM_400000_NS6detail17trampoline_kernelINS0_14default_configENS1_20scan_config_selectorIfEEZZNS1_9scan_implILNS1_25lookback_scan_determinismE0ELb0ELb0ES3_N6thrust23THRUST_200600_302600_NS6detail15normal_iteratorINS9_10device_ptrIfEEEESE_fNS9_4plusIvEEfEEDaPvRmT3_T4_T5_mT6_P12ihipStream_tbENKUlT_T0_E_clISt17integral_constantIbLb1EEST_IbLb0EEEEDaSP_SQ_EUlSP_E_NS1_11comp_targetILNS1_3genE10ELNS1_11target_archE1201ELNS1_3gpuE5ELNS1_3repE0EEENS1_30default_config_static_selectorELNS0_4arch9wavefront6targetE1EEEvT1_,@function
_ZN7rocprim17ROCPRIM_400000_NS6detail17trampoline_kernelINS0_14default_configENS1_20scan_config_selectorIfEEZZNS1_9scan_implILNS1_25lookback_scan_determinismE0ELb0ELb0ES3_N6thrust23THRUST_200600_302600_NS6detail15normal_iteratorINS9_10device_ptrIfEEEESE_fNS9_4plusIvEEfEEDaPvRmT3_T4_T5_mT6_P12ihipStream_tbENKUlT_T0_E_clISt17integral_constantIbLb1EEST_IbLb0EEEEDaSP_SQ_EUlSP_E_NS1_11comp_targetILNS1_3genE10ELNS1_11target_archE1201ELNS1_3gpuE5ELNS1_3repE0EEENS1_30default_config_static_selectorELNS0_4arch9wavefront6targetE1EEEvT1_: ; @_ZN7rocprim17ROCPRIM_400000_NS6detail17trampoline_kernelINS0_14default_configENS1_20scan_config_selectorIfEEZZNS1_9scan_implILNS1_25lookback_scan_determinismE0ELb0ELb0ES3_N6thrust23THRUST_200600_302600_NS6detail15normal_iteratorINS9_10device_ptrIfEEEESE_fNS9_4plusIvEEfEEDaPvRmT3_T4_T5_mT6_P12ihipStream_tbENKUlT_T0_E_clISt17integral_constantIbLb1EEST_IbLb0EEEEDaSP_SQ_EUlSP_E_NS1_11comp_targetILNS1_3genE10ELNS1_11target_archE1201ELNS1_3gpuE5ELNS1_3repE0EEENS1_30default_config_static_selectorELNS0_4arch9wavefront6targetE1EEEvT1_
; %bb.0:
	.section	.rodata,"a",@progbits
	.p2align	6, 0x0
	.amdhsa_kernel _ZN7rocprim17ROCPRIM_400000_NS6detail17trampoline_kernelINS0_14default_configENS1_20scan_config_selectorIfEEZZNS1_9scan_implILNS1_25lookback_scan_determinismE0ELb0ELb0ES3_N6thrust23THRUST_200600_302600_NS6detail15normal_iteratorINS9_10device_ptrIfEEEESE_fNS9_4plusIvEEfEEDaPvRmT3_T4_T5_mT6_P12ihipStream_tbENKUlT_T0_E_clISt17integral_constantIbLb1EEST_IbLb0EEEEDaSP_SQ_EUlSP_E_NS1_11comp_targetILNS1_3genE10ELNS1_11target_archE1201ELNS1_3gpuE5ELNS1_3repE0EEENS1_30default_config_static_selectorELNS0_4arch9wavefront6targetE1EEEvT1_
		.amdhsa_group_segment_fixed_size 0
		.amdhsa_private_segment_fixed_size 0
		.amdhsa_kernarg_size 96
		.amdhsa_user_sgpr_count 6
		.amdhsa_user_sgpr_private_segment_buffer 1
		.amdhsa_user_sgpr_dispatch_ptr 0
		.amdhsa_user_sgpr_queue_ptr 0
		.amdhsa_user_sgpr_kernarg_segment_ptr 1
		.amdhsa_user_sgpr_dispatch_id 0
		.amdhsa_user_sgpr_flat_scratch_init 0
		.amdhsa_user_sgpr_kernarg_preload_length 0
		.amdhsa_user_sgpr_kernarg_preload_offset 0
		.amdhsa_user_sgpr_private_segment_size 0
		.amdhsa_uses_dynamic_stack 0
		.amdhsa_system_sgpr_private_segment_wavefront_offset 0
		.amdhsa_system_sgpr_workgroup_id_x 1
		.amdhsa_system_sgpr_workgroup_id_y 0
		.amdhsa_system_sgpr_workgroup_id_z 0
		.amdhsa_system_sgpr_workgroup_info 0
		.amdhsa_system_vgpr_workitem_id 0
		.amdhsa_next_free_vgpr 1
		.amdhsa_next_free_sgpr 0
		.amdhsa_accum_offset 4
		.amdhsa_reserve_vcc 0
		.amdhsa_reserve_flat_scratch 0
		.amdhsa_float_round_mode_32 0
		.amdhsa_float_round_mode_16_64 0
		.amdhsa_float_denorm_mode_32 3
		.amdhsa_float_denorm_mode_16_64 3
		.amdhsa_dx10_clamp 1
		.amdhsa_ieee_mode 1
		.amdhsa_fp16_overflow 0
		.amdhsa_tg_split 0
		.amdhsa_exception_fp_ieee_invalid_op 0
		.amdhsa_exception_fp_denorm_src 0
		.amdhsa_exception_fp_ieee_div_zero 0
		.amdhsa_exception_fp_ieee_overflow 0
		.amdhsa_exception_fp_ieee_underflow 0
		.amdhsa_exception_fp_ieee_inexact 0
		.amdhsa_exception_int_div_zero 0
	.end_amdhsa_kernel
	.section	.text._ZN7rocprim17ROCPRIM_400000_NS6detail17trampoline_kernelINS0_14default_configENS1_20scan_config_selectorIfEEZZNS1_9scan_implILNS1_25lookback_scan_determinismE0ELb0ELb0ES3_N6thrust23THRUST_200600_302600_NS6detail15normal_iteratorINS9_10device_ptrIfEEEESE_fNS9_4plusIvEEfEEDaPvRmT3_T4_T5_mT6_P12ihipStream_tbENKUlT_T0_E_clISt17integral_constantIbLb1EEST_IbLb0EEEEDaSP_SQ_EUlSP_E_NS1_11comp_targetILNS1_3genE10ELNS1_11target_archE1201ELNS1_3gpuE5ELNS1_3repE0EEENS1_30default_config_static_selectorELNS0_4arch9wavefront6targetE1EEEvT1_,"axG",@progbits,_ZN7rocprim17ROCPRIM_400000_NS6detail17trampoline_kernelINS0_14default_configENS1_20scan_config_selectorIfEEZZNS1_9scan_implILNS1_25lookback_scan_determinismE0ELb0ELb0ES3_N6thrust23THRUST_200600_302600_NS6detail15normal_iteratorINS9_10device_ptrIfEEEESE_fNS9_4plusIvEEfEEDaPvRmT3_T4_T5_mT6_P12ihipStream_tbENKUlT_T0_E_clISt17integral_constantIbLb1EEST_IbLb0EEEEDaSP_SQ_EUlSP_E_NS1_11comp_targetILNS1_3genE10ELNS1_11target_archE1201ELNS1_3gpuE5ELNS1_3repE0EEENS1_30default_config_static_selectorELNS0_4arch9wavefront6targetE1EEEvT1_,comdat
.Lfunc_end4327:
	.size	_ZN7rocprim17ROCPRIM_400000_NS6detail17trampoline_kernelINS0_14default_configENS1_20scan_config_selectorIfEEZZNS1_9scan_implILNS1_25lookback_scan_determinismE0ELb0ELb0ES3_N6thrust23THRUST_200600_302600_NS6detail15normal_iteratorINS9_10device_ptrIfEEEESE_fNS9_4plusIvEEfEEDaPvRmT3_T4_T5_mT6_P12ihipStream_tbENKUlT_T0_E_clISt17integral_constantIbLb1EEST_IbLb0EEEEDaSP_SQ_EUlSP_E_NS1_11comp_targetILNS1_3genE10ELNS1_11target_archE1201ELNS1_3gpuE5ELNS1_3repE0EEENS1_30default_config_static_selectorELNS0_4arch9wavefront6targetE1EEEvT1_, .Lfunc_end4327-_ZN7rocprim17ROCPRIM_400000_NS6detail17trampoline_kernelINS0_14default_configENS1_20scan_config_selectorIfEEZZNS1_9scan_implILNS1_25lookback_scan_determinismE0ELb0ELb0ES3_N6thrust23THRUST_200600_302600_NS6detail15normal_iteratorINS9_10device_ptrIfEEEESE_fNS9_4plusIvEEfEEDaPvRmT3_T4_T5_mT6_P12ihipStream_tbENKUlT_T0_E_clISt17integral_constantIbLb1EEST_IbLb0EEEEDaSP_SQ_EUlSP_E_NS1_11comp_targetILNS1_3genE10ELNS1_11target_archE1201ELNS1_3gpuE5ELNS1_3repE0EEENS1_30default_config_static_selectorELNS0_4arch9wavefront6targetE1EEEvT1_
                                        ; -- End function
	.section	.AMDGPU.csdata,"",@progbits
; Kernel info:
; codeLenInByte = 0
; NumSgprs: 4
; NumVgprs: 0
; NumAgprs: 0
; TotalNumVgprs: 0
; ScratchSize: 0
; MemoryBound: 0
; FloatMode: 240
; IeeeMode: 1
; LDSByteSize: 0 bytes/workgroup (compile time only)
; SGPRBlocks: 0
; VGPRBlocks: 0
; NumSGPRsForWavesPerEU: 4
; NumVGPRsForWavesPerEU: 1
; AccumOffset: 4
; Occupancy: 8
; WaveLimiterHint : 0
; COMPUTE_PGM_RSRC2:SCRATCH_EN: 0
; COMPUTE_PGM_RSRC2:USER_SGPR: 6
; COMPUTE_PGM_RSRC2:TRAP_HANDLER: 0
; COMPUTE_PGM_RSRC2:TGID_X_EN: 1
; COMPUTE_PGM_RSRC2:TGID_Y_EN: 0
; COMPUTE_PGM_RSRC2:TGID_Z_EN: 0
; COMPUTE_PGM_RSRC2:TIDIG_COMP_CNT: 0
; COMPUTE_PGM_RSRC3_GFX90A:ACCUM_OFFSET: 0
; COMPUTE_PGM_RSRC3_GFX90A:TG_SPLIT: 0
	.section	.text._ZN7rocprim17ROCPRIM_400000_NS6detail17trampoline_kernelINS0_14default_configENS1_20scan_config_selectorIfEEZZNS1_9scan_implILNS1_25lookback_scan_determinismE0ELb0ELb0ES3_N6thrust23THRUST_200600_302600_NS6detail15normal_iteratorINS9_10device_ptrIfEEEESE_fNS9_4plusIvEEfEEDaPvRmT3_T4_T5_mT6_P12ihipStream_tbENKUlT_T0_E_clISt17integral_constantIbLb1EEST_IbLb0EEEEDaSP_SQ_EUlSP_E_NS1_11comp_targetILNS1_3genE10ELNS1_11target_archE1200ELNS1_3gpuE4ELNS1_3repE0EEENS1_30default_config_static_selectorELNS0_4arch9wavefront6targetE1EEEvT1_,"axG",@progbits,_ZN7rocprim17ROCPRIM_400000_NS6detail17trampoline_kernelINS0_14default_configENS1_20scan_config_selectorIfEEZZNS1_9scan_implILNS1_25lookback_scan_determinismE0ELb0ELb0ES3_N6thrust23THRUST_200600_302600_NS6detail15normal_iteratorINS9_10device_ptrIfEEEESE_fNS9_4plusIvEEfEEDaPvRmT3_T4_T5_mT6_P12ihipStream_tbENKUlT_T0_E_clISt17integral_constantIbLb1EEST_IbLb0EEEEDaSP_SQ_EUlSP_E_NS1_11comp_targetILNS1_3genE10ELNS1_11target_archE1200ELNS1_3gpuE4ELNS1_3repE0EEENS1_30default_config_static_selectorELNS0_4arch9wavefront6targetE1EEEvT1_,comdat
	.protected	_ZN7rocprim17ROCPRIM_400000_NS6detail17trampoline_kernelINS0_14default_configENS1_20scan_config_selectorIfEEZZNS1_9scan_implILNS1_25lookback_scan_determinismE0ELb0ELb0ES3_N6thrust23THRUST_200600_302600_NS6detail15normal_iteratorINS9_10device_ptrIfEEEESE_fNS9_4plusIvEEfEEDaPvRmT3_T4_T5_mT6_P12ihipStream_tbENKUlT_T0_E_clISt17integral_constantIbLb1EEST_IbLb0EEEEDaSP_SQ_EUlSP_E_NS1_11comp_targetILNS1_3genE10ELNS1_11target_archE1200ELNS1_3gpuE4ELNS1_3repE0EEENS1_30default_config_static_selectorELNS0_4arch9wavefront6targetE1EEEvT1_ ; -- Begin function _ZN7rocprim17ROCPRIM_400000_NS6detail17trampoline_kernelINS0_14default_configENS1_20scan_config_selectorIfEEZZNS1_9scan_implILNS1_25lookback_scan_determinismE0ELb0ELb0ES3_N6thrust23THRUST_200600_302600_NS6detail15normal_iteratorINS9_10device_ptrIfEEEESE_fNS9_4plusIvEEfEEDaPvRmT3_T4_T5_mT6_P12ihipStream_tbENKUlT_T0_E_clISt17integral_constantIbLb1EEST_IbLb0EEEEDaSP_SQ_EUlSP_E_NS1_11comp_targetILNS1_3genE10ELNS1_11target_archE1200ELNS1_3gpuE4ELNS1_3repE0EEENS1_30default_config_static_selectorELNS0_4arch9wavefront6targetE1EEEvT1_
	.globl	_ZN7rocprim17ROCPRIM_400000_NS6detail17trampoline_kernelINS0_14default_configENS1_20scan_config_selectorIfEEZZNS1_9scan_implILNS1_25lookback_scan_determinismE0ELb0ELb0ES3_N6thrust23THRUST_200600_302600_NS6detail15normal_iteratorINS9_10device_ptrIfEEEESE_fNS9_4plusIvEEfEEDaPvRmT3_T4_T5_mT6_P12ihipStream_tbENKUlT_T0_E_clISt17integral_constantIbLb1EEST_IbLb0EEEEDaSP_SQ_EUlSP_E_NS1_11comp_targetILNS1_3genE10ELNS1_11target_archE1200ELNS1_3gpuE4ELNS1_3repE0EEENS1_30default_config_static_selectorELNS0_4arch9wavefront6targetE1EEEvT1_
	.p2align	8
	.type	_ZN7rocprim17ROCPRIM_400000_NS6detail17trampoline_kernelINS0_14default_configENS1_20scan_config_selectorIfEEZZNS1_9scan_implILNS1_25lookback_scan_determinismE0ELb0ELb0ES3_N6thrust23THRUST_200600_302600_NS6detail15normal_iteratorINS9_10device_ptrIfEEEESE_fNS9_4plusIvEEfEEDaPvRmT3_T4_T5_mT6_P12ihipStream_tbENKUlT_T0_E_clISt17integral_constantIbLb1EEST_IbLb0EEEEDaSP_SQ_EUlSP_E_NS1_11comp_targetILNS1_3genE10ELNS1_11target_archE1200ELNS1_3gpuE4ELNS1_3repE0EEENS1_30default_config_static_selectorELNS0_4arch9wavefront6targetE1EEEvT1_,@function
_ZN7rocprim17ROCPRIM_400000_NS6detail17trampoline_kernelINS0_14default_configENS1_20scan_config_selectorIfEEZZNS1_9scan_implILNS1_25lookback_scan_determinismE0ELb0ELb0ES3_N6thrust23THRUST_200600_302600_NS6detail15normal_iteratorINS9_10device_ptrIfEEEESE_fNS9_4plusIvEEfEEDaPvRmT3_T4_T5_mT6_P12ihipStream_tbENKUlT_T0_E_clISt17integral_constantIbLb1EEST_IbLb0EEEEDaSP_SQ_EUlSP_E_NS1_11comp_targetILNS1_3genE10ELNS1_11target_archE1200ELNS1_3gpuE4ELNS1_3repE0EEENS1_30default_config_static_selectorELNS0_4arch9wavefront6targetE1EEEvT1_: ; @_ZN7rocprim17ROCPRIM_400000_NS6detail17trampoline_kernelINS0_14default_configENS1_20scan_config_selectorIfEEZZNS1_9scan_implILNS1_25lookback_scan_determinismE0ELb0ELb0ES3_N6thrust23THRUST_200600_302600_NS6detail15normal_iteratorINS9_10device_ptrIfEEEESE_fNS9_4plusIvEEfEEDaPvRmT3_T4_T5_mT6_P12ihipStream_tbENKUlT_T0_E_clISt17integral_constantIbLb1EEST_IbLb0EEEEDaSP_SQ_EUlSP_E_NS1_11comp_targetILNS1_3genE10ELNS1_11target_archE1200ELNS1_3gpuE4ELNS1_3repE0EEENS1_30default_config_static_selectorELNS0_4arch9wavefront6targetE1EEEvT1_
; %bb.0:
	.section	.rodata,"a",@progbits
	.p2align	6, 0x0
	.amdhsa_kernel _ZN7rocprim17ROCPRIM_400000_NS6detail17trampoline_kernelINS0_14default_configENS1_20scan_config_selectorIfEEZZNS1_9scan_implILNS1_25lookback_scan_determinismE0ELb0ELb0ES3_N6thrust23THRUST_200600_302600_NS6detail15normal_iteratorINS9_10device_ptrIfEEEESE_fNS9_4plusIvEEfEEDaPvRmT3_T4_T5_mT6_P12ihipStream_tbENKUlT_T0_E_clISt17integral_constantIbLb1EEST_IbLb0EEEEDaSP_SQ_EUlSP_E_NS1_11comp_targetILNS1_3genE10ELNS1_11target_archE1200ELNS1_3gpuE4ELNS1_3repE0EEENS1_30default_config_static_selectorELNS0_4arch9wavefront6targetE1EEEvT1_
		.amdhsa_group_segment_fixed_size 0
		.amdhsa_private_segment_fixed_size 0
		.amdhsa_kernarg_size 96
		.amdhsa_user_sgpr_count 6
		.amdhsa_user_sgpr_private_segment_buffer 1
		.amdhsa_user_sgpr_dispatch_ptr 0
		.amdhsa_user_sgpr_queue_ptr 0
		.amdhsa_user_sgpr_kernarg_segment_ptr 1
		.amdhsa_user_sgpr_dispatch_id 0
		.amdhsa_user_sgpr_flat_scratch_init 0
		.amdhsa_user_sgpr_kernarg_preload_length 0
		.amdhsa_user_sgpr_kernarg_preload_offset 0
		.amdhsa_user_sgpr_private_segment_size 0
		.amdhsa_uses_dynamic_stack 0
		.amdhsa_system_sgpr_private_segment_wavefront_offset 0
		.amdhsa_system_sgpr_workgroup_id_x 1
		.amdhsa_system_sgpr_workgroup_id_y 0
		.amdhsa_system_sgpr_workgroup_id_z 0
		.amdhsa_system_sgpr_workgroup_info 0
		.amdhsa_system_vgpr_workitem_id 0
		.amdhsa_next_free_vgpr 1
		.amdhsa_next_free_sgpr 0
		.amdhsa_accum_offset 4
		.amdhsa_reserve_vcc 0
		.amdhsa_reserve_flat_scratch 0
		.amdhsa_float_round_mode_32 0
		.amdhsa_float_round_mode_16_64 0
		.amdhsa_float_denorm_mode_32 3
		.amdhsa_float_denorm_mode_16_64 3
		.amdhsa_dx10_clamp 1
		.amdhsa_ieee_mode 1
		.amdhsa_fp16_overflow 0
		.amdhsa_tg_split 0
		.amdhsa_exception_fp_ieee_invalid_op 0
		.amdhsa_exception_fp_denorm_src 0
		.amdhsa_exception_fp_ieee_div_zero 0
		.amdhsa_exception_fp_ieee_overflow 0
		.amdhsa_exception_fp_ieee_underflow 0
		.amdhsa_exception_fp_ieee_inexact 0
		.amdhsa_exception_int_div_zero 0
	.end_amdhsa_kernel
	.section	.text._ZN7rocprim17ROCPRIM_400000_NS6detail17trampoline_kernelINS0_14default_configENS1_20scan_config_selectorIfEEZZNS1_9scan_implILNS1_25lookback_scan_determinismE0ELb0ELb0ES3_N6thrust23THRUST_200600_302600_NS6detail15normal_iteratorINS9_10device_ptrIfEEEESE_fNS9_4plusIvEEfEEDaPvRmT3_T4_T5_mT6_P12ihipStream_tbENKUlT_T0_E_clISt17integral_constantIbLb1EEST_IbLb0EEEEDaSP_SQ_EUlSP_E_NS1_11comp_targetILNS1_3genE10ELNS1_11target_archE1200ELNS1_3gpuE4ELNS1_3repE0EEENS1_30default_config_static_selectorELNS0_4arch9wavefront6targetE1EEEvT1_,"axG",@progbits,_ZN7rocprim17ROCPRIM_400000_NS6detail17trampoline_kernelINS0_14default_configENS1_20scan_config_selectorIfEEZZNS1_9scan_implILNS1_25lookback_scan_determinismE0ELb0ELb0ES3_N6thrust23THRUST_200600_302600_NS6detail15normal_iteratorINS9_10device_ptrIfEEEESE_fNS9_4plusIvEEfEEDaPvRmT3_T4_T5_mT6_P12ihipStream_tbENKUlT_T0_E_clISt17integral_constantIbLb1EEST_IbLb0EEEEDaSP_SQ_EUlSP_E_NS1_11comp_targetILNS1_3genE10ELNS1_11target_archE1200ELNS1_3gpuE4ELNS1_3repE0EEENS1_30default_config_static_selectorELNS0_4arch9wavefront6targetE1EEEvT1_,comdat
.Lfunc_end4328:
	.size	_ZN7rocprim17ROCPRIM_400000_NS6detail17trampoline_kernelINS0_14default_configENS1_20scan_config_selectorIfEEZZNS1_9scan_implILNS1_25lookback_scan_determinismE0ELb0ELb0ES3_N6thrust23THRUST_200600_302600_NS6detail15normal_iteratorINS9_10device_ptrIfEEEESE_fNS9_4plusIvEEfEEDaPvRmT3_T4_T5_mT6_P12ihipStream_tbENKUlT_T0_E_clISt17integral_constantIbLb1EEST_IbLb0EEEEDaSP_SQ_EUlSP_E_NS1_11comp_targetILNS1_3genE10ELNS1_11target_archE1200ELNS1_3gpuE4ELNS1_3repE0EEENS1_30default_config_static_selectorELNS0_4arch9wavefront6targetE1EEEvT1_, .Lfunc_end4328-_ZN7rocprim17ROCPRIM_400000_NS6detail17trampoline_kernelINS0_14default_configENS1_20scan_config_selectorIfEEZZNS1_9scan_implILNS1_25lookback_scan_determinismE0ELb0ELb0ES3_N6thrust23THRUST_200600_302600_NS6detail15normal_iteratorINS9_10device_ptrIfEEEESE_fNS9_4plusIvEEfEEDaPvRmT3_T4_T5_mT6_P12ihipStream_tbENKUlT_T0_E_clISt17integral_constantIbLb1EEST_IbLb0EEEEDaSP_SQ_EUlSP_E_NS1_11comp_targetILNS1_3genE10ELNS1_11target_archE1200ELNS1_3gpuE4ELNS1_3repE0EEENS1_30default_config_static_selectorELNS0_4arch9wavefront6targetE1EEEvT1_
                                        ; -- End function
	.section	.AMDGPU.csdata,"",@progbits
; Kernel info:
; codeLenInByte = 0
; NumSgprs: 4
; NumVgprs: 0
; NumAgprs: 0
; TotalNumVgprs: 0
; ScratchSize: 0
; MemoryBound: 0
; FloatMode: 240
; IeeeMode: 1
; LDSByteSize: 0 bytes/workgroup (compile time only)
; SGPRBlocks: 0
; VGPRBlocks: 0
; NumSGPRsForWavesPerEU: 4
; NumVGPRsForWavesPerEU: 1
; AccumOffset: 4
; Occupancy: 8
; WaveLimiterHint : 0
; COMPUTE_PGM_RSRC2:SCRATCH_EN: 0
; COMPUTE_PGM_RSRC2:USER_SGPR: 6
; COMPUTE_PGM_RSRC2:TRAP_HANDLER: 0
; COMPUTE_PGM_RSRC2:TGID_X_EN: 1
; COMPUTE_PGM_RSRC2:TGID_Y_EN: 0
; COMPUTE_PGM_RSRC2:TGID_Z_EN: 0
; COMPUTE_PGM_RSRC2:TIDIG_COMP_CNT: 0
; COMPUTE_PGM_RSRC3_GFX90A:ACCUM_OFFSET: 0
; COMPUTE_PGM_RSRC3_GFX90A:TG_SPLIT: 0
	.section	.text._ZN7rocprim17ROCPRIM_400000_NS6detail17trampoline_kernelINS0_14default_configENS1_20scan_config_selectorIfEEZZNS1_9scan_implILNS1_25lookback_scan_determinismE0ELb0ELb0ES3_N6thrust23THRUST_200600_302600_NS6detail15normal_iteratorINS9_10device_ptrIfEEEESE_fNS9_4plusIvEEfEEDaPvRmT3_T4_T5_mT6_P12ihipStream_tbENKUlT_T0_E_clISt17integral_constantIbLb1EEST_IbLb0EEEEDaSP_SQ_EUlSP_E_NS1_11comp_targetILNS1_3genE9ELNS1_11target_archE1100ELNS1_3gpuE3ELNS1_3repE0EEENS1_30default_config_static_selectorELNS0_4arch9wavefront6targetE1EEEvT1_,"axG",@progbits,_ZN7rocprim17ROCPRIM_400000_NS6detail17trampoline_kernelINS0_14default_configENS1_20scan_config_selectorIfEEZZNS1_9scan_implILNS1_25lookback_scan_determinismE0ELb0ELb0ES3_N6thrust23THRUST_200600_302600_NS6detail15normal_iteratorINS9_10device_ptrIfEEEESE_fNS9_4plusIvEEfEEDaPvRmT3_T4_T5_mT6_P12ihipStream_tbENKUlT_T0_E_clISt17integral_constantIbLb1EEST_IbLb0EEEEDaSP_SQ_EUlSP_E_NS1_11comp_targetILNS1_3genE9ELNS1_11target_archE1100ELNS1_3gpuE3ELNS1_3repE0EEENS1_30default_config_static_selectorELNS0_4arch9wavefront6targetE1EEEvT1_,comdat
	.protected	_ZN7rocprim17ROCPRIM_400000_NS6detail17trampoline_kernelINS0_14default_configENS1_20scan_config_selectorIfEEZZNS1_9scan_implILNS1_25lookback_scan_determinismE0ELb0ELb0ES3_N6thrust23THRUST_200600_302600_NS6detail15normal_iteratorINS9_10device_ptrIfEEEESE_fNS9_4plusIvEEfEEDaPvRmT3_T4_T5_mT6_P12ihipStream_tbENKUlT_T0_E_clISt17integral_constantIbLb1EEST_IbLb0EEEEDaSP_SQ_EUlSP_E_NS1_11comp_targetILNS1_3genE9ELNS1_11target_archE1100ELNS1_3gpuE3ELNS1_3repE0EEENS1_30default_config_static_selectorELNS0_4arch9wavefront6targetE1EEEvT1_ ; -- Begin function _ZN7rocprim17ROCPRIM_400000_NS6detail17trampoline_kernelINS0_14default_configENS1_20scan_config_selectorIfEEZZNS1_9scan_implILNS1_25lookback_scan_determinismE0ELb0ELb0ES3_N6thrust23THRUST_200600_302600_NS6detail15normal_iteratorINS9_10device_ptrIfEEEESE_fNS9_4plusIvEEfEEDaPvRmT3_T4_T5_mT6_P12ihipStream_tbENKUlT_T0_E_clISt17integral_constantIbLb1EEST_IbLb0EEEEDaSP_SQ_EUlSP_E_NS1_11comp_targetILNS1_3genE9ELNS1_11target_archE1100ELNS1_3gpuE3ELNS1_3repE0EEENS1_30default_config_static_selectorELNS0_4arch9wavefront6targetE1EEEvT1_
	.globl	_ZN7rocprim17ROCPRIM_400000_NS6detail17trampoline_kernelINS0_14default_configENS1_20scan_config_selectorIfEEZZNS1_9scan_implILNS1_25lookback_scan_determinismE0ELb0ELb0ES3_N6thrust23THRUST_200600_302600_NS6detail15normal_iteratorINS9_10device_ptrIfEEEESE_fNS9_4plusIvEEfEEDaPvRmT3_T4_T5_mT6_P12ihipStream_tbENKUlT_T0_E_clISt17integral_constantIbLb1EEST_IbLb0EEEEDaSP_SQ_EUlSP_E_NS1_11comp_targetILNS1_3genE9ELNS1_11target_archE1100ELNS1_3gpuE3ELNS1_3repE0EEENS1_30default_config_static_selectorELNS0_4arch9wavefront6targetE1EEEvT1_
	.p2align	8
	.type	_ZN7rocprim17ROCPRIM_400000_NS6detail17trampoline_kernelINS0_14default_configENS1_20scan_config_selectorIfEEZZNS1_9scan_implILNS1_25lookback_scan_determinismE0ELb0ELb0ES3_N6thrust23THRUST_200600_302600_NS6detail15normal_iteratorINS9_10device_ptrIfEEEESE_fNS9_4plusIvEEfEEDaPvRmT3_T4_T5_mT6_P12ihipStream_tbENKUlT_T0_E_clISt17integral_constantIbLb1EEST_IbLb0EEEEDaSP_SQ_EUlSP_E_NS1_11comp_targetILNS1_3genE9ELNS1_11target_archE1100ELNS1_3gpuE3ELNS1_3repE0EEENS1_30default_config_static_selectorELNS0_4arch9wavefront6targetE1EEEvT1_,@function
_ZN7rocprim17ROCPRIM_400000_NS6detail17trampoline_kernelINS0_14default_configENS1_20scan_config_selectorIfEEZZNS1_9scan_implILNS1_25lookback_scan_determinismE0ELb0ELb0ES3_N6thrust23THRUST_200600_302600_NS6detail15normal_iteratorINS9_10device_ptrIfEEEESE_fNS9_4plusIvEEfEEDaPvRmT3_T4_T5_mT6_P12ihipStream_tbENKUlT_T0_E_clISt17integral_constantIbLb1EEST_IbLb0EEEEDaSP_SQ_EUlSP_E_NS1_11comp_targetILNS1_3genE9ELNS1_11target_archE1100ELNS1_3gpuE3ELNS1_3repE0EEENS1_30default_config_static_selectorELNS0_4arch9wavefront6targetE1EEEvT1_: ; @_ZN7rocprim17ROCPRIM_400000_NS6detail17trampoline_kernelINS0_14default_configENS1_20scan_config_selectorIfEEZZNS1_9scan_implILNS1_25lookback_scan_determinismE0ELb0ELb0ES3_N6thrust23THRUST_200600_302600_NS6detail15normal_iteratorINS9_10device_ptrIfEEEESE_fNS9_4plusIvEEfEEDaPvRmT3_T4_T5_mT6_P12ihipStream_tbENKUlT_T0_E_clISt17integral_constantIbLb1EEST_IbLb0EEEEDaSP_SQ_EUlSP_E_NS1_11comp_targetILNS1_3genE9ELNS1_11target_archE1100ELNS1_3gpuE3ELNS1_3repE0EEENS1_30default_config_static_selectorELNS0_4arch9wavefront6targetE1EEEvT1_
; %bb.0:
	.section	.rodata,"a",@progbits
	.p2align	6, 0x0
	.amdhsa_kernel _ZN7rocprim17ROCPRIM_400000_NS6detail17trampoline_kernelINS0_14default_configENS1_20scan_config_selectorIfEEZZNS1_9scan_implILNS1_25lookback_scan_determinismE0ELb0ELb0ES3_N6thrust23THRUST_200600_302600_NS6detail15normal_iteratorINS9_10device_ptrIfEEEESE_fNS9_4plusIvEEfEEDaPvRmT3_T4_T5_mT6_P12ihipStream_tbENKUlT_T0_E_clISt17integral_constantIbLb1EEST_IbLb0EEEEDaSP_SQ_EUlSP_E_NS1_11comp_targetILNS1_3genE9ELNS1_11target_archE1100ELNS1_3gpuE3ELNS1_3repE0EEENS1_30default_config_static_selectorELNS0_4arch9wavefront6targetE1EEEvT1_
		.amdhsa_group_segment_fixed_size 0
		.amdhsa_private_segment_fixed_size 0
		.amdhsa_kernarg_size 96
		.amdhsa_user_sgpr_count 6
		.amdhsa_user_sgpr_private_segment_buffer 1
		.amdhsa_user_sgpr_dispatch_ptr 0
		.amdhsa_user_sgpr_queue_ptr 0
		.amdhsa_user_sgpr_kernarg_segment_ptr 1
		.amdhsa_user_sgpr_dispatch_id 0
		.amdhsa_user_sgpr_flat_scratch_init 0
		.amdhsa_user_sgpr_kernarg_preload_length 0
		.amdhsa_user_sgpr_kernarg_preload_offset 0
		.amdhsa_user_sgpr_private_segment_size 0
		.amdhsa_uses_dynamic_stack 0
		.amdhsa_system_sgpr_private_segment_wavefront_offset 0
		.amdhsa_system_sgpr_workgroup_id_x 1
		.amdhsa_system_sgpr_workgroup_id_y 0
		.amdhsa_system_sgpr_workgroup_id_z 0
		.amdhsa_system_sgpr_workgroup_info 0
		.amdhsa_system_vgpr_workitem_id 0
		.amdhsa_next_free_vgpr 1
		.amdhsa_next_free_sgpr 0
		.amdhsa_accum_offset 4
		.amdhsa_reserve_vcc 0
		.amdhsa_reserve_flat_scratch 0
		.amdhsa_float_round_mode_32 0
		.amdhsa_float_round_mode_16_64 0
		.amdhsa_float_denorm_mode_32 3
		.amdhsa_float_denorm_mode_16_64 3
		.amdhsa_dx10_clamp 1
		.amdhsa_ieee_mode 1
		.amdhsa_fp16_overflow 0
		.amdhsa_tg_split 0
		.amdhsa_exception_fp_ieee_invalid_op 0
		.amdhsa_exception_fp_denorm_src 0
		.amdhsa_exception_fp_ieee_div_zero 0
		.amdhsa_exception_fp_ieee_overflow 0
		.amdhsa_exception_fp_ieee_underflow 0
		.amdhsa_exception_fp_ieee_inexact 0
		.amdhsa_exception_int_div_zero 0
	.end_amdhsa_kernel
	.section	.text._ZN7rocprim17ROCPRIM_400000_NS6detail17trampoline_kernelINS0_14default_configENS1_20scan_config_selectorIfEEZZNS1_9scan_implILNS1_25lookback_scan_determinismE0ELb0ELb0ES3_N6thrust23THRUST_200600_302600_NS6detail15normal_iteratorINS9_10device_ptrIfEEEESE_fNS9_4plusIvEEfEEDaPvRmT3_T4_T5_mT6_P12ihipStream_tbENKUlT_T0_E_clISt17integral_constantIbLb1EEST_IbLb0EEEEDaSP_SQ_EUlSP_E_NS1_11comp_targetILNS1_3genE9ELNS1_11target_archE1100ELNS1_3gpuE3ELNS1_3repE0EEENS1_30default_config_static_selectorELNS0_4arch9wavefront6targetE1EEEvT1_,"axG",@progbits,_ZN7rocprim17ROCPRIM_400000_NS6detail17trampoline_kernelINS0_14default_configENS1_20scan_config_selectorIfEEZZNS1_9scan_implILNS1_25lookback_scan_determinismE0ELb0ELb0ES3_N6thrust23THRUST_200600_302600_NS6detail15normal_iteratorINS9_10device_ptrIfEEEESE_fNS9_4plusIvEEfEEDaPvRmT3_T4_T5_mT6_P12ihipStream_tbENKUlT_T0_E_clISt17integral_constantIbLb1EEST_IbLb0EEEEDaSP_SQ_EUlSP_E_NS1_11comp_targetILNS1_3genE9ELNS1_11target_archE1100ELNS1_3gpuE3ELNS1_3repE0EEENS1_30default_config_static_selectorELNS0_4arch9wavefront6targetE1EEEvT1_,comdat
.Lfunc_end4329:
	.size	_ZN7rocprim17ROCPRIM_400000_NS6detail17trampoline_kernelINS0_14default_configENS1_20scan_config_selectorIfEEZZNS1_9scan_implILNS1_25lookback_scan_determinismE0ELb0ELb0ES3_N6thrust23THRUST_200600_302600_NS6detail15normal_iteratorINS9_10device_ptrIfEEEESE_fNS9_4plusIvEEfEEDaPvRmT3_T4_T5_mT6_P12ihipStream_tbENKUlT_T0_E_clISt17integral_constantIbLb1EEST_IbLb0EEEEDaSP_SQ_EUlSP_E_NS1_11comp_targetILNS1_3genE9ELNS1_11target_archE1100ELNS1_3gpuE3ELNS1_3repE0EEENS1_30default_config_static_selectorELNS0_4arch9wavefront6targetE1EEEvT1_, .Lfunc_end4329-_ZN7rocprim17ROCPRIM_400000_NS6detail17trampoline_kernelINS0_14default_configENS1_20scan_config_selectorIfEEZZNS1_9scan_implILNS1_25lookback_scan_determinismE0ELb0ELb0ES3_N6thrust23THRUST_200600_302600_NS6detail15normal_iteratorINS9_10device_ptrIfEEEESE_fNS9_4plusIvEEfEEDaPvRmT3_T4_T5_mT6_P12ihipStream_tbENKUlT_T0_E_clISt17integral_constantIbLb1EEST_IbLb0EEEEDaSP_SQ_EUlSP_E_NS1_11comp_targetILNS1_3genE9ELNS1_11target_archE1100ELNS1_3gpuE3ELNS1_3repE0EEENS1_30default_config_static_selectorELNS0_4arch9wavefront6targetE1EEEvT1_
                                        ; -- End function
	.section	.AMDGPU.csdata,"",@progbits
; Kernel info:
; codeLenInByte = 0
; NumSgprs: 4
; NumVgprs: 0
; NumAgprs: 0
; TotalNumVgprs: 0
; ScratchSize: 0
; MemoryBound: 0
; FloatMode: 240
; IeeeMode: 1
; LDSByteSize: 0 bytes/workgroup (compile time only)
; SGPRBlocks: 0
; VGPRBlocks: 0
; NumSGPRsForWavesPerEU: 4
; NumVGPRsForWavesPerEU: 1
; AccumOffset: 4
; Occupancy: 8
; WaveLimiterHint : 0
; COMPUTE_PGM_RSRC2:SCRATCH_EN: 0
; COMPUTE_PGM_RSRC2:USER_SGPR: 6
; COMPUTE_PGM_RSRC2:TRAP_HANDLER: 0
; COMPUTE_PGM_RSRC2:TGID_X_EN: 1
; COMPUTE_PGM_RSRC2:TGID_Y_EN: 0
; COMPUTE_PGM_RSRC2:TGID_Z_EN: 0
; COMPUTE_PGM_RSRC2:TIDIG_COMP_CNT: 0
; COMPUTE_PGM_RSRC3_GFX90A:ACCUM_OFFSET: 0
; COMPUTE_PGM_RSRC3_GFX90A:TG_SPLIT: 0
	.section	.text._ZN7rocprim17ROCPRIM_400000_NS6detail17trampoline_kernelINS0_14default_configENS1_20scan_config_selectorIfEEZZNS1_9scan_implILNS1_25lookback_scan_determinismE0ELb0ELb0ES3_N6thrust23THRUST_200600_302600_NS6detail15normal_iteratorINS9_10device_ptrIfEEEESE_fNS9_4plusIvEEfEEDaPvRmT3_T4_T5_mT6_P12ihipStream_tbENKUlT_T0_E_clISt17integral_constantIbLb1EEST_IbLb0EEEEDaSP_SQ_EUlSP_E_NS1_11comp_targetILNS1_3genE8ELNS1_11target_archE1030ELNS1_3gpuE2ELNS1_3repE0EEENS1_30default_config_static_selectorELNS0_4arch9wavefront6targetE1EEEvT1_,"axG",@progbits,_ZN7rocprim17ROCPRIM_400000_NS6detail17trampoline_kernelINS0_14default_configENS1_20scan_config_selectorIfEEZZNS1_9scan_implILNS1_25lookback_scan_determinismE0ELb0ELb0ES3_N6thrust23THRUST_200600_302600_NS6detail15normal_iteratorINS9_10device_ptrIfEEEESE_fNS9_4plusIvEEfEEDaPvRmT3_T4_T5_mT6_P12ihipStream_tbENKUlT_T0_E_clISt17integral_constantIbLb1EEST_IbLb0EEEEDaSP_SQ_EUlSP_E_NS1_11comp_targetILNS1_3genE8ELNS1_11target_archE1030ELNS1_3gpuE2ELNS1_3repE0EEENS1_30default_config_static_selectorELNS0_4arch9wavefront6targetE1EEEvT1_,comdat
	.protected	_ZN7rocprim17ROCPRIM_400000_NS6detail17trampoline_kernelINS0_14default_configENS1_20scan_config_selectorIfEEZZNS1_9scan_implILNS1_25lookback_scan_determinismE0ELb0ELb0ES3_N6thrust23THRUST_200600_302600_NS6detail15normal_iteratorINS9_10device_ptrIfEEEESE_fNS9_4plusIvEEfEEDaPvRmT3_T4_T5_mT6_P12ihipStream_tbENKUlT_T0_E_clISt17integral_constantIbLb1EEST_IbLb0EEEEDaSP_SQ_EUlSP_E_NS1_11comp_targetILNS1_3genE8ELNS1_11target_archE1030ELNS1_3gpuE2ELNS1_3repE0EEENS1_30default_config_static_selectorELNS0_4arch9wavefront6targetE1EEEvT1_ ; -- Begin function _ZN7rocprim17ROCPRIM_400000_NS6detail17trampoline_kernelINS0_14default_configENS1_20scan_config_selectorIfEEZZNS1_9scan_implILNS1_25lookback_scan_determinismE0ELb0ELb0ES3_N6thrust23THRUST_200600_302600_NS6detail15normal_iteratorINS9_10device_ptrIfEEEESE_fNS9_4plusIvEEfEEDaPvRmT3_T4_T5_mT6_P12ihipStream_tbENKUlT_T0_E_clISt17integral_constantIbLb1EEST_IbLb0EEEEDaSP_SQ_EUlSP_E_NS1_11comp_targetILNS1_3genE8ELNS1_11target_archE1030ELNS1_3gpuE2ELNS1_3repE0EEENS1_30default_config_static_selectorELNS0_4arch9wavefront6targetE1EEEvT1_
	.globl	_ZN7rocprim17ROCPRIM_400000_NS6detail17trampoline_kernelINS0_14default_configENS1_20scan_config_selectorIfEEZZNS1_9scan_implILNS1_25lookback_scan_determinismE0ELb0ELb0ES3_N6thrust23THRUST_200600_302600_NS6detail15normal_iteratorINS9_10device_ptrIfEEEESE_fNS9_4plusIvEEfEEDaPvRmT3_T4_T5_mT6_P12ihipStream_tbENKUlT_T0_E_clISt17integral_constantIbLb1EEST_IbLb0EEEEDaSP_SQ_EUlSP_E_NS1_11comp_targetILNS1_3genE8ELNS1_11target_archE1030ELNS1_3gpuE2ELNS1_3repE0EEENS1_30default_config_static_selectorELNS0_4arch9wavefront6targetE1EEEvT1_
	.p2align	8
	.type	_ZN7rocprim17ROCPRIM_400000_NS6detail17trampoline_kernelINS0_14default_configENS1_20scan_config_selectorIfEEZZNS1_9scan_implILNS1_25lookback_scan_determinismE0ELb0ELb0ES3_N6thrust23THRUST_200600_302600_NS6detail15normal_iteratorINS9_10device_ptrIfEEEESE_fNS9_4plusIvEEfEEDaPvRmT3_T4_T5_mT6_P12ihipStream_tbENKUlT_T0_E_clISt17integral_constantIbLb1EEST_IbLb0EEEEDaSP_SQ_EUlSP_E_NS1_11comp_targetILNS1_3genE8ELNS1_11target_archE1030ELNS1_3gpuE2ELNS1_3repE0EEENS1_30default_config_static_selectorELNS0_4arch9wavefront6targetE1EEEvT1_,@function
_ZN7rocprim17ROCPRIM_400000_NS6detail17trampoline_kernelINS0_14default_configENS1_20scan_config_selectorIfEEZZNS1_9scan_implILNS1_25lookback_scan_determinismE0ELb0ELb0ES3_N6thrust23THRUST_200600_302600_NS6detail15normal_iteratorINS9_10device_ptrIfEEEESE_fNS9_4plusIvEEfEEDaPvRmT3_T4_T5_mT6_P12ihipStream_tbENKUlT_T0_E_clISt17integral_constantIbLb1EEST_IbLb0EEEEDaSP_SQ_EUlSP_E_NS1_11comp_targetILNS1_3genE8ELNS1_11target_archE1030ELNS1_3gpuE2ELNS1_3repE0EEENS1_30default_config_static_selectorELNS0_4arch9wavefront6targetE1EEEvT1_: ; @_ZN7rocprim17ROCPRIM_400000_NS6detail17trampoline_kernelINS0_14default_configENS1_20scan_config_selectorIfEEZZNS1_9scan_implILNS1_25lookback_scan_determinismE0ELb0ELb0ES3_N6thrust23THRUST_200600_302600_NS6detail15normal_iteratorINS9_10device_ptrIfEEEESE_fNS9_4plusIvEEfEEDaPvRmT3_T4_T5_mT6_P12ihipStream_tbENKUlT_T0_E_clISt17integral_constantIbLb1EEST_IbLb0EEEEDaSP_SQ_EUlSP_E_NS1_11comp_targetILNS1_3genE8ELNS1_11target_archE1030ELNS1_3gpuE2ELNS1_3repE0EEENS1_30default_config_static_selectorELNS0_4arch9wavefront6targetE1EEEvT1_
; %bb.0:
	.section	.rodata,"a",@progbits
	.p2align	6, 0x0
	.amdhsa_kernel _ZN7rocprim17ROCPRIM_400000_NS6detail17trampoline_kernelINS0_14default_configENS1_20scan_config_selectorIfEEZZNS1_9scan_implILNS1_25lookback_scan_determinismE0ELb0ELb0ES3_N6thrust23THRUST_200600_302600_NS6detail15normal_iteratorINS9_10device_ptrIfEEEESE_fNS9_4plusIvEEfEEDaPvRmT3_T4_T5_mT6_P12ihipStream_tbENKUlT_T0_E_clISt17integral_constantIbLb1EEST_IbLb0EEEEDaSP_SQ_EUlSP_E_NS1_11comp_targetILNS1_3genE8ELNS1_11target_archE1030ELNS1_3gpuE2ELNS1_3repE0EEENS1_30default_config_static_selectorELNS0_4arch9wavefront6targetE1EEEvT1_
		.amdhsa_group_segment_fixed_size 0
		.amdhsa_private_segment_fixed_size 0
		.amdhsa_kernarg_size 96
		.amdhsa_user_sgpr_count 6
		.amdhsa_user_sgpr_private_segment_buffer 1
		.amdhsa_user_sgpr_dispatch_ptr 0
		.amdhsa_user_sgpr_queue_ptr 0
		.amdhsa_user_sgpr_kernarg_segment_ptr 1
		.amdhsa_user_sgpr_dispatch_id 0
		.amdhsa_user_sgpr_flat_scratch_init 0
		.amdhsa_user_sgpr_kernarg_preload_length 0
		.amdhsa_user_sgpr_kernarg_preload_offset 0
		.amdhsa_user_sgpr_private_segment_size 0
		.amdhsa_uses_dynamic_stack 0
		.amdhsa_system_sgpr_private_segment_wavefront_offset 0
		.amdhsa_system_sgpr_workgroup_id_x 1
		.amdhsa_system_sgpr_workgroup_id_y 0
		.amdhsa_system_sgpr_workgroup_id_z 0
		.amdhsa_system_sgpr_workgroup_info 0
		.amdhsa_system_vgpr_workitem_id 0
		.amdhsa_next_free_vgpr 1
		.amdhsa_next_free_sgpr 0
		.amdhsa_accum_offset 4
		.amdhsa_reserve_vcc 0
		.amdhsa_reserve_flat_scratch 0
		.amdhsa_float_round_mode_32 0
		.amdhsa_float_round_mode_16_64 0
		.amdhsa_float_denorm_mode_32 3
		.amdhsa_float_denorm_mode_16_64 3
		.amdhsa_dx10_clamp 1
		.amdhsa_ieee_mode 1
		.amdhsa_fp16_overflow 0
		.amdhsa_tg_split 0
		.amdhsa_exception_fp_ieee_invalid_op 0
		.amdhsa_exception_fp_denorm_src 0
		.amdhsa_exception_fp_ieee_div_zero 0
		.amdhsa_exception_fp_ieee_overflow 0
		.amdhsa_exception_fp_ieee_underflow 0
		.amdhsa_exception_fp_ieee_inexact 0
		.amdhsa_exception_int_div_zero 0
	.end_amdhsa_kernel
	.section	.text._ZN7rocprim17ROCPRIM_400000_NS6detail17trampoline_kernelINS0_14default_configENS1_20scan_config_selectorIfEEZZNS1_9scan_implILNS1_25lookback_scan_determinismE0ELb0ELb0ES3_N6thrust23THRUST_200600_302600_NS6detail15normal_iteratorINS9_10device_ptrIfEEEESE_fNS9_4plusIvEEfEEDaPvRmT3_T4_T5_mT6_P12ihipStream_tbENKUlT_T0_E_clISt17integral_constantIbLb1EEST_IbLb0EEEEDaSP_SQ_EUlSP_E_NS1_11comp_targetILNS1_3genE8ELNS1_11target_archE1030ELNS1_3gpuE2ELNS1_3repE0EEENS1_30default_config_static_selectorELNS0_4arch9wavefront6targetE1EEEvT1_,"axG",@progbits,_ZN7rocprim17ROCPRIM_400000_NS6detail17trampoline_kernelINS0_14default_configENS1_20scan_config_selectorIfEEZZNS1_9scan_implILNS1_25lookback_scan_determinismE0ELb0ELb0ES3_N6thrust23THRUST_200600_302600_NS6detail15normal_iteratorINS9_10device_ptrIfEEEESE_fNS9_4plusIvEEfEEDaPvRmT3_T4_T5_mT6_P12ihipStream_tbENKUlT_T0_E_clISt17integral_constantIbLb1EEST_IbLb0EEEEDaSP_SQ_EUlSP_E_NS1_11comp_targetILNS1_3genE8ELNS1_11target_archE1030ELNS1_3gpuE2ELNS1_3repE0EEENS1_30default_config_static_selectorELNS0_4arch9wavefront6targetE1EEEvT1_,comdat
.Lfunc_end4330:
	.size	_ZN7rocprim17ROCPRIM_400000_NS6detail17trampoline_kernelINS0_14default_configENS1_20scan_config_selectorIfEEZZNS1_9scan_implILNS1_25lookback_scan_determinismE0ELb0ELb0ES3_N6thrust23THRUST_200600_302600_NS6detail15normal_iteratorINS9_10device_ptrIfEEEESE_fNS9_4plusIvEEfEEDaPvRmT3_T4_T5_mT6_P12ihipStream_tbENKUlT_T0_E_clISt17integral_constantIbLb1EEST_IbLb0EEEEDaSP_SQ_EUlSP_E_NS1_11comp_targetILNS1_3genE8ELNS1_11target_archE1030ELNS1_3gpuE2ELNS1_3repE0EEENS1_30default_config_static_selectorELNS0_4arch9wavefront6targetE1EEEvT1_, .Lfunc_end4330-_ZN7rocprim17ROCPRIM_400000_NS6detail17trampoline_kernelINS0_14default_configENS1_20scan_config_selectorIfEEZZNS1_9scan_implILNS1_25lookback_scan_determinismE0ELb0ELb0ES3_N6thrust23THRUST_200600_302600_NS6detail15normal_iteratorINS9_10device_ptrIfEEEESE_fNS9_4plusIvEEfEEDaPvRmT3_T4_T5_mT6_P12ihipStream_tbENKUlT_T0_E_clISt17integral_constantIbLb1EEST_IbLb0EEEEDaSP_SQ_EUlSP_E_NS1_11comp_targetILNS1_3genE8ELNS1_11target_archE1030ELNS1_3gpuE2ELNS1_3repE0EEENS1_30default_config_static_selectorELNS0_4arch9wavefront6targetE1EEEvT1_
                                        ; -- End function
	.section	.AMDGPU.csdata,"",@progbits
; Kernel info:
; codeLenInByte = 0
; NumSgprs: 4
; NumVgprs: 0
; NumAgprs: 0
; TotalNumVgprs: 0
; ScratchSize: 0
; MemoryBound: 0
; FloatMode: 240
; IeeeMode: 1
; LDSByteSize: 0 bytes/workgroup (compile time only)
; SGPRBlocks: 0
; VGPRBlocks: 0
; NumSGPRsForWavesPerEU: 4
; NumVGPRsForWavesPerEU: 1
; AccumOffset: 4
; Occupancy: 8
; WaveLimiterHint : 0
; COMPUTE_PGM_RSRC2:SCRATCH_EN: 0
; COMPUTE_PGM_RSRC2:USER_SGPR: 6
; COMPUTE_PGM_RSRC2:TRAP_HANDLER: 0
; COMPUTE_PGM_RSRC2:TGID_X_EN: 1
; COMPUTE_PGM_RSRC2:TGID_Y_EN: 0
; COMPUTE_PGM_RSRC2:TGID_Z_EN: 0
; COMPUTE_PGM_RSRC2:TIDIG_COMP_CNT: 0
; COMPUTE_PGM_RSRC3_GFX90A:ACCUM_OFFSET: 0
; COMPUTE_PGM_RSRC3_GFX90A:TG_SPLIT: 0
	.section	.text._ZN7rocprim17ROCPRIM_400000_NS6detail17trampoline_kernelINS0_14default_configENS1_20scan_config_selectorIfEEZZNS1_9scan_implILNS1_25lookback_scan_determinismE0ELb0ELb0ES3_N6thrust23THRUST_200600_302600_NS6detail15normal_iteratorINS9_10device_ptrIfEEEESE_fNS9_4plusIvEEfEEDaPvRmT3_T4_T5_mT6_P12ihipStream_tbENKUlT_T0_E_clISt17integral_constantIbLb1EEST_IbLb0EEEEDaSP_SQ_EUlSP_E0_NS1_11comp_targetILNS1_3genE0ELNS1_11target_archE4294967295ELNS1_3gpuE0ELNS1_3repE0EEENS1_30default_config_static_selectorELNS0_4arch9wavefront6targetE1EEEvT1_,"axG",@progbits,_ZN7rocprim17ROCPRIM_400000_NS6detail17trampoline_kernelINS0_14default_configENS1_20scan_config_selectorIfEEZZNS1_9scan_implILNS1_25lookback_scan_determinismE0ELb0ELb0ES3_N6thrust23THRUST_200600_302600_NS6detail15normal_iteratorINS9_10device_ptrIfEEEESE_fNS9_4plusIvEEfEEDaPvRmT3_T4_T5_mT6_P12ihipStream_tbENKUlT_T0_E_clISt17integral_constantIbLb1EEST_IbLb0EEEEDaSP_SQ_EUlSP_E0_NS1_11comp_targetILNS1_3genE0ELNS1_11target_archE4294967295ELNS1_3gpuE0ELNS1_3repE0EEENS1_30default_config_static_selectorELNS0_4arch9wavefront6targetE1EEEvT1_,comdat
	.protected	_ZN7rocprim17ROCPRIM_400000_NS6detail17trampoline_kernelINS0_14default_configENS1_20scan_config_selectorIfEEZZNS1_9scan_implILNS1_25lookback_scan_determinismE0ELb0ELb0ES3_N6thrust23THRUST_200600_302600_NS6detail15normal_iteratorINS9_10device_ptrIfEEEESE_fNS9_4plusIvEEfEEDaPvRmT3_T4_T5_mT6_P12ihipStream_tbENKUlT_T0_E_clISt17integral_constantIbLb1EEST_IbLb0EEEEDaSP_SQ_EUlSP_E0_NS1_11comp_targetILNS1_3genE0ELNS1_11target_archE4294967295ELNS1_3gpuE0ELNS1_3repE0EEENS1_30default_config_static_selectorELNS0_4arch9wavefront6targetE1EEEvT1_ ; -- Begin function _ZN7rocprim17ROCPRIM_400000_NS6detail17trampoline_kernelINS0_14default_configENS1_20scan_config_selectorIfEEZZNS1_9scan_implILNS1_25lookback_scan_determinismE0ELb0ELb0ES3_N6thrust23THRUST_200600_302600_NS6detail15normal_iteratorINS9_10device_ptrIfEEEESE_fNS9_4plusIvEEfEEDaPvRmT3_T4_T5_mT6_P12ihipStream_tbENKUlT_T0_E_clISt17integral_constantIbLb1EEST_IbLb0EEEEDaSP_SQ_EUlSP_E0_NS1_11comp_targetILNS1_3genE0ELNS1_11target_archE4294967295ELNS1_3gpuE0ELNS1_3repE0EEENS1_30default_config_static_selectorELNS0_4arch9wavefront6targetE1EEEvT1_
	.globl	_ZN7rocprim17ROCPRIM_400000_NS6detail17trampoline_kernelINS0_14default_configENS1_20scan_config_selectorIfEEZZNS1_9scan_implILNS1_25lookback_scan_determinismE0ELb0ELb0ES3_N6thrust23THRUST_200600_302600_NS6detail15normal_iteratorINS9_10device_ptrIfEEEESE_fNS9_4plusIvEEfEEDaPvRmT3_T4_T5_mT6_P12ihipStream_tbENKUlT_T0_E_clISt17integral_constantIbLb1EEST_IbLb0EEEEDaSP_SQ_EUlSP_E0_NS1_11comp_targetILNS1_3genE0ELNS1_11target_archE4294967295ELNS1_3gpuE0ELNS1_3repE0EEENS1_30default_config_static_selectorELNS0_4arch9wavefront6targetE1EEEvT1_
	.p2align	8
	.type	_ZN7rocprim17ROCPRIM_400000_NS6detail17trampoline_kernelINS0_14default_configENS1_20scan_config_selectorIfEEZZNS1_9scan_implILNS1_25lookback_scan_determinismE0ELb0ELb0ES3_N6thrust23THRUST_200600_302600_NS6detail15normal_iteratorINS9_10device_ptrIfEEEESE_fNS9_4plusIvEEfEEDaPvRmT3_T4_T5_mT6_P12ihipStream_tbENKUlT_T0_E_clISt17integral_constantIbLb1EEST_IbLb0EEEEDaSP_SQ_EUlSP_E0_NS1_11comp_targetILNS1_3genE0ELNS1_11target_archE4294967295ELNS1_3gpuE0ELNS1_3repE0EEENS1_30default_config_static_selectorELNS0_4arch9wavefront6targetE1EEEvT1_,@function
_ZN7rocprim17ROCPRIM_400000_NS6detail17trampoline_kernelINS0_14default_configENS1_20scan_config_selectorIfEEZZNS1_9scan_implILNS1_25lookback_scan_determinismE0ELb0ELb0ES3_N6thrust23THRUST_200600_302600_NS6detail15normal_iteratorINS9_10device_ptrIfEEEESE_fNS9_4plusIvEEfEEDaPvRmT3_T4_T5_mT6_P12ihipStream_tbENKUlT_T0_E_clISt17integral_constantIbLb1EEST_IbLb0EEEEDaSP_SQ_EUlSP_E0_NS1_11comp_targetILNS1_3genE0ELNS1_11target_archE4294967295ELNS1_3gpuE0ELNS1_3repE0EEENS1_30default_config_static_selectorELNS0_4arch9wavefront6targetE1EEEvT1_: ; @_ZN7rocprim17ROCPRIM_400000_NS6detail17trampoline_kernelINS0_14default_configENS1_20scan_config_selectorIfEEZZNS1_9scan_implILNS1_25lookback_scan_determinismE0ELb0ELb0ES3_N6thrust23THRUST_200600_302600_NS6detail15normal_iteratorINS9_10device_ptrIfEEEESE_fNS9_4plusIvEEfEEDaPvRmT3_T4_T5_mT6_P12ihipStream_tbENKUlT_T0_E_clISt17integral_constantIbLb1EEST_IbLb0EEEEDaSP_SQ_EUlSP_E0_NS1_11comp_targetILNS1_3genE0ELNS1_11target_archE4294967295ELNS1_3gpuE0ELNS1_3repE0EEENS1_30default_config_static_selectorELNS0_4arch9wavefront6targetE1EEEvT1_
; %bb.0:
	.section	.rodata,"a",@progbits
	.p2align	6, 0x0
	.amdhsa_kernel _ZN7rocprim17ROCPRIM_400000_NS6detail17trampoline_kernelINS0_14default_configENS1_20scan_config_selectorIfEEZZNS1_9scan_implILNS1_25lookback_scan_determinismE0ELb0ELb0ES3_N6thrust23THRUST_200600_302600_NS6detail15normal_iteratorINS9_10device_ptrIfEEEESE_fNS9_4plusIvEEfEEDaPvRmT3_T4_T5_mT6_P12ihipStream_tbENKUlT_T0_E_clISt17integral_constantIbLb1EEST_IbLb0EEEEDaSP_SQ_EUlSP_E0_NS1_11comp_targetILNS1_3genE0ELNS1_11target_archE4294967295ELNS1_3gpuE0ELNS1_3repE0EEENS1_30default_config_static_selectorELNS0_4arch9wavefront6targetE1EEEvT1_
		.amdhsa_group_segment_fixed_size 0
		.amdhsa_private_segment_fixed_size 0
		.amdhsa_kernarg_size 32
		.amdhsa_user_sgpr_count 6
		.amdhsa_user_sgpr_private_segment_buffer 1
		.amdhsa_user_sgpr_dispatch_ptr 0
		.amdhsa_user_sgpr_queue_ptr 0
		.amdhsa_user_sgpr_kernarg_segment_ptr 1
		.amdhsa_user_sgpr_dispatch_id 0
		.amdhsa_user_sgpr_flat_scratch_init 0
		.amdhsa_user_sgpr_kernarg_preload_length 0
		.amdhsa_user_sgpr_kernarg_preload_offset 0
		.amdhsa_user_sgpr_private_segment_size 0
		.amdhsa_uses_dynamic_stack 0
		.amdhsa_system_sgpr_private_segment_wavefront_offset 0
		.amdhsa_system_sgpr_workgroup_id_x 1
		.amdhsa_system_sgpr_workgroup_id_y 0
		.amdhsa_system_sgpr_workgroup_id_z 0
		.amdhsa_system_sgpr_workgroup_info 0
		.amdhsa_system_vgpr_workitem_id 0
		.amdhsa_next_free_vgpr 1
		.amdhsa_next_free_sgpr 0
		.amdhsa_accum_offset 4
		.amdhsa_reserve_vcc 0
		.amdhsa_reserve_flat_scratch 0
		.amdhsa_float_round_mode_32 0
		.amdhsa_float_round_mode_16_64 0
		.amdhsa_float_denorm_mode_32 3
		.amdhsa_float_denorm_mode_16_64 3
		.amdhsa_dx10_clamp 1
		.amdhsa_ieee_mode 1
		.amdhsa_fp16_overflow 0
		.amdhsa_tg_split 0
		.amdhsa_exception_fp_ieee_invalid_op 0
		.amdhsa_exception_fp_denorm_src 0
		.amdhsa_exception_fp_ieee_div_zero 0
		.amdhsa_exception_fp_ieee_overflow 0
		.amdhsa_exception_fp_ieee_underflow 0
		.amdhsa_exception_fp_ieee_inexact 0
		.amdhsa_exception_int_div_zero 0
	.end_amdhsa_kernel
	.section	.text._ZN7rocprim17ROCPRIM_400000_NS6detail17trampoline_kernelINS0_14default_configENS1_20scan_config_selectorIfEEZZNS1_9scan_implILNS1_25lookback_scan_determinismE0ELb0ELb0ES3_N6thrust23THRUST_200600_302600_NS6detail15normal_iteratorINS9_10device_ptrIfEEEESE_fNS9_4plusIvEEfEEDaPvRmT3_T4_T5_mT6_P12ihipStream_tbENKUlT_T0_E_clISt17integral_constantIbLb1EEST_IbLb0EEEEDaSP_SQ_EUlSP_E0_NS1_11comp_targetILNS1_3genE0ELNS1_11target_archE4294967295ELNS1_3gpuE0ELNS1_3repE0EEENS1_30default_config_static_selectorELNS0_4arch9wavefront6targetE1EEEvT1_,"axG",@progbits,_ZN7rocprim17ROCPRIM_400000_NS6detail17trampoline_kernelINS0_14default_configENS1_20scan_config_selectorIfEEZZNS1_9scan_implILNS1_25lookback_scan_determinismE0ELb0ELb0ES3_N6thrust23THRUST_200600_302600_NS6detail15normal_iteratorINS9_10device_ptrIfEEEESE_fNS9_4plusIvEEfEEDaPvRmT3_T4_T5_mT6_P12ihipStream_tbENKUlT_T0_E_clISt17integral_constantIbLb1EEST_IbLb0EEEEDaSP_SQ_EUlSP_E0_NS1_11comp_targetILNS1_3genE0ELNS1_11target_archE4294967295ELNS1_3gpuE0ELNS1_3repE0EEENS1_30default_config_static_selectorELNS0_4arch9wavefront6targetE1EEEvT1_,comdat
.Lfunc_end4331:
	.size	_ZN7rocprim17ROCPRIM_400000_NS6detail17trampoline_kernelINS0_14default_configENS1_20scan_config_selectorIfEEZZNS1_9scan_implILNS1_25lookback_scan_determinismE0ELb0ELb0ES3_N6thrust23THRUST_200600_302600_NS6detail15normal_iteratorINS9_10device_ptrIfEEEESE_fNS9_4plusIvEEfEEDaPvRmT3_T4_T5_mT6_P12ihipStream_tbENKUlT_T0_E_clISt17integral_constantIbLb1EEST_IbLb0EEEEDaSP_SQ_EUlSP_E0_NS1_11comp_targetILNS1_3genE0ELNS1_11target_archE4294967295ELNS1_3gpuE0ELNS1_3repE0EEENS1_30default_config_static_selectorELNS0_4arch9wavefront6targetE1EEEvT1_, .Lfunc_end4331-_ZN7rocprim17ROCPRIM_400000_NS6detail17trampoline_kernelINS0_14default_configENS1_20scan_config_selectorIfEEZZNS1_9scan_implILNS1_25lookback_scan_determinismE0ELb0ELb0ES3_N6thrust23THRUST_200600_302600_NS6detail15normal_iteratorINS9_10device_ptrIfEEEESE_fNS9_4plusIvEEfEEDaPvRmT3_T4_T5_mT6_P12ihipStream_tbENKUlT_T0_E_clISt17integral_constantIbLb1EEST_IbLb0EEEEDaSP_SQ_EUlSP_E0_NS1_11comp_targetILNS1_3genE0ELNS1_11target_archE4294967295ELNS1_3gpuE0ELNS1_3repE0EEENS1_30default_config_static_selectorELNS0_4arch9wavefront6targetE1EEEvT1_
                                        ; -- End function
	.section	.AMDGPU.csdata,"",@progbits
; Kernel info:
; codeLenInByte = 0
; NumSgprs: 4
; NumVgprs: 0
; NumAgprs: 0
; TotalNumVgprs: 0
; ScratchSize: 0
; MemoryBound: 0
; FloatMode: 240
; IeeeMode: 1
; LDSByteSize: 0 bytes/workgroup (compile time only)
; SGPRBlocks: 0
; VGPRBlocks: 0
; NumSGPRsForWavesPerEU: 4
; NumVGPRsForWavesPerEU: 1
; AccumOffset: 4
; Occupancy: 8
; WaveLimiterHint : 0
; COMPUTE_PGM_RSRC2:SCRATCH_EN: 0
; COMPUTE_PGM_RSRC2:USER_SGPR: 6
; COMPUTE_PGM_RSRC2:TRAP_HANDLER: 0
; COMPUTE_PGM_RSRC2:TGID_X_EN: 1
; COMPUTE_PGM_RSRC2:TGID_Y_EN: 0
; COMPUTE_PGM_RSRC2:TGID_Z_EN: 0
; COMPUTE_PGM_RSRC2:TIDIG_COMP_CNT: 0
; COMPUTE_PGM_RSRC3_GFX90A:ACCUM_OFFSET: 0
; COMPUTE_PGM_RSRC3_GFX90A:TG_SPLIT: 0
	.section	.text._ZN7rocprim17ROCPRIM_400000_NS6detail17trampoline_kernelINS0_14default_configENS1_20scan_config_selectorIfEEZZNS1_9scan_implILNS1_25lookback_scan_determinismE0ELb0ELb0ES3_N6thrust23THRUST_200600_302600_NS6detail15normal_iteratorINS9_10device_ptrIfEEEESE_fNS9_4plusIvEEfEEDaPvRmT3_T4_T5_mT6_P12ihipStream_tbENKUlT_T0_E_clISt17integral_constantIbLb1EEST_IbLb0EEEEDaSP_SQ_EUlSP_E0_NS1_11comp_targetILNS1_3genE5ELNS1_11target_archE942ELNS1_3gpuE9ELNS1_3repE0EEENS1_30default_config_static_selectorELNS0_4arch9wavefront6targetE1EEEvT1_,"axG",@progbits,_ZN7rocprim17ROCPRIM_400000_NS6detail17trampoline_kernelINS0_14default_configENS1_20scan_config_selectorIfEEZZNS1_9scan_implILNS1_25lookback_scan_determinismE0ELb0ELb0ES3_N6thrust23THRUST_200600_302600_NS6detail15normal_iteratorINS9_10device_ptrIfEEEESE_fNS9_4plusIvEEfEEDaPvRmT3_T4_T5_mT6_P12ihipStream_tbENKUlT_T0_E_clISt17integral_constantIbLb1EEST_IbLb0EEEEDaSP_SQ_EUlSP_E0_NS1_11comp_targetILNS1_3genE5ELNS1_11target_archE942ELNS1_3gpuE9ELNS1_3repE0EEENS1_30default_config_static_selectorELNS0_4arch9wavefront6targetE1EEEvT1_,comdat
	.protected	_ZN7rocprim17ROCPRIM_400000_NS6detail17trampoline_kernelINS0_14default_configENS1_20scan_config_selectorIfEEZZNS1_9scan_implILNS1_25lookback_scan_determinismE0ELb0ELb0ES3_N6thrust23THRUST_200600_302600_NS6detail15normal_iteratorINS9_10device_ptrIfEEEESE_fNS9_4plusIvEEfEEDaPvRmT3_T4_T5_mT6_P12ihipStream_tbENKUlT_T0_E_clISt17integral_constantIbLb1EEST_IbLb0EEEEDaSP_SQ_EUlSP_E0_NS1_11comp_targetILNS1_3genE5ELNS1_11target_archE942ELNS1_3gpuE9ELNS1_3repE0EEENS1_30default_config_static_selectorELNS0_4arch9wavefront6targetE1EEEvT1_ ; -- Begin function _ZN7rocprim17ROCPRIM_400000_NS6detail17trampoline_kernelINS0_14default_configENS1_20scan_config_selectorIfEEZZNS1_9scan_implILNS1_25lookback_scan_determinismE0ELb0ELb0ES3_N6thrust23THRUST_200600_302600_NS6detail15normal_iteratorINS9_10device_ptrIfEEEESE_fNS9_4plusIvEEfEEDaPvRmT3_T4_T5_mT6_P12ihipStream_tbENKUlT_T0_E_clISt17integral_constantIbLb1EEST_IbLb0EEEEDaSP_SQ_EUlSP_E0_NS1_11comp_targetILNS1_3genE5ELNS1_11target_archE942ELNS1_3gpuE9ELNS1_3repE0EEENS1_30default_config_static_selectorELNS0_4arch9wavefront6targetE1EEEvT1_
	.globl	_ZN7rocprim17ROCPRIM_400000_NS6detail17trampoline_kernelINS0_14default_configENS1_20scan_config_selectorIfEEZZNS1_9scan_implILNS1_25lookback_scan_determinismE0ELb0ELb0ES3_N6thrust23THRUST_200600_302600_NS6detail15normal_iteratorINS9_10device_ptrIfEEEESE_fNS9_4plusIvEEfEEDaPvRmT3_T4_T5_mT6_P12ihipStream_tbENKUlT_T0_E_clISt17integral_constantIbLb1EEST_IbLb0EEEEDaSP_SQ_EUlSP_E0_NS1_11comp_targetILNS1_3genE5ELNS1_11target_archE942ELNS1_3gpuE9ELNS1_3repE0EEENS1_30default_config_static_selectorELNS0_4arch9wavefront6targetE1EEEvT1_
	.p2align	8
	.type	_ZN7rocprim17ROCPRIM_400000_NS6detail17trampoline_kernelINS0_14default_configENS1_20scan_config_selectorIfEEZZNS1_9scan_implILNS1_25lookback_scan_determinismE0ELb0ELb0ES3_N6thrust23THRUST_200600_302600_NS6detail15normal_iteratorINS9_10device_ptrIfEEEESE_fNS9_4plusIvEEfEEDaPvRmT3_T4_T5_mT6_P12ihipStream_tbENKUlT_T0_E_clISt17integral_constantIbLb1EEST_IbLb0EEEEDaSP_SQ_EUlSP_E0_NS1_11comp_targetILNS1_3genE5ELNS1_11target_archE942ELNS1_3gpuE9ELNS1_3repE0EEENS1_30default_config_static_selectorELNS0_4arch9wavefront6targetE1EEEvT1_,@function
_ZN7rocprim17ROCPRIM_400000_NS6detail17trampoline_kernelINS0_14default_configENS1_20scan_config_selectorIfEEZZNS1_9scan_implILNS1_25lookback_scan_determinismE0ELb0ELb0ES3_N6thrust23THRUST_200600_302600_NS6detail15normal_iteratorINS9_10device_ptrIfEEEESE_fNS9_4plusIvEEfEEDaPvRmT3_T4_T5_mT6_P12ihipStream_tbENKUlT_T0_E_clISt17integral_constantIbLb1EEST_IbLb0EEEEDaSP_SQ_EUlSP_E0_NS1_11comp_targetILNS1_3genE5ELNS1_11target_archE942ELNS1_3gpuE9ELNS1_3repE0EEENS1_30default_config_static_selectorELNS0_4arch9wavefront6targetE1EEEvT1_: ; @_ZN7rocprim17ROCPRIM_400000_NS6detail17trampoline_kernelINS0_14default_configENS1_20scan_config_selectorIfEEZZNS1_9scan_implILNS1_25lookback_scan_determinismE0ELb0ELb0ES3_N6thrust23THRUST_200600_302600_NS6detail15normal_iteratorINS9_10device_ptrIfEEEESE_fNS9_4plusIvEEfEEDaPvRmT3_T4_T5_mT6_P12ihipStream_tbENKUlT_T0_E_clISt17integral_constantIbLb1EEST_IbLb0EEEEDaSP_SQ_EUlSP_E0_NS1_11comp_targetILNS1_3genE5ELNS1_11target_archE942ELNS1_3gpuE9ELNS1_3repE0EEENS1_30default_config_static_selectorELNS0_4arch9wavefront6targetE1EEEvT1_
; %bb.0:
	.section	.rodata,"a",@progbits
	.p2align	6, 0x0
	.amdhsa_kernel _ZN7rocprim17ROCPRIM_400000_NS6detail17trampoline_kernelINS0_14default_configENS1_20scan_config_selectorIfEEZZNS1_9scan_implILNS1_25lookback_scan_determinismE0ELb0ELb0ES3_N6thrust23THRUST_200600_302600_NS6detail15normal_iteratorINS9_10device_ptrIfEEEESE_fNS9_4plusIvEEfEEDaPvRmT3_T4_T5_mT6_P12ihipStream_tbENKUlT_T0_E_clISt17integral_constantIbLb1EEST_IbLb0EEEEDaSP_SQ_EUlSP_E0_NS1_11comp_targetILNS1_3genE5ELNS1_11target_archE942ELNS1_3gpuE9ELNS1_3repE0EEENS1_30default_config_static_selectorELNS0_4arch9wavefront6targetE1EEEvT1_
		.amdhsa_group_segment_fixed_size 0
		.amdhsa_private_segment_fixed_size 0
		.amdhsa_kernarg_size 32
		.amdhsa_user_sgpr_count 6
		.amdhsa_user_sgpr_private_segment_buffer 1
		.amdhsa_user_sgpr_dispatch_ptr 0
		.amdhsa_user_sgpr_queue_ptr 0
		.amdhsa_user_sgpr_kernarg_segment_ptr 1
		.amdhsa_user_sgpr_dispatch_id 0
		.amdhsa_user_sgpr_flat_scratch_init 0
		.amdhsa_user_sgpr_kernarg_preload_length 0
		.amdhsa_user_sgpr_kernarg_preload_offset 0
		.amdhsa_user_sgpr_private_segment_size 0
		.amdhsa_uses_dynamic_stack 0
		.amdhsa_system_sgpr_private_segment_wavefront_offset 0
		.amdhsa_system_sgpr_workgroup_id_x 1
		.amdhsa_system_sgpr_workgroup_id_y 0
		.amdhsa_system_sgpr_workgroup_id_z 0
		.amdhsa_system_sgpr_workgroup_info 0
		.amdhsa_system_vgpr_workitem_id 0
		.amdhsa_next_free_vgpr 1
		.amdhsa_next_free_sgpr 0
		.amdhsa_accum_offset 4
		.amdhsa_reserve_vcc 0
		.amdhsa_reserve_flat_scratch 0
		.amdhsa_float_round_mode_32 0
		.amdhsa_float_round_mode_16_64 0
		.amdhsa_float_denorm_mode_32 3
		.amdhsa_float_denorm_mode_16_64 3
		.amdhsa_dx10_clamp 1
		.amdhsa_ieee_mode 1
		.amdhsa_fp16_overflow 0
		.amdhsa_tg_split 0
		.amdhsa_exception_fp_ieee_invalid_op 0
		.amdhsa_exception_fp_denorm_src 0
		.amdhsa_exception_fp_ieee_div_zero 0
		.amdhsa_exception_fp_ieee_overflow 0
		.amdhsa_exception_fp_ieee_underflow 0
		.amdhsa_exception_fp_ieee_inexact 0
		.amdhsa_exception_int_div_zero 0
	.end_amdhsa_kernel
	.section	.text._ZN7rocprim17ROCPRIM_400000_NS6detail17trampoline_kernelINS0_14default_configENS1_20scan_config_selectorIfEEZZNS1_9scan_implILNS1_25lookback_scan_determinismE0ELb0ELb0ES3_N6thrust23THRUST_200600_302600_NS6detail15normal_iteratorINS9_10device_ptrIfEEEESE_fNS9_4plusIvEEfEEDaPvRmT3_T4_T5_mT6_P12ihipStream_tbENKUlT_T0_E_clISt17integral_constantIbLb1EEST_IbLb0EEEEDaSP_SQ_EUlSP_E0_NS1_11comp_targetILNS1_3genE5ELNS1_11target_archE942ELNS1_3gpuE9ELNS1_3repE0EEENS1_30default_config_static_selectorELNS0_4arch9wavefront6targetE1EEEvT1_,"axG",@progbits,_ZN7rocprim17ROCPRIM_400000_NS6detail17trampoline_kernelINS0_14default_configENS1_20scan_config_selectorIfEEZZNS1_9scan_implILNS1_25lookback_scan_determinismE0ELb0ELb0ES3_N6thrust23THRUST_200600_302600_NS6detail15normal_iteratorINS9_10device_ptrIfEEEESE_fNS9_4plusIvEEfEEDaPvRmT3_T4_T5_mT6_P12ihipStream_tbENKUlT_T0_E_clISt17integral_constantIbLb1EEST_IbLb0EEEEDaSP_SQ_EUlSP_E0_NS1_11comp_targetILNS1_3genE5ELNS1_11target_archE942ELNS1_3gpuE9ELNS1_3repE0EEENS1_30default_config_static_selectorELNS0_4arch9wavefront6targetE1EEEvT1_,comdat
.Lfunc_end4332:
	.size	_ZN7rocprim17ROCPRIM_400000_NS6detail17trampoline_kernelINS0_14default_configENS1_20scan_config_selectorIfEEZZNS1_9scan_implILNS1_25lookback_scan_determinismE0ELb0ELb0ES3_N6thrust23THRUST_200600_302600_NS6detail15normal_iteratorINS9_10device_ptrIfEEEESE_fNS9_4plusIvEEfEEDaPvRmT3_T4_T5_mT6_P12ihipStream_tbENKUlT_T0_E_clISt17integral_constantIbLb1EEST_IbLb0EEEEDaSP_SQ_EUlSP_E0_NS1_11comp_targetILNS1_3genE5ELNS1_11target_archE942ELNS1_3gpuE9ELNS1_3repE0EEENS1_30default_config_static_selectorELNS0_4arch9wavefront6targetE1EEEvT1_, .Lfunc_end4332-_ZN7rocprim17ROCPRIM_400000_NS6detail17trampoline_kernelINS0_14default_configENS1_20scan_config_selectorIfEEZZNS1_9scan_implILNS1_25lookback_scan_determinismE0ELb0ELb0ES3_N6thrust23THRUST_200600_302600_NS6detail15normal_iteratorINS9_10device_ptrIfEEEESE_fNS9_4plusIvEEfEEDaPvRmT3_T4_T5_mT6_P12ihipStream_tbENKUlT_T0_E_clISt17integral_constantIbLb1EEST_IbLb0EEEEDaSP_SQ_EUlSP_E0_NS1_11comp_targetILNS1_3genE5ELNS1_11target_archE942ELNS1_3gpuE9ELNS1_3repE0EEENS1_30default_config_static_selectorELNS0_4arch9wavefront6targetE1EEEvT1_
                                        ; -- End function
	.section	.AMDGPU.csdata,"",@progbits
; Kernel info:
; codeLenInByte = 0
; NumSgprs: 4
; NumVgprs: 0
; NumAgprs: 0
; TotalNumVgprs: 0
; ScratchSize: 0
; MemoryBound: 0
; FloatMode: 240
; IeeeMode: 1
; LDSByteSize: 0 bytes/workgroup (compile time only)
; SGPRBlocks: 0
; VGPRBlocks: 0
; NumSGPRsForWavesPerEU: 4
; NumVGPRsForWavesPerEU: 1
; AccumOffset: 4
; Occupancy: 8
; WaveLimiterHint : 0
; COMPUTE_PGM_RSRC2:SCRATCH_EN: 0
; COMPUTE_PGM_RSRC2:USER_SGPR: 6
; COMPUTE_PGM_RSRC2:TRAP_HANDLER: 0
; COMPUTE_PGM_RSRC2:TGID_X_EN: 1
; COMPUTE_PGM_RSRC2:TGID_Y_EN: 0
; COMPUTE_PGM_RSRC2:TGID_Z_EN: 0
; COMPUTE_PGM_RSRC2:TIDIG_COMP_CNT: 0
; COMPUTE_PGM_RSRC3_GFX90A:ACCUM_OFFSET: 0
; COMPUTE_PGM_RSRC3_GFX90A:TG_SPLIT: 0
	.section	.text._ZN7rocprim17ROCPRIM_400000_NS6detail17trampoline_kernelINS0_14default_configENS1_20scan_config_selectorIfEEZZNS1_9scan_implILNS1_25lookback_scan_determinismE0ELb0ELb0ES3_N6thrust23THRUST_200600_302600_NS6detail15normal_iteratorINS9_10device_ptrIfEEEESE_fNS9_4plusIvEEfEEDaPvRmT3_T4_T5_mT6_P12ihipStream_tbENKUlT_T0_E_clISt17integral_constantIbLb1EEST_IbLb0EEEEDaSP_SQ_EUlSP_E0_NS1_11comp_targetILNS1_3genE4ELNS1_11target_archE910ELNS1_3gpuE8ELNS1_3repE0EEENS1_30default_config_static_selectorELNS0_4arch9wavefront6targetE1EEEvT1_,"axG",@progbits,_ZN7rocprim17ROCPRIM_400000_NS6detail17trampoline_kernelINS0_14default_configENS1_20scan_config_selectorIfEEZZNS1_9scan_implILNS1_25lookback_scan_determinismE0ELb0ELb0ES3_N6thrust23THRUST_200600_302600_NS6detail15normal_iteratorINS9_10device_ptrIfEEEESE_fNS9_4plusIvEEfEEDaPvRmT3_T4_T5_mT6_P12ihipStream_tbENKUlT_T0_E_clISt17integral_constantIbLb1EEST_IbLb0EEEEDaSP_SQ_EUlSP_E0_NS1_11comp_targetILNS1_3genE4ELNS1_11target_archE910ELNS1_3gpuE8ELNS1_3repE0EEENS1_30default_config_static_selectorELNS0_4arch9wavefront6targetE1EEEvT1_,comdat
	.protected	_ZN7rocprim17ROCPRIM_400000_NS6detail17trampoline_kernelINS0_14default_configENS1_20scan_config_selectorIfEEZZNS1_9scan_implILNS1_25lookback_scan_determinismE0ELb0ELb0ES3_N6thrust23THRUST_200600_302600_NS6detail15normal_iteratorINS9_10device_ptrIfEEEESE_fNS9_4plusIvEEfEEDaPvRmT3_T4_T5_mT6_P12ihipStream_tbENKUlT_T0_E_clISt17integral_constantIbLb1EEST_IbLb0EEEEDaSP_SQ_EUlSP_E0_NS1_11comp_targetILNS1_3genE4ELNS1_11target_archE910ELNS1_3gpuE8ELNS1_3repE0EEENS1_30default_config_static_selectorELNS0_4arch9wavefront6targetE1EEEvT1_ ; -- Begin function _ZN7rocprim17ROCPRIM_400000_NS6detail17trampoline_kernelINS0_14default_configENS1_20scan_config_selectorIfEEZZNS1_9scan_implILNS1_25lookback_scan_determinismE0ELb0ELb0ES3_N6thrust23THRUST_200600_302600_NS6detail15normal_iteratorINS9_10device_ptrIfEEEESE_fNS9_4plusIvEEfEEDaPvRmT3_T4_T5_mT6_P12ihipStream_tbENKUlT_T0_E_clISt17integral_constantIbLb1EEST_IbLb0EEEEDaSP_SQ_EUlSP_E0_NS1_11comp_targetILNS1_3genE4ELNS1_11target_archE910ELNS1_3gpuE8ELNS1_3repE0EEENS1_30default_config_static_selectorELNS0_4arch9wavefront6targetE1EEEvT1_
	.globl	_ZN7rocprim17ROCPRIM_400000_NS6detail17trampoline_kernelINS0_14default_configENS1_20scan_config_selectorIfEEZZNS1_9scan_implILNS1_25lookback_scan_determinismE0ELb0ELb0ES3_N6thrust23THRUST_200600_302600_NS6detail15normal_iteratorINS9_10device_ptrIfEEEESE_fNS9_4plusIvEEfEEDaPvRmT3_T4_T5_mT6_P12ihipStream_tbENKUlT_T0_E_clISt17integral_constantIbLb1EEST_IbLb0EEEEDaSP_SQ_EUlSP_E0_NS1_11comp_targetILNS1_3genE4ELNS1_11target_archE910ELNS1_3gpuE8ELNS1_3repE0EEENS1_30default_config_static_selectorELNS0_4arch9wavefront6targetE1EEEvT1_
	.p2align	8
	.type	_ZN7rocprim17ROCPRIM_400000_NS6detail17trampoline_kernelINS0_14default_configENS1_20scan_config_selectorIfEEZZNS1_9scan_implILNS1_25lookback_scan_determinismE0ELb0ELb0ES3_N6thrust23THRUST_200600_302600_NS6detail15normal_iteratorINS9_10device_ptrIfEEEESE_fNS9_4plusIvEEfEEDaPvRmT3_T4_T5_mT6_P12ihipStream_tbENKUlT_T0_E_clISt17integral_constantIbLb1EEST_IbLb0EEEEDaSP_SQ_EUlSP_E0_NS1_11comp_targetILNS1_3genE4ELNS1_11target_archE910ELNS1_3gpuE8ELNS1_3repE0EEENS1_30default_config_static_selectorELNS0_4arch9wavefront6targetE1EEEvT1_,@function
_ZN7rocprim17ROCPRIM_400000_NS6detail17trampoline_kernelINS0_14default_configENS1_20scan_config_selectorIfEEZZNS1_9scan_implILNS1_25lookback_scan_determinismE0ELb0ELb0ES3_N6thrust23THRUST_200600_302600_NS6detail15normal_iteratorINS9_10device_ptrIfEEEESE_fNS9_4plusIvEEfEEDaPvRmT3_T4_T5_mT6_P12ihipStream_tbENKUlT_T0_E_clISt17integral_constantIbLb1EEST_IbLb0EEEEDaSP_SQ_EUlSP_E0_NS1_11comp_targetILNS1_3genE4ELNS1_11target_archE910ELNS1_3gpuE8ELNS1_3repE0EEENS1_30default_config_static_selectorELNS0_4arch9wavefront6targetE1EEEvT1_: ; @_ZN7rocprim17ROCPRIM_400000_NS6detail17trampoline_kernelINS0_14default_configENS1_20scan_config_selectorIfEEZZNS1_9scan_implILNS1_25lookback_scan_determinismE0ELb0ELb0ES3_N6thrust23THRUST_200600_302600_NS6detail15normal_iteratorINS9_10device_ptrIfEEEESE_fNS9_4plusIvEEfEEDaPvRmT3_T4_T5_mT6_P12ihipStream_tbENKUlT_T0_E_clISt17integral_constantIbLb1EEST_IbLb0EEEEDaSP_SQ_EUlSP_E0_NS1_11comp_targetILNS1_3genE4ELNS1_11target_archE910ELNS1_3gpuE8ELNS1_3repE0EEENS1_30default_config_static_selectorELNS0_4arch9wavefront6targetE1EEEvT1_
; %bb.0:
	s_load_dwordx4 s[28:31], s[4:5], 0x0
	v_lshlrev_b32_e32 v30, 2, v0
	s_waitcnt lgkmcnt(0)
	s_load_dword s31, s[28:29], 0x0
	v_cmp_gt_u32_e32 vcc, s30, v0
	s_waitcnt lgkmcnt(0)
	v_mov_b32_e32 v1, s31
	s_and_saveexec_b64 s[0:1], vcc
	s_cbranch_execz .LBB4333_2
; %bb.1:
	global_load_dword v1, v30, s[28:29]
.LBB4333_2:
	s_or_b64 exec, exec, s[0:1]
	v_or_b32_e32 v2, 0x80, v0
	v_cmp_gt_u32_e64 s[0:1], s30, v2
	v_mov_b32_e32 v2, s31
	s_and_saveexec_b64 s[2:3], s[0:1]
	s_cbranch_execz .LBB4333_4
; %bb.3:
	global_load_dword v2, v30, s[28:29] offset:512
.LBB4333_4:
	s_or_b64 exec, exec, s[2:3]
	v_or_b32_e32 v3, 0x100, v0
	v_cmp_gt_u32_e64 s[2:3], s30, v3
	v_mov_b32_e32 v3, s31
	s_and_saveexec_b64 s[6:7], s[2:3]
	s_cbranch_execz .LBB4333_6
; %bb.5:
	global_load_dword v3, v30, s[28:29] offset:1024
.LBB4333_6:
	;; [unrolled: 9-line block ×7, first 2 shown]
	s_or_b64 exec, exec, s[14:15]
	v_or_b32_e32 v10, 0x400, v0
	v_cmp_gt_u32_e64 s[14:15], s30, v10
	v_mov_b32_e32 v9, s31
	s_and_saveexec_b64 s[16:17], s[14:15]
	s_cbranch_execz .LBB4333_18
; %bb.17:
	v_lshlrev_b32_e32 v9, 2, v10
	global_load_dword v9, v9, s[28:29]
.LBB4333_18:
	s_or_b64 exec, exec, s[16:17]
	v_or_b32_e32 v11, 0x480, v0
	v_cmp_gt_u32_e64 s[16:17], s30, v11
	v_mov_b32_e32 v10, s31
	s_and_saveexec_b64 s[18:19], s[16:17]
	s_cbranch_execz .LBB4333_20
; %bb.19:
	v_lshlrev_b32_e32 v10, 2, v11
	global_load_dword v10, v10, s[28:29]
.LBB4333_20:
	;; [unrolled: 10-line block ×6, first 2 shown]
	s_or_b64 exec, exec, s[30:31]
	s_waitcnt vmcnt(0)
	ds_write2st64_b32 v30, v1, v2 offset1:2
	ds_write2st64_b32 v30, v3, v4 offset0:4 offset1:6
	ds_write2st64_b32 v30, v5, v6 offset0:8 offset1:10
	;; [unrolled: 1-line block ×6, first 2 shown]
	v_mad_u32_u24 v1, v0, 52, v30
	s_waitcnt lgkmcnt(0)
	s_barrier
	ds_read2_b64 v[10:13], v1 offset1:1
	ds_read2_b64 v[6:9], v1 offset0:2 offset1:3
	ds_read2_b64 v[2:5], v1 offset0:4 offset1:5
	ds_read_b64 v[28:29], v1 offset:48
	v_lshrrev_b32_e32 v18, 3, v0
	s_waitcnt lgkmcnt(3)
	v_add_f32_e32 v19, v10, v11
	v_add_f32_e32 v24, v19, v12
	v_add_f32_e32 v25, v24, v13
	s_waitcnt lgkmcnt(2)
	v_add_f32_e32 v16, v25, v6
	v_add_f32_e32 v17, v16, v7
	v_add_f32_e32 v22, v17, v8
	v_add_f32_e32 v23, v22, v9
	s_waitcnt lgkmcnt(1)
	v_add_f32_e32 v14, v23, v2
	;; [unrolled: 5-line block ×3, first 2 shown]
	v_and_b32_e32 v18, 12, v18
	v_add_f32_e32 v27, v26, v29
	v_add_u32_e32 v18, v30, v18
	v_cmp_gt_u32_e64 s[28:29], 64, v0
	s_barrier
	ds_write_b32 v18, v27
	s_waitcnt lgkmcnt(0)
	s_barrier
	s_and_saveexec_b64 s[36:37], s[28:29]
	s_cbranch_execz .LBB4333_30
; %bb.29:
	v_lshlrev_b32_e32 v18, 1, v0
	v_lshrrev_b32_e32 v31, 4, v0
	v_add_lshl_u32 v18, v31, v18, 2
	ds_read2_b32 v[32:33], v18 offset1:1
	v_mbcnt_lo_u32_b32 v31, -1, 0
	v_mbcnt_hi_u32_b32 v31, -1, v31
	v_and_b32_e32 v34, 15, v31
	v_cmp_eq_u32_e64 s[28:29], 0, v34
	s_waitcnt lgkmcnt(0)
	v_add_f32_e32 v33, v32, v33
	v_cmp_lt_u32_e64 s[30:31], 3, v34
	v_cmp_lt_u32_e64 s[34:35], 31, v31
	v_mov_b32_dpp v35, v33 row_shr:1 row_mask:0xf bank_mask:0xf
	v_add_f32_e32 v35, v33, v35
	v_cndmask_b32_e64 v33, v35, v33, s[28:29]
	v_cmp_lt_u32_e64 s[28:29], 1, v34
	s_nop 0
	v_mov_b32_dpp v35, v33 row_shr:2 row_mask:0xf bank_mask:0xf
	v_add_f32_e32 v35, v33, v35
	v_cndmask_b32_e64 v35, v33, v35, s[28:29]
	; wave barrier
	s_nop 1
	v_mov_b32_dpp v36, v35 row_shr:4 row_mask:0xf bank_mask:0xf
	v_add_f32_e32 v36, v35, v36
	v_cndmask_b32_e64 v35, v35, v36, s[30:31]
	v_cmp_lt_u32_e64 s[30:31], 7, v34
	s_nop 0
	v_mov_b32_dpp v36, v35 row_shr:8 row_mask:0xf bank_mask:0xf
	v_add_f32_e32 v36, v35, v36
	v_cndmask_b32_e64 v34, v35, v36, s[30:31]
	v_and_b32_e32 v36, 16, v31
	v_cmp_eq_u32_e64 s[30:31], 0, v36
	v_mov_b32_dpp v35, v34 row_bcast:15 row_mask:0xf bank_mask:0xf
	v_add_f32_e32 v35, v34, v35
	v_cndmask_b32_e64 v34, v35, v34, s[30:31]
	v_cmp_lt_u32_e64 s[30:31], 15, v31
	s_or_b64 s[28:29], s[30:31], s[28:29]
	v_mov_b32_dpp v35, v34 row_bcast:31 row_mask:0xf bank_mask:0xf
	v_add_f32_e32 v35, v34, v35
	v_cndmask_b32_e64 v34, v34, v35, s[34:35]
	v_cndmask_b32_e64 v33, v33, v34, s[28:29]
	v_add_u32_e32 v34, -1, v31
	v_and_b32_e32 v35, 64, v31
	v_cmp_lt_i32_e64 s[28:29], v34, v35
	v_cndmask_b32_e64 v31, v34, v31, s[28:29]
	v_lshlrev_b32_e32 v31, 2, v31
	ds_bpermute_b32 v31, v31, v33
	v_cmp_eq_u32_e64 s[28:29], 0, v0
	s_waitcnt lgkmcnt(0)
	v_add_f32_e32 v31, v32, v31
	v_cndmask_b32_e64 v31, v31, v27, s[28:29]
	ds_write_b32 v18, v31
	; wave barrier
	ds_read_b32 v32, v18 offset:4
	s_waitcnt lgkmcnt(0)
	v_add_f32_e32 v31, v31, v32
	ds_write_b32 v18, v31 offset:4
.LBB4333_30:
	s_or_b64 exec, exec, s[36:37]
	s_load_dwordx2 s[28:29], s[4:5], 0x18
	v_cmp_ne_u32_e64 s[4:5], 0, v0
	v_mov_b32_e32 v31, v27
	s_waitcnt lgkmcnt(0)
	s_barrier
	s_and_saveexec_b64 s[30:31], s[4:5]
	s_cbranch_execz .LBB4333_32
; %bb.31:
	v_add_u32_e32 v18, -1, v0
	v_lshrrev_b32_e32 v31, 5, v18
	v_add_lshl_u32 v18, v31, v18, 2
	ds_read_b32 v31, v18
.LBB4333_32:
	s_or_b64 exec, exec, s[30:31]
	v_mov_b32_e32 v18, v10
	s_and_saveexec_b64 s[30:31], s[4:5]
	s_cbranch_execz .LBB4333_34
; %bb.33:
	s_waitcnt lgkmcnt(0)
	v_add_f32_e32 v18, v10, v31
	v_add_f32_e32 v19, v11, v18
	;; [unrolled: 1-line block ×14, first 2 shown]
	;;#ASMSTART
	;;#ASMEND
.LBB4333_34:
	s_or_b64 exec, exec, s[30:31]
	s_movk_i32 s4, 0xffcc
	v_mad_i32_i24 v0, v0, s4, v1
	s_waitcnt lgkmcnt(0)
	s_barrier
	ds_write2_b64 v1, v[18:19], v[24:25] offset1:1
	ds_write2_b64 v1, v[16:17], v[22:23] offset0:2 offset1:3
	ds_write2_b64 v1, v[14:15], v[20:21] offset0:4 offset1:5
	ds_write_b64 v1, v[26:27] offset:48
	s_waitcnt lgkmcnt(0)
	s_barrier
	ds_read2st64_b32 v[12:13], v0 offset0:2 offset1:4
	ds_read2st64_b32 v[10:11], v0 offset0:6 offset1:8
	;; [unrolled: 1-line block ×4, first 2 shown]
	ds_read_b32 v14, v30 offset:4096
	ds_read2st64_b32 v[4:5], v0 offset0:20 offset1:22
	ds_read2st64_b32 v[0:1], v0 offset0:24 offset1:26
	v_mov_b32_e32 v3, s29
	v_add_co_u32_e64 v2, s[4:5], s28, v30
	v_addc_co_u32_e64 v3, s[4:5], 0, v3, s[4:5]
	s_and_saveexec_b64 s[4:5], vcc
	s_cbranch_execnz .LBB4333_49
; %bb.35:
	s_or_b64 exec, exec, s[4:5]
	s_and_saveexec_b64 s[4:5], s[0:1]
	s_cbranch_execnz .LBB4333_50
.LBB4333_36:
	s_or_b64 exec, exec, s[4:5]
	s_and_saveexec_b64 s[0:1], s[2:3]
	s_cbranch_execnz .LBB4333_51
.LBB4333_37:
	s_or_b64 exec, exec, s[0:1]
	s_and_saveexec_b64 s[0:1], s[26:27]
	s_cbranch_execnz .LBB4333_52
.LBB4333_38:
	s_or_b64 exec, exec, s[0:1]
	s_and_saveexec_b64 s[0:1], s[6:7]
	s_cbranch_execnz .LBB4333_53
.LBB4333_39:
	s_or_b64 exec, exec, s[0:1]
	s_and_saveexec_b64 s[0:1], s[8:9]
	s_cbranch_execnz .LBB4333_54
.LBB4333_40:
	s_or_b64 exec, exec, s[0:1]
	s_and_saveexec_b64 s[0:1], s[10:11]
	s_cbranch_execnz .LBB4333_55
.LBB4333_41:
	s_or_b64 exec, exec, s[0:1]
	s_and_saveexec_b64 s[0:1], s[12:13]
	s_cbranch_execnz .LBB4333_56
.LBB4333_42:
	s_or_b64 exec, exec, s[0:1]
	s_and_saveexec_b64 s[0:1], s[14:15]
	s_cbranch_execnz .LBB4333_57
.LBB4333_43:
	s_or_b64 exec, exec, s[0:1]
	s_and_saveexec_b64 s[0:1], s[16:17]
	s_cbranch_execnz .LBB4333_58
.LBB4333_44:
	s_or_b64 exec, exec, s[0:1]
	s_and_saveexec_b64 s[0:1], s[18:19]
	s_cbranch_execnz .LBB4333_59
.LBB4333_45:
	s_or_b64 exec, exec, s[0:1]
	s_and_saveexec_b64 s[0:1], s[20:21]
	s_cbranch_execnz .LBB4333_60
.LBB4333_46:
	s_or_b64 exec, exec, s[0:1]
	s_and_saveexec_b64 s[0:1], s[22:23]
	s_cbranch_execnz .LBB4333_61
.LBB4333_47:
	s_or_b64 exec, exec, s[0:1]
	s_and_saveexec_b64 s[0:1], s[24:25]
	s_cbranch_execnz .LBB4333_62
.LBB4333_48:
	s_endpgm
.LBB4333_49:
	ds_read_b32 v15, v30
	s_waitcnt lgkmcnt(0)
	global_store_dword v[2:3], v15, off
	s_or_b64 exec, exec, s[4:5]
	s_and_saveexec_b64 s[4:5], s[0:1]
	s_cbranch_execz .LBB4333_36
.LBB4333_50:
	s_waitcnt lgkmcnt(6)
	global_store_dword v[2:3], v12, off offset:512
	s_or_b64 exec, exec, s[4:5]
	s_and_saveexec_b64 s[0:1], s[2:3]
	s_cbranch_execz .LBB4333_37
.LBB4333_51:
	s_waitcnt lgkmcnt(6)
	global_store_dword v[2:3], v13, off offset:1024
	s_or_b64 exec, exec, s[0:1]
	s_and_saveexec_b64 s[0:1], s[26:27]
	s_cbranch_execz .LBB4333_38
.LBB4333_52:
	s_waitcnt lgkmcnt(5)
	global_store_dword v[2:3], v10, off offset:1536
	s_or_b64 exec, exec, s[0:1]
	s_and_saveexec_b64 s[0:1], s[6:7]
	s_cbranch_execz .LBB4333_39
.LBB4333_53:
	s_waitcnt lgkmcnt(5)
	global_store_dword v[2:3], v11, off offset:2048
	s_or_b64 exec, exec, s[0:1]
	s_and_saveexec_b64 s[0:1], s[8:9]
	s_cbranch_execz .LBB4333_40
.LBB4333_54:
	s_waitcnt lgkmcnt(4)
	global_store_dword v[2:3], v8, off offset:2560
	s_or_b64 exec, exec, s[0:1]
	s_and_saveexec_b64 s[0:1], s[10:11]
	s_cbranch_execz .LBB4333_41
.LBB4333_55:
	s_waitcnt lgkmcnt(4)
	global_store_dword v[2:3], v9, off offset:3072
	s_or_b64 exec, exec, s[0:1]
	s_and_saveexec_b64 s[0:1], s[12:13]
	s_cbranch_execz .LBB4333_42
.LBB4333_56:
	s_waitcnt lgkmcnt(3)
	global_store_dword v[2:3], v6, off offset:3584
	s_or_b64 exec, exec, s[0:1]
	s_and_saveexec_b64 s[0:1], s[14:15]
	s_cbranch_execz .LBB4333_43
.LBB4333_57:
	s_waitcnt lgkmcnt(4)
	v_add_co_u32_e32 v8, vcc, 0x1000, v2
	v_addc_co_u32_e32 v9, vcc, 0, v3, vcc
	s_waitcnt lgkmcnt(2)
	global_store_dword v[8:9], v14, off
	s_or_b64 exec, exec, s[0:1]
	s_and_saveexec_b64 s[0:1], s[16:17]
	s_cbranch_execz .LBB4333_44
.LBB4333_58:
	s_waitcnt lgkmcnt(4)
	v_add_co_u32_e32 v8, vcc, 0x1000, v2
	v_addc_co_u32_e32 v9, vcc, 0, v3, vcc
	s_waitcnt lgkmcnt(3)
	global_store_dword v[8:9], v7, off offset:512
	s_or_b64 exec, exec, s[0:1]
	s_and_saveexec_b64 s[0:1], s[18:19]
	s_cbranch_execz .LBB4333_45
.LBB4333_59:
	s_waitcnt lgkmcnt(3)
	v_add_co_u32_e32 v6, vcc, 0x1000, v2
	v_addc_co_u32_e32 v7, vcc, 0, v3, vcc
	s_waitcnt lgkmcnt(1)
	global_store_dword v[6:7], v4, off offset:1024
	s_or_b64 exec, exec, s[0:1]
	s_and_saveexec_b64 s[0:1], s[20:21]
	s_cbranch_execz .LBB4333_46
.LBB4333_60:
	s_waitcnt lgkmcnt(3)
	v_add_co_u32_e32 v6, vcc, 0x1000, v2
	v_addc_co_u32_e32 v7, vcc, 0, v3, vcc
	s_waitcnt lgkmcnt(1)
	global_store_dword v[6:7], v5, off offset:1536
	s_or_b64 exec, exec, s[0:1]
	s_and_saveexec_b64 s[0:1], s[22:23]
	s_cbranch_execz .LBB4333_47
.LBB4333_61:
	s_waitcnt lgkmcnt(1)
	v_add_co_u32_e32 v4, vcc, 0x1000, v2
	v_addc_co_u32_e32 v5, vcc, 0, v3, vcc
	s_waitcnt lgkmcnt(0)
	global_store_dword v[4:5], v0, off offset:2048
	s_or_b64 exec, exec, s[0:1]
	s_and_saveexec_b64 s[0:1], s[24:25]
	s_cbranch_execz .LBB4333_48
.LBB4333_62:
	v_add_co_u32_e32 v2, vcc, 0x1000, v2
	v_addc_co_u32_e32 v3, vcc, 0, v3, vcc
	s_waitcnt lgkmcnt(0)
	global_store_dword v[2:3], v1, off offset:2560
	s_endpgm
	.section	.rodata,"a",@progbits
	.p2align	6, 0x0
	.amdhsa_kernel _ZN7rocprim17ROCPRIM_400000_NS6detail17trampoline_kernelINS0_14default_configENS1_20scan_config_selectorIfEEZZNS1_9scan_implILNS1_25lookback_scan_determinismE0ELb0ELb0ES3_N6thrust23THRUST_200600_302600_NS6detail15normal_iteratorINS9_10device_ptrIfEEEESE_fNS9_4plusIvEEfEEDaPvRmT3_T4_T5_mT6_P12ihipStream_tbENKUlT_T0_E_clISt17integral_constantIbLb1EEST_IbLb0EEEEDaSP_SQ_EUlSP_E0_NS1_11comp_targetILNS1_3genE4ELNS1_11target_archE910ELNS1_3gpuE8ELNS1_3repE0EEENS1_30default_config_static_selectorELNS0_4arch9wavefront6targetE1EEEvT1_
		.amdhsa_group_segment_fixed_size 7168
		.amdhsa_private_segment_fixed_size 0
		.amdhsa_kernarg_size 32
		.amdhsa_user_sgpr_count 6
		.amdhsa_user_sgpr_private_segment_buffer 1
		.amdhsa_user_sgpr_dispatch_ptr 0
		.amdhsa_user_sgpr_queue_ptr 0
		.amdhsa_user_sgpr_kernarg_segment_ptr 1
		.amdhsa_user_sgpr_dispatch_id 0
		.amdhsa_user_sgpr_flat_scratch_init 0
		.amdhsa_user_sgpr_kernarg_preload_length 0
		.amdhsa_user_sgpr_kernarg_preload_offset 0
		.amdhsa_user_sgpr_private_segment_size 0
		.amdhsa_uses_dynamic_stack 0
		.amdhsa_system_sgpr_private_segment_wavefront_offset 0
		.amdhsa_system_sgpr_workgroup_id_x 1
		.amdhsa_system_sgpr_workgroup_id_y 0
		.amdhsa_system_sgpr_workgroup_id_z 0
		.amdhsa_system_sgpr_workgroup_info 0
		.amdhsa_system_vgpr_workitem_id 0
		.amdhsa_next_free_vgpr 37
		.amdhsa_next_free_sgpr 38
		.amdhsa_accum_offset 40
		.amdhsa_reserve_vcc 1
		.amdhsa_reserve_flat_scratch 0
		.amdhsa_float_round_mode_32 0
		.amdhsa_float_round_mode_16_64 0
		.amdhsa_float_denorm_mode_32 3
		.amdhsa_float_denorm_mode_16_64 3
		.amdhsa_dx10_clamp 1
		.amdhsa_ieee_mode 1
		.amdhsa_fp16_overflow 0
		.amdhsa_tg_split 0
		.amdhsa_exception_fp_ieee_invalid_op 0
		.amdhsa_exception_fp_denorm_src 0
		.amdhsa_exception_fp_ieee_div_zero 0
		.amdhsa_exception_fp_ieee_overflow 0
		.amdhsa_exception_fp_ieee_underflow 0
		.amdhsa_exception_fp_ieee_inexact 0
		.amdhsa_exception_int_div_zero 0
	.end_amdhsa_kernel
	.section	.text._ZN7rocprim17ROCPRIM_400000_NS6detail17trampoline_kernelINS0_14default_configENS1_20scan_config_selectorIfEEZZNS1_9scan_implILNS1_25lookback_scan_determinismE0ELb0ELb0ES3_N6thrust23THRUST_200600_302600_NS6detail15normal_iteratorINS9_10device_ptrIfEEEESE_fNS9_4plusIvEEfEEDaPvRmT3_T4_T5_mT6_P12ihipStream_tbENKUlT_T0_E_clISt17integral_constantIbLb1EEST_IbLb0EEEEDaSP_SQ_EUlSP_E0_NS1_11comp_targetILNS1_3genE4ELNS1_11target_archE910ELNS1_3gpuE8ELNS1_3repE0EEENS1_30default_config_static_selectorELNS0_4arch9wavefront6targetE1EEEvT1_,"axG",@progbits,_ZN7rocprim17ROCPRIM_400000_NS6detail17trampoline_kernelINS0_14default_configENS1_20scan_config_selectorIfEEZZNS1_9scan_implILNS1_25lookback_scan_determinismE0ELb0ELb0ES3_N6thrust23THRUST_200600_302600_NS6detail15normal_iteratorINS9_10device_ptrIfEEEESE_fNS9_4plusIvEEfEEDaPvRmT3_T4_T5_mT6_P12ihipStream_tbENKUlT_T0_E_clISt17integral_constantIbLb1EEST_IbLb0EEEEDaSP_SQ_EUlSP_E0_NS1_11comp_targetILNS1_3genE4ELNS1_11target_archE910ELNS1_3gpuE8ELNS1_3repE0EEENS1_30default_config_static_selectorELNS0_4arch9wavefront6targetE1EEEvT1_,comdat
.Lfunc_end4333:
	.size	_ZN7rocprim17ROCPRIM_400000_NS6detail17trampoline_kernelINS0_14default_configENS1_20scan_config_selectorIfEEZZNS1_9scan_implILNS1_25lookback_scan_determinismE0ELb0ELb0ES3_N6thrust23THRUST_200600_302600_NS6detail15normal_iteratorINS9_10device_ptrIfEEEESE_fNS9_4plusIvEEfEEDaPvRmT3_T4_T5_mT6_P12ihipStream_tbENKUlT_T0_E_clISt17integral_constantIbLb1EEST_IbLb0EEEEDaSP_SQ_EUlSP_E0_NS1_11comp_targetILNS1_3genE4ELNS1_11target_archE910ELNS1_3gpuE8ELNS1_3repE0EEENS1_30default_config_static_selectorELNS0_4arch9wavefront6targetE1EEEvT1_, .Lfunc_end4333-_ZN7rocprim17ROCPRIM_400000_NS6detail17trampoline_kernelINS0_14default_configENS1_20scan_config_selectorIfEEZZNS1_9scan_implILNS1_25lookback_scan_determinismE0ELb0ELb0ES3_N6thrust23THRUST_200600_302600_NS6detail15normal_iteratorINS9_10device_ptrIfEEEESE_fNS9_4plusIvEEfEEDaPvRmT3_T4_T5_mT6_P12ihipStream_tbENKUlT_T0_E_clISt17integral_constantIbLb1EEST_IbLb0EEEEDaSP_SQ_EUlSP_E0_NS1_11comp_targetILNS1_3genE4ELNS1_11target_archE910ELNS1_3gpuE8ELNS1_3repE0EEENS1_30default_config_static_selectorELNS0_4arch9wavefront6targetE1EEEvT1_
                                        ; -- End function
	.section	.AMDGPU.csdata,"",@progbits
; Kernel info:
; codeLenInByte = 2048
; NumSgprs: 42
; NumVgprs: 37
; NumAgprs: 0
; TotalNumVgprs: 37
; ScratchSize: 0
; MemoryBound: 0
; FloatMode: 240
; IeeeMode: 1
; LDSByteSize: 7168 bytes/workgroup (compile time only)
; SGPRBlocks: 5
; VGPRBlocks: 4
; NumSGPRsForWavesPerEU: 42
; NumVGPRsForWavesPerEU: 37
; AccumOffset: 40
; Occupancy: 5
; WaveLimiterHint : 0
; COMPUTE_PGM_RSRC2:SCRATCH_EN: 0
; COMPUTE_PGM_RSRC2:USER_SGPR: 6
; COMPUTE_PGM_RSRC2:TRAP_HANDLER: 0
; COMPUTE_PGM_RSRC2:TGID_X_EN: 1
; COMPUTE_PGM_RSRC2:TGID_Y_EN: 0
; COMPUTE_PGM_RSRC2:TGID_Z_EN: 0
; COMPUTE_PGM_RSRC2:TIDIG_COMP_CNT: 0
; COMPUTE_PGM_RSRC3_GFX90A:ACCUM_OFFSET: 9
; COMPUTE_PGM_RSRC3_GFX90A:TG_SPLIT: 0
	.section	.text._ZN7rocprim17ROCPRIM_400000_NS6detail17trampoline_kernelINS0_14default_configENS1_20scan_config_selectorIfEEZZNS1_9scan_implILNS1_25lookback_scan_determinismE0ELb0ELb0ES3_N6thrust23THRUST_200600_302600_NS6detail15normal_iteratorINS9_10device_ptrIfEEEESE_fNS9_4plusIvEEfEEDaPvRmT3_T4_T5_mT6_P12ihipStream_tbENKUlT_T0_E_clISt17integral_constantIbLb1EEST_IbLb0EEEEDaSP_SQ_EUlSP_E0_NS1_11comp_targetILNS1_3genE3ELNS1_11target_archE908ELNS1_3gpuE7ELNS1_3repE0EEENS1_30default_config_static_selectorELNS0_4arch9wavefront6targetE1EEEvT1_,"axG",@progbits,_ZN7rocprim17ROCPRIM_400000_NS6detail17trampoline_kernelINS0_14default_configENS1_20scan_config_selectorIfEEZZNS1_9scan_implILNS1_25lookback_scan_determinismE0ELb0ELb0ES3_N6thrust23THRUST_200600_302600_NS6detail15normal_iteratorINS9_10device_ptrIfEEEESE_fNS9_4plusIvEEfEEDaPvRmT3_T4_T5_mT6_P12ihipStream_tbENKUlT_T0_E_clISt17integral_constantIbLb1EEST_IbLb0EEEEDaSP_SQ_EUlSP_E0_NS1_11comp_targetILNS1_3genE3ELNS1_11target_archE908ELNS1_3gpuE7ELNS1_3repE0EEENS1_30default_config_static_selectorELNS0_4arch9wavefront6targetE1EEEvT1_,comdat
	.protected	_ZN7rocprim17ROCPRIM_400000_NS6detail17trampoline_kernelINS0_14default_configENS1_20scan_config_selectorIfEEZZNS1_9scan_implILNS1_25lookback_scan_determinismE0ELb0ELb0ES3_N6thrust23THRUST_200600_302600_NS6detail15normal_iteratorINS9_10device_ptrIfEEEESE_fNS9_4plusIvEEfEEDaPvRmT3_T4_T5_mT6_P12ihipStream_tbENKUlT_T0_E_clISt17integral_constantIbLb1EEST_IbLb0EEEEDaSP_SQ_EUlSP_E0_NS1_11comp_targetILNS1_3genE3ELNS1_11target_archE908ELNS1_3gpuE7ELNS1_3repE0EEENS1_30default_config_static_selectorELNS0_4arch9wavefront6targetE1EEEvT1_ ; -- Begin function _ZN7rocprim17ROCPRIM_400000_NS6detail17trampoline_kernelINS0_14default_configENS1_20scan_config_selectorIfEEZZNS1_9scan_implILNS1_25lookback_scan_determinismE0ELb0ELb0ES3_N6thrust23THRUST_200600_302600_NS6detail15normal_iteratorINS9_10device_ptrIfEEEESE_fNS9_4plusIvEEfEEDaPvRmT3_T4_T5_mT6_P12ihipStream_tbENKUlT_T0_E_clISt17integral_constantIbLb1EEST_IbLb0EEEEDaSP_SQ_EUlSP_E0_NS1_11comp_targetILNS1_3genE3ELNS1_11target_archE908ELNS1_3gpuE7ELNS1_3repE0EEENS1_30default_config_static_selectorELNS0_4arch9wavefront6targetE1EEEvT1_
	.globl	_ZN7rocprim17ROCPRIM_400000_NS6detail17trampoline_kernelINS0_14default_configENS1_20scan_config_selectorIfEEZZNS1_9scan_implILNS1_25lookback_scan_determinismE0ELb0ELb0ES3_N6thrust23THRUST_200600_302600_NS6detail15normal_iteratorINS9_10device_ptrIfEEEESE_fNS9_4plusIvEEfEEDaPvRmT3_T4_T5_mT6_P12ihipStream_tbENKUlT_T0_E_clISt17integral_constantIbLb1EEST_IbLb0EEEEDaSP_SQ_EUlSP_E0_NS1_11comp_targetILNS1_3genE3ELNS1_11target_archE908ELNS1_3gpuE7ELNS1_3repE0EEENS1_30default_config_static_selectorELNS0_4arch9wavefront6targetE1EEEvT1_
	.p2align	8
	.type	_ZN7rocprim17ROCPRIM_400000_NS6detail17trampoline_kernelINS0_14default_configENS1_20scan_config_selectorIfEEZZNS1_9scan_implILNS1_25lookback_scan_determinismE0ELb0ELb0ES3_N6thrust23THRUST_200600_302600_NS6detail15normal_iteratorINS9_10device_ptrIfEEEESE_fNS9_4plusIvEEfEEDaPvRmT3_T4_T5_mT6_P12ihipStream_tbENKUlT_T0_E_clISt17integral_constantIbLb1EEST_IbLb0EEEEDaSP_SQ_EUlSP_E0_NS1_11comp_targetILNS1_3genE3ELNS1_11target_archE908ELNS1_3gpuE7ELNS1_3repE0EEENS1_30default_config_static_selectorELNS0_4arch9wavefront6targetE1EEEvT1_,@function
_ZN7rocprim17ROCPRIM_400000_NS6detail17trampoline_kernelINS0_14default_configENS1_20scan_config_selectorIfEEZZNS1_9scan_implILNS1_25lookback_scan_determinismE0ELb0ELb0ES3_N6thrust23THRUST_200600_302600_NS6detail15normal_iteratorINS9_10device_ptrIfEEEESE_fNS9_4plusIvEEfEEDaPvRmT3_T4_T5_mT6_P12ihipStream_tbENKUlT_T0_E_clISt17integral_constantIbLb1EEST_IbLb0EEEEDaSP_SQ_EUlSP_E0_NS1_11comp_targetILNS1_3genE3ELNS1_11target_archE908ELNS1_3gpuE7ELNS1_3repE0EEENS1_30default_config_static_selectorELNS0_4arch9wavefront6targetE1EEEvT1_: ; @_ZN7rocprim17ROCPRIM_400000_NS6detail17trampoline_kernelINS0_14default_configENS1_20scan_config_selectorIfEEZZNS1_9scan_implILNS1_25lookback_scan_determinismE0ELb0ELb0ES3_N6thrust23THRUST_200600_302600_NS6detail15normal_iteratorINS9_10device_ptrIfEEEESE_fNS9_4plusIvEEfEEDaPvRmT3_T4_T5_mT6_P12ihipStream_tbENKUlT_T0_E_clISt17integral_constantIbLb1EEST_IbLb0EEEEDaSP_SQ_EUlSP_E0_NS1_11comp_targetILNS1_3genE3ELNS1_11target_archE908ELNS1_3gpuE7ELNS1_3repE0EEENS1_30default_config_static_selectorELNS0_4arch9wavefront6targetE1EEEvT1_
; %bb.0:
	.section	.rodata,"a",@progbits
	.p2align	6, 0x0
	.amdhsa_kernel _ZN7rocprim17ROCPRIM_400000_NS6detail17trampoline_kernelINS0_14default_configENS1_20scan_config_selectorIfEEZZNS1_9scan_implILNS1_25lookback_scan_determinismE0ELb0ELb0ES3_N6thrust23THRUST_200600_302600_NS6detail15normal_iteratorINS9_10device_ptrIfEEEESE_fNS9_4plusIvEEfEEDaPvRmT3_T4_T5_mT6_P12ihipStream_tbENKUlT_T0_E_clISt17integral_constantIbLb1EEST_IbLb0EEEEDaSP_SQ_EUlSP_E0_NS1_11comp_targetILNS1_3genE3ELNS1_11target_archE908ELNS1_3gpuE7ELNS1_3repE0EEENS1_30default_config_static_selectorELNS0_4arch9wavefront6targetE1EEEvT1_
		.amdhsa_group_segment_fixed_size 0
		.amdhsa_private_segment_fixed_size 0
		.amdhsa_kernarg_size 32
		.amdhsa_user_sgpr_count 6
		.amdhsa_user_sgpr_private_segment_buffer 1
		.amdhsa_user_sgpr_dispatch_ptr 0
		.amdhsa_user_sgpr_queue_ptr 0
		.amdhsa_user_sgpr_kernarg_segment_ptr 1
		.amdhsa_user_sgpr_dispatch_id 0
		.amdhsa_user_sgpr_flat_scratch_init 0
		.amdhsa_user_sgpr_kernarg_preload_length 0
		.amdhsa_user_sgpr_kernarg_preload_offset 0
		.amdhsa_user_sgpr_private_segment_size 0
		.amdhsa_uses_dynamic_stack 0
		.amdhsa_system_sgpr_private_segment_wavefront_offset 0
		.amdhsa_system_sgpr_workgroup_id_x 1
		.amdhsa_system_sgpr_workgroup_id_y 0
		.amdhsa_system_sgpr_workgroup_id_z 0
		.amdhsa_system_sgpr_workgroup_info 0
		.amdhsa_system_vgpr_workitem_id 0
		.amdhsa_next_free_vgpr 1
		.amdhsa_next_free_sgpr 0
		.amdhsa_accum_offset 4
		.amdhsa_reserve_vcc 0
		.amdhsa_reserve_flat_scratch 0
		.amdhsa_float_round_mode_32 0
		.amdhsa_float_round_mode_16_64 0
		.amdhsa_float_denorm_mode_32 3
		.amdhsa_float_denorm_mode_16_64 3
		.amdhsa_dx10_clamp 1
		.amdhsa_ieee_mode 1
		.amdhsa_fp16_overflow 0
		.amdhsa_tg_split 0
		.amdhsa_exception_fp_ieee_invalid_op 0
		.amdhsa_exception_fp_denorm_src 0
		.amdhsa_exception_fp_ieee_div_zero 0
		.amdhsa_exception_fp_ieee_overflow 0
		.amdhsa_exception_fp_ieee_underflow 0
		.amdhsa_exception_fp_ieee_inexact 0
		.amdhsa_exception_int_div_zero 0
	.end_amdhsa_kernel
	.section	.text._ZN7rocprim17ROCPRIM_400000_NS6detail17trampoline_kernelINS0_14default_configENS1_20scan_config_selectorIfEEZZNS1_9scan_implILNS1_25lookback_scan_determinismE0ELb0ELb0ES3_N6thrust23THRUST_200600_302600_NS6detail15normal_iteratorINS9_10device_ptrIfEEEESE_fNS9_4plusIvEEfEEDaPvRmT3_T4_T5_mT6_P12ihipStream_tbENKUlT_T0_E_clISt17integral_constantIbLb1EEST_IbLb0EEEEDaSP_SQ_EUlSP_E0_NS1_11comp_targetILNS1_3genE3ELNS1_11target_archE908ELNS1_3gpuE7ELNS1_3repE0EEENS1_30default_config_static_selectorELNS0_4arch9wavefront6targetE1EEEvT1_,"axG",@progbits,_ZN7rocprim17ROCPRIM_400000_NS6detail17trampoline_kernelINS0_14default_configENS1_20scan_config_selectorIfEEZZNS1_9scan_implILNS1_25lookback_scan_determinismE0ELb0ELb0ES3_N6thrust23THRUST_200600_302600_NS6detail15normal_iteratorINS9_10device_ptrIfEEEESE_fNS9_4plusIvEEfEEDaPvRmT3_T4_T5_mT6_P12ihipStream_tbENKUlT_T0_E_clISt17integral_constantIbLb1EEST_IbLb0EEEEDaSP_SQ_EUlSP_E0_NS1_11comp_targetILNS1_3genE3ELNS1_11target_archE908ELNS1_3gpuE7ELNS1_3repE0EEENS1_30default_config_static_selectorELNS0_4arch9wavefront6targetE1EEEvT1_,comdat
.Lfunc_end4334:
	.size	_ZN7rocprim17ROCPRIM_400000_NS6detail17trampoline_kernelINS0_14default_configENS1_20scan_config_selectorIfEEZZNS1_9scan_implILNS1_25lookback_scan_determinismE0ELb0ELb0ES3_N6thrust23THRUST_200600_302600_NS6detail15normal_iteratorINS9_10device_ptrIfEEEESE_fNS9_4plusIvEEfEEDaPvRmT3_T4_T5_mT6_P12ihipStream_tbENKUlT_T0_E_clISt17integral_constantIbLb1EEST_IbLb0EEEEDaSP_SQ_EUlSP_E0_NS1_11comp_targetILNS1_3genE3ELNS1_11target_archE908ELNS1_3gpuE7ELNS1_3repE0EEENS1_30default_config_static_selectorELNS0_4arch9wavefront6targetE1EEEvT1_, .Lfunc_end4334-_ZN7rocprim17ROCPRIM_400000_NS6detail17trampoline_kernelINS0_14default_configENS1_20scan_config_selectorIfEEZZNS1_9scan_implILNS1_25lookback_scan_determinismE0ELb0ELb0ES3_N6thrust23THRUST_200600_302600_NS6detail15normal_iteratorINS9_10device_ptrIfEEEESE_fNS9_4plusIvEEfEEDaPvRmT3_T4_T5_mT6_P12ihipStream_tbENKUlT_T0_E_clISt17integral_constantIbLb1EEST_IbLb0EEEEDaSP_SQ_EUlSP_E0_NS1_11comp_targetILNS1_3genE3ELNS1_11target_archE908ELNS1_3gpuE7ELNS1_3repE0EEENS1_30default_config_static_selectorELNS0_4arch9wavefront6targetE1EEEvT1_
                                        ; -- End function
	.section	.AMDGPU.csdata,"",@progbits
; Kernel info:
; codeLenInByte = 0
; NumSgprs: 4
; NumVgprs: 0
; NumAgprs: 0
; TotalNumVgprs: 0
; ScratchSize: 0
; MemoryBound: 0
; FloatMode: 240
; IeeeMode: 1
; LDSByteSize: 0 bytes/workgroup (compile time only)
; SGPRBlocks: 0
; VGPRBlocks: 0
; NumSGPRsForWavesPerEU: 4
; NumVGPRsForWavesPerEU: 1
; AccumOffset: 4
; Occupancy: 8
; WaveLimiterHint : 0
; COMPUTE_PGM_RSRC2:SCRATCH_EN: 0
; COMPUTE_PGM_RSRC2:USER_SGPR: 6
; COMPUTE_PGM_RSRC2:TRAP_HANDLER: 0
; COMPUTE_PGM_RSRC2:TGID_X_EN: 1
; COMPUTE_PGM_RSRC2:TGID_Y_EN: 0
; COMPUTE_PGM_RSRC2:TGID_Z_EN: 0
; COMPUTE_PGM_RSRC2:TIDIG_COMP_CNT: 0
; COMPUTE_PGM_RSRC3_GFX90A:ACCUM_OFFSET: 0
; COMPUTE_PGM_RSRC3_GFX90A:TG_SPLIT: 0
	.section	.text._ZN7rocprim17ROCPRIM_400000_NS6detail17trampoline_kernelINS0_14default_configENS1_20scan_config_selectorIfEEZZNS1_9scan_implILNS1_25lookback_scan_determinismE0ELb0ELb0ES3_N6thrust23THRUST_200600_302600_NS6detail15normal_iteratorINS9_10device_ptrIfEEEESE_fNS9_4plusIvEEfEEDaPvRmT3_T4_T5_mT6_P12ihipStream_tbENKUlT_T0_E_clISt17integral_constantIbLb1EEST_IbLb0EEEEDaSP_SQ_EUlSP_E0_NS1_11comp_targetILNS1_3genE2ELNS1_11target_archE906ELNS1_3gpuE6ELNS1_3repE0EEENS1_30default_config_static_selectorELNS0_4arch9wavefront6targetE1EEEvT1_,"axG",@progbits,_ZN7rocprim17ROCPRIM_400000_NS6detail17trampoline_kernelINS0_14default_configENS1_20scan_config_selectorIfEEZZNS1_9scan_implILNS1_25lookback_scan_determinismE0ELb0ELb0ES3_N6thrust23THRUST_200600_302600_NS6detail15normal_iteratorINS9_10device_ptrIfEEEESE_fNS9_4plusIvEEfEEDaPvRmT3_T4_T5_mT6_P12ihipStream_tbENKUlT_T0_E_clISt17integral_constantIbLb1EEST_IbLb0EEEEDaSP_SQ_EUlSP_E0_NS1_11comp_targetILNS1_3genE2ELNS1_11target_archE906ELNS1_3gpuE6ELNS1_3repE0EEENS1_30default_config_static_selectorELNS0_4arch9wavefront6targetE1EEEvT1_,comdat
	.protected	_ZN7rocprim17ROCPRIM_400000_NS6detail17trampoline_kernelINS0_14default_configENS1_20scan_config_selectorIfEEZZNS1_9scan_implILNS1_25lookback_scan_determinismE0ELb0ELb0ES3_N6thrust23THRUST_200600_302600_NS6detail15normal_iteratorINS9_10device_ptrIfEEEESE_fNS9_4plusIvEEfEEDaPvRmT3_T4_T5_mT6_P12ihipStream_tbENKUlT_T0_E_clISt17integral_constantIbLb1EEST_IbLb0EEEEDaSP_SQ_EUlSP_E0_NS1_11comp_targetILNS1_3genE2ELNS1_11target_archE906ELNS1_3gpuE6ELNS1_3repE0EEENS1_30default_config_static_selectorELNS0_4arch9wavefront6targetE1EEEvT1_ ; -- Begin function _ZN7rocprim17ROCPRIM_400000_NS6detail17trampoline_kernelINS0_14default_configENS1_20scan_config_selectorIfEEZZNS1_9scan_implILNS1_25lookback_scan_determinismE0ELb0ELb0ES3_N6thrust23THRUST_200600_302600_NS6detail15normal_iteratorINS9_10device_ptrIfEEEESE_fNS9_4plusIvEEfEEDaPvRmT3_T4_T5_mT6_P12ihipStream_tbENKUlT_T0_E_clISt17integral_constantIbLb1EEST_IbLb0EEEEDaSP_SQ_EUlSP_E0_NS1_11comp_targetILNS1_3genE2ELNS1_11target_archE906ELNS1_3gpuE6ELNS1_3repE0EEENS1_30default_config_static_selectorELNS0_4arch9wavefront6targetE1EEEvT1_
	.globl	_ZN7rocprim17ROCPRIM_400000_NS6detail17trampoline_kernelINS0_14default_configENS1_20scan_config_selectorIfEEZZNS1_9scan_implILNS1_25lookback_scan_determinismE0ELb0ELb0ES3_N6thrust23THRUST_200600_302600_NS6detail15normal_iteratorINS9_10device_ptrIfEEEESE_fNS9_4plusIvEEfEEDaPvRmT3_T4_T5_mT6_P12ihipStream_tbENKUlT_T0_E_clISt17integral_constantIbLb1EEST_IbLb0EEEEDaSP_SQ_EUlSP_E0_NS1_11comp_targetILNS1_3genE2ELNS1_11target_archE906ELNS1_3gpuE6ELNS1_3repE0EEENS1_30default_config_static_selectorELNS0_4arch9wavefront6targetE1EEEvT1_
	.p2align	8
	.type	_ZN7rocprim17ROCPRIM_400000_NS6detail17trampoline_kernelINS0_14default_configENS1_20scan_config_selectorIfEEZZNS1_9scan_implILNS1_25lookback_scan_determinismE0ELb0ELb0ES3_N6thrust23THRUST_200600_302600_NS6detail15normal_iteratorINS9_10device_ptrIfEEEESE_fNS9_4plusIvEEfEEDaPvRmT3_T4_T5_mT6_P12ihipStream_tbENKUlT_T0_E_clISt17integral_constantIbLb1EEST_IbLb0EEEEDaSP_SQ_EUlSP_E0_NS1_11comp_targetILNS1_3genE2ELNS1_11target_archE906ELNS1_3gpuE6ELNS1_3repE0EEENS1_30default_config_static_selectorELNS0_4arch9wavefront6targetE1EEEvT1_,@function
_ZN7rocprim17ROCPRIM_400000_NS6detail17trampoline_kernelINS0_14default_configENS1_20scan_config_selectorIfEEZZNS1_9scan_implILNS1_25lookback_scan_determinismE0ELb0ELb0ES3_N6thrust23THRUST_200600_302600_NS6detail15normal_iteratorINS9_10device_ptrIfEEEESE_fNS9_4plusIvEEfEEDaPvRmT3_T4_T5_mT6_P12ihipStream_tbENKUlT_T0_E_clISt17integral_constantIbLb1EEST_IbLb0EEEEDaSP_SQ_EUlSP_E0_NS1_11comp_targetILNS1_3genE2ELNS1_11target_archE906ELNS1_3gpuE6ELNS1_3repE0EEENS1_30default_config_static_selectorELNS0_4arch9wavefront6targetE1EEEvT1_: ; @_ZN7rocprim17ROCPRIM_400000_NS6detail17trampoline_kernelINS0_14default_configENS1_20scan_config_selectorIfEEZZNS1_9scan_implILNS1_25lookback_scan_determinismE0ELb0ELb0ES3_N6thrust23THRUST_200600_302600_NS6detail15normal_iteratorINS9_10device_ptrIfEEEESE_fNS9_4plusIvEEfEEDaPvRmT3_T4_T5_mT6_P12ihipStream_tbENKUlT_T0_E_clISt17integral_constantIbLb1EEST_IbLb0EEEEDaSP_SQ_EUlSP_E0_NS1_11comp_targetILNS1_3genE2ELNS1_11target_archE906ELNS1_3gpuE6ELNS1_3repE0EEENS1_30default_config_static_selectorELNS0_4arch9wavefront6targetE1EEEvT1_
; %bb.0:
	.section	.rodata,"a",@progbits
	.p2align	6, 0x0
	.amdhsa_kernel _ZN7rocprim17ROCPRIM_400000_NS6detail17trampoline_kernelINS0_14default_configENS1_20scan_config_selectorIfEEZZNS1_9scan_implILNS1_25lookback_scan_determinismE0ELb0ELb0ES3_N6thrust23THRUST_200600_302600_NS6detail15normal_iteratorINS9_10device_ptrIfEEEESE_fNS9_4plusIvEEfEEDaPvRmT3_T4_T5_mT6_P12ihipStream_tbENKUlT_T0_E_clISt17integral_constantIbLb1EEST_IbLb0EEEEDaSP_SQ_EUlSP_E0_NS1_11comp_targetILNS1_3genE2ELNS1_11target_archE906ELNS1_3gpuE6ELNS1_3repE0EEENS1_30default_config_static_selectorELNS0_4arch9wavefront6targetE1EEEvT1_
		.amdhsa_group_segment_fixed_size 0
		.amdhsa_private_segment_fixed_size 0
		.amdhsa_kernarg_size 32
		.amdhsa_user_sgpr_count 6
		.amdhsa_user_sgpr_private_segment_buffer 1
		.amdhsa_user_sgpr_dispatch_ptr 0
		.amdhsa_user_sgpr_queue_ptr 0
		.amdhsa_user_sgpr_kernarg_segment_ptr 1
		.amdhsa_user_sgpr_dispatch_id 0
		.amdhsa_user_sgpr_flat_scratch_init 0
		.amdhsa_user_sgpr_kernarg_preload_length 0
		.amdhsa_user_sgpr_kernarg_preload_offset 0
		.amdhsa_user_sgpr_private_segment_size 0
		.amdhsa_uses_dynamic_stack 0
		.amdhsa_system_sgpr_private_segment_wavefront_offset 0
		.amdhsa_system_sgpr_workgroup_id_x 1
		.amdhsa_system_sgpr_workgroup_id_y 0
		.amdhsa_system_sgpr_workgroup_id_z 0
		.amdhsa_system_sgpr_workgroup_info 0
		.amdhsa_system_vgpr_workitem_id 0
		.amdhsa_next_free_vgpr 1
		.amdhsa_next_free_sgpr 0
		.amdhsa_accum_offset 4
		.amdhsa_reserve_vcc 0
		.amdhsa_reserve_flat_scratch 0
		.amdhsa_float_round_mode_32 0
		.amdhsa_float_round_mode_16_64 0
		.amdhsa_float_denorm_mode_32 3
		.amdhsa_float_denorm_mode_16_64 3
		.amdhsa_dx10_clamp 1
		.amdhsa_ieee_mode 1
		.amdhsa_fp16_overflow 0
		.amdhsa_tg_split 0
		.amdhsa_exception_fp_ieee_invalid_op 0
		.amdhsa_exception_fp_denorm_src 0
		.amdhsa_exception_fp_ieee_div_zero 0
		.amdhsa_exception_fp_ieee_overflow 0
		.amdhsa_exception_fp_ieee_underflow 0
		.amdhsa_exception_fp_ieee_inexact 0
		.amdhsa_exception_int_div_zero 0
	.end_amdhsa_kernel
	.section	.text._ZN7rocprim17ROCPRIM_400000_NS6detail17trampoline_kernelINS0_14default_configENS1_20scan_config_selectorIfEEZZNS1_9scan_implILNS1_25lookback_scan_determinismE0ELb0ELb0ES3_N6thrust23THRUST_200600_302600_NS6detail15normal_iteratorINS9_10device_ptrIfEEEESE_fNS9_4plusIvEEfEEDaPvRmT3_T4_T5_mT6_P12ihipStream_tbENKUlT_T0_E_clISt17integral_constantIbLb1EEST_IbLb0EEEEDaSP_SQ_EUlSP_E0_NS1_11comp_targetILNS1_3genE2ELNS1_11target_archE906ELNS1_3gpuE6ELNS1_3repE0EEENS1_30default_config_static_selectorELNS0_4arch9wavefront6targetE1EEEvT1_,"axG",@progbits,_ZN7rocprim17ROCPRIM_400000_NS6detail17trampoline_kernelINS0_14default_configENS1_20scan_config_selectorIfEEZZNS1_9scan_implILNS1_25lookback_scan_determinismE0ELb0ELb0ES3_N6thrust23THRUST_200600_302600_NS6detail15normal_iteratorINS9_10device_ptrIfEEEESE_fNS9_4plusIvEEfEEDaPvRmT3_T4_T5_mT6_P12ihipStream_tbENKUlT_T0_E_clISt17integral_constantIbLb1EEST_IbLb0EEEEDaSP_SQ_EUlSP_E0_NS1_11comp_targetILNS1_3genE2ELNS1_11target_archE906ELNS1_3gpuE6ELNS1_3repE0EEENS1_30default_config_static_selectorELNS0_4arch9wavefront6targetE1EEEvT1_,comdat
.Lfunc_end4335:
	.size	_ZN7rocprim17ROCPRIM_400000_NS6detail17trampoline_kernelINS0_14default_configENS1_20scan_config_selectorIfEEZZNS1_9scan_implILNS1_25lookback_scan_determinismE0ELb0ELb0ES3_N6thrust23THRUST_200600_302600_NS6detail15normal_iteratorINS9_10device_ptrIfEEEESE_fNS9_4plusIvEEfEEDaPvRmT3_T4_T5_mT6_P12ihipStream_tbENKUlT_T0_E_clISt17integral_constantIbLb1EEST_IbLb0EEEEDaSP_SQ_EUlSP_E0_NS1_11comp_targetILNS1_3genE2ELNS1_11target_archE906ELNS1_3gpuE6ELNS1_3repE0EEENS1_30default_config_static_selectorELNS0_4arch9wavefront6targetE1EEEvT1_, .Lfunc_end4335-_ZN7rocprim17ROCPRIM_400000_NS6detail17trampoline_kernelINS0_14default_configENS1_20scan_config_selectorIfEEZZNS1_9scan_implILNS1_25lookback_scan_determinismE0ELb0ELb0ES3_N6thrust23THRUST_200600_302600_NS6detail15normal_iteratorINS9_10device_ptrIfEEEESE_fNS9_4plusIvEEfEEDaPvRmT3_T4_T5_mT6_P12ihipStream_tbENKUlT_T0_E_clISt17integral_constantIbLb1EEST_IbLb0EEEEDaSP_SQ_EUlSP_E0_NS1_11comp_targetILNS1_3genE2ELNS1_11target_archE906ELNS1_3gpuE6ELNS1_3repE0EEENS1_30default_config_static_selectorELNS0_4arch9wavefront6targetE1EEEvT1_
                                        ; -- End function
	.section	.AMDGPU.csdata,"",@progbits
; Kernel info:
; codeLenInByte = 0
; NumSgprs: 4
; NumVgprs: 0
; NumAgprs: 0
; TotalNumVgprs: 0
; ScratchSize: 0
; MemoryBound: 0
; FloatMode: 240
; IeeeMode: 1
; LDSByteSize: 0 bytes/workgroup (compile time only)
; SGPRBlocks: 0
; VGPRBlocks: 0
; NumSGPRsForWavesPerEU: 4
; NumVGPRsForWavesPerEU: 1
; AccumOffset: 4
; Occupancy: 8
; WaveLimiterHint : 0
; COMPUTE_PGM_RSRC2:SCRATCH_EN: 0
; COMPUTE_PGM_RSRC2:USER_SGPR: 6
; COMPUTE_PGM_RSRC2:TRAP_HANDLER: 0
; COMPUTE_PGM_RSRC2:TGID_X_EN: 1
; COMPUTE_PGM_RSRC2:TGID_Y_EN: 0
; COMPUTE_PGM_RSRC2:TGID_Z_EN: 0
; COMPUTE_PGM_RSRC2:TIDIG_COMP_CNT: 0
; COMPUTE_PGM_RSRC3_GFX90A:ACCUM_OFFSET: 0
; COMPUTE_PGM_RSRC3_GFX90A:TG_SPLIT: 0
	.section	.text._ZN7rocprim17ROCPRIM_400000_NS6detail17trampoline_kernelINS0_14default_configENS1_20scan_config_selectorIfEEZZNS1_9scan_implILNS1_25lookback_scan_determinismE0ELb0ELb0ES3_N6thrust23THRUST_200600_302600_NS6detail15normal_iteratorINS9_10device_ptrIfEEEESE_fNS9_4plusIvEEfEEDaPvRmT3_T4_T5_mT6_P12ihipStream_tbENKUlT_T0_E_clISt17integral_constantIbLb1EEST_IbLb0EEEEDaSP_SQ_EUlSP_E0_NS1_11comp_targetILNS1_3genE10ELNS1_11target_archE1201ELNS1_3gpuE5ELNS1_3repE0EEENS1_30default_config_static_selectorELNS0_4arch9wavefront6targetE1EEEvT1_,"axG",@progbits,_ZN7rocprim17ROCPRIM_400000_NS6detail17trampoline_kernelINS0_14default_configENS1_20scan_config_selectorIfEEZZNS1_9scan_implILNS1_25lookback_scan_determinismE0ELb0ELb0ES3_N6thrust23THRUST_200600_302600_NS6detail15normal_iteratorINS9_10device_ptrIfEEEESE_fNS9_4plusIvEEfEEDaPvRmT3_T4_T5_mT6_P12ihipStream_tbENKUlT_T0_E_clISt17integral_constantIbLb1EEST_IbLb0EEEEDaSP_SQ_EUlSP_E0_NS1_11comp_targetILNS1_3genE10ELNS1_11target_archE1201ELNS1_3gpuE5ELNS1_3repE0EEENS1_30default_config_static_selectorELNS0_4arch9wavefront6targetE1EEEvT1_,comdat
	.protected	_ZN7rocprim17ROCPRIM_400000_NS6detail17trampoline_kernelINS0_14default_configENS1_20scan_config_selectorIfEEZZNS1_9scan_implILNS1_25lookback_scan_determinismE0ELb0ELb0ES3_N6thrust23THRUST_200600_302600_NS6detail15normal_iteratorINS9_10device_ptrIfEEEESE_fNS9_4plusIvEEfEEDaPvRmT3_T4_T5_mT6_P12ihipStream_tbENKUlT_T0_E_clISt17integral_constantIbLb1EEST_IbLb0EEEEDaSP_SQ_EUlSP_E0_NS1_11comp_targetILNS1_3genE10ELNS1_11target_archE1201ELNS1_3gpuE5ELNS1_3repE0EEENS1_30default_config_static_selectorELNS0_4arch9wavefront6targetE1EEEvT1_ ; -- Begin function _ZN7rocprim17ROCPRIM_400000_NS6detail17trampoline_kernelINS0_14default_configENS1_20scan_config_selectorIfEEZZNS1_9scan_implILNS1_25lookback_scan_determinismE0ELb0ELb0ES3_N6thrust23THRUST_200600_302600_NS6detail15normal_iteratorINS9_10device_ptrIfEEEESE_fNS9_4plusIvEEfEEDaPvRmT3_T4_T5_mT6_P12ihipStream_tbENKUlT_T0_E_clISt17integral_constantIbLb1EEST_IbLb0EEEEDaSP_SQ_EUlSP_E0_NS1_11comp_targetILNS1_3genE10ELNS1_11target_archE1201ELNS1_3gpuE5ELNS1_3repE0EEENS1_30default_config_static_selectorELNS0_4arch9wavefront6targetE1EEEvT1_
	.globl	_ZN7rocprim17ROCPRIM_400000_NS6detail17trampoline_kernelINS0_14default_configENS1_20scan_config_selectorIfEEZZNS1_9scan_implILNS1_25lookback_scan_determinismE0ELb0ELb0ES3_N6thrust23THRUST_200600_302600_NS6detail15normal_iteratorINS9_10device_ptrIfEEEESE_fNS9_4plusIvEEfEEDaPvRmT3_T4_T5_mT6_P12ihipStream_tbENKUlT_T0_E_clISt17integral_constantIbLb1EEST_IbLb0EEEEDaSP_SQ_EUlSP_E0_NS1_11comp_targetILNS1_3genE10ELNS1_11target_archE1201ELNS1_3gpuE5ELNS1_3repE0EEENS1_30default_config_static_selectorELNS0_4arch9wavefront6targetE1EEEvT1_
	.p2align	8
	.type	_ZN7rocprim17ROCPRIM_400000_NS6detail17trampoline_kernelINS0_14default_configENS1_20scan_config_selectorIfEEZZNS1_9scan_implILNS1_25lookback_scan_determinismE0ELb0ELb0ES3_N6thrust23THRUST_200600_302600_NS6detail15normal_iteratorINS9_10device_ptrIfEEEESE_fNS9_4plusIvEEfEEDaPvRmT3_T4_T5_mT6_P12ihipStream_tbENKUlT_T0_E_clISt17integral_constantIbLb1EEST_IbLb0EEEEDaSP_SQ_EUlSP_E0_NS1_11comp_targetILNS1_3genE10ELNS1_11target_archE1201ELNS1_3gpuE5ELNS1_3repE0EEENS1_30default_config_static_selectorELNS0_4arch9wavefront6targetE1EEEvT1_,@function
_ZN7rocprim17ROCPRIM_400000_NS6detail17trampoline_kernelINS0_14default_configENS1_20scan_config_selectorIfEEZZNS1_9scan_implILNS1_25lookback_scan_determinismE0ELb0ELb0ES3_N6thrust23THRUST_200600_302600_NS6detail15normal_iteratorINS9_10device_ptrIfEEEESE_fNS9_4plusIvEEfEEDaPvRmT3_T4_T5_mT6_P12ihipStream_tbENKUlT_T0_E_clISt17integral_constantIbLb1EEST_IbLb0EEEEDaSP_SQ_EUlSP_E0_NS1_11comp_targetILNS1_3genE10ELNS1_11target_archE1201ELNS1_3gpuE5ELNS1_3repE0EEENS1_30default_config_static_selectorELNS0_4arch9wavefront6targetE1EEEvT1_: ; @_ZN7rocprim17ROCPRIM_400000_NS6detail17trampoline_kernelINS0_14default_configENS1_20scan_config_selectorIfEEZZNS1_9scan_implILNS1_25lookback_scan_determinismE0ELb0ELb0ES3_N6thrust23THRUST_200600_302600_NS6detail15normal_iteratorINS9_10device_ptrIfEEEESE_fNS9_4plusIvEEfEEDaPvRmT3_T4_T5_mT6_P12ihipStream_tbENKUlT_T0_E_clISt17integral_constantIbLb1EEST_IbLb0EEEEDaSP_SQ_EUlSP_E0_NS1_11comp_targetILNS1_3genE10ELNS1_11target_archE1201ELNS1_3gpuE5ELNS1_3repE0EEENS1_30default_config_static_selectorELNS0_4arch9wavefront6targetE1EEEvT1_
; %bb.0:
	.section	.rodata,"a",@progbits
	.p2align	6, 0x0
	.amdhsa_kernel _ZN7rocprim17ROCPRIM_400000_NS6detail17trampoline_kernelINS0_14default_configENS1_20scan_config_selectorIfEEZZNS1_9scan_implILNS1_25lookback_scan_determinismE0ELb0ELb0ES3_N6thrust23THRUST_200600_302600_NS6detail15normal_iteratorINS9_10device_ptrIfEEEESE_fNS9_4plusIvEEfEEDaPvRmT3_T4_T5_mT6_P12ihipStream_tbENKUlT_T0_E_clISt17integral_constantIbLb1EEST_IbLb0EEEEDaSP_SQ_EUlSP_E0_NS1_11comp_targetILNS1_3genE10ELNS1_11target_archE1201ELNS1_3gpuE5ELNS1_3repE0EEENS1_30default_config_static_selectorELNS0_4arch9wavefront6targetE1EEEvT1_
		.amdhsa_group_segment_fixed_size 0
		.amdhsa_private_segment_fixed_size 0
		.amdhsa_kernarg_size 32
		.amdhsa_user_sgpr_count 6
		.amdhsa_user_sgpr_private_segment_buffer 1
		.amdhsa_user_sgpr_dispatch_ptr 0
		.amdhsa_user_sgpr_queue_ptr 0
		.amdhsa_user_sgpr_kernarg_segment_ptr 1
		.amdhsa_user_sgpr_dispatch_id 0
		.amdhsa_user_sgpr_flat_scratch_init 0
		.amdhsa_user_sgpr_kernarg_preload_length 0
		.amdhsa_user_sgpr_kernarg_preload_offset 0
		.amdhsa_user_sgpr_private_segment_size 0
		.amdhsa_uses_dynamic_stack 0
		.amdhsa_system_sgpr_private_segment_wavefront_offset 0
		.amdhsa_system_sgpr_workgroup_id_x 1
		.amdhsa_system_sgpr_workgroup_id_y 0
		.amdhsa_system_sgpr_workgroup_id_z 0
		.amdhsa_system_sgpr_workgroup_info 0
		.amdhsa_system_vgpr_workitem_id 0
		.amdhsa_next_free_vgpr 1
		.amdhsa_next_free_sgpr 0
		.amdhsa_accum_offset 4
		.amdhsa_reserve_vcc 0
		.amdhsa_reserve_flat_scratch 0
		.amdhsa_float_round_mode_32 0
		.amdhsa_float_round_mode_16_64 0
		.amdhsa_float_denorm_mode_32 3
		.amdhsa_float_denorm_mode_16_64 3
		.amdhsa_dx10_clamp 1
		.amdhsa_ieee_mode 1
		.amdhsa_fp16_overflow 0
		.amdhsa_tg_split 0
		.amdhsa_exception_fp_ieee_invalid_op 0
		.amdhsa_exception_fp_denorm_src 0
		.amdhsa_exception_fp_ieee_div_zero 0
		.amdhsa_exception_fp_ieee_overflow 0
		.amdhsa_exception_fp_ieee_underflow 0
		.amdhsa_exception_fp_ieee_inexact 0
		.amdhsa_exception_int_div_zero 0
	.end_amdhsa_kernel
	.section	.text._ZN7rocprim17ROCPRIM_400000_NS6detail17trampoline_kernelINS0_14default_configENS1_20scan_config_selectorIfEEZZNS1_9scan_implILNS1_25lookback_scan_determinismE0ELb0ELb0ES3_N6thrust23THRUST_200600_302600_NS6detail15normal_iteratorINS9_10device_ptrIfEEEESE_fNS9_4plusIvEEfEEDaPvRmT3_T4_T5_mT6_P12ihipStream_tbENKUlT_T0_E_clISt17integral_constantIbLb1EEST_IbLb0EEEEDaSP_SQ_EUlSP_E0_NS1_11comp_targetILNS1_3genE10ELNS1_11target_archE1201ELNS1_3gpuE5ELNS1_3repE0EEENS1_30default_config_static_selectorELNS0_4arch9wavefront6targetE1EEEvT1_,"axG",@progbits,_ZN7rocprim17ROCPRIM_400000_NS6detail17trampoline_kernelINS0_14default_configENS1_20scan_config_selectorIfEEZZNS1_9scan_implILNS1_25lookback_scan_determinismE0ELb0ELb0ES3_N6thrust23THRUST_200600_302600_NS6detail15normal_iteratorINS9_10device_ptrIfEEEESE_fNS9_4plusIvEEfEEDaPvRmT3_T4_T5_mT6_P12ihipStream_tbENKUlT_T0_E_clISt17integral_constantIbLb1EEST_IbLb0EEEEDaSP_SQ_EUlSP_E0_NS1_11comp_targetILNS1_3genE10ELNS1_11target_archE1201ELNS1_3gpuE5ELNS1_3repE0EEENS1_30default_config_static_selectorELNS0_4arch9wavefront6targetE1EEEvT1_,comdat
.Lfunc_end4336:
	.size	_ZN7rocprim17ROCPRIM_400000_NS6detail17trampoline_kernelINS0_14default_configENS1_20scan_config_selectorIfEEZZNS1_9scan_implILNS1_25lookback_scan_determinismE0ELb0ELb0ES3_N6thrust23THRUST_200600_302600_NS6detail15normal_iteratorINS9_10device_ptrIfEEEESE_fNS9_4plusIvEEfEEDaPvRmT3_T4_T5_mT6_P12ihipStream_tbENKUlT_T0_E_clISt17integral_constantIbLb1EEST_IbLb0EEEEDaSP_SQ_EUlSP_E0_NS1_11comp_targetILNS1_3genE10ELNS1_11target_archE1201ELNS1_3gpuE5ELNS1_3repE0EEENS1_30default_config_static_selectorELNS0_4arch9wavefront6targetE1EEEvT1_, .Lfunc_end4336-_ZN7rocprim17ROCPRIM_400000_NS6detail17trampoline_kernelINS0_14default_configENS1_20scan_config_selectorIfEEZZNS1_9scan_implILNS1_25lookback_scan_determinismE0ELb0ELb0ES3_N6thrust23THRUST_200600_302600_NS6detail15normal_iteratorINS9_10device_ptrIfEEEESE_fNS9_4plusIvEEfEEDaPvRmT3_T4_T5_mT6_P12ihipStream_tbENKUlT_T0_E_clISt17integral_constantIbLb1EEST_IbLb0EEEEDaSP_SQ_EUlSP_E0_NS1_11comp_targetILNS1_3genE10ELNS1_11target_archE1201ELNS1_3gpuE5ELNS1_3repE0EEENS1_30default_config_static_selectorELNS0_4arch9wavefront6targetE1EEEvT1_
                                        ; -- End function
	.section	.AMDGPU.csdata,"",@progbits
; Kernel info:
; codeLenInByte = 0
; NumSgprs: 4
; NumVgprs: 0
; NumAgprs: 0
; TotalNumVgprs: 0
; ScratchSize: 0
; MemoryBound: 0
; FloatMode: 240
; IeeeMode: 1
; LDSByteSize: 0 bytes/workgroup (compile time only)
; SGPRBlocks: 0
; VGPRBlocks: 0
; NumSGPRsForWavesPerEU: 4
; NumVGPRsForWavesPerEU: 1
; AccumOffset: 4
; Occupancy: 8
; WaveLimiterHint : 0
; COMPUTE_PGM_RSRC2:SCRATCH_EN: 0
; COMPUTE_PGM_RSRC2:USER_SGPR: 6
; COMPUTE_PGM_RSRC2:TRAP_HANDLER: 0
; COMPUTE_PGM_RSRC2:TGID_X_EN: 1
; COMPUTE_PGM_RSRC2:TGID_Y_EN: 0
; COMPUTE_PGM_RSRC2:TGID_Z_EN: 0
; COMPUTE_PGM_RSRC2:TIDIG_COMP_CNT: 0
; COMPUTE_PGM_RSRC3_GFX90A:ACCUM_OFFSET: 0
; COMPUTE_PGM_RSRC3_GFX90A:TG_SPLIT: 0
	.section	.text._ZN7rocprim17ROCPRIM_400000_NS6detail17trampoline_kernelINS0_14default_configENS1_20scan_config_selectorIfEEZZNS1_9scan_implILNS1_25lookback_scan_determinismE0ELb0ELb0ES3_N6thrust23THRUST_200600_302600_NS6detail15normal_iteratorINS9_10device_ptrIfEEEESE_fNS9_4plusIvEEfEEDaPvRmT3_T4_T5_mT6_P12ihipStream_tbENKUlT_T0_E_clISt17integral_constantIbLb1EEST_IbLb0EEEEDaSP_SQ_EUlSP_E0_NS1_11comp_targetILNS1_3genE10ELNS1_11target_archE1200ELNS1_3gpuE4ELNS1_3repE0EEENS1_30default_config_static_selectorELNS0_4arch9wavefront6targetE1EEEvT1_,"axG",@progbits,_ZN7rocprim17ROCPRIM_400000_NS6detail17trampoline_kernelINS0_14default_configENS1_20scan_config_selectorIfEEZZNS1_9scan_implILNS1_25lookback_scan_determinismE0ELb0ELb0ES3_N6thrust23THRUST_200600_302600_NS6detail15normal_iteratorINS9_10device_ptrIfEEEESE_fNS9_4plusIvEEfEEDaPvRmT3_T4_T5_mT6_P12ihipStream_tbENKUlT_T0_E_clISt17integral_constantIbLb1EEST_IbLb0EEEEDaSP_SQ_EUlSP_E0_NS1_11comp_targetILNS1_3genE10ELNS1_11target_archE1200ELNS1_3gpuE4ELNS1_3repE0EEENS1_30default_config_static_selectorELNS0_4arch9wavefront6targetE1EEEvT1_,comdat
	.protected	_ZN7rocprim17ROCPRIM_400000_NS6detail17trampoline_kernelINS0_14default_configENS1_20scan_config_selectorIfEEZZNS1_9scan_implILNS1_25lookback_scan_determinismE0ELb0ELb0ES3_N6thrust23THRUST_200600_302600_NS6detail15normal_iteratorINS9_10device_ptrIfEEEESE_fNS9_4plusIvEEfEEDaPvRmT3_T4_T5_mT6_P12ihipStream_tbENKUlT_T0_E_clISt17integral_constantIbLb1EEST_IbLb0EEEEDaSP_SQ_EUlSP_E0_NS1_11comp_targetILNS1_3genE10ELNS1_11target_archE1200ELNS1_3gpuE4ELNS1_3repE0EEENS1_30default_config_static_selectorELNS0_4arch9wavefront6targetE1EEEvT1_ ; -- Begin function _ZN7rocprim17ROCPRIM_400000_NS6detail17trampoline_kernelINS0_14default_configENS1_20scan_config_selectorIfEEZZNS1_9scan_implILNS1_25lookback_scan_determinismE0ELb0ELb0ES3_N6thrust23THRUST_200600_302600_NS6detail15normal_iteratorINS9_10device_ptrIfEEEESE_fNS9_4plusIvEEfEEDaPvRmT3_T4_T5_mT6_P12ihipStream_tbENKUlT_T0_E_clISt17integral_constantIbLb1EEST_IbLb0EEEEDaSP_SQ_EUlSP_E0_NS1_11comp_targetILNS1_3genE10ELNS1_11target_archE1200ELNS1_3gpuE4ELNS1_3repE0EEENS1_30default_config_static_selectorELNS0_4arch9wavefront6targetE1EEEvT1_
	.globl	_ZN7rocprim17ROCPRIM_400000_NS6detail17trampoline_kernelINS0_14default_configENS1_20scan_config_selectorIfEEZZNS1_9scan_implILNS1_25lookback_scan_determinismE0ELb0ELb0ES3_N6thrust23THRUST_200600_302600_NS6detail15normal_iteratorINS9_10device_ptrIfEEEESE_fNS9_4plusIvEEfEEDaPvRmT3_T4_T5_mT6_P12ihipStream_tbENKUlT_T0_E_clISt17integral_constantIbLb1EEST_IbLb0EEEEDaSP_SQ_EUlSP_E0_NS1_11comp_targetILNS1_3genE10ELNS1_11target_archE1200ELNS1_3gpuE4ELNS1_3repE0EEENS1_30default_config_static_selectorELNS0_4arch9wavefront6targetE1EEEvT1_
	.p2align	8
	.type	_ZN7rocprim17ROCPRIM_400000_NS6detail17trampoline_kernelINS0_14default_configENS1_20scan_config_selectorIfEEZZNS1_9scan_implILNS1_25lookback_scan_determinismE0ELb0ELb0ES3_N6thrust23THRUST_200600_302600_NS6detail15normal_iteratorINS9_10device_ptrIfEEEESE_fNS9_4plusIvEEfEEDaPvRmT3_T4_T5_mT6_P12ihipStream_tbENKUlT_T0_E_clISt17integral_constantIbLb1EEST_IbLb0EEEEDaSP_SQ_EUlSP_E0_NS1_11comp_targetILNS1_3genE10ELNS1_11target_archE1200ELNS1_3gpuE4ELNS1_3repE0EEENS1_30default_config_static_selectorELNS0_4arch9wavefront6targetE1EEEvT1_,@function
_ZN7rocprim17ROCPRIM_400000_NS6detail17trampoline_kernelINS0_14default_configENS1_20scan_config_selectorIfEEZZNS1_9scan_implILNS1_25lookback_scan_determinismE0ELb0ELb0ES3_N6thrust23THRUST_200600_302600_NS6detail15normal_iteratorINS9_10device_ptrIfEEEESE_fNS9_4plusIvEEfEEDaPvRmT3_T4_T5_mT6_P12ihipStream_tbENKUlT_T0_E_clISt17integral_constantIbLb1EEST_IbLb0EEEEDaSP_SQ_EUlSP_E0_NS1_11comp_targetILNS1_3genE10ELNS1_11target_archE1200ELNS1_3gpuE4ELNS1_3repE0EEENS1_30default_config_static_selectorELNS0_4arch9wavefront6targetE1EEEvT1_: ; @_ZN7rocprim17ROCPRIM_400000_NS6detail17trampoline_kernelINS0_14default_configENS1_20scan_config_selectorIfEEZZNS1_9scan_implILNS1_25lookback_scan_determinismE0ELb0ELb0ES3_N6thrust23THRUST_200600_302600_NS6detail15normal_iteratorINS9_10device_ptrIfEEEESE_fNS9_4plusIvEEfEEDaPvRmT3_T4_T5_mT6_P12ihipStream_tbENKUlT_T0_E_clISt17integral_constantIbLb1EEST_IbLb0EEEEDaSP_SQ_EUlSP_E0_NS1_11comp_targetILNS1_3genE10ELNS1_11target_archE1200ELNS1_3gpuE4ELNS1_3repE0EEENS1_30default_config_static_selectorELNS0_4arch9wavefront6targetE1EEEvT1_
; %bb.0:
	.section	.rodata,"a",@progbits
	.p2align	6, 0x0
	.amdhsa_kernel _ZN7rocprim17ROCPRIM_400000_NS6detail17trampoline_kernelINS0_14default_configENS1_20scan_config_selectorIfEEZZNS1_9scan_implILNS1_25lookback_scan_determinismE0ELb0ELb0ES3_N6thrust23THRUST_200600_302600_NS6detail15normal_iteratorINS9_10device_ptrIfEEEESE_fNS9_4plusIvEEfEEDaPvRmT3_T4_T5_mT6_P12ihipStream_tbENKUlT_T0_E_clISt17integral_constantIbLb1EEST_IbLb0EEEEDaSP_SQ_EUlSP_E0_NS1_11comp_targetILNS1_3genE10ELNS1_11target_archE1200ELNS1_3gpuE4ELNS1_3repE0EEENS1_30default_config_static_selectorELNS0_4arch9wavefront6targetE1EEEvT1_
		.amdhsa_group_segment_fixed_size 0
		.amdhsa_private_segment_fixed_size 0
		.amdhsa_kernarg_size 32
		.amdhsa_user_sgpr_count 6
		.amdhsa_user_sgpr_private_segment_buffer 1
		.amdhsa_user_sgpr_dispatch_ptr 0
		.amdhsa_user_sgpr_queue_ptr 0
		.amdhsa_user_sgpr_kernarg_segment_ptr 1
		.amdhsa_user_sgpr_dispatch_id 0
		.amdhsa_user_sgpr_flat_scratch_init 0
		.amdhsa_user_sgpr_kernarg_preload_length 0
		.amdhsa_user_sgpr_kernarg_preload_offset 0
		.amdhsa_user_sgpr_private_segment_size 0
		.amdhsa_uses_dynamic_stack 0
		.amdhsa_system_sgpr_private_segment_wavefront_offset 0
		.amdhsa_system_sgpr_workgroup_id_x 1
		.amdhsa_system_sgpr_workgroup_id_y 0
		.amdhsa_system_sgpr_workgroup_id_z 0
		.amdhsa_system_sgpr_workgroup_info 0
		.amdhsa_system_vgpr_workitem_id 0
		.amdhsa_next_free_vgpr 1
		.amdhsa_next_free_sgpr 0
		.amdhsa_accum_offset 4
		.amdhsa_reserve_vcc 0
		.amdhsa_reserve_flat_scratch 0
		.amdhsa_float_round_mode_32 0
		.amdhsa_float_round_mode_16_64 0
		.amdhsa_float_denorm_mode_32 3
		.amdhsa_float_denorm_mode_16_64 3
		.amdhsa_dx10_clamp 1
		.amdhsa_ieee_mode 1
		.amdhsa_fp16_overflow 0
		.amdhsa_tg_split 0
		.amdhsa_exception_fp_ieee_invalid_op 0
		.amdhsa_exception_fp_denorm_src 0
		.amdhsa_exception_fp_ieee_div_zero 0
		.amdhsa_exception_fp_ieee_overflow 0
		.amdhsa_exception_fp_ieee_underflow 0
		.amdhsa_exception_fp_ieee_inexact 0
		.amdhsa_exception_int_div_zero 0
	.end_amdhsa_kernel
	.section	.text._ZN7rocprim17ROCPRIM_400000_NS6detail17trampoline_kernelINS0_14default_configENS1_20scan_config_selectorIfEEZZNS1_9scan_implILNS1_25lookback_scan_determinismE0ELb0ELb0ES3_N6thrust23THRUST_200600_302600_NS6detail15normal_iteratorINS9_10device_ptrIfEEEESE_fNS9_4plusIvEEfEEDaPvRmT3_T4_T5_mT6_P12ihipStream_tbENKUlT_T0_E_clISt17integral_constantIbLb1EEST_IbLb0EEEEDaSP_SQ_EUlSP_E0_NS1_11comp_targetILNS1_3genE10ELNS1_11target_archE1200ELNS1_3gpuE4ELNS1_3repE0EEENS1_30default_config_static_selectorELNS0_4arch9wavefront6targetE1EEEvT1_,"axG",@progbits,_ZN7rocprim17ROCPRIM_400000_NS6detail17trampoline_kernelINS0_14default_configENS1_20scan_config_selectorIfEEZZNS1_9scan_implILNS1_25lookback_scan_determinismE0ELb0ELb0ES3_N6thrust23THRUST_200600_302600_NS6detail15normal_iteratorINS9_10device_ptrIfEEEESE_fNS9_4plusIvEEfEEDaPvRmT3_T4_T5_mT6_P12ihipStream_tbENKUlT_T0_E_clISt17integral_constantIbLb1EEST_IbLb0EEEEDaSP_SQ_EUlSP_E0_NS1_11comp_targetILNS1_3genE10ELNS1_11target_archE1200ELNS1_3gpuE4ELNS1_3repE0EEENS1_30default_config_static_selectorELNS0_4arch9wavefront6targetE1EEEvT1_,comdat
.Lfunc_end4337:
	.size	_ZN7rocprim17ROCPRIM_400000_NS6detail17trampoline_kernelINS0_14default_configENS1_20scan_config_selectorIfEEZZNS1_9scan_implILNS1_25lookback_scan_determinismE0ELb0ELb0ES3_N6thrust23THRUST_200600_302600_NS6detail15normal_iteratorINS9_10device_ptrIfEEEESE_fNS9_4plusIvEEfEEDaPvRmT3_T4_T5_mT6_P12ihipStream_tbENKUlT_T0_E_clISt17integral_constantIbLb1EEST_IbLb0EEEEDaSP_SQ_EUlSP_E0_NS1_11comp_targetILNS1_3genE10ELNS1_11target_archE1200ELNS1_3gpuE4ELNS1_3repE0EEENS1_30default_config_static_selectorELNS0_4arch9wavefront6targetE1EEEvT1_, .Lfunc_end4337-_ZN7rocprim17ROCPRIM_400000_NS6detail17trampoline_kernelINS0_14default_configENS1_20scan_config_selectorIfEEZZNS1_9scan_implILNS1_25lookback_scan_determinismE0ELb0ELb0ES3_N6thrust23THRUST_200600_302600_NS6detail15normal_iteratorINS9_10device_ptrIfEEEESE_fNS9_4plusIvEEfEEDaPvRmT3_T4_T5_mT6_P12ihipStream_tbENKUlT_T0_E_clISt17integral_constantIbLb1EEST_IbLb0EEEEDaSP_SQ_EUlSP_E0_NS1_11comp_targetILNS1_3genE10ELNS1_11target_archE1200ELNS1_3gpuE4ELNS1_3repE0EEENS1_30default_config_static_selectorELNS0_4arch9wavefront6targetE1EEEvT1_
                                        ; -- End function
	.section	.AMDGPU.csdata,"",@progbits
; Kernel info:
; codeLenInByte = 0
; NumSgprs: 4
; NumVgprs: 0
; NumAgprs: 0
; TotalNumVgprs: 0
; ScratchSize: 0
; MemoryBound: 0
; FloatMode: 240
; IeeeMode: 1
; LDSByteSize: 0 bytes/workgroup (compile time only)
; SGPRBlocks: 0
; VGPRBlocks: 0
; NumSGPRsForWavesPerEU: 4
; NumVGPRsForWavesPerEU: 1
; AccumOffset: 4
; Occupancy: 8
; WaveLimiterHint : 0
; COMPUTE_PGM_RSRC2:SCRATCH_EN: 0
; COMPUTE_PGM_RSRC2:USER_SGPR: 6
; COMPUTE_PGM_RSRC2:TRAP_HANDLER: 0
; COMPUTE_PGM_RSRC2:TGID_X_EN: 1
; COMPUTE_PGM_RSRC2:TGID_Y_EN: 0
; COMPUTE_PGM_RSRC2:TGID_Z_EN: 0
; COMPUTE_PGM_RSRC2:TIDIG_COMP_CNT: 0
; COMPUTE_PGM_RSRC3_GFX90A:ACCUM_OFFSET: 0
; COMPUTE_PGM_RSRC3_GFX90A:TG_SPLIT: 0
	.section	.text._ZN7rocprim17ROCPRIM_400000_NS6detail17trampoline_kernelINS0_14default_configENS1_20scan_config_selectorIfEEZZNS1_9scan_implILNS1_25lookback_scan_determinismE0ELb0ELb0ES3_N6thrust23THRUST_200600_302600_NS6detail15normal_iteratorINS9_10device_ptrIfEEEESE_fNS9_4plusIvEEfEEDaPvRmT3_T4_T5_mT6_P12ihipStream_tbENKUlT_T0_E_clISt17integral_constantIbLb1EEST_IbLb0EEEEDaSP_SQ_EUlSP_E0_NS1_11comp_targetILNS1_3genE9ELNS1_11target_archE1100ELNS1_3gpuE3ELNS1_3repE0EEENS1_30default_config_static_selectorELNS0_4arch9wavefront6targetE1EEEvT1_,"axG",@progbits,_ZN7rocprim17ROCPRIM_400000_NS6detail17trampoline_kernelINS0_14default_configENS1_20scan_config_selectorIfEEZZNS1_9scan_implILNS1_25lookback_scan_determinismE0ELb0ELb0ES3_N6thrust23THRUST_200600_302600_NS6detail15normal_iteratorINS9_10device_ptrIfEEEESE_fNS9_4plusIvEEfEEDaPvRmT3_T4_T5_mT6_P12ihipStream_tbENKUlT_T0_E_clISt17integral_constantIbLb1EEST_IbLb0EEEEDaSP_SQ_EUlSP_E0_NS1_11comp_targetILNS1_3genE9ELNS1_11target_archE1100ELNS1_3gpuE3ELNS1_3repE0EEENS1_30default_config_static_selectorELNS0_4arch9wavefront6targetE1EEEvT1_,comdat
	.protected	_ZN7rocprim17ROCPRIM_400000_NS6detail17trampoline_kernelINS0_14default_configENS1_20scan_config_selectorIfEEZZNS1_9scan_implILNS1_25lookback_scan_determinismE0ELb0ELb0ES3_N6thrust23THRUST_200600_302600_NS6detail15normal_iteratorINS9_10device_ptrIfEEEESE_fNS9_4plusIvEEfEEDaPvRmT3_T4_T5_mT6_P12ihipStream_tbENKUlT_T0_E_clISt17integral_constantIbLb1EEST_IbLb0EEEEDaSP_SQ_EUlSP_E0_NS1_11comp_targetILNS1_3genE9ELNS1_11target_archE1100ELNS1_3gpuE3ELNS1_3repE0EEENS1_30default_config_static_selectorELNS0_4arch9wavefront6targetE1EEEvT1_ ; -- Begin function _ZN7rocprim17ROCPRIM_400000_NS6detail17trampoline_kernelINS0_14default_configENS1_20scan_config_selectorIfEEZZNS1_9scan_implILNS1_25lookback_scan_determinismE0ELb0ELb0ES3_N6thrust23THRUST_200600_302600_NS6detail15normal_iteratorINS9_10device_ptrIfEEEESE_fNS9_4plusIvEEfEEDaPvRmT3_T4_T5_mT6_P12ihipStream_tbENKUlT_T0_E_clISt17integral_constantIbLb1EEST_IbLb0EEEEDaSP_SQ_EUlSP_E0_NS1_11comp_targetILNS1_3genE9ELNS1_11target_archE1100ELNS1_3gpuE3ELNS1_3repE0EEENS1_30default_config_static_selectorELNS0_4arch9wavefront6targetE1EEEvT1_
	.globl	_ZN7rocprim17ROCPRIM_400000_NS6detail17trampoline_kernelINS0_14default_configENS1_20scan_config_selectorIfEEZZNS1_9scan_implILNS1_25lookback_scan_determinismE0ELb0ELb0ES3_N6thrust23THRUST_200600_302600_NS6detail15normal_iteratorINS9_10device_ptrIfEEEESE_fNS9_4plusIvEEfEEDaPvRmT3_T4_T5_mT6_P12ihipStream_tbENKUlT_T0_E_clISt17integral_constantIbLb1EEST_IbLb0EEEEDaSP_SQ_EUlSP_E0_NS1_11comp_targetILNS1_3genE9ELNS1_11target_archE1100ELNS1_3gpuE3ELNS1_3repE0EEENS1_30default_config_static_selectorELNS0_4arch9wavefront6targetE1EEEvT1_
	.p2align	8
	.type	_ZN7rocprim17ROCPRIM_400000_NS6detail17trampoline_kernelINS0_14default_configENS1_20scan_config_selectorIfEEZZNS1_9scan_implILNS1_25lookback_scan_determinismE0ELb0ELb0ES3_N6thrust23THRUST_200600_302600_NS6detail15normal_iteratorINS9_10device_ptrIfEEEESE_fNS9_4plusIvEEfEEDaPvRmT3_T4_T5_mT6_P12ihipStream_tbENKUlT_T0_E_clISt17integral_constantIbLb1EEST_IbLb0EEEEDaSP_SQ_EUlSP_E0_NS1_11comp_targetILNS1_3genE9ELNS1_11target_archE1100ELNS1_3gpuE3ELNS1_3repE0EEENS1_30default_config_static_selectorELNS0_4arch9wavefront6targetE1EEEvT1_,@function
_ZN7rocprim17ROCPRIM_400000_NS6detail17trampoline_kernelINS0_14default_configENS1_20scan_config_selectorIfEEZZNS1_9scan_implILNS1_25lookback_scan_determinismE0ELb0ELb0ES3_N6thrust23THRUST_200600_302600_NS6detail15normal_iteratorINS9_10device_ptrIfEEEESE_fNS9_4plusIvEEfEEDaPvRmT3_T4_T5_mT6_P12ihipStream_tbENKUlT_T0_E_clISt17integral_constantIbLb1EEST_IbLb0EEEEDaSP_SQ_EUlSP_E0_NS1_11comp_targetILNS1_3genE9ELNS1_11target_archE1100ELNS1_3gpuE3ELNS1_3repE0EEENS1_30default_config_static_selectorELNS0_4arch9wavefront6targetE1EEEvT1_: ; @_ZN7rocprim17ROCPRIM_400000_NS6detail17trampoline_kernelINS0_14default_configENS1_20scan_config_selectorIfEEZZNS1_9scan_implILNS1_25lookback_scan_determinismE0ELb0ELb0ES3_N6thrust23THRUST_200600_302600_NS6detail15normal_iteratorINS9_10device_ptrIfEEEESE_fNS9_4plusIvEEfEEDaPvRmT3_T4_T5_mT6_P12ihipStream_tbENKUlT_T0_E_clISt17integral_constantIbLb1EEST_IbLb0EEEEDaSP_SQ_EUlSP_E0_NS1_11comp_targetILNS1_3genE9ELNS1_11target_archE1100ELNS1_3gpuE3ELNS1_3repE0EEENS1_30default_config_static_selectorELNS0_4arch9wavefront6targetE1EEEvT1_
; %bb.0:
	.section	.rodata,"a",@progbits
	.p2align	6, 0x0
	.amdhsa_kernel _ZN7rocprim17ROCPRIM_400000_NS6detail17trampoline_kernelINS0_14default_configENS1_20scan_config_selectorIfEEZZNS1_9scan_implILNS1_25lookback_scan_determinismE0ELb0ELb0ES3_N6thrust23THRUST_200600_302600_NS6detail15normal_iteratorINS9_10device_ptrIfEEEESE_fNS9_4plusIvEEfEEDaPvRmT3_T4_T5_mT6_P12ihipStream_tbENKUlT_T0_E_clISt17integral_constantIbLb1EEST_IbLb0EEEEDaSP_SQ_EUlSP_E0_NS1_11comp_targetILNS1_3genE9ELNS1_11target_archE1100ELNS1_3gpuE3ELNS1_3repE0EEENS1_30default_config_static_selectorELNS0_4arch9wavefront6targetE1EEEvT1_
		.amdhsa_group_segment_fixed_size 0
		.amdhsa_private_segment_fixed_size 0
		.amdhsa_kernarg_size 32
		.amdhsa_user_sgpr_count 6
		.amdhsa_user_sgpr_private_segment_buffer 1
		.amdhsa_user_sgpr_dispatch_ptr 0
		.amdhsa_user_sgpr_queue_ptr 0
		.amdhsa_user_sgpr_kernarg_segment_ptr 1
		.amdhsa_user_sgpr_dispatch_id 0
		.amdhsa_user_sgpr_flat_scratch_init 0
		.amdhsa_user_sgpr_kernarg_preload_length 0
		.amdhsa_user_sgpr_kernarg_preload_offset 0
		.amdhsa_user_sgpr_private_segment_size 0
		.amdhsa_uses_dynamic_stack 0
		.amdhsa_system_sgpr_private_segment_wavefront_offset 0
		.amdhsa_system_sgpr_workgroup_id_x 1
		.amdhsa_system_sgpr_workgroup_id_y 0
		.amdhsa_system_sgpr_workgroup_id_z 0
		.amdhsa_system_sgpr_workgroup_info 0
		.amdhsa_system_vgpr_workitem_id 0
		.amdhsa_next_free_vgpr 1
		.amdhsa_next_free_sgpr 0
		.amdhsa_accum_offset 4
		.amdhsa_reserve_vcc 0
		.amdhsa_reserve_flat_scratch 0
		.amdhsa_float_round_mode_32 0
		.amdhsa_float_round_mode_16_64 0
		.amdhsa_float_denorm_mode_32 3
		.amdhsa_float_denorm_mode_16_64 3
		.amdhsa_dx10_clamp 1
		.amdhsa_ieee_mode 1
		.amdhsa_fp16_overflow 0
		.amdhsa_tg_split 0
		.amdhsa_exception_fp_ieee_invalid_op 0
		.amdhsa_exception_fp_denorm_src 0
		.amdhsa_exception_fp_ieee_div_zero 0
		.amdhsa_exception_fp_ieee_overflow 0
		.amdhsa_exception_fp_ieee_underflow 0
		.amdhsa_exception_fp_ieee_inexact 0
		.amdhsa_exception_int_div_zero 0
	.end_amdhsa_kernel
	.section	.text._ZN7rocprim17ROCPRIM_400000_NS6detail17trampoline_kernelINS0_14default_configENS1_20scan_config_selectorIfEEZZNS1_9scan_implILNS1_25lookback_scan_determinismE0ELb0ELb0ES3_N6thrust23THRUST_200600_302600_NS6detail15normal_iteratorINS9_10device_ptrIfEEEESE_fNS9_4plusIvEEfEEDaPvRmT3_T4_T5_mT6_P12ihipStream_tbENKUlT_T0_E_clISt17integral_constantIbLb1EEST_IbLb0EEEEDaSP_SQ_EUlSP_E0_NS1_11comp_targetILNS1_3genE9ELNS1_11target_archE1100ELNS1_3gpuE3ELNS1_3repE0EEENS1_30default_config_static_selectorELNS0_4arch9wavefront6targetE1EEEvT1_,"axG",@progbits,_ZN7rocprim17ROCPRIM_400000_NS6detail17trampoline_kernelINS0_14default_configENS1_20scan_config_selectorIfEEZZNS1_9scan_implILNS1_25lookback_scan_determinismE0ELb0ELb0ES3_N6thrust23THRUST_200600_302600_NS6detail15normal_iteratorINS9_10device_ptrIfEEEESE_fNS9_4plusIvEEfEEDaPvRmT3_T4_T5_mT6_P12ihipStream_tbENKUlT_T0_E_clISt17integral_constantIbLb1EEST_IbLb0EEEEDaSP_SQ_EUlSP_E0_NS1_11comp_targetILNS1_3genE9ELNS1_11target_archE1100ELNS1_3gpuE3ELNS1_3repE0EEENS1_30default_config_static_selectorELNS0_4arch9wavefront6targetE1EEEvT1_,comdat
.Lfunc_end4338:
	.size	_ZN7rocprim17ROCPRIM_400000_NS6detail17trampoline_kernelINS0_14default_configENS1_20scan_config_selectorIfEEZZNS1_9scan_implILNS1_25lookback_scan_determinismE0ELb0ELb0ES3_N6thrust23THRUST_200600_302600_NS6detail15normal_iteratorINS9_10device_ptrIfEEEESE_fNS9_4plusIvEEfEEDaPvRmT3_T4_T5_mT6_P12ihipStream_tbENKUlT_T0_E_clISt17integral_constantIbLb1EEST_IbLb0EEEEDaSP_SQ_EUlSP_E0_NS1_11comp_targetILNS1_3genE9ELNS1_11target_archE1100ELNS1_3gpuE3ELNS1_3repE0EEENS1_30default_config_static_selectorELNS0_4arch9wavefront6targetE1EEEvT1_, .Lfunc_end4338-_ZN7rocprim17ROCPRIM_400000_NS6detail17trampoline_kernelINS0_14default_configENS1_20scan_config_selectorIfEEZZNS1_9scan_implILNS1_25lookback_scan_determinismE0ELb0ELb0ES3_N6thrust23THRUST_200600_302600_NS6detail15normal_iteratorINS9_10device_ptrIfEEEESE_fNS9_4plusIvEEfEEDaPvRmT3_T4_T5_mT6_P12ihipStream_tbENKUlT_T0_E_clISt17integral_constantIbLb1EEST_IbLb0EEEEDaSP_SQ_EUlSP_E0_NS1_11comp_targetILNS1_3genE9ELNS1_11target_archE1100ELNS1_3gpuE3ELNS1_3repE0EEENS1_30default_config_static_selectorELNS0_4arch9wavefront6targetE1EEEvT1_
                                        ; -- End function
	.section	.AMDGPU.csdata,"",@progbits
; Kernel info:
; codeLenInByte = 0
; NumSgprs: 4
; NumVgprs: 0
; NumAgprs: 0
; TotalNumVgprs: 0
; ScratchSize: 0
; MemoryBound: 0
; FloatMode: 240
; IeeeMode: 1
; LDSByteSize: 0 bytes/workgroup (compile time only)
; SGPRBlocks: 0
; VGPRBlocks: 0
; NumSGPRsForWavesPerEU: 4
; NumVGPRsForWavesPerEU: 1
; AccumOffset: 4
; Occupancy: 8
; WaveLimiterHint : 0
; COMPUTE_PGM_RSRC2:SCRATCH_EN: 0
; COMPUTE_PGM_RSRC2:USER_SGPR: 6
; COMPUTE_PGM_RSRC2:TRAP_HANDLER: 0
; COMPUTE_PGM_RSRC2:TGID_X_EN: 1
; COMPUTE_PGM_RSRC2:TGID_Y_EN: 0
; COMPUTE_PGM_RSRC2:TGID_Z_EN: 0
; COMPUTE_PGM_RSRC2:TIDIG_COMP_CNT: 0
; COMPUTE_PGM_RSRC3_GFX90A:ACCUM_OFFSET: 0
; COMPUTE_PGM_RSRC3_GFX90A:TG_SPLIT: 0
	.section	.text._ZN7rocprim17ROCPRIM_400000_NS6detail17trampoline_kernelINS0_14default_configENS1_20scan_config_selectorIfEEZZNS1_9scan_implILNS1_25lookback_scan_determinismE0ELb0ELb0ES3_N6thrust23THRUST_200600_302600_NS6detail15normal_iteratorINS9_10device_ptrIfEEEESE_fNS9_4plusIvEEfEEDaPvRmT3_T4_T5_mT6_P12ihipStream_tbENKUlT_T0_E_clISt17integral_constantIbLb1EEST_IbLb0EEEEDaSP_SQ_EUlSP_E0_NS1_11comp_targetILNS1_3genE8ELNS1_11target_archE1030ELNS1_3gpuE2ELNS1_3repE0EEENS1_30default_config_static_selectorELNS0_4arch9wavefront6targetE1EEEvT1_,"axG",@progbits,_ZN7rocprim17ROCPRIM_400000_NS6detail17trampoline_kernelINS0_14default_configENS1_20scan_config_selectorIfEEZZNS1_9scan_implILNS1_25lookback_scan_determinismE0ELb0ELb0ES3_N6thrust23THRUST_200600_302600_NS6detail15normal_iteratorINS9_10device_ptrIfEEEESE_fNS9_4plusIvEEfEEDaPvRmT3_T4_T5_mT6_P12ihipStream_tbENKUlT_T0_E_clISt17integral_constantIbLb1EEST_IbLb0EEEEDaSP_SQ_EUlSP_E0_NS1_11comp_targetILNS1_3genE8ELNS1_11target_archE1030ELNS1_3gpuE2ELNS1_3repE0EEENS1_30default_config_static_selectorELNS0_4arch9wavefront6targetE1EEEvT1_,comdat
	.protected	_ZN7rocprim17ROCPRIM_400000_NS6detail17trampoline_kernelINS0_14default_configENS1_20scan_config_selectorIfEEZZNS1_9scan_implILNS1_25lookback_scan_determinismE0ELb0ELb0ES3_N6thrust23THRUST_200600_302600_NS6detail15normal_iteratorINS9_10device_ptrIfEEEESE_fNS9_4plusIvEEfEEDaPvRmT3_T4_T5_mT6_P12ihipStream_tbENKUlT_T0_E_clISt17integral_constantIbLb1EEST_IbLb0EEEEDaSP_SQ_EUlSP_E0_NS1_11comp_targetILNS1_3genE8ELNS1_11target_archE1030ELNS1_3gpuE2ELNS1_3repE0EEENS1_30default_config_static_selectorELNS0_4arch9wavefront6targetE1EEEvT1_ ; -- Begin function _ZN7rocprim17ROCPRIM_400000_NS6detail17trampoline_kernelINS0_14default_configENS1_20scan_config_selectorIfEEZZNS1_9scan_implILNS1_25lookback_scan_determinismE0ELb0ELb0ES3_N6thrust23THRUST_200600_302600_NS6detail15normal_iteratorINS9_10device_ptrIfEEEESE_fNS9_4plusIvEEfEEDaPvRmT3_T4_T5_mT6_P12ihipStream_tbENKUlT_T0_E_clISt17integral_constantIbLb1EEST_IbLb0EEEEDaSP_SQ_EUlSP_E0_NS1_11comp_targetILNS1_3genE8ELNS1_11target_archE1030ELNS1_3gpuE2ELNS1_3repE0EEENS1_30default_config_static_selectorELNS0_4arch9wavefront6targetE1EEEvT1_
	.globl	_ZN7rocprim17ROCPRIM_400000_NS6detail17trampoline_kernelINS0_14default_configENS1_20scan_config_selectorIfEEZZNS1_9scan_implILNS1_25lookback_scan_determinismE0ELb0ELb0ES3_N6thrust23THRUST_200600_302600_NS6detail15normal_iteratorINS9_10device_ptrIfEEEESE_fNS9_4plusIvEEfEEDaPvRmT3_T4_T5_mT6_P12ihipStream_tbENKUlT_T0_E_clISt17integral_constantIbLb1EEST_IbLb0EEEEDaSP_SQ_EUlSP_E0_NS1_11comp_targetILNS1_3genE8ELNS1_11target_archE1030ELNS1_3gpuE2ELNS1_3repE0EEENS1_30default_config_static_selectorELNS0_4arch9wavefront6targetE1EEEvT1_
	.p2align	8
	.type	_ZN7rocprim17ROCPRIM_400000_NS6detail17trampoline_kernelINS0_14default_configENS1_20scan_config_selectorIfEEZZNS1_9scan_implILNS1_25lookback_scan_determinismE0ELb0ELb0ES3_N6thrust23THRUST_200600_302600_NS6detail15normal_iteratorINS9_10device_ptrIfEEEESE_fNS9_4plusIvEEfEEDaPvRmT3_T4_T5_mT6_P12ihipStream_tbENKUlT_T0_E_clISt17integral_constantIbLb1EEST_IbLb0EEEEDaSP_SQ_EUlSP_E0_NS1_11comp_targetILNS1_3genE8ELNS1_11target_archE1030ELNS1_3gpuE2ELNS1_3repE0EEENS1_30default_config_static_selectorELNS0_4arch9wavefront6targetE1EEEvT1_,@function
_ZN7rocprim17ROCPRIM_400000_NS6detail17trampoline_kernelINS0_14default_configENS1_20scan_config_selectorIfEEZZNS1_9scan_implILNS1_25lookback_scan_determinismE0ELb0ELb0ES3_N6thrust23THRUST_200600_302600_NS6detail15normal_iteratorINS9_10device_ptrIfEEEESE_fNS9_4plusIvEEfEEDaPvRmT3_T4_T5_mT6_P12ihipStream_tbENKUlT_T0_E_clISt17integral_constantIbLb1EEST_IbLb0EEEEDaSP_SQ_EUlSP_E0_NS1_11comp_targetILNS1_3genE8ELNS1_11target_archE1030ELNS1_3gpuE2ELNS1_3repE0EEENS1_30default_config_static_selectorELNS0_4arch9wavefront6targetE1EEEvT1_: ; @_ZN7rocprim17ROCPRIM_400000_NS6detail17trampoline_kernelINS0_14default_configENS1_20scan_config_selectorIfEEZZNS1_9scan_implILNS1_25lookback_scan_determinismE0ELb0ELb0ES3_N6thrust23THRUST_200600_302600_NS6detail15normal_iteratorINS9_10device_ptrIfEEEESE_fNS9_4plusIvEEfEEDaPvRmT3_T4_T5_mT6_P12ihipStream_tbENKUlT_T0_E_clISt17integral_constantIbLb1EEST_IbLb0EEEEDaSP_SQ_EUlSP_E0_NS1_11comp_targetILNS1_3genE8ELNS1_11target_archE1030ELNS1_3gpuE2ELNS1_3repE0EEENS1_30default_config_static_selectorELNS0_4arch9wavefront6targetE1EEEvT1_
; %bb.0:
	.section	.rodata,"a",@progbits
	.p2align	6, 0x0
	.amdhsa_kernel _ZN7rocprim17ROCPRIM_400000_NS6detail17trampoline_kernelINS0_14default_configENS1_20scan_config_selectorIfEEZZNS1_9scan_implILNS1_25lookback_scan_determinismE0ELb0ELb0ES3_N6thrust23THRUST_200600_302600_NS6detail15normal_iteratorINS9_10device_ptrIfEEEESE_fNS9_4plusIvEEfEEDaPvRmT3_T4_T5_mT6_P12ihipStream_tbENKUlT_T0_E_clISt17integral_constantIbLb1EEST_IbLb0EEEEDaSP_SQ_EUlSP_E0_NS1_11comp_targetILNS1_3genE8ELNS1_11target_archE1030ELNS1_3gpuE2ELNS1_3repE0EEENS1_30default_config_static_selectorELNS0_4arch9wavefront6targetE1EEEvT1_
		.amdhsa_group_segment_fixed_size 0
		.amdhsa_private_segment_fixed_size 0
		.amdhsa_kernarg_size 32
		.amdhsa_user_sgpr_count 6
		.amdhsa_user_sgpr_private_segment_buffer 1
		.amdhsa_user_sgpr_dispatch_ptr 0
		.amdhsa_user_sgpr_queue_ptr 0
		.amdhsa_user_sgpr_kernarg_segment_ptr 1
		.amdhsa_user_sgpr_dispatch_id 0
		.amdhsa_user_sgpr_flat_scratch_init 0
		.amdhsa_user_sgpr_kernarg_preload_length 0
		.amdhsa_user_sgpr_kernarg_preload_offset 0
		.amdhsa_user_sgpr_private_segment_size 0
		.amdhsa_uses_dynamic_stack 0
		.amdhsa_system_sgpr_private_segment_wavefront_offset 0
		.amdhsa_system_sgpr_workgroup_id_x 1
		.amdhsa_system_sgpr_workgroup_id_y 0
		.amdhsa_system_sgpr_workgroup_id_z 0
		.amdhsa_system_sgpr_workgroup_info 0
		.amdhsa_system_vgpr_workitem_id 0
		.amdhsa_next_free_vgpr 1
		.amdhsa_next_free_sgpr 0
		.amdhsa_accum_offset 4
		.amdhsa_reserve_vcc 0
		.amdhsa_reserve_flat_scratch 0
		.amdhsa_float_round_mode_32 0
		.amdhsa_float_round_mode_16_64 0
		.amdhsa_float_denorm_mode_32 3
		.amdhsa_float_denorm_mode_16_64 3
		.amdhsa_dx10_clamp 1
		.amdhsa_ieee_mode 1
		.amdhsa_fp16_overflow 0
		.amdhsa_tg_split 0
		.amdhsa_exception_fp_ieee_invalid_op 0
		.amdhsa_exception_fp_denorm_src 0
		.amdhsa_exception_fp_ieee_div_zero 0
		.amdhsa_exception_fp_ieee_overflow 0
		.amdhsa_exception_fp_ieee_underflow 0
		.amdhsa_exception_fp_ieee_inexact 0
		.amdhsa_exception_int_div_zero 0
	.end_amdhsa_kernel
	.section	.text._ZN7rocprim17ROCPRIM_400000_NS6detail17trampoline_kernelINS0_14default_configENS1_20scan_config_selectorIfEEZZNS1_9scan_implILNS1_25lookback_scan_determinismE0ELb0ELb0ES3_N6thrust23THRUST_200600_302600_NS6detail15normal_iteratorINS9_10device_ptrIfEEEESE_fNS9_4plusIvEEfEEDaPvRmT3_T4_T5_mT6_P12ihipStream_tbENKUlT_T0_E_clISt17integral_constantIbLb1EEST_IbLb0EEEEDaSP_SQ_EUlSP_E0_NS1_11comp_targetILNS1_3genE8ELNS1_11target_archE1030ELNS1_3gpuE2ELNS1_3repE0EEENS1_30default_config_static_selectorELNS0_4arch9wavefront6targetE1EEEvT1_,"axG",@progbits,_ZN7rocprim17ROCPRIM_400000_NS6detail17trampoline_kernelINS0_14default_configENS1_20scan_config_selectorIfEEZZNS1_9scan_implILNS1_25lookback_scan_determinismE0ELb0ELb0ES3_N6thrust23THRUST_200600_302600_NS6detail15normal_iteratorINS9_10device_ptrIfEEEESE_fNS9_4plusIvEEfEEDaPvRmT3_T4_T5_mT6_P12ihipStream_tbENKUlT_T0_E_clISt17integral_constantIbLb1EEST_IbLb0EEEEDaSP_SQ_EUlSP_E0_NS1_11comp_targetILNS1_3genE8ELNS1_11target_archE1030ELNS1_3gpuE2ELNS1_3repE0EEENS1_30default_config_static_selectorELNS0_4arch9wavefront6targetE1EEEvT1_,comdat
.Lfunc_end4339:
	.size	_ZN7rocprim17ROCPRIM_400000_NS6detail17trampoline_kernelINS0_14default_configENS1_20scan_config_selectorIfEEZZNS1_9scan_implILNS1_25lookback_scan_determinismE0ELb0ELb0ES3_N6thrust23THRUST_200600_302600_NS6detail15normal_iteratorINS9_10device_ptrIfEEEESE_fNS9_4plusIvEEfEEDaPvRmT3_T4_T5_mT6_P12ihipStream_tbENKUlT_T0_E_clISt17integral_constantIbLb1EEST_IbLb0EEEEDaSP_SQ_EUlSP_E0_NS1_11comp_targetILNS1_3genE8ELNS1_11target_archE1030ELNS1_3gpuE2ELNS1_3repE0EEENS1_30default_config_static_selectorELNS0_4arch9wavefront6targetE1EEEvT1_, .Lfunc_end4339-_ZN7rocprim17ROCPRIM_400000_NS6detail17trampoline_kernelINS0_14default_configENS1_20scan_config_selectorIfEEZZNS1_9scan_implILNS1_25lookback_scan_determinismE0ELb0ELb0ES3_N6thrust23THRUST_200600_302600_NS6detail15normal_iteratorINS9_10device_ptrIfEEEESE_fNS9_4plusIvEEfEEDaPvRmT3_T4_T5_mT6_P12ihipStream_tbENKUlT_T0_E_clISt17integral_constantIbLb1EEST_IbLb0EEEEDaSP_SQ_EUlSP_E0_NS1_11comp_targetILNS1_3genE8ELNS1_11target_archE1030ELNS1_3gpuE2ELNS1_3repE0EEENS1_30default_config_static_selectorELNS0_4arch9wavefront6targetE1EEEvT1_
                                        ; -- End function
	.section	.AMDGPU.csdata,"",@progbits
; Kernel info:
; codeLenInByte = 0
; NumSgprs: 4
; NumVgprs: 0
; NumAgprs: 0
; TotalNumVgprs: 0
; ScratchSize: 0
; MemoryBound: 0
; FloatMode: 240
; IeeeMode: 1
; LDSByteSize: 0 bytes/workgroup (compile time only)
; SGPRBlocks: 0
; VGPRBlocks: 0
; NumSGPRsForWavesPerEU: 4
; NumVGPRsForWavesPerEU: 1
; AccumOffset: 4
; Occupancy: 8
; WaveLimiterHint : 0
; COMPUTE_PGM_RSRC2:SCRATCH_EN: 0
; COMPUTE_PGM_RSRC2:USER_SGPR: 6
; COMPUTE_PGM_RSRC2:TRAP_HANDLER: 0
; COMPUTE_PGM_RSRC2:TGID_X_EN: 1
; COMPUTE_PGM_RSRC2:TGID_Y_EN: 0
; COMPUTE_PGM_RSRC2:TGID_Z_EN: 0
; COMPUTE_PGM_RSRC2:TIDIG_COMP_CNT: 0
; COMPUTE_PGM_RSRC3_GFX90A:ACCUM_OFFSET: 0
; COMPUTE_PGM_RSRC3_GFX90A:TG_SPLIT: 0
	.section	.text._ZN7rocprim17ROCPRIM_400000_NS6detail17trampoline_kernelINS0_14default_configENS1_20scan_config_selectorIfEEZZNS1_9scan_implILNS1_25lookback_scan_determinismE0ELb0ELb0ES3_N6thrust23THRUST_200600_302600_NS6detail15normal_iteratorINS9_10device_ptrIfEEEESE_fNS9_4plusIvEEfEEDaPvRmT3_T4_T5_mT6_P12ihipStream_tbENKUlT_T0_E_clISt17integral_constantIbLb0EEST_IbLb1EEEEDaSP_SQ_EUlSP_E_NS1_11comp_targetILNS1_3genE0ELNS1_11target_archE4294967295ELNS1_3gpuE0ELNS1_3repE0EEENS1_30default_config_static_selectorELNS0_4arch9wavefront6targetE1EEEvT1_,"axG",@progbits,_ZN7rocprim17ROCPRIM_400000_NS6detail17trampoline_kernelINS0_14default_configENS1_20scan_config_selectorIfEEZZNS1_9scan_implILNS1_25lookback_scan_determinismE0ELb0ELb0ES3_N6thrust23THRUST_200600_302600_NS6detail15normal_iteratorINS9_10device_ptrIfEEEESE_fNS9_4plusIvEEfEEDaPvRmT3_T4_T5_mT6_P12ihipStream_tbENKUlT_T0_E_clISt17integral_constantIbLb0EEST_IbLb1EEEEDaSP_SQ_EUlSP_E_NS1_11comp_targetILNS1_3genE0ELNS1_11target_archE4294967295ELNS1_3gpuE0ELNS1_3repE0EEENS1_30default_config_static_selectorELNS0_4arch9wavefront6targetE1EEEvT1_,comdat
	.protected	_ZN7rocprim17ROCPRIM_400000_NS6detail17trampoline_kernelINS0_14default_configENS1_20scan_config_selectorIfEEZZNS1_9scan_implILNS1_25lookback_scan_determinismE0ELb0ELb0ES3_N6thrust23THRUST_200600_302600_NS6detail15normal_iteratorINS9_10device_ptrIfEEEESE_fNS9_4plusIvEEfEEDaPvRmT3_T4_T5_mT6_P12ihipStream_tbENKUlT_T0_E_clISt17integral_constantIbLb0EEST_IbLb1EEEEDaSP_SQ_EUlSP_E_NS1_11comp_targetILNS1_3genE0ELNS1_11target_archE4294967295ELNS1_3gpuE0ELNS1_3repE0EEENS1_30default_config_static_selectorELNS0_4arch9wavefront6targetE1EEEvT1_ ; -- Begin function _ZN7rocprim17ROCPRIM_400000_NS6detail17trampoline_kernelINS0_14default_configENS1_20scan_config_selectorIfEEZZNS1_9scan_implILNS1_25lookback_scan_determinismE0ELb0ELb0ES3_N6thrust23THRUST_200600_302600_NS6detail15normal_iteratorINS9_10device_ptrIfEEEESE_fNS9_4plusIvEEfEEDaPvRmT3_T4_T5_mT6_P12ihipStream_tbENKUlT_T0_E_clISt17integral_constantIbLb0EEST_IbLb1EEEEDaSP_SQ_EUlSP_E_NS1_11comp_targetILNS1_3genE0ELNS1_11target_archE4294967295ELNS1_3gpuE0ELNS1_3repE0EEENS1_30default_config_static_selectorELNS0_4arch9wavefront6targetE1EEEvT1_
	.globl	_ZN7rocprim17ROCPRIM_400000_NS6detail17trampoline_kernelINS0_14default_configENS1_20scan_config_selectorIfEEZZNS1_9scan_implILNS1_25lookback_scan_determinismE0ELb0ELb0ES3_N6thrust23THRUST_200600_302600_NS6detail15normal_iteratorINS9_10device_ptrIfEEEESE_fNS9_4plusIvEEfEEDaPvRmT3_T4_T5_mT6_P12ihipStream_tbENKUlT_T0_E_clISt17integral_constantIbLb0EEST_IbLb1EEEEDaSP_SQ_EUlSP_E_NS1_11comp_targetILNS1_3genE0ELNS1_11target_archE4294967295ELNS1_3gpuE0ELNS1_3repE0EEENS1_30default_config_static_selectorELNS0_4arch9wavefront6targetE1EEEvT1_
	.p2align	8
	.type	_ZN7rocprim17ROCPRIM_400000_NS6detail17trampoline_kernelINS0_14default_configENS1_20scan_config_selectorIfEEZZNS1_9scan_implILNS1_25lookback_scan_determinismE0ELb0ELb0ES3_N6thrust23THRUST_200600_302600_NS6detail15normal_iteratorINS9_10device_ptrIfEEEESE_fNS9_4plusIvEEfEEDaPvRmT3_T4_T5_mT6_P12ihipStream_tbENKUlT_T0_E_clISt17integral_constantIbLb0EEST_IbLb1EEEEDaSP_SQ_EUlSP_E_NS1_11comp_targetILNS1_3genE0ELNS1_11target_archE4294967295ELNS1_3gpuE0ELNS1_3repE0EEENS1_30default_config_static_selectorELNS0_4arch9wavefront6targetE1EEEvT1_,@function
_ZN7rocprim17ROCPRIM_400000_NS6detail17trampoline_kernelINS0_14default_configENS1_20scan_config_selectorIfEEZZNS1_9scan_implILNS1_25lookback_scan_determinismE0ELb0ELb0ES3_N6thrust23THRUST_200600_302600_NS6detail15normal_iteratorINS9_10device_ptrIfEEEESE_fNS9_4plusIvEEfEEDaPvRmT3_T4_T5_mT6_P12ihipStream_tbENKUlT_T0_E_clISt17integral_constantIbLb0EEST_IbLb1EEEEDaSP_SQ_EUlSP_E_NS1_11comp_targetILNS1_3genE0ELNS1_11target_archE4294967295ELNS1_3gpuE0ELNS1_3repE0EEENS1_30default_config_static_selectorELNS0_4arch9wavefront6targetE1EEEvT1_: ; @_ZN7rocprim17ROCPRIM_400000_NS6detail17trampoline_kernelINS0_14default_configENS1_20scan_config_selectorIfEEZZNS1_9scan_implILNS1_25lookback_scan_determinismE0ELb0ELb0ES3_N6thrust23THRUST_200600_302600_NS6detail15normal_iteratorINS9_10device_ptrIfEEEESE_fNS9_4plusIvEEfEEDaPvRmT3_T4_T5_mT6_P12ihipStream_tbENKUlT_T0_E_clISt17integral_constantIbLb0EEST_IbLb1EEEEDaSP_SQ_EUlSP_E_NS1_11comp_targetILNS1_3genE0ELNS1_11target_archE4294967295ELNS1_3gpuE0ELNS1_3repE0EEENS1_30default_config_static_selectorELNS0_4arch9wavefront6targetE1EEEvT1_
; %bb.0:
	.section	.rodata,"a",@progbits
	.p2align	6, 0x0
	.amdhsa_kernel _ZN7rocprim17ROCPRIM_400000_NS6detail17trampoline_kernelINS0_14default_configENS1_20scan_config_selectorIfEEZZNS1_9scan_implILNS1_25lookback_scan_determinismE0ELb0ELb0ES3_N6thrust23THRUST_200600_302600_NS6detail15normal_iteratorINS9_10device_ptrIfEEEESE_fNS9_4plusIvEEfEEDaPvRmT3_T4_T5_mT6_P12ihipStream_tbENKUlT_T0_E_clISt17integral_constantIbLb0EEST_IbLb1EEEEDaSP_SQ_EUlSP_E_NS1_11comp_targetILNS1_3genE0ELNS1_11target_archE4294967295ELNS1_3gpuE0ELNS1_3repE0EEENS1_30default_config_static_selectorELNS0_4arch9wavefront6targetE1EEEvT1_
		.amdhsa_group_segment_fixed_size 0
		.amdhsa_private_segment_fixed_size 0
		.amdhsa_kernarg_size 96
		.amdhsa_user_sgpr_count 6
		.amdhsa_user_sgpr_private_segment_buffer 1
		.amdhsa_user_sgpr_dispatch_ptr 0
		.amdhsa_user_sgpr_queue_ptr 0
		.amdhsa_user_sgpr_kernarg_segment_ptr 1
		.amdhsa_user_sgpr_dispatch_id 0
		.amdhsa_user_sgpr_flat_scratch_init 0
		.amdhsa_user_sgpr_kernarg_preload_length 0
		.amdhsa_user_sgpr_kernarg_preload_offset 0
		.amdhsa_user_sgpr_private_segment_size 0
		.amdhsa_uses_dynamic_stack 0
		.amdhsa_system_sgpr_private_segment_wavefront_offset 0
		.amdhsa_system_sgpr_workgroup_id_x 1
		.amdhsa_system_sgpr_workgroup_id_y 0
		.amdhsa_system_sgpr_workgroup_id_z 0
		.amdhsa_system_sgpr_workgroup_info 0
		.amdhsa_system_vgpr_workitem_id 0
		.amdhsa_next_free_vgpr 1
		.amdhsa_next_free_sgpr 0
		.amdhsa_accum_offset 4
		.amdhsa_reserve_vcc 0
		.amdhsa_reserve_flat_scratch 0
		.amdhsa_float_round_mode_32 0
		.amdhsa_float_round_mode_16_64 0
		.amdhsa_float_denorm_mode_32 3
		.amdhsa_float_denorm_mode_16_64 3
		.amdhsa_dx10_clamp 1
		.amdhsa_ieee_mode 1
		.amdhsa_fp16_overflow 0
		.amdhsa_tg_split 0
		.amdhsa_exception_fp_ieee_invalid_op 0
		.amdhsa_exception_fp_denorm_src 0
		.amdhsa_exception_fp_ieee_div_zero 0
		.amdhsa_exception_fp_ieee_overflow 0
		.amdhsa_exception_fp_ieee_underflow 0
		.amdhsa_exception_fp_ieee_inexact 0
		.amdhsa_exception_int_div_zero 0
	.end_amdhsa_kernel
	.section	.text._ZN7rocprim17ROCPRIM_400000_NS6detail17trampoline_kernelINS0_14default_configENS1_20scan_config_selectorIfEEZZNS1_9scan_implILNS1_25lookback_scan_determinismE0ELb0ELb0ES3_N6thrust23THRUST_200600_302600_NS6detail15normal_iteratorINS9_10device_ptrIfEEEESE_fNS9_4plusIvEEfEEDaPvRmT3_T4_T5_mT6_P12ihipStream_tbENKUlT_T0_E_clISt17integral_constantIbLb0EEST_IbLb1EEEEDaSP_SQ_EUlSP_E_NS1_11comp_targetILNS1_3genE0ELNS1_11target_archE4294967295ELNS1_3gpuE0ELNS1_3repE0EEENS1_30default_config_static_selectorELNS0_4arch9wavefront6targetE1EEEvT1_,"axG",@progbits,_ZN7rocprim17ROCPRIM_400000_NS6detail17trampoline_kernelINS0_14default_configENS1_20scan_config_selectorIfEEZZNS1_9scan_implILNS1_25lookback_scan_determinismE0ELb0ELb0ES3_N6thrust23THRUST_200600_302600_NS6detail15normal_iteratorINS9_10device_ptrIfEEEESE_fNS9_4plusIvEEfEEDaPvRmT3_T4_T5_mT6_P12ihipStream_tbENKUlT_T0_E_clISt17integral_constantIbLb0EEST_IbLb1EEEEDaSP_SQ_EUlSP_E_NS1_11comp_targetILNS1_3genE0ELNS1_11target_archE4294967295ELNS1_3gpuE0ELNS1_3repE0EEENS1_30default_config_static_selectorELNS0_4arch9wavefront6targetE1EEEvT1_,comdat
.Lfunc_end4340:
	.size	_ZN7rocprim17ROCPRIM_400000_NS6detail17trampoline_kernelINS0_14default_configENS1_20scan_config_selectorIfEEZZNS1_9scan_implILNS1_25lookback_scan_determinismE0ELb0ELb0ES3_N6thrust23THRUST_200600_302600_NS6detail15normal_iteratorINS9_10device_ptrIfEEEESE_fNS9_4plusIvEEfEEDaPvRmT3_T4_T5_mT6_P12ihipStream_tbENKUlT_T0_E_clISt17integral_constantIbLb0EEST_IbLb1EEEEDaSP_SQ_EUlSP_E_NS1_11comp_targetILNS1_3genE0ELNS1_11target_archE4294967295ELNS1_3gpuE0ELNS1_3repE0EEENS1_30default_config_static_selectorELNS0_4arch9wavefront6targetE1EEEvT1_, .Lfunc_end4340-_ZN7rocprim17ROCPRIM_400000_NS6detail17trampoline_kernelINS0_14default_configENS1_20scan_config_selectorIfEEZZNS1_9scan_implILNS1_25lookback_scan_determinismE0ELb0ELb0ES3_N6thrust23THRUST_200600_302600_NS6detail15normal_iteratorINS9_10device_ptrIfEEEESE_fNS9_4plusIvEEfEEDaPvRmT3_T4_T5_mT6_P12ihipStream_tbENKUlT_T0_E_clISt17integral_constantIbLb0EEST_IbLb1EEEEDaSP_SQ_EUlSP_E_NS1_11comp_targetILNS1_3genE0ELNS1_11target_archE4294967295ELNS1_3gpuE0ELNS1_3repE0EEENS1_30default_config_static_selectorELNS0_4arch9wavefront6targetE1EEEvT1_
                                        ; -- End function
	.section	.AMDGPU.csdata,"",@progbits
; Kernel info:
; codeLenInByte = 0
; NumSgprs: 4
; NumVgprs: 0
; NumAgprs: 0
; TotalNumVgprs: 0
; ScratchSize: 0
; MemoryBound: 0
; FloatMode: 240
; IeeeMode: 1
; LDSByteSize: 0 bytes/workgroup (compile time only)
; SGPRBlocks: 0
; VGPRBlocks: 0
; NumSGPRsForWavesPerEU: 4
; NumVGPRsForWavesPerEU: 1
; AccumOffset: 4
; Occupancy: 8
; WaveLimiterHint : 0
; COMPUTE_PGM_RSRC2:SCRATCH_EN: 0
; COMPUTE_PGM_RSRC2:USER_SGPR: 6
; COMPUTE_PGM_RSRC2:TRAP_HANDLER: 0
; COMPUTE_PGM_RSRC2:TGID_X_EN: 1
; COMPUTE_PGM_RSRC2:TGID_Y_EN: 0
; COMPUTE_PGM_RSRC2:TGID_Z_EN: 0
; COMPUTE_PGM_RSRC2:TIDIG_COMP_CNT: 0
; COMPUTE_PGM_RSRC3_GFX90A:ACCUM_OFFSET: 0
; COMPUTE_PGM_RSRC3_GFX90A:TG_SPLIT: 0
	.section	.text._ZN7rocprim17ROCPRIM_400000_NS6detail17trampoline_kernelINS0_14default_configENS1_20scan_config_selectorIfEEZZNS1_9scan_implILNS1_25lookback_scan_determinismE0ELb0ELb0ES3_N6thrust23THRUST_200600_302600_NS6detail15normal_iteratorINS9_10device_ptrIfEEEESE_fNS9_4plusIvEEfEEDaPvRmT3_T4_T5_mT6_P12ihipStream_tbENKUlT_T0_E_clISt17integral_constantIbLb0EEST_IbLb1EEEEDaSP_SQ_EUlSP_E_NS1_11comp_targetILNS1_3genE5ELNS1_11target_archE942ELNS1_3gpuE9ELNS1_3repE0EEENS1_30default_config_static_selectorELNS0_4arch9wavefront6targetE1EEEvT1_,"axG",@progbits,_ZN7rocprim17ROCPRIM_400000_NS6detail17trampoline_kernelINS0_14default_configENS1_20scan_config_selectorIfEEZZNS1_9scan_implILNS1_25lookback_scan_determinismE0ELb0ELb0ES3_N6thrust23THRUST_200600_302600_NS6detail15normal_iteratorINS9_10device_ptrIfEEEESE_fNS9_4plusIvEEfEEDaPvRmT3_T4_T5_mT6_P12ihipStream_tbENKUlT_T0_E_clISt17integral_constantIbLb0EEST_IbLb1EEEEDaSP_SQ_EUlSP_E_NS1_11comp_targetILNS1_3genE5ELNS1_11target_archE942ELNS1_3gpuE9ELNS1_3repE0EEENS1_30default_config_static_selectorELNS0_4arch9wavefront6targetE1EEEvT1_,comdat
	.protected	_ZN7rocprim17ROCPRIM_400000_NS6detail17trampoline_kernelINS0_14default_configENS1_20scan_config_selectorIfEEZZNS1_9scan_implILNS1_25lookback_scan_determinismE0ELb0ELb0ES3_N6thrust23THRUST_200600_302600_NS6detail15normal_iteratorINS9_10device_ptrIfEEEESE_fNS9_4plusIvEEfEEDaPvRmT3_T4_T5_mT6_P12ihipStream_tbENKUlT_T0_E_clISt17integral_constantIbLb0EEST_IbLb1EEEEDaSP_SQ_EUlSP_E_NS1_11comp_targetILNS1_3genE5ELNS1_11target_archE942ELNS1_3gpuE9ELNS1_3repE0EEENS1_30default_config_static_selectorELNS0_4arch9wavefront6targetE1EEEvT1_ ; -- Begin function _ZN7rocprim17ROCPRIM_400000_NS6detail17trampoline_kernelINS0_14default_configENS1_20scan_config_selectorIfEEZZNS1_9scan_implILNS1_25lookback_scan_determinismE0ELb0ELb0ES3_N6thrust23THRUST_200600_302600_NS6detail15normal_iteratorINS9_10device_ptrIfEEEESE_fNS9_4plusIvEEfEEDaPvRmT3_T4_T5_mT6_P12ihipStream_tbENKUlT_T0_E_clISt17integral_constantIbLb0EEST_IbLb1EEEEDaSP_SQ_EUlSP_E_NS1_11comp_targetILNS1_3genE5ELNS1_11target_archE942ELNS1_3gpuE9ELNS1_3repE0EEENS1_30default_config_static_selectorELNS0_4arch9wavefront6targetE1EEEvT1_
	.globl	_ZN7rocprim17ROCPRIM_400000_NS6detail17trampoline_kernelINS0_14default_configENS1_20scan_config_selectorIfEEZZNS1_9scan_implILNS1_25lookback_scan_determinismE0ELb0ELb0ES3_N6thrust23THRUST_200600_302600_NS6detail15normal_iteratorINS9_10device_ptrIfEEEESE_fNS9_4plusIvEEfEEDaPvRmT3_T4_T5_mT6_P12ihipStream_tbENKUlT_T0_E_clISt17integral_constantIbLb0EEST_IbLb1EEEEDaSP_SQ_EUlSP_E_NS1_11comp_targetILNS1_3genE5ELNS1_11target_archE942ELNS1_3gpuE9ELNS1_3repE0EEENS1_30default_config_static_selectorELNS0_4arch9wavefront6targetE1EEEvT1_
	.p2align	8
	.type	_ZN7rocprim17ROCPRIM_400000_NS6detail17trampoline_kernelINS0_14default_configENS1_20scan_config_selectorIfEEZZNS1_9scan_implILNS1_25lookback_scan_determinismE0ELb0ELb0ES3_N6thrust23THRUST_200600_302600_NS6detail15normal_iteratorINS9_10device_ptrIfEEEESE_fNS9_4plusIvEEfEEDaPvRmT3_T4_T5_mT6_P12ihipStream_tbENKUlT_T0_E_clISt17integral_constantIbLb0EEST_IbLb1EEEEDaSP_SQ_EUlSP_E_NS1_11comp_targetILNS1_3genE5ELNS1_11target_archE942ELNS1_3gpuE9ELNS1_3repE0EEENS1_30default_config_static_selectorELNS0_4arch9wavefront6targetE1EEEvT1_,@function
_ZN7rocprim17ROCPRIM_400000_NS6detail17trampoline_kernelINS0_14default_configENS1_20scan_config_selectorIfEEZZNS1_9scan_implILNS1_25lookback_scan_determinismE0ELb0ELb0ES3_N6thrust23THRUST_200600_302600_NS6detail15normal_iteratorINS9_10device_ptrIfEEEESE_fNS9_4plusIvEEfEEDaPvRmT3_T4_T5_mT6_P12ihipStream_tbENKUlT_T0_E_clISt17integral_constantIbLb0EEST_IbLb1EEEEDaSP_SQ_EUlSP_E_NS1_11comp_targetILNS1_3genE5ELNS1_11target_archE942ELNS1_3gpuE9ELNS1_3repE0EEENS1_30default_config_static_selectorELNS0_4arch9wavefront6targetE1EEEvT1_: ; @_ZN7rocprim17ROCPRIM_400000_NS6detail17trampoline_kernelINS0_14default_configENS1_20scan_config_selectorIfEEZZNS1_9scan_implILNS1_25lookback_scan_determinismE0ELb0ELb0ES3_N6thrust23THRUST_200600_302600_NS6detail15normal_iteratorINS9_10device_ptrIfEEEESE_fNS9_4plusIvEEfEEDaPvRmT3_T4_T5_mT6_P12ihipStream_tbENKUlT_T0_E_clISt17integral_constantIbLb0EEST_IbLb1EEEEDaSP_SQ_EUlSP_E_NS1_11comp_targetILNS1_3genE5ELNS1_11target_archE942ELNS1_3gpuE9ELNS1_3repE0EEENS1_30default_config_static_selectorELNS0_4arch9wavefront6targetE1EEEvT1_
; %bb.0:
	.section	.rodata,"a",@progbits
	.p2align	6, 0x0
	.amdhsa_kernel _ZN7rocprim17ROCPRIM_400000_NS6detail17trampoline_kernelINS0_14default_configENS1_20scan_config_selectorIfEEZZNS1_9scan_implILNS1_25lookback_scan_determinismE0ELb0ELb0ES3_N6thrust23THRUST_200600_302600_NS6detail15normal_iteratorINS9_10device_ptrIfEEEESE_fNS9_4plusIvEEfEEDaPvRmT3_T4_T5_mT6_P12ihipStream_tbENKUlT_T0_E_clISt17integral_constantIbLb0EEST_IbLb1EEEEDaSP_SQ_EUlSP_E_NS1_11comp_targetILNS1_3genE5ELNS1_11target_archE942ELNS1_3gpuE9ELNS1_3repE0EEENS1_30default_config_static_selectorELNS0_4arch9wavefront6targetE1EEEvT1_
		.amdhsa_group_segment_fixed_size 0
		.amdhsa_private_segment_fixed_size 0
		.amdhsa_kernarg_size 96
		.amdhsa_user_sgpr_count 6
		.amdhsa_user_sgpr_private_segment_buffer 1
		.amdhsa_user_sgpr_dispatch_ptr 0
		.amdhsa_user_sgpr_queue_ptr 0
		.amdhsa_user_sgpr_kernarg_segment_ptr 1
		.amdhsa_user_sgpr_dispatch_id 0
		.amdhsa_user_sgpr_flat_scratch_init 0
		.amdhsa_user_sgpr_kernarg_preload_length 0
		.amdhsa_user_sgpr_kernarg_preload_offset 0
		.amdhsa_user_sgpr_private_segment_size 0
		.amdhsa_uses_dynamic_stack 0
		.amdhsa_system_sgpr_private_segment_wavefront_offset 0
		.amdhsa_system_sgpr_workgroup_id_x 1
		.amdhsa_system_sgpr_workgroup_id_y 0
		.amdhsa_system_sgpr_workgroup_id_z 0
		.amdhsa_system_sgpr_workgroup_info 0
		.amdhsa_system_vgpr_workitem_id 0
		.amdhsa_next_free_vgpr 1
		.amdhsa_next_free_sgpr 0
		.amdhsa_accum_offset 4
		.amdhsa_reserve_vcc 0
		.amdhsa_reserve_flat_scratch 0
		.amdhsa_float_round_mode_32 0
		.amdhsa_float_round_mode_16_64 0
		.amdhsa_float_denorm_mode_32 3
		.amdhsa_float_denorm_mode_16_64 3
		.amdhsa_dx10_clamp 1
		.amdhsa_ieee_mode 1
		.amdhsa_fp16_overflow 0
		.amdhsa_tg_split 0
		.amdhsa_exception_fp_ieee_invalid_op 0
		.amdhsa_exception_fp_denorm_src 0
		.amdhsa_exception_fp_ieee_div_zero 0
		.amdhsa_exception_fp_ieee_overflow 0
		.amdhsa_exception_fp_ieee_underflow 0
		.amdhsa_exception_fp_ieee_inexact 0
		.amdhsa_exception_int_div_zero 0
	.end_amdhsa_kernel
	.section	.text._ZN7rocprim17ROCPRIM_400000_NS6detail17trampoline_kernelINS0_14default_configENS1_20scan_config_selectorIfEEZZNS1_9scan_implILNS1_25lookback_scan_determinismE0ELb0ELb0ES3_N6thrust23THRUST_200600_302600_NS6detail15normal_iteratorINS9_10device_ptrIfEEEESE_fNS9_4plusIvEEfEEDaPvRmT3_T4_T5_mT6_P12ihipStream_tbENKUlT_T0_E_clISt17integral_constantIbLb0EEST_IbLb1EEEEDaSP_SQ_EUlSP_E_NS1_11comp_targetILNS1_3genE5ELNS1_11target_archE942ELNS1_3gpuE9ELNS1_3repE0EEENS1_30default_config_static_selectorELNS0_4arch9wavefront6targetE1EEEvT1_,"axG",@progbits,_ZN7rocprim17ROCPRIM_400000_NS6detail17trampoline_kernelINS0_14default_configENS1_20scan_config_selectorIfEEZZNS1_9scan_implILNS1_25lookback_scan_determinismE0ELb0ELb0ES3_N6thrust23THRUST_200600_302600_NS6detail15normal_iteratorINS9_10device_ptrIfEEEESE_fNS9_4plusIvEEfEEDaPvRmT3_T4_T5_mT6_P12ihipStream_tbENKUlT_T0_E_clISt17integral_constantIbLb0EEST_IbLb1EEEEDaSP_SQ_EUlSP_E_NS1_11comp_targetILNS1_3genE5ELNS1_11target_archE942ELNS1_3gpuE9ELNS1_3repE0EEENS1_30default_config_static_selectorELNS0_4arch9wavefront6targetE1EEEvT1_,comdat
.Lfunc_end4341:
	.size	_ZN7rocprim17ROCPRIM_400000_NS6detail17trampoline_kernelINS0_14default_configENS1_20scan_config_selectorIfEEZZNS1_9scan_implILNS1_25lookback_scan_determinismE0ELb0ELb0ES3_N6thrust23THRUST_200600_302600_NS6detail15normal_iteratorINS9_10device_ptrIfEEEESE_fNS9_4plusIvEEfEEDaPvRmT3_T4_T5_mT6_P12ihipStream_tbENKUlT_T0_E_clISt17integral_constantIbLb0EEST_IbLb1EEEEDaSP_SQ_EUlSP_E_NS1_11comp_targetILNS1_3genE5ELNS1_11target_archE942ELNS1_3gpuE9ELNS1_3repE0EEENS1_30default_config_static_selectorELNS0_4arch9wavefront6targetE1EEEvT1_, .Lfunc_end4341-_ZN7rocprim17ROCPRIM_400000_NS6detail17trampoline_kernelINS0_14default_configENS1_20scan_config_selectorIfEEZZNS1_9scan_implILNS1_25lookback_scan_determinismE0ELb0ELb0ES3_N6thrust23THRUST_200600_302600_NS6detail15normal_iteratorINS9_10device_ptrIfEEEESE_fNS9_4plusIvEEfEEDaPvRmT3_T4_T5_mT6_P12ihipStream_tbENKUlT_T0_E_clISt17integral_constantIbLb0EEST_IbLb1EEEEDaSP_SQ_EUlSP_E_NS1_11comp_targetILNS1_3genE5ELNS1_11target_archE942ELNS1_3gpuE9ELNS1_3repE0EEENS1_30default_config_static_selectorELNS0_4arch9wavefront6targetE1EEEvT1_
                                        ; -- End function
	.section	.AMDGPU.csdata,"",@progbits
; Kernel info:
; codeLenInByte = 0
; NumSgprs: 4
; NumVgprs: 0
; NumAgprs: 0
; TotalNumVgprs: 0
; ScratchSize: 0
; MemoryBound: 0
; FloatMode: 240
; IeeeMode: 1
; LDSByteSize: 0 bytes/workgroup (compile time only)
; SGPRBlocks: 0
; VGPRBlocks: 0
; NumSGPRsForWavesPerEU: 4
; NumVGPRsForWavesPerEU: 1
; AccumOffset: 4
; Occupancy: 8
; WaveLimiterHint : 0
; COMPUTE_PGM_RSRC2:SCRATCH_EN: 0
; COMPUTE_PGM_RSRC2:USER_SGPR: 6
; COMPUTE_PGM_RSRC2:TRAP_HANDLER: 0
; COMPUTE_PGM_RSRC2:TGID_X_EN: 1
; COMPUTE_PGM_RSRC2:TGID_Y_EN: 0
; COMPUTE_PGM_RSRC2:TGID_Z_EN: 0
; COMPUTE_PGM_RSRC2:TIDIG_COMP_CNT: 0
; COMPUTE_PGM_RSRC3_GFX90A:ACCUM_OFFSET: 0
; COMPUTE_PGM_RSRC3_GFX90A:TG_SPLIT: 0
	.section	.text._ZN7rocprim17ROCPRIM_400000_NS6detail17trampoline_kernelINS0_14default_configENS1_20scan_config_selectorIfEEZZNS1_9scan_implILNS1_25lookback_scan_determinismE0ELb0ELb0ES3_N6thrust23THRUST_200600_302600_NS6detail15normal_iteratorINS9_10device_ptrIfEEEESE_fNS9_4plusIvEEfEEDaPvRmT3_T4_T5_mT6_P12ihipStream_tbENKUlT_T0_E_clISt17integral_constantIbLb0EEST_IbLb1EEEEDaSP_SQ_EUlSP_E_NS1_11comp_targetILNS1_3genE4ELNS1_11target_archE910ELNS1_3gpuE8ELNS1_3repE0EEENS1_30default_config_static_selectorELNS0_4arch9wavefront6targetE1EEEvT1_,"axG",@progbits,_ZN7rocprim17ROCPRIM_400000_NS6detail17trampoline_kernelINS0_14default_configENS1_20scan_config_selectorIfEEZZNS1_9scan_implILNS1_25lookback_scan_determinismE0ELb0ELb0ES3_N6thrust23THRUST_200600_302600_NS6detail15normal_iteratorINS9_10device_ptrIfEEEESE_fNS9_4plusIvEEfEEDaPvRmT3_T4_T5_mT6_P12ihipStream_tbENKUlT_T0_E_clISt17integral_constantIbLb0EEST_IbLb1EEEEDaSP_SQ_EUlSP_E_NS1_11comp_targetILNS1_3genE4ELNS1_11target_archE910ELNS1_3gpuE8ELNS1_3repE0EEENS1_30default_config_static_selectorELNS0_4arch9wavefront6targetE1EEEvT1_,comdat
	.protected	_ZN7rocprim17ROCPRIM_400000_NS6detail17trampoline_kernelINS0_14default_configENS1_20scan_config_selectorIfEEZZNS1_9scan_implILNS1_25lookback_scan_determinismE0ELb0ELb0ES3_N6thrust23THRUST_200600_302600_NS6detail15normal_iteratorINS9_10device_ptrIfEEEESE_fNS9_4plusIvEEfEEDaPvRmT3_T4_T5_mT6_P12ihipStream_tbENKUlT_T0_E_clISt17integral_constantIbLb0EEST_IbLb1EEEEDaSP_SQ_EUlSP_E_NS1_11comp_targetILNS1_3genE4ELNS1_11target_archE910ELNS1_3gpuE8ELNS1_3repE0EEENS1_30default_config_static_selectorELNS0_4arch9wavefront6targetE1EEEvT1_ ; -- Begin function _ZN7rocprim17ROCPRIM_400000_NS6detail17trampoline_kernelINS0_14default_configENS1_20scan_config_selectorIfEEZZNS1_9scan_implILNS1_25lookback_scan_determinismE0ELb0ELb0ES3_N6thrust23THRUST_200600_302600_NS6detail15normal_iteratorINS9_10device_ptrIfEEEESE_fNS9_4plusIvEEfEEDaPvRmT3_T4_T5_mT6_P12ihipStream_tbENKUlT_T0_E_clISt17integral_constantIbLb0EEST_IbLb1EEEEDaSP_SQ_EUlSP_E_NS1_11comp_targetILNS1_3genE4ELNS1_11target_archE910ELNS1_3gpuE8ELNS1_3repE0EEENS1_30default_config_static_selectorELNS0_4arch9wavefront6targetE1EEEvT1_
	.globl	_ZN7rocprim17ROCPRIM_400000_NS6detail17trampoline_kernelINS0_14default_configENS1_20scan_config_selectorIfEEZZNS1_9scan_implILNS1_25lookback_scan_determinismE0ELb0ELb0ES3_N6thrust23THRUST_200600_302600_NS6detail15normal_iteratorINS9_10device_ptrIfEEEESE_fNS9_4plusIvEEfEEDaPvRmT3_T4_T5_mT6_P12ihipStream_tbENKUlT_T0_E_clISt17integral_constantIbLb0EEST_IbLb1EEEEDaSP_SQ_EUlSP_E_NS1_11comp_targetILNS1_3genE4ELNS1_11target_archE910ELNS1_3gpuE8ELNS1_3repE0EEENS1_30default_config_static_selectorELNS0_4arch9wavefront6targetE1EEEvT1_
	.p2align	8
	.type	_ZN7rocprim17ROCPRIM_400000_NS6detail17trampoline_kernelINS0_14default_configENS1_20scan_config_selectorIfEEZZNS1_9scan_implILNS1_25lookback_scan_determinismE0ELb0ELb0ES3_N6thrust23THRUST_200600_302600_NS6detail15normal_iteratorINS9_10device_ptrIfEEEESE_fNS9_4plusIvEEfEEDaPvRmT3_T4_T5_mT6_P12ihipStream_tbENKUlT_T0_E_clISt17integral_constantIbLb0EEST_IbLb1EEEEDaSP_SQ_EUlSP_E_NS1_11comp_targetILNS1_3genE4ELNS1_11target_archE910ELNS1_3gpuE8ELNS1_3repE0EEENS1_30default_config_static_selectorELNS0_4arch9wavefront6targetE1EEEvT1_,@function
_ZN7rocprim17ROCPRIM_400000_NS6detail17trampoline_kernelINS0_14default_configENS1_20scan_config_selectorIfEEZZNS1_9scan_implILNS1_25lookback_scan_determinismE0ELb0ELb0ES3_N6thrust23THRUST_200600_302600_NS6detail15normal_iteratorINS9_10device_ptrIfEEEESE_fNS9_4plusIvEEfEEDaPvRmT3_T4_T5_mT6_P12ihipStream_tbENKUlT_T0_E_clISt17integral_constantIbLb0EEST_IbLb1EEEEDaSP_SQ_EUlSP_E_NS1_11comp_targetILNS1_3genE4ELNS1_11target_archE910ELNS1_3gpuE8ELNS1_3repE0EEENS1_30default_config_static_selectorELNS0_4arch9wavefront6targetE1EEEvT1_: ; @_ZN7rocprim17ROCPRIM_400000_NS6detail17trampoline_kernelINS0_14default_configENS1_20scan_config_selectorIfEEZZNS1_9scan_implILNS1_25lookback_scan_determinismE0ELb0ELb0ES3_N6thrust23THRUST_200600_302600_NS6detail15normal_iteratorINS9_10device_ptrIfEEEESE_fNS9_4plusIvEEfEEDaPvRmT3_T4_T5_mT6_P12ihipStream_tbENKUlT_T0_E_clISt17integral_constantIbLb0EEST_IbLb1EEEEDaSP_SQ_EUlSP_E_NS1_11comp_targetILNS1_3genE4ELNS1_11target_archE910ELNS1_3gpuE8ELNS1_3repE0EEENS1_30default_config_static_selectorELNS0_4arch9wavefront6targetE1EEEvT1_
; %bb.0:
	s_load_dwordx2 s[14:15], s[4:5], 0x28
	v_cmp_ne_u32_e64 s[0:1], 0, v0
	v_cmp_eq_u32_e64 s[2:3], 0, v0
	s_and_saveexec_b64 s[6:7], s[2:3]
	s_cbranch_execz .LBB4342_4
; %bb.1:
	s_mov_b64 s[10:11], exec
	v_mbcnt_lo_u32_b32 v1, s10, 0
	v_mbcnt_hi_u32_b32 v1, s11, v1
	v_cmp_eq_u32_e32 vcc, 0, v1
                                        ; implicit-def: $vgpr2
	s_and_saveexec_b64 s[8:9], vcc
	s_cbranch_execz .LBB4342_3
; %bb.2:
	s_load_dwordx2 s[12:13], s[4:5], 0x58
	s_bcnt1_i32_b64 s10, s[10:11]
	v_mov_b32_e32 v2, 0
	v_mov_b32_e32 v3, s10
	s_waitcnt lgkmcnt(0)
	global_atomic_add v2, v2, v3, s[12:13] glc
.LBB4342_3:
	s_or_b64 exec, exec, s[8:9]
	s_waitcnt vmcnt(0)
	v_readfirstlane_b32 s8, v2
	v_add_u32_e32 v1, s8, v1
	v_mov_b32_e32 v2, 0
	ds_write_b32 v2, v1
.LBB4342_4:
	s_or_b64 exec, exec, s[6:7]
	s_load_dwordx8 s[24:31], s[4:5], 0x0
	s_load_dword s6, s[4:5], 0x30
	s_load_dwordx8 s[16:23], s[4:5], 0x38
	v_mov_b32_e32 v1, 0
	s_waitcnt lgkmcnt(0)
	s_barrier
	ds_read_b32 v1, v1
	s_lshl_b64 s[26:27], s[26:27], 2
	s_add_u32 s7, s24, s26
	s_addc_u32 s8, s25, s27
	s_add_i32 s6, s6, -1
	s_mul_i32 s9, s6, 0x700
	s_sub_u32 s33, s30, s9
	s_waitcnt lgkmcnt(0)
	v_readfirstlane_b32 s37, v1
	s_subb_u32 s36, s31, 0
	s_mul_i32 s4, s37, 0x700
	s_mov_b32 s5, 0
	s_cmp_lg_u32 s37, s6
	s_cselect_b64 s[24:25], -1, 0
	s_lshl_b64 s[30:31], s[4:5], 2
	s_add_u32 s6, s7, s30
	s_addc_u32 s7, s8, s31
	s_mov_b64 s[4:5], -1
	s_and_b64 vcc, exec, s[24:25]
	v_lshlrev_b32_e32 v32, 2, v0
	s_barrier
	s_cbranch_vccz .LBB4342_6
; %bb.5:
	v_mov_b32_e32 v1, s7
	v_add_co_u32_e32 v2, vcc, s6, v32
	v_addc_co_u32_e32 v3, vcc, 0, v1, vcc
	flat_load_dword v1, v[2:3]
	flat_load_dword v4, v[2:3] offset:512
	flat_load_dword v5, v[2:3] offset:1024
	;; [unrolled: 1-line block ×7, first 2 shown]
	v_add_co_u32_e32 v2, vcc, 0x1000, v2
	v_addc_co_u32_e32 v3, vcc, 0, v3, vcc
	flat_load_dword v11, v[2:3]
	flat_load_dword v12, v[2:3] offset:512
	flat_load_dword v13, v[2:3] offset:1024
	;; [unrolled: 1-line block ×5, first 2 shown]
	s_mov_b64 s[4:5], 0
	s_waitcnt vmcnt(0) lgkmcnt(0)
	ds_write2st64_b32 v32, v1, v4 offset1:2
	ds_write2st64_b32 v32, v5, v6 offset0:4 offset1:6
	ds_write2st64_b32 v32, v7, v8 offset0:8 offset1:10
	;; [unrolled: 1-line block ×6, first 2 shown]
	s_waitcnt lgkmcnt(0)
	s_barrier
.LBB4342_6:
	s_andn2_b64 vcc, exec, s[4:5]
	v_cmp_gt_u32_e64 s[4:5], s33, v0
	s_cbranch_vccnz .LBB4342_36
; %bb.7:
	v_pk_mov_b32 v[2:3], s[6:7], s[6:7] op_sel:[0,1]
	flat_load_dword v1, v[2:3]
	s_waitcnt vmcnt(0) lgkmcnt(0)
	v_mov_b32_e32 v2, v1
	v_mov_b32_e32 v3, v1
	;; [unrolled: 1-line block ×12, first 2 shown]
	v_pk_mov_b32 v[16:17], v[14:15], v[14:15] op_sel:[0,1]
	v_pk_mov_b32 v[14:15], v[12:13], v[12:13] op_sel:[0,1]
	;; [unrolled: 1-line block ×8, first 2 shown]
	s_and_saveexec_b64 s[8:9], s[4:5]
	s_cbranch_execz .LBB4342_9
; %bb.8:
	v_mov_b32_e32 v3, s7
	v_add_co_u32_e32 v2, vcc, s6, v32
	v_addc_co_u32_e32 v3, vcc, 0, v3, vcc
	flat_load_dword v18, v[2:3]
	v_mov_b32_e32 v2, v1
	v_mov_b32_e32 v3, v1
	;; [unrolled: 1-line block ×12, first 2 shown]
	v_pk_mov_b32 v[16:17], v[14:15], v[14:15] op_sel:[0,1]
	v_pk_mov_b32 v[14:15], v[12:13], v[12:13] op_sel:[0,1]
	;; [unrolled: 1-line block ×8, first 2 shown]
	s_waitcnt vmcnt(0) lgkmcnt(0)
	v_mov_b32_e32 v1, v18
.LBB4342_9:
	s_or_b64 exec, exec, s[8:9]
	v_or_b32_e32 v2, 0x80, v0
	v_cmp_gt_u32_e32 vcc, s33, v2
	s_and_saveexec_b64 s[4:5], vcc
	s_cbranch_execz .LBB4342_11
; %bb.10:
	v_mov_b32_e32 v3, s7
	v_add_co_u32_e32 v2, vcc, s6, v32
	v_addc_co_u32_e32 v3, vcc, 0, v3, vcc
	flat_load_dword v3, v[2:3] offset:512
.LBB4342_11:
	s_or_b64 exec, exec, s[4:5]
	v_or_b32_e32 v2, 0x100, v0
	v_cmp_gt_u32_e32 vcc, s33, v2
	s_and_saveexec_b64 s[4:5], vcc
	s_cbranch_execz .LBB4342_13
; %bb.12:
	v_mov_b32_e32 v2, s7
	v_add_co_u32_e32 v16, vcc, s6, v32
	v_addc_co_u32_e32 v17, vcc, 0, v2, vcc
	flat_load_dword v4, v[16:17] offset:1024
.LBB4342_13:
	;; [unrolled: 11-line block ×7, first 2 shown]
	s_or_b64 exec, exec, s[4:5]
	v_or_b32_e32 v2, 0x400, v0
	v_cmp_gt_u32_e32 vcc, s33, v2
	s_and_saveexec_b64 s[4:5], vcc
	s_cbranch_execz .LBB4342_25
; %bb.24:
	v_lshlrev_b32_e32 v2, 2, v2
	v_mov_b32_e32 v10, s7
	v_add_co_u32_e32 v16, vcc, s6, v2
	v_addc_co_u32_e32 v17, vcc, 0, v10, vcc
	flat_load_dword v10, v[16:17]
.LBB4342_25:
	s_or_b64 exec, exec, s[4:5]
	v_or_b32_e32 v2, 0x480, v0
	v_cmp_gt_u32_e32 vcc, s33, v2
	s_and_saveexec_b64 s[4:5], vcc
	s_cbranch_execz .LBB4342_27
; %bb.26:
	v_lshlrev_b32_e32 v2, 2, v2
	v_mov_b32_e32 v11, s7
	v_add_co_u32_e32 v16, vcc, s6, v2
	v_addc_co_u32_e32 v17, vcc, 0, v11, vcc
	flat_load_dword v11, v[16:17]
.LBB4342_27:
	;; [unrolled: 12-line block ×6, first 2 shown]
	s_or_b64 exec, exec, s[4:5]
	s_waitcnt vmcnt(0) lgkmcnt(0)
	ds_write2st64_b32 v32, v1, v3 offset1:2
	ds_write2st64_b32 v32, v4, v5 offset0:4 offset1:6
	ds_write2st64_b32 v32, v6, v7 offset0:8 offset1:10
	;; [unrolled: 1-line block ×6, first 2 shown]
	s_waitcnt lgkmcnt(0)
	s_barrier
.LBB4342_36:
	v_mul_u32_u24_e32 v33, 14, v0
	v_lshlrev_b32_e32 v34, 2, v33
	ds_read2_b64 v[2:5], v34 offset1:1
	ds_read2_b64 v[26:29], v34 offset0:2 offset1:3
	ds_read2_b64 v[22:25], v34 offset0:4 offset1:5
	ds_read_b64 v[30:31], v34 offset:48
	s_cmp_lg_u32 s37, 0
	v_lshrrev_b32_e32 v1, 5, v0
	v_cmp_gt_u32_e32 vcc, 64, v0
	s_waitcnt lgkmcnt(0)
	s_barrier
	s_cbranch_scc0 .LBB4342_61
; %bb.37:
	v_add_f32_e32 v6, v2, v3
	v_add_f32_e32 v6, v4, v6
	;; [unrolled: 1-line block ×13, first 2 shown]
	v_add_lshl_u32 v6, v1, v0, 2
	ds_write_b32 v6, v16
	s_waitcnt lgkmcnt(0)
	s_barrier
	s_and_saveexec_b64 s[10:11], vcc
	s_cbranch_execz .LBB4342_39
; %bb.38:
	v_lshlrev_b32_e32 v6, 1, v0
	v_lshrrev_b32_e32 v7, 4, v0
	v_add_lshl_u32 v8, v7, v6, 2
	ds_read2_b32 v[6:7], v8 offset1:1
	v_mbcnt_lo_u32_b32 v9, -1, 0
	v_mbcnt_hi_u32_b32 v9, -1, v9
	v_and_b32_e32 v10, 15, v9
	v_cmp_eq_u32_e64 s[4:5], 0, v10
	s_waitcnt lgkmcnt(0)
	v_add_f32_e32 v7, v6, v7
	v_cmp_lt_u32_e64 s[6:7], 3, v10
	v_cmp_lt_u32_e64 s[8:9], 31, v9
	v_mov_b32_dpp v11, v7 row_shr:1 row_mask:0xf bank_mask:0xf
	v_add_f32_e32 v11, v7, v11
	v_cndmask_b32_e64 v7, v11, v7, s[4:5]
	v_cmp_lt_u32_e64 s[4:5], 1, v10
	s_nop 0
	v_mov_b32_dpp v11, v7 row_shr:2 row_mask:0xf bank_mask:0xf
	v_add_f32_e32 v11, v7, v11
	v_cndmask_b32_e64 v11, v7, v11, s[4:5]
	; wave barrier
	s_nop 1
	v_mov_b32_dpp v12, v11 row_shr:4 row_mask:0xf bank_mask:0xf
	v_add_f32_e32 v12, v11, v12
	v_cndmask_b32_e64 v11, v11, v12, s[6:7]
	v_cmp_lt_u32_e64 s[6:7], 7, v10
	s_nop 0
	v_mov_b32_dpp v12, v11 row_shr:8 row_mask:0xf bank_mask:0xf
	v_add_f32_e32 v12, v11, v12
	v_cndmask_b32_e64 v10, v11, v12, s[6:7]
	v_and_b32_e32 v12, 16, v9
	v_cmp_eq_u32_e64 s[6:7], 0, v12
	v_mov_b32_dpp v11, v10 row_bcast:15 row_mask:0xf bank_mask:0xf
	v_add_f32_e32 v11, v10, v11
	v_cndmask_b32_e64 v10, v11, v10, s[6:7]
	v_cmp_lt_u32_e64 s[6:7], 15, v9
	s_or_b64 s[4:5], s[6:7], s[4:5]
	v_mov_b32_dpp v11, v10 row_bcast:31 row_mask:0xf bank_mask:0xf
	v_add_f32_e32 v11, v10, v11
	v_cndmask_b32_e64 v10, v10, v11, s[8:9]
	v_cndmask_b32_e64 v7, v7, v10, s[4:5]
	v_add_u32_e32 v10, -1, v9
	v_and_b32_e32 v11, 64, v9
	v_cmp_lt_i32_e64 s[4:5], v10, v11
	v_cndmask_b32_e64 v9, v10, v9, s[4:5]
	v_lshlrev_b32_e32 v9, 2, v9
	ds_bpermute_b32 v7, v9, v7
	s_waitcnt lgkmcnt(0)
	v_add_f32_e32 v6, v6, v7
	v_cndmask_b32_e64 v6, v6, v16, s[2:3]
	ds_write_b32 v8, v6
	; wave barrier
	ds_read_b32 v7, v8 offset:4
	s_waitcnt lgkmcnt(0)
	v_add_f32_e32 v6, v6, v7
	ds_write_b32 v8, v6 offset:4
.LBB4342_39:
	s_or_b64 exec, exec, s[10:11]
	s_waitcnt lgkmcnt(0)
	s_barrier
	s_and_saveexec_b64 s[4:5], s[0:1]
	s_cbranch_execz .LBB4342_41
; %bb.40:
	v_add_u32_e32 v6, -1, v0
	v_lshrrev_b32_e32 v7, 5, v6
	v_add_lshl_u32 v6, v7, v6, 2
	ds_read_b32 v16, v6
.LBB4342_41:
	s_or_b64 exec, exec, s[4:5]
	s_and_saveexec_b64 s[34:35], vcc
	s_cbranch_execz .LBB4342_60
; %bb.42:
	v_mov_b32_e32 v13, 0
	ds_read_b32 v6, v13 offset:520
	v_mbcnt_lo_u32_b32 v7, -1, 0
	v_mbcnt_hi_u32_b32 v9, -1, v7
	s_mov_b32 s9, 0
	v_cmp_eq_u32_e64 s[4:5], 0, v9
	s_and_saveexec_b64 s[6:7], s[4:5]
	s_cbranch_execz .LBB4342_44
; %bb.43:
	s_add_i32 s8, s37, 64
	s_lshl_b64 s[8:9], s[8:9], 3
	s_add_u32 s8, s14, s8
	v_mov_b32_e32 v7, 1
	s_addc_u32 s9, s15, s9
	s_waitcnt lgkmcnt(0)
	global_store_dwordx2 v13, v[6:7], s[8:9]
.LBB4342_44:
	s_or_b64 exec, exec, s[6:7]
	v_xad_u32 v8, v9, -1, s37
	v_add_u32_e32 v12, 64, v8
	v_lshlrev_b64 v[10:11], 3, v[12:13]
	v_mov_b32_e32 v7, s15
	v_add_co_u32_e32 v14, vcc, s14, v10
	v_addc_co_u32_e32 v15, vcc, v7, v11, vcc
	global_load_dwordx2 v[10:11], v[14:15], off glc
	s_waitcnt vmcnt(0)
	v_cmp_eq_u16_sdwa s[8:9], v11, v13 src0_sel:BYTE_0 src1_sel:DWORD
	s_and_saveexec_b64 s[6:7], s[8:9]
	s_cbranch_execz .LBB4342_48
; %bb.45:
	s_mov_b64 s[8:9], 0
	v_mov_b32_e32 v7, 0
.LBB4342_46:                            ; =>This Inner Loop Header: Depth=1
	global_load_dwordx2 v[10:11], v[14:15], off glc
	s_waitcnt vmcnt(0)
	v_cmp_ne_u16_sdwa s[10:11], v11, v7 src0_sel:BYTE_0 src1_sel:DWORD
	s_or_b64 s[8:9], s[10:11], s[8:9]
	s_andn2_b64 exec, exec, s[8:9]
	s_cbranch_execnz .LBB4342_46
; %bb.47:
	s_or_b64 exec, exec, s[8:9]
.LBB4342_48:
	s_or_b64 exec, exec, s[6:7]
	v_and_b32_e32 v17, 63, v9
	v_cmp_ne_u32_e32 vcc, 63, v17
	v_addc_co_u32_e32 v18, vcc, 0, v9, vcc
	v_mov_b32_e32 v7, 2
	v_lshlrev_b32_e32 v18, 2, v18
	v_cmp_eq_u16_sdwa s[6:7], v11, v7 src0_sel:BYTE_0 src1_sel:DWORD
	v_lshlrev_b64 v[12:13], v9, -1
	ds_bpermute_b32 v19, v18, v10
	v_and_b32_e32 v14, s7, v13
	v_or_b32_e32 v14, 0x80000000, v14
	v_and_b32_e32 v15, s6, v12
	v_ffbl_b32_e32 v14, v14
	v_add_u32_e32 v14, 32, v14
	v_ffbl_b32_e32 v15, v15
	v_cmp_gt_u32_e64 s[6:7], 62, v17
	v_min_u32_e32 v14, v15, v14
	s_waitcnt lgkmcnt(0)
	v_add_f32_e32 v15, v10, v19
	v_cndmask_b32_e64 v19, 0, 1, s[6:7]
	v_cmp_lt_u32_e32 vcc, v17, v14
	v_lshlrev_b32_e32 v19, 1, v19
	v_cndmask_b32_e32 v15, v10, v15, vcc
	v_add_lshl_u32 v19, v19, v9, 2
	ds_bpermute_b32 v21, v19, v15
	v_add_u32_e32 v20, 2, v17
	v_cmp_gt_u32_e64 s[6:7], v20, v14
	v_cmp_gt_u32_e64 s[8:9], 56, v17
	v_add_u32_e32 v35, 4, v17
	s_waitcnt lgkmcnt(0)
	v_add_f32_e32 v21, v15, v21
	v_cndmask_b32_e64 v15, v21, v15, s[6:7]
	v_cmp_gt_u32_e64 s[6:7], 60, v17
	v_cndmask_b32_e64 v21, 0, 1, s[6:7]
	v_lshlrev_b32_e32 v21, 2, v21
	v_add_lshl_u32 v21, v21, v9, 2
	ds_bpermute_b32 v36, v21, v15
	v_cmp_gt_u32_e64 s[6:7], v35, v14
	v_add_u32_e32 v37, 8, v17
	v_cmp_gt_u32_e64 s[10:11], 48, v17
	v_cmp_gt_u32_e64 s[12:13], 32, v17
	s_waitcnt lgkmcnt(0)
	v_add_f32_e32 v40, v15, v36
	v_cndmask_b32_e64 v36, 0, 1, s[8:9]
	v_lshlrev_b32_e32 v36, 3, v36
	v_cndmask_b32_e64 v38, v40, v15, s[6:7]
	v_add_lshl_u32 v36, v36, v9, 2
	ds_bpermute_b32 v39, v36, v38
	v_cmp_gt_u32_e64 s[8:9], v37, v14
	v_cndmask_b32_e32 v10, v10, v15, vcc
	v_cndmask_b32_e64 v10, v40, v10, s[6:7]
	s_waitcnt lgkmcnt(0)
	v_add_f32_e32 v43, v38, v39
	v_cndmask_b32_e64 v41, v43, v38, s[8:9]
	v_cndmask_b32_e64 v38, 0, 1, s[10:11]
	v_lshlrev_b32_e32 v38, 4, v38
	v_add_lshl_u32 v38, v38, v9, 2
	ds_bpermute_b32 v42, v38, v41
	v_add_u32_e32 v39, 16, v17
	v_cmp_gt_u32_e64 s[10:11], v39, v14
	v_cndmask_b32_e64 v10, v43, v10, s[8:9]
	s_waitcnt lgkmcnt(0)
	v_add_f32_e32 v44, v41, v42
	v_cndmask_b32_e64 v45, v44, v41, s[10:11]
	v_cndmask_b32_e64 v41, 0, 1, s[12:13]
	v_lshlrev_b32_e32 v41, 5, v41
	v_add_lshl_u32 v41, v41, v9, 2
	ds_bpermute_b32 v9, v41, v45
	v_add_u32_e32 v42, 32, v17
	v_cndmask_b32_e64 v10, v44, v10, s[10:11]
	v_cmp_gt_u32_e32 vcc, v42, v14
	s_waitcnt lgkmcnt(0)
	v_add_f32_e32 v9, v45, v9
	v_cndmask_b32_e32 v10, v9, v10, vcc
	v_mov_b32_e32 v9, 0
	s_branch .LBB4342_50
.LBB4342_49:                            ;   in Loop: Header=BB4342_50 Depth=1
	s_or_b64 exec, exec, s[6:7]
	v_cmp_eq_u16_sdwa s[6:7], v11, v7 src0_sel:BYTE_0 src1_sel:DWORD
	v_and_b32_e32 v14, s7, v13
	ds_bpermute_b32 v43, v18, v10
	v_or_b32_e32 v14, 0x80000000, v14
	v_and_b32_e32 v15, s6, v12
	v_ffbl_b32_e32 v14, v14
	v_add_u32_e32 v14, 32, v14
	v_ffbl_b32_e32 v15, v15
	v_min_u32_e32 v14, v15, v14
	s_waitcnt lgkmcnt(0)
	v_add_f32_e32 v15, v10, v43
	v_cmp_lt_u32_e32 vcc, v17, v14
	v_cndmask_b32_e32 v15, v10, v15, vcc
	ds_bpermute_b32 v43, v19, v15
	v_cmp_gt_u32_e64 s[6:7], v20, v14
	v_cmp_gt_u32_e64 s[8:9], v37, v14
	;; [unrolled: 1-line block ×3, first 2 shown]
	v_subrev_u32_e32 v8, 64, v8
	s_waitcnt lgkmcnt(0)
	v_add_f32_e32 v43, v15, v43
	v_cndmask_b32_e64 v15, v43, v15, s[6:7]
	ds_bpermute_b32 v43, v21, v15
	v_cmp_gt_u32_e64 s[6:7], v35, v14
	v_cndmask_b32_e32 v10, v10, v15, vcc
	v_cmp_gt_u32_e32 vcc, v42, v14
	s_waitcnt lgkmcnt(0)
	v_add_f32_e32 v43, v15, v43
	v_cndmask_b32_e64 v44, v43, v15, s[6:7]
	ds_bpermute_b32 v45, v36, v44
	v_cndmask_b32_e64 v10, v43, v10, s[6:7]
	s_waitcnt lgkmcnt(0)
	v_add_f32_e32 v45, v44, v45
	v_cndmask_b32_e64 v44, v45, v44, s[8:9]
	ds_bpermute_b32 v46, v38, v44
	v_cndmask_b32_e64 v10, v45, v10, s[8:9]
	;; [unrolled: 5-line block ×3, first 2 shown]
	s_waitcnt lgkmcnt(0)
	v_add_f32_e32 v15, v44, v47
	v_cndmask_b32_e32 v10, v15, v10, vcc
	v_add_f32_e32 v10, v40, v10
.LBB4342_50:                            ; =>This Loop Header: Depth=1
                                        ;     Child Loop BB4342_53 Depth 2
	v_cmp_ne_u16_sdwa s[6:7], v11, v7 src0_sel:BYTE_0 src1_sel:DWORD
	v_cndmask_b32_e64 v11, 0, 1, s[6:7]
	;;#ASMSTART
	;;#ASMEND
	v_cmp_ne_u32_e32 vcc, 0, v11
	s_cmp_lg_u64 vcc, exec
	v_mov_b32_e32 v40, v10
	s_cbranch_scc1 .LBB4342_55
; %bb.51:                               ;   in Loop: Header=BB4342_50 Depth=1
	v_lshlrev_b64 v[10:11], 3, v[8:9]
	v_mov_b32_e32 v15, s15
	v_add_co_u32_e32 v14, vcc, s14, v10
	v_addc_co_u32_e32 v15, vcc, v15, v11, vcc
	global_load_dwordx2 v[10:11], v[14:15], off glc
	s_waitcnt vmcnt(0)
	v_cmp_eq_u16_sdwa s[8:9], v11, v9 src0_sel:BYTE_0 src1_sel:DWORD
	s_and_saveexec_b64 s[6:7], s[8:9]
	s_cbranch_execz .LBB4342_49
; %bb.52:                               ;   in Loop: Header=BB4342_50 Depth=1
	s_mov_b64 s[8:9], 0
.LBB4342_53:                            ;   Parent Loop BB4342_50 Depth=1
                                        ; =>  This Inner Loop Header: Depth=2
	global_load_dwordx2 v[10:11], v[14:15], off glc
	s_waitcnt vmcnt(0)
	v_cmp_ne_u16_sdwa s[10:11], v11, v9 src0_sel:BYTE_0 src1_sel:DWORD
	s_or_b64 s[8:9], s[10:11], s[8:9]
	s_andn2_b64 exec, exec, s[8:9]
	s_cbranch_execnz .LBB4342_53
; %bb.54:                               ;   in Loop: Header=BB4342_50 Depth=1
	s_or_b64 exec, exec, s[8:9]
	s_branch .LBB4342_49
.LBB4342_55:                            ;   in Loop: Header=BB4342_50 Depth=1
                                        ; implicit-def: $vgpr10
                                        ; implicit-def: $vgpr11
	s_cbranch_execz .LBB4342_50
; %bb.56:
	s_and_saveexec_b64 s[6:7], s[4:5]
	s_cbranch_execz .LBB4342_58
; %bb.57:
	s_add_i32 s4, s37, 64
	s_mov_b32 s5, 0
	s_lshl_b64 s[4:5], s[4:5], 3
	s_add_u32 s4, s14, s4
	v_add_f32_e32 v6, v6, v40
	v_mov_b32_e32 v7, 2
	s_addc_u32 s5, s15, s5
	v_mov_b32_e32 v8, 0
	global_store_dwordx2 v8, v[6:7], s[4:5]
.LBB4342_58:
	s_or_b64 exec, exec, s[6:7]
	s_and_b64 exec, exec, s[2:3]
	s_cbranch_execz .LBB4342_60
; %bb.59:
	v_mov_b32_e32 v6, 0
	ds_write_b32 v6, v40
.LBB4342_60:
	s_or_b64 exec, exec, s[34:35]
	v_mov_b32_e32 v6, 0
	s_waitcnt lgkmcnt(0)
	s_barrier
	ds_read_b32 v6, v6
	v_add_f32_e32 v7, v2, v16
	v_cndmask_b32_e64 v7, v7, v2, s[2:3]
	s_waitcnt lgkmcnt(0)
	v_add_f32_e32 v6, v7, v6
	v_add_f32_e32 v7, v3, v6
	v_add_f32_e32 v8, v4, v7
	v_add_f32_e32 v9, v5, v8
	v_add_f32_e32 v10, v26, v9
	v_add_f32_e32 v11, v27, v10
	v_add_f32_e32 v12, v28, v11
	v_add_f32_e32 v13, v29, v12
	v_add_f32_e32 v14, v22, v13
	v_add_f32_e32 v15, v23, v14
	v_add_f32_e32 v16, v24, v15
	v_add_f32_e32 v17, v25, v16
	v_add_f32_e32 v18, v30, v17
	v_add_f32_e32 v19, v31, v18
	s_branch .LBB4342_73
.LBB4342_61:
                                        ; implicit-def: $vgpr6_vgpr7_vgpr8_vgpr9_vgpr10_vgpr11_vgpr12_vgpr13_vgpr14_vgpr15_vgpr16_vgpr17_vgpr18_vgpr19_vgpr20_vgpr21
	s_cbranch_execz .LBB4342_73
; %bb.62:
	s_cmp_lg_u64 s[20:21], 0
	s_cselect_b64 s[4:5], -1, 0
	s_and_b64 s[6:7], s[2:3], s[4:5]
	s_and_saveexec_b64 s[4:5], s[6:7]
	s_cbranch_execz .LBB4342_64
; %bb.63:
	v_mov_b32_e32 v6, 0
	global_load_dword v6, v6, s[16:17]
	s_waitcnt vmcnt(0)
	v_add_f32_e32 v2, v2, v6
.LBB4342_64:
	s_or_b64 exec, exec, s[4:5]
	v_add_f32_e32 v16, v2, v3
	v_add_f32_e32 v17, v4, v16
	;; [unrolled: 1-line block ×13, first 2 shown]
	v_add_lshl_u32 v1, v1, v0, 2
	v_cmp_gt_u32_e32 vcc, 64, v0
	ds_write_b32 v1, v15
	s_waitcnt lgkmcnt(0)
	s_barrier
	s_and_saveexec_b64 s[8:9], vcc
	s_cbranch_execz .LBB4342_66
; %bb.65:
	v_lshlrev_b32_e32 v1, 1, v0
	v_lshrrev_b32_e32 v19, 4, v0
	v_add_lshl_u32 v1, v19, v1, 2
	ds_read2_b32 v[20:21], v1 offset1:1
	v_mbcnt_lo_u32_b32 v19, -1, 0
	v_mbcnt_hi_u32_b32 v19, -1, v19
	v_and_b32_e32 v35, 15, v19
	v_cmp_eq_u32_e32 vcc, 0, v35
	s_waitcnt lgkmcnt(0)
	v_add_f32_e32 v21, v20, v21
	v_cmp_lt_u32_e64 s[4:5], 3, v35
	v_cmp_lt_u32_e64 s[6:7], 31, v19
	v_mov_b32_dpp v36, v21 row_shr:1 row_mask:0xf bank_mask:0xf
	v_add_f32_e32 v36, v21, v36
	v_cndmask_b32_e32 v21, v36, v21, vcc
	v_cmp_lt_u32_e32 vcc, 1, v35
	s_nop 0
	v_mov_b32_dpp v36, v21 row_shr:2 row_mask:0xf bank_mask:0xf
	v_add_f32_e32 v36, v21, v36
	v_cndmask_b32_e32 v36, v21, v36, vcc
	; wave barrier
	s_nop 1
	v_mov_b32_dpp v37, v36 row_shr:4 row_mask:0xf bank_mask:0xf
	v_add_f32_e32 v37, v36, v37
	v_cndmask_b32_e64 v36, v36, v37, s[4:5]
	v_cmp_lt_u32_e64 s[4:5], 7, v35
	s_nop 0
	v_mov_b32_dpp v37, v36 row_shr:8 row_mask:0xf bank_mask:0xf
	v_add_f32_e32 v37, v36, v37
	v_cndmask_b32_e64 v35, v36, v37, s[4:5]
	v_and_b32_e32 v37, 16, v19
	v_cmp_eq_u32_e64 s[4:5], 0, v37
	v_mov_b32_dpp v36, v35 row_bcast:15 row_mask:0xf bank_mask:0xf
	v_add_f32_e32 v36, v35, v36
	v_cndmask_b32_e64 v35, v36, v35, s[4:5]
	v_cmp_lt_u32_e64 s[4:5], 15, v19
	s_or_b64 vcc, s[4:5], vcc
	v_mov_b32_dpp v36, v35 row_bcast:31 row_mask:0xf bank_mask:0xf
	v_add_f32_e32 v36, v35, v36
	v_cndmask_b32_e64 v35, v35, v36, s[6:7]
	v_cndmask_b32_e32 v21, v21, v35, vcc
	v_add_u32_e32 v35, -1, v19
	v_and_b32_e32 v36, 64, v19
	v_cmp_lt_i32_e32 vcc, v35, v36
	v_cndmask_b32_e32 v19, v35, v19, vcc
	v_lshlrev_b32_e32 v19, 2, v19
	ds_bpermute_b32 v19, v19, v21
	s_waitcnt lgkmcnt(0)
	v_add_f32_e32 v19, v20, v19
	v_cndmask_b32_e64 v19, v19, v15, s[2:3]
	ds_write_b32 v1, v19
	; wave barrier
	ds_read_b32 v20, v1 offset:4
	s_waitcnt lgkmcnt(0)
	v_add_f32_e32 v19, v19, v20
	ds_write_b32 v1, v19 offset:4
.LBB4342_66:
	s_or_b64 exec, exec, s[8:9]
	v_mov_b32_e32 v1, v15
	s_waitcnt lgkmcnt(0)
	s_barrier
	s_and_saveexec_b64 s[2:3], s[0:1]
	s_cbranch_execz .LBB4342_68
; %bb.67:
	v_add_u32_e32 v1, -1, v0
	v_lshrrev_b32_e32 v19, 5, v1
	v_add_lshl_u32 v1, v19, v1, 2
	ds_read_b32 v1, v1
.LBB4342_68:
	s_or_b64 exec, exec, s[2:3]
	s_and_saveexec_b64 s[2:3], s[0:1]
	s_cbranch_execz .LBB4342_70
; %bb.69:
	s_waitcnt lgkmcnt(0)
	v_add_f32_e32 v2, v2, v1
	v_add_f32_e32 v16, v3, v2
	;; [unrolled: 1-line block ×14, first 2 shown]
	;;#ASMSTART
	;;#ASMEND
.LBB4342_70:
	s_or_b64 exec, exec, s[2:3]
	s_movk_i32 s0, 0x7f
	v_cmp_eq_u32_e32 vcc, s0, v0
	s_and_saveexec_b64 s[0:1], vcc
	s_cbranch_execz .LBB4342_72
; %bb.71:
	s_waitcnt lgkmcnt(0)
	v_mov_b32_e32 v1, 0
	v_mov_b32_e32 v5, 2
	;; [unrolled: 1-line block ×3, first 2 shown]
	global_store_dwordx2 v1, v[4:5], s[14:15] offset:512
.LBB4342_72:
	s_or_b64 exec, exec, s[0:1]
	v_mov_b32_e32 v3, v16
	v_mov_b32_e32 v4, v17
	;; [unrolled: 1-line block ×3, first 2 shown]
	v_pk_mov_b32 v[20:21], v[16:17], v[16:17] op_sel:[0,1]
	v_pk_mov_b32 v[18:19], v[14:15], v[14:15] op_sel:[0,1]
	;; [unrolled: 1-line block ×8, first 2 shown]
.LBB4342_73:
	s_add_u32 s0, s28, s26
	s_addc_u32 s1, s29, s27
	s_add_u32 s2, s0, s30
	s_addc_u32 s3, s1, s31
	s_mov_b64 s[0:1], -1
	s_and_b64 vcc, exec, s[24:25]
	s_waitcnt lgkmcnt(0)
	s_barrier
	s_cbranch_vccz .LBB4342_75
; %bb.74:
	ds_write2_b64 v34, v[6:7], v[8:9] offset1:1
	ds_write2_b64 v34, v[10:11], v[12:13] offset0:2 offset1:3
	ds_write2_b64 v34, v[14:15], v[16:17] offset0:4 offset1:5
	ds_write_b64 v34, v[18:19] offset:48
	s_waitcnt lgkmcnt(0)
	s_barrier
	ds_read2st64_b32 v[2:3], v32 offset1:2
	ds_read2st64_b32 v[4:5], v32 offset0:4 offset1:6
	ds_read2st64_b32 v[20:21], v32 offset0:8 offset1:10
	;; [unrolled: 1-line block ×6, first 2 shown]
	v_mov_b32_e32 v1, s3
	v_add_co_u32_e32 v30, vcc, s2, v32
	v_addc_co_u32_e32 v31, vcc, 0, v1, vcc
	s_waitcnt lgkmcnt(6)
	flat_store_dword v[30:31], v2
	flat_store_dword v[30:31], v3 offset:512
	s_waitcnt lgkmcnt(0)
	flat_store_dword v[30:31], v4 offset:1024
	flat_store_dword v[30:31], v5 offset:1536
	;; [unrolled: 1-line block ×6, first 2 shown]
	v_add_co_u32_e32 v2, vcc, 0x1000, v30
	v_addc_co_u32_e32 v3, vcc, 0, v31, vcc
	flat_store_dword v[2:3], v24
	flat_store_dword v[2:3], v25 offset:512
	flat_store_dword v[2:3], v26 offset:1024
	;; [unrolled: 1-line block ×5, first 2 shown]
	s_mov_b64 s[0:1], 0
.LBB4342_75:
	s_andn2_b64 vcc, exec, s[0:1]
	s_cbranch_vccnz .LBB4342_155
; %bb.76:
	s_movk_i32 s0, 0xffcc
	ds_write2_b64 v34, v[6:7], v[8:9] offset1:1
	ds_write2_b64 v34, v[10:11], v[12:13] offset0:2 offset1:3
	ds_write2_b64 v34, v[14:15], v[16:17] offset0:4 offset1:5
	ds_write_b64 v34, v[18:19] offset:48
	v_mad_i32_i24 v14, v0, s0, v34
	s_waitcnt lgkmcnt(0)
	s_barrier
	ds_read2st64_b32 v[4:5], v14 offset1:2
	ds_read2st64_b32 v[6:7], v14 offset0:4 offset1:6
	ds_read2st64_b32 v[8:9], v14 offset0:8 offset1:10
	;; [unrolled: 1-line block ×6, first 2 shown]
	v_mov_b32_e32 v17, s3
	v_add_co_u32_e32 v16, vcc, s2, v32
	v_addc_co_u32_e32 v17, vcc, 0, v17, vcc
	v_mov_b32_e32 v1, 0
	v_cmp_gt_u32_e32 vcc, s33, v0
	s_and_saveexec_b64 s[0:1], vcc
	s_cbranch_execz .LBB4342_78
; %bb.77:
	s_waitcnt lgkmcnt(0)
	flat_store_dword v[16:17], v4
.LBB4342_78:
	s_or_b64 exec, exec, s[0:1]
	v_or_b32_e32 v18, 0x80, v0
	v_cmp_gt_u32_e32 vcc, s33, v18
	s_and_saveexec_b64 s[0:1], vcc
	s_cbranch_execz .LBB4342_80
; %bb.79:
	s_waitcnt lgkmcnt(0)
	flat_store_dword v[16:17], v5 offset:512
.LBB4342_80:
	s_or_b64 exec, exec, s[0:1]
	v_or_b32_e32 v18, 0x100, v0
	v_cmp_gt_u32_e32 vcc, s33, v18
	s_and_saveexec_b64 s[0:1], vcc
	s_cbranch_execz .LBB4342_82
; %bb.81:
	s_waitcnt lgkmcnt(0)
	flat_store_dword v[16:17], v6 offset:1024
.LBB4342_82:
	;; [unrolled: 9-line block ×7, first 2 shown]
	s_or_b64 exec, exec, s[0:1]
	v_or_b32_e32 v18, 0x400, v0
	v_cmp_gt_u32_e32 vcc, s33, v18
	s_and_saveexec_b64 s[0:1], vcc
	s_cbranch_execz .LBB4342_94
; %bb.93:
	v_add_co_u32_e32 v18, vcc, 0x1000, v16
	v_addc_co_u32_e32 v19, vcc, 0, v17, vcc
	s_waitcnt lgkmcnt(0)
	flat_store_dword v[18:19], v12
.LBB4342_94:
	s_or_b64 exec, exec, s[0:1]
	v_or_b32_e32 v18, 0x480, v0
	v_cmp_gt_u32_e32 vcc, s33, v18
	s_and_saveexec_b64 s[0:1], vcc
	s_cbranch_execz .LBB4342_96
; %bb.95:
	v_add_co_u32_e32 v18, vcc, 0x1000, v16
	v_addc_co_u32_e32 v19, vcc, 0, v17, vcc
	s_waitcnt lgkmcnt(0)
	flat_store_dword v[18:19], v13 offset:512
.LBB4342_96:
	s_or_b64 exec, exec, s[0:1]
	v_or_b32_e32 v18, 0x500, v0
	v_cmp_gt_u32_e32 vcc, s33, v18
	s_and_saveexec_b64 s[0:1], vcc
	s_cbranch_execz .LBB4342_98
; %bb.97:
	v_add_co_u32_e32 v18, vcc, 0x1000, v16
	v_addc_co_u32_e32 v19, vcc, 0, v17, vcc
	s_waitcnt lgkmcnt(0)
	flat_store_dword v[18:19], v10 offset:1024
.LBB4342_98:
	;; [unrolled: 11-line block ×5, first 2 shown]
	s_or_b64 exec, exec, s[0:1]
	v_cmp_lt_u64_e64 s[0:1], s[22:23], 2
	s_and_b64 vcc, exec, s[0:1]
	s_cbranch_vccnz .LBB4342_155
; %bb.105:
	s_add_u32 s0, s33, -1
	s_addc_u32 s1, s36, -1
	s_add_u32 s2, 0, 0x49240800
	s_addc_u32 s3, 0, 50
	s_add_i32 s3, s3, 0x12492460
	s_mul_hi_u32 s7, s2, -14
	s_sub_i32 s7, s7, s2
	s_mul_i32 s8, s3, -14
	s_mul_i32 s4, s2, -14
	s_add_i32 s7, s7, s8
	s_mul_hi_u32 s5, s3, s4
	s_mul_i32 s6, s3, s4
	s_mul_i32 s9, s2, s7
	s_mul_hi_u32 s4, s2, s4
	s_mul_hi_u32 s8, s2, s7
	s_add_u32 s4, s4, s9
	s_addc_u32 s8, 0, s8
	s_add_u32 s4, s4, s6
	s_mul_hi_u32 s9, s3, s7
	s_addc_u32 s4, s8, s5
	s_addc_u32 s5, s9, 0
	s_mul_i32 s6, s3, s7
	s_add_u32 s4, s4, s6
	v_mov_b32_e32 v16, s4
	s_addc_u32 s5, 0, s5
	v_add_co_u32_e32 v16, vcc, s2, v16
	s_cmp_lg_u64 vcc, 0
	s_addc_u32 s2, s3, s5
	v_readfirstlane_b32 s5, v16
	s_mul_i32 s4, s0, s2
	s_mul_hi_u32 s6, s0, s5
	s_mul_hi_u32 s3, s0, s2
	s_add_u32 s4, s6, s4
	s_addc_u32 s3, 0, s3
	s_mul_hi_u32 s7, s1, s5
	s_mul_i32 s5, s1, s5
	s_add_u32 s4, s4, s5
	s_mul_hi_u32 s6, s1, s2
	s_addc_u32 s3, s3, s7
	s_addc_u32 s4, s6, 0
	s_mul_i32 s2, s1, s2
	s_add_u32 s2, s3, s2
	s_addc_u32 s3, 0, s4
	s_add_u32 s4, s2, 1
	s_addc_u32 s5, s3, 0
	s_add_u32 s6, s2, 2
	s_mul_i32 s8, s3, 14
	s_mul_hi_u32 s9, s2, 14
	s_addc_u32 s7, s3, 0
	s_add_i32 s9, s9, s8
	s_mul_i32 s8, s2, 14
	v_mov_b32_e32 v16, s8
	v_sub_co_u32_e32 v16, vcc, s0, v16
	s_cmp_lg_u64 vcc, 0
	s_subb_u32 s8, s1, s9
	v_subrev_co_u32_e32 v17, vcc, 14, v16
	s_cmp_lg_u64 vcc, 0
	s_subb_u32 s9, s8, 0
	v_readfirstlane_b32 s10, v17
	s_cmp_gt_u32 s10, 13
	s_cselect_b32 s10, -1, 0
	s_cmp_eq_u32 s9, 0
	s_cselect_b32 s9, s10, -1
	s_cmp_lg_u32 s9, 0
	s_cselect_b32 s4, s6, s4
	v_readfirstlane_b32 s6, v16
	s_cselect_b32 s5, s7, s5
	s_cmp_gt_u32 s6, 13
	s_cselect_b32 s6, -1, 0
	s_cmp_eq_u32 s8, 0
	s_cselect_b32 s6, s6, -1
	s_cmp_lg_u32 s6, 0
	s_cselect_b32 s3, s5, s3
	s_cselect_b32 s2, s4, s2
	v_cmp_eq_u64_e32 vcc, s[2:3], v[0:1]
	s_and_saveexec_b64 s[2:3], vcc
	s_cbranch_execz .LBB4342_155
; %bb.106:
	v_mul_hi_u32_u24_e32 v1, 14, v0
	v_mov_b32_e32 v16, s1
	v_sub_co_u32_e32 v0, vcc, s0, v33
	v_subb_co_u32_e32 v1, vcc, v16, v1, vcc
	v_cmp_lt_i64_e32 vcc, 6, v[0:1]
	s_and_saveexec_b64 s[0:1], vcc
	s_xor_b64 s[0:1], exec, s[0:1]
	s_cbranch_execz .LBB4342_132
; %bb.107:
	v_cmp_lt_i64_e32 vcc, 9, v[0:1]
	s_and_saveexec_b64 s[2:3], vcc
	s_xor_b64 s[2:3], exec, s[2:3]
	s_cbranch_execz .LBB4342_121
; %bb.108:
	;; [unrolled: 5-line block ×4, first 2 shown]
	v_mov_b32_e32 v0, 0
	s_waitcnt lgkmcnt(0)
	global_store_dword v0, v15, s[18:19]
                                        ; implicit-def: $vgpr14_vgpr15
.LBB4342_111:
	s_andn2_saveexec_b64 s[6:7], s[6:7]
	s_cbranch_execz .LBB4342_113
; %bb.112:
	v_mov_b32_e32 v0, 0
	s_waitcnt lgkmcnt(0)
	global_store_dword v0, v14, s[18:19]
.LBB4342_113:
	s_or_b64 exec, exec, s[6:7]
                                        ; implicit-def: $vgpr10_vgpr11
                                        ; implicit-def: $vgpr0_vgpr1
.LBB4342_114:
	s_andn2_saveexec_b64 s[4:5], s[4:5]
	s_cbranch_execz .LBB4342_120
; %bb.115:
	v_cmp_lt_i64_e32 vcc, 10, v[0:1]
	s_and_saveexec_b64 s[6:7], vcc
	s_xor_b64 s[6:7], exec, s[6:7]
	s_cbranch_execz .LBB4342_117
; %bb.116:
	v_mov_b32_e32 v0, 0
	s_waitcnt lgkmcnt(0)
	global_store_dword v0, v11, s[18:19]
                                        ; implicit-def: $vgpr10_vgpr11
.LBB4342_117:
	s_andn2_saveexec_b64 s[6:7], s[6:7]
	s_cbranch_execz .LBB4342_119
; %bb.118:
	v_mov_b32_e32 v0, 0
	s_waitcnt lgkmcnt(0)
	global_store_dword v0, v10, s[18:19]
.LBB4342_119:
	s_or_b64 exec, exec, s[6:7]
.LBB4342_120:
	s_or_b64 exec, exec, s[4:5]
                                        ; implicit-def: $vgpr2_vgpr3
                                        ; implicit-def: $vgpr0_vgpr1
                                        ; implicit-def: $vgpr12_vgpr13
.LBB4342_121:
	s_andn2_saveexec_b64 s[2:3], s[2:3]
	s_cbranch_execz .LBB4342_131
; %bb.122:
	v_cmp_lt_i64_e32 vcc, 7, v[0:1]
	s_and_saveexec_b64 s[4:5], vcc
	s_xor_b64 s[4:5], exec, s[4:5]
	s_cbranch_execz .LBB4342_128
; %bb.123:
	v_cmp_lt_i64_e32 vcc, 8, v[0:1]
	s_and_saveexec_b64 s[6:7], vcc
	s_xor_b64 s[6:7], exec, s[6:7]
	s_cbranch_execz .LBB4342_125
; %bb.124:
	v_mov_b32_e32 v0, 0
	s_waitcnt lgkmcnt(0)
	global_store_dword v0, v13, s[18:19]
                                        ; implicit-def: $vgpr12_vgpr13
.LBB4342_125:
	s_andn2_saveexec_b64 s[6:7], s[6:7]
	s_cbranch_execz .LBB4342_127
; %bb.126:
	v_mov_b32_e32 v0, 0
	s_waitcnt lgkmcnt(0)
	global_store_dword v0, v12, s[18:19]
.LBB4342_127:
	s_or_b64 exec, exec, s[6:7]
                                        ; implicit-def: $vgpr2_vgpr3
.LBB4342_128:
	s_andn2_saveexec_b64 s[4:5], s[4:5]
	s_cbranch_execz .LBB4342_130
; %bb.129:
	v_mov_b32_e32 v0, 0
	s_waitcnt lgkmcnt(0)
	global_store_dword v0, v3, s[18:19]
.LBB4342_130:
	s_or_b64 exec, exec, s[4:5]
.LBB4342_131:
	s_or_b64 exec, exec, s[2:3]
                                        ; implicit-def: $vgpr0_vgpr1
                                        ; implicit-def: $vgpr8_vgpr9
                                        ; implicit-def: $vgpr4_vgpr5
                                        ; implicit-def: $vgpr6_vgpr7
                                        ; implicit-def: $vgpr2_vgpr3
.LBB4342_132:
	s_andn2_saveexec_b64 s[0:1], s[0:1]
	s_cbranch_execz .LBB4342_155
; %bb.133:
	v_cmp_lt_i64_e32 vcc, 3, v[0:1]
	s_and_saveexec_b64 s[0:1], vcc
	s_xor_b64 s[0:1], exec, s[0:1]
	s_cbranch_execz .LBB4342_143
; %bb.134:
	v_cmp_lt_i64_e32 vcc, 4, v[0:1]
	s_and_saveexec_b64 s[2:3], vcc
	s_xor_b64 s[2:3], exec, s[2:3]
	;; [unrolled: 5-line block ×3, first 2 shown]
	s_cbranch_execz .LBB4342_137
; %bb.136:
	v_mov_b32_e32 v0, 0
	s_waitcnt lgkmcnt(0)
	global_store_dword v0, v2, s[18:19]
                                        ; implicit-def: $vgpr8_vgpr9
.LBB4342_137:
	s_andn2_saveexec_b64 s[4:5], s[4:5]
	s_cbranch_execz .LBB4342_139
; %bb.138:
	v_mov_b32_e32 v0, 0
	s_waitcnt lgkmcnt(0)
	global_store_dword v0, v9, s[18:19]
.LBB4342_139:
	s_or_b64 exec, exec, s[4:5]
                                        ; implicit-def: $vgpr8_vgpr9
.LBB4342_140:
	s_andn2_saveexec_b64 s[2:3], s[2:3]
	s_cbranch_execz .LBB4342_142
; %bb.141:
	v_mov_b32_e32 v0, 0
	s_waitcnt lgkmcnt(0)
	global_store_dword v0, v8, s[18:19]
.LBB4342_142:
	s_or_b64 exec, exec, s[2:3]
                                        ; implicit-def: $vgpr0_vgpr1
                                        ; implicit-def: $vgpr4_vgpr5
                                        ; implicit-def: $vgpr6_vgpr7
.LBB4342_143:
	s_andn2_saveexec_b64 s[0:1], s[0:1]
	s_cbranch_execz .LBB4342_155
; %bb.144:
	v_cmp_lt_i64_e32 vcc, 1, v[0:1]
	s_and_saveexec_b64 s[0:1], vcc
	s_xor_b64 s[0:1], exec, s[0:1]
	s_cbranch_execz .LBB4342_150
; %bb.145:
	v_cmp_lt_i64_e32 vcc, 2, v[0:1]
	s_and_saveexec_b64 s[2:3], vcc
	s_xor_b64 s[2:3], exec, s[2:3]
	s_cbranch_execz .LBB4342_147
; %bb.146:
	v_mov_b32_e32 v0, 0
	s_waitcnt lgkmcnt(0)
	global_store_dword v0, v7, s[18:19]
                                        ; implicit-def: $vgpr6_vgpr7
.LBB4342_147:
	s_andn2_saveexec_b64 s[2:3], s[2:3]
	s_cbranch_execz .LBB4342_149
; %bb.148:
	v_mov_b32_e32 v0, 0
	s_waitcnt lgkmcnt(0)
	global_store_dword v0, v6, s[18:19]
.LBB4342_149:
	s_or_b64 exec, exec, s[2:3]
                                        ; implicit-def: $vgpr4_vgpr5
                                        ; implicit-def: $vgpr0_vgpr1
.LBB4342_150:
	s_andn2_saveexec_b64 s[0:1], s[0:1]
	s_cbranch_execz .LBB4342_155
; %bb.151:
	v_cmp_ne_u64_e32 vcc, 1, v[0:1]
	s_and_saveexec_b64 s[0:1], vcc
	s_xor_b64 s[0:1], exec, s[0:1]
	s_cbranch_execz .LBB4342_153
; %bb.152:
	v_mov_b32_e32 v0, 0
	s_waitcnt lgkmcnt(0)
	global_store_dword v0, v4, s[18:19]
                                        ; implicit-def: $vgpr4_vgpr5
.LBB4342_153:
	s_andn2_saveexec_b64 s[0:1], s[0:1]
	s_cbranch_execz .LBB4342_155
; %bb.154:
	v_mov_b32_e32 v0, 0
	s_waitcnt lgkmcnt(0)
	global_store_dword v0, v5, s[18:19]
.LBB4342_155:
	s_endpgm
	.section	.rodata,"a",@progbits
	.p2align	6, 0x0
	.amdhsa_kernel _ZN7rocprim17ROCPRIM_400000_NS6detail17trampoline_kernelINS0_14default_configENS1_20scan_config_selectorIfEEZZNS1_9scan_implILNS1_25lookback_scan_determinismE0ELb0ELb0ES3_N6thrust23THRUST_200600_302600_NS6detail15normal_iteratorINS9_10device_ptrIfEEEESE_fNS9_4plusIvEEfEEDaPvRmT3_T4_T5_mT6_P12ihipStream_tbENKUlT_T0_E_clISt17integral_constantIbLb0EEST_IbLb1EEEEDaSP_SQ_EUlSP_E_NS1_11comp_targetILNS1_3genE4ELNS1_11target_archE910ELNS1_3gpuE8ELNS1_3repE0EEENS1_30default_config_static_selectorELNS0_4arch9wavefront6targetE1EEEvT1_
		.amdhsa_group_segment_fixed_size 7168
		.amdhsa_private_segment_fixed_size 0
		.amdhsa_kernarg_size 96
		.amdhsa_user_sgpr_count 6
		.amdhsa_user_sgpr_private_segment_buffer 1
		.amdhsa_user_sgpr_dispatch_ptr 0
		.amdhsa_user_sgpr_queue_ptr 0
		.amdhsa_user_sgpr_kernarg_segment_ptr 1
		.amdhsa_user_sgpr_dispatch_id 0
		.amdhsa_user_sgpr_flat_scratch_init 0
		.amdhsa_user_sgpr_kernarg_preload_length 0
		.amdhsa_user_sgpr_kernarg_preload_offset 0
		.amdhsa_user_sgpr_private_segment_size 0
		.amdhsa_uses_dynamic_stack 0
		.amdhsa_system_sgpr_private_segment_wavefront_offset 0
		.amdhsa_system_sgpr_workgroup_id_x 1
		.amdhsa_system_sgpr_workgroup_id_y 0
		.amdhsa_system_sgpr_workgroup_id_z 0
		.amdhsa_system_sgpr_workgroup_info 0
		.amdhsa_system_vgpr_workitem_id 0
		.amdhsa_next_free_vgpr 48
		.amdhsa_next_free_sgpr 38
		.amdhsa_accum_offset 48
		.amdhsa_reserve_vcc 1
		.amdhsa_reserve_flat_scratch 0
		.amdhsa_float_round_mode_32 0
		.amdhsa_float_round_mode_16_64 0
		.amdhsa_float_denorm_mode_32 3
		.amdhsa_float_denorm_mode_16_64 3
		.amdhsa_dx10_clamp 1
		.amdhsa_ieee_mode 1
		.amdhsa_fp16_overflow 0
		.amdhsa_tg_split 0
		.amdhsa_exception_fp_ieee_invalid_op 0
		.amdhsa_exception_fp_denorm_src 0
		.amdhsa_exception_fp_ieee_div_zero 0
		.amdhsa_exception_fp_ieee_overflow 0
		.amdhsa_exception_fp_ieee_underflow 0
		.amdhsa_exception_fp_ieee_inexact 0
		.amdhsa_exception_int_div_zero 0
	.end_amdhsa_kernel
	.section	.text._ZN7rocprim17ROCPRIM_400000_NS6detail17trampoline_kernelINS0_14default_configENS1_20scan_config_selectorIfEEZZNS1_9scan_implILNS1_25lookback_scan_determinismE0ELb0ELb0ES3_N6thrust23THRUST_200600_302600_NS6detail15normal_iteratorINS9_10device_ptrIfEEEESE_fNS9_4plusIvEEfEEDaPvRmT3_T4_T5_mT6_P12ihipStream_tbENKUlT_T0_E_clISt17integral_constantIbLb0EEST_IbLb1EEEEDaSP_SQ_EUlSP_E_NS1_11comp_targetILNS1_3genE4ELNS1_11target_archE910ELNS1_3gpuE8ELNS1_3repE0EEENS1_30default_config_static_selectorELNS0_4arch9wavefront6targetE1EEEvT1_,"axG",@progbits,_ZN7rocprim17ROCPRIM_400000_NS6detail17trampoline_kernelINS0_14default_configENS1_20scan_config_selectorIfEEZZNS1_9scan_implILNS1_25lookback_scan_determinismE0ELb0ELb0ES3_N6thrust23THRUST_200600_302600_NS6detail15normal_iteratorINS9_10device_ptrIfEEEESE_fNS9_4plusIvEEfEEDaPvRmT3_T4_T5_mT6_P12ihipStream_tbENKUlT_T0_E_clISt17integral_constantIbLb0EEST_IbLb1EEEEDaSP_SQ_EUlSP_E_NS1_11comp_targetILNS1_3genE4ELNS1_11target_archE910ELNS1_3gpuE8ELNS1_3repE0EEENS1_30default_config_static_selectorELNS0_4arch9wavefront6targetE1EEEvT1_,comdat
.Lfunc_end4342:
	.size	_ZN7rocprim17ROCPRIM_400000_NS6detail17trampoline_kernelINS0_14default_configENS1_20scan_config_selectorIfEEZZNS1_9scan_implILNS1_25lookback_scan_determinismE0ELb0ELb0ES3_N6thrust23THRUST_200600_302600_NS6detail15normal_iteratorINS9_10device_ptrIfEEEESE_fNS9_4plusIvEEfEEDaPvRmT3_T4_T5_mT6_P12ihipStream_tbENKUlT_T0_E_clISt17integral_constantIbLb0EEST_IbLb1EEEEDaSP_SQ_EUlSP_E_NS1_11comp_targetILNS1_3genE4ELNS1_11target_archE910ELNS1_3gpuE8ELNS1_3repE0EEENS1_30default_config_static_selectorELNS0_4arch9wavefront6targetE1EEEvT1_, .Lfunc_end4342-_ZN7rocprim17ROCPRIM_400000_NS6detail17trampoline_kernelINS0_14default_configENS1_20scan_config_selectorIfEEZZNS1_9scan_implILNS1_25lookback_scan_determinismE0ELb0ELb0ES3_N6thrust23THRUST_200600_302600_NS6detail15normal_iteratorINS9_10device_ptrIfEEEESE_fNS9_4plusIvEEfEEDaPvRmT3_T4_T5_mT6_P12ihipStream_tbENKUlT_T0_E_clISt17integral_constantIbLb0EEST_IbLb1EEEEDaSP_SQ_EUlSP_E_NS1_11comp_targetILNS1_3genE4ELNS1_11target_archE910ELNS1_3gpuE8ELNS1_3repE0EEENS1_30default_config_static_selectorELNS0_4arch9wavefront6targetE1EEEvT1_
                                        ; -- End function
	.section	.AMDGPU.csdata,"",@progbits
; Kernel info:
; codeLenInByte = 5764
; NumSgprs: 42
; NumVgprs: 48
; NumAgprs: 0
; TotalNumVgprs: 48
; ScratchSize: 0
; MemoryBound: 0
; FloatMode: 240
; IeeeMode: 1
; LDSByteSize: 7168 bytes/workgroup (compile time only)
; SGPRBlocks: 5
; VGPRBlocks: 5
; NumSGPRsForWavesPerEU: 42
; NumVGPRsForWavesPerEU: 48
; AccumOffset: 48
; Occupancy: 5
; WaveLimiterHint : 1
; COMPUTE_PGM_RSRC2:SCRATCH_EN: 0
; COMPUTE_PGM_RSRC2:USER_SGPR: 6
; COMPUTE_PGM_RSRC2:TRAP_HANDLER: 0
; COMPUTE_PGM_RSRC2:TGID_X_EN: 1
; COMPUTE_PGM_RSRC2:TGID_Y_EN: 0
; COMPUTE_PGM_RSRC2:TGID_Z_EN: 0
; COMPUTE_PGM_RSRC2:TIDIG_COMP_CNT: 0
; COMPUTE_PGM_RSRC3_GFX90A:ACCUM_OFFSET: 11
; COMPUTE_PGM_RSRC3_GFX90A:TG_SPLIT: 0
	.section	.text._ZN7rocprim17ROCPRIM_400000_NS6detail17trampoline_kernelINS0_14default_configENS1_20scan_config_selectorIfEEZZNS1_9scan_implILNS1_25lookback_scan_determinismE0ELb0ELb0ES3_N6thrust23THRUST_200600_302600_NS6detail15normal_iteratorINS9_10device_ptrIfEEEESE_fNS9_4plusIvEEfEEDaPvRmT3_T4_T5_mT6_P12ihipStream_tbENKUlT_T0_E_clISt17integral_constantIbLb0EEST_IbLb1EEEEDaSP_SQ_EUlSP_E_NS1_11comp_targetILNS1_3genE3ELNS1_11target_archE908ELNS1_3gpuE7ELNS1_3repE0EEENS1_30default_config_static_selectorELNS0_4arch9wavefront6targetE1EEEvT1_,"axG",@progbits,_ZN7rocprim17ROCPRIM_400000_NS6detail17trampoline_kernelINS0_14default_configENS1_20scan_config_selectorIfEEZZNS1_9scan_implILNS1_25lookback_scan_determinismE0ELb0ELb0ES3_N6thrust23THRUST_200600_302600_NS6detail15normal_iteratorINS9_10device_ptrIfEEEESE_fNS9_4plusIvEEfEEDaPvRmT3_T4_T5_mT6_P12ihipStream_tbENKUlT_T0_E_clISt17integral_constantIbLb0EEST_IbLb1EEEEDaSP_SQ_EUlSP_E_NS1_11comp_targetILNS1_3genE3ELNS1_11target_archE908ELNS1_3gpuE7ELNS1_3repE0EEENS1_30default_config_static_selectorELNS0_4arch9wavefront6targetE1EEEvT1_,comdat
	.protected	_ZN7rocprim17ROCPRIM_400000_NS6detail17trampoline_kernelINS0_14default_configENS1_20scan_config_selectorIfEEZZNS1_9scan_implILNS1_25lookback_scan_determinismE0ELb0ELb0ES3_N6thrust23THRUST_200600_302600_NS6detail15normal_iteratorINS9_10device_ptrIfEEEESE_fNS9_4plusIvEEfEEDaPvRmT3_T4_T5_mT6_P12ihipStream_tbENKUlT_T0_E_clISt17integral_constantIbLb0EEST_IbLb1EEEEDaSP_SQ_EUlSP_E_NS1_11comp_targetILNS1_3genE3ELNS1_11target_archE908ELNS1_3gpuE7ELNS1_3repE0EEENS1_30default_config_static_selectorELNS0_4arch9wavefront6targetE1EEEvT1_ ; -- Begin function _ZN7rocprim17ROCPRIM_400000_NS6detail17trampoline_kernelINS0_14default_configENS1_20scan_config_selectorIfEEZZNS1_9scan_implILNS1_25lookback_scan_determinismE0ELb0ELb0ES3_N6thrust23THRUST_200600_302600_NS6detail15normal_iteratorINS9_10device_ptrIfEEEESE_fNS9_4plusIvEEfEEDaPvRmT3_T4_T5_mT6_P12ihipStream_tbENKUlT_T0_E_clISt17integral_constantIbLb0EEST_IbLb1EEEEDaSP_SQ_EUlSP_E_NS1_11comp_targetILNS1_3genE3ELNS1_11target_archE908ELNS1_3gpuE7ELNS1_3repE0EEENS1_30default_config_static_selectorELNS0_4arch9wavefront6targetE1EEEvT1_
	.globl	_ZN7rocprim17ROCPRIM_400000_NS6detail17trampoline_kernelINS0_14default_configENS1_20scan_config_selectorIfEEZZNS1_9scan_implILNS1_25lookback_scan_determinismE0ELb0ELb0ES3_N6thrust23THRUST_200600_302600_NS6detail15normal_iteratorINS9_10device_ptrIfEEEESE_fNS9_4plusIvEEfEEDaPvRmT3_T4_T5_mT6_P12ihipStream_tbENKUlT_T0_E_clISt17integral_constantIbLb0EEST_IbLb1EEEEDaSP_SQ_EUlSP_E_NS1_11comp_targetILNS1_3genE3ELNS1_11target_archE908ELNS1_3gpuE7ELNS1_3repE0EEENS1_30default_config_static_selectorELNS0_4arch9wavefront6targetE1EEEvT1_
	.p2align	8
	.type	_ZN7rocprim17ROCPRIM_400000_NS6detail17trampoline_kernelINS0_14default_configENS1_20scan_config_selectorIfEEZZNS1_9scan_implILNS1_25lookback_scan_determinismE0ELb0ELb0ES3_N6thrust23THRUST_200600_302600_NS6detail15normal_iteratorINS9_10device_ptrIfEEEESE_fNS9_4plusIvEEfEEDaPvRmT3_T4_T5_mT6_P12ihipStream_tbENKUlT_T0_E_clISt17integral_constantIbLb0EEST_IbLb1EEEEDaSP_SQ_EUlSP_E_NS1_11comp_targetILNS1_3genE3ELNS1_11target_archE908ELNS1_3gpuE7ELNS1_3repE0EEENS1_30default_config_static_selectorELNS0_4arch9wavefront6targetE1EEEvT1_,@function
_ZN7rocprim17ROCPRIM_400000_NS6detail17trampoline_kernelINS0_14default_configENS1_20scan_config_selectorIfEEZZNS1_9scan_implILNS1_25lookback_scan_determinismE0ELb0ELb0ES3_N6thrust23THRUST_200600_302600_NS6detail15normal_iteratorINS9_10device_ptrIfEEEESE_fNS9_4plusIvEEfEEDaPvRmT3_T4_T5_mT6_P12ihipStream_tbENKUlT_T0_E_clISt17integral_constantIbLb0EEST_IbLb1EEEEDaSP_SQ_EUlSP_E_NS1_11comp_targetILNS1_3genE3ELNS1_11target_archE908ELNS1_3gpuE7ELNS1_3repE0EEENS1_30default_config_static_selectorELNS0_4arch9wavefront6targetE1EEEvT1_: ; @_ZN7rocprim17ROCPRIM_400000_NS6detail17trampoline_kernelINS0_14default_configENS1_20scan_config_selectorIfEEZZNS1_9scan_implILNS1_25lookback_scan_determinismE0ELb0ELb0ES3_N6thrust23THRUST_200600_302600_NS6detail15normal_iteratorINS9_10device_ptrIfEEEESE_fNS9_4plusIvEEfEEDaPvRmT3_T4_T5_mT6_P12ihipStream_tbENKUlT_T0_E_clISt17integral_constantIbLb0EEST_IbLb1EEEEDaSP_SQ_EUlSP_E_NS1_11comp_targetILNS1_3genE3ELNS1_11target_archE908ELNS1_3gpuE7ELNS1_3repE0EEENS1_30default_config_static_selectorELNS0_4arch9wavefront6targetE1EEEvT1_
; %bb.0:
	.section	.rodata,"a",@progbits
	.p2align	6, 0x0
	.amdhsa_kernel _ZN7rocprim17ROCPRIM_400000_NS6detail17trampoline_kernelINS0_14default_configENS1_20scan_config_selectorIfEEZZNS1_9scan_implILNS1_25lookback_scan_determinismE0ELb0ELb0ES3_N6thrust23THRUST_200600_302600_NS6detail15normal_iteratorINS9_10device_ptrIfEEEESE_fNS9_4plusIvEEfEEDaPvRmT3_T4_T5_mT6_P12ihipStream_tbENKUlT_T0_E_clISt17integral_constantIbLb0EEST_IbLb1EEEEDaSP_SQ_EUlSP_E_NS1_11comp_targetILNS1_3genE3ELNS1_11target_archE908ELNS1_3gpuE7ELNS1_3repE0EEENS1_30default_config_static_selectorELNS0_4arch9wavefront6targetE1EEEvT1_
		.amdhsa_group_segment_fixed_size 0
		.amdhsa_private_segment_fixed_size 0
		.amdhsa_kernarg_size 96
		.amdhsa_user_sgpr_count 6
		.amdhsa_user_sgpr_private_segment_buffer 1
		.amdhsa_user_sgpr_dispatch_ptr 0
		.amdhsa_user_sgpr_queue_ptr 0
		.amdhsa_user_sgpr_kernarg_segment_ptr 1
		.amdhsa_user_sgpr_dispatch_id 0
		.amdhsa_user_sgpr_flat_scratch_init 0
		.amdhsa_user_sgpr_kernarg_preload_length 0
		.amdhsa_user_sgpr_kernarg_preload_offset 0
		.amdhsa_user_sgpr_private_segment_size 0
		.amdhsa_uses_dynamic_stack 0
		.amdhsa_system_sgpr_private_segment_wavefront_offset 0
		.amdhsa_system_sgpr_workgroup_id_x 1
		.amdhsa_system_sgpr_workgroup_id_y 0
		.amdhsa_system_sgpr_workgroup_id_z 0
		.amdhsa_system_sgpr_workgroup_info 0
		.amdhsa_system_vgpr_workitem_id 0
		.amdhsa_next_free_vgpr 1
		.amdhsa_next_free_sgpr 0
		.amdhsa_accum_offset 4
		.amdhsa_reserve_vcc 0
		.amdhsa_reserve_flat_scratch 0
		.amdhsa_float_round_mode_32 0
		.amdhsa_float_round_mode_16_64 0
		.amdhsa_float_denorm_mode_32 3
		.amdhsa_float_denorm_mode_16_64 3
		.amdhsa_dx10_clamp 1
		.amdhsa_ieee_mode 1
		.amdhsa_fp16_overflow 0
		.amdhsa_tg_split 0
		.amdhsa_exception_fp_ieee_invalid_op 0
		.amdhsa_exception_fp_denorm_src 0
		.amdhsa_exception_fp_ieee_div_zero 0
		.amdhsa_exception_fp_ieee_overflow 0
		.amdhsa_exception_fp_ieee_underflow 0
		.amdhsa_exception_fp_ieee_inexact 0
		.amdhsa_exception_int_div_zero 0
	.end_amdhsa_kernel
	.section	.text._ZN7rocprim17ROCPRIM_400000_NS6detail17trampoline_kernelINS0_14default_configENS1_20scan_config_selectorIfEEZZNS1_9scan_implILNS1_25lookback_scan_determinismE0ELb0ELb0ES3_N6thrust23THRUST_200600_302600_NS6detail15normal_iteratorINS9_10device_ptrIfEEEESE_fNS9_4plusIvEEfEEDaPvRmT3_T4_T5_mT6_P12ihipStream_tbENKUlT_T0_E_clISt17integral_constantIbLb0EEST_IbLb1EEEEDaSP_SQ_EUlSP_E_NS1_11comp_targetILNS1_3genE3ELNS1_11target_archE908ELNS1_3gpuE7ELNS1_3repE0EEENS1_30default_config_static_selectorELNS0_4arch9wavefront6targetE1EEEvT1_,"axG",@progbits,_ZN7rocprim17ROCPRIM_400000_NS6detail17trampoline_kernelINS0_14default_configENS1_20scan_config_selectorIfEEZZNS1_9scan_implILNS1_25lookback_scan_determinismE0ELb0ELb0ES3_N6thrust23THRUST_200600_302600_NS6detail15normal_iteratorINS9_10device_ptrIfEEEESE_fNS9_4plusIvEEfEEDaPvRmT3_T4_T5_mT6_P12ihipStream_tbENKUlT_T0_E_clISt17integral_constantIbLb0EEST_IbLb1EEEEDaSP_SQ_EUlSP_E_NS1_11comp_targetILNS1_3genE3ELNS1_11target_archE908ELNS1_3gpuE7ELNS1_3repE0EEENS1_30default_config_static_selectorELNS0_4arch9wavefront6targetE1EEEvT1_,comdat
.Lfunc_end4343:
	.size	_ZN7rocprim17ROCPRIM_400000_NS6detail17trampoline_kernelINS0_14default_configENS1_20scan_config_selectorIfEEZZNS1_9scan_implILNS1_25lookback_scan_determinismE0ELb0ELb0ES3_N6thrust23THRUST_200600_302600_NS6detail15normal_iteratorINS9_10device_ptrIfEEEESE_fNS9_4plusIvEEfEEDaPvRmT3_T4_T5_mT6_P12ihipStream_tbENKUlT_T0_E_clISt17integral_constantIbLb0EEST_IbLb1EEEEDaSP_SQ_EUlSP_E_NS1_11comp_targetILNS1_3genE3ELNS1_11target_archE908ELNS1_3gpuE7ELNS1_3repE0EEENS1_30default_config_static_selectorELNS0_4arch9wavefront6targetE1EEEvT1_, .Lfunc_end4343-_ZN7rocprim17ROCPRIM_400000_NS6detail17trampoline_kernelINS0_14default_configENS1_20scan_config_selectorIfEEZZNS1_9scan_implILNS1_25lookback_scan_determinismE0ELb0ELb0ES3_N6thrust23THRUST_200600_302600_NS6detail15normal_iteratorINS9_10device_ptrIfEEEESE_fNS9_4plusIvEEfEEDaPvRmT3_T4_T5_mT6_P12ihipStream_tbENKUlT_T0_E_clISt17integral_constantIbLb0EEST_IbLb1EEEEDaSP_SQ_EUlSP_E_NS1_11comp_targetILNS1_3genE3ELNS1_11target_archE908ELNS1_3gpuE7ELNS1_3repE0EEENS1_30default_config_static_selectorELNS0_4arch9wavefront6targetE1EEEvT1_
                                        ; -- End function
	.section	.AMDGPU.csdata,"",@progbits
; Kernel info:
; codeLenInByte = 0
; NumSgprs: 4
; NumVgprs: 0
; NumAgprs: 0
; TotalNumVgprs: 0
; ScratchSize: 0
; MemoryBound: 0
; FloatMode: 240
; IeeeMode: 1
; LDSByteSize: 0 bytes/workgroup (compile time only)
; SGPRBlocks: 0
; VGPRBlocks: 0
; NumSGPRsForWavesPerEU: 4
; NumVGPRsForWavesPerEU: 1
; AccumOffset: 4
; Occupancy: 8
; WaveLimiterHint : 0
; COMPUTE_PGM_RSRC2:SCRATCH_EN: 0
; COMPUTE_PGM_RSRC2:USER_SGPR: 6
; COMPUTE_PGM_RSRC2:TRAP_HANDLER: 0
; COMPUTE_PGM_RSRC2:TGID_X_EN: 1
; COMPUTE_PGM_RSRC2:TGID_Y_EN: 0
; COMPUTE_PGM_RSRC2:TGID_Z_EN: 0
; COMPUTE_PGM_RSRC2:TIDIG_COMP_CNT: 0
; COMPUTE_PGM_RSRC3_GFX90A:ACCUM_OFFSET: 0
; COMPUTE_PGM_RSRC3_GFX90A:TG_SPLIT: 0
	.section	.text._ZN7rocprim17ROCPRIM_400000_NS6detail17trampoline_kernelINS0_14default_configENS1_20scan_config_selectorIfEEZZNS1_9scan_implILNS1_25lookback_scan_determinismE0ELb0ELb0ES3_N6thrust23THRUST_200600_302600_NS6detail15normal_iteratorINS9_10device_ptrIfEEEESE_fNS9_4plusIvEEfEEDaPvRmT3_T4_T5_mT6_P12ihipStream_tbENKUlT_T0_E_clISt17integral_constantIbLb0EEST_IbLb1EEEEDaSP_SQ_EUlSP_E_NS1_11comp_targetILNS1_3genE2ELNS1_11target_archE906ELNS1_3gpuE6ELNS1_3repE0EEENS1_30default_config_static_selectorELNS0_4arch9wavefront6targetE1EEEvT1_,"axG",@progbits,_ZN7rocprim17ROCPRIM_400000_NS6detail17trampoline_kernelINS0_14default_configENS1_20scan_config_selectorIfEEZZNS1_9scan_implILNS1_25lookback_scan_determinismE0ELb0ELb0ES3_N6thrust23THRUST_200600_302600_NS6detail15normal_iteratorINS9_10device_ptrIfEEEESE_fNS9_4plusIvEEfEEDaPvRmT3_T4_T5_mT6_P12ihipStream_tbENKUlT_T0_E_clISt17integral_constantIbLb0EEST_IbLb1EEEEDaSP_SQ_EUlSP_E_NS1_11comp_targetILNS1_3genE2ELNS1_11target_archE906ELNS1_3gpuE6ELNS1_3repE0EEENS1_30default_config_static_selectorELNS0_4arch9wavefront6targetE1EEEvT1_,comdat
	.protected	_ZN7rocprim17ROCPRIM_400000_NS6detail17trampoline_kernelINS0_14default_configENS1_20scan_config_selectorIfEEZZNS1_9scan_implILNS1_25lookback_scan_determinismE0ELb0ELb0ES3_N6thrust23THRUST_200600_302600_NS6detail15normal_iteratorINS9_10device_ptrIfEEEESE_fNS9_4plusIvEEfEEDaPvRmT3_T4_T5_mT6_P12ihipStream_tbENKUlT_T0_E_clISt17integral_constantIbLb0EEST_IbLb1EEEEDaSP_SQ_EUlSP_E_NS1_11comp_targetILNS1_3genE2ELNS1_11target_archE906ELNS1_3gpuE6ELNS1_3repE0EEENS1_30default_config_static_selectorELNS0_4arch9wavefront6targetE1EEEvT1_ ; -- Begin function _ZN7rocprim17ROCPRIM_400000_NS6detail17trampoline_kernelINS0_14default_configENS1_20scan_config_selectorIfEEZZNS1_9scan_implILNS1_25lookback_scan_determinismE0ELb0ELb0ES3_N6thrust23THRUST_200600_302600_NS6detail15normal_iteratorINS9_10device_ptrIfEEEESE_fNS9_4plusIvEEfEEDaPvRmT3_T4_T5_mT6_P12ihipStream_tbENKUlT_T0_E_clISt17integral_constantIbLb0EEST_IbLb1EEEEDaSP_SQ_EUlSP_E_NS1_11comp_targetILNS1_3genE2ELNS1_11target_archE906ELNS1_3gpuE6ELNS1_3repE0EEENS1_30default_config_static_selectorELNS0_4arch9wavefront6targetE1EEEvT1_
	.globl	_ZN7rocprim17ROCPRIM_400000_NS6detail17trampoline_kernelINS0_14default_configENS1_20scan_config_selectorIfEEZZNS1_9scan_implILNS1_25lookback_scan_determinismE0ELb0ELb0ES3_N6thrust23THRUST_200600_302600_NS6detail15normal_iteratorINS9_10device_ptrIfEEEESE_fNS9_4plusIvEEfEEDaPvRmT3_T4_T5_mT6_P12ihipStream_tbENKUlT_T0_E_clISt17integral_constantIbLb0EEST_IbLb1EEEEDaSP_SQ_EUlSP_E_NS1_11comp_targetILNS1_3genE2ELNS1_11target_archE906ELNS1_3gpuE6ELNS1_3repE0EEENS1_30default_config_static_selectorELNS0_4arch9wavefront6targetE1EEEvT1_
	.p2align	8
	.type	_ZN7rocprim17ROCPRIM_400000_NS6detail17trampoline_kernelINS0_14default_configENS1_20scan_config_selectorIfEEZZNS1_9scan_implILNS1_25lookback_scan_determinismE0ELb0ELb0ES3_N6thrust23THRUST_200600_302600_NS6detail15normal_iteratorINS9_10device_ptrIfEEEESE_fNS9_4plusIvEEfEEDaPvRmT3_T4_T5_mT6_P12ihipStream_tbENKUlT_T0_E_clISt17integral_constantIbLb0EEST_IbLb1EEEEDaSP_SQ_EUlSP_E_NS1_11comp_targetILNS1_3genE2ELNS1_11target_archE906ELNS1_3gpuE6ELNS1_3repE0EEENS1_30default_config_static_selectorELNS0_4arch9wavefront6targetE1EEEvT1_,@function
_ZN7rocprim17ROCPRIM_400000_NS6detail17trampoline_kernelINS0_14default_configENS1_20scan_config_selectorIfEEZZNS1_9scan_implILNS1_25lookback_scan_determinismE0ELb0ELb0ES3_N6thrust23THRUST_200600_302600_NS6detail15normal_iteratorINS9_10device_ptrIfEEEESE_fNS9_4plusIvEEfEEDaPvRmT3_T4_T5_mT6_P12ihipStream_tbENKUlT_T0_E_clISt17integral_constantIbLb0EEST_IbLb1EEEEDaSP_SQ_EUlSP_E_NS1_11comp_targetILNS1_3genE2ELNS1_11target_archE906ELNS1_3gpuE6ELNS1_3repE0EEENS1_30default_config_static_selectorELNS0_4arch9wavefront6targetE1EEEvT1_: ; @_ZN7rocprim17ROCPRIM_400000_NS6detail17trampoline_kernelINS0_14default_configENS1_20scan_config_selectorIfEEZZNS1_9scan_implILNS1_25lookback_scan_determinismE0ELb0ELb0ES3_N6thrust23THRUST_200600_302600_NS6detail15normal_iteratorINS9_10device_ptrIfEEEESE_fNS9_4plusIvEEfEEDaPvRmT3_T4_T5_mT6_P12ihipStream_tbENKUlT_T0_E_clISt17integral_constantIbLb0EEST_IbLb1EEEEDaSP_SQ_EUlSP_E_NS1_11comp_targetILNS1_3genE2ELNS1_11target_archE906ELNS1_3gpuE6ELNS1_3repE0EEENS1_30default_config_static_selectorELNS0_4arch9wavefront6targetE1EEEvT1_
; %bb.0:
	.section	.rodata,"a",@progbits
	.p2align	6, 0x0
	.amdhsa_kernel _ZN7rocprim17ROCPRIM_400000_NS6detail17trampoline_kernelINS0_14default_configENS1_20scan_config_selectorIfEEZZNS1_9scan_implILNS1_25lookback_scan_determinismE0ELb0ELb0ES3_N6thrust23THRUST_200600_302600_NS6detail15normal_iteratorINS9_10device_ptrIfEEEESE_fNS9_4plusIvEEfEEDaPvRmT3_T4_T5_mT6_P12ihipStream_tbENKUlT_T0_E_clISt17integral_constantIbLb0EEST_IbLb1EEEEDaSP_SQ_EUlSP_E_NS1_11comp_targetILNS1_3genE2ELNS1_11target_archE906ELNS1_3gpuE6ELNS1_3repE0EEENS1_30default_config_static_selectorELNS0_4arch9wavefront6targetE1EEEvT1_
		.amdhsa_group_segment_fixed_size 0
		.amdhsa_private_segment_fixed_size 0
		.amdhsa_kernarg_size 96
		.amdhsa_user_sgpr_count 6
		.amdhsa_user_sgpr_private_segment_buffer 1
		.amdhsa_user_sgpr_dispatch_ptr 0
		.amdhsa_user_sgpr_queue_ptr 0
		.amdhsa_user_sgpr_kernarg_segment_ptr 1
		.amdhsa_user_sgpr_dispatch_id 0
		.amdhsa_user_sgpr_flat_scratch_init 0
		.amdhsa_user_sgpr_kernarg_preload_length 0
		.amdhsa_user_sgpr_kernarg_preload_offset 0
		.amdhsa_user_sgpr_private_segment_size 0
		.amdhsa_uses_dynamic_stack 0
		.amdhsa_system_sgpr_private_segment_wavefront_offset 0
		.amdhsa_system_sgpr_workgroup_id_x 1
		.amdhsa_system_sgpr_workgroup_id_y 0
		.amdhsa_system_sgpr_workgroup_id_z 0
		.amdhsa_system_sgpr_workgroup_info 0
		.amdhsa_system_vgpr_workitem_id 0
		.amdhsa_next_free_vgpr 1
		.amdhsa_next_free_sgpr 0
		.amdhsa_accum_offset 4
		.amdhsa_reserve_vcc 0
		.amdhsa_reserve_flat_scratch 0
		.amdhsa_float_round_mode_32 0
		.amdhsa_float_round_mode_16_64 0
		.amdhsa_float_denorm_mode_32 3
		.amdhsa_float_denorm_mode_16_64 3
		.amdhsa_dx10_clamp 1
		.amdhsa_ieee_mode 1
		.amdhsa_fp16_overflow 0
		.amdhsa_tg_split 0
		.amdhsa_exception_fp_ieee_invalid_op 0
		.amdhsa_exception_fp_denorm_src 0
		.amdhsa_exception_fp_ieee_div_zero 0
		.amdhsa_exception_fp_ieee_overflow 0
		.amdhsa_exception_fp_ieee_underflow 0
		.amdhsa_exception_fp_ieee_inexact 0
		.amdhsa_exception_int_div_zero 0
	.end_amdhsa_kernel
	.section	.text._ZN7rocprim17ROCPRIM_400000_NS6detail17trampoline_kernelINS0_14default_configENS1_20scan_config_selectorIfEEZZNS1_9scan_implILNS1_25lookback_scan_determinismE0ELb0ELb0ES3_N6thrust23THRUST_200600_302600_NS6detail15normal_iteratorINS9_10device_ptrIfEEEESE_fNS9_4plusIvEEfEEDaPvRmT3_T4_T5_mT6_P12ihipStream_tbENKUlT_T0_E_clISt17integral_constantIbLb0EEST_IbLb1EEEEDaSP_SQ_EUlSP_E_NS1_11comp_targetILNS1_3genE2ELNS1_11target_archE906ELNS1_3gpuE6ELNS1_3repE0EEENS1_30default_config_static_selectorELNS0_4arch9wavefront6targetE1EEEvT1_,"axG",@progbits,_ZN7rocprim17ROCPRIM_400000_NS6detail17trampoline_kernelINS0_14default_configENS1_20scan_config_selectorIfEEZZNS1_9scan_implILNS1_25lookback_scan_determinismE0ELb0ELb0ES3_N6thrust23THRUST_200600_302600_NS6detail15normal_iteratorINS9_10device_ptrIfEEEESE_fNS9_4plusIvEEfEEDaPvRmT3_T4_T5_mT6_P12ihipStream_tbENKUlT_T0_E_clISt17integral_constantIbLb0EEST_IbLb1EEEEDaSP_SQ_EUlSP_E_NS1_11comp_targetILNS1_3genE2ELNS1_11target_archE906ELNS1_3gpuE6ELNS1_3repE0EEENS1_30default_config_static_selectorELNS0_4arch9wavefront6targetE1EEEvT1_,comdat
.Lfunc_end4344:
	.size	_ZN7rocprim17ROCPRIM_400000_NS6detail17trampoline_kernelINS0_14default_configENS1_20scan_config_selectorIfEEZZNS1_9scan_implILNS1_25lookback_scan_determinismE0ELb0ELb0ES3_N6thrust23THRUST_200600_302600_NS6detail15normal_iteratorINS9_10device_ptrIfEEEESE_fNS9_4plusIvEEfEEDaPvRmT3_T4_T5_mT6_P12ihipStream_tbENKUlT_T0_E_clISt17integral_constantIbLb0EEST_IbLb1EEEEDaSP_SQ_EUlSP_E_NS1_11comp_targetILNS1_3genE2ELNS1_11target_archE906ELNS1_3gpuE6ELNS1_3repE0EEENS1_30default_config_static_selectorELNS0_4arch9wavefront6targetE1EEEvT1_, .Lfunc_end4344-_ZN7rocprim17ROCPRIM_400000_NS6detail17trampoline_kernelINS0_14default_configENS1_20scan_config_selectorIfEEZZNS1_9scan_implILNS1_25lookback_scan_determinismE0ELb0ELb0ES3_N6thrust23THRUST_200600_302600_NS6detail15normal_iteratorINS9_10device_ptrIfEEEESE_fNS9_4plusIvEEfEEDaPvRmT3_T4_T5_mT6_P12ihipStream_tbENKUlT_T0_E_clISt17integral_constantIbLb0EEST_IbLb1EEEEDaSP_SQ_EUlSP_E_NS1_11comp_targetILNS1_3genE2ELNS1_11target_archE906ELNS1_3gpuE6ELNS1_3repE0EEENS1_30default_config_static_selectorELNS0_4arch9wavefront6targetE1EEEvT1_
                                        ; -- End function
	.section	.AMDGPU.csdata,"",@progbits
; Kernel info:
; codeLenInByte = 0
; NumSgprs: 4
; NumVgprs: 0
; NumAgprs: 0
; TotalNumVgprs: 0
; ScratchSize: 0
; MemoryBound: 0
; FloatMode: 240
; IeeeMode: 1
; LDSByteSize: 0 bytes/workgroup (compile time only)
; SGPRBlocks: 0
; VGPRBlocks: 0
; NumSGPRsForWavesPerEU: 4
; NumVGPRsForWavesPerEU: 1
; AccumOffset: 4
; Occupancy: 8
; WaveLimiterHint : 0
; COMPUTE_PGM_RSRC2:SCRATCH_EN: 0
; COMPUTE_PGM_RSRC2:USER_SGPR: 6
; COMPUTE_PGM_RSRC2:TRAP_HANDLER: 0
; COMPUTE_PGM_RSRC2:TGID_X_EN: 1
; COMPUTE_PGM_RSRC2:TGID_Y_EN: 0
; COMPUTE_PGM_RSRC2:TGID_Z_EN: 0
; COMPUTE_PGM_RSRC2:TIDIG_COMP_CNT: 0
; COMPUTE_PGM_RSRC3_GFX90A:ACCUM_OFFSET: 0
; COMPUTE_PGM_RSRC3_GFX90A:TG_SPLIT: 0
	.section	.text._ZN7rocprim17ROCPRIM_400000_NS6detail17trampoline_kernelINS0_14default_configENS1_20scan_config_selectorIfEEZZNS1_9scan_implILNS1_25lookback_scan_determinismE0ELb0ELb0ES3_N6thrust23THRUST_200600_302600_NS6detail15normal_iteratorINS9_10device_ptrIfEEEESE_fNS9_4plusIvEEfEEDaPvRmT3_T4_T5_mT6_P12ihipStream_tbENKUlT_T0_E_clISt17integral_constantIbLb0EEST_IbLb1EEEEDaSP_SQ_EUlSP_E_NS1_11comp_targetILNS1_3genE10ELNS1_11target_archE1201ELNS1_3gpuE5ELNS1_3repE0EEENS1_30default_config_static_selectorELNS0_4arch9wavefront6targetE1EEEvT1_,"axG",@progbits,_ZN7rocprim17ROCPRIM_400000_NS6detail17trampoline_kernelINS0_14default_configENS1_20scan_config_selectorIfEEZZNS1_9scan_implILNS1_25lookback_scan_determinismE0ELb0ELb0ES3_N6thrust23THRUST_200600_302600_NS6detail15normal_iteratorINS9_10device_ptrIfEEEESE_fNS9_4plusIvEEfEEDaPvRmT3_T4_T5_mT6_P12ihipStream_tbENKUlT_T0_E_clISt17integral_constantIbLb0EEST_IbLb1EEEEDaSP_SQ_EUlSP_E_NS1_11comp_targetILNS1_3genE10ELNS1_11target_archE1201ELNS1_3gpuE5ELNS1_3repE0EEENS1_30default_config_static_selectorELNS0_4arch9wavefront6targetE1EEEvT1_,comdat
	.protected	_ZN7rocprim17ROCPRIM_400000_NS6detail17trampoline_kernelINS0_14default_configENS1_20scan_config_selectorIfEEZZNS1_9scan_implILNS1_25lookback_scan_determinismE0ELb0ELb0ES3_N6thrust23THRUST_200600_302600_NS6detail15normal_iteratorINS9_10device_ptrIfEEEESE_fNS9_4plusIvEEfEEDaPvRmT3_T4_T5_mT6_P12ihipStream_tbENKUlT_T0_E_clISt17integral_constantIbLb0EEST_IbLb1EEEEDaSP_SQ_EUlSP_E_NS1_11comp_targetILNS1_3genE10ELNS1_11target_archE1201ELNS1_3gpuE5ELNS1_3repE0EEENS1_30default_config_static_selectorELNS0_4arch9wavefront6targetE1EEEvT1_ ; -- Begin function _ZN7rocprim17ROCPRIM_400000_NS6detail17trampoline_kernelINS0_14default_configENS1_20scan_config_selectorIfEEZZNS1_9scan_implILNS1_25lookback_scan_determinismE0ELb0ELb0ES3_N6thrust23THRUST_200600_302600_NS6detail15normal_iteratorINS9_10device_ptrIfEEEESE_fNS9_4plusIvEEfEEDaPvRmT3_T4_T5_mT6_P12ihipStream_tbENKUlT_T0_E_clISt17integral_constantIbLb0EEST_IbLb1EEEEDaSP_SQ_EUlSP_E_NS1_11comp_targetILNS1_3genE10ELNS1_11target_archE1201ELNS1_3gpuE5ELNS1_3repE0EEENS1_30default_config_static_selectorELNS0_4arch9wavefront6targetE1EEEvT1_
	.globl	_ZN7rocprim17ROCPRIM_400000_NS6detail17trampoline_kernelINS0_14default_configENS1_20scan_config_selectorIfEEZZNS1_9scan_implILNS1_25lookback_scan_determinismE0ELb0ELb0ES3_N6thrust23THRUST_200600_302600_NS6detail15normal_iteratorINS9_10device_ptrIfEEEESE_fNS9_4plusIvEEfEEDaPvRmT3_T4_T5_mT6_P12ihipStream_tbENKUlT_T0_E_clISt17integral_constantIbLb0EEST_IbLb1EEEEDaSP_SQ_EUlSP_E_NS1_11comp_targetILNS1_3genE10ELNS1_11target_archE1201ELNS1_3gpuE5ELNS1_3repE0EEENS1_30default_config_static_selectorELNS0_4arch9wavefront6targetE1EEEvT1_
	.p2align	8
	.type	_ZN7rocprim17ROCPRIM_400000_NS6detail17trampoline_kernelINS0_14default_configENS1_20scan_config_selectorIfEEZZNS1_9scan_implILNS1_25lookback_scan_determinismE0ELb0ELb0ES3_N6thrust23THRUST_200600_302600_NS6detail15normal_iteratorINS9_10device_ptrIfEEEESE_fNS9_4plusIvEEfEEDaPvRmT3_T4_T5_mT6_P12ihipStream_tbENKUlT_T0_E_clISt17integral_constantIbLb0EEST_IbLb1EEEEDaSP_SQ_EUlSP_E_NS1_11comp_targetILNS1_3genE10ELNS1_11target_archE1201ELNS1_3gpuE5ELNS1_3repE0EEENS1_30default_config_static_selectorELNS0_4arch9wavefront6targetE1EEEvT1_,@function
_ZN7rocprim17ROCPRIM_400000_NS6detail17trampoline_kernelINS0_14default_configENS1_20scan_config_selectorIfEEZZNS1_9scan_implILNS1_25lookback_scan_determinismE0ELb0ELb0ES3_N6thrust23THRUST_200600_302600_NS6detail15normal_iteratorINS9_10device_ptrIfEEEESE_fNS9_4plusIvEEfEEDaPvRmT3_T4_T5_mT6_P12ihipStream_tbENKUlT_T0_E_clISt17integral_constantIbLb0EEST_IbLb1EEEEDaSP_SQ_EUlSP_E_NS1_11comp_targetILNS1_3genE10ELNS1_11target_archE1201ELNS1_3gpuE5ELNS1_3repE0EEENS1_30default_config_static_selectorELNS0_4arch9wavefront6targetE1EEEvT1_: ; @_ZN7rocprim17ROCPRIM_400000_NS6detail17trampoline_kernelINS0_14default_configENS1_20scan_config_selectorIfEEZZNS1_9scan_implILNS1_25lookback_scan_determinismE0ELb0ELb0ES3_N6thrust23THRUST_200600_302600_NS6detail15normal_iteratorINS9_10device_ptrIfEEEESE_fNS9_4plusIvEEfEEDaPvRmT3_T4_T5_mT6_P12ihipStream_tbENKUlT_T0_E_clISt17integral_constantIbLb0EEST_IbLb1EEEEDaSP_SQ_EUlSP_E_NS1_11comp_targetILNS1_3genE10ELNS1_11target_archE1201ELNS1_3gpuE5ELNS1_3repE0EEENS1_30default_config_static_selectorELNS0_4arch9wavefront6targetE1EEEvT1_
; %bb.0:
	.section	.rodata,"a",@progbits
	.p2align	6, 0x0
	.amdhsa_kernel _ZN7rocprim17ROCPRIM_400000_NS6detail17trampoline_kernelINS0_14default_configENS1_20scan_config_selectorIfEEZZNS1_9scan_implILNS1_25lookback_scan_determinismE0ELb0ELb0ES3_N6thrust23THRUST_200600_302600_NS6detail15normal_iteratorINS9_10device_ptrIfEEEESE_fNS9_4plusIvEEfEEDaPvRmT3_T4_T5_mT6_P12ihipStream_tbENKUlT_T0_E_clISt17integral_constantIbLb0EEST_IbLb1EEEEDaSP_SQ_EUlSP_E_NS1_11comp_targetILNS1_3genE10ELNS1_11target_archE1201ELNS1_3gpuE5ELNS1_3repE0EEENS1_30default_config_static_selectorELNS0_4arch9wavefront6targetE1EEEvT1_
		.amdhsa_group_segment_fixed_size 0
		.amdhsa_private_segment_fixed_size 0
		.amdhsa_kernarg_size 96
		.amdhsa_user_sgpr_count 6
		.amdhsa_user_sgpr_private_segment_buffer 1
		.amdhsa_user_sgpr_dispatch_ptr 0
		.amdhsa_user_sgpr_queue_ptr 0
		.amdhsa_user_sgpr_kernarg_segment_ptr 1
		.amdhsa_user_sgpr_dispatch_id 0
		.amdhsa_user_sgpr_flat_scratch_init 0
		.amdhsa_user_sgpr_kernarg_preload_length 0
		.amdhsa_user_sgpr_kernarg_preload_offset 0
		.amdhsa_user_sgpr_private_segment_size 0
		.amdhsa_uses_dynamic_stack 0
		.amdhsa_system_sgpr_private_segment_wavefront_offset 0
		.amdhsa_system_sgpr_workgroup_id_x 1
		.amdhsa_system_sgpr_workgroup_id_y 0
		.amdhsa_system_sgpr_workgroup_id_z 0
		.amdhsa_system_sgpr_workgroup_info 0
		.amdhsa_system_vgpr_workitem_id 0
		.amdhsa_next_free_vgpr 1
		.amdhsa_next_free_sgpr 0
		.amdhsa_accum_offset 4
		.amdhsa_reserve_vcc 0
		.amdhsa_reserve_flat_scratch 0
		.amdhsa_float_round_mode_32 0
		.amdhsa_float_round_mode_16_64 0
		.amdhsa_float_denorm_mode_32 3
		.amdhsa_float_denorm_mode_16_64 3
		.amdhsa_dx10_clamp 1
		.amdhsa_ieee_mode 1
		.amdhsa_fp16_overflow 0
		.amdhsa_tg_split 0
		.amdhsa_exception_fp_ieee_invalid_op 0
		.amdhsa_exception_fp_denorm_src 0
		.amdhsa_exception_fp_ieee_div_zero 0
		.amdhsa_exception_fp_ieee_overflow 0
		.amdhsa_exception_fp_ieee_underflow 0
		.amdhsa_exception_fp_ieee_inexact 0
		.amdhsa_exception_int_div_zero 0
	.end_amdhsa_kernel
	.section	.text._ZN7rocprim17ROCPRIM_400000_NS6detail17trampoline_kernelINS0_14default_configENS1_20scan_config_selectorIfEEZZNS1_9scan_implILNS1_25lookback_scan_determinismE0ELb0ELb0ES3_N6thrust23THRUST_200600_302600_NS6detail15normal_iteratorINS9_10device_ptrIfEEEESE_fNS9_4plusIvEEfEEDaPvRmT3_T4_T5_mT6_P12ihipStream_tbENKUlT_T0_E_clISt17integral_constantIbLb0EEST_IbLb1EEEEDaSP_SQ_EUlSP_E_NS1_11comp_targetILNS1_3genE10ELNS1_11target_archE1201ELNS1_3gpuE5ELNS1_3repE0EEENS1_30default_config_static_selectorELNS0_4arch9wavefront6targetE1EEEvT1_,"axG",@progbits,_ZN7rocprim17ROCPRIM_400000_NS6detail17trampoline_kernelINS0_14default_configENS1_20scan_config_selectorIfEEZZNS1_9scan_implILNS1_25lookback_scan_determinismE0ELb0ELb0ES3_N6thrust23THRUST_200600_302600_NS6detail15normal_iteratorINS9_10device_ptrIfEEEESE_fNS9_4plusIvEEfEEDaPvRmT3_T4_T5_mT6_P12ihipStream_tbENKUlT_T0_E_clISt17integral_constantIbLb0EEST_IbLb1EEEEDaSP_SQ_EUlSP_E_NS1_11comp_targetILNS1_3genE10ELNS1_11target_archE1201ELNS1_3gpuE5ELNS1_3repE0EEENS1_30default_config_static_selectorELNS0_4arch9wavefront6targetE1EEEvT1_,comdat
.Lfunc_end4345:
	.size	_ZN7rocprim17ROCPRIM_400000_NS6detail17trampoline_kernelINS0_14default_configENS1_20scan_config_selectorIfEEZZNS1_9scan_implILNS1_25lookback_scan_determinismE0ELb0ELb0ES3_N6thrust23THRUST_200600_302600_NS6detail15normal_iteratorINS9_10device_ptrIfEEEESE_fNS9_4plusIvEEfEEDaPvRmT3_T4_T5_mT6_P12ihipStream_tbENKUlT_T0_E_clISt17integral_constantIbLb0EEST_IbLb1EEEEDaSP_SQ_EUlSP_E_NS1_11comp_targetILNS1_3genE10ELNS1_11target_archE1201ELNS1_3gpuE5ELNS1_3repE0EEENS1_30default_config_static_selectorELNS0_4arch9wavefront6targetE1EEEvT1_, .Lfunc_end4345-_ZN7rocprim17ROCPRIM_400000_NS6detail17trampoline_kernelINS0_14default_configENS1_20scan_config_selectorIfEEZZNS1_9scan_implILNS1_25lookback_scan_determinismE0ELb0ELb0ES3_N6thrust23THRUST_200600_302600_NS6detail15normal_iteratorINS9_10device_ptrIfEEEESE_fNS9_4plusIvEEfEEDaPvRmT3_T4_T5_mT6_P12ihipStream_tbENKUlT_T0_E_clISt17integral_constantIbLb0EEST_IbLb1EEEEDaSP_SQ_EUlSP_E_NS1_11comp_targetILNS1_3genE10ELNS1_11target_archE1201ELNS1_3gpuE5ELNS1_3repE0EEENS1_30default_config_static_selectorELNS0_4arch9wavefront6targetE1EEEvT1_
                                        ; -- End function
	.section	.AMDGPU.csdata,"",@progbits
; Kernel info:
; codeLenInByte = 0
; NumSgprs: 4
; NumVgprs: 0
; NumAgprs: 0
; TotalNumVgprs: 0
; ScratchSize: 0
; MemoryBound: 0
; FloatMode: 240
; IeeeMode: 1
; LDSByteSize: 0 bytes/workgroup (compile time only)
; SGPRBlocks: 0
; VGPRBlocks: 0
; NumSGPRsForWavesPerEU: 4
; NumVGPRsForWavesPerEU: 1
; AccumOffset: 4
; Occupancy: 8
; WaveLimiterHint : 0
; COMPUTE_PGM_RSRC2:SCRATCH_EN: 0
; COMPUTE_PGM_RSRC2:USER_SGPR: 6
; COMPUTE_PGM_RSRC2:TRAP_HANDLER: 0
; COMPUTE_PGM_RSRC2:TGID_X_EN: 1
; COMPUTE_PGM_RSRC2:TGID_Y_EN: 0
; COMPUTE_PGM_RSRC2:TGID_Z_EN: 0
; COMPUTE_PGM_RSRC2:TIDIG_COMP_CNT: 0
; COMPUTE_PGM_RSRC3_GFX90A:ACCUM_OFFSET: 0
; COMPUTE_PGM_RSRC3_GFX90A:TG_SPLIT: 0
	.section	.text._ZN7rocprim17ROCPRIM_400000_NS6detail17trampoline_kernelINS0_14default_configENS1_20scan_config_selectorIfEEZZNS1_9scan_implILNS1_25lookback_scan_determinismE0ELb0ELb0ES3_N6thrust23THRUST_200600_302600_NS6detail15normal_iteratorINS9_10device_ptrIfEEEESE_fNS9_4plusIvEEfEEDaPvRmT3_T4_T5_mT6_P12ihipStream_tbENKUlT_T0_E_clISt17integral_constantIbLb0EEST_IbLb1EEEEDaSP_SQ_EUlSP_E_NS1_11comp_targetILNS1_3genE10ELNS1_11target_archE1200ELNS1_3gpuE4ELNS1_3repE0EEENS1_30default_config_static_selectorELNS0_4arch9wavefront6targetE1EEEvT1_,"axG",@progbits,_ZN7rocprim17ROCPRIM_400000_NS6detail17trampoline_kernelINS0_14default_configENS1_20scan_config_selectorIfEEZZNS1_9scan_implILNS1_25lookback_scan_determinismE0ELb0ELb0ES3_N6thrust23THRUST_200600_302600_NS6detail15normal_iteratorINS9_10device_ptrIfEEEESE_fNS9_4plusIvEEfEEDaPvRmT3_T4_T5_mT6_P12ihipStream_tbENKUlT_T0_E_clISt17integral_constantIbLb0EEST_IbLb1EEEEDaSP_SQ_EUlSP_E_NS1_11comp_targetILNS1_3genE10ELNS1_11target_archE1200ELNS1_3gpuE4ELNS1_3repE0EEENS1_30default_config_static_selectorELNS0_4arch9wavefront6targetE1EEEvT1_,comdat
	.protected	_ZN7rocprim17ROCPRIM_400000_NS6detail17trampoline_kernelINS0_14default_configENS1_20scan_config_selectorIfEEZZNS1_9scan_implILNS1_25lookback_scan_determinismE0ELb0ELb0ES3_N6thrust23THRUST_200600_302600_NS6detail15normal_iteratorINS9_10device_ptrIfEEEESE_fNS9_4plusIvEEfEEDaPvRmT3_T4_T5_mT6_P12ihipStream_tbENKUlT_T0_E_clISt17integral_constantIbLb0EEST_IbLb1EEEEDaSP_SQ_EUlSP_E_NS1_11comp_targetILNS1_3genE10ELNS1_11target_archE1200ELNS1_3gpuE4ELNS1_3repE0EEENS1_30default_config_static_selectorELNS0_4arch9wavefront6targetE1EEEvT1_ ; -- Begin function _ZN7rocprim17ROCPRIM_400000_NS6detail17trampoline_kernelINS0_14default_configENS1_20scan_config_selectorIfEEZZNS1_9scan_implILNS1_25lookback_scan_determinismE0ELb0ELb0ES3_N6thrust23THRUST_200600_302600_NS6detail15normal_iteratorINS9_10device_ptrIfEEEESE_fNS9_4plusIvEEfEEDaPvRmT3_T4_T5_mT6_P12ihipStream_tbENKUlT_T0_E_clISt17integral_constantIbLb0EEST_IbLb1EEEEDaSP_SQ_EUlSP_E_NS1_11comp_targetILNS1_3genE10ELNS1_11target_archE1200ELNS1_3gpuE4ELNS1_3repE0EEENS1_30default_config_static_selectorELNS0_4arch9wavefront6targetE1EEEvT1_
	.globl	_ZN7rocprim17ROCPRIM_400000_NS6detail17trampoline_kernelINS0_14default_configENS1_20scan_config_selectorIfEEZZNS1_9scan_implILNS1_25lookback_scan_determinismE0ELb0ELb0ES3_N6thrust23THRUST_200600_302600_NS6detail15normal_iteratorINS9_10device_ptrIfEEEESE_fNS9_4plusIvEEfEEDaPvRmT3_T4_T5_mT6_P12ihipStream_tbENKUlT_T0_E_clISt17integral_constantIbLb0EEST_IbLb1EEEEDaSP_SQ_EUlSP_E_NS1_11comp_targetILNS1_3genE10ELNS1_11target_archE1200ELNS1_3gpuE4ELNS1_3repE0EEENS1_30default_config_static_selectorELNS0_4arch9wavefront6targetE1EEEvT1_
	.p2align	8
	.type	_ZN7rocprim17ROCPRIM_400000_NS6detail17trampoline_kernelINS0_14default_configENS1_20scan_config_selectorIfEEZZNS1_9scan_implILNS1_25lookback_scan_determinismE0ELb0ELb0ES3_N6thrust23THRUST_200600_302600_NS6detail15normal_iteratorINS9_10device_ptrIfEEEESE_fNS9_4plusIvEEfEEDaPvRmT3_T4_T5_mT6_P12ihipStream_tbENKUlT_T0_E_clISt17integral_constantIbLb0EEST_IbLb1EEEEDaSP_SQ_EUlSP_E_NS1_11comp_targetILNS1_3genE10ELNS1_11target_archE1200ELNS1_3gpuE4ELNS1_3repE0EEENS1_30default_config_static_selectorELNS0_4arch9wavefront6targetE1EEEvT1_,@function
_ZN7rocprim17ROCPRIM_400000_NS6detail17trampoline_kernelINS0_14default_configENS1_20scan_config_selectorIfEEZZNS1_9scan_implILNS1_25lookback_scan_determinismE0ELb0ELb0ES3_N6thrust23THRUST_200600_302600_NS6detail15normal_iteratorINS9_10device_ptrIfEEEESE_fNS9_4plusIvEEfEEDaPvRmT3_T4_T5_mT6_P12ihipStream_tbENKUlT_T0_E_clISt17integral_constantIbLb0EEST_IbLb1EEEEDaSP_SQ_EUlSP_E_NS1_11comp_targetILNS1_3genE10ELNS1_11target_archE1200ELNS1_3gpuE4ELNS1_3repE0EEENS1_30default_config_static_selectorELNS0_4arch9wavefront6targetE1EEEvT1_: ; @_ZN7rocprim17ROCPRIM_400000_NS6detail17trampoline_kernelINS0_14default_configENS1_20scan_config_selectorIfEEZZNS1_9scan_implILNS1_25lookback_scan_determinismE0ELb0ELb0ES3_N6thrust23THRUST_200600_302600_NS6detail15normal_iteratorINS9_10device_ptrIfEEEESE_fNS9_4plusIvEEfEEDaPvRmT3_T4_T5_mT6_P12ihipStream_tbENKUlT_T0_E_clISt17integral_constantIbLb0EEST_IbLb1EEEEDaSP_SQ_EUlSP_E_NS1_11comp_targetILNS1_3genE10ELNS1_11target_archE1200ELNS1_3gpuE4ELNS1_3repE0EEENS1_30default_config_static_selectorELNS0_4arch9wavefront6targetE1EEEvT1_
; %bb.0:
	.section	.rodata,"a",@progbits
	.p2align	6, 0x0
	.amdhsa_kernel _ZN7rocprim17ROCPRIM_400000_NS6detail17trampoline_kernelINS0_14default_configENS1_20scan_config_selectorIfEEZZNS1_9scan_implILNS1_25lookback_scan_determinismE0ELb0ELb0ES3_N6thrust23THRUST_200600_302600_NS6detail15normal_iteratorINS9_10device_ptrIfEEEESE_fNS9_4plusIvEEfEEDaPvRmT3_T4_T5_mT6_P12ihipStream_tbENKUlT_T0_E_clISt17integral_constantIbLb0EEST_IbLb1EEEEDaSP_SQ_EUlSP_E_NS1_11comp_targetILNS1_3genE10ELNS1_11target_archE1200ELNS1_3gpuE4ELNS1_3repE0EEENS1_30default_config_static_selectorELNS0_4arch9wavefront6targetE1EEEvT1_
		.amdhsa_group_segment_fixed_size 0
		.amdhsa_private_segment_fixed_size 0
		.amdhsa_kernarg_size 96
		.amdhsa_user_sgpr_count 6
		.amdhsa_user_sgpr_private_segment_buffer 1
		.amdhsa_user_sgpr_dispatch_ptr 0
		.amdhsa_user_sgpr_queue_ptr 0
		.amdhsa_user_sgpr_kernarg_segment_ptr 1
		.amdhsa_user_sgpr_dispatch_id 0
		.amdhsa_user_sgpr_flat_scratch_init 0
		.amdhsa_user_sgpr_kernarg_preload_length 0
		.amdhsa_user_sgpr_kernarg_preload_offset 0
		.amdhsa_user_sgpr_private_segment_size 0
		.amdhsa_uses_dynamic_stack 0
		.amdhsa_system_sgpr_private_segment_wavefront_offset 0
		.amdhsa_system_sgpr_workgroup_id_x 1
		.amdhsa_system_sgpr_workgroup_id_y 0
		.amdhsa_system_sgpr_workgroup_id_z 0
		.amdhsa_system_sgpr_workgroup_info 0
		.amdhsa_system_vgpr_workitem_id 0
		.amdhsa_next_free_vgpr 1
		.amdhsa_next_free_sgpr 0
		.amdhsa_accum_offset 4
		.amdhsa_reserve_vcc 0
		.amdhsa_reserve_flat_scratch 0
		.amdhsa_float_round_mode_32 0
		.amdhsa_float_round_mode_16_64 0
		.amdhsa_float_denorm_mode_32 3
		.amdhsa_float_denorm_mode_16_64 3
		.amdhsa_dx10_clamp 1
		.amdhsa_ieee_mode 1
		.amdhsa_fp16_overflow 0
		.amdhsa_tg_split 0
		.amdhsa_exception_fp_ieee_invalid_op 0
		.amdhsa_exception_fp_denorm_src 0
		.amdhsa_exception_fp_ieee_div_zero 0
		.amdhsa_exception_fp_ieee_overflow 0
		.amdhsa_exception_fp_ieee_underflow 0
		.amdhsa_exception_fp_ieee_inexact 0
		.amdhsa_exception_int_div_zero 0
	.end_amdhsa_kernel
	.section	.text._ZN7rocprim17ROCPRIM_400000_NS6detail17trampoline_kernelINS0_14default_configENS1_20scan_config_selectorIfEEZZNS1_9scan_implILNS1_25lookback_scan_determinismE0ELb0ELb0ES3_N6thrust23THRUST_200600_302600_NS6detail15normal_iteratorINS9_10device_ptrIfEEEESE_fNS9_4plusIvEEfEEDaPvRmT3_T4_T5_mT6_P12ihipStream_tbENKUlT_T0_E_clISt17integral_constantIbLb0EEST_IbLb1EEEEDaSP_SQ_EUlSP_E_NS1_11comp_targetILNS1_3genE10ELNS1_11target_archE1200ELNS1_3gpuE4ELNS1_3repE0EEENS1_30default_config_static_selectorELNS0_4arch9wavefront6targetE1EEEvT1_,"axG",@progbits,_ZN7rocprim17ROCPRIM_400000_NS6detail17trampoline_kernelINS0_14default_configENS1_20scan_config_selectorIfEEZZNS1_9scan_implILNS1_25lookback_scan_determinismE0ELb0ELb0ES3_N6thrust23THRUST_200600_302600_NS6detail15normal_iteratorINS9_10device_ptrIfEEEESE_fNS9_4plusIvEEfEEDaPvRmT3_T4_T5_mT6_P12ihipStream_tbENKUlT_T0_E_clISt17integral_constantIbLb0EEST_IbLb1EEEEDaSP_SQ_EUlSP_E_NS1_11comp_targetILNS1_3genE10ELNS1_11target_archE1200ELNS1_3gpuE4ELNS1_3repE0EEENS1_30default_config_static_selectorELNS0_4arch9wavefront6targetE1EEEvT1_,comdat
.Lfunc_end4346:
	.size	_ZN7rocprim17ROCPRIM_400000_NS6detail17trampoline_kernelINS0_14default_configENS1_20scan_config_selectorIfEEZZNS1_9scan_implILNS1_25lookback_scan_determinismE0ELb0ELb0ES3_N6thrust23THRUST_200600_302600_NS6detail15normal_iteratorINS9_10device_ptrIfEEEESE_fNS9_4plusIvEEfEEDaPvRmT3_T4_T5_mT6_P12ihipStream_tbENKUlT_T0_E_clISt17integral_constantIbLb0EEST_IbLb1EEEEDaSP_SQ_EUlSP_E_NS1_11comp_targetILNS1_3genE10ELNS1_11target_archE1200ELNS1_3gpuE4ELNS1_3repE0EEENS1_30default_config_static_selectorELNS0_4arch9wavefront6targetE1EEEvT1_, .Lfunc_end4346-_ZN7rocprim17ROCPRIM_400000_NS6detail17trampoline_kernelINS0_14default_configENS1_20scan_config_selectorIfEEZZNS1_9scan_implILNS1_25lookback_scan_determinismE0ELb0ELb0ES3_N6thrust23THRUST_200600_302600_NS6detail15normal_iteratorINS9_10device_ptrIfEEEESE_fNS9_4plusIvEEfEEDaPvRmT3_T4_T5_mT6_P12ihipStream_tbENKUlT_T0_E_clISt17integral_constantIbLb0EEST_IbLb1EEEEDaSP_SQ_EUlSP_E_NS1_11comp_targetILNS1_3genE10ELNS1_11target_archE1200ELNS1_3gpuE4ELNS1_3repE0EEENS1_30default_config_static_selectorELNS0_4arch9wavefront6targetE1EEEvT1_
                                        ; -- End function
	.section	.AMDGPU.csdata,"",@progbits
; Kernel info:
; codeLenInByte = 0
; NumSgprs: 4
; NumVgprs: 0
; NumAgprs: 0
; TotalNumVgprs: 0
; ScratchSize: 0
; MemoryBound: 0
; FloatMode: 240
; IeeeMode: 1
; LDSByteSize: 0 bytes/workgroup (compile time only)
; SGPRBlocks: 0
; VGPRBlocks: 0
; NumSGPRsForWavesPerEU: 4
; NumVGPRsForWavesPerEU: 1
; AccumOffset: 4
; Occupancy: 8
; WaveLimiterHint : 0
; COMPUTE_PGM_RSRC2:SCRATCH_EN: 0
; COMPUTE_PGM_RSRC2:USER_SGPR: 6
; COMPUTE_PGM_RSRC2:TRAP_HANDLER: 0
; COMPUTE_PGM_RSRC2:TGID_X_EN: 1
; COMPUTE_PGM_RSRC2:TGID_Y_EN: 0
; COMPUTE_PGM_RSRC2:TGID_Z_EN: 0
; COMPUTE_PGM_RSRC2:TIDIG_COMP_CNT: 0
; COMPUTE_PGM_RSRC3_GFX90A:ACCUM_OFFSET: 0
; COMPUTE_PGM_RSRC3_GFX90A:TG_SPLIT: 0
	.section	.text._ZN7rocprim17ROCPRIM_400000_NS6detail17trampoline_kernelINS0_14default_configENS1_20scan_config_selectorIfEEZZNS1_9scan_implILNS1_25lookback_scan_determinismE0ELb0ELb0ES3_N6thrust23THRUST_200600_302600_NS6detail15normal_iteratorINS9_10device_ptrIfEEEESE_fNS9_4plusIvEEfEEDaPvRmT3_T4_T5_mT6_P12ihipStream_tbENKUlT_T0_E_clISt17integral_constantIbLb0EEST_IbLb1EEEEDaSP_SQ_EUlSP_E_NS1_11comp_targetILNS1_3genE9ELNS1_11target_archE1100ELNS1_3gpuE3ELNS1_3repE0EEENS1_30default_config_static_selectorELNS0_4arch9wavefront6targetE1EEEvT1_,"axG",@progbits,_ZN7rocprim17ROCPRIM_400000_NS6detail17trampoline_kernelINS0_14default_configENS1_20scan_config_selectorIfEEZZNS1_9scan_implILNS1_25lookback_scan_determinismE0ELb0ELb0ES3_N6thrust23THRUST_200600_302600_NS6detail15normal_iteratorINS9_10device_ptrIfEEEESE_fNS9_4plusIvEEfEEDaPvRmT3_T4_T5_mT6_P12ihipStream_tbENKUlT_T0_E_clISt17integral_constantIbLb0EEST_IbLb1EEEEDaSP_SQ_EUlSP_E_NS1_11comp_targetILNS1_3genE9ELNS1_11target_archE1100ELNS1_3gpuE3ELNS1_3repE0EEENS1_30default_config_static_selectorELNS0_4arch9wavefront6targetE1EEEvT1_,comdat
	.protected	_ZN7rocprim17ROCPRIM_400000_NS6detail17trampoline_kernelINS0_14default_configENS1_20scan_config_selectorIfEEZZNS1_9scan_implILNS1_25lookback_scan_determinismE0ELb0ELb0ES3_N6thrust23THRUST_200600_302600_NS6detail15normal_iteratorINS9_10device_ptrIfEEEESE_fNS9_4plusIvEEfEEDaPvRmT3_T4_T5_mT6_P12ihipStream_tbENKUlT_T0_E_clISt17integral_constantIbLb0EEST_IbLb1EEEEDaSP_SQ_EUlSP_E_NS1_11comp_targetILNS1_3genE9ELNS1_11target_archE1100ELNS1_3gpuE3ELNS1_3repE0EEENS1_30default_config_static_selectorELNS0_4arch9wavefront6targetE1EEEvT1_ ; -- Begin function _ZN7rocprim17ROCPRIM_400000_NS6detail17trampoline_kernelINS0_14default_configENS1_20scan_config_selectorIfEEZZNS1_9scan_implILNS1_25lookback_scan_determinismE0ELb0ELb0ES3_N6thrust23THRUST_200600_302600_NS6detail15normal_iteratorINS9_10device_ptrIfEEEESE_fNS9_4plusIvEEfEEDaPvRmT3_T4_T5_mT6_P12ihipStream_tbENKUlT_T0_E_clISt17integral_constantIbLb0EEST_IbLb1EEEEDaSP_SQ_EUlSP_E_NS1_11comp_targetILNS1_3genE9ELNS1_11target_archE1100ELNS1_3gpuE3ELNS1_3repE0EEENS1_30default_config_static_selectorELNS0_4arch9wavefront6targetE1EEEvT1_
	.globl	_ZN7rocprim17ROCPRIM_400000_NS6detail17trampoline_kernelINS0_14default_configENS1_20scan_config_selectorIfEEZZNS1_9scan_implILNS1_25lookback_scan_determinismE0ELb0ELb0ES3_N6thrust23THRUST_200600_302600_NS6detail15normal_iteratorINS9_10device_ptrIfEEEESE_fNS9_4plusIvEEfEEDaPvRmT3_T4_T5_mT6_P12ihipStream_tbENKUlT_T0_E_clISt17integral_constantIbLb0EEST_IbLb1EEEEDaSP_SQ_EUlSP_E_NS1_11comp_targetILNS1_3genE9ELNS1_11target_archE1100ELNS1_3gpuE3ELNS1_3repE0EEENS1_30default_config_static_selectorELNS0_4arch9wavefront6targetE1EEEvT1_
	.p2align	8
	.type	_ZN7rocprim17ROCPRIM_400000_NS6detail17trampoline_kernelINS0_14default_configENS1_20scan_config_selectorIfEEZZNS1_9scan_implILNS1_25lookback_scan_determinismE0ELb0ELb0ES3_N6thrust23THRUST_200600_302600_NS6detail15normal_iteratorINS9_10device_ptrIfEEEESE_fNS9_4plusIvEEfEEDaPvRmT3_T4_T5_mT6_P12ihipStream_tbENKUlT_T0_E_clISt17integral_constantIbLb0EEST_IbLb1EEEEDaSP_SQ_EUlSP_E_NS1_11comp_targetILNS1_3genE9ELNS1_11target_archE1100ELNS1_3gpuE3ELNS1_3repE0EEENS1_30default_config_static_selectorELNS0_4arch9wavefront6targetE1EEEvT1_,@function
_ZN7rocprim17ROCPRIM_400000_NS6detail17trampoline_kernelINS0_14default_configENS1_20scan_config_selectorIfEEZZNS1_9scan_implILNS1_25lookback_scan_determinismE0ELb0ELb0ES3_N6thrust23THRUST_200600_302600_NS6detail15normal_iteratorINS9_10device_ptrIfEEEESE_fNS9_4plusIvEEfEEDaPvRmT3_T4_T5_mT6_P12ihipStream_tbENKUlT_T0_E_clISt17integral_constantIbLb0EEST_IbLb1EEEEDaSP_SQ_EUlSP_E_NS1_11comp_targetILNS1_3genE9ELNS1_11target_archE1100ELNS1_3gpuE3ELNS1_3repE0EEENS1_30default_config_static_selectorELNS0_4arch9wavefront6targetE1EEEvT1_: ; @_ZN7rocprim17ROCPRIM_400000_NS6detail17trampoline_kernelINS0_14default_configENS1_20scan_config_selectorIfEEZZNS1_9scan_implILNS1_25lookback_scan_determinismE0ELb0ELb0ES3_N6thrust23THRUST_200600_302600_NS6detail15normal_iteratorINS9_10device_ptrIfEEEESE_fNS9_4plusIvEEfEEDaPvRmT3_T4_T5_mT6_P12ihipStream_tbENKUlT_T0_E_clISt17integral_constantIbLb0EEST_IbLb1EEEEDaSP_SQ_EUlSP_E_NS1_11comp_targetILNS1_3genE9ELNS1_11target_archE1100ELNS1_3gpuE3ELNS1_3repE0EEENS1_30default_config_static_selectorELNS0_4arch9wavefront6targetE1EEEvT1_
; %bb.0:
	.section	.rodata,"a",@progbits
	.p2align	6, 0x0
	.amdhsa_kernel _ZN7rocprim17ROCPRIM_400000_NS6detail17trampoline_kernelINS0_14default_configENS1_20scan_config_selectorIfEEZZNS1_9scan_implILNS1_25lookback_scan_determinismE0ELb0ELb0ES3_N6thrust23THRUST_200600_302600_NS6detail15normal_iteratorINS9_10device_ptrIfEEEESE_fNS9_4plusIvEEfEEDaPvRmT3_T4_T5_mT6_P12ihipStream_tbENKUlT_T0_E_clISt17integral_constantIbLb0EEST_IbLb1EEEEDaSP_SQ_EUlSP_E_NS1_11comp_targetILNS1_3genE9ELNS1_11target_archE1100ELNS1_3gpuE3ELNS1_3repE0EEENS1_30default_config_static_selectorELNS0_4arch9wavefront6targetE1EEEvT1_
		.amdhsa_group_segment_fixed_size 0
		.amdhsa_private_segment_fixed_size 0
		.amdhsa_kernarg_size 96
		.amdhsa_user_sgpr_count 6
		.amdhsa_user_sgpr_private_segment_buffer 1
		.amdhsa_user_sgpr_dispatch_ptr 0
		.amdhsa_user_sgpr_queue_ptr 0
		.amdhsa_user_sgpr_kernarg_segment_ptr 1
		.amdhsa_user_sgpr_dispatch_id 0
		.amdhsa_user_sgpr_flat_scratch_init 0
		.amdhsa_user_sgpr_kernarg_preload_length 0
		.amdhsa_user_sgpr_kernarg_preload_offset 0
		.amdhsa_user_sgpr_private_segment_size 0
		.amdhsa_uses_dynamic_stack 0
		.amdhsa_system_sgpr_private_segment_wavefront_offset 0
		.amdhsa_system_sgpr_workgroup_id_x 1
		.amdhsa_system_sgpr_workgroup_id_y 0
		.amdhsa_system_sgpr_workgroup_id_z 0
		.amdhsa_system_sgpr_workgroup_info 0
		.amdhsa_system_vgpr_workitem_id 0
		.amdhsa_next_free_vgpr 1
		.amdhsa_next_free_sgpr 0
		.amdhsa_accum_offset 4
		.amdhsa_reserve_vcc 0
		.amdhsa_reserve_flat_scratch 0
		.amdhsa_float_round_mode_32 0
		.amdhsa_float_round_mode_16_64 0
		.amdhsa_float_denorm_mode_32 3
		.amdhsa_float_denorm_mode_16_64 3
		.amdhsa_dx10_clamp 1
		.amdhsa_ieee_mode 1
		.amdhsa_fp16_overflow 0
		.amdhsa_tg_split 0
		.amdhsa_exception_fp_ieee_invalid_op 0
		.amdhsa_exception_fp_denorm_src 0
		.amdhsa_exception_fp_ieee_div_zero 0
		.amdhsa_exception_fp_ieee_overflow 0
		.amdhsa_exception_fp_ieee_underflow 0
		.amdhsa_exception_fp_ieee_inexact 0
		.amdhsa_exception_int_div_zero 0
	.end_amdhsa_kernel
	.section	.text._ZN7rocprim17ROCPRIM_400000_NS6detail17trampoline_kernelINS0_14default_configENS1_20scan_config_selectorIfEEZZNS1_9scan_implILNS1_25lookback_scan_determinismE0ELb0ELb0ES3_N6thrust23THRUST_200600_302600_NS6detail15normal_iteratorINS9_10device_ptrIfEEEESE_fNS9_4plusIvEEfEEDaPvRmT3_T4_T5_mT6_P12ihipStream_tbENKUlT_T0_E_clISt17integral_constantIbLb0EEST_IbLb1EEEEDaSP_SQ_EUlSP_E_NS1_11comp_targetILNS1_3genE9ELNS1_11target_archE1100ELNS1_3gpuE3ELNS1_3repE0EEENS1_30default_config_static_selectorELNS0_4arch9wavefront6targetE1EEEvT1_,"axG",@progbits,_ZN7rocprim17ROCPRIM_400000_NS6detail17trampoline_kernelINS0_14default_configENS1_20scan_config_selectorIfEEZZNS1_9scan_implILNS1_25lookback_scan_determinismE0ELb0ELb0ES3_N6thrust23THRUST_200600_302600_NS6detail15normal_iteratorINS9_10device_ptrIfEEEESE_fNS9_4plusIvEEfEEDaPvRmT3_T4_T5_mT6_P12ihipStream_tbENKUlT_T0_E_clISt17integral_constantIbLb0EEST_IbLb1EEEEDaSP_SQ_EUlSP_E_NS1_11comp_targetILNS1_3genE9ELNS1_11target_archE1100ELNS1_3gpuE3ELNS1_3repE0EEENS1_30default_config_static_selectorELNS0_4arch9wavefront6targetE1EEEvT1_,comdat
.Lfunc_end4347:
	.size	_ZN7rocprim17ROCPRIM_400000_NS6detail17trampoline_kernelINS0_14default_configENS1_20scan_config_selectorIfEEZZNS1_9scan_implILNS1_25lookback_scan_determinismE0ELb0ELb0ES3_N6thrust23THRUST_200600_302600_NS6detail15normal_iteratorINS9_10device_ptrIfEEEESE_fNS9_4plusIvEEfEEDaPvRmT3_T4_T5_mT6_P12ihipStream_tbENKUlT_T0_E_clISt17integral_constantIbLb0EEST_IbLb1EEEEDaSP_SQ_EUlSP_E_NS1_11comp_targetILNS1_3genE9ELNS1_11target_archE1100ELNS1_3gpuE3ELNS1_3repE0EEENS1_30default_config_static_selectorELNS0_4arch9wavefront6targetE1EEEvT1_, .Lfunc_end4347-_ZN7rocprim17ROCPRIM_400000_NS6detail17trampoline_kernelINS0_14default_configENS1_20scan_config_selectorIfEEZZNS1_9scan_implILNS1_25lookback_scan_determinismE0ELb0ELb0ES3_N6thrust23THRUST_200600_302600_NS6detail15normal_iteratorINS9_10device_ptrIfEEEESE_fNS9_4plusIvEEfEEDaPvRmT3_T4_T5_mT6_P12ihipStream_tbENKUlT_T0_E_clISt17integral_constantIbLb0EEST_IbLb1EEEEDaSP_SQ_EUlSP_E_NS1_11comp_targetILNS1_3genE9ELNS1_11target_archE1100ELNS1_3gpuE3ELNS1_3repE0EEENS1_30default_config_static_selectorELNS0_4arch9wavefront6targetE1EEEvT1_
                                        ; -- End function
	.section	.AMDGPU.csdata,"",@progbits
; Kernel info:
; codeLenInByte = 0
; NumSgprs: 4
; NumVgprs: 0
; NumAgprs: 0
; TotalNumVgprs: 0
; ScratchSize: 0
; MemoryBound: 0
; FloatMode: 240
; IeeeMode: 1
; LDSByteSize: 0 bytes/workgroup (compile time only)
; SGPRBlocks: 0
; VGPRBlocks: 0
; NumSGPRsForWavesPerEU: 4
; NumVGPRsForWavesPerEU: 1
; AccumOffset: 4
; Occupancy: 8
; WaveLimiterHint : 0
; COMPUTE_PGM_RSRC2:SCRATCH_EN: 0
; COMPUTE_PGM_RSRC2:USER_SGPR: 6
; COMPUTE_PGM_RSRC2:TRAP_HANDLER: 0
; COMPUTE_PGM_RSRC2:TGID_X_EN: 1
; COMPUTE_PGM_RSRC2:TGID_Y_EN: 0
; COMPUTE_PGM_RSRC2:TGID_Z_EN: 0
; COMPUTE_PGM_RSRC2:TIDIG_COMP_CNT: 0
; COMPUTE_PGM_RSRC3_GFX90A:ACCUM_OFFSET: 0
; COMPUTE_PGM_RSRC3_GFX90A:TG_SPLIT: 0
	.section	.text._ZN7rocprim17ROCPRIM_400000_NS6detail17trampoline_kernelINS0_14default_configENS1_20scan_config_selectorIfEEZZNS1_9scan_implILNS1_25lookback_scan_determinismE0ELb0ELb0ES3_N6thrust23THRUST_200600_302600_NS6detail15normal_iteratorINS9_10device_ptrIfEEEESE_fNS9_4plusIvEEfEEDaPvRmT3_T4_T5_mT6_P12ihipStream_tbENKUlT_T0_E_clISt17integral_constantIbLb0EEST_IbLb1EEEEDaSP_SQ_EUlSP_E_NS1_11comp_targetILNS1_3genE8ELNS1_11target_archE1030ELNS1_3gpuE2ELNS1_3repE0EEENS1_30default_config_static_selectorELNS0_4arch9wavefront6targetE1EEEvT1_,"axG",@progbits,_ZN7rocprim17ROCPRIM_400000_NS6detail17trampoline_kernelINS0_14default_configENS1_20scan_config_selectorIfEEZZNS1_9scan_implILNS1_25lookback_scan_determinismE0ELb0ELb0ES3_N6thrust23THRUST_200600_302600_NS6detail15normal_iteratorINS9_10device_ptrIfEEEESE_fNS9_4plusIvEEfEEDaPvRmT3_T4_T5_mT6_P12ihipStream_tbENKUlT_T0_E_clISt17integral_constantIbLb0EEST_IbLb1EEEEDaSP_SQ_EUlSP_E_NS1_11comp_targetILNS1_3genE8ELNS1_11target_archE1030ELNS1_3gpuE2ELNS1_3repE0EEENS1_30default_config_static_selectorELNS0_4arch9wavefront6targetE1EEEvT1_,comdat
	.protected	_ZN7rocprim17ROCPRIM_400000_NS6detail17trampoline_kernelINS0_14default_configENS1_20scan_config_selectorIfEEZZNS1_9scan_implILNS1_25lookback_scan_determinismE0ELb0ELb0ES3_N6thrust23THRUST_200600_302600_NS6detail15normal_iteratorINS9_10device_ptrIfEEEESE_fNS9_4plusIvEEfEEDaPvRmT3_T4_T5_mT6_P12ihipStream_tbENKUlT_T0_E_clISt17integral_constantIbLb0EEST_IbLb1EEEEDaSP_SQ_EUlSP_E_NS1_11comp_targetILNS1_3genE8ELNS1_11target_archE1030ELNS1_3gpuE2ELNS1_3repE0EEENS1_30default_config_static_selectorELNS0_4arch9wavefront6targetE1EEEvT1_ ; -- Begin function _ZN7rocprim17ROCPRIM_400000_NS6detail17trampoline_kernelINS0_14default_configENS1_20scan_config_selectorIfEEZZNS1_9scan_implILNS1_25lookback_scan_determinismE0ELb0ELb0ES3_N6thrust23THRUST_200600_302600_NS6detail15normal_iteratorINS9_10device_ptrIfEEEESE_fNS9_4plusIvEEfEEDaPvRmT3_T4_T5_mT6_P12ihipStream_tbENKUlT_T0_E_clISt17integral_constantIbLb0EEST_IbLb1EEEEDaSP_SQ_EUlSP_E_NS1_11comp_targetILNS1_3genE8ELNS1_11target_archE1030ELNS1_3gpuE2ELNS1_3repE0EEENS1_30default_config_static_selectorELNS0_4arch9wavefront6targetE1EEEvT1_
	.globl	_ZN7rocprim17ROCPRIM_400000_NS6detail17trampoline_kernelINS0_14default_configENS1_20scan_config_selectorIfEEZZNS1_9scan_implILNS1_25lookback_scan_determinismE0ELb0ELb0ES3_N6thrust23THRUST_200600_302600_NS6detail15normal_iteratorINS9_10device_ptrIfEEEESE_fNS9_4plusIvEEfEEDaPvRmT3_T4_T5_mT6_P12ihipStream_tbENKUlT_T0_E_clISt17integral_constantIbLb0EEST_IbLb1EEEEDaSP_SQ_EUlSP_E_NS1_11comp_targetILNS1_3genE8ELNS1_11target_archE1030ELNS1_3gpuE2ELNS1_3repE0EEENS1_30default_config_static_selectorELNS0_4arch9wavefront6targetE1EEEvT1_
	.p2align	8
	.type	_ZN7rocprim17ROCPRIM_400000_NS6detail17trampoline_kernelINS0_14default_configENS1_20scan_config_selectorIfEEZZNS1_9scan_implILNS1_25lookback_scan_determinismE0ELb0ELb0ES3_N6thrust23THRUST_200600_302600_NS6detail15normal_iteratorINS9_10device_ptrIfEEEESE_fNS9_4plusIvEEfEEDaPvRmT3_T4_T5_mT6_P12ihipStream_tbENKUlT_T0_E_clISt17integral_constantIbLb0EEST_IbLb1EEEEDaSP_SQ_EUlSP_E_NS1_11comp_targetILNS1_3genE8ELNS1_11target_archE1030ELNS1_3gpuE2ELNS1_3repE0EEENS1_30default_config_static_selectorELNS0_4arch9wavefront6targetE1EEEvT1_,@function
_ZN7rocprim17ROCPRIM_400000_NS6detail17trampoline_kernelINS0_14default_configENS1_20scan_config_selectorIfEEZZNS1_9scan_implILNS1_25lookback_scan_determinismE0ELb0ELb0ES3_N6thrust23THRUST_200600_302600_NS6detail15normal_iteratorINS9_10device_ptrIfEEEESE_fNS9_4plusIvEEfEEDaPvRmT3_T4_T5_mT6_P12ihipStream_tbENKUlT_T0_E_clISt17integral_constantIbLb0EEST_IbLb1EEEEDaSP_SQ_EUlSP_E_NS1_11comp_targetILNS1_3genE8ELNS1_11target_archE1030ELNS1_3gpuE2ELNS1_3repE0EEENS1_30default_config_static_selectorELNS0_4arch9wavefront6targetE1EEEvT1_: ; @_ZN7rocprim17ROCPRIM_400000_NS6detail17trampoline_kernelINS0_14default_configENS1_20scan_config_selectorIfEEZZNS1_9scan_implILNS1_25lookback_scan_determinismE0ELb0ELb0ES3_N6thrust23THRUST_200600_302600_NS6detail15normal_iteratorINS9_10device_ptrIfEEEESE_fNS9_4plusIvEEfEEDaPvRmT3_T4_T5_mT6_P12ihipStream_tbENKUlT_T0_E_clISt17integral_constantIbLb0EEST_IbLb1EEEEDaSP_SQ_EUlSP_E_NS1_11comp_targetILNS1_3genE8ELNS1_11target_archE1030ELNS1_3gpuE2ELNS1_3repE0EEENS1_30default_config_static_selectorELNS0_4arch9wavefront6targetE1EEEvT1_
; %bb.0:
	.section	.rodata,"a",@progbits
	.p2align	6, 0x0
	.amdhsa_kernel _ZN7rocprim17ROCPRIM_400000_NS6detail17trampoline_kernelINS0_14default_configENS1_20scan_config_selectorIfEEZZNS1_9scan_implILNS1_25lookback_scan_determinismE0ELb0ELb0ES3_N6thrust23THRUST_200600_302600_NS6detail15normal_iteratorINS9_10device_ptrIfEEEESE_fNS9_4plusIvEEfEEDaPvRmT3_T4_T5_mT6_P12ihipStream_tbENKUlT_T0_E_clISt17integral_constantIbLb0EEST_IbLb1EEEEDaSP_SQ_EUlSP_E_NS1_11comp_targetILNS1_3genE8ELNS1_11target_archE1030ELNS1_3gpuE2ELNS1_3repE0EEENS1_30default_config_static_selectorELNS0_4arch9wavefront6targetE1EEEvT1_
		.amdhsa_group_segment_fixed_size 0
		.amdhsa_private_segment_fixed_size 0
		.amdhsa_kernarg_size 96
		.amdhsa_user_sgpr_count 6
		.amdhsa_user_sgpr_private_segment_buffer 1
		.amdhsa_user_sgpr_dispatch_ptr 0
		.amdhsa_user_sgpr_queue_ptr 0
		.amdhsa_user_sgpr_kernarg_segment_ptr 1
		.amdhsa_user_sgpr_dispatch_id 0
		.amdhsa_user_sgpr_flat_scratch_init 0
		.amdhsa_user_sgpr_kernarg_preload_length 0
		.amdhsa_user_sgpr_kernarg_preload_offset 0
		.amdhsa_user_sgpr_private_segment_size 0
		.amdhsa_uses_dynamic_stack 0
		.amdhsa_system_sgpr_private_segment_wavefront_offset 0
		.amdhsa_system_sgpr_workgroup_id_x 1
		.amdhsa_system_sgpr_workgroup_id_y 0
		.amdhsa_system_sgpr_workgroup_id_z 0
		.amdhsa_system_sgpr_workgroup_info 0
		.amdhsa_system_vgpr_workitem_id 0
		.amdhsa_next_free_vgpr 1
		.amdhsa_next_free_sgpr 0
		.amdhsa_accum_offset 4
		.amdhsa_reserve_vcc 0
		.amdhsa_reserve_flat_scratch 0
		.amdhsa_float_round_mode_32 0
		.amdhsa_float_round_mode_16_64 0
		.amdhsa_float_denorm_mode_32 3
		.amdhsa_float_denorm_mode_16_64 3
		.amdhsa_dx10_clamp 1
		.amdhsa_ieee_mode 1
		.amdhsa_fp16_overflow 0
		.amdhsa_tg_split 0
		.amdhsa_exception_fp_ieee_invalid_op 0
		.amdhsa_exception_fp_denorm_src 0
		.amdhsa_exception_fp_ieee_div_zero 0
		.amdhsa_exception_fp_ieee_overflow 0
		.amdhsa_exception_fp_ieee_underflow 0
		.amdhsa_exception_fp_ieee_inexact 0
		.amdhsa_exception_int_div_zero 0
	.end_amdhsa_kernel
	.section	.text._ZN7rocprim17ROCPRIM_400000_NS6detail17trampoline_kernelINS0_14default_configENS1_20scan_config_selectorIfEEZZNS1_9scan_implILNS1_25lookback_scan_determinismE0ELb0ELb0ES3_N6thrust23THRUST_200600_302600_NS6detail15normal_iteratorINS9_10device_ptrIfEEEESE_fNS9_4plusIvEEfEEDaPvRmT3_T4_T5_mT6_P12ihipStream_tbENKUlT_T0_E_clISt17integral_constantIbLb0EEST_IbLb1EEEEDaSP_SQ_EUlSP_E_NS1_11comp_targetILNS1_3genE8ELNS1_11target_archE1030ELNS1_3gpuE2ELNS1_3repE0EEENS1_30default_config_static_selectorELNS0_4arch9wavefront6targetE1EEEvT1_,"axG",@progbits,_ZN7rocprim17ROCPRIM_400000_NS6detail17trampoline_kernelINS0_14default_configENS1_20scan_config_selectorIfEEZZNS1_9scan_implILNS1_25lookback_scan_determinismE0ELb0ELb0ES3_N6thrust23THRUST_200600_302600_NS6detail15normal_iteratorINS9_10device_ptrIfEEEESE_fNS9_4plusIvEEfEEDaPvRmT3_T4_T5_mT6_P12ihipStream_tbENKUlT_T0_E_clISt17integral_constantIbLb0EEST_IbLb1EEEEDaSP_SQ_EUlSP_E_NS1_11comp_targetILNS1_3genE8ELNS1_11target_archE1030ELNS1_3gpuE2ELNS1_3repE0EEENS1_30default_config_static_selectorELNS0_4arch9wavefront6targetE1EEEvT1_,comdat
.Lfunc_end4348:
	.size	_ZN7rocprim17ROCPRIM_400000_NS6detail17trampoline_kernelINS0_14default_configENS1_20scan_config_selectorIfEEZZNS1_9scan_implILNS1_25lookback_scan_determinismE0ELb0ELb0ES3_N6thrust23THRUST_200600_302600_NS6detail15normal_iteratorINS9_10device_ptrIfEEEESE_fNS9_4plusIvEEfEEDaPvRmT3_T4_T5_mT6_P12ihipStream_tbENKUlT_T0_E_clISt17integral_constantIbLb0EEST_IbLb1EEEEDaSP_SQ_EUlSP_E_NS1_11comp_targetILNS1_3genE8ELNS1_11target_archE1030ELNS1_3gpuE2ELNS1_3repE0EEENS1_30default_config_static_selectorELNS0_4arch9wavefront6targetE1EEEvT1_, .Lfunc_end4348-_ZN7rocprim17ROCPRIM_400000_NS6detail17trampoline_kernelINS0_14default_configENS1_20scan_config_selectorIfEEZZNS1_9scan_implILNS1_25lookback_scan_determinismE0ELb0ELb0ES3_N6thrust23THRUST_200600_302600_NS6detail15normal_iteratorINS9_10device_ptrIfEEEESE_fNS9_4plusIvEEfEEDaPvRmT3_T4_T5_mT6_P12ihipStream_tbENKUlT_T0_E_clISt17integral_constantIbLb0EEST_IbLb1EEEEDaSP_SQ_EUlSP_E_NS1_11comp_targetILNS1_3genE8ELNS1_11target_archE1030ELNS1_3gpuE2ELNS1_3repE0EEENS1_30default_config_static_selectorELNS0_4arch9wavefront6targetE1EEEvT1_
                                        ; -- End function
	.section	.AMDGPU.csdata,"",@progbits
; Kernel info:
; codeLenInByte = 0
; NumSgprs: 4
; NumVgprs: 0
; NumAgprs: 0
; TotalNumVgprs: 0
; ScratchSize: 0
; MemoryBound: 0
; FloatMode: 240
; IeeeMode: 1
; LDSByteSize: 0 bytes/workgroup (compile time only)
; SGPRBlocks: 0
; VGPRBlocks: 0
; NumSGPRsForWavesPerEU: 4
; NumVGPRsForWavesPerEU: 1
; AccumOffset: 4
; Occupancy: 8
; WaveLimiterHint : 0
; COMPUTE_PGM_RSRC2:SCRATCH_EN: 0
; COMPUTE_PGM_RSRC2:USER_SGPR: 6
; COMPUTE_PGM_RSRC2:TRAP_HANDLER: 0
; COMPUTE_PGM_RSRC2:TGID_X_EN: 1
; COMPUTE_PGM_RSRC2:TGID_Y_EN: 0
; COMPUTE_PGM_RSRC2:TGID_Z_EN: 0
; COMPUTE_PGM_RSRC2:TIDIG_COMP_CNT: 0
; COMPUTE_PGM_RSRC3_GFX90A:ACCUM_OFFSET: 0
; COMPUTE_PGM_RSRC3_GFX90A:TG_SPLIT: 0
	.section	.text._ZN7rocprim17ROCPRIM_400000_NS6detail17trampoline_kernelINS0_14default_configENS1_20scan_config_selectorIfEEZZNS1_9scan_implILNS1_25lookback_scan_determinismE0ELb0ELb0ES3_N6thrust23THRUST_200600_302600_NS6detail15normal_iteratorINS9_10device_ptrIfEEEESE_fNS9_4plusIvEEfEEDaPvRmT3_T4_T5_mT6_P12ihipStream_tbENKUlT_T0_E_clISt17integral_constantIbLb0EEST_IbLb1EEEEDaSP_SQ_EUlSP_E0_NS1_11comp_targetILNS1_3genE0ELNS1_11target_archE4294967295ELNS1_3gpuE0ELNS1_3repE0EEENS1_30default_config_static_selectorELNS0_4arch9wavefront6targetE1EEEvT1_,"axG",@progbits,_ZN7rocprim17ROCPRIM_400000_NS6detail17trampoline_kernelINS0_14default_configENS1_20scan_config_selectorIfEEZZNS1_9scan_implILNS1_25lookback_scan_determinismE0ELb0ELb0ES3_N6thrust23THRUST_200600_302600_NS6detail15normal_iteratorINS9_10device_ptrIfEEEESE_fNS9_4plusIvEEfEEDaPvRmT3_T4_T5_mT6_P12ihipStream_tbENKUlT_T0_E_clISt17integral_constantIbLb0EEST_IbLb1EEEEDaSP_SQ_EUlSP_E0_NS1_11comp_targetILNS1_3genE0ELNS1_11target_archE4294967295ELNS1_3gpuE0ELNS1_3repE0EEENS1_30default_config_static_selectorELNS0_4arch9wavefront6targetE1EEEvT1_,comdat
	.protected	_ZN7rocprim17ROCPRIM_400000_NS6detail17trampoline_kernelINS0_14default_configENS1_20scan_config_selectorIfEEZZNS1_9scan_implILNS1_25lookback_scan_determinismE0ELb0ELb0ES3_N6thrust23THRUST_200600_302600_NS6detail15normal_iteratorINS9_10device_ptrIfEEEESE_fNS9_4plusIvEEfEEDaPvRmT3_T4_T5_mT6_P12ihipStream_tbENKUlT_T0_E_clISt17integral_constantIbLb0EEST_IbLb1EEEEDaSP_SQ_EUlSP_E0_NS1_11comp_targetILNS1_3genE0ELNS1_11target_archE4294967295ELNS1_3gpuE0ELNS1_3repE0EEENS1_30default_config_static_selectorELNS0_4arch9wavefront6targetE1EEEvT1_ ; -- Begin function _ZN7rocprim17ROCPRIM_400000_NS6detail17trampoline_kernelINS0_14default_configENS1_20scan_config_selectorIfEEZZNS1_9scan_implILNS1_25lookback_scan_determinismE0ELb0ELb0ES3_N6thrust23THRUST_200600_302600_NS6detail15normal_iteratorINS9_10device_ptrIfEEEESE_fNS9_4plusIvEEfEEDaPvRmT3_T4_T5_mT6_P12ihipStream_tbENKUlT_T0_E_clISt17integral_constantIbLb0EEST_IbLb1EEEEDaSP_SQ_EUlSP_E0_NS1_11comp_targetILNS1_3genE0ELNS1_11target_archE4294967295ELNS1_3gpuE0ELNS1_3repE0EEENS1_30default_config_static_selectorELNS0_4arch9wavefront6targetE1EEEvT1_
	.globl	_ZN7rocprim17ROCPRIM_400000_NS6detail17trampoline_kernelINS0_14default_configENS1_20scan_config_selectorIfEEZZNS1_9scan_implILNS1_25lookback_scan_determinismE0ELb0ELb0ES3_N6thrust23THRUST_200600_302600_NS6detail15normal_iteratorINS9_10device_ptrIfEEEESE_fNS9_4plusIvEEfEEDaPvRmT3_T4_T5_mT6_P12ihipStream_tbENKUlT_T0_E_clISt17integral_constantIbLb0EEST_IbLb1EEEEDaSP_SQ_EUlSP_E0_NS1_11comp_targetILNS1_3genE0ELNS1_11target_archE4294967295ELNS1_3gpuE0ELNS1_3repE0EEENS1_30default_config_static_selectorELNS0_4arch9wavefront6targetE1EEEvT1_
	.p2align	8
	.type	_ZN7rocprim17ROCPRIM_400000_NS6detail17trampoline_kernelINS0_14default_configENS1_20scan_config_selectorIfEEZZNS1_9scan_implILNS1_25lookback_scan_determinismE0ELb0ELb0ES3_N6thrust23THRUST_200600_302600_NS6detail15normal_iteratorINS9_10device_ptrIfEEEESE_fNS9_4plusIvEEfEEDaPvRmT3_T4_T5_mT6_P12ihipStream_tbENKUlT_T0_E_clISt17integral_constantIbLb0EEST_IbLb1EEEEDaSP_SQ_EUlSP_E0_NS1_11comp_targetILNS1_3genE0ELNS1_11target_archE4294967295ELNS1_3gpuE0ELNS1_3repE0EEENS1_30default_config_static_selectorELNS0_4arch9wavefront6targetE1EEEvT1_,@function
_ZN7rocprim17ROCPRIM_400000_NS6detail17trampoline_kernelINS0_14default_configENS1_20scan_config_selectorIfEEZZNS1_9scan_implILNS1_25lookback_scan_determinismE0ELb0ELb0ES3_N6thrust23THRUST_200600_302600_NS6detail15normal_iteratorINS9_10device_ptrIfEEEESE_fNS9_4plusIvEEfEEDaPvRmT3_T4_T5_mT6_P12ihipStream_tbENKUlT_T0_E_clISt17integral_constantIbLb0EEST_IbLb1EEEEDaSP_SQ_EUlSP_E0_NS1_11comp_targetILNS1_3genE0ELNS1_11target_archE4294967295ELNS1_3gpuE0ELNS1_3repE0EEENS1_30default_config_static_selectorELNS0_4arch9wavefront6targetE1EEEvT1_: ; @_ZN7rocprim17ROCPRIM_400000_NS6detail17trampoline_kernelINS0_14default_configENS1_20scan_config_selectorIfEEZZNS1_9scan_implILNS1_25lookback_scan_determinismE0ELb0ELb0ES3_N6thrust23THRUST_200600_302600_NS6detail15normal_iteratorINS9_10device_ptrIfEEEESE_fNS9_4plusIvEEfEEDaPvRmT3_T4_T5_mT6_P12ihipStream_tbENKUlT_T0_E_clISt17integral_constantIbLb0EEST_IbLb1EEEEDaSP_SQ_EUlSP_E0_NS1_11comp_targetILNS1_3genE0ELNS1_11target_archE4294967295ELNS1_3gpuE0ELNS1_3repE0EEENS1_30default_config_static_selectorELNS0_4arch9wavefront6targetE1EEEvT1_
; %bb.0:
	.section	.rodata,"a",@progbits
	.p2align	6, 0x0
	.amdhsa_kernel _ZN7rocprim17ROCPRIM_400000_NS6detail17trampoline_kernelINS0_14default_configENS1_20scan_config_selectorIfEEZZNS1_9scan_implILNS1_25lookback_scan_determinismE0ELb0ELb0ES3_N6thrust23THRUST_200600_302600_NS6detail15normal_iteratorINS9_10device_ptrIfEEEESE_fNS9_4plusIvEEfEEDaPvRmT3_T4_T5_mT6_P12ihipStream_tbENKUlT_T0_E_clISt17integral_constantIbLb0EEST_IbLb1EEEEDaSP_SQ_EUlSP_E0_NS1_11comp_targetILNS1_3genE0ELNS1_11target_archE4294967295ELNS1_3gpuE0ELNS1_3repE0EEENS1_30default_config_static_selectorELNS0_4arch9wavefront6targetE1EEEvT1_
		.amdhsa_group_segment_fixed_size 0
		.amdhsa_private_segment_fixed_size 0
		.amdhsa_kernarg_size 32
		.amdhsa_user_sgpr_count 6
		.amdhsa_user_sgpr_private_segment_buffer 1
		.amdhsa_user_sgpr_dispatch_ptr 0
		.amdhsa_user_sgpr_queue_ptr 0
		.amdhsa_user_sgpr_kernarg_segment_ptr 1
		.amdhsa_user_sgpr_dispatch_id 0
		.amdhsa_user_sgpr_flat_scratch_init 0
		.amdhsa_user_sgpr_kernarg_preload_length 0
		.amdhsa_user_sgpr_kernarg_preload_offset 0
		.amdhsa_user_sgpr_private_segment_size 0
		.amdhsa_uses_dynamic_stack 0
		.amdhsa_system_sgpr_private_segment_wavefront_offset 0
		.amdhsa_system_sgpr_workgroup_id_x 1
		.amdhsa_system_sgpr_workgroup_id_y 0
		.amdhsa_system_sgpr_workgroup_id_z 0
		.amdhsa_system_sgpr_workgroup_info 0
		.amdhsa_system_vgpr_workitem_id 0
		.amdhsa_next_free_vgpr 1
		.amdhsa_next_free_sgpr 0
		.amdhsa_accum_offset 4
		.amdhsa_reserve_vcc 0
		.amdhsa_reserve_flat_scratch 0
		.amdhsa_float_round_mode_32 0
		.amdhsa_float_round_mode_16_64 0
		.amdhsa_float_denorm_mode_32 3
		.amdhsa_float_denorm_mode_16_64 3
		.amdhsa_dx10_clamp 1
		.amdhsa_ieee_mode 1
		.amdhsa_fp16_overflow 0
		.amdhsa_tg_split 0
		.amdhsa_exception_fp_ieee_invalid_op 0
		.amdhsa_exception_fp_denorm_src 0
		.amdhsa_exception_fp_ieee_div_zero 0
		.amdhsa_exception_fp_ieee_overflow 0
		.amdhsa_exception_fp_ieee_underflow 0
		.amdhsa_exception_fp_ieee_inexact 0
		.amdhsa_exception_int_div_zero 0
	.end_amdhsa_kernel
	.section	.text._ZN7rocprim17ROCPRIM_400000_NS6detail17trampoline_kernelINS0_14default_configENS1_20scan_config_selectorIfEEZZNS1_9scan_implILNS1_25lookback_scan_determinismE0ELb0ELb0ES3_N6thrust23THRUST_200600_302600_NS6detail15normal_iteratorINS9_10device_ptrIfEEEESE_fNS9_4plusIvEEfEEDaPvRmT3_T4_T5_mT6_P12ihipStream_tbENKUlT_T0_E_clISt17integral_constantIbLb0EEST_IbLb1EEEEDaSP_SQ_EUlSP_E0_NS1_11comp_targetILNS1_3genE0ELNS1_11target_archE4294967295ELNS1_3gpuE0ELNS1_3repE0EEENS1_30default_config_static_selectorELNS0_4arch9wavefront6targetE1EEEvT1_,"axG",@progbits,_ZN7rocprim17ROCPRIM_400000_NS6detail17trampoline_kernelINS0_14default_configENS1_20scan_config_selectorIfEEZZNS1_9scan_implILNS1_25lookback_scan_determinismE0ELb0ELb0ES3_N6thrust23THRUST_200600_302600_NS6detail15normal_iteratorINS9_10device_ptrIfEEEESE_fNS9_4plusIvEEfEEDaPvRmT3_T4_T5_mT6_P12ihipStream_tbENKUlT_T0_E_clISt17integral_constantIbLb0EEST_IbLb1EEEEDaSP_SQ_EUlSP_E0_NS1_11comp_targetILNS1_3genE0ELNS1_11target_archE4294967295ELNS1_3gpuE0ELNS1_3repE0EEENS1_30default_config_static_selectorELNS0_4arch9wavefront6targetE1EEEvT1_,comdat
.Lfunc_end4349:
	.size	_ZN7rocprim17ROCPRIM_400000_NS6detail17trampoline_kernelINS0_14default_configENS1_20scan_config_selectorIfEEZZNS1_9scan_implILNS1_25lookback_scan_determinismE0ELb0ELb0ES3_N6thrust23THRUST_200600_302600_NS6detail15normal_iteratorINS9_10device_ptrIfEEEESE_fNS9_4plusIvEEfEEDaPvRmT3_T4_T5_mT6_P12ihipStream_tbENKUlT_T0_E_clISt17integral_constantIbLb0EEST_IbLb1EEEEDaSP_SQ_EUlSP_E0_NS1_11comp_targetILNS1_3genE0ELNS1_11target_archE4294967295ELNS1_3gpuE0ELNS1_3repE0EEENS1_30default_config_static_selectorELNS0_4arch9wavefront6targetE1EEEvT1_, .Lfunc_end4349-_ZN7rocprim17ROCPRIM_400000_NS6detail17trampoline_kernelINS0_14default_configENS1_20scan_config_selectorIfEEZZNS1_9scan_implILNS1_25lookback_scan_determinismE0ELb0ELb0ES3_N6thrust23THRUST_200600_302600_NS6detail15normal_iteratorINS9_10device_ptrIfEEEESE_fNS9_4plusIvEEfEEDaPvRmT3_T4_T5_mT6_P12ihipStream_tbENKUlT_T0_E_clISt17integral_constantIbLb0EEST_IbLb1EEEEDaSP_SQ_EUlSP_E0_NS1_11comp_targetILNS1_3genE0ELNS1_11target_archE4294967295ELNS1_3gpuE0ELNS1_3repE0EEENS1_30default_config_static_selectorELNS0_4arch9wavefront6targetE1EEEvT1_
                                        ; -- End function
	.section	.AMDGPU.csdata,"",@progbits
; Kernel info:
; codeLenInByte = 0
; NumSgprs: 4
; NumVgprs: 0
; NumAgprs: 0
; TotalNumVgprs: 0
; ScratchSize: 0
; MemoryBound: 0
; FloatMode: 240
; IeeeMode: 1
; LDSByteSize: 0 bytes/workgroup (compile time only)
; SGPRBlocks: 0
; VGPRBlocks: 0
; NumSGPRsForWavesPerEU: 4
; NumVGPRsForWavesPerEU: 1
; AccumOffset: 4
; Occupancy: 8
; WaveLimiterHint : 0
; COMPUTE_PGM_RSRC2:SCRATCH_EN: 0
; COMPUTE_PGM_RSRC2:USER_SGPR: 6
; COMPUTE_PGM_RSRC2:TRAP_HANDLER: 0
; COMPUTE_PGM_RSRC2:TGID_X_EN: 1
; COMPUTE_PGM_RSRC2:TGID_Y_EN: 0
; COMPUTE_PGM_RSRC2:TGID_Z_EN: 0
; COMPUTE_PGM_RSRC2:TIDIG_COMP_CNT: 0
; COMPUTE_PGM_RSRC3_GFX90A:ACCUM_OFFSET: 0
; COMPUTE_PGM_RSRC3_GFX90A:TG_SPLIT: 0
	.section	.text._ZN7rocprim17ROCPRIM_400000_NS6detail17trampoline_kernelINS0_14default_configENS1_20scan_config_selectorIfEEZZNS1_9scan_implILNS1_25lookback_scan_determinismE0ELb0ELb0ES3_N6thrust23THRUST_200600_302600_NS6detail15normal_iteratorINS9_10device_ptrIfEEEESE_fNS9_4plusIvEEfEEDaPvRmT3_T4_T5_mT6_P12ihipStream_tbENKUlT_T0_E_clISt17integral_constantIbLb0EEST_IbLb1EEEEDaSP_SQ_EUlSP_E0_NS1_11comp_targetILNS1_3genE5ELNS1_11target_archE942ELNS1_3gpuE9ELNS1_3repE0EEENS1_30default_config_static_selectorELNS0_4arch9wavefront6targetE1EEEvT1_,"axG",@progbits,_ZN7rocprim17ROCPRIM_400000_NS6detail17trampoline_kernelINS0_14default_configENS1_20scan_config_selectorIfEEZZNS1_9scan_implILNS1_25lookback_scan_determinismE0ELb0ELb0ES3_N6thrust23THRUST_200600_302600_NS6detail15normal_iteratorINS9_10device_ptrIfEEEESE_fNS9_4plusIvEEfEEDaPvRmT3_T4_T5_mT6_P12ihipStream_tbENKUlT_T0_E_clISt17integral_constantIbLb0EEST_IbLb1EEEEDaSP_SQ_EUlSP_E0_NS1_11comp_targetILNS1_3genE5ELNS1_11target_archE942ELNS1_3gpuE9ELNS1_3repE0EEENS1_30default_config_static_selectorELNS0_4arch9wavefront6targetE1EEEvT1_,comdat
	.protected	_ZN7rocprim17ROCPRIM_400000_NS6detail17trampoline_kernelINS0_14default_configENS1_20scan_config_selectorIfEEZZNS1_9scan_implILNS1_25lookback_scan_determinismE0ELb0ELb0ES3_N6thrust23THRUST_200600_302600_NS6detail15normal_iteratorINS9_10device_ptrIfEEEESE_fNS9_4plusIvEEfEEDaPvRmT3_T4_T5_mT6_P12ihipStream_tbENKUlT_T0_E_clISt17integral_constantIbLb0EEST_IbLb1EEEEDaSP_SQ_EUlSP_E0_NS1_11comp_targetILNS1_3genE5ELNS1_11target_archE942ELNS1_3gpuE9ELNS1_3repE0EEENS1_30default_config_static_selectorELNS0_4arch9wavefront6targetE1EEEvT1_ ; -- Begin function _ZN7rocprim17ROCPRIM_400000_NS6detail17trampoline_kernelINS0_14default_configENS1_20scan_config_selectorIfEEZZNS1_9scan_implILNS1_25lookback_scan_determinismE0ELb0ELb0ES3_N6thrust23THRUST_200600_302600_NS6detail15normal_iteratorINS9_10device_ptrIfEEEESE_fNS9_4plusIvEEfEEDaPvRmT3_T4_T5_mT6_P12ihipStream_tbENKUlT_T0_E_clISt17integral_constantIbLb0EEST_IbLb1EEEEDaSP_SQ_EUlSP_E0_NS1_11comp_targetILNS1_3genE5ELNS1_11target_archE942ELNS1_3gpuE9ELNS1_3repE0EEENS1_30default_config_static_selectorELNS0_4arch9wavefront6targetE1EEEvT1_
	.globl	_ZN7rocprim17ROCPRIM_400000_NS6detail17trampoline_kernelINS0_14default_configENS1_20scan_config_selectorIfEEZZNS1_9scan_implILNS1_25lookback_scan_determinismE0ELb0ELb0ES3_N6thrust23THRUST_200600_302600_NS6detail15normal_iteratorINS9_10device_ptrIfEEEESE_fNS9_4plusIvEEfEEDaPvRmT3_T4_T5_mT6_P12ihipStream_tbENKUlT_T0_E_clISt17integral_constantIbLb0EEST_IbLb1EEEEDaSP_SQ_EUlSP_E0_NS1_11comp_targetILNS1_3genE5ELNS1_11target_archE942ELNS1_3gpuE9ELNS1_3repE0EEENS1_30default_config_static_selectorELNS0_4arch9wavefront6targetE1EEEvT1_
	.p2align	8
	.type	_ZN7rocprim17ROCPRIM_400000_NS6detail17trampoline_kernelINS0_14default_configENS1_20scan_config_selectorIfEEZZNS1_9scan_implILNS1_25lookback_scan_determinismE0ELb0ELb0ES3_N6thrust23THRUST_200600_302600_NS6detail15normal_iteratorINS9_10device_ptrIfEEEESE_fNS9_4plusIvEEfEEDaPvRmT3_T4_T5_mT6_P12ihipStream_tbENKUlT_T0_E_clISt17integral_constantIbLb0EEST_IbLb1EEEEDaSP_SQ_EUlSP_E0_NS1_11comp_targetILNS1_3genE5ELNS1_11target_archE942ELNS1_3gpuE9ELNS1_3repE0EEENS1_30default_config_static_selectorELNS0_4arch9wavefront6targetE1EEEvT1_,@function
_ZN7rocprim17ROCPRIM_400000_NS6detail17trampoline_kernelINS0_14default_configENS1_20scan_config_selectorIfEEZZNS1_9scan_implILNS1_25lookback_scan_determinismE0ELb0ELb0ES3_N6thrust23THRUST_200600_302600_NS6detail15normal_iteratorINS9_10device_ptrIfEEEESE_fNS9_4plusIvEEfEEDaPvRmT3_T4_T5_mT6_P12ihipStream_tbENKUlT_T0_E_clISt17integral_constantIbLb0EEST_IbLb1EEEEDaSP_SQ_EUlSP_E0_NS1_11comp_targetILNS1_3genE5ELNS1_11target_archE942ELNS1_3gpuE9ELNS1_3repE0EEENS1_30default_config_static_selectorELNS0_4arch9wavefront6targetE1EEEvT1_: ; @_ZN7rocprim17ROCPRIM_400000_NS6detail17trampoline_kernelINS0_14default_configENS1_20scan_config_selectorIfEEZZNS1_9scan_implILNS1_25lookback_scan_determinismE0ELb0ELb0ES3_N6thrust23THRUST_200600_302600_NS6detail15normal_iteratorINS9_10device_ptrIfEEEESE_fNS9_4plusIvEEfEEDaPvRmT3_T4_T5_mT6_P12ihipStream_tbENKUlT_T0_E_clISt17integral_constantIbLb0EEST_IbLb1EEEEDaSP_SQ_EUlSP_E0_NS1_11comp_targetILNS1_3genE5ELNS1_11target_archE942ELNS1_3gpuE9ELNS1_3repE0EEENS1_30default_config_static_selectorELNS0_4arch9wavefront6targetE1EEEvT1_
; %bb.0:
	.section	.rodata,"a",@progbits
	.p2align	6, 0x0
	.amdhsa_kernel _ZN7rocprim17ROCPRIM_400000_NS6detail17trampoline_kernelINS0_14default_configENS1_20scan_config_selectorIfEEZZNS1_9scan_implILNS1_25lookback_scan_determinismE0ELb0ELb0ES3_N6thrust23THRUST_200600_302600_NS6detail15normal_iteratorINS9_10device_ptrIfEEEESE_fNS9_4plusIvEEfEEDaPvRmT3_T4_T5_mT6_P12ihipStream_tbENKUlT_T0_E_clISt17integral_constantIbLb0EEST_IbLb1EEEEDaSP_SQ_EUlSP_E0_NS1_11comp_targetILNS1_3genE5ELNS1_11target_archE942ELNS1_3gpuE9ELNS1_3repE0EEENS1_30default_config_static_selectorELNS0_4arch9wavefront6targetE1EEEvT1_
		.amdhsa_group_segment_fixed_size 0
		.amdhsa_private_segment_fixed_size 0
		.amdhsa_kernarg_size 32
		.amdhsa_user_sgpr_count 6
		.amdhsa_user_sgpr_private_segment_buffer 1
		.amdhsa_user_sgpr_dispatch_ptr 0
		.amdhsa_user_sgpr_queue_ptr 0
		.amdhsa_user_sgpr_kernarg_segment_ptr 1
		.amdhsa_user_sgpr_dispatch_id 0
		.amdhsa_user_sgpr_flat_scratch_init 0
		.amdhsa_user_sgpr_kernarg_preload_length 0
		.amdhsa_user_sgpr_kernarg_preload_offset 0
		.amdhsa_user_sgpr_private_segment_size 0
		.amdhsa_uses_dynamic_stack 0
		.amdhsa_system_sgpr_private_segment_wavefront_offset 0
		.amdhsa_system_sgpr_workgroup_id_x 1
		.amdhsa_system_sgpr_workgroup_id_y 0
		.amdhsa_system_sgpr_workgroup_id_z 0
		.amdhsa_system_sgpr_workgroup_info 0
		.amdhsa_system_vgpr_workitem_id 0
		.amdhsa_next_free_vgpr 1
		.amdhsa_next_free_sgpr 0
		.amdhsa_accum_offset 4
		.amdhsa_reserve_vcc 0
		.amdhsa_reserve_flat_scratch 0
		.amdhsa_float_round_mode_32 0
		.amdhsa_float_round_mode_16_64 0
		.amdhsa_float_denorm_mode_32 3
		.amdhsa_float_denorm_mode_16_64 3
		.amdhsa_dx10_clamp 1
		.amdhsa_ieee_mode 1
		.amdhsa_fp16_overflow 0
		.amdhsa_tg_split 0
		.amdhsa_exception_fp_ieee_invalid_op 0
		.amdhsa_exception_fp_denorm_src 0
		.amdhsa_exception_fp_ieee_div_zero 0
		.amdhsa_exception_fp_ieee_overflow 0
		.amdhsa_exception_fp_ieee_underflow 0
		.amdhsa_exception_fp_ieee_inexact 0
		.amdhsa_exception_int_div_zero 0
	.end_amdhsa_kernel
	.section	.text._ZN7rocprim17ROCPRIM_400000_NS6detail17trampoline_kernelINS0_14default_configENS1_20scan_config_selectorIfEEZZNS1_9scan_implILNS1_25lookback_scan_determinismE0ELb0ELb0ES3_N6thrust23THRUST_200600_302600_NS6detail15normal_iteratorINS9_10device_ptrIfEEEESE_fNS9_4plusIvEEfEEDaPvRmT3_T4_T5_mT6_P12ihipStream_tbENKUlT_T0_E_clISt17integral_constantIbLb0EEST_IbLb1EEEEDaSP_SQ_EUlSP_E0_NS1_11comp_targetILNS1_3genE5ELNS1_11target_archE942ELNS1_3gpuE9ELNS1_3repE0EEENS1_30default_config_static_selectorELNS0_4arch9wavefront6targetE1EEEvT1_,"axG",@progbits,_ZN7rocprim17ROCPRIM_400000_NS6detail17trampoline_kernelINS0_14default_configENS1_20scan_config_selectorIfEEZZNS1_9scan_implILNS1_25lookback_scan_determinismE0ELb0ELb0ES3_N6thrust23THRUST_200600_302600_NS6detail15normal_iteratorINS9_10device_ptrIfEEEESE_fNS9_4plusIvEEfEEDaPvRmT3_T4_T5_mT6_P12ihipStream_tbENKUlT_T0_E_clISt17integral_constantIbLb0EEST_IbLb1EEEEDaSP_SQ_EUlSP_E0_NS1_11comp_targetILNS1_3genE5ELNS1_11target_archE942ELNS1_3gpuE9ELNS1_3repE0EEENS1_30default_config_static_selectorELNS0_4arch9wavefront6targetE1EEEvT1_,comdat
.Lfunc_end4350:
	.size	_ZN7rocprim17ROCPRIM_400000_NS6detail17trampoline_kernelINS0_14default_configENS1_20scan_config_selectorIfEEZZNS1_9scan_implILNS1_25lookback_scan_determinismE0ELb0ELb0ES3_N6thrust23THRUST_200600_302600_NS6detail15normal_iteratorINS9_10device_ptrIfEEEESE_fNS9_4plusIvEEfEEDaPvRmT3_T4_T5_mT6_P12ihipStream_tbENKUlT_T0_E_clISt17integral_constantIbLb0EEST_IbLb1EEEEDaSP_SQ_EUlSP_E0_NS1_11comp_targetILNS1_3genE5ELNS1_11target_archE942ELNS1_3gpuE9ELNS1_3repE0EEENS1_30default_config_static_selectorELNS0_4arch9wavefront6targetE1EEEvT1_, .Lfunc_end4350-_ZN7rocprim17ROCPRIM_400000_NS6detail17trampoline_kernelINS0_14default_configENS1_20scan_config_selectorIfEEZZNS1_9scan_implILNS1_25lookback_scan_determinismE0ELb0ELb0ES3_N6thrust23THRUST_200600_302600_NS6detail15normal_iteratorINS9_10device_ptrIfEEEESE_fNS9_4plusIvEEfEEDaPvRmT3_T4_T5_mT6_P12ihipStream_tbENKUlT_T0_E_clISt17integral_constantIbLb0EEST_IbLb1EEEEDaSP_SQ_EUlSP_E0_NS1_11comp_targetILNS1_3genE5ELNS1_11target_archE942ELNS1_3gpuE9ELNS1_3repE0EEENS1_30default_config_static_selectorELNS0_4arch9wavefront6targetE1EEEvT1_
                                        ; -- End function
	.section	.AMDGPU.csdata,"",@progbits
; Kernel info:
; codeLenInByte = 0
; NumSgprs: 4
; NumVgprs: 0
; NumAgprs: 0
; TotalNumVgprs: 0
; ScratchSize: 0
; MemoryBound: 0
; FloatMode: 240
; IeeeMode: 1
; LDSByteSize: 0 bytes/workgroup (compile time only)
; SGPRBlocks: 0
; VGPRBlocks: 0
; NumSGPRsForWavesPerEU: 4
; NumVGPRsForWavesPerEU: 1
; AccumOffset: 4
; Occupancy: 8
; WaveLimiterHint : 0
; COMPUTE_PGM_RSRC2:SCRATCH_EN: 0
; COMPUTE_PGM_RSRC2:USER_SGPR: 6
; COMPUTE_PGM_RSRC2:TRAP_HANDLER: 0
; COMPUTE_PGM_RSRC2:TGID_X_EN: 1
; COMPUTE_PGM_RSRC2:TGID_Y_EN: 0
; COMPUTE_PGM_RSRC2:TGID_Z_EN: 0
; COMPUTE_PGM_RSRC2:TIDIG_COMP_CNT: 0
; COMPUTE_PGM_RSRC3_GFX90A:ACCUM_OFFSET: 0
; COMPUTE_PGM_RSRC3_GFX90A:TG_SPLIT: 0
	.section	.text._ZN7rocprim17ROCPRIM_400000_NS6detail17trampoline_kernelINS0_14default_configENS1_20scan_config_selectorIfEEZZNS1_9scan_implILNS1_25lookback_scan_determinismE0ELb0ELb0ES3_N6thrust23THRUST_200600_302600_NS6detail15normal_iteratorINS9_10device_ptrIfEEEESE_fNS9_4plusIvEEfEEDaPvRmT3_T4_T5_mT6_P12ihipStream_tbENKUlT_T0_E_clISt17integral_constantIbLb0EEST_IbLb1EEEEDaSP_SQ_EUlSP_E0_NS1_11comp_targetILNS1_3genE4ELNS1_11target_archE910ELNS1_3gpuE8ELNS1_3repE0EEENS1_30default_config_static_selectorELNS0_4arch9wavefront6targetE1EEEvT1_,"axG",@progbits,_ZN7rocprim17ROCPRIM_400000_NS6detail17trampoline_kernelINS0_14default_configENS1_20scan_config_selectorIfEEZZNS1_9scan_implILNS1_25lookback_scan_determinismE0ELb0ELb0ES3_N6thrust23THRUST_200600_302600_NS6detail15normal_iteratorINS9_10device_ptrIfEEEESE_fNS9_4plusIvEEfEEDaPvRmT3_T4_T5_mT6_P12ihipStream_tbENKUlT_T0_E_clISt17integral_constantIbLb0EEST_IbLb1EEEEDaSP_SQ_EUlSP_E0_NS1_11comp_targetILNS1_3genE4ELNS1_11target_archE910ELNS1_3gpuE8ELNS1_3repE0EEENS1_30default_config_static_selectorELNS0_4arch9wavefront6targetE1EEEvT1_,comdat
	.protected	_ZN7rocprim17ROCPRIM_400000_NS6detail17trampoline_kernelINS0_14default_configENS1_20scan_config_selectorIfEEZZNS1_9scan_implILNS1_25lookback_scan_determinismE0ELb0ELb0ES3_N6thrust23THRUST_200600_302600_NS6detail15normal_iteratorINS9_10device_ptrIfEEEESE_fNS9_4plusIvEEfEEDaPvRmT3_T4_T5_mT6_P12ihipStream_tbENKUlT_T0_E_clISt17integral_constantIbLb0EEST_IbLb1EEEEDaSP_SQ_EUlSP_E0_NS1_11comp_targetILNS1_3genE4ELNS1_11target_archE910ELNS1_3gpuE8ELNS1_3repE0EEENS1_30default_config_static_selectorELNS0_4arch9wavefront6targetE1EEEvT1_ ; -- Begin function _ZN7rocprim17ROCPRIM_400000_NS6detail17trampoline_kernelINS0_14default_configENS1_20scan_config_selectorIfEEZZNS1_9scan_implILNS1_25lookback_scan_determinismE0ELb0ELb0ES3_N6thrust23THRUST_200600_302600_NS6detail15normal_iteratorINS9_10device_ptrIfEEEESE_fNS9_4plusIvEEfEEDaPvRmT3_T4_T5_mT6_P12ihipStream_tbENKUlT_T0_E_clISt17integral_constantIbLb0EEST_IbLb1EEEEDaSP_SQ_EUlSP_E0_NS1_11comp_targetILNS1_3genE4ELNS1_11target_archE910ELNS1_3gpuE8ELNS1_3repE0EEENS1_30default_config_static_selectorELNS0_4arch9wavefront6targetE1EEEvT1_
	.globl	_ZN7rocprim17ROCPRIM_400000_NS6detail17trampoline_kernelINS0_14default_configENS1_20scan_config_selectorIfEEZZNS1_9scan_implILNS1_25lookback_scan_determinismE0ELb0ELb0ES3_N6thrust23THRUST_200600_302600_NS6detail15normal_iteratorINS9_10device_ptrIfEEEESE_fNS9_4plusIvEEfEEDaPvRmT3_T4_T5_mT6_P12ihipStream_tbENKUlT_T0_E_clISt17integral_constantIbLb0EEST_IbLb1EEEEDaSP_SQ_EUlSP_E0_NS1_11comp_targetILNS1_3genE4ELNS1_11target_archE910ELNS1_3gpuE8ELNS1_3repE0EEENS1_30default_config_static_selectorELNS0_4arch9wavefront6targetE1EEEvT1_
	.p2align	8
	.type	_ZN7rocprim17ROCPRIM_400000_NS6detail17trampoline_kernelINS0_14default_configENS1_20scan_config_selectorIfEEZZNS1_9scan_implILNS1_25lookback_scan_determinismE0ELb0ELb0ES3_N6thrust23THRUST_200600_302600_NS6detail15normal_iteratorINS9_10device_ptrIfEEEESE_fNS9_4plusIvEEfEEDaPvRmT3_T4_T5_mT6_P12ihipStream_tbENKUlT_T0_E_clISt17integral_constantIbLb0EEST_IbLb1EEEEDaSP_SQ_EUlSP_E0_NS1_11comp_targetILNS1_3genE4ELNS1_11target_archE910ELNS1_3gpuE8ELNS1_3repE0EEENS1_30default_config_static_selectorELNS0_4arch9wavefront6targetE1EEEvT1_,@function
_ZN7rocprim17ROCPRIM_400000_NS6detail17trampoline_kernelINS0_14default_configENS1_20scan_config_selectorIfEEZZNS1_9scan_implILNS1_25lookback_scan_determinismE0ELb0ELb0ES3_N6thrust23THRUST_200600_302600_NS6detail15normal_iteratorINS9_10device_ptrIfEEEESE_fNS9_4plusIvEEfEEDaPvRmT3_T4_T5_mT6_P12ihipStream_tbENKUlT_T0_E_clISt17integral_constantIbLb0EEST_IbLb1EEEEDaSP_SQ_EUlSP_E0_NS1_11comp_targetILNS1_3genE4ELNS1_11target_archE910ELNS1_3gpuE8ELNS1_3repE0EEENS1_30default_config_static_selectorELNS0_4arch9wavefront6targetE1EEEvT1_: ; @_ZN7rocprim17ROCPRIM_400000_NS6detail17trampoline_kernelINS0_14default_configENS1_20scan_config_selectorIfEEZZNS1_9scan_implILNS1_25lookback_scan_determinismE0ELb0ELb0ES3_N6thrust23THRUST_200600_302600_NS6detail15normal_iteratorINS9_10device_ptrIfEEEESE_fNS9_4plusIvEEfEEDaPvRmT3_T4_T5_mT6_P12ihipStream_tbENKUlT_T0_E_clISt17integral_constantIbLb0EEST_IbLb1EEEEDaSP_SQ_EUlSP_E0_NS1_11comp_targetILNS1_3genE4ELNS1_11target_archE910ELNS1_3gpuE8ELNS1_3repE0EEENS1_30default_config_static_selectorELNS0_4arch9wavefront6targetE1EEEvT1_
; %bb.0:
	s_load_dwordx4 s[28:31], s[4:5], 0x0
	v_lshlrev_b32_e32 v30, 2, v0
	s_waitcnt lgkmcnt(0)
	s_load_dword s31, s[28:29], 0x0
	v_cmp_gt_u32_e32 vcc, s30, v0
	s_waitcnt lgkmcnt(0)
	v_mov_b32_e32 v1, s31
	s_and_saveexec_b64 s[0:1], vcc
	s_cbranch_execz .LBB4351_2
; %bb.1:
	global_load_dword v1, v30, s[28:29]
.LBB4351_2:
	s_or_b64 exec, exec, s[0:1]
	v_or_b32_e32 v2, 0x80, v0
	v_cmp_gt_u32_e64 s[0:1], s30, v2
	v_mov_b32_e32 v2, s31
	s_and_saveexec_b64 s[2:3], s[0:1]
	s_cbranch_execz .LBB4351_4
; %bb.3:
	global_load_dword v2, v30, s[28:29] offset:512
.LBB4351_4:
	s_or_b64 exec, exec, s[2:3]
	v_or_b32_e32 v3, 0x100, v0
	v_cmp_gt_u32_e64 s[2:3], s30, v3
	v_mov_b32_e32 v3, s31
	s_and_saveexec_b64 s[6:7], s[2:3]
	s_cbranch_execz .LBB4351_6
; %bb.5:
	global_load_dword v3, v30, s[28:29] offset:1024
.LBB4351_6:
	;; [unrolled: 9-line block ×7, first 2 shown]
	s_or_b64 exec, exec, s[14:15]
	v_or_b32_e32 v10, 0x400, v0
	v_cmp_gt_u32_e64 s[14:15], s30, v10
	v_mov_b32_e32 v9, s31
	s_and_saveexec_b64 s[16:17], s[14:15]
	s_cbranch_execz .LBB4351_18
; %bb.17:
	v_lshlrev_b32_e32 v9, 2, v10
	global_load_dword v9, v9, s[28:29]
.LBB4351_18:
	s_or_b64 exec, exec, s[16:17]
	v_or_b32_e32 v11, 0x480, v0
	v_cmp_gt_u32_e64 s[16:17], s30, v11
	v_mov_b32_e32 v10, s31
	s_and_saveexec_b64 s[18:19], s[16:17]
	s_cbranch_execz .LBB4351_20
; %bb.19:
	v_lshlrev_b32_e32 v10, 2, v11
	global_load_dword v10, v10, s[28:29]
.LBB4351_20:
	;; [unrolled: 10-line block ×6, first 2 shown]
	s_or_b64 exec, exec, s[30:31]
	s_waitcnt vmcnt(0)
	ds_write2st64_b32 v30, v1, v2 offset1:2
	ds_write2st64_b32 v30, v3, v4 offset0:4 offset1:6
	ds_write2st64_b32 v30, v5, v6 offset0:8 offset1:10
	;; [unrolled: 1-line block ×6, first 2 shown]
	v_mad_u32_u24 v1, v0, 52, v30
	s_waitcnt lgkmcnt(0)
	s_barrier
	ds_read2_b64 v[10:13], v1 offset1:1
	ds_read2_b64 v[6:9], v1 offset0:2 offset1:3
	ds_read2_b64 v[2:5], v1 offset0:4 offset1:5
	ds_read_b64 v[28:29], v1 offset:48
	v_lshrrev_b32_e32 v18, 3, v0
	s_waitcnt lgkmcnt(3)
	v_add_f32_e32 v19, v10, v11
	v_add_f32_e32 v24, v19, v12
	v_add_f32_e32 v25, v24, v13
	s_waitcnt lgkmcnt(2)
	v_add_f32_e32 v16, v25, v6
	v_add_f32_e32 v17, v16, v7
	v_add_f32_e32 v22, v17, v8
	v_add_f32_e32 v23, v22, v9
	s_waitcnt lgkmcnt(1)
	v_add_f32_e32 v14, v23, v2
	;; [unrolled: 5-line block ×3, first 2 shown]
	v_and_b32_e32 v18, 12, v18
	v_add_f32_e32 v27, v26, v29
	v_add_u32_e32 v18, v30, v18
	v_cmp_gt_u32_e64 s[28:29], 64, v0
	s_barrier
	ds_write_b32 v18, v27
	s_waitcnt lgkmcnt(0)
	s_barrier
	s_and_saveexec_b64 s[36:37], s[28:29]
	s_cbranch_execz .LBB4351_30
; %bb.29:
	v_lshlrev_b32_e32 v18, 1, v0
	v_lshrrev_b32_e32 v31, 4, v0
	v_add_lshl_u32 v18, v31, v18, 2
	ds_read2_b32 v[32:33], v18 offset1:1
	v_mbcnt_lo_u32_b32 v31, -1, 0
	v_mbcnt_hi_u32_b32 v31, -1, v31
	v_and_b32_e32 v34, 15, v31
	v_cmp_eq_u32_e64 s[28:29], 0, v34
	s_waitcnt lgkmcnt(0)
	v_add_f32_e32 v33, v32, v33
	v_cmp_lt_u32_e64 s[30:31], 3, v34
	v_cmp_lt_u32_e64 s[34:35], 31, v31
	v_mov_b32_dpp v35, v33 row_shr:1 row_mask:0xf bank_mask:0xf
	v_add_f32_e32 v35, v33, v35
	v_cndmask_b32_e64 v33, v35, v33, s[28:29]
	v_cmp_lt_u32_e64 s[28:29], 1, v34
	s_nop 0
	v_mov_b32_dpp v35, v33 row_shr:2 row_mask:0xf bank_mask:0xf
	v_add_f32_e32 v35, v33, v35
	v_cndmask_b32_e64 v35, v33, v35, s[28:29]
	; wave barrier
	s_nop 1
	v_mov_b32_dpp v36, v35 row_shr:4 row_mask:0xf bank_mask:0xf
	v_add_f32_e32 v36, v35, v36
	v_cndmask_b32_e64 v35, v35, v36, s[30:31]
	v_cmp_lt_u32_e64 s[30:31], 7, v34
	s_nop 0
	v_mov_b32_dpp v36, v35 row_shr:8 row_mask:0xf bank_mask:0xf
	v_add_f32_e32 v36, v35, v36
	v_cndmask_b32_e64 v34, v35, v36, s[30:31]
	v_and_b32_e32 v36, 16, v31
	v_cmp_eq_u32_e64 s[30:31], 0, v36
	v_mov_b32_dpp v35, v34 row_bcast:15 row_mask:0xf bank_mask:0xf
	v_add_f32_e32 v35, v34, v35
	v_cndmask_b32_e64 v34, v35, v34, s[30:31]
	v_cmp_lt_u32_e64 s[30:31], 15, v31
	s_or_b64 s[28:29], s[30:31], s[28:29]
	v_mov_b32_dpp v35, v34 row_bcast:31 row_mask:0xf bank_mask:0xf
	v_add_f32_e32 v35, v34, v35
	v_cndmask_b32_e64 v34, v34, v35, s[34:35]
	v_cndmask_b32_e64 v33, v33, v34, s[28:29]
	v_add_u32_e32 v34, -1, v31
	v_and_b32_e32 v35, 64, v31
	v_cmp_lt_i32_e64 s[28:29], v34, v35
	v_cndmask_b32_e64 v31, v34, v31, s[28:29]
	v_lshlrev_b32_e32 v31, 2, v31
	ds_bpermute_b32 v31, v31, v33
	v_cmp_eq_u32_e64 s[28:29], 0, v0
	s_waitcnt lgkmcnt(0)
	v_add_f32_e32 v31, v32, v31
	v_cndmask_b32_e64 v31, v31, v27, s[28:29]
	ds_write_b32 v18, v31
	; wave barrier
	ds_read_b32 v32, v18 offset:4
	s_waitcnt lgkmcnt(0)
	v_add_f32_e32 v31, v31, v32
	ds_write_b32 v18, v31 offset:4
.LBB4351_30:
	s_or_b64 exec, exec, s[36:37]
	s_load_dwordx2 s[28:29], s[4:5], 0x18
	v_cmp_ne_u32_e64 s[4:5], 0, v0
	v_mov_b32_e32 v31, v27
	s_waitcnt lgkmcnt(0)
	s_barrier
	s_and_saveexec_b64 s[30:31], s[4:5]
	s_cbranch_execz .LBB4351_32
; %bb.31:
	v_add_u32_e32 v18, -1, v0
	v_lshrrev_b32_e32 v31, 5, v18
	v_add_lshl_u32 v18, v31, v18, 2
	ds_read_b32 v31, v18
.LBB4351_32:
	s_or_b64 exec, exec, s[30:31]
	v_mov_b32_e32 v18, v10
	s_and_saveexec_b64 s[30:31], s[4:5]
	s_cbranch_execz .LBB4351_34
; %bb.33:
	s_waitcnt lgkmcnt(0)
	v_add_f32_e32 v18, v10, v31
	v_add_f32_e32 v19, v11, v18
	;; [unrolled: 1-line block ×14, first 2 shown]
	;;#ASMSTART
	;;#ASMEND
.LBB4351_34:
	s_or_b64 exec, exec, s[30:31]
	s_movk_i32 s4, 0xffcc
	v_mad_i32_i24 v0, v0, s4, v1
	s_waitcnt lgkmcnt(0)
	s_barrier
	ds_write2_b64 v1, v[18:19], v[24:25] offset1:1
	ds_write2_b64 v1, v[16:17], v[22:23] offset0:2 offset1:3
	ds_write2_b64 v1, v[14:15], v[20:21] offset0:4 offset1:5
	ds_write_b64 v1, v[26:27] offset:48
	s_waitcnt lgkmcnt(0)
	s_barrier
	ds_read2st64_b32 v[12:13], v0 offset0:2 offset1:4
	ds_read2st64_b32 v[10:11], v0 offset0:6 offset1:8
	;; [unrolled: 1-line block ×4, first 2 shown]
	ds_read_b32 v14, v30 offset:4096
	ds_read2st64_b32 v[4:5], v0 offset0:20 offset1:22
	ds_read2st64_b32 v[0:1], v0 offset0:24 offset1:26
	v_mov_b32_e32 v3, s29
	v_add_co_u32_e64 v2, s[4:5], s28, v30
	v_addc_co_u32_e64 v3, s[4:5], 0, v3, s[4:5]
	s_and_saveexec_b64 s[4:5], vcc
	s_cbranch_execnz .LBB4351_49
; %bb.35:
	s_or_b64 exec, exec, s[4:5]
	s_and_saveexec_b64 s[4:5], s[0:1]
	s_cbranch_execnz .LBB4351_50
.LBB4351_36:
	s_or_b64 exec, exec, s[4:5]
	s_and_saveexec_b64 s[0:1], s[2:3]
	s_cbranch_execnz .LBB4351_51
.LBB4351_37:
	s_or_b64 exec, exec, s[0:1]
	s_and_saveexec_b64 s[0:1], s[26:27]
	s_cbranch_execnz .LBB4351_52
.LBB4351_38:
	s_or_b64 exec, exec, s[0:1]
	s_and_saveexec_b64 s[0:1], s[6:7]
	s_cbranch_execnz .LBB4351_53
.LBB4351_39:
	s_or_b64 exec, exec, s[0:1]
	s_and_saveexec_b64 s[0:1], s[8:9]
	s_cbranch_execnz .LBB4351_54
.LBB4351_40:
	s_or_b64 exec, exec, s[0:1]
	s_and_saveexec_b64 s[0:1], s[10:11]
	s_cbranch_execnz .LBB4351_55
.LBB4351_41:
	s_or_b64 exec, exec, s[0:1]
	s_and_saveexec_b64 s[0:1], s[12:13]
	s_cbranch_execnz .LBB4351_56
.LBB4351_42:
	s_or_b64 exec, exec, s[0:1]
	s_and_saveexec_b64 s[0:1], s[14:15]
	s_cbranch_execnz .LBB4351_57
.LBB4351_43:
	s_or_b64 exec, exec, s[0:1]
	s_and_saveexec_b64 s[0:1], s[16:17]
	s_cbranch_execnz .LBB4351_58
.LBB4351_44:
	s_or_b64 exec, exec, s[0:1]
	s_and_saveexec_b64 s[0:1], s[18:19]
	s_cbranch_execnz .LBB4351_59
.LBB4351_45:
	s_or_b64 exec, exec, s[0:1]
	s_and_saveexec_b64 s[0:1], s[20:21]
	s_cbranch_execnz .LBB4351_60
.LBB4351_46:
	s_or_b64 exec, exec, s[0:1]
	s_and_saveexec_b64 s[0:1], s[22:23]
	s_cbranch_execnz .LBB4351_61
.LBB4351_47:
	s_or_b64 exec, exec, s[0:1]
	s_and_saveexec_b64 s[0:1], s[24:25]
	s_cbranch_execnz .LBB4351_62
.LBB4351_48:
	s_endpgm
.LBB4351_49:
	ds_read_b32 v15, v30
	s_waitcnt lgkmcnt(0)
	global_store_dword v[2:3], v15, off
	s_or_b64 exec, exec, s[4:5]
	s_and_saveexec_b64 s[4:5], s[0:1]
	s_cbranch_execz .LBB4351_36
.LBB4351_50:
	s_waitcnt lgkmcnt(6)
	global_store_dword v[2:3], v12, off offset:512
	s_or_b64 exec, exec, s[4:5]
	s_and_saveexec_b64 s[0:1], s[2:3]
	s_cbranch_execz .LBB4351_37
.LBB4351_51:
	s_waitcnt lgkmcnt(6)
	global_store_dword v[2:3], v13, off offset:1024
	s_or_b64 exec, exec, s[0:1]
	s_and_saveexec_b64 s[0:1], s[26:27]
	s_cbranch_execz .LBB4351_38
.LBB4351_52:
	s_waitcnt lgkmcnt(5)
	global_store_dword v[2:3], v10, off offset:1536
	s_or_b64 exec, exec, s[0:1]
	s_and_saveexec_b64 s[0:1], s[6:7]
	s_cbranch_execz .LBB4351_39
.LBB4351_53:
	s_waitcnt lgkmcnt(5)
	global_store_dword v[2:3], v11, off offset:2048
	s_or_b64 exec, exec, s[0:1]
	s_and_saveexec_b64 s[0:1], s[8:9]
	s_cbranch_execz .LBB4351_40
.LBB4351_54:
	s_waitcnt lgkmcnt(4)
	global_store_dword v[2:3], v8, off offset:2560
	s_or_b64 exec, exec, s[0:1]
	s_and_saveexec_b64 s[0:1], s[10:11]
	s_cbranch_execz .LBB4351_41
.LBB4351_55:
	s_waitcnt lgkmcnt(4)
	global_store_dword v[2:3], v9, off offset:3072
	s_or_b64 exec, exec, s[0:1]
	s_and_saveexec_b64 s[0:1], s[12:13]
	s_cbranch_execz .LBB4351_42
.LBB4351_56:
	s_waitcnt lgkmcnt(3)
	global_store_dword v[2:3], v6, off offset:3584
	s_or_b64 exec, exec, s[0:1]
	s_and_saveexec_b64 s[0:1], s[14:15]
	s_cbranch_execz .LBB4351_43
.LBB4351_57:
	s_waitcnt lgkmcnt(4)
	v_add_co_u32_e32 v8, vcc, 0x1000, v2
	v_addc_co_u32_e32 v9, vcc, 0, v3, vcc
	s_waitcnt lgkmcnt(2)
	global_store_dword v[8:9], v14, off
	s_or_b64 exec, exec, s[0:1]
	s_and_saveexec_b64 s[0:1], s[16:17]
	s_cbranch_execz .LBB4351_44
.LBB4351_58:
	s_waitcnt lgkmcnt(4)
	v_add_co_u32_e32 v8, vcc, 0x1000, v2
	v_addc_co_u32_e32 v9, vcc, 0, v3, vcc
	s_waitcnt lgkmcnt(3)
	global_store_dword v[8:9], v7, off offset:512
	s_or_b64 exec, exec, s[0:1]
	s_and_saveexec_b64 s[0:1], s[18:19]
	s_cbranch_execz .LBB4351_45
.LBB4351_59:
	s_waitcnt lgkmcnt(3)
	v_add_co_u32_e32 v6, vcc, 0x1000, v2
	v_addc_co_u32_e32 v7, vcc, 0, v3, vcc
	s_waitcnt lgkmcnt(1)
	global_store_dword v[6:7], v4, off offset:1024
	s_or_b64 exec, exec, s[0:1]
	s_and_saveexec_b64 s[0:1], s[20:21]
	s_cbranch_execz .LBB4351_46
.LBB4351_60:
	s_waitcnt lgkmcnt(3)
	v_add_co_u32_e32 v6, vcc, 0x1000, v2
	v_addc_co_u32_e32 v7, vcc, 0, v3, vcc
	s_waitcnt lgkmcnt(1)
	global_store_dword v[6:7], v5, off offset:1536
	s_or_b64 exec, exec, s[0:1]
	s_and_saveexec_b64 s[0:1], s[22:23]
	s_cbranch_execz .LBB4351_47
.LBB4351_61:
	s_waitcnt lgkmcnt(1)
	v_add_co_u32_e32 v4, vcc, 0x1000, v2
	v_addc_co_u32_e32 v5, vcc, 0, v3, vcc
	s_waitcnt lgkmcnt(0)
	global_store_dword v[4:5], v0, off offset:2048
	s_or_b64 exec, exec, s[0:1]
	s_and_saveexec_b64 s[0:1], s[24:25]
	s_cbranch_execz .LBB4351_48
.LBB4351_62:
	v_add_co_u32_e32 v2, vcc, 0x1000, v2
	v_addc_co_u32_e32 v3, vcc, 0, v3, vcc
	s_waitcnt lgkmcnt(0)
	global_store_dword v[2:3], v1, off offset:2560
	s_endpgm
	.section	.rodata,"a",@progbits
	.p2align	6, 0x0
	.amdhsa_kernel _ZN7rocprim17ROCPRIM_400000_NS6detail17trampoline_kernelINS0_14default_configENS1_20scan_config_selectorIfEEZZNS1_9scan_implILNS1_25lookback_scan_determinismE0ELb0ELb0ES3_N6thrust23THRUST_200600_302600_NS6detail15normal_iteratorINS9_10device_ptrIfEEEESE_fNS9_4plusIvEEfEEDaPvRmT3_T4_T5_mT6_P12ihipStream_tbENKUlT_T0_E_clISt17integral_constantIbLb0EEST_IbLb1EEEEDaSP_SQ_EUlSP_E0_NS1_11comp_targetILNS1_3genE4ELNS1_11target_archE910ELNS1_3gpuE8ELNS1_3repE0EEENS1_30default_config_static_selectorELNS0_4arch9wavefront6targetE1EEEvT1_
		.amdhsa_group_segment_fixed_size 7168
		.amdhsa_private_segment_fixed_size 0
		.amdhsa_kernarg_size 32
		.amdhsa_user_sgpr_count 6
		.amdhsa_user_sgpr_private_segment_buffer 1
		.amdhsa_user_sgpr_dispatch_ptr 0
		.amdhsa_user_sgpr_queue_ptr 0
		.amdhsa_user_sgpr_kernarg_segment_ptr 1
		.amdhsa_user_sgpr_dispatch_id 0
		.amdhsa_user_sgpr_flat_scratch_init 0
		.amdhsa_user_sgpr_kernarg_preload_length 0
		.amdhsa_user_sgpr_kernarg_preload_offset 0
		.amdhsa_user_sgpr_private_segment_size 0
		.amdhsa_uses_dynamic_stack 0
		.amdhsa_system_sgpr_private_segment_wavefront_offset 0
		.amdhsa_system_sgpr_workgroup_id_x 1
		.amdhsa_system_sgpr_workgroup_id_y 0
		.amdhsa_system_sgpr_workgroup_id_z 0
		.amdhsa_system_sgpr_workgroup_info 0
		.amdhsa_system_vgpr_workitem_id 0
		.amdhsa_next_free_vgpr 37
		.amdhsa_next_free_sgpr 38
		.amdhsa_accum_offset 40
		.amdhsa_reserve_vcc 1
		.amdhsa_reserve_flat_scratch 0
		.amdhsa_float_round_mode_32 0
		.amdhsa_float_round_mode_16_64 0
		.amdhsa_float_denorm_mode_32 3
		.amdhsa_float_denorm_mode_16_64 3
		.amdhsa_dx10_clamp 1
		.amdhsa_ieee_mode 1
		.amdhsa_fp16_overflow 0
		.amdhsa_tg_split 0
		.amdhsa_exception_fp_ieee_invalid_op 0
		.amdhsa_exception_fp_denorm_src 0
		.amdhsa_exception_fp_ieee_div_zero 0
		.amdhsa_exception_fp_ieee_overflow 0
		.amdhsa_exception_fp_ieee_underflow 0
		.amdhsa_exception_fp_ieee_inexact 0
		.amdhsa_exception_int_div_zero 0
	.end_amdhsa_kernel
	.section	.text._ZN7rocprim17ROCPRIM_400000_NS6detail17trampoline_kernelINS0_14default_configENS1_20scan_config_selectorIfEEZZNS1_9scan_implILNS1_25lookback_scan_determinismE0ELb0ELb0ES3_N6thrust23THRUST_200600_302600_NS6detail15normal_iteratorINS9_10device_ptrIfEEEESE_fNS9_4plusIvEEfEEDaPvRmT3_T4_T5_mT6_P12ihipStream_tbENKUlT_T0_E_clISt17integral_constantIbLb0EEST_IbLb1EEEEDaSP_SQ_EUlSP_E0_NS1_11comp_targetILNS1_3genE4ELNS1_11target_archE910ELNS1_3gpuE8ELNS1_3repE0EEENS1_30default_config_static_selectorELNS0_4arch9wavefront6targetE1EEEvT1_,"axG",@progbits,_ZN7rocprim17ROCPRIM_400000_NS6detail17trampoline_kernelINS0_14default_configENS1_20scan_config_selectorIfEEZZNS1_9scan_implILNS1_25lookback_scan_determinismE0ELb0ELb0ES3_N6thrust23THRUST_200600_302600_NS6detail15normal_iteratorINS9_10device_ptrIfEEEESE_fNS9_4plusIvEEfEEDaPvRmT3_T4_T5_mT6_P12ihipStream_tbENKUlT_T0_E_clISt17integral_constantIbLb0EEST_IbLb1EEEEDaSP_SQ_EUlSP_E0_NS1_11comp_targetILNS1_3genE4ELNS1_11target_archE910ELNS1_3gpuE8ELNS1_3repE0EEENS1_30default_config_static_selectorELNS0_4arch9wavefront6targetE1EEEvT1_,comdat
.Lfunc_end4351:
	.size	_ZN7rocprim17ROCPRIM_400000_NS6detail17trampoline_kernelINS0_14default_configENS1_20scan_config_selectorIfEEZZNS1_9scan_implILNS1_25lookback_scan_determinismE0ELb0ELb0ES3_N6thrust23THRUST_200600_302600_NS6detail15normal_iteratorINS9_10device_ptrIfEEEESE_fNS9_4plusIvEEfEEDaPvRmT3_T4_T5_mT6_P12ihipStream_tbENKUlT_T0_E_clISt17integral_constantIbLb0EEST_IbLb1EEEEDaSP_SQ_EUlSP_E0_NS1_11comp_targetILNS1_3genE4ELNS1_11target_archE910ELNS1_3gpuE8ELNS1_3repE0EEENS1_30default_config_static_selectorELNS0_4arch9wavefront6targetE1EEEvT1_, .Lfunc_end4351-_ZN7rocprim17ROCPRIM_400000_NS6detail17trampoline_kernelINS0_14default_configENS1_20scan_config_selectorIfEEZZNS1_9scan_implILNS1_25lookback_scan_determinismE0ELb0ELb0ES3_N6thrust23THRUST_200600_302600_NS6detail15normal_iteratorINS9_10device_ptrIfEEEESE_fNS9_4plusIvEEfEEDaPvRmT3_T4_T5_mT6_P12ihipStream_tbENKUlT_T0_E_clISt17integral_constantIbLb0EEST_IbLb1EEEEDaSP_SQ_EUlSP_E0_NS1_11comp_targetILNS1_3genE4ELNS1_11target_archE910ELNS1_3gpuE8ELNS1_3repE0EEENS1_30default_config_static_selectorELNS0_4arch9wavefront6targetE1EEEvT1_
                                        ; -- End function
	.section	.AMDGPU.csdata,"",@progbits
; Kernel info:
; codeLenInByte = 2048
; NumSgprs: 42
; NumVgprs: 37
; NumAgprs: 0
; TotalNumVgprs: 37
; ScratchSize: 0
; MemoryBound: 0
; FloatMode: 240
; IeeeMode: 1
; LDSByteSize: 7168 bytes/workgroup (compile time only)
; SGPRBlocks: 5
; VGPRBlocks: 4
; NumSGPRsForWavesPerEU: 42
; NumVGPRsForWavesPerEU: 37
; AccumOffset: 40
; Occupancy: 5
; WaveLimiterHint : 0
; COMPUTE_PGM_RSRC2:SCRATCH_EN: 0
; COMPUTE_PGM_RSRC2:USER_SGPR: 6
; COMPUTE_PGM_RSRC2:TRAP_HANDLER: 0
; COMPUTE_PGM_RSRC2:TGID_X_EN: 1
; COMPUTE_PGM_RSRC2:TGID_Y_EN: 0
; COMPUTE_PGM_RSRC2:TGID_Z_EN: 0
; COMPUTE_PGM_RSRC2:TIDIG_COMP_CNT: 0
; COMPUTE_PGM_RSRC3_GFX90A:ACCUM_OFFSET: 9
; COMPUTE_PGM_RSRC3_GFX90A:TG_SPLIT: 0
	.section	.text._ZN7rocprim17ROCPRIM_400000_NS6detail17trampoline_kernelINS0_14default_configENS1_20scan_config_selectorIfEEZZNS1_9scan_implILNS1_25lookback_scan_determinismE0ELb0ELb0ES3_N6thrust23THRUST_200600_302600_NS6detail15normal_iteratorINS9_10device_ptrIfEEEESE_fNS9_4plusIvEEfEEDaPvRmT3_T4_T5_mT6_P12ihipStream_tbENKUlT_T0_E_clISt17integral_constantIbLb0EEST_IbLb1EEEEDaSP_SQ_EUlSP_E0_NS1_11comp_targetILNS1_3genE3ELNS1_11target_archE908ELNS1_3gpuE7ELNS1_3repE0EEENS1_30default_config_static_selectorELNS0_4arch9wavefront6targetE1EEEvT1_,"axG",@progbits,_ZN7rocprim17ROCPRIM_400000_NS6detail17trampoline_kernelINS0_14default_configENS1_20scan_config_selectorIfEEZZNS1_9scan_implILNS1_25lookback_scan_determinismE0ELb0ELb0ES3_N6thrust23THRUST_200600_302600_NS6detail15normal_iteratorINS9_10device_ptrIfEEEESE_fNS9_4plusIvEEfEEDaPvRmT3_T4_T5_mT6_P12ihipStream_tbENKUlT_T0_E_clISt17integral_constantIbLb0EEST_IbLb1EEEEDaSP_SQ_EUlSP_E0_NS1_11comp_targetILNS1_3genE3ELNS1_11target_archE908ELNS1_3gpuE7ELNS1_3repE0EEENS1_30default_config_static_selectorELNS0_4arch9wavefront6targetE1EEEvT1_,comdat
	.protected	_ZN7rocprim17ROCPRIM_400000_NS6detail17trampoline_kernelINS0_14default_configENS1_20scan_config_selectorIfEEZZNS1_9scan_implILNS1_25lookback_scan_determinismE0ELb0ELb0ES3_N6thrust23THRUST_200600_302600_NS6detail15normal_iteratorINS9_10device_ptrIfEEEESE_fNS9_4plusIvEEfEEDaPvRmT3_T4_T5_mT6_P12ihipStream_tbENKUlT_T0_E_clISt17integral_constantIbLb0EEST_IbLb1EEEEDaSP_SQ_EUlSP_E0_NS1_11comp_targetILNS1_3genE3ELNS1_11target_archE908ELNS1_3gpuE7ELNS1_3repE0EEENS1_30default_config_static_selectorELNS0_4arch9wavefront6targetE1EEEvT1_ ; -- Begin function _ZN7rocprim17ROCPRIM_400000_NS6detail17trampoline_kernelINS0_14default_configENS1_20scan_config_selectorIfEEZZNS1_9scan_implILNS1_25lookback_scan_determinismE0ELb0ELb0ES3_N6thrust23THRUST_200600_302600_NS6detail15normal_iteratorINS9_10device_ptrIfEEEESE_fNS9_4plusIvEEfEEDaPvRmT3_T4_T5_mT6_P12ihipStream_tbENKUlT_T0_E_clISt17integral_constantIbLb0EEST_IbLb1EEEEDaSP_SQ_EUlSP_E0_NS1_11comp_targetILNS1_3genE3ELNS1_11target_archE908ELNS1_3gpuE7ELNS1_3repE0EEENS1_30default_config_static_selectorELNS0_4arch9wavefront6targetE1EEEvT1_
	.globl	_ZN7rocprim17ROCPRIM_400000_NS6detail17trampoline_kernelINS0_14default_configENS1_20scan_config_selectorIfEEZZNS1_9scan_implILNS1_25lookback_scan_determinismE0ELb0ELb0ES3_N6thrust23THRUST_200600_302600_NS6detail15normal_iteratorINS9_10device_ptrIfEEEESE_fNS9_4plusIvEEfEEDaPvRmT3_T4_T5_mT6_P12ihipStream_tbENKUlT_T0_E_clISt17integral_constantIbLb0EEST_IbLb1EEEEDaSP_SQ_EUlSP_E0_NS1_11comp_targetILNS1_3genE3ELNS1_11target_archE908ELNS1_3gpuE7ELNS1_3repE0EEENS1_30default_config_static_selectorELNS0_4arch9wavefront6targetE1EEEvT1_
	.p2align	8
	.type	_ZN7rocprim17ROCPRIM_400000_NS6detail17trampoline_kernelINS0_14default_configENS1_20scan_config_selectorIfEEZZNS1_9scan_implILNS1_25lookback_scan_determinismE0ELb0ELb0ES3_N6thrust23THRUST_200600_302600_NS6detail15normal_iteratorINS9_10device_ptrIfEEEESE_fNS9_4plusIvEEfEEDaPvRmT3_T4_T5_mT6_P12ihipStream_tbENKUlT_T0_E_clISt17integral_constantIbLb0EEST_IbLb1EEEEDaSP_SQ_EUlSP_E0_NS1_11comp_targetILNS1_3genE3ELNS1_11target_archE908ELNS1_3gpuE7ELNS1_3repE0EEENS1_30default_config_static_selectorELNS0_4arch9wavefront6targetE1EEEvT1_,@function
_ZN7rocprim17ROCPRIM_400000_NS6detail17trampoline_kernelINS0_14default_configENS1_20scan_config_selectorIfEEZZNS1_9scan_implILNS1_25lookback_scan_determinismE0ELb0ELb0ES3_N6thrust23THRUST_200600_302600_NS6detail15normal_iteratorINS9_10device_ptrIfEEEESE_fNS9_4plusIvEEfEEDaPvRmT3_T4_T5_mT6_P12ihipStream_tbENKUlT_T0_E_clISt17integral_constantIbLb0EEST_IbLb1EEEEDaSP_SQ_EUlSP_E0_NS1_11comp_targetILNS1_3genE3ELNS1_11target_archE908ELNS1_3gpuE7ELNS1_3repE0EEENS1_30default_config_static_selectorELNS0_4arch9wavefront6targetE1EEEvT1_: ; @_ZN7rocprim17ROCPRIM_400000_NS6detail17trampoline_kernelINS0_14default_configENS1_20scan_config_selectorIfEEZZNS1_9scan_implILNS1_25lookback_scan_determinismE0ELb0ELb0ES3_N6thrust23THRUST_200600_302600_NS6detail15normal_iteratorINS9_10device_ptrIfEEEESE_fNS9_4plusIvEEfEEDaPvRmT3_T4_T5_mT6_P12ihipStream_tbENKUlT_T0_E_clISt17integral_constantIbLb0EEST_IbLb1EEEEDaSP_SQ_EUlSP_E0_NS1_11comp_targetILNS1_3genE3ELNS1_11target_archE908ELNS1_3gpuE7ELNS1_3repE0EEENS1_30default_config_static_selectorELNS0_4arch9wavefront6targetE1EEEvT1_
; %bb.0:
	.section	.rodata,"a",@progbits
	.p2align	6, 0x0
	.amdhsa_kernel _ZN7rocprim17ROCPRIM_400000_NS6detail17trampoline_kernelINS0_14default_configENS1_20scan_config_selectorIfEEZZNS1_9scan_implILNS1_25lookback_scan_determinismE0ELb0ELb0ES3_N6thrust23THRUST_200600_302600_NS6detail15normal_iteratorINS9_10device_ptrIfEEEESE_fNS9_4plusIvEEfEEDaPvRmT3_T4_T5_mT6_P12ihipStream_tbENKUlT_T0_E_clISt17integral_constantIbLb0EEST_IbLb1EEEEDaSP_SQ_EUlSP_E0_NS1_11comp_targetILNS1_3genE3ELNS1_11target_archE908ELNS1_3gpuE7ELNS1_3repE0EEENS1_30default_config_static_selectorELNS0_4arch9wavefront6targetE1EEEvT1_
		.amdhsa_group_segment_fixed_size 0
		.amdhsa_private_segment_fixed_size 0
		.amdhsa_kernarg_size 32
		.amdhsa_user_sgpr_count 6
		.amdhsa_user_sgpr_private_segment_buffer 1
		.amdhsa_user_sgpr_dispatch_ptr 0
		.amdhsa_user_sgpr_queue_ptr 0
		.amdhsa_user_sgpr_kernarg_segment_ptr 1
		.amdhsa_user_sgpr_dispatch_id 0
		.amdhsa_user_sgpr_flat_scratch_init 0
		.amdhsa_user_sgpr_kernarg_preload_length 0
		.amdhsa_user_sgpr_kernarg_preload_offset 0
		.amdhsa_user_sgpr_private_segment_size 0
		.amdhsa_uses_dynamic_stack 0
		.amdhsa_system_sgpr_private_segment_wavefront_offset 0
		.amdhsa_system_sgpr_workgroup_id_x 1
		.amdhsa_system_sgpr_workgroup_id_y 0
		.amdhsa_system_sgpr_workgroup_id_z 0
		.amdhsa_system_sgpr_workgroup_info 0
		.amdhsa_system_vgpr_workitem_id 0
		.amdhsa_next_free_vgpr 1
		.amdhsa_next_free_sgpr 0
		.amdhsa_accum_offset 4
		.amdhsa_reserve_vcc 0
		.amdhsa_reserve_flat_scratch 0
		.amdhsa_float_round_mode_32 0
		.amdhsa_float_round_mode_16_64 0
		.amdhsa_float_denorm_mode_32 3
		.amdhsa_float_denorm_mode_16_64 3
		.amdhsa_dx10_clamp 1
		.amdhsa_ieee_mode 1
		.amdhsa_fp16_overflow 0
		.amdhsa_tg_split 0
		.amdhsa_exception_fp_ieee_invalid_op 0
		.amdhsa_exception_fp_denorm_src 0
		.amdhsa_exception_fp_ieee_div_zero 0
		.amdhsa_exception_fp_ieee_overflow 0
		.amdhsa_exception_fp_ieee_underflow 0
		.amdhsa_exception_fp_ieee_inexact 0
		.amdhsa_exception_int_div_zero 0
	.end_amdhsa_kernel
	.section	.text._ZN7rocprim17ROCPRIM_400000_NS6detail17trampoline_kernelINS0_14default_configENS1_20scan_config_selectorIfEEZZNS1_9scan_implILNS1_25lookback_scan_determinismE0ELb0ELb0ES3_N6thrust23THRUST_200600_302600_NS6detail15normal_iteratorINS9_10device_ptrIfEEEESE_fNS9_4plusIvEEfEEDaPvRmT3_T4_T5_mT6_P12ihipStream_tbENKUlT_T0_E_clISt17integral_constantIbLb0EEST_IbLb1EEEEDaSP_SQ_EUlSP_E0_NS1_11comp_targetILNS1_3genE3ELNS1_11target_archE908ELNS1_3gpuE7ELNS1_3repE0EEENS1_30default_config_static_selectorELNS0_4arch9wavefront6targetE1EEEvT1_,"axG",@progbits,_ZN7rocprim17ROCPRIM_400000_NS6detail17trampoline_kernelINS0_14default_configENS1_20scan_config_selectorIfEEZZNS1_9scan_implILNS1_25lookback_scan_determinismE0ELb0ELb0ES3_N6thrust23THRUST_200600_302600_NS6detail15normal_iteratorINS9_10device_ptrIfEEEESE_fNS9_4plusIvEEfEEDaPvRmT3_T4_T5_mT6_P12ihipStream_tbENKUlT_T0_E_clISt17integral_constantIbLb0EEST_IbLb1EEEEDaSP_SQ_EUlSP_E0_NS1_11comp_targetILNS1_3genE3ELNS1_11target_archE908ELNS1_3gpuE7ELNS1_3repE0EEENS1_30default_config_static_selectorELNS0_4arch9wavefront6targetE1EEEvT1_,comdat
.Lfunc_end4352:
	.size	_ZN7rocprim17ROCPRIM_400000_NS6detail17trampoline_kernelINS0_14default_configENS1_20scan_config_selectorIfEEZZNS1_9scan_implILNS1_25lookback_scan_determinismE0ELb0ELb0ES3_N6thrust23THRUST_200600_302600_NS6detail15normal_iteratorINS9_10device_ptrIfEEEESE_fNS9_4plusIvEEfEEDaPvRmT3_T4_T5_mT6_P12ihipStream_tbENKUlT_T0_E_clISt17integral_constantIbLb0EEST_IbLb1EEEEDaSP_SQ_EUlSP_E0_NS1_11comp_targetILNS1_3genE3ELNS1_11target_archE908ELNS1_3gpuE7ELNS1_3repE0EEENS1_30default_config_static_selectorELNS0_4arch9wavefront6targetE1EEEvT1_, .Lfunc_end4352-_ZN7rocprim17ROCPRIM_400000_NS6detail17trampoline_kernelINS0_14default_configENS1_20scan_config_selectorIfEEZZNS1_9scan_implILNS1_25lookback_scan_determinismE0ELb0ELb0ES3_N6thrust23THRUST_200600_302600_NS6detail15normal_iteratorINS9_10device_ptrIfEEEESE_fNS9_4plusIvEEfEEDaPvRmT3_T4_T5_mT6_P12ihipStream_tbENKUlT_T0_E_clISt17integral_constantIbLb0EEST_IbLb1EEEEDaSP_SQ_EUlSP_E0_NS1_11comp_targetILNS1_3genE3ELNS1_11target_archE908ELNS1_3gpuE7ELNS1_3repE0EEENS1_30default_config_static_selectorELNS0_4arch9wavefront6targetE1EEEvT1_
                                        ; -- End function
	.section	.AMDGPU.csdata,"",@progbits
; Kernel info:
; codeLenInByte = 0
; NumSgprs: 4
; NumVgprs: 0
; NumAgprs: 0
; TotalNumVgprs: 0
; ScratchSize: 0
; MemoryBound: 0
; FloatMode: 240
; IeeeMode: 1
; LDSByteSize: 0 bytes/workgroup (compile time only)
; SGPRBlocks: 0
; VGPRBlocks: 0
; NumSGPRsForWavesPerEU: 4
; NumVGPRsForWavesPerEU: 1
; AccumOffset: 4
; Occupancy: 8
; WaveLimiterHint : 0
; COMPUTE_PGM_RSRC2:SCRATCH_EN: 0
; COMPUTE_PGM_RSRC2:USER_SGPR: 6
; COMPUTE_PGM_RSRC2:TRAP_HANDLER: 0
; COMPUTE_PGM_RSRC2:TGID_X_EN: 1
; COMPUTE_PGM_RSRC2:TGID_Y_EN: 0
; COMPUTE_PGM_RSRC2:TGID_Z_EN: 0
; COMPUTE_PGM_RSRC2:TIDIG_COMP_CNT: 0
; COMPUTE_PGM_RSRC3_GFX90A:ACCUM_OFFSET: 0
; COMPUTE_PGM_RSRC3_GFX90A:TG_SPLIT: 0
	.section	.text._ZN7rocprim17ROCPRIM_400000_NS6detail17trampoline_kernelINS0_14default_configENS1_20scan_config_selectorIfEEZZNS1_9scan_implILNS1_25lookback_scan_determinismE0ELb0ELb0ES3_N6thrust23THRUST_200600_302600_NS6detail15normal_iteratorINS9_10device_ptrIfEEEESE_fNS9_4plusIvEEfEEDaPvRmT3_T4_T5_mT6_P12ihipStream_tbENKUlT_T0_E_clISt17integral_constantIbLb0EEST_IbLb1EEEEDaSP_SQ_EUlSP_E0_NS1_11comp_targetILNS1_3genE2ELNS1_11target_archE906ELNS1_3gpuE6ELNS1_3repE0EEENS1_30default_config_static_selectorELNS0_4arch9wavefront6targetE1EEEvT1_,"axG",@progbits,_ZN7rocprim17ROCPRIM_400000_NS6detail17trampoline_kernelINS0_14default_configENS1_20scan_config_selectorIfEEZZNS1_9scan_implILNS1_25lookback_scan_determinismE0ELb0ELb0ES3_N6thrust23THRUST_200600_302600_NS6detail15normal_iteratorINS9_10device_ptrIfEEEESE_fNS9_4plusIvEEfEEDaPvRmT3_T4_T5_mT6_P12ihipStream_tbENKUlT_T0_E_clISt17integral_constantIbLb0EEST_IbLb1EEEEDaSP_SQ_EUlSP_E0_NS1_11comp_targetILNS1_3genE2ELNS1_11target_archE906ELNS1_3gpuE6ELNS1_3repE0EEENS1_30default_config_static_selectorELNS0_4arch9wavefront6targetE1EEEvT1_,comdat
	.protected	_ZN7rocprim17ROCPRIM_400000_NS6detail17trampoline_kernelINS0_14default_configENS1_20scan_config_selectorIfEEZZNS1_9scan_implILNS1_25lookback_scan_determinismE0ELb0ELb0ES3_N6thrust23THRUST_200600_302600_NS6detail15normal_iteratorINS9_10device_ptrIfEEEESE_fNS9_4plusIvEEfEEDaPvRmT3_T4_T5_mT6_P12ihipStream_tbENKUlT_T0_E_clISt17integral_constantIbLb0EEST_IbLb1EEEEDaSP_SQ_EUlSP_E0_NS1_11comp_targetILNS1_3genE2ELNS1_11target_archE906ELNS1_3gpuE6ELNS1_3repE0EEENS1_30default_config_static_selectorELNS0_4arch9wavefront6targetE1EEEvT1_ ; -- Begin function _ZN7rocprim17ROCPRIM_400000_NS6detail17trampoline_kernelINS0_14default_configENS1_20scan_config_selectorIfEEZZNS1_9scan_implILNS1_25lookback_scan_determinismE0ELb0ELb0ES3_N6thrust23THRUST_200600_302600_NS6detail15normal_iteratorINS9_10device_ptrIfEEEESE_fNS9_4plusIvEEfEEDaPvRmT3_T4_T5_mT6_P12ihipStream_tbENKUlT_T0_E_clISt17integral_constantIbLb0EEST_IbLb1EEEEDaSP_SQ_EUlSP_E0_NS1_11comp_targetILNS1_3genE2ELNS1_11target_archE906ELNS1_3gpuE6ELNS1_3repE0EEENS1_30default_config_static_selectorELNS0_4arch9wavefront6targetE1EEEvT1_
	.globl	_ZN7rocprim17ROCPRIM_400000_NS6detail17trampoline_kernelINS0_14default_configENS1_20scan_config_selectorIfEEZZNS1_9scan_implILNS1_25lookback_scan_determinismE0ELb0ELb0ES3_N6thrust23THRUST_200600_302600_NS6detail15normal_iteratorINS9_10device_ptrIfEEEESE_fNS9_4plusIvEEfEEDaPvRmT3_T4_T5_mT6_P12ihipStream_tbENKUlT_T0_E_clISt17integral_constantIbLb0EEST_IbLb1EEEEDaSP_SQ_EUlSP_E0_NS1_11comp_targetILNS1_3genE2ELNS1_11target_archE906ELNS1_3gpuE6ELNS1_3repE0EEENS1_30default_config_static_selectorELNS0_4arch9wavefront6targetE1EEEvT1_
	.p2align	8
	.type	_ZN7rocprim17ROCPRIM_400000_NS6detail17trampoline_kernelINS0_14default_configENS1_20scan_config_selectorIfEEZZNS1_9scan_implILNS1_25lookback_scan_determinismE0ELb0ELb0ES3_N6thrust23THRUST_200600_302600_NS6detail15normal_iteratorINS9_10device_ptrIfEEEESE_fNS9_4plusIvEEfEEDaPvRmT3_T4_T5_mT6_P12ihipStream_tbENKUlT_T0_E_clISt17integral_constantIbLb0EEST_IbLb1EEEEDaSP_SQ_EUlSP_E0_NS1_11comp_targetILNS1_3genE2ELNS1_11target_archE906ELNS1_3gpuE6ELNS1_3repE0EEENS1_30default_config_static_selectorELNS0_4arch9wavefront6targetE1EEEvT1_,@function
_ZN7rocprim17ROCPRIM_400000_NS6detail17trampoline_kernelINS0_14default_configENS1_20scan_config_selectorIfEEZZNS1_9scan_implILNS1_25lookback_scan_determinismE0ELb0ELb0ES3_N6thrust23THRUST_200600_302600_NS6detail15normal_iteratorINS9_10device_ptrIfEEEESE_fNS9_4plusIvEEfEEDaPvRmT3_T4_T5_mT6_P12ihipStream_tbENKUlT_T0_E_clISt17integral_constantIbLb0EEST_IbLb1EEEEDaSP_SQ_EUlSP_E0_NS1_11comp_targetILNS1_3genE2ELNS1_11target_archE906ELNS1_3gpuE6ELNS1_3repE0EEENS1_30default_config_static_selectorELNS0_4arch9wavefront6targetE1EEEvT1_: ; @_ZN7rocprim17ROCPRIM_400000_NS6detail17trampoline_kernelINS0_14default_configENS1_20scan_config_selectorIfEEZZNS1_9scan_implILNS1_25lookback_scan_determinismE0ELb0ELb0ES3_N6thrust23THRUST_200600_302600_NS6detail15normal_iteratorINS9_10device_ptrIfEEEESE_fNS9_4plusIvEEfEEDaPvRmT3_T4_T5_mT6_P12ihipStream_tbENKUlT_T0_E_clISt17integral_constantIbLb0EEST_IbLb1EEEEDaSP_SQ_EUlSP_E0_NS1_11comp_targetILNS1_3genE2ELNS1_11target_archE906ELNS1_3gpuE6ELNS1_3repE0EEENS1_30default_config_static_selectorELNS0_4arch9wavefront6targetE1EEEvT1_
; %bb.0:
	.section	.rodata,"a",@progbits
	.p2align	6, 0x0
	.amdhsa_kernel _ZN7rocprim17ROCPRIM_400000_NS6detail17trampoline_kernelINS0_14default_configENS1_20scan_config_selectorIfEEZZNS1_9scan_implILNS1_25lookback_scan_determinismE0ELb0ELb0ES3_N6thrust23THRUST_200600_302600_NS6detail15normal_iteratorINS9_10device_ptrIfEEEESE_fNS9_4plusIvEEfEEDaPvRmT3_T4_T5_mT6_P12ihipStream_tbENKUlT_T0_E_clISt17integral_constantIbLb0EEST_IbLb1EEEEDaSP_SQ_EUlSP_E0_NS1_11comp_targetILNS1_3genE2ELNS1_11target_archE906ELNS1_3gpuE6ELNS1_3repE0EEENS1_30default_config_static_selectorELNS0_4arch9wavefront6targetE1EEEvT1_
		.amdhsa_group_segment_fixed_size 0
		.amdhsa_private_segment_fixed_size 0
		.amdhsa_kernarg_size 32
		.amdhsa_user_sgpr_count 6
		.amdhsa_user_sgpr_private_segment_buffer 1
		.amdhsa_user_sgpr_dispatch_ptr 0
		.amdhsa_user_sgpr_queue_ptr 0
		.amdhsa_user_sgpr_kernarg_segment_ptr 1
		.amdhsa_user_sgpr_dispatch_id 0
		.amdhsa_user_sgpr_flat_scratch_init 0
		.amdhsa_user_sgpr_kernarg_preload_length 0
		.amdhsa_user_sgpr_kernarg_preload_offset 0
		.amdhsa_user_sgpr_private_segment_size 0
		.amdhsa_uses_dynamic_stack 0
		.amdhsa_system_sgpr_private_segment_wavefront_offset 0
		.amdhsa_system_sgpr_workgroup_id_x 1
		.amdhsa_system_sgpr_workgroup_id_y 0
		.amdhsa_system_sgpr_workgroup_id_z 0
		.amdhsa_system_sgpr_workgroup_info 0
		.amdhsa_system_vgpr_workitem_id 0
		.amdhsa_next_free_vgpr 1
		.amdhsa_next_free_sgpr 0
		.amdhsa_accum_offset 4
		.amdhsa_reserve_vcc 0
		.amdhsa_reserve_flat_scratch 0
		.amdhsa_float_round_mode_32 0
		.amdhsa_float_round_mode_16_64 0
		.amdhsa_float_denorm_mode_32 3
		.amdhsa_float_denorm_mode_16_64 3
		.amdhsa_dx10_clamp 1
		.amdhsa_ieee_mode 1
		.amdhsa_fp16_overflow 0
		.amdhsa_tg_split 0
		.amdhsa_exception_fp_ieee_invalid_op 0
		.amdhsa_exception_fp_denorm_src 0
		.amdhsa_exception_fp_ieee_div_zero 0
		.amdhsa_exception_fp_ieee_overflow 0
		.amdhsa_exception_fp_ieee_underflow 0
		.amdhsa_exception_fp_ieee_inexact 0
		.amdhsa_exception_int_div_zero 0
	.end_amdhsa_kernel
	.section	.text._ZN7rocprim17ROCPRIM_400000_NS6detail17trampoline_kernelINS0_14default_configENS1_20scan_config_selectorIfEEZZNS1_9scan_implILNS1_25lookback_scan_determinismE0ELb0ELb0ES3_N6thrust23THRUST_200600_302600_NS6detail15normal_iteratorINS9_10device_ptrIfEEEESE_fNS9_4plusIvEEfEEDaPvRmT3_T4_T5_mT6_P12ihipStream_tbENKUlT_T0_E_clISt17integral_constantIbLb0EEST_IbLb1EEEEDaSP_SQ_EUlSP_E0_NS1_11comp_targetILNS1_3genE2ELNS1_11target_archE906ELNS1_3gpuE6ELNS1_3repE0EEENS1_30default_config_static_selectorELNS0_4arch9wavefront6targetE1EEEvT1_,"axG",@progbits,_ZN7rocprim17ROCPRIM_400000_NS6detail17trampoline_kernelINS0_14default_configENS1_20scan_config_selectorIfEEZZNS1_9scan_implILNS1_25lookback_scan_determinismE0ELb0ELb0ES3_N6thrust23THRUST_200600_302600_NS6detail15normal_iteratorINS9_10device_ptrIfEEEESE_fNS9_4plusIvEEfEEDaPvRmT3_T4_T5_mT6_P12ihipStream_tbENKUlT_T0_E_clISt17integral_constantIbLb0EEST_IbLb1EEEEDaSP_SQ_EUlSP_E0_NS1_11comp_targetILNS1_3genE2ELNS1_11target_archE906ELNS1_3gpuE6ELNS1_3repE0EEENS1_30default_config_static_selectorELNS0_4arch9wavefront6targetE1EEEvT1_,comdat
.Lfunc_end4353:
	.size	_ZN7rocprim17ROCPRIM_400000_NS6detail17trampoline_kernelINS0_14default_configENS1_20scan_config_selectorIfEEZZNS1_9scan_implILNS1_25lookback_scan_determinismE0ELb0ELb0ES3_N6thrust23THRUST_200600_302600_NS6detail15normal_iteratorINS9_10device_ptrIfEEEESE_fNS9_4plusIvEEfEEDaPvRmT3_T4_T5_mT6_P12ihipStream_tbENKUlT_T0_E_clISt17integral_constantIbLb0EEST_IbLb1EEEEDaSP_SQ_EUlSP_E0_NS1_11comp_targetILNS1_3genE2ELNS1_11target_archE906ELNS1_3gpuE6ELNS1_3repE0EEENS1_30default_config_static_selectorELNS0_4arch9wavefront6targetE1EEEvT1_, .Lfunc_end4353-_ZN7rocprim17ROCPRIM_400000_NS6detail17trampoline_kernelINS0_14default_configENS1_20scan_config_selectorIfEEZZNS1_9scan_implILNS1_25lookback_scan_determinismE0ELb0ELb0ES3_N6thrust23THRUST_200600_302600_NS6detail15normal_iteratorINS9_10device_ptrIfEEEESE_fNS9_4plusIvEEfEEDaPvRmT3_T4_T5_mT6_P12ihipStream_tbENKUlT_T0_E_clISt17integral_constantIbLb0EEST_IbLb1EEEEDaSP_SQ_EUlSP_E0_NS1_11comp_targetILNS1_3genE2ELNS1_11target_archE906ELNS1_3gpuE6ELNS1_3repE0EEENS1_30default_config_static_selectorELNS0_4arch9wavefront6targetE1EEEvT1_
                                        ; -- End function
	.section	.AMDGPU.csdata,"",@progbits
; Kernel info:
; codeLenInByte = 0
; NumSgprs: 4
; NumVgprs: 0
; NumAgprs: 0
; TotalNumVgprs: 0
; ScratchSize: 0
; MemoryBound: 0
; FloatMode: 240
; IeeeMode: 1
; LDSByteSize: 0 bytes/workgroup (compile time only)
; SGPRBlocks: 0
; VGPRBlocks: 0
; NumSGPRsForWavesPerEU: 4
; NumVGPRsForWavesPerEU: 1
; AccumOffset: 4
; Occupancy: 8
; WaveLimiterHint : 0
; COMPUTE_PGM_RSRC2:SCRATCH_EN: 0
; COMPUTE_PGM_RSRC2:USER_SGPR: 6
; COMPUTE_PGM_RSRC2:TRAP_HANDLER: 0
; COMPUTE_PGM_RSRC2:TGID_X_EN: 1
; COMPUTE_PGM_RSRC2:TGID_Y_EN: 0
; COMPUTE_PGM_RSRC2:TGID_Z_EN: 0
; COMPUTE_PGM_RSRC2:TIDIG_COMP_CNT: 0
; COMPUTE_PGM_RSRC3_GFX90A:ACCUM_OFFSET: 0
; COMPUTE_PGM_RSRC3_GFX90A:TG_SPLIT: 0
	.section	.text._ZN7rocprim17ROCPRIM_400000_NS6detail17trampoline_kernelINS0_14default_configENS1_20scan_config_selectorIfEEZZNS1_9scan_implILNS1_25lookback_scan_determinismE0ELb0ELb0ES3_N6thrust23THRUST_200600_302600_NS6detail15normal_iteratorINS9_10device_ptrIfEEEESE_fNS9_4plusIvEEfEEDaPvRmT3_T4_T5_mT6_P12ihipStream_tbENKUlT_T0_E_clISt17integral_constantIbLb0EEST_IbLb1EEEEDaSP_SQ_EUlSP_E0_NS1_11comp_targetILNS1_3genE10ELNS1_11target_archE1201ELNS1_3gpuE5ELNS1_3repE0EEENS1_30default_config_static_selectorELNS0_4arch9wavefront6targetE1EEEvT1_,"axG",@progbits,_ZN7rocprim17ROCPRIM_400000_NS6detail17trampoline_kernelINS0_14default_configENS1_20scan_config_selectorIfEEZZNS1_9scan_implILNS1_25lookback_scan_determinismE0ELb0ELb0ES3_N6thrust23THRUST_200600_302600_NS6detail15normal_iteratorINS9_10device_ptrIfEEEESE_fNS9_4plusIvEEfEEDaPvRmT3_T4_T5_mT6_P12ihipStream_tbENKUlT_T0_E_clISt17integral_constantIbLb0EEST_IbLb1EEEEDaSP_SQ_EUlSP_E0_NS1_11comp_targetILNS1_3genE10ELNS1_11target_archE1201ELNS1_3gpuE5ELNS1_3repE0EEENS1_30default_config_static_selectorELNS0_4arch9wavefront6targetE1EEEvT1_,comdat
	.protected	_ZN7rocprim17ROCPRIM_400000_NS6detail17trampoline_kernelINS0_14default_configENS1_20scan_config_selectorIfEEZZNS1_9scan_implILNS1_25lookback_scan_determinismE0ELb0ELb0ES3_N6thrust23THRUST_200600_302600_NS6detail15normal_iteratorINS9_10device_ptrIfEEEESE_fNS9_4plusIvEEfEEDaPvRmT3_T4_T5_mT6_P12ihipStream_tbENKUlT_T0_E_clISt17integral_constantIbLb0EEST_IbLb1EEEEDaSP_SQ_EUlSP_E0_NS1_11comp_targetILNS1_3genE10ELNS1_11target_archE1201ELNS1_3gpuE5ELNS1_3repE0EEENS1_30default_config_static_selectorELNS0_4arch9wavefront6targetE1EEEvT1_ ; -- Begin function _ZN7rocprim17ROCPRIM_400000_NS6detail17trampoline_kernelINS0_14default_configENS1_20scan_config_selectorIfEEZZNS1_9scan_implILNS1_25lookback_scan_determinismE0ELb0ELb0ES3_N6thrust23THRUST_200600_302600_NS6detail15normal_iteratorINS9_10device_ptrIfEEEESE_fNS9_4plusIvEEfEEDaPvRmT3_T4_T5_mT6_P12ihipStream_tbENKUlT_T0_E_clISt17integral_constantIbLb0EEST_IbLb1EEEEDaSP_SQ_EUlSP_E0_NS1_11comp_targetILNS1_3genE10ELNS1_11target_archE1201ELNS1_3gpuE5ELNS1_3repE0EEENS1_30default_config_static_selectorELNS0_4arch9wavefront6targetE1EEEvT1_
	.globl	_ZN7rocprim17ROCPRIM_400000_NS6detail17trampoline_kernelINS0_14default_configENS1_20scan_config_selectorIfEEZZNS1_9scan_implILNS1_25lookback_scan_determinismE0ELb0ELb0ES3_N6thrust23THRUST_200600_302600_NS6detail15normal_iteratorINS9_10device_ptrIfEEEESE_fNS9_4plusIvEEfEEDaPvRmT3_T4_T5_mT6_P12ihipStream_tbENKUlT_T0_E_clISt17integral_constantIbLb0EEST_IbLb1EEEEDaSP_SQ_EUlSP_E0_NS1_11comp_targetILNS1_3genE10ELNS1_11target_archE1201ELNS1_3gpuE5ELNS1_3repE0EEENS1_30default_config_static_selectorELNS0_4arch9wavefront6targetE1EEEvT1_
	.p2align	8
	.type	_ZN7rocprim17ROCPRIM_400000_NS6detail17trampoline_kernelINS0_14default_configENS1_20scan_config_selectorIfEEZZNS1_9scan_implILNS1_25lookback_scan_determinismE0ELb0ELb0ES3_N6thrust23THRUST_200600_302600_NS6detail15normal_iteratorINS9_10device_ptrIfEEEESE_fNS9_4plusIvEEfEEDaPvRmT3_T4_T5_mT6_P12ihipStream_tbENKUlT_T0_E_clISt17integral_constantIbLb0EEST_IbLb1EEEEDaSP_SQ_EUlSP_E0_NS1_11comp_targetILNS1_3genE10ELNS1_11target_archE1201ELNS1_3gpuE5ELNS1_3repE0EEENS1_30default_config_static_selectorELNS0_4arch9wavefront6targetE1EEEvT1_,@function
_ZN7rocprim17ROCPRIM_400000_NS6detail17trampoline_kernelINS0_14default_configENS1_20scan_config_selectorIfEEZZNS1_9scan_implILNS1_25lookback_scan_determinismE0ELb0ELb0ES3_N6thrust23THRUST_200600_302600_NS6detail15normal_iteratorINS9_10device_ptrIfEEEESE_fNS9_4plusIvEEfEEDaPvRmT3_T4_T5_mT6_P12ihipStream_tbENKUlT_T0_E_clISt17integral_constantIbLb0EEST_IbLb1EEEEDaSP_SQ_EUlSP_E0_NS1_11comp_targetILNS1_3genE10ELNS1_11target_archE1201ELNS1_3gpuE5ELNS1_3repE0EEENS1_30default_config_static_selectorELNS0_4arch9wavefront6targetE1EEEvT1_: ; @_ZN7rocprim17ROCPRIM_400000_NS6detail17trampoline_kernelINS0_14default_configENS1_20scan_config_selectorIfEEZZNS1_9scan_implILNS1_25lookback_scan_determinismE0ELb0ELb0ES3_N6thrust23THRUST_200600_302600_NS6detail15normal_iteratorINS9_10device_ptrIfEEEESE_fNS9_4plusIvEEfEEDaPvRmT3_T4_T5_mT6_P12ihipStream_tbENKUlT_T0_E_clISt17integral_constantIbLb0EEST_IbLb1EEEEDaSP_SQ_EUlSP_E0_NS1_11comp_targetILNS1_3genE10ELNS1_11target_archE1201ELNS1_3gpuE5ELNS1_3repE0EEENS1_30default_config_static_selectorELNS0_4arch9wavefront6targetE1EEEvT1_
; %bb.0:
	.section	.rodata,"a",@progbits
	.p2align	6, 0x0
	.amdhsa_kernel _ZN7rocprim17ROCPRIM_400000_NS6detail17trampoline_kernelINS0_14default_configENS1_20scan_config_selectorIfEEZZNS1_9scan_implILNS1_25lookback_scan_determinismE0ELb0ELb0ES3_N6thrust23THRUST_200600_302600_NS6detail15normal_iteratorINS9_10device_ptrIfEEEESE_fNS9_4plusIvEEfEEDaPvRmT3_T4_T5_mT6_P12ihipStream_tbENKUlT_T0_E_clISt17integral_constantIbLb0EEST_IbLb1EEEEDaSP_SQ_EUlSP_E0_NS1_11comp_targetILNS1_3genE10ELNS1_11target_archE1201ELNS1_3gpuE5ELNS1_3repE0EEENS1_30default_config_static_selectorELNS0_4arch9wavefront6targetE1EEEvT1_
		.amdhsa_group_segment_fixed_size 0
		.amdhsa_private_segment_fixed_size 0
		.amdhsa_kernarg_size 32
		.amdhsa_user_sgpr_count 6
		.amdhsa_user_sgpr_private_segment_buffer 1
		.amdhsa_user_sgpr_dispatch_ptr 0
		.amdhsa_user_sgpr_queue_ptr 0
		.amdhsa_user_sgpr_kernarg_segment_ptr 1
		.amdhsa_user_sgpr_dispatch_id 0
		.amdhsa_user_sgpr_flat_scratch_init 0
		.amdhsa_user_sgpr_kernarg_preload_length 0
		.amdhsa_user_sgpr_kernarg_preload_offset 0
		.amdhsa_user_sgpr_private_segment_size 0
		.amdhsa_uses_dynamic_stack 0
		.amdhsa_system_sgpr_private_segment_wavefront_offset 0
		.amdhsa_system_sgpr_workgroup_id_x 1
		.amdhsa_system_sgpr_workgroup_id_y 0
		.amdhsa_system_sgpr_workgroup_id_z 0
		.amdhsa_system_sgpr_workgroup_info 0
		.amdhsa_system_vgpr_workitem_id 0
		.amdhsa_next_free_vgpr 1
		.amdhsa_next_free_sgpr 0
		.amdhsa_accum_offset 4
		.amdhsa_reserve_vcc 0
		.amdhsa_reserve_flat_scratch 0
		.amdhsa_float_round_mode_32 0
		.amdhsa_float_round_mode_16_64 0
		.amdhsa_float_denorm_mode_32 3
		.amdhsa_float_denorm_mode_16_64 3
		.amdhsa_dx10_clamp 1
		.amdhsa_ieee_mode 1
		.amdhsa_fp16_overflow 0
		.amdhsa_tg_split 0
		.amdhsa_exception_fp_ieee_invalid_op 0
		.amdhsa_exception_fp_denorm_src 0
		.amdhsa_exception_fp_ieee_div_zero 0
		.amdhsa_exception_fp_ieee_overflow 0
		.amdhsa_exception_fp_ieee_underflow 0
		.amdhsa_exception_fp_ieee_inexact 0
		.amdhsa_exception_int_div_zero 0
	.end_amdhsa_kernel
	.section	.text._ZN7rocprim17ROCPRIM_400000_NS6detail17trampoline_kernelINS0_14default_configENS1_20scan_config_selectorIfEEZZNS1_9scan_implILNS1_25lookback_scan_determinismE0ELb0ELb0ES3_N6thrust23THRUST_200600_302600_NS6detail15normal_iteratorINS9_10device_ptrIfEEEESE_fNS9_4plusIvEEfEEDaPvRmT3_T4_T5_mT6_P12ihipStream_tbENKUlT_T0_E_clISt17integral_constantIbLb0EEST_IbLb1EEEEDaSP_SQ_EUlSP_E0_NS1_11comp_targetILNS1_3genE10ELNS1_11target_archE1201ELNS1_3gpuE5ELNS1_3repE0EEENS1_30default_config_static_selectorELNS0_4arch9wavefront6targetE1EEEvT1_,"axG",@progbits,_ZN7rocprim17ROCPRIM_400000_NS6detail17trampoline_kernelINS0_14default_configENS1_20scan_config_selectorIfEEZZNS1_9scan_implILNS1_25lookback_scan_determinismE0ELb0ELb0ES3_N6thrust23THRUST_200600_302600_NS6detail15normal_iteratorINS9_10device_ptrIfEEEESE_fNS9_4plusIvEEfEEDaPvRmT3_T4_T5_mT6_P12ihipStream_tbENKUlT_T0_E_clISt17integral_constantIbLb0EEST_IbLb1EEEEDaSP_SQ_EUlSP_E0_NS1_11comp_targetILNS1_3genE10ELNS1_11target_archE1201ELNS1_3gpuE5ELNS1_3repE0EEENS1_30default_config_static_selectorELNS0_4arch9wavefront6targetE1EEEvT1_,comdat
.Lfunc_end4354:
	.size	_ZN7rocprim17ROCPRIM_400000_NS6detail17trampoline_kernelINS0_14default_configENS1_20scan_config_selectorIfEEZZNS1_9scan_implILNS1_25lookback_scan_determinismE0ELb0ELb0ES3_N6thrust23THRUST_200600_302600_NS6detail15normal_iteratorINS9_10device_ptrIfEEEESE_fNS9_4plusIvEEfEEDaPvRmT3_T4_T5_mT6_P12ihipStream_tbENKUlT_T0_E_clISt17integral_constantIbLb0EEST_IbLb1EEEEDaSP_SQ_EUlSP_E0_NS1_11comp_targetILNS1_3genE10ELNS1_11target_archE1201ELNS1_3gpuE5ELNS1_3repE0EEENS1_30default_config_static_selectorELNS0_4arch9wavefront6targetE1EEEvT1_, .Lfunc_end4354-_ZN7rocprim17ROCPRIM_400000_NS6detail17trampoline_kernelINS0_14default_configENS1_20scan_config_selectorIfEEZZNS1_9scan_implILNS1_25lookback_scan_determinismE0ELb0ELb0ES3_N6thrust23THRUST_200600_302600_NS6detail15normal_iteratorINS9_10device_ptrIfEEEESE_fNS9_4plusIvEEfEEDaPvRmT3_T4_T5_mT6_P12ihipStream_tbENKUlT_T0_E_clISt17integral_constantIbLb0EEST_IbLb1EEEEDaSP_SQ_EUlSP_E0_NS1_11comp_targetILNS1_3genE10ELNS1_11target_archE1201ELNS1_3gpuE5ELNS1_3repE0EEENS1_30default_config_static_selectorELNS0_4arch9wavefront6targetE1EEEvT1_
                                        ; -- End function
	.section	.AMDGPU.csdata,"",@progbits
; Kernel info:
; codeLenInByte = 0
; NumSgprs: 4
; NumVgprs: 0
; NumAgprs: 0
; TotalNumVgprs: 0
; ScratchSize: 0
; MemoryBound: 0
; FloatMode: 240
; IeeeMode: 1
; LDSByteSize: 0 bytes/workgroup (compile time only)
; SGPRBlocks: 0
; VGPRBlocks: 0
; NumSGPRsForWavesPerEU: 4
; NumVGPRsForWavesPerEU: 1
; AccumOffset: 4
; Occupancy: 8
; WaveLimiterHint : 0
; COMPUTE_PGM_RSRC2:SCRATCH_EN: 0
; COMPUTE_PGM_RSRC2:USER_SGPR: 6
; COMPUTE_PGM_RSRC2:TRAP_HANDLER: 0
; COMPUTE_PGM_RSRC2:TGID_X_EN: 1
; COMPUTE_PGM_RSRC2:TGID_Y_EN: 0
; COMPUTE_PGM_RSRC2:TGID_Z_EN: 0
; COMPUTE_PGM_RSRC2:TIDIG_COMP_CNT: 0
; COMPUTE_PGM_RSRC3_GFX90A:ACCUM_OFFSET: 0
; COMPUTE_PGM_RSRC3_GFX90A:TG_SPLIT: 0
	.section	.text._ZN7rocprim17ROCPRIM_400000_NS6detail17trampoline_kernelINS0_14default_configENS1_20scan_config_selectorIfEEZZNS1_9scan_implILNS1_25lookback_scan_determinismE0ELb0ELb0ES3_N6thrust23THRUST_200600_302600_NS6detail15normal_iteratorINS9_10device_ptrIfEEEESE_fNS9_4plusIvEEfEEDaPvRmT3_T4_T5_mT6_P12ihipStream_tbENKUlT_T0_E_clISt17integral_constantIbLb0EEST_IbLb1EEEEDaSP_SQ_EUlSP_E0_NS1_11comp_targetILNS1_3genE10ELNS1_11target_archE1200ELNS1_3gpuE4ELNS1_3repE0EEENS1_30default_config_static_selectorELNS0_4arch9wavefront6targetE1EEEvT1_,"axG",@progbits,_ZN7rocprim17ROCPRIM_400000_NS6detail17trampoline_kernelINS0_14default_configENS1_20scan_config_selectorIfEEZZNS1_9scan_implILNS1_25lookback_scan_determinismE0ELb0ELb0ES3_N6thrust23THRUST_200600_302600_NS6detail15normal_iteratorINS9_10device_ptrIfEEEESE_fNS9_4plusIvEEfEEDaPvRmT3_T4_T5_mT6_P12ihipStream_tbENKUlT_T0_E_clISt17integral_constantIbLb0EEST_IbLb1EEEEDaSP_SQ_EUlSP_E0_NS1_11comp_targetILNS1_3genE10ELNS1_11target_archE1200ELNS1_3gpuE4ELNS1_3repE0EEENS1_30default_config_static_selectorELNS0_4arch9wavefront6targetE1EEEvT1_,comdat
	.protected	_ZN7rocprim17ROCPRIM_400000_NS6detail17trampoline_kernelINS0_14default_configENS1_20scan_config_selectorIfEEZZNS1_9scan_implILNS1_25lookback_scan_determinismE0ELb0ELb0ES3_N6thrust23THRUST_200600_302600_NS6detail15normal_iteratorINS9_10device_ptrIfEEEESE_fNS9_4plusIvEEfEEDaPvRmT3_T4_T5_mT6_P12ihipStream_tbENKUlT_T0_E_clISt17integral_constantIbLb0EEST_IbLb1EEEEDaSP_SQ_EUlSP_E0_NS1_11comp_targetILNS1_3genE10ELNS1_11target_archE1200ELNS1_3gpuE4ELNS1_3repE0EEENS1_30default_config_static_selectorELNS0_4arch9wavefront6targetE1EEEvT1_ ; -- Begin function _ZN7rocprim17ROCPRIM_400000_NS6detail17trampoline_kernelINS0_14default_configENS1_20scan_config_selectorIfEEZZNS1_9scan_implILNS1_25lookback_scan_determinismE0ELb0ELb0ES3_N6thrust23THRUST_200600_302600_NS6detail15normal_iteratorINS9_10device_ptrIfEEEESE_fNS9_4plusIvEEfEEDaPvRmT3_T4_T5_mT6_P12ihipStream_tbENKUlT_T0_E_clISt17integral_constantIbLb0EEST_IbLb1EEEEDaSP_SQ_EUlSP_E0_NS1_11comp_targetILNS1_3genE10ELNS1_11target_archE1200ELNS1_3gpuE4ELNS1_3repE0EEENS1_30default_config_static_selectorELNS0_4arch9wavefront6targetE1EEEvT1_
	.globl	_ZN7rocprim17ROCPRIM_400000_NS6detail17trampoline_kernelINS0_14default_configENS1_20scan_config_selectorIfEEZZNS1_9scan_implILNS1_25lookback_scan_determinismE0ELb0ELb0ES3_N6thrust23THRUST_200600_302600_NS6detail15normal_iteratorINS9_10device_ptrIfEEEESE_fNS9_4plusIvEEfEEDaPvRmT3_T4_T5_mT6_P12ihipStream_tbENKUlT_T0_E_clISt17integral_constantIbLb0EEST_IbLb1EEEEDaSP_SQ_EUlSP_E0_NS1_11comp_targetILNS1_3genE10ELNS1_11target_archE1200ELNS1_3gpuE4ELNS1_3repE0EEENS1_30default_config_static_selectorELNS0_4arch9wavefront6targetE1EEEvT1_
	.p2align	8
	.type	_ZN7rocprim17ROCPRIM_400000_NS6detail17trampoline_kernelINS0_14default_configENS1_20scan_config_selectorIfEEZZNS1_9scan_implILNS1_25lookback_scan_determinismE0ELb0ELb0ES3_N6thrust23THRUST_200600_302600_NS6detail15normal_iteratorINS9_10device_ptrIfEEEESE_fNS9_4plusIvEEfEEDaPvRmT3_T4_T5_mT6_P12ihipStream_tbENKUlT_T0_E_clISt17integral_constantIbLb0EEST_IbLb1EEEEDaSP_SQ_EUlSP_E0_NS1_11comp_targetILNS1_3genE10ELNS1_11target_archE1200ELNS1_3gpuE4ELNS1_3repE0EEENS1_30default_config_static_selectorELNS0_4arch9wavefront6targetE1EEEvT1_,@function
_ZN7rocprim17ROCPRIM_400000_NS6detail17trampoline_kernelINS0_14default_configENS1_20scan_config_selectorIfEEZZNS1_9scan_implILNS1_25lookback_scan_determinismE0ELb0ELb0ES3_N6thrust23THRUST_200600_302600_NS6detail15normal_iteratorINS9_10device_ptrIfEEEESE_fNS9_4plusIvEEfEEDaPvRmT3_T4_T5_mT6_P12ihipStream_tbENKUlT_T0_E_clISt17integral_constantIbLb0EEST_IbLb1EEEEDaSP_SQ_EUlSP_E0_NS1_11comp_targetILNS1_3genE10ELNS1_11target_archE1200ELNS1_3gpuE4ELNS1_3repE0EEENS1_30default_config_static_selectorELNS0_4arch9wavefront6targetE1EEEvT1_: ; @_ZN7rocprim17ROCPRIM_400000_NS6detail17trampoline_kernelINS0_14default_configENS1_20scan_config_selectorIfEEZZNS1_9scan_implILNS1_25lookback_scan_determinismE0ELb0ELb0ES3_N6thrust23THRUST_200600_302600_NS6detail15normal_iteratorINS9_10device_ptrIfEEEESE_fNS9_4plusIvEEfEEDaPvRmT3_T4_T5_mT6_P12ihipStream_tbENKUlT_T0_E_clISt17integral_constantIbLb0EEST_IbLb1EEEEDaSP_SQ_EUlSP_E0_NS1_11comp_targetILNS1_3genE10ELNS1_11target_archE1200ELNS1_3gpuE4ELNS1_3repE0EEENS1_30default_config_static_selectorELNS0_4arch9wavefront6targetE1EEEvT1_
; %bb.0:
	.section	.rodata,"a",@progbits
	.p2align	6, 0x0
	.amdhsa_kernel _ZN7rocprim17ROCPRIM_400000_NS6detail17trampoline_kernelINS0_14default_configENS1_20scan_config_selectorIfEEZZNS1_9scan_implILNS1_25lookback_scan_determinismE0ELb0ELb0ES3_N6thrust23THRUST_200600_302600_NS6detail15normal_iteratorINS9_10device_ptrIfEEEESE_fNS9_4plusIvEEfEEDaPvRmT3_T4_T5_mT6_P12ihipStream_tbENKUlT_T0_E_clISt17integral_constantIbLb0EEST_IbLb1EEEEDaSP_SQ_EUlSP_E0_NS1_11comp_targetILNS1_3genE10ELNS1_11target_archE1200ELNS1_3gpuE4ELNS1_3repE0EEENS1_30default_config_static_selectorELNS0_4arch9wavefront6targetE1EEEvT1_
		.amdhsa_group_segment_fixed_size 0
		.amdhsa_private_segment_fixed_size 0
		.amdhsa_kernarg_size 32
		.amdhsa_user_sgpr_count 6
		.amdhsa_user_sgpr_private_segment_buffer 1
		.amdhsa_user_sgpr_dispatch_ptr 0
		.amdhsa_user_sgpr_queue_ptr 0
		.amdhsa_user_sgpr_kernarg_segment_ptr 1
		.amdhsa_user_sgpr_dispatch_id 0
		.amdhsa_user_sgpr_flat_scratch_init 0
		.amdhsa_user_sgpr_kernarg_preload_length 0
		.amdhsa_user_sgpr_kernarg_preload_offset 0
		.amdhsa_user_sgpr_private_segment_size 0
		.amdhsa_uses_dynamic_stack 0
		.amdhsa_system_sgpr_private_segment_wavefront_offset 0
		.amdhsa_system_sgpr_workgroup_id_x 1
		.amdhsa_system_sgpr_workgroup_id_y 0
		.amdhsa_system_sgpr_workgroup_id_z 0
		.amdhsa_system_sgpr_workgroup_info 0
		.amdhsa_system_vgpr_workitem_id 0
		.amdhsa_next_free_vgpr 1
		.amdhsa_next_free_sgpr 0
		.amdhsa_accum_offset 4
		.amdhsa_reserve_vcc 0
		.amdhsa_reserve_flat_scratch 0
		.amdhsa_float_round_mode_32 0
		.amdhsa_float_round_mode_16_64 0
		.amdhsa_float_denorm_mode_32 3
		.amdhsa_float_denorm_mode_16_64 3
		.amdhsa_dx10_clamp 1
		.amdhsa_ieee_mode 1
		.amdhsa_fp16_overflow 0
		.amdhsa_tg_split 0
		.amdhsa_exception_fp_ieee_invalid_op 0
		.amdhsa_exception_fp_denorm_src 0
		.amdhsa_exception_fp_ieee_div_zero 0
		.amdhsa_exception_fp_ieee_overflow 0
		.amdhsa_exception_fp_ieee_underflow 0
		.amdhsa_exception_fp_ieee_inexact 0
		.amdhsa_exception_int_div_zero 0
	.end_amdhsa_kernel
	.section	.text._ZN7rocprim17ROCPRIM_400000_NS6detail17trampoline_kernelINS0_14default_configENS1_20scan_config_selectorIfEEZZNS1_9scan_implILNS1_25lookback_scan_determinismE0ELb0ELb0ES3_N6thrust23THRUST_200600_302600_NS6detail15normal_iteratorINS9_10device_ptrIfEEEESE_fNS9_4plusIvEEfEEDaPvRmT3_T4_T5_mT6_P12ihipStream_tbENKUlT_T0_E_clISt17integral_constantIbLb0EEST_IbLb1EEEEDaSP_SQ_EUlSP_E0_NS1_11comp_targetILNS1_3genE10ELNS1_11target_archE1200ELNS1_3gpuE4ELNS1_3repE0EEENS1_30default_config_static_selectorELNS0_4arch9wavefront6targetE1EEEvT1_,"axG",@progbits,_ZN7rocprim17ROCPRIM_400000_NS6detail17trampoline_kernelINS0_14default_configENS1_20scan_config_selectorIfEEZZNS1_9scan_implILNS1_25lookback_scan_determinismE0ELb0ELb0ES3_N6thrust23THRUST_200600_302600_NS6detail15normal_iteratorINS9_10device_ptrIfEEEESE_fNS9_4plusIvEEfEEDaPvRmT3_T4_T5_mT6_P12ihipStream_tbENKUlT_T0_E_clISt17integral_constantIbLb0EEST_IbLb1EEEEDaSP_SQ_EUlSP_E0_NS1_11comp_targetILNS1_3genE10ELNS1_11target_archE1200ELNS1_3gpuE4ELNS1_3repE0EEENS1_30default_config_static_selectorELNS0_4arch9wavefront6targetE1EEEvT1_,comdat
.Lfunc_end4355:
	.size	_ZN7rocprim17ROCPRIM_400000_NS6detail17trampoline_kernelINS0_14default_configENS1_20scan_config_selectorIfEEZZNS1_9scan_implILNS1_25lookback_scan_determinismE0ELb0ELb0ES3_N6thrust23THRUST_200600_302600_NS6detail15normal_iteratorINS9_10device_ptrIfEEEESE_fNS9_4plusIvEEfEEDaPvRmT3_T4_T5_mT6_P12ihipStream_tbENKUlT_T0_E_clISt17integral_constantIbLb0EEST_IbLb1EEEEDaSP_SQ_EUlSP_E0_NS1_11comp_targetILNS1_3genE10ELNS1_11target_archE1200ELNS1_3gpuE4ELNS1_3repE0EEENS1_30default_config_static_selectorELNS0_4arch9wavefront6targetE1EEEvT1_, .Lfunc_end4355-_ZN7rocprim17ROCPRIM_400000_NS6detail17trampoline_kernelINS0_14default_configENS1_20scan_config_selectorIfEEZZNS1_9scan_implILNS1_25lookback_scan_determinismE0ELb0ELb0ES3_N6thrust23THRUST_200600_302600_NS6detail15normal_iteratorINS9_10device_ptrIfEEEESE_fNS9_4plusIvEEfEEDaPvRmT3_T4_T5_mT6_P12ihipStream_tbENKUlT_T0_E_clISt17integral_constantIbLb0EEST_IbLb1EEEEDaSP_SQ_EUlSP_E0_NS1_11comp_targetILNS1_3genE10ELNS1_11target_archE1200ELNS1_3gpuE4ELNS1_3repE0EEENS1_30default_config_static_selectorELNS0_4arch9wavefront6targetE1EEEvT1_
                                        ; -- End function
	.section	.AMDGPU.csdata,"",@progbits
; Kernel info:
; codeLenInByte = 0
; NumSgprs: 4
; NumVgprs: 0
; NumAgprs: 0
; TotalNumVgprs: 0
; ScratchSize: 0
; MemoryBound: 0
; FloatMode: 240
; IeeeMode: 1
; LDSByteSize: 0 bytes/workgroup (compile time only)
; SGPRBlocks: 0
; VGPRBlocks: 0
; NumSGPRsForWavesPerEU: 4
; NumVGPRsForWavesPerEU: 1
; AccumOffset: 4
; Occupancy: 8
; WaveLimiterHint : 0
; COMPUTE_PGM_RSRC2:SCRATCH_EN: 0
; COMPUTE_PGM_RSRC2:USER_SGPR: 6
; COMPUTE_PGM_RSRC2:TRAP_HANDLER: 0
; COMPUTE_PGM_RSRC2:TGID_X_EN: 1
; COMPUTE_PGM_RSRC2:TGID_Y_EN: 0
; COMPUTE_PGM_RSRC2:TGID_Z_EN: 0
; COMPUTE_PGM_RSRC2:TIDIG_COMP_CNT: 0
; COMPUTE_PGM_RSRC3_GFX90A:ACCUM_OFFSET: 0
; COMPUTE_PGM_RSRC3_GFX90A:TG_SPLIT: 0
	.section	.text._ZN7rocprim17ROCPRIM_400000_NS6detail17trampoline_kernelINS0_14default_configENS1_20scan_config_selectorIfEEZZNS1_9scan_implILNS1_25lookback_scan_determinismE0ELb0ELb0ES3_N6thrust23THRUST_200600_302600_NS6detail15normal_iteratorINS9_10device_ptrIfEEEESE_fNS9_4plusIvEEfEEDaPvRmT3_T4_T5_mT6_P12ihipStream_tbENKUlT_T0_E_clISt17integral_constantIbLb0EEST_IbLb1EEEEDaSP_SQ_EUlSP_E0_NS1_11comp_targetILNS1_3genE9ELNS1_11target_archE1100ELNS1_3gpuE3ELNS1_3repE0EEENS1_30default_config_static_selectorELNS0_4arch9wavefront6targetE1EEEvT1_,"axG",@progbits,_ZN7rocprim17ROCPRIM_400000_NS6detail17trampoline_kernelINS0_14default_configENS1_20scan_config_selectorIfEEZZNS1_9scan_implILNS1_25lookback_scan_determinismE0ELb0ELb0ES3_N6thrust23THRUST_200600_302600_NS6detail15normal_iteratorINS9_10device_ptrIfEEEESE_fNS9_4plusIvEEfEEDaPvRmT3_T4_T5_mT6_P12ihipStream_tbENKUlT_T0_E_clISt17integral_constantIbLb0EEST_IbLb1EEEEDaSP_SQ_EUlSP_E0_NS1_11comp_targetILNS1_3genE9ELNS1_11target_archE1100ELNS1_3gpuE3ELNS1_3repE0EEENS1_30default_config_static_selectorELNS0_4arch9wavefront6targetE1EEEvT1_,comdat
	.protected	_ZN7rocprim17ROCPRIM_400000_NS6detail17trampoline_kernelINS0_14default_configENS1_20scan_config_selectorIfEEZZNS1_9scan_implILNS1_25lookback_scan_determinismE0ELb0ELb0ES3_N6thrust23THRUST_200600_302600_NS6detail15normal_iteratorINS9_10device_ptrIfEEEESE_fNS9_4plusIvEEfEEDaPvRmT3_T4_T5_mT6_P12ihipStream_tbENKUlT_T0_E_clISt17integral_constantIbLb0EEST_IbLb1EEEEDaSP_SQ_EUlSP_E0_NS1_11comp_targetILNS1_3genE9ELNS1_11target_archE1100ELNS1_3gpuE3ELNS1_3repE0EEENS1_30default_config_static_selectorELNS0_4arch9wavefront6targetE1EEEvT1_ ; -- Begin function _ZN7rocprim17ROCPRIM_400000_NS6detail17trampoline_kernelINS0_14default_configENS1_20scan_config_selectorIfEEZZNS1_9scan_implILNS1_25lookback_scan_determinismE0ELb0ELb0ES3_N6thrust23THRUST_200600_302600_NS6detail15normal_iteratorINS9_10device_ptrIfEEEESE_fNS9_4plusIvEEfEEDaPvRmT3_T4_T5_mT6_P12ihipStream_tbENKUlT_T0_E_clISt17integral_constantIbLb0EEST_IbLb1EEEEDaSP_SQ_EUlSP_E0_NS1_11comp_targetILNS1_3genE9ELNS1_11target_archE1100ELNS1_3gpuE3ELNS1_3repE0EEENS1_30default_config_static_selectorELNS0_4arch9wavefront6targetE1EEEvT1_
	.globl	_ZN7rocprim17ROCPRIM_400000_NS6detail17trampoline_kernelINS0_14default_configENS1_20scan_config_selectorIfEEZZNS1_9scan_implILNS1_25lookback_scan_determinismE0ELb0ELb0ES3_N6thrust23THRUST_200600_302600_NS6detail15normal_iteratorINS9_10device_ptrIfEEEESE_fNS9_4plusIvEEfEEDaPvRmT3_T4_T5_mT6_P12ihipStream_tbENKUlT_T0_E_clISt17integral_constantIbLb0EEST_IbLb1EEEEDaSP_SQ_EUlSP_E0_NS1_11comp_targetILNS1_3genE9ELNS1_11target_archE1100ELNS1_3gpuE3ELNS1_3repE0EEENS1_30default_config_static_selectorELNS0_4arch9wavefront6targetE1EEEvT1_
	.p2align	8
	.type	_ZN7rocprim17ROCPRIM_400000_NS6detail17trampoline_kernelINS0_14default_configENS1_20scan_config_selectorIfEEZZNS1_9scan_implILNS1_25lookback_scan_determinismE0ELb0ELb0ES3_N6thrust23THRUST_200600_302600_NS6detail15normal_iteratorINS9_10device_ptrIfEEEESE_fNS9_4plusIvEEfEEDaPvRmT3_T4_T5_mT6_P12ihipStream_tbENKUlT_T0_E_clISt17integral_constantIbLb0EEST_IbLb1EEEEDaSP_SQ_EUlSP_E0_NS1_11comp_targetILNS1_3genE9ELNS1_11target_archE1100ELNS1_3gpuE3ELNS1_3repE0EEENS1_30default_config_static_selectorELNS0_4arch9wavefront6targetE1EEEvT1_,@function
_ZN7rocprim17ROCPRIM_400000_NS6detail17trampoline_kernelINS0_14default_configENS1_20scan_config_selectorIfEEZZNS1_9scan_implILNS1_25lookback_scan_determinismE0ELb0ELb0ES3_N6thrust23THRUST_200600_302600_NS6detail15normal_iteratorINS9_10device_ptrIfEEEESE_fNS9_4plusIvEEfEEDaPvRmT3_T4_T5_mT6_P12ihipStream_tbENKUlT_T0_E_clISt17integral_constantIbLb0EEST_IbLb1EEEEDaSP_SQ_EUlSP_E0_NS1_11comp_targetILNS1_3genE9ELNS1_11target_archE1100ELNS1_3gpuE3ELNS1_3repE0EEENS1_30default_config_static_selectorELNS0_4arch9wavefront6targetE1EEEvT1_: ; @_ZN7rocprim17ROCPRIM_400000_NS6detail17trampoline_kernelINS0_14default_configENS1_20scan_config_selectorIfEEZZNS1_9scan_implILNS1_25lookback_scan_determinismE0ELb0ELb0ES3_N6thrust23THRUST_200600_302600_NS6detail15normal_iteratorINS9_10device_ptrIfEEEESE_fNS9_4plusIvEEfEEDaPvRmT3_T4_T5_mT6_P12ihipStream_tbENKUlT_T0_E_clISt17integral_constantIbLb0EEST_IbLb1EEEEDaSP_SQ_EUlSP_E0_NS1_11comp_targetILNS1_3genE9ELNS1_11target_archE1100ELNS1_3gpuE3ELNS1_3repE0EEENS1_30default_config_static_selectorELNS0_4arch9wavefront6targetE1EEEvT1_
; %bb.0:
	.section	.rodata,"a",@progbits
	.p2align	6, 0x0
	.amdhsa_kernel _ZN7rocprim17ROCPRIM_400000_NS6detail17trampoline_kernelINS0_14default_configENS1_20scan_config_selectorIfEEZZNS1_9scan_implILNS1_25lookback_scan_determinismE0ELb0ELb0ES3_N6thrust23THRUST_200600_302600_NS6detail15normal_iteratorINS9_10device_ptrIfEEEESE_fNS9_4plusIvEEfEEDaPvRmT3_T4_T5_mT6_P12ihipStream_tbENKUlT_T0_E_clISt17integral_constantIbLb0EEST_IbLb1EEEEDaSP_SQ_EUlSP_E0_NS1_11comp_targetILNS1_3genE9ELNS1_11target_archE1100ELNS1_3gpuE3ELNS1_3repE0EEENS1_30default_config_static_selectorELNS0_4arch9wavefront6targetE1EEEvT1_
		.amdhsa_group_segment_fixed_size 0
		.amdhsa_private_segment_fixed_size 0
		.amdhsa_kernarg_size 32
		.amdhsa_user_sgpr_count 6
		.amdhsa_user_sgpr_private_segment_buffer 1
		.amdhsa_user_sgpr_dispatch_ptr 0
		.amdhsa_user_sgpr_queue_ptr 0
		.amdhsa_user_sgpr_kernarg_segment_ptr 1
		.amdhsa_user_sgpr_dispatch_id 0
		.amdhsa_user_sgpr_flat_scratch_init 0
		.amdhsa_user_sgpr_kernarg_preload_length 0
		.amdhsa_user_sgpr_kernarg_preload_offset 0
		.amdhsa_user_sgpr_private_segment_size 0
		.amdhsa_uses_dynamic_stack 0
		.amdhsa_system_sgpr_private_segment_wavefront_offset 0
		.amdhsa_system_sgpr_workgroup_id_x 1
		.amdhsa_system_sgpr_workgroup_id_y 0
		.amdhsa_system_sgpr_workgroup_id_z 0
		.amdhsa_system_sgpr_workgroup_info 0
		.amdhsa_system_vgpr_workitem_id 0
		.amdhsa_next_free_vgpr 1
		.amdhsa_next_free_sgpr 0
		.amdhsa_accum_offset 4
		.amdhsa_reserve_vcc 0
		.amdhsa_reserve_flat_scratch 0
		.amdhsa_float_round_mode_32 0
		.amdhsa_float_round_mode_16_64 0
		.amdhsa_float_denorm_mode_32 3
		.amdhsa_float_denorm_mode_16_64 3
		.amdhsa_dx10_clamp 1
		.amdhsa_ieee_mode 1
		.amdhsa_fp16_overflow 0
		.amdhsa_tg_split 0
		.amdhsa_exception_fp_ieee_invalid_op 0
		.amdhsa_exception_fp_denorm_src 0
		.amdhsa_exception_fp_ieee_div_zero 0
		.amdhsa_exception_fp_ieee_overflow 0
		.amdhsa_exception_fp_ieee_underflow 0
		.amdhsa_exception_fp_ieee_inexact 0
		.amdhsa_exception_int_div_zero 0
	.end_amdhsa_kernel
	.section	.text._ZN7rocprim17ROCPRIM_400000_NS6detail17trampoline_kernelINS0_14default_configENS1_20scan_config_selectorIfEEZZNS1_9scan_implILNS1_25lookback_scan_determinismE0ELb0ELb0ES3_N6thrust23THRUST_200600_302600_NS6detail15normal_iteratorINS9_10device_ptrIfEEEESE_fNS9_4plusIvEEfEEDaPvRmT3_T4_T5_mT6_P12ihipStream_tbENKUlT_T0_E_clISt17integral_constantIbLb0EEST_IbLb1EEEEDaSP_SQ_EUlSP_E0_NS1_11comp_targetILNS1_3genE9ELNS1_11target_archE1100ELNS1_3gpuE3ELNS1_3repE0EEENS1_30default_config_static_selectorELNS0_4arch9wavefront6targetE1EEEvT1_,"axG",@progbits,_ZN7rocprim17ROCPRIM_400000_NS6detail17trampoline_kernelINS0_14default_configENS1_20scan_config_selectorIfEEZZNS1_9scan_implILNS1_25lookback_scan_determinismE0ELb0ELb0ES3_N6thrust23THRUST_200600_302600_NS6detail15normal_iteratorINS9_10device_ptrIfEEEESE_fNS9_4plusIvEEfEEDaPvRmT3_T4_T5_mT6_P12ihipStream_tbENKUlT_T0_E_clISt17integral_constantIbLb0EEST_IbLb1EEEEDaSP_SQ_EUlSP_E0_NS1_11comp_targetILNS1_3genE9ELNS1_11target_archE1100ELNS1_3gpuE3ELNS1_3repE0EEENS1_30default_config_static_selectorELNS0_4arch9wavefront6targetE1EEEvT1_,comdat
.Lfunc_end4356:
	.size	_ZN7rocprim17ROCPRIM_400000_NS6detail17trampoline_kernelINS0_14default_configENS1_20scan_config_selectorIfEEZZNS1_9scan_implILNS1_25lookback_scan_determinismE0ELb0ELb0ES3_N6thrust23THRUST_200600_302600_NS6detail15normal_iteratorINS9_10device_ptrIfEEEESE_fNS9_4plusIvEEfEEDaPvRmT3_T4_T5_mT6_P12ihipStream_tbENKUlT_T0_E_clISt17integral_constantIbLb0EEST_IbLb1EEEEDaSP_SQ_EUlSP_E0_NS1_11comp_targetILNS1_3genE9ELNS1_11target_archE1100ELNS1_3gpuE3ELNS1_3repE0EEENS1_30default_config_static_selectorELNS0_4arch9wavefront6targetE1EEEvT1_, .Lfunc_end4356-_ZN7rocprim17ROCPRIM_400000_NS6detail17trampoline_kernelINS0_14default_configENS1_20scan_config_selectorIfEEZZNS1_9scan_implILNS1_25lookback_scan_determinismE0ELb0ELb0ES3_N6thrust23THRUST_200600_302600_NS6detail15normal_iteratorINS9_10device_ptrIfEEEESE_fNS9_4plusIvEEfEEDaPvRmT3_T4_T5_mT6_P12ihipStream_tbENKUlT_T0_E_clISt17integral_constantIbLb0EEST_IbLb1EEEEDaSP_SQ_EUlSP_E0_NS1_11comp_targetILNS1_3genE9ELNS1_11target_archE1100ELNS1_3gpuE3ELNS1_3repE0EEENS1_30default_config_static_selectorELNS0_4arch9wavefront6targetE1EEEvT1_
                                        ; -- End function
	.section	.AMDGPU.csdata,"",@progbits
; Kernel info:
; codeLenInByte = 0
; NumSgprs: 4
; NumVgprs: 0
; NumAgprs: 0
; TotalNumVgprs: 0
; ScratchSize: 0
; MemoryBound: 0
; FloatMode: 240
; IeeeMode: 1
; LDSByteSize: 0 bytes/workgroup (compile time only)
; SGPRBlocks: 0
; VGPRBlocks: 0
; NumSGPRsForWavesPerEU: 4
; NumVGPRsForWavesPerEU: 1
; AccumOffset: 4
; Occupancy: 8
; WaveLimiterHint : 0
; COMPUTE_PGM_RSRC2:SCRATCH_EN: 0
; COMPUTE_PGM_RSRC2:USER_SGPR: 6
; COMPUTE_PGM_RSRC2:TRAP_HANDLER: 0
; COMPUTE_PGM_RSRC2:TGID_X_EN: 1
; COMPUTE_PGM_RSRC2:TGID_Y_EN: 0
; COMPUTE_PGM_RSRC2:TGID_Z_EN: 0
; COMPUTE_PGM_RSRC2:TIDIG_COMP_CNT: 0
; COMPUTE_PGM_RSRC3_GFX90A:ACCUM_OFFSET: 0
; COMPUTE_PGM_RSRC3_GFX90A:TG_SPLIT: 0
	.section	.text._ZN7rocprim17ROCPRIM_400000_NS6detail17trampoline_kernelINS0_14default_configENS1_20scan_config_selectorIfEEZZNS1_9scan_implILNS1_25lookback_scan_determinismE0ELb0ELb0ES3_N6thrust23THRUST_200600_302600_NS6detail15normal_iteratorINS9_10device_ptrIfEEEESE_fNS9_4plusIvEEfEEDaPvRmT3_T4_T5_mT6_P12ihipStream_tbENKUlT_T0_E_clISt17integral_constantIbLb0EEST_IbLb1EEEEDaSP_SQ_EUlSP_E0_NS1_11comp_targetILNS1_3genE8ELNS1_11target_archE1030ELNS1_3gpuE2ELNS1_3repE0EEENS1_30default_config_static_selectorELNS0_4arch9wavefront6targetE1EEEvT1_,"axG",@progbits,_ZN7rocprim17ROCPRIM_400000_NS6detail17trampoline_kernelINS0_14default_configENS1_20scan_config_selectorIfEEZZNS1_9scan_implILNS1_25lookback_scan_determinismE0ELb0ELb0ES3_N6thrust23THRUST_200600_302600_NS6detail15normal_iteratorINS9_10device_ptrIfEEEESE_fNS9_4plusIvEEfEEDaPvRmT3_T4_T5_mT6_P12ihipStream_tbENKUlT_T0_E_clISt17integral_constantIbLb0EEST_IbLb1EEEEDaSP_SQ_EUlSP_E0_NS1_11comp_targetILNS1_3genE8ELNS1_11target_archE1030ELNS1_3gpuE2ELNS1_3repE0EEENS1_30default_config_static_selectorELNS0_4arch9wavefront6targetE1EEEvT1_,comdat
	.protected	_ZN7rocprim17ROCPRIM_400000_NS6detail17trampoline_kernelINS0_14default_configENS1_20scan_config_selectorIfEEZZNS1_9scan_implILNS1_25lookback_scan_determinismE0ELb0ELb0ES3_N6thrust23THRUST_200600_302600_NS6detail15normal_iteratorINS9_10device_ptrIfEEEESE_fNS9_4plusIvEEfEEDaPvRmT3_T4_T5_mT6_P12ihipStream_tbENKUlT_T0_E_clISt17integral_constantIbLb0EEST_IbLb1EEEEDaSP_SQ_EUlSP_E0_NS1_11comp_targetILNS1_3genE8ELNS1_11target_archE1030ELNS1_3gpuE2ELNS1_3repE0EEENS1_30default_config_static_selectorELNS0_4arch9wavefront6targetE1EEEvT1_ ; -- Begin function _ZN7rocprim17ROCPRIM_400000_NS6detail17trampoline_kernelINS0_14default_configENS1_20scan_config_selectorIfEEZZNS1_9scan_implILNS1_25lookback_scan_determinismE0ELb0ELb0ES3_N6thrust23THRUST_200600_302600_NS6detail15normal_iteratorINS9_10device_ptrIfEEEESE_fNS9_4plusIvEEfEEDaPvRmT3_T4_T5_mT6_P12ihipStream_tbENKUlT_T0_E_clISt17integral_constantIbLb0EEST_IbLb1EEEEDaSP_SQ_EUlSP_E0_NS1_11comp_targetILNS1_3genE8ELNS1_11target_archE1030ELNS1_3gpuE2ELNS1_3repE0EEENS1_30default_config_static_selectorELNS0_4arch9wavefront6targetE1EEEvT1_
	.globl	_ZN7rocprim17ROCPRIM_400000_NS6detail17trampoline_kernelINS0_14default_configENS1_20scan_config_selectorIfEEZZNS1_9scan_implILNS1_25lookback_scan_determinismE0ELb0ELb0ES3_N6thrust23THRUST_200600_302600_NS6detail15normal_iteratorINS9_10device_ptrIfEEEESE_fNS9_4plusIvEEfEEDaPvRmT3_T4_T5_mT6_P12ihipStream_tbENKUlT_T0_E_clISt17integral_constantIbLb0EEST_IbLb1EEEEDaSP_SQ_EUlSP_E0_NS1_11comp_targetILNS1_3genE8ELNS1_11target_archE1030ELNS1_3gpuE2ELNS1_3repE0EEENS1_30default_config_static_selectorELNS0_4arch9wavefront6targetE1EEEvT1_
	.p2align	8
	.type	_ZN7rocprim17ROCPRIM_400000_NS6detail17trampoline_kernelINS0_14default_configENS1_20scan_config_selectorIfEEZZNS1_9scan_implILNS1_25lookback_scan_determinismE0ELb0ELb0ES3_N6thrust23THRUST_200600_302600_NS6detail15normal_iteratorINS9_10device_ptrIfEEEESE_fNS9_4plusIvEEfEEDaPvRmT3_T4_T5_mT6_P12ihipStream_tbENKUlT_T0_E_clISt17integral_constantIbLb0EEST_IbLb1EEEEDaSP_SQ_EUlSP_E0_NS1_11comp_targetILNS1_3genE8ELNS1_11target_archE1030ELNS1_3gpuE2ELNS1_3repE0EEENS1_30default_config_static_selectorELNS0_4arch9wavefront6targetE1EEEvT1_,@function
_ZN7rocprim17ROCPRIM_400000_NS6detail17trampoline_kernelINS0_14default_configENS1_20scan_config_selectorIfEEZZNS1_9scan_implILNS1_25lookback_scan_determinismE0ELb0ELb0ES3_N6thrust23THRUST_200600_302600_NS6detail15normal_iteratorINS9_10device_ptrIfEEEESE_fNS9_4plusIvEEfEEDaPvRmT3_T4_T5_mT6_P12ihipStream_tbENKUlT_T0_E_clISt17integral_constantIbLb0EEST_IbLb1EEEEDaSP_SQ_EUlSP_E0_NS1_11comp_targetILNS1_3genE8ELNS1_11target_archE1030ELNS1_3gpuE2ELNS1_3repE0EEENS1_30default_config_static_selectorELNS0_4arch9wavefront6targetE1EEEvT1_: ; @_ZN7rocprim17ROCPRIM_400000_NS6detail17trampoline_kernelINS0_14default_configENS1_20scan_config_selectorIfEEZZNS1_9scan_implILNS1_25lookback_scan_determinismE0ELb0ELb0ES3_N6thrust23THRUST_200600_302600_NS6detail15normal_iteratorINS9_10device_ptrIfEEEESE_fNS9_4plusIvEEfEEDaPvRmT3_T4_T5_mT6_P12ihipStream_tbENKUlT_T0_E_clISt17integral_constantIbLb0EEST_IbLb1EEEEDaSP_SQ_EUlSP_E0_NS1_11comp_targetILNS1_3genE8ELNS1_11target_archE1030ELNS1_3gpuE2ELNS1_3repE0EEENS1_30default_config_static_selectorELNS0_4arch9wavefront6targetE1EEEvT1_
; %bb.0:
	.section	.rodata,"a",@progbits
	.p2align	6, 0x0
	.amdhsa_kernel _ZN7rocprim17ROCPRIM_400000_NS6detail17trampoline_kernelINS0_14default_configENS1_20scan_config_selectorIfEEZZNS1_9scan_implILNS1_25lookback_scan_determinismE0ELb0ELb0ES3_N6thrust23THRUST_200600_302600_NS6detail15normal_iteratorINS9_10device_ptrIfEEEESE_fNS9_4plusIvEEfEEDaPvRmT3_T4_T5_mT6_P12ihipStream_tbENKUlT_T0_E_clISt17integral_constantIbLb0EEST_IbLb1EEEEDaSP_SQ_EUlSP_E0_NS1_11comp_targetILNS1_3genE8ELNS1_11target_archE1030ELNS1_3gpuE2ELNS1_3repE0EEENS1_30default_config_static_selectorELNS0_4arch9wavefront6targetE1EEEvT1_
		.amdhsa_group_segment_fixed_size 0
		.amdhsa_private_segment_fixed_size 0
		.amdhsa_kernarg_size 32
		.amdhsa_user_sgpr_count 6
		.amdhsa_user_sgpr_private_segment_buffer 1
		.amdhsa_user_sgpr_dispatch_ptr 0
		.amdhsa_user_sgpr_queue_ptr 0
		.amdhsa_user_sgpr_kernarg_segment_ptr 1
		.amdhsa_user_sgpr_dispatch_id 0
		.amdhsa_user_sgpr_flat_scratch_init 0
		.amdhsa_user_sgpr_kernarg_preload_length 0
		.amdhsa_user_sgpr_kernarg_preload_offset 0
		.amdhsa_user_sgpr_private_segment_size 0
		.amdhsa_uses_dynamic_stack 0
		.amdhsa_system_sgpr_private_segment_wavefront_offset 0
		.amdhsa_system_sgpr_workgroup_id_x 1
		.amdhsa_system_sgpr_workgroup_id_y 0
		.amdhsa_system_sgpr_workgroup_id_z 0
		.amdhsa_system_sgpr_workgroup_info 0
		.amdhsa_system_vgpr_workitem_id 0
		.amdhsa_next_free_vgpr 1
		.amdhsa_next_free_sgpr 0
		.amdhsa_accum_offset 4
		.amdhsa_reserve_vcc 0
		.amdhsa_reserve_flat_scratch 0
		.amdhsa_float_round_mode_32 0
		.amdhsa_float_round_mode_16_64 0
		.amdhsa_float_denorm_mode_32 3
		.amdhsa_float_denorm_mode_16_64 3
		.amdhsa_dx10_clamp 1
		.amdhsa_ieee_mode 1
		.amdhsa_fp16_overflow 0
		.amdhsa_tg_split 0
		.amdhsa_exception_fp_ieee_invalid_op 0
		.amdhsa_exception_fp_denorm_src 0
		.amdhsa_exception_fp_ieee_div_zero 0
		.amdhsa_exception_fp_ieee_overflow 0
		.amdhsa_exception_fp_ieee_underflow 0
		.amdhsa_exception_fp_ieee_inexact 0
		.amdhsa_exception_int_div_zero 0
	.end_amdhsa_kernel
	.section	.text._ZN7rocprim17ROCPRIM_400000_NS6detail17trampoline_kernelINS0_14default_configENS1_20scan_config_selectorIfEEZZNS1_9scan_implILNS1_25lookback_scan_determinismE0ELb0ELb0ES3_N6thrust23THRUST_200600_302600_NS6detail15normal_iteratorINS9_10device_ptrIfEEEESE_fNS9_4plusIvEEfEEDaPvRmT3_T4_T5_mT6_P12ihipStream_tbENKUlT_T0_E_clISt17integral_constantIbLb0EEST_IbLb1EEEEDaSP_SQ_EUlSP_E0_NS1_11comp_targetILNS1_3genE8ELNS1_11target_archE1030ELNS1_3gpuE2ELNS1_3repE0EEENS1_30default_config_static_selectorELNS0_4arch9wavefront6targetE1EEEvT1_,"axG",@progbits,_ZN7rocprim17ROCPRIM_400000_NS6detail17trampoline_kernelINS0_14default_configENS1_20scan_config_selectorIfEEZZNS1_9scan_implILNS1_25lookback_scan_determinismE0ELb0ELb0ES3_N6thrust23THRUST_200600_302600_NS6detail15normal_iteratorINS9_10device_ptrIfEEEESE_fNS9_4plusIvEEfEEDaPvRmT3_T4_T5_mT6_P12ihipStream_tbENKUlT_T0_E_clISt17integral_constantIbLb0EEST_IbLb1EEEEDaSP_SQ_EUlSP_E0_NS1_11comp_targetILNS1_3genE8ELNS1_11target_archE1030ELNS1_3gpuE2ELNS1_3repE0EEENS1_30default_config_static_selectorELNS0_4arch9wavefront6targetE1EEEvT1_,comdat
.Lfunc_end4357:
	.size	_ZN7rocprim17ROCPRIM_400000_NS6detail17trampoline_kernelINS0_14default_configENS1_20scan_config_selectorIfEEZZNS1_9scan_implILNS1_25lookback_scan_determinismE0ELb0ELb0ES3_N6thrust23THRUST_200600_302600_NS6detail15normal_iteratorINS9_10device_ptrIfEEEESE_fNS9_4plusIvEEfEEDaPvRmT3_T4_T5_mT6_P12ihipStream_tbENKUlT_T0_E_clISt17integral_constantIbLb0EEST_IbLb1EEEEDaSP_SQ_EUlSP_E0_NS1_11comp_targetILNS1_3genE8ELNS1_11target_archE1030ELNS1_3gpuE2ELNS1_3repE0EEENS1_30default_config_static_selectorELNS0_4arch9wavefront6targetE1EEEvT1_, .Lfunc_end4357-_ZN7rocprim17ROCPRIM_400000_NS6detail17trampoline_kernelINS0_14default_configENS1_20scan_config_selectorIfEEZZNS1_9scan_implILNS1_25lookback_scan_determinismE0ELb0ELb0ES3_N6thrust23THRUST_200600_302600_NS6detail15normal_iteratorINS9_10device_ptrIfEEEESE_fNS9_4plusIvEEfEEDaPvRmT3_T4_T5_mT6_P12ihipStream_tbENKUlT_T0_E_clISt17integral_constantIbLb0EEST_IbLb1EEEEDaSP_SQ_EUlSP_E0_NS1_11comp_targetILNS1_3genE8ELNS1_11target_archE1030ELNS1_3gpuE2ELNS1_3repE0EEENS1_30default_config_static_selectorELNS0_4arch9wavefront6targetE1EEEvT1_
                                        ; -- End function
	.section	.AMDGPU.csdata,"",@progbits
; Kernel info:
; codeLenInByte = 0
; NumSgprs: 4
; NumVgprs: 0
; NumAgprs: 0
; TotalNumVgprs: 0
; ScratchSize: 0
; MemoryBound: 0
; FloatMode: 240
; IeeeMode: 1
; LDSByteSize: 0 bytes/workgroup (compile time only)
; SGPRBlocks: 0
; VGPRBlocks: 0
; NumSGPRsForWavesPerEU: 4
; NumVGPRsForWavesPerEU: 1
; AccumOffset: 4
; Occupancy: 8
; WaveLimiterHint : 0
; COMPUTE_PGM_RSRC2:SCRATCH_EN: 0
; COMPUTE_PGM_RSRC2:USER_SGPR: 6
; COMPUTE_PGM_RSRC2:TRAP_HANDLER: 0
; COMPUTE_PGM_RSRC2:TGID_X_EN: 1
; COMPUTE_PGM_RSRC2:TGID_Y_EN: 0
; COMPUTE_PGM_RSRC2:TGID_Z_EN: 0
; COMPUTE_PGM_RSRC2:TIDIG_COMP_CNT: 0
; COMPUTE_PGM_RSRC3_GFX90A:ACCUM_OFFSET: 0
; COMPUTE_PGM_RSRC3_GFX90A:TG_SPLIT: 0
	.section	.text._ZN7rocprim17ROCPRIM_400000_NS6detail17trampoline_kernelINS0_14default_configENS1_20scan_config_selectorIfEEZZNS1_9scan_implILNS1_25lookback_scan_determinismE0ELb1ELb1ES3_N6thrust23THRUST_200600_302600_NS6detail15normal_iteratorINS9_10device_ptrIfEEEESE_fNS9_4plusIvEEfEEDaPvRmT3_T4_T5_mT6_P12ihipStream_tbENKUlT_T0_E_clISt17integral_constantIbLb0EESU_EEDaSP_SQ_EUlSP_E_NS1_11comp_targetILNS1_3genE0ELNS1_11target_archE4294967295ELNS1_3gpuE0ELNS1_3repE0EEENS1_30default_config_static_selectorELNS0_4arch9wavefront6targetE1EEEvT1_,"axG",@progbits,_ZN7rocprim17ROCPRIM_400000_NS6detail17trampoline_kernelINS0_14default_configENS1_20scan_config_selectorIfEEZZNS1_9scan_implILNS1_25lookback_scan_determinismE0ELb1ELb1ES3_N6thrust23THRUST_200600_302600_NS6detail15normal_iteratorINS9_10device_ptrIfEEEESE_fNS9_4plusIvEEfEEDaPvRmT3_T4_T5_mT6_P12ihipStream_tbENKUlT_T0_E_clISt17integral_constantIbLb0EESU_EEDaSP_SQ_EUlSP_E_NS1_11comp_targetILNS1_3genE0ELNS1_11target_archE4294967295ELNS1_3gpuE0ELNS1_3repE0EEENS1_30default_config_static_selectorELNS0_4arch9wavefront6targetE1EEEvT1_,comdat
	.protected	_ZN7rocprim17ROCPRIM_400000_NS6detail17trampoline_kernelINS0_14default_configENS1_20scan_config_selectorIfEEZZNS1_9scan_implILNS1_25lookback_scan_determinismE0ELb1ELb1ES3_N6thrust23THRUST_200600_302600_NS6detail15normal_iteratorINS9_10device_ptrIfEEEESE_fNS9_4plusIvEEfEEDaPvRmT3_T4_T5_mT6_P12ihipStream_tbENKUlT_T0_E_clISt17integral_constantIbLb0EESU_EEDaSP_SQ_EUlSP_E_NS1_11comp_targetILNS1_3genE0ELNS1_11target_archE4294967295ELNS1_3gpuE0ELNS1_3repE0EEENS1_30default_config_static_selectorELNS0_4arch9wavefront6targetE1EEEvT1_ ; -- Begin function _ZN7rocprim17ROCPRIM_400000_NS6detail17trampoline_kernelINS0_14default_configENS1_20scan_config_selectorIfEEZZNS1_9scan_implILNS1_25lookback_scan_determinismE0ELb1ELb1ES3_N6thrust23THRUST_200600_302600_NS6detail15normal_iteratorINS9_10device_ptrIfEEEESE_fNS9_4plusIvEEfEEDaPvRmT3_T4_T5_mT6_P12ihipStream_tbENKUlT_T0_E_clISt17integral_constantIbLb0EESU_EEDaSP_SQ_EUlSP_E_NS1_11comp_targetILNS1_3genE0ELNS1_11target_archE4294967295ELNS1_3gpuE0ELNS1_3repE0EEENS1_30default_config_static_selectorELNS0_4arch9wavefront6targetE1EEEvT1_
	.globl	_ZN7rocprim17ROCPRIM_400000_NS6detail17trampoline_kernelINS0_14default_configENS1_20scan_config_selectorIfEEZZNS1_9scan_implILNS1_25lookback_scan_determinismE0ELb1ELb1ES3_N6thrust23THRUST_200600_302600_NS6detail15normal_iteratorINS9_10device_ptrIfEEEESE_fNS9_4plusIvEEfEEDaPvRmT3_T4_T5_mT6_P12ihipStream_tbENKUlT_T0_E_clISt17integral_constantIbLb0EESU_EEDaSP_SQ_EUlSP_E_NS1_11comp_targetILNS1_3genE0ELNS1_11target_archE4294967295ELNS1_3gpuE0ELNS1_3repE0EEENS1_30default_config_static_selectorELNS0_4arch9wavefront6targetE1EEEvT1_
	.p2align	8
	.type	_ZN7rocprim17ROCPRIM_400000_NS6detail17trampoline_kernelINS0_14default_configENS1_20scan_config_selectorIfEEZZNS1_9scan_implILNS1_25lookback_scan_determinismE0ELb1ELb1ES3_N6thrust23THRUST_200600_302600_NS6detail15normal_iteratorINS9_10device_ptrIfEEEESE_fNS9_4plusIvEEfEEDaPvRmT3_T4_T5_mT6_P12ihipStream_tbENKUlT_T0_E_clISt17integral_constantIbLb0EESU_EEDaSP_SQ_EUlSP_E_NS1_11comp_targetILNS1_3genE0ELNS1_11target_archE4294967295ELNS1_3gpuE0ELNS1_3repE0EEENS1_30default_config_static_selectorELNS0_4arch9wavefront6targetE1EEEvT1_,@function
_ZN7rocprim17ROCPRIM_400000_NS6detail17trampoline_kernelINS0_14default_configENS1_20scan_config_selectorIfEEZZNS1_9scan_implILNS1_25lookback_scan_determinismE0ELb1ELb1ES3_N6thrust23THRUST_200600_302600_NS6detail15normal_iteratorINS9_10device_ptrIfEEEESE_fNS9_4plusIvEEfEEDaPvRmT3_T4_T5_mT6_P12ihipStream_tbENKUlT_T0_E_clISt17integral_constantIbLb0EESU_EEDaSP_SQ_EUlSP_E_NS1_11comp_targetILNS1_3genE0ELNS1_11target_archE4294967295ELNS1_3gpuE0ELNS1_3repE0EEENS1_30default_config_static_selectorELNS0_4arch9wavefront6targetE1EEEvT1_: ; @_ZN7rocprim17ROCPRIM_400000_NS6detail17trampoline_kernelINS0_14default_configENS1_20scan_config_selectorIfEEZZNS1_9scan_implILNS1_25lookback_scan_determinismE0ELb1ELb1ES3_N6thrust23THRUST_200600_302600_NS6detail15normal_iteratorINS9_10device_ptrIfEEEESE_fNS9_4plusIvEEfEEDaPvRmT3_T4_T5_mT6_P12ihipStream_tbENKUlT_T0_E_clISt17integral_constantIbLb0EESU_EEDaSP_SQ_EUlSP_E_NS1_11comp_targetILNS1_3genE0ELNS1_11target_archE4294967295ELNS1_3gpuE0ELNS1_3repE0EEENS1_30default_config_static_selectorELNS0_4arch9wavefront6targetE1EEEvT1_
; %bb.0:
	.section	.rodata,"a",@progbits
	.p2align	6, 0x0
	.amdhsa_kernel _ZN7rocprim17ROCPRIM_400000_NS6detail17trampoline_kernelINS0_14default_configENS1_20scan_config_selectorIfEEZZNS1_9scan_implILNS1_25lookback_scan_determinismE0ELb1ELb1ES3_N6thrust23THRUST_200600_302600_NS6detail15normal_iteratorINS9_10device_ptrIfEEEESE_fNS9_4plusIvEEfEEDaPvRmT3_T4_T5_mT6_P12ihipStream_tbENKUlT_T0_E_clISt17integral_constantIbLb0EESU_EEDaSP_SQ_EUlSP_E_NS1_11comp_targetILNS1_3genE0ELNS1_11target_archE4294967295ELNS1_3gpuE0ELNS1_3repE0EEENS1_30default_config_static_selectorELNS0_4arch9wavefront6targetE1EEEvT1_
		.amdhsa_group_segment_fixed_size 0
		.amdhsa_private_segment_fixed_size 0
		.amdhsa_kernarg_size 96
		.amdhsa_user_sgpr_count 6
		.amdhsa_user_sgpr_private_segment_buffer 1
		.amdhsa_user_sgpr_dispatch_ptr 0
		.amdhsa_user_sgpr_queue_ptr 0
		.amdhsa_user_sgpr_kernarg_segment_ptr 1
		.amdhsa_user_sgpr_dispatch_id 0
		.amdhsa_user_sgpr_flat_scratch_init 0
		.amdhsa_user_sgpr_kernarg_preload_length 0
		.amdhsa_user_sgpr_kernarg_preload_offset 0
		.amdhsa_user_sgpr_private_segment_size 0
		.amdhsa_uses_dynamic_stack 0
		.amdhsa_system_sgpr_private_segment_wavefront_offset 0
		.amdhsa_system_sgpr_workgroup_id_x 1
		.amdhsa_system_sgpr_workgroup_id_y 0
		.amdhsa_system_sgpr_workgroup_id_z 0
		.amdhsa_system_sgpr_workgroup_info 0
		.amdhsa_system_vgpr_workitem_id 0
		.amdhsa_next_free_vgpr 1
		.amdhsa_next_free_sgpr 0
		.amdhsa_accum_offset 4
		.amdhsa_reserve_vcc 0
		.amdhsa_reserve_flat_scratch 0
		.amdhsa_float_round_mode_32 0
		.amdhsa_float_round_mode_16_64 0
		.amdhsa_float_denorm_mode_32 3
		.amdhsa_float_denorm_mode_16_64 3
		.amdhsa_dx10_clamp 1
		.amdhsa_ieee_mode 1
		.amdhsa_fp16_overflow 0
		.amdhsa_tg_split 0
		.amdhsa_exception_fp_ieee_invalid_op 0
		.amdhsa_exception_fp_denorm_src 0
		.amdhsa_exception_fp_ieee_div_zero 0
		.amdhsa_exception_fp_ieee_overflow 0
		.amdhsa_exception_fp_ieee_underflow 0
		.amdhsa_exception_fp_ieee_inexact 0
		.amdhsa_exception_int_div_zero 0
	.end_amdhsa_kernel
	.section	.text._ZN7rocprim17ROCPRIM_400000_NS6detail17trampoline_kernelINS0_14default_configENS1_20scan_config_selectorIfEEZZNS1_9scan_implILNS1_25lookback_scan_determinismE0ELb1ELb1ES3_N6thrust23THRUST_200600_302600_NS6detail15normal_iteratorINS9_10device_ptrIfEEEESE_fNS9_4plusIvEEfEEDaPvRmT3_T4_T5_mT6_P12ihipStream_tbENKUlT_T0_E_clISt17integral_constantIbLb0EESU_EEDaSP_SQ_EUlSP_E_NS1_11comp_targetILNS1_3genE0ELNS1_11target_archE4294967295ELNS1_3gpuE0ELNS1_3repE0EEENS1_30default_config_static_selectorELNS0_4arch9wavefront6targetE1EEEvT1_,"axG",@progbits,_ZN7rocprim17ROCPRIM_400000_NS6detail17trampoline_kernelINS0_14default_configENS1_20scan_config_selectorIfEEZZNS1_9scan_implILNS1_25lookback_scan_determinismE0ELb1ELb1ES3_N6thrust23THRUST_200600_302600_NS6detail15normal_iteratorINS9_10device_ptrIfEEEESE_fNS9_4plusIvEEfEEDaPvRmT3_T4_T5_mT6_P12ihipStream_tbENKUlT_T0_E_clISt17integral_constantIbLb0EESU_EEDaSP_SQ_EUlSP_E_NS1_11comp_targetILNS1_3genE0ELNS1_11target_archE4294967295ELNS1_3gpuE0ELNS1_3repE0EEENS1_30default_config_static_selectorELNS0_4arch9wavefront6targetE1EEEvT1_,comdat
.Lfunc_end4358:
	.size	_ZN7rocprim17ROCPRIM_400000_NS6detail17trampoline_kernelINS0_14default_configENS1_20scan_config_selectorIfEEZZNS1_9scan_implILNS1_25lookback_scan_determinismE0ELb1ELb1ES3_N6thrust23THRUST_200600_302600_NS6detail15normal_iteratorINS9_10device_ptrIfEEEESE_fNS9_4plusIvEEfEEDaPvRmT3_T4_T5_mT6_P12ihipStream_tbENKUlT_T0_E_clISt17integral_constantIbLb0EESU_EEDaSP_SQ_EUlSP_E_NS1_11comp_targetILNS1_3genE0ELNS1_11target_archE4294967295ELNS1_3gpuE0ELNS1_3repE0EEENS1_30default_config_static_selectorELNS0_4arch9wavefront6targetE1EEEvT1_, .Lfunc_end4358-_ZN7rocprim17ROCPRIM_400000_NS6detail17trampoline_kernelINS0_14default_configENS1_20scan_config_selectorIfEEZZNS1_9scan_implILNS1_25lookback_scan_determinismE0ELb1ELb1ES3_N6thrust23THRUST_200600_302600_NS6detail15normal_iteratorINS9_10device_ptrIfEEEESE_fNS9_4plusIvEEfEEDaPvRmT3_T4_T5_mT6_P12ihipStream_tbENKUlT_T0_E_clISt17integral_constantIbLb0EESU_EEDaSP_SQ_EUlSP_E_NS1_11comp_targetILNS1_3genE0ELNS1_11target_archE4294967295ELNS1_3gpuE0ELNS1_3repE0EEENS1_30default_config_static_selectorELNS0_4arch9wavefront6targetE1EEEvT1_
                                        ; -- End function
	.section	.AMDGPU.csdata,"",@progbits
; Kernel info:
; codeLenInByte = 0
; NumSgprs: 4
; NumVgprs: 0
; NumAgprs: 0
; TotalNumVgprs: 0
; ScratchSize: 0
; MemoryBound: 0
; FloatMode: 240
; IeeeMode: 1
; LDSByteSize: 0 bytes/workgroup (compile time only)
; SGPRBlocks: 0
; VGPRBlocks: 0
; NumSGPRsForWavesPerEU: 4
; NumVGPRsForWavesPerEU: 1
; AccumOffset: 4
; Occupancy: 8
; WaveLimiterHint : 0
; COMPUTE_PGM_RSRC2:SCRATCH_EN: 0
; COMPUTE_PGM_RSRC2:USER_SGPR: 6
; COMPUTE_PGM_RSRC2:TRAP_HANDLER: 0
; COMPUTE_PGM_RSRC2:TGID_X_EN: 1
; COMPUTE_PGM_RSRC2:TGID_Y_EN: 0
; COMPUTE_PGM_RSRC2:TGID_Z_EN: 0
; COMPUTE_PGM_RSRC2:TIDIG_COMP_CNT: 0
; COMPUTE_PGM_RSRC3_GFX90A:ACCUM_OFFSET: 0
; COMPUTE_PGM_RSRC3_GFX90A:TG_SPLIT: 0
	.section	.text._ZN7rocprim17ROCPRIM_400000_NS6detail17trampoline_kernelINS0_14default_configENS1_20scan_config_selectorIfEEZZNS1_9scan_implILNS1_25lookback_scan_determinismE0ELb1ELb1ES3_N6thrust23THRUST_200600_302600_NS6detail15normal_iteratorINS9_10device_ptrIfEEEESE_fNS9_4plusIvEEfEEDaPvRmT3_T4_T5_mT6_P12ihipStream_tbENKUlT_T0_E_clISt17integral_constantIbLb0EESU_EEDaSP_SQ_EUlSP_E_NS1_11comp_targetILNS1_3genE5ELNS1_11target_archE942ELNS1_3gpuE9ELNS1_3repE0EEENS1_30default_config_static_selectorELNS0_4arch9wavefront6targetE1EEEvT1_,"axG",@progbits,_ZN7rocprim17ROCPRIM_400000_NS6detail17trampoline_kernelINS0_14default_configENS1_20scan_config_selectorIfEEZZNS1_9scan_implILNS1_25lookback_scan_determinismE0ELb1ELb1ES3_N6thrust23THRUST_200600_302600_NS6detail15normal_iteratorINS9_10device_ptrIfEEEESE_fNS9_4plusIvEEfEEDaPvRmT3_T4_T5_mT6_P12ihipStream_tbENKUlT_T0_E_clISt17integral_constantIbLb0EESU_EEDaSP_SQ_EUlSP_E_NS1_11comp_targetILNS1_3genE5ELNS1_11target_archE942ELNS1_3gpuE9ELNS1_3repE0EEENS1_30default_config_static_selectorELNS0_4arch9wavefront6targetE1EEEvT1_,comdat
	.protected	_ZN7rocprim17ROCPRIM_400000_NS6detail17trampoline_kernelINS0_14default_configENS1_20scan_config_selectorIfEEZZNS1_9scan_implILNS1_25lookback_scan_determinismE0ELb1ELb1ES3_N6thrust23THRUST_200600_302600_NS6detail15normal_iteratorINS9_10device_ptrIfEEEESE_fNS9_4plusIvEEfEEDaPvRmT3_T4_T5_mT6_P12ihipStream_tbENKUlT_T0_E_clISt17integral_constantIbLb0EESU_EEDaSP_SQ_EUlSP_E_NS1_11comp_targetILNS1_3genE5ELNS1_11target_archE942ELNS1_3gpuE9ELNS1_3repE0EEENS1_30default_config_static_selectorELNS0_4arch9wavefront6targetE1EEEvT1_ ; -- Begin function _ZN7rocprim17ROCPRIM_400000_NS6detail17trampoline_kernelINS0_14default_configENS1_20scan_config_selectorIfEEZZNS1_9scan_implILNS1_25lookback_scan_determinismE0ELb1ELb1ES3_N6thrust23THRUST_200600_302600_NS6detail15normal_iteratorINS9_10device_ptrIfEEEESE_fNS9_4plusIvEEfEEDaPvRmT3_T4_T5_mT6_P12ihipStream_tbENKUlT_T0_E_clISt17integral_constantIbLb0EESU_EEDaSP_SQ_EUlSP_E_NS1_11comp_targetILNS1_3genE5ELNS1_11target_archE942ELNS1_3gpuE9ELNS1_3repE0EEENS1_30default_config_static_selectorELNS0_4arch9wavefront6targetE1EEEvT1_
	.globl	_ZN7rocprim17ROCPRIM_400000_NS6detail17trampoline_kernelINS0_14default_configENS1_20scan_config_selectorIfEEZZNS1_9scan_implILNS1_25lookback_scan_determinismE0ELb1ELb1ES3_N6thrust23THRUST_200600_302600_NS6detail15normal_iteratorINS9_10device_ptrIfEEEESE_fNS9_4plusIvEEfEEDaPvRmT3_T4_T5_mT6_P12ihipStream_tbENKUlT_T0_E_clISt17integral_constantIbLb0EESU_EEDaSP_SQ_EUlSP_E_NS1_11comp_targetILNS1_3genE5ELNS1_11target_archE942ELNS1_3gpuE9ELNS1_3repE0EEENS1_30default_config_static_selectorELNS0_4arch9wavefront6targetE1EEEvT1_
	.p2align	8
	.type	_ZN7rocprim17ROCPRIM_400000_NS6detail17trampoline_kernelINS0_14default_configENS1_20scan_config_selectorIfEEZZNS1_9scan_implILNS1_25lookback_scan_determinismE0ELb1ELb1ES3_N6thrust23THRUST_200600_302600_NS6detail15normal_iteratorINS9_10device_ptrIfEEEESE_fNS9_4plusIvEEfEEDaPvRmT3_T4_T5_mT6_P12ihipStream_tbENKUlT_T0_E_clISt17integral_constantIbLb0EESU_EEDaSP_SQ_EUlSP_E_NS1_11comp_targetILNS1_3genE5ELNS1_11target_archE942ELNS1_3gpuE9ELNS1_3repE0EEENS1_30default_config_static_selectorELNS0_4arch9wavefront6targetE1EEEvT1_,@function
_ZN7rocprim17ROCPRIM_400000_NS6detail17trampoline_kernelINS0_14default_configENS1_20scan_config_selectorIfEEZZNS1_9scan_implILNS1_25lookback_scan_determinismE0ELb1ELb1ES3_N6thrust23THRUST_200600_302600_NS6detail15normal_iteratorINS9_10device_ptrIfEEEESE_fNS9_4plusIvEEfEEDaPvRmT3_T4_T5_mT6_P12ihipStream_tbENKUlT_T0_E_clISt17integral_constantIbLb0EESU_EEDaSP_SQ_EUlSP_E_NS1_11comp_targetILNS1_3genE5ELNS1_11target_archE942ELNS1_3gpuE9ELNS1_3repE0EEENS1_30default_config_static_selectorELNS0_4arch9wavefront6targetE1EEEvT1_: ; @_ZN7rocprim17ROCPRIM_400000_NS6detail17trampoline_kernelINS0_14default_configENS1_20scan_config_selectorIfEEZZNS1_9scan_implILNS1_25lookback_scan_determinismE0ELb1ELb1ES3_N6thrust23THRUST_200600_302600_NS6detail15normal_iteratorINS9_10device_ptrIfEEEESE_fNS9_4plusIvEEfEEDaPvRmT3_T4_T5_mT6_P12ihipStream_tbENKUlT_T0_E_clISt17integral_constantIbLb0EESU_EEDaSP_SQ_EUlSP_E_NS1_11comp_targetILNS1_3genE5ELNS1_11target_archE942ELNS1_3gpuE9ELNS1_3repE0EEENS1_30default_config_static_selectorELNS0_4arch9wavefront6targetE1EEEvT1_
; %bb.0:
	.section	.rodata,"a",@progbits
	.p2align	6, 0x0
	.amdhsa_kernel _ZN7rocprim17ROCPRIM_400000_NS6detail17trampoline_kernelINS0_14default_configENS1_20scan_config_selectorIfEEZZNS1_9scan_implILNS1_25lookback_scan_determinismE0ELb1ELb1ES3_N6thrust23THRUST_200600_302600_NS6detail15normal_iteratorINS9_10device_ptrIfEEEESE_fNS9_4plusIvEEfEEDaPvRmT3_T4_T5_mT6_P12ihipStream_tbENKUlT_T0_E_clISt17integral_constantIbLb0EESU_EEDaSP_SQ_EUlSP_E_NS1_11comp_targetILNS1_3genE5ELNS1_11target_archE942ELNS1_3gpuE9ELNS1_3repE0EEENS1_30default_config_static_selectorELNS0_4arch9wavefront6targetE1EEEvT1_
		.amdhsa_group_segment_fixed_size 0
		.amdhsa_private_segment_fixed_size 0
		.amdhsa_kernarg_size 96
		.amdhsa_user_sgpr_count 6
		.amdhsa_user_sgpr_private_segment_buffer 1
		.amdhsa_user_sgpr_dispatch_ptr 0
		.amdhsa_user_sgpr_queue_ptr 0
		.amdhsa_user_sgpr_kernarg_segment_ptr 1
		.amdhsa_user_sgpr_dispatch_id 0
		.amdhsa_user_sgpr_flat_scratch_init 0
		.amdhsa_user_sgpr_kernarg_preload_length 0
		.amdhsa_user_sgpr_kernarg_preload_offset 0
		.amdhsa_user_sgpr_private_segment_size 0
		.amdhsa_uses_dynamic_stack 0
		.amdhsa_system_sgpr_private_segment_wavefront_offset 0
		.amdhsa_system_sgpr_workgroup_id_x 1
		.amdhsa_system_sgpr_workgroup_id_y 0
		.amdhsa_system_sgpr_workgroup_id_z 0
		.amdhsa_system_sgpr_workgroup_info 0
		.amdhsa_system_vgpr_workitem_id 0
		.amdhsa_next_free_vgpr 1
		.amdhsa_next_free_sgpr 0
		.amdhsa_accum_offset 4
		.amdhsa_reserve_vcc 0
		.amdhsa_reserve_flat_scratch 0
		.amdhsa_float_round_mode_32 0
		.amdhsa_float_round_mode_16_64 0
		.amdhsa_float_denorm_mode_32 3
		.amdhsa_float_denorm_mode_16_64 3
		.amdhsa_dx10_clamp 1
		.amdhsa_ieee_mode 1
		.amdhsa_fp16_overflow 0
		.amdhsa_tg_split 0
		.amdhsa_exception_fp_ieee_invalid_op 0
		.amdhsa_exception_fp_denorm_src 0
		.amdhsa_exception_fp_ieee_div_zero 0
		.amdhsa_exception_fp_ieee_overflow 0
		.amdhsa_exception_fp_ieee_underflow 0
		.amdhsa_exception_fp_ieee_inexact 0
		.amdhsa_exception_int_div_zero 0
	.end_amdhsa_kernel
	.section	.text._ZN7rocprim17ROCPRIM_400000_NS6detail17trampoline_kernelINS0_14default_configENS1_20scan_config_selectorIfEEZZNS1_9scan_implILNS1_25lookback_scan_determinismE0ELb1ELb1ES3_N6thrust23THRUST_200600_302600_NS6detail15normal_iteratorINS9_10device_ptrIfEEEESE_fNS9_4plusIvEEfEEDaPvRmT3_T4_T5_mT6_P12ihipStream_tbENKUlT_T0_E_clISt17integral_constantIbLb0EESU_EEDaSP_SQ_EUlSP_E_NS1_11comp_targetILNS1_3genE5ELNS1_11target_archE942ELNS1_3gpuE9ELNS1_3repE0EEENS1_30default_config_static_selectorELNS0_4arch9wavefront6targetE1EEEvT1_,"axG",@progbits,_ZN7rocprim17ROCPRIM_400000_NS6detail17trampoline_kernelINS0_14default_configENS1_20scan_config_selectorIfEEZZNS1_9scan_implILNS1_25lookback_scan_determinismE0ELb1ELb1ES3_N6thrust23THRUST_200600_302600_NS6detail15normal_iteratorINS9_10device_ptrIfEEEESE_fNS9_4plusIvEEfEEDaPvRmT3_T4_T5_mT6_P12ihipStream_tbENKUlT_T0_E_clISt17integral_constantIbLb0EESU_EEDaSP_SQ_EUlSP_E_NS1_11comp_targetILNS1_3genE5ELNS1_11target_archE942ELNS1_3gpuE9ELNS1_3repE0EEENS1_30default_config_static_selectorELNS0_4arch9wavefront6targetE1EEEvT1_,comdat
.Lfunc_end4359:
	.size	_ZN7rocprim17ROCPRIM_400000_NS6detail17trampoline_kernelINS0_14default_configENS1_20scan_config_selectorIfEEZZNS1_9scan_implILNS1_25lookback_scan_determinismE0ELb1ELb1ES3_N6thrust23THRUST_200600_302600_NS6detail15normal_iteratorINS9_10device_ptrIfEEEESE_fNS9_4plusIvEEfEEDaPvRmT3_T4_T5_mT6_P12ihipStream_tbENKUlT_T0_E_clISt17integral_constantIbLb0EESU_EEDaSP_SQ_EUlSP_E_NS1_11comp_targetILNS1_3genE5ELNS1_11target_archE942ELNS1_3gpuE9ELNS1_3repE0EEENS1_30default_config_static_selectorELNS0_4arch9wavefront6targetE1EEEvT1_, .Lfunc_end4359-_ZN7rocprim17ROCPRIM_400000_NS6detail17trampoline_kernelINS0_14default_configENS1_20scan_config_selectorIfEEZZNS1_9scan_implILNS1_25lookback_scan_determinismE0ELb1ELb1ES3_N6thrust23THRUST_200600_302600_NS6detail15normal_iteratorINS9_10device_ptrIfEEEESE_fNS9_4plusIvEEfEEDaPvRmT3_T4_T5_mT6_P12ihipStream_tbENKUlT_T0_E_clISt17integral_constantIbLb0EESU_EEDaSP_SQ_EUlSP_E_NS1_11comp_targetILNS1_3genE5ELNS1_11target_archE942ELNS1_3gpuE9ELNS1_3repE0EEENS1_30default_config_static_selectorELNS0_4arch9wavefront6targetE1EEEvT1_
                                        ; -- End function
	.section	.AMDGPU.csdata,"",@progbits
; Kernel info:
; codeLenInByte = 0
; NumSgprs: 4
; NumVgprs: 0
; NumAgprs: 0
; TotalNumVgprs: 0
; ScratchSize: 0
; MemoryBound: 0
; FloatMode: 240
; IeeeMode: 1
; LDSByteSize: 0 bytes/workgroup (compile time only)
; SGPRBlocks: 0
; VGPRBlocks: 0
; NumSGPRsForWavesPerEU: 4
; NumVGPRsForWavesPerEU: 1
; AccumOffset: 4
; Occupancy: 8
; WaveLimiterHint : 0
; COMPUTE_PGM_RSRC2:SCRATCH_EN: 0
; COMPUTE_PGM_RSRC2:USER_SGPR: 6
; COMPUTE_PGM_RSRC2:TRAP_HANDLER: 0
; COMPUTE_PGM_RSRC2:TGID_X_EN: 1
; COMPUTE_PGM_RSRC2:TGID_Y_EN: 0
; COMPUTE_PGM_RSRC2:TGID_Z_EN: 0
; COMPUTE_PGM_RSRC2:TIDIG_COMP_CNT: 0
; COMPUTE_PGM_RSRC3_GFX90A:ACCUM_OFFSET: 0
; COMPUTE_PGM_RSRC3_GFX90A:TG_SPLIT: 0
	.section	.text._ZN7rocprim17ROCPRIM_400000_NS6detail17trampoline_kernelINS0_14default_configENS1_20scan_config_selectorIfEEZZNS1_9scan_implILNS1_25lookback_scan_determinismE0ELb1ELb1ES3_N6thrust23THRUST_200600_302600_NS6detail15normal_iteratorINS9_10device_ptrIfEEEESE_fNS9_4plusIvEEfEEDaPvRmT3_T4_T5_mT6_P12ihipStream_tbENKUlT_T0_E_clISt17integral_constantIbLb0EESU_EEDaSP_SQ_EUlSP_E_NS1_11comp_targetILNS1_3genE4ELNS1_11target_archE910ELNS1_3gpuE8ELNS1_3repE0EEENS1_30default_config_static_selectorELNS0_4arch9wavefront6targetE1EEEvT1_,"axG",@progbits,_ZN7rocprim17ROCPRIM_400000_NS6detail17trampoline_kernelINS0_14default_configENS1_20scan_config_selectorIfEEZZNS1_9scan_implILNS1_25lookback_scan_determinismE0ELb1ELb1ES3_N6thrust23THRUST_200600_302600_NS6detail15normal_iteratorINS9_10device_ptrIfEEEESE_fNS9_4plusIvEEfEEDaPvRmT3_T4_T5_mT6_P12ihipStream_tbENKUlT_T0_E_clISt17integral_constantIbLb0EESU_EEDaSP_SQ_EUlSP_E_NS1_11comp_targetILNS1_3genE4ELNS1_11target_archE910ELNS1_3gpuE8ELNS1_3repE0EEENS1_30default_config_static_selectorELNS0_4arch9wavefront6targetE1EEEvT1_,comdat
	.protected	_ZN7rocprim17ROCPRIM_400000_NS6detail17trampoline_kernelINS0_14default_configENS1_20scan_config_selectorIfEEZZNS1_9scan_implILNS1_25lookback_scan_determinismE0ELb1ELb1ES3_N6thrust23THRUST_200600_302600_NS6detail15normal_iteratorINS9_10device_ptrIfEEEESE_fNS9_4plusIvEEfEEDaPvRmT3_T4_T5_mT6_P12ihipStream_tbENKUlT_T0_E_clISt17integral_constantIbLb0EESU_EEDaSP_SQ_EUlSP_E_NS1_11comp_targetILNS1_3genE4ELNS1_11target_archE910ELNS1_3gpuE8ELNS1_3repE0EEENS1_30default_config_static_selectorELNS0_4arch9wavefront6targetE1EEEvT1_ ; -- Begin function _ZN7rocprim17ROCPRIM_400000_NS6detail17trampoline_kernelINS0_14default_configENS1_20scan_config_selectorIfEEZZNS1_9scan_implILNS1_25lookback_scan_determinismE0ELb1ELb1ES3_N6thrust23THRUST_200600_302600_NS6detail15normal_iteratorINS9_10device_ptrIfEEEESE_fNS9_4plusIvEEfEEDaPvRmT3_T4_T5_mT6_P12ihipStream_tbENKUlT_T0_E_clISt17integral_constantIbLb0EESU_EEDaSP_SQ_EUlSP_E_NS1_11comp_targetILNS1_3genE4ELNS1_11target_archE910ELNS1_3gpuE8ELNS1_3repE0EEENS1_30default_config_static_selectorELNS0_4arch9wavefront6targetE1EEEvT1_
	.globl	_ZN7rocprim17ROCPRIM_400000_NS6detail17trampoline_kernelINS0_14default_configENS1_20scan_config_selectorIfEEZZNS1_9scan_implILNS1_25lookback_scan_determinismE0ELb1ELb1ES3_N6thrust23THRUST_200600_302600_NS6detail15normal_iteratorINS9_10device_ptrIfEEEESE_fNS9_4plusIvEEfEEDaPvRmT3_T4_T5_mT6_P12ihipStream_tbENKUlT_T0_E_clISt17integral_constantIbLb0EESU_EEDaSP_SQ_EUlSP_E_NS1_11comp_targetILNS1_3genE4ELNS1_11target_archE910ELNS1_3gpuE8ELNS1_3repE0EEENS1_30default_config_static_selectorELNS0_4arch9wavefront6targetE1EEEvT1_
	.p2align	8
	.type	_ZN7rocprim17ROCPRIM_400000_NS6detail17trampoline_kernelINS0_14default_configENS1_20scan_config_selectorIfEEZZNS1_9scan_implILNS1_25lookback_scan_determinismE0ELb1ELb1ES3_N6thrust23THRUST_200600_302600_NS6detail15normal_iteratorINS9_10device_ptrIfEEEESE_fNS9_4plusIvEEfEEDaPvRmT3_T4_T5_mT6_P12ihipStream_tbENKUlT_T0_E_clISt17integral_constantIbLb0EESU_EEDaSP_SQ_EUlSP_E_NS1_11comp_targetILNS1_3genE4ELNS1_11target_archE910ELNS1_3gpuE8ELNS1_3repE0EEENS1_30default_config_static_selectorELNS0_4arch9wavefront6targetE1EEEvT1_,@function
_ZN7rocprim17ROCPRIM_400000_NS6detail17trampoline_kernelINS0_14default_configENS1_20scan_config_selectorIfEEZZNS1_9scan_implILNS1_25lookback_scan_determinismE0ELb1ELb1ES3_N6thrust23THRUST_200600_302600_NS6detail15normal_iteratorINS9_10device_ptrIfEEEESE_fNS9_4plusIvEEfEEDaPvRmT3_T4_T5_mT6_P12ihipStream_tbENKUlT_T0_E_clISt17integral_constantIbLb0EESU_EEDaSP_SQ_EUlSP_E_NS1_11comp_targetILNS1_3genE4ELNS1_11target_archE910ELNS1_3gpuE8ELNS1_3repE0EEENS1_30default_config_static_selectorELNS0_4arch9wavefront6targetE1EEEvT1_: ; @_ZN7rocprim17ROCPRIM_400000_NS6detail17trampoline_kernelINS0_14default_configENS1_20scan_config_selectorIfEEZZNS1_9scan_implILNS1_25lookback_scan_determinismE0ELb1ELb1ES3_N6thrust23THRUST_200600_302600_NS6detail15normal_iteratorINS9_10device_ptrIfEEEESE_fNS9_4plusIvEEfEEDaPvRmT3_T4_T5_mT6_P12ihipStream_tbENKUlT_T0_E_clISt17integral_constantIbLb0EESU_EEDaSP_SQ_EUlSP_E_NS1_11comp_targetILNS1_3genE4ELNS1_11target_archE910ELNS1_3gpuE8ELNS1_3repE0EEENS1_30default_config_static_selectorELNS0_4arch9wavefront6targetE1EEEvT1_
; %bb.0:
	s_load_dwordx8 s[12:19], s[4:5], 0x0
	s_load_dword s1, s[4:5], 0x30
	s_mul_i32 s0, s6, 0x700
	v_lshlrev_b32_e32 v32, 2, v0
	s_waitcnt lgkmcnt(0)
	s_lshl_b64 s[20:21], s[14:15], 2
	s_add_u32 s29, s12, s20
	s_addc_u32 s30, s13, s21
	s_add_i32 s2, s1, -1
	s_mul_i32 s3, s2, 0x700
	s_sub_u32 s7, s18, s3
	s_subb_u32 s28, s19, 0
	s_mov_b32 s1, 0
	s_cmp_lg_u32 s6, s2
	s_cselect_b64 s[18:19], -1, 0
	s_lshl_b64 s[22:23], s[0:1], 2
	s_add_u32 s2, s29, s22
	s_addc_u32 s3, s30, s23
	s_mov_b64 s[0:1], -1
	s_and_b64 vcc, exec, s[18:19]
	s_cbranch_vccz .LBB4360_2
; %bb.1:
	v_mov_b32_e32 v1, s3
	v_add_co_u32_e32 v2, vcc, s2, v32
	v_addc_co_u32_e32 v3, vcc, 0, v1, vcc
	flat_load_dword v1, v[2:3]
	flat_load_dword v4, v[2:3] offset:512
	flat_load_dword v5, v[2:3] offset:1024
	;; [unrolled: 1-line block ×7, first 2 shown]
	v_add_co_u32_e32 v2, vcc, 0x1000, v2
	v_addc_co_u32_e32 v3, vcc, 0, v3, vcc
	flat_load_dword v11, v[2:3]
	flat_load_dword v12, v[2:3] offset:512
	flat_load_dword v13, v[2:3] offset:1024
	;; [unrolled: 1-line block ×5, first 2 shown]
	s_mov_b64 s[0:1], 0
	s_waitcnt vmcnt(0) lgkmcnt(0)
	ds_write2st64_b32 v32, v1, v4 offset1:2
	ds_write2st64_b32 v32, v5, v6 offset0:4 offset1:6
	ds_write2st64_b32 v32, v7, v8 offset0:8 offset1:10
	;; [unrolled: 1-line block ×6, first 2 shown]
	s_waitcnt lgkmcnt(0)
	s_barrier
.LBB4360_2:
	s_load_dwordx2 s[24:25], s[4:5], 0x28
	s_andn2_b64 vcc, exec, s[0:1]
	v_cmp_gt_u32_e64 s[0:1], s7, v0
	s_cbranch_vccnz .LBB4360_32
; %bb.3:
	v_pk_mov_b32 v[2:3], s[2:3], s[2:3] op_sel:[0,1]
	flat_load_dword v1, v[2:3]
	s_waitcnt vmcnt(0) lgkmcnt(0)
	v_mov_b32_e32 v2, v1
	v_mov_b32_e32 v3, v1
	;; [unrolled: 1-line block ×12, first 2 shown]
	v_pk_mov_b32 v[16:17], v[14:15], v[14:15] op_sel:[0,1]
	v_pk_mov_b32 v[14:15], v[12:13], v[12:13] op_sel:[0,1]
	;; [unrolled: 1-line block ×8, first 2 shown]
	s_and_saveexec_b64 s[8:9], s[0:1]
	s_cbranch_execz .LBB4360_5
; %bb.4:
	v_mov_b32_e32 v3, s3
	v_add_co_u32_e32 v2, vcc, s2, v32
	v_addc_co_u32_e32 v3, vcc, 0, v3, vcc
	flat_load_dword v18, v[2:3]
	v_mov_b32_e32 v2, v1
	v_mov_b32_e32 v3, v1
	;; [unrolled: 1-line block ×12, first 2 shown]
	v_pk_mov_b32 v[16:17], v[14:15], v[14:15] op_sel:[0,1]
	v_pk_mov_b32 v[14:15], v[12:13], v[12:13] op_sel:[0,1]
	;; [unrolled: 1-line block ×8, first 2 shown]
	s_waitcnt vmcnt(0) lgkmcnt(0)
	v_mov_b32_e32 v1, v18
.LBB4360_5:
	s_or_b64 exec, exec, s[8:9]
	v_or_b32_e32 v2, 0x80, v0
	v_cmp_gt_u32_e32 vcc, s7, v2
	s_and_saveexec_b64 s[0:1], vcc
	s_cbranch_execz .LBB4360_7
; %bb.6:
	v_mov_b32_e32 v3, s3
	v_add_co_u32_e32 v2, vcc, s2, v32
	v_addc_co_u32_e32 v3, vcc, 0, v3, vcc
	flat_load_dword v3, v[2:3] offset:512
.LBB4360_7:
	s_or_b64 exec, exec, s[0:1]
	v_or_b32_e32 v2, 0x100, v0
	v_cmp_gt_u32_e32 vcc, s7, v2
	s_and_saveexec_b64 s[0:1], vcc
	s_cbranch_execz .LBB4360_9
; %bb.8:
	v_mov_b32_e32 v2, s3
	v_add_co_u32_e32 v16, vcc, s2, v32
	v_addc_co_u32_e32 v17, vcc, 0, v2, vcc
	flat_load_dword v4, v[16:17] offset:1024
.LBB4360_9:
	;; [unrolled: 11-line block ×7, first 2 shown]
	s_or_b64 exec, exec, s[0:1]
	v_or_b32_e32 v2, 0x400, v0
	v_cmp_gt_u32_e32 vcc, s7, v2
	s_and_saveexec_b64 s[0:1], vcc
	s_cbranch_execz .LBB4360_21
; %bb.20:
	v_lshlrev_b32_e32 v2, 2, v2
	v_mov_b32_e32 v10, s3
	v_add_co_u32_e32 v16, vcc, s2, v2
	v_addc_co_u32_e32 v17, vcc, 0, v10, vcc
	flat_load_dword v10, v[16:17]
.LBB4360_21:
	s_or_b64 exec, exec, s[0:1]
	v_or_b32_e32 v2, 0x480, v0
	v_cmp_gt_u32_e32 vcc, s7, v2
	s_and_saveexec_b64 s[0:1], vcc
	s_cbranch_execz .LBB4360_23
; %bb.22:
	v_lshlrev_b32_e32 v2, 2, v2
	v_mov_b32_e32 v11, s3
	v_add_co_u32_e32 v16, vcc, s2, v2
	v_addc_co_u32_e32 v17, vcc, 0, v11, vcc
	flat_load_dword v11, v[16:17]
.LBB4360_23:
	;; [unrolled: 12-line block ×6, first 2 shown]
	s_or_b64 exec, exec, s[0:1]
	s_waitcnt vmcnt(0) lgkmcnt(0)
	ds_write2st64_b32 v32, v1, v3 offset1:2
	ds_write2st64_b32 v32, v4, v5 offset0:4 offset1:6
	ds_write2st64_b32 v32, v6, v7 offset0:8 offset1:10
	;; [unrolled: 1-line block ×6, first 2 shown]
	s_waitcnt lgkmcnt(0)
	s_barrier
.LBB4360_32:
	v_mul_u32_u24_e32 v33, 14, v0
	v_lshlrev_b32_e32 v34, 2, v33
	s_waitcnt lgkmcnt(0)
	ds_read2_b64 v[26:29], v34 offset1:1
	ds_read2_b64 v[22:25], v34 offset0:2 offset1:3
	ds_read2_b64 v[18:21], v34 offset0:4 offset1:5
	ds_read_b64 v[30:31], v34 offset:48
	s_cmp_lg_u32 s6, 0
	s_waitcnt lgkmcnt(3)
	v_add_f32_e32 v35, v26, v27
	v_lshrrev_b32_e32 v1, 5, v0
	v_cmp_gt_u32_e32 vcc, 64, v0
	s_waitcnt lgkmcnt(0)
	s_barrier
	s_cbranch_scc0 .LBB4360_57
; %bb.33:
	v_add_f32_e32 v2, v28, v35
	v_add_f32_e32 v2, v29, v2
	;; [unrolled: 1-line block ×12, first 2 shown]
	v_add_lshl_u32 v2, v1, v0, 2
	ds_write_b32 v2, v12
	s_waitcnt lgkmcnt(0)
	s_barrier
	s_and_saveexec_b64 s[10:11], vcc
	s_cbranch_execz .LBB4360_35
; %bb.34:
	v_lshlrev_b32_e32 v2, 1, v0
	v_lshrrev_b32_e32 v3, 4, v0
	v_add_lshl_u32 v4, v3, v2, 2
	ds_read2_b32 v[2:3], v4 offset1:1
	v_mbcnt_lo_u32_b32 v5, -1, 0
	v_mbcnt_hi_u32_b32 v5, -1, v5
	v_and_b32_e32 v6, 15, v5
	v_cmp_eq_u32_e64 s[0:1], 0, v6
	s_waitcnt lgkmcnt(0)
	v_add_f32_e32 v3, v2, v3
	v_cmp_lt_u32_e64 s[2:3], 3, v6
	v_cmp_lt_u32_e64 s[8:9], 31, v5
	v_mov_b32_dpp v7, v3 row_shr:1 row_mask:0xf bank_mask:0xf
	v_add_f32_e32 v7, v3, v7
	v_cndmask_b32_e64 v3, v7, v3, s[0:1]
	v_cmp_lt_u32_e64 s[0:1], 1, v6
	s_nop 0
	v_mov_b32_dpp v7, v3 row_shr:2 row_mask:0xf bank_mask:0xf
	v_add_f32_e32 v7, v3, v7
	v_cndmask_b32_e64 v7, v3, v7, s[0:1]
	; wave barrier
	s_nop 1
	v_mov_b32_dpp v8, v7 row_shr:4 row_mask:0xf bank_mask:0xf
	v_add_f32_e32 v8, v7, v8
	v_cndmask_b32_e64 v7, v7, v8, s[2:3]
	v_cmp_lt_u32_e64 s[2:3], 7, v6
	s_nop 0
	v_mov_b32_dpp v8, v7 row_shr:8 row_mask:0xf bank_mask:0xf
	v_add_f32_e32 v8, v7, v8
	v_cndmask_b32_e64 v6, v7, v8, s[2:3]
	v_and_b32_e32 v8, 16, v5
	v_cmp_eq_u32_e64 s[2:3], 0, v8
	v_mov_b32_dpp v7, v6 row_bcast:15 row_mask:0xf bank_mask:0xf
	v_add_f32_e32 v7, v6, v7
	v_cndmask_b32_e64 v6, v7, v6, s[2:3]
	v_cmp_lt_u32_e64 s[2:3], 15, v5
	s_or_b64 s[0:1], s[2:3], s[0:1]
	v_mov_b32_dpp v7, v6 row_bcast:31 row_mask:0xf bank_mask:0xf
	v_add_f32_e32 v7, v6, v7
	v_cndmask_b32_e64 v6, v6, v7, s[8:9]
	v_cndmask_b32_e64 v3, v3, v6, s[0:1]
	v_add_u32_e32 v6, -1, v5
	v_and_b32_e32 v7, 64, v5
	v_cmp_lt_i32_e64 s[0:1], v6, v7
	v_cndmask_b32_e64 v5, v6, v5, s[0:1]
	v_lshlrev_b32_e32 v5, 2, v5
	ds_bpermute_b32 v3, v5, v3
	v_cmp_eq_u32_e64 s[0:1], 0, v0
	s_waitcnt lgkmcnt(0)
	v_add_f32_e32 v2, v2, v3
	v_cndmask_b32_e64 v2, v2, v12, s[0:1]
	ds_write_b32 v4, v2
	; wave barrier
	ds_read_b32 v3, v4 offset:4
	s_waitcnt lgkmcnt(0)
	v_add_f32_e32 v2, v2, v3
	ds_write_b32 v4, v2 offset:4
.LBB4360_35:
	s_or_b64 exec, exec, s[10:11]
	v_cmp_eq_u32_e64 s[0:1], 0, v0
	v_cmp_ne_u32_e64 s[2:3], 0, v0
	s_waitcnt lgkmcnt(0)
	s_barrier
	s_and_saveexec_b64 s[8:9], s[2:3]
	s_cbranch_execz .LBB4360_37
; %bb.36:
	v_add_u32_e32 v2, -1, v0
	v_lshrrev_b32_e32 v3, 5, v2
	v_add_lshl_u32 v2, v3, v2, 2
	ds_read_b32 v12, v2
.LBB4360_37:
	s_or_b64 exec, exec, s[8:9]
	s_and_saveexec_b64 s[26:27], vcc
	s_cbranch_execz .LBB4360_56
; %bb.38:
	v_mov_b32_e32 v9, 0
	ds_read_b32 v2, v9 offset:520
	v_mbcnt_lo_u32_b32 v3, -1, 0
	v_mbcnt_hi_u32_b32 v5, -1, v3
	s_mov_b32 s11, 0
	v_cmp_eq_u32_e64 s[2:3], 0, v5
	s_and_saveexec_b64 s[8:9], s[2:3]
	s_cbranch_execz .LBB4360_40
; %bb.39:
	s_add_i32 s10, s6, 64
	s_lshl_b64 s[10:11], s[10:11], 3
	s_add_u32 s10, s24, s10
	v_mov_b32_e32 v3, 1
	s_addc_u32 s11, s25, s11
	s_waitcnt lgkmcnt(0)
	global_store_dwordx2 v9, v[2:3], s[10:11]
.LBB4360_40:
	s_or_b64 exec, exec, s[8:9]
	v_xad_u32 v4, v5, -1, s6
	v_add_u32_e32 v8, 64, v4
	v_lshlrev_b64 v[6:7], 3, v[8:9]
	v_mov_b32_e32 v3, s25
	v_add_co_u32_e32 v10, vcc, s24, v6
	v_addc_co_u32_e32 v11, vcc, v3, v7, vcc
	global_load_dwordx2 v[6:7], v[10:11], off glc
	s_waitcnt vmcnt(0)
	v_cmp_eq_u16_sdwa s[10:11], v7, v9 src0_sel:BYTE_0 src1_sel:DWORD
	s_and_saveexec_b64 s[8:9], s[10:11]
	s_cbranch_execz .LBB4360_44
; %bb.41:
	s_mov_b64 s[10:11], 0
	v_mov_b32_e32 v3, 0
.LBB4360_42:                            ; =>This Inner Loop Header: Depth=1
	global_load_dwordx2 v[6:7], v[10:11], off glc
	s_waitcnt vmcnt(0)
	v_cmp_ne_u16_sdwa s[12:13], v7, v3 src0_sel:BYTE_0 src1_sel:DWORD
	s_or_b64 s[10:11], s[12:13], s[10:11]
	s_andn2_b64 exec, exec, s[10:11]
	s_cbranch_execnz .LBB4360_42
; %bb.43:
	s_or_b64 exec, exec, s[10:11]
.LBB4360_44:
	s_or_b64 exec, exec, s[8:9]
	v_and_b32_e32 v13, 63, v5
	v_cmp_ne_u32_e32 vcc, 63, v13
	v_addc_co_u32_e32 v14, vcc, 0, v5, vcc
	v_mov_b32_e32 v3, 2
	v_lshlrev_b32_e32 v14, 2, v14
	v_cmp_eq_u16_sdwa s[8:9], v7, v3 src0_sel:BYTE_0 src1_sel:DWORD
	v_lshlrev_b64 v[8:9], v5, -1
	ds_bpermute_b32 v15, v14, v6
	v_and_b32_e32 v10, s9, v9
	v_or_b32_e32 v10, 0x80000000, v10
	v_and_b32_e32 v11, s8, v8
	v_ffbl_b32_e32 v10, v10
	v_add_u32_e32 v10, 32, v10
	v_ffbl_b32_e32 v11, v11
	v_cmp_gt_u32_e64 s[8:9], 62, v13
	v_min_u32_e32 v10, v11, v10
	s_waitcnt lgkmcnt(0)
	v_add_f32_e32 v11, v6, v15
	v_cndmask_b32_e64 v15, 0, 1, s[8:9]
	v_cmp_lt_u32_e32 vcc, v13, v10
	v_lshlrev_b32_e32 v15, 1, v15
	v_cndmask_b32_e32 v11, v6, v11, vcc
	v_add_lshl_u32 v15, v15, v5, 2
	ds_bpermute_b32 v17, v15, v11
	v_add_u32_e32 v16, 2, v13
	v_cmp_gt_u32_e64 s[8:9], v16, v10
	v_cmp_gt_u32_e64 s[10:11], 56, v13
	v_add_u32_e32 v36, 4, v13
	s_waitcnt lgkmcnt(0)
	v_add_f32_e32 v17, v11, v17
	v_cndmask_b32_e64 v11, v17, v11, s[8:9]
	v_cmp_gt_u32_e64 s[8:9], 60, v13
	v_cndmask_b32_e64 v17, 0, 1, s[8:9]
	v_lshlrev_b32_e32 v17, 2, v17
	v_add_lshl_u32 v17, v17, v5, 2
	ds_bpermute_b32 v37, v17, v11
	v_cmp_gt_u32_e64 s[8:9], v36, v10
	v_add_u32_e32 v38, 8, v13
	v_cmp_gt_u32_e64 s[12:13], 48, v13
	v_cmp_gt_u32_e64 s[14:15], 32, v13
	s_waitcnt lgkmcnt(0)
	v_add_f32_e32 v41, v11, v37
	v_cndmask_b32_e64 v37, 0, 1, s[10:11]
	v_lshlrev_b32_e32 v37, 3, v37
	v_cndmask_b32_e64 v39, v41, v11, s[8:9]
	v_add_lshl_u32 v37, v37, v5, 2
	ds_bpermute_b32 v40, v37, v39
	v_cmp_gt_u32_e64 s[10:11], v38, v10
	v_cndmask_b32_e32 v6, v6, v11, vcc
	v_cndmask_b32_e64 v6, v41, v6, s[8:9]
	s_waitcnt lgkmcnt(0)
	v_add_f32_e32 v44, v39, v40
	v_cndmask_b32_e64 v42, v44, v39, s[10:11]
	v_cndmask_b32_e64 v39, 0, 1, s[12:13]
	v_lshlrev_b32_e32 v39, 4, v39
	v_add_lshl_u32 v39, v39, v5, 2
	ds_bpermute_b32 v43, v39, v42
	v_add_u32_e32 v40, 16, v13
	v_cmp_gt_u32_e64 s[12:13], v40, v10
	v_cndmask_b32_e64 v6, v44, v6, s[10:11]
	s_waitcnt lgkmcnt(0)
	v_add_f32_e32 v45, v42, v43
	v_cndmask_b32_e64 v46, v45, v42, s[12:13]
	v_cndmask_b32_e64 v42, 0, 1, s[14:15]
	v_lshlrev_b32_e32 v42, 5, v42
	v_add_lshl_u32 v42, v42, v5, 2
	ds_bpermute_b32 v5, v42, v46
	v_add_u32_e32 v43, 32, v13
	v_cndmask_b32_e64 v6, v45, v6, s[12:13]
	v_cmp_gt_u32_e32 vcc, v43, v10
	s_waitcnt lgkmcnt(0)
	v_add_f32_e32 v5, v46, v5
	v_cndmask_b32_e32 v6, v5, v6, vcc
	v_mov_b32_e32 v5, 0
	s_branch .LBB4360_46
.LBB4360_45:                            ;   in Loop: Header=BB4360_46 Depth=1
	s_or_b64 exec, exec, s[8:9]
	v_cmp_eq_u16_sdwa s[8:9], v7, v3 src0_sel:BYTE_0 src1_sel:DWORD
	v_and_b32_e32 v10, s9, v9
	ds_bpermute_b32 v44, v14, v6
	v_or_b32_e32 v10, 0x80000000, v10
	v_and_b32_e32 v11, s8, v8
	v_ffbl_b32_e32 v10, v10
	v_add_u32_e32 v10, 32, v10
	v_ffbl_b32_e32 v11, v11
	v_min_u32_e32 v10, v11, v10
	s_waitcnt lgkmcnt(0)
	v_add_f32_e32 v11, v6, v44
	v_cmp_lt_u32_e32 vcc, v13, v10
	v_cndmask_b32_e32 v11, v6, v11, vcc
	ds_bpermute_b32 v44, v15, v11
	v_cmp_gt_u32_e64 s[8:9], v16, v10
	v_cmp_gt_u32_e64 s[10:11], v38, v10
	;; [unrolled: 1-line block ×3, first 2 shown]
	v_subrev_u32_e32 v4, 64, v4
	s_waitcnt lgkmcnt(0)
	v_add_f32_e32 v44, v11, v44
	v_cndmask_b32_e64 v11, v44, v11, s[8:9]
	ds_bpermute_b32 v44, v17, v11
	v_cmp_gt_u32_e64 s[8:9], v36, v10
	v_cndmask_b32_e32 v6, v6, v11, vcc
	v_cmp_gt_u32_e32 vcc, v43, v10
	s_waitcnt lgkmcnt(0)
	v_add_f32_e32 v44, v11, v44
	v_cndmask_b32_e64 v45, v44, v11, s[8:9]
	ds_bpermute_b32 v46, v37, v45
	v_cndmask_b32_e64 v6, v44, v6, s[8:9]
	s_waitcnt lgkmcnt(0)
	v_add_f32_e32 v46, v45, v46
	v_cndmask_b32_e64 v45, v46, v45, s[10:11]
	ds_bpermute_b32 v47, v39, v45
	v_cndmask_b32_e64 v6, v46, v6, s[10:11]
	;; [unrolled: 5-line block ×3, first 2 shown]
	s_waitcnt lgkmcnt(0)
	v_add_f32_e32 v11, v45, v48
	v_cndmask_b32_e32 v6, v11, v6, vcc
	v_add_f32_e32 v6, v41, v6
.LBB4360_46:                            ; =>This Loop Header: Depth=1
                                        ;     Child Loop BB4360_49 Depth 2
	v_cmp_ne_u16_sdwa s[8:9], v7, v3 src0_sel:BYTE_0 src1_sel:DWORD
	v_cndmask_b32_e64 v7, 0, 1, s[8:9]
	;;#ASMSTART
	;;#ASMEND
	v_cmp_ne_u32_e32 vcc, 0, v7
	s_cmp_lg_u64 vcc, exec
	v_mov_b32_e32 v41, v6
	s_cbranch_scc1 .LBB4360_51
; %bb.47:                               ;   in Loop: Header=BB4360_46 Depth=1
	v_lshlrev_b64 v[6:7], 3, v[4:5]
	v_mov_b32_e32 v11, s25
	v_add_co_u32_e32 v10, vcc, s24, v6
	v_addc_co_u32_e32 v11, vcc, v11, v7, vcc
	global_load_dwordx2 v[6:7], v[10:11], off glc
	s_waitcnt vmcnt(0)
	v_cmp_eq_u16_sdwa s[10:11], v7, v5 src0_sel:BYTE_0 src1_sel:DWORD
	s_and_saveexec_b64 s[8:9], s[10:11]
	s_cbranch_execz .LBB4360_45
; %bb.48:                               ;   in Loop: Header=BB4360_46 Depth=1
	s_mov_b64 s[10:11], 0
.LBB4360_49:                            ;   Parent Loop BB4360_46 Depth=1
                                        ; =>  This Inner Loop Header: Depth=2
	global_load_dwordx2 v[6:7], v[10:11], off glc
	s_waitcnt vmcnt(0)
	v_cmp_ne_u16_sdwa s[12:13], v7, v5 src0_sel:BYTE_0 src1_sel:DWORD
	s_or_b64 s[10:11], s[12:13], s[10:11]
	s_andn2_b64 exec, exec, s[10:11]
	s_cbranch_execnz .LBB4360_49
; %bb.50:                               ;   in Loop: Header=BB4360_46 Depth=1
	s_or_b64 exec, exec, s[10:11]
	s_branch .LBB4360_45
.LBB4360_51:                            ;   in Loop: Header=BB4360_46 Depth=1
                                        ; implicit-def: $vgpr6
                                        ; implicit-def: $vgpr7
	s_cbranch_execz .LBB4360_46
; %bb.52:
	s_and_saveexec_b64 s[8:9], s[2:3]
	s_cbranch_execz .LBB4360_54
; %bb.53:
	s_add_i32 s2, s6, 64
	s_mov_b32 s3, 0
	s_lshl_b64 s[2:3], s[2:3], 3
	s_add_u32 s2, s24, s2
	v_add_f32_e32 v2, v2, v41
	v_mov_b32_e32 v3, 2
	s_addc_u32 s3, s25, s3
	v_mov_b32_e32 v4, 0
	global_store_dwordx2 v4, v[2:3], s[2:3]
.LBB4360_54:
	s_or_b64 exec, exec, s[8:9]
	s_and_b64 exec, exec, s[0:1]
	s_cbranch_execz .LBB4360_56
; %bb.55:
	v_mov_b32_e32 v2, 0
	ds_write_b32 v2, v41
.LBB4360_56:
	s_or_b64 exec, exec, s[26:27]
	v_mov_b32_e32 v2, 0
	s_waitcnt lgkmcnt(0)
	s_barrier
	ds_read_b32 v2, v2
	s_waitcnt lgkmcnt(0)
	v_add_f32_e32 v3, v12, v2
	v_cndmask_b32_e64 v2, v3, v2, s[0:1]
	v_add_f32_e32 v3, v26, v2
	v_add_f32_e32 v4, v27, v3
	;; [unrolled: 1-line block ×13, first 2 shown]
	s_load_dwordx8 s[8:15], s[4:5], 0x38
	s_branch .LBB4360_67
.LBB4360_57:
                                        ; implicit-def: $vgpr2_vgpr3_vgpr4_vgpr5_vgpr6_vgpr7_vgpr8_vgpr9_vgpr10_vgpr11_vgpr12_vgpr13_vgpr14_vgpr15_vgpr16_vgpr17
	s_load_dwordx8 s[8:15], s[4:5], 0x38
	s_cbranch_execz .LBB4360_67
; %bb.58:
	s_load_dword s0, s[4:5], 0x20
	s_waitcnt lgkmcnt(0)
	s_cmp_eq_u64 s[12:13], 0
	v_mov_b32_e32 v16, s0
	s_cbranch_scc1 .LBB4360_60
; %bb.59:
	v_mov_b32_e32 v3, s30
	v_add_co_u32_e64 v2, vcc, -4, s29
	v_addc_co_u32_e32 v3, vcc, -1, v3, vcc
	v_mov_b32_e32 v4, 0
	flat_load_dword v5, v[2:3]
	global_load_dword v6, v4, s[8:9]
	s_waitcnt vmcnt(0) lgkmcnt(0)
	v_add_f32_e32 v16, v5, v6
.LBB4360_60:
	v_add_f32_e32 v2, v28, v35
	v_add_f32_e32 v2, v29, v2
	;; [unrolled: 1-line block ×12, first 2 shown]
	v_add_lshl_u32 v1, v1, v0, 2
	v_cmp_gt_u32_e32 vcc, 64, v0
	ds_write_b32 v1, v2
	s_waitcnt lgkmcnt(0)
	s_barrier
	s_and_saveexec_b64 s[4:5], vcc
	s_cbranch_execz .LBB4360_62
; %bb.61:
	v_lshlrev_b32_e32 v1, 1, v0
	v_lshrrev_b32_e32 v3, 4, v0
	v_add_lshl_u32 v1, v3, v1, 2
	ds_read2_b32 v[4:5], v1 offset1:1
	v_mbcnt_lo_u32_b32 v3, -1, 0
	v_mbcnt_hi_u32_b32 v3, -1, v3
	v_and_b32_e32 v6, 15, v3
	v_cmp_eq_u32_e32 vcc, 0, v6
	s_waitcnt lgkmcnt(0)
	v_add_f32_e32 v5, v4, v5
	v_cmp_lt_u32_e64 s[0:1], 3, v6
	v_cmp_lt_u32_e64 s[2:3], 31, v3
	v_mov_b32_dpp v7, v5 row_shr:1 row_mask:0xf bank_mask:0xf
	v_add_f32_e32 v7, v5, v7
	v_cndmask_b32_e32 v5, v7, v5, vcc
	v_cmp_lt_u32_e32 vcc, 1, v6
	s_nop 0
	v_mov_b32_dpp v7, v5 row_shr:2 row_mask:0xf bank_mask:0xf
	v_add_f32_e32 v7, v5, v7
	v_cndmask_b32_e32 v7, v5, v7, vcc
	; wave barrier
	s_nop 1
	v_mov_b32_dpp v8, v7 row_shr:4 row_mask:0xf bank_mask:0xf
	v_add_f32_e32 v8, v7, v8
	v_cndmask_b32_e64 v7, v7, v8, s[0:1]
	v_cmp_lt_u32_e64 s[0:1], 7, v6
	s_nop 0
	v_mov_b32_dpp v8, v7 row_shr:8 row_mask:0xf bank_mask:0xf
	v_add_f32_e32 v8, v7, v8
	v_cndmask_b32_e64 v6, v7, v8, s[0:1]
	v_and_b32_e32 v8, 16, v3
	v_cmp_eq_u32_e64 s[0:1], 0, v8
	v_mov_b32_dpp v7, v6 row_bcast:15 row_mask:0xf bank_mask:0xf
	v_add_f32_e32 v7, v6, v7
	v_cndmask_b32_e64 v6, v7, v6, s[0:1]
	v_cmp_lt_u32_e64 s[0:1], 15, v3
	s_or_b64 vcc, s[0:1], vcc
	v_mov_b32_dpp v7, v6 row_bcast:31 row_mask:0xf bank_mask:0xf
	v_add_f32_e32 v7, v6, v7
	v_cndmask_b32_e64 v6, v6, v7, s[2:3]
	v_cndmask_b32_e32 v5, v5, v6, vcc
	v_add_u32_e32 v6, -1, v3
	v_and_b32_e32 v7, 64, v3
	v_cmp_lt_i32_e32 vcc, v6, v7
	v_cndmask_b32_e32 v3, v6, v3, vcc
	v_lshlrev_b32_e32 v3, 2, v3
	ds_bpermute_b32 v3, v3, v5
	v_cmp_eq_u32_e32 vcc, 0, v0
	s_waitcnt lgkmcnt(0)
	v_add_f32_e32 v3, v4, v3
	v_cndmask_b32_e32 v2, v3, v2, vcc
	ds_write_b32 v1, v2
	; wave barrier
	ds_read_b32 v3, v1 offset:4
	s_waitcnt lgkmcnt(0)
	v_add_f32_e32 v2, v2, v3
	ds_write_b32 v1, v2 offset:4
.LBB4360_62:
	s_or_b64 exec, exec, s[4:5]
	v_cmp_eq_u32_e32 vcc, 0, v0
	v_cmp_ne_u32_e64 s[0:1], 0, v0
	v_mov_b32_e32 v2, v16
	s_waitcnt lgkmcnt(0)
	s_barrier
	s_and_saveexec_b64 s[2:3], s[0:1]
	s_cbranch_execz .LBB4360_64
; %bb.63:
	v_add_u32_e32 v1, -1, v0
	v_lshrrev_b32_e32 v2, 5, v1
	v_add_lshl_u32 v1, v2, v1, 2
	ds_read_b32 v1, v1
	s_waitcnt lgkmcnt(0)
	v_add_f32_e32 v2, v16, v1
.LBB4360_64:
	s_or_b64 exec, exec, s[2:3]
	v_add_f32_e32 v3, v26, v2
	v_add_f32_e32 v4, v27, v3
	;; [unrolled: 1-line block ×13, first 2 shown]
	s_and_saveexec_b64 s[0:1], vcc
	s_cbranch_execz .LBB4360_66
; %bb.65:
	v_mov_b32_e32 v1, 0
	ds_read_b32 v17, v1 offset:520
	s_waitcnt lgkmcnt(0)
	v_add_f32_e32 v16, v16, v17
	v_mov_b32_e32 v17, 2
	global_store_dwordx2 v1, v[16:17], s[24:25] offset:512
.LBB4360_66:
	s_or_b64 exec, exec, s[0:1]
.LBB4360_67:
	s_add_u32 s0, s16, s20
	s_addc_u32 s1, s17, s21
	s_add_u32 s2, s0, s22
	s_addc_u32 s3, s1, s23
	s_mov_b64 s[0:1], -1
	s_and_b64 vcc, exec, s[18:19]
	s_waitcnt lgkmcnt(0)
	s_barrier
	s_cbranch_vccz .LBB4360_69
; %bb.68:
	ds_write2_b64 v34, v[2:3], v[4:5] offset1:1
	ds_write2_b64 v34, v[6:7], v[8:9] offset0:2 offset1:3
	ds_write2_b64 v34, v[10:11], v[12:13] offset0:4 offset1:5
	ds_write_b64 v34, v[14:15] offset:48
	s_waitcnt lgkmcnt(0)
	s_barrier
	ds_read2st64_b32 v[16:17], v32 offset1:2
	ds_read2st64_b32 v[18:19], v32 offset0:4 offset1:6
	ds_read2st64_b32 v[20:21], v32 offset0:8 offset1:10
	;; [unrolled: 1-line block ×6, first 2 shown]
	v_mov_b32_e32 v1, s3
	v_add_co_u32_e32 v30, vcc, s2, v32
	v_addc_co_u32_e32 v31, vcc, 0, v1, vcc
	s_waitcnt lgkmcnt(6)
	flat_store_dword v[30:31], v16
	flat_store_dword v[30:31], v17 offset:512
	s_waitcnt lgkmcnt(0)
	flat_store_dword v[30:31], v18 offset:1024
	flat_store_dword v[30:31], v19 offset:1536
	;; [unrolled: 1-line block ×6, first 2 shown]
	v_add_co_u32_e32 v16, vcc, 0x1000, v30
	v_addc_co_u32_e32 v17, vcc, 0, v31, vcc
	flat_store_dword v[16:17], v24
	flat_store_dword v[16:17], v25 offset:512
	flat_store_dword v[16:17], v26 offset:1024
	;; [unrolled: 1-line block ×5, first 2 shown]
	s_mov_b64 s[0:1], 0
.LBB4360_69:
	s_andn2_b64 vcc, exec, s[0:1]
	s_cbranch_vccnz .LBB4360_149
; %bb.70:
	s_movk_i32 s0, 0xffcc
	ds_write2_b64 v34, v[2:3], v[4:5] offset1:1
	ds_write2_b64 v34, v[6:7], v[8:9] offset0:2 offset1:3
	ds_write2_b64 v34, v[10:11], v[12:13] offset0:4 offset1:5
	ds_write_b64 v34, v[14:15] offset:48
	v_mad_i32_i24 v14, v0, s0, v34
	s_waitcnt lgkmcnt(0)
	s_barrier
	ds_read2st64_b32 v[4:5], v14 offset1:2
	ds_read2st64_b32 v[6:7], v14 offset0:4 offset1:6
	ds_read2st64_b32 v[8:9], v14 offset0:8 offset1:10
	;; [unrolled: 1-line block ×6, first 2 shown]
	v_mov_b32_e32 v17, s3
	v_add_co_u32_e32 v16, vcc, s2, v32
	v_addc_co_u32_e32 v17, vcc, 0, v17, vcc
	v_mov_b32_e32 v1, 0
	v_cmp_gt_u32_e32 vcc, s7, v0
	s_and_saveexec_b64 s[0:1], vcc
	s_cbranch_execz .LBB4360_72
; %bb.71:
	s_waitcnt lgkmcnt(0)
	flat_store_dword v[16:17], v4
.LBB4360_72:
	s_or_b64 exec, exec, s[0:1]
	v_or_b32_e32 v18, 0x80, v0
	v_cmp_gt_u32_e32 vcc, s7, v18
	s_and_saveexec_b64 s[0:1], vcc
	s_cbranch_execz .LBB4360_74
; %bb.73:
	s_waitcnt lgkmcnt(0)
	flat_store_dword v[16:17], v5 offset:512
.LBB4360_74:
	s_or_b64 exec, exec, s[0:1]
	v_or_b32_e32 v18, 0x100, v0
	v_cmp_gt_u32_e32 vcc, s7, v18
	s_and_saveexec_b64 s[0:1], vcc
	s_cbranch_execz .LBB4360_76
; %bb.75:
	s_waitcnt lgkmcnt(0)
	flat_store_dword v[16:17], v6 offset:1024
.LBB4360_76:
	s_or_b64 exec, exec, s[0:1]
	v_or_b32_e32 v18, 0x180, v0
	v_cmp_gt_u32_e32 vcc, s7, v18
	s_and_saveexec_b64 s[0:1], vcc
	s_cbranch_execz .LBB4360_78
; %bb.77:
	s_waitcnt lgkmcnt(0)
	flat_store_dword v[16:17], v7 offset:1536
.LBB4360_78:
	s_or_b64 exec, exec, s[0:1]
	v_or_b32_e32 v18, 0x200, v0
	v_cmp_gt_u32_e32 vcc, s7, v18
	s_and_saveexec_b64 s[0:1], vcc
	s_cbranch_execz .LBB4360_80
; %bb.79:
	s_waitcnt lgkmcnt(0)
	flat_store_dword v[16:17], v8 offset:2048
.LBB4360_80:
	s_or_b64 exec, exec, s[0:1]
	v_or_b32_e32 v18, 0x280, v0
	v_cmp_gt_u32_e32 vcc, s7, v18
	s_and_saveexec_b64 s[0:1], vcc
	s_cbranch_execz .LBB4360_82
; %bb.81:
	s_waitcnt lgkmcnt(0)
	flat_store_dword v[16:17], v9 offset:2560
.LBB4360_82:
	s_or_b64 exec, exec, s[0:1]
	v_or_b32_e32 v18, 0x300, v0
	v_cmp_gt_u32_e32 vcc, s7, v18
	s_and_saveexec_b64 s[0:1], vcc
	s_cbranch_execz .LBB4360_84
; %bb.83:
	s_waitcnt lgkmcnt(0)
	flat_store_dword v[16:17], v2 offset:3072
.LBB4360_84:
	s_or_b64 exec, exec, s[0:1]
	v_or_b32_e32 v18, 0x380, v0
	v_cmp_gt_u32_e32 vcc, s7, v18
	s_and_saveexec_b64 s[0:1], vcc
	s_cbranch_execz .LBB4360_86
; %bb.85:
	s_waitcnt lgkmcnt(0)
	flat_store_dword v[16:17], v3 offset:3584
.LBB4360_86:
	s_or_b64 exec, exec, s[0:1]
	v_or_b32_e32 v18, 0x400, v0
	v_cmp_gt_u32_e32 vcc, s7, v18
	s_and_saveexec_b64 s[0:1], vcc
	s_cbranch_execz .LBB4360_88
; %bb.87:
	v_add_co_u32_e32 v18, vcc, 0x1000, v16
	v_addc_co_u32_e32 v19, vcc, 0, v17, vcc
	s_waitcnt lgkmcnt(0)
	flat_store_dword v[18:19], v12
.LBB4360_88:
	s_or_b64 exec, exec, s[0:1]
	v_or_b32_e32 v18, 0x480, v0
	v_cmp_gt_u32_e32 vcc, s7, v18
	s_and_saveexec_b64 s[0:1], vcc
	s_cbranch_execz .LBB4360_90
; %bb.89:
	v_add_co_u32_e32 v18, vcc, 0x1000, v16
	v_addc_co_u32_e32 v19, vcc, 0, v17, vcc
	s_waitcnt lgkmcnt(0)
	flat_store_dword v[18:19], v13 offset:512
.LBB4360_90:
	s_or_b64 exec, exec, s[0:1]
	v_or_b32_e32 v18, 0x500, v0
	v_cmp_gt_u32_e32 vcc, s7, v18
	s_and_saveexec_b64 s[0:1], vcc
	s_cbranch_execz .LBB4360_92
; %bb.91:
	v_add_co_u32_e32 v18, vcc, 0x1000, v16
	v_addc_co_u32_e32 v19, vcc, 0, v17, vcc
	s_waitcnt lgkmcnt(0)
	flat_store_dword v[18:19], v10 offset:1024
.LBB4360_92:
	;; [unrolled: 11-line block ×5, first 2 shown]
	s_or_b64 exec, exec, s[0:1]
	v_cmp_lt_u64_e64 s[0:1], s[14:15], 2
	s_and_b64 vcc, exec, s[0:1]
	s_cbranch_vccnz .LBB4360_149
; %bb.99:
	s_add_u32 s0, s7, -1
	s_addc_u32 s1, s28, -1
	s_add_u32 s2, 0, 0x49240800
	s_addc_u32 s3, 0, 50
	s_add_i32 s3, s3, 0x12492460
	s_mul_hi_u32 s7, s2, -14
	s_sub_i32 s7, s7, s2
	s_mul_i32 s8, s3, -14
	s_mul_i32 s4, s2, -14
	s_add_i32 s7, s7, s8
	s_mul_hi_u32 s5, s3, s4
	s_mul_i32 s6, s3, s4
	s_mul_i32 s9, s2, s7
	s_mul_hi_u32 s4, s2, s4
	s_mul_hi_u32 s8, s2, s7
	s_add_u32 s4, s4, s9
	s_addc_u32 s8, 0, s8
	s_add_u32 s4, s4, s6
	s_mul_hi_u32 s9, s3, s7
	s_addc_u32 s4, s8, s5
	s_addc_u32 s5, s9, 0
	s_mul_i32 s6, s3, s7
	s_add_u32 s4, s4, s6
	v_mov_b32_e32 v16, s4
	s_addc_u32 s5, 0, s5
	v_add_co_u32_e32 v16, vcc, s2, v16
	s_cmp_lg_u64 vcc, 0
	s_addc_u32 s2, s3, s5
	v_readfirstlane_b32 s5, v16
	s_mul_i32 s4, s0, s2
	s_mul_hi_u32 s6, s0, s5
	s_mul_hi_u32 s3, s0, s2
	s_add_u32 s4, s6, s4
	s_addc_u32 s3, 0, s3
	s_mul_hi_u32 s7, s1, s5
	s_mul_i32 s5, s1, s5
	s_add_u32 s4, s4, s5
	s_mul_hi_u32 s6, s1, s2
	s_addc_u32 s3, s3, s7
	s_addc_u32 s4, s6, 0
	s_mul_i32 s2, s1, s2
	s_add_u32 s2, s3, s2
	s_addc_u32 s3, 0, s4
	s_add_u32 s4, s2, 1
	s_addc_u32 s5, s3, 0
	s_add_u32 s6, s2, 2
	s_mul_i32 s8, s3, 14
	s_mul_hi_u32 s9, s2, 14
	s_addc_u32 s7, s3, 0
	s_add_i32 s9, s9, s8
	s_mul_i32 s8, s2, 14
	v_mov_b32_e32 v16, s8
	v_sub_co_u32_e32 v16, vcc, s0, v16
	s_cmp_lg_u64 vcc, 0
	s_subb_u32 s8, s1, s9
	v_subrev_co_u32_e32 v17, vcc, 14, v16
	s_cmp_lg_u64 vcc, 0
	s_subb_u32 s9, s8, 0
	v_readfirstlane_b32 s12, v17
	s_cmp_gt_u32 s12, 13
	s_cselect_b32 s12, -1, 0
	s_cmp_eq_u32 s9, 0
	s_cselect_b32 s9, s12, -1
	s_cmp_lg_u32 s9, 0
	s_cselect_b32 s4, s6, s4
	v_readfirstlane_b32 s6, v16
	s_cselect_b32 s5, s7, s5
	s_cmp_gt_u32 s6, 13
	s_cselect_b32 s6, -1, 0
	s_cmp_eq_u32 s8, 0
	s_cselect_b32 s6, s6, -1
	s_cmp_lg_u32 s6, 0
	s_cselect_b32 s3, s5, s3
	s_cselect_b32 s2, s4, s2
	v_cmp_eq_u64_e32 vcc, s[2:3], v[0:1]
	s_and_saveexec_b64 s[2:3], vcc
	s_cbranch_execz .LBB4360_149
; %bb.100:
	v_mul_hi_u32_u24_e32 v1, 14, v0
	v_mov_b32_e32 v16, s1
	v_sub_co_u32_e32 v0, vcc, s0, v33
	v_subb_co_u32_e32 v1, vcc, v16, v1, vcc
	v_cmp_lt_i64_e32 vcc, 6, v[0:1]
	s_and_saveexec_b64 s[0:1], vcc
	s_xor_b64 s[0:1], exec, s[0:1]
	s_cbranch_execz .LBB4360_126
; %bb.101:
	v_cmp_lt_i64_e32 vcc, 9, v[0:1]
	s_and_saveexec_b64 s[2:3], vcc
	s_xor_b64 s[2:3], exec, s[2:3]
	s_cbranch_execz .LBB4360_115
; %bb.102:
	;; [unrolled: 5-line block ×4, first 2 shown]
	v_mov_b32_e32 v0, 0
	s_waitcnt lgkmcnt(0)
	global_store_dword v0, v15, s[10:11]
                                        ; implicit-def: $vgpr14_vgpr15
.LBB4360_105:
	s_andn2_saveexec_b64 s[6:7], s[6:7]
	s_cbranch_execz .LBB4360_107
; %bb.106:
	v_mov_b32_e32 v0, 0
	s_waitcnt lgkmcnt(0)
	global_store_dword v0, v14, s[10:11]
.LBB4360_107:
	s_or_b64 exec, exec, s[6:7]
                                        ; implicit-def: $vgpr10_vgpr11
                                        ; implicit-def: $vgpr0_vgpr1
.LBB4360_108:
	s_andn2_saveexec_b64 s[4:5], s[4:5]
	s_cbranch_execz .LBB4360_114
; %bb.109:
	v_cmp_lt_i64_e32 vcc, 10, v[0:1]
	s_and_saveexec_b64 s[6:7], vcc
	s_xor_b64 s[6:7], exec, s[6:7]
	s_cbranch_execz .LBB4360_111
; %bb.110:
	v_mov_b32_e32 v0, 0
	s_waitcnt lgkmcnt(0)
	global_store_dword v0, v11, s[10:11]
                                        ; implicit-def: $vgpr10_vgpr11
.LBB4360_111:
	s_andn2_saveexec_b64 s[6:7], s[6:7]
	s_cbranch_execz .LBB4360_113
; %bb.112:
	v_mov_b32_e32 v0, 0
	s_waitcnt lgkmcnt(0)
	global_store_dword v0, v10, s[10:11]
.LBB4360_113:
	s_or_b64 exec, exec, s[6:7]
.LBB4360_114:
	s_or_b64 exec, exec, s[4:5]
                                        ; implicit-def: $vgpr2_vgpr3
                                        ; implicit-def: $vgpr0_vgpr1
                                        ; implicit-def: $vgpr12_vgpr13
.LBB4360_115:
	s_andn2_saveexec_b64 s[2:3], s[2:3]
	s_cbranch_execz .LBB4360_125
; %bb.116:
	v_cmp_lt_i64_e32 vcc, 7, v[0:1]
	s_and_saveexec_b64 s[4:5], vcc
	s_xor_b64 s[4:5], exec, s[4:5]
	s_cbranch_execz .LBB4360_122
; %bb.117:
	v_cmp_lt_i64_e32 vcc, 8, v[0:1]
	s_and_saveexec_b64 s[6:7], vcc
	s_xor_b64 s[6:7], exec, s[6:7]
	s_cbranch_execz .LBB4360_119
; %bb.118:
	v_mov_b32_e32 v0, 0
	s_waitcnt lgkmcnt(0)
	global_store_dword v0, v13, s[10:11]
                                        ; implicit-def: $vgpr12_vgpr13
.LBB4360_119:
	s_andn2_saveexec_b64 s[6:7], s[6:7]
	s_cbranch_execz .LBB4360_121
; %bb.120:
	v_mov_b32_e32 v0, 0
	s_waitcnt lgkmcnt(0)
	global_store_dword v0, v12, s[10:11]
.LBB4360_121:
	s_or_b64 exec, exec, s[6:7]
                                        ; implicit-def: $vgpr2_vgpr3
.LBB4360_122:
	s_andn2_saveexec_b64 s[4:5], s[4:5]
	s_cbranch_execz .LBB4360_124
; %bb.123:
	v_mov_b32_e32 v0, 0
	s_waitcnt lgkmcnt(0)
	global_store_dword v0, v3, s[10:11]
.LBB4360_124:
	s_or_b64 exec, exec, s[4:5]
.LBB4360_125:
	s_or_b64 exec, exec, s[2:3]
                                        ; implicit-def: $vgpr0_vgpr1
                                        ; implicit-def: $vgpr8_vgpr9
                                        ; implicit-def: $vgpr4_vgpr5
                                        ; implicit-def: $vgpr6_vgpr7
                                        ; implicit-def: $vgpr2_vgpr3
.LBB4360_126:
	s_andn2_saveexec_b64 s[0:1], s[0:1]
	s_cbranch_execz .LBB4360_149
; %bb.127:
	v_cmp_lt_i64_e32 vcc, 3, v[0:1]
	s_and_saveexec_b64 s[0:1], vcc
	s_xor_b64 s[0:1], exec, s[0:1]
	s_cbranch_execz .LBB4360_137
; %bb.128:
	v_cmp_lt_i64_e32 vcc, 4, v[0:1]
	s_and_saveexec_b64 s[2:3], vcc
	s_xor_b64 s[2:3], exec, s[2:3]
	;; [unrolled: 5-line block ×3, first 2 shown]
	s_cbranch_execz .LBB4360_131
; %bb.130:
	v_mov_b32_e32 v0, 0
	s_waitcnt lgkmcnt(0)
	global_store_dword v0, v2, s[10:11]
                                        ; implicit-def: $vgpr8_vgpr9
.LBB4360_131:
	s_andn2_saveexec_b64 s[4:5], s[4:5]
	s_cbranch_execz .LBB4360_133
; %bb.132:
	v_mov_b32_e32 v0, 0
	s_waitcnt lgkmcnt(0)
	global_store_dword v0, v9, s[10:11]
.LBB4360_133:
	s_or_b64 exec, exec, s[4:5]
                                        ; implicit-def: $vgpr8_vgpr9
.LBB4360_134:
	s_andn2_saveexec_b64 s[2:3], s[2:3]
	s_cbranch_execz .LBB4360_136
; %bb.135:
	v_mov_b32_e32 v0, 0
	s_waitcnt lgkmcnt(0)
	global_store_dword v0, v8, s[10:11]
.LBB4360_136:
	s_or_b64 exec, exec, s[2:3]
                                        ; implicit-def: $vgpr0_vgpr1
                                        ; implicit-def: $vgpr4_vgpr5
                                        ; implicit-def: $vgpr6_vgpr7
.LBB4360_137:
	s_andn2_saveexec_b64 s[0:1], s[0:1]
	s_cbranch_execz .LBB4360_149
; %bb.138:
	v_cmp_lt_i64_e32 vcc, 1, v[0:1]
	s_and_saveexec_b64 s[0:1], vcc
	s_xor_b64 s[0:1], exec, s[0:1]
	s_cbranch_execz .LBB4360_144
; %bb.139:
	v_cmp_lt_i64_e32 vcc, 2, v[0:1]
	s_and_saveexec_b64 s[2:3], vcc
	s_xor_b64 s[2:3], exec, s[2:3]
	s_cbranch_execz .LBB4360_141
; %bb.140:
	v_mov_b32_e32 v0, 0
	s_waitcnt lgkmcnt(0)
	global_store_dword v0, v7, s[10:11]
                                        ; implicit-def: $vgpr6_vgpr7
.LBB4360_141:
	s_andn2_saveexec_b64 s[2:3], s[2:3]
	s_cbranch_execz .LBB4360_143
; %bb.142:
	v_mov_b32_e32 v0, 0
	s_waitcnt lgkmcnt(0)
	global_store_dword v0, v6, s[10:11]
.LBB4360_143:
	s_or_b64 exec, exec, s[2:3]
                                        ; implicit-def: $vgpr4_vgpr5
                                        ; implicit-def: $vgpr0_vgpr1
.LBB4360_144:
	s_andn2_saveexec_b64 s[0:1], s[0:1]
	s_cbranch_execz .LBB4360_149
; %bb.145:
	v_cmp_ne_u64_e32 vcc, 1, v[0:1]
	s_and_saveexec_b64 s[0:1], vcc
	s_xor_b64 s[0:1], exec, s[0:1]
	s_cbranch_execz .LBB4360_147
; %bb.146:
	v_mov_b32_e32 v0, 0
	s_waitcnt lgkmcnt(0)
	global_store_dword v0, v4, s[10:11]
                                        ; implicit-def: $vgpr4_vgpr5
.LBB4360_147:
	s_andn2_saveexec_b64 s[0:1], s[0:1]
	s_cbranch_execz .LBB4360_149
; %bb.148:
	v_mov_b32_e32 v0, 0
	s_waitcnt lgkmcnt(0)
	global_store_dword v0, v5, s[10:11]
.LBB4360_149:
	s_endpgm
	.section	.rodata,"a",@progbits
	.p2align	6, 0x0
	.amdhsa_kernel _ZN7rocprim17ROCPRIM_400000_NS6detail17trampoline_kernelINS0_14default_configENS1_20scan_config_selectorIfEEZZNS1_9scan_implILNS1_25lookback_scan_determinismE0ELb1ELb1ES3_N6thrust23THRUST_200600_302600_NS6detail15normal_iteratorINS9_10device_ptrIfEEEESE_fNS9_4plusIvEEfEEDaPvRmT3_T4_T5_mT6_P12ihipStream_tbENKUlT_T0_E_clISt17integral_constantIbLb0EESU_EEDaSP_SQ_EUlSP_E_NS1_11comp_targetILNS1_3genE4ELNS1_11target_archE910ELNS1_3gpuE8ELNS1_3repE0EEENS1_30default_config_static_selectorELNS0_4arch9wavefront6targetE1EEEvT1_
		.amdhsa_group_segment_fixed_size 7168
		.amdhsa_private_segment_fixed_size 0
		.amdhsa_kernarg_size 96
		.amdhsa_user_sgpr_count 6
		.amdhsa_user_sgpr_private_segment_buffer 1
		.amdhsa_user_sgpr_dispatch_ptr 0
		.amdhsa_user_sgpr_queue_ptr 0
		.amdhsa_user_sgpr_kernarg_segment_ptr 1
		.amdhsa_user_sgpr_dispatch_id 0
		.amdhsa_user_sgpr_flat_scratch_init 0
		.amdhsa_user_sgpr_kernarg_preload_length 0
		.amdhsa_user_sgpr_kernarg_preload_offset 0
		.amdhsa_user_sgpr_private_segment_size 0
		.amdhsa_uses_dynamic_stack 0
		.amdhsa_system_sgpr_private_segment_wavefront_offset 0
		.amdhsa_system_sgpr_workgroup_id_x 1
		.amdhsa_system_sgpr_workgroup_id_y 0
		.amdhsa_system_sgpr_workgroup_id_z 0
		.amdhsa_system_sgpr_workgroup_info 0
		.amdhsa_system_vgpr_workitem_id 0
		.amdhsa_next_free_vgpr 49
		.amdhsa_next_free_sgpr 31
		.amdhsa_accum_offset 52
		.amdhsa_reserve_vcc 1
		.amdhsa_reserve_flat_scratch 0
		.amdhsa_float_round_mode_32 0
		.amdhsa_float_round_mode_16_64 0
		.amdhsa_float_denorm_mode_32 3
		.amdhsa_float_denorm_mode_16_64 3
		.amdhsa_dx10_clamp 1
		.amdhsa_ieee_mode 1
		.amdhsa_fp16_overflow 0
		.amdhsa_tg_split 0
		.amdhsa_exception_fp_ieee_invalid_op 0
		.amdhsa_exception_fp_denorm_src 0
		.amdhsa_exception_fp_ieee_div_zero 0
		.amdhsa_exception_fp_ieee_overflow 0
		.amdhsa_exception_fp_ieee_underflow 0
		.amdhsa_exception_fp_ieee_inexact 0
		.amdhsa_exception_int_div_zero 0
	.end_amdhsa_kernel
	.section	.text._ZN7rocprim17ROCPRIM_400000_NS6detail17trampoline_kernelINS0_14default_configENS1_20scan_config_selectorIfEEZZNS1_9scan_implILNS1_25lookback_scan_determinismE0ELb1ELb1ES3_N6thrust23THRUST_200600_302600_NS6detail15normal_iteratorINS9_10device_ptrIfEEEESE_fNS9_4plusIvEEfEEDaPvRmT3_T4_T5_mT6_P12ihipStream_tbENKUlT_T0_E_clISt17integral_constantIbLb0EESU_EEDaSP_SQ_EUlSP_E_NS1_11comp_targetILNS1_3genE4ELNS1_11target_archE910ELNS1_3gpuE8ELNS1_3repE0EEENS1_30default_config_static_selectorELNS0_4arch9wavefront6targetE1EEEvT1_,"axG",@progbits,_ZN7rocprim17ROCPRIM_400000_NS6detail17trampoline_kernelINS0_14default_configENS1_20scan_config_selectorIfEEZZNS1_9scan_implILNS1_25lookback_scan_determinismE0ELb1ELb1ES3_N6thrust23THRUST_200600_302600_NS6detail15normal_iteratorINS9_10device_ptrIfEEEESE_fNS9_4plusIvEEfEEDaPvRmT3_T4_T5_mT6_P12ihipStream_tbENKUlT_T0_E_clISt17integral_constantIbLb0EESU_EEDaSP_SQ_EUlSP_E_NS1_11comp_targetILNS1_3genE4ELNS1_11target_archE910ELNS1_3gpuE8ELNS1_3repE0EEENS1_30default_config_static_selectorELNS0_4arch9wavefront6targetE1EEEvT1_,comdat
.Lfunc_end4360:
	.size	_ZN7rocprim17ROCPRIM_400000_NS6detail17trampoline_kernelINS0_14default_configENS1_20scan_config_selectorIfEEZZNS1_9scan_implILNS1_25lookback_scan_determinismE0ELb1ELb1ES3_N6thrust23THRUST_200600_302600_NS6detail15normal_iteratorINS9_10device_ptrIfEEEESE_fNS9_4plusIvEEfEEDaPvRmT3_T4_T5_mT6_P12ihipStream_tbENKUlT_T0_E_clISt17integral_constantIbLb0EESU_EEDaSP_SQ_EUlSP_E_NS1_11comp_targetILNS1_3genE4ELNS1_11target_archE910ELNS1_3gpuE8ELNS1_3repE0EEENS1_30default_config_static_selectorELNS0_4arch9wavefront6targetE1EEEvT1_, .Lfunc_end4360-_ZN7rocprim17ROCPRIM_400000_NS6detail17trampoline_kernelINS0_14default_configENS1_20scan_config_selectorIfEEZZNS1_9scan_implILNS1_25lookback_scan_determinismE0ELb1ELb1ES3_N6thrust23THRUST_200600_302600_NS6detail15normal_iteratorINS9_10device_ptrIfEEEESE_fNS9_4plusIvEEfEEDaPvRmT3_T4_T5_mT6_P12ihipStream_tbENKUlT_T0_E_clISt17integral_constantIbLb0EESU_EEDaSP_SQ_EUlSP_E_NS1_11comp_targetILNS1_3genE4ELNS1_11target_archE910ELNS1_3gpuE8ELNS1_3repE0EEENS1_30default_config_static_selectorELNS0_4arch9wavefront6targetE1EEEvT1_
                                        ; -- End function
	.section	.AMDGPU.csdata,"",@progbits
; Kernel info:
; codeLenInByte = 5596
; NumSgprs: 35
; NumVgprs: 49
; NumAgprs: 0
; TotalNumVgprs: 49
; ScratchSize: 0
; MemoryBound: 0
; FloatMode: 240
; IeeeMode: 1
; LDSByteSize: 7168 bytes/workgroup (compile time only)
; SGPRBlocks: 4
; VGPRBlocks: 6
; NumSGPRsForWavesPerEU: 35
; NumVGPRsForWavesPerEU: 49
; AccumOffset: 52
; Occupancy: 5
; WaveLimiterHint : 1
; COMPUTE_PGM_RSRC2:SCRATCH_EN: 0
; COMPUTE_PGM_RSRC2:USER_SGPR: 6
; COMPUTE_PGM_RSRC2:TRAP_HANDLER: 0
; COMPUTE_PGM_RSRC2:TGID_X_EN: 1
; COMPUTE_PGM_RSRC2:TGID_Y_EN: 0
; COMPUTE_PGM_RSRC2:TGID_Z_EN: 0
; COMPUTE_PGM_RSRC2:TIDIG_COMP_CNT: 0
; COMPUTE_PGM_RSRC3_GFX90A:ACCUM_OFFSET: 12
; COMPUTE_PGM_RSRC3_GFX90A:TG_SPLIT: 0
	.section	.text._ZN7rocprim17ROCPRIM_400000_NS6detail17trampoline_kernelINS0_14default_configENS1_20scan_config_selectorIfEEZZNS1_9scan_implILNS1_25lookback_scan_determinismE0ELb1ELb1ES3_N6thrust23THRUST_200600_302600_NS6detail15normal_iteratorINS9_10device_ptrIfEEEESE_fNS9_4plusIvEEfEEDaPvRmT3_T4_T5_mT6_P12ihipStream_tbENKUlT_T0_E_clISt17integral_constantIbLb0EESU_EEDaSP_SQ_EUlSP_E_NS1_11comp_targetILNS1_3genE3ELNS1_11target_archE908ELNS1_3gpuE7ELNS1_3repE0EEENS1_30default_config_static_selectorELNS0_4arch9wavefront6targetE1EEEvT1_,"axG",@progbits,_ZN7rocprim17ROCPRIM_400000_NS6detail17trampoline_kernelINS0_14default_configENS1_20scan_config_selectorIfEEZZNS1_9scan_implILNS1_25lookback_scan_determinismE0ELb1ELb1ES3_N6thrust23THRUST_200600_302600_NS6detail15normal_iteratorINS9_10device_ptrIfEEEESE_fNS9_4plusIvEEfEEDaPvRmT3_T4_T5_mT6_P12ihipStream_tbENKUlT_T0_E_clISt17integral_constantIbLb0EESU_EEDaSP_SQ_EUlSP_E_NS1_11comp_targetILNS1_3genE3ELNS1_11target_archE908ELNS1_3gpuE7ELNS1_3repE0EEENS1_30default_config_static_selectorELNS0_4arch9wavefront6targetE1EEEvT1_,comdat
	.protected	_ZN7rocprim17ROCPRIM_400000_NS6detail17trampoline_kernelINS0_14default_configENS1_20scan_config_selectorIfEEZZNS1_9scan_implILNS1_25lookback_scan_determinismE0ELb1ELb1ES3_N6thrust23THRUST_200600_302600_NS6detail15normal_iteratorINS9_10device_ptrIfEEEESE_fNS9_4plusIvEEfEEDaPvRmT3_T4_T5_mT6_P12ihipStream_tbENKUlT_T0_E_clISt17integral_constantIbLb0EESU_EEDaSP_SQ_EUlSP_E_NS1_11comp_targetILNS1_3genE3ELNS1_11target_archE908ELNS1_3gpuE7ELNS1_3repE0EEENS1_30default_config_static_selectorELNS0_4arch9wavefront6targetE1EEEvT1_ ; -- Begin function _ZN7rocprim17ROCPRIM_400000_NS6detail17trampoline_kernelINS0_14default_configENS1_20scan_config_selectorIfEEZZNS1_9scan_implILNS1_25lookback_scan_determinismE0ELb1ELb1ES3_N6thrust23THRUST_200600_302600_NS6detail15normal_iteratorINS9_10device_ptrIfEEEESE_fNS9_4plusIvEEfEEDaPvRmT3_T4_T5_mT6_P12ihipStream_tbENKUlT_T0_E_clISt17integral_constantIbLb0EESU_EEDaSP_SQ_EUlSP_E_NS1_11comp_targetILNS1_3genE3ELNS1_11target_archE908ELNS1_3gpuE7ELNS1_3repE0EEENS1_30default_config_static_selectorELNS0_4arch9wavefront6targetE1EEEvT1_
	.globl	_ZN7rocprim17ROCPRIM_400000_NS6detail17trampoline_kernelINS0_14default_configENS1_20scan_config_selectorIfEEZZNS1_9scan_implILNS1_25lookback_scan_determinismE0ELb1ELb1ES3_N6thrust23THRUST_200600_302600_NS6detail15normal_iteratorINS9_10device_ptrIfEEEESE_fNS9_4plusIvEEfEEDaPvRmT3_T4_T5_mT6_P12ihipStream_tbENKUlT_T0_E_clISt17integral_constantIbLb0EESU_EEDaSP_SQ_EUlSP_E_NS1_11comp_targetILNS1_3genE3ELNS1_11target_archE908ELNS1_3gpuE7ELNS1_3repE0EEENS1_30default_config_static_selectorELNS0_4arch9wavefront6targetE1EEEvT1_
	.p2align	8
	.type	_ZN7rocprim17ROCPRIM_400000_NS6detail17trampoline_kernelINS0_14default_configENS1_20scan_config_selectorIfEEZZNS1_9scan_implILNS1_25lookback_scan_determinismE0ELb1ELb1ES3_N6thrust23THRUST_200600_302600_NS6detail15normal_iteratorINS9_10device_ptrIfEEEESE_fNS9_4plusIvEEfEEDaPvRmT3_T4_T5_mT6_P12ihipStream_tbENKUlT_T0_E_clISt17integral_constantIbLb0EESU_EEDaSP_SQ_EUlSP_E_NS1_11comp_targetILNS1_3genE3ELNS1_11target_archE908ELNS1_3gpuE7ELNS1_3repE0EEENS1_30default_config_static_selectorELNS0_4arch9wavefront6targetE1EEEvT1_,@function
_ZN7rocprim17ROCPRIM_400000_NS6detail17trampoline_kernelINS0_14default_configENS1_20scan_config_selectorIfEEZZNS1_9scan_implILNS1_25lookback_scan_determinismE0ELb1ELb1ES3_N6thrust23THRUST_200600_302600_NS6detail15normal_iteratorINS9_10device_ptrIfEEEESE_fNS9_4plusIvEEfEEDaPvRmT3_T4_T5_mT6_P12ihipStream_tbENKUlT_T0_E_clISt17integral_constantIbLb0EESU_EEDaSP_SQ_EUlSP_E_NS1_11comp_targetILNS1_3genE3ELNS1_11target_archE908ELNS1_3gpuE7ELNS1_3repE0EEENS1_30default_config_static_selectorELNS0_4arch9wavefront6targetE1EEEvT1_: ; @_ZN7rocprim17ROCPRIM_400000_NS6detail17trampoline_kernelINS0_14default_configENS1_20scan_config_selectorIfEEZZNS1_9scan_implILNS1_25lookback_scan_determinismE0ELb1ELb1ES3_N6thrust23THRUST_200600_302600_NS6detail15normal_iteratorINS9_10device_ptrIfEEEESE_fNS9_4plusIvEEfEEDaPvRmT3_T4_T5_mT6_P12ihipStream_tbENKUlT_T0_E_clISt17integral_constantIbLb0EESU_EEDaSP_SQ_EUlSP_E_NS1_11comp_targetILNS1_3genE3ELNS1_11target_archE908ELNS1_3gpuE7ELNS1_3repE0EEENS1_30default_config_static_selectorELNS0_4arch9wavefront6targetE1EEEvT1_
; %bb.0:
	.section	.rodata,"a",@progbits
	.p2align	6, 0x0
	.amdhsa_kernel _ZN7rocprim17ROCPRIM_400000_NS6detail17trampoline_kernelINS0_14default_configENS1_20scan_config_selectorIfEEZZNS1_9scan_implILNS1_25lookback_scan_determinismE0ELb1ELb1ES3_N6thrust23THRUST_200600_302600_NS6detail15normal_iteratorINS9_10device_ptrIfEEEESE_fNS9_4plusIvEEfEEDaPvRmT3_T4_T5_mT6_P12ihipStream_tbENKUlT_T0_E_clISt17integral_constantIbLb0EESU_EEDaSP_SQ_EUlSP_E_NS1_11comp_targetILNS1_3genE3ELNS1_11target_archE908ELNS1_3gpuE7ELNS1_3repE0EEENS1_30default_config_static_selectorELNS0_4arch9wavefront6targetE1EEEvT1_
		.amdhsa_group_segment_fixed_size 0
		.amdhsa_private_segment_fixed_size 0
		.amdhsa_kernarg_size 96
		.amdhsa_user_sgpr_count 6
		.amdhsa_user_sgpr_private_segment_buffer 1
		.amdhsa_user_sgpr_dispatch_ptr 0
		.amdhsa_user_sgpr_queue_ptr 0
		.amdhsa_user_sgpr_kernarg_segment_ptr 1
		.amdhsa_user_sgpr_dispatch_id 0
		.amdhsa_user_sgpr_flat_scratch_init 0
		.amdhsa_user_sgpr_kernarg_preload_length 0
		.amdhsa_user_sgpr_kernarg_preload_offset 0
		.amdhsa_user_sgpr_private_segment_size 0
		.amdhsa_uses_dynamic_stack 0
		.amdhsa_system_sgpr_private_segment_wavefront_offset 0
		.amdhsa_system_sgpr_workgroup_id_x 1
		.amdhsa_system_sgpr_workgroup_id_y 0
		.amdhsa_system_sgpr_workgroup_id_z 0
		.amdhsa_system_sgpr_workgroup_info 0
		.amdhsa_system_vgpr_workitem_id 0
		.amdhsa_next_free_vgpr 1
		.amdhsa_next_free_sgpr 0
		.amdhsa_accum_offset 4
		.amdhsa_reserve_vcc 0
		.amdhsa_reserve_flat_scratch 0
		.amdhsa_float_round_mode_32 0
		.amdhsa_float_round_mode_16_64 0
		.amdhsa_float_denorm_mode_32 3
		.amdhsa_float_denorm_mode_16_64 3
		.amdhsa_dx10_clamp 1
		.amdhsa_ieee_mode 1
		.amdhsa_fp16_overflow 0
		.amdhsa_tg_split 0
		.amdhsa_exception_fp_ieee_invalid_op 0
		.amdhsa_exception_fp_denorm_src 0
		.amdhsa_exception_fp_ieee_div_zero 0
		.amdhsa_exception_fp_ieee_overflow 0
		.amdhsa_exception_fp_ieee_underflow 0
		.amdhsa_exception_fp_ieee_inexact 0
		.amdhsa_exception_int_div_zero 0
	.end_amdhsa_kernel
	.section	.text._ZN7rocprim17ROCPRIM_400000_NS6detail17trampoline_kernelINS0_14default_configENS1_20scan_config_selectorIfEEZZNS1_9scan_implILNS1_25lookback_scan_determinismE0ELb1ELb1ES3_N6thrust23THRUST_200600_302600_NS6detail15normal_iteratorINS9_10device_ptrIfEEEESE_fNS9_4plusIvEEfEEDaPvRmT3_T4_T5_mT6_P12ihipStream_tbENKUlT_T0_E_clISt17integral_constantIbLb0EESU_EEDaSP_SQ_EUlSP_E_NS1_11comp_targetILNS1_3genE3ELNS1_11target_archE908ELNS1_3gpuE7ELNS1_3repE0EEENS1_30default_config_static_selectorELNS0_4arch9wavefront6targetE1EEEvT1_,"axG",@progbits,_ZN7rocprim17ROCPRIM_400000_NS6detail17trampoline_kernelINS0_14default_configENS1_20scan_config_selectorIfEEZZNS1_9scan_implILNS1_25lookback_scan_determinismE0ELb1ELb1ES3_N6thrust23THRUST_200600_302600_NS6detail15normal_iteratorINS9_10device_ptrIfEEEESE_fNS9_4plusIvEEfEEDaPvRmT3_T4_T5_mT6_P12ihipStream_tbENKUlT_T0_E_clISt17integral_constantIbLb0EESU_EEDaSP_SQ_EUlSP_E_NS1_11comp_targetILNS1_3genE3ELNS1_11target_archE908ELNS1_3gpuE7ELNS1_3repE0EEENS1_30default_config_static_selectorELNS0_4arch9wavefront6targetE1EEEvT1_,comdat
.Lfunc_end4361:
	.size	_ZN7rocprim17ROCPRIM_400000_NS6detail17trampoline_kernelINS0_14default_configENS1_20scan_config_selectorIfEEZZNS1_9scan_implILNS1_25lookback_scan_determinismE0ELb1ELb1ES3_N6thrust23THRUST_200600_302600_NS6detail15normal_iteratorINS9_10device_ptrIfEEEESE_fNS9_4plusIvEEfEEDaPvRmT3_T4_T5_mT6_P12ihipStream_tbENKUlT_T0_E_clISt17integral_constantIbLb0EESU_EEDaSP_SQ_EUlSP_E_NS1_11comp_targetILNS1_3genE3ELNS1_11target_archE908ELNS1_3gpuE7ELNS1_3repE0EEENS1_30default_config_static_selectorELNS0_4arch9wavefront6targetE1EEEvT1_, .Lfunc_end4361-_ZN7rocprim17ROCPRIM_400000_NS6detail17trampoline_kernelINS0_14default_configENS1_20scan_config_selectorIfEEZZNS1_9scan_implILNS1_25lookback_scan_determinismE0ELb1ELb1ES3_N6thrust23THRUST_200600_302600_NS6detail15normal_iteratorINS9_10device_ptrIfEEEESE_fNS9_4plusIvEEfEEDaPvRmT3_T4_T5_mT6_P12ihipStream_tbENKUlT_T0_E_clISt17integral_constantIbLb0EESU_EEDaSP_SQ_EUlSP_E_NS1_11comp_targetILNS1_3genE3ELNS1_11target_archE908ELNS1_3gpuE7ELNS1_3repE0EEENS1_30default_config_static_selectorELNS0_4arch9wavefront6targetE1EEEvT1_
                                        ; -- End function
	.section	.AMDGPU.csdata,"",@progbits
; Kernel info:
; codeLenInByte = 0
; NumSgprs: 4
; NumVgprs: 0
; NumAgprs: 0
; TotalNumVgprs: 0
; ScratchSize: 0
; MemoryBound: 0
; FloatMode: 240
; IeeeMode: 1
; LDSByteSize: 0 bytes/workgroup (compile time only)
; SGPRBlocks: 0
; VGPRBlocks: 0
; NumSGPRsForWavesPerEU: 4
; NumVGPRsForWavesPerEU: 1
; AccumOffset: 4
; Occupancy: 8
; WaveLimiterHint : 0
; COMPUTE_PGM_RSRC2:SCRATCH_EN: 0
; COMPUTE_PGM_RSRC2:USER_SGPR: 6
; COMPUTE_PGM_RSRC2:TRAP_HANDLER: 0
; COMPUTE_PGM_RSRC2:TGID_X_EN: 1
; COMPUTE_PGM_RSRC2:TGID_Y_EN: 0
; COMPUTE_PGM_RSRC2:TGID_Z_EN: 0
; COMPUTE_PGM_RSRC2:TIDIG_COMP_CNT: 0
; COMPUTE_PGM_RSRC3_GFX90A:ACCUM_OFFSET: 0
; COMPUTE_PGM_RSRC3_GFX90A:TG_SPLIT: 0
	.section	.text._ZN7rocprim17ROCPRIM_400000_NS6detail17trampoline_kernelINS0_14default_configENS1_20scan_config_selectorIfEEZZNS1_9scan_implILNS1_25lookback_scan_determinismE0ELb1ELb1ES3_N6thrust23THRUST_200600_302600_NS6detail15normal_iteratorINS9_10device_ptrIfEEEESE_fNS9_4plusIvEEfEEDaPvRmT3_T4_T5_mT6_P12ihipStream_tbENKUlT_T0_E_clISt17integral_constantIbLb0EESU_EEDaSP_SQ_EUlSP_E_NS1_11comp_targetILNS1_3genE2ELNS1_11target_archE906ELNS1_3gpuE6ELNS1_3repE0EEENS1_30default_config_static_selectorELNS0_4arch9wavefront6targetE1EEEvT1_,"axG",@progbits,_ZN7rocprim17ROCPRIM_400000_NS6detail17trampoline_kernelINS0_14default_configENS1_20scan_config_selectorIfEEZZNS1_9scan_implILNS1_25lookback_scan_determinismE0ELb1ELb1ES3_N6thrust23THRUST_200600_302600_NS6detail15normal_iteratorINS9_10device_ptrIfEEEESE_fNS9_4plusIvEEfEEDaPvRmT3_T4_T5_mT6_P12ihipStream_tbENKUlT_T0_E_clISt17integral_constantIbLb0EESU_EEDaSP_SQ_EUlSP_E_NS1_11comp_targetILNS1_3genE2ELNS1_11target_archE906ELNS1_3gpuE6ELNS1_3repE0EEENS1_30default_config_static_selectorELNS0_4arch9wavefront6targetE1EEEvT1_,comdat
	.protected	_ZN7rocprim17ROCPRIM_400000_NS6detail17trampoline_kernelINS0_14default_configENS1_20scan_config_selectorIfEEZZNS1_9scan_implILNS1_25lookback_scan_determinismE0ELb1ELb1ES3_N6thrust23THRUST_200600_302600_NS6detail15normal_iteratorINS9_10device_ptrIfEEEESE_fNS9_4plusIvEEfEEDaPvRmT3_T4_T5_mT6_P12ihipStream_tbENKUlT_T0_E_clISt17integral_constantIbLb0EESU_EEDaSP_SQ_EUlSP_E_NS1_11comp_targetILNS1_3genE2ELNS1_11target_archE906ELNS1_3gpuE6ELNS1_3repE0EEENS1_30default_config_static_selectorELNS0_4arch9wavefront6targetE1EEEvT1_ ; -- Begin function _ZN7rocprim17ROCPRIM_400000_NS6detail17trampoline_kernelINS0_14default_configENS1_20scan_config_selectorIfEEZZNS1_9scan_implILNS1_25lookback_scan_determinismE0ELb1ELb1ES3_N6thrust23THRUST_200600_302600_NS6detail15normal_iteratorINS9_10device_ptrIfEEEESE_fNS9_4plusIvEEfEEDaPvRmT3_T4_T5_mT6_P12ihipStream_tbENKUlT_T0_E_clISt17integral_constantIbLb0EESU_EEDaSP_SQ_EUlSP_E_NS1_11comp_targetILNS1_3genE2ELNS1_11target_archE906ELNS1_3gpuE6ELNS1_3repE0EEENS1_30default_config_static_selectorELNS0_4arch9wavefront6targetE1EEEvT1_
	.globl	_ZN7rocprim17ROCPRIM_400000_NS6detail17trampoline_kernelINS0_14default_configENS1_20scan_config_selectorIfEEZZNS1_9scan_implILNS1_25lookback_scan_determinismE0ELb1ELb1ES3_N6thrust23THRUST_200600_302600_NS6detail15normal_iteratorINS9_10device_ptrIfEEEESE_fNS9_4plusIvEEfEEDaPvRmT3_T4_T5_mT6_P12ihipStream_tbENKUlT_T0_E_clISt17integral_constantIbLb0EESU_EEDaSP_SQ_EUlSP_E_NS1_11comp_targetILNS1_3genE2ELNS1_11target_archE906ELNS1_3gpuE6ELNS1_3repE0EEENS1_30default_config_static_selectorELNS0_4arch9wavefront6targetE1EEEvT1_
	.p2align	8
	.type	_ZN7rocprim17ROCPRIM_400000_NS6detail17trampoline_kernelINS0_14default_configENS1_20scan_config_selectorIfEEZZNS1_9scan_implILNS1_25lookback_scan_determinismE0ELb1ELb1ES3_N6thrust23THRUST_200600_302600_NS6detail15normal_iteratorINS9_10device_ptrIfEEEESE_fNS9_4plusIvEEfEEDaPvRmT3_T4_T5_mT6_P12ihipStream_tbENKUlT_T0_E_clISt17integral_constantIbLb0EESU_EEDaSP_SQ_EUlSP_E_NS1_11comp_targetILNS1_3genE2ELNS1_11target_archE906ELNS1_3gpuE6ELNS1_3repE0EEENS1_30default_config_static_selectorELNS0_4arch9wavefront6targetE1EEEvT1_,@function
_ZN7rocprim17ROCPRIM_400000_NS6detail17trampoline_kernelINS0_14default_configENS1_20scan_config_selectorIfEEZZNS1_9scan_implILNS1_25lookback_scan_determinismE0ELb1ELb1ES3_N6thrust23THRUST_200600_302600_NS6detail15normal_iteratorINS9_10device_ptrIfEEEESE_fNS9_4plusIvEEfEEDaPvRmT3_T4_T5_mT6_P12ihipStream_tbENKUlT_T0_E_clISt17integral_constantIbLb0EESU_EEDaSP_SQ_EUlSP_E_NS1_11comp_targetILNS1_3genE2ELNS1_11target_archE906ELNS1_3gpuE6ELNS1_3repE0EEENS1_30default_config_static_selectorELNS0_4arch9wavefront6targetE1EEEvT1_: ; @_ZN7rocprim17ROCPRIM_400000_NS6detail17trampoline_kernelINS0_14default_configENS1_20scan_config_selectorIfEEZZNS1_9scan_implILNS1_25lookback_scan_determinismE0ELb1ELb1ES3_N6thrust23THRUST_200600_302600_NS6detail15normal_iteratorINS9_10device_ptrIfEEEESE_fNS9_4plusIvEEfEEDaPvRmT3_T4_T5_mT6_P12ihipStream_tbENKUlT_T0_E_clISt17integral_constantIbLb0EESU_EEDaSP_SQ_EUlSP_E_NS1_11comp_targetILNS1_3genE2ELNS1_11target_archE906ELNS1_3gpuE6ELNS1_3repE0EEENS1_30default_config_static_selectorELNS0_4arch9wavefront6targetE1EEEvT1_
; %bb.0:
	.section	.rodata,"a",@progbits
	.p2align	6, 0x0
	.amdhsa_kernel _ZN7rocprim17ROCPRIM_400000_NS6detail17trampoline_kernelINS0_14default_configENS1_20scan_config_selectorIfEEZZNS1_9scan_implILNS1_25lookback_scan_determinismE0ELb1ELb1ES3_N6thrust23THRUST_200600_302600_NS6detail15normal_iteratorINS9_10device_ptrIfEEEESE_fNS9_4plusIvEEfEEDaPvRmT3_T4_T5_mT6_P12ihipStream_tbENKUlT_T0_E_clISt17integral_constantIbLb0EESU_EEDaSP_SQ_EUlSP_E_NS1_11comp_targetILNS1_3genE2ELNS1_11target_archE906ELNS1_3gpuE6ELNS1_3repE0EEENS1_30default_config_static_selectorELNS0_4arch9wavefront6targetE1EEEvT1_
		.amdhsa_group_segment_fixed_size 0
		.amdhsa_private_segment_fixed_size 0
		.amdhsa_kernarg_size 96
		.amdhsa_user_sgpr_count 6
		.amdhsa_user_sgpr_private_segment_buffer 1
		.amdhsa_user_sgpr_dispatch_ptr 0
		.amdhsa_user_sgpr_queue_ptr 0
		.amdhsa_user_sgpr_kernarg_segment_ptr 1
		.amdhsa_user_sgpr_dispatch_id 0
		.amdhsa_user_sgpr_flat_scratch_init 0
		.amdhsa_user_sgpr_kernarg_preload_length 0
		.amdhsa_user_sgpr_kernarg_preload_offset 0
		.amdhsa_user_sgpr_private_segment_size 0
		.amdhsa_uses_dynamic_stack 0
		.amdhsa_system_sgpr_private_segment_wavefront_offset 0
		.amdhsa_system_sgpr_workgroup_id_x 1
		.amdhsa_system_sgpr_workgroup_id_y 0
		.amdhsa_system_sgpr_workgroup_id_z 0
		.amdhsa_system_sgpr_workgroup_info 0
		.amdhsa_system_vgpr_workitem_id 0
		.amdhsa_next_free_vgpr 1
		.amdhsa_next_free_sgpr 0
		.amdhsa_accum_offset 4
		.amdhsa_reserve_vcc 0
		.amdhsa_reserve_flat_scratch 0
		.amdhsa_float_round_mode_32 0
		.amdhsa_float_round_mode_16_64 0
		.amdhsa_float_denorm_mode_32 3
		.amdhsa_float_denorm_mode_16_64 3
		.amdhsa_dx10_clamp 1
		.amdhsa_ieee_mode 1
		.amdhsa_fp16_overflow 0
		.amdhsa_tg_split 0
		.amdhsa_exception_fp_ieee_invalid_op 0
		.amdhsa_exception_fp_denorm_src 0
		.amdhsa_exception_fp_ieee_div_zero 0
		.amdhsa_exception_fp_ieee_overflow 0
		.amdhsa_exception_fp_ieee_underflow 0
		.amdhsa_exception_fp_ieee_inexact 0
		.amdhsa_exception_int_div_zero 0
	.end_amdhsa_kernel
	.section	.text._ZN7rocprim17ROCPRIM_400000_NS6detail17trampoline_kernelINS0_14default_configENS1_20scan_config_selectorIfEEZZNS1_9scan_implILNS1_25lookback_scan_determinismE0ELb1ELb1ES3_N6thrust23THRUST_200600_302600_NS6detail15normal_iteratorINS9_10device_ptrIfEEEESE_fNS9_4plusIvEEfEEDaPvRmT3_T4_T5_mT6_P12ihipStream_tbENKUlT_T0_E_clISt17integral_constantIbLb0EESU_EEDaSP_SQ_EUlSP_E_NS1_11comp_targetILNS1_3genE2ELNS1_11target_archE906ELNS1_3gpuE6ELNS1_3repE0EEENS1_30default_config_static_selectorELNS0_4arch9wavefront6targetE1EEEvT1_,"axG",@progbits,_ZN7rocprim17ROCPRIM_400000_NS6detail17trampoline_kernelINS0_14default_configENS1_20scan_config_selectorIfEEZZNS1_9scan_implILNS1_25lookback_scan_determinismE0ELb1ELb1ES3_N6thrust23THRUST_200600_302600_NS6detail15normal_iteratorINS9_10device_ptrIfEEEESE_fNS9_4plusIvEEfEEDaPvRmT3_T4_T5_mT6_P12ihipStream_tbENKUlT_T0_E_clISt17integral_constantIbLb0EESU_EEDaSP_SQ_EUlSP_E_NS1_11comp_targetILNS1_3genE2ELNS1_11target_archE906ELNS1_3gpuE6ELNS1_3repE0EEENS1_30default_config_static_selectorELNS0_4arch9wavefront6targetE1EEEvT1_,comdat
.Lfunc_end4362:
	.size	_ZN7rocprim17ROCPRIM_400000_NS6detail17trampoline_kernelINS0_14default_configENS1_20scan_config_selectorIfEEZZNS1_9scan_implILNS1_25lookback_scan_determinismE0ELb1ELb1ES3_N6thrust23THRUST_200600_302600_NS6detail15normal_iteratorINS9_10device_ptrIfEEEESE_fNS9_4plusIvEEfEEDaPvRmT3_T4_T5_mT6_P12ihipStream_tbENKUlT_T0_E_clISt17integral_constantIbLb0EESU_EEDaSP_SQ_EUlSP_E_NS1_11comp_targetILNS1_3genE2ELNS1_11target_archE906ELNS1_3gpuE6ELNS1_3repE0EEENS1_30default_config_static_selectorELNS0_4arch9wavefront6targetE1EEEvT1_, .Lfunc_end4362-_ZN7rocprim17ROCPRIM_400000_NS6detail17trampoline_kernelINS0_14default_configENS1_20scan_config_selectorIfEEZZNS1_9scan_implILNS1_25lookback_scan_determinismE0ELb1ELb1ES3_N6thrust23THRUST_200600_302600_NS6detail15normal_iteratorINS9_10device_ptrIfEEEESE_fNS9_4plusIvEEfEEDaPvRmT3_T4_T5_mT6_P12ihipStream_tbENKUlT_T0_E_clISt17integral_constantIbLb0EESU_EEDaSP_SQ_EUlSP_E_NS1_11comp_targetILNS1_3genE2ELNS1_11target_archE906ELNS1_3gpuE6ELNS1_3repE0EEENS1_30default_config_static_selectorELNS0_4arch9wavefront6targetE1EEEvT1_
                                        ; -- End function
	.section	.AMDGPU.csdata,"",@progbits
; Kernel info:
; codeLenInByte = 0
; NumSgprs: 4
; NumVgprs: 0
; NumAgprs: 0
; TotalNumVgprs: 0
; ScratchSize: 0
; MemoryBound: 0
; FloatMode: 240
; IeeeMode: 1
; LDSByteSize: 0 bytes/workgroup (compile time only)
; SGPRBlocks: 0
; VGPRBlocks: 0
; NumSGPRsForWavesPerEU: 4
; NumVGPRsForWavesPerEU: 1
; AccumOffset: 4
; Occupancy: 8
; WaveLimiterHint : 0
; COMPUTE_PGM_RSRC2:SCRATCH_EN: 0
; COMPUTE_PGM_RSRC2:USER_SGPR: 6
; COMPUTE_PGM_RSRC2:TRAP_HANDLER: 0
; COMPUTE_PGM_RSRC2:TGID_X_EN: 1
; COMPUTE_PGM_RSRC2:TGID_Y_EN: 0
; COMPUTE_PGM_RSRC2:TGID_Z_EN: 0
; COMPUTE_PGM_RSRC2:TIDIG_COMP_CNT: 0
; COMPUTE_PGM_RSRC3_GFX90A:ACCUM_OFFSET: 0
; COMPUTE_PGM_RSRC3_GFX90A:TG_SPLIT: 0
	.section	.text._ZN7rocprim17ROCPRIM_400000_NS6detail17trampoline_kernelINS0_14default_configENS1_20scan_config_selectorIfEEZZNS1_9scan_implILNS1_25lookback_scan_determinismE0ELb1ELb1ES3_N6thrust23THRUST_200600_302600_NS6detail15normal_iteratorINS9_10device_ptrIfEEEESE_fNS9_4plusIvEEfEEDaPvRmT3_T4_T5_mT6_P12ihipStream_tbENKUlT_T0_E_clISt17integral_constantIbLb0EESU_EEDaSP_SQ_EUlSP_E_NS1_11comp_targetILNS1_3genE10ELNS1_11target_archE1201ELNS1_3gpuE5ELNS1_3repE0EEENS1_30default_config_static_selectorELNS0_4arch9wavefront6targetE1EEEvT1_,"axG",@progbits,_ZN7rocprim17ROCPRIM_400000_NS6detail17trampoline_kernelINS0_14default_configENS1_20scan_config_selectorIfEEZZNS1_9scan_implILNS1_25lookback_scan_determinismE0ELb1ELb1ES3_N6thrust23THRUST_200600_302600_NS6detail15normal_iteratorINS9_10device_ptrIfEEEESE_fNS9_4plusIvEEfEEDaPvRmT3_T4_T5_mT6_P12ihipStream_tbENKUlT_T0_E_clISt17integral_constantIbLb0EESU_EEDaSP_SQ_EUlSP_E_NS1_11comp_targetILNS1_3genE10ELNS1_11target_archE1201ELNS1_3gpuE5ELNS1_3repE0EEENS1_30default_config_static_selectorELNS0_4arch9wavefront6targetE1EEEvT1_,comdat
	.protected	_ZN7rocprim17ROCPRIM_400000_NS6detail17trampoline_kernelINS0_14default_configENS1_20scan_config_selectorIfEEZZNS1_9scan_implILNS1_25lookback_scan_determinismE0ELb1ELb1ES3_N6thrust23THRUST_200600_302600_NS6detail15normal_iteratorINS9_10device_ptrIfEEEESE_fNS9_4plusIvEEfEEDaPvRmT3_T4_T5_mT6_P12ihipStream_tbENKUlT_T0_E_clISt17integral_constantIbLb0EESU_EEDaSP_SQ_EUlSP_E_NS1_11comp_targetILNS1_3genE10ELNS1_11target_archE1201ELNS1_3gpuE5ELNS1_3repE0EEENS1_30default_config_static_selectorELNS0_4arch9wavefront6targetE1EEEvT1_ ; -- Begin function _ZN7rocprim17ROCPRIM_400000_NS6detail17trampoline_kernelINS0_14default_configENS1_20scan_config_selectorIfEEZZNS1_9scan_implILNS1_25lookback_scan_determinismE0ELb1ELb1ES3_N6thrust23THRUST_200600_302600_NS6detail15normal_iteratorINS9_10device_ptrIfEEEESE_fNS9_4plusIvEEfEEDaPvRmT3_T4_T5_mT6_P12ihipStream_tbENKUlT_T0_E_clISt17integral_constantIbLb0EESU_EEDaSP_SQ_EUlSP_E_NS1_11comp_targetILNS1_3genE10ELNS1_11target_archE1201ELNS1_3gpuE5ELNS1_3repE0EEENS1_30default_config_static_selectorELNS0_4arch9wavefront6targetE1EEEvT1_
	.globl	_ZN7rocprim17ROCPRIM_400000_NS6detail17trampoline_kernelINS0_14default_configENS1_20scan_config_selectorIfEEZZNS1_9scan_implILNS1_25lookback_scan_determinismE0ELb1ELb1ES3_N6thrust23THRUST_200600_302600_NS6detail15normal_iteratorINS9_10device_ptrIfEEEESE_fNS9_4plusIvEEfEEDaPvRmT3_T4_T5_mT6_P12ihipStream_tbENKUlT_T0_E_clISt17integral_constantIbLb0EESU_EEDaSP_SQ_EUlSP_E_NS1_11comp_targetILNS1_3genE10ELNS1_11target_archE1201ELNS1_3gpuE5ELNS1_3repE0EEENS1_30default_config_static_selectorELNS0_4arch9wavefront6targetE1EEEvT1_
	.p2align	8
	.type	_ZN7rocprim17ROCPRIM_400000_NS6detail17trampoline_kernelINS0_14default_configENS1_20scan_config_selectorIfEEZZNS1_9scan_implILNS1_25lookback_scan_determinismE0ELb1ELb1ES3_N6thrust23THRUST_200600_302600_NS6detail15normal_iteratorINS9_10device_ptrIfEEEESE_fNS9_4plusIvEEfEEDaPvRmT3_T4_T5_mT6_P12ihipStream_tbENKUlT_T0_E_clISt17integral_constantIbLb0EESU_EEDaSP_SQ_EUlSP_E_NS1_11comp_targetILNS1_3genE10ELNS1_11target_archE1201ELNS1_3gpuE5ELNS1_3repE0EEENS1_30default_config_static_selectorELNS0_4arch9wavefront6targetE1EEEvT1_,@function
_ZN7rocprim17ROCPRIM_400000_NS6detail17trampoline_kernelINS0_14default_configENS1_20scan_config_selectorIfEEZZNS1_9scan_implILNS1_25lookback_scan_determinismE0ELb1ELb1ES3_N6thrust23THRUST_200600_302600_NS6detail15normal_iteratorINS9_10device_ptrIfEEEESE_fNS9_4plusIvEEfEEDaPvRmT3_T4_T5_mT6_P12ihipStream_tbENKUlT_T0_E_clISt17integral_constantIbLb0EESU_EEDaSP_SQ_EUlSP_E_NS1_11comp_targetILNS1_3genE10ELNS1_11target_archE1201ELNS1_3gpuE5ELNS1_3repE0EEENS1_30default_config_static_selectorELNS0_4arch9wavefront6targetE1EEEvT1_: ; @_ZN7rocprim17ROCPRIM_400000_NS6detail17trampoline_kernelINS0_14default_configENS1_20scan_config_selectorIfEEZZNS1_9scan_implILNS1_25lookback_scan_determinismE0ELb1ELb1ES3_N6thrust23THRUST_200600_302600_NS6detail15normal_iteratorINS9_10device_ptrIfEEEESE_fNS9_4plusIvEEfEEDaPvRmT3_T4_T5_mT6_P12ihipStream_tbENKUlT_T0_E_clISt17integral_constantIbLb0EESU_EEDaSP_SQ_EUlSP_E_NS1_11comp_targetILNS1_3genE10ELNS1_11target_archE1201ELNS1_3gpuE5ELNS1_3repE0EEENS1_30default_config_static_selectorELNS0_4arch9wavefront6targetE1EEEvT1_
; %bb.0:
	.section	.rodata,"a",@progbits
	.p2align	6, 0x0
	.amdhsa_kernel _ZN7rocprim17ROCPRIM_400000_NS6detail17trampoline_kernelINS0_14default_configENS1_20scan_config_selectorIfEEZZNS1_9scan_implILNS1_25lookback_scan_determinismE0ELb1ELb1ES3_N6thrust23THRUST_200600_302600_NS6detail15normal_iteratorINS9_10device_ptrIfEEEESE_fNS9_4plusIvEEfEEDaPvRmT3_T4_T5_mT6_P12ihipStream_tbENKUlT_T0_E_clISt17integral_constantIbLb0EESU_EEDaSP_SQ_EUlSP_E_NS1_11comp_targetILNS1_3genE10ELNS1_11target_archE1201ELNS1_3gpuE5ELNS1_3repE0EEENS1_30default_config_static_selectorELNS0_4arch9wavefront6targetE1EEEvT1_
		.amdhsa_group_segment_fixed_size 0
		.amdhsa_private_segment_fixed_size 0
		.amdhsa_kernarg_size 96
		.amdhsa_user_sgpr_count 6
		.amdhsa_user_sgpr_private_segment_buffer 1
		.amdhsa_user_sgpr_dispatch_ptr 0
		.amdhsa_user_sgpr_queue_ptr 0
		.amdhsa_user_sgpr_kernarg_segment_ptr 1
		.amdhsa_user_sgpr_dispatch_id 0
		.amdhsa_user_sgpr_flat_scratch_init 0
		.amdhsa_user_sgpr_kernarg_preload_length 0
		.amdhsa_user_sgpr_kernarg_preload_offset 0
		.amdhsa_user_sgpr_private_segment_size 0
		.amdhsa_uses_dynamic_stack 0
		.amdhsa_system_sgpr_private_segment_wavefront_offset 0
		.amdhsa_system_sgpr_workgroup_id_x 1
		.amdhsa_system_sgpr_workgroup_id_y 0
		.amdhsa_system_sgpr_workgroup_id_z 0
		.amdhsa_system_sgpr_workgroup_info 0
		.amdhsa_system_vgpr_workitem_id 0
		.amdhsa_next_free_vgpr 1
		.amdhsa_next_free_sgpr 0
		.amdhsa_accum_offset 4
		.amdhsa_reserve_vcc 0
		.amdhsa_reserve_flat_scratch 0
		.amdhsa_float_round_mode_32 0
		.amdhsa_float_round_mode_16_64 0
		.amdhsa_float_denorm_mode_32 3
		.amdhsa_float_denorm_mode_16_64 3
		.amdhsa_dx10_clamp 1
		.amdhsa_ieee_mode 1
		.amdhsa_fp16_overflow 0
		.amdhsa_tg_split 0
		.amdhsa_exception_fp_ieee_invalid_op 0
		.amdhsa_exception_fp_denorm_src 0
		.amdhsa_exception_fp_ieee_div_zero 0
		.amdhsa_exception_fp_ieee_overflow 0
		.amdhsa_exception_fp_ieee_underflow 0
		.amdhsa_exception_fp_ieee_inexact 0
		.amdhsa_exception_int_div_zero 0
	.end_amdhsa_kernel
	.section	.text._ZN7rocprim17ROCPRIM_400000_NS6detail17trampoline_kernelINS0_14default_configENS1_20scan_config_selectorIfEEZZNS1_9scan_implILNS1_25lookback_scan_determinismE0ELb1ELb1ES3_N6thrust23THRUST_200600_302600_NS6detail15normal_iteratorINS9_10device_ptrIfEEEESE_fNS9_4plusIvEEfEEDaPvRmT3_T4_T5_mT6_P12ihipStream_tbENKUlT_T0_E_clISt17integral_constantIbLb0EESU_EEDaSP_SQ_EUlSP_E_NS1_11comp_targetILNS1_3genE10ELNS1_11target_archE1201ELNS1_3gpuE5ELNS1_3repE0EEENS1_30default_config_static_selectorELNS0_4arch9wavefront6targetE1EEEvT1_,"axG",@progbits,_ZN7rocprim17ROCPRIM_400000_NS6detail17trampoline_kernelINS0_14default_configENS1_20scan_config_selectorIfEEZZNS1_9scan_implILNS1_25lookback_scan_determinismE0ELb1ELb1ES3_N6thrust23THRUST_200600_302600_NS6detail15normal_iteratorINS9_10device_ptrIfEEEESE_fNS9_4plusIvEEfEEDaPvRmT3_T4_T5_mT6_P12ihipStream_tbENKUlT_T0_E_clISt17integral_constantIbLb0EESU_EEDaSP_SQ_EUlSP_E_NS1_11comp_targetILNS1_3genE10ELNS1_11target_archE1201ELNS1_3gpuE5ELNS1_3repE0EEENS1_30default_config_static_selectorELNS0_4arch9wavefront6targetE1EEEvT1_,comdat
.Lfunc_end4363:
	.size	_ZN7rocprim17ROCPRIM_400000_NS6detail17trampoline_kernelINS0_14default_configENS1_20scan_config_selectorIfEEZZNS1_9scan_implILNS1_25lookback_scan_determinismE0ELb1ELb1ES3_N6thrust23THRUST_200600_302600_NS6detail15normal_iteratorINS9_10device_ptrIfEEEESE_fNS9_4plusIvEEfEEDaPvRmT3_T4_T5_mT6_P12ihipStream_tbENKUlT_T0_E_clISt17integral_constantIbLb0EESU_EEDaSP_SQ_EUlSP_E_NS1_11comp_targetILNS1_3genE10ELNS1_11target_archE1201ELNS1_3gpuE5ELNS1_3repE0EEENS1_30default_config_static_selectorELNS0_4arch9wavefront6targetE1EEEvT1_, .Lfunc_end4363-_ZN7rocprim17ROCPRIM_400000_NS6detail17trampoline_kernelINS0_14default_configENS1_20scan_config_selectorIfEEZZNS1_9scan_implILNS1_25lookback_scan_determinismE0ELb1ELb1ES3_N6thrust23THRUST_200600_302600_NS6detail15normal_iteratorINS9_10device_ptrIfEEEESE_fNS9_4plusIvEEfEEDaPvRmT3_T4_T5_mT6_P12ihipStream_tbENKUlT_T0_E_clISt17integral_constantIbLb0EESU_EEDaSP_SQ_EUlSP_E_NS1_11comp_targetILNS1_3genE10ELNS1_11target_archE1201ELNS1_3gpuE5ELNS1_3repE0EEENS1_30default_config_static_selectorELNS0_4arch9wavefront6targetE1EEEvT1_
                                        ; -- End function
	.section	.AMDGPU.csdata,"",@progbits
; Kernel info:
; codeLenInByte = 0
; NumSgprs: 4
; NumVgprs: 0
; NumAgprs: 0
; TotalNumVgprs: 0
; ScratchSize: 0
; MemoryBound: 0
; FloatMode: 240
; IeeeMode: 1
; LDSByteSize: 0 bytes/workgroup (compile time only)
; SGPRBlocks: 0
; VGPRBlocks: 0
; NumSGPRsForWavesPerEU: 4
; NumVGPRsForWavesPerEU: 1
; AccumOffset: 4
; Occupancy: 8
; WaveLimiterHint : 0
; COMPUTE_PGM_RSRC2:SCRATCH_EN: 0
; COMPUTE_PGM_RSRC2:USER_SGPR: 6
; COMPUTE_PGM_RSRC2:TRAP_HANDLER: 0
; COMPUTE_PGM_RSRC2:TGID_X_EN: 1
; COMPUTE_PGM_RSRC2:TGID_Y_EN: 0
; COMPUTE_PGM_RSRC2:TGID_Z_EN: 0
; COMPUTE_PGM_RSRC2:TIDIG_COMP_CNT: 0
; COMPUTE_PGM_RSRC3_GFX90A:ACCUM_OFFSET: 0
; COMPUTE_PGM_RSRC3_GFX90A:TG_SPLIT: 0
	.section	.text._ZN7rocprim17ROCPRIM_400000_NS6detail17trampoline_kernelINS0_14default_configENS1_20scan_config_selectorIfEEZZNS1_9scan_implILNS1_25lookback_scan_determinismE0ELb1ELb1ES3_N6thrust23THRUST_200600_302600_NS6detail15normal_iteratorINS9_10device_ptrIfEEEESE_fNS9_4plusIvEEfEEDaPvRmT3_T4_T5_mT6_P12ihipStream_tbENKUlT_T0_E_clISt17integral_constantIbLb0EESU_EEDaSP_SQ_EUlSP_E_NS1_11comp_targetILNS1_3genE10ELNS1_11target_archE1200ELNS1_3gpuE4ELNS1_3repE0EEENS1_30default_config_static_selectorELNS0_4arch9wavefront6targetE1EEEvT1_,"axG",@progbits,_ZN7rocprim17ROCPRIM_400000_NS6detail17trampoline_kernelINS0_14default_configENS1_20scan_config_selectorIfEEZZNS1_9scan_implILNS1_25lookback_scan_determinismE0ELb1ELb1ES3_N6thrust23THRUST_200600_302600_NS6detail15normal_iteratorINS9_10device_ptrIfEEEESE_fNS9_4plusIvEEfEEDaPvRmT3_T4_T5_mT6_P12ihipStream_tbENKUlT_T0_E_clISt17integral_constantIbLb0EESU_EEDaSP_SQ_EUlSP_E_NS1_11comp_targetILNS1_3genE10ELNS1_11target_archE1200ELNS1_3gpuE4ELNS1_3repE0EEENS1_30default_config_static_selectorELNS0_4arch9wavefront6targetE1EEEvT1_,comdat
	.protected	_ZN7rocprim17ROCPRIM_400000_NS6detail17trampoline_kernelINS0_14default_configENS1_20scan_config_selectorIfEEZZNS1_9scan_implILNS1_25lookback_scan_determinismE0ELb1ELb1ES3_N6thrust23THRUST_200600_302600_NS6detail15normal_iteratorINS9_10device_ptrIfEEEESE_fNS9_4plusIvEEfEEDaPvRmT3_T4_T5_mT6_P12ihipStream_tbENKUlT_T0_E_clISt17integral_constantIbLb0EESU_EEDaSP_SQ_EUlSP_E_NS1_11comp_targetILNS1_3genE10ELNS1_11target_archE1200ELNS1_3gpuE4ELNS1_3repE0EEENS1_30default_config_static_selectorELNS0_4arch9wavefront6targetE1EEEvT1_ ; -- Begin function _ZN7rocprim17ROCPRIM_400000_NS6detail17trampoline_kernelINS0_14default_configENS1_20scan_config_selectorIfEEZZNS1_9scan_implILNS1_25lookback_scan_determinismE0ELb1ELb1ES3_N6thrust23THRUST_200600_302600_NS6detail15normal_iteratorINS9_10device_ptrIfEEEESE_fNS9_4plusIvEEfEEDaPvRmT3_T4_T5_mT6_P12ihipStream_tbENKUlT_T0_E_clISt17integral_constantIbLb0EESU_EEDaSP_SQ_EUlSP_E_NS1_11comp_targetILNS1_3genE10ELNS1_11target_archE1200ELNS1_3gpuE4ELNS1_3repE0EEENS1_30default_config_static_selectorELNS0_4arch9wavefront6targetE1EEEvT1_
	.globl	_ZN7rocprim17ROCPRIM_400000_NS6detail17trampoline_kernelINS0_14default_configENS1_20scan_config_selectorIfEEZZNS1_9scan_implILNS1_25lookback_scan_determinismE0ELb1ELb1ES3_N6thrust23THRUST_200600_302600_NS6detail15normal_iteratorINS9_10device_ptrIfEEEESE_fNS9_4plusIvEEfEEDaPvRmT3_T4_T5_mT6_P12ihipStream_tbENKUlT_T0_E_clISt17integral_constantIbLb0EESU_EEDaSP_SQ_EUlSP_E_NS1_11comp_targetILNS1_3genE10ELNS1_11target_archE1200ELNS1_3gpuE4ELNS1_3repE0EEENS1_30default_config_static_selectorELNS0_4arch9wavefront6targetE1EEEvT1_
	.p2align	8
	.type	_ZN7rocprim17ROCPRIM_400000_NS6detail17trampoline_kernelINS0_14default_configENS1_20scan_config_selectorIfEEZZNS1_9scan_implILNS1_25lookback_scan_determinismE0ELb1ELb1ES3_N6thrust23THRUST_200600_302600_NS6detail15normal_iteratorINS9_10device_ptrIfEEEESE_fNS9_4plusIvEEfEEDaPvRmT3_T4_T5_mT6_P12ihipStream_tbENKUlT_T0_E_clISt17integral_constantIbLb0EESU_EEDaSP_SQ_EUlSP_E_NS1_11comp_targetILNS1_3genE10ELNS1_11target_archE1200ELNS1_3gpuE4ELNS1_3repE0EEENS1_30default_config_static_selectorELNS0_4arch9wavefront6targetE1EEEvT1_,@function
_ZN7rocprim17ROCPRIM_400000_NS6detail17trampoline_kernelINS0_14default_configENS1_20scan_config_selectorIfEEZZNS1_9scan_implILNS1_25lookback_scan_determinismE0ELb1ELb1ES3_N6thrust23THRUST_200600_302600_NS6detail15normal_iteratorINS9_10device_ptrIfEEEESE_fNS9_4plusIvEEfEEDaPvRmT3_T4_T5_mT6_P12ihipStream_tbENKUlT_T0_E_clISt17integral_constantIbLb0EESU_EEDaSP_SQ_EUlSP_E_NS1_11comp_targetILNS1_3genE10ELNS1_11target_archE1200ELNS1_3gpuE4ELNS1_3repE0EEENS1_30default_config_static_selectorELNS0_4arch9wavefront6targetE1EEEvT1_: ; @_ZN7rocprim17ROCPRIM_400000_NS6detail17trampoline_kernelINS0_14default_configENS1_20scan_config_selectorIfEEZZNS1_9scan_implILNS1_25lookback_scan_determinismE0ELb1ELb1ES3_N6thrust23THRUST_200600_302600_NS6detail15normal_iteratorINS9_10device_ptrIfEEEESE_fNS9_4plusIvEEfEEDaPvRmT3_T4_T5_mT6_P12ihipStream_tbENKUlT_T0_E_clISt17integral_constantIbLb0EESU_EEDaSP_SQ_EUlSP_E_NS1_11comp_targetILNS1_3genE10ELNS1_11target_archE1200ELNS1_3gpuE4ELNS1_3repE0EEENS1_30default_config_static_selectorELNS0_4arch9wavefront6targetE1EEEvT1_
; %bb.0:
	.section	.rodata,"a",@progbits
	.p2align	6, 0x0
	.amdhsa_kernel _ZN7rocprim17ROCPRIM_400000_NS6detail17trampoline_kernelINS0_14default_configENS1_20scan_config_selectorIfEEZZNS1_9scan_implILNS1_25lookback_scan_determinismE0ELb1ELb1ES3_N6thrust23THRUST_200600_302600_NS6detail15normal_iteratorINS9_10device_ptrIfEEEESE_fNS9_4plusIvEEfEEDaPvRmT3_T4_T5_mT6_P12ihipStream_tbENKUlT_T0_E_clISt17integral_constantIbLb0EESU_EEDaSP_SQ_EUlSP_E_NS1_11comp_targetILNS1_3genE10ELNS1_11target_archE1200ELNS1_3gpuE4ELNS1_3repE0EEENS1_30default_config_static_selectorELNS0_4arch9wavefront6targetE1EEEvT1_
		.amdhsa_group_segment_fixed_size 0
		.amdhsa_private_segment_fixed_size 0
		.amdhsa_kernarg_size 96
		.amdhsa_user_sgpr_count 6
		.amdhsa_user_sgpr_private_segment_buffer 1
		.amdhsa_user_sgpr_dispatch_ptr 0
		.amdhsa_user_sgpr_queue_ptr 0
		.amdhsa_user_sgpr_kernarg_segment_ptr 1
		.amdhsa_user_sgpr_dispatch_id 0
		.amdhsa_user_sgpr_flat_scratch_init 0
		.amdhsa_user_sgpr_kernarg_preload_length 0
		.amdhsa_user_sgpr_kernarg_preload_offset 0
		.amdhsa_user_sgpr_private_segment_size 0
		.amdhsa_uses_dynamic_stack 0
		.amdhsa_system_sgpr_private_segment_wavefront_offset 0
		.amdhsa_system_sgpr_workgroup_id_x 1
		.amdhsa_system_sgpr_workgroup_id_y 0
		.amdhsa_system_sgpr_workgroup_id_z 0
		.amdhsa_system_sgpr_workgroup_info 0
		.amdhsa_system_vgpr_workitem_id 0
		.amdhsa_next_free_vgpr 1
		.amdhsa_next_free_sgpr 0
		.amdhsa_accum_offset 4
		.amdhsa_reserve_vcc 0
		.amdhsa_reserve_flat_scratch 0
		.amdhsa_float_round_mode_32 0
		.amdhsa_float_round_mode_16_64 0
		.amdhsa_float_denorm_mode_32 3
		.amdhsa_float_denorm_mode_16_64 3
		.amdhsa_dx10_clamp 1
		.amdhsa_ieee_mode 1
		.amdhsa_fp16_overflow 0
		.amdhsa_tg_split 0
		.amdhsa_exception_fp_ieee_invalid_op 0
		.amdhsa_exception_fp_denorm_src 0
		.amdhsa_exception_fp_ieee_div_zero 0
		.amdhsa_exception_fp_ieee_overflow 0
		.amdhsa_exception_fp_ieee_underflow 0
		.amdhsa_exception_fp_ieee_inexact 0
		.amdhsa_exception_int_div_zero 0
	.end_amdhsa_kernel
	.section	.text._ZN7rocprim17ROCPRIM_400000_NS6detail17trampoline_kernelINS0_14default_configENS1_20scan_config_selectorIfEEZZNS1_9scan_implILNS1_25lookback_scan_determinismE0ELb1ELb1ES3_N6thrust23THRUST_200600_302600_NS6detail15normal_iteratorINS9_10device_ptrIfEEEESE_fNS9_4plusIvEEfEEDaPvRmT3_T4_T5_mT6_P12ihipStream_tbENKUlT_T0_E_clISt17integral_constantIbLb0EESU_EEDaSP_SQ_EUlSP_E_NS1_11comp_targetILNS1_3genE10ELNS1_11target_archE1200ELNS1_3gpuE4ELNS1_3repE0EEENS1_30default_config_static_selectorELNS0_4arch9wavefront6targetE1EEEvT1_,"axG",@progbits,_ZN7rocprim17ROCPRIM_400000_NS6detail17trampoline_kernelINS0_14default_configENS1_20scan_config_selectorIfEEZZNS1_9scan_implILNS1_25lookback_scan_determinismE0ELb1ELb1ES3_N6thrust23THRUST_200600_302600_NS6detail15normal_iteratorINS9_10device_ptrIfEEEESE_fNS9_4plusIvEEfEEDaPvRmT3_T4_T5_mT6_P12ihipStream_tbENKUlT_T0_E_clISt17integral_constantIbLb0EESU_EEDaSP_SQ_EUlSP_E_NS1_11comp_targetILNS1_3genE10ELNS1_11target_archE1200ELNS1_3gpuE4ELNS1_3repE0EEENS1_30default_config_static_selectorELNS0_4arch9wavefront6targetE1EEEvT1_,comdat
.Lfunc_end4364:
	.size	_ZN7rocprim17ROCPRIM_400000_NS6detail17trampoline_kernelINS0_14default_configENS1_20scan_config_selectorIfEEZZNS1_9scan_implILNS1_25lookback_scan_determinismE0ELb1ELb1ES3_N6thrust23THRUST_200600_302600_NS6detail15normal_iteratorINS9_10device_ptrIfEEEESE_fNS9_4plusIvEEfEEDaPvRmT3_T4_T5_mT6_P12ihipStream_tbENKUlT_T0_E_clISt17integral_constantIbLb0EESU_EEDaSP_SQ_EUlSP_E_NS1_11comp_targetILNS1_3genE10ELNS1_11target_archE1200ELNS1_3gpuE4ELNS1_3repE0EEENS1_30default_config_static_selectorELNS0_4arch9wavefront6targetE1EEEvT1_, .Lfunc_end4364-_ZN7rocprim17ROCPRIM_400000_NS6detail17trampoline_kernelINS0_14default_configENS1_20scan_config_selectorIfEEZZNS1_9scan_implILNS1_25lookback_scan_determinismE0ELb1ELb1ES3_N6thrust23THRUST_200600_302600_NS6detail15normal_iteratorINS9_10device_ptrIfEEEESE_fNS9_4plusIvEEfEEDaPvRmT3_T4_T5_mT6_P12ihipStream_tbENKUlT_T0_E_clISt17integral_constantIbLb0EESU_EEDaSP_SQ_EUlSP_E_NS1_11comp_targetILNS1_3genE10ELNS1_11target_archE1200ELNS1_3gpuE4ELNS1_3repE0EEENS1_30default_config_static_selectorELNS0_4arch9wavefront6targetE1EEEvT1_
                                        ; -- End function
	.section	.AMDGPU.csdata,"",@progbits
; Kernel info:
; codeLenInByte = 0
; NumSgprs: 4
; NumVgprs: 0
; NumAgprs: 0
; TotalNumVgprs: 0
; ScratchSize: 0
; MemoryBound: 0
; FloatMode: 240
; IeeeMode: 1
; LDSByteSize: 0 bytes/workgroup (compile time only)
; SGPRBlocks: 0
; VGPRBlocks: 0
; NumSGPRsForWavesPerEU: 4
; NumVGPRsForWavesPerEU: 1
; AccumOffset: 4
; Occupancy: 8
; WaveLimiterHint : 0
; COMPUTE_PGM_RSRC2:SCRATCH_EN: 0
; COMPUTE_PGM_RSRC2:USER_SGPR: 6
; COMPUTE_PGM_RSRC2:TRAP_HANDLER: 0
; COMPUTE_PGM_RSRC2:TGID_X_EN: 1
; COMPUTE_PGM_RSRC2:TGID_Y_EN: 0
; COMPUTE_PGM_RSRC2:TGID_Z_EN: 0
; COMPUTE_PGM_RSRC2:TIDIG_COMP_CNT: 0
; COMPUTE_PGM_RSRC3_GFX90A:ACCUM_OFFSET: 0
; COMPUTE_PGM_RSRC3_GFX90A:TG_SPLIT: 0
	.section	.text._ZN7rocprim17ROCPRIM_400000_NS6detail17trampoline_kernelINS0_14default_configENS1_20scan_config_selectorIfEEZZNS1_9scan_implILNS1_25lookback_scan_determinismE0ELb1ELb1ES3_N6thrust23THRUST_200600_302600_NS6detail15normal_iteratorINS9_10device_ptrIfEEEESE_fNS9_4plusIvEEfEEDaPvRmT3_T4_T5_mT6_P12ihipStream_tbENKUlT_T0_E_clISt17integral_constantIbLb0EESU_EEDaSP_SQ_EUlSP_E_NS1_11comp_targetILNS1_3genE9ELNS1_11target_archE1100ELNS1_3gpuE3ELNS1_3repE0EEENS1_30default_config_static_selectorELNS0_4arch9wavefront6targetE1EEEvT1_,"axG",@progbits,_ZN7rocprim17ROCPRIM_400000_NS6detail17trampoline_kernelINS0_14default_configENS1_20scan_config_selectorIfEEZZNS1_9scan_implILNS1_25lookback_scan_determinismE0ELb1ELb1ES3_N6thrust23THRUST_200600_302600_NS6detail15normal_iteratorINS9_10device_ptrIfEEEESE_fNS9_4plusIvEEfEEDaPvRmT3_T4_T5_mT6_P12ihipStream_tbENKUlT_T0_E_clISt17integral_constantIbLb0EESU_EEDaSP_SQ_EUlSP_E_NS1_11comp_targetILNS1_3genE9ELNS1_11target_archE1100ELNS1_3gpuE3ELNS1_3repE0EEENS1_30default_config_static_selectorELNS0_4arch9wavefront6targetE1EEEvT1_,comdat
	.protected	_ZN7rocprim17ROCPRIM_400000_NS6detail17trampoline_kernelINS0_14default_configENS1_20scan_config_selectorIfEEZZNS1_9scan_implILNS1_25lookback_scan_determinismE0ELb1ELb1ES3_N6thrust23THRUST_200600_302600_NS6detail15normal_iteratorINS9_10device_ptrIfEEEESE_fNS9_4plusIvEEfEEDaPvRmT3_T4_T5_mT6_P12ihipStream_tbENKUlT_T0_E_clISt17integral_constantIbLb0EESU_EEDaSP_SQ_EUlSP_E_NS1_11comp_targetILNS1_3genE9ELNS1_11target_archE1100ELNS1_3gpuE3ELNS1_3repE0EEENS1_30default_config_static_selectorELNS0_4arch9wavefront6targetE1EEEvT1_ ; -- Begin function _ZN7rocprim17ROCPRIM_400000_NS6detail17trampoline_kernelINS0_14default_configENS1_20scan_config_selectorIfEEZZNS1_9scan_implILNS1_25lookback_scan_determinismE0ELb1ELb1ES3_N6thrust23THRUST_200600_302600_NS6detail15normal_iteratorINS9_10device_ptrIfEEEESE_fNS9_4plusIvEEfEEDaPvRmT3_T4_T5_mT6_P12ihipStream_tbENKUlT_T0_E_clISt17integral_constantIbLb0EESU_EEDaSP_SQ_EUlSP_E_NS1_11comp_targetILNS1_3genE9ELNS1_11target_archE1100ELNS1_3gpuE3ELNS1_3repE0EEENS1_30default_config_static_selectorELNS0_4arch9wavefront6targetE1EEEvT1_
	.globl	_ZN7rocprim17ROCPRIM_400000_NS6detail17trampoline_kernelINS0_14default_configENS1_20scan_config_selectorIfEEZZNS1_9scan_implILNS1_25lookback_scan_determinismE0ELb1ELb1ES3_N6thrust23THRUST_200600_302600_NS6detail15normal_iteratorINS9_10device_ptrIfEEEESE_fNS9_4plusIvEEfEEDaPvRmT3_T4_T5_mT6_P12ihipStream_tbENKUlT_T0_E_clISt17integral_constantIbLb0EESU_EEDaSP_SQ_EUlSP_E_NS1_11comp_targetILNS1_3genE9ELNS1_11target_archE1100ELNS1_3gpuE3ELNS1_3repE0EEENS1_30default_config_static_selectorELNS0_4arch9wavefront6targetE1EEEvT1_
	.p2align	8
	.type	_ZN7rocprim17ROCPRIM_400000_NS6detail17trampoline_kernelINS0_14default_configENS1_20scan_config_selectorIfEEZZNS1_9scan_implILNS1_25lookback_scan_determinismE0ELb1ELb1ES3_N6thrust23THRUST_200600_302600_NS6detail15normal_iteratorINS9_10device_ptrIfEEEESE_fNS9_4plusIvEEfEEDaPvRmT3_T4_T5_mT6_P12ihipStream_tbENKUlT_T0_E_clISt17integral_constantIbLb0EESU_EEDaSP_SQ_EUlSP_E_NS1_11comp_targetILNS1_3genE9ELNS1_11target_archE1100ELNS1_3gpuE3ELNS1_3repE0EEENS1_30default_config_static_selectorELNS0_4arch9wavefront6targetE1EEEvT1_,@function
_ZN7rocprim17ROCPRIM_400000_NS6detail17trampoline_kernelINS0_14default_configENS1_20scan_config_selectorIfEEZZNS1_9scan_implILNS1_25lookback_scan_determinismE0ELb1ELb1ES3_N6thrust23THRUST_200600_302600_NS6detail15normal_iteratorINS9_10device_ptrIfEEEESE_fNS9_4plusIvEEfEEDaPvRmT3_T4_T5_mT6_P12ihipStream_tbENKUlT_T0_E_clISt17integral_constantIbLb0EESU_EEDaSP_SQ_EUlSP_E_NS1_11comp_targetILNS1_3genE9ELNS1_11target_archE1100ELNS1_3gpuE3ELNS1_3repE0EEENS1_30default_config_static_selectorELNS0_4arch9wavefront6targetE1EEEvT1_: ; @_ZN7rocprim17ROCPRIM_400000_NS6detail17trampoline_kernelINS0_14default_configENS1_20scan_config_selectorIfEEZZNS1_9scan_implILNS1_25lookback_scan_determinismE0ELb1ELb1ES3_N6thrust23THRUST_200600_302600_NS6detail15normal_iteratorINS9_10device_ptrIfEEEESE_fNS9_4plusIvEEfEEDaPvRmT3_T4_T5_mT6_P12ihipStream_tbENKUlT_T0_E_clISt17integral_constantIbLb0EESU_EEDaSP_SQ_EUlSP_E_NS1_11comp_targetILNS1_3genE9ELNS1_11target_archE1100ELNS1_3gpuE3ELNS1_3repE0EEENS1_30default_config_static_selectorELNS0_4arch9wavefront6targetE1EEEvT1_
; %bb.0:
	.section	.rodata,"a",@progbits
	.p2align	6, 0x0
	.amdhsa_kernel _ZN7rocprim17ROCPRIM_400000_NS6detail17trampoline_kernelINS0_14default_configENS1_20scan_config_selectorIfEEZZNS1_9scan_implILNS1_25lookback_scan_determinismE0ELb1ELb1ES3_N6thrust23THRUST_200600_302600_NS6detail15normal_iteratorINS9_10device_ptrIfEEEESE_fNS9_4plusIvEEfEEDaPvRmT3_T4_T5_mT6_P12ihipStream_tbENKUlT_T0_E_clISt17integral_constantIbLb0EESU_EEDaSP_SQ_EUlSP_E_NS1_11comp_targetILNS1_3genE9ELNS1_11target_archE1100ELNS1_3gpuE3ELNS1_3repE0EEENS1_30default_config_static_selectorELNS0_4arch9wavefront6targetE1EEEvT1_
		.amdhsa_group_segment_fixed_size 0
		.amdhsa_private_segment_fixed_size 0
		.amdhsa_kernarg_size 96
		.amdhsa_user_sgpr_count 6
		.amdhsa_user_sgpr_private_segment_buffer 1
		.amdhsa_user_sgpr_dispatch_ptr 0
		.amdhsa_user_sgpr_queue_ptr 0
		.amdhsa_user_sgpr_kernarg_segment_ptr 1
		.amdhsa_user_sgpr_dispatch_id 0
		.amdhsa_user_sgpr_flat_scratch_init 0
		.amdhsa_user_sgpr_kernarg_preload_length 0
		.amdhsa_user_sgpr_kernarg_preload_offset 0
		.amdhsa_user_sgpr_private_segment_size 0
		.amdhsa_uses_dynamic_stack 0
		.amdhsa_system_sgpr_private_segment_wavefront_offset 0
		.amdhsa_system_sgpr_workgroup_id_x 1
		.amdhsa_system_sgpr_workgroup_id_y 0
		.amdhsa_system_sgpr_workgroup_id_z 0
		.amdhsa_system_sgpr_workgroup_info 0
		.amdhsa_system_vgpr_workitem_id 0
		.amdhsa_next_free_vgpr 1
		.amdhsa_next_free_sgpr 0
		.amdhsa_accum_offset 4
		.amdhsa_reserve_vcc 0
		.amdhsa_reserve_flat_scratch 0
		.amdhsa_float_round_mode_32 0
		.amdhsa_float_round_mode_16_64 0
		.amdhsa_float_denorm_mode_32 3
		.amdhsa_float_denorm_mode_16_64 3
		.amdhsa_dx10_clamp 1
		.amdhsa_ieee_mode 1
		.amdhsa_fp16_overflow 0
		.amdhsa_tg_split 0
		.amdhsa_exception_fp_ieee_invalid_op 0
		.amdhsa_exception_fp_denorm_src 0
		.amdhsa_exception_fp_ieee_div_zero 0
		.amdhsa_exception_fp_ieee_overflow 0
		.amdhsa_exception_fp_ieee_underflow 0
		.amdhsa_exception_fp_ieee_inexact 0
		.amdhsa_exception_int_div_zero 0
	.end_amdhsa_kernel
	.section	.text._ZN7rocprim17ROCPRIM_400000_NS6detail17trampoline_kernelINS0_14default_configENS1_20scan_config_selectorIfEEZZNS1_9scan_implILNS1_25lookback_scan_determinismE0ELb1ELb1ES3_N6thrust23THRUST_200600_302600_NS6detail15normal_iteratorINS9_10device_ptrIfEEEESE_fNS9_4plusIvEEfEEDaPvRmT3_T4_T5_mT6_P12ihipStream_tbENKUlT_T0_E_clISt17integral_constantIbLb0EESU_EEDaSP_SQ_EUlSP_E_NS1_11comp_targetILNS1_3genE9ELNS1_11target_archE1100ELNS1_3gpuE3ELNS1_3repE0EEENS1_30default_config_static_selectorELNS0_4arch9wavefront6targetE1EEEvT1_,"axG",@progbits,_ZN7rocprim17ROCPRIM_400000_NS6detail17trampoline_kernelINS0_14default_configENS1_20scan_config_selectorIfEEZZNS1_9scan_implILNS1_25lookback_scan_determinismE0ELb1ELb1ES3_N6thrust23THRUST_200600_302600_NS6detail15normal_iteratorINS9_10device_ptrIfEEEESE_fNS9_4plusIvEEfEEDaPvRmT3_T4_T5_mT6_P12ihipStream_tbENKUlT_T0_E_clISt17integral_constantIbLb0EESU_EEDaSP_SQ_EUlSP_E_NS1_11comp_targetILNS1_3genE9ELNS1_11target_archE1100ELNS1_3gpuE3ELNS1_3repE0EEENS1_30default_config_static_selectorELNS0_4arch9wavefront6targetE1EEEvT1_,comdat
.Lfunc_end4365:
	.size	_ZN7rocprim17ROCPRIM_400000_NS6detail17trampoline_kernelINS0_14default_configENS1_20scan_config_selectorIfEEZZNS1_9scan_implILNS1_25lookback_scan_determinismE0ELb1ELb1ES3_N6thrust23THRUST_200600_302600_NS6detail15normal_iteratorINS9_10device_ptrIfEEEESE_fNS9_4plusIvEEfEEDaPvRmT3_T4_T5_mT6_P12ihipStream_tbENKUlT_T0_E_clISt17integral_constantIbLb0EESU_EEDaSP_SQ_EUlSP_E_NS1_11comp_targetILNS1_3genE9ELNS1_11target_archE1100ELNS1_3gpuE3ELNS1_3repE0EEENS1_30default_config_static_selectorELNS0_4arch9wavefront6targetE1EEEvT1_, .Lfunc_end4365-_ZN7rocprim17ROCPRIM_400000_NS6detail17trampoline_kernelINS0_14default_configENS1_20scan_config_selectorIfEEZZNS1_9scan_implILNS1_25lookback_scan_determinismE0ELb1ELb1ES3_N6thrust23THRUST_200600_302600_NS6detail15normal_iteratorINS9_10device_ptrIfEEEESE_fNS9_4plusIvEEfEEDaPvRmT3_T4_T5_mT6_P12ihipStream_tbENKUlT_T0_E_clISt17integral_constantIbLb0EESU_EEDaSP_SQ_EUlSP_E_NS1_11comp_targetILNS1_3genE9ELNS1_11target_archE1100ELNS1_3gpuE3ELNS1_3repE0EEENS1_30default_config_static_selectorELNS0_4arch9wavefront6targetE1EEEvT1_
                                        ; -- End function
	.section	.AMDGPU.csdata,"",@progbits
; Kernel info:
; codeLenInByte = 0
; NumSgprs: 4
; NumVgprs: 0
; NumAgprs: 0
; TotalNumVgprs: 0
; ScratchSize: 0
; MemoryBound: 0
; FloatMode: 240
; IeeeMode: 1
; LDSByteSize: 0 bytes/workgroup (compile time only)
; SGPRBlocks: 0
; VGPRBlocks: 0
; NumSGPRsForWavesPerEU: 4
; NumVGPRsForWavesPerEU: 1
; AccumOffset: 4
; Occupancy: 8
; WaveLimiterHint : 0
; COMPUTE_PGM_RSRC2:SCRATCH_EN: 0
; COMPUTE_PGM_RSRC2:USER_SGPR: 6
; COMPUTE_PGM_RSRC2:TRAP_HANDLER: 0
; COMPUTE_PGM_RSRC2:TGID_X_EN: 1
; COMPUTE_PGM_RSRC2:TGID_Y_EN: 0
; COMPUTE_PGM_RSRC2:TGID_Z_EN: 0
; COMPUTE_PGM_RSRC2:TIDIG_COMP_CNT: 0
; COMPUTE_PGM_RSRC3_GFX90A:ACCUM_OFFSET: 0
; COMPUTE_PGM_RSRC3_GFX90A:TG_SPLIT: 0
	.section	.text._ZN7rocprim17ROCPRIM_400000_NS6detail17trampoline_kernelINS0_14default_configENS1_20scan_config_selectorIfEEZZNS1_9scan_implILNS1_25lookback_scan_determinismE0ELb1ELb1ES3_N6thrust23THRUST_200600_302600_NS6detail15normal_iteratorINS9_10device_ptrIfEEEESE_fNS9_4plusIvEEfEEDaPvRmT3_T4_T5_mT6_P12ihipStream_tbENKUlT_T0_E_clISt17integral_constantIbLb0EESU_EEDaSP_SQ_EUlSP_E_NS1_11comp_targetILNS1_3genE8ELNS1_11target_archE1030ELNS1_3gpuE2ELNS1_3repE0EEENS1_30default_config_static_selectorELNS0_4arch9wavefront6targetE1EEEvT1_,"axG",@progbits,_ZN7rocprim17ROCPRIM_400000_NS6detail17trampoline_kernelINS0_14default_configENS1_20scan_config_selectorIfEEZZNS1_9scan_implILNS1_25lookback_scan_determinismE0ELb1ELb1ES3_N6thrust23THRUST_200600_302600_NS6detail15normal_iteratorINS9_10device_ptrIfEEEESE_fNS9_4plusIvEEfEEDaPvRmT3_T4_T5_mT6_P12ihipStream_tbENKUlT_T0_E_clISt17integral_constantIbLb0EESU_EEDaSP_SQ_EUlSP_E_NS1_11comp_targetILNS1_3genE8ELNS1_11target_archE1030ELNS1_3gpuE2ELNS1_3repE0EEENS1_30default_config_static_selectorELNS0_4arch9wavefront6targetE1EEEvT1_,comdat
	.protected	_ZN7rocprim17ROCPRIM_400000_NS6detail17trampoline_kernelINS0_14default_configENS1_20scan_config_selectorIfEEZZNS1_9scan_implILNS1_25lookback_scan_determinismE0ELb1ELb1ES3_N6thrust23THRUST_200600_302600_NS6detail15normal_iteratorINS9_10device_ptrIfEEEESE_fNS9_4plusIvEEfEEDaPvRmT3_T4_T5_mT6_P12ihipStream_tbENKUlT_T0_E_clISt17integral_constantIbLb0EESU_EEDaSP_SQ_EUlSP_E_NS1_11comp_targetILNS1_3genE8ELNS1_11target_archE1030ELNS1_3gpuE2ELNS1_3repE0EEENS1_30default_config_static_selectorELNS0_4arch9wavefront6targetE1EEEvT1_ ; -- Begin function _ZN7rocprim17ROCPRIM_400000_NS6detail17trampoline_kernelINS0_14default_configENS1_20scan_config_selectorIfEEZZNS1_9scan_implILNS1_25lookback_scan_determinismE0ELb1ELb1ES3_N6thrust23THRUST_200600_302600_NS6detail15normal_iteratorINS9_10device_ptrIfEEEESE_fNS9_4plusIvEEfEEDaPvRmT3_T4_T5_mT6_P12ihipStream_tbENKUlT_T0_E_clISt17integral_constantIbLb0EESU_EEDaSP_SQ_EUlSP_E_NS1_11comp_targetILNS1_3genE8ELNS1_11target_archE1030ELNS1_3gpuE2ELNS1_3repE0EEENS1_30default_config_static_selectorELNS0_4arch9wavefront6targetE1EEEvT1_
	.globl	_ZN7rocprim17ROCPRIM_400000_NS6detail17trampoline_kernelINS0_14default_configENS1_20scan_config_selectorIfEEZZNS1_9scan_implILNS1_25lookback_scan_determinismE0ELb1ELb1ES3_N6thrust23THRUST_200600_302600_NS6detail15normal_iteratorINS9_10device_ptrIfEEEESE_fNS9_4plusIvEEfEEDaPvRmT3_T4_T5_mT6_P12ihipStream_tbENKUlT_T0_E_clISt17integral_constantIbLb0EESU_EEDaSP_SQ_EUlSP_E_NS1_11comp_targetILNS1_3genE8ELNS1_11target_archE1030ELNS1_3gpuE2ELNS1_3repE0EEENS1_30default_config_static_selectorELNS0_4arch9wavefront6targetE1EEEvT1_
	.p2align	8
	.type	_ZN7rocprim17ROCPRIM_400000_NS6detail17trampoline_kernelINS0_14default_configENS1_20scan_config_selectorIfEEZZNS1_9scan_implILNS1_25lookback_scan_determinismE0ELb1ELb1ES3_N6thrust23THRUST_200600_302600_NS6detail15normal_iteratorINS9_10device_ptrIfEEEESE_fNS9_4plusIvEEfEEDaPvRmT3_T4_T5_mT6_P12ihipStream_tbENKUlT_T0_E_clISt17integral_constantIbLb0EESU_EEDaSP_SQ_EUlSP_E_NS1_11comp_targetILNS1_3genE8ELNS1_11target_archE1030ELNS1_3gpuE2ELNS1_3repE0EEENS1_30default_config_static_selectorELNS0_4arch9wavefront6targetE1EEEvT1_,@function
_ZN7rocprim17ROCPRIM_400000_NS6detail17trampoline_kernelINS0_14default_configENS1_20scan_config_selectorIfEEZZNS1_9scan_implILNS1_25lookback_scan_determinismE0ELb1ELb1ES3_N6thrust23THRUST_200600_302600_NS6detail15normal_iteratorINS9_10device_ptrIfEEEESE_fNS9_4plusIvEEfEEDaPvRmT3_T4_T5_mT6_P12ihipStream_tbENKUlT_T0_E_clISt17integral_constantIbLb0EESU_EEDaSP_SQ_EUlSP_E_NS1_11comp_targetILNS1_3genE8ELNS1_11target_archE1030ELNS1_3gpuE2ELNS1_3repE0EEENS1_30default_config_static_selectorELNS0_4arch9wavefront6targetE1EEEvT1_: ; @_ZN7rocprim17ROCPRIM_400000_NS6detail17trampoline_kernelINS0_14default_configENS1_20scan_config_selectorIfEEZZNS1_9scan_implILNS1_25lookback_scan_determinismE0ELb1ELb1ES3_N6thrust23THRUST_200600_302600_NS6detail15normal_iteratorINS9_10device_ptrIfEEEESE_fNS9_4plusIvEEfEEDaPvRmT3_T4_T5_mT6_P12ihipStream_tbENKUlT_T0_E_clISt17integral_constantIbLb0EESU_EEDaSP_SQ_EUlSP_E_NS1_11comp_targetILNS1_3genE8ELNS1_11target_archE1030ELNS1_3gpuE2ELNS1_3repE0EEENS1_30default_config_static_selectorELNS0_4arch9wavefront6targetE1EEEvT1_
; %bb.0:
	.section	.rodata,"a",@progbits
	.p2align	6, 0x0
	.amdhsa_kernel _ZN7rocprim17ROCPRIM_400000_NS6detail17trampoline_kernelINS0_14default_configENS1_20scan_config_selectorIfEEZZNS1_9scan_implILNS1_25lookback_scan_determinismE0ELb1ELb1ES3_N6thrust23THRUST_200600_302600_NS6detail15normal_iteratorINS9_10device_ptrIfEEEESE_fNS9_4plusIvEEfEEDaPvRmT3_T4_T5_mT6_P12ihipStream_tbENKUlT_T0_E_clISt17integral_constantIbLb0EESU_EEDaSP_SQ_EUlSP_E_NS1_11comp_targetILNS1_3genE8ELNS1_11target_archE1030ELNS1_3gpuE2ELNS1_3repE0EEENS1_30default_config_static_selectorELNS0_4arch9wavefront6targetE1EEEvT1_
		.amdhsa_group_segment_fixed_size 0
		.amdhsa_private_segment_fixed_size 0
		.amdhsa_kernarg_size 96
		.amdhsa_user_sgpr_count 6
		.amdhsa_user_sgpr_private_segment_buffer 1
		.amdhsa_user_sgpr_dispatch_ptr 0
		.amdhsa_user_sgpr_queue_ptr 0
		.amdhsa_user_sgpr_kernarg_segment_ptr 1
		.amdhsa_user_sgpr_dispatch_id 0
		.amdhsa_user_sgpr_flat_scratch_init 0
		.amdhsa_user_sgpr_kernarg_preload_length 0
		.amdhsa_user_sgpr_kernarg_preload_offset 0
		.amdhsa_user_sgpr_private_segment_size 0
		.amdhsa_uses_dynamic_stack 0
		.amdhsa_system_sgpr_private_segment_wavefront_offset 0
		.amdhsa_system_sgpr_workgroup_id_x 1
		.amdhsa_system_sgpr_workgroup_id_y 0
		.amdhsa_system_sgpr_workgroup_id_z 0
		.amdhsa_system_sgpr_workgroup_info 0
		.amdhsa_system_vgpr_workitem_id 0
		.amdhsa_next_free_vgpr 1
		.amdhsa_next_free_sgpr 0
		.amdhsa_accum_offset 4
		.amdhsa_reserve_vcc 0
		.amdhsa_reserve_flat_scratch 0
		.amdhsa_float_round_mode_32 0
		.amdhsa_float_round_mode_16_64 0
		.amdhsa_float_denorm_mode_32 3
		.amdhsa_float_denorm_mode_16_64 3
		.amdhsa_dx10_clamp 1
		.amdhsa_ieee_mode 1
		.amdhsa_fp16_overflow 0
		.amdhsa_tg_split 0
		.amdhsa_exception_fp_ieee_invalid_op 0
		.amdhsa_exception_fp_denorm_src 0
		.amdhsa_exception_fp_ieee_div_zero 0
		.amdhsa_exception_fp_ieee_overflow 0
		.amdhsa_exception_fp_ieee_underflow 0
		.amdhsa_exception_fp_ieee_inexact 0
		.amdhsa_exception_int_div_zero 0
	.end_amdhsa_kernel
	.section	.text._ZN7rocprim17ROCPRIM_400000_NS6detail17trampoline_kernelINS0_14default_configENS1_20scan_config_selectorIfEEZZNS1_9scan_implILNS1_25lookback_scan_determinismE0ELb1ELb1ES3_N6thrust23THRUST_200600_302600_NS6detail15normal_iteratorINS9_10device_ptrIfEEEESE_fNS9_4plusIvEEfEEDaPvRmT3_T4_T5_mT6_P12ihipStream_tbENKUlT_T0_E_clISt17integral_constantIbLb0EESU_EEDaSP_SQ_EUlSP_E_NS1_11comp_targetILNS1_3genE8ELNS1_11target_archE1030ELNS1_3gpuE2ELNS1_3repE0EEENS1_30default_config_static_selectorELNS0_4arch9wavefront6targetE1EEEvT1_,"axG",@progbits,_ZN7rocprim17ROCPRIM_400000_NS6detail17trampoline_kernelINS0_14default_configENS1_20scan_config_selectorIfEEZZNS1_9scan_implILNS1_25lookback_scan_determinismE0ELb1ELb1ES3_N6thrust23THRUST_200600_302600_NS6detail15normal_iteratorINS9_10device_ptrIfEEEESE_fNS9_4plusIvEEfEEDaPvRmT3_T4_T5_mT6_P12ihipStream_tbENKUlT_T0_E_clISt17integral_constantIbLb0EESU_EEDaSP_SQ_EUlSP_E_NS1_11comp_targetILNS1_3genE8ELNS1_11target_archE1030ELNS1_3gpuE2ELNS1_3repE0EEENS1_30default_config_static_selectorELNS0_4arch9wavefront6targetE1EEEvT1_,comdat
.Lfunc_end4366:
	.size	_ZN7rocprim17ROCPRIM_400000_NS6detail17trampoline_kernelINS0_14default_configENS1_20scan_config_selectorIfEEZZNS1_9scan_implILNS1_25lookback_scan_determinismE0ELb1ELb1ES3_N6thrust23THRUST_200600_302600_NS6detail15normal_iteratorINS9_10device_ptrIfEEEESE_fNS9_4plusIvEEfEEDaPvRmT3_T4_T5_mT6_P12ihipStream_tbENKUlT_T0_E_clISt17integral_constantIbLb0EESU_EEDaSP_SQ_EUlSP_E_NS1_11comp_targetILNS1_3genE8ELNS1_11target_archE1030ELNS1_3gpuE2ELNS1_3repE0EEENS1_30default_config_static_selectorELNS0_4arch9wavefront6targetE1EEEvT1_, .Lfunc_end4366-_ZN7rocprim17ROCPRIM_400000_NS6detail17trampoline_kernelINS0_14default_configENS1_20scan_config_selectorIfEEZZNS1_9scan_implILNS1_25lookback_scan_determinismE0ELb1ELb1ES3_N6thrust23THRUST_200600_302600_NS6detail15normal_iteratorINS9_10device_ptrIfEEEESE_fNS9_4plusIvEEfEEDaPvRmT3_T4_T5_mT6_P12ihipStream_tbENKUlT_T0_E_clISt17integral_constantIbLb0EESU_EEDaSP_SQ_EUlSP_E_NS1_11comp_targetILNS1_3genE8ELNS1_11target_archE1030ELNS1_3gpuE2ELNS1_3repE0EEENS1_30default_config_static_selectorELNS0_4arch9wavefront6targetE1EEEvT1_
                                        ; -- End function
	.section	.AMDGPU.csdata,"",@progbits
; Kernel info:
; codeLenInByte = 0
; NumSgprs: 4
; NumVgprs: 0
; NumAgprs: 0
; TotalNumVgprs: 0
; ScratchSize: 0
; MemoryBound: 0
; FloatMode: 240
; IeeeMode: 1
; LDSByteSize: 0 bytes/workgroup (compile time only)
; SGPRBlocks: 0
; VGPRBlocks: 0
; NumSGPRsForWavesPerEU: 4
; NumVGPRsForWavesPerEU: 1
; AccumOffset: 4
; Occupancy: 8
; WaveLimiterHint : 0
; COMPUTE_PGM_RSRC2:SCRATCH_EN: 0
; COMPUTE_PGM_RSRC2:USER_SGPR: 6
; COMPUTE_PGM_RSRC2:TRAP_HANDLER: 0
; COMPUTE_PGM_RSRC2:TGID_X_EN: 1
; COMPUTE_PGM_RSRC2:TGID_Y_EN: 0
; COMPUTE_PGM_RSRC2:TGID_Z_EN: 0
; COMPUTE_PGM_RSRC2:TIDIG_COMP_CNT: 0
; COMPUTE_PGM_RSRC3_GFX90A:ACCUM_OFFSET: 0
; COMPUTE_PGM_RSRC3_GFX90A:TG_SPLIT: 0
	.section	.text._ZN7rocprim17ROCPRIM_400000_NS6detail17trampoline_kernelINS0_14default_configENS1_20scan_config_selectorIfEEZZNS1_9scan_implILNS1_25lookback_scan_determinismE0ELb1ELb1ES3_N6thrust23THRUST_200600_302600_NS6detail15normal_iteratorINS9_10device_ptrIfEEEESE_fNS9_4plusIvEEfEEDaPvRmT3_T4_T5_mT6_P12ihipStream_tbENKUlT_T0_E_clISt17integral_constantIbLb0EESU_EEDaSP_SQ_EUlSP_E0_NS1_11comp_targetILNS1_3genE0ELNS1_11target_archE4294967295ELNS1_3gpuE0ELNS1_3repE0EEENS1_30default_config_static_selectorELNS0_4arch9wavefront6targetE1EEEvT1_,"axG",@progbits,_ZN7rocprim17ROCPRIM_400000_NS6detail17trampoline_kernelINS0_14default_configENS1_20scan_config_selectorIfEEZZNS1_9scan_implILNS1_25lookback_scan_determinismE0ELb1ELb1ES3_N6thrust23THRUST_200600_302600_NS6detail15normal_iteratorINS9_10device_ptrIfEEEESE_fNS9_4plusIvEEfEEDaPvRmT3_T4_T5_mT6_P12ihipStream_tbENKUlT_T0_E_clISt17integral_constantIbLb0EESU_EEDaSP_SQ_EUlSP_E0_NS1_11comp_targetILNS1_3genE0ELNS1_11target_archE4294967295ELNS1_3gpuE0ELNS1_3repE0EEENS1_30default_config_static_selectorELNS0_4arch9wavefront6targetE1EEEvT1_,comdat
	.protected	_ZN7rocprim17ROCPRIM_400000_NS6detail17trampoline_kernelINS0_14default_configENS1_20scan_config_selectorIfEEZZNS1_9scan_implILNS1_25lookback_scan_determinismE0ELb1ELb1ES3_N6thrust23THRUST_200600_302600_NS6detail15normal_iteratorINS9_10device_ptrIfEEEESE_fNS9_4plusIvEEfEEDaPvRmT3_T4_T5_mT6_P12ihipStream_tbENKUlT_T0_E_clISt17integral_constantIbLb0EESU_EEDaSP_SQ_EUlSP_E0_NS1_11comp_targetILNS1_3genE0ELNS1_11target_archE4294967295ELNS1_3gpuE0ELNS1_3repE0EEENS1_30default_config_static_selectorELNS0_4arch9wavefront6targetE1EEEvT1_ ; -- Begin function _ZN7rocprim17ROCPRIM_400000_NS6detail17trampoline_kernelINS0_14default_configENS1_20scan_config_selectorIfEEZZNS1_9scan_implILNS1_25lookback_scan_determinismE0ELb1ELb1ES3_N6thrust23THRUST_200600_302600_NS6detail15normal_iteratorINS9_10device_ptrIfEEEESE_fNS9_4plusIvEEfEEDaPvRmT3_T4_T5_mT6_P12ihipStream_tbENKUlT_T0_E_clISt17integral_constantIbLb0EESU_EEDaSP_SQ_EUlSP_E0_NS1_11comp_targetILNS1_3genE0ELNS1_11target_archE4294967295ELNS1_3gpuE0ELNS1_3repE0EEENS1_30default_config_static_selectorELNS0_4arch9wavefront6targetE1EEEvT1_
	.globl	_ZN7rocprim17ROCPRIM_400000_NS6detail17trampoline_kernelINS0_14default_configENS1_20scan_config_selectorIfEEZZNS1_9scan_implILNS1_25lookback_scan_determinismE0ELb1ELb1ES3_N6thrust23THRUST_200600_302600_NS6detail15normal_iteratorINS9_10device_ptrIfEEEESE_fNS9_4plusIvEEfEEDaPvRmT3_T4_T5_mT6_P12ihipStream_tbENKUlT_T0_E_clISt17integral_constantIbLb0EESU_EEDaSP_SQ_EUlSP_E0_NS1_11comp_targetILNS1_3genE0ELNS1_11target_archE4294967295ELNS1_3gpuE0ELNS1_3repE0EEENS1_30default_config_static_selectorELNS0_4arch9wavefront6targetE1EEEvT1_
	.p2align	8
	.type	_ZN7rocprim17ROCPRIM_400000_NS6detail17trampoline_kernelINS0_14default_configENS1_20scan_config_selectorIfEEZZNS1_9scan_implILNS1_25lookback_scan_determinismE0ELb1ELb1ES3_N6thrust23THRUST_200600_302600_NS6detail15normal_iteratorINS9_10device_ptrIfEEEESE_fNS9_4plusIvEEfEEDaPvRmT3_T4_T5_mT6_P12ihipStream_tbENKUlT_T0_E_clISt17integral_constantIbLb0EESU_EEDaSP_SQ_EUlSP_E0_NS1_11comp_targetILNS1_3genE0ELNS1_11target_archE4294967295ELNS1_3gpuE0ELNS1_3repE0EEENS1_30default_config_static_selectorELNS0_4arch9wavefront6targetE1EEEvT1_,@function
_ZN7rocprim17ROCPRIM_400000_NS6detail17trampoline_kernelINS0_14default_configENS1_20scan_config_selectorIfEEZZNS1_9scan_implILNS1_25lookback_scan_determinismE0ELb1ELb1ES3_N6thrust23THRUST_200600_302600_NS6detail15normal_iteratorINS9_10device_ptrIfEEEESE_fNS9_4plusIvEEfEEDaPvRmT3_T4_T5_mT6_P12ihipStream_tbENKUlT_T0_E_clISt17integral_constantIbLb0EESU_EEDaSP_SQ_EUlSP_E0_NS1_11comp_targetILNS1_3genE0ELNS1_11target_archE4294967295ELNS1_3gpuE0ELNS1_3repE0EEENS1_30default_config_static_selectorELNS0_4arch9wavefront6targetE1EEEvT1_: ; @_ZN7rocprim17ROCPRIM_400000_NS6detail17trampoline_kernelINS0_14default_configENS1_20scan_config_selectorIfEEZZNS1_9scan_implILNS1_25lookback_scan_determinismE0ELb1ELb1ES3_N6thrust23THRUST_200600_302600_NS6detail15normal_iteratorINS9_10device_ptrIfEEEESE_fNS9_4plusIvEEfEEDaPvRmT3_T4_T5_mT6_P12ihipStream_tbENKUlT_T0_E_clISt17integral_constantIbLb0EESU_EEDaSP_SQ_EUlSP_E0_NS1_11comp_targetILNS1_3genE0ELNS1_11target_archE4294967295ELNS1_3gpuE0ELNS1_3repE0EEENS1_30default_config_static_selectorELNS0_4arch9wavefront6targetE1EEEvT1_
; %bb.0:
	.section	.rodata,"a",@progbits
	.p2align	6, 0x0
	.amdhsa_kernel _ZN7rocprim17ROCPRIM_400000_NS6detail17trampoline_kernelINS0_14default_configENS1_20scan_config_selectorIfEEZZNS1_9scan_implILNS1_25lookback_scan_determinismE0ELb1ELb1ES3_N6thrust23THRUST_200600_302600_NS6detail15normal_iteratorINS9_10device_ptrIfEEEESE_fNS9_4plusIvEEfEEDaPvRmT3_T4_T5_mT6_P12ihipStream_tbENKUlT_T0_E_clISt17integral_constantIbLb0EESU_EEDaSP_SQ_EUlSP_E0_NS1_11comp_targetILNS1_3genE0ELNS1_11target_archE4294967295ELNS1_3gpuE0ELNS1_3repE0EEENS1_30default_config_static_selectorELNS0_4arch9wavefront6targetE1EEEvT1_
		.amdhsa_group_segment_fixed_size 0
		.amdhsa_private_segment_fixed_size 0
		.amdhsa_kernarg_size 32
		.amdhsa_user_sgpr_count 6
		.amdhsa_user_sgpr_private_segment_buffer 1
		.amdhsa_user_sgpr_dispatch_ptr 0
		.amdhsa_user_sgpr_queue_ptr 0
		.amdhsa_user_sgpr_kernarg_segment_ptr 1
		.amdhsa_user_sgpr_dispatch_id 0
		.amdhsa_user_sgpr_flat_scratch_init 0
		.amdhsa_user_sgpr_kernarg_preload_length 0
		.amdhsa_user_sgpr_kernarg_preload_offset 0
		.amdhsa_user_sgpr_private_segment_size 0
		.amdhsa_uses_dynamic_stack 0
		.amdhsa_system_sgpr_private_segment_wavefront_offset 0
		.amdhsa_system_sgpr_workgroup_id_x 1
		.amdhsa_system_sgpr_workgroup_id_y 0
		.amdhsa_system_sgpr_workgroup_id_z 0
		.amdhsa_system_sgpr_workgroup_info 0
		.amdhsa_system_vgpr_workitem_id 0
		.amdhsa_next_free_vgpr 1
		.amdhsa_next_free_sgpr 0
		.amdhsa_accum_offset 4
		.amdhsa_reserve_vcc 0
		.amdhsa_reserve_flat_scratch 0
		.amdhsa_float_round_mode_32 0
		.amdhsa_float_round_mode_16_64 0
		.amdhsa_float_denorm_mode_32 3
		.amdhsa_float_denorm_mode_16_64 3
		.amdhsa_dx10_clamp 1
		.amdhsa_ieee_mode 1
		.amdhsa_fp16_overflow 0
		.amdhsa_tg_split 0
		.amdhsa_exception_fp_ieee_invalid_op 0
		.amdhsa_exception_fp_denorm_src 0
		.amdhsa_exception_fp_ieee_div_zero 0
		.amdhsa_exception_fp_ieee_overflow 0
		.amdhsa_exception_fp_ieee_underflow 0
		.amdhsa_exception_fp_ieee_inexact 0
		.amdhsa_exception_int_div_zero 0
	.end_amdhsa_kernel
	.section	.text._ZN7rocprim17ROCPRIM_400000_NS6detail17trampoline_kernelINS0_14default_configENS1_20scan_config_selectorIfEEZZNS1_9scan_implILNS1_25lookback_scan_determinismE0ELb1ELb1ES3_N6thrust23THRUST_200600_302600_NS6detail15normal_iteratorINS9_10device_ptrIfEEEESE_fNS9_4plusIvEEfEEDaPvRmT3_T4_T5_mT6_P12ihipStream_tbENKUlT_T0_E_clISt17integral_constantIbLb0EESU_EEDaSP_SQ_EUlSP_E0_NS1_11comp_targetILNS1_3genE0ELNS1_11target_archE4294967295ELNS1_3gpuE0ELNS1_3repE0EEENS1_30default_config_static_selectorELNS0_4arch9wavefront6targetE1EEEvT1_,"axG",@progbits,_ZN7rocprim17ROCPRIM_400000_NS6detail17trampoline_kernelINS0_14default_configENS1_20scan_config_selectorIfEEZZNS1_9scan_implILNS1_25lookback_scan_determinismE0ELb1ELb1ES3_N6thrust23THRUST_200600_302600_NS6detail15normal_iteratorINS9_10device_ptrIfEEEESE_fNS9_4plusIvEEfEEDaPvRmT3_T4_T5_mT6_P12ihipStream_tbENKUlT_T0_E_clISt17integral_constantIbLb0EESU_EEDaSP_SQ_EUlSP_E0_NS1_11comp_targetILNS1_3genE0ELNS1_11target_archE4294967295ELNS1_3gpuE0ELNS1_3repE0EEENS1_30default_config_static_selectorELNS0_4arch9wavefront6targetE1EEEvT1_,comdat
.Lfunc_end4367:
	.size	_ZN7rocprim17ROCPRIM_400000_NS6detail17trampoline_kernelINS0_14default_configENS1_20scan_config_selectorIfEEZZNS1_9scan_implILNS1_25lookback_scan_determinismE0ELb1ELb1ES3_N6thrust23THRUST_200600_302600_NS6detail15normal_iteratorINS9_10device_ptrIfEEEESE_fNS9_4plusIvEEfEEDaPvRmT3_T4_T5_mT6_P12ihipStream_tbENKUlT_T0_E_clISt17integral_constantIbLb0EESU_EEDaSP_SQ_EUlSP_E0_NS1_11comp_targetILNS1_3genE0ELNS1_11target_archE4294967295ELNS1_3gpuE0ELNS1_3repE0EEENS1_30default_config_static_selectorELNS0_4arch9wavefront6targetE1EEEvT1_, .Lfunc_end4367-_ZN7rocprim17ROCPRIM_400000_NS6detail17trampoline_kernelINS0_14default_configENS1_20scan_config_selectorIfEEZZNS1_9scan_implILNS1_25lookback_scan_determinismE0ELb1ELb1ES3_N6thrust23THRUST_200600_302600_NS6detail15normal_iteratorINS9_10device_ptrIfEEEESE_fNS9_4plusIvEEfEEDaPvRmT3_T4_T5_mT6_P12ihipStream_tbENKUlT_T0_E_clISt17integral_constantIbLb0EESU_EEDaSP_SQ_EUlSP_E0_NS1_11comp_targetILNS1_3genE0ELNS1_11target_archE4294967295ELNS1_3gpuE0ELNS1_3repE0EEENS1_30default_config_static_selectorELNS0_4arch9wavefront6targetE1EEEvT1_
                                        ; -- End function
	.section	.AMDGPU.csdata,"",@progbits
; Kernel info:
; codeLenInByte = 0
; NumSgprs: 4
; NumVgprs: 0
; NumAgprs: 0
; TotalNumVgprs: 0
; ScratchSize: 0
; MemoryBound: 0
; FloatMode: 240
; IeeeMode: 1
; LDSByteSize: 0 bytes/workgroup (compile time only)
; SGPRBlocks: 0
; VGPRBlocks: 0
; NumSGPRsForWavesPerEU: 4
; NumVGPRsForWavesPerEU: 1
; AccumOffset: 4
; Occupancy: 8
; WaveLimiterHint : 0
; COMPUTE_PGM_RSRC2:SCRATCH_EN: 0
; COMPUTE_PGM_RSRC2:USER_SGPR: 6
; COMPUTE_PGM_RSRC2:TRAP_HANDLER: 0
; COMPUTE_PGM_RSRC2:TGID_X_EN: 1
; COMPUTE_PGM_RSRC2:TGID_Y_EN: 0
; COMPUTE_PGM_RSRC2:TGID_Z_EN: 0
; COMPUTE_PGM_RSRC2:TIDIG_COMP_CNT: 0
; COMPUTE_PGM_RSRC3_GFX90A:ACCUM_OFFSET: 0
; COMPUTE_PGM_RSRC3_GFX90A:TG_SPLIT: 0
	.section	.text._ZN7rocprim17ROCPRIM_400000_NS6detail17trampoline_kernelINS0_14default_configENS1_20scan_config_selectorIfEEZZNS1_9scan_implILNS1_25lookback_scan_determinismE0ELb1ELb1ES3_N6thrust23THRUST_200600_302600_NS6detail15normal_iteratorINS9_10device_ptrIfEEEESE_fNS9_4plusIvEEfEEDaPvRmT3_T4_T5_mT6_P12ihipStream_tbENKUlT_T0_E_clISt17integral_constantIbLb0EESU_EEDaSP_SQ_EUlSP_E0_NS1_11comp_targetILNS1_3genE5ELNS1_11target_archE942ELNS1_3gpuE9ELNS1_3repE0EEENS1_30default_config_static_selectorELNS0_4arch9wavefront6targetE1EEEvT1_,"axG",@progbits,_ZN7rocprim17ROCPRIM_400000_NS6detail17trampoline_kernelINS0_14default_configENS1_20scan_config_selectorIfEEZZNS1_9scan_implILNS1_25lookback_scan_determinismE0ELb1ELb1ES3_N6thrust23THRUST_200600_302600_NS6detail15normal_iteratorINS9_10device_ptrIfEEEESE_fNS9_4plusIvEEfEEDaPvRmT3_T4_T5_mT6_P12ihipStream_tbENKUlT_T0_E_clISt17integral_constantIbLb0EESU_EEDaSP_SQ_EUlSP_E0_NS1_11comp_targetILNS1_3genE5ELNS1_11target_archE942ELNS1_3gpuE9ELNS1_3repE0EEENS1_30default_config_static_selectorELNS0_4arch9wavefront6targetE1EEEvT1_,comdat
	.protected	_ZN7rocprim17ROCPRIM_400000_NS6detail17trampoline_kernelINS0_14default_configENS1_20scan_config_selectorIfEEZZNS1_9scan_implILNS1_25lookback_scan_determinismE0ELb1ELb1ES3_N6thrust23THRUST_200600_302600_NS6detail15normal_iteratorINS9_10device_ptrIfEEEESE_fNS9_4plusIvEEfEEDaPvRmT3_T4_T5_mT6_P12ihipStream_tbENKUlT_T0_E_clISt17integral_constantIbLb0EESU_EEDaSP_SQ_EUlSP_E0_NS1_11comp_targetILNS1_3genE5ELNS1_11target_archE942ELNS1_3gpuE9ELNS1_3repE0EEENS1_30default_config_static_selectorELNS0_4arch9wavefront6targetE1EEEvT1_ ; -- Begin function _ZN7rocprim17ROCPRIM_400000_NS6detail17trampoline_kernelINS0_14default_configENS1_20scan_config_selectorIfEEZZNS1_9scan_implILNS1_25lookback_scan_determinismE0ELb1ELb1ES3_N6thrust23THRUST_200600_302600_NS6detail15normal_iteratorINS9_10device_ptrIfEEEESE_fNS9_4plusIvEEfEEDaPvRmT3_T4_T5_mT6_P12ihipStream_tbENKUlT_T0_E_clISt17integral_constantIbLb0EESU_EEDaSP_SQ_EUlSP_E0_NS1_11comp_targetILNS1_3genE5ELNS1_11target_archE942ELNS1_3gpuE9ELNS1_3repE0EEENS1_30default_config_static_selectorELNS0_4arch9wavefront6targetE1EEEvT1_
	.globl	_ZN7rocprim17ROCPRIM_400000_NS6detail17trampoline_kernelINS0_14default_configENS1_20scan_config_selectorIfEEZZNS1_9scan_implILNS1_25lookback_scan_determinismE0ELb1ELb1ES3_N6thrust23THRUST_200600_302600_NS6detail15normal_iteratorINS9_10device_ptrIfEEEESE_fNS9_4plusIvEEfEEDaPvRmT3_T4_T5_mT6_P12ihipStream_tbENKUlT_T0_E_clISt17integral_constantIbLb0EESU_EEDaSP_SQ_EUlSP_E0_NS1_11comp_targetILNS1_3genE5ELNS1_11target_archE942ELNS1_3gpuE9ELNS1_3repE0EEENS1_30default_config_static_selectorELNS0_4arch9wavefront6targetE1EEEvT1_
	.p2align	8
	.type	_ZN7rocprim17ROCPRIM_400000_NS6detail17trampoline_kernelINS0_14default_configENS1_20scan_config_selectorIfEEZZNS1_9scan_implILNS1_25lookback_scan_determinismE0ELb1ELb1ES3_N6thrust23THRUST_200600_302600_NS6detail15normal_iteratorINS9_10device_ptrIfEEEESE_fNS9_4plusIvEEfEEDaPvRmT3_T4_T5_mT6_P12ihipStream_tbENKUlT_T0_E_clISt17integral_constantIbLb0EESU_EEDaSP_SQ_EUlSP_E0_NS1_11comp_targetILNS1_3genE5ELNS1_11target_archE942ELNS1_3gpuE9ELNS1_3repE0EEENS1_30default_config_static_selectorELNS0_4arch9wavefront6targetE1EEEvT1_,@function
_ZN7rocprim17ROCPRIM_400000_NS6detail17trampoline_kernelINS0_14default_configENS1_20scan_config_selectorIfEEZZNS1_9scan_implILNS1_25lookback_scan_determinismE0ELb1ELb1ES3_N6thrust23THRUST_200600_302600_NS6detail15normal_iteratorINS9_10device_ptrIfEEEESE_fNS9_4plusIvEEfEEDaPvRmT3_T4_T5_mT6_P12ihipStream_tbENKUlT_T0_E_clISt17integral_constantIbLb0EESU_EEDaSP_SQ_EUlSP_E0_NS1_11comp_targetILNS1_3genE5ELNS1_11target_archE942ELNS1_3gpuE9ELNS1_3repE0EEENS1_30default_config_static_selectorELNS0_4arch9wavefront6targetE1EEEvT1_: ; @_ZN7rocprim17ROCPRIM_400000_NS6detail17trampoline_kernelINS0_14default_configENS1_20scan_config_selectorIfEEZZNS1_9scan_implILNS1_25lookback_scan_determinismE0ELb1ELb1ES3_N6thrust23THRUST_200600_302600_NS6detail15normal_iteratorINS9_10device_ptrIfEEEESE_fNS9_4plusIvEEfEEDaPvRmT3_T4_T5_mT6_P12ihipStream_tbENKUlT_T0_E_clISt17integral_constantIbLb0EESU_EEDaSP_SQ_EUlSP_E0_NS1_11comp_targetILNS1_3genE5ELNS1_11target_archE942ELNS1_3gpuE9ELNS1_3repE0EEENS1_30default_config_static_selectorELNS0_4arch9wavefront6targetE1EEEvT1_
; %bb.0:
	.section	.rodata,"a",@progbits
	.p2align	6, 0x0
	.amdhsa_kernel _ZN7rocprim17ROCPRIM_400000_NS6detail17trampoline_kernelINS0_14default_configENS1_20scan_config_selectorIfEEZZNS1_9scan_implILNS1_25lookback_scan_determinismE0ELb1ELb1ES3_N6thrust23THRUST_200600_302600_NS6detail15normal_iteratorINS9_10device_ptrIfEEEESE_fNS9_4plusIvEEfEEDaPvRmT3_T4_T5_mT6_P12ihipStream_tbENKUlT_T0_E_clISt17integral_constantIbLb0EESU_EEDaSP_SQ_EUlSP_E0_NS1_11comp_targetILNS1_3genE5ELNS1_11target_archE942ELNS1_3gpuE9ELNS1_3repE0EEENS1_30default_config_static_selectorELNS0_4arch9wavefront6targetE1EEEvT1_
		.amdhsa_group_segment_fixed_size 0
		.amdhsa_private_segment_fixed_size 0
		.amdhsa_kernarg_size 32
		.amdhsa_user_sgpr_count 6
		.amdhsa_user_sgpr_private_segment_buffer 1
		.amdhsa_user_sgpr_dispatch_ptr 0
		.amdhsa_user_sgpr_queue_ptr 0
		.amdhsa_user_sgpr_kernarg_segment_ptr 1
		.amdhsa_user_sgpr_dispatch_id 0
		.amdhsa_user_sgpr_flat_scratch_init 0
		.amdhsa_user_sgpr_kernarg_preload_length 0
		.amdhsa_user_sgpr_kernarg_preload_offset 0
		.amdhsa_user_sgpr_private_segment_size 0
		.amdhsa_uses_dynamic_stack 0
		.amdhsa_system_sgpr_private_segment_wavefront_offset 0
		.amdhsa_system_sgpr_workgroup_id_x 1
		.amdhsa_system_sgpr_workgroup_id_y 0
		.amdhsa_system_sgpr_workgroup_id_z 0
		.amdhsa_system_sgpr_workgroup_info 0
		.amdhsa_system_vgpr_workitem_id 0
		.amdhsa_next_free_vgpr 1
		.amdhsa_next_free_sgpr 0
		.amdhsa_accum_offset 4
		.amdhsa_reserve_vcc 0
		.amdhsa_reserve_flat_scratch 0
		.amdhsa_float_round_mode_32 0
		.amdhsa_float_round_mode_16_64 0
		.amdhsa_float_denorm_mode_32 3
		.amdhsa_float_denorm_mode_16_64 3
		.amdhsa_dx10_clamp 1
		.amdhsa_ieee_mode 1
		.amdhsa_fp16_overflow 0
		.amdhsa_tg_split 0
		.amdhsa_exception_fp_ieee_invalid_op 0
		.amdhsa_exception_fp_denorm_src 0
		.amdhsa_exception_fp_ieee_div_zero 0
		.amdhsa_exception_fp_ieee_overflow 0
		.amdhsa_exception_fp_ieee_underflow 0
		.amdhsa_exception_fp_ieee_inexact 0
		.amdhsa_exception_int_div_zero 0
	.end_amdhsa_kernel
	.section	.text._ZN7rocprim17ROCPRIM_400000_NS6detail17trampoline_kernelINS0_14default_configENS1_20scan_config_selectorIfEEZZNS1_9scan_implILNS1_25lookback_scan_determinismE0ELb1ELb1ES3_N6thrust23THRUST_200600_302600_NS6detail15normal_iteratorINS9_10device_ptrIfEEEESE_fNS9_4plusIvEEfEEDaPvRmT3_T4_T5_mT6_P12ihipStream_tbENKUlT_T0_E_clISt17integral_constantIbLb0EESU_EEDaSP_SQ_EUlSP_E0_NS1_11comp_targetILNS1_3genE5ELNS1_11target_archE942ELNS1_3gpuE9ELNS1_3repE0EEENS1_30default_config_static_selectorELNS0_4arch9wavefront6targetE1EEEvT1_,"axG",@progbits,_ZN7rocprim17ROCPRIM_400000_NS6detail17trampoline_kernelINS0_14default_configENS1_20scan_config_selectorIfEEZZNS1_9scan_implILNS1_25lookback_scan_determinismE0ELb1ELb1ES3_N6thrust23THRUST_200600_302600_NS6detail15normal_iteratorINS9_10device_ptrIfEEEESE_fNS9_4plusIvEEfEEDaPvRmT3_T4_T5_mT6_P12ihipStream_tbENKUlT_T0_E_clISt17integral_constantIbLb0EESU_EEDaSP_SQ_EUlSP_E0_NS1_11comp_targetILNS1_3genE5ELNS1_11target_archE942ELNS1_3gpuE9ELNS1_3repE0EEENS1_30default_config_static_selectorELNS0_4arch9wavefront6targetE1EEEvT1_,comdat
.Lfunc_end4368:
	.size	_ZN7rocprim17ROCPRIM_400000_NS6detail17trampoline_kernelINS0_14default_configENS1_20scan_config_selectorIfEEZZNS1_9scan_implILNS1_25lookback_scan_determinismE0ELb1ELb1ES3_N6thrust23THRUST_200600_302600_NS6detail15normal_iteratorINS9_10device_ptrIfEEEESE_fNS9_4plusIvEEfEEDaPvRmT3_T4_T5_mT6_P12ihipStream_tbENKUlT_T0_E_clISt17integral_constantIbLb0EESU_EEDaSP_SQ_EUlSP_E0_NS1_11comp_targetILNS1_3genE5ELNS1_11target_archE942ELNS1_3gpuE9ELNS1_3repE0EEENS1_30default_config_static_selectorELNS0_4arch9wavefront6targetE1EEEvT1_, .Lfunc_end4368-_ZN7rocprim17ROCPRIM_400000_NS6detail17trampoline_kernelINS0_14default_configENS1_20scan_config_selectorIfEEZZNS1_9scan_implILNS1_25lookback_scan_determinismE0ELb1ELb1ES3_N6thrust23THRUST_200600_302600_NS6detail15normal_iteratorINS9_10device_ptrIfEEEESE_fNS9_4plusIvEEfEEDaPvRmT3_T4_T5_mT6_P12ihipStream_tbENKUlT_T0_E_clISt17integral_constantIbLb0EESU_EEDaSP_SQ_EUlSP_E0_NS1_11comp_targetILNS1_3genE5ELNS1_11target_archE942ELNS1_3gpuE9ELNS1_3repE0EEENS1_30default_config_static_selectorELNS0_4arch9wavefront6targetE1EEEvT1_
                                        ; -- End function
	.section	.AMDGPU.csdata,"",@progbits
; Kernel info:
; codeLenInByte = 0
; NumSgprs: 4
; NumVgprs: 0
; NumAgprs: 0
; TotalNumVgprs: 0
; ScratchSize: 0
; MemoryBound: 0
; FloatMode: 240
; IeeeMode: 1
; LDSByteSize: 0 bytes/workgroup (compile time only)
; SGPRBlocks: 0
; VGPRBlocks: 0
; NumSGPRsForWavesPerEU: 4
; NumVGPRsForWavesPerEU: 1
; AccumOffset: 4
; Occupancy: 8
; WaveLimiterHint : 0
; COMPUTE_PGM_RSRC2:SCRATCH_EN: 0
; COMPUTE_PGM_RSRC2:USER_SGPR: 6
; COMPUTE_PGM_RSRC2:TRAP_HANDLER: 0
; COMPUTE_PGM_RSRC2:TGID_X_EN: 1
; COMPUTE_PGM_RSRC2:TGID_Y_EN: 0
; COMPUTE_PGM_RSRC2:TGID_Z_EN: 0
; COMPUTE_PGM_RSRC2:TIDIG_COMP_CNT: 0
; COMPUTE_PGM_RSRC3_GFX90A:ACCUM_OFFSET: 0
; COMPUTE_PGM_RSRC3_GFX90A:TG_SPLIT: 0
	.section	.text._ZN7rocprim17ROCPRIM_400000_NS6detail17trampoline_kernelINS0_14default_configENS1_20scan_config_selectorIfEEZZNS1_9scan_implILNS1_25lookback_scan_determinismE0ELb1ELb1ES3_N6thrust23THRUST_200600_302600_NS6detail15normal_iteratorINS9_10device_ptrIfEEEESE_fNS9_4plusIvEEfEEDaPvRmT3_T4_T5_mT6_P12ihipStream_tbENKUlT_T0_E_clISt17integral_constantIbLb0EESU_EEDaSP_SQ_EUlSP_E0_NS1_11comp_targetILNS1_3genE4ELNS1_11target_archE910ELNS1_3gpuE8ELNS1_3repE0EEENS1_30default_config_static_selectorELNS0_4arch9wavefront6targetE1EEEvT1_,"axG",@progbits,_ZN7rocprim17ROCPRIM_400000_NS6detail17trampoline_kernelINS0_14default_configENS1_20scan_config_selectorIfEEZZNS1_9scan_implILNS1_25lookback_scan_determinismE0ELb1ELb1ES3_N6thrust23THRUST_200600_302600_NS6detail15normal_iteratorINS9_10device_ptrIfEEEESE_fNS9_4plusIvEEfEEDaPvRmT3_T4_T5_mT6_P12ihipStream_tbENKUlT_T0_E_clISt17integral_constantIbLb0EESU_EEDaSP_SQ_EUlSP_E0_NS1_11comp_targetILNS1_3genE4ELNS1_11target_archE910ELNS1_3gpuE8ELNS1_3repE0EEENS1_30default_config_static_selectorELNS0_4arch9wavefront6targetE1EEEvT1_,comdat
	.protected	_ZN7rocprim17ROCPRIM_400000_NS6detail17trampoline_kernelINS0_14default_configENS1_20scan_config_selectorIfEEZZNS1_9scan_implILNS1_25lookback_scan_determinismE0ELb1ELb1ES3_N6thrust23THRUST_200600_302600_NS6detail15normal_iteratorINS9_10device_ptrIfEEEESE_fNS9_4plusIvEEfEEDaPvRmT3_T4_T5_mT6_P12ihipStream_tbENKUlT_T0_E_clISt17integral_constantIbLb0EESU_EEDaSP_SQ_EUlSP_E0_NS1_11comp_targetILNS1_3genE4ELNS1_11target_archE910ELNS1_3gpuE8ELNS1_3repE0EEENS1_30default_config_static_selectorELNS0_4arch9wavefront6targetE1EEEvT1_ ; -- Begin function _ZN7rocprim17ROCPRIM_400000_NS6detail17trampoline_kernelINS0_14default_configENS1_20scan_config_selectorIfEEZZNS1_9scan_implILNS1_25lookback_scan_determinismE0ELb1ELb1ES3_N6thrust23THRUST_200600_302600_NS6detail15normal_iteratorINS9_10device_ptrIfEEEESE_fNS9_4plusIvEEfEEDaPvRmT3_T4_T5_mT6_P12ihipStream_tbENKUlT_T0_E_clISt17integral_constantIbLb0EESU_EEDaSP_SQ_EUlSP_E0_NS1_11comp_targetILNS1_3genE4ELNS1_11target_archE910ELNS1_3gpuE8ELNS1_3repE0EEENS1_30default_config_static_selectorELNS0_4arch9wavefront6targetE1EEEvT1_
	.globl	_ZN7rocprim17ROCPRIM_400000_NS6detail17trampoline_kernelINS0_14default_configENS1_20scan_config_selectorIfEEZZNS1_9scan_implILNS1_25lookback_scan_determinismE0ELb1ELb1ES3_N6thrust23THRUST_200600_302600_NS6detail15normal_iteratorINS9_10device_ptrIfEEEESE_fNS9_4plusIvEEfEEDaPvRmT3_T4_T5_mT6_P12ihipStream_tbENKUlT_T0_E_clISt17integral_constantIbLb0EESU_EEDaSP_SQ_EUlSP_E0_NS1_11comp_targetILNS1_3genE4ELNS1_11target_archE910ELNS1_3gpuE8ELNS1_3repE0EEENS1_30default_config_static_selectorELNS0_4arch9wavefront6targetE1EEEvT1_
	.p2align	8
	.type	_ZN7rocprim17ROCPRIM_400000_NS6detail17trampoline_kernelINS0_14default_configENS1_20scan_config_selectorIfEEZZNS1_9scan_implILNS1_25lookback_scan_determinismE0ELb1ELb1ES3_N6thrust23THRUST_200600_302600_NS6detail15normal_iteratorINS9_10device_ptrIfEEEESE_fNS9_4plusIvEEfEEDaPvRmT3_T4_T5_mT6_P12ihipStream_tbENKUlT_T0_E_clISt17integral_constantIbLb0EESU_EEDaSP_SQ_EUlSP_E0_NS1_11comp_targetILNS1_3genE4ELNS1_11target_archE910ELNS1_3gpuE8ELNS1_3repE0EEENS1_30default_config_static_selectorELNS0_4arch9wavefront6targetE1EEEvT1_,@function
_ZN7rocprim17ROCPRIM_400000_NS6detail17trampoline_kernelINS0_14default_configENS1_20scan_config_selectorIfEEZZNS1_9scan_implILNS1_25lookback_scan_determinismE0ELb1ELb1ES3_N6thrust23THRUST_200600_302600_NS6detail15normal_iteratorINS9_10device_ptrIfEEEESE_fNS9_4plusIvEEfEEDaPvRmT3_T4_T5_mT6_P12ihipStream_tbENKUlT_T0_E_clISt17integral_constantIbLb0EESU_EEDaSP_SQ_EUlSP_E0_NS1_11comp_targetILNS1_3genE4ELNS1_11target_archE910ELNS1_3gpuE8ELNS1_3repE0EEENS1_30default_config_static_selectorELNS0_4arch9wavefront6targetE1EEEvT1_: ; @_ZN7rocprim17ROCPRIM_400000_NS6detail17trampoline_kernelINS0_14default_configENS1_20scan_config_selectorIfEEZZNS1_9scan_implILNS1_25lookback_scan_determinismE0ELb1ELb1ES3_N6thrust23THRUST_200600_302600_NS6detail15normal_iteratorINS9_10device_ptrIfEEEESE_fNS9_4plusIvEEfEEDaPvRmT3_T4_T5_mT6_P12ihipStream_tbENKUlT_T0_E_clISt17integral_constantIbLb0EESU_EEDaSP_SQ_EUlSP_E0_NS1_11comp_targetILNS1_3genE4ELNS1_11target_archE910ELNS1_3gpuE8ELNS1_3repE0EEENS1_30default_config_static_selectorELNS0_4arch9wavefront6targetE1EEEvT1_
; %bb.0:
	s_load_dwordx4 s[28:31], s[4:5], 0x0
	v_lshlrev_b32_e32 v18, 2, v0
	s_waitcnt lgkmcnt(0)
	s_load_dword s31, s[28:29], 0x0
	v_cmp_gt_u32_e32 vcc, s30, v0
	s_waitcnt lgkmcnt(0)
	v_mov_b32_e32 v1, s31
	s_and_saveexec_b64 s[0:1], vcc
	s_cbranch_execz .LBB4369_2
; %bb.1:
	global_load_dword v1, v18, s[28:29]
.LBB4369_2:
	s_or_b64 exec, exec, s[0:1]
	v_or_b32_e32 v2, 0x80, v0
	v_cmp_gt_u32_e64 s[0:1], s30, v2
	v_mov_b32_e32 v2, s31
	s_and_saveexec_b64 s[2:3], s[0:1]
	s_cbranch_execz .LBB4369_4
; %bb.3:
	global_load_dword v2, v18, s[28:29] offset:512
.LBB4369_4:
	s_or_b64 exec, exec, s[2:3]
	v_or_b32_e32 v3, 0x100, v0
	v_cmp_gt_u32_e64 s[2:3], s30, v3
	v_mov_b32_e32 v3, s31
	s_and_saveexec_b64 s[6:7], s[2:3]
	s_cbranch_execz .LBB4369_6
; %bb.5:
	global_load_dword v3, v18, s[28:29] offset:1024
.LBB4369_6:
	;; [unrolled: 9-line block ×7, first 2 shown]
	s_or_b64 exec, exec, s[14:15]
	v_or_b32_e32 v10, 0x400, v0
	v_cmp_gt_u32_e64 s[14:15], s30, v10
	v_mov_b32_e32 v9, s31
	s_and_saveexec_b64 s[16:17], s[14:15]
	s_cbranch_execz .LBB4369_18
; %bb.17:
	v_lshlrev_b32_e32 v9, 2, v10
	global_load_dword v9, v9, s[28:29]
.LBB4369_18:
	s_or_b64 exec, exec, s[16:17]
	v_or_b32_e32 v11, 0x480, v0
	v_cmp_gt_u32_e64 s[16:17], s30, v11
	v_mov_b32_e32 v10, s31
	s_and_saveexec_b64 s[18:19], s[16:17]
	s_cbranch_execz .LBB4369_20
; %bb.19:
	v_lshlrev_b32_e32 v10, 2, v11
	global_load_dword v10, v10, s[28:29]
.LBB4369_20:
	;; [unrolled: 10-line block ×5, first 2 shown]
	s_or_b64 exec, exec, s[24:25]
	s_load_dword s33, s[4:5], 0x10
	v_or_b32_e32 v15, 0x680, v0
	v_cmp_gt_u32_e64 s[24:25], s30, v15
	v_mov_b32_e32 v14, s31
	s_and_saveexec_b64 s[30:31], s[24:25]
	s_cbranch_execz .LBB4369_28
; %bb.27:
	v_lshlrev_b32_e32 v14, 2, v15
	global_load_dword v14, v14, s[28:29]
.LBB4369_28:
	s_or_b64 exec, exec, s[30:31]
	s_waitcnt vmcnt(0)
	ds_write2st64_b32 v18, v1, v2 offset1:2
	ds_write2st64_b32 v18, v3, v4 offset0:4 offset1:6
	ds_write2st64_b32 v18, v5, v6 offset0:8 offset1:10
	;; [unrolled: 1-line block ×6, first 2 shown]
	v_mad_u32_u24 v1, v0, 52, v18
	s_waitcnt lgkmcnt(0)
	s_barrier
	ds_read2_b64 v[10:13], v1 offset1:1
	ds_read2_b64 v[6:9], v1 offset0:2 offset1:3
	ds_read2_b64 v[2:5], v1 offset0:4 offset1:5
	ds_read_b64 v[14:15], v1 offset:48
	s_load_dwordx2 s[34:35], s[4:5], 0x18
	s_waitcnt lgkmcnt(0)
	v_add_f32_e32 v16, v10, v11
	v_add_f32_e32 v16, v16, v12
	;; [unrolled: 1-line block ×13, first 2 shown]
	v_lshrrev_b32_e32 v16, 3, v0
	v_and_b32_e32 v16, 12, v16
	v_add_u32_e32 v16, v18, v16
	v_cmp_gt_u32_e64 s[4:5], 64, v0
	s_barrier
	ds_write_b32 v16, v15
	s_waitcnt lgkmcnt(0)
	s_barrier
	s_and_saveexec_b64 s[36:37], s[4:5]
	s_cbranch_execz .LBB4369_30
; %bb.29:
	v_lshlrev_b32_e32 v16, 1, v0
	v_lshrrev_b32_e32 v17, 4, v0
	v_add_lshl_u32 v19, v17, v16, 2
	ds_read2_b32 v[16:17], v19 offset1:1
	v_mbcnt_lo_u32_b32 v20, -1, 0
	v_mbcnt_hi_u32_b32 v20, -1, v20
	v_and_b32_e32 v21, 15, v20
	v_cmp_eq_u32_e64 s[4:5], 0, v21
	s_waitcnt lgkmcnt(0)
	v_add_f32_e32 v17, v16, v17
	v_cmp_lt_u32_e64 s[28:29], 3, v21
	v_cmp_lt_u32_e64 s[30:31], 31, v20
	v_mov_b32_dpp v22, v17 row_shr:1 row_mask:0xf bank_mask:0xf
	v_add_f32_e32 v22, v17, v22
	v_cndmask_b32_e64 v17, v22, v17, s[4:5]
	v_cmp_lt_u32_e64 s[4:5], 1, v21
	s_nop 0
	v_mov_b32_dpp v22, v17 row_shr:2 row_mask:0xf bank_mask:0xf
	v_add_f32_e32 v22, v17, v22
	v_cndmask_b32_e64 v22, v17, v22, s[4:5]
	; wave barrier
	s_nop 1
	v_mov_b32_dpp v23, v22 row_shr:4 row_mask:0xf bank_mask:0xf
	v_add_f32_e32 v23, v22, v23
	v_cndmask_b32_e64 v22, v22, v23, s[28:29]
	v_cmp_lt_u32_e64 s[28:29], 7, v21
	s_nop 0
	v_mov_b32_dpp v23, v22 row_shr:8 row_mask:0xf bank_mask:0xf
	v_add_f32_e32 v23, v22, v23
	v_cndmask_b32_e64 v21, v22, v23, s[28:29]
	v_and_b32_e32 v23, 16, v20
	v_cmp_eq_u32_e64 s[28:29], 0, v23
	v_mov_b32_dpp v22, v21 row_bcast:15 row_mask:0xf bank_mask:0xf
	v_add_f32_e32 v22, v21, v22
	v_cndmask_b32_e64 v21, v22, v21, s[28:29]
	v_cmp_lt_u32_e64 s[28:29], 15, v20
	s_or_b64 s[4:5], s[28:29], s[4:5]
	v_mov_b32_dpp v22, v21 row_bcast:31 row_mask:0xf bank_mask:0xf
	v_add_f32_e32 v22, v21, v22
	v_cndmask_b32_e64 v21, v21, v22, s[30:31]
	v_cndmask_b32_e64 v17, v17, v21, s[4:5]
	v_add_u32_e32 v21, -1, v20
	v_and_b32_e32 v22, 64, v20
	v_cmp_lt_i32_e64 s[4:5], v21, v22
	v_cndmask_b32_e64 v20, v21, v20, s[4:5]
	v_lshlrev_b32_e32 v20, 2, v20
	ds_bpermute_b32 v17, v20, v17
	v_cmp_eq_u32_e64 s[4:5], 0, v0
	s_waitcnt lgkmcnt(0)
	v_add_f32_e32 v16, v16, v17
	v_cndmask_b32_e64 v15, v16, v15, s[4:5]
	ds_write_b32 v19, v15
	; wave barrier
	ds_read_b32 v16, v19 offset:4
	s_waitcnt lgkmcnt(0)
	v_add_f32_e32 v15, v15, v16
	ds_write_b32 v19, v15 offset:4
.LBB4369_30:
	s_or_b64 exec, exec, s[36:37]
	v_cmp_ne_u32_e64 s[4:5], 0, v0
	v_mov_b32_e32 v16, s33
	s_waitcnt lgkmcnt(0)
	s_barrier
	s_and_saveexec_b64 s[28:29], s[4:5]
	s_cbranch_execz .LBB4369_32
; %bb.31:
	v_add_u32_e32 v15, -1, v0
	v_lshrrev_b32_e32 v16, 5, v15
	v_add_lshl_u32 v15, v16, v15, 2
	ds_read_b32 v15, v15
	s_waitcnt lgkmcnt(0)
	v_add_f32_e32 v16, s33, v15
.LBB4369_32:
	s_or_b64 exec, exec, s[28:29]
	v_add_f32_e32 v17, v10, v16
	v_add_f32_e32 v10, v11, v17
	;; [unrolled: 1-line block ×12, first 2 shown]
	s_movk_i32 s4, 0xffcc
	v_add_f32_e32 v5, v14, v4
	v_mad_i32_i24 v0, v0, s4, v1
	s_barrier
	ds_write2_b64 v1, v[16:17], v[10:11] offset1:1
	ds_write2_b64 v1, v[12:13], v[6:7] offset0:2 offset1:3
	ds_write2_b64 v1, v[8:9], v[2:3] offset0:4 offset1:5
	ds_write_b64 v1, v[4:5] offset:48
	s_waitcnt lgkmcnt(0)
	s_barrier
	ds_read2st64_b32 v[12:13], v0 offset0:2 offset1:4
	ds_read2st64_b32 v[10:11], v0 offset0:6 offset1:8
	;; [unrolled: 1-line block ×4, first 2 shown]
	ds_read_b32 v14, v18 offset:4096
	ds_read2st64_b32 v[4:5], v0 offset0:20 offset1:22
	ds_read2st64_b32 v[0:1], v0 offset0:24 offset1:26
	v_mov_b32_e32 v3, s35
	v_add_co_u32_e64 v2, s[4:5], s34, v18
	v_addc_co_u32_e64 v3, s[4:5], 0, v3, s[4:5]
	s_and_saveexec_b64 s[4:5], vcc
	s_cbranch_execnz .LBB4369_47
; %bb.33:
	s_or_b64 exec, exec, s[4:5]
	s_and_saveexec_b64 s[4:5], s[0:1]
	s_cbranch_execnz .LBB4369_48
.LBB4369_34:
	s_or_b64 exec, exec, s[4:5]
	s_and_saveexec_b64 s[0:1], s[2:3]
	s_cbranch_execnz .LBB4369_49
.LBB4369_35:
	s_or_b64 exec, exec, s[0:1]
	s_and_saveexec_b64 s[0:1], s[26:27]
	s_cbranch_execnz .LBB4369_50
.LBB4369_36:
	s_or_b64 exec, exec, s[0:1]
	s_and_saveexec_b64 s[0:1], s[6:7]
	s_cbranch_execnz .LBB4369_51
.LBB4369_37:
	s_or_b64 exec, exec, s[0:1]
	s_and_saveexec_b64 s[0:1], s[8:9]
	s_cbranch_execnz .LBB4369_52
.LBB4369_38:
	s_or_b64 exec, exec, s[0:1]
	s_and_saveexec_b64 s[0:1], s[10:11]
	s_cbranch_execnz .LBB4369_53
.LBB4369_39:
	s_or_b64 exec, exec, s[0:1]
	s_and_saveexec_b64 s[0:1], s[12:13]
	s_cbranch_execnz .LBB4369_54
.LBB4369_40:
	s_or_b64 exec, exec, s[0:1]
	s_and_saveexec_b64 s[0:1], s[14:15]
	s_cbranch_execnz .LBB4369_55
.LBB4369_41:
	s_or_b64 exec, exec, s[0:1]
	s_and_saveexec_b64 s[0:1], s[16:17]
	s_cbranch_execnz .LBB4369_56
.LBB4369_42:
	s_or_b64 exec, exec, s[0:1]
	s_and_saveexec_b64 s[0:1], s[18:19]
	s_cbranch_execnz .LBB4369_57
.LBB4369_43:
	s_or_b64 exec, exec, s[0:1]
	s_and_saveexec_b64 s[0:1], s[20:21]
	s_cbranch_execnz .LBB4369_58
.LBB4369_44:
	s_or_b64 exec, exec, s[0:1]
	s_and_saveexec_b64 s[0:1], s[22:23]
	s_cbranch_execnz .LBB4369_59
.LBB4369_45:
	s_or_b64 exec, exec, s[0:1]
	s_and_saveexec_b64 s[0:1], s[24:25]
	s_cbranch_execnz .LBB4369_60
.LBB4369_46:
	s_endpgm
.LBB4369_47:
	ds_read_b32 v15, v18
	s_waitcnt lgkmcnt(0)
	global_store_dword v[2:3], v15, off
	s_or_b64 exec, exec, s[4:5]
	s_and_saveexec_b64 s[4:5], s[0:1]
	s_cbranch_execz .LBB4369_34
.LBB4369_48:
	s_waitcnt lgkmcnt(6)
	global_store_dword v[2:3], v12, off offset:512
	s_or_b64 exec, exec, s[4:5]
	s_and_saveexec_b64 s[0:1], s[2:3]
	s_cbranch_execz .LBB4369_35
.LBB4369_49:
	s_waitcnt lgkmcnt(6)
	global_store_dword v[2:3], v13, off offset:1024
	s_or_b64 exec, exec, s[0:1]
	s_and_saveexec_b64 s[0:1], s[26:27]
	s_cbranch_execz .LBB4369_36
.LBB4369_50:
	s_waitcnt lgkmcnt(5)
	global_store_dword v[2:3], v10, off offset:1536
	s_or_b64 exec, exec, s[0:1]
	s_and_saveexec_b64 s[0:1], s[6:7]
	s_cbranch_execz .LBB4369_37
.LBB4369_51:
	s_waitcnt lgkmcnt(5)
	global_store_dword v[2:3], v11, off offset:2048
	s_or_b64 exec, exec, s[0:1]
	s_and_saveexec_b64 s[0:1], s[8:9]
	s_cbranch_execz .LBB4369_38
.LBB4369_52:
	s_waitcnt lgkmcnt(4)
	global_store_dword v[2:3], v8, off offset:2560
	s_or_b64 exec, exec, s[0:1]
	s_and_saveexec_b64 s[0:1], s[10:11]
	s_cbranch_execz .LBB4369_39
.LBB4369_53:
	s_waitcnt lgkmcnt(4)
	global_store_dword v[2:3], v9, off offset:3072
	s_or_b64 exec, exec, s[0:1]
	s_and_saveexec_b64 s[0:1], s[12:13]
	s_cbranch_execz .LBB4369_40
.LBB4369_54:
	s_waitcnt lgkmcnt(3)
	global_store_dword v[2:3], v6, off offset:3584
	s_or_b64 exec, exec, s[0:1]
	s_and_saveexec_b64 s[0:1], s[14:15]
	s_cbranch_execz .LBB4369_41
.LBB4369_55:
	s_waitcnt lgkmcnt(4)
	v_add_co_u32_e32 v8, vcc, 0x1000, v2
	v_addc_co_u32_e32 v9, vcc, 0, v3, vcc
	s_waitcnt lgkmcnt(2)
	global_store_dword v[8:9], v14, off
	s_or_b64 exec, exec, s[0:1]
	s_and_saveexec_b64 s[0:1], s[16:17]
	s_cbranch_execz .LBB4369_42
.LBB4369_56:
	s_waitcnt lgkmcnt(4)
	v_add_co_u32_e32 v8, vcc, 0x1000, v2
	v_addc_co_u32_e32 v9, vcc, 0, v3, vcc
	s_waitcnt lgkmcnt(3)
	global_store_dword v[8:9], v7, off offset:512
	s_or_b64 exec, exec, s[0:1]
	s_and_saveexec_b64 s[0:1], s[18:19]
	s_cbranch_execz .LBB4369_43
.LBB4369_57:
	s_waitcnt lgkmcnt(3)
	v_add_co_u32_e32 v6, vcc, 0x1000, v2
	v_addc_co_u32_e32 v7, vcc, 0, v3, vcc
	s_waitcnt lgkmcnt(1)
	global_store_dword v[6:7], v4, off offset:1024
	s_or_b64 exec, exec, s[0:1]
	s_and_saveexec_b64 s[0:1], s[20:21]
	s_cbranch_execz .LBB4369_44
.LBB4369_58:
	s_waitcnt lgkmcnt(3)
	v_add_co_u32_e32 v6, vcc, 0x1000, v2
	v_addc_co_u32_e32 v7, vcc, 0, v3, vcc
	s_waitcnt lgkmcnt(1)
	global_store_dword v[6:7], v5, off offset:1536
	s_or_b64 exec, exec, s[0:1]
	s_and_saveexec_b64 s[0:1], s[22:23]
	s_cbranch_execz .LBB4369_45
.LBB4369_59:
	s_waitcnt lgkmcnt(1)
	v_add_co_u32_e32 v4, vcc, 0x1000, v2
	v_addc_co_u32_e32 v5, vcc, 0, v3, vcc
	s_waitcnt lgkmcnt(0)
	global_store_dword v[4:5], v0, off offset:2048
	s_or_b64 exec, exec, s[0:1]
	s_and_saveexec_b64 s[0:1], s[24:25]
	s_cbranch_execz .LBB4369_46
.LBB4369_60:
	v_add_co_u32_e32 v2, vcc, 0x1000, v2
	v_addc_co_u32_e32 v3, vcc, 0, v3, vcc
	s_waitcnt lgkmcnt(0)
	global_store_dword v[2:3], v1, off offset:2560
	s_endpgm
	.section	.rodata,"a",@progbits
	.p2align	6, 0x0
	.amdhsa_kernel _ZN7rocprim17ROCPRIM_400000_NS6detail17trampoline_kernelINS0_14default_configENS1_20scan_config_selectorIfEEZZNS1_9scan_implILNS1_25lookback_scan_determinismE0ELb1ELb1ES3_N6thrust23THRUST_200600_302600_NS6detail15normal_iteratorINS9_10device_ptrIfEEEESE_fNS9_4plusIvEEfEEDaPvRmT3_T4_T5_mT6_P12ihipStream_tbENKUlT_T0_E_clISt17integral_constantIbLb0EESU_EEDaSP_SQ_EUlSP_E0_NS1_11comp_targetILNS1_3genE4ELNS1_11target_archE910ELNS1_3gpuE8ELNS1_3repE0EEENS1_30default_config_static_selectorELNS0_4arch9wavefront6targetE1EEEvT1_
		.amdhsa_group_segment_fixed_size 7168
		.amdhsa_private_segment_fixed_size 0
		.amdhsa_kernarg_size 32
		.amdhsa_user_sgpr_count 6
		.amdhsa_user_sgpr_private_segment_buffer 1
		.amdhsa_user_sgpr_dispatch_ptr 0
		.amdhsa_user_sgpr_queue_ptr 0
		.amdhsa_user_sgpr_kernarg_segment_ptr 1
		.amdhsa_user_sgpr_dispatch_id 0
		.amdhsa_user_sgpr_flat_scratch_init 0
		.amdhsa_user_sgpr_kernarg_preload_length 0
		.amdhsa_user_sgpr_kernarg_preload_offset 0
		.amdhsa_user_sgpr_private_segment_size 0
		.amdhsa_uses_dynamic_stack 0
		.amdhsa_system_sgpr_private_segment_wavefront_offset 0
		.amdhsa_system_sgpr_workgroup_id_x 1
		.amdhsa_system_sgpr_workgroup_id_y 0
		.amdhsa_system_sgpr_workgroup_id_z 0
		.amdhsa_system_sgpr_workgroup_info 0
		.amdhsa_system_vgpr_workitem_id 0
		.amdhsa_next_free_vgpr 24
		.amdhsa_next_free_sgpr 38
		.amdhsa_accum_offset 24
		.amdhsa_reserve_vcc 1
		.amdhsa_reserve_flat_scratch 0
		.amdhsa_float_round_mode_32 0
		.amdhsa_float_round_mode_16_64 0
		.amdhsa_float_denorm_mode_32 3
		.amdhsa_float_denorm_mode_16_64 3
		.amdhsa_dx10_clamp 1
		.amdhsa_ieee_mode 1
		.amdhsa_fp16_overflow 0
		.amdhsa_tg_split 0
		.amdhsa_exception_fp_ieee_invalid_op 0
		.amdhsa_exception_fp_denorm_src 0
		.amdhsa_exception_fp_ieee_div_zero 0
		.amdhsa_exception_fp_ieee_overflow 0
		.amdhsa_exception_fp_ieee_underflow 0
		.amdhsa_exception_fp_ieee_inexact 0
		.amdhsa_exception_int_div_zero 0
	.end_amdhsa_kernel
	.section	.text._ZN7rocprim17ROCPRIM_400000_NS6detail17trampoline_kernelINS0_14default_configENS1_20scan_config_selectorIfEEZZNS1_9scan_implILNS1_25lookback_scan_determinismE0ELb1ELb1ES3_N6thrust23THRUST_200600_302600_NS6detail15normal_iteratorINS9_10device_ptrIfEEEESE_fNS9_4plusIvEEfEEDaPvRmT3_T4_T5_mT6_P12ihipStream_tbENKUlT_T0_E_clISt17integral_constantIbLb0EESU_EEDaSP_SQ_EUlSP_E0_NS1_11comp_targetILNS1_3genE4ELNS1_11target_archE910ELNS1_3gpuE8ELNS1_3repE0EEENS1_30default_config_static_selectorELNS0_4arch9wavefront6targetE1EEEvT1_,"axG",@progbits,_ZN7rocprim17ROCPRIM_400000_NS6detail17trampoline_kernelINS0_14default_configENS1_20scan_config_selectorIfEEZZNS1_9scan_implILNS1_25lookback_scan_determinismE0ELb1ELb1ES3_N6thrust23THRUST_200600_302600_NS6detail15normal_iteratorINS9_10device_ptrIfEEEESE_fNS9_4plusIvEEfEEDaPvRmT3_T4_T5_mT6_P12ihipStream_tbENKUlT_T0_E_clISt17integral_constantIbLb0EESU_EEDaSP_SQ_EUlSP_E0_NS1_11comp_targetILNS1_3genE4ELNS1_11target_archE910ELNS1_3gpuE8ELNS1_3repE0EEENS1_30default_config_static_selectorELNS0_4arch9wavefront6targetE1EEEvT1_,comdat
.Lfunc_end4369:
	.size	_ZN7rocprim17ROCPRIM_400000_NS6detail17trampoline_kernelINS0_14default_configENS1_20scan_config_selectorIfEEZZNS1_9scan_implILNS1_25lookback_scan_determinismE0ELb1ELb1ES3_N6thrust23THRUST_200600_302600_NS6detail15normal_iteratorINS9_10device_ptrIfEEEESE_fNS9_4plusIvEEfEEDaPvRmT3_T4_T5_mT6_P12ihipStream_tbENKUlT_T0_E_clISt17integral_constantIbLb0EESU_EEDaSP_SQ_EUlSP_E0_NS1_11comp_targetILNS1_3genE4ELNS1_11target_archE910ELNS1_3gpuE8ELNS1_3repE0EEENS1_30default_config_static_selectorELNS0_4arch9wavefront6targetE1EEEvT1_, .Lfunc_end4369-_ZN7rocprim17ROCPRIM_400000_NS6detail17trampoline_kernelINS0_14default_configENS1_20scan_config_selectorIfEEZZNS1_9scan_implILNS1_25lookback_scan_determinismE0ELb1ELb1ES3_N6thrust23THRUST_200600_302600_NS6detail15normal_iteratorINS9_10device_ptrIfEEEESE_fNS9_4plusIvEEfEEDaPvRmT3_T4_T5_mT6_P12ihipStream_tbENKUlT_T0_E_clISt17integral_constantIbLb0EESU_EEDaSP_SQ_EUlSP_E0_NS1_11comp_targetILNS1_3genE4ELNS1_11target_archE910ELNS1_3gpuE8ELNS1_3repE0EEENS1_30default_config_static_selectorELNS0_4arch9wavefront6targetE1EEEvT1_
                                        ; -- End function
	.section	.AMDGPU.csdata,"",@progbits
; Kernel info:
; codeLenInByte = 2024
; NumSgprs: 42
; NumVgprs: 24
; NumAgprs: 0
; TotalNumVgprs: 24
; ScratchSize: 0
; MemoryBound: 0
; FloatMode: 240
; IeeeMode: 1
; LDSByteSize: 7168 bytes/workgroup (compile time only)
; SGPRBlocks: 5
; VGPRBlocks: 2
; NumSGPRsForWavesPerEU: 42
; NumVGPRsForWavesPerEU: 24
; AccumOffset: 24
; Occupancy: 5
; WaveLimiterHint : 0
; COMPUTE_PGM_RSRC2:SCRATCH_EN: 0
; COMPUTE_PGM_RSRC2:USER_SGPR: 6
; COMPUTE_PGM_RSRC2:TRAP_HANDLER: 0
; COMPUTE_PGM_RSRC2:TGID_X_EN: 1
; COMPUTE_PGM_RSRC2:TGID_Y_EN: 0
; COMPUTE_PGM_RSRC2:TGID_Z_EN: 0
; COMPUTE_PGM_RSRC2:TIDIG_COMP_CNT: 0
; COMPUTE_PGM_RSRC3_GFX90A:ACCUM_OFFSET: 5
; COMPUTE_PGM_RSRC3_GFX90A:TG_SPLIT: 0
	.section	.text._ZN7rocprim17ROCPRIM_400000_NS6detail17trampoline_kernelINS0_14default_configENS1_20scan_config_selectorIfEEZZNS1_9scan_implILNS1_25lookback_scan_determinismE0ELb1ELb1ES3_N6thrust23THRUST_200600_302600_NS6detail15normal_iteratorINS9_10device_ptrIfEEEESE_fNS9_4plusIvEEfEEDaPvRmT3_T4_T5_mT6_P12ihipStream_tbENKUlT_T0_E_clISt17integral_constantIbLb0EESU_EEDaSP_SQ_EUlSP_E0_NS1_11comp_targetILNS1_3genE3ELNS1_11target_archE908ELNS1_3gpuE7ELNS1_3repE0EEENS1_30default_config_static_selectorELNS0_4arch9wavefront6targetE1EEEvT1_,"axG",@progbits,_ZN7rocprim17ROCPRIM_400000_NS6detail17trampoline_kernelINS0_14default_configENS1_20scan_config_selectorIfEEZZNS1_9scan_implILNS1_25lookback_scan_determinismE0ELb1ELb1ES3_N6thrust23THRUST_200600_302600_NS6detail15normal_iteratorINS9_10device_ptrIfEEEESE_fNS9_4plusIvEEfEEDaPvRmT3_T4_T5_mT6_P12ihipStream_tbENKUlT_T0_E_clISt17integral_constantIbLb0EESU_EEDaSP_SQ_EUlSP_E0_NS1_11comp_targetILNS1_3genE3ELNS1_11target_archE908ELNS1_3gpuE7ELNS1_3repE0EEENS1_30default_config_static_selectorELNS0_4arch9wavefront6targetE1EEEvT1_,comdat
	.protected	_ZN7rocprim17ROCPRIM_400000_NS6detail17trampoline_kernelINS0_14default_configENS1_20scan_config_selectorIfEEZZNS1_9scan_implILNS1_25lookback_scan_determinismE0ELb1ELb1ES3_N6thrust23THRUST_200600_302600_NS6detail15normal_iteratorINS9_10device_ptrIfEEEESE_fNS9_4plusIvEEfEEDaPvRmT3_T4_T5_mT6_P12ihipStream_tbENKUlT_T0_E_clISt17integral_constantIbLb0EESU_EEDaSP_SQ_EUlSP_E0_NS1_11comp_targetILNS1_3genE3ELNS1_11target_archE908ELNS1_3gpuE7ELNS1_3repE0EEENS1_30default_config_static_selectorELNS0_4arch9wavefront6targetE1EEEvT1_ ; -- Begin function _ZN7rocprim17ROCPRIM_400000_NS6detail17trampoline_kernelINS0_14default_configENS1_20scan_config_selectorIfEEZZNS1_9scan_implILNS1_25lookback_scan_determinismE0ELb1ELb1ES3_N6thrust23THRUST_200600_302600_NS6detail15normal_iteratorINS9_10device_ptrIfEEEESE_fNS9_4plusIvEEfEEDaPvRmT3_T4_T5_mT6_P12ihipStream_tbENKUlT_T0_E_clISt17integral_constantIbLb0EESU_EEDaSP_SQ_EUlSP_E0_NS1_11comp_targetILNS1_3genE3ELNS1_11target_archE908ELNS1_3gpuE7ELNS1_3repE0EEENS1_30default_config_static_selectorELNS0_4arch9wavefront6targetE1EEEvT1_
	.globl	_ZN7rocprim17ROCPRIM_400000_NS6detail17trampoline_kernelINS0_14default_configENS1_20scan_config_selectorIfEEZZNS1_9scan_implILNS1_25lookback_scan_determinismE0ELb1ELb1ES3_N6thrust23THRUST_200600_302600_NS6detail15normal_iteratorINS9_10device_ptrIfEEEESE_fNS9_4plusIvEEfEEDaPvRmT3_T4_T5_mT6_P12ihipStream_tbENKUlT_T0_E_clISt17integral_constantIbLb0EESU_EEDaSP_SQ_EUlSP_E0_NS1_11comp_targetILNS1_3genE3ELNS1_11target_archE908ELNS1_3gpuE7ELNS1_3repE0EEENS1_30default_config_static_selectorELNS0_4arch9wavefront6targetE1EEEvT1_
	.p2align	8
	.type	_ZN7rocprim17ROCPRIM_400000_NS6detail17trampoline_kernelINS0_14default_configENS1_20scan_config_selectorIfEEZZNS1_9scan_implILNS1_25lookback_scan_determinismE0ELb1ELb1ES3_N6thrust23THRUST_200600_302600_NS6detail15normal_iteratorINS9_10device_ptrIfEEEESE_fNS9_4plusIvEEfEEDaPvRmT3_T4_T5_mT6_P12ihipStream_tbENKUlT_T0_E_clISt17integral_constantIbLb0EESU_EEDaSP_SQ_EUlSP_E0_NS1_11comp_targetILNS1_3genE3ELNS1_11target_archE908ELNS1_3gpuE7ELNS1_3repE0EEENS1_30default_config_static_selectorELNS0_4arch9wavefront6targetE1EEEvT1_,@function
_ZN7rocprim17ROCPRIM_400000_NS6detail17trampoline_kernelINS0_14default_configENS1_20scan_config_selectorIfEEZZNS1_9scan_implILNS1_25lookback_scan_determinismE0ELb1ELb1ES3_N6thrust23THRUST_200600_302600_NS6detail15normal_iteratorINS9_10device_ptrIfEEEESE_fNS9_4plusIvEEfEEDaPvRmT3_T4_T5_mT6_P12ihipStream_tbENKUlT_T0_E_clISt17integral_constantIbLb0EESU_EEDaSP_SQ_EUlSP_E0_NS1_11comp_targetILNS1_3genE3ELNS1_11target_archE908ELNS1_3gpuE7ELNS1_3repE0EEENS1_30default_config_static_selectorELNS0_4arch9wavefront6targetE1EEEvT1_: ; @_ZN7rocprim17ROCPRIM_400000_NS6detail17trampoline_kernelINS0_14default_configENS1_20scan_config_selectorIfEEZZNS1_9scan_implILNS1_25lookback_scan_determinismE0ELb1ELb1ES3_N6thrust23THRUST_200600_302600_NS6detail15normal_iteratorINS9_10device_ptrIfEEEESE_fNS9_4plusIvEEfEEDaPvRmT3_T4_T5_mT6_P12ihipStream_tbENKUlT_T0_E_clISt17integral_constantIbLb0EESU_EEDaSP_SQ_EUlSP_E0_NS1_11comp_targetILNS1_3genE3ELNS1_11target_archE908ELNS1_3gpuE7ELNS1_3repE0EEENS1_30default_config_static_selectorELNS0_4arch9wavefront6targetE1EEEvT1_
; %bb.0:
	.section	.rodata,"a",@progbits
	.p2align	6, 0x0
	.amdhsa_kernel _ZN7rocprim17ROCPRIM_400000_NS6detail17trampoline_kernelINS0_14default_configENS1_20scan_config_selectorIfEEZZNS1_9scan_implILNS1_25lookback_scan_determinismE0ELb1ELb1ES3_N6thrust23THRUST_200600_302600_NS6detail15normal_iteratorINS9_10device_ptrIfEEEESE_fNS9_4plusIvEEfEEDaPvRmT3_T4_T5_mT6_P12ihipStream_tbENKUlT_T0_E_clISt17integral_constantIbLb0EESU_EEDaSP_SQ_EUlSP_E0_NS1_11comp_targetILNS1_3genE3ELNS1_11target_archE908ELNS1_3gpuE7ELNS1_3repE0EEENS1_30default_config_static_selectorELNS0_4arch9wavefront6targetE1EEEvT1_
		.amdhsa_group_segment_fixed_size 0
		.amdhsa_private_segment_fixed_size 0
		.amdhsa_kernarg_size 32
		.amdhsa_user_sgpr_count 6
		.amdhsa_user_sgpr_private_segment_buffer 1
		.amdhsa_user_sgpr_dispatch_ptr 0
		.amdhsa_user_sgpr_queue_ptr 0
		.amdhsa_user_sgpr_kernarg_segment_ptr 1
		.amdhsa_user_sgpr_dispatch_id 0
		.amdhsa_user_sgpr_flat_scratch_init 0
		.amdhsa_user_sgpr_kernarg_preload_length 0
		.amdhsa_user_sgpr_kernarg_preload_offset 0
		.amdhsa_user_sgpr_private_segment_size 0
		.amdhsa_uses_dynamic_stack 0
		.amdhsa_system_sgpr_private_segment_wavefront_offset 0
		.amdhsa_system_sgpr_workgroup_id_x 1
		.amdhsa_system_sgpr_workgroup_id_y 0
		.amdhsa_system_sgpr_workgroup_id_z 0
		.amdhsa_system_sgpr_workgroup_info 0
		.amdhsa_system_vgpr_workitem_id 0
		.amdhsa_next_free_vgpr 1
		.amdhsa_next_free_sgpr 0
		.amdhsa_accum_offset 4
		.amdhsa_reserve_vcc 0
		.amdhsa_reserve_flat_scratch 0
		.amdhsa_float_round_mode_32 0
		.amdhsa_float_round_mode_16_64 0
		.amdhsa_float_denorm_mode_32 3
		.amdhsa_float_denorm_mode_16_64 3
		.amdhsa_dx10_clamp 1
		.amdhsa_ieee_mode 1
		.amdhsa_fp16_overflow 0
		.amdhsa_tg_split 0
		.amdhsa_exception_fp_ieee_invalid_op 0
		.amdhsa_exception_fp_denorm_src 0
		.amdhsa_exception_fp_ieee_div_zero 0
		.amdhsa_exception_fp_ieee_overflow 0
		.amdhsa_exception_fp_ieee_underflow 0
		.amdhsa_exception_fp_ieee_inexact 0
		.amdhsa_exception_int_div_zero 0
	.end_amdhsa_kernel
	.section	.text._ZN7rocprim17ROCPRIM_400000_NS6detail17trampoline_kernelINS0_14default_configENS1_20scan_config_selectorIfEEZZNS1_9scan_implILNS1_25lookback_scan_determinismE0ELb1ELb1ES3_N6thrust23THRUST_200600_302600_NS6detail15normal_iteratorINS9_10device_ptrIfEEEESE_fNS9_4plusIvEEfEEDaPvRmT3_T4_T5_mT6_P12ihipStream_tbENKUlT_T0_E_clISt17integral_constantIbLb0EESU_EEDaSP_SQ_EUlSP_E0_NS1_11comp_targetILNS1_3genE3ELNS1_11target_archE908ELNS1_3gpuE7ELNS1_3repE0EEENS1_30default_config_static_selectorELNS0_4arch9wavefront6targetE1EEEvT1_,"axG",@progbits,_ZN7rocprim17ROCPRIM_400000_NS6detail17trampoline_kernelINS0_14default_configENS1_20scan_config_selectorIfEEZZNS1_9scan_implILNS1_25lookback_scan_determinismE0ELb1ELb1ES3_N6thrust23THRUST_200600_302600_NS6detail15normal_iteratorINS9_10device_ptrIfEEEESE_fNS9_4plusIvEEfEEDaPvRmT3_T4_T5_mT6_P12ihipStream_tbENKUlT_T0_E_clISt17integral_constantIbLb0EESU_EEDaSP_SQ_EUlSP_E0_NS1_11comp_targetILNS1_3genE3ELNS1_11target_archE908ELNS1_3gpuE7ELNS1_3repE0EEENS1_30default_config_static_selectorELNS0_4arch9wavefront6targetE1EEEvT1_,comdat
.Lfunc_end4370:
	.size	_ZN7rocprim17ROCPRIM_400000_NS6detail17trampoline_kernelINS0_14default_configENS1_20scan_config_selectorIfEEZZNS1_9scan_implILNS1_25lookback_scan_determinismE0ELb1ELb1ES3_N6thrust23THRUST_200600_302600_NS6detail15normal_iteratorINS9_10device_ptrIfEEEESE_fNS9_4plusIvEEfEEDaPvRmT3_T4_T5_mT6_P12ihipStream_tbENKUlT_T0_E_clISt17integral_constantIbLb0EESU_EEDaSP_SQ_EUlSP_E0_NS1_11comp_targetILNS1_3genE3ELNS1_11target_archE908ELNS1_3gpuE7ELNS1_3repE0EEENS1_30default_config_static_selectorELNS0_4arch9wavefront6targetE1EEEvT1_, .Lfunc_end4370-_ZN7rocprim17ROCPRIM_400000_NS6detail17trampoline_kernelINS0_14default_configENS1_20scan_config_selectorIfEEZZNS1_9scan_implILNS1_25lookback_scan_determinismE0ELb1ELb1ES3_N6thrust23THRUST_200600_302600_NS6detail15normal_iteratorINS9_10device_ptrIfEEEESE_fNS9_4plusIvEEfEEDaPvRmT3_T4_T5_mT6_P12ihipStream_tbENKUlT_T0_E_clISt17integral_constantIbLb0EESU_EEDaSP_SQ_EUlSP_E0_NS1_11comp_targetILNS1_3genE3ELNS1_11target_archE908ELNS1_3gpuE7ELNS1_3repE0EEENS1_30default_config_static_selectorELNS0_4arch9wavefront6targetE1EEEvT1_
                                        ; -- End function
	.section	.AMDGPU.csdata,"",@progbits
; Kernel info:
; codeLenInByte = 0
; NumSgprs: 4
; NumVgprs: 0
; NumAgprs: 0
; TotalNumVgprs: 0
; ScratchSize: 0
; MemoryBound: 0
; FloatMode: 240
; IeeeMode: 1
; LDSByteSize: 0 bytes/workgroup (compile time only)
; SGPRBlocks: 0
; VGPRBlocks: 0
; NumSGPRsForWavesPerEU: 4
; NumVGPRsForWavesPerEU: 1
; AccumOffset: 4
; Occupancy: 8
; WaveLimiterHint : 0
; COMPUTE_PGM_RSRC2:SCRATCH_EN: 0
; COMPUTE_PGM_RSRC2:USER_SGPR: 6
; COMPUTE_PGM_RSRC2:TRAP_HANDLER: 0
; COMPUTE_PGM_RSRC2:TGID_X_EN: 1
; COMPUTE_PGM_RSRC2:TGID_Y_EN: 0
; COMPUTE_PGM_RSRC2:TGID_Z_EN: 0
; COMPUTE_PGM_RSRC2:TIDIG_COMP_CNT: 0
; COMPUTE_PGM_RSRC3_GFX90A:ACCUM_OFFSET: 0
; COMPUTE_PGM_RSRC3_GFX90A:TG_SPLIT: 0
	.section	.text._ZN7rocprim17ROCPRIM_400000_NS6detail17trampoline_kernelINS0_14default_configENS1_20scan_config_selectorIfEEZZNS1_9scan_implILNS1_25lookback_scan_determinismE0ELb1ELb1ES3_N6thrust23THRUST_200600_302600_NS6detail15normal_iteratorINS9_10device_ptrIfEEEESE_fNS9_4plusIvEEfEEDaPvRmT3_T4_T5_mT6_P12ihipStream_tbENKUlT_T0_E_clISt17integral_constantIbLb0EESU_EEDaSP_SQ_EUlSP_E0_NS1_11comp_targetILNS1_3genE2ELNS1_11target_archE906ELNS1_3gpuE6ELNS1_3repE0EEENS1_30default_config_static_selectorELNS0_4arch9wavefront6targetE1EEEvT1_,"axG",@progbits,_ZN7rocprim17ROCPRIM_400000_NS6detail17trampoline_kernelINS0_14default_configENS1_20scan_config_selectorIfEEZZNS1_9scan_implILNS1_25lookback_scan_determinismE0ELb1ELb1ES3_N6thrust23THRUST_200600_302600_NS6detail15normal_iteratorINS9_10device_ptrIfEEEESE_fNS9_4plusIvEEfEEDaPvRmT3_T4_T5_mT6_P12ihipStream_tbENKUlT_T0_E_clISt17integral_constantIbLb0EESU_EEDaSP_SQ_EUlSP_E0_NS1_11comp_targetILNS1_3genE2ELNS1_11target_archE906ELNS1_3gpuE6ELNS1_3repE0EEENS1_30default_config_static_selectorELNS0_4arch9wavefront6targetE1EEEvT1_,comdat
	.protected	_ZN7rocprim17ROCPRIM_400000_NS6detail17trampoline_kernelINS0_14default_configENS1_20scan_config_selectorIfEEZZNS1_9scan_implILNS1_25lookback_scan_determinismE0ELb1ELb1ES3_N6thrust23THRUST_200600_302600_NS6detail15normal_iteratorINS9_10device_ptrIfEEEESE_fNS9_4plusIvEEfEEDaPvRmT3_T4_T5_mT6_P12ihipStream_tbENKUlT_T0_E_clISt17integral_constantIbLb0EESU_EEDaSP_SQ_EUlSP_E0_NS1_11comp_targetILNS1_3genE2ELNS1_11target_archE906ELNS1_3gpuE6ELNS1_3repE0EEENS1_30default_config_static_selectorELNS0_4arch9wavefront6targetE1EEEvT1_ ; -- Begin function _ZN7rocprim17ROCPRIM_400000_NS6detail17trampoline_kernelINS0_14default_configENS1_20scan_config_selectorIfEEZZNS1_9scan_implILNS1_25lookback_scan_determinismE0ELb1ELb1ES3_N6thrust23THRUST_200600_302600_NS6detail15normal_iteratorINS9_10device_ptrIfEEEESE_fNS9_4plusIvEEfEEDaPvRmT3_T4_T5_mT6_P12ihipStream_tbENKUlT_T0_E_clISt17integral_constantIbLb0EESU_EEDaSP_SQ_EUlSP_E0_NS1_11comp_targetILNS1_3genE2ELNS1_11target_archE906ELNS1_3gpuE6ELNS1_3repE0EEENS1_30default_config_static_selectorELNS0_4arch9wavefront6targetE1EEEvT1_
	.globl	_ZN7rocprim17ROCPRIM_400000_NS6detail17trampoline_kernelINS0_14default_configENS1_20scan_config_selectorIfEEZZNS1_9scan_implILNS1_25lookback_scan_determinismE0ELb1ELb1ES3_N6thrust23THRUST_200600_302600_NS6detail15normal_iteratorINS9_10device_ptrIfEEEESE_fNS9_4plusIvEEfEEDaPvRmT3_T4_T5_mT6_P12ihipStream_tbENKUlT_T0_E_clISt17integral_constantIbLb0EESU_EEDaSP_SQ_EUlSP_E0_NS1_11comp_targetILNS1_3genE2ELNS1_11target_archE906ELNS1_3gpuE6ELNS1_3repE0EEENS1_30default_config_static_selectorELNS0_4arch9wavefront6targetE1EEEvT1_
	.p2align	8
	.type	_ZN7rocprim17ROCPRIM_400000_NS6detail17trampoline_kernelINS0_14default_configENS1_20scan_config_selectorIfEEZZNS1_9scan_implILNS1_25lookback_scan_determinismE0ELb1ELb1ES3_N6thrust23THRUST_200600_302600_NS6detail15normal_iteratorINS9_10device_ptrIfEEEESE_fNS9_4plusIvEEfEEDaPvRmT3_T4_T5_mT6_P12ihipStream_tbENKUlT_T0_E_clISt17integral_constantIbLb0EESU_EEDaSP_SQ_EUlSP_E0_NS1_11comp_targetILNS1_3genE2ELNS1_11target_archE906ELNS1_3gpuE6ELNS1_3repE0EEENS1_30default_config_static_selectorELNS0_4arch9wavefront6targetE1EEEvT1_,@function
_ZN7rocprim17ROCPRIM_400000_NS6detail17trampoline_kernelINS0_14default_configENS1_20scan_config_selectorIfEEZZNS1_9scan_implILNS1_25lookback_scan_determinismE0ELb1ELb1ES3_N6thrust23THRUST_200600_302600_NS6detail15normal_iteratorINS9_10device_ptrIfEEEESE_fNS9_4plusIvEEfEEDaPvRmT3_T4_T5_mT6_P12ihipStream_tbENKUlT_T0_E_clISt17integral_constantIbLb0EESU_EEDaSP_SQ_EUlSP_E0_NS1_11comp_targetILNS1_3genE2ELNS1_11target_archE906ELNS1_3gpuE6ELNS1_3repE0EEENS1_30default_config_static_selectorELNS0_4arch9wavefront6targetE1EEEvT1_: ; @_ZN7rocprim17ROCPRIM_400000_NS6detail17trampoline_kernelINS0_14default_configENS1_20scan_config_selectorIfEEZZNS1_9scan_implILNS1_25lookback_scan_determinismE0ELb1ELb1ES3_N6thrust23THRUST_200600_302600_NS6detail15normal_iteratorINS9_10device_ptrIfEEEESE_fNS9_4plusIvEEfEEDaPvRmT3_T4_T5_mT6_P12ihipStream_tbENKUlT_T0_E_clISt17integral_constantIbLb0EESU_EEDaSP_SQ_EUlSP_E0_NS1_11comp_targetILNS1_3genE2ELNS1_11target_archE906ELNS1_3gpuE6ELNS1_3repE0EEENS1_30default_config_static_selectorELNS0_4arch9wavefront6targetE1EEEvT1_
; %bb.0:
	.section	.rodata,"a",@progbits
	.p2align	6, 0x0
	.amdhsa_kernel _ZN7rocprim17ROCPRIM_400000_NS6detail17trampoline_kernelINS0_14default_configENS1_20scan_config_selectorIfEEZZNS1_9scan_implILNS1_25lookback_scan_determinismE0ELb1ELb1ES3_N6thrust23THRUST_200600_302600_NS6detail15normal_iteratorINS9_10device_ptrIfEEEESE_fNS9_4plusIvEEfEEDaPvRmT3_T4_T5_mT6_P12ihipStream_tbENKUlT_T0_E_clISt17integral_constantIbLb0EESU_EEDaSP_SQ_EUlSP_E0_NS1_11comp_targetILNS1_3genE2ELNS1_11target_archE906ELNS1_3gpuE6ELNS1_3repE0EEENS1_30default_config_static_selectorELNS0_4arch9wavefront6targetE1EEEvT1_
		.amdhsa_group_segment_fixed_size 0
		.amdhsa_private_segment_fixed_size 0
		.amdhsa_kernarg_size 32
		.amdhsa_user_sgpr_count 6
		.amdhsa_user_sgpr_private_segment_buffer 1
		.amdhsa_user_sgpr_dispatch_ptr 0
		.amdhsa_user_sgpr_queue_ptr 0
		.amdhsa_user_sgpr_kernarg_segment_ptr 1
		.amdhsa_user_sgpr_dispatch_id 0
		.amdhsa_user_sgpr_flat_scratch_init 0
		.amdhsa_user_sgpr_kernarg_preload_length 0
		.amdhsa_user_sgpr_kernarg_preload_offset 0
		.amdhsa_user_sgpr_private_segment_size 0
		.amdhsa_uses_dynamic_stack 0
		.amdhsa_system_sgpr_private_segment_wavefront_offset 0
		.amdhsa_system_sgpr_workgroup_id_x 1
		.amdhsa_system_sgpr_workgroup_id_y 0
		.amdhsa_system_sgpr_workgroup_id_z 0
		.amdhsa_system_sgpr_workgroup_info 0
		.amdhsa_system_vgpr_workitem_id 0
		.amdhsa_next_free_vgpr 1
		.amdhsa_next_free_sgpr 0
		.amdhsa_accum_offset 4
		.amdhsa_reserve_vcc 0
		.amdhsa_reserve_flat_scratch 0
		.amdhsa_float_round_mode_32 0
		.amdhsa_float_round_mode_16_64 0
		.amdhsa_float_denorm_mode_32 3
		.amdhsa_float_denorm_mode_16_64 3
		.amdhsa_dx10_clamp 1
		.amdhsa_ieee_mode 1
		.amdhsa_fp16_overflow 0
		.amdhsa_tg_split 0
		.amdhsa_exception_fp_ieee_invalid_op 0
		.amdhsa_exception_fp_denorm_src 0
		.amdhsa_exception_fp_ieee_div_zero 0
		.amdhsa_exception_fp_ieee_overflow 0
		.amdhsa_exception_fp_ieee_underflow 0
		.amdhsa_exception_fp_ieee_inexact 0
		.amdhsa_exception_int_div_zero 0
	.end_amdhsa_kernel
	.section	.text._ZN7rocprim17ROCPRIM_400000_NS6detail17trampoline_kernelINS0_14default_configENS1_20scan_config_selectorIfEEZZNS1_9scan_implILNS1_25lookback_scan_determinismE0ELb1ELb1ES3_N6thrust23THRUST_200600_302600_NS6detail15normal_iteratorINS9_10device_ptrIfEEEESE_fNS9_4plusIvEEfEEDaPvRmT3_T4_T5_mT6_P12ihipStream_tbENKUlT_T0_E_clISt17integral_constantIbLb0EESU_EEDaSP_SQ_EUlSP_E0_NS1_11comp_targetILNS1_3genE2ELNS1_11target_archE906ELNS1_3gpuE6ELNS1_3repE0EEENS1_30default_config_static_selectorELNS0_4arch9wavefront6targetE1EEEvT1_,"axG",@progbits,_ZN7rocprim17ROCPRIM_400000_NS6detail17trampoline_kernelINS0_14default_configENS1_20scan_config_selectorIfEEZZNS1_9scan_implILNS1_25lookback_scan_determinismE0ELb1ELb1ES3_N6thrust23THRUST_200600_302600_NS6detail15normal_iteratorINS9_10device_ptrIfEEEESE_fNS9_4plusIvEEfEEDaPvRmT3_T4_T5_mT6_P12ihipStream_tbENKUlT_T0_E_clISt17integral_constantIbLb0EESU_EEDaSP_SQ_EUlSP_E0_NS1_11comp_targetILNS1_3genE2ELNS1_11target_archE906ELNS1_3gpuE6ELNS1_3repE0EEENS1_30default_config_static_selectorELNS0_4arch9wavefront6targetE1EEEvT1_,comdat
.Lfunc_end4371:
	.size	_ZN7rocprim17ROCPRIM_400000_NS6detail17trampoline_kernelINS0_14default_configENS1_20scan_config_selectorIfEEZZNS1_9scan_implILNS1_25lookback_scan_determinismE0ELb1ELb1ES3_N6thrust23THRUST_200600_302600_NS6detail15normal_iteratorINS9_10device_ptrIfEEEESE_fNS9_4plusIvEEfEEDaPvRmT3_T4_T5_mT6_P12ihipStream_tbENKUlT_T0_E_clISt17integral_constantIbLb0EESU_EEDaSP_SQ_EUlSP_E0_NS1_11comp_targetILNS1_3genE2ELNS1_11target_archE906ELNS1_3gpuE6ELNS1_3repE0EEENS1_30default_config_static_selectorELNS0_4arch9wavefront6targetE1EEEvT1_, .Lfunc_end4371-_ZN7rocprim17ROCPRIM_400000_NS6detail17trampoline_kernelINS0_14default_configENS1_20scan_config_selectorIfEEZZNS1_9scan_implILNS1_25lookback_scan_determinismE0ELb1ELb1ES3_N6thrust23THRUST_200600_302600_NS6detail15normal_iteratorINS9_10device_ptrIfEEEESE_fNS9_4plusIvEEfEEDaPvRmT3_T4_T5_mT6_P12ihipStream_tbENKUlT_T0_E_clISt17integral_constantIbLb0EESU_EEDaSP_SQ_EUlSP_E0_NS1_11comp_targetILNS1_3genE2ELNS1_11target_archE906ELNS1_3gpuE6ELNS1_3repE0EEENS1_30default_config_static_selectorELNS0_4arch9wavefront6targetE1EEEvT1_
                                        ; -- End function
	.section	.AMDGPU.csdata,"",@progbits
; Kernel info:
; codeLenInByte = 0
; NumSgprs: 4
; NumVgprs: 0
; NumAgprs: 0
; TotalNumVgprs: 0
; ScratchSize: 0
; MemoryBound: 0
; FloatMode: 240
; IeeeMode: 1
; LDSByteSize: 0 bytes/workgroup (compile time only)
; SGPRBlocks: 0
; VGPRBlocks: 0
; NumSGPRsForWavesPerEU: 4
; NumVGPRsForWavesPerEU: 1
; AccumOffset: 4
; Occupancy: 8
; WaveLimiterHint : 0
; COMPUTE_PGM_RSRC2:SCRATCH_EN: 0
; COMPUTE_PGM_RSRC2:USER_SGPR: 6
; COMPUTE_PGM_RSRC2:TRAP_HANDLER: 0
; COMPUTE_PGM_RSRC2:TGID_X_EN: 1
; COMPUTE_PGM_RSRC2:TGID_Y_EN: 0
; COMPUTE_PGM_RSRC2:TGID_Z_EN: 0
; COMPUTE_PGM_RSRC2:TIDIG_COMP_CNT: 0
; COMPUTE_PGM_RSRC3_GFX90A:ACCUM_OFFSET: 0
; COMPUTE_PGM_RSRC3_GFX90A:TG_SPLIT: 0
	.section	.text._ZN7rocprim17ROCPRIM_400000_NS6detail17trampoline_kernelINS0_14default_configENS1_20scan_config_selectorIfEEZZNS1_9scan_implILNS1_25lookback_scan_determinismE0ELb1ELb1ES3_N6thrust23THRUST_200600_302600_NS6detail15normal_iteratorINS9_10device_ptrIfEEEESE_fNS9_4plusIvEEfEEDaPvRmT3_T4_T5_mT6_P12ihipStream_tbENKUlT_T0_E_clISt17integral_constantIbLb0EESU_EEDaSP_SQ_EUlSP_E0_NS1_11comp_targetILNS1_3genE10ELNS1_11target_archE1201ELNS1_3gpuE5ELNS1_3repE0EEENS1_30default_config_static_selectorELNS0_4arch9wavefront6targetE1EEEvT1_,"axG",@progbits,_ZN7rocprim17ROCPRIM_400000_NS6detail17trampoline_kernelINS0_14default_configENS1_20scan_config_selectorIfEEZZNS1_9scan_implILNS1_25lookback_scan_determinismE0ELb1ELb1ES3_N6thrust23THRUST_200600_302600_NS6detail15normal_iteratorINS9_10device_ptrIfEEEESE_fNS9_4plusIvEEfEEDaPvRmT3_T4_T5_mT6_P12ihipStream_tbENKUlT_T0_E_clISt17integral_constantIbLb0EESU_EEDaSP_SQ_EUlSP_E0_NS1_11comp_targetILNS1_3genE10ELNS1_11target_archE1201ELNS1_3gpuE5ELNS1_3repE0EEENS1_30default_config_static_selectorELNS0_4arch9wavefront6targetE1EEEvT1_,comdat
	.protected	_ZN7rocprim17ROCPRIM_400000_NS6detail17trampoline_kernelINS0_14default_configENS1_20scan_config_selectorIfEEZZNS1_9scan_implILNS1_25lookback_scan_determinismE0ELb1ELb1ES3_N6thrust23THRUST_200600_302600_NS6detail15normal_iteratorINS9_10device_ptrIfEEEESE_fNS9_4plusIvEEfEEDaPvRmT3_T4_T5_mT6_P12ihipStream_tbENKUlT_T0_E_clISt17integral_constantIbLb0EESU_EEDaSP_SQ_EUlSP_E0_NS1_11comp_targetILNS1_3genE10ELNS1_11target_archE1201ELNS1_3gpuE5ELNS1_3repE0EEENS1_30default_config_static_selectorELNS0_4arch9wavefront6targetE1EEEvT1_ ; -- Begin function _ZN7rocprim17ROCPRIM_400000_NS6detail17trampoline_kernelINS0_14default_configENS1_20scan_config_selectorIfEEZZNS1_9scan_implILNS1_25lookback_scan_determinismE0ELb1ELb1ES3_N6thrust23THRUST_200600_302600_NS6detail15normal_iteratorINS9_10device_ptrIfEEEESE_fNS9_4plusIvEEfEEDaPvRmT3_T4_T5_mT6_P12ihipStream_tbENKUlT_T0_E_clISt17integral_constantIbLb0EESU_EEDaSP_SQ_EUlSP_E0_NS1_11comp_targetILNS1_3genE10ELNS1_11target_archE1201ELNS1_3gpuE5ELNS1_3repE0EEENS1_30default_config_static_selectorELNS0_4arch9wavefront6targetE1EEEvT1_
	.globl	_ZN7rocprim17ROCPRIM_400000_NS6detail17trampoline_kernelINS0_14default_configENS1_20scan_config_selectorIfEEZZNS1_9scan_implILNS1_25lookback_scan_determinismE0ELb1ELb1ES3_N6thrust23THRUST_200600_302600_NS6detail15normal_iteratorINS9_10device_ptrIfEEEESE_fNS9_4plusIvEEfEEDaPvRmT3_T4_T5_mT6_P12ihipStream_tbENKUlT_T0_E_clISt17integral_constantIbLb0EESU_EEDaSP_SQ_EUlSP_E0_NS1_11comp_targetILNS1_3genE10ELNS1_11target_archE1201ELNS1_3gpuE5ELNS1_3repE0EEENS1_30default_config_static_selectorELNS0_4arch9wavefront6targetE1EEEvT1_
	.p2align	8
	.type	_ZN7rocprim17ROCPRIM_400000_NS6detail17trampoline_kernelINS0_14default_configENS1_20scan_config_selectorIfEEZZNS1_9scan_implILNS1_25lookback_scan_determinismE0ELb1ELb1ES3_N6thrust23THRUST_200600_302600_NS6detail15normal_iteratorINS9_10device_ptrIfEEEESE_fNS9_4plusIvEEfEEDaPvRmT3_T4_T5_mT6_P12ihipStream_tbENKUlT_T0_E_clISt17integral_constantIbLb0EESU_EEDaSP_SQ_EUlSP_E0_NS1_11comp_targetILNS1_3genE10ELNS1_11target_archE1201ELNS1_3gpuE5ELNS1_3repE0EEENS1_30default_config_static_selectorELNS0_4arch9wavefront6targetE1EEEvT1_,@function
_ZN7rocprim17ROCPRIM_400000_NS6detail17trampoline_kernelINS0_14default_configENS1_20scan_config_selectorIfEEZZNS1_9scan_implILNS1_25lookback_scan_determinismE0ELb1ELb1ES3_N6thrust23THRUST_200600_302600_NS6detail15normal_iteratorINS9_10device_ptrIfEEEESE_fNS9_4plusIvEEfEEDaPvRmT3_T4_T5_mT6_P12ihipStream_tbENKUlT_T0_E_clISt17integral_constantIbLb0EESU_EEDaSP_SQ_EUlSP_E0_NS1_11comp_targetILNS1_3genE10ELNS1_11target_archE1201ELNS1_3gpuE5ELNS1_3repE0EEENS1_30default_config_static_selectorELNS0_4arch9wavefront6targetE1EEEvT1_: ; @_ZN7rocprim17ROCPRIM_400000_NS6detail17trampoline_kernelINS0_14default_configENS1_20scan_config_selectorIfEEZZNS1_9scan_implILNS1_25lookback_scan_determinismE0ELb1ELb1ES3_N6thrust23THRUST_200600_302600_NS6detail15normal_iteratorINS9_10device_ptrIfEEEESE_fNS9_4plusIvEEfEEDaPvRmT3_T4_T5_mT6_P12ihipStream_tbENKUlT_T0_E_clISt17integral_constantIbLb0EESU_EEDaSP_SQ_EUlSP_E0_NS1_11comp_targetILNS1_3genE10ELNS1_11target_archE1201ELNS1_3gpuE5ELNS1_3repE0EEENS1_30default_config_static_selectorELNS0_4arch9wavefront6targetE1EEEvT1_
; %bb.0:
	.section	.rodata,"a",@progbits
	.p2align	6, 0x0
	.amdhsa_kernel _ZN7rocprim17ROCPRIM_400000_NS6detail17trampoline_kernelINS0_14default_configENS1_20scan_config_selectorIfEEZZNS1_9scan_implILNS1_25lookback_scan_determinismE0ELb1ELb1ES3_N6thrust23THRUST_200600_302600_NS6detail15normal_iteratorINS9_10device_ptrIfEEEESE_fNS9_4plusIvEEfEEDaPvRmT3_T4_T5_mT6_P12ihipStream_tbENKUlT_T0_E_clISt17integral_constantIbLb0EESU_EEDaSP_SQ_EUlSP_E0_NS1_11comp_targetILNS1_3genE10ELNS1_11target_archE1201ELNS1_3gpuE5ELNS1_3repE0EEENS1_30default_config_static_selectorELNS0_4arch9wavefront6targetE1EEEvT1_
		.amdhsa_group_segment_fixed_size 0
		.amdhsa_private_segment_fixed_size 0
		.amdhsa_kernarg_size 32
		.amdhsa_user_sgpr_count 6
		.amdhsa_user_sgpr_private_segment_buffer 1
		.amdhsa_user_sgpr_dispatch_ptr 0
		.amdhsa_user_sgpr_queue_ptr 0
		.amdhsa_user_sgpr_kernarg_segment_ptr 1
		.amdhsa_user_sgpr_dispatch_id 0
		.amdhsa_user_sgpr_flat_scratch_init 0
		.amdhsa_user_sgpr_kernarg_preload_length 0
		.amdhsa_user_sgpr_kernarg_preload_offset 0
		.amdhsa_user_sgpr_private_segment_size 0
		.amdhsa_uses_dynamic_stack 0
		.amdhsa_system_sgpr_private_segment_wavefront_offset 0
		.amdhsa_system_sgpr_workgroup_id_x 1
		.amdhsa_system_sgpr_workgroup_id_y 0
		.amdhsa_system_sgpr_workgroup_id_z 0
		.amdhsa_system_sgpr_workgroup_info 0
		.amdhsa_system_vgpr_workitem_id 0
		.amdhsa_next_free_vgpr 1
		.amdhsa_next_free_sgpr 0
		.amdhsa_accum_offset 4
		.amdhsa_reserve_vcc 0
		.amdhsa_reserve_flat_scratch 0
		.amdhsa_float_round_mode_32 0
		.amdhsa_float_round_mode_16_64 0
		.amdhsa_float_denorm_mode_32 3
		.amdhsa_float_denorm_mode_16_64 3
		.amdhsa_dx10_clamp 1
		.amdhsa_ieee_mode 1
		.amdhsa_fp16_overflow 0
		.amdhsa_tg_split 0
		.amdhsa_exception_fp_ieee_invalid_op 0
		.amdhsa_exception_fp_denorm_src 0
		.amdhsa_exception_fp_ieee_div_zero 0
		.amdhsa_exception_fp_ieee_overflow 0
		.amdhsa_exception_fp_ieee_underflow 0
		.amdhsa_exception_fp_ieee_inexact 0
		.amdhsa_exception_int_div_zero 0
	.end_amdhsa_kernel
	.section	.text._ZN7rocprim17ROCPRIM_400000_NS6detail17trampoline_kernelINS0_14default_configENS1_20scan_config_selectorIfEEZZNS1_9scan_implILNS1_25lookback_scan_determinismE0ELb1ELb1ES3_N6thrust23THRUST_200600_302600_NS6detail15normal_iteratorINS9_10device_ptrIfEEEESE_fNS9_4plusIvEEfEEDaPvRmT3_T4_T5_mT6_P12ihipStream_tbENKUlT_T0_E_clISt17integral_constantIbLb0EESU_EEDaSP_SQ_EUlSP_E0_NS1_11comp_targetILNS1_3genE10ELNS1_11target_archE1201ELNS1_3gpuE5ELNS1_3repE0EEENS1_30default_config_static_selectorELNS0_4arch9wavefront6targetE1EEEvT1_,"axG",@progbits,_ZN7rocprim17ROCPRIM_400000_NS6detail17trampoline_kernelINS0_14default_configENS1_20scan_config_selectorIfEEZZNS1_9scan_implILNS1_25lookback_scan_determinismE0ELb1ELb1ES3_N6thrust23THRUST_200600_302600_NS6detail15normal_iteratorINS9_10device_ptrIfEEEESE_fNS9_4plusIvEEfEEDaPvRmT3_T4_T5_mT6_P12ihipStream_tbENKUlT_T0_E_clISt17integral_constantIbLb0EESU_EEDaSP_SQ_EUlSP_E0_NS1_11comp_targetILNS1_3genE10ELNS1_11target_archE1201ELNS1_3gpuE5ELNS1_3repE0EEENS1_30default_config_static_selectorELNS0_4arch9wavefront6targetE1EEEvT1_,comdat
.Lfunc_end4372:
	.size	_ZN7rocprim17ROCPRIM_400000_NS6detail17trampoline_kernelINS0_14default_configENS1_20scan_config_selectorIfEEZZNS1_9scan_implILNS1_25lookback_scan_determinismE0ELb1ELb1ES3_N6thrust23THRUST_200600_302600_NS6detail15normal_iteratorINS9_10device_ptrIfEEEESE_fNS9_4plusIvEEfEEDaPvRmT3_T4_T5_mT6_P12ihipStream_tbENKUlT_T0_E_clISt17integral_constantIbLb0EESU_EEDaSP_SQ_EUlSP_E0_NS1_11comp_targetILNS1_3genE10ELNS1_11target_archE1201ELNS1_3gpuE5ELNS1_3repE0EEENS1_30default_config_static_selectorELNS0_4arch9wavefront6targetE1EEEvT1_, .Lfunc_end4372-_ZN7rocprim17ROCPRIM_400000_NS6detail17trampoline_kernelINS0_14default_configENS1_20scan_config_selectorIfEEZZNS1_9scan_implILNS1_25lookback_scan_determinismE0ELb1ELb1ES3_N6thrust23THRUST_200600_302600_NS6detail15normal_iteratorINS9_10device_ptrIfEEEESE_fNS9_4plusIvEEfEEDaPvRmT3_T4_T5_mT6_P12ihipStream_tbENKUlT_T0_E_clISt17integral_constantIbLb0EESU_EEDaSP_SQ_EUlSP_E0_NS1_11comp_targetILNS1_3genE10ELNS1_11target_archE1201ELNS1_3gpuE5ELNS1_3repE0EEENS1_30default_config_static_selectorELNS0_4arch9wavefront6targetE1EEEvT1_
                                        ; -- End function
	.section	.AMDGPU.csdata,"",@progbits
; Kernel info:
; codeLenInByte = 0
; NumSgprs: 4
; NumVgprs: 0
; NumAgprs: 0
; TotalNumVgprs: 0
; ScratchSize: 0
; MemoryBound: 0
; FloatMode: 240
; IeeeMode: 1
; LDSByteSize: 0 bytes/workgroup (compile time only)
; SGPRBlocks: 0
; VGPRBlocks: 0
; NumSGPRsForWavesPerEU: 4
; NumVGPRsForWavesPerEU: 1
; AccumOffset: 4
; Occupancy: 8
; WaveLimiterHint : 0
; COMPUTE_PGM_RSRC2:SCRATCH_EN: 0
; COMPUTE_PGM_RSRC2:USER_SGPR: 6
; COMPUTE_PGM_RSRC2:TRAP_HANDLER: 0
; COMPUTE_PGM_RSRC2:TGID_X_EN: 1
; COMPUTE_PGM_RSRC2:TGID_Y_EN: 0
; COMPUTE_PGM_RSRC2:TGID_Z_EN: 0
; COMPUTE_PGM_RSRC2:TIDIG_COMP_CNT: 0
; COMPUTE_PGM_RSRC3_GFX90A:ACCUM_OFFSET: 0
; COMPUTE_PGM_RSRC3_GFX90A:TG_SPLIT: 0
	.section	.text._ZN7rocprim17ROCPRIM_400000_NS6detail17trampoline_kernelINS0_14default_configENS1_20scan_config_selectorIfEEZZNS1_9scan_implILNS1_25lookback_scan_determinismE0ELb1ELb1ES3_N6thrust23THRUST_200600_302600_NS6detail15normal_iteratorINS9_10device_ptrIfEEEESE_fNS9_4plusIvEEfEEDaPvRmT3_T4_T5_mT6_P12ihipStream_tbENKUlT_T0_E_clISt17integral_constantIbLb0EESU_EEDaSP_SQ_EUlSP_E0_NS1_11comp_targetILNS1_3genE10ELNS1_11target_archE1200ELNS1_3gpuE4ELNS1_3repE0EEENS1_30default_config_static_selectorELNS0_4arch9wavefront6targetE1EEEvT1_,"axG",@progbits,_ZN7rocprim17ROCPRIM_400000_NS6detail17trampoline_kernelINS0_14default_configENS1_20scan_config_selectorIfEEZZNS1_9scan_implILNS1_25lookback_scan_determinismE0ELb1ELb1ES3_N6thrust23THRUST_200600_302600_NS6detail15normal_iteratorINS9_10device_ptrIfEEEESE_fNS9_4plusIvEEfEEDaPvRmT3_T4_T5_mT6_P12ihipStream_tbENKUlT_T0_E_clISt17integral_constantIbLb0EESU_EEDaSP_SQ_EUlSP_E0_NS1_11comp_targetILNS1_3genE10ELNS1_11target_archE1200ELNS1_3gpuE4ELNS1_3repE0EEENS1_30default_config_static_selectorELNS0_4arch9wavefront6targetE1EEEvT1_,comdat
	.protected	_ZN7rocprim17ROCPRIM_400000_NS6detail17trampoline_kernelINS0_14default_configENS1_20scan_config_selectorIfEEZZNS1_9scan_implILNS1_25lookback_scan_determinismE0ELb1ELb1ES3_N6thrust23THRUST_200600_302600_NS6detail15normal_iteratorINS9_10device_ptrIfEEEESE_fNS9_4plusIvEEfEEDaPvRmT3_T4_T5_mT6_P12ihipStream_tbENKUlT_T0_E_clISt17integral_constantIbLb0EESU_EEDaSP_SQ_EUlSP_E0_NS1_11comp_targetILNS1_3genE10ELNS1_11target_archE1200ELNS1_3gpuE4ELNS1_3repE0EEENS1_30default_config_static_selectorELNS0_4arch9wavefront6targetE1EEEvT1_ ; -- Begin function _ZN7rocprim17ROCPRIM_400000_NS6detail17trampoline_kernelINS0_14default_configENS1_20scan_config_selectorIfEEZZNS1_9scan_implILNS1_25lookback_scan_determinismE0ELb1ELb1ES3_N6thrust23THRUST_200600_302600_NS6detail15normal_iteratorINS9_10device_ptrIfEEEESE_fNS9_4plusIvEEfEEDaPvRmT3_T4_T5_mT6_P12ihipStream_tbENKUlT_T0_E_clISt17integral_constantIbLb0EESU_EEDaSP_SQ_EUlSP_E0_NS1_11comp_targetILNS1_3genE10ELNS1_11target_archE1200ELNS1_3gpuE4ELNS1_3repE0EEENS1_30default_config_static_selectorELNS0_4arch9wavefront6targetE1EEEvT1_
	.globl	_ZN7rocprim17ROCPRIM_400000_NS6detail17trampoline_kernelINS0_14default_configENS1_20scan_config_selectorIfEEZZNS1_9scan_implILNS1_25lookback_scan_determinismE0ELb1ELb1ES3_N6thrust23THRUST_200600_302600_NS6detail15normal_iteratorINS9_10device_ptrIfEEEESE_fNS9_4plusIvEEfEEDaPvRmT3_T4_T5_mT6_P12ihipStream_tbENKUlT_T0_E_clISt17integral_constantIbLb0EESU_EEDaSP_SQ_EUlSP_E0_NS1_11comp_targetILNS1_3genE10ELNS1_11target_archE1200ELNS1_3gpuE4ELNS1_3repE0EEENS1_30default_config_static_selectorELNS0_4arch9wavefront6targetE1EEEvT1_
	.p2align	8
	.type	_ZN7rocprim17ROCPRIM_400000_NS6detail17trampoline_kernelINS0_14default_configENS1_20scan_config_selectorIfEEZZNS1_9scan_implILNS1_25lookback_scan_determinismE0ELb1ELb1ES3_N6thrust23THRUST_200600_302600_NS6detail15normal_iteratorINS9_10device_ptrIfEEEESE_fNS9_4plusIvEEfEEDaPvRmT3_T4_T5_mT6_P12ihipStream_tbENKUlT_T0_E_clISt17integral_constantIbLb0EESU_EEDaSP_SQ_EUlSP_E0_NS1_11comp_targetILNS1_3genE10ELNS1_11target_archE1200ELNS1_3gpuE4ELNS1_3repE0EEENS1_30default_config_static_selectorELNS0_4arch9wavefront6targetE1EEEvT1_,@function
_ZN7rocprim17ROCPRIM_400000_NS6detail17trampoline_kernelINS0_14default_configENS1_20scan_config_selectorIfEEZZNS1_9scan_implILNS1_25lookback_scan_determinismE0ELb1ELb1ES3_N6thrust23THRUST_200600_302600_NS6detail15normal_iteratorINS9_10device_ptrIfEEEESE_fNS9_4plusIvEEfEEDaPvRmT3_T4_T5_mT6_P12ihipStream_tbENKUlT_T0_E_clISt17integral_constantIbLb0EESU_EEDaSP_SQ_EUlSP_E0_NS1_11comp_targetILNS1_3genE10ELNS1_11target_archE1200ELNS1_3gpuE4ELNS1_3repE0EEENS1_30default_config_static_selectorELNS0_4arch9wavefront6targetE1EEEvT1_: ; @_ZN7rocprim17ROCPRIM_400000_NS6detail17trampoline_kernelINS0_14default_configENS1_20scan_config_selectorIfEEZZNS1_9scan_implILNS1_25lookback_scan_determinismE0ELb1ELb1ES3_N6thrust23THRUST_200600_302600_NS6detail15normal_iteratorINS9_10device_ptrIfEEEESE_fNS9_4plusIvEEfEEDaPvRmT3_T4_T5_mT6_P12ihipStream_tbENKUlT_T0_E_clISt17integral_constantIbLb0EESU_EEDaSP_SQ_EUlSP_E0_NS1_11comp_targetILNS1_3genE10ELNS1_11target_archE1200ELNS1_3gpuE4ELNS1_3repE0EEENS1_30default_config_static_selectorELNS0_4arch9wavefront6targetE1EEEvT1_
; %bb.0:
	.section	.rodata,"a",@progbits
	.p2align	6, 0x0
	.amdhsa_kernel _ZN7rocprim17ROCPRIM_400000_NS6detail17trampoline_kernelINS0_14default_configENS1_20scan_config_selectorIfEEZZNS1_9scan_implILNS1_25lookback_scan_determinismE0ELb1ELb1ES3_N6thrust23THRUST_200600_302600_NS6detail15normal_iteratorINS9_10device_ptrIfEEEESE_fNS9_4plusIvEEfEEDaPvRmT3_T4_T5_mT6_P12ihipStream_tbENKUlT_T0_E_clISt17integral_constantIbLb0EESU_EEDaSP_SQ_EUlSP_E0_NS1_11comp_targetILNS1_3genE10ELNS1_11target_archE1200ELNS1_3gpuE4ELNS1_3repE0EEENS1_30default_config_static_selectorELNS0_4arch9wavefront6targetE1EEEvT1_
		.amdhsa_group_segment_fixed_size 0
		.amdhsa_private_segment_fixed_size 0
		.amdhsa_kernarg_size 32
		.amdhsa_user_sgpr_count 6
		.amdhsa_user_sgpr_private_segment_buffer 1
		.amdhsa_user_sgpr_dispatch_ptr 0
		.amdhsa_user_sgpr_queue_ptr 0
		.amdhsa_user_sgpr_kernarg_segment_ptr 1
		.amdhsa_user_sgpr_dispatch_id 0
		.amdhsa_user_sgpr_flat_scratch_init 0
		.amdhsa_user_sgpr_kernarg_preload_length 0
		.amdhsa_user_sgpr_kernarg_preload_offset 0
		.amdhsa_user_sgpr_private_segment_size 0
		.amdhsa_uses_dynamic_stack 0
		.amdhsa_system_sgpr_private_segment_wavefront_offset 0
		.amdhsa_system_sgpr_workgroup_id_x 1
		.amdhsa_system_sgpr_workgroup_id_y 0
		.amdhsa_system_sgpr_workgroup_id_z 0
		.amdhsa_system_sgpr_workgroup_info 0
		.amdhsa_system_vgpr_workitem_id 0
		.amdhsa_next_free_vgpr 1
		.amdhsa_next_free_sgpr 0
		.amdhsa_accum_offset 4
		.amdhsa_reserve_vcc 0
		.amdhsa_reserve_flat_scratch 0
		.amdhsa_float_round_mode_32 0
		.amdhsa_float_round_mode_16_64 0
		.amdhsa_float_denorm_mode_32 3
		.amdhsa_float_denorm_mode_16_64 3
		.amdhsa_dx10_clamp 1
		.amdhsa_ieee_mode 1
		.amdhsa_fp16_overflow 0
		.amdhsa_tg_split 0
		.amdhsa_exception_fp_ieee_invalid_op 0
		.amdhsa_exception_fp_denorm_src 0
		.amdhsa_exception_fp_ieee_div_zero 0
		.amdhsa_exception_fp_ieee_overflow 0
		.amdhsa_exception_fp_ieee_underflow 0
		.amdhsa_exception_fp_ieee_inexact 0
		.amdhsa_exception_int_div_zero 0
	.end_amdhsa_kernel
	.section	.text._ZN7rocprim17ROCPRIM_400000_NS6detail17trampoline_kernelINS0_14default_configENS1_20scan_config_selectorIfEEZZNS1_9scan_implILNS1_25lookback_scan_determinismE0ELb1ELb1ES3_N6thrust23THRUST_200600_302600_NS6detail15normal_iteratorINS9_10device_ptrIfEEEESE_fNS9_4plusIvEEfEEDaPvRmT3_T4_T5_mT6_P12ihipStream_tbENKUlT_T0_E_clISt17integral_constantIbLb0EESU_EEDaSP_SQ_EUlSP_E0_NS1_11comp_targetILNS1_3genE10ELNS1_11target_archE1200ELNS1_3gpuE4ELNS1_3repE0EEENS1_30default_config_static_selectorELNS0_4arch9wavefront6targetE1EEEvT1_,"axG",@progbits,_ZN7rocprim17ROCPRIM_400000_NS6detail17trampoline_kernelINS0_14default_configENS1_20scan_config_selectorIfEEZZNS1_9scan_implILNS1_25lookback_scan_determinismE0ELb1ELb1ES3_N6thrust23THRUST_200600_302600_NS6detail15normal_iteratorINS9_10device_ptrIfEEEESE_fNS9_4plusIvEEfEEDaPvRmT3_T4_T5_mT6_P12ihipStream_tbENKUlT_T0_E_clISt17integral_constantIbLb0EESU_EEDaSP_SQ_EUlSP_E0_NS1_11comp_targetILNS1_3genE10ELNS1_11target_archE1200ELNS1_3gpuE4ELNS1_3repE0EEENS1_30default_config_static_selectorELNS0_4arch9wavefront6targetE1EEEvT1_,comdat
.Lfunc_end4373:
	.size	_ZN7rocprim17ROCPRIM_400000_NS6detail17trampoline_kernelINS0_14default_configENS1_20scan_config_selectorIfEEZZNS1_9scan_implILNS1_25lookback_scan_determinismE0ELb1ELb1ES3_N6thrust23THRUST_200600_302600_NS6detail15normal_iteratorINS9_10device_ptrIfEEEESE_fNS9_4plusIvEEfEEDaPvRmT3_T4_T5_mT6_P12ihipStream_tbENKUlT_T0_E_clISt17integral_constantIbLb0EESU_EEDaSP_SQ_EUlSP_E0_NS1_11comp_targetILNS1_3genE10ELNS1_11target_archE1200ELNS1_3gpuE4ELNS1_3repE0EEENS1_30default_config_static_selectorELNS0_4arch9wavefront6targetE1EEEvT1_, .Lfunc_end4373-_ZN7rocprim17ROCPRIM_400000_NS6detail17trampoline_kernelINS0_14default_configENS1_20scan_config_selectorIfEEZZNS1_9scan_implILNS1_25lookback_scan_determinismE0ELb1ELb1ES3_N6thrust23THRUST_200600_302600_NS6detail15normal_iteratorINS9_10device_ptrIfEEEESE_fNS9_4plusIvEEfEEDaPvRmT3_T4_T5_mT6_P12ihipStream_tbENKUlT_T0_E_clISt17integral_constantIbLb0EESU_EEDaSP_SQ_EUlSP_E0_NS1_11comp_targetILNS1_3genE10ELNS1_11target_archE1200ELNS1_3gpuE4ELNS1_3repE0EEENS1_30default_config_static_selectorELNS0_4arch9wavefront6targetE1EEEvT1_
                                        ; -- End function
	.section	.AMDGPU.csdata,"",@progbits
; Kernel info:
; codeLenInByte = 0
; NumSgprs: 4
; NumVgprs: 0
; NumAgprs: 0
; TotalNumVgprs: 0
; ScratchSize: 0
; MemoryBound: 0
; FloatMode: 240
; IeeeMode: 1
; LDSByteSize: 0 bytes/workgroup (compile time only)
; SGPRBlocks: 0
; VGPRBlocks: 0
; NumSGPRsForWavesPerEU: 4
; NumVGPRsForWavesPerEU: 1
; AccumOffset: 4
; Occupancy: 8
; WaveLimiterHint : 0
; COMPUTE_PGM_RSRC2:SCRATCH_EN: 0
; COMPUTE_PGM_RSRC2:USER_SGPR: 6
; COMPUTE_PGM_RSRC2:TRAP_HANDLER: 0
; COMPUTE_PGM_RSRC2:TGID_X_EN: 1
; COMPUTE_PGM_RSRC2:TGID_Y_EN: 0
; COMPUTE_PGM_RSRC2:TGID_Z_EN: 0
; COMPUTE_PGM_RSRC2:TIDIG_COMP_CNT: 0
; COMPUTE_PGM_RSRC3_GFX90A:ACCUM_OFFSET: 0
; COMPUTE_PGM_RSRC3_GFX90A:TG_SPLIT: 0
	.section	.text._ZN7rocprim17ROCPRIM_400000_NS6detail17trampoline_kernelINS0_14default_configENS1_20scan_config_selectorIfEEZZNS1_9scan_implILNS1_25lookback_scan_determinismE0ELb1ELb1ES3_N6thrust23THRUST_200600_302600_NS6detail15normal_iteratorINS9_10device_ptrIfEEEESE_fNS9_4plusIvEEfEEDaPvRmT3_T4_T5_mT6_P12ihipStream_tbENKUlT_T0_E_clISt17integral_constantIbLb0EESU_EEDaSP_SQ_EUlSP_E0_NS1_11comp_targetILNS1_3genE9ELNS1_11target_archE1100ELNS1_3gpuE3ELNS1_3repE0EEENS1_30default_config_static_selectorELNS0_4arch9wavefront6targetE1EEEvT1_,"axG",@progbits,_ZN7rocprim17ROCPRIM_400000_NS6detail17trampoline_kernelINS0_14default_configENS1_20scan_config_selectorIfEEZZNS1_9scan_implILNS1_25lookback_scan_determinismE0ELb1ELb1ES3_N6thrust23THRUST_200600_302600_NS6detail15normal_iteratorINS9_10device_ptrIfEEEESE_fNS9_4plusIvEEfEEDaPvRmT3_T4_T5_mT6_P12ihipStream_tbENKUlT_T0_E_clISt17integral_constantIbLb0EESU_EEDaSP_SQ_EUlSP_E0_NS1_11comp_targetILNS1_3genE9ELNS1_11target_archE1100ELNS1_3gpuE3ELNS1_3repE0EEENS1_30default_config_static_selectorELNS0_4arch9wavefront6targetE1EEEvT1_,comdat
	.protected	_ZN7rocprim17ROCPRIM_400000_NS6detail17trampoline_kernelINS0_14default_configENS1_20scan_config_selectorIfEEZZNS1_9scan_implILNS1_25lookback_scan_determinismE0ELb1ELb1ES3_N6thrust23THRUST_200600_302600_NS6detail15normal_iteratorINS9_10device_ptrIfEEEESE_fNS9_4plusIvEEfEEDaPvRmT3_T4_T5_mT6_P12ihipStream_tbENKUlT_T0_E_clISt17integral_constantIbLb0EESU_EEDaSP_SQ_EUlSP_E0_NS1_11comp_targetILNS1_3genE9ELNS1_11target_archE1100ELNS1_3gpuE3ELNS1_3repE0EEENS1_30default_config_static_selectorELNS0_4arch9wavefront6targetE1EEEvT1_ ; -- Begin function _ZN7rocprim17ROCPRIM_400000_NS6detail17trampoline_kernelINS0_14default_configENS1_20scan_config_selectorIfEEZZNS1_9scan_implILNS1_25lookback_scan_determinismE0ELb1ELb1ES3_N6thrust23THRUST_200600_302600_NS6detail15normal_iteratorINS9_10device_ptrIfEEEESE_fNS9_4plusIvEEfEEDaPvRmT3_T4_T5_mT6_P12ihipStream_tbENKUlT_T0_E_clISt17integral_constantIbLb0EESU_EEDaSP_SQ_EUlSP_E0_NS1_11comp_targetILNS1_3genE9ELNS1_11target_archE1100ELNS1_3gpuE3ELNS1_3repE0EEENS1_30default_config_static_selectorELNS0_4arch9wavefront6targetE1EEEvT1_
	.globl	_ZN7rocprim17ROCPRIM_400000_NS6detail17trampoline_kernelINS0_14default_configENS1_20scan_config_selectorIfEEZZNS1_9scan_implILNS1_25lookback_scan_determinismE0ELb1ELb1ES3_N6thrust23THRUST_200600_302600_NS6detail15normal_iteratorINS9_10device_ptrIfEEEESE_fNS9_4plusIvEEfEEDaPvRmT3_T4_T5_mT6_P12ihipStream_tbENKUlT_T0_E_clISt17integral_constantIbLb0EESU_EEDaSP_SQ_EUlSP_E0_NS1_11comp_targetILNS1_3genE9ELNS1_11target_archE1100ELNS1_3gpuE3ELNS1_3repE0EEENS1_30default_config_static_selectorELNS0_4arch9wavefront6targetE1EEEvT1_
	.p2align	8
	.type	_ZN7rocprim17ROCPRIM_400000_NS6detail17trampoline_kernelINS0_14default_configENS1_20scan_config_selectorIfEEZZNS1_9scan_implILNS1_25lookback_scan_determinismE0ELb1ELb1ES3_N6thrust23THRUST_200600_302600_NS6detail15normal_iteratorINS9_10device_ptrIfEEEESE_fNS9_4plusIvEEfEEDaPvRmT3_T4_T5_mT6_P12ihipStream_tbENKUlT_T0_E_clISt17integral_constantIbLb0EESU_EEDaSP_SQ_EUlSP_E0_NS1_11comp_targetILNS1_3genE9ELNS1_11target_archE1100ELNS1_3gpuE3ELNS1_3repE0EEENS1_30default_config_static_selectorELNS0_4arch9wavefront6targetE1EEEvT1_,@function
_ZN7rocprim17ROCPRIM_400000_NS6detail17trampoline_kernelINS0_14default_configENS1_20scan_config_selectorIfEEZZNS1_9scan_implILNS1_25lookback_scan_determinismE0ELb1ELb1ES3_N6thrust23THRUST_200600_302600_NS6detail15normal_iteratorINS9_10device_ptrIfEEEESE_fNS9_4plusIvEEfEEDaPvRmT3_T4_T5_mT6_P12ihipStream_tbENKUlT_T0_E_clISt17integral_constantIbLb0EESU_EEDaSP_SQ_EUlSP_E0_NS1_11comp_targetILNS1_3genE9ELNS1_11target_archE1100ELNS1_3gpuE3ELNS1_3repE0EEENS1_30default_config_static_selectorELNS0_4arch9wavefront6targetE1EEEvT1_: ; @_ZN7rocprim17ROCPRIM_400000_NS6detail17trampoline_kernelINS0_14default_configENS1_20scan_config_selectorIfEEZZNS1_9scan_implILNS1_25lookback_scan_determinismE0ELb1ELb1ES3_N6thrust23THRUST_200600_302600_NS6detail15normal_iteratorINS9_10device_ptrIfEEEESE_fNS9_4plusIvEEfEEDaPvRmT3_T4_T5_mT6_P12ihipStream_tbENKUlT_T0_E_clISt17integral_constantIbLb0EESU_EEDaSP_SQ_EUlSP_E0_NS1_11comp_targetILNS1_3genE9ELNS1_11target_archE1100ELNS1_3gpuE3ELNS1_3repE0EEENS1_30default_config_static_selectorELNS0_4arch9wavefront6targetE1EEEvT1_
; %bb.0:
	.section	.rodata,"a",@progbits
	.p2align	6, 0x0
	.amdhsa_kernel _ZN7rocprim17ROCPRIM_400000_NS6detail17trampoline_kernelINS0_14default_configENS1_20scan_config_selectorIfEEZZNS1_9scan_implILNS1_25lookback_scan_determinismE0ELb1ELb1ES3_N6thrust23THRUST_200600_302600_NS6detail15normal_iteratorINS9_10device_ptrIfEEEESE_fNS9_4plusIvEEfEEDaPvRmT3_T4_T5_mT6_P12ihipStream_tbENKUlT_T0_E_clISt17integral_constantIbLb0EESU_EEDaSP_SQ_EUlSP_E0_NS1_11comp_targetILNS1_3genE9ELNS1_11target_archE1100ELNS1_3gpuE3ELNS1_3repE0EEENS1_30default_config_static_selectorELNS0_4arch9wavefront6targetE1EEEvT1_
		.amdhsa_group_segment_fixed_size 0
		.amdhsa_private_segment_fixed_size 0
		.amdhsa_kernarg_size 32
		.amdhsa_user_sgpr_count 6
		.amdhsa_user_sgpr_private_segment_buffer 1
		.amdhsa_user_sgpr_dispatch_ptr 0
		.amdhsa_user_sgpr_queue_ptr 0
		.amdhsa_user_sgpr_kernarg_segment_ptr 1
		.amdhsa_user_sgpr_dispatch_id 0
		.amdhsa_user_sgpr_flat_scratch_init 0
		.amdhsa_user_sgpr_kernarg_preload_length 0
		.amdhsa_user_sgpr_kernarg_preload_offset 0
		.amdhsa_user_sgpr_private_segment_size 0
		.amdhsa_uses_dynamic_stack 0
		.amdhsa_system_sgpr_private_segment_wavefront_offset 0
		.amdhsa_system_sgpr_workgroup_id_x 1
		.amdhsa_system_sgpr_workgroup_id_y 0
		.amdhsa_system_sgpr_workgroup_id_z 0
		.amdhsa_system_sgpr_workgroup_info 0
		.amdhsa_system_vgpr_workitem_id 0
		.amdhsa_next_free_vgpr 1
		.amdhsa_next_free_sgpr 0
		.amdhsa_accum_offset 4
		.amdhsa_reserve_vcc 0
		.amdhsa_reserve_flat_scratch 0
		.amdhsa_float_round_mode_32 0
		.amdhsa_float_round_mode_16_64 0
		.amdhsa_float_denorm_mode_32 3
		.amdhsa_float_denorm_mode_16_64 3
		.amdhsa_dx10_clamp 1
		.amdhsa_ieee_mode 1
		.amdhsa_fp16_overflow 0
		.amdhsa_tg_split 0
		.amdhsa_exception_fp_ieee_invalid_op 0
		.amdhsa_exception_fp_denorm_src 0
		.amdhsa_exception_fp_ieee_div_zero 0
		.amdhsa_exception_fp_ieee_overflow 0
		.amdhsa_exception_fp_ieee_underflow 0
		.amdhsa_exception_fp_ieee_inexact 0
		.amdhsa_exception_int_div_zero 0
	.end_amdhsa_kernel
	.section	.text._ZN7rocprim17ROCPRIM_400000_NS6detail17trampoline_kernelINS0_14default_configENS1_20scan_config_selectorIfEEZZNS1_9scan_implILNS1_25lookback_scan_determinismE0ELb1ELb1ES3_N6thrust23THRUST_200600_302600_NS6detail15normal_iteratorINS9_10device_ptrIfEEEESE_fNS9_4plusIvEEfEEDaPvRmT3_T4_T5_mT6_P12ihipStream_tbENKUlT_T0_E_clISt17integral_constantIbLb0EESU_EEDaSP_SQ_EUlSP_E0_NS1_11comp_targetILNS1_3genE9ELNS1_11target_archE1100ELNS1_3gpuE3ELNS1_3repE0EEENS1_30default_config_static_selectorELNS0_4arch9wavefront6targetE1EEEvT1_,"axG",@progbits,_ZN7rocprim17ROCPRIM_400000_NS6detail17trampoline_kernelINS0_14default_configENS1_20scan_config_selectorIfEEZZNS1_9scan_implILNS1_25lookback_scan_determinismE0ELb1ELb1ES3_N6thrust23THRUST_200600_302600_NS6detail15normal_iteratorINS9_10device_ptrIfEEEESE_fNS9_4plusIvEEfEEDaPvRmT3_T4_T5_mT6_P12ihipStream_tbENKUlT_T0_E_clISt17integral_constantIbLb0EESU_EEDaSP_SQ_EUlSP_E0_NS1_11comp_targetILNS1_3genE9ELNS1_11target_archE1100ELNS1_3gpuE3ELNS1_3repE0EEENS1_30default_config_static_selectorELNS0_4arch9wavefront6targetE1EEEvT1_,comdat
.Lfunc_end4374:
	.size	_ZN7rocprim17ROCPRIM_400000_NS6detail17trampoline_kernelINS0_14default_configENS1_20scan_config_selectorIfEEZZNS1_9scan_implILNS1_25lookback_scan_determinismE0ELb1ELb1ES3_N6thrust23THRUST_200600_302600_NS6detail15normal_iteratorINS9_10device_ptrIfEEEESE_fNS9_4plusIvEEfEEDaPvRmT3_T4_T5_mT6_P12ihipStream_tbENKUlT_T0_E_clISt17integral_constantIbLb0EESU_EEDaSP_SQ_EUlSP_E0_NS1_11comp_targetILNS1_3genE9ELNS1_11target_archE1100ELNS1_3gpuE3ELNS1_3repE0EEENS1_30default_config_static_selectorELNS0_4arch9wavefront6targetE1EEEvT1_, .Lfunc_end4374-_ZN7rocprim17ROCPRIM_400000_NS6detail17trampoline_kernelINS0_14default_configENS1_20scan_config_selectorIfEEZZNS1_9scan_implILNS1_25lookback_scan_determinismE0ELb1ELb1ES3_N6thrust23THRUST_200600_302600_NS6detail15normal_iteratorINS9_10device_ptrIfEEEESE_fNS9_4plusIvEEfEEDaPvRmT3_T4_T5_mT6_P12ihipStream_tbENKUlT_T0_E_clISt17integral_constantIbLb0EESU_EEDaSP_SQ_EUlSP_E0_NS1_11comp_targetILNS1_3genE9ELNS1_11target_archE1100ELNS1_3gpuE3ELNS1_3repE0EEENS1_30default_config_static_selectorELNS0_4arch9wavefront6targetE1EEEvT1_
                                        ; -- End function
	.section	.AMDGPU.csdata,"",@progbits
; Kernel info:
; codeLenInByte = 0
; NumSgprs: 4
; NumVgprs: 0
; NumAgprs: 0
; TotalNumVgprs: 0
; ScratchSize: 0
; MemoryBound: 0
; FloatMode: 240
; IeeeMode: 1
; LDSByteSize: 0 bytes/workgroup (compile time only)
; SGPRBlocks: 0
; VGPRBlocks: 0
; NumSGPRsForWavesPerEU: 4
; NumVGPRsForWavesPerEU: 1
; AccumOffset: 4
; Occupancy: 8
; WaveLimiterHint : 0
; COMPUTE_PGM_RSRC2:SCRATCH_EN: 0
; COMPUTE_PGM_RSRC2:USER_SGPR: 6
; COMPUTE_PGM_RSRC2:TRAP_HANDLER: 0
; COMPUTE_PGM_RSRC2:TGID_X_EN: 1
; COMPUTE_PGM_RSRC2:TGID_Y_EN: 0
; COMPUTE_PGM_RSRC2:TGID_Z_EN: 0
; COMPUTE_PGM_RSRC2:TIDIG_COMP_CNT: 0
; COMPUTE_PGM_RSRC3_GFX90A:ACCUM_OFFSET: 0
; COMPUTE_PGM_RSRC3_GFX90A:TG_SPLIT: 0
	.section	.text._ZN7rocprim17ROCPRIM_400000_NS6detail17trampoline_kernelINS0_14default_configENS1_20scan_config_selectorIfEEZZNS1_9scan_implILNS1_25lookback_scan_determinismE0ELb1ELb1ES3_N6thrust23THRUST_200600_302600_NS6detail15normal_iteratorINS9_10device_ptrIfEEEESE_fNS9_4plusIvEEfEEDaPvRmT3_T4_T5_mT6_P12ihipStream_tbENKUlT_T0_E_clISt17integral_constantIbLb0EESU_EEDaSP_SQ_EUlSP_E0_NS1_11comp_targetILNS1_3genE8ELNS1_11target_archE1030ELNS1_3gpuE2ELNS1_3repE0EEENS1_30default_config_static_selectorELNS0_4arch9wavefront6targetE1EEEvT1_,"axG",@progbits,_ZN7rocprim17ROCPRIM_400000_NS6detail17trampoline_kernelINS0_14default_configENS1_20scan_config_selectorIfEEZZNS1_9scan_implILNS1_25lookback_scan_determinismE0ELb1ELb1ES3_N6thrust23THRUST_200600_302600_NS6detail15normal_iteratorINS9_10device_ptrIfEEEESE_fNS9_4plusIvEEfEEDaPvRmT3_T4_T5_mT6_P12ihipStream_tbENKUlT_T0_E_clISt17integral_constantIbLb0EESU_EEDaSP_SQ_EUlSP_E0_NS1_11comp_targetILNS1_3genE8ELNS1_11target_archE1030ELNS1_3gpuE2ELNS1_3repE0EEENS1_30default_config_static_selectorELNS0_4arch9wavefront6targetE1EEEvT1_,comdat
	.protected	_ZN7rocprim17ROCPRIM_400000_NS6detail17trampoline_kernelINS0_14default_configENS1_20scan_config_selectorIfEEZZNS1_9scan_implILNS1_25lookback_scan_determinismE0ELb1ELb1ES3_N6thrust23THRUST_200600_302600_NS6detail15normal_iteratorINS9_10device_ptrIfEEEESE_fNS9_4plusIvEEfEEDaPvRmT3_T4_T5_mT6_P12ihipStream_tbENKUlT_T0_E_clISt17integral_constantIbLb0EESU_EEDaSP_SQ_EUlSP_E0_NS1_11comp_targetILNS1_3genE8ELNS1_11target_archE1030ELNS1_3gpuE2ELNS1_3repE0EEENS1_30default_config_static_selectorELNS0_4arch9wavefront6targetE1EEEvT1_ ; -- Begin function _ZN7rocprim17ROCPRIM_400000_NS6detail17trampoline_kernelINS0_14default_configENS1_20scan_config_selectorIfEEZZNS1_9scan_implILNS1_25lookback_scan_determinismE0ELb1ELb1ES3_N6thrust23THRUST_200600_302600_NS6detail15normal_iteratorINS9_10device_ptrIfEEEESE_fNS9_4plusIvEEfEEDaPvRmT3_T4_T5_mT6_P12ihipStream_tbENKUlT_T0_E_clISt17integral_constantIbLb0EESU_EEDaSP_SQ_EUlSP_E0_NS1_11comp_targetILNS1_3genE8ELNS1_11target_archE1030ELNS1_3gpuE2ELNS1_3repE0EEENS1_30default_config_static_selectorELNS0_4arch9wavefront6targetE1EEEvT1_
	.globl	_ZN7rocprim17ROCPRIM_400000_NS6detail17trampoline_kernelINS0_14default_configENS1_20scan_config_selectorIfEEZZNS1_9scan_implILNS1_25lookback_scan_determinismE0ELb1ELb1ES3_N6thrust23THRUST_200600_302600_NS6detail15normal_iteratorINS9_10device_ptrIfEEEESE_fNS9_4plusIvEEfEEDaPvRmT3_T4_T5_mT6_P12ihipStream_tbENKUlT_T0_E_clISt17integral_constantIbLb0EESU_EEDaSP_SQ_EUlSP_E0_NS1_11comp_targetILNS1_3genE8ELNS1_11target_archE1030ELNS1_3gpuE2ELNS1_3repE0EEENS1_30default_config_static_selectorELNS0_4arch9wavefront6targetE1EEEvT1_
	.p2align	8
	.type	_ZN7rocprim17ROCPRIM_400000_NS6detail17trampoline_kernelINS0_14default_configENS1_20scan_config_selectorIfEEZZNS1_9scan_implILNS1_25lookback_scan_determinismE0ELb1ELb1ES3_N6thrust23THRUST_200600_302600_NS6detail15normal_iteratorINS9_10device_ptrIfEEEESE_fNS9_4plusIvEEfEEDaPvRmT3_T4_T5_mT6_P12ihipStream_tbENKUlT_T0_E_clISt17integral_constantIbLb0EESU_EEDaSP_SQ_EUlSP_E0_NS1_11comp_targetILNS1_3genE8ELNS1_11target_archE1030ELNS1_3gpuE2ELNS1_3repE0EEENS1_30default_config_static_selectorELNS0_4arch9wavefront6targetE1EEEvT1_,@function
_ZN7rocprim17ROCPRIM_400000_NS6detail17trampoline_kernelINS0_14default_configENS1_20scan_config_selectorIfEEZZNS1_9scan_implILNS1_25lookback_scan_determinismE0ELb1ELb1ES3_N6thrust23THRUST_200600_302600_NS6detail15normal_iteratorINS9_10device_ptrIfEEEESE_fNS9_4plusIvEEfEEDaPvRmT3_T4_T5_mT6_P12ihipStream_tbENKUlT_T0_E_clISt17integral_constantIbLb0EESU_EEDaSP_SQ_EUlSP_E0_NS1_11comp_targetILNS1_3genE8ELNS1_11target_archE1030ELNS1_3gpuE2ELNS1_3repE0EEENS1_30default_config_static_selectorELNS0_4arch9wavefront6targetE1EEEvT1_: ; @_ZN7rocprim17ROCPRIM_400000_NS6detail17trampoline_kernelINS0_14default_configENS1_20scan_config_selectorIfEEZZNS1_9scan_implILNS1_25lookback_scan_determinismE0ELb1ELb1ES3_N6thrust23THRUST_200600_302600_NS6detail15normal_iteratorINS9_10device_ptrIfEEEESE_fNS9_4plusIvEEfEEDaPvRmT3_T4_T5_mT6_P12ihipStream_tbENKUlT_T0_E_clISt17integral_constantIbLb0EESU_EEDaSP_SQ_EUlSP_E0_NS1_11comp_targetILNS1_3genE8ELNS1_11target_archE1030ELNS1_3gpuE2ELNS1_3repE0EEENS1_30default_config_static_selectorELNS0_4arch9wavefront6targetE1EEEvT1_
; %bb.0:
	.section	.rodata,"a",@progbits
	.p2align	6, 0x0
	.amdhsa_kernel _ZN7rocprim17ROCPRIM_400000_NS6detail17trampoline_kernelINS0_14default_configENS1_20scan_config_selectorIfEEZZNS1_9scan_implILNS1_25lookback_scan_determinismE0ELb1ELb1ES3_N6thrust23THRUST_200600_302600_NS6detail15normal_iteratorINS9_10device_ptrIfEEEESE_fNS9_4plusIvEEfEEDaPvRmT3_T4_T5_mT6_P12ihipStream_tbENKUlT_T0_E_clISt17integral_constantIbLb0EESU_EEDaSP_SQ_EUlSP_E0_NS1_11comp_targetILNS1_3genE8ELNS1_11target_archE1030ELNS1_3gpuE2ELNS1_3repE0EEENS1_30default_config_static_selectorELNS0_4arch9wavefront6targetE1EEEvT1_
		.amdhsa_group_segment_fixed_size 0
		.amdhsa_private_segment_fixed_size 0
		.amdhsa_kernarg_size 32
		.amdhsa_user_sgpr_count 6
		.amdhsa_user_sgpr_private_segment_buffer 1
		.amdhsa_user_sgpr_dispatch_ptr 0
		.amdhsa_user_sgpr_queue_ptr 0
		.amdhsa_user_sgpr_kernarg_segment_ptr 1
		.amdhsa_user_sgpr_dispatch_id 0
		.amdhsa_user_sgpr_flat_scratch_init 0
		.amdhsa_user_sgpr_kernarg_preload_length 0
		.amdhsa_user_sgpr_kernarg_preload_offset 0
		.amdhsa_user_sgpr_private_segment_size 0
		.amdhsa_uses_dynamic_stack 0
		.amdhsa_system_sgpr_private_segment_wavefront_offset 0
		.amdhsa_system_sgpr_workgroup_id_x 1
		.amdhsa_system_sgpr_workgroup_id_y 0
		.amdhsa_system_sgpr_workgroup_id_z 0
		.amdhsa_system_sgpr_workgroup_info 0
		.amdhsa_system_vgpr_workitem_id 0
		.amdhsa_next_free_vgpr 1
		.amdhsa_next_free_sgpr 0
		.amdhsa_accum_offset 4
		.amdhsa_reserve_vcc 0
		.amdhsa_reserve_flat_scratch 0
		.amdhsa_float_round_mode_32 0
		.amdhsa_float_round_mode_16_64 0
		.amdhsa_float_denorm_mode_32 3
		.amdhsa_float_denorm_mode_16_64 3
		.amdhsa_dx10_clamp 1
		.amdhsa_ieee_mode 1
		.amdhsa_fp16_overflow 0
		.amdhsa_tg_split 0
		.amdhsa_exception_fp_ieee_invalid_op 0
		.amdhsa_exception_fp_denorm_src 0
		.amdhsa_exception_fp_ieee_div_zero 0
		.amdhsa_exception_fp_ieee_overflow 0
		.amdhsa_exception_fp_ieee_underflow 0
		.amdhsa_exception_fp_ieee_inexact 0
		.amdhsa_exception_int_div_zero 0
	.end_amdhsa_kernel
	.section	.text._ZN7rocprim17ROCPRIM_400000_NS6detail17trampoline_kernelINS0_14default_configENS1_20scan_config_selectorIfEEZZNS1_9scan_implILNS1_25lookback_scan_determinismE0ELb1ELb1ES3_N6thrust23THRUST_200600_302600_NS6detail15normal_iteratorINS9_10device_ptrIfEEEESE_fNS9_4plusIvEEfEEDaPvRmT3_T4_T5_mT6_P12ihipStream_tbENKUlT_T0_E_clISt17integral_constantIbLb0EESU_EEDaSP_SQ_EUlSP_E0_NS1_11comp_targetILNS1_3genE8ELNS1_11target_archE1030ELNS1_3gpuE2ELNS1_3repE0EEENS1_30default_config_static_selectorELNS0_4arch9wavefront6targetE1EEEvT1_,"axG",@progbits,_ZN7rocprim17ROCPRIM_400000_NS6detail17trampoline_kernelINS0_14default_configENS1_20scan_config_selectorIfEEZZNS1_9scan_implILNS1_25lookback_scan_determinismE0ELb1ELb1ES3_N6thrust23THRUST_200600_302600_NS6detail15normal_iteratorINS9_10device_ptrIfEEEESE_fNS9_4plusIvEEfEEDaPvRmT3_T4_T5_mT6_P12ihipStream_tbENKUlT_T0_E_clISt17integral_constantIbLb0EESU_EEDaSP_SQ_EUlSP_E0_NS1_11comp_targetILNS1_3genE8ELNS1_11target_archE1030ELNS1_3gpuE2ELNS1_3repE0EEENS1_30default_config_static_selectorELNS0_4arch9wavefront6targetE1EEEvT1_,comdat
.Lfunc_end4375:
	.size	_ZN7rocprim17ROCPRIM_400000_NS6detail17trampoline_kernelINS0_14default_configENS1_20scan_config_selectorIfEEZZNS1_9scan_implILNS1_25lookback_scan_determinismE0ELb1ELb1ES3_N6thrust23THRUST_200600_302600_NS6detail15normal_iteratorINS9_10device_ptrIfEEEESE_fNS9_4plusIvEEfEEDaPvRmT3_T4_T5_mT6_P12ihipStream_tbENKUlT_T0_E_clISt17integral_constantIbLb0EESU_EEDaSP_SQ_EUlSP_E0_NS1_11comp_targetILNS1_3genE8ELNS1_11target_archE1030ELNS1_3gpuE2ELNS1_3repE0EEENS1_30default_config_static_selectorELNS0_4arch9wavefront6targetE1EEEvT1_, .Lfunc_end4375-_ZN7rocprim17ROCPRIM_400000_NS6detail17trampoline_kernelINS0_14default_configENS1_20scan_config_selectorIfEEZZNS1_9scan_implILNS1_25lookback_scan_determinismE0ELb1ELb1ES3_N6thrust23THRUST_200600_302600_NS6detail15normal_iteratorINS9_10device_ptrIfEEEESE_fNS9_4plusIvEEfEEDaPvRmT3_T4_T5_mT6_P12ihipStream_tbENKUlT_T0_E_clISt17integral_constantIbLb0EESU_EEDaSP_SQ_EUlSP_E0_NS1_11comp_targetILNS1_3genE8ELNS1_11target_archE1030ELNS1_3gpuE2ELNS1_3repE0EEENS1_30default_config_static_selectorELNS0_4arch9wavefront6targetE1EEEvT1_
                                        ; -- End function
	.section	.AMDGPU.csdata,"",@progbits
; Kernel info:
; codeLenInByte = 0
; NumSgprs: 4
; NumVgprs: 0
; NumAgprs: 0
; TotalNumVgprs: 0
; ScratchSize: 0
; MemoryBound: 0
; FloatMode: 240
; IeeeMode: 1
; LDSByteSize: 0 bytes/workgroup (compile time only)
; SGPRBlocks: 0
; VGPRBlocks: 0
; NumSGPRsForWavesPerEU: 4
; NumVGPRsForWavesPerEU: 1
; AccumOffset: 4
; Occupancy: 8
; WaveLimiterHint : 0
; COMPUTE_PGM_RSRC2:SCRATCH_EN: 0
; COMPUTE_PGM_RSRC2:USER_SGPR: 6
; COMPUTE_PGM_RSRC2:TRAP_HANDLER: 0
; COMPUTE_PGM_RSRC2:TGID_X_EN: 1
; COMPUTE_PGM_RSRC2:TGID_Y_EN: 0
; COMPUTE_PGM_RSRC2:TGID_Z_EN: 0
; COMPUTE_PGM_RSRC2:TIDIG_COMP_CNT: 0
; COMPUTE_PGM_RSRC3_GFX90A:ACCUM_OFFSET: 0
; COMPUTE_PGM_RSRC3_GFX90A:TG_SPLIT: 0
	.section	.text._ZN7rocprim17ROCPRIM_400000_NS6detail17trampoline_kernelINS0_14default_configENS1_20scan_config_selectorIfEEZZNS1_9scan_implILNS1_25lookback_scan_determinismE0ELb1ELb1ES3_N6thrust23THRUST_200600_302600_NS6detail15normal_iteratorINS9_10device_ptrIfEEEESE_fNS9_4plusIvEEfEEDaPvRmT3_T4_T5_mT6_P12ihipStream_tbENKUlT_T0_E_clISt17integral_constantIbLb1EESU_EEDaSP_SQ_EUlSP_E_NS1_11comp_targetILNS1_3genE0ELNS1_11target_archE4294967295ELNS1_3gpuE0ELNS1_3repE0EEENS1_30default_config_static_selectorELNS0_4arch9wavefront6targetE1EEEvT1_,"axG",@progbits,_ZN7rocprim17ROCPRIM_400000_NS6detail17trampoline_kernelINS0_14default_configENS1_20scan_config_selectorIfEEZZNS1_9scan_implILNS1_25lookback_scan_determinismE0ELb1ELb1ES3_N6thrust23THRUST_200600_302600_NS6detail15normal_iteratorINS9_10device_ptrIfEEEESE_fNS9_4plusIvEEfEEDaPvRmT3_T4_T5_mT6_P12ihipStream_tbENKUlT_T0_E_clISt17integral_constantIbLb1EESU_EEDaSP_SQ_EUlSP_E_NS1_11comp_targetILNS1_3genE0ELNS1_11target_archE4294967295ELNS1_3gpuE0ELNS1_3repE0EEENS1_30default_config_static_selectorELNS0_4arch9wavefront6targetE1EEEvT1_,comdat
	.protected	_ZN7rocprim17ROCPRIM_400000_NS6detail17trampoline_kernelINS0_14default_configENS1_20scan_config_selectorIfEEZZNS1_9scan_implILNS1_25lookback_scan_determinismE0ELb1ELb1ES3_N6thrust23THRUST_200600_302600_NS6detail15normal_iteratorINS9_10device_ptrIfEEEESE_fNS9_4plusIvEEfEEDaPvRmT3_T4_T5_mT6_P12ihipStream_tbENKUlT_T0_E_clISt17integral_constantIbLb1EESU_EEDaSP_SQ_EUlSP_E_NS1_11comp_targetILNS1_3genE0ELNS1_11target_archE4294967295ELNS1_3gpuE0ELNS1_3repE0EEENS1_30default_config_static_selectorELNS0_4arch9wavefront6targetE1EEEvT1_ ; -- Begin function _ZN7rocprim17ROCPRIM_400000_NS6detail17trampoline_kernelINS0_14default_configENS1_20scan_config_selectorIfEEZZNS1_9scan_implILNS1_25lookback_scan_determinismE0ELb1ELb1ES3_N6thrust23THRUST_200600_302600_NS6detail15normal_iteratorINS9_10device_ptrIfEEEESE_fNS9_4plusIvEEfEEDaPvRmT3_T4_T5_mT6_P12ihipStream_tbENKUlT_T0_E_clISt17integral_constantIbLb1EESU_EEDaSP_SQ_EUlSP_E_NS1_11comp_targetILNS1_3genE0ELNS1_11target_archE4294967295ELNS1_3gpuE0ELNS1_3repE0EEENS1_30default_config_static_selectorELNS0_4arch9wavefront6targetE1EEEvT1_
	.globl	_ZN7rocprim17ROCPRIM_400000_NS6detail17trampoline_kernelINS0_14default_configENS1_20scan_config_selectorIfEEZZNS1_9scan_implILNS1_25lookback_scan_determinismE0ELb1ELb1ES3_N6thrust23THRUST_200600_302600_NS6detail15normal_iteratorINS9_10device_ptrIfEEEESE_fNS9_4plusIvEEfEEDaPvRmT3_T4_T5_mT6_P12ihipStream_tbENKUlT_T0_E_clISt17integral_constantIbLb1EESU_EEDaSP_SQ_EUlSP_E_NS1_11comp_targetILNS1_3genE0ELNS1_11target_archE4294967295ELNS1_3gpuE0ELNS1_3repE0EEENS1_30default_config_static_selectorELNS0_4arch9wavefront6targetE1EEEvT1_
	.p2align	8
	.type	_ZN7rocprim17ROCPRIM_400000_NS6detail17trampoline_kernelINS0_14default_configENS1_20scan_config_selectorIfEEZZNS1_9scan_implILNS1_25lookback_scan_determinismE0ELb1ELb1ES3_N6thrust23THRUST_200600_302600_NS6detail15normal_iteratorINS9_10device_ptrIfEEEESE_fNS9_4plusIvEEfEEDaPvRmT3_T4_T5_mT6_P12ihipStream_tbENKUlT_T0_E_clISt17integral_constantIbLb1EESU_EEDaSP_SQ_EUlSP_E_NS1_11comp_targetILNS1_3genE0ELNS1_11target_archE4294967295ELNS1_3gpuE0ELNS1_3repE0EEENS1_30default_config_static_selectorELNS0_4arch9wavefront6targetE1EEEvT1_,@function
_ZN7rocprim17ROCPRIM_400000_NS6detail17trampoline_kernelINS0_14default_configENS1_20scan_config_selectorIfEEZZNS1_9scan_implILNS1_25lookback_scan_determinismE0ELb1ELb1ES3_N6thrust23THRUST_200600_302600_NS6detail15normal_iteratorINS9_10device_ptrIfEEEESE_fNS9_4plusIvEEfEEDaPvRmT3_T4_T5_mT6_P12ihipStream_tbENKUlT_T0_E_clISt17integral_constantIbLb1EESU_EEDaSP_SQ_EUlSP_E_NS1_11comp_targetILNS1_3genE0ELNS1_11target_archE4294967295ELNS1_3gpuE0ELNS1_3repE0EEENS1_30default_config_static_selectorELNS0_4arch9wavefront6targetE1EEEvT1_: ; @_ZN7rocprim17ROCPRIM_400000_NS6detail17trampoline_kernelINS0_14default_configENS1_20scan_config_selectorIfEEZZNS1_9scan_implILNS1_25lookback_scan_determinismE0ELb1ELb1ES3_N6thrust23THRUST_200600_302600_NS6detail15normal_iteratorINS9_10device_ptrIfEEEESE_fNS9_4plusIvEEfEEDaPvRmT3_T4_T5_mT6_P12ihipStream_tbENKUlT_T0_E_clISt17integral_constantIbLb1EESU_EEDaSP_SQ_EUlSP_E_NS1_11comp_targetILNS1_3genE0ELNS1_11target_archE4294967295ELNS1_3gpuE0ELNS1_3repE0EEENS1_30default_config_static_selectorELNS0_4arch9wavefront6targetE1EEEvT1_
; %bb.0:
	.section	.rodata,"a",@progbits
	.p2align	6, 0x0
	.amdhsa_kernel _ZN7rocprim17ROCPRIM_400000_NS6detail17trampoline_kernelINS0_14default_configENS1_20scan_config_selectorIfEEZZNS1_9scan_implILNS1_25lookback_scan_determinismE0ELb1ELb1ES3_N6thrust23THRUST_200600_302600_NS6detail15normal_iteratorINS9_10device_ptrIfEEEESE_fNS9_4plusIvEEfEEDaPvRmT3_T4_T5_mT6_P12ihipStream_tbENKUlT_T0_E_clISt17integral_constantIbLb1EESU_EEDaSP_SQ_EUlSP_E_NS1_11comp_targetILNS1_3genE0ELNS1_11target_archE4294967295ELNS1_3gpuE0ELNS1_3repE0EEENS1_30default_config_static_selectorELNS0_4arch9wavefront6targetE1EEEvT1_
		.amdhsa_group_segment_fixed_size 0
		.amdhsa_private_segment_fixed_size 0
		.amdhsa_kernarg_size 96
		.amdhsa_user_sgpr_count 6
		.amdhsa_user_sgpr_private_segment_buffer 1
		.amdhsa_user_sgpr_dispatch_ptr 0
		.amdhsa_user_sgpr_queue_ptr 0
		.amdhsa_user_sgpr_kernarg_segment_ptr 1
		.amdhsa_user_sgpr_dispatch_id 0
		.amdhsa_user_sgpr_flat_scratch_init 0
		.amdhsa_user_sgpr_kernarg_preload_length 0
		.amdhsa_user_sgpr_kernarg_preload_offset 0
		.amdhsa_user_sgpr_private_segment_size 0
		.amdhsa_uses_dynamic_stack 0
		.amdhsa_system_sgpr_private_segment_wavefront_offset 0
		.amdhsa_system_sgpr_workgroup_id_x 1
		.amdhsa_system_sgpr_workgroup_id_y 0
		.amdhsa_system_sgpr_workgroup_id_z 0
		.amdhsa_system_sgpr_workgroup_info 0
		.amdhsa_system_vgpr_workitem_id 0
		.amdhsa_next_free_vgpr 1
		.amdhsa_next_free_sgpr 0
		.amdhsa_accum_offset 4
		.amdhsa_reserve_vcc 0
		.amdhsa_reserve_flat_scratch 0
		.amdhsa_float_round_mode_32 0
		.amdhsa_float_round_mode_16_64 0
		.amdhsa_float_denorm_mode_32 3
		.amdhsa_float_denorm_mode_16_64 3
		.amdhsa_dx10_clamp 1
		.amdhsa_ieee_mode 1
		.amdhsa_fp16_overflow 0
		.amdhsa_tg_split 0
		.amdhsa_exception_fp_ieee_invalid_op 0
		.amdhsa_exception_fp_denorm_src 0
		.amdhsa_exception_fp_ieee_div_zero 0
		.amdhsa_exception_fp_ieee_overflow 0
		.amdhsa_exception_fp_ieee_underflow 0
		.amdhsa_exception_fp_ieee_inexact 0
		.amdhsa_exception_int_div_zero 0
	.end_amdhsa_kernel
	.section	.text._ZN7rocprim17ROCPRIM_400000_NS6detail17trampoline_kernelINS0_14default_configENS1_20scan_config_selectorIfEEZZNS1_9scan_implILNS1_25lookback_scan_determinismE0ELb1ELb1ES3_N6thrust23THRUST_200600_302600_NS6detail15normal_iteratorINS9_10device_ptrIfEEEESE_fNS9_4plusIvEEfEEDaPvRmT3_T4_T5_mT6_P12ihipStream_tbENKUlT_T0_E_clISt17integral_constantIbLb1EESU_EEDaSP_SQ_EUlSP_E_NS1_11comp_targetILNS1_3genE0ELNS1_11target_archE4294967295ELNS1_3gpuE0ELNS1_3repE0EEENS1_30default_config_static_selectorELNS0_4arch9wavefront6targetE1EEEvT1_,"axG",@progbits,_ZN7rocprim17ROCPRIM_400000_NS6detail17trampoline_kernelINS0_14default_configENS1_20scan_config_selectorIfEEZZNS1_9scan_implILNS1_25lookback_scan_determinismE0ELb1ELb1ES3_N6thrust23THRUST_200600_302600_NS6detail15normal_iteratorINS9_10device_ptrIfEEEESE_fNS9_4plusIvEEfEEDaPvRmT3_T4_T5_mT6_P12ihipStream_tbENKUlT_T0_E_clISt17integral_constantIbLb1EESU_EEDaSP_SQ_EUlSP_E_NS1_11comp_targetILNS1_3genE0ELNS1_11target_archE4294967295ELNS1_3gpuE0ELNS1_3repE0EEENS1_30default_config_static_selectorELNS0_4arch9wavefront6targetE1EEEvT1_,comdat
.Lfunc_end4376:
	.size	_ZN7rocprim17ROCPRIM_400000_NS6detail17trampoline_kernelINS0_14default_configENS1_20scan_config_selectorIfEEZZNS1_9scan_implILNS1_25lookback_scan_determinismE0ELb1ELb1ES3_N6thrust23THRUST_200600_302600_NS6detail15normal_iteratorINS9_10device_ptrIfEEEESE_fNS9_4plusIvEEfEEDaPvRmT3_T4_T5_mT6_P12ihipStream_tbENKUlT_T0_E_clISt17integral_constantIbLb1EESU_EEDaSP_SQ_EUlSP_E_NS1_11comp_targetILNS1_3genE0ELNS1_11target_archE4294967295ELNS1_3gpuE0ELNS1_3repE0EEENS1_30default_config_static_selectorELNS0_4arch9wavefront6targetE1EEEvT1_, .Lfunc_end4376-_ZN7rocprim17ROCPRIM_400000_NS6detail17trampoline_kernelINS0_14default_configENS1_20scan_config_selectorIfEEZZNS1_9scan_implILNS1_25lookback_scan_determinismE0ELb1ELb1ES3_N6thrust23THRUST_200600_302600_NS6detail15normal_iteratorINS9_10device_ptrIfEEEESE_fNS9_4plusIvEEfEEDaPvRmT3_T4_T5_mT6_P12ihipStream_tbENKUlT_T0_E_clISt17integral_constantIbLb1EESU_EEDaSP_SQ_EUlSP_E_NS1_11comp_targetILNS1_3genE0ELNS1_11target_archE4294967295ELNS1_3gpuE0ELNS1_3repE0EEENS1_30default_config_static_selectorELNS0_4arch9wavefront6targetE1EEEvT1_
                                        ; -- End function
	.section	.AMDGPU.csdata,"",@progbits
; Kernel info:
; codeLenInByte = 0
; NumSgprs: 4
; NumVgprs: 0
; NumAgprs: 0
; TotalNumVgprs: 0
; ScratchSize: 0
; MemoryBound: 0
; FloatMode: 240
; IeeeMode: 1
; LDSByteSize: 0 bytes/workgroup (compile time only)
; SGPRBlocks: 0
; VGPRBlocks: 0
; NumSGPRsForWavesPerEU: 4
; NumVGPRsForWavesPerEU: 1
; AccumOffset: 4
; Occupancy: 8
; WaveLimiterHint : 0
; COMPUTE_PGM_RSRC2:SCRATCH_EN: 0
; COMPUTE_PGM_RSRC2:USER_SGPR: 6
; COMPUTE_PGM_RSRC2:TRAP_HANDLER: 0
; COMPUTE_PGM_RSRC2:TGID_X_EN: 1
; COMPUTE_PGM_RSRC2:TGID_Y_EN: 0
; COMPUTE_PGM_RSRC2:TGID_Z_EN: 0
; COMPUTE_PGM_RSRC2:TIDIG_COMP_CNT: 0
; COMPUTE_PGM_RSRC3_GFX90A:ACCUM_OFFSET: 0
; COMPUTE_PGM_RSRC3_GFX90A:TG_SPLIT: 0
	.section	.text._ZN7rocprim17ROCPRIM_400000_NS6detail17trampoline_kernelINS0_14default_configENS1_20scan_config_selectorIfEEZZNS1_9scan_implILNS1_25lookback_scan_determinismE0ELb1ELb1ES3_N6thrust23THRUST_200600_302600_NS6detail15normal_iteratorINS9_10device_ptrIfEEEESE_fNS9_4plusIvEEfEEDaPvRmT3_T4_T5_mT6_P12ihipStream_tbENKUlT_T0_E_clISt17integral_constantIbLb1EESU_EEDaSP_SQ_EUlSP_E_NS1_11comp_targetILNS1_3genE5ELNS1_11target_archE942ELNS1_3gpuE9ELNS1_3repE0EEENS1_30default_config_static_selectorELNS0_4arch9wavefront6targetE1EEEvT1_,"axG",@progbits,_ZN7rocprim17ROCPRIM_400000_NS6detail17trampoline_kernelINS0_14default_configENS1_20scan_config_selectorIfEEZZNS1_9scan_implILNS1_25lookback_scan_determinismE0ELb1ELb1ES3_N6thrust23THRUST_200600_302600_NS6detail15normal_iteratorINS9_10device_ptrIfEEEESE_fNS9_4plusIvEEfEEDaPvRmT3_T4_T5_mT6_P12ihipStream_tbENKUlT_T0_E_clISt17integral_constantIbLb1EESU_EEDaSP_SQ_EUlSP_E_NS1_11comp_targetILNS1_3genE5ELNS1_11target_archE942ELNS1_3gpuE9ELNS1_3repE0EEENS1_30default_config_static_selectorELNS0_4arch9wavefront6targetE1EEEvT1_,comdat
	.protected	_ZN7rocprim17ROCPRIM_400000_NS6detail17trampoline_kernelINS0_14default_configENS1_20scan_config_selectorIfEEZZNS1_9scan_implILNS1_25lookback_scan_determinismE0ELb1ELb1ES3_N6thrust23THRUST_200600_302600_NS6detail15normal_iteratorINS9_10device_ptrIfEEEESE_fNS9_4plusIvEEfEEDaPvRmT3_T4_T5_mT6_P12ihipStream_tbENKUlT_T0_E_clISt17integral_constantIbLb1EESU_EEDaSP_SQ_EUlSP_E_NS1_11comp_targetILNS1_3genE5ELNS1_11target_archE942ELNS1_3gpuE9ELNS1_3repE0EEENS1_30default_config_static_selectorELNS0_4arch9wavefront6targetE1EEEvT1_ ; -- Begin function _ZN7rocprim17ROCPRIM_400000_NS6detail17trampoline_kernelINS0_14default_configENS1_20scan_config_selectorIfEEZZNS1_9scan_implILNS1_25lookback_scan_determinismE0ELb1ELb1ES3_N6thrust23THRUST_200600_302600_NS6detail15normal_iteratorINS9_10device_ptrIfEEEESE_fNS9_4plusIvEEfEEDaPvRmT3_T4_T5_mT6_P12ihipStream_tbENKUlT_T0_E_clISt17integral_constantIbLb1EESU_EEDaSP_SQ_EUlSP_E_NS1_11comp_targetILNS1_3genE5ELNS1_11target_archE942ELNS1_3gpuE9ELNS1_3repE0EEENS1_30default_config_static_selectorELNS0_4arch9wavefront6targetE1EEEvT1_
	.globl	_ZN7rocprim17ROCPRIM_400000_NS6detail17trampoline_kernelINS0_14default_configENS1_20scan_config_selectorIfEEZZNS1_9scan_implILNS1_25lookback_scan_determinismE0ELb1ELb1ES3_N6thrust23THRUST_200600_302600_NS6detail15normal_iteratorINS9_10device_ptrIfEEEESE_fNS9_4plusIvEEfEEDaPvRmT3_T4_T5_mT6_P12ihipStream_tbENKUlT_T0_E_clISt17integral_constantIbLb1EESU_EEDaSP_SQ_EUlSP_E_NS1_11comp_targetILNS1_3genE5ELNS1_11target_archE942ELNS1_3gpuE9ELNS1_3repE0EEENS1_30default_config_static_selectorELNS0_4arch9wavefront6targetE1EEEvT1_
	.p2align	8
	.type	_ZN7rocprim17ROCPRIM_400000_NS6detail17trampoline_kernelINS0_14default_configENS1_20scan_config_selectorIfEEZZNS1_9scan_implILNS1_25lookback_scan_determinismE0ELb1ELb1ES3_N6thrust23THRUST_200600_302600_NS6detail15normal_iteratorINS9_10device_ptrIfEEEESE_fNS9_4plusIvEEfEEDaPvRmT3_T4_T5_mT6_P12ihipStream_tbENKUlT_T0_E_clISt17integral_constantIbLb1EESU_EEDaSP_SQ_EUlSP_E_NS1_11comp_targetILNS1_3genE5ELNS1_11target_archE942ELNS1_3gpuE9ELNS1_3repE0EEENS1_30default_config_static_selectorELNS0_4arch9wavefront6targetE1EEEvT1_,@function
_ZN7rocprim17ROCPRIM_400000_NS6detail17trampoline_kernelINS0_14default_configENS1_20scan_config_selectorIfEEZZNS1_9scan_implILNS1_25lookback_scan_determinismE0ELb1ELb1ES3_N6thrust23THRUST_200600_302600_NS6detail15normal_iteratorINS9_10device_ptrIfEEEESE_fNS9_4plusIvEEfEEDaPvRmT3_T4_T5_mT6_P12ihipStream_tbENKUlT_T0_E_clISt17integral_constantIbLb1EESU_EEDaSP_SQ_EUlSP_E_NS1_11comp_targetILNS1_3genE5ELNS1_11target_archE942ELNS1_3gpuE9ELNS1_3repE0EEENS1_30default_config_static_selectorELNS0_4arch9wavefront6targetE1EEEvT1_: ; @_ZN7rocprim17ROCPRIM_400000_NS6detail17trampoline_kernelINS0_14default_configENS1_20scan_config_selectorIfEEZZNS1_9scan_implILNS1_25lookback_scan_determinismE0ELb1ELb1ES3_N6thrust23THRUST_200600_302600_NS6detail15normal_iteratorINS9_10device_ptrIfEEEESE_fNS9_4plusIvEEfEEDaPvRmT3_T4_T5_mT6_P12ihipStream_tbENKUlT_T0_E_clISt17integral_constantIbLb1EESU_EEDaSP_SQ_EUlSP_E_NS1_11comp_targetILNS1_3genE5ELNS1_11target_archE942ELNS1_3gpuE9ELNS1_3repE0EEENS1_30default_config_static_selectorELNS0_4arch9wavefront6targetE1EEEvT1_
; %bb.0:
	.section	.rodata,"a",@progbits
	.p2align	6, 0x0
	.amdhsa_kernel _ZN7rocprim17ROCPRIM_400000_NS6detail17trampoline_kernelINS0_14default_configENS1_20scan_config_selectorIfEEZZNS1_9scan_implILNS1_25lookback_scan_determinismE0ELb1ELb1ES3_N6thrust23THRUST_200600_302600_NS6detail15normal_iteratorINS9_10device_ptrIfEEEESE_fNS9_4plusIvEEfEEDaPvRmT3_T4_T5_mT6_P12ihipStream_tbENKUlT_T0_E_clISt17integral_constantIbLb1EESU_EEDaSP_SQ_EUlSP_E_NS1_11comp_targetILNS1_3genE5ELNS1_11target_archE942ELNS1_3gpuE9ELNS1_3repE0EEENS1_30default_config_static_selectorELNS0_4arch9wavefront6targetE1EEEvT1_
		.amdhsa_group_segment_fixed_size 0
		.amdhsa_private_segment_fixed_size 0
		.amdhsa_kernarg_size 96
		.amdhsa_user_sgpr_count 6
		.amdhsa_user_sgpr_private_segment_buffer 1
		.amdhsa_user_sgpr_dispatch_ptr 0
		.amdhsa_user_sgpr_queue_ptr 0
		.amdhsa_user_sgpr_kernarg_segment_ptr 1
		.amdhsa_user_sgpr_dispatch_id 0
		.amdhsa_user_sgpr_flat_scratch_init 0
		.amdhsa_user_sgpr_kernarg_preload_length 0
		.amdhsa_user_sgpr_kernarg_preload_offset 0
		.amdhsa_user_sgpr_private_segment_size 0
		.amdhsa_uses_dynamic_stack 0
		.amdhsa_system_sgpr_private_segment_wavefront_offset 0
		.amdhsa_system_sgpr_workgroup_id_x 1
		.amdhsa_system_sgpr_workgroup_id_y 0
		.amdhsa_system_sgpr_workgroup_id_z 0
		.amdhsa_system_sgpr_workgroup_info 0
		.amdhsa_system_vgpr_workitem_id 0
		.amdhsa_next_free_vgpr 1
		.amdhsa_next_free_sgpr 0
		.amdhsa_accum_offset 4
		.amdhsa_reserve_vcc 0
		.amdhsa_reserve_flat_scratch 0
		.amdhsa_float_round_mode_32 0
		.amdhsa_float_round_mode_16_64 0
		.amdhsa_float_denorm_mode_32 3
		.amdhsa_float_denorm_mode_16_64 3
		.amdhsa_dx10_clamp 1
		.amdhsa_ieee_mode 1
		.amdhsa_fp16_overflow 0
		.amdhsa_tg_split 0
		.amdhsa_exception_fp_ieee_invalid_op 0
		.amdhsa_exception_fp_denorm_src 0
		.amdhsa_exception_fp_ieee_div_zero 0
		.amdhsa_exception_fp_ieee_overflow 0
		.amdhsa_exception_fp_ieee_underflow 0
		.amdhsa_exception_fp_ieee_inexact 0
		.amdhsa_exception_int_div_zero 0
	.end_amdhsa_kernel
	.section	.text._ZN7rocprim17ROCPRIM_400000_NS6detail17trampoline_kernelINS0_14default_configENS1_20scan_config_selectorIfEEZZNS1_9scan_implILNS1_25lookback_scan_determinismE0ELb1ELb1ES3_N6thrust23THRUST_200600_302600_NS6detail15normal_iteratorINS9_10device_ptrIfEEEESE_fNS9_4plusIvEEfEEDaPvRmT3_T4_T5_mT6_P12ihipStream_tbENKUlT_T0_E_clISt17integral_constantIbLb1EESU_EEDaSP_SQ_EUlSP_E_NS1_11comp_targetILNS1_3genE5ELNS1_11target_archE942ELNS1_3gpuE9ELNS1_3repE0EEENS1_30default_config_static_selectorELNS0_4arch9wavefront6targetE1EEEvT1_,"axG",@progbits,_ZN7rocprim17ROCPRIM_400000_NS6detail17trampoline_kernelINS0_14default_configENS1_20scan_config_selectorIfEEZZNS1_9scan_implILNS1_25lookback_scan_determinismE0ELb1ELb1ES3_N6thrust23THRUST_200600_302600_NS6detail15normal_iteratorINS9_10device_ptrIfEEEESE_fNS9_4plusIvEEfEEDaPvRmT3_T4_T5_mT6_P12ihipStream_tbENKUlT_T0_E_clISt17integral_constantIbLb1EESU_EEDaSP_SQ_EUlSP_E_NS1_11comp_targetILNS1_3genE5ELNS1_11target_archE942ELNS1_3gpuE9ELNS1_3repE0EEENS1_30default_config_static_selectorELNS0_4arch9wavefront6targetE1EEEvT1_,comdat
.Lfunc_end4377:
	.size	_ZN7rocprim17ROCPRIM_400000_NS6detail17trampoline_kernelINS0_14default_configENS1_20scan_config_selectorIfEEZZNS1_9scan_implILNS1_25lookback_scan_determinismE0ELb1ELb1ES3_N6thrust23THRUST_200600_302600_NS6detail15normal_iteratorINS9_10device_ptrIfEEEESE_fNS9_4plusIvEEfEEDaPvRmT3_T4_T5_mT6_P12ihipStream_tbENKUlT_T0_E_clISt17integral_constantIbLb1EESU_EEDaSP_SQ_EUlSP_E_NS1_11comp_targetILNS1_3genE5ELNS1_11target_archE942ELNS1_3gpuE9ELNS1_3repE0EEENS1_30default_config_static_selectorELNS0_4arch9wavefront6targetE1EEEvT1_, .Lfunc_end4377-_ZN7rocprim17ROCPRIM_400000_NS6detail17trampoline_kernelINS0_14default_configENS1_20scan_config_selectorIfEEZZNS1_9scan_implILNS1_25lookback_scan_determinismE0ELb1ELb1ES3_N6thrust23THRUST_200600_302600_NS6detail15normal_iteratorINS9_10device_ptrIfEEEESE_fNS9_4plusIvEEfEEDaPvRmT3_T4_T5_mT6_P12ihipStream_tbENKUlT_T0_E_clISt17integral_constantIbLb1EESU_EEDaSP_SQ_EUlSP_E_NS1_11comp_targetILNS1_3genE5ELNS1_11target_archE942ELNS1_3gpuE9ELNS1_3repE0EEENS1_30default_config_static_selectorELNS0_4arch9wavefront6targetE1EEEvT1_
                                        ; -- End function
	.section	.AMDGPU.csdata,"",@progbits
; Kernel info:
; codeLenInByte = 0
; NumSgprs: 4
; NumVgprs: 0
; NumAgprs: 0
; TotalNumVgprs: 0
; ScratchSize: 0
; MemoryBound: 0
; FloatMode: 240
; IeeeMode: 1
; LDSByteSize: 0 bytes/workgroup (compile time only)
; SGPRBlocks: 0
; VGPRBlocks: 0
; NumSGPRsForWavesPerEU: 4
; NumVGPRsForWavesPerEU: 1
; AccumOffset: 4
; Occupancy: 8
; WaveLimiterHint : 0
; COMPUTE_PGM_RSRC2:SCRATCH_EN: 0
; COMPUTE_PGM_RSRC2:USER_SGPR: 6
; COMPUTE_PGM_RSRC2:TRAP_HANDLER: 0
; COMPUTE_PGM_RSRC2:TGID_X_EN: 1
; COMPUTE_PGM_RSRC2:TGID_Y_EN: 0
; COMPUTE_PGM_RSRC2:TGID_Z_EN: 0
; COMPUTE_PGM_RSRC2:TIDIG_COMP_CNT: 0
; COMPUTE_PGM_RSRC3_GFX90A:ACCUM_OFFSET: 0
; COMPUTE_PGM_RSRC3_GFX90A:TG_SPLIT: 0
	.section	.text._ZN7rocprim17ROCPRIM_400000_NS6detail17trampoline_kernelINS0_14default_configENS1_20scan_config_selectorIfEEZZNS1_9scan_implILNS1_25lookback_scan_determinismE0ELb1ELb1ES3_N6thrust23THRUST_200600_302600_NS6detail15normal_iteratorINS9_10device_ptrIfEEEESE_fNS9_4plusIvEEfEEDaPvRmT3_T4_T5_mT6_P12ihipStream_tbENKUlT_T0_E_clISt17integral_constantIbLb1EESU_EEDaSP_SQ_EUlSP_E_NS1_11comp_targetILNS1_3genE4ELNS1_11target_archE910ELNS1_3gpuE8ELNS1_3repE0EEENS1_30default_config_static_selectorELNS0_4arch9wavefront6targetE1EEEvT1_,"axG",@progbits,_ZN7rocprim17ROCPRIM_400000_NS6detail17trampoline_kernelINS0_14default_configENS1_20scan_config_selectorIfEEZZNS1_9scan_implILNS1_25lookback_scan_determinismE0ELb1ELb1ES3_N6thrust23THRUST_200600_302600_NS6detail15normal_iteratorINS9_10device_ptrIfEEEESE_fNS9_4plusIvEEfEEDaPvRmT3_T4_T5_mT6_P12ihipStream_tbENKUlT_T0_E_clISt17integral_constantIbLb1EESU_EEDaSP_SQ_EUlSP_E_NS1_11comp_targetILNS1_3genE4ELNS1_11target_archE910ELNS1_3gpuE8ELNS1_3repE0EEENS1_30default_config_static_selectorELNS0_4arch9wavefront6targetE1EEEvT1_,comdat
	.protected	_ZN7rocprim17ROCPRIM_400000_NS6detail17trampoline_kernelINS0_14default_configENS1_20scan_config_selectorIfEEZZNS1_9scan_implILNS1_25lookback_scan_determinismE0ELb1ELb1ES3_N6thrust23THRUST_200600_302600_NS6detail15normal_iteratorINS9_10device_ptrIfEEEESE_fNS9_4plusIvEEfEEDaPvRmT3_T4_T5_mT6_P12ihipStream_tbENKUlT_T0_E_clISt17integral_constantIbLb1EESU_EEDaSP_SQ_EUlSP_E_NS1_11comp_targetILNS1_3genE4ELNS1_11target_archE910ELNS1_3gpuE8ELNS1_3repE0EEENS1_30default_config_static_selectorELNS0_4arch9wavefront6targetE1EEEvT1_ ; -- Begin function _ZN7rocprim17ROCPRIM_400000_NS6detail17trampoline_kernelINS0_14default_configENS1_20scan_config_selectorIfEEZZNS1_9scan_implILNS1_25lookback_scan_determinismE0ELb1ELb1ES3_N6thrust23THRUST_200600_302600_NS6detail15normal_iteratorINS9_10device_ptrIfEEEESE_fNS9_4plusIvEEfEEDaPvRmT3_T4_T5_mT6_P12ihipStream_tbENKUlT_T0_E_clISt17integral_constantIbLb1EESU_EEDaSP_SQ_EUlSP_E_NS1_11comp_targetILNS1_3genE4ELNS1_11target_archE910ELNS1_3gpuE8ELNS1_3repE0EEENS1_30default_config_static_selectorELNS0_4arch9wavefront6targetE1EEEvT1_
	.globl	_ZN7rocprim17ROCPRIM_400000_NS6detail17trampoline_kernelINS0_14default_configENS1_20scan_config_selectorIfEEZZNS1_9scan_implILNS1_25lookback_scan_determinismE0ELb1ELb1ES3_N6thrust23THRUST_200600_302600_NS6detail15normal_iteratorINS9_10device_ptrIfEEEESE_fNS9_4plusIvEEfEEDaPvRmT3_T4_T5_mT6_P12ihipStream_tbENKUlT_T0_E_clISt17integral_constantIbLb1EESU_EEDaSP_SQ_EUlSP_E_NS1_11comp_targetILNS1_3genE4ELNS1_11target_archE910ELNS1_3gpuE8ELNS1_3repE0EEENS1_30default_config_static_selectorELNS0_4arch9wavefront6targetE1EEEvT1_
	.p2align	8
	.type	_ZN7rocprim17ROCPRIM_400000_NS6detail17trampoline_kernelINS0_14default_configENS1_20scan_config_selectorIfEEZZNS1_9scan_implILNS1_25lookback_scan_determinismE0ELb1ELb1ES3_N6thrust23THRUST_200600_302600_NS6detail15normal_iteratorINS9_10device_ptrIfEEEESE_fNS9_4plusIvEEfEEDaPvRmT3_T4_T5_mT6_P12ihipStream_tbENKUlT_T0_E_clISt17integral_constantIbLb1EESU_EEDaSP_SQ_EUlSP_E_NS1_11comp_targetILNS1_3genE4ELNS1_11target_archE910ELNS1_3gpuE8ELNS1_3repE0EEENS1_30default_config_static_selectorELNS0_4arch9wavefront6targetE1EEEvT1_,@function
_ZN7rocprim17ROCPRIM_400000_NS6detail17trampoline_kernelINS0_14default_configENS1_20scan_config_selectorIfEEZZNS1_9scan_implILNS1_25lookback_scan_determinismE0ELb1ELb1ES3_N6thrust23THRUST_200600_302600_NS6detail15normal_iteratorINS9_10device_ptrIfEEEESE_fNS9_4plusIvEEfEEDaPvRmT3_T4_T5_mT6_P12ihipStream_tbENKUlT_T0_E_clISt17integral_constantIbLb1EESU_EEDaSP_SQ_EUlSP_E_NS1_11comp_targetILNS1_3genE4ELNS1_11target_archE910ELNS1_3gpuE8ELNS1_3repE0EEENS1_30default_config_static_selectorELNS0_4arch9wavefront6targetE1EEEvT1_: ; @_ZN7rocprim17ROCPRIM_400000_NS6detail17trampoline_kernelINS0_14default_configENS1_20scan_config_selectorIfEEZZNS1_9scan_implILNS1_25lookback_scan_determinismE0ELb1ELb1ES3_N6thrust23THRUST_200600_302600_NS6detail15normal_iteratorINS9_10device_ptrIfEEEESE_fNS9_4plusIvEEfEEDaPvRmT3_T4_T5_mT6_P12ihipStream_tbENKUlT_T0_E_clISt17integral_constantIbLb1EESU_EEDaSP_SQ_EUlSP_E_NS1_11comp_targetILNS1_3genE4ELNS1_11target_archE910ELNS1_3gpuE8ELNS1_3repE0EEENS1_30default_config_static_selectorELNS0_4arch9wavefront6targetE1EEEvT1_
; %bb.0:
	s_load_dword s37, s[4:5], 0x20
	s_load_dwordx2 s[14:15], s[4:5], 0x28
	v_cmp_ne_u32_e64 s[2:3], 0, v0
	v_cmp_eq_u32_e64 s[0:1], 0, v0
	s_and_saveexec_b64 s[6:7], s[0:1]
	s_cbranch_execz .LBB4378_4
; %bb.1:
	s_mov_b64 s[10:11], exec
	v_mbcnt_lo_u32_b32 v1, s10, 0
	v_mbcnt_hi_u32_b32 v1, s11, v1
	v_cmp_eq_u32_e32 vcc, 0, v1
                                        ; implicit-def: $vgpr2
	s_and_saveexec_b64 s[8:9], vcc
	s_cbranch_execz .LBB4378_3
; %bb.2:
	s_load_dwordx2 s[12:13], s[4:5], 0x58
	s_bcnt1_i32_b64 s10, s[10:11]
	v_mov_b32_e32 v2, 0
	v_mov_b32_e32 v3, s10
	s_waitcnt lgkmcnt(0)
	global_atomic_add v2, v2, v3, s[12:13] glc
.LBB4378_3:
	s_or_b64 exec, exec, s[8:9]
	s_waitcnt vmcnt(0)
	v_readfirstlane_b32 s8, v2
	v_add_u32_e32 v1, s8, v1
	v_mov_b32_e32 v2, 0
	ds_write_b32 v2, v1
.LBB4378_4:
	s_or_b64 exec, exec, s[6:7]
	s_load_dwordx8 s[24:31], s[4:5], 0x0
	s_load_dword s6, s[4:5], 0x30
	s_load_dwordx8 s[16:23], s[4:5], 0x38
	v_mov_b32_e32 v1, 0
	s_waitcnt lgkmcnt(0)
	s_barrier
	ds_read_b32 v1, v1
	s_lshl_b64 s[26:27], s[26:27], 2
	s_add_u32 s38, s24, s26
	s_addc_u32 s39, s25, s27
	s_add_i32 s6, s6, -1
	s_mul_i32 s7, s6, 0x700
	s_sub_u32 s33, s30, s7
	s_waitcnt lgkmcnt(0)
	v_readfirstlane_b32 s40, v1
	s_subb_u32 s36, s31, 0
	s_mul_i32 s4, s40, 0x700
	s_mov_b32 s5, 0
	s_cmp_lg_u32 s40, s6
	s_cselect_b64 s[24:25], -1, 0
	s_lshl_b64 s[30:31], s[4:5], 2
	s_add_u32 s6, s38, s30
	s_addc_u32 s7, s39, s31
	s_mov_b64 s[4:5], -1
	s_and_b64 vcc, exec, s[24:25]
	v_lshlrev_b32_e32 v32, 2, v0
	s_barrier
	s_cbranch_vccz .LBB4378_6
; %bb.5:
	v_mov_b32_e32 v1, s7
	v_add_co_u32_e32 v2, vcc, s6, v32
	v_addc_co_u32_e32 v3, vcc, 0, v1, vcc
	flat_load_dword v1, v[2:3]
	flat_load_dword v4, v[2:3] offset:512
	flat_load_dword v5, v[2:3] offset:1024
	;; [unrolled: 1-line block ×7, first 2 shown]
	v_add_co_u32_e32 v2, vcc, 0x1000, v2
	v_addc_co_u32_e32 v3, vcc, 0, v3, vcc
	flat_load_dword v11, v[2:3]
	flat_load_dword v12, v[2:3] offset:512
	flat_load_dword v13, v[2:3] offset:1024
	;; [unrolled: 1-line block ×5, first 2 shown]
	s_mov_b64 s[4:5], 0
	s_waitcnt vmcnt(0) lgkmcnt(0)
	ds_write2st64_b32 v32, v1, v4 offset1:2
	ds_write2st64_b32 v32, v5, v6 offset0:4 offset1:6
	ds_write2st64_b32 v32, v7, v8 offset0:8 offset1:10
	;; [unrolled: 1-line block ×6, first 2 shown]
	s_waitcnt lgkmcnt(0)
	s_barrier
.LBB4378_6:
	s_andn2_b64 vcc, exec, s[4:5]
	v_cmp_gt_u32_e64 s[4:5], s33, v0
	s_cbranch_vccnz .LBB4378_36
; %bb.7:
	v_pk_mov_b32 v[2:3], s[6:7], s[6:7] op_sel:[0,1]
	flat_load_dword v1, v[2:3]
	s_waitcnt vmcnt(0) lgkmcnt(0)
	v_mov_b32_e32 v2, v1
	v_mov_b32_e32 v3, v1
	;; [unrolled: 1-line block ×12, first 2 shown]
	v_pk_mov_b32 v[16:17], v[14:15], v[14:15] op_sel:[0,1]
	v_pk_mov_b32 v[14:15], v[12:13], v[12:13] op_sel:[0,1]
	;; [unrolled: 1-line block ×8, first 2 shown]
	s_and_saveexec_b64 s[8:9], s[4:5]
	s_cbranch_execz .LBB4378_9
; %bb.8:
	v_mov_b32_e32 v3, s7
	v_add_co_u32_e32 v2, vcc, s6, v32
	v_addc_co_u32_e32 v3, vcc, 0, v3, vcc
	flat_load_dword v18, v[2:3]
	v_mov_b32_e32 v2, v1
	v_mov_b32_e32 v3, v1
	;; [unrolled: 1-line block ×12, first 2 shown]
	v_pk_mov_b32 v[16:17], v[14:15], v[14:15] op_sel:[0,1]
	v_pk_mov_b32 v[14:15], v[12:13], v[12:13] op_sel:[0,1]
	;; [unrolled: 1-line block ×8, first 2 shown]
	s_waitcnt vmcnt(0) lgkmcnt(0)
	v_mov_b32_e32 v1, v18
.LBB4378_9:
	s_or_b64 exec, exec, s[8:9]
	v_or_b32_e32 v2, 0x80, v0
	v_cmp_gt_u32_e32 vcc, s33, v2
	s_and_saveexec_b64 s[4:5], vcc
	s_cbranch_execz .LBB4378_11
; %bb.10:
	v_mov_b32_e32 v3, s7
	v_add_co_u32_e32 v2, vcc, s6, v32
	v_addc_co_u32_e32 v3, vcc, 0, v3, vcc
	flat_load_dword v3, v[2:3] offset:512
.LBB4378_11:
	s_or_b64 exec, exec, s[4:5]
	v_or_b32_e32 v2, 0x100, v0
	v_cmp_gt_u32_e32 vcc, s33, v2
	s_and_saveexec_b64 s[4:5], vcc
	s_cbranch_execz .LBB4378_13
; %bb.12:
	v_mov_b32_e32 v2, s7
	v_add_co_u32_e32 v16, vcc, s6, v32
	v_addc_co_u32_e32 v17, vcc, 0, v2, vcc
	flat_load_dword v4, v[16:17] offset:1024
.LBB4378_13:
	;; [unrolled: 11-line block ×7, first 2 shown]
	s_or_b64 exec, exec, s[4:5]
	v_or_b32_e32 v2, 0x400, v0
	v_cmp_gt_u32_e32 vcc, s33, v2
	s_and_saveexec_b64 s[4:5], vcc
	s_cbranch_execz .LBB4378_25
; %bb.24:
	v_lshlrev_b32_e32 v2, 2, v2
	v_mov_b32_e32 v10, s7
	v_add_co_u32_e32 v16, vcc, s6, v2
	v_addc_co_u32_e32 v17, vcc, 0, v10, vcc
	flat_load_dword v10, v[16:17]
.LBB4378_25:
	s_or_b64 exec, exec, s[4:5]
	v_or_b32_e32 v2, 0x480, v0
	v_cmp_gt_u32_e32 vcc, s33, v2
	s_and_saveexec_b64 s[4:5], vcc
	s_cbranch_execz .LBB4378_27
; %bb.26:
	v_lshlrev_b32_e32 v2, 2, v2
	v_mov_b32_e32 v11, s7
	v_add_co_u32_e32 v16, vcc, s6, v2
	v_addc_co_u32_e32 v17, vcc, 0, v11, vcc
	flat_load_dword v11, v[16:17]
.LBB4378_27:
	;; [unrolled: 12-line block ×6, first 2 shown]
	s_or_b64 exec, exec, s[4:5]
	s_waitcnt vmcnt(0) lgkmcnt(0)
	ds_write2st64_b32 v32, v1, v3 offset1:2
	ds_write2st64_b32 v32, v4, v5 offset0:4 offset1:6
	ds_write2st64_b32 v32, v6, v7 offset0:8 offset1:10
	;; [unrolled: 1-line block ×6, first 2 shown]
	s_waitcnt lgkmcnt(0)
	s_barrier
.LBB4378_36:
	v_mul_u32_u24_e32 v33, 14, v0
	v_lshlrev_b32_e32 v34, 2, v33
	ds_read2_b64 v[26:29], v34 offset1:1
	ds_read2_b64 v[22:25], v34 offset0:2 offset1:3
	ds_read2_b64 v[18:21], v34 offset0:4 offset1:5
	ds_read_b64 v[30:31], v34 offset:48
	s_cmp_lg_u32 s40, 0
	s_waitcnt lgkmcnt(3)
	v_add_f32_e32 v35, v26, v27
	v_lshrrev_b32_e32 v1, 5, v0
	v_cmp_gt_u32_e32 vcc, 64, v0
	s_waitcnt lgkmcnt(0)
	s_barrier
	s_cbranch_scc0 .LBB4378_65
; %bb.37:
	v_add_f32_e32 v2, v28, v35
	v_add_f32_e32 v2, v29, v2
	;; [unrolled: 1-line block ×12, first 2 shown]
	v_add_lshl_u32 v2, v1, v0, 2
	ds_write_b32 v2, v12
	s_waitcnt lgkmcnt(0)
	s_barrier
	s_and_saveexec_b64 s[10:11], vcc
	s_cbranch_execz .LBB4378_39
; %bb.38:
	v_lshlrev_b32_e32 v2, 1, v0
	v_lshrrev_b32_e32 v3, 4, v0
	v_add_lshl_u32 v4, v3, v2, 2
	ds_read2_b32 v[2:3], v4 offset1:1
	v_mbcnt_lo_u32_b32 v5, -1, 0
	v_mbcnt_hi_u32_b32 v5, -1, v5
	v_and_b32_e32 v6, 15, v5
	v_cmp_eq_u32_e64 s[4:5], 0, v6
	s_waitcnt lgkmcnt(0)
	v_add_f32_e32 v3, v2, v3
	v_cmp_lt_u32_e64 s[6:7], 3, v6
	v_cmp_lt_u32_e64 s[8:9], 31, v5
	v_mov_b32_dpp v7, v3 row_shr:1 row_mask:0xf bank_mask:0xf
	v_add_f32_e32 v7, v3, v7
	v_cndmask_b32_e64 v3, v7, v3, s[4:5]
	v_cmp_lt_u32_e64 s[4:5], 1, v6
	s_nop 0
	v_mov_b32_dpp v7, v3 row_shr:2 row_mask:0xf bank_mask:0xf
	v_add_f32_e32 v7, v3, v7
	v_cndmask_b32_e64 v7, v3, v7, s[4:5]
	; wave barrier
	s_nop 1
	v_mov_b32_dpp v8, v7 row_shr:4 row_mask:0xf bank_mask:0xf
	v_add_f32_e32 v8, v7, v8
	v_cndmask_b32_e64 v7, v7, v8, s[6:7]
	v_cmp_lt_u32_e64 s[6:7], 7, v6
	s_nop 0
	v_mov_b32_dpp v8, v7 row_shr:8 row_mask:0xf bank_mask:0xf
	v_add_f32_e32 v8, v7, v8
	v_cndmask_b32_e64 v6, v7, v8, s[6:7]
	v_and_b32_e32 v8, 16, v5
	v_cmp_eq_u32_e64 s[6:7], 0, v8
	v_mov_b32_dpp v7, v6 row_bcast:15 row_mask:0xf bank_mask:0xf
	v_add_f32_e32 v7, v6, v7
	v_cndmask_b32_e64 v6, v7, v6, s[6:7]
	v_cmp_lt_u32_e64 s[6:7], 15, v5
	s_or_b64 s[4:5], s[6:7], s[4:5]
	v_mov_b32_dpp v7, v6 row_bcast:31 row_mask:0xf bank_mask:0xf
	v_add_f32_e32 v7, v6, v7
	v_cndmask_b32_e64 v6, v6, v7, s[8:9]
	v_cndmask_b32_e64 v3, v3, v6, s[4:5]
	v_add_u32_e32 v6, -1, v5
	v_and_b32_e32 v7, 64, v5
	v_cmp_lt_i32_e64 s[4:5], v6, v7
	v_cndmask_b32_e64 v5, v6, v5, s[4:5]
	v_lshlrev_b32_e32 v5, 2, v5
	ds_bpermute_b32 v3, v5, v3
	s_waitcnt lgkmcnt(0)
	v_add_f32_e32 v2, v2, v3
	v_cndmask_b32_e64 v2, v2, v12, s[0:1]
	ds_write_b32 v4, v2
	; wave barrier
	ds_read_b32 v3, v4 offset:4
	s_waitcnt lgkmcnt(0)
	v_add_f32_e32 v2, v2, v3
	ds_write_b32 v4, v2 offset:4
.LBB4378_39:
	s_or_b64 exec, exec, s[10:11]
	s_waitcnt lgkmcnt(0)
	s_barrier
	s_and_saveexec_b64 s[4:5], s[2:3]
	s_cbranch_execz .LBB4378_41
; %bb.40:
	v_add_u32_e32 v2, -1, v0
	v_lshrrev_b32_e32 v3, 5, v2
	v_add_lshl_u32 v2, v3, v2, 2
	ds_read_b32 v12, v2
.LBB4378_41:
	s_or_b64 exec, exec, s[4:5]
	s_and_saveexec_b64 s[34:35], vcc
	s_cbranch_execz .LBB4378_64
; %bb.42:
	v_mov_b32_e32 v11, 0
	ds_read_b32 v2, v11 offset:520
	v_mbcnt_lo_u32_b32 v3, -1, 0
	v_mbcnt_hi_u32_b32 v5, -1, v3
	s_mov_b32 s9, 0
	v_cmp_eq_u32_e64 s[4:5], 0, v5
	s_and_saveexec_b64 s[6:7], s[4:5]
	s_cbranch_execz .LBB4378_44
; %bb.43:
	s_add_i32 s8, s40, 64
	s_lshl_b64 s[8:9], s[8:9], 3
	s_add_u32 s8, s14, s8
	v_mov_b32_e32 v3, 1
	s_addc_u32 s9, s15, s9
	s_waitcnt lgkmcnt(0)
	global_store_dwordx2 v11, v[2:3], s[8:9]
.LBB4378_44:
	s_or_b64 exec, exec, s[6:7]
	v_xad_u32 v4, v5, -1, s40
	v_add_u32_e32 v10, 64, v4
	v_lshlrev_b64 v[6:7], 3, v[10:11]
	v_mov_b32_e32 v3, s15
	v_add_co_u32_e32 v6, vcc, s14, v6
	v_addc_co_u32_e32 v7, vcc, v3, v7, vcc
	global_load_dwordx2 v[8:9], v[6:7], off glc
	s_waitcnt vmcnt(0)
	v_cmp_eq_u16_sdwa s[8:9], v9, v11 src0_sel:BYTE_0 src1_sel:DWORD
	s_and_saveexec_b64 s[6:7], s[8:9]
	s_cbranch_execz .LBB4378_50
; %bb.45:
	s_mov_b32 s10, 1
	s_mov_b64 s[8:9], 0
	v_mov_b32_e32 v3, 0
.LBB4378_46:                            ; =>This Loop Header: Depth=1
                                        ;     Child Loop BB4378_47 Depth 2
	s_max_u32 s11, s10, 1
.LBB4378_47:                            ;   Parent Loop BB4378_46 Depth=1
                                        ; =>  This Inner Loop Header: Depth=2
	s_add_i32 s11, s11, -1
	s_cmp_eq_u32 s11, 0
	s_sleep 1
	s_cbranch_scc0 .LBB4378_47
; %bb.48:                               ;   in Loop: Header=BB4378_46 Depth=1
	global_load_dwordx2 v[8:9], v[6:7], off glc
	s_cmp_lt_u32 s10, 32
	s_cselect_b64 s[12:13], -1, 0
	s_cmp_lg_u64 s[12:13], 0
	s_addc_u32 s10, s10, 0
	s_waitcnt vmcnt(0)
	v_cmp_ne_u16_sdwa s[12:13], v9, v3 src0_sel:BYTE_0 src1_sel:DWORD
	s_or_b64 s[8:9], s[12:13], s[8:9]
	s_andn2_b64 exec, exec, s[8:9]
	s_cbranch_execnz .LBB4378_46
; %bb.49:
	s_or_b64 exec, exec, s[8:9]
.LBB4378_50:
	s_or_b64 exec, exec, s[6:7]
	v_and_b32_e32 v13, 63, v5
	v_cmp_ne_u32_e32 vcc, 63, v13
	v_addc_co_u32_e32 v14, vcc, 0, v5, vcc
	v_mov_b32_e32 v3, 2
	v_lshlrev_b32_e32 v14, 2, v14
	v_cmp_eq_u16_sdwa s[6:7], v9, v3 src0_sel:BYTE_0 src1_sel:DWORD
	v_lshlrev_b64 v[6:7], v5, -1
	ds_bpermute_b32 v15, v14, v8
	v_and_b32_e32 v10, s7, v7
	v_or_b32_e32 v10, 0x80000000, v10
	v_and_b32_e32 v11, s6, v6
	v_ffbl_b32_e32 v10, v10
	v_add_u32_e32 v10, 32, v10
	v_ffbl_b32_e32 v11, v11
	v_cmp_gt_u32_e64 s[6:7], 62, v13
	v_min_u32_e32 v10, v11, v10
	s_waitcnt lgkmcnt(0)
	v_add_f32_e32 v11, v8, v15
	v_cndmask_b32_e64 v15, 0, 1, s[6:7]
	v_cmp_lt_u32_e32 vcc, v13, v10
	v_lshlrev_b32_e32 v15, 1, v15
	v_cndmask_b32_e32 v11, v8, v11, vcc
	v_add_lshl_u32 v15, v15, v5, 2
	ds_bpermute_b32 v17, v15, v11
	v_add_u32_e32 v16, 2, v13
	v_cmp_gt_u32_e64 s[6:7], v16, v10
	v_cmp_gt_u32_e64 s[8:9], 56, v13
	v_add_u32_e32 v36, 4, v13
	s_waitcnt lgkmcnt(0)
	v_add_f32_e32 v17, v11, v17
	v_cndmask_b32_e64 v11, v17, v11, s[6:7]
	v_cmp_gt_u32_e64 s[6:7], 60, v13
	v_cndmask_b32_e64 v17, 0, 1, s[6:7]
	v_lshlrev_b32_e32 v17, 2, v17
	v_add_lshl_u32 v17, v17, v5, 2
	ds_bpermute_b32 v37, v17, v11
	v_cmp_gt_u32_e64 s[6:7], v36, v10
	v_add_u32_e32 v38, 8, v13
	v_cmp_gt_u32_e64 s[10:11], 48, v13
	v_cmp_gt_u32_e64 s[12:13], 32, v13
	s_waitcnt lgkmcnt(0)
	v_add_f32_e32 v41, v11, v37
	v_cndmask_b32_e64 v37, 0, 1, s[8:9]
	v_lshlrev_b32_e32 v37, 3, v37
	v_cndmask_b32_e64 v39, v41, v11, s[6:7]
	v_add_lshl_u32 v37, v37, v5, 2
	ds_bpermute_b32 v40, v37, v39
	v_cmp_gt_u32_e64 s[8:9], v38, v10
	v_cndmask_b32_e32 v8, v8, v11, vcc
	v_cndmask_b32_e64 v8, v41, v8, s[6:7]
	s_waitcnt lgkmcnt(0)
	v_add_f32_e32 v44, v39, v40
	v_cndmask_b32_e64 v42, v44, v39, s[8:9]
	v_cndmask_b32_e64 v39, 0, 1, s[10:11]
	v_lshlrev_b32_e32 v39, 4, v39
	v_add_lshl_u32 v39, v39, v5, 2
	ds_bpermute_b32 v43, v39, v42
	v_add_u32_e32 v40, 16, v13
	v_cmp_gt_u32_e64 s[10:11], v40, v10
	v_cndmask_b32_e64 v8, v44, v8, s[8:9]
	s_waitcnt lgkmcnt(0)
	v_add_f32_e32 v45, v42, v43
	v_cndmask_b32_e64 v46, v45, v42, s[10:11]
	v_cndmask_b32_e64 v42, 0, 1, s[12:13]
	v_lshlrev_b32_e32 v42, 5, v42
	v_add_lshl_u32 v42, v42, v5, 2
	ds_bpermute_b32 v5, v42, v46
	v_add_u32_e32 v43, 32, v13
	v_cndmask_b32_e64 v8, v45, v8, s[10:11]
	v_cmp_gt_u32_e32 vcc, v43, v10
	s_waitcnt lgkmcnt(0)
	v_add_f32_e32 v5, v46, v5
	v_cndmask_b32_e32 v8, v5, v8, vcc
	v_mov_b32_e32 v5, 0
	s_branch .LBB4378_52
.LBB4378_51:                            ;   in Loop: Header=BB4378_52 Depth=1
	s_or_b64 exec, exec, s[6:7]
	v_cmp_eq_u16_sdwa s[6:7], v9, v3 src0_sel:BYTE_0 src1_sel:DWORD
	v_and_b32_e32 v10, s7, v7
	ds_bpermute_b32 v44, v14, v8
	v_or_b32_e32 v10, 0x80000000, v10
	v_and_b32_e32 v11, s6, v6
	v_ffbl_b32_e32 v10, v10
	v_add_u32_e32 v10, 32, v10
	v_ffbl_b32_e32 v11, v11
	v_min_u32_e32 v10, v11, v10
	s_waitcnt lgkmcnt(0)
	v_add_f32_e32 v11, v8, v44
	v_cmp_lt_u32_e32 vcc, v13, v10
	v_cndmask_b32_e32 v11, v8, v11, vcc
	ds_bpermute_b32 v44, v15, v11
	v_cmp_gt_u32_e64 s[6:7], v16, v10
	v_cmp_gt_u32_e64 s[8:9], v38, v10
	v_cmp_gt_u32_e64 s[10:11], v40, v10
	v_subrev_u32_e32 v4, 64, v4
	s_waitcnt lgkmcnt(0)
	v_add_f32_e32 v44, v11, v44
	v_cndmask_b32_e64 v11, v44, v11, s[6:7]
	ds_bpermute_b32 v44, v17, v11
	v_cmp_gt_u32_e64 s[6:7], v36, v10
	v_cndmask_b32_e32 v8, v8, v11, vcc
	v_cmp_gt_u32_e32 vcc, v43, v10
	s_waitcnt lgkmcnt(0)
	v_add_f32_e32 v44, v11, v44
	v_cndmask_b32_e64 v45, v44, v11, s[6:7]
	ds_bpermute_b32 v46, v37, v45
	v_cndmask_b32_e64 v8, v44, v8, s[6:7]
	s_waitcnt lgkmcnt(0)
	v_add_f32_e32 v46, v45, v46
	v_cndmask_b32_e64 v45, v46, v45, s[8:9]
	ds_bpermute_b32 v47, v39, v45
	v_cndmask_b32_e64 v8, v46, v8, s[8:9]
	;; [unrolled: 5-line block ×3, first 2 shown]
	s_waitcnt lgkmcnt(0)
	v_add_f32_e32 v11, v45, v48
	v_cndmask_b32_e32 v8, v11, v8, vcc
	v_add_f32_e32 v8, v41, v8
.LBB4378_52:                            ; =>This Loop Header: Depth=1
                                        ;     Child Loop BB4378_55 Depth 2
                                        ;       Child Loop BB4378_56 Depth 3
	v_cmp_ne_u16_sdwa s[6:7], v9, v3 src0_sel:BYTE_0 src1_sel:DWORD
	v_cndmask_b32_e64 v9, 0, 1, s[6:7]
	;;#ASMSTART
	;;#ASMEND
	v_cmp_ne_u32_e32 vcc, 0, v9
	s_cmp_lg_u64 vcc, exec
	v_mov_b32_e32 v41, v8
	s_cbranch_scc1 .LBB4378_59
; %bb.53:                               ;   in Loop: Header=BB4378_52 Depth=1
	v_lshlrev_b64 v[8:9], 3, v[4:5]
	v_mov_b32_e32 v11, s15
	v_add_co_u32_e32 v10, vcc, s14, v8
	v_addc_co_u32_e32 v11, vcc, v11, v9, vcc
	global_load_dwordx2 v[8:9], v[10:11], off glc
	s_waitcnt vmcnt(0)
	v_cmp_eq_u16_sdwa s[8:9], v9, v5 src0_sel:BYTE_0 src1_sel:DWORD
	s_and_saveexec_b64 s[6:7], s[8:9]
	s_cbranch_execz .LBB4378_51
; %bb.54:                               ;   in Loop: Header=BB4378_52 Depth=1
	s_mov_b32 s10, 1
	s_mov_b64 s[8:9], 0
.LBB4378_55:                            ;   Parent Loop BB4378_52 Depth=1
                                        ; =>  This Loop Header: Depth=2
                                        ;       Child Loop BB4378_56 Depth 3
	s_max_u32 s11, s10, 1
.LBB4378_56:                            ;   Parent Loop BB4378_52 Depth=1
                                        ;     Parent Loop BB4378_55 Depth=2
                                        ; =>    This Inner Loop Header: Depth=3
	s_add_i32 s11, s11, -1
	s_cmp_eq_u32 s11, 0
	s_sleep 1
	s_cbranch_scc0 .LBB4378_56
; %bb.57:                               ;   in Loop: Header=BB4378_55 Depth=2
	global_load_dwordx2 v[8:9], v[10:11], off glc
	s_cmp_lt_u32 s10, 32
	s_cselect_b64 s[12:13], -1, 0
	s_cmp_lg_u64 s[12:13], 0
	s_addc_u32 s10, s10, 0
	s_waitcnt vmcnt(0)
	v_cmp_ne_u16_sdwa s[12:13], v9, v5 src0_sel:BYTE_0 src1_sel:DWORD
	s_or_b64 s[8:9], s[12:13], s[8:9]
	s_andn2_b64 exec, exec, s[8:9]
	s_cbranch_execnz .LBB4378_55
; %bb.58:                               ;   in Loop: Header=BB4378_52 Depth=1
	s_or_b64 exec, exec, s[8:9]
	s_branch .LBB4378_51
.LBB4378_59:                            ;   in Loop: Header=BB4378_52 Depth=1
                                        ; implicit-def: $vgpr8
                                        ; implicit-def: $vgpr9
	s_cbranch_execz .LBB4378_52
; %bb.60:
	s_and_saveexec_b64 s[6:7], s[4:5]
	s_cbranch_execz .LBB4378_62
; %bb.61:
	s_add_i32 s4, s40, 64
	s_mov_b32 s5, 0
	s_lshl_b64 s[4:5], s[4:5], 3
	s_add_u32 s4, s14, s4
	v_add_f32_e32 v2, v2, v41
	v_mov_b32_e32 v3, 2
	s_addc_u32 s5, s15, s5
	v_mov_b32_e32 v4, 0
	global_store_dwordx2 v4, v[2:3], s[4:5]
.LBB4378_62:
	s_or_b64 exec, exec, s[6:7]
	s_and_b64 exec, exec, s[0:1]
	s_cbranch_execz .LBB4378_64
; %bb.63:
	v_mov_b32_e32 v2, 0
	ds_write_b32 v2, v41
.LBB4378_64:
	s_or_b64 exec, exec, s[34:35]
	v_mov_b32_e32 v2, 0
	s_waitcnt lgkmcnt(0)
	s_barrier
	ds_read_b32 v2, v2
	s_waitcnt lgkmcnt(0)
	v_add_f32_e32 v3, v12, v2
	v_cndmask_b32_e64 v2, v3, v2, s[0:1]
	v_add_f32_e32 v3, v26, v2
	v_add_f32_e32 v4, v27, v3
	;; [unrolled: 1-line block ×13, first 2 shown]
	s_branch .LBB4378_75
.LBB4378_65:
                                        ; implicit-def: $vgpr2_vgpr3_vgpr4_vgpr5_vgpr6_vgpr7_vgpr8_vgpr9_vgpr10_vgpr11_vgpr12_vgpr13_vgpr14_vgpr15_vgpr16_vgpr17
	s_cbranch_execz .LBB4378_75
; %bb.66:
	s_cmp_eq_u64 s[20:21], 0
	v_mov_b32_e32 v16, s37
	s_cbranch_scc1 .LBB4378_68
; %bb.67:
	v_mov_b32_e32 v3, s39
	v_add_co_u32_e64 v2, vcc, -4, s38
	v_addc_co_u32_e32 v3, vcc, -1, v3, vcc
	v_mov_b32_e32 v4, 0
	flat_load_dword v5, v[2:3]
	global_load_dword v6, v4, s[16:17]
	s_waitcnt vmcnt(0) lgkmcnt(0)
	v_add_f32_e32 v16, v5, v6
.LBB4378_68:
	v_add_f32_e32 v2, v28, v35
	v_add_f32_e32 v2, v29, v2
	;; [unrolled: 1-line block ×12, first 2 shown]
	v_add_lshl_u32 v1, v1, v0, 2
	v_cmp_gt_u32_e32 vcc, 64, v0
	ds_write_b32 v1, v2
	s_waitcnt lgkmcnt(0)
	s_barrier
	s_and_saveexec_b64 s[8:9], vcc
	s_cbranch_execz .LBB4378_70
; %bb.69:
	v_lshlrev_b32_e32 v1, 1, v0
	v_lshrrev_b32_e32 v3, 4, v0
	v_add_lshl_u32 v1, v3, v1, 2
	ds_read2_b32 v[4:5], v1 offset1:1
	v_mbcnt_lo_u32_b32 v3, -1, 0
	v_mbcnt_hi_u32_b32 v3, -1, v3
	v_and_b32_e32 v6, 15, v3
	v_cmp_eq_u32_e32 vcc, 0, v6
	s_waitcnt lgkmcnt(0)
	v_add_f32_e32 v5, v4, v5
	v_cmp_lt_u32_e64 s[4:5], 3, v6
	v_cmp_lt_u32_e64 s[6:7], 31, v3
	v_mov_b32_dpp v7, v5 row_shr:1 row_mask:0xf bank_mask:0xf
	v_add_f32_e32 v7, v5, v7
	v_cndmask_b32_e32 v5, v7, v5, vcc
	v_cmp_lt_u32_e32 vcc, 1, v6
	s_nop 0
	v_mov_b32_dpp v7, v5 row_shr:2 row_mask:0xf bank_mask:0xf
	v_add_f32_e32 v7, v5, v7
	v_cndmask_b32_e32 v7, v5, v7, vcc
	; wave barrier
	s_nop 1
	v_mov_b32_dpp v8, v7 row_shr:4 row_mask:0xf bank_mask:0xf
	v_add_f32_e32 v8, v7, v8
	v_cndmask_b32_e64 v7, v7, v8, s[4:5]
	v_cmp_lt_u32_e64 s[4:5], 7, v6
	s_nop 0
	v_mov_b32_dpp v8, v7 row_shr:8 row_mask:0xf bank_mask:0xf
	v_add_f32_e32 v8, v7, v8
	v_cndmask_b32_e64 v6, v7, v8, s[4:5]
	v_and_b32_e32 v8, 16, v3
	v_cmp_eq_u32_e64 s[4:5], 0, v8
	v_mov_b32_dpp v7, v6 row_bcast:15 row_mask:0xf bank_mask:0xf
	v_add_f32_e32 v7, v6, v7
	v_cndmask_b32_e64 v6, v7, v6, s[4:5]
	v_cmp_lt_u32_e64 s[4:5], 15, v3
	s_or_b64 vcc, s[4:5], vcc
	v_mov_b32_dpp v7, v6 row_bcast:31 row_mask:0xf bank_mask:0xf
	v_add_f32_e32 v7, v6, v7
	v_cndmask_b32_e64 v6, v6, v7, s[6:7]
	v_cndmask_b32_e32 v5, v5, v6, vcc
	v_add_u32_e32 v6, -1, v3
	v_and_b32_e32 v7, 64, v3
	v_cmp_lt_i32_e32 vcc, v6, v7
	v_cndmask_b32_e32 v3, v6, v3, vcc
	v_lshlrev_b32_e32 v3, 2, v3
	ds_bpermute_b32 v3, v3, v5
	s_waitcnt lgkmcnt(0)
	v_add_f32_e32 v3, v4, v3
	v_cndmask_b32_e64 v2, v3, v2, s[0:1]
	ds_write_b32 v1, v2
	; wave barrier
	ds_read_b32 v3, v1 offset:4
	s_waitcnt lgkmcnt(0)
	v_add_f32_e32 v2, v2, v3
	ds_write_b32 v1, v2 offset:4
.LBB4378_70:
	s_or_b64 exec, exec, s[8:9]
	v_mov_b32_e32 v2, v16
	s_waitcnt lgkmcnt(0)
	s_barrier
	s_and_saveexec_b64 s[4:5], s[2:3]
	s_cbranch_execz .LBB4378_72
; %bb.71:
	v_add_u32_e32 v1, -1, v0
	v_lshrrev_b32_e32 v2, 5, v1
	v_add_lshl_u32 v1, v2, v1, 2
	ds_read_b32 v1, v1
	s_waitcnt lgkmcnt(0)
	v_add_f32_e32 v2, v16, v1
.LBB4378_72:
	s_or_b64 exec, exec, s[4:5]
	v_add_f32_e32 v3, v26, v2
	v_add_f32_e32 v4, v27, v3
	;; [unrolled: 1-line block ×13, first 2 shown]
	s_and_saveexec_b64 s[2:3], s[0:1]
	s_cbranch_execz .LBB4378_74
; %bb.73:
	v_mov_b32_e32 v1, 0
	ds_read_b32 v17, v1 offset:520
	s_waitcnt lgkmcnt(0)
	v_add_f32_e32 v16, v16, v17
	v_mov_b32_e32 v17, 2
	global_store_dwordx2 v1, v[16:17], s[14:15] offset:512
.LBB4378_74:
	s_or_b64 exec, exec, s[2:3]
.LBB4378_75:
	s_add_u32 s0, s28, s26
	s_addc_u32 s1, s29, s27
	s_add_u32 s2, s0, s30
	s_addc_u32 s3, s1, s31
	s_mov_b64 s[0:1], -1
	s_and_b64 vcc, exec, s[24:25]
	s_barrier
	s_cbranch_vccz .LBB4378_77
; %bb.76:
	ds_write2_b64 v34, v[2:3], v[4:5] offset1:1
	ds_write2_b64 v34, v[6:7], v[8:9] offset0:2 offset1:3
	ds_write2_b64 v34, v[10:11], v[12:13] offset0:4 offset1:5
	ds_write_b64 v34, v[14:15] offset:48
	s_waitcnt lgkmcnt(0)
	s_barrier
	ds_read2st64_b32 v[16:17], v32 offset1:2
	ds_read2st64_b32 v[18:19], v32 offset0:4 offset1:6
	ds_read2st64_b32 v[20:21], v32 offset0:8 offset1:10
	;; [unrolled: 1-line block ×6, first 2 shown]
	v_mov_b32_e32 v1, s3
	v_add_co_u32_e32 v30, vcc, s2, v32
	v_addc_co_u32_e32 v31, vcc, 0, v1, vcc
	s_waitcnt lgkmcnt(6)
	flat_store_dword v[30:31], v16
	flat_store_dword v[30:31], v17 offset:512
	s_waitcnt lgkmcnt(0)
	flat_store_dword v[30:31], v18 offset:1024
	flat_store_dword v[30:31], v19 offset:1536
	;; [unrolled: 1-line block ×6, first 2 shown]
	v_add_co_u32_e32 v16, vcc, 0x1000, v30
	v_addc_co_u32_e32 v17, vcc, 0, v31, vcc
	flat_store_dword v[16:17], v24
	flat_store_dword v[16:17], v25 offset:512
	flat_store_dword v[16:17], v26 offset:1024
	flat_store_dword v[16:17], v27 offset:1536
	flat_store_dword v[16:17], v28 offset:2048
	flat_store_dword v[16:17], v29 offset:2560
	s_mov_b64 s[0:1], 0
.LBB4378_77:
	s_andn2_b64 vcc, exec, s[0:1]
	s_cbranch_vccnz .LBB4378_157
; %bb.78:
	s_movk_i32 s0, 0xffcc
	ds_write2_b64 v34, v[2:3], v[4:5] offset1:1
	ds_write2_b64 v34, v[6:7], v[8:9] offset0:2 offset1:3
	ds_write2_b64 v34, v[10:11], v[12:13] offset0:4 offset1:5
	ds_write_b64 v34, v[14:15] offset:48
	v_mad_i32_i24 v14, v0, s0, v34
	s_waitcnt lgkmcnt(0)
	s_barrier
	ds_read2st64_b32 v[4:5], v14 offset1:2
	ds_read2st64_b32 v[6:7], v14 offset0:4 offset1:6
	ds_read2st64_b32 v[8:9], v14 offset0:8 offset1:10
	ds_read2st64_b32 v[2:3], v14 offset0:12 offset1:14
	ds_read2st64_b32 v[12:13], v14 offset0:16 offset1:18
	ds_read2st64_b32 v[10:11], v14 offset0:20 offset1:22
	ds_read2st64_b32 v[14:15], v14 offset0:24 offset1:26
	v_mov_b32_e32 v17, s3
	v_add_co_u32_e32 v16, vcc, s2, v32
	v_addc_co_u32_e32 v17, vcc, 0, v17, vcc
	v_mov_b32_e32 v1, 0
	v_cmp_gt_u32_e32 vcc, s33, v0
	s_and_saveexec_b64 s[0:1], vcc
	s_cbranch_execz .LBB4378_80
; %bb.79:
	s_waitcnt lgkmcnt(0)
	flat_store_dword v[16:17], v4
.LBB4378_80:
	s_or_b64 exec, exec, s[0:1]
	v_or_b32_e32 v18, 0x80, v0
	v_cmp_gt_u32_e32 vcc, s33, v18
	s_and_saveexec_b64 s[0:1], vcc
	s_cbranch_execz .LBB4378_82
; %bb.81:
	s_waitcnt lgkmcnt(0)
	flat_store_dword v[16:17], v5 offset:512
.LBB4378_82:
	s_or_b64 exec, exec, s[0:1]
	v_or_b32_e32 v18, 0x100, v0
	v_cmp_gt_u32_e32 vcc, s33, v18
	s_and_saveexec_b64 s[0:1], vcc
	s_cbranch_execz .LBB4378_84
; %bb.83:
	s_waitcnt lgkmcnt(0)
	flat_store_dword v[16:17], v6 offset:1024
.LBB4378_84:
	;; [unrolled: 9-line block ×7, first 2 shown]
	s_or_b64 exec, exec, s[0:1]
	v_or_b32_e32 v18, 0x400, v0
	v_cmp_gt_u32_e32 vcc, s33, v18
	s_and_saveexec_b64 s[0:1], vcc
	s_cbranch_execz .LBB4378_96
; %bb.95:
	v_add_co_u32_e32 v18, vcc, 0x1000, v16
	v_addc_co_u32_e32 v19, vcc, 0, v17, vcc
	s_waitcnt lgkmcnt(0)
	flat_store_dword v[18:19], v12
.LBB4378_96:
	s_or_b64 exec, exec, s[0:1]
	v_or_b32_e32 v18, 0x480, v0
	v_cmp_gt_u32_e32 vcc, s33, v18
	s_and_saveexec_b64 s[0:1], vcc
	s_cbranch_execz .LBB4378_98
; %bb.97:
	v_add_co_u32_e32 v18, vcc, 0x1000, v16
	v_addc_co_u32_e32 v19, vcc, 0, v17, vcc
	s_waitcnt lgkmcnt(0)
	flat_store_dword v[18:19], v13 offset:512
.LBB4378_98:
	s_or_b64 exec, exec, s[0:1]
	v_or_b32_e32 v18, 0x500, v0
	v_cmp_gt_u32_e32 vcc, s33, v18
	s_and_saveexec_b64 s[0:1], vcc
	s_cbranch_execz .LBB4378_100
; %bb.99:
	v_add_co_u32_e32 v18, vcc, 0x1000, v16
	v_addc_co_u32_e32 v19, vcc, 0, v17, vcc
	s_waitcnt lgkmcnt(0)
	flat_store_dword v[18:19], v10 offset:1024
.LBB4378_100:
	;; [unrolled: 11-line block ×5, first 2 shown]
	s_or_b64 exec, exec, s[0:1]
	v_cmp_lt_u64_e64 s[0:1], s[22:23], 2
	s_and_b64 vcc, exec, s[0:1]
	s_cbranch_vccnz .LBB4378_157
; %bb.107:
	s_add_u32 s0, s33, -1
	s_addc_u32 s1, s36, -1
	s_add_u32 s2, 0, 0x49240800
	s_addc_u32 s3, 0, 50
	s_add_i32 s3, s3, 0x12492460
	s_mul_hi_u32 s7, s2, -14
	s_sub_i32 s7, s7, s2
	s_mul_i32 s8, s3, -14
	s_mul_i32 s4, s2, -14
	s_add_i32 s7, s7, s8
	s_mul_hi_u32 s5, s3, s4
	s_mul_i32 s6, s3, s4
	s_mul_i32 s9, s2, s7
	s_mul_hi_u32 s4, s2, s4
	s_mul_hi_u32 s8, s2, s7
	s_add_u32 s4, s4, s9
	s_addc_u32 s8, 0, s8
	s_add_u32 s4, s4, s6
	s_mul_hi_u32 s9, s3, s7
	s_addc_u32 s4, s8, s5
	s_addc_u32 s5, s9, 0
	s_mul_i32 s6, s3, s7
	s_add_u32 s4, s4, s6
	v_mov_b32_e32 v16, s4
	s_addc_u32 s5, 0, s5
	v_add_co_u32_e32 v16, vcc, s2, v16
	s_cmp_lg_u64 vcc, 0
	s_addc_u32 s2, s3, s5
	v_readfirstlane_b32 s5, v16
	s_mul_i32 s4, s0, s2
	s_mul_hi_u32 s6, s0, s5
	s_mul_hi_u32 s3, s0, s2
	s_add_u32 s4, s6, s4
	s_addc_u32 s3, 0, s3
	s_mul_hi_u32 s7, s1, s5
	s_mul_i32 s5, s1, s5
	s_add_u32 s4, s4, s5
	s_mul_hi_u32 s6, s1, s2
	s_addc_u32 s3, s3, s7
	s_addc_u32 s4, s6, 0
	s_mul_i32 s2, s1, s2
	s_add_u32 s2, s3, s2
	s_addc_u32 s3, 0, s4
	s_add_u32 s4, s2, 1
	s_addc_u32 s5, s3, 0
	s_add_u32 s6, s2, 2
	s_mul_i32 s8, s3, 14
	s_mul_hi_u32 s9, s2, 14
	s_addc_u32 s7, s3, 0
	s_add_i32 s9, s9, s8
	s_mul_i32 s8, s2, 14
	v_mov_b32_e32 v16, s8
	v_sub_co_u32_e32 v16, vcc, s0, v16
	s_cmp_lg_u64 vcc, 0
	s_subb_u32 s8, s1, s9
	v_subrev_co_u32_e32 v17, vcc, 14, v16
	s_cmp_lg_u64 vcc, 0
	s_subb_u32 s9, s8, 0
	v_readfirstlane_b32 s10, v17
	s_cmp_gt_u32 s10, 13
	s_cselect_b32 s10, -1, 0
	s_cmp_eq_u32 s9, 0
	s_cselect_b32 s9, s10, -1
	s_cmp_lg_u32 s9, 0
	s_cselect_b32 s4, s6, s4
	v_readfirstlane_b32 s6, v16
	s_cselect_b32 s5, s7, s5
	s_cmp_gt_u32 s6, 13
	s_cselect_b32 s6, -1, 0
	s_cmp_eq_u32 s8, 0
	s_cselect_b32 s6, s6, -1
	s_cmp_lg_u32 s6, 0
	s_cselect_b32 s3, s5, s3
	s_cselect_b32 s2, s4, s2
	v_cmp_eq_u64_e32 vcc, s[2:3], v[0:1]
	s_and_saveexec_b64 s[2:3], vcc
	s_cbranch_execz .LBB4378_157
; %bb.108:
	v_mul_hi_u32_u24_e32 v1, 14, v0
	v_mov_b32_e32 v16, s1
	v_sub_co_u32_e32 v0, vcc, s0, v33
	v_subb_co_u32_e32 v1, vcc, v16, v1, vcc
	v_cmp_lt_i64_e32 vcc, 6, v[0:1]
	s_and_saveexec_b64 s[0:1], vcc
	s_xor_b64 s[0:1], exec, s[0:1]
	s_cbranch_execz .LBB4378_134
; %bb.109:
	v_cmp_lt_i64_e32 vcc, 9, v[0:1]
	s_and_saveexec_b64 s[2:3], vcc
	s_xor_b64 s[2:3], exec, s[2:3]
	s_cbranch_execz .LBB4378_123
; %bb.110:
	;; [unrolled: 5-line block ×4, first 2 shown]
	v_mov_b32_e32 v0, 0
	s_waitcnt lgkmcnt(0)
	global_store_dword v0, v15, s[18:19]
                                        ; implicit-def: $vgpr14_vgpr15
.LBB4378_113:
	s_andn2_saveexec_b64 s[6:7], s[6:7]
	s_cbranch_execz .LBB4378_115
; %bb.114:
	v_mov_b32_e32 v0, 0
	s_waitcnt lgkmcnt(0)
	global_store_dword v0, v14, s[18:19]
.LBB4378_115:
	s_or_b64 exec, exec, s[6:7]
                                        ; implicit-def: $vgpr10_vgpr11
                                        ; implicit-def: $vgpr0_vgpr1
.LBB4378_116:
	s_andn2_saveexec_b64 s[4:5], s[4:5]
	s_cbranch_execz .LBB4378_122
; %bb.117:
	v_cmp_lt_i64_e32 vcc, 10, v[0:1]
	s_and_saveexec_b64 s[6:7], vcc
	s_xor_b64 s[6:7], exec, s[6:7]
	s_cbranch_execz .LBB4378_119
; %bb.118:
	v_mov_b32_e32 v0, 0
	s_waitcnt lgkmcnt(0)
	global_store_dword v0, v11, s[18:19]
                                        ; implicit-def: $vgpr10_vgpr11
.LBB4378_119:
	s_andn2_saveexec_b64 s[6:7], s[6:7]
	s_cbranch_execz .LBB4378_121
; %bb.120:
	v_mov_b32_e32 v0, 0
	s_waitcnt lgkmcnt(0)
	global_store_dword v0, v10, s[18:19]
.LBB4378_121:
	s_or_b64 exec, exec, s[6:7]
.LBB4378_122:
	s_or_b64 exec, exec, s[4:5]
                                        ; implicit-def: $vgpr2_vgpr3
                                        ; implicit-def: $vgpr0_vgpr1
                                        ; implicit-def: $vgpr12_vgpr13
.LBB4378_123:
	s_andn2_saveexec_b64 s[2:3], s[2:3]
	s_cbranch_execz .LBB4378_133
; %bb.124:
	v_cmp_lt_i64_e32 vcc, 7, v[0:1]
	s_and_saveexec_b64 s[4:5], vcc
	s_xor_b64 s[4:5], exec, s[4:5]
	s_cbranch_execz .LBB4378_130
; %bb.125:
	v_cmp_lt_i64_e32 vcc, 8, v[0:1]
	s_and_saveexec_b64 s[6:7], vcc
	s_xor_b64 s[6:7], exec, s[6:7]
	s_cbranch_execz .LBB4378_127
; %bb.126:
	v_mov_b32_e32 v0, 0
	s_waitcnt lgkmcnt(0)
	global_store_dword v0, v13, s[18:19]
                                        ; implicit-def: $vgpr12_vgpr13
.LBB4378_127:
	s_andn2_saveexec_b64 s[6:7], s[6:7]
	s_cbranch_execz .LBB4378_129
; %bb.128:
	v_mov_b32_e32 v0, 0
	s_waitcnt lgkmcnt(0)
	global_store_dword v0, v12, s[18:19]
.LBB4378_129:
	s_or_b64 exec, exec, s[6:7]
                                        ; implicit-def: $vgpr2_vgpr3
.LBB4378_130:
	s_andn2_saveexec_b64 s[4:5], s[4:5]
	s_cbranch_execz .LBB4378_132
; %bb.131:
	v_mov_b32_e32 v0, 0
	s_waitcnt lgkmcnt(0)
	global_store_dword v0, v3, s[18:19]
.LBB4378_132:
	s_or_b64 exec, exec, s[4:5]
.LBB4378_133:
	s_or_b64 exec, exec, s[2:3]
                                        ; implicit-def: $vgpr0_vgpr1
                                        ; implicit-def: $vgpr8_vgpr9
                                        ; implicit-def: $vgpr4_vgpr5
                                        ; implicit-def: $vgpr6_vgpr7
                                        ; implicit-def: $vgpr2_vgpr3
.LBB4378_134:
	s_andn2_saveexec_b64 s[0:1], s[0:1]
	s_cbranch_execz .LBB4378_157
; %bb.135:
	v_cmp_lt_i64_e32 vcc, 3, v[0:1]
	s_and_saveexec_b64 s[0:1], vcc
	s_xor_b64 s[0:1], exec, s[0:1]
	s_cbranch_execz .LBB4378_145
; %bb.136:
	v_cmp_lt_i64_e32 vcc, 4, v[0:1]
	s_and_saveexec_b64 s[2:3], vcc
	s_xor_b64 s[2:3], exec, s[2:3]
	;; [unrolled: 5-line block ×3, first 2 shown]
	s_cbranch_execz .LBB4378_139
; %bb.138:
	v_mov_b32_e32 v0, 0
	s_waitcnt lgkmcnt(0)
	global_store_dword v0, v2, s[18:19]
                                        ; implicit-def: $vgpr8_vgpr9
.LBB4378_139:
	s_andn2_saveexec_b64 s[4:5], s[4:5]
	s_cbranch_execz .LBB4378_141
; %bb.140:
	v_mov_b32_e32 v0, 0
	s_waitcnt lgkmcnt(0)
	global_store_dword v0, v9, s[18:19]
.LBB4378_141:
	s_or_b64 exec, exec, s[4:5]
                                        ; implicit-def: $vgpr8_vgpr9
.LBB4378_142:
	s_andn2_saveexec_b64 s[2:3], s[2:3]
	s_cbranch_execz .LBB4378_144
; %bb.143:
	v_mov_b32_e32 v0, 0
	s_waitcnt lgkmcnt(0)
	global_store_dword v0, v8, s[18:19]
.LBB4378_144:
	s_or_b64 exec, exec, s[2:3]
                                        ; implicit-def: $vgpr0_vgpr1
                                        ; implicit-def: $vgpr4_vgpr5
                                        ; implicit-def: $vgpr6_vgpr7
.LBB4378_145:
	s_andn2_saveexec_b64 s[0:1], s[0:1]
	s_cbranch_execz .LBB4378_157
; %bb.146:
	v_cmp_lt_i64_e32 vcc, 1, v[0:1]
	s_and_saveexec_b64 s[0:1], vcc
	s_xor_b64 s[0:1], exec, s[0:1]
	s_cbranch_execz .LBB4378_152
; %bb.147:
	v_cmp_lt_i64_e32 vcc, 2, v[0:1]
	s_and_saveexec_b64 s[2:3], vcc
	s_xor_b64 s[2:3], exec, s[2:3]
	s_cbranch_execz .LBB4378_149
; %bb.148:
	v_mov_b32_e32 v0, 0
	s_waitcnt lgkmcnt(0)
	global_store_dword v0, v7, s[18:19]
                                        ; implicit-def: $vgpr6_vgpr7
.LBB4378_149:
	s_andn2_saveexec_b64 s[2:3], s[2:3]
	s_cbranch_execz .LBB4378_151
; %bb.150:
	v_mov_b32_e32 v0, 0
	s_waitcnt lgkmcnt(0)
	global_store_dword v0, v6, s[18:19]
.LBB4378_151:
	s_or_b64 exec, exec, s[2:3]
                                        ; implicit-def: $vgpr4_vgpr5
                                        ; implicit-def: $vgpr0_vgpr1
.LBB4378_152:
	s_andn2_saveexec_b64 s[0:1], s[0:1]
	s_cbranch_execz .LBB4378_157
; %bb.153:
	v_cmp_ne_u64_e32 vcc, 1, v[0:1]
	s_and_saveexec_b64 s[0:1], vcc
	s_xor_b64 s[0:1], exec, s[0:1]
	s_cbranch_execz .LBB4378_155
; %bb.154:
	v_mov_b32_e32 v0, 0
	s_waitcnt lgkmcnt(0)
	global_store_dword v0, v4, s[18:19]
                                        ; implicit-def: $vgpr4_vgpr5
.LBB4378_155:
	s_andn2_saveexec_b64 s[0:1], s[0:1]
	s_cbranch_execz .LBB4378_157
; %bb.156:
	v_mov_b32_e32 v0, 0
	s_waitcnt lgkmcnt(0)
	global_store_dword v0, v5, s[18:19]
.LBB4378_157:
	s_endpgm
	.section	.rodata,"a",@progbits
	.p2align	6, 0x0
	.amdhsa_kernel _ZN7rocprim17ROCPRIM_400000_NS6detail17trampoline_kernelINS0_14default_configENS1_20scan_config_selectorIfEEZZNS1_9scan_implILNS1_25lookback_scan_determinismE0ELb1ELb1ES3_N6thrust23THRUST_200600_302600_NS6detail15normal_iteratorINS9_10device_ptrIfEEEESE_fNS9_4plusIvEEfEEDaPvRmT3_T4_T5_mT6_P12ihipStream_tbENKUlT_T0_E_clISt17integral_constantIbLb1EESU_EEDaSP_SQ_EUlSP_E_NS1_11comp_targetILNS1_3genE4ELNS1_11target_archE910ELNS1_3gpuE8ELNS1_3repE0EEENS1_30default_config_static_selectorELNS0_4arch9wavefront6targetE1EEEvT1_
		.amdhsa_group_segment_fixed_size 7168
		.amdhsa_private_segment_fixed_size 0
		.amdhsa_kernarg_size 96
		.amdhsa_user_sgpr_count 6
		.amdhsa_user_sgpr_private_segment_buffer 1
		.amdhsa_user_sgpr_dispatch_ptr 0
		.amdhsa_user_sgpr_queue_ptr 0
		.amdhsa_user_sgpr_kernarg_segment_ptr 1
		.amdhsa_user_sgpr_dispatch_id 0
		.amdhsa_user_sgpr_flat_scratch_init 0
		.amdhsa_user_sgpr_kernarg_preload_length 0
		.amdhsa_user_sgpr_kernarg_preload_offset 0
		.amdhsa_user_sgpr_private_segment_size 0
		.amdhsa_uses_dynamic_stack 0
		.amdhsa_system_sgpr_private_segment_wavefront_offset 0
		.amdhsa_system_sgpr_workgroup_id_x 1
		.amdhsa_system_sgpr_workgroup_id_y 0
		.amdhsa_system_sgpr_workgroup_id_z 0
		.amdhsa_system_sgpr_workgroup_info 0
		.amdhsa_system_vgpr_workitem_id 0
		.amdhsa_next_free_vgpr 49
		.amdhsa_next_free_sgpr 41
		.amdhsa_accum_offset 52
		.amdhsa_reserve_vcc 1
		.amdhsa_reserve_flat_scratch 0
		.amdhsa_float_round_mode_32 0
		.amdhsa_float_round_mode_16_64 0
		.amdhsa_float_denorm_mode_32 3
		.amdhsa_float_denorm_mode_16_64 3
		.amdhsa_dx10_clamp 1
		.amdhsa_ieee_mode 1
		.amdhsa_fp16_overflow 0
		.amdhsa_tg_split 0
		.amdhsa_exception_fp_ieee_invalid_op 0
		.amdhsa_exception_fp_denorm_src 0
		.amdhsa_exception_fp_ieee_div_zero 0
		.amdhsa_exception_fp_ieee_overflow 0
		.amdhsa_exception_fp_ieee_underflow 0
		.amdhsa_exception_fp_ieee_inexact 0
		.amdhsa_exception_int_div_zero 0
	.end_amdhsa_kernel
	.section	.text._ZN7rocprim17ROCPRIM_400000_NS6detail17trampoline_kernelINS0_14default_configENS1_20scan_config_selectorIfEEZZNS1_9scan_implILNS1_25lookback_scan_determinismE0ELb1ELb1ES3_N6thrust23THRUST_200600_302600_NS6detail15normal_iteratorINS9_10device_ptrIfEEEESE_fNS9_4plusIvEEfEEDaPvRmT3_T4_T5_mT6_P12ihipStream_tbENKUlT_T0_E_clISt17integral_constantIbLb1EESU_EEDaSP_SQ_EUlSP_E_NS1_11comp_targetILNS1_3genE4ELNS1_11target_archE910ELNS1_3gpuE8ELNS1_3repE0EEENS1_30default_config_static_selectorELNS0_4arch9wavefront6targetE1EEEvT1_,"axG",@progbits,_ZN7rocprim17ROCPRIM_400000_NS6detail17trampoline_kernelINS0_14default_configENS1_20scan_config_selectorIfEEZZNS1_9scan_implILNS1_25lookback_scan_determinismE0ELb1ELb1ES3_N6thrust23THRUST_200600_302600_NS6detail15normal_iteratorINS9_10device_ptrIfEEEESE_fNS9_4plusIvEEfEEDaPvRmT3_T4_T5_mT6_P12ihipStream_tbENKUlT_T0_E_clISt17integral_constantIbLb1EESU_EEDaSP_SQ_EUlSP_E_NS1_11comp_targetILNS1_3genE4ELNS1_11target_archE910ELNS1_3gpuE8ELNS1_3repE0EEENS1_30default_config_static_selectorELNS0_4arch9wavefront6targetE1EEEvT1_,comdat
.Lfunc_end4378:
	.size	_ZN7rocprim17ROCPRIM_400000_NS6detail17trampoline_kernelINS0_14default_configENS1_20scan_config_selectorIfEEZZNS1_9scan_implILNS1_25lookback_scan_determinismE0ELb1ELb1ES3_N6thrust23THRUST_200600_302600_NS6detail15normal_iteratorINS9_10device_ptrIfEEEESE_fNS9_4plusIvEEfEEDaPvRmT3_T4_T5_mT6_P12ihipStream_tbENKUlT_T0_E_clISt17integral_constantIbLb1EESU_EEDaSP_SQ_EUlSP_E_NS1_11comp_targetILNS1_3genE4ELNS1_11target_archE910ELNS1_3gpuE8ELNS1_3repE0EEENS1_30default_config_static_selectorELNS0_4arch9wavefront6targetE1EEEvT1_, .Lfunc_end4378-_ZN7rocprim17ROCPRIM_400000_NS6detail17trampoline_kernelINS0_14default_configENS1_20scan_config_selectorIfEEZZNS1_9scan_implILNS1_25lookback_scan_determinismE0ELb1ELb1ES3_N6thrust23THRUST_200600_302600_NS6detail15normal_iteratorINS9_10device_ptrIfEEEESE_fNS9_4plusIvEEfEEDaPvRmT3_T4_T5_mT6_P12ihipStream_tbENKUlT_T0_E_clISt17integral_constantIbLb1EESU_EEDaSP_SQ_EUlSP_E_NS1_11comp_targetILNS1_3genE4ELNS1_11target_archE910ELNS1_3gpuE8ELNS1_3repE0EEENS1_30default_config_static_selectorELNS0_4arch9wavefront6targetE1EEEvT1_
                                        ; -- End function
	.section	.AMDGPU.csdata,"",@progbits
; Kernel info:
; codeLenInByte = 5768
; NumSgprs: 45
; NumVgprs: 49
; NumAgprs: 0
; TotalNumVgprs: 49
; ScratchSize: 0
; MemoryBound: 0
; FloatMode: 240
; IeeeMode: 1
; LDSByteSize: 7168 bytes/workgroup (compile time only)
; SGPRBlocks: 5
; VGPRBlocks: 6
; NumSGPRsForWavesPerEU: 45
; NumVGPRsForWavesPerEU: 49
; AccumOffset: 52
; Occupancy: 5
; WaveLimiterHint : 1
; COMPUTE_PGM_RSRC2:SCRATCH_EN: 0
; COMPUTE_PGM_RSRC2:USER_SGPR: 6
; COMPUTE_PGM_RSRC2:TRAP_HANDLER: 0
; COMPUTE_PGM_RSRC2:TGID_X_EN: 1
; COMPUTE_PGM_RSRC2:TGID_Y_EN: 0
; COMPUTE_PGM_RSRC2:TGID_Z_EN: 0
; COMPUTE_PGM_RSRC2:TIDIG_COMP_CNT: 0
; COMPUTE_PGM_RSRC3_GFX90A:ACCUM_OFFSET: 12
; COMPUTE_PGM_RSRC3_GFX90A:TG_SPLIT: 0
	.section	.text._ZN7rocprim17ROCPRIM_400000_NS6detail17trampoline_kernelINS0_14default_configENS1_20scan_config_selectorIfEEZZNS1_9scan_implILNS1_25lookback_scan_determinismE0ELb1ELb1ES3_N6thrust23THRUST_200600_302600_NS6detail15normal_iteratorINS9_10device_ptrIfEEEESE_fNS9_4plusIvEEfEEDaPvRmT3_T4_T5_mT6_P12ihipStream_tbENKUlT_T0_E_clISt17integral_constantIbLb1EESU_EEDaSP_SQ_EUlSP_E_NS1_11comp_targetILNS1_3genE3ELNS1_11target_archE908ELNS1_3gpuE7ELNS1_3repE0EEENS1_30default_config_static_selectorELNS0_4arch9wavefront6targetE1EEEvT1_,"axG",@progbits,_ZN7rocprim17ROCPRIM_400000_NS6detail17trampoline_kernelINS0_14default_configENS1_20scan_config_selectorIfEEZZNS1_9scan_implILNS1_25lookback_scan_determinismE0ELb1ELb1ES3_N6thrust23THRUST_200600_302600_NS6detail15normal_iteratorINS9_10device_ptrIfEEEESE_fNS9_4plusIvEEfEEDaPvRmT3_T4_T5_mT6_P12ihipStream_tbENKUlT_T0_E_clISt17integral_constantIbLb1EESU_EEDaSP_SQ_EUlSP_E_NS1_11comp_targetILNS1_3genE3ELNS1_11target_archE908ELNS1_3gpuE7ELNS1_3repE0EEENS1_30default_config_static_selectorELNS0_4arch9wavefront6targetE1EEEvT1_,comdat
	.protected	_ZN7rocprim17ROCPRIM_400000_NS6detail17trampoline_kernelINS0_14default_configENS1_20scan_config_selectorIfEEZZNS1_9scan_implILNS1_25lookback_scan_determinismE0ELb1ELb1ES3_N6thrust23THRUST_200600_302600_NS6detail15normal_iteratorINS9_10device_ptrIfEEEESE_fNS9_4plusIvEEfEEDaPvRmT3_T4_T5_mT6_P12ihipStream_tbENKUlT_T0_E_clISt17integral_constantIbLb1EESU_EEDaSP_SQ_EUlSP_E_NS1_11comp_targetILNS1_3genE3ELNS1_11target_archE908ELNS1_3gpuE7ELNS1_3repE0EEENS1_30default_config_static_selectorELNS0_4arch9wavefront6targetE1EEEvT1_ ; -- Begin function _ZN7rocprim17ROCPRIM_400000_NS6detail17trampoline_kernelINS0_14default_configENS1_20scan_config_selectorIfEEZZNS1_9scan_implILNS1_25lookback_scan_determinismE0ELb1ELb1ES3_N6thrust23THRUST_200600_302600_NS6detail15normal_iteratorINS9_10device_ptrIfEEEESE_fNS9_4plusIvEEfEEDaPvRmT3_T4_T5_mT6_P12ihipStream_tbENKUlT_T0_E_clISt17integral_constantIbLb1EESU_EEDaSP_SQ_EUlSP_E_NS1_11comp_targetILNS1_3genE3ELNS1_11target_archE908ELNS1_3gpuE7ELNS1_3repE0EEENS1_30default_config_static_selectorELNS0_4arch9wavefront6targetE1EEEvT1_
	.globl	_ZN7rocprim17ROCPRIM_400000_NS6detail17trampoline_kernelINS0_14default_configENS1_20scan_config_selectorIfEEZZNS1_9scan_implILNS1_25lookback_scan_determinismE0ELb1ELb1ES3_N6thrust23THRUST_200600_302600_NS6detail15normal_iteratorINS9_10device_ptrIfEEEESE_fNS9_4plusIvEEfEEDaPvRmT3_T4_T5_mT6_P12ihipStream_tbENKUlT_T0_E_clISt17integral_constantIbLb1EESU_EEDaSP_SQ_EUlSP_E_NS1_11comp_targetILNS1_3genE3ELNS1_11target_archE908ELNS1_3gpuE7ELNS1_3repE0EEENS1_30default_config_static_selectorELNS0_4arch9wavefront6targetE1EEEvT1_
	.p2align	8
	.type	_ZN7rocprim17ROCPRIM_400000_NS6detail17trampoline_kernelINS0_14default_configENS1_20scan_config_selectorIfEEZZNS1_9scan_implILNS1_25lookback_scan_determinismE0ELb1ELb1ES3_N6thrust23THRUST_200600_302600_NS6detail15normal_iteratorINS9_10device_ptrIfEEEESE_fNS9_4plusIvEEfEEDaPvRmT3_T4_T5_mT6_P12ihipStream_tbENKUlT_T0_E_clISt17integral_constantIbLb1EESU_EEDaSP_SQ_EUlSP_E_NS1_11comp_targetILNS1_3genE3ELNS1_11target_archE908ELNS1_3gpuE7ELNS1_3repE0EEENS1_30default_config_static_selectorELNS0_4arch9wavefront6targetE1EEEvT1_,@function
_ZN7rocprim17ROCPRIM_400000_NS6detail17trampoline_kernelINS0_14default_configENS1_20scan_config_selectorIfEEZZNS1_9scan_implILNS1_25lookback_scan_determinismE0ELb1ELb1ES3_N6thrust23THRUST_200600_302600_NS6detail15normal_iteratorINS9_10device_ptrIfEEEESE_fNS9_4plusIvEEfEEDaPvRmT3_T4_T5_mT6_P12ihipStream_tbENKUlT_T0_E_clISt17integral_constantIbLb1EESU_EEDaSP_SQ_EUlSP_E_NS1_11comp_targetILNS1_3genE3ELNS1_11target_archE908ELNS1_3gpuE7ELNS1_3repE0EEENS1_30default_config_static_selectorELNS0_4arch9wavefront6targetE1EEEvT1_: ; @_ZN7rocprim17ROCPRIM_400000_NS6detail17trampoline_kernelINS0_14default_configENS1_20scan_config_selectorIfEEZZNS1_9scan_implILNS1_25lookback_scan_determinismE0ELb1ELb1ES3_N6thrust23THRUST_200600_302600_NS6detail15normal_iteratorINS9_10device_ptrIfEEEESE_fNS9_4plusIvEEfEEDaPvRmT3_T4_T5_mT6_P12ihipStream_tbENKUlT_T0_E_clISt17integral_constantIbLb1EESU_EEDaSP_SQ_EUlSP_E_NS1_11comp_targetILNS1_3genE3ELNS1_11target_archE908ELNS1_3gpuE7ELNS1_3repE0EEENS1_30default_config_static_selectorELNS0_4arch9wavefront6targetE1EEEvT1_
; %bb.0:
	.section	.rodata,"a",@progbits
	.p2align	6, 0x0
	.amdhsa_kernel _ZN7rocprim17ROCPRIM_400000_NS6detail17trampoline_kernelINS0_14default_configENS1_20scan_config_selectorIfEEZZNS1_9scan_implILNS1_25lookback_scan_determinismE0ELb1ELb1ES3_N6thrust23THRUST_200600_302600_NS6detail15normal_iteratorINS9_10device_ptrIfEEEESE_fNS9_4plusIvEEfEEDaPvRmT3_T4_T5_mT6_P12ihipStream_tbENKUlT_T0_E_clISt17integral_constantIbLb1EESU_EEDaSP_SQ_EUlSP_E_NS1_11comp_targetILNS1_3genE3ELNS1_11target_archE908ELNS1_3gpuE7ELNS1_3repE0EEENS1_30default_config_static_selectorELNS0_4arch9wavefront6targetE1EEEvT1_
		.amdhsa_group_segment_fixed_size 0
		.amdhsa_private_segment_fixed_size 0
		.amdhsa_kernarg_size 96
		.amdhsa_user_sgpr_count 6
		.amdhsa_user_sgpr_private_segment_buffer 1
		.amdhsa_user_sgpr_dispatch_ptr 0
		.amdhsa_user_sgpr_queue_ptr 0
		.amdhsa_user_sgpr_kernarg_segment_ptr 1
		.amdhsa_user_sgpr_dispatch_id 0
		.amdhsa_user_sgpr_flat_scratch_init 0
		.amdhsa_user_sgpr_kernarg_preload_length 0
		.amdhsa_user_sgpr_kernarg_preload_offset 0
		.amdhsa_user_sgpr_private_segment_size 0
		.amdhsa_uses_dynamic_stack 0
		.amdhsa_system_sgpr_private_segment_wavefront_offset 0
		.amdhsa_system_sgpr_workgroup_id_x 1
		.amdhsa_system_sgpr_workgroup_id_y 0
		.amdhsa_system_sgpr_workgroup_id_z 0
		.amdhsa_system_sgpr_workgroup_info 0
		.amdhsa_system_vgpr_workitem_id 0
		.amdhsa_next_free_vgpr 1
		.amdhsa_next_free_sgpr 0
		.amdhsa_accum_offset 4
		.amdhsa_reserve_vcc 0
		.amdhsa_reserve_flat_scratch 0
		.amdhsa_float_round_mode_32 0
		.amdhsa_float_round_mode_16_64 0
		.amdhsa_float_denorm_mode_32 3
		.amdhsa_float_denorm_mode_16_64 3
		.amdhsa_dx10_clamp 1
		.amdhsa_ieee_mode 1
		.amdhsa_fp16_overflow 0
		.amdhsa_tg_split 0
		.amdhsa_exception_fp_ieee_invalid_op 0
		.amdhsa_exception_fp_denorm_src 0
		.amdhsa_exception_fp_ieee_div_zero 0
		.amdhsa_exception_fp_ieee_overflow 0
		.amdhsa_exception_fp_ieee_underflow 0
		.amdhsa_exception_fp_ieee_inexact 0
		.amdhsa_exception_int_div_zero 0
	.end_amdhsa_kernel
	.section	.text._ZN7rocprim17ROCPRIM_400000_NS6detail17trampoline_kernelINS0_14default_configENS1_20scan_config_selectorIfEEZZNS1_9scan_implILNS1_25lookback_scan_determinismE0ELb1ELb1ES3_N6thrust23THRUST_200600_302600_NS6detail15normal_iteratorINS9_10device_ptrIfEEEESE_fNS9_4plusIvEEfEEDaPvRmT3_T4_T5_mT6_P12ihipStream_tbENKUlT_T0_E_clISt17integral_constantIbLb1EESU_EEDaSP_SQ_EUlSP_E_NS1_11comp_targetILNS1_3genE3ELNS1_11target_archE908ELNS1_3gpuE7ELNS1_3repE0EEENS1_30default_config_static_selectorELNS0_4arch9wavefront6targetE1EEEvT1_,"axG",@progbits,_ZN7rocprim17ROCPRIM_400000_NS6detail17trampoline_kernelINS0_14default_configENS1_20scan_config_selectorIfEEZZNS1_9scan_implILNS1_25lookback_scan_determinismE0ELb1ELb1ES3_N6thrust23THRUST_200600_302600_NS6detail15normal_iteratorINS9_10device_ptrIfEEEESE_fNS9_4plusIvEEfEEDaPvRmT3_T4_T5_mT6_P12ihipStream_tbENKUlT_T0_E_clISt17integral_constantIbLb1EESU_EEDaSP_SQ_EUlSP_E_NS1_11comp_targetILNS1_3genE3ELNS1_11target_archE908ELNS1_3gpuE7ELNS1_3repE0EEENS1_30default_config_static_selectorELNS0_4arch9wavefront6targetE1EEEvT1_,comdat
.Lfunc_end4379:
	.size	_ZN7rocprim17ROCPRIM_400000_NS6detail17trampoline_kernelINS0_14default_configENS1_20scan_config_selectorIfEEZZNS1_9scan_implILNS1_25lookback_scan_determinismE0ELb1ELb1ES3_N6thrust23THRUST_200600_302600_NS6detail15normal_iteratorINS9_10device_ptrIfEEEESE_fNS9_4plusIvEEfEEDaPvRmT3_T4_T5_mT6_P12ihipStream_tbENKUlT_T0_E_clISt17integral_constantIbLb1EESU_EEDaSP_SQ_EUlSP_E_NS1_11comp_targetILNS1_3genE3ELNS1_11target_archE908ELNS1_3gpuE7ELNS1_3repE0EEENS1_30default_config_static_selectorELNS0_4arch9wavefront6targetE1EEEvT1_, .Lfunc_end4379-_ZN7rocprim17ROCPRIM_400000_NS6detail17trampoline_kernelINS0_14default_configENS1_20scan_config_selectorIfEEZZNS1_9scan_implILNS1_25lookback_scan_determinismE0ELb1ELb1ES3_N6thrust23THRUST_200600_302600_NS6detail15normal_iteratorINS9_10device_ptrIfEEEESE_fNS9_4plusIvEEfEEDaPvRmT3_T4_T5_mT6_P12ihipStream_tbENKUlT_T0_E_clISt17integral_constantIbLb1EESU_EEDaSP_SQ_EUlSP_E_NS1_11comp_targetILNS1_3genE3ELNS1_11target_archE908ELNS1_3gpuE7ELNS1_3repE0EEENS1_30default_config_static_selectorELNS0_4arch9wavefront6targetE1EEEvT1_
                                        ; -- End function
	.section	.AMDGPU.csdata,"",@progbits
; Kernel info:
; codeLenInByte = 0
; NumSgprs: 4
; NumVgprs: 0
; NumAgprs: 0
; TotalNumVgprs: 0
; ScratchSize: 0
; MemoryBound: 0
; FloatMode: 240
; IeeeMode: 1
; LDSByteSize: 0 bytes/workgroup (compile time only)
; SGPRBlocks: 0
; VGPRBlocks: 0
; NumSGPRsForWavesPerEU: 4
; NumVGPRsForWavesPerEU: 1
; AccumOffset: 4
; Occupancy: 8
; WaveLimiterHint : 0
; COMPUTE_PGM_RSRC2:SCRATCH_EN: 0
; COMPUTE_PGM_RSRC2:USER_SGPR: 6
; COMPUTE_PGM_RSRC2:TRAP_HANDLER: 0
; COMPUTE_PGM_RSRC2:TGID_X_EN: 1
; COMPUTE_PGM_RSRC2:TGID_Y_EN: 0
; COMPUTE_PGM_RSRC2:TGID_Z_EN: 0
; COMPUTE_PGM_RSRC2:TIDIG_COMP_CNT: 0
; COMPUTE_PGM_RSRC3_GFX90A:ACCUM_OFFSET: 0
; COMPUTE_PGM_RSRC3_GFX90A:TG_SPLIT: 0
	.section	.text._ZN7rocprim17ROCPRIM_400000_NS6detail17trampoline_kernelINS0_14default_configENS1_20scan_config_selectorIfEEZZNS1_9scan_implILNS1_25lookback_scan_determinismE0ELb1ELb1ES3_N6thrust23THRUST_200600_302600_NS6detail15normal_iteratorINS9_10device_ptrIfEEEESE_fNS9_4plusIvEEfEEDaPvRmT3_T4_T5_mT6_P12ihipStream_tbENKUlT_T0_E_clISt17integral_constantIbLb1EESU_EEDaSP_SQ_EUlSP_E_NS1_11comp_targetILNS1_3genE2ELNS1_11target_archE906ELNS1_3gpuE6ELNS1_3repE0EEENS1_30default_config_static_selectorELNS0_4arch9wavefront6targetE1EEEvT1_,"axG",@progbits,_ZN7rocprim17ROCPRIM_400000_NS6detail17trampoline_kernelINS0_14default_configENS1_20scan_config_selectorIfEEZZNS1_9scan_implILNS1_25lookback_scan_determinismE0ELb1ELb1ES3_N6thrust23THRUST_200600_302600_NS6detail15normal_iteratorINS9_10device_ptrIfEEEESE_fNS9_4plusIvEEfEEDaPvRmT3_T4_T5_mT6_P12ihipStream_tbENKUlT_T0_E_clISt17integral_constantIbLb1EESU_EEDaSP_SQ_EUlSP_E_NS1_11comp_targetILNS1_3genE2ELNS1_11target_archE906ELNS1_3gpuE6ELNS1_3repE0EEENS1_30default_config_static_selectorELNS0_4arch9wavefront6targetE1EEEvT1_,comdat
	.protected	_ZN7rocprim17ROCPRIM_400000_NS6detail17trampoline_kernelINS0_14default_configENS1_20scan_config_selectorIfEEZZNS1_9scan_implILNS1_25lookback_scan_determinismE0ELb1ELb1ES3_N6thrust23THRUST_200600_302600_NS6detail15normal_iteratorINS9_10device_ptrIfEEEESE_fNS9_4plusIvEEfEEDaPvRmT3_T4_T5_mT6_P12ihipStream_tbENKUlT_T0_E_clISt17integral_constantIbLb1EESU_EEDaSP_SQ_EUlSP_E_NS1_11comp_targetILNS1_3genE2ELNS1_11target_archE906ELNS1_3gpuE6ELNS1_3repE0EEENS1_30default_config_static_selectorELNS0_4arch9wavefront6targetE1EEEvT1_ ; -- Begin function _ZN7rocprim17ROCPRIM_400000_NS6detail17trampoline_kernelINS0_14default_configENS1_20scan_config_selectorIfEEZZNS1_9scan_implILNS1_25lookback_scan_determinismE0ELb1ELb1ES3_N6thrust23THRUST_200600_302600_NS6detail15normal_iteratorINS9_10device_ptrIfEEEESE_fNS9_4plusIvEEfEEDaPvRmT3_T4_T5_mT6_P12ihipStream_tbENKUlT_T0_E_clISt17integral_constantIbLb1EESU_EEDaSP_SQ_EUlSP_E_NS1_11comp_targetILNS1_3genE2ELNS1_11target_archE906ELNS1_3gpuE6ELNS1_3repE0EEENS1_30default_config_static_selectorELNS0_4arch9wavefront6targetE1EEEvT1_
	.globl	_ZN7rocprim17ROCPRIM_400000_NS6detail17trampoline_kernelINS0_14default_configENS1_20scan_config_selectorIfEEZZNS1_9scan_implILNS1_25lookback_scan_determinismE0ELb1ELb1ES3_N6thrust23THRUST_200600_302600_NS6detail15normal_iteratorINS9_10device_ptrIfEEEESE_fNS9_4plusIvEEfEEDaPvRmT3_T4_T5_mT6_P12ihipStream_tbENKUlT_T0_E_clISt17integral_constantIbLb1EESU_EEDaSP_SQ_EUlSP_E_NS1_11comp_targetILNS1_3genE2ELNS1_11target_archE906ELNS1_3gpuE6ELNS1_3repE0EEENS1_30default_config_static_selectorELNS0_4arch9wavefront6targetE1EEEvT1_
	.p2align	8
	.type	_ZN7rocprim17ROCPRIM_400000_NS6detail17trampoline_kernelINS0_14default_configENS1_20scan_config_selectorIfEEZZNS1_9scan_implILNS1_25lookback_scan_determinismE0ELb1ELb1ES3_N6thrust23THRUST_200600_302600_NS6detail15normal_iteratorINS9_10device_ptrIfEEEESE_fNS9_4plusIvEEfEEDaPvRmT3_T4_T5_mT6_P12ihipStream_tbENKUlT_T0_E_clISt17integral_constantIbLb1EESU_EEDaSP_SQ_EUlSP_E_NS1_11comp_targetILNS1_3genE2ELNS1_11target_archE906ELNS1_3gpuE6ELNS1_3repE0EEENS1_30default_config_static_selectorELNS0_4arch9wavefront6targetE1EEEvT1_,@function
_ZN7rocprim17ROCPRIM_400000_NS6detail17trampoline_kernelINS0_14default_configENS1_20scan_config_selectorIfEEZZNS1_9scan_implILNS1_25lookback_scan_determinismE0ELb1ELb1ES3_N6thrust23THRUST_200600_302600_NS6detail15normal_iteratorINS9_10device_ptrIfEEEESE_fNS9_4plusIvEEfEEDaPvRmT3_T4_T5_mT6_P12ihipStream_tbENKUlT_T0_E_clISt17integral_constantIbLb1EESU_EEDaSP_SQ_EUlSP_E_NS1_11comp_targetILNS1_3genE2ELNS1_11target_archE906ELNS1_3gpuE6ELNS1_3repE0EEENS1_30default_config_static_selectorELNS0_4arch9wavefront6targetE1EEEvT1_: ; @_ZN7rocprim17ROCPRIM_400000_NS6detail17trampoline_kernelINS0_14default_configENS1_20scan_config_selectorIfEEZZNS1_9scan_implILNS1_25lookback_scan_determinismE0ELb1ELb1ES3_N6thrust23THRUST_200600_302600_NS6detail15normal_iteratorINS9_10device_ptrIfEEEESE_fNS9_4plusIvEEfEEDaPvRmT3_T4_T5_mT6_P12ihipStream_tbENKUlT_T0_E_clISt17integral_constantIbLb1EESU_EEDaSP_SQ_EUlSP_E_NS1_11comp_targetILNS1_3genE2ELNS1_11target_archE906ELNS1_3gpuE6ELNS1_3repE0EEENS1_30default_config_static_selectorELNS0_4arch9wavefront6targetE1EEEvT1_
; %bb.0:
	.section	.rodata,"a",@progbits
	.p2align	6, 0x0
	.amdhsa_kernel _ZN7rocprim17ROCPRIM_400000_NS6detail17trampoline_kernelINS0_14default_configENS1_20scan_config_selectorIfEEZZNS1_9scan_implILNS1_25lookback_scan_determinismE0ELb1ELb1ES3_N6thrust23THRUST_200600_302600_NS6detail15normal_iteratorINS9_10device_ptrIfEEEESE_fNS9_4plusIvEEfEEDaPvRmT3_T4_T5_mT6_P12ihipStream_tbENKUlT_T0_E_clISt17integral_constantIbLb1EESU_EEDaSP_SQ_EUlSP_E_NS1_11comp_targetILNS1_3genE2ELNS1_11target_archE906ELNS1_3gpuE6ELNS1_3repE0EEENS1_30default_config_static_selectorELNS0_4arch9wavefront6targetE1EEEvT1_
		.amdhsa_group_segment_fixed_size 0
		.amdhsa_private_segment_fixed_size 0
		.amdhsa_kernarg_size 96
		.amdhsa_user_sgpr_count 6
		.amdhsa_user_sgpr_private_segment_buffer 1
		.amdhsa_user_sgpr_dispatch_ptr 0
		.amdhsa_user_sgpr_queue_ptr 0
		.amdhsa_user_sgpr_kernarg_segment_ptr 1
		.amdhsa_user_sgpr_dispatch_id 0
		.amdhsa_user_sgpr_flat_scratch_init 0
		.amdhsa_user_sgpr_kernarg_preload_length 0
		.amdhsa_user_sgpr_kernarg_preload_offset 0
		.amdhsa_user_sgpr_private_segment_size 0
		.amdhsa_uses_dynamic_stack 0
		.amdhsa_system_sgpr_private_segment_wavefront_offset 0
		.amdhsa_system_sgpr_workgroup_id_x 1
		.amdhsa_system_sgpr_workgroup_id_y 0
		.amdhsa_system_sgpr_workgroup_id_z 0
		.amdhsa_system_sgpr_workgroup_info 0
		.amdhsa_system_vgpr_workitem_id 0
		.amdhsa_next_free_vgpr 1
		.amdhsa_next_free_sgpr 0
		.amdhsa_accum_offset 4
		.amdhsa_reserve_vcc 0
		.amdhsa_reserve_flat_scratch 0
		.amdhsa_float_round_mode_32 0
		.amdhsa_float_round_mode_16_64 0
		.amdhsa_float_denorm_mode_32 3
		.amdhsa_float_denorm_mode_16_64 3
		.amdhsa_dx10_clamp 1
		.amdhsa_ieee_mode 1
		.amdhsa_fp16_overflow 0
		.amdhsa_tg_split 0
		.amdhsa_exception_fp_ieee_invalid_op 0
		.amdhsa_exception_fp_denorm_src 0
		.amdhsa_exception_fp_ieee_div_zero 0
		.amdhsa_exception_fp_ieee_overflow 0
		.amdhsa_exception_fp_ieee_underflow 0
		.amdhsa_exception_fp_ieee_inexact 0
		.amdhsa_exception_int_div_zero 0
	.end_amdhsa_kernel
	.section	.text._ZN7rocprim17ROCPRIM_400000_NS6detail17trampoline_kernelINS0_14default_configENS1_20scan_config_selectorIfEEZZNS1_9scan_implILNS1_25lookback_scan_determinismE0ELb1ELb1ES3_N6thrust23THRUST_200600_302600_NS6detail15normal_iteratorINS9_10device_ptrIfEEEESE_fNS9_4plusIvEEfEEDaPvRmT3_T4_T5_mT6_P12ihipStream_tbENKUlT_T0_E_clISt17integral_constantIbLb1EESU_EEDaSP_SQ_EUlSP_E_NS1_11comp_targetILNS1_3genE2ELNS1_11target_archE906ELNS1_3gpuE6ELNS1_3repE0EEENS1_30default_config_static_selectorELNS0_4arch9wavefront6targetE1EEEvT1_,"axG",@progbits,_ZN7rocprim17ROCPRIM_400000_NS6detail17trampoline_kernelINS0_14default_configENS1_20scan_config_selectorIfEEZZNS1_9scan_implILNS1_25lookback_scan_determinismE0ELb1ELb1ES3_N6thrust23THRUST_200600_302600_NS6detail15normal_iteratorINS9_10device_ptrIfEEEESE_fNS9_4plusIvEEfEEDaPvRmT3_T4_T5_mT6_P12ihipStream_tbENKUlT_T0_E_clISt17integral_constantIbLb1EESU_EEDaSP_SQ_EUlSP_E_NS1_11comp_targetILNS1_3genE2ELNS1_11target_archE906ELNS1_3gpuE6ELNS1_3repE0EEENS1_30default_config_static_selectorELNS0_4arch9wavefront6targetE1EEEvT1_,comdat
.Lfunc_end4380:
	.size	_ZN7rocprim17ROCPRIM_400000_NS6detail17trampoline_kernelINS0_14default_configENS1_20scan_config_selectorIfEEZZNS1_9scan_implILNS1_25lookback_scan_determinismE0ELb1ELb1ES3_N6thrust23THRUST_200600_302600_NS6detail15normal_iteratorINS9_10device_ptrIfEEEESE_fNS9_4plusIvEEfEEDaPvRmT3_T4_T5_mT6_P12ihipStream_tbENKUlT_T0_E_clISt17integral_constantIbLb1EESU_EEDaSP_SQ_EUlSP_E_NS1_11comp_targetILNS1_3genE2ELNS1_11target_archE906ELNS1_3gpuE6ELNS1_3repE0EEENS1_30default_config_static_selectorELNS0_4arch9wavefront6targetE1EEEvT1_, .Lfunc_end4380-_ZN7rocprim17ROCPRIM_400000_NS6detail17trampoline_kernelINS0_14default_configENS1_20scan_config_selectorIfEEZZNS1_9scan_implILNS1_25lookback_scan_determinismE0ELb1ELb1ES3_N6thrust23THRUST_200600_302600_NS6detail15normal_iteratorINS9_10device_ptrIfEEEESE_fNS9_4plusIvEEfEEDaPvRmT3_T4_T5_mT6_P12ihipStream_tbENKUlT_T0_E_clISt17integral_constantIbLb1EESU_EEDaSP_SQ_EUlSP_E_NS1_11comp_targetILNS1_3genE2ELNS1_11target_archE906ELNS1_3gpuE6ELNS1_3repE0EEENS1_30default_config_static_selectorELNS0_4arch9wavefront6targetE1EEEvT1_
                                        ; -- End function
	.section	.AMDGPU.csdata,"",@progbits
; Kernel info:
; codeLenInByte = 0
; NumSgprs: 4
; NumVgprs: 0
; NumAgprs: 0
; TotalNumVgprs: 0
; ScratchSize: 0
; MemoryBound: 0
; FloatMode: 240
; IeeeMode: 1
; LDSByteSize: 0 bytes/workgroup (compile time only)
; SGPRBlocks: 0
; VGPRBlocks: 0
; NumSGPRsForWavesPerEU: 4
; NumVGPRsForWavesPerEU: 1
; AccumOffset: 4
; Occupancy: 8
; WaveLimiterHint : 0
; COMPUTE_PGM_RSRC2:SCRATCH_EN: 0
; COMPUTE_PGM_RSRC2:USER_SGPR: 6
; COMPUTE_PGM_RSRC2:TRAP_HANDLER: 0
; COMPUTE_PGM_RSRC2:TGID_X_EN: 1
; COMPUTE_PGM_RSRC2:TGID_Y_EN: 0
; COMPUTE_PGM_RSRC2:TGID_Z_EN: 0
; COMPUTE_PGM_RSRC2:TIDIG_COMP_CNT: 0
; COMPUTE_PGM_RSRC3_GFX90A:ACCUM_OFFSET: 0
; COMPUTE_PGM_RSRC3_GFX90A:TG_SPLIT: 0
	.section	.text._ZN7rocprim17ROCPRIM_400000_NS6detail17trampoline_kernelINS0_14default_configENS1_20scan_config_selectorIfEEZZNS1_9scan_implILNS1_25lookback_scan_determinismE0ELb1ELb1ES3_N6thrust23THRUST_200600_302600_NS6detail15normal_iteratorINS9_10device_ptrIfEEEESE_fNS9_4plusIvEEfEEDaPvRmT3_T4_T5_mT6_P12ihipStream_tbENKUlT_T0_E_clISt17integral_constantIbLb1EESU_EEDaSP_SQ_EUlSP_E_NS1_11comp_targetILNS1_3genE10ELNS1_11target_archE1201ELNS1_3gpuE5ELNS1_3repE0EEENS1_30default_config_static_selectorELNS0_4arch9wavefront6targetE1EEEvT1_,"axG",@progbits,_ZN7rocprim17ROCPRIM_400000_NS6detail17trampoline_kernelINS0_14default_configENS1_20scan_config_selectorIfEEZZNS1_9scan_implILNS1_25lookback_scan_determinismE0ELb1ELb1ES3_N6thrust23THRUST_200600_302600_NS6detail15normal_iteratorINS9_10device_ptrIfEEEESE_fNS9_4plusIvEEfEEDaPvRmT3_T4_T5_mT6_P12ihipStream_tbENKUlT_T0_E_clISt17integral_constantIbLb1EESU_EEDaSP_SQ_EUlSP_E_NS1_11comp_targetILNS1_3genE10ELNS1_11target_archE1201ELNS1_3gpuE5ELNS1_3repE0EEENS1_30default_config_static_selectorELNS0_4arch9wavefront6targetE1EEEvT1_,comdat
	.protected	_ZN7rocprim17ROCPRIM_400000_NS6detail17trampoline_kernelINS0_14default_configENS1_20scan_config_selectorIfEEZZNS1_9scan_implILNS1_25lookback_scan_determinismE0ELb1ELb1ES3_N6thrust23THRUST_200600_302600_NS6detail15normal_iteratorINS9_10device_ptrIfEEEESE_fNS9_4plusIvEEfEEDaPvRmT3_T4_T5_mT6_P12ihipStream_tbENKUlT_T0_E_clISt17integral_constantIbLb1EESU_EEDaSP_SQ_EUlSP_E_NS1_11comp_targetILNS1_3genE10ELNS1_11target_archE1201ELNS1_3gpuE5ELNS1_3repE0EEENS1_30default_config_static_selectorELNS0_4arch9wavefront6targetE1EEEvT1_ ; -- Begin function _ZN7rocprim17ROCPRIM_400000_NS6detail17trampoline_kernelINS0_14default_configENS1_20scan_config_selectorIfEEZZNS1_9scan_implILNS1_25lookback_scan_determinismE0ELb1ELb1ES3_N6thrust23THRUST_200600_302600_NS6detail15normal_iteratorINS9_10device_ptrIfEEEESE_fNS9_4plusIvEEfEEDaPvRmT3_T4_T5_mT6_P12ihipStream_tbENKUlT_T0_E_clISt17integral_constantIbLb1EESU_EEDaSP_SQ_EUlSP_E_NS1_11comp_targetILNS1_3genE10ELNS1_11target_archE1201ELNS1_3gpuE5ELNS1_3repE0EEENS1_30default_config_static_selectorELNS0_4arch9wavefront6targetE1EEEvT1_
	.globl	_ZN7rocprim17ROCPRIM_400000_NS6detail17trampoline_kernelINS0_14default_configENS1_20scan_config_selectorIfEEZZNS1_9scan_implILNS1_25lookback_scan_determinismE0ELb1ELb1ES3_N6thrust23THRUST_200600_302600_NS6detail15normal_iteratorINS9_10device_ptrIfEEEESE_fNS9_4plusIvEEfEEDaPvRmT3_T4_T5_mT6_P12ihipStream_tbENKUlT_T0_E_clISt17integral_constantIbLb1EESU_EEDaSP_SQ_EUlSP_E_NS1_11comp_targetILNS1_3genE10ELNS1_11target_archE1201ELNS1_3gpuE5ELNS1_3repE0EEENS1_30default_config_static_selectorELNS0_4arch9wavefront6targetE1EEEvT1_
	.p2align	8
	.type	_ZN7rocprim17ROCPRIM_400000_NS6detail17trampoline_kernelINS0_14default_configENS1_20scan_config_selectorIfEEZZNS1_9scan_implILNS1_25lookback_scan_determinismE0ELb1ELb1ES3_N6thrust23THRUST_200600_302600_NS6detail15normal_iteratorINS9_10device_ptrIfEEEESE_fNS9_4plusIvEEfEEDaPvRmT3_T4_T5_mT6_P12ihipStream_tbENKUlT_T0_E_clISt17integral_constantIbLb1EESU_EEDaSP_SQ_EUlSP_E_NS1_11comp_targetILNS1_3genE10ELNS1_11target_archE1201ELNS1_3gpuE5ELNS1_3repE0EEENS1_30default_config_static_selectorELNS0_4arch9wavefront6targetE1EEEvT1_,@function
_ZN7rocprim17ROCPRIM_400000_NS6detail17trampoline_kernelINS0_14default_configENS1_20scan_config_selectorIfEEZZNS1_9scan_implILNS1_25lookback_scan_determinismE0ELb1ELb1ES3_N6thrust23THRUST_200600_302600_NS6detail15normal_iteratorINS9_10device_ptrIfEEEESE_fNS9_4plusIvEEfEEDaPvRmT3_T4_T5_mT6_P12ihipStream_tbENKUlT_T0_E_clISt17integral_constantIbLb1EESU_EEDaSP_SQ_EUlSP_E_NS1_11comp_targetILNS1_3genE10ELNS1_11target_archE1201ELNS1_3gpuE5ELNS1_3repE0EEENS1_30default_config_static_selectorELNS0_4arch9wavefront6targetE1EEEvT1_: ; @_ZN7rocprim17ROCPRIM_400000_NS6detail17trampoline_kernelINS0_14default_configENS1_20scan_config_selectorIfEEZZNS1_9scan_implILNS1_25lookback_scan_determinismE0ELb1ELb1ES3_N6thrust23THRUST_200600_302600_NS6detail15normal_iteratorINS9_10device_ptrIfEEEESE_fNS9_4plusIvEEfEEDaPvRmT3_T4_T5_mT6_P12ihipStream_tbENKUlT_T0_E_clISt17integral_constantIbLb1EESU_EEDaSP_SQ_EUlSP_E_NS1_11comp_targetILNS1_3genE10ELNS1_11target_archE1201ELNS1_3gpuE5ELNS1_3repE0EEENS1_30default_config_static_selectorELNS0_4arch9wavefront6targetE1EEEvT1_
; %bb.0:
	.section	.rodata,"a",@progbits
	.p2align	6, 0x0
	.amdhsa_kernel _ZN7rocprim17ROCPRIM_400000_NS6detail17trampoline_kernelINS0_14default_configENS1_20scan_config_selectorIfEEZZNS1_9scan_implILNS1_25lookback_scan_determinismE0ELb1ELb1ES3_N6thrust23THRUST_200600_302600_NS6detail15normal_iteratorINS9_10device_ptrIfEEEESE_fNS9_4plusIvEEfEEDaPvRmT3_T4_T5_mT6_P12ihipStream_tbENKUlT_T0_E_clISt17integral_constantIbLb1EESU_EEDaSP_SQ_EUlSP_E_NS1_11comp_targetILNS1_3genE10ELNS1_11target_archE1201ELNS1_3gpuE5ELNS1_3repE0EEENS1_30default_config_static_selectorELNS0_4arch9wavefront6targetE1EEEvT1_
		.amdhsa_group_segment_fixed_size 0
		.amdhsa_private_segment_fixed_size 0
		.amdhsa_kernarg_size 96
		.amdhsa_user_sgpr_count 6
		.amdhsa_user_sgpr_private_segment_buffer 1
		.amdhsa_user_sgpr_dispatch_ptr 0
		.amdhsa_user_sgpr_queue_ptr 0
		.amdhsa_user_sgpr_kernarg_segment_ptr 1
		.amdhsa_user_sgpr_dispatch_id 0
		.amdhsa_user_sgpr_flat_scratch_init 0
		.amdhsa_user_sgpr_kernarg_preload_length 0
		.amdhsa_user_sgpr_kernarg_preload_offset 0
		.amdhsa_user_sgpr_private_segment_size 0
		.amdhsa_uses_dynamic_stack 0
		.amdhsa_system_sgpr_private_segment_wavefront_offset 0
		.amdhsa_system_sgpr_workgroup_id_x 1
		.amdhsa_system_sgpr_workgroup_id_y 0
		.amdhsa_system_sgpr_workgroup_id_z 0
		.amdhsa_system_sgpr_workgroup_info 0
		.amdhsa_system_vgpr_workitem_id 0
		.amdhsa_next_free_vgpr 1
		.amdhsa_next_free_sgpr 0
		.amdhsa_accum_offset 4
		.amdhsa_reserve_vcc 0
		.amdhsa_reserve_flat_scratch 0
		.amdhsa_float_round_mode_32 0
		.amdhsa_float_round_mode_16_64 0
		.amdhsa_float_denorm_mode_32 3
		.amdhsa_float_denorm_mode_16_64 3
		.amdhsa_dx10_clamp 1
		.amdhsa_ieee_mode 1
		.amdhsa_fp16_overflow 0
		.amdhsa_tg_split 0
		.amdhsa_exception_fp_ieee_invalid_op 0
		.amdhsa_exception_fp_denorm_src 0
		.amdhsa_exception_fp_ieee_div_zero 0
		.amdhsa_exception_fp_ieee_overflow 0
		.amdhsa_exception_fp_ieee_underflow 0
		.amdhsa_exception_fp_ieee_inexact 0
		.amdhsa_exception_int_div_zero 0
	.end_amdhsa_kernel
	.section	.text._ZN7rocprim17ROCPRIM_400000_NS6detail17trampoline_kernelINS0_14default_configENS1_20scan_config_selectorIfEEZZNS1_9scan_implILNS1_25lookback_scan_determinismE0ELb1ELb1ES3_N6thrust23THRUST_200600_302600_NS6detail15normal_iteratorINS9_10device_ptrIfEEEESE_fNS9_4plusIvEEfEEDaPvRmT3_T4_T5_mT6_P12ihipStream_tbENKUlT_T0_E_clISt17integral_constantIbLb1EESU_EEDaSP_SQ_EUlSP_E_NS1_11comp_targetILNS1_3genE10ELNS1_11target_archE1201ELNS1_3gpuE5ELNS1_3repE0EEENS1_30default_config_static_selectorELNS0_4arch9wavefront6targetE1EEEvT1_,"axG",@progbits,_ZN7rocprim17ROCPRIM_400000_NS6detail17trampoline_kernelINS0_14default_configENS1_20scan_config_selectorIfEEZZNS1_9scan_implILNS1_25lookback_scan_determinismE0ELb1ELb1ES3_N6thrust23THRUST_200600_302600_NS6detail15normal_iteratorINS9_10device_ptrIfEEEESE_fNS9_4plusIvEEfEEDaPvRmT3_T4_T5_mT6_P12ihipStream_tbENKUlT_T0_E_clISt17integral_constantIbLb1EESU_EEDaSP_SQ_EUlSP_E_NS1_11comp_targetILNS1_3genE10ELNS1_11target_archE1201ELNS1_3gpuE5ELNS1_3repE0EEENS1_30default_config_static_selectorELNS0_4arch9wavefront6targetE1EEEvT1_,comdat
.Lfunc_end4381:
	.size	_ZN7rocprim17ROCPRIM_400000_NS6detail17trampoline_kernelINS0_14default_configENS1_20scan_config_selectorIfEEZZNS1_9scan_implILNS1_25lookback_scan_determinismE0ELb1ELb1ES3_N6thrust23THRUST_200600_302600_NS6detail15normal_iteratorINS9_10device_ptrIfEEEESE_fNS9_4plusIvEEfEEDaPvRmT3_T4_T5_mT6_P12ihipStream_tbENKUlT_T0_E_clISt17integral_constantIbLb1EESU_EEDaSP_SQ_EUlSP_E_NS1_11comp_targetILNS1_3genE10ELNS1_11target_archE1201ELNS1_3gpuE5ELNS1_3repE0EEENS1_30default_config_static_selectorELNS0_4arch9wavefront6targetE1EEEvT1_, .Lfunc_end4381-_ZN7rocprim17ROCPRIM_400000_NS6detail17trampoline_kernelINS0_14default_configENS1_20scan_config_selectorIfEEZZNS1_9scan_implILNS1_25lookback_scan_determinismE0ELb1ELb1ES3_N6thrust23THRUST_200600_302600_NS6detail15normal_iteratorINS9_10device_ptrIfEEEESE_fNS9_4plusIvEEfEEDaPvRmT3_T4_T5_mT6_P12ihipStream_tbENKUlT_T0_E_clISt17integral_constantIbLb1EESU_EEDaSP_SQ_EUlSP_E_NS1_11comp_targetILNS1_3genE10ELNS1_11target_archE1201ELNS1_3gpuE5ELNS1_3repE0EEENS1_30default_config_static_selectorELNS0_4arch9wavefront6targetE1EEEvT1_
                                        ; -- End function
	.section	.AMDGPU.csdata,"",@progbits
; Kernel info:
; codeLenInByte = 0
; NumSgprs: 4
; NumVgprs: 0
; NumAgprs: 0
; TotalNumVgprs: 0
; ScratchSize: 0
; MemoryBound: 0
; FloatMode: 240
; IeeeMode: 1
; LDSByteSize: 0 bytes/workgroup (compile time only)
; SGPRBlocks: 0
; VGPRBlocks: 0
; NumSGPRsForWavesPerEU: 4
; NumVGPRsForWavesPerEU: 1
; AccumOffset: 4
; Occupancy: 8
; WaveLimiterHint : 0
; COMPUTE_PGM_RSRC2:SCRATCH_EN: 0
; COMPUTE_PGM_RSRC2:USER_SGPR: 6
; COMPUTE_PGM_RSRC2:TRAP_HANDLER: 0
; COMPUTE_PGM_RSRC2:TGID_X_EN: 1
; COMPUTE_PGM_RSRC2:TGID_Y_EN: 0
; COMPUTE_PGM_RSRC2:TGID_Z_EN: 0
; COMPUTE_PGM_RSRC2:TIDIG_COMP_CNT: 0
; COMPUTE_PGM_RSRC3_GFX90A:ACCUM_OFFSET: 0
; COMPUTE_PGM_RSRC3_GFX90A:TG_SPLIT: 0
	.section	.text._ZN7rocprim17ROCPRIM_400000_NS6detail17trampoline_kernelINS0_14default_configENS1_20scan_config_selectorIfEEZZNS1_9scan_implILNS1_25lookback_scan_determinismE0ELb1ELb1ES3_N6thrust23THRUST_200600_302600_NS6detail15normal_iteratorINS9_10device_ptrIfEEEESE_fNS9_4plusIvEEfEEDaPvRmT3_T4_T5_mT6_P12ihipStream_tbENKUlT_T0_E_clISt17integral_constantIbLb1EESU_EEDaSP_SQ_EUlSP_E_NS1_11comp_targetILNS1_3genE10ELNS1_11target_archE1200ELNS1_3gpuE4ELNS1_3repE0EEENS1_30default_config_static_selectorELNS0_4arch9wavefront6targetE1EEEvT1_,"axG",@progbits,_ZN7rocprim17ROCPRIM_400000_NS6detail17trampoline_kernelINS0_14default_configENS1_20scan_config_selectorIfEEZZNS1_9scan_implILNS1_25lookback_scan_determinismE0ELb1ELb1ES3_N6thrust23THRUST_200600_302600_NS6detail15normal_iteratorINS9_10device_ptrIfEEEESE_fNS9_4plusIvEEfEEDaPvRmT3_T4_T5_mT6_P12ihipStream_tbENKUlT_T0_E_clISt17integral_constantIbLb1EESU_EEDaSP_SQ_EUlSP_E_NS1_11comp_targetILNS1_3genE10ELNS1_11target_archE1200ELNS1_3gpuE4ELNS1_3repE0EEENS1_30default_config_static_selectorELNS0_4arch9wavefront6targetE1EEEvT1_,comdat
	.protected	_ZN7rocprim17ROCPRIM_400000_NS6detail17trampoline_kernelINS0_14default_configENS1_20scan_config_selectorIfEEZZNS1_9scan_implILNS1_25lookback_scan_determinismE0ELb1ELb1ES3_N6thrust23THRUST_200600_302600_NS6detail15normal_iteratorINS9_10device_ptrIfEEEESE_fNS9_4plusIvEEfEEDaPvRmT3_T4_T5_mT6_P12ihipStream_tbENKUlT_T0_E_clISt17integral_constantIbLb1EESU_EEDaSP_SQ_EUlSP_E_NS1_11comp_targetILNS1_3genE10ELNS1_11target_archE1200ELNS1_3gpuE4ELNS1_3repE0EEENS1_30default_config_static_selectorELNS0_4arch9wavefront6targetE1EEEvT1_ ; -- Begin function _ZN7rocprim17ROCPRIM_400000_NS6detail17trampoline_kernelINS0_14default_configENS1_20scan_config_selectorIfEEZZNS1_9scan_implILNS1_25lookback_scan_determinismE0ELb1ELb1ES3_N6thrust23THRUST_200600_302600_NS6detail15normal_iteratorINS9_10device_ptrIfEEEESE_fNS9_4plusIvEEfEEDaPvRmT3_T4_T5_mT6_P12ihipStream_tbENKUlT_T0_E_clISt17integral_constantIbLb1EESU_EEDaSP_SQ_EUlSP_E_NS1_11comp_targetILNS1_3genE10ELNS1_11target_archE1200ELNS1_3gpuE4ELNS1_3repE0EEENS1_30default_config_static_selectorELNS0_4arch9wavefront6targetE1EEEvT1_
	.globl	_ZN7rocprim17ROCPRIM_400000_NS6detail17trampoline_kernelINS0_14default_configENS1_20scan_config_selectorIfEEZZNS1_9scan_implILNS1_25lookback_scan_determinismE0ELb1ELb1ES3_N6thrust23THRUST_200600_302600_NS6detail15normal_iteratorINS9_10device_ptrIfEEEESE_fNS9_4plusIvEEfEEDaPvRmT3_T4_T5_mT6_P12ihipStream_tbENKUlT_T0_E_clISt17integral_constantIbLb1EESU_EEDaSP_SQ_EUlSP_E_NS1_11comp_targetILNS1_3genE10ELNS1_11target_archE1200ELNS1_3gpuE4ELNS1_3repE0EEENS1_30default_config_static_selectorELNS0_4arch9wavefront6targetE1EEEvT1_
	.p2align	8
	.type	_ZN7rocprim17ROCPRIM_400000_NS6detail17trampoline_kernelINS0_14default_configENS1_20scan_config_selectorIfEEZZNS1_9scan_implILNS1_25lookback_scan_determinismE0ELb1ELb1ES3_N6thrust23THRUST_200600_302600_NS6detail15normal_iteratorINS9_10device_ptrIfEEEESE_fNS9_4plusIvEEfEEDaPvRmT3_T4_T5_mT6_P12ihipStream_tbENKUlT_T0_E_clISt17integral_constantIbLb1EESU_EEDaSP_SQ_EUlSP_E_NS1_11comp_targetILNS1_3genE10ELNS1_11target_archE1200ELNS1_3gpuE4ELNS1_3repE0EEENS1_30default_config_static_selectorELNS0_4arch9wavefront6targetE1EEEvT1_,@function
_ZN7rocprim17ROCPRIM_400000_NS6detail17trampoline_kernelINS0_14default_configENS1_20scan_config_selectorIfEEZZNS1_9scan_implILNS1_25lookback_scan_determinismE0ELb1ELb1ES3_N6thrust23THRUST_200600_302600_NS6detail15normal_iteratorINS9_10device_ptrIfEEEESE_fNS9_4plusIvEEfEEDaPvRmT3_T4_T5_mT6_P12ihipStream_tbENKUlT_T0_E_clISt17integral_constantIbLb1EESU_EEDaSP_SQ_EUlSP_E_NS1_11comp_targetILNS1_3genE10ELNS1_11target_archE1200ELNS1_3gpuE4ELNS1_3repE0EEENS1_30default_config_static_selectorELNS0_4arch9wavefront6targetE1EEEvT1_: ; @_ZN7rocprim17ROCPRIM_400000_NS6detail17trampoline_kernelINS0_14default_configENS1_20scan_config_selectorIfEEZZNS1_9scan_implILNS1_25lookback_scan_determinismE0ELb1ELb1ES3_N6thrust23THRUST_200600_302600_NS6detail15normal_iteratorINS9_10device_ptrIfEEEESE_fNS9_4plusIvEEfEEDaPvRmT3_T4_T5_mT6_P12ihipStream_tbENKUlT_T0_E_clISt17integral_constantIbLb1EESU_EEDaSP_SQ_EUlSP_E_NS1_11comp_targetILNS1_3genE10ELNS1_11target_archE1200ELNS1_3gpuE4ELNS1_3repE0EEENS1_30default_config_static_selectorELNS0_4arch9wavefront6targetE1EEEvT1_
; %bb.0:
	.section	.rodata,"a",@progbits
	.p2align	6, 0x0
	.amdhsa_kernel _ZN7rocprim17ROCPRIM_400000_NS6detail17trampoline_kernelINS0_14default_configENS1_20scan_config_selectorIfEEZZNS1_9scan_implILNS1_25lookback_scan_determinismE0ELb1ELb1ES3_N6thrust23THRUST_200600_302600_NS6detail15normal_iteratorINS9_10device_ptrIfEEEESE_fNS9_4plusIvEEfEEDaPvRmT3_T4_T5_mT6_P12ihipStream_tbENKUlT_T0_E_clISt17integral_constantIbLb1EESU_EEDaSP_SQ_EUlSP_E_NS1_11comp_targetILNS1_3genE10ELNS1_11target_archE1200ELNS1_3gpuE4ELNS1_3repE0EEENS1_30default_config_static_selectorELNS0_4arch9wavefront6targetE1EEEvT1_
		.amdhsa_group_segment_fixed_size 0
		.amdhsa_private_segment_fixed_size 0
		.amdhsa_kernarg_size 96
		.amdhsa_user_sgpr_count 6
		.amdhsa_user_sgpr_private_segment_buffer 1
		.amdhsa_user_sgpr_dispatch_ptr 0
		.amdhsa_user_sgpr_queue_ptr 0
		.amdhsa_user_sgpr_kernarg_segment_ptr 1
		.amdhsa_user_sgpr_dispatch_id 0
		.amdhsa_user_sgpr_flat_scratch_init 0
		.amdhsa_user_sgpr_kernarg_preload_length 0
		.amdhsa_user_sgpr_kernarg_preload_offset 0
		.amdhsa_user_sgpr_private_segment_size 0
		.amdhsa_uses_dynamic_stack 0
		.amdhsa_system_sgpr_private_segment_wavefront_offset 0
		.amdhsa_system_sgpr_workgroup_id_x 1
		.amdhsa_system_sgpr_workgroup_id_y 0
		.amdhsa_system_sgpr_workgroup_id_z 0
		.amdhsa_system_sgpr_workgroup_info 0
		.amdhsa_system_vgpr_workitem_id 0
		.amdhsa_next_free_vgpr 1
		.amdhsa_next_free_sgpr 0
		.amdhsa_accum_offset 4
		.amdhsa_reserve_vcc 0
		.amdhsa_reserve_flat_scratch 0
		.amdhsa_float_round_mode_32 0
		.amdhsa_float_round_mode_16_64 0
		.amdhsa_float_denorm_mode_32 3
		.amdhsa_float_denorm_mode_16_64 3
		.amdhsa_dx10_clamp 1
		.amdhsa_ieee_mode 1
		.amdhsa_fp16_overflow 0
		.amdhsa_tg_split 0
		.amdhsa_exception_fp_ieee_invalid_op 0
		.amdhsa_exception_fp_denorm_src 0
		.amdhsa_exception_fp_ieee_div_zero 0
		.amdhsa_exception_fp_ieee_overflow 0
		.amdhsa_exception_fp_ieee_underflow 0
		.amdhsa_exception_fp_ieee_inexact 0
		.amdhsa_exception_int_div_zero 0
	.end_amdhsa_kernel
	.section	.text._ZN7rocprim17ROCPRIM_400000_NS6detail17trampoline_kernelINS0_14default_configENS1_20scan_config_selectorIfEEZZNS1_9scan_implILNS1_25lookback_scan_determinismE0ELb1ELb1ES3_N6thrust23THRUST_200600_302600_NS6detail15normal_iteratorINS9_10device_ptrIfEEEESE_fNS9_4plusIvEEfEEDaPvRmT3_T4_T5_mT6_P12ihipStream_tbENKUlT_T0_E_clISt17integral_constantIbLb1EESU_EEDaSP_SQ_EUlSP_E_NS1_11comp_targetILNS1_3genE10ELNS1_11target_archE1200ELNS1_3gpuE4ELNS1_3repE0EEENS1_30default_config_static_selectorELNS0_4arch9wavefront6targetE1EEEvT1_,"axG",@progbits,_ZN7rocprim17ROCPRIM_400000_NS6detail17trampoline_kernelINS0_14default_configENS1_20scan_config_selectorIfEEZZNS1_9scan_implILNS1_25lookback_scan_determinismE0ELb1ELb1ES3_N6thrust23THRUST_200600_302600_NS6detail15normal_iteratorINS9_10device_ptrIfEEEESE_fNS9_4plusIvEEfEEDaPvRmT3_T4_T5_mT6_P12ihipStream_tbENKUlT_T0_E_clISt17integral_constantIbLb1EESU_EEDaSP_SQ_EUlSP_E_NS1_11comp_targetILNS1_3genE10ELNS1_11target_archE1200ELNS1_3gpuE4ELNS1_3repE0EEENS1_30default_config_static_selectorELNS0_4arch9wavefront6targetE1EEEvT1_,comdat
.Lfunc_end4382:
	.size	_ZN7rocprim17ROCPRIM_400000_NS6detail17trampoline_kernelINS0_14default_configENS1_20scan_config_selectorIfEEZZNS1_9scan_implILNS1_25lookback_scan_determinismE0ELb1ELb1ES3_N6thrust23THRUST_200600_302600_NS6detail15normal_iteratorINS9_10device_ptrIfEEEESE_fNS9_4plusIvEEfEEDaPvRmT3_T4_T5_mT6_P12ihipStream_tbENKUlT_T0_E_clISt17integral_constantIbLb1EESU_EEDaSP_SQ_EUlSP_E_NS1_11comp_targetILNS1_3genE10ELNS1_11target_archE1200ELNS1_3gpuE4ELNS1_3repE0EEENS1_30default_config_static_selectorELNS0_4arch9wavefront6targetE1EEEvT1_, .Lfunc_end4382-_ZN7rocprim17ROCPRIM_400000_NS6detail17trampoline_kernelINS0_14default_configENS1_20scan_config_selectorIfEEZZNS1_9scan_implILNS1_25lookback_scan_determinismE0ELb1ELb1ES3_N6thrust23THRUST_200600_302600_NS6detail15normal_iteratorINS9_10device_ptrIfEEEESE_fNS9_4plusIvEEfEEDaPvRmT3_T4_T5_mT6_P12ihipStream_tbENKUlT_T0_E_clISt17integral_constantIbLb1EESU_EEDaSP_SQ_EUlSP_E_NS1_11comp_targetILNS1_3genE10ELNS1_11target_archE1200ELNS1_3gpuE4ELNS1_3repE0EEENS1_30default_config_static_selectorELNS0_4arch9wavefront6targetE1EEEvT1_
                                        ; -- End function
	.section	.AMDGPU.csdata,"",@progbits
; Kernel info:
; codeLenInByte = 0
; NumSgprs: 4
; NumVgprs: 0
; NumAgprs: 0
; TotalNumVgprs: 0
; ScratchSize: 0
; MemoryBound: 0
; FloatMode: 240
; IeeeMode: 1
; LDSByteSize: 0 bytes/workgroup (compile time only)
; SGPRBlocks: 0
; VGPRBlocks: 0
; NumSGPRsForWavesPerEU: 4
; NumVGPRsForWavesPerEU: 1
; AccumOffset: 4
; Occupancy: 8
; WaveLimiterHint : 0
; COMPUTE_PGM_RSRC2:SCRATCH_EN: 0
; COMPUTE_PGM_RSRC2:USER_SGPR: 6
; COMPUTE_PGM_RSRC2:TRAP_HANDLER: 0
; COMPUTE_PGM_RSRC2:TGID_X_EN: 1
; COMPUTE_PGM_RSRC2:TGID_Y_EN: 0
; COMPUTE_PGM_RSRC2:TGID_Z_EN: 0
; COMPUTE_PGM_RSRC2:TIDIG_COMP_CNT: 0
; COMPUTE_PGM_RSRC3_GFX90A:ACCUM_OFFSET: 0
; COMPUTE_PGM_RSRC3_GFX90A:TG_SPLIT: 0
	.section	.text._ZN7rocprim17ROCPRIM_400000_NS6detail17trampoline_kernelINS0_14default_configENS1_20scan_config_selectorIfEEZZNS1_9scan_implILNS1_25lookback_scan_determinismE0ELb1ELb1ES3_N6thrust23THRUST_200600_302600_NS6detail15normal_iteratorINS9_10device_ptrIfEEEESE_fNS9_4plusIvEEfEEDaPvRmT3_T4_T5_mT6_P12ihipStream_tbENKUlT_T0_E_clISt17integral_constantIbLb1EESU_EEDaSP_SQ_EUlSP_E_NS1_11comp_targetILNS1_3genE9ELNS1_11target_archE1100ELNS1_3gpuE3ELNS1_3repE0EEENS1_30default_config_static_selectorELNS0_4arch9wavefront6targetE1EEEvT1_,"axG",@progbits,_ZN7rocprim17ROCPRIM_400000_NS6detail17trampoline_kernelINS0_14default_configENS1_20scan_config_selectorIfEEZZNS1_9scan_implILNS1_25lookback_scan_determinismE0ELb1ELb1ES3_N6thrust23THRUST_200600_302600_NS6detail15normal_iteratorINS9_10device_ptrIfEEEESE_fNS9_4plusIvEEfEEDaPvRmT3_T4_T5_mT6_P12ihipStream_tbENKUlT_T0_E_clISt17integral_constantIbLb1EESU_EEDaSP_SQ_EUlSP_E_NS1_11comp_targetILNS1_3genE9ELNS1_11target_archE1100ELNS1_3gpuE3ELNS1_3repE0EEENS1_30default_config_static_selectorELNS0_4arch9wavefront6targetE1EEEvT1_,comdat
	.protected	_ZN7rocprim17ROCPRIM_400000_NS6detail17trampoline_kernelINS0_14default_configENS1_20scan_config_selectorIfEEZZNS1_9scan_implILNS1_25lookback_scan_determinismE0ELb1ELb1ES3_N6thrust23THRUST_200600_302600_NS6detail15normal_iteratorINS9_10device_ptrIfEEEESE_fNS9_4plusIvEEfEEDaPvRmT3_T4_T5_mT6_P12ihipStream_tbENKUlT_T0_E_clISt17integral_constantIbLb1EESU_EEDaSP_SQ_EUlSP_E_NS1_11comp_targetILNS1_3genE9ELNS1_11target_archE1100ELNS1_3gpuE3ELNS1_3repE0EEENS1_30default_config_static_selectorELNS0_4arch9wavefront6targetE1EEEvT1_ ; -- Begin function _ZN7rocprim17ROCPRIM_400000_NS6detail17trampoline_kernelINS0_14default_configENS1_20scan_config_selectorIfEEZZNS1_9scan_implILNS1_25lookback_scan_determinismE0ELb1ELb1ES3_N6thrust23THRUST_200600_302600_NS6detail15normal_iteratorINS9_10device_ptrIfEEEESE_fNS9_4plusIvEEfEEDaPvRmT3_T4_T5_mT6_P12ihipStream_tbENKUlT_T0_E_clISt17integral_constantIbLb1EESU_EEDaSP_SQ_EUlSP_E_NS1_11comp_targetILNS1_3genE9ELNS1_11target_archE1100ELNS1_3gpuE3ELNS1_3repE0EEENS1_30default_config_static_selectorELNS0_4arch9wavefront6targetE1EEEvT1_
	.globl	_ZN7rocprim17ROCPRIM_400000_NS6detail17trampoline_kernelINS0_14default_configENS1_20scan_config_selectorIfEEZZNS1_9scan_implILNS1_25lookback_scan_determinismE0ELb1ELb1ES3_N6thrust23THRUST_200600_302600_NS6detail15normal_iteratorINS9_10device_ptrIfEEEESE_fNS9_4plusIvEEfEEDaPvRmT3_T4_T5_mT6_P12ihipStream_tbENKUlT_T0_E_clISt17integral_constantIbLb1EESU_EEDaSP_SQ_EUlSP_E_NS1_11comp_targetILNS1_3genE9ELNS1_11target_archE1100ELNS1_3gpuE3ELNS1_3repE0EEENS1_30default_config_static_selectorELNS0_4arch9wavefront6targetE1EEEvT1_
	.p2align	8
	.type	_ZN7rocprim17ROCPRIM_400000_NS6detail17trampoline_kernelINS0_14default_configENS1_20scan_config_selectorIfEEZZNS1_9scan_implILNS1_25lookback_scan_determinismE0ELb1ELb1ES3_N6thrust23THRUST_200600_302600_NS6detail15normal_iteratorINS9_10device_ptrIfEEEESE_fNS9_4plusIvEEfEEDaPvRmT3_T4_T5_mT6_P12ihipStream_tbENKUlT_T0_E_clISt17integral_constantIbLb1EESU_EEDaSP_SQ_EUlSP_E_NS1_11comp_targetILNS1_3genE9ELNS1_11target_archE1100ELNS1_3gpuE3ELNS1_3repE0EEENS1_30default_config_static_selectorELNS0_4arch9wavefront6targetE1EEEvT1_,@function
_ZN7rocprim17ROCPRIM_400000_NS6detail17trampoline_kernelINS0_14default_configENS1_20scan_config_selectorIfEEZZNS1_9scan_implILNS1_25lookback_scan_determinismE0ELb1ELb1ES3_N6thrust23THRUST_200600_302600_NS6detail15normal_iteratorINS9_10device_ptrIfEEEESE_fNS9_4plusIvEEfEEDaPvRmT3_T4_T5_mT6_P12ihipStream_tbENKUlT_T0_E_clISt17integral_constantIbLb1EESU_EEDaSP_SQ_EUlSP_E_NS1_11comp_targetILNS1_3genE9ELNS1_11target_archE1100ELNS1_3gpuE3ELNS1_3repE0EEENS1_30default_config_static_selectorELNS0_4arch9wavefront6targetE1EEEvT1_: ; @_ZN7rocprim17ROCPRIM_400000_NS6detail17trampoline_kernelINS0_14default_configENS1_20scan_config_selectorIfEEZZNS1_9scan_implILNS1_25lookback_scan_determinismE0ELb1ELb1ES3_N6thrust23THRUST_200600_302600_NS6detail15normal_iteratorINS9_10device_ptrIfEEEESE_fNS9_4plusIvEEfEEDaPvRmT3_T4_T5_mT6_P12ihipStream_tbENKUlT_T0_E_clISt17integral_constantIbLb1EESU_EEDaSP_SQ_EUlSP_E_NS1_11comp_targetILNS1_3genE9ELNS1_11target_archE1100ELNS1_3gpuE3ELNS1_3repE0EEENS1_30default_config_static_selectorELNS0_4arch9wavefront6targetE1EEEvT1_
; %bb.0:
	.section	.rodata,"a",@progbits
	.p2align	6, 0x0
	.amdhsa_kernel _ZN7rocprim17ROCPRIM_400000_NS6detail17trampoline_kernelINS0_14default_configENS1_20scan_config_selectorIfEEZZNS1_9scan_implILNS1_25lookback_scan_determinismE0ELb1ELb1ES3_N6thrust23THRUST_200600_302600_NS6detail15normal_iteratorINS9_10device_ptrIfEEEESE_fNS9_4plusIvEEfEEDaPvRmT3_T4_T5_mT6_P12ihipStream_tbENKUlT_T0_E_clISt17integral_constantIbLb1EESU_EEDaSP_SQ_EUlSP_E_NS1_11comp_targetILNS1_3genE9ELNS1_11target_archE1100ELNS1_3gpuE3ELNS1_3repE0EEENS1_30default_config_static_selectorELNS0_4arch9wavefront6targetE1EEEvT1_
		.amdhsa_group_segment_fixed_size 0
		.amdhsa_private_segment_fixed_size 0
		.amdhsa_kernarg_size 96
		.amdhsa_user_sgpr_count 6
		.amdhsa_user_sgpr_private_segment_buffer 1
		.amdhsa_user_sgpr_dispatch_ptr 0
		.amdhsa_user_sgpr_queue_ptr 0
		.amdhsa_user_sgpr_kernarg_segment_ptr 1
		.amdhsa_user_sgpr_dispatch_id 0
		.amdhsa_user_sgpr_flat_scratch_init 0
		.amdhsa_user_sgpr_kernarg_preload_length 0
		.amdhsa_user_sgpr_kernarg_preload_offset 0
		.amdhsa_user_sgpr_private_segment_size 0
		.amdhsa_uses_dynamic_stack 0
		.amdhsa_system_sgpr_private_segment_wavefront_offset 0
		.amdhsa_system_sgpr_workgroup_id_x 1
		.amdhsa_system_sgpr_workgroup_id_y 0
		.amdhsa_system_sgpr_workgroup_id_z 0
		.amdhsa_system_sgpr_workgroup_info 0
		.amdhsa_system_vgpr_workitem_id 0
		.amdhsa_next_free_vgpr 1
		.amdhsa_next_free_sgpr 0
		.amdhsa_accum_offset 4
		.amdhsa_reserve_vcc 0
		.amdhsa_reserve_flat_scratch 0
		.amdhsa_float_round_mode_32 0
		.amdhsa_float_round_mode_16_64 0
		.amdhsa_float_denorm_mode_32 3
		.amdhsa_float_denorm_mode_16_64 3
		.amdhsa_dx10_clamp 1
		.amdhsa_ieee_mode 1
		.amdhsa_fp16_overflow 0
		.amdhsa_tg_split 0
		.amdhsa_exception_fp_ieee_invalid_op 0
		.amdhsa_exception_fp_denorm_src 0
		.amdhsa_exception_fp_ieee_div_zero 0
		.amdhsa_exception_fp_ieee_overflow 0
		.amdhsa_exception_fp_ieee_underflow 0
		.amdhsa_exception_fp_ieee_inexact 0
		.amdhsa_exception_int_div_zero 0
	.end_amdhsa_kernel
	.section	.text._ZN7rocprim17ROCPRIM_400000_NS6detail17trampoline_kernelINS0_14default_configENS1_20scan_config_selectorIfEEZZNS1_9scan_implILNS1_25lookback_scan_determinismE0ELb1ELb1ES3_N6thrust23THRUST_200600_302600_NS6detail15normal_iteratorINS9_10device_ptrIfEEEESE_fNS9_4plusIvEEfEEDaPvRmT3_T4_T5_mT6_P12ihipStream_tbENKUlT_T0_E_clISt17integral_constantIbLb1EESU_EEDaSP_SQ_EUlSP_E_NS1_11comp_targetILNS1_3genE9ELNS1_11target_archE1100ELNS1_3gpuE3ELNS1_3repE0EEENS1_30default_config_static_selectorELNS0_4arch9wavefront6targetE1EEEvT1_,"axG",@progbits,_ZN7rocprim17ROCPRIM_400000_NS6detail17trampoline_kernelINS0_14default_configENS1_20scan_config_selectorIfEEZZNS1_9scan_implILNS1_25lookback_scan_determinismE0ELb1ELb1ES3_N6thrust23THRUST_200600_302600_NS6detail15normal_iteratorINS9_10device_ptrIfEEEESE_fNS9_4plusIvEEfEEDaPvRmT3_T4_T5_mT6_P12ihipStream_tbENKUlT_T0_E_clISt17integral_constantIbLb1EESU_EEDaSP_SQ_EUlSP_E_NS1_11comp_targetILNS1_3genE9ELNS1_11target_archE1100ELNS1_3gpuE3ELNS1_3repE0EEENS1_30default_config_static_selectorELNS0_4arch9wavefront6targetE1EEEvT1_,comdat
.Lfunc_end4383:
	.size	_ZN7rocprim17ROCPRIM_400000_NS6detail17trampoline_kernelINS0_14default_configENS1_20scan_config_selectorIfEEZZNS1_9scan_implILNS1_25lookback_scan_determinismE0ELb1ELb1ES3_N6thrust23THRUST_200600_302600_NS6detail15normal_iteratorINS9_10device_ptrIfEEEESE_fNS9_4plusIvEEfEEDaPvRmT3_T4_T5_mT6_P12ihipStream_tbENKUlT_T0_E_clISt17integral_constantIbLb1EESU_EEDaSP_SQ_EUlSP_E_NS1_11comp_targetILNS1_3genE9ELNS1_11target_archE1100ELNS1_3gpuE3ELNS1_3repE0EEENS1_30default_config_static_selectorELNS0_4arch9wavefront6targetE1EEEvT1_, .Lfunc_end4383-_ZN7rocprim17ROCPRIM_400000_NS6detail17trampoline_kernelINS0_14default_configENS1_20scan_config_selectorIfEEZZNS1_9scan_implILNS1_25lookback_scan_determinismE0ELb1ELb1ES3_N6thrust23THRUST_200600_302600_NS6detail15normal_iteratorINS9_10device_ptrIfEEEESE_fNS9_4plusIvEEfEEDaPvRmT3_T4_T5_mT6_P12ihipStream_tbENKUlT_T0_E_clISt17integral_constantIbLb1EESU_EEDaSP_SQ_EUlSP_E_NS1_11comp_targetILNS1_3genE9ELNS1_11target_archE1100ELNS1_3gpuE3ELNS1_3repE0EEENS1_30default_config_static_selectorELNS0_4arch9wavefront6targetE1EEEvT1_
                                        ; -- End function
	.section	.AMDGPU.csdata,"",@progbits
; Kernel info:
; codeLenInByte = 0
; NumSgprs: 4
; NumVgprs: 0
; NumAgprs: 0
; TotalNumVgprs: 0
; ScratchSize: 0
; MemoryBound: 0
; FloatMode: 240
; IeeeMode: 1
; LDSByteSize: 0 bytes/workgroup (compile time only)
; SGPRBlocks: 0
; VGPRBlocks: 0
; NumSGPRsForWavesPerEU: 4
; NumVGPRsForWavesPerEU: 1
; AccumOffset: 4
; Occupancy: 8
; WaveLimiterHint : 0
; COMPUTE_PGM_RSRC2:SCRATCH_EN: 0
; COMPUTE_PGM_RSRC2:USER_SGPR: 6
; COMPUTE_PGM_RSRC2:TRAP_HANDLER: 0
; COMPUTE_PGM_RSRC2:TGID_X_EN: 1
; COMPUTE_PGM_RSRC2:TGID_Y_EN: 0
; COMPUTE_PGM_RSRC2:TGID_Z_EN: 0
; COMPUTE_PGM_RSRC2:TIDIG_COMP_CNT: 0
; COMPUTE_PGM_RSRC3_GFX90A:ACCUM_OFFSET: 0
; COMPUTE_PGM_RSRC3_GFX90A:TG_SPLIT: 0
	.section	.text._ZN7rocprim17ROCPRIM_400000_NS6detail17trampoline_kernelINS0_14default_configENS1_20scan_config_selectorIfEEZZNS1_9scan_implILNS1_25lookback_scan_determinismE0ELb1ELb1ES3_N6thrust23THRUST_200600_302600_NS6detail15normal_iteratorINS9_10device_ptrIfEEEESE_fNS9_4plusIvEEfEEDaPvRmT3_T4_T5_mT6_P12ihipStream_tbENKUlT_T0_E_clISt17integral_constantIbLb1EESU_EEDaSP_SQ_EUlSP_E_NS1_11comp_targetILNS1_3genE8ELNS1_11target_archE1030ELNS1_3gpuE2ELNS1_3repE0EEENS1_30default_config_static_selectorELNS0_4arch9wavefront6targetE1EEEvT1_,"axG",@progbits,_ZN7rocprim17ROCPRIM_400000_NS6detail17trampoline_kernelINS0_14default_configENS1_20scan_config_selectorIfEEZZNS1_9scan_implILNS1_25lookback_scan_determinismE0ELb1ELb1ES3_N6thrust23THRUST_200600_302600_NS6detail15normal_iteratorINS9_10device_ptrIfEEEESE_fNS9_4plusIvEEfEEDaPvRmT3_T4_T5_mT6_P12ihipStream_tbENKUlT_T0_E_clISt17integral_constantIbLb1EESU_EEDaSP_SQ_EUlSP_E_NS1_11comp_targetILNS1_3genE8ELNS1_11target_archE1030ELNS1_3gpuE2ELNS1_3repE0EEENS1_30default_config_static_selectorELNS0_4arch9wavefront6targetE1EEEvT1_,comdat
	.protected	_ZN7rocprim17ROCPRIM_400000_NS6detail17trampoline_kernelINS0_14default_configENS1_20scan_config_selectorIfEEZZNS1_9scan_implILNS1_25lookback_scan_determinismE0ELb1ELb1ES3_N6thrust23THRUST_200600_302600_NS6detail15normal_iteratorINS9_10device_ptrIfEEEESE_fNS9_4plusIvEEfEEDaPvRmT3_T4_T5_mT6_P12ihipStream_tbENKUlT_T0_E_clISt17integral_constantIbLb1EESU_EEDaSP_SQ_EUlSP_E_NS1_11comp_targetILNS1_3genE8ELNS1_11target_archE1030ELNS1_3gpuE2ELNS1_3repE0EEENS1_30default_config_static_selectorELNS0_4arch9wavefront6targetE1EEEvT1_ ; -- Begin function _ZN7rocprim17ROCPRIM_400000_NS6detail17trampoline_kernelINS0_14default_configENS1_20scan_config_selectorIfEEZZNS1_9scan_implILNS1_25lookback_scan_determinismE0ELb1ELb1ES3_N6thrust23THRUST_200600_302600_NS6detail15normal_iteratorINS9_10device_ptrIfEEEESE_fNS9_4plusIvEEfEEDaPvRmT3_T4_T5_mT6_P12ihipStream_tbENKUlT_T0_E_clISt17integral_constantIbLb1EESU_EEDaSP_SQ_EUlSP_E_NS1_11comp_targetILNS1_3genE8ELNS1_11target_archE1030ELNS1_3gpuE2ELNS1_3repE0EEENS1_30default_config_static_selectorELNS0_4arch9wavefront6targetE1EEEvT1_
	.globl	_ZN7rocprim17ROCPRIM_400000_NS6detail17trampoline_kernelINS0_14default_configENS1_20scan_config_selectorIfEEZZNS1_9scan_implILNS1_25lookback_scan_determinismE0ELb1ELb1ES3_N6thrust23THRUST_200600_302600_NS6detail15normal_iteratorINS9_10device_ptrIfEEEESE_fNS9_4plusIvEEfEEDaPvRmT3_T4_T5_mT6_P12ihipStream_tbENKUlT_T0_E_clISt17integral_constantIbLb1EESU_EEDaSP_SQ_EUlSP_E_NS1_11comp_targetILNS1_3genE8ELNS1_11target_archE1030ELNS1_3gpuE2ELNS1_3repE0EEENS1_30default_config_static_selectorELNS0_4arch9wavefront6targetE1EEEvT1_
	.p2align	8
	.type	_ZN7rocprim17ROCPRIM_400000_NS6detail17trampoline_kernelINS0_14default_configENS1_20scan_config_selectorIfEEZZNS1_9scan_implILNS1_25lookback_scan_determinismE0ELb1ELb1ES3_N6thrust23THRUST_200600_302600_NS6detail15normal_iteratorINS9_10device_ptrIfEEEESE_fNS9_4plusIvEEfEEDaPvRmT3_T4_T5_mT6_P12ihipStream_tbENKUlT_T0_E_clISt17integral_constantIbLb1EESU_EEDaSP_SQ_EUlSP_E_NS1_11comp_targetILNS1_3genE8ELNS1_11target_archE1030ELNS1_3gpuE2ELNS1_3repE0EEENS1_30default_config_static_selectorELNS0_4arch9wavefront6targetE1EEEvT1_,@function
_ZN7rocprim17ROCPRIM_400000_NS6detail17trampoline_kernelINS0_14default_configENS1_20scan_config_selectorIfEEZZNS1_9scan_implILNS1_25lookback_scan_determinismE0ELb1ELb1ES3_N6thrust23THRUST_200600_302600_NS6detail15normal_iteratorINS9_10device_ptrIfEEEESE_fNS9_4plusIvEEfEEDaPvRmT3_T4_T5_mT6_P12ihipStream_tbENKUlT_T0_E_clISt17integral_constantIbLb1EESU_EEDaSP_SQ_EUlSP_E_NS1_11comp_targetILNS1_3genE8ELNS1_11target_archE1030ELNS1_3gpuE2ELNS1_3repE0EEENS1_30default_config_static_selectorELNS0_4arch9wavefront6targetE1EEEvT1_: ; @_ZN7rocprim17ROCPRIM_400000_NS6detail17trampoline_kernelINS0_14default_configENS1_20scan_config_selectorIfEEZZNS1_9scan_implILNS1_25lookback_scan_determinismE0ELb1ELb1ES3_N6thrust23THRUST_200600_302600_NS6detail15normal_iteratorINS9_10device_ptrIfEEEESE_fNS9_4plusIvEEfEEDaPvRmT3_T4_T5_mT6_P12ihipStream_tbENKUlT_T0_E_clISt17integral_constantIbLb1EESU_EEDaSP_SQ_EUlSP_E_NS1_11comp_targetILNS1_3genE8ELNS1_11target_archE1030ELNS1_3gpuE2ELNS1_3repE0EEENS1_30default_config_static_selectorELNS0_4arch9wavefront6targetE1EEEvT1_
; %bb.0:
	.section	.rodata,"a",@progbits
	.p2align	6, 0x0
	.amdhsa_kernel _ZN7rocprim17ROCPRIM_400000_NS6detail17trampoline_kernelINS0_14default_configENS1_20scan_config_selectorIfEEZZNS1_9scan_implILNS1_25lookback_scan_determinismE0ELb1ELb1ES3_N6thrust23THRUST_200600_302600_NS6detail15normal_iteratorINS9_10device_ptrIfEEEESE_fNS9_4plusIvEEfEEDaPvRmT3_T4_T5_mT6_P12ihipStream_tbENKUlT_T0_E_clISt17integral_constantIbLb1EESU_EEDaSP_SQ_EUlSP_E_NS1_11comp_targetILNS1_3genE8ELNS1_11target_archE1030ELNS1_3gpuE2ELNS1_3repE0EEENS1_30default_config_static_selectorELNS0_4arch9wavefront6targetE1EEEvT1_
		.amdhsa_group_segment_fixed_size 0
		.amdhsa_private_segment_fixed_size 0
		.amdhsa_kernarg_size 96
		.amdhsa_user_sgpr_count 6
		.amdhsa_user_sgpr_private_segment_buffer 1
		.amdhsa_user_sgpr_dispatch_ptr 0
		.amdhsa_user_sgpr_queue_ptr 0
		.amdhsa_user_sgpr_kernarg_segment_ptr 1
		.amdhsa_user_sgpr_dispatch_id 0
		.amdhsa_user_sgpr_flat_scratch_init 0
		.amdhsa_user_sgpr_kernarg_preload_length 0
		.amdhsa_user_sgpr_kernarg_preload_offset 0
		.amdhsa_user_sgpr_private_segment_size 0
		.amdhsa_uses_dynamic_stack 0
		.amdhsa_system_sgpr_private_segment_wavefront_offset 0
		.amdhsa_system_sgpr_workgroup_id_x 1
		.amdhsa_system_sgpr_workgroup_id_y 0
		.amdhsa_system_sgpr_workgroup_id_z 0
		.amdhsa_system_sgpr_workgroup_info 0
		.amdhsa_system_vgpr_workitem_id 0
		.amdhsa_next_free_vgpr 1
		.amdhsa_next_free_sgpr 0
		.amdhsa_accum_offset 4
		.amdhsa_reserve_vcc 0
		.amdhsa_reserve_flat_scratch 0
		.amdhsa_float_round_mode_32 0
		.amdhsa_float_round_mode_16_64 0
		.amdhsa_float_denorm_mode_32 3
		.amdhsa_float_denorm_mode_16_64 3
		.amdhsa_dx10_clamp 1
		.amdhsa_ieee_mode 1
		.amdhsa_fp16_overflow 0
		.amdhsa_tg_split 0
		.amdhsa_exception_fp_ieee_invalid_op 0
		.amdhsa_exception_fp_denorm_src 0
		.amdhsa_exception_fp_ieee_div_zero 0
		.amdhsa_exception_fp_ieee_overflow 0
		.amdhsa_exception_fp_ieee_underflow 0
		.amdhsa_exception_fp_ieee_inexact 0
		.amdhsa_exception_int_div_zero 0
	.end_amdhsa_kernel
	.section	.text._ZN7rocprim17ROCPRIM_400000_NS6detail17trampoline_kernelINS0_14default_configENS1_20scan_config_selectorIfEEZZNS1_9scan_implILNS1_25lookback_scan_determinismE0ELb1ELb1ES3_N6thrust23THRUST_200600_302600_NS6detail15normal_iteratorINS9_10device_ptrIfEEEESE_fNS9_4plusIvEEfEEDaPvRmT3_T4_T5_mT6_P12ihipStream_tbENKUlT_T0_E_clISt17integral_constantIbLb1EESU_EEDaSP_SQ_EUlSP_E_NS1_11comp_targetILNS1_3genE8ELNS1_11target_archE1030ELNS1_3gpuE2ELNS1_3repE0EEENS1_30default_config_static_selectorELNS0_4arch9wavefront6targetE1EEEvT1_,"axG",@progbits,_ZN7rocprim17ROCPRIM_400000_NS6detail17trampoline_kernelINS0_14default_configENS1_20scan_config_selectorIfEEZZNS1_9scan_implILNS1_25lookback_scan_determinismE0ELb1ELb1ES3_N6thrust23THRUST_200600_302600_NS6detail15normal_iteratorINS9_10device_ptrIfEEEESE_fNS9_4plusIvEEfEEDaPvRmT3_T4_T5_mT6_P12ihipStream_tbENKUlT_T0_E_clISt17integral_constantIbLb1EESU_EEDaSP_SQ_EUlSP_E_NS1_11comp_targetILNS1_3genE8ELNS1_11target_archE1030ELNS1_3gpuE2ELNS1_3repE0EEENS1_30default_config_static_selectorELNS0_4arch9wavefront6targetE1EEEvT1_,comdat
.Lfunc_end4384:
	.size	_ZN7rocprim17ROCPRIM_400000_NS6detail17trampoline_kernelINS0_14default_configENS1_20scan_config_selectorIfEEZZNS1_9scan_implILNS1_25lookback_scan_determinismE0ELb1ELb1ES3_N6thrust23THRUST_200600_302600_NS6detail15normal_iteratorINS9_10device_ptrIfEEEESE_fNS9_4plusIvEEfEEDaPvRmT3_T4_T5_mT6_P12ihipStream_tbENKUlT_T0_E_clISt17integral_constantIbLb1EESU_EEDaSP_SQ_EUlSP_E_NS1_11comp_targetILNS1_3genE8ELNS1_11target_archE1030ELNS1_3gpuE2ELNS1_3repE0EEENS1_30default_config_static_selectorELNS0_4arch9wavefront6targetE1EEEvT1_, .Lfunc_end4384-_ZN7rocprim17ROCPRIM_400000_NS6detail17trampoline_kernelINS0_14default_configENS1_20scan_config_selectorIfEEZZNS1_9scan_implILNS1_25lookback_scan_determinismE0ELb1ELb1ES3_N6thrust23THRUST_200600_302600_NS6detail15normal_iteratorINS9_10device_ptrIfEEEESE_fNS9_4plusIvEEfEEDaPvRmT3_T4_T5_mT6_P12ihipStream_tbENKUlT_T0_E_clISt17integral_constantIbLb1EESU_EEDaSP_SQ_EUlSP_E_NS1_11comp_targetILNS1_3genE8ELNS1_11target_archE1030ELNS1_3gpuE2ELNS1_3repE0EEENS1_30default_config_static_selectorELNS0_4arch9wavefront6targetE1EEEvT1_
                                        ; -- End function
	.section	.AMDGPU.csdata,"",@progbits
; Kernel info:
; codeLenInByte = 0
; NumSgprs: 4
; NumVgprs: 0
; NumAgprs: 0
; TotalNumVgprs: 0
; ScratchSize: 0
; MemoryBound: 0
; FloatMode: 240
; IeeeMode: 1
; LDSByteSize: 0 bytes/workgroup (compile time only)
; SGPRBlocks: 0
; VGPRBlocks: 0
; NumSGPRsForWavesPerEU: 4
; NumVGPRsForWavesPerEU: 1
; AccumOffset: 4
; Occupancy: 8
; WaveLimiterHint : 0
; COMPUTE_PGM_RSRC2:SCRATCH_EN: 0
; COMPUTE_PGM_RSRC2:USER_SGPR: 6
; COMPUTE_PGM_RSRC2:TRAP_HANDLER: 0
; COMPUTE_PGM_RSRC2:TGID_X_EN: 1
; COMPUTE_PGM_RSRC2:TGID_Y_EN: 0
; COMPUTE_PGM_RSRC2:TGID_Z_EN: 0
; COMPUTE_PGM_RSRC2:TIDIG_COMP_CNT: 0
; COMPUTE_PGM_RSRC3_GFX90A:ACCUM_OFFSET: 0
; COMPUTE_PGM_RSRC3_GFX90A:TG_SPLIT: 0
	.section	.text._ZN7rocprim17ROCPRIM_400000_NS6detail17trampoline_kernelINS0_14default_configENS1_20scan_config_selectorIfEEZZNS1_9scan_implILNS1_25lookback_scan_determinismE0ELb1ELb1ES3_N6thrust23THRUST_200600_302600_NS6detail15normal_iteratorINS9_10device_ptrIfEEEESE_fNS9_4plusIvEEfEEDaPvRmT3_T4_T5_mT6_P12ihipStream_tbENKUlT_T0_E_clISt17integral_constantIbLb1EESU_EEDaSP_SQ_EUlSP_E0_NS1_11comp_targetILNS1_3genE0ELNS1_11target_archE4294967295ELNS1_3gpuE0ELNS1_3repE0EEENS1_30default_config_static_selectorELNS0_4arch9wavefront6targetE1EEEvT1_,"axG",@progbits,_ZN7rocprim17ROCPRIM_400000_NS6detail17trampoline_kernelINS0_14default_configENS1_20scan_config_selectorIfEEZZNS1_9scan_implILNS1_25lookback_scan_determinismE0ELb1ELb1ES3_N6thrust23THRUST_200600_302600_NS6detail15normal_iteratorINS9_10device_ptrIfEEEESE_fNS9_4plusIvEEfEEDaPvRmT3_T4_T5_mT6_P12ihipStream_tbENKUlT_T0_E_clISt17integral_constantIbLb1EESU_EEDaSP_SQ_EUlSP_E0_NS1_11comp_targetILNS1_3genE0ELNS1_11target_archE4294967295ELNS1_3gpuE0ELNS1_3repE0EEENS1_30default_config_static_selectorELNS0_4arch9wavefront6targetE1EEEvT1_,comdat
	.protected	_ZN7rocprim17ROCPRIM_400000_NS6detail17trampoline_kernelINS0_14default_configENS1_20scan_config_selectorIfEEZZNS1_9scan_implILNS1_25lookback_scan_determinismE0ELb1ELb1ES3_N6thrust23THRUST_200600_302600_NS6detail15normal_iteratorINS9_10device_ptrIfEEEESE_fNS9_4plusIvEEfEEDaPvRmT3_T4_T5_mT6_P12ihipStream_tbENKUlT_T0_E_clISt17integral_constantIbLb1EESU_EEDaSP_SQ_EUlSP_E0_NS1_11comp_targetILNS1_3genE0ELNS1_11target_archE4294967295ELNS1_3gpuE0ELNS1_3repE0EEENS1_30default_config_static_selectorELNS0_4arch9wavefront6targetE1EEEvT1_ ; -- Begin function _ZN7rocprim17ROCPRIM_400000_NS6detail17trampoline_kernelINS0_14default_configENS1_20scan_config_selectorIfEEZZNS1_9scan_implILNS1_25lookback_scan_determinismE0ELb1ELb1ES3_N6thrust23THRUST_200600_302600_NS6detail15normal_iteratorINS9_10device_ptrIfEEEESE_fNS9_4plusIvEEfEEDaPvRmT3_T4_T5_mT6_P12ihipStream_tbENKUlT_T0_E_clISt17integral_constantIbLb1EESU_EEDaSP_SQ_EUlSP_E0_NS1_11comp_targetILNS1_3genE0ELNS1_11target_archE4294967295ELNS1_3gpuE0ELNS1_3repE0EEENS1_30default_config_static_selectorELNS0_4arch9wavefront6targetE1EEEvT1_
	.globl	_ZN7rocprim17ROCPRIM_400000_NS6detail17trampoline_kernelINS0_14default_configENS1_20scan_config_selectorIfEEZZNS1_9scan_implILNS1_25lookback_scan_determinismE0ELb1ELb1ES3_N6thrust23THRUST_200600_302600_NS6detail15normal_iteratorINS9_10device_ptrIfEEEESE_fNS9_4plusIvEEfEEDaPvRmT3_T4_T5_mT6_P12ihipStream_tbENKUlT_T0_E_clISt17integral_constantIbLb1EESU_EEDaSP_SQ_EUlSP_E0_NS1_11comp_targetILNS1_3genE0ELNS1_11target_archE4294967295ELNS1_3gpuE0ELNS1_3repE0EEENS1_30default_config_static_selectorELNS0_4arch9wavefront6targetE1EEEvT1_
	.p2align	8
	.type	_ZN7rocprim17ROCPRIM_400000_NS6detail17trampoline_kernelINS0_14default_configENS1_20scan_config_selectorIfEEZZNS1_9scan_implILNS1_25lookback_scan_determinismE0ELb1ELb1ES3_N6thrust23THRUST_200600_302600_NS6detail15normal_iteratorINS9_10device_ptrIfEEEESE_fNS9_4plusIvEEfEEDaPvRmT3_T4_T5_mT6_P12ihipStream_tbENKUlT_T0_E_clISt17integral_constantIbLb1EESU_EEDaSP_SQ_EUlSP_E0_NS1_11comp_targetILNS1_3genE0ELNS1_11target_archE4294967295ELNS1_3gpuE0ELNS1_3repE0EEENS1_30default_config_static_selectorELNS0_4arch9wavefront6targetE1EEEvT1_,@function
_ZN7rocprim17ROCPRIM_400000_NS6detail17trampoline_kernelINS0_14default_configENS1_20scan_config_selectorIfEEZZNS1_9scan_implILNS1_25lookback_scan_determinismE0ELb1ELb1ES3_N6thrust23THRUST_200600_302600_NS6detail15normal_iteratorINS9_10device_ptrIfEEEESE_fNS9_4plusIvEEfEEDaPvRmT3_T4_T5_mT6_P12ihipStream_tbENKUlT_T0_E_clISt17integral_constantIbLb1EESU_EEDaSP_SQ_EUlSP_E0_NS1_11comp_targetILNS1_3genE0ELNS1_11target_archE4294967295ELNS1_3gpuE0ELNS1_3repE0EEENS1_30default_config_static_selectorELNS0_4arch9wavefront6targetE1EEEvT1_: ; @_ZN7rocprim17ROCPRIM_400000_NS6detail17trampoline_kernelINS0_14default_configENS1_20scan_config_selectorIfEEZZNS1_9scan_implILNS1_25lookback_scan_determinismE0ELb1ELb1ES3_N6thrust23THRUST_200600_302600_NS6detail15normal_iteratorINS9_10device_ptrIfEEEESE_fNS9_4plusIvEEfEEDaPvRmT3_T4_T5_mT6_P12ihipStream_tbENKUlT_T0_E_clISt17integral_constantIbLb1EESU_EEDaSP_SQ_EUlSP_E0_NS1_11comp_targetILNS1_3genE0ELNS1_11target_archE4294967295ELNS1_3gpuE0ELNS1_3repE0EEENS1_30default_config_static_selectorELNS0_4arch9wavefront6targetE1EEEvT1_
; %bb.0:
	.section	.rodata,"a",@progbits
	.p2align	6, 0x0
	.amdhsa_kernel _ZN7rocprim17ROCPRIM_400000_NS6detail17trampoline_kernelINS0_14default_configENS1_20scan_config_selectorIfEEZZNS1_9scan_implILNS1_25lookback_scan_determinismE0ELb1ELb1ES3_N6thrust23THRUST_200600_302600_NS6detail15normal_iteratorINS9_10device_ptrIfEEEESE_fNS9_4plusIvEEfEEDaPvRmT3_T4_T5_mT6_P12ihipStream_tbENKUlT_T0_E_clISt17integral_constantIbLb1EESU_EEDaSP_SQ_EUlSP_E0_NS1_11comp_targetILNS1_3genE0ELNS1_11target_archE4294967295ELNS1_3gpuE0ELNS1_3repE0EEENS1_30default_config_static_selectorELNS0_4arch9wavefront6targetE1EEEvT1_
		.amdhsa_group_segment_fixed_size 0
		.amdhsa_private_segment_fixed_size 0
		.amdhsa_kernarg_size 32
		.amdhsa_user_sgpr_count 6
		.amdhsa_user_sgpr_private_segment_buffer 1
		.amdhsa_user_sgpr_dispatch_ptr 0
		.amdhsa_user_sgpr_queue_ptr 0
		.amdhsa_user_sgpr_kernarg_segment_ptr 1
		.amdhsa_user_sgpr_dispatch_id 0
		.amdhsa_user_sgpr_flat_scratch_init 0
		.amdhsa_user_sgpr_kernarg_preload_length 0
		.amdhsa_user_sgpr_kernarg_preload_offset 0
		.amdhsa_user_sgpr_private_segment_size 0
		.amdhsa_uses_dynamic_stack 0
		.amdhsa_system_sgpr_private_segment_wavefront_offset 0
		.amdhsa_system_sgpr_workgroup_id_x 1
		.amdhsa_system_sgpr_workgroup_id_y 0
		.amdhsa_system_sgpr_workgroup_id_z 0
		.amdhsa_system_sgpr_workgroup_info 0
		.amdhsa_system_vgpr_workitem_id 0
		.amdhsa_next_free_vgpr 1
		.amdhsa_next_free_sgpr 0
		.amdhsa_accum_offset 4
		.amdhsa_reserve_vcc 0
		.amdhsa_reserve_flat_scratch 0
		.amdhsa_float_round_mode_32 0
		.amdhsa_float_round_mode_16_64 0
		.amdhsa_float_denorm_mode_32 3
		.amdhsa_float_denorm_mode_16_64 3
		.amdhsa_dx10_clamp 1
		.amdhsa_ieee_mode 1
		.amdhsa_fp16_overflow 0
		.amdhsa_tg_split 0
		.amdhsa_exception_fp_ieee_invalid_op 0
		.amdhsa_exception_fp_denorm_src 0
		.amdhsa_exception_fp_ieee_div_zero 0
		.amdhsa_exception_fp_ieee_overflow 0
		.amdhsa_exception_fp_ieee_underflow 0
		.amdhsa_exception_fp_ieee_inexact 0
		.amdhsa_exception_int_div_zero 0
	.end_amdhsa_kernel
	.section	.text._ZN7rocprim17ROCPRIM_400000_NS6detail17trampoline_kernelINS0_14default_configENS1_20scan_config_selectorIfEEZZNS1_9scan_implILNS1_25lookback_scan_determinismE0ELb1ELb1ES3_N6thrust23THRUST_200600_302600_NS6detail15normal_iteratorINS9_10device_ptrIfEEEESE_fNS9_4plusIvEEfEEDaPvRmT3_T4_T5_mT6_P12ihipStream_tbENKUlT_T0_E_clISt17integral_constantIbLb1EESU_EEDaSP_SQ_EUlSP_E0_NS1_11comp_targetILNS1_3genE0ELNS1_11target_archE4294967295ELNS1_3gpuE0ELNS1_3repE0EEENS1_30default_config_static_selectorELNS0_4arch9wavefront6targetE1EEEvT1_,"axG",@progbits,_ZN7rocprim17ROCPRIM_400000_NS6detail17trampoline_kernelINS0_14default_configENS1_20scan_config_selectorIfEEZZNS1_9scan_implILNS1_25lookback_scan_determinismE0ELb1ELb1ES3_N6thrust23THRUST_200600_302600_NS6detail15normal_iteratorINS9_10device_ptrIfEEEESE_fNS9_4plusIvEEfEEDaPvRmT3_T4_T5_mT6_P12ihipStream_tbENKUlT_T0_E_clISt17integral_constantIbLb1EESU_EEDaSP_SQ_EUlSP_E0_NS1_11comp_targetILNS1_3genE0ELNS1_11target_archE4294967295ELNS1_3gpuE0ELNS1_3repE0EEENS1_30default_config_static_selectorELNS0_4arch9wavefront6targetE1EEEvT1_,comdat
.Lfunc_end4385:
	.size	_ZN7rocprim17ROCPRIM_400000_NS6detail17trampoline_kernelINS0_14default_configENS1_20scan_config_selectorIfEEZZNS1_9scan_implILNS1_25lookback_scan_determinismE0ELb1ELb1ES3_N6thrust23THRUST_200600_302600_NS6detail15normal_iteratorINS9_10device_ptrIfEEEESE_fNS9_4plusIvEEfEEDaPvRmT3_T4_T5_mT6_P12ihipStream_tbENKUlT_T0_E_clISt17integral_constantIbLb1EESU_EEDaSP_SQ_EUlSP_E0_NS1_11comp_targetILNS1_3genE0ELNS1_11target_archE4294967295ELNS1_3gpuE0ELNS1_3repE0EEENS1_30default_config_static_selectorELNS0_4arch9wavefront6targetE1EEEvT1_, .Lfunc_end4385-_ZN7rocprim17ROCPRIM_400000_NS6detail17trampoline_kernelINS0_14default_configENS1_20scan_config_selectorIfEEZZNS1_9scan_implILNS1_25lookback_scan_determinismE0ELb1ELb1ES3_N6thrust23THRUST_200600_302600_NS6detail15normal_iteratorINS9_10device_ptrIfEEEESE_fNS9_4plusIvEEfEEDaPvRmT3_T4_T5_mT6_P12ihipStream_tbENKUlT_T0_E_clISt17integral_constantIbLb1EESU_EEDaSP_SQ_EUlSP_E0_NS1_11comp_targetILNS1_3genE0ELNS1_11target_archE4294967295ELNS1_3gpuE0ELNS1_3repE0EEENS1_30default_config_static_selectorELNS0_4arch9wavefront6targetE1EEEvT1_
                                        ; -- End function
	.section	.AMDGPU.csdata,"",@progbits
; Kernel info:
; codeLenInByte = 0
; NumSgprs: 4
; NumVgprs: 0
; NumAgprs: 0
; TotalNumVgprs: 0
; ScratchSize: 0
; MemoryBound: 0
; FloatMode: 240
; IeeeMode: 1
; LDSByteSize: 0 bytes/workgroup (compile time only)
; SGPRBlocks: 0
; VGPRBlocks: 0
; NumSGPRsForWavesPerEU: 4
; NumVGPRsForWavesPerEU: 1
; AccumOffset: 4
; Occupancy: 8
; WaveLimiterHint : 0
; COMPUTE_PGM_RSRC2:SCRATCH_EN: 0
; COMPUTE_PGM_RSRC2:USER_SGPR: 6
; COMPUTE_PGM_RSRC2:TRAP_HANDLER: 0
; COMPUTE_PGM_RSRC2:TGID_X_EN: 1
; COMPUTE_PGM_RSRC2:TGID_Y_EN: 0
; COMPUTE_PGM_RSRC2:TGID_Z_EN: 0
; COMPUTE_PGM_RSRC2:TIDIG_COMP_CNT: 0
; COMPUTE_PGM_RSRC3_GFX90A:ACCUM_OFFSET: 0
; COMPUTE_PGM_RSRC3_GFX90A:TG_SPLIT: 0
	.section	.text._ZN7rocprim17ROCPRIM_400000_NS6detail17trampoline_kernelINS0_14default_configENS1_20scan_config_selectorIfEEZZNS1_9scan_implILNS1_25lookback_scan_determinismE0ELb1ELb1ES3_N6thrust23THRUST_200600_302600_NS6detail15normal_iteratorINS9_10device_ptrIfEEEESE_fNS9_4plusIvEEfEEDaPvRmT3_T4_T5_mT6_P12ihipStream_tbENKUlT_T0_E_clISt17integral_constantIbLb1EESU_EEDaSP_SQ_EUlSP_E0_NS1_11comp_targetILNS1_3genE5ELNS1_11target_archE942ELNS1_3gpuE9ELNS1_3repE0EEENS1_30default_config_static_selectorELNS0_4arch9wavefront6targetE1EEEvT1_,"axG",@progbits,_ZN7rocprim17ROCPRIM_400000_NS6detail17trampoline_kernelINS0_14default_configENS1_20scan_config_selectorIfEEZZNS1_9scan_implILNS1_25lookback_scan_determinismE0ELb1ELb1ES3_N6thrust23THRUST_200600_302600_NS6detail15normal_iteratorINS9_10device_ptrIfEEEESE_fNS9_4plusIvEEfEEDaPvRmT3_T4_T5_mT6_P12ihipStream_tbENKUlT_T0_E_clISt17integral_constantIbLb1EESU_EEDaSP_SQ_EUlSP_E0_NS1_11comp_targetILNS1_3genE5ELNS1_11target_archE942ELNS1_3gpuE9ELNS1_3repE0EEENS1_30default_config_static_selectorELNS0_4arch9wavefront6targetE1EEEvT1_,comdat
	.protected	_ZN7rocprim17ROCPRIM_400000_NS6detail17trampoline_kernelINS0_14default_configENS1_20scan_config_selectorIfEEZZNS1_9scan_implILNS1_25lookback_scan_determinismE0ELb1ELb1ES3_N6thrust23THRUST_200600_302600_NS6detail15normal_iteratorINS9_10device_ptrIfEEEESE_fNS9_4plusIvEEfEEDaPvRmT3_T4_T5_mT6_P12ihipStream_tbENKUlT_T0_E_clISt17integral_constantIbLb1EESU_EEDaSP_SQ_EUlSP_E0_NS1_11comp_targetILNS1_3genE5ELNS1_11target_archE942ELNS1_3gpuE9ELNS1_3repE0EEENS1_30default_config_static_selectorELNS0_4arch9wavefront6targetE1EEEvT1_ ; -- Begin function _ZN7rocprim17ROCPRIM_400000_NS6detail17trampoline_kernelINS0_14default_configENS1_20scan_config_selectorIfEEZZNS1_9scan_implILNS1_25lookback_scan_determinismE0ELb1ELb1ES3_N6thrust23THRUST_200600_302600_NS6detail15normal_iteratorINS9_10device_ptrIfEEEESE_fNS9_4plusIvEEfEEDaPvRmT3_T4_T5_mT6_P12ihipStream_tbENKUlT_T0_E_clISt17integral_constantIbLb1EESU_EEDaSP_SQ_EUlSP_E0_NS1_11comp_targetILNS1_3genE5ELNS1_11target_archE942ELNS1_3gpuE9ELNS1_3repE0EEENS1_30default_config_static_selectorELNS0_4arch9wavefront6targetE1EEEvT1_
	.globl	_ZN7rocprim17ROCPRIM_400000_NS6detail17trampoline_kernelINS0_14default_configENS1_20scan_config_selectorIfEEZZNS1_9scan_implILNS1_25lookback_scan_determinismE0ELb1ELb1ES3_N6thrust23THRUST_200600_302600_NS6detail15normal_iteratorINS9_10device_ptrIfEEEESE_fNS9_4plusIvEEfEEDaPvRmT3_T4_T5_mT6_P12ihipStream_tbENKUlT_T0_E_clISt17integral_constantIbLb1EESU_EEDaSP_SQ_EUlSP_E0_NS1_11comp_targetILNS1_3genE5ELNS1_11target_archE942ELNS1_3gpuE9ELNS1_3repE0EEENS1_30default_config_static_selectorELNS0_4arch9wavefront6targetE1EEEvT1_
	.p2align	8
	.type	_ZN7rocprim17ROCPRIM_400000_NS6detail17trampoline_kernelINS0_14default_configENS1_20scan_config_selectorIfEEZZNS1_9scan_implILNS1_25lookback_scan_determinismE0ELb1ELb1ES3_N6thrust23THRUST_200600_302600_NS6detail15normal_iteratorINS9_10device_ptrIfEEEESE_fNS9_4plusIvEEfEEDaPvRmT3_T4_T5_mT6_P12ihipStream_tbENKUlT_T0_E_clISt17integral_constantIbLb1EESU_EEDaSP_SQ_EUlSP_E0_NS1_11comp_targetILNS1_3genE5ELNS1_11target_archE942ELNS1_3gpuE9ELNS1_3repE0EEENS1_30default_config_static_selectorELNS0_4arch9wavefront6targetE1EEEvT1_,@function
_ZN7rocprim17ROCPRIM_400000_NS6detail17trampoline_kernelINS0_14default_configENS1_20scan_config_selectorIfEEZZNS1_9scan_implILNS1_25lookback_scan_determinismE0ELb1ELb1ES3_N6thrust23THRUST_200600_302600_NS6detail15normal_iteratorINS9_10device_ptrIfEEEESE_fNS9_4plusIvEEfEEDaPvRmT3_T4_T5_mT6_P12ihipStream_tbENKUlT_T0_E_clISt17integral_constantIbLb1EESU_EEDaSP_SQ_EUlSP_E0_NS1_11comp_targetILNS1_3genE5ELNS1_11target_archE942ELNS1_3gpuE9ELNS1_3repE0EEENS1_30default_config_static_selectorELNS0_4arch9wavefront6targetE1EEEvT1_: ; @_ZN7rocprim17ROCPRIM_400000_NS6detail17trampoline_kernelINS0_14default_configENS1_20scan_config_selectorIfEEZZNS1_9scan_implILNS1_25lookback_scan_determinismE0ELb1ELb1ES3_N6thrust23THRUST_200600_302600_NS6detail15normal_iteratorINS9_10device_ptrIfEEEESE_fNS9_4plusIvEEfEEDaPvRmT3_T4_T5_mT6_P12ihipStream_tbENKUlT_T0_E_clISt17integral_constantIbLb1EESU_EEDaSP_SQ_EUlSP_E0_NS1_11comp_targetILNS1_3genE5ELNS1_11target_archE942ELNS1_3gpuE9ELNS1_3repE0EEENS1_30default_config_static_selectorELNS0_4arch9wavefront6targetE1EEEvT1_
; %bb.0:
	.section	.rodata,"a",@progbits
	.p2align	6, 0x0
	.amdhsa_kernel _ZN7rocprim17ROCPRIM_400000_NS6detail17trampoline_kernelINS0_14default_configENS1_20scan_config_selectorIfEEZZNS1_9scan_implILNS1_25lookback_scan_determinismE0ELb1ELb1ES3_N6thrust23THRUST_200600_302600_NS6detail15normal_iteratorINS9_10device_ptrIfEEEESE_fNS9_4plusIvEEfEEDaPvRmT3_T4_T5_mT6_P12ihipStream_tbENKUlT_T0_E_clISt17integral_constantIbLb1EESU_EEDaSP_SQ_EUlSP_E0_NS1_11comp_targetILNS1_3genE5ELNS1_11target_archE942ELNS1_3gpuE9ELNS1_3repE0EEENS1_30default_config_static_selectorELNS0_4arch9wavefront6targetE1EEEvT1_
		.amdhsa_group_segment_fixed_size 0
		.amdhsa_private_segment_fixed_size 0
		.amdhsa_kernarg_size 32
		.amdhsa_user_sgpr_count 6
		.amdhsa_user_sgpr_private_segment_buffer 1
		.amdhsa_user_sgpr_dispatch_ptr 0
		.amdhsa_user_sgpr_queue_ptr 0
		.amdhsa_user_sgpr_kernarg_segment_ptr 1
		.amdhsa_user_sgpr_dispatch_id 0
		.amdhsa_user_sgpr_flat_scratch_init 0
		.amdhsa_user_sgpr_kernarg_preload_length 0
		.amdhsa_user_sgpr_kernarg_preload_offset 0
		.amdhsa_user_sgpr_private_segment_size 0
		.amdhsa_uses_dynamic_stack 0
		.amdhsa_system_sgpr_private_segment_wavefront_offset 0
		.amdhsa_system_sgpr_workgroup_id_x 1
		.amdhsa_system_sgpr_workgroup_id_y 0
		.amdhsa_system_sgpr_workgroup_id_z 0
		.amdhsa_system_sgpr_workgroup_info 0
		.amdhsa_system_vgpr_workitem_id 0
		.amdhsa_next_free_vgpr 1
		.amdhsa_next_free_sgpr 0
		.amdhsa_accum_offset 4
		.amdhsa_reserve_vcc 0
		.amdhsa_reserve_flat_scratch 0
		.amdhsa_float_round_mode_32 0
		.amdhsa_float_round_mode_16_64 0
		.amdhsa_float_denorm_mode_32 3
		.amdhsa_float_denorm_mode_16_64 3
		.amdhsa_dx10_clamp 1
		.amdhsa_ieee_mode 1
		.amdhsa_fp16_overflow 0
		.amdhsa_tg_split 0
		.amdhsa_exception_fp_ieee_invalid_op 0
		.amdhsa_exception_fp_denorm_src 0
		.amdhsa_exception_fp_ieee_div_zero 0
		.amdhsa_exception_fp_ieee_overflow 0
		.amdhsa_exception_fp_ieee_underflow 0
		.amdhsa_exception_fp_ieee_inexact 0
		.amdhsa_exception_int_div_zero 0
	.end_amdhsa_kernel
	.section	.text._ZN7rocprim17ROCPRIM_400000_NS6detail17trampoline_kernelINS0_14default_configENS1_20scan_config_selectorIfEEZZNS1_9scan_implILNS1_25lookback_scan_determinismE0ELb1ELb1ES3_N6thrust23THRUST_200600_302600_NS6detail15normal_iteratorINS9_10device_ptrIfEEEESE_fNS9_4plusIvEEfEEDaPvRmT3_T4_T5_mT6_P12ihipStream_tbENKUlT_T0_E_clISt17integral_constantIbLb1EESU_EEDaSP_SQ_EUlSP_E0_NS1_11comp_targetILNS1_3genE5ELNS1_11target_archE942ELNS1_3gpuE9ELNS1_3repE0EEENS1_30default_config_static_selectorELNS0_4arch9wavefront6targetE1EEEvT1_,"axG",@progbits,_ZN7rocprim17ROCPRIM_400000_NS6detail17trampoline_kernelINS0_14default_configENS1_20scan_config_selectorIfEEZZNS1_9scan_implILNS1_25lookback_scan_determinismE0ELb1ELb1ES3_N6thrust23THRUST_200600_302600_NS6detail15normal_iteratorINS9_10device_ptrIfEEEESE_fNS9_4plusIvEEfEEDaPvRmT3_T4_T5_mT6_P12ihipStream_tbENKUlT_T0_E_clISt17integral_constantIbLb1EESU_EEDaSP_SQ_EUlSP_E0_NS1_11comp_targetILNS1_3genE5ELNS1_11target_archE942ELNS1_3gpuE9ELNS1_3repE0EEENS1_30default_config_static_selectorELNS0_4arch9wavefront6targetE1EEEvT1_,comdat
.Lfunc_end4386:
	.size	_ZN7rocprim17ROCPRIM_400000_NS6detail17trampoline_kernelINS0_14default_configENS1_20scan_config_selectorIfEEZZNS1_9scan_implILNS1_25lookback_scan_determinismE0ELb1ELb1ES3_N6thrust23THRUST_200600_302600_NS6detail15normal_iteratorINS9_10device_ptrIfEEEESE_fNS9_4plusIvEEfEEDaPvRmT3_T4_T5_mT6_P12ihipStream_tbENKUlT_T0_E_clISt17integral_constantIbLb1EESU_EEDaSP_SQ_EUlSP_E0_NS1_11comp_targetILNS1_3genE5ELNS1_11target_archE942ELNS1_3gpuE9ELNS1_3repE0EEENS1_30default_config_static_selectorELNS0_4arch9wavefront6targetE1EEEvT1_, .Lfunc_end4386-_ZN7rocprim17ROCPRIM_400000_NS6detail17trampoline_kernelINS0_14default_configENS1_20scan_config_selectorIfEEZZNS1_9scan_implILNS1_25lookback_scan_determinismE0ELb1ELb1ES3_N6thrust23THRUST_200600_302600_NS6detail15normal_iteratorINS9_10device_ptrIfEEEESE_fNS9_4plusIvEEfEEDaPvRmT3_T4_T5_mT6_P12ihipStream_tbENKUlT_T0_E_clISt17integral_constantIbLb1EESU_EEDaSP_SQ_EUlSP_E0_NS1_11comp_targetILNS1_3genE5ELNS1_11target_archE942ELNS1_3gpuE9ELNS1_3repE0EEENS1_30default_config_static_selectorELNS0_4arch9wavefront6targetE1EEEvT1_
                                        ; -- End function
	.section	.AMDGPU.csdata,"",@progbits
; Kernel info:
; codeLenInByte = 0
; NumSgprs: 4
; NumVgprs: 0
; NumAgprs: 0
; TotalNumVgprs: 0
; ScratchSize: 0
; MemoryBound: 0
; FloatMode: 240
; IeeeMode: 1
; LDSByteSize: 0 bytes/workgroup (compile time only)
; SGPRBlocks: 0
; VGPRBlocks: 0
; NumSGPRsForWavesPerEU: 4
; NumVGPRsForWavesPerEU: 1
; AccumOffset: 4
; Occupancy: 8
; WaveLimiterHint : 0
; COMPUTE_PGM_RSRC2:SCRATCH_EN: 0
; COMPUTE_PGM_RSRC2:USER_SGPR: 6
; COMPUTE_PGM_RSRC2:TRAP_HANDLER: 0
; COMPUTE_PGM_RSRC2:TGID_X_EN: 1
; COMPUTE_PGM_RSRC2:TGID_Y_EN: 0
; COMPUTE_PGM_RSRC2:TGID_Z_EN: 0
; COMPUTE_PGM_RSRC2:TIDIG_COMP_CNT: 0
; COMPUTE_PGM_RSRC3_GFX90A:ACCUM_OFFSET: 0
; COMPUTE_PGM_RSRC3_GFX90A:TG_SPLIT: 0
	.section	.text._ZN7rocprim17ROCPRIM_400000_NS6detail17trampoline_kernelINS0_14default_configENS1_20scan_config_selectorIfEEZZNS1_9scan_implILNS1_25lookback_scan_determinismE0ELb1ELb1ES3_N6thrust23THRUST_200600_302600_NS6detail15normal_iteratorINS9_10device_ptrIfEEEESE_fNS9_4plusIvEEfEEDaPvRmT3_T4_T5_mT6_P12ihipStream_tbENKUlT_T0_E_clISt17integral_constantIbLb1EESU_EEDaSP_SQ_EUlSP_E0_NS1_11comp_targetILNS1_3genE4ELNS1_11target_archE910ELNS1_3gpuE8ELNS1_3repE0EEENS1_30default_config_static_selectorELNS0_4arch9wavefront6targetE1EEEvT1_,"axG",@progbits,_ZN7rocprim17ROCPRIM_400000_NS6detail17trampoline_kernelINS0_14default_configENS1_20scan_config_selectorIfEEZZNS1_9scan_implILNS1_25lookback_scan_determinismE0ELb1ELb1ES3_N6thrust23THRUST_200600_302600_NS6detail15normal_iteratorINS9_10device_ptrIfEEEESE_fNS9_4plusIvEEfEEDaPvRmT3_T4_T5_mT6_P12ihipStream_tbENKUlT_T0_E_clISt17integral_constantIbLb1EESU_EEDaSP_SQ_EUlSP_E0_NS1_11comp_targetILNS1_3genE4ELNS1_11target_archE910ELNS1_3gpuE8ELNS1_3repE0EEENS1_30default_config_static_selectorELNS0_4arch9wavefront6targetE1EEEvT1_,comdat
	.protected	_ZN7rocprim17ROCPRIM_400000_NS6detail17trampoline_kernelINS0_14default_configENS1_20scan_config_selectorIfEEZZNS1_9scan_implILNS1_25lookback_scan_determinismE0ELb1ELb1ES3_N6thrust23THRUST_200600_302600_NS6detail15normal_iteratorINS9_10device_ptrIfEEEESE_fNS9_4plusIvEEfEEDaPvRmT3_T4_T5_mT6_P12ihipStream_tbENKUlT_T0_E_clISt17integral_constantIbLb1EESU_EEDaSP_SQ_EUlSP_E0_NS1_11comp_targetILNS1_3genE4ELNS1_11target_archE910ELNS1_3gpuE8ELNS1_3repE0EEENS1_30default_config_static_selectorELNS0_4arch9wavefront6targetE1EEEvT1_ ; -- Begin function _ZN7rocprim17ROCPRIM_400000_NS6detail17trampoline_kernelINS0_14default_configENS1_20scan_config_selectorIfEEZZNS1_9scan_implILNS1_25lookback_scan_determinismE0ELb1ELb1ES3_N6thrust23THRUST_200600_302600_NS6detail15normal_iteratorINS9_10device_ptrIfEEEESE_fNS9_4plusIvEEfEEDaPvRmT3_T4_T5_mT6_P12ihipStream_tbENKUlT_T0_E_clISt17integral_constantIbLb1EESU_EEDaSP_SQ_EUlSP_E0_NS1_11comp_targetILNS1_3genE4ELNS1_11target_archE910ELNS1_3gpuE8ELNS1_3repE0EEENS1_30default_config_static_selectorELNS0_4arch9wavefront6targetE1EEEvT1_
	.globl	_ZN7rocprim17ROCPRIM_400000_NS6detail17trampoline_kernelINS0_14default_configENS1_20scan_config_selectorIfEEZZNS1_9scan_implILNS1_25lookback_scan_determinismE0ELb1ELb1ES3_N6thrust23THRUST_200600_302600_NS6detail15normal_iteratorINS9_10device_ptrIfEEEESE_fNS9_4plusIvEEfEEDaPvRmT3_T4_T5_mT6_P12ihipStream_tbENKUlT_T0_E_clISt17integral_constantIbLb1EESU_EEDaSP_SQ_EUlSP_E0_NS1_11comp_targetILNS1_3genE4ELNS1_11target_archE910ELNS1_3gpuE8ELNS1_3repE0EEENS1_30default_config_static_selectorELNS0_4arch9wavefront6targetE1EEEvT1_
	.p2align	8
	.type	_ZN7rocprim17ROCPRIM_400000_NS6detail17trampoline_kernelINS0_14default_configENS1_20scan_config_selectorIfEEZZNS1_9scan_implILNS1_25lookback_scan_determinismE0ELb1ELb1ES3_N6thrust23THRUST_200600_302600_NS6detail15normal_iteratorINS9_10device_ptrIfEEEESE_fNS9_4plusIvEEfEEDaPvRmT3_T4_T5_mT6_P12ihipStream_tbENKUlT_T0_E_clISt17integral_constantIbLb1EESU_EEDaSP_SQ_EUlSP_E0_NS1_11comp_targetILNS1_3genE4ELNS1_11target_archE910ELNS1_3gpuE8ELNS1_3repE0EEENS1_30default_config_static_selectorELNS0_4arch9wavefront6targetE1EEEvT1_,@function
_ZN7rocprim17ROCPRIM_400000_NS6detail17trampoline_kernelINS0_14default_configENS1_20scan_config_selectorIfEEZZNS1_9scan_implILNS1_25lookback_scan_determinismE0ELb1ELb1ES3_N6thrust23THRUST_200600_302600_NS6detail15normal_iteratorINS9_10device_ptrIfEEEESE_fNS9_4plusIvEEfEEDaPvRmT3_T4_T5_mT6_P12ihipStream_tbENKUlT_T0_E_clISt17integral_constantIbLb1EESU_EEDaSP_SQ_EUlSP_E0_NS1_11comp_targetILNS1_3genE4ELNS1_11target_archE910ELNS1_3gpuE8ELNS1_3repE0EEENS1_30default_config_static_selectorELNS0_4arch9wavefront6targetE1EEEvT1_: ; @_ZN7rocprim17ROCPRIM_400000_NS6detail17trampoline_kernelINS0_14default_configENS1_20scan_config_selectorIfEEZZNS1_9scan_implILNS1_25lookback_scan_determinismE0ELb1ELb1ES3_N6thrust23THRUST_200600_302600_NS6detail15normal_iteratorINS9_10device_ptrIfEEEESE_fNS9_4plusIvEEfEEDaPvRmT3_T4_T5_mT6_P12ihipStream_tbENKUlT_T0_E_clISt17integral_constantIbLb1EESU_EEDaSP_SQ_EUlSP_E0_NS1_11comp_targetILNS1_3genE4ELNS1_11target_archE910ELNS1_3gpuE8ELNS1_3repE0EEENS1_30default_config_static_selectorELNS0_4arch9wavefront6targetE1EEEvT1_
; %bb.0:
	s_load_dwordx4 s[28:31], s[4:5], 0x0
	v_lshlrev_b32_e32 v18, 2, v0
	s_waitcnt lgkmcnt(0)
	s_load_dword s31, s[28:29], 0x0
	v_cmp_gt_u32_e32 vcc, s30, v0
	s_waitcnt lgkmcnt(0)
	v_mov_b32_e32 v1, s31
	s_and_saveexec_b64 s[0:1], vcc
	s_cbranch_execz .LBB4387_2
; %bb.1:
	global_load_dword v1, v18, s[28:29]
.LBB4387_2:
	s_or_b64 exec, exec, s[0:1]
	v_or_b32_e32 v2, 0x80, v0
	v_cmp_gt_u32_e64 s[0:1], s30, v2
	v_mov_b32_e32 v2, s31
	s_and_saveexec_b64 s[2:3], s[0:1]
	s_cbranch_execz .LBB4387_4
; %bb.3:
	global_load_dword v2, v18, s[28:29] offset:512
.LBB4387_4:
	s_or_b64 exec, exec, s[2:3]
	v_or_b32_e32 v3, 0x100, v0
	v_cmp_gt_u32_e64 s[2:3], s30, v3
	v_mov_b32_e32 v3, s31
	s_and_saveexec_b64 s[6:7], s[2:3]
	s_cbranch_execz .LBB4387_6
; %bb.5:
	global_load_dword v3, v18, s[28:29] offset:1024
.LBB4387_6:
	;; [unrolled: 9-line block ×7, first 2 shown]
	s_or_b64 exec, exec, s[14:15]
	v_or_b32_e32 v10, 0x400, v0
	v_cmp_gt_u32_e64 s[14:15], s30, v10
	v_mov_b32_e32 v9, s31
	s_and_saveexec_b64 s[16:17], s[14:15]
	s_cbranch_execz .LBB4387_18
; %bb.17:
	v_lshlrev_b32_e32 v9, 2, v10
	global_load_dword v9, v9, s[28:29]
.LBB4387_18:
	s_or_b64 exec, exec, s[16:17]
	v_or_b32_e32 v11, 0x480, v0
	v_cmp_gt_u32_e64 s[16:17], s30, v11
	v_mov_b32_e32 v10, s31
	s_and_saveexec_b64 s[18:19], s[16:17]
	s_cbranch_execz .LBB4387_20
; %bb.19:
	v_lshlrev_b32_e32 v10, 2, v11
	global_load_dword v10, v10, s[28:29]
.LBB4387_20:
	;; [unrolled: 10-line block ×5, first 2 shown]
	s_or_b64 exec, exec, s[24:25]
	s_load_dword s33, s[4:5], 0x10
	v_or_b32_e32 v15, 0x680, v0
	v_cmp_gt_u32_e64 s[24:25], s30, v15
	v_mov_b32_e32 v14, s31
	s_and_saveexec_b64 s[30:31], s[24:25]
	s_cbranch_execz .LBB4387_28
; %bb.27:
	v_lshlrev_b32_e32 v14, 2, v15
	global_load_dword v14, v14, s[28:29]
.LBB4387_28:
	s_or_b64 exec, exec, s[30:31]
	s_waitcnt vmcnt(0)
	ds_write2st64_b32 v18, v1, v2 offset1:2
	ds_write2st64_b32 v18, v3, v4 offset0:4 offset1:6
	ds_write2st64_b32 v18, v5, v6 offset0:8 offset1:10
	;; [unrolled: 1-line block ×6, first 2 shown]
	v_mad_u32_u24 v1, v0, 52, v18
	s_waitcnt lgkmcnt(0)
	s_barrier
	ds_read2_b64 v[10:13], v1 offset1:1
	ds_read2_b64 v[6:9], v1 offset0:2 offset1:3
	ds_read2_b64 v[2:5], v1 offset0:4 offset1:5
	ds_read_b64 v[14:15], v1 offset:48
	s_load_dwordx2 s[34:35], s[4:5], 0x18
	s_waitcnt lgkmcnt(0)
	v_add_f32_e32 v16, v10, v11
	v_add_f32_e32 v16, v16, v12
	;; [unrolled: 1-line block ×13, first 2 shown]
	v_lshrrev_b32_e32 v16, 3, v0
	v_and_b32_e32 v16, 12, v16
	v_add_u32_e32 v16, v18, v16
	v_cmp_gt_u32_e64 s[4:5], 64, v0
	s_barrier
	ds_write_b32 v16, v15
	s_waitcnt lgkmcnt(0)
	s_barrier
	s_and_saveexec_b64 s[36:37], s[4:5]
	s_cbranch_execz .LBB4387_30
; %bb.29:
	v_lshlrev_b32_e32 v16, 1, v0
	v_lshrrev_b32_e32 v17, 4, v0
	v_add_lshl_u32 v19, v17, v16, 2
	ds_read2_b32 v[16:17], v19 offset1:1
	v_mbcnt_lo_u32_b32 v20, -1, 0
	v_mbcnt_hi_u32_b32 v20, -1, v20
	v_and_b32_e32 v21, 15, v20
	v_cmp_eq_u32_e64 s[4:5], 0, v21
	s_waitcnt lgkmcnt(0)
	v_add_f32_e32 v17, v16, v17
	v_cmp_lt_u32_e64 s[28:29], 3, v21
	v_cmp_lt_u32_e64 s[30:31], 31, v20
	v_mov_b32_dpp v22, v17 row_shr:1 row_mask:0xf bank_mask:0xf
	v_add_f32_e32 v22, v17, v22
	v_cndmask_b32_e64 v17, v22, v17, s[4:5]
	v_cmp_lt_u32_e64 s[4:5], 1, v21
	s_nop 0
	v_mov_b32_dpp v22, v17 row_shr:2 row_mask:0xf bank_mask:0xf
	v_add_f32_e32 v22, v17, v22
	v_cndmask_b32_e64 v22, v17, v22, s[4:5]
	; wave barrier
	s_nop 1
	v_mov_b32_dpp v23, v22 row_shr:4 row_mask:0xf bank_mask:0xf
	v_add_f32_e32 v23, v22, v23
	v_cndmask_b32_e64 v22, v22, v23, s[28:29]
	v_cmp_lt_u32_e64 s[28:29], 7, v21
	s_nop 0
	v_mov_b32_dpp v23, v22 row_shr:8 row_mask:0xf bank_mask:0xf
	v_add_f32_e32 v23, v22, v23
	v_cndmask_b32_e64 v21, v22, v23, s[28:29]
	v_and_b32_e32 v23, 16, v20
	v_cmp_eq_u32_e64 s[28:29], 0, v23
	v_mov_b32_dpp v22, v21 row_bcast:15 row_mask:0xf bank_mask:0xf
	v_add_f32_e32 v22, v21, v22
	v_cndmask_b32_e64 v21, v22, v21, s[28:29]
	v_cmp_lt_u32_e64 s[28:29], 15, v20
	s_or_b64 s[4:5], s[28:29], s[4:5]
	v_mov_b32_dpp v22, v21 row_bcast:31 row_mask:0xf bank_mask:0xf
	v_add_f32_e32 v22, v21, v22
	v_cndmask_b32_e64 v21, v21, v22, s[30:31]
	v_cndmask_b32_e64 v17, v17, v21, s[4:5]
	v_add_u32_e32 v21, -1, v20
	v_and_b32_e32 v22, 64, v20
	v_cmp_lt_i32_e64 s[4:5], v21, v22
	v_cndmask_b32_e64 v20, v21, v20, s[4:5]
	v_lshlrev_b32_e32 v20, 2, v20
	ds_bpermute_b32 v17, v20, v17
	v_cmp_eq_u32_e64 s[4:5], 0, v0
	s_waitcnt lgkmcnt(0)
	v_add_f32_e32 v16, v16, v17
	v_cndmask_b32_e64 v15, v16, v15, s[4:5]
	ds_write_b32 v19, v15
	; wave barrier
	ds_read_b32 v16, v19 offset:4
	s_waitcnt lgkmcnt(0)
	v_add_f32_e32 v15, v15, v16
	ds_write_b32 v19, v15 offset:4
.LBB4387_30:
	s_or_b64 exec, exec, s[36:37]
	v_cmp_ne_u32_e64 s[4:5], 0, v0
	v_mov_b32_e32 v16, s33
	s_waitcnt lgkmcnt(0)
	s_barrier
	s_and_saveexec_b64 s[28:29], s[4:5]
	s_cbranch_execz .LBB4387_32
; %bb.31:
	v_add_u32_e32 v15, -1, v0
	v_lshrrev_b32_e32 v16, 5, v15
	v_add_lshl_u32 v15, v16, v15, 2
	ds_read_b32 v15, v15
	s_waitcnt lgkmcnt(0)
	v_add_f32_e32 v16, s33, v15
.LBB4387_32:
	s_or_b64 exec, exec, s[28:29]
	v_add_f32_e32 v17, v10, v16
	v_add_f32_e32 v10, v11, v17
	;; [unrolled: 1-line block ×12, first 2 shown]
	s_movk_i32 s4, 0xffcc
	v_add_f32_e32 v5, v14, v4
	v_mad_i32_i24 v0, v0, s4, v1
	s_barrier
	ds_write2_b64 v1, v[16:17], v[10:11] offset1:1
	ds_write2_b64 v1, v[12:13], v[6:7] offset0:2 offset1:3
	ds_write2_b64 v1, v[8:9], v[2:3] offset0:4 offset1:5
	ds_write_b64 v1, v[4:5] offset:48
	s_waitcnt lgkmcnt(0)
	s_barrier
	ds_read2st64_b32 v[12:13], v0 offset0:2 offset1:4
	ds_read2st64_b32 v[10:11], v0 offset0:6 offset1:8
	;; [unrolled: 1-line block ×4, first 2 shown]
	ds_read_b32 v14, v18 offset:4096
	ds_read2st64_b32 v[4:5], v0 offset0:20 offset1:22
	ds_read2st64_b32 v[0:1], v0 offset0:24 offset1:26
	v_mov_b32_e32 v3, s35
	v_add_co_u32_e64 v2, s[4:5], s34, v18
	v_addc_co_u32_e64 v3, s[4:5], 0, v3, s[4:5]
	s_and_saveexec_b64 s[4:5], vcc
	s_cbranch_execnz .LBB4387_47
; %bb.33:
	s_or_b64 exec, exec, s[4:5]
	s_and_saveexec_b64 s[4:5], s[0:1]
	s_cbranch_execnz .LBB4387_48
.LBB4387_34:
	s_or_b64 exec, exec, s[4:5]
	s_and_saveexec_b64 s[0:1], s[2:3]
	s_cbranch_execnz .LBB4387_49
.LBB4387_35:
	s_or_b64 exec, exec, s[0:1]
	s_and_saveexec_b64 s[0:1], s[26:27]
	s_cbranch_execnz .LBB4387_50
.LBB4387_36:
	s_or_b64 exec, exec, s[0:1]
	s_and_saveexec_b64 s[0:1], s[6:7]
	s_cbranch_execnz .LBB4387_51
.LBB4387_37:
	s_or_b64 exec, exec, s[0:1]
	s_and_saveexec_b64 s[0:1], s[8:9]
	s_cbranch_execnz .LBB4387_52
.LBB4387_38:
	s_or_b64 exec, exec, s[0:1]
	s_and_saveexec_b64 s[0:1], s[10:11]
	s_cbranch_execnz .LBB4387_53
.LBB4387_39:
	s_or_b64 exec, exec, s[0:1]
	s_and_saveexec_b64 s[0:1], s[12:13]
	s_cbranch_execnz .LBB4387_54
.LBB4387_40:
	s_or_b64 exec, exec, s[0:1]
	s_and_saveexec_b64 s[0:1], s[14:15]
	s_cbranch_execnz .LBB4387_55
.LBB4387_41:
	s_or_b64 exec, exec, s[0:1]
	s_and_saveexec_b64 s[0:1], s[16:17]
	s_cbranch_execnz .LBB4387_56
.LBB4387_42:
	s_or_b64 exec, exec, s[0:1]
	s_and_saveexec_b64 s[0:1], s[18:19]
	s_cbranch_execnz .LBB4387_57
.LBB4387_43:
	s_or_b64 exec, exec, s[0:1]
	s_and_saveexec_b64 s[0:1], s[20:21]
	s_cbranch_execnz .LBB4387_58
.LBB4387_44:
	s_or_b64 exec, exec, s[0:1]
	s_and_saveexec_b64 s[0:1], s[22:23]
	s_cbranch_execnz .LBB4387_59
.LBB4387_45:
	s_or_b64 exec, exec, s[0:1]
	s_and_saveexec_b64 s[0:1], s[24:25]
	s_cbranch_execnz .LBB4387_60
.LBB4387_46:
	s_endpgm
.LBB4387_47:
	ds_read_b32 v15, v18
	s_waitcnt lgkmcnt(0)
	global_store_dword v[2:3], v15, off
	s_or_b64 exec, exec, s[4:5]
	s_and_saveexec_b64 s[4:5], s[0:1]
	s_cbranch_execz .LBB4387_34
.LBB4387_48:
	s_waitcnt lgkmcnt(6)
	global_store_dword v[2:3], v12, off offset:512
	s_or_b64 exec, exec, s[4:5]
	s_and_saveexec_b64 s[0:1], s[2:3]
	s_cbranch_execz .LBB4387_35
.LBB4387_49:
	s_waitcnt lgkmcnt(6)
	global_store_dword v[2:3], v13, off offset:1024
	s_or_b64 exec, exec, s[0:1]
	s_and_saveexec_b64 s[0:1], s[26:27]
	s_cbranch_execz .LBB4387_36
.LBB4387_50:
	s_waitcnt lgkmcnt(5)
	global_store_dword v[2:3], v10, off offset:1536
	s_or_b64 exec, exec, s[0:1]
	s_and_saveexec_b64 s[0:1], s[6:7]
	s_cbranch_execz .LBB4387_37
.LBB4387_51:
	s_waitcnt lgkmcnt(5)
	global_store_dword v[2:3], v11, off offset:2048
	s_or_b64 exec, exec, s[0:1]
	s_and_saveexec_b64 s[0:1], s[8:9]
	s_cbranch_execz .LBB4387_38
.LBB4387_52:
	s_waitcnt lgkmcnt(4)
	global_store_dword v[2:3], v8, off offset:2560
	s_or_b64 exec, exec, s[0:1]
	s_and_saveexec_b64 s[0:1], s[10:11]
	s_cbranch_execz .LBB4387_39
.LBB4387_53:
	s_waitcnt lgkmcnt(4)
	global_store_dword v[2:3], v9, off offset:3072
	s_or_b64 exec, exec, s[0:1]
	s_and_saveexec_b64 s[0:1], s[12:13]
	s_cbranch_execz .LBB4387_40
.LBB4387_54:
	s_waitcnt lgkmcnt(3)
	global_store_dword v[2:3], v6, off offset:3584
	s_or_b64 exec, exec, s[0:1]
	s_and_saveexec_b64 s[0:1], s[14:15]
	s_cbranch_execz .LBB4387_41
.LBB4387_55:
	s_waitcnt lgkmcnt(4)
	v_add_co_u32_e32 v8, vcc, 0x1000, v2
	v_addc_co_u32_e32 v9, vcc, 0, v3, vcc
	s_waitcnt lgkmcnt(2)
	global_store_dword v[8:9], v14, off
	s_or_b64 exec, exec, s[0:1]
	s_and_saveexec_b64 s[0:1], s[16:17]
	s_cbranch_execz .LBB4387_42
.LBB4387_56:
	s_waitcnt lgkmcnt(4)
	v_add_co_u32_e32 v8, vcc, 0x1000, v2
	v_addc_co_u32_e32 v9, vcc, 0, v3, vcc
	s_waitcnt lgkmcnt(3)
	global_store_dword v[8:9], v7, off offset:512
	s_or_b64 exec, exec, s[0:1]
	s_and_saveexec_b64 s[0:1], s[18:19]
	s_cbranch_execz .LBB4387_43
.LBB4387_57:
	s_waitcnt lgkmcnt(3)
	v_add_co_u32_e32 v6, vcc, 0x1000, v2
	v_addc_co_u32_e32 v7, vcc, 0, v3, vcc
	s_waitcnt lgkmcnt(1)
	global_store_dword v[6:7], v4, off offset:1024
	s_or_b64 exec, exec, s[0:1]
	s_and_saveexec_b64 s[0:1], s[20:21]
	s_cbranch_execz .LBB4387_44
.LBB4387_58:
	s_waitcnt lgkmcnt(3)
	v_add_co_u32_e32 v6, vcc, 0x1000, v2
	v_addc_co_u32_e32 v7, vcc, 0, v3, vcc
	s_waitcnt lgkmcnt(1)
	global_store_dword v[6:7], v5, off offset:1536
	s_or_b64 exec, exec, s[0:1]
	s_and_saveexec_b64 s[0:1], s[22:23]
	s_cbranch_execz .LBB4387_45
.LBB4387_59:
	s_waitcnt lgkmcnt(1)
	v_add_co_u32_e32 v4, vcc, 0x1000, v2
	v_addc_co_u32_e32 v5, vcc, 0, v3, vcc
	s_waitcnt lgkmcnt(0)
	global_store_dword v[4:5], v0, off offset:2048
	s_or_b64 exec, exec, s[0:1]
	s_and_saveexec_b64 s[0:1], s[24:25]
	s_cbranch_execz .LBB4387_46
.LBB4387_60:
	v_add_co_u32_e32 v2, vcc, 0x1000, v2
	v_addc_co_u32_e32 v3, vcc, 0, v3, vcc
	s_waitcnt lgkmcnt(0)
	global_store_dword v[2:3], v1, off offset:2560
	s_endpgm
	.section	.rodata,"a",@progbits
	.p2align	6, 0x0
	.amdhsa_kernel _ZN7rocprim17ROCPRIM_400000_NS6detail17trampoline_kernelINS0_14default_configENS1_20scan_config_selectorIfEEZZNS1_9scan_implILNS1_25lookback_scan_determinismE0ELb1ELb1ES3_N6thrust23THRUST_200600_302600_NS6detail15normal_iteratorINS9_10device_ptrIfEEEESE_fNS9_4plusIvEEfEEDaPvRmT3_T4_T5_mT6_P12ihipStream_tbENKUlT_T0_E_clISt17integral_constantIbLb1EESU_EEDaSP_SQ_EUlSP_E0_NS1_11comp_targetILNS1_3genE4ELNS1_11target_archE910ELNS1_3gpuE8ELNS1_3repE0EEENS1_30default_config_static_selectorELNS0_4arch9wavefront6targetE1EEEvT1_
		.amdhsa_group_segment_fixed_size 7168
		.amdhsa_private_segment_fixed_size 0
		.amdhsa_kernarg_size 32
		.amdhsa_user_sgpr_count 6
		.amdhsa_user_sgpr_private_segment_buffer 1
		.amdhsa_user_sgpr_dispatch_ptr 0
		.amdhsa_user_sgpr_queue_ptr 0
		.amdhsa_user_sgpr_kernarg_segment_ptr 1
		.amdhsa_user_sgpr_dispatch_id 0
		.amdhsa_user_sgpr_flat_scratch_init 0
		.amdhsa_user_sgpr_kernarg_preload_length 0
		.amdhsa_user_sgpr_kernarg_preload_offset 0
		.amdhsa_user_sgpr_private_segment_size 0
		.amdhsa_uses_dynamic_stack 0
		.amdhsa_system_sgpr_private_segment_wavefront_offset 0
		.amdhsa_system_sgpr_workgroup_id_x 1
		.amdhsa_system_sgpr_workgroup_id_y 0
		.amdhsa_system_sgpr_workgroup_id_z 0
		.amdhsa_system_sgpr_workgroup_info 0
		.amdhsa_system_vgpr_workitem_id 0
		.amdhsa_next_free_vgpr 24
		.amdhsa_next_free_sgpr 38
		.amdhsa_accum_offset 24
		.amdhsa_reserve_vcc 1
		.amdhsa_reserve_flat_scratch 0
		.amdhsa_float_round_mode_32 0
		.amdhsa_float_round_mode_16_64 0
		.amdhsa_float_denorm_mode_32 3
		.amdhsa_float_denorm_mode_16_64 3
		.amdhsa_dx10_clamp 1
		.amdhsa_ieee_mode 1
		.amdhsa_fp16_overflow 0
		.amdhsa_tg_split 0
		.amdhsa_exception_fp_ieee_invalid_op 0
		.amdhsa_exception_fp_denorm_src 0
		.amdhsa_exception_fp_ieee_div_zero 0
		.amdhsa_exception_fp_ieee_overflow 0
		.amdhsa_exception_fp_ieee_underflow 0
		.amdhsa_exception_fp_ieee_inexact 0
		.amdhsa_exception_int_div_zero 0
	.end_amdhsa_kernel
	.section	.text._ZN7rocprim17ROCPRIM_400000_NS6detail17trampoline_kernelINS0_14default_configENS1_20scan_config_selectorIfEEZZNS1_9scan_implILNS1_25lookback_scan_determinismE0ELb1ELb1ES3_N6thrust23THRUST_200600_302600_NS6detail15normal_iteratorINS9_10device_ptrIfEEEESE_fNS9_4plusIvEEfEEDaPvRmT3_T4_T5_mT6_P12ihipStream_tbENKUlT_T0_E_clISt17integral_constantIbLb1EESU_EEDaSP_SQ_EUlSP_E0_NS1_11comp_targetILNS1_3genE4ELNS1_11target_archE910ELNS1_3gpuE8ELNS1_3repE0EEENS1_30default_config_static_selectorELNS0_4arch9wavefront6targetE1EEEvT1_,"axG",@progbits,_ZN7rocprim17ROCPRIM_400000_NS6detail17trampoline_kernelINS0_14default_configENS1_20scan_config_selectorIfEEZZNS1_9scan_implILNS1_25lookback_scan_determinismE0ELb1ELb1ES3_N6thrust23THRUST_200600_302600_NS6detail15normal_iteratorINS9_10device_ptrIfEEEESE_fNS9_4plusIvEEfEEDaPvRmT3_T4_T5_mT6_P12ihipStream_tbENKUlT_T0_E_clISt17integral_constantIbLb1EESU_EEDaSP_SQ_EUlSP_E0_NS1_11comp_targetILNS1_3genE4ELNS1_11target_archE910ELNS1_3gpuE8ELNS1_3repE0EEENS1_30default_config_static_selectorELNS0_4arch9wavefront6targetE1EEEvT1_,comdat
.Lfunc_end4387:
	.size	_ZN7rocprim17ROCPRIM_400000_NS6detail17trampoline_kernelINS0_14default_configENS1_20scan_config_selectorIfEEZZNS1_9scan_implILNS1_25lookback_scan_determinismE0ELb1ELb1ES3_N6thrust23THRUST_200600_302600_NS6detail15normal_iteratorINS9_10device_ptrIfEEEESE_fNS9_4plusIvEEfEEDaPvRmT3_T4_T5_mT6_P12ihipStream_tbENKUlT_T0_E_clISt17integral_constantIbLb1EESU_EEDaSP_SQ_EUlSP_E0_NS1_11comp_targetILNS1_3genE4ELNS1_11target_archE910ELNS1_3gpuE8ELNS1_3repE0EEENS1_30default_config_static_selectorELNS0_4arch9wavefront6targetE1EEEvT1_, .Lfunc_end4387-_ZN7rocprim17ROCPRIM_400000_NS6detail17trampoline_kernelINS0_14default_configENS1_20scan_config_selectorIfEEZZNS1_9scan_implILNS1_25lookback_scan_determinismE0ELb1ELb1ES3_N6thrust23THRUST_200600_302600_NS6detail15normal_iteratorINS9_10device_ptrIfEEEESE_fNS9_4plusIvEEfEEDaPvRmT3_T4_T5_mT6_P12ihipStream_tbENKUlT_T0_E_clISt17integral_constantIbLb1EESU_EEDaSP_SQ_EUlSP_E0_NS1_11comp_targetILNS1_3genE4ELNS1_11target_archE910ELNS1_3gpuE8ELNS1_3repE0EEENS1_30default_config_static_selectorELNS0_4arch9wavefront6targetE1EEEvT1_
                                        ; -- End function
	.section	.AMDGPU.csdata,"",@progbits
; Kernel info:
; codeLenInByte = 2024
; NumSgprs: 42
; NumVgprs: 24
; NumAgprs: 0
; TotalNumVgprs: 24
; ScratchSize: 0
; MemoryBound: 0
; FloatMode: 240
; IeeeMode: 1
; LDSByteSize: 7168 bytes/workgroup (compile time only)
; SGPRBlocks: 5
; VGPRBlocks: 2
; NumSGPRsForWavesPerEU: 42
; NumVGPRsForWavesPerEU: 24
; AccumOffset: 24
; Occupancy: 5
; WaveLimiterHint : 0
; COMPUTE_PGM_RSRC2:SCRATCH_EN: 0
; COMPUTE_PGM_RSRC2:USER_SGPR: 6
; COMPUTE_PGM_RSRC2:TRAP_HANDLER: 0
; COMPUTE_PGM_RSRC2:TGID_X_EN: 1
; COMPUTE_PGM_RSRC2:TGID_Y_EN: 0
; COMPUTE_PGM_RSRC2:TGID_Z_EN: 0
; COMPUTE_PGM_RSRC2:TIDIG_COMP_CNT: 0
; COMPUTE_PGM_RSRC3_GFX90A:ACCUM_OFFSET: 5
; COMPUTE_PGM_RSRC3_GFX90A:TG_SPLIT: 0
	.section	.text._ZN7rocprim17ROCPRIM_400000_NS6detail17trampoline_kernelINS0_14default_configENS1_20scan_config_selectorIfEEZZNS1_9scan_implILNS1_25lookback_scan_determinismE0ELb1ELb1ES3_N6thrust23THRUST_200600_302600_NS6detail15normal_iteratorINS9_10device_ptrIfEEEESE_fNS9_4plusIvEEfEEDaPvRmT3_T4_T5_mT6_P12ihipStream_tbENKUlT_T0_E_clISt17integral_constantIbLb1EESU_EEDaSP_SQ_EUlSP_E0_NS1_11comp_targetILNS1_3genE3ELNS1_11target_archE908ELNS1_3gpuE7ELNS1_3repE0EEENS1_30default_config_static_selectorELNS0_4arch9wavefront6targetE1EEEvT1_,"axG",@progbits,_ZN7rocprim17ROCPRIM_400000_NS6detail17trampoline_kernelINS0_14default_configENS1_20scan_config_selectorIfEEZZNS1_9scan_implILNS1_25lookback_scan_determinismE0ELb1ELb1ES3_N6thrust23THRUST_200600_302600_NS6detail15normal_iteratorINS9_10device_ptrIfEEEESE_fNS9_4plusIvEEfEEDaPvRmT3_T4_T5_mT6_P12ihipStream_tbENKUlT_T0_E_clISt17integral_constantIbLb1EESU_EEDaSP_SQ_EUlSP_E0_NS1_11comp_targetILNS1_3genE3ELNS1_11target_archE908ELNS1_3gpuE7ELNS1_3repE0EEENS1_30default_config_static_selectorELNS0_4arch9wavefront6targetE1EEEvT1_,comdat
	.protected	_ZN7rocprim17ROCPRIM_400000_NS6detail17trampoline_kernelINS0_14default_configENS1_20scan_config_selectorIfEEZZNS1_9scan_implILNS1_25lookback_scan_determinismE0ELb1ELb1ES3_N6thrust23THRUST_200600_302600_NS6detail15normal_iteratorINS9_10device_ptrIfEEEESE_fNS9_4plusIvEEfEEDaPvRmT3_T4_T5_mT6_P12ihipStream_tbENKUlT_T0_E_clISt17integral_constantIbLb1EESU_EEDaSP_SQ_EUlSP_E0_NS1_11comp_targetILNS1_3genE3ELNS1_11target_archE908ELNS1_3gpuE7ELNS1_3repE0EEENS1_30default_config_static_selectorELNS0_4arch9wavefront6targetE1EEEvT1_ ; -- Begin function _ZN7rocprim17ROCPRIM_400000_NS6detail17trampoline_kernelINS0_14default_configENS1_20scan_config_selectorIfEEZZNS1_9scan_implILNS1_25lookback_scan_determinismE0ELb1ELb1ES3_N6thrust23THRUST_200600_302600_NS6detail15normal_iteratorINS9_10device_ptrIfEEEESE_fNS9_4plusIvEEfEEDaPvRmT3_T4_T5_mT6_P12ihipStream_tbENKUlT_T0_E_clISt17integral_constantIbLb1EESU_EEDaSP_SQ_EUlSP_E0_NS1_11comp_targetILNS1_3genE3ELNS1_11target_archE908ELNS1_3gpuE7ELNS1_3repE0EEENS1_30default_config_static_selectorELNS0_4arch9wavefront6targetE1EEEvT1_
	.globl	_ZN7rocprim17ROCPRIM_400000_NS6detail17trampoline_kernelINS0_14default_configENS1_20scan_config_selectorIfEEZZNS1_9scan_implILNS1_25lookback_scan_determinismE0ELb1ELb1ES3_N6thrust23THRUST_200600_302600_NS6detail15normal_iteratorINS9_10device_ptrIfEEEESE_fNS9_4plusIvEEfEEDaPvRmT3_T4_T5_mT6_P12ihipStream_tbENKUlT_T0_E_clISt17integral_constantIbLb1EESU_EEDaSP_SQ_EUlSP_E0_NS1_11comp_targetILNS1_3genE3ELNS1_11target_archE908ELNS1_3gpuE7ELNS1_3repE0EEENS1_30default_config_static_selectorELNS0_4arch9wavefront6targetE1EEEvT1_
	.p2align	8
	.type	_ZN7rocprim17ROCPRIM_400000_NS6detail17trampoline_kernelINS0_14default_configENS1_20scan_config_selectorIfEEZZNS1_9scan_implILNS1_25lookback_scan_determinismE0ELb1ELb1ES3_N6thrust23THRUST_200600_302600_NS6detail15normal_iteratorINS9_10device_ptrIfEEEESE_fNS9_4plusIvEEfEEDaPvRmT3_T4_T5_mT6_P12ihipStream_tbENKUlT_T0_E_clISt17integral_constantIbLb1EESU_EEDaSP_SQ_EUlSP_E0_NS1_11comp_targetILNS1_3genE3ELNS1_11target_archE908ELNS1_3gpuE7ELNS1_3repE0EEENS1_30default_config_static_selectorELNS0_4arch9wavefront6targetE1EEEvT1_,@function
_ZN7rocprim17ROCPRIM_400000_NS6detail17trampoline_kernelINS0_14default_configENS1_20scan_config_selectorIfEEZZNS1_9scan_implILNS1_25lookback_scan_determinismE0ELb1ELb1ES3_N6thrust23THRUST_200600_302600_NS6detail15normal_iteratorINS9_10device_ptrIfEEEESE_fNS9_4plusIvEEfEEDaPvRmT3_T4_T5_mT6_P12ihipStream_tbENKUlT_T0_E_clISt17integral_constantIbLb1EESU_EEDaSP_SQ_EUlSP_E0_NS1_11comp_targetILNS1_3genE3ELNS1_11target_archE908ELNS1_3gpuE7ELNS1_3repE0EEENS1_30default_config_static_selectorELNS0_4arch9wavefront6targetE1EEEvT1_: ; @_ZN7rocprim17ROCPRIM_400000_NS6detail17trampoline_kernelINS0_14default_configENS1_20scan_config_selectorIfEEZZNS1_9scan_implILNS1_25lookback_scan_determinismE0ELb1ELb1ES3_N6thrust23THRUST_200600_302600_NS6detail15normal_iteratorINS9_10device_ptrIfEEEESE_fNS9_4plusIvEEfEEDaPvRmT3_T4_T5_mT6_P12ihipStream_tbENKUlT_T0_E_clISt17integral_constantIbLb1EESU_EEDaSP_SQ_EUlSP_E0_NS1_11comp_targetILNS1_3genE3ELNS1_11target_archE908ELNS1_3gpuE7ELNS1_3repE0EEENS1_30default_config_static_selectorELNS0_4arch9wavefront6targetE1EEEvT1_
; %bb.0:
	.section	.rodata,"a",@progbits
	.p2align	6, 0x0
	.amdhsa_kernel _ZN7rocprim17ROCPRIM_400000_NS6detail17trampoline_kernelINS0_14default_configENS1_20scan_config_selectorIfEEZZNS1_9scan_implILNS1_25lookback_scan_determinismE0ELb1ELb1ES3_N6thrust23THRUST_200600_302600_NS6detail15normal_iteratorINS9_10device_ptrIfEEEESE_fNS9_4plusIvEEfEEDaPvRmT3_T4_T5_mT6_P12ihipStream_tbENKUlT_T0_E_clISt17integral_constantIbLb1EESU_EEDaSP_SQ_EUlSP_E0_NS1_11comp_targetILNS1_3genE3ELNS1_11target_archE908ELNS1_3gpuE7ELNS1_3repE0EEENS1_30default_config_static_selectorELNS0_4arch9wavefront6targetE1EEEvT1_
		.amdhsa_group_segment_fixed_size 0
		.amdhsa_private_segment_fixed_size 0
		.amdhsa_kernarg_size 32
		.amdhsa_user_sgpr_count 6
		.amdhsa_user_sgpr_private_segment_buffer 1
		.amdhsa_user_sgpr_dispatch_ptr 0
		.amdhsa_user_sgpr_queue_ptr 0
		.amdhsa_user_sgpr_kernarg_segment_ptr 1
		.amdhsa_user_sgpr_dispatch_id 0
		.amdhsa_user_sgpr_flat_scratch_init 0
		.amdhsa_user_sgpr_kernarg_preload_length 0
		.amdhsa_user_sgpr_kernarg_preload_offset 0
		.amdhsa_user_sgpr_private_segment_size 0
		.amdhsa_uses_dynamic_stack 0
		.amdhsa_system_sgpr_private_segment_wavefront_offset 0
		.amdhsa_system_sgpr_workgroup_id_x 1
		.amdhsa_system_sgpr_workgroup_id_y 0
		.amdhsa_system_sgpr_workgroup_id_z 0
		.amdhsa_system_sgpr_workgroup_info 0
		.amdhsa_system_vgpr_workitem_id 0
		.amdhsa_next_free_vgpr 1
		.amdhsa_next_free_sgpr 0
		.amdhsa_accum_offset 4
		.amdhsa_reserve_vcc 0
		.amdhsa_reserve_flat_scratch 0
		.amdhsa_float_round_mode_32 0
		.amdhsa_float_round_mode_16_64 0
		.amdhsa_float_denorm_mode_32 3
		.amdhsa_float_denorm_mode_16_64 3
		.amdhsa_dx10_clamp 1
		.amdhsa_ieee_mode 1
		.amdhsa_fp16_overflow 0
		.amdhsa_tg_split 0
		.amdhsa_exception_fp_ieee_invalid_op 0
		.amdhsa_exception_fp_denorm_src 0
		.amdhsa_exception_fp_ieee_div_zero 0
		.amdhsa_exception_fp_ieee_overflow 0
		.amdhsa_exception_fp_ieee_underflow 0
		.amdhsa_exception_fp_ieee_inexact 0
		.amdhsa_exception_int_div_zero 0
	.end_amdhsa_kernel
	.section	.text._ZN7rocprim17ROCPRIM_400000_NS6detail17trampoline_kernelINS0_14default_configENS1_20scan_config_selectorIfEEZZNS1_9scan_implILNS1_25lookback_scan_determinismE0ELb1ELb1ES3_N6thrust23THRUST_200600_302600_NS6detail15normal_iteratorINS9_10device_ptrIfEEEESE_fNS9_4plusIvEEfEEDaPvRmT3_T4_T5_mT6_P12ihipStream_tbENKUlT_T0_E_clISt17integral_constantIbLb1EESU_EEDaSP_SQ_EUlSP_E0_NS1_11comp_targetILNS1_3genE3ELNS1_11target_archE908ELNS1_3gpuE7ELNS1_3repE0EEENS1_30default_config_static_selectorELNS0_4arch9wavefront6targetE1EEEvT1_,"axG",@progbits,_ZN7rocprim17ROCPRIM_400000_NS6detail17trampoline_kernelINS0_14default_configENS1_20scan_config_selectorIfEEZZNS1_9scan_implILNS1_25lookback_scan_determinismE0ELb1ELb1ES3_N6thrust23THRUST_200600_302600_NS6detail15normal_iteratorINS9_10device_ptrIfEEEESE_fNS9_4plusIvEEfEEDaPvRmT3_T4_T5_mT6_P12ihipStream_tbENKUlT_T0_E_clISt17integral_constantIbLb1EESU_EEDaSP_SQ_EUlSP_E0_NS1_11comp_targetILNS1_3genE3ELNS1_11target_archE908ELNS1_3gpuE7ELNS1_3repE0EEENS1_30default_config_static_selectorELNS0_4arch9wavefront6targetE1EEEvT1_,comdat
.Lfunc_end4388:
	.size	_ZN7rocprim17ROCPRIM_400000_NS6detail17trampoline_kernelINS0_14default_configENS1_20scan_config_selectorIfEEZZNS1_9scan_implILNS1_25lookback_scan_determinismE0ELb1ELb1ES3_N6thrust23THRUST_200600_302600_NS6detail15normal_iteratorINS9_10device_ptrIfEEEESE_fNS9_4plusIvEEfEEDaPvRmT3_T4_T5_mT6_P12ihipStream_tbENKUlT_T0_E_clISt17integral_constantIbLb1EESU_EEDaSP_SQ_EUlSP_E0_NS1_11comp_targetILNS1_3genE3ELNS1_11target_archE908ELNS1_3gpuE7ELNS1_3repE0EEENS1_30default_config_static_selectorELNS0_4arch9wavefront6targetE1EEEvT1_, .Lfunc_end4388-_ZN7rocprim17ROCPRIM_400000_NS6detail17trampoline_kernelINS0_14default_configENS1_20scan_config_selectorIfEEZZNS1_9scan_implILNS1_25lookback_scan_determinismE0ELb1ELb1ES3_N6thrust23THRUST_200600_302600_NS6detail15normal_iteratorINS9_10device_ptrIfEEEESE_fNS9_4plusIvEEfEEDaPvRmT3_T4_T5_mT6_P12ihipStream_tbENKUlT_T0_E_clISt17integral_constantIbLb1EESU_EEDaSP_SQ_EUlSP_E0_NS1_11comp_targetILNS1_3genE3ELNS1_11target_archE908ELNS1_3gpuE7ELNS1_3repE0EEENS1_30default_config_static_selectorELNS0_4arch9wavefront6targetE1EEEvT1_
                                        ; -- End function
	.section	.AMDGPU.csdata,"",@progbits
; Kernel info:
; codeLenInByte = 0
; NumSgprs: 4
; NumVgprs: 0
; NumAgprs: 0
; TotalNumVgprs: 0
; ScratchSize: 0
; MemoryBound: 0
; FloatMode: 240
; IeeeMode: 1
; LDSByteSize: 0 bytes/workgroup (compile time only)
; SGPRBlocks: 0
; VGPRBlocks: 0
; NumSGPRsForWavesPerEU: 4
; NumVGPRsForWavesPerEU: 1
; AccumOffset: 4
; Occupancy: 8
; WaveLimiterHint : 0
; COMPUTE_PGM_RSRC2:SCRATCH_EN: 0
; COMPUTE_PGM_RSRC2:USER_SGPR: 6
; COMPUTE_PGM_RSRC2:TRAP_HANDLER: 0
; COMPUTE_PGM_RSRC2:TGID_X_EN: 1
; COMPUTE_PGM_RSRC2:TGID_Y_EN: 0
; COMPUTE_PGM_RSRC2:TGID_Z_EN: 0
; COMPUTE_PGM_RSRC2:TIDIG_COMP_CNT: 0
; COMPUTE_PGM_RSRC3_GFX90A:ACCUM_OFFSET: 0
; COMPUTE_PGM_RSRC3_GFX90A:TG_SPLIT: 0
	.section	.text._ZN7rocprim17ROCPRIM_400000_NS6detail17trampoline_kernelINS0_14default_configENS1_20scan_config_selectorIfEEZZNS1_9scan_implILNS1_25lookback_scan_determinismE0ELb1ELb1ES3_N6thrust23THRUST_200600_302600_NS6detail15normal_iteratorINS9_10device_ptrIfEEEESE_fNS9_4plusIvEEfEEDaPvRmT3_T4_T5_mT6_P12ihipStream_tbENKUlT_T0_E_clISt17integral_constantIbLb1EESU_EEDaSP_SQ_EUlSP_E0_NS1_11comp_targetILNS1_3genE2ELNS1_11target_archE906ELNS1_3gpuE6ELNS1_3repE0EEENS1_30default_config_static_selectorELNS0_4arch9wavefront6targetE1EEEvT1_,"axG",@progbits,_ZN7rocprim17ROCPRIM_400000_NS6detail17trampoline_kernelINS0_14default_configENS1_20scan_config_selectorIfEEZZNS1_9scan_implILNS1_25lookback_scan_determinismE0ELb1ELb1ES3_N6thrust23THRUST_200600_302600_NS6detail15normal_iteratorINS9_10device_ptrIfEEEESE_fNS9_4plusIvEEfEEDaPvRmT3_T4_T5_mT6_P12ihipStream_tbENKUlT_T0_E_clISt17integral_constantIbLb1EESU_EEDaSP_SQ_EUlSP_E0_NS1_11comp_targetILNS1_3genE2ELNS1_11target_archE906ELNS1_3gpuE6ELNS1_3repE0EEENS1_30default_config_static_selectorELNS0_4arch9wavefront6targetE1EEEvT1_,comdat
	.protected	_ZN7rocprim17ROCPRIM_400000_NS6detail17trampoline_kernelINS0_14default_configENS1_20scan_config_selectorIfEEZZNS1_9scan_implILNS1_25lookback_scan_determinismE0ELb1ELb1ES3_N6thrust23THRUST_200600_302600_NS6detail15normal_iteratorINS9_10device_ptrIfEEEESE_fNS9_4plusIvEEfEEDaPvRmT3_T4_T5_mT6_P12ihipStream_tbENKUlT_T0_E_clISt17integral_constantIbLb1EESU_EEDaSP_SQ_EUlSP_E0_NS1_11comp_targetILNS1_3genE2ELNS1_11target_archE906ELNS1_3gpuE6ELNS1_3repE0EEENS1_30default_config_static_selectorELNS0_4arch9wavefront6targetE1EEEvT1_ ; -- Begin function _ZN7rocprim17ROCPRIM_400000_NS6detail17trampoline_kernelINS0_14default_configENS1_20scan_config_selectorIfEEZZNS1_9scan_implILNS1_25lookback_scan_determinismE0ELb1ELb1ES3_N6thrust23THRUST_200600_302600_NS6detail15normal_iteratorINS9_10device_ptrIfEEEESE_fNS9_4plusIvEEfEEDaPvRmT3_T4_T5_mT6_P12ihipStream_tbENKUlT_T0_E_clISt17integral_constantIbLb1EESU_EEDaSP_SQ_EUlSP_E0_NS1_11comp_targetILNS1_3genE2ELNS1_11target_archE906ELNS1_3gpuE6ELNS1_3repE0EEENS1_30default_config_static_selectorELNS0_4arch9wavefront6targetE1EEEvT1_
	.globl	_ZN7rocprim17ROCPRIM_400000_NS6detail17trampoline_kernelINS0_14default_configENS1_20scan_config_selectorIfEEZZNS1_9scan_implILNS1_25lookback_scan_determinismE0ELb1ELb1ES3_N6thrust23THRUST_200600_302600_NS6detail15normal_iteratorINS9_10device_ptrIfEEEESE_fNS9_4plusIvEEfEEDaPvRmT3_T4_T5_mT6_P12ihipStream_tbENKUlT_T0_E_clISt17integral_constantIbLb1EESU_EEDaSP_SQ_EUlSP_E0_NS1_11comp_targetILNS1_3genE2ELNS1_11target_archE906ELNS1_3gpuE6ELNS1_3repE0EEENS1_30default_config_static_selectorELNS0_4arch9wavefront6targetE1EEEvT1_
	.p2align	8
	.type	_ZN7rocprim17ROCPRIM_400000_NS6detail17trampoline_kernelINS0_14default_configENS1_20scan_config_selectorIfEEZZNS1_9scan_implILNS1_25lookback_scan_determinismE0ELb1ELb1ES3_N6thrust23THRUST_200600_302600_NS6detail15normal_iteratorINS9_10device_ptrIfEEEESE_fNS9_4plusIvEEfEEDaPvRmT3_T4_T5_mT6_P12ihipStream_tbENKUlT_T0_E_clISt17integral_constantIbLb1EESU_EEDaSP_SQ_EUlSP_E0_NS1_11comp_targetILNS1_3genE2ELNS1_11target_archE906ELNS1_3gpuE6ELNS1_3repE0EEENS1_30default_config_static_selectorELNS0_4arch9wavefront6targetE1EEEvT1_,@function
_ZN7rocprim17ROCPRIM_400000_NS6detail17trampoline_kernelINS0_14default_configENS1_20scan_config_selectorIfEEZZNS1_9scan_implILNS1_25lookback_scan_determinismE0ELb1ELb1ES3_N6thrust23THRUST_200600_302600_NS6detail15normal_iteratorINS9_10device_ptrIfEEEESE_fNS9_4plusIvEEfEEDaPvRmT3_T4_T5_mT6_P12ihipStream_tbENKUlT_T0_E_clISt17integral_constantIbLb1EESU_EEDaSP_SQ_EUlSP_E0_NS1_11comp_targetILNS1_3genE2ELNS1_11target_archE906ELNS1_3gpuE6ELNS1_3repE0EEENS1_30default_config_static_selectorELNS0_4arch9wavefront6targetE1EEEvT1_: ; @_ZN7rocprim17ROCPRIM_400000_NS6detail17trampoline_kernelINS0_14default_configENS1_20scan_config_selectorIfEEZZNS1_9scan_implILNS1_25lookback_scan_determinismE0ELb1ELb1ES3_N6thrust23THRUST_200600_302600_NS6detail15normal_iteratorINS9_10device_ptrIfEEEESE_fNS9_4plusIvEEfEEDaPvRmT3_T4_T5_mT6_P12ihipStream_tbENKUlT_T0_E_clISt17integral_constantIbLb1EESU_EEDaSP_SQ_EUlSP_E0_NS1_11comp_targetILNS1_3genE2ELNS1_11target_archE906ELNS1_3gpuE6ELNS1_3repE0EEENS1_30default_config_static_selectorELNS0_4arch9wavefront6targetE1EEEvT1_
; %bb.0:
	.section	.rodata,"a",@progbits
	.p2align	6, 0x0
	.amdhsa_kernel _ZN7rocprim17ROCPRIM_400000_NS6detail17trampoline_kernelINS0_14default_configENS1_20scan_config_selectorIfEEZZNS1_9scan_implILNS1_25lookback_scan_determinismE0ELb1ELb1ES3_N6thrust23THRUST_200600_302600_NS6detail15normal_iteratorINS9_10device_ptrIfEEEESE_fNS9_4plusIvEEfEEDaPvRmT3_T4_T5_mT6_P12ihipStream_tbENKUlT_T0_E_clISt17integral_constantIbLb1EESU_EEDaSP_SQ_EUlSP_E0_NS1_11comp_targetILNS1_3genE2ELNS1_11target_archE906ELNS1_3gpuE6ELNS1_3repE0EEENS1_30default_config_static_selectorELNS0_4arch9wavefront6targetE1EEEvT1_
		.amdhsa_group_segment_fixed_size 0
		.amdhsa_private_segment_fixed_size 0
		.amdhsa_kernarg_size 32
		.amdhsa_user_sgpr_count 6
		.amdhsa_user_sgpr_private_segment_buffer 1
		.amdhsa_user_sgpr_dispatch_ptr 0
		.amdhsa_user_sgpr_queue_ptr 0
		.amdhsa_user_sgpr_kernarg_segment_ptr 1
		.amdhsa_user_sgpr_dispatch_id 0
		.amdhsa_user_sgpr_flat_scratch_init 0
		.amdhsa_user_sgpr_kernarg_preload_length 0
		.amdhsa_user_sgpr_kernarg_preload_offset 0
		.amdhsa_user_sgpr_private_segment_size 0
		.amdhsa_uses_dynamic_stack 0
		.amdhsa_system_sgpr_private_segment_wavefront_offset 0
		.amdhsa_system_sgpr_workgroup_id_x 1
		.amdhsa_system_sgpr_workgroup_id_y 0
		.amdhsa_system_sgpr_workgroup_id_z 0
		.amdhsa_system_sgpr_workgroup_info 0
		.amdhsa_system_vgpr_workitem_id 0
		.amdhsa_next_free_vgpr 1
		.amdhsa_next_free_sgpr 0
		.amdhsa_accum_offset 4
		.amdhsa_reserve_vcc 0
		.amdhsa_reserve_flat_scratch 0
		.amdhsa_float_round_mode_32 0
		.amdhsa_float_round_mode_16_64 0
		.amdhsa_float_denorm_mode_32 3
		.amdhsa_float_denorm_mode_16_64 3
		.amdhsa_dx10_clamp 1
		.amdhsa_ieee_mode 1
		.amdhsa_fp16_overflow 0
		.amdhsa_tg_split 0
		.amdhsa_exception_fp_ieee_invalid_op 0
		.amdhsa_exception_fp_denorm_src 0
		.amdhsa_exception_fp_ieee_div_zero 0
		.amdhsa_exception_fp_ieee_overflow 0
		.amdhsa_exception_fp_ieee_underflow 0
		.amdhsa_exception_fp_ieee_inexact 0
		.amdhsa_exception_int_div_zero 0
	.end_amdhsa_kernel
	.section	.text._ZN7rocprim17ROCPRIM_400000_NS6detail17trampoline_kernelINS0_14default_configENS1_20scan_config_selectorIfEEZZNS1_9scan_implILNS1_25lookback_scan_determinismE0ELb1ELb1ES3_N6thrust23THRUST_200600_302600_NS6detail15normal_iteratorINS9_10device_ptrIfEEEESE_fNS9_4plusIvEEfEEDaPvRmT3_T4_T5_mT6_P12ihipStream_tbENKUlT_T0_E_clISt17integral_constantIbLb1EESU_EEDaSP_SQ_EUlSP_E0_NS1_11comp_targetILNS1_3genE2ELNS1_11target_archE906ELNS1_3gpuE6ELNS1_3repE0EEENS1_30default_config_static_selectorELNS0_4arch9wavefront6targetE1EEEvT1_,"axG",@progbits,_ZN7rocprim17ROCPRIM_400000_NS6detail17trampoline_kernelINS0_14default_configENS1_20scan_config_selectorIfEEZZNS1_9scan_implILNS1_25lookback_scan_determinismE0ELb1ELb1ES3_N6thrust23THRUST_200600_302600_NS6detail15normal_iteratorINS9_10device_ptrIfEEEESE_fNS9_4plusIvEEfEEDaPvRmT3_T4_T5_mT6_P12ihipStream_tbENKUlT_T0_E_clISt17integral_constantIbLb1EESU_EEDaSP_SQ_EUlSP_E0_NS1_11comp_targetILNS1_3genE2ELNS1_11target_archE906ELNS1_3gpuE6ELNS1_3repE0EEENS1_30default_config_static_selectorELNS0_4arch9wavefront6targetE1EEEvT1_,comdat
.Lfunc_end4389:
	.size	_ZN7rocprim17ROCPRIM_400000_NS6detail17trampoline_kernelINS0_14default_configENS1_20scan_config_selectorIfEEZZNS1_9scan_implILNS1_25lookback_scan_determinismE0ELb1ELb1ES3_N6thrust23THRUST_200600_302600_NS6detail15normal_iteratorINS9_10device_ptrIfEEEESE_fNS9_4plusIvEEfEEDaPvRmT3_T4_T5_mT6_P12ihipStream_tbENKUlT_T0_E_clISt17integral_constantIbLb1EESU_EEDaSP_SQ_EUlSP_E0_NS1_11comp_targetILNS1_3genE2ELNS1_11target_archE906ELNS1_3gpuE6ELNS1_3repE0EEENS1_30default_config_static_selectorELNS0_4arch9wavefront6targetE1EEEvT1_, .Lfunc_end4389-_ZN7rocprim17ROCPRIM_400000_NS6detail17trampoline_kernelINS0_14default_configENS1_20scan_config_selectorIfEEZZNS1_9scan_implILNS1_25lookback_scan_determinismE0ELb1ELb1ES3_N6thrust23THRUST_200600_302600_NS6detail15normal_iteratorINS9_10device_ptrIfEEEESE_fNS9_4plusIvEEfEEDaPvRmT3_T4_T5_mT6_P12ihipStream_tbENKUlT_T0_E_clISt17integral_constantIbLb1EESU_EEDaSP_SQ_EUlSP_E0_NS1_11comp_targetILNS1_3genE2ELNS1_11target_archE906ELNS1_3gpuE6ELNS1_3repE0EEENS1_30default_config_static_selectorELNS0_4arch9wavefront6targetE1EEEvT1_
                                        ; -- End function
	.section	.AMDGPU.csdata,"",@progbits
; Kernel info:
; codeLenInByte = 0
; NumSgprs: 4
; NumVgprs: 0
; NumAgprs: 0
; TotalNumVgprs: 0
; ScratchSize: 0
; MemoryBound: 0
; FloatMode: 240
; IeeeMode: 1
; LDSByteSize: 0 bytes/workgroup (compile time only)
; SGPRBlocks: 0
; VGPRBlocks: 0
; NumSGPRsForWavesPerEU: 4
; NumVGPRsForWavesPerEU: 1
; AccumOffset: 4
; Occupancy: 8
; WaveLimiterHint : 0
; COMPUTE_PGM_RSRC2:SCRATCH_EN: 0
; COMPUTE_PGM_RSRC2:USER_SGPR: 6
; COMPUTE_PGM_RSRC2:TRAP_HANDLER: 0
; COMPUTE_PGM_RSRC2:TGID_X_EN: 1
; COMPUTE_PGM_RSRC2:TGID_Y_EN: 0
; COMPUTE_PGM_RSRC2:TGID_Z_EN: 0
; COMPUTE_PGM_RSRC2:TIDIG_COMP_CNT: 0
; COMPUTE_PGM_RSRC3_GFX90A:ACCUM_OFFSET: 0
; COMPUTE_PGM_RSRC3_GFX90A:TG_SPLIT: 0
	.section	.text._ZN7rocprim17ROCPRIM_400000_NS6detail17trampoline_kernelINS0_14default_configENS1_20scan_config_selectorIfEEZZNS1_9scan_implILNS1_25lookback_scan_determinismE0ELb1ELb1ES3_N6thrust23THRUST_200600_302600_NS6detail15normal_iteratorINS9_10device_ptrIfEEEESE_fNS9_4plusIvEEfEEDaPvRmT3_T4_T5_mT6_P12ihipStream_tbENKUlT_T0_E_clISt17integral_constantIbLb1EESU_EEDaSP_SQ_EUlSP_E0_NS1_11comp_targetILNS1_3genE10ELNS1_11target_archE1201ELNS1_3gpuE5ELNS1_3repE0EEENS1_30default_config_static_selectorELNS0_4arch9wavefront6targetE1EEEvT1_,"axG",@progbits,_ZN7rocprim17ROCPRIM_400000_NS6detail17trampoline_kernelINS0_14default_configENS1_20scan_config_selectorIfEEZZNS1_9scan_implILNS1_25lookback_scan_determinismE0ELb1ELb1ES3_N6thrust23THRUST_200600_302600_NS6detail15normal_iteratorINS9_10device_ptrIfEEEESE_fNS9_4plusIvEEfEEDaPvRmT3_T4_T5_mT6_P12ihipStream_tbENKUlT_T0_E_clISt17integral_constantIbLb1EESU_EEDaSP_SQ_EUlSP_E0_NS1_11comp_targetILNS1_3genE10ELNS1_11target_archE1201ELNS1_3gpuE5ELNS1_3repE0EEENS1_30default_config_static_selectorELNS0_4arch9wavefront6targetE1EEEvT1_,comdat
	.protected	_ZN7rocprim17ROCPRIM_400000_NS6detail17trampoline_kernelINS0_14default_configENS1_20scan_config_selectorIfEEZZNS1_9scan_implILNS1_25lookback_scan_determinismE0ELb1ELb1ES3_N6thrust23THRUST_200600_302600_NS6detail15normal_iteratorINS9_10device_ptrIfEEEESE_fNS9_4plusIvEEfEEDaPvRmT3_T4_T5_mT6_P12ihipStream_tbENKUlT_T0_E_clISt17integral_constantIbLb1EESU_EEDaSP_SQ_EUlSP_E0_NS1_11comp_targetILNS1_3genE10ELNS1_11target_archE1201ELNS1_3gpuE5ELNS1_3repE0EEENS1_30default_config_static_selectorELNS0_4arch9wavefront6targetE1EEEvT1_ ; -- Begin function _ZN7rocprim17ROCPRIM_400000_NS6detail17trampoline_kernelINS0_14default_configENS1_20scan_config_selectorIfEEZZNS1_9scan_implILNS1_25lookback_scan_determinismE0ELb1ELb1ES3_N6thrust23THRUST_200600_302600_NS6detail15normal_iteratorINS9_10device_ptrIfEEEESE_fNS9_4plusIvEEfEEDaPvRmT3_T4_T5_mT6_P12ihipStream_tbENKUlT_T0_E_clISt17integral_constantIbLb1EESU_EEDaSP_SQ_EUlSP_E0_NS1_11comp_targetILNS1_3genE10ELNS1_11target_archE1201ELNS1_3gpuE5ELNS1_3repE0EEENS1_30default_config_static_selectorELNS0_4arch9wavefront6targetE1EEEvT1_
	.globl	_ZN7rocprim17ROCPRIM_400000_NS6detail17trampoline_kernelINS0_14default_configENS1_20scan_config_selectorIfEEZZNS1_9scan_implILNS1_25lookback_scan_determinismE0ELb1ELb1ES3_N6thrust23THRUST_200600_302600_NS6detail15normal_iteratorINS9_10device_ptrIfEEEESE_fNS9_4plusIvEEfEEDaPvRmT3_T4_T5_mT6_P12ihipStream_tbENKUlT_T0_E_clISt17integral_constantIbLb1EESU_EEDaSP_SQ_EUlSP_E0_NS1_11comp_targetILNS1_3genE10ELNS1_11target_archE1201ELNS1_3gpuE5ELNS1_3repE0EEENS1_30default_config_static_selectorELNS0_4arch9wavefront6targetE1EEEvT1_
	.p2align	8
	.type	_ZN7rocprim17ROCPRIM_400000_NS6detail17trampoline_kernelINS0_14default_configENS1_20scan_config_selectorIfEEZZNS1_9scan_implILNS1_25lookback_scan_determinismE0ELb1ELb1ES3_N6thrust23THRUST_200600_302600_NS6detail15normal_iteratorINS9_10device_ptrIfEEEESE_fNS9_4plusIvEEfEEDaPvRmT3_T4_T5_mT6_P12ihipStream_tbENKUlT_T0_E_clISt17integral_constantIbLb1EESU_EEDaSP_SQ_EUlSP_E0_NS1_11comp_targetILNS1_3genE10ELNS1_11target_archE1201ELNS1_3gpuE5ELNS1_3repE0EEENS1_30default_config_static_selectorELNS0_4arch9wavefront6targetE1EEEvT1_,@function
_ZN7rocprim17ROCPRIM_400000_NS6detail17trampoline_kernelINS0_14default_configENS1_20scan_config_selectorIfEEZZNS1_9scan_implILNS1_25lookback_scan_determinismE0ELb1ELb1ES3_N6thrust23THRUST_200600_302600_NS6detail15normal_iteratorINS9_10device_ptrIfEEEESE_fNS9_4plusIvEEfEEDaPvRmT3_T4_T5_mT6_P12ihipStream_tbENKUlT_T0_E_clISt17integral_constantIbLb1EESU_EEDaSP_SQ_EUlSP_E0_NS1_11comp_targetILNS1_3genE10ELNS1_11target_archE1201ELNS1_3gpuE5ELNS1_3repE0EEENS1_30default_config_static_selectorELNS0_4arch9wavefront6targetE1EEEvT1_: ; @_ZN7rocprim17ROCPRIM_400000_NS6detail17trampoline_kernelINS0_14default_configENS1_20scan_config_selectorIfEEZZNS1_9scan_implILNS1_25lookback_scan_determinismE0ELb1ELb1ES3_N6thrust23THRUST_200600_302600_NS6detail15normal_iteratorINS9_10device_ptrIfEEEESE_fNS9_4plusIvEEfEEDaPvRmT3_T4_T5_mT6_P12ihipStream_tbENKUlT_T0_E_clISt17integral_constantIbLb1EESU_EEDaSP_SQ_EUlSP_E0_NS1_11comp_targetILNS1_3genE10ELNS1_11target_archE1201ELNS1_3gpuE5ELNS1_3repE0EEENS1_30default_config_static_selectorELNS0_4arch9wavefront6targetE1EEEvT1_
; %bb.0:
	.section	.rodata,"a",@progbits
	.p2align	6, 0x0
	.amdhsa_kernel _ZN7rocprim17ROCPRIM_400000_NS6detail17trampoline_kernelINS0_14default_configENS1_20scan_config_selectorIfEEZZNS1_9scan_implILNS1_25lookback_scan_determinismE0ELb1ELb1ES3_N6thrust23THRUST_200600_302600_NS6detail15normal_iteratorINS9_10device_ptrIfEEEESE_fNS9_4plusIvEEfEEDaPvRmT3_T4_T5_mT6_P12ihipStream_tbENKUlT_T0_E_clISt17integral_constantIbLb1EESU_EEDaSP_SQ_EUlSP_E0_NS1_11comp_targetILNS1_3genE10ELNS1_11target_archE1201ELNS1_3gpuE5ELNS1_3repE0EEENS1_30default_config_static_selectorELNS0_4arch9wavefront6targetE1EEEvT1_
		.amdhsa_group_segment_fixed_size 0
		.amdhsa_private_segment_fixed_size 0
		.amdhsa_kernarg_size 32
		.amdhsa_user_sgpr_count 6
		.amdhsa_user_sgpr_private_segment_buffer 1
		.amdhsa_user_sgpr_dispatch_ptr 0
		.amdhsa_user_sgpr_queue_ptr 0
		.amdhsa_user_sgpr_kernarg_segment_ptr 1
		.amdhsa_user_sgpr_dispatch_id 0
		.amdhsa_user_sgpr_flat_scratch_init 0
		.amdhsa_user_sgpr_kernarg_preload_length 0
		.amdhsa_user_sgpr_kernarg_preload_offset 0
		.amdhsa_user_sgpr_private_segment_size 0
		.amdhsa_uses_dynamic_stack 0
		.amdhsa_system_sgpr_private_segment_wavefront_offset 0
		.amdhsa_system_sgpr_workgroup_id_x 1
		.amdhsa_system_sgpr_workgroup_id_y 0
		.amdhsa_system_sgpr_workgroup_id_z 0
		.amdhsa_system_sgpr_workgroup_info 0
		.amdhsa_system_vgpr_workitem_id 0
		.amdhsa_next_free_vgpr 1
		.amdhsa_next_free_sgpr 0
		.amdhsa_accum_offset 4
		.amdhsa_reserve_vcc 0
		.amdhsa_reserve_flat_scratch 0
		.amdhsa_float_round_mode_32 0
		.amdhsa_float_round_mode_16_64 0
		.amdhsa_float_denorm_mode_32 3
		.amdhsa_float_denorm_mode_16_64 3
		.amdhsa_dx10_clamp 1
		.amdhsa_ieee_mode 1
		.amdhsa_fp16_overflow 0
		.amdhsa_tg_split 0
		.amdhsa_exception_fp_ieee_invalid_op 0
		.amdhsa_exception_fp_denorm_src 0
		.amdhsa_exception_fp_ieee_div_zero 0
		.amdhsa_exception_fp_ieee_overflow 0
		.amdhsa_exception_fp_ieee_underflow 0
		.amdhsa_exception_fp_ieee_inexact 0
		.amdhsa_exception_int_div_zero 0
	.end_amdhsa_kernel
	.section	.text._ZN7rocprim17ROCPRIM_400000_NS6detail17trampoline_kernelINS0_14default_configENS1_20scan_config_selectorIfEEZZNS1_9scan_implILNS1_25lookback_scan_determinismE0ELb1ELb1ES3_N6thrust23THRUST_200600_302600_NS6detail15normal_iteratorINS9_10device_ptrIfEEEESE_fNS9_4plusIvEEfEEDaPvRmT3_T4_T5_mT6_P12ihipStream_tbENKUlT_T0_E_clISt17integral_constantIbLb1EESU_EEDaSP_SQ_EUlSP_E0_NS1_11comp_targetILNS1_3genE10ELNS1_11target_archE1201ELNS1_3gpuE5ELNS1_3repE0EEENS1_30default_config_static_selectorELNS0_4arch9wavefront6targetE1EEEvT1_,"axG",@progbits,_ZN7rocprim17ROCPRIM_400000_NS6detail17trampoline_kernelINS0_14default_configENS1_20scan_config_selectorIfEEZZNS1_9scan_implILNS1_25lookback_scan_determinismE0ELb1ELb1ES3_N6thrust23THRUST_200600_302600_NS6detail15normal_iteratorINS9_10device_ptrIfEEEESE_fNS9_4plusIvEEfEEDaPvRmT3_T4_T5_mT6_P12ihipStream_tbENKUlT_T0_E_clISt17integral_constantIbLb1EESU_EEDaSP_SQ_EUlSP_E0_NS1_11comp_targetILNS1_3genE10ELNS1_11target_archE1201ELNS1_3gpuE5ELNS1_3repE0EEENS1_30default_config_static_selectorELNS0_4arch9wavefront6targetE1EEEvT1_,comdat
.Lfunc_end4390:
	.size	_ZN7rocprim17ROCPRIM_400000_NS6detail17trampoline_kernelINS0_14default_configENS1_20scan_config_selectorIfEEZZNS1_9scan_implILNS1_25lookback_scan_determinismE0ELb1ELb1ES3_N6thrust23THRUST_200600_302600_NS6detail15normal_iteratorINS9_10device_ptrIfEEEESE_fNS9_4plusIvEEfEEDaPvRmT3_T4_T5_mT6_P12ihipStream_tbENKUlT_T0_E_clISt17integral_constantIbLb1EESU_EEDaSP_SQ_EUlSP_E0_NS1_11comp_targetILNS1_3genE10ELNS1_11target_archE1201ELNS1_3gpuE5ELNS1_3repE0EEENS1_30default_config_static_selectorELNS0_4arch9wavefront6targetE1EEEvT1_, .Lfunc_end4390-_ZN7rocprim17ROCPRIM_400000_NS6detail17trampoline_kernelINS0_14default_configENS1_20scan_config_selectorIfEEZZNS1_9scan_implILNS1_25lookback_scan_determinismE0ELb1ELb1ES3_N6thrust23THRUST_200600_302600_NS6detail15normal_iteratorINS9_10device_ptrIfEEEESE_fNS9_4plusIvEEfEEDaPvRmT3_T4_T5_mT6_P12ihipStream_tbENKUlT_T0_E_clISt17integral_constantIbLb1EESU_EEDaSP_SQ_EUlSP_E0_NS1_11comp_targetILNS1_3genE10ELNS1_11target_archE1201ELNS1_3gpuE5ELNS1_3repE0EEENS1_30default_config_static_selectorELNS0_4arch9wavefront6targetE1EEEvT1_
                                        ; -- End function
	.section	.AMDGPU.csdata,"",@progbits
; Kernel info:
; codeLenInByte = 0
; NumSgprs: 4
; NumVgprs: 0
; NumAgprs: 0
; TotalNumVgprs: 0
; ScratchSize: 0
; MemoryBound: 0
; FloatMode: 240
; IeeeMode: 1
; LDSByteSize: 0 bytes/workgroup (compile time only)
; SGPRBlocks: 0
; VGPRBlocks: 0
; NumSGPRsForWavesPerEU: 4
; NumVGPRsForWavesPerEU: 1
; AccumOffset: 4
; Occupancy: 8
; WaveLimiterHint : 0
; COMPUTE_PGM_RSRC2:SCRATCH_EN: 0
; COMPUTE_PGM_RSRC2:USER_SGPR: 6
; COMPUTE_PGM_RSRC2:TRAP_HANDLER: 0
; COMPUTE_PGM_RSRC2:TGID_X_EN: 1
; COMPUTE_PGM_RSRC2:TGID_Y_EN: 0
; COMPUTE_PGM_RSRC2:TGID_Z_EN: 0
; COMPUTE_PGM_RSRC2:TIDIG_COMP_CNT: 0
; COMPUTE_PGM_RSRC3_GFX90A:ACCUM_OFFSET: 0
; COMPUTE_PGM_RSRC3_GFX90A:TG_SPLIT: 0
	.section	.text._ZN7rocprim17ROCPRIM_400000_NS6detail17trampoline_kernelINS0_14default_configENS1_20scan_config_selectorIfEEZZNS1_9scan_implILNS1_25lookback_scan_determinismE0ELb1ELb1ES3_N6thrust23THRUST_200600_302600_NS6detail15normal_iteratorINS9_10device_ptrIfEEEESE_fNS9_4plusIvEEfEEDaPvRmT3_T4_T5_mT6_P12ihipStream_tbENKUlT_T0_E_clISt17integral_constantIbLb1EESU_EEDaSP_SQ_EUlSP_E0_NS1_11comp_targetILNS1_3genE10ELNS1_11target_archE1200ELNS1_3gpuE4ELNS1_3repE0EEENS1_30default_config_static_selectorELNS0_4arch9wavefront6targetE1EEEvT1_,"axG",@progbits,_ZN7rocprim17ROCPRIM_400000_NS6detail17trampoline_kernelINS0_14default_configENS1_20scan_config_selectorIfEEZZNS1_9scan_implILNS1_25lookback_scan_determinismE0ELb1ELb1ES3_N6thrust23THRUST_200600_302600_NS6detail15normal_iteratorINS9_10device_ptrIfEEEESE_fNS9_4plusIvEEfEEDaPvRmT3_T4_T5_mT6_P12ihipStream_tbENKUlT_T0_E_clISt17integral_constantIbLb1EESU_EEDaSP_SQ_EUlSP_E0_NS1_11comp_targetILNS1_3genE10ELNS1_11target_archE1200ELNS1_3gpuE4ELNS1_3repE0EEENS1_30default_config_static_selectorELNS0_4arch9wavefront6targetE1EEEvT1_,comdat
	.protected	_ZN7rocprim17ROCPRIM_400000_NS6detail17trampoline_kernelINS0_14default_configENS1_20scan_config_selectorIfEEZZNS1_9scan_implILNS1_25lookback_scan_determinismE0ELb1ELb1ES3_N6thrust23THRUST_200600_302600_NS6detail15normal_iteratorINS9_10device_ptrIfEEEESE_fNS9_4plusIvEEfEEDaPvRmT3_T4_T5_mT6_P12ihipStream_tbENKUlT_T0_E_clISt17integral_constantIbLb1EESU_EEDaSP_SQ_EUlSP_E0_NS1_11comp_targetILNS1_3genE10ELNS1_11target_archE1200ELNS1_3gpuE4ELNS1_3repE0EEENS1_30default_config_static_selectorELNS0_4arch9wavefront6targetE1EEEvT1_ ; -- Begin function _ZN7rocprim17ROCPRIM_400000_NS6detail17trampoline_kernelINS0_14default_configENS1_20scan_config_selectorIfEEZZNS1_9scan_implILNS1_25lookback_scan_determinismE0ELb1ELb1ES3_N6thrust23THRUST_200600_302600_NS6detail15normal_iteratorINS9_10device_ptrIfEEEESE_fNS9_4plusIvEEfEEDaPvRmT3_T4_T5_mT6_P12ihipStream_tbENKUlT_T0_E_clISt17integral_constantIbLb1EESU_EEDaSP_SQ_EUlSP_E0_NS1_11comp_targetILNS1_3genE10ELNS1_11target_archE1200ELNS1_3gpuE4ELNS1_3repE0EEENS1_30default_config_static_selectorELNS0_4arch9wavefront6targetE1EEEvT1_
	.globl	_ZN7rocprim17ROCPRIM_400000_NS6detail17trampoline_kernelINS0_14default_configENS1_20scan_config_selectorIfEEZZNS1_9scan_implILNS1_25lookback_scan_determinismE0ELb1ELb1ES3_N6thrust23THRUST_200600_302600_NS6detail15normal_iteratorINS9_10device_ptrIfEEEESE_fNS9_4plusIvEEfEEDaPvRmT3_T4_T5_mT6_P12ihipStream_tbENKUlT_T0_E_clISt17integral_constantIbLb1EESU_EEDaSP_SQ_EUlSP_E0_NS1_11comp_targetILNS1_3genE10ELNS1_11target_archE1200ELNS1_3gpuE4ELNS1_3repE0EEENS1_30default_config_static_selectorELNS0_4arch9wavefront6targetE1EEEvT1_
	.p2align	8
	.type	_ZN7rocprim17ROCPRIM_400000_NS6detail17trampoline_kernelINS0_14default_configENS1_20scan_config_selectorIfEEZZNS1_9scan_implILNS1_25lookback_scan_determinismE0ELb1ELb1ES3_N6thrust23THRUST_200600_302600_NS6detail15normal_iteratorINS9_10device_ptrIfEEEESE_fNS9_4plusIvEEfEEDaPvRmT3_T4_T5_mT6_P12ihipStream_tbENKUlT_T0_E_clISt17integral_constantIbLb1EESU_EEDaSP_SQ_EUlSP_E0_NS1_11comp_targetILNS1_3genE10ELNS1_11target_archE1200ELNS1_3gpuE4ELNS1_3repE0EEENS1_30default_config_static_selectorELNS0_4arch9wavefront6targetE1EEEvT1_,@function
_ZN7rocprim17ROCPRIM_400000_NS6detail17trampoline_kernelINS0_14default_configENS1_20scan_config_selectorIfEEZZNS1_9scan_implILNS1_25lookback_scan_determinismE0ELb1ELb1ES3_N6thrust23THRUST_200600_302600_NS6detail15normal_iteratorINS9_10device_ptrIfEEEESE_fNS9_4plusIvEEfEEDaPvRmT3_T4_T5_mT6_P12ihipStream_tbENKUlT_T0_E_clISt17integral_constantIbLb1EESU_EEDaSP_SQ_EUlSP_E0_NS1_11comp_targetILNS1_3genE10ELNS1_11target_archE1200ELNS1_3gpuE4ELNS1_3repE0EEENS1_30default_config_static_selectorELNS0_4arch9wavefront6targetE1EEEvT1_: ; @_ZN7rocprim17ROCPRIM_400000_NS6detail17trampoline_kernelINS0_14default_configENS1_20scan_config_selectorIfEEZZNS1_9scan_implILNS1_25lookback_scan_determinismE0ELb1ELb1ES3_N6thrust23THRUST_200600_302600_NS6detail15normal_iteratorINS9_10device_ptrIfEEEESE_fNS9_4plusIvEEfEEDaPvRmT3_T4_T5_mT6_P12ihipStream_tbENKUlT_T0_E_clISt17integral_constantIbLb1EESU_EEDaSP_SQ_EUlSP_E0_NS1_11comp_targetILNS1_3genE10ELNS1_11target_archE1200ELNS1_3gpuE4ELNS1_3repE0EEENS1_30default_config_static_selectorELNS0_4arch9wavefront6targetE1EEEvT1_
; %bb.0:
	.section	.rodata,"a",@progbits
	.p2align	6, 0x0
	.amdhsa_kernel _ZN7rocprim17ROCPRIM_400000_NS6detail17trampoline_kernelINS0_14default_configENS1_20scan_config_selectorIfEEZZNS1_9scan_implILNS1_25lookback_scan_determinismE0ELb1ELb1ES3_N6thrust23THRUST_200600_302600_NS6detail15normal_iteratorINS9_10device_ptrIfEEEESE_fNS9_4plusIvEEfEEDaPvRmT3_T4_T5_mT6_P12ihipStream_tbENKUlT_T0_E_clISt17integral_constantIbLb1EESU_EEDaSP_SQ_EUlSP_E0_NS1_11comp_targetILNS1_3genE10ELNS1_11target_archE1200ELNS1_3gpuE4ELNS1_3repE0EEENS1_30default_config_static_selectorELNS0_4arch9wavefront6targetE1EEEvT1_
		.amdhsa_group_segment_fixed_size 0
		.amdhsa_private_segment_fixed_size 0
		.amdhsa_kernarg_size 32
		.amdhsa_user_sgpr_count 6
		.amdhsa_user_sgpr_private_segment_buffer 1
		.amdhsa_user_sgpr_dispatch_ptr 0
		.amdhsa_user_sgpr_queue_ptr 0
		.amdhsa_user_sgpr_kernarg_segment_ptr 1
		.amdhsa_user_sgpr_dispatch_id 0
		.amdhsa_user_sgpr_flat_scratch_init 0
		.amdhsa_user_sgpr_kernarg_preload_length 0
		.amdhsa_user_sgpr_kernarg_preload_offset 0
		.amdhsa_user_sgpr_private_segment_size 0
		.amdhsa_uses_dynamic_stack 0
		.amdhsa_system_sgpr_private_segment_wavefront_offset 0
		.amdhsa_system_sgpr_workgroup_id_x 1
		.amdhsa_system_sgpr_workgroup_id_y 0
		.amdhsa_system_sgpr_workgroup_id_z 0
		.amdhsa_system_sgpr_workgroup_info 0
		.amdhsa_system_vgpr_workitem_id 0
		.amdhsa_next_free_vgpr 1
		.amdhsa_next_free_sgpr 0
		.amdhsa_accum_offset 4
		.amdhsa_reserve_vcc 0
		.amdhsa_reserve_flat_scratch 0
		.amdhsa_float_round_mode_32 0
		.amdhsa_float_round_mode_16_64 0
		.amdhsa_float_denorm_mode_32 3
		.amdhsa_float_denorm_mode_16_64 3
		.amdhsa_dx10_clamp 1
		.amdhsa_ieee_mode 1
		.amdhsa_fp16_overflow 0
		.amdhsa_tg_split 0
		.amdhsa_exception_fp_ieee_invalid_op 0
		.amdhsa_exception_fp_denorm_src 0
		.amdhsa_exception_fp_ieee_div_zero 0
		.amdhsa_exception_fp_ieee_overflow 0
		.amdhsa_exception_fp_ieee_underflow 0
		.amdhsa_exception_fp_ieee_inexact 0
		.amdhsa_exception_int_div_zero 0
	.end_amdhsa_kernel
	.section	.text._ZN7rocprim17ROCPRIM_400000_NS6detail17trampoline_kernelINS0_14default_configENS1_20scan_config_selectorIfEEZZNS1_9scan_implILNS1_25lookback_scan_determinismE0ELb1ELb1ES3_N6thrust23THRUST_200600_302600_NS6detail15normal_iteratorINS9_10device_ptrIfEEEESE_fNS9_4plusIvEEfEEDaPvRmT3_T4_T5_mT6_P12ihipStream_tbENKUlT_T0_E_clISt17integral_constantIbLb1EESU_EEDaSP_SQ_EUlSP_E0_NS1_11comp_targetILNS1_3genE10ELNS1_11target_archE1200ELNS1_3gpuE4ELNS1_3repE0EEENS1_30default_config_static_selectorELNS0_4arch9wavefront6targetE1EEEvT1_,"axG",@progbits,_ZN7rocprim17ROCPRIM_400000_NS6detail17trampoline_kernelINS0_14default_configENS1_20scan_config_selectorIfEEZZNS1_9scan_implILNS1_25lookback_scan_determinismE0ELb1ELb1ES3_N6thrust23THRUST_200600_302600_NS6detail15normal_iteratorINS9_10device_ptrIfEEEESE_fNS9_4plusIvEEfEEDaPvRmT3_T4_T5_mT6_P12ihipStream_tbENKUlT_T0_E_clISt17integral_constantIbLb1EESU_EEDaSP_SQ_EUlSP_E0_NS1_11comp_targetILNS1_3genE10ELNS1_11target_archE1200ELNS1_3gpuE4ELNS1_3repE0EEENS1_30default_config_static_selectorELNS0_4arch9wavefront6targetE1EEEvT1_,comdat
.Lfunc_end4391:
	.size	_ZN7rocprim17ROCPRIM_400000_NS6detail17trampoline_kernelINS0_14default_configENS1_20scan_config_selectorIfEEZZNS1_9scan_implILNS1_25lookback_scan_determinismE0ELb1ELb1ES3_N6thrust23THRUST_200600_302600_NS6detail15normal_iteratorINS9_10device_ptrIfEEEESE_fNS9_4plusIvEEfEEDaPvRmT3_T4_T5_mT6_P12ihipStream_tbENKUlT_T0_E_clISt17integral_constantIbLb1EESU_EEDaSP_SQ_EUlSP_E0_NS1_11comp_targetILNS1_3genE10ELNS1_11target_archE1200ELNS1_3gpuE4ELNS1_3repE0EEENS1_30default_config_static_selectorELNS0_4arch9wavefront6targetE1EEEvT1_, .Lfunc_end4391-_ZN7rocprim17ROCPRIM_400000_NS6detail17trampoline_kernelINS0_14default_configENS1_20scan_config_selectorIfEEZZNS1_9scan_implILNS1_25lookback_scan_determinismE0ELb1ELb1ES3_N6thrust23THRUST_200600_302600_NS6detail15normal_iteratorINS9_10device_ptrIfEEEESE_fNS9_4plusIvEEfEEDaPvRmT3_T4_T5_mT6_P12ihipStream_tbENKUlT_T0_E_clISt17integral_constantIbLb1EESU_EEDaSP_SQ_EUlSP_E0_NS1_11comp_targetILNS1_3genE10ELNS1_11target_archE1200ELNS1_3gpuE4ELNS1_3repE0EEENS1_30default_config_static_selectorELNS0_4arch9wavefront6targetE1EEEvT1_
                                        ; -- End function
	.section	.AMDGPU.csdata,"",@progbits
; Kernel info:
; codeLenInByte = 0
; NumSgprs: 4
; NumVgprs: 0
; NumAgprs: 0
; TotalNumVgprs: 0
; ScratchSize: 0
; MemoryBound: 0
; FloatMode: 240
; IeeeMode: 1
; LDSByteSize: 0 bytes/workgroup (compile time only)
; SGPRBlocks: 0
; VGPRBlocks: 0
; NumSGPRsForWavesPerEU: 4
; NumVGPRsForWavesPerEU: 1
; AccumOffset: 4
; Occupancy: 8
; WaveLimiterHint : 0
; COMPUTE_PGM_RSRC2:SCRATCH_EN: 0
; COMPUTE_PGM_RSRC2:USER_SGPR: 6
; COMPUTE_PGM_RSRC2:TRAP_HANDLER: 0
; COMPUTE_PGM_RSRC2:TGID_X_EN: 1
; COMPUTE_PGM_RSRC2:TGID_Y_EN: 0
; COMPUTE_PGM_RSRC2:TGID_Z_EN: 0
; COMPUTE_PGM_RSRC2:TIDIG_COMP_CNT: 0
; COMPUTE_PGM_RSRC3_GFX90A:ACCUM_OFFSET: 0
; COMPUTE_PGM_RSRC3_GFX90A:TG_SPLIT: 0
	.section	.text._ZN7rocprim17ROCPRIM_400000_NS6detail17trampoline_kernelINS0_14default_configENS1_20scan_config_selectorIfEEZZNS1_9scan_implILNS1_25lookback_scan_determinismE0ELb1ELb1ES3_N6thrust23THRUST_200600_302600_NS6detail15normal_iteratorINS9_10device_ptrIfEEEESE_fNS9_4plusIvEEfEEDaPvRmT3_T4_T5_mT6_P12ihipStream_tbENKUlT_T0_E_clISt17integral_constantIbLb1EESU_EEDaSP_SQ_EUlSP_E0_NS1_11comp_targetILNS1_3genE9ELNS1_11target_archE1100ELNS1_3gpuE3ELNS1_3repE0EEENS1_30default_config_static_selectorELNS0_4arch9wavefront6targetE1EEEvT1_,"axG",@progbits,_ZN7rocprim17ROCPRIM_400000_NS6detail17trampoline_kernelINS0_14default_configENS1_20scan_config_selectorIfEEZZNS1_9scan_implILNS1_25lookback_scan_determinismE0ELb1ELb1ES3_N6thrust23THRUST_200600_302600_NS6detail15normal_iteratorINS9_10device_ptrIfEEEESE_fNS9_4plusIvEEfEEDaPvRmT3_T4_T5_mT6_P12ihipStream_tbENKUlT_T0_E_clISt17integral_constantIbLb1EESU_EEDaSP_SQ_EUlSP_E0_NS1_11comp_targetILNS1_3genE9ELNS1_11target_archE1100ELNS1_3gpuE3ELNS1_3repE0EEENS1_30default_config_static_selectorELNS0_4arch9wavefront6targetE1EEEvT1_,comdat
	.protected	_ZN7rocprim17ROCPRIM_400000_NS6detail17trampoline_kernelINS0_14default_configENS1_20scan_config_selectorIfEEZZNS1_9scan_implILNS1_25lookback_scan_determinismE0ELb1ELb1ES3_N6thrust23THRUST_200600_302600_NS6detail15normal_iteratorINS9_10device_ptrIfEEEESE_fNS9_4plusIvEEfEEDaPvRmT3_T4_T5_mT6_P12ihipStream_tbENKUlT_T0_E_clISt17integral_constantIbLb1EESU_EEDaSP_SQ_EUlSP_E0_NS1_11comp_targetILNS1_3genE9ELNS1_11target_archE1100ELNS1_3gpuE3ELNS1_3repE0EEENS1_30default_config_static_selectorELNS0_4arch9wavefront6targetE1EEEvT1_ ; -- Begin function _ZN7rocprim17ROCPRIM_400000_NS6detail17trampoline_kernelINS0_14default_configENS1_20scan_config_selectorIfEEZZNS1_9scan_implILNS1_25lookback_scan_determinismE0ELb1ELb1ES3_N6thrust23THRUST_200600_302600_NS6detail15normal_iteratorINS9_10device_ptrIfEEEESE_fNS9_4plusIvEEfEEDaPvRmT3_T4_T5_mT6_P12ihipStream_tbENKUlT_T0_E_clISt17integral_constantIbLb1EESU_EEDaSP_SQ_EUlSP_E0_NS1_11comp_targetILNS1_3genE9ELNS1_11target_archE1100ELNS1_3gpuE3ELNS1_3repE0EEENS1_30default_config_static_selectorELNS0_4arch9wavefront6targetE1EEEvT1_
	.globl	_ZN7rocprim17ROCPRIM_400000_NS6detail17trampoline_kernelINS0_14default_configENS1_20scan_config_selectorIfEEZZNS1_9scan_implILNS1_25lookback_scan_determinismE0ELb1ELb1ES3_N6thrust23THRUST_200600_302600_NS6detail15normal_iteratorINS9_10device_ptrIfEEEESE_fNS9_4plusIvEEfEEDaPvRmT3_T4_T5_mT6_P12ihipStream_tbENKUlT_T0_E_clISt17integral_constantIbLb1EESU_EEDaSP_SQ_EUlSP_E0_NS1_11comp_targetILNS1_3genE9ELNS1_11target_archE1100ELNS1_3gpuE3ELNS1_3repE0EEENS1_30default_config_static_selectorELNS0_4arch9wavefront6targetE1EEEvT1_
	.p2align	8
	.type	_ZN7rocprim17ROCPRIM_400000_NS6detail17trampoline_kernelINS0_14default_configENS1_20scan_config_selectorIfEEZZNS1_9scan_implILNS1_25lookback_scan_determinismE0ELb1ELb1ES3_N6thrust23THRUST_200600_302600_NS6detail15normal_iteratorINS9_10device_ptrIfEEEESE_fNS9_4plusIvEEfEEDaPvRmT3_T4_T5_mT6_P12ihipStream_tbENKUlT_T0_E_clISt17integral_constantIbLb1EESU_EEDaSP_SQ_EUlSP_E0_NS1_11comp_targetILNS1_3genE9ELNS1_11target_archE1100ELNS1_3gpuE3ELNS1_3repE0EEENS1_30default_config_static_selectorELNS0_4arch9wavefront6targetE1EEEvT1_,@function
_ZN7rocprim17ROCPRIM_400000_NS6detail17trampoline_kernelINS0_14default_configENS1_20scan_config_selectorIfEEZZNS1_9scan_implILNS1_25lookback_scan_determinismE0ELb1ELb1ES3_N6thrust23THRUST_200600_302600_NS6detail15normal_iteratorINS9_10device_ptrIfEEEESE_fNS9_4plusIvEEfEEDaPvRmT3_T4_T5_mT6_P12ihipStream_tbENKUlT_T0_E_clISt17integral_constantIbLb1EESU_EEDaSP_SQ_EUlSP_E0_NS1_11comp_targetILNS1_3genE9ELNS1_11target_archE1100ELNS1_3gpuE3ELNS1_3repE0EEENS1_30default_config_static_selectorELNS0_4arch9wavefront6targetE1EEEvT1_: ; @_ZN7rocprim17ROCPRIM_400000_NS6detail17trampoline_kernelINS0_14default_configENS1_20scan_config_selectorIfEEZZNS1_9scan_implILNS1_25lookback_scan_determinismE0ELb1ELb1ES3_N6thrust23THRUST_200600_302600_NS6detail15normal_iteratorINS9_10device_ptrIfEEEESE_fNS9_4plusIvEEfEEDaPvRmT3_T4_T5_mT6_P12ihipStream_tbENKUlT_T0_E_clISt17integral_constantIbLb1EESU_EEDaSP_SQ_EUlSP_E0_NS1_11comp_targetILNS1_3genE9ELNS1_11target_archE1100ELNS1_3gpuE3ELNS1_3repE0EEENS1_30default_config_static_selectorELNS0_4arch9wavefront6targetE1EEEvT1_
; %bb.0:
	.section	.rodata,"a",@progbits
	.p2align	6, 0x0
	.amdhsa_kernel _ZN7rocprim17ROCPRIM_400000_NS6detail17trampoline_kernelINS0_14default_configENS1_20scan_config_selectorIfEEZZNS1_9scan_implILNS1_25lookback_scan_determinismE0ELb1ELb1ES3_N6thrust23THRUST_200600_302600_NS6detail15normal_iteratorINS9_10device_ptrIfEEEESE_fNS9_4plusIvEEfEEDaPvRmT3_T4_T5_mT6_P12ihipStream_tbENKUlT_T0_E_clISt17integral_constantIbLb1EESU_EEDaSP_SQ_EUlSP_E0_NS1_11comp_targetILNS1_3genE9ELNS1_11target_archE1100ELNS1_3gpuE3ELNS1_3repE0EEENS1_30default_config_static_selectorELNS0_4arch9wavefront6targetE1EEEvT1_
		.amdhsa_group_segment_fixed_size 0
		.amdhsa_private_segment_fixed_size 0
		.amdhsa_kernarg_size 32
		.amdhsa_user_sgpr_count 6
		.amdhsa_user_sgpr_private_segment_buffer 1
		.amdhsa_user_sgpr_dispatch_ptr 0
		.amdhsa_user_sgpr_queue_ptr 0
		.amdhsa_user_sgpr_kernarg_segment_ptr 1
		.amdhsa_user_sgpr_dispatch_id 0
		.amdhsa_user_sgpr_flat_scratch_init 0
		.amdhsa_user_sgpr_kernarg_preload_length 0
		.amdhsa_user_sgpr_kernarg_preload_offset 0
		.amdhsa_user_sgpr_private_segment_size 0
		.amdhsa_uses_dynamic_stack 0
		.amdhsa_system_sgpr_private_segment_wavefront_offset 0
		.amdhsa_system_sgpr_workgroup_id_x 1
		.amdhsa_system_sgpr_workgroup_id_y 0
		.amdhsa_system_sgpr_workgroup_id_z 0
		.amdhsa_system_sgpr_workgroup_info 0
		.amdhsa_system_vgpr_workitem_id 0
		.amdhsa_next_free_vgpr 1
		.amdhsa_next_free_sgpr 0
		.amdhsa_accum_offset 4
		.amdhsa_reserve_vcc 0
		.amdhsa_reserve_flat_scratch 0
		.amdhsa_float_round_mode_32 0
		.amdhsa_float_round_mode_16_64 0
		.amdhsa_float_denorm_mode_32 3
		.amdhsa_float_denorm_mode_16_64 3
		.amdhsa_dx10_clamp 1
		.amdhsa_ieee_mode 1
		.amdhsa_fp16_overflow 0
		.amdhsa_tg_split 0
		.amdhsa_exception_fp_ieee_invalid_op 0
		.amdhsa_exception_fp_denorm_src 0
		.amdhsa_exception_fp_ieee_div_zero 0
		.amdhsa_exception_fp_ieee_overflow 0
		.amdhsa_exception_fp_ieee_underflow 0
		.amdhsa_exception_fp_ieee_inexact 0
		.amdhsa_exception_int_div_zero 0
	.end_amdhsa_kernel
	.section	.text._ZN7rocprim17ROCPRIM_400000_NS6detail17trampoline_kernelINS0_14default_configENS1_20scan_config_selectorIfEEZZNS1_9scan_implILNS1_25lookback_scan_determinismE0ELb1ELb1ES3_N6thrust23THRUST_200600_302600_NS6detail15normal_iteratorINS9_10device_ptrIfEEEESE_fNS9_4plusIvEEfEEDaPvRmT3_T4_T5_mT6_P12ihipStream_tbENKUlT_T0_E_clISt17integral_constantIbLb1EESU_EEDaSP_SQ_EUlSP_E0_NS1_11comp_targetILNS1_3genE9ELNS1_11target_archE1100ELNS1_3gpuE3ELNS1_3repE0EEENS1_30default_config_static_selectorELNS0_4arch9wavefront6targetE1EEEvT1_,"axG",@progbits,_ZN7rocprim17ROCPRIM_400000_NS6detail17trampoline_kernelINS0_14default_configENS1_20scan_config_selectorIfEEZZNS1_9scan_implILNS1_25lookback_scan_determinismE0ELb1ELb1ES3_N6thrust23THRUST_200600_302600_NS6detail15normal_iteratorINS9_10device_ptrIfEEEESE_fNS9_4plusIvEEfEEDaPvRmT3_T4_T5_mT6_P12ihipStream_tbENKUlT_T0_E_clISt17integral_constantIbLb1EESU_EEDaSP_SQ_EUlSP_E0_NS1_11comp_targetILNS1_3genE9ELNS1_11target_archE1100ELNS1_3gpuE3ELNS1_3repE0EEENS1_30default_config_static_selectorELNS0_4arch9wavefront6targetE1EEEvT1_,comdat
.Lfunc_end4392:
	.size	_ZN7rocprim17ROCPRIM_400000_NS6detail17trampoline_kernelINS0_14default_configENS1_20scan_config_selectorIfEEZZNS1_9scan_implILNS1_25lookback_scan_determinismE0ELb1ELb1ES3_N6thrust23THRUST_200600_302600_NS6detail15normal_iteratorINS9_10device_ptrIfEEEESE_fNS9_4plusIvEEfEEDaPvRmT3_T4_T5_mT6_P12ihipStream_tbENKUlT_T0_E_clISt17integral_constantIbLb1EESU_EEDaSP_SQ_EUlSP_E0_NS1_11comp_targetILNS1_3genE9ELNS1_11target_archE1100ELNS1_3gpuE3ELNS1_3repE0EEENS1_30default_config_static_selectorELNS0_4arch9wavefront6targetE1EEEvT1_, .Lfunc_end4392-_ZN7rocprim17ROCPRIM_400000_NS6detail17trampoline_kernelINS0_14default_configENS1_20scan_config_selectorIfEEZZNS1_9scan_implILNS1_25lookback_scan_determinismE0ELb1ELb1ES3_N6thrust23THRUST_200600_302600_NS6detail15normal_iteratorINS9_10device_ptrIfEEEESE_fNS9_4plusIvEEfEEDaPvRmT3_T4_T5_mT6_P12ihipStream_tbENKUlT_T0_E_clISt17integral_constantIbLb1EESU_EEDaSP_SQ_EUlSP_E0_NS1_11comp_targetILNS1_3genE9ELNS1_11target_archE1100ELNS1_3gpuE3ELNS1_3repE0EEENS1_30default_config_static_selectorELNS0_4arch9wavefront6targetE1EEEvT1_
                                        ; -- End function
	.section	.AMDGPU.csdata,"",@progbits
; Kernel info:
; codeLenInByte = 0
; NumSgprs: 4
; NumVgprs: 0
; NumAgprs: 0
; TotalNumVgprs: 0
; ScratchSize: 0
; MemoryBound: 0
; FloatMode: 240
; IeeeMode: 1
; LDSByteSize: 0 bytes/workgroup (compile time only)
; SGPRBlocks: 0
; VGPRBlocks: 0
; NumSGPRsForWavesPerEU: 4
; NumVGPRsForWavesPerEU: 1
; AccumOffset: 4
; Occupancy: 8
; WaveLimiterHint : 0
; COMPUTE_PGM_RSRC2:SCRATCH_EN: 0
; COMPUTE_PGM_RSRC2:USER_SGPR: 6
; COMPUTE_PGM_RSRC2:TRAP_HANDLER: 0
; COMPUTE_PGM_RSRC2:TGID_X_EN: 1
; COMPUTE_PGM_RSRC2:TGID_Y_EN: 0
; COMPUTE_PGM_RSRC2:TGID_Z_EN: 0
; COMPUTE_PGM_RSRC2:TIDIG_COMP_CNT: 0
; COMPUTE_PGM_RSRC3_GFX90A:ACCUM_OFFSET: 0
; COMPUTE_PGM_RSRC3_GFX90A:TG_SPLIT: 0
	.section	.text._ZN7rocprim17ROCPRIM_400000_NS6detail17trampoline_kernelINS0_14default_configENS1_20scan_config_selectorIfEEZZNS1_9scan_implILNS1_25lookback_scan_determinismE0ELb1ELb1ES3_N6thrust23THRUST_200600_302600_NS6detail15normal_iteratorINS9_10device_ptrIfEEEESE_fNS9_4plusIvEEfEEDaPvRmT3_T4_T5_mT6_P12ihipStream_tbENKUlT_T0_E_clISt17integral_constantIbLb1EESU_EEDaSP_SQ_EUlSP_E0_NS1_11comp_targetILNS1_3genE8ELNS1_11target_archE1030ELNS1_3gpuE2ELNS1_3repE0EEENS1_30default_config_static_selectorELNS0_4arch9wavefront6targetE1EEEvT1_,"axG",@progbits,_ZN7rocprim17ROCPRIM_400000_NS6detail17trampoline_kernelINS0_14default_configENS1_20scan_config_selectorIfEEZZNS1_9scan_implILNS1_25lookback_scan_determinismE0ELb1ELb1ES3_N6thrust23THRUST_200600_302600_NS6detail15normal_iteratorINS9_10device_ptrIfEEEESE_fNS9_4plusIvEEfEEDaPvRmT3_T4_T5_mT6_P12ihipStream_tbENKUlT_T0_E_clISt17integral_constantIbLb1EESU_EEDaSP_SQ_EUlSP_E0_NS1_11comp_targetILNS1_3genE8ELNS1_11target_archE1030ELNS1_3gpuE2ELNS1_3repE0EEENS1_30default_config_static_selectorELNS0_4arch9wavefront6targetE1EEEvT1_,comdat
	.protected	_ZN7rocprim17ROCPRIM_400000_NS6detail17trampoline_kernelINS0_14default_configENS1_20scan_config_selectorIfEEZZNS1_9scan_implILNS1_25lookback_scan_determinismE0ELb1ELb1ES3_N6thrust23THRUST_200600_302600_NS6detail15normal_iteratorINS9_10device_ptrIfEEEESE_fNS9_4plusIvEEfEEDaPvRmT3_T4_T5_mT6_P12ihipStream_tbENKUlT_T0_E_clISt17integral_constantIbLb1EESU_EEDaSP_SQ_EUlSP_E0_NS1_11comp_targetILNS1_3genE8ELNS1_11target_archE1030ELNS1_3gpuE2ELNS1_3repE0EEENS1_30default_config_static_selectorELNS0_4arch9wavefront6targetE1EEEvT1_ ; -- Begin function _ZN7rocprim17ROCPRIM_400000_NS6detail17trampoline_kernelINS0_14default_configENS1_20scan_config_selectorIfEEZZNS1_9scan_implILNS1_25lookback_scan_determinismE0ELb1ELb1ES3_N6thrust23THRUST_200600_302600_NS6detail15normal_iteratorINS9_10device_ptrIfEEEESE_fNS9_4plusIvEEfEEDaPvRmT3_T4_T5_mT6_P12ihipStream_tbENKUlT_T0_E_clISt17integral_constantIbLb1EESU_EEDaSP_SQ_EUlSP_E0_NS1_11comp_targetILNS1_3genE8ELNS1_11target_archE1030ELNS1_3gpuE2ELNS1_3repE0EEENS1_30default_config_static_selectorELNS0_4arch9wavefront6targetE1EEEvT1_
	.globl	_ZN7rocprim17ROCPRIM_400000_NS6detail17trampoline_kernelINS0_14default_configENS1_20scan_config_selectorIfEEZZNS1_9scan_implILNS1_25lookback_scan_determinismE0ELb1ELb1ES3_N6thrust23THRUST_200600_302600_NS6detail15normal_iteratorINS9_10device_ptrIfEEEESE_fNS9_4plusIvEEfEEDaPvRmT3_T4_T5_mT6_P12ihipStream_tbENKUlT_T0_E_clISt17integral_constantIbLb1EESU_EEDaSP_SQ_EUlSP_E0_NS1_11comp_targetILNS1_3genE8ELNS1_11target_archE1030ELNS1_3gpuE2ELNS1_3repE0EEENS1_30default_config_static_selectorELNS0_4arch9wavefront6targetE1EEEvT1_
	.p2align	8
	.type	_ZN7rocprim17ROCPRIM_400000_NS6detail17trampoline_kernelINS0_14default_configENS1_20scan_config_selectorIfEEZZNS1_9scan_implILNS1_25lookback_scan_determinismE0ELb1ELb1ES3_N6thrust23THRUST_200600_302600_NS6detail15normal_iteratorINS9_10device_ptrIfEEEESE_fNS9_4plusIvEEfEEDaPvRmT3_T4_T5_mT6_P12ihipStream_tbENKUlT_T0_E_clISt17integral_constantIbLb1EESU_EEDaSP_SQ_EUlSP_E0_NS1_11comp_targetILNS1_3genE8ELNS1_11target_archE1030ELNS1_3gpuE2ELNS1_3repE0EEENS1_30default_config_static_selectorELNS0_4arch9wavefront6targetE1EEEvT1_,@function
_ZN7rocprim17ROCPRIM_400000_NS6detail17trampoline_kernelINS0_14default_configENS1_20scan_config_selectorIfEEZZNS1_9scan_implILNS1_25lookback_scan_determinismE0ELb1ELb1ES3_N6thrust23THRUST_200600_302600_NS6detail15normal_iteratorINS9_10device_ptrIfEEEESE_fNS9_4plusIvEEfEEDaPvRmT3_T4_T5_mT6_P12ihipStream_tbENKUlT_T0_E_clISt17integral_constantIbLb1EESU_EEDaSP_SQ_EUlSP_E0_NS1_11comp_targetILNS1_3genE8ELNS1_11target_archE1030ELNS1_3gpuE2ELNS1_3repE0EEENS1_30default_config_static_selectorELNS0_4arch9wavefront6targetE1EEEvT1_: ; @_ZN7rocprim17ROCPRIM_400000_NS6detail17trampoline_kernelINS0_14default_configENS1_20scan_config_selectorIfEEZZNS1_9scan_implILNS1_25lookback_scan_determinismE0ELb1ELb1ES3_N6thrust23THRUST_200600_302600_NS6detail15normal_iteratorINS9_10device_ptrIfEEEESE_fNS9_4plusIvEEfEEDaPvRmT3_T4_T5_mT6_P12ihipStream_tbENKUlT_T0_E_clISt17integral_constantIbLb1EESU_EEDaSP_SQ_EUlSP_E0_NS1_11comp_targetILNS1_3genE8ELNS1_11target_archE1030ELNS1_3gpuE2ELNS1_3repE0EEENS1_30default_config_static_selectorELNS0_4arch9wavefront6targetE1EEEvT1_
; %bb.0:
	.section	.rodata,"a",@progbits
	.p2align	6, 0x0
	.amdhsa_kernel _ZN7rocprim17ROCPRIM_400000_NS6detail17trampoline_kernelINS0_14default_configENS1_20scan_config_selectorIfEEZZNS1_9scan_implILNS1_25lookback_scan_determinismE0ELb1ELb1ES3_N6thrust23THRUST_200600_302600_NS6detail15normal_iteratorINS9_10device_ptrIfEEEESE_fNS9_4plusIvEEfEEDaPvRmT3_T4_T5_mT6_P12ihipStream_tbENKUlT_T0_E_clISt17integral_constantIbLb1EESU_EEDaSP_SQ_EUlSP_E0_NS1_11comp_targetILNS1_3genE8ELNS1_11target_archE1030ELNS1_3gpuE2ELNS1_3repE0EEENS1_30default_config_static_selectorELNS0_4arch9wavefront6targetE1EEEvT1_
		.amdhsa_group_segment_fixed_size 0
		.amdhsa_private_segment_fixed_size 0
		.amdhsa_kernarg_size 32
		.amdhsa_user_sgpr_count 6
		.amdhsa_user_sgpr_private_segment_buffer 1
		.amdhsa_user_sgpr_dispatch_ptr 0
		.amdhsa_user_sgpr_queue_ptr 0
		.amdhsa_user_sgpr_kernarg_segment_ptr 1
		.amdhsa_user_sgpr_dispatch_id 0
		.amdhsa_user_sgpr_flat_scratch_init 0
		.amdhsa_user_sgpr_kernarg_preload_length 0
		.amdhsa_user_sgpr_kernarg_preload_offset 0
		.amdhsa_user_sgpr_private_segment_size 0
		.amdhsa_uses_dynamic_stack 0
		.amdhsa_system_sgpr_private_segment_wavefront_offset 0
		.amdhsa_system_sgpr_workgroup_id_x 1
		.amdhsa_system_sgpr_workgroup_id_y 0
		.amdhsa_system_sgpr_workgroup_id_z 0
		.amdhsa_system_sgpr_workgroup_info 0
		.amdhsa_system_vgpr_workitem_id 0
		.amdhsa_next_free_vgpr 1
		.amdhsa_next_free_sgpr 0
		.amdhsa_accum_offset 4
		.amdhsa_reserve_vcc 0
		.amdhsa_reserve_flat_scratch 0
		.amdhsa_float_round_mode_32 0
		.amdhsa_float_round_mode_16_64 0
		.amdhsa_float_denorm_mode_32 3
		.amdhsa_float_denorm_mode_16_64 3
		.amdhsa_dx10_clamp 1
		.amdhsa_ieee_mode 1
		.amdhsa_fp16_overflow 0
		.amdhsa_tg_split 0
		.amdhsa_exception_fp_ieee_invalid_op 0
		.amdhsa_exception_fp_denorm_src 0
		.amdhsa_exception_fp_ieee_div_zero 0
		.amdhsa_exception_fp_ieee_overflow 0
		.amdhsa_exception_fp_ieee_underflow 0
		.amdhsa_exception_fp_ieee_inexact 0
		.amdhsa_exception_int_div_zero 0
	.end_amdhsa_kernel
	.section	.text._ZN7rocprim17ROCPRIM_400000_NS6detail17trampoline_kernelINS0_14default_configENS1_20scan_config_selectorIfEEZZNS1_9scan_implILNS1_25lookback_scan_determinismE0ELb1ELb1ES3_N6thrust23THRUST_200600_302600_NS6detail15normal_iteratorINS9_10device_ptrIfEEEESE_fNS9_4plusIvEEfEEDaPvRmT3_T4_T5_mT6_P12ihipStream_tbENKUlT_T0_E_clISt17integral_constantIbLb1EESU_EEDaSP_SQ_EUlSP_E0_NS1_11comp_targetILNS1_3genE8ELNS1_11target_archE1030ELNS1_3gpuE2ELNS1_3repE0EEENS1_30default_config_static_selectorELNS0_4arch9wavefront6targetE1EEEvT1_,"axG",@progbits,_ZN7rocprim17ROCPRIM_400000_NS6detail17trampoline_kernelINS0_14default_configENS1_20scan_config_selectorIfEEZZNS1_9scan_implILNS1_25lookback_scan_determinismE0ELb1ELb1ES3_N6thrust23THRUST_200600_302600_NS6detail15normal_iteratorINS9_10device_ptrIfEEEESE_fNS9_4plusIvEEfEEDaPvRmT3_T4_T5_mT6_P12ihipStream_tbENKUlT_T0_E_clISt17integral_constantIbLb1EESU_EEDaSP_SQ_EUlSP_E0_NS1_11comp_targetILNS1_3genE8ELNS1_11target_archE1030ELNS1_3gpuE2ELNS1_3repE0EEENS1_30default_config_static_selectorELNS0_4arch9wavefront6targetE1EEEvT1_,comdat
.Lfunc_end4393:
	.size	_ZN7rocprim17ROCPRIM_400000_NS6detail17trampoline_kernelINS0_14default_configENS1_20scan_config_selectorIfEEZZNS1_9scan_implILNS1_25lookback_scan_determinismE0ELb1ELb1ES3_N6thrust23THRUST_200600_302600_NS6detail15normal_iteratorINS9_10device_ptrIfEEEESE_fNS9_4plusIvEEfEEDaPvRmT3_T4_T5_mT6_P12ihipStream_tbENKUlT_T0_E_clISt17integral_constantIbLb1EESU_EEDaSP_SQ_EUlSP_E0_NS1_11comp_targetILNS1_3genE8ELNS1_11target_archE1030ELNS1_3gpuE2ELNS1_3repE0EEENS1_30default_config_static_selectorELNS0_4arch9wavefront6targetE1EEEvT1_, .Lfunc_end4393-_ZN7rocprim17ROCPRIM_400000_NS6detail17trampoline_kernelINS0_14default_configENS1_20scan_config_selectorIfEEZZNS1_9scan_implILNS1_25lookback_scan_determinismE0ELb1ELb1ES3_N6thrust23THRUST_200600_302600_NS6detail15normal_iteratorINS9_10device_ptrIfEEEESE_fNS9_4plusIvEEfEEDaPvRmT3_T4_T5_mT6_P12ihipStream_tbENKUlT_T0_E_clISt17integral_constantIbLb1EESU_EEDaSP_SQ_EUlSP_E0_NS1_11comp_targetILNS1_3genE8ELNS1_11target_archE1030ELNS1_3gpuE2ELNS1_3repE0EEENS1_30default_config_static_selectorELNS0_4arch9wavefront6targetE1EEEvT1_
                                        ; -- End function
	.section	.AMDGPU.csdata,"",@progbits
; Kernel info:
; codeLenInByte = 0
; NumSgprs: 4
; NumVgprs: 0
; NumAgprs: 0
; TotalNumVgprs: 0
; ScratchSize: 0
; MemoryBound: 0
; FloatMode: 240
; IeeeMode: 1
; LDSByteSize: 0 bytes/workgroup (compile time only)
; SGPRBlocks: 0
; VGPRBlocks: 0
; NumSGPRsForWavesPerEU: 4
; NumVGPRsForWavesPerEU: 1
; AccumOffset: 4
; Occupancy: 8
; WaveLimiterHint : 0
; COMPUTE_PGM_RSRC2:SCRATCH_EN: 0
; COMPUTE_PGM_RSRC2:USER_SGPR: 6
; COMPUTE_PGM_RSRC2:TRAP_HANDLER: 0
; COMPUTE_PGM_RSRC2:TGID_X_EN: 1
; COMPUTE_PGM_RSRC2:TGID_Y_EN: 0
; COMPUTE_PGM_RSRC2:TGID_Z_EN: 0
; COMPUTE_PGM_RSRC2:TIDIG_COMP_CNT: 0
; COMPUTE_PGM_RSRC3_GFX90A:ACCUM_OFFSET: 0
; COMPUTE_PGM_RSRC3_GFX90A:TG_SPLIT: 0
	.section	.text._ZN7rocprim17ROCPRIM_400000_NS6detail17trampoline_kernelINS0_14default_configENS1_20scan_config_selectorIfEEZZNS1_9scan_implILNS1_25lookback_scan_determinismE0ELb1ELb1ES3_N6thrust23THRUST_200600_302600_NS6detail15normal_iteratorINS9_10device_ptrIfEEEESE_fNS9_4plusIvEEfEEDaPvRmT3_T4_T5_mT6_P12ihipStream_tbENKUlT_T0_E_clISt17integral_constantIbLb1EEST_IbLb0EEEEDaSP_SQ_EUlSP_E_NS1_11comp_targetILNS1_3genE0ELNS1_11target_archE4294967295ELNS1_3gpuE0ELNS1_3repE0EEENS1_30default_config_static_selectorELNS0_4arch9wavefront6targetE1EEEvT1_,"axG",@progbits,_ZN7rocprim17ROCPRIM_400000_NS6detail17trampoline_kernelINS0_14default_configENS1_20scan_config_selectorIfEEZZNS1_9scan_implILNS1_25lookback_scan_determinismE0ELb1ELb1ES3_N6thrust23THRUST_200600_302600_NS6detail15normal_iteratorINS9_10device_ptrIfEEEESE_fNS9_4plusIvEEfEEDaPvRmT3_T4_T5_mT6_P12ihipStream_tbENKUlT_T0_E_clISt17integral_constantIbLb1EEST_IbLb0EEEEDaSP_SQ_EUlSP_E_NS1_11comp_targetILNS1_3genE0ELNS1_11target_archE4294967295ELNS1_3gpuE0ELNS1_3repE0EEENS1_30default_config_static_selectorELNS0_4arch9wavefront6targetE1EEEvT1_,comdat
	.protected	_ZN7rocprim17ROCPRIM_400000_NS6detail17trampoline_kernelINS0_14default_configENS1_20scan_config_selectorIfEEZZNS1_9scan_implILNS1_25lookback_scan_determinismE0ELb1ELb1ES3_N6thrust23THRUST_200600_302600_NS6detail15normal_iteratorINS9_10device_ptrIfEEEESE_fNS9_4plusIvEEfEEDaPvRmT3_T4_T5_mT6_P12ihipStream_tbENKUlT_T0_E_clISt17integral_constantIbLb1EEST_IbLb0EEEEDaSP_SQ_EUlSP_E_NS1_11comp_targetILNS1_3genE0ELNS1_11target_archE4294967295ELNS1_3gpuE0ELNS1_3repE0EEENS1_30default_config_static_selectorELNS0_4arch9wavefront6targetE1EEEvT1_ ; -- Begin function _ZN7rocprim17ROCPRIM_400000_NS6detail17trampoline_kernelINS0_14default_configENS1_20scan_config_selectorIfEEZZNS1_9scan_implILNS1_25lookback_scan_determinismE0ELb1ELb1ES3_N6thrust23THRUST_200600_302600_NS6detail15normal_iteratorINS9_10device_ptrIfEEEESE_fNS9_4plusIvEEfEEDaPvRmT3_T4_T5_mT6_P12ihipStream_tbENKUlT_T0_E_clISt17integral_constantIbLb1EEST_IbLb0EEEEDaSP_SQ_EUlSP_E_NS1_11comp_targetILNS1_3genE0ELNS1_11target_archE4294967295ELNS1_3gpuE0ELNS1_3repE0EEENS1_30default_config_static_selectorELNS0_4arch9wavefront6targetE1EEEvT1_
	.globl	_ZN7rocprim17ROCPRIM_400000_NS6detail17trampoline_kernelINS0_14default_configENS1_20scan_config_selectorIfEEZZNS1_9scan_implILNS1_25lookback_scan_determinismE0ELb1ELb1ES3_N6thrust23THRUST_200600_302600_NS6detail15normal_iteratorINS9_10device_ptrIfEEEESE_fNS9_4plusIvEEfEEDaPvRmT3_T4_T5_mT6_P12ihipStream_tbENKUlT_T0_E_clISt17integral_constantIbLb1EEST_IbLb0EEEEDaSP_SQ_EUlSP_E_NS1_11comp_targetILNS1_3genE0ELNS1_11target_archE4294967295ELNS1_3gpuE0ELNS1_3repE0EEENS1_30default_config_static_selectorELNS0_4arch9wavefront6targetE1EEEvT1_
	.p2align	8
	.type	_ZN7rocprim17ROCPRIM_400000_NS6detail17trampoline_kernelINS0_14default_configENS1_20scan_config_selectorIfEEZZNS1_9scan_implILNS1_25lookback_scan_determinismE0ELb1ELb1ES3_N6thrust23THRUST_200600_302600_NS6detail15normal_iteratorINS9_10device_ptrIfEEEESE_fNS9_4plusIvEEfEEDaPvRmT3_T4_T5_mT6_P12ihipStream_tbENKUlT_T0_E_clISt17integral_constantIbLb1EEST_IbLb0EEEEDaSP_SQ_EUlSP_E_NS1_11comp_targetILNS1_3genE0ELNS1_11target_archE4294967295ELNS1_3gpuE0ELNS1_3repE0EEENS1_30default_config_static_selectorELNS0_4arch9wavefront6targetE1EEEvT1_,@function
_ZN7rocprim17ROCPRIM_400000_NS6detail17trampoline_kernelINS0_14default_configENS1_20scan_config_selectorIfEEZZNS1_9scan_implILNS1_25lookback_scan_determinismE0ELb1ELb1ES3_N6thrust23THRUST_200600_302600_NS6detail15normal_iteratorINS9_10device_ptrIfEEEESE_fNS9_4plusIvEEfEEDaPvRmT3_T4_T5_mT6_P12ihipStream_tbENKUlT_T0_E_clISt17integral_constantIbLb1EEST_IbLb0EEEEDaSP_SQ_EUlSP_E_NS1_11comp_targetILNS1_3genE0ELNS1_11target_archE4294967295ELNS1_3gpuE0ELNS1_3repE0EEENS1_30default_config_static_selectorELNS0_4arch9wavefront6targetE1EEEvT1_: ; @_ZN7rocprim17ROCPRIM_400000_NS6detail17trampoline_kernelINS0_14default_configENS1_20scan_config_selectorIfEEZZNS1_9scan_implILNS1_25lookback_scan_determinismE0ELb1ELb1ES3_N6thrust23THRUST_200600_302600_NS6detail15normal_iteratorINS9_10device_ptrIfEEEESE_fNS9_4plusIvEEfEEDaPvRmT3_T4_T5_mT6_P12ihipStream_tbENKUlT_T0_E_clISt17integral_constantIbLb1EEST_IbLb0EEEEDaSP_SQ_EUlSP_E_NS1_11comp_targetILNS1_3genE0ELNS1_11target_archE4294967295ELNS1_3gpuE0ELNS1_3repE0EEENS1_30default_config_static_selectorELNS0_4arch9wavefront6targetE1EEEvT1_
; %bb.0:
	.section	.rodata,"a",@progbits
	.p2align	6, 0x0
	.amdhsa_kernel _ZN7rocprim17ROCPRIM_400000_NS6detail17trampoline_kernelINS0_14default_configENS1_20scan_config_selectorIfEEZZNS1_9scan_implILNS1_25lookback_scan_determinismE0ELb1ELb1ES3_N6thrust23THRUST_200600_302600_NS6detail15normal_iteratorINS9_10device_ptrIfEEEESE_fNS9_4plusIvEEfEEDaPvRmT3_T4_T5_mT6_P12ihipStream_tbENKUlT_T0_E_clISt17integral_constantIbLb1EEST_IbLb0EEEEDaSP_SQ_EUlSP_E_NS1_11comp_targetILNS1_3genE0ELNS1_11target_archE4294967295ELNS1_3gpuE0ELNS1_3repE0EEENS1_30default_config_static_selectorELNS0_4arch9wavefront6targetE1EEEvT1_
		.amdhsa_group_segment_fixed_size 0
		.amdhsa_private_segment_fixed_size 0
		.amdhsa_kernarg_size 96
		.amdhsa_user_sgpr_count 6
		.amdhsa_user_sgpr_private_segment_buffer 1
		.amdhsa_user_sgpr_dispatch_ptr 0
		.amdhsa_user_sgpr_queue_ptr 0
		.amdhsa_user_sgpr_kernarg_segment_ptr 1
		.amdhsa_user_sgpr_dispatch_id 0
		.amdhsa_user_sgpr_flat_scratch_init 0
		.amdhsa_user_sgpr_kernarg_preload_length 0
		.amdhsa_user_sgpr_kernarg_preload_offset 0
		.amdhsa_user_sgpr_private_segment_size 0
		.amdhsa_uses_dynamic_stack 0
		.amdhsa_system_sgpr_private_segment_wavefront_offset 0
		.amdhsa_system_sgpr_workgroup_id_x 1
		.amdhsa_system_sgpr_workgroup_id_y 0
		.amdhsa_system_sgpr_workgroup_id_z 0
		.amdhsa_system_sgpr_workgroup_info 0
		.amdhsa_system_vgpr_workitem_id 0
		.amdhsa_next_free_vgpr 1
		.amdhsa_next_free_sgpr 0
		.amdhsa_accum_offset 4
		.amdhsa_reserve_vcc 0
		.amdhsa_reserve_flat_scratch 0
		.amdhsa_float_round_mode_32 0
		.amdhsa_float_round_mode_16_64 0
		.amdhsa_float_denorm_mode_32 3
		.amdhsa_float_denorm_mode_16_64 3
		.amdhsa_dx10_clamp 1
		.amdhsa_ieee_mode 1
		.amdhsa_fp16_overflow 0
		.amdhsa_tg_split 0
		.amdhsa_exception_fp_ieee_invalid_op 0
		.amdhsa_exception_fp_denorm_src 0
		.amdhsa_exception_fp_ieee_div_zero 0
		.amdhsa_exception_fp_ieee_overflow 0
		.amdhsa_exception_fp_ieee_underflow 0
		.amdhsa_exception_fp_ieee_inexact 0
		.amdhsa_exception_int_div_zero 0
	.end_amdhsa_kernel
	.section	.text._ZN7rocprim17ROCPRIM_400000_NS6detail17trampoline_kernelINS0_14default_configENS1_20scan_config_selectorIfEEZZNS1_9scan_implILNS1_25lookback_scan_determinismE0ELb1ELb1ES3_N6thrust23THRUST_200600_302600_NS6detail15normal_iteratorINS9_10device_ptrIfEEEESE_fNS9_4plusIvEEfEEDaPvRmT3_T4_T5_mT6_P12ihipStream_tbENKUlT_T0_E_clISt17integral_constantIbLb1EEST_IbLb0EEEEDaSP_SQ_EUlSP_E_NS1_11comp_targetILNS1_3genE0ELNS1_11target_archE4294967295ELNS1_3gpuE0ELNS1_3repE0EEENS1_30default_config_static_selectorELNS0_4arch9wavefront6targetE1EEEvT1_,"axG",@progbits,_ZN7rocprim17ROCPRIM_400000_NS6detail17trampoline_kernelINS0_14default_configENS1_20scan_config_selectorIfEEZZNS1_9scan_implILNS1_25lookback_scan_determinismE0ELb1ELb1ES3_N6thrust23THRUST_200600_302600_NS6detail15normal_iteratorINS9_10device_ptrIfEEEESE_fNS9_4plusIvEEfEEDaPvRmT3_T4_T5_mT6_P12ihipStream_tbENKUlT_T0_E_clISt17integral_constantIbLb1EEST_IbLb0EEEEDaSP_SQ_EUlSP_E_NS1_11comp_targetILNS1_3genE0ELNS1_11target_archE4294967295ELNS1_3gpuE0ELNS1_3repE0EEENS1_30default_config_static_selectorELNS0_4arch9wavefront6targetE1EEEvT1_,comdat
.Lfunc_end4394:
	.size	_ZN7rocprim17ROCPRIM_400000_NS6detail17trampoline_kernelINS0_14default_configENS1_20scan_config_selectorIfEEZZNS1_9scan_implILNS1_25lookback_scan_determinismE0ELb1ELb1ES3_N6thrust23THRUST_200600_302600_NS6detail15normal_iteratorINS9_10device_ptrIfEEEESE_fNS9_4plusIvEEfEEDaPvRmT3_T4_T5_mT6_P12ihipStream_tbENKUlT_T0_E_clISt17integral_constantIbLb1EEST_IbLb0EEEEDaSP_SQ_EUlSP_E_NS1_11comp_targetILNS1_3genE0ELNS1_11target_archE4294967295ELNS1_3gpuE0ELNS1_3repE0EEENS1_30default_config_static_selectorELNS0_4arch9wavefront6targetE1EEEvT1_, .Lfunc_end4394-_ZN7rocprim17ROCPRIM_400000_NS6detail17trampoline_kernelINS0_14default_configENS1_20scan_config_selectorIfEEZZNS1_9scan_implILNS1_25lookback_scan_determinismE0ELb1ELb1ES3_N6thrust23THRUST_200600_302600_NS6detail15normal_iteratorINS9_10device_ptrIfEEEESE_fNS9_4plusIvEEfEEDaPvRmT3_T4_T5_mT6_P12ihipStream_tbENKUlT_T0_E_clISt17integral_constantIbLb1EEST_IbLb0EEEEDaSP_SQ_EUlSP_E_NS1_11comp_targetILNS1_3genE0ELNS1_11target_archE4294967295ELNS1_3gpuE0ELNS1_3repE0EEENS1_30default_config_static_selectorELNS0_4arch9wavefront6targetE1EEEvT1_
                                        ; -- End function
	.section	.AMDGPU.csdata,"",@progbits
; Kernel info:
; codeLenInByte = 0
; NumSgprs: 4
; NumVgprs: 0
; NumAgprs: 0
; TotalNumVgprs: 0
; ScratchSize: 0
; MemoryBound: 0
; FloatMode: 240
; IeeeMode: 1
; LDSByteSize: 0 bytes/workgroup (compile time only)
; SGPRBlocks: 0
; VGPRBlocks: 0
; NumSGPRsForWavesPerEU: 4
; NumVGPRsForWavesPerEU: 1
; AccumOffset: 4
; Occupancy: 8
; WaveLimiterHint : 0
; COMPUTE_PGM_RSRC2:SCRATCH_EN: 0
; COMPUTE_PGM_RSRC2:USER_SGPR: 6
; COMPUTE_PGM_RSRC2:TRAP_HANDLER: 0
; COMPUTE_PGM_RSRC2:TGID_X_EN: 1
; COMPUTE_PGM_RSRC2:TGID_Y_EN: 0
; COMPUTE_PGM_RSRC2:TGID_Z_EN: 0
; COMPUTE_PGM_RSRC2:TIDIG_COMP_CNT: 0
; COMPUTE_PGM_RSRC3_GFX90A:ACCUM_OFFSET: 0
; COMPUTE_PGM_RSRC3_GFX90A:TG_SPLIT: 0
	.section	.text._ZN7rocprim17ROCPRIM_400000_NS6detail17trampoline_kernelINS0_14default_configENS1_20scan_config_selectorIfEEZZNS1_9scan_implILNS1_25lookback_scan_determinismE0ELb1ELb1ES3_N6thrust23THRUST_200600_302600_NS6detail15normal_iteratorINS9_10device_ptrIfEEEESE_fNS9_4plusIvEEfEEDaPvRmT3_T4_T5_mT6_P12ihipStream_tbENKUlT_T0_E_clISt17integral_constantIbLb1EEST_IbLb0EEEEDaSP_SQ_EUlSP_E_NS1_11comp_targetILNS1_3genE5ELNS1_11target_archE942ELNS1_3gpuE9ELNS1_3repE0EEENS1_30default_config_static_selectorELNS0_4arch9wavefront6targetE1EEEvT1_,"axG",@progbits,_ZN7rocprim17ROCPRIM_400000_NS6detail17trampoline_kernelINS0_14default_configENS1_20scan_config_selectorIfEEZZNS1_9scan_implILNS1_25lookback_scan_determinismE0ELb1ELb1ES3_N6thrust23THRUST_200600_302600_NS6detail15normal_iteratorINS9_10device_ptrIfEEEESE_fNS9_4plusIvEEfEEDaPvRmT3_T4_T5_mT6_P12ihipStream_tbENKUlT_T0_E_clISt17integral_constantIbLb1EEST_IbLb0EEEEDaSP_SQ_EUlSP_E_NS1_11comp_targetILNS1_3genE5ELNS1_11target_archE942ELNS1_3gpuE9ELNS1_3repE0EEENS1_30default_config_static_selectorELNS0_4arch9wavefront6targetE1EEEvT1_,comdat
	.protected	_ZN7rocprim17ROCPRIM_400000_NS6detail17trampoline_kernelINS0_14default_configENS1_20scan_config_selectorIfEEZZNS1_9scan_implILNS1_25lookback_scan_determinismE0ELb1ELb1ES3_N6thrust23THRUST_200600_302600_NS6detail15normal_iteratorINS9_10device_ptrIfEEEESE_fNS9_4plusIvEEfEEDaPvRmT3_T4_T5_mT6_P12ihipStream_tbENKUlT_T0_E_clISt17integral_constantIbLb1EEST_IbLb0EEEEDaSP_SQ_EUlSP_E_NS1_11comp_targetILNS1_3genE5ELNS1_11target_archE942ELNS1_3gpuE9ELNS1_3repE0EEENS1_30default_config_static_selectorELNS0_4arch9wavefront6targetE1EEEvT1_ ; -- Begin function _ZN7rocprim17ROCPRIM_400000_NS6detail17trampoline_kernelINS0_14default_configENS1_20scan_config_selectorIfEEZZNS1_9scan_implILNS1_25lookback_scan_determinismE0ELb1ELb1ES3_N6thrust23THRUST_200600_302600_NS6detail15normal_iteratorINS9_10device_ptrIfEEEESE_fNS9_4plusIvEEfEEDaPvRmT3_T4_T5_mT6_P12ihipStream_tbENKUlT_T0_E_clISt17integral_constantIbLb1EEST_IbLb0EEEEDaSP_SQ_EUlSP_E_NS1_11comp_targetILNS1_3genE5ELNS1_11target_archE942ELNS1_3gpuE9ELNS1_3repE0EEENS1_30default_config_static_selectorELNS0_4arch9wavefront6targetE1EEEvT1_
	.globl	_ZN7rocprim17ROCPRIM_400000_NS6detail17trampoline_kernelINS0_14default_configENS1_20scan_config_selectorIfEEZZNS1_9scan_implILNS1_25lookback_scan_determinismE0ELb1ELb1ES3_N6thrust23THRUST_200600_302600_NS6detail15normal_iteratorINS9_10device_ptrIfEEEESE_fNS9_4plusIvEEfEEDaPvRmT3_T4_T5_mT6_P12ihipStream_tbENKUlT_T0_E_clISt17integral_constantIbLb1EEST_IbLb0EEEEDaSP_SQ_EUlSP_E_NS1_11comp_targetILNS1_3genE5ELNS1_11target_archE942ELNS1_3gpuE9ELNS1_3repE0EEENS1_30default_config_static_selectorELNS0_4arch9wavefront6targetE1EEEvT1_
	.p2align	8
	.type	_ZN7rocprim17ROCPRIM_400000_NS6detail17trampoline_kernelINS0_14default_configENS1_20scan_config_selectorIfEEZZNS1_9scan_implILNS1_25lookback_scan_determinismE0ELb1ELb1ES3_N6thrust23THRUST_200600_302600_NS6detail15normal_iteratorINS9_10device_ptrIfEEEESE_fNS9_4plusIvEEfEEDaPvRmT3_T4_T5_mT6_P12ihipStream_tbENKUlT_T0_E_clISt17integral_constantIbLb1EEST_IbLb0EEEEDaSP_SQ_EUlSP_E_NS1_11comp_targetILNS1_3genE5ELNS1_11target_archE942ELNS1_3gpuE9ELNS1_3repE0EEENS1_30default_config_static_selectorELNS0_4arch9wavefront6targetE1EEEvT1_,@function
_ZN7rocprim17ROCPRIM_400000_NS6detail17trampoline_kernelINS0_14default_configENS1_20scan_config_selectorIfEEZZNS1_9scan_implILNS1_25lookback_scan_determinismE0ELb1ELb1ES3_N6thrust23THRUST_200600_302600_NS6detail15normal_iteratorINS9_10device_ptrIfEEEESE_fNS9_4plusIvEEfEEDaPvRmT3_T4_T5_mT6_P12ihipStream_tbENKUlT_T0_E_clISt17integral_constantIbLb1EEST_IbLb0EEEEDaSP_SQ_EUlSP_E_NS1_11comp_targetILNS1_3genE5ELNS1_11target_archE942ELNS1_3gpuE9ELNS1_3repE0EEENS1_30default_config_static_selectorELNS0_4arch9wavefront6targetE1EEEvT1_: ; @_ZN7rocprim17ROCPRIM_400000_NS6detail17trampoline_kernelINS0_14default_configENS1_20scan_config_selectorIfEEZZNS1_9scan_implILNS1_25lookback_scan_determinismE0ELb1ELb1ES3_N6thrust23THRUST_200600_302600_NS6detail15normal_iteratorINS9_10device_ptrIfEEEESE_fNS9_4plusIvEEfEEDaPvRmT3_T4_T5_mT6_P12ihipStream_tbENKUlT_T0_E_clISt17integral_constantIbLb1EEST_IbLb0EEEEDaSP_SQ_EUlSP_E_NS1_11comp_targetILNS1_3genE5ELNS1_11target_archE942ELNS1_3gpuE9ELNS1_3repE0EEENS1_30default_config_static_selectorELNS0_4arch9wavefront6targetE1EEEvT1_
; %bb.0:
	.section	.rodata,"a",@progbits
	.p2align	6, 0x0
	.amdhsa_kernel _ZN7rocprim17ROCPRIM_400000_NS6detail17trampoline_kernelINS0_14default_configENS1_20scan_config_selectorIfEEZZNS1_9scan_implILNS1_25lookback_scan_determinismE0ELb1ELb1ES3_N6thrust23THRUST_200600_302600_NS6detail15normal_iteratorINS9_10device_ptrIfEEEESE_fNS9_4plusIvEEfEEDaPvRmT3_T4_T5_mT6_P12ihipStream_tbENKUlT_T0_E_clISt17integral_constantIbLb1EEST_IbLb0EEEEDaSP_SQ_EUlSP_E_NS1_11comp_targetILNS1_3genE5ELNS1_11target_archE942ELNS1_3gpuE9ELNS1_3repE0EEENS1_30default_config_static_selectorELNS0_4arch9wavefront6targetE1EEEvT1_
		.amdhsa_group_segment_fixed_size 0
		.amdhsa_private_segment_fixed_size 0
		.amdhsa_kernarg_size 96
		.amdhsa_user_sgpr_count 6
		.amdhsa_user_sgpr_private_segment_buffer 1
		.amdhsa_user_sgpr_dispatch_ptr 0
		.amdhsa_user_sgpr_queue_ptr 0
		.amdhsa_user_sgpr_kernarg_segment_ptr 1
		.amdhsa_user_sgpr_dispatch_id 0
		.amdhsa_user_sgpr_flat_scratch_init 0
		.amdhsa_user_sgpr_kernarg_preload_length 0
		.amdhsa_user_sgpr_kernarg_preload_offset 0
		.amdhsa_user_sgpr_private_segment_size 0
		.amdhsa_uses_dynamic_stack 0
		.amdhsa_system_sgpr_private_segment_wavefront_offset 0
		.amdhsa_system_sgpr_workgroup_id_x 1
		.amdhsa_system_sgpr_workgroup_id_y 0
		.amdhsa_system_sgpr_workgroup_id_z 0
		.amdhsa_system_sgpr_workgroup_info 0
		.amdhsa_system_vgpr_workitem_id 0
		.amdhsa_next_free_vgpr 1
		.amdhsa_next_free_sgpr 0
		.amdhsa_accum_offset 4
		.amdhsa_reserve_vcc 0
		.amdhsa_reserve_flat_scratch 0
		.amdhsa_float_round_mode_32 0
		.amdhsa_float_round_mode_16_64 0
		.amdhsa_float_denorm_mode_32 3
		.amdhsa_float_denorm_mode_16_64 3
		.amdhsa_dx10_clamp 1
		.amdhsa_ieee_mode 1
		.amdhsa_fp16_overflow 0
		.amdhsa_tg_split 0
		.amdhsa_exception_fp_ieee_invalid_op 0
		.amdhsa_exception_fp_denorm_src 0
		.amdhsa_exception_fp_ieee_div_zero 0
		.amdhsa_exception_fp_ieee_overflow 0
		.amdhsa_exception_fp_ieee_underflow 0
		.amdhsa_exception_fp_ieee_inexact 0
		.amdhsa_exception_int_div_zero 0
	.end_amdhsa_kernel
	.section	.text._ZN7rocprim17ROCPRIM_400000_NS6detail17trampoline_kernelINS0_14default_configENS1_20scan_config_selectorIfEEZZNS1_9scan_implILNS1_25lookback_scan_determinismE0ELb1ELb1ES3_N6thrust23THRUST_200600_302600_NS6detail15normal_iteratorINS9_10device_ptrIfEEEESE_fNS9_4plusIvEEfEEDaPvRmT3_T4_T5_mT6_P12ihipStream_tbENKUlT_T0_E_clISt17integral_constantIbLb1EEST_IbLb0EEEEDaSP_SQ_EUlSP_E_NS1_11comp_targetILNS1_3genE5ELNS1_11target_archE942ELNS1_3gpuE9ELNS1_3repE0EEENS1_30default_config_static_selectorELNS0_4arch9wavefront6targetE1EEEvT1_,"axG",@progbits,_ZN7rocprim17ROCPRIM_400000_NS6detail17trampoline_kernelINS0_14default_configENS1_20scan_config_selectorIfEEZZNS1_9scan_implILNS1_25lookback_scan_determinismE0ELb1ELb1ES3_N6thrust23THRUST_200600_302600_NS6detail15normal_iteratorINS9_10device_ptrIfEEEESE_fNS9_4plusIvEEfEEDaPvRmT3_T4_T5_mT6_P12ihipStream_tbENKUlT_T0_E_clISt17integral_constantIbLb1EEST_IbLb0EEEEDaSP_SQ_EUlSP_E_NS1_11comp_targetILNS1_3genE5ELNS1_11target_archE942ELNS1_3gpuE9ELNS1_3repE0EEENS1_30default_config_static_selectorELNS0_4arch9wavefront6targetE1EEEvT1_,comdat
.Lfunc_end4395:
	.size	_ZN7rocprim17ROCPRIM_400000_NS6detail17trampoline_kernelINS0_14default_configENS1_20scan_config_selectorIfEEZZNS1_9scan_implILNS1_25lookback_scan_determinismE0ELb1ELb1ES3_N6thrust23THRUST_200600_302600_NS6detail15normal_iteratorINS9_10device_ptrIfEEEESE_fNS9_4plusIvEEfEEDaPvRmT3_T4_T5_mT6_P12ihipStream_tbENKUlT_T0_E_clISt17integral_constantIbLb1EEST_IbLb0EEEEDaSP_SQ_EUlSP_E_NS1_11comp_targetILNS1_3genE5ELNS1_11target_archE942ELNS1_3gpuE9ELNS1_3repE0EEENS1_30default_config_static_selectorELNS0_4arch9wavefront6targetE1EEEvT1_, .Lfunc_end4395-_ZN7rocprim17ROCPRIM_400000_NS6detail17trampoline_kernelINS0_14default_configENS1_20scan_config_selectorIfEEZZNS1_9scan_implILNS1_25lookback_scan_determinismE0ELb1ELb1ES3_N6thrust23THRUST_200600_302600_NS6detail15normal_iteratorINS9_10device_ptrIfEEEESE_fNS9_4plusIvEEfEEDaPvRmT3_T4_T5_mT6_P12ihipStream_tbENKUlT_T0_E_clISt17integral_constantIbLb1EEST_IbLb0EEEEDaSP_SQ_EUlSP_E_NS1_11comp_targetILNS1_3genE5ELNS1_11target_archE942ELNS1_3gpuE9ELNS1_3repE0EEENS1_30default_config_static_selectorELNS0_4arch9wavefront6targetE1EEEvT1_
                                        ; -- End function
	.section	.AMDGPU.csdata,"",@progbits
; Kernel info:
; codeLenInByte = 0
; NumSgprs: 4
; NumVgprs: 0
; NumAgprs: 0
; TotalNumVgprs: 0
; ScratchSize: 0
; MemoryBound: 0
; FloatMode: 240
; IeeeMode: 1
; LDSByteSize: 0 bytes/workgroup (compile time only)
; SGPRBlocks: 0
; VGPRBlocks: 0
; NumSGPRsForWavesPerEU: 4
; NumVGPRsForWavesPerEU: 1
; AccumOffset: 4
; Occupancy: 8
; WaveLimiterHint : 0
; COMPUTE_PGM_RSRC2:SCRATCH_EN: 0
; COMPUTE_PGM_RSRC2:USER_SGPR: 6
; COMPUTE_PGM_RSRC2:TRAP_HANDLER: 0
; COMPUTE_PGM_RSRC2:TGID_X_EN: 1
; COMPUTE_PGM_RSRC2:TGID_Y_EN: 0
; COMPUTE_PGM_RSRC2:TGID_Z_EN: 0
; COMPUTE_PGM_RSRC2:TIDIG_COMP_CNT: 0
; COMPUTE_PGM_RSRC3_GFX90A:ACCUM_OFFSET: 0
; COMPUTE_PGM_RSRC3_GFX90A:TG_SPLIT: 0
	.section	.text._ZN7rocprim17ROCPRIM_400000_NS6detail17trampoline_kernelINS0_14default_configENS1_20scan_config_selectorIfEEZZNS1_9scan_implILNS1_25lookback_scan_determinismE0ELb1ELb1ES3_N6thrust23THRUST_200600_302600_NS6detail15normal_iteratorINS9_10device_ptrIfEEEESE_fNS9_4plusIvEEfEEDaPvRmT3_T4_T5_mT6_P12ihipStream_tbENKUlT_T0_E_clISt17integral_constantIbLb1EEST_IbLb0EEEEDaSP_SQ_EUlSP_E_NS1_11comp_targetILNS1_3genE4ELNS1_11target_archE910ELNS1_3gpuE8ELNS1_3repE0EEENS1_30default_config_static_selectorELNS0_4arch9wavefront6targetE1EEEvT1_,"axG",@progbits,_ZN7rocprim17ROCPRIM_400000_NS6detail17trampoline_kernelINS0_14default_configENS1_20scan_config_selectorIfEEZZNS1_9scan_implILNS1_25lookback_scan_determinismE0ELb1ELb1ES3_N6thrust23THRUST_200600_302600_NS6detail15normal_iteratorINS9_10device_ptrIfEEEESE_fNS9_4plusIvEEfEEDaPvRmT3_T4_T5_mT6_P12ihipStream_tbENKUlT_T0_E_clISt17integral_constantIbLb1EEST_IbLb0EEEEDaSP_SQ_EUlSP_E_NS1_11comp_targetILNS1_3genE4ELNS1_11target_archE910ELNS1_3gpuE8ELNS1_3repE0EEENS1_30default_config_static_selectorELNS0_4arch9wavefront6targetE1EEEvT1_,comdat
	.protected	_ZN7rocprim17ROCPRIM_400000_NS6detail17trampoline_kernelINS0_14default_configENS1_20scan_config_selectorIfEEZZNS1_9scan_implILNS1_25lookback_scan_determinismE0ELb1ELb1ES3_N6thrust23THRUST_200600_302600_NS6detail15normal_iteratorINS9_10device_ptrIfEEEESE_fNS9_4plusIvEEfEEDaPvRmT3_T4_T5_mT6_P12ihipStream_tbENKUlT_T0_E_clISt17integral_constantIbLb1EEST_IbLb0EEEEDaSP_SQ_EUlSP_E_NS1_11comp_targetILNS1_3genE4ELNS1_11target_archE910ELNS1_3gpuE8ELNS1_3repE0EEENS1_30default_config_static_selectorELNS0_4arch9wavefront6targetE1EEEvT1_ ; -- Begin function _ZN7rocprim17ROCPRIM_400000_NS6detail17trampoline_kernelINS0_14default_configENS1_20scan_config_selectorIfEEZZNS1_9scan_implILNS1_25lookback_scan_determinismE0ELb1ELb1ES3_N6thrust23THRUST_200600_302600_NS6detail15normal_iteratorINS9_10device_ptrIfEEEESE_fNS9_4plusIvEEfEEDaPvRmT3_T4_T5_mT6_P12ihipStream_tbENKUlT_T0_E_clISt17integral_constantIbLb1EEST_IbLb0EEEEDaSP_SQ_EUlSP_E_NS1_11comp_targetILNS1_3genE4ELNS1_11target_archE910ELNS1_3gpuE8ELNS1_3repE0EEENS1_30default_config_static_selectorELNS0_4arch9wavefront6targetE1EEEvT1_
	.globl	_ZN7rocprim17ROCPRIM_400000_NS6detail17trampoline_kernelINS0_14default_configENS1_20scan_config_selectorIfEEZZNS1_9scan_implILNS1_25lookback_scan_determinismE0ELb1ELb1ES3_N6thrust23THRUST_200600_302600_NS6detail15normal_iteratorINS9_10device_ptrIfEEEESE_fNS9_4plusIvEEfEEDaPvRmT3_T4_T5_mT6_P12ihipStream_tbENKUlT_T0_E_clISt17integral_constantIbLb1EEST_IbLb0EEEEDaSP_SQ_EUlSP_E_NS1_11comp_targetILNS1_3genE4ELNS1_11target_archE910ELNS1_3gpuE8ELNS1_3repE0EEENS1_30default_config_static_selectorELNS0_4arch9wavefront6targetE1EEEvT1_
	.p2align	8
	.type	_ZN7rocprim17ROCPRIM_400000_NS6detail17trampoline_kernelINS0_14default_configENS1_20scan_config_selectorIfEEZZNS1_9scan_implILNS1_25lookback_scan_determinismE0ELb1ELb1ES3_N6thrust23THRUST_200600_302600_NS6detail15normal_iteratorINS9_10device_ptrIfEEEESE_fNS9_4plusIvEEfEEDaPvRmT3_T4_T5_mT6_P12ihipStream_tbENKUlT_T0_E_clISt17integral_constantIbLb1EEST_IbLb0EEEEDaSP_SQ_EUlSP_E_NS1_11comp_targetILNS1_3genE4ELNS1_11target_archE910ELNS1_3gpuE8ELNS1_3repE0EEENS1_30default_config_static_selectorELNS0_4arch9wavefront6targetE1EEEvT1_,@function
_ZN7rocprim17ROCPRIM_400000_NS6detail17trampoline_kernelINS0_14default_configENS1_20scan_config_selectorIfEEZZNS1_9scan_implILNS1_25lookback_scan_determinismE0ELb1ELb1ES3_N6thrust23THRUST_200600_302600_NS6detail15normal_iteratorINS9_10device_ptrIfEEEESE_fNS9_4plusIvEEfEEDaPvRmT3_T4_T5_mT6_P12ihipStream_tbENKUlT_T0_E_clISt17integral_constantIbLb1EEST_IbLb0EEEEDaSP_SQ_EUlSP_E_NS1_11comp_targetILNS1_3genE4ELNS1_11target_archE910ELNS1_3gpuE8ELNS1_3repE0EEENS1_30default_config_static_selectorELNS0_4arch9wavefront6targetE1EEEvT1_: ; @_ZN7rocprim17ROCPRIM_400000_NS6detail17trampoline_kernelINS0_14default_configENS1_20scan_config_selectorIfEEZZNS1_9scan_implILNS1_25lookback_scan_determinismE0ELb1ELb1ES3_N6thrust23THRUST_200600_302600_NS6detail15normal_iteratorINS9_10device_ptrIfEEEESE_fNS9_4plusIvEEfEEDaPvRmT3_T4_T5_mT6_P12ihipStream_tbENKUlT_T0_E_clISt17integral_constantIbLb1EEST_IbLb0EEEEDaSP_SQ_EUlSP_E_NS1_11comp_targetILNS1_3genE4ELNS1_11target_archE910ELNS1_3gpuE8ELNS1_3repE0EEENS1_30default_config_static_selectorELNS0_4arch9wavefront6targetE1EEEvT1_
; %bb.0:
	s_load_dwordx8 s[12:19], s[4:5], 0x0
	s_load_dword s1, s[4:5], 0x30
	s_mul_i32 s0, s6, 0x700
	v_lshlrev_b32_e32 v32, 2, v0
	s_waitcnt lgkmcnt(0)
	s_lshl_b64 s[20:21], s[14:15], 2
	s_add_u32 s29, s12, s20
	s_addc_u32 s30, s13, s21
	s_add_i32 s2, s1, -1
	s_mul_i32 s3, s2, 0x700
	s_sub_u32 s7, s18, s3
	s_subb_u32 s28, s19, 0
	s_mov_b32 s1, 0
	s_cmp_lg_u32 s6, s2
	s_cselect_b64 s[18:19], -1, 0
	s_lshl_b64 s[22:23], s[0:1], 2
	s_add_u32 s2, s29, s22
	s_addc_u32 s3, s30, s23
	s_mov_b64 s[0:1], -1
	s_and_b64 vcc, exec, s[18:19]
	s_cbranch_vccz .LBB4396_2
; %bb.1:
	v_mov_b32_e32 v1, s3
	v_add_co_u32_e32 v2, vcc, s2, v32
	v_addc_co_u32_e32 v3, vcc, 0, v1, vcc
	flat_load_dword v1, v[2:3]
	flat_load_dword v4, v[2:3] offset:512
	flat_load_dword v5, v[2:3] offset:1024
	;; [unrolled: 1-line block ×7, first 2 shown]
	v_add_co_u32_e32 v2, vcc, 0x1000, v2
	v_addc_co_u32_e32 v3, vcc, 0, v3, vcc
	flat_load_dword v11, v[2:3]
	flat_load_dword v12, v[2:3] offset:512
	flat_load_dword v13, v[2:3] offset:1024
	;; [unrolled: 1-line block ×5, first 2 shown]
	s_mov_b64 s[0:1], 0
	s_waitcnt vmcnt(0) lgkmcnt(0)
	ds_write2st64_b32 v32, v1, v4 offset1:2
	ds_write2st64_b32 v32, v5, v6 offset0:4 offset1:6
	ds_write2st64_b32 v32, v7, v8 offset0:8 offset1:10
	ds_write2st64_b32 v32, v9, v10 offset0:12 offset1:14
	ds_write2st64_b32 v32, v11, v12 offset0:16 offset1:18
	ds_write2st64_b32 v32, v13, v14 offset0:20 offset1:22
	ds_write2st64_b32 v32, v15, v16 offset0:24 offset1:26
	s_waitcnt lgkmcnt(0)
	s_barrier
.LBB4396_2:
	s_load_dwordx2 s[24:25], s[4:5], 0x28
	s_andn2_b64 vcc, exec, s[0:1]
	v_cmp_gt_u32_e64 s[0:1], s7, v0
	s_cbranch_vccnz .LBB4396_32
; %bb.3:
	v_pk_mov_b32 v[2:3], s[2:3], s[2:3] op_sel:[0,1]
	flat_load_dword v1, v[2:3]
	s_waitcnt vmcnt(0) lgkmcnt(0)
	v_mov_b32_e32 v2, v1
	v_mov_b32_e32 v3, v1
	;; [unrolled: 1-line block ×12, first 2 shown]
	v_pk_mov_b32 v[16:17], v[14:15], v[14:15] op_sel:[0,1]
	v_pk_mov_b32 v[14:15], v[12:13], v[12:13] op_sel:[0,1]
	;; [unrolled: 1-line block ×8, first 2 shown]
	s_and_saveexec_b64 s[8:9], s[0:1]
	s_cbranch_execz .LBB4396_5
; %bb.4:
	v_mov_b32_e32 v3, s3
	v_add_co_u32_e32 v2, vcc, s2, v32
	v_addc_co_u32_e32 v3, vcc, 0, v3, vcc
	flat_load_dword v18, v[2:3]
	v_mov_b32_e32 v2, v1
	v_mov_b32_e32 v3, v1
	;; [unrolled: 1-line block ×12, first 2 shown]
	v_pk_mov_b32 v[16:17], v[14:15], v[14:15] op_sel:[0,1]
	v_pk_mov_b32 v[14:15], v[12:13], v[12:13] op_sel:[0,1]
	;; [unrolled: 1-line block ×8, first 2 shown]
	s_waitcnt vmcnt(0) lgkmcnt(0)
	v_mov_b32_e32 v1, v18
.LBB4396_5:
	s_or_b64 exec, exec, s[8:9]
	v_or_b32_e32 v2, 0x80, v0
	v_cmp_gt_u32_e32 vcc, s7, v2
	s_and_saveexec_b64 s[0:1], vcc
	s_cbranch_execz .LBB4396_7
; %bb.6:
	v_mov_b32_e32 v3, s3
	v_add_co_u32_e32 v2, vcc, s2, v32
	v_addc_co_u32_e32 v3, vcc, 0, v3, vcc
	flat_load_dword v3, v[2:3] offset:512
.LBB4396_7:
	s_or_b64 exec, exec, s[0:1]
	v_or_b32_e32 v2, 0x100, v0
	v_cmp_gt_u32_e32 vcc, s7, v2
	s_and_saveexec_b64 s[0:1], vcc
	s_cbranch_execz .LBB4396_9
; %bb.8:
	v_mov_b32_e32 v2, s3
	v_add_co_u32_e32 v16, vcc, s2, v32
	v_addc_co_u32_e32 v17, vcc, 0, v2, vcc
	flat_load_dword v4, v[16:17] offset:1024
.LBB4396_9:
	;; [unrolled: 11-line block ×7, first 2 shown]
	s_or_b64 exec, exec, s[0:1]
	v_or_b32_e32 v2, 0x400, v0
	v_cmp_gt_u32_e32 vcc, s7, v2
	s_and_saveexec_b64 s[0:1], vcc
	s_cbranch_execz .LBB4396_21
; %bb.20:
	v_lshlrev_b32_e32 v2, 2, v2
	v_mov_b32_e32 v10, s3
	v_add_co_u32_e32 v16, vcc, s2, v2
	v_addc_co_u32_e32 v17, vcc, 0, v10, vcc
	flat_load_dword v10, v[16:17]
.LBB4396_21:
	s_or_b64 exec, exec, s[0:1]
	v_or_b32_e32 v2, 0x480, v0
	v_cmp_gt_u32_e32 vcc, s7, v2
	s_and_saveexec_b64 s[0:1], vcc
	s_cbranch_execz .LBB4396_23
; %bb.22:
	v_lshlrev_b32_e32 v2, 2, v2
	v_mov_b32_e32 v11, s3
	v_add_co_u32_e32 v16, vcc, s2, v2
	v_addc_co_u32_e32 v17, vcc, 0, v11, vcc
	flat_load_dword v11, v[16:17]
.LBB4396_23:
	;; [unrolled: 12-line block ×6, first 2 shown]
	s_or_b64 exec, exec, s[0:1]
	s_waitcnt vmcnt(0) lgkmcnt(0)
	ds_write2st64_b32 v32, v1, v3 offset1:2
	ds_write2st64_b32 v32, v4, v5 offset0:4 offset1:6
	ds_write2st64_b32 v32, v6, v7 offset0:8 offset1:10
	;; [unrolled: 1-line block ×6, first 2 shown]
	s_waitcnt lgkmcnt(0)
	s_barrier
.LBB4396_32:
	v_mul_u32_u24_e32 v33, 14, v0
	v_lshlrev_b32_e32 v34, 2, v33
	s_waitcnt lgkmcnt(0)
	ds_read2_b64 v[26:29], v34 offset1:1
	ds_read2_b64 v[22:25], v34 offset0:2 offset1:3
	ds_read2_b64 v[18:21], v34 offset0:4 offset1:5
	ds_read_b64 v[30:31], v34 offset:48
	s_cmp_lg_u32 s6, 0
	s_waitcnt lgkmcnt(3)
	v_add_f32_e32 v35, v26, v27
	v_lshrrev_b32_e32 v1, 5, v0
	v_cmp_gt_u32_e32 vcc, 64, v0
	s_waitcnt lgkmcnt(0)
	s_barrier
	s_cbranch_scc0 .LBB4396_61
; %bb.33:
	v_add_f32_e32 v2, v28, v35
	v_add_f32_e32 v2, v29, v2
	;; [unrolled: 1-line block ×12, first 2 shown]
	v_add_lshl_u32 v2, v1, v0, 2
	ds_write_b32 v2, v12
	s_waitcnt lgkmcnt(0)
	s_barrier
	s_and_saveexec_b64 s[10:11], vcc
	s_cbranch_execz .LBB4396_35
; %bb.34:
	v_lshlrev_b32_e32 v2, 1, v0
	v_lshrrev_b32_e32 v3, 4, v0
	v_add_lshl_u32 v4, v3, v2, 2
	ds_read2_b32 v[2:3], v4 offset1:1
	v_mbcnt_lo_u32_b32 v5, -1, 0
	v_mbcnt_hi_u32_b32 v5, -1, v5
	v_and_b32_e32 v6, 15, v5
	v_cmp_eq_u32_e64 s[0:1], 0, v6
	s_waitcnt lgkmcnt(0)
	v_add_f32_e32 v3, v2, v3
	v_cmp_lt_u32_e64 s[2:3], 3, v6
	v_cmp_lt_u32_e64 s[8:9], 31, v5
	v_mov_b32_dpp v7, v3 row_shr:1 row_mask:0xf bank_mask:0xf
	v_add_f32_e32 v7, v3, v7
	v_cndmask_b32_e64 v3, v7, v3, s[0:1]
	v_cmp_lt_u32_e64 s[0:1], 1, v6
	s_nop 0
	v_mov_b32_dpp v7, v3 row_shr:2 row_mask:0xf bank_mask:0xf
	v_add_f32_e32 v7, v3, v7
	v_cndmask_b32_e64 v7, v3, v7, s[0:1]
	; wave barrier
	s_nop 1
	v_mov_b32_dpp v8, v7 row_shr:4 row_mask:0xf bank_mask:0xf
	v_add_f32_e32 v8, v7, v8
	v_cndmask_b32_e64 v7, v7, v8, s[2:3]
	v_cmp_lt_u32_e64 s[2:3], 7, v6
	s_nop 0
	v_mov_b32_dpp v8, v7 row_shr:8 row_mask:0xf bank_mask:0xf
	v_add_f32_e32 v8, v7, v8
	v_cndmask_b32_e64 v6, v7, v8, s[2:3]
	v_and_b32_e32 v8, 16, v5
	v_cmp_eq_u32_e64 s[2:3], 0, v8
	v_mov_b32_dpp v7, v6 row_bcast:15 row_mask:0xf bank_mask:0xf
	v_add_f32_e32 v7, v6, v7
	v_cndmask_b32_e64 v6, v7, v6, s[2:3]
	v_cmp_lt_u32_e64 s[2:3], 15, v5
	s_or_b64 s[0:1], s[2:3], s[0:1]
	v_mov_b32_dpp v7, v6 row_bcast:31 row_mask:0xf bank_mask:0xf
	v_add_f32_e32 v7, v6, v7
	v_cndmask_b32_e64 v6, v6, v7, s[8:9]
	v_cndmask_b32_e64 v3, v3, v6, s[0:1]
	v_add_u32_e32 v6, -1, v5
	v_and_b32_e32 v7, 64, v5
	v_cmp_lt_i32_e64 s[0:1], v6, v7
	v_cndmask_b32_e64 v5, v6, v5, s[0:1]
	v_lshlrev_b32_e32 v5, 2, v5
	ds_bpermute_b32 v3, v5, v3
	v_cmp_eq_u32_e64 s[0:1], 0, v0
	s_waitcnt lgkmcnt(0)
	v_add_f32_e32 v2, v2, v3
	v_cndmask_b32_e64 v2, v2, v12, s[0:1]
	ds_write_b32 v4, v2
	; wave barrier
	ds_read_b32 v3, v4 offset:4
	s_waitcnt lgkmcnt(0)
	v_add_f32_e32 v2, v2, v3
	ds_write_b32 v4, v2 offset:4
.LBB4396_35:
	s_or_b64 exec, exec, s[10:11]
	v_cmp_eq_u32_e64 s[0:1], 0, v0
	v_cmp_ne_u32_e64 s[2:3], 0, v0
	s_waitcnt lgkmcnt(0)
	s_barrier
	s_and_saveexec_b64 s[8:9], s[2:3]
	s_cbranch_execz .LBB4396_37
; %bb.36:
	v_add_u32_e32 v2, -1, v0
	v_lshrrev_b32_e32 v3, 5, v2
	v_add_lshl_u32 v2, v3, v2, 2
	ds_read_b32 v12, v2
.LBB4396_37:
	s_or_b64 exec, exec, s[8:9]
	s_and_saveexec_b64 s[26:27], vcc
	s_cbranch_execz .LBB4396_60
; %bb.38:
	v_mov_b32_e32 v11, 0
	ds_read_b32 v2, v11 offset:520
	v_mbcnt_lo_u32_b32 v3, -1, 0
	v_mbcnt_hi_u32_b32 v5, -1, v3
	s_mov_b32 s11, 0
	v_cmp_eq_u32_e64 s[2:3], 0, v5
	s_and_saveexec_b64 s[8:9], s[2:3]
	s_cbranch_execz .LBB4396_40
; %bb.39:
	s_add_i32 s10, s6, 64
	s_lshl_b64 s[10:11], s[10:11], 3
	s_add_u32 s10, s24, s10
	v_mov_b32_e32 v3, 1
	s_addc_u32 s11, s25, s11
	s_waitcnt lgkmcnt(0)
	global_store_dwordx2 v11, v[2:3], s[10:11]
.LBB4396_40:
	s_or_b64 exec, exec, s[8:9]
	v_xad_u32 v4, v5, -1, s6
	v_add_u32_e32 v10, 64, v4
	v_lshlrev_b64 v[6:7], 3, v[10:11]
	v_mov_b32_e32 v3, s25
	v_add_co_u32_e32 v6, vcc, s24, v6
	v_addc_co_u32_e32 v7, vcc, v3, v7, vcc
	global_load_dwordx2 v[8:9], v[6:7], off glc
	s_waitcnt vmcnt(0)
	v_cmp_eq_u16_sdwa s[10:11], v9, v11 src0_sel:BYTE_0 src1_sel:DWORD
	s_and_saveexec_b64 s[8:9], s[10:11]
	s_cbranch_execz .LBB4396_46
; %bb.41:
	s_mov_b32 s12, 1
	s_mov_b64 s[10:11], 0
	v_mov_b32_e32 v3, 0
.LBB4396_42:                            ; =>This Loop Header: Depth=1
                                        ;     Child Loop BB4396_43 Depth 2
	s_max_u32 s13, s12, 1
.LBB4396_43:                            ;   Parent Loop BB4396_42 Depth=1
                                        ; =>  This Inner Loop Header: Depth=2
	s_add_i32 s13, s13, -1
	s_cmp_eq_u32 s13, 0
	s_sleep 1
	s_cbranch_scc0 .LBB4396_43
; %bb.44:                               ;   in Loop: Header=BB4396_42 Depth=1
	global_load_dwordx2 v[8:9], v[6:7], off glc
	s_cmp_lt_u32 s12, 32
	s_cselect_b64 s[14:15], -1, 0
	s_cmp_lg_u64 s[14:15], 0
	s_addc_u32 s12, s12, 0
	s_waitcnt vmcnt(0)
	v_cmp_ne_u16_sdwa s[14:15], v9, v3 src0_sel:BYTE_0 src1_sel:DWORD
	s_or_b64 s[10:11], s[14:15], s[10:11]
	s_andn2_b64 exec, exec, s[10:11]
	s_cbranch_execnz .LBB4396_42
; %bb.45:
	s_or_b64 exec, exec, s[10:11]
.LBB4396_46:
	s_or_b64 exec, exec, s[8:9]
	v_and_b32_e32 v13, 63, v5
	v_cmp_ne_u32_e32 vcc, 63, v13
	v_addc_co_u32_e32 v14, vcc, 0, v5, vcc
	v_mov_b32_e32 v3, 2
	v_lshlrev_b32_e32 v14, 2, v14
	v_cmp_eq_u16_sdwa s[8:9], v9, v3 src0_sel:BYTE_0 src1_sel:DWORD
	v_lshlrev_b64 v[6:7], v5, -1
	ds_bpermute_b32 v15, v14, v8
	v_and_b32_e32 v10, s9, v7
	v_or_b32_e32 v10, 0x80000000, v10
	v_and_b32_e32 v11, s8, v6
	v_ffbl_b32_e32 v10, v10
	v_add_u32_e32 v10, 32, v10
	v_ffbl_b32_e32 v11, v11
	v_cmp_gt_u32_e64 s[8:9], 62, v13
	v_min_u32_e32 v10, v11, v10
	s_waitcnt lgkmcnt(0)
	v_add_f32_e32 v11, v8, v15
	v_cndmask_b32_e64 v15, 0, 1, s[8:9]
	v_cmp_lt_u32_e32 vcc, v13, v10
	v_lshlrev_b32_e32 v15, 1, v15
	v_cndmask_b32_e32 v11, v8, v11, vcc
	v_add_lshl_u32 v15, v15, v5, 2
	ds_bpermute_b32 v17, v15, v11
	v_add_u32_e32 v16, 2, v13
	v_cmp_gt_u32_e64 s[8:9], v16, v10
	v_cmp_gt_u32_e64 s[10:11], 56, v13
	v_add_u32_e32 v36, 4, v13
	s_waitcnt lgkmcnt(0)
	v_add_f32_e32 v17, v11, v17
	v_cndmask_b32_e64 v11, v17, v11, s[8:9]
	v_cmp_gt_u32_e64 s[8:9], 60, v13
	v_cndmask_b32_e64 v17, 0, 1, s[8:9]
	v_lshlrev_b32_e32 v17, 2, v17
	v_add_lshl_u32 v17, v17, v5, 2
	ds_bpermute_b32 v37, v17, v11
	v_cmp_gt_u32_e64 s[8:9], v36, v10
	v_add_u32_e32 v38, 8, v13
	v_cmp_gt_u32_e64 s[12:13], 48, v13
	v_cmp_gt_u32_e64 s[14:15], 32, v13
	s_waitcnt lgkmcnt(0)
	v_add_f32_e32 v41, v11, v37
	v_cndmask_b32_e64 v37, 0, 1, s[10:11]
	v_lshlrev_b32_e32 v37, 3, v37
	v_cndmask_b32_e64 v39, v41, v11, s[8:9]
	v_add_lshl_u32 v37, v37, v5, 2
	ds_bpermute_b32 v40, v37, v39
	v_cmp_gt_u32_e64 s[10:11], v38, v10
	v_cndmask_b32_e32 v8, v8, v11, vcc
	v_cndmask_b32_e64 v8, v41, v8, s[8:9]
	s_waitcnt lgkmcnt(0)
	v_add_f32_e32 v44, v39, v40
	v_cndmask_b32_e64 v42, v44, v39, s[10:11]
	v_cndmask_b32_e64 v39, 0, 1, s[12:13]
	v_lshlrev_b32_e32 v39, 4, v39
	v_add_lshl_u32 v39, v39, v5, 2
	ds_bpermute_b32 v43, v39, v42
	v_add_u32_e32 v40, 16, v13
	v_cmp_gt_u32_e64 s[12:13], v40, v10
	v_cndmask_b32_e64 v8, v44, v8, s[10:11]
	s_waitcnt lgkmcnt(0)
	v_add_f32_e32 v45, v42, v43
	v_cndmask_b32_e64 v46, v45, v42, s[12:13]
	v_cndmask_b32_e64 v42, 0, 1, s[14:15]
	v_lshlrev_b32_e32 v42, 5, v42
	v_add_lshl_u32 v42, v42, v5, 2
	ds_bpermute_b32 v5, v42, v46
	v_add_u32_e32 v43, 32, v13
	v_cndmask_b32_e64 v8, v45, v8, s[12:13]
	v_cmp_gt_u32_e32 vcc, v43, v10
	s_waitcnt lgkmcnt(0)
	v_add_f32_e32 v5, v46, v5
	v_cndmask_b32_e32 v8, v5, v8, vcc
	v_mov_b32_e32 v5, 0
	s_branch .LBB4396_48
.LBB4396_47:                            ;   in Loop: Header=BB4396_48 Depth=1
	s_or_b64 exec, exec, s[8:9]
	v_cmp_eq_u16_sdwa s[8:9], v9, v3 src0_sel:BYTE_0 src1_sel:DWORD
	v_and_b32_e32 v10, s9, v7
	ds_bpermute_b32 v44, v14, v8
	v_or_b32_e32 v10, 0x80000000, v10
	v_and_b32_e32 v11, s8, v6
	v_ffbl_b32_e32 v10, v10
	v_add_u32_e32 v10, 32, v10
	v_ffbl_b32_e32 v11, v11
	v_min_u32_e32 v10, v11, v10
	s_waitcnt lgkmcnt(0)
	v_add_f32_e32 v11, v8, v44
	v_cmp_lt_u32_e32 vcc, v13, v10
	v_cndmask_b32_e32 v11, v8, v11, vcc
	ds_bpermute_b32 v44, v15, v11
	v_cmp_gt_u32_e64 s[8:9], v16, v10
	v_cmp_gt_u32_e64 s[10:11], v38, v10
	;; [unrolled: 1-line block ×3, first 2 shown]
	v_subrev_u32_e32 v4, 64, v4
	s_waitcnt lgkmcnt(0)
	v_add_f32_e32 v44, v11, v44
	v_cndmask_b32_e64 v11, v44, v11, s[8:9]
	ds_bpermute_b32 v44, v17, v11
	v_cmp_gt_u32_e64 s[8:9], v36, v10
	v_cndmask_b32_e32 v8, v8, v11, vcc
	v_cmp_gt_u32_e32 vcc, v43, v10
	s_waitcnt lgkmcnt(0)
	v_add_f32_e32 v44, v11, v44
	v_cndmask_b32_e64 v45, v44, v11, s[8:9]
	ds_bpermute_b32 v46, v37, v45
	v_cndmask_b32_e64 v8, v44, v8, s[8:9]
	s_waitcnt lgkmcnt(0)
	v_add_f32_e32 v46, v45, v46
	v_cndmask_b32_e64 v45, v46, v45, s[10:11]
	ds_bpermute_b32 v47, v39, v45
	v_cndmask_b32_e64 v8, v46, v8, s[10:11]
	;; [unrolled: 5-line block ×3, first 2 shown]
	s_waitcnt lgkmcnt(0)
	v_add_f32_e32 v11, v45, v48
	v_cndmask_b32_e32 v8, v11, v8, vcc
	v_add_f32_e32 v8, v41, v8
.LBB4396_48:                            ; =>This Loop Header: Depth=1
                                        ;     Child Loop BB4396_51 Depth 2
                                        ;       Child Loop BB4396_52 Depth 3
	v_cmp_ne_u16_sdwa s[8:9], v9, v3 src0_sel:BYTE_0 src1_sel:DWORD
	v_cndmask_b32_e64 v9, 0, 1, s[8:9]
	;;#ASMSTART
	;;#ASMEND
	v_cmp_ne_u32_e32 vcc, 0, v9
	s_cmp_lg_u64 vcc, exec
	v_mov_b32_e32 v41, v8
	s_cbranch_scc1 .LBB4396_55
; %bb.49:                               ;   in Loop: Header=BB4396_48 Depth=1
	v_lshlrev_b64 v[8:9], 3, v[4:5]
	v_mov_b32_e32 v11, s25
	v_add_co_u32_e32 v10, vcc, s24, v8
	v_addc_co_u32_e32 v11, vcc, v11, v9, vcc
	global_load_dwordx2 v[8:9], v[10:11], off glc
	s_waitcnt vmcnt(0)
	v_cmp_eq_u16_sdwa s[10:11], v9, v5 src0_sel:BYTE_0 src1_sel:DWORD
	s_and_saveexec_b64 s[8:9], s[10:11]
	s_cbranch_execz .LBB4396_47
; %bb.50:                               ;   in Loop: Header=BB4396_48 Depth=1
	s_mov_b32 s12, 1
	s_mov_b64 s[10:11], 0
.LBB4396_51:                            ;   Parent Loop BB4396_48 Depth=1
                                        ; =>  This Loop Header: Depth=2
                                        ;       Child Loop BB4396_52 Depth 3
	s_max_u32 s13, s12, 1
.LBB4396_52:                            ;   Parent Loop BB4396_48 Depth=1
                                        ;     Parent Loop BB4396_51 Depth=2
                                        ; =>    This Inner Loop Header: Depth=3
	s_add_i32 s13, s13, -1
	s_cmp_eq_u32 s13, 0
	s_sleep 1
	s_cbranch_scc0 .LBB4396_52
; %bb.53:                               ;   in Loop: Header=BB4396_51 Depth=2
	global_load_dwordx2 v[8:9], v[10:11], off glc
	s_cmp_lt_u32 s12, 32
	s_cselect_b64 s[14:15], -1, 0
	s_cmp_lg_u64 s[14:15], 0
	s_addc_u32 s12, s12, 0
	s_waitcnt vmcnt(0)
	v_cmp_ne_u16_sdwa s[14:15], v9, v5 src0_sel:BYTE_0 src1_sel:DWORD
	s_or_b64 s[10:11], s[14:15], s[10:11]
	s_andn2_b64 exec, exec, s[10:11]
	s_cbranch_execnz .LBB4396_51
; %bb.54:                               ;   in Loop: Header=BB4396_48 Depth=1
	s_or_b64 exec, exec, s[10:11]
	s_branch .LBB4396_47
.LBB4396_55:                            ;   in Loop: Header=BB4396_48 Depth=1
                                        ; implicit-def: $vgpr8
                                        ; implicit-def: $vgpr9
	s_cbranch_execz .LBB4396_48
; %bb.56:
	s_and_saveexec_b64 s[8:9], s[2:3]
	s_cbranch_execz .LBB4396_58
; %bb.57:
	s_add_i32 s2, s6, 64
	s_mov_b32 s3, 0
	s_lshl_b64 s[2:3], s[2:3], 3
	s_add_u32 s2, s24, s2
	v_add_f32_e32 v2, v2, v41
	v_mov_b32_e32 v3, 2
	s_addc_u32 s3, s25, s3
	v_mov_b32_e32 v4, 0
	global_store_dwordx2 v4, v[2:3], s[2:3]
.LBB4396_58:
	s_or_b64 exec, exec, s[8:9]
	s_and_b64 exec, exec, s[0:1]
	s_cbranch_execz .LBB4396_60
; %bb.59:
	v_mov_b32_e32 v2, 0
	ds_write_b32 v2, v41
.LBB4396_60:
	s_or_b64 exec, exec, s[26:27]
	v_mov_b32_e32 v2, 0
	s_waitcnt lgkmcnt(0)
	s_barrier
	ds_read_b32 v2, v2
	s_waitcnt lgkmcnt(0)
	v_add_f32_e32 v3, v12, v2
	v_cndmask_b32_e64 v2, v3, v2, s[0:1]
	v_add_f32_e32 v3, v26, v2
	v_add_f32_e32 v4, v27, v3
	;; [unrolled: 1-line block ×13, first 2 shown]
	s_load_dwordx8 s[8:15], s[4:5], 0x38
	s_branch .LBB4396_71
.LBB4396_61:
                                        ; implicit-def: $vgpr2_vgpr3_vgpr4_vgpr5_vgpr6_vgpr7_vgpr8_vgpr9_vgpr10_vgpr11_vgpr12_vgpr13_vgpr14_vgpr15_vgpr16_vgpr17
	s_load_dwordx8 s[8:15], s[4:5], 0x38
	s_cbranch_execz .LBB4396_71
; %bb.62:
	s_load_dword s0, s[4:5], 0x20
	s_waitcnt lgkmcnt(0)
	s_cmp_eq_u64 s[12:13], 0
	v_mov_b32_e32 v16, s0
	s_cbranch_scc1 .LBB4396_64
; %bb.63:
	v_mov_b32_e32 v3, s30
	v_add_co_u32_e64 v2, vcc, -4, s29
	v_addc_co_u32_e32 v3, vcc, -1, v3, vcc
	v_mov_b32_e32 v4, 0
	flat_load_dword v5, v[2:3]
	global_load_dword v6, v4, s[8:9]
	s_waitcnt vmcnt(0) lgkmcnt(0)
	v_add_f32_e32 v16, v5, v6
.LBB4396_64:
	v_add_f32_e32 v2, v28, v35
	v_add_f32_e32 v2, v29, v2
	;; [unrolled: 1-line block ×12, first 2 shown]
	v_add_lshl_u32 v1, v1, v0, 2
	v_cmp_gt_u32_e32 vcc, 64, v0
	ds_write_b32 v1, v2
	s_waitcnt lgkmcnt(0)
	s_barrier
	s_and_saveexec_b64 s[4:5], vcc
	s_cbranch_execz .LBB4396_66
; %bb.65:
	v_lshlrev_b32_e32 v1, 1, v0
	v_lshrrev_b32_e32 v3, 4, v0
	v_add_lshl_u32 v1, v3, v1, 2
	ds_read2_b32 v[4:5], v1 offset1:1
	v_mbcnt_lo_u32_b32 v3, -1, 0
	v_mbcnt_hi_u32_b32 v3, -1, v3
	v_and_b32_e32 v6, 15, v3
	v_cmp_eq_u32_e32 vcc, 0, v6
	s_waitcnt lgkmcnt(0)
	v_add_f32_e32 v5, v4, v5
	v_cmp_lt_u32_e64 s[0:1], 3, v6
	v_cmp_lt_u32_e64 s[2:3], 31, v3
	v_mov_b32_dpp v7, v5 row_shr:1 row_mask:0xf bank_mask:0xf
	v_add_f32_e32 v7, v5, v7
	v_cndmask_b32_e32 v5, v7, v5, vcc
	v_cmp_lt_u32_e32 vcc, 1, v6
	s_nop 0
	v_mov_b32_dpp v7, v5 row_shr:2 row_mask:0xf bank_mask:0xf
	v_add_f32_e32 v7, v5, v7
	v_cndmask_b32_e32 v7, v5, v7, vcc
	; wave barrier
	s_nop 1
	v_mov_b32_dpp v8, v7 row_shr:4 row_mask:0xf bank_mask:0xf
	v_add_f32_e32 v8, v7, v8
	v_cndmask_b32_e64 v7, v7, v8, s[0:1]
	v_cmp_lt_u32_e64 s[0:1], 7, v6
	s_nop 0
	v_mov_b32_dpp v8, v7 row_shr:8 row_mask:0xf bank_mask:0xf
	v_add_f32_e32 v8, v7, v8
	v_cndmask_b32_e64 v6, v7, v8, s[0:1]
	v_and_b32_e32 v8, 16, v3
	v_cmp_eq_u32_e64 s[0:1], 0, v8
	v_mov_b32_dpp v7, v6 row_bcast:15 row_mask:0xf bank_mask:0xf
	v_add_f32_e32 v7, v6, v7
	v_cndmask_b32_e64 v6, v7, v6, s[0:1]
	v_cmp_lt_u32_e64 s[0:1], 15, v3
	s_or_b64 vcc, s[0:1], vcc
	v_mov_b32_dpp v7, v6 row_bcast:31 row_mask:0xf bank_mask:0xf
	v_add_f32_e32 v7, v6, v7
	v_cndmask_b32_e64 v6, v6, v7, s[2:3]
	v_cndmask_b32_e32 v5, v5, v6, vcc
	v_add_u32_e32 v6, -1, v3
	v_and_b32_e32 v7, 64, v3
	v_cmp_lt_i32_e32 vcc, v6, v7
	v_cndmask_b32_e32 v3, v6, v3, vcc
	v_lshlrev_b32_e32 v3, 2, v3
	ds_bpermute_b32 v3, v3, v5
	v_cmp_eq_u32_e32 vcc, 0, v0
	s_waitcnt lgkmcnt(0)
	v_add_f32_e32 v3, v4, v3
	v_cndmask_b32_e32 v2, v3, v2, vcc
	ds_write_b32 v1, v2
	; wave barrier
	ds_read_b32 v3, v1 offset:4
	s_waitcnt lgkmcnt(0)
	v_add_f32_e32 v2, v2, v3
	ds_write_b32 v1, v2 offset:4
.LBB4396_66:
	s_or_b64 exec, exec, s[4:5]
	v_cmp_eq_u32_e32 vcc, 0, v0
	v_cmp_ne_u32_e64 s[0:1], 0, v0
	v_mov_b32_e32 v2, v16
	s_waitcnt lgkmcnt(0)
	s_barrier
	s_and_saveexec_b64 s[2:3], s[0:1]
	s_cbranch_execz .LBB4396_68
; %bb.67:
	v_add_u32_e32 v1, -1, v0
	v_lshrrev_b32_e32 v2, 5, v1
	v_add_lshl_u32 v1, v2, v1, 2
	ds_read_b32 v1, v1
	s_waitcnt lgkmcnt(0)
	v_add_f32_e32 v2, v16, v1
.LBB4396_68:
	s_or_b64 exec, exec, s[2:3]
	v_add_f32_e32 v3, v26, v2
	v_add_f32_e32 v4, v27, v3
	;; [unrolled: 1-line block ×13, first 2 shown]
	s_and_saveexec_b64 s[0:1], vcc
	s_cbranch_execz .LBB4396_70
; %bb.69:
	v_mov_b32_e32 v1, 0
	ds_read_b32 v17, v1 offset:520
	s_waitcnt lgkmcnt(0)
	v_add_f32_e32 v16, v16, v17
	v_mov_b32_e32 v17, 2
	global_store_dwordx2 v1, v[16:17], s[24:25] offset:512
.LBB4396_70:
	s_or_b64 exec, exec, s[0:1]
.LBB4396_71:
	s_add_u32 s0, s16, s20
	s_addc_u32 s1, s17, s21
	s_add_u32 s2, s0, s22
	s_addc_u32 s3, s1, s23
	s_mov_b64 s[0:1], -1
	s_and_b64 vcc, exec, s[18:19]
	s_waitcnt lgkmcnt(0)
	s_barrier
	s_cbranch_vccz .LBB4396_73
; %bb.72:
	ds_write2_b64 v34, v[2:3], v[4:5] offset1:1
	ds_write2_b64 v34, v[6:7], v[8:9] offset0:2 offset1:3
	ds_write2_b64 v34, v[10:11], v[12:13] offset0:4 offset1:5
	ds_write_b64 v34, v[14:15] offset:48
	s_waitcnt lgkmcnt(0)
	s_barrier
	ds_read2st64_b32 v[16:17], v32 offset1:2
	ds_read2st64_b32 v[18:19], v32 offset0:4 offset1:6
	ds_read2st64_b32 v[20:21], v32 offset0:8 offset1:10
	ds_read2st64_b32 v[22:23], v32 offset0:12 offset1:14
	ds_read2st64_b32 v[24:25], v32 offset0:16 offset1:18
	ds_read2st64_b32 v[26:27], v32 offset0:20 offset1:22
	ds_read2st64_b32 v[28:29], v32 offset0:24 offset1:26
	v_mov_b32_e32 v1, s3
	v_add_co_u32_e32 v30, vcc, s2, v32
	v_addc_co_u32_e32 v31, vcc, 0, v1, vcc
	s_waitcnt lgkmcnt(6)
	flat_store_dword v[30:31], v16
	flat_store_dword v[30:31], v17 offset:512
	s_waitcnt lgkmcnt(0)
	flat_store_dword v[30:31], v18 offset:1024
	flat_store_dword v[30:31], v19 offset:1536
	;; [unrolled: 1-line block ×6, first 2 shown]
	v_add_co_u32_e32 v16, vcc, 0x1000, v30
	v_addc_co_u32_e32 v17, vcc, 0, v31, vcc
	flat_store_dword v[16:17], v24
	flat_store_dword v[16:17], v25 offset:512
	flat_store_dword v[16:17], v26 offset:1024
	flat_store_dword v[16:17], v27 offset:1536
	flat_store_dword v[16:17], v28 offset:2048
	flat_store_dword v[16:17], v29 offset:2560
	s_mov_b64 s[0:1], 0
.LBB4396_73:
	s_andn2_b64 vcc, exec, s[0:1]
	s_cbranch_vccnz .LBB4396_153
; %bb.74:
	s_movk_i32 s0, 0xffcc
	ds_write2_b64 v34, v[2:3], v[4:5] offset1:1
	ds_write2_b64 v34, v[6:7], v[8:9] offset0:2 offset1:3
	ds_write2_b64 v34, v[10:11], v[12:13] offset0:4 offset1:5
	ds_write_b64 v34, v[14:15] offset:48
	v_mad_i32_i24 v14, v0, s0, v34
	s_waitcnt lgkmcnt(0)
	s_barrier
	ds_read2st64_b32 v[4:5], v14 offset1:2
	ds_read2st64_b32 v[6:7], v14 offset0:4 offset1:6
	ds_read2st64_b32 v[8:9], v14 offset0:8 offset1:10
	;; [unrolled: 1-line block ×6, first 2 shown]
	v_mov_b32_e32 v17, s3
	v_add_co_u32_e32 v16, vcc, s2, v32
	v_addc_co_u32_e32 v17, vcc, 0, v17, vcc
	v_mov_b32_e32 v1, 0
	v_cmp_gt_u32_e32 vcc, s7, v0
	s_and_saveexec_b64 s[0:1], vcc
	s_cbranch_execz .LBB4396_76
; %bb.75:
	s_waitcnt lgkmcnt(0)
	flat_store_dword v[16:17], v4
.LBB4396_76:
	s_or_b64 exec, exec, s[0:1]
	v_or_b32_e32 v18, 0x80, v0
	v_cmp_gt_u32_e32 vcc, s7, v18
	s_and_saveexec_b64 s[0:1], vcc
	s_cbranch_execz .LBB4396_78
; %bb.77:
	s_waitcnt lgkmcnt(0)
	flat_store_dword v[16:17], v5 offset:512
.LBB4396_78:
	s_or_b64 exec, exec, s[0:1]
	v_or_b32_e32 v18, 0x100, v0
	v_cmp_gt_u32_e32 vcc, s7, v18
	s_and_saveexec_b64 s[0:1], vcc
	s_cbranch_execz .LBB4396_80
; %bb.79:
	s_waitcnt lgkmcnt(0)
	flat_store_dword v[16:17], v6 offset:1024
.LBB4396_80:
	;; [unrolled: 9-line block ×7, first 2 shown]
	s_or_b64 exec, exec, s[0:1]
	v_or_b32_e32 v18, 0x400, v0
	v_cmp_gt_u32_e32 vcc, s7, v18
	s_and_saveexec_b64 s[0:1], vcc
	s_cbranch_execz .LBB4396_92
; %bb.91:
	v_add_co_u32_e32 v18, vcc, 0x1000, v16
	v_addc_co_u32_e32 v19, vcc, 0, v17, vcc
	s_waitcnt lgkmcnt(0)
	flat_store_dword v[18:19], v12
.LBB4396_92:
	s_or_b64 exec, exec, s[0:1]
	v_or_b32_e32 v18, 0x480, v0
	v_cmp_gt_u32_e32 vcc, s7, v18
	s_and_saveexec_b64 s[0:1], vcc
	s_cbranch_execz .LBB4396_94
; %bb.93:
	v_add_co_u32_e32 v18, vcc, 0x1000, v16
	v_addc_co_u32_e32 v19, vcc, 0, v17, vcc
	s_waitcnt lgkmcnt(0)
	flat_store_dword v[18:19], v13 offset:512
.LBB4396_94:
	s_or_b64 exec, exec, s[0:1]
	v_or_b32_e32 v18, 0x500, v0
	v_cmp_gt_u32_e32 vcc, s7, v18
	s_and_saveexec_b64 s[0:1], vcc
	s_cbranch_execz .LBB4396_96
; %bb.95:
	v_add_co_u32_e32 v18, vcc, 0x1000, v16
	v_addc_co_u32_e32 v19, vcc, 0, v17, vcc
	s_waitcnt lgkmcnt(0)
	flat_store_dword v[18:19], v10 offset:1024
.LBB4396_96:
	;; [unrolled: 11-line block ×5, first 2 shown]
	s_or_b64 exec, exec, s[0:1]
	v_cmp_lt_u64_e64 s[0:1], s[14:15], 2
	s_and_b64 vcc, exec, s[0:1]
	s_cbranch_vccnz .LBB4396_153
; %bb.103:
	s_add_u32 s0, s7, -1
	s_addc_u32 s1, s28, -1
	s_add_u32 s2, 0, 0x49240800
	s_addc_u32 s3, 0, 50
	s_add_i32 s3, s3, 0x12492460
	s_mul_hi_u32 s7, s2, -14
	s_sub_i32 s7, s7, s2
	s_mul_i32 s8, s3, -14
	s_mul_i32 s4, s2, -14
	s_add_i32 s7, s7, s8
	s_mul_hi_u32 s5, s3, s4
	s_mul_i32 s6, s3, s4
	s_mul_i32 s9, s2, s7
	s_mul_hi_u32 s4, s2, s4
	s_mul_hi_u32 s8, s2, s7
	s_add_u32 s4, s4, s9
	s_addc_u32 s8, 0, s8
	s_add_u32 s4, s4, s6
	s_mul_hi_u32 s9, s3, s7
	s_addc_u32 s4, s8, s5
	s_addc_u32 s5, s9, 0
	s_mul_i32 s6, s3, s7
	s_add_u32 s4, s4, s6
	v_mov_b32_e32 v16, s4
	s_addc_u32 s5, 0, s5
	v_add_co_u32_e32 v16, vcc, s2, v16
	s_cmp_lg_u64 vcc, 0
	s_addc_u32 s2, s3, s5
	v_readfirstlane_b32 s5, v16
	s_mul_i32 s4, s0, s2
	s_mul_hi_u32 s6, s0, s5
	s_mul_hi_u32 s3, s0, s2
	s_add_u32 s4, s6, s4
	s_addc_u32 s3, 0, s3
	s_mul_hi_u32 s7, s1, s5
	s_mul_i32 s5, s1, s5
	s_add_u32 s4, s4, s5
	s_mul_hi_u32 s6, s1, s2
	s_addc_u32 s3, s3, s7
	s_addc_u32 s4, s6, 0
	s_mul_i32 s2, s1, s2
	s_add_u32 s2, s3, s2
	s_addc_u32 s3, 0, s4
	s_add_u32 s4, s2, 1
	s_addc_u32 s5, s3, 0
	s_add_u32 s6, s2, 2
	s_mul_i32 s8, s3, 14
	s_mul_hi_u32 s9, s2, 14
	s_addc_u32 s7, s3, 0
	s_add_i32 s9, s9, s8
	s_mul_i32 s8, s2, 14
	v_mov_b32_e32 v16, s8
	v_sub_co_u32_e32 v16, vcc, s0, v16
	s_cmp_lg_u64 vcc, 0
	s_subb_u32 s8, s1, s9
	v_subrev_co_u32_e32 v17, vcc, 14, v16
	s_cmp_lg_u64 vcc, 0
	s_subb_u32 s9, s8, 0
	v_readfirstlane_b32 s12, v17
	s_cmp_gt_u32 s12, 13
	s_cselect_b32 s12, -1, 0
	s_cmp_eq_u32 s9, 0
	s_cselect_b32 s9, s12, -1
	s_cmp_lg_u32 s9, 0
	s_cselect_b32 s4, s6, s4
	v_readfirstlane_b32 s6, v16
	s_cselect_b32 s5, s7, s5
	s_cmp_gt_u32 s6, 13
	s_cselect_b32 s6, -1, 0
	s_cmp_eq_u32 s8, 0
	s_cselect_b32 s6, s6, -1
	s_cmp_lg_u32 s6, 0
	s_cselect_b32 s3, s5, s3
	s_cselect_b32 s2, s4, s2
	v_cmp_eq_u64_e32 vcc, s[2:3], v[0:1]
	s_and_saveexec_b64 s[2:3], vcc
	s_cbranch_execz .LBB4396_153
; %bb.104:
	v_mul_hi_u32_u24_e32 v1, 14, v0
	v_mov_b32_e32 v16, s1
	v_sub_co_u32_e32 v0, vcc, s0, v33
	v_subb_co_u32_e32 v1, vcc, v16, v1, vcc
	v_cmp_lt_i64_e32 vcc, 6, v[0:1]
	s_and_saveexec_b64 s[0:1], vcc
	s_xor_b64 s[0:1], exec, s[0:1]
	s_cbranch_execz .LBB4396_130
; %bb.105:
	v_cmp_lt_i64_e32 vcc, 9, v[0:1]
	s_and_saveexec_b64 s[2:3], vcc
	s_xor_b64 s[2:3], exec, s[2:3]
	s_cbranch_execz .LBB4396_119
; %bb.106:
	;; [unrolled: 5-line block ×4, first 2 shown]
	v_mov_b32_e32 v0, 0
	s_waitcnt lgkmcnt(0)
	global_store_dword v0, v15, s[10:11]
                                        ; implicit-def: $vgpr14_vgpr15
.LBB4396_109:
	s_andn2_saveexec_b64 s[6:7], s[6:7]
	s_cbranch_execz .LBB4396_111
; %bb.110:
	v_mov_b32_e32 v0, 0
	s_waitcnt lgkmcnt(0)
	global_store_dword v0, v14, s[10:11]
.LBB4396_111:
	s_or_b64 exec, exec, s[6:7]
                                        ; implicit-def: $vgpr10_vgpr11
                                        ; implicit-def: $vgpr0_vgpr1
.LBB4396_112:
	s_andn2_saveexec_b64 s[4:5], s[4:5]
	s_cbranch_execz .LBB4396_118
; %bb.113:
	v_cmp_lt_i64_e32 vcc, 10, v[0:1]
	s_and_saveexec_b64 s[6:7], vcc
	s_xor_b64 s[6:7], exec, s[6:7]
	s_cbranch_execz .LBB4396_115
; %bb.114:
	v_mov_b32_e32 v0, 0
	s_waitcnt lgkmcnt(0)
	global_store_dword v0, v11, s[10:11]
                                        ; implicit-def: $vgpr10_vgpr11
.LBB4396_115:
	s_andn2_saveexec_b64 s[6:7], s[6:7]
	s_cbranch_execz .LBB4396_117
; %bb.116:
	v_mov_b32_e32 v0, 0
	s_waitcnt lgkmcnt(0)
	global_store_dword v0, v10, s[10:11]
.LBB4396_117:
	s_or_b64 exec, exec, s[6:7]
.LBB4396_118:
	s_or_b64 exec, exec, s[4:5]
                                        ; implicit-def: $vgpr2_vgpr3
                                        ; implicit-def: $vgpr0_vgpr1
                                        ; implicit-def: $vgpr12_vgpr13
.LBB4396_119:
	s_andn2_saveexec_b64 s[2:3], s[2:3]
	s_cbranch_execz .LBB4396_129
; %bb.120:
	v_cmp_lt_i64_e32 vcc, 7, v[0:1]
	s_and_saveexec_b64 s[4:5], vcc
	s_xor_b64 s[4:5], exec, s[4:5]
	s_cbranch_execz .LBB4396_126
; %bb.121:
	v_cmp_lt_i64_e32 vcc, 8, v[0:1]
	s_and_saveexec_b64 s[6:7], vcc
	s_xor_b64 s[6:7], exec, s[6:7]
	s_cbranch_execz .LBB4396_123
; %bb.122:
	v_mov_b32_e32 v0, 0
	s_waitcnt lgkmcnt(0)
	global_store_dword v0, v13, s[10:11]
                                        ; implicit-def: $vgpr12_vgpr13
.LBB4396_123:
	s_andn2_saveexec_b64 s[6:7], s[6:7]
	s_cbranch_execz .LBB4396_125
; %bb.124:
	v_mov_b32_e32 v0, 0
	s_waitcnt lgkmcnt(0)
	global_store_dword v0, v12, s[10:11]
.LBB4396_125:
	s_or_b64 exec, exec, s[6:7]
                                        ; implicit-def: $vgpr2_vgpr3
.LBB4396_126:
	s_andn2_saveexec_b64 s[4:5], s[4:5]
	s_cbranch_execz .LBB4396_128
; %bb.127:
	v_mov_b32_e32 v0, 0
	s_waitcnt lgkmcnt(0)
	global_store_dword v0, v3, s[10:11]
.LBB4396_128:
	s_or_b64 exec, exec, s[4:5]
.LBB4396_129:
	s_or_b64 exec, exec, s[2:3]
                                        ; implicit-def: $vgpr0_vgpr1
                                        ; implicit-def: $vgpr8_vgpr9
                                        ; implicit-def: $vgpr4_vgpr5
                                        ; implicit-def: $vgpr6_vgpr7
                                        ; implicit-def: $vgpr2_vgpr3
.LBB4396_130:
	s_andn2_saveexec_b64 s[0:1], s[0:1]
	s_cbranch_execz .LBB4396_153
; %bb.131:
	v_cmp_lt_i64_e32 vcc, 3, v[0:1]
	s_and_saveexec_b64 s[0:1], vcc
	s_xor_b64 s[0:1], exec, s[0:1]
	s_cbranch_execz .LBB4396_141
; %bb.132:
	v_cmp_lt_i64_e32 vcc, 4, v[0:1]
	s_and_saveexec_b64 s[2:3], vcc
	s_xor_b64 s[2:3], exec, s[2:3]
	;; [unrolled: 5-line block ×3, first 2 shown]
	s_cbranch_execz .LBB4396_135
; %bb.134:
	v_mov_b32_e32 v0, 0
	s_waitcnt lgkmcnt(0)
	global_store_dword v0, v2, s[10:11]
                                        ; implicit-def: $vgpr8_vgpr9
.LBB4396_135:
	s_andn2_saveexec_b64 s[4:5], s[4:5]
	s_cbranch_execz .LBB4396_137
; %bb.136:
	v_mov_b32_e32 v0, 0
	s_waitcnt lgkmcnt(0)
	global_store_dword v0, v9, s[10:11]
.LBB4396_137:
	s_or_b64 exec, exec, s[4:5]
                                        ; implicit-def: $vgpr8_vgpr9
.LBB4396_138:
	s_andn2_saveexec_b64 s[2:3], s[2:3]
	s_cbranch_execz .LBB4396_140
; %bb.139:
	v_mov_b32_e32 v0, 0
	s_waitcnt lgkmcnt(0)
	global_store_dword v0, v8, s[10:11]
.LBB4396_140:
	s_or_b64 exec, exec, s[2:3]
                                        ; implicit-def: $vgpr0_vgpr1
                                        ; implicit-def: $vgpr4_vgpr5
                                        ; implicit-def: $vgpr6_vgpr7
.LBB4396_141:
	s_andn2_saveexec_b64 s[0:1], s[0:1]
	s_cbranch_execz .LBB4396_153
; %bb.142:
	v_cmp_lt_i64_e32 vcc, 1, v[0:1]
	s_and_saveexec_b64 s[0:1], vcc
	s_xor_b64 s[0:1], exec, s[0:1]
	s_cbranch_execz .LBB4396_148
; %bb.143:
	v_cmp_lt_i64_e32 vcc, 2, v[0:1]
	s_and_saveexec_b64 s[2:3], vcc
	s_xor_b64 s[2:3], exec, s[2:3]
	s_cbranch_execz .LBB4396_145
; %bb.144:
	v_mov_b32_e32 v0, 0
	s_waitcnt lgkmcnt(0)
	global_store_dword v0, v7, s[10:11]
                                        ; implicit-def: $vgpr6_vgpr7
.LBB4396_145:
	s_andn2_saveexec_b64 s[2:3], s[2:3]
	s_cbranch_execz .LBB4396_147
; %bb.146:
	v_mov_b32_e32 v0, 0
	s_waitcnt lgkmcnt(0)
	global_store_dword v0, v6, s[10:11]
.LBB4396_147:
	s_or_b64 exec, exec, s[2:3]
                                        ; implicit-def: $vgpr4_vgpr5
                                        ; implicit-def: $vgpr0_vgpr1
.LBB4396_148:
	s_andn2_saveexec_b64 s[0:1], s[0:1]
	s_cbranch_execz .LBB4396_153
; %bb.149:
	v_cmp_ne_u64_e32 vcc, 1, v[0:1]
	s_and_saveexec_b64 s[0:1], vcc
	s_xor_b64 s[0:1], exec, s[0:1]
	s_cbranch_execz .LBB4396_151
; %bb.150:
	v_mov_b32_e32 v0, 0
	s_waitcnt lgkmcnt(0)
	global_store_dword v0, v4, s[10:11]
                                        ; implicit-def: $vgpr4_vgpr5
.LBB4396_151:
	s_andn2_saveexec_b64 s[0:1], s[0:1]
	s_cbranch_execz .LBB4396_153
; %bb.152:
	v_mov_b32_e32 v0, 0
	s_waitcnt lgkmcnt(0)
	global_store_dword v0, v5, s[10:11]
.LBB4396_153:
	s_endpgm
	.section	.rodata,"a",@progbits
	.p2align	6, 0x0
	.amdhsa_kernel _ZN7rocprim17ROCPRIM_400000_NS6detail17trampoline_kernelINS0_14default_configENS1_20scan_config_selectorIfEEZZNS1_9scan_implILNS1_25lookback_scan_determinismE0ELb1ELb1ES3_N6thrust23THRUST_200600_302600_NS6detail15normal_iteratorINS9_10device_ptrIfEEEESE_fNS9_4plusIvEEfEEDaPvRmT3_T4_T5_mT6_P12ihipStream_tbENKUlT_T0_E_clISt17integral_constantIbLb1EEST_IbLb0EEEEDaSP_SQ_EUlSP_E_NS1_11comp_targetILNS1_3genE4ELNS1_11target_archE910ELNS1_3gpuE8ELNS1_3repE0EEENS1_30default_config_static_selectorELNS0_4arch9wavefront6targetE1EEEvT1_
		.amdhsa_group_segment_fixed_size 7168
		.amdhsa_private_segment_fixed_size 0
		.amdhsa_kernarg_size 96
		.amdhsa_user_sgpr_count 6
		.amdhsa_user_sgpr_private_segment_buffer 1
		.amdhsa_user_sgpr_dispatch_ptr 0
		.amdhsa_user_sgpr_queue_ptr 0
		.amdhsa_user_sgpr_kernarg_segment_ptr 1
		.amdhsa_user_sgpr_dispatch_id 0
		.amdhsa_user_sgpr_flat_scratch_init 0
		.amdhsa_user_sgpr_kernarg_preload_length 0
		.amdhsa_user_sgpr_kernarg_preload_offset 0
		.amdhsa_user_sgpr_private_segment_size 0
		.amdhsa_uses_dynamic_stack 0
		.amdhsa_system_sgpr_private_segment_wavefront_offset 0
		.amdhsa_system_sgpr_workgroup_id_x 1
		.amdhsa_system_sgpr_workgroup_id_y 0
		.amdhsa_system_sgpr_workgroup_id_z 0
		.amdhsa_system_sgpr_workgroup_info 0
		.amdhsa_system_vgpr_workitem_id 0
		.amdhsa_next_free_vgpr 49
		.amdhsa_next_free_sgpr 31
		.amdhsa_accum_offset 52
		.amdhsa_reserve_vcc 1
		.amdhsa_reserve_flat_scratch 0
		.amdhsa_float_round_mode_32 0
		.amdhsa_float_round_mode_16_64 0
		.amdhsa_float_denorm_mode_32 3
		.amdhsa_float_denorm_mode_16_64 3
		.amdhsa_dx10_clamp 1
		.amdhsa_ieee_mode 1
		.amdhsa_fp16_overflow 0
		.amdhsa_tg_split 0
		.amdhsa_exception_fp_ieee_invalid_op 0
		.amdhsa_exception_fp_denorm_src 0
		.amdhsa_exception_fp_ieee_div_zero 0
		.amdhsa_exception_fp_ieee_overflow 0
		.amdhsa_exception_fp_ieee_underflow 0
		.amdhsa_exception_fp_ieee_inexact 0
		.amdhsa_exception_int_div_zero 0
	.end_amdhsa_kernel
	.section	.text._ZN7rocprim17ROCPRIM_400000_NS6detail17trampoline_kernelINS0_14default_configENS1_20scan_config_selectorIfEEZZNS1_9scan_implILNS1_25lookback_scan_determinismE0ELb1ELb1ES3_N6thrust23THRUST_200600_302600_NS6detail15normal_iteratorINS9_10device_ptrIfEEEESE_fNS9_4plusIvEEfEEDaPvRmT3_T4_T5_mT6_P12ihipStream_tbENKUlT_T0_E_clISt17integral_constantIbLb1EEST_IbLb0EEEEDaSP_SQ_EUlSP_E_NS1_11comp_targetILNS1_3genE4ELNS1_11target_archE910ELNS1_3gpuE8ELNS1_3repE0EEENS1_30default_config_static_selectorELNS0_4arch9wavefront6targetE1EEEvT1_,"axG",@progbits,_ZN7rocprim17ROCPRIM_400000_NS6detail17trampoline_kernelINS0_14default_configENS1_20scan_config_selectorIfEEZZNS1_9scan_implILNS1_25lookback_scan_determinismE0ELb1ELb1ES3_N6thrust23THRUST_200600_302600_NS6detail15normal_iteratorINS9_10device_ptrIfEEEESE_fNS9_4plusIvEEfEEDaPvRmT3_T4_T5_mT6_P12ihipStream_tbENKUlT_T0_E_clISt17integral_constantIbLb1EEST_IbLb0EEEEDaSP_SQ_EUlSP_E_NS1_11comp_targetILNS1_3genE4ELNS1_11target_archE910ELNS1_3gpuE8ELNS1_3repE0EEENS1_30default_config_static_selectorELNS0_4arch9wavefront6targetE1EEEvT1_,comdat
.Lfunc_end4396:
	.size	_ZN7rocprim17ROCPRIM_400000_NS6detail17trampoline_kernelINS0_14default_configENS1_20scan_config_selectorIfEEZZNS1_9scan_implILNS1_25lookback_scan_determinismE0ELb1ELb1ES3_N6thrust23THRUST_200600_302600_NS6detail15normal_iteratorINS9_10device_ptrIfEEEESE_fNS9_4plusIvEEfEEDaPvRmT3_T4_T5_mT6_P12ihipStream_tbENKUlT_T0_E_clISt17integral_constantIbLb1EEST_IbLb0EEEEDaSP_SQ_EUlSP_E_NS1_11comp_targetILNS1_3genE4ELNS1_11target_archE910ELNS1_3gpuE8ELNS1_3repE0EEENS1_30default_config_static_selectorELNS0_4arch9wavefront6targetE1EEEvT1_, .Lfunc_end4396-_ZN7rocprim17ROCPRIM_400000_NS6detail17trampoline_kernelINS0_14default_configENS1_20scan_config_selectorIfEEZZNS1_9scan_implILNS1_25lookback_scan_determinismE0ELb1ELb1ES3_N6thrust23THRUST_200600_302600_NS6detail15normal_iteratorINS9_10device_ptrIfEEEESE_fNS9_4plusIvEEfEEDaPvRmT3_T4_T5_mT6_P12ihipStream_tbENKUlT_T0_E_clISt17integral_constantIbLb1EEST_IbLb0EEEEDaSP_SQ_EUlSP_E_NS1_11comp_targetILNS1_3genE4ELNS1_11target_archE910ELNS1_3gpuE8ELNS1_3repE0EEENS1_30default_config_static_selectorELNS0_4arch9wavefront6targetE1EEEvT1_
                                        ; -- End function
	.section	.AMDGPU.csdata,"",@progbits
; Kernel info:
; codeLenInByte = 5676
; NumSgprs: 35
; NumVgprs: 49
; NumAgprs: 0
; TotalNumVgprs: 49
; ScratchSize: 0
; MemoryBound: 0
; FloatMode: 240
; IeeeMode: 1
; LDSByteSize: 7168 bytes/workgroup (compile time only)
; SGPRBlocks: 4
; VGPRBlocks: 6
; NumSGPRsForWavesPerEU: 35
; NumVGPRsForWavesPerEU: 49
; AccumOffset: 52
; Occupancy: 5
; WaveLimiterHint : 1
; COMPUTE_PGM_RSRC2:SCRATCH_EN: 0
; COMPUTE_PGM_RSRC2:USER_SGPR: 6
; COMPUTE_PGM_RSRC2:TRAP_HANDLER: 0
; COMPUTE_PGM_RSRC2:TGID_X_EN: 1
; COMPUTE_PGM_RSRC2:TGID_Y_EN: 0
; COMPUTE_PGM_RSRC2:TGID_Z_EN: 0
; COMPUTE_PGM_RSRC2:TIDIG_COMP_CNT: 0
; COMPUTE_PGM_RSRC3_GFX90A:ACCUM_OFFSET: 12
; COMPUTE_PGM_RSRC3_GFX90A:TG_SPLIT: 0
	.section	.text._ZN7rocprim17ROCPRIM_400000_NS6detail17trampoline_kernelINS0_14default_configENS1_20scan_config_selectorIfEEZZNS1_9scan_implILNS1_25lookback_scan_determinismE0ELb1ELb1ES3_N6thrust23THRUST_200600_302600_NS6detail15normal_iteratorINS9_10device_ptrIfEEEESE_fNS9_4plusIvEEfEEDaPvRmT3_T4_T5_mT6_P12ihipStream_tbENKUlT_T0_E_clISt17integral_constantIbLb1EEST_IbLb0EEEEDaSP_SQ_EUlSP_E_NS1_11comp_targetILNS1_3genE3ELNS1_11target_archE908ELNS1_3gpuE7ELNS1_3repE0EEENS1_30default_config_static_selectorELNS0_4arch9wavefront6targetE1EEEvT1_,"axG",@progbits,_ZN7rocprim17ROCPRIM_400000_NS6detail17trampoline_kernelINS0_14default_configENS1_20scan_config_selectorIfEEZZNS1_9scan_implILNS1_25lookback_scan_determinismE0ELb1ELb1ES3_N6thrust23THRUST_200600_302600_NS6detail15normal_iteratorINS9_10device_ptrIfEEEESE_fNS9_4plusIvEEfEEDaPvRmT3_T4_T5_mT6_P12ihipStream_tbENKUlT_T0_E_clISt17integral_constantIbLb1EEST_IbLb0EEEEDaSP_SQ_EUlSP_E_NS1_11comp_targetILNS1_3genE3ELNS1_11target_archE908ELNS1_3gpuE7ELNS1_3repE0EEENS1_30default_config_static_selectorELNS0_4arch9wavefront6targetE1EEEvT1_,comdat
	.protected	_ZN7rocprim17ROCPRIM_400000_NS6detail17trampoline_kernelINS0_14default_configENS1_20scan_config_selectorIfEEZZNS1_9scan_implILNS1_25lookback_scan_determinismE0ELb1ELb1ES3_N6thrust23THRUST_200600_302600_NS6detail15normal_iteratorINS9_10device_ptrIfEEEESE_fNS9_4plusIvEEfEEDaPvRmT3_T4_T5_mT6_P12ihipStream_tbENKUlT_T0_E_clISt17integral_constantIbLb1EEST_IbLb0EEEEDaSP_SQ_EUlSP_E_NS1_11comp_targetILNS1_3genE3ELNS1_11target_archE908ELNS1_3gpuE7ELNS1_3repE0EEENS1_30default_config_static_selectorELNS0_4arch9wavefront6targetE1EEEvT1_ ; -- Begin function _ZN7rocprim17ROCPRIM_400000_NS6detail17trampoline_kernelINS0_14default_configENS1_20scan_config_selectorIfEEZZNS1_9scan_implILNS1_25lookback_scan_determinismE0ELb1ELb1ES3_N6thrust23THRUST_200600_302600_NS6detail15normal_iteratorINS9_10device_ptrIfEEEESE_fNS9_4plusIvEEfEEDaPvRmT3_T4_T5_mT6_P12ihipStream_tbENKUlT_T0_E_clISt17integral_constantIbLb1EEST_IbLb0EEEEDaSP_SQ_EUlSP_E_NS1_11comp_targetILNS1_3genE3ELNS1_11target_archE908ELNS1_3gpuE7ELNS1_3repE0EEENS1_30default_config_static_selectorELNS0_4arch9wavefront6targetE1EEEvT1_
	.globl	_ZN7rocprim17ROCPRIM_400000_NS6detail17trampoline_kernelINS0_14default_configENS1_20scan_config_selectorIfEEZZNS1_9scan_implILNS1_25lookback_scan_determinismE0ELb1ELb1ES3_N6thrust23THRUST_200600_302600_NS6detail15normal_iteratorINS9_10device_ptrIfEEEESE_fNS9_4plusIvEEfEEDaPvRmT3_T4_T5_mT6_P12ihipStream_tbENKUlT_T0_E_clISt17integral_constantIbLb1EEST_IbLb0EEEEDaSP_SQ_EUlSP_E_NS1_11comp_targetILNS1_3genE3ELNS1_11target_archE908ELNS1_3gpuE7ELNS1_3repE0EEENS1_30default_config_static_selectorELNS0_4arch9wavefront6targetE1EEEvT1_
	.p2align	8
	.type	_ZN7rocprim17ROCPRIM_400000_NS6detail17trampoline_kernelINS0_14default_configENS1_20scan_config_selectorIfEEZZNS1_9scan_implILNS1_25lookback_scan_determinismE0ELb1ELb1ES3_N6thrust23THRUST_200600_302600_NS6detail15normal_iteratorINS9_10device_ptrIfEEEESE_fNS9_4plusIvEEfEEDaPvRmT3_T4_T5_mT6_P12ihipStream_tbENKUlT_T0_E_clISt17integral_constantIbLb1EEST_IbLb0EEEEDaSP_SQ_EUlSP_E_NS1_11comp_targetILNS1_3genE3ELNS1_11target_archE908ELNS1_3gpuE7ELNS1_3repE0EEENS1_30default_config_static_selectorELNS0_4arch9wavefront6targetE1EEEvT1_,@function
_ZN7rocprim17ROCPRIM_400000_NS6detail17trampoline_kernelINS0_14default_configENS1_20scan_config_selectorIfEEZZNS1_9scan_implILNS1_25lookback_scan_determinismE0ELb1ELb1ES3_N6thrust23THRUST_200600_302600_NS6detail15normal_iteratorINS9_10device_ptrIfEEEESE_fNS9_4plusIvEEfEEDaPvRmT3_T4_T5_mT6_P12ihipStream_tbENKUlT_T0_E_clISt17integral_constantIbLb1EEST_IbLb0EEEEDaSP_SQ_EUlSP_E_NS1_11comp_targetILNS1_3genE3ELNS1_11target_archE908ELNS1_3gpuE7ELNS1_3repE0EEENS1_30default_config_static_selectorELNS0_4arch9wavefront6targetE1EEEvT1_: ; @_ZN7rocprim17ROCPRIM_400000_NS6detail17trampoline_kernelINS0_14default_configENS1_20scan_config_selectorIfEEZZNS1_9scan_implILNS1_25lookback_scan_determinismE0ELb1ELb1ES3_N6thrust23THRUST_200600_302600_NS6detail15normal_iteratorINS9_10device_ptrIfEEEESE_fNS9_4plusIvEEfEEDaPvRmT3_T4_T5_mT6_P12ihipStream_tbENKUlT_T0_E_clISt17integral_constantIbLb1EEST_IbLb0EEEEDaSP_SQ_EUlSP_E_NS1_11comp_targetILNS1_3genE3ELNS1_11target_archE908ELNS1_3gpuE7ELNS1_3repE0EEENS1_30default_config_static_selectorELNS0_4arch9wavefront6targetE1EEEvT1_
; %bb.0:
	.section	.rodata,"a",@progbits
	.p2align	6, 0x0
	.amdhsa_kernel _ZN7rocprim17ROCPRIM_400000_NS6detail17trampoline_kernelINS0_14default_configENS1_20scan_config_selectorIfEEZZNS1_9scan_implILNS1_25lookback_scan_determinismE0ELb1ELb1ES3_N6thrust23THRUST_200600_302600_NS6detail15normal_iteratorINS9_10device_ptrIfEEEESE_fNS9_4plusIvEEfEEDaPvRmT3_T4_T5_mT6_P12ihipStream_tbENKUlT_T0_E_clISt17integral_constantIbLb1EEST_IbLb0EEEEDaSP_SQ_EUlSP_E_NS1_11comp_targetILNS1_3genE3ELNS1_11target_archE908ELNS1_3gpuE7ELNS1_3repE0EEENS1_30default_config_static_selectorELNS0_4arch9wavefront6targetE1EEEvT1_
		.amdhsa_group_segment_fixed_size 0
		.amdhsa_private_segment_fixed_size 0
		.amdhsa_kernarg_size 96
		.amdhsa_user_sgpr_count 6
		.amdhsa_user_sgpr_private_segment_buffer 1
		.amdhsa_user_sgpr_dispatch_ptr 0
		.amdhsa_user_sgpr_queue_ptr 0
		.amdhsa_user_sgpr_kernarg_segment_ptr 1
		.amdhsa_user_sgpr_dispatch_id 0
		.amdhsa_user_sgpr_flat_scratch_init 0
		.amdhsa_user_sgpr_kernarg_preload_length 0
		.amdhsa_user_sgpr_kernarg_preload_offset 0
		.amdhsa_user_sgpr_private_segment_size 0
		.amdhsa_uses_dynamic_stack 0
		.amdhsa_system_sgpr_private_segment_wavefront_offset 0
		.amdhsa_system_sgpr_workgroup_id_x 1
		.amdhsa_system_sgpr_workgroup_id_y 0
		.amdhsa_system_sgpr_workgroup_id_z 0
		.amdhsa_system_sgpr_workgroup_info 0
		.amdhsa_system_vgpr_workitem_id 0
		.amdhsa_next_free_vgpr 1
		.amdhsa_next_free_sgpr 0
		.amdhsa_accum_offset 4
		.amdhsa_reserve_vcc 0
		.amdhsa_reserve_flat_scratch 0
		.amdhsa_float_round_mode_32 0
		.amdhsa_float_round_mode_16_64 0
		.amdhsa_float_denorm_mode_32 3
		.amdhsa_float_denorm_mode_16_64 3
		.amdhsa_dx10_clamp 1
		.amdhsa_ieee_mode 1
		.amdhsa_fp16_overflow 0
		.amdhsa_tg_split 0
		.amdhsa_exception_fp_ieee_invalid_op 0
		.amdhsa_exception_fp_denorm_src 0
		.amdhsa_exception_fp_ieee_div_zero 0
		.amdhsa_exception_fp_ieee_overflow 0
		.amdhsa_exception_fp_ieee_underflow 0
		.amdhsa_exception_fp_ieee_inexact 0
		.amdhsa_exception_int_div_zero 0
	.end_amdhsa_kernel
	.section	.text._ZN7rocprim17ROCPRIM_400000_NS6detail17trampoline_kernelINS0_14default_configENS1_20scan_config_selectorIfEEZZNS1_9scan_implILNS1_25lookback_scan_determinismE0ELb1ELb1ES3_N6thrust23THRUST_200600_302600_NS6detail15normal_iteratorINS9_10device_ptrIfEEEESE_fNS9_4plusIvEEfEEDaPvRmT3_T4_T5_mT6_P12ihipStream_tbENKUlT_T0_E_clISt17integral_constantIbLb1EEST_IbLb0EEEEDaSP_SQ_EUlSP_E_NS1_11comp_targetILNS1_3genE3ELNS1_11target_archE908ELNS1_3gpuE7ELNS1_3repE0EEENS1_30default_config_static_selectorELNS0_4arch9wavefront6targetE1EEEvT1_,"axG",@progbits,_ZN7rocprim17ROCPRIM_400000_NS6detail17trampoline_kernelINS0_14default_configENS1_20scan_config_selectorIfEEZZNS1_9scan_implILNS1_25lookback_scan_determinismE0ELb1ELb1ES3_N6thrust23THRUST_200600_302600_NS6detail15normal_iteratorINS9_10device_ptrIfEEEESE_fNS9_4plusIvEEfEEDaPvRmT3_T4_T5_mT6_P12ihipStream_tbENKUlT_T0_E_clISt17integral_constantIbLb1EEST_IbLb0EEEEDaSP_SQ_EUlSP_E_NS1_11comp_targetILNS1_3genE3ELNS1_11target_archE908ELNS1_3gpuE7ELNS1_3repE0EEENS1_30default_config_static_selectorELNS0_4arch9wavefront6targetE1EEEvT1_,comdat
.Lfunc_end4397:
	.size	_ZN7rocprim17ROCPRIM_400000_NS6detail17trampoline_kernelINS0_14default_configENS1_20scan_config_selectorIfEEZZNS1_9scan_implILNS1_25lookback_scan_determinismE0ELb1ELb1ES3_N6thrust23THRUST_200600_302600_NS6detail15normal_iteratorINS9_10device_ptrIfEEEESE_fNS9_4plusIvEEfEEDaPvRmT3_T4_T5_mT6_P12ihipStream_tbENKUlT_T0_E_clISt17integral_constantIbLb1EEST_IbLb0EEEEDaSP_SQ_EUlSP_E_NS1_11comp_targetILNS1_3genE3ELNS1_11target_archE908ELNS1_3gpuE7ELNS1_3repE0EEENS1_30default_config_static_selectorELNS0_4arch9wavefront6targetE1EEEvT1_, .Lfunc_end4397-_ZN7rocprim17ROCPRIM_400000_NS6detail17trampoline_kernelINS0_14default_configENS1_20scan_config_selectorIfEEZZNS1_9scan_implILNS1_25lookback_scan_determinismE0ELb1ELb1ES3_N6thrust23THRUST_200600_302600_NS6detail15normal_iteratorINS9_10device_ptrIfEEEESE_fNS9_4plusIvEEfEEDaPvRmT3_T4_T5_mT6_P12ihipStream_tbENKUlT_T0_E_clISt17integral_constantIbLb1EEST_IbLb0EEEEDaSP_SQ_EUlSP_E_NS1_11comp_targetILNS1_3genE3ELNS1_11target_archE908ELNS1_3gpuE7ELNS1_3repE0EEENS1_30default_config_static_selectorELNS0_4arch9wavefront6targetE1EEEvT1_
                                        ; -- End function
	.section	.AMDGPU.csdata,"",@progbits
; Kernel info:
; codeLenInByte = 0
; NumSgprs: 4
; NumVgprs: 0
; NumAgprs: 0
; TotalNumVgprs: 0
; ScratchSize: 0
; MemoryBound: 0
; FloatMode: 240
; IeeeMode: 1
; LDSByteSize: 0 bytes/workgroup (compile time only)
; SGPRBlocks: 0
; VGPRBlocks: 0
; NumSGPRsForWavesPerEU: 4
; NumVGPRsForWavesPerEU: 1
; AccumOffset: 4
; Occupancy: 8
; WaveLimiterHint : 0
; COMPUTE_PGM_RSRC2:SCRATCH_EN: 0
; COMPUTE_PGM_RSRC2:USER_SGPR: 6
; COMPUTE_PGM_RSRC2:TRAP_HANDLER: 0
; COMPUTE_PGM_RSRC2:TGID_X_EN: 1
; COMPUTE_PGM_RSRC2:TGID_Y_EN: 0
; COMPUTE_PGM_RSRC2:TGID_Z_EN: 0
; COMPUTE_PGM_RSRC2:TIDIG_COMP_CNT: 0
; COMPUTE_PGM_RSRC3_GFX90A:ACCUM_OFFSET: 0
; COMPUTE_PGM_RSRC3_GFX90A:TG_SPLIT: 0
	.section	.text._ZN7rocprim17ROCPRIM_400000_NS6detail17trampoline_kernelINS0_14default_configENS1_20scan_config_selectorIfEEZZNS1_9scan_implILNS1_25lookback_scan_determinismE0ELb1ELb1ES3_N6thrust23THRUST_200600_302600_NS6detail15normal_iteratorINS9_10device_ptrIfEEEESE_fNS9_4plusIvEEfEEDaPvRmT3_T4_T5_mT6_P12ihipStream_tbENKUlT_T0_E_clISt17integral_constantIbLb1EEST_IbLb0EEEEDaSP_SQ_EUlSP_E_NS1_11comp_targetILNS1_3genE2ELNS1_11target_archE906ELNS1_3gpuE6ELNS1_3repE0EEENS1_30default_config_static_selectorELNS0_4arch9wavefront6targetE1EEEvT1_,"axG",@progbits,_ZN7rocprim17ROCPRIM_400000_NS6detail17trampoline_kernelINS0_14default_configENS1_20scan_config_selectorIfEEZZNS1_9scan_implILNS1_25lookback_scan_determinismE0ELb1ELb1ES3_N6thrust23THRUST_200600_302600_NS6detail15normal_iteratorINS9_10device_ptrIfEEEESE_fNS9_4plusIvEEfEEDaPvRmT3_T4_T5_mT6_P12ihipStream_tbENKUlT_T0_E_clISt17integral_constantIbLb1EEST_IbLb0EEEEDaSP_SQ_EUlSP_E_NS1_11comp_targetILNS1_3genE2ELNS1_11target_archE906ELNS1_3gpuE6ELNS1_3repE0EEENS1_30default_config_static_selectorELNS0_4arch9wavefront6targetE1EEEvT1_,comdat
	.protected	_ZN7rocprim17ROCPRIM_400000_NS6detail17trampoline_kernelINS0_14default_configENS1_20scan_config_selectorIfEEZZNS1_9scan_implILNS1_25lookback_scan_determinismE0ELb1ELb1ES3_N6thrust23THRUST_200600_302600_NS6detail15normal_iteratorINS9_10device_ptrIfEEEESE_fNS9_4plusIvEEfEEDaPvRmT3_T4_T5_mT6_P12ihipStream_tbENKUlT_T0_E_clISt17integral_constantIbLb1EEST_IbLb0EEEEDaSP_SQ_EUlSP_E_NS1_11comp_targetILNS1_3genE2ELNS1_11target_archE906ELNS1_3gpuE6ELNS1_3repE0EEENS1_30default_config_static_selectorELNS0_4arch9wavefront6targetE1EEEvT1_ ; -- Begin function _ZN7rocprim17ROCPRIM_400000_NS6detail17trampoline_kernelINS0_14default_configENS1_20scan_config_selectorIfEEZZNS1_9scan_implILNS1_25lookback_scan_determinismE0ELb1ELb1ES3_N6thrust23THRUST_200600_302600_NS6detail15normal_iteratorINS9_10device_ptrIfEEEESE_fNS9_4plusIvEEfEEDaPvRmT3_T4_T5_mT6_P12ihipStream_tbENKUlT_T0_E_clISt17integral_constantIbLb1EEST_IbLb0EEEEDaSP_SQ_EUlSP_E_NS1_11comp_targetILNS1_3genE2ELNS1_11target_archE906ELNS1_3gpuE6ELNS1_3repE0EEENS1_30default_config_static_selectorELNS0_4arch9wavefront6targetE1EEEvT1_
	.globl	_ZN7rocprim17ROCPRIM_400000_NS6detail17trampoline_kernelINS0_14default_configENS1_20scan_config_selectorIfEEZZNS1_9scan_implILNS1_25lookback_scan_determinismE0ELb1ELb1ES3_N6thrust23THRUST_200600_302600_NS6detail15normal_iteratorINS9_10device_ptrIfEEEESE_fNS9_4plusIvEEfEEDaPvRmT3_T4_T5_mT6_P12ihipStream_tbENKUlT_T0_E_clISt17integral_constantIbLb1EEST_IbLb0EEEEDaSP_SQ_EUlSP_E_NS1_11comp_targetILNS1_3genE2ELNS1_11target_archE906ELNS1_3gpuE6ELNS1_3repE0EEENS1_30default_config_static_selectorELNS0_4arch9wavefront6targetE1EEEvT1_
	.p2align	8
	.type	_ZN7rocprim17ROCPRIM_400000_NS6detail17trampoline_kernelINS0_14default_configENS1_20scan_config_selectorIfEEZZNS1_9scan_implILNS1_25lookback_scan_determinismE0ELb1ELb1ES3_N6thrust23THRUST_200600_302600_NS6detail15normal_iteratorINS9_10device_ptrIfEEEESE_fNS9_4plusIvEEfEEDaPvRmT3_T4_T5_mT6_P12ihipStream_tbENKUlT_T0_E_clISt17integral_constantIbLb1EEST_IbLb0EEEEDaSP_SQ_EUlSP_E_NS1_11comp_targetILNS1_3genE2ELNS1_11target_archE906ELNS1_3gpuE6ELNS1_3repE0EEENS1_30default_config_static_selectorELNS0_4arch9wavefront6targetE1EEEvT1_,@function
_ZN7rocprim17ROCPRIM_400000_NS6detail17trampoline_kernelINS0_14default_configENS1_20scan_config_selectorIfEEZZNS1_9scan_implILNS1_25lookback_scan_determinismE0ELb1ELb1ES3_N6thrust23THRUST_200600_302600_NS6detail15normal_iteratorINS9_10device_ptrIfEEEESE_fNS9_4plusIvEEfEEDaPvRmT3_T4_T5_mT6_P12ihipStream_tbENKUlT_T0_E_clISt17integral_constantIbLb1EEST_IbLb0EEEEDaSP_SQ_EUlSP_E_NS1_11comp_targetILNS1_3genE2ELNS1_11target_archE906ELNS1_3gpuE6ELNS1_3repE0EEENS1_30default_config_static_selectorELNS0_4arch9wavefront6targetE1EEEvT1_: ; @_ZN7rocprim17ROCPRIM_400000_NS6detail17trampoline_kernelINS0_14default_configENS1_20scan_config_selectorIfEEZZNS1_9scan_implILNS1_25lookback_scan_determinismE0ELb1ELb1ES3_N6thrust23THRUST_200600_302600_NS6detail15normal_iteratorINS9_10device_ptrIfEEEESE_fNS9_4plusIvEEfEEDaPvRmT3_T4_T5_mT6_P12ihipStream_tbENKUlT_T0_E_clISt17integral_constantIbLb1EEST_IbLb0EEEEDaSP_SQ_EUlSP_E_NS1_11comp_targetILNS1_3genE2ELNS1_11target_archE906ELNS1_3gpuE6ELNS1_3repE0EEENS1_30default_config_static_selectorELNS0_4arch9wavefront6targetE1EEEvT1_
; %bb.0:
	.section	.rodata,"a",@progbits
	.p2align	6, 0x0
	.amdhsa_kernel _ZN7rocprim17ROCPRIM_400000_NS6detail17trampoline_kernelINS0_14default_configENS1_20scan_config_selectorIfEEZZNS1_9scan_implILNS1_25lookback_scan_determinismE0ELb1ELb1ES3_N6thrust23THRUST_200600_302600_NS6detail15normal_iteratorINS9_10device_ptrIfEEEESE_fNS9_4plusIvEEfEEDaPvRmT3_T4_T5_mT6_P12ihipStream_tbENKUlT_T0_E_clISt17integral_constantIbLb1EEST_IbLb0EEEEDaSP_SQ_EUlSP_E_NS1_11comp_targetILNS1_3genE2ELNS1_11target_archE906ELNS1_3gpuE6ELNS1_3repE0EEENS1_30default_config_static_selectorELNS0_4arch9wavefront6targetE1EEEvT1_
		.amdhsa_group_segment_fixed_size 0
		.amdhsa_private_segment_fixed_size 0
		.amdhsa_kernarg_size 96
		.amdhsa_user_sgpr_count 6
		.amdhsa_user_sgpr_private_segment_buffer 1
		.amdhsa_user_sgpr_dispatch_ptr 0
		.amdhsa_user_sgpr_queue_ptr 0
		.amdhsa_user_sgpr_kernarg_segment_ptr 1
		.amdhsa_user_sgpr_dispatch_id 0
		.amdhsa_user_sgpr_flat_scratch_init 0
		.amdhsa_user_sgpr_kernarg_preload_length 0
		.amdhsa_user_sgpr_kernarg_preload_offset 0
		.amdhsa_user_sgpr_private_segment_size 0
		.amdhsa_uses_dynamic_stack 0
		.amdhsa_system_sgpr_private_segment_wavefront_offset 0
		.amdhsa_system_sgpr_workgroup_id_x 1
		.amdhsa_system_sgpr_workgroup_id_y 0
		.amdhsa_system_sgpr_workgroup_id_z 0
		.amdhsa_system_sgpr_workgroup_info 0
		.amdhsa_system_vgpr_workitem_id 0
		.amdhsa_next_free_vgpr 1
		.amdhsa_next_free_sgpr 0
		.amdhsa_accum_offset 4
		.amdhsa_reserve_vcc 0
		.amdhsa_reserve_flat_scratch 0
		.amdhsa_float_round_mode_32 0
		.amdhsa_float_round_mode_16_64 0
		.amdhsa_float_denorm_mode_32 3
		.amdhsa_float_denorm_mode_16_64 3
		.amdhsa_dx10_clamp 1
		.amdhsa_ieee_mode 1
		.amdhsa_fp16_overflow 0
		.amdhsa_tg_split 0
		.amdhsa_exception_fp_ieee_invalid_op 0
		.amdhsa_exception_fp_denorm_src 0
		.amdhsa_exception_fp_ieee_div_zero 0
		.amdhsa_exception_fp_ieee_overflow 0
		.amdhsa_exception_fp_ieee_underflow 0
		.amdhsa_exception_fp_ieee_inexact 0
		.amdhsa_exception_int_div_zero 0
	.end_amdhsa_kernel
	.section	.text._ZN7rocprim17ROCPRIM_400000_NS6detail17trampoline_kernelINS0_14default_configENS1_20scan_config_selectorIfEEZZNS1_9scan_implILNS1_25lookback_scan_determinismE0ELb1ELb1ES3_N6thrust23THRUST_200600_302600_NS6detail15normal_iteratorINS9_10device_ptrIfEEEESE_fNS9_4plusIvEEfEEDaPvRmT3_T4_T5_mT6_P12ihipStream_tbENKUlT_T0_E_clISt17integral_constantIbLb1EEST_IbLb0EEEEDaSP_SQ_EUlSP_E_NS1_11comp_targetILNS1_3genE2ELNS1_11target_archE906ELNS1_3gpuE6ELNS1_3repE0EEENS1_30default_config_static_selectorELNS0_4arch9wavefront6targetE1EEEvT1_,"axG",@progbits,_ZN7rocprim17ROCPRIM_400000_NS6detail17trampoline_kernelINS0_14default_configENS1_20scan_config_selectorIfEEZZNS1_9scan_implILNS1_25lookback_scan_determinismE0ELb1ELb1ES3_N6thrust23THRUST_200600_302600_NS6detail15normal_iteratorINS9_10device_ptrIfEEEESE_fNS9_4plusIvEEfEEDaPvRmT3_T4_T5_mT6_P12ihipStream_tbENKUlT_T0_E_clISt17integral_constantIbLb1EEST_IbLb0EEEEDaSP_SQ_EUlSP_E_NS1_11comp_targetILNS1_3genE2ELNS1_11target_archE906ELNS1_3gpuE6ELNS1_3repE0EEENS1_30default_config_static_selectorELNS0_4arch9wavefront6targetE1EEEvT1_,comdat
.Lfunc_end4398:
	.size	_ZN7rocprim17ROCPRIM_400000_NS6detail17trampoline_kernelINS0_14default_configENS1_20scan_config_selectorIfEEZZNS1_9scan_implILNS1_25lookback_scan_determinismE0ELb1ELb1ES3_N6thrust23THRUST_200600_302600_NS6detail15normal_iteratorINS9_10device_ptrIfEEEESE_fNS9_4plusIvEEfEEDaPvRmT3_T4_T5_mT6_P12ihipStream_tbENKUlT_T0_E_clISt17integral_constantIbLb1EEST_IbLb0EEEEDaSP_SQ_EUlSP_E_NS1_11comp_targetILNS1_3genE2ELNS1_11target_archE906ELNS1_3gpuE6ELNS1_3repE0EEENS1_30default_config_static_selectorELNS0_4arch9wavefront6targetE1EEEvT1_, .Lfunc_end4398-_ZN7rocprim17ROCPRIM_400000_NS6detail17trampoline_kernelINS0_14default_configENS1_20scan_config_selectorIfEEZZNS1_9scan_implILNS1_25lookback_scan_determinismE0ELb1ELb1ES3_N6thrust23THRUST_200600_302600_NS6detail15normal_iteratorINS9_10device_ptrIfEEEESE_fNS9_4plusIvEEfEEDaPvRmT3_T4_T5_mT6_P12ihipStream_tbENKUlT_T0_E_clISt17integral_constantIbLb1EEST_IbLb0EEEEDaSP_SQ_EUlSP_E_NS1_11comp_targetILNS1_3genE2ELNS1_11target_archE906ELNS1_3gpuE6ELNS1_3repE0EEENS1_30default_config_static_selectorELNS0_4arch9wavefront6targetE1EEEvT1_
                                        ; -- End function
	.section	.AMDGPU.csdata,"",@progbits
; Kernel info:
; codeLenInByte = 0
; NumSgprs: 4
; NumVgprs: 0
; NumAgprs: 0
; TotalNumVgprs: 0
; ScratchSize: 0
; MemoryBound: 0
; FloatMode: 240
; IeeeMode: 1
; LDSByteSize: 0 bytes/workgroup (compile time only)
; SGPRBlocks: 0
; VGPRBlocks: 0
; NumSGPRsForWavesPerEU: 4
; NumVGPRsForWavesPerEU: 1
; AccumOffset: 4
; Occupancy: 8
; WaveLimiterHint : 0
; COMPUTE_PGM_RSRC2:SCRATCH_EN: 0
; COMPUTE_PGM_RSRC2:USER_SGPR: 6
; COMPUTE_PGM_RSRC2:TRAP_HANDLER: 0
; COMPUTE_PGM_RSRC2:TGID_X_EN: 1
; COMPUTE_PGM_RSRC2:TGID_Y_EN: 0
; COMPUTE_PGM_RSRC2:TGID_Z_EN: 0
; COMPUTE_PGM_RSRC2:TIDIG_COMP_CNT: 0
; COMPUTE_PGM_RSRC3_GFX90A:ACCUM_OFFSET: 0
; COMPUTE_PGM_RSRC3_GFX90A:TG_SPLIT: 0
	.section	.text._ZN7rocprim17ROCPRIM_400000_NS6detail17trampoline_kernelINS0_14default_configENS1_20scan_config_selectorIfEEZZNS1_9scan_implILNS1_25lookback_scan_determinismE0ELb1ELb1ES3_N6thrust23THRUST_200600_302600_NS6detail15normal_iteratorINS9_10device_ptrIfEEEESE_fNS9_4plusIvEEfEEDaPvRmT3_T4_T5_mT6_P12ihipStream_tbENKUlT_T0_E_clISt17integral_constantIbLb1EEST_IbLb0EEEEDaSP_SQ_EUlSP_E_NS1_11comp_targetILNS1_3genE10ELNS1_11target_archE1201ELNS1_3gpuE5ELNS1_3repE0EEENS1_30default_config_static_selectorELNS0_4arch9wavefront6targetE1EEEvT1_,"axG",@progbits,_ZN7rocprim17ROCPRIM_400000_NS6detail17trampoline_kernelINS0_14default_configENS1_20scan_config_selectorIfEEZZNS1_9scan_implILNS1_25lookback_scan_determinismE0ELb1ELb1ES3_N6thrust23THRUST_200600_302600_NS6detail15normal_iteratorINS9_10device_ptrIfEEEESE_fNS9_4plusIvEEfEEDaPvRmT3_T4_T5_mT6_P12ihipStream_tbENKUlT_T0_E_clISt17integral_constantIbLb1EEST_IbLb0EEEEDaSP_SQ_EUlSP_E_NS1_11comp_targetILNS1_3genE10ELNS1_11target_archE1201ELNS1_3gpuE5ELNS1_3repE0EEENS1_30default_config_static_selectorELNS0_4arch9wavefront6targetE1EEEvT1_,comdat
	.protected	_ZN7rocprim17ROCPRIM_400000_NS6detail17trampoline_kernelINS0_14default_configENS1_20scan_config_selectorIfEEZZNS1_9scan_implILNS1_25lookback_scan_determinismE0ELb1ELb1ES3_N6thrust23THRUST_200600_302600_NS6detail15normal_iteratorINS9_10device_ptrIfEEEESE_fNS9_4plusIvEEfEEDaPvRmT3_T4_T5_mT6_P12ihipStream_tbENKUlT_T0_E_clISt17integral_constantIbLb1EEST_IbLb0EEEEDaSP_SQ_EUlSP_E_NS1_11comp_targetILNS1_3genE10ELNS1_11target_archE1201ELNS1_3gpuE5ELNS1_3repE0EEENS1_30default_config_static_selectorELNS0_4arch9wavefront6targetE1EEEvT1_ ; -- Begin function _ZN7rocprim17ROCPRIM_400000_NS6detail17trampoline_kernelINS0_14default_configENS1_20scan_config_selectorIfEEZZNS1_9scan_implILNS1_25lookback_scan_determinismE0ELb1ELb1ES3_N6thrust23THRUST_200600_302600_NS6detail15normal_iteratorINS9_10device_ptrIfEEEESE_fNS9_4plusIvEEfEEDaPvRmT3_T4_T5_mT6_P12ihipStream_tbENKUlT_T0_E_clISt17integral_constantIbLb1EEST_IbLb0EEEEDaSP_SQ_EUlSP_E_NS1_11comp_targetILNS1_3genE10ELNS1_11target_archE1201ELNS1_3gpuE5ELNS1_3repE0EEENS1_30default_config_static_selectorELNS0_4arch9wavefront6targetE1EEEvT1_
	.globl	_ZN7rocprim17ROCPRIM_400000_NS6detail17trampoline_kernelINS0_14default_configENS1_20scan_config_selectorIfEEZZNS1_9scan_implILNS1_25lookback_scan_determinismE0ELb1ELb1ES3_N6thrust23THRUST_200600_302600_NS6detail15normal_iteratorINS9_10device_ptrIfEEEESE_fNS9_4plusIvEEfEEDaPvRmT3_T4_T5_mT6_P12ihipStream_tbENKUlT_T0_E_clISt17integral_constantIbLb1EEST_IbLb0EEEEDaSP_SQ_EUlSP_E_NS1_11comp_targetILNS1_3genE10ELNS1_11target_archE1201ELNS1_3gpuE5ELNS1_3repE0EEENS1_30default_config_static_selectorELNS0_4arch9wavefront6targetE1EEEvT1_
	.p2align	8
	.type	_ZN7rocprim17ROCPRIM_400000_NS6detail17trampoline_kernelINS0_14default_configENS1_20scan_config_selectorIfEEZZNS1_9scan_implILNS1_25lookback_scan_determinismE0ELb1ELb1ES3_N6thrust23THRUST_200600_302600_NS6detail15normal_iteratorINS9_10device_ptrIfEEEESE_fNS9_4plusIvEEfEEDaPvRmT3_T4_T5_mT6_P12ihipStream_tbENKUlT_T0_E_clISt17integral_constantIbLb1EEST_IbLb0EEEEDaSP_SQ_EUlSP_E_NS1_11comp_targetILNS1_3genE10ELNS1_11target_archE1201ELNS1_3gpuE5ELNS1_3repE0EEENS1_30default_config_static_selectorELNS0_4arch9wavefront6targetE1EEEvT1_,@function
_ZN7rocprim17ROCPRIM_400000_NS6detail17trampoline_kernelINS0_14default_configENS1_20scan_config_selectorIfEEZZNS1_9scan_implILNS1_25lookback_scan_determinismE0ELb1ELb1ES3_N6thrust23THRUST_200600_302600_NS6detail15normal_iteratorINS9_10device_ptrIfEEEESE_fNS9_4plusIvEEfEEDaPvRmT3_T4_T5_mT6_P12ihipStream_tbENKUlT_T0_E_clISt17integral_constantIbLb1EEST_IbLb0EEEEDaSP_SQ_EUlSP_E_NS1_11comp_targetILNS1_3genE10ELNS1_11target_archE1201ELNS1_3gpuE5ELNS1_3repE0EEENS1_30default_config_static_selectorELNS0_4arch9wavefront6targetE1EEEvT1_: ; @_ZN7rocprim17ROCPRIM_400000_NS6detail17trampoline_kernelINS0_14default_configENS1_20scan_config_selectorIfEEZZNS1_9scan_implILNS1_25lookback_scan_determinismE0ELb1ELb1ES3_N6thrust23THRUST_200600_302600_NS6detail15normal_iteratorINS9_10device_ptrIfEEEESE_fNS9_4plusIvEEfEEDaPvRmT3_T4_T5_mT6_P12ihipStream_tbENKUlT_T0_E_clISt17integral_constantIbLb1EEST_IbLb0EEEEDaSP_SQ_EUlSP_E_NS1_11comp_targetILNS1_3genE10ELNS1_11target_archE1201ELNS1_3gpuE5ELNS1_3repE0EEENS1_30default_config_static_selectorELNS0_4arch9wavefront6targetE1EEEvT1_
; %bb.0:
	.section	.rodata,"a",@progbits
	.p2align	6, 0x0
	.amdhsa_kernel _ZN7rocprim17ROCPRIM_400000_NS6detail17trampoline_kernelINS0_14default_configENS1_20scan_config_selectorIfEEZZNS1_9scan_implILNS1_25lookback_scan_determinismE0ELb1ELb1ES3_N6thrust23THRUST_200600_302600_NS6detail15normal_iteratorINS9_10device_ptrIfEEEESE_fNS9_4plusIvEEfEEDaPvRmT3_T4_T5_mT6_P12ihipStream_tbENKUlT_T0_E_clISt17integral_constantIbLb1EEST_IbLb0EEEEDaSP_SQ_EUlSP_E_NS1_11comp_targetILNS1_3genE10ELNS1_11target_archE1201ELNS1_3gpuE5ELNS1_3repE0EEENS1_30default_config_static_selectorELNS0_4arch9wavefront6targetE1EEEvT1_
		.amdhsa_group_segment_fixed_size 0
		.amdhsa_private_segment_fixed_size 0
		.amdhsa_kernarg_size 96
		.amdhsa_user_sgpr_count 6
		.amdhsa_user_sgpr_private_segment_buffer 1
		.amdhsa_user_sgpr_dispatch_ptr 0
		.amdhsa_user_sgpr_queue_ptr 0
		.amdhsa_user_sgpr_kernarg_segment_ptr 1
		.amdhsa_user_sgpr_dispatch_id 0
		.amdhsa_user_sgpr_flat_scratch_init 0
		.amdhsa_user_sgpr_kernarg_preload_length 0
		.amdhsa_user_sgpr_kernarg_preload_offset 0
		.amdhsa_user_sgpr_private_segment_size 0
		.amdhsa_uses_dynamic_stack 0
		.amdhsa_system_sgpr_private_segment_wavefront_offset 0
		.amdhsa_system_sgpr_workgroup_id_x 1
		.amdhsa_system_sgpr_workgroup_id_y 0
		.amdhsa_system_sgpr_workgroup_id_z 0
		.amdhsa_system_sgpr_workgroup_info 0
		.amdhsa_system_vgpr_workitem_id 0
		.amdhsa_next_free_vgpr 1
		.amdhsa_next_free_sgpr 0
		.amdhsa_accum_offset 4
		.amdhsa_reserve_vcc 0
		.amdhsa_reserve_flat_scratch 0
		.amdhsa_float_round_mode_32 0
		.amdhsa_float_round_mode_16_64 0
		.amdhsa_float_denorm_mode_32 3
		.amdhsa_float_denorm_mode_16_64 3
		.amdhsa_dx10_clamp 1
		.amdhsa_ieee_mode 1
		.amdhsa_fp16_overflow 0
		.amdhsa_tg_split 0
		.amdhsa_exception_fp_ieee_invalid_op 0
		.amdhsa_exception_fp_denorm_src 0
		.amdhsa_exception_fp_ieee_div_zero 0
		.amdhsa_exception_fp_ieee_overflow 0
		.amdhsa_exception_fp_ieee_underflow 0
		.amdhsa_exception_fp_ieee_inexact 0
		.amdhsa_exception_int_div_zero 0
	.end_amdhsa_kernel
	.section	.text._ZN7rocprim17ROCPRIM_400000_NS6detail17trampoline_kernelINS0_14default_configENS1_20scan_config_selectorIfEEZZNS1_9scan_implILNS1_25lookback_scan_determinismE0ELb1ELb1ES3_N6thrust23THRUST_200600_302600_NS6detail15normal_iteratorINS9_10device_ptrIfEEEESE_fNS9_4plusIvEEfEEDaPvRmT3_T4_T5_mT6_P12ihipStream_tbENKUlT_T0_E_clISt17integral_constantIbLb1EEST_IbLb0EEEEDaSP_SQ_EUlSP_E_NS1_11comp_targetILNS1_3genE10ELNS1_11target_archE1201ELNS1_3gpuE5ELNS1_3repE0EEENS1_30default_config_static_selectorELNS0_4arch9wavefront6targetE1EEEvT1_,"axG",@progbits,_ZN7rocprim17ROCPRIM_400000_NS6detail17trampoline_kernelINS0_14default_configENS1_20scan_config_selectorIfEEZZNS1_9scan_implILNS1_25lookback_scan_determinismE0ELb1ELb1ES3_N6thrust23THRUST_200600_302600_NS6detail15normal_iteratorINS9_10device_ptrIfEEEESE_fNS9_4plusIvEEfEEDaPvRmT3_T4_T5_mT6_P12ihipStream_tbENKUlT_T0_E_clISt17integral_constantIbLb1EEST_IbLb0EEEEDaSP_SQ_EUlSP_E_NS1_11comp_targetILNS1_3genE10ELNS1_11target_archE1201ELNS1_3gpuE5ELNS1_3repE0EEENS1_30default_config_static_selectorELNS0_4arch9wavefront6targetE1EEEvT1_,comdat
.Lfunc_end4399:
	.size	_ZN7rocprim17ROCPRIM_400000_NS6detail17trampoline_kernelINS0_14default_configENS1_20scan_config_selectorIfEEZZNS1_9scan_implILNS1_25lookback_scan_determinismE0ELb1ELb1ES3_N6thrust23THRUST_200600_302600_NS6detail15normal_iteratorINS9_10device_ptrIfEEEESE_fNS9_4plusIvEEfEEDaPvRmT3_T4_T5_mT6_P12ihipStream_tbENKUlT_T0_E_clISt17integral_constantIbLb1EEST_IbLb0EEEEDaSP_SQ_EUlSP_E_NS1_11comp_targetILNS1_3genE10ELNS1_11target_archE1201ELNS1_3gpuE5ELNS1_3repE0EEENS1_30default_config_static_selectorELNS0_4arch9wavefront6targetE1EEEvT1_, .Lfunc_end4399-_ZN7rocprim17ROCPRIM_400000_NS6detail17trampoline_kernelINS0_14default_configENS1_20scan_config_selectorIfEEZZNS1_9scan_implILNS1_25lookback_scan_determinismE0ELb1ELb1ES3_N6thrust23THRUST_200600_302600_NS6detail15normal_iteratorINS9_10device_ptrIfEEEESE_fNS9_4plusIvEEfEEDaPvRmT3_T4_T5_mT6_P12ihipStream_tbENKUlT_T0_E_clISt17integral_constantIbLb1EEST_IbLb0EEEEDaSP_SQ_EUlSP_E_NS1_11comp_targetILNS1_3genE10ELNS1_11target_archE1201ELNS1_3gpuE5ELNS1_3repE0EEENS1_30default_config_static_selectorELNS0_4arch9wavefront6targetE1EEEvT1_
                                        ; -- End function
	.section	.AMDGPU.csdata,"",@progbits
; Kernel info:
; codeLenInByte = 0
; NumSgprs: 4
; NumVgprs: 0
; NumAgprs: 0
; TotalNumVgprs: 0
; ScratchSize: 0
; MemoryBound: 0
; FloatMode: 240
; IeeeMode: 1
; LDSByteSize: 0 bytes/workgroup (compile time only)
; SGPRBlocks: 0
; VGPRBlocks: 0
; NumSGPRsForWavesPerEU: 4
; NumVGPRsForWavesPerEU: 1
; AccumOffset: 4
; Occupancy: 8
; WaveLimiterHint : 0
; COMPUTE_PGM_RSRC2:SCRATCH_EN: 0
; COMPUTE_PGM_RSRC2:USER_SGPR: 6
; COMPUTE_PGM_RSRC2:TRAP_HANDLER: 0
; COMPUTE_PGM_RSRC2:TGID_X_EN: 1
; COMPUTE_PGM_RSRC2:TGID_Y_EN: 0
; COMPUTE_PGM_RSRC2:TGID_Z_EN: 0
; COMPUTE_PGM_RSRC2:TIDIG_COMP_CNT: 0
; COMPUTE_PGM_RSRC3_GFX90A:ACCUM_OFFSET: 0
; COMPUTE_PGM_RSRC3_GFX90A:TG_SPLIT: 0
	.section	.text._ZN7rocprim17ROCPRIM_400000_NS6detail17trampoline_kernelINS0_14default_configENS1_20scan_config_selectorIfEEZZNS1_9scan_implILNS1_25lookback_scan_determinismE0ELb1ELb1ES3_N6thrust23THRUST_200600_302600_NS6detail15normal_iteratorINS9_10device_ptrIfEEEESE_fNS9_4plusIvEEfEEDaPvRmT3_T4_T5_mT6_P12ihipStream_tbENKUlT_T0_E_clISt17integral_constantIbLb1EEST_IbLb0EEEEDaSP_SQ_EUlSP_E_NS1_11comp_targetILNS1_3genE10ELNS1_11target_archE1200ELNS1_3gpuE4ELNS1_3repE0EEENS1_30default_config_static_selectorELNS0_4arch9wavefront6targetE1EEEvT1_,"axG",@progbits,_ZN7rocprim17ROCPRIM_400000_NS6detail17trampoline_kernelINS0_14default_configENS1_20scan_config_selectorIfEEZZNS1_9scan_implILNS1_25lookback_scan_determinismE0ELb1ELb1ES3_N6thrust23THRUST_200600_302600_NS6detail15normal_iteratorINS9_10device_ptrIfEEEESE_fNS9_4plusIvEEfEEDaPvRmT3_T4_T5_mT6_P12ihipStream_tbENKUlT_T0_E_clISt17integral_constantIbLb1EEST_IbLb0EEEEDaSP_SQ_EUlSP_E_NS1_11comp_targetILNS1_3genE10ELNS1_11target_archE1200ELNS1_3gpuE4ELNS1_3repE0EEENS1_30default_config_static_selectorELNS0_4arch9wavefront6targetE1EEEvT1_,comdat
	.protected	_ZN7rocprim17ROCPRIM_400000_NS6detail17trampoline_kernelINS0_14default_configENS1_20scan_config_selectorIfEEZZNS1_9scan_implILNS1_25lookback_scan_determinismE0ELb1ELb1ES3_N6thrust23THRUST_200600_302600_NS6detail15normal_iteratorINS9_10device_ptrIfEEEESE_fNS9_4plusIvEEfEEDaPvRmT3_T4_T5_mT6_P12ihipStream_tbENKUlT_T0_E_clISt17integral_constantIbLb1EEST_IbLb0EEEEDaSP_SQ_EUlSP_E_NS1_11comp_targetILNS1_3genE10ELNS1_11target_archE1200ELNS1_3gpuE4ELNS1_3repE0EEENS1_30default_config_static_selectorELNS0_4arch9wavefront6targetE1EEEvT1_ ; -- Begin function _ZN7rocprim17ROCPRIM_400000_NS6detail17trampoline_kernelINS0_14default_configENS1_20scan_config_selectorIfEEZZNS1_9scan_implILNS1_25lookback_scan_determinismE0ELb1ELb1ES3_N6thrust23THRUST_200600_302600_NS6detail15normal_iteratorINS9_10device_ptrIfEEEESE_fNS9_4plusIvEEfEEDaPvRmT3_T4_T5_mT6_P12ihipStream_tbENKUlT_T0_E_clISt17integral_constantIbLb1EEST_IbLb0EEEEDaSP_SQ_EUlSP_E_NS1_11comp_targetILNS1_3genE10ELNS1_11target_archE1200ELNS1_3gpuE4ELNS1_3repE0EEENS1_30default_config_static_selectorELNS0_4arch9wavefront6targetE1EEEvT1_
	.globl	_ZN7rocprim17ROCPRIM_400000_NS6detail17trampoline_kernelINS0_14default_configENS1_20scan_config_selectorIfEEZZNS1_9scan_implILNS1_25lookback_scan_determinismE0ELb1ELb1ES3_N6thrust23THRUST_200600_302600_NS6detail15normal_iteratorINS9_10device_ptrIfEEEESE_fNS9_4plusIvEEfEEDaPvRmT3_T4_T5_mT6_P12ihipStream_tbENKUlT_T0_E_clISt17integral_constantIbLb1EEST_IbLb0EEEEDaSP_SQ_EUlSP_E_NS1_11comp_targetILNS1_3genE10ELNS1_11target_archE1200ELNS1_3gpuE4ELNS1_3repE0EEENS1_30default_config_static_selectorELNS0_4arch9wavefront6targetE1EEEvT1_
	.p2align	8
	.type	_ZN7rocprim17ROCPRIM_400000_NS6detail17trampoline_kernelINS0_14default_configENS1_20scan_config_selectorIfEEZZNS1_9scan_implILNS1_25lookback_scan_determinismE0ELb1ELb1ES3_N6thrust23THRUST_200600_302600_NS6detail15normal_iteratorINS9_10device_ptrIfEEEESE_fNS9_4plusIvEEfEEDaPvRmT3_T4_T5_mT6_P12ihipStream_tbENKUlT_T0_E_clISt17integral_constantIbLb1EEST_IbLb0EEEEDaSP_SQ_EUlSP_E_NS1_11comp_targetILNS1_3genE10ELNS1_11target_archE1200ELNS1_3gpuE4ELNS1_3repE0EEENS1_30default_config_static_selectorELNS0_4arch9wavefront6targetE1EEEvT1_,@function
_ZN7rocprim17ROCPRIM_400000_NS6detail17trampoline_kernelINS0_14default_configENS1_20scan_config_selectorIfEEZZNS1_9scan_implILNS1_25lookback_scan_determinismE0ELb1ELb1ES3_N6thrust23THRUST_200600_302600_NS6detail15normal_iteratorINS9_10device_ptrIfEEEESE_fNS9_4plusIvEEfEEDaPvRmT3_T4_T5_mT6_P12ihipStream_tbENKUlT_T0_E_clISt17integral_constantIbLb1EEST_IbLb0EEEEDaSP_SQ_EUlSP_E_NS1_11comp_targetILNS1_3genE10ELNS1_11target_archE1200ELNS1_3gpuE4ELNS1_3repE0EEENS1_30default_config_static_selectorELNS0_4arch9wavefront6targetE1EEEvT1_: ; @_ZN7rocprim17ROCPRIM_400000_NS6detail17trampoline_kernelINS0_14default_configENS1_20scan_config_selectorIfEEZZNS1_9scan_implILNS1_25lookback_scan_determinismE0ELb1ELb1ES3_N6thrust23THRUST_200600_302600_NS6detail15normal_iteratorINS9_10device_ptrIfEEEESE_fNS9_4plusIvEEfEEDaPvRmT3_T4_T5_mT6_P12ihipStream_tbENKUlT_T0_E_clISt17integral_constantIbLb1EEST_IbLb0EEEEDaSP_SQ_EUlSP_E_NS1_11comp_targetILNS1_3genE10ELNS1_11target_archE1200ELNS1_3gpuE4ELNS1_3repE0EEENS1_30default_config_static_selectorELNS0_4arch9wavefront6targetE1EEEvT1_
; %bb.0:
	.section	.rodata,"a",@progbits
	.p2align	6, 0x0
	.amdhsa_kernel _ZN7rocprim17ROCPRIM_400000_NS6detail17trampoline_kernelINS0_14default_configENS1_20scan_config_selectorIfEEZZNS1_9scan_implILNS1_25lookback_scan_determinismE0ELb1ELb1ES3_N6thrust23THRUST_200600_302600_NS6detail15normal_iteratorINS9_10device_ptrIfEEEESE_fNS9_4plusIvEEfEEDaPvRmT3_T4_T5_mT6_P12ihipStream_tbENKUlT_T0_E_clISt17integral_constantIbLb1EEST_IbLb0EEEEDaSP_SQ_EUlSP_E_NS1_11comp_targetILNS1_3genE10ELNS1_11target_archE1200ELNS1_3gpuE4ELNS1_3repE0EEENS1_30default_config_static_selectorELNS0_4arch9wavefront6targetE1EEEvT1_
		.amdhsa_group_segment_fixed_size 0
		.amdhsa_private_segment_fixed_size 0
		.amdhsa_kernarg_size 96
		.amdhsa_user_sgpr_count 6
		.amdhsa_user_sgpr_private_segment_buffer 1
		.amdhsa_user_sgpr_dispatch_ptr 0
		.amdhsa_user_sgpr_queue_ptr 0
		.amdhsa_user_sgpr_kernarg_segment_ptr 1
		.amdhsa_user_sgpr_dispatch_id 0
		.amdhsa_user_sgpr_flat_scratch_init 0
		.amdhsa_user_sgpr_kernarg_preload_length 0
		.amdhsa_user_sgpr_kernarg_preload_offset 0
		.amdhsa_user_sgpr_private_segment_size 0
		.amdhsa_uses_dynamic_stack 0
		.amdhsa_system_sgpr_private_segment_wavefront_offset 0
		.amdhsa_system_sgpr_workgroup_id_x 1
		.amdhsa_system_sgpr_workgroup_id_y 0
		.amdhsa_system_sgpr_workgroup_id_z 0
		.amdhsa_system_sgpr_workgroup_info 0
		.amdhsa_system_vgpr_workitem_id 0
		.amdhsa_next_free_vgpr 1
		.amdhsa_next_free_sgpr 0
		.amdhsa_accum_offset 4
		.amdhsa_reserve_vcc 0
		.amdhsa_reserve_flat_scratch 0
		.amdhsa_float_round_mode_32 0
		.amdhsa_float_round_mode_16_64 0
		.amdhsa_float_denorm_mode_32 3
		.amdhsa_float_denorm_mode_16_64 3
		.amdhsa_dx10_clamp 1
		.amdhsa_ieee_mode 1
		.amdhsa_fp16_overflow 0
		.amdhsa_tg_split 0
		.amdhsa_exception_fp_ieee_invalid_op 0
		.amdhsa_exception_fp_denorm_src 0
		.amdhsa_exception_fp_ieee_div_zero 0
		.amdhsa_exception_fp_ieee_overflow 0
		.amdhsa_exception_fp_ieee_underflow 0
		.amdhsa_exception_fp_ieee_inexact 0
		.amdhsa_exception_int_div_zero 0
	.end_amdhsa_kernel
	.section	.text._ZN7rocprim17ROCPRIM_400000_NS6detail17trampoline_kernelINS0_14default_configENS1_20scan_config_selectorIfEEZZNS1_9scan_implILNS1_25lookback_scan_determinismE0ELb1ELb1ES3_N6thrust23THRUST_200600_302600_NS6detail15normal_iteratorINS9_10device_ptrIfEEEESE_fNS9_4plusIvEEfEEDaPvRmT3_T4_T5_mT6_P12ihipStream_tbENKUlT_T0_E_clISt17integral_constantIbLb1EEST_IbLb0EEEEDaSP_SQ_EUlSP_E_NS1_11comp_targetILNS1_3genE10ELNS1_11target_archE1200ELNS1_3gpuE4ELNS1_3repE0EEENS1_30default_config_static_selectorELNS0_4arch9wavefront6targetE1EEEvT1_,"axG",@progbits,_ZN7rocprim17ROCPRIM_400000_NS6detail17trampoline_kernelINS0_14default_configENS1_20scan_config_selectorIfEEZZNS1_9scan_implILNS1_25lookback_scan_determinismE0ELb1ELb1ES3_N6thrust23THRUST_200600_302600_NS6detail15normal_iteratorINS9_10device_ptrIfEEEESE_fNS9_4plusIvEEfEEDaPvRmT3_T4_T5_mT6_P12ihipStream_tbENKUlT_T0_E_clISt17integral_constantIbLb1EEST_IbLb0EEEEDaSP_SQ_EUlSP_E_NS1_11comp_targetILNS1_3genE10ELNS1_11target_archE1200ELNS1_3gpuE4ELNS1_3repE0EEENS1_30default_config_static_selectorELNS0_4arch9wavefront6targetE1EEEvT1_,comdat
.Lfunc_end4400:
	.size	_ZN7rocprim17ROCPRIM_400000_NS6detail17trampoline_kernelINS0_14default_configENS1_20scan_config_selectorIfEEZZNS1_9scan_implILNS1_25lookback_scan_determinismE0ELb1ELb1ES3_N6thrust23THRUST_200600_302600_NS6detail15normal_iteratorINS9_10device_ptrIfEEEESE_fNS9_4plusIvEEfEEDaPvRmT3_T4_T5_mT6_P12ihipStream_tbENKUlT_T0_E_clISt17integral_constantIbLb1EEST_IbLb0EEEEDaSP_SQ_EUlSP_E_NS1_11comp_targetILNS1_3genE10ELNS1_11target_archE1200ELNS1_3gpuE4ELNS1_3repE0EEENS1_30default_config_static_selectorELNS0_4arch9wavefront6targetE1EEEvT1_, .Lfunc_end4400-_ZN7rocprim17ROCPRIM_400000_NS6detail17trampoline_kernelINS0_14default_configENS1_20scan_config_selectorIfEEZZNS1_9scan_implILNS1_25lookback_scan_determinismE0ELb1ELb1ES3_N6thrust23THRUST_200600_302600_NS6detail15normal_iteratorINS9_10device_ptrIfEEEESE_fNS9_4plusIvEEfEEDaPvRmT3_T4_T5_mT6_P12ihipStream_tbENKUlT_T0_E_clISt17integral_constantIbLb1EEST_IbLb0EEEEDaSP_SQ_EUlSP_E_NS1_11comp_targetILNS1_3genE10ELNS1_11target_archE1200ELNS1_3gpuE4ELNS1_3repE0EEENS1_30default_config_static_selectorELNS0_4arch9wavefront6targetE1EEEvT1_
                                        ; -- End function
	.section	.AMDGPU.csdata,"",@progbits
; Kernel info:
; codeLenInByte = 0
; NumSgprs: 4
; NumVgprs: 0
; NumAgprs: 0
; TotalNumVgprs: 0
; ScratchSize: 0
; MemoryBound: 0
; FloatMode: 240
; IeeeMode: 1
; LDSByteSize: 0 bytes/workgroup (compile time only)
; SGPRBlocks: 0
; VGPRBlocks: 0
; NumSGPRsForWavesPerEU: 4
; NumVGPRsForWavesPerEU: 1
; AccumOffset: 4
; Occupancy: 8
; WaveLimiterHint : 0
; COMPUTE_PGM_RSRC2:SCRATCH_EN: 0
; COMPUTE_PGM_RSRC2:USER_SGPR: 6
; COMPUTE_PGM_RSRC2:TRAP_HANDLER: 0
; COMPUTE_PGM_RSRC2:TGID_X_EN: 1
; COMPUTE_PGM_RSRC2:TGID_Y_EN: 0
; COMPUTE_PGM_RSRC2:TGID_Z_EN: 0
; COMPUTE_PGM_RSRC2:TIDIG_COMP_CNT: 0
; COMPUTE_PGM_RSRC3_GFX90A:ACCUM_OFFSET: 0
; COMPUTE_PGM_RSRC3_GFX90A:TG_SPLIT: 0
	.section	.text._ZN7rocprim17ROCPRIM_400000_NS6detail17trampoline_kernelINS0_14default_configENS1_20scan_config_selectorIfEEZZNS1_9scan_implILNS1_25lookback_scan_determinismE0ELb1ELb1ES3_N6thrust23THRUST_200600_302600_NS6detail15normal_iteratorINS9_10device_ptrIfEEEESE_fNS9_4plusIvEEfEEDaPvRmT3_T4_T5_mT6_P12ihipStream_tbENKUlT_T0_E_clISt17integral_constantIbLb1EEST_IbLb0EEEEDaSP_SQ_EUlSP_E_NS1_11comp_targetILNS1_3genE9ELNS1_11target_archE1100ELNS1_3gpuE3ELNS1_3repE0EEENS1_30default_config_static_selectorELNS0_4arch9wavefront6targetE1EEEvT1_,"axG",@progbits,_ZN7rocprim17ROCPRIM_400000_NS6detail17trampoline_kernelINS0_14default_configENS1_20scan_config_selectorIfEEZZNS1_9scan_implILNS1_25lookback_scan_determinismE0ELb1ELb1ES3_N6thrust23THRUST_200600_302600_NS6detail15normal_iteratorINS9_10device_ptrIfEEEESE_fNS9_4plusIvEEfEEDaPvRmT3_T4_T5_mT6_P12ihipStream_tbENKUlT_T0_E_clISt17integral_constantIbLb1EEST_IbLb0EEEEDaSP_SQ_EUlSP_E_NS1_11comp_targetILNS1_3genE9ELNS1_11target_archE1100ELNS1_3gpuE3ELNS1_3repE0EEENS1_30default_config_static_selectorELNS0_4arch9wavefront6targetE1EEEvT1_,comdat
	.protected	_ZN7rocprim17ROCPRIM_400000_NS6detail17trampoline_kernelINS0_14default_configENS1_20scan_config_selectorIfEEZZNS1_9scan_implILNS1_25lookback_scan_determinismE0ELb1ELb1ES3_N6thrust23THRUST_200600_302600_NS6detail15normal_iteratorINS9_10device_ptrIfEEEESE_fNS9_4plusIvEEfEEDaPvRmT3_T4_T5_mT6_P12ihipStream_tbENKUlT_T0_E_clISt17integral_constantIbLb1EEST_IbLb0EEEEDaSP_SQ_EUlSP_E_NS1_11comp_targetILNS1_3genE9ELNS1_11target_archE1100ELNS1_3gpuE3ELNS1_3repE0EEENS1_30default_config_static_selectorELNS0_4arch9wavefront6targetE1EEEvT1_ ; -- Begin function _ZN7rocprim17ROCPRIM_400000_NS6detail17trampoline_kernelINS0_14default_configENS1_20scan_config_selectorIfEEZZNS1_9scan_implILNS1_25lookback_scan_determinismE0ELb1ELb1ES3_N6thrust23THRUST_200600_302600_NS6detail15normal_iteratorINS9_10device_ptrIfEEEESE_fNS9_4plusIvEEfEEDaPvRmT3_T4_T5_mT6_P12ihipStream_tbENKUlT_T0_E_clISt17integral_constantIbLb1EEST_IbLb0EEEEDaSP_SQ_EUlSP_E_NS1_11comp_targetILNS1_3genE9ELNS1_11target_archE1100ELNS1_3gpuE3ELNS1_3repE0EEENS1_30default_config_static_selectorELNS0_4arch9wavefront6targetE1EEEvT1_
	.globl	_ZN7rocprim17ROCPRIM_400000_NS6detail17trampoline_kernelINS0_14default_configENS1_20scan_config_selectorIfEEZZNS1_9scan_implILNS1_25lookback_scan_determinismE0ELb1ELb1ES3_N6thrust23THRUST_200600_302600_NS6detail15normal_iteratorINS9_10device_ptrIfEEEESE_fNS9_4plusIvEEfEEDaPvRmT3_T4_T5_mT6_P12ihipStream_tbENKUlT_T0_E_clISt17integral_constantIbLb1EEST_IbLb0EEEEDaSP_SQ_EUlSP_E_NS1_11comp_targetILNS1_3genE9ELNS1_11target_archE1100ELNS1_3gpuE3ELNS1_3repE0EEENS1_30default_config_static_selectorELNS0_4arch9wavefront6targetE1EEEvT1_
	.p2align	8
	.type	_ZN7rocprim17ROCPRIM_400000_NS6detail17trampoline_kernelINS0_14default_configENS1_20scan_config_selectorIfEEZZNS1_9scan_implILNS1_25lookback_scan_determinismE0ELb1ELb1ES3_N6thrust23THRUST_200600_302600_NS6detail15normal_iteratorINS9_10device_ptrIfEEEESE_fNS9_4plusIvEEfEEDaPvRmT3_T4_T5_mT6_P12ihipStream_tbENKUlT_T0_E_clISt17integral_constantIbLb1EEST_IbLb0EEEEDaSP_SQ_EUlSP_E_NS1_11comp_targetILNS1_3genE9ELNS1_11target_archE1100ELNS1_3gpuE3ELNS1_3repE0EEENS1_30default_config_static_selectorELNS0_4arch9wavefront6targetE1EEEvT1_,@function
_ZN7rocprim17ROCPRIM_400000_NS6detail17trampoline_kernelINS0_14default_configENS1_20scan_config_selectorIfEEZZNS1_9scan_implILNS1_25lookback_scan_determinismE0ELb1ELb1ES3_N6thrust23THRUST_200600_302600_NS6detail15normal_iteratorINS9_10device_ptrIfEEEESE_fNS9_4plusIvEEfEEDaPvRmT3_T4_T5_mT6_P12ihipStream_tbENKUlT_T0_E_clISt17integral_constantIbLb1EEST_IbLb0EEEEDaSP_SQ_EUlSP_E_NS1_11comp_targetILNS1_3genE9ELNS1_11target_archE1100ELNS1_3gpuE3ELNS1_3repE0EEENS1_30default_config_static_selectorELNS0_4arch9wavefront6targetE1EEEvT1_: ; @_ZN7rocprim17ROCPRIM_400000_NS6detail17trampoline_kernelINS0_14default_configENS1_20scan_config_selectorIfEEZZNS1_9scan_implILNS1_25lookback_scan_determinismE0ELb1ELb1ES3_N6thrust23THRUST_200600_302600_NS6detail15normal_iteratorINS9_10device_ptrIfEEEESE_fNS9_4plusIvEEfEEDaPvRmT3_T4_T5_mT6_P12ihipStream_tbENKUlT_T0_E_clISt17integral_constantIbLb1EEST_IbLb0EEEEDaSP_SQ_EUlSP_E_NS1_11comp_targetILNS1_3genE9ELNS1_11target_archE1100ELNS1_3gpuE3ELNS1_3repE0EEENS1_30default_config_static_selectorELNS0_4arch9wavefront6targetE1EEEvT1_
; %bb.0:
	.section	.rodata,"a",@progbits
	.p2align	6, 0x0
	.amdhsa_kernel _ZN7rocprim17ROCPRIM_400000_NS6detail17trampoline_kernelINS0_14default_configENS1_20scan_config_selectorIfEEZZNS1_9scan_implILNS1_25lookback_scan_determinismE0ELb1ELb1ES3_N6thrust23THRUST_200600_302600_NS6detail15normal_iteratorINS9_10device_ptrIfEEEESE_fNS9_4plusIvEEfEEDaPvRmT3_T4_T5_mT6_P12ihipStream_tbENKUlT_T0_E_clISt17integral_constantIbLb1EEST_IbLb0EEEEDaSP_SQ_EUlSP_E_NS1_11comp_targetILNS1_3genE9ELNS1_11target_archE1100ELNS1_3gpuE3ELNS1_3repE0EEENS1_30default_config_static_selectorELNS0_4arch9wavefront6targetE1EEEvT1_
		.amdhsa_group_segment_fixed_size 0
		.amdhsa_private_segment_fixed_size 0
		.amdhsa_kernarg_size 96
		.amdhsa_user_sgpr_count 6
		.amdhsa_user_sgpr_private_segment_buffer 1
		.amdhsa_user_sgpr_dispatch_ptr 0
		.amdhsa_user_sgpr_queue_ptr 0
		.amdhsa_user_sgpr_kernarg_segment_ptr 1
		.amdhsa_user_sgpr_dispatch_id 0
		.amdhsa_user_sgpr_flat_scratch_init 0
		.amdhsa_user_sgpr_kernarg_preload_length 0
		.amdhsa_user_sgpr_kernarg_preload_offset 0
		.amdhsa_user_sgpr_private_segment_size 0
		.amdhsa_uses_dynamic_stack 0
		.amdhsa_system_sgpr_private_segment_wavefront_offset 0
		.amdhsa_system_sgpr_workgroup_id_x 1
		.amdhsa_system_sgpr_workgroup_id_y 0
		.amdhsa_system_sgpr_workgroup_id_z 0
		.amdhsa_system_sgpr_workgroup_info 0
		.amdhsa_system_vgpr_workitem_id 0
		.amdhsa_next_free_vgpr 1
		.amdhsa_next_free_sgpr 0
		.amdhsa_accum_offset 4
		.amdhsa_reserve_vcc 0
		.amdhsa_reserve_flat_scratch 0
		.amdhsa_float_round_mode_32 0
		.amdhsa_float_round_mode_16_64 0
		.amdhsa_float_denorm_mode_32 3
		.amdhsa_float_denorm_mode_16_64 3
		.amdhsa_dx10_clamp 1
		.amdhsa_ieee_mode 1
		.amdhsa_fp16_overflow 0
		.amdhsa_tg_split 0
		.amdhsa_exception_fp_ieee_invalid_op 0
		.amdhsa_exception_fp_denorm_src 0
		.amdhsa_exception_fp_ieee_div_zero 0
		.amdhsa_exception_fp_ieee_overflow 0
		.amdhsa_exception_fp_ieee_underflow 0
		.amdhsa_exception_fp_ieee_inexact 0
		.amdhsa_exception_int_div_zero 0
	.end_amdhsa_kernel
	.section	.text._ZN7rocprim17ROCPRIM_400000_NS6detail17trampoline_kernelINS0_14default_configENS1_20scan_config_selectorIfEEZZNS1_9scan_implILNS1_25lookback_scan_determinismE0ELb1ELb1ES3_N6thrust23THRUST_200600_302600_NS6detail15normal_iteratorINS9_10device_ptrIfEEEESE_fNS9_4plusIvEEfEEDaPvRmT3_T4_T5_mT6_P12ihipStream_tbENKUlT_T0_E_clISt17integral_constantIbLb1EEST_IbLb0EEEEDaSP_SQ_EUlSP_E_NS1_11comp_targetILNS1_3genE9ELNS1_11target_archE1100ELNS1_3gpuE3ELNS1_3repE0EEENS1_30default_config_static_selectorELNS0_4arch9wavefront6targetE1EEEvT1_,"axG",@progbits,_ZN7rocprim17ROCPRIM_400000_NS6detail17trampoline_kernelINS0_14default_configENS1_20scan_config_selectorIfEEZZNS1_9scan_implILNS1_25lookback_scan_determinismE0ELb1ELb1ES3_N6thrust23THRUST_200600_302600_NS6detail15normal_iteratorINS9_10device_ptrIfEEEESE_fNS9_4plusIvEEfEEDaPvRmT3_T4_T5_mT6_P12ihipStream_tbENKUlT_T0_E_clISt17integral_constantIbLb1EEST_IbLb0EEEEDaSP_SQ_EUlSP_E_NS1_11comp_targetILNS1_3genE9ELNS1_11target_archE1100ELNS1_3gpuE3ELNS1_3repE0EEENS1_30default_config_static_selectorELNS0_4arch9wavefront6targetE1EEEvT1_,comdat
.Lfunc_end4401:
	.size	_ZN7rocprim17ROCPRIM_400000_NS6detail17trampoline_kernelINS0_14default_configENS1_20scan_config_selectorIfEEZZNS1_9scan_implILNS1_25lookback_scan_determinismE0ELb1ELb1ES3_N6thrust23THRUST_200600_302600_NS6detail15normal_iteratorINS9_10device_ptrIfEEEESE_fNS9_4plusIvEEfEEDaPvRmT3_T4_T5_mT6_P12ihipStream_tbENKUlT_T0_E_clISt17integral_constantIbLb1EEST_IbLb0EEEEDaSP_SQ_EUlSP_E_NS1_11comp_targetILNS1_3genE9ELNS1_11target_archE1100ELNS1_3gpuE3ELNS1_3repE0EEENS1_30default_config_static_selectorELNS0_4arch9wavefront6targetE1EEEvT1_, .Lfunc_end4401-_ZN7rocprim17ROCPRIM_400000_NS6detail17trampoline_kernelINS0_14default_configENS1_20scan_config_selectorIfEEZZNS1_9scan_implILNS1_25lookback_scan_determinismE0ELb1ELb1ES3_N6thrust23THRUST_200600_302600_NS6detail15normal_iteratorINS9_10device_ptrIfEEEESE_fNS9_4plusIvEEfEEDaPvRmT3_T4_T5_mT6_P12ihipStream_tbENKUlT_T0_E_clISt17integral_constantIbLb1EEST_IbLb0EEEEDaSP_SQ_EUlSP_E_NS1_11comp_targetILNS1_3genE9ELNS1_11target_archE1100ELNS1_3gpuE3ELNS1_3repE0EEENS1_30default_config_static_selectorELNS0_4arch9wavefront6targetE1EEEvT1_
                                        ; -- End function
	.section	.AMDGPU.csdata,"",@progbits
; Kernel info:
; codeLenInByte = 0
; NumSgprs: 4
; NumVgprs: 0
; NumAgprs: 0
; TotalNumVgprs: 0
; ScratchSize: 0
; MemoryBound: 0
; FloatMode: 240
; IeeeMode: 1
; LDSByteSize: 0 bytes/workgroup (compile time only)
; SGPRBlocks: 0
; VGPRBlocks: 0
; NumSGPRsForWavesPerEU: 4
; NumVGPRsForWavesPerEU: 1
; AccumOffset: 4
; Occupancy: 8
; WaveLimiterHint : 0
; COMPUTE_PGM_RSRC2:SCRATCH_EN: 0
; COMPUTE_PGM_RSRC2:USER_SGPR: 6
; COMPUTE_PGM_RSRC2:TRAP_HANDLER: 0
; COMPUTE_PGM_RSRC2:TGID_X_EN: 1
; COMPUTE_PGM_RSRC2:TGID_Y_EN: 0
; COMPUTE_PGM_RSRC2:TGID_Z_EN: 0
; COMPUTE_PGM_RSRC2:TIDIG_COMP_CNT: 0
; COMPUTE_PGM_RSRC3_GFX90A:ACCUM_OFFSET: 0
; COMPUTE_PGM_RSRC3_GFX90A:TG_SPLIT: 0
	.section	.text._ZN7rocprim17ROCPRIM_400000_NS6detail17trampoline_kernelINS0_14default_configENS1_20scan_config_selectorIfEEZZNS1_9scan_implILNS1_25lookback_scan_determinismE0ELb1ELb1ES3_N6thrust23THRUST_200600_302600_NS6detail15normal_iteratorINS9_10device_ptrIfEEEESE_fNS9_4plusIvEEfEEDaPvRmT3_T4_T5_mT6_P12ihipStream_tbENKUlT_T0_E_clISt17integral_constantIbLb1EEST_IbLb0EEEEDaSP_SQ_EUlSP_E_NS1_11comp_targetILNS1_3genE8ELNS1_11target_archE1030ELNS1_3gpuE2ELNS1_3repE0EEENS1_30default_config_static_selectorELNS0_4arch9wavefront6targetE1EEEvT1_,"axG",@progbits,_ZN7rocprim17ROCPRIM_400000_NS6detail17trampoline_kernelINS0_14default_configENS1_20scan_config_selectorIfEEZZNS1_9scan_implILNS1_25lookback_scan_determinismE0ELb1ELb1ES3_N6thrust23THRUST_200600_302600_NS6detail15normal_iteratorINS9_10device_ptrIfEEEESE_fNS9_4plusIvEEfEEDaPvRmT3_T4_T5_mT6_P12ihipStream_tbENKUlT_T0_E_clISt17integral_constantIbLb1EEST_IbLb0EEEEDaSP_SQ_EUlSP_E_NS1_11comp_targetILNS1_3genE8ELNS1_11target_archE1030ELNS1_3gpuE2ELNS1_3repE0EEENS1_30default_config_static_selectorELNS0_4arch9wavefront6targetE1EEEvT1_,comdat
	.protected	_ZN7rocprim17ROCPRIM_400000_NS6detail17trampoline_kernelINS0_14default_configENS1_20scan_config_selectorIfEEZZNS1_9scan_implILNS1_25lookback_scan_determinismE0ELb1ELb1ES3_N6thrust23THRUST_200600_302600_NS6detail15normal_iteratorINS9_10device_ptrIfEEEESE_fNS9_4plusIvEEfEEDaPvRmT3_T4_T5_mT6_P12ihipStream_tbENKUlT_T0_E_clISt17integral_constantIbLb1EEST_IbLb0EEEEDaSP_SQ_EUlSP_E_NS1_11comp_targetILNS1_3genE8ELNS1_11target_archE1030ELNS1_3gpuE2ELNS1_3repE0EEENS1_30default_config_static_selectorELNS0_4arch9wavefront6targetE1EEEvT1_ ; -- Begin function _ZN7rocprim17ROCPRIM_400000_NS6detail17trampoline_kernelINS0_14default_configENS1_20scan_config_selectorIfEEZZNS1_9scan_implILNS1_25lookback_scan_determinismE0ELb1ELb1ES3_N6thrust23THRUST_200600_302600_NS6detail15normal_iteratorINS9_10device_ptrIfEEEESE_fNS9_4plusIvEEfEEDaPvRmT3_T4_T5_mT6_P12ihipStream_tbENKUlT_T0_E_clISt17integral_constantIbLb1EEST_IbLb0EEEEDaSP_SQ_EUlSP_E_NS1_11comp_targetILNS1_3genE8ELNS1_11target_archE1030ELNS1_3gpuE2ELNS1_3repE0EEENS1_30default_config_static_selectorELNS0_4arch9wavefront6targetE1EEEvT1_
	.globl	_ZN7rocprim17ROCPRIM_400000_NS6detail17trampoline_kernelINS0_14default_configENS1_20scan_config_selectorIfEEZZNS1_9scan_implILNS1_25lookback_scan_determinismE0ELb1ELb1ES3_N6thrust23THRUST_200600_302600_NS6detail15normal_iteratorINS9_10device_ptrIfEEEESE_fNS9_4plusIvEEfEEDaPvRmT3_T4_T5_mT6_P12ihipStream_tbENKUlT_T0_E_clISt17integral_constantIbLb1EEST_IbLb0EEEEDaSP_SQ_EUlSP_E_NS1_11comp_targetILNS1_3genE8ELNS1_11target_archE1030ELNS1_3gpuE2ELNS1_3repE0EEENS1_30default_config_static_selectorELNS0_4arch9wavefront6targetE1EEEvT1_
	.p2align	8
	.type	_ZN7rocprim17ROCPRIM_400000_NS6detail17trampoline_kernelINS0_14default_configENS1_20scan_config_selectorIfEEZZNS1_9scan_implILNS1_25lookback_scan_determinismE0ELb1ELb1ES3_N6thrust23THRUST_200600_302600_NS6detail15normal_iteratorINS9_10device_ptrIfEEEESE_fNS9_4plusIvEEfEEDaPvRmT3_T4_T5_mT6_P12ihipStream_tbENKUlT_T0_E_clISt17integral_constantIbLb1EEST_IbLb0EEEEDaSP_SQ_EUlSP_E_NS1_11comp_targetILNS1_3genE8ELNS1_11target_archE1030ELNS1_3gpuE2ELNS1_3repE0EEENS1_30default_config_static_selectorELNS0_4arch9wavefront6targetE1EEEvT1_,@function
_ZN7rocprim17ROCPRIM_400000_NS6detail17trampoline_kernelINS0_14default_configENS1_20scan_config_selectorIfEEZZNS1_9scan_implILNS1_25lookback_scan_determinismE0ELb1ELb1ES3_N6thrust23THRUST_200600_302600_NS6detail15normal_iteratorINS9_10device_ptrIfEEEESE_fNS9_4plusIvEEfEEDaPvRmT3_T4_T5_mT6_P12ihipStream_tbENKUlT_T0_E_clISt17integral_constantIbLb1EEST_IbLb0EEEEDaSP_SQ_EUlSP_E_NS1_11comp_targetILNS1_3genE8ELNS1_11target_archE1030ELNS1_3gpuE2ELNS1_3repE0EEENS1_30default_config_static_selectorELNS0_4arch9wavefront6targetE1EEEvT1_: ; @_ZN7rocprim17ROCPRIM_400000_NS6detail17trampoline_kernelINS0_14default_configENS1_20scan_config_selectorIfEEZZNS1_9scan_implILNS1_25lookback_scan_determinismE0ELb1ELb1ES3_N6thrust23THRUST_200600_302600_NS6detail15normal_iteratorINS9_10device_ptrIfEEEESE_fNS9_4plusIvEEfEEDaPvRmT3_T4_T5_mT6_P12ihipStream_tbENKUlT_T0_E_clISt17integral_constantIbLb1EEST_IbLb0EEEEDaSP_SQ_EUlSP_E_NS1_11comp_targetILNS1_3genE8ELNS1_11target_archE1030ELNS1_3gpuE2ELNS1_3repE0EEENS1_30default_config_static_selectorELNS0_4arch9wavefront6targetE1EEEvT1_
; %bb.0:
	.section	.rodata,"a",@progbits
	.p2align	6, 0x0
	.amdhsa_kernel _ZN7rocprim17ROCPRIM_400000_NS6detail17trampoline_kernelINS0_14default_configENS1_20scan_config_selectorIfEEZZNS1_9scan_implILNS1_25lookback_scan_determinismE0ELb1ELb1ES3_N6thrust23THRUST_200600_302600_NS6detail15normal_iteratorINS9_10device_ptrIfEEEESE_fNS9_4plusIvEEfEEDaPvRmT3_T4_T5_mT6_P12ihipStream_tbENKUlT_T0_E_clISt17integral_constantIbLb1EEST_IbLb0EEEEDaSP_SQ_EUlSP_E_NS1_11comp_targetILNS1_3genE8ELNS1_11target_archE1030ELNS1_3gpuE2ELNS1_3repE0EEENS1_30default_config_static_selectorELNS0_4arch9wavefront6targetE1EEEvT1_
		.amdhsa_group_segment_fixed_size 0
		.amdhsa_private_segment_fixed_size 0
		.amdhsa_kernarg_size 96
		.amdhsa_user_sgpr_count 6
		.amdhsa_user_sgpr_private_segment_buffer 1
		.amdhsa_user_sgpr_dispatch_ptr 0
		.amdhsa_user_sgpr_queue_ptr 0
		.amdhsa_user_sgpr_kernarg_segment_ptr 1
		.amdhsa_user_sgpr_dispatch_id 0
		.amdhsa_user_sgpr_flat_scratch_init 0
		.amdhsa_user_sgpr_kernarg_preload_length 0
		.amdhsa_user_sgpr_kernarg_preload_offset 0
		.amdhsa_user_sgpr_private_segment_size 0
		.amdhsa_uses_dynamic_stack 0
		.amdhsa_system_sgpr_private_segment_wavefront_offset 0
		.amdhsa_system_sgpr_workgroup_id_x 1
		.amdhsa_system_sgpr_workgroup_id_y 0
		.amdhsa_system_sgpr_workgroup_id_z 0
		.amdhsa_system_sgpr_workgroup_info 0
		.amdhsa_system_vgpr_workitem_id 0
		.amdhsa_next_free_vgpr 1
		.amdhsa_next_free_sgpr 0
		.amdhsa_accum_offset 4
		.amdhsa_reserve_vcc 0
		.amdhsa_reserve_flat_scratch 0
		.amdhsa_float_round_mode_32 0
		.amdhsa_float_round_mode_16_64 0
		.amdhsa_float_denorm_mode_32 3
		.amdhsa_float_denorm_mode_16_64 3
		.amdhsa_dx10_clamp 1
		.amdhsa_ieee_mode 1
		.amdhsa_fp16_overflow 0
		.amdhsa_tg_split 0
		.amdhsa_exception_fp_ieee_invalid_op 0
		.amdhsa_exception_fp_denorm_src 0
		.amdhsa_exception_fp_ieee_div_zero 0
		.amdhsa_exception_fp_ieee_overflow 0
		.amdhsa_exception_fp_ieee_underflow 0
		.amdhsa_exception_fp_ieee_inexact 0
		.amdhsa_exception_int_div_zero 0
	.end_amdhsa_kernel
	.section	.text._ZN7rocprim17ROCPRIM_400000_NS6detail17trampoline_kernelINS0_14default_configENS1_20scan_config_selectorIfEEZZNS1_9scan_implILNS1_25lookback_scan_determinismE0ELb1ELb1ES3_N6thrust23THRUST_200600_302600_NS6detail15normal_iteratorINS9_10device_ptrIfEEEESE_fNS9_4plusIvEEfEEDaPvRmT3_T4_T5_mT6_P12ihipStream_tbENKUlT_T0_E_clISt17integral_constantIbLb1EEST_IbLb0EEEEDaSP_SQ_EUlSP_E_NS1_11comp_targetILNS1_3genE8ELNS1_11target_archE1030ELNS1_3gpuE2ELNS1_3repE0EEENS1_30default_config_static_selectorELNS0_4arch9wavefront6targetE1EEEvT1_,"axG",@progbits,_ZN7rocprim17ROCPRIM_400000_NS6detail17trampoline_kernelINS0_14default_configENS1_20scan_config_selectorIfEEZZNS1_9scan_implILNS1_25lookback_scan_determinismE0ELb1ELb1ES3_N6thrust23THRUST_200600_302600_NS6detail15normal_iteratorINS9_10device_ptrIfEEEESE_fNS9_4plusIvEEfEEDaPvRmT3_T4_T5_mT6_P12ihipStream_tbENKUlT_T0_E_clISt17integral_constantIbLb1EEST_IbLb0EEEEDaSP_SQ_EUlSP_E_NS1_11comp_targetILNS1_3genE8ELNS1_11target_archE1030ELNS1_3gpuE2ELNS1_3repE0EEENS1_30default_config_static_selectorELNS0_4arch9wavefront6targetE1EEEvT1_,comdat
.Lfunc_end4402:
	.size	_ZN7rocprim17ROCPRIM_400000_NS6detail17trampoline_kernelINS0_14default_configENS1_20scan_config_selectorIfEEZZNS1_9scan_implILNS1_25lookback_scan_determinismE0ELb1ELb1ES3_N6thrust23THRUST_200600_302600_NS6detail15normal_iteratorINS9_10device_ptrIfEEEESE_fNS9_4plusIvEEfEEDaPvRmT3_T4_T5_mT6_P12ihipStream_tbENKUlT_T0_E_clISt17integral_constantIbLb1EEST_IbLb0EEEEDaSP_SQ_EUlSP_E_NS1_11comp_targetILNS1_3genE8ELNS1_11target_archE1030ELNS1_3gpuE2ELNS1_3repE0EEENS1_30default_config_static_selectorELNS0_4arch9wavefront6targetE1EEEvT1_, .Lfunc_end4402-_ZN7rocprim17ROCPRIM_400000_NS6detail17trampoline_kernelINS0_14default_configENS1_20scan_config_selectorIfEEZZNS1_9scan_implILNS1_25lookback_scan_determinismE0ELb1ELb1ES3_N6thrust23THRUST_200600_302600_NS6detail15normal_iteratorINS9_10device_ptrIfEEEESE_fNS9_4plusIvEEfEEDaPvRmT3_T4_T5_mT6_P12ihipStream_tbENKUlT_T0_E_clISt17integral_constantIbLb1EEST_IbLb0EEEEDaSP_SQ_EUlSP_E_NS1_11comp_targetILNS1_3genE8ELNS1_11target_archE1030ELNS1_3gpuE2ELNS1_3repE0EEENS1_30default_config_static_selectorELNS0_4arch9wavefront6targetE1EEEvT1_
                                        ; -- End function
	.section	.AMDGPU.csdata,"",@progbits
; Kernel info:
; codeLenInByte = 0
; NumSgprs: 4
; NumVgprs: 0
; NumAgprs: 0
; TotalNumVgprs: 0
; ScratchSize: 0
; MemoryBound: 0
; FloatMode: 240
; IeeeMode: 1
; LDSByteSize: 0 bytes/workgroup (compile time only)
; SGPRBlocks: 0
; VGPRBlocks: 0
; NumSGPRsForWavesPerEU: 4
; NumVGPRsForWavesPerEU: 1
; AccumOffset: 4
; Occupancy: 8
; WaveLimiterHint : 0
; COMPUTE_PGM_RSRC2:SCRATCH_EN: 0
; COMPUTE_PGM_RSRC2:USER_SGPR: 6
; COMPUTE_PGM_RSRC2:TRAP_HANDLER: 0
; COMPUTE_PGM_RSRC2:TGID_X_EN: 1
; COMPUTE_PGM_RSRC2:TGID_Y_EN: 0
; COMPUTE_PGM_RSRC2:TGID_Z_EN: 0
; COMPUTE_PGM_RSRC2:TIDIG_COMP_CNT: 0
; COMPUTE_PGM_RSRC3_GFX90A:ACCUM_OFFSET: 0
; COMPUTE_PGM_RSRC3_GFX90A:TG_SPLIT: 0
	.section	.text._ZN7rocprim17ROCPRIM_400000_NS6detail17trampoline_kernelINS0_14default_configENS1_20scan_config_selectorIfEEZZNS1_9scan_implILNS1_25lookback_scan_determinismE0ELb1ELb1ES3_N6thrust23THRUST_200600_302600_NS6detail15normal_iteratorINS9_10device_ptrIfEEEESE_fNS9_4plusIvEEfEEDaPvRmT3_T4_T5_mT6_P12ihipStream_tbENKUlT_T0_E_clISt17integral_constantIbLb1EEST_IbLb0EEEEDaSP_SQ_EUlSP_E0_NS1_11comp_targetILNS1_3genE0ELNS1_11target_archE4294967295ELNS1_3gpuE0ELNS1_3repE0EEENS1_30default_config_static_selectorELNS0_4arch9wavefront6targetE1EEEvT1_,"axG",@progbits,_ZN7rocprim17ROCPRIM_400000_NS6detail17trampoline_kernelINS0_14default_configENS1_20scan_config_selectorIfEEZZNS1_9scan_implILNS1_25lookback_scan_determinismE0ELb1ELb1ES3_N6thrust23THRUST_200600_302600_NS6detail15normal_iteratorINS9_10device_ptrIfEEEESE_fNS9_4plusIvEEfEEDaPvRmT3_T4_T5_mT6_P12ihipStream_tbENKUlT_T0_E_clISt17integral_constantIbLb1EEST_IbLb0EEEEDaSP_SQ_EUlSP_E0_NS1_11comp_targetILNS1_3genE0ELNS1_11target_archE4294967295ELNS1_3gpuE0ELNS1_3repE0EEENS1_30default_config_static_selectorELNS0_4arch9wavefront6targetE1EEEvT1_,comdat
	.protected	_ZN7rocprim17ROCPRIM_400000_NS6detail17trampoline_kernelINS0_14default_configENS1_20scan_config_selectorIfEEZZNS1_9scan_implILNS1_25lookback_scan_determinismE0ELb1ELb1ES3_N6thrust23THRUST_200600_302600_NS6detail15normal_iteratorINS9_10device_ptrIfEEEESE_fNS9_4plusIvEEfEEDaPvRmT3_T4_T5_mT6_P12ihipStream_tbENKUlT_T0_E_clISt17integral_constantIbLb1EEST_IbLb0EEEEDaSP_SQ_EUlSP_E0_NS1_11comp_targetILNS1_3genE0ELNS1_11target_archE4294967295ELNS1_3gpuE0ELNS1_3repE0EEENS1_30default_config_static_selectorELNS0_4arch9wavefront6targetE1EEEvT1_ ; -- Begin function _ZN7rocprim17ROCPRIM_400000_NS6detail17trampoline_kernelINS0_14default_configENS1_20scan_config_selectorIfEEZZNS1_9scan_implILNS1_25lookback_scan_determinismE0ELb1ELb1ES3_N6thrust23THRUST_200600_302600_NS6detail15normal_iteratorINS9_10device_ptrIfEEEESE_fNS9_4plusIvEEfEEDaPvRmT3_T4_T5_mT6_P12ihipStream_tbENKUlT_T0_E_clISt17integral_constantIbLb1EEST_IbLb0EEEEDaSP_SQ_EUlSP_E0_NS1_11comp_targetILNS1_3genE0ELNS1_11target_archE4294967295ELNS1_3gpuE0ELNS1_3repE0EEENS1_30default_config_static_selectorELNS0_4arch9wavefront6targetE1EEEvT1_
	.globl	_ZN7rocprim17ROCPRIM_400000_NS6detail17trampoline_kernelINS0_14default_configENS1_20scan_config_selectorIfEEZZNS1_9scan_implILNS1_25lookback_scan_determinismE0ELb1ELb1ES3_N6thrust23THRUST_200600_302600_NS6detail15normal_iteratorINS9_10device_ptrIfEEEESE_fNS9_4plusIvEEfEEDaPvRmT3_T4_T5_mT6_P12ihipStream_tbENKUlT_T0_E_clISt17integral_constantIbLb1EEST_IbLb0EEEEDaSP_SQ_EUlSP_E0_NS1_11comp_targetILNS1_3genE0ELNS1_11target_archE4294967295ELNS1_3gpuE0ELNS1_3repE0EEENS1_30default_config_static_selectorELNS0_4arch9wavefront6targetE1EEEvT1_
	.p2align	8
	.type	_ZN7rocprim17ROCPRIM_400000_NS6detail17trampoline_kernelINS0_14default_configENS1_20scan_config_selectorIfEEZZNS1_9scan_implILNS1_25lookback_scan_determinismE0ELb1ELb1ES3_N6thrust23THRUST_200600_302600_NS6detail15normal_iteratorINS9_10device_ptrIfEEEESE_fNS9_4plusIvEEfEEDaPvRmT3_T4_T5_mT6_P12ihipStream_tbENKUlT_T0_E_clISt17integral_constantIbLb1EEST_IbLb0EEEEDaSP_SQ_EUlSP_E0_NS1_11comp_targetILNS1_3genE0ELNS1_11target_archE4294967295ELNS1_3gpuE0ELNS1_3repE0EEENS1_30default_config_static_selectorELNS0_4arch9wavefront6targetE1EEEvT1_,@function
_ZN7rocprim17ROCPRIM_400000_NS6detail17trampoline_kernelINS0_14default_configENS1_20scan_config_selectorIfEEZZNS1_9scan_implILNS1_25lookback_scan_determinismE0ELb1ELb1ES3_N6thrust23THRUST_200600_302600_NS6detail15normal_iteratorINS9_10device_ptrIfEEEESE_fNS9_4plusIvEEfEEDaPvRmT3_T4_T5_mT6_P12ihipStream_tbENKUlT_T0_E_clISt17integral_constantIbLb1EEST_IbLb0EEEEDaSP_SQ_EUlSP_E0_NS1_11comp_targetILNS1_3genE0ELNS1_11target_archE4294967295ELNS1_3gpuE0ELNS1_3repE0EEENS1_30default_config_static_selectorELNS0_4arch9wavefront6targetE1EEEvT1_: ; @_ZN7rocprim17ROCPRIM_400000_NS6detail17trampoline_kernelINS0_14default_configENS1_20scan_config_selectorIfEEZZNS1_9scan_implILNS1_25lookback_scan_determinismE0ELb1ELb1ES3_N6thrust23THRUST_200600_302600_NS6detail15normal_iteratorINS9_10device_ptrIfEEEESE_fNS9_4plusIvEEfEEDaPvRmT3_T4_T5_mT6_P12ihipStream_tbENKUlT_T0_E_clISt17integral_constantIbLb1EEST_IbLb0EEEEDaSP_SQ_EUlSP_E0_NS1_11comp_targetILNS1_3genE0ELNS1_11target_archE4294967295ELNS1_3gpuE0ELNS1_3repE0EEENS1_30default_config_static_selectorELNS0_4arch9wavefront6targetE1EEEvT1_
; %bb.0:
	.section	.rodata,"a",@progbits
	.p2align	6, 0x0
	.amdhsa_kernel _ZN7rocprim17ROCPRIM_400000_NS6detail17trampoline_kernelINS0_14default_configENS1_20scan_config_selectorIfEEZZNS1_9scan_implILNS1_25lookback_scan_determinismE0ELb1ELb1ES3_N6thrust23THRUST_200600_302600_NS6detail15normal_iteratorINS9_10device_ptrIfEEEESE_fNS9_4plusIvEEfEEDaPvRmT3_T4_T5_mT6_P12ihipStream_tbENKUlT_T0_E_clISt17integral_constantIbLb1EEST_IbLb0EEEEDaSP_SQ_EUlSP_E0_NS1_11comp_targetILNS1_3genE0ELNS1_11target_archE4294967295ELNS1_3gpuE0ELNS1_3repE0EEENS1_30default_config_static_selectorELNS0_4arch9wavefront6targetE1EEEvT1_
		.amdhsa_group_segment_fixed_size 0
		.amdhsa_private_segment_fixed_size 0
		.amdhsa_kernarg_size 32
		.amdhsa_user_sgpr_count 6
		.amdhsa_user_sgpr_private_segment_buffer 1
		.amdhsa_user_sgpr_dispatch_ptr 0
		.amdhsa_user_sgpr_queue_ptr 0
		.amdhsa_user_sgpr_kernarg_segment_ptr 1
		.amdhsa_user_sgpr_dispatch_id 0
		.amdhsa_user_sgpr_flat_scratch_init 0
		.amdhsa_user_sgpr_kernarg_preload_length 0
		.amdhsa_user_sgpr_kernarg_preload_offset 0
		.amdhsa_user_sgpr_private_segment_size 0
		.amdhsa_uses_dynamic_stack 0
		.amdhsa_system_sgpr_private_segment_wavefront_offset 0
		.amdhsa_system_sgpr_workgroup_id_x 1
		.amdhsa_system_sgpr_workgroup_id_y 0
		.amdhsa_system_sgpr_workgroup_id_z 0
		.amdhsa_system_sgpr_workgroup_info 0
		.amdhsa_system_vgpr_workitem_id 0
		.amdhsa_next_free_vgpr 1
		.amdhsa_next_free_sgpr 0
		.amdhsa_accum_offset 4
		.amdhsa_reserve_vcc 0
		.amdhsa_reserve_flat_scratch 0
		.amdhsa_float_round_mode_32 0
		.amdhsa_float_round_mode_16_64 0
		.amdhsa_float_denorm_mode_32 3
		.amdhsa_float_denorm_mode_16_64 3
		.amdhsa_dx10_clamp 1
		.amdhsa_ieee_mode 1
		.amdhsa_fp16_overflow 0
		.amdhsa_tg_split 0
		.amdhsa_exception_fp_ieee_invalid_op 0
		.amdhsa_exception_fp_denorm_src 0
		.amdhsa_exception_fp_ieee_div_zero 0
		.amdhsa_exception_fp_ieee_overflow 0
		.amdhsa_exception_fp_ieee_underflow 0
		.amdhsa_exception_fp_ieee_inexact 0
		.amdhsa_exception_int_div_zero 0
	.end_amdhsa_kernel
	.section	.text._ZN7rocprim17ROCPRIM_400000_NS6detail17trampoline_kernelINS0_14default_configENS1_20scan_config_selectorIfEEZZNS1_9scan_implILNS1_25lookback_scan_determinismE0ELb1ELb1ES3_N6thrust23THRUST_200600_302600_NS6detail15normal_iteratorINS9_10device_ptrIfEEEESE_fNS9_4plusIvEEfEEDaPvRmT3_T4_T5_mT6_P12ihipStream_tbENKUlT_T0_E_clISt17integral_constantIbLb1EEST_IbLb0EEEEDaSP_SQ_EUlSP_E0_NS1_11comp_targetILNS1_3genE0ELNS1_11target_archE4294967295ELNS1_3gpuE0ELNS1_3repE0EEENS1_30default_config_static_selectorELNS0_4arch9wavefront6targetE1EEEvT1_,"axG",@progbits,_ZN7rocprim17ROCPRIM_400000_NS6detail17trampoline_kernelINS0_14default_configENS1_20scan_config_selectorIfEEZZNS1_9scan_implILNS1_25lookback_scan_determinismE0ELb1ELb1ES3_N6thrust23THRUST_200600_302600_NS6detail15normal_iteratorINS9_10device_ptrIfEEEESE_fNS9_4plusIvEEfEEDaPvRmT3_T4_T5_mT6_P12ihipStream_tbENKUlT_T0_E_clISt17integral_constantIbLb1EEST_IbLb0EEEEDaSP_SQ_EUlSP_E0_NS1_11comp_targetILNS1_3genE0ELNS1_11target_archE4294967295ELNS1_3gpuE0ELNS1_3repE0EEENS1_30default_config_static_selectorELNS0_4arch9wavefront6targetE1EEEvT1_,comdat
.Lfunc_end4403:
	.size	_ZN7rocprim17ROCPRIM_400000_NS6detail17trampoline_kernelINS0_14default_configENS1_20scan_config_selectorIfEEZZNS1_9scan_implILNS1_25lookback_scan_determinismE0ELb1ELb1ES3_N6thrust23THRUST_200600_302600_NS6detail15normal_iteratorINS9_10device_ptrIfEEEESE_fNS9_4plusIvEEfEEDaPvRmT3_T4_T5_mT6_P12ihipStream_tbENKUlT_T0_E_clISt17integral_constantIbLb1EEST_IbLb0EEEEDaSP_SQ_EUlSP_E0_NS1_11comp_targetILNS1_3genE0ELNS1_11target_archE4294967295ELNS1_3gpuE0ELNS1_3repE0EEENS1_30default_config_static_selectorELNS0_4arch9wavefront6targetE1EEEvT1_, .Lfunc_end4403-_ZN7rocprim17ROCPRIM_400000_NS6detail17trampoline_kernelINS0_14default_configENS1_20scan_config_selectorIfEEZZNS1_9scan_implILNS1_25lookback_scan_determinismE0ELb1ELb1ES3_N6thrust23THRUST_200600_302600_NS6detail15normal_iteratorINS9_10device_ptrIfEEEESE_fNS9_4plusIvEEfEEDaPvRmT3_T4_T5_mT6_P12ihipStream_tbENKUlT_T0_E_clISt17integral_constantIbLb1EEST_IbLb0EEEEDaSP_SQ_EUlSP_E0_NS1_11comp_targetILNS1_3genE0ELNS1_11target_archE4294967295ELNS1_3gpuE0ELNS1_3repE0EEENS1_30default_config_static_selectorELNS0_4arch9wavefront6targetE1EEEvT1_
                                        ; -- End function
	.section	.AMDGPU.csdata,"",@progbits
; Kernel info:
; codeLenInByte = 0
; NumSgprs: 4
; NumVgprs: 0
; NumAgprs: 0
; TotalNumVgprs: 0
; ScratchSize: 0
; MemoryBound: 0
; FloatMode: 240
; IeeeMode: 1
; LDSByteSize: 0 bytes/workgroup (compile time only)
; SGPRBlocks: 0
; VGPRBlocks: 0
; NumSGPRsForWavesPerEU: 4
; NumVGPRsForWavesPerEU: 1
; AccumOffset: 4
; Occupancy: 8
; WaveLimiterHint : 0
; COMPUTE_PGM_RSRC2:SCRATCH_EN: 0
; COMPUTE_PGM_RSRC2:USER_SGPR: 6
; COMPUTE_PGM_RSRC2:TRAP_HANDLER: 0
; COMPUTE_PGM_RSRC2:TGID_X_EN: 1
; COMPUTE_PGM_RSRC2:TGID_Y_EN: 0
; COMPUTE_PGM_RSRC2:TGID_Z_EN: 0
; COMPUTE_PGM_RSRC2:TIDIG_COMP_CNT: 0
; COMPUTE_PGM_RSRC3_GFX90A:ACCUM_OFFSET: 0
; COMPUTE_PGM_RSRC3_GFX90A:TG_SPLIT: 0
	.section	.text._ZN7rocprim17ROCPRIM_400000_NS6detail17trampoline_kernelINS0_14default_configENS1_20scan_config_selectorIfEEZZNS1_9scan_implILNS1_25lookback_scan_determinismE0ELb1ELb1ES3_N6thrust23THRUST_200600_302600_NS6detail15normal_iteratorINS9_10device_ptrIfEEEESE_fNS9_4plusIvEEfEEDaPvRmT3_T4_T5_mT6_P12ihipStream_tbENKUlT_T0_E_clISt17integral_constantIbLb1EEST_IbLb0EEEEDaSP_SQ_EUlSP_E0_NS1_11comp_targetILNS1_3genE5ELNS1_11target_archE942ELNS1_3gpuE9ELNS1_3repE0EEENS1_30default_config_static_selectorELNS0_4arch9wavefront6targetE1EEEvT1_,"axG",@progbits,_ZN7rocprim17ROCPRIM_400000_NS6detail17trampoline_kernelINS0_14default_configENS1_20scan_config_selectorIfEEZZNS1_9scan_implILNS1_25lookback_scan_determinismE0ELb1ELb1ES3_N6thrust23THRUST_200600_302600_NS6detail15normal_iteratorINS9_10device_ptrIfEEEESE_fNS9_4plusIvEEfEEDaPvRmT3_T4_T5_mT6_P12ihipStream_tbENKUlT_T0_E_clISt17integral_constantIbLb1EEST_IbLb0EEEEDaSP_SQ_EUlSP_E0_NS1_11comp_targetILNS1_3genE5ELNS1_11target_archE942ELNS1_3gpuE9ELNS1_3repE0EEENS1_30default_config_static_selectorELNS0_4arch9wavefront6targetE1EEEvT1_,comdat
	.protected	_ZN7rocprim17ROCPRIM_400000_NS6detail17trampoline_kernelINS0_14default_configENS1_20scan_config_selectorIfEEZZNS1_9scan_implILNS1_25lookback_scan_determinismE0ELb1ELb1ES3_N6thrust23THRUST_200600_302600_NS6detail15normal_iteratorINS9_10device_ptrIfEEEESE_fNS9_4plusIvEEfEEDaPvRmT3_T4_T5_mT6_P12ihipStream_tbENKUlT_T0_E_clISt17integral_constantIbLb1EEST_IbLb0EEEEDaSP_SQ_EUlSP_E0_NS1_11comp_targetILNS1_3genE5ELNS1_11target_archE942ELNS1_3gpuE9ELNS1_3repE0EEENS1_30default_config_static_selectorELNS0_4arch9wavefront6targetE1EEEvT1_ ; -- Begin function _ZN7rocprim17ROCPRIM_400000_NS6detail17trampoline_kernelINS0_14default_configENS1_20scan_config_selectorIfEEZZNS1_9scan_implILNS1_25lookback_scan_determinismE0ELb1ELb1ES3_N6thrust23THRUST_200600_302600_NS6detail15normal_iteratorINS9_10device_ptrIfEEEESE_fNS9_4plusIvEEfEEDaPvRmT3_T4_T5_mT6_P12ihipStream_tbENKUlT_T0_E_clISt17integral_constantIbLb1EEST_IbLb0EEEEDaSP_SQ_EUlSP_E0_NS1_11comp_targetILNS1_3genE5ELNS1_11target_archE942ELNS1_3gpuE9ELNS1_3repE0EEENS1_30default_config_static_selectorELNS0_4arch9wavefront6targetE1EEEvT1_
	.globl	_ZN7rocprim17ROCPRIM_400000_NS6detail17trampoline_kernelINS0_14default_configENS1_20scan_config_selectorIfEEZZNS1_9scan_implILNS1_25lookback_scan_determinismE0ELb1ELb1ES3_N6thrust23THRUST_200600_302600_NS6detail15normal_iteratorINS9_10device_ptrIfEEEESE_fNS9_4plusIvEEfEEDaPvRmT3_T4_T5_mT6_P12ihipStream_tbENKUlT_T0_E_clISt17integral_constantIbLb1EEST_IbLb0EEEEDaSP_SQ_EUlSP_E0_NS1_11comp_targetILNS1_3genE5ELNS1_11target_archE942ELNS1_3gpuE9ELNS1_3repE0EEENS1_30default_config_static_selectorELNS0_4arch9wavefront6targetE1EEEvT1_
	.p2align	8
	.type	_ZN7rocprim17ROCPRIM_400000_NS6detail17trampoline_kernelINS0_14default_configENS1_20scan_config_selectorIfEEZZNS1_9scan_implILNS1_25lookback_scan_determinismE0ELb1ELb1ES3_N6thrust23THRUST_200600_302600_NS6detail15normal_iteratorINS9_10device_ptrIfEEEESE_fNS9_4plusIvEEfEEDaPvRmT3_T4_T5_mT6_P12ihipStream_tbENKUlT_T0_E_clISt17integral_constantIbLb1EEST_IbLb0EEEEDaSP_SQ_EUlSP_E0_NS1_11comp_targetILNS1_3genE5ELNS1_11target_archE942ELNS1_3gpuE9ELNS1_3repE0EEENS1_30default_config_static_selectorELNS0_4arch9wavefront6targetE1EEEvT1_,@function
_ZN7rocprim17ROCPRIM_400000_NS6detail17trampoline_kernelINS0_14default_configENS1_20scan_config_selectorIfEEZZNS1_9scan_implILNS1_25lookback_scan_determinismE0ELb1ELb1ES3_N6thrust23THRUST_200600_302600_NS6detail15normal_iteratorINS9_10device_ptrIfEEEESE_fNS9_4plusIvEEfEEDaPvRmT3_T4_T5_mT6_P12ihipStream_tbENKUlT_T0_E_clISt17integral_constantIbLb1EEST_IbLb0EEEEDaSP_SQ_EUlSP_E0_NS1_11comp_targetILNS1_3genE5ELNS1_11target_archE942ELNS1_3gpuE9ELNS1_3repE0EEENS1_30default_config_static_selectorELNS0_4arch9wavefront6targetE1EEEvT1_: ; @_ZN7rocprim17ROCPRIM_400000_NS6detail17trampoline_kernelINS0_14default_configENS1_20scan_config_selectorIfEEZZNS1_9scan_implILNS1_25lookback_scan_determinismE0ELb1ELb1ES3_N6thrust23THRUST_200600_302600_NS6detail15normal_iteratorINS9_10device_ptrIfEEEESE_fNS9_4plusIvEEfEEDaPvRmT3_T4_T5_mT6_P12ihipStream_tbENKUlT_T0_E_clISt17integral_constantIbLb1EEST_IbLb0EEEEDaSP_SQ_EUlSP_E0_NS1_11comp_targetILNS1_3genE5ELNS1_11target_archE942ELNS1_3gpuE9ELNS1_3repE0EEENS1_30default_config_static_selectorELNS0_4arch9wavefront6targetE1EEEvT1_
; %bb.0:
	.section	.rodata,"a",@progbits
	.p2align	6, 0x0
	.amdhsa_kernel _ZN7rocprim17ROCPRIM_400000_NS6detail17trampoline_kernelINS0_14default_configENS1_20scan_config_selectorIfEEZZNS1_9scan_implILNS1_25lookback_scan_determinismE0ELb1ELb1ES3_N6thrust23THRUST_200600_302600_NS6detail15normal_iteratorINS9_10device_ptrIfEEEESE_fNS9_4plusIvEEfEEDaPvRmT3_T4_T5_mT6_P12ihipStream_tbENKUlT_T0_E_clISt17integral_constantIbLb1EEST_IbLb0EEEEDaSP_SQ_EUlSP_E0_NS1_11comp_targetILNS1_3genE5ELNS1_11target_archE942ELNS1_3gpuE9ELNS1_3repE0EEENS1_30default_config_static_selectorELNS0_4arch9wavefront6targetE1EEEvT1_
		.amdhsa_group_segment_fixed_size 0
		.amdhsa_private_segment_fixed_size 0
		.amdhsa_kernarg_size 32
		.amdhsa_user_sgpr_count 6
		.amdhsa_user_sgpr_private_segment_buffer 1
		.amdhsa_user_sgpr_dispatch_ptr 0
		.amdhsa_user_sgpr_queue_ptr 0
		.amdhsa_user_sgpr_kernarg_segment_ptr 1
		.amdhsa_user_sgpr_dispatch_id 0
		.amdhsa_user_sgpr_flat_scratch_init 0
		.amdhsa_user_sgpr_kernarg_preload_length 0
		.amdhsa_user_sgpr_kernarg_preload_offset 0
		.amdhsa_user_sgpr_private_segment_size 0
		.amdhsa_uses_dynamic_stack 0
		.amdhsa_system_sgpr_private_segment_wavefront_offset 0
		.amdhsa_system_sgpr_workgroup_id_x 1
		.amdhsa_system_sgpr_workgroup_id_y 0
		.amdhsa_system_sgpr_workgroup_id_z 0
		.amdhsa_system_sgpr_workgroup_info 0
		.amdhsa_system_vgpr_workitem_id 0
		.amdhsa_next_free_vgpr 1
		.amdhsa_next_free_sgpr 0
		.amdhsa_accum_offset 4
		.amdhsa_reserve_vcc 0
		.amdhsa_reserve_flat_scratch 0
		.amdhsa_float_round_mode_32 0
		.amdhsa_float_round_mode_16_64 0
		.amdhsa_float_denorm_mode_32 3
		.amdhsa_float_denorm_mode_16_64 3
		.amdhsa_dx10_clamp 1
		.amdhsa_ieee_mode 1
		.amdhsa_fp16_overflow 0
		.amdhsa_tg_split 0
		.amdhsa_exception_fp_ieee_invalid_op 0
		.amdhsa_exception_fp_denorm_src 0
		.amdhsa_exception_fp_ieee_div_zero 0
		.amdhsa_exception_fp_ieee_overflow 0
		.amdhsa_exception_fp_ieee_underflow 0
		.amdhsa_exception_fp_ieee_inexact 0
		.amdhsa_exception_int_div_zero 0
	.end_amdhsa_kernel
	.section	.text._ZN7rocprim17ROCPRIM_400000_NS6detail17trampoline_kernelINS0_14default_configENS1_20scan_config_selectorIfEEZZNS1_9scan_implILNS1_25lookback_scan_determinismE0ELb1ELb1ES3_N6thrust23THRUST_200600_302600_NS6detail15normal_iteratorINS9_10device_ptrIfEEEESE_fNS9_4plusIvEEfEEDaPvRmT3_T4_T5_mT6_P12ihipStream_tbENKUlT_T0_E_clISt17integral_constantIbLb1EEST_IbLb0EEEEDaSP_SQ_EUlSP_E0_NS1_11comp_targetILNS1_3genE5ELNS1_11target_archE942ELNS1_3gpuE9ELNS1_3repE0EEENS1_30default_config_static_selectorELNS0_4arch9wavefront6targetE1EEEvT1_,"axG",@progbits,_ZN7rocprim17ROCPRIM_400000_NS6detail17trampoline_kernelINS0_14default_configENS1_20scan_config_selectorIfEEZZNS1_9scan_implILNS1_25lookback_scan_determinismE0ELb1ELb1ES3_N6thrust23THRUST_200600_302600_NS6detail15normal_iteratorINS9_10device_ptrIfEEEESE_fNS9_4plusIvEEfEEDaPvRmT3_T4_T5_mT6_P12ihipStream_tbENKUlT_T0_E_clISt17integral_constantIbLb1EEST_IbLb0EEEEDaSP_SQ_EUlSP_E0_NS1_11comp_targetILNS1_3genE5ELNS1_11target_archE942ELNS1_3gpuE9ELNS1_3repE0EEENS1_30default_config_static_selectorELNS0_4arch9wavefront6targetE1EEEvT1_,comdat
.Lfunc_end4404:
	.size	_ZN7rocprim17ROCPRIM_400000_NS6detail17trampoline_kernelINS0_14default_configENS1_20scan_config_selectorIfEEZZNS1_9scan_implILNS1_25lookback_scan_determinismE0ELb1ELb1ES3_N6thrust23THRUST_200600_302600_NS6detail15normal_iteratorINS9_10device_ptrIfEEEESE_fNS9_4plusIvEEfEEDaPvRmT3_T4_T5_mT6_P12ihipStream_tbENKUlT_T0_E_clISt17integral_constantIbLb1EEST_IbLb0EEEEDaSP_SQ_EUlSP_E0_NS1_11comp_targetILNS1_3genE5ELNS1_11target_archE942ELNS1_3gpuE9ELNS1_3repE0EEENS1_30default_config_static_selectorELNS0_4arch9wavefront6targetE1EEEvT1_, .Lfunc_end4404-_ZN7rocprim17ROCPRIM_400000_NS6detail17trampoline_kernelINS0_14default_configENS1_20scan_config_selectorIfEEZZNS1_9scan_implILNS1_25lookback_scan_determinismE0ELb1ELb1ES3_N6thrust23THRUST_200600_302600_NS6detail15normal_iteratorINS9_10device_ptrIfEEEESE_fNS9_4plusIvEEfEEDaPvRmT3_T4_T5_mT6_P12ihipStream_tbENKUlT_T0_E_clISt17integral_constantIbLb1EEST_IbLb0EEEEDaSP_SQ_EUlSP_E0_NS1_11comp_targetILNS1_3genE5ELNS1_11target_archE942ELNS1_3gpuE9ELNS1_3repE0EEENS1_30default_config_static_selectorELNS0_4arch9wavefront6targetE1EEEvT1_
                                        ; -- End function
	.section	.AMDGPU.csdata,"",@progbits
; Kernel info:
; codeLenInByte = 0
; NumSgprs: 4
; NumVgprs: 0
; NumAgprs: 0
; TotalNumVgprs: 0
; ScratchSize: 0
; MemoryBound: 0
; FloatMode: 240
; IeeeMode: 1
; LDSByteSize: 0 bytes/workgroup (compile time only)
; SGPRBlocks: 0
; VGPRBlocks: 0
; NumSGPRsForWavesPerEU: 4
; NumVGPRsForWavesPerEU: 1
; AccumOffset: 4
; Occupancy: 8
; WaveLimiterHint : 0
; COMPUTE_PGM_RSRC2:SCRATCH_EN: 0
; COMPUTE_PGM_RSRC2:USER_SGPR: 6
; COMPUTE_PGM_RSRC2:TRAP_HANDLER: 0
; COMPUTE_PGM_RSRC2:TGID_X_EN: 1
; COMPUTE_PGM_RSRC2:TGID_Y_EN: 0
; COMPUTE_PGM_RSRC2:TGID_Z_EN: 0
; COMPUTE_PGM_RSRC2:TIDIG_COMP_CNT: 0
; COMPUTE_PGM_RSRC3_GFX90A:ACCUM_OFFSET: 0
; COMPUTE_PGM_RSRC3_GFX90A:TG_SPLIT: 0
	.section	.text._ZN7rocprim17ROCPRIM_400000_NS6detail17trampoline_kernelINS0_14default_configENS1_20scan_config_selectorIfEEZZNS1_9scan_implILNS1_25lookback_scan_determinismE0ELb1ELb1ES3_N6thrust23THRUST_200600_302600_NS6detail15normal_iteratorINS9_10device_ptrIfEEEESE_fNS9_4plusIvEEfEEDaPvRmT3_T4_T5_mT6_P12ihipStream_tbENKUlT_T0_E_clISt17integral_constantIbLb1EEST_IbLb0EEEEDaSP_SQ_EUlSP_E0_NS1_11comp_targetILNS1_3genE4ELNS1_11target_archE910ELNS1_3gpuE8ELNS1_3repE0EEENS1_30default_config_static_selectorELNS0_4arch9wavefront6targetE1EEEvT1_,"axG",@progbits,_ZN7rocprim17ROCPRIM_400000_NS6detail17trampoline_kernelINS0_14default_configENS1_20scan_config_selectorIfEEZZNS1_9scan_implILNS1_25lookback_scan_determinismE0ELb1ELb1ES3_N6thrust23THRUST_200600_302600_NS6detail15normal_iteratorINS9_10device_ptrIfEEEESE_fNS9_4plusIvEEfEEDaPvRmT3_T4_T5_mT6_P12ihipStream_tbENKUlT_T0_E_clISt17integral_constantIbLb1EEST_IbLb0EEEEDaSP_SQ_EUlSP_E0_NS1_11comp_targetILNS1_3genE4ELNS1_11target_archE910ELNS1_3gpuE8ELNS1_3repE0EEENS1_30default_config_static_selectorELNS0_4arch9wavefront6targetE1EEEvT1_,comdat
	.protected	_ZN7rocprim17ROCPRIM_400000_NS6detail17trampoline_kernelINS0_14default_configENS1_20scan_config_selectorIfEEZZNS1_9scan_implILNS1_25lookback_scan_determinismE0ELb1ELb1ES3_N6thrust23THRUST_200600_302600_NS6detail15normal_iteratorINS9_10device_ptrIfEEEESE_fNS9_4plusIvEEfEEDaPvRmT3_T4_T5_mT6_P12ihipStream_tbENKUlT_T0_E_clISt17integral_constantIbLb1EEST_IbLb0EEEEDaSP_SQ_EUlSP_E0_NS1_11comp_targetILNS1_3genE4ELNS1_11target_archE910ELNS1_3gpuE8ELNS1_3repE0EEENS1_30default_config_static_selectorELNS0_4arch9wavefront6targetE1EEEvT1_ ; -- Begin function _ZN7rocprim17ROCPRIM_400000_NS6detail17trampoline_kernelINS0_14default_configENS1_20scan_config_selectorIfEEZZNS1_9scan_implILNS1_25lookback_scan_determinismE0ELb1ELb1ES3_N6thrust23THRUST_200600_302600_NS6detail15normal_iteratorINS9_10device_ptrIfEEEESE_fNS9_4plusIvEEfEEDaPvRmT3_T4_T5_mT6_P12ihipStream_tbENKUlT_T0_E_clISt17integral_constantIbLb1EEST_IbLb0EEEEDaSP_SQ_EUlSP_E0_NS1_11comp_targetILNS1_3genE4ELNS1_11target_archE910ELNS1_3gpuE8ELNS1_3repE0EEENS1_30default_config_static_selectorELNS0_4arch9wavefront6targetE1EEEvT1_
	.globl	_ZN7rocprim17ROCPRIM_400000_NS6detail17trampoline_kernelINS0_14default_configENS1_20scan_config_selectorIfEEZZNS1_9scan_implILNS1_25lookback_scan_determinismE0ELb1ELb1ES3_N6thrust23THRUST_200600_302600_NS6detail15normal_iteratorINS9_10device_ptrIfEEEESE_fNS9_4plusIvEEfEEDaPvRmT3_T4_T5_mT6_P12ihipStream_tbENKUlT_T0_E_clISt17integral_constantIbLb1EEST_IbLb0EEEEDaSP_SQ_EUlSP_E0_NS1_11comp_targetILNS1_3genE4ELNS1_11target_archE910ELNS1_3gpuE8ELNS1_3repE0EEENS1_30default_config_static_selectorELNS0_4arch9wavefront6targetE1EEEvT1_
	.p2align	8
	.type	_ZN7rocprim17ROCPRIM_400000_NS6detail17trampoline_kernelINS0_14default_configENS1_20scan_config_selectorIfEEZZNS1_9scan_implILNS1_25lookback_scan_determinismE0ELb1ELb1ES3_N6thrust23THRUST_200600_302600_NS6detail15normal_iteratorINS9_10device_ptrIfEEEESE_fNS9_4plusIvEEfEEDaPvRmT3_T4_T5_mT6_P12ihipStream_tbENKUlT_T0_E_clISt17integral_constantIbLb1EEST_IbLb0EEEEDaSP_SQ_EUlSP_E0_NS1_11comp_targetILNS1_3genE4ELNS1_11target_archE910ELNS1_3gpuE8ELNS1_3repE0EEENS1_30default_config_static_selectorELNS0_4arch9wavefront6targetE1EEEvT1_,@function
_ZN7rocprim17ROCPRIM_400000_NS6detail17trampoline_kernelINS0_14default_configENS1_20scan_config_selectorIfEEZZNS1_9scan_implILNS1_25lookback_scan_determinismE0ELb1ELb1ES3_N6thrust23THRUST_200600_302600_NS6detail15normal_iteratorINS9_10device_ptrIfEEEESE_fNS9_4plusIvEEfEEDaPvRmT3_T4_T5_mT6_P12ihipStream_tbENKUlT_T0_E_clISt17integral_constantIbLb1EEST_IbLb0EEEEDaSP_SQ_EUlSP_E0_NS1_11comp_targetILNS1_3genE4ELNS1_11target_archE910ELNS1_3gpuE8ELNS1_3repE0EEENS1_30default_config_static_selectorELNS0_4arch9wavefront6targetE1EEEvT1_: ; @_ZN7rocprim17ROCPRIM_400000_NS6detail17trampoline_kernelINS0_14default_configENS1_20scan_config_selectorIfEEZZNS1_9scan_implILNS1_25lookback_scan_determinismE0ELb1ELb1ES3_N6thrust23THRUST_200600_302600_NS6detail15normal_iteratorINS9_10device_ptrIfEEEESE_fNS9_4plusIvEEfEEDaPvRmT3_T4_T5_mT6_P12ihipStream_tbENKUlT_T0_E_clISt17integral_constantIbLb1EEST_IbLb0EEEEDaSP_SQ_EUlSP_E0_NS1_11comp_targetILNS1_3genE4ELNS1_11target_archE910ELNS1_3gpuE8ELNS1_3repE0EEENS1_30default_config_static_selectorELNS0_4arch9wavefront6targetE1EEEvT1_
; %bb.0:
	s_load_dwordx4 s[28:31], s[4:5], 0x0
	v_lshlrev_b32_e32 v18, 2, v0
	s_waitcnt lgkmcnt(0)
	s_load_dword s31, s[28:29], 0x0
	v_cmp_gt_u32_e32 vcc, s30, v0
	s_waitcnt lgkmcnt(0)
	v_mov_b32_e32 v1, s31
	s_and_saveexec_b64 s[0:1], vcc
	s_cbranch_execz .LBB4405_2
; %bb.1:
	global_load_dword v1, v18, s[28:29]
.LBB4405_2:
	s_or_b64 exec, exec, s[0:1]
	v_or_b32_e32 v2, 0x80, v0
	v_cmp_gt_u32_e64 s[0:1], s30, v2
	v_mov_b32_e32 v2, s31
	s_and_saveexec_b64 s[2:3], s[0:1]
	s_cbranch_execz .LBB4405_4
; %bb.3:
	global_load_dword v2, v18, s[28:29] offset:512
.LBB4405_4:
	s_or_b64 exec, exec, s[2:3]
	v_or_b32_e32 v3, 0x100, v0
	v_cmp_gt_u32_e64 s[2:3], s30, v3
	v_mov_b32_e32 v3, s31
	s_and_saveexec_b64 s[6:7], s[2:3]
	s_cbranch_execz .LBB4405_6
; %bb.5:
	global_load_dword v3, v18, s[28:29] offset:1024
.LBB4405_6:
	;; [unrolled: 9-line block ×7, first 2 shown]
	s_or_b64 exec, exec, s[14:15]
	v_or_b32_e32 v10, 0x400, v0
	v_cmp_gt_u32_e64 s[14:15], s30, v10
	v_mov_b32_e32 v9, s31
	s_and_saveexec_b64 s[16:17], s[14:15]
	s_cbranch_execz .LBB4405_18
; %bb.17:
	v_lshlrev_b32_e32 v9, 2, v10
	global_load_dword v9, v9, s[28:29]
.LBB4405_18:
	s_or_b64 exec, exec, s[16:17]
	v_or_b32_e32 v11, 0x480, v0
	v_cmp_gt_u32_e64 s[16:17], s30, v11
	v_mov_b32_e32 v10, s31
	s_and_saveexec_b64 s[18:19], s[16:17]
	s_cbranch_execz .LBB4405_20
; %bb.19:
	v_lshlrev_b32_e32 v10, 2, v11
	global_load_dword v10, v10, s[28:29]
.LBB4405_20:
	s_or_b64 exec, exec, s[18:19]
	v_or_b32_e32 v12, 0x500, v0
	v_cmp_gt_u32_e64 s[18:19], s30, v12
	v_mov_b32_e32 v11, s31
	s_and_saveexec_b64 s[20:21], s[18:19]
	s_cbranch_execz .LBB4405_22
; %bb.21:
	v_lshlrev_b32_e32 v11, 2, v12
	global_load_dword v11, v11, s[28:29]
.LBB4405_22:
	s_or_b64 exec, exec, s[20:21]
	v_or_b32_e32 v13, 0x580, v0
	v_cmp_gt_u32_e64 s[20:21], s30, v13
	v_mov_b32_e32 v12, s31
	s_and_saveexec_b64 s[22:23], s[20:21]
	s_cbranch_execz .LBB4405_24
; %bb.23:
	v_lshlrev_b32_e32 v12, 2, v13
	global_load_dword v12, v12, s[28:29]
.LBB4405_24:
	s_or_b64 exec, exec, s[22:23]
	v_or_b32_e32 v14, 0x600, v0
	v_cmp_gt_u32_e64 s[22:23], s30, v14
	v_mov_b32_e32 v13, s31
	s_and_saveexec_b64 s[24:25], s[22:23]
	s_cbranch_execz .LBB4405_26
; %bb.25:
	v_lshlrev_b32_e32 v13, 2, v14
	global_load_dword v13, v13, s[28:29]
.LBB4405_26:
	s_or_b64 exec, exec, s[24:25]
	s_load_dword s33, s[4:5], 0x10
	v_or_b32_e32 v15, 0x680, v0
	v_cmp_gt_u32_e64 s[24:25], s30, v15
	v_mov_b32_e32 v14, s31
	s_and_saveexec_b64 s[30:31], s[24:25]
	s_cbranch_execz .LBB4405_28
; %bb.27:
	v_lshlrev_b32_e32 v14, 2, v15
	global_load_dword v14, v14, s[28:29]
.LBB4405_28:
	s_or_b64 exec, exec, s[30:31]
	s_waitcnt vmcnt(0)
	ds_write2st64_b32 v18, v1, v2 offset1:2
	ds_write2st64_b32 v18, v3, v4 offset0:4 offset1:6
	ds_write2st64_b32 v18, v5, v6 offset0:8 offset1:10
	;; [unrolled: 1-line block ×6, first 2 shown]
	v_mad_u32_u24 v1, v0, 52, v18
	s_waitcnt lgkmcnt(0)
	s_barrier
	ds_read2_b64 v[10:13], v1 offset1:1
	ds_read2_b64 v[6:9], v1 offset0:2 offset1:3
	ds_read2_b64 v[2:5], v1 offset0:4 offset1:5
	ds_read_b64 v[14:15], v1 offset:48
	s_load_dwordx2 s[34:35], s[4:5], 0x18
	s_waitcnt lgkmcnt(0)
	v_add_f32_e32 v16, v10, v11
	v_add_f32_e32 v16, v16, v12
	;; [unrolled: 1-line block ×13, first 2 shown]
	v_lshrrev_b32_e32 v16, 3, v0
	v_and_b32_e32 v16, 12, v16
	v_add_u32_e32 v16, v18, v16
	v_cmp_gt_u32_e64 s[4:5], 64, v0
	s_barrier
	ds_write_b32 v16, v15
	s_waitcnt lgkmcnt(0)
	s_barrier
	s_and_saveexec_b64 s[36:37], s[4:5]
	s_cbranch_execz .LBB4405_30
; %bb.29:
	v_lshlrev_b32_e32 v16, 1, v0
	v_lshrrev_b32_e32 v17, 4, v0
	v_add_lshl_u32 v19, v17, v16, 2
	ds_read2_b32 v[16:17], v19 offset1:1
	v_mbcnt_lo_u32_b32 v20, -1, 0
	v_mbcnt_hi_u32_b32 v20, -1, v20
	v_and_b32_e32 v21, 15, v20
	v_cmp_eq_u32_e64 s[4:5], 0, v21
	s_waitcnt lgkmcnt(0)
	v_add_f32_e32 v17, v16, v17
	v_cmp_lt_u32_e64 s[28:29], 3, v21
	v_cmp_lt_u32_e64 s[30:31], 31, v20
	v_mov_b32_dpp v22, v17 row_shr:1 row_mask:0xf bank_mask:0xf
	v_add_f32_e32 v22, v17, v22
	v_cndmask_b32_e64 v17, v22, v17, s[4:5]
	v_cmp_lt_u32_e64 s[4:5], 1, v21
	s_nop 0
	v_mov_b32_dpp v22, v17 row_shr:2 row_mask:0xf bank_mask:0xf
	v_add_f32_e32 v22, v17, v22
	v_cndmask_b32_e64 v22, v17, v22, s[4:5]
	; wave barrier
	s_nop 1
	v_mov_b32_dpp v23, v22 row_shr:4 row_mask:0xf bank_mask:0xf
	v_add_f32_e32 v23, v22, v23
	v_cndmask_b32_e64 v22, v22, v23, s[28:29]
	v_cmp_lt_u32_e64 s[28:29], 7, v21
	s_nop 0
	v_mov_b32_dpp v23, v22 row_shr:8 row_mask:0xf bank_mask:0xf
	v_add_f32_e32 v23, v22, v23
	v_cndmask_b32_e64 v21, v22, v23, s[28:29]
	v_and_b32_e32 v23, 16, v20
	v_cmp_eq_u32_e64 s[28:29], 0, v23
	v_mov_b32_dpp v22, v21 row_bcast:15 row_mask:0xf bank_mask:0xf
	v_add_f32_e32 v22, v21, v22
	v_cndmask_b32_e64 v21, v22, v21, s[28:29]
	v_cmp_lt_u32_e64 s[28:29], 15, v20
	s_or_b64 s[4:5], s[28:29], s[4:5]
	v_mov_b32_dpp v22, v21 row_bcast:31 row_mask:0xf bank_mask:0xf
	v_add_f32_e32 v22, v21, v22
	v_cndmask_b32_e64 v21, v21, v22, s[30:31]
	v_cndmask_b32_e64 v17, v17, v21, s[4:5]
	v_add_u32_e32 v21, -1, v20
	v_and_b32_e32 v22, 64, v20
	v_cmp_lt_i32_e64 s[4:5], v21, v22
	v_cndmask_b32_e64 v20, v21, v20, s[4:5]
	v_lshlrev_b32_e32 v20, 2, v20
	ds_bpermute_b32 v17, v20, v17
	v_cmp_eq_u32_e64 s[4:5], 0, v0
	s_waitcnt lgkmcnt(0)
	v_add_f32_e32 v16, v16, v17
	v_cndmask_b32_e64 v15, v16, v15, s[4:5]
	ds_write_b32 v19, v15
	; wave barrier
	ds_read_b32 v16, v19 offset:4
	s_waitcnt lgkmcnt(0)
	v_add_f32_e32 v15, v15, v16
	ds_write_b32 v19, v15 offset:4
.LBB4405_30:
	s_or_b64 exec, exec, s[36:37]
	v_cmp_ne_u32_e64 s[4:5], 0, v0
	v_mov_b32_e32 v16, s33
	s_waitcnt lgkmcnt(0)
	s_barrier
	s_and_saveexec_b64 s[28:29], s[4:5]
	s_cbranch_execz .LBB4405_32
; %bb.31:
	v_add_u32_e32 v15, -1, v0
	v_lshrrev_b32_e32 v16, 5, v15
	v_add_lshl_u32 v15, v16, v15, 2
	ds_read_b32 v15, v15
	s_waitcnt lgkmcnt(0)
	v_add_f32_e32 v16, s33, v15
.LBB4405_32:
	s_or_b64 exec, exec, s[28:29]
	v_add_f32_e32 v17, v10, v16
	v_add_f32_e32 v10, v11, v17
	;; [unrolled: 1-line block ×12, first 2 shown]
	s_movk_i32 s4, 0xffcc
	v_add_f32_e32 v5, v14, v4
	v_mad_i32_i24 v0, v0, s4, v1
	s_barrier
	ds_write2_b64 v1, v[16:17], v[10:11] offset1:1
	ds_write2_b64 v1, v[12:13], v[6:7] offset0:2 offset1:3
	ds_write2_b64 v1, v[8:9], v[2:3] offset0:4 offset1:5
	ds_write_b64 v1, v[4:5] offset:48
	s_waitcnt lgkmcnt(0)
	s_barrier
	ds_read2st64_b32 v[12:13], v0 offset0:2 offset1:4
	ds_read2st64_b32 v[10:11], v0 offset0:6 offset1:8
	;; [unrolled: 1-line block ×4, first 2 shown]
	ds_read_b32 v14, v18 offset:4096
	ds_read2st64_b32 v[4:5], v0 offset0:20 offset1:22
	ds_read2st64_b32 v[0:1], v0 offset0:24 offset1:26
	v_mov_b32_e32 v3, s35
	v_add_co_u32_e64 v2, s[4:5], s34, v18
	v_addc_co_u32_e64 v3, s[4:5], 0, v3, s[4:5]
	s_and_saveexec_b64 s[4:5], vcc
	s_cbranch_execnz .LBB4405_47
; %bb.33:
	s_or_b64 exec, exec, s[4:5]
	s_and_saveexec_b64 s[4:5], s[0:1]
	s_cbranch_execnz .LBB4405_48
.LBB4405_34:
	s_or_b64 exec, exec, s[4:5]
	s_and_saveexec_b64 s[0:1], s[2:3]
	s_cbranch_execnz .LBB4405_49
.LBB4405_35:
	s_or_b64 exec, exec, s[0:1]
	s_and_saveexec_b64 s[0:1], s[26:27]
	s_cbranch_execnz .LBB4405_50
.LBB4405_36:
	s_or_b64 exec, exec, s[0:1]
	s_and_saveexec_b64 s[0:1], s[6:7]
	s_cbranch_execnz .LBB4405_51
.LBB4405_37:
	s_or_b64 exec, exec, s[0:1]
	s_and_saveexec_b64 s[0:1], s[8:9]
	s_cbranch_execnz .LBB4405_52
.LBB4405_38:
	s_or_b64 exec, exec, s[0:1]
	s_and_saveexec_b64 s[0:1], s[10:11]
	s_cbranch_execnz .LBB4405_53
.LBB4405_39:
	s_or_b64 exec, exec, s[0:1]
	s_and_saveexec_b64 s[0:1], s[12:13]
	s_cbranch_execnz .LBB4405_54
.LBB4405_40:
	s_or_b64 exec, exec, s[0:1]
	s_and_saveexec_b64 s[0:1], s[14:15]
	s_cbranch_execnz .LBB4405_55
.LBB4405_41:
	s_or_b64 exec, exec, s[0:1]
	s_and_saveexec_b64 s[0:1], s[16:17]
	s_cbranch_execnz .LBB4405_56
.LBB4405_42:
	s_or_b64 exec, exec, s[0:1]
	s_and_saveexec_b64 s[0:1], s[18:19]
	s_cbranch_execnz .LBB4405_57
.LBB4405_43:
	s_or_b64 exec, exec, s[0:1]
	s_and_saveexec_b64 s[0:1], s[20:21]
	s_cbranch_execnz .LBB4405_58
.LBB4405_44:
	s_or_b64 exec, exec, s[0:1]
	s_and_saveexec_b64 s[0:1], s[22:23]
	s_cbranch_execnz .LBB4405_59
.LBB4405_45:
	s_or_b64 exec, exec, s[0:1]
	s_and_saveexec_b64 s[0:1], s[24:25]
	s_cbranch_execnz .LBB4405_60
.LBB4405_46:
	s_endpgm
.LBB4405_47:
	ds_read_b32 v15, v18
	s_waitcnt lgkmcnt(0)
	global_store_dword v[2:3], v15, off
	s_or_b64 exec, exec, s[4:5]
	s_and_saveexec_b64 s[4:5], s[0:1]
	s_cbranch_execz .LBB4405_34
.LBB4405_48:
	s_waitcnt lgkmcnt(6)
	global_store_dword v[2:3], v12, off offset:512
	s_or_b64 exec, exec, s[4:5]
	s_and_saveexec_b64 s[0:1], s[2:3]
	s_cbranch_execz .LBB4405_35
.LBB4405_49:
	s_waitcnt lgkmcnt(6)
	global_store_dword v[2:3], v13, off offset:1024
	s_or_b64 exec, exec, s[0:1]
	s_and_saveexec_b64 s[0:1], s[26:27]
	s_cbranch_execz .LBB4405_36
.LBB4405_50:
	s_waitcnt lgkmcnt(5)
	global_store_dword v[2:3], v10, off offset:1536
	s_or_b64 exec, exec, s[0:1]
	s_and_saveexec_b64 s[0:1], s[6:7]
	s_cbranch_execz .LBB4405_37
.LBB4405_51:
	s_waitcnt lgkmcnt(5)
	global_store_dword v[2:3], v11, off offset:2048
	s_or_b64 exec, exec, s[0:1]
	s_and_saveexec_b64 s[0:1], s[8:9]
	s_cbranch_execz .LBB4405_38
.LBB4405_52:
	s_waitcnt lgkmcnt(4)
	global_store_dword v[2:3], v8, off offset:2560
	s_or_b64 exec, exec, s[0:1]
	s_and_saveexec_b64 s[0:1], s[10:11]
	s_cbranch_execz .LBB4405_39
.LBB4405_53:
	s_waitcnt lgkmcnt(4)
	global_store_dword v[2:3], v9, off offset:3072
	s_or_b64 exec, exec, s[0:1]
	s_and_saveexec_b64 s[0:1], s[12:13]
	s_cbranch_execz .LBB4405_40
.LBB4405_54:
	s_waitcnt lgkmcnt(3)
	global_store_dword v[2:3], v6, off offset:3584
	s_or_b64 exec, exec, s[0:1]
	s_and_saveexec_b64 s[0:1], s[14:15]
	s_cbranch_execz .LBB4405_41
.LBB4405_55:
	s_waitcnt lgkmcnt(4)
	v_add_co_u32_e32 v8, vcc, 0x1000, v2
	v_addc_co_u32_e32 v9, vcc, 0, v3, vcc
	s_waitcnt lgkmcnt(2)
	global_store_dword v[8:9], v14, off
	s_or_b64 exec, exec, s[0:1]
	s_and_saveexec_b64 s[0:1], s[16:17]
	s_cbranch_execz .LBB4405_42
.LBB4405_56:
	s_waitcnt lgkmcnt(4)
	v_add_co_u32_e32 v8, vcc, 0x1000, v2
	v_addc_co_u32_e32 v9, vcc, 0, v3, vcc
	s_waitcnt lgkmcnt(3)
	global_store_dword v[8:9], v7, off offset:512
	s_or_b64 exec, exec, s[0:1]
	s_and_saveexec_b64 s[0:1], s[18:19]
	s_cbranch_execz .LBB4405_43
.LBB4405_57:
	s_waitcnt lgkmcnt(3)
	v_add_co_u32_e32 v6, vcc, 0x1000, v2
	v_addc_co_u32_e32 v7, vcc, 0, v3, vcc
	s_waitcnt lgkmcnt(1)
	global_store_dword v[6:7], v4, off offset:1024
	s_or_b64 exec, exec, s[0:1]
	s_and_saveexec_b64 s[0:1], s[20:21]
	s_cbranch_execz .LBB4405_44
.LBB4405_58:
	s_waitcnt lgkmcnt(3)
	v_add_co_u32_e32 v6, vcc, 0x1000, v2
	v_addc_co_u32_e32 v7, vcc, 0, v3, vcc
	s_waitcnt lgkmcnt(1)
	global_store_dword v[6:7], v5, off offset:1536
	s_or_b64 exec, exec, s[0:1]
	s_and_saveexec_b64 s[0:1], s[22:23]
	s_cbranch_execz .LBB4405_45
.LBB4405_59:
	s_waitcnt lgkmcnt(1)
	v_add_co_u32_e32 v4, vcc, 0x1000, v2
	v_addc_co_u32_e32 v5, vcc, 0, v3, vcc
	s_waitcnt lgkmcnt(0)
	global_store_dword v[4:5], v0, off offset:2048
	s_or_b64 exec, exec, s[0:1]
	s_and_saveexec_b64 s[0:1], s[24:25]
	s_cbranch_execz .LBB4405_46
.LBB4405_60:
	v_add_co_u32_e32 v2, vcc, 0x1000, v2
	v_addc_co_u32_e32 v3, vcc, 0, v3, vcc
	s_waitcnt lgkmcnt(0)
	global_store_dword v[2:3], v1, off offset:2560
	s_endpgm
	.section	.rodata,"a",@progbits
	.p2align	6, 0x0
	.amdhsa_kernel _ZN7rocprim17ROCPRIM_400000_NS6detail17trampoline_kernelINS0_14default_configENS1_20scan_config_selectorIfEEZZNS1_9scan_implILNS1_25lookback_scan_determinismE0ELb1ELb1ES3_N6thrust23THRUST_200600_302600_NS6detail15normal_iteratorINS9_10device_ptrIfEEEESE_fNS9_4plusIvEEfEEDaPvRmT3_T4_T5_mT6_P12ihipStream_tbENKUlT_T0_E_clISt17integral_constantIbLb1EEST_IbLb0EEEEDaSP_SQ_EUlSP_E0_NS1_11comp_targetILNS1_3genE4ELNS1_11target_archE910ELNS1_3gpuE8ELNS1_3repE0EEENS1_30default_config_static_selectorELNS0_4arch9wavefront6targetE1EEEvT1_
		.amdhsa_group_segment_fixed_size 7168
		.amdhsa_private_segment_fixed_size 0
		.amdhsa_kernarg_size 32
		.amdhsa_user_sgpr_count 6
		.amdhsa_user_sgpr_private_segment_buffer 1
		.amdhsa_user_sgpr_dispatch_ptr 0
		.amdhsa_user_sgpr_queue_ptr 0
		.amdhsa_user_sgpr_kernarg_segment_ptr 1
		.amdhsa_user_sgpr_dispatch_id 0
		.amdhsa_user_sgpr_flat_scratch_init 0
		.amdhsa_user_sgpr_kernarg_preload_length 0
		.amdhsa_user_sgpr_kernarg_preload_offset 0
		.amdhsa_user_sgpr_private_segment_size 0
		.amdhsa_uses_dynamic_stack 0
		.amdhsa_system_sgpr_private_segment_wavefront_offset 0
		.amdhsa_system_sgpr_workgroup_id_x 1
		.amdhsa_system_sgpr_workgroup_id_y 0
		.amdhsa_system_sgpr_workgroup_id_z 0
		.amdhsa_system_sgpr_workgroup_info 0
		.amdhsa_system_vgpr_workitem_id 0
		.amdhsa_next_free_vgpr 24
		.amdhsa_next_free_sgpr 38
		.amdhsa_accum_offset 24
		.amdhsa_reserve_vcc 1
		.amdhsa_reserve_flat_scratch 0
		.amdhsa_float_round_mode_32 0
		.amdhsa_float_round_mode_16_64 0
		.amdhsa_float_denorm_mode_32 3
		.amdhsa_float_denorm_mode_16_64 3
		.amdhsa_dx10_clamp 1
		.amdhsa_ieee_mode 1
		.amdhsa_fp16_overflow 0
		.amdhsa_tg_split 0
		.amdhsa_exception_fp_ieee_invalid_op 0
		.amdhsa_exception_fp_denorm_src 0
		.amdhsa_exception_fp_ieee_div_zero 0
		.amdhsa_exception_fp_ieee_overflow 0
		.amdhsa_exception_fp_ieee_underflow 0
		.amdhsa_exception_fp_ieee_inexact 0
		.amdhsa_exception_int_div_zero 0
	.end_amdhsa_kernel
	.section	.text._ZN7rocprim17ROCPRIM_400000_NS6detail17trampoline_kernelINS0_14default_configENS1_20scan_config_selectorIfEEZZNS1_9scan_implILNS1_25lookback_scan_determinismE0ELb1ELb1ES3_N6thrust23THRUST_200600_302600_NS6detail15normal_iteratorINS9_10device_ptrIfEEEESE_fNS9_4plusIvEEfEEDaPvRmT3_T4_T5_mT6_P12ihipStream_tbENKUlT_T0_E_clISt17integral_constantIbLb1EEST_IbLb0EEEEDaSP_SQ_EUlSP_E0_NS1_11comp_targetILNS1_3genE4ELNS1_11target_archE910ELNS1_3gpuE8ELNS1_3repE0EEENS1_30default_config_static_selectorELNS0_4arch9wavefront6targetE1EEEvT1_,"axG",@progbits,_ZN7rocprim17ROCPRIM_400000_NS6detail17trampoline_kernelINS0_14default_configENS1_20scan_config_selectorIfEEZZNS1_9scan_implILNS1_25lookback_scan_determinismE0ELb1ELb1ES3_N6thrust23THRUST_200600_302600_NS6detail15normal_iteratorINS9_10device_ptrIfEEEESE_fNS9_4plusIvEEfEEDaPvRmT3_T4_T5_mT6_P12ihipStream_tbENKUlT_T0_E_clISt17integral_constantIbLb1EEST_IbLb0EEEEDaSP_SQ_EUlSP_E0_NS1_11comp_targetILNS1_3genE4ELNS1_11target_archE910ELNS1_3gpuE8ELNS1_3repE0EEENS1_30default_config_static_selectorELNS0_4arch9wavefront6targetE1EEEvT1_,comdat
.Lfunc_end4405:
	.size	_ZN7rocprim17ROCPRIM_400000_NS6detail17trampoline_kernelINS0_14default_configENS1_20scan_config_selectorIfEEZZNS1_9scan_implILNS1_25lookback_scan_determinismE0ELb1ELb1ES3_N6thrust23THRUST_200600_302600_NS6detail15normal_iteratorINS9_10device_ptrIfEEEESE_fNS9_4plusIvEEfEEDaPvRmT3_T4_T5_mT6_P12ihipStream_tbENKUlT_T0_E_clISt17integral_constantIbLb1EEST_IbLb0EEEEDaSP_SQ_EUlSP_E0_NS1_11comp_targetILNS1_3genE4ELNS1_11target_archE910ELNS1_3gpuE8ELNS1_3repE0EEENS1_30default_config_static_selectorELNS0_4arch9wavefront6targetE1EEEvT1_, .Lfunc_end4405-_ZN7rocprim17ROCPRIM_400000_NS6detail17trampoline_kernelINS0_14default_configENS1_20scan_config_selectorIfEEZZNS1_9scan_implILNS1_25lookback_scan_determinismE0ELb1ELb1ES3_N6thrust23THRUST_200600_302600_NS6detail15normal_iteratorINS9_10device_ptrIfEEEESE_fNS9_4plusIvEEfEEDaPvRmT3_T4_T5_mT6_P12ihipStream_tbENKUlT_T0_E_clISt17integral_constantIbLb1EEST_IbLb0EEEEDaSP_SQ_EUlSP_E0_NS1_11comp_targetILNS1_3genE4ELNS1_11target_archE910ELNS1_3gpuE8ELNS1_3repE0EEENS1_30default_config_static_selectorELNS0_4arch9wavefront6targetE1EEEvT1_
                                        ; -- End function
	.section	.AMDGPU.csdata,"",@progbits
; Kernel info:
; codeLenInByte = 2024
; NumSgprs: 42
; NumVgprs: 24
; NumAgprs: 0
; TotalNumVgprs: 24
; ScratchSize: 0
; MemoryBound: 0
; FloatMode: 240
; IeeeMode: 1
; LDSByteSize: 7168 bytes/workgroup (compile time only)
; SGPRBlocks: 5
; VGPRBlocks: 2
; NumSGPRsForWavesPerEU: 42
; NumVGPRsForWavesPerEU: 24
; AccumOffset: 24
; Occupancy: 5
; WaveLimiterHint : 0
; COMPUTE_PGM_RSRC2:SCRATCH_EN: 0
; COMPUTE_PGM_RSRC2:USER_SGPR: 6
; COMPUTE_PGM_RSRC2:TRAP_HANDLER: 0
; COMPUTE_PGM_RSRC2:TGID_X_EN: 1
; COMPUTE_PGM_RSRC2:TGID_Y_EN: 0
; COMPUTE_PGM_RSRC2:TGID_Z_EN: 0
; COMPUTE_PGM_RSRC2:TIDIG_COMP_CNT: 0
; COMPUTE_PGM_RSRC3_GFX90A:ACCUM_OFFSET: 5
; COMPUTE_PGM_RSRC3_GFX90A:TG_SPLIT: 0
	.section	.text._ZN7rocprim17ROCPRIM_400000_NS6detail17trampoline_kernelINS0_14default_configENS1_20scan_config_selectorIfEEZZNS1_9scan_implILNS1_25lookback_scan_determinismE0ELb1ELb1ES3_N6thrust23THRUST_200600_302600_NS6detail15normal_iteratorINS9_10device_ptrIfEEEESE_fNS9_4plusIvEEfEEDaPvRmT3_T4_T5_mT6_P12ihipStream_tbENKUlT_T0_E_clISt17integral_constantIbLb1EEST_IbLb0EEEEDaSP_SQ_EUlSP_E0_NS1_11comp_targetILNS1_3genE3ELNS1_11target_archE908ELNS1_3gpuE7ELNS1_3repE0EEENS1_30default_config_static_selectorELNS0_4arch9wavefront6targetE1EEEvT1_,"axG",@progbits,_ZN7rocprim17ROCPRIM_400000_NS6detail17trampoline_kernelINS0_14default_configENS1_20scan_config_selectorIfEEZZNS1_9scan_implILNS1_25lookback_scan_determinismE0ELb1ELb1ES3_N6thrust23THRUST_200600_302600_NS6detail15normal_iteratorINS9_10device_ptrIfEEEESE_fNS9_4plusIvEEfEEDaPvRmT3_T4_T5_mT6_P12ihipStream_tbENKUlT_T0_E_clISt17integral_constantIbLb1EEST_IbLb0EEEEDaSP_SQ_EUlSP_E0_NS1_11comp_targetILNS1_3genE3ELNS1_11target_archE908ELNS1_3gpuE7ELNS1_3repE0EEENS1_30default_config_static_selectorELNS0_4arch9wavefront6targetE1EEEvT1_,comdat
	.protected	_ZN7rocprim17ROCPRIM_400000_NS6detail17trampoline_kernelINS0_14default_configENS1_20scan_config_selectorIfEEZZNS1_9scan_implILNS1_25lookback_scan_determinismE0ELb1ELb1ES3_N6thrust23THRUST_200600_302600_NS6detail15normal_iteratorINS9_10device_ptrIfEEEESE_fNS9_4plusIvEEfEEDaPvRmT3_T4_T5_mT6_P12ihipStream_tbENKUlT_T0_E_clISt17integral_constantIbLb1EEST_IbLb0EEEEDaSP_SQ_EUlSP_E0_NS1_11comp_targetILNS1_3genE3ELNS1_11target_archE908ELNS1_3gpuE7ELNS1_3repE0EEENS1_30default_config_static_selectorELNS0_4arch9wavefront6targetE1EEEvT1_ ; -- Begin function _ZN7rocprim17ROCPRIM_400000_NS6detail17trampoline_kernelINS0_14default_configENS1_20scan_config_selectorIfEEZZNS1_9scan_implILNS1_25lookback_scan_determinismE0ELb1ELb1ES3_N6thrust23THRUST_200600_302600_NS6detail15normal_iteratorINS9_10device_ptrIfEEEESE_fNS9_4plusIvEEfEEDaPvRmT3_T4_T5_mT6_P12ihipStream_tbENKUlT_T0_E_clISt17integral_constantIbLb1EEST_IbLb0EEEEDaSP_SQ_EUlSP_E0_NS1_11comp_targetILNS1_3genE3ELNS1_11target_archE908ELNS1_3gpuE7ELNS1_3repE0EEENS1_30default_config_static_selectorELNS0_4arch9wavefront6targetE1EEEvT1_
	.globl	_ZN7rocprim17ROCPRIM_400000_NS6detail17trampoline_kernelINS0_14default_configENS1_20scan_config_selectorIfEEZZNS1_9scan_implILNS1_25lookback_scan_determinismE0ELb1ELb1ES3_N6thrust23THRUST_200600_302600_NS6detail15normal_iteratorINS9_10device_ptrIfEEEESE_fNS9_4plusIvEEfEEDaPvRmT3_T4_T5_mT6_P12ihipStream_tbENKUlT_T0_E_clISt17integral_constantIbLb1EEST_IbLb0EEEEDaSP_SQ_EUlSP_E0_NS1_11comp_targetILNS1_3genE3ELNS1_11target_archE908ELNS1_3gpuE7ELNS1_3repE0EEENS1_30default_config_static_selectorELNS0_4arch9wavefront6targetE1EEEvT1_
	.p2align	8
	.type	_ZN7rocprim17ROCPRIM_400000_NS6detail17trampoline_kernelINS0_14default_configENS1_20scan_config_selectorIfEEZZNS1_9scan_implILNS1_25lookback_scan_determinismE0ELb1ELb1ES3_N6thrust23THRUST_200600_302600_NS6detail15normal_iteratorINS9_10device_ptrIfEEEESE_fNS9_4plusIvEEfEEDaPvRmT3_T4_T5_mT6_P12ihipStream_tbENKUlT_T0_E_clISt17integral_constantIbLb1EEST_IbLb0EEEEDaSP_SQ_EUlSP_E0_NS1_11comp_targetILNS1_3genE3ELNS1_11target_archE908ELNS1_3gpuE7ELNS1_3repE0EEENS1_30default_config_static_selectorELNS0_4arch9wavefront6targetE1EEEvT1_,@function
_ZN7rocprim17ROCPRIM_400000_NS6detail17trampoline_kernelINS0_14default_configENS1_20scan_config_selectorIfEEZZNS1_9scan_implILNS1_25lookback_scan_determinismE0ELb1ELb1ES3_N6thrust23THRUST_200600_302600_NS6detail15normal_iteratorINS9_10device_ptrIfEEEESE_fNS9_4plusIvEEfEEDaPvRmT3_T4_T5_mT6_P12ihipStream_tbENKUlT_T0_E_clISt17integral_constantIbLb1EEST_IbLb0EEEEDaSP_SQ_EUlSP_E0_NS1_11comp_targetILNS1_3genE3ELNS1_11target_archE908ELNS1_3gpuE7ELNS1_3repE0EEENS1_30default_config_static_selectorELNS0_4arch9wavefront6targetE1EEEvT1_: ; @_ZN7rocprim17ROCPRIM_400000_NS6detail17trampoline_kernelINS0_14default_configENS1_20scan_config_selectorIfEEZZNS1_9scan_implILNS1_25lookback_scan_determinismE0ELb1ELb1ES3_N6thrust23THRUST_200600_302600_NS6detail15normal_iteratorINS9_10device_ptrIfEEEESE_fNS9_4plusIvEEfEEDaPvRmT3_T4_T5_mT6_P12ihipStream_tbENKUlT_T0_E_clISt17integral_constantIbLb1EEST_IbLb0EEEEDaSP_SQ_EUlSP_E0_NS1_11comp_targetILNS1_3genE3ELNS1_11target_archE908ELNS1_3gpuE7ELNS1_3repE0EEENS1_30default_config_static_selectorELNS0_4arch9wavefront6targetE1EEEvT1_
; %bb.0:
	.section	.rodata,"a",@progbits
	.p2align	6, 0x0
	.amdhsa_kernel _ZN7rocprim17ROCPRIM_400000_NS6detail17trampoline_kernelINS0_14default_configENS1_20scan_config_selectorIfEEZZNS1_9scan_implILNS1_25lookback_scan_determinismE0ELb1ELb1ES3_N6thrust23THRUST_200600_302600_NS6detail15normal_iteratorINS9_10device_ptrIfEEEESE_fNS9_4plusIvEEfEEDaPvRmT3_T4_T5_mT6_P12ihipStream_tbENKUlT_T0_E_clISt17integral_constantIbLb1EEST_IbLb0EEEEDaSP_SQ_EUlSP_E0_NS1_11comp_targetILNS1_3genE3ELNS1_11target_archE908ELNS1_3gpuE7ELNS1_3repE0EEENS1_30default_config_static_selectorELNS0_4arch9wavefront6targetE1EEEvT1_
		.amdhsa_group_segment_fixed_size 0
		.amdhsa_private_segment_fixed_size 0
		.amdhsa_kernarg_size 32
		.amdhsa_user_sgpr_count 6
		.amdhsa_user_sgpr_private_segment_buffer 1
		.amdhsa_user_sgpr_dispatch_ptr 0
		.amdhsa_user_sgpr_queue_ptr 0
		.amdhsa_user_sgpr_kernarg_segment_ptr 1
		.amdhsa_user_sgpr_dispatch_id 0
		.amdhsa_user_sgpr_flat_scratch_init 0
		.amdhsa_user_sgpr_kernarg_preload_length 0
		.amdhsa_user_sgpr_kernarg_preload_offset 0
		.amdhsa_user_sgpr_private_segment_size 0
		.amdhsa_uses_dynamic_stack 0
		.amdhsa_system_sgpr_private_segment_wavefront_offset 0
		.amdhsa_system_sgpr_workgroup_id_x 1
		.amdhsa_system_sgpr_workgroup_id_y 0
		.amdhsa_system_sgpr_workgroup_id_z 0
		.amdhsa_system_sgpr_workgroup_info 0
		.amdhsa_system_vgpr_workitem_id 0
		.amdhsa_next_free_vgpr 1
		.amdhsa_next_free_sgpr 0
		.amdhsa_accum_offset 4
		.amdhsa_reserve_vcc 0
		.amdhsa_reserve_flat_scratch 0
		.amdhsa_float_round_mode_32 0
		.amdhsa_float_round_mode_16_64 0
		.amdhsa_float_denorm_mode_32 3
		.amdhsa_float_denorm_mode_16_64 3
		.amdhsa_dx10_clamp 1
		.amdhsa_ieee_mode 1
		.amdhsa_fp16_overflow 0
		.amdhsa_tg_split 0
		.amdhsa_exception_fp_ieee_invalid_op 0
		.amdhsa_exception_fp_denorm_src 0
		.amdhsa_exception_fp_ieee_div_zero 0
		.amdhsa_exception_fp_ieee_overflow 0
		.amdhsa_exception_fp_ieee_underflow 0
		.amdhsa_exception_fp_ieee_inexact 0
		.amdhsa_exception_int_div_zero 0
	.end_amdhsa_kernel
	.section	.text._ZN7rocprim17ROCPRIM_400000_NS6detail17trampoline_kernelINS0_14default_configENS1_20scan_config_selectorIfEEZZNS1_9scan_implILNS1_25lookback_scan_determinismE0ELb1ELb1ES3_N6thrust23THRUST_200600_302600_NS6detail15normal_iteratorINS9_10device_ptrIfEEEESE_fNS9_4plusIvEEfEEDaPvRmT3_T4_T5_mT6_P12ihipStream_tbENKUlT_T0_E_clISt17integral_constantIbLb1EEST_IbLb0EEEEDaSP_SQ_EUlSP_E0_NS1_11comp_targetILNS1_3genE3ELNS1_11target_archE908ELNS1_3gpuE7ELNS1_3repE0EEENS1_30default_config_static_selectorELNS0_4arch9wavefront6targetE1EEEvT1_,"axG",@progbits,_ZN7rocprim17ROCPRIM_400000_NS6detail17trampoline_kernelINS0_14default_configENS1_20scan_config_selectorIfEEZZNS1_9scan_implILNS1_25lookback_scan_determinismE0ELb1ELb1ES3_N6thrust23THRUST_200600_302600_NS6detail15normal_iteratorINS9_10device_ptrIfEEEESE_fNS9_4plusIvEEfEEDaPvRmT3_T4_T5_mT6_P12ihipStream_tbENKUlT_T0_E_clISt17integral_constantIbLb1EEST_IbLb0EEEEDaSP_SQ_EUlSP_E0_NS1_11comp_targetILNS1_3genE3ELNS1_11target_archE908ELNS1_3gpuE7ELNS1_3repE0EEENS1_30default_config_static_selectorELNS0_4arch9wavefront6targetE1EEEvT1_,comdat
.Lfunc_end4406:
	.size	_ZN7rocprim17ROCPRIM_400000_NS6detail17trampoline_kernelINS0_14default_configENS1_20scan_config_selectorIfEEZZNS1_9scan_implILNS1_25lookback_scan_determinismE0ELb1ELb1ES3_N6thrust23THRUST_200600_302600_NS6detail15normal_iteratorINS9_10device_ptrIfEEEESE_fNS9_4plusIvEEfEEDaPvRmT3_T4_T5_mT6_P12ihipStream_tbENKUlT_T0_E_clISt17integral_constantIbLb1EEST_IbLb0EEEEDaSP_SQ_EUlSP_E0_NS1_11comp_targetILNS1_3genE3ELNS1_11target_archE908ELNS1_3gpuE7ELNS1_3repE0EEENS1_30default_config_static_selectorELNS0_4arch9wavefront6targetE1EEEvT1_, .Lfunc_end4406-_ZN7rocprim17ROCPRIM_400000_NS6detail17trampoline_kernelINS0_14default_configENS1_20scan_config_selectorIfEEZZNS1_9scan_implILNS1_25lookback_scan_determinismE0ELb1ELb1ES3_N6thrust23THRUST_200600_302600_NS6detail15normal_iteratorINS9_10device_ptrIfEEEESE_fNS9_4plusIvEEfEEDaPvRmT3_T4_T5_mT6_P12ihipStream_tbENKUlT_T0_E_clISt17integral_constantIbLb1EEST_IbLb0EEEEDaSP_SQ_EUlSP_E0_NS1_11comp_targetILNS1_3genE3ELNS1_11target_archE908ELNS1_3gpuE7ELNS1_3repE0EEENS1_30default_config_static_selectorELNS0_4arch9wavefront6targetE1EEEvT1_
                                        ; -- End function
	.section	.AMDGPU.csdata,"",@progbits
; Kernel info:
; codeLenInByte = 0
; NumSgprs: 4
; NumVgprs: 0
; NumAgprs: 0
; TotalNumVgprs: 0
; ScratchSize: 0
; MemoryBound: 0
; FloatMode: 240
; IeeeMode: 1
; LDSByteSize: 0 bytes/workgroup (compile time only)
; SGPRBlocks: 0
; VGPRBlocks: 0
; NumSGPRsForWavesPerEU: 4
; NumVGPRsForWavesPerEU: 1
; AccumOffset: 4
; Occupancy: 8
; WaveLimiterHint : 0
; COMPUTE_PGM_RSRC2:SCRATCH_EN: 0
; COMPUTE_PGM_RSRC2:USER_SGPR: 6
; COMPUTE_PGM_RSRC2:TRAP_HANDLER: 0
; COMPUTE_PGM_RSRC2:TGID_X_EN: 1
; COMPUTE_PGM_RSRC2:TGID_Y_EN: 0
; COMPUTE_PGM_RSRC2:TGID_Z_EN: 0
; COMPUTE_PGM_RSRC2:TIDIG_COMP_CNT: 0
; COMPUTE_PGM_RSRC3_GFX90A:ACCUM_OFFSET: 0
; COMPUTE_PGM_RSRC3_GFX90A:TG_SPLIT: 0
	.section	.text._ZN7rocprim17ROCPRIM_400000_NS6detail17trampoline_kernelINS0_14default_configENS1_20scan_config_selectorIfEEZZNS1_9scan_implILNS1_25lookback_scan_determinismE0ELb1ELb1ES3_N6thrust23THRUST_200600_302600_NS6detail15normal_iteratorINS9_10device_ptrIfEEEESE_fNS9_4plusIvEEfEEDaPvRmT3_T4_T5_mT6_P12ihipStream_tbENKUlT_T0_E_clISt17integral_constantIbLb1EEST_IbLb0EEEEDaSP_SQ_EUlSP_E0_NS1_11comp_targetILNS1_3genE2ELNS1_11target_archE906ELNS1_3gpuE6ELNS1_3repE0EEENS1_30default_config_static_selectorELNS0_4arch9wavefront6targetE1EEEvT1_,"axG",@progbits,_ZN7rocprim17ROCPRIM_400000_NS6detail17trampoline_kernelINS0_14default_configENS1_20scan_config_selectorIfEEZZNS1_9scan_implILNS1_25lookback_scan_determinismE0ELb1ELb1ES3_N6thrust23THRUST_200600_302600_NS6detail15normal_iteratorINS9_10device_ptrIfEEEESE_fNS9_4plusIvEEfEEDaPvRmT3_T4_T5_mT6_P12ihipStream_tbENKUlT_T0_E_clISt17integral_constantIbLb1EEST_IbLb0EEEEDaSP_SQ_EUlSP_E0_NS1_11comp_targetILNS1_3genE2ELNS1_11target_archE906ELNS1_3gpuE6ELNS1_3repE0EEENS1_30default_config_static_selectorELNS0_4arch9wavefront6targetE1EEEvT1_,comdat
	.protected	_ZN7rocprim17ROCPRIM_400000_NS6detail17trampoline_kernelINS0_14default_configENS1_20scan_config_selectorIfEEZZNS1_9scan_implILNS1_25lookback_scan_determinismE0ELb1ELb1ES3_N6thrust23THRUST_200600_302600_NS6detail15normal_iteratorINS9_10device_ptrIfEEEESE_fNS9_4plusIvEEfEEDaPvRmT3_T4_T5_mT6_P12ihipStream_tbENKUlT_T0_E_clISt17integral_constantIbLb1EEST_IbLb0EEEEDaSP_SQ_EUlSP_E0_NS1_11comp_targetILNS1_3genE2ELNS1_11target_archE906ELNS1_3gpuE6ELNS1_3repE0EEENS1_30default_config_static_selectorELNS0_4arch9wavefront6targetE1EEEvT1_ ; -- Begin function _ZN7rocprim17ROCPRIM_400000_NS6detail17trampoline_kernelINS0_14default_configENS1_20scan_config_selectorIfEEZZNS1_9scan_implILNS1_25lookback_scan_determinismE0ELb1ELb1ES3_N6thrust23THRUST_200600_302600_NS6detail15normal_iteratorINS9_10device_ptrIfEEEESE_fNS9_4plusIvEEfEEDaPvRmT3_T4_T5_mT6_P12ihipStream_tbENKUlT_T0_E_clISt17integral_constantIbLb1EEST_IbLb0EEEEDaSP_SQ_EUlSP_E0_NS1_11comp_targetILNS1_3genE2ELNS1_11target_archE906ELNS1_3gpuE6ELNS1_3repE0EEENS1_30default_config_static_selectorELNS0_4arch9wavefront6targetE1EEEvT1_
	.globl	_ZN7rocprim17ROCPRIM_400000_NS6detail17trampoline_kernelINS0_14default_configENS1_20scan_config_selectorIfEEZZNS1_9scan_implILNS1_25lookback_scan_determinismE0ELb1ELb1ES3_N6thrust23THRUST_200600_302600_NS6detail15normal_iteratorINS9_10device_ptrIfEEEESE_fNS9_4plusIvEEfEEDaPvRmT3_T4_T5_mT6_P12ihipStream_tbENKUlT_T0_E_clISt17integral_constantIbLb1EEST_IbLb0EEEEDaSP_SQ_EUlSP_E0_NS1_11comp_targetILNS1_3genE2ELNS1_11target_archE906ELNS1_3gpuE6ELNS1_3repE0EEENS1_30default_config_static_selectorELNS0_4arch9wavefront6targetE1EEEvT1_
	.p2align	8
	.type	_ZN7rocprim17ROCPRIM_400000_NS6detail17trampoline_kernelINS0_14default_configENS1_20scan_config_selectorIfEEZZNS1_9scan_implILNS1_25lookback_scan_determinismE0ELb1ELb1ES3_N6thrust23THRUST_200600_302600_NS6detail15normal_iteratorINS9_10device_ptrIfEEEESE_fNS9_4plusIvEEfEEDaPvRmT3_T4_T5_mT6_P12ihipStream_tbENKUlT_T0_E_clISt17integral_constantIbLb1EEST_IbLb0EEEEDaSP_SQ_EUlSP_E0_NS1_11comp_targetILNS1_3genE2ELNS1_11target_archE906ELNS1_3gpuE6ELNS1_3repE0EEENS1_30default_config_static_selectorELNS0_4arch9wavefront6targetE1EEEvT1_,@function
_ZN7rocprim17ROCPRIM_400000_NS6detail17trampoline_kernelINS0_14default_configENS1_20scan_config_selectorIfEEZZNS1_9scan_implILNS1_25lookback_scan_determinismE0ELb1ELb1ES3_N6thrust23THRUST_200600_302600_NS6detail15normal_iteratorINS9_10device_ptrIfEEEESE_fNS9_4plusIvEEfEEDaPvRmT3_T4_T5_mT6_P12ihipStream_tbENKUlT_T0_E_clISt17integral_constantIbLb1EEST_IbLb0EEEEDaSP_SQ_EUlSP_E0_NS1_11comp_targetILNS1_3genE2ELNS1_11target_archE906ELNS1_3gpuE6ELNS1_3repE0EEENS1_30default_config_static_selectorELNS0_4arch9wavefront6targetE1EEEvT1_: ; @_ZN7rocprim17ROCPRIM_400000_NS6detail17trampoline_kernelINS0_14default_configENS1_20scan_config_selectorIfEEZZNS1_9scan_implILNS1_25lookback_scan_determinismE0ELb1ELb1ES3_N6thrust23THRUST_200600_302600_NS6detail15normal_iteratorINS9_10device_ptrIfEEEESE_fNS9_4plusIvEEfEEDaPvRmT3_T4_T5_mT6_P12ihipStream_tbENKUlT_T0_E_clISt17integral_constantIbLb1EEST_IbLb0EEEEDaSP_SQ_EUlSP_E0_NS1_11comp_targetILNS1_3genE2ELNS1_11target_archE906ELNS1_3gpuE6ELNS1_3repE0EEENS1_30default_config_static_selectorELNS0_4arch9wavefront6targetE1EEEvT1_
; %bb.0:
	.section	.rodata,"a",@progbits
	.p2align	6, 0x0
	.amdhsa_kernel _ZN7rocprim17ROCPRIM_400000_NS6detail17trampoline_kernelINS0_14default_configENS1_20scan_config_selectorIfEEZZNS1_9scan_implILNS1_25lookback_scan_determinismE0ELb1ELb1ES3_N6thrust23THRUST_200600_302600_NS6detail15normal_iteratorINS9_10device_ptrIfEEEESE_fNS9_4plusIvEEfEEDaPvRmT3_T4_T5_mT6_P12ihipStream_tbENKUlT_T0_E_clISt17integral_constantIbLb1EEST_IbLb0EEEEDaSP_SQ_EUlSP_E0_NS1_11comp_targetILNS1_3genE2ELNS1_11target_archE906ELNS1_3gpuE6ELNS1_3repE0EEENS1_30default_config_static_selectorELNS0_4arch9wavefront6targetE1EEEvT1_
		.amdhsa_group_segment_fixed_size 0
		.amdhsa_private_segment_fixed_size 0
		.amdhsa_kernarg_size 32
		.amdhsa_user_sgpr_count 6
		.amdhsa_user_sgpr_private_segment_buffer 1
		.amdhsa_user_sgpr_dispatch_ptr 0
		.amdhsa_user_sgpr_queue_ptr 0
		.amdhsa_user_sgpr_kernarg_segment_ptr 1
		.amdhsa_user_sgpr_dispatch_id 0
		.amdhsa_user_sgpr_flat_scratch_init 0
		.amdhsa_user_sgpr_kernarg_preload_length 0
		.amdhsa_user_sgpr_kernarg_preload_offset 0
		.amdhsa_user_sgpr_private_segment_size 0
		.amdhsa_uses_dynamic_stack 0
		.amdhsa_system_sgpr_private_segment_wavefront_offset 0
		.amdhsa_system_sgpr_workgroup_id_x 1
		.amdhsa_system_sgpr_workgroup_id_y 0
		.amdhsa_system_sgpr_workgroup_id_z 0
		.amdhsa_system_sgpr_workgroup_info 0
		.amdhsa_system_vgpr_workitem_id 0
		.amdhsa_next_free_vgpr 1
		.amdhsa_next_free_sgpr 0
		.amdhsa_accum_offset 4
		.amdhsa_reserve_vcc 0
		.amdhsa_reserve_flat_scratch 0
		.amdhsa_float_round_mode_32 0
		.amdhsa_float_round_mode_16_64 0
		.amdhsa_float_denorm_mode_32 3
		.amdhsa_float_denorm_mode_16_64 3
		.amdhsa_dx10_clamp 1
		.amdhsa_ieee_mode 1
		.amdhsa_fp16_overflow 0
		.amdhsa_tg_split 0
		.amdhsa_exception_fp_ieee_invalid_op 0
		.amdhsa_exception_fp_denorm_src 0
		.amdhsa_exception_fp_ieee_div_zero 0
		.amdhsa_exception_fp_ieee_overflow 0
		.amdhsa_exception_fp_ieee_underflow 0
		.amdhsa_exception_fp_ieee_inexact 0
		.amdhsa_exception_int_div_zero 0
	.end_amdhsa_kernel
	.section	.text._ZN7rocprim17ROCPRIM_400000_NS6detail17trampoline_kernelINS0_14default_configENS1_20scan_config_selectorIfEEZZNS1_9scan_implILNS1_25lookback_scan_determinismE0ELb1ELb1ES3_N6thrust23THRUST_200600_302600_NS6detail15normal_iteratorINS9_10device_ptrIfEEEESE_fNS9_4plusIvEEfEEDaPvRmT3_T4_T5_mT6_P12ihipStream_tbENKUlT_T0_E_clISt17integral_constantIbLb1EEST_IbLb0EEEEDaSP_SQ_EUlSP_E0_NS1_11comp_targetILNS1_3genE2ELNS1_11target_archE906ELNS1_3gpuE6ELNS1_3repE0EEENS1_30default_config_static_selectorELNS0_4arch9wavefront6targetE1EEEvT1_,"axG",@progbits,_ZN7rocprim17ROCPRIM_400000_NS6detail17trampoline_kernelINS0_14default_configENS1_20scan_config_selectorIfEEZZNS1_9scan_implILNS1_25lookback_scan_determinismE0ELb1ELb1ES3_N6thrust23THRUST_200600_302600_NS6detail15normal_iteratorINS9_10device_ptrIfEEEESE_fNS9_4plusIvEEfEEDaPvRmT3_T4_T5_mT6_P12ihipStream_tbENKUlT_T0_E_clISt17integral_constantIbLb1EEST_IbLb0EEEEDaSP_SQ_EUlSP_E0_NS1_11comp_targetILNS1_3genE2ELNS1_11target_archE906ELNS1_3gpuE6ELNS1_3repE0EEENS1_30default_config_static_selectorELNS0_4arch9wavefront6targetE1EEEvT1_,comdat
.Lfunc_end4407:
	.size	_ZN7rocprim17ROCPRIM_400000_NS6detail17trampoline_kernelINS0_14default_configENS1_20scan_config_selectorIfEEZZNS1_9scan_implILNS1_25lookback_scan_determinismE0ELb1ELb1ES3_N6thrust23THRUST_200600_302600_NS6detail15normal_iteratorINS9_10device_ptrIfEEEESE_fNS9_4plusIvEEfEEDaPvRmT3_T4_T5_mT6_P12ihipStream_tbENKUlT_T0_E_clISt17integral_constantIbLb1EEST_IbLb0EEEEDaSP_SQ_EUlSP_E0_NS1_11comp_targetILNS1_3genE2ELNS1_11target_archE906ELNS1_3gpuE6ELNS1_3repE0EEENS1_30default_config_static_selectorELNS0_4arch9wavefront6targetE1EEEvT1_, .Lfunc_end4407-_ZN7rocprim17ROCPRIM_400000_NS6detail17trampoline_kernelINS0_14default_configENS1_20scan_config_selectorIfEEZZNS1_9scan_implILNS1_25lookback_scan_determinismE0ELb1ELb1ES3_N6thrust23THRUST_200600_302600_NS6detail15normal_iteratorINS9_10device_ptrIfEEEESE_fNS9_4plusIvEEfEEDaPvRmT3_T4_T5_mT6_P12ihipStream_tbENKUlT_T0_E_clISt17integral_constantIbLb1EEST_IbLb0EEEEDaSP_SQ_EUlSP_E0_NS1_11comp_targetILNS1_3genE2ELNS1_11target_archE906ELNS1_3gpuE6ELNS1_3repE0EEENS1_30default_config_static_selectorELNS0_4arch9wavefront6targetE1EEEvT1_
                                        ; -- End function
	.section	.AMDGPU.csdata,"",@progbits
; Kernel info:
; codeLenInByte = 0
; NumSgprs: 4
; NumVgprs: 0
; NumAgprs: 0
; TotalNumVgprs: 0
; ScratchSize: 0
; MemoryBound: 0
; FloatMode: 240
; IeeeMode: 1
; LDSByteSize: 0 bytes/workgroup (compile time only)
; SGPRBlocks: 0
; VGPRBlocks: 0
; NumSGPRsForWavesPerEU: 4
; NumVGPRsForWavesPerEU: 1
; AccumOffset: 4
; Occupancy: 8
; WaveLimiterHint : 0
; COMPUTE_PGM_RSRC2:SCRATCH_EN: 0
; COMPUTE_PGM_RSRC2:USER_SGPR: 6
; COMPUTE_PGM_RSRC2:TRAP_HANDLER: 0
; COMPUTE_PGM_RSRC2:TGID_X_EN: 1
; COMPUTE_PGM_RSRC2:TGID_Y_EN: 0
; COMPUTE_PGM_RSRC2:TGID_Z_EN: 0
; COMPUTE_PGM_RSRC2:TIDIG_COMP_CNT: 0
; COMPUTE_PGM_RSRC3_GFX90A:ACCUM_OFFSET: 0
; COMPUTE_PGM_RSRC3_GFX90A:TG_SPLIT: 0
	.section	.text._ZN7rocprim17ROCPRIM_400000_NS6detail17trampoline_kernelINS0_14default_configENS1_20scan_config_selectorIfEEZZNS1_9scan_implILNS1_25lookback_scan_determinismE0ELb1ELb1ES3_N6thrust23THRUST_200600_302600_NS6detail15normal_iteratorINS9_10device_ptrIfEEEESE_fNS9_4plusIvEEfEEDaPvRmT3_T4_T5_mT6_P12ihipStream_tbENKUlT_T0_E_clISt17integral_constantIbLb1EEST_IbLb0EEEEDaSP_SQ_EUlSP_E0_NS1_11comp_targetILNS1_3genE10ELNS1_11target_archE1201ELNS1_3gpuE5ELNS1_3repE0EEENS1_30default_config_static_selectorELNS0_4arch9wavefront6targetE1EEEvT1_,"axG",@progbits,_ZN7rocprim17ROCPRIM_400000_NS6detail17trampoline_kernelINS0_14default_configENS1_20scan_config_selectorIfEEZZNS1_9scan_implILNS1_25lookback_scan_determinismE0ELb1ELb1ES3_N6thrust23THRUST_200600_302600_NS6detail15normal_iteratorINS9_10device_ptrIfEEEESE_fNS9_4plusIvEEfEEDaPvRmT3_T4_T5_mT6_P12ihipStream_tbENKUlT_T0_E_clISt17integral_constantIbLb1EEST_IbLb0EEEEDaSP_SQ_EUlSP_E0_NS1_11comp_targetILNS1_3genE10ELNS1_11target_archE1201ELNS1_3gpuE5ELNS1_3repE0EEENS1_30default_config_static_selectorELNS0_4arch9wavefront6targetE1EEEvT1_,comdat
	.protected	_ZN7rocprim17ROCPRIM_400000_NS6detail17trampoline_kernelINS0_14default_configENS1_20scan_config_selectorIfEEZZNS1_9scan_implILNS1_25lookback_scan_determinismE0ELb1ELb1ES3_N6thrust23THRUST_200600_302600_NS6detail15normal_iteratorINS9_10device_ptrIfEEEESE_fNS9_4plusIvEEfEEDaPvRmT3_T4_T5_mT6_P12ihipStream_tbENKUlT_T0_E_clISt17integral_constantIbLb1EEST_IbLb0EEEEDaSP_SQ_EUlSP_E0_NS1_11comp_targetILNS1_3genE10ELNS1_11target_archE1201ELNS1_3gpuE5ELNS1_3repE0EEENS1_30default_config_static_selectorELNS0_4arch9wavefront6targetE1EEEvT1_ ; -- Begin function _ZN7rocprim17ROCPRIM_400000_NS6detail17trampoline_kernelINS0_14default_configENS1_20scan_config_selectorIfEEZZNS1_9scan_implILNS1_25lookback_scan_determinismE0ELb1ELb1ES3_N6thrust23THRUST_200600_302600_NS6detail15normal_iteratorINS9_10device_ptrIfEEEESE_fNS9_4plusIvEEfEEDaPvRmT3_T4_T5_mT6_P12ihipStream_tbENKUlT_T0_E_clISt17integral_constantIbLb1EEST_IbLb0EEEEDaSP_SQ_EUlSP_E0_NS1_11comp_targetILNS1_3genE10ELNS1_11target_archE1201ELNS1_3gpuE5ELNS1_3repE0EEENS1_30default_config_static_selectorELNS0_4arch9wavefront6targetE1EEEvT1_
	.globl	_ZN7rocprim17ROCPRIM_400000_NS6detail17trampoline_kernelINS0_14default_configENS1_20scan_config_selectorIfEEZZNS1_9scan_implILNS1_25lookback_scan_determinismE0ELb1ELb1ES3_N6thrust23THRUST_200600_302600_NS6detail15normal_iteratorINS9_10device_ptrIfEEEESE_fNS9_4plusIvEEfEEDaPvRmT3_T4_T5_mT6_P12ihipStream_tbENKUlT_T0_E_clISt17integral_constantIbLb1EEST_IbLb0EEEEDaSP_SQ_EUlSP_E0_NS1_11comp_targetILNS1_3genE10ELNS1_11target_archE1201ELNS1_3gpuE5ELNS1_3repE0EEENS1_30default_config_static_selectorELNS0_4arch9wavefront6targetE1EEEvT1_
	.p2align	8
	.type	_ZN7rocprim17ROCPRIM_400000_NS6detail17trampoline_kernelINS0_14default_configENS1_20scan_config_selectorIfEEZZNS1_9scan_implILNS1_25lookback_scan_determinismE0ELb1ELb1ES3_N6thrust23THRUST_200600_302600_NS6detail15normal_iteratorINS9_10device_ptrIfEEEESE_fNS9_4plusIvEEfEEDaPvRmT3_T4_T5_mT6_P12ihipStream_tbENKUlT_T0_E_clISt17integral_constantIbLb1EEST_IbLb0EEEEDaSP_SQ_EUlSP_E0_NS1_11comp_targetILNS1_3genE10ELNS1_11target_archE1201ELNS1_3gpuE5ELNS1_3repE0EEENS1_30default_config_static_selectorELNS0_4arch9wavefront6targetE1EEEvT1_,@function
_ZN7rocprim17ROCPRIM_400000_NS6detail17trampoline_kernelINS0_14default_configENS1_20scan_config_selectorIfEEZZNS1_9scan_implILNS1_25lookback_scan_determinismE0ELb1ELb1ES3_N6thrust23THRUST_200600_302600_NS6detail15normal_iteratorINS9_10device_ptrIfEEEESE_fNS9_4plusIvEEfEEDaPvRmT3_T4_T5_mT6_P12ihipStream_tbENKUlT_T0_E_clISt17integral_constantIbLb1EEST_IbLb0EEEEDaSP_SQ_EUlSP_E0_NS1_11comp_targetILNS1_3genE10ELNS1_11target_archE1201ELNS1_3gpuE5ELNS1_3repE0EEENS1_30default_config_static_selectorELNS0_4arch9wavefront6targetE1EEEvT1_: ; @_ZN7rocprim17ROCPRIM_400000_NS6detail17trampoline_kernelINS0_14default_configENS1_20scan_config_selectorIfEEZZNS1_9scan_implILNS1_25lookback_scan_determinismE0ELb1ELb1ES3_N6thrust23THRUST_200600_302600_NS6detail15normal_iteratorINS9_10device_ptrIfEEEESE_fNS9_4plusIvEEfEEDaPvRmT3_T4_T5_mT6_P12ihipStream_tbENKUlT_T0_E_clISt17integral_constantIbLb1EEST_IbLb0EEEEDaSP_SQ_EUlSP_E0_NS1_11comp_targetILNS1_3genE10ELNS1_11target_archE1201ELNS1_3gpuE5ELNS1_3repE0EEENS1_30default_config_static_selectorELNS0_4arch9wavefront6targetE1EEEvT1_
; %bb.0:
	.section	.rodata,"a",@progbits
	.p2align	6, 0x0
	.amdhsa_kernel _ZN7rocprim17ROCPRIM_400000_NS6detail17trampoline_kernelINS0_14default_configENS1_20scan_config_selectorIfEEZZNS1_9scan_implILNS1_25lookback_scan_determinismE0ELb1ELb1ES3_N6thrust23THRUST_200600_302600_NS6detail15normal_iteratorINS9_10device_ptrIfEEEESE_fNS9_4plusIvEEfEEDaPvRmT3_T4_T5_mT6_P12ihipStream_tbENKUlT_T0_E_clISt17integral_constantIbLb1EEST_IbLb0EEEEDaSP_SQ_EUlSP_E0_NS1_11comp_targetILNS1_3genE10ELNS1_11target_archE1201ELNS1_3gpuE5ELNS1_3repE0EEENS1_30default_config_static_selectorELNS0_4arch9wavefront6targetE1EEEvT1_
		.amdhsa_group_segment_fixed_size 0
		.amdhsa_private_segment_fixed_size 0
		.amdhsa_kernarg_size 32
		.amdhsa_user_sgpr_count 6
		.amdhsa_user_sgpr_private_segment_buffer 1
		.amdhsa_user_sgpr_dispatch_ptr 0
		.amdhsa_user_sgpr_queue_ptr 0
		.amdhsa_user_sgpr_kernarg_segment_ptr 1
		.amdhsa_user_sgpr_dispatch_id 0
		.amdhsa_user_sgpr_flat_scratch_init 0
		.amdhsa_user_sgpr_kernarg_preload_length 0
		.amdhsa_user_sgpr_kernarg_preload_offset 0
		.amdhsa_user_sgpr_private_segment_size 0
		.amdhsa_uses_dynamic_stack 0
		.amdhsa_system_sgpr_private_segment_wavefront_offset 0
		.amdhsa_system_sgpr_workgroup_id_x 1
		.amdhsa_system_sgpr_workgroup_id_y 0
		.amdhsa_system_sgpr_workgroup_id_z 0
		.amdhsa_system_sgpr_workgroup_info 0
		.amdhsa_system_vgpr_workitem_id 0
		.amdhsa_next_free_vgpr 1
		.amdhsa_next_free_sgpr 0
		.amdhsa_accum_offset 4
		.amdhsa_reserve_vcc 0
		.amdhsa_reserve_flat_scratch 0
		.amdhsa_float_round_mode_32 0
		.amdhsa_float_round_mode_16_64 0
		.amdhsa_float_denorm_mode_32 3
		.amdhsa_float_denorm_mode_16_64 3
		.amdhsa_dx10_clamp 1
		.amdhsa_ieee_mode 1
		.amdhsa_fp16_overflow 0
		.amdhsa_tg_split 0
		.amdhsa_exception_fp_ieee_invalid_op 0
		.amdhsa_exception_fp_denorm_src 0
		.amdhsa_exception_fp_ieee_div_zero 0
		.amdhsa_exception_fp_ieee_overflow 0
		.amdhsa_exception_fp_ieee_underflow 0
		.amdhsa_exception_fp_ieee_inexact 0
		.amdhsa_exception_int_div_zero 0
	.end_amdhsa_kernel
	.section	.text._ZN7rocprim17ROCPRIM_400000_NS6detail17trampoline_kernelINS0_14default_configENS1_20scan_config_selectorIfEEZZNS1_9scan_implILNS1_25lookback_scan_determinismE0ELb1ELb1ES3_N6thrust23THRUST_200600_302600_NS6detail15normal_iteratorINS9_10device_ptrIfEEEESE_fNS9_4plusIvEEfEEDaPvRmT3_T4_T5_mT6_P12ihipStream_tbENKUlT_T0_E_clISt17integral_constantIbLb1EEST_IbLb0EEEEDaSP_SQ_EUlSP_E0_NS1_11comp_targetILNS1_3genE10ELNS1_11target_archE1201ELNS1_3gpuE5ELNS1_3repE0EEENS1_30default_config_static_selectorELNS0_4arch9wavefront6targetE1EEEvT1_,"axG",@progbits,_ZN7rocprim17ROCPRIM_400000_NS6detail17trampoline_kernelINS0_14default_configENS1_20scan_config_selectorIfEEZZNS1_9scan_implILNS1_25lookback_scan_determinismE0ELb1ELb1ES3_N6thrust23THRUST_200600_302600_NS6detail15normal_iteratorINS9_10device_ptrIfEEEESE_fNS9_4plusIvEEfEEDaPvRmT3_T4_T5_mT6_P12ihipStream_tbENKUlT_T0_E_clISt17integral_constantIbLb1EEST_IbLb0EEEEDaSP_SQ_EUlSP_E0_NS1_11comp_targetILNS1_3genE10ELNS1_11target_archE1201ELNS1_3gpuE5ELNS1_3repE0EEENS1_30default_config_static_selectorELNS0_4arch9wavefront6targetE1EEEvT1_,comdat
.Lfunc_end4408:
	.size	_ZN7rocprim17ROCPRIM_400000_NS6detail17trampoline_kernelINS0_14default_configENS1_20scan_config_selectorIfEEZZNS1_9scan_implILNS1_25lookback_scan_determinismE0ELb1ELb1ES3_N6thrust23THRUST_200600_302600_NS6detail15normal_iteratorINS9_10device_ptrIfEEEESE_fNS9_4plusIvEEfEEDaPvRmT3_T4_T5_mT6_P12ihipStream_tbENKUlT_T0_E_clISt17integral_constantIbLb1EEST_IbLb0EEEEDaSP_SQ_EUlSP_E0_NS1_11comp_targetILNS1_3genE10ELNS1_11target_archE1201ELNS1_3gpuE5ELNS1_3repE0EEENS1_30default_config_static_selectorELNS0_4arch9wavefront6targetE1EEEvT1_, .Lfunc_end4408-_ZN7rocprim17ROCPRIM_400000_NS6detail17trampoline_kernelINS0_14default_configENS1_20scan_config_selectorIfEEZZNS1_9scan_implILNS1_25lookback_scan_determinismE0ELb1ELb1ES3_N6thrust23THRUST_200600_302600_NS6detail15normal_iteratorINS9_10device_ptrIfEEEESE_fNS9_4plusIvEEfEEDaPvRmT3_T4_T5_mT6_P12ihipStream_tbENKUlT_T0_E_clISt17integral_constantIbLb1EEST_IbLb0EEEEDaSP_SQ_EUlSP_E0_NS1_11comp_targetILNS1_3genE10ELNS1_11target_archE1201ELNS1_3gpuE5ELNS1_3repE0EEENS1_30default_config_static_selectorELNS0_4arch9wavefront6targetE1EEEvT1_
                                        ; -- End function
	.section	.AMDGPU.csdata,"",@progbits
; Kernel info:
; codeLenInByte = 0
; NumSgprs: 4
; NumVgprs: 0
; NumAgprs: 0
; TotalNumVgprs: 0
; ScratchSize: 0
; MemoryBound: 0
; FloatMode: 240
; IeeeMode: 1
; LDSByteSize: 0 bytes/workgroup (compile time only)
; SGPRBlocks: 0
; VGPRBlocks: 0
; NumSGPRsForWavesPerEU: 4
; NumVGPRsForWavesPerEU: 1
; AccumOffset: 4
; Occupancy: 8
; WaveLimiterHint : 0
; COMPUTE_PGM_RSRC2:SCRATCH_EN: 0
; COMPUTE_PGM_RSRC2:USER_SGPR: 6
; COMPUTE_PGM_RSRC2:TRAP_HANDLER: 0
; COMPUTE_PGM_RSRC2:TGID_X_EN: 1
; COMPUTE_PGM_RSRC2:TGID_Y_EN: 0
; COMPUTE_PGM_RSRC2:TGID_Z_EN: 0
; COMPUTE_PGM_RSRC2:TIDIG_COMP_CNT: 0
; COMPUTE_PGM_RSRC3_GFX90A:ACCUM_OFFSET: 0
; COMPUTE_PGM_RSRC3_GFX90A:TG_SPLIT: 0
	.section	.text._ZN7rocprim17ROCPRIM_400000_NS6detail17trampoline_kernelINS0_14default_configENS1_20scan_config_selectorIfEEZZNS1_9scan_implILNS1_25lookback_scan_determinismE0ELb1ELb1ES3_N6thrust23THRUST_200600_302600_NS6detail15normal_iteratorINS9_10device_ptrIfEEEESE_fNS9_4plusIvEEfEEDaPvRmT3_T4_T5_mT6_P12ihipStream_tbENKUlT_T0_E_clISt17integral_constantIbLb1EEST_IbLb0EEEEDaSP_SQ_EUlSP_E0_NS1_11comp_targetILNS1_3genE10ELNS1_11target_archE1200ELNS1_3gpuE4ELNS1_3repE0EEENS1_30default_config_static_selectorELNS0_4arch9wavefront6targetE1EEEvT1_,"axG",@progbits,_ZN7rocprim17ROCPRIM_400000_NS6detail17trampoline_kernelINS0_14default_configENS1_20scan_config_selectorIfEEZZNS1_9scan_implILNS1_25lookback_scan_determinismE0ELb1ELb1ES3_N6thrust23THRUST_200600_302600_NS6detail15normal_iteratorINS9_10device_ptrIfEEEESE_fNS9_4plusIvEEfEEDaPvRmT3_T4_T5_mT6_P12ihipStream_tbENKUlT_T0_E_clISt17integral_constantIbLb1EEST_IbLb0EEEEDaSP_SQ_EUlSP_E0_NS1_11comp_targetILNS1_3genE10ELNS1_11target_archE1200ELNS1_3gpuE4ELNS1_3repE0EEENS1_30default_config_static_selectorELNS0_4arch9wavefront6targetE1EEEvT1_,comdat
	.protected	_ZN7rocprim17ROCPRIM_400000_NS6detail17trampoline_kernelINS0_14default_configENS1_20scan_config_selectorIfEEZZNS1_9scan_implILNS1_25lookback_scan_determinismE0ELb1ELb1ES3_N6thrust23THRUST_200600_302600_NS6detail15normal_iteratorINS9_10device_ptrIfEEEESE_fNS9_4plusIvEEfEEDaPvRmT3_T4_T5_mT6_P12ihipStream_tbENKUlT_T0_E_clISt17integral_constantIbLb1EEST_IbLb0EEEEDaSP_SQ_EUlSP_E0_NS1_11comp_targetILNS1_3genE10ELNS1_11target_archE1200ELNS1_3gpuE4ELNS1_3repE0EEENS1_30default_config_static_selectorELNS0_4arch9wavefront6targetE1EEEvT1_ ; -- Begin function _ZN7rocprim17ROCPRIM_400000_NS6detail17trampoline_kernelINS0_14default_configENS1_20scan_config_selectorIfEEZZNS1_9scan_implILNS1_25lookback_scan_determinismE0ELb1ELb1ES3_N6thrust23THRUST_200600_302600_NS6detail15normal_iteratorINS9_10device_ptrIfEEEESE_fNS9_4plusIvEEfEEDaPvRmT3_T4_T5_mT6_P12ihipStream_tbENKUlT_T0_E_clISt17integral_constantIbLb1EEST_IbLb0EEEEDaSP_SQ_EUlSP_E0_NS1_11comp_targetILNS1_3genE10ELNS1_11target_archE1200ELNS1_3gpuE4ELNS1_3repE0EEENS1_30default_config_static_selectorELNS0_4arch9wavefront6targetE1EEEvT1_
	.globl	_ZN7rocprim17ROCPRIM_400000_NS6detail17trampoline_kernelINS0_14default_configENS1_20scan_config_selectorIfEEZZNS1_9scan_implILNS1_25lookback_scan_determinismE0ELb1ELb1ES3_N6thrust23THRUST_200600_302600_NS6detail15normal_iteratorINS9_10device_ptrIfEEEESE_fNS9_4plusIvEEfEEDaPvRmT3_T4_T5_mT6_P12ihipStream_tbENKUlT_T0_E_clISt17integral_constantIbLb1EEST_IbLb0EEEEDaSP_SQ_EUlSP_E0_NS1_11comp_targetILNS1_3genE10ELNS1_11target_archE1200ELNS1_3gpuE4ELNS1_3repE0EEENS1_30default_config_static_selectorELNS0_4arch9wavefront6targetE1EEEvT1_
	.p2align	8
	.type	_ZN7rocprim17ROCPRIM_400000_NS6detail17trampoline_kernelINS0_14default_configENS1_20scan_config_selectorIfEEZZNS1_9scan_implILNS1_25lookback_scan_determinismE0ELb1ELb1ES3_N6thrust23THRUST_200600_302600_NS6detail15normal_iteratorINS9_10device_ptrIfEEEESE_fNS9_4plusIvEEfEEDaPvRmT3_T4_T5_mT6_P12ihipStream_tbENKUlT_T0_E_clISt17integral_constantIbLb1EEST_IbLb0EEEEDaSP_SQ_EUlSP_E0_NS1_11comp_targetILNS1_3genE10ELNS1_11target_archE1200ELNS1_3gpuE4ELNS1_3repE0EEENS1_30default_config_static_selectorELNS0_4arch9wavefront6targetE1EEEvT1_,@function
_ZN7rocprim17ROCPRIM_400000_NS6detail17trampoline_kernelINS0_14default_configENS1_20scan_config_selectorIfEEZZNS1_9scan_implILNS1_25lookback_scan_determinismE0ELb1ELb1ES3_N6thrust23THRUST_200600_302600_NS6detail15normal_iteratorINS9_10device_ptrIfEEEESE_fNS9_4plusIvEEfEEDaPvRmT3_T4_T5_mT6_P12ihipStream_tbENKUlT_T0_E_clISt17integral_constantIbLb1EEST_IbLb0EEEEDaSP_SQ_EUlSP_E0_NS1_11comp_targetILNS1_3genE10ELNS1_11target_archE1200ELNS1_3gpuE4ELNS1_3repE0EEENS1_30default_config_static_selectorELNS0_4arch9wavefront6targetE1EEEvT1_: ; @_ZN7rocprim17ROCPRIM_400000_NS6detail17trampoline_kernelINS0_14default_configENS1_20scan_config_selectorIfEEZZNS1_9scan_implILNS1_25lookback_scan_determinismE0ELb1ELb1ES3_N6thrust23THRUST_200600_302600_NS6detail15normal_iteratorINS9_10device_ptrIfEEEESE_fNS9_4plusIvEEfEEDaPvRmT3_T4_T5_mT6_P12ihipStream_tbENKUlT_T0_E_clISt17integral_constantIbLb1EEST_IbLb0EEEEDaSP_SQ_EUlSP_E0_NS1_11comp_targetILNS1_3genE10ELNS1_11target_archE1200ELNS1_3gpuE4ELNS1_3repE0EEENS1_30default_config_static_selectorELNS0_4arch9wavefront6targetE1EEEvT1_
; %bb.0:
	.section	.rodata,"a",@progbits
	.p2align	6, 0x0
	.amdhsa_kernel _ZN7rocprim17ROCPRIM_400000_NS6detail17trampoline_kernelINS0_14default_configENS1_20scan_config_selectorIfEEZZNS1_9scan_implILNS1_25lookback_scan_determinismE0ELb1ELb1ES3_N6thrust23THRUST_200600_302600_NS6detail15normal_iteratorINS9_10device_ptrIfEEEESE_fNS9_4plusIvEEfEEDaPvRmT3_T4_T5_mT6_P12ihipStream_tbENKUlT_T0_E_clISt17integral_constantIbLb1EEST_IbLb0EEEEDaSP_SQ_EUlSP_E0_NS1_11comp_targetILNS1_3genE10ELNS1_11target_archE1200ELNS1_3gpuE4ELNS1_3repE0EEENS1_30default_config_static_selectorELNS0_4arch9wavefront6targetE1EEEvT1_
		.amdhsa_group_segment_fixed_size 0
		.amdhsa_private_segment_fixed_size 0
		.amdhsa_kernarg_size 32
		.amdhsa_user_sgpr_count 6
		.amdhsa_user_sgpr_private_segment_buffer 1
		.amdhsa_user_sgpr_dispatch_ptr 0
		.amdhsa_user_sgpr_queue_ptr 0
		.amdhsa_user_sgpr_kernarg_segment_ptr 1
		.amdhsa_user_sgpr_dispatch_id 0
		.amdhsa_user_sgpr_flat_scratch_init 0
		.amdhsa_user_sgpr_kernarg_preload_length 0
		.amdhsa_user_sgpr_kernarg_preload_offset 0
		.amdhsa_user_sgpr_private_segment_size 0
		.amdhsa_uses_dynamic_stack 0
		.amdhsa_system_sgpr_private_segment_wavefront_offset 0
		.amdhsa_system_sgpr_workgroup_id_x 1
		.amdhsa_system_sgpr_workgroup_id_y 0
		.amdhsa_system_sgpr_workgroup_id_z 0
		.amdhsa_system_sgpr_workgroup_info 0
		.amdhsa_system_vgpr_workitem_id 0
		.amdhsa_next_free_vgpr 1
		.amdhsa_next_free_sgpr 0
		.amdhsa_accum_offset 4
		.amdhsa_reserve_vcc 0
		.amdhsa_reserve_flat_scratch 0
		.amdhsa_float_round_mode_32 0
		.amdhsa_float_round_mode_16_64 0
		.amdhsa_float_denorm_mode_32 3
		.amdhsa_float_denorm_mode_16_64 3
		.amdhsa_dx10_clamp 1
		.amdhsa_ieee_mode 1
		.amdhsa_fp16_overflow 0
		.amdhsa_tg_split 0
		.amdhsa_exception_fp_ieee_invalid_op 0
		.amdhsa_exception_fp_denorm_src 0
		.amdhsa_exception_fp_ieee_div_zero 0
		.amdhsa_exception_fp_ieee_overflow 0
		.amdhsa_exception_fp_ieee_underflow 0
		.amdhsa_exception_fp_ieee_inexact 0
		.amdhsa_exception_int_div_zero 0
	.end_amdhsa_kernel
	.section	.text._ZN7rocprim17ROCPRIM_400000_NS6detail17trampoline_kernelINS0_14default_configENS1_20scan_config_selectorIfEEZZNS1_9scan_implILNS1_25lookback_scan_determinismE0ELb1ELb1ES3_N6thrust23THRUST_200600_302600_NS6detail15normal_iteratorINS9_10device_ptrIfEEEESE_fNS9_4plusIvEEfEEDaPvRmT3_T4_T5_mT6_P12ihipStream_tbENKUlT_T0_E_clISt17integral_constantIbLb1EEST_IbLb0EEEEDaSP_SQ_EUlSP_E0_NS1_11comp_targetILNS1_3genE10ELNS1_11target_archE1200ELNS1_3gpuE4ELNS1_3repE0EEENS1_30default_config_static_selectorELNS0_4arch9wavefront6targetE1EEEvT1_,"axG",@progbits,_ZN7rocprim17ROCPRIM_400000_NS6detail17trampoline_kernelINS0_14default_configENS1_20scan_config_selectorIfEEZZNS1_9scan_implILNS1_25lookback_scan_determinismE0ELb1ELb1ES3_N6thrust23THRUST_200600_302600_NS6detail15normal_iteratorINS9_10device_ptrIfEEEESE_fNS9_4plusIvEEfEEDaPvRmT3_T4_T5_mT6_P12ihipStream_tbENKUlT_T0_E_clISt17integral_constantIbLb1EEST_IbLb0EEEEDaSP_SQ_EUlSP_E0_NS1_11comp_targetILNS1_3genE10ELNS1_11target_archE1200ELNS1_3gpuE4ELNS1_3repE0EEENS1_30default_config_static_selectorELNS0_4arch9wavefront6targetE1EEEvT1_,comdat
.Lfunc_end4409:
	.size	_ZN7rocprim17ROCPRIM_400000_NS6detail17trampoline_kernelINS0_14default_configENS1_20scan_config_selectorIfEEZZNS1_9scan_implILNS1_25lookback_scan_determinismE0ELb1ELb1ES3_N6thrust23THRUST_200600_302600_NS6detail15normal_iteratorINS9_10device_ptrIfEEEESE_fNS9_4plusIvEEfEEDaPvRmT3_T4_T5_mT6_P12ihipStream_tbENKUlT_T0_E_clISt17integral_constantIbLb1EEST_IbLb0EEEEDaSP_SQ_EUlSP_E0_NS1_11comp_targetILNS1_3genE10ELNS1_11target_archE1200ELNS1_3gpuE4ELNS1_3repE0EEENS1_30default_config_static_selectorELNS0_4arch9wavefront6targetE1EEEvT1_, .Lfunc_end4409-_ZN7rocprim17ROCPRIM_400000_NS6detail17trampoline_kernelINS0_14default_configENS1_20scan_config_selectorIfEEZZNS1_9scan_implILNS1_25lookback_scan_determinismE0ELb1ELb1ES3_N6thrust23THRUST_200600_302600_NS6detail15normal_iteratorINS9_10device_ptrIfEEEESE_fNS9_4plusIvEEfEEDaPvRmT3_T4_T5_mT6_P12ihipStream_tbENKUlT_T0_E_clISt17integral_constantIbLb1EEST_IbLb0EEEEDaSP_SQ_EUlSP_E0_NS1_11comp_targetILNS1_3genE10ELNS1_11target_archE1200ELNS1_3gpuE4ELNS1_3repE0EEENS1_30default_config_static_selectorELNS0_4arch9wavefront6targetE1EEEvT1_
                                        ; -- End function
	.section	.AMDGPU.csdata,"",@progbits
; Kernel info:
; codeLenInByte = 0
; NumSgprs: 4
; NumVgprs: 0
; NumAgprs: 0
; TotalNumVgprs: 0
; ScratchSize: 0
; MemoryBound: 0
; FloatMode: 240
; IeeeMode: 1
; LDSByteSize: 0 bytes/workgroup (compile time only)
; SGPRBlocks: 0
; VGPRBlocks: 0
; NumSGPRsForWavesPerEU: 4
; NumVGPRsForWavesPerEU: 1
; AccumOffset: 4
; Occupancy: 8
; WaveLimiterHint : 0
; COMPUTE_PGM_RSRC2:SCRATCH_EN: 0
; COMPUTE_PGM_RSRC2:USER_SGPR: 6
; COMPUTE_PGM_RSRC2:TRAP_HANDLER: 0
; COMPUTE_PGM_RSRC2:TGID_X_EN: 1
; COMPUTE_PGM_RSRC2:TGID_Y_EN: 0
; COMPUTE_PGM_RSRC2:TGID_Z_EN: 0
; COMPUTE_PGM_RSRC2:TIDIG_COMP_CNT: 0
; COMPUTE_PGM_RSRC3_GFX90A:ACCUM_OFFSET: 0
; COMPUTE_PGM_RSRC3_GFX90A:TG_SPLIT: 0
	.section	.text._ZN7rocprim17ROCPRIM_400000_NS6detail17trampoline_kernelINS0_14default_configENS1_20scan_config_selectorIfEEZZNS1_9scan_implILNS1_25lookback_scan_determinismE0ELb1ELb1ES3_N6thrust23THRUST_200600_302600_NS6detail15normal_iteratorINS9_10device_ptrIfEEEESE_fNS9_4plusIvEEfEEDaPvRmT3_T4_T5_mT6_P12ihipStream_tbENKUlT_T0_E_clISt17integral_constantIbLb1EEST_IbLb0EEEEDaSP_SQ_EUlSP_E0_NS1_11comp_targetILNS1_3genE9ELNS1_11target_archE1100ELNS1_3gpuE3ELNS1_3repE0EEENS1_30default_config_static_selectorELNS0_4arch9wavefront6targetE1EEEvT1_,"axG",@progbits,_ZN7rocprim17ROCPRIM_400000_NS6detail17trampoline_kernelINS0_14default_configENS1_20scan_config_selectorIfEEZZNS1_9scan_implILNS1_25lookback_scan_determinismE0ELb1ELb1ES3_N6thrust23THRUST_200600_302600_NS6detail15normal_iteratorINS9_10device_ptrIfEEEESE_fNS9_4plusIvEEfEEDaPvRmT3_T4_T5_mT6_P12ihipStream_tbENKUlT_T0_E_clISt17integral_constantIbLb1EEST_IbLb0EEEEDaSP_SQ_EUlSP_E0_NS1_11comp_targetILNS1_3genE9ELNS1_11target_archE1100ELNS1_3gpuE3ELNS1_3repE0EEENS1_30default_config_static_selectorELNS0_4arch9wavefront6targetE1EEEvT1_,comdat
	.protected	_ZN7rocprim17ROCPRIM_400000_NS6detail17trampoline_kernelINS0_14default_configENS1_20scan_config_selectorIfEEZZNS1_9scan_implILNS1_25lookback_scan_determinismE0ELb1ELb1ES3_N6thrust23THRUST_200600_302600_NS6detail15normal_iteratorINS9_10device_ptrIfEEEESE_fNS9_4plusIvEEfEEDaPvRmT3_T4_T5_mT6_P12ihipStream_tbENKUlT_T0_E_clISt17integral_constantIbLb1EEST_IbLb0EEEEDaSP_SQ_EUlSP_E0_NS1_11comp_targetILNS1_3genE9ELNS1_11target_archE1100ELNS1_3gpuE3ELNS1_3repE0EEENS1_30default_config_static_selectorELNS0_4arch9wavefront6targetE1EEEvT1_ ; -- Begin function _ZN7rocprim17ROCPRIM_400000_NS6detail17trampoline_kernelINS0_14default_configENS1_20scan_config_selectorIfEEZZNS1_9scan_implILNS1_25lookback_scan_determinismE0ELb1ELb1ES3_N6thrust23THRUST_200600_302600_NS6detail15normal_iteratorINS9_10device_ptrIfEEEESE_fNS9_4plusIvEEfEEDaPvRmT3_T4_T5_mT6_P12ihipStream_tbENKUlT_T0_E_clISt17integral_constantIbLb1EEST_IbLb0EEEEDaSP_SQ_EUlSP_E0_NS1_11comp_targetILNS1_3genE9ELNS1_11target_archE1100ELNS1_3gpuE3ELNS1_3repE0EEENS1_30default_config_static_selectorELNS0_4arch9wavefront6targetE1EEEvT1_
	.globl	_ZN7rocprim17ROCPRIM_400000_NS6detail17trampoline_kernelINS0_14default_configENS1_20scan_config_selectorIfEEZZNS1_9scan_implILNS1_25lookback_scan_determinismE0ELb1ELb1ES3_N6thrust23THRUST_200600_302600_NS6detail15normal_iteratorINS9_10device_ptrIfEEEESE_fNS9_4plusIvEEfEEDaPvRmT3_T4_T5_mT6_P12ihipStream_tbENKUlT_T0_E_clISt17integral_constantIbLb1EEST_IbLb0EEEEDaSP_SQ_EUlSP_E0_NS1_11comp_targetILNS1_3genE9ELNS1_11target_archE1100ELNS1_3gpuE3ELNS1_3repE0EEENS1_30default_config_static_selectorELNS0_4arch9wavefront6targetE1EEEvT1_
	.p2align	8
	.type	_ZN7rocprim17ROCPRIM_400000_NS6detail17trampoline_kernelINS0_14default_configENS1_20scan_config_selectorIfEEZZNS1_9scan_implILNS1_25lookback_scan_determinismE0ELb1ELb1ES3_N6thrust23THRUST_200600_302600_NS6detail15normal_iteratorINS9_10device_ptrIfEEEESE_fNS9_4plusIvEEfEEDaPvRmT3_T4_T5_mT6_P12ihipStream_tbENKUlT_T0_E_clISt17integral_constantIbLb1EEST_IbLb0EEEEDaSP_SQ_EUlSP_E0_NS1_11comp_targetILNS1_3genE9ELNS1_11target_archE1100ELNS1_3gpuE3ELNS1_3repE0EEENS1_30default_config_static_selectorELNS0_4arch9wavefront6targetE1EEEvT1_,@function
_ZN7rocprim17ROCPRIM_400000_NS6detail17trampoline_kernelINS0_14default_configENS1_20scan_config_selectorIfEEZZNS1_9scan_implILNS1_25lookback_scan_determinismE0ELb1ELb1ES3_N6thrust23THRUST_200600_302600_NS6detail15normal_iteratorINS9_10device_ptrIfEEEESE_fNS9_4plusIvEEfEEDaPvRmT3_T4_T5_mT6_P12ihipStream_tbENKUlT_T0_E_clISt17integral_constantIbLb1EEST_IbLb0EEEEDaSP_SQ_EUlSP_E0_NS1_11comp_targetILNS1_3genE9ELNS1_11target_archE1100ELNS1_3gpuE3ELNS1_3repE0EEENS1_30default_config_static_selectorELNS0_4arch9wavefront6targetE1EEEvT1_: ; @_ZN7rocprim17ROCPRIM_400000_NS6detail17trampoline_kernelINS0_14default_configENS1_20scan_config_selectorIfEEZZNS1_9scan_implILNS1_25lookback_scan_determinismE0ELb1ELb1ES3_N6thrust23THRUST_200600_302600_NS6detail15normal_iteratorINS9_10device_ptrIfEEEESE_fNS9_4plusIvEEfEEDaPvRmT3_T4_T5_mT6_P12ihipStream_tbENKUlT_T0_E_clISt17integral_constantIbLb1EEST_IbLb0EEEEDaSP_SQ_EUlSP_E0_NS1_11comp_targetILNS1_3genE9ELNS1_11target_archE1100ELNS1_3gpuE3ELNS1_3repE0EEENS1_30default_config_static_selectorELNS0_4arch9wavefront6targetE1EEEvT1_
; %bb.0:
	.section	.rodata,"a",@progbits
	.p2align	6, 0x0
	.amdhsa_kernel _ZN7rocprim17ROCPRIM_400000_NS6detail17trampoline_kernelINS0_14default_configENS1_20scan_config_selectorIfEEZZNS1_9scan_implILNS1_25lookback_scan_determinismE0ELb1ELb1ES3_N6thrust23THRUST_200600_302600_NS6detail15normal_iteratorINS9_10device_ptrIfEEEESE_fNS9_4plusIvEEfEEDaPvRmT3_T4_T5_mT6_P12ihipStream_tbENKUlT_T0_E_clISt17integral_constantIbLb1EEST_IbLb0EEEEDaSP_SQ_EUlSP_E0_NS1_11comp_targetILNS1_3genE9ELNS1_11target_archE1100ELNS1_3gpuE3ELNS1_3repE0EEENS1_30default_config_static_selectorELNS0_4arch9wavefront6targetE1EEEvT1_
		.amdhsa_group_segment_fixed_size 0
		.amdhsa_private_segment_fixed_size 0
		.amdhsa_kernarg_size 32
		.amdhsa_user_sgpr_count 6
		.amdhsa_user_sgpr_private_segment_buffer 1
		.amdhsa_user_sgpr_dispatch_ptr 0
		.amdhsa_user_sgpr_queue_ptr 0
		.amdhsa_user_sgpr_kernarg_segment_ptr 1
		.amdhsa_user_sgpr_dispatch_id 0
		.amdhsa_user_sgpr_flat_scratch_init 0
		.amdhsa_user_sgpr_kernarg_preload_length 0
		.amdhsa_user_sgpr_kernarg_preload_offset 0
		.amdhsa_user_sgpr_private_segment_size 0
		.amdhsa_uses_dynamic_stack 0
		.amdhsa_system_sgpr_private_segment_wavefront_offset 0
		.amdhsa_system_sgpr_workgroup_id_x 1
		.amdhsa_system_sgpr_workgroup_id_y 0
		.amdhsa_system_sgpr_workgroup_id_z 0
		.amdhsa_system_sgpr_workgroup_info 0
		.amdhsa_system_vgpr_workitem_id 0
		.amdhsa_next_free_vgpr 1
		.amdhsa_next_free_sgpr 0
		.amdhsa_accum_offset 4
		.amdhsa_reserve_vcc 0
		.amdhsa_reserve_flat_scratch 0
		.amdhsa_float_round_mode_32 0
		.amdhsa_float_round_mode_16_64 0
		.amdhsa_float_denorm_mode_32 3
		.amdhsa_float_denorm_mode_16_64 3
		.amdhsa_dx10_clamp 1
		.amdhsa_ieee_mode 1
		.amdhsa_fp16_overflow 0
		.amdhsa_tg_split 0
		.amdhsa_exception_fp_ieee_invalid_op 0
		.amdhsa_exception_fp_denorm_src 0
		.amdhsa_exception_fp_ieee_div_zero 0
		.amdhsa_exception_fp_ieee_overflow 0
		.amdhsa_exception_fp_ieee_underflow 0
		.amdhsa_exception_fp_ieee_inexact 0
		.amdhsa_exception_int_div_zero 0
	.end_amdhsa_kernel
	.section	.text._ZN7rocprim17ROCPRIM_400000_NS6detail17trampoline_kernelINS0_14default_configENS1_20scan_config_selectorIfEEZZNS1_9scan_implILNS1_25lookback_scan_determinismE0ELb1ELb1ES3_N6thrust23THRUST_200600_302600_NS6detail15normal_iteratorINS9_10device_ptrIfEEEESE_fNS9_4plusIvEEfEEDaPvRmT3_T4_T5_mT6_P12ihipStream_tbENKUlT_T0_E_clISt17integral_constantIbLb1EEST_IbLb0EEEEDaSP_SQ_EUlSP_E0_NS1_11comp_targetILNS1_3genE9ELNS1_11target_archE1100ELNS1_3gpuE3ELNS1_3repE0EEENS1_30default_config_static_selectorELNS0_4arch9wavefront6targetE1EEEvT1_,"axG",@progbits,_ZN7rocprim17ROCPRIM_400000_NS6detail17trampoline_kernelINS0_14default_configENS1_20scan_config_selectorIfEEZZNS1_9scan_implILNS1_25lookback_scan_determinismE0ELb1ELb1ES3_N6thrust23THRUST_200600_302600_NS6detail15normal_iteratorINS9_10device_ptrIfEEEESE_fNS9_4plusIvEEfEEDaPvRmT3_T4_T5_mT6_P12ihipStream_tbENKUlT_T0_E_clISt17integral_constantIbLb1EEST_IbLb0EEEEDaSP_SQ_EUlSP_E0_NS1_11comp_targetILNS1_3genE9ELNS1_11target_archE1100ELNS1_3gpuE3ELNS1_3repE0EEENS1_30default_config_static_selectorELNS0_4arch9wavefront6targetE1EEEvT1_,comdat
.Lfunc_end4410:
	.size	_ZN7rocprim17ROCPRIM_400000_NS6detail17trampoline_kernelINS0_14default_configENS1_20scan_config_selectorIfEEZZNS1_9scan_implILNS1_25lookback_scan_determinismE0ELb1ELb1ES3_N6thrust23THRUST_200600_302600_NS6detail15normal_iteratorINS9_10device_ptrIfEEEESE_fNS9_4plusIvEEfEEDaPvRmT3_T4_T5_mT6_P12ihipStream_tbENKUlT_T0_E_clISt17integral_constantIbLb1EEST_IbLb0EEEEDaSP_SQ_EUlSP_E0_NS1_11comp_targetILNS1_3genE9ELNS1_11target_archE1100ELNS1_3gpuE3ELNS1_3repE0EEENS1_30default_config_static_selectorELNS0_4arch9wavefront6targetE1EEEvT1_, .Lfunc_end4410-_ZN7rocprim17ROCPRIM_400000_NS6detail17trampoline_kernelINS0_14default_configENS1_20scan_config_selectorIfEEZZNS1_9scan_implILNS1_25lookback_scan_determinismE0ELb1ELb1ES3_N6thrust23THRUST_200600_302600_NS6detail15normal_iteratorINS9_10device_ptrIfEEEESE_fNS9_4plusIvEEfEEDaPvRmT3_T4_T5_mT6_P12ihipStream_tbENKUlT_T0_E_clISt17integral_constantIbLb1EEST_IbLb0EEEEDaSP_SQ_EUlSP_E0_NS1_11comp_targetILNS1_3genE9ELNS1_11target_archE1100ELNS1_3gpuE3ELNS1_3repE0EEENS1_30default_config_static_selectorELNS0_4arch9wavefront6targetE1EEEvT1_
                                        ; -- End function
	.section	.AMDGPU.csdata,"",@progbits
; Kernel info:
; codeLenInByte = 0
; NumSgprs: 4
; NumVgprs: 0
; NumAgprs: 0
; TotalNumVgprs: 0
; ScratchSize: 0
; MemoryBound: 0
; FloatMode: 240
; IeeeMode: 1
; LDSByteSize: 0 bytes/workgroup (compile time only)
; SGPRBlocks: 0
; VGPRBlocks: 0
; NumSGPRsForWavesPerEU: 4
; NumVGPRsForWavesPerEU: 1
; AccumOffset: 4
; Occupancy: 8
; WaveLimiterHint : 0
; COMPUTE_PGM_RSRC2:SCRATCH_EN: 0
; COMPUTE_PGM_RSRC2:USER_SGPR: 6
; COMPUTE_PGM_RSRC2:TRAP_HANDLER: 0
; COMPUTE_PGM_RSRC2:TGID_X_EN: 1
; COMPUTE_PGM_RSRC2:TGID_Y_EN: 0
; COMPUTE_PGM_RSRC2:TGID_Z_EN: 0
; COMPUTE_PGM_RSRC2:TIDIG_COMP_CNT: 0
; COMPUTE_PGM_RSRC3_GFX90A:ACCUM_OFFSET: 0
; COMPUTE_PGM_RSRC3_GFX90A:TG_SPLIT: 0
	.section	.text._ZN7rocprim17ROCPRIM_400000_NS6detail17trampoline_kernelINS0_14default_configENS1_20scan_config_selectorIfEEZZNS1_9scan_implILNS1_25lookback_scan_determinismE0ELb1ELb1ES3_N6thrust23THRUST_200600_302600_NS6detail15normal_iteratorINS9_10device_ptrIfEEEESE_fNS9_4plusIvEEfEEDaPvRmT3_T4_T5_mT6_P12ihipStream_tbENKUlT_T0_E_clISt17integral_constantIbLb1EEST_IbLb0EEEEDaSP_SQ_EUlSP_E0_NS1_11comp_targetILNS1_3genE8ELNS1_11target_archE1030ELNS1_3gpuE2ELNS1_3repE0EEENS1_30default_config_static_selectorELNS0_4arch9wavefront6targetE1EEEvT1_,"axG",@progbits,_ZN7rocprim17ROCPRIM_400000_NS6detail17trampoline_kernelINS0_14default_configENS1_20scan_config_selectorIfEEZZNS1_9scan_implILNS1_25lookback_scan_determinismE0ELb1ELb1ES3_N6thrust23THRUST_200600_302600_NS6detail15normal_iteratorINS9_10device_ptrIfEEEESE_fNS9_4plusIvEEfEEDaPvRmT3_T4_T5_mT6_P12ihipStream_tbENKUlT_T0_E_clISt17integral_constantIbLb1EEST_IbLb0EEEEDaSP_SQ_EUlSP_E0_NS1_11comp_targetILNS1_3genE8ELNS1_11target_archE1030ELNS1_3gpuE2ELNS1_3repE0EEENS1_30default_config_static_selectorELNS0_4arch9wavefront6targetE1EEEvT1_,comdat
	.protected	_ZN7rocprim17ROCPRIM_400000_NS6detail17trampoline_kernelINS0_14default_configENS1_20scan_config_selectorIfEEZZNS1_9scan_implILNS1_25lookback_scan_determinismE0ELb1ELb1ES3_N6thrust23THRUST_200600_302600_NS6detail15normal_iteratorINS9_10device_ptrIfEEEESE_fNS9_4plusIvEEfEEDaPvRmT3_T4_T5_mT6_P12ihipStream_tbENKUlT_T0_E_clISt17integral_constantIbLb1EEST_IbLb0EEEEDaSP_SQ_EUlSP_E0_NS1_11comp_targetILNS1_3genE8ELNS1_11target_archE1030ELNS1_3gpuE2ELNS1_3repE0EEENS1_30default_config_static_selectorELNS0_4arch9wavefront6targetE1EEEvT1_ ; -- Begin function _ZN7rocprim17ROCPRIM_400000_NS6detail17trampoline_kernelINS0_14default_configENS1_20scan_config_selectorIfEEZZNS1_9scan_implILNS1_25lookback_scan_determinismE0ELb1ELb1ES3_N6thrust23THRUST_200600_302600_NS6detail15normal_iteratorINS9_10device_ptrIfEEEESE_fNS9_4plusIvEEfEEDaPvRmT3_T4_T5_mT6_P12ihipStream_tbENKUlT_T0_E_clISt17integral_constantIbLb1EEST_IbLb0EEEEDaSP_SQ_EUlSP_E0_NS1_11comp_targetILNS1_3genE8ELNS1_11target_archE1030ELNS1_3gpuE2ELNS1_3repE0EEENS1_30default_config_static_selectorELNS0_4arch9wavefront6targetE1EEEvT1_
	.globl	_ZN7rocprim17ROCPRIM_400000_NS6detail17trampoline_kernelINS0_14default_configENS1_20scan_config_selectorIfEEZZNS1_9scan_implILNS1_25lookback_scan_determinismE0ELb1ELb1ES3_N6thrust23THRUST_200600_302600_NS6detail15normal_iteratorINS9_10device_ptrIfEEEESE_fNS9_4plusIvEEfEEDaPvRmT3_T4_T5_mT6_P12ihipStream_tbENKUlT_T0_E_clISt17integral_constantIbLb1EEST_IbLb0EEEEDaSP_SQ_EUlSP_E0_NS1_11comp_targetILNS1_3genE8ELNS1_11target_archE1030ELNS1_3gpuE2ELNS1_3repE0EEENS1_30default_config_static_selectorELNS0_4arch9wavefront6targetE1EEEvT1_
	.p2align	8
	.type	_ZN7rocprim17ROCPRIM_400000_NS6detail17trampoline_kernelINS0_14default_configENS1_20scan_config_selectorIfEEZZNS1_9scan_implILNS1_25lookback_scan_determinismE0ELb1ELb1ES3_N6thrust23THRUST_200600_302600_NS6detail15normal_iteratorINS9_10device_ptrIfEEEESE_fNS9_4plusIvEEfEEDaPvRmT3_T4_T5_mT6_P12ihipStream_tbENKUlT_T0_E_clISt17integral_constantIbLb1EEST_IbLb0EEEEDaSP_SQ_EUlSP_E0_NS1_11comp_targetILNS1_3genE8ELNS1_11target_archE1030ELNS1_3gpuE2ELNS1_3repE0EEENS1_30default_config_static_selectorELNS0_4arch9wavefront6targetE1EEEvT1_,@function
_ZN7rocprim17ROCPRIM_400000_NS6detail17trampoline_kernelINS0_14default_configENS1_20scan_config_selectorIfEEZZNS1_9scan_implILNS1_25lookback_scan_determinismE0ELb1ELb1ES3_N6thrust23THRUST_200600_302600_NS6detail15normal_iteratorINS9_10device_ptrIfEEEESE_fNS9_4plusIvEEfEEDaPvRmT3_T4_T5_mT6_P12ihipStream_tbENKUlT_T0_E_clISt17integral_constantIbLb1EEST_IbLb0EEEEDaSP_SQ_EUlSP_E0_NS1_11comp_targetILNS1_3genE8ELNS1_11target_archE1030ELNS1_3gpuE2ELNS1_3repE0EEENS1_30default_config_static_selectorELNS0_4arch9wavefront6targetE1EEEvT1_: ; @_ZN7rocprim17ROCPRIM_400000_NS6detail17trampoline_kernelINS0_14default_configENS1_20scan_config_selectorIfEEZZNS1_9scan_implILNS1_25lookback_scan_determinismE0ELb1ELb1ES3_N6thrust23THRUST_200600_302600_NS6detail15normal_iteratorINS9_10device_ptrIfEEEESE_fNS9_4plusIvEEfEEDaPvRmT3_T4_T5_mT6_P12ihipStream_tbENKUlT_T0_E_clISt17integral_constantIbLb1EEST_IbLb0EEEEDaSP_SQ_EUlSP_E0_NS1_11comp_targetILNS1_3genE8ELNS1_11target_archE1030ELNS1_3gpuE2ELNS1_3repE0EEENS1_30default_config_static_selectorELNS0_4arch9wavefront6targetE1EEEvT1_
; %bb.0:
	.section	.rodata,"a",@progbits
	.p2align	6, 0x0
	.amdhsa_kernel _ZN7rocprim17ROCPRIM_400000_NS6detail17trampoline_kernelINS0_14default_configENS1_20scan_config_selectorIfEEZZNS1_9scan_implILNS1_25lookback_scan_determinismE0ELb1ELb1ES3_N6thrust23THRUST_200600_302600_NS6detail15normal_iteratorINS9_10device_ptrIfEEEESE_fNS9_4plusIvEEfEEDaPvRmT3_T4_T5_mT6_P12ihipStream_tbENKUlT_T0_E_clISt17integral_constantIbLb1EEST_IbLb0EEEEDaSP_SQ_EUlSP_E0_NS1_11comp_targetILNS1_3genE8ELNS1_11target_archE1030ELNS1_3gpuE2ELNS1_3repE0EEENS1_30default_config_static_selectorELNS0_4arch9wavefront6targetE1EEEvT1_
		.amdhsa_group_segment_fixed_size 0
		.amdhsa_private_segment_fixed_size 0
		.amdhsa_kernarg_size 32
		.amdhsa_user_sgpr_count 6
		.amdhsa_user_sgpr_private_segment_buffer 1
		.amdhsa_user_sgpr_dispatch_ptr 0
		.amdhsa_user_sgpr_queue_ptr 0
		.amdhsa_user_sgpr_kernarg_segment_ptr 1
		.amdhsa_user_sgpr_dispatch_id 0
		.amdhsa_user_sgpr_flat_scratch_init 0
		.amdhsa_user_sgpr_kernarg_preload_length 0
		.amdhsa_user_sgpr_kernarg_preload_offset 0
		.amdhsa_user_sgpr_private_segment_size 0
		.amdhsa_uses_dynamic_stack 0
		.amdhsa_system_sgpr_private_segment_wavefront_offset 0
		.amdhsa_system_sgpr_workgroup_id_x 1
		.amdhsa_system_sgpr_workgroup_id_y 0
		.amdhsa_system_sgpr_workgroup_id_z 0
		.amdhsa_system_sgpr_workgroup_info 0
		.amdhsa_system_vgpr_workitem_id 0
		.amdhsa_next_free_vgpr 1
		.amdhsa_next_free_sgpr 0
		.amdhsa_accum_offset 4
		.amdhsa_reserve_vcc 0
		.amdhsa_reserve_flat_scratch 0
		.amdhsa_float_round_mode_32 0
		.amdhsa_float_round_mode_16_64 0
		.amdhsa_float_denorm_mode_32 3
		.amdhsa_float_denorm_mode_16_64 3
		.amdhsa_dx10_clamp 1
		.amdhsa_ieee_mode 1
		.amdhsa_fp16_overflow 0
		.amdhsa_tg_split 0
		.amdhsa_exception_fp_ieee_invalid_op 0
		.amdhsa_exception_fp_denorm_src 0
		.amdhsa_exception_fp_ieee_div_zero 0
		.amdhsa_exception_fp_ieee_overflow 0
		.amdhsa_exception_fp_ieee_underflow 0
		.amdhsa_exception_fp_ieee_inexact 0
		.amdhsa_exception_int_div_zero 0
	.end_amdhsa_kernel
	.section	.text._ZN7rocprim17ROCPRIM_400000_NS6detail17trampoline_kernelINS0_14default_configENS1_20scan_config_selectorIfEEZZNS1_9scan_implILNS1_25lookback_scan_determinismE0ELb1ELb1ES3_N6thrust23THRUST_200600_302600_NS6detail15normal_iteratorINS9_10device_ptrIfEEEESE_fNS9_4plusIvEEfEEDaPvRmT3_T4_T5_mT6_P12ihipStream_tbENKUlT_T0_E_clISt17integral_constantIbLb1EEST_IbLb0EEEEDaSP_SQ_EUlSP_E0_NS1_11comp_targetILNS1_3genE8ELNS1_11target_archE1030ELNS1_3gpuE2ELNS1_3repE0EEENS1_30default_config_static_selectorELNS0_4arch9wavefront6targetE1EEEvT1_,"axG",@progbits,_ZN7rocprim17ROCPRIM_400000_NS6detail17trampoline_kernelINS0_14default_configENS1_20scan_config_selectorIfEEZZNS1_9scan_implILNS1_25lookback_scan_determinismE0ELb1ELb1ES3_N6thrust23THRUST_200600_302600_NS6detail15normal_iteratorINS9_10device_ptrIfEEEESE_fNS9_4plusIvEEfEEDaPvRmT3_T4_T5_mT6_P12ihipStream_tbENKUlT_T0_E_clISt17integral_constantIbLb1EEST_IbLb0EEEEDaSP_SQ_EUlSP_E0_NS1_11comp_targetILNS1_3genE8ELNS1_11target_archE1030ELNS1_3gpuE2ELNS1_3repE0EEENS1_30default_config_static_selectorELNS0_4arch9wavefront6targetE1EEEvT1_,comdat
.Lfunc_end4411:
	.size	_ZN7rocprim17ROCPRIM_400000_NS6detail17trampoline_kernelINS0_14default_configENS1_20scan_config_selectorIfEEZZNS1_9scan_implILNS1_25lookback_scan_determinismE0ELb1ELb1ES3_N6thrust23THRUST_200600_302600_NS6detail15normal_iteratorINS9_10device_ptrIfEEEESE_fNS9_4plusIvEEfEEDaPvRmT3_T4_T5_mT6_P12ihipStream_tbENKUlT_T0_E_clISt17integral_constantIbLb1EEST_IbLb0EEEEDaSP_SQ_EUlSP_E0_NS1_11comp_targetILNS1_3genE8ELNS1_11target_archE1030ELNS1_3gpuE2ELNS1_3repE0EEENS1_30default_config_static_selectorELNS0_4arch9wavefront6targetE1EEEvT1_, .Lfunc_end4411-_ZN7rocprim17ROCPRIM_400000_NS6detail17trampoline_kernelINS0_14default_configENS1_20scan_config_selectorIfEEZZNS1_9scan_implILNS1_25lookback_scan_determinismE0ELb1ELb1ES3_N6thrust23THRUST_200600_302600_NS6detail15normal_iteratorINS9_10device_ptrIfEEEESE_fNS9_4plusIvEEfEEDaPvRmT3_T4_T5_mT6_P12ihipStream_tbENKUlT_T0_E_clISt17integral_constantIbLb1EEST_IbLb0EEEEDaSP_SQ_EUlSP_E0_NS1_11comp_targetILNS1_3genE8ELNS1_11target_archE1030ELNS1_3gpuE2ELNS1_3repE0EEENS1_30default_config_static_selectorELNS0_4arch9wavefront6targetE1EEEvT1_
                                        ; -- End function
	.section	.AMDGPU.csdata,"",@progbits
; Kernel info:
; codeLenInByte = 0
; NumSgprs: 4
; NumVgprs: 0
; NumAgprs: 0
; TotalNumVgprs: 0
; ScratchSize: 0
; MemoryBound: 0
; FloatMode: 240
; IeeeMode: 1
; LDSByteSize: 0 bytes/workgroup (compile time only)
; SGPRBlocks: 0
; VGPRBlocks: 0
; NumSGPRsForWavesPerEU: 4
; NumVGPRsForWavesPerEU: 1
; AccumOffset: 4
; Occupancy: 8
; WaveLimiterHint : 0
; COMPUTE_PGM_RSRC2:SCRATCH_EN: 0
; COMPUTE_PGM_RSRC2:USER_SGPR: 6
; COMPUTE_PGM_RSRC2:TRAP_HANDLER: 0
; COMPUTE_PGM_RSRC2:TGID_X_EN: 1
; COMPUTE_PGM_RSRC2:TGID_Y_EN: 0
; COMPUTE_PGM_RSRC2:TGID_Z_EN: 0
; COMPUTE_PGM_RSRC2:TIDIG_COMP_CNT: 0
; COMPUTE_PGM_RSRC3_GFX90A:ACCUM_OFFSET: 0
; COMPUTE_PGM_RSRC3_GFX90A:TG_SPLIT: 0
	.section	.text._ZN7rocprim17ROCPRIM_400000_NS6detail17trampoline_kernelINS0_14default_configENS1_20scan_config_selectorIfEEZZNS1_9scan_implILNS1_25lookback_scan_determinismE0ELb1ELb1ES3_N6thrust23THRUST_200600_302600_NS6detail15normal_iteratorINS9_10device_ptrIfEEEESE_fNS9_4plusIvEEfEEDaPvRmT3_T4_T5_mT6_P12ihipStream_tbENKUlT_T0_E_clISt17integral_constantIbLb0EEST_IbLb1EEEEDaSP_SQ_EUlSP_E_NS1_11comp_targetILNS1_3genE0ELNS1_11target_archE4294967295ELNS1_3gpuE0ELNS1_3repE0EEENS1_30default_config_static_selectorELNS0_4arch9wavefront6targetE1EEEvT1_,"axG",@progbits,_ZN7rocprim17ROCPRIM_400000_NS6detail17trampoline_kernelINS0_14default_configENS1_20scan_config_selectorIfEEZZNS1_9scan_implILNS1_25lookback_scan_determinismE0ELb1ELb1ES3_N6thrust23THRUST_200600_302600_NS6detail15normal_iteratorINS9_10device_ptrIfEEEESE_fNS9_4plusIvEEfEEDaPvRmT3_T4_T5_mT6_P12ihipStream_tbENKUlT_T0_E_clISt17integral_constantIbLb0EEST_IbLb1EEEEDaSP_SQ_EUlSP_E_NS1_11comp_targetILNS1_3genE0ELNS1_11target_archE4294967295ELNS1_3gpuE0ELNS1_3repE0EEENS1_30default_config_static_selectorELNS0_4arch9wavefront6targetE1EEEvT1_,comdat
	.protected	_ZN7rocprim17ROCPRIM_400000_NS6detail17trampoline_kernelINS0_14default_configENS1_20scan_config_selectorIfEEZZNS1_9scan_implILNS1_25lookback_scan_determinismE0ELb1ELb1ES3_N6thrust23THRUST_200600_302600_NS6detail15normal_iteratorINS9_10device_ptrIfEEEESE_fNS9_4plusIvEEfEEDaPvRmT3_T4_T5_mT6_P12ihipStream_tbENKUlT_T0_E_clISt17integral_constantIbLb0EEST_IbLb1EEEEDaSP_SQ_EUlSP_E_NS1_11comp_targetILNS1_3genE0ELNS1_11target_archE4294967295ELNS1_3gpuE0ELNS1_3repE0EEENS1_30default_config_static_selectorELNS0_4arch9wavefront6targetE1EEEvT1_ ; -- Begin function _ZN7rocprim17ROCPRIM_400000_NS6detail17trampoline_kernelINS0_14default_configENS1_20scan_config_selectorIfEEZZNS1_9scan_implILNS1_25lookback_scan_determinismE0ELb1ELb1ES3_N6thrust23THRUST_200600_302600_NS6detail15normal_iteratorINS9_10device_ptrIfEEEESE_fNS9_4plusIvEEfEEDaPvRmT3_T4_T5_mT6_P12ihipStream_tbENKUlT_T0_E_clISt17integral_constantIbLb0EEST_IbLb1EEEEDaSP_SQ_EUlSP_E_NS1_11comp_targetILNS1_3genE0ELNS1_11target_archE4294967295ELNS1_3gpuE0ELNS1_3repE0EEENS1_30default_config_static_selectorELNS0_4arch9wavefront6targetE1EEEvT1_
	.globl	_ZN7rocprim17ROCPRIM_400000_NS6detail17trampoline_kernelINS0_14default_configENS1_20scan_config_selectorIfEEZZNS1_9scan_implILNS1_25lookback_scan_determinismE0ELb1ELb1ES3_N6thrust23THRUST_200600_302600_NS6detail15normal_iteratorINS9_10device_ptrIfEEEESE_fNS9_4plusIvEEfEEDaPvRmT3_T4_T5_mT6_P12ihipStream_tbENKUlT_T0_E_clISt17integral_constantIbLb0EEST_IbLb1EEEEDaSP_SQ_EUlSP_E_NS1_11comp_targetILNS1_3genE0ELNS1_11target_archE4294967295ELNS1_3gpuE0ELNS1_3repE0EEENS1_30default_config_static_selectorELNS0_4arch9wavefront6targetE1EEEvT1_
	.p2align	8
	.type	_ZN7rocprim17ROCPRIM_400000_NS6detail17trampoline_kernelINS0_14default_configENS1_20scan_config_selectorIfEEZZNS1_9scan_implILNS1_25lookback_scan_determinismE0ELb1ELb1ES3_N6thrust23THRUST_200600_302600_NS6detail15normal_iteratorINS9_10device_ptrIfEEEESE_fNS9_4plusIvEEfEEDaPvRmT3_T4_T5_mT6_P12ihipStream_tbENKUlT_T0_E_clISt17integral_constantIbLb0EEST_IbLb1EEEEDaSP_SQ_EUlSP_E_NS1_11comp_targetILNS1_3genE0ELNS1_11target_archE4294967295ELNS1_3gpuE0ELNS1_3repE0EEENS1_30default_config_static_selectorELNS0_4arch9wavefront6targetE1EEEvT1_,@function
_ZN7rocprim17ROCPRIM_400000_NS6detail17trampoline_kernelINS0_14default_configENS1_20scan_config_selectorIfEEZZNS1_9scan_implILNS1_25lookback_scan_determinismE0ELb1ELb1ES3_N6thrust23THRUST_200600_302600_NS6detail15normal_iteratorINS9_10device_ptrIfEEEESE_fNS9_4plusIvEEfEEDaPvRmT3_T4_T5_mT6_P12ihipStream_tbENKUlT_T0_E_clISt17integral_constantIbLb0EEST_IbLb1EEEEDaSP_SQ_EUlSP_E_NS1_11comp_targetILNS1_3genE0ELNS1_11target_archE4294967295ELNS1_3gpuE0ELNS1_3repE0EEENS1_30default_config_static_selectorELNS0_4arch9wavefront6targetE1EEEvT1_: ; @_ZN7rocprim17ROCPRIM_400000_NS6detail17trampoline_kernelINS0_14default_configENS1_20scan_config_selectorIfEEZZNS1_9scan_implILNS1_25lookback_scan_determinismE0ELb1ELb1ES3_N6thrust23THRUST_200600_302600_NS6detail15normal_iteratorINS9_10device_ptrIfEEEESE_fNS9_4plusIvEEfEEDaPvRmT3_T4_T5_mT6_P12ihipStream_tbENKUlT_T0_E_clISt17integral_constantIbLb0EEST_IbLb1EEEEDaSP_SQ_EUlSP_E_NS1_11comp_targetILNS1_3genE0ELNS1_11target_archE4294967295ELNS1_3gpuE0ELNS1_3repE0EEENS1_30default_config_static_selectorELNS0_4arch9wavefront6targetE1EEEvT1_
; %bb.0:
	.section	.rodata,"a",@progbits
	.p2align	6, 0x0
	.amdhsa_kernel _ZN7rocprim17ROCPRIM_400000_NS6detail17trampoline_kernelINS0_14default_configENS1_20scan_config_selectorIfEEZZNS1_9scan_implILNS1_25lookback_scan_determinismE0ELb1ELb1ES3_N6thrust23THRUST_200600_302600_NS6detail15normal_iteratorINS9_10device_ptrIfEEEESE_fNS9_4plusIvEEfEEDaPvRmT3_T4_T5_mT6_P12ihipStream_tbENKUlT_T0_E_clISt17integral_constantIbLb0EEST_IbLb1EEEEDaSP_SQ_EUlSP_E_NS1_11comp_targetILNS1_3genE0ELNS1_11target_archE4294967295ELNS1_3gpuE0ELNS1_3repE0EEENS1_30default_config_static_selectorELNS0_4arch9wavefront6targetE1EEEvT1_
		.amdhsa_group_segment_fixed_size 0
		.amdhsa_private_segment_fixed_size 0
		.amdhsa_kernarg_size 96
		.amdhsa_user_sgpr_count 6
		.amdhsa_user_sgpr_private_segment_buffer 1
		.amdhsa_user_sgpr_dispatch_ptr 0
		.amdhsa_user_sgpr_queue_ptr 0
		.amdhsa_user_sgpr_kernarg_segment_ptr 1
		.amdhsa_user_sgpr_dispatch_id 0
		.amdhsa_user_sgpr_flat_scratch_init 0
		.amdhsa_user_sgpr_kernarg_preload_length 0
		.amdhsa_user_sgpr_kernarg_preload_offset 0
		.amdhsa_user_sgpr_private_segment_size 0
		.amdhsa_uses_dynamic_stack 0
		.amdhsa_system_sgpr_private_segment_wavefront_offset 0
		.amdhsa_system_sgpr_workgroup_id_x 1
		.amdhsa_system_sgpr_workgroup_id_y 0
		.amdhsa_system_sgpr_workgroup_id_z 0
		.amdhsa_system_sgpr_workgroup_info 0
		.amdhsa_system_vgpr_workitem_id 0
		.amdhsa_next_free_vgpr 1
		.amdhsa_next_free_sgpr 0
		.amdhsa_accum_offset 4
		.amdhsa_reserve_vcc 0
		.amdhsa_reserve_flat_scratch 0
		.amdhsa_float_round_mode_32 0
		.amdhsa_float_round_mode_16_64 0
		.amdhsa_float_denorm_mode_32 3
		.amdhsa_float_denorm_mode_16_64 3
		.amdhsa_dx10_clamp 1
		.amdhsa_ieee_mode 1
		.amdhsa_fp16_overflow 0
		.amdhsa_tg_split 0
		.amdhsa_exception_fp_ieee_invalid_op 0
		.amdhsa_exception_fp_denorm_src 0
		.amdhsa_exception_fp_ieee_div_zero 0
		.amdhsa_exception_fp_ieee_overflow 0
		.amdhsa_exception_fp_ieee_underflow 0
		.amdhsa_exception_fp_ieee_inexact 0
		.amdhsa_exception_int_div_zero 0
	.end_amdhsa_kernel
	.section	.text._ZN7rocprim17ROCPRIM_400000_NS6detail17trampoline_kernelINS0_14default_configENS1_20scan_config_selectorIfEEZZNS1_9scan_implILNS1_25lookback_scan_determinismE0ELb1ELb1ES3_N6thrust23THRUST_200600_302600_NS6detail15normal_iteratorINS9_10device_ptrIfEEEESE_fNS9_4plusIvEEfEEDaPvRmT3_T4_T5_mT6_P12ihipStream_tbENKUlT_T0_E_clISt17integral_constantIbLb0EEST_IbLb1EEEEDaSP_SQ_EUlSP_E_NS1_11comp_targetILNS1_3genE0ELNS1_11target_archE4294967295ELNS1_3gpuE0ELNS1_3repE0EEENS1_30default_config_static_selectorELNS0_4arch9wavefront6targetE1EEEvT1_,"axG",@progbits,_ZN7rocprim17ROCPRIM_400000_NS6detail17trampoline_kernelINS0_14default_configENS1_20scan_config_selectorIfEEZZNS1_9scan_implILNS1_25lookback_scan_determinismE0ELb1ELb1ES3_N6thrust23THRUST_200600_302600_NS6detail15normal_iteratorINS9_10device_ptrIfEEEESE_fNS9_4plusIvEEfEEDaPvRmT3_T4_T5_mT6_P12ihipStream_tbENKUlT_T0_E_clISt17integral_constantIbLb0EEST_IbLb1EEEEDaSP_SQ_EUlSP_E_NS1_11comp_targetILNS1_3genE0ELNS1_11target_archE4294967295ELNS1_3gpuE0ELNS1_3repE0EEENS1_30default_config_static_selectorELNS0_4arch9wavefront6targetE1EEEvT1_,comdat
.Lfunc_end4412:
	.size	_ZN7rocprim17ROCPRIM_400000_NS6detail17trampoline_kernelINS0_14default_configENS1_20scan_config_selectorIfEEZZNS1_9scan_implILNS1_25lookback_scan_determinismE0ELb1ELb1ES3_N6thrust23THRUST_200600_302600_NS6detail15normal_iteratorINS9_10device_ptrIfEEEESE_fNS9_4plusIvEEfEEDaPvRmT3_T4_T5_mT6_P12ihipStream_tbENKUlT_T0_E_clISt17integral_constantIbLb0EEST_IbLb1EEEEDaSP_SQ_EUlSP_E_NS1_11comp_targetILNS1_3genE0ELNS1_11target_archE4294967295ELNS1_3gpuE0ELNS1_3repE0EEENS1_30default_config_static_selectorELNS0_4arch9wavefront6targetE1EEEvT1_, .Lfunc_end4412-_ZN7rocprim17ROCPRIM_400000_NS6detail17trampoline_kernelINS0_14default_configENS1_20scan_config_selectorIfEEZZNS1_9scan_implILNS1_25lookback_scan_determinismE0ELb1ELb1ES3_N6thrust23THRUST_200600_302600_NS6detail15normal_iteratorINS9_10device_ptrIfEEEESE_fNS9_4plusIvEEfEEDaPvRmT3_T4_T5_mT6_P12ihipStream_tbENKUlT_T0_E_clISt17integral_constantIbLb0EEST_IbLb1EEEEDaSP_SQ_EUlSP_E_NS1_11comp_targetILNS1_3genE0ELNS1_11target_archE4294967295ELNS1_3gpuE0ELNS1_3repE0EEENS1_30default_config_static_selectorELNS0_4arch9wavefront6targetE1EEEvT1_
                                        ; -- End function
	.section	.AMDGPU.csdata,"",@progbits
; Kernel info:
; codeLenInByte = 0
; NumSgprs: 4
; NumVgprs: 0
; NumAgprs: 0
; TotalNumVgprs: 0
; ScratchSize: 0
; MemoryBound: 0
; FloatMode: 240
; IeeeMode: 1
; LDSByteSize: 0 bytes/workgroup (compile time only)
; SGPRBlocks: 0
; VGPRBlocks: 0
; NumSGPRsForWavesPerEU: 4
; NumVGPRsForWavesPerEU: 1
; AccumOffset: 4
; Occupancy: 8
; WaveLimiterHint : 0
; COMPUTE_PGM_RSRC2:SCRATCH_EN: 0
; COMPUTE_PGM_RSRC2:USER_SGPR: 6
; COMPUTE_PGM_RSRC2:TRAP_HANDLER: 0
; COMPUTE_PGM_RSRC2:TGID_X_EN: 1
; COMPUTE_PGM_RSRC2:TGID_Y_EN: 0
; COMPUTE_PGM_RSRC2:TGID_Z_EN: 0
; COMPUTE_PGM_RSRC2:TIDIG_COMP_CNT: 0
; COMPUTE_PGM_RSRC3_GFX90A:ACCUM_OFFSET: 0
; COMPUTE_PGM_RSRC3_GFX90A:TG_SPLIT: 0
	.section	.text._ZN7rocprim17ROCPRIM_400000_NS6detail17trampoline_kernelINS0_14default_configENS1_20scan_config_selectorIfEEZZNS1_9scan_implILNS1_25lookback_scan_determinismE0ELb1ELb1ES3_N6thrust23THRUST_200600_302600_NS6detail15normal_iteratorINS9_10device_ptrIfEEEESE_fNS9_4plusIvEEfEEDaPvRmT3_T4_T5_mT6_P12ihipStream_tbENKUlT_T0_E_clISt17integral_constantIbLb0EEST_IbLb1EEEEDaSP_SQ_EUlSP_E_NS1_11comp_targetILNS1_3genE5ELNS1_11target_archE942ELNS1_3gpuE9ELNS1_3repE0EEENS1_30default_config_static_selectorELNS0_4arch9wavefront6targetE1EEEvT1_,"axG",@progbits,_ZN7rocprim17ROCPRIM_400000_NS6detail17trampoline_kernelINS0_14default_configENS1_20scan_config_selectorIfEEZZNS1_9scan_implILNS1_25lookback_scan_determinismE0ELb1ELb1ES3_N6thrust23THRUST_200600_302600_NS6detail15normal_iteratorINS9_10device_ptrIfEEEESE_fNS9_4plusIvEEfEEDaPvRmT3_T4_T5_mT6_P12ihipStream_tbENKUlT_T0_E_clISt17integral_constantIbLb0EEST_IbLb1EEEEDaSP_SQ_EUlSP_E_NS1_11comp_targetILNS1_3genE5ELNS1_11target_archE942ELNS1_3gpuE9ELNS1_3repE0EEENS1_30default_config_static_selectorELNS0_4arch9wavefront6targetE1EEEvT1_,comdat
	.protected	_ZN7rocprim17ROCPRIM_400000_NS6detail17trampoline_kernelINS0_14default_configENS1_20scan_config_selectorIfEEZZNS1_9scan_implILNS1_25lookback_scan_determinismE0ELb1ELb1ES3_N6thrust23THRUST_200600_302600_NS6detail15normal_iteratorINS9_10device_ptrIfEEEESE_fNS9_4plusIvEEfEEDaPvRmT3_T4_T5_mT6_P12ihipStream_tbENKUlT_T0_E_clISt17integral_constantIbLb0EEST_IbLb1EEEEDaSP_SQ_EUlSP_E_NS1_11comp_targetILNS1_3genE5ELNS1_11target_archE942ELNS1_3gpuE9ELNS1_3repE0EEENS1_30default_config_static_selectorELNS0_4arch9wavefront6targetE1EEEvT1_ ; -- Begin function _ZN7rocprim17ROCPRIM_400000_NS6detail17trampoline_kernelINS0_14default_configENS1_20scan_config_selectorIfEEZZNS1_9scan_implILNS1_25lookback_scan_determinismE0ELb1ELb1ES3_N6thrust23THRUST_200600_302600_NS6detail15normal_iteratorINS9_10device_ptrIfEEEESE_fNS9_4plusIvEEfEEDaPvRmT3_T4_T5_mT6_P12ihipStream_tbENKUlT_T0_E_clISt17integral_constantIbLb0EEST_IbLb1EEEEDaSP_SQ_EUlSP_E_NS1_11comp_targetILNS1_3genE5ELNS1_11target_archE942ELNS1_3gpuE9ELNS1_3repE0EEENS1_30default_config_static_selectorELNS0_4arch9wavefront6targetE1EEEvT1_
	.globl	_ZN7rocprim17ROCPRIM_400000_NS6detail17trampoline_kernelINS0_14default_configENS1_20scan_config_selectorIfEEZZNS1_9scan_implILNS1_25lookback_scan_determinismE0ELb1ELb1ES3_N6thrust23THRUST_200600_302600_NS6detail15normal_iteratorINS9_10device_ptrIfEEEESE_fNS9_4plusIvEEfEEDaPvRmT3_T4_T5_mT6_P12ihipStream_tbENKUlT_T0_E_clISt17integral_constantIbLb0EEST_IbLb1EEEEDaSP_SQ_EUlSP_E_NS1_11comp_targetILNS1_3genE5ELNS1_11target_archE942ELNS1_3gpuE9ELNS1_3repE0EEENS1_30default_config_static_selectorELNS0_4arch9wavefront6targetE1EEEvT1_
	.p2align	8
	.type	_ZN7rocprim17ROCPRIM_400000_NS6detail17trampoline_kernelINS0_14default_configENS1_20scan_config_selectorIfEEZZNS1_9scan_implILNS1_25lookback_scan_determinismE0ELb1ELb1ES3_N6thrust23THRUST_200600_302600_NS6detail15normal_iteratorINS9_10device_ptrIfEEEESE_fNS9_4plusIvEEfEEDaPvRmT3_T4_T5_mT6_P12ihipStream_tbENKUlT_T0_E_clISt17integral_constantIbLb0EEST_IbLb1EEEEDaSP_SQ_EUlSP_E_NS1_11comp_targetILNS1_3genE5ELNS1_11target_archE942ELNS1_3gpuE9ELNS1_3repE0EEENS1_30default_config_static_selectorELNS0_4arch9wavefront6targetE1EEEvT1_,@function
_ZN7rocprim17ROCPRIM_400000_NS6detail17trampoline_kernelINS0_14default_configENS1_20scan_config_selectorIfEEZZNS1_9scan_implILNS1_25lookback_scan_determinismE0ELb1ELb1ES3_N6thrust23THRUST_200600_302600_NS6detail15normal_iteratorINS9_10device_ptrIfEEEESE_fNS9_4plusIvEEfEEDaPvRmT3_T4_T5_mT6_P12ihipStream_tbENKUlT_T0_E_clISt17integral_constantIbLb0EEST_IbLb1EEEEDaSP_SQ_EUlSP_E_NS1_11comp_targetILNS1_3genE5ELNS1_11target_archE942ELNS1_3gpuE9ELNS1_3repE0EEENS1_30default_config_static_selectorELNS0_4arch9wavefront6targetE1EEEvT1_: ; @_ZN7rocprim17ROCPRIM_400000_NS6detail17trampoline_kernelINS0_14default_configENS1_20scan_config_selectorIfEEZZNS1_9scan_implILNS1_25lookback_scan_determinismE0ELb1ELb1ES3_N6thrust23THRUST_200600_302600_NS6detail15normal_iteratorINS9_10device_ptrIfEEEESE_fNS9_4plusIvEEfEEDaPvRmT3_T4_T5_mT6_P12ihipStream_tbENKUlT_T0_E_clISt17integral_constantIbLb0EEST_IbLb1EEEEDaSP_SQ_EUlSP_E_NS1_11comp_targetILNS1_3genE5ELNS1_11target_archE942ELNS1_3gpuE9ELNS1_3repE0EEENS1_30default_config_static_selectorELNS0_4arch9wavefront6targetE1EEEvT1_
; %bb.0:
	.section	.rodata,"a",@progbits
	.p2align	6, 0x0
	.amdhsa_kernel _ZN7rocprim17ROCPRIM_400000_NS6detail17trampoline_kernelINS0_14default_configENS1_20scan_config_selectorIfEEZZNS1_9scan_implILNS1_25lookback_scan_determinismE0ELb1ELb1ES3_N6thrust23THRUST_200600_302600_NS6detail15normal_iteratorINS9_10device_ptrIfEEEESE_fNS9_4plusIvEEfEEDaPvRmT3_T4_T5_mT6_P12ihipStream_tbENKUlT_T0_E_clISt17integral_constantIbLb0EEST_IbLb1EEEEDaSP_SQ_EUlSP_E_NS1_11comp_targetILNS1_3genE5ELNS1_11target_archE942ELNS1_3gpuE9ELNS1_3repE0EEENS1_30default_config_static_selectorELNS0_4arch9wavefront6targetE1EEEvT1_
		.amdhsa_group_segment_fixed_size 0
		.amdhsa_private_segment_fixed_size 0
		.amdhsa_kernarg_size 96
		.amdhsa_user_sgpr_count 6
		.amdhsa_user_sgpr_private_segment_buffer 1
		.amdhsa_user_sgpr_dispatch_ptr 0
		.amdhsa_user_sgpr_queue_ptr 0
		.amdhsa_user_sgpr_kernarg_segment_ptr 1
		.amdhsa_user_sgpr_dispatch_id 0
		.amdhsa_user_sgpr_flat_scratch_init 0
		.amdhsa_user_sgpr_kernarg_preload_length 0
		.amdhsa_user_sgpr_kernarg_preload_offset 0
		.amdhsa_user_sgpr_private_segment_size 0
		.amdhsa_uses_dynamic_stack 0
		.amdhsa_system_sgpr_private_segment_wavefront_offset 0
		.amdhsa_system_sgpr_workgroup_id_x 1
		.amdhsa_system_sgpr_workgroup_id_y 0
		.amdhsa_system_sgpr_workgroup_id_z 0
		.amdhsa_system_sgpr_workgroup_info 0
		.amdhsa_system_vgpr_workitem_id 0
		.amdhsa_next_free_vgpr 1
		.amdhsa_next_free_sgpr 0
		.amdhsa_accum_offset 4
		.amdhsa_reserve_vcc 0
		.amdhsa_reserve_flat_scratch 0
		.amdhsa_float_round_mode_32 0
		.amdhsa_float_round_mode_16_64 0
		.amdhsa_float_denorm_mode_32 3
		.amdhsa_float_denorm_mode_16_64 3
		.amdhsa_dx10_clamp 1
		.amdhsa_ieee_mode 1
		.amdhsa_fp16_overflow 0
		.amdhsa_tg_split 0
		.amdhsa_exception_fp_ieee_invalid_op 0
		.amdhsa_exception_fp_denorm_src 0
		.amdhsa_exception_fp_ieee_div_zero 0
		.amdhsa_exception_fp_ieee_overflow 0
		.amdhsa_exception_fp_ieee_underflow 0
		.amdhsa_exception_fp_ieee_inexact 0
		.amdhsa_exception_int_div_zero 0
	.end_amdhsa_kernel
	.section	.text._ZN7rocprim17ROCPRIM_400000_NS6detail17trampoline_kernelINS0_14default_configENS1_20scan_config_selectorIfEEZZNS1_9scan_implILNS1_25lookback_scan_determinismE0ELb1ELb1ES3_N6thrust23THRUST_200600_302600_NS6detail15normal_iteratorINS9_10device_ptrIfEEEESE_fNS9_4plusIvEEfEEDaPvRmT3_T4_T5_mT6_P12ihipStream_tbENKUlT_T0_E_clISt17integral_constantIbLb0EEST_IbLb1EEEEDaSP_SQ_EUlSP_E_NS1_11comp_targetILNS1_3genE5ELNS1_11target_archE942ELNS1_3gpuE9ELNS1_3repE0EEENS1_30default_config_static_selectorELNS0_4arch9wavefront6targetE1EEEvT1_,"axG",@progbits,_ZN7rocprim17ROCPRIM_400000_NS6detail17trampoline_kernelINS0_14default_configENS1_20scan_config_selectorIfEEZZNS1_9scan_implILNS1_25lookback_scan_determinismE0ELb1ELb1ES3_N6thrust23THRUST_200600_302600_NS6detail15normal_iteratorINS9_10device_ptrIfEEEESE_fNS9_4plusIvEEfEEDaPvRmT3_T4_T5_mT6_P12ihipStream_tbENKUlT_T0_E_clISt17integral_constantIbLb0EEST_IbLb1EEEEDaSP_SQ_EUlSP_E_NS1_11comp_targetILNS1_3genE5ELNS1_11target_archE942ELNS1_3gpuE9ELNS1_3repE0EEENS1_30default_config_static_selectorELNS0_4arch9wavefront6targetE1EEEvT1_,comdat
.Lfunc_end4413:
	.size	_ZN7rocprim17ROCPRIM_400000_NS6detail17trampoline_kernelINS0_14default_configENS1_20scan_config_selectorIfEEZZNS1_9scan_implILNS1_25lookback_scan_determinismE0ELb1ELb1ES3_N6thrust23THRUST_200600_302600_NS6detail15normal_iteratorINS9_10device_ptrIfEEEESE_fNS9_4plusIvEEfEEDaPvRmT3_T4_T5_mT6_P12ihipStream_tbENKUlT_T0_E_clISt17integral_constantIbLb0EEST_IbLb1EEEEDaSP_SQ_EUlSP_E_NS1_11comp_targetILNS1_3genE5ELNS1_11target_archE942ELNS1_3gpuE9ELNS1_3repE0EEENS1_30default_config_static_selectorELNS0_4arch9wavefront6targetE1EEEvT1_, .Lfunc_end4413-_ZN7rocprim17ROCPRIM_400000_NS6detail17trampoline_kernelINS0_14default_configENS1_20scan_config_selectorIfEEZZNS1_9scan_implILNS1_25lookback_scan_determinismE0ELb1ELb1ES3_N6thrust23THRUST_200600_302600_NS6detail15normal_iteratorINS9_10device_ptrIfEEEESE_fNS9_4plusIvEEfEEDaPvRmT3_T4_T5_mT6_P12ihipStream_tbENKUlT_T0_E_clISt17integral_constantIbLb0EEST_IbLb1EEEEDaSP_SQ_EUlSP_E_NS1_11comp_targetILNS1_3genE5ELNS1_11target_archE942ELNS1_3gpuE9ELNS1_3repE0EEENS1_30default_config_static_selectorELNS0_4arch9wavefront6targetE1EEEvT1_
                                        ; -- End function
	.section	.AMDGPU.csdata,"",@progbits
; Kernel info:
; codeLenInByte = 0
; NumSgprs: 4
; NumVgprs: 0
; NumAgprs: 0
; TotalNumVgprs: 0
; ScratchSize: 0
; MemoryBound: 0
; FloatMode: 240
; IeeeMode: 1
; LDSByteSize: 0 bytes/workgroup (compile time only)
; SGPRBlocks: 0
; VGPRBlocks: 0
; NumSGPRsForWavesPerEU: 4
; NumVGPRsForWavesPerEU: 1
; AccumOffset: 4
; Occupancy: 8
; WaveLimiterHint : 0
; COMPUTE_PGM_RSRC2:SCRATCH_EN: 0
; COMPUTE_PGM_RSRC2:USER_SGPR: 6
; COMPUTE_PGM_RSRC2:TRAP_HANDLER: 0
; COMPUTE_PGM_RSRC2:TGID_X_EN: 1
; COMPUTE_PGM_RSRC2:TGID_Y_EN: 0
; COMPUTE_PGM_RSRC2:TGID_Z_EN: 0
; COMPUTE_PGM_RSRC2:TIDIG_COMP_CNT: 0
; COMPUTE_PGM_RSRC3_GFX90A:ACCUM_OFFSET: 0
; COMPUTE_PGM_RSRC3_GFX90A:TG_SPLIT: 0
	.section	.text._ZN7rocprim17ROCPRIM_400000_NS6detail17trampoline_kernelINS0_14default_configENS1_20scan_config_selectorIfEEZZNS1_9scan_implILNS1_25lookback_scan_determinismE0ELb1ELb1ES3_N6thrust23THRUST_200600_302600_NS6detail15normal_iteratorINS9_10device_ptrIfEEEESE_fNS9_4plusIvEEfEEDaPvRmT3_T4_T5_mT6_P12ihipStream_tbENKUlT_T0_E_clISt17integral_constantIbLb0EEST_IbLb1EEEEDaSP_SQ_EUlSP_E_NS1_11comp_targetILNS1_3genE4ELNS1_11target_archE910ELNS1_3gpuE8ELNS1_3repE0EEENS1_30default_config_static_selectorELNS0_4arch9wavefront6targetE1EEEvT1_,"axG",@progbits,_ZN7rocprim17ROCPRIM_400000_NS6detail17trampoline_kernelINS0_14default_configENS1_20scan_config_selectorIfEEZZNS1_9scan_implILNS1_25lookback_scan_determinismE0ELb1ELb1ES3_N6thrust23THRUST_200600_302600_NS6detail15normal_iteratorINS9_10device_ptrIfEEEESE_fNS9_4plusIvEEfEEDaPvRmT3_T4_T5_mT6_P12ihipStream_tbENKUlT_T0_E_clISt17integral_constantIbLb0EEST_IbLb1EEEEDaSP_SQ_EUlSP_E_NS1_11comp_targetILNS1_3genE4ELNS1_11target_archE910ELNS1_3gpuE8ELNS1_3repE0EEENS1_30default_config_static_selectorELNS0_4arch9wavefront6targetE1EEEvT1_,comdat
	.protected	_ZN7rocprim17ROCPRIM_400000_NS6detail17trampoline_kernelINS0_14default_configENS1_20scan_config_selectorIfEEZZNS1_9scan_implILNS1_25lookback_scan_determinismE0ELb1ELb1ES3_N6thrust23THRUST_200600_302600_NS6detail15normal_iteratorINS9_10device_ptrIfEEEESE_fNS9_4plusIvEEfEEDaPvRmT3_T4_T5_mT6_P12ihipStream_tbENKUlT_T0_E_clISt17integral_constantIbLb0EEST_IbLb1EEEEDaSP_SQ_EUlSP_E_NS1_11comp_targetILNS1_3genE4ELNS1_11target_archE910ELNS1_3gpuE8ELNS1_3repE0EEENS1_30default_config_static_selectorELNS0_4arch9wavefront6targetE1EEEvT1_ ; -- Begin function _ZN7rocprim17ROCPRIM_400000_NS6detail17trampoline_kernelINS0_14default_configENS1_20scan_config_selectorIfEEZZNS1_9scan_implILNS1_25lookback_scan_determinismE0ELb1ELb1ES3_N6thrust23THRUST_200600_302600_NS6detail15normal_iteratorINS9_10device_ptrIfEEEESE_fNS9_4plusIvEEfEEDaPvRmT3_T4_T5_mT6_P12ihipStream_tbENKUlT_T0_E_clISt17integral_constantIbLb0EEST_IbLb1EEEEDaSP_SQ_EUlSP_E_NS1_11comp_targetILNS1_3genE4ELNS1_11target_archE910ELNS1_3gpuE8ELNS1_3repE0EEENS1_30default_config_static_selectorELNS0_4arch9wavefront6targetE1EEEvT1_
	.globl	_ZN7rocprim17ROCPRIM_400000_NS6detail17trampoline_kernelINS0_14default_configENS1_20scan_config_selectorIfEEZZNS1_9scan_implILNS1_25lookback_scan_determinismE0ELb1ELb1ES3_N6thrust23THRUST_200600_302600_NS6detail15normal_iteratorINS9_10device_ptrIfEEEESE_fNS9_4plusIvEEfEEDaPvRmT3_T4_T5_mT6_P12ihipStream_tbENKUlT_T0_E_clISt17integral_constantIbLb0EEST_IbLb1EEEEDaSP_SQ_EUlSP_E_NS1_11comp_targetILNS1_3genE4ELNS1_11target_archE910ELNS1_3gpuE8ELNS1_3repE0EEENS1_30default_config_static_selectorELNS0_4arch9wavefront6targetE1EEEvT1_
	.p2align	8
	.type	_ZN7rocprim17ROCPRIM_400000_NS6detail17trampoline_kernelINS0_14default_configENS1_20scan_config_selectorIfEEZZNS1_9scan_implILNS1_25lookback_scan_determinismE0ELb1ELb1ES3_N6thrust23THRUST_200600_302600_NS6detail15normal_iteratorINS9_10device_ptrIfEEEESE_fNS9_4plusIvEEfEEDaPvRmT3_T4_T5_mT6_P12ihipStream_tbENKUlT_T0_E_clISt17integral_constantIbLb0EEST_IbLb1EEEEDaSP_SQ_EUlSP_E_NS1_11comp_targetILNS1_3genE4ELNS1_11target_archE910ELNS1_3gpuE8ELNS1_3repE0EEENS1_30default_config_static_selectorELNS0_4arch9wavefront6targetE1EEEvT1_,@function
_ZN7rocprim17ROCPRIM_400000_NS6detail17trampoline_kernelINS0_14default_configENS1_20scan_config_selectorIfEEZZNS1_9scan_implILNS1_25lookback_scan_determinismE0ELb1ELb1ES3_N6thrust23THRUST_200600_302600_NS6detail15normal_iteratorINS9_10device_ptrIfEEEESE_fNS9_4plusIvEEfEEDaPvRmT3_T4_T5_mT6_P12ihipStream_tbENKUlT_T0_E_clISt17integral_constantIbLb0EEST_IbLb1EEEEDaSP_SQ_EUlSP_E_NS1_11comp_targetILNS1_3genE4ELNS1_11target_archE910ELNS1_3gpuE8ELNS1_3repE0EEENS1_30default_config_static_selectorELNS0_4arch9wavefront6targetE1EEEvT1_: ; @_ZN7rocprim17ROCPRIM_400000_NS6detail17trampoline_kernelINS0_14default_configENS1_20scan_config_selectorIfEEZZNS1_9scan_implILNS1_25lookback_scan_determinismE0ELb1ELb1ES3_N6thrust23THRUST_200600_302600_NS6detail15normal_iteratorINS9_10device_ptrIfEEEESE_fNS9_4plusIvEEfEEDaPvRmT3_T4_T5_mT6_P12ihipStream_tbENKUlT_T0_E_clISt17integral_constantIbLb0EEST_IbLb1EEEEDaSP_SQ_EUlSP_E_NS1_11comp_targetILNS1_3genE4ELNS1_11target_archE910ELNS1_3gpuE8ELNS1_3repE0EEENS1_30default_config_static_selectorELNS0_4arch9wavefront6targetE1EEEvT1_
; %bb.0:
	s_load_dword s37, s[4:5], 0x20
	s_load_dwordx2 s[14:15], s[4:5], 0x28
	v_cmp_ne_u32_e64 s[2:3], 0, v0
	v_cmp_eq_u32_e64 s[0:1], 0, v0
	s_and_saveexec_b64 s[6:7], s[0:1]
	s_cbranch_execz .LBB4414_4
; %bb.1:
	s_mov_b64 s[10:11], exec
	v_mbcnt_lo_u32_b32 v1, s10, 0
	v_mbcnt_hi_u32_b32 v1, s11, v1
	v_cmp_eq_u32_e32 vcc, 0, v1
                                        ; implicit-def: $vgpr2
	s_and_saveexec_b64 s[8:9], vcc
	s_cbranch_execz .LBB4414_3
; %bb.2:
	s_load_dwordx2 s[12:13], s[4:5], 0x58
	s_bcnt1_i32_b64 s10, s[10:11]
	v_mov_b32_e32 v2, 0
	v_mov_b32_e32 v3, s10
	s_waitcnt lgkmcnt(0)
	global_atomic_add v2, v2, v3, s[12:13] glc
.LBB4414_3:
	s_or_b64 exec, exec, s[8:9]
	s_waitcnt vmcnt(0)
	v_readfirstlane_b32 s8, v2
	v_add_u32_e32 v1, s8, v1
	v_mov_b32_e32 v2, 0
	ds_write_b32 v2, v1
.LBB4414_4:
	s_or_b64 exec, exec, s[6:7]
	s_load_dwordx8 s[24:31], s[4:5], 0x0
	s_load_dword s6, s[4:5], 0x30
	s_load_dwordx8 s[16:23], s[4:5], 0x38
	v_mov_b32_e32 v1, 0
	s_waitcnt lgkmcnt(0)
	s_barrier
	ds_read_b32 v1, v1
	s_lshl_b64 s[26:27], s[26:27], 2
	s_add_u32 s38, s24, s26
	s_addc_u32 s39, s25, s27
	s_add_i32 s6, s6, -1
	s_mul_i32 s7, s6, 0x700
	s_sub_u32 s33, s30, s7
	s_waitcnt lgkmcnt(0)
	v_readfirstlane_b32 s40, v1
	s_subb_u32 s36, s31, 0
	s_mul_i32 s4, s40, 0x700
	s_mov_b32 s5, 0
	s_cmp_lg_u32 s40, s6
	s_cselect_b64 s[24:25], -1, 0
	s_lshl_b64 s[30:31], s[4:5], 2
	s_add_u32 s6, s38, s30
	s_addc_u32 s7, s39, s31
	s_mov_b64 s[4:5], -1
	s_and_b64 vcc, exec, s[24:25]
	v_lshlrev_b32_e32 v32, 2, v0
	s_barrier
	s_cbranch_vccz .LBB4414_6
; %bb.5:
	v_mov_b32_e32 v1, s7
	v_add_co_u32_e32 v2, vcc, s6, v32
	v_addc_co_u32_e32 v3, vcc, 0, v1, vcc
	flat_load_dword v1, v[2:3]
	flat_load_dword v4, v[2:3] offset:512
	flat_load_dword v5, v[2:3] offset:1024
	;; [unrolled: 1-line block ×7, first 2 shown]
	v_add_co_u32_e32 v2, vcc, 0x1000, v2
	v_addc_co_u32_e32 v3, vcc, 0, v3, vcc
	flat_load_dword v11, v[2:3]
	flat_load_dword v12, v[2:3] offset:512
	flat_load_dword v13, v[2:3] offset:1024
	;; [unrolled: 1-line block ×5, first 2 shown]
	s_mov_b64 s[4:5], 0
	s_waitcnt vmcnt(0) lgkmcnt(0)
	ds_write2st64_b32 v32, v1, v4 offset1:2
	ds_write2st64_b32 v32, v5, v6 offset0:4 offset1:6
	ds_write2st64_b32 v32, v7, v8 offset0:8 offset1:10
	;; [unrolled: 1-line block ×6, first 2 shown]
	s_waitcnt lgkmcnt(0)
	s_barrier
.LBB4414_6:
	s_andn2_b64 vcc, exec, s[4:5]
	v_cmp_gt_u32_e64 s[4:5], s33, v0
	s_cbranch_vccnz .LBB4414_36
; %bb.7:
	v_pk_mov_b32 v[2:3], s[6:7], s[6:7] op_sel:[0,1]
	flat_load_dword v1, v[2:3]
	s_waitcnt vmcnt(0) lgkmcnt(0)
	v_mov_b32_e32 v2, v1
	v_mov_b32_e32 v3, v1
	;; [unrolled: 1-line block ×12, first 2 shown]
	v_pk_mov_b32 v[16:17], v[14:15], v[14:15] op_sel:[0,1]
	v_pk_mov_b32 v[14:15], v[12:13], v[12:13] op_sel:[0,1]
	v_pk_mov_b32 v[12:13], v[10:11], v[10:11] op_sel:[0,1]
	v_pk_mov_b32 v[10:11], v[8:9], v[8:9] op_sel:[0,1]
	v_pk_mov_b32 v[8:9], v[6:7], v[6:7] op_sel:[0,1]
	v_pk_mov_b32 v[6:7], v[4:5], v[4:5] op_sel:[0,1]
	v_pk_mov_b32 v[4:5], v[2:3], v[2:3] op_sel:[0,1]
	v_pk_mov_b32 v[2:3], v[0:1], v[0:1] op_sel:[0,1]
	s_and_saveexec_b64 s[8:9], s[4:5]
	s_cbranch_execz .LBB4414_9
; %bb.8:
	v_mov_b32_e32 v3, s7
	v_add_co_u32_e32 v2, vcc, s6, v32
	v_addc_co_u32_e32 v3, vcc, 0, v3, vcc
	flat_load_dword v18, v[2:3]
	v_mov_b32_e32 v2, v1
	v_mov_b32_e32 v3, v1
	;; [unrolled: 1-line block ×12, first 2 shown]
	v_pk_mov_b32 v[16:17], v[14:15], v[14:15] op_sel:[0,1]
	v_pk_mov_b32 v[14:15], v[12:13], v[12:13] op_sel:[0,1]
	v_pk_mov_b32 v[12:13], v[10:11], v[10:11] op_sel:[0,1]
	v_pk_mov_b32 v[10:11], v[8:9], v[8:9] op_sel:[0,1]
	v_pk_mov_b32 v[8:9], v[6:7], v[6:7] op_sel:[0,1]
	v_pk_mov_b32 v[6:7], v[4:5], v[4:5] op_sel:[0,1]
	v_pk_mov_b32 v[4:5], v[2:3], v[2:3] op_sel:[0,1]
	v_pk_mov_b32 v[2:3], v[0:1], v[0:1] op_sel:[0,1]
	s_waitcnt vmcnt(0) lgkmcnt(0)
	v_mov_b32_e32 v1, v18
.LBB4414_9:
	s_or_b64 exec, exec, s[8:9]
	v_or_b32_e32 v2, 0x80, v0
	v_cmp_gt_u32_e32 vcc, s33, v2
	s_and_saveexec_b64 s[4:5], vcc
	s_cbranch_execz .LBB4414_11
; %bb.10:
	v_mov_b32_e32 v3, s7
	v_add_co_u32_e32 v2, vcc, s6, v32
	v_addc_co_u32_e32 v3, vcc, 0, v3, vcc
	flat_load_dword v3, v[2:3] offset:512
.LBB4414_11:
	s_or_b64 exec, exec, s[4:5]
	v_or_b32_e32 v2, 0x100, v0
	v_cmp_gt_u32_e32 vcc, s33, v2
	s_and_saveexec_b64 s[4:5], vcc
	s_cbranch_execz .LBB4414_13
; %bb.12:
	v_mov_b32_e32 v2, s7
	v_add_co_u32_e32 v16, vcc, s6, v32
	v_addc_co_u32_e32 v17, vcc, 0, v2, vcc
	flat_load_dword v4, v[16:17] offset:1024
.LBB4414_13:
	;; [unrolled: 11-line block ×7, first 2 shown]
	s_or_b64 exec, exec, s[4:5]
	v_or_b32_e32 v2, 0x400, v0
	v_cmp_gt_u32_e32 vcc, s33, v2
	s_and_saveexec_b64 s[4:5], vcc
	s_cbranch_execz .LBB4414_25
; %bb.24:
	v_lshlrev_b32_e32 v2, 2, v2
	v_mov_b32_e32 v10, s7
	v_add_co_u32_e32 v16, vcc, s6, v2
	v_addc_co_u32_e32 v17, vcc, 0, v10, vcc
	flat_load_dword v10, v[16:17]
.LBB4414_25:
	s_or_b64 exec, exec, s[4:5]
	v_or_b32_e32 v2, 0x480, v0
	v_cmp_gt_u32_e32 vcc, s33, v2
	s_and_saveexec_b64 s[4:5], vcc
	s_cbranch_execz .LBB4414_27
; %bb.26:
	v_lshlrev_b32_e32 v2, 2, v2
	v_mov_b32_e32 v11, s7
	v_add_co_u32_e32 v16, vcc, s6, v2
	v_addc_co_u32_e32 v17, vcc, 0, v11, vcc
	flat_load_dword v11, v[16:17]
.LBB4414_27:
	;; [unrolled: 12-line block ×6, first 2 shown]
	s_or_b64 exec, exec, s[4:5]
	s_waitcnt vmcnt(0) lgkmcnt(0)
	ds_write2st64_b32 v32, v1, v3 offset1:2
	ds_write2st64_b32 v32, v4, v5 offset0:4 offset1:6
	ds_write2st64_b32 v32, v6, v7 offset0:8 offset1:10
	ds_write2st64_b32 v32, v8, v9 offset0:12 offset1:14
	ds_write2st64_b32 v32, v10, v11 offset0:16 offset1:18
	ds_write2st64_b32 v32, v12, v13 offset0:20 offset1:22
	ds_write2st64_b32 v32, v14, v15 offset0:24 offset1:26
	s_waitcnt lgkmcnt(0)
	s_barrier
.LBB4414_36:
	v_mul_u32_u24_e32 v33, 14, v0
	v_lshlrev_b32_e32 v34, 2, v33
	ds_read2_b64 v[26:29], v34 offset1:1
	ds_read2_b64 v[22:25], v34 offset0:2 offset1:3
	ds_read2_b64 v[18:21], v34 offset0:4 offset1:5
	ds_read_b64 v[30:31], v34 offset:48
	s_cmp_lg_u32 s40, 0
	s_waitcnt lgkmcnt(3)
	v_add_f32_e32 v35, v26, v27
	v_lshrrev_b32_e32 v1, 5, v0
	v_cmp_gt_u32_e32 vcc, 64, v0
	s_waitcnt lgkmcnt(0)
	s_barrier
	s_cbranch_scc0 .LBB4414_61
; %bb.37:
	v_add_f32_e32 v2, v28, v35
	v_add_f32_e32 v2, v29, v2
	;; [unrolled: 1-line block ×12, first 2 shown]
	v_add_lshl_u32 v2, v1, v0, 2
	ds_write_b32 v2, v12
	s_waitcnt lgkmcnt(0)
	s_barrier
	s_and_saveexec_b64 s[10:11], vcc
	s_cbranch_execz .LBB4414_39
; %bb.38:
	v_lshlrev_b32_e32 v2, 1, v0
	v_lshrrev_b32_e32 v3, 4, v0
	v_add_lshl_u32 v4, v3, v2, 2
	ds_read2_b32 v[2:3], v4 offset1:1
	v_mbcnt_lo_u32_b32 v5, -1, 0
	v_mbcnt_hi_u32_b32 v5, -1, v5
	v_and_b32_e32 v6, 15, v5
	v_cmp_eq_u32_e64 s[4:5], 0, v6
	s_waitcnt lgkmcnt(0)
	v_add_f32_e32 v3, v2, v3
	v_cmp_lt_u32_e64 s[6:7], 3, v6
	v_cmp_lt_u32_e64 s[8:9], 31, v5
	v_mov_b32_dpp v7, v3 row_shr:1 row_mask:0xf bank_mask:0xf
	v_add_f32_e32 v7, v3, v7
	v_cndmask_b32_e64 v3, v7, v3, s[4:5]
	v_cmp_lt_u32_e64 s[4:5], 1, v6
	s_nop 0
	v_mov_b32_dpp v7, v3 row_shr:2 row_mask:0xf bank_mask:0xf
	v_add_f32_e32 v7, v3, v7
	v_cndmask_b32_e64 v7, v3, v7, s[4:5]
	; wave barrier
	s_nop 1
	v_mov_b32_dpp v8, v7 row_shr:4 row_mask:0xf bank_mask:0xf
	v_add_f32_e32 v8, v7, v8
	v_cndmask_b32_e64 v7, v7, v8, s[6:7]
	v_cmp_lt_u32_e64 s[6:7], 7, v6
	s_nop 0
	v_mov_b32_dpp v8, v7 row_shr:8 row_mask:0xf bank_mask:0xf
	v_add_f32_e32 v8, v7, v8
	v_cndmask_b32_e64 v6, v7, v8, s[6:7]
	v_and_b32_e32 v8, 16, v5
	v_cmp_eq_u32_e64 s[6:7], 0, v8
	v_mov_b32_dpp v7, v6 row_bcast:15 row_mask:0xf bank_mask:0xf
	v_add_f32_e32 v7, v6, v7
	v_cndmask_b32_e64 v6, v7, v6, s[6:7]
	v_cmp_lt_u32_e64 s[6:7], 15, v5
	s_or_b64 s[4:5], s[6:7], s[4:5]
	v_mov_b32_dpp v7, v6 row_bcast:31 row_mask:0xf bank_mask:0xf
	v_add_f32_e32 v7, v6, v7
	v_cndmask_b32_e64 v6, v6, v7, s[8:9]
	v_cndmask_b32_e64 v3, v3, v6, s[4:5]
	v_add_u32_e32 v6, -1, v5
	v_and_b32_e32 v7, 64, v5
	v_cmp_lt_i32_e64 s[4:5], v6, v7
	v_cndmask_b32_e64 v5, v6, v5, s[4:5]
	v_lshlrev_b32_e32 v5, 2, v5
	ds_bpermute_b32 v3, v5, v3
	s_waitcnt lgkmcnt(0)
	v_add_f32_e32 v2, v2, v3
	v_cndmask_b32_e64 v2, v2, v12, s[0:1]
	ds_write_b32 v4, v2
	; wave barrier
	ds_read_b32 v3, v4 offset:4
	s_waitcnt lgkmcnt(0)
	v_add_f32_e32 v2, v2, v3
	ds_write_b32 v4, v2 offset:4
.LBB4414_39:
	s_or_b64 exec, exec, s[10:11]
	s_waitcnt lgkmcnt(0)
	s_barrier
	s_and_saveexec_b64 s[4:5], s[2:3]
	s_cbranch_execz .LBB4414_41
; %bb.40:
	v_add_u32_e32 v2, -1, v0
	v_lshrrev_b32_e32 v3, 5, v2
	v_add_lshl_u32 v2, v3, v2, 2
	ds_read_b32 v12, v2
.LBB4414_41:
	s_or_b64 exec, exec, s[4:5]
	s_and_saveexec_b64 s[34:35], vcc
	s_cbranch_execz .LBB4414_60
; %bb.42:
	v_mov_b32_e32 v9, 0
	ds_read_b32 v2, v9 offset:520
	v_mbcnt_lo_u32_b32 v3, -1, 0
	v_mbcnt_hi_u32_b32 v5, -1, v3
	s_mov_b32 s9, 0
	v_cmp_eq_u32_e64 s[4:5], 0, v5
	s_and_saveexec_b64 s[6:7], s[4:5]
	s_cbranch_execz .LBB4414_44
; %bb.43:
	s_add_i32 s8, s40, 64
	s_lshl_b64 s[8:9], s[8:9], 3
	s_add_u32 s8, s14, s8
	v_mov_b32_e32 v3, 1
	s_addc_u32 s9, s15, s9
	s_waitcnt lgkmcnt(0)
	global_store_dwordx2 v9, v[2:3], s[8:9]
.LBB4414_44:
	s_or_b64 exec, exec, s[6:7]
	v_xad_u32 v4, v5, -1, s40
	v_add_u32_e32 v8, 64, v4
	v_lshlrev_b64 v[6:7], 3, v[8:9]
	v_mov_b32_e32 v3, s15
	v_add_co_u32_e32 v10, vcc, s14, v6
	v_addc_co_u32_e32 v11, vcc, v3, v7, vcc
	global_load_dwordx2 v[6:7], v[10:11], off glc
	s_waitcnt vmcnt(0)
	v_cmp_eq_u16_sdwa s[8:9], v7, v9 src0_sel:BYTE_0 src1_sel:DWORD
	s_and_saveexec_b64 s[6:7], s[8:9]
	s_cbranch_execz .LBB4414_48
; %bb.45:
	s_mov_b64 s[8:9], 0
	v_mov_b32_e32 v3, 0
.LBB4414_46:                            ; =>This Inner Loop Header: Depth=1
	global_load_dwordx2 v[6:7], v[10:11], off glc
	s_waitcnt vmcnt(0)
	v_cmp_ne_u16_sdwa s[10:11], v7, v3 src0_sel:BYTE_0 src1_sel:DWORD
	s_or_b64 s[8:9], s[10:11], s[8:9]
	s_andn2_b64 exec, exec, s[8:9]
	s_cbranch_execnz .LBB4414_46
; %bb.47:
	s_or_b64 exec, exec, s[8:9]
.LBB4414_48:
	s_or_b64 exec, exec, s[6:7]
	v_and_b32_e32 v13, 63, v5
	v_cmp_ne_u32_e32 vcc, 63, v13
	v_addc_co_u32_e32 v14, vcc, 0, v5, vcc
	v_mov_b32_e32 v3, 2
	v_lshlrev_b32_e32 v14, 2, v14
	v_cmp_eq_u16_sdwa s[6:7], v7, v3 src0_sel:BYTE_0 src1_sel:DWORD
	v_lshlrev_b64 v[8:9], v5, -1
	ds_bpermute_b32 v15, v14, v6
	v_and_b32_e32 v10, s7, v9
	v_or_b32_e32 v10, 0x80000000, v10
	v_and_b32_e32 v11, s6, v8
	v_ffbl_b32_e32 v10, v10
	v_add_u32_e32 v10, 32, v10
	v_ffbl_b32_e32 v11, v11
	v_cmp_gt_u32_e64 s[6:7], 62, v13
	v_min_u32_e32 v10, v11, v10
	s_waitcnt lgkmcnt(0)
	v_add_f32_e32 v11, v6, v15
	v_cndmask_b32_e64 v15, 0, 1, s[6:7]
	v_cmp_lt_u32_e32 vcc, v13, v10
	v_lshlrev_b32_e32 v15, 1, v15
	v_cndmask_b32_e32 v11, v6, v11, vcc
	v_add_lshl_u32 v15, v15, v5, 2
	ds_bpermute_b32 v17, v15, v11
	v_add_u32_e32 v16, 2, v13
	v_cmp_gt_u32_e64 s[6:7], v16, v10
	v_cmp_gt_u32_e64 s[8:9], 56, v13
	v_add_u32_e32 v36, 4, v13
	s_waitcnt lgkmcnt(0)
	v_add_f32_e32 v17, v11, v17
	v_cndmask_b32_e64 v11, v17, v11, s[6:7]
	v_cmp_gt_u32_e64 s[6:7], 60, v13
	v_cndmask_b32_e64 v17, 0, 1, s[6:7]
	v_lshlrev_b32_e32 v17, 2, v17
	v_add_lshl_u32 v17, v17, v5, 2
	ds_bpermute_b32 v37, v17, v11
	v_cmp_gt_u32_e64 s[6:7], v36, v10
	v_add_u32_e32 v38, 8, v13
	v_cmp_gt_u32_e64 s[10:11], 48, v13
	v_cmp_gt_u32_e64 s[12:13], 32, v13
	s_waitcnt lgkmcnt(0)
	v_add_f32_e32 v41, v11, v37
	v_cndmask_b32_e64 v37, 0, 1, s[8:9]
	v_lshlrev_b32_e32 v37, 3, v37
	v_cndmask_b32_e64 v39, v41, v11, s[6:7]
	v_add_lshl_u32 v37, v37, v5, 2
	ds_bpermute_b32 v40, v37, v39
	v_cmp_gt_u32_e64 s[8:9], v38, v10
	v_cndmask_b32_e32 v6, v6, v11, vcc
	v_cndmask_b32_e64 v6, v41, v6, s[6:7]
	s_waitcnt lgkmcnt(0)
	v_add_f32_e32 v44, v39, v40
	v_cndmask_b32_e64 v42, v44, v39, s[8:9]
	v_cndmask_b32_e64 v39, 0, 1, s[10:11]
	v_lshlrev_b32_e32 v39, 4, v39
	v_add_lshl_u32 v39, v39, v5, 2
	ds_bpermute_b32 v43, v39, v42
	v_add_u32_e32 v40, 16, v13
	v_cmp_gt_u32_e64 s[10:11], v40, v10
	v_cndmask_b32_e64 v6, v44, v6, s[8:9]
	s_waitcnt lgkmcnt(0)
	v_add_f32_e32 v45, v42, v43
	v_cndmask_b32_e64 v46, v45, v42, s[10:11]
	v_cndmask_b32_e64 v42, 0, 1, s[12:13]
	v_lshlrev_b32_e32 v42, 5, v42
	v_add_lshl_u32 v42, v42, v5, 2
	ds_bpermute_b32 v5, v42, v46
	v_add_u32_e32 v43, 32, v13
	v_cndmask_b32_e64 v6, v45, v6, s[10:11]
	v_cmp_gt_u32_e32 vcc, v43, v10
	s_waitcnt lgkmcnt(0)
	v_add_f32_e32 v5, v46, v5
	v_cndmask_b32_e32 v6, v5, v6, vcc
	v_mov_b32_e32 v5, 0
	s_branch .LBB4414_50
.LBB4414_49:                            ;   in Loop: Header=BB4414_50 Depth=1
	s_or_b64 exec, exec, s[6:7]
	v_cmp_eq_u16_sdwa s[6:7], v7, v3 src0_sel:BYTE_0 src1_sel:DWORD
	v_and_b32_e32 v10, s7, v9
	ds_bpermute_b32 v44, v14, v6
	v_or_b32_e32 v10, 0x80000000, v10
	v_and_b32_e32 v11, s6, v8
	v_ffbl_b32_e32 v10, v10
	v_add_u32_e32 v10, 32, v10
	v_ffbl_b32_e32 v11, v11
	v_min_u32_e32 v10, v11, v10
	s_waitcnt lgkmcnt(0)
	v_add_f32_e32 v11, v6, v44
	v_cmp_lt_u32_e32 vcc, v13, v10
	v_cndmask_b32_e32 v11, v6, v11, vcc
	ds_bpermute_b32 v44, v15, v11
	v_cmp_gt_u32_e64 s[6:7], v16, v10
	v_cmp_gt_u32_e64 s[8:9], v38, v10
	;; [unrolled: 1-line block ×3, first 2 shown]
	v_subrev_u32_e32 v4, 64, v4
	s_waitcnt lgkmcnt(0)
	v_add_f32_e32 v44, v11, v44
	v_cndmask_b32_e64 v11, v44, v11, s[6:7]
	ds_bpermute_b32 v44, v17, v11
	v_cmp_gt_u32_e64 s[6:7], v36, v10
	v_cndmask_b32_e32 v6, v6, v11, vcc
	v_cmp_gt_u32_e32 vcc, v43, v10
	s_waitcnt lgkmcnt(0)
	v_add_f32_e32 v44, v11, v44
	v_cndmask_b32_e64 v45, v44, v11, s[6:7]
	ds_bpermute_b32 v46, v37, v45
	v_cndmask_b32_e64 v6, v44, v6, s[6:7]
	s_waitcnt lgkmcnt(0)
	v_add_f32_e32 v46, v45, v46
	v_cndmask_b32_e64 v45, v46, v45, s[8:9]
	ds_bpermute_b32 v47, v39, v45
	v_cndmask_b32_e64 v6, v46, v6, s[8:9]
	;; [unrolled: 5-line block ×3, first 2 shown]
	s_waitcnt lgkmcnt(0)
	v_add_f32_e32 v11, v45, v48
	v_cndmask_b32_e32 v6, v11, v6, vcc
	v_add_f32_e32 v6, v41, v6
.LBB4414_50:                            ; =>This Loop Header: Depth=1
                                        ;     Child Loop BB4414_53 Depth 2
	v_cmp_ne_u16_sdwa s[6:7], v7, v3 src0_sel:BYTE_0 src1_sel:DWORD
	v_cndmask_b32_e64 v7, 0, 1, s[6:7]
	;;#ASMSTART
	;;#ASMEND
	v_cmp_ne_u32_e32 vcc, 0, v7
	s_cmp_lg_u64 vcc, exec
	v_mov_b32_e32 v41, v6
	s_cbranch_scc1 .LBB4414_55
; %bb.51:                               ;   in Loop: Header=BB4414_50 Depth=1
	v_lshlrev_b64 v[6:7], 3, v[4:5]
	v_mov_b32_e32 v11, s15
	v_add_co_u32_e32 v10, vcc, s14, v6
	v_addc_co_u32_e32 v11, vcc, v11, v7, vcc
	global_load_dwordx2 v[6:7], v[10:11], off glc
	s_waitcnt vmcnt(0)
	v_cmp_eq_u16_sdwa s[8:9], v7, v5 src0_sel:BYTE_0 src1_sel:DWORD
	s_and_saveexec_b64 s[6:7], s[8:9]
	s_cbranch_execz .LBB4414_49
; %bb.52:                               ;   in Loop: Header=BB4414_50 Depth=1
	s_mov_b64 s[8:9], 0
.LBB4414_53:                            ;   Parent Loop BB4414_50 Depth=1
                                        ; =>  This Inner Loop Header: Depth=2
	global_load_dwordx2 v[6:7], v[10:11], off glc
	s_waitcnt vmcnt(0)
	v_cmp_ne_u16_sdwa s[10:11], v7, v5 src0_sel:BYTE_0 src1_sel:DWORD
	s_or_b64 s[8:9], s[10:11], s[8:9]
	s_andn2_b64 exec, exec, s[8:9]
	s_cbranch_execnz .LBB4414_53
; %bb.54:                               ;   in Loop: Header=BB4414_50 Depth=1
	s_or_b64 exec, exec, s[8:9]
	s_branch .LBB4414_49
.LBB4414_55:                            ;   in Loop: Header=BB4414_50 Depth=1
                                        ; implicit-def: $vgpr6
                                        ; implicit-def: $vgpr7
	s_cbranch_execz .LBB4414_50
; %bb.56:
	s_and_saveexec_b64 s[6:7], s[4:5]
	s_cbranch_execz .LBB4414_58
; %bb.57:
	s_add_i32 s4, s40, 64
	s_mov_b32 s5, 0
	s_lshl_b64 s[4:5], s[4:5], 3
	s_add_u32 s4, s14, s4
	v_add_f32_e32 v2, v2, v41
	v_mov_b32_e32 v3, 2
	s_addc_u32 s5, s15, s5
	v_mov_b32_e32 v4, 0
	global_store_dwordx2 v4, v[2:3], s[4:5]
.LBB4414_58:
	s_or_b64 exec, exec, s[6:7]
	s_and_b64 exec, exec, s[0:1]
	s_cbranch_execz .LBB4414_60
; %bb.59:
	v_mov_b32_e32 v2, 0
	ds_write_b32 v2, v41
.LBB4414_60:
	s_or_b64 exec, exec, s[34:35]
	v_mov_b32_e32 v2, 0
	s_waitcnt lgkmcnt(0)
	s_barrier
	ds_read_b32 v2, v2
	s_waitcnt lgkmcnt(0)
	v_add_f32_e32 v3, v12, v2
	v_cndmask_b32_e64 v2, v3, v2, s[0:1]
	v_add_f32_e32 v3, v26, v2
	v_add_f32_e32 v4, v27, v3
	;; [unrolled: 1-line block ×13, first 2 shown]
	s_branch .LBB4414_71
.LBB4414_61:
                                        ; implicit-def: $vgpr2_vgpr3_vgpr4_vgpr5_vgpr6_vgpr7_vgpr8_vgpr9_vgpr10_vgpr11_vgpr12_vgpr13_vgpr14_vgpr15_vgpr16_vgpr17
	s_cbranch_execz .LBB4414_71
; %bb.62:
	s_cmp_eq_u64 s[20:21], 0
	v_mov_b32_e32 v16, s37
	s_cbranch_scc1 .LBB4414_64
; %bb.63:
	v_mov_b32_e32 v3, s39
	v_add_co_u32_e64 v2, vcc, -4, s38
	v_addc_co_u32_e32 v3, vcc, -1, v3, vcc
	v_mov_b32_e32 v4, 0
	flat_load_dword v5, v[2:3]
	global_load_dword v6, v4, s[16:17]
	s_waitcnt vmcnt(0) lgkmcnt(0)
	v_add_f32_e32 v16, v5, v6
.LBB4414_64:
	v_add_f32_e32 v2, v28, v35
	v_add_f32_e32 v2, v29, v2
	;; [unrolled: 1-line block ×12, first 2 shown]
	v_add_lshl_u32 v1, v1, v0, 2
	v_cmp_gt_u32_e32 vcc, 64, v0
	ds_write_b32 v1, v2
	s_waitcnt lgkmcnt(0)
	s_barrier
	s_and_saveexec_b64 s[8:9], vcc
	s_cbranch_execz .LBB4414_66
; %bb.65:
	v_lshlrev_b32_e32 v1, 1, v0
	v_lshrrev_b32_e32 v3, 4, v0
	v_add_lshl_u32 v1, v3, v1, 2
	ds_read2_b32 v[4:5], v1 offset1:1
	v_mbcnt_lo_u32_b32 v3, -1, 0
	v_mbcnt_hi_u32_b32 v3, -1, v3
	v_and_b32_e32 v6, 15, v3
	v_cmp_eq_u32_e32 vcc, 0, v6
	s_waitcnt lgkmcnt(0)
	v_add_f32_e32 v5, v4, v5
	v_cmp_lt_u32_e64 s[4:5], 3, v6
	v_cmp_lt_u32_e64 s[6:7], 31, v3
	v_mov_b32_dpp v7, v5 row_shr:1 row_mask:0xf bank_mask:0xf
	v_add_f32_e32 v7, v5, v7
	v_cndmask_b32_e32 v5, v7, v5, vcc
	v_cmp_lt_u32_e32 vcc, 1, v6
	s_nop 0
	v_mov_b32_dpp v7, v5 row_shr:2 row_mask:0xf bank_mask:0xf
	v_add_f32_e32 v7, v5, v7
	v_cndmask_b32_e32 v7, v5, v7, vcc
	; wave barrier
	s_nop 1
	v_mov_b32_dpp v8, v7 row_shr:4 row_mask:0xf bank_mask:0xf
	v_add_f32_e32 v8, v7, v8
	v_cndmask_b32_e64 v7, v7, v8, s[4:5]
	v_cmp_lt_u32_e64 s[4:5], 7, v6
	s_nop 0
	v_mov_b32_dpp v8, v7 row_shr:8 row_mask:0xf bank_mask:0xf
	v_add_f32_e32 v8, v7, v8
	v_cndmask_b32_e64 v6, v7, v8, s[4:5]
	v_and_b32_e32 v8, 16, v3
	v_cmp_eq_u32_e64 s[4:5], 0, v8
	v_mov_b32_dpp v7, v6 row_bcast:15 row_mask:0xf bank_mask:0xf
	v_add_f32_e32 v7, v6, v7
	v_cndmask_b32_e64 v6, v7, v6, s[4:5]
	v_cmp_lt_u32_e64 s[4:5], 15, v3
	s_or_b64 vcc, s[4:5], vcc
	v_mov_b32_dpp v7, v6 row_bcast:31 row_mask:0xf bank_mask:0xf
	v_add_f32_e32 v7, v6, v7
	v_cndmask_b32_e64 v6, v6, v7, s[6:7]
	v_cndmask_b32_e32 v5, v5, v6, vcc
	v_add_u32_e32 v6, -1, v3
	v_and_b32_e32 v7, 64, v3
	v_cmp_lt_i32_e32 vcc, v6, v7
	v_cndmask_b32_e32 v3, v6, v3, vcc
	v_lshlrev_b32_e32 v3, 2, v3
	ds_bpermute_b32 v3, v3, v5
	s_waitcnt lgkmcnt(0)
	v_add_f32_e32 v3, v4, v3
	v_cndmask_b32_e64 v2, v3, v2, s[0:1]
	ds_write_b32 v1, v2
	; wave barrier
	ds_read_b32 v3, v1 offset:4
	s_waitcnt lgkmcnt(0)
	v_add_f32_e32 v2, v2, v3
	ds_write_b32 v1, v2 offset:4
.LBB4414_66:
	s_or_b64 exec, exec, s[8:9]
	v_mov_b32_e32 v2, v16
	s_waitcnt lgkmcnt(0)
	s_barrier
	s_and_saveexec_b64 s[4:5], s[2:3]
	s_cbranch_execz .LBB4414_68
; %bb.67:
	v_add_u32_e32 v1, -1, v0
	v_lshrrev_b32_e32 v2, 5, v1
	v_add_lshl_u32 v1, v2, v1, 2
	ds_read_b32 v1, v1
	s_waitcnt lgkmcnt(0)
	v_add_f32_e32 v2, v16, v1
.LBB4414_68:
	s_or_b64 exec, exec, s[4:5]
	v_add_f32_e32 v3, v26, v2
	v_add_f32_e32 v4, v27, v3
	;; [unrolled: 1-line block ×13, first 2 shown]
	s_and_saveexec_b64 s[2:3], s[0:1]
	s_cbranch_execz .LBB4414_70
; %bb.69:
	v_mov_b32_e32 v1, 0
	ds_read_b32 v17, v1 offset:520
	s_waitcnt lgkmcnt(0)
	v_add_f32_e32 v16, v16, v17
	v_mov_b32_e32 v17, 2
	global_store_dwordx2 v1, v[16:17], s[14:15] offset:512
.LBB4414_70:
	s_or_b64 exec, exec, s[2:3]
.LBB4414_71:
	s_add_u32 s0, s28, s26
	s_addc_u32 s1, s29, s27
	s_add_u32 s2, s0, s30
	s_addc_u32 s3, s1, s31
	s_mov_b64 s[0:1], -1
	s_and_b64 vcc, exec, s[24:25]
	s_barrier
	s_cbranch_vccz .LBB4414_73
; %bb.72:
	ds_write2_b64 v34, v[2:3], v[4:5] offset1:1
	ds_write2_b64 v34, v[6:7], v[8:9] offset0:2 offset1:3
	ds_write2_b64 v34, v[10:11], v[12:13] offset0:4 offset1:5
	ds_write_b64 v34, v[14:15] offset:48
	s_waitcnt lgkmcnt(0)
	s_barrier
	ds_read2st64_b32 v[16:17], v32 offset1:2
	ds_read2st64_b32 v[18:19], v32 offset0:4 offset1:6
	ds_read2st64_b32 v[20:21], v32 offset0:8 offset1:10
	;; [unrolled: 1-line block ×6, first 2 shown]
	v_mov_b32_e32 v1, s3
	v_add_co_u32_e32 v30, vcc, s2, v32
	v_addc_co_u32_e32 v31, vcc, 0, v1, vcc
	s_waitcnt lgkmcnt(6)
	flat_store_dword v[30:31], v16
	flat_store_dword v[30:31], v17 offset:512
	s_waitcnt lgkmcnt(0)
	flat_store_dword v[30:31], v18 offset:1024
	flat_store_dword v[30:31], v19 offset:1536
	flat_store_dword v[30:31], v20 offset:2048
	flat_store_dword v[30:31], v21 offset:2560
	flat_store_dword v[30:31], v22 offset:3072
	flat_store_dword v[30:31], v23 offset:3584
	v_add_co_u32_e32 v16, vcc, 0x1000, v30
	v_addc_co_u32_e32 v17, vcc, 0, v31, vcc
	flat_store_dword v[16:17], v24
	flat_store_dword v[16:17], v25 offset:512
	flat_store_dword v[16:17], v26 offset:1024
	;; [unrolled: 1-line block ×5, first 2 shown]
	s_mov_b64 s[0:1], 0
.LBB4414_73:
	s_andn2_b64 vcc, exec, s[0:1]
	s_cbranch_vccnz .LBB4414_153
; %bb.74:
	s_movk_i32 s0, 0xffcc
	ds_write2_b64 v34, v[2:3], v[4:5] offset1:1
	ds_write2_b64 v34, v[6:7], v[8:9] offset0:2 offset1:3
	ds_write2_b64 v34, v[10:11], v[12:13] offset0:4 offset1:5
	ds_write_b64 v34, v[14:15] offset:48
	v_mad_i32_i24 v14, v0, s0, v34
	s_waitcnt lgkmcnt(0)
	s_barrier
	ds_read2st64_b32 v[4:5], v14 offset1:2
	ds_read2st64_b32 v[6:7], v14 offset0:4 offset1:6
	ds_read2st64_b32 v[8:9], v14 offset0:8 offset1:10
	;; [unrolled: 1-line block ×6, first 2 shown]
	v_mov_b32_e32 v17, s3
	v_add_co_u32_e32 v16, vcc, s2, v32
	v_addc_co_u32_e32 v17, vcc, 0, v17, vcc
	v_mov_b32_e32 v1, 0
	v_cmp_gt_u32_e32 vcc, s33, v0
	s_and_saveexec_b64 s[0:1], vcc
	s_cbranch_execz .LBB4414_76
; %bb.75:
	s_waitcnt lgkmcnt(0)
	flat_store_dword v[16:17], v4
.LBB4414_76:
	s_or_b64 exec, exec, s[0:1]
	v_or_b32_e32 v18, 0x80, v0
	v_cmp_gt_u32_e32 vcc, s33, v18
	s_and_saveexec_b64 s[0:1], vcc
	s_cbranch_execz .LBB4414_78
; %bb.77:
	s_waitcnt lgkmcnt(0)
	flat_store_dword v[16:17], v5 offset:512
.LBB4414_78:
	s_or_b64 exec, exec, s[0:1]
	v_or_b32_e32 v18, 0x100, v0
	v_cmp_gt_u32_e32 vcc, s33, v18
	s_and_saveexec_b64 s[0:1], vcc
	s_cbranch_execz .LBB4414_80
; %bb.79:
	s_waitcnt lgkmcnt(0)
	flat_store_dword v[16:17], v6 offset:1024
.LBB4414_80:
	;; [unrolled: 9-line block ×7, first 2 shown]
	s_or_b64 exec, exec, s[0:1]
	v_or_b32_e32 v18, 0x400, v0
	v_cmp_gt_u32_e32 vcc, s33, v18
	s_and_saveexec_b64 s[0:1], vcc
	s_cbranch_execz .LBB4414_92
; %bb.91:
	v_add_co_u32_e32 v18, vcc, 0x1000, v16
	v_addc_co_u32_e32 v19, vcc, 0, v17, vcc
	s_waitcnt lgkmcnt(0)
	flat_store_dword v[18:19], v12
.LBB4414_92:
	s_or_b64 exec, exec, s[0:1]
	v_or_b32_e32 v18, 0x480, v0
	v_cmp_gt_u32_e32 vcc, s33, v18
	s_and_saveexec_b64 s[0:1], vcc
	s_cbranch_execz .LBB4414_94
; %bb.93:
	v_add_co_u32_e32 v18, vcc, 0x1000, v16
	v_addc_co_u32_e32 v19, vcc, 0, v17, vcc
	s_waitcnt lgkmcnt(0)
	flat_store_dword v[18:19], v13 offset:512
.LBB4414_94:
	s_or_b64 exec, exec, s[0:1]
	v_or_b32_e32 v18, 0x500, v0
	v_cmp_gt_u32_e32 vcc, s33, v18
	s_and_saveexec_b64 s[0:1], vcc
	s_cbranch_execz .LBB4414_96
; %bb.95:
	v_add_co_u32_e32 v18, vcc, 0x1000, v16
	v_addc_co_u32_e32 v19, vcc, 0, v17, vcc
	s_waitcnt lgkmcnt(0)
	flat_store_dword v[18:19], v10 offset:1024
.LBB4414_96:
	;; [unrolled: 11-line block ×5, first 2 shown]
	s_or_b64 exec, exec, s[0:1]
	v_cmp_lt_u64_e64 s[0:1], s[22:23], 2
	s_and_b64 vcc, exec, s[0:1]
	s_cbranch_vccnz .LBB4414_153
; %bb.103:
	s_add_u32 s0, s33, -1
	s_addc_u32 s1, s36, -1
	s_add_u32 s2, 0, 0x49240800
	s_addc_u32 s3, 0, 50
	s_add_i32 s3, s3, 0x12492460
	s_mul_hi_u32 s7, s2, -14
	s_sub_i32 s7, s7, s2
	s_mul_i32 s8, s3, -14
	s_mul_i32 s4, s2, -14
	s_add_i32 s7, s7, s8
	s_mul_hi_u32 s5, s3, s4
	s_mul_i32 s6, s3, s4
	s_mul_i32 s9, s2, s7
	s_mul_hi_u32 s4, s2, s4
	s_mul_hi_u32 s8, s2, s7
	s_add_u32 s4, s4, s9
	s_addc_u32 s8, 0, s8
	s_add_u32 s4, s4, s6
	s_mul_hi_u32 s9, s3, s7
	s_addc_u32 s4, s8, s5
	s_addc_u32 s5, s9, 0
	s_mul_i32 s6, s3, s7
	s_add_u32 s4, s4, s6
	v_mov_b32_e32 v16, s4
	s_addc_u32 s5, 0, s5
	v_add_co_u32_e32 v16, vcc, s2, v16
	s_cmp_lg_u64 vcc, 0
	s_addc_u32 s2, s3, s5
	v_readfirstlane_b32 s5, v16
	s_mul_i32 s4, s0, s2
	s_mul_hi_u32 s6, s0, s5
	s_mul_hi_u32 s3, s0, s2
	s_add_u32 s4, s6, s4
	s_addc_u32 s3, 0, s3
	s_mul_hi_u32 s7, s1, s5
	s_mul_i32 s5, s1, s5
	s_add_u32 s4, s4, s5
	s_mul_hi_u32 s6, s1, s2
	s_addc_u32 s3, s3, s7
	s_addc_u32 s4, s6, 0
	s_mul_i32 s2, s1, s2
	s_add_u32 s2, s3, s2
	s_addc_u32 s3, 0, s4
	s_add_u32 s4, s2, 1
	s_addc_u32 s5, s3, 0
	s_add_u32 s6, s2, 2
	s_mul_i32 s8, s3, 14
	s_mul_hi_u32 s9, s2, 14
	s_addc_u32 s7, s3, 0
	s_add_i32 s9, s9, s8
	s_mul_i32 s8, s2, 14
	v_mov_b32_e32 v16, s8
	v_sub_co_u32_e32 v16, vcc, s0, v16
	s_cmp_lg_u64 vcc, 0
	s_subb_u32 s8, s1, s9
	v_subrev_co_u32_e32 v17, vcc, 14, v16
	s_cmp_lg_u64 vcc, 0
	s_subb_u32 s9, s8, 0
	v_readfirstlane_b32 s10, v17
	s_cmp_gt_u32 s10, 13
	s_cselect_b32 s10, -1, 0
	s_cmp_eq_u32 s9, 0
	s_cselect_b32 s9, s10, -1
	s_cmp_lg_u32 s9, 0
	s_cselect_b32 s4, s6, s4
	v_readfirstlane_b32 s6, v16
	s_cselect_b32 s5, s7, s5
	s_cmp_gt_u32 s6, 13
	s_cselect_b32 s6, -1, 0
	s_cmp_eq_u32 s8, 0
	s_cselect_b32 s6, s6, -1
	s_cmp_lg_u32 s6, 0
	s_cselect_b32 s3, s5, s3
	s_cselect_b32 s2, s4, s2
	v_cmp_eq_u64_e32 vcc, s[2:3], v[0:1]
	s_and_saveexec_b64 s[2:3], vcc
	s_cbranch_execz .LBB4414_153
; %bb.104:
	v_mul_hi_u32_u24_e32 v1, 14, v0
	v_mov_b32_e32 v16, s1
	v_sub_co_u32_e32 v0, vcc, s0, v33
	v_subb_co_u32_e32 v1, vcc, v16, v1, vcc
	v_cmp_lt_i64_e32 vcc, 6, v[0:1]
	s_and_saveexec_b64 s[0:1], vcc
	s_xor_b64 s[0:1], exec, s[0:1]
	s_cbranch_execz .LBB4414_130
; %bb.105:
	v_cmp_lt_i64_e32 vcc, 9, v[0:1]
	s_and_saveexec_b64 s[2:3], vcc
	s_xor_b64 s[2:3], exec, s[2:3]
	s_cbranch_execz .LBB4414_119
; %bb.106:
	;; [unrolled: 5-line block ×4, first 2 shown]
	v_mov_b32_e32 v0, 0
	s_waitcnt lgkmcnt(0)
	global_store_dword v0, v15, s[18:19]
                                        ; implicit-def: $vgpr14_vgpr15
.LBB4414_109:
	s_andn2_saveexec_b64 s[6:7], s[6:7]
	s_cbranch_execz .LBB4414_111
; %bb.110:
	v_mov_b32_e32 v0, 0
	s_waitcnt lgkmcnt(0)
	global_store_dword v0, v14, s[18:19]
.LBB4414_111:
	s_or_b64 exec, exec, s[6:7]
                                        ; implicit-def: $vgpr10_vgpr11
                                        ; implicit-def: $vgpr0_vgpr1
.LBB4414_112:
	s_andn2_saveexec_b64 s[4:5], s[4:5]
	s_cbranch_execz .LBB4414_118
; %bb.113:
	v_cmp_lt_i64_e32 vcc, 10, v[0:1]
	s_and_saveexec_b64 s[6:7], vcc
	s_xor_b64 s[6:7], exec, s[6:7]
	s_cbranch_execz .LBB4414_115
; %bb.114:
	v_mov_b32_e32 v0, 0
	s_waitcnt lgkmcnt(0)
	global_store_dword v0, v11, s[18:19]
                                        ; implicit-def: $vgpr10_vgpr11
.LBB4414_115:
	s_andn2_saveexec_b64 s[6:7], s[6:7]
	s_cbranch_execz .LBB4414_117
; %bb.116:
	v_mov_b32_e32 v0, 0
	s_waitcnt lgkmcnt(0)
	global_store_dword v0, v10, s[18:19]
.LBB4414_117:
	s_or_b64 exec, exec, s[6:7]
.LBB4414_118:
	s_or_b64 exec, exec, s[4:5]
                                        ; implicit-def: $vgpr2_vgpr3
                                        ; implicit-def: $vgpr0_vgpr1
                                        ; implicit-def: $vgpr12_vgpr13
.LBB4414_119:
	s_andn2_saveexec_b64 s[2:3], s[2:3]
	s_cbranch_execz .LBB4414_129
; %bb.120:
	v_cmp_lt_i64_e32 vcc, 7, v[0:1]
	s_and_saveexec_b64 s[4:5], vcc
	s_xor_b64 s[4:5], exec, s[4:5]
	s_cbranch_execz .LBB4414_126
; %bb.121:
	v_cmp_lt_i64_e32 vcc, 8, v[0:1]
	s_and_saveexec_b64 s[6:7], vcc
	s_xor_b64 s[6:7], exec, s[6:7]
	s_cbranch_execz .LBB4414_123
; %bb.122:
	v_mov_b32_e32 v0, 0
	s_waitcnt lgkmcnt(0)
	global_store_dword v0, v13, s[18:19]
                                        ; implicit-def: $vgpr12_vgpr13
.LBB4414_123:
	s_andn2_saveexec_b64 s[6:7], s[6:7]
	s_cbranch_execz .LBB4414_125
; %bb.124:
	v_mov_b32_e32 v0, 0
	s_waitcnt lgkmcnt(0)
	global_store_dword v0, v12, s[18:19]
.LBB4414_125:
	s_or_b64 exec, exec, s[6:7]
                                        ; implicit-def: $vgpr2_vgpr3
.LBB4414_126:
	s_andn2_saveexec_b64 s[4:5], s[4:5]
	s_cbranch_execz .LBB4414_128
; %bb.127:
	v_mov_b32_e32 v0, 0
	s_waitcnt lgkmcnt(0)
	global_store_dword v0, v3, s[18:19]
.LBB4414_128:
	s_or_b64 exec, exec, s[4:5]
.LBB4414_129:
	s_or_b64 exec, exec, s[2:3]
                                        ; implicit-def: $vgpr0_vgpr1
                                        ; implicit-def: $vgpr8_vgpr9
                                        ; implicit-def: $vgpr4_vgpr5
                                        ; implicit-def: $vgpr6_vgpr7
                                        ; implicit-def: $vgpr2_vgpr3
.LBB4414_130:
	s_andn2_saveexec_b64 s[0:1], s[0:1]
	s_cbranch_execz .LBB4414_153
; %bb.131:
	v_cmp_lt_i64_e32 vcc, 3, v[0:1]
	s_and_saveexec_b64 s[0:1], vcc
	s_xor_b64 s[0:1], exec, s[0:1]
	s_cbranch_execz .LBB4414_141
; %bb.132:
	v_cmp_lt_i64_e32 vcc, 4, v[0:1]
	s_and_saveexec_b64 s[2:3], vcc
	s_xor_b64 s[2:3], exec, s[2:3]
	;; [unrolled: 5-line block ×3, first 2 shown]
	s_cbranch_execz .LBB4414_135
; %bb.134:
	v_mov_b32_e32 v0, 0
	s_waitcnt lgkmcnt(0)
	global_store_dword v0, v2, s[18:19]
                                        ; implicit-def: $vgpr8_vgpr9
.LBB4414_135:
	s_andn2_saveexec_b64 s[4:5], s[4:5]
	s_cbranch_execz .LBB4414_137
; %bb.136:
	v_mov_b32_e32 v0, 0
	s_waitcnt lgkmcnt(0)
	global_store_dword v0, v9, s[18:19]
.LBB4414_137:
	s_or_b64 exec, exec, s[4:5]
                                        ; implicit-def: $vgpr8_vgpr9
.LBB4414_138:
	s_andn2_saveexec_b64 s[2:3], s[2:3]
	s_cbranch_execz .LBB4414_140
; %bb.139:
	v_mov_b32_e32 v0, 0
	s_waitcnt lgkmcnt(0)
	global_store_dword v0, v8, s[18:19]
.LBB4414_140:
	s_or_b64 exec, exec, s[2:3]
                                        ; implicit-def: $vgpr0_vgpr1
                                        ; implicit-def: $vgpr4_vgpr5
                                        ; implicit-def: $vgpr6_vgpr7
.LBB4414_141:
	s_andn2_saveexec_b64 s[0:1], s[0:1]
	s_cbranch_execz .LBB4414_153
; %bb.142:
	v_cmp_lt_i64_e32 vcc, 1, v[0:1]
	s_and_saveexec_b64 s[0:1], vcc
	s_xor_b64 s[0:1], exec, s[0:1]
	s_cbranch_execz .LBB4414_148
; %bb.143:
	v_cmp_lt_i64_e32 vcc, 2, v[0:1]
	s_and_saveexec_b64 s[2:3], vcc
	s_xor_b64 s[2:3], exec, s[2:3]
	s_cbranch_execz .LBB4414_145
; %bb.144:
	v_mov_b32_e32 v0, 0
	s_waitcnt lgkmcnt(0)
	global_store_dword v0, v7, s[18:19]
                                        ; implicit-def: $vgpr6_vgpr7
.LBB4414_145:
	s_andn2_saveexec_b64 s[2:3], s[2:3]
	s_cbranch_execz .LBB4414_147
; %bb.146:
	v_mov_b32_e32 v0, 0
	s_waitcnt lgkmcnt(0)
	global_store_dword v0, v6, s[18:19]
.LBB4414_147:
	s_or_b64 exec, exec, s[2:3]
                                        ; implicit-def: $vgpr4_vgpr5
                                        ; implicit-def: $vgpr0_vgpr1
.LBB4414_148:
	s_andn2_saveexec_b64 s[0:1], s[0:1]
	s_cbranch_execz .LBB4414_153
; %bb.149:
	v_cmp_ne_u64_e32 vcc, 1, v[0:1]
	s_and_saveexec_b64 s[0:1], vcc
	s_xor_b64 s[0:1], exec, s[0:1]
	s_cbranch_execz .LBB4414_151
; %bb.150:
	v_mov_b32_e32 v0, 0
	s_waitcnt lgkmcnt(0)
	global_store_dword v0, v4, s[18:19]
                                        ; implicit-def: $vgpr4_vgpr5
.LBB4414_151:
	s_andn2_saveexec_b64 s[0:1], s[0:1]
	s_cbranch_execz .LBB4414_153
; %bb.152:
	v_mov_b32_e32 v0, 0
	s_waitcnt lgkmcnt(0)
	global_store_dword v0, v5, s[18:19]
.LBB4414_153:
	s_endpgm
	.section	.rodata,"a",@progbits
	.p2align	6, 0x0
	.amdhsa_kernel _ZN7rocprim17ROCPRIM_400000_NS6detail17trampoline_kernelINS0_14default_configENS1_20scan_config_selectorIfEEZZNS1_9scan_implILNS1_25lookback_scan_determinismE0ELb1ELb1ES3_N6thrust23THRUST_200600_302600_NS6detail15normal_iteratorINS9_10device_ptrIfEEEESE_fNS9_4plusIvEEfEEDaPvRmT3_T4_T5_mT6_P12ihipStream_tbENKUlT_T0_E_clISt17integral_constantIbLb0EEST_IbLb1EEEEDaSP_SQ_EUlSP_E_NS1_11comp_targetILNS1_3genE4ELNS1_11target_archE910ELNS1_3gpuE8ELNS1_3repE0EEENS1_30default_config_static_selectorELNS0_4arch9wavefront6targetE1EEEvT1_
		.amdhsa_group_segment_fixed_size 7168
		.amdhsa_private_segment_fixed_size 0
		.amdhsa_kernarg_size 96
		.amdhsa_user_sgpr_count 6
		.amdhsa_user_sgpr_private_segment_buffer 1
		.amdhsa_user_sgpr_dispatch_ptr 0
		.amdhsa_user_sgpr_queue_ptr 0
		.amdhsa_user_sgpr_kernarg_segment_ptr 1
		.amdhsa_user_sgpr_dispatch_id 0
		.amdhsa_user_sgpr_flat_scratch_init 0
		.amdhsa_user_sgpr_kernarg_preload_length 0
		.amdhsa_user_sgpr_kernarg_preload_offset 0
		.amdhsa_user_sgpr_private_segment_size 0
		.amdhsa_uses_dynamic_stack 0
		.amdhsa_system_sgpr_private_segment_wavefront_offset 0
		.amdhsa_system_sgpr_workgroup_id_x 1
		.amdhsa_system_sgpr_workgroup_id_y 0
		.amdhsa_system_sgpr_workgroup_id_z 0
		.amdhsa_system_sgpr_workgroup_info 0
		.amdhsa_system_vgpr_workitem_id 0
		.amdhsa_next_free_vgpr 49
		.amdhsa_next_free_sgpr 41
		.amdhsa_accum_offset 52
		.amdhsa_reserve_vcc 1
		.amdhsa_reserve_flat_scratch 0
		.amdhsa_float_round_mode_32 0
		.amdhsa_float_round_mode_16_64 0
		.amdhsa_float_denorm_mode_32 3
		.amdhsa_float_denorm_mode_16_64 3
		.amdhsa_dx10_clamp 1
		.amdhsa_ieee_mode 1
		.amdhsa_fp16_overflow 0
		.amdhsa_tg_split 0
		.amdhsa_exception_fp_ieee_invalid_op 0
		.amdhsa_exception_fp_denorm_src 0
		.amdhsa_exception_fp_ieee_div_zero 0
		.amdhsa_exception_fp_ieee_overflow 0
		.amdhsa_exception_fp_ieee_underflow 0
		.amdhsa_exception_fp_ieee_inexact 0
		.amdhsa_exception_int_div_zero 0
	.end_amdhsa_kernel
	.section	.text._ZN7rocprim17ROCPRIM_400000_NS6detail17trampoline_kernelINS0_14default_configENS1_20scan_config_selectorIfEEZZNS1_9scan_implILNS1_25lookback_scan_determinismE0ELb1ELb1ES3_N6thrust23THRUST_200600_302600_NS6detail15normal_iteratorINS9_10device_ptrIfEEEESE_fNS9_4plusIvEEfEEDaPvRmT3_T4_T5_mT6_P12ihipStream_tbENKUlT_T0_E_clISt17integral_constantIbLb0EEST_IbLb1EEEEDaSP_SQ_EUlSP_E_NS1_11comp_targetILNS1_3genE4ELNS1_11target_archE910ELNS1_3gpuE8ELNS1_3repE0EEENS1_30default_config_static_selectorELNS0_4arch9wavefront6targetE1EEEvT1_,"axG",@progbits,_ZN7rocprim17ROCPRIM_400000_NS6detail17trampoline_kernelINS0_14default_configENS1_20scan_config_selectorIfEEZZNS1_9scan_implILNS1_25lookback_scan_determinismE0ELb1ELb1ES3_N6thrust23THRUST_200600_302600_NS6detail15normal_iteratorINS9_10device_ptrIfEEEESE_fNS9_4plusIvEEfEEDaPvRmT3_T4_T5_mT6_P12ihipStream_tbENKUlT_T0_E_clISt17integral_constantIbLb0EEST_IbLb1EEEEDaSP_SQ_EUlSP_E_NS1_11comp_targetILNS1_3genE4ELNS1_11target_archE910ELNS1_3gpuE8ELNS1_3repE0EEENS1_30default_config_static_selectorELNS0_4arch9wavefront6targetE1EEEvT1_,comdat
.Lfunc_end4414:
	.size	_ZN7rocprim17ROCPRIM_400000_NS6detail17trampoline_kernelINS0_14default_configENS1_20scan_config_selectorIfEEZZNS1_9scan_implILNS1_25lookback_scan_determinismE0ELb1ELb1ES3_N6thrust23THRUST_200600_302600_NS6detail15normal_iteratorINS9_10device_ptrIfEEEESE_fNS9_4plusIvEEfEEDaPvRmT3_T4_T5_mT6_P12ihipStream_tbENKUlT_T0_E_clISt17integral_constantIbLb0EEST_IbLb1EEEEDaSP_SQ_EUlSP_E_NS1_11comp_targetILNS1_3genE4ELNS1_11target_archE910ELNS1_3gpuE8ELNS1_3repE0EEENS1_30default_config_static_selectorELNS0_4arch9wavefront6targetE1EEEvT1_, .Lfunc_end4414-_ZN7rocprim17ROCPRIM_400000_NS6detail17trampoline_kernelINS0_14default_configENS1_20scan_config_selectorIfEEZZNS1_9scan_implILNS1_25lookback_scan_determinismE0ELb1ELb1ES3_N6thrust23THRUST_200600_302600_NS6detail15normal_iteratorINS9_10device_ptrIfEEEESE_fNS9_4plusIvEEfEEDaPvRmT3_T4_T5_mT6_P12ihipStream_tbENKUlT_T0_E_clISt17integral_constantIbLb0EEST_IbLb1EEEEDaSP_SQ_EUlSP_E_NS1_11comp_targetILNS1_3genE4ELNS1_11target_archE910ELNS1_3gpuE8ELNS1_3repE0EEENS1_30default_config_static_selectorELNS0_4arch9wavefront6targetE1EEEvT1_
                                        ; -- End function
	.section	.AMDGPU.csdata,"",@progbits
; Kernel info:
; codeLenInByte = 5688
; NumSgprs: 45
; NumVgprs: 49
; NumAgprs: 0
; TotalNumVgprs: 49
; ScratchSize: 0
; MemoryBound: 0
; FloatMode: 240
; IeeeMode: 1
; LDSByteSize: 7168 bytes/workgroup (compile time only)
; SGPRBlocks: 5
; VGPRBlocks: 6
; NumSGPRsForWavesPerEU: 45
; NumVGPRsForWavesPerEU: 49
; AccumOffset: 52
; Occupancy: 5
; WaveLimiterHint : 1
; COMPUTE_PGM_RSRC2:SCRATCH_EN: 0
; COMPUTE_PGM_RSRC2:USER_SGPR: 6
; COMPUTE_PGM_RSRC2:TRAP_HANDLER: 0
; COMPUTE_PGM_RSRC2:TGID_X_EN: 1
; COMPUTE_PGM_RSRC2:TGID_Y_EN: 0
; COMPUTE_PGM_RSRC2:TGID_Z_EN: 0
; COMPUTE_PGM_RSRC2:TIDIG_COMP_CNT: 0
; COMPUTE_PGM_RSRC3_GFX90A:ACCUM_OFFSET: 12
; COMPUTE_PGM_RSRC3_GFX90A:TG_SPLIT: 0
	.section	.text._ZN7rocprim17ROCPRIM_400000_NS6detail17trampoline_kernelINS0_14default_configENS1_20scan_config_selectorIfEEZZNS1_9scan_implILNS1_25lookback_scan_determinismE0ELb1ELb1ES3_N6thrust23THRUST_200600_302600_NS6detail15normal_iteratorINS9_10device_ptrIfEEEESE_fNS9_4plusIvEEfEEDaPvRmT3_T4_T5_mT6_P12ihipStream_tbENKUlT_T0_E_clISt17integral_constantIbLb0EEST_IbLb1EEEEDaSP_SQ_EUlSP_E_NS1_11comp_targetILNS1_3genE3ELNS1_11target_archE908ELNS1_3gpuE7ELNS1_3repE0EEENS1_30default_config_static_selectorELNS0_4arch9wavefront6targetE1EEEvT1_,"axG",@progbits,_ZN7rocprim17ROCPRIM_400000_NS6detail17trampoline_kernelINS0_14default_configENS1_20scan_config_selectorIfEEZZNS1_9scan_implILNS1_25lookback_scan_determinismE0ELb1ELb1ES3_N6thrust23THRUST_200600_302600_NS6detail15normal_iteratorINS9_10device_ptrIfEEEESE_fNS9_4plusIvEEfEEDaPvRmT3_T4_T5_mT6_P12ihipStream_tbENKUlT_T0_E_clISt17integral_constantIbLb0EEST_IbLb1EEEEDaSP_SQ_EUlSP_E_NS1_11comp_targetILNS1_3genE3ELNS1_11target_archE908ELNS1_3gpuE7ELNS1_3repE0EEENS1_30default_config_static_selectorELNS0_4arch9wavefront6targetE1EEEvT1_,comdat
	.protected	_ZN7rocprim17ROCPRIM_400000_NS6detail17trampoline_kernelINS0_14default_configENS1_20scan_config_selectorIfEEZZNS1_9scan_implILNS1_25lookback_scan_determinismE0ELb1ELb1ES3_N6thrust23THRUST_200600_302600_NS6detail15normal_iteratorINS9_10device_ptrIfEEEESE_fNS9_4plusIvEEfEEDaPvRmT3_T4_T5_mT6_P12ihipStream_tbENKUlT_T0_E_clISt17integral_constantIbLb0EEST_IbLb1EEEEDaSP_SQ_EUlSP_E_NS1_11comp_targetILNS1_3genE3ELNS1_11target_archE908ELNS1_3gpuE7ELNS1_3repE0EEENS1_30default_config_static_selectorELNS0_4arch9wavefront6targetE1EEEvT1_ ; -- Begin function _ZN7rocprim17ROCPRIM_400000_NS6detail17trampoline_kernelINS0_14default_configENS1_20scan_config_selectorIfEEZZNS1_9scan_implILNS1_25lookback_scan_determinismE0ELb1ELb1ES3_N6thrust23THRUST_200600_302600_NS6detail15normal_iteratorINS9_10device_ptrIfEEEESE_fNS9_4plusIvEEfEEDaPvRmT3_T4_T5_mT6_P12ihipStream_tbENKUlT_T0_E_clISt17integral_constantIbLb0EEST_IbLb1EEEEDaSP_SQ_EUlSP_E_NS1_11comp_targetILNS1_3genE3ELNS1_11target_archE908ELNS1_3gpuE7ELNS1_3repE0EEENS1_30default_config_static_selectorELNS0_4arch9wavefront6targetE1EEEvT1_
	.globl	_ZN7rocprim17ROCPRIM_400000_NS6detail17trampoline_kernelINS0_14default_configENS1_20scan_config_selectorIfEEZZNS1_9scan_implILNS1_25lookback_scan_determinismE0ELb1ELb1ES3_N6thrust23THRUST_200600_302600_NS6detail15normal_iteratorINS9_10device_ptrIfEEEESE_fNS9_4plusIvEEfEEDaPvRmT3_T4_T5_mT6_P12ihipStream_tbENKUlT_T0_E_clISt17integral_constantIbLb0EEST_IbLb1EEEEDaSP_SQ_EUlSP_E_NS1_11comp_targetILNS1_3genE3ELNS1_11target_archE908ELNS1_3gpuE7ELNS1_3repE0EEENS1_30default_config_static_selectorELNS0_4arch9wavefront6targetE1EEEvT1_
	.p2align	8
	.type	_ZN7rocprim17ROCPRIM_400000_NS6detail17trampoline_kernelINS0_14default_configENS1_20scan_config_selectorIfEEZZNS1_9scan_implILNS1_25lookback_scan_determinismE0ELb1ELb1ES3_N6thrust23THRUST_200600_302600_NS6detail15normal_iteratorINS9_10device_ptrIfEEEESE_fNS9_4plusIvEEfEEDaPvRmT3_T4_T5_mT6_P12ihipStream_tbENKUlT_T0_E_clISt17integral_constantIbLb0EEST_IbLb1EEEEDaSP_SQ_EUlSP_E_NS1_11comp_targetILNS1_3genE3ELNS1_11target_archE908ELNS1_3gpuE7ELNS1_3repE0EEENS1_30default_config_static_selectorELNS0_4arch9wavefront6targetE1EEEvT1_,@function
_ZN7rocprim17ROCPRIM_400000_NS6detail17trampoline_kernelINS0_14default_configENS1_20scan_config_selectorIfEEZZNS1_9scan_implILNS1_25lookback_scan_determinismE0ELb1ELb1ES3_N6thrust23THRUST_200600_302600_NS6detail15normal_iteratorINS9_10device_ptrIfEEEESE_fNS9_4plusIvEEfEEDaPvRmT3_T4_T5_mT6_P12ihipStream_tbENKUlT_T0_E_clISt17integral_constantIbLb0EEST_IbLb1EEEEDaSP_SQ_EUlSP_E_NS1_11comp_targetILNS1_3genE3ELNS1_11target_archE908ELNS1_3gpuE7ELNS1_3repE0EEENS1_30default_config_static_selectorELNS0_4arch9wavefront6targetE1EEEvT1_: ; @_ZN7rocprim17ROCPRIM_400000_NS6detail17trampoline_kernelINS0_14default_configENS1_20scan_config_selectorIfEEZZNS1_9scan_implILNS1_25lookback_scan_determinismE0ELb1ELb1ES3_N6thrust23THRUST_200600_302600_NS6detail15normal_iteratorINS9_10device_ptrIfEEEESE_fNS9_4plusIvEEfEEDaPvRmT3_T4_T5_mT6_P12ihipStream_tbENKUlT_T0_E_clISt17integral_constantIbLb0EEST_IbLb1EEEEDaSP_SQ_EUlSP_E_NS1_11comp_targetILNS1_3genE3ELNS1_11target_archE908ELNS1_3gpuE7ELNS1_3repE0EEENS1_30default_config_static_selectorELNS0_4arch9wavefront6targetE1EEEvT1_
; %bb.0:
	.section	.rodata,"a",@progbits
	.p2align	6, 0x0
	.amdhsa_kernel _ZN7rocprim17ROCPRIM_400000_NS6detail17trampoline_kernelINS0_14default_configENS1_20scan_config_selectorIfEEZZNS1_9scan_implILNS1_25lookback_scan_determinismE0ELb1ELb1ES3_N6thrust23THRUST_200600_302600_NS6detail15normal_iteratorINS9_10device_ptrIfEEEESE_fNS9_4plusIvEEfEEDaPvRmT3_T4_T5_mT6_P12ihipStream_tbENKUlT_T0_E_clISt17integral_constantIbLb0EEST_IbLb1EEEEDaSP_SQ_EUlSP_E_NS1_11comp_targetILNS1_3genE3ELNS1_11target_archE908ELNS1_3gpuE7ELNS1_3repE0EEENS1_30default_config_static_selectorELNS0_4arch9wavefront6targetE1EEEvT1_
		.amdhsa_group_segment_fixed_size 0
		.amdhsa_private_segment_fixed_size 0
		.amdhsa_kernarg_size 96
		.amdhsa_user_sgpr_count 6
		.amdhsa_user_sgpr_private_segment_buffer 1
		.amdhsa_user_sgpr_dispatch_ptr 0
		.amdhsa_user_sgpr_queue_ptr 0
		.amdhsa_user_sgpr_kernarg_segment_ptr 1
		.amdhsa_user_sgpr_dispatch_id 0
		.amdhsa_user_sgpr_flat_scratch_init 0
		.amdhsa_user_sgpr_kernarg_preload_length 0
		.amdhsa_user_sgpr_kernarg_preload_offset 0
		.amdhsa_user_sgpr_private_segment_size 0
		.amdhsa_uses_dynamic_stack 0
		.amdhsa_system_sgpr_private_segment_wavefront_offset 0
		.amdhsa_system_sgpr_workgroup_id_x 1
		.amdhsa_system_sgpr_workgroup_id_y 0
		.amdhsa_system_sgpr_workgroup_id_z 0
		.amdhsa_system_sgpr_workgroup_info 0
		.amdhsa_system_vgpr_workitem_id 0
		.amdhsa_next_free_vgpr 1
		.amdhsa_next_free_sgpr 0
		.amdhsa_accum_offset 4
		.amdhsa_reserve_vcc 0
		.amdhsa_reserve_flat_scratch 0
		.amdhsa_float_round_mode_32 0
		.amdhsa_float_round_mode_16_64 0
		.amdhsa_float_denorm_mode_32 3
		.amdhsa_float_denorm_mode_16_64 3
		.amdhsa_dx10_clamp 1
		.amdhsa_ieee_mode 1
		.amdhsa_fp16_overflow 0
		.amdhsa_tg_split 0
		.amdhsa_exception_fp_ieee_invalid_op 0
		.amdhsa_exception_fp_denorm_src 0
		.amdhsa_exception_fp_ieee_div_zero 0
		.amdhsa_exception_fp_ieee_overflow 0
		.amdhsa_exception_fp_ieee_underflow 0
		.amdhsa_exception_fp_ieee_inexact 0
		.amdhsa_exception_int_div_zero 0
	.end_amdhsa_kernel
	.section	.text._ZN7rocprim17ROCPRIM_400000_NS6detail17trampoline_kernelINS0_14default_configENS1_20scan_config_selectorIfEEZZNS1_9scan_implILNS1_25lookback_scan_determinismE0ELb1ELb1ES3_N6thrust23THRUST_200600_302600_NS6detail15normal_iteratorINS9_10device_ptrIfEEEESE_fNS9_4plusIvEEfEEDaPvRmT3_T4_T5_mT6_P12ihipStream_tbENKUlT_T0_E_clISt17integral_constantIbLb0EEST_IbLb1EEEEDaSP_SQ_EUlSP_E_NS1_11comp_targetILNS1_3genE3ELNS1_11target_archE908ELNS1_3gpuE7ELNS1_3repE0EEENS1_30default_config_static_selectorELNS0_4arch9wavefront6targetE1EEEvT1_,"axG",@progbits,_ZN7rocprim17ROCPRIM_400000_NS6detail17trampoline_kernelINS0_14default_configENS1_20scan_config_selectorIfEEZZNS1_9scan_implILNS1_25lookback_scan_determinismE0ELb1ELb1ES3_N6thrust23THRUST_200600_302600_NS6detail15normal_iteratorINS9_10device_ptrIfEEEESE_fNS9_4plusIvEEfEEDaPvRmT3_T4_T5_mT6_P12ihipStream_tbENKUlT_T0_E_clISt17integral_constantIbLb0EEST_IbLb1EEEEDaSP_SQ_EUlSP_E_NS1_11comp_targetILNS1_3genE3ELNS1_11target_archE908ELNS1_3gpuE7ELNS1_3repE0EEENS1_30default_config_static_selectorELNS0_4arch9wavefront6targetE1EEEvT1_,comdat
.Lfunc_end4415:
	.size	_ZN7rocprim17ROCPRIM_400000_NS6detail17trampoline_kernelINS0_14default_configENS1_20scan_config_selectorIfEEZZNS1_9scan_implILNS1_25lookback_scan_determinismE0ELb1ELb1ES3_N6thrust23THRUST_200600_302600_NS6detail15normal_iteratorINS9_10device_ptrIfEEEESE_fNS9_4plusIvEEfEEDaPvRmT3_T4_T5_mT6_P12ihipStream_tbENKUlT_T0_E_clISt17integral_constantIbLb0EEST_IbLb1EEEEDaSP_SQ_EUlSP_E_NS1_11comp_targetILNS1_3genE3ELNS1_11target_archE908ELNS1_3gpuE7ELNS1_3repE0EEENS1_30default_config_static_selectorELNS0_4arch9wavefront6targetE1EEEvT1_, .Lfunc_end4415-_ZN7rocprim17ROCPRIM_400000_NS6detail17trampoline_kernelINS0_14default_configENS1_20scan_config_selectorIfEEZZNS1_9scan_implILNS1_25lookback_scan_determinismE0ELb1ELb1ES3_N6thrust23THRUST_200600_302600_NS6detail15normal_iteratorINS9_10device_ptrIfEEEESE_fNS9_4plusIvEEfEEDaPvRmT3_T4_T5_mT6_P12ihipStream_tbENKUlT_T0_E_clISt17integral_constantIbLb0EEST_IbLb1EEEEDaSP_SQ_EUlSP_E_NS1_11comp_targetILNS1_3genE3ELNS1_11target_archE908ELNS1_3gpuE7ELNS1_3repE0EEENS1_30default_config_static_selectorELNS0_4arch9wavefront6targetE1EEEvT1_
                                        ; -- End function
	.section	.AMDGPU.csdata,"",@progbits
; Kernel info:
; codeLenInByte = 0
; NumSgprs: 4
; NumVgprs: 0
; NumAgprs: 0
; TotalNumVgprs: 0
; ScratchSize: 0
; MemoryBound: 0
; FloatMode: 240
; IeeeMode: 1
; LDSByteSize: 0 bytes/workgroup (compile time only)
; SGPRBlocks: 0
; VGPRBlocks: 0
; NumSGPRsForWavesPerEU: 4
; NumVGPRsForWavesPerEU: 1
; AccumOffset: 4
; Occupancy: 8
; WaveLimiterHint : 0
; COMPUTE_PGM_RSRC2:SCRATCH_EN: 0
; COMPUTE_PGM_RSRC2:USER_SGPR: 6
; COMPUTE_PGM_RSRC2:TRAP_HANDLER: 0
; COMPUTE_PGM_RSRC2:TGID_X_EN: 1
; COMPUTE_PGM_RSRC2:TGID_Y_EN: 0
; COMPUTE_PGM_RSRC2:TGID_Z_EN: 0
; COMPUTE_PGM_RSRC2:TIDIG_COMP_CNT: 0
; COMPUTE_PGM_RSRC3_GFX90A:ACCUM_OFFSET: 0
; COMPUTE_PGM_RSRC3_GFX90A:TG_SPLIT: 0
	.section	.text._ZN7rocprim17ROCPRIM_400000_NS6detail17trampoline_kernelINS0_14default_configENS1_20scan_config_selectorIfEEZZNS1_9scan_implILNS1_25lookback_scan_determinismE0ELb1ELb1ES3_N6thrust23THRUST_200600_302600_NS6detail15normal_iteratorINS9_10device_ptrIfEEEESE_fNS9_4plusIvEEfEEDaPvRmT3_T4_T5_mT6_P12ihipStream_tbENKUlT_T0_E_clISt17integral_constantIbLb0EEST_IbLb1EEEEDaSP_SQ_EUlSP_E_NS1_11comp_targetILNS1_3genE2ELNS1_11target_archE906ELNS1_3gpuE6ELNS1_3repE0EEENS1_30default_config_static_selectorELNS0_4arch9wavefront6targetE1EEEvT1_,"axG",@progbits,_ZN7rocprim17ROCPRIM_400000_NS6detail17trampoline_kernelINS0_14default_configENS1_20scan_config_selectorIfEEZZNS1_9scan_implILNS1_25lookback_scan_determinismE0ELb1ELb1ES3_N6thrust23THRUST_200600_302600_NS6detail15normal_iteratorINS9_10device_ptrIfEEEESE_fNS9_4plusIvEEfEEDaPvRmT3_T4_T5_mT6_P12ihipStream_tbENKUlT_T0_E_clISt17integral_constantIbLb0EEST_IbLb1EEEEDaSP_SQ_EUlSP_E_NS1_11comp_targetILNS1_3genE2ELNS1_11target_archE906ELNS1_3gpuE6ELNS1_3repE0EEENS1_30default_config_static_selectorELNS0_4arch9wavefront6targetE1EEEvT1_,comdat
	.protected	_ZN7rocprim17ROCPRIM_400000_NS6detail17trampoline_kernelINS0_14default_configENS1_20scan_config_selectorIfEEZZNS1_9scan_implILNS1_25lookback_scan_determinismE0ELb1ELb1ES3_N6thrust23THRUST_200600_302600_NS6detail15normal_iteratorINS9_10device_ptrIfEEEESE_fNS9_4plusIvEEfEEDaPvRmT3_T4_T5_mT6_P12ihipStream_tbENKUlT_T0_E_clISt17integral_constantIbLb0EEST_IbLb1EEEEDaSP_SQ_EUlSP_E_NS1_11comp_targetILNS1_3genE2ELNS1_11target_archE906ELNS1_3gpuE6ELNS1_3repE0EEENS1_30default_config_static_selectorELNS0_4arch9wavefront6targetE1EEEvT1_ ; -- Begin function _ZN7rocprim17ROCPRIM_400000_NS6detail17trampoline_kernelINS0_14default_configENS1_20scan_config_selectorIfEEZZNS1_9scan_implILNS1_25lookback_scan_determinismE0ELb1ELb1ES3_N6thrust23THRUST_200600_302600_NS6detail15normal_iteratorINS9_10device_ptrIfEEEESE_fNS9_4plusIvEEfEEDaPvRmT3_T4_T5_mT6_P12ihipStream_tbENKUlT_T0_E_clISt17integral_constantIbLb0EEST_IbLb1EEEEDaSP_SQ_EUlSP_E_NS1_11comp_targetILNS1_3genE2ELNS1_11target_archE906ELNS1_3gpuE6ELNS1_3repE0EEENS1_30default_config_static_selectorELNS0_4arch9wavefront6targetE1EEEvT1_
	.globl	_ZN7rocprim17ROCPRIM_400000_NS6detail17trampoline_kernelINS0_14default_configENS1_20scan_config_selectorIfEEZZNS1_9scan_implILNS1_25lookback_scan_determinismE0ELb1ELb1ES3_N6thrust23THRUST_200600_302600_NS6detail15normal_iteratorINS9_10device_ptrIfEEEESE_fNS9_4plusIvEEfEEDaPvRmT3_T4_T5_mT6_P12ihipStream_tbENKUlT_T0_E_clISt17integral_constantIbLb0EEST_IbLb1EEEEDaSP_SQ_EUlSP_E_NS1_11comp_targetILNS1_3genE2ELNS1_11target_archE906ELNS1_3gpuE6ELNS1_3repE0EEENS1_30default_config_static_selectorELNS0_4arch9wavefront6targetE1EEEvT1_
	.p2align	8
	.type	_ZN7rocprim17ROCPRIM_400000_NS6detail17trampoline_kernelINS0_14default_configENS1_20scan_config_selectorIfEEZZNS1_9scan_implILNS1_25lookback_scan_determinismE0ELb1ELb1ES3_N6thrust23THRUST_200600_302600_NS6detail15normal_iteratorINS9_10device_ptrIfEEEESE_fNS9_4plusIvEEfEEDaPvRmT3_T4_T5_mT6_P12ihipStream_tbENKUlT_T0_E_clISt17integral_constantIbLb0EEST_IbLb1EEEEDaSP_SQ_EUlSP_E_NS1_11comp_targetILNS1_3genE2ELNS1_11target_archE906ELNS1_3gpuE6ELNS1_3repE0EEENS1_30default_config_static_selectorELNS0_4arch9wavefront6targetE1EEEvT1_,@function
_ZN7rocprim17ROCPRIM_400000_NS6detail17trampoline_kernelINS0_14default_configENS1_20scan_config_selectorIfEEZZNS1_9scan_implILNS1_25lookback_scan_determinismE0ELb1ELb1ES3_N6thrust23THRUST_200600_302600_NS6detail15normal_iteratorINS9_10device_ptrIfEEEESE_fNS9_4plusIvEEfEEDaPvRmT3_T4_T5_mT6_P12ihipStream_tbENKUlT_T0_E_clISt17integral_constantIbLb0EEST_IbLb1EEEEDaSP_SQ_EUlSP_E_NS1_11comp_targetILNS1_3genE2ELNS1_11target_archE906ELNS1_3gpuE6ELNS1_3repE0EEENS1_30default_config_static_selectorELNS0_4arch9wavefront6targetE1EEEvT1_: ; @_ZN7rocprim17ROCPRIM_400000_NS6detail17trampoline_kernelINS0_14default_configENS1_20scan_config_selectorIfEEZZNS1_9scan_implILNS1_25lookback_scan_determinismE0ELb1ELb1ES3_N6thrust23THRUST_200600_302600_NS6detail15normal_iteratorINS9_10device_ptrIfEEEESE_fNS9_4plusIvEEfEEDaPvRmT3_T4_T5_mT6_P12ihipStream_tbENKUlT_T0_E_clISt17integral_constantIbLb0EEST_IbLb1EEEEDaSP_SQ_EUlSP_E_NS1_11comp_targetILNS1_3genE2ELNS1_11target_archE906ELNS1_3gpuE6ELNS1_3repE0EEENS1_30default_config_static_selectorELNS0_4arch9wavefront6targetE1EEEvT1_
; %bb.0:
	.section	.rodata,"a",@progbits
	.p2align	6, 0x0
	.amdhsa_kernel _ZN7rocprim17ROCPRIM_400000_NS6detail17trampoline_kernelINS0_14default_configENS1_20scan_config_selectorIfEEZZNS1_9scan_implILNS1_25lookback_scan_determinismE0ELb1ELb1ES3_N6thrust23THRUST_200600_302600_NS6detail15normal_iteratorINS9_10device_ptrIfEEEESE_fNS9_4plusIvEEfEEDaPvRmT3_T4_T5_mT6_P12ihipStream_tbENKUlT_T0_E_clISt17integral_constantIbLb0EEST_IbLb1EEEEDaSP_SQ_EUlSP_E_NS1_11comp_targetILNS1_3genE2ELNS1_11target_archE906ELNS1_3gpuE6ELNS1_3repE0EEENS1_30default_config_static_selectorELNS0_4arch9wavefront6targetE1EEEvT1_
		.amdhsa_group_segment_fixed_size 0
		.amdhsa_private_segment_fixed_size 0
		.amdhsa_kernarg_size 96
		.amdhsa_user_sgpr_count 6
		.amdhsa_user_sgpr_private_segment_buffer 1
		.amdhsa_user_sgpr_dispatch_ptr 0
		.amdhsa_user_sgpr_queue_ptr 0
		.amdhsa_user_sgpr_kernarg_segment_ptr 1
		.amdhsa_user_sgpr_dispatch_id 0
		.amdhsa_user_sgpr_flat_scratch_init 0
		.amdhsa_user_sgpr_kernarg_preload_length 0
		.amdhsa_user_sgpr_kernarg_preload_offset 0
		.amdhsa_user_sgpr_private_segment_size 0
		.amdhsa_uses_dynamic_stack 0
		.amdhsa_system_sgpr_private_segment_wavefront_offset 0
		.amdhsa_system_sgpr_workgroup_id_x 1
		.amdhsa_system_sgpr_workgroup_id_y 0
		.amdhsa_system_sgpr_workgroup_id_z 0
		.amdhsa_system_sgpr_workgroup_info 0
		.amdhsa_system_vgpr_workitem_id 0
		.amdhsa_next_free_vgpr 1
		.amdhsa_next_free_sgpr 0
		.amdhsa_accum_offset 4
		.amdhsa_reserve_vcc 0
		.amdhsa_reserve_flat_scratch 0
		.amdhsa_float_round_mode_32 0
		.amdhsa_float_round_mode_16_64 0
		.amdhsa_float_denorm_mode_32 3
		.amdhsa_float_denorm_mode_16_64 3
		.amdhsa_dx10_clamp 1
		.amdhsa_ieee_mode 1
		.amdhsa_fp16_overflow 0
		.amdhsa_tg_split 0
		.amdhsa_exception_fp_ieee_invalid_op 0
		.amdhsa_exception_fp_denorm_src 0
		.amdhsa_exception_fp_ieee_div_zero 0
		.amdhsa_exception_fp_ieee_overflow 0
		.amdhsa_exception_fp_ieee_underflow 0
		.amdhsa_exception_fp_ieee_inexact 0
		.amdhsa_exception_int_div_zero 0
	.end_amdhsa_kernel
	.section	.text._ZN7rocprim17ROCPRIM_400000_NS6detail17trampoline_kernelINS0_14default_configENS1_20scan_config_selectorIfEEZZNS1_9scan_implILNS1_25lookback_scan_determinismE0ELb1ELb1ES3_N6thrust23THRUST_200600_302600_NS6detail15normal_iteratorINS9_10device_ptrIfEEEESE_fNS9_4plusIvEEfEEDaPvRmT3_T4_T5_mT6_P12ihipStream_tbENKUlT_T0_E_clISt17integral_constantIbLb0EEST_IbLb1EEEEDaSP_SQ_EUlSP_E_NS1_11comp_targetILNS1_3genE2ELNS1_11target_archE906ELNS1_3gpuE6ELNS1_3repE0EEENS1_30default_config_static_selectorELNS0_4arch9wavefront6targetE1EEEvT1_,"axG",@progbits,_ZN7rocprim17ROCPRIM_400000_NS6detail17trampoline_kernelINS0_14default_configENS1_20scan_config_selectorIfEEZZNS1_9scan_implILNS1_25lookback_scan_determinismE0ELb1ELb1ES3_N6thrust23THRUST_200600_302600_NS6detail15normal_iteratorINS9_10device_ptrIfEEEESE_fNS9_4plusIvEEfEEDaPvRmT3_T4_T5_mT6_P12ihipStream_tbENKUlT_T0_E_clISt17integral_constantIbLb0EEST_IbLb1EEEEDaSP_SQ_EUlSP_E_NS1_11comp_targetILNS1_3genE2ELNS1_11target_archE906ELNS1_3gpuE6ELNS1_3repE0EEENS1_30default_config_static_selectorELNS0_4arch9wavefront6targetE1EEEvT1_,comdat
.Lfunc_end4416:
	.size	_ZN7rocprim17ROCPRIM_400000_NS6detail17trampoline_kernelINS0_14default_configENS1_20scan_config_selectorIfEEZZNS1_9scan_implILNS1_25lookback_scan_determinismE0ELb1ELb1ES3_N6thrust23THRUST_200600_302600_NS6detail15normal_iteratorINS9_10device_ptrIfEEEESE_fNS9_4plusIvEEfEEDaPvRmT3_T4_T5_mT6_P12ihipStream_tbENKUlT_T0_E_clISt17integral_constantIbLb0EEST_IbLb1EEEEDaSP_SQ_EUlSP_E_NS1_11comp_targetILNS1_3genE2ELNS1_11target_archE906ELNS1_3gpuE6ELNS1_3repE0EEENS1_30default_config_static_selectorELNS0_4arch9wavefront6targetE1EEEvT1_, .Lfunc_end4416-_ZN7rocprim17ROCPRIM_400000_NS6detail17trampoline_kernelINS0_14default_configENS1_20scan_config_selectorIfEEZZNS1_9scan_implILNS1_25lookback_scan_determinismE0ELb1ELb1ES3_N6thrust23THRUST_200600_302600_NS6detail15normal_iteratorINS9_10device_ptrIfEEEESE_fNS9_4plusIvEEfEEDaPvRmT3_T4_T5_mT6_P12ihipStream_tbENKUlT_T0_E_clISt17integral_constantIbLb0EEST_IbLb1EEEEDaSP_SQ_EUlSP_E_NS1_11comp_targetILNS1_3genE2ELNS1_11target_archE906ELNS1_3gpuE6ELNS1_3repE0EEENS1_30default_config_static_selectorELNS0_4arch9wavefront6targetE1EEEvT1_
                                        ; -- End function
	.section	.AMDGPU.csdata,"",@progbits
; Kernel info:
; codeLenInByte = 0
; NumSgprs: 4
; NumVgprs: 0
; NumAgprs: 0
; TotalNumVgprs: 0
; ScratchSize: 0
; MemoryBound: 0
; FloatMode: 240
; IeeeMode: 1
; LDSByteSize: 0 bytes/workgroup (compile time only)
; SGPRBlocks: 0
; VGPRBlocks: 0
; NumSGPRsForWavesPerEU: 4
; NumVGPRsForWavesPerEU: 1
; AccumOffset: 4
; Occupancy: 8
; WaveLimiterHint : 0
; COMPUTE_PGM_RSRC2:SCRATCH_EN: 0
; COMPUTE_PGM_RSRC2:USER_SGPR: 6
; COMPUTE_PGM_RSRC2:TRAP_HANDLER: 0
; COMPUTE_PGM_RSRC2:TGID_X_EN: 1
; COMPUTE_PGM_RSRC2:TGID_Y_EN: 0
; COMPUTE_PGM_RSRC2:TGID_Z_EN: 0
; COMPUTE_PGM_RSRC2:TIDIG_COMP_CNT: 0
; COMPUTE_PGM_RSRC3_GFX90A:ACCUM_OFFSET: 0
; COMPUTE_PGM_RSRC3_GFX90A:TG_SPLIT: 0
	.section	.text._ZN7rocprim17ROCPRIM_400000_NS6detail17trampoline_kernelINS0_14default_configENS1_20scan_config_selectorIfEEZZNS1_9scan_implILNS1_25lookback_scan_determinismE0ELb1ELb1ES3_N6thrust23THRUST_200600_302600_NS6detail15normal_iteratorINS9_10device_ptrIfEEEESE_fNS9_4plusIvEEfEEDaPvRmT3_T4_T5_mT6_P12ihipStream_tbENKUlT_T0_E_clISt17integral_constantIbLb0EEST_IbLb1EEEEDaSP_SQ_EUlSP_E_NS1_11comp_targetILNS1_3genE10ELNS1_11target_archE1201ELNS1_3gpuE5ELNS1_3repE0EEENS1_30default_config_static_selectorELNS0_4arch9wavefront6targetE1EEEvT1_,"axG",@progbits,_ZN7rocprim17ROCPRIM_400000_NS6detail17trampoline_kernelINS0_14default_configENS1_20scan_config_selectorIfEEZZNS1_9scan_implILNS1_25lookback_scan_determinismE0ELb1ELb1ES3_N6thrust23THRUST_200600_302600_NS6detail15normal_iteratorINS9_10device_ptrIfEEEESE_fNS9_4plusIvEEfEEDaPvRmT3_T4_T5_mT6_P12ihipStream_tbENKUlT_T0_E_clISt17integral_constantIbLb0EEST_IbLb1EEEEDaSP_SQ_EUlSP_E_NS1_11comp_targetILNS1_3genE10ELNS1_11target_archE1201ELNS1_3gpuE5ELNS1_3repE0EEENS1_30default_config_static_selectorELNS0_4arch9wavefront6targetE1EEEvT1_,comdat
	.protected	_ZN7rocprim17ROCPRIM_400000_NS6detail17trampoline_kernelINS0_14default_configENS1_20scan_config_selectorIfEEZZNS1_9scan_implILNS1_25lookback_scan_determinismE0ELb1ELb1ES3_N6thrust23THRUST_200600_302600_NS6detail15normal_iteratorINS9_10device_ptrIfEEEESE_fNS9_4plusIvEEfEEDaPvRmT3_T4_T5_mT6_P12ihipStream_tbENKUlT_T0_E_clISt17integral_constantIbLb0EEST_IbLb1EEEEDaSP_SQ_EUlSP_E_NS1_11comp_targetILNS1_3genE10ELNS1_11target_archE1201ELNS1_3gpuE5ELNS1_3repE0EEENS1_30default_config_static_selectorELNS0_4arch9wavefront6targetE1EEEvT1_ ; -- Begin function _ZN7rocprim17ROCPRIM_400000_NS6detail17trampoline_kernelINS0_14default_configENS1_20scan_config_selectorIfEEZZNS1_9scan_implILNS1_25lookback_scan_determinismE0ELb1ELb1ES3_N6thrust23THRUST_200600_302600_NS6detail15normal_iteratorINS9_10device_ptrIfEEEESE_fNS9_4plusIvEEfEEDaPvRmT3_T4_T5_mT6_P12ihipStream_tbENKUlT_T0_E_clISt17integral_constantIbLb0EEST_IbLb1EEEEDaSP_SQ_EUlSP_E_NS1_11comp_targetILNS1_3genE10ELNS1_11target_archE1201ELNS1_3gpuE5ELNS1_3repE0EEENS1_30default_config_static_selectorELNS0_4arch9wavefront6targetE1EEEvT1_
	.globl	_ZN7rocprim17ROCPRIM_400000_NS6detail17trampoline_kernelINS0_14default_configENS1_20scan_config_selectorIfEEZZNS1_9scan_implILNS1_25lookback_scan_determinismE0ELb1ELb1ES3_N6thrust23THRUST_200600_302600_NS6detail15normal_iteratorINS9_10device_ptrIfEEEESE_fNS9_4plusIvEEfEEDaPvRmT3_T4_T5_mT6_P12ihipStream_tbENKUlT_T0_E_clISt17integral_constantIbLb0EEST_IbLb1EEEEDaSP_SQ_EUlSP_E_NS1_11comp_targetILNS1_3genE10ELNS1_11target_archE1201ELNS1_3gpuE5ELNS1_3repE0EEENS1_30default_config_static_selectorELNS0_4arch9wavefront6targetE1EEEvT1_
	.p2align	8
	.type	_ZN7rocprim17ROCPRIM_400000_NS6detail17trampoline_kernelINS0_14default_configENS1_20scan_config_selectorIfEEZZNS1_9scan_implILNS1_25lookback_scan_determinismE0ELb1ELb1ES3_N6thrust23THRUST_200600_302600_NS6detail15normal_iteratorINS9_10device_ptrIfEEEESE_fNS9_4plusIvEEfEEDaPvRmT3_T4_T5_mT6_P12ihipStream_tbENKUlT_T0_E_clISt17integral_constantIbLb0EEST_IbLb1EEEEDaSP_SQ_EUlSP_E_NS1_11comp_targetILNS1_3genE10ELNS1_11target_archE1201ELNS1_3gpuE5ELNS1_3repE0EEENS1_30default_config_static_selectorELNS0_4arch9wavefront6targetE1EEEvT1_,@function
_ZN7rocprim17ROCPRIM_400000_NS6detail17trampoline_kernelINS0_14default_configENS1_20scan_config_selectorIfEEZZNS1_9scan_implILNS1_25lookback_scan_determinismE0ELb1ELb1ES3_N6thrust23THRUST_200600_302600_NS6detail15normal_iteratorINS9_10device_ptrIfEEEESE_fNS9_4plusIvEEfEEDaPvRmT3_T4_T5_mT6_P12ihipStream_tbENKUlT_T0_E_clISt17integral_constantIbLb0EEST_IbLb1EEEEDaSP_SQ_EUlSP_E_NS1_11comp_targetILNS1_3genE10ELNS1_11target_archE1201ELNS1_3gpuE5ELNS1_3repE0EEENS1_30default_config_static_selectorELNS0_4arch9wavefront6targetE1EEEvT1_: ; @_ZN7rocprim17ROCPRIM_400000_NS6detail17trampoline_kernelINS0_14default_configENS1_20scan_config_selectorIfEEZZNS1_9scan_implILNS1_25lookback_scan_determinismE0ELb1ELb1ES3_N6thrust23THRUST_200600_302600_NS6detail15normal_iteratorINS9_10device_ptrIfEEEESE_fNS9_4plusIvEEfEEDaPvRmT3_T4_T5_mT6_P12ihipStream_tbENKUlT_T0_E_clISt17integral_constantIbLb0EEST_IbLb1EEEEDaSP_SQ_EUlSP_E_NS1_11comp_targetILNS1_3genE10ELNS1_11target_archE1201ELNS1_3gpuE5ELNS1_3repE0EEENS1_30default_config_static_selectorELNS0_4arch9wavefront6targetE1EEEvT1_
; %bb.0:
	.section	.rodata,"a",@progbits
	.p2align	6, 0x0
	.amdhsa_kernel _ZN7rocprim17ROCPRIM_400000_NS6detail17trampoline_kernelINS0_14default_configENS1_20scan_config_selectorIfEEZZNS1_9scan_implILNS1_25lookback_scan_determinismE0ELb1ELb1ES3_N6thrust23THRUST_200600_302600_NS6detail15normal_iteratorINS9_10device_ptrIfEEEESE_fNS9_4plusIvEEfEEDaPvRmT3_T4_T5_mT6_P12ihipStream_tbENKUlT_T0_E_clISt17integral_constantIbLb0EEST_IbLb1EEEEDaSP_SQ_EUlSP_E_NS1_11comp_targetILNS1_3genE10ELNS1_11target_archE1201ELNS1_3gpuE5ELNS1_3repE0EEENS1_30default_config_static_selectorELNS0_4arch9wavefront6targetE1EEEvT1_
		.amdhsa_group_segment_fixed_size 0
		.amdhsa_private_segment_fixed_size 0
		.amdhsa_kernarg_size 96
		.amdhsa_user_sgpr_count 6
		.amdhsa_user_sgpr_private_segment_buffer 1
		.amdhsa_user_sgpr_dispatch_ptr 0
		.amdhsa_user_sgpr_queue_ptr 0
		.amdhsa_user_sgpr_kernarg_segment_ptr 1
		.amdhsa_user_sgpr_dispatch_id 0
		.amdhsa_user_sgpr_flat_scratch_init 0
		.amdhsa_user_sgpr_kernarg_preload_length 0
		.amdhsa_user_sgpr_kernarg_preload_offset 0
		.amdhsa_user_sgpr_private_segment_size 0
		.amdhsa_uses_dynamic_stack 0
		.amdhsa_system_sgpr_private_segment_wavefront_offset 0
		.amdhsa_system_sgpr_workgroup_id_x 1
		.amdhsa_system_sgpr_workgroup_id_y 0
		.amdhsa_system_sgpr_workgroup_id_z 0
		.amdhsa_system_sgpr_workgroup_info 0
		.amdhsa_system_vgpr_workitem_id 0
		.amdhsa_next_free_vgpr 1
		.amdhsa_next_free_sgpr 0
		.amdhsa_accum_offset 4
		.amdhsa_reserve_vcc 0
		.amdhsa_reserve_flat_scratch 0
		.amdhsa_float_round_mode_32 0
		.amdhsa_float_round_mode_16_64 0
		.amdhsa_float_denorm_mode_32 3
		.amdhsa_float_denorm_mode_16_64 3
		.amdhsa_dx10_clamp 1
		.amdhsa_ieee_mode 1
		.amdhsa_fp16_overflow 0
		.amdhsa_tg_split 0
		.amdhsa_exception_fp_ieee_invalid_op 0
		.amdhsa_exception_fp_denorm_src 0
		.amdhsa_exception_fp_ieee_div_zero 0
		.amdhsa_exception_fp_ieee_overflow 0
		.amdhsa_exception_fp_ieee_underflow 0
		.amdhsa_exception_fp_ieee_inexact 0
		.amdhsa_exception_int_div_zero 0
	.end_amdhsa_kernel
	.section	.text._ZN7rocprim17ROCPRIM_400000_NS6detail17trampoline_kernelINS0_14default_configENS1_20scan_config_selectorIfEEZZNS1_9scan_implILNS1_25lookback_scan_determinismE0ELb1ELb1ES3_N6thrust23THRUST_200600_302600_NS6detail15normal_iteratorINS9_10device_ptrIfEEEESE_fNS9_4plusIvEEfEEDaPvRmT3_T4_T5_mT6_P12ihipStream_tbENKUlT_T0_E_clISt17integral_constantIbLb0EEST_IbLb1EEEEDaSP_SQ_EUlSP_E_NS1_11comp_targetILNS1_3genE10ELNS1_11target_archE1201ELNS1_3gpuE5ELNS1_3repE0EEENS1_30default_config_static_selectorELNS0_4arch9wavefront6targetE1EEEvT1_,"axG",@progbits,_ZN7rocprim17ROCPRIM_400000_NS6detail17trampoline_kernelINS0_14default_configENS1_20scan_config_selectorIfEEZZNS1_9scan_implILNS1_25lookback_scan_determinismE0ELb1ELb1ES3_N6thrust23THRUST_200600_302600_NS6detail15normal_iteratorINS9_10device_ptrIfEEEESE_fNS9_4plusIvEEfEEDaPvRmT3_T4_T5_mT6_P12ihipStream_tbENKUlT_T0_E_clISt17integral_constantIbLb0EEST_IbLb1EEEEDaSP_SQ_EUlSP_E_NS1_11comp_targetILNS1_3genE10ELNS1_11target_archE1201ELNS1_3gpuE5ELNS1_3repE0EEENS1_30default_config_static_selectorELNS0_4arch9wavefront6targetE1EEEvT1_,comdat
.Lfunc_end4417:
	.size	_ZN7rocprim17ROCPRIM_400000_NS6detail17trampoline_kernelINS0_14default_configENS1_20scan_config_selectorIfEEZZNS1_9scan_implILNS1_25lookback_scan_determinismE0ELb1ELb1ES3_N6thrust23THRUST_200600_302600_NS6detail15normal_iteratorINS9_10device_ptrIfEEEESE_fNS9_4plusIvEEfEEDaPvRmT3_T4_T5_mT6_P12ihipStream_tbENKUlT_T0_E_clISt17integral_constantIbLb0EEST_IbLb1EEEEDaSP_SQ_EUlSP_E_NS1_11comp_targetILNS1_3genE10ELNS1_11target_archE1201ELNS1_3gpuE5ELNS1_3repE0EEENS1_30default_config_static_selectorELNS0_4arch9wavefront6targetE1EEEvT1_, .Lfunc_end4417-_ZN7rocprim17ROCPRIM_400000_NS6detail17trampoline_kernelINS0_14default_configENS1_20scan_config_selectorIfEEZZNS1_9scan_implILNS1_25lookback_scan_determinismE0ELb1ELb1ES3_N6thrust23THRUST_200600_302600_NS6detail15normal_iteratorINS9_10device_ptrIfEEEESE_fNS9_4plusIvEEfEEDaPvRmT3_T4_T5_mT6_P12ihipStream_tbENKUlT_T0_E_clISt17integral_constantIbLb0EEST_IbLb1EEEEDaSP_SQ_EUlSP_E_NS1_11comp_targetILNS1_3genE10ELNS1_11target_archE1201ELNS1_3gpuE5ELNS1_3repE0EEENS1_30default_config_static_selectorELNS0_4arch9wavefront6targetE1EEEvT1_
                                        ; -- End function
	.section	.AMDGPU.csdata,"",@progbits
; Kernel info:
; codeLenInByte = 0
; NumSgprs: 4
; NumVgprs: 0
; NumAgprs: 0
; TotalNumVgprs: 0
; ScratchSize: 0
; MemoryBound: 0
; FloatMode: 240
; IeeeMode: 1
; LDSByteSize: 0 bytes/workgroup (compile time only)
; SGPRBlocks: 0
; VGPRBlocks: 0
; NumSGPRsForWavesPerEU: 4
; NumVGPRsForWavesPerEU: 1
; AccumOffset: 4
; Occupancy: 8
; WaveLimiterHint : 0
; COMPUTE_PGM_RSRC2:SCRATCH_EN: 0
; COMPUTE_PGM_RSRC2:USER_SGPR: 6
; COMPUTE_PGM_RSRC2:TRAP_HANDLER: 0
; COMPUTE_PGM_RSRC2:TGID_X_EN: 1
; COMPUTE_PGM_RSRC2:TGID_Y_EN: 0
; COMPUTE_PGM_RSRC2:TGID_Z_EN: 0
; COMPUTE_PGM_RSRC2:TIDIG_COMP_CNT: 0
; COMPUTE_PGM_RSRC3_GFX90A:ACCUM_OFFSET: 0
; COMPUTE_PGM_RSRC3_GFX90A:TG_SPLIT: 0
	.section	.text._ZN7rocprim17ROCPRIM_400000_NS6detail17trampoline_kernelINS0_14default_configENS1_20scan_config_selectorIfEEZZNS1_9scan_implILNS1_25lookback_scan_determinismE0ELb1ELb1ES3_N6thrust23THRUST_200600_302600_NS6detail15normal_iteratorINS9_10device_ptrIfEEEESE_fNS9_4plusIvEEfEEDaPvRmT3_T4_T5_mT6_P12ihipStream_tbENKUlT_T0_E_clISt17integral_constantIbLb0EEST_IbLb1EEEEDaSP_SQ_EUlSP_E_NS1_11comp_targetILNS1_3genE10ELNS1_11target_archE1200ELNS1_3gpuE4ELNS1_3repE0EEENS1_30default_config_static_selectorELNS0_4arch9wavefront6targetE1EEEvT1_,"axG",@progbits,_ZN7rocprim17ROCPRIM_400000_NS6detail17trampoline_kernelINS0_14default_configENS1_20scan_config_selectorIfEEZZNS1_9scan_implILNS1_25lookback_scan_determinismE0ELb1ELb1ES3_N6thrust23THRUST_200600_302600_NS6detail15normal_iteratorINS9_10device_ptrIfEEEESE_fNS9_4plusIvEEfEEDaPvRmT3_T4_T5_mT6_P12ihipStream_tbENKUlT_T0_E_clISt17integral_constantIbLb0EEST_IbLb1EEEEDaSP_SQ_EUlSP_E_NS1_11comp_targetILNS1_3genE10ELNS1_11target_archE1200ELNS1_3gpuE4ELNS1_3repE0EEENS1_30default_config_static_selectorELNS0_4arch9wavefront6targetE1EEEvT1_,comdat
	.protected	_ZN7rocprim17ROCPRIM_400000_NS6detail17trampoline_kernelINS0_14default_configENS1_20scan_config_selectorIfEEZZNS1_9scan_implILNS1_25lookback_scan_determinismE0ELb1ELb1ES3_N6thrust23THRUST_200600_302600_NS6detail15normal_iteratorINS9_10device_ptrIfEEEESE_fNS9_4plusIvEEfEEDaPvRmT3_T4_T5_mT6_P12ihipStream_tbENKUlT_T0_E_clISt17integral_constantIbLb0EEST_IbLb1EEEEDaSP_SQ_EUlSP_E_NS1_11comp_targetILNS1_3genE10ELNS1_11target_archE1200ELNS1_3gpuE4ELNS1_3repE0EEENS1_30default_config_static_selectorELNS0_4arch9wavefront6targetE1EEEvT1_ ; -- Begin function _ZN7rocprim17ROCPRIM_400000_NS6detail17trampoline_kernelINS0_14default_configENS1_20scan_config_selectorIfEEZZNS1_9scan_implILNS1_25lookback_scan_determinismE0ELb1ELb1ES3_N6thrust23THRUST_200600_302600_NS6detail15normal_iteratorINS9_10device_ptrIfEEEESE_fNS9_4plusIvEEfEEDaPvRmT3_T4_T5_mT6_P12ihipStream_tbENKUlT_T0_E_clISt17integral_constantIbLb0EEST_IbLb1EEEEDaSP_SQ_EUlSP_E_NS1_11comp_targetILNS1_3genE10ELNS1_11target_archE1200ELNS1_3gpuE4ELNS1_3repE0EEENS1_30default_config_static_selectorELNS0_4arch9wavefront6targetE1EEEvT1_
	.globl	_ZN7rocprim17ROCPRIM_400000_NS6detail17trampoline_kernelINS0_14default_configENS1_20scan_config_selectorIfEEZZNS1_9scan_implILNS1_25lookback_scan_determinismE0ELb1ELb1ES3_N6thrust23THRUST_200600_302600_NS6detail15normal_iteratorINS9_10device_ptrIfEEEESE_fNS9_4plusIvEEfEEDaPvRmT3_T4_T5_mT6_P12ihipStream_tbENKUlT_T0_E_clISt17integral_constantIbLb0EEST_IbLb1EEEEDaSP_SQ_EUlSP_E_NS1_11comp_targetILNS1_3genE10ELNS1_11target_archE1200ELNS1_3gpuE4ELNS1_3repE0EEENS1_30default_config_static_selectorELNS0_4arch9wavefront6targetE1EEEvT1_
	.p2align	8
	.type	_ZN7rocprim17ROCPRIM_400000_NS6detail17trampoline_kernelINS0_14default_configENS1_20scan_config_selectorIfEEZZNS1_9scan_implILNS1_25lookback_scan_determinismE0ELb1ELb1ES3_N6thrust23THRUST_200600_302600_NS6detail15normal_iteratorINS9_10device_ptrIfEEEESE_fNS9_4plusIvEEfEEDaPvRmT3_T4_T5_mT6_P12ihipStream_tbENKUlT_T0_E_clISt17integral_constantIbLb0EEST_IbLb1EEEEDaSP_SQ_EUlSP_E_NS1_11comp_targetILNS1_3genE10ELNS1_11target_archE1200ELNS1_3gpuE4ELNS1_3repE0EEENS1_30default_config_static_selectorELNS0_4arch9wavefront6targetE1EEEvT1_,@function
_ZN7rocprim17ROCPRIM_400000_NS6detail17trampoline_kernelINS0_14default_configENS1_20scan_config_selectorIfEEZZNS1_9scan_implILNS1_25lookback_scan_determinismE0ELb1ELb1ES3_N6thrust23THRUST_200600_302600_NS6detail15normal_iteratorINS9_10device_ptrIfEEEESE_fNS9_4plusIvEEfEEDaPvRmT3_T4_T5_mT6_P12ihipStream_tbENKUlT_T0_E_clISt17integral_constantIbLb0EEST_IbLb1EEEEDaSP_SQ_EUlSP_E_NS1_11comp_targetILNS1_3genE10ELNS1_11target_archE1200ELNS1_3gpuE4ELNS1_3repE0EEENS1_30default_config_static_selectorELNS0_4arch9wavefront6targetE1EEEvT1_: ; @_ZN7rocprim17ROCPRIM_400000_NS6detail17trampoline_kernelINS0_14default_configENS1_20scan_config_selectorIfEEZZNS1_9scan_implILNS1_25lookback_scan_determinismE0ELb1ELb1ES3_N6thrust23THRUST_200600_302600_NS6detail15normal_iteratorINS9_10device_ptrIfEEEESE_fNS9_4plusIvEEfEEDaPvRmT3_T4_T5_mT6_P12ihipStream_tbENKUlT_T0_E_clISt17integral_constantIbLb0EEST_IbLb1EEEEDaSP_SQ_EUlSP_E_NS1_11comp_targetILNS1_3genE10ELNS1_11target_archE1200ELNS1_3gpuE4ELNS1_3repE0EEENS1_30default_config_static_selectorELNS0_4arch9wavefront6targetE1EEEvT1_
; %bb.0:
	.section	.rodata,"a",@progbits
	.p2align	6, 0x0
	.amdhsa_kernel _ZN7rocprim17ROCPRIM_400000_NS6detail17trampoline_kernelINS0_14default_configENS1_20scan_config_selectorIfEEZZNS1_9scan_implILNS1_25lookback_scan_determinismE0ELb1ELb1ES3_N6thrust23THRUST_200600_302600_NS6detail15normal_iteratorINS9_10device_ptrIfEEEESE_fNS9_4plusIvEEfEEDaPvRmT3_T4_T5_mT6_P12ihipStream_tbENKUlT_T0_E_clISt17integral_constantIbLb0EEST_IbLb1EEEEDaSP_SQ_EUlSP_E_NS1_11comp_targetILNS1_3genE10ELNS1_11target_archE1200ELNS1_3gpuE4ELNS1_3repE0EEENS1_30default_config_static_selectorELNS0_4arch9wavefront6targetE1EEEvT1_
		.amdhsa_group_segment_fixed_size 0
		.amdhsa_private_segment_fixed_size 0
		.amdhsa_kernarg_size 96
		.amdhsa_user_sgpr_count 6
		.amdhsa_user_sgpr_private_segment_buffer 1
		.amdhsa_user_sgpr_dispatch_ptr 0
		.amdhsa_user_sgpr_queue_ptr 0
		.amdhsa_user_sgpr_kernarg_segment_ptr 1
		.amdhsa_user_sgpr_dispatch_id 0
		.amdhsa_user_sgpr_flat_scratch_init 0
		.amdhsa_user_sgpr_kernarg_preload_length 0
		.amdhsa_user_sgpr_kernarg_preload_offset 0
		.amdhsa_user_sgpr_private_segment_size 0
		.amdhsa_uses_dynamic_stack 0
		.amdhsa_system_sgpr_private_segment_wavefront_offset 0
		.amdhsa_system_sgpr_workgroup_id_x 1
		.amdhsa_system_sgpr_workgroup_id_y 0
		.amdhsa_system_sgpr_workgroup_id_z 0
		.amdhsa_system_sgpr_workgroup_info 0
		.amdhsa_system_vgpr_workitem_id 0
		.amdhsa_next_free_vgpr 1
		.amdhsa_next_free_sgpr 0
		.amdhsa_accum_offset 4
		.amdhsa_reserve_vcc 0
		.amdhsa_reserve_flat_scratch 0
		.amdhsa_float_round_mode_32 0
		.amdhsa_float_round_mode_16_64 0
		.amdhsa_float_denorm_mode_32 3
		.amdhsa_float_denorm_mode_16_64 3
		.amdhsa_dx10_clamp 1
		.amdhsa_ieee_mode 1
		.amdhsa_fp16_overflow 0
		.amdhsa_tg_split 0
		.amdhsa_exception_fp_ieee_invalid_op 0
		.amdhsa_exception_fp_denorm_src 0
		.amdhsa_exception_fp_ieee_div_zero 0
		.amdhsa_exception_fp_ieee_overflow 0
		.amdhsa_exception_fp_ieee_underflow 0
		.amdhsa_exception_fp_ieee_inexact 0
		.amdhsa_exception_int_div_zero 0
	.end_amdhsa_kernel
	.section	.text._ZN7rocprim17ROCPRIM_400000_NS6detail17trampoline_kernelINS0_14default_configENS1_20scan_config_selectorIfEEZZNS1_9scan_implILNS1_25lookback_scan_determinismE0ELb1ELb1ES3_N6thrust23THRUST_200600_302600_NS6detail15normal_iteratorINS9_10device_ptrIfEEEESE_fNS9_4plusIvEEfEEDaPvRmT3_T4_T5_mT6_P12ihipStream_tbENKUlT_T0_E_clISt17integral_constantIbLb0EEST_IbLb1EEEEDaSP_SQ_EUlSP_E_NS1_11comp_targetILNS1_3genE10ELNS1_11target_archE1200ELNS1_3gpuE4ELNS1_3repE0EEENS1_30default_config_static_selectorELNS0_4arch9wavefront6targetE1EEEvT1_,"axG",@progbits,_ZN7rocprim17ROCPRIM_400000_NS6detail17trampoline_kernelINS0_14default_configENS1_20scan_config_selectorIfEEZZNS1_9scan_implILNS1_25lookback_scan_determinismE0ELb1ELb1ES3_N6thrust23THRUST_200600_302600_NS6detail15normal_iteratorINS9_10device_ptrIfEEEESE_fNS9_4plusIvEEfEEDaPvRmT3_T4_T5_mT6_P12ihipStream_tbENKUlT_T0_E_clISt17integral_constantIbLb0EEST_IbLb1EEEEDaSP_SQ_EUlSP_E_NS1_11comp_targetILNS1_3genE10ELNS1_11target_archE1200ELNS1_3gpuE4ELNS1_3repE0EEENS1_30default_config_static_selectorELNS0_4arch9wavefront6targetE1EEEvT1_,comdat
.Lfunc_end4418:
	.size	_ZN7rocprim17ROCPRIM_400000_NS6detail17trampoline_kernelINS0_14default_configENS1_20scan_config_selectorIfEEZZNS1_9scan_implILNS1_25lookback_scan_determinismE0ELb1ELb1ES3_N6thrust23THRUST_200600_302600_NS6detail15normal_iteratorINS9_10device_ptrIfEEEESE_fNS9_4plusIvEEfEEDaPvRmT3_T4_T5_mT6_P12ihipStream_tbENKUlT_T0_E_clISt17integral_constantIbLb0EEST_IbLb1EEEEDaSP_SQ_EUlSP_E_NS1_11comp_targetILNS1_3genE10ELNS1_11target_archE1200ELNS1_3gpuE4ELNS1_3repE0EEENS1_30default_config_static_selectorELNS0_4arch9wavefront6targetE1EEEvT1_, .Lfunc_end4418-_ZN7rocprim17ROCPRIM_400000_NS6detail17trampoline_kernelINS0_14default_configENS1_20scan_config_selectorIfEEZZNS1_9scan_implILNS1_25lookback_scan_determinismE0ELb1ELb1ES3_N6thrust23THRUST_200600_302600_NS6detail15normal_iteratorINS9_10device_ptrIfEEEESE_fNS9_4plusIvEEfEEDaPvRmT3_T4_T5_mT6_P12ihipStream_tbENKUlT_T0_E_clISt17integral_constantIbLb0EEST_IbLb1EEEEDaSP_SQ_EUlSP_E_NS1_11comp_targetILNS1_3genE10ELNS1_11target_archE1200ELNS1_3gpuE4ELNS1_3repE0EEENS1_30default_config_static_selectorELNS0_4arch9wavefront6targetE1EEEvT1_
                                        ; -- End function
	.section	.AMDGPU.csdata,"",@progbits
; Kernel info:
; codeLenInByte = 0
; NumSgprs: 4
; NumVgprs: 0
; NumAgprs: 0
; TotalNumVgprs: 0
; ScratchSize: 0
; MemoryBound: 0
; FloatMode: 240
; IeeeMode: 1
; LDSByteSize: 0 bytes/workgroup (compile time only)
; SGPRBlocks: 0
; VGPRBlocks: 0
; NumSGPRsForWavesPerEU: 4
; NumVGPRsForWavesPerEU: 1
; AccumOffset: 4
; Occupancy: 8
; WaveLimiterHint : 0
; COMPUTE_PGM_RSRC2:SCRATCH_EN: 0
; COMPUTE_PGM_RSRC2:USER_SGPR: 6
; COMPUTE_PGM_RSRC2:TRAP_HANDLER: 0
; COMPUTE_PGM_RSRC2:TGID_X_EN: 1
; COMPUTE_PGM_RSRC2:TGID_Y_EN: 0
; COMPUTE_PGM_RSRC2:TGID_Z_EN: 0
; COMPUTE_PGM_RSRC2:TIDIG_COMP_CNT: 0
; COMPUTE_PGM_RSRC3_GFX90A:ACCUM_OFFSET: 0
; COMPUTE_PGM_RSRC3_GFX90A:TG_SPLIT: 0
	.section	.text._ZN7rocprim17ROCPRIM_400000_NS6detail17trampoline_kernelINS0_14default_configENS1_20scan_config_selectorIfEEZZNS1_9scan_implILNS1_25lookback_scan_determinismE0ELb1ELb1ES3_N6thrust23THRUST_200600_302600_NS6detail15normal_iteratorINS9_10device_ptrIfEEEESE_fNS9_4plusIvEEfEEDaPvRmT3_T4_T5_mT6_P12ihipStream_tbENKUlT_T0_E_clISt17integral_constantIbLb0EEST_IbLb1EEEEDaSP_SQ_EUlSP_E_NS1_11comp_targetILNS1_3genE9ELNS1_11target_archE1100ELNS1_3gpuE3ELNS1_3repE0EEENS1_30default_config_static_selectorELNS0_4arch9wavefront6targetE1EEEvT1_,"axG",@progbits,_ZN7rocprim17ROCPRIM_400000_NS6detail17trampoline_kernelINS0_14default_configENS1_20scan_config_selectorIfEEZZNS1_9scan_implILNS1_25lookback_scan_determinismE0ELb1ELb1ES3_N6thrust23THRUST_200600_302600_NS6detail15normal_iteratorINS9_10device_ptrIfEEEESE_fNS9_4plusIvEEfEEDaPvRmT3_T4_T5_mT6_P12ihipStream_tbENKUlT_T0_E_clISt17integral_constantIbLb0EEST_IbLb1EEEEDaSP_SQ_EUlSP_E_NS1_11comp_targetILNS1_3genE9ELNS1_11target_archE1100ELNS1_3gpuE3ELNS1_3repE0EEENS1_30default_config_static_selectorELNS0_4arch9wavefront6targetE1EEEvT1_,comdat
	.protected	_ZN7rocprim17ROCPRIM_400000_NS6detail17trampoline_kernelINS0_14default_configENS1_20scan_config_selectorIfEEZZNS1_9scan_implILNS1_25lookback_scan_determinismE0ELb1ELb1ES3_N6thrust23THRUST_200600_302600_NS6detail15normal_iteratorINS9_10device_ptrIfEEEESE_fNS9_4plusIvEEfEEDaPvRmT3_T4_T5_mT6_P12ihipStream_tbENKUlT_T0_E_clISt17integral_constantIbLb0EEST_IbLb1EEEEDaSP_SQ_EUlSP_E_NS1_11comp_targetILNS1_3genE9ELNS1_11target_archE1100ELNS1_3gpuE3ELNS1_3repE0EEENS1_30default_config_static_selectorELNS0_4arch9wavefront6targetE1EEEvT1_ ; -- Begin function _ZN7rocprim17ROCPRIM_400000_NS6detail17trampoline_kernelINS0_14default_configENS1_20scan_config_selectorIfEEZZNS1_9scan_implILNS1_25lookback_scan_determinismE0ELb1ELb1ES3_N6thrust23THRUST_200600_302600_NS6detail15normal_iteratorINS9_10device_ptrIfEEEESE_fNS9_4plusIvEEfEEDaPvRmT3_T4_T5_mT6_P12ihipStream_tbENKUlT_T0_E_clISt17integral_constantIbLb0EEST_IbLb1EEEEDaSP_SQ_EUlSP_E_NS1_11comp_targetILNS1_3genE9ELNS1_11target_archE1100ELNS1_3gpuE3ELNS1_3repE0EEENS1_30default_config_static_selectorELNS0_4arch9wavefront6targetE1EEEvT1_
	.globl	_ZN7rocprim17ROCPRIM_400000_NS6detail17trampoline_kernelINS0_14default_configENS1_20scan_config_selectorIfEEZZNS1_9scan_implILNS1_25lookback_scan_determinismE0ELb1ELb1ES3_N6thrust23THRUST_200600_302600_NS6detail15normal_iteratorINS9_10device_ptrIfEEEESE_fNS9_4plusIvEEfEEDaPvRmT3_T4_T5_mT6_P12ihipStream_tbENKUlT_T0_E_clISt17integral_constantIbLb0EEST_IbLb1EEEEDaSP_SQ_EUlSP_E_NS1_11comp_targetILNS1_3genE9ELNS1_11target_archE1100ELNS1_3gpuE3ELNS1_3repE0EEENS1_30default_config_static_selectorELNS0_4arch9wavefront6targetE1EEEvT1_
	.p2align	8
	.type	_ZN7rocprim17ROCPRIM_400000_NS6detail17trampoline_kernelINS0_14default_configENS1_20scan_config_selectorIfEEZZNS1_9scan_implILNS1_25lookback_scan_determinismE0ELb1ELb1ES3_N6thrust23THRUST_200600_302600_NS6detail15normal_iteratorINS9_10device_ptrIfEEEESE_fNS9_4plusIvEEfEEDaPvRmT3_T4_T5_mT6_P12ihipStream_tbENKUlT_T0_E_clISt17integral_constantIbLb0EEST_IbLb1EEEEDaSP_SQ_EUlSP_E_NS1_11comp_targetILNS1_3genE9ELNS1_11target_archE1100ELNS1_3gpuE3ELNS1_3repE0EEENS1_30default_config_static_selectorELNS0_4arch9wavefront6targetE1EEEvT1_,@function
_ZN7rocprim17ROCPRIM_400000_NS6detail17trampoline_kernelINS0_14default_configENS1_20scan_config_selectorIfEEZZNS1_9scan_implILNS1_25lookback_scan_determinismE0ELb1ELb1ES3_N6thrust23THRUST_200600_302600_NS6detail15normal_iteratorINS9_10device_ptrIfEEEESE_fNS9_4plusIvEEfEEDaPvRmT3_T4_T5_mT6_P12ihipStream_tbENKUlT_T0_E_clISt17integral_constantIbLb0EEST_IbLb1EEEEDaSP_SQ_EUlSP_E_NS1_11comp_targetILNS1_3genE9ELNS1_11target_archE1100ELNS1_3gpuE3ELNS1_3repE0EEENS1_30default_config_static_selectorELNS0_4arch9wavefront6targetE1EEEvT1_: ; @_ZN7rocprim17ROCPRIM_400000_NS6detail17trampoline_kernelINS0_14default_configENS1_20scan_config_selectorIfEEZZNS1_9scan_implILNS1_25lookback_scan_determinismE0ELb1ELb1ES3_N6thrust23THRUST_200600_302600_NS6detail15normal_iteratorINS9_10device_ptrIfEEEESE_fNS9_4plusIvEEfEEDaPvRmT3_T4_T5_mT6_P12ihipStream_tbENKUlT_T0_E_clISt17integral_constantIbLb0EEST_IbLb1EEEEDaSP_SQ_EUlSP_E_NS1_11comp_targetILNS1_3genE9ELNS1_11target_archE1100ELNS1_3gpuE3ELNS1_3repE0EEENS1_30default_config_static_selectorELNS0_4arch9wavefront6targetE1EEEvT1_
; %bb.0:
	.section	.rodata,"a",@progbits
	.p2align	6, 0x0
	.amdhsa_kernel _ZN7rocprim17ROCPRIM_400000_NS6detail17trampoline_kernelINS0_14default_configENS1_20scan_config_selectorIfEEZZNS1_9scan_implILNS1_25lookback_scan_determinismE0ELb1ELb1ES3_N6thrust23THRUST_200600_302600_NS6detail15normal_iteratorINS9_10device_ptrIfEEEESE_fNS9_4plusIvEEfEEDaPvRmT3_T4_T5_mT6_P12ihipStream_tbENKUlT_T0_E_clISt17integral_constantIbLb0EEST_IbLb1EEEEDaSP_SQ_EUlSP_E_NS1_11comp_targetILNS1_3genE9ELNS1_11target_archE1100ELNS1_3gpuE3ELNS1_3repE0EEENS1_30default_config_static_selectorELNS0_4arch9wavefront6targetE1EEEvT1_
		.amdhsa_group_segment_fixed_size 0
		.amdhsa_private_segment_fixed_size 0
		.amdhsa_kernarg_size 96
		.amdhsa_user_sgpr_count 6
		.amdhsa_user_sgpr_private_segment_buffer 1
		.amdhsa_user_sgpr_dispatch_ptr 0
		.amdhsa_user_sgpr_queue_ptr 0
		.amdhsa_user_sgpr_kernarg_segment_ptr 1
		.amdhsa_user_sgpr_dispatch_id 0
		.amdhsa_user_sgpr_flat_scratch_init 0
		.amdhsa_user_sgpr_kernarg_preload_length 0
		.amdhsa_user_sgpr_kernarg_preload_offset 0
		.amdhsa_user_sgpr_private_segment_size 0
		.amdhsa_uses_dynamic_stack 0
		.amdhsa_system_sgpr_private_segment_wavefront_offset 0
		.amdhsa_system_sgpr_workgroup_id_x 1
		.amdhsa_system_sgpr_workgroup_id_y 0
		.amdhsa_system_sgpr_workgroup_id_z 0
		.amdhsa_system_sgpr_workgroup_info 0
		.amdhsa_system_vgpr_workitem_id 0
		.amdhsa_next_free_vgpr 1
		.amdhsa_next_free_sgpr 0
		.amdhsa_accum_offset 4
		.amdhsa_reserve_vcc 0
		.amdhsa_reserve_flat_scratch 0
		.amdhsa_float_round_mode_32 0
		.amdhsa_float_round_mode_16_64 0
		.amdhsa_float_denorm_mode_32 3
		.amdhsa_float_denorm_mode_16_64 3
		.amdhsa_dx10_clamp 1
		.amdhsa_ieee_mode 1
		.amdhsa_fp16_overflow 0
		.amdhsa_tg_split 0
		.amdhsa_exception_fp_ieee_invalid_op 0
		.amdhsa_exception_fp_denorm_src 0
		.amdhsa_exception_fp_ieee_div_zero 0
		.amdhsa_exception_fp_ieee_overflow 0
		.amdhsa_exception_fp_ieee_underflow 0
		.amdhsa_exception_fp_ieee_inexact 0
		.amdhsa_exception_int_div_zero 0
	.end_amdhsa_kernel
	.section	.text._ZN7rocprim17ROCPRIM_400000_NS6detail17trampoline_kernelINS0_14default_configENS1_20scan_config_selectorIfEEZZNS1_9scan_implILNS1_25lookback_scan_determinismE0ELb1ELb1ES3_N6thrust23THRUST_200600_302600_NS6detail15normal_iteratorINS9_10device_ptrIfEEEESE_fNS9_4plusIvEEfEEDaPvRmT3_T4_T5_mT6_P12ihipStream_tbENKUlT_T0_E_clISt17integral_constantIbLb0EEST_IbLb1EEEEDaSP_SQ_EUlSP_E_NS1_11comp_targetILNS1_3genE9ELNS1_11target_archE1100ELNS1_3gpuE3ELNS1_3repE0EEENS1_30default_config_static_selectorELNS0_4arch9wavefront6targetE1EEEvT1_,"axG",@progbits,_ZN7rocprim17ROCPRIM_400000_NS6detail17trampoline_kernelINS0_14default_configENS1_20scan_config_selectorIfEEZZNS1_9scan_implILNS1_25lookback_scan_determinismE0ELb1ELb1ES3_N6thrust23THRUST_200600_302600_NS6detail15normal_iteratorINS9_10device_ptrIfEEEESE_fNS9_4plusIvEEfEEDaPvRmT3_T4_T5_mT6_P12ihipStream_tbENKUlT_T0_E_clISt17integral_constantIbLb0EEST_IbLb1EEEEDaSP_SQ_EUlSP_E_NS1_11comp_targetILNS1_3genE9ELNS1_11target_archE1100ELNS1_3gpuE3ELNS1_3repE0EEENS1_30default_config_static_selectorELNS0_4arch9wavefront6targetE1EEEvT1_,comdat
.Lfunc_end4419:
	.size	_ZN7rocprim17ROCPRIM_400000_NS6detail17trampoline_kernelINS0_14default_configENS1_20scan_config_selectorIfEEZZNS1_9scan_implILNS1_25lookback_scan_determinismE0ELb1ELb1ES3_N6thrust23THRUST_200600_302600_NS6detail15normal_iteratorINS9_10device_ptrIfEEEESE_fNS9_4plusIvEEfEEDaPvRmT3_T4_T5_mT6_P12ihipStream_tbENKUlT_T0_E_clISt17integral_constantIbLb0EEST_IbLb1EEEEDaSP_SQ_EUlSP_E_NS1_11comp_targetILNS1_3genE9ELNS1_11target_archE1100ELNS1_3gpuE3ELNS1_3repE0EEENS1_30default_config_static_selectorELNS0_4arch9wavefront6targetE1EEEvT1_, .Lfunc_end4419-_ZN7rocprim17ROCPRIM_400000_NS6detail17trampoline_kernelINS0_14default_configENS1_20scan_config_selectorIfEEZZNS1_9scan_implILNS1_25lookback_scan_determinismE0ELb1ELb1ES3_N6thrust23THRUST_200600_302600_NS6detail15normal_iteratorINS9_10device_ptrIfEEEESE_fNS9_4plusIvEEfEEDaPvRmT3_T4_T5_mT6_P12ihipStream_tbENKUlT_T0_E_clISt17integral_constantIbLb0EEST_IbLb1EEEEDaSP_SQ_EUlSP_E_NS1_11comp_targetILNS1_3genE9ELNS1_11target_archE1100ELNS1_3gpuE3ELNS1_3repE0EEENS1_30default_config_static_selectorELNS0_4arch9wavefront6targetE1EEEvT1_
                                        ; -- End function
	.section	.AMDGPU.csdata,"",@progbits
; Kernel info:
; codeLenInByte = 0
; NumSgprs: 4
; NumVgprs: 0
; NumAgprs: 0
; TotalNumVgprs: 0
; ScratchSize: 0
; MemoryBound: 0
; FloatMode: 240
; IeeeMode: 1
; LDSByteSize: 0 bytes/workgroup (compile time only)
; SGPRBlocks: 0
; VGPRBlocks: 0
; NumSGPRsForWavesPerEU: 4
; NumVGPRsForWavesPerEU: 1
; AccumOffset: 4
; Occupancy: 8
; WaveLimiterHint : 0
; COMPUTE_PGM_RSRC2:SCRATCH_EN: 0
; COMPUTE_PGM_RSRC2:USER_SGPR: 6
; COMPUTE_PGM_RSRC2:TRAP_HANDLER: 0
; COMPUTE_PGM_RSRC2:TGID_X_EN: 1
; COMPUTE_PGM_RSRC2:TGID_Y_EN: 0
; COMPUTE_PGM_RSRC2:TGID_Z_EN: 0
; COMPUTE_PGM_RSRC2:TIDIG_COMP_CNT: 0
; COMPUTE_PGM_RSRC3_GFX90A:ACCUM_OFFSET: 0
; COMPUTE_PGM_RSRC3_GFX90A:TG_SPLIT: 0
	.section	.text._ZN7rocprim17ROCPRIM_400000_NS6detail17trampoline_kernelINS0_14default_configENS1_20scan_config_selectorIfEEZZNS1_9scan_implILNS1_25lookback_scan_determinismE0ELb1ELb1ES3_N6thrust23THRUST_200600_302600_NS6detail15normal_iteratorINS9_10device_ptrIfEEEESE_fNS9_4plusIvEEfEEDaPvRmT3_T4_T5_mT6_P12ihipStream_tbENKUlT_T0_E_clISt17integral_constantIbLb0EEST_IbLb1EEEEDaSP_SQ_EUlSP_E_NS1_11comp_targetILNS1_3genE8ELNS1_11target_archE1030ELNS1_3gpuE2ELNS1_3repE0EEENS1_30default_config_static_selectorELNS0_4arch9wavefront6targetE1EEEvT1_,"axG",@progbits,_ZN7rocprim17ROCPRIM_400000_NS6detail17trampoline_kernelINS0_14default_configENS1_20scan_config_selectorIfEEZZNS1_9scan_implILNS1_25lookback_scan_determinismE0ELb1ELb1ES3_N6thrust23THRUST_200600_302600_NS6detail15normal_iteratorINS9_10device_ptrIfEEEESE_fNS9_4plusIvEEfEEDaPvRmT3_T4_T5_mT6_P12ihipStream_tbENKUlT_T0_E_clISt17integral_constantIbLb0EEST_IbLb1EEEEDaSP_SQ_EUlSP_E_NS1_11comp_targetILNS1_3genE8ELNS1_11target_archE1030ELNS1_3gpuE2ELNS1_3repE0EEENS1_30default_config_static_selectorELNS0_4arch9wavefront6targetE1EEEvT1_,comdat
	.protected	_ZN7rocprim17ROCPRIM_400000_NS6detail17trampoline_kernelINS0_14default_configENS1_20scan_config_selectorIfEEZZNS1_9scan_implILNS1_25lookback_scan_determinismE0ELb1ELb1ES3_N6thrust23THRUST_200600_302600_NS6detail15normal_iteratorINS9_10device_ptrIfEEEESE_fNS9_4plusIvEEfEEDaPvRmT3_T4_T5_mT6_P12ihipStream_tbENKUlT_T0_E_clISt17integral_constantIbLb0EEST_IbLb1EEEEDaSP_SQ_EUlSP_E_NS1_11comp_targetILNS1_3genE8ELNS1_11target_archE1030ELNS1_3gpuE2ELNS1_3repE0EEENS1_30default_config_static_selectorELNS0_4arch9wavefront6targetE1EEEvT1_ ; -- Begin function _ZN7rocprim17ROCPRIM_400000_NS6detail17trampoline_kernelINS0_14default_configENS1_20scan_config_selectorIfEEZZNS1_9scan_implILNS1_25lookback_scan_determinismE0ELb1ELb1ES3_N6thrust23THRUST_200600_302600_NS6detail15normal_iteratorINS9_10device_ptrIfEEEESE_fNS9_4plusIvEEfEEDaPvRmT3_T4_T5_mT6_P12ihipStream_tbENKUlT_T0_E_clISt17integral_constantIbLb0EEST_IbLb1EEEEDaSP_SQ_EUlSP_E_NS1_11comp_targetILNS1_3genE8ELNS1_11target_archE1030ELNS1_3gpuE2ELNS1_3repE0EEENS1_30default_config_static_selectorELNS0_4arch9wavefront6targetE1EEEvT1_
	.globl	_ZN7rocprim17ROCPRIM_400000_NS6detail17trampoline_kernelINS0_14default_configENS1_20scan_config_selectorIfEEZZNS1_9scan_implILNS1_25lookback_scan_determinismE0ELb1ELb1ES3_N6thrust23THRUST_200600_302600_NS6detail15normal_iteratorINS9_10device_ptrIfEEEESE_fNS9_4plusIvEEfEEDaPvRmT3_T4_T5_mT6_P12ihipStream_tbENKUlT_T0_E_clISt17integral_constantIbLb0EEST_IbLb1EEEEDaSP_SQ_EUlSP_E_NS1_11comp_targetILNS1_3genE8ELNS1_11target_archE1030ELNS1_3gpuE2ELNS1_3repE0EEENS1_30default_config_static_selectorELNS0_4arch9wavefront6targetE1EEEvT1_
	.p2align	8
	.type	_ZN7rocprim17ROCPRIM_400000_NS6detail17trampoline_kernelINS0_14default_configENS1_20scan_config_selectorIfEEZZNS1_9scan_implILNS1_25lookback_scan_determinismE0ELb1ELb1ES3_N6thrust23THRUST_200600_302600_NS6detail15normal_iteratorINS9_10device_ptrIfEEEESE_fNS9_4plusIvEEfEEDaPvRmT3_T4_T5_mT6_P12ihipStream_tbENKUlT_T0_E_clISt17integral_constantIbLb0EEST_IbLb1EEEEDaSP_SQ_EUlSP_E_NS1_11comp_targetILNS1_3genE8ELNS1_11target_archE1030ELNS1_3gpuE2ELNS1_3repE0EEENS1_30default_config_static_selectorELNS0_4arch9wavefront6targetE1EEEvT1_,@function
_ZN7rocprim17ROCPRIM_400000_NS6detail17trampoline_kernelINS0_14default_configENS1_20scan_config_selectorIfEEZZNS1_9scan_implILNS1_25lookback_scan_determinismE0ELb1ELb1ES3_N6thrust23THRUST_200600_302600_NS6detail15normal_iteratorINS9_10device_ptrIfEEEESE_fNS9_4plusIvEEfEEDaPvRmT3_T4_T5_mT6_P12ihipStream_tbENKUlT_T0_E_clISt17integral_constantIbLb0EEST_IbLb1EEEEDaSP_SQ_EUlSP_E_NS1_11comp_targetILNS1_3genE8ELNS1_11target_archE1030ELNS1_3gpuE2ELNS1_3repE0EEENS1_30default_config_static_selectorELNS0_4arch9wavefront6targetE1EEEvT1_: ; @_ZN7rocprim17ROCPRIM_400000_NS6detail17trampoline_kernelINS0_14default_configENS1_20scan_config_selectorIfEEZZNS1_9scan_implILNS1_25lookback_scan_determinismE0ELb1ELb1ES3_N6thrust23THRUST_200600_302600_NS6detail15normal_iteratorINS9_10device_ptrIfEEEESE_fNS9_4plusIvEEfEEDaPvRmT3_T4_T5_mT6_P12ihipStream_tbENKUlT_T0_E_clISt17integral_constantIbLb0EEST_IbLb1EEEEDaSP_SQ_EUlSP_E_NS1_11comp_targetILNS1_3genE8ELNS1_11target_archE1030ELNS1_3gpuE2ELNS1_3repE0EEENS1_30default_config_static_selectorELNS0_4arch9wavefront6targetE1EEEvT1_
; %bb.0:
	.section	.rodata,"a",@progbits
	.p2align	6, 0x0
	.amdhsa_kernel _ZN7rocprim17ROCPRIM_400000_NS6detail17trampoline_kernelINS0_14default_configENS1_20scan_config_selectorIfEEZZNS1_9scan_implILNS1_25lookback_scan_determinismE0ELb1ELb1ES3_N6thrust23THRUST_200600_302600_NS6detail15normal_iteratorINS9_10device_ptrIfEEEESE_fNS9_4plusIvEEfEEDaPvRmT3_T4_T5_mT6_P12ihipStream_tbENKUlT_T0_E_clISt17integral_constantIbLb0EEST_IbLb1EEEEDaSP_SQ_EUlSP_E_NS1_11comp_targetILNS1_3genE8ELNS1_11target_archE1030ELNS1_3gpuE2ELNS1_3repE0EEENS1_30default_config_static_selectorELNS0_4arch9wavefront6targetE1EEEvT1_
		.amdhsa_group_segment_fixed_size 0
		.amdhsa_private_segment_fixed_size 0
		.amdhsa_kernarg_size 96
		.amdhsa_user_sgpr_count 6
		.amdhsa_user_sgpr_private_segment_buffer 1
		.amdhsa_user_sgpr_dispatch_ptr 0
		.amdhsa_user_sgpr_queue_ptr 0
		.amdhsa_user_sgpr_kernarg_segment_ptr 1
		.amdhsa_user_sgpr_dispatch_id 0
		.amdhsa_user_sgpr_flat_scratch_init 0
		.amdhsa_user_sgpr_kernarg_preload_length 0
		.amdhsa_user_sgpr_kernarg_preload_offset 0
		.amdhsa_user_sgpr_private_segment_size 0
		.amdhsa_uses_dynamic_stack 0
		.amdhsa_system_sgpr_private_segment_wavefront_offset 0
		.amdhsa_system_sgpr_workgroup_id_x 1
		.amdhsa_system_sgpr_workgroup_id_y 0
		.amdhsa_system_sgpr_workgroup_id_z 0
		.amdhsa_system_sgpr_workgroup_info 0
		.amdhsa_system_vgpr_workitem_id 0
		.amdhsa_next_free_vgpr 1
		.amdhsa_next_free_sgpr 0
		.amdhsa_accum_offset 4
		.amdhsa_reserve_vcc 0
		.amdhsa_reserve_flat_scratch 0
		.amdhsa_float_round_mode_32 0
		.amdhsa_float_round_mode_16_64 0
		.amdhsa_float_denorm_mode_32 3
		.amdhsa_float_denorm_mode_16_64 3
		.amdhsa_dx10_clamp 1
		.amdhsa_ieee_mode 1
		.amdhsa_fp16_overflow 0
		.amdhsa_tg_split 0
		.amdhsa_exception_fp_ieee_invalid_op 0
		.amdhsa_exception_fp_denorm_src 0
		.amdhsa_exception_fp_ieee_div_zero 0
		.amdhsa_exception_fp_ieee_overflow 0
		.amdhsa_exception_fp_ieee_underflow 0
		.amdhsa_exception_fp_ieee_inexact 0
		.amdhsa_exception_int_div_zero 0
	.end_amdhsa_kernel
	.section	.text._ZN7rocprim17ROCPRIM_400000_NS6detail17trampoline_kernelINS0_14default_configENS1_20scan_config_selectorIfEEZZNS1_9scan_implILNS1_25lookback_scan_determinismE0ELb1ELb1ES3_N6thrust23THRUST_200600_302600_NS6detail15normal_iteratorINS9_10device_ptrIfEEEESE_fNS9_4plusIvEEfEEDaPvRmT3_T4_T5_mT6_P12ihipStream_tbENKUlT_T0_E_clISt17integral_constantIbLb0EEST_IbLb1EEEEDaSP_SQ_EUlSP_E_NS1_11comp_targetILNS1_3genE8ELNS1_11target_archE1030ELNS1_3gpuE2ELNS1_3repE0EEENS1_30default_config_static_selectorELNS0_4arch9wavefront6targetE1EEEvT1_,"axG",@progbits,_ZN7rocprim17ROCPRIM_400000_NS6detail17trampoline_kernelINS0_14default_configENS1_20scan_config_selectorIfEEZZNS1_9scan_implILNS1_25lookback_scan_determinismE0ELb1ELb1ES3_N6thrust23THRUST_200600_302600_NS6detail15normal_iteratorINS9_10device_ptrIfEEEESE_fNS9_4plusIvEEfEEDaPvRmT3_T4_T5_mT6_P12ihipStream_tbENKUlT_T0_E_clISt17integral_constantIbLb0EEST_IbLb1EEEEDaSP_SQ_EUlSP_E_NS1_11comp_targetILNS1_3genE8ELNS1_11target_archE1030ELNS1_3gpuE2ELNS1_3repE0EEENS1_30default_config_static_selectorELNS0_4arch9wavefront6targetE1EEEvT1_,comdat
.Lfunc_end4420:
	.size	_ZN7rocprim17ROCPRIM_400000_NS6detail17trampoline_kernelINS0_14default_configENS1_20scan_config_selectorIfEEZZNS1_9scan_implILNS1_25lookback_scan_determinismE0ELb1ELb1ES3_N6thrust23THRUST_200600_302600_NS6detail15normal_iteratorINS9_10device_ptrIfEEEESE_fNS9_4plusIvEEfEEDaPvRmT3_T4_T5_mT6_P12ihipStream_tbENKUlT_T0_E_clISt17integral_constantIbLb0EEST_IbLb1EEEEDaSP_SQ_EUlSP_E_NS1_11comp_targetILNS1_3genE8ELNS1_11target_archE1030ELNS1_3gpuE2ELNS1_3repE0EEENS1_30default_config_static_selectorELNS0_4arch9wavefront6targetE1EEEvT1_, .Lfunc_end4420-_ZN7rocprim17ROCPRIM_400000_NS6detail17trampoline_kernelINS0_14default_configENS1_20scan_config_selectorIfEEZZNS1_9scan_implILNS1_25lookback_scan_determinismE0ELb1ELb1ES3_N6thrust23THRUST_200600_302600_NS6detail15normal_iteratorINS9_10device_ptrIfEEEESE_fNS9_4plusIvEEfEEDaPvRmT3_T4_T5_mT6_P12ihipStream_tbENKUlT_T0_E_clISt17integral_constantIbLb0EEST_IbLb1EEEEDaSP_SQ_EUlSP_E_NS1_11comp_targetILNS1_3genE8ELNS1_11target_archE1030ELNS1_3gpuE2ELNS1_3repE0EEENS1_30default_config_static_selectorELNS0_4arch9wavefront6targetE1EEEvT1_
                                        ; -- End function
	.section	.AMDGPU.csdata,"",@progbits
; Kernel info:
; codeLenInByte = 0
; NumSgprs: 4
; NumVgprs: 0
; NumAgprs: 0
; TotalNumVgprs: 0
; ScratchSize: 0
; MemoryBound: 0
; FloatMode: 240
; IeeeMode: 1
; LDSByteSize: 0 bytes/workgroup (compile time only)
; SGPRBlocks: 0
; VGPRBlocks: 0
; NumSGPRsForWavesPerEU: 4
; NumVGPRsForWavesPerEU: 1
; AccumOffset: 4
; Occupancy: 8
; WaveLimiterHint : 0
; COMPUTE_PGM_RSRC2:SCRATCH_EN: 0
; COMPUTE_PGM_RSRC2:USER_SGPR: 6
; COMPUTE_PGM_RSRC2:TRAP_HANDLER: 0
; COMPUTE_PGM_RSRC2:TGID_X_EN: 1
; COMPUTE_PGM_RSRC2:TGID_Y_EN: 0
; COMPUTE_PGM_RSRC2:TGID_Z_EN: 0
; COMPUTE_PGM_RSRC2:TIDIG_COMP_CNT: 0
; COMPUTE_PGM_RSRC3_GFX90A:ACCUM_OFFSET: 0
; COMPUTE_PGM_RSRC3_GFX90A:TG_SPLIT: 0
	.section	.text._ZN7rocprim17ROCPRIM_400000_NS6detail17trampoline_kernelINS0_14default_configENS1_20scan_config_selectorIfEEZZNS1_9scan_implILNS1_25lookback_scan_determinismE0ELb1ELb1ES3_N6thrust23THRUST_200600_302600_NS6detail15normal_iteratorINS9_10device_ptrIfEEEESE_fNS9_4plusIvEEfEEDaPvRmT3_T4_T5_mT6_P12ihipStream_tbENKUlT_T0_E_clISt17integral_constantIbLb0EEST_IbLb1EEEEDaSP_SQ_EUlSP_E0_NS1_11comp_targetILNS1_3genE0ELNS1_11target_archE4294967295ELNS1_3gpuE0ELNS1_3repE0EEENS1_30default_config_static_selectorELNS0_4arch9wavefront6targetE1EEEvT1_,"axG",@progbits,_ZN7rocprim17ROCPRIM_400000_NS6detail17trampoline_kernelINS0_14default_configENS1_20scan_config_selectorIfEEZZNS1_9scan_implILNS1_25lookback_scan_determinismE0ELb1ELb1ES3_N6thrust23THRUST_200600_302600_NS6detail15normal_iteratorINS9_10device_ptrIfEEEESE_fNS9_4plusIvEEfEEDaPvRmT3_T4_T5_mT6_P12ihipStream_tbENKUlT_T0_E_clISt17integral_constantIbLb0EEST_IbLb1EEEEDaSP_SQ_EUlSP_E0_NS1_11comp_targetILNS1_3genE0ELNS1_11target_archE4294967295ELNS1_3gpuE0ELNS1_3repE0EEENS1_30default_config_static_selectorELNS0_4arch9wavefront6targetE1EEEvT1_,comdat
	.protected	_ZN7rocprim17ROCPRIM_400000_NS6detail17trampoline_kernelINS0_14default_configENS1_20scan_config_selectorIfEEZZNS1_9scan_implILNS1_25lookback_scan_determinismE0ELb1ELb1ES3_N6thrust23THRUST_200600_302600_NS6detail15normal_iteratorINS9_10device_ptrIfEEEESE_fNS9_4plusIvEEfEEDaPvRmT3_T4_T5_mT6_P12ihipStream_tbENKUlT_T0_E_clISt17integral_constantIbLb0EEST_IbLb1EEEEDaSP_SQ_EUlSP_E0_NS1_11comp_targetILNS1_3genE0ELNS1_11target_archE4294967295ELNS1_3gpuE0ELNS1_3repE0EEENS1_30default_config_static_selectorELNS0_4arch9wavefront6targetE1EEEvT1_ ; -- Begin function _ZN7rocprim17ROCPRIM_400000_NS6detail17trampoline_kernelINS0_14default_configENS1_20scan_config_selectorIfEEZZNS1_9scan_implILNS1_25lookback_scan_determinismE0ELb1ELb1ES3_N6thrust23THRUST_200600_302600_NS6detail15normal_iteratorINS9_10device_ptrIfEEEESE_fNS9_4plusIvEEfEEDaPvRmT3_T4_T5_mT6_P12ihipStream_tbENKUlT_T0_E_clISt17integral_constantIbLb0EEST_IbLb1EEEEDaSP_SQ_EUlSP_E0_NS1_11comp_targetILNS1_3genE0ELNS1_11target_archE4294967295ELNS1_3gpuE0ELNS1_3repE0EEENS1_30default_config_static_selectorELNS0_4arch9wavefront6targetE1EEEvT1_
	.globl	_ZN7rocprim17ROCPRIM_400000_NS6detail17trampoline_kernelINS0_14default_configENS1_20scan_config_selectorIfEEZZNS1_9scan_implILNS1_25lookback_scan_determinismE0ELb1ELb1ES3_N6thrust23THRUST_200600_302600_NS6detail15normal_iteratorINS9_10device_ptrIfEEEESE_fNS9_4plusIvEEfEEDaPvRmT3_T4_T5_mT6_P12ihipStream_tbENKUlT_T0_E_clISt17integral_constantIbLb0EEST_IbLb1EEEEDaSP_SQ_EUlSP_E0_NS1_11comp_targetILNS1_3genE0ELNS1_11target_archE4294967295ELNS1_3gpuE0ELNS1_3repE0EEENS1_30default_config_static_selectorELNS0_4arch9wavefront6targetE1EEEvT1_
	.p2align	8
	.type	_ZN7rocprim17ROCPRIM_400000_NS6detail17trampoline_kernelINS0_14default_configENS1_20scan_config_selectorIfEEZZNS1_9scan_implILNS1_25lookback_scan_determinismE0ELb1ELb1ES3_N6thrust23THRUST_200600_302600_NS6detail15normal_iteratorINS9_10device_ptrIfEEEESE_fNS9_4plusIvEEfEEDaPvRmT3_T4_T5_mT6_P12ihipStream_tbENKUlT_T0_E_clISt17integral_constantIbLb0EEST_IbLb1EEEEDaSP_SQ_EUlSP_E0_NS1_11comp_targetILNS1_3genE0ELNS1_11target_archE4294967295ELNS1_3gpuE0ELNS1_3repE0EEENS1_30default_config_static_selectorELNS0_4arch9wavefront6targetE1EEEvT1_,@function
_ZN7rocprim17ROCPRIM_400000_NS6detail17trampoline_kernelINS0_14default_configENS1_20scan_config_selectorIfEEZZNS1_9scan_implILNS1_25lookback_scan_determinismE0ELb1ELb1ES3_N6thrust23THRUST_200600_302600_NS6detail15normal_iteratorINS9_10device_ptrIfEEEESE_fNS9_4plusIvEEfEEDaPvRmT3_T4_T5_mT6_P12ihipStream_tbENKUlT_T0_E_clISt17integral_constantIbLb0EEST_IbLb1EEEEDaSP_SQ_EUlSP_E0_NS1_11comp_targetILNS1_3genE0ELNS1_11target_archE4294967295ELNS1_3gpuE0ELNS1_3repE0EEENS1_30default_config_static_selectorELNS0_4arch9wavefront6targetE1EEEvT1_: ; @_ZN7rocprim17ROCPRIM_400000_NS6detail17trampoline_kernelINS0_14default_configENS1_20scan_config_selectorIfEEZZNS1_9scan_implILNS1_25lookback_scan_determinismE0ELb1ELb1ES3_N6thrust23THRUST_200600_302600_NS6detail15normal_iteratorINS9_10device_ptrIfEEEESE_fNS9_4plusIvEEfEEDaPvRmT3_T4_T5_mT6_P12ihipStream_tbENKUlT_T0_E_clISt17integral_constantIbLb0EEST_IbLb1EEEEDaSP_SQ_EUlSP_E0_NS1_11comp_targetILNS1_3genE0ELNS1_11target_archE4294967295ELNS1_3gpuE0ELNS1_3repE0EEENS1_30default_config_static_selectorELNS0_4arch9wavefront6targetE1EEEvT1_
; %bb.0:
	.section	.rodata,"a",@progbits
	.p2align	6, 0x0
	.amdhsa_kernel _ZN7rocprim17ROCPRIM_400000_NS6detail17trampoline_kernelINS0_14default_configENS1_20scan_config_selectorIfEEZZNS1_9scan_implILNS1_25lookback_scan_determinismE0ELb1ELb1ES3_N6thrust23THRUST_200600_302600_NS6detail15normal_iteratorINS9_10device_ptrIfEEEESE_fNS9_4plusIvEEfEEDaPvRmT3_T4_T5_mT6_P12ihipStream_tbENKUlT_T0_E_clISt17integral_constantIbLb0EEST_IbLb1EEEEDaSP_SQ_EUlSP_E0_NS1_11comp_targetILNS1_3genE0ELNS1_11target_archE4294967295ELNS1_3gpuE0ELNS1_3repE0EEENS1_30default_config_static_selectorELNS0_4arch9wavefront6targetE1EEEvT1_
		.amdhsa_group_segment_fixed_size 0
		.amdhsa_private_segment_fixed_size 0
		.amdhsa_kernarg_size 32
		.amdhsa_user_sgpr_count 6
		.amdhsa_user_sgpr_private_segment_buffer 1
		.amdhsa_user_sgpr_dispatch_ptr 0
		.amdhsa_user_sgpr_queue_ptr 0
		.amdhsa_user_sgpr_kernarg_segment_ptr 1
		.amdhsa_user_sgpr_dispatch_id 0
		.amdhsa_user_sgpr_flat_scratch_init 0
		.amdhsa_user_sgpr_kernarg_preload_length 0
		.amdhsa_user_sgpr_kernarg_preload_offset 0
		.amdhsa_user_sgpr_private_segment_size 0
		.amdhsa_uses_dynamic_stack 0
		.amdhsa_system_sgpr_private_segment_wavefront_offset 0
		.amdhsa_system_sgpr_workgroup_id_x 1
		.amdhsa_system_sgpr_workgroup_id_y 0
		.amdhsa_system_sgpr_workgroup_id_z 0
		.amdhsa_system_sgpr_workgroup_info 0
		.amdhsa_system_vgpr_workitem_id 0
		.amdhsa_next_free_vgpr 1
		.amdhsa_next_free_sgpr 0
		.amdhsa_accum_offset 4
		.amdhsa_reserve_vcc 0
		.amdhsa_reserve_flat_scratch 0
		.amdhsa_float_round_mode_32 0
		.amdhsa_float_round_mode_16_64 0
		.amdhsa_float_denorm_mode_32 3
		.amdhsa_float_denorm_mode_16_64 3
		.amdhsa_dx10_clamp 1
		.amdhsa_ieee_mode 1
		.amdhsa_fp16_overflow 0
		.amdhsa_tg_split 0
		.amdhsa_exception_fp_ieee_invalid_op 0
		.amdhsa_exception_fp_denorm_src 0
		.amdhsa_exception_fp_ieee_div_zero 0
		.amdhsa_exception_fp_ieee_overflow 0
		.amdhsa_exception_fp_ieee_underflow 0
		.amdhsa_exception_fp_ieee_inexact 0
		.amdhsa_exception_int_div_zero 0
	.end_amdhsa_kernel
	.section	.text._ZN7rocprim17ROCPRIM_400000_NS6detail17trampoline_kernelINS0_14default_configENS1_20scan_config_selectorIfEEZZNS1_9scan_implILNS1_25lookback_scan_determinismE0ELb1ELb1ES3_N6thrust23THRUST_200600_302600_NS6detail15normal_iteratorINS9_10device_ptrIfEEEESE_fNS9_4plusIvEEfEEDaPvRmT3_T4_T5_mT6_P12ihipStream_tbENKUlT_T0_E_clISt17integral_constantIbLb0EEST_IbLb1EEEEDaSP_SQ_EUlSP_E0_NS1_11comp_targetILNS1_3genE0ELNS1_11target_archE4294967295ELNS1_3gpuE0ELNS1_3repE0EEENS1_30default_config_static_selectorELNS0_4arch9wavefront6targetE1EEEvT1_,"axG",@progbits,_ZN7rocprim17ROCPRIM_400000_NS6detail17trampoline_kernelINS0_14default_configENS1_20scan_config_selectorIfEEZZNS1_9scan_implILNS1_25lookback_scan_determinismE0ELb1ELb1ES3_N6thrust23THRUST_200600_302600_NS6detail15normal_iteratorINS9_10device_ptrIfEEEESE_fNS9_4plusIvEEfEEDaPvRmT3_T4_T5_mT6_P12ihipStream_tbENKUlT_T0_E_clISt17integral_constantIbLb0EEST_IbLb1EEEEDaSP_SQ_EUlSP_E0_NS1_11comp_targetILNS1_3genE0ELNS1_11target_archE4294967295ELNS1_3gpuE0ELNS1_3repE0EEENS1_30default_config_static_selectorELNS0_4arch9wavefront6targetE1EEEvT1_,comdat
.Lfunc_end4421:
	.size	_ZN7rocprim17ROCPRIM_400000_NS6detail17trampoline_kernelINS0_14default_configENS1_20scan_config_selectorIfEEZZNS1_9scan_implILNS1_25lookback_scan_determinismE0ELb1ELb1ES3_N6thrust23THRUST_200600_302600_NS6detail15normal_iteratorINS9_10device_ptrIfEEEESE_fNS9_4plusIvEEfEEDaPvRmT3_T4_T5_mT6_P12ihipStream_tbENKUlT_T0_E_clISt17integral_constantIbLb0EEST_IbLb1EEEEDaSP_SQ_EUlSP_E0_NS1_11comp_targetILNS1_3genE0ELNS1_11target_archE4294967295ELNS1_3gpuE0ELNS1_3repE0EEENS1_30default_config_static_selectorELNS0_4arch9wavefront6targetE1EEEvT1_, .Lfunc_end4421-_ZN7rocprim17ROCPRIM_400000_NS6detail17trampoline_kernelINS0_14default_configENS1_20scan_config_selectorIfEEZZNS1_9scan_implILNS1_25lookback_scan_determinismE0ELb1ELb1ES3_N6thrust23THRUST_200600_302600_NS6detail15normal_iteratorINS9_10device_ptrIfEEEESE_fNS9_4plusIvEEfEEDaPvRmT3_T4_T5_mT6_P12ihipStream_tbENKUlT_T0_E_clISt17integral_constantIbLb0EEST_IbLb1EEEEDaSP_SQ_EUlSP_E0_NS1_11comp_targetILNS1_3genE0ELNS1_11target_archE4294967295ELNS1_3gpuE0ELNS1_3repE0EEENS1_30default_config_static_selectorELNS0_4arch9wavefront6targetE1EEEvT1_
                                        ; -- End function
	.section	.AMDGPU.csdata,"",@progbits
; Kernel info:
; codeLenInByte = 0
; NumSgprs: 4
; NumVgprs: 0
; NumAgprs: 0
; TotalNumVgprs: 0
; ScratchSize: 0
; MemoryBound: 0
; FloatMode: 240
; IeeeMode: 1
; LDSByteSize: 0 bytes/workgroup (compile time only)
; SGPRBlocks: 0
; VGPRBlocks: 0
; NumSGPRsForWavesPerEU: 4
; NumVGPRsForWavesPerEU: 1
; AccumOffset: 4
; Occupancy: 8
; WaveLimiterHint : 0
; COMPUTE_PGM_RSRC2:SCRATCH_EN: 0
; COMPUTE_PGM_RSRC2:USER_SGPR: 6
; COMPUTE_PGM_RSRC2:TRAP_HANDLER: 0
; COMPUTE_PGM_RSRC2:TGID_X_EN: 1
; COMPUTE_PGM_RSRC2:TGID_Y_EN: 0
; COMPUTE_PGM_RSRC2:TGID_Z_EN: 0
; COMPUTE_PGM_RSRC2:TIDIG_COMP_CNT: 0
; COMPUTE_PGM_RSRC3_GFX90A:ACCUM_OFFSET: 0
; COMPUTE_PGM_RSRC3_GFX90A:TG_SPLIT: 0
	.section	.text._ZN7rocprim17ROCPRIM_400000_NS6detail17trampoline_kernelINS0_14default_configENS1_20scan_config_selectorIfEEZZNS1_9scan_implILNS1_25lookback_scan_determinismE0ELb1ELb1ES3_N6thrust23THRUST_200600_302600_NS6detail15normal_iteratorINS9_10device_ptrIfEEEESE_fNS9_4plusIvEEfEEDaPvRmT3_T4_T5_mT6_P12ihipStream_tbENKUlT_T0_E_clISt17integral_constantIbLb0EEST_IbLb1EEEEDaSP_SQ_EUlSP_E0_NS1_11comp_targetILNS1_3genE5ELNS1_11target_archE942ELNS1_3gpuE9ELNS1_3repE0EEENS1_30default_config_static_selectorELNS0_4arch9wavefront6targetE1EEEvT1_,"axG",@progbits,_ZN7rocprim17ROCPRIM_400000_NS6detail17trampoline_kernelINS0_14default_configENS1_20scan_config_selectorIfEEZZNS1_9scan_implILNS1_25lookback_scan_determinismE0ELb1ELb1ES3_N6thrust23THRUST_200600_302600_NS6detail15normal_iteratorINS9_10device_ptrIfEEEESE_fNS9_4plusIvEEfEEDaPvRmT3_T4_T5_mT6_P12ihipStream_tbENKUlT_T0_E_clISt17integral_constantIbLb0EEST_IbLb1EEEEDaSP_SQ_EUlSP_E0_NS1_11comp_targetILNS1_3genE5ELNS1_11target_archE942ELNS1_3gpuE9ELNS1_3repE0EEENS1_30default_config_static_selectorELNS0_4arch9wavefront6targetE1EEEvT1_,comdat
	.protected	_ZN7rocprim17ROCPRIM_400000_NS6detail17trampoline_kernelINS0_14default_configENS1_20scan_config_selectorIfEEZZNS1_9scan_implILNS1_25lookback_scan_determinismE0ELb1ELb1ES3_N6thrust23THRUST_200600_302600_NS6detail15normal_iteratorINS9_10device_ptrIfEEEESE_fNS9_4plusIvEEfEEDaPvRmT3_T4_T5_mT6_P12ihipStream_tbENKUlT_T0_E_clISt17integral_constantIbLb0EEST_IbLb1EEEEDaSP_SQ_EUlSP_E0_NS1_11comp_targetILNS1_3genE5ELNS1_11target_archE942ELNS1_3gpuE9ELNS1_3repE0EEENS1_30default_config_static_selectorELNS0_4arch9wavefront6targetE1EEEvT1_ ; -- Begin function _ZN7rocprim17ROCPRIM_400000_NS6detail17trampoline_kernelINS0_14default_configENS1_20scan_config_selectorIfEEZZNS1_9scan_implILNS1_25lookback_scan_determinismE0ELb1ELb1ES3_N6thrust23THRUST_200600_302600_NS6detail15normal_iteratorINS9_10device_ptrIfEEEESE_fNS9_4plusIvEEfEEDaPvRmT3_T4_T5_mT6_P12ihipStream_tbENKUlT_T0_E_clISt17integral_constantIbLb0EEST_IbLb1EEEEDaSP_SQ_EUlSP_E0_NS1_11comp_targetILNS1_3genE5ELNS1_11target_archE942ELNS1_3gpuE9ELNS1_3repE0EEENS1_30default_config_static_selectorELNS0_4arch9wavefront6targetE1EEEvT1_
	.globl	_ZN7rocprim17ROCPRIM_400000_NS6detail17trampoline_kernelINS0_14default_configENS1_20scan_config_selectorIfEEZZNS1_9scan_implILNS1_25lookback_scan_determinismE0ELb1ELb1ES3_N6thrust23THRUST_200600_302600_NS6detail15normal_iteratorINS9_10device_ptrIfEEEESE_fNS9_4plusIvEEfEEDaPvRmT3_T4_T5_mT6_P12ihipStream_tbENKUlT_T0_E_clISt17integral_constantIbLb0EEST_IbLb1EEEEDaSP_SQ_EUlSP_E0_NS1_11comp_targetILNS1_3genE5ELNS1_11target_archE942ELNS1_3gpuE9ELNS1_3repE0EEENS1_30default_config_static_selectorELNS0_4arch9wavefront6targetE1EEEvT1_
	.p2align	8
	.type	_ZN7rocprim17ROCPRIM_400000_NS6detail17trampoline_kernelINS0_14default_configENS1_20scan_config_selectorIfEEZZNS1_9scan_implILNS1_25lookback_scan_determinismE0ELb1ELb1ES3_N6thrust23THRUST_200600_302600_NS6detail15normal_iteratorINS9_10device_ptrIfEEEESE_fNS9_4plusIvEEfEEDaPvRmT3_T4_T5_mT6_P12ihipStream_tbENKUlT_T0_E_clISt17integral_constantIbLb0EEST_IbLb1EEEEDaSP_SQ_EUlSP_E0_NS1_11comp_targetILNS1_3genE5ELNS1_11target_archE942ELNS1_3gpuE9ELNS1_3repE0EEENS1_30default_config_static_selectorELNS0_4arch9wavefront6targetE1EEEvT1_,@function
_ZN7rocprim17ROCPRIM_400000_NS6detail17trampoline_kernelINS0_14default_configENS1_20scan_config_selectorIfEEZZNS1_9scan_implILNS1_25lookback_scan_determinismE0ELb1ELb1ES3_N6thrust23THRUST_200600_302600_NS6detail15normal_iteratorINS9_10device_ptrIfEEEESE_fNS9_4plusIvEEfEEDaPvRmT3_T4_T5_mT6_P12ihipStream_tbENKUlT_T0_E_clISt17integral_constantIbLb0EEST_IbLb1EEEEDaSP_SQ_EUlSP_E0_NS1_11comp_targetILNS1_3genE5ELNS1_11target_archE942ELNS1_3gpuE9ELNS1_3repE0EEENS1_30default_config_static_selectorELNS0_4arch9wavefront6targetE1EEEvT1_: ; @_ZN7rocprim17ROCPRIM_400000_NS6detail17trampoline_kernelINS0_14default_configENS1_20scan_config_selectorIfEEZZNS1_9scan_implILNS1_25lookback_scan_determinismE0ELb1ELb1ES3_N6thrust23THRUST_200600_302600_NS6detail15normal_iteratorINS9_10device_ptrIfEEEESE_fNS9_4plusIvEEfEEDaPvRmT3_T4_T5_mT6_P12ihipStream_tbENKUlT_T0_E_clISt17integral_constantIbLb0EEST_IbLb1EEEEDaSP_SQ_EUlSP_E0_NS1_11comp_targetILNS1_3genE5ELNS1_11target_archE942ELNS1_3gpuE9ELNS1_3repE0EEENS1_30default_config_static_selectorELNS0_4arch9wavefront6targetE1EEEvT1_
; %bb.0:
	.section	.rodata,"a",@progbits
	.p2align	6, 0x0
	.amdhsa_kernel _ZN7rocprim17ROCPRIM_400000_NS6detail17trampoline_kernelINS0_14default_configENS1_20scan_config_selectorIfEEZZNS1_9scan_implILNS1_25lookback_scan_determinismE0ELb1ELb1ES3_N6thrust23THRUST_200600_302600_NS6detail15normal_iteratorINS9_10device_ptrIfEEEESE_fNS9_4plusIvEEfEEDaPvRmT3_T4_T5_mT6_P12ihipStream_tbENKUlT_T0_E_clISt17integral_constantIbLb0EEST_IbLb1EEEEDaSP_SQ_EUlSP_E0_NS1_11comp_targetILNS1_3genE5ELNS1_11target_archE942ELNS1_3gpuE9ELNS1_3repE0EEENS1_30default_config_static_selectorELNS0_4arch9wavefront6targetE1EEEvT1_
		.amdhsa_group_segment_fixed_size 0
		.amdhsa_private_segment_fixed_size 0
		.amdhsa_kernarg_size 32
		.amdhsa_user_sgpr_count 6
		.amdhsa_user_sgpr_private_segment_buffer 1
		.amdhsa_user_sgpr_dispatch_ptr 0
		.amdhsa_user_sgpr_queue_ptr 0
		.amdhsa_user_sgpr_kernarg_segment_ptr 1
		.amdhsa_user_sgpr_dispatch_id 0
		.amdhsa_user_sgpr_flat_scratch_init 0
		.amdhsa_user_sgpr_kernarg_preload_length 0
		.amdhsa_user_sgpr_kernarg_preload_offset 0
		.amdhsa_user_sgpr_private_segment_size 0
		.amdhsa_uses_dynamic_stack 0
		.amdhsa_system_sgpr_private_segment_wavefront_offset 0
		.amdhsa_system_sgpr_workgroup_id_x 1
		.amdhsa_system_sgpr_workgroup_id_y 0
		.amdhsa_system_sgpr_workgroup_id_z 0
		.amdhsa_system_sgpr_workgroup_info 0
		.amdhsa_system_vgpr_workitem_id 0
		.amdhsa_next_free_vgpr 1
		.amdhsa_next_free_sgpr 0
		.amdhsa_accum_offset 4
		.amdhsa_reserve_vcc 0
		.amdhsa_reserve_flat_scratch 0
		.amdhsa_float_round_mode_32 0
		.amdhsa_float_round_mode_16_64 0
		.amdhsa_float_denorm_mode_32 3
		.amdhsa_float_denorm_mode_16_64 3
		.amdhsa_dx10_clamp 1
		.amdhsa_ieee_mode 1
		.amdhsa_fp16_overflow 0
		.amdhsa_tg_split 0
		.amdhsa_exception_fp_ieee_invalid_op 0
		.amdhsa_exception_fp_denorm_src 0
		.amdhsa_exception_fp_ieee_div_zero 0
		.amdhsa_exception_fp_ieee_overflow 0
		.amdhsa_exception_fp_ieee_underflow 0
		.amdhsa_exception_fp_ieee_inexact 0
		.amdhsa_exception_int_div_zero 0
	.end_amdhsa_kernel
	.section	.text._ZN7rocprim17ROCPRIM_400000_NS6detail17trampoline_kernelINS0_14default_configENS1_20scan_config_selectorIfEEZZNS1_9scan_implILNS1_25lookback_scan_determinismE0ELb1ELb1ES3_N6thrust23THRUST_200600_302600_NS6detail15normal_iteratorINS9_10device_ptrIfEEEESE_fNS9_4plusIvEEfEEDaPvRmT3_T4_T5_mT6_P12ihipStream_tbENKUlT_T0_E_clISt17integral_constantIbLb0EEST_IbLb1EEEEDaSP_SQ_EUlSP_E0_NS1_11comp_targetILNS1_3genE5ELNS1_11target_archE942ELNS1_3gpuE9ELNS1_3repE0EEENS1_30default_config_static_selectorELNS0_4arch9wavefront6targetE1EEEvT1_,"axG",@progbits,_ZN7rocprim17ROCPRIM_400000_NS6detail17trampoline_kernelINS0_14default_configENS1_20scan_config_selectorIfEEZZNS1_9scan_implILNS1_25lookback_scan_determinismE0ELb1ELb1ES3_N6thrust23THRUST_200600_302600_NS6detail15normal_iteratorINS9_10device_ptrIfEEEESE_fNS9_4plusIvEEfEEDaPvRmT3_T4_T5_mT6_P12ihipStream_tbENKUlT_T0_E_clISt17integral_constantIbLb0EEST_IbLb1EEEEDaSP_SQ_EUlSP_E0_NS1_11comp_targetILNS1_3genE5ELNS1_11target_archE942ELNS1_3gpuE9ELNS1_3repE0EEENS1_30default_config_static_selectorELNS0_4arch9wavefront6targetE1EEEvT1_,comdat
.Lfunc_end4422:
	.size	_ZN7rocprim17ROCPRIM_400000_NS6detail17trampoline_kernelINS0_14default_configENS1_20scan_config_selectorIfEEZZNS1_9scan_implILNS1_25lookback_scan_determinismE0ELb1ELb1ES3_N6thrust23THRUST_200600_302600_NS6detail15normal_iteratorINS9_10device_ptrIfEEEESE_fNS9_4plusIvEEfEEDaPvRmT3_T4_T5_mT6_P12ihipStream_tbENKUlT_T0_E_clISt17integral_constantIbLb0EEST_IbLb1EEEEDaSP_SQ_EUlSP_E0_NS1_11comp_targetILNS1_3genE5ELNS1_11target_archE942ELNS1_3gpuE9ELNS1_3repE0EEENS1_30default_config_static_selectorELNS0_4arch9wavefront6targetE1EEEvT1_, .Lfunc_end4422-_ZN7rocprim17ROCPRIM_400000_NS6detail17trampoline_kernelINS0_14default_configENS1_20scan_config_selectorIfEEZZNS1_9scan_implILNS1_25lookback_scan_determinismE0ELb1ELb1ES3_N6thrust23THRUST_200600_302600_NS6detail15normal_iteratorINS9_10device_ptrIfEEEESE_fNS9_4plusIvEEfEEDaPvRmT3_T4_T5_mT6_P12ihipStream_tbENKUlT_T0_E_clISt17integral_constantIbLb0EEST_IbLb1EEEEDaSP_SQ_EUlSP_E0_NS1_11comp_targetILNS1_3genE5ELNS1_11target_archE942ELNS1_3gpuE9ELNS1_3repE0EEENS1_30default_config_static_selectorELNS0_4arch9wavefront6targetE1EEEvT1_
                                        ; -- End function
	.section	.AMDGPU.csdata,"",@progbits
; Kernel info:
; codeLenInByte = 0
; NumSgprs: 4
; NumVgprs: 0
; NumAgprs: 0
; TotalNumVgprs: 0
; ScratchSize: 0
; MemoryBound: 0
; FloatMode: 240
; IeeeMode: 1
; LDSByteSize: 0 bytes/workgroup (compile time only)
; SGPRBlocks: 0
; VGPRBlocks: 0
; NumSGPRsForWavesPerEU: 4
; NumVGPRsForWavesPerEU: 1
; AccumOffset: 4
; Occupancy: 8
; WaveLimiterHint : 0
; COMPUTE_PGM_RSRC2:SCRATCH_EN: 0
; COMPUTE_PGM_RSRC2:USER_SGPR: 6
; COMPUTE_PGM_RSRC2:TRAP_HANDLER: 0
; COMPUTE_PGM_RSRC2:TGID_X_EN: 1
; COMPUTE_PGM_RSRC2:TGID_Y_EN: 0
; COMPUTE_PGM_RSRC2:TGID_Z_EN: 0
; COMPUTE_PGM_RSRC2:TIDIG_COMP_CNT: 0
; COMPUTE_PGM_RSRC3_GFX90A:ACCUM_OFFSET: 0
; COMPUTE_PGM_RSRC3_GFX90A:TG_SPLIT: 0
	.section	.text._ZN7rocprim17ROCPRIM_400000_NS6detail17trampoline_kernelINS0_14default_configENS1_20scan_config_selectorIfEEZZNS1_9scan_implILNS1_25lookback_scan_determinismE0ELb1ELb1ES3_N6thrust23THRUST_200600_302600_NS6detail15normal_iteratorINS9_10device_ptrIfEEEESE_fNS9_4plusIvEEfEEDaPvRmT3_T4_T5_mT6_P12ihipStream_tbENKUlT_T0_E_clISt17integral_constantIbLb0EEST_IbLb1EEEEDaSP_SQ_EUlSP_E0_NS1_11comp_targetILNS1_3genE4ELNS1_11target_archE910ELNS1_3gpuE8ELNS1_3repE0EEENS1_30default_config_static_selectorELNS0_4arch9wavefront6targetE1EEEvT1_,"axG",@progbits,_ZN7rocprim17ROCPRIM_400000_NS6detail17trampoline_kernelINS0_14default_configENS1_20scan_config_selectorIfEEZZNS1_9scan_implILNS1_25lookback_scan_determinismE0ELb1ELb1ES3_N6thrust23THRUST_200600_302600_NS6detail15normal_iteratorINS9_10device_ptrIfEEEESE_fNS9_4plusIvEEfEEDaPvRmT3_T4_T5_mT6_P12ihipStream_tbENKUlT_T0_E_clISt17integral_constantIbLb0EEST_IbLb1EEEEDaSP_SQ_EUlSP_E0_NS1_11comp_targetILNS1_3genE4ELNS1_11target_archE910ELNS1_3gpuE8ELNS1_3repE0EEENS1_30default_config_static_selectorELNS0_4arch9wavefront6targetE1EEEvT1_,comdat
	.protected	_ZN7rocprim17ROCPRIM_400000_NS6detail17trampoline_kernelINS0_14default_configENS1_20scan_config_selectorIfEEZZNS1_9scan_implILNS1_25lookback_scan_determinismE0ELb1ELb1ES3_N6thrust23THRUST_200600_302600_NS6detail15normal_iteratorINS9_10device_ptrIfEEEESE_fNS9_4plusIvEEfEEDaPvRmT3_T4_T5_mT6_P12ihipStream_tbENKUlT_T0_E_clISt17integral_constantIbLb0EEST_IbLb1EEEEDaSP_SQ_EUlSP_E0_NS1_11comp_targetILNS1_3genE4ELNS1_11target_archE910ELNS1_3gpuE8ELNS1_3repE0EEENS1_30default_config_static_selectorELNS0_4arch9wavefront6targetE1EEEvT1_ ; -- Begin function _ZN7rocprim17ROCPRIM_400000_NS6detail17trampoline_kernelINS0_14default_configENS1_20scan_config_selectorIfEEZZNS1_9scan_implILNS1_25lookback_scan_determinismE0ELb1ELb1ES3_N6thrust23THRUST_200600_302600_NS6detail15normal_iteratorINS9_10device_ptrIfEEEESE_fNS9_4plusIvEEfEEDaPvRmT3_T4_T5_mT6_P12ihipStream_tbENKUlT_T0_E_clISt17integral_constantIbLb0EEST_IbLb1EEEEDaSP_SQ_EUlSP_E0_NS1_11comp_targetILNS1_3genE4ELNS1_11target_archE910ELNS1_3gpuE8ELNS1_3repE0EEENS1_30default_config_static_selectorELNS0_4arch9wavefront6targetE1EEEvT1_
	.globl	_ZN7rocprim17ROCPRIM_400000_NS6detail17trampoline_kernelINS0_14default_configENS1_20scan_config_selectorIfEEZZNS1_9scan_implILNS1_25lookback_scan_determinismE0ELb1ELb1ES3_N6thrust23THRUST_200600_302600_NS6detail15normal_iteratorINS9_10device_ptrIfEEEESE_fNS9_4plusIvEEfEEDaPvRmT3_T4_T5_mT6_P12ihipStream_tbENKUlT_T0_E_clISt17integral_constantIbLb0EEST_IbLb1EEEEDaSP_SQ_EUlSP_E0_NS1_11comp_targetILNS1_3genE4ELNS1_11target_archE910ELNS1_3gpuE8ELNS1_3repE0EEENS1_30default_config_static_selectorELNS0_4arch9wavefront6targetE1EEEvT1_
	.p2align	8
	.type	_ZN7rocprim17ROCPRIM_400000_NS6detail17trampoline_kernelINS0_14default_configENS1_20scan_config_selectorIfEEZZNS1_9scan_implILNS1_25lookback_scan_determinismE0ELb1ELb1ES3_N6thrust23THRUST_200600_302600_NS6detail15normal_iteratorINS9_10device_ptrIfEEEESE_fNS9_4plusIvEEfEEDaPvRmT3_T4_T5_mT6_P12ihipStream_tbENKUlT_T0_E_clISt17integral_constantIbLb0EEST_IbLb1EEEEDaSP_SQ_EUlSP_E0_NS1_11comp_targetILNS1_3genE4ELNS1_11target_archE910ELNS1_3gpuE8ELNS1_3repE0EEENS1_30default_config_static_selectorELNS0_4arch9wavefront6targetE1EEEvT1_,@function
_ZN7rocprim17ROCPRIM_400000_NS6detail17trampoline_kernelINS0_14default_configENS1_20scan_config_selectorIfEEZZNS1_9scan_implILNS1_25lookback_scan_determinismE0ELb1ELb1ES3_N6thrust23THRUST_200600_302600_NS6detail15normal_iteratorINS9_10device_ptrIfEEEESE_fNS9_4plusIvEEfEEDaPvRmT3_T4_T5_mT6_P12ihipStream_tbENKUlT_T0_E_clISt17integral_constantIbLb0EEST_IbLb1EEEEDaSP_SQ_EUlSP_E0_NS1_11comp_targetILNS1_3genE4ELNS1_11target_archE910ELNS1_3gpuE8ELNS1_3repE0EEENS1_30default_config_static_selectorELNS0_4arch9wavefront6targetE1EEEvT1_: ; @_ZN7rocprim17ROCPRIM_400000_NS6detail17trampoline_kernelINS0_14default_configENS1_20scan_config_selectorIfEEZZNS1_9scan_implILNS1_25lookback_scan_determinismE0ELb1ELb1ES3_N6thrust23THRUST_200600_302600_NS6detail15normal_iteratorINS9_10device_ptrIfEEEESE_fNS9_4plusIvEEfEEDaPvRmT3_T4_T5_mT6_P12ihipStream_tbENKUlT_T0_E_clISt17integral_constantIbLb0EEST_IbLb1EEEEDaSP_SQ_EUlSP_E0_NS1_11comp_targetILNS1_3genE4ELNS1_11target_archE910ELNS1_3gpuE8ELNS1_3repE0EEENS1_30default_config_static_selectorELNS0_4arch9wavefront6targetE1EEEvT1_
; %bb.0:
	s_load_dwordx4 s[28:31], s[4:5], 0x0
	v_lshlrev_b32_e32 v18, 2, v0
	s_waitcnt lgkmcnt(0)
	s_load_dword s31, s[28:29], 0x0
	v_cmp_gt_u32_e32 vcc, s30, v0
	s_waitcnt lgkmcnt(0)
	v_mov_b32_e32 v1, s31
	s_and_saveexec_b64 s[0:1], vcc
	s_cbranch_execz .LBB4423_2
; %bb.1:
	global_load_dword v1, v18, s[28:29]
.LBB4423_2:
	s_or_b64 exec, exec, s[0:1]
	v_or_b32_e32 v2, 0x80, v0
	v_cmp_gt_u32_e64 s[0:1], s30, v2
	v_mov_b32_e32 v2, s31
	s_and_saveexec_b64 s[2:3], s[0:1]
	s_cbranch_execz .LBB4423_4
; %bb.3:
	global_load_dword v2, v18, s[28:29] offset:512
.LBB4423_4:
	s_or_b64 exec, exec, s[2:3]
	v_or_b32_e32 v3, 0x100, v0
	v_cmp_gt_u32_e64 s[2:3], s30, v3
	v_mov_b32_e32 v3, s31
	s_and_saveexec_b64 s[6:7], s[2:3]
	s_cbranch_execz .LBB4423_6
; %bb.5:
	global_load_dword v3, v18, s[28:29] offset:1024
.LBB4423_6:
	;; [unrolled: 9-line block ×7, first 2 shown]
	s_or_b64 exec, exec, s[14:15]
	v_or_b32_e32 v10, 0x400, v0
	v_cmp_gt_u32_e64 s[14:15], s30, v10
	v_mov_b32_e32 v9, s31
	s_and_saveexec_b64 s[16:17], s[14:15]
	s_cbranch_execz .LBB4423_18
; %bb.17:
	v_lshlrev_b32_e32 v9, 2, v10
	global_load_dword v9, v9, s[28:29]
.LBB4423_18:
	s_or_b64 exec, exec, s[16:17]
	v_or_b32_e32 v11, 0x480, v0
	v_cmp_gt_u32_e64 s[16:17], s30, v11
	v_mov_b32_e32 v10, s31
	s_and_saveexec_b64 s[18:19], s[16:17]
	s_cbranch_execz .LBB4423_20
; %bb.19:
	v_lshlrev_b32_e32 v10, 2, v11
	global_load_dword v10, v10, s[28:29]
.LBB4423_20:
	;; [unrolled: 10-line block ×5, first 2 shown]
	s_or_b64 exec, exec, s[24:25]
	s_load_dword s33, s[4:5], 0x10
	v_or_b32_e32 v15, 0x680, v0
	v_cmp_gt_u32_e64 s[24:25], s30, v15
	v_mov_b32_e32 v14, s31
	s_and_saveexec_b64 s[30:31], s[24:25]
	s_cbranch_execz .LBB4423_28
; %bb.27:
	v_lshlrev_b32_e32 v14, 2, v15
	global_load_dword v14, v14, s[28:29]
.LBB4423_28:
	s_or_b64 exec, exec, s[30:31]
	s_waitcnt vmcnt(0)
	ds_write2st64_b32 v18, v1, v2 offset1:2
	ds_write2st64_b32 v18, v3, v4 offset0:4 offset1:6
	ds_write2st64_b32 v18, v5, v6 offset0:8 offset1:10
	;; [unrolled: 1-line block ×6, first 2 shown]
	v_mad_u32_u24 v1, v0, 52, v18
	s_waitcnt lgkmcnt(0)
	s_barrier
	ds_read2_b64 v[10:13], v1 offset1:1
	ds_read2_b64 v[6:9], v1 offset0:2 offset1:3
	ds_read2_b64 v[2:5], v1 offset0:4 offset1:5
	ds_read_b64 v[14:15], v1 offset:48
	s_load_dwordx2 s[34:35], s[4:5], 0x18
	s_waitcnt lgkmcnt(0)
	v_add_f32_e32 v16, v10, v11
	v_add_f32_e32 v16, v16, v12
	;; [unrolled: 1-line block ×13, first 2 shown]
	v_lshrrev_b32_e32 v16, 3, v0
	v_and_b32_e32 v16, 12, v16
	v_add_u32_e32 v16, v18, v16
	v_cmp_gt_u32_e64 s[4:5], 64, v0
	s_barrier
	ds_write_b32 v16, v15
	s_waitcnt lgkmcnt(0)
	s_barrier
	s_and_saveexec_b64 s[36:37], s[4:5]
	s_cbranch_execz .LBB4423_30
; %bb.29:
	v_lshlrev_b32_e32 v16, 1, v0
	v_lshrrev_b32_e32 v17, 4, v0
	v_add_lshl_u32 v19, v17, v16, 2
	ds_read2_b32 v[16:17], v19 offset1:1
	v_mbcnt_lo_u32_b32 v20, -1, 0
	v_mbcnt_hi_u32_b32 v20, -1, v20
	v_and_b32_e32 v21, 15, v20
	v_cmp_eq_u32_e64 s[4:5], 0, v21
	s_waitcnt lgkmcnt(0)
	v_add_f32_e32 v17, v16, v17
	v_cmp_lt_u32_e64 s[28:29], 3, v21
	v_cmp_lt_u32_e64 s[30:31], 31, v20
	v_mov_b32_dpp v22, v17 row_shr:1 row_mask:0xf bank_mask:0xf
	v_add_f32_e32 v22, v17, v22
	v_cndmask_b32_e64 v17, v22, v17, s[4:5]
	v_cmp_lt_u32_e64 s[4:5], 1, v21
	s_nop 0
	v_mov_b32_dpp v22, v17 row_shr:2 row_mask:0xf bank_mask:0xf
	v_add_f32_e32 v22, v17, v22
	v_cndmask_b32_e64 v22, v17, v22, s[4:5]
	; wave barrier
	s_nop 1
	v_mov_b32_dpp v23, v22 row_shr:4 row_mask:0xf bank_mask:0xf
	v_add_f32_e32 v23, v22, v23
	v_cndmask_b32_e64 v22, v22, v23, s[28:29]
	v_cmp_lt_u32_e64 s[28:29], 7, v21
	s_nop 0
	v_mov_b32_dpp v23, v22 row_shr:8 row_mask:0xf bank_mask:0xf
	v_add_f32_e32 v23, v22, v23
	v_cndmask_b32_e64 v21, v22, v23, s[28:29]
	v_and_b32_e32 v23, 16, v20
	v_cmp_eq_u32_e64 s[28:29], 0, v23
	v_mov_b32_dpp v22, v21 row_bcast:15 row_mask:0xf bank_mask:0xf
	v_add_f32_e32 v22, v21, v22
	v_cndmask_b32_e64 v21, v22, v21, s[28:29]
	v_cmp_lt_u32_e64 s[28:29], 15, v20
	s_or_b64 s[4:5], s[28:29], s[4:5]
	v_mov_b32_dpp v22, v21 row_bcast:31 row_mask:0xf bank_mask:0xf
	v_add_f32_e32 v22, v21, v22
	v_cndmask_b32_e64 v21, v21, v22, s[30:31]
	v_cndmask_b32_e64 v17, v17, v21, s[4:5]
	v_add_u32_e32 v21, -1, v20
	v_and_b32_e32 v22, 64, v20
	v_cmp_lt_i32_e64 s[4:5], v21, v22
	v_cndmask_b32_e64 v20, v21, v20, s[4:5]
	v_lshlrev_b32_e32 v20, 2, v20
	ds_bpermute_b32 v17, v20, v17
	v_cmp_eq_u32_e64 s[4:5], 0, v0
	s_waitcnt lgkmcnt(0)
	v_add_f32_e32 v16, v16, v17
	v_cndmask_b32_e64 v15, v16, v15, s[4:5]
	ds_write_b32 v19, v15
	; wave barrier
	ds_read_b32 v16, v19 offset:4
	s_waitcnt lgkmcnt(0)
	v_add_f32_e32 v15, v15, v16
	ds_write_b32 v19, v15 offset:4
.LBB4423_30:
	s_or_b64 exec, exec, s[36:37]
	v_cmp_ne_u32_e64 s[4:5], 0, v0
	v_mov_b32_e32 v16, s33
	s_waitcnt lgkmcnt(0)
	s_barrier
	s_and_saveexec_b64 s[28:29], s[4:5]
	s_cbranch_execz .LBB4423_32
; %bb.31:
	v_add_u32_e32 v15, -1, v0
	v_lshrrev_b32_e32 v16, 5, v15
	v_add_lshl_u32 v15, v16, v15, 2
	ds_read_b32 v15, v15
	s_waitcnt lgkmcnt(0)
	v_add_f32_e32 v16, s33, v15
.LBB4423_32:
	s_or_b64 exec, exec, s[28:29]
	v_add_f32_e32 v17, v10, v16
	v_add_f32_e32 v10, v11, v17
	;; [unrolled: 1-line block ×12, first 2 shown]
	s_movk_i32 s4, 0xffcc
	v_add_f32_e32 v5, v14, v4
	v_mad_i32_i24 v0, v0, s4, v1
	s_barrier
	ds_write2_b64 v1, v[16:17], v[10:11] offset1:1
	ds_write2_b64 v1, v[12:13], v[6:7] offset0:2 offset1:3
	ds_write2_b64 v1, v[8:9], v[2:3] offset0:4 offset1:5
	ds_write_b64 v1, v[4:5] offset:48
	s_waitcnt lgkmcnt(0)
	s_barrier
	ds_read2st64_b32 v[12:13], v0 offset0:2 offset1:4
	ds_read2st64_b32 v[10:11], v0 offset0:6 offset1:8
	;; [unrolled: 1-line block ×4, first 2 shown]
	ds_read_b32 v14, v18 offset:4096
	ds_read2st64_b32 v[4:5], v0 offset0:20 offset1:22
	ds_read2st64_b32 v[0:1], v0 offset0:24 offset1:26
	v_mov_b32_e32 v3, s35
	v_add_co_u32_e64 v2, s[4:5], s34, v18
	v_addc_co_u32_e64 v3, s[4:5], 0, v3, s[4:5]
	s_and_saveexec_b64 s[4:5], vcc
	s_cbranch_execnz .LBB4423_47
; %bb.33:
	s_or_b64 exec, exec, s[4:5]
	s_and_saveexec_b64 s[4:5], s[0:1]
	s_cbranch_execnz .LBB4423_48
.LBB4423_34:
	s_or_b64 exec, exec, s[4:5]
	s_and_saveexec_b64 s[0:1], s[2:3]
	s_cbranch_execnz .LBB4423_49
.LBB4423_35:
	s_or_b64 exec, exec, s[0:1]
	s_and_saveexec_b64 s[0:1], s[26:27]
	s_cbranch_execnz .LBB4423_50
.LBB4423_36:
	s_or_b64 exec, exec, s[0:1]
	s_and_saveexec_b64 s[0:1], s[6:7]
	s_cbranch_execnz .LBB4423_51
.LBB4423_37:
	s_or_b64 exec, exec, s[0:1]
	s_and_saveexec_b64 s[0:1], s[8:9]
	s_cbranch_execnz .LBB4423_52
.LBB4423_38:
	s_or_b64 exec, exec, s[0:1]
	s_and_saveexec_b64 s[0:1], s[10:11]
	s_cbranch_execnz .LBB4423_53
.LBB4423_39:
	s_or_b64 exec, exec, s[0:1]
	s_and_saveexec_b64 s[0:1], s[12:13]
	s_cbranch_execnz .LBB4423_54
.LBB4423_40:
	s_or_b64 exec, exec, s[0:1]
	s_and_saveexec_b64 s[0:1], s[14:15]
	s_cbranch_execnz .LBB4423_55
.LBB4423_41:
	s_or_b64 exec, exec, s[0:1]
	s_and_saveexec_b64 s[0:1], s[16:17]
	s_cbranch_execnz .LBB4423_56
.LBB4423_42:
	s_or_b64 exec, exec, s[0:1]
	s_and_saveexec_b64 s[0:1], s[18:19]
	s_cbranch_execnz .LBB4423_57
.LBB4423_43:
	s_or_b64 exec, exec, s[0:1]
	s_and_saveexec_b64 s[0:1], s[20:21]
	s_cbranch_execnz .LBB4423_58
.LBB4423_44:
	s_or_b64 exec, exec, s[0:1]
	s_and_saveexec_b64 s[0:1], s[22:23]
	s_cbranch_execnz .LBB4423_59
.LBB4423_45:
	s_or_b64 exec, exec, s[0:1]
	s_and_saveexec_b64 s[0:1], s[24:25]
	s_cbranch_execnz .LBB4423_60
.LBB4423_46:
	s_endpgm
.LBB4423_47:
	ds_read_b32 v15, v18
	s_waitcnt lgkmcnt(0)
	global_store_dword v[2:3], v15, off
	s_or_b64 exec, exec, s[4:5]
	s_and_saveexec_b64 s[4:5], s[0:1]
	s_cbranch_execz .LBB4423_34
.LBB4423_48:
	s_waitcnt lgkmcnt(6)
	global_store_dword v[2:3], v12, off offset:512
	s_or_b64 exec, exec, s[4:5]
	s_and_saveexec_b64 s[0:1], s[2:3]
	s_cbranch_execz .LBB4423_35
.LBB4423_49:
	s_waitcnt lgkmcnt(6)
	global_store_dword v[2:3], v13, off offset:1024
	s_or_b64 exec, exec, s[0:1]
	s_and_saveexec_b64 s[0:1], s[26:27]
	s_cbranch_execz .LBB4423_36
.LBB4423_50:
	s_waitcnt lgkmcnt(5)
	global_store_dword v[2:3], v10, off offset:1536
	s_or_b64 exec, exec, s[0:1]
	s_and_saveexec_b64 s[0:1], s[6:7]
	s_cbranch_execz .LBB4423_37
.LBB4423_51:
	s_waitcnt lgkmcnt(5)
	global_store_dword v[2:3], v11, off offset:2048
	s_or_b64 exec, exec, s[0:1]
	s_and_saveexec_b64 s[0:1], s[8:9]
	s_cbranch_execz .LBB4423_38
.LBB4423_52:
	s_waitcnt lgkmcnt(4)
	global_store_dword v[2:3], v8, off offset:2560
	s_or_b64 exec, exec, s[0:1]
	s_and_saveexec_b64 s[0:1], s[10:11]
	s_cbranch_execz .LBB4423_39
.LBB4423_53:
	s_waitcnt lgkmcnt(4)
	global_store_dword v[2:3], v9, off offset:3072
	s_or_b64 exec, exec, s[0:1]
	s_and_saveexec_b64 s[0:1], s[12:13]
	s_cbranch_execz .LBB4423_40
.LBB4423_54:
	s_waitcnt lgkmcnt(3)
	global_store_dword v[2:3], v6, off offset:3584
	s_or_b64 exec, exec, s[0:1]
	s_and_saveexec_b64 s[0:1], s[14:15]
	s_cbranch_execz .LBB4423_41
.LBB4423_55:
	s_waitcnt lgkmcnt(4)
	v_add_co_u32_e32 v8, vcc, 0x1000, v2
	v_addc_co_u32_e32 v9, vcc, 0, v3, vcc
	s_waitcnt lgkmcnt(2)
	global_store_dword v[8:9], v14, off
	s_or_b64 exec, exec, s[0:1]
	s_and_saveexec_b64 s[0:1], s[16:17]
	s_cbranch_execz .LBB4423_42
.LBB4423_56:
	s_waitcnt lgkmcnt(4)
	v_add_co_u32_e32 v8, vcc, 0x1000, v2
	v_addc_co_u32_e32 v9, vcc, 0, v3, vcc
	s_waitcnt lgkmcnt(3)
	global_store_dword v[8:9], v7, off offset:512
	s_or_b64 exec, exec, s[0:1]
	s_and_saveexec_b64 s[0:1], s[18:19]
	s_cbranch_execz .LBB4423_43
.LBB4423_57:
	s_waitcnt lgkmcnt(3)
	v_add_co_u32_e32 v6, vcc, 0x1000, v2
	v_addc_co_u32_e32 v7, vcc, 0, v3, vcc
	s_waitcnt lgkmcnt(1)
	global_store_dword v[6:7], v4, off offset:1024
	s_or_b64 exec, exec, s[0:1]
	s_and_saveexec_b64 s[0:1], s[20:21]
	s_cbranch_execz .LBB4423_44
.LBB4423_58:
	s_waitcnt lgkmcnt(3)
	v_add_co_u32_e32 v6, vcc, 0x1000, v2
	v_addc_co_u32_e32 v7, vcc, 0, v3, vcc
	s_waitcnt lgkmcnt(1)
	global_store_dword v[6:7], v5, off offset:1536
	s_or_b64 exec, exec, s[0:1]
	s_and_saveexec_b64 s[0:1], s[22:23]
	s_cbranch_execz .LBB4423_45
.LBB4423_59:
	s_waitcnt lgkmcnt(1)
	v_add_co_u32_e32 v4, vcc, 0x1000, v2
	v_addc_co_u32_e32 v5, vcc, 0, v3, vcc
	s_waitcnt lgkmcnt(0)
	global_store_dword v[4:5], v0, off offset:2048
	s_or_b64 exec, exec, s[0:1]
	s_and_saveexec_b64 s[0:1], s[24:25]
	s_cbranch_execz .LBB4423_46
.LBB4423_60:
	v_add_co_u32_e32 v2, vcc, 0x1000, v2
	v_addc_co_u32_e32 v3, vcc, 0, v3, vcc
	s_waitcnt lgkmcnt(0)
	global_store_dword v[2:3], v1, off offset:2560
	s_endpgm
	.section	.rodata,"a",@progbits
	.p2align	6, 0x0
	.amdhsa_kernel _ZN7rocprim17ROCPRIM_400000_NS6detail17trampoline_kernelINS0_14default_configENS1_20scan_config_selectorIfEEZZNS1_9scan_implILNS1_25lookback_scan_determinismE0ELb1ELb1ES3_N6thrust23THRUST_200600_302600_NS6detail15normal_iteratorINS9_10device_ptrIfEEEESE_fNS9_4plusIvEEfEEDaPvRmT3_T4_T5_mT6_P12ihipStream_tbENKUlT_T0_E_clISt17integral_constantIbLb0EEST_IbLb1EEEEDaSP_SQ_EUlSP_E0_NS1_11comp_targetILNS1_3genE4ELNS1_11target_archE910ELNS1_3gpuE8ELNS1_3repE0EEENS1_30default_config_static_selectorELNS0_4arch9wavefront6targetE1EEEvT1_
		.amdhsa_group_segment_fixed_size 7168
		.amdhsa_private_segment_fixed_size 0
		.amdhsa_kernarg_size 32
		.amdhsa_user_sgpr_count 6
		.amdhsa_user_sgpr_private_segment_buffer 1
		.amdhsa_user_sgpr_dispatch_ptr 0
		.amdhsa_user_sgpr_queue_ptr 0
		.amdhsa_user_sgpr_kernarg_segment_ptr 1
		.amdhsa_user_sgpr_dispatch_id 0
		.amdhsa_user_sgpr_flat_scratch_init 0
		.amdhsa_user_sgpr_kernarg_preload_length 0
		.amdhsa_user_sgpr_kernarg_preload_offset 0
		.amdhsa_user_sgpr_private_segment_size 0
		.amdhsa_uses_dynamic_stack 0
		.amdhsa_system_sgpr_private_segment_wavefront_offset 0
		.amdhsa_system_sgpr_workgroup_id_x 1
		.amdhsa_system_sgpr_workgroup_id_y 0
		.amdhsa_system_sgpr_workgroup_id_z 0
		.amdhsa_system_sgpr_workgroup_info 0
		.amdhsa_system_vgpr_workitem_id 0
		.amdhsa_next_free_vgpr 24
		.amdhsa_next_free_sgpr 38
		.amdhsa_accum_offset 24
		.amdhsa_reserve_vcc 1
		.amdhsa_reserve_flat_scratch 0
		.amdhsa_float_round_mode_32 0
		.amdhsa_float_round_mode_16_64 0
		.amdhsa_float_denorm_mode_32 3
		.amdhsa_float_denorm_mode_16_64 3
		.amdhsa_dx10_clamp 1
		.amdhsa_ieee_mode 1
		.amdhsa_fp16_overflow 0
		.amdhsa_tg_split 0
		.amdhsa_exception_fp_ieee_invalid_op 0
		.amdhsa_exception_fp_denorm_src 0
		.amdhsa_exception_fp_ieee_div_zero 0
		.amdhsa_exception_fp_ieee_overflow 0
		.amdhsa_exception_fp_ieee_underflow 0
		.amdhsa_exception_fp_ieee_inexact 0
		.amdhsa_exception_int_div_zero 0
	.end_amdhsa_kernel
	.section	.text._ZN7rocprim17ROCPRIM_400000_NS6detail17trampoline_kernelINS0_14default_configENS1_20scan_config_selectorIfEEZZNS1_9scan_implILNS1_25lookback_scan_determinismE0ELb1ELb1ES3_N6thrust23THRUST_200600_302600_NS6detail15normal_iteratorINS9_10device_ptrIfEEEESE_fNS9_4plusIvEEfEEDaPvRmT3_T4_T5_mT6_P12ihipStream_tbENKUlT_T0_E_clISt17integral_constantIbLb0EEST_IbLb1EEEEDaSP_SQ_EUlSP_E0_NS1_11comp_targetILNS1_3genE4ELNS1_11target_archE910ELNS1_3gpuE8ELNS1_3repE0EEENS1_30default_config_static_selectorELNS0_4arch9wavefront6targetE1EEEvT1_,"axG",@progbits,_ZN7rocprim17ROCPRIM_400000_NS6detail17trampoline_kernelINS0_14default_configENS1_20scan_config_selectorIfEEZZNS1_9scan_implILNS1_25lookback_scan_determinismE0ELb1ELb1ES3_N6thrust23THRUST_200600_302600_NS6detail15normal_iteratorINS9_10device_ptrIfEEEESE_fNS9_4plusIvEEfEEDaPvRmT3_T4_T5_mT6_P12ihipStream_tbENKUlT_T0_E_clISt17integral_constantIbLb0EEST_IbLb1EEEEDaSP_SQ_EUlSP_E0_NS1_11comp_targetILNS1_3genE4ELNS1_11target_archE910ELNS1_3gpuE8ELNS1_3repE0EEENS1_30default_config_static_selectorELNS0_4arch9wavefront6targetE1EEEvT1_,comdat
.Lfunc_end4423:
	.size	_ZN7rocprim17ROCPRIM_400000_NS6detail17trampoline_kernelINS0_14default_configENS1_20scan_config_selectorIfEEZZNS1_9scan_implILNS1_25lookback_scan_determinismE0ELb1ELb1ES3_N6thrust23THRUST_200600_302600_NS6detail15normal_iteratorINS9_10device_ptrIfEEEESE_fNS9_4plusIvEEfEEDaPvRmT3_T4_T5_mT6_P12ihipStream_tbENKUlT_T0_E_clISt17integral_constantIbLb0EEST_IbLb1EEEEDaSP_SQ_EUlSP_E0_NS1_11comp_targetILNS1_3genE4ELNS1_11target_archE910ELNS1_3gpuE8ELNS1_3repE0EEENS1_30default_config_static_selectorELNS0_4arch9wavefront6targetE1EEEvT1_, .Lfunc_end4423-_ZN7rocprim17ROCPRIM_400000_NS6detail17trampoline_kernelINS0_14default_configENS1_20scan_config_selectorIfEEZZNS1_9scan_implILNS1_25lookback_scan_determinismE0ELb1ELb1ES3_N6thrust23THRUST_200600_302600_NS6detail15normal_iteratorINS9_10device_ptrIfEEEESE_fNS9_4plusIvEEfEEDaPvRmT3_T4_T5_mT6_P12ihipStream_tbENKUlT_T0_E_clISt17integral_constantIbLb0EEST_IbLb1EEEEDaSP_SQ_EUlSP_E0_NS1_11comp_targetILNS1_3genE4ELNS1_11target_archE910ELNS1_3gpuE8ELNS1_3repE0EEENS1_30default_config_static_selectorELNS0_4arch9wavefront6targetE1EEEvT1_
                                        ; -- End function
	.section	.AMDGPU.csdata,"",@progbits
; Kernel info:
; codeLenInByte = 2024
; NumSgprs: 42
; NumVgprs: 24
; NumAgprs: 0
; TotalNumVgprs: 24
; ScratchSize: 0
; MemoryBound: 0
; FloatMode: 240
; IeeeMode: 1
; LDSByteSize: 7168 bytes/workgroup (compile time only)
; SGPRBlocks: 5
; VGPRBlocks: 2
; NumSGPRsForWavesPerEU: 42
; NumVGPRsForWavesPerEU: 24
; AccumOffset: 24
; Occupancy: 5
; WaveLimiterHint : 0
; COMPUTE_PGM_RSRC2:SCRATCH_EN: 0
; COMPUTE_PGM_RSRC2:USER_SGPR: 6
; COMPUTE_PGM_RSRC2:TRAP_HANDLER: 0
; COMPUTE_PGM_RSRC2:TGID_X_EN: 1
; COMPUTE_PGM_RSRC2:TGID_Y_EN: 0
; COMPUTE_PGM_RSRC2:TGID_Z_EN: 0
; COMPUTE_PGM_RSRC2:TIDIG_COMP_CNT: 0
; COMPUTE_PGM_RSRC3_GFX90A:ACCUM_OFFSET: 5
; COMPUTE_PGM_RSRC3_GFX90A:TG_SPLIT: 0
	.section	.text._ZN7rocprim17ROCPRIM_400000_NS6detail17trampoline_kernelINS0_14default_configENS1_20scan_config_selectorIfEEZZNS1_9scan_implILNS1_25lookback_scan_determinismE0ELb1ELb1ES3_N6thrust23THRUST_200600_302600_NS6detail15normal_iteratorINS9_10device_ptrIfEEEESE_fNS9_4plusIvEEfEEDaPvRmT3_T4_T5_mT6_P12ihipStream_tbENKUlT_T0_E_clISt17integral_constantIbLb0EEST_IbLb1EEEEDaSP_SQ_EUlSP_E0_NS1_11comp_targetILNS1_3genE3ELNS1_11target_archE908ELNS1_3gpuE7ELNS1_3repE0EEENS1_30default_config_static_selectorELNS0_4arch9wavefront6targetE1EEEvT1_,"axG",@progbits,_ZN7rocprim17ROCPRIM_400000_NS6detail17trampoline_kernelINS0_14default_configENS1_20scan_config_selectorIfEEZZNS1_9scan_implILNS1_25lookback_scan_determinismE0ELb1ELb1ES3_N6thrust23THRUST_200600_302600_NS6detail15normal_iteratorINS9_10device_ptrIfEEEESE_fNS9_4plusIvEEfEEDaPvRmT3_T4_T5_mT6_P12ihipStream_tbENKUlT_T0_E_clISt17integral_constantIbLb0EEST_IbLb1EEEEDaSP_SQ_EUlSP_E0_NS1_11comp_targetILNS1_3genE3ELNS1_11target_archE908ELNS1_3gpuE7ELNS1_3repE0EEENS1_30default_config_static_selectorELNS0_4arch9wavefront6targetE1EEEvT1_,comdat
	.protected	_ZN7rocprim17ROCPRIM_400000_NS6detail17trampoline_kernelINS0_14default_configENS1_20scan_config_selectorIfEEZZNS1_9scan_implILNS1_25lookback_scan_determinismE0ELb1ELb1ES3_N6thrust23THRUST_200600_302600_NS6detail15normal_iteratorINS9_10device_ptrIfEEEESE_fNS9_4plusIvEEfEEDaPvRmT3_T4_T5_mT6_P12ihipStream_tbENKUlT_T0_E_clISt17integral_constantIbLb0EEST_IbLb1EEEEDaSP_SQ_EUlSP_E0_NS1_11comp_targetILNS1_3genE3ELNS1_11target_archE908ELNS1_3gpuE7ELNS1_3repE0EEENS1_30default_config_static_selectorELNS0_4arch9wavefront6targetE1EEEvT1_ ; -- Begin function _ZN7rocprim17ROCPRIM_400000_NS6detail17trampoline_kernelINS0_14default_configENS1_20scan_config_selectorIfEEZZNS1_9scan_implILNS1_25lookback_scan_determinismE0ELb1ELb1ES3_N6thrust23THRUST_200600_302600_NS6detail15normal_iteratorINS9_10device_ptrIfEEEESE_fNS9_4plusIvEEfEEDaPvRmT3_T4_T5_mT6_P12ihipStream_tbENKUlT_T0_E_clISt17integral_constantIbLb0EEST_IbLb1EEEEDaSP_SQ_EUlSP_E0_NS1_11comp_targetILNS1_3genE3ELNS1_11target_archE908ELNS1_3gpuE7ELNS1_3repE0EEENS1_30default_config_static_selectorELNS0_4arch9wavefront6targetE1EEEvT1_
	.globl	_ZN7rocprim17ROCPRIM_400000_NS6detail17trampoline_kernelINS0_14default_configENS1_20scan_config_selectorIfEEZZNS1_9scan_implILNS1_25lookback_scan_determinismE0ELb1ELb1ES3_N6thrust23THRUST_200600_302600_NS6detail15normal_iteratorINS9_10device_ptrIfEEEESE_fNS9_4plusIvEEfEEDaPvRmT3_T4_T5_mT6_P12ihipStream_tbENKUlT_T0_E_clISt17integral_constantIbLb0EEST_IbLb1EEEEDaSP_SQ_EUlSP_E0_NS1_11comp_targetILNS1_3genE3ELNS1_11target_archE908ELNS1_3gpuE7ELNS1_3repE0EEENS1_30default_config_static_selectorELNS0_4arch9wavefront6targetE1EEEvT1_
	.p2align	8
	.type	_ZN7rocprim17ROCPRIM_400000_NS6detail17trampoline_kernelINS0_14default_configENS1_20scan_config_selectorIfEEZZNS1_9scan_implILNS1_25lookback_scan_determinismE0ELb1ELb1ES3_N6thrust23THRUST_200600_302600_NS6detail15normal_iteratorINS9_10device_ptrIfEEEESE_fNS9_4plusIvEEfEEDaPvRmT3_T4_T5_mT6_P12ihipStream_tbENKUlT_T0_E_clISt17integral_constantIbLb0EEST_IbLb1EEEEDaSP_SQ_EUlSP_E0_NS1_11comp_targetILNS1_3genE3ELNS1_11target_archE908ELNS1_3gpuE7ELNS1_3repE0EEENS1_30default_config_static_selectorELNS0_4arch9wavefront6targetE1EEEvT1_,@function
_ZN7rocprim17ROCPRIM_400000_NS6detail17trampoline_kernelINS0_14default_configENS1_20scan_config_selectorIfEEZZNS1_9scan_implILNS1_25lookback_scan_determinismE0ELb1ELb1ES3_N6thrust23THRUST_200600_302600_NS6detail15normal_iteratorINS9_10device_ptrIfEEEESE_fNS9_4plusIvEEfEEDaPvRmT3_T4_T5_mT6_P12ihipStream_tbENKUlT_T0_E_clISt17integral_constantIbLb0EEST_IbLb1EEEEDaSP_SQ_EUlSP_E0_NS1_11comp_targetILNS1_3genE3ELNS1_11target_archE908ELNS1_3gpuE7ELNS1_3repE0EEENS1_30default_config_static_selectorELNS0_4arch9wavefront6targetE1EEEvT1_: ; @_ZN7rocprim17ROCPRIM_400000_NS6detail17trampoline_kernelINS0_14default_configENS1_20scan_config_selectorIfEEZZNS1_9scan_implILNS1_25lookback_scan_determinismE0ELb1ELb1ES3_N6thrust23THRUST_200600_302600_NS6detail15normal_iteratorINS9_10device_ptrIfEEEESE_fNS9_4plusIvEEfEEDaPvRmT3_T4_T5_mT6_P12ihipStream_tbENKUlT_T0_E_clISt17integral_constantIbLb0EEST_IbLb1EEEEDaSP_SQ_EUlSP_E0_NS1_11comp_targetILNS1_3genE3ELNS1_11target_archE908ELNS1_3gpuE7ELNS1_3repE0EEENS1_30default_config_static_selectorELNS0_4arch9wavefront6targetE1EEEvT1_
; %bb.0:
	.section	.rodata,"a",@progbits
	.p2align	6, 0x0
	.amdhsa_kernel _ZN7rocprim17ROCPRIM_400000_NS6detail17trampoline_kernelINS0_14default_configENS1_20scan_config_selectorIfEEZZNS1_9scan_implILNS1_25lookback_scan_determinismE0ELb1ELb1ES3_N6thrust23THRUST_200600_302600_NS6detail15normal_iteratorINS9_10device_ptrIfEEEESE_fNS9_4plusIvEEfEEDaPvRmT3_T4_T5_mT6_P12ihipStream_tbENKUlT_T0_E_clISt17integral_constantIbLb0EEST_IbLb1EEEEDaSP_SQ_EUlSP_E0_NS1_11comp_targetILNS1_3genE3ELNS1_11target_archE908ELNS1_3gpuE7ELNS1_3repE0EEENS1_30default_config_static_selectorELNS0_4arch9wavefront6targetE1EEEvT1_
		.amdhsa_group_segment_fixed_size 0
		.amdhsa_private_segment_fixed_size 0
		.amdhsa_kernarg_size 32
		.amdhsa_user_sgpr_count 6
		.amdhsa_user_sgpr_private_segment_buffer 1
		.amdhsa_user_sgpr_dispatch_ptr 0
		.amdhsa_user_sgpr_queue_ptr 0
		.amdhsa_user_sgpr_kernarg_segment_ptr 1
		.amdhsa_user_sgpr_dispatch_id 0
		.amdhsa_user_sgpr_flat_scratch_init 0
		.amdhsa_user_sgpr_kernarg_preload_length 0
		.amdhsa_user_sgpr_kernarg_preload_offset 0
		.amdhsa_user_sgpr_private_segment_size 0
		.amdhsa_uses_dynamic_stack 0
		.amdhsa_system_sgpr_private_segment_wavefront_offset 0
		.amdhsa_system_sgpr_workgroup_id_x 1
		.amdhsa_system_sgpr_workgroup_id_y 0
		.amdhsa_system_sgpr_workgroup_id_z 0
		.amdhsa_system_sgpr_workgroup_info 0
		.amdhsa_system_vgpr_workitem_id 0
		.amdhsa_next_free_vgpr 1
		.amdhsa_next_free_sgpr 0
		.amdhsa_accum_offset 4
		.amdhsa_reserve_vcc 0
		.amdhsa_reserve_flat_scratch 0
		.amdhsa_float_round_mode_32 0
		.amdhsa_float_round_mode_16_64 0
		.amdhsa_float_denorm_mode_32 3
		.amdhsa_float_denorm_mode_16_64 3
		.amdhsa_dx10_clamp 1
		.amdhsa_ieee_mode 1
		.amdhsa_fp16_overflow 0
		.amdhsa_tg_split 0
		.amdhsa_exception_fp_ieee_invalid_op 0
		.amdhsa_exception_fp_denorm_src 0
		.amdhsa_exception_fp_ieee_div_zero 0
		.amdhsa_exception_fp_ieee_overflow 0
		.amdhsa_exception_fp_ieee_underflow 0
		.amdhsa_exception_fp_ieee_inexact 0
		.amdhsa_exception_int_div_zero 0
	.end_amdhsa_kernel
	.section	.text._ZN7rocprim17ROCPRIM_400000_NS6detail17trampoline_kernelINS0_14default_configENS1_20scan_config_selectorIfEEZZNS1_9scan_implILNS1_25lookback_scan_determinismE0ELb1ELb1ES3_N6thrust23THRUST_200600_302600_NS6detail15normal_iteratorINS9_10device_ptrIfEEEESE_fNS9_4plusIvEEfEEDaPvRmT3_T4_T5_mT6_P12ihipStream_tbENKUlT_T0_E_clISt17integral_constantIbLb0EEST_IbLb1EEEEDaSP_SQ_EUlSP_E0_NS1_11comp_targetILNS1_3genE3ELNS1_11target_archE908ELNS1_3gpuE7ELNS1_3repE0EEENS1_30default_config_static_selectorELNS0_4arch9wavefront6targetE1EEEvT1_,"axG",@progbits,_ZN7rocprim17ROCPRIM_400000_NS6detail17trampoline_kernelINS0_14default_configENS1_20scan_config_selectorIfEEZZNS1_9scan_implILNS1_25lookback_scan_determinismE0ELb1ELb1ES3_N6thrust23THRUST_200600_302600_NS6detail15normal_iteratorINS9_10device_ptrIfEEEESE_fNS9_4plusIvEEfEEDaPvRmT3_T4_T5_mT6_P12ihipStream_tbENKUlT_T0_E_clISt17integral_constantIbLb0EEST_IbLb1EEEEDaSP_SQ_EUlSP_E0_NS1_11comp_targetILNS1_3genE3ELNS1_11target_archE908ELNS1_3gpuE7ELNS1_3repE0EEENS1_30default_config_static_selectorELNS0_4arch9wavefront6targetE1EEEvT1_,comdat
.Lfunc_end4424:
	.size	_ZN7rocprim17ROCPRIM_400000_NS6detail17trampoline_kernelINS0_14default_configENS1_20scan_config_selectorIfEEZZNS1_9scan_implILNS1_25lookback_scan_determinismE0ELb1ELb1ES3_N6thrust23THRUST_200600_302600_NS6detail15normal_iteratorINS9_10device_ptrIfEEEESE_fNS9_4plusIvEEfEEDaPvRmT3_T4_T5_mT6_P12ihipStream_tbENKUlT_T0_E_clISt17integral_constantIbLb0EEST_IbLb1EEEEDaSP_SQ_EUlSP_E0_NS1_11comp_targetILNS1_3genE3ELNS1_11target_archE908ELNS1_3gpuE7ELNS1_3repE0EEENS1_30default_config_static_selectorELNS0_4arch9wavefront6targetE1EEEvT1_, .Lfunc_end4424-_ZN7rocprim17ROCPRIM_400000_NS6detail17trampoline_kernelINS0_14default_configENS1_20scan_config_selectorIfEEZZNS1_9scan_implILNS1_25lookback_scan_determinismE0ELb1ELb1ES3_N6thrust23THRUST_200600_302600_NS6detail15normal_iteratorINS9_10device_ptrIfEEEESE_fNS9_4plusIvEEfEEDaPvRmT3_T4_T5_mT6_P12ihipStream_tbENKUlT_T0_E_clISt17integral_constantIbLb0EEST_IbLb1EEEEDaSP_SQ_EUlSP_E0_NS1_11comp_targetILNS1_3genE3ELNS1_11target_archE908ELNS1_3gpuE7ELNS1_3repE0EEENS1_30default_config_static_selectorELNS0_4arch9wavefront6targetE1EEEvT1_
                                        ; -- End function
	.section	.AMDGPU.csdata,"",@progbits
; Kernel info:
; codeLenInByte = 0
; NumSgprs: 4
; NumVgprs: 0
; NumAgprs: 0
; TotalNumVgprs: 0
; ScratchSize: 0
; MemoryBound: 0
; FloatMode: 240
; IeeeMode: 1
; LDSByteSize: 0 bytes/workgroup (compile time only)
; SGPRBlocks: 0
; VGPRBlocks: 0
; NumSGPRsForWavesPerEU: 4
; NumVGPRsForWavesPerEU: 1
; AccumOffset: 4
; Occupancy: 8
; WaveLimiterHint : 0
; COMPUTE_PGM_RSRC2:SCRATCH_EN: 0
; COMPUTE_PGM_RSRC2:USER_SGPR: 6
; COMPUTE_PGM_RSRC2:TRAP_HANDLER: 0
; COMPUTE_PGM_RSRC2:TGID_X_EN: 1
; COMPUTE_PGM_RSRC2:TGID_Y_EN: 0
; COMPUTE_PGM_RSRC2:TGID_Z_EN: 0
; COMPUTE_PGM_RSRC2:TIDIG_COMP_CNT: 0
; COMPUTE_PGM_RSRC3_GFX90A:ACCUM_OFFSET: 0
; COMPUTE_PGM_RSRC3_GFX90A:TG_SPLIT: 0
	.section	.text._ZN7rocprim17ROCPRIM_400000_NS6detail17trampoline_kernelINS0_14default_configENS1_20scan_config_selectorIfEEZZNS1_9scan_implILNS1_25lookback_scan_determinismE0ELb1ELb1ES3_N6thrust23THRUST_200600_302600_NS6detail15normal_iteratorINS9_10device_ptrIfEEEESE_fNS9_4plusIvEEfEEDaPvRmT3_T4_T5_mT6_P12ihipStream_tbENKUlT_T0_E_clISt17integral_constantIbLb0EEST_IbLb1EEEEDaSP_SQ_EUlSP_E0_NS1_11comp_targetILNS1_3genE2ELNS1_11target_archE906ELNS1_3gpuE6ELNS1_3repE0EEENS1_30default_config_static_selectorELNS0_4arch9wavefront6targetE1EEEvT1_,"axG",@progbits,_ZN7rocprim17ROCPRIM_400000_NS6detail17trampoline_kernelINS0_14default_configENS1_20scan_config_selectorIfEEZZNS1_9scan_implILNS1_25lookback_scan_determinismE0ELb1ELb1ES3_N6thrust23THRUST_200600_302600_NS6detail15normal_iteratorINS9_10device_ptrIfEEEESE_fNS9_4plusIvEEfEEDaPvRmT3_T4_T5_mT6_P12ihipStream_tbENKUlT_T0_E_clISt17integral_constantIbLb0EEST_IbLb1EEEEDaSP_SQ_EUlSP_E0_NS1_11comp_targetILNS1_3genE2ELNS1_11target_archE906ELNS1_3gpuE6ELNS1_3repE0EEENS1_30default_config_static_selectorELNS0_4arch9wavefront6targetE1EEEvT1_,comdat
	.protected	_ZN7rocprim17ROCPRIM_400000_NS6detail17trampoline_kernelINS0_14default_configENS1_20scan_config_selectorIfEEZZNS1_9scan_implILNS1_25lookback_scan_determinismE0ELb1ELb1ES3_N6thrust23THRUST_200600_302600_NS6detail15normal_iteratorINS9_10device_ptrIfEEEESE_fNS9_4plusIvEEfEEDaPvRmT3_T4_T5_mT6_P12ihipStream_tbENKUlT_T0_E_clISt17integral_constantIbLb0EEST_IbLb1EEEEDaSP_SQ_EUlSP_E0_NS1_11comp_targetILNS1_3genE2ELNS1_11target_archE906ELNS1_3gpuE6ELNS1_3repE0EEENS1_30default_config_static_selectorELNS0_4arch9wavefront6targetE1EEEvT1_ ; -- Begin function _ZN7rocprim17ROCPRIM_400000_NS6detail17trampoline_kernelINS0_14default_configENS1_20scan_config_selectorIfEEZZNS1_9scan_implILNS1_25lookback_scan_determinismE0ELb1ELb1ES3_N6thrust23THRUST_200600_302600_NS6detail15normal_iteratorINS9_10device_ptrIfEEEESE_fNS9_4plusIvEEfEEDaPvRmT3_T4_T5_mT6_P12ihipStream_tbENKUlT_T0_E_clISt17integral_constantIbLb0EEST_IbLb1EEEEDaSP_SQ_EUlSP_E0_NS1_11comp_targetILNS1_3genE2ELNS1_11target_archE906ELNS1_3gpuE6ELNS1_3repE0EEENS1_30default_config_static_selectorELNS0_4arch9wavefront6targetE1EEEvT1_
	.globl	_ZN7rocprim17ROCPRIM_400000_NS6detail17trampoline_kernelINS0_14default_configENS1_20scan_config_selectorIfEEZZNS1_9scan_implILNS1_25lookback_scan_determinismE0ELb1ELb1ES3_N6thrust23THRUST_200600_302600_NS6detail15normal_iteratorINS9_10device_ptrIfEEEESE_fNS9_4plusIvEEfEEDaPvRmT3_T4_T5_mT6_P12ihipStream_tbENKUlT_T0_E_clISt17integral_constantIbLb0EEST_IbLb1EEEEDaSP_SQ_EUlSP_E0_NS1_11comp_targetILNS1_3genE2ELNS1_11target_archE906ELNS1_3gpuE6ELNS1_3repE0EEENS1_30default_config_static_selectorELNS0_4arch9wavefront6targetE1EEEvT1_
	.p2align	8
	.type	_ZN7rocprim17ROCPRIM_400000_NS6detail17trampoline_kernelINS0_14default_configENS1_20scan_config_selectorIfEEZZNS1_9scan_implILNS1_25lookback_scan_determinismE0ELb1ELb1ES3_N6thrust23THRUST_200600_302600_NS6detail15normal_iteratorINS9_10device_ptrIfEEEESE_fNS9_4plusIvEEfEEDaPvRmT3_T4_T5_mT6_P12ihipStream_tbENKUlT_T0_E_clISt17integral_constantIbLb0EEST_IbLb1EEEEDaSP_SQ_EUlSP_E0_NS1_11comp_targetILNS1_3genE2ELNS1_11target_archE906ELNS1_3gpuE6ELNS1_3repE0EEENS1_30default_config_static_selectorELNS0_4arch9wavefront6targetE1EEEvT1_,@function
_ZN7rocprim17ROCPRIM_400000_NS6detail17trampoline_kernelINS0_14default_configENS1_20scan_config_selectorIfEEZZNS1_9scan_implILNS1_25lookback_scan_determinismE0ELb1ELb1ES3_N6thrust23THRUST_200600_302600_NS6detail15normal_iteratorINS9_10device_ptrIfEEEESE_fNS9_4plusIvEEfEEDaPvRmT3_T4_T5_mT6_P12ihipStream_tbENKUlT_T0_E_clISt17integral_constantIbLb0EEST_IbLb1EEEEDaSP_SQ_EUlSP_E0_NS1_11comp_targetILNS1_3genE2ELNS1_11target_archE906ELNS1_3gpuE6ELNS1_3repE0EEENS1_30default_config_static_selectorELNS0_4arch9wavefront6targetE1EEEvT1_: ; @_ZN7rocprim17ROCPRIM_400000_NS6detail17trampoline_kernelINS0_14default_configENS1_20scan_config_selectorIfEEZZNS1_9scan_implILNS1_25lookback_scan_determinismE0ELb1ELb1ES3_N6thrust23THRUST_200600_302600_NS6detail15normal_iteratorINS9_10device_ptrIfEEEESE_fNS9_4plusIvEEfEEDaPvRmT3_T4_T5_mT6_P12ihipStream_tbENKUlT_T0_E_clISt17integral_constantIbLb0EEST_IbLb1EEEEDaSP_SQ_EUlSP_E0_NS1_11comp_targetILNS1_3genE2ELNS1_11target_archE906ELNS1_3gpuE6ELNS1_3repE0EEENS1_30default_config_static_selectorELNS0_4arch9wavefront6targetE1EEEvT1_
; %bb.0:
	.section	.rodata,"a",@progbits
	.p2align	6, 0x0
	.amdhsa_kernel _ZN7rocprim17ROCPRIM_400000_NS6detail17trampoline_kernelINS0_14default_configENS1_20scan_config_selectorIfEEZZNS1_9scan_implILNS1_25lookback_scan_determinismE0ELb1ELb1ES3_N6thrust23THRUST_200600_302600_NS6detail15normal_iteratorINS9_10device_ptrIfEEEESE_fNS9_4plusIvEEfEEDaPvRmT3_T4_T5_mT6_P12ihipStream_tbENKUlT_T0_E_clISt17integral_constantIbLb0EEST_IbLb1EEEEDaSP_SQ_EUlSP_E0_NS1_11comp_targetILNS1_3genE2ELNS1_11target_archE906ELNS1_3gpuE6ELNS1_3repE0EEENS1_30default_config_static_selectorELNS0_4arch9wavefront6targetE1EEEvT1_
		.amdhsa_group_segment_fixed_size 0
		.amdhsa_private_segment_fixed_size 0
		.amdhsa_kernarg_size 32
		.amdhsa_user_sgpr_count 6
		.amdhsa_user_sgpr_private_segment_buffer 1
		.amdhsa_user_sgpr_dispatch_ptr 0
		.amdhsa_user_sgpr_queue_ptr 0
		.amdhsa_user_sgpr_kernarg_segment_ptr 1
		.amdhsa_user_sgpr_dispatch_id 0
		.amdhsa_user_sgpr_flat_scratch_init 0
		.amdhsa_user_sgpr_kernarg_preload_length 0
		.amdhsa_user_sgpr_kernarg_preload_offset 0
		.amdhsa_user_sgpr_private_segment_size 0
		.amdhsa_uses_dynamic_stack 0
		.amdhsa_system_sgpr_private_segment_wavefront_offset 0
		.amdhsa_system_sgpr_workgroup_id_x 1
		.amdhsa_system_sgpr_workgroup_id_y 0
		.amdhsa_system_sgpr_workgroup_id_z 0
		.amdhsa_system_sgpr_workgroup_info 0
		.amdhsa_system_vgpr_workitem_id 0
		.amdhsa_next_free_vgpr 1
		.amdhsa_next_free_sgpr 0
		.amdhsa_accum_offset 4
		.amdhsa_reserve_vcc 0
		.amdhsa_reserve_flat_scratch 0
		.amdhsa_float_round_mode_32 0
		.amdhsa_float_round_mode_16_64 0
		.amdhsa_float_denorm_mode_32 3
		.amdhsa_float_denorm_mode_16_64 3
		.amdhsa_dx10_clamp 1
		.amdhsa_ieee_mode 1
		.amdhsa_fp16_overflow 0
		.amdhsa_tg_split 0
		.amdhsa_exception_fp_ieee_invalid_op 0
		.amdhsa_exception_fp_denorm_src 0
		.amdhsa_exception_fp_ieee_div_zero 0
		.amdhsa_exception_fp_ieee_overflow 0
		.amdhsa_exception_fp_ieee_underflow 0
		.amdhsa_exception_fp_ieee_inexact 0
		.amdhsa_exception_int_div_zero 0
	.end_amdhsa_kernel
	.section	.text._ZN7rocprim17ROCPRIM_400000_NS6detail17trampoline_kernelINS0_14default_configENS1_20scan_config_selectorIfEEZZNS1_9scan_implILNS1_25lookback_scan_determinismE0ELb1ELb1ES3_N6thrust23THRUST_200600_302600_NS6detail15normal_iteratorINS9_10device_ptrIfEEEESE_fNS9_4plusIvEEfEEDaPvRmT3_T4_T5_mT6_P12ihipStream_tbENKUlT_T0_E_clISt17integral_constantIbLb0EEST_IbLb1EEEEDaSP_SQ_EUlSP_E0_NS1_11comp_targetILNS1_3genE2ELNS1_11target_archE906ELNS1_3gpuE6ELNS1_3repE0EEENS1_30default_config_static_selectorELNS0_4arch9wavefront6targetE1EEEvT1_,"axG",@progbits,_ZN7rocprim17ROCPRIM_400000_NS6detail17trampoline_kernelINS0_14default_configENS1_20scan_config_selectorIfEEZZNS1_9scan_implILNS1_25lookback_scan_determinismE0ELb1ELb1ES3_N6thrust23THRUST_200600_302600_NS6detail15normal_iteratorINS9_10device_ptrIfEEEESE_fNS9_4plusIvEEfEEDaPvRmT3_T4_T5_mT6_P12ihipStream_tbENKUlT_T0_E_clISt17integral_constantIbLb0EEST_IbLb1EEEEDaSP_SQ_EUlSP_E0_NS1_11comp_targetILNS1_3genE2ELNS1_11target_archE906ELNS1_3gpuE6ELNS1_3repE0EEENS1_30default_config_static_selectorELNS0_4arch9wavefront6targetE1EEEvT1_,comdat
.Lfunc_end4425:
	.size	_ZN7rocprim17ROCPRIM_400000_NS6detail17trampoline_kernelINS0_14default_configENS1_20scan_config_selectorIfEEZZNS1_9scan_implILNS1_25lookback_scan_determinismE0ELb1ELb1ES3_N6thrust23THRUST_200600_302600_NS6detail15normal_iteratorINS9_10device_ptrIfEEEESE_fNS9_4plusIvEEfEEDaPvRmT3_T4_T5_mT6_P12ihipStream_tbENKUlT_T0_E_clISt17integral_constantIbLb0EEST_IbLb1EEEEDaSP_SQ_EUlSP_E0_NS1_11comp_targetILNS1_3genE2ELNS1_11target_archE906ELNS1_3gpuE6ELNS1_3repE0EEENS1_30default_config_static_selectorELNS0_4arch9wavefront6targetE1EEEvT1_, .Lfunc_end4425-_ZN7rocprim17ROCPRIM_400000_NS6detail17trampoline_kernelINS0_14default_configENS1_20scan_config_selectorIfEEZZNS1_9scan_implILNS1_25lookback_scan_determinismE0ELb1ELb1ES3_N6thrust23THRUST_200600_302600_NS6detail15normal_iteratorINS9_10device_ptrIfEEEESE_fNS9_4plusIvEEfEEDaPvRmT3_T4_T5_mT6_P12ihipStream_tbENKUlT_T0_E_clISt17integral_constantIbLb0EEST_IbLb1EEEEDaSP_SQ_EUlSP_E0_NS1_11comp_targetILNS1_3genE2ELNS1_11target_archE906ELNS1_3gpuE6ELNS1_3repE0EEENS1_30default_config_static_selectorELNS0_4arch9wavefront6targetE1EEEvT1_
                                        ; -- End function
	.section	.AMDGPU.csdata,"",@progbits
; Kernel info:
; codeLenInByte = 0
; NumSgprs: 4
; NumVgprs: 0
; NumAgprs: 0
; TotalNumVgprs: 0
; ScratchSize: 0
; MemoryBound: 0
; FloatMode: 240
; IeeeMode: 1
; LDSByteSize: 0 bytes/workgroup (compile time only)
; SGPRBlocks: 0
; VGPRBlocks: 0
; NumSGPRsForWavesPerEU: 4
; NumVGPRsForWavesPerEU: 1
; AccumOffset: 4
; Occupancy: 8
; WaveLimiterHint : 0
; COMPUTE_PGM_RSRC2:SCRATCH_EN: 0
; COMPUTE_PGM_RSRC2:USER_SGPR: 6
; COMPUTE_PGM_RSRC2:TRAP_HANDLER: 0
; COMPUTE_PGM_RSRC2:TGID_X_EN: 1
; COMPUTE_PGM_RSRC2:TGID_Y_EN: 0
; COMPUTE_PGM_RSRC2:TGID_Z_EN: 0
; COMPUTE_PGM_RSRC2:TIDIG_COMP_CNT: 0
; COMPUTE_PGM_RSRC3_GFX90A:ACCUM_OFFSET: 0
; COMPUTE_PGM_RSRC3_GFX90A:TG_SPLIT: 0
	.section	.text._ZN7rocprim17ROCPRIM_400000_NS6detail17trampoline_kernelINS0_14default_configENS1_20scan_config_selectorIfEEZZNS1_9scan_implILNS1_25lookback_scan_determinismE0ELb1ELb1ES3_N6thrust23THRUST_200600_302600_NS6detail15normal_iteratorINS9_10device_ptrIfEEEESE_fNS9_4plusIvEEfEEDaPvRmT3_T4_T5_mT6_P12ihipStream_tbENKUlT_T0_E_clISt17integral_constantIbLb0EEST_IbLb1EEEEDaSP_SQ_EUlSP_E0_NS1_11comp_targetILNS1_3genE10ELNS1_11target_archE1201ELNS1_3gpuE5ELNS1_3repE0EEENS1_30default_config_static_selectorELNS0_4arch9wavefront6targetE1EEEvT1_,"axG",@progbits,_ZN7rocprim17ROCPRIM_400000_NS6detail17trampoline_kernelINS0_14default_configENS1_20scan_config_selectorIfEEZZNS1_9scan_implILNS1_25lookback_scan_determinismE0ELb1ELb1ES3_N6thrust23THRUST_200600_302600_NS6detail15normal_iteratorINS9_10device_ptrIfEEEESE_fNS9_4plusIvEEfEEDaPvRmT3_T4_T5_mT6_P12ihipStream_tbENKUlT_T0_E_clISt17integral_constantIbLb0EEST_IbLb1EEEEDaSP_SQ_EUlSP_E0_NS1_11comp_targetILNS1_3genE10ELNS1_11target_archE1201ELNS1_3gpuE5ELNS1_3repE0EEENS1_30default_config_static_selectorELNS0_4arch9wavefront6targetE1EEEvT1_,comdat
	.protected	_ZN7rocprim17ROCPRIM_400000_NS6detail17trampoline_kernelINS0_14default_configENS1_20scan_config_selectorIfEEZZNS1_9scan_implILNS1_25lookback_scan_determinismE0ELb1ELb1ES3_N6thrust23THRUST_200600_302600_NS6detail15normal_iteratorINS9_10device_ptrIfEEEESE_fNS9_4plusIvEEfEEDaPvRmT3_T4_T5_mT6_P12ihipStream_tbENKUlT_T0_E_clISt17integral_constantIbLb0EEST_IbLb1EEEEDaSP_SQ_EUlSP_E0_NS1_11comp_targetILNS1_3genE10ELNS1_11target_archE1201ELNS1_3gpuE5ELNS1_3repE0EEENS1_30default_config_static_selectorELNS0_4arch9wavefront6targetE1EEEvT1_ ; -- Begin function _ZN7rocprim17ROCPRIM_400000_NS6detail17trampoline_kernelINS0_14default_configENS1_20scan_config_selectorIfEEZZNS1_9scan_implILNS1_25lookback_scan_determinismE0ELb1ELb1ES3_N6thrust23THRUST_200600_302600_NS6detail15normal_iteratorINS9_10device_ptrIfEEEESE_fNS9_4plusIvEEfEEDaPvRmT3_T4_T5_mT6_P12ihipStream_tbENKUlT_T0_E_clISt17integral_constantIbLb0EEST_IbLb1EEEEDaSP_SQ_EUlSP_E0_NS1_11comp_targetILNS1_3genE10ELNS1_11target_archE1201ELNS1_3gpuE5ELNS1_3repE0EEENS1_30default_config_static_selectorELNS0_4arch9wavefront6targetE1EEEvT1_
	.globl	_ZN7rocprim17ROCPRIM_400000_NS6detail17trampoline_kernelINS0_14default_configENS1_20scan_config_selectorIfEEZZNS1_9scan_implILNS1_25lookback_scan_determinismE0ELb1ELb1ES3_N6thrust23THRUST_200600_302600_NS6detail15normal_iteratorINS9_10device_ptrIfEEEESE_fNS9_4plusIvEEfEEDaPvRmT3_T4_T5_mT6_P12ihipStream_tbENKUlT_T0_E_clISt17integral_constantIbLb0EEST_IbLb1EEEEDaSP_SQ_EUlSP_E0_NS1_11comp_targetILNS1_3genE10ELNS1_11target_archE1201ELNS1_3gpuE5ELNS1_3repE0EEENS1_30default_config_static_selectorELNS0_4arch9wavefront6targetE1EEEvT1_
	.p2align	8
	.type	_ZN7rocprim17ROCPRIM_400000_NS6detail17trampoline_kernelINS0_14default_configENS1_20scan_config_selectorIfEEZZNS1_9scan_implILNS1_25lookback_scan_determinismE0ELb1ELb1ES3_N6thrust23THRUST_200600_302600_NS6detail15normal_iteratorINS9_10device_ptrIfEEEESE_fNS9_4plusIvEEfEEDaPvRmT3_T4_T5_mT6_P12ihipStream_tbENKUlT_T0_E_clISt17integral_constantIbLb0EEST_IbLb1EEEEDaSP_SQ_EUlSP_E0_NS1_11comp_targetILNS1_3genE10ELNS1_11target_archE1201ELNS1_3gpuE5ELNS1_3repE0EEENS1_30default_config_static_selectorELNS0_4arch9wavefront6targetE1EEEvT1_,@function
_ZN7rocprim17ROCPRIM_400000_NS6detail17trampoline_kernelINS0_14default_configENS1_20scan_config_selectorIfEEZZNS1_9scan_implILNS1_25lookback_scan_determinismE0ELb1ELb1ES3_N6thrust23THRUST_200600_302600_NS6detail15normal_iteratorINS9_10device_ptrIfEEEESE_fNS9_4plusIvEEfEEDaPvRmT3_T4_T5_mT6_P12ihipStream_tbENKUlT_T0_E_clISt17integral_constantIbLb0EEST_IbLb1EEEEDaSP_SQ_EUlSP_E0_NS1_11comp_targetILNS1_3genE10ELNS1_11target_archE1201ELNS1_3gpuE5ELNS1_3repE0EEENS1_30default_config_static_selectorELNS0_4arch9wavefront6targetE1EEEvT1_: ; @_ZN7rocprim17ROCPRIM_400000_NS6detail17trampoline_kernelINS0_14default_configENS1_20scan_config_selectorIfEEZZNS1_9scan_implILNS1_25lookback_scan_determinismE0ELb1ELb1ES3_N6thrust23THRUST_200600_302600_NS6detail15normal_iteratorINS9_10device_ptrIfEEEESE_fNS9_4plusIvEEfEEDaPvRmT3_T4_T5_mT6_P12ihipStream_tbENKUlT_T0_E_clISt17integral_constantIbLb0EEST_IbLb1EEEEDaSP_SQ_EUlSP_E0_NS1_11comp_targetILNS1_3genE10ELNS1_11target_archE1201ELNS1_3gpuE5ELNS1_3repE0EEENS1_30default_config_static_selectorELNS0_4arch9wavefront6targetE1EEEvT1_
; %bb.0:
	.section	.rodata,"a",@progbits
	.p2align	6, 0x0
	.amdhsa_kernel _ZN7rocprim17ROCPRIM_400000_NS6detail17trampoline_kernelINS0_14default_configENS1_20scan_config_selectorIfEEZZNS1_9scan_implILNS1_25lookback_scan_determinismE0ELb1ELb1ES3_N6thrust23THRUST_200600_302600_NS6detail15normal_iteratorINS9_10device_ptrIfEEEESE_fNS9_4plusIvEEfEEDaPvRmT3_T4_T5_mT6_P12ihipStream_tbENKUlT_T0_E_clISt17integral_constantIbLb0EEST_IbLb1EEEEDaSP_SQ_EUlSP_E0_NS1_11comp_targetILNS1_3genE10ELNS1_11target_archE1201ELNS1_3gpuE5ELNS1_3repE0EEENS1_30default_config_static_selectorELNS0_4arch9wavefront6targetE1EEEvT1_
		.amdhsa_group_segment_fixed_size 0
		.amdhsa_private_segment_fixed_size 0
		.amdhsa_kernarg_size 32
		.amdhsa_user_sgpr_count 6
		.amdhsa_user_sgpr_private_segment_buffer 1
		.amdhsa_user_sgpr_dispatch_ptr 0
		.amdhsa_user_sgpr_queue_ptr 0
		.amdhsa_user_sgpr_kernarg_segment_ptr 1
		.amdhsa_user_sgpr_dispatch_id 0
		.amdhsa_user_sgpr_flat_scratch_init 0
		.amdhsa_user_sgpr_kernarg_preload_length 0
		.amdhsa_user_sgpr_kernarg_preload_offset 0
		.amdhsa_user_sgpr_private_segment_size 0
		.amdhsa_uses_dynamic_stack 0
		.amdhsa_system_sgpr_private_segment_wavefront_offset 0
		.amdhsa_system_sgpr_workgroup_id_x 1
		.amdhsa_system_sgpr_workgroup_id_y 0
		.amdhsa_system_sgpr_workgroup_id_z 0
		.amdhsa_system_sgpr_workgroup_info 0
		.amdhsa_system_vgpr_workitem_id 0
		.amdhsa_next_free_vgpr 1
		.amdhsa_next_free_sgpr 0
		.amdhsa_accum_offset 4
		.amdhsa_reserve_vcc 0
		.amdhsa_reserve_flat_scratch 0
		.amdhsa_float_round_mode_32 0
		.amdhsa_float_round_mode_16_64 0
		.amdhsa_float_denorm_mode_32 3
		.amdhsa_float_denorm_mode_16_64 3
		.amdhsa_dx10_clamp 1
		.amdhsa_ieee_mode 1
		.amdhsa_fp16_overflow 0
		.amdhsa_tg_split 0
		.amdhsa_exception_fp_ieee_invalid_op 0
		.amdhsa_exception_fp_denorm_src 0
		.amdhsa_exception_fp_ieee_div_zero 0
		.amdhsa_exception_fp_ieee_overflow 0
		.amdhsa_exception_fp_ieee_underflow 0
		.amdhsa_exception_fp_ieee_inexact 0
		.amdhsa_exception_int_div_zero 0
	.end_amdhsa_kernel
	.section	.text._ZN7rocprim17ROCPRIM_400000_NS6detail17trampoline_kernelINS0_14default_configENS1_20scan_config_selectorIfEEZZNS1_9scan_implILNS1_25lookback_scan_determinismE0ELb1ELb1ES3_N6thrust23THRUST_200600_302600_NS6detail15normal_iteratorINS9_10device_ptrIfEEEESE_fNS9_4plusIvEEfEEDaPvRmT3_T4_T5_mT6_P12ihipStream_tbENKUlT_T0_E_clISt17integral_constantIbLb0EEST_IbLb1EEEEDaSP_SQ_EUlSP_E0_NS1_11comp_targetILNS1_3genE10ELNS1_11target_archE1201ELNS1_3gpuE5ELNS1_3repE0EEENS1_30default_config_static_selectorELNS0_4arch9wavefront6targetE1EEEvT1_,"axG",@progbits,_ZN7rocprim17ROCPRIM_400000_NS6detail17trampoline_kernelINS0_14default_configENS1_20scan_config_selectorIfEEZZNS1_9scan_implILNS1_25lookback_scan_determinismE0ELb1ELb1ES3_N6thrust23THRUST_200600_302600_NS6detail15normal_iteratorINS9_10device_ptrIfEEEESE_fNS9_4plusIvEEfEEDaPvRmT3_T4_T5_mT6_P12ihipStream_tbENKUlT_T0_E_clISt17integral_constantIbLb0EEST_IbLb1EEEEDaSP_SQ_EUlSP_E0_NS1_11comp_targetILNS1_3genE10ELNS1_11target_archE1201ELNS1_3gpuE5ELNS1_3repE0EEENS1_30default_config_static_selectorELNS0_4arch9wavefront6targetE1EEEvT1_,comdat
.Lfunc_end4426:
	.size	_ZN7rocprim17ROCPRIM_400000_NS6detail17trampoline_kernelINS0_14default_configENS1_20scan_config_selectorIfEEZZNS1_9scan_implILNS1_25lookback_scan_determinismE0ELb1ELb1ES3_N6thrust23THRUST_200600_302600_NS6detail15normal_iteratorINS9_10device_ptrIfEEEESE_fNS9_4plusIvEEfEEDaPvRmT3_T4_T5_mT6_P12ihipStream_tbENKUlT_T0_E_clISt17integral_constantIbLb0EEST_IbLb1EEEEDaSP_SQ_EUlSP_E0_NS1_11comp_targetILNS1_3genE10ELNS1_11target_archE1201ELNS1_3gpuE5ELNS1_3repE0EEENS1_30default_config_static_selectorELNS0_4arch9wavefront6targetE1EEEvT1_, .Lfunc_end4426-_ZN7rocprim17ROCPRIM_400000_NS6detail17trampoline_kernelINS0_14default_configENS1_20scan_config_selectorIfEEZZNS1_9scan_implILNS1_25lookback_scan_determinismE0ELb1ELb1ES3_N6thrust23THRUST_200600_302600_NS6detail15normal_iteratorINS9_10device_ptrIfEEEESE_fNS9_4plusIvEEfEEDaPvRmT3_T4_T5_mT6_P12ihipStream_tbENKUlT_T0_E_clISt17integral_constantIbLb0EEST_IbLb1EEEEDaSP_SQ_EUlSP_E0_NS1_11comp_targetILNS1_3genE10ELNS1_11target_archE1201ELNS1_3gpuE5ELNS1_3repE0EEENS1_30default_config_static_selectorELNS0_4arch9wavefront6targetE1EEEvT1_
                                        ; -- End function
	.section	.AMDGPU.csdata,"",@progbits
; Kernel info:
; codeLenInByte = 0
; NumSgprs: 4
; NumVgprs: 0
; NumAgprs: 0
; TotalNumVgprs: 0
; ScratchSize: 0
; MemoryBound: 0
; FloatMode: 240
; IeeeMode: 1
; LDSByteSize: 0 bytes/workgroup (compile time only)
; SGPRBlocks: 0
; VGPRBlocks: 0
; NumSGPRsForWavesPerEU: 4
; NumVGPRsForWavesPerEU: 1
; AccumOffset: 4
; Occupancy: 8
; WaveLimiterHint : 0
; COMPUTE_PGM_RSRC2:SCRATCH_EN: 0
; COMPUTE_PGM_RSRC2:USER_SGPR: 6
; COMPUTE_PGM_RSRC2:TRAP_HANDLER: 0
; COMPUTE_PGM_RSRC2:TGID_X_EN: 1
; COMPUTE_PGM_RSRC2:TGID_Y_EN: 0
; COMPUTE_PGM_RSRC2:TGID_Z_EN: 0
; COMPUTE_PGM_RSRC2:TIDIG_COMP_CNT: 0
; COMPUTE_PGM_RSRC3_GFX90A:ACCUM_OFFSET: 0
; COMPUTE_PGM_RSRC3_GFX90A:TG_SPLIT: 0
	.section	.text._ZN7rocprim17ROCPRIM_400000_NS6detail17trampoline_kernelINS0_14default_configENS1_20scan_config_selectorIfEEZZNS1_9scan_implILNS1_25lookback_scan_determinismE0ELb1ELb1ES3_N6thrust23THRUST_200600_302600_NS6detail15normal_iteratorINS9_10device_ptrIfEEEESE_fNS9_4plusIvEEfEEDaPvRmT3_T4_T5_mT6_P12ihipStream_tbENKUlT_T0_E_clISt17integral_constantIbLb0EEST_IbLb1EEEEDaSP_SQ_EUlSP_E0_NS1_11comp_targetILNS1_3genE10ELNS1_11target_archE1200ELNS1_3gpuE4ELNS1_3repE0EEENS1_30default_config_static_selectorELNS0_4arch9wavefront6targetE1EEEvT1_,"axG",@progbits,_ZN7rocprim17ROCPRIM_400000_NS6detail17trampoline_kernelINS0_14default_configENS1_20scan_config_selectorIfEEZZNS1_9scan_implILNS1_25lookback_scan_determinismE0ELb1ELb1ES3_N6thrust23THRUST_200600_302600_NS6detail15normal_iteratorINS9_10device_ptrIfEEEESE_fNS9_4plusIvEEfEEDaPvRmT3_T4_T5_mT6_P12ihipStream_tbENKUlT_T0_E_clISt17integral_constantIbLb0EEST_IbLb1EEEEDaSP_SQ_EUlSP_E0_NS1_11comp_targetILNS1_3genE10ELNS1_11target_archE1200ELNS1_3gpuE4ELNS1_3repE0EEENS1_30default_config_static_selectorELNS0_4arch9wavefront6targetE1EEEvT1_,comdat
	.protected	_ZN7rocprim17ROCPRIM_400000_NS6detail17trampoline_kernelINS0_14default_configENS1_20scan_config_selectorIfEEZZNS1_9scan_implILNS1_25lookback_scan_determinismE0ELb1ELb1ES3_N6thrust23THRUST_200600_302600_NS6detail15normal_iteratorINS9_10device_ptrIfEEEESE_fNS9_4plusIvEEfEEDaPvRmT3_T4_T5_mT6_P12ihipStream_tbENKUlT_T0_E_clISt17integral_constantIbLb0EEST_IbLb1EEEEDaSP_SQ_EUlSP_E0_NS1_11comp_targetILNS1_3genE10ELNS1_11target_archE1200ELNS1_3gpuE4ELNS1_3repE0EEENS1_30default_config_static_selectorELNS0_4arch9wavefront6targetE1EEEvT1_ ; -- Begin function _ZN7rocprim17ROCPRIM_400000_NS6detail17trampoline_kernelINS0_14default_configENS1_20scan_config_selectorIfEEZZNS1_9scan_implILNS1_25lookback_scan_determinismE0ELb1ELb1ES3_N6thrust23THRUST_200600_302600_NS6detail15normal_iteratorINS9_10device_ptrIfEEEESE_fNS9_4plusIvEEfEEDaPvRmT3_T4_T5_mT6_P12ihipStream_tbENKUlT_T0_E_clISt17integral_constantIbLb0EEST_IbLb1EEEEDaSP_SQ_EUlSP_E0_NS1_11comp_targetILNS1_3genE10ELNS1_11target_archE1200ELNS1_3gpuE4ELNS1_3repE0EEENS1_30default_config_static_selectorELNS0_4arch9wavefront6targetE1EEEvT1_
	.globl	_ZN7rocprim17ROCPRIM_400000_NS6detail17trampoline_kernelINS0_14default_configENS1_20scan_config_selectorIfEEZZNS1_9scan_implILNS1_25lookback_scan_determinismE0ELb1ELb1ES3_N6thrust23THRUST_200600_302600_NS6detail15normal_iteratorINS9_10device_ptrIfEEEESE_fNS9_4plusIvEEfEEDaPvRmT3_T4_T5_mT6_P12ihipStream_tbENKUlT_T0_E_clISt17integral_constantIbLb0EEST_IbLb1EEEEDaSP_SQ_EUlSP_E0_NS1_11comp_targetILNS1_3genE10ELNS1_11target_archE1200ELNS1_3gpuE4ELNS1_3repE0EEENS1_30default_config_static_selectorELNS0_4arch9wavefront6targetE1EEEvT1_
	.p2align	8
	.type	_ZN7rocprim17ROCPRIM_400000_NS6detail17trampoline_kernelINS0_14default_configENS1_20scan_config_selectorIfEEZZNS1_9scan_implILNS1_25lookback_scan_determinismE0ELb1ELb1ES3_N6thrust23THRUST_200600_302600_NS6detail15normal_iteratorINS9_10device_ptrIfEEEESE_fNS9_4plusIvEEfEEDaPvRmT3_T4_T5_mT6_P12ihipStream_tbENKUlT_T0_E_clISt17integral_constantIbLb0EEST_IbLb1EEEEDaSP_SQ_EUlSP_E0_NS1_11comp_targetILNS1_3genE10ELNS1_11target_archE1200ELNS1_3gpuE4ELNS1_3repE0EEENS1_30default_config_static_selectorELNS0_4arch9wavefront6targetE1EEEvT1_,@function
_ZN7rocprim17ROCPRIM_400000_NS6detail17trampoline_kernelINS0_14default_configENS1_20scan_config_selectorIfEEZZNS1_9scan_implILNS1_25lookback_scan_determinismE0ELb1ELb1ES3_N6thrust23THRUST_200600_302600_NS6detail15normal_iteratorINS9_10device_ptrIfEEEESE_fNS9_4plusIvEEfEEDaPvRmT3_T4_T5_mT6_P12ihipStream_tbENKUlT_T0_E_clISt17integral_constantIbLb0EEST_IbLb1EEEEDaSP_SQ_EUlSP_E0_NS1_11comp_targetILNS1_3genE10ELNS1_11target_archE1200ELNS1_3gpuE4ELNS1_3repE0EEENS1_30default_config_static_selectorELNS0_4arch9wavefront6targetE1EEEvT1_: ; @_ZN7rocprim17ROCPRIM_400000_NS6detail17trampoline_kernelINS0_14default_configENS1_20scan_config_selectorIfEEZZNS1_9scan_implILNS1_25lookback_scan_determinismE0ELb1ELb1ES3_N6thrust23THRUST_200600_302600_NS6detail15normal_iteratorINS9_10device_ptrIfEEEESE_fNS9_4plusIvEEfEEDaPvRmT3_T4_T5_mT6_P12ihipStream_tbENKUlT_T0_E_clISt17integral_constantIbLb0EEST_IbLb1EEEEDaSP_SQ_EUlSP_E0_NS1_11comp_targetILNS1_3genE10ELNS1_11target_archE1200ELNS1_3gpuE4ELNS1_3repE0EEENS1_30default_config_static_selectorELNS0_4arch9wavefront6targetE1EEEvT1_
; %bb.0:
	.section	.rodata,"a",@progbits
	.p2align	6, 0x0
	.amdhsa_kernel _ZN7rocprim17ROCPRIM_400000_NS6detail17trampoline_kernelINS0_14default_configENS1_20scan_config_selectorIfEEZZNS1_9scan_implILNS1_25lookback_scan_determinismE0ELb1ELb1ES3_N6thrust23THRUST_200600_302600_NS6detail15normal_iteratorINS9_10device_ptrIfEEEESE_fNS9_4plusIvEEfEEDaPvRmT3_T4_T5_mT6_P12ihipStream_tbENKUlT_T0_E_clISt17integral_constantIbLb0EEST_IbLb1EEEEDaSP_SQ_EUlSP_E0_NS1_11comp_targetILNS1_3genE10ELNS1_11target_archE1200ELNS1_3gpuE4ELNS1_3repE0EEENS1_30default_config_static_selectorELNS0_4arch9wavefront6targetE1EEEvT1_
		.amdhsa_group_segment_fixed_size 0
		.amdhsa_private_segment_fixed_size 0
		.amdhsa_kernarg_size 32
		.amdhsa_user_sgpr_count 6
		.amdhsa_user_sgpr_private_segment_buffer 1
		.amdhsa_user_sgpr_dispatch_ptr 0
		.amdhsa_user_sgpr_queue_ptr 0
		.amdhsa_user_sgpr_kernarg_segment_ptr 1
		.amdhsa_user_sgpr_dispatch_id 0
		.amdhsa_user_sgpr_flat_scratch_init 0
		.amdhsa_user_sgpr_kernarg_preload_length 0
		.amdhsa_user_sgpr_kernarg_preload_offset 0
		.amdhsa_user_sgpr_private_segment_size 0
		.amdhsa_uses_dynamic_stack 0
		.amdhsa_system_sgpr_private_segment_wavefront_offset 0
		.amdhsa_system_sgpr_workgroup_id_x 1
		.amdhsa_system_sgpr_workgroup_id_y 0
		.amdhsa_system_sgpr_workgroup_id_z 0
		.amdhsa_system_sgpr_workgroup_info 0
		.amdhsa_system_vgpr_workitem_id 0
		.amdhsa_next_free_vgpr 1
		.amdhsa_next_free_sgpr 0
		.amdhsa_accum_offset 4
		.amdhsa_reserve_vcc 0
		.amdhsa_reserve_flat_scratch 0
		.amdhsa_float_round_mode_32 0
		.amdhsa_float_round_mode_16_64 0
		.amdhsa_float_denorm_mode_32 3
		.amdhsa_float_denorm_mode_16_64 3
		.amdhsa_dx10_clamp 1
		.amdhsa_ieee_mode 1
		.amdhsa_fp16_overflow 0
		.amdhsa_tg_split 0
		.amdhsa_exception_fp_ieee_invalid_op 0
		.amdhsa_exception_fp_denorm_src 0
		.amdhsa_exception_fp_ieee_div_zero 0
		.amdhsa_exception_fp_ieee_overflow 0
		.amdhsa_exception_fp_ieee_underflow 0
		.amdhsa_exception_fp_ieee_inexact 0
		.amdhsa_exception_int_div_zero 0
	.end_amdhsa_kernel
	.section	.text._ZN7rocprim17ROCPRIM_400000_NS6detail17trampoline_kernelINS0_14default_configENS1_20scan_config_selectorIfEEZZNS1_9scan_implILNS1_25lookback_scan_determinismE0ELb1ELb1ES3_N6thrust23THRUST_200600_302600_NS6detail15normal_iteratorINS9_10device_ptrIfEEEESE_fNS9_4plusIvEEfEEDaPvRmT3_T4_T5_mT6_P12ihipStream_tbENKUlT_T0_E_clISt17integral_constantIbLb0EEST_IbLb1EEEEDaSP_SQ_EUlSP_E0_NS1_11comp_targetILNS1_3genE10ELNS1_11target_archE1200ELNS1_3gpuE4ELNS1_3repE0EEENS1_30default_config_static_selectorELNS0_4arch9wavefront6targetE1EEEvT1_,"axG",@progbits,_ZN7rocprim17ROCPRIM_400000_NS6detail17trampoline_kernelINS0_14default_configENS1_20scan_config_selectorIfEEZZNS1_9scan_implILNS1_25lookback_scan_determinismE0ELb1ELb1ES3_N6thrust23THRUST_200600_302600_NS6detail15normal_iteratorINS9_10device_ptrIfEEEESE_fNS9_4plusIvEEfEEDaPvRmT3_T4_T5_mT6_P12ihipStream_tbENKUlT_T0_E_clISt17integral_constantIbLb0EEST_IbLb1EEEEDaSP_SQ_EUlSP_E0_NS1_11comp_targetILNS1_3genE10ELNS1_11target_archE1200ELNS1_3gpuE4ELNS1_3repE0EEENS1_30default_config_static_selectorELNS0_4arch9wavefront6targetE1EEEvT1_,comdat
.Lfunc_end4427:
	.size	_ZN7rocprim17ROCPRIM_400000_NS6detail17trampoline_kernelINS0_14default_configENS1_20scan_config_selectorIfEEZZNS1_9scan_implILNS1_25lookback_scan_determinismE0ELb1ELb1ES3_N6thrust23THRUST_200600_302600_NS6detail15normal_iteratorINS9_10device_ptrIfEEEESE_fNS9_4plusIvEEfEEDaPvRmT3_T4_T5_mT6_P12ihipStream_tbENKUlT_T0_E_clISt17integral_constantIbLb0EEST_IbLb1EEEEDaSP_SQ_EUlSP_E0_NS1_11comp_targetILNS1_3genE10ELNS1_11target_archE1200ELNS1_3gpuE4ELNS1_3repE0EEENS1_30default_config_static_selectorELNS0_4arch9wavefront6targetE1EEEvT1_, .Lfunc_end4427-_ZN7rocprim17ROCPRIM_400000_NS6detail17trampoline_kernelINS0_14default_configENS1_20scan_config_selectorIfEEZZNS1_9scan_implILNS1_25lookback_scan_determinismE0ELb1ELb1ES3_N6thrust23THRUST_200600_302600_NS6detail15normal_iteratorINS9_10device_ptrIfEEEESE_fNS9_4plusIvEEfEEDaPvRmT3_T4_T5_mT6_P12ihipStream_tbENKUlT_T0_E_clISt17integral_constantIbLb0EEST_IbLb1EEEEDaSP_SQ_EUlSP_E0_NS1_11comp_targetILNS1_3genE10ELNS1_11target_archE1200ELNS1_3gpuE4ELNS1_3repE0EEENS1_30default_config_static_selectorELNS0_4arch9wavefront6targetE1EEEvT1_
                                        ; -- End function
	.section	.AMDGPU.csdata,"",@progbits
; Kernel info:
; codeLenInByte = 0
; NumSgprs: 4
; NumVgprs: 0
; NumAgprs: 0
; TotalNumVgprs: 0
; ScratchSize: 0
; MemoryBound: 0
; FloatMode: 240
; IeeeMode: 1
; LDSByteSize: 0 bytes/workgroup (compile time only)
; SGPRBlocks: 0
; VGPRBlocks: 0
; NumSGPRsForWavesPerEU: 4
; NumVGPRsForWavesPerEU: 1
; AccumOffset: 4
; Occupancy: 8
; WaveLimiterHint : 0
; COMPUTE_PGM_RSRC2:SCRATCH_EN: 0
; COMPUTE_PGM_RSRC2:USER_SGPR: 6
; COMPUTE_PGM_RSRC2:TRAP_HANDLER: 0
; COMPUTE_PGM_RSRC2:TGID_X_EN: 1
; COMPUTE_PGM_RSRC2:TGID_Y_EN: 0
; COMPUTE_PGM_RSRC2:TGID_Z_EN: 0
; COMPUTE_PGM_RSRC2:TIDIG_COMP_CNT: 0
; COMPUTE_PGM_RSRC3_GFX90A:ACCUM_OFFSET: 0
; COMPUTE_PGM_RSRC3_GFX90A:TG_SPLIT: 0
	.section	.text._ZN7rocprim17ROCPRIM_400000_NS6detail17trampoline_kernelINS0_14default_configENS1_20scan_config_selectorIfEEZZNS1_9scan_implILNS1_25lookback_scan_determinismE0ELb1ELb1ES3_N6thrust23THRUST_200600_302600_NS6detail15normal_iteratorINS9_10device_ptrIfEEEESE_fNS9_4plusIvEEfEEDaPvRmT3_T4_T5_mT6_P12ihipStream_tbENKUlT_T0_E_clISt17integral_constantIbLb0EEST_IbLb1EEEEDaSP_SQ_EUlSP_E0_NS1_11comp_targetILNS1_3genE9ELNS1_11target_archE1100ELNS1_3gpuE3ELNS1_3repE0EEENS1_30default_config_static_selectorELNS0_4arch9wavefront6targetE1EEEvT1_,"axG",@progbits,_ZN7rocprim17ROCPRIM_400000_NS6detail17trampoline_kernelINS0_14default_configENS1_20scan_config_selectorIfEEZZNS1_9scan_implILNS1_25lookback_scan_determinismE0ELb1ELb1ES3_N6thrust23THRUST_200600_302600_NS6detail15normal_iteratorINS9_10device_ptrIfEEEESE_fNS9_4plusIvEEfEEDaPvRmT3_T4_T5_mT6_P12ihipStream_tbENKUlT_T0_E_clISt17integral_constantIbLb0EEST_IbLb1EEEEDaSP_SQ_EUlSP_E0_NS1_11comp_targetILNS1_3genE9ELNS1_11target_archE1100ELNS1_3gpuE3ELNS1_3repE0EEENS1_30default_config_static_selectorELNS0_4arch9wavefront6targetE1EEEvT1_,comdat
	.protected	_ZN7rocprim17ROCPRIM_400000_NS6detail17trampoline_kernelINS0_14default_configENS1_20scan_config_selectorIfEEZZNS1_9scan_implILNS1_25lookback_scan_determinismE0ELb1ELb1ES3_N6thrust23THRUST_200600_302600_NS6detail15normal_iteratorINS9_10device_ptrIfEEEESE_fNS9_4plusIvEEfEEDaPvRmT3_T4_T5_mT6_P12ihipStream_tbENKUlT_T0_E_clISt17integral_constantIbLb0EEST_IbLb1EEEEDaSP_SQ_EUlSP_E0_NS1_11comp_targetILNS1_3genE9ELNS1_11target_archE1100ELNS1_3gpuE3ELNS1_3repE0EEENS1_30default_config_static_selectorELNS0_4arch9wavefront6targetE1EEEvT1_ ; -- Begin function _ZN7rocprim17ROCPRIM_400000_NS6detail17trampoline_kernelINS0_14default_configENS1_20scan_config_selectorIfEEZZNS1_9scan_implILNS1_25lookback_scan_determinismE0ELb1ELb1ES3_N6thrust23THRUST_200600_302600_NS6detail15normal_iteratorINS9_10device_ptrIfEEEESE_fNS9_4plusIvEEfEEDaPvRmT3_T4_T5_mT6_P12ihipStream_tbENKUlT_T0_E_clISt17integral_constantIbLb0EEST_IbLb1EEEEDaSP_SQ_EUlSP_E0_NS1_11comp_targetILNS1_3genE9ELNS1_11target_archE1100ELNS1_3gpuE3ELNS1_3repE0EEENS1_30default_config_static_selectorELNS0_4arch9wavefront6targetE1EEEvT1_
	.globl	_ZN7rocprim17ROCPRIM_400000_NS6detail17trampoline_kernelINS0_14default_configENS1_20scan_config_selectorIfEEZZNS1_9scan_implILNS1_25lookback_scan_determinismE0ELb1ELb1ES3_N6thrust23THRUST_200600_302600_NS6detail15normal_iteratorINS9_10device_ptrIfEEEESE_fNS9_4plusIvEEfEEDaPvRmT3_T4_T5_mT6_P12ihipStream_tbENKUlT_T0_E_clISt17integral_constantIbLb0EEST_IbLb1EEEEDaSP_SQ_EUlSP_E0_NS1_11comp_targetILNS1_3genE9ELNS1_11target_archE1100ELNS1_3gpuE3ELNS1_3repE0EEENS1_30default_config_static_selectorELNS0_4arch9wavefront6targetE1EEEvT1_
	.p2align	8
	.type	_ZN7rocprim17ROCPRIM_400000_NS6detail17trampoline_kernelINS0_14default_configENS1_20scan_config_selectorIfEEZZNS1_9scan_implILNS1_25lookback_scan_determinismE0ELb1ELb1ES3_N6thrust23THRUST_200600_302600_NS6detail15normal_iteratorINS9_10device_ptrIfEEEESE_fNS9_4plusIvEEfEEDaPvRmT3_T4_T5_mT6_P12ihipStream_tbENKUlT_T0_E_clISt17integral_constantIbLb0EEST_IbLb1EEEEDaSP_SQ_EUlSP_E0_NS1_11comp_targetILNS1_3genE9ELNS1_11target_archE1100ELNS1_3gpuE3ELNS1_3repE0EEENS1_30default_config_static_selectorELNS0_4arch9wavefront6targetE1EEEvT1_,@function
_ZN7rocprim17ROCPRIM_400000_NS6detail17trampoline_kernelINS0_14default_configENS1_20scan_config_selectorIfEEZZNS1_9scan_implILNS1_25lookback_scan_determinismE0ELb1ELb1ES3_N6thrust23THRUST_200600_302600_NS6detail15normal_iteratorINS9_10device_ptrIfEEEESE_fNS9_4plusIvEEfEEDaPvRmT3_T4_T5_mT6_P12ihipStream_tbENKUlT_T0_E_clISt17integral_constantIbLb0EEST_IbLb1EEEEDaSP_SQ_EUlSP_E0_NS1_11comp_targetILNS1_3genE9ELNS1_11target_archE1100ELNS1_3gpuE3ELNS1_3repE0EEENS1_30default_config_static_selectorELNS0_4arch9wavefront6targetE1EEEvT1_: ; @_ZN7rocprim17ROCPRIM_400000_NS6detail17trampoline_kernelINS0_14default_configENS1_20scan_config_selectorIfEEZZNS1_9scan_implILNS1_25lookback_scan_determinismE0ELb1ELb1ES3_N6thrust23THRUST_200600_302600_NS6detail15normal_iteratorINS9_10device_ptrIfEEEESE_fNS9_4plusIvEEfEEDaPvRmT3_T4_T5_mT6_P12ihipStream_tbENKUlT_T0_E_clISt17integral_constantIbLb0EEST_IbLb1EEEEDaSP_SQ_EUlSP_E0_NS1_11comp_targetILNS1_3genE9ELNS1_11target_archE1100ELNS1_3gpuE3ELNS1_3repE0EEENS1_30default_config_static_selectorELNS0_4arch9wavefront6targetE1EEEvT1_
; %bb.0:
	.section	.rodata,"a",@progbits
	.p2align	6, 0x0
	.amdhsa_kernel _ZN7rocprim17ROCPRIM_400000_NS6detail17trampoline_kernelINS0_14default_configENS1_20scan_config_selectorIfEEZZNS1_9scan_implILNS1_25lookback_scan_determinismE0ELb1ELb1ES3_N6thrust23THRUST_200600_302600_NS6detail15normal_iteratorINS9_10device_ptrIfEEEESE_fNS9_4plusIvEEfEEDaPvRmT3_T4_T5_mT6_P12ihipStream_tbENKUlT_T0_E_clISt17integral_constantIbLb0EEST_IbLb1EEEEDaSP_SQ_EUlSP_E0_NS1_11comp_targetILNS1_3genE9ELNS1_11target_archE1100ELNS1_3gpuE3ELNS1_3repE0EEENS1_30default_config_static_selectorELNS0_4arch9wavefront6targetE1EEEvT1_
		.amdhsa_group_segment_fixed_size 0
		.amdhsa_private_segment_fixed_size 0
		.amdhsa_kernarg_size 32
		.amdhsa_user_sgpr_count 6
		.amdhsa_user_sgpr_private_segment_buffer 1
		.amdhsa_user_sgpr_dispatch_ptr 0
		.amdhsa_user_sgpr_queue_ptr 0
		.amdhsa_user_sgpr_kernarg_segment_ptr 1
		.amdhsa_user_sgpr_dispatch_id 0
		.amdhsa_user_sgpr_flat_scratch_init 0
		.amdhsa_user_sgpr_kernarg_preload_length 0
		.amdhsa_user_sgpr_kernarg_preload_offset 0
		.amdhsa_user_sgpr_private_segment_size 0
		.amdhsa_uses_dynamic_stack 0
		.amdhsa_system_sgpr_private_segment_wavefront_offset 0
		.amdhsa_system_sgpr_workgroup_id_x 1
		.amdhsa_system_sgpr_workgroup_id_y 0
		.amdhsa_system_sgpr_workgroup_id_z 0
		.amdhsa_system_sgpr_workgroup_info 0
		.amdhsa_system_vgpr_workitem_id 0
		.amdhsa_next_free_vgpr 1
		.amdhsa_next_free_sgpr 0
		.amdhsa_accum_offset 4
		.amdhsa_reserve_vcc 0
		.amdhsa_reserve_flat_scratch 0
		.amdhsa_float_round_mode_32 0
		.amdhsa_float_round_mode_16_64 0
		.amdhsa_float_denorm_mode_32 3
		.amdhsa_float_denorm_mode_16_64 3
		.amdhsa_dx10_clamp 1
		.amdhsa_ieee_mode 1
		.amdhsa_fp16_overflow 0
		.amdhsa_tg_split 0
		.amdhsa_exception_fp_ieee_invalid_op 0
		.amdhsa_exception_fp_denorm_src 0
		.amdhsa_exception_fp_ieee_div_zero 0
		.amdhsa_exception_fp_ieee_overflow 0
		.amdhsa_exception_fp_ieee_underflow 0
		.amdhsa_exception_fp_ieee_inexact 0
		.amdhsa_exception_int_div_zero 0
	.end_amdhsa_kernel
	.section	.text._ZN7rocprim17ROCPRIM_400000_NS6detail17trampoline_kernelINS0_14default_configENS1_20scan_config_selectorIfEEZZNS1_9scan_implILNS1_25lookback_scan_determinismE0ELb1ELb1ES3_N6thrust23THRUST_200600_302600_NS6detail15normal_iteratorINS9_10device_ptrIfEEEESE_fNS9_4plusIvEEfEEDaPvRmT3_T4_T5_mT6_P12ihipStream_tbENKUlT_T0_E_clISt17integral_constantIbLb0EEST_IbLb1EEEEDaSP_SQ_EUlSP_E0_NS1_11comp_targetILNS1_3genE9ELNS1_11target_archE1100ELNS1_3gpuE3ELNS1_3repE0EEENS1_30default_config_static_selectorELNS0_4arch9wavefront6targetE1EEEvT1_,"axG",@progbits,_ZN7rocprim17ROCPRIM_400000_NS6detail17trampoline_kernelINS0_14default_configENS1_20scan_config_selectorIfEEZZNS1_9scan_implILNS1_25lookback_scan_determinismE0ELb1ELb1ES3_N6thrust23THRUST_200600_302600_NS6detail15normal_iteratorINS9_10device_ptrIfEEEESE_fNS9_4plusIvEEfEEDaPvRmT3_T4_T5_mT6_P12ihipStream_tbENKUlT_T0_E_clISt17integral_constantIbLb0EEST_IbLb1EEEEDaSP_SQ_EUlSP_E0_NS1_11comp_targetILNS1_3genE9ELNS1_11target_archE1100ELNS1_3gpuE3ELNS1_3repE0EEENS1_30default_config_static_selectorELNS0_4arch9wavefront6targetE1EEEvT1_,comdat
.Lfunc_end4428:
	.size	_ZN7rocprim17ROCPRIM_400000_NS6detail17trampoline_kernelINS0_14default_configENS1_20scan_config_selectorIfEEZZNS1_9scan_implILNS1_25lookback_scan_determinismE0ELb1ELb1ES3_N6thrust23THRUST_200600_302600_NS6detail15normal_iteratorINS9_10device_ptrIfEEEESE_fNS9_4plusIvEEfEEDaPvRmT3_T4_T5_mT6_P12ihipStream_tbENKUlT_T0_E_clISt17integral_constantIbLb0EEST_IbLb1EEEEDaSP_SQ_EUlSP_E0_NS1_11comp_targetILNS1_3genE9ELNS1_11target_archE1100ELNS1_3gpuE3ELNS1_3repE0EEENS1_30default_config_static_selectorELNS0_4arch9wavefront6targetE1EEEvT1_, .Lfunc_end4428-_ZN7rocprim17ROCPRIM_400000_NS6detail17trampoline_kernelINS0_14default_configENS1_20scan_config_selectorIfEEZZNS1_9scan_implILNS1_25lookback_scan_determinismE0ELb1ELb1ES3_N6thrust23THRUST_200600_302600_NS6detail15normal_iteratorINS9_10device_ptrIfEEEESE_fNS9_4plusIvEEfEEDaPvRmT3_T4_T5_mT6_P12ihipStream_tbENKUlT_T0_E_clISt17integral_constantIbLb0EEST_IbLb1EEEEDaSP_SQ_EUlSP_E0_NS1_11comp_targetILNS1_3genE9ELNS1_11target_archE1100ELNS1_3gpuE3ELNS1_3repE0EEENS1_30default_config_static_selectorELNS0_4arch9wavefront6targetE1EEEvT1_
                                        ; -- End function
	.section	.AMDGPU.csdata,"",@progbits
; Kernel info:
; codeLenInByte = 0
; NumSgprs: 4
; NumVgprs: 0
; NumAgprs: 0
; TotalNumVgprs: 0
; ScratchSize: 0
; MemoryBound: 0
; FloatMode: 240
; IeeeMode: 1
; LDSByteSize: 0 bytes/workgroup (compile time only)
; SGPRBlocks: 0
; VGPRBlocks: 0
; NumSGPRsForWavesPerEU: 4
; NumVGPRsForWavesPerEU: 1
; AccumOffset: 4
; Occupancy: 8
; WaveLimiterHint : 0
; COMPUTE_PGM_RSRC2:SCRATCH_EN: 0
; COMPUTE_PGM_RSRC2:USER_SGPR: 6
; COMPUTE_PGM_RSRC2:TRAP_HANDLER: 0
; COMPUTE_PGM_RSRC2:TGID_X_EN: 1
; COMPUTE_PGM_RSRC2:TGID_Y_EN: 0
; COMPUTE_PGM_RSRC2:TGID_Z_EN: 0
; COMPUTE_PGM_RSRC2:TIDIG_COMP_CNT: 0
; COMPUTE_PGM_RSRC3_GFX90A:ACCUM_OFFSET: 0
; COMPUTE_PGM_RSRC3_GFX90A:TG_SPLIT: 0
	.section	.text._ZN7rocprim17ROCPRIM_400000_NS6detail17trampoline_kernelINS0_14default_configENS1_20scan_config_selectorIfEEZZNS1_9scan_implILNS1_25lookback_scan_determinismE0ELb1ELb1ES3_N6thrust23THRUST_200600_302600_NS6detail15normal_iteratorINS9_10device_ptrIfEEEESE_fNS9_4plusIvEEfEEDaPvRmT3_T4_T5_mT6_P12ihipStream_tbENKUlT_T0_E_clISt17integral_constantIbLb0EEST_IbLb1EEEEDaSP_SQ_EUlSP_E0_NS1_11comp_targetILNS1_3genE8ELNS1_11target_archE1030ELNS1_3gpuE2ELNS1_3repE0EEENS1_30default_config_static_selectorELNS0_4arch9wavefront6targetE1EEEvT1_,"axG",@progbits,_ZN7rocprim17ROCPRIM_400000_NS6detail17trampoline_kernelINS0_14default_configENS1_20scan_config_selectorIfEEZZNS1_9scan_implILNS1_25lookback_scan_determinismE0ELb1ELb1ES3_N6thrust23THRUST_200600_302600_NS6detail15normal_iteratorINS9_10device_ptrIfEEEESE_fNS9_4plusIvEEfEEDaPvRmT3_T4_T5_mT6_P12ihipStream_tbENKUlT_T0_E_clISt17integral_constantIbLb0EEST_IbLb1EEEEDaSP_SQ_EUlSP_E0_NS1_11comp_targetILNS1_3genE8ELNS1_11target_archE1030ELNS1_3gpuE2ELNS1_3repE0EEENS1_30default_config_static_selectorELNS0_4arch9wavefront6targetE1EEEvT1_,comdat
	.protected	_ZN7rocprim17ROCPRIM_400000_NS6detail17trampoline_kernelINS0_14default_configENS1_20scan_config_selectorIfEEZZNS1_9scan_implILNS1_25lookback_scan_determinismE0ELb1ELb1ES3_N6thrust23THRUST_200600_302600_NS6detail15normal_iteratorINS9_10device_ptrIfEEEESE_fNS9_4plusIvEEfEEDaPvRmT3_T4_T5_mT6_P12ihipStream_tbENKUlT_T0_E_clISt17integral_constantIbLb0EEST_IbLb1EEEEDaSP_SQ_EUlSP_E0_NS1_11comp_targetILNS1_3genE8ELNS1_11target_archE1030ELNS1_3gpuE2ELNS1_3repE0EEENS1_30default_config_static_selectorELNS0_4arch9wavefront6targetE1EEEvT1_ ; -- Begin function _ZN7rocprim17ROCPRIM_400000_NS6detail17trampoline_kernelINS0_14default_configENS1_20scan_config_selectorIfEEZZNS1_9scan_implILNS1_25lookback_scan_determinismE0ELb1ELb1ES3_N6thrust23THRUST_200600_302600_NS6detail15normal_iteratorINS9_10device_ptrIfEEEESE_fNS9_4plusIvEEfEEDaPvRmT3_T4_T5_mT6_P12ihipStream_tbENKUlT_T0_E_clISt17integral_constantIbLb0EEST_IbLb1EEEEDaSP_SQ_EUlSP_E0_NS1_11comp_targetILNS1_3genE8ELNS1_11target_archE1030ELNS1_3gpuE2ELNS1_3repE0EEENS1_30default_config_static_selectorELNS0_4arch9wavefront6targetE1EEEvT1_
	.globl	_ZN7rocprim17ROCPRIM_400000_NS6detail17trampoline_kernelINS0_14default_configENS1_20scan_config_selectorIfEEZZNS1_9scan_implILNS1_25lookback_scan_determinismE0ELb1ELb1ES3_N6thrust23THRUST_200600_302600_NS6detail15normal_iteratorINS9_10device_ptrIfEEEESE_fNS9_4plusIvEEfEEDaPvRmT3_T4_T5_mT6_P12ihipStream_tbENKUlT_T0_E_clISt17integral_constantIbLb0EEST_IbLb1EEEEDaSP_SQ_EUlSP_E0_NS1_11comp_targetILNS1_3genE8ELNS1_11target_archE1030ELNS1_3gpuE2ELNS1_3repE0EEENS1_30default_config_static_selectorELNS0_4arch9wavefront6targetE1EEEvT1_
	.p2align	8
	.type	_ZN7rocprim17ROCPRIM_400000_NS6detail17trampoline_kernelINS0_14default_configENS1_20scan_config_selectorIfEEZZNS1_9scan_implILNS1_25lookback_scan_determinismE0ELb1ELb1ES3_N6thrust23THRUST_200600_302600_NS6detail15normal_iteratorINS9_10device_ptrIfEEEESE_fNS9_4plusIvEEfEEDaPvRmT3_T4_T5_mT6_P12ihipStream_tbENKUlT_T0_E_clISt17integral_constantIbLb0EEST_IbLb1EEEEDaSP_SQ_EUlSP_E0_NS1_11comp_targetILNS1_3genE8ELNS1_11target_archE1030ELNS1_3gpuE2ELNS1_3repE0EEENS1_30default_config_static_selectorELNS0_4arch9wavefront6targetE1EEEvT1_,@function
_ZN7rocprim17ROCPRIM_400000_NS6detail17trampoline_kernelINS0_14default_configENS1_20scan_config_selectorIfEEZZNS1_9scan_implILNS1_25lookback_scan_determinismE0ELb1ELb1ES3_N6thrust23THRUST_200600_302600_NS6detail15normal_iteratorINS9_10device_ptrIfEEEESE_fNS9_4plusIvEEfEEDaPvRmT3_T4_T5_mT6_P12ihipStream_tbENKUlT_T0_E_clISt17integral_constantIbLb0EEST_IbLb1EEEEDaSP_SQ_EUlSP_E0_NS1_11comp_targetILNS1_3genE8ELNS1_11target_archE1030ELNS1_3gpuE2ELNS1_3repE0EEENS1_30default_config_static_selectorELNS0_4arch9wavefront6targetE1EEEvT1_: ; @_ZN7rocprim17ROCPRIM_400000_NS6detail17trampoline_kernelINS0_14default_configENS1_20scan_config_selectorIfEEZZNS1_9scan_implILNS1_25lookback_scan_determinismE0ELb1ELb1ES3_N6thrust23THRUST_200600_302600_NS6detail15normal_iteratorINS9_10device_ptrIfEEEESE_fNS9_4plusIvEEfEEDaPvRmT3_T4_T5_mT6_P12ihipStream_tbENKUlT_T0_E_clISt17integral_constantIbLb0EEST_IbLb1EEEEDaSP_SQ_EUlSP_E0_NS1_11comp_targetILNS1_3genE8ELNS1_11target_archE1030ELNS1_3gpuE2ELNS1_3repE0EEENS1_30default_config_static_selectorELNS0_4arch9wavefront6targetE1EEEvT1_
; %bb.0:
	.section	.rodata,"a",@progbits
	.p2align	6, 0x0
	.amdhsa_kernel _ZN7rocprim17ROCPRIM_400000_NS6detail17trampoline_kernelINS0_14default_configENS1_20scan_config_selectorIfEEZZNS1_9scan_implILNS1_25lookback_scan_determinismE0ELb1ELb1ES3_N6thrust23THRUST_200600_302600_NS6detail15normal_iteratorINS9_10device_ptrIfEEEESE_fNS9_4plusIvEEfEEDaPvRmT3_T4_T5_mT6_P12ihipStream_tbENKUlT_T0_E_clISt17integral_constantIbLb0EEST_IbLb1EEEEDaSP_SQ_EUlSP_E0_NS1_11comp_targetILNS1_3genE8ELNS1_11target_archE1030ELNS1_3gpuE2ELNS1_3repE0EEENS1_30default_config_static_selectorELNS0_4arch9wavefront6targetE1EEEvT1_
		.amdhsa_group_segment_fixed_size 0
		.amdhsa_private_segment_fixed_size 0
		.amdhsa_kernarg_size 32
		.amdhsa_user_sgpr_count 6
		.amdhsa_user_sgpr_private_segment_buffer 1
		.amdhsa_user_sgpr_dispatch_ptr 0
		.amdhsa_user_sgpr_queue_ptr 0
		.amdhsa_user_sgpr_kernarg_segment_ptr 1
		.amdhsa_user_sgpr_dispatch_id 0
		.amdhsa_user_sgpr_flat_scratch_init 0
		.amdhsa_user_sgpr_kernarg_preload_length 0
		.amdhsa_user_sgpr_kernarg_preload_offset 0
		.amdhsa_user_sgpr_private_segment_size 0
		.amdhsa_uses_dynamic_stack 0
		.amdhsa_system_sgpr_private_segment_wavefront_offset 0
		.amdhsa_system_sgpr_workgroup_id_x 1
		.amdhsa_system_sgpr_workgroup_id_y 0
		.amdhsa_system_sgpr_workgroup_id_z 0
		.amdhsa_system_sgpr_workgroup_info 0
		.amdhsa_system_vgpr_workitem_id 0
		.amdhsa_next_free_vgpr 1
		.amdhsa_next_free_sgpr 0
		.amdhsa_accum_offset 4
		.amdhsa_reserve_vcc 0
		.amdhsa_reserve_flat_scratch 0
		.amdhsa_float_round_mode_32 0
		.amdhsa_float_round_mode_16_64 0
		.amdhsa_float_denorm_mode_32 3
		.amdhsa_float_denorm_mode_16_64 3
		.amdhsa_dx10_clamp 1
		.amdhsa_ieee_mode 1
		.amdhsa_fp16_overflow 0
		.amdhsa_tg_split 0
		.amdhsa_exception_fp_ieee_invalid_op 0
		.amdhsa_exception_fp_denorm_src 0
		.amdhsa_exception_fp_ieee_div_zero 0
		.amdhsa_exception_fp_ieee_overflow 0
		.amdhsa_exception_fp_ieee_underflow 0
		.amdhsa_exception_fp_ieee_inexact 0
		.amdhsa_exception_int_div_zero 0
	.end_amdhsa_kernel
	.section	.text._ZN7rocprim17ROCPRIM_400000_NS6detail17trampoline_kernelINS0_14default_configENS1_20scan_config_selectorIfEEZZNS1_9scan_implILNS1_25lookback_scan_determinismE0ELb1ELb1ES3_N6thrust23THRUST_200600_302600_NS6detail15normal_iteratorINS9_10device_ptrIfEEEESE_fNS9_4plusIvEEfEEDaPvRmT3_T4_T5_mT6_P12ihipStream_tbENKUlT_T0_E_clISt17integral_constantIbLb0EEST_IbLb1EEEEDaSP_SQ_EUlSP_E0_NS1_11comp_targetILNS1_3genE8ELNS1_11target_archE1030ELNS1_3gpuE2ELNS1_3repE0EEENS1_30default_config_static_selectorELNS0_4arch9wavefront6targetE1EEEvT1_,"axG",@progbits,_ZN7rocprim17ROCPRIM_400000_NS6detail17trampoline_kernelINS0_14default_configENS1_20scan_config_selectorIfEEZZNS1_9scan_implILNS1_25lookback_scan_determinismE0ELb1ELb1ES3_N6thrust23THRUST_200600_302600_NS6detail15normal_iteratorINS9_10device_ptrIfEEEESE_fNS9_4plusIvEEfEEDaPvRmT3_T4_T5_mT6_P12ihipStream_tbENKUlT_T0_E_clISt17integral_constantIbLb0EEST_IbLb1EEEEDaSP_SQ_EUlSP_E0_NS1_11comp_targetILNS1_3genE8ELNS1_11target_archE1030ELNS1_3gpuE2ELNS1_3repE0EEENS1_30default_config_static_selectorELNS0_4arch9wavefront6targetE1EEEvT1_,comdat
.Lfunc_end4429:
	.size	_ZN7rocprim17ROCPRIM_400000_NS6detail17trampoline_kernelINS0_14default_configENS1_20scan_config_selectorIfEEZZNS1_9scan_implILNS1_25lookback_scan_determinismE0ELb1ELb1ES3_N6thrust23THRUST_200600_302600_NS6detail15normal_iteratorINS9_10device_ptrIfEEEESE_fNS9_4plusIvEEfEEDaPvRmT3_T4_T5_mT6_P12ihipStream_tbENKUlT_T0_E_clISt17integral_constantIbLb0EEST_IbLb1EEEEDaSP_SQ_EUlSP_E0_NS1_11comp_targetILNS1_3genE8ELNS1_11target_archE1030ELNS1_3gpuE2ELNS1_3repE0EEENS1_30default_config_static_selectorELNS0_4arch9wavefront6targetE1EEEvT1_, .Lfunc_end4429-_ZN7rocprim17ROCPRIM_400000_NS6detail17trampoline_kernelINS0_14default_configENS1_20scan_config_selectorIfEEZZNS1_9scan_implILNS1_25lookback_scan_determinismE0ELb1ELb1ES3_N6thrust23THRUST_200600_302600_NS6detail15normal_iteratorINS9_10device_ptrIfEEEESE_fNS9_4plusIvEEfEEDaPvRmT3_T4_T5_mT6_P12ihipStream_tbENKUlT_T0_E_clISt17integral_constantIbLb0EEST_IbLb1EEEEDaSP_SQ_EUlSP_E0_NS1_11comp_targetILNS1_3genE8ELNS1_11target_archE1030ELNS1_3gpuE2ELNS1_3repE0EEENS1_30default_config_static_selectorELNS0_4arch9wavefront6targetE1EEEvT1_
                                        ; -- End function
	.section	.AMDGPU.csdata,"",@progbits
; Kernel info:
; codeLenInByte = 0
; NumSgprs: 4
; NumVgprs: 0
; NumAgprs: 0
; TotalNumVgprs: 0
; ScratchSize: 0
; MemoryBound: 0
; FloatMode: 240
; IeeeMode: 1
; LDSByteSize: 0 bytes/workgroup (compile time only)
; SGPRBlocks: 0
; VGPRBlocks: 0
; NumSGPRsForWavesPerEU: 4
; NumVGPRsForWavesPerEU: 1
; AccumOffset: 4
; Occupancy: 8
; WaveLimiterHint : 0
; COMPUTE_PGM_RSRC2:SCRATCH_EN: 0
; COMPUTE_PGM_RSRC2:USER_SGPR: 6
; COMPUTE_PGM_RSRC2:TRAP_HANDLER: 0
; COMPUTE_PGM_RSRC2:TGID_X_EN: 1
; COMPUTE_PGM_RSRC2:TGID_Y_EN: 0
; COMPUTE_PGM_RSRC2:TGID_Z_EN: 0
; COMPUTE_PGM_RSRC2:TIDIG_COMP_CNT: 0
; COMPUTE_PGM_RSRC3_GFX90A:ACCUM_OFFSET: 0
; COMPUTE_PGM_RSRC3_GFX90A:TG_SPLIT: 0
	.section	.text._ZN7rocprim17ROCPRIM_400000_NS6detail17trampoline_kernelINS0_14default_configENS1_20scan_config_selectorIyEEZZNS1_9scan_implILNS1_25lookback_scan_determinismE0ELb0ELb0ES3_N6thrust23THRUST_200600_302600_NS6detail15normal_iteratorINS9_10device_ptrIyEEEESE_yNS9_4plusIvEEyEEDaPvRmT3_T4_T5_mT6_P12ihipStream_tbENKUlT_T0_E_clISt17integral_constantIbLb0EESU_EEDaSP_SQ_EUlSP_E_NS1_11comp_targetILNS1_3genE0ELNS1_11target_archE4294967295ELNS1_3gpuE0ELNS1_3repE0EEENS1_30default_config_static_selectorELNS0_4arch9wavefront6targetE1EEEvT1_,"axG",@progbits,_ZN7rocprim17ROCPRIM_400000_NS6detail17trampoline_kernelINS0_14default_configENS1_20scan_config_selectorIyEEZZNS1_9scan_implILNS1_25lookback_scan_determinismE0ELb0ELb0ES3_N6thrust23THRUST_200600_302600_NS6detail15normal_iteratorINS9_10device_ptrIyEEEESE_yNS9_4plusIvEEyEEDaPvRmT3_T4_T5_mT6_P12ihipStream_tbENKUlT_T0_E_clISt17integral_constantIbLb0EESU_EEDaSP_SQ_EUlSP_E_NS1_11comp_targetILNS1_3genE0ELNS1_11target_archE4294967295ELNS1_3gpuE0ELNS1_3repE0EEENS1_30default_config_static_selectorELNS0_4arch9wavefront6targetE1EEEvT1_,comdat
	.protected	_ZN7rocprim17ROCPRIM_400000_NS6detail17trampoline_kernelINS0_14default_configENS1_20scan_config_selectorIyEEZZNS1_9scan_implILNS1_25lookback_scan_determinismE0ELb0ELb0ES3_N6thrust23THRUST_200600_302600_NS6detail15normal_iteratorINS9_10device_ptrIyEEEESE_yNS9_4plusIvEEyEEDaPvRmT3_T4_T5_mT6_P12ihipStream_tbENKUlT_T0_E_clISt17integral_constantIbLb0EESU_EEDaSP_SQ_EUlSP_E_NS1_11comp_targetILNS1_3genE0ELNS1_11target_archE4294967295ELNS1_3gpuE0ELNS1_3repE0EEENS1_30default_config_static_selectorELNS0_4arch9wavefront6targetE1EEEvT1_ ; -- Begin function _ZN7rocprim17ROCPRIM_400000_NS6detail17trampoline_kernelINS0_14default_configENS1_20scan_config_selectorIyEEZZNS1_9scan_implILNS1_25lookback_scan_determinismE0ELb0ELb0ES3_N6thrust23THRUST_200600_302600_NS6detail15normal_iteratorINS9_10device_ptrIyEEEESE_yNS9_4plusIvEEyEEDaPvRmT3_T4_T5_mT6_P12ihipStream_tbENKUlT_T0_E_clISt17integral_constantIbLb0EESU_EEDaSP_SQ_EUlSP_E_NS1_11comp_targetILNS1_3genE0ELNS1_11target_archE4294967295ELNS1_3gpuE0ELNS1_3repE0EEENS1_30default_config_static_selectorELNS0_4arch9wavefront6targetE1EEEvT1_
	.globl	_ZN7rocprim17ROCPRIM_400000_NS6detail17trampoline_kernelINS0_14default_configENS1_20scan_config_selectorIyEEZZNS1_9scan_implILNS1_25lookback_scan_determinismE0ELb0ELb0ES3_N6thrust23THRUST_200600_302600_NS6detail15normal_iteratorINS9_10device_ptrIyEEEESE_yNS9_4plusIvEEyEEDaPvRmT3_T4_T5_mT6_P12ihipStream_tbENKUlT_T0_E_clISt17integral_constantIbLb0EESU_EEDaSP_SQ_EUlSP_E_NS1_11comp_targetILNS1_3genE0ELNS1_11target_archE4294967295ELNS1_3gpuE0ELNS1_3repE0EEENS1_30default_config_static_selectorELNS0_4arch9wavefront6targetE1EEEvT1_
	.p2align	8
	.type	_ZN7rocprim17ROCPRIM_400000_NS6detail17trampoline_kernelINS0_14default_configENS1_20scan_config_selectorIyEEZZNS1_9scan_implILNS1_25lookback_scan_determinismE0ELb0ELb0ES3_N6thrust23THRUST_200600_302600_NS6detail15normal_iteratorINS9_10device_ptrIyEEEESE_yNS9_4plusIvEEyEEDaPvRmT3_T4_T5_mT6_P12ihipStream_tbENKUlT_T0_E_clISt17integral_constantIbLb0EESU_EEDaSP_SQ_EUlSP_E_NS1_11comp_targetILNS1_3genE0ELNS1_11target_archE4294967295ELNS1_3gpuE0ELNS1_3repE0EEENS1_30default_config_static_selectorELNS0_4arch9wavefront6targetE1EEEvT1_,@function
_ZN7rocprim17ROCPRIM_400000_NS6detail17trampoline_kernelINS0_14default_configENS1_20scan_config_selectorIyEEZZNS1_9scan_implILNS1_25lookback_scan_determinismE0ELb0ELb0ES3_N6thrust23THRUST_200600_302600_NS6detail15normal_iteratorINS9_10device_ptrIyEEEESE_yNS9_4plusIvEEyEEDaPvRmT3_T4_T5_mT6_P12ihipStream_tbENKUlT_T0_E_clISt17integral_constantIbLb0EESU_EEDaSP_SQ_EUlSP_E_NS1_11comp_targetILNS1_3genE0ELNS1_11target_archE4294967295ELNS1_3gpuE0ELNS1_3repE0EEENS1_30default_config_static_selectorELNS0_4arch9wavefront6targetE1EEEvT1_: ; @_ZN7rocprim17ROCPRIM_400000_NS6detail17trampoline_kernelINS0_14default_configENS1_20scan_config_selectorIyEEZZNS1_9scan_implILNS1_25lookback_scan_determinismE0ELb0ELb0ES3_N6thrust23THRUST_200600_302600_NS6detail15normal_iteratorINS9_10device_ptrIyEEEESE_yNS9_4plusIvEEyEEDaPvRmT3_T4_T5_mT6_P12ihipStream_tbENKUlT_T0_E_clISt17integral_constantIbLb0EESU_EEDaSP_SQ_EUlSP_E_NS1_11comp_targetILNS1_3genE0ELNS1_11target_archE4294967295ELNS1_3gpuE0ELNS1_3repE0EEENS1_30default_config_static_selectorELNS0_4arch9wavefront6targetE1EEEvT1_
; %bb.0:
	.section	.rodata,"a",@progbits
	.p2align	6, 0x0
	.amdhsa_kernel _ZN7rocprim17ROCPRIM_400000_NS6detail17trampoline_kernelINS0_14default_configENS1_20scan_config_selectorIyEEZZNS1_9scan_implILNS1_25lookback_scan_determinismE0ELb0ELb0ES3_N6thrust23THRUST_200600_302600_NS6detail15normal_iteratorINS9_10device_ptrIyEEEESE_yNS9_4plusIvEEyEEDaPvRmT3_T4_T5_mT6_P12ihipStream_tbENKUlT_T0_E_clISt17integral_constantIbLb0EESU_EEDaSP_SQ_EUlSP_E_NS1_11comp_targetILNS1_3genE0ELNS1_11target_archE4294967295ELNS1_3gpuE0ELNS1_3repE0EEENS1_30default_config_static_selectorELNS0_4arch9wavefront6targetE1EEEvT1_
		.amdhsa_group_segment_fixed_size 0
		.amdhsa_private_segment_fixed_size 0
		.amdhsa_kernarg_size 104
		.amdhsa_user_sgpr_count 6
		.amdhsa_user_sgpr_private_segment_buffer 1
		.amdhsa_user_sgpr_dispatch_ptr 0
		.amdhsa_user_sgpr_queue_ptr 0
		.amdhsa_user_sgpr_kernarg_segment_ptr 1
		.amdhsa_user_sgpr_dispatch_id 0
		.amdhsa_user_sgpr_flat_scratch_init 0
		.amdhsa_user_sgpr_kernarg_preload_length 0
		.amdhsa_user_sgpr_kernarg_preload_offset 0
		.amdhsa_user_sgpr_private_segment_size 0
		.amdhsa_uses_dynamic_stack 0
		.amdhsa_system_sgpr_private_segment_wavefront_offset 0
		.amdhsa_system_sgpr_workgroup_id_x 1
		.amdhsa_system_sgpr_workgroup_id_y 0
		.amdhsa_system_sgpr_workgroup_id_z 0
		.amdhsa_system_sgpr_workgroup_info 0
		.amdhsa_system_vgpr_workitem_id 0
		.amdhsa_next_free_vgpr 1
		.amdhsa_next_free_sgpr 0
		.amdhsa_accum_offset 4
		.amdhsa_reserve_vcc 0
		.amdhsa_reserve_flat_scratch 0
		.amdhsa_float_round_mode_32 0
		.amdhsa_float_round_mode_16_64 0
		.amdhsa_float_denorm_mode_32 3
		.amdhsa_float_denorm_mode_16_64 3
		.amdhsa_dx10_clamp 1
		.amdhsa_ieee_mode 1
		.amdhsa_fp16_overflow 0
		.amdhsa_tg_split 0
		.amdhsa_exception_fp_ieee_invalid_op 0
		.amdhsa_exception_fp_denorm_src 0
		.amdhsa_exception_fp_ieee_div_zero 0
		.amdhsa_exception_fp_ieee_overflow 0
		.amdhsa_exception_fp_ieee_underflow 0
		.amdhsa_exception_fp_ieee_inexact 0
		.amdhsa_exception_int_div_zero 0
	.end_amdhsa_kernel
	.section	.text._ZN7rocprim17ROCPRIM_400000_NS6detail17trampoline_kernelINS0_14default_configENS1_20scan_config_selectorIyEEZZNS1_9scan_implILNS1_25lookback_scan_determinismE0ELb0ELb0ES3_N6thrust23THRUST_200600_302600_NS6detail15normal_iteratorINS9_10device_ptrIyEEEESE_yNS9_4plusIvEEyEEDaPvRmT3_T4_T5_mT6_P12ihipStream_tbENKUlT_T0_E_clISt17integral_constantIbLb0EESU_EEDaSP_SQ_EUlSP_E_NS1_11comp_targetILNS1_3genE0ELNS1_11target_archE4294967295ELNS1_3gpuE0ELNS1_3repE0EEENS1_30default_config_static_selectorELNS0_4arch9wavefront6targetE1EEEvT1_,"axG",@progbits,_ZN7rocprim17ROCPRIM_400000_NS6detail17trampoline_kernelINS0_14default_configENS1_20scan_config_selectorIyEEZZNS1_9scan_implILNS1_25lookback_scan_determinismE0ELb0ELb0ES3_N6thrust23THRUST_200600_302600_NS6detail15normal_iteratorINS9_10device_ptrIyEEEESE_yNS9_4plusIvEEyEEDaPvRmT3_T4_T5_mT6_P12ihipStream_tbENKUlT_T0_E_clISt17integral_constantIbLb0EESU_EEDaSP_SQ_EUlSP_E_NS1_11comp_targetILNS1_3genE0ELNS1_11target_archE4294967295ELNS1_3gpuE0ELNS1_3repE0EEENS1_30default_config_static_selectorELNS0_4arch9wavefront6targetE1EEEvT1_,comdat
.Lfunc_end4430:
	.size	_ZN7rocprim17ROCPRIM_400000_NS6detail17trampoline_kernelINS0_14default_configENS1_20scan_config_selectorIyEEZZNS1_9scan_implILNS1_25lookback_scan_determinismE0ELb0ELb0ES3_N6thrust23THRUST_200600_302600_NS6detail15normal_iteratorINS9_10device_ptrIyEEEESE_yNS9_4plusIvEEyEEDaPvRmT3_T4_T5_mT6_P12ihipStream_tbENKUlT_T0_E_clISt17integral_constantIbLb0EESU_EEDaSP_SQ_EUlSP_E_NS1_11comp_targetILNS1_3genE0ELNS1_11target_archE4294967295ELNS1_3gpuE0ELNS1_3repE0EEENS1_30default_config_static_selectorELNS0_4arch9wavefront6targetE1EEEvT1_, .Lfunc_end4430-_ZN7rocprim17ROCPRIM_400000_NS6detail17trampoline_kernelINS0_14default_configENS1_20scan_config_selectorIyEEZZNS1_9scan_implILNS1_25lookback_scan_determinismE0ELb0ELb0ES3_N6thrust23THRUST_200600_302600_NS6detail15normal_iteratorINS9_10device_ptrIyEEEESE_yNS9_4plusIvEEyEEDaPvRmT3_T4_T5_mT6_P12ihipStream_tbENKUlT_T0_E_clISt17integral_constantIbLb0EESU_EEDaSP_SQ_EUlSP_E_NS1_11comp_targetILNS1_3genE0ELNS1_11target_archE4294967295ELNS1_3gpuE0ELNS1_3repE0EEENS1_30default_config_static_selectorELNS0_4arch9wavefront6targetE1EEEvT1_
                                        ; -- End function
	.section	.AMDGPU.csdata,"",@progbits
; Kernel info:
; codeLenInByte = 0
; NumSgprs: 4
; NumVgprs: 0
; NumAgprs: 0
; TotalNumVgprs: 0
; ScratchSize: 0
; MemoryBound: 0
; FloatMode: 240
; IeeeMode: 1
; LDSByteSize: 0 bytes/workgroup (compile time only)
; SGPRBlocks: 0
; VGPRBlocks: 0
; NumSGPRsForWavesPerEU: 4
; NumVGPRsForWavesPerEU: 1
; AccumOffset: 4
; Occupancy: 8
; WaveLimiterHint : 0
; COMPUTE_PGM_RSRC2:SCRATCH_EN: 0
; COMPUTE_PGM_RSRC2:USER_SGPR: 6
; COMPUTE_PGM_RSRC2:TRAP_HANDLER: 0
; COMPUTE_PGM_RSRC2:TGID_X_EN: 1
; COMPUTE_PGM_RSRC2:TGID_Y_EN: 0
; COMPUTE_PGM_RSRC2:TGID_Z_EN: 0
; COMPUTE_PGM_RSRC2:TIDIG_COMP_CNT: 0
; COMPUTE_PGM_RSRC3_GFX90A:ACCUM_OFFSET: 0
; COMPUTE_PGM_RSRC3_GFX90A:TG_SPLIT: 0
	.section	.text._ZN7rocprim17ROCPRIM_400000_NS6detail17trampoline_kernelINS0_14default_configENS1_20scan_config_selectorIyEEZZNS1_9scan_implILNS1_25lookback_scan_determinismE0ELb0ELb0ES3_N6thrust23THRUST_200600_302600_NS6detail15normal_iteratorINS9_10device_ptrIyEEEESE_yNS9_4plusIvEEyEEDaPvRmT3_T4_T5_mT6_P12ihipStream_tbENKUlT_T0_E_clISt17integral_constantIbLb0EESU_EEDaSP_SQ_EUlSP_E_NS1_11comp_targetILNS1_3genE5ELNS1_11target_archE942ELNS1_3gpuE9ELNS1_3repE0EEENS1_30default_config_static_selectorELNS0_4arch9wavefront6targetE1EEEvT1_,"axG",@progbits,_ZN7rocprim17ROCPRIM_400000_NS6detail17trampoline_kernelINS0_14default_configENS1_20scan_config_selectorIyEEZZNS1_9scan_implILNS1_25lookback_scan_determinismE0ELb0ELb0ES3_N6thrust23THRUST_200600_302600_NS6detail15normal_iteratorINS9_10device_ptrIyEEEESE_yNS9_4plusIvEEyEEDaPvRmT3_T4_T5_mT6_P12ihipStream_tbENKUlT_T0_E_clISt17integral_constantIbLb0EESU_EEDaSP_SQ_EUlSP_E_NS1_11comp_targetILNS1_3genE5ELNS1_11target_archE942ELNS1_3gpuE9ELNS1_3repE0EEENS1_30default_config_static_selectorELNS0_4arch9wavefront6targetE1EEEvT1_,comdat
	.protected	_ZN7rocprim17ROCPRIM_400000_NS6detail17trampoline_kernelINS0_14default_configENS1_20scan_config_selectorIyEEZZNS1_9scan_implILNS1_25lookback_scan_determinismE0ELb0ELb0ES3_N6thrust23THRUST_200600_302600_NS6detail15normal_iteratorINS9_10device_ptrIyEEEESE_yNS9_4plusIvEEyEEDaPvRmT3_T4_T5_mT6_P12ihipStream_tbENKUlT_T0_E_clISt17integral_constantIbLb0EESU_EEDaSP_SQ_EUlSP_E_NS1_11comp_targetILNS1_3genE5ELNS1_11target_archE942ELNS1_3gpuE9ELNS1_3repE0EEENS1_30default_config_static_selectorELNS0_4arch9wavefront6targetE1EEEvT1_ ; -- Begin function _ZN7rocprim17ROCPRIM_400000_NS6detail17trampoline_kernelINS0_14default_configENS1_20scan_config_selectorIyEEZZNS1_9scan_implILNS1_25lookback_scan_determinismE0ELb0ELb0ES3_N6thrust23THRUST_200600_302600_NS6detail15normal_iteratorINS9_10device_ptrIyEEEESE_yNS9_4plusIvEEyEEDaPvRmT3_T4_T5_mT6_P12ihipStream_tbENKUlT_T0_E_clISt17integral_constantIbLb0EESU_EEDaSP_SQ_EUlSP_E_NS1_11comp_targetILNS1_3genE5ELNS1_11target_archE942ELNS1_3gpuE9ELNS1_3repE0EEENS1_30default_config_static_selectorELNS0_4arch9wavefront6targetE1EEEvT1_
	.globl	_ZN7rocprim17ROCPRIM_400000_NS6detail17trampoline_kernelINS0_14default_configENS1_20scan_config_selectorIyEEZZNS1_9scan_implILNS1_25lookback_scan_determinismE0ELb0ELb0ES3_N6thrust23THRUST_200600_302600_NS6detail15normal_iteratorINS9_10device_ptrIyEEEESE_yNS9_4plusIvEEyEEDaPvRmT3_T4_T5_mT6_P12ihipStream_tbENKUlT_T0_E_clISt17integral_constantIbLb0EESU_EEDaSP_SQ_EUlSP_E_NS1_11comp_targetILNS1_3genE5ELNS1_11target_archE942ELNS1_3gpuE9ELNS1_3repE0EEENS1_30default_config_static_selectorELNS0_4arch9wavefront6targetE1EEEvT1_
	.p2align	8
	.type	_ZN7rocprim17ROCPRIM_400000_NS6detail17trampoline_kernelINS0_14default_configENS1_20scan_config_selectorIyEEZZNS1_9scan_implILNS1_25lookback_scan_determinismE0ELb0ELb0ES3_N6thrust23THRUST_200600_302600_NS6detail15normal_iteratorINS9_10device_ptrIyEEEESE_yNS9_4plusIvEEyEEDaPvRmT3_T4_T5_mT6_P12ihipStream_tbENKUlT_T0_E_clISt17integral_constantIbLb0EESU_EEDaSP_SQ_EUlSP_E_NS1_11comp_targetILNS1_3genE5ELNS1_11target_archE942ELNS1_3gpuE9ELNS1_3repE0EEENS1_30default_config_static_selectorELNS0_4arch9wavefront6targetE1EEEvT1_,@function
_ZN7rocprim17ROCPRIM_400000_NS6detail17trampoline_kernelINS0_14default_configENS1_20scan_config_selectorIyEEZZNS1_9scan_implILNS1_25lookback_scan_determinismE0ELb0ELb0ES3_N6thrust23THRUST_200600_302600_NS6detail15normal_iteratorINS9_10device_ptrIyEEEESE_yNS9_4plusIvEEyEEDaPvRmT3_T4_T5_mT6_P12ihipStream_tbENKUlT_T0_E_clISt17integral_constantIbLb0EESU_EEDaSP_SQ_EUlSP_E_NS1_11comp_targetILNS1_3genE5ELNS1_11target_archE942ELNS1_3gpuE9ELNS1_3repE0EEENS1_30default_config_static_selectorELNS0_4arch9wavefront6targetE1EEEvT1_: ; @_ZN7rocprim17ROCPRIM_400000_NS6detail17trampoline_kernelINS0_14default_configENS1_20scan_config_selectorIyEEZZNS1_9scan_implILNS1_25lookback_scan_determinismE0ELb0ELb0ES3_N6thrust23THRUST_200600_302600_NS6detail15normal_iteratorINS9_10device_ptrIyEEEESE_yNS9_4plusIvEEyEEDaPvRmT3_T4_T5_mT6_P12ihipStream_tbENKUlT_T0_E_clISt17integral_constantIbLb0EESU_EEDaSP_SQ_EUlSP_E_NS1_11comp_targetILNS1_3genE5ELNS1_11target_archE942ELNS1_3gpuE9ELNS1_3repE0EEENS1_30default_config_static_selectorELNS0_4arch9wavefront6targetE1EEEvT1_
; %bb.0:
	.section	.rodata,"a",@progbits
	.p2align	6, 0x0
	.amdhsa_kernel _ZN7rocprim17ROCPRIM_400000_NS6detail17trampoline_kernelINS0_14default_configENS1_20scan_config_selectorIyEEZZNS1_9scan_implILNS1_25lookback_scan_determinismE0ELb0ELb0ES3_N6thrust23THRUST_200600_302600_NS6detail15normal_iteratorINS9_10device_ptrIyEEEESE_yNS9_4plusIvEEyEEDaPvRmT3_T4_T5_mT6_P12ihipStream_tbENKUlT_T0_E_clISt17integral_constantIbLb0EESU_EEDaSP_SQ_EUlSP_E_NS1_11comp_targetILNS1_3genE5ELNS1_11target_archE942ELNS1_3gpuE9ELNS1_3repE0EEENS1_30default_config_static_selectorELNS0_4arch9wavefront6targetE1EEEvT1_
		.amdhsa_group_segment_fixed_size 0
		.amdhsa_private_segment_fixed_size 0
		.amdhsa_kernarg_size 104
		.amdhsa_user_sgpr_count 6
		.amdhsa_user_sgpr_private_segment_buffer 1
		.amdhsa_user_sgpr_dispatch_ptr 0
		.amdhsa_user_sgpr_queue_ptr 0
		.amdhsa_user_sgpr_kernarg_segment_ptr 1
		.amdhsa_user_sgpr_dispatch_id 0
		.amdhsa_user_sgpr_flat_scratch_init 0
		.amdhsa_user_sgpr_kernarg_preload_length 0
		.amdhsa_user_sgpr_kernarg_preload_offset 0
		.amdhsa_user_sgpr_private_segment_size 0
		.amdhsa_uses_dynamic_stack 0
		.amdhsa_system_sgpr_private_segment_wavefront_offset 0
		.amdhsa_system_sgpr_workgroup_id_x 1
		.amdhsa_system_sgpr_workgroup_id_y 0
		.amdhsa_system_sgpr_workgroup_id_z 0
		.amdhsa_system_sgpr_workgroup_info 0
		.amdhsa_system_vgpr_workitem_id 0
		.amdhsa_next_free_vgpr 1
		.amdhsa_next_free_sgpr 0
		.amdhsa_accum_offset 4
		.amdhsa_reserve_vcc 0
		.amdhsa_reserve_flat_scratch 0
		.amdhsa_float_round_mode_32 0
		.amdhsa_float_round_mode_16_64 0
		.amdhsa_float_denorm_mode_32 3
		.amdhsa_float_denorm_mode_16_64 3
		.amdhsa_dx10_clamp 1
		.amdhsa_ieee_mode 1
		.amdhsa_fp16_overflow 0
		.amdhsa_tg_split 0
		.amdhsa_exception_fp_ieee_invalid_op 0
		.amdhsa_exception_fp_denorm_src 0
		.amdhsa_exception_fp_ieee_div_zero 0
		.amdhsa_exception_fp_ieee_overflow 0
		.amdhsa_exception_fp_ieee_underflow 0
		.amdhsa_exception_fp_ieee_inexact 0
		.amdhsa_exception_int_div_zero 0
	.end_amdhsa_kernel
	.section	.text._ZN7rocprim17ROCPRIM_400000_NS6detail17trampoline_kernelINS0_14default_configENS1_20scan_config_selectorIyEEZZNS1_9scan_implILNS1_25lookback_scan_determinismE0ELb0ELb0ES3_N6thrust23THRUST_200600_302600_NS6detail15normal_iteratorINS9_10device_ptrIyEEEESE_yNS9_4plusIvEEyEEDaPvRmT3_T4_T5_mT6_P12ihipStream_tbENKUlT_T0_E_clISt17integral_constantIbLb0EESU_EEDaSP_SQ_EUlSP_E_NS1_11comp_targetILNS1_3genE5ELNS1_11target_archE942ELNS1_3gpuE9ELNS1_3repE0EEENS1_30default_config_static_selectorELNS0_4arch9wavefront6targetE1EEEvT1_,"axG",@progbits,_ZN7rocprim17ROCPRIM_400000_NS6detail17trampoline_kernelINS0_14default_configENS1_20scan_config_selectorIyEEZZNS1_9scan_implILNS1_25lookback_scan_determinismE0ELb0ELb0ES3_N6thrust23THRUST_200600_302600_NS6detail15normal_iteratorINS9_10device_ptrIyEEEESE_yNS9_4plusIvEEyEEDaPvRmT3_T4_T5_mT6_P12ihipStream_tbENKUlT_T0_E_clISt17integral_constantIbLb0EESU_EEDaSP_SQ_EUlSP_E_NS1_11comp_targetILNS1_3genE5ELNS1_11target_archE942ELNS1_3gpuE9ELNS1_3repE0EEENS1_30default_config_static_selectorELNS0_4arch9wavefront6targetE1EEEvT1_,comdat
.Lfunc_end4431:
	.size	_ZN7rocprim17ROCPRIM_400000_NS6detail17trampoline_kernelINS0_14default_configENS1_20scan_config_selectorIyEEZZNS1_9scan_implILNS1_25lookback_scan_determinismE0ELb0ELb0ES3_N6thrust23THRUST_200600_302600_NS6detail15normal_iteratorINS9_10device_ptrIyEEEESE_yNS9_4plusIvEEyEEDaPvRmT3_T4_T5_mT6_P12ihipStream_tbENKUlT_T0_E_clISt17integral_constantIbLb0EESU_EEDaSP_SQ_EUlSP_E_NS1_11comp_targetILNS1_3genE5ELNS1_11target_archE942ELNS1_3gpuE9ELNS1_3repE0EEENS1_30default_config_static_selectorELNS0_4arch9wavefront6targetE1EEEvT1_, .Lfunc_end4431-_ZN7rocprim17ROCPRIM_400000_NS6detail17trampoline_kernelINS0_14default_configENS1_20scan_config_selectorIyEEZZNS1_9scan_implILNS1_25lookback_scan_determinismE0ELb0ELb0ES3_N6thrust23THRUST_200600_302600_NS6detail15normal_iteratorINS9_10device_ptrIyEEEESE_yNS9_4plusIvEEyEEDaPvRmT3_T4_T5_mT6_P12ihipStream_tbENKUlT_T0_E_clISt17integral_constantIbLb0EESU_EEDaSP_SQ_EUlSP_E_NS1_11comp_targetILNS1_3genE5ELNS1_11target_archE942ELNS1_3gpuE9ELNS1_3repE0EEENS1_30default_config_static_selectorELNS0_4arch9wavefront6targetE1EEEvT1_
                                        ; -- End function
	.section	.AMDGPU.csdata,"",@progbits
; Kernel info:
; codeLenInByte = 0
; NumSgprs: 4
; NumVgprs: 0
; NumAgprs: 0
; TotalNumVgprs: 0
; ScratchSize: 0
; MemoryBound: 0
; FloatMode: 240
; IeeeMode: 1
; LDSByteSize: 0 bytes/workgroup (compile time only)
; SGPRBlocks: 0
; VGPRBlocks: 0
; NumSGPRsForWavesPerEU: 4
; NumVGPRsForWavesPerEU: 1
; AccumOffset: 4
; Occupancy: 8
; WaveLimiterHint : 0
; COMPUTE_PGM_RSRC2:SCRATCH_EN: 0
; COMPUTE_PGM_RSRC2:USER_SGPR: 6
; COMPUTE_PGM_RSRC2:TRAP_HANDLER: 0
; COMPUTE_PGM_RSRC2:TGID_X_EN: 1
; COMPUTE_PGM_RSRC2:TGID_Y_EN: 0
; COMPUTE_PGM_RSRC2:TGID_Z_EN: 0
; COMPUTE_PGM_RSRC2:TIDIG_COMP_CNT: 0
; COMPUTE_PGM_RSRC3_GFX90A:ACCUM_OFFSET: 0
; COMPUTE_PGM_RSRC3_GFX90A:TG_SPLIT: 0
	.section	.text._ZN7rocprim17ROCPRIM_400000_NS6detail17trampoline_kernelINS0_14default_configENS1_20scan_config_selectorIyEEZZNS1_9scan_implILNS1_25lookback_scan_determinismE0ELb0ELb0ES3_N6thrust23THRUST_200600_302600_NS6detail15normal_iteratorINS9_10device_ptrIyEEEESE_yNS9_4plusIvEEyEEDaPvRmT3_T4_T5_mT6_P12ihipStream_tbENKUlT_T0_E_clISt17integral_constantIbLb0EESU_EEDaSP_SQ_EUlSP_E_NS1_11comp_targetILNS1_3genE4ELNS1_11target_archE910ELNS1_3gpuE8ELNS1_3repE0EEENS1_30default_config_static_selectorELNS0_4arch9wavefront6targetE1EEEvT1_,"axG",@progbits,_ZN7rocprim17ROCPRIM_400000_NS6detail17trampoline_kernelINS0_14default_configENS1_20scan_config_selectorIyEEZZNS1_9scan_implILNS1_25lookback_scan_determinismE0ELb0ELb0ES3_N6thrust23THRUST_200600_302600_NS6detail15normal_iteratorINS9_10device_ptrIyEEEESE_yNS9_4plusIvEEyEEDaPvRmT3_T4_T5_mT6_P12ihipStream_tbENKUlT_T0_E_clISt17integral_constantIbLb0EESU_EEDaSP_SQ_EUlSP_E_NS1_11comp_targetILNS1_3genE4ELNS1_11target_archE910ELNS1_3gpuE8ELNS1_3repE0EEENS1_30default_config_static_selectorELNS0_4arch9wavefront6targetE1EEEvT1_,comdat
	.protected	_ZN7rocprim17ROCPRIM_400000_NS6detail17trampoline_kernelINS0_14default_configENS1_20scan_config_selectorIyEEZZNS1_9scan_implILNS1_25lookback_scan_determinismE0ELb0ELb0ES3_N6thrust23THRUST_200600_302600_NS6detail15normal_iteratorINS9_10device_ptrIyEEEESE_yNS9_4plusIvEEyEEDaPvRmT3_T4_T5_mT6_P12ihipStream_tbENKUlT_T0_E_clISt17integral_constantIbLb0EESU_EEDaSP_SQ_EUlSP_E_NS1_11comp_targetILNS1_3genE4ELNS1_11target_archE910ELNS1_3gpuE8ELNS1_3repE0EEENS1_30default_config_static_selectorELNS0_4arch9wavefront6targetE1EEEvT1_ ; -- Begin function _ZN7rocprim17ROCPRIM_400000_NS6detail17trampoline_kernelINS0_14default_configENS1_20scan_config_selectorIyEEZZNS1_9scan_implILNS1_25lookback_scan_determinismE0ELb0ELb0ES3_N6thrust23THRUST_200600_302600_NS6detail15normal_iteratorINS9_10device_ptrIyEEEESE_yNS9_4plusIvEEyEEDaPvRmT3_T4_T5_mT6_P12ihipStream_tbENKUlT_T0_E_clISt17integral_constantIbLb0EESU_EEDaSP_SQ_EUlSP_E_NS1_11comp_targetILNS1_3genE4ELNS1_11target_archE910ELNS1_3gpuE8ELNS1_3repE0EEENS1_30default_config_static_selectorELNS0_4arch9wavefront6targetE1EEEvT1_
	.globl	_ZN7rocprim17ROCPRIM_400000_NS6detail17trampoline_kernelINS0_14default_configENS1_20scan_config_selectorIyEEZZNS1_9scan_implILNS1_25lookback_scan_determinismE0ELb0ELb0ES3_N6thrust23THRUST_200600_302600_NS6detail15normal_iteratorINS9_10device_ptrIyEEEESE_yNS9_4plusIvEEyEEDaPvRmT3_T4_T5_mT6_P12ihipStream_tbENKUlT_T0_E_clISt17integral_constantIbLb0EESU_EEDaSP_SQ_EUlSP_E_NS1_11comp_targetILNS1_3genE4ELNS1_11target_archE910ELNS1_3gpuE8ELNS1_3repE0EEENS1_30default_config_static_selectorELNS0_4arch9wavefront6targetE1EEEvT1_
	.p2align	8
	.type	_ZN7rocprim17ROCPRIM_400000_NS6detail17trampoline_kernelINS0_14default_configENS1_20scan_config_selectorIyEEZZNS1_9scan_implILNS1_25lookback_scan_determinismE0ELb0ELb0ES3_N6thrust23THRUST_200600_302600_NS6detail15normal_iteratorINS9_10device_ptrIyEEEESE_yNS9_4plusIvEEyEEDaPvRmT3_T4_T5_mT6_P12ihipStream_tbENKUlT_T0_E_clISt17integral_constantIbLb0EESU_EEDaSP_SQ_EUlSP_E_NS1_11comp_targetILNS1_3genE4ELNS1_11target_archE910ELNS1_3gpuE8ELNS1_3repE0EEENS1_30default_config_static_selectorELNS0_4arch9wavefront6targetE1EEEvT1_,@function
_ZN7rocprim17ROCPRIM_400000_NS6detail17trampoline_kernelINS0_14default_configENS1_20scan_config_selectorIyEEZZNS1_9scan_implILNS1_25lookback_scan_determinismE0ELb0ELb0ES3_N6thrust23THRUST_200600_302600_NS6detail15normal_iteratorINS9_10device_ptrIyEEEESE_yNS9_4plusIvEEyEEDaPvRmT3_T4_T5_mT6_P12ihipStream_tbENKUlT_T0_E_clISt17integral_constantIbLb0EESU_EEDaSP_SQ_EUlSP_E_NS1_11comp_targetILNS1_3genE4ELNS1_11target_archE910ELNS1_3gpuE8ELNS1_3repE0EEENS1_30default_config_static_selectorELNS0_4arch9wavefront6targetE1EEEvT1_: ; @_ZN7rocprim17ROCPRIM_400000_NS6detail17trampoline_kernelINS0_14default_configENS1_20scan_config_selectorIyEEZZNS1_9scan_implILNS1_25lookback_scan_determinismE0ELb0ELb0ES3_N6thrust23THRUST_200600_302600_NS6detail15normal_iteratorINS9_10device_ptrIyEEEESE_yNS9_4plusIvEEyEEDaPvRmT3_T4_T5_mT6_P12ihipStream_tbENKUlT_T0_E_clISt17integral_constantIbLb0EESU_EEDaSP_SQ_EUlSP_E_NS1_11comp_targetILNS1_3genE4ELNS1_11target_archE910ELNS1_3gpuE8ELNS1_3repE0EEENS1_30default_config_static_selectorELNS0_4arch9wavefront6targetE1EEEvT1_
; %bb.0:
	s_load_dwordx8 s[8:15], s[4:5], 0x0
	s_load_dword s1, s[4:5], 0x38
	s_mul_i32 s0, s6, 0x380
	v_lshlrev_b32_e32 v36, 3, v0
	s_waitcnt lgkmcnt(0)
	s_lshl_b64 s[16:17], s[10:11], 3
	s_add_u32 s2, s8, s16
	s_addc_u32 s3, s9, s17
	s_add_i32 s7, s1, -1
	s_mul_i32 s8, s7, 0x380
	s_sub_u32 s24, s14, s8
	s_subb_u32 s25, s15, 0
	s_mov_b32 s1, 0
	s_cmp_lg_u32 s6, s7
	s_cselect_b64 s[14:15], -1, 0
	s_lshl_b64 s[18:19], s[0:1], 3
	s_add_u32 s2, s2, s18
	s_addc_u32 s3, s3, s19
	s_mov_b64 s[0:1], -1
	s_and_b64 vcc, exec, s[14:15]
	s_cbranch_vccz .LBB4432_2
; %bb.1:
	v_mov_b32_e32 v1, s3
	v_add_co_u32_e32 v2, vcc, s2, v36
	v_addc_co_u32_e32 v3, vcc, 0, v1, vcc
	flat_load_dwordx2 v[4:5], v[2:3]
	flat_load_dwordx2 v[6:7], v[2:3] offset:1024
	flat_load_dwordx2 v[8:9], v[2:3] offset:2048
	flat_load_dwordx2 v[10:11], v[2:3] offset:3072
	v_add_co_u32_e32 v2, vcc, 0x1000, v2
	v_addc_co_u32_e32 v3, vcc, 0, v3, vcc
	flat_load_dwordx2 v[12:13], v[2:3]
	flat_load_dwordx2 v[14:15], v[2:3] offset:1024
	flat_load_dwordx2 v[16:17], v[2:3] offset:2048
	s_mov_b64 s[0:1], 0
	s_waitcnt vmcnt(0) lgkmcnt(0)
	ds_write2st64_b64 v36, v[4:5], v[6:7] offset1:2
	ds_write2st64_b64 v36, v[8:9], v[10:11] offset0:4 offset1:6
	ds_write2st64_b64 v36, v[12:13], v[14:15] offset0:8 offset1:10
	ds_write_b64 v36, v[16:17] offset:6144
	s_waitcnt lgkmcnt(0)
	s_barrier
.LBB4432_2:
	s_load_dwordx2 s[20:21], s[4:5], 0x30
	s_andn2_b64 vcc, exec, s[0:1]
	v_cmp_gt_u32_e64 s[0:1], s24, v0
	s_cbranch_vccnz .LBB4432_18
; %bb.3:
	v_pk_mov_b32 v[2:3], s[2:3], s[2:3] op_sel:[0,1]
	flat_load_dwordx2 v[2:3], v[2:3]
	s_waitcnt vmcnt(0) lgkmcnt(0)
	v_mov_b32_e32 v4, v2
	v_mov_b32_e32 v5, v3
	;; [unrolled: 1-line block ×10, first 2 shown]
	v_pk_mov_b32 v[18:19], v[14:15], v[14:15] op_sel:[0,1]
	v_pk_mov_b32 v[16:17], v[12:13], v[12:13] op_sel:[0,1]
	;; [unrolled: 1-line block ×8, first 2 shown]
	s_and_saveexec_b64 s[8:9], s[0:1]
	s_cbranch_execz .LBB4432_5
; %bb.4:
	v_mov_b32_e32 v1, s3
	v_add_co_u32_e32 v4, vcc, s2, v36
	v_addc_co_u32_e32 v5, vcc, 0, v1, vcc
	flat_load_dwordx2 v[20:21], v[4:5]
	v_mov_b32_e32 v4, v2
	v_mov_b32_e32 v5, v3
	v_mov_b32_e32 v6, v2
	v_mov_b32_e32 v7, v3
	v_mov_b32_e32 v8, v2
	v_mov_b32_e32 v9, v3
	v_mov_b32_e32 v10, v2
	v_mov_b32_e32 v11, v3
	v_mov_b32_e32 v12, v2
	v_mov_b32_e32 v13, v3
	v_pk_mov_b32 v[18:19], v[14:15], v[14:15] op_sel:[0,1]
	v_pk_mov_b32 v[16:17], v[12:13], v[12:13] op_sel:[0,1]
	;; [unrolled: 1-line block ×8, first 2 shown]
	s_waitcnt vmcnt(0) lgkmcnt(0)
	v_pk_mov_b32 v[2:3], v[20:21], v[20:21] op_sel:[0,1]
.LBB4432_5:
	s_or_b64 exec, exec, s[8:9]
	v_or_b32_e32 v1, 0x80, v0
	v_cmp_gt_u32_e32 vcc, s24, v1
	s_and_saveexec_b64 s[0:1], vcc
	s_cbranch_execz .LBB4432_7
; %bb.6:
	v_mov_b32_e32 v1, s3
	v_add_co_u32_e32 v4, vcc, s2, v36
	v_addc_co_u32_e32 v5, vcc, 0, v1, vcc
	flat_load_dwordx2 v[6:7], v[4:5] offset:1024
.LBB4432_7:
	s_or_b64 exec, exec, s[0:1]
	v_or_b32_e32 v1, 0x100, v0
	v_cmp_gt_u32_e32 vcc, s24, v1
	s_and_saveexec_b64 s[0:1], vcc
	s_cbranch_execz .LBB4432_9
; %bb.8:
	v_mov_b32_e32 v1, s3
	v_add_co_u32_e32 v4, vcc, s2, v36
	v_addc_co_u32_e32 v5, vcc, 0, v1, vcc
	flat_load_dwordx2 v[8:9], v[4:5] offset:2048
.LBB4432_9:
	;; [unrolled: 11-line block ×3, first 2 shown]
	s_or_b64 exec, exec, s[0:1]
	v_or_b32_e32 v1, 0x200, v0
	v_cmp_gt_u32_e32 vcc, s24, v1
	s_and_saveexec_b64 s[0:1], vcc
	s_cbranch_execz .LBB4432_13
; %bb.12:
	v_lshlrev_b32_e32 v1, 3, v1
	v_mov_b32_e32 v5, s3
	v_add_co_u32_e32 v4, vcc, s2, v1
	v_addc_co_u32_e32 v5, vcc, 0, v5, vcc
	flat_load_dwordx2 v[12:13], v[4:5]
.LBB4432_13:
	s_or_b64 exec, exec, s[0:1]
	v_or_b32_e32 v1, 0x280, v0
	v_cmp_gt_u32_e32 vcc, s24, v1
	s_and_saveexec_b64 s[0:1], vcc
	s_cbranch_execz .LBB4432_15
; %bb.14:
	v_lshlrev_b32_e32 v1, 3, v1
	v_mov_b32_e32 v5, s3
	v_add_co_u32_e32 v4, vcc, s2, v1
	v_addc_co_u32_e32 v5, vcc, 0, v5, vcc
	flat_load_dwordx2 v[14:15], v[4:5]
.LBB4432_15:
	;; [unrolled: 12-line block ×3, first 2 shown]
	s_or_b64 exec, exec, s[0:1]
	s_waitcnt vmcnt(0) lgkmcnt(0)
	ds_write2st64_b64 v36, v[2:3], v[6:7] offset1:2
	ds_write2st64_b64 v36, v[8:9], v[10:11] offset0:4 offset1:6
	ds_write2st64_b64 v36, v[12:13], v[14:15] offset0:8 offset1:10
	ds_write_b64 v36, v[16:17] offset:6144
	s_waitcnt lgkmcnt(0)
	s_barrier
.LBB4432_18:
	v_mul_u32_u24_e32 v37, 7, v0
	v_lshlrev_b32_e32 v1, 3, v37
	s_waitcnt lgkmcnt(0)
	ds_read2_b64 v[2:5], v1 offset1:1
	ds_read2_b64 v[10:13], v1 offset0:2 offset1:3
	ds_read2_b64 v[6:9], v1 offset0:4 offset1:5
	ds_read_b64 v[28:29], v1 offset:48
	s_cmp_lg_u32 s6, 0
	v_lshrrev_b32_e32 v38, 5, v0
	v_cmp_gt_u32_e32 vcc, 64, v0
	s_waitcnt lgkmcnt(0)
	s_barrier
	s_cbranch_scc0 .LBB4432_45
; %bb.19:
	v_add_co_u32_e64 v1, s[0:1], v4, v2
	v_addc_co_u32_e64 v14, s[0:1], v5, v3, s[0:1]
	v_add_co_u32_e64 v1, s[0:1], v1, v10
	v_addc_co_u32_e64 v14, s[0:1], v14, v11, s[0:1]
	;; [unrolled: 2-line block ×6, first 2 shown]
	v_add_lshl_u32 v1, v38, v0, 3
	ds_write_b64 v1, v[18:19]
	s_waitcnt lgkmcnt(0)
	s_barrier
	s_and_saveexec_b64 s[8:9], vcc
	s_cbranch_execz .LBB4432_23
; %bb.20:
	v_lshlrev_b32_e32 v1, 1, v0
	v_lshrrev_b32_e32 v14, 4, v0
	v_add_lshl_u32 v20, v14, v1, 3
	ds_read2_b64 v[14:17], v20 offset1:1
	v_mbcnt_lo_u32_b32 v1, -1, 0
	s_waitcnt lgkmcnt(0)
	v_add_co_u32_e64 v21, s[0:1], v16, v14
	v_addc_co_u32_e64 v22, s[0:1], v17, v15, s[0:1]
	s_nop 0
	v_mov_b32_dpp v16, v21 row_shr:1 row_mask:0xf bank_mask:0xf
	v_add_co_u32_e64 v16, s[0:1], v21, v16
	v_addc_co_u32_e64 v24, s[0:1], 0, v22, s[0:1]
	v_mbcnt_hi_u32_b32 v17, -1, v1
	v_mov_b32_dpp v23, v22 row_shr:1 row_mask:0xf bank_mask:0xf
	v_add_co_u32_e64 v25, s[0:1], 0, v16
	v_and_b32_e32 v1, 15, v17
	v_addc_co_u32_e64 v23, s[0:1], v23, v24, s[0:1]
	v_cmp_eq_u32_e64 s[0:1], 0, v1
	v_cndmask_b32_e64 v16, v16, v21, s[0:1]
	v_cndmask_b32_e64 v23, v23, v22, s[0:1]
	v_cndmask_b32_e64 v24, v25, v21, s[0:1]
	v_mov_b32_dpp v25, v16 row_shr:2 row_mask:0xf bank_mask:0xf
	v_mov_b32_dpp v26, v23 row_shr:2 row_mask:0xf bank_mask:0xf
	v_add_co_u32_e64 v25, s[0:1], v25, v24
	v_addc_co_u32_e64 v26, s[0:1], v26, v23, s[0:1]
	v_cmp_lt_u32_e64 s[0:1], 1, v1
	v_cndmask_b32_e64 v16, v16, v25, s[0:1]
	v_cndmask_b32_e64 v23, v23, v26, s[0:1]
	v_cndmask_b32_e64 v24, v24, v25, s[0:1]
	v_mov_b32_dpp v25, v16 row_shr:4 row_mask:0xf bank_mask:0xf
	v_mov_b32_dpp v26, v23 row_shr:4 row_mask:0xf bank_mask:0xf
	v_add_co_u32_e64 v25, s[0:1], v25, v24
	v_addc_co_u32_e64 v26, s[0:1], v26, v23, s[0:1]
	v_cmp_lt_u32_e64 s[0:1], 3, v1
	;; [unrolled: 8-line block ×3, first 2 shown]
	v_cndmask_b32_e64 v27, v16, v25, s[0:1]
	v_cndmask_b32_e64 v1, v23, v26, s[0:1]
	;; [unrolled: 1-line block ×3, first 2 shown]
	v_mov_b32_dpp v23, v27 row_bcast:15 row_mask:0xf bank_mask:0xf
	v_mov_b32_dpp v24, v1 row_bcast:15 row_mask:0xf bank_mask:0xf
	v_add_co_u32_e64 v23, s[0:1], v23, v16
	v_and_b32_e32 v26, 16, v17
	v_addc_co_u32_e64 v25, s[0:1], v24, v1, s[0:1]
	v_cmp_eq_u32_e64 s[0:1], 0, v26
	v_cndmask_b32_e64 v26, v25, v1, s[0:1]
	v_cndmask_b32_e64 v24, v23, v27, s[0:1]
	v_cmp_ne_u32_e64 s[2:3], 0, v17
	v_mov_b32_dpp v26, v26 row_bcast:31 row_mask:0xf bank_mask:0xf
	v_mov_b32_dpp v24, v24 row_bcast:31 row_mask:0xf bank_mask:0xf
	s_and_saveexec_b64 s[10:11], s[2:3]
; %bb.21:
	v_cndmask_b32_e64 v1, v25, v1, s[0:1]
	v_cndmask_b32_e64 v16, v23, v16, s[0:1]
	v_cmp_lt_u32_e64 s[0:1], 31, v17
	v_cndmask_b32_e64 v21, 0, v24, s[0:1]
	v_cndmask_b32_e64 v22, 0, v26, s[0:1]
	v_add_co_u32_e64 v21, s[0:1], v21, v16
	v_addc_co_u32_e64 v22, s[0:1], v22, v1, s[0:1]
; %bb.22:
	s_or_b64 exec, exec, s[10:11]
	v_add_u32_e32 v1, -1, v17
	v_and_b32_e32 v16, 64, v17
	v_cmp_lt_i32_e64 s[0:1], v1, v16
	v_cndmask_b32_e64 v1, v1, v17, s[0:1]
	v_lshlrev_b32_e32 v1, 2, v1
	ds_bpermute_b32 v16, v1, v21
	ds_bpermute_b32 v1, v1, v22
	; wave barrier
	s_waitcnt lgkmcnt(1)
	v_add_co_u32_e64 v14, s[0:1], v14, v16
	v_addc_co_u32_e64 v15, s[0:1], 0, v15, s[0:1]
	v_add_co_u32_e64 v14, s[0:1], 0, v14
	s_waitcnt lgkmcnt(0)
	v_addc_co_u32_e64 v1, s[0:1], v15, v1, s[0:1]
	v_cmp_eq_u32_e64 s[0:1], 0, v0
	v_cndmask_b32_e64 v15, v1, v19, s[0:1]
	v_cndmask_b32_e64 v14, v14, v18, s[0:1]
	ds_write_b64 v20, v[14:15]
	; wave barrier
	ds_read_b64 v[16:17], v20 offset:8
	s_waitcnt lgkmcnt(0)
	v_add_co_u32_e64 v14, s[0:1], v16, v14
	v_addc_co_u32_e64 v15, s[0:1], v17, v15, s[0:1]
	ds_write_b64 v20, v[14:15] offset:8
.LBB4432_23:
	s_or_b64 exec, exec, s[8:9]
	v_cmp_eq_u32_e64 s[0:1], 0, v0
	v_cmp_ne_u32_e64 s[2:3], 0, v0
	v_pk_mov_b32 v[22:23], 0, 0
	s_waitcnt lgkmcnt(0)
	s_barrier
	s_and_saveexec_b64 s[8:9], s[2:3]
	s_cbranch_execz .LBB4432_25
; %bb.24:
	v_add_u32_e32 v1, -1, v0
	v_lshrrev_b32_e32 v14, 5, v1
	v_add_lshl_u32 v1, v14, v1, 3
	ds_read_b64 v[22:23], v1
.LBB4432_25:
	s_or_b64 exec, exec, s[8:9]
	s_and_saveexec_b64 s[22:23], vcc
	s_cbranch_execz .LBB4432_44
; %bb.26:
	v_mov_b32_e32 v17, 0
	ds_read_b64 v[14:15], v17 offset:1040
	v_mbcnt_lo_u32_b32 v1, -1, 0
	v_mbcnt_hi_u32_b32 v30, -1, v1
	s_mov_b32 s11, 0
	v_cmp_eq_u32_e64 s[2:3], 0, v30
	s_and_saveexec_b64 s[8:9], s[2:3]
	s_cbranch_execz .LBB4432_28
; %bb.27:
	s_add_i32 s10, s6, 64
	s_lshl_b64 s[10:11], s[10:11], 4
	s_add_u32 s10, s20, s10
	s_addc_u32 s11, s21, s11
	v_mov_b32_e32 v16, 1
	v_pk_mov_b32 v[18:19], s[10:11], s[10:11] op_sel:[0,1]
	s_waitcnt lgkmcnt(0)
	;;#ASMSTART
	global_store_dwordx4 v[18:19], v[14:17] off	
s_waitcnt vmcnt(0)
	;;#ASMEND
.LBB4432_28:
	s_or_b64 exec, exec, s[8:9]
	v_xad_u32 v24, v30, -1, s6
	v_add_u32_e32 v16, 64, v24
	v_lshlrev_b64 v[18:19], 4, v[16:17]
	v_mov_b32_e32 v1, s21
	v_add_co_u32_e32 v26, vcc, s20, v18
	v_addc_co_u32_e32 v27, vcc, v1, v19, vcc
	;;#ASMSTART
	global_load_dwordx4 v[18:21], v[26:27] off glc	
s_waitcnt vmcnt(0)
	;;#ASMEND
	v_and_b32_e32 v1, 0xff, v19
	v_and_b32_e32 v16, 0xff00, v19
	v_or3_b32 v1, 0, v1, v16
	v_or3_b32 v16, v18, 0, 0
	v_and_b32_e32 v18, 0xff000000, v19
	v_and_b32_e32 v19, 0xff0000, v19
	v_or3_b32 v19, v1, v19, v18
	v_or3_b32 v18, v16, 0, 0
	v_cmp_eq_u16_sdwa s[10:11], v20, v17 src0_sel:BYTE_0 src1_sel:DWORD
	s_and_saveexec_b64 s[8:9], s[10:11]
	s_cbranch_execz .LBB4432_32
; %bb.29:
	s_mov_b64 s[10:11], 0
	v_mov_b32_e32 v1, 0
.LBB4432_30:                            ; =>This Inner Loop Header: Depth=1
	;;#ASMSTART
	global_load_dwordx4 v[18:21], v[26:27] off glc	
s_waitcnt vmcnt(0)
	;;#ASMEND
	v_cmp_ne_u16_sdwa s[26:27], v20, v1 src0_sel:BYTE_0 src1_sel:DWORD
	s_or_b64 s[10:11], s[26:27], s[10:11]
	s_andn2_b64 exec, exec, s[10:11]
	s_cbranch_execnz .LBB4432_30
; %bb.31:
	s_or_b64 exec, exec, s[10:11]
.LBB4432_32:
	s_or_b64 exec, exec, s[8:9]
	v_and_b32_e32 v32, 63, v30
	v_cmp_ne_u32_e32 vcc, 63, v32
	v_addc_co_u32_e32 v26, vcc, 0, v30, vcc
	v_lshlrev_b32_e32 v33, 2, v26
	ds_bpermute_b32 v26, v33, v18
	v_mov_b32_e32 v1, 2
	v_cmp_eq_u16_sdwa s[8:9], v20, v1 src0_sel:BYTE_0 src1_sel:DWORD
	v_lshlrev_b64 v[16:17], v30, -1
	ds_bpermute_b32 v27, v33, v19
	v_and_b32_e32 v21, s9, v17
	v_or_b32_e32 v21, 0x80000000, v21
	s_waitcnt lgkmcnt(1)
	v_add_co_u32_e32 v26, vcc, v18, v26
	v_and_b32_e32 v25, s8, v16
	v_ffbl_b32_e32 v21, v21
	v_addc_co_u32_e32 v31, vcc, 0, v19, vcc
	v_add_u32_e32 v21, 32, v21
	v_ffbl_b32_e32 v25, v25
	v_add_co_u32_e32 v35, vcc, 0, v26
	v_cmp_gt_u32_e64 s[8:9], 62, v32
	v_min_u32_e32 v21, v25, v21
	s_waitcnt lgkmcnt(0)
	v_addc_co_u32_e32 v27, vcc, v27, v31, vcc
	v_cndmask_b32_e64 v31, 0, 1, s[8:9]
	v_cmp_lt_u32_e32 vcc, v32, v21
	v_lshlrev_b32_e32 v31, 1, v31
	v_cndmask_b32_e32 v26, v18, v26, vcc
	v_add_lshl_u32 v34, v31, v30, 2
	v_cndmask_b32_e32 v27, v19, v27, vcc
	ds_bpermute_b32 v31, v34, v26
	ds_bpermute_b32 v39, v34, v27
	v_cndmask_b32_e32 v40, v18, v35, vcc
	v_add_u32_e32 v35, 2, v32
	v_cmp_gt_u32_e64 s[10:11], 60, v32
	s_waitcnt lgkmcnt(1)
	v_add_co_u32_e64 v31, s[8:9], v31, v40
	s_waitcnt lgkmcnt(0)
	v_addc_co_u32_e64 v39, s[8:9], v39, v27, s[8:9]
	v_cmp_gt_u32_e64 s[8:9], v35, v21
	v_cndmask_b32_e64 v27, v39, v27, s[8:9]
	v_cndmask_b32_e64 v39, 0, 1, s[10:11]
	v_lshlrev_b32_e32 v39, 2, v39
	v_cndmask_b32_e64 v26, v31, v26, s[8:9]
	v_add_lshl_u32 v39, v39, v30, 2
	ds_bpermute_b32 v41, v39, v26
	ds_bpermute_b32 v42, v39, v27
	v_cndmask_b32_e64 v31, v31, v40, s[8:9]
	v_add_u32_e32 v40, 4, v32
	v_cmp_gt_u32_e64 s[10:11], 56, v32
	s_waitcnt lgkmcnt(1)
	v_add_co_u32_e64 v43, s[8:9], v41, v31
	s_waitcnt lgkmcnt(0)
	v_addc_co_u32_e64 v41, s[8:9], v42, v27, s[8:9]
	v_cmp_gt_u32_e64 s[8:9], v40, v21
	v_cndmask_b32_e64 v27, v41, v27, s[8:9]
	v_cndmask_b32_e64 v41, 0, 1, s[10:11]
	v_lshlrev_b32_e32 v41, 3, v41
	v_cndmask_b32_e64 v26, v43, v26, s[8:9]
	v_add_lshl_u32 v41, v41, v30, 2
	ds_bpermute_b32 v44, v41, v26
	v_cndmask_b32_e64 v31, v43, v31, s[8:9]
	ds_bpermute_b32 v43, v41, v27
	v_add_u32_e32 v42, 8, v32
	v_cmp_gt_u32_e64 s[10:11], 48, v32
	s_waitcnt lgkmcnt(1)
	v_add_co_u32_e64 v44, s[8:9], v44, v31
	s_waitcnt lgkmcnt(0)
	v_addc_co_u32_e64 v43, s[8:9], v43, v27, s[8:9]
	v_cmp_gt_u32_e64 s[8:9], v42, v21
	v_cndmask_b32_e64 v27, v43, v27, s[8:9]
	v_cndmask_b32_e64 v43, 0, 1, s[10:11]
	v_lshlrev_b32_e32 v43, 4, v43
	v_cndmask_b32_e64 v26, v44, v26, s[8:9]
	v_add_lshl_u32 v43, v43, v30, 2
	ds_bpermute_b32 v45, v43, v26
	ds_bpermute_b32 v46, v43, v27
	v_cndmask_b32_e64 v31, v44, v31, s[8:9]
	v_cmp_gt_u32_e64 s[10:11], 32, v32
	v_add_u32_e32 v44, 16, v32
	s_waitcnt lgkmcnt(1)
	v_add_co_u32_e64 v47, s[8:9], v45, v31
	s_waitcnt lgkmcnt(0)
	v_addc_co_u32_e64 v46, s[8:9], v46, v27, s[8:9]
	v_cndmask_b32_e64 v45, 0, 1, s[10:11]
	v_cmp_gt_u32_e64 s[8:9], v44, v21
	v_lshlrev_b32_e32 v45, 5, v45
	v_cndmask_b32_e64 v26, v47, v26, s[8:9]
	v_add_lshl_u32 v45, v45, v30, 2
	v_cndmask_b32_e64 v27, v46, v27, s[8:9]
	ds_bpermute_b32 v26, v45, v26
	ds_bpermute_b32 v30, v45, v27
	v_add_u32_e32 v46, 32, v32
	v_cndmask_b32_e64 v31, v47, v31, s[8:9]
	v_cmp_le_u32_e64 s[8:9], v46, v21
	s_waitcnt lgkmcnt(1)
	v_cndmask_b32_e64 v26, 0, v26, s[8:9]
	s_waitcnt lgkmcnt(0)
	v_cndmask_b32_e64 v21, 0, v30, s[8:9]
	v_add_co_u32_e64 v26, s[8:9], v26, v31
	v_addc_co_u32_e64 v21, s[8:9], v21, v27, s[8:9]
	v_mov_b32_e32 v25, 0
	v_cndmask_b32_e32 v19, v19, v21, vcc
	v_cndmask_b32_e32 v18, v18, v26, vcc
	s_branch .LBB4432_34
.LBB4432_33:                            ;   in Loop: Header=BB4432_34 Depth=1
	s_or_b64 exec, exec, s[8:9]
	v_cmp_eq_u16_sdwa s[8:9], v20, v1 src0_sel:BYTE_0 src1_sel:DWORD
	v_and_b32_e32 v21, s9, v17
	v_or_b32_e32 v21, 0x80000000, v21
	ds_bpermute_b32 v31, v33, v18
	v_and_b32_e32 v30, s8, v16
	v_ffbl_b32_e32 v21, v21
	v_add_u32_e32 v21, 32, v21
	v_ffbl_b32_e32 v30, v30
	v_min_u32_e32 v21, v30, v21
	ds_bpermute_b32 v30, v33, v19
	s_waitcnt lgkmcnt(1)
	v_add_co_u32_e32 v31, vcc, v18, v31
	v_addc_co_u32_e32 v47, vcc, 0, v19, vcc
	v_add_co_u32_e32 v48, vcc, 0, v31
	s_waitcnt lgkmcnt(0)
	v_addc_co_u32_e32 v30, vcc, v30, v47, vcc
	v_cmp_lt_u32_e32 vcc, v32, v21
	v_cndmask_b32_e32 v31, v18, v31, vcc
	ds_bpermute_b32 v47, v34, v31
	v_cndmask_b32_e32 v30, v19, v30, vcc
	ds_bpermute_b32 v49, v34, v30
	v_cndmask_b32_e32 v48, v18, v48, vcc
	v_subrev_u32_e32 v24, 64, v24
	s_waitcnt lgkmcnt(1)
	v_add_co_u32_e64 v47, s[8:9], v47, v48
	s_waitcnt lgkmcnt(0)
	v_addc_co_u32_e64 v49, s[8:9], v49, v30, s[8:9]
	v_cmp_gt_u32_e64 s[8:9], v35, v21
	v_cndmask_b32_e64 v31, v47, v31, s[8:9]
	ds_bpermute_b32 v50, v39, v31
	v_cndmask_b32_e64 v30, v49, v30, s[8:9]
	ds_bpermute_b32 v49, v39, v30
	v_cndmask_b32_e64 v47, v47, v48, s[8:9]
	s_waitcnt lgkmcnt(1)
	v_add_co_u32_e64 v48, s[8:9], v50, v47
	s_waitcnt lgkmcnt(0)
	v_addc_co_u32_e64 v49, s[8:9], v49, v30, s[8:9]
	v_cmp_gt_u32_e64 s[8:9], v40, v21
	v_cndmask_b32_e64 v31, v48, v31, s[8:9]
	ds_bpermute_b32 v50, v41, v31
	v_cndmask_b32_e64 v30, v49, v30, s[8:9]
	ds_bpermute_b32 v49, v41, v30
	v_cndmask_b32_e64 v47, v48, v47, s[8:9]
	;; [unrolled: 10-line block ×3, first 2 shown]
	s_waitcnt lgkmcnt(1)
	v_add_co_u32_e64 v48, s[8:9], v50, v47
	s_waitcnt lgkmcnt(0)
	v_addc_co_u32_e64 v49, s[8:9], v49, v30, s[8:9]
	v_cmp_gt_u32_e64 s[8:9], v44, v21
	v_cndmask_b32_e64 v31, v48, v31, s[8:9]
	v_cndmask_b32_e64 v30, v49, v30, s[8:9]
	ds_bpermute_b32 v31, v45, v31
	ds_bpermute_b32 v49, v45, v30
	v_cndmask_b32_e64 v47, v48, v47, s[8:9]
	v_cmp_le_u32_e64 s[8:9], v46, v21
	s_waitcnt lgkmcnt(1)
	v_cndmask_b32_e64 v31, 0, v31, s[8:9]
	s_waitcnt lgkmcnt(0)
	v_cndmask_b32_e64 v21, 0, v49, s[8:9]
	v_add_co_u32_e64 v31, s[8:9], v31, v47
	v_addc_co_u32_e64 v21, s[8:9], v21, v30, s[8:9]
	v_cndmask_b32_e32 v18, v18, v31, vcc
	v_cndmask_b32_e32 v19, v19, v21, vcc
	v_add_co_u32_e32 v18, vcc, v18, v26
	v_addc_co_u32_e32 v19, vcc, v19, v27, vcc
.LBB4432_34:                            ; =>This Loop Header: Depth=1
                                        ;     Child Loop BB4432_37 Depth 2
	v_cmp_ne_u16_sdwa s[8:9], v20, v1 src0_sel:BYTE_0 src1_sel:DWORD
	v_cndmask_b32_e64 v20, 0, 1, s[8:9]
	;;#ASMSTART
	;;#ASMEND
	v_cmp_ne_u32_e32 vcc, 0, v20
	s_cmp_lg_u64 vcc, exec
	v_pk_mov_b32 v[26:27], v[18:19], v[18:19] op_sel:[0,1]
	s_cbranch_scc1 .LBB4432_39
; %bb.35:                               ;   in Loop: Header=BB4432_34 Depth=1
	v_lshlrev_b64 v[18:19], 4, v[24:25]
	v_mov_b32_e32 v20, s21
	v_add_co_u32_e32 v30, vcc, s20, v18
	v_addc_co_u32_e32 v31, vcc, v20, v19, vcc
	;;#ASMSTART
	global_load_dwordx4 v[18:21], v[30:31] off glc	
s_waitcnt vmcnt(0)
	;;#ASMEND
	v_and_b32_e32 v21, 0xff, v19
	v_and_b32_e32 v47, 0xff00, v19
	v_or3_b32 v21, 0, v21, v47
	v_or3_b32 v18, v18, 0, 0
	v_and_b32_e32 v47, 0xff000000, v19
	v_and_b32_e32 v19, 0xff0000, v19
	v_or3_b32 v19, v21, v19, v47
	v_or3_b32 v18, v18, 0, 0
	v_cmp_eq_u16_sdwa s[10:11], v20, v25 src0_sel:BYTE_0 src1_sel:DWORD
	s_and_saveexec_b64 s[8:9], s[10:11]
	s_cbranch_execz .LBB4432_33
; %bb.36:                               ;   in Loop: Header=BB4432_34 Depth=1
	s_mov_b64 s[10:11], 0
.LBB4432_37:                            ;   Parent Loop BB4432_34 Depth=1
                                        ; =>  This Inner Loop Header: Depth=2
	;;#ASMSTART
	global_load_dwordx4 v[18:21], v[30:31] off glc	
s_waitcnt vmcnt(0)
	;;#ASMEND
	v_cmp_ne_u16_sdwa s[26:27], v20, v25 src0_sel:BYTE_0 src1_sel:DWORD
	s_or_b64 s[10:11], s[26:27], s[10:11]
	s_andn2_b64 exec, exec, s[10:11]
	s_cbranch_execnz .LBB4432_37
; %bb.38:                               ;   in Loop: Header=BB4432_34 Depth=1
	s_or_b64 exec, exec, s[10:11]
	s_branch .LBB4432_33
.LBB4432_39:                            ;   in Loop: Header=BB4432_34 Depth=1
                                        ; implicit-def: $vgpr18_vgpr19
                                        ; implicit-def: $vgpr20
	s_cbranch_execz .LBB4432_34
; %bb.40:
	s_and_saveexec_b64 s[8:9], s[2:3]
	s_cbranch_execz .LBB4432_42
; %bb.41:
	s_add_i32 s2, s6, 64
	s_mov_b32 s3, 0
	s_lshl_b64 s[2:3], s[2:3], 4
	s_add_u32 s2, s20, s2
	v_add_co_u32_e32 v14, vcc, v26, v14
	s_addc_u32 s3, s21, s3
	v_addc_co_u32_e32 v15, vcc, v27, v15, vcc
	v_mov_b32_e32 v16, 2
	v_mov_b32_e32 v17, 0
	v_pk_mov_b32 v[18:19], s[2:3], s[2:3] op_sel:[0,1]
	;;#ASMSTART
	global_store_dwordx4 v[18:19], v[14:17] off	
s_waitcnt vmcnt(0)
	;;#ASMEND
.LBB4432_42:
	s_or_b64 exec, exec, s[8:9]
	s_and_b64 exec, exec, s[0:1]
	s_cbranch_execz .LBB4432_44
; %bb.43:
	v_mov_b32_e32 v1, 0
	ds_write_b64 v1, v[26:27]
.LBB4432_44:
	s_or_b64 exec, exec, s[22:23]
	v_mov_b32_e32 v1, 0
	s_waitcnt lgkmcnt(0)
	s_barrier
	ds_read_b64 v[14:15], v1
	v_add_co_u32_e32 v1, vcc, v22, v2
	v_addc_co_u32_e32 v16, vcc, v23, v3, vcc
	s_waitcnt lgkmcnt(0)
	v_add_co_u32_e32 v24, vcc, v1, v14
	v_addc_co_u32_e32 v25, vcc, v16, v15, vcc
	v_add_co_u32_e32 v30, vcc, v24, v4
	v_addc_co_u32_e32 v31, vcc, v25, v5, vcc
	;; [unrolled: 2-line block ×7, first 2 shown]
	s_load_dwordx8 s[4:11], s[4:5], 0x40
	s_branch .LBB4432_59
.LBB4432_45:
                                        ; implicit-def: $vgpr22_vgpr23
                                        ; implicit-def: $vgpr34_vgpr35
                                        ; implicit-def: $vgpr32_vgpr33
                                        ; implicit-def: $vgpr30_vgpr31
                                        ; implicit-def: $vgpr18_vgpr19_vgpr20_vgpr21
                                        ; implicit-def: $vgpr14_vgpr15_vgpr16_vgpr17
                                        ; implicit-def: $vgpr24_vgpr25_vgpr26_vgpr27
	s_load_dwordx8 s[4:11], s[4:5], 0x40
	s_cbranch_execz .LBB4432_59
; %bb.46:
	s_waitcnt lgkmcnt(0)
	s_cmp_lg_u64 s[8:9], 0
	s_cselect_b64 s[2:3], -1, 0
	v_cmp_eq_u32_e64 s[0:1], 0, v0
	v_cmp_ne_u32_e32 vcc, 0, v0
	s_and_b64 s[2:3], s[0:1], s[2:3]
	s_and_saveexec_b64 s[8:9], s[2:3]
	s_cbranch_execz .LBB4432_48
; %bb.47:
	v_mov_b32_e32 v1, 0
	global_load_dwordx2 v[14:15], v1, s[4:5]
	s_waitcnt vmcnt(0)
	v_add_co_u32_e64 v2, s[2:3], v14, v2
	v_addc_co_u32_e64 v3, s[2:3], v15, v3, s[2:3]
.LBB4432_48:
	s_or_b64 exec, exec, s[8:9]
	v_add_co_u32_e64 v30, s[2:3], v4, v2
	v_addc_co_u32_e64 v31, s[2:3], v5, v3, s[2:3]
	v_add_co_u32_e64 v14, s[2:3], v30, v10
	v_addc_co_u32_e64 v15, s[2:3], v31, v11, s[2:3]
	;; [unrolled: 2-line block ×6, first 2 shown]
	v_add_lshl_u32 v1, v38, v0, 3
	v_cmp_gt_u32_e64 s[2:3], 64, v0
	ds_write_b64 v1, v[22:23]
	s_waitcnt lgkmcnt(0)
	s_barrier
	s_and_saveexec_b64 s[8:9], s[2:3]
	s_cbranch_execz .LBB4432_52
; %bb.49:
	v_lshlrev_b32_e32 v1, 1, v0
	v_lshrrev_b32_e32 v16, 4, v0
	v_add_lshl_u32 v17, v16, v1, 3
	ds_read2_b64 v[24:27], v17 offset1:1
	v_mbcnt_lo_u32_b32 v1, -1, 0
	v_mbcnt_hi_u32_b32 v20, -1, v1
	v_and_b32_e32 v1, 15, v20
	v_cmp_ne_u32_e64 s[4:5], 0, v20
	s_waitcnt lgkmcnt(0)
	v_add_co_u32_e64 v21, s[2:3], v26, v24
	v_addc_co_u32_e64 v26, s[2:3], v27, v25, s[2:3]
	s_nop 0
	v_mov_b32_dpp v16, v21 row_shr:1 row_mask:0xf bank_mask:0xf
	v_add_co_u32_e64 v16, s[2:3], v21, v16
	v_addc_co_u32_e64 v38, s[2:3], 0, v26, s[2:3]
	v_mov_b32_dpp v27, v26 row_shr:1 row_mask:0xf bank_mask:0xf
	v_add_co_u32_e64 v39, s[2:3], 0, v16
	v_addc_co_u32_e64 v27, s[2:3], v27, v38, s[2:3]
	v_cmp_eq_u32_e64 s[2:3], 0, v1
	v_cndmask_b32_e64 v16, v16, v21, s[2:3]
	v_cndmask_b32_e64 v27, v27, v26, s[2:3]
	v_cndmask_b32_e64 v38, v39, v21, s[2:3]
	v_mov_b32_dpp v39, v16 row_shr:2 row_mask:0xf bank_mask:0xf
	v_mov_b32_dpp v40, v27 row_shr:2 row_mask:0xf bank_mask:0xf
	v_add_co_u32_e64 v39, s[2:3], v39, v38
	v_addc_co_u32_e64 v40, s[2:3], v40, v27, s[2:3]
	v_cmp_lt_u32_e64 s[2:3], 1, v1
	v_cndmask_b32_e64 v16, v16, v39, s[2:3]
	v_cndmask_b32_e64 v27, v27, v40, s[2:3]
	v_cndmask_b32_e64 v38, v38, v39, s[2:3]
	v_mov_b32_dpp v39, v16 row_shr:4 row_mask:0xf bank_mask:0xf
	v_mov_b32_dpp v40, v27 row_shr:4 row_mask:0xf bank_mask:0xf
	v_add_co_u32_e64 v39, s[2:3], v39, v38
	v_addc_co_u32_e64 v40, s[2:3], v40, v27, s[2:3]
	v_cmp_lt_u32_e64 s[2:3], 3, v1
	;; [unrolled: 8-line block ×3, first 2 shown]
	v_cndmask_b32_e64 v41, v16, v39, s[2:3]
	v_cndmask_b32_e64 v1, v27, v40, s[2:3]
	;; [unrolled: 1-line block ×3, first 2 shown]
	v_mov_b32_dpp v27, v41 row_bcast:15 row_mask:0xf bank_mask:0xf
	v_mov_b32_dpp v38, v1 row_bcast:15 row_mask:0xf bank_mask:0xf
	v_add_co_u32_e64 v27, s[2:3], v27, v16
	v_and_b32_e32 v40, 16, v20
	v_addc_co_u32_e64 v39, s[2:3], v38, v1, s[2:3]
	v_cmp_eq_u32_e64 s[2:3], 0, v40
	v_cndmask_b32_e64 v40, v39, v1, s[2:3]
	v_cndmask_b32_e64 v38, v27, v41, s[2:3]
	s_nop 0
	v_mov_b32_dpp v40, v40 row_bcast:31 row_mask:0xf bank_mask:0xf
	v_mov_b32_dpp v38, v38 row_bcast:31 row_mask:0xf bank_mask:0xf
	s_and_saveexec_b64 s[22:23], s[4:5]
; %bb.50:
	v_cndmask_b32_e64 v1, v39, v1, s[2:3]
	v_cndmask_b32_e64 v16, v27, v16, s[2:3]
	v_cmp_lt_u32_e64 s[2:3], 31, v20
	v_cndmask_b32_e64 v21, 0, v38, s[2:3]
	v_cndmask_b32_e64 v26, 0, v40, s[2:3]
	v_add_co_u32_e64 v21, s[2:3], v21, v16
	v_addc_co_u32_e64 v26, s[2:3], v26, v1, s[2:3]
; %bb.51:
	s_or_b64 exec, exec, s[22:23]
	v_add_u32_e32 v1, -1, v20
	v_and_b32_e32 v16, 64, v20
	v_cmp_lt_i32_e64 s[2:3], v1, v16
	v_cndmask_b32_e64 v1, v1, v20, s[2:3]
	v_lshlrev_b32_e32 v1, 2, v1
	ds_bpermute_b32 v16, v1, v21
	ds_bpermute_b32 v1, v1, v26
	; wave barrier
	s_waitcnt lgkmcnt(1)
	v_add_co_u32_e64 v16, s[2:3], v24, v16
	v_addc_co_u32_e64 v20, s[2:3], 0, v25, s[2:3]
	v_add_co_u32_e64 v16, s[2:3], 0, v16
	s_waitcnt lgkmcnt(0)
	v_addc_co_u32_e64 v1, s[2:3], v20, v1, s[2:3]
	v_cndmask_b32_e64 v21, v1, v23, s[0:1]
	v_cndmask_b32_e64 v20, v16, v22, s[0:1]
	ds_write_b64 v17, v[20:21]
	; wave barrier
	ds_read_b64 v[24:25], v17 offset:8
	s_waitcnt lgkmcnt(0)
	v_add_co_u32_e64 v20, s[0:1], v24, v20
	v_addc_co_u32_e64 v21, s[0:1], v25, v21, s[0:1]
	ds_write_b64 v17, v[20:21] offset:8
.LBB4432_52:
	s_or_b64 exec, exec, s[8:9]
	v_pk_mov_b32 v[16:17], v[22:23], v[22:23] op_sel:[0,1]
	s_waitcnt lgkmcnt(0)
	s_barrier
	s_and_saveexec_b64 s[0:1], vcc
	s_cbranch_execz .LBB4432_54
; %bb.53:
	v_add_u32_e32 v1, -1, v0
	v_lshrrev_b32_e32 v16, 5, v1
	v_add_lshl_u32 v1, v16, v1, 3
	ds_read_b64 v[16:17], v1
.LBB4432_54:
	s_or_b64 exec, exec, s[0:1]
	s_and_saveexec_b64 s[0:1], vcc
	s_cbranch_execz .LBB4432_56
; %bb.55:
	s_waitcnt lgkmcnt(0)
	v_add_co_u32_e32 v2, vcc, v16, v2
	v_addc_co_u32_e32 v3, vcc, v17, v3, vcc
	v_add_co_u32_e32 v30, vcc, v2, v4
	v_addc_co_u32_e32 v31, vcc, v3, v5, vcc
	;; [unrolled: 2-line block ×7, first 2 shown]
	;;#ASMSTART
	;;#ASMEND
.LBB4432_56:
	s_or_b64 exec, exec, s[0:1]
	s_movk_i32 s0, 0x7f
	v_cmp_eq_u32_e32 vcc, s0, v0
	s_and_saveexec_b64 s[0:1], vcc
	s_cbranch_execz .LBB4432_58
; %bb.57:
	s_add_u32 s2, s20, 0x400
	s_addc_u32 s3, s21, 0
	v_mov_b32_e32 v24, 2
	v_mov_b32_e32 v25, 0
	v_pk_mov_b32 v[4:5], s[2:3], s[2:3] op_sel:[0,1]
	;;#ASMSTART
	global_store_dwordx4 v[4:5], v[22:25] off	
s_waitcnt vmcnt(0)
	;;#ASMEND
.LBB4432_58:
	s_or_b64 exec, exec, s[0:1]
	v_pk_mov_b32 v[24:25], v[2:3], v[2:3] op_sel:[0,1]
.LBB4432_59:
	s_add_u32 s0, s12, s16
	s_addc_u32 s1, s13, s17
	s_add_u32 s2, s0, s18
	s_addc_u32 s3, s1, s19
	s_mov_b64 s[0:1], -1
	s_and_b64 vcc, exec, s[14:15]
	v_mul_u32_u24_e32 v1, 56, v0
	s_waitcnt lgkmcnt(0)
	s_barrier
	s_cbranch_vccz .LBB4432_61
; %bb.60:
	v_mul_i32_i24_e32 v2, 0xffffffd0, v0
	v_mad_u32_u24 v16, v0, 56, v2
	ds_write2_b64 v1, v[24:25], v[30:31] offset1:1
	ds_write2_b64 v1, v[14:15], v[32:33] offset0:2 offset1:3
	ds_write2_b64 v1, v[18:19], v[34:35] offset0:4 offset1:5
	ds_write_b64 v1, v[22:23] offset:48
	s_waitcnt lgkmcnt(0)
	s_barrier
	ds_read2st64_b64 v[2:5], v16 offset1:2
	ds_read2st64_b64 v[6:9], v16 offset0:4 offset1:6
	ds_read2st64_b64 v[10:13], v16 offset0:8 offset1:10
	ds_read_b64 v[16:17], v16 offset:6144
	v_mov_b32_e32 v21, s3
	v_add_co_u32_e32 v20, vcc, s2, v36
	v_addc_co_u32_e32 v21, vcc, 0, v21, vcc
	s_waitcnt lgkmcnt(3)
	flat_store_dwordx2 v[20:21], v[2:3]
	flat_store_dwordx2 v[20:21], v[4:5] offset:1024
	s_waitcnt lgkmcnt(0)
	flat_store_dwordx2 v[20:21], v[6:7] offset:2048
	flat_store_dwordx2 v[20:21], v[8:9] offset:3072
	v_add_co_u32_e32 v2, vcc, 0x1000, v20
	v_addc_co_u32_e32 v3, vcc, 0, v21, vcc
	flat_store_dwordx2 v[2:3], v[10:11]
	flat_store_dwordx2 v[2:3], v[12:13] offset:1024
	flat_store_dwordx2 v[2:3], v[16:17] offset:2048
	s_mov_b64 s[0:1], 0
.LBB4432_61:
	s_andn2_b64 vcc, exec, s[0:1]
	s_cbranch_vccnz .LBB4432_100
; %bb.62:
	v_mul_i32_i24_e32 v2, 0xffffffd0, v0
	ds_write2_b64 v1, v[24:25], v[30:31] offset1:1
	ds_write2_b64 v1, v[14:15], v[32:33] offset0:2 offset1:3
	ds_write2_b64 v1, v[18:19], v[34:35] offset0:4 offset1:5
	ds_write_b64 v1, v[22:23] offset:48
	v_mad_u32_u24 v14, v0, 56, v2
	s_waitcnt lgkmcnt(0)
	s_barrier
	ds_read2st64_b64 v[2:5], v14 offset1:2
	ds_read2st64_b64 v[6:9], v14 offset0:4 offset1:6
	ds_read2st64_b64 v[10:13], v14 offset0:8 offset1:10
	ds_read_b64 v[14:15], v14 offset:6144
	v_mov_b32_e32 v17, s3
	v_add_co_u32_e32 v16, vcc, s2, v36
	v_addc_co_u32_e32 v17, vcc, 0, v17, vcc
	v_mov_b32_e32 v1, 0
	v_cmp_gt_u32_e32 vcc, s24, v0
	s_and_saveexec_b64 s[0:1], vcc
	s_cbranch_execz .LBB4432_64
; %bb.63:
	s_waitcnt lgkmcnt(0)
	flat_store_dwordx2 v[16:17], v[2:3]
.LBB4432_64:
	s_or_b64 exec, exec, s[0:1]
	v_or_b32_e32 v18, 0x80, v0
	v_cmp_gt_u32_e32 vcc, s24, v18
	s_and_saveexec_b64 s[0:1], vcc
	s_cbranch_execz .LBB4432_66
; %bb.65:
	s_waitcnt lgkmcnt(0)
	flat_store_dwordx2 v[16:17], v[4:5] offset:1024
.LBB4432_66:
	s_or_b64 exec, exec, s[0:1]
	v_or_b32_e32 v18, 0x100, v0
	v_cmp_gt_u32_e32 vcc, s24, v18
	s_and_saveexec_b64 s[0:1], vcc
	s_cbranch_execz .LBB4432_68
; %bb.67:
	s_waitcnt lgkmcnt(0)
	flat_store_dwordx2 v[16:17], v[6:7] offset:2048
.LBB4432_68:
	s_or_b64 exec, exec, s[0:1]
	v_or_b32_e32 v18, 0x180, v0
	v_cmp_gt_u32_e32 vcc, s24, v18
	s_and_saveexec_b64 s[0:1], vcc
	s_cbranch_execz .LBB4432_70
; %bb.69:
	s_waitcnt lgkmcnt(0)
	flat_store_dwordx2 v[16:17], v[8:9] offset:3072
.LBB4432_70:
	s_or_b64 exec, exec, s[0:1]
	v_or_b32_e32 v18, 0x200, v0
	v_cmp_gt_u32_e32 vcc, s24, v18
	s_and_saveexec_b64 s[0:1], vcc
	s_cbranch_execz .LBB4432_72
; %bb.71:
	v_add_co_u32_e32 v18, vcc, 0x1000, v16
	v_addc_co_u32_e32 v19, vcc, 0, v17, vcc
	s_waitcnt lgkmcnt(0)
	flat_store_dwordx2 v[18:19], v[10:11]
.LBB4432_72:
	s_or_b64 exec, exec, s[0:1]
	v_or_b32_e32 v18, 0x280, v0
	v_cmp_gt_u32_e32 vcc, s24, v18
	s_and_saveexec_b64 s[0:1], vcc
	s_cbranch_execz .LBB4432_74
; %bb.73:
	v_add_co_u32_e32 v18, vcc, 0x1000, v16
	v_addc_co_u32_e32 v19, vcc, 0, v17, vcc
	s_waitcnt lgkmcnt(0)
	flat_store_dwordx2 v[18:19], v[12:13] offset:1024
.LBB4432_74:
	s_or_b64 exec, exec, s[0:1]
	v_or_b32_e32 v18, 0x300, v0
	v_cmp_gt_u32_e32 vcc, s24, v18
	s_and_saveexec_b64 s[0:1], vcc
	s_cbranch_execz .LBB4432_76
; %bb.75:
	v_add_co_u32_e32 v16, vcc, 0x1000, v16
	v_addc_co_u32_e32 v17, vcc, 0, v17, vcc
	s_waitcnt lgkmcnt(0)
	flat_store_dwordx2 v[16:17], v[14:15] offset:2048
.LBB4432_76:
	s_or_b64 exec, exec, s[0:1]
	v_cmp_lt_u64_e64 s[0:1], s[10:11], 2
	s_and_b64 vcc, exec, s[0:1]
	s_cbranch_vccnz .LBB4432_100
; %bb.77:
	s_add_u32 s0, s24, -1
	s_addc_u32 s1, s25, -1
	s_add_u32 s2, 0, 0x92481000
	s_addc_u32 s3, 0, 0x64
	s_add_i32 s3, s3, 0x249248c0
	s_mul_hi_u32 s9, s2, -7
	s_sub_i32 s9, s9, s2
	s_mul_i32 s10, s3, -7
	s_mul_i32 s4, s2, -7
	s_add_i32 s9, s9, s10
	s_mul_hi_u32 s5, s3, s4
	s_mul_i32 s8, s3, s4
	s_mul_i32 s11, s2, s9
	s_mul_hi_u32 s4, s2, s4
	s_mul_hi_u32 s10, s2, s9
	s_add_u32 s4, s4, s11
	s_addc_u32 s10, 0, s10
	s_add_u32 s4, s4, s8
	s_mul_hi_u32 s11, s3, s9
	s_addc_u32 s4, s10, s5
	s_addc_u32 s5, s11, 0
	s_mul_i32 s8, s3, s9
	s_add_u32 s4, s4, s8
	v_mov_b32_e32 v16, s4
	s_addc_u32 s5, 0, s5
	v_add_co_u32_e32 v16, vcc, s2, v16
	s_cmp_lg_u64 vcc, 0
	s_addc_u32 s2, s3, s5
	v_readfirstlane_b32 s5, v16
	s_mul_i32 s4, s0, s2
	s_mul_hi_u32 s8, s0, s5
	s_mul_hi_u32 s3, s0, s2
	s_add_u32 s4, s8, s4
	s_addc_u32 s3, 0, s3
	s_mul_hi_u32 s9, s1, s5
	s_mul_i32 s5, s1, s5
	s_add_u32 s4, s4, s5
	s_mul_hi_u32 s8, s1, s2
	s_addc_u32 s3, s3, s9
	s_addc_u32 s4, s8, 0
	s_mul_i32 s2, s1, s2
	s_add_u32 s2, s3, s2
	s_addc_u32 s3, 0, s4
	s_add_u32 s4, s2, 1
	s_addc_u32 s5, s3, 0
	s_add_u32 s8, s2, 2
	s_mul_i32 s10, s3, 7
	s_mul_hi_u32 s11, s2, 7
	s_addc_u32 s9, s3, 0
	s_add_i32 s11, s11, s10
	s_mul_i32 s10, s2, 7
	v_mov_b32_e32 v16, s10
	v_sub_co_u32_e32 v16, vcc, s0, v16
	s_cmp_lg_u64 vcc, 0
	s_subb_u32 s10, s1, s11
	v_subrev_co_u32_e32 v17, vcc, 7, v16
	s_cmp_lg_u64 vcc, 0
	s_subb_u32 s11, s10, 0
	v_readfirstlane_b32 s12, v17
	s_cmp_gt_u32 s12, 6
	s_cselect_b32 s12, -1, 0
	s_cmp_eq_u32 s11, 0
	s_cselect_b32 s11, s12, -1
	s_cmp_lg_u32 s11, 0
	s_cselect_b32 s4, s8, s4
	v_readfirstlane_b32 s8, v16
	s_cselect_b32 s5, s9, s5
	s_cmp_gt_u32 s8, 6
	s_cselect_b32 s8, -1, 0
	s_cmp_eq_u32 s10, 0
	s_cselect_b32 s8, s8, -1
	s_cmp_lg_u32 s8, 0
	s_cselect_b32 s3, s5, s3
	s_cselect_b32 s2, s4, s2
	v_cmp_eq_u64_e32 vcc, s[2:3], v[0:1]
	s_and_saveexec_b64 s[2:3], vcc
	s_cbranch_execz .LBB4432_100
; %bb.78:
	v_mul_hi_u32_u24_e32 v1, 7, v0
	v_mov_b32_e32 v16, s1
	v_sub_co_u32_e32 v0, vcc, s0, v37
	v_subb_co_u32_e32 v1, vcc, v16, v1, vcc
	v_cmp_lt_i64_e32 vcc, 3, v[0:1]
	s_and_saveexec_b64 s[0:1], vcc
	s_xor_b64 s[0:1], exec, s[0:1]
	s_cbranch_execz .LBB4432_88
; %bb.79:
	v_cmp_lt_i64_e32 vcc, 4, v[0:1]
	s_and_saveexec_b64 s[2:3], vcc
	s_xor_b64 s[2:3], exec, s[2:3]
	s_cbranch_execz .LBB4432_85
; %bb.80:
	v_cmp_lt_i64_e32 vcc, 5, v[0:1]
	s_and_saveexec_b64 s[4:5], vcc
	s_xor_b64 s[4:5], exec, s[4:5]
	s_cbranch_execz .LBB4432_82
; %bb.81:
	v_mov_b32_e32 v0, 0
	s_waitcnt lgkmcnt(0)
	global_store_dwordx2 v0, v[14:15], s[6:7]
                                        ; implicit-def: $vgpr10_vgpr11_vgpr12_vgpr13
.LBB4432_82:
	s_andn2_saveexec_b64 s[4:5], s[4:5]
	s_cbranch_execz .LBB4432_84
; %bb.83:
	v_mov_b32_e32 v0, 0
	s_waitcnt lgkmcnt(0)
	global_store_dwordx2 v0, v[12:13], s[6:7]
.LBB4432_84:
	s_or_b64 exec, exec, s[4:5]
                                        ; implicit-def: $vgpr10_vgpr11_vgpr12_vgpr13
.LBB4432_85:
	s_andn2_saveexec_b64 s[2:3], s[2:3]
	s_cbranch_execz .LBB4432_87
; %bb.86:
	v_mov_b32_e32 v0, 0
	s_waitcnt lgkmcnt(0)
	global_store_dwordx2 v0, v[10:11], s[6:7]
.LBB4432_87:
	s_or_b64 exec, exec, s[2:3]
                                        ; implicit-def: $vgpr0_vgpr1
                                        ; implicit-def: $vgpr2_vgpr3_vgpr4_vgpr5
                                        ; implicit-def: $vgpr6_vgpr7_vgpr8_vgpr9
.LBB4432_88:
	s_andn2_saveexec_b64 s[0:1], s[0:1]
	s_cbranch_execz .LBB4432_100
; %bb.89:
	v_cmp_lt_i64_e32 vcc, 1, v[0:1]
	s_and_saveexec_b64 s[0:1], vcc
	s_xor_b64 s[0:1], exec, s[0:1]
	s_cbranch_execz .LBB4432_95
; %bb.90:
	v_cmp_lt_i64_e32 vcc, 2, v[0:1]
	s_and_saveexec_b64 s[2:3], vcc
	s_xor_b64 s[2:3], exec, s[2:3]
	s_cbranch_execz .LBB4432_92
; %bb.91:
	v_mov_b32_e32 v0, 0
	s_waitcnt lgkmcnt(0)
	global_store_dwordx2 v0, v[8:9], s[6:7]
                                        ; implicit-def: $vgpr6_vgpr7_vgpr8_vgpr9
.LBB4432_92:
	s_andn2_saveexec_b64 s[2:3], s[2:3]
	s_cbranch_execz .LBB4432_94
; %bb.93:
	v_mov_b32_e32 v0, 0
	s_waitcnt lgkmcnt(0)
	global_store_dwordx2 v0, v[6:7], s[6:7]
.LBB4432_94:
	s_or_b64 exec, exec, s[2:3]
                                        ; implicit-def: $vgpr2_vgpr3_vgpr4_vgpr5
                                        ; implicit-def: $vgpr0_vgpr1
.LBB4432_95:
	s_andn2_saveexec_b64 s[0:1], s[0:1]
	s_cbranch_execz .LBB4432_100
; %bb.96:
	v_cmp_ne_u64_e32 vcc, 1, v[0:1]
	s_and_saveexec_b64 s[0:1], vcc
	s_xor_b64 s[0:1], exec, s[0:1]
	s_cbranch_execz .LBB4432_98
; %bb.97:
	v_mov_b32_e32 v0, 0
	s_waitcnt lgkmcnt(0)
	global_store_dwordx2 v0, v[2:3], s[6:7]
                                        ; implicit-def: $vgpr2_vgpr3_vgpr4_vgpr5
.LBB4432_98:
	s_andn2_saveexec_b64 s[0:1], s[0:1]
	s_cbranch_execz .LBB4432_100
; %bb.99:
	v_mov_b32_e32 v0, 0
	s_waitcnt lgkmcnt(0)
	global_store_dwordx2 v0, v[4:5], s[6:7]
.LBB4432_100:
	s_endpgm
	.section	.rodata,"a",@progbits
	.p2align	6, 0x0
	.amdhsa_kernel _ZN7rocprim17ROCPRIM_400000_NS6detail17trampoline_kernelINS0_14default_configENS1_20scan_config_selectorIyEEZZNS1_9scan_implILNS1_25lookback_scan_determinismE0ELb0ELb0ES3_N6thrust23THRUST_200600_302600_NS6detail15normal_iteratorINS9_10device_ptrIyEEEESE_yNS9_4plusIvEEyEEDaPvRmT3_T4_T5_mT6_P12ihipStream_tbENKUlT_T0_E_clISt17integral_constantIbLb0EESU_EEDaSP_SQ_EUlSP_E_NS1_11comp_targetILNS1_3genE4ELNS1_11target_archE910ELNS1_3gpuE8ELNS1_3repE0EEENS1_30default_config_static_selectorELNS0_4arch9wavefront6targetE1EEEvT1_
		.amdhsa_group_segment_fixed_size 7168
		.amdhsa_private_segment_fixed_size 0
		.amdhsa_kernarg_size 104
		.amdhsa_user_sgpr_count 6
		.amdhsa_user_sgpr_private_segment_buffer 1
		.amdhsa_user_sgpr_dispatch_ptr 0
		.amdhsa_user_sgpr_queue_ptr 0
		.amdhsa_user_sgpr_kernarg_segment_ptr 1
		.amdhsa_user_sgpr_dispatch_id 0
		.amdhsa_user_sgpr_flat_scratch_init 0
		.amdhsa_user_sgpr_kernarg_preload_length 0
		.amdhsa_user_sgpr_kernarg_preload_offset 0
		.amdhsa_user_sgpr_private_segment_size 0
		.amdhsa_uses_dynamic_stack 0
		.amdhsa_system_sgpr_private_segment_wavefront_offset 0
		.amdhsa_system_sgpr_workgroup_id_x 1
		.amdhsa_system_sgpr_workgroup_id_y 0
		.amdhsa_system_sgpr_workgroup_id_z 0
		.amdhsa_system_sgpr_workgroup_info 0
		.amdhsa_system_vgpr_workitem_id 0
		.amdhsa_next_free_vgpr 51
		.amdhsa_next_free_sgpr 28
		.amdhsa_accum_offset 52
		.amdhsa_reserve_vcc 1
		.amdhsa_reserve_flat_scratch 0
		.amdhsa_float_round_mode_32 0
		.amdhsa_float_round_mode_16_64 0
		.amdhsa_float_denorm_mode_32 3
		.amdhsa_float_denorm_mode_16_64 3
		.amdhsa_dx10_clamp 1
		.amdhsa_ieee_mode 1
		.amdhsa_fp16_overflow 0
		.amdhsa_tg_split 0
		.amdhsa_exception_fp_ieee_invalid_op 0
		.amdhsa_exception_fp_denorm_src 0
		.amdhsa_exception_fp_ieee_div_zero 0
		.amdhsa_exception_fp_ieee_overflow 0
		.amdhsa_exception_fp_ieee_underflow 0
		.amdhsa_exception_fp_ieee_inexact 0
		.amdhsa_exception_int_div_zero 0
	.end_amdhsa_kernel
	.section	.text._ZN7rocprim17ROCPRIM_400000_NS6detail17trampoline_kernelINS0_14default_configENS1_20scan_config_selectorIyEEZZNS1_9scan_implILNS1_25lookback_scan_determinismE0ELb0ELb0ES3_N6thrust23THRUST_200600_302600_NS6detail15normal_iteratorINS9_10device_ptrIyEEEESE_yNS9_4plusIvEEyEEDaPvRmT3_T4_T5_mT6_P12ihipStream_tbENKUlT_T0_E_clISt17integral_constantIbLb0EESU_EEDaSP_SQ_EUlSP_E_NS1_11comp_targetILNS1_3genE4ELNS1_11target_archE910ELNS1_3gpuE8ELNS1_3repE0EEENS1_30default_config_static_selectorELNS0_4arch9wavefront6targetE1EEEvT1_,"axG",@progbits,_ZN7rocprim17ROCPRIM_400000_NS6detail17trampoline_kernelINS0_14default_configENS1_20scan_config_selectorIyEEZZNS1_9scan_implILNS1_25lookback_scan_determinismE0ELb0ELb0ES3_N6thrust23THRUST_200600_302600_NS6detail15normal_iteratorINS9_10device_ptrIyEEEESE_yNS9_4plusIvEEyEEDaPvRmT3_T4_T5_mT6_P12ihipStream_tbENKUlT_T0_E_clISt17integral_constantIbLb0EESU_EEDaSP_SQ_EUlSP_E_NS1_11comp_targetILNS1_3genE4ELNS1_11target_archE910ELNS1_3gpuE8ELNS1_3repE0EEENS1_30default_config_static_selectorELNS0_4arch9wavefront6targetE1EEEvT1_,comdat
.Lfunc_end4432:
	.size	_ZN7rocprim17ROCPRIM_400000_NS6detail17trampoline_kernelINS0_14default_configENS1_20scan_config_selectorIyEEZZNS1_9scan_implILNS1_25lookback_scan_determinismE0ELb0ELb0ES3_N6thrust23THRUST_200600_302600_NS6detail15normal_iteratorINS9_10device_ptrIyEEEESE_yNS9_4plusIvEEyEEDaPvRmT3_T4_T5_mT6_P12ihipStream_tbENKUlT_T0_E_clISt17integral_constantIbLb0EESU_EEDaSP_SQ_EUlSP_E_NS1_11comp_targetILNS1_3genE4ELNS1_11target_archE910ELNS1_3gpuE8ELNS1_3repE0EEENS1_30default_config_static_selectorELNS0_4arch9wavefront6targetE1EEEvT1_, .Lfunc_end4432-_ZN7rocprim17ROCPRIM_400000_NS6detail17trampoline_kernelINS0_14default_configENS1_20scan_config_selectorIyEEZZNS1_9scan_implILNS1_25lookback_scan_determinismE0ELb0ELb0ES3_N6thrust23THRUST_200600_302600_NS6detail15normal_iteratorINS9_10device_ptrIyEEEESE_yNS9_4plusIvEEyEEDaPvRmT3_T4_T5_mT6_P12ihipStream_tbENKUlT_T0_E_clISt17integral_constantIbLb0EESU_EEDaSP_SQ_EUlSP_E_NS1_11comp_targetILNS1_3genE4ELNS1_11target_archE910ELNS1_3gpuE8ELNS1_3repE0EEENS1_30default_config_static_selectorELNS0_4arch9wavefront6targetE1EEEvT1_
                                        ; -- End function
	.section	.AMDGPU.csdata,"",@progbits
; Kernel info:
; codeLenInByte = 5856
; NumSgprs: 32
; NumVgprs: 51
; NumAgprs: 0
; TotalNumVgprs: 51
; ScratchSize: 0
; MemoryBound: 0
; FloatMode: 240
; IeeeMode: 1
; LDSByteSize: 7168 bytes/workgroup (compile time only)
; SGPRBlocks: 3
; VGPRBlocks: 6
; NumSGPRsForWavesPerEU: 32
; NumVGPRsForWavesPerEU: 51
; AccumOffset: 52
; Occupancy: 5
; WaveLimiterHint : 1
; COMPUTE_PGM_RSRC2:SCRATCH_EN: 0
; COMPUTE_PGM_RSRC2:USER_SGPR: 6
; COMPUTE_PGM_RSRC2:TRAP_HANDLER: 0
; COMPUTE_PGM_RSRC2:TGID_X_EN: 1
; COMPUTE_PGM_RSRC2:TGID_Y_EN: 0
; COMPUTE_PGM_RSRC2:TGID_Z_EN: 0
; COMPUTE_PGM_RSRC2:TIDIG_COMP_CNT: 0
; COMPUTE_PGM_RSRC3_GFX90A:ACCUM_OFFSET: 12
; COMPUTE_PGM_RSRC3_GFX90A:TG_SPLIT: 0
	.section	.text._ZN7rocprim17ROCPRIM_400000_NS6detail17trampoline_kernelINS0_14default_configENS1_20scan_config_selectorIyEEZZNS1_9scan_implILNS1_25lookback_scan_determinismE0ELb0ELb0ES3_N6thrust23THRUST_200600_302600_NS6detail15normal_iteratorINS9_10device_ptrIyEEEESE_yNS9_4plusIvEEyEEDaPvRmT3_T4_T5_mT6_P12ihipStream_tbENKUlT_T0_E_clISt17integral_constantIbLb0EESU_EEDaSP_SQ_EUlSP_E_NS1_11comp_targetILNS1_3genE3ELNS1_11target_archE908ELNS1_3gpuE7ELNS1_3repE0EEENS1_30default_config_static_selectorELNS0_4arch9wavefront6targetE1EEEvT1_,"axG",@progbits,_ZN7rocprim17ROCPRIM_400000_NS6detail17trampoline_kernelINS0_14default_configENS1_20scan_config_selectorIyEEZZNS1_9scan_implILNS1_25lookback_scan_determinismE0ELb0ELb0ES3_N6thrust23THRUST_200600_302600_NS6detail15normal_iteratorINS9_10device_ptrIyEEEESE_yNS9_4plusIvEEyEEDaPvRmT3_T4_T5_mT6_P12ihipStream_tbENKUlT_T0_E_clISt17integral_constantIbLb0EESU_EEDaSP_SQ_EUlSP_E_NS1_11comp_targetILNS1_3genE3ELNS1_11target_archE908ELNS1_3gpuE7ELNS1_3repE0EEENS1_30default_config_static_selectorELNS0_4arch9wavefront6targetE1EEEvT1_,comdat
	.protected	_ZN7rocprim17ROCPRIM_400000_NS6detail17trampoline_kernelINS0_14default_configENS1_20scan_config_selectorIyEEZZNS1_9scan_implILNS1_25lookback_scan_determinismE0ELb0ELb0ES3_N6thrust23THRUST_200600_302600_NS6detail15normal_iteratorINS9_10device_ptrIyEEEESE_yNS9_4plusIvEEyEEDaPvRmT3_T4_T5_mT6_P12ihipStream_tbENKUlT_T0_E_clISt17integral_constantIbLb0EESU_EEDaSP_SQ_EUlSP_E_NS1_11comp_targetILNS1_3genE3ELNS1_11target_archE908ELNS1_3gpuE7ELNS1_3repE0EEENS1_30default_config_static_selectorELNS0_4arch9wavefront6targetE1EEEvT1_ ; -- Begin function _ZN7rocprim17ROCPRIM_400000_NS6detail17trampoline_kernelINS0_14default_configENS1_20scan_config_selectorIyEEZZNS1_9scan_implILNS1_25lookback_scan_determinismE0ELb0ELb0ES3_N6thrust23THRUST_200600_302600_NS6detail15normal_iteratorINS9_10device_ptrIyEEEESE_yNS9_4plusIvEEyEEDaPvRmT3_T4_T5_mT6_P12ihipStream_tbENKUlT_T0_E_clISt17integral_constantIbLb0EESU_EEDaSP_SQ_EUlSP_E_NS1_11comp_targetILNS1_3genE3ELNS1_11target_archE908ELNS1_3gpuE7ELNS1_3repE0EEENS1_30default_config_static_selectorELNS0_4arch9wavefront6targetE1EEEvT1_
	.globl	_ZN7rocprim17ROCPRIM_400000_NS6detail17trampoline_kernelINS0_14default_configENS1_20scan_config_selectorIyEEZZNS1_9scan_implILNS1_25lookback_scan_determinismE0ELb0ELb0ES3_N6thrust23THRUST_200600_302600_NS6detail15normal_iteratorINS9_10device_ptrIyEEEESE_yNS9_4plusIvEEyEEDaPvRmT3_T4_T5_mT6_P12ihipStream_tbENKUlT_T0_E_clISt17integral_constantIbLb0EESU_EEDaSP_SQ_EUlSP_E_NS1_11comp_targetILNS1_3genE3ELNS1_11target_archE908ELNS1_3gpuE7ELNS1_3repE0EEENS1_30default_config_static_selectorELNS0_4arch9wavefront6targetE1EEEvT1_
	.p2align	8
	.type	_ZN7rocprim17ROCPRIM_400000_NS6detail17trampoline_kernelINS0_14default_configENS1_20scan_config_selectorIyEEZZNS1_9scan_implILNS1_25lookback_scan_determinismE0ELb0ELb0ES3_N6thrust23THRUST_200600_302600_NS6detail15normal_iteratorINS9_10device_ptrIyEEEESE_yNS9_4plusIvEEyEEDaPvRmT3_T4_T5_mT6_P12ihipStream_tbENKUlT_T0_E_clISt17integral_constantIbLb0EESU_EEDaSP_SQ_EUlSP_E_NS1_11comp_targetILNS1_3genE3ELNS1_11target_archE908ELNS1_3gpuE7ELNS1_3repE0EEENS1_30default_config_static_selectorELNS0_4arch9wavefront6targetE1EEEvT1_,@function
_ZN7rocprim17ROCPRIM_400000_NS6detail17trampoline_kernelINS0_14default_configENS1_20scan_config_selectorIyEEZZNS1_9scan_implILNS1_25lookback_scan_determinismE0ELb0ELb0ES3_N6thrust23THRUST_200600_302600_NS6detail15normal_iteratorINS9_10device_ptrIyEEEESE_yNS9_4plusIvEEyEEDaPvRmT3_T4_T5_mT6_P12ihipStream_tbENKUlT_T0_E_clISt17integral_constantIbLb0EESU_EEDaSP_SQ_EUlSP_E_NS1_11comp_targetILNS1_3genE3ELNS1_11target_archE908ELNS1_3gpuE7ELNS1_3repE0EEENS1_30default_config_static_selectorELNS0_4arch9wavefront6targetE1EEEvT1_: ; @_ZN7rocprim17ROCPRIM_400000_NS6detail17trampoline_kernelINS0_14default_configENS1_20scan_config_selectorIyEEZZNS1_9scan_implILNS1_25lookback_scan_determinismE0ELb0ELb0ES3_N6thrust23THRUST_200600_302600_NS6detail15normal_iteratorINS9_10device_ptrIyEEEESE_yNS9_4plusIvEEyEEDaPvRmT3_T4_T5_mT6_P12ihipStream_tbENKUlT_T0_E_clISt17integral_constantIbLb0EESU_EEDaSP_SQ_EUlSP_E_NS1_11comp_targetILNS1_3genE3ELNS1_11target_archE908ELNS1_3gpuE7ELNS1_3repE0EEENS1_30default_config_static_selectorELNS0_4arch9wavefront6targetE1EEEvT1_
; %bb.0:
	.section	.rodata,"a",@progbits
	.p2align	6, 0x0
	.amdhsa_kernel _ZN7rocprim17ROCPRIM_400000_NS6detail17trampoline_kernelINS0_14default_configENS1_20scan_config_selectorIyEEZZNS1_9scan_implILNS1_25lookback_scan_determinismE0ELb0ELb0ES3_N6thrust23THRUST_200600_302600_NS6detail15normal_iteratorINS9_10device_ptrIyEEEESE_yNS9_4plusIvEEyEEDaPvRmT3_T4_T5_mT6_P12ihipStream_tbENKUlT_T0_E_clISt17integral_constantIbLb0EESU_EEDaSP_SQ_EUlSP_E_NS1_11comp_targetILNS1_3genE3ELNS1_11target_archE908ELNS1_3gpuE7ELNS1_3repE0EEENS1_30default_config_static_selectorELNS0_4arch9wavefront6targetE1EEEvT1_
		.amdhsa_group_segment_fixed_size 0
		.amdhsa_private_segment_fixed_size 0
		.amdhsa_kernarg_size 104
		.amdhsa_user_sgpr_count 6
		.amdhsa_user_sgpr_private_segment_buffer 1
		.amdhsa_user_sgpr_dispatch_ptr 0
		.amdhsa_user_sgpr_queue_ptr 0
		.amdhsa_user_sgpr_kernarg_segment_ptr 1
		.amdhsa_user_sgpr_dispatch_id 0
		.amdhsa_user_sgpr_flat_scratch_init 0
		.amdhsa_user_sgpr_kernarg_preload_length 0
		.amdhsa_user_sgpr_kernarg_preload_offset 0
		.amdhsa_user_sgpr_private_segment_size 0
		.amdhsa_uses_dynamic_stack 0
		.amdhsa_system_sgpr_private_segment_wavefront_offset 0
		.amdhsa_system_sgpr_workgroup_id_x 1
		.amdhsa_system_sgpr_workgroup_id_y 0
		.amdhsa_system_sgpr_workgroup_id_z 0
		.amdhsa_system_sgpr_workgroup_info 0
		.amdhsa_system_vgpr_workitem_id 0
		.amdhsa_next_free_vgpr 1
		.amdhsa_next_free_sgpr 0
		.amdhsa_accum_offset 4
		.amdhsa_reserve_vcc 0
		.amdhsa_reserve_flat_scratch 0
		.amdhsa_float_round_mode_32 0
		.amdhsa_float_round_mode_16_64 0
		.amdhsa_float_denorm_mode_32 3
		.amdhsa_float_denorm_mode_16_64 3
		.amdhsa_dx10_clamp 1
		.amdhsa_ieee_mode 1
		.amdhsa_fp16_overflow 0
		.amdhsa_tg_split 0
		.amdhsa_exception_fp_ieee_invalid_op 0
		.amdhsa_exception_fp_denorm_src 0
		.amdhsa_exception_fp_ieee_div_zero 0
		.amdhsa_exception_fp_ieee_overflow 0
		.amdhsa_exception_fp_ieee_underflow 0
		.amdhsa_exception_fp_ieee_inexact 0
		.amdhsa_exception_int_div_zero 0
	.end_amdhsa_kernel
	.section	.text._ZN7rocprim17ROCPRIM_400000_NS6detail17trampoline_kernelINS0_14default_configENS1_20scan_config_selectorIyEEZZNS1_9scan_implILNS1_25lookback_scan_determinismE0ELb0ELb0ES3_N6thrust23THRUST_200600_302600_NS6detail15normal_iteratorINS9_10device_ptrIyEEEESE_yNS9_4plusIvEEyEEDaPvRmT3_T4_T5_mT6_P12ihipStream_tbENKUlT_T0_E_clISt17integral_constantIbLb0EESU_EEDaSP_SQ_EUlSP_E_NS1_11comp_targetILNS1_3genE3ELNS1_11target_archE908ELNS1_3gpuE7ELNS1_3repE0EEENS1_30default_config_static_selectorELNS0_4arch9wavefront6targetE1EEEvT1_,"axG",@progbits,_ZN7rocprim17ROCPRIM_400000_NS6detail17trampoline_kernelINS0_14default_configENS1_20scan_config_selectorIyEEZZNS1_9scan_implILNS1_25lookback_scan_determinismE0ELb0ELb0ES3_N6thrust23THRUST_200600_302600_NS6detail15normal_iteratorINS9_10device_ptrIyEEEESE_yNS9_4plusIvEEyEEDaPvRmT3_T4_T5_mT6_P12ihipStream_tbENKUlT_T0_E_clISt17integral_constantIbLb0EESU_EEDaSP_SQ_EUlSP_E_NS1_11comp_targetILNS1_3genE3ELNS1_11target_archE908ELNS1_3gpuE7ELNS1_3repE0EEENS1_30default_config_static_selectorELNS0_4arch9wavefront6targetE1EEEvT1_,comdat
.Lfunc_end4433:
	.size	_ZN7rocprim17ROCPRIM_400000_NS6detail17trampoline_kernelINS0_14default_configENS1_20scan_config_selectorIyEEZZNS1_9scan_implILNS1_25lookback_scan_determinismE0ELb0ELb0ES3_N6thrust23THRUST_200600_302600_NS6detail15normal_iteratorINS9_10device_ptrIyEEEESE_yNS9_4plusIvEEyEEDaPvRmT3_T4_T5_mT6_P12ihipStream_tbENKUlT_T0_E_clISt17integral_constantIbLb0EESU_EEDaSP_SQ_EUlSP_E_NS1_11comp_targetILNS1_3genE3ELNS1_11target_archE908ELNS1_3gpuE7ELNS1_3repE0EEENS1_30default_config_static_selectorELNS0_4arch9wavefront6targetE1EEEvT1_, .Lfunc_end4433-_ZN7rocprim17ROCPRIM_400000_NS6detail17trampoline_kernelINS0_14default_configENS1_20scan_config_selectorIyEEZZNS1_9scan_implILNS1_25lookback_scan_determinismE0ELb0ELb0ES3_N6thrust23THRUST_200600_302600_NS6detail15normal_iteratorINS9_10device_ptrIyEEEESE_yNS9_4plusIvEEyEEDaPvRmT3_T4_T5_mT6_P12ihipStream_tbENKUlT_T0_E_clISt17integral_constantIbLb0EESU_EEDaSP_SQ_EUlSP_E_NS1_11comp_targetILNS1_3genE3ELNS1_11target_archE908ELNS1_3gpuE7ELNS1_3repE0EEENS1_30default_config_static_selectorELNS0_4arch9wavefront6targetE1EEEvT1_
                                        ; -- End function
	.section	.AMDGPU.csdata,"",@progbits
; Kernel info:
; codeLenInByte = 0
; NumSgprs: 4
; NumVgprs: 0
; NumAgprs: 0
; TotalNumVgprs: 0
; ScratchSize: 0
; MemoryBound: 0
; FloatMode: 240
; IeeeMode: 1
; LDSByteSize: 0 bytes/workgroup (compile time only)
; SGPRBlocks: 0
; VGPRBlocks: 0
; NumSGPRsForWavesPerEU: 4
; NumVGPRsForWavesPerEU: 1
; AccumOffset: 4
; Occupancy: 8
; WaveLimiterHint : 0
; COMPUTE_PGM_RSRC2:SCRATCH_EN: 0
; COMPUTE_PGM_RSRC2:USER_SGPR: 6
; COMPUTE_PGM_RSRC2:TRAP_HANDLER: 0
; COMPUTE_PGM_RSRC2:TGID_X_EN: 1
; COMPUTE_PGM_RSRC2:TGID_Y_EN: 0
; COMPUTE_PGM_RSRC2:TGID_Z_EN: 0
; COMPUTE_PGM_RSRC2:TIDIG_COMP_CNT: 0
; COMPUTE_PGM_RSRC3_GFX90A:ACCUM_OFFSET: 0
; COMPUTE_PGM_RSRC3_GFX90A:TG_SPLIT: 0
	.section	.text._ZN7rocprim17ROCPRIM_400000_NS6detail17trampoline_kernelINS0_14default_configENS1_20scan_config_selectorIyEEZZNS1_9scan_implILNS1_25lookback_scan_determinismE0ELb0ELb0ES3_N6thrust23THRUST_200600_302600_NS6detail15normal_iteratorINS9_10device_ptrIyEEEESE_yNS9_4plusIvEEyEEDaPvRmT3_T4_T5_mT6_P12ihipStream_tbENKUlT_T0_E_clISt17integral_constantIbLb0EESU_EEDaSP_SQ_EUlSP_E_NS1_11comp_targetILNS1_3genE2ELNS1_11target_archE906ELNS1_3gpuE6ELNS1_3repE0EEENS1_30default_config_static_selectorELNS0_4arch9wavefront6targetE1EEEvT1_,"axG",@progbits,_ZN7rocprim17ROCPRIM_400000_NS6detail17trampoline_kernelINS0_14default_configENS1_20scan_config_selectorIyEEZZNS1_9scan_implILNS1_25lookback_scan_determinismE0ELb0ELb0ES3_N6thrust23THRUST_200600_302600_NS6detail15normal_iteratorINS9_10device_ptrIyEEEESE_yNS9_4plusIvEEyEEDaPvRmT3_T4_T5_mT6_P12ihipStream_tbENKUlT_T0_E_clISt17integral_constantIbLb0EESU_EEDaSP_SQ_EUlSP_E_NS1_11comp_targetILNS1_3genE2ELNS1_11target_archE906ELNS1_3gpuE6ELNS1_3repE0EEENS1_30default_config_static_selectorELNS0_4arch9wavefront6targetE1EEEvT1_,comdat
	.protected	_ZN7rocprim17ROCPRIM_400000_NS6detail17trampoline_kernelINS0_14default_configENS1_20scan_config_selectorIyEEZZNS1_9scan_implILNS1_25lookback_scan_determinismE0ELb0ELb0ES3_N6thrust23THRUST_200600_302600_NS6detail15normal_iteratorINS9_10device_ptrIyEEEESE_yNS9_4plusIvEEyEEDaPvRmT3_T4_T5_mT6_P12ihipStream_tbENKUlT_T0_E_clISt17integral_constantIbLb0EESU_EEDaSP_SQ_EUlSP_E_NS1_11comp_targetILNS1_3genE2ELNS1_11target_archE906ELNS1_3gpuE6ELNS1_3repE0EEENS1_30default_config_static_selectorELNS0_4arch9wavefront6targetE1EEEvT1_ ; -- Begin function _ZN7rocprim17ROCPRIM_400000_NS6detail17trampoline_kernelINS0_14default_configENS1_20scan_config_selectorIyEEZZNS1_9scan_implILNS1_25lookback_scan_determinismE0ELb0ELb0ES3_N6thrust23THRUST_200600_302600_NS6detail15normal_iteratorINS9_10device_ptrIyEEEESE_yNS9_4plusIvEEyEEDaPvRmT3_T4_T5_mT6_P12ihipStream_tbENKUlT_T0_E_clISt17integral_constantIbLb0EESU_EEDaSP_SQ_EUlSP_E_NS1_11comp_targetILNS1_3genE2ELNS1_11target_archE906ELNS1_3gpuE6ELNS1_3repE0EEENS1_30default_config_static_selectorELNS0_4arch9wavefront6targetE1EEEvT1_
	.globl	_ZN7rocprim17ROCPRIM_400000_NS6detail17trampoline_kernelINS0_14default_configENS1_20scan_config_selectorIyEEZZNS1_9scan_implILNS1_25lookback_scan_determinismE0ELb0ELb0ES3_N6thrust23THRUST_200600_302600_NS6detail15normal_iteratorINS9_10device_ptrIyEEEESE_yNS9_4plusIvEEyEEDaPvRmT3_T4_T5_mT6_P12ihipStream_tbENKUlT_T0_E_clISt17integral_constantIbLb0EESU_EEDaSP_SQ_EUlSP_E_NS1_11comp_targetILNS1_3genE2ELNS1_11target_archE906ELNS1_3gpuE6ELNS1_3repE0EEENS1_30default_config_static_selectorELNS0_4arch9wavefront6targetE1EEEvT1_
	.p2align	8
	.type	_ZN7rocprim17ROCPRIM_400000_NS6detail17trampoline_kernelINS0_14default_configENS1_20scan_config_selectorIyEEZZNS1_9scan_implILNS1_25lookback_scan_determinismE0ELb0ELb0ES3_N6thrust23THRUST_200600_302600_NS6detail15normal_iteratorINS9_10device_ptrIyEEEESE_yNS9_4plusIvEEyEEDaPvRmT3_T4_T5_mT6_P12ihipStream_tbENKUlT_T0_E_clISt17integral_constantIbLb0EESU_EEDaSP_SQ_EUlSP_E_NS1_11comp_targetILNS1_3genE2ELNS1_11target_archE906ELNS1_3gpuE6ELNS1_3repE0EEENS1_30default_config_static_selectorELNS0_4arch9wavefront6targetE1EEEvT1_,@function
_ZN7rocprim17ROCPRIM_400000_NS6detail17trampoline_kernelINS0_14default_configENS1_20scan_config_selectorIyEEZZNS1_9scan_implILNS1_25lookback_scan_determinismE0ELb0ELb0ES3_N6thrust23THRUST_200600_302600_NS6detail15normal_iteratorINS9_10device_ptrIyEEEESE_yNS9_4plusIvEEyEEDaPvRmT3_T4_T5_mT6_P12ihipStream_tbENKUlT_T0_E_clISt17integral_constantIbLb0EESU_EEDaSP_SQ_EUlSP_E_NS1_11comp_targetILNS1_3genE2ELNS1_11target_archE906ELNS1_3gpuE6ELNS1_3repE0EEENS1_30default_config_static_selectorELNS0_4arch9wavefront6targetE1EEEvT1_: ; @_ZN7rocprim17ROCPRIM_400000_NS6detail17trampoline_kernelINS0_14default_configENS1_20scan_config_selectorIyEEZZNS1_9scan_implILNS1_25lookback_scan_determinismE0ELb0ELb0ES3_N6thrust23THRUST_200600_302600_NS6detail15normal_iteratorINS9_10device_ptrIyEEEESE_yNS9_4plusIvEEyEEDaPvRmT3_T4_T5_mT6_P12ihipStream_tbENKUlT_T0_E_clISt17integral_constantIbLb0EESU_EEDaSP_SQ_EUlSP_E_NS1_11comp_targetILNS1_3genE2ELNS1_11target_archE906ELNS1_3gpuE6ELNS1_3repE0EEENS1_30default_config_static_selectorELNS0_4arch9wavefront6targetE1EEEvT1_
; %bb.0:
	.section	.rodata,"a",@progbits
	.p2align	6, 0x0
	.amdhsa_kernel _ZN7rocprim17ROCPRIM_400000_NS6detail17trampoline_kernelINS0_14default_configENS1_20scan_config_selectorIyEEZZNS1_9scan_implILNS1_25lookback_scan_determinismE0ELb0ELb0ES3_N6thrust23THRUST_200600_302600_NS6detail15normal_iteratorINS9_10device_ptrIyEEEESE_yNS9_4plusIvEEyEEDaPvRmT3_T4_T5_mT6_P12ihipStream_tbENKUlT_T0_E_clISt17integral_constantIbLb0EESU_EEDaSP_SQ_EUlSP_E_NS1_11comp_targetILNS1_3genE2ELNS1_11target_archE906ELNS1_3gpuE6ELNS1_3repE0EEENS1_30default_config_static_selectorELNS0_4arch9wavefront6targetE1EEEvT1_
		.amdhsa_group_segment_fixed_size 0
		.amdhsa_private_segment_fixed_size 0
		.amdhsa_kernarg_size 104
		.amdhsa_user_sgpr_count 6
		.amdhsa_user_sgpr_private_segment_buffer 1
		.amdhsa_user_sgpr_dispatch_ptr 0
		.amdhsa_user_sgpr_queue_ptr 0
		.amdhsa_user_sgpr_kernarg_segment_ptr 1
		.amdhsa_user_sgpr_dispatch_id 0
		.amdhsa_user_sgpr_flat_scratch_init 0
		.amdhsa_user_sgpr_kernarg_preload_length 0
		.amdhsa_user_sgpr_kernarg_preload_offset 0
		.amdhsa_user_sgpr_private_segment_size 0
		.amdhsa_uses_dynamic_stack 0
		.amdhsa_system_sgpr_private_segment_wavefront_offset 0
		.amdhsa_system_sgpr_workgroup_id_x 1
		.amdhsa_system_sgpr_workgroup_id_y 0
		.amdhsa_system_sgpr_workgroup_id_z 0
		.amdhsa_system_sgpr_workgroup_info 0
		.amdhsa_system_vgpr_workitem_id 0
		.amdhsa_next_free_vgpr 1
		.amdhsa_next_free_sgpr 0
		.amdhsa_accum_offset 4
		.amdhsa_reserve_vcc 0
		.amdhsa_reserve_flat_scratch 0
		.amdhsa_float_round_mode_32 0
		.amdhsa_float_round_mode_16_64 0
		.amdhsa_float_denorm_mode_32 3
		.amdhsa_float_denorm_mode_16_64 3
		.amdhsa_dx10_clamp 1
		.amdhsa_ieee_mode 1
		.amdhsa_fp16_overflow 0
		.amdhsa_tg_split 0
		.amdhsa_exception_fp_ieee_invalid_op 0
		.amdhsa_exception_fp_denorm_src 0
		.amdhsa_exception_fp_ieee_div_zero 0
		.amdhsa_exception_fp_ieee_overflow 0
		.amdhsa_exception_fp_ieee_underflow 0
		.amdhsa_exception_fp_ieee_inexact 0
		.amdhsa_exception_int_div_zero 0
	.end_amdhsa_kernel
	.section	.text._ZN7rocprim17ROCPRIM_400000_NS6detail17trampoline_kernelINS0_14default_configENS1_20scan_config_selectorIyEEZZNS1_9scan_implILNS1_25lookback_scan_determinismE0ELb0ELb0ES3_N6thrust23THRUST_200600_302600_NS6detail15normal_iteratorINS9_10device_ptrIyEEEESE_yNS9_4plusIvEEyEEDaPvRmT3_T4_T5_mT6_P12ihipStream_tbENKUlT_T0_E_clISt17integral_constantIbLb0EESU_EEDaSP_SQ_EUlSP_E_NS1_11comp_targetILNS1_3genE2ELNS1_11target_archE906ELNS1_3gpuE6ELNS1_3repE0EEENS1_30default_config_static_selectorELNS0_4arch9wavefront6targetE1EEEvT1_,"axG",@progbits,_ZN7rocprim17ROCPRIM_400000_NS6detail17trampoline_kernelINS0_14default_configENS1_20scan_config_selectorIyEEZZNS1_9scan_implILNS1_25lookback_scan_determinismE0ELb0ELb0ES3_N6thrust23THRUST_200600_302600_NS6detail15normal_iteratorINS9_10device_ptrIyEEEESE_yNS9_4plusIvEEyEEDaPvRmT3_T4_T5_mT6_P12ihipStream_tbENKUlT_T0_E_clISt17integral_constantIbLb0EESU_EEDaSP_SQ_EUlSP_E_NS1_11comp_targetILNS1_3genE2ELNS1_11target_archE906ELNS1_3gpuE6ELNS1_3repE0EEENS1_30default_config_static_selectorELNS0_4arch9wavefront6targetE1EEEvT1_,comdat
.Lfunc_end4434:
	.size	_ZN7rocprim17ROCPRIM_400000_NS6detail17trampoline_kernelINS0_14default_configENS1_20scan_config_selectorIyEEZZNS1_9scan_implILNS1_25lookback_scan_determinismE0ELb0ELb0ES3_N6thrust23THRUST_200600_302600_NS6detail15normal_iteratorINS9_10device_ptrIyEEEESE_yNS9_4plusIvEEyEEDaPvRmT3_T4_T5_mT6_P12ihipStream_tbENKUlT_T0_E_clISt17integral_constantIbLb0EESU_EEDaSP_SQ_EUlSP_E_NS1_11comp_targetILNS1_3genE2ELNS1_11target_archE906ELNS1_3gpuE6ELNS1_3repE0EEENS1_30default_config_static_selectorELNS0_4arch9wavefront6targetE1EEEvT1_, .Lfunc_end4434-_ZN7rocprim17ROCPRIM_400000_NS6detail17trampoline_kernelINS0_14default_configENS1_20scan_config_selectorIyEEZZNS1_9scan_implILNS1_25lookback_scan_determinismE0ELb0ELb0ES3_N6thrust23THRUST_200600_302600_NS6detail15normal_iteratorINS9_10device_ptrIyEEEESE_yNS9_4plusIvEEyEEDaPvRmT3_T4_T5_mT6_P12ihipStream_tbENKUlT_T0_E_clISt17integral_constantIbLb0EESU_EEDaSP_SQ_EUlSP_E_NS1_11comp_targetILNS1_3genE2ELNS1_11target_archE906ELNS1_3gpuE6ELNS1_3repE0EEENS1_30default_config_static_selectorELNS0_4arch9wavefront6targetE1EEEvT1_
                                        ; -- End function
	.section	.AMDGPU.csdata,"",@progbits
; Kernel info:
; codeLenInByte = 0
; NumSgprs: 4
; NumVgprs: 0
; NumAgprs: 0
; TotalNumVgprs: 0
; ScratchSize: 0
; MemoryBound: 0
; FloatMode: 240
; IeeeMode: 1
; LDSByteSize: 0 bytes/workgroup (compile time only)
; SGPRBlocks: 0
; VGPRBlocks: 0
; NumSGPRsForWavesPerEU: 4
; NumVGPRsForWavesPerEU: 1
; AccumOffset: 4
; Occupancy: 8
; WaveLimiterHint : 0
; COMPUTE_PGM_RSRC2:SCRATCH_EN: 0
; COMPUTE_PGM_RSRC2:USER_SGPR: 6
; COMPUTE_PGM_RSRC2:TRAP_HANDLER: 0
; COMPUTE_PGM_RSRC2:TGID_X_EN: 1
; COMPUTE_PGM_RSRC2:TGID_Y_EN: 0
; COMPUTE_PGM_RSRC2:TGID_Z_EN: 0
; COMPUTE_PGM_RSRC2:TIDIG_COMP_CNT: 0
; COMPUTE_PGM_RSRC3_GFX90A:ACCUM_OFFSET: 0
; COMPUTE_PGM_RSRC3_GFX90A:TG_SPLIT: 0
	.section	.text._ZN7rocprim17ROCPRIM_400000_NS6detail17trampoline_kernelINS0_14default_configENS1_20scan_config_selectorIyEEZZNS1_9scan_implILNS1_25lookback_scan_determinismE0ELb0ELb0ES3_N6thrust23THRUST_200600_302600_NS6detail15normal_iteratorINS9_10device_ptrIyEEEESE_yNS9_4plusIvEEyEEDaPvRmT3_T4_T5_mT6_P12ihipStream_tbENKUlT_T0_E_clISt17integral_constantIbLb0EESU_EEDaSP_SQ_EUlSP_E_NS1_11comp_targetILNS1_3genE10ELNS1_11target_archE1201ELNS1_3gpuE5ELNS1_3repE0EEENS1_30default_config_static_selectorELNS0_4arch9wavefront6targetE1EEEvT1_,"axG",@progbits,_ZN7rocprim17ROCPRIM_400000_NS6detail17trampoline_kernelINS0_14default_configENS1_20scan_config_selectorIyEEZZNS1_9scan_implILNS1_25lookback_scan_determinismE0ELb0ELb0ES3_N6thrust23THRUST_200600_302600_NS6detail15normal_iteratorINS9_10device_ptrIyEEEESE_yNS9_4plusIvEEyEEDaPvRmT3_T4_T5_mT6_P12ihipStream_tbENKUlT_T0_E_clISt17integral_constantIbLb0EESU_EEDaSP_SQ_EUlSP_E_NS1_11comp_targetILNS1_3genE10ELNS1_11target_archE1201ELNS1_3gpuE5ELNS1_3repE0EEENS1_30default_config_static_selectorELNS0_4arch9wavefront6targetE1EEEvT1_,comdat
	.protected	_ZN7rocprim17ROCPRIM_400000_NS6detail17trampoline_kernelINS0_14default_configENS1_20scan_config_selectorIyEEZZNS1_9scan_implILNS1_25lookback_scan_determinismE0ELb0ELb0ES3_N6thrust23THRUST_200600_302600_NS6detail15normal_iteratorINS9_10device_ptrIyEEEESE_yNS9_4plusIvEEyEEDaPvRmT3_T4_T5_mT6_P12ihipStream_tbENKUlT_T0_E_clISt17integral_constantIbLb0EESU_EEDaSP_SQ_EUlSP_E_NS1_11comp_targetILNS1_3genE10ELNS1_11target_archE1201ELNS1_3gpuE5ELNS1_3repE0EEENS1_30default_config_static_selectorELNS0_4arch9wavefront6targetE1EEEvT1_ ; -- Begin function _ZN7rocprim17ROCPRIM_400000_NS6detail17trampoline_kernelINS0_14default_configENS1_20scan_config_selectorIyEEZZNS1_9scan_implILNS1_25lookback_scan_determinismE0ELb0ELb0ES3_N6thrust23THRUST_200600_302600_NS6detail15normal_iteratorINS9_10device_ptrIyEEEESE_yNS9_4plusIvEEyEEDaPvRmT3_T4_T5_mT6_P12ihipStream_tbENKUlT_T0_E_clISt17integral_constantIbLb0EESU_EEDaSP_SQ_EUlSP_E_NS1_11comp_targetILNS1_3genE10ELNS1_11target_archE1201ELNS1_3gpuE5ELNS1_3repE0EEENS1_30default_config_static_selectorELNS0_4arch9wavefront6targetE1EEEvT1_
	.globl	_ZN7rocprim17ROCPRIM_400000_NS6detail17trampoline_kernelINS0_14default_configENS1_20scan_config_selectorIyEEZZNS1_9scan_implILNS1_25lookback_scan_determinismE0ELb0ELb0ES3_N6thrust23THRUST_200600_302600_NS6detail15normal_iteratorINS9_10device_ptrIyEEEESE_yNS9_4plusIvEEyEEDaPvRmT3_T4_T5_mT6_P12ihipStream_tbENKUlT_T0_E_clISt17integral_constantIbLb0EESU_EEDaSP_SQ_EUlSP_E_NS1_11comp_targetILNS1_3genE10ELNS1_11target_archE1201ELNS1_3gpuE5ELNS1_3repE0EEENS1_30default_config_static_selectorELNS0_4arch9wavefront6targetE1EEEvT1_
	.p2align	8
	.type	_ZN7rocprim17ROCPRIM_400000_NS6detail17trampoline_kernelINS0_14default_configENS1_20scan_config_selectorIyEEZZNS1_9scan_implILNS1_25lookback_scan_determinismE0ELb0ELb0ES3_N6thrust23THRUST_200600_302600_NS6detail15normal_iteratorINS9_10device_ptrIyEEEESE_yNS9_4plusIvEEyEEDaPvRmT3_T4_T5_mT6_P12ihipStream_tbENKUlT_T0_E_clISt17integral_constantIbLb0EESU_EEDaSP_SQ_EUlSP_E_NS1_11comp_targetILNS1_3genE10ELNS1_11target_archE1201ELNS1_3gpuE5ELNS1_3repE0EEENS1_30default_config_static_selectorELNS0_4arch9wavefront6targetE1EEEvT1_,@function
_ZN7rocprim17ROCPRIM_400000_NS6detail17trampoline_kernelINS0_14default_configENS1_20scan_config_selectorIyEEZZNS1_9scan_implILNS1_25lookback_scan_determinismE0ELb0ELb0ES3_N6thrust23THRUST_200600_302600_NS6detail15normal_iteratorINS9_10device_ptrIyEEEESE_yNS9_4plusIvEEyEEDaPvRmT3_T4_T5_mT6_P12ihipStream_tbENKUlT_T0_E_clISt17integral_constantIbLb0EESU_EEDaSP_SQ_EUlSP_E_NS1_11comp_targetILNS1_3genE10ELNS1_11target_archE1201ELNS1_3gpuE5ELNS1_3repE0EEENS1_30default_config_static_selectorELNS0_4arch9wavefront6targetE1EEEvT1_: ; @_ZN7rocprim17ROCPRIM_400000_NS6detail17trampoline_kernelINS0_14default_configENS1_20scan_config_selectorIyEEZZNS1_9scan_implILNS1_25lookback_scan_determinismE0ELb0ELb0ES3_N6thrust23THRUST_200600_302600_NS6detail15normal_iteratorINS9_10device_ptrIyEEEESE_yNS9_4plusIvEEyEEDaPvRmT3_T4_T5_mT6_P12ihipStream_tbENKUlT_T0_E_clISt17integral_constantIbLb0EESU_EEDaSP_SQ_EUlSP_E_NS1_11comp_targetILNS1_3genE10ELNS1_11target_archE1201ELNS1_3gpuE5ELNS1_3repE0EEENS1_30default_config_static_selectorELNS0_4arch9wavefront6targetE1EEEvT1_
; %bb.0:
	.section	.rodata,"a",@progbits
	.p2align	6, 0x0
	.amdhsa_kernel _ZN7rocprim17ROCPRIM_400000_NS6detail17trampoline_kernelINS0_14default_configENS1_20scan_config_selectorIyEEZZNS1_9scan_implILNS1_25lookback_scan_determinismE0ELb0ELb0ES3_N6thrust23THRUST_200600_302600_NS6detail15normal_iteratorINS9_10device_ptrIyEEEESE_yNS9_4plusIvEEyEEDaPvRmT3_T4_T5_mT6_P12ihipStream_tbENKUlT_T0_E_clISt17integral_constantIbLb0EESU_EEDaSP_SQ_EUlSP_E_NS1_11comp_targetILNS1_3genE10ELNS1_11target_archE1201ELNS1_3gpuE5ELNS1_3repE0EEENS1_30default_config_static_selectorELNS0_4arch9wavefront6targetE1EEEvT1_
		.amdhsa_group_segment_fixed_size 0
		.amdhsa_private_segment_fixed_size 0
		.amdhsa_kernarg_size 104
		.amdhsa_user_sgpr_count 6
		.amdhsa_user_sgpr_private_segment_buffer 1
		.amdhsa_user_sgpr_dispatch_ptr 0
		.amdhsa_user_sgpr_queue_ptr 0
		.amdhsa_user_sgpr_kernarg_segment_ptr 1
		.amdhsa_user_sgpr_dispatch_id 0
		.amdhsa_user_sgpr_flat_scratch_init 0
		.amdhsa_user_sgpr_kernarg_preload_length 0
		.amdhsa_user_sgpr_kernarg_preload_offset 0
		.amdhsa_user_sgpr_private_segment_size 0
		.amdhsa_uses_dynamic_stack 0
		.amdhsa_system_sgpr_private_segment_wavefront_offset 0
		.amdhsa_system_sgpr_workgroup_id_x 1
		.amdhsa_system_sgpr_workgroup_id_y 0
		.amdhsa_system_sgpr_workgroup_id_z 0
		.amdhsa_system_sgpr_workgroup_info 0
		.amdhsa_system_vgpr_workitem_id 0
		.amdhsa_next_free_vgpr 1
		.amdhsa_next_free_sgpr 0
		.amdhsa_accum_offset 4
		.amdhsa_reserve_vcc 0
		.amdhsa_reserve_flat_scratch 0
		.amdhsa_float_round_mode_32 0
		.amdhsa_float_round_mode_16_64 0
		.amdhsa_float_denorm_mode_32 3
		.amdhsa_float_denorm_mode_16_64 3
		.amdhsa_dx10_clamp 1
		.amdhsa_ieee_mode 1
		.amdhsa_fp16_overflow 0
		.amdhsa_tg_split 0
		.amdhsa_exception_fp_ieee_invalid_op 0
		.amdhsa_exception_fp_denorm_src 0
		.amdhsa_exception_fp_ieee_div_zero 0
		.amdhsa_exception_fp_ieee_overflow 0
		.amdhsa_exception_fp_ieee_underflow 0
		.amdhsa_exception_fp_ieee_inexact 0
		.amdhsa_exception_int_div_zero 0
	.end_amdhsa_kernel
	.section	.text._ZN7rocprim17ROCPRIM_400000_NS6detail17trampoline_kernelINS0_14default_configENS1_20scan_config_selectorIyEEZZNS1_9scan_implILNS1_25lookback_scan_determinismE0ELb0ELb0ES3_N6thrust23THRUST_200600_302600_NS6detail15normal_iteratorINS9_10device_ptrIyEEEESE_yNS9_4plusIvEEyEEDaPvRmT3_T4_T5_mT6_P12ihipStream_tbENKUlT_T0_E_clISt17integral_constantIbLb0EESU_EEDaSP_SQ_EUlSP_E_NS1_11comp_targetILNS1_3genE10ELNS1_11target_archE1201ELNS1_3gpuE5ELNS1_3repE0EEENS1_30default_config_static_selectorELNS0_4arch9wavefront6targetE1EEEvT1_,"axG",@progbits,_ZN7rocprim17ROCPRIM_400000_NS6detail17trampoline_kernelINS0_14default_configENS1_20scan_config_selectorIyEEZZNS1_9scan_implILNS1_25lookback_scan_determinismE0ELb0ELb0ES3_N6thrust23THRUST_200600_302600_NS6detail15normal_iteratorINS9_10device_ptrIyEEEESE_yNS9_4plusIvEEyEEDaPvRmT3_T4_T5_mT6_P12ihipStream_tbENKUlT_T0_E_clISt17integral_constantIbLb0EESU_EEDaSP_SQ_EUlSP_E_NS1_11comp_targetILNS1_3genE10ELNS1_11target_archE1201ELNS1_3gpuE5ELNS1_3repE0EEENS1_30default_config_static_selectorELNS0_4arch9wavefront6targetE1EEEvT1_,comdat
.Lfunc_end4435:
	.size	_ZN7rocprim17ROCPRIM_400000_NS6detail17trampoline_kernelINS0_14default_configENS1_20scan_config_selectorIyEEZZNS1_9scan_implILNS1_25lookback_scan_determinismE0ELb0ELb0ES3_N6thrust23THRUST_200600_302600_NS6detail15normal_iteratorINS9_10device_ptrIyEEEESE_yNS9_4plusIvEEyEEDaPvRmT3_T4_T5_mT6_P12ihipStream_tbENKUlT_T0_E_clISt17integral_constantIbLb0EESU_EEDaSP_SQ_EUlSP_E_NS1_11comp_targetILNS1_3genE10ELNS1_11target_archE1201ELNS1_3gpuE5ELNS1_3repE0EEENS1_30default_config_static_selectorELNS0_4arch9wavefront6targetE1EEEvT1_, .Lfunc_end4435-_ZN7rocprim17ROCPRIM_400000_NS6detail17trampoline_kernelINS0_14default_configENS1_20scan_config_selectorIyEEZZNS1_9scan_implILNS1_25lookback_scan_determinismE0ELb0ELb0ES3_N6thrust23THRUST_200600_302600_NS6detail15normal_iteratorINS9_10device_ptrIyEEEESE_yNS9_4plusIvEEyEEDaPvRmT3_T4_T5_mT6_P12ihipStream_tbENKUlT_T0_E_clISt17integral_constantIbLb0EESU_EEDaSP_SQ_EUlSP_E_NS1_11comp_targetILNS1_3genE10ELNS1_11target_archE1201ELNS1_3gpuE5ELNS1_3repE0EEENS1_30default_config_static_selectorELNS0_4arch9wavefront6targetE1EEEvT1_
                                        ; -- End function
	.section	.AMDGPU.csdata,"",@progbits
; Kernel info:
; codeLenInByte = 0
; NumSgprs: 4
; NumVgprs: 0
; NumAgprs: 0
; TotalNumVgprs: 0
; ScratchSize: 0
; MemoryBound: 0
; FloatMode: 240
; IeeeMode: 1
; LDSByteSize: 0 bytes/workgroup (compile time only)
; SGPRBlocks: 0
; VGPRBlocks: 0
; NumSGPRsForWavesPerEU: 4
; NumVGPRsForWavesPerEU: 1
; AccumOffset: 4
; Occupancy: 8
; WaveLimiterHint : 0
; COMPUTE_PGM_RSRC2:SCRATCH_EN: 0
; COMPUTE_PGM_RSRC2:USER_SGPR: 6
; COMPUTE_PGM_RSRC2:TRAP_HANDLER: 0
; COMPUTE_PGM_RSRC2:TGID_X_EN: 1
; COMPUTE_PGM_RSRC2:TGID_Y_EN: 0
; COMPUTE_PGM_RSRC2:TGID_Z_EN: 0
; COMPUTE_PGM_RSRC2:TIDIG_COMP_CNT: 0
; COMPUTE_PGM_RSRC3_GFX90A:ACCUM_OFFSET: 0
; COMPUTE_PGM_RSRC3_GFX90A:TG_SPLIT: 0
	.section	.text._ZN7rocprim17ROCPRIM_400000_NS6detail17trampoline_kernelINS0_14default_configENS1_20scan_config_selectorIyEEZZNS1_9scan_implILNS1_25lookback_scan_determinismE0ELb0ELb0ES3_N6thrust23THRUST_200600_302600_NS6detail15normal_iteratorINS9_10device_ptrIyEEEESE_yNS9_4plusIvEEyEEDaPvRmT3_T4_T5_mT6_P12ihipStream_tbENKUlT_T0_E_clISt17integral_constantIbLb0EESU_EEDaSP_SQ_EUlSP_E_NS1_11comp_targetILNS1_3genE10ELNS1_11target_archE1200ELNS1_3gpuE4ELNS1_3repE0EEENS1_30default_config_static_selectorELNS0_4arch9wavefront6targetE1EEEvT1_,"axG",@progbits,_ZN7rocprim17ROCPRIM_400000_NS6detail17trampoline_kernelINS0_14default_configENS1_20scan_config_selectorIyEEZZNS1_9scan_implILNS1_25lookback_scan_determinismE0ELb0ELb0ES3_N6thrust23THRUST_200600_302600_NS6detail15normal_iteratorINS9_10device_ptrIyEEEESE_yNS9_4plusIvEEyEEDaPvRmT3_T4_T5_mT6_P12ihipStream_tbENKUlT_T0_E_clISt17integral_constantIbLb0EESU_EEDaSP_SQ_EUlSP_E_NS1_11comp_targetILNS1_3genE10ELNS1_11target_archE1200ELNS1_3gpuE4ELNS1_3repE0EEENS1_30default_config_static_selectorELNS0_4arch9wavefront6targetE1EEEvT1_,comdat
	.protected	_ZN7rocprim17ROCPRIM_400000_NS6detail17trampoline_kernelINS0_14default_configENS1_20scan_config_selectorIyEEZZNS1_9scan_implILNS1_25lookback_scan_determinismE0ELb0ELb0ES3_N6thrust23THRUST_200600_302600_NS6detail15normal_iteratorINS9_10device_ptrIyEEEESE_yNS9_4plusIvEEyEEDaPvRmT3_T4_T5_mT6_P12ihipStream_tbENKUlT_T0_E_clISt17integral_constantIbLb0EESU_EEDaSP_SQ_EUlSP_E_NS1_11comp_targetILNS1_3genE10ELNS1_11target_archE1200ELNS1_3gpuE4ELNS1_3repE0EEENS1_30default_config_static_selectorELNS0_4arch9wavefront6targetE1EEEvT1_ ; -- Begin function _ZN7rocprim17ROCPRIM_400000_NS6detail17trampoline_kernelINS0_14default_configENS1_20scan_config_selectorIyEEZZNS1_9scan_implILNS1_25lookback_scan_determinismE0ELb0ELb0ES3_N6thrust23THRUST_200600_302600_NS6detail15normal_iteratorINS9_10device_ptrIyEEEESE_yNS9_4plusIvEEyEEDaPvRmT3_T4_T5_mT6_P12ihipStream_tbENKUlT_T0_E_clISt17integral_constantIbLb0EESU_EEDaSP_SQ_EUlSP_E_NS1_11comp_targetILNS1_3genE10ELNS1_11target_archE1200ELNS1_3gpuE4ELNS1_3repE0EEENS1_30default_config_static_selectorELNS0_4arch9wavefront6targetE1EEEvT1_
	.globl	_ZN7rocprim17ROCPRIM_400000_NS6detail17trampoline_kernelINS0_14default_configENS1_20scan_config_selectorIyEEZZNS1_9scan_implILNS1_25lookback_scan_determinismE0ELb0ELb0ES3_N6thrust23THRUST_200600_302600_NS6detail15normal_iteratorINS9_10device_ptrIyEEEESE_yNS9_4plusIvEEyEEDaPvRmT3_T4_T5_mT6_P12ihipStream_tbENKUlT_T0_E_clISt17integral_constantIbLb0EESU_EEDaSP_SQ_EUlSP_E_NS1_11comp_targetILNS1_3genE10ELNS1_11target_archE1200ELNS1_3gpuE4ELNS1_3repE0EEENS1_30default_config_static_selectorELNS0_4arch9wavefront6targetE1EEEvT1_
	.p2align	8
	.type	_ZN7rocprim17ROCPRIM_400000_NS6detail17trampoline_kernelINS0_14default_configENS1_20scan_config_selectorIyEEZZNS1_9scan_implILNS1_25lookback_scan_determinismE0ELb0ELb0ES3_N6thrust23THRUST_200600_302600_NS6detail15normal_iteratorINS9_10device_ptrIyEEEESE_yNS9_4plusIvEEyEEDaPvRmT3_T4_T5_mT6_P12ihipStream_tbENKUlT_T0_E_clISt17integral_constantIbLb0EESU_EEDaSP_SQ_EUlSP_E_NS1_11comp_targetILNS1_3genE10ELNS1_11target_archE1200ELNS1_3gpuE4ELNS1_3repE0EEENS1_30default_config_static_selectorELNS0_4arch9wavefront6targetE1EEEvT1_,@function
_ZN7rocprim17ROCPRIM_400000_NS6detail17trampoline_kernelINS0_14default_configENS1_20scan_config_selectorIyEEZZNS1_9scan_implILNS1_25lookback_scan_determinismE0ELb0ELb0ES3_N6thrust23THRUST_200600_302600_NS6detail15normal_iteratorINS9_10device_ptrIyEEEESE_yNS9_4plusIvEEyEEDaPvRmT3_T4_T5_mT6_P12ihipStream_tbENKUlT_T0_E_clISt17integral_constantIbLb0EESU_EEDaSP_SQ_EUlSP_E_NS1_11comp_targetILNS1_3genE10ELNS1_11target_archE1200ELNS1_3gpuE4ELNS1_3repE0EEENS1_30default_config_static_selectorELNS0_4arch9wavefront6targetE1EEEvT1_: ; @_ZN7rocprim17ROCPRIM_400000_NS6detail17trampoline_kernelINS0_14default_configENS1_20scan_config_selectorIyEEZZNS1_9scan_implILNS1_25lookback_scan_determinismE0ELb0ELb0ES3_N6thrust23THRUST_200600_302600_NS6detail15normal_iteratorINS9_10device_ptrIyEEEESE_yNS9_4plusIvEEyEEDaPvRmT3_T4_T5_mT6_P12ihipStream_tbENKUlT_T0_E_clISt17integral_constantIbLb0EESU_EEDaSP_SQ_EUlSP_E_NS1_11comp_targetILNS1_3genE10ELNS1_11target_archE1200ELNS1_3gpuE4ELNS1_3repE0EEENS1_30default_config_static_selectorELNS0_4arch9wavefront6targetE1EEEvT1_
; %bb.0:
	.section	.rodata,"a",@progbits
	.p2align	6, 0x0
	.amdhsa_kernel _ZN7rocprim17ROCPRIM_400000_NS6detail17trampoline_kernelINS0_14default_configENS1_20scan_config_selectorIyEEZZNS1_9scan_implILNS1_25lookback_scan_determinismE0ELb0ELb0ES3_N6thrust23THRUST_200600_302600_NS6detail15normal_iteratorINS9_10device_ptrIyEEEESE_yNS9_4plusIvEEyEEDaPvRmT3_T4_T5_mT6_P12ihipStream_tbENKUlT_T0_E_clISt17integral_constantIbLb0EESU_EEDaSP_SQ_EUlSP_E_NS1_11comp_targetILNS1_3genE10ELNS1_11target_archE1200ELNS1_3gpuE4ELNS1_3repE0EEENS1_30default_config_static_selectorELNS0_4arch9wavefront6targetE1EEEvT1_
		.amdhsa_group_segment_fixed_size 0
		.amdhsa_private_segment_fixed_size 0
		.amdhsa_kernarg_size 104
		.amdhsa_user_sgpr_count 6
		.amdhsa_user_sgpr_private_segment_buffer 1
		.amdhsa_user_sgpr_dispatch_ptr 0
		.amdhsa_user_sgpr_queue_ptr 0
		.amdhsa_user_sgpr_kernarg_segment_ptr 1
		.amdhsa_user_sgpr_dispatch_id 0
		.amdhsa_user_sgpr_flat_scratch_init 0
		.amdhsa_user_sgpr_kernarg_preload_length 0
		.amdhsa_user_sgpr_kernarg_preload_offset 0
		.amdhsa_user_sgpr_private_segment_size 0
		.amdhsa_uses_dynamic_stack 0
		.amdhsa_system_sgpr_private_segment_wavefront_offset 0
		.amdhsa_system_sgpr_workgroup_id_x 1
		.amdhsa_system_sgpr_workgroup_id_y 0
		.amdhsa_system_sgpr_workgroup_id_z 0
		.amdhsa_system_sgpr_workgroup_info 0
		.amdhsa_system_vgpr_workitem_id 0
		.amdhsa_next_free_vgpr 1
		.amdhsa_next_free_sgpr 0
		.amdhsa_accum_offset 4
		.amdhsa_reserve_vcc 0
		.amdhsa_reserve_flat_scratch 0
		.amdhsa_float_round_mode_32 0
		.amdhsa_float_round_mode_16_64 0
		.amdhsa_float_denorm_mode_32 3
		.amdhsa_float_denorm_mode_16_64 3
		.amdhsa_dx10_clamp 1
		.amdhsa_ieee_mode 1
		.amdhsa_fp16_overflow 0
		.amdhsa_tg_split 0
		.amdhsa_exception_fp_ieee_invalid_op 0
		.amdhsa_exception_fp_denorm_src 0
		.amdhsa_exception_fp_ieee_div_zero 0
		.amdhsa_exception_fp_ieee_overflow 0
		.amdhsa_exception_fp_ieee_underflow 0
		.amdhsa_exception_fp_ieee_inexact 0
		.amdhsa_exception_int_div_zero 0
	.end_amdhsa_kernel
	.section	.text._ZN7rocprim17ROCPRIM_400000_NS6detail17trampoline_kernelINS0_14default_configENS1_20scan_config_selectorIyEEZZNS1_9scan_implILNS1_25lookback_scan_determinismE0ELb0ELb0ES3_N6thrust23THRUST_200600_302600_NS6detail15normal_iteratorINS9_10device_ptrIyEEEESE_yNS9_4plusIvEEyEEDaPvRmT3_T4_T5_mT6_P12ihipStream_tbENKUlT_T0_E_clISt17integral_constantIbLb0EESU_EEDaSP_SQ_EUlSP_E_NS1_11comp_targetILNS1_3genE10ELNS1_11target_archE1200ELNS1_3gpuE4ELNS1_3repE0EEENS1_30default_config_static_selectorELNS0_4arch9wavefront6targetE1EEEvT1_,"axG",@progbits,_ZN7rocprim17ROCPRIM_400000_NS6detail17trampoline_kernelINS0_14default_configENS1_20scan_config_selectorIyEEZZNS1_9scan_implILNS1_25lookback_scan_determinismE0ELb0ELb0ES3_N6thrust23THRUST_200600_302600_NS6detail15normal_iteratorINS9_10device_ptrIyEEEESE_yNS9_4plusIvEEyEEDaPvRmT3_T4_T5_mT6_P12ihipStream_tbENKUlT_T0_E_clISt17integral_constantIbLb0EESU_EEDaSP_SQ_EUlSP_E_NS1_11comp_targetILNS1_3genE10ELNS1_11target_archE1200ELNS1_3gpuE4ELNS1_3repE0EEENS1_30default_config_static_selectorELNS0_4arch9wavefront6targetE1EEEvT1_,comdat
.Lfunc_end4436:
	.size	_ZN7rocprim17ROCPRIM_400000_NS6detail17trampoline_kernelINS0_14default_configENS1_20scan_config_selectorIyEEZZNS1_9scan_implILNS1_25lookback_scan_determinismE0ELb0ELb0ES3_N6thrust23THRUST_200600_302600_NS6detail15normal_iteratorINS9_10device_ptrIyEEEESE_yNS9_4plusIvEEyEEDaPvRmT3_T4_T5_mT6_P12ihipStream_tbENKUlT_T0_E_clISt17integral_constantIbLb0EESU_EEDaSP_SQ_EUlSP_E_NS1_11comp_targetILNS1_3genE10ELNS1_11target_archE1200ELNS1_3gpuE4ELNS1_3repE0EEENS1_30default_config_static_selectorELNS0_4arch9wavefront6targetE1EEEvT1_, .Lfunc_end4436-_ZN7rocprim17ROCPRIM_400000_NS6detail17trampoline_kernelINS0_14default_configENS1_20scan_config_selectorIyEEZZNS1_9scan_implILNS1_25lookback_scan_determinismE0ELb0ELb0ES3_N6thrust23THRUST_200600_302600_NS6detail15normal_iteratorINS9_10device_ptrIyEEEESE_yNS9_4plusIvEEyEEDaPvRmT3_T4_T5_mT6_P12ihipStream_tbENKUlT_T0_E_clISt17integral_constantIbLb0EESU_EEDaSP_SQ_EUlSP_E_NS1_11comp_targetILNS1_3genE10ELNS1_11target_archE1200ELNS1_3gpuE4ELNS1_3repE0EEENS1_30default_config_static_selectorELNS0_4arch9wavefront6targetE1EEEvT1_
                                        ; -- End function
	.section	.AMDGPU.csdata,"",@progbits
; Kernel info:
; codeLenInByte = 0
; NumSgprs: 4
; NumVgprs: 0
; NumAgprs: 0
; TotalNumVgprs: 0
; ScratchSize: 0
; MemoryBound: 0
; FloatMode: 240
; IeeeMode: 1
; LDSByteSize: 0 bytes/workgroup (compile time only)
; SGPRBlocks: 0
; VGPRBlocks: 0
; NumSGPRsForWavesPerEU: 4
; NumVGPRsForWavesPerEU: 1
; AccumOffset: 4
; Occupancy: 8
; WaveLimiterHint : 0
; COMPUTE_PGM_RSRC2:SCRATCH_EN: 0
; COMPUTE_PGM_RSRC2:USER_SGPR: 6
; COMPUTE_PGM_RSRC2:TRAP_HANDLER: 0
; COMPUTE_PGM_RSRC2:TGID_X_EN: 1
; COMPUTE_PGM_RSRC2:TGID_Y_EN: 0
; COMPUTE_PGM_RSRC2:TGID_Z_EN: 0
; COMPUTE_PGM_RSRC2:TIDIG_COMP_CNT: 0
; COMPUTE_PGM_RSRC3_GFX90A:ACCUM_OFFSET: 0
; COMPUTE_PGM_RSRC3_GFX90A:TG_SPLIT: 0
	.section	.text._ZN7rocprim17ROCPRIM_400000_NS6detail17trampoline_kernelINS0_14default_configENS1_20scan_config_selectorIyEEZZNS1_9scan_implILNS1_25lookback_scan_determinismE0ELb0ELb0ES3_N6thrust23THRUST_200600_302600_NS6detail15normal_iteratorINS9_10device_ptrIyEEEESE_yNS9_4plusIvEEyEEDaPvRmT3_T4_T5_mT6_P12ihipStream_tbENKUlT_T0_E_clISt17integral_constantIbLb0EESU_EEDaSP_SQ_EUlSP_E_NS1_11comp_targetILNS1_3genE9ELNS1_11target_archE1100ELNS1_3gpuE3ELNS1_3repE0EEENS1_30default_config_static_selectorELNS0_4arch9wavefront6targetE1EEEvT1_,"axG",@progbits,_ZN7rocprim17ROCPRIM_400000_NS6detail17trampoline_kernelINS0_14default_configENS1_20scan_config_selectorIyEEZZNS1_9scan_implILNS1_25lookback_scan_determinismE0ELb0ELb0ES3_N6thrust23THRUST_200600_302600_NS6detail15normal_iteratorINS9_10device_ptrIyEEEESE_yNS9_4plusIvEEyEEDaPvRmT3_T4_T5_mT6_P12ihipStream_tbENKUlT_T0_E_clISt17integral_constantIbLb0EESU_EEDaSP_SQ_EUlSP_E_NS1_11comp_targetILNS1_3genE9ELNS1_11target_archE1100ELNS1_3gpuE3ELNS1_3repE0EEENS1_30default_config_static_selectorELNS0_4arch9wavefront6targetE1EEEvT1_,comdat
	.protected	_ZN7rocprim17ROCPRIM_400000_NS6detail17trampoline_kernelINS0_14default_configENS1_20scan_config_selectorIyEEZZNS1_9scan_implILNS1_25lookback_scan_determinismE0ELb0ELb0ES3_N6thrust23THRUST_200600_302600_NS6detail15normal_iteratorINS9_10device_ptrIyEEEESE_yNS9_4plusIvEEyEEDaPvRmT3_T4_T5_mT6_P12ihipStream_tbENKUlT_T0_E_clISt17integral_constantIbLb0EESU_EEDaSP_SQ_EUlSP_E_NS1_11comp_targetILNS1_3genE9ELNS1_11target_archE1100ELNS1_3gpuE3ELNS1_3repE0EEENS1_30default_config_static_selectorELNS0_4arch9wavefront6targetE1EEEvT1_ ; -- Begin function _ZN7rocprim17ROCPRIM_400000_NS6detail17trampoline_kernelINS0_14default_configENS1_20scan_config_selectorIyEEZZNS1_9scan_implILNS1_25lookback_scan_determinismE0ELb0ELb0ES3_N6thrust23THRUST_200600_302600_NS6detail15normal_iteratorINS9_10device_ptrIyEEEESE_yNS9_4plusIvEEyEEDaPvRmT3_T4_T5_mT6_P12ihipStream_tbENKUlT_T0_E_clISt17integral_constantIbLb0EESU_EEDaSP_SQ_EUlSP_E_NS1_11comp_targetILNS1_3genE9ELNS1_11target_archE1100ELNS1_3gpuE3ELNS1_3repE0EEENS1_30default_config_static_selectorELNS0_4arch9wavefront6targetE1EEEvT1_
	.globl	_ZN7rocprim17ROCPRIM_400000_NS6detail17trampoline_kernelINS0_14default_configENS1_20scan_config_selectorIyEEZZNS1_9scan_implILNS1_25lookback_scan_determinismE0ELb0ELb0ES3_N6thrust23THRUST_200600_302600_NS6detail15normal_iteratorINS9_10device_ptrIyEEEESE_yNS9_4plusIvEEyEEDaPvRmT3_T4_T5_mT6_P12ihipStream_tbENKUlT_T0_E_clISt17integral_constantIbLb0EESU_EEDaSP_SQ_EUlSP_E_NS1_11comp_targetILNS1_3genE9ELNS1_11target_archE1100ELNS1_3gpuE3ELNS1_3repE0EEENS1_30default_config_static_selectorELNS0_4arch9wavefront6targetE1EEEvT1_
	.p2align	8
	.type	_ZN7rocprim17ROCPRIM_400000_NS6detail17trampoline_kernelINS0_14default_configENS1_20scan_config_selectorIyEEZZNS1_9scan_implILNS1_25lookback_scan_determinismE0ELb0ELb0ES3_N6thrust23THRUST_200600_302600_NS6detail15normal_iteratorINS9_10device_ptrIyEEEESE_yNS9_4plusIvEEyEEDaPvRmT3_T4_T5_mT6_P12ihipStream_tbENKUlT_T0_E_clISt17integral_constantIbLb0EESU_EEDaSP_SQ_EUlSP_E_NS1_11comp_targetILNS1_3genE9ELNS1_11target_archE1100ELNS1_3gpuE3ELNS1_3repE0EEENS1_30default_config_static_selectorELNS0_4arch9wavefront6targetE1EEEvT1_,@function
_ZN7rocprim17ROCPRIM_400000_NS6detail17trampoline_kernelINS0_14default_configENS1_20scan_config_selectorIyEEZZNS1_9scan_implILNS1_25lookback_scan_determinismE0ELb0ELb0ES3_N6thrust23THRUST_200600_302600_NS6detail15normal_iteratorINS9_10device_ptrIyEEEESE_yNS9_4plusIvEEyEEDaPvRmT3_T4_T5_mT6_P12ihipStream_tbENKUlT_T0_E_clISt17integral_constantIbLb0EESU_EEDaSP_SQ_EUlSP_E_NS1_11comp_targetILNS1_3genE9ELNS1_11target_archE1100ELNS1_3gpuE3ELNS1_3repE0EEENS1_30default_config_static_selectorELNS0_4arch9wavefront6targetE1EEEvT1_: ; @_ZN7rocprim17ROCPRIM_400000_NS6detail17trampoline_kernelINS0_14default_configENS1_20scan_config_selectorIyEEZZNS1_9scan_implILNS1_25lookback_scan_determinismE0ELb0ELb0ES3_N6thrust23THRUST_200600_302600_NS6detail15normal_iteratorINS9_10device_ptrIyEEEESE_yNS9_4plusIvEEyEEDaPvRmT3_T4_T5_mT6_P12ihipStream_tbENKUlT_T0_E_clISt17integral_constantIbLb0EESU_EEDaSP_SQ_EUlSP_E_NS1_11comp_targetILNS1_3genE9ELNS1_11target_archE1100ELNS1_3gpuE3ELNS1_3repE0EEENS1_30default_config_static_selectorELNS0_4arch9wavefront6targetE1EEEvT1_
; %bb.0:
	.section	.rodata,"a",@progbits
	.p2align	6, 0x0
	.amdhsa_kernel _ZN7rocprim17ROCPRIM_400000_NS6detail17trampoline_kernelINS0_14default_configENS1_20scan_config_selectorIyEEZZNS1_9scan_implILNS1_25lookback_scan_determinismE0ELb0ELb0ES3_N6thrust23THRUST_200600_302600_NS6detail15normal_iteratorINS9_10device_ptrIyEEEESE_yNS9_4plusIvEEyEEDaPvRmT3_T4_T5_mT6_P12ihipStream_tbENKUlT_T0_E_clISt17integral_constantIbLb0EESU_EEDaSP_SQ_EUlSP_E_NS1_11comp_targetILNS1_3genE9ELNS1_11target_archE1100ELNS1_3gpuE3ELNS1_3repE0EEENS1_30default_config_static_selectorELNS0_4arch9wavefront6targetE1EEEvT1_
		.amdhsa_group_segment_fixed_size 0
		.amdhsa_private_segment_fixed_size 0
		.amdhsa_kernarg_size 104
		.amdhsa_user_sgpr_count 6
		.amdhsa_user_sgpr_private_segment_buffer 1
		.amdhsa_user_sgpr_dispatch_ptr 0
		.amdhsa_user_sgpr_queue_ptr 0
		.amdhsa_user_sgpr_kernarg_segment_ptr 1
		.amdhsa_user_sgpr_dispatch_id 0
		.amdhsa_user_sgpr_flat_scratch_init 0
		.amdhsa_user_sgpr_kernarg_preload_length 0
		.amdhsa_user_sgpr_kernarg_preload_offset 0
		.amdhsa_user_sgpr_private_segment_size 0
		.amdhsa_uses_dynamic_stack 0
		.amdhsa_system_sgpr_private_segment_wavefront_offset 0
		.amdhsa_system_sgpr_workgroup_id_x 1
		.amdhsa_system_sgpr_workgroup_id_y 0
		.amdhsa_system_sgpr_workgroup_id_z 0
		.amdhsa_system_sgpr_workgroup_info 0
		.amdhsa_system_vgpr_workitem_id 0
		.amdhsa_next_free_vgpr 1
		.amdhsa_next_free_sgpr 0
		.amdhsa_accum_offset 4
		.amdhsa_reserve_vcc 0
		.amdhsa_reserve_flat_scratch 0
		.amdhsa_float_round_mode_32 0
		.amdhsa_float_round_mode_16_64 0
		.amdhsa_float_denorm_mode_32 3
		.amdhsa_float_denorm_mode_16_64 3
		.amdhsa_dx10_clamp 1
		.amdhsa_ieee_mode 1
		.amdhsa_fp16_overflow 0
		.amdhsa_tg_split 0
		.amdhsa_exception_fp_ieee_invalid_op 0
		.amdhsa_exception_fp_denorm_src 0
		.amdhsa_exception_fp_ieee_div_zero 0
		.amdhsa_exception_fp_ieee_overflow 0
		.amdhsa_exception_fp_ieee_underflow 0
		.amdhsa_exception_fp_ieee_inexact 0
		.amdhsa_exception_int_div_zero 0
	.end_amdhsa_kernel
	.section	.text._ZN7rocprim17ROCPRIM_400000_NS6detail17trampoline_kernelINS0_14default_configENS1_20scan_config_selectorIyEEZZNS1_9scan_implILNS1_25lookback_scan_determinismE0ELb0ELb0ES3_N6thrust23THRUST_200600_302600_NS6detail15normal_iteratorINS9_10device_ptrIyEEEESE_yNS9_4plusIvEEyEEDaPvRmT3_T4_T5_mT6_P12ihipStream_tbENKUlT_T0_E_clISt17integral_constantIbLb0EESU_EEDaSP_SQ_EUlSP_E_NS1_11comp_targetILNS1_3genE9ELNS1_11target_archE1100ELNS1_3gpuE3ELNS1_3repE0EEENS1_30default_config_static_selectorELNS0_4arch9wavefront6targetE1EEEvT1_,"axG",@progbits,_ZN7rocprim17ROCPRIM_400000_NS6detail17trampoline_kernelINS0_14default_configENS1_20scan_config_selectorIyEEZZNS1_9scan_implILNS1_25lookback_scan_determinismE0ELb0ELb0ES3_N6thrust23THRUST_200600_302600_NS6detail15normal_iteratorINS9_10device_ptrIyEEEESE_yNS9_4plusIvEEyEEDaPvRmT3_T4_T5_mT6_P12ihipStream_tbENKUlT_T0_E_clISt17integral_constantIbLb0EESU_EEDaSP_SQ_EUlSP_E_NS1_11comp_targetILNS1_3genE9ELNS1_11target_archE1100ELNS1_3gpuE3ELNS1_3repE0EEENS1_30default_config_static_selectorELNS0_4arch9wavefront6targetE1EEEvT1_,comdat
.Lfunc_end4437:
	.size	_ZN7rocprim17ROCPRIM_400000_NS6detail17trampoline_kernelINS0_14default_configENS1_20scan_config_selectorIyEEZZNS1_9scan_implILNS1_25lookback_scan_determinismE0ELb0ELb0ES3_N6thrust23THRUST_200600_302600_NS6detail15normal_iteratorINS9_10device_ptrIyEEEESE_yNS9_4plusIvEEyEEDaPvRmT3_T4_T5_mT6_P12ihipStream_tbENKUlT_T0_E_clISt17integral_constantIbLb0EESU_EEDaSP_SQ_EUlSP_E_NS1_11comp_targetILNS1_3genE9ELNS1_11target_archE1100ELNS1_3gpuE3ELNS1_3repE0EEENS1_30default_config_static_selectorELNS0_4arch9wavefront6targetE1EEEvT1_, .Lfunc_end4437-_ZN7rocprim17ROCPRIM_400000_NS6detail17trampoline_kernelINS0_14default_configENS1_20scan_config_selectorIyEEZZNS1_9scan_implILNS1_25lookback_scan_determinismE0ELb0ELb0ES3_N6thrust23THRUST_200600_302600_NS6detail15normal_iteratorINS9_10device_ptrIyEEEESE_yNS9_4plusIvEEyEEDaPvRmT3_T4_T5_mT6_P12ihipStream_tbENKUlT_T0_E_clISt17integral_constantIbLb0EESU_EEDaSP_SQ_EUlSP_E_NS1_11comp_targetILNS1_3genE9ELNS1_11target_archE1100ELNS1_3gpuE3ELNS1_3repE0EEENS1_30default_config_static_selectorELNS0_4arch9wavefront6targetE1EEEvT1_
                                        ; -- End function
	.section	.AMDGPU.csdata,"",@progbits
; Kernel info:
; codeLenInByte = 0
; NumSgprs: 4
; NumVgprs: 0
; NumAgprs: 0
; TotalNumVgprs: 0
; ScratchSize: 0
; MemoryBound: 0
; FloatMode: 240
; IeeeMode: 1
; LDSByteSize: 0 bytes/workgroup (compile time only)
; SGPRBlocks: 0
; VGPRBlocks: 0
; NumSGPRsForWavesPerEU: 4
; NumVGPRsForWavesPerEU: 1
; AccumOffset: 4
; Occupancy: 8
; WaveLimiterHint : 0
; COMPUTE_PGM_RSRC2:SCRATCH_EN: 0
; COMPUTE_PGM_RSRC2:USER_SGPR: 6
; COMPUTE_PGM_RSRC2:TRAP_HANDLER: 0
; COMPUTE_PGM_RSRC2:TGID_X_EN: 1
; COMPUTE_PGM_RSRC2:TGID_Y_EN: 0
; COMPUTE_PGM_RSRC2:TGID_Z_EN: 0
; COMPUTE_PGM_RSRC2:TIDIG_COMP_CNT: 0
; COMPUTE_PGM_RSRC3_GFX90A:ACCUM_OFFSET: 0
; COMPUTE_PGM_RSRC3_GFX90A:TG_SPLIT: 0
	.section	.text._ZN7rocprim17ROCPRIM_400000_NS6detail17trampoline_kernelINS0_14default_configENS1_20scan_config_selectorIyEEZZNS1_9scan_implILNS1_25lookback_scan_determinismE0ELb0ELb0ES3_N6thrust23THRUST_200600_302600_NS6detail15normal_iteratorINS9_10device_ptrIyEEEESE_yNS9_4plusIvEEyEEDaPvRmT3_T4_T5_mT6_P12ihipStream_tbENKUlT_T0_E_clISt17integral_constantIbLb0EESU_EEDaSP_SQ_EUlSP_E_NS1_11comp_targetILNS1_3genE8ELNS1_11target_archE1030ELNS1_3gpuE2ELNS1_3repE0EEENS1_30default_config_static_selectorELNS0_4arch9wavefront6targetE1EEEvT1_,"axG",@progbits,_ZN7rocprim17ROCPRIM_400000_NS6detail17trampoline_kernelINS0_14default_configENS1_20scan_config_selectorIyEEZZNS1_9scan_implILNS1_25lookback_scan_determinismE0ELb0ELb0ES3_N6thrust23THRUST_200600_302600_NS6detail15normal_iteratorINS9_10device_ptrIyEEEESE_yNS9_4plusIvEEyEEDaPvRmT3_T4_T5_mT6_P12ihipStream_tbENKUlT_T0_E_clISt17integral_constantIbLb0EESU_EEDaSP_SQ_EUlSP_E_NS1_11comp_targetILNS1_3genE8ELNS1_11target_archE1030ELNS1_3gpuE2ELNS1_3repE0EEENS1_30default_config_static_selectorELNS0_4arch9wavefront6targetE1EEEvT1_,comdat
	.protected	_ZN7rocprim17ROCPRIM_400000_NS6detail17trampoline_kernelINS0_14default_configENS1_20scan_config_selectorIyEEZZNS1_9scan_implILNS1_25lookback_scan_determinismE0ELb0ELb0ES3_N6thrust23THRUST_200600_302600_NS6detail15normal_iteratorINS9_10device_ptrIyEEEESE_yNS9_4plusIvEEyEEDaPvRmT3_T4_T5_mT6_P12ihipStream_tbENKUlT_T0_E_clISt17integral_constantIbLb0EESU_EEDaSP_SQ_EUlSP_E_NS1_11comp_targetILNS1_3genE8ELNS1_11target_archE1030ELNS1_3gpuE2ELNS1_3repE0EEENS1_30default_config_static_selectorELNS0_4arch9wavefront6targetE1EEEvT1_ ; -- Begin function _ZN7rocprim17ROCPRIM_400000_NS6detail17trampoline_kernelINS0_14default_configENS1_20scan_config_selectorIyEEZZNS1_9scan_implILNS1_25lookback_scan_determinismE0ELb0ELb0ES3_N6thrust23THRUST_200600_302600_NS6detail15normal_iteratorINS9_10device_ptrIyEEEESE_yNS9_4plusIvEEyEEDaPvRmT3_T4_T5_mT6_P12ihipStream_tbENKUlT_T0_E_clISt17integral_constantIbLb0EESU_EEDaSP_SQ_EUlSP_E_NS1_11comp_targetILNS1_3genE8ELNS1_11target_archE1030ELNS1_3gpuE2ELNS1_3repE0EEENS1_30default_config_static_selectorELNS0_4arch9wavefront6targetE1EEEvT1_
	.globl	_ZN7rocprim17ROCPRIM_400000_NS6detail17trampoline_kernelINS0_14default_configENS1_20scan_config_selectorIyEEZZNS1_9scan_implILNS1_25lookback_scan_determinismE0ELb0ELb0ES3_N6thrust23THRUST_200600_302600_NS6detail15normal_iteratorINS9_10device_ptrIyEEEESE_yNS9_4plusIvEEyEEDaPvRmT3_T4_T5_mT6_P12ihipStream_tbENKUlT_T0_E_clISt17integral_constantIbLb0EESU_EEDaSP_SQ_EUlSP_E_NS1_11comp_targetILNS1_3genE8ELNS1_11target_archE1030ELNS1_3gpuE2ELNS1_3repE0EEENS1_30default_config_static_selectorELNS0_4arch9wavefront6targetE1EEEvT1_
	.p2align	8
	.type	_ZN7rocprim17ROCPRIM_400000_NS6detail17trampoline_kernelINS0_14default_configENS1_20scan_config_selectorIyEEZZNS1_9scan_implILNS1_25lookback_scan_determinismE0ELb0ELb0ES3_N6thrust23THRUST_200600_302600_NS6detail15normal_iteratorINS9_10device_ptrIyEEEESE_yNS9_4plusIvEEyEEDaPvRmT3_T4_T5_mT6_P12ihipStream_tbENKUlT_T0_E_clISt17integral_constantIbLb0EESU_EEDaSP_SQ_EUlSP_E_NS1_11comp_targetILNS1_3genE8ELNS1_11target_archE1030ELNS1_3gpuE2ELNS1_3repE0EEENS1_30default_config_static_selectorELNS0_4arch9wavefront6targetE1EEEvT1_,@function
_ZN7rocprim17ROCPRIM_400000_NS6detail17trampoline_kernelINS0_14default_configENS1_20scan_config_selectorIyEEZZNS1_9scan_implILNS1_25lookback_scan_determinismE0ELb0ELb0ES3_N6thrust23THRUST_200600_302600_NS6detail15normal_iteratorINS9_10device_ptrIyEEEESE_yNS9_4plusIvEEyEEDaPvRmT3_T4_T5_mT6_P12ihipStream_tbENKUlT_T0_E_clISt17integral_constantIbLb0EESU_EEDaSP_SQ_EUlSP_E_NS1_11comp_targetILNS1_3genE8ELNS1_11target_archE1030ELNS1_3gpuE2ELNS1_3repE0EEENS1_30default_config_static_selectorELNS0_4arch9wavefront6targetE1EEEvT1_: ; @_ZN7rocprim17ROCPRIM_400000_NS6detail17trampoline_kernelINS0_14default_configENS1_20scan_config_selectorIyEEZZNS1_9scan_implILNS1_25lookback_scan_determinismE0ELb0ELb0ES3_N6thrust23THRUST_200600_302600_NS6detail15normal_iteratorINS9_10device_ptrIyEEEESE_yNS9_4plusIvEEyEEDaPvRmT3_T4_T5_mT6_P12ihipStream_tbENKUlT_T0_E_clISt17integral_constantIbLb0EESU_EEDaSP_SQ_EUlSP_E_NS1_11comp_targetILNS1_3genE8ELNS1_11target_archE1030ELNS1_3gpuE2ELNS1_3repE0EEENS1_30default_config_static_selectorELNS0_4arch9wavefront6targetE1EEEvT1_
; %bb.0:
	.section	.rodata,"a",@progbits
	.p2align	6, 0x0
	.amdhsa_kernel _ZN7rocprim17ROCPRIM_400000_NS6detail17trampoline_kernelINS0_14default_configENS1_20scan_config_selectorIyEEZZNS1_9scan_implILNS1_25lookback_scan_determinismE0ELb0ELb0ES3_N6thrust23THRUST_200600_302600_NS6detail15normal_iteratorINS9_10device_ptrIyEEEESE_yNS9_4plusIvEEyEEDaPvRmT3_T4_T5_mT6_P12ihipStream_tbENKUlT_T0_E_clISt17integral_constantIbLb0EESU_EEDaSP_SQ_EUlSP_E_NS1_11comp_targetILNS1_3genE8ELNS1_11target_archE1030ELNS1_3gpuE2ELNS1_3repE0EEENS1_30default_config_static_selectorELNS0_4arch9wavefront6targetE1EEEvT1_
		.amdhsa_group_segment_fixed_size 0
		.amdhsa_private_segment_fixed_size 0
		.amdhsa_kernarg_size 104
		.amdhsa_user_sgpr_count 6
		.amdhsa_user_sgpr_private_segment_buffer 1
		.amdhsa_user_sgpr_dispatch_ptr 0
		.amdhsa_user_sgpr_queue_ptr 0
		.amdhsa_user_sgpr_kernarg_segment_ptr 1
		.amdhsa_user_sgpr_dispatch_id 0
		.amdhsa_user_sgpr_flat_scratch_init 0
		.amdhsa_user_sgpr_kernarg_preload_length 0
		.amdhsa_user_sgpr_kernarg_preload_offset 0
		.amdhsa_user_sgpr_private_segment_size 0
		.amdhsa_uses_dynamic_stack 0
		.amdhsa_system_sgpr_private_segment_wavefront_offset 0
		.amdhsa_system_sgpr_workgroup_id_x 1
		.amdhsa_system_sgpr_workgroup_id_y 0
		.amdhsa_system_sgpr_workgroup_id_z 0
		.amdhsa_system_sgpr_workgroup_info 0
		.amdhsa_system_vgpr_workitem_id 0
		.amdhsa_next_free_vgpr 1
		.amdhsa_next_free_sgpr 0
		.amdhsa_accum_offset 4
		.amdhsa_reserve_vcc 0
		.amdhsa_reserve_flat_scratch 0
		.amdhsa_float_round_mode_32 0
		.amdhsa_float_round_mode_16_64 0
		.amdhsa_float_denorm_mode_32 3
		.amdhsa_float_denorm_mode_16_64 3
		.amdhsa_dx10_clamp 1
		.amdhsa_ieee_mode 1
		.amdhsa_fp16_overflow 0
		.amdhsa_tg_split 0
		.amdhsa_exception_fp_ieee_invalid_op 0
		.amdhsa_exception_fp_denorm_src 0
		.amdhsa_exception_fp_ieee_div_zero 0
		.amdhsa_exception_fp_ieee_overflow 0
		.amdhsa_exception_fp_ieee_underflow 0
		.amdhsa_exception_fp_ieee_inexact 0
		.amdhsa_exception_int_div_zero 0
	.end_amdhsa_kernel
	.section	.text._ZN7rocprim17ROCPRIM_400000_NS6detail17trampoline_kernelINS0_14default_configENS1_20scan_config_selectorIyEEZZNS1_9scan_implILNS1_25lookback_scan_determinismE0ELb0ELb0ES3_N6thrust23THRUST_200600_302600_NS6detail15normal_iteratorINS9_10device_ptrIyEEEESE_yNS9_4plusIvEEyEEDaPvRmT3_T4_T5_mT6_P12ihipStream_tbENKUlT_T0_E_clISt17integral_constantIbLb0EESU_EEDaSP_SQ_EUlSP_E_NS1_11comp_targetILNS1_3genE8ELNS1_11target_archE1030ELNS1_3gpuE2ELNS1_3repE0EEENS1_30default_config_static_selectorELNS0_4arch9wavefront6targetE1EEEvT1_,"axG",@progbits,_ZN7rocprim17ROCPRIM_400000_NS6detail17trampoline_kernelINS0_14default_configENS1_20scan_config_selectorIyEEZZNS1_9scan_implILNS1_25lookback_scan_determinismE0ELb0ELb0ES3_N6thrust23THRUST_200600_302600_NS6detail15normal_iteratorINS9_10device_ptrIyEEEESE_yNS9_4plusIvEEyEEDaPvRmT3_T4_T5_mT6_P12ihipStream_tbENKUlT_T0_E_clISt17integral_constantIbLb0EESU_EEDaSP_SQ_EUlSP_E_NS1_11comp_targetILNS1_3genE8ELNS1_11target_archE1030ELNS1_3gpuE2ELNS1_3repE0EEENS1_30default_config_static_selectorELNS0_4arch9wavefront6targetE1EEEvT1_,comdat
.Lfunc_end4438:
	.size	_ZN7rocprim17ROCPRIM_400000_NS6detail17trampoline_kernelINS0_14default_configENS1_20scan_config_selectorIyEEZZNS1_9scan_implILNS1_25lookback_scan_determinismE0ELb0ELb0ES3_N6thrust23THRUST_200600_302600_NS6detail15normal_iteratorINS9_10device_ptrIyEEEESE_yNS9_4plusIvEEyEEDaPvRmT3_T4_T5_mT6_P12ihipStream_tbENKUlT_T0_E_clISt17integral_constantIbLb0EESU_EEDaSP_SQ_EUlSP_E_NS1_11comp_targetILNS1_3genE8ELNS1_11target_archE1030ELNS1_3gpuE2ELNS1_3repE0EEENS1_30default_config_static_selectorELNS0_4arch9wavefront6targetE1EEEvT1_, .Lfunc_end4438-_ZN7rocprim17ROCPRIM_400000_NS6detail17trampoline_kernelINS0_14default_configENS1_20scan_config_selectorIyEEZZNS1_9scan_implILNS1_25lookback_scan_determinismE0ELb0ELb0ES3_N6thrust23THRUST_200600_302600_NS6detail15normal_iteratorINS9_10device_ptrIyEEEESE_yNS9_4plusIvEEyEEDaPvRmT3_T4_T5_mT6_P12ihipStream_tbENKUlT_T0_E_clISt17integral_constantIbLb0EESU_EEDaSP_SQ_EUlSP_E_NS1_11comp_targetILNS1_3genE8ELNS1_11target_archE1030ELNS1_3gpuE2ELNS1_3repE0EEENS1_30default_config_static_selectorELNS0_4arch9wavefront6targetE1EEEvT1_
                                        ; -- End function
	.section	.AMDGPU.csdata,"",@progbits
; Kernel info:
; codeLenInByte = 0
; NumSgprs: 4
; NumVgprs: 0
; NumAgprs: 0
; TotalNumVgprs: 0
; ScratchSize: 0
; MemoryBound: 0
; FloatMode: 240
; IeeeMode: 1
; LDSByteSize: 0 bytes/workgroup (compile time only)
; SGPRBlocks: 0
; VGPRBlocks: 0
; NumSGPRsForWavesPerEU: 4
; NumVGPRsForWavesPerEU: 1
; AccumOffset: 4
; Occupancy: 8
; WaveLimiterHint : 0
; COMPUTE_PGM_RSRC2:SCRATCH_EN: 0
; COMPUTE_PGM_RSRC2:USER_SGPR: 6
; COMPUTE_PGM_RSRC2:TRAP_HANDLER: 0
; COMPUTE_PGM_RSRC2:TGID_X_EN: 1
; COMPUTE_PGM_RSRC2:TGID_Y_EN: 0
; COMPUTE_PGM_RSRC2:TGID_Z_EN: 0
; COMPUTE_PGM_RSRC2:TIDIG_COMP_CNT: 0
; COMPUTE_PGM_RSRC3_GFX90A:ACCUM_OFFSET: 0
; COMPUTE_PGM_RSRC3_GFX90A:TG_SPLIT: 0
	.section	.text._ZN7rocprim17ROCPRIM_400000_NS6detail17trampoline_kernelINS0_14default_configENS1_20scan_config_selectorIyEEZZNS1_9scan_implILNS1_25lookback_scan_determinismE0ELb0ELb0ES3_N6thrust23THRUST_200600_302600_NS6detail15normal_iteratorINS9_10device_ptrIyEEEESE_yNS9_4plusIvEEyEEDaPvRmT3_T4_T5_mT6_P12ihipStream_tbENKUlT_T0_E_clISt17integral_constantIbLb0EESU_EEDaSP_SQ_EUlSP_E0_NS1_11comp_targetILNS1_3genE0ELNS1_11target_archE4294967295ELNS1_3gpuE0ELNS1_3repE0EEENS1_30default_config_static_selectorELNS0_4arch9wavefront6targetE1EEEvT1_,"axG",@progbits,_ZN7rocprim17ROCPRIM_400000_NS6detail17trampoline_kernelINS0_14default_configENS1_20scan_config_selectorIyEEZZNS1_9scan_implILNS1_25lookback_scan_determinismE0ELb0ELb0ES3_N6thrust23THRUST_200600_302600_NS6detail15normal_iteratorINS9_10device_ptrIyEEEESE_yNS9_4plusIvEEyEEDaPvRmT3_T4_T5_mT6_P12ihipStream_tbENKUlT_T0_E_clISt17integral_constantIbLb0EESU_EEDaSP_SQ_EUlSP_E0_NS1_11comp_targetILNS1_3genE0ELNS1_11target_archE4294967295ELNS1_3gpuE0ELNS1_3repE0EEENS1_30default_config_static_selectorELNS0_4arch9wavefront6targetE1EEEvT1_,comdat
	.protected	_ZN7rocprim17ROCPRIM_400000_NS6detail17trampoline_kernelINS0_14default_configENS1_20scan_config_selectorIyEEZZNS1_9scan_implILNS1_25lookback_scan_determinismE0ELb0ELb0ES3_N6thrust23THRUST_200600_302600_NS6detail15normal_iteratorINS9_10device_ptrIyEEEESE_yNS9_4plusIvEEyEEDaPvRmT3_T4_T5_mT6_P12ihipStream_tbENKUlT_T0_E_clISt17integral_constantIbLb0EESU_EEDaSP_SQ_EUlSP_E0_NS1_11comp_targetILNS1_3genE0ELNS1_11target_archE4294967295ELNS1_3gpuE0ELNS1_3repE0EEENS1_30default_config_static_selectorELNS0_4arch9wavefront6targetE1EEEvT1_ ; -- Begin function _ZN7rocprim17ROCPRIM_400000_NS6detail17trampoline_kernelINS0_14default_configENS1_20scan_config_selectorIyEEZZNS1_9scan_implILNS1_25lookback_scan_determinismE0ELb0ELb0ES3_N6thrust23THRUST_200600_302600_NS6detail15normal_iteratorINS9_10device_ptrIyEEEESE_yNS9_4plusIvEEyEEDaPvRmT3_T4_T5_mT6_P12ihipStream_tbENKUlT_T0_E_clISt17integral_constantIbLb0EESU_EEDaSP_SQ_EUlSP_E0_NS1_11comp_targetILNS1_3genE0ELNS1_11target_archE4294967295ELNS1_3gpuE0ELNS1_3repE0EEENS1_30default_config_static_selectorELNS0_4arch9wavefront6targetE1EEEvT1_
	.globl	_ZN7rocprim17ROCPRIM_400000_NS6detail17trampoline_kernelINS0_14default_configENS1_20scan_config_selectorIyEEZZNS1_9scan_implILNS1_25lookback_scan_determinismE0ELb0ELb0ES3_N6thrust23THRUST_200600_302600_NS6detail15normal_iteratorINS9_10device_ptrIyEEEESE_yNS9_4plusIvEEyEEDaPvRmT3_T4_T5_mT6_P12ihipStream_tbENKUlT_T0_E_clISt17integral_constantIbLb0EESU_EEDaSP_SQ_EUlSP_E0_NS1_11comp_targetILNS1_3genE0ELNS1_11target_archE4294967295ELNS1_3gpuE0ELNS1_3repE0EEENS1_30default_config_static_selectorELNS0_4arch9wavefront6targetE1EEEvT1_
	.p2align	8
	.type	_ZN7rocprim17ROCPRIM_400000_NS6detail17trampoline_kernelINS0_14default_configENS1_20scan_config_selectorIyEEZZNS1_9scan_implILNS1_25lookback_scan_determinismE0ELb0ELb0ES3_N6thrust23THRUST_200600_302600_NS6detail15normal_iteratorINS9_10device_ptrIyEEEESE_yNS9_4plusIvEEyEEDaPvRmT3_T4_T5_mT6_P12ihipStream_tbENKUlT_T0_E_clISt17integral_constantIbLb0EESU_EEDaSP_SQ_EUlSP_E0_NS1_11comp_targetILNS1_3genE0ELNS1_11target_archE4294967295ELNS1_3gpuE0ELNS1_3repE0EEENS1_30default_config_static_selectorELNS0_4arch9wavefront6targetE1EEEvT1_,@function
_ZN7rocprim17ROCPRIM_400000_NS6detail17trampoline_kernelINS0_14default_configENS1_20scan_config_selectorIyEEZZNS1_9scan_implILNS1_25lookback_scan_determinismE0ELb0ELb0ES3_N6thrust23THRUST_200600_302600_NS6detail15normal_iteratorINS9_10device_ptrIyEEEESE_yNS9_4plusIvEEyEEDaPvRmT3_T4_T5_mT6_P12ihipStream_tbENKUlT_T0_E_clISt17integral_constantIbLb0EESU_EEDaSP_SQ_EUlSP_E0_NS1_11comp_targetILNS1_3genE0ELNS1_11target_archE4294967295ELNS1_3gpuE0ELNS1_3repE0EEENS1_30default_config_static_selectorELNS0_4arch9wavefront6targetE1EEEvT1_: ; @_ZN7rocprim17ROCPRIM_400000_NS6detail17trampoline_kernelINS0_14default_configENS1_20scan_config_selectorIyEEZZNS1_9scan_implILNS1_25lookback_scan_determinismE0ELb0ELb0ES3_N6thrust23THRUST_200600_302600_NS6detail15normal_iteratorINS9_10device_ptrIyEEEESE_yNS9_4plusIvEEyEEDaPvRmT3_T4_T5_mT6_P12ihipStream_tbENKUlT_T0_E_clISt17integral_constantIbLb0EESU_EEDaSP_SQ_EUlSP_E0_NS1_11comp_targetILNS1_3genE0ELNS1_11target_archE4294967295ELNS1_3gpuE0ELNS1_3repE0EEENS1_30default_config_static_selectorELNS0_4arch9wavefront6targetE1EEEvT1_
; %bb.0:
	.section	.rodata,"a",@progbits
	.p2align	6, 0x0
	.amdhsa_kernel _ZN7rocprim17ROCPRIM_400000_NS6detail17trampoline_kernelINS0_14default_configENS1_20scan_config_selectorIyEEZZNS1_9scan_implILNS1_25lookback_scan_determinismE0ELb0ELb0ES3_N6thrust23THRUST_200600_302600_NS6detail15normal_iteratorINS9_10device_ptrIyEEEESE_yNS9_4plusIvEEyEEDaPvRmT3_T4_T5_mT6_P12ihipStream_tbENKUlT_T0_E_clISt17integral_constantIbLb0EESU_EEDaSP_SQ_EUlSP_E0_NS1_11comp_targetILNS1_3genE0ELNS1_11target_archE4294967295ELNS1_3gpuE0ELNS1_3repE0EEENS1_30default_config_static_selectorELNS0_4arch9wavefront6targetE1EEEvT1_
		.amdhsa_group_segment_fixed_size 0
		.amdhsa_private_segment_fixed_size 0
		.amdhsa_kernarg_size 40
		.amdhsa_user_sgpr_count 6
		.amdhsa_user_sgpr_private_segment_buffer 1
		.amdhsa_user_sgpr_dispatch_ptr 0
		.amdhsa_user_sgpr_queue_ptr 0
		.amdhsa_user_sgpr_kernarg_segment_ptr 1
		.amdhsa_user_sgpr_dispatch_id 0
		.amdhsa_user_sgpr_flat_scratch_init 0
		.amdhsa_user_sgpr_kernarg_preload_length 0
		.amdhsa_user_sgpr_kernarg_preload_offset 0
		.amdhsa_user_sgpr_private_segment_size 0
		.amdhsa_uses_dynamic_stack 0
		.amdhsa_system_sgpr_private_segment_wavefront_offset 0
		.amdhsa_system_sgpr_workgroup_id_x 1
		.amdhsa_system_sgpr_workgroup_id_y 0
		.amdhsa_system_sgpr_workgroup_id_z 0
		.amdhsa_system_sgpr_workgroup_info 0
		.amdhsa_system_vgpr_workitem_id 0
		.amdhsa_next_free_vgpr 1
		.amdhsa_next_free_sgpr 0
		.amdhsa_accum_offset 4
		.amdhsa_reserve_vcc 0
		.amdhsa_reserve_flat_scratch 0
		.amdhsa_float_round_mode_32 0
		.amdhsa_float_round_mode_16_64 0
		.amdhsa_float_denorm_mode_32 3
		.amdhsa_float_denorm_mode_16_64 3
		.amdhsa_dx10_clamp 1
		.amdhsa_ieee_mode 1
		.amdhsa_fp16_overflow 0
		.amdhsa_tg_split 0
		.amdhsa_exception_fp_ieee_invalid_op 0
		.amdhsa_exception_fp_denorm_src 0
		.amdhsa_exception_fp_ieee_div_zero 0
		.amdhsa_exception_fp_ieee_overflow 0
		.amdhsa_exception_fp_ieee_underflow 0
		.amdhsa_exception_fp_ieee_inexact 0
		.amdhsa_exception_int_div_zero 0
	.end_amdhsa_kernel
	.section	.text._ZN7rocprim17ROCPRIM_400000_NS6detail17trampoline_kernelINS0_14default_configENS1_20scan_config_selectorIyEEZZNS1_9scan_implILNS1_25lookback_scan_determinismE0ELb0ELb0ES3_N6thrust23THRUST_200600_302600_NS6detail15normal_iteratorINS9_10device_ptrIyEEEESE_yNS9_4plusIvEEyEEDaPvRmT3_T4_T5_mT6_P12ihipStream_tbENKUlT_T0_E_clISt17integral_constantIbLb0EESU_EEDaSP_SQ_EUlSP_E0_NS1_11comp_targetILNS1_3genE0ELNS1_11target_archE4294967295ELNS1_3gpuE0ELNS1_3repE0EEENS1_30default_config_static_selectorELNS0_4arch9wavefront6targetE1EEEvT1_,"axG",@progbits,_ZN7rocprim17ROCPRIM_400000_NS6detail17trampoline_kernelINS0_14default_configENS1_20scan_config_selectorIyEEZZNS1_9scan_implILNS1_25lookback_scan_determinismE0ELb0ELb0ES3_N6thrust23THRUST_200600_302600_NS6detail15normal_iteratorINS9_10device_ptrIyEEEESE_yNS9_4plusIvEEyEEDaPvRmT3_T4_T5_mT6_P12ihipStream_tbENKUlT_T0_E_clISt17integral_constantIbLb0EESU_EEDaSP_SQ_EUlSP_E0_NS1_11comp_targetILNS1_3genE0ELNS1_11target_archE4294967295ELNS1_3gpuE0ELNS1_3repE0EEENS1_30default_config_static_selectorELNS0_4arch9wavefront6targetE1EEEvT1_,comdat
.Lfunc_end4439:
	.size	_ZN7rocprim17ROCPRIM_400000_NS6detail17trampoline_kernelINS0_14default_configENS1_20scan_config_selectorIyEEZZNS1_9scan_implILNS1_25lookback_scan_determinismE0ELb0ELb0ES3_N6thrust23THRUST_200600_302600_NS6detail15normal_iteratorINS9_10device_ptrIyEEEESE_yNS9_4plusIvEEyEEDaPvRmT3_T4_T5_mT6_P12ihipStream_tbENKUlT_T0_E_clISt17integral_constantIbLb0EESU_EEDaSP_SQ_EUlSP_E0_NS1_11comp_targetILNS1_3genE0ELNS1_11target_archE4294967295ELNS1_3gpuE0ELNS1_3repE0EEENS1_30default_config_static_selectorELNS0_4arch9wavefront6targetE1EEEvT1_, .Lfunc_end4439-_ZN7rocprim17ROCPRIM_400000_NS6detail17trampoline_kernelINS0_14default_configENS1_20scan_config_selectorIyEEZZNS1_9scan_implILNS1_25lookback_scan_determinismE0ELb0ELb0ES3_N6thrust23THRUST_200600_302600_NS6detail15normal_iteratorINS9_10device_ptrIyEEEESE_yNS9_4plusIvEEyEEDaPvRmT3_T4_T5_mT6_P12ihipStream_tbENKUlT_T0_E_clISt17integral_constantIbLb0EESU_EEDaSP_SQ_EUlSP_E0_NS1_11comp_targetILNS1_3genE0ELNS1_11target_archE4294967295ELNS1_3gpuE0ELNS1_3repE0EEENS1_30default_config_static_selectorELNS0_4arch9wavefront6targetE1EEEvT1_
                                        ; -- End function
	.section	.AMDGPU.csdata,"",@progbits
; Kernel info:
; codeLenInByte = 0
; NumSgprs: 4
; NumVgprs: 0
; NumAgprs: 0
; TotalNumVgprs: 0
; ScratchSize: 0
; MemoryBound: 0
; FloatMode: 240
; IeeeMode: 1
; LDSByteSize: 0 bytes/workgroup (compile time only)
; SGPRBlocks: 0
; VGPRBlocks: 0
; NumSGPRsForWavesPerEU: 4
; NumVGPRsForWavesPerEU: 1
; AccumOffset: 4
; Occupancy: 8
; WaveLimiterHint : 0
; COMPUTE_PGM_RSRC2:SCRATCH_EN: 0
; COMPUTE_PGM_RSRC2:USER_SGPR: 6
; COMPUTE_PGM_RSRC2:TRAP_HANDLER: 0
; COMPUTE_PGM_RSRC2:TGID_X_EN: 1
; COMPUTE_PGM_RSRC2:TGID_Y_EN: 0
; COMPUTE_PGM_RSRC2:TGID_Z_EN: 0
; COMPUTE_PGM_RSRC2:TIDIG_COMP_CNT: 0
; COMPUTE_PGM_RSRC3_GFX90A:ACCUM_OFFSET: 0
; COMPUTE_PGM_RSRC3_GFX90A:TG_SPLIT: 0
	.section	.text._ZN7rocprim17ROCPRIM_400000_NS6detail17trampoline_kernelINS0_14default_configENS1_20scan_config_selectorIyEEZZNS1_9scan_implILNS1_25lookback_scan_determinismE0ELb0ELb0ES3_N6thrust23THRUST_200600_302600_NS6detail15normal_iteratorINS9_10device_ptrIyEEEESE_yNS9_4plusIvEEyEEDaPvRmT3_T4_T5_mT6_P12ihipStream_tbENKUlT_T0_E_clISt17integral_constantIbLb0EESU_EEDaSP_SQ_EUlSP_E0_NS1_11comp_targetILNS1_3genE5ELNS1_11target_archE942ELNS1_3gpuE9ELNS1_3repE0EEENS1_30default_config_static_selectorELNS0_4arch9wavefront6targetE1EEEvT1_,"axG",@progbits,_ZN7rocprim17ROCPRIM_400000_NS6detail17trampoline_kernelINS0_14default_configENS1_20scan_config_selectorIyEEZZNS1_9scan_implILNS1_25lookback_scan_determinismE0ELb0ELb0ES3_N6thrust23THRUST_200600_302600_NS6detail15normal_iteratorINS9_10device_ptrIyEEEESE_yNS9_4plusIvEEyEEDaPvRmT3_T4_T5_mT6_P12ihipStream_tbENKUlT_T0_E_clISt17integral_constantIbLb0EESU_EEDaSP_SQ_EUlSP_E0_NS1_11comp_targetILNS1_3genE5ELNS1_11target_archE942ELNS1_3gpuE9ELNS1_3repE0EEENS1_30default_config_static_selectorELNS0_4arch9wavefront6targetE1EEEvT1_,comdat
	.protected	_ZN7rocprim17ROCPRIM_400000_NS6detail17trampoline_kernelINS0_14default_configENS1_20scan_config_selectorIyEEZZNS1_9scan_implILNS1_25lookback_scan_determinismE0ELb0ELb0ES3_N6thrust23THRUST_200600_302600_NS6detail15normal_iteratorINS9_10device_ptrIyEEEESE_yNS9_4plusIvEEyEEDaPvRmT3_T4_T5_mT6_P12ihipStream_tbENKUlT_T0_E_clISt17integral_constantIbLb0EESU_EEDaSP_SQ_EUlSP_E0_NS1_11comp_targetILNS1_3genE5ELNS1_11target_archE942ELNS1_3gpuE9ELNS1_3repE0EEENS1_30default_config_static_selectorELNS0_4arch9wavefront6targetE1EEEvT1_ ; -- Begin function _ZN7rocprim17ROCPRIM_400000_NS6detail17trampoline_kernelINS0_14default_configENS1_20scan_config_selectorIyEEZZNS1_9scan_implILNS1_25lookback_scan_determinismE0ELb0ELb0ES3_N6thrust23THRUST_200600_302600_NS6detail15normal_iteratorINS9_10device_ptrIyEEEESE_yNS9_4plusIvEEyEEDaPvRmT3_T4_T5_mT6_P12ihipStream_tbENKUlT_T0_E_clISt17integral_constantIbLb0EESU_EEDaSP_SQ_EUlSP_E0_NS1_11comp_targetILNS1_3genE5ELNS1_11target_archE942ELNS1_3gpuE9ELNS1_3repE0EEENS1_30default_config_static_selectorELNS0_4arch9wavefront6targetE1EEEvT1_
	.globl	_ZN7rocprim17ROCPRIM_400000_NS6detail17trampoline_kernelINS0_14default_configENS1_20scan_config_selectorIyEEZZNS1_9scan_implILNS1_25lookback_scan_determinismE0ELb0ELb0ES3_N6thrust23THRUST_200600_302600_NS6detail15normal_iteratorINS9_10device_ptrIyEEEESE_yNS9_4plusIvEEyEEDaPvRmT3_T4_T5_mT6_P12ihipStream_tbENKUlT_T0_E_clISt17integral_constantIbLb0EESU_EEDaSP_SQ_EUlSP_E0_NS1_11comp_targetILNS1_3genE5ELNS1_11target_archE942ELNS1_3gpuE9ELNS1_3repE0EEENS1_30default_config_static_selectorELNS0_4arch9wavefront6targetE1EEEvT1_
	.p2align	8
	.type	_ZN7rocprim17ROCPRIM_400000_NS6detail17trampoline_kernelINS0_14default_configENS1_20scan_config_selectorIyEEZZNS1_9scan_implILNS1_25lookback_scan_determinismE0ELb0ELb0ES3_N6thrust23THRUST_200600_302600_NS6detail15normal_iteratorINS9_10device_ptrIyEEEESE_yNS9_4plusIvEEyEEDaPvRmT3_T4_T5_mT6_P12ihipStream_tbENKUlT_T0_E_clISt17integral_constantIbLb0EESU_EEDaSP_SQ_EUlSP_E0_NS1_11comp_targetILNS1_3genE5ELNS1_11target_archE942ELNS1_3gpuE9ELNS1_3repE0EEENS1_30default_config_static_selectorELNS0_4arch9wavefront6targetE1EEEvT1_,@function
_ZN7rocprim17ROCPRIM_400000_NS6detail17trampoline_kernelINS0_14default_configENS1_20scan_config_selectorIyEEZZNS1_9scan_implILNS1_25lookback_scan_determinismE0ELb0ELb0ES3_N6thrust23THRUST_200600_302600_NS6detail15normal_iteratorINS9_10device_ptrIyEEEESE_yNS9_4plusIvEEyEEDaPvRmT3_T4_T5_mT6_P12ihipStream_tbENKUlT_T0_E_clISt17integral_constantIbLb0EESU_EEDaSP_SQ_EUlSP_E0_NS1_11comp_targetILNS1_3genE5ELNS1_11target_archE942ELNS1_3gpuE9ELNS1_3repE0EEENS1_30default_config_static_selectorELNS0_4arch9wavefront6targetE1EEEvT1_: ; @_ZN7rocprim17ROCPRIM_400000_NS6detail17trampoline_kernelINS0_14default_configENS1_20scan_config_selectorIyEEZZNS1_9scan_implILNS1_25lookback_scan_determinismE0ELb0ELb0ES3_N6thrust23THRUST_200600_302600_NS6detail15normal_iteratorINS9_10device_ptrIyEEEESE_yNS9_4plusIvEEyEEDaPvRmT3_T4_T5_mT6_P12ihipStream_tbENKUlT_T0_E_clISt17integral_constantIbLb0EESU_EEDaSP_SQ_EUlSP_E0_NS1_11comp_targetILNS1_3genE5ELNS1_11target_archE942ELNS1_3gpuE9ELNS1_3repE0EEENS1_30default_config_static_selectorELNS0_4arch9wavefront6targetE1EEEvT1_
; %bb.0:
	.section	.rodata,"a",@progbits
	.p2align	6, 0x0
	.amdhsa_kernel _ZN7rocprim17ROCPRIM_400000_NS6detail17trampoline_kernelINS0_14default_configENS1_20scan_config_selectorIyEEZZNS1_9scan_implILNS1_25lookback_scan_determinismE0ELb0ELb0ES3_N6thrust23THRUST_200600_302600_NS6detail15normal_iteratorINS9_10device_ptrIyEEEESE_yNS9_4plusIvEEyEEDaPvRmT3_T4_T5_mT6_P12ihipStream_tbENKUlT_T0_E_clISt17integral_constantIbLb0EESU_EEDaSP_SQ_EUlSP_E0_NS1_11comp_targetILNS1_3genE5ELNS1_11target_archE942ELNS1_3gpuE9ELNS1_3repE0EEENS1_30default_config_static_selectorELNS0_4arch9wavefront6targetE1EEEvT1_
		.amdhsa_group_segment_fixed_size 0
		.amdhsa_private_segment_fixed_size 0
		.amdhsa_kernarg_size 40
		.amdhsa_user_sgpr_count 6
		.amdhsa_user_sgpr_private_segment_buffer 1
		.amdhsa_user_sgpr_dispatch_ptr 0
		.amdhsa_user_sgpr_queue_ptr 0
		.amdhsa_user_sgpr_kernarg_segment_ptr 1
		.amdhsa_user_sgpr_dispatch_id 0
		.amdhsa_user_sgpr_flat_scratch_init 0
		.amdhsa_user_sgpr_kernarg_preload_length 0
		.amdhsa_user_sgpr_kernarg_preload_offset 0
		.amdhsa_user_sgpr_private_segment_size 0
		.amdhsa_uses_dynamic_stack 0
		.amdhsa_system_sgpr_private_segment_wavefront_offset 0
		.amdhsa_system_sgpr_workgroup_id_x 1
		.amdhsa_system_sgpr_workgroup_id_y 0
		.amdhsa_system_sgpr_workgroup_id_z 0
		.amdhsa_system_sgpr_workgroup_info 0
		.amdhsa_system_vgpr_workitem_id 0
		.amdhsa_next_free_vgpr 1
		.amdhsa_next_free_sgpr 0
		.amdhsa_accum_offset 4
		.amdhsa_reserve_vcc 0
		.amdhsa_reserve_flat_scratch 0
		.amdhsa_float_round_mode_32 0
		.amdhsa_float_round_mode_16_64 0
		.amdhsa_float_denorm_mode_32 3
		.amdhsa_float_denorm_mode_16_64 3
		.amdhsa_dx10_clamp 1
		.amdhsa_ieee_mode 1
		.amdhsa_fp16_overflow 0
		.amdhsa_tg_split 0
		.amdhsa_exception_fp_ieee_invalid_op 0
		.amdhsa_exception_fp_denorm_src 0
		.amdhsa_exception_fp_ieee_div_zero 0
		.amdhsa_exception_fp_ieee_overflow 0
		.amdhsa_exception_fp_ieee_underflow 0
		.amdhsa_exception_fp_ieee_inexact 0
		.amdhsa_exception_int_div_zero 0
	.end_amdhsa_kernel
	.section	.text._ZN7rocprim17ROCPRIM_400000_NS6detail17trampoline_kernelINS0_14default_configENS1_20scan_config_selectorIyEEZZNS1_9scan_implILNS1_25lookback_scan_determinismE0ELb0ELb0ES3_N6thrust23THRUST_200600_302600_NS6detail15normal_iteratorINS9_10device_ptrIyEEEESE_yNS9_4plusIvEEyEEDaPvRmT3_T4_T5_mT6_P12ihipStream_tbENKUlT_T0_E_clISt17integral_constantIbLb0EESU_EEDaSP_SQ_EUlSP_E0_NS1_11comp_targetILNS1_3genE5ELNS1_11target_archE942ELNS1_3gpuE9ELNS1_3repE0EEENS1_30default_config_static_selectorELNS0_4arch9wavefront6targetE1EEEvT1_,"axG",@progbits,_ZN7rocprim17ROCPRIM_400000_NS6detail17trampoline_kernelINS0_14default_configENS1_20scan_config_selectorIyEEZZNS1_9scan_implILNS1_25lookback_scan_determinismE0ELb0ELb0ES3_N6thrust23THRUST_200600_302600_NS6detail15normal_iteratorINS9_10device_ptrIyEEEESE_yNS9_4plusIvEEyEEDaPvRmT3_T4_T5_mT6_P12ihipStream_tbENKUlT_T0_E_clISt17integral_constantIbLb0EESU_EEDaSP_SQ_EUlSP_E0_NS1_11comp_targetILNS1_3genE5ELNS1_11target_archE942ELNS1_3gpuE9ELNS1_3repE0EEENS1_30default_config_static_selectorELNS0_4arch9wavefront6targetE1EEEvT1_,comdat
.Lfunc_end4440:
	.size	_ZN7rocprim17ROCPRIM_400000_NS6detail17trampoline_kernelINS0_14default_configENS1_20scan_config_selectorIyEEZZNS1_9scan_implILNS1_25lookback_scan_determinismE0ELb0ELb0ES3_N6thrust23THRUST_200600_302600_NS6detail15normal_iteratorINS9_10device_ptrIyEEEESE_yNS9_4plusIvEEyEEDaPvRmT3_T4_T5_mT6_P12ihipStream_tbENKUlT_T0_E_clISt17integral_constantIbLb0EESU_EEDaSP_SQ_EUlSP_E0_NS1_11comp_targetILNS1_3genE5ELNS1_11target_archE942ELNS1_3gpuE9ELNS1_3repE0EEENS1_30default_config_static_selectorELNS0_4arch9wavefront6targetE1EEEvT1_, .Lfunc_end4440-_ZN7rocprim17ROCPRIM_400000_NS6detail17trampoline_kernelINS0_14default_configENS1_20scan_config_selectorIyEEZZNS1_9scan_implILNS1_25lookback_scan_determinismE0ELb0ELb0ES3_N6thrust23THRUST_200600_302600_NS6detail15normal_iteratorINS9_10device_ptrIyEEEESE_yNS9_4plusIvEEyEEDaPvRmT3_T4_T5_mT6_P12ihipStream_tbENKUlT_T0_E_clISt17integral_constantIbLb0EESU_EEDaSP_SQ_EUlSP_E0_NS1_11comp_targetILNS1_3genE5ELNS1_11target_archE942ELNS1_3gpuE9ELNS1_3repE0EEENS1_30default_config_static_selectorELNS0_4arch9wavefront6targetE1EEEvT1_
                                        ; -- End function
	.section	.AMDGPU.csdata,"",@progbits
; Kernel info:
; codeLenInByte = 0
; NumSgprs: 4
; NumVgprs: 0
; NumAgprs: 0
; TotalNumVgprs: 0
; ScratchSize: 0
; MemoryBound: 0
; FloatMode: 240
; IeeeMode: 1
; LDSByteSize: 0 bytes/workgroup (compile time only)
; SGPRBlocks: 0
; VGPRBlocks: 0
; NumSGPRsForWavesPerEU: 4
; NumVGPRsForWavesPerEU: 1
; AccumOffset: 4
; Occupancy: 8
; WaveLimiterHint : 0
; COMPUTE_PGM_RSRC2:SCRATCH_EN: 0
; COMPUTE_PGM_RSRC2:USER_SGPR: 6
; COMPUTE_PGM_RSRC2:TRAP_HANDLER: 0
; COMPUTE_PGM_RSRC2:TGID_X_EN: 1
; COMPUTE_PGM_RSRC2:TGID_Y_EN: 0
; COMPUTE_PGM_RSRC2:TGID_Z_EN: 0
; COMPUTE_PGM_RSRC2:TIDIG_COMP_CNT: 0
; COMPUTE_PGM_RSRC3_GFX90A:ACCUM_OFFSET: 0
; COMPUTE_PGM_RSRC3_GFX90A:TG_SPLIT: 0
	.section	.text._ZN7rocprim17ROCPRIM_400000_NS6detail17trampoline_kernelINS0_14default_configENS1_20scan_config_selectorIyEEZZNS1_9scan_implILNS1_25lookback_scan_determinismE0ELb0ELb0ES3_N6thrust23THRUST_200600_302600_NS6detail15normal_iteratorINS9_10device_ptrIyEEEESE_yNS9_4plusIvEEyEEDaPvRmT3_T4_T5_mT6_P12ihipStream_tbENKUlT_T0_E_clISt17integral_constantIbLb0EESU_EEDaSP_SQ_EUlSP_E0_NS1_11comp_targetILNS1_3genE4ELNS1_11target_archE910ELNS1_3gpuE8ELNS1_3repE0EEENS1_30default_config_static_selectorELNS0_4arch9wavefront6targetE1EEEvT1_,"axG",@progbits,_ZN7rocprim17ROCPRIM_400000_NS6detail17trampoline_kernelINS0_14default_configENS1_20scan_config_selectorIyEEZZNS1_9scan_implILNS1_25lookback_scan_determinismE0ELb0ELb0ES3_N6thrust23THRUST_200600_302600_NS6detail15normal_iteratorINS9_10device_ptrIyEEEESE_yNS9_4plusIvEEyEEDaPvRmT3_T4_T5_mT6_P12ihipStream_tbENKUlT_T0_E_clISt17integral_constantIbLb0EESU_EEDaSP_SQ_EUlSP_E0_NS1_11comp_targetILNS1_3genE4ELNS1_11target_archE910ELNS1_3gpuE8ELNS1_3repE0EEENS1_30default_config_static_selectorELNS0_4arch9wavefront6targetE1EEEvT1_,comdat
	.protected	_ZN7rocprim17ROCPRIM_400000_NS6detail17trampoline_kernelINS0_14default_configENS1_20scan_config_selectorIyEEZZNS1_9scan_implILNS1_25lookback_scan_determinismE0ELb0ELb0ES3_N6thrust23THRUST_200600_302600_NS6detail15normal_iteratorINS9_10device_ptrIyEEEESE_yNS9_4plusIvEEyEEDaPvRmT3_T4_T5_mT6_P12ihipStream_tbENKUlT_T0_E_clISt17integral_constantIbLb0EESU_EEDaSP_SQ_EUlSP_E0_NS1_11comp_targetILNS1_3genE4ELNS1_11target_archE910ELNS1_3gpuE8ELNS1_3repE0EEENS1_30default_config_static_selectorELNS0_4arch9wavefront6targetE1EEEvT1_ ; -- Begin function _ZN7rocprim17ROCPRIM_400000_NS6detail17trampoline_kernelINS0_14default_configENS1_20scan_config_selectorIyEEZZNS1_9scan_implILNS1_25lookback_scan_determinismE0ELb0ELb0ES3_N6thrust23THRUST_200600_302600_NS6detail15normal_iteratorINS9_10device_ptrIyEEEESE_yNS9_4plusIvEEyEEDaPvRmT3_T4_T5_mT6_P12ihipStream_tbENKUlT_T0_E_clISt17integral_constantIbLb0EESU_EEDaSP_SQ_EUlSP_E0_NS1_11comp_targetILNS1_3genE4ELNS1_11target_archE910ELNS1_3gpuE8ELNS1_3repE0EEENS1_30default_config_static_selectorELNS0_4arch9wavefront6targetE1EEEvT1_
	.globl	_ZN7rocprim17ROCPRIM_400000_NS6detail17trampoline_kernelINS0_14default_configENS1_20scan_config_selectorIyEEZZNS1_9scan_implILNS1_25lookback_scan_determinismE0ELb0ELb0ES3_N6thrust23THRUST_200600_302600_NS6detail15normal_iteratorINS9_10device_ptrIyEEEESE_yNS9_4plusIvEEyEEDaPvRmT3_T4_T5_mT6_P12ihipStream_tbENKUlT_T0_E_clISt17integral_constantIbLb0EESU_EEDaSP_SQ_EUlSP_E0_NS1_11comp_targetILNS1_3genE4ELNS1_11target_archE910ELNS1_3gpuE8ELNS1_3repE0EEENS1_30default_config_static_selectorELNS0_4arch9wavefront6targetE1EEEvT1_
	.p2align	8
	.type	_ZN7rocprim17ROCPRIM_400000_NS6detail17trampoline_kernelINS0_14default_configENS1_20scan_config_selectorIyEEZZNS1_9scan_implILNS1_25lookback_scan_determinismE0ELb0ELb0ES3_N6thrust23THRUST_200600_302600_NS6detail15normal_iteratorINS9_10device_ptrIyEEEESE_yNS9_4plusIvEEyEEDaPvRmT3_T4_T5_mT6_P12ihipStream_tbENKUlT_T0_E_clISt17integral_constantIbLb0EESU_EEDaSP_SQ_EUlSP_E0_NS1_11comp_targetILNS1_3genE4ELNS1_11target_archE910ELNS1_3gpuE8ELNS1_3repE0EEENS1_30default_config_static_selectorELNS0_4arch9wavefront6targetE1EEEvT1_,@function
_ZN7rocprim17ROCPRIM_400000_NS6detail17trampoline_kernelINS0_14default_configENS1_20scan_config_selectorIyEEZZNS1_9scan_implILNS1_25lookback_scan_determinismE0ELb0ELb0ES3_N6thrust23THRUST_200600_302600_NS6detail15normal_iteratorINS9_10device_ptrIyEEEESE_yNS9_4plusIvEEyEEDaPvRmT3_T4_T5_mT6_P12ihipStream_tbENKUlT_T0_E_clISt17integral_constantIbLb0EESU_EEDaSP_SQ_EUlSP_E0_NS1_11comp_targetILNS1_3genE4ELNS1_11target_archE910ELNS1_3gpuE8ELNS1_3repE0EEENS1_30default_config_static_selectorELNS0_4arch9wavefront6targetE1EEEvT1_: ; @_ZN7rocprim17ROCPRIM_400000_NS6detail17trampoline_kernelINS0_14default_configENS1_20scan_config_selectorIyEEZZNS1_9scan_implILNS1_25lookback_scan_determinismE0ELb0ELb0ES3_N6thrust23THRUST_200600_302600_NS6detail15normal_iteratorINS9_10device_ptrIyEEEESE_yNS9_4plusIvEEyEEDaPvRmT3_T4_T5_mT6_P12ihipStream_tbENKUlT_T0_E_clISt17integral_constantIbLb0EESU_EEDaSP_SQ_EUlSP_E0_NS1_11comp_targetILNS1_3genE4ELNS1_11target_archE910ELNS1_3gpuE8ELNS1_3repE0EEENS1_30default_config_static_selectorELNS0_4arch9wavefront6targetE1EEEvT1_
; %bb.0:
	s_load_dwordx4 s[16:19], s[4:5], 0x0
	v_lshlrev_b32_e32 v21, 3, v0
	s_waitcnt lgkmcnt(0)
	s_load_dwordx2 s[14:15], s[16:17], 0x0
	v_cmp_gt_u32_e32 vcc, s18, v0
	s_waitcnt lgkmcnt(0)
	v_pk_mov_b32 v[2:3], s[14:15], s[14:15] op_sel:[0,1]
	s_and_saveexec_b64 s[0:1], vcc
	s_cbranch_execz .LBB4441_2
; %bb.1:
	global_load_dwordx2 v[2:3], v21, s[16:17]
.LBB4441_2:
	s_or_b64 exec, exec, s[0:1]
	v_or_b32_e32 v1, 0x80, v0
	v_cmp_gt_u32_e64 s[0:1], s18, v1
	v_pk_mov_b32 v[4:5], s[14:15], s[14:15] op_sel:[0,1]
	s_and_saveexec_b64 s[2:3], s[0:1]
	s_cbranch_execz .LBB4441_4
; %bb.3:
	global_load_dwordx2 v[4:5], v21, s[16:17] offset:1024
.LBB4441_4:
	s_or_b64 exec, exec, s[2:3]
	v_or_b32_e32 v1, 0x100, v0
	v_cmp_gt_u32_e64 s[2:3], s18, v1
	v_pk_mov_b32 v[6:7], s[14:15], s[14:15] op_sel:[0,1]
	s_and_saveexec_b64 s[6:7], s[2:3]
	s_cbranch_execz .LBB4441_6
; %bb.5:
	global_load_dwordx2 v[6:7], v21, s[16:17] offset:2048
.LBB4441_6:
	;; [unrolled: 9-line block ×3, first 2 shown]
	s_or_b64 exec, exec, s[6:7]
	v_or_b32_e32 v1, 0x200, v0
	v_cmp_gt_u32_e64 s[6:7], s18, v1
	v_pk_mov_b32 v[10:11], s[14:15], s[14:15] op_sel:[0,1]
	s_and_saveexec_b64 s[8:9], s[6:7]
	s_cbranch_execz .LBB4441_10
; %bb.9:
	v_lshlrev_b32_e32 v1, 3, v1
	global_load_dwordx2 v[10:11], v1, s[16:17]
.LBB4441_10:
	s_or_b64 exec, exec, s[8:9]
	v_or_b32_e32 v1, 0x280, v0
	v_cmp_gt_u32_e64 s[8:9], s18, v1
	v_pk_mov_b32 v[12:13], s[14:15], s[14:15] op_sel:[0,1]
	s_and_saveexec_b64 s[10:11], s[8:9]
	s_cbranch_execz .LBB4441_12
; %bb.11:
	v_lshlrev_b32_e32 v1, 3, v1
	global_load_dwordx2 v[12:13], v1, s[16:17]
.LBB4441_12:
	;; [unrolled: 10-line block ×3, first 2 shown]
	s_or_b64 exec, exec, s[14:15]
	v_mad_u32_u24 v1, v0, 48, v21
	s_waitcnt vmcnt(0)
	ds_write2st64_b64 v21, v[2:3], v[4:5] offset1:2
	ds_write2st64_b64 v21, v[6:7], v[8:9] offset0:4 offset1:6
	ds_write2st64_b64 v21, v[10:11], v[12:13] offset0:8 offset1:10
	ds_write_b64 v21, v[14:15] offset:6144
	s_waitcnt lgkmcnt(0)
	s_barrier
	ds_read2_b64 v[2:5], v1 offset1:1
	ds_read2_b64 v[6:9], v1 offset0:2 offset1:3
	ds_read2_b64 v[10:13], v1 offset0:4 offset1:5
	ds_read_b64 v[28:29], v1 offset:48
	s_load_dwordx2 s[16:17], s[4:5], 0x20
	s_waitcnt lgkmcnt(0)
	v_add_co_u32_e64 v20, s[4:5], v4, v2
	v_addc_co_u32_e64 v1, s[4:5], v5, v3, s[4:5]
	v_add_co_u32_e64 v18, s[4:5], v20, v6
	v_addc_co_u32_e64 v19, s[4:5], v1, v7, s[4:5]
	;; [unrolled: 2-line block ×5, first 2 shown]
	v_add_co_u32_e64 v30, s[4:5], v26, v28
	v_lshrrev_b32_e32 v14, 2, v0
	v_addc_co_u32_e64 v31, s[4:5], v27, v29, s[4:5]
	v_and_b32_e32 v14, 24, v14
	v_add_u32_e32 v14, v21, v14
	v_cmp_gt_u32_e64 s[4:5], 64, v0
	s_barrier
	ds_write_b64 v14, v[30:31]
	s_waitcnt lgkmcnt(0)
	s_barrier
	s_and_saveexec_b64 s[18:19], s[4:5]
	s_cbranch_execz .LBB4441_18
; %bb.15:
	v_lshlrev_b32_e32 v14, 1, v0
	v_lshrrev_b32_e32 v15, 4, v0
	v_add_lshl_u32 v32, v15, v14, 3
	ds_read2_b64 v[14:17], v32 offset1:1
	s_waitcnt lgkmcnt(0)
	v_add_co_u32_e64 v34, s[4:5], v16, v14
	v_addc_co_u32_e64 v35, s[4:5], v17, v15, s[4:5]
	s_nop 0
	v_mov_b32_dpp v17, v34 row_shr:1 row_mask:0xf bank_mask:0xf
	v_add_co_u32_e64 v17, s[4:5], v34, v17
	v_mbcnt_lo_u32_b32 v16, -1, 0
	v_addc_co_u32_e64 v37, s[4:5], 0, v35, s[4:5]
	v_mbcnt_hi_u32_b32 v33, -1, v16
	v_mov_b32_dpp v36, v35 row_shr:1 row_mask:0xf bank_mask:0xf
	v_add_co_u32_e64 v38, s[4:5], 0, v17
	v_and_b32_e32 v16, 15, v33
	v_addc_co_u32_e64 v36, s[4:5], v36, v37, s[4:5]
	v_cmp_eq_u32_e64 s[4:5], 0, v16
	v_cndmask_b32_e64 v17, v17, v34, s[4:5]
	v_cndmask_b32_e64 v36, v36, v35, s[4:5]
	v_cndmask_b32_e64 v37, v38, v34, s[4:5]
	v_mov_b32_dpp v38, v17 row_shr:2 row_mask:0xf bank_mask:0xf
	v_mov_b32_dpp v39, v36 row_shr:2 row_mask:0xf bank_mask:0xf
	v_add_co_u32_e64 v38, s[4:5], v38, v37
	v_addc_co_u32_e64 v39, s[4:5], v39, v36, s[4:5]
	v_cmp_lt_u32_e64 s[4:5], 1, v16
	v_cndmask_b32_e64 v17, v17, v38, s[4:5]
	v_cndmask_b32_e64 v36, v36, v39, s[4:5]
	v_cndmask_b32_e64 v37, v37, v38, s[4:5]
	v_mov_b32_dpp v38, v17 row_shr:4 row_mask:0xf bank_mask:0xf
	v_mov_b32_dpp v39, v36 row_shr:4 row_mask:0xf bank_mask:0xf
	v_add_co_u32_e64 v38, s[4:5], v38, v37
	v_addc_co_u32_e64 v39, s[4:5], v39, v36, s[4:5]
	v_cmp_lt_u32_e64 s[4:5], 3, v16
	v_cndmask_b32_e64 v17, v17, v38, s[4:5]
	v_cndmask_b32_e64 v36, v36, v39, s[4:5]
	v_cndmask_b32_e64 v37, v37, v38, s[4:5]
	v_mov_b32_dpp v38, v17 row_shr:8 row_mask:0xf bank_mask:0xf
	v_mov_b32_dpp v39, v36 row_shr:8 row_mask:0xf bank_mask:0xf
	v_add_co_u32_e64 v38, s[4:5], v38, v37
	v_addc_co_u32_e64 v39, s[4:5], v39, v36, s[4:5]
	v_cmp_lt_u32_e64 s[4:5], 7, v16
	v_cndmask_b32_e64 v40, v17, v38, s[4:5]
	v_cndmask_b32_e64 v17, v36, v39, s[4:5]
	;; [unrolled: 1-line block ×3, first 2 shown]
	v_mov_b32_dpp v36, v40 row_bcast:15 row_mask:0xf bank_mask:0xf
	v_mov_b32_dpp v37, v17 row_bcast:15 row_mask:0xf bank_mask:0xf
	v_add_co_u32_e64 v36, s[4:5], v36, v16
	v_and_b32_e32 v39, 16, v33
	v_addc_co_u32_e64 v38, s[4:5], v37, v17, s[4:5]
	v_cmp_eq_u32_e64 s[4:5], 0, v39
	v_cndmask_b32_e64 v39, v38, v17, s[4:5]
	v_cndmask_b32_e64 v37, v36, v40, s[4:5]
	v_cmp_ne_u32_e64 s[14:15], 0, v33
	v_mov_b32_dpp v39, v39 row_bcast:31 row_mask:0xf bank_mask:0xf
	v_mov_b32_dpp v37, v37 row_bcast:31 row_mask:0xf bank_mask:0xf
	s_and_saveexec_b64 s[20:21], s[14:15]
; %bb.16:
	v_cndmask_b32_e64 v17, v38, v17, s[4:5]
	v_cndmask_b32_e64 v16, v36, v16, s[4:5]
	v_cmp_lt_u32_e64 s[4:5], 31, v33
	v_cndmask_b32_e64 v34, 0, v37, s[4:5]
	v_cndmask_b32_e64 v35, 0, v39, s[4:5]
	v_add_co_u32_e64 v34, s[4:5], v34, v16
	v_addc_co_u32_e64 v35, s[4:5], v35, v17, s[4:5]
; %bb.17:
	s_or_b64 exec, exec, s[20:21]
	v_add_u32_e32 v16, -1, v33
	v_and_b32_e32 v17, 64, v33
	v_cmp_lt_i32_e64 s[4:5], v16, v17
	v_cndmask_b32_e64 v16, v16, v33, s[4:5]
	v_lshlrev_b32_e32 v16, 2, v16
	ds_bpermute_b32 v17, v16, v34
	ds_bpermute_b32 v16, v16, v35
	; wave barrier
	s_waitcnt lgkmcnt(1)
	v_add_co_u32_e64 v14, s[4:5], v14, v17
	v_addc_co_u32_e64 v15, s[4:5], 0, v15, s[4:5]
	v_add_co_u32_e64 v14, s[4:5], 0, v14
	s_waitcnt lgkmcnt(0)
	v_addc_co_u32_e64 v15, s[4:5], v15, v16, s[4:5]
	v_cmp_eq_u32_e64 s[4:5], 0, v0
	v_cndmask_b32_e64 v15, v15, v31, s[4:5]
	v_cndmask_b32_e64 v14, v14, v30, s[4:5]
	ds_write_b64 v32, v[14:15]
	; wave barrier
	ds_read_b64 v[16:17], v32 offset:8
	s_waitcnt lgkmcnt(0)
	v_add_co_u32_e64 v14, s[4:5], v16, v14
	v_addc_co_u32_e64 v15, s[4:5], v17, v15, s[4:5]
	ds_write_b64 v32, v[14:15] offset:8
.LBB4441_18:
	s_or_b64 exec, exec, s[18:19]
	v_mul_u32_u24_e32 v16, 48, v0
	v_cmp_ne_u32_e64 s[4:5], 0, v0
	v_pk_mov_b32 v[14:15], v[30:31], v[30:31] op_sel:[0,1]
	s_waitcnt lgkmcnt(0)
	s_barrier
	s_and_saveexec_b64 s[14:15], s[4:5]
	s_cbranch_execz .LBB4441_20
; %bb.19:
	v_add_u32_e32 v0, -1, v0
	v_lshrrev_b32_e32 v14, 5, v0
	v_add_lshl_u32 v0, v14, v0, 3
	ds_read_b64 v[14:15], v0
.LBB4441_20:
	s_or_b64 exec, exec, s[14:15]
	s_and_saveexec_b64 s[14:15], s[4:5]
	s_cbranch_execz .LBB4441_22
; %bb.21:
	s_waitcnt lgkmcnt(0)
	v_add_co_u32_e64 v2, s[4:5], v14, v2
	v_addc_co_u32_e64 v3, s[4:5], v15, v3, s[4:5]
	v_add_co_u32_e64 v20, s[4:5], v2, v4
	v_addc_co_u32_e64 v1, s[4:5], v3, v5, s[4:5]
	;; [unrolled: 2-line block ×7, first 2 shown]
	;;#ASMSTART
	;;#ASMEND
.LBB4441_22:
	s_or_b64 exec, exec, s[14:15]
	v_add_u32_e32 v4, v21, v16
	v_mov_b32_e32 v0, v20
	s_waitcnt lgkmcnt(0)
	s_barrier
	ds_write2_b64 v4, v[2:3], v[0:1] offset1:1
	ds_write2_b64 v4, v[18:19], v[24:25] offset0:2 offset1:3
	ds_write2_b64 v4, v[22:23], v[26:27] offset0:4 offset1:5
	ds_write_b64 v4, v[30:31] offset:48
	s_waitcnt lgkmcnt(0)
	s_barrier
	ds_read2st64_b64 v[8:11], v21 offset0:2 offset1:4
	ds_read2st64_b64 v[4:7], v21 offset0:6 offset1:8
	;; [unrolled: 1-line block ×3, first 2 shown]
	v_mov_b32_e32 v13, s17
	v_add_co_u32_e64 v12, s[4:5], s16, v21
	v_addc_co_u32_e64 v13, s[4:5], 0, v13, s[4:5]
	s_and_saveexec_b64 s[4:5], vcc
	s_cbranch_execnz .LBB4441_30
; %bb.23:
	s_or_b64 exec, exec, s[4:5]
	s_and_saveexec_b64 s[4:5], s[0:1]
	s_cbranch_execnz .LBB4441_31
.LBB4441_24:
	s_or_b64 exec, exec, s[4:5]
	s_and_saveexec_b64 s[0:1], s[2:3]
	s_cbranch_execnz .LBB4441_32
.LBB4441_25:
	s_or_b64 exec, exec, s[0:1]
	s_and_saveexec_b64 s[0:1], s[12:13]
	s_cbranch_execnz .LBB4441_33
.LBB4441_26:
	s_or_b64 exec, exec, s[0:1]
	s_and_saveexec_b64 s[0:1], s[6:7]
	s_cbranch_execnz .LBB4441_34
.LBB4441_27:
	s_or_b64 exec, exec, s[0:1]
	s_and_saveexec_b64 s[0:1], s[8:9]
	s_cbranch_execnz .LBB4441_35
.LBB4441_28:
	s_or_b64 exec, exec, s[0:1]
	s_and_saveexec_b64 s[0:1], s[10:11]
	s_cbranch_execnz .LBB4441_36
.LBB4441_29:
	s_endpgm
.LBB4441_30:
	ds_read_b64 v[14:15], v21
	s_waitcnt lgkmcnt(0)
	global_store_dwordx2 v[12:13], v[14:15], off
	s_or_b64 exec, exec, s[4:5]
	s_and_saveexec_b64 s[4:5], s[0:1]
	s_cbranch_execz .LBB4441_24
.LBB4441_31:
	s_waitcnt lgkmcnt(2)
	global_store_dwordx2 v[12:13], v[8:9], off offset:1024
	s_or_b64 exec, exec, s[4:5]
	s_and_saveexec_b64 s[0:1], s[2:3]
	s_cbranch_execz .LBB4441_25
.LBB4441_32:
	s_waitcnt lgkmcnt(2)
	global_store_dwordx2 v[12:13], v[10:11], off offset:2048
	s_or_b64 exec, exec, s[0:1]
	s_and_saveexec_b64 s[0:1], s[12:13]
	s_cbranch_execz .LBB4441_26
.LBB4441_33:
	s_waitcnt lgkmcnt(1)
	global_store_dwordx2 v[12:13], v[4:5], off offset:3072
	s_or_b64 exec, exec, s[0:1]
	s_and_saveexec_b64 s[0:1], s[6:7]
	s_cbranch_execz .LBB4441_27
.LBB4441_34:
	s_waitcnt lgkmcnt(1)
	v_add_co_u32_e32 v4, vcc, 0x1000, v12
	v_addc_co_u32_e32 v5, vcc, 0, v13, vcc
	global_store_dwordx2 v[4:5], v[6:7], off
	s_or_b64 exec, exec, s[0:1]
	s_and_saveexec_b64 s[0:1], s[8:9]
	s_cbranch_execz .LBB4441_28
.LBB4441_35:
	s_waitcnt lgkmcnt(1)
	v_add_co_u32_e32 v4, vcc, 0x1000, v12
	v_addc_co_u32_e32 v5, vcc, 0, v13, vcc
	s_waitcnt lgkmcnt(0)
	global_store_dwordx2 v[4:5], v[0:1], off offset:1024
	s_or_b64 exec, exec, s[0:1]
	s_and_saveexec_b64 s[0:1], s[10:11]
	s_cbranch_execz .LBB4441_29
.LBB4441_36:
	s_waitcnt lgkmcnt(0)
	v_add_co_u32_e32 v0, vcc, 0x1000, v12
	v_addc_co_u32_e32 v1, vcc, 0, v13, vcc
	global_store_dwordx2 v[0:1], v[2:3], off offset:2048
	s_endpgm
	.section	.rodata,"a",@progbits
	.p2align	6, 0x0
	.amdhsa_kernel _ZN7rocprim17ROCPRIM_400000_NS6detail17trampoline_kernelINS0_14default_configENS1_20scan_config_selectorIyEEZZNS1_9scan_implILNS1_25lookback_scan_determinismE0ELb0ELb0ES3_N6thrust23THRUST_200600_302600_NS6detail15normal_iteratorINS9_10device_ptrIyEEEESE_yNS9_4plusIvEEyEEDaPvRmT3_T4_T5_mT6_P12ihipStream_tbENKUlT_T0_E_clISt17integral_constantIbLb0EESU_EEDaSP_SQ_EUlSP_E0_NS1_11comp_targetILNS1_3genE4ELNS1_11target_archE910ELNS1_3gpuE8ELNS1_3repE0EEENS1_30default_config_static_selectorELNS0_4arch9wavefront6targetE1EEEvT1_
		.amdhsa_group_segment_fixed_size 7168
		.amdhsa_private_segment_fixed_size 0
		.amdhsa_kernarg_size 40
		.amdhsa_user_sgpr_count 6
		.amdhsa_user_sgpr_private_segment_buffer 1
		.amdhsa_user_sgpr_dispatch_ptr 0
		.amdhsa_user_sgpr_queue_ptr 0
		.amdhsa_user_sgpr_kernarg_segment_ptr 1
		.amdhsa_user_sgpr_dispatch_id 0
		.amdhsa_user_sgpr_flat_scratch_init 0
		.amdhsa_user_sgpr_kernarg_preload_length 0
		.amdhsa_user_sgpr_kernarg_preload_offset 0
		.amdhsa_user_sgpr_private_segment_size 0
		.amdhsa_uses_dynamic_stack 0
		.amdhsa_system_sgpr_private_segment_wavefront_offset 0
		.amdhsa_system_sgpr_workgroup_id_x 1
		.amdhsa_system_sgpr_workgroup_id_y 0
		.amdhsa_system_sgpr_workgroup_id_z 0
		.amdhsa_system_sgpr_workgroup_info 0
		.amdhsa_system_vgpr_workitem_id 0
		.amdhsa_next_free_vgpr 41
		.amdhsa_next_free_sgpr 22
		.amdhsa_accum_offset 44
		.amdhsa_reserve_vcc 1
		.amdhsa_reserve_flat_scratch 0
		.amdhsa_float_round_mode_32 0
		.amdhsa_float_round_mode_16_64 0
		.amdhsa_float_denorm_mode_32 3
		.amdhsa_float_denorm_mode_16_64 3
		.amdhsa_dx10_clamp 1
		.amdhsa_ieee_mode 1
		.amdhsa_fp16_overflow 0
		.amdhsa_tg_split 0
		.amdhsa_exception_fp_ieee_invalid_op 0
		.amdhsa_exception_fp_denorm_src 0
		.amdhsa_exception_fp_ieee_div_zero 0
		.amdhsa_exception_fp_ieee_overflow 0
		.amdhsa_exception_fp_ieee_underflow 0
		.amdhsa_exception_fp_ieee_inexact 0
		.amdhsa_exception_int_div_zero 0
	.end_amdhsa_kernel
	.section	.text._ZN7rocprim17ROCPRIM_400000_NS6detail17trampoline_kernelINS0_14default_configENS1_20scan_config_selectorIyEEZZNS1_9scan_implILNS1_25lookback_scan_determinismE0ELb0ELb0ES3_N6thrust23THRUST_200600_302600_NS6detail15normal_iteratorINS9_10device_ptrIyEEEESE_yNS9_4plusIvEEyEEDaPvRmT3_T4_T5_mT6_P12ihipStream_tbENKUlT_T0_E_clISt17integral_constantIbLb0EESU_EEDaSP_SQ_EUlSP_E0_NS1_11comp_targetILNS1_3genE4ELNS1_11target_archE910ELNS1_3gpuE8ELNS1_3repE0EEENS1_30default_config_static_selectorELNS0_4arch9wavefront6targetE1EEEvT1_,"axG",@progbits,_ZN7rocprim17ROCPRIM_400000_NS6detail17trampoline_kernelINS0_14default_configENS1_20scan_config_selectorIyEEZZNS1_9scan_implILNS1_25lookback_scan_determinismE0ELb0ELb0ES3_N6thrust23THRUST_200600_302600_NS6detail15normal_iteratorINS9_10device_ptrIyEEEESE_yNS9_4plusIvEEyEEDaPvRmT3_T4_T5_mT6_P12ihipStream_tbENKUlT_T0_E_clISt17integral_constantIbLb0EESU_EEDaSP_SQ_EUlSP_E0_NS1_11comp_targetILNS1_3genE4ELNS1_11target_archE910ELNS1_3gpuE8ELNS1_3repE0EEENS1_30default_config_static_selectorELNS0_4arch9wavefront6targetE1EEEvT1_,comdat
.Lfunc_end4441:
	.size	_ZN7rocprim17ROCPRIM_400000_NS6detail17trampoline_kernelINS0_14default_configENS1_20scan_config_selectorIyEEZZNS1_9scan_implILNS1_25lookback_scan_determinismE0ELb0ELb0ES3_N6thrust23THRUST_200600_302600_NS6detail15normal_iteratorINS9_10device_ptrIyEEEESE_yNS9_4plusIvEEyEEDaPvRmT3_T4_T5_mT6_P12ihipStream_tbENKUlT_T0_E_clISt17integral_constantIbLb0EESU_EEDaSP_SQ_EUlSP_E0_NS1_11comp_targetILNS1_3genE4ELNS1_11target_archE910ELNS1_3gpuE8ELNS1_3repE0EEENS1_30default_config_static_selectorELNS0_4arch9wavefront6targetE1EEEvT1_, .Lfunc_end4441-_ZN7rocprim17ROCPRIM_400000_NS6detail17trampoline_kernelINS0_14default_configENS1_20scan_config_selectorIyEEZZNS1_9scan_implILNS1_25lookback_scan_determinismE0ELb0ELb0ES3_N6thrust23THRUST_200600_302600_NS6detail15normal_iteratorINS9_10device_ptrIyEEEESE_yNS9_4plusIvEEyEEDaPvRmT3_T4_T5_mT6_P12ihipStream_tbENKUlT_T0_E_clISt17integral_constantIbLb0EESU_EEDaSP_SQ_EUlSP_E0_NS1_11comp_targetILNS1_3genE4ELNS1_11target_archE910ELNS1_3gpuE8ELNS1_3repE0EEENS1_30default_config_static_selectorELNS0_4arch9wavefront6targetE1EEEvT1_
                                        ; -- End function
	.section	.AMDGPU.csdata,"",@progbits
; Kernel info:
; codeLenInByte = 1804
; NumSgprs: 26
; NumVgprs: 41
; NumAgprs: 0
; TotalNumVgprs: 41
; ScratchSize: 0
; MemoryBound: 0
; FloatMode: 240
; IeeeMode: 1
; LDSByteSize: 7168 bytes/workgroup (compile time only)
; SGPRBlocks: 3
; VGPRBlocks: 5
; NumSGPRsForWavesPerEU: 26
; NumVGPRsForWavesPerEU: 41
; AccumOffset: 44
; Occupancy: 5
; WaveLimiterHint : 0
; COMPUTE_PGM_RSRC2:SCRATCH_EN: 0
; COMPUTE_PGM_RSRC2:USER_SGPR: 6
; COMPUTE_PGM_RSRC2:TRAP_HANDLER: 0
; COMPUTE_PGM_RSRC2:TGID_X_EN: 1
; COMPUTE_PGM_RSRC2:TGID_Y_EN: 0
; COMPUTE_PGM_RSRC2:TGID_Z_EN: 0
; COMPUTE_PGM_RSRC2:TIDIG_COMP_CNT: 0
; COMPUTE_PGM_RSRC3_GFX90A:ACCUM_OFFSET: 10
; COMPUTE_PGM_RSRC3_GFX90A:TG_SPLIT: 0
	.section	.text._ZN7rocprim17ROCPRIM_400000_NS6detail17trampoline_kernelINS0_14default_configENS1_20scan_config_selectorIyEEZZNS1_9scan_implILNS1_25lookback_scan_determinismE0ELb0ELb0ES3_N6thrust23THRUST_200600_302600_NS6detail15normal_iteratorINS9_10device_ptrIyEEEESE_yNS9_4plusIvEEyEEDaPvRmT3_T4_T5_mT6_P12ihipStream_tbENKUlT_T0_E_clISt17integral_constantIbLb0EESU_EEDaSP_SQ_EUlSP_E0_NS1_11comp_targetILNS1_3genE3ELNS1_11target_archE908ELNS1_3gpuE7ELNS1_3repE0EEENS1_30default_config_static_selectorELNS0_4arch9wavefront6targetE1EEEvT1_,"axG",@progbits,_ZN7rocprim17ROCPRIM_400000_NS6detail17trampoline_kernelINS0_14default_configENS1_20scan_config_selectorIyEEZZNS1_9scan_implILNS1_25lookback_scan_determinismE0ELb0ELb0ES3_N6thrust23THRUST_200600_302600_NS6detail15normal_iteratorINS9_10device_ptrIyEEEESE_yNS9_4plusIvEEyEEDaPvRmT3_T4_T5_mT6_P12ihipStream_tbENKUlT_T0_E_clISt17integral_constantIbLb0EESU_EEDaSP_SQ_EUlSP_E0_NS1_11comp_targetILNS1_3genE3ELNS1_11target_archE908ELNS1_3gpuE7ELNS1_3repE0EEENS1_30default_config_static_selectorELNS0_4arch9wavefront6targetE1EEEvT1_,comdat
	.protected	_ZN7rocprim17ROCPRIM_400000_NS6detail17trampoline_kernelINS0_14default_configENS1_20scan_config_selectorIyEEZZNS1_9scan_implILNS1_25lookback_scan_determinismE0ELb0ELb0ES3_N6thrust23THRUST_200600_302600_NS6detail15normal_iteratorINS9_10device_ptrIyEEEESE_yNS9_4plusIvEEyEEDaPvRmT3_T4_T5_mT6_P12ihipStream_tbENKUlT_T0_E_clISt17integral_constantIbLb0EESU_EEDaSP_SQ_EUlSP_E0_NS1_11comp_targetILNS1_3genE3ELNS1_11target_archE908ELNS1_3gpuE7ELNS1_3repE0EEENS1_30default_config_static_selectorELNS0_4arch9wavefront6targetE1EEEvT1_ ; -- Begin function _ZN7rocprim17ROCPRIM_400000_NS6detail17trampoline_kernelINS0_14default_configENS1_20scan_config_selectorIyEEZZNS1_9scan_implILNS1_25lookback_scan_determinismE0ELb0ELb0ES3_N6thrust23THRUST_200600_302600_NS6detail15normal_iteratorINS9_10device_ptrIyEEEESE_yNS9_4plusIvEEyEEDaPvRmT3_T4_T5_mT6_P12ihipStream_tbENKUlT_T0_E_clISt17integral_constantIbLb0EESU_EEDaSP_SQ_EUlSP_E0_NS1_11comp_targetILNS1_3genE3ELNS1_11target_archE908ELNS1_3gpuE7ELNS1_3repE0EEENS1_30default_config_static_selectorELNS0_4arch9wavefront6targetE1EEEvT1_
	.globl	_ZN7rocprim17ROCPRIM_400000_NS6detail17trampoline_kernelINS0_14default_configENS1_20scan_config_selectorIyEEZZNS1_9scan_implILNS1_25lookback_scan_determinismE0ELb0ELb0ES3_N6thrust23THRUST_200600_302600_NS6detail15normal_iteratorINS9_10device_ptrIyEEEESE_yNS9_4plusIvEEyEEDaPvRmT3_T4_T5_mT6_P12ihipStream_tbENKUlT_T0_E_clISt17integral_constantIbLb0EESU_EEDaSP_SQ_EUlSP_E0_NS1_11comp_targetILNS1_3genE3ELNS1_11target_archE908ELNS1_3gpuE7ELNS1_3repE0EEENS1_30default_config_static_selectorELNS0_4arch9wavefront6targetE1EEEvT1_
	.p2align	8
	.type	_ZN7rocprim17ROCPRIM_400000_NS6detail17trampoline_kernelINS0_14default_configENS1_20scan_config_selectorIyEEZZNS1_9scan_implILNS1_25lookback_scan_determinismE0ELb0ELb0ES3_N6thrust23THRUST_200600_302600_NS6detail15normal_iteratorINS9_10device_ptrIyEEEESE_yNS9_4plusIvEEyEEDaPvRmT3_T4_T5_mT6_P12ihipStream_tbENKUlT_T0_E_clISt17integral_constantIbLb0EESU_EEDaSP_SQ_EUlSP_E0_NS1_11comp_targetILNS1_3genE3ELNS1_11target_archE908ELNS1_3gpuE7ELNS1_3repE0EEENS1_30default_config_static_selectorELNS0_4arch9wavefront6targetE1EEEvT1_,@function
_ZN7rocprim17ROCPRIM_400000_NS6detail17trampoline_kernelINS0_14default_configENS1_20scan_config_selectorIyEEZZNS1_9scan_implILNS1_25lookback_scan_determinismE0ELb0ELb0ES3_N6thrust23THRUST_200600_302600_NS6detail15normal_iteratorINS9_10device_ptrIyEEEESE_yNS9_4plusIvEEyEEDaPvRmT3_T4_T5_mT6_P12ihipStream_tbENKUlT_T0_E_clISt17integral_constantIbLb0EESU_EEDaSP_SQ_EUlSP_E0_NS1_11comp_targetILNS1_3genE3ELNS1_11target_archE908ELNS1_3gpuE7ELNS1_3repE0EEENS1_30default_config_static_selectorELNS0_4arch9wavefront6targetE1EEEvT1_: ; @_ZN7rocprim17ROCPRIM_400000_NS6detail17trampoline_kernelINS0_14default_configENS1_20scan_config_selectorIyEEZZNS1_9scan_implILNS1_25lookback_scan_determinismE0ELb0ELb0ES3_N6thrust23THRUST_200600_302600_NS6detail15normal_iteratorINS9_10device_ptrIyEEEESE_yNS9_4plusIvEEyEEDaPvRmT3_T4_T5_mT6_P12ihipStream_tbENKUlT_T0_E_clISt17integral_constantIbLb0EESU_EEDaSP_SQ_EUlSP_E0_NS1_11comp_targetILNS1_3genE3ELNS1_11target_archE908ELNS1_3gpuE7ELNS1_3repE0EEENS1_30default_config_static_selectorELNS0_4arch9wavefront6targetE1EEEvT1_
; %bb.0:
	.section	.rodata,"a",@progbits
	.p2align	6, 0x0
	.amdhsa_kernel _ZN7rocprim17ROCPRIM_400000_NS6detail17trampoline_kernelINS0_14default_configENS1_20scan_config_selectorIyEEZZNS1_9scan_implILNS1_25lookback_scan_determinismE0ELb0ELb0ES3_N6thrust23THRUST_200600_302600_NS6detail15normal_iteratorINS9_10device_ptrIyEEEESE_yNS9_4plusIvEEyEEDaPvRmT3_T4_T5_mT6_P12ihipStream_tbENKUlT_T0_E_clISt17integral_constantIbLb0EESU_EEDaSP_SQ_EUlSP_E0_NS1_11comp_targetILNS1_3genE3ELNS1_11target_archE908ELNS1_3gpuE7ELNS1_3repE0EEENS1_30default_config_static_selectorELNS0_4arch9wavefront6targetE1EEEvT1_
		.amdhsa_group_segment_fixed_size 0
		.amdhsa_private_segment_fixed_size 0
		.amdhsa_kernarg_size 40
		.amdhsa_user_sgpr_count 6
		.amdhsa_user_sgpr_private_segment_buffer 1
		.amdhsa_user_sgpr_dispatch_ptr 0
		.amdhsa_user_sgpr_queue_ptr 0
		.amdhsa_user_sgpr_kernarg_segment_ptr 1
		.amdhsa_user_sgpr_dispatch_id 0
		.amdhsa_user_sgpr_flat_scratch_init 0
		.amdhsa_user_sgpr_kernarg_preload_length 0
		.amdhsa_user_sgpr_kernarg_preload_offset 0
		.amdhsa_user_sgpr_private_segment_size 0
		.amdhsa_uses_dynamic_stack 0
		.amdhsa_system_sgpr_private_segment_wavefront_offset 0
		.amdhsa_system_sgpr_workgroup_id_x 1
		.amdhsa_system_sgpr_workgroup_id_y 0
		.amdhsa_system_sgpr_workgroup_id_z 0
		.amdhsa_system_sgpr_workgroup_info 0
		.amdhsa_system_vgpr_workitem_id 0
		.amdhsa_next_free_vgpr 1
		.amdhsa_next_free_sgpr 0
		.amdhsa_accum_offset 4
		.amdhsa_reserve_vcc 0
		.amdhsa_reserve_flat_scratch 0
		.amdhsa_float_round_mode_32 0
		.amdhsa_float_round_mode_16_64 0
		.amdhsa_float_denorm_mode_32 3
		.amdhsa_float_denorm_mode_16_64 3
		.amdhsa_dx10_clamp 1
		.amdhsa_ieee_mode 1
		.amdhsa_fp16_overflow 0
		.amdhsa_tg_split 0
		.amdhsa_exception_fp_ieee_invalid_op 0
		.amdhsa_exception_fp_denorm_src 0
		.amdhsa_exception_fp_ieee_div_zero 0
		.amdhsa_exception_fp_ieee_overflow 0
		.amdhsa_exception_fp_ieee_underflow 0
		.amdhsa_exception_fp_ieee_inexact 0
		.amdhsa_exception_int_div_zero 0
	.end_amdhsa_kernel
	.section	.text._ZN7rocprim17ROCPRIM_400000_NS6detail17trampoline_kernelINS0_14default_configENS1_20scan_config_selectorIyEEZZNS1_9scan_implILNS1_25lookback_scan_determinismE0ELb0ELb0ES3_N6thrust23THRUST_200600_302600_NS6detail15normal_iteratorINS9_10device_ptrIyEEEESE_yNS9_4plusIvEEyEEDaPvRmT3_T4_T5_mT6_P12ihipStream_tbENKUlT_T0_E_clISt17integral_constantIbLb0EESU_EEDaSP_SQ_EUlSP_E0_NS1_11comp_targetILNS1_3genE3ELNS1_11target_archE908ELNS1_3gpuE7ELNS1_3repE0EEENS1_30default_config_static_selectorELNS0_4arch9wavefront6targetE1EEEvT1_,"axG",@progbits,_ZN7rocprim17ROCPRIM_400000_NS6detail17trampoline_kernelINS0_14default_configENS1_20scan_config_selectorIyEEZZNS1_9scan_implILNS1_25lookback_scan_determinismE0ELb0ELb0ES3_N6thrust23THRUST_200600_302600_NS6detail15normal_iteratorINS9_10device_ptrIyEEEESE_yNS9_4plusIvEEyEEDaPvRmT3_T4_T5_mT6_P12ihipStream_tbENKUlT_T0_E_clISt17integral_constantIbLb0EESU_EEDaSP_SQ_EUlSP_E0_NS1_11comp_targetILNS1_3genE3ELNS1_11target_archE908ELNS1_3gpuE7ELNS1_3repE0EEENS1_30default_config_static_selectorELNS0_4arch9wavefront6targetE1EEEvT1_,comdat
.Lfunc_end4442:
	.size	_ZN7rocprim17ROCPRIM_400000_NS6detail17trampoline_kernelINS0_14default_configENS1_20scan_config_selectorIyEEZZNS1_9scan_implILNS1_25lookback_scan_determinismE0ELb0ELb0ES3_N6thrust23THRUST_200600_302600_NS6detail15normal_iteratorINS9_10device_ptrIyEEEESE_yNS9_4plusIvEEyEEDaPvRmT3_T4_T5_mT6_P12ihipStream_tbENKUlT_T0_E_clISt17integral_constantIbLb0EESU_EEDaSP_SQ_EUlSP_E0_NS1_11comp_targetILNS1_3genE3ELNS1_11target_archE908ELNS1_3gpuE7ELNS1_3repE0EEENS1_30default_config_static_selectorELNS0_4arch9wavefront6targetE1EEEvT1_, .Lfunc_end4442-_ZN7rocprim17ROCPRIM_400000_NS6detail17trampoline_kernelINS0_14default_configENS1_20scan_config_selectorIyEEZZNS1_9scan_implILNS1_25lookback_scan_determinismE0ELb0ELb0ES3_N6thrust23THRUST_200600_302600_NS6detail15normal_iteratorINS9_10device_ptrIyEEEESE_yNS9_4plusIvEEyEEDaPvRmT3_T4_T5_mT6_P12ihipStream_tbENKUlT_T0_E_clISt17integral_constantIbLb0EESU_EEDaSP_SQ_EUlSP_E0_NS1_11comp_targetILNS1_3genE3ELNS1_11target_archE908ELNS1_3gpuE7ELNS1_3repE0EEENS1_30default_config_static_selectorELNS0_4arch9wavefront6targetE1EEEvT1_
                                        ; -- End function
	.section	.AMDGPU.csdata,"",@progbits
; Kernel info:
; codeLenInByte = 0
; NumSgprs: 4
; NumVgprs: 0
; NumAgprs: 0
; TotalNumVgprs: 0
; ScratchSize: 0
; MemoryBound: 0
; FloatMode: 240
; IeeeMode: 1
; LDSByteSize: 0 bytes/workgroup (compile time only)
; SGPRBlocks: 0
; VGPRBlocks: 0
; NumSGPRsForWavesPerEU: 4
; NumVGPRsForWavesPerEU: 1
; AccumOffset: 4
; Occupancy: 8
; WaveLimiterHint : 0
; COMPUTE_PGM_RSRC2:SCRATCH_EN: 0
; COMPUTE_PGM_RSRC2:USER_SGPR: 6
; COMPUTE_PGM_RSRC2:TRAP_HANDLER: 0
; COMPUTE_PGM_RSRC2:TGID_X_EN: 1
; COMPUTE_PGM_RSRC2:TGID_Y_EN: 0
; COMPUTE_PGM_RSRC2:TGID_Z_EN: 0
; COMPUTE_PGM_RSRC2:TIDIG_COMP_CNT: 0
; COMPUTE_PGM_RSRC3_GFX90A:ACCUM_OFFSET: 0
; COMPUTE_PGM_RSRC3_GFX90A:TG_SPLIT: 0
	.section	.text._ZN7rocprim17ROCPRIM_400000_NS6detail17trampoline_kernelINS0_14default_configENS1_20scan_config_selectorIyEEZZNS1_9scan_implILNS1_25lookback_scan_determinismE0ELb0ELb0ES3_N6thrust23THRUST_200600_302600_NS6detail15normal_iteratorINS9_10device_ptrIyEEEESE_yNS9_4plusIvEEyEEDaPvRmT3_T4_T5_mT6_P12ihipStream_tbENKUlT_T0_E_clISt17integral_constantIbLb0EESU_EEDaSP_SQ_EUlSP_E0_NS1_11comp_targetILNS1_3genE2ELNS1_11target_archE906ELNS1_3gpuE6ELNS1_3repE0EEENS1_30default_config_static_selectorELNS0_4arch9wavefront6targetE1EEEvT1_,"axG",@progbits,_ZN7rocprim17ROCPRIM_400000_NS6detail17trampoline_kernelINS0_14default_configENS1_20scan_config_selectorIyEEZZNS1_9scan_implILNS1_25lookback_scan_determinismE0ELb0ELb0ES3_N6thrust23THRUST_200600_302600_NS6detail15normal_iteratorINS9_10device_ptrIyEEEESE_yNS9_4plusIvEEyEEDaPvRmT3_T4_T5_mT6_P12ihipStream_tbENKUlT_T0_E_clISt17integral_constantIbLb0EESU_EEDaSP_SQ_EUlSP_E0_NS1_11comp_targetILNS1_3genE2ELNS1_11target_archE906ELNS1_3gpuE6ELNS1_3repE0EEENS1_30default_config_static_selectorELNS0_4arch9wavefront6targetE1EEEvT1_,comdat
	.protected	_ZN7rocprim17ROCPRIM_400000_NS6detail17trampoline_kernelINS0_14default_configENS1_20scan_config_selectorIyEEZZNS1_9scan_implILNS1_25lookback_scan_determinismE0ELb0ELb0ES3_N6thrust23THRUST_200600_302600_NS6detail15normal_iteratorINS9_10device_ptrIyEEEESE_yNS9_4plusIvEEyEEDaPvRmT3_T4_T5_mT6_P12ihipStream_tbENKUlT_T0_E_clISt17integral_constantIbLb0EESU_EEDaSP_SQ_EUlSP_E0_NS1_11comp_targetILNS1_3genE2ELNS1_11target_archE906ELNS1_3gpuE6ELNS1_3repE0EEENS1_30default_config_static_selectorELNS0_4arch9wavefront6targetE1EEEvT1_ ; -- Begin function _ZN7rocprim17ROCPRIM_400000_NS6detail17trampoline_kernelINS0_14default_configENS1_20scan_config_selectorIyEEZZNS1_9scan_implILNS1_25lookback_scan_determinismE0ELb0ELb0ES3_N6thrust23THRUST_200600_302600_NS6detail15normal_iteratorINS9_10device_ptrIyEEEESE_yNS9_4plusIvEEyEEDaPvRmT3_T4_T5_mT6_P12ihipStream_tbENKUlT_T0_E_clISt17integral_constantIbLb0EESU_EEDaSP_SQ_EUlSP_E0_NS1_11comp_targetILNS1_3genE2ELNS1_11target_archE906ELNS1_3gpuE6ELNS1_3repE0EEENS1_30default_config_static_selectorELNS0_4arch9wavefront6targetE1EEEvT1_
	.globl	_ZN7rocprim17ROCPRIM_400000_NS6detail17trampoline_kernelINS0_14default_configENS1_20scan_config_selectorIyEEZZNS1_9scan_implILNS1_25lookback_scan_determinismE0ELb0ELb0ES3_N6thrust23THRUST_200600_302600_NS6detail15normal_iteratorINS9_10device_ptrIyEEEESE_yNS9_4plusIvEEyEEDaPvRmT3_T4_T5_mT6_P12ihipStream_tbENKUlT_T0_E_clISt17integral_constantIbLb0EESU_EEDaSP_SQ_EUlSP_E0_NS1_11comp_targetILNS1_3genE2ELNS1_11target_archE906ELNS1_3gpuE6ELNS1_3repE0EEENS1_30default_config_static_selectorELNS0_4arch9wavefront6targetE1EEEvT1_
	.p2align	8
	.type	_ZN7rocprim17ROCPRIM_400000_NS6detail17trampoline_kernelINS0_14default_configENS1_20scan_config_selectorIyEEZZNS1_9scan_implILNS1_25lookback_scan_determinismE0ELb0ELb0ES3_N6thrust23THRUST_200600_302600_NS6detail15normal_iteratorINS9_10device_ptrIyEEEESE_yNS9_4plusIvEEyEEDaPvRmT3_T4_T5_mT6_P12ihipStream_tbENKUlT_T0_E_clISt17integral_constantIbLb0EESU_EEDaSP_SQ_EUlSP_E0_NS1_11comp_targetILNS1_3genE2ELNS1_11target_archE906ELNS1_3gpuE6ELNS1_3repE0EEENS1_30default_config_static_selectorELNS0_4arch9wavefront6targetE1EEEvT1_,@function
_ZN7rocprim17ROCPRIM_400000_NS6detail17trampoline_kernelINS0_14default_configENS1_20scan_config_selectorIyEEZZNS1_9scan_implILNS1_25lookback_scan_determinismE0ELb0ELb0ES3_N6thrust23THRUST_200600_302600_NS6detail15normal_iteratorINS9_10device_ptrIyEEEESE_yNS9_4plusIvEEyEEDaPvRmT3_T4_T5_mT6_P12ihipStream_tbENKUlT_T0_E_clISt17integral_constantIbLb0EESU_EEDaSP_SQ_EUlSP_E0_NS1_11comp_targetILNS1_3genE2ELNS1_11target_archE906ELNS1_3gpuE6ELNS1_3repE0EEENS1_30default_config_static_selectorELNS0_4arch9wavefront6targetE1EEEvT1_: ; @_ZN7rocprim17ROCPRIM_400000_NS6detail17trampoline_kernelINS0_14default_configENS1_20scan_config_selectorIyEEZZNS1_9scan_implILNS1_25lookback_scan_determinismE0ELb0ELb0ES3_N6thrust23THRUST_200600_302600_NS6detail15normal_iteratorINS9_10device_ptrIyEEEESE_yNS9_4plusIvEEyEEDaPvRmT3_T4_T5_mT6_P12ihipStream_tbENKUlT_T0_E_clISt17integral_constantIbLb0EESU_EEDaSP_SQ_EUlSP_E0_NS1_11comp_targetILNS1_3genE2ELNS1_11target_archE906ELNS1_3gpuE6ELNS1_3repE0EEENS1_30default_config_static_selectorELNS0_4arch9wavefront6targetE1EEEvT1_
; %bb.0:
	.section	.rodata,"a",@progbits
	.p2align	6, 0x0
	.amdhsa_kernel _ZN7rocprim17ROCPRIM_400000_NS6detail17trampoline_kernelINS0_14default_configENS1_20scan_config_selectorIyEEZZNS1_9scan_implILNS1_25lookback_scan_determinismE0ELb0ELb0ES3_N6thrust23THRUST_200600_302600_NS6detail15normal_iteratorINS9_10device_ptrIyEEEESE_yNS9_4plusIvEEyEEDaPvRmT3_T4_T5_mT6_P12ihipStream_tbENKUlT_T0_E_clISt17integral_constantIbLb0EESU_EEDaSP_SQ_EUlSP_E0_NS1_11comp_targetILNS1_3genE2ELNS1_11target_archE906ELNS1_3gpuE6ELNS1_3repE0EEENS1_30default_config_static_selectorELNS0_4arch9wavefront6targetE1EEEvT1_
		.amdhsa_group_segment_fixed_size 0
		.amdhsa_private_segment_fixed_size 0
		.amdhsa_kernarg_size 40
		.amdhsa_user_sgpr_count 6
		.amdhsa_user_sgpr_private_segment_buffer 1
		.amdhsa_user_sgpr_dispatch_ptr 0
		.amdhsa_user_sgpr_queue_ptr 0
		.amdhsa_user_sgpr_kernarg_segment_ptr 1
		.amdhsa_user_sgpr_dispatch_id 0
		.amdhsa_user_sgpr_flat_scratch_init 0
		.amdhsa_user_sgpr_kernarg_preload_length 0
		.amdhsa_user_sgpr_kernarg_preload_offset 0
		.amdhsa_user_sgpr_private_segment_size 0
		.amdhsa_uses_dynamic_stack 0
		.amdhsa_system_sgpr_private_segment_wavefront_offset 0
		.amdhsa_system_sgpr_workgroup_id_x 1
		.amdhsa_system_sgpr_workgroup_id_y 0
		.amdhsa_system_sgpr_workgroup_id_z 0
		.amdhsa_system_sgpr_workgroup_info 0
		.amdhsa_system_vgpr_workitem_id 0
		.amdhsa_next_free_vgpr 1
		.amdhsa_next_free_sgpr 0
		.amdhsa_accum_offset 4
		.amdhsa_reserve_vcc 0
		.amdhsa_reserve_flat_scratch 0
		.amdhsa_float_round_mode_32 0
		.amdhsa_float_round_mode_16_64 0
		.amdhsa_float_denorm_mode_32 3
		.amdhsa_float_denorm_mode_16_64 3
		.amdhsa_dx10_clamp 1
		.amdhsa_ieee_mode 1
		.amdhsa_fp16_overflow 0
		.amdhsa_tg_split 0
		.amdhsa_exception_fp_ieee_invalid_op 0
		.amdhsa_exception_fp_denorm_src 0
		.amdhsa_exception_fp_ieee_div_zero 0
		.amdhsa_exception_fp_ieee_overflow 0
		.amdhsa_exception_fp_ieee_underflow 0
		.amdhsa_exception_fp_ieee_inexact 0
		.amdhsa_exception_int_div_zero 0
	.end_amdhsa_kernel
	.section	.text._ZN7rocprim17ROCPRIM_400000_NS6detail17trampoline_kernelINS0_14default_configENS1_20scan_config_selectorIyEEZZNS1_9scan_implILNS1_25lookback_scan_determinismE0ELb0ELb0ES3_N6thrust23THRUST_200600_302600_NS6detail15normal_iteratorINS9_10device_ptrIyEEEESE_yNS9_4plusIvEEyEEDaPvRmT3_T4_T5_mT6_P12ihipStream_tbENKUlT_T0_E_clISt17integral_constantIbLb0EESU_EEDaSP_SQ_EUlSP_E0_NS1_11comp_targetILNS1_3genE2ELNS1_11target_archE906ELNS1_3gpuE6ELNS1_3repE0EEENS1_30default_config_static_selectorELNS0_4arch9wavefront6targetE1EEEvT1_,"axG",@progbits,_ZN7rocprim17ROCPRIM_400000_NS6detail17trampoline_kernelINS0_14default_configENS1_20scan_config_selectorIyEEZZNS1_9scan_implILNS1_25lookback_scan_determinismE0ELb0ELb0ES3_N6thrust23THRUST_200600_302600_NS6detail15normal_iteratorINS9_10device_ptrIyEEEESE_yNS9_4plusIvEEyEEDaPvRmT3_T4_T5_mT6_P12ihipStream_tbENKUlT_T0_E_clISt17integral_constantIbLb0EESU_EEDaSP_SQ_EUlSP_E0_NS1_11comp_targetILNS1_3genE2ELNS1_11target_archE906ELNS1_3gpuE6ELNS1_3repE0EEENS1_30default_config_static_selectorELNS0_4arch9wavefront6targetE1EEEvT1_,comdat
.Lfunc_end4443:
	.size	_ZN7rocprim17ROCPRIM_400000_NS6detail17trampoline_kernelINS0_14default_configENS1_20scan_config_selectorIyEEZZNS1_9scan_implILNS1_25lookback_scan_determinismE0ELb0ELb0ES3_N6thrust23THRUST_200600_302600_NS6detail15normal_iteratorINS9_10device_ptrIyEEEESE_yNS9_4plusIvEEyEEDaPvRmT3_T4_T5_mT6_P12ihipStream_tbENKUlT_T0_E_clISt17integral_constantIbLb0EESU_EEDaSP_SQ_EUlSP_E0_NS1_11comp_targetILNS1_3genE2ELNS1_11target_archE906ELNS1_3gpuE6ELNS1_3repE0EEENS1_30default_config_static_selectorELNS0_4arch9wavefront6targetE1EEEvT1_, .Lfunc_end4443-_ZN7rocprim17ROCPRIM_400000_NS6detail17trampoline_kernelINS0_14default_configENS1_20scan_config_selectorIyEEZZNS1_9scan_implILNS1_25lookback_scan_determinismE0ELb0ELb0ES3_N6thrust23THRUST_200600_302600_NS6detail15normal_iteratorINS9_10device_ptrIyEEEESE_yNS9_4plusIvEEyEEDaPvRmT3_T4_T5_mT6_P12ihipStream_tbENKUlT_T0_E_clISt17integral_constantIbLb0EESU_EEDaSP_SQ_EUlSP_E0_NS1_11comp_targetILNS1_3genE2ELNS1_11target_archE906ELNS1_3gpuE6ELNS1_3repE0EEENS1_30default_config_static_selectorELNS0_4arch9wavefront6targetE1EEEvT1_
                                        ; -- End function
	.section	.AMDGPU.csdata,"",@progbits
; Kernel info:
; codeLenInByte = 0
; NumSgprs: 4
; NumVgprs: 0
; NumAgprs: 0
; TotalNumVgprs: 0
; ScratchSize: 0
; MemoryBound: 0
; FloatMode: 240
; IeeeMode: 1
; LDSByteSize: 0 bytes/workgroup (compile time only)
; SGPRBlocks: 0
; VGPRBlocks: 0
; NumSGPRsForWavesPerEU: 4
; NumVGPRsForWavesPerEU: 1
; AccumOffset: 4
; Occupancy: 8
; WaveLimiterHint : 0
; COMPUTE_PGM_RSRC2:SCRATCH_EN: 0
; COMPUTE_PGM_RSRC2:USER_SGPR: 6
; COMPUTE_PGM_RSRC2:TRAP_HANDLER: 0
; COMPUTE_PGM_RSRC2:TGID_X_EN: 1
; COMPUTE_PGM_RSRC2:TGID_Y_EN: 0
; COMPUTE_PGM_RSRC2:TGID_Z_EN: 0
; COMPUTE_PGM_RSRC2:TIDIG_COMP_CNT: 0
; COMPUTE_PGM_RSRC3_GFX90A:ACCUM_OFFSET: 0
; COMPUTE_PGM_RSRC3_GFX90A:TG_SPLIT: 0
	.section	.text._ZN7rocprim17ROCPRIM_400000_NS6detail17trampoline_kernelINS0_14default_configENS1_20scan_config_selectorIyEEZZNS1_9scan_implILNS1_25lookback_scan_determinismE0ELb0ELb0ES3_N6thrust23THRUST_200600_302600_NS6detail15normal_iteratorINS9_10device_ptrIyEEEESE_yNS9_4plusIvEEyEEDaPvRmT3_T4_T5_mT6_P12ihipStream_tbENKUlT_T0_E_clISt17integral_constantIbLb0EESU_EEDaSP_SQ_EUlSP_E0_NS1_11comp_targetILNS1_3genE10ELNS1_11target_archE1201ELNS1_3gpuE5ELNS1_3repE0EEENS1_30default_config_static_selectorELNS0_4arch9wavefront6targetE1EEEvT1_,"axG",@progbits,_ZN7rocprim17ROCPRIM_400000_NS6detail17trampoline_kernelINS0_14default_configENS1_20scan_config_selectorIyEEZZNS1_9scan_implILNS1_25lookback_scan_determinismE0ELb0ELb0ES3_N6thrust23THRUST_200600_302600_NS6detail15normal_iteratorINS9_10device_ptrIyEEEESE_yNS9_4plusIvEEyEEDaPvRmT3_T4_T5_mT6_P12ihipStream_tbENKUlT_T0_E_clISt17integral_constantIbLb0EESU_EEDaSP_SQ_EUlSP_E0_NS1_11comp_targetILNS1_3genE10ELNS1_11target_archE1201ELNS1_3gpuE5ELNS1_3repE0EEENS1_30default_config_static_selectorELNS0_4arch9wavefront6targetE1EEEvT1_,comdat
	.protected	_ZN7rocprim17ROCPRIM_400000_NS6detail17trampoline_kernelINS0_14default_configENS1_20scan_config_selectorIyEEZZNS1_9scan_implILNS1_25lookback_scan_determinismE0ELb0ELb0ES3_N6thrust23THRUST_200600_302600_NS6detail15normal_iteratorINS9_10device_ptrIyEEEESE_yNS9_4plusIvEEyEEDaPvRmT3_T4_T5_mT6_P12ihipStream_tbENKUlT_T0_E_clISt17integral_constantIbLb0EESU_EEDaSP_SQ_EUlSP_E0_NS1_11comp_targetILNS1_3genE10ELNS1_11target_archE1201ELNS1_3gpuE5ELNS1_3repE0EEENS1_30default_config_static_selectorELNS0_4arch9wavefront6targetE1EEEvT1_ ; -- Begin function _ZN7rocprim17ROCPRIM_400000_NS6detail17trampoline_kernelINS0_14default_configENS1_20scan_config_selectorIyEEZZNS1_9scan_implILNS1_25lookback_scan_determinismE0ELb0ELb0ES3_N6thrust23THRUST_200600_302600_NS6detail15normal_iteratorINS9_10device_ptrIyEEEESE_yNS9_4plusIvEEyEEDaPvRmT3_T4_T5_mT6_P12ihipStream_tbENKUlT_T0_E_clISt17integral_constantIbLb0EESU_EEDaSP_SQ_EUlSP_E0_NS1_11comp_targetILNS1_3genE10ELNS1_11target_archE1201ELNS1_3gpuE5ELNS1_3repE0EEENS1_30default_config_static_selectorELNS0_4arch9wavefront6targetE1EEEvT1_
	.globl	_ZN7rocprim17ROCPRIM_400000_NS6detail17trampoline_kernelINS0_14default_configENS1_20scan_config_selectorIyEEZZNS1_9scan_implILNS1_25lookback_scan_determinismE0ELb0ELb0ES3_N6thrust23THRUST_200600_302600_NS6detail15normal_iteratorINS9_10device_ptrIyEEEESE_yNS9_4plusIvEEyEEDaPvRmT3_T4_T5_mT6_P12ihipStream_tbENKUlT_T0_E_clISt17integral_constantIbLb0EESU_EEDaSP_SQ_EUlSP_E0_NS1_11comp_targetILNS1_3genE10ELNS1_11target_archE1201ELNS1_3gpuE5ELNS1_3repE0EEENS1_30default_config_static_selectorELNS0_4arch9wavefront6targetE1EEEvT1_
	.p2align	8
	.type	_ZN7rocprim17ROCPRIM_400000_NS6detail17trampoline_kernelINS0_14default_configENS1_20scan_config_selectorIyEEZZNS1_9scan_implILNS1_25lookback_scan_determinismE0ELb0ELb0ES3_N6thrust23THRUST_200600_302600_NS6detail15normal_iteratorINS9_10device_ptrIyEEEESE_yNS9_4plusIvEEyEEDaPvRmT3_T4_T5_mT6_P12ihipStream_tbENKUlT_T0_E_clISt17integral_constantIbLb0EESU_EEDaSP_SQ_EUlSP_E0_NS1_11comp_targetILNS1_3genE10ELNS1_11target_archE1201ELNS1_3gpuE5ELNS1_3repE0EEENS1_30default_config_static_selectorELNS0_4arch9wavefront6targetE1EEEvT1_,@function
_ZN7rocprim17ROCPRIM_400000_NS6detail17trampoline_kernelINS0_14default_configENS1_20scan_config_selectorIyEEZZNS1_9scan_implILNS1_25lookback_scan_determinismE0ELb0ELb0ES3_N6thrust23THRUST_200600_302600_NS6detail15normal_iteratorINS9_10device_ptrIyEEEESE_yNS9_4plusIvEEyEEDaPvRmT3_T4_T5_mT6_P12ihipStream_tbENKUlT_T0_E_clISt17integral_constantIbLb0EESU_EEDaSP_SQ_EUlSP_E0_NS1_11comp_targetILNS1_3genE10ELNS1_11target_archE1201ELNS1_3gpuE5ELNS1_3repE0EEENS1_30default_config_static_selectorELNS0_4arch9wavefront6targetE1EEEvT1_: ; @_ZN7rocprim17ROCPRIM_400000_NS6detail17trampoline_kernelINS0_14default_configENS1_20scan_config_selectorIyEEZZNS1_9scan_implILNS1_25lookback_scan_determinismE0ELb0ELb0ES3_N6thrust23THRUST_200600_302600_NS6detail15normal_iteratorINS9_10device_ptrIyEEEESE_yNS9_4plusIvEEyEEDaPvRmT3_T4_T5_mT6_P12ihipStream_tbENKUlT_T0_E_clISt17integral_constantIbLb0EESU_EEDaSP_SQ_EUlSP_E0_NS1_11comp_targetILNS1_3genE10ELNS1_11target_archE1201ELNS1_3gpuE5ELNS1_3repE0EEENS1_30default_config_static_selectorELNS0_4arch9wavefront6targetE1EEEvT1_
; %bb.0:
	.section	.rodata,"a",@progbits
	.p2align	6, 0x0
	.amdhsa_kernel _ZN7rocprim17ROCPRIM_400000_NS6detail17trampoline_kernelINS0_14default_configENS1_20scan_config_selectorIyEEZZNS1_9scan_implILNS1_25lookback_scan_determinismE0ELb0ELb0ES3_N6thrust23THRUST_200600_302600_NS6detail15normal_iteratorINS9_10device_ptrIyEEEESE_yNS9_4plusIvEEyEEDaPvRmT3_T4_T5_mT6_P12ihipStream_tbENKUlT_T0_E_clISt17integral_constantIbLb0EESU_EEDaSP_SQ_EUlSP_E0_NS1_11comp_targetILNS1_3genE10ELNS1_11target_archE1201ELNS1_3gpuE5ELNS1_3repE0EEENS1_30default_config_static_selectorELNS0_4arch9wavefront6targetE1EEEvT1_
		.amdhsa_group_segment_fixed_size 0
		.amdhsa_private_segment_fixed_size 0
		.amdhsa_kernarg_size 40
		.amdhsa_user_sgpr_count 6
		.amdhsa_user_sgpr_private_segment_buffer 1
		.amdhsa_user_sgpr_dispatch_ptr 0
		.amdhsa_user_sgpr_queue_ptr 0
		.amdhsa_user_sgpr_kernarg_segment_ptr 1
		.amdhsa_user_sgpr_dispatch_id 0
		.amdhsa_user_sgpr_flat_scratch_init 0
		.amdhsa_user_sgpr_kernarg_preload_length 0
		.amdhsa_user_sgpr_kernarg_preload_offset 0
		.amdhsa_user_sgpr_private_segment_size 0
		.amdhsa_uses_dynamic_stack 0
		.amdhsa_system_sgpr_private_segment_wavefront_offset 0
		.amdhsa_system_sgpr_workgroup_id_x 1
		.amdhsa_system_sgpr_workgroup_id_y 0
		.amdhsa_system_sgpr_workgroup_id_z 0
		.amdhsa_system_sgpr_workgroup_info 0
		.amdhsa_system_vgpr_workitem_id 0
		.amdhsa_next_free_vgpr 1
		.amdhsa_next_free_sgpr 0
		.amdhsa_accum_offset 4
		.amdhsa_reserve_vcc 0
		.amdhsa_reserve_flat_scratch 0
		.amdhsa_float_round_mode_32 0
		.amdhsa_float_round_mode_16_64 0
		.amdhsa_float_denorm_mode_32 3
		.amdhsa_float_denorm_mode_16_64 3
		.amdhsa_dx10_clamp 1
		.amdhsa_ieee_mode 1
		.amdhsa_fp16_overflow 0
		.amdhsa_tg_split 0
		.amdhsa_exception_fp_ieee_invalid_op 0
		.amdhsa_exception_fp_denorm_src 0
		.amdhsa_exception_fp_ieee_div_zero 0
		.amdhsa_exception_fp_ieee_overflow 0
		.amdhsa_exception_fp_ieee_underflow 0
		.amdhsa_exception_fp_ieee_inexact 0
		.amdhsa_exception_int_div_zero 0
	.end_amdhsa_kernel
	.section	.text._ZN7rocprim17ROCPRIM_400000_NS6detail17trampoline_kernelINS0_14default_configENS1_20scan_config_selectorIyEEZZNS1_9scan_implILNS1_25lookback_scan_determinismE0ELb0ELb0ES3_N6thrust23THRUST_200600_302600_NS6detail15normal_iteratorINS9_10device_ptrIyEEEESE_yNS9_4plusIvEEyEEDaPvRmT3_T4_T5_mT6_P12ihipStream_tbENKUlT_T0_E_clISt17integral_constantIbLb0EESU_EEDaSP_SQ_EUlSP_E0_NS1_11comp_targetILNS1_3genE10ELNS1_11target_archE1201ELNS1_3gpuE5ELNS1_3repE0EEENS1_30default_config_static_selectorELNS0_4arch9wavefront6targetE1EEEvT1_,"axG",@progbits,_ZN7rocprim17ROCPRIM_400000_NS6detail17trampoline_kernelINS0_14default_configENS1_20scan_config_selectorIyEEZZNS1_9scan_implILNS1_25lookback_scan_determinismE0ELb0ELb0ES3_N6thrust23THRUST_200600_302600_NS6detail15normal_iteratorINS9_10device_ptrIyEEEESE_yNS9_4plusIvEEyEEDaPvRmT3_T4_T5_mT6_P12ihipStream_tbENKUlT_T0_E_clISt17integral_constantIbLb0EESU_EEDaSP_SQ_EUlSP_E0_NS1_11comp_targetILNS1_3genE10ELNS1_11target_archE1201ELNS1_3gpuE5ELNS1_3repE0EEENS1_30default_config_static_selectorELNS0_4arch9wavefront6targetE1EEEvT1_,comdat
.Lfunc_end4444:
	.size	_ZN7rocprim17ROCPRIM_400000_NS6detail17trampoline_kernelINS0_14default_configENS1_20scan_config_selectorIyEEZZNS1_9scan_implILNS1_25lookback_scan_determinismE0ELb0ELb0ES3_N6thrust23THRUST_200600_302600_NS6detail15normal_iteratorINS9_10device_ptrIyEEEESE_yNS9_4plusIvEEyEEDaPvRmT3_T4_T5_mT6_P12ihipStream_tbENKUlT_T0_E_clISt17integral_constantIbLb0EESU_EEDaSP_SQ_EUlSP_E0_NS1_11comp_targetILNS1_3genE10ELNS1_11target_archE1201ELNS1_3gpuE5ELNS1_3repE0EEENS1_30default_config_static_selectorELNS0_4arch9wavefront6targetE1EEEvT1_, .Lfunc_end4444-_ZN7rocprim17ROCPRIM_400000_NS6detail17trampoline_kernelINS0_14default_configENS1_20scan_config_selectorIyEEZZNS1_9scan_implILNS1_25lookback_scan_determinismE0ELb0ELb0ES3_N6thrust23THRUST_200600_302600_NS6detail15normal_iteratorINS9_10device_ptrIyEEEESE_yNS9_4plusIvEEyEEDaPvRmT3_T4_T5_mT6_P12ihipStream_tbENKUlT_T0_E_clISt17integral_constantIbLb0EESU_EEDaSP_SQ_EUlSP_E0_NS1_11comp_targetILNS1_3genE10ELNS1_11target_archE1201ELNS1_3gpuE5ELNS1_3repE0EEENS1_30default_config_static_selectorELNS0_4arch9wavefront6targetE1EEEvT1_
                                        ; -- End function
	.section	.AMDGPU.csdata,"",@progbits
; Kernel info:
; codeLenInByte = 0
; NumSgprs: 4
; NumVgprs: 0
; NumAgprs: 0
; TotalNumVgprs: 0
; ScratchSize: 0
; MemoryBound: 0
; FloatMode: 240
; IeeeMode: 1
; LDSByteSize: 0 bytes/workgroup (compile time only)
; SGPRBlocks: 0
; VGPRBlocks: 0
; NumSGPRsForWavesPerEU: 4
; NumVGPRsForWavesPerEU: 1
; AccumOffset: 4
; Occupancy: 8
; WaveLimiterHint : 0
; COMPUTE_PGM_RSRC2:SCRATCH_EN: 0
; COMPUTE_PGM_RSRC2:USER_SGPR: 6
; COMPUTE_PGM_RSRC2:TRAP_HANDLER: 0
; COMPUTE_PGM_RSRC2:TGID_X_EN: 1
; COMPUTE_PGM_RSRC2:TGID_Y_EN: 0
; COMPUTE_PGM_RSRC2:TGID_Z_EN: 0
; COMPUTE_PGM_RSRC2:TIDIG_COMP_CNT: 0
; COMPUTE_PGM_RSRC3_GFX90A:ACCUM_OFFSET: 0
; COMPUTE_PGM_RSRC3_GFX90A:TG_SPLIT: 0
	.section	.text._ZN7rocprim17ROCPRIM_400000_NS6detail17trampoline_kernelINS0_14default_configENS1_20scan_config_selectorIyEEZZNS1_9scan_implILNS1_25lookback_scan_determinismE0ELb0ELb0ES3_N6thrust23THRUST_200600_302600_NS6detail15normal_iteratorINS9_10device_ptrIyEEEESE_yNS9_4plusIvEEyEEDaPvRmT3_T4_T5_mT6_P12ihipStream_tbENKUlT_T0_E_clISt17integral_constantIbLb0EESU_EEDaSP_SQ_EUlSP_E0_NS1_11comp_targetILNS1_3genE10ELNS1_11target_archE1200ELNS1_3gpuE4ELNS1_3repE0EEENS1_30default_config_static_selectorELNS0_4arch9wavefront6targetE1EEEvT1_,"axG",@progbits,_ZN7rocprim17ROCPRIM_400000_NS6detail17trampoline_kernelINS0_14default_configENS1_20scan_config_selectorIyEEZZNS1_9scan_implILNS1_25lookback_scan_determinismE0ELb0ELb0ES3_N6thrust23THRUST_200600_302600_NS6detail15normal_iteratorINS9_10device_ptrIyEEEESE_yNS9_4plusIvEEyEEDaPvRmT3_T4_T5_mT6_P12ihipStream_tbENKUlT_T0_E_clISt17integral_constantIbLb0EESU_EEDaSP_SQ_EUlSP_E0_NS1_11comp_targetILNS1_3genE10ELNS1_11target_archE1200ELNS1_3gpuE4ELNS1_3repE0EEENS1_30default_config_static_selectorELNS0_4arch9wavefront6targetE1EEEvT1_,comdat
	.protected	_ZN7rocprim17ROCPRIM_400000_NS6detail17trampoline_kernelINS0_14default_configENS1_20scan_config_selectorIyEEZZNS1_9scan_implILNS1_25lookback_scan_determinismE0ELb0ELb0ES3_N6thrust23THRUST_200600_302600_NS6detail15normal_iteratorINS9_10device_ptrIyEEEESE_yNS9_4plusIvEEyEEDaPvRmT3_T4_T5_mT6_P12ihipStream_tbENKUlT_T0_E_clISt17integral_constantIbLb0EESU_EEDaSP_SQ_EUlSP_E0_NS1_11comp_targetILNS1_3genE10ELNS1_11target_archE1200ELNS1_3gpuE4ELNS1_3repE0EEENS1_30default_config_static_selectorELNS0_4arch9wavefront6targetE1EEEvT1_ ; -- Begin function _ZN7rocprim17ROCPRIM_400000_NS6detail17trampoline_kernelINS0_14default_configENS1_20scan_config_selectorIyEEZZNS1_9scan_implILNS1_25lookback_scan_determinismE0ELb0ELb0ES3_N6thrust23THRUST_200600_302600_NS6detail15normal_iteratorINS9_10device_ptrIyEEEESE_yNS9_4plusIvEEyEEDaPvRmT3_T4_T5_mT6_P12ihipStream_tbENKUlT_T0_E_clISt17integral_constantIbLb0EESU_EEDaSP_SQ_EUlSP_E0_NS1_11comp_targetILNS1_3genE10ELNS1_11target_archE1200ELNS1_3gpuE4ELNS1_3repE0EEENS1_30default_config_static_selectorELNS0_4arch9wavefront6targetE1EEEvT1_
	.globl	_ZN7rocprim17ROCPRIM_400000_NS6detail17trampoline_kernelINS0_14default_configENS1_20scan_config_selectorIyEEZZNS1_9scan_implILNS1_25lookback_scan_determinismE0ELb0ELb0ES3_N6thrust23THRUST_200600_302600_NS6detail15normal_iteratorINS9_10device_ptrIyEEEESE_yNS9_4plusIvEEyEEDaPvRmT3_T4_T5_mT6_P12ihipStream_tbENKUlT_T0_E_clISt17integral_constantIbLb0EESU_EEDaSP_SQ_EUlSP_E0_NS1_11comp_targetILNS1_3genE10ELNS1_11target_archE1200ELNS1_3gpuE4ELNS1_3repE0EEENS1_30default_config_static_selectorELNS0_4arch9wavefront6targetE1EEEvT1_
	.p2align	8
	.type	_ZN7rocprim17ROCPRIM_400000_NS6detail17trampoline_kernelINS0_14default_configENS1_20scan_config_selectorIyEEZZNS1_9scan_implILNS1_25lookback_scan_determinismE0ELb0ELb0ES3_N6thrust23THRUST_200600_302600_NS6detail15normal_iteratorINS9_10device_ptrIyEEEESE_yNS9_4plusIvEEyEEDaPvRmT3_T4_T5_mT6_P12ihipStream_tbENKUlT_T0_E_clISt17integral_constantIbLb0EESU_EEDaSP_SQ_EUlSP_E0_NS1_11comp_targetILNS1_3genE10ELNS1_11target_archE1200ELNS1_3gpuE4ELNS1_3repE0EEENS1_30default_config_static_selectorELNS0_4arch9wavefront6targetE1EEEvT1_,@function
_ZN7rocprim17ROCPRIM_400000_NS6detail17trampoline_kernelINS0_14default_configENS1_20scan_config_selectorIyEEZZNS1_9scan_implILNS1_25lookback_scan_determinismE0ELb0ELb0ES3_N6thrust23THRUST_200600_302600_NS6detail15normal_iteratorINS9_10device_ptrIyEEEESE_yNS9_4plusIvEEyEEDaPvRmT3_T4_T5_mT6_P12ihipStream_tbENKUlT_T0_E_clISt17integral_constantIbLb0EESU_EEDaSP_SQ_EUlSP_E0_NS1_11comp_targetILNS1_3genE10ELNS1_11target_archE1200ELNS1_3gpuE4ELNS1_3repE0EEENS1_30default_config_static_selectorELNS0_4arch9wavefront6targetE1EEEvT1_: ; @_ZN7rocprim17ROCPRIM_400000_NS6detail17trampoline_kernelINS0_14default_configENS1_20scan_config_selectorIyEEZZNS1_9scan_implILNS1_25lookback_scan_determinismE0ELb0ELb0ES3_N6thrust23THRUST_200600_302600_NS6detail15normal_iteratorINS9_10device_ptrIyEEEESE_yNS9_4plusIvEEyEEDaPvRmT3_T4_T5_mT6_P12ihipStream_tbENKUlT_T0_E_clISt17integral_constantIbLb0EESU_EEDaSP_SQ_EUlSP_E0_NS1_11comp_targetILNS1_3genE10ELNS1_11target_archE1200ELNS1_3gpuE4ELNS1_3repE0EEENS1_30default_config_static_selectorELNS0_4arch9wavefront6targetE1EEEvT1_
; %bb.0:
	.section	.rodata,"a",@progbits
	.p2align	6, 0x0
	.amdhsa_kernel _ZN7rocprim17ROCPRIM_400000_NS6detail17trampoline_kernelINS0_14default_configENS1_20scan_config_selectorIyEEZZNS1_9scan_implILNS1_25lookback_scan_determinismE0ELb0ELb0ES3_N6thrust23THRUST_200600_302600_NS6detail15normal_iteratorINS9_10device_ptrIyEEEESE_yNS9_4plusIvEEyEEDaPvRmT3_T4_T5_mT6_P12ihipStream_tbENKUlT_T0_E_clISt17integral_constantIbLb0EESU_EEDaSP_SQ_EUlSP_E0_NS1_11comp_targetILNS1_3genE10ELNS1_11target_archE1200ELNS1_3gpuE4ELNS1_3repE0EEENS1_30default_config_static_selectorELNS0_4arch9wavefront6targetE1EEEvT1_
		.amdhsa_group_segment_fixed_size 0
		.amdhsa_private_segment_fixed_size 0
		.amdhsa_kernarg_size 40
		.amdhsa_user_sgpr_count 6
		.amdhsa_user_sgpr_private_segment_buffer 1
		.amdhsa_user_sgpr_dispatch_ptr 0
		.amdhsa_user_sgpr_queue_ptr 0
		.amdhsa_user_sgpr_kernarg_segment_ptr 1
		.amdhsa_user_sgpr_dispatch_id 0
		.amdhsa_user_sgpr_flat_scratch_init 0
		.amdhsa_user_sgpr_kernarg_preload_length 0
		.amdhsa_user_sgpr_kernarg_preload_offset 0
		.amdhsa_user_sgpr_private_segment_size 0
		.amdhsa_uses_dynamic_stack 0
		.amdhsa_system_sgpr_private_segment_wavefront_offset 0
		.amdhsa_system_sgpr_workgroup_id_x 1
		.amdhsa_system_sgpr_workgroup_id_y 0
		.amdhsa_system_sgpr_workgroup_id_z 0
		.amdhsa_system_sgpr_workgroup_info 0
		.amdhsa_system_vgpr_workitem_id 0
		.amdhsa_next_free_vgpr 1
		.amdhsa_next_free_sgpr 0
		.amdhsa_accum_offset 4
		.amdhsa_reserve_vcc 0
		.amdhsa_reserve_flat_scratch 0
		.amdhsa_float_round_mode_32 0
		.amdhsa_float_round_mode_16_64 0
		.amdhsa_float_denorm_mode_32 3
		.amdhsa_float_denorm_mode_16_64 3
		.amdhsa_dx10_clamp 1
		.amdhsa_ieee_mode 1
		.amdhsa_fp16_overflow 0
		.amdhsa_tg_split 0
		.amdhsa_exception_fp_ieee_invalid_op 0
		.amdhsa_exception_fp_denorm_src 0
		.amdhsa_exception_fp_ieee_div_zero 0
		.amdhsa_exception_fp_ieee_overflow 0
		.amdhsa_exception_fp_ieee_underflow 0
		.amdhsa_exception_fp_ieee_inexact 0
		.amdhsa_exception_int_div_zero 0
	.end_amdhsa_kernel
	.section	.text._ZN7rocprim17ROCPRIM_400000_NS6detail17trampoline_kernelINS0_14default_configENS1_20scan_config_selectorIyEEZZNS1_9scan_implILNS1_25lookback_scan_determinismE0ELb0ELb0ES3_N6thrust23THRUST_200600_302600_NS6detail15normal_iteratorINS9_10device_ptrIyEEEESE_yNS9_4plusIvEEyEEDaPvRmT3_T4_T5_mT6_P12ihipStream_tbENKUlT_T0_E_clISt17integral_constantIbLb0EESU_EEDaSP_SQ_EUlSP_E0_NS1_11comp_targetILNS1_3genE10ELNS1_11target_archE1200ELNS1_3gpuE4ELNS1_3repE0EEENS1_30default_config_static_selectorELNS0_4arch9wavefront6targetE1EEEvT1_,"axG",@progbits,_ZN7rocprim17ROCPRIM_400000_NS6detail17trampoline_kernelINS0_14default_configENS1_20scan_config_selectorIyEEZZNS1_9scan_implILNS1_25lookback_scan_determinismE0ELb0ELb0ES3_N6thrust23THRUST_200600_302600_NS6detail15normal_iteratorINS9_10device_ptrIyEEEESE_yNS9_4plusIvEEyEEDaPvRmT3_T4_T5_mT6_P12ihipStream_tbENKUlT_T0_E_clISt17integral_constantIbLb0EESU_EEDaSP_SQ_EUlSP_E0_NS1_11comp_targetILNS1_3genE10ELNS1_11target_archE1200ELNS1_3gpuE4ELNS1_3repE0EEENS1_30default_config_static_selectorELNS0_4arch9wavefront6targetE1EEEvT1_,comdat
.Lfunc_end4445:
	.size	_ZN7rocprim17ROCPRIM_400000_NS6detail17trampoline_kernelINS0_14default_configENS1_20scan_config_selectorIyEEZZNS1_9scan_implILNS1_25lookback_scan_determinismE0ELb0ELb0ES3_N6thrust23THRUST_200600_302600_NS6detail15normal_iteratorINS9_10device_ptrIyEEEESE_yNS9_4plusIvEEyEEDaPvRmT3_T4_T5_mT6_P12ihipStream_tbENKUlT_T0_E_clISt17integral_constantIbLb0EESU_EEDaSP_SQ_EUlSP_E0_NS1_11comp_targetILNS1_3genE10ELNS1_11target_archE1200ELNS1_3gpuE4ELNS1_3repE0EEENS1_30default_config_static_selectorELNS0_4arch9wavefront6targetE1EEEvT1_, .Lfunc_end4445-_ZN7rocprim17ROCPRIM_400000_NS6detail17trampoline_kernelINS0_14default_configENS1_20scan_config_selectorIyEEZZNS1_9scan_implILNS1_25lookback_scan_determinismE0ELb0ELb0ES3_N6thrust23THRUST_200600_302600_NS6detail15normal_iteratorINS9_10device_ptrIyEEEESE_yNS9_4plusIvEEyEEDaPvRmT3_T4_T5_mT6_P12ihipStream_tbENKUlT_T0_E_clISt17integral_constantIbLb0EESU_EEDaSP_SQ_EUlSP_E0_NS1_11comp_targetILNS1_3genE10ELNS1_11target_archE1200ELNS1_3gpuE4ELNS1_3repE0EEENS1_30default_config_static_selectorELNS0_4arch9wavefront6targetE1EEEvT1_
                                        ; -- End function
	.section	.AMDGPU.csdata,"",@progbits
; Kernel info:
; codeLenInByte = 0
; NumSgprs: 4
; NumVgprs: 0
; NumAgprs: 0
; TotalNumVgprs: 0
; ScratchSize: 0
; MemoryBound: 0
; FloatMode: 240
; IeeeMode: 1
; LDSByteSize: 0 bytes/workgroup (compile time only)
; SGPRBlocks: 0
; VGPRBlocks: 0
; NumSGPRsForWavesPerEU: 4
; NumVGPRsForWavesPerEU: 1
; AccumOffset: 4
; Occupancy: 8
; WaveLimiterHint : 0
; COMPUTE_PGM_RSRC2:SCRATCH_EN: 0
; COMPUTE_PGM_RSRC2:USER_SGPR: 6
; COMPUTE_PGM_RSRC2:TRAP_HANDLER: 0
; COMPUTE_PGM_RSRC2:TGID_X_EN: 1
; COMPUTE_PGM_RSRC2:TGID_Y_EN: 0
; COMPUTE_PGM_RSRC2:TGID_Z_EN: 0
; COMPUTE_PGM_RSRC2:TIDIG_COMP_CNT: 0
; COMPUTE_PGM_RSRC3_GFX90A:ACCUM_OFFSET: 0
; COMPUTE_PGM_RSRC3_GFX90A:TG_SPLIT: 0
	.section	.text._ZN7rocprim17ROCPRIM_400000_NS6detail17trampoline_kernelINS0_14default_configENS1_20scan_config_selectorIyEEZZNS1_9scan_implILNS1_25lookback_scan_determinismE0ELb0ELb0ES3_N6thrust23THRUST_200600_302600_NS6detail15normal_iteratorINS9_10device_ptrIyEEEESE_yNS9_4plusIvEEyEEDaPvRmT3_T4_T5_mT6_P12ihipStream_tbENKUlT_T0_E_clISt17integral_constantIbLb0EESU_EEDaSP_SQ_EUlSP_E0_NS1_11comp_targetILNS1_3genE9ELNS1_11target_archE1100ELNS1_3gpuE3ELNS1_3repE0EEENS1_30default_config_static_selectorELNS0_4arch9wavefront6targetE1EEEvT1_,"axG",@progbits,_ZN7rocprim17ROCPRIM_400000_NS6detail17trampoline_kernelINS0_14default_configENS1_20scan_config_selectorIyEEZZNS1_9scan_implILNS1_25lookback_scan_determinismE0ELb0ELb0ES3_N6thrust23THRUST_200600_302600_NS6detail15normal_iteratorINS9_10device_ptrIyEEEESE_yNS9_4plusIvEEyEEDaPvRmT3_T4_T5_mT6_P12ihipStream_tbENKUlT_T0_E_clISt17integral_constantIbLb0EESU_EEDaSP_SQ_EUlSP_E0_NS1_11comp_targetILNS1_3genE9ELNS1_11target_archE1100ELNS1_3gpuE3ELNS1_3repE0EEENS1_30default_config_static_selectorELNS0_4arch9wavefront6targetE1EEEvT1_,comdat
	.protected	_ZN7rocprim17ROCPRIM_400000_NS6detail17trampoline_kernelINS0_14default_configENS1_20scan_config_selectorIyEEZZNS1_9scan_implILNS1_25lookback_scan_determinismE0ELb0ELb0ES3_N6thrust23THRUST_200600_302600_NS6detail15normal_iteratorINS9_10device_ptrIyEEEESE_yNS9_4plusIvEEyEEDaPvRmT3_T4_T5_mT6_P12ihipStream_tbENKUlT_T0_E_clISt17integral_constantIbLb0EESU_EEDaSP_SQ_EUlSP_E0_NS1_11comp_targetILNS1_3genE9ELNS1_11target_archE1100ELNS1_3gpuE3ELNS1_3repE0EEENS1_30default_config_static_selectorELNS0_4arch9wavefront6targetE1EEEvT1_ ; -- Begin function _ZN7rocprim17ROCPRIM_400000_NS6detail17trampoline_kernelINS0_14default_configENS1_20scan_config_selectorIyEEZZNS1_9scan_implILNS1_25lookback_scan_determinismE0ELb0ELb0ES3_N6thrust23THRUST_200600_302600_NS6detail15normal_iteratorINS9_10device_ptrIyEEEESE_yNS9_4plusIvEEyEEDaPvRmT3_T4_T5_mT6_P12ihipStream_tbENKUlT_T0_E_clISt17integral_constantIbLb0EESU_EEDaSP_SQ_EUlSP_E0_NS1_11comp_targetILNS1_3genE9ELNS1_11target_archE1100ELNS1_3gpuE3ELNS1_3repE0EEENS1_30default_config_static_selectorELNS0_4arch9wavefront6targetE1EEEvT1_
	.globl	_ZN7rocprim17ROCPRIM_400000_NS6detail17trampoline_kernelINS0_14default_configENS1_20scan_config_selectorIyEEZZNS1_9scan_implILNS1_25lookback_scan_determinismE0ELb0ELb0ES3_N6thrust23THRUST_200600_302600_NS6detail15normal_iteratorINS9_10device_ptrIyEEEESE_yNS9_4plusIvEEyEEDaPvRmT3_T4_T5_mT6_P12ihipStream_tbENKUlT_T0_E_clISt17integral_constantIbLb0EESU_EEDaSP_SQ_EUlSP_E0_NS1_11comp_targetILNS1_3genE9ELNS1_11target_archE1100ELNS1_3gpuE3ELNS1_3repE0EEENS1_30default_config_static_selectorELNS0_4arch9wavefront6targetE1EEEvT1_
	.p2align	8
	.type	_ZN7rocprim17ROCPRIM_400000_NS6detail17trampoline_kernelINS0_14default_configENS1_20scan_config_selectorIyEEZZNS1_9scan_implILNS1_25lookback_scan_determinismE0ELb0ELb0ES3_N6thrust23THRUST_200600_302600_NS6detail15normal_iteratorINS9_10device_ptrIyEEEESE_yNS9_4plusIvEEyEEDaPvRmT3_T4_T5_mT6_P12ihipStream_tbENKUlT_T0_E_clISt17integral_constantIbLb0EESU_EEDaSP_SQ_EUlSP_E0_NS1_11comp_targetILNS1_3genE9ELNS1_11target_archE1100ELNS1_3gpuE3ELNS1_3repE0EEENS1_30default_config_static_selectorELNS0_4arch9wavefront6targetE1EEEvT1_,@function
_ZN7rocprim17ROCPRIM_400000_NS6detail17trampoline_kernelINS0_14default_configENS1_20scan_config_selectorIyEEZZNS1_9scan_implILNS1_25lookback_scan_determinismE0ELb0ELb0ES3_N6thrust23THRUST_200600_302600_NS6detail15normal_iteratorINS9_10device_ptrIyEEEESE_yNS9_4plusIvEEyEEDaPvRmT3_T4_T5_mT6_P12ihipStream_tbENKUlT_T0_E_clISt17integral_constantIbLb0EESU_EEDaSP_SQ_EUlSP_E0_NS1_11comp_targetILNS1_3genE9ELNS1_11target_archE1100ELNS1_3gpuE3ELNS1_3repE0EEENS1_30default_config_static_selectorELNS0_4arch9wavefront6targetE1EEEvT1_: ; @_ZN7rocprim17ROCPRIM_400000_NS6detail17trampoline_kernelINS0_14default_configENS1_20scan_config_selectorIyEEZZNS1_9scan_implILNS1_25lookback_scan_determinismE0ELb0ELb0ES3_N6thrust23THRUST_200600_302600_NS6detail15normal_iteratorINS9_10device_ptrIyEEEESE_yNS9_4plusIvEEyEEDaPvRmT3_T4_T5_mT6_P12ihipStream_tbENKUlT_T0_E_clISt17integral_constantIbLb0EESU_EEDaSP_SQ_EUlSP_E0_NS1_11comp_targetILNS1_3genE9ELNS1_11target_archE1100ELNS1_3gpuE3ELNS1_3repE0EEENS1_30default_config_static_selectorELNS0_4arch9wavefront6targetE1EEEvT1_
; %bb.0:
	.section	.rodata,"a",@progbits
	.p2align	6, 0x0
	.amdhsa_kernel _ZN7rocprim17ROCPRIM_400000_NS6detail17trampoline_kernelINS0_14default_configENS1_20scan_config_selectorIyEEZZNS1_9scan_implILNS1_25lookback_scan_determinismE0ELb0ELb0ES3_N6thrust23THRUST_200600_302600_NS6detail15normal_iteratorINS9_10device_ptrIyEEEESE_yNS9_4plusIvEEyEEDaPvRmT3_T4_T5_mT6_P12ihipStream_tbENKUlT_T0_E_clISt17integral_constantIbLb0EESU_EEDaSP_SQ_EUlSP_E0_NS1_11comp_targetILNS1_3genE9ELNS1_11target_archE1100ELNS1_3gpuE3ELNS1_3repE0EEENS1_30default_config_static_selectorELNS0_4arch9wavefront6targetE1EEEvT1_
		.amdhsa_group_segment_fixed_size 0
		.amdhsa_private_segment_fixed_size 0
		.amdhsa_kernarg_size 40
		.amdhsa_user_sgpr_count 6
		.amdhsa_user_sgpr_private_segment_buffer 1
		.amdhsa_user_sgpr_dispatch_ptr 0
		.amdhsa_user_sgpr_queue_ptr 0
		.amdhsa_user_sgpr_kernarg_segment_ptr 1
		.amdhsa_user_sgpr_dispatch_id 0
		.amdhsa_user_sgpr_flat_scratch_init 0
		.amdhsa_user_sgpr_kernarg_preload_length 0
		.amdhsa_user_sgpr_kernarg_preload_offset 0
		.amdhsa_user_sgpr_private_segment_size 0
		.amdhsa_uses_dynamic_stack 0
		.amdhsa_system_sgpr_private_segment_wavefront_offset 0
		.amdhsa_system_sgpr_workgroup_id_x 1
		.amdhsa_system_sgpr_workgroup_id_y 0
		.amdhsa_system_sgpr_workgroup_id_z 0
		.amdhsa_system_sgpr_workgroup_info 0
		.amdhsa_system_vgpr_workitem_id 0
		.amdhsa_next_free_vgpr 1
		.amdhsa_next_free_sgpr 0
		.amdhsa_accum_offset 4
		.amdhsa_reserve_vcc 0
		.amdhsa_reserve_flat_scratch 0
		.amdhsa_float_round_mode_32 0
		.amdhsa_float_round_mode_16_64 0
		.amdhsa_float_denorm_mode_32 3
		.amdhsa_float_denorm_mode_16_64 3
		.amdhsa_dx10_clamp 1
		.amdhsa_ieee_mode 1
		.amdhsa_fp16_overflow 0
		.amdhsa_tg_split 0
		.amdhsa_exception_fp_ieee_invalid_op 0
		.amdhsa_exception_fp_denorm_src 0
		.amdhsa_exception_fp_ieee_div_zero 0
		.amdhsa_exception_fp_ieee_overflow 0
		.amdhsa_exception_fp_ieee_underflow 0
		.amdhsa_exception_fp_ieee_inexact 0
		.amdhsa_exception_int_div_zero 0
	.end_amdhsa_kernel
	.section	.text._ZN7rocprim17ROCPRIM_400000_NS6detail17trampoline_kernelINS0_14default_configENS1_20scan_config_selectorIyEEZZNS1_9scan_implILNS1_25lookback_scan_determinismE0ELb0ELb0ES3_N6thrust23THRUST_200600_302600_NS6detail15normal_iteratorINS9_10device_ptrIyEEEESE_yNS9_4plusIvEEyEEDaPvRmT3_T4_T5_mT6_P12ihipStream_tbENKUlT_T0_E_clISt17integral_constantIbLb0EESU_EEDaSP_SQ_EUlSP_E0_NS1_11comp_targetILNS1_3genE9ELNS1_11target_archE1100ELNS1_3gpuE3ELNS1_3repE0EEENS1_30default_config_static_selectorELNS0_4arch9wavefront6targetE1EEEvT1_,"axG",@progbits,_ZN7rocprim17ROCPRIM_400000_NS6detail17trampoline_kernelINS0_14default_configENS1_20scan_config_selectorIyEEZZNS1_9scan_implILNS1_25lookback_scan_determinismE0ELb0ELb0ES3_N6thrust23THRUST_200600_302600_NS6detail15normal_iteratorINS9_10device_ptrIyEEEESE_yNS9_4plusIvEEyEEDaPvRmT3_T4_T5_mT6_P12ihipStream_tbENKUlT_T0_E_clISt17integral_constantIbLb0EESU_EEDaSP_SQ_EUlSP_E0_NS1_11comp_targetILNS1_3genE9ELNS1_11target_archE1100ELNS1_3gpuE3ELNS1_3repE0EEENS1_30default_config_static_selectorELNS0_4arch9wavefront6targetE1EEEvT1_,comdat
.Lfunc_end4446:
	.size	_ZN7rocprim17ROCPRIM_400000_NS6detail17trampoline_kernelINS0_14default_configENS1_20scan_config_selectorIyEEZZNS1_9scan_implILNS1_25lookback_scan_determinismE0ELb0ELb0ES3_N6thrust23THRUST_200600_302600_NS6detail15normal_iteratorINS9_10device_ptrIyEEEESE_yNS9_4plusIvEEyEEDaPvRmT3_T4_T5_mT6_P12ihipStream_tbENKUlT_T0_E_clISt17integral_constantIbLb0EESU_EEDaSP_SQ_EUlSP_E0_NS1_11comp_targetILNS1_3genE9ELNS1_11target_archE1100ELNS1_3gpuE3ELNS1_3repE0EEENS1_30default_config_static_selectorELNS0_4arch9wavefront6targetE1EEEvT1_, .Lfunc_end4446-_ZN7rocprim17ROCPRIM_400000_NS6detail17trampoline_kernelINS0_14default_configENS1_20scan_config_selectorIyEEZZNS1_9scan_implILNS1_25lookback_scan_determinismE0ELb0ELb0ES3_N6thrust23THRUST_200600_302600_NS6detail15normal_iteratorINS9_10device_ptrIyEEEESE_yNS9_4plusIvEEyEEDaPvRmT3_T4_T5_mT6_P12ihipStream_tbENKUlT_T0_E_clISt17integral_constantIbLb0EESU_EEDaSP_SQ_EUlSP_E0_NS1_11comp_targetILNS1_3genE9ELNS1_11target_archE1100ELNS1_3gpuE3ELNS1_3repE0EEENS1_30default_config_static_selectorELNS0_4arch9wavefront6targetE1EEEvT1_
                                        ; -- End function
	.section	.AMDGPU.csdata,"",@progbits
; Kernel info:
; codeLenInByte = 0
; NumSgprs: 4
; NumVgprs: 0
; NumAgprs: 0
; TotalNumVgprs: 0
; ScratchSize: 0
; MemoryBound: 0
; FloatMode: 240
; IeeeMode: 1
; LDSByteSize: 0 bytes/workgroup (compile time only)
; SGPRBlocks: 0
; VGPRBlocks: 0
; NumSGPRsForWavesPerEU: 4
; NumVGPRsForWavesPerEU: 1
; AccumOffset: 4
; Occupancy: 8
; WaveLimiterHint : 0
; COMPUTE_PGM_RSRC2:SCRATCH_EN: 0
; COMPUTE_PGM_RSRC2:USER_SGPR: 6
; COMPUTE_PGM_RSRC2:TRAP_HANDLER: 0
; COMPUTE_PGM_RSRC2:TGID_X_EN: 1
; COMPUTE_PGM_RSRC2:TGID_Y_EN: 0
; COMPUTE_PGM_RSRC2:TGID_Z_EN: 0
; COMPUTE_PGM_RSRC2:TIDIG_COMP_CNT: 0
; COMPUTE_PGM_RSRC3_GFX90A:ACCUM_OFFSET: 0
; COMPUTE_PGM_RSRC3_GFX90A:TG_SPLIT: 0
	.section	.text._ZN7rocprim17ROCPRIM_400000_NS6detail17trampoline_kernelINS0_14default_configENS1_20scan_config_selectorIyEEZZNS1_9scan_implILNS1_25lookback_scan_determinismE0ELb0ELb0ES3_N6thrust23THRUST_200600_302600_NS6detail15normal_iteratorINS9_10device_ptrIyEEEESE_yNS9_4plusIvEEyEEDaPvRmT3_T4_T5_mT6_P12ihipStream_tbENKUlT_T0_E_clISt17integral_constantIbLb0EESU_EEDaSP_SQ_EUlSP_E0_NS1_11comp_targetILNS1_3genE8ELNS1_11target_archE1030ELNS1_3gpuE2ELNS1_3repE0EEENS1_30default_config_static_selectorELNS0_4arch9wavefront6targetE1EEEvT1_,"axG",@progbits,_ZN7rocprim17ROCPRIM_400000_NS6detail17trampoline_kernelINS0_14default_configENS1_20scan_config_selectorIyEEZZNS1_9scan_implILNS1_25lookback_scan_determinismE0ELb0ELb0ES3_N6thrust23THRUST_200600_302600_NS6detail15normal_iteratorINS9_10device_ptrIyEEEESE_yNS9_4plusIvEEyEEDaPvRmT3_T4_T5_mT6_P12ihipStream_tbENKUlT_T0_E_clISt17integral_constantIbLb0EESU_EEDaSP_SQ_EUlSP_E0_NS1_11comp_targetILNS1_3genE8ELNS1_11target_archE1030ELNS1_3gpuE2ELNS1_3repE0EEENS1_30default_config_static_selectorELNS0_4arch9wavefront6targetE1EEEvT1_,comdat
	.protected	_ZN7rocprim17ROCPRIM_400000_NS6detail17trampoline_kernelINS0_14default_configENS1_20scan_config_selectorIyEEZZNS1_9scan_implILNS1_25lookback_scan_determinismE0ELb0ELb0ES3_N6thrust23THRUST_200600_302600_NS6detail15normal_iteratorINS9_10device_ptrIyEEEESE_yNS9_4plusIvEEyEEDaPvRmT3_T4_T5_mT6_P12ihipStream_tbENKUlT_T0_E_clISt17integral_constantIbLb0EESU_EEDaSP_SQ_EUlSP_E0_NS1_11comp_targetILNS1_3genE8ELNS1_11target_archE1030ELNS1_3gpuE2ELNS1_3repE0EEENS1_30default_config_static_selectorELNS0_4arch9wavefront6targetE1EEEvT1_ ; -- Begin function _ZN7rocprim17ROCPRIM_400000_NS6detail17trampoline_kernelINS0_14default_configENS1_20scan_config_selectorIyEEZZNS1_9scan_implILNS1_25lookback_scan_determinismE0ELb0ELb0ES3_N6thrust23THRUST_200600_302600_NS6detail15normal_iteratorINS9_10device_ptrIyEEEESE_yNS9_4plusIvEEyEEDaPvRmT3_T4_T5_mT6_P12ihipStream_tbENKUlT_T0_E_clISt17integral_constantIbLb0EESU_EEDaSP_SQ_EUlSP_E0_NS1_11comp_targetILNS1_3genE8ELNS1_11target_archE1030ELNS1_3gpuE2ELNS1_3repE0EEENS1_30default_config_static_selectorELNS0_4arch9wavefront6targetE1EEEvT1_
	.globl	_ZN7rocprim17ROCPRIM_400000_NS6detail17trampoline_kernelINS0_14default_configENS1_20scan_config_selectorIyEEZZNS1_9scan_implILNS1_25lookback_scan_determinismE0ELb0ELb0ES3_N6thrust23THRUST_200600_302600_NS6detail15normal_iteratorINS9_10device_ptrIyEEEESE_yNS9_4plusIvEEyEEDaPvRmT3_T4_T5_mT6_P12ihipStream_tbENKUlT_T0_E_clISt17integral_constantIbLb0EESU_EEDaSP_SQ_EUlSP_E0_NS1_11comp_targetILNS1_3genE8ELNS1_11target_archE1030ELNS1_3gpuE2ELNS1_3repE0EEENS1_30default_config_static_selectorELNS0_4arch9wavefront6targetE1EEEvT1_
	.p2align	8
	.type	_ZN7rocprim17ROCPRIM_400000_NS6detail17trampoline_kernelINS0_14default_configENS1_20scan_config_selectorIyEEZZNS1_9scan_implILNS1_25lookback_scan_determinismE0ELb0ELb0ES3_N6thrust23THRUST_200600_302600_NS6detail15normal_iteratorINS9_10device_ptrIyEEEESE_yNS9_4plusIvEEyEEDaPvRmT3_T4_T5_mT6_P12ihipStream_tbENKUlT_T0_E_clISt17integral_constantIbLb0EESU_EEDaSP_SQ_EUlSP_E0_NS1_11comp_targetILNS1_3genE8ELNS1_11target_archE1030ELNS1_3gpuE2ELNS1_3repE0EEENS1_30default_config_static_selectorELNS0_4arch9wavefront6targetE1EEEvT1_,@function
_ZN7rocprim17ROCPRIM_400000_NS6detail17trampoline_kernelINS0_14default_configENS1_20scan_config_selectorIyEEZZNS1_9scan_implILNS1_25lookback_scan_determinismE0ELb0ELb0ES3_N6thrust23THRUST_200600_302600_NS6detail15normal_iteratorINS9_10device_ptrIyEEEESE_yNS9_4plusIvEEyEEDaPvRmT3_T4_T5_mT6_P12ihipStream_tbENKUlT_T0_E_clISt17integral_constantIbLb0EESU_EEDaSP_SQ_EUlSP_E0_NS1_11comp_targetILNS1_3genE8ELNS1_11target_archE1030ELNS1_3gpuE2ELNS1_3repE0EEENS1_30default_config_static_selectorELNS0_4arch9wavefront6targetE1EEEvT1_: ; @_ZN7rocprim17ROCPRIM_400000_NS6detail17trampoline_kernelINS0_14default_configENS1_20scan_config_selectorIyEEZZNS1_9scan_implILNS1_25lookback_scan_determinismE0ELb0ELb0ES3_N6thrust23THRUST_200600_302600_NS6detail15normal_iteratorINS9_10device_ptrIyEEEESE_yNS9_4plusIvEEyEEDaPvRmT3_T4_T5_mT6_P12ihipStream_tbENKUlT_T0_E_clISt17integral_constantIbLb0EESU_EEDaSP_SQ_EUlSP_E0_NS1_11comp_targetILNS1_3genE8ELNS1_11target_archE1030ELNS1_3gpuE2ELNS1_3repE0EEENS1_30default_config_static_selectorELNS0_4arch9wavefront6targetE1EEEvT1_
; %bb.0:
	.section	.rodata,"a",@progbits
	.p2align	6, 0x0
	.amdhsa_kernel _ZN7rocprim17ROCPRIM_400000_NS6detail17trampoline_kernelINS0_14default_configENS1_20scan_config_selectorIyEEZZNS1_9scan_implILNS1_25lookback_scan_determinismE0ELb0ELb0ES3_N6thrust23THRUST_200600_302600_NS6detail15normal_iteratorINS9_10device_ptrIyEEEESE_yNS9_4plusIvEEyEEDaPvRmT3_T4_T5_mT6_P12ihipStream_tbENKUlT_T0_E_clISt17integral_constantIbLb0EESU_EEDaSP_SQ_EUlSP_E0_NS1_11comp_targetILNS1_3genE8ELNS1_11target_archE1030ELNS1_3gpuE2ELNS1_3repE0EEENS1_30default_config_static_selectorELNS0_4arch9wavefront6targetE1EEEvT1_
		.amdhsa_group_segment_fixed_size 0
		.amdhsa_private_segment_fixed_size 0
		.amdhsa_kernarg_size 40
		.amdhsa_user_sgpr_count 6
		.amdhsa_user_sgpr_private_segment_buffer 1
		.amdhsa_user_sgpr_dispatch_ptr 0
		.amdhsa_user_sgpr_queue_ptr 0
		.amdhsa_user_sgpr_kernarg_segment_ptr 1
		.amdhsa_user_sgpr_dispatch_id 0
		.amdhsa_user_sgpr_flat_scratch_init 0
		.amdhsa_user_sgpr_kernarg_preload_length 0
		.amdhsa_user_sgpr_kernarg_preload_offset 0
		.amdhsa_user_sgpr_private_segment_size 0
		.amdhsa_uses_dynamic_stack 0
		.amdhsa_system_sgpr_private_segment_wavefront_offset 0
		.amdhsa_system_sgpr_workgroup_id_x 1
		.amdhsa_system_sgpr_workgroup_id_y 0
		.amdhsa_system_sgpr_workgroup_id_z 0
		.amdhsa_system_sgpr_workgroup_info 0
		.amdhsa_system_vgpr_workitem_id 0
		.amdhsa_next_free_vgpr 1
		.amdhsa_next_free_sgpr 0
		.amdhsa_accum_offset 4
		.amdhsa_reserve_vcc 0
		.amdhsa_reserve_flat_scratch 0
		.amdhsa_float_round_mode_32 0
		.amdhsa_float_round_mode_16_64 0
		.amdhsa_float_denorm_mode_32 3
		.amdhsa_float_denorm_mode_16_64 3
		.amdhsa_dx10_clamp 1
		.amdhsa_ieee_mode 1
		.amdhsa_fp16_overflow 0
		.amdhsa_tg_split 0
		.amdhsa_exception_fp_ieee_invalid_op 0
		.amdhsa_exception_fp_denorm_src 0
		.amdhsa_exception_fp_ieee_div_zero 0
		.amdhsa_exception_fp_ieee_overflow 0
		.amdhsa_exception_fp_ieee_underflow 0
		.amdhsa_exception_fp_ieee_inexact 0
		.amdhsa_exception_int_div_zero 0
	.end_amdhsa_kernel
	.section	.text._ZN7rocprim17ROCPRIM_400000_NS6detail17trampoline_kernelINS0_14default_configENS1_20scan_config_selectorIyEEZZNS1_9scan_implILNS1_25lookback_scan_determinismE0ELb0ELb0ES3_N6thrust23THRUST_200600_302600_NS6detail15normal_iteratorINS9_10device_ptrIyEEEESE_yNS9_4plusIvEEyEEDaPvRmT3_T4_T5_mT6_P12ihipStream_tbENKUlT_T0_E_clISt17integral_constantIbLb0EESU_EEDaSP_SQ_EUlSP_E0_NS1_11comp_targetILNS1_3genE8ELNS1_11target_archE1030ELNS1_3gpuE2ELNS1_3repE0EEENS1_30default_config_static_selectorELNS0_4arch9wavefront6targetE1EEEvT1_,"axG",@progbits,_ZN7rocprim17ROCPRIM_400000_NS6detail17trampoline_kernelINS0_14default_configENS1_20scan_config_selectorIyEEZZNS1_9scan_implILNS1_25lookback_scan_determinismE0ELb0ELb0ES3_N6thrust23THRUST_200600_302600_NS6detail15normal_iteratorINS9_10device_ptrIyEEEESE_yNS9_4plusIvEEyEEDaPvRmT3_T4_T5_mT6_P12ihipStream_tbENKUlT_T0_E_clISt17integral_constantIbLb0EESU_EEDaSP_SQ_EUlSP_E0_NS1_11comp_targetILNS1_3genE8ELNS1_11target_archE1030ELNS1_3gpuE2ELNS1_3repE0EEENS1_30default_config_static_selectorELNS0_4arch9wavefront6targetE1EEEvT1_,comdat
.Lfunc_end4447:
	.size	_ZN7rocprim17ROCPRIM_400000_NS6detail17trampoline_kernelINS0_14default_configENS1_20scan_config_selectorIyEEZZNS1_9scan_implILNS1_25lookback_scan_determinismE0ELb0ELb0ES3_N6thrust23THRUST_200600_302600_NS6detail15normal_iteratorINS9_10device_ptrIyEEEESE_yNS9_4plusIvEEyEEDaPvRmT3_T4_T5_mT6_P12ihipStream_tbENKUlT_T0_E_clISt17integral_constantIbLb0EESU_EEDaSP_SQ_EUlSP_E0_NS1_11comp_targetILNS1_3genE8ELNS1_11target_archE1030ELNS1_3gpuE2ELNS1_3repE0EEENS1_30default_config_static_selectorELNS0_4arch9wavefront6targetE1EEEvT1_, .Lfunc_end4447-_ZN7rocprim17ROCPRIM_400000_NS6detail17trampoline_kernelINS0_14default_configENS1_20scan_config_selectorIyEEZZNS1_9scan_implILNS1_25lookback_scan_determinismE0ELb0ELb0ES3_N6thrust23THRUST_200600_302600_NS6detail15normal_iteratorINS9_10device_ptrIyEEEESE_yNS9_4plusIvEEyEEDaPvRmT3_T4_T5_mT6_P12ihipStream_tbENKUlT_T0_E_clISt17integral_constantIbLb0EESU_EEDaSP_SQ_EUlSP_E0_NS1_11comp_targetILNS1_3genE8ELNS1_11target_archE1030ELNS1_3gpuE2ELNS1_3repE0EEENS1_30default_config_static_selectorELNS0_4arch9wavefront6targetE1EEEvT1_
                                        ; -- End function
	.section	.AMDGPU.csdata,"",@progbits
; Kernel info:
; codeLenInByte = 0
; NumSgprs: 4
; NumVgprs: 0
; NumAgprs: 0
; TotalNumVgprs: 0
; ScratchSize: 0
; MemoryBound: 0
; FloatMode: 240
; IeeeMode: 1
; LDSByteSize: 0 bytes/workgroup (compile time only)
; SGPRBlocks: 0
; VGPRBlocks: 0
; NumSGPRsForWavesPerEU: 4
; NumVGPRsForWavesPerEU: 1
; AccumOffset: 4
; Occupancy: 8
; WaveLimiterHint : 0
; COMPUTE_PGM_RSRC2:SCRATCH_EN: 0
; COMPUTE_PGM_RSRC2:USER_SGPR: 6
; COMPUTE_PGM_RSRC2:TRAP_HANDLER: 0
; COMPUTE_PGM_RSRC2:TGID_X_EN: 1
; COMPUTE_PGM_RSRC2:TGID_Y_EN: 0
; COMPUTE_PGM_RSRC2:TGID_Z_EN: 0
; COMPUTE_PGM_RSRC2:TIDIG_COMP_CNT: 0
; COMPUTE_PGM_RSRC3_GFX90A:ACCUM_OFFSET: 0
; COMPUTE_PGM_RSRC3_GFX90A:TG_SPLIT: 0
	.section	.text._ZN7rocprim17ROCPRIM_400000_NS6detail17trampoline_kernelINS0_14default_configENS1_20scan_config_selectorIyEEZZNS1_9scan_implILNS1_25lookback_scan_determinismE0ELb0ELb0ES3_N6thrust23THRUST_200600_302600_NS6detail15normal_iteratorINS9_10device_ptrIyEEEESE_yNS9_4plusIvEEyEEDaPvRmT3_T4_T5_mT6_P12ihipStream_tbENKUlT_T0_E_clISt17integral_constantIbLb1EESU_EEDaSP_SQ_EUlSP_E_NS1_11comp_targetILNS1_3genE0ELNS1_11target_archE4294967295ELNS1_3gpuE0ELNS1_3repE0EEENS1_30default_config_static_selectorELNS0_4arch9wavefront6targetE1EEEvT1_,"axG",@progbits,_ZN7rocprim17ROCPRIM_400000_NS6detail17trampoline_kernelINS0_14default_configENS1_20scan_config_selectorIyEEZZNS1_9scan_implILNS1_25lookback_scan_determinismE0ELb0ELb0ES3_N6thrust23THRUST_200600_302600_NS6detail15normal_iteratorINS9_10device_ptrIyEEEESE_yNS9_4plusIvEEyEEDaPvRmT3_T4_T5_mT6_P12ihipStream_tbENKUlT_T0_E_clISt17integral_constantIbLb1EESU_EEDaSP_SQ_EUlSP_E_NS1_11comp_targetILNS1_3genE0ELNS1_11target_archE4294967295ELNS1_3gpuE0ELNS1_3repE0EEENS1_30default_config_static_selectorELNS0_4arch9wavefront6targetE1EEEvT1_,comdat
	.protected	_ZN7rocprim17ROCPRIM_400000_NS6detail17trampoline_kernelINS0_14default_configENS1_20scan_config_selectorIyEEZZNS1_9scan_implILNS1_25lookback_scan_determinismE0ELb0ELb0ES3_N6thrust23THRUST_200600_302600_NS6detail15normal_iteratorINS9_10device_ptrIyEEEESE_yNS9_4plusIvEEyEEDaPvRmT3_T4_T5_mT6_P12ihipStream_tbENKUlT_T0_E_clISt17integral_constantIbLb1EESU_EEDaSP_SQ_EUlSP_E_NS1_11comp_targetILNS1_3genE0ELNS1_11target_archE4294967295ELNS1_3gpuE0ELNS1_3repE0EEENS1_30default_config_static_selectorELNS0_4arch9wavefront6targetE1EEEvT1_ ; -- Begin function _ZN7rocprim17ROCPRIM_400000_NS6detail17trampoline_kernelINS0_14default_configENS1_20scan_config_selectorIyEEZZNS1_9scan_implILNS1_25lookback_scan_determinismE0ELb0ELb0ES3_N6thrust23THRUST_200600_302600_NS6detail15normal_iteratorINS9_10device_ptrIyEEEESE_yNS9_4plusIvEEyEEDaPvRmT3_T4_T5_mT6_P12ihipStream_tbENKUlT_T0_E_clISt17integral_constantIbLb1EESU_EEDaSP_SQ_EUlSP_E_NS1_11comp_targetILNS1_3genE0ELNS1_11target_archE4294967295ELNS1_3gpuE0ELNS1_3repE0EEENS1_30default_config_static_selectorELNS0_4arch9wavefront6targetE1EEEvT1_
	.globl	_ZN7rocprim17ROCPRIM_400000_NS6detail17trampoline_kernelINS0_14default_configENS1_20scan_config_selectorIyEEZZNS1_9scan_implILNS1_25lookback_scan_determinismE0ELb0ELb0ES3_N6thrust23THRUST_200600_302600_NS6detail15normal_iteratorINS9_10device_ptrIyEEEESE_yNS9_4plusIvEEyEEDaPvRmT3_T4_T5_mT6_P12ihipStream_tbENKUlT_T0_E_clISt17integral_constantIbLb1EESU_EEDaSP_SQ_EUlSP_E_NS1_11comp_targetILNS1_3genE0ELNS1_11target_archE4294967295ELNS1_3gpuE0ELNS1_3repE0EEENS1_30default_config_static_selectorELNS0_4arch9wavefront6targetE1EEEvT1_
	.p2align	8
	.type	_ZN7rocprim17ROCPRIM_400000_NS6detail17trampoline_kernelINS0_14default_configENS1_20scan_config_selectorIyEEZZNS1_9scan_implILNS1_25lookback_scan_determinismE0ELb0ELb0ES3_N6thrust23THRUST_200600_302600_NS6detail15normal_iteratorINS9_10device_ptrIyEEEESE_yNS9_4plusIvEEyEEDaPvRmT3_T4_T5_mT6_P12ihipStream_tbENKUlT_T0_E_clISt17integral_constantIbLb1EESU_EEDaSP_SQ_EUlSP_E_NS1_11comp_targetILNS1_3genE0ELNS1_11target_archE4294967295ELNS1_3gpuE0ELNS1_3repE0EEENS1_30default_config_static_selectorELNS0_4arch9wavefront6targetE1EEEvT1_,@function
_ZN7rocprim17ROCPRIM_400000_NS6detail17trampoline_kernelINS0_14default_configENS1_20scan_config_selectorIyEEZZNS1_9scan_implILNS1_25lookback_scan_determinismE0ELb0ELb0ES3_N6thrust23THRUST_200600_302600_NS6detail15normal_iteratorINS9_10device_ptrIyEEEESE_yNS9_4plusIvEEyEEDaPvRmT3_T4_T5_mT6_P12ihipStream_tbENKUlT_T0_E_clISt17integral_constantIbLb1EESU_EEDaSP_SQ_EUlSP_E_NS1_11comp_targetILNS1_3genE0ELNS1_11target_archE4294967295ELNS1_3gpuE0ELNS1_3repE0EEENS1_30default_config_static_selectorELNS0_4arch9wavefront6targetE1EEEvT1_: ; @_ZN7rocprim17ROCPRIM_400000_NS6detail17trampoline_kernelINS0_14default_configENS1_20scan_config_selectorIyEEZZNS1_9scan_implILNS1_25lookback_scan_determinismE0ELb0ELb0ES3_N6thrust23THRUST_200600_302600_NS6detail15normal_iteratorINS9_10device_ptrIyEEEESE_yNS9_4plusIvEEyEEDaPvRmT3_T4_T5_mT6_P12ihipStream_tbENKUlT_T0_E_clISt17integral_constantIbLb1EESU_EEDaSP_SQ_EUlSP_E_NS1_11comp_targetILNS1_3genE0ELNS1_11target_archE4294967295ELNS1_3gpuE0ELNS1_3repE0EEENS1_30default_config_static_selectorELNS0_4arch9wavefront6targetE1EEEvT1_
; %bb.0:
	.section	.rodata,"a",@progbits
	.p2align	6, 0x0
	.amdhsa_kernel _ZN7rocprim17ROCPRIM_400000_NS6detail17trampoline_kernelINS0_14default_configENS1_20scan_config_selectorIyEEZZNS1_9scan_implILNS1_25lookback_scan_determinismE0ELb0ELb0ES3_N6thrust23THRUST_200600_302600_NS6detail15normal_iteratorINS9_10device_ptrIyEEEESE_yNS9_4plusIvEEyEEDaPvRmT3_T4_T5_mT6_P12ihipStream_tbENKUlT_T0_E_clISt17integral_constantIbLb1EESU_EEDaSP_SQ_EUlSP_E_NS1_11comp_targetILNS1_3genE0ELNS1_11target_archE4294967295ELNS1_3gpuE0ELNS1_3repE0EEENS1_30default_config_static_selectorELNS0_4arch9wavefront6targetE1EEEvT1_
		.amdhsa_group_segment_fixed_size 0
		.amdhsa_private_segment_fixed_size 0
		.amdhsa_kernarg_size 104
		.amdhsa_user_sgpr_count 6
		.amdhsa_user_sgpr_private_segment_buffer 1
		.amdhsa_user_sgpr_dispatch_ptr 0
		.amdhsa_user_sgpr_queue_ptr 0
		.amdhsa_user_sgpr_kernarg_segment_ptr 1
		.amdhsa_user_sgpr_dispatch_id 0
		.amdhsa_user_sgpr_flat_scratch_init 0
		.amdhsa_user_sgpr_kernarg_preload_length 0
		.amdhsa_user_sgpr_kernarg_preload_offset 0
		.amdhsa_user_sgpr_private_segment_size 0
		.amdhsa_uses_dynamic_stack 0
		.amdhsa_system_sgpr_private_segment_wavefront_offset 0
		.amdhsa_system_sgpr_workgroup_id_x 1
		.amdhsa_system_sgpr_workgroup_id_y 0
		.amdhsa_system_sgpr_workgroup_id_z 0
		.amdhsa_system_sgpr_workgroup_info 0
		.amdhsa_system_vgpr_workitem_id 0
		.amdhsa_next_free_vgpr 1
		.amdhsa_next_free_sgpr 0
		.amdhsa_accum_offset 4
		.amdhsa_reserve_vcc 0
		.amdhsa_reserve_flat_scratch 0
		.amdhsa_float_round_mode_32 0
		.amdhsa_float_round_mode_16_64 0
		.amdhsa_float_denorm_mode_32 3
		.amdhsa_float_denorm_mode_16_64 3
		.amdhsa_dx10_clamp 1
		.amdhsa_ieee_mode 1
		.amdhsa_fp16_overflow 0
		.amdhsa_tg_split 0
		.amdhsa_exception_fp_ieee_invalid_op 0
		.amdhsa_exception_fp_denorm_src 0
		.amdhsa_exception_fp_ieee_div_zero 0
		.amdhsa_exception_fp_ieee_overflow 0
		.amdhsa_exception_fp_ieee_underflow 0
		.amdhsa_exception_fp_ieee_inexact 0
		.amdhsa_exception_int_div_zero 0
	.end_amdhsa_kernel
	.section	.text._ZN7rocprim17ROCPRIM_400000_NS6detail17trampoline_kernelINS0_14default_configENS1_20scan_config_selectorIyEEZZNS1_9scan_implILNS1_25lookback_scan_determinismE0ELb0ELb0ES3_N6thrust23THRUST_200600_302600_NS6detail15normal_iteratorINS9_10device_ptrIyEEEESE_yNS9_4plusIvEEyEEDaPvRmT3_T4_T5_mT6_P12ihipStream_tbENKUlT_T0_E_clISt17integral_constantIbLb1EESU_EEDaSP_SQ_EUlSP_E_NS1_11comp_targetILNS1_3genE0ELNS1_11target_archE4294967295ELNS1_3gpuE0ELNS1_3repE0EEENS1_30default_config_static_selectorELNS0_4arch9wavefront6targetE1EEEvT1_,"axG",@progbits,_ZN7rocprim17ROCPRIM_400000_NS6detail17trampoline_kernelINS0_14default_configENS1_20scan_config_selectorIyEEZZNS1_9scan_implILNS1_25lookback_scan_determinismE0ELb0ELb0ES3_N6thrust23THRUST_200600_302600_NS6detail15normal_iteratorINS9_10device_ptrIyEEEESE_yNS9_4plusIvEEyEEDaPvRmT3_T4_T5_mT6_P12ihipStream_tbENKUlT_T0_E_clISt17integral_constantIbLb1EESU_EEDaSP_SQ_EUlSP_E_NS1_11comp_targetILNS1_3genE0ELNS1_11target_archE4294967295ELNS1_3gpuE0ELNS1_3repE0EEENS1_30default_config_static_selectorELNS0_4arch9wavefront6targetE1EEEvT1_,comdat
.Lfunc_end4448:
	.size	_ZN7rocprim17ROCPRIM_400000_NS6detail17trampoline_kernelINS0_14default_configENS1_20scan_config_selectorIyEEZZNS1_9scan_implILNS1_25lookback_scan_determinismE0ELb0ELb0ES3_N6thrust23THRUST_200600_302600_NS6detail15normal_iteratorINS9_10device_ptrIyEEEESE_yNS9_4plusIvEEyEEDaPvRmT3_T4_T5_mT6_P12ihipStream_tbENKUlT_T0_E_clISt17integral_constantIbLb1EESU_EEDaSP_SQ_EUlSP_E_NS1_11comp_targetILNS1_3genE0ELNS1_11target_archE4294967295ELNS1_3gpuE0ELNS1_3repE0EEENS1_30default_config_static_selectorELNS0_4arch9wavefront6targetE1EEEvT1_, .Lfunc_end4448-_ZN7rocprim17ROCPRIM_400000_NS6detail17trampoline_kernelINS0_14default_configENS1_20scan_config_selectorIyEEZZNS1_9scan_implILNS1_25lookback_scan_determinismE0ELb0ELb0ES3_N6thrust23THRUST_200600_302600_NS6detail15normal_iteratorINS9_10device_ptrIyEEEESE_yNS9_4plusIvEEyEEDaPvRmT3_T4_T5_mT6_P12ihipStream_tbENKUlT_T0_E_clISt17integral_constantIbLb1EESU_EEDaSP_SQ_EUlSP_E_NS1_11comp_targetILNS1_3genE0ELNS1_11target_archE4294967295ELNS1_3gpuE0ELNS1_3repE0EEENS1_30default_config_static_selectorELNS0_4arch9wavefront6targetE1EEEvT1_
                                        ; -- End function
	.section	.AMDGPU.csdata,"",@progbits
; Kernel info:
; codeLenInByte = 0
; NumSgprs: 4
; NumVgprs: 0
; NumAgprs: 0
; TotalNumVgprs: 0
; ScratchSize: 0
; MemoryBound: 0
; FloatMode: 240
; IeeeMode: 1
; LDSByteSize: 0 bytes/workgroup (compile time only)
; SGPRBlocks: 0
; VGPRBlocks: 0
; NumSGPRsForWavesPerEU: 4
; NumVGPRsForWavesPerEU: 1
; AccumOffset: 4
; Occupancy: 8
; WaveLimiterHint : 0
; COMPUTE_PGM_RSRC2:SCRATCH_EN: 0
; COMPUTE_PGM_RSRC2:USER_SGPR: 6
; COMPUTE_PGM_RSRC2:TRAP_HANDLER: 0
; COMPUTE_PGM_RSRC2:TGID_X_EN: 1
; COMPUTE_PGM_RSRC2:TGID_Y_EN: 0
; COMPUTE_PGM_RSRC2:TGID_Z_EN: 0
; COMPUTE_PGM_RSRC2:TIDIG_COMP_CNT: 0
; COMPUTE_PGM_RSRC3_GFX90A:ACCUM_OFFSET: 0
; COMPUTE_PGM_RSRC3_GFX90A:TG_SPLIT: 0
	.section	.text._ZN7rocprim17ROCPRIM_400000_NS6detail17trampoline_kernelINS0_14default_configENS1_20scan_config_selectorIyEEZZNS1_9scan_implILNS1_25lookback_scan_determinismE0ELb0ELb0ES3_N6thrust23THRUST_200600_302600_NS6detail15normal_iteratorINS9_10device_ptrIyEEEESE_yNS9_4plusIvEEyEEDaPvRmT3_T4_T5_mT6_P12ihipStream_tbENKUlT_T0_E_clISt17integral_constantIbLb1EESU_EEDaSP_SQ_EUlSP_E_NS1_11comp_targetILNS1_3genE5ELNS1_11target_archE942ELNS1_3gpuE9ELNS1_3repE0EEENS1_30default_config_static_selectorELNS0_4arch9wavefront6targetE1EEEvT1_,"axG",@progbits,_ZN7rocprim17ROCPRIM_400000_NS6detail17trampoline_kernelINS0_14default_configENS1_20scan_config_selectorIyEEZZNS1_9scan_implILNS1_25lookback_scan_determinismE0ELb0ELb0ES3_N6thrust23THRUST_200600_302600_NS6detail15normal_iteratorINS9_10device_ptrIyEEEESE_yNS9_4plusIvEEyEEDaPvRmT3_T4_T5_mT6_P12ihipStream_tbENKUlT_T0_E_clISt17integral_constantIbLb1EESU_EEDaSP_SQ_EUlSP_E_NS1_11comp_targetILNS1_3genE5ELNS1_11target_archE942ELNS1_3gpuE9ELNS1_3repE0EEENS1_30default_config_static_selectorELNS0_4arch9wavefront6targetE1EEEvT1_,comdat
	.protected	_ZN7rocprim17ROCPRIM_400000_NS6detail17trampoline_kernelINS0_14default_configENS1_20scan_config_selectorIyEEZZNS1_9scan_implILNS1_25lookback_scan_determinismE0ELb0ELb0ES3_N6thrust23THRUST_200600_302600_NS6detail15normal_iteratorINS9_10device_ptrIyEEEESE_yNS9_4plusIvEEyEEDaPvRmT3_T4_T5_mT6_P12ihipStream_tbENKUlT_T0_E_clISt17integral_constantIbLb1EESU_EEDaSP_SQ_EUlSP_E_NS1_11comp_targetILNS1_3genE5ELNS1_11target_archE942ELNS1_3gpuE9ELNS1_3repE0EEENS1_30default_config_static_selectorELNS0_4arch9wavefront6targetE1EEEvT1_ ; -- Begin function _ZN7rocprim17ROCPRIM_400000_NS6detail17trampoline_kernelINS0_14default_configENS1_20scan_config_selectorIyEEZZNS1_9scan_implILNS1_25lookback_scan_determinismE0ELb0ELb0ES3_N6thrust23THRUST_200600_302600_NS6detail15normal_iteratorINS9_10device_ptrIyEEEESE_yNS9_4plusIvEEyEEDaPvRmT3_T4_T5_mT6_P12ihipStream_tbENKUlT_T0_E_clISt17integral_constantIbLb1EESU_EEDaSP_SQ_EUlSP_E_NS1_11comp_targetILNS1_3genE5ELNS1_11target_archE942ELNS1_3gpuE9ELNS1_3repE0EEENS1_30default_config_static_selectorELNS0_4arch9wavefront6targetE1EEEvT1_
	.globl	_ZN7rocprim17ROCPRIM_400000_NS6detail17trampoline_kernelINS0_14default_configENS1_20scan_config_selectorIyEEZZNS1_9scan_implILNS1_25lookback_scan_determinismE0ELb0ELb0ES3_N6thrust23THRUST_200600_302600_NS6detail15normal_iteratorINS9_10device_ptrIyEEEESE_yNS9_4plusIvEEyEEDaPvRmT3_T4_T5_mT6_P12ihipStream_tbENKUlT_T0_E_clISt17integral_constantIbLb1EESU_EEDaSP_SQ_EUlSP_E_NS1_11comp_targetILNS1_3genE5ELNS1_11target_archE942ELNS1_3gpuE9ELNS1_3repE0EEENS1_30default_config_static_selectorELNS0_4arch9wavefront6targetE1EEEvT1_
	.p2align	8
	.type	_ZN7rocprim17ROCPRIM_400000_NS6detail17trampoline_kernelINS0_14default_configENS1_20scan_config_selectorIyEEZZNS1_9scan_implILNS1_25lookback_scan_determinismE0ELb0ELb0ES3_N6thrust23THRUST_200600_302600_NS6detail15normal_iteratorINS9_10device_ptrIyEEEESE_yNS9_4plusIvEEyEEDaPvRmT3_T4_T5_mT6_P12ihipStream_tbENKUlT_T0_E_clISt17integral_constantIbLb1EESU_EEDaSP_SQ_EUlSP_E_NS1_11comp_targetILNS1_3genE5ELNS1_11target_archE942ELNS1_3gpuE9ELNS1_3repE0EEENS1_30default_config_static_selectorELNS0_4arch9wavefront6targetE1EEEvT1_,@function
_ZN7rocprim17ROCPRIM_400000_NS6detail17trampoline_kernelINS0_14default_configENS1_20scan_config_selectorIyEEZZNS1_9scan_implILNS1_25lookback_scan_determinismE0ELb0ELb0ES3_N6thrust23THRUST_200600_302600_NS6detail15normal_iteratorINS9_10device_ptrIyEEEESE_yNS9_4plusIvEEyEEDaPvRmT3_T4_T5_mT6_P12ihipStream_tbENKUlT_T0_E_clISt17integral_constantIbLb1EESU_EEDaSP_SQ_EUlSP_E_NS1_11comp_targetILNS1_3genE5ELNS1_11target_archE942ELNS1_3gpuE9ELNS1_3repE0EEENS1_30default_config_static_selectorELNS0_4arch9wavefront6targetE1EEEvT1_: ; @_ZN7rocprim17ROCPRIM_400000_NS6detail17trampoline_kernelINS0_14default_configENS1_20scan_config_selectorIyEEZZNS1_9scan_implILNS1_25lookback_scan_determinismE0ELb0ELb0ES3_N6thrust23THRUST_200600_302600_NS6detail15normal_iteratorINS9_10device_ptrIyEEEESE_yNS9_4plusIvEEyEEDaPvRmT3_T4_T5_mT6_P12ihipStream_tbENKUlT_T0_E_clISt17integral_constantIbLb1EESU_EEDaSP_SQ_EUlSP_E_NS1_11comp_targetILNS1_3genE5ELNS1_11target_archE942ELNS1_3gpuE9ELNS1_3repE0EEENS1_30default_config_static_selectorELNS0_4arch9wavefront6targetE1EEEvT1_
; %bb.0:
	.section	.rodata,"a",@progbits
	.p2align	6, 0x0
	.amdhsa_kernel _ZN7rocprim17ROCPRIM_400000_NS6detail17trampoline_kernelINS0_14default_configENS1_20scan_config_selectorIyEEZZNS1_9scan_implILNS1_25lookback_scan_determinismE0ELb0ELb0ES3_N6thrust23THRUST_200600_302600_NS6detail15normal_iteratorINS9_10device_ptrIyEEEESE_yNS9_4plusIvEEyEEDaPvRmT3_T4_T5_mT6_P12ihipStream_tbENKUlT_T0_E_clISt17integral_constantIbLb1EESU_EEDaSP_SQ_EUlSP_E_NS1_11comp_targetILNS1_3genE5ELNS1_11target_archE942ELNS1_3gpuE9ELNS1_3repE0EEENS1_30default_config_static_selectorELNS0_4arch9wavefront6targetE1EEEvT1_
		.amdhsa_group_segment_fixed_size 0
		.amdhsa_private_segment_fixed_size 0
		.amdhsa_kernarg_size 104
		.amdhsa_user_sgpr_count 6
		.amdhsa_user_sgpr_private_segment_buffer 1
		.amdhsa_user_sgpr_dispatch_ptr 0
		.amdhsa_user_sgpr_queue_ptr 0
		.amdhsa_user_sgpr_kernarg_segment_ptr 1
		.amdhsa_user_sgpr_dispatch_id 0
		.amdhsa_user_sgpr_flat_scratch_init 0
		.amdhsa_user_sgpr_kernarg_preload_length 0
		.amdhsa_user_sgpr_kernarg_preload_offset 0
		.amdhsa_user_sgpr_private_segment_size 0
		.amdhsa_uses_dynamic_stack 0
		.amdhsa_system_sgpr_private_segment_wavefront_offset 0
		.amdhsa_system_sgpr_workgroup_id_x 1
		.amdhsa_system_sgpr_workgroup_id_y 0
		.amdhsa_system_sgpr_workgroup_id_z 0
		.amdhsa_system_sgpr_workgroup_info 0
		.amdhsa_system_vgpr_workitem_id 0
		.amdhsa_next_free_vgpr 1
		.amdhsa_next_free_sgpr 0
		.amdhsa_accum_offset 4
		.amdhsa_reserve_vcc 0
		.amdhsa_reserve_flat_scratch 0
		.amdhsa_float_round_mode_32 0
		.amdhsa_float_round_mode_16_64 0
		.amdhsa_float_denorm_mode_32 3
		.amdhsa_float_denorm_mode_16_64 3
		.amdhsa_dx10_clamp 1
		.amdhsa_ieee_mode 1
		.amdhsa_fp16_overflow 0
		.amdhsa_tg_split 0
		.amdhsa_exception_fp_ieee_invalid_op 0
		.amdhsa_exception_fp_denorm_src 0
		.amdhsa_exception_fp_ieee_div_zero 0
		.amdhsa_exception_fp_ieee_overflow 0
		.amdhsa_exception_fp_ieee_underflow 0
		.amdhsa_exception_fp_ieee_inexact 0
		.amdhsa_exception_int_div_zero 0
	.end_amdhsa_kernel
	.section	.text._ZN7rocprim17ROCPRIM_400000_NS6detail17trampoline_kernelINS0_14default_configENS1_20scan_config_selectorIyEEZZNS1_9scan_implILNS1_25lookback_scan_determinismE0ELb0ELb0ES3_N6thrust23THRUST_200600_302600_NS6detail15normal_iteratorINS9_10device_ptrIyEEEESE_yNS9_4plusIvEEyEEDaPvRmT3_T4_T5_mT6_P12ihipStream_tbENKUlT_T0_E_clISt17integral_constantIbLb1EESU_EEDaSP_SQ_EUlSP_E_NS1_11comp_targetILNS1_3genE5ELNS1_11target_archE942ELNS1_3gpuE9ELNS1_3repE0EEENS1_30default_config_static_selectorELNS0_4arch9wavefront6targetE1EEEvT1_,"axG",@progbits,_ZN7rocprim17ROCPRIM_400000_NS6detail17trampoline_kernelINS0_14default_configENS1_20scan_config_selectorIyEEZZNS1_9scan_implILNS1_25lookback_scan_determinismE0ELb0ELb0ES3_N6thrust23THRUST_200600_302600_NS6detail15normal_iteratorINS9_10device_ptrIyEEEESE_yNS9_4plusIvEEyEEDaPvRmT3_T4_T5_mT6_P12ihipStream_tbENKUlT_T0_E_clISt17integral_constantIbLb1EESU_EEDaSP_SQ_EUlSP_E_NS1_11comp_targetILNS1_3genE5ELNS1_11target_archE942ELNS1_3gpuE9ELNS1_3repE0EEENS1_30default_config_static_selectorELNS0_4arch9wavefront6targetE1EEEvT1_,comdat
.Lfunc_end4449:
	.size	_ZN7rocprim17ROCPRIM_400000_NS6detail17trampoline_kernelINS0_14default_configENS1_20scan_config_selectorIyEEZZNS1_9scan_implILNS1_25lookback_scan_determinismE0ELb0ELb0ES3_N6thrust23THRUST_200600_302600_NS6detail15normal_iteratorINS9_10device_ptrIyEEEESE_yNS9_4plusIvEEyEEDaPvRmT3_T4_T5_mT6_P12ihipStream_tbENKUlT_T0_E_clISt17integral_constantIbLb1EESU_EEDaSP_SQ_EUlSP_E_NS1_11comp_targetILNS1_3genE5ELNS1_11target_archE942ELNS1_3gpuE9ELNS1_3repE0EEENS1_30default_config_static_selectorELNS0_4arch9wavefront6targetE1EEEvT1_, .Lfunc_end4449-_ZN7rocprim17ROCPRIM_400000_NS6detail17trampoline_kernelINS0_14default_configENS1_20scan_config_selectorIyEEZZNS1_9scan_implILNS1_25lookback_scan_determinismE0ELb0ELb0ES3_N6thrust23THRUST_200600_302600_NS6detail15normal_iteratorINS9_10device_ptrIyEEEESE_yNS9_4plusIvEEyEEDaPvRmT3_T4_T5_mT6_P12ihipStream_tbENKUlT_T0_E_clISt17integral_constantIbLb1EESU_EEDaSP_SQ_EUlSP_E_NS1_11comp_targetILNS1_3genE5ELNS1_11target_archE942ELNS1_3gpuE9ELNS1_3repE0EEENS1_30default_config_static_selectorELNS0_4arch9wavefront6targetE1EEEvT1_
                                        ; -- End function
	.section	.AMDGPU.csdata,"",@progbits
; Kernel info:
; codeLenInByte = 0
; NumSgprs: 4
; NumVgprs: 0
; NumAgprs: 0
; TotalNumVgprs: 0
; ScratchSize: 0
; MemoryBound: 0
; FloatMode: 240
; IeeeMode: 1
; LDSByteSize: 0 bytes/workgroup (compile time only)
; SGPRBlocks: 0
; VGPRBlocks: 0
; NumSGPRsForWavesPerEU: 4
; NumVGPRsForWavesPerEU: 1
; AccumOffset: 4
; Occupancy: 8
; WaveLimiterHint : 0
; COMPUTE_PGM_RSRC2:SCRATCH_EN: 0
; COMPUTE_PGM_RSRC2:USER_SGPR: 6
; COMPUTE_PGM_RSRC2:TRAP_HANDLER: 0
; COMPUTE_PGM_RSRC2:TGID_X_EN: 1
; COMPUTE_PGM_RSRC2:TGID_Y_EN: 0
; COMPUTE_PGM_RSRC2:TGID_Z_EN: 0
; COMPUTE_PGM_RSRC2:TIDIG_COMP_CNT: 0
; COMPUTE_PGM_RSRC3_GFX90A:ACCUM_OFFSET: 0
; COMPUTE_PGM_RSRC3_GFX90A:TG_SPLIT: 0
	.section	.text._ZN7rocprim17ROCPRIM_400000_NS6detail17trampoline_kernelINS0_14default_configENS1_20scan_config_selectorIyEEZZNS1_9scan_implILNS1_25lookback_scan_determinismE0ELb0ELb0ES3_N6thrust23THRUST_200600_302600_NS6detail15normal_iteratorINS9_10device_ptrIyEEEESE_yNS9_4plusIvEEyEEDaPvRmT3_T4_T5_mT6_P12ihipStream_tbENKUlT_T0_E_clISt17integral_constantIbLb1EESU_EEDaSP_SQ_EUlSP_E_NS1_11comp_targetILNS1_3genE4ELNS1_11target_archE910ELNS1_3gpuE8ELNS1_3repE0EEENS1_30default_config_static_selectorELNS0_4arch9wavefront6targetE1EEEvT1_,"axG",@progbits,_ZN7rocprim17ROCPRIM_400000_NS6detail17trampoline_kernelINS0_14default_configENS1_20scan_config_selectorIyEEZZNS1_9scan_implILNS1_25lookback_scan_determinismE0ELb0ELb0ES3_N6thrust23THRUST_200600_302600_NS6detail15normal_iteratorINS9_10device_ptrIyEEEESE_yNS9_4plusIvEEyEEDaPvRmT3_T4_T5_mT6_P12ihipStream_tbENKUlT_T0_E_clISt17integral_constantIbLb1EESU_EEDaSP_SQ_EUlSP_E_NS1_11comp_targetILNS1_3genE4ELNS1_11target_archE910ELNS1_3gpuE8ELNS1_3repE0EEENS1_30default_config_static_selectorELNS0_4arch9wavefront6targetE1EEEvT1_,comdat
	.protected	_ZN7rocprim17ROCPRIM_400000_NS6detail17trampoline_kernelINS0_14default_configENS1_20scan_config_selectorIyEEZZNS1_9scan_implILNS1_25lookback_scan_determinismE0ELb0ELb0ES3_N6thrust23THRUST_200600_302600_NS6detail15normal_iteratorINS9_10device_ptrIyEEEESE_yNS9_4plusIvEEyEEDaPvRmT3_T4_T5_mT6_P12ihipStream_tbENKUlT_T0_E_clISt17integral_constantIbLb1EESU_EEDaSP_SQ_EUlSP_E_NS1_11comp_targetILNS1_3genE4ELNS1_11target_archE910ELNS1_3gpuE8ELNS1_3repE0EEENS1_30default_config_static_selectorELNS0_4arch9wavefront6targetE1EEEvT1_ ; -- Begin function _ZN7rocprim17ROCPRIM_400000_NS6detail17trampoline_kernelINS0_14default_configENS1_20scan_config_selectorIyEEZZNS1_9scan_implILNS1_25lookback_scan_determinismE0ELb0ELb0ES3_N6thrust23THRUST_200600_302600_NS6detail15normal_iteratorINS9_10device_ptrIyEEEESE_yNS9_4plusIvEEyEEDaPvRmT3_T4_T5_mT6_P12ihipStream_tbENKUlT_T0_E_clISt17integral_constantIbLb1EESU_EEDaSP_SQ_EUlSP_E_NS1_11comp_targetILNS1_3genE4ELNS1_11target_archE910ELNS1_3gpuE8ELNS1_3repE0EEENS1_30default_config_static_selectorELNS0_4arch9wavefront6targetE1EEEvT1_
	.globl	_ZN7rocprim17ROCPRIM_400000_NS6detail17trampoline_kernelINS0_14default_configENS1_20scan_config_selectorIyEEZZNS1_9scan_implILNS1_25lookback_scan_determinismE0ELb0ELb0ES3_N6thrust23THRUST_200600_302600_NS6detail15normal_iteratorINS9_10device_ptrIyEEEESE_yNS9_4plusIvEEyEEDaPvRmT3_T4_T5_mT6_P12ihipStream_tbENKUlT_T0_E_clISt17integral_constantIbLb1EESU_EEDaSP_SQ_EUlSP_E_NS1_11comp_targetILNS1_3genE4ELNS1_11target_archE910ELNS1_3gpuE8ELNS1_3repE0EEENS1_30default_config_static_selectorELNS0_4arch9wavefront6targetE1EEEvT1_
	.p2align	8
	.type	_ZN7rocprim17ROCPRIM_400000_NS6detail17trampoline_kernelINS0_14default_configENS1_20scan_config_selectorIyEEZZNS1_9scan_implILNS1_25lookback_scan_determinismE0ELb0ELb0ES3_N6thrust23THRUST_200600_302600_NS6detail15normal_iteratorINS9_10device_ptrIyEEEESE_yNS9_4plusIvEEyEEDaPvRmT3_T4_T5_mT6_P12ihipStream_tbENKUlT_T0_E_clISt17integral_constantIbLb1EESU_EEDaSP_SQ_EUlSP_E_NS1_11comp_targetILNS1_3genE4ELNS1_11target_archE910ELNS1_3gpuE8ELNS1_3repE0EEENS1_30default_config_static_selectorELNS0_4arch9wavefront6targetE1EEEvT1_,@function
_ZN7rocprim17ROCPRIM_400000_NS6detail17trampoline_kernelINS0_14default_configENS1_20scan_config_selectorIyEEZZNS1_9scan_implILNS1_25lookback_scan_determinismE0ELb0ELb0ES3_N6thrust23THRUST_200600_302600_NS6detail15normal_iteratorINS9_10device_ptrIyEEEESE_yNS9_4plusIvEEyEEDaPvRmT3_T4_T5_mT6_P12ihipStream_tbENKUlT_T0_E_clISt17integral_constantIbLb1EESU_EEDaSP_SQ_EUlSP_E_NS1_11comp_targetILNS1_3genE4ELNS1_11target_archE910ELNS1_3gpuE8ELNS1_3repE0EEENS1_30default_config_static_selectorELNS0_4arch9wavefront6targetE1EEEvT1_: ; @_ZN7rocprim17ROCPRIM_400000_NS6detail17trampoline_kernelINS0_14default_configENS1_20scan_config_selectorIyEEZZNS1_9scan_implILNS1_25lookback_scan_determinismE0ELb0ELb0ES3_N6thrust23THRUST_200600_302600_NS6detail15normal_iteratorINS9_10device_ptrIyEEEESE_yNS9_4plusIvEEyEEDaPvRmT3_T4_T5_mT6_P12ihipStream_tbENKUlT_T0_E_clISt17integral_constantIbLb1EESU_EEDaSP_SQ_EUlSP_E_NS1_11comp_targetILNS1_3genE4ELNS1_11target_archE910ELNS1_3gpuE8ELNS1_3repE0EEENS1_30default_config_static_selectorELNS0_4arch9wavefront6targetE1EEEvT1_
; %bb.0:
	s_load_dwordx2 s[10:11], s[4:5], 0x30
	v_cmp_ne_u32_e64 s[0:1], 0, v0
	v_cmp_eq_u32_e64 s[2:3], 0, v0
	s_and_saveexec_b64 s[6:7], s[2:3]
	s_cbranch_execz .LBB4450_4
; %bb.1:
	s_mov_b64 s[12:13], exec
	v_mbcnt_lo_u32_b32 v1, s12, 0
	v_mbcnt_hi_u32_b32 v1, s13, v1
	v_cmp_eq_u32_e32 vcc, 0, v1
                                        ; implicit-def: $vgpr2
	s_and_saveexec_b64 s[8:9], vcc
	s_cbranch_execz .LBB4450_3
; %bb.2:
	s_load_dwordx2 s[14:15], s[4:5], 0x60
	s_bcnt1_i32_b64 s12, s[12:13]
	v_mov_b32_e32 v2, 0
	v_mov_b32_e32 v3, s12
	s_waitcnt lgkmcnt(0)
	global_atomic_add v2, v2, v3, s[14:15] glc
.LBB4450_3:
	s_or_b64 exec, exec, s[8:9]
	s_waitcnt vmcnt(0)
	v_readfirstlane_b32 s8, v2
	v_add_u32_e32 v1, s8, v1
	v_mov_b32_e32 v2, 0
	ds_write_b32 v2, v1
.LBB4450_4:
	s_or_b64 exec, exec, s[6:7]
	s_load_dwordx8 s[20:27], s[4:5], 0x0
	s_load_dword s6, s[4:5], 0x38
	s_load_dwordx8 s[12:19], s[4:5], 0x40
	v_mov_b32_e32 v1, 0
	s_waitcnt lgkmcnt(0)
	s_barrier
	ds_read_b32 v1, v1
	s_lshl_b64 s[22:23], s[22:23], 3
	s_add_u32 s7, s20, s22
	s_addc_u32 s8, s21, s23
	s_add_i32 s6, s6, -1
	s_mul_i32 s9, s6, 0x380
	s_sub_u32 s30, s26, s9
	s_waitcnt lgkmcnt(0)
	v_readfirstlane_b32 s33, v1
	s_subb_u32 s31, s27, 0
	s_mul_i32 s4, s33, 0x380
	s_mov_b32 s5, 0
	s_cmp_lg_u32 s33, s6
	s_cselect_b64 s[20:21], -1, 0
	s_lshl_b64 s[26:27], s[4:5], 3
	s_add_u32 s6, s7, s26
	s_addc_u32 s7, s8, s27
	s_mov_b64 s[4:5], -1
	s_and_b64 vcc, exec, s[20:21]
	v_lshlrev_b32_e32 v36, 3, v0
	s_barrier
	s_cbranch_vccz .LBB4450_6
; %bb.5:
	v_mov_b32_e32 v1, s7
	v_add_co_u32_e32 v2, vcc, s6, v36
	v_addc_co_u32_e32 v3, vcc, 0, v1, vcc
	flat_load_dwordx2 v[4:5], v[2:3]
	flat_load_dwordx2 v[6:7], v[2:3] offset:1024
	flat_load_dwordx2 v[8:9], v[2:3] offset:2048
	;; [unrolled: 1-line block ×3, first 2 shown]
	v_add_co_u32_e32 v2, vcc, 0x1000, v2
	v_addc_co_u32_e32 v3, vcc, 0, v3, vcc
	flat_load_dwordx2 v[12:13], v[2:3]
	flat_load_dwordx2 v[14:15], v[2:3] offset:1024
	flat_load_dwordx2 v[16:17], v[2:3] offset:2048
	s_mov_b64 s[4:5], 0
	s_waitcnt vmcnt(0) lgkmcnt(0)
	ds_write2st64_b64 v36, v[4:5], v[6:7] offset1:2
	ds_write2st64_b64 v36, v[8:9], v[10:11] offset0:4 offset1:6
	ds_write2st64_b64 v36, v[12:13], v[14:15] offset0:8 offset1:10
	ds_write_b64 v36, v[16:17] offset:6144
	s_waitcnt lgkmcnt(0)
	s_barrier
.LBB4450_6:
	s_andn2_b64 vcc, exec, s[4:5]
	v_cmp_gt_u32_e64 s[4:5], s30, v0
	s_cbranch_vccnz .LBB4450_22
; %bb.7:
	v_pk_mov_b32 v[2:3], s[6:7], s[6:7] op_sel:[0,1]
	flat_load_dwordx2 v[2:3], v[2:3]
	s_waitcnt vmcnt(0) lgkmcnt(0)
	v_mov_b32_e32 v4, v2
	v_mov_b32_e32 v5, v3
	;; [unrolled: 1-line block ×10, first 2 shown]
	v_pk_mov_b32 v[18:19], v[14:15], v[14:15] op_sel:[0,1]
	v_pk_mov_b32 v[16:17], v[12:13], v[12:13] op_sel:[0,1]
	;; [unrolled: 1-line block ×8, first 2 shown]
	s_and_saveexec_b64 s[8:9], s[4:5]
	s_cbranch_execz .LBB4450_9
; %bb.8:
	v_mov_b32_e32 v1, s7
	v_add_co_u32_e32 v4, vcc, s6, v36
	v_addc_co_u32_e32 v5, vcc, 0, v1, vcc
	flat_load_dwordx2 v[20:21], v[4:5]
	v_mov_b32_e32 v4, v2
	v_mov_b32_e32 v5, v3
	;; [unrolled: 1-line block ×10, first 2 shown]
	v_pk_mov_b32 v[18:19], v[14:15], v[14:15] op_sel:[0,1]
	v_pk_mov_b32 v[16:17], v[12:13], v[12:13] op_sel:[0,1]
	;; [unrolled: 1-line block ×8, first 2 shown]
	s_waitcnt vmcnt(0) lgkmcnt(0)
	v_pk_mov_b32 v[2:3], v[20:21], v[20:21] op_sel:[0,1]
.LBB4450_9:
	s_or_b64 exec, exec, s[8:9]
	v_or_b32_e32 v1, 0x80, v0
	v_cmp_gt_u32_e32 vcc, s30, v1
	s_and_saveexec_b64 s[4:5], vcc
	s_cbranch_execz .LBB4450_11
; %bb.10:
	v_mov_b32_e32 v1, s7
	v_add_co_u32_e32 v4, vcc, s6, v36
	v_addc_co_u32_e32 v5, vcc, 0, v1, vcc
	flat_load_dwordx2 v[6:7], v[4:5] offset:1024
.LBB4450_11:
	s_or_b64 exec, exec, s[4:5]
	v_or_b32_e32 v1, 0x100, v0
	v_cmp_gt_u32_e32 vcc, s30, v1
	s_and_saveexec_b64 s[4:5], vcc
	s_cbranch_execz .LBB4450_13
; %bb.12:
	v_mov_b32_e32 v1, s7
	v_add_co_u32_e32 v4, vcc, s6, v36
	v_addc_co_u32_e32 v5, vcc, 0, v1, vcc
	flat_load_dwordx2 v[8:9], v[4:5] offset:2048
.LBB4450_13:
	;; [unrolled: 11-line block ×3, first 2 shown]
	s_or_b64 exec, exec, s[4:5]
	v_or_b32_e32 v1, 0x200, v0
	v_cmp_gt_u32_e32 vcc, s30, v1
	s_and_saveexec_b64 s[4:5], vcc
	s_cbranch_execz .LBB4450_17
; %bb.16:
	v_lshlrev_b32_e32 v1, 3, v1
	v_mov_b32_e32 v5, s7
	v_add_co_u32_e32 v4, vcc, s6, v1
	v_addc_co_u32_e32 v5, vcc, 0, v5, vcc
	flat_load_dwordx2 v[12:13], v[4:5]
.LBB4450_17:
	s_or_b64 exec, exec, s[4:5]
	v_or_b32_e32 v1, 0x280, v0
	v_cmp_gt_u32_e32 vcc, s30, v1
	s_and_saveexec_b64 s[4:5], vcc
	s_cbranch_execz .LBB4450_19
; %bb.18:
	v_lshlrev_b32_e32 v1, 3, v1
	v_mov_b32_e32 v5, s7
	v_add_co_u32_e32 v4, vcc, s6, v1
	v_addc_co_u32_e32 v5, vcc, 0, v5, vcc
	flat_load_dwordx2 v[14:15], v[4:5]
.LBB4450_19:
	s_or_b64 exec, exec, s[4:5]
	v_or_b32_e32 v1, 0x300, v0
	v_cmp_gt_u32_e32 vcc, s30, v1
	s_and_saveexec_b64 s[4:5], vcc
	s_cbranch_execz .LBB4450_21
; %bb.20:
	v_lshlrev_b32_e32 v1, 3, v1
	v_mov_b32_e32 v5, s7
	v_add_co_u32_e32 v4, vcc, s6, v1
	v_addc_co_u32_e32 v5, vcc, 0, v5, vcc
	flat_load_dwordx2 v[16:17], v[4:5]
.LBB4450_21:
	s_or_b64 exec, exec, s[4:5]
	s_waitcnt vmcnt(0) lgkmcnt(0)
	ds_write2st64_b64 v36, v[2:3], v[6:7] offset1:2
	ds_write2st64_b64 v36, v[8:9], v[10:11] offset0:4 offset1:6
	ds_write2st64_b64 v36, v[12:13], v[14:15] offset0:8 offset1:10
	ds_write_b64 v36, v[16:17] offset:6144
	s_waitcnt lgkmcnt(0)
	s_barrier
.LBB4450_22:
	v_mul_u32_u24_e32 v37, 7, v0
	v_lshlrev_b32_e32 v1, 3, v37
	ds_read2_b64 v[2:5], v1 offset1:1
	ds_read2_b64 v[10:13], v1 offset0:2 offset1:3
	ds_read2_b64 v[6:9], v1 offset0:4 offset1:5
	ds_read_b64 v[28:29], v1 offset:48
	s_cmp_lg_u32 s33, 0
	v_lshrrev_b32_e32 v38, 5, v0
	v_cmp_gt_u32_e32 vcc, 64, v0
	s_waitcnt lgkmcnt(0)
	s_barrier
	s_cbranch_scc0 .LBB4450_53
; %bb.23:
	v_add_co_u32_e64 v1, s[4:5], v4, v2
	v_addc_co_u32_e64 v14, s[4:5], v5, v3, s[4:5]
	v_add_co_u32_e64 v1, s[4:5], v1, v10
	v_addc_co_u32_e64 v14, s[4:5], v14, v11, s[4:5]
	;; [unrolled: 2-line block ×6, first 2 shown]
	v_add_lshl_u32 v1, v38, v0, 3
	ds_write_b64 v1, v[18:19]
	s_waitcnt lgkmcnt(0)
	s_barrier
	s_and_saveexec_b64 s[8:9], vcc
	s_cbranch_execz .LBB4450_27
; %bb.24:
	v_lshlrev_b32_e32 v1, 1, v0
	v_lshrrev_b32_e32 v14, 4, v0
	v_add_lshl_u32 v20, v14, v1, 3
	ds_read2_b64 v[14:17], v20 offset1:1
	v_mbcnt_lo_u32_b32 v1, -1, 0
	s_waitcnt lgkmcnt(0)
	v_add_co_u32_e64 v21, s[4:5], v16, v14
	v_addc_co_u32_e64 v22, s[4:5], v17, v15, s[4:5]
	s_nop 0
	v_mov_b32_dpp v16, v21 row_shr:1 row_mask:0xf bank_mask:0xf
	v_add_co_u32_e64 v16, s[4:5], v21, v16
	v_addc_co_u32_e64 v24, s[4:5], 0, v22, s[4:5]
	v_mbcnt_hi_u32_b32 v17, -1, v1
	v_mov_b32_dpp v23, v22 row_shr:1 row_mask:0xf bank_mask:0xf
	v_add_co_u32_e64 v25, s[4:5], 0, v16
	v_and_b32_e32 v1, 15, v17
	v_addc_co_u32_e64 v23, s[4:5], v23, v24, s[4:5]
	v_cmp_eq_u32_e64 s[4:5], 0, v1
	v_cndmask_b32_e64 v16, v16, v21, s[4:5]
	v_cndmask_b32_e64 v23, v23, v22, s[4:5]
	v_cndmask_b32_e64 v24, v25, v21, s[4:5]
	v_mov_b32_dpp v25, v16 row_shr:2 row_mask:0xf bank_mask:0xf
	v_mov_b32_dpp v26, v23 row_shr:2 row_mask:0xf bank_mask:0xf
	v_add_co_u32_e64 v25, s[4:5], v25, v24
	v_addc_co_u32_e64 v26, s[4:5], v26, v23, s[4:5]
	v_cmp_lt_u32_e64 s[4:5], 1, v1
	v_cndmask_b32_e64 v16, v16, v25, s[4:5]
	v_cndmask_b32_e64 v23, v23, v26, s[4:5]
	v_cndmask_b32_e64 v24, v24, v25, s[4:5]
	v_mov_b32_dpp v25, v16 row_shr:4 row_mask:0xf bank_mask:0xf
	v_mov_b32_dpp v26, v23 row_shr:4 row_mask:0xf bank_mask:0xf
	v_add_co_u32_e64 v25, s[4:5], v25, v24
	v_addc_co_u32_e64 v26, s[4:5], v26, v23, s[4:5]
	v_cmp_lt_u32_e64 s[4:5], 3, v1
	;; [unrolled: 8-line block ×3, first 2 shown]
	v_cndmask_b32_e64 v27, v16, v25, s[4:5]
	v_cndmask_b32_e64 v1, v23, v26, s[4:5]
	;; [unrolled: 1-line block ×3, first 2 shown]
	v_mov_b32_dpp v23, v27 row_bcast:15 row_mask:0xf bank_mask:0xf
	v_mov_b32_dpp v24, v1 row_bcast:15 row_mask:0xf bank_mask:0xf
	v_add_co_u32_e64 v23, s[4:5], v23, v16
	v_and_b32_e32 v26, 16, v17
	v_addc_co_u32_e64 v25, s[4:5], v24, v1, s[4:5]
	v_cmp_eq_u32_e64 s[4:5], 0, v26
	v_cndmask_b32_e64 v26, v25, v1, s[4:5]
	v_cndmask_b32_e64 v24, v23, v27, s[4:5]
	v_cmp_ne_u32_e64 s[6:7], 0, v17
	v_mov_b32_dpp v26, v26 row_bcast:31 row_mask:0xf bank_mask:0xf
	v_mov_b32_dpp v24, v24 row_bcast:31 row_mask:0xf bank_mask:0xf
	s_and_saveexec_b64 s[28:29], s[6:7]
; %bb.25:
	v_cndmask_b32_e64 v1, v25, v1, s[4:5]
	v_cndmask_b32_e64 v16, v23, v16, s[4:5]
	v_cmp_lt_u32_e64 s[4:5], 31, v17
	v_cndmask_b32_e64 v21, 0, v24, s[4:5]
	v_cndmask_b32_e64 v22, 0, v26, s[4:5]
	v_add_co_u32_e64 v21, s[4:5], v21, v16
	v_addc_co_u32_e64 v22, s[4:5], v22, v1, s[4:5]
; %bb.26:
	s_or_b64 exec, exec, s[28:29]
	v_add_u32_e32 v1, -1, v17
	v_and_b32_e32 v16, 64, v17
	v_cmp_lt_i32_e64 s[4:5], v1, v16
	v_cndmask_b32_e64 v1, v1, v17, s[4:5]
	v_lshlrev_b32_e32 v1, 2, v1
	ds_bpermute_b32 v16, v1, v21
	ds_bpermute_b32 v1, v1, v22
	; wave barrier
	s_waitcnt lgkmcnt(1)
	v_add_co_u32_e64 v14, s[4:5], v14, v16
	v_addc_co_u32_e64 v15, s[4:5], 0, v15, s[4:5]
	v_add_co_u32_e64 v14, s[4:5], 0, v14
	s_waitcnt lgkmcnt(0)
	v_addc_co_u32_e64 v1, s[4:5], v15, v1, s[4:5]
	v_cndmask_b32_e64 v15, v1, v19, s[2:3]
	v_cndmask_b32_e64 v14, v14, v18, s[2:3]
	ds_write_b64 v20, v[14:15]
	; wave barrier
	ds_read_b64 v[16:17], v20 offset:8
	s_waitcnt lgkmcnt(0)
	v_add_co_u32_e64 v14, s[4:5], v16, v14
	v_addc_co_u32_e64 v15, s[4:5], v17, v15, s[4:5]
	ds_write_b64 v20, v[14:15] offset:8
.LBB4450_27:
	s_or_b64 exec, exec, s[8:9]
	v_pk_mov_b32 v[22:23], 0, 0
	s_waitcnt lgkmcnt(0)
	s_barrier
	s_and_saveexec_b64 s[4:5], s[0:1]
	s_cbranch_execz .LBB4450_29
; %bb.28:
	v_add_u32_e32 v1, -1, v0
	v_lshrrev_b32_e32 v14, 5, v1
	v_add_lshl_u32 v1, v14, v1, 3
	ds_read_b64 v[22:23], v1
.LBB4450_29:
	s_or_b64 exec, exec, s[4:5]
	s_and_saveexec_b64 s[28:29], vcc
	s_cbranch_execz .LBB4450_52
; %bb.30:
	v_mov_b32_e32 v17, 0
	ds_read_b64 v[14:15], v17 offset:1040
	v_mbcnt_lo_u32_b32 v1, -1, 0
	v_mbcnt_hi_u32_b32 v30, -1, v1
	s_mov_b32 s9, 0
	v_cmp_eq_u32_e64 s[4:5], 0, v30
	s_and_saveexec_b64 s[6:7], s[4:5]
	s_cbranch_execz .LBB4450_32
; %bb.31:
	s_add_i32 s8, s33, 64
	s_lshl_b64 s[8:9], s[8:9], 4
	s_add_u32 s8, s10, s8
	s_addc_u32 s9, s11, s9
	v_mov_b32_e32 v16, 1
	v_pk_mov_b32 v[18:19], s[8:9], s[8:9] op_sel:[0,1]
	s_waitcnt lgkmcnt(0)
	;;#ASMSTART
	global_store_dwordx4 v[18:19], v[14:17] off	
s_waitcnt vmcnt(0)
	;;#ASMEND
.LBB4450_32:
	s_or_b64 exec, exec, s[6:7]
	v_xad_u32 v24, v30, -1, s33
	v_add_u32_e32 v16, 64, v24
	v_lshlrev_b64 v[18:19], 4, v[16:17]
	v_mov_b32_e32 v1, s11
	v_add_co_u32_e32 v26, vcc, s10, v18
	v_addc_co_u32_e32 v27, vcc, v1, v19, vcc
	;;#ASMSTART
	global_load_dwordx4 v[18:21], v[26:27] off glc	
s_waitcnt vmcnt(0)
	;;#ASMEND
	v_and_b32_e32 v1, 0xff, v19
	v_and_b32_e32 v16, 0xff00, v19
	v_or3_b32 v1, 0, v1, v16
	v_or3_b32 v16, v18, 0, 0
	v_and_b32_e32 v18, 0xff000000, v19
	v_and_b32_e32 v19, 0xff0000, v19
	v_or3_b32 v19, v1, v19, v18
	v_or3_b32 v18, v16, 0, 0
	v_cmp_eq_u16_sdwa s[8:9], v20, v17 src0_sel:BYTE_0 src1_sel:DWORD
	s_and_saveexec_b64 s[6:7], s[8:9]
	s_cbranch_execz .LBB4450_38
; %bb.33:
	s_mov_b32 s34, 1
	s_mov_b64 s[8:9], 0
	v_mov_b32_e32 v1, 0
.LBB4450_34:                            ; =>This Loop Header: Depth=1
                                        ;     Child Loop BB4450_35 Depth 2
	s_max_u32 s35, s34, 1
.LBB4450_35:                            ;   Parent Loop BB4450_34 Depth=1
                                        ; =>  This Inner Loop Header: Depth=2
	s_add_i32 s35, s35, -1
	s_cmp_eq_u32 s35, 0
	s_sleep 1
	s_cbranch_scc0 .LBB4450_35
; %bb.36:                               ;   in Loop: Header=BB4450_34 Depth=1
	s_cmp_lt_u32 s34, 32
	s_cselect_b64 s[36:37], -1, 0
	s_cmp_lg_u64 s[36:37], 0
	s_addc_u32 s34, s34, 0
	;;#ASMSTART
	global_load_dwordx4 v[18:21], v[26:27] off glc	
s_waitcnt vmcnt(0)
	;;#ASMEND
	v_cmp_ne_u16_sdwa s[36:37], v20, v1 src0_sel:BYTE_0 src1_sel:DWORD
	s_or_b64 s[8:9], s[36:37], s[8:9]
	s_andn2_b64 exec, exec, s[8:9]
	s_cbranch_execnz .LBB4450_34
; %bb.37:
	s_or_b64 exec, exec, s[8:9]
.LBB4450_38:
	s_or_b64 exec, exec, s[6:7]
	v_and_b32_e32 v32, 63, v30
	v_cmp_ne_u32_e32 vcc, 63, v32
	v_addc_co_u32_e32 v26, vcc, 0, v30, vcc
	v_lshlrev_b32_e32 v33, 2, v26
	ds_bpermute_b32 v26, v33, v18
	v_mov_b32_e32 v1, 2
	v_cmp_eq_u16_sdwa s[6:7], v20, v1 src0_sel:BYTE_0 src1_sel:DWORD
	v_lshlrev_b64 v[16:17], v30, -1
	ds_bpermute_b32 v27, v33, v19
	v_and_b32_e32 v21, s7, v17
	v_or_b32_e32 v21, 0x80000000, v21
	s_waitcnt lgkmcnt(1)
	v_add_co_u32_e32 v26, vcc, v18, v26
	v_and_b32_e32 v25, s6, v16
	v_ffbl_b32_e32 v21, v21
	v_addc_co_u32_e32 v31, vcc, 0, v19, vcc
	v_add_u32_e32 v21, 32, v21
	v_ffbl_b32_e32 v25, v25
	v_add_co_u32_e32 v35, vcc, 0, v26
	v_cmp_gt_u32_e64 s[6:7], 62, v32
	v_min_u32_e32 v21, v25, v21
	s_waitcnt lgkmcnt(0)
	v_addc_co_u32_e32 v27, vcc, v27, v31, vcc
	v_cndmask_b32_e64 v31, 0, 1, s[6:7]
	v_cmp_lt_u32_e32 vcc, v32, v21
	v_lshlrev_b32_e32 v31, 1, v31
	v_cndmask_b32_e32 v26, v18, v26, vcc
	v_add_lshl_u32 v34, v31, v30, 2
	v_cndmask_b32_e32 v27, v19, v27, vcc
	ds_bpermute_b32 v31, v34, v26
	ds_bpermute_b32 v39, v34, v27
	v_cndmask_b32_e32 v40, v18, v35, vcc
	v_add_u32_e32 v35, 2, v32
	v_cmp_gt_u32_e64 s[8:9], 60, v32
	s_waitcnt lgkmcnt(1)
	v_add_co_u32_e64 v31, s[6:7], v31, v40
	s_waitcnt lgkmcnt(0)
	v_addc_co_u32_e64 v39, s[6:7], v39, v27, s[6:7]
	v_cmp_gt_u32_e64 s[6:7], v35, v21
	v_cndmask_b32_e64 v27, v39, v27, s[6:7]
	v_cndmask_b32_e64 v39, 0, 1, s[8:9]
	v_lshlrev_b32_e32 v39, 2, v39
	v_cndmask_b32_e64 v26, v31, v26, s[6:7]
	v_add_lshl_u32 v39, v39, v30, 2
	ds_bpermute_b32 v41, v39, v26
	ds_bpermute_b32 v42, v39, v27
	v_cndmask_b32_e64 v31, v31, v40, s[6:7]
	v_add_u32_e32 v40, 4, v32
	v_cmp_gt_u32_e64 s[8:9], 56, v32
	s_waitcnt lgkmcnt(1)
	v_add_co_u32_e64 v43, s[6:7], v41, v31
	s_waitcnt lgkmcnt(0)
	v_addc_co_u32_e64 v41, s[6:7], v42, v27, s[6:7]
	v_cmp_gt_u32_e64 s[6:7], v40, v21
	v_cndmask_b32_e64 v27, v41, v27, s[6:7]
	v_cndmask_b32_e64 v41, 0, 1, s[8:9]
	v_lshlrev_b32_e32 v41, 3, v41
	v_cndmask_b32_e64 v26, v43, v26, s[6:7]
	v_add_lshl_u32 v41, v41, v30, 2
	ds_bpermute_b32 v44, v41, v26
	v_cndmask_b32_e64 v31, v43, v31, s[6:7]
	ds_bpermute_b32 v43, v41, v27
	v_add_u32_e32 v42, 8, v32
	v_cmp_gt_u32_e64 s[8:9], 48, v32
	s_waitcnt lgkmcnt(1)
	v_add_co_u32_e64 v44, s[6:7], v44, v31
	s_waitcnt lgkmcnt(0)
	v_addc_co_u32_e64 v43, s[6:7], v43, v27, s[6:7]
	v_cmp_gt_u32_e64 s[6:7], v42, v21
	v_cndmask_b32_e64 v27, v43, v27, s[6:7]
	v_cndmask_b32_e64 v43, 0, 1, s[8:9]
	v_lshlrev_b32_e32 v43, 4, v43
	v_cndmask_b32_e64 v26, v44, v26, s[6:7]
	v_add_lshl_u32 v43, v43, v30, 2
	ds_bpermute_b32 v45, v43, v26
	ds_bpermute_b32 v46, v43, v27
	v_cndmask_b32_e64 v31, v44, v31, s[6:7]
	v_cmp_gt_u32_e64 s[8:9], 32, v32
	v_add_u32_e32 v44, 16, v32
	s_waitcnt lgkmcnt(1)
	v_add_co_u32_e64 v47, s[6:7], v45, v31
	s_waitcnt lgkmcnt(0)
	v_addc_co_u32_e64 v46, s[6:7], v46, v27, s[6:7]
	v_cndmask_b32_e64 v45, 0, 1, s[8:9]
	v_cmp_gt_u32_e64 s[6:7], v44, v21
	v_lshlrev_b32_e32 v45, 5, v45
	v_cndmask_b32_e64 v26, v47, v26, s[6:7]
	v_add_lshl_u32 v45, v45, v30, 2
	v_cndmask_b32_e64 v27, v46, v27, s[6:7]
	ds_bpermute_b32 v26, v45, v26
	ds_bpermute_b32 v30, v45, v27
	v_add_u32_e32 v46, 32, v32
	v_cndmask_b32_e64 v31, v47, v31, s[6:7]
	v_cmp_le_u32_e64 s[6:7], v46, v21
	s_waitcnt lgkmcnt(1)
	v_cndmask_b32_e64 v26, 0, v26, s[6:7]
	s_waitcnt lgkmcnt(0)
	v_cndmask_b32_e64 v21, 0, v30, s[6:7]
	v_add_co_u32_e64 v26, s[6:7], v26, v31
	v_addc_co_u32_e64 v21, s[6:7], v21, v27, s[6:7]
	v_mov_b32_e32 v25, 0
	v_cndmask_b32_e32 v19, v19, v21, vcc
	v_cndmask_b32_e32 v18, v18, v26, vcc
	s_branch .LBB4450_40
.LBB4450_39:                            ;   in Loop: Header=BB4450_40 Depth=1
	s_or_b64 exec, exec, s[6:7]
	v_cmp_eq_u16_sdwa s[6:7], v20, v1 src0_sel:BYTE_0 src1_sel:DWORD
	v_and_b32_e32 v21, s7, v17
	v_or_b32_e32 v21, 0x80000000, v21
	ds_bpermute_b32 v31, v33, v18
	v_and_b32_e32 v30, s6, v16
	v_ffbl_b32_e32 v21, v21
	v_add_u32_e32 v21, 32, v21
	v_ffbl_b32_e32 v30, v30
	v_min_u32_e32 v21, v30, v21
	ds_bpermute_b32 v30, v33, v19
	s_waitcnt lgkmcnt(1)
	v_add_co_u32_e32 v31, vcc, v18, v31
	v_addc_co_u32_e32 v47, vcc, 0, v19, vcc
	v_add_co_u32_e32 v48, vcc, 0, v31
	s_waitcnt lgkmcnt(0)
	v_addc_co_u32_e32 v30, vcc, v30, v47, vcc
	v_cmp_lt_u32_e32 vcc, v32, v21
	v_cndmask_b32_e32 v31, v18, v31, vcc
	ds_bpermute_b32 v47, v34, v31
	v_cndmask_b32_e32 v30, v19, v30, vcc
	ds_bpermute_b32 v49, v34, v30
	v_cndmask_b32_e32 v48, v18, v48, vcc
	v_subrev_u32_e32 v24, 64, v24
	s_waitcnt lgkmcnt(1)
	v_add_co_u32_e64 v47, s[6:7], v47, v48
	s_waitcnt lgkmcnt(0)
	v_addc_co_u32_e64 v49, s[6:7], v49, v30, s[6:7]
	v_cmp_gt_u32_e64 s[6:7], v35, v21
	v_cndmask_b32_e64 v31, v47, v31, s[6:7]
	ds_bpermute_b32 v50, v39, v31
	v_cndmask_b32_e64 v30, v49, v30, s[6:7]
	ds_bpermute_b32 v49, v39, v30
	v_cndmask_b32_e64 v47, v47, v48, s[6:7]
	s_waitcnt lgkmcnt(1)
	v_add_co_u32_e64 v48, s[6:7], v50, v47
	s_waitcnt lgkmcnt(0)
	v_addc_co_u32_e64 v49, s[6:7], v49, v30, s[6:7]
	v_cmp_gt_u32_e64 s[6:7], v40, v21
	v_cndmask_b32_e64 v31, v48, v31, s[6:7]
	ds_bpermute_b32 v50, v41, v31
	v_cndmask_b32_e64 v30, v49, v30, s[6:7]
	ds_bpermute_b32 v49, v41, v30
	v_cndmask_b32_e64 v47, v48, v47, s[6:7]
	;; [unrolled: 10-line block ×3, first 2 shown]
	s_waitcnt lgkmcnt(1)
	v_add_co_u32_e64 v48, s[6:7], v50, v47
	s_waitcnt lgkmcnt(0)
	v_addc_co_u32_e64 v49, s[6:7], v49, v30, s[6:7]
	v_cmp_gt_u32_e64 s[6:7], v44, v21
	v_cndmask_b32_e64 v31, v48, v31, s[6:7]
	v_cndmask_b32_e64 v30, v49, v30, s[6:7]
	ds_bpermute_b32 v31, v45, v31
	ds_bpermute_b32 v49, v45, v30
	v_cndmask_b32_e64 v47, v48, v47, s[6:7]
	v_cmp_le_u32_e64 s[6:7], v46, v21
	s_waitcnt lgkmcnt(1)
	v_cndmask_b32_e64 v31, 0, v31, s[6:7]
	s_waitcnt lgkmcnt(0)
	v_cndmask_b32_e64 v21, 0, v49, s[6:7]
	v_add_co_u32_e64 v31, s[6:7], v31, v47
	v_addc_co_u32_e64 v21, s[6:7], v21, v30, s[6:7]
	v_cndmask_b32_e32 v18, v18, v31, vcc
	v_cndmask_b32_e32 v19, v19, v21, vcc
	v_add_co_u32_e32 v18, vcc, v18, v26
	v_addc_co_u32_e32 v19, vcc, v19, v27, vcc
.LBB4450_40:                            ; =>This Loop Header: Depth=1
                                        ;     Child Loop BB4450_43 Depth 2
                                        ;       Child Loop BB4450_44 Depth 3
	v_cmp_ne_u16_sdwa s[6:7], v20, v1 src0_sel:BYTE_0 src1_sel:DWORD
	v_cndmask_b32_e64 v20, 0, 1, s[6:7]
	;;#ASMSTART
	;;#ASMEND
	v_cmp_ne_u32_e32 vcc, 0, v20
	s_cmp_lg_u64 vcc, exec
	v_pk_mov_b32 v[26:27], v[18:19], v[18:19] op_sel:[0,1]
	s_cbranch_scc1 .LBB4450_47
; %bb.41:                               ;   in Loop: Header=BB4450_40 Depth=1
	v_lshlrev_b64 v[18:19], 4, v[24:25]
	v_mov_b32_e32 v20, s11
	v_add_co_u32_e32 v30, vcc, s10, v18
	v_addc_co_u32_e32 v31, vcc, v20, v19, vcc
	;;#ASMSTART
	global_load_dwordx4 v[18:21], v[30:31] off glc	
s_waitcnt vmcnt(0)
	;;#ASMEND
	v_and_b32_e32 v21, 0xff, v19
	v_and_b32_e32 v47, 0xff00, v19
	v_or3_b32 v21, 0, v21, v47
	v_or3_b32 v18, v18, 0, 0
	v_and_b32_e32 v47, 0xff000000, v19
	v_and_b32_e32 v19, 0xff0000, v19
	v_or3_b32 v19, v21, v19, v47
	v_or3_b32 v18, v18, 0, 0
	v_cmp_eq_u16_sdwa s[8:9], v20, v25 src0_sel:BYTE_0 src1_sel:DWORD
	s_and_saveexec_b64 s[6:7], s[8:9]
	s_cbranch_execz .LBB4450_39
; %bb.42:                               ;   in Loop: Header=BB4450_40 Depth=1
	s_mov_b32 s34, 1
	s_mov_b64 s[8:9], 0
.LBB4450_43:                            ;   Parent Loop BB4450_40 Depth=1
                                        ; =>  This Loop Header: Depth=2
                                        ;       Child Loop BB4450_44 Depth 3
	s_max_u32 s35, s34, 1
.LBB4450_44:                            ;   Parent Loop BB4450_40 Depth=1
                                        ;     Parent Loop BB4450_43 Depth=2
                                        ; =>    This Inner Loop Header: Depth=3
	s_add_i32 s35, s35, -1
	s_cmp_eq_u32 s35, 0
	s_sleep 1
	s_cbranch_scc0 .LBB4450_44
; %bb.45:                               ;   in Loop: Header=BB4450_43 Depth=2
	s_cmp_lt_u32 s34, 32
	s_cselect_b64 s[36:37], -1, 0
	s_cmp_lg_u64 s[36:37], 0
	s_addc_u32 s34, s34, 0
	;;#ASMSTART
	global_load_dwordx4 v[18:21], v[30:31] off glc	
s_waitcnt vmcnt(0)
	;;#ASMEND
	v_cmp_ne_u16_sdwa s[36:37], v20, v25 src0_sel:BYTE_0 src1_sel:DWORD
	s_or_b64 s[8:9], s[36:37], s[8:9]
	s_andn2_b64 exec, exec, s[8:9]
	s_cbranch_execnz .LBB4450_43
; %bb.46:                               ;   in Loop: Header=BB4450_40 Depth=1
	s_or_b64 exec, exec, s[8:9]
	s_branch .LBB4450_39
.LBB4450_47:                            ;   in Loop: Header=BB4450_40 Depth=1
                                        ; implicit-def: $vgpr18_vgpr19
                                        ; implicit-def: $vgpr20
	s_cbranch_execz .LBB4450_40
; %bb.48:
	s_and_saveexec_b64 s[6:7], s[4:5]
	s_cbranch_execz .LBB4450_50
; %bb.49:
	s_add_i32 s4, s33, 64
	s_mov_b32 s5, 0
	s_lshl_b64 s[4:5], s[4:5], 4
	s_add_u32 s4, s10, s4
	v_add_co_u32_e32 v14, vcc, v26, v14
	s_addc_u32 s5, s11, s5
	v_addc_co_u32_e32 v15, vcc, v27, v15, vcc
	v_mov_b32_e32 v16, 2
	v_mov_b32_e32 v17, 0
	v_pk_mov_b32 v[18:19], s[4:5], s[4:5] op_sel:[0,1]
	;;#ASMSTART
	global_store_dwordx4 v[18:19], v[14:17] off	
s_waitcnt vmcnt(0)
	;;#ASMEND
.LBB4450_50:
	s_or_b64 exec, exec, s[6:7]
	s_and_b64 exec, exec, s[2:3]
	s_cbranch_execz .LBB4450_52
; %bb.51:
	v_mov_b32_e32 v1, 0
	ds_write_b64 v1, v[26:27]
.LBB4450_52:
	s_or_b64 exec, exec, s[28:29]
	v_mov_b32_e32 v1, 0
	s_waitcnt lgkmcnt(0)
	s_barrier
	ds_read_b64 v[14:15], v1
	v_add_co_u32_e32 v1, vcc, v22, v2
	v_addc_co_u32_e32 v16, vcc, v23, v3, vcc
	s_waitcnt lgkmcnt(0)
	v_add_co_u32_e32 v24, vcc, v1, v14
	v_addc_co_u32_e32 v25, vcc, v16, v15, vcc
	v_add_co_u32_e32 v30, vcc, v24, v4
	v_addc_co_u32_e32 v31, vcc, v25, v5, vcc
	;; [unrolled: 2-line block ×7, first 2 shown]
	s_branch .LBB4450_67
.LBB4450_53:
                                        ; implicit-def: $vgpr22_vgpr23
                                        ; implicit-def: $vgpr34_vgpr35
                                        ; implicit-def: $vgpr32_vgpr33
                                        ; implicit-def: $vgpr30_vgpr31
                                        ; implicit-def: $vgpr18_vgpr19_vgpr20_vgpr21
                                        ; implicit-def: $vgpr14_vgpr15_vgpr16_vgpr17
                                        ; implicit-def: $vgpr24_vgpr25_vgpr26_vgpr27
	s_cbranch_execz .LBB4450_67
; %bb.54:
	s_cmp_lg_u64 s[16:17], 0
	s_cselect_b64 s[4:5], -1, 0
	s_and_b64 s[6:7], s[2:3], s[4:5]
	s_and_saveexec_b64 s[4:5], s[6:7]
	s_cbranch_execz .LBB4450_56
; %bb.55:
	v_mov_b32_e32 v1, 0
	global_load_dwordx2 v[14:15], v1, s[12:13]
	s_waitcnt vmcnt(0)
	v_add_co_u32_e32 v2, vcc, v14, v2
	v_addc_co_u32_e32 v3, vcc, v15, v3, vcc
.LBB4450_56:
	s_or_b64 exec, exec, s[4:5]
	v_add_co_u32_e32 v30, vcc, v4, v2
	v_addc_co_u32_e32 v31, vcc, v5, v3, vcc
	v_add_co_u32_e32 v14, vcc, v30, v10
	v_addc_co_u32_e32 v15, vcc, v31, v11, vcc
	;; [unrolled: 2-line block ×6, first 2 shown]
	v_add_lshl_u32 v1, v38, v0, 3
	v_cmp_gt_u32_e32 vcc, 64, v0
	ds_write_b64 v1, v[22:23]
	s_waitcnt lgkmcnt(0)
	s_barrier
	s_and_saveexec_b64 s[6:7], vcc
	s_cbranch_execz .LBB4450_60
; %bb.57:
	v_lshlrev_b32_e32 v1, 1, v0
	v_lshrrev_b32_e32 v16, 4, v0
	v_add_lshl_u32 v17, v16, v1, 3
	ds_read2_b64 v[24:27], v17 offset1:1
	v_mbcnt_lo_u32_b32 v1, -1, 0
	v_mbcnt_hi_u32_b32 v20, -1, v1
	v_and_b32_e32 v1, 15, v20
	v_cmp_ne_u32_e64 s[4:5], 0, v20
	s_waitcnt lgkmcnt(0)
	v_add_co_u32_e32 v21, vcc, v26, v24
	v_addc_co_u32_e32 v26, vcc, v27, v25, vcc
	s_nop 0
	v_mov_b32_dpp v16, v21 row_shr:1 row_mask:0xf bank_mask:0xf
	v_add_co_u32_e32 v16, vcc, v21, v16
	v_addc_co_u32_e32 v38, vcc, 0, v26, vcc
	v_mov_b32_dpp v27, v26 row_shr:1 row_mask:0xf bank_mask:0xf
	v_add_co_u32_e32 v39, vcc, 0, v16
	v_addc_co_u32_e32 v27, vcc, v27, v38, vcc
	v_cmp_eq_u32_e32 vcc, 0, v1
	v_cndmask_b32_e32 v16, v16, v21, vcc
	v_cndmask_b32_e32 v27, v27, v26, vcc
	v_cndmask_b32_e32 v38, v39, v21, vcc
	v_mov_b32_dpp v39, v16 row_shr:2 row_mask:0xf bank_mask:0xf
	v_mov_b32_dpp v40, v27 row_shr:2 row_mask:0xf bank_mask:0xf
	v_add_co_u32_e32 v39, vcc, v39, v38
	v_addc_co_u32_e32 v40, vcc, v40, v27, vcc
	v_cmp_lt_u32_e32 vcc, 1, v1
	v_cndmask_b32_e32 v16, v16, v39, vcc
	v_cndmask_b32_e32 v27, v27, v40, vcc
	v_cndmask_b32_e32 v38, v38, v39, vcc
	v_mov_b32_dpp v39, v16 row_shr:4 row_mask:0xf bank_mask:0xf
	v_mov_b32_dpp v40, v27 row_shr:4 row_mask:0xf bank_mask:0xf
	v_add_co_u32_e32 v39, vcc, v39, v38
	v_addc_co_u32_e32 v40, vcc, v40, v27, vcc
	v_cmp_lt_u32_e32 vcc, 3, v1
	;; [unrolled: 8-line block ×3, first 2 shown]
	v_cndmask_b32_e32 v41, v16, v39, vcc
	v_cndmask_b32_e32 v1, v27, v40, vcc
	;; [unrolled: 1-line block ×3, first 2 shown]
	v_mov_b32_dpp v27, v41 row_bcast:15 row_mask:0xf bank_mask:0xf
	v_mov_b32_dpp v38, v1 row_bcast:15 row_mask:0xf bank_mask:0xf
	v_add_co_u32_e32 v27, vcc, v27, v16
	v_and_b32_e32 v40, 16, v20
	v_addc_co_u32_e32 v39, vcc, v38, v1, vcc
	v_cmp_eq_u32_e32 vcc, 0, v40
	v_cndmask_b32_e32 v40, v39, v1, vcc
	v_cndmask_b32_e32 v38, v27, v41, vcc
	s_nop 0
	v_mov_b32_dpp v40, v40 row_bcast:31 row_mask:0xf bank_mask:0xf
	v_mov_b32_dpp v38, v38 row_bcast:31 row_mask:0xf bank_mask:0xf
	s_and_saveexec_b64 s[8:9], s[4:5]
; %bb.58:
	v_cndmask_b32_e32 v1, v39, v1, vcc
	v_cndmask_b32_e32 v16, v27, v16, vcc
	v_cmp_lt_u32_e32 vcc, 31, v20
	v_cndmask_b32_e32 v21, 0, v38, vcc
	v_cndmask_b32_e32 v26, 0, v40, vcc
	v_add_co_u32_e32 v21, vcc, v21, v16
	v_addc_co_u32_e32 v26, vcc, v26, v1, vcc
; %bb.59:
	s_or_b64 exec, exec, s[8:9]
	v_add_u32_e32 v1, -1, v20
	v_and_b32_e32 v16, 64, v20
	v_cmp_lt_i32_e32 vcc, v1, v16
	v_cndmask_b32_e32 v1, v1, v20, vcc
	v_lshlrev_b32_e32 v1, 2, v1
	ds_bpermute_b32 v16, v1, v21
	ds_bpermute_b32 v1, v1, v26
	; wave barrier
	s_waitcnt lgkmcnt(1)
	v_add_co_u32_e32 v16, vcc, v24, v16
	v_addc_co_u32_e32 v20, vcc, 0, v25, vcc
	v_add_co_u32_e32 v16, vcc, 0, v16
	s_waitcnt lgkmcnt(0)
	v_addc_co_u32_e32 v1, vcc, v20, v1, vcc
	v_cndmask_b32_e64 v21, v1, v23, s[2:3]
	v_cndmask_b32_e64 v20, v16, v22, s[2:3]
	ds_write_b64 v17, v[20:21]
	; wave barrier
	ds_read_b64 v[24:25], v17 offset:8
	s_waitcnt lgkmcnt(0)
	v_add_co_u32_e32 v20, vcc, v24, v20
	v_addc_co_u32_e32 v21, vcc, v25, v21, vcc
	ds_write_b64 v17, v[20:21] offset:8
.LBB4450_60:
	s_or_b64 exec, exec, s[6:7]
	v_pk_mov_b32 v[16:17], v[22:23], v[22:23] op_sel:[0,1]
	s_waitcnt lgkmcnt(0)
	s_barrier
	s_and_saveexec_b64 s[2:3], s[0:1]
	s_cbranch_execz .LBB4450_62
; %bb.61:
	v_add_u32_e32 v1, -1, v0
	v_lshrrev_b32_e32 v16, 5, v1
	v_add_lshl_u32 v1, v16, v1, 3
	ds_read_b64 v[16:17], v1
.LBB4450_62:
	s_or_b64 exec, exec, s[2:3]
	s_and_saveexec_b64 s[2:3], s[0:1]
	s_cbranch_execz .LBB4450_64
; %bb.63:
	s_waitcnt lgkmcnt(0)
	v_add_co_u32_e32 v2, vcc, v16, v2
	v_addc_co_u32_e32 v3, vcc, v17, v3, vcc
	v_add_co_u32_e32 v30, vcc, v2, v4
	v_addc_co_u32_e32 v31, vcc, v3, v5, vcc
	;; [unrolled: 2-line block ×7, first 2 shown]
	;;#ASMSTART
	;;#ASMEND
.LBB4450_64:
	s_or_b64 exec, exec, s[2:3]
	s_movk_i32 s0, 0x7f
	v_cmp_eq_u32_e32 vcc, s0, v0
	s_and_saveexec_b64 s[0:1], vcc
	s_cbranch_execz .LBB4450_66
; %bb.65:
	s_add_u32 s2, s10, 0x400
	s_addc_u32 s3, s11, 0
	v_mov_b32_e32 v24, 2
	v_mov_b32_e32 v25, 0
	v_pk_mov_b32 v[4:5], s[2:3], s[2:3] op_sel:[0,1]
	;;#ASMSTART
	global_store_dwordx4 v[4:5], v[22:25] off	
s_waitcnt vmcnt(0)
	;;#ASMEND
.LBB4450_66:
	s_or_b64 exec, exec, s[0:1]
	v_pk_mov_b32 v[24:25], v[2:3], v[2:3] op_sel:[0,1]
.LBB4450_67:
	s_add_u32 s0, s24, s22
	s_addc_u32 s1, s25, s23
	s_add_u32 s2, s0, s26
	s_addc_u32 s3, s1, s27
	s_mov_b64 s[0:1], -1
	s_and_b64 vcc, exec, s[20:21]
	v_mul_u32_u24_e32 v1, 56, v0
	s_waitcnt lgkmcnt(0)
	s_barrier
	s_cbranch_vccz .LBB4450_69
; %bb.68:
	v_mul_i32_i24_e32 v2, 0xffffffd0, v0
	v_mad_u32_u24 v16, v0, 56, v2
	ds_write2_b64 v1, v[24:25], v[30:31] offset1:1
	ds_write2_b64 v1, v[14:15], v[32:33] offset0:2 offset1:3
	ds_write2_b64 v1, v[18:19], v[34:35] offset0:4 offset1:5
	ds_write_b64 v1, v[22:23] offset:48
	s_waitcnt lgkmcnt(0)
	s_barrier
	ds_read2st64_b64 v[2:5], v16 offset1:2
	ds_read2st64_b64 v[6:9], v16 offset0:4 offset1:6
	ds_read2st64_b64 v[10:13], v16 offset0:8 offset1:10
	ds_read_b64 v[16:17], v16 offset:6144
	v_mov_b32_e32 v21, s3
	v_add_co_u32_e32 v20, vcc, s2, v36
	v_addc_co_u32_e32 v21, vcc, 0, v21, vcc
	s_waitcnt lgkmcnt(3)
	flat_store_dwordx2 v[20:21], v[2:3]
	flat_store_dwordx2 v[20:21], v[4:5] offset:1024
	s_waitcnt lgkmcnt(0)
	flat_store_dwordx2 v[20:21], v[6:7] offset:2048
	flat_store_dwordx2 v[20:21], v[8:9] offset:3072
	v_add_co_u32_e32 v2, vcc, 0x1000, v20
	v_addc_co_u32_e32 v3, vcc, 0, v21, vcc
	flat_store_dwordx2 v[2:3], v[10:11]
	flat_store_dwordx2 v[2:3], v[12:13] offset:1024
	flat_store_dwordx2 v[2:3], v[16:17] offset:2048
	s_mov_b64 s[0:1], 0
.LBB4450_69:
	s_andn2_b64 vcc, exec, s[0:1]
	s_cbranch_vccnz .LBB4450_108
; %bb.70:
	v_mul_i32_i24_e32 v2, 0xffffffd0, v0
	ds_write2_b64 v1, v[24:25], v[30:31] offset1:1
	ds_write2_b64 v1, v[14:15], v[32:33] offset0:2 offset1:3
	ds_write2_b64 v1, v[18:19], v[34:35] offset0:4 offset1:5
	ds_write_b64 v1, v[22:23] offset:48
	v_mad_u32_u24 v14, v0, 56, v2
	s_waitcnt lgkmcnt(0)
	s_barrier
	ds_read2st64_b64 v[2:5], v14 offset1:2
	ds_read2st64_b64 v[6:9], v14 offset0:4 offset1:6
	ds_read2st64_b64 v[10:13], v14 offset0:8 offset1:10
	ds_read_b64 v[14:15], v14 offset:6144
	v_mov_b32_e32 v17, s3
	v_add_co_u32_e32 v16, vcc, s2, v36
	v_addc_co_u32_e32 v17, vcc, 0, v17, vcc
	v_mov_b32_e32 v1, 0
	v_cmp_gt_u32_e32 vcc, s30, v0
	s_and_saveexec_b64 s[0:1], vcc
	s_cbranch_execz .LBB4450_72
; %bb.71:
	s_waitcnt lgkmcnt(0)
	flat_store_dwordx2 v[16:17], v[2:3]
.LBB4450_72:
	s_or_b64 exec, exec, s[0:1]
	v_or_b32_e32 v18, 0x80, v0
	v_cmp_gt_u32_e32 vcc, s30, v18
	s_and_saveexec_b64 s[0:1], vcc
	s_cbranch_execz .LBB4450_74
; %bb.73:
	s_waitcnt lgkmcnt(0)
	flat_store_dwordx2 v[16:17], v[4:5] offset:1024
.LBB4450_74:
	s_or_b64 exec, exec, s[0:1]
	v_or_b32_e32 v18, 0x100, v0
	v_cmp_gt_u32_e32 vcc, s30, v18
	s_and_saveexec_b64 s[0:1], vcc
	s_cbranch_execz .LBB4450_76
; %bb.75:
	s_waitcnt lgkmcnt(0)
	flat_store_dwordx2 v[16:17], v[6:7] offset:2048
.LBB4450_76:
	;; [unrolled: 9-line block ×3, first 2 shown]
	s_or_b64 exec, exec, s[0:1]
	v_or_b32_e32 v18, 0x200, v0
	v_cmp_gt_u32_e32 vcc, s30, v18
	s_and_saveexec_b64 s[0:1], vcc
	s_cbranch_execz .LBB4450_80
; %bb.79:
	v_add_co_u32_e32 v18, vcc, 0x1000, v16
	v_addc_co_u32_e32 v19, vcc, 0, v17, vcc
	s_waitcnt lgkmcnt(0)
	flat_store_dwordx2 v[18:19], v[10:11]
.LBB4450_80:
	s_or_b64 exec, exec, s[0:1]
	v_or_b32_e32 v18, 0x280, v0
	v_cmp_gt_u32_e32 vcc, s30, v18
	s_and_saveexec_b64 s[0:1], vcc
	s_cbranch_execz .LBB4450_82
; %bb.81:
	v_add_co_u32_e32 v18, vcc, 0x1000, v16
	v_addc_co_u32_e32 v19, vcc, 0, v17, vcc
	s_waitcnt lgkmcnt(0)
	flat_store_dwordx2 v[18:19], v[12:13] offset:1024
.LBB4450_82:
	s_or_b64 exec, exec, s[0:1]
	v_or_b32_e32 v18, 0x300, v0
	v_cmp_gt_u32_e32 vcc, s30, v18
	s_and_saveexec_b64 s[0:1], vcc
	s_cbranch_execz .LBB4450_84
; %bb.83:
	v_add_co_u32_e32 v16, vcc, 0x1000, v16
	v_addc_co_u32_e32 v17, vcc, 0, v17, vcc
	s_waitcnt lgkmcnt(0)
	flat_store_dwordx2 v[16:17], v[14:15] offset:2048
.LBB4450_84:
	s_or_b64 exec, exec, s[0:1]
	v_cmp_lt_u64_e64 s[0:1], s[18:19], 2
	s_and_b64 vcc, exec, s[0:1]
	s_cbranch_vccnz .LBB4450_108
; %bb.85:
	s_add_u32 s0, s30, -1
	s_addc_u32 s1, s31, -1
	s_add_u32 s2, 0, 0x92481000
	s_addc_u32 s3, 0, 0x64
	s_add_i32 s3, s3, 0x249248c0
	s_mul_hi_u32 s7, s2, -7
	s_sub_i32 s7, s7, s2
	s_mul_i32 s8, s3, -7
	s_mul_i32 s4, s2, -7
	s_add_i32 s7, s7, s8
	s_mul_hi_u32 s5, s3, s4
	s_mul_i32 s6, s3, s4
	s_mul_i32 s9, s2, s7
	s_mul_hi_u32 s4, s2, s4
	s_mul_hi_u32 s8, s2, s7
	s_add_u32 s4, s4, s9
	s_addc_u32 s8, 0, s8
	s_add_u32 s4, s4, s6
	s_mul_hi_u32 s9, s3, s7
	s_addc_u32 s4, s8, s5
	s_addc_u32 s5, s9, 0
	s_mul_i32 s6, s3, s7
	s_add_u32 s4, s4, s6
	v_mov_b32_e32 v16, s4
	s_addc_u32 s5, 0, s5
	v_add_co_u32_e32 v16, vcc, s2, v16
	s_cmp_lg_u64 vcc, 0
	s_addc_u32 s2, s3, s5
	v_readfirstlane_b32 s5, v16
	s_mul_i32 s4, s0, s2
	s_mul_hi_u32 s6, s0, s5
	s_mul_hi_u32 s3, s0, s2
	s_add_u32 s4, s6, s4
	s_addc_u32 s3, 0, s3
	s_mul_hi_u32 s7, s1, s5
	s_mul_i32 s5, s1, s5
	s_add_u32 s4, s4, s5
	s_mul_hi_u32 s6, s1, s2
	s_addc_u32 s3, s3, s7
	s_addc_u32 s4, s6, 0
	s_mul_i32 s2, s1, s2
	s_add_u32 s2, s3, s2
	s_addc_u32 s3, 0, s4
	s_add_u32 s4, s2, 1
	s_addc_u32 s5, s3, 0
	s_add_u32 s6, s2, 2
	s_mul_i32 s8, s3, 7
	s_mul_hi_u32 s9, s2, 7
	s_addc_u32 s7, s3, 0
	s_add_i32 s9, s9, s8
	s_mul_i32 s8, s2, 7
	v_mov_b32_e32 v16, s8
	v_sub_co_u32_e32 v16, vcc, s0, v16
	s_cmp_lg_u64 vcc, 0
	s_subb_u32 s8, s1, s9
	v_subrev_co_u32_e32 v17, vcc, 7, v16
	s_cmp_lg_u64 vcc, 0
	s_subb_u32 s9, s8, 0
	v_readfirstlane_b32 s10, v17
	s_cmp_gt_u32 s10, 6
	s_cselect_b32 s10, -1, 0
	s_cmp_eq_u32 s9, 0
	s_cselect_b32 s9, s10, -1
	s_cmp_lg_u32 s9, 0
	s_cselect_b32 s4, s6, s4
	v_readfirstlane_b32 s6, v16
	s_cselect_b32 s5, s7, s5
	s_cmp_gt_u32 s6, 6
	s_cselect_b32 s6, -1, 0
	s_cmp_eq_u32 s8, 0
	s_cselect_b32 s6, s6, -1
	s_cmp_lg_u32 s6, 0
	s_cselect_b32 s3, s5, s3
	s_cselect_b32 s2, s4, s2
	v_cmp_eq_u64_e32 vcc, s[2:3], v[0:1]
	s_and_saveexec_b64 s[2:3], vcc
	s_cbranch_execz .LBB4450_108
; %bb.86:
	v_mul_hi_u32_u24_e32 v1, 7, v0
	v_mov_b32_e32 v16, s1
	v_sub_co_u32_e32 v0, vcc, s0, v37
	v_subb_co_u32_e32 v1, vcc, v16, v1, vcc
	v_cmp_lt_i64_e32 vcc, 3, v[0:1]
	s_and_saveexec_b64 s[0:1], vcc
	s_xor_b64 s[0:1], exec, s[0:1]
	s_cbranch_execz .LBB4450_96
; %bb.87:
	v_cmp_lt_i64_e32 vcc, 4, v[0:1]
	s_and_saveexec_b64 s[2:3], vcc
	s_xor_b64 s[2:3], exec, s[2:3]
	s_cbranch_execz .LBB4450_93
; %bb.88:
	;; [unrolled: 5-line block ×3, first 2 shown]
	v_mov_b32_e32 v0, 0
	s_waitcnt lgkmcnt(0)
	global_store_dwordx2 v0, v[14:15], s[14:15]
                                        ; implicit-def: $vgpr10_vgpr11_vgpr12_vgpr13
.LBB4450_90:
	s_andn2_saveexec_b64 s[4:5], s[4:5]
	s_cbranch_execz .LBB4450_92
; %bb.91:
	v_mov_b32_e32 v0, 0
	s_waitcnt lgkmcnt(0)
	global_store_dwordx2 v0, v[12:13], s[14:15]
.LBB4450_92:
	s_or_b64 exec, exec, s[4:5]
                                        ; implicit-def: $vgpr10_vgpr11_vgpr12_vgpr13
.LBB4450_93:
	s_andn2_saveexec_b64 s[2:3], s[2:3]
	s_cbranch_execz .LBB4450_95
; %bb.94:
	v_mov_b32_e32 v0, 0
	s_waitcnt lgkmcnt(0)
	global_store_dwordx2 v0, v[10:11], s[14:15]
.LBB4450_95:
	s_or_b64 exec, exec, s[2:3]
                                        ; implicit-def: $vgpr0_vgpr1
                                        ; implicit-def: $vgpr2_vgpr3_vgpr4_vgpr5
                                        ; implicit-def: $vgpr6_vgpr7_vgpr8_vgpr9
.LBB4450_96:
	s_andn2_saveexec_b64 s[0:1], s[0:1]
	s_cbranch_execz .LBB4450_108
; %bb.97:
	v_cmp_lt_i64_e32 vcc, 1, v[0:1]
	s_and_saveexec_b64 s[0:1], vcc
	s_xor_b64 s[0:1], exec, s[0:1]
	s_cbranch_execz .LBB4450_103
; %bb.98:
	v_cmp_lt_i64_e32 vcc, 2, v[0:1]
	s_and_saveexec_b64 s[2:3], vcc
	s_xor_b64 s[2:3], exec, s[2:3]
	s_cbranch_execz .LBB4450_100
; %bb.99:
	v_mov_b32_e32 v0, 0
	s_waitcnt lgkmcnt(0)
	global_store_dwordx2 v0, v[8:9], s[14:15]
                                        ; implicit-def: $vgpr6_vgpr7_vgpr8_vgpr9
.LBB4450_100:
	s_andn2_saveexec_b64 s[2:3], s[2:3]
	s_cbranch_execz .LBB4450_102
; %bb.101:
	v_mov_b32_e32 v0, 0
	s_waitcnt lgkmcnt(0)
	global_store_dwordx2 v0, v[6:7], s[14:15]
.LBB4450_102:
	s_or_b64 exec, exec, s[2:3]
                                        ; implicit-def: $vgpr2_vgpr3_vgpr4_vgpr5
                                        ; implicit-def: $vgpr0_vgpr1
.LBB4450_103:
	s_andn2_saveexec_b64 s[0:1], s[0:1]
	s_cbranch_execz .LBB4450_108
; %bb.104:
	v_cmp_ne_u64_e32 vcc, 1, v[0:1]
	s_and_saveexec_b64 s[0:1], vcc
	s_xor_b64 s[0:1], exec, s[0:1]
	s_cbranch_execz .LBB4450_106
; %bb.105:
	v_mov_b32_e32 v0, 0
	s_waitcnt lgkmcnt(0)
	global_store_dwordx2 v0, v[2:3], s[14:15]
                                        ; implicit-def: $vgpr2_vgpr3_vgpr4_vgpr5
.LBB4450_106:
	s_andn2_saveexec_b64 s[0:1], s[0:1]
	s_cbranch_execz .LBB4450_108
; %bb.107:
	v_mov_b32_e32 v0, 0
	s_waitcnt lgkmcnt(0)
	global_store_dwordx2 v0, v[4:5], s[14:15]
.LBB4450_108:
	s_endpgm
	.section	.rodata,"a",@progbits
	.p2align	6, 0x0
	.amdhsa_kernel _ZN7rocprim17ROCPRIM_400000_NS6detail17trampoline_kernelINS0_14default_configENS1_20scan_config_selectorIyEEZZNS1_9scan_implILNS1_25lookback_scan_determinismE0ELb0ELb0ES3_N6thrust23THRUST_200600_302600_NS6detail15normal_iteratorINS9_10device_ptrIyEEEESE_yNS9_4plusIvEEyEEDaPvRmT3_T4_T5_mT6_P12ihipStream_tbENKUlT_T0_E_clISt17integral_constantIbLb1EESU_EEDaSP_SQ_EUlSP_E_NS1_11comp_targetILNS1_3genE4ELNS1_11target_archE910ELNS1_3gpuE8ELNS1_3repE0EEENS1_30default_config_static_selectorELNS0_4arch9wavefront6targetE1EEEvT1_
		.amdhsa_group_segment_fixed_size 7168
		.amdhsa_private_segment_fixed_size 0
		.amdhsa_kernarg_size 104
		.amdhsa_user_sgpr_count 6
		.amdhsa_user_sgpr_private_segment_buffer 1
		.amdhsa_user_sgpr_dispatch_ptr 0
		.amdhsa_user_sgpr_queue_ptr 0
		.amdhsa_user_sgpr_kernarg_segment_ptr 1
		.amdhsa_user_sgpr_dispatch_id 0
		.amdhsa_user_sgpr_flat_scratch_init 0
		.amdhsa_user_sgpr_kernarg_preload_length 0
		.amdhsa_user_sgpr_kernarg_preload_offset 0
		.amdhsa_user_sgpr_private_segment_size 0
		.amdhsa_uses_dynamic_stack 0
		.amdhsa_system_sgpr_private_segment_wavefront_offset 0
		.amdhsa_system_sgpr_workgroup_id_x 1
		.amdhsa_system_sgpr_workgroup_id_y 0
		.amdhsa_system_sgpr_workgroup_id_z 0
		.amdhsa_system_sgpr_workgroup_info 0
		.amdhsa_system_vgpr_workitem_id 0
		.amdhsa_next_free_vgpr 51
		.amdhsa_next_free_sgpr 38
		.amdhsa_accum_offset 52
		.amdhsa_reserve_vcc 1
		.amdhsa_reserve_flat_scratch 0
		.amdhsa_float_round_mode_32 0
		.amdhsa_float_round_mode_16_64 0
		.amdhsa_float_denorm_mode_32 3
		.amdhsa_float_denorm_mode_16_64 3
		.amdhsa_dx10_clamp 1
		.amdhsa_ieee_mode 1
		.amdhsa_fp16_overflow 0
		.amdhsa_tg_split 0
		.amdhsa_exception_fp_ieee_invalid_op 0
		.amdhsa_exception_fp_denorm_src 0
		.amdhsa_exception_fp_ieee_div_zero 0
		.amdhsa_exception_fp_ieee_overflow 0
		.amdhsa_exception_fp_ieee_underflow 0
		.amdhsa_exception_fp_ieee_inexact 0
		.amdhsa_exception_int_div_zero 0
	.end_amdhsa_kernel
	.section	.text._ZN7rocprim17ROCPRIM_400000_NS6detail17trampoline_kernelINS0_14default_configENS1_20scan_config_selectorIyEEZZNS1_9scan_implILNS1_25lookback_scan_determinismE0ELb0ELb0ES3_N6thrust23THRUST_200600_302600_NS6detail15normal_iteratorINS9_10device_ptrIyEEEESE_yNS9_4plusIvEEyEEDaPvRmT3_T4_T5_mT6_P12ihipStream_tbENKUlT_T0_E_clISt17integral_constantIbLb1EESU_EEDaSP_SQ_EUlSP_E_NS1_11comp_targetILNS1_3genE4ELNS1_11target_archE910ELNS1_3gpuE8ELNS1_3repE0EEENS1_30default_config_static_selectorELNS0_4arch9wavefront6targetE1EEEvT1_,"axG",@progbits,_ZN7rocprim17ROCPRIM_400000_NS6detail17trampoline_kernelINS0_14default_configENS1_20scan_config_selectorIyEEZZNS1_9scan_implILNS1_25lookback_scan_determinismE0ELb0ELb0ES3_N6thrust23THRUST_200600_302600_NS6detail15normal_iteratorINS9_10device_ptrIyEEEESE_yNS9_4plusIvEEyEEDaPvRmT3_T4_T5_mT6_P12ihipStream_tbENKUlT_T0_E_clISt17integral_constantIbLb1EESU_EEDaSP_SQ_EUlSP_E_NS1_11comp_targetILNS1_3genE4ELNS1_11target_archE910ELNS1_3gpuE8ELNS1_3repE0EEENS1_30default_config_static_selectorELNS0_4arch9wavefront6targetE1EEEvT1_,comdat
.Lfunc_end4450:
	.size	_ZN7rocprim17ROCPRIM_400000_NS6detail17trampoline_kernelINS0_14default_configENS1_20scan_config_selectorIyEEZZNS1_9scan_implILNS1_25lookback_scan_determinismE0ELb0ELb0ES3_N6thrust23THRUST_200600_302600_NS6detail15normal_iteratorINS9_10device_ptrIyEEEESE_yNS9_4plusIvEEyEEDaPvRmT3_T4_T5_mT6_P12ihipStream_tbENKUlT_T0_E_clISt17integral_constantIbLb1EESU_EEDaSP_SQ_EUlSP_E_NS1_11comp_targetILNS1_3genE4ELNS1_11target_archE910ELNS1_3gpuE8ELNS1_3repE0EEENS1_30default_config_static_selectorELNS0_4arch9wavefront6targetE1EEEvT1_, .Lfunc_end4450-_ZN7rocprim17ROCPRIM_400000_NS6detail17trampoline_kernelINS0_14default_configENS1_20scan_config_selectorIyEEZZNS1_9scan_implILNS1_25lookback_scan_determinismE0ELb0ELb0ES3_N6thrust23THRUST_200600_302600_NS6detail15normal_iteratorINS9_10device_ptrIyEEEESE_yNS9_4plusIvEEyEEDaPvRmT3_T4_T5_mT6_P12ihipStream_tbENKUlT_T0_E_clISt17integral_constantIbLb1EESU_EEDaSP_SQ_EUlSP_E_NS1_11comp_targetILNS1_3genE4ELNS1_11target_archE910ELNS1_3gpuE8ELNS1_3repE0EEENS1_30default_config_static_selectorELNS0_4arch9wavefront6targetE1EEEvT1_
                                        ; -- End function
	.section	.AMDGPU.csdata,"",@progbits
; Kernel info:
; codeLenInByte = 5780
; NumSgprs: 42
; NumVgprs: 51
; NumAgprs: 0
; TotalNumVgprs: 51
; ScratchSize: 0
; MemoryBound: 0
; FloatMode: 240
; IeeeMode: 1
; LDSByteSize: 7168 bytes/workgroup (compile time only)
; SGPRBlocks: 5
; VGPRBlocks: 6
; NumSGPRsForWavesPerEU: 42
; NumVGPRsForWavesPerEU: 51
; AccumOffset: 52
; Occupancy: 5
; WaveLimiterHint : 1
; COMPUTE_PGM_RSRC2:SCRATCH_EN: 0
; COMPUTE_PGM_RSRC2:USER_SGPR: 6
; COMPUTE_PGM_RSRC2:TRAP_HANDLER: 0
; COMPUTE_PGM_RSRC2:TGID_X_EN: 1
; COMPUTE_PGM_RSRC2:TGID_Y_EN: 0
; COMPUTE_PGM_RSRC2:TGID_Z_EN: 0
; COMPUTE_PGM_RSRC2:TIDIG_COMP_CNT: 0
; COMPUTE_PGM_RSRC3_GFX90A:ACCUM_OFFSET: 12
; COMPUTE_PGM_RSRC3_GFX90A:TG_SPLIT: 0
	.section	.text._ZN7rocprim17ROCPRIM_400000_NS6detail17trampoline_kernelINS0_14default_configENS1_20scan_config_selectorIyEEZZNS1_9scan_implILNS1_25lookback_scan_determinismE0ELb0ELb0ES3_N6thrust23THRUST_200600_302600_NS6detail15normal_iteratorINS9_10device_ptrIyEEEESE_yNS9_4plusIvEEyEEDaPvRmT3_T4_T5_mT6_P12ihipStream_tbENKUlT_T0_E_clISt17integral_constantIbLb1EESU_EEDaSP_SQ_EUlSP_E_NS1_11comp_targetILNS1_3genE3ELNS1_11target_archE908ELNS1_3gpuE7ELNS1_3repE0EEENS1_30default_config_static_selectorELNS0_4arch9wavefront6targetE1EEEvT1_,"axG",@progbits,_ZN7rocprim17ROCPRIM_400000_NS6detail17trampoline_kernelINS0_14default_configENS1_20scan_config_selectorIyEEZZNS1_9scan_implILNS1_25lookback_scan_determinismE0ELb0ELb0ES3_N6thrust23THRUST_200600_302600_NS6detail15normal_iteratorINS9_10device_ptrIyEEEESE_yNS9_4plusIvEEyEEDaPvRmT3_T4_T5_mT6_P12ihipStream_tbENKUlT_T0_E_clISt17integral_constantIbLb1EESU_EEDaSP_SQ_EUlSP_E_NS1_11comp_targetILNS1_3genE3ELNS1_11target_archE908ELNS1_3gpuE7ELNS1_3repE0EEENS1_30default_config_static_selectorELNS0_4arch9wavefront6targetE1EEEvT1_,comdat
	.protected	_ZN7rocprim17ROCPRIM_400000_NS6detail17trampoline_kernelINS0_14default_configENS1_20scan_config_selectorIyEEZZNS1_9scan_implILNS1_25lookback_scan_determinismE0ELb0ELb0ES3_N6thrust23THRUST_200600_302600_NS6detail15normal_iteratorINS9_10device_ptrIyEEEESE_yNS9_4plusIvEEyEEDaPvRmT3_T4_T5_mT6_P12ihipStream_tbENKUlT_T0_E_clISt17integral_constantIbLb1EESU_EEDaSP_SQ_EUlSP_E_NS1_11comp_targetILNS1_3genE3ELNS1_11target_archE908ELNS1_3gpuE7ELNS1_3repE0EEENS1_30default_config_static_selectorELNS0_4arch9wavefront6targetE1EEEvT1_ ; -- Begin function _ZN7rocprim17ROCPRIM_400000_NS6detail17trampoline_kernelINS0_14default_configENS1_20scan_config_selectorIyEEZZNS1_9scan_implILNS1_25lookback_scan_determinismE0ELb0ELb0ES3_N6thrust23THRUST_200600_302600_NS6detail15normal_iteratorINS9_10device_ptrIyEEEESE_yNS9_4plusIvEEyEEDaPvRmT3_T4_T5_mT6_P12ihipStream_tbENKUlT_T0_E_clISt17integral_constantIbLb1EESU_EEDaSP_SQ_EUlSP_E_NS1_11comp_targetILNS1_3genE3ELNS1_11target_archE908ELNS1_3gpuE7ELNS1_3repE0EEENS1_30default_config_static_selectorELNS0_4arch9wavefront6targetE1EEEvT1_
	.globl	_ZN7rocprim17ROCPRIM_400000_NS6detail17trampoline_kernelINS0_14default_configENS1_20scan_config_selectorIyEEZZNS1_9scan_implILNS1_25lookback_scan_determinismE0ELb0ELb0ES3_N6thrust23THRUST_200600_302600_NS6detail15normal_iteratorINS9_10device_ptrIyEEEESE_yNS9_4plusIvEEyEEDaPvRmT3_T4_T5_mT6_P12ihipStream_tbENKUlT_T0_E_clISt17integral_constantIbLb1EESU_EEDaSP_SQ_EUlSP_E_NS1_11comp_targetILNS1_3genE3ELNS1_11target_archE908ELNS1_3gpuE7ELNS1_3repE0EEENS1_30default_config_static_selectorELNS0_4arch9wavefront6targetE1EEEvT1_
	.p2align	8
	.type	_ZN7rocprim17ROCPRIM_400000_NS6detail17trampoline_kernelINS0_14default_configENS1_20scan_config_selectorIyEEZZNS1_9scan_implILNS1_25lookback_scan_determinismE0ELb0ELb0ES3_N6thrust23THRUST_200600_302600_NS6detail15normal_iteratorINS9_10device_ptrIyEEEESE_yNS9_4plusIvEEyEEDaPvRmT3_T4_T5_mT6_P12ihipStream_tbENKUlT_T0_E_clISt17integral_constantIbLb1EESU_EEDaSP_SQ_EUlSP_E_NS1_11comp_targetILNS1_3genE3ELNS1_11target_archE908ELNS1_3gpuE7ELNS1_3repE0EEENS1_30default_config_static_selectorELNS0_4arch9wavefront6targetE1EEEvT1_,@function
_ZN7rocprim17ROCPRIM_400000_NS6detail17trampoline_kernelINS0_14default_configENS1_20scan_config_selectorIyEEZZNS1_9scan_implILNS1_25lookback_scan_determinismE0ELb0ELb0ES3_N6thrust23THRUST_200600_302600_NS6detail15normal_iteratorINS9_10device_ptrIyEEEESE_yNS9_4plusIvEEyEEDaPvRmT3_T4_T5_mT6_P12ihipStream_tbENKUlT_T0_E_clISt17integral_constantIbLb1EESU_EEDaSP_SQ_EUlSP_E_NS1_11comp_targetILNS1_3genE3ELNS1_11target_archE908ELNS1_3gpuE7ELNS1_3repE0EEENS1_30default_config_static_selectorELNS0_4arch9wavefront6targetE1EEEvT1_: ; @_ZN7rocprim17ROCPRIM_400000_NS6detail17trampoline_kernelINS0_14default_configENS1_20scan_config_selectorIyEEZZNS1_9scan_implILNS1_25lookback_scan_determinismE0ELb0ELb0ES3_N6thrust23THRUST_200600_302600_NS6detail15normal_iteratorINS9_10device_ptrIyEEEESE_yNS9_4plusIvEEyEEDaPvRmT3_T4_T5_mT6_P12ihipStream_tbENKUlT_T0_E_clISt17integral_constantIbLb1EESU_EEDaSP_SQ_EUlSP_E_NS1_11comp_targetILNS1_3genE3ELNS1_11target_archE908ELNS1_3gpuE7ELNS1_3repE0EEENS1_30default_config_static_selectorELNS0_4arch9wavefront6targetE1EEEvT1_
; %bb.0:
	.section	.rodata,"a",@progbits
	.p2align	6, 0x0
	.amdhsa_kernel _ZN7rocprim17ROCPRIM_400000_NS6detail17trampoline_kernelINS0_14default_configENS1_20scan_config_selectorIyEEZZNS1_9scan_implILNS1_25lookback_scan_determinismE0ELb0ELb0ES3_N6thrust23THRUST_200600_302600_NS6detail15normal_iteratorINS9_10device_ptrIyEEEESE_yNS9_4plusIvEEyEEDaPvRmT3_T4_T5_mT6_P12ihipStream_tbENKUlT_T0_E_clISt17integral_constantIbLb1EESU_EEDaSP_SQ_EUlSP_E_NS1_11comp_targetILNS1_3genE3ELNS1_11target_archE908ELNS1_3gpuE7ELNS1_3repE0EEENS1_30default_config_static_selectorELNS0_4arch9wavefront6targetE1EEEvT1_
		.amdhsa_group_segment_fixed_size 0
		.amdhsa_private_segment_fixed_size 0
		.amdhsa_kernarg_size 104
		.amdhsa_user_sgpr_count 6
		.amdhsa_user_sgpr_private_segment_buffer 1
		.amdhsa_user_sgpr_dispatch_ptr 0
		.amdhsa_user_sgpr_queue_ptr 0
		.amdhsa_user_sgpr_kernarg_segment_ptr 1
		.amdhsa_user_sgpr_dispatch_id 0
		.amdhsa_user_sgpr_flat_scratch_init 0
		.amdhsa_user_sgpr_kernarg_preload_length 0
		.amdhsa_user_sgpr_kernarg_preload_offset 0
		.amdhsa_user_sgpr_private_segment_size 0
		.amdhsa_uses_dynamic_stack 0
		.amdhsa_system_sgpr_private_segment_wavefront_offset 0
		.amdhsa_system_sgpr_workgroup_id_x 1
		.amdhsa_system_sgpr_workgroup_id_y 0
		.amdhsa_system_sgpr_workgroup_id_z 0
		.amdhsa_system_sgpr_workgroup_info 0
		.amdhsa_system_vgpr_workitem_id 0
		.amdhsa_next_free_vgpr 1
		.amdhsa_next_free_sgpr 0
		.amdhsa_accum_offset 4
		.amdhsa_reserve_vcc 0
		.amdhsa_reserve_flat_scratch 0
		.amdhsa_float_round_mode_32 0
		.amdhsa_float_round_mode_16_64 0
		.amdhsa_float_denorm_mode_32 3
		.amdhsa_float_denorm_mode_16_64 3
		.amdhsa_dx10_clamp 1
		.amdhsa_ieee_mode 1
		.amdhsa_fp16_overflow 0
		.amdhsa_tg_split 0
		.amdhsa_exception_fp_ieee_invalid_op 0
		.amdhsa_exception_fp_denorm_src 0
		.amdhsa_exception_fp_ieee_div_zero 0
		.amdhsa_exception_fp_ieee_overflow 0
		.amdhsa_exception_fp_ieee_underflow 0
		.amdhsa_exception_fp_ieee_inexact 0
		.amdhsa_exception_int_div_zero 0
	.end_amdhsa_kernel
	.section	.text._ZN7rocprim17ROCPRIM_400000_NS6detail17trampoline_kernelINS0_14default_configENS1_20scan_config_selectorIyEEZZNS1_9scan_implILNS1_25lookback_scan_determinismE0ELb0ELb0ES3_N6thrust23THRUST_200600_302600_NS6detail15normal_iteratorINS9_10device_ptrIyEEEESE_yNS9_4plusIvEEyEEDaPvRmT3_T4_T5_mT6_P12ihipStream_tbENKUlT_T0_E_clISt17integral_constantIbLb1EESU_EEDaSP_SQ_EUlSP_E_NS1_11comp_targetILNS1_3genE3ELNS1_11target_archE908ELNS1_3gpuE7ELNS1_3repE0EEENS1_30default_config_static_selectorELNS0_4arch9wavefront6targetE1EEEvT1_,"axG",@progbits,_ZN7rocprim17ROCPRIM_400000_NS6detail17trampoline_kernelINS0_14default_configENS1_20scan_config_selectorIyEEZZNS1_9scan_implILNS1_25lookback_scan_determinismE0ELb0ELb0ES3_N6thrust23THRUST_200600_302600_NS6detail15normal_iteratorINS9_10device_ptrIyEEEESE_yNS9_4plusIvEEyEEDaPvRmT3_T4_T5_mT6_P12ihipStream_tbENKUlT_T0_E_clISt17integral_constantIbLb1EESU_EEDaSP_SQ_EUlSP_E_NS1_11comp_targetILNS1_3genE3ELNS1_11target_archE908ELNS1_3gpuE7ELNS1_3repE0EEENS1_30default_config_static_selectorELNS0_4arch9wavefront6targetE1EEEvT1_,comdat
.Lfunc_end4451:
	.size	_ZN7rocprim17ROCPRIM_400000_NS6detail17trampoline_kernelINS0_14default_configENS1_20scan_config_selectorIyEEZZNS1_9scan_implILNS1_25lookback_scan_determinismE0ELb0ELb0ES3_N6thrust23THRUST_200600_302600_NS6detail15normal_iteratorINS9_10device_ptrIyEEEESE_yNS9_4plusIvEEyEEDaPvRmT3_T4_T5_mT6_P12ihipStream_tbENKUlT_T0_E_clISt17integral_constantIbLb1EESU_EEDaSP_SQ_EUlSP_E_NS1_11comp_targetILNS1_3genE3ELNS1_11target_archE908ELNS1_3gpuE7ELNS1_3repE0EEENS1_30default_config_static_selectorELNS0_4arch9wavefront6targetE1EEEvT1_, .Lfunc_end4451-_ZN7rocprim17ROCPRIM_400000_NS6detail17trampoline_kernelINS0_14default_configENS1_20scan_config_selectorIyEEZZNS1_9scan_implILNS1_25lookback_scan_determinismE0ELb0ELb0ES3_N6thrust23THRUST_200600_302600_NS6detail15normal_iteratorINS9_10device_ptrIyEEEESE_yNS9_4plusIvEEyEEDaPvRmT3_T4_T5_mT6_P12ihipStream_tbENKUlT_T0_E_clISt17integral_constantIbLb1EESU_EEDaSP_SQ_EUlSP_E_NS1_11comp_targetILNS1_3genE3ELNS1_11target_archE908ELNS1_3gpuE7ELNS1_3repE0EEENS1_30default_config_static_selectorELNS0_4arch9wavefront6targetE1EEEvT1_
                                        ; -- End function
	.section	.AMDGPU.csdata,"",@progbits
; Kernel info:
; codeLenInByte = 0
; NumSgprs: 4
; NumVgprs: 0
; NumAgprs: 0
; TotalNumVgprs: 0
; ScratchSize: 0
; MemoryBound: 0
; FloatMode: 240
; IeeeMode: 1
; LDSByteSize: 0 bytes/workgroup (compile time only)
; SGPRBlocks: 0
; VGPRBlocks: 0
; NumSGPRsForWavesPerEU: 4
; NumVGPRsForWavesPerEU: 1
; AccumOffset: 4
; Occupancy: 8
; WaveLimiterHint : 0
; COMPUTE_PGM_RSRC2:SCRATCH_EN: 0
; COMPUTE_PGM_RSRC2:USER_SGPR: 6
; COMPUTE_PGM_RSRC2:TRAP_HANDLER: 0
; COMPUTE_PGM_RSRC2:TGID_X_EN: 1
; COMPUTE_PGM_RSRC2:TGID_Y_EN: 0
; COMPUTE_PGM_RSRC2:TGID_Z_EN: 0
; COMPUTE_PGM_RSRC2:TIDIG_COMP_CNT: 0
; COMPUTE_PGM_RSRC3_GFX90A:ACCUM_OFFSET: 0
; COMPUTE_PGM_RSRC3_GFX90A:TG_SPLIT: 0
	.section	.text._ZN7rocprim17ROCPRIM_400000_NS6detail17trampoline_kernelINS0_14default_configENS1_20scan_config_selectorIyEEZZNS1_9scan_implILNS1_25lookback_scan_determinismE0ELb0ELb0ES3_N6thrust23THRUST_200600_302600_NS6detail15normal_iteratorINS9_10device_ptrIyEEEESE_yNS9_4plusIvEEyEEDaPvRmT3_T4_T5_mT6_P12ihipStream_tbENKUlT_T0_E_clISt17integral_constantIbLb1EESU_EEDaSP_SQ_EUlSP_E_NS1_11comp_targetILNS1_3genE2ELNS1_11target_archE906ELNS1_3gpuE6ELNS1_3repE0EEENS1_30default_config_static_selectorELNS0_4arch9wavefront6targetE1EEEvT1_,"axG",@progbits,_ZN7rocprim17ROCPRIM_400000_NS6detail17trampoline_kernelINS0_14default_configENS1_20scan_config_selectorIyEEZZNS1_9scan_implILNS1_25lookback_scan_determinismE0ELb0ELb0ES3_N6thrust23THRUST_200600_302600_NS6detail15normal_iteratorINS9_10device_ptrIyEEEESE_yNS9_4plusIvEEyEEDaPvRmT3_T4_T5_mT6_P12ihipStream_tbENKUlT_T0_E_clISt17integral_constantIbLb1EESU_EEDaSP_SQ_EUlSP_E_NS1_11comp_targetILNS1_3genE2ELNS1_11target_archE906ELNS1_3gpuE6ELNS1_3repE0EEENS1_30default_config_static_selectorELNS0_4arch9wavefront6targetE1EEEvT1_,comdat
	.protected	_ZN7rocprim17ROCPRIM_400000_NS6detail17trampoline_kernelINS0_14default_configENS1_20scan_config_selectorIyEEZZNS1_9scan_implILNS1_25lookback_scan_determinismE0ELb0ELb0ES3_N6thrust23THRUST_200600_302600_NS6detail15normal_iteratorINS9_10device_ptrIyEEEESE_yNS9_4plusIvEEyEEDaPvRmT3_T4_T5_mT6_P12ihipStream_tbENKUlT_T0_E_clISt17integral_constantIbLb1EESU_EEDaSP_SQ_EUlSP_E_NS1_11comp_targetILNS1_3genE2ELNS1_11target_archE906ELNS1_3gpuE6ELNS1_3repE0EEENS1_30default_config_static_selectorELNS0_4arch9wavefront6targetE1EEEvT1_ ; -- Begin function _ZN7rocprim17ROCPRIM_400000_NS6detail17trampoline_kernelINS0_14default_configENS1_20scan_config_selectorIyEEZZNS1_9scan_implILNS1_25lookback_scan_determinismE0ELb0ELb0ES3_N6thrust23THRUST_200600_302600_NS6detail15normal_iteratorINS9_10device_ptrIyEEEESE_yNS9_4plusIvEEyEEDaPvRmT3_T4_T5_mT6_P12ihipStream_tbENKUlT_T0_E_clISt17integral_constantIbLb1EESU_EEDaSP_SQ_EUlSP_E_NS1_11comp_targetILNS1_3genE2ELNS1_11target_archE906ELNS1_3gpuE6ELNS1_3repE0EEENS1_30default_config_static_selectorELNS0_4arch9wavefront6targetE1EEEvT1_
	.globl	_ZN7rocprim17ROCPRIM_400000_NS6detail17trampoline_kernelINS0_14default_configENS1_20scan_config_selectorIyEEZZNS1_9scan_implILNS1_25lookback_scan_determinismE0ELb0ELb0ES3_N6thrust23THRUST_200600_302600_NS6detail15normal_iteratorINS9_10device_ptrIyEEEESE_yNS9_4plusIvEEyEEDaPvRmT3_T4_T5_mT6_P12ihipStream_tbENKUlT_T0_E_clISt17integral_constantIbLb1EESU_EEDaSP_SQ_EUlSP_E_NS1_11comp_targetILNS1_3genE2ELNS1_11target_archE906ELNS1_3gpuE6ELNS1_3repE0EEENS1_30default_config_static_selectorELNS0_4arch9wavefront6targetE1EEEvT1_
	.p2align	8
	.type	_ZN7rocprim17ROCPRIM_400000_NS6detail17trampoline_kernelINS0_14default_configENS1_20scan_config_selectorIyEEZZNS1_9scan_implILNS1_25lookback_scan_determinismE0ELb0ELb0ES3_N6thrust23THRUST_200600_302600_NS6detail15normal_iteratorINS9_10device_ptrIyEEEESE_yNS9_4plusIvEEyEEDaPvRmT3_T4_T5_mT6_P12ihipStream_tbENKUlT_T0_E_clISt17integral_constantIbLb1EESU_EEDaSP_SQ_EUlSP_E_NS1_11comp_targetILNS1_3genE2ELNS1_11target_archE906ELNS1_3gpuE6ELNS1_3repE0EEENS1_30default_config_static_selectorELNS0_4arch9wavefront6targetE1EEEvT1_,@function
_ZN7rocprim17ROCPRIM_400000_NS6detail17trampoline_kernelINS0_14default_configENS1_20scan_config_selectorIyEEZZNS1_9scan_implILNS1_25lookback_scan_determinismE0ELb0ELb0ES3_N6thrust23THRUST_200600_302600_NS6detail15normal_iteratorINS9_10device_ptrIyEEEESE_yNS9_4plusIvEEyEEDaPvRmT3_T4_T5_mT6_P12ihipStream_tbENKUlT_T0_E_clISt17integral_constantIbLb1EESU_EEDaSP_SQ_EUlSP_E_NS1_11comp_targetILNS1_3genE2ELNS1_11target_archE906ELNS1_3gpuE6ELNS1_3repE0EEENS1_30default_config_static_selectorELNS0_4arch9wavefront6targetE1EEEvT1_: ; @_ZN7rocprim17ROCPRIM_400000_NS6detail17trampoline_kernelINS0_14default_configENS1_20scan_config_selectorIyEEZZNS1_9scan_implILNS1_25lookback_scan_determinismE0ELb0ELb0ES3_N6thrust23THRUST_200600_302600_NS6detail15normal_iteratorINS9_10device_ptrIyEEEESE_yNS9_4plusIvEEyEEDaPvRmT3_T4_T5_mT6_P12ihipStream_tbENKUlT_T0_E_clISt17integral_constantIbLb1EESU_EEDaSP_SQ_EUlSP_E_NS1_11comp_targetILNS1_3genE2ELNS1_11target_archE906ELNS1_3gpuE6ELNS1_3repE0EEENS1_30default_config_static_selectorELNS0_4arch9wavefront6targetE1EEEvT1_
; %bb.0:
	.section	.rodata,"a",@progbits
	.p2align	6, 0x0
	.amdhsa_kernel _ZN7rocprim17ROCPRIM_400000_NS6detail17trampoline_kernelINS0_14default_configENS1_20scan_config_selectorIyEEZZNS1_9scan_implILNS1_25lookback_scan_determinismE0ELb0ELb0ES3_N6thrust23THRUST_200600_302600_NS6detail15normal_iteratorINS9_10device_ptrIyEEEESE_yNS9_4plusIvEEyEEDaPvRmT3_T4_T5_mT6_P12ihipStream_tbENKUlT_T0_E_clISt17integral_constantIbLb1EESU_EEDaSP_SQ_EUlSP_E_NS1_11comp_targetILNS1_3genE2ELNS1_11target_archE906ELNS1_3gpuE6ELNS1_3repE0EEENS1_30default_config_static_selectorELNS0_4arch9wavefront6targetE1EEEvT1_
		.amdhsa_group_segment_fixed_size 0
		.amdhsa_private_segment_fixed_size 0
		.amdhsa_kernarg_size 104
		.amdhsa_user_sgpr_count 6
		.amdhsa_user_sgpr_private_segment_buffer 1
		.amdhsa_user_sgpr_dispatch_ptr 0
		.amdhsa_user_sgpr_queue_ptr 0
		.amdhsa_user_sgpr_kernarg_segment_ptr 1
		.amdhsa_user_sgpr_dispatch_id 0
		.amdhsa_user_sgpr_flat_scratch_init 0
		.amdhsa_user_sgpr_kernarg_preload_length 0
		.amdhsa_user_sgpr_kernarg_preload_offset 0
		.amdhsa_user_sgpr_private_segment_size 0
		.amdhsa_uses_dynamic_stack 0
		.amdhsa_system_sgpr_private_segment_wavefront_offset 0
		.amdhsa_system_sgpr_workgroup_id_x 1
		.amdhsa_system_sgpr_workgroup_id_y 0
		.amdhsa_system_sgpr_workgroup_id_z 0
		.amdhsa_system_sgpr_workgroup_info 0
		.amdhsa_system_vgpr_workitem_id 0
		.amdhsa_next_free_vgpr 1
		.amdhsa_next_free_sgpr 0
		.amdhsa_accum_offset 4
		.amdhsa_reserve_vcc 0
		.amdhsa_reserve_flat_scratch 0
		.amdhsa_float_round_mode_32 0
		.amdhsa_float_round_mode_16_64 0
		.amdhsa_float_denorm_mode_32 3
		.amdhsa_float_denorm_mode_16_64 3
		.amdhsa_dx10_clamp 1
		.amdhsa_ieee_mode 1
		.amdhsa_fp16_overflow 0
		.amdhsa_tg_split 0
		.amdhsa_exception_fp_ieee_invalid_op 0
		.amdhsa_exception_fp_denorm_src 0
		.amdhsa_exception_fp_ieee_div_zero 0
		.amdhsa_exception_fp_ieee_overflow 0
		.amdhsa_exception_fp_ieee_underflow 0
		.amdhsa_exception_fp_ieee_inexact 0
		.amdhsa_exception_int_div_zero 0
	.end_amdhsa_kernel
	.section	.text._ZN7rocprim17ROCPRIM_400000_NS6detail17trampoline_kernelINS0_14default_configENS1_20scan_config_selectorIyEEZZNS1_9scan_implILNS1_25lookback_scan_determinismE0ELb0ELb0ES3_N6thrust23THRUST_200600_302600_NS6detail15normal_iteratorINS9_10device_ptrIyEEEESE_yNS9_4plusIvEEyEEDaPvRmT3_T4_T5_mT6_P12ihipStream_tbENKUlT_T0_E_clISt17integral_constantIbLb1EESU_EEDaSP_SQ_EUlSP_E_NS1_11comp_targetILNS1_3genE2ELNS1_11target_archE906ELNS1_3gpuE6ELNS1_3repE0EEENS1_30default_config_static_selectorELNS0_4arch9wavefront6targetE1EEEvT1_,"axG",@progbits,_ZN7rocprim17ROCPRIM_400000_NS6detail17trampoline_kernelINS0_14default_configENS1_20scan_config_selectorIyEEZZNS1_9scan_implILNS1_25lookback_scan_determinismE0ELb0ELb0ES3_N6thrust23THRUST_200600_302600_NS6detail15normal_iteratorINS9_10device_ptrIyEEEESE_yNS9_4plusIvEEyEEDaPvRmT3_T4_T5_mT6_P12ihipStream_tbENKUlT_T0_E_clISt17integral_constantIbLb1EESU_EEDaSP_SQ_EUlSP_E_NS1_11comp_targetILNS1_3genE2ELNS1_11target_archE906ELNS1_3gpuE6ELNS1_3repE0EEENS1_30default_config_static_selectorELNS0_4arch9wavefront6targetE1EEEvT1_,comdat
.Lfunc_end4452:
	.size	_ZN7rocprim17ROCPRIM_400000_NS6detail17trampoline_kernelINS0_14default_configENS1_20scan_config_selectorIyEEZZNS1_9scan_implILNS1_25lookback_scan_determinismE0ELb0ELb0ES3_N6thrust23THRUST_200600_302600_NS6detail15normal_iteratorINS9_10device_ptrIyEEEESE_yNS9_4plusIvEEyEEDaPvRmT3_T4_T5_mT6_P12ihipStream_tbENKUlT_T0_E_clISt17integral_constantIbLb1EESU_EEDaSP_SQ_EUlSP_E_NS1_11comp_targetILNS1_3genE2ELNS1_11target_archE906ELNS1_3gpuE6ELNS1_3repE0EEENS1_30default_config_static_selectorELNS0_4arch9wavefront6targetE1EEEvT1_, .Lfunc_end4452-_ZN7rocprim17ROCPRIM_400000_NS6detail17trampoline_kernelINS0_14default_configENS1_20scan_config_selectorIyEEZZNS1_9scan_implILNS1_25lookback_scan_determinismE0ELb0ELb0ES3_N6thrust23THRUST_200600_302600_NS6detail15normal_iteratorINS9_10device_ptrIyEEEESE_yNS9_4plusIvEEyEEDaPvRmT3_T4_T5_mT6_P12ihipStream_tbENKUlT_T0_E_clISt17integral_constantIbLb1EESU_EEDaSP_SQ_EUlSP_E_NS1_11comp_targetILNS1_3genE2ELNS1_11target_archE906ELNS1_3gpuE6ELNS1_3repE0EEENS1_30default_config_static_selectorELNS0_4arch9wavefront6targetE1EEEvT1_
                                        ; -- End function
	.section	.AMDGPU.csdata,"",@progbits
; Kernel info:
; codeLenInByte = 0
; NumSgprs: 4
; NumVgprs: 0
; NumAgprs: 0
; TotalNumVgprs: 0
; ScratchSize: 0
; MemoryBound: 0
; FloatMode: 240
; IeeeMode: 1
; LDSByteSize: 0 bytes/workgroup (compile time only)
; SGPRBlocks: 0
; VGPRBlocks: 0
; NumSGPRsForWavesPerEU: 4
; NumVGPRsForWavesPerEU: 1
; AccumOffset: 4
; Occupancy: 8
; WaveLimiterHint : 0
; COMPUTE_PGM_RSRC2:SCRATCH_EN: 0
; COMPUTE_PGM_RSRC2:USER_SGPR: 6
; COMPUTE_PGM_RSRC2:TRAP_HANDLER: 0
; COMPUTE_PGM_RSRC2:TGID_X_EN: 1
; COMPUTE_PGM_RSRC2:TGID_Y_EN: 0
; COMPUTE_PGM_RSRC2:TGID_Z_EN: 0
; COMPUTE_PGM_RSRC2:TIDIG_COMP_CNT: 0
; COMPUTE_PGM_RSRC3_GFX90A:ACCUM_OFFSET: 0
; COMPUTE_PGM_RSRC3_GFX90A:TG_SPLIT: 0
	.section	.text._ZN7rocprim17ROCPRIM_400000_NS6detail17trampoline_kernelINS0_14default_configENS1_20scan_config_selectorIyEEZZNS1_9scan_implILNS1_25lookback_scan_determinismE0ELb0ELb0ES3_N6thrust23THRUST_200600_302600_NS6detail15normal_iteratorINS9_10device_ptrIyEEEESE_yNS9_4plusIvEEyEEDaPvRmT3_T4_T5_mT6_P12ihipStream_tbENKUlT_T0_E_clISt17integral_constantIbLb1EESU_EEDaSP_SQ_EUlSP_E_NS1_11comp_targetILNS1_3genE10ELNS1_11target_archE1201ELNS1_3gpuE5ELNS1_3repE0EEENS1_30default_config_static_selectorELNS0_4arch9wavefront6targetE1EEEvT1_,"axG",@progbits,_ZN7rocprim17ROCPRIM_400000_NS6detail17trampoline_kernelINS0_14default_configENS1_20scan_config_selectorIyEEZZNS1_9scan_implILNS1_25lookback_scan_determinismE0ELb0ELb0ES3_N6thrust23THRUST_200600_302600_NS6detail15normal_iteratorINS9_10device_ptrIyEEEESE_yNS9_4plusIvEEyEEDaPvRmT3_T4_T5_mT6_P12ihipStream_tbENKUlT_T0_E_clISt17integral_constantIbLb1EESU_EEDaSP_SQ_EUlSP_E_NS1_11comp_targetILNS1_3genE10ELNS1_11target_archE1201ELNS1_3gpuE5ELNS1_3repE0EEENS1_30default_config_static_selectorELNS0_4arch9wavefront6targetE1EEEvT1_,comdat
	.protected	_ZN7rocprim17ROCPRIM_400000_NS6detail17trampoline_kernelINS0_14default_configENS1_20scan_config_selectorIyEEZZNS1_9scan_implILNS1_25lookback_scan_determinismE0ELb0ELb0ES3_N6thrust23THRUST_200600_302600_NS6detail15normal_iteratorINS9_10device_ptrIyEEEESE_yNS9_4plusIvEEyEEDaPvRmT3_T4_T5_mT6_P12ihipStream_tbENKUlT_T0_E_clISt17integral_constantIbLb1EESU_EEDaSP_SQ_EUlSP_E_NS1_11comp_targetILNS1_3genE10ELNS1_11target_archE1201ELNS1_3gpuE5ELNS1_3repE0EEENS1_30default_config_static_selectorELNS0_4arch9wavefront6targetE1EEEvT1_ ; -- Begin function _ZN7rocprim17ROCPRIM_400000_NS6detail17trampoline_kernelINS0_14default_configENS1_20scan_config_selectorIyEEZZNS1_9scan_implILNS1_25lookback_scan_determinismE0ELb0ELb0ES3_N6thrust23THRUST_200600_302600_NS6detail15normal_iteratorINS9_10device_ptrIyEEEESE_yNS9_4plusIvEEyEEDaPvRmT3_T4_T5_mT6_P12ihipStream_tbENKUlT_T0_E_clISt17integral_constantIbLb1EESU_EEDaSP_SQ_EUlSP_E_NS1_11comp_targetILNS1_3genE10ELNS1_11target_archE1201ELNS1_3gpuE5ELNS1_3repE0EEENS1_30default_config_static_selectorELNS0_4arch9wavefront6targetE1EEEvT1_
	.globl	_ZN7rocprim17ROCPRIM_400000_NS6detail17trampoline_kernelINS0_14default_configENS1_20scan_config_selectorIyEEZZNS1_9scan_implILNS1_25lookback_scan_determinismE0ELb0ELb0ES3_N6thrust23THRUST_200600_302600_NS6detail15normal_iteratorINS9_10device_ptrIyEEEESE_yNS9_4plusIvEEyEEDaPvRmT3_T4_T5_mT6_P12ihipStream_tbENKUlT_T0_E_clISt17integral_constantIbLb1EESU_EEDaSP_SQ_EUlSP_E_NS1_11comp_targetILNS1_3genE10ELNS1_11target_archE1201ELNS1_3gpuE5ELNS1_3repE0EEENS1_30default_config_static_selectorELNS0_4arch9wavefront6targetE1EEEvT1_
	.p2align	8
	.type	_ZN7rocprim17ROCPRIM_400000_NS6detail17trampoline_kernelINS0_14default_configENS1_20scan_config_selectorIyEEZZNS1_9scan_implILNS1_25lookback_scan_determinismE0ELb0ELb0ES3_N6thrust23THRUST_200600_302600_NS6detail15normal_iteratorINS9_10device_ptrIyEEEESE_yNS9_4plusIvEEyEEDaPvRmT3_T4_T5_mT6_P12ihipStream_tbENKUlT_T0_E_clISt17integral_constantIbLb1EESU_EEDaSP_SQ_EUlSP_E_NS1_11comp_targetILNS1_3genE10ELNS1_11target_archE1201ELNS1_3gpuE5ELNS1_3repE0EEENS1_30default_config_static_selectorELNS0_4arch9wavefront6targetE1EEEvT1_,@function
_ZN7rocprim17ROCPRIM_400000_NS6detail17trampoline_kernelINS0_14default_configENS1_20scan_config_selectorIyEEZZNS1_9scan_implILNS1_25lookback_scan_determinismE0ELb0ELb0ES3_N6thrust23THRUST_200600_302600_NS6detail15normal_iteratorINS9_10device_ptrIyEEEESE_yNS9_4plusIvEEyEEDaPvRmT3_T4_T5_mT6_P12ihipStream_tbENKUlT_T0_E_clISt17integral_constantIbLb1EESU_EEDaSP_SQ_EUlSP_E_NS1_11comp_targetILNS1_3genE10ELNS1_11target_archE1201ELNS1_3gpuE5ELNS1_3repE0EEENS1_30default_config_static_selectorELNS0_4arch9wavefront6targetE1EEEvT1_: ; @_ZN7rocprim17ROCPRIM_400000_NS6detail17trampoline_kernelINS0_14default_configENS1_20scan_config_selectorIyEEZZNS1_9scan_implILNS1_25lookback_scan_determinismE0ELb0ELb0ES3_N6thrust23THRUST_200600_302600_NS6detail15normal_iteratorINS9_10device_ptrIyEEEESE_yNS9_4plusIvEEyEEDaPvRmT3_T4_T5_mT6_P12ihipStream_tbENKUlT_T0_E_clISt17integral_constantIbLb1EESU_EEDaSP_SQ_EUlSP_E_NS1_11comp_targetILNS1_3genE10ELNS1_11target_archE1201ELNS1_3gpuE5ELNS1_3repE0EEENS1_30default_config_static_selectorELNS0_4arch9wavefront6targetE1EEEvT1_
; %bb.0:
	.section	.rodata,"a",@progbits
	.p2align	6, 0x0
	.amdhsa_kernel _ZN7rocprim17ROCPRIM_400000_NS6detail17trampoline_kernelINS0_14default_configENS1_20scan_config_selectorIyEEZZNS1_9scan_implILNS1_25lookback_scan_determinismE0ELb0ELb0ES3_N6thrust23THRUST_200600_302600_NS6detail15normal_iteratorINS9_10device_ptrIyEEEESE_yNS9_4plusIvEEyEEDaPvRmT3_T4_T5_mT6_P12ihipStream_tbENKUlT_T0_E_clISt17integral_constantIbLb1EESU_EEDaSP_SQ_EUlSP_E_NS1_11comp_targetILNS1_3genE10ELNS1_11target_archE1201ELNS1_3gpuE5ELNS1_3repE0EEENS1_30default_config_static_selectorELNS0_4arch9wavefront6targetE1EEEvT1_
		.amdhsa_group_segment_fixed_size 0
		.amdhsa_private_segment_fixed_size 0
		.amdhsa_kernarg_size 104
		.amdhsa_user_sgpr_count 6
		.amdhsa_user_sgpr_private_segment_buffer 1
		.amdhsa_user_sgpr_dispatch_ptr 0
		.amdhsa_user_sgpr_queue_ptr 0
		.amdhsa_user_sgpr_kernarg_segment_ptr 1
		.amdhsa_user_sgpr_dispatch_id 0
		.amdhsa_user_sgpr_flat_scratch_init 0
		.amdhsa_user_sgpr_kernarg_preload_length 0
		.amdhsa_user_sgpr_kernarg_preload_offset 0
		.amdhsa_user_sgpr_private_segment_size 0
		.amdhsa_uses_dynamic_stack 0
		.amdhsa_system_sgpr_private_segment_wavefront_offset 0
		.amdhsa_system_sgpr_workgroup_id_x 1
		.amdhsa_system_sgpr_workgroup_id_y 0
		.amdhsa_system_sgpr_workgroup_id_z 0
		.amdhsa_system_sgpr_workgroup_info 0
		.amdhsa_system_vgpr_workitem_id 0
		.amdhsa_next_free_vgpr 1
		.amdhsa_next_free_sgpr 0
		.amdhsa_accum_offset 4
		.amdhsa_reserve_vcc 0
		.amdhsa_reserve_flat_scratch 0
		.amdhsa_float_round_mode_32 0
		.amdhsa_float_round_mode_16_64 0
		.amdhsa_float_denorm_mode_32 3
		.amdhsa_float_denorm_mode_16_64 3
		.amdhsa_dx10_clamp 1
		.amdhsa_ieee_mode 1
		.amdhsa_fp16_overflow 0
		.amdhsa_tg_split 0
		.amdhsa_exception_fp_ieee_invalid_op 0
		.amdhsa_exception_fp_denorm_src 0
		.amdhsa_exception_fp_ieee_div_zero 0
		.amdhsa_exception_fp_ieee_overflow 0
		.amdhsa_exception_fp_ieee_underflow 0
		.amdhsa_exception_fp_ieee_inexact 0
		.amdhsa_exception_int_div_zero 0
	.end_amdhsa_kernel
	.section	.text._ZN7rocprim17ROCPRIM_400000_NS6detail17trampoline_kernelINS0_14default_configENS1_20scan_config_selectorIyEEZZNS1_9scan_implILNS1_25lookback_scan_determinismE0ELb0ELb0ES3_N6thrust23THRUST_200600_302600_NS6detail15normal_iteratorINS9_10device_ptrIyEEEESE_yNS9_4plusIvEEyEEDaPvRmT3_T4_T5_mT6_P12ihipStream_tbENKUlT_T0_E_clISt17integral_constantIbLb1EESU_EEDaSP_SQ_EUlSP_E_NS1_11comp_targetILNS1_3genE10ELNS1_11target_archE1201ELNS1_3gpuE5ELNS1_3repE0EEENS1_30default_config_static_selectorELNS0_4arch9wavefront6targetE1EEEvT1_,"axG",@progbits,_ZN7rocprim17ROCPRIM_400000_NS6detail17trampoline_kernelINS0_14default_configENS1_20scan_config_selectorIyEEZZNS1_9scan_implILNS1_25lookback_scan_determinismE0ELb0ELb0ES3_N6thrust23THRUST_200600_302600_NS6detail15normal_iteratorINS9_10device_ptrIyEEEESE_yNS9_4plusIvEEyEEDaPvRmT3_T4_T5_mT6_P12ihipStream_tbENKUlT_T0_E_clISt17integral_constantIbLb1EESU_EEDaSP_SQ_EUlSP_E_NS1_11comp_targetILNS1_3genE10ELNS1_11target_archE1201ELNS1_3gpuE5ELNS1_3repE0EEENS1_30default_config_static_selectorELNS0_4arch9wavefront6targetE1EEEvT1_,comdat
.Lfunc_end4453:
	.size	_ZN7rocprim17ROCPRIM_400000_NS6detail17trampoline_kernelINS0_14default_configENS1_20scan_config_selectorIyEEZZNS1_9scan_implILNS1_25lookback_scan_determinismE0ELb0ELb0ES3_N6thrust23THRUST_200600_302600_NS6detail15normal_iteratorINS9_10device_ptrIyEEEESE_yNS9_4plusIvEEyEEDaPvRmT3_T4_T5_mT6_P12ihipStream_tbENKUlT_T0_E_clISt17integral_constantIbLb1EESU_EEDaSP_SQ_EUlSP_E_NS1_11comp_targetILNS1_3genE10ELNS1_11target_archE1201ELNS1_3gpuE5ELNS1_3repE0EEENS1_30default_config_static_selectorELNS0_4arch9wavefront6targetE1EEEvT1_, .Lfunc_end4453-_ZN7rocprim17ROCPRIM_400000_NS6detail17trampoline_kernelINS0_14default_configENS1_20scan_config_selectorIyEEZZNS1_9scan_implILNS1_25lookback_scan_determinismE0ELb0ELb0ES3_N6thrust23THRUST_200600_302600_NS6detail15normal_iteratorINS9_10device_ptrIyEEEESE_yNS9_4plusIvEEyEEDaPvRmT3_T4_T5_mT6_P12ihipStream_tbENKUlT_T0_E_clISt17integral_constantIbLb1EESU_EEDaSP_SQ_EUlSP_E_NS1_11comp_targetILNS1_3genE10ELNS1_11target_archE1201ELNS1_3gpuE5ELNS1_3repE0EEENS1_30default_config_static_selectorELNS0_4arch9wavefront6targetE1EEEvT1_
                                        ; -- End function
	.section	.AMDGPU.csdata,"",@progbits
; Kernel info:
; codeLenInByte = 0
; NumSgprs: 4
; NumVgprs: 0
; NumAgprs: 0
; TotalNumVgprs: 0
; ScratchSize: 0
; MemoryBound: 0
; FloatMode: 240
; IeeeMode: 1
; LDSByteSize: 0 bytes/workgroup (compile time only)
; SGPRBlocks: 0
; VGPRBlocks: 0
; NumSGPRsForWavesPerEU: 4
; NumVGPRsForWavesPerEU: 1
; AccumOffset: 4
; Occupancy: 8
; WaveLimiterHint : 0
; COMPUTE_PGM_RSRC2:SCRATCH_EN: 0
; COMPUTE_PGM_RSRC2:USER_SGPR: 6
; COMPUTE_PGM_RSRC2:TRAP_HANDLER: 0
; COMPUTE_PGM_RSRC2:TGID_X_EN: 1
; COMPUTE_PGM_RSRC2:TGID_Y_EN: 0
; COMPUTE_PGM_RSRC2:TGID_Z_EN: 0
; COMPUTE_PGM_RSRC2:TIDIG_COMP_CNT: 0
; COMPUTE_PGM_RSRC3_GFX90A:ACCUM_OFFSET: 0
; COMPUTE_PGM_RSRC3_GFX90A:TG_SPLIT: 0
	.section	.text._ZN7rocprim17ROCPRIM_400000_NS6detail17trampoline_kernelINS0_14default_configENS1_20scan_config_selectorIyEEZZNS1_9scan_implILNS1_25lookback_scan_determinismE0ELb0ELb0ES3_N6thrust23THRUST_200600_302600_NS6detail15normal_iteratorINS9_10device_ptrIyEEEESE_yNS9_4plusIvEEyEEDaPvRmT3_T4_T5_mT6_P12ihipStream_tbENKUlT_T0_E_clISt17integral_constantIbLb1EESU_EEDaSP_SQ_EUlSP_E_NS1_11comp_targetILNS1_3genE10ELNS1_11target_archE1200ELNS1_3gpuE4ELNS1_3repE0EEENS1_30default_config_static_selectorELNS0_4arch9wavefront6targetE1EEEvT1_,"axG",@progbits,_ZN7rocprim17ROCPRIM_400000_NS6detail17trampoline_kernelINS0_14default_configENS1_20scan_config_selectorIyEEZZNS1_9scan_implILNS1_25lookback_scan_determinismE0ELb0ELb0ES3_N6thrust23THRUST_200600_302600_NS6detail15normal_iteratorINS9_10device_ptrIyEEEESE_yNS9_4plusIvEEyEEDaPvRmT3_T4_T5_mT6_P12ihipStream_tbENKUlT_T0_E_clISt17integral_constantIbLb1EESU_EEDaSP_SQ_EUlSP_E_NS1_11comp_targetILNS1_3genE10ELNS1_11target_archE1200ELNS1_3gpuE4ELNS1_3repE0EEENS1_30default_config_static_selectorELNS0_4arch9wavefront6targetE1EEEvT1_,comdat
	.protected	_ZN7rocprim17ROCPRIM_400000_NS6detail17trampoline_kernelINS0_14default_configENS1_20scan_config_selectorIyEEZZNS1_9scan_implILNS1_25lookback_scan_determinismE0ELb0ELb0ES3_N6thrust23THRUST_200600_302600_NS6detail15normal_iteratorINS9_10device_ptrIyEEEESE_yNS9_4plusIvEEyEEDaPvRmT3_T4_T5_mT6_P12ihipStream_tbENKUlT_T0_E_clISt17integral_constantIbLb1EESU_EEDaSP_SQ_EUlSP_E_NS1_11comp_targetILNS1_3genE10ELNS1_11target_archE1200ELNS1_3gpuE4ELNS1_3repE0EEENS1_30default_config_static_selectorELNS0_4arch9wavefront6targetE1EEEvT1_ ; -- Begin function _ZN7rocprim17ROCPRIM_400000_NS6detail17trampoline_kernelINS0_14default_configENS1_20scan_config_selectorIyEEZZNS1_9scan_implILNS1_25lookback_scan_determinismE0ELb0ELb0ES3_N6thrust23THRUST_200600_302600_NS6detail15normal_iteratorINS9_10device_ptrIyEEEESE_yNS9_4plusIvEEyEEDaPvRmT3_T4_T5_mT6_P12ihipStream_tbENKUlT_T0_E_clISt17integral_constantIbLb1EESU_EEDaSP_SQ_EUlSP_E_NS1_11comp_targetILNS1_3genE10ELNS1_11target_archE1200ELNS1_3gpuE4ELNS1_3repE0EEENS1_30default_config_static_selectorELNS0_4arch9wavefront6targetE1EEEvT1_
	.globl	_ZN7rocprim17ROCPRIM_400000_NS6detail17trampoline_kernelINS0_14default_configENS1_20scan_config_selectorIyEEZZNS1_9scan_implILNS1_25lookback_scan_determinismE0ELb0ELb0ES3_N6thrust23THRUST_200600_302600_NS6detail15normal_iteratorINS9_10device_ptrIyEEEESE_yNS9_4plusIvEEyEEDaPvRmT3_T4_T5_mT6_P12ihipStream_tbENKUlT_T0_E_clISt17integral_constantIbLb1EESU_EEDaSP_SQ_EUlSP_E_NS1_11comp_targetILNS1_3genE10ELNS1_11target_archE1200ELNS1_3gpuE4ELNS1_3repE0EEENS1_30default_config_static_selectorELNS0_4arch9wavefront6targetE1EEEvT1_
	.p2align	8
	.type	_ZN7rocprim17ROCPRIM_400000_NS6detail17trampoline_kernelINS0_14default_configENS1_20scan_config_selectorIyEEZZNS1_9scan_implILNS1_25lookback_scan_determinismE0ELb0ELb0ES3_N6thrust23THRUST_200600_302600_NS6detail15normal_iteratorINS9_10device_ptrIyEEEESE_yNS9_4plusIvEEyEEDaPvRmT3_T4_T5_mT6_P12ihipStream_tbENKUlT_T0_E_clISt17integral_constantIbLb1EESU_EEDaSP_SQ_EUlSP_E_NS1_11comp_targetILNS1_3genE10ELNS1_11target_archE1200ELNS1_3gpuE4ELNS1_3repE0EEENS1_30default_config_static_selectorELNS0_4arch9wavefront6targetE1EEEvT1_,@function
_ZN7rocprim17ROCPRIM_400000_NS6detail17trampoline_kernelINS0_14default_configENS1_20scan_config_selectorIyEEZZNS1_9scan_implILNS1_25lookback_scan_determinismE0ELb0ELb0ES3_N6thrust23THRUST_200600_302600_NS6detail15normal_iteratorINS9_10device_ptrIyEEEESE_yNS9_4plusIvEEyEEDaPvRmT3_T4_T5_mT6_P12ihipStream_tbENKUlT_T0_E_clISt17integral_constantIbLb1EESU_EEDaSP_SQ_EUlSP_E_NS1_11comp_targetILNS1_3genE10ELNS1_11target_archE1200ELNS1_3gpuE4ELNS1_3repE0EEENS1_30default_config_static_selectorELNS0_4arch9wavefront6targetE1EEEvT1_: ; @_ZN7rocprim17ROCPRIM_400000_NS6detail17trampoline_kernelINS0_14default_configENS1_20scan_config_selectorIyEEZZNS1_9scan_implILNS1_25lookback_scan_determinismE0ELb0ELb0ES3_N6thrust23THRUST_200600_302600_NS6detail15normal_iteratorINS9_10device_ptrIyEEEESE_yNS9_4plusIvEEyEEDaPvRmT3_T4_T5_mT6_P12ihipStream_tbENKUlT_T0_E_clISt17integral_constantIbLb1EESU_EEDaSP_SQ_EUlSP_E_NS1_11comp_targetILNS1_3genE10ELNS1_11target_archE1200ELNS1_3gpuE4ELNS1_3repE0EEENS1_30default_config_static_selectorELNS0_4arch9wavefront6targetE1EEEvT1_
; %bb.0:
	.section	.rodata,"a",@progbits
	.p2align	6, 0x0
	.amdhsa_kernel _ZN7rocprim17ROCPRIM_400000_NS6detail17trampoline_kernelINS0_14default_configENS1_20scan_config_selectorIyEEZZNS1_9scan_implILNS1_25lookback_scan_determinismE0ELb0ELb0ES3_N6thrust23THRUST_200600_302600_NS6detail15normal_iteratorINS9_10device_ptrIyEEEESE_yNS9_4plusIvEEyEEDaPvRmT3_T4_T5_mT6_P12ihipStream_tbENKUlT_T0_E_clISt17integral_constantIbLb1EESU_EEDaSP_SQ_EUlSP_E_NS1_11comp_targetILNS1_3genE10ELNS1_11target_archE1200ELNS1_3gpuE4ELNS1_3repE0EEENS1_30default_config_static_selectorELNS0_4arch9wavefront6targetE1EEEvT1_
		.amdhsa_group_segment_fixed_size 0
		.amdhsa_private_segment_fixed_size 0
		.amdhsa_kernarg_size 104
		.amdhsa_user_sgpr_count 6
		.amdhsa_user_sgpr_private_segment_buffer 1
		.amdhsa_user_sgpr_dispatch_ptr 0
		.amdhsa_user_sgpr_queue_ptr 0
		.amdhsa_user_sgpr_kernarg_segment_ptr 1
		.amdhsa_user_sgpr_dispatch_id 0
		.amdhsa_user_sgpr_flat_scratch_init 0
		.amdhsa_user_sgpr_kernarg_preload_length 0
		.amdhsa_user_sgpr_kernarg_preload_offset 0
		.amdhsa_user_sgpr_private_segment_size 0
		.amdhsa_uses_dynamic_stack 0
		.amdhsa_system_sgpr_private_segment_wavefront_offset 0
		.amdhsa_system_sgpr_workgroup_id_x 1
		.amdhsa_system_sgpr_workgroup_id_y 0
		.amdhsa_system_sgpr_workgroup_id_z 0
		.amdhsa_system_sgpr_workgroup_info 0
		.amdhsa_system_vgpr_workitem_id 0
		.amdhsa_next_free_vgpr 1
		.amdhsa_next_free_sgpr 0
		.amdhsa_accum_offset 4
		.amdhsa_reserve_vcc 0
		.amdhsa_reserve_flat_scratch 0
		.amdhsa_float_round_mode_32 0
		.amdhsa_float_round_mode_16_64 0
		.amdhsa_float_denorm_mode_32 3
		.amdhsa_float_denorm_mode_16_64 3
		.amdhsa_dx10_clamp 1
		.amdhsa_ieee_mode 1
		.amdhsa_fp16_overflow 0
		.amdhsa_tg_split 0
		.amdhsa_exception_fp_ieee_invalid_op 0
		.amdhsa_exception_fp_denorm_src 0
		.amdhsa_exception_fp_ieee_div_zero 0
		.amdhsa_exception_fp_ieee_overflow 0
		.amdhsa_exception_fp_ieee_underflow 0
		.amdhsa_exception_fp_ieee_inexact 0
		.amdhsa_exception_int_div_zero 0
	.end_amdhsa_kernel
	.section	.text._ZN7rocprim17ROCPRIM_400000_NS6detail17trampoline_kernelINS0_14default_configENS1_20scan_config_selectorIyEEZZNS1_9scan_implILNS1_25lookback_scan_determinismE0ELb0ELb0ES3_N6thrust23THRUST_200600_302600_NS6detail15normal_iteratorINS9_10device_ptrIyEEEESE_yNS9_4plusIvEEyEEDaPvRmT3_T4_T5_mT6_P12ihipStream_tbENKUlT_T0_E_clISt17integral_constantIbLb1EESU_EEDaSP_SQ_EUlSP_E_NS1_11comp_targetILNS1_3genE10ELNS1_11target_archE1200ELNS1_3gpuE4ELNS1_3repE0EEENS1_30default_config_static_selectorELNS0_4arch9wavefront6targetE1EEEvT1_,"axG",@progbits,_ZN7rocprim17ROCPRIM_400000_NS6detail17trampoline_kernelINS0_14default_configENS1_20scan_config_selectorIyEEZZNS1_9scan_implILNS1_25lookback_scan_determinismE0ELb0ELb0ES3_N6thrust23THRUST_200600_302600_NS6detail15normal_iteratorINS9_10device_ptrIyEEEESE_yNS9_4plusIvEEyEEDaPvRmT3_T4_T5_mT6_P12ihipStream_tbENKUlT_T0_E_clISt17integral_constantIbLb1EESU_EEDaSP_SQ_EUlSP_E_NS1_11comp_targetILNS1_3genE10ELNS1_11target_archE1200ELNS1_3gpuE4ELNS1_3repE0EEENS1_30default_config_static_selectorELNS0_4arch9wavefront6targetE1EEEvT1_,comdat
.Lfunc_end4454:
	.size	_ZN7rocprim17ROCPRIM_400000_NS6detail17trampoline_kernelINS0_14default_configENS1_20scan_config_selectorIyEEZZNS1_9scan_implILNS1_25lookback_scan_determinismE0ELb0ELb0ES3_N6thrust23THRUST_200600_302600_NS6detail15normal_iteratorINS9_10device_ptrIyEEEESE_yNS9_4plusIvEEyEEDaPvRmT3_T4_T5_mT6_P12ihipStream_tbENKUlT_T0_E_clISt17integral_constantIbLb1EESU_EEDaSP_SQ_EUlSP_E_NS1_11comp_targetILNS1_3genE10ELNS1_11target_archE1200ELNS1_3gpuE4ELNS1_3repE0EEENS1_30default_config_static_selectorELNS0_4arch9wavefront6targetE1EEEvT1_, .Lfunc_end4454-_ZN7rocprim17ROCPRIM_400000_NS6detail17trampoline_kernelINS0_14default_configENS1_20scan_config_selectorIyEEZZNS1_9scan_implILNS1_25lookback_scan_determinismE0ELb0ELb0ES3_N6thrust23THRUST_200600_302600_NS6detail15normal_iteratorINS9_10device_ptrIyEEEESE_yNS9_4plusIvEEyEEDaPvRmT3_T4_T5_mT6_P12ihipStream_tbENKUlT_T0_E_clISt17integral_constantIbLb1EESU_EEDaSP_SQ_EUlSP_E_NS1_11comp_targetILNS1_3genE10ELNS1_11target_archE1200ELNS1_3gpuE4ELNS1_3repE0EEENS1_30default_config_static_selectorELNS0_4arch9wavefront6targetE1EEEvT1_
                                        ; -- End function
	.section	.AMDGPU.csdata,"",@progbits
; Kernel info:
; codeLenInByte = 0
; NumSgprs: 4
; NumVgprs: 0
; NumAgprs: 0
; TotalNumVgprs: 0
; ScratchSize: 0
; MemoryBound: 0
; FloatMode: 240
; IeeeMode: 1
; LDSByteSize: 0 bytes/workgroup (compile time only)
; SGPRBlocks: 0
; VGPRBlocks: 0
; NumSGPRsForWavesPerEU: 4
; NumVGPRsForWavesPerEU: 1
; AccumOffset: 4
; Occupancy: 8
; WaveLimiterHint : 0
; COMPUTE_PGM_RSRC2:SCRATCH_EN: 0
; COMPUTE_PGM_RSRC2:USER_SGPR: 6
; COMPUTE_PGM_RSRC2:TRAP_HANDLER: 0
; COMPUTE_PGM_RSRC2:TGID_X_EN: 1
; COMPUTE_PGM_RSRC2:TGID_Y_EN: 0
; COMPUTE_PGM_RSRC2:TGID_Z_EN: 0
; COMPUTE_PGM_RSRC2:TIDIG_COMP_CNT: 0
; COMPUTE_PGM_RSRC3_GFX90A:ACCUM_OFFSET: 0
; COMPUTE_PGM_RSRC3_GFX90A:TG_SPLIT: 0
	.section	.text._ZN7rocprim17ROCPRIM_400000_NS6detail17trampoline_kernelINS0_14default_configENS1_20scan_config_selectorIyEEZZNS1_9scan_implILNS1_25lookback_scan_determinismE0ELb0ELb0ES3_N6thrust23THRUST_200600_302600_NS6detail15normal_iteratorINS9_10device_ptrIyEEEESE_yNS9_4plusIvEEyEEDaPvRmT3_T4_T5_mT6_P12ihipStream_tbENKUlT_T0_E_clISt17integral_constantIbLb1EESU_EEDaSP_SQ_EUlSP_E_NS1_11comp_targetILNS1_3genE9ELNS1_11target_archE1100ELNS1_3gpuE3ELNS1_3repE0EEENS1_30default_config_static_selectorELNS0_4arch9wavefront6targetE1EEEvT1_,"axG",@progbits,_ZN7rocprim17ROCPRIM_400000_NS6detail17trampoline_kernelINS0_14default_configENS1_20scan_config_selectorIyEEZZNS1_9scan_implILNS1_25lookback_scan_determinismE0ELb0ELb0ES3_N6thrust23THRUST_200600_302600_NS6detail15normal_iteratorINS9_10device_ptrIyEEEESE_yNS9_4plusIvEEyEEDaPvRmT3_T4_T5_mT6_P12ihipStream_tbENKUlT_T0_E_clISt17integral_constantIbLb1EESU_EEDaSP_SQ_EUlSP_E_NS1_11comp_targetILNS1_3genE9ELNS1_11target_archE1100ELNS1_3gpuE3ELNS1_3repE0EEENS1_30default_config_static_selectorELNS0_4arch9wavefront6targetE1EEEvT1_,comdat
	.protected	_ZN7rocprim17ROCPRIM_400000_NS6detail17trampoline_kernelINS0_14default_configENS1_20scan_config_selectorIyEEZZNS1_9scan_implILNS1_25lookback_scan_determinismE0ELb0ELb0ES3_N6thrust23THRUST_200600_302600_NS6detail15normal_iteratorINS9_10device_ptrIyEEEESE_yNS9_4plusIvEEyEEDaPvRmT3_T4_T5_mT6_P12ihipStream_tbENKUlT_T0_E_clISt17integral_constantIbLb1EESU_EEDaSP_SQ_EUlSP_E_NS1_11comp_targetILNS1_3genE9ELNS1_11target_archE1100ELNS1_3gpuE3ELNS1_3repE0EEENS1_30default_config_static_selectorELNS0_4arch9wavefront6targetE1EEEvT1_ ; -- Begin function _ZN7rocprim17ROCPRIM_400000_NS6detail17trampoline_kernelINS0_14default_configENS1_20scan_config_selectorIyEEZZNS1_9scan_implILNS1_25lookback_scan_determinismE0ELb0ELb0ES3_N6thrust23THRUST_200600_302600_NS6detail15normal_iteratorINS9_10device_ptrIyEEEESE_yNS9_4plusIvEEyEEDaPvRmT3_T4_T5_mT6_P12ihipStream_tbENKUlT_T0_E_clISt17integral_constantIbLb1EESU_EEDaSP_SQ_EUlSP_E_NS1_11comp_targetILNS1_3genE9ELNS1_11target_archE1100ELNS1_3gpuE3ELNS1_3repE0EEENS1_30default_config_static_selectorELNS0_4arch9wavefront6targetE1EEEvT1_
	.globl	_ZN7rocprim17ROCPRIM_400000_NS6detail17trampoline_kernelINS0_14default_configENS1_20scan_config_selectorIyEEZZNS1_9scan_implILNS1_25lookback_scan_determinismE0ELb0ELb0ES3_N6thrust23THRUST_200600_302600_NS6detail15normal_iteratorINS9_10device_ptrIyEEEESE_yNS9_4plusIvEEyEEDaPvRmT3_T4_T5_mT6_P12ihipStream_tbENKUlT_T0_E_clISt17integral_constantIbLb1EESU_EEDaSP_SQ_EUlSP_E_NS1_11comp_targetILNS1_3genE9ELNS1_11target_archE1100ELNS1_3gpuE3ELNS1_3repE0EEENS1_30default_config_static_selectorELNS0_4arch9wavefront6targetE1EEEvT1_
	.p2align	8
	.type	_ZN7rocprim17ROCPRIM_400000_NS6detail17trampoline_kernelINS0_14default_configENS1_20scan_config_selectorIyEEZZNS1_9scan_implILNS1_25lookback_scan_determinismE0ELb0ELb0ES3_N6thrust23THRUST_200600_302600_NS6detail15normal_iteratorINS9_10device_ptrIyEEEESE_yNS9_4plusIvEEyEEDaPvRmT3_T4_T5_mT6_P12ihipStream_tbENKUlT_T0_E_clISt17integral_constantIbLb1EESU_EEDaSP_SQ_EUlSP_E_NS1_11comp_targetILNS1_3genE9ELNS1_11target_archE1100ELNS1_3gpuE3ELNS1_3repE0EEENS1_30default_config_static_selectorELNS0_4arch9wavefront6targetE1EEEvT1_,@function
_ZN7rocprim17ROCPRIM_400000_NS6detail17trampoline_kernelINS0_14default_configENS1_20scan_config_selectorIyEEZZNS1_9scan_implILNS1_25lookback_scan_determinismE0ELb0ELb0ES3_N6thrust23THRUST_200600_302600_NS6detail15normal_iteratorINS9_10device_ptrIyEEEESE_yNS9_4plusIvEEyEEDaPvRmT3_T4_T5_mT6_P12ihipStream_tbENKUlT_T0_E_clISt17integral_constantIbLb1EESU_EEDaSP_SQ_EUlSP_E_NS1_11comp_targetILNS1_3genE9ELNS1_11target_archE1100ELNS1_3gpuE3ELNS1_3repE0EEENS1_30default_config_static_selectorELNS0_4arch9wavefront6targetE1EEEvT1_: ; @_ZN7rocprim17ROCPRIM_400000_NS6detail17trampoline_kernelINS0_14default_configENS1_20scan_config_selectorIyEEZZNS1_9scan_implILNS1_25lookback_scan_determinismE0ELb0ELb0ES3_N6thrust23THRUST_200600_302600_NS6detail15normal_iteratorINS9_10device_ptrIyEEEESE_yNS9_4plusIvEEyEEDaPvRmT3_T4_T5_mT6_P12ihipStream_tbENKUlT_T0_E_clISt17integral_constantIbLb1EESU_EEDaSP_SQ_EUlSP_E_NS1_11comp_targetILNS1_3genE9ELNS1_11target_archE1100ELNS1_3gpuE3ELNS1_3repE0EEENS1_30default_config_static_selectorELNS0_4arch9wavefront6targetE1EEEvT1_
; %bb.0:
	.section	.rodata,"a",@progbits
	.p2align	6, 0x0
	.amdhsa_kernel _ZN7rocprim17ROCPRIM_400000_NS6detail17trampoline_kernelINS0_14default_configENS1_20scan_config_selectorIyEEZZNS1_9scan_implILNS1_25lookback_scan_determinismE0ELb0ELb0ES3_N6thrust23THRUST_200600_302600_NS6detail15normal_iteratorINS9_10device_ptrIyEEEESE_yNS9_4plusIvEEyEEDaPvRmT3_T4_T5_mT6_P12ihipStream_tbENKUlT_T0_E_clISt17integral_constantIbLb1EESU_EEDaSP_SQ_EUlSP_E_NS1_11comp_targetILNS1_3genE9ELNS1_11target_archE1100ELNS1_3gpuE3ELNS1_3repE0EEENS1_30default_config_static_selectorELNS0_4arch9wavefront6targetE1EEEvT1_
		.amdhsa_group_segment_fixed_size 0
		.amdhsa_private_segment_fixed_size 0
		.amdhsa_kernarg_size 104
		.amdhsa_user_sgpr_count 6
		.amdhsa_user_sgpr_private_segment_buffer 1
		.amdhsa_user_sgpr_dispatch_ptr 0
		.amdhsa_user_sgpr_queue_ptr 0
		.amdhsa_user_sgpr_kernarg_segment_ptr 1
		.amdhsa_user_sgpr_dispatch_id 0
		.amdhsa_user_sgpr_flat_scratch_init 0
		.amdhsa_user_sgpr_kernarg_preload_length 0
		.amdhsa_user_sgpr_kernarg_preload_offset 0
		.amdhsa_user_sgpr_private_segment_size 0
		.amdhsa_uses_dynamic_stack 0
		.amdhsa_system_sgpr_private_segment_wavefront_offset 0
		.amdhsa_system_sgpr_workgroup_id_x 1
		.amdhsa_system_sgpr_workgroup_id_y 0
		.amdhsa_system_sgpr_workgroup_id_z 0
		.amdhsa_system_sgpr_workgroup_info 0
		.amdhsa_system_vgpr_workitem_id 0
		.amdhsa_next_free_vgpr 1
		.amdhsa_next_free_sgpr 0
		.amdhsa_accum_offset 4
		.amdhsa_reserve_vcc 0
		.amdhsa_reserve_flat_scratch 0
		.amdhsa_float_round_mode_32 0
		.amdhsa_float_round_mode_16_64 0
		.amdhsa_float_denorm_mode_32 3
		.amdhsa_float_denorm_mode_16_64 3
		.amdhsa_dx10_clamp 1
		.amdhsa_ieee_mode 1
		.amdhsa_fp16_overflow 0
		.amdhsa_tg_split 0
		.amdhsa_exception_fp_ieee_invalid_op 0
		.amdhsa_exception_fp_denorm_src 0
		.amdhsa_exception_fp_ieee_div_zero 0
		.amdhsa_exception_fp_ieee_overflow 0
		.amdhsa_exception_fp_ieee_underflow 0
		.amdhsa_exception_fp_ieee_inexact 0
		.amdhsa_exception_int_div_zero 0
	.end_amdhsa_kernel
	.section	.text._ZN7rocprim17ROCPRIM_400000_NS6detail17trampoline_kernelINS0_14default_configENS1_20scan_config_selectorIyEEZZNS1_9scan_implILNS1_25lookback_scan_determinismE0ELb0ELb0ES3_N6thrust23THRUST_200600_302600_NS6detail15normal_iteratorINS9_10device_ptrIyEEEESE_yNS9_4plusIvEEyEEDaPvRmT3_T4_T5_mT6_P12ihipStream_tbENKUlT_T0_E_clISt17integral_constantIbLb1EESU_EEDaSP_SQ_EUlSP_E_NS1_11comp_targetILNS1_3genE9ELNS1_11target_archE1100ELNS1_3gpuE3ELNS1_3repE0EEENS1_30default_config_static_selectorELNS0_4arch9wavefront6targetE1EEEvT1_,"axG",@progbits,_ZN7rocprim17ROCPRIM_400000_NS6detail17trampoline_kernelINS0_14default_configENS1_20scan_config_selectorIyEEZZNS1_9scan_implILNS1_25lookback_scan_determinismE0ELb0ELb0ES3_N6thrust23THRUST_200600_302600_NS6detail15normal_iteratorINS9_10device_ptrIyEEEESE_yNS9_4plusIvEEyEEDaPvRmT3_T4_T5_mT6_P12ihipStream_tbENKUlT_T0_E_clISt17integral_constantIbLb1EESU_EEDaSP_SQ_EUlSP_E_NS1_11comp_targetILNS1_3genE9ELNS1_11target_archE1100ELNS1_3gpuE3ELNS1_3repE0EEENS1_30default_config_static_selectorELNS0_4arch9wavefront6targetE1EEEvT1_,comdat
.Lfunc_end4455:
	.size	_ZN7rocprim17ROCPRIM_400000_NS6detail17trampoline_kernelINS0_14default_configENS1_20scan_config_selectorIyEEZZNS1_9scan_implILNS1_25lookback_scan_determinismE0ELb0ELb0ES3_N6thrust23THRUST_200600_302600_NS6detail15normal_iteratorINS9_10device_ptrIyEEEESE_yNS9_4plusIvEEyEEDaPvRmT3_T4_T5_mT6_P12ihipStream_tbENKUlT_T0_E_clISt17integral_constantIbLb1EESU_EEDaSP_SQ_EUlSP_E_NS1_11comp_targetILNS1_3genE9ELNS1_11target_archE1100ELNS1_3gpuE3ELNS1_3repE0EEENS1_30default_config_static_selectorELNS0_4arch9wavefront6targetE1EEEvT1_, .Lfunc_end4455-_ZN7rocprim17ROCPRIM_400000_NS6detail17trampoline_kernelINS0_14default_configENS1_20scan_config_selectorIyEEZZNS1_9scan_implILNS1_25lookback_scan_determinismE0ELb0ELb0ES3_N6thrust23THRUST_200600_302600_NS6detail15normal_iteratorINS9_10device_ptrIyEEEESE_yNS9_4plusIvEEyEEDaPvRmT3_T4_T5_mT6_P12ihipStream_tbENKUlT_T0_E_clISt17integral_constantIbLb1EESU_EEDaSP_SQ_EUlSP_E_NS1_11comp_targetILNS1_3genE9ELNS1_11target_archE1100ELNS1_3gpuE3ELNS1_3repE0EEENS1_30default_config_static_selectorELNS0_4arch9wavefront6targetE1EEEvT1_
                                        ; -- End function
	.section	.AMDGPU.csdata,"",@progbits
; Kernel info:
; codeLenInByte = 0
; NumSgprs: 4
; NumVgprs: 0
; NumAgprs: 0
; TotalNumVgprs: 0
; ScratchSize: 0
; MemoryBound: 0
; FloatMode: 240
; IeeeMode: 1
; LDSByteSize: 0 bytes/workgroup (compile time only)
; SGPRBlocks: 0
; VGPRBlocks: 0
; NumSGPRsForWavesPerEU: 4
; NumVGPRsForWavesPerEU: 1
; AccumOffset: 4
; Occupancy: 8
; WaveLimiterHint : 0
; COMPUTE_PGM_RSRC2:SCRATCH_EN: 0
; COMPUTE_PGM_RSRC2:USER_SGPR: 6
; COMPUTE_PGM_RSRC2:TRAP_HANDLER: 0
; COMPUTE_PGM_RSRC2:TGID_X_EN: 1
; COMPUTE_PGM_RSRC2:TGID_Y_EN: 0
; COMPUTE_PGM_RSRC2:TGID_Z_EN: 0
; COMPUTE_PGM_RSRC2:TIDIG_COMP_CNT: 0
; COMPUTE_PGM_RSRC3_GFX90A:ACCUM_OFFSET: 0
; COMPUTE_PGM_RSRC3_GFX90A:TG_SPLIT: 0
	.section	.text._ZN7rocprim17ROCPRIM_400000_NS6detail17trampoline_kernelINS0_14default_configENS1_20scan_config_selectorIyEEZZNS1_9scan_implILNS1_25lookback_scan_determinismE0ELb0ELb0ES3_N6thrust23THRUST_200600_302600_NS6detail15normal_iteratorINS9_10device_ptrIyEEEESE_yNS9_4plusIvEEyEEDaPvRmT3_T4_T5_mT6_P12ihipStream_tbENKUlT_T0_E_clISt17integral_constantIbLb1EESU_EEDaSP_SQ_EUlSP_E_NS1_11comp_targetILNS1_3genE8ELNS1_11target_archE1030ELNS1_3gpuE2ELNS1_3repE0EEENS1_30default_config_static_selectorELNS0_4arch9wavefront6targetE1EEEvT1_,"axG",@progbits,_ZN7rocprim17ROCPRIM_400000_NS6detail17trampoline_kernelINS0_14default_configENS1_20scan_config_selectorIyEEZZNS1_9scan_implILNS1_25lookback_scan_determinismE0ELb0ELb0ES3_N6thrust23THRUST_200600_302600_NS6detail15normal_iteratorINS9_10device_ptrIyEEEESE_yNS9_4plusIvEEyEEDaPvRmT3_T4_T5_mT6_P12ihipStream_tbENKUlT_T0_E_clISt17integral_constantIbLb1EESU_EEDaSP_SQ_EUlSP_E_NS1_11comp_targetILNS1_3genE8ELNS1_11target_archE1030ELNS1_3gpuE2ELNS1_3repE0EEENS1_30default_config_static_selectorELNS0_4arch9wavefront6targetE1EEEvT1_,comdat
	.protected	_ZN7rocprim17ROCPRIM_400000_NS6detail17trampoline_kernelINS0_14default_configENS1_20scan_config_selectorIyEEZZNS1_9scan_implILNS1_25lookback_scan_determinismE0ELb0ELb0ES3_N6thrust23THRUST_200600_302600_NS6detail15normal_iteratorINS9_10device_ptrIyEEEESE_yNS9_4plusIvEEyEEDaPvRmT3_T4_T5_mT6_P12ihipStream_tbENKUlT_T0_E_clISt17integral_constantIbLb1EESU_EEDaSP_SQ_EUlSP_E_NS1_11comp_targetILNS1_3genE8ELNS1_11target_archE1030ELNS1_3gpuE2ELNS1_3repE0EEENS1_30default_config_static_selectorELNS0_4arch9wavefront6targetE1EEEvT1_ ; -- Begin function _ZN7rocprim17ROCPRIM_400000_NS6detail17trampoline_kernelINS0_14default_configENS1_20scan_config_selectorIyEEZZNS1_9scan_implILNS1_25lookback_scan_determinismE0ELb0ELb0ES3_N6thrust23THRUST_200600_302600_NS6detail15normal_iteratorINS9_10device_ptrIyEEEESE_yNS9_4plusIvEEyEEDaPvRmT3_T4_T5_mT6_P12ihipStream_tbENKUlT_T0_E_clISt17integral_constantIbLb1EESU_EEDaSP_SQ_EUlSP_E_NS1_11comp_targetILNS1_3genE8ELNS1_11target_archE1030ELNS1_3gpuE2ELNS1_3repE0EEENS1_30default_config_static_selectorELNS0_4arch9wavefront6targetE1EEEvT1_
	.globl	_ZN7rocprim17ROCPRIM_400000_NS6detail17trampoline_kernelINS0_14default_configENS1_20scan_config_selectorIyEEZZNS1_9scan_implILNS1_25lookback_scan_determinismE0ELb0ELb0ES3_N6thrust23THRUST_200600_302600_NS6detail15normal_iteratorINS9_10device_ptrIyEEEESE_yNS9_4plusIvEEyEEDaPvRmT3_T4_T5_mT6_P12ihipStream_tbENKUlT_T0_E_clISt17integral_constantIbLb1EESU_EEDaSP_SQ_EUlSP_E_NS1_11comp_targetILNS1_3genE8ELNS1_11target_archE1030ELNS1_3gpuE2ELNS1_3repE0EEENS1_30default_config_static_selectorELNS0_4arch9wavefront6targetE1EEEvT1_
	.p2align	8
	.type	_ZN7rocprim17ROCPRIM_400000_NS6detail17trampoline_kernelINS0_14default_configENS1_20scan_config_selectorIyEEZZNS1_9scan_implILNS1_25lookback_scan_determinismE0ELb0ELb0ES3_N6thrust23THRUST_200600_302600_NS6detail15normal_iteratorINS9_10device_ptrIyEEEESE_yNS9_4plusIvEEyEEDaPvRmT3_T4_T5_mT6_P12ihipStream_tbENKUlT_T0_E_clISt17integral_constantIbLb1EESU_EEDaSP_SQ_EUlSP_E_NS1_11comp_targetILNS1_3genE8ELNS1_11target_archE1030ELNS1_3gpuE2ELNS1_3repE0EEENS1_30default_config_static_selectorELNS0_4arch9wavefront6targetE1EEEvT1_,@function
_ZN7rocprim17ROCPRIM_400000_NS6detail17trampoline_kernelINS0_14default_configENS1_20scan_config_selectorIyEEZZNS1_9scan_implILNS1_25lookback_scan_determinismE0ELb0ELb0ES3_N6thrust23THRUST_200600_302600_NS6detail15normal_iteratorINS9_10device_ptrIyEEEESE_yNS9_4plusIvEEyEEDaPvRmT3_T4_T5_mT6_P12ihipStream_tbENKUlT_T0_E_clISt17integral_constantIbLb1EESU_EEDaSP_SQ_EUlSP_E_NS1_11comp_targetILNS1_3genE8ELNS1_11target_archE1030ELNS1_3gpuE2ELNS1_3repE0EEENS1_30default_config_static_selectorELNS0_4arch9wavefront6targetE1EEEvT1_: ; @_ZN7rocprim17ROCPRIM_400000_NS6detail17trampoline_kernelINS0_14default_configENS1_20scan_config_selectorIyEEZZNS1_9scan_implILNS1_25lookback_scan_determinismE0ELb0ELb0ES3_N6thrust23THRUST_200600_302600_NS6detail15normal_iteratorINS9_10device_ptrIyEEEESE_yNS9_4plusIvEEyEEDaPvRmT3_T4_T5_mT6_P12ihipStream_tbENKUlT_T0_E_clISt17integral_constantIbLb1EESU_EEDaSP_SQ_EUlSP_E_NS1_11comp_targetILNS1_3genE8ELNS1_11target_archE1030ELNS1_3gpuE2ELNS1_3repE0EEENS1_30default_config_static_selectorELNS0_4arch9wavefront6targetE1EEEvT1_
; %bb.0:
	.section	.rodata,"a",@progbits
	.p2align	6, 0x0
	.amdhsa_kernel _ZN7rocprim17ROCPRIM_400000_NS6detail17trampoline_kernelINS0_14default_configENS1_20scan_config_selectorIyEEZZNS1_9scan_implILNS1_25lookback_scan_determinismE0ELb0ELb0ES3_N6thrust23THRUST_200600_302600_NS6detail15normal_iteratorINS9_10device_ptrIyEEEESE_yNS9_4plusIvEEyEEDaPvRmT3_T4_T5_mT6_P12ihipStream_tbENKUlT_T0_E_clISt17integral_constantIbLb1EESU_EEDaSP_SQ_EUlSP_E_NS1_11comp_targetILNS1_3genE8ELNS1_11target_archE1030ELNS1_3gpuE2ELNS1_3repE0EEENS1_30default_config_static_selectorELNS0_4arch9wavefront6targetE1EEEvT1_
		.amdhsa_group_segment_fixed_size 0
		.amdhsa_private_segment_fixed_size 0
		.amdhsa_kernarg_size 104
		.amdhsa_user_sgpr_count 6
		.amdhsa_user_sgpr_private_segment_buffer 1
		.amdhsa_user_sgpr_dispatch_ptr 0
		.amdhsa_user_sgpr_queue_ptr 0
		.amdhsa_user_sgpr_kernarg_segment_ptr 1
		.amdhsa_user_sgpr_dispatch_id 0
		.amdhsa_user_sgpr_flat_scratch_init 0
		.amdhsa_user_sgpr_kernarg_preload_length 0
		.amdhsa_user_sgpr_kernarg_preload_offset 0
		.amdhsa_user_sgpr_private_segment_size 0
		.amdhsa_uses_dynamic_stack 0
		.amdhsa_system_sgpr_private_segment_wavefront_offset 0
		.amdhsa_system_sgpr_workgroup_id_x 1
		.amdhsa_system_sgpr_workgroup_id_y 0
		.amdhsa_system_sgpr_workgroup_id_z 0
		.amdhsa_system_sgpr_workgroup_info 0
		.amdhsa_system_vgpr_workitem_id 0
		.amdhsa_next_free_vgpr 1
		.amdhsa_next_free_sgpr 0
		.amdhsa_accum_offset 4
		.amdhsa_reserve_vcc 0
		.amdhsa_reserve_flat_scratch 0
		.amdhsa_float_round_mode_32 0
		.amdhsa_float_round_mode_16_64 0
		.amdhsa_float_denorm_mode_32 3
		.amdhsa_float_denorm_mode_16_64 3
		.amdhsa_dx10_clamp 1
		.amdhsa_ieee_mode 1
		.amdhsa_fp16_overflow 0
		.amdhsa_tg_split 0
		.amdhsa_exception_fp_ieee_invalid_op 0
		.amdhsa_exception_fp_denorm_src 0
		.amdhsa_exception_fp_ieee_div_zero 0
		.amdhsa_exception_fp_ieee_overflow 0
		.amdhsa_exception_fp_ieee_underflow 0
		.amdhsa_exception_fp_ieee_inexact 0
		.amdhsa_exception_int_div_zero 0
	.end_amdhsa_kernel
	.section	.text._ZN7rocprim17ROCPRIM_400000_NS6detail17trampoline_kernelINS0_14default_configENS1_20scan_config_selectorIyEEZZNS1_9scan_implILNS1_25lookback_scan_determinismE0ELb0ELb0ES3_N6thrust23THRUST_200600_302600_NS6detail15normal_iteratorINS9_10device_ptrIyEEEESE_yNS9_4plusIvEEyEEDaPvRmT3_T4_T5_mT6_P12ihipStream_tbENKUlT_T0_E_clISt17integral_constantIbLb1EESU_EEDaSP_SQ_EUlSP_E_NS1_11comp_targetILNS1_3genE8ELNS1_11target_archE1030ELNS1_3gpuE2ELNS1_3repE0EEENS1_30default_config_static_selectorELNS0_4arch9wavefront6targetE1EEEvT1_,"axG",@progbits,_ZN7rocprim17ROCPRIM_400000_NS6detail17trampoline_kernelINS0_14default_configENS1_20scan_config_selectorIyEEZZNS1_9scan_implILNS1_25lookback_scan_determinismE0ELb0ELb0ES3_N6thrust23THRUST_200600_302600_NS6detail15normal_iteratorINS9_10device_ptrIyEEEESE_yNS9_4plusIvEEyEEDaPvRmT3_T4_T5_mT6_P12ihipStream_tbENKUlT_T0_E_clISt17integral_constantIbLb1EESU_EEDaSP_SQ_EUlSP_E_NS1_11comp_targetILNS1_3genE8ELNS1_11target_archE1030ELNS1_3gpuE2ELNS1_3repE0EEENS1_30default_config_static_selectorELNS0_4arch9wavefront6targetE1EEEvT1_,comdat
.Lfunc_end4456:
	.size	_ZN7rocprim17ROCPRIM_400000_NS6detail17trampoline_kernelINS0_14default_configENS1_20scan_config_selectorIyEEZZNS1_9scan_implILNS1_25lookback_scan_determinismE0ELb0ELb0ES3_N6thrust23THRUST_200600_302600_NS6detail15normal_iteratorINS9_10device_ptrIyEEEESE_yNS9_4plusIvEEyEEDaPvRmT3_T4_T5_mT6_P12ihipStream_tbENKUlT_T0_E_clISt17integral_constantIbLb1EESU_EEDaSP_SQ_EUlSP_E_NS1_11comp_targetILNS1_3genE8ELNS1_11target_archE1030ELNS1_3gpuE2ELNS1_3repE0EEENS1_30default_config_static_selectorELNS0_4arch9wavefront6targetE1EEEvT1_, .Lfunc_end4456-_ZN7rocprim17ROCPRIM_400000_NS6detail17trampoline_kernelINS0_14default_configENS1_20scan_config_selectorIyEEZZNS1_9scan_implILNS1_25lookback_scan_determinismE0ELb0ELb0ES3_N6thrust23THRUST_200600_302600_NS6detail15normal_iteratorINS9_10device_ptrIyEEEESE_yNS9_4plusIvEEyEEDaPvRmT3_T4_T5_mT6_P12ihipStream_tbENKUlT_T0_E_clISt17integral_constantIbLb1EESU_EEDaSP_SQ_EUlSP_E_NS1_11comp_targetILNS1_3genE8ELNS1_11target_archE1030ELNS1_3gpuE2ELNS1_3repE0EEENS1_30default_config_static_selectorELNS0_4arch9wavefront6targetE1EEEvT1_
                                        ; -- End function
	.section	.AMDGPU.csdata,"",@progbits
; Kernel info:
; codeLenInByte = 0
; NumSgprs: 4
; NumVgprs: 0
; NumAgprs: 0
; TotalNumVgprs: 0
; ScratchSize: 0
; MemoryBound: 0
; FloatMode: 240
; IeeeMode: 1
; LDSByteSize: 0 bytes/workgroup (compile time only)
; SGPRBlocks: 0
; VGPRBlocks: 0
; NumSGPRsForWavesPerEU: 4
; NumVGPRsForWavesPerEU: 1
; AccumOffset: 4
; Occupancy: 8
; WaveLimiterHint : 0
; COMPUTE_PGM_RSRC2:SCRATCH_EN: 0
; COMPUTE_PGM_RSRC2:USER_SGPR: 6
; COMPUTE_PGM_RSRC2:TRAP_HANDLER: 0
; COMPUTE_PGM_RSRC2:TGID_X_EN: 1
; COMPUTE_PGM_RSRC2:TGID_Y_EN: 0
; COMPUTE_PGM_RSRC2:TGID_Z_EN: 0
; COMPUTE_PGM_RSRC2:TIDIG_COMP_CNT: 0
; COMPUTE_PGM_RSRC3_GFX90A:ACCUM_OFFSET: 0
; COMPUTE_PGM_RSRC3_GFX90A:TG_SPLIT: 0
	.section	.text._ZN7rocprim17ROCPRIM_400000_NS6detail17trampoline_kernelINS0_14default_configENS1_20scan_config_selectorIyEEZZNS1_9scan_implILNS1_25lookback_scan_determinismE0ELb0ELb0ES3_N6thrust23THRUST_200600_302600_NS6detail15normal_iteratorINS9_10device_ptrIyEEEESE_yNS9_4plusIvEEyEEDaPvRmT3_T4_T5_mT6_P12ihipStream_tbENKUlT_T0_E_clISt17integral_constantIbLb1EESU_EEDaSP_SQ_EUlSP_E0_NS1_11comp_targetILNS1_3genE0ELNS1_11target_archE4294967295ELNS1_3gpuE0ELNS1_3repE0EEENS1_30default_config_static_selectorELNS0_4arch9wavefront6targetE1EEEvT1_,"axG",@progbits,_ZN7rocprim17ROCPRIM_400000_NS6detail17trampoline_kernelINS0_14default_configENS1_20scan_config_selectorIyEEZZNS1_9scan_implILNS1_25lookback_scan_determinismE0ELb0ELb0ES3_N6thrust23THRUST_200600_302600_NS6detail15normal_iteratorINS9_10device_ptrIyEEEESE_yNS9_4plusIvEEyEEDaPvRmT3_T4_T5_mT6_P12ihipStream_tbENKUlT_T0_E_clISt17integral_constantIbLb1EESU_EEDaSP_SQ_EUlSP_E0_NS1_11comp_targetILNS1_3genE0ELNS1_11target_archE4294967295ELNS1_3gpuE0ELNS1_3repE0EEENS1_30default_config_static_selectorELNS0_4arch9wavefront6targetE1EEEvT1_,comdat
	.protected	_ZN7rocprim17ROCPRIM_400000_NS6detail17trampoline_kernelINS0_14default_configENS1_20scan_config_selectorIyEEZZNS1_9scan_implILNS1_25lookback_scan_determinismE0ELb0ELb0ES3_N6thrust23THRUST_200600_302600_NS6detail15normal_iteratorINS9_10device_ptrIyEEEESE_yNS9_4plusIvEEyEEDaPvRmT3_T4_T5_mT6_P12ihipStream_tbENKUlT_T0_E_clISt17integral_constantIbLb1EESU_EEDaSP_SQ_EUlSP_E0_NS1_11comp_targetILNS1_3genE0ELNS1_11target_archE4294967295ELNS1_3gpuE0ELNS1_3repE0EEENS1_30default_config_static_selectorELNS0_4arch9wavefront6targetE1EEEvT1_ ; -- Begin function _ZN7rocprim17ROCPRIM_400000_NS6detail17trampoline_kernelINS0_14default_configENS1_20scan_config_selectorIyEEZZNS1_9scan_implILNS1_25lookback_scan_determinismE0ELb0ELb0ES3_N6thrust23THRUST_200600_302600_NS6detail15normal_iteratorINS9_10device_ptrIyEEEESE_yNS9_4plusIvEEyEEDaPvRmT3_T4_T5_mT6_P12ihipStream_tbENKUlT_T0_E_clISt17integral_constantIbLb1EESU_EEDaSP_SQ_EUlSP_E0_NS1_11comp_targetILNS1_3genE0ELNS1_11target_archE4294967295ELNS1_3gpuE0ELNS1_3repE0EEENS1_30default_config_static_selectorELNS0_4arch9wavefront6targetE1EEEvT1_
	.globl	_ZN7rocprim17ROCPRIM_400000_NS6detail17trampoline_kernelINS0_14default_configENS1_20scan_config_selectorIyEEZZNS1_9scan_implILNS1_25lookback_scan_determinismE0ELb0ELb0ES3_N6thrust23THRUST_200600_302600_NS6detail15normal_iteratorINS9_10device_ptrIyEEEESE_yNS9_4plusIvEEyEEDaPvRmT3_T4_T5_mT6_P12ihipStream_tbENKUlT_T0_E_clISt17integral_constantIbLb1EESU_EEDaSP_SQ_EUlSP_E0_NS1_11comp_targetILNS1_3genE0ELNS1_11target_archE4294967295ELNS1_3gpuE0ELNS1_3repE0EEENS1_30default_config_static_selectorELNS0_4arch9wavefront6targetE1EEEvT1_
	.p2align	8
	.type	_ZN7rocprim17ROCPRIM_400000_NS6detail17trampoline_kernelINS0_14default_configENS1_20scan_config_selectorIyEEZZNS1_9scan_implILNS1_25lookback_scan_determinismE0ELb0ELb0ES3_N6thrust23THRUST_200600_302600_NS6detail15normal_iteratorINS9_10device_ptrIyEEEESE_yNS9_4plusIvEEyEEDaPvRmT3_T4_T5_mT6_P12ihipStream_tbENKUlT_T0_E_clISt17integral_constantIbLb1EESU_EEDaSP_SQ_EUlSP_E0_NS1_11comp_targetILNS1_3genE0ELNS1_11target_archE4294967295ELNS1_3gpuE0ELNS1_3repE0EEENS1_30default_config_static_selectorELNS0_4arch9wavefront6targetE1EEEvT1_,@function
_ZN7rocprim17ROCPRIM_400000_NS6detail17trampoline_kernelINS0_14default_configENS1_20scan_config_selectorIyEEZZNS1_9scan_implILNS1_25lookback_scan_determinismE0ELb0ELb0ES3_N6thrust23THRUST_200600_302600_NS6detail15normal_iteratorINS9_10device_ptrIyEEEESE_yNS9_4plusIvEEyEEDaPvRmT3_T4_T5_mT6_P12ihipStream_tbENKUlT_T0_E_clISt17integral_constantIbLb1EESU_EEDaSP_SQ_EUlSP_E0_NS1_11comp_targetILNS1_3genE0ELNS1_11target_archE4294967295ELNS1_3gpuE0ELNS1_3repE0EEENS1_30default_config_static_selectorELNS0_4arch9wavefront6targetE1EEEvT1_: ; @_ZN7rocprim17ROCPRIM_400000_NS6detail17trampoline_kernelINS0_14default_configENS1_20scan_config_selectorIyEEZZNS1_9scan_implILNS1_25lookback_scan_determinismE0ELb0ELb0ES3_N6thrust23THRUST_200600_302600_NS6detail15normal_iteratorINS9_10device_ptrIyEEEESE_yNS9_4plusIvEEyEEDaPvRmT3_T4_T5_mT6_P12ihipStream_tbENKUlT_T0_E_clISt17integral_constantIbLb1EESU_EEDaSP_SQ_EUlSP_E0_NS1_11comp_targetILNS1_3genE0ELNS1_11target_archE4294967295ELNS1_3gpuE0ELNS1_3repE0EEENS1_30default_config_static_selectorELNS0_4arch9wavefront6targetE1EEEvT1_
; %bb.0:
	.section	.rodata,"a",@progbits
	.p2align	6, 0x0
	.amdhsa_kernel _ZN7rocprim17ROCPRIM_400000_NS6detail17trampoline_kernelINS0_14default_configENS1_20scan_config_selectorIyEEZZNS1_9scan_implILNS1_25lookback_scan_determinismE0ELb0ELb0ES3_N6thrust23THRUST_200600_302600_NS6detail15normal_iteratorINS9_10device_ptrIyEEEESE_yNS9_4plusIvEEyEEDaPvRmT3_T4_T5_mT6_P12ihipStream_tbENKUlT_T0_E_clISt17integral_constantIbLb1EESU_EEDaSP_SQ_EUlSP_E0_NS1_11comp_targetILNS1_3genE0ELNS1_11target_archE4294967295ELNS1_3gpuE0ELNS1_3repE0EEENS1_30default_config_static_selectorELNS0_4arch9wavefront6targetE1EEEvT1_
		.amdhsa_group_segment_fixed_size 0
		.amdhsa_private_segment_fixed_size 0
		.amdhsa_kernarg_size 40
		.amdhsa_user_sgpr_count 6
		.amdhsa_user_sgpr_private_segment_buffer 1
		.amdhsa_user_sgpr_dispatch_ptr 0
		.amdhsa_user_sgpr_queue_ptr 0
		.amdhsa_user_sgpr_kernarg_segment_ptr 1
		.amdhsa_user_sgpr_dispatch_id 0
		.amdhsa_user_sgpr_flat_scratch_init 0
		.amdhsa_user_sgpr_kernarg_preload_length 0
		.amdhsa_user_sgpr_kernarg_preload_offset 0
		.amdhsa_user_sgpr_private_segment_size 0
		.amdhsa_uses_dynamic_stack 0
		.amdhsa_system_sgpr_private_segment_wavefront_offset 0
		.amdhsa_system_sgpr_workgroup_id_x 1
		.amdhsa_system_sgpr_workgroup_id_y 0
		.amdhsa_system_sgpr_workgroup_id_z 0
		.amdhsa_system_sgpr_workgroup_info 0
		.amdhsa_system_vgpr_workitem_id 0
		.amdhsa_next_free_vgpr 1
		.amdhsa_next_free_sgpr 0
		.amdhsa_accum_offset 4
		.amdhsa_reserve_vcc 0
		.amdhsa_reserve_flat_scratch 0
		.amdhsa_float_round_mode_32 0
		.amdhsa_float_round_mode_16_64 0
		.amdhsa_float_denorm_mode_32 3
		.amdhsa_float_denorm_mode_16_64 3
		.amdhsa_dx10_clamp 1
		.amdhsa_ieee_mode 1
		.amdhsa_fp16_overflow 0
		.amdhsa_tg_split 0
		.amdhsa_exception_fp_ieee_invalid_op 0
		.amdhsa_exception_fp_denorm_src 0
		.amdhsa_exception_fp_ieee_div_zero 0
		.amdhsa_exception_fp_ieee_overflow 0
		.amdhsa_exception_fp_ieee_underflow 0
		.amdhsa_exception_fp_ieee_inexact 0
		.amdhsa_exception_int_div_zero 0
	.end_amdhsa_kernel
	.section	.text._ZN7rocprim17ROCPRIM_400000_NS6detail17trampoline_kernelINS0_14default_configENS1_20scan_config_selectorIyEEZZNS1_9scan_implILNS1_25lookback_scan_determinismE0ELb0ELb0ES3_N6thrust23THRUST_200600_302600_NS6detail15normal_iteratorINS9_10device_ptrIyEEEESE_yNS9_4plusIvEEyEEDaPvRmT3_T4_T5_mT6_P12ihipStream_tbENKUlT_T0_E_clISt17integral_constantIbLb1EESU_EEDaSP_SQ_EUlSP_E0_NS1_11comp_targetILNS1_3genE0ELNS1_11target_archE4294967295ELNS1_3gpuE0ELNS1_3repE0EEENS1_30default_config_static_selectorELNS0_4arch9wavefront6targetE1EEEvT1_,"axG",@progbits,_ZN7rocprim17ROCPRIM_400000_NS6detail17trampoline_kernelINS0_14default_configENS1_20scan_config_selectorIyEEZZNS1_9scan_implILNS1_25lookback_scan_determinismE0ELb0ELb0ES3_N6thrust23THRUST_200600_302600_NS6detail15normal_iteratorINS9_10device_ptrIyEEEESE_yNS9_4plusIvEEyEEDaPvRmT3_T4_T5_mT6_P12ihipStream_tbENKUlT_T0_E_clISt17integral_constantIbLb1EESU_EEDaSP_SQ_EUlSP_E0_NS1_11comp_targetILNS1_3genE0ELNS1_11target_archE4294967295ELNS1_3gpuE0ELNS1_3repE0EEENS1_30default_config_static_selectorELNS0_4arch9wavefront6targetE1EEEvT1_,comdat
.Lfunc_end4457:
	.size	_ZN7rocprim17ROCPRIM_400000_NS6detail17trampoline_kernelINS0_14default_configENS1_20scan_config_selectorIyEEZZNS1_9scan_implILNS1_25lookback_scan_determinismE0ELb0ELb0ES3_N6thrust23THRUST_200600_302600_NS6detail15normal_iteratorINS9_10device_ptrIyEEEESE_yNS9_4plusIvEEyEEDaPvRmT3_T4_T5_mT6_P12ihipStream_tbENKUlT_T0_E_clISt17integral_constantIbLb1EESU_EEDaSP_SQ_EUlSP_E0_NS1_11comp_targetILNS1_3genE0ELNS1_11target_archE4294967295ELNS1_3gpuE0ELNS1_3repE0EEENS1_30default_config_static_selectorELNS0_4arch9wavefront6targetE1EEEvT1_, .Lfunc_end4457-_ZN7rocprim17ROCPRIM_400000_NS6detail17trampoline_kernelINS0_14default_configENS1_20scan_config_selectorIyEEZZNS1_9scan_implILNS1_25lookback_scan_determinismE0ELb0ELb0ES3_N6thrust23THRUST_200600_302600_NS6detail15normal_iteratorINS9_10device_ptrIyEEEESE_yNS9_4plusIvEEyEEDaPvRmT3_T4_T5_mT6_P12ihipStream_tbENKUlT_T0_E_clISt17integral_constantIbLb1EESU_EEDaSP_SQ_EUlSP_E0_NS1_11comp_targetILNS1_3genE0ELNS1_11target_archE4294967295ELNS1_3gpuE0ELNS1_3repE0EEENS1_30default_config_static_selectorELNS0_4arch9wavefront6targetE1EEEvT1_
                                        ; -- End function
	.section	.AMDGPU.csdata,"",@progbits
; Kernel info:
; codeLenInByte = 0
; NumSgprs: 4
; NumVgprs: 0
; NumAgprs: 0
; TotalNumVgprs: 0
; ScratchSize: 0
; MemoryBound: 0
; FloatMode: 240
; IeeeMode: 1
; LDSByteSize: 0 bytes/workgroup (compile time only)
; SGPRBlocks: 0
; VGPRBlocks: 0
; NumSGPRsForWavesPerEU: 4
; NumVGPRsForWavesPerEU: 1
; AccumOffset: 4
; Occupancy: 8
; WaveLimiterHint : 0
; COMPUTE_PGM_RSRC2:SCRATCH_EN: 0
; COMPUTE_PGM_RSRC2:USER_SGPR: 6
; COMPUTE_PGM_RSRC2:TRAP_HANDLER: 0
; COMPUTE_PGM_RSRC2:TGID_X_EN: 1
; COMPUTE_PGM_RSRC2:TGID_Y_EN: 0
; COMPUTE_PGM_RSRC2:TGID_Z_EN: 0
; COMPUTE_PGM_RSRC2:TIDIG_COMP_CNT: 0
; COMPUTE_PGM_RSRC3_GFX90A:ACCUM_OFFSET: 0
; COMPUTE_PGM_RSRC3_GFX90A:TG_SPLIT: 0
	.section	.text._ZN7rocprim17ROCPRIM_400000_NS6detail17trampoline_kernelINS0_14default_configENS1_20scan_config_selectorIyEEZZNS1_9scan_implILNS1_25lookback_scan_determinismE0ELb0ELb0ES3_N6thrust23THRUST_200600_302600_NS6detail15normal_iteratorINS9_10device_ptrIyEEEESE_yNS9_4plusIvEEyEEDaPvRmT3_T4_T5_mT6_P12ihipStream_tbENKUlT_T0_E_clISt17integral_constantIbLb1EESU_EEDaSP_SQ_EUlSP_E0_NS1_11comp_targetILNS1_3genE5ELNS1_11target_archE942ELNS1_3gpuE9ELNS1_3repE0EEENS1_30default_config_static_selectorELNS0_4arch9wavefront6targetE1EEEvT1_,"axG",@progbits,_ZN7rocprim17ROCPRIM_400000_NS6detail17trampoline_kernelINS0_14default_configENS1_20scan_config_selectorIyEEZZNS1_9scan_implILNS1_25lookback_scan_determinismE0ELb0ELb0ES3_N6thrust23THRUST_200600_302600_NS6detail15normal_iteratorINS9_10device_ptrIyEEEESE_yNS9_4plusIvEEyEEDaPvRmT3_T4_T5_mT6_P12ihipStream_tbENKUlT_T0_E_clISt17integral_constantIbLb1EESU_EEDaSP_SQ_EUlSP_E0_NS1_11comp_targetILNS1_3genE5ELNS1_11target_archE942ELNS1_3gpuE9ELNS1_3repE0EEENS1_30default_config_static_selectorELNS0_4arch9wavefront6targetE1EEEvT1_,comdat
	.protected	_ZN7rocprim17ROCPRIM_400000_NS6detail17trampoline_kernelINS0_14default_configENS1_20scan_config_selectorIyEEZZNS1_9scan_implILNS1_25lookback_scan_determinismE0ELb0ELb0ES3_N6thrust23THRUST_200600_302600_NS6detail15normal_iteratorINS9_10device_ptrIyEEEESE_yNS9_4plusIvEEyEEDaPvRmT3_T4_T5_mT6_P12ihipStream_tbENKUlT_T0_E_clISt17integral_constantIbLb1EESU_EEDaSP_SQ_EUlSP_E0_NS1_11comp_targetILNS1_3genE5ELNS1_11target_archE942ELNS1_3gpuE9ELNS1_3repE0EEENS1_30default_config_static_selectorELNS0_4arch9wavefront6targetE1EEEvT1_ ; -- Begin function _ZN7rocprim17ROCPRIM_400000_NS6detail17trampoline_kernelINS0_14default_configENS1_20scan_config_selectorIyEEZZNS1_9scan_implILNS1_25lookback_scan_determinismE0ELb0ELb0ES3_N6thrust23THRUST_200600_302600_NS6detail15normal_iteratorINS9_10device_ptrIyEEEESE_yNS9_4plusIvEEyEEDaPvRmT3_T4_T5_mT6_P12ihipStream_tbENKUlT_T0_E_clISt17integral_constantIbLb1EESU_EEDaSP_SQ_EUlSP_E0_NS1_11comp_targetILNS1_3genE5ELNS1_11target_archE942ELNS1_3gpuE9ELNS1_3repE0EEENS1_30default_config_static_selectorELNS0_4arch9wavefront6targetE1EEEvT1_
	.globl	_ZN7rocprim17ROCPRIM_400000_NS6detail17trampoline_kernelINS0_14default_configENS1_20scan_config_selectorIyEEZZNS1_9scan_implILNS1_25lookback_scan_determinismE0ELb0ELb0ES3_N6thrust23THRUST_200600_302600_NS6detail15normal_iteratorINS9_10device_ptrIyEEEESE_yNS9_4plusIvEEyEEDaPvRmT3_T4_T5_mT6_P12ihipStream_tbENKUlT_T0_E_clISt17integral_constantIbLb1EESU_EEDaSP_SQ_EUlSP_E0_NS1_11comp_targetILNS1_3genE5ELNS1_11target_archE942ELNS1_3gpuE9ELNS1_3repE0EEENS1_30default_config_static_selectorELNS0_4arch9wavefront6targetE1EEEvT1_
	.p2align	8
	.type	_ZN7rocprim17ROCPRIM_400000_NS6detail17trampoline_kernelINS0_14default_configENS1_20scan_config_selectorIyEEZZNS1_9scan_implILNS1_25lookback_scan_determinismE0ELb0ELb0ES3_N6thrust23THRUST_200600_302600_NS6detail15normal_iteratorINS9_10device_ptrIyEEEESE_yNS9_4plusIvEEyEEDaPvRmT3_T4_T5_mT6_P12ihipStream_tbENKUlT_T0_E_clISt17integral_constantIbLb1EESU_EEDaSP_SQ_EUlSP_E0_NS1_11comp_targetILNS1_3genE5ELNS1_11target_archE942ELNS1_3gpuE9ELNS1_3repE0EEENS1_30default_config_static_selectorELNS0_4arch9wavefront6targetE1EEEvT1_,@function
_ZN7rocprim17ROCPRIM_400000_NS6detail17trampoline_kernelINS0_14default_configENS1_20scan_config_selectorIyEEZZNS1_9scan_implILNS1_25lookback_scan_determinismE0ELb0ELb0ES3_N6thrust23THRUST_200600_302600_NS6detail15normal_iteratorINS9_10device_ptrIyEEEESE_yNS9_4plusIvEEyEEDaPvRmT3_T4_T5_mT6_P12ihipStream_tbENKUlT_T0_E_clISt17integral_constantIbLb1EESU_EEDaSP_SQ_EUlSP_E0_NS1_11comp_targetILNS1_3genE5ELNS1_11target_archE942ELNS1_3gpuE9ELNS1_3repE0EEENS1_30default_config_static_selectorELNS0_4arch9wavefront6targetE1EEEvT1_: ; @_ZN7rocprim17ROCPRIM_400000_NS6detail17trampoline_kernelINS0_14default_configENS1_20scan_config_selectorIyEEZZNS1_9scan_implILNS1_25lookback_scan_determinismE0ELb0ELb0ES3_N6thrust23THRUST_200600_302600_NS6detail15normal_iteratorINS9_10device_ptrIyEEEESE_yNS9_4plusIvEEyEEDaPvRmT3_T4_T5_mT6_P12ihipStream_tbENKUlT_T0_E_clISt17integral_constantIbLb1EESU_EEDaSP_SQ_EUlSP_E0_NS1_11comp_targetILNS1_3genE5ELNS1_11target_archE942ELNS1_3gpuE9ELNS1_3repE0EEENS1_30default_config_static_selectorELNS0_4arch9wavefront6targetE1EEEvT1_
; %bb.0:
	.section	.rodata,"a",@progbits
	.p2align	6, 0x0
	.amdhsa_kernel _ZN7rocprim17ROCPRIM_400000_NS6detail17trampoline_kernelINS0_14default_configENS1_20scan_config_selectorIyEEZZNS1_9scan_implILNS1_25lookback_scan_determinismE0ELb0ELb0ES3_N6thrust23THRUST_200600_302600_NS6detail15normal_iteratorINS9_10device_ptrIyEEEESE_yNS9_4plusIvEEyEEDaPvRmT3_T4_T5_mT6_P12ihipStream_tbENKUlT_T0_E_clISt17integral_constantIbLb1EESU_EEDaSP_SQ_EUlSP_E0_NS1_11comp_targetILNS1_3genE5ELNS1_11target_archE942ELNS1_3gpuE9ELNS1_3repE0EEENS1_30default_config_static_selectorELNS0_4arch9wavefront6targetE1EEEvT1_
		.amdhsa_group_segment_fixed_size 0
		.amdhsa_private_segment_fixed_size 0
		.amdhsa_kernarg_size 40
		.amdhsa_user_sgpr_count 6
		.amdhsa_user_sgpr_private_segment_buffer 1
		.amdhsa_user_sgpr_dispatch_ptr 0
		.amdhsa_user_sgpr_queue_ptr 0
		.amdhsa_user_sgpr_kernarg_segment_ptr 1
		.amdhsa_user_sgpr_dispatch_id 0
		.amdhsa_user_sgpr_flat_scratch_init 0
		.amdhsa_user_sgpr_kernarg_preload_length 0
		.amdhsa_user_sgpr_kernarg_preload_offset 0
		.amdhsa_user_sgpr_private_segment_size 0
		.amdhsa_uses_dynamic_stack 0
		.amdhsa_system_sgpr_private_segment_wavefront_offset 0
		.amdhsa_system_sgpr_workgroup_id_x 1
		.amdhsa_system_sgpr_workgroup_id_y 0
		.amdhsa_system_sgpr_workgroup_id_z 0
		.amdhsa_system_sgpr_workgroup_info 0
		.amdhsa_system_vgpr_workitem_id 0
		.amdhsa_next_free_vgpr 1
		.amdhsa_next_free_sgpr 0
		.amdhsa_accum_offset 4
		.amdhsa_reserve_vcc 0
		.amdhsa_reserve_flat_scratch 0
		.amdhsa_float_round_mode_32 0
		.amdhsa_float_round_mode_16_64 0
		.amdhsa_float_denorm_mode_32 3
		.amdhsa_float_denorm_mode_16_64 3
		.amdhsa_dx10_clamp 1
		.amdhsa_ieee_mode 1
		.amdhsa_fp16_overflow 0
		.amdhsa_tg_split 0
		.amdhsa_exception_fp_ieee_invalid_op 0
		.amdhsa_exception_fp_denorm_src 0
		.amdhsa_exception_fp_ieee_div_zero 0
		.amdhsa_exception_fp_ieee_overflow 0
		.amdhsa_exception_fp_ieee_underflow 0
		.amdhsa_exception_fp_ieee_inexact 0
		.amdhsa_exception_int_div_zero 0
	.end_amdhsa_kernel
	.section	.text._ZN7rocprim17ROCPRIM_400000_NS6detail17trampoline_kernelINS0_14default_configENS1_20scan_config_selectorIyEEZZNS1_9scan_implILNS1_25lookback_scan_determinismE0ELb0ELb0ES3_N6thrust23THRUST_200600_302600_NS6detail15normal_iteratorINS9_10device_ptrIyEEEESE_yNS9_4plusIvEEyEEDaPvRmT3_T4_T5_mT6_P12ihipStream_tbENKUlT_T0_E_clISt17integral_constantIbLb1EESU_EEDaSP_SQ_EUlSP_E0_NS1_11comp_targetILNS1_3genE5ELNS1_11target_archE942ELNS1_3gpuE9ELNS1_3repE0EEENS1_30default_config_static_selectorELNS0_4arch9wavefront6targetE1EEEvT1_,"axG",@progbits,_ZN7rocprim17ROCPRIM_400000_NS6detail17trampoline_kernelINS0_14default_configENS1_20scan_config_selectorIyEEZZNS1_9scan_implILNS1_25lookback_scan_determinismE0ELb0ELb0ES3_N6thrust23THRUST_200600_302600_NS6detail15normal_iteratorINS9_10device_ptrIyEEEESE_yNS9_4plusIvEEyEEDaPvRmT3_T4_T5_mT6_P12ihipStream_tbENKUlT_T0_E_clISt17integral_constantIbLb1EESU_EEDaSP_SQ_EUlSP_E0_NS1_11comp_targetILNS1_3genE5ELNS1_11target_archE942ELNS1_3gpuE9ELNS1_3repE0EEENS1_30default_config_static_selectorELNS0_4arch9wavefront6targetE1EEEvT1_,comdat
.Lfunc_end4458:
	.size	_ZN7rocprim17ROCPRIM_400000_NS6detail17trampoline_kernelINS0_14default_configENS1_20scan_config_selectorIyEEZZNS1_9scan_implILNS1_25lookback_scan_determinismE0ELb0ELb0ES3_N6thrust23THRUST_200600_302600_NS6detail15normal_iteratorINS9_10device_ptrIyEEEESE_yNS9_4plusIvEEyEEDaPvRmT3_T4_T5_mT6_P12ihipStream_tbENKUlT_T0_E_clISt17integral_constantIbLb1EESU_EEDaSP_SQ_EUlSP_E0_NS1_11comp_targetILNS1_3genE5ELNS1_11target_archE942ELNS1_3gpuE9ELNS1_3repE0EEENS1_30default_config_static_selectorELNS0_4arch9wavefront6targetE1EEEvT1_, .Lfunc_end4458-_ZN7rocprim17ROCPRIM_400000_NS6detail17trampoline_kernelINS0_14default_configENS1_20scan_config_selectorIyEEZZNS1_9scan_implILNS1_25lookback_scan_determinismE0ELb0ELb0ES3_N6thrust23THRUST_200600_302600_NS6detail15normal_iteratorINS9_10device_ptrIyEEEESE_yNS9_4plusIvEEyEEDaPvRmT3_T4_T5_mT6_P12ihipStream_tbENKUlT_T0_E_clISt17integral_constantIbLb1EESU_EEDaSP_SQ_EUlSP_E0_NS1_11comp_targetILNS1_3genE5ELNS1_11target_archE942ELNS1_3gpuE9ELNS1_3repE0EEENS1_30default_config_static_selectorELNS0_4arch9wavefront6targetE1EEEvT1_
                                        ; -- End function
	.section	.AMDGPU.csdata,"",@progbits
; Kernel info:
; codeLenInByte = 0
; NumSgprs: 4
; NumVgprs: 0
; NumAgprs: 0
; TotalNumVgprs: 0
; ScratchSize: 0
; MemoryBound: 0
; FloatMode: 240
; IeeeMode: 1
; LDSByteSize: 0 bytes/workgroup (compile time only)
; SGPRBlocks: 0
; VGPRBlocks: 0
; NumSGPRsForWavesPerEU: 4
; NumVGPRsForWavesPerEU: 1
; AccumOffset: 4
; Occupancy: 8
; WaveLimiterHint : 0
; COMPUTE_PGM_RSRC2:SCRATCH_EN: 0
; COMPUTE_PGM_RSRC2:USER_SGPR: 6
; COMPUTE_PGM_RSRC2:TRAP_HANDLER: 0
; COMPUTE_PGM_RSRC2:TGID_X_EN: 1
; COMPUTE_PGM_RSRC2:TGID_Y_EN: 0
; COMPUTE_PGM_RSRC2:TGID_Z_EN: 0
; COMPUTE_PGM_RSRC2:TIDIG_COMP_CNT: 0
; COMPUTE_PGM_RSRC3_GFX90A:ACCUM_OFFSET: 0
; COMPUTE_PGM_RSRC3_GFX90A:TG_SPLIT: 0
	.section	.text._ZN7rocprim17ROCPRIM_400000_NS6detail17trampoline_kernelINS0_14default_configENS1_20scan_config_selectorIyEEZZNS1_9scan_implILNS1_25lookback_scan_determinismE0ELb0ELb0ES3_N6thrust23THRUST_200600_302600_NS6detail15normal_iteratorINS9_10device_ptrIyEEEESE_yNS9_4plusIvEEyEEDaPvRmT3_T4_T5_mT6_P12ihipStream_tbENKUlT_T0_E_clISt17integral_constantIbLb1EESU_EEDaSP_SQ_EUlSP_E0_NS1_11comp_targetILNS1_3genE4ELNS1_11target_archE910ELNS1_3gpuE8ELNS1_3repE0EEENS1_30default_config_static_selectorELNS0_4arch9wavefront6targetE1EEEvT1_,"axG",@progbits,_ZN7rocprim17ROCPRIM_400000_NS6detail17trampoline_kernelINS0_14default_configENS1_20scan_config_selectorIyEEZZNS1_9scan_implILNS1_25lookback_scan_determinismE0ELb0ELb0ES3_N6thrust23THRUST_200600_302600_NS6detail15normal_iteratorINS9_10device_ptrIyEEEESE_yNS9_4plusIvEEyEEDaPvRmT3_T4_T5_mT6_P12ihipStream_tbENKUlT_T0_E_clISt17integral_constantIbLb1EESU_EEDaSP_SQ_EUlSP_E0_NS1_11comp_targetILNS1_3genE4ELNS1_11target_archE910ELNS1_3gpuE8ELNS1_3repE0EEENS1_30default_config_static_selectorELNS0_4arch9wavefront6targetE1EEEvT1_,comdat
	.protected	_ZN7rocprim17ROCPRIM_400000_NS6detail17trampoline_kernelINS0_14default_configENS1_20scan_config_selectorIyEEZZNS1_9scan_implILNS1_25lookback_scan_determinismE0ELb0ELb0ES3_N6thrust23THRUST_200600_302600_NS6detail15normal_iteratorINS9_10device_ptrIyEEEESE_yNS9_4plusIvEEyEEDaPvRmT3_T4_T5_mT6_P12ihipStream_tbENKUlT_T0_E_clISt17integral_constantIbLb1EESU_EEDaSP_SQ_EUlSP_E0_NS1_11comp_targetILNS1_3genE4ELNS1_11target_archE910ELNS1_3gpuE8ELNS1_3repE0EEENS1_30default_config_static_selectorELNS0_4arch9wavefront6targetE1EEEvT1_ ; -- Begin function _ZN7rocprim17ROCPRIM_400000_NS6detail17trampoline_kernelINS0_14default_configENS1_20scan_config_selectorIyEEZZNS1_9scan_implILNS1_25lookback_scan_determinismE0ELb0ELb0ES3_N6thrust23THRUST_200600_302600_NS6detail15normal_iteratorINS9_10device_ptrIyEEEESE_yNS9_4plusIvEEyEEDaPvRmT3_T4_T5_mT6_P12ihipStream_tbENKUlT_T0_E_clISt17integral_constantIbLb1EESU_EEDaSP_SQ_EUlSP_E0_NS1_11comp_targetILNS1_3genE4ELNS1_11target_archE910ELNS1_3gpuE8ELNS1_3repE0EEENS1_30default_config_static_selectorELNS0_4arch9wavefront6targetE1EEEvT1_
	.globl	_ZN7rocprim17ROCPRIM_400000_NS6detail17trampoline_kernelINS0_14default_configENS1_20scan_config_selectorIyEEZZNS1_9scan_implILNS1_25lookback_scan_determinismE0ELb0ELb0ES3_N6thrust23THRUST_200600_302600_NS6detail15normal_iteratorINS9_10device_ptrIyEEEESE_yNS9_4plusIvEEyEEDaPvRmT3_T4_T5_mT6_P12ihipStream_tbENKUlT_T0_E_clISt17integral_constantIbLb1EESU_EEDaSP_SQ_EUlSP_E0_NS1_11comp_targetILNS1_3genE4ELNS1_11target_archE910ELNS1_3gpuE8ELNS1_3repE0EEENS1_30default_config_static_selectorELNS0_4arch9wavefront6targetE1EEEvT1_
	.p2align	8
	.type	_ZN7rocprim17ROCPRIM_400000_NS6detail17trampoline_kernelINS0_14default_configENS1_20scan_config_selectorIyEEZZNS1_9scan_implILNS1_25lookback_scan_determinismE0ELb0ELb0ES3_N6thrust23THRUST_200600_302600_NS6detail15normal_iteratorINS9_10device_ptrIyEEEESE_yNS9_4plusIvEEyEEDaPvRmT3_T4_T5_mT6_P12ihipStream_tbENKUlT_T0_E_clISt17integral_constantIbLb1EESU_EEDaSP_SQ_EUlSP_E0_NS1_11comp_targetILNS1_3genE4ELNS1_11target_archE910ELNS1_3gpuE8ELNS1_3repE0EEENS1_30default_config_static_selectorELNS0_4arch9wavefront6targetE1EEEvT1_,@function
_ZN7rocprim17ROCPRIM_400000_NS6detail17trampoline_kernelINS0_14default_configENS1_20scan_config_selectorIyEEZZNS1_9scan_implILNS1_25lookback_scan_determinismE0ELb0ELb0ES3_N6thrust23THRUST_200600_302600_NS6detail15normal_iteratorINS9_10device_ptrIyEEEESE_yNS9_4plusIvEEyEEDaPvRmT3_T4_T5_mT6_P12ihipStream_tbENKUlT_T0_E_clISt17integral_constantIbLb1EESU_EEDaSP_SQ_EUlSP_E0_NS1_11comp_targetILNS1_3genE4ELNS1_11target_archE910ELNS1_3gpuE8ELNS1_3repE0EEENS1_30default_config_static_selectorELNS0_4arch9wavefront6targetE1EEEvT1_: ; @_ZN7rocprim17ROCPRIM_400000_NS6detail17trampoline_kernelINS0_14default_configENS1_20scan_config_selectorIyEEZZNS1_9scan_implILNS1_25lookback_scan_determinismE0ELb0ELb0ES3_N6thrust23THRUST_200600_302600_NS6detail15normal_iteratorINS9_10device_ptrIyEEEESE_yNS9_4plusIvEEyEEDaPvRmT3_T4_T5_mT6_P12ihipStream_tbENKUlT_T0_E_clISt17integral_constantIbLb1EESU_EEDaSP_SQ_EUlSP_E0_NS1_11comp_targetILNS1_3genE4ELNS1_11target_archE910ELNS1_3gpuE8ELNS1_3repE0EEENS1_30default_config_static_selectorELNS0_4arch9wavefront6targetE1EEEvT1_
; %bb.0:
	s_load_dwordx4 s[16:19], s[4:5], 0x0
	v_lshlrev_b32_e32 v21, 3, v0
	s_waitcnt lgkmcnt(0)
	s_load_dwordx2 s[14:15], s[16:17], 0x0
	v_cmp_gt_u32_e32 vcc, s18, v0
	s_waitcnt lgkmcnt(0)
	v_pk_mov_b32 v[2:3], s[14:15], s[14:15] op_sel:[0,1]
	s_and_saveexec_b64 s[0:1], vcc
	s_cbranch_execz .LBB4459_2
; %bb.1:
	global_load_dwordx2 v[2:3], v21, s[16:17]
.LBB4459_2:
	s_or_b64 exec, exec, s[0:1]
	v_or_b32_e32 v1, 0x80, v0
	v_cmp_gt_u32_e64 s[0:1], s18, v1
	v_pk_mov_b32 v[4:5], s[14:15], s[14:15] op_sel:[0,1]
	s_and_saveexec_b64 s[2:3], s[0:1]
	s_cbranch_execz .LBB4459_4
; %bb.3:
	global_load_dwordx2 v[4:5], v21, s[16:17] offset:1024
.LBB4459_4:
	s_or_b64 exec, exec, s[2:3]
	v_or_b32_e32 v1, 0x100, v0
	v_cmp_gt_u32_e64 s[2:3], s18, v1
	v_pk_mov_b32 v[6:7], s[14:15], s[14:15] op_sel:[0,1]
	s_and_saveexec_b64 s[6:7], s[2:3]
	s_cbranch_execz .LBB4459_6
; %bb.5:
	global_load_dwordx2 v[6:7], v21, s[16:17] offset:2048
.LBB4459_6:
	;; [unrolled: 9-line block ×3, first 2 shown]
	s_or_b64 exec, exec, s[6:7]
	v_or_b32_e32 v1, 0x200, v0
	v_cmp_gt_u32_e64 s[6:7], s18, v1
	v_pk_mov_b32 v[10:11], s[14:15], s[14:15] op_sel:[0,1]
	s_and_saveexec_b64 s[8:9], s[6:7]
	s_cbranch_execz .LBB4459_10
; %bb.9:
	v_lshlrev_b32_e32 v1, 3, v1
	global_load_dwordx2 v[10:11], v1, s[16:17]
.LBB4459_10:
	s_or_b64 exec, exec, s[8:9]
	v_or_b32_e32 v1, 0x280, v0
	v_cmp_gt_u32_e64 s[8:9], s18, v1
	v_pk_mov_b32 v[12:13], s[14:15], s[14:15] op_sel:[0,1]
	s_and_saveexec_b64 s[10:11], s[8:9]
	s_cbranch_execz .LBB4459_12
; %bb.11:
	v_lshlrev_b32_e32 v1, 3, v1
	global_load_dwordx2 v[12:13], v1, s[16:17]
.LBB4459_12:
	s_or_b64 exec, exec, s[10:11]
	v_or_b32_e32 v1, 0x300, v0
	v_cmp_gt_u32_e64 s[10:11], s18, v1
	v_pk_mov_b32 v[14:15], s[14:15], s[14:15] op_sel:[0,1]
	s_and_saveexec_b64 s[14:15], s[10:11]
	s_cbranch_execz .LBB4459_14
; %bb.13:
	v_lshlrev_b32_e32 v1, 3, v1
	global_load_dwordx2 v[14:15], v1, s[16:17]
.LBB4459_14:
	s_or_b64 exec, exec, s[14:15]
	v_mad_u32_u24 v1, v0, 48, v21
	s_waitcnt vmcnt(0)
	ds_write2st64_b64 v21, v[2:3], v[4:5] offset1:2
	ds_write2st64_b64 v21, v[6:7], v[8:9] offset0:4 offset1:6
	ds_write2st64_b64 v21, v[10:11], v[12:13] offset0:8 offset1:10
	ds_write_b64 v21, v[14:15] offset:6144
	s_waitcnt lgkmcnt(0)
	s_barrier
	ds_read2_b64 v[2:5], v1 offset1:1
	ds_read2_b64 v[6:9], v1 offset0:2 offset1:3
	ds_read2_b64 v[10:13], v1 offset0:4 offset1:5
	ds_read_b64 v[28:29], v1 offset:48
	s_load_dwordx2 s[16:17], s[4:5], 0x20
	s_waitcnt lgkmcnt(0)
	v_add_co_u32_e64 v20, s[4:5], v4, v2
	v_addc_co_u32_e64 v1, s[4:5], v5, v3, s[4:5]
	v_add_co_u32_e64 v18, s[4:5], v20, v6
	v_addc_co_u32_e64 v19, s[4:5], v1, v7, s[4:5]
	;; [unrolled: 2-line block ×5, first 2 shown]
	v_add_co_u32_e64 v30, s[4:5], v26, v28
	v_lshrrev_b32_e32 v14, 2, v0
	v_addc_co_u32_e64 v31, s[4:5], v27, v29, s[4:5]
	v_and_b32_e32 v14, 24, v14
	v_add_u32_e32 v14, v21, v14
	v_cmp_gt_u32_e64 s[4:5], 64, v0
	s_barrier
	ds_write_b64 v14, v[30:31]
	s_waitcnt lgkmcnt(0)
	s_barrier
	s_and_saveexec_b64 s[18:19], s[4:5]
	s_cbranch_execz .LBB4459_18
; %bb.15:
	v_lshlrev_b32_e32 v14, 1, v0
	v_lshrrev_b32_e32 v15, 4, v0
	v_add_lshl_u32 v32, v15, v14, 3
	ds_read2_b64 v[14:17], v32 offset1:1
	s_waitcnt lgkmcnt(0)
	v_add_co_u32_e64 v34, s[4:5], v16, v14
	v_addc_co_u32_e64 v35, s[4:5], v17, v15, s[4:5]
	s_nop 0
	v_mov_b32_dpp v17, v34 row_shr:1 row_mask:0xf bank_mask:0xf
	v_add_co_u32_e64 v17, s[4:5], v34, v17
	v_mbcnt_lo_u32_b32 v16, -1, 0
	v_addc_co_u32_e64 v37, s[4:5], 0, v35, s[4:5]
	v_mbcnt_hi_u32_b32 v33, -1, v16
	v_mov_b32_dpp v36, v35 row_shr:1 row_mask:0xf bank_mask:0xf
	v_add_co_u32_e64 v38, s[4:5], 0, v17
	v_and_b32_e32 v16, 15, v33
	v_addc_co_u32_e64 v36, s[4:5], v36, v37, s[4:5]
	v_cmp_eq_u32_e64 s[4:5], 0, v16
	v_cndmask_b32_e64 v17, v17, v34, s[4:5]
	v_cndmask_b32_e64 v36, v36, v35, s[4:5]
	v_cndmask_b32_e64 v37, v38, v34, s[4:5]
	v_mov_b32_dpp v38, v17 row_shr:2 row_mask:0xf bank_mask:0xf
	v_mov_b32_dpp v39, v36 row_shr:2 row_mask:0xf bank_mask:0xf
	v_add_co_u32_e64 v38, s[4:5], v38, v37
	v_addc_co_u32_e64 v39, s[4:5], v39, v36, s[4:5]
	v_cmp_lt_u32_e64 s[4:5], 1, v16
	v_cndmask_b32_e64 v17, v17, v38, s[4:5]
	v_cndmask_b32_e64 v36, v36, v39, s[4:5]
	v_cndmask_b32_e64 v37, v37, v38, s[4:5]
	v_mov_b32_dpp v38, v17 row_shr:4 row_mask:0xf bank_mask:0xf
	v_mov_b32_dpp v39, v36 row_shr:4 row_mask:0xf bank_mask:0xf
	v_add_co_u32_e64 v38, s[4:5], v38, v37
	v_addc_co_u32_e64 v39, s[4:5], v39, v36, s[4:5]
	v_cmp_lt_u32_e64 s[4:5], 3, v16
	;; [unrolled: 8-line block ×3, first 2 shown]
	v_cndmask_b32_e64 v40, v17, v38, s[4:5]
	v_cndmask_b32_e64 v17, v36, v39, s[4:5]
	;; [unrolled: 1-line block ×3, first 2 shown]
	v_mov_b32_dpp v36, v40 row_bcast:15 row_mask:0xf bank_mask:0xf
	v_mov_b32_dpp v37, v17 row_bcast:15 row_mask:0xf bank_mask:0xf
	v_add_co_u32_e64 v36, s[4:5], v36, v16
	v_and_b32_e32 v39, 16, v33
	v_addc_co_u32_e64 v38, s[4:5], v37, v17, s[4:5]
	v_cmp_eq_u32_e64 s[4:5], 0, v39
	v_cndmask_b32_e64 v39, v38, v17, s[4:5]
	v_cndmask_b32_e64 v37, v36, v40, s[4:5]
	v_cmp_ne_u32_e64 s[14:15], 0, v33
	v_mov_b32_dpp v39, v39 row_bcast:31 row_mask:0xf bank_mask:0xf
	v_mov_b32_dpp v37, v37 row_bcast:31 row_mask:0xf bank_mask:0xf
	s_and_saveexec_b64 s[20:21], s[14:15]
; %bb.16:
	v_cndmask_b32_e64 v17, v38, v17, s[4:5]
	v_cndmask_b32_e64 v16, v36, v16, s[4:5]
	v_cmp_lt_u32_e64 s[4:5], 31, v33
	v_cndmask_b32_e64 v34, 0, v37, s[4:5]
	v_cndmask_b32_e64 v35, 0, v39, s[4:5]
	v_add_co_u32_e64 v34, s[4:5], v34, v16
	v_addc_co_u32_e64 v35, s[4:5], v35, v17, s[4:5]
; %bb.17:
	s_or_b64 exec, exec, s[20:21]
	v_add_u32_e32 v16, -1, v33
	v_and_b32_e32 v17, 64, v33
	v_cmp_lt_i32_e64 s[4:5], v16, v17
	v_cndmask_b32_e64 v16, v16, v33, s[4:5]
	v_lshlrev_b32_e32 v16, 2, v16
	ds_bpermute_b32 v17, v16, v34
	ds_bpermute_b32 v16, v16, v35
	; wave barrier
	s_waitcnt lgkmcnt(1)
	v_add_co_u32_e64 v14, s[4:5], v14, v17
	v_addc_co_u32_e64 v15, s[4:5], 0, v15, s[4:5]
	v_add_co_u32_e64 v14, s[4:5], 0, v14
	s_waitcnt lgkmcnt(0)
	v_addc_co_u32_e64 v15, s[4:5], v15, v16, s[4:5]
	v_cmp_eq_u32_e64 s[4:5], 0, v0
	v_cndmask_b32_e64 v15, v15, v31, s[4:5]
	v_cndmask_b32_e64 v14, v14, v30, s[4:5]
	ds_write_b64 v32, v[14:15]
	; wave barrier
	ds_read_b64 v[16:17], v32 offset:8
	s_waitcnt lgkmcnt(0)
	v_add_co_u32_e64 v14, s[4:5], v16, v14
	v_addc_co_u32_e64 v15, s[4:5], v17, v15, s[4:5]
	ds_write_b64 v32, v[14:15] offset:8
.LBB4459_18:
	s_or_b64 exec, exec, s[18:19]
	v_mul_u32_u24_e32 v16, 48, v0
	v_cmp_ne_u32_e64 s[4:5], 0, v0
	v_pk_mov_b32 v[14:15], v[30:31], v[30:31] op_sel:[0,1]
	s_waitcnt lgkmcnt(0)
	s_barrier
	s_and_saveexec_b64 s[14:15], s[4:5]
	s_cbranch_execz .LBB4459_20
; %bb.19:
	v_add_u32_e32 v0, -1, v0
	v_lshrrev_b32_e32 v14, 5, v0
	v_add_lshl_u32 v0, v14, v0, 3
	ds_read_b64 v[14:15], v0
.LBB4459_20:
	s_or_b64 exec, exec, s[14:15]
	s_and_saveexec_b64 s[14:15], s[4:5]
	s_cbranch_execz .LBB4459_22
; %bb.21:
	s_waitcnt lgkmcnt(0)
	v_add_co_u32_e64 v2, s[4:5], v14, v2
	v_addc_co_u32_e64 v3, s[4:5], v15, v3, s[4:5]
	v_add_co_u32_e64 v20, s[4:5], v2, v4
	v_addc_co_u32_e64 v1, s[4:5], v3, v5, s[4:5]
	v_add_co_u32_e64 v18, s[4:5], v20, v6
	v_addc_co_u32_e64 v19, s[4:5], v1, v7, s[4:5]
	v_add_co_u32_e64 v24, s[4:5], v18, v8
	v_addc_co_u32_e64 v25, s[4:5], v19, v9, s[4:5]
	v_add_co_u32_e64 v22, s[4:5], v24, v10
	v_addc_co_u32_e64 v23, s[4:5], v25, v11, s[4:5]
	v_add_co_u32_e64 v26, s[4:5], v22, v12
	v_addc_co_u32_e64 v27, s[4:5], v23, v13, s[4:5]
	v_add_co_u32_e64 v30, s[4:5], v26, v28
	v_addc_co_u32_e64 v31, s[4:5], v27, v29, s[4:5]
	;;#ASMSTART
	;;#ASMEND
.LBB4459_22:
	s_or_b64 exec, exec, s[14:15]
	v_add_u32_e32 v4, v21, v16
	v_mov_b32_e32 v0, v20
	s_waitcnt lgkmcnt(0)
	s_barrier
	ds_write2_b64 v4, v[2:3], v[0:1] offset1:1
	ds_write2_b64 v4, v[18:19], v[24:25] offset0:2 offset1:3
	ds_write2_b64 v4, v[22:23], v[26:27] offset0:4 offset1:5
	ds_write_b64 v4, v[30:31] offset:48
	s_waitcnt lgkmcnt(0)
	s_barrier
	ds_read2st64_b64 v[8:11], v21 offset0:2 offset1:4
	ds_read2st64_b64 v[4:7], v21 offset0:6 offset1:8
	;; [unrolled: 1-line block ×3, first 2 shown]
	v_mov_b32_e32 v13, s17
	v_add_co_u32_e64 v12, s[4:5], s16, v21
	v_addc_co_u32_e64 v13, s[4:5], 0, v13, s[4:5]
	s_and_saveexec_b64 s[4:5], vcc
	s_cbranch_execnz .LBB4459_30
; %bb.23:
	s_or_b64 exec, exec, s[4:5]
	s_and_saveexec_b64 s[4:5], s[0:1]
	s_cbranch_execnz .LBB4459_31
.LBB4459_24:
	s_or_b64 exec, exec, s[4:5]
	s_and_saveexec_b64 s[0:1], s[2:3]
	s_cbranch_execnz .LBB4459_32
.LBB4459_25:
	s_or_b64 exec, exec, s[0:1]
	s_and_saveexec_b64 s[0:1], s[12:13]
	s_cbranch_execnz .LBB4459_33
.LBB4459_26:
	s_or_b64 exec, exec, s[0:1]
	s_and_saveexec_b64 s[0:1], s[6:7]
	s_cbranch_execnz .LBB4459_34
.LBB4459_27:
	s_or_b64 exec, exec, s[0:1]
	s_and_saveexec_b64 s[0:1], s[8:9]
	s_cbranch_execnz .LBB4459_35
.LBB4459_28:
	s_or_b64 exec, exec, s[0:1]
	s_and_saveexec_b64 s[0:1], s[10:11]
	s_cbranch_execnz .LBB4459_36
.LBB4459_29:
	s_endpgm
.LBB4459_30:
	ds_read_b64 v[14:15], v21
	s_waitcnt lgkmcnt(0)
	global_store_dwordx2 v[12:13], v[14:15], off
	s_or_b64 exec, exec, s[4:5]
	s_and_saveexec_b64 s[4:5], s[0:1]
	s_cbranch_execz .LBB4459_24
.LBB4459_31:
	s_waitcnt lgkmcnt(2)
	global_store_dwordx2 v[12:13], v[8:9], off offset:1024
	s_or_b64 exec, exec, s[4:5]
	s_and_saveexec_b64 s[0:1], s[2:3]
	s_cbranch_execz .LBB4459_25
.LBB4459_32:
	s_waitcnt lgkmcnt(2)
	global_store_dwordx2 v[12:13], v[10:11], off offset:2048
	s_or_b64 exec, exec, s[0:1]
	s_and_saveexec_b64 s[0:1], s[12:13]
	s_cbranch_execz .LBB4459_26
.LBB4459_33:
	s_waitcnt lgkmcnt(1)
	global_store_dwordx2 v[12:13], v[4:5], off offset:3072
	s_or_b64 exec, exec, s[0:1]
	s_and_saveexec_b64 s[0:1], s[6:7]
	s_cbranch_execz .LBB4459_27
.LBB4459_34:
	s_waitcnt lgkmcnt(1)
	v_add_co_u32_e32 v4, vcc, 0x1000, v12
	v_addc_co_u32_e32 v5, vcc, 0, v13, vcc
	global_store_dwordx2 v[4:5], v[6:7], off
	s_or_b64 exec, exec, s[0:1]
	s_and_saveexec_b64 s[0:1], s[8:9]
	s_cbranch_execz .LBB4459_28
.LBB4459_35:
	s_waitcnt lgkmcnt(1)
	v_add_co_u32_e32 v4, vcc, 0x1000, v12
	v_addc_co_u32_e32 v5, vcc, 0, v13, vcc
	s_waitcnt lgkmcnt(0)
	global_store_dwordx2 v[4:5], v[0:1], off offset:1024
	s_or_b64 exec, exec, s[0:1]
	s_and_saveexec_b64 s[0:1], s[10:11]
	s_cbranch_execz .LBB4459_29
.LBB4459_36:
	s_waitcnt lgkmcnt(0)
	v_add_co_u32_e32 v0, vcc, 0x1000, v12
	v_addc_co_u32_e32 v1, vcc, 0, v13, vcc
	global_store_dwordx2 v[0:1], v[2:3], off offset:2048
	s_endpgm
	.section	.rodata,"a",@progbits
	.p2align	6, 0x0
	.amdhsa_kernel _ZN7rocprim17ROCPRIM_400000_NS6detail17trampoline_kernelINS0_14default_configENS1_20scan_config_selectorIyEEZZNS1_9scan_implILNS1_25lookback_scan_determinismE0ELb0ELb0ES3_N6thrust23THRUST_200600_302600_NS6detail15normal_iteratorINS9_10device_ptrIyEEEESE_yNS9_4plusIvEEyEEDaPvRmT3_T4_T5_mT6_P12ihipStream_tbENKUlT_T0_E_clISt17integral_constantIbLb1EESU_EEDaSP_SQ_EUlSP_E0_NS1_11comp_targetILNS1_3genE4ELNS1_11target_archE910ELNS1_3gpuE8ELNS1_3repE0EEENS1_30default_config_static_selectorELNS0_4arch9wavefront6targetE1EEEvT1_
		.amdhsa_group_segment_fixed_size 7168
		.amdhsa_private_segment_fixed_size 0
		.amdhsa_kernarg_size 40
		.amdhsa_user_sgpr_count 6
		.amdhsa_user_sgpr_private_segment_buffer 1
		.amdhsa_user_sgpr_dispatch_ptr 0
		.amdhsa_user_sgpr_queue_ptr 0
		.amdhsa_user_sgpr_kernarg_segment_ptr 1
		.amdhsa_user_sgpr_dispatch_id 0
		.amdhsa_user_sgpr_flat_scratch_init 0
		.amdhsa_user_sgpr_kernarg_preload_length 0
		.amdhsa_user_sgpr_kernarg_preload_offset 0
		.amdhsa_user_sgpr_private_segment_size 0
		.amdhsa_uses_dynamic_stack 0
		.amdhsa_system_sgpr_private_segment_wavefront_offset 0
		.amdhsa_system_sgpr_workgroup_id_x 1
		.amdhsa_system_sgpr_workgroup_id_y 0
		.amdhsa_system_sgpr_workgroup_id_z 0
		.amdhsa_system_sgpr_workgroup_info 0
		.amdhsa_system_vgpr_workitem_id 0
		.amdhsa_next_free_vgpr 41
		.amdhsa_next_free_sgpr 22
		.amdhsa_accum_offset 44
		.amdhsa_reserve_vcc 1
		.amdhsa_reserve_flat_scratch 0
		.amdhsa_float_round_mode_32 0
		.amdhsa_float_round_mode_16_64 0
		.amdhsa_float_denorm_mode_32 3
		.amdhsa_float_denorm_mode_16_64 3
		.amdhsa_dx10_clamp 1
		.amdhsa_ieee_mode 1
		.amdhsa_fp16_overflow 0
		.amdhsa_tg_split 0
		.amdhsa_exception_fp_ieee_invalid_op 0
		.amdhsa_exception_fp_denorm_src 0
		.amdhsa_exception_fp_ieee_div_zero 0
		.amdhsa_exception_fp_ieee_overflow 0
		.amdhsa_exception_fp_ieee_underflow 0
		.amdhsa_exception_fp_ieee_inexact 0
		.amdhsa_exception_int_div_zero 0
	.end_amdhsa_kernel
	.section	.text._ZN7rocprim17ROCPRIM_400000_NS6detail17trampoline_kernelINS0_14default_configENS1_20scan_config_selectorIyEEZZNS1_9scan_implILNS1_25lookback_scan_determinismE0ELb0ELb0ES3_N6thrust23THRUST_200600_302600_NS6detail15normal_iteratorINS9_10device_ptrIyEEEESE_yNS9_4plusIvEEyEEDaPvRmT3_T4_T5_mT6_P12ihipStream_tbENKUlT_T0_E_clISt17integral_constantIbLb1EESU_EEDaSP_SQ_EUlSP_E0_NS1_11comp_targetILNS1_3genE4ELNS1_11target_archE910ELNS1_3gpuE8ELNS1_3repE0EEENS1_30default_config_static_selectorELNS0_4arch9wavefront6targetE1EEEvT1_,"axG",@progbits,_ZN7rocprim17ROCPRIM_400000_NS6detail17trampoline_kernelINS0_14default_configENS1_20scan_config_selectorIyEEZZNS1_9scan_implILNS1_25lookback_scan_determinismE0ELb0ELb0ES3_N6thrust23THRUST_200600_302600_NS6detail15normal_iteratorINS9_10device_ptrIyEEEESE_yNS9_4plusIvEEyEEDaPvRmT3_T4_T5_mT6_P12ihipStream_tbENKUlT_T0_E_clISt17integral_constantIbLb1EESU_EEDaSP_SQ_EUlSP_E0_NS1_11comp_targetILNS1_3genE4ELNS1_11target_archE910ELNS1_3gpuE8ELNS1_3repE0EEENS1_30default_config_static_selectorELNS0_4arch9wavefront6targetE1EEEvT1_,comdat
.Lfunc_end4459:
	.size	_ZN7rocprim17ROCPRIM_400000_NS6detail17trampoline_kernelINS0_14default_configENS1_20scan_config_selectorIyEEZZNS1_9scan_implILNS1_25lookback_scan_determinismE0ELb0ELb0ES3_N6thrust23THRUST_200600_302600_NS6detail15normal_iteratorINS9_10device_ptrIyEEEESE_yNS9_4plusIvEEyEEDaPvRmT3_T4_T5_mT6_P12ihipStream_tbENKUlT_T0_E_clISt17integral_constantIbLb1EESU_EEDaSP_SQ_EUlSP_E0_NS1_11comp_targetILNS1_3genE4ELNS1_11target_archE910ELNS1_3gpuE8ELNS1_3repE0EEENS1_30default_config_static_selectorELNS0_4arch9wavefront6targetE1EEEvT1_, .Lfunc_end4459-_ZN7rocprim17ROCPRIM_400000_NS6detail17trampoline_kernelINS0_14default_configENS1_20scan_config_selectorIyEEZZNS1_9scan_implILNS1_25lookback_scan_determinismE0ELb0ELb0ES3_N6thrust23THRUST_200600_302600_NS6detail15normal_iteratorINS9_10device_ptrIyEEEESE_yNS9_4plusIvEEyEEDaPvRmT3_T4_T5_mT6_P12ihipStream_tbENKUlT_T0_E_clISt17integral_constantIbLb1EESU_EEDaSP_SQ_EUlSP_E0_NS1_11comp_targetILNS1_3genE4ELNS1_11target_archE910ELNS1_3gpuE8ELNS1_3repE0EEENS1_30default_config_static_selectorELNS0_4arch9wavefront6targetE1EEEvT1_
                                        ; -- End function
	.section	.AMDGPU.csdata,"",@progbits
; Kernel info:
; codeLenInByte = 1804
; NumSgprs: 26
; NumVgprs: 41
; NumAgprs: 0
; TotalNumVgprs: 41
; ScratchSize: 0
; MemoryBound: 0
; FloatMode: 240
; IeeeMode: 1
; LDSByteSize: 7168 bytes/workgroup (compile time only)
; SGPRBlocks: 3
; VGPRBlocks: 5
; NumSGPRsForWavesPerEU: 26
; NumVGPRsForWavesPerEU: 41
; AccumOffset: 44
; Occupancy: 5
; WaveLimiterHint : 0
; COMPUTE_PGM_RSRC2:SCRATCH_EN: 0
; COMPUTE_PGM_RSRC2:USER_SGPR: 6
; COMPUTE_PGM_RSRC2:TRAP_HANDLER: 0
; COMPUTE_PGM_RSRC2:TGID_X_EN: 1
; COMPUTE_PGM_RSRC2:TGID_Y_EN: 0
; COMPUTE_PGM_RSRC2:TGID_Z_EN: 0
; COMPUTE_PGM_RSRC2:TIDIG_COMP_CNT: 0
; COMPUTE_PGM_RSRC3_GFX90A:ACCUM_OFFSET: 10
; COMPUTE_PGM_RSRC3_GFX90A:TG_SPLIT: 0
	.section	.text._ZN7rocprim17ROCPRIM_400000_NS6detail17trampoline_kernelINS0_14default_configENS1_20scan_config_selectorIyEEZZNS1_9scan_implILNS1_25lookback_scan_determinismE0ELb0ELb0ES3_N6thrust23THRUST_200600_302600_NS6detail15normal_iteratorINS9_10device_ptrIyEEEESE_yNS9_4plusIvEEyEEDaPvRmT3_T4_T5_mT6_P12ihipStream_tbENKUlT_T0_E_clISt17integral_constantIbLb1EESU_EEDaSP_SQ_EUlSP_E0_NS1_11comp_targetILNS1_3genE3ELNS1_11target_archE908ELNS1_3gpuE7ELNS1_3repE0EEENS1_30default_config_static_selectorELNS0_4arch9wavefront6targetE1EEEvT1_,"axG",@progbits,_ZN7rocprim17ROCPRIM_400000_NS6detail17trampoline_kernelINS0_14default_configENS1_20scan_config_selectorIyEEZZNS1_9scan_implILNS1_25lookback_scan_determinismE0ELb0ELb0ES3_N6thrust23THRUST_200600_302600_NS6detail15normal_iteratorINS9_10device_ptrIyEEEESE_yNS9_4plusIvEEyEEDaPvRmT3_T4_T5_mT6_P12ihipStream_tbENKUlT_T0_E_clISt17integral_constantIbLb1EESU_EEDaSP_SQ_EUlSP_E0_NS1_11comp_targetILNS1_3genE3ELNS1_11target_archE908ELNS1_3gpuE7ELNS1_3repE0EEENS1_30default_config_static_selectorELNS0_4arch9wavefront6targetE1EEEvT1_,comdat
	.protected	_ZN7rocprim17ROCPRIM_400000_NS6detail17trampoline_kernelINS0_14default_configENS1_20scan_config_selectorIyEEZZNS1_9scan_implILNS1_25lookback_scan_determinismE0ELb0ELb0ES3_N6thrust23THRUST_200600_302600_NS6detail15normal_iteratorINS9_10device_ptrIyEEEESE_yNS9_4plusIvEEyEEDaPvRmT3_T4_T5_mT6_P12ihipStream_tbENKUlT_T0_E_clISt17integral_constantIbLb1EESU_EEDaSP_SQ_EUlSP_E0_NS1_11comp_targetILNS1_3genE3ELNS1_11target_archE908ELNS1_3gpuE7ELNS1_3repE0EEENS1_30default_config_static_selectorELNS0_4arch9wavefront6targetE1EEEvT1_ ; -- Begin function _ZN7rocprim17ROCPRIM_400000_NS6detail17trampoline_kernelINS0_14default_configENS1_20scan_config_selectorIyEEZZNS1_9scan_implILNS1_25lookback_scan_determinismE0ELb0ELb0ES3_N6thrust23THRUST_200600_302600_NS6detail15normal_iteratorINS9_10device_ptrIyEEEESE_yNS9_4plusIvEEyEEDaPvRmT3_T4_T5_mT6_P12ihipStream_tbENKUlT_T0_E_clISt17integral_constantIbLb1EESU_EEDaSP_SQ_EUlSP_E0_NS1_11comp_targetILNS1_3genE3ELNS1_11target_archE908ELNS1_3gpuE7ELNS1_3repE0EEENS1_30default_config_static_selectorELNS0_4arch9wavefront6targetE1EEEvT1_
	.globl	_ZN7rocprim17ROCPRIM_400000_NS6detail17trampoline_kernelINS0_14default_configENS1_20scan_config_selectorIyEEZZNS1_9scan_implILNS1_25lookback_scan_determinismE0ELb0ELb0ES3_N6thrust23THRUST_200600_302600_NS6detail15normal_iteratorINS9_10device_ptrIyEEEESE_yNS9_4plusIvEEyEEDaPvRmT3_T4_T5_mT6_P12ihipStream_tbENKUlT_T0_E_clISt17integral_constantIbLb1EESU_EEDaSP_SQ_EUlSP_E0_NS1_11comp_targetILNS1_3genE3ELNS1_11target_archE908ELNS1_3gpuE7ELNS1_3repE0EEENS1_30default_config_static_selectorELNS0_4arch9wavefront6targetE1EEEvT1_
	.p2align	8
	.type	_ZN7rocprim17ROCPRIM_400000_NS6detail17trampoline_kernelINS0_14default_configENS1_20scan_config_selectorIyEEZZNS1_9scan_implILNS1_25lookback_scan_determinismE0ELb0ELb0ES3_N6thrust23THRUST_200600_302600_NS6detail15normal_iteratorINS9_10device_ptrIyEEEESE_yNS9_4plusIvEEyEEDaPvRmT3_T4_T5_mT6_P12ihipStream_tbENKUlT_T0_E_clISt17integral_constantIbLb1EESU_EEDaSP_SQ_EUlSP_E0_NS1_11comp_targetILNS1_3genE3ELNS1_11target_archE908ELNS1_3gpuE7ELNS1_3repE0EEENS1_30default_config_static_selectorELNS0_4arch9wavefront6targetE1EEEvT1_,@function
_ZN7rocprim17ROCPRIM_400000_NS6detail17trampoline_kernelINS0_14default_configENS1_20scan_config_selectorIyEEZZNS1_9scan_implILNS1_25lookback_scan_determinismE0ELb0ELb0ES3_N6thrust23THRUST_200600_302600_NS6detail15normal_iteratorINS9_10device_ptrIyEEEESE_yNS9_4plusIvEEyEEDaPvRmT3_T4_T5_mT6_P12ihipStream_tbENKUlT_T0_E_clISt17integral_constantIbLb1EESU_EEDaSP_SQ_EUlSP_E0_NS1_11comp_targetILNS1_3genE3ELNS1_11target_archE908ELNS1_3gpuE7ELNS1_3repE0EEENS1_30default_config_static_selectorELNS0_4arch9wavefront6targetE1EEEvT1_: ; @_ZN7rocprim17ROCPRIM_400000_NS6detail17trampoline_kernelINS0_14default_configENS1_20scan_config_selectorIyEEZZNS1_9scan_implILNS1_25lookback_scan_determinismE0ELb0ELb0ES3_N6thrust23THRUST_200600_302600_NS6detail15normal_iteratorINS9_10device_ptrIyEEEESE_yNS9_4plusIvEEyEEDaPvRmT3_T4_T5_mT6_P12ihipStream_tbENKUlT_T0_E_clISt17integral_constantIbLb1EESU_EEDaSP_SQ_EUlSP_E0_NS1_11comp_targetILNS1_3genE3ELNS1_11target_archE908ELNS1_3gpuE7ELNS1_3repE0EEENS1_30default_config_static_selectorELNS0_4arch9wavefront6targetE1EEEvT1_
; %bb.0:
	.section	.rodata,"a",@progbits
	.p2align	6, 0x0
	.amdhsa_kernel _ZN7rocprim17ROCPRIM_400000_NS6detail17trampoline_kernelINS0_14default_configENS1_20scan_config_selectorIyEEZZNS1_9scan_implILNS1_25lookback_scan_determinismE0ELb0ELb0ES3_N6thrust23THRUST_200600_302600_NS6detail15normal_iteratorINS9_10device_ptrIyEEEESE_yNS9_4plusIvEEyEEDaPvRmT3_T4_T5_mT6_P12ihipStream_tbENKUlT_T0_E_clISt17integral_constantIbLb1EESU_EEDaSP_SQ_EUlSP_E0_NS1_11comp_targetILNS1_3genE3ELNS1_11target_archE908ELNS1_3gpuE7ELNS1_3repE0EEENS1_30default_config_static_selectorELNS0_4arch9wavefront6targetE1EEEvT1_
		.amdhsa_group_segment_fixed_size 0
		.amdhsa_private_segment_fixed_size 0
		.amdhsa_kernarg_size 40
		.amdhsa_user_sgpr_count 6
		.amdhsa_user_sgpr_private_segment_buffer 1
		.amdhsa_user_sgpr_dispatch_ptr 0
		.amdhsa_user_sgpr_queue_ptr 0
		.amdhsa_user_sgpr_kernarg_segment_ptr 1
		.amdhsa_user_sgpr_dispatch_id 0
		.amdhsa_user_sgpr_flat_scratch_init 0
		.amdhsa_user_sgpr_kernarg_preload_length 0
		.amdhsa_user_sgpr_kernarg_preload_offset 0
		.amdhsa_user_sgpr_private_segment_size 0
		.amdhsa_uses_dynamic_stack 0
		.amdhsa_system_sgpr_private_segment_wavefront_offset 0
		.amdhsa_system_sgpr_workgroup_id_x 1
		.amdhsa_system_sgpr_workgroup_id_y 0
		.amdhsa_system_sgpr_workgroup_id_z 0
		.amdhsa_system_sgpr_workgroup_info 0
		.amdhsa_system_vgpr_workitem_id 0
		.amdhsa_next_free_vgpr 1
		.amdhsa_next_free_sgpr 0
		.amdhsa_accum_offset 4
		.amdhsa_reserve_vcc 0
		.amdhsa_reserve_flat_scratch 0
		.amdhsa_float_round_mode_32 0
		.amdhsa_float_round_mode_16_64 0
		.amdhsa_float_denorm_mode_32 3
		.amdhsa_float_denorm_mode_16_64 3
		.amdhsa_dx10_clamp 1
		.amdhsa_ieee_mode 1
		.amdhsa_fp16_overflow 0
		.amdhsa_tg_split 0
		.amdhsa_exception_fp_ieee_invalid_op 0
		.amdhsa_exception_fp_denorm_src 0
		.amdhsa_exception_fp_ieee_div_zero 0
		.amdhsa_exception_fp_ieee_overflow 0
		.amdhsa_exception_fp_ieee_underflow 0
		.amdhsa_exception_fp_ieee_inexact 0
		.amdhsa_exception_int_div_zero 0
	.end_amdhsa_kernel
	.section	.text._ZN7rocprim17ROCPRIM_400000_NS6detail17trampoline_kernelINS0_14default_configENS1_20scan_config_selectorIyEEZZNS1_9scan_implILNS1_25lookback_scan_determinismE0ELb0ELb0ES3_N6thrust23THRUST_200600_302600_NS6detail15normal_iteratorINS9_10device_ptrIyEEEESE_yNS9_4plusIvEEyEEDaPvRmT3_T4_T5_mT6_P12ihipStream_tbENKUlT_T0_E_clISt17integral_constantIbLb1EESU_EEDaSP_SQ_EUlSP_E0_NS1_11comp_targetILNS1_3genE3ELNS1_11target_archE908ELNS1_3gpuE7ELNS1_3repE0EEENS1_30default_config_static_selectorELNS0_4arch9wavefront6targetE1EEEvT1_,"axG",@progbits,_ZN7rocprim17ROCPRIM_400000_NS6detail17trampoline_kernelINS0_14default_configENS1_20scan_config_selectorIyEEZZNS1_9scan_implILNS1_25lookback_scan_determinismE0ELb0ELb0ES3_N6thrust23THRUST_200600_302600_NS6detail15normal_iteratorINS9_10device_ptrIyEEEESE_yNS9_4plusIvEEyEEDaPvRmT3_T4_T5_mT6_P12ihipStream_tbENKUlT_T0_E_clISt17integral_constantIbLb1EESU_EEDaSP_SQ_EUlSP_E0_NS1_11comp_targetILNS1_3genE3ELNS1_11target_archE908ELNS1_3gpuE7ELNS1_3repE0EEENS1_30default_config_static_selectorELNS0_4arch9wavefront6targetE1EEEvT1_,comdat
.Lfunc_end4460:
	.size	_ZN7rocprim17ROCPRIM_400000_NS6detail17trampoline_kernelINS0_14default_configENS1_20scan_config_selectorIyEEZZNS1_9scan_implILNS1_25lookback_scan_determinismE0ELb0ELb0ES3_N6thrust23THRUST_200600_302600_NS6detail15normal_iteratorINS9_10device_ptrIyEEEESE_yNS9_4plusIvEEyEEDaPvRmT3_T4_T5_mT6_P12ihipStream_tbENKUlT_T0_E_clISt17integral_constantIbLb1EESU_EEDaSP_SQ_EUlSP_E0_NS1_11comp_targetILNS1_3genE3ELNS1_11target_archE908ELNS1_3gpuE7ELNS1_3repE0EEENS1_30default_config_static_selectorELNS0_4arch9wavefront6targetE1EEEvT1_, .Lfunc_end4460-_ZN7rocprim17ROCPRIM_400000_NS6detail17trampoline_kernelINS0_14default_configENS1_20scan_config_selectorIyEEZZNS1_9scan_implILNS1_25lookback_scan_determinismE0ELb0ELb0ES3_N6thrust23THRUST_200600_302600_NS6detail15normal_iteratorINS9_10device_ptrIyEEEESE_yNS9_4plusIvEEyEEDaPvRmT3_T4_T5_mT6_P12ihipStream_tbENKUlT_T0_E_clISt17integral_constantIbLb1EESU_EEDaSP_SQ_EUlSP_E0_NS1_11comp_targetILNS1_3genE3ELNS1_11target_archE908ELNS1_3gpuE7ELNS1_3repE0EEENS1_30default_config_static_selectorELNS0_4arch9wavefront6targetE1EEEvT1_
                                        ; -- End function
	.section	.AMDGPU.csdata,"",@progbits
; Kernel info:
; codeLenInByte = 0
; NumSgprs: 4
; NumVgprs: 0
; NumAgprs: 0
; TotalNumVgprs: 0
; ScratchSize: 0
; MemoryBound: 0
; FloatMode: 240
; IeeeMode: 1
; LDSByteSize: 0 bytes/workgroup (compile time only)
; SGPRBlocks: 0
; VGPRBlocks: 0
; NumSGPRsForWavesPerEU: 4
; NumVGPRsForWavesPerEU: 1
; AccumOffset: 4
; Occupancy: 8
; WaveLimiterHint : 0
; COMPUTE_PGM_RSRC2:SCRATCH_EN: 0
; COMPUTE_PGM_RSRC2:USER_SGPR: 6
; COMPUTE_PGM_RSRC2:TRAP_HANDLER: 0
; COMPUTE_PGM_RSRC2:TGID_X_EN: 1
; COMPUTE_PGM_RSRC2:TGID_Y_EN: 0
; COMPUTE_PGM_RSRC2:TGID_Z_EN: 0
; COMPUTE_PGM_RSRC2:TIDIG_COMP_CNT: 0
; COMPUTE_PGM_RSRC3_GFX90A:ACCUM_OFFSET: 0
; COMPUTE_PGM_RSRC3_GFX90A:TG_SPLIT: 0
	.section	.text._ZN7rocprim17ROCPRIM_400000_NS6detail17trampoline_kernelINS0_14default_configENS1_20scan_config_selectorIyEEZZNS1_9scan_implILNS1_25lookback_scan_determinismE0ELb0ELb0ES3_N6thrust23THRUST_200600_302600_NS6detail15normal_iteratorINS9_10device_ptrIyEEEESE_yNS9_4plusIvEEyEEDaPvRmT3_T4_T5_mT6_P12ihipStream_tbENKUlT_T0_E_clISt17integral_constantIbLb1EESU_EEDaSP_SQ_EUlSP_E0_NS1_11comp_targetILNS1_3genE2ELNS1_11target_archE906ELNS1_3gpuE6ELNS1_3repE0EEENS1_30default_config_static_selectorELNS0_4arch9wavefront6targetE1EEEvT1_,"axG",@progbits,_ZN7rocprim17ROCPRIM_400000_NS6detail17trampoline_kernelINS0_14default_configENS1_20scan_config_selectorIyEEZZNS1_9scan_implILNS1_25lookback_scan_determinismE0ELb0ELb0ES3_N6thrust23THRUST_200600_302600_NS6detail15normal_iteratorINS9_10device_ptrIyEEEESE_yNS9_4plusIvEEyEEDaPvRmT3_T4_T5_mT6_P12ihipStream_tbENKUlT_T0_E_clISt17integral_constantIbLb1EESU_EEDaSP_SQ_EUlSP_E0_NS1_11comp_targetILNS1_3genE2ELNS1_11target_archE906ELNS1_3gpuE6ELNS1_3repE0EEENS1_30default_config_static_selectorELNS0_4arch9wavefront6targetE1EEEvT1_,comdat
	.protected	_ZN7rocprim17ROCPRIM_400000_NS6detail17trampoline_kernelINS0_14default_configENS1_20scan_config_selectorIyEEZZNS1_9scan_implILNS1_25lookback_scan_determinismE0ELb0ELb0ES3_N6thrust23THRUST_200600_302600_NS6detail15normal_iteratorINS9_10device_ptrIyEEEESE_yNS9_4plusIvEEyEEDaPvRmT3_T4_T5_mT6_P12ihipStream_tbENKUlT_T0_E_clISt17integral_constantIbLb1EESU_EEDaSP_SQ_EUlSP_E0_NS1_11comp_targetILNS1_3genE2ELNS1_11target_archE906ELNS1_3gpuE6ELNS1_3repE0EEENS1_30default_config_static_selectorELNS0_4arch9wavefront6targetE1EEEvT1_ ; -- Begin function _ZN7rocprim17ROCPRIM_400000_NS6detail17trampoline_kernelINS0_14default_configENS1_20scan_config_selectorIyEEZZNS1_9scan_implILNS1_25lookback_scan_determinismE0ELb0ELb0ES3_N6thrust23THRUST_200600_302600_NS6detail15normal_iteratorINS9_10device_ptrIyEEEESE_yNS9_4plusIvEEyEEDaPvRmT3_T4_T5_mT6_P12ihipStream_tbENKUlT_T0_E_clISt17integral_constantIbLb1EESU_EEDaSP_SQ_EUlSP_E0_NS1_11comp_targetILNS1_3genE2ELNS1_11target_archE906ELNS1_3gpuE6ELNS1_3repE0EEENS1_30default_config_static_selectorELNS0_4arch9wavefront6targetE1EEEvT1_
	.globl	_ZN7rocprim17ROCPRIM_400000_NS6detail17trampoline_kernelINS0_14default_configENS1_20scan_config_selectorIyEEZZNS1_9scan_implILNS1_25lookback_scan_determinismE0ELb0ELb0ES3_N6thrust23THRUST_200600_302600_NS6detail15normal_iteratorINS9_10device_ptrIyEEEESE_yNS9_4plusIvEEyEEDaPvRmT3_T4_T5_mT6_P12ihipStream_tbENKUlT_T0_E_clISt17integral_constantIbLb1EESU_EEDaSP_SQ_EUlSP_E0_NS1_11comp_targetILNS1_3genE2ELNS1_11target_archE906ELNS1_3gpuE6ELNS1_3repE0EEENS1_30default_config_static_selectorELNS0_4arch9wavefront6targetE1EEEvT1_
	.p2align	8
	.type	_ZN7rocprim17ROCPRIM_400000_NS6detail17trampoline_kernelINS0_14default_configENS1_20scan_config_selectorIyEEZZNS1_9scan_implILNS1_25lookback_scan_determinismE0ELb0ELb0ES3_N6thrust23THRUST_200600_302600_NS6detail15normal_iteratorINS9_10device_ptrIyEEEESE_yNS9_4plusIvEEyEEDaPvRmT3_T4_T5_mT6_P12ihipStream_tbENKUlT_T0_E_clISt17integral_constantIbLb1EESU_EEDaSP_SQ_EUlSP_E0_NS1_11comp_targetILNS1_3genE2ELNS1_11target_archE906ELNS1_3gpuE6ELNS1_3repE0EEENS1_30default_config_static_selectorELNS0_4arch9wavefront6targetE1EEEvT1_,@function
_ZN7rocprim17ROCPRIM_400000_NS6detail17trampoline_kernelINS0_14default_configENS1_20scan_config_selectorIyEEZZNS1_9scan_implILNS1_25lookback_scan_determinismE0ELb0ELb0ES3_N6thrust23THRUST_200600_302600_NS6detail15normal_iteratorINS9_10device_ptrIyEEEESE_yNS9_4plusIvEEyEEDaPvRmT3_T4_T5_mT6_P12ihipStream_tbENKUlT_T0_E_clISt17integral_constantIbLb1EESU_EEDaSP_SQ_EUlSP_E0_NS1_11comp_targetILNS1_3genE2ELNS1_11target_archE906ELNS1_3gpuE6ELNS1_3repE0EEENS1_30default_config_static_selectorELNS0_4arch9wavefront6targetE1EEEvT1_: ; @_ZN7rocprim17ROCPRIM_400000_NS6detail17trampoline_kernelINS0_14default_configENS1_20scan_config_selectorIyEEZZNS1_9scan_implILNS1_25lookback_scan_determinismE0ELb0ELb0ES3_N6thrust23THRUST_200600_302600_NS6detail15normal_iteratorINS9_10device_ptrIyEEEESE_yNS9_4plusIvEEyEEDaPvRmT3_T4_T5_mT6_P12ihipStream_tbENKUlT_T0_E_clISt17integral_constantIbLb1EESU_EEDaSP_SQ_EUlSP_E0_NS1_11comp_targetILNS1_3genE2ELNS1_11target_archE906ELNS1_3gpuE6ELNS1_3repE0EEENS1_30default_config_static_selectorELNS0_4arch9wavefront6targetE1EEEvT1_
; %bb.0:
	.section	.rodata,"a",@progbits
	.p2align	6, 0x0
	.amdhsa_kernel _ZN7rocprim17ROCPRIM_400000_NS6detail17trampoline_kernelINS0_14default_configENS1_20scan_config_selectorIyEEZZNS1_9scan_implILNS1_25lookback_scan_determinismE0ELb0ELb0ES3_N6thrust23THRUST_200600_302600_NS6detail15normal_iteratorINS9_10device_ptrIyEEEESE_yNS9_4plusIvEEyEEDaPvRmT3_T4_T5_mT6_P12ihipStream_tbENKUlT_T0_E_clISt17integral_constantIbLb1EESU_EEDaSP_SQ_EUlSP_E0_NS1_11comp_targetILNS1_3genE2ELNS1_11target_archE906ELNS1_3gpuE6ELNS1_3repE0EEENS1_30default_config_static_selectorELNS0_4arch9wavefront6targetE1EEEvT1_
		.amdhsa_group_segment_fixed_size 0
		.amdhsa_private_segment_fixed_size 0
		.amdhsa_kernarg_size 40
		.amdhsa_user_sgpr_count 6
		.amdhsa_user_sgpr_private_segment_buffer 1
		.amdhsa_user_sgpr_dispatch_ptr 0
		.amdhsa_user_sgpr_queue_ptr 0
		.amdhsa_user_sgpr_kernarg_segment_ptr 1
		.amdhsa_user_sgpr_dispatch_id 0
		.amdhsa_user_sgpr_flat_scratch_init 0
		.amdhsa_user_sgpr_kernarg_preload_length 0
		.amdhsa_user_sgpr_kernarg_preload_offset 0
		.amdhsa_user_sgpr_private_segment_size 0
		.amdhsa_uses_dynamic_stack 0
		.amdhsa_system_sgpr_private_segment_wavefront_offset 0
		.amdhsa_system_sgpr_workgroup_id_x 1
		.amdhsa_system_sgpr_workgroup_id_y 0
		.amdhsa_system_sgpr_workgroup_id_z 0
		.amdhsa_system_sgpr_workgroup_info 0
		.amdhsa_system_vgpr_workitem_id 0
		.amdhsa_next_free_vgpr 1
		.amdhsa_next_free_sgpr 0
		.amdhsa_accum_offset 4
		.amdhsa_reserve_vcc 0
		.amdhsa_reserve_flat_scratch 0
		.amdhsa_float_round_mode_32 0
		.amdhsa_float_round_mode_16_64 0
		.amdhsa_float_denorm_mode_32 3
		.amdhsa_float_denorm_mode_16_64 3
		.amdhsa_dx10_clamp 1
		.amdhsa_ieee_mode 1
		.amdhsa_fp16_overflow 0
		.amdhsa_tg_split 0
		.amdhsa_exception_fp_ieee_invalid_op 0
		.amdhsa_exception_fp_denorm_src 0
		.amdhsa_exception_fp_ieee_div_zero 0
		.amdhsa_exception_fp_ieee_overflow 0
		.amdhsa_exception_fp_ieee_underflow 0
		.amdhsa_exception_fp_ieee_inexact 0
		.amdhsa_exception_int_div_zero 0
	.end_amdhsa_kernel
	.section	.text._ZN7rocprim17ROCPRIM_400000_NS6detail17trampoline_kernelINS0_14default_configENS1_20scan_config_selectorIyEEZZNS1_9scan_implILNS1_25lookback_scan_determinismE0ELb0ELb0ES3_N6thrust23THRUST_200600_302600_NS6detail15normal_iteratorINS9_10device_ptrIyEEEESE_yNS9_4plusIvEEyEEDaPvRmT3_T4_T5_mT6_P12ihipStream_tbENKUlT_T0_E_clISt17integral_constantIbLb1EESU_EEDaSP_SQ_EUlSP_E0_NS1_11comp_targetILNS1_3genE2ELNS1_11target_archE906ELNS1_3gpuE6ELNS1_3repE0EEENS1_30default_config_static_selectorELNS0_4arch9wavefront6targetE1EEEvT1_,"axG",@progbits,_ZN7rocprim17ROCPRIM_400000_NS6detail17trampoline_kernelINS0_14default_configENS1_20scan_config_selectorIyEEZZNS1_9scan_implILNS1_25lookback_scan_determinismE0ELb0ELb0ES3_N6thrust23THRUST_200600_302600_NS6detail15normal_iteratorINS9_10device_ptrIyEEEESE_yNS9_4plusIvEEyEEDaPvRmT3_T4_T5_mT6_P12ihipStream_tbENKUlT_T0_E_clISt17integral_constantIbLb1EESU_EEDaSP_SQ_EUlSP_E0_NS1_11comp_targetILNS1_3genE2ELNS1_11target_archE906ELNS1_3gpuE6ELNS1_3repE0EEENS1_30default_config_static_selectorELNS0_4arch9wavefront6targetE1EEEvT1_,comdat
.Lfunc_end4461:
	.size	_ZN7rocprim17ROCPRIM_400000_NS6detail17trampoline_kernelINS0_14default_configENS1_20scan_config_selectorIyEEZZNS1_9scan_implILNS1_25lookback_scan_determinismE0ELb0ELb0ES3_N6thrust23THRUST_200600_302600_NS6detail15normal_iteratorINS9_10device_ptrIyEEEESE_yNS9_4plusIvEEyEEDaPvRmT3_T4_T5_mT6_P12ihipStream_tbENKUlT_T0_E_clISt17integral_constantIbLb1EESU_EEDaSP_SQ_EUlSP_E0_NS1_11comp_targetILNS1_3genE2ELNS1_11target_archE906ELNS1_3gpuE6ELNS1_3repE0EEENS1_30default_config_static_selectorELNS0_4arch9wavefront6targetE1EEEvT1_, .Lfunc_end4461-_ZN7rocprim17ROCPRIM_400000_NS6detail17trampoline_kernelINS0_14default_configENS1_20scan_config_selectorIyEEZZNS1_9scan_implILNS1_25lookback_scan_determinismE0ELb0ELb0ES3_N6thrust23THRUST_200600_302600_NS6detail15normal_iteratorINS9_10device_ptrIyEEEESE_yNS9_4plusIvEEyEEDaPvRmT3_T4_T5_mT6_P12ihipStream_tbENKUlT_T0_E_clISt17integral_constantIbLb1EESU_EEDaSP_SQ_EUlSP_E0_NS1_11comp_targetILNS1_3genE2ELNS1_11target_archE906ELNS1_3gpuE6ELNS1_3repE0EEENS1_30default_config_static_selectorELNS0_4arch9wavefront6targetE1EEEvT1_
                                        ; -- End function
	.section	.AMDGPU.csdata,"",@progbits
; Kernel info:
; codeLenInByte = 0
; NumSgprs: 4
; NumVgprs: 0
; NumAgprs: 0
; TotalNumVgprs: 0
; ScratchSize: 0
; MemoryBound: 0
; FloatMode: 240
; IeeeMode: 1
; LDSByteSize: 0 bytes/workgroup (compile time only)
; SGPRBlocks: 0
; VGPRBlocks: 0
; NumSGPRsForWavesPerEU: 4
; NumVGPRsForWavesPerEU: 1
; AccumOffset: 4
; Occupancy: 8
; WaveLimiterHint : 0
; COMPUTE_PGM_RSRC2:SCRATCH_EN: 0
; COMPUTE_PGM_RSRC2:USER_SGPR: 6
; COMPUTE_PGM_RSRC2:TRAP_HANDLER: 0
; COMPUTE_PGM_RSRC2:TGID_X_EN: 1
; COMPUTE_PGM_RSRC2:TGID_Y_EN: 0
; COMPUTE_PGM_RSRC2:TGID_Z_EN: 0
; COMPUTE_PGM_RSRC2:TIDIG_COMP_CNT: 0
; COMPUTE_PGM_RSRC3_GFX90A:ACCUM_OFFSET: 0
; COMPUTE_PGM_RSRC3_GFX90A:TG_SPLIT: 0
	.section	.text._ZN7rocprim17ROCPRIM_400000_NS6detail17trampoline_kernelINS0_14default_configENS1_20scan_config_selectorIyEEZZNS1_9scan_implILNS1_25lookback_scan_determinismE0ELb0ELb0ES3_N6thrust23THRUST_200600_302600_NS6detail15normal_iteratorINS9_10device_ptrIyEEEESE_yNS9_4plusIvEEyEEDaPvRmT3_T4_T5_mT6_P12ihipStream_tbENKUlT_T0_E_clISt17integral_constantIbLb1EESU_EEDaSP_SQ_EUlSP_E0_NS1_11comp_targetILNS1_3genE10ELNS1_11target_archE1201ELNS1_3gpuE5ELNS1_3repE0EEENS1_30default_config_static_selectorELNS0_4arch9wavefront6targetE1EEEvT1_,"axG",@progbits,_ZN7rocprim17ROCPRIM_400000_NS6detail17trampoline_kernelINS0_14default_configENS1_20scan_config_selectorIyEEZZNS1_9scan_implILNS1_25lookback_scan_determinismE0ELb0ELb0ES3_N6thrust23THRUST_200600_302600_NS6detail15normal_iteratorINS9_10device_ptrIyEEEESE_yNS9_4plusIvEEyEEDaPvRmT3_T4_T5_mT6_P12ihipStream_tbENKUlT_T0_E_clISt17integral_constantIbLb1EESU_EEDaSP_SQ_EUlSP_E0_NS1_11comp_targetILNS1_3genE10ELNS1_11target_archE1201ELNS1_3gpuE5ELNS1_3repE0EEENS1_30default_config_static_selectorELNS0_4arch9wavefront6targetE1EEEvT1_,comdat
	.protected	_ZN7rocprim17ROCPRIM_400000_NS6detail17trampoline_kernelINS0_14default_configENS1_20scan_config_selectorIyEEZZNS1_9scan_implILNS1_25lookback_scan_determinismE0ELb0ELb0ES3_N6thrust23THRUST_200600_302600_NS6detail15normal_iteratorINS9_10device_ptrIyEEEESE_yNS9_4plusIvEEyEEDaPvRmT3_T4_T5_mT6_P12ihipStream_tbENKUlT_T0_E_clISt17integral_constantIbLb1EESU_EEDaSP_SQ_EUlSP_E0_NS1_11comp_targetILNS1_3genE10ELNS1_11target_archE1201ELNS1_3gpuE5ELNS1_3repE0EEENS1_30default_config_static_selectorELNS0_4arch9wavefront6targetE1EEEvT1_ ; -- Begin function _ZN7rocprim17ROCPRIM_400000_NS6detail17trampoline_kernelINS0_14default_configENS1_20scan_config_selectorIyEEZZNS1_9scan_implILNS1_25lookback_scan_determinismE0ELb0ELb0ES3_N6thrust23THRUST_200600_302600_NS6detail15normal_iteratorINS9_10device_ptrIyEEEESE_yNS9_4plusIvEEyEEDaPvRmT3_T4_T5_mT6_P12ihipStream_tbENKUlT_T0_E_clISt17integral_constantIbLb1EESU_EEDaSP_SQ_EUlSP_E0_NS1_11comp_targetILNS1_3genE10ELNS1_11target_archE1201ELNS1_3gpuE5ELNS1_3repE0EEENS1_30default_config_static_selectorELNS0_4arch9wavefront6targetE1EEEvT1_
	.globl	_ZN7rocprim17ROCPRIM_400000_NS6detail17trampoline_kernelINS0_14default_configENS1_20scan_config_selectorIyEEZZNS1_9scan_implILNS1_25lookback_scan_determinismE0ELb0ELb0ES3_N6thrust23THRUST_200600_302600_NS6detail15normal_iteratorINS9_10device_ptrIyEEEESE_yNS9_4plusIvEEyEEDaPvRmT3_T4_T5_mT6_P12ihipStream_tbENKUlT_T0_E_clISt17integral_constantIbLb1EESU_EEDaSP_SQ_EUlSP_E0_NS1_11comp_targetILNS1_3genE10ELNS1_11target_archE1201ELNS1_3gpuE5ELNS1_3repE0EEENS1_30default_config_static_selectorELNS0_4arch9wavefront6targetE1EEEvT1_
	.p2align	8
	.type	_ZN7rocprim17ROCPRIM_400000_NS6detail17trampoline_kernelINS0_14default_configENS1_20scan_config_selectorIyEEZZNS1_9scan_implILNS1_25lookback_scan_determinismE0ELb0ELb0ES3_N6thrust23THRUST_200600_302600_NS6detail15normal_iteratorINS9_10device_ptrIyEEEESE_yNS9_4plusIvEEyEEDaPvRmT3_T4_T5_mT6_P12ihipStream_tbENKUlT_T0_E_clISt17integral_constantIbLb1EESU_EEDaSP_SQ_EUlSP_E0_NS1_11comp_targetILNS1_3genE10ELNS1_11target_archE1201ELNS1_3gpuE5ELNS1_3repE0EEENS1_30default_config_static_selectorELNS0_4arch9wavefront6targetE1EEEvT1_,@function
_ZN7rocprim17ROCPRIM_400000_NS6detail17trampoline_kernelINS0_14default_configENS1_20scan_config_selectorIyEEZZNS1_9scan_implILNS1_25lookback_scan_determinismE0ELb0ELb0ES3_N6thrust23THRUST_200600_302600_NS6detail15normal_iteratorINS9_10device_ptrIyEEEESE_yNS9_4plusIvEEyEEDaPvRmT3_T4_T5_mT6_P12ihipStream_tbENKUlT_T0_E_clISt17integral_constantIbLb1EESU_EEDaSP_SQ_EUlSP_E0_NS1_11comp_targetILNS1_3genE10ELNS1_11target_archE1201ELNS1_3gpuE5ELNS1_3repE0EEENS1_30default_config_static_selectorELNS0_4arch9wavefront6targetE1EEEvT1_: ; @_ZN7rocprim17ROCPRIM_400000_NS6detail17trampoline_kernelINS0_14default_configENS1_20scan_config_selectorIyEEZZNS1_9scan_implILNS1_25lookback_scan_determinismE0ELb0ELb0ES3_N6thrust23THRUST_200600_302600_NS6detail15normal_iteratorINS9_10device_ptrIyEEEESE_yNS9_4plusIvEEyEEDaPvRmT3_T4_T5_mT6_P12ihipStream_tbENKUlT_T0_E_clISt17integral_constantIbLb1EESU_EEDaSP_SQ_EUlSP_E0_NS1_11comp_targetILNS1_3genE10ELNS1_11target_archE1201ELNS1_3gpuE5ELNS1_3repE0EEENS1_30default_config_static_selectorELNS0_4arch9wavefront6targetE1EEEvT1_
; %bb.0:
	.section	.rodata,"a",@progbits
	.p2align	6, 0x0
	.amdhsa_kernel _ZN7rocprim17ROCPRIM_400000_NS6detail17trampoline_kernelINS0_14default_configENS1_20scan_config_selectorIyEEZZNS1_9scan_implILNS1_25lookback_scan_determinismE0ELb0ELb0ES3_N6thrust23THRUST_200600_302600_NS6detail15normal_iteratorINS9_10device_ptrIyEEEESE_yNS9_4plusIvEEyEEDaPvRmT3_T4_T5_mT6_P12ihipStream_tbENKUlT_T0_E_clISt17integral_constantIbLb1EESU_EEDaSP_SQ_EUlSP_E0_NS1_11comp_targetILNS1_3genE10ELNS1_11target_archE1201ELNS1_3gpuE5ELNS1_3repE0EEENS1_30default_config_static_selectorELNS0_4arch9wavefront6targetE1EEEvT1_
		.amdhsa_group_segment_fixed_size 0
		.amdhsa_private_segment_fixed_size 0
		.amdhsa_kernarg_size 40
		.amdhsa_user_sgpr_count 6
		.amdhsa_user_sgpr_private_segment_buffer 1
		.amdhsa_user_sgpr_dispatch_ptr 0
		.amdhsa_user_sgpr_queue_ptr 0
		.amdhsa_user_sgpr_kernarg_segment_ptr 1
		.amdhsa_user_sgpr_dispatch_id 0
		.amdhsa_user_sgpr_flat_scratch_init 0
		.amdhsa_user_sgpr_kernarg_preload_length 0
		.amdhsa_user_sgpr_kernarg_preload_offset 0
		.amdhsa_user_sgpr_private_segment_size 0
		.amdhsa_uses_dynamic_stack 0
		.amdhsa_system_sgpr_private_segment_wavefront_offset 0
		.amdhsa_system_sgpr_workgroup_id_x 1
		.amdhsa_system_sgpr_workgroup_id_y 0
		.amdhsa_system_sgpr_workgroup_id_z 0
		.amdhsa_system_sgpr_workgroup_info 0
		.amdhsa_system_vgpr_workitem_id 0
		.amdhsa_next_free_vgpr 1
		.amdhsa_next_free_sgpr 0
		.amdhsa_accum_offset 4
		.amdhsa_reserve_vcc 0
		.amdhsa_reserve_flat_scratch 0
		.amdhsa_float_round_mode_32 0
		.amdhsa_float_round_mode_16_64 0
		.amdhsa_float_denorm_mode_32 3
		.amdhsa_float_denorm_mode_16_64 3
		.amdhsa_dx10_clamp 1
		.amdhsa_ieee_mode 1
		.amdhsa_fp16_overflow 0
		.amdhsa_tg_split 0
		.amdhsa_exception_fp_ieee_invalid_op 0
		.amdhsa_exception_fp_denorm_src 0
		.amdhsa_exception_fp_ieee_div_zero 0
		.amdhsa_exception_fp_ieee_overflow 0
		.amdhsa_exception_fp_ieee_underflow 0
		.amdhsa_exception_fp_ieee_inexact 0
		.amdhsa_exception_int_div_zero 0
	.end_amdhsa_kernel
	.section	.text._ZN7rocprim17ROCPRIM_400000_NS6detail17trampoline_kernelINS0_14default_configENS1_20scan_config_selectorIyEEZZNS1_9scan_implILNS1_25lookback_scan_determinismE0ELb0ELb0ES3_N6thrust23THRUST_200600_302600_NS6detail15normal_iteratorINS9_10device_ptrIyEEEESE_yNS9_4plusIvEEyEEDaPvRmT3_T4_T5_mT6_P12ihipStream_tbENKUlT_T0_E_clISt17integral_constantIbLb1EESU_EEDaSP_SQ_EUlSP_E0_NS1_11comp_targetILNS1_3genE10ELNS1_11target_archE1201ELNS1_3gpuE5ELNS1_3repE0EEENS1_30default_config_static_selectorELNS0_4arch9wavefront6targetE1EEEvT1_,"axG",@progbits,_ZN7rocprim17ROCPRIM_400000_NS6detail17trampoline_kernelINS0_14default_configENS1_20scan_config_selectorIyEEZZNS1_9scan_implILNS1_25lookback_scan_determinismE0ELb0ELb0ES3_N6thrust23THRUST_200600_302600_NS6detail15normal_iteratorINS9_10device_ptrIyEEEESE_yNS9_4plusIvEEyEEDaPvRmT3_T4_T5_mT6_P12ihipStream_tbENKUlT_T0_E_clISt17integral_constantIbLb1EESU_EEDaSP_SQ_EUlSP_E0_NS1_11comp_targetILNS1_3genE10ELNS1_11target_archE1201ELNS1_3gpuE5ELNS1_3repE0EEENS1_30default_config_static_selectorELNS0_4arch9wavefront6targetE1EEEvT1_,comdat
.Lfunc_end4462:
	.size	_ZN7rocprim17ROCPRIM_400000_NS6detail17trampoline_kernelINS0_14default_configENS1_20scan_config_selectorIyEEZZNS1_9scan_implILNS1_25lookback_scan_determinismE0ELb0ELb0ES3_N6thrust23THRUST_200600_302600_NS6detail15normal_iteratorINS9_10device_ptrIyEEEESE_yNS9_4plusIvEEyEEDaPvRmT3_T4_T5_mT6_P12ihipStream_tbENKUlT_T0_E_clISt17integral_constantIbLb1EESU_EEDaSP_SQ_EUlSP_E0_NS1_11comp_targetILNS1_3genE10ELNS1_11target_archE1201ELNS1_3gpuE5ELNS1_3repE0EEENS1_30default_config_static_selectorELNS0_4arch9wavefront6targetE1EEEvT1_, .Lfunc_end4462-_ZN7rocprim17ROCPRIM_400000_NS6detail17trampoline_kernelINS0_14default_configENS1_20scan_config_selectorIyEEZZNS1_9scan_implILNS1_25lookback_scan_determinismE0ELb0ELb0ES3_N6thrust23THRUST_200600_302600_NS6detail15normal_iteratorINS9_10device_ptrIyEEEESE_yNS9_4plusIvEEyEEDaPvRmT3_T4_T5_mT6_P12ihipStream_tbENKUlT_T0_E_clISt17integral_constantIbLb1EESU_EEDaSP_SQ_EUlSP_E0_NS1_11comp_targetILNS1_3genE10ELNS1_11target_archE1201ELNS1_3gpuE5ELNS1_3repE0EEENS1_30default_config_static_selectorELNS0_4arch9wavefront6targetE1EEEvT1_
                                        ; -- End function
	.section	.AMDGPU.csdata,"",@progbits
; Kernel info:
; codeLenInByte = 0
; NumSgprs: 4
; NumVgprs: 0
; NumAgprs: 0
; TotalNumVgprs: 0
; ScratchSize: 0
; MemoryBound: 0
; FloatMode: 240
; IeeeMode: 1
; LDSByteSize: 0 bytes/workgroup (compile time only)
; SGPRBlocks: 0
; VGPRBlocks: 0
; NumSGPRsForWavesPerEU: 4
; NumVGPRsForWavesPerEU: 1
; AccumOffset: 4
; Occupancy: 8
; WaveLimiterHint : 0
; COMPUTE_PGM_RSRC2:SCRATCH_EN: 0
; COMPUTE_PGM_RSRC2:USER_SGPR: 6
; COMPUTE_PGM_RSRC2:TRAP_HANDLER: 0
; COMPUTE_PGM_RSRC2:TGID_X_EN: 1
; COMPUTE_PGM_RSRC2:TGID_Y_EN: 0
; COMPUTE_PGM_RSRC2:TGID_Z_EN: 0
; COMPUTE_PGM_RSRC2:TIDIG_COMP_CNT: 0
; COMPUTE_PGM_RSRC3_GFX90A:ACCUM_OFFSET: 0
; COMPUTE_PGM_RSRC3_GFX90A:TG_SPLIT: 0
	.section	.text._ZN7rocprim17ROCPRIM_400000_NS6detail17trampoline_kernelINS0_14default_configENS1_20scan_config_selectorIyEEZZNS1_9scan_implILNS1_25lookback_scan_determinismE0ELb0ELb0ES3_N6thrust23THRUST_200600_302600_NS6detail15normal_iteratorINS9_10device_ptrIyEEEESE_yNS9_4plusIvEEyEEDaPvRmT3_T4_T5_mT6_P12ihipStream_tbENKUlT_T0_E_clISt17integral_constantIbLb1EESU_EEDaSP_SQ_EUlSP_E0_NS1_11comp_targetILNS1_3genE10ELNS1_11target_archE1200ELNS1_3gpuE4ELNS1_3repE0EEENS1_30default_config_static_selectorELNS0_4arch9wavefront6targetE1EEEvT1_,"axG",@progbits,_ZN7rocprim17ROCPRIM_400000_NS6detail17trampoline_kernelINS0_14default_configENS1_20scan_config_selectorIyEEZZNS1_9scan_implILNS1_25lookback_scan_determinismE0ELb0ELb0ES3_N6thrust23THRUST_200600_302600_NS6detail15normal_iteratorINS9_10device_ptrIyEEEESE_yNS9_4plusIvEEyEEDaPvRmT3_T4_T5_mT6_P12ihipStream_tbENKUlT_T0_E_clISt17integral_constantIbLb1EESU_EEDaSP_SQ_EUlSP_E0_NS1_11comp_targetILNS1_3genE10ELNS1_11target_archE1200ELNS1_3gpuE4ELNS1_3repE0EEENS1_30default_config_static_selectorELNS0_4arch9wavefront6targetE1EEEvT1_,comdat
	.protected	_ZN7rocprim17ROCPRIM_400000_NS6detail17trampoline_kernelINS0_14default_configENS1_20scan_config_selectorIyEEZZNS1_9scan_implILNS1_25lookback_scan_determinismE0ELb0ELb0ES3_N6thrust23THRUST_200600_302600_NS6detail15normal_iteratorINS9_10device_ptrIyEEEESE_yNS9_4plusIvEEyEEDaPvRmT3_T4_T5_mT6_P12ihipStream_tbENKUlT_T0_E_clISt17integral_constantIbLb1EESU_EEDaSP_SQ_EUlSP_E0_NS1_11comp_targetILNS1_3genE10ELNS1_11target_archE1200ELNS1_3gpuE4ELNS1_3repE0EEENS1_30default_config_static_selectorELNS0_4arch9wavefront6targetE1EEEvT1_ ; -- Begin function _ZN7rocprim17ROCPRIM_400000_NS6detail17trampoline_kernelINS0_14default_configENS1_20scan_config_selectorIyEEZZNS1_9scan_implILNS1_25lookback_scan_determinismE0ELb0ELb0ES3_N6thrust23THRUST_200600_302600_NS6detail15normal_iteratorINS9_10device_ptrIyEEEESE_yNS9_4plusIvEEyEEDaPvRmT3_T4_T5_mT6_P12ihipStream_tbENKUlT_T0_E_clISt17integral_constantIbLb1EESU_EEDaSP_SQ_EUlSP_E0_NS1_11comp_targetILNS1_3genE10ELNS1_11target_archE1200ELNS1_3gpuE4ELNS1_3repE0EEENS1_30default_config_static_selectorELNS0_4arch9wavefront6targetE1EEEvT1_
	.globl	_ZN7rocprim17ROCPRIM_400000_NS6detail17trampoline_kernelINS0_14default_configENS1_20scan_config_selectorIyEEZZNS1_9scan_implILNS1_25lookback_scan_determinismE0ELb0ELb0ES3_N6thrust23THRUST_200600_302600_NS6detail15normal_iteratorINS9_10device_ptrIyEEEESE_yNS9_4plusIvEEyEEDaPvRmT3_T4_T5_mT6_P12ihipStream_tbENKUlT_T0_E_clISt17integral_constantIbLb1EESU_EEDaSP_SQ_EUlSP_E0_NS1_11comp_targetILNS1_3genE10ELNS1_11target_archE1200ELNS1_3gpuE4ELNS1_3repE0EEENS1_30default_config_static_selectorELNS0_4arch9wavefront6targetE1EEEvT1_
	.p2align	8
	.type	_ZN7rocprim17ROCPRIM_400000_NS6detail17trampoline_kernelINS0_14default_configENS1_20scan_config_selectorIyEEZZNS1_9scan_implILNS1_25lookback_scan_determinismE0ELb0ELb0ES3_N6thrust23THRUST_200600_302600_NS6detail15normal_iteratorINS9_10device_ptrIyEEEESE_yNS9_4plusIvEEyEEDaPvRmT3_T4_T5_mT6_P12ihipStream_tbENKUlT_T0_E_clISt17integral_constantIbLb1EESU_EEDaSP_SQ_EUlSP_E0_NS1_11comp_targetILNS1_3genE10ELNS1_11target_archE1200ELNS1_3gpuE4ELNS1_3repE0EEENS1_30default_config_static_selectorELNS0_4arch9wavefront6targetE1EEEvT1_,@function
_ZN7rocprim17ROCPRIM_400000_NS6detail17trampoline_kernelINS0_14default_configENS1_20scan_config_selectorIyEEZZNS1_9scan_implILNS1_25lookback_scan_determinismE0ELb0ELb0ES3_N6thrust23THRUST_200600_302600_NS6detail15normal_iteratorINS9_10device_ptrIyEEEESE_yNS9_4plusIvEEyEEDaPvRmT3_T4_T5_mT6_P12ihipStream_tbENKUlT_T0_E_clISt17integral_constantIbLb1EESU_EEDaSP_SQ_EUlSP_E0_NS1_11comp_targetILNS1_3genE10ELNS1_11target_archE1200ELNS1_3gpuE4ELNS1_3repE0EEENS1_30default_config_static_selectorELNS0_4arch9wavefront6targetE1EEEvT1_: ; @_ZN7rocprim17ROCPRIM_400000_NS6detail17trampoline_kernelINS0_14default_configENS1_20scan_config_selectorIyEEZZNS1_9scan_implILNS1_25lookback_scan_determinismE0ELb0ELb0ES3_N6thrust23THRUST_200600_302600_NS6detail15normal_iteratorINS9_10device_ptrIyEEEESE_yNS9_4plusIvEEyEEDaPvRmT3_T4_T5_mT6_P12ihipStream_tbENKUlT_T0_E_clISt17integral_constantIbLb1EESU_EEDaSP_SQ_EUlSP_E0_NS1_11comp_targetILNS1_3genE10ELNS1_11target_archE1200ELNS1_3gpuE4ELNS1_3repE0EEENS1_30default_config_static_selectorELNS0_4arch9wavefront6targetE1EEEvT1_
; %bb.0:
	.section	.rodata,"a",@progbits
	.p2align	6, 0x0
	.amdhsa_kernel _ZN7rocprim17ROCPRIM_400000_NS6detail17trampoline_kernelINS0_14default_configENS1_20scan_config_selectorIyEEZZNS1_9scan_implILNS1_25lookback_scan_determinismE0ELb0ELb0ES3_N6thrust23THRUST_200600_302600_NS6detail15normal_iteratorINS9_10device_ptrIyEEEESE_yNS9_4plusIvEEyEEDaPvRmT3_T4_T5_mT6_P12ihipStream_tbENKUlT_T0_E_clISt17integral_constantIbLb1EESU_EEDaSP_SQ_EUlSP_E0_NS1_11comp_targetILNS1_3genE10ELNS1_11target_archE1200ELNS1_3gpuE4ELNS1_3repE0EEENS1_30default_config_static_selectorELNS0_4arch9wavefront6targetE1EEEvT1_
		.amdhsa_group_segment_fixed_size 0
		.amdhsa_private_segment_fixed_size 0
		.amdhsa_kernarg_size 40
		.amdhsa_user_sgpr_count 6
		.amdhsa_user_sgpr_private_segment_buffer 1
		.amdhsa_user_sgpr_dispatch_ptr 0
		.amdhsa_user_sgpr_queue_ptr 0
		.amdhsa_user_sgpr_kernarg_segment_ptr 1
		.amdhsa_user_sgpr_dispatch_id 0
		.amdhsa_user_sgpr_flat_scratch_init 0
		.amdhsa_user_sgpr_kernarg_preload_length 0
		.amdhsa_user_sgpr_kernarg_preload_offset 0
		.amdhsa_user_sgpr_private_segment_size 0
		.amdhsa_uses_dynamic_stack 0
		.amdhsa_system_sgpr_private_segment_wavefront_offset 0
		.amdhsa_system_sgpr_workgroup_id_x 1
		.amdhsa_system_sgpr_workgroup_id_y 0
		.amdhsa_system_sgpr_workgroup_id_z 0
		.amdhsa_system_sgpr_workgroup_info 0
		.amdhsa_system_vgpr_workitem_id 0
		.amdhsa_next_free_vgpr 1
		.amdhsa_next_free_sgpr 0
		.amdhsa_accum_offset 4
		.amdhsa_reserve_vcc 0
		.amdhsa_reserve_flat_scratch 0
		.amdhsa_float_round_mode_32 0
		.amdhsa_float_round_mode_16_64 0
		.amdhsa_float_denorm_mode_32 3
		.amdhsa_float_denorm_mode_16_64 3
		.amdhsa_dx10_clamp 1
		.amdhsa_ieee_mode 1
		.amdhsa_fp16_overflow 0
		.amdhsa_tg_split 0
		.amdhsa_exception_fp_ieee_invalid_op 0
		.amdhsa_exception_fp_denorm_src 0
		.amdhsa_exception_fp_ieee_div_zero 0
		.amdhsa_exception_fp_ieee_overflow 0
		.amdhsa_exception_fp_ieee_underflow 0
		.amdhsa_exception_fp_ieee_inexact 0
		.amdhsa_exception_int_div_zero 0
	.end_amdhsa_kernel
	.section	.text._ZN7rocprim17ROCPRIM_400000_NS6detail17trampoline_kernelINS0_14default_configENS1_20scan_config_selectorIyEEZZNS1_9scan_implILNS1_25lookback_scan_determinismE0ELb0ELb0ES3_N6thrust23THRUST_200600_302600_NS6detail15normal_iteratorINS9_10device_ptrIyEEEESE_yNS9_4plusIvEEyEEDaPvRmT3_T4_T5_mT6_P12ihipStream_tbENKUlT_T0_E_clISt17integral_constantIbLb1EESU_EEDaSP_SQ_EUlSP_E0_NS1_11comp_targetILNS1_3genE10ELNS1_11target_archE1200ELNS1_3gpuE4ELNS1_3repE0EEENS1_30default_config_static_selectorELNS0_4arch9wavefront6targetE1EEEvT1_,"axG",@progbits,_ZN7rocprim17ROCPRIM_400000_NS6detail17trampoline_kernelINS0_14default_configENS1_20scan_config_selectorIyEEZZNS1_9scan_implILNS1_25lookback_scan_determinismE0ELb0ELb0ES3_N6thrust23THRUST_200600_302600_NS6detail15normal_iteratorINS9_10device_ptrIyEEEESE_yNS9_4plusIvEEyEEDaPvRmT3_T4_T5_mT6_P12ihipStream_tbENKUlT_T0_E_clISt17integral_constantIbLb1EESU_EEDaSP_SQ_EUlSP_E0_NS1_11comp_targetILNS1_3genE10ELNS1_11target_archE1200ELNS1_3gpuE4ELNS1_3repE0EEENS1_30default_config_static_selectorELNS0_4arch9wavefront6targetE1EEEvT1_,comdat
.Lfunc_end4463:
	.size	_ZN7rocprim17ROCPRIM_400000_NS6detail17trampoline_kernelINS0_14default_configENS1_20scan_config_selectorIyEEZZNS1_9scan_implILNS1_25lookback_scan_determinismE0ELb0ELb0ES3_N6thrust23THRUST_200600_302600_NS6detail15normal_iteratorINS9_10device_ptrIyEEEESE_yNS9_4plusIvEEyEEDaPvRmT3_T4_T5_mT6_P12ihipStream_tbENKUlT_T0_E_clISt17integral_constantIbLb1EESU_EEDaSP_SQ_EUlSP_E0_NS1_11comp_targetILNS1_3genE10ELNS1_11target_archE1200ELNS1_3gpuE4ELNS1_3repE0EEENS1_30default_config_static_selectorELNS0_4arch9wavefront6targetE1EEEvT1_, .Lfunc_end4463-_ZN7rocprim17ROCPRIM_400000_NS6detail17trampoline_kernelINS0_14default_configENS1_20scan_config_selectorIyEEZZNS1_9scan_implILNS1_25lookback_scan_determinismE0ELb0ELb0ES3_N6thrust23THRUST_200600_302600_NS6detail15normal_iteratorINS9_10device_ptrIyEEEESE_yNS9_4plusIvEEyEEDaPvRmT3_T4_T5_mT6_P12ihipStream_tbENKUlT_T0_E_clISt17integral_constantIbLb1EESU_EEDaSP_SQ_EUlSP_E0_NS1_11comp_targetILNS1_3genE10ELNS1_11target_archE1200ELNS1_3gpuE4ELNS1_3repE0EEENS1_30default_config_static_selectorELNS0_4arch9wavefront6targetE1EEEvT1_
                                        ; -- End function
	.section	.AMDGPU.csdata,"",@progbits
; Kernel info:
; codeLenInByte = 0
; NumSgprs: 4
; NumVgprs: 0
; NumAgprs: 0
; TotalNumVgprs: 0
; ScratchSize: 0
; MemoryBound: 0
; FloatMode: 240
; IeeeMode: 1
; LDSByteSize: 0 bytes/workgroup (compile time only)
; SGPRBlocks: 0
; VGPRBlocks: 0
; NumSGPRsForWavesPerEU: 4
; NumVGPRsForWavesPerEU: 1
; AccumOffset: 4
; Occupancy: 8
; WaveLimiterHint : 0
; COMPUTE_PGM_RSRC2:SCRATCH_EN: 0
; COMPUTE_PGM_RSRC2:USER_SGPR: 6
; COMPUTE_PGM_RSRC2:TRAP_HANDLER: 0
; COMPUTE_PGM_RSRC2:TGID_X_EN: 1
; COMPUTE_PGM_RSRC2:TGID_Y_EN: 0
; COMPUTE_PGM_RSRC2:TGID_Z_EN: 0
; COMPUTE_PGM_RSRC2:TIDIG_COMP_CNT: 0
; COMPUTE_PGM_RSRC3_GFX90A:ACCUM_OFFSET: 0
; COMPUTE_PGM_RSRC3_GFX90A:TG_SPLIT: 0
	.section	.text._ZN7rocprim17ROCPRIM_400000_NS6detail17trampoline_kernelINS0_14default_configENS1_20scan_config_selectorIyEEZZNS1_9scan_implILNS1_25lookback_scan_determinismE0ELb0ELb0ES3_N6thrust23THRUST_200600_302600_NS6detail15normal_iteratorINS9_10device_ptrIyEEEESE_yNS9_4plusIvEEyEEDaPvRmT3_T4_T5_mT6_P12ihipStream_tbENKUlT_T0_E_clISt17integral_constantIbLb1EESU_EEDaSP_SQ_EUlSP_E0_NS1_11comp_targetILNS1_3genE9ELNS1_11target_archE1100ELNS1_3gpuE3ELNS1_3repE0EEENS1_30default_config_static_selectorELNS0_4arch9wavefront6targetE1EEEvT1_,"axG",@progbits,_ZN7rocprim17ROCPRIM_400000_NS6detail17trampoline_kernelINS0_14default_configENS1_20scan_config_selectorIyEEZZNS1_9scan_implILNS1_25lookback_scan_determinismE0ELb0ELb0ES3_N6thrust23THRUST_200600_302600_NS6detail15normal_iteratorINS9_10device_ptrIyEEEESE_yNS9_4plusIvEEyEEDaPvRmT3_T4_T5_mT6_P12ihipStream_tbENKUlT_T0_E_clISt17integral_constantIbLb1EESU_EEDaSP_SQ_EUlSP_E0_NS1_11comp_targetILNS1_3genE9ELNS1_11target_archE1100ELNS1_3gpuE3ELNS1_3repE0EEENS1_30default_config_static_selectorELNS0_4arch9wavefront6targetE1EEEvT1_,comdat
	.protected	_ZN7rocprim17ROCPRIM_400000_NS6detail17trampoline_kernelINS0_14default_configENS1_20scan_config_selectorIyEEZZNS1_9scan_implILNS1_25lookback_scan_determinismE0ELb0ELb0ES3_N6thrust23THRUST_200600_302600_NS6detail15normal_iteratorINS9_10device_ptrIyEEEESE_yNS9_4plusIvEEyEEDaPvRmT3_T4_T5_mT6_P12ihipStream_tbENKUlT_T0_E_clISt17integral_constantIbLb1EESU_EEDaSP_SQ_EUlSP_E0_NS1_11comp_targetILNS1_3genE9ELNS1_11target_archE1100ELNS1_3gpuE3ELNS1_3repE0EEENS1_30default_config_static_selectorELNS0_4arch9wavefront6targetE1EEEvT1_ ; -- Begin function _ZN7rocprim17ROCPRIM_400000_NS6detail17trampoline_kernelINS0_14default_configENS1_20scan_config_selectorIyEEZZNS1_9scan_implILNS1_25lookback_scan_determinismE0ELb0ELb0ES3_N6thrust23THRUST_200600_302600_NS6detail15normal_iteratorINS9_10device_ptrIyEEEESE_yNS9_4plusIvEEyEEDaPvRmT3_T4_T5_mT6_P12ihipStream_tbENKUlT_T0_E_clISt17integral_constantIbLb1EESU_EEDaSP_SQ_EUlSP_E0_NS1_11comp_targetILNS1_3genE9ELNS1_11target_archE1100ELNS1_3gpuE3ELNS1_3repE0EEENS1_30default_config_static_selectorELNS0_4arch9wavefront6targetE1EEEvT1_
	.globl	_ZN7rocprim17ROCPRIM_400000_NS6detail17trampoline_kernelINS0_14default_configENS1_20scan_config_selectorIyEEZZNS1_9scan_implILNS1_25lookback_scan_determinismE0ELb0ELb0ES3_N6thrust23THRUST_200600_302600_NS6detail15normal_iteratorINS9_10device_ptrIyEEEESE_yNS9_4plusIvEEyEEDaPvRmT3_T4_T5_mT6_P12ihipStream_tbENKUlT_T0_E_clISt17integral_constantIbLb1EESU_EEDaSP_SQ_EUlSP_E0_NS1_11comp_targetILNS1_3genE9ELNS1_11target_archE1100ELNS1_3gpuE3ELNS1_3repE0EEENS1_30default_config_static_selectorELNS0_4arch9wavefront6targetE1EEEvT1_
	.p2align	8
	.type	_ZN7rocprim17ROCPRIM_400000_NS6detail17trampoline_kernelINS0_14default_configENS1_20scan_config_selectorIyEEZZNS1_9scan_implILNS1_25lookback_scan_determinismE0ELb0ELb0ES3_N6thrust23THRUST_200600_302600_NS6detail15normal_iteratorINS9_10device_ptrIyEEEESE_yNS9_4plusIvEEyEEDaPvRmT3_T4_T5_mT6_P12ihipStream_tbENKUlT_T0_E_clISt17integral_constantIbLb1EESU_EEDaSP_SQ_EUlSP_E0_NS1_11comp_targetILNS1_3genE9ELNS1_11target_archE1100ELNS1_3gpuE3ELNS1_3repE0EEENS1_30default_config_static_selectorELNS0_4arch9wavefront6targetE1EEEvT1_,@function
_ZN7rocprim17ROCPRIM_400000_NS6detail17trampoline_kernelINS0_14default_configENS1_20scan_config_selectorIyEEZZNS1_9scan_implILNS1_25lookback_scan_determinismE0ELb0ELb0ES3_N6thrust23THRUST_200600_302600_NS6detail15normal_iteratorINS9_10device_ptrIyEEEESE_yNS9_4plusIvEEyEEDaPvRmT3_T4_T5_mT6_P12ihipStream_tbENKUlT_T0_E_clISt17integral_constantIbLb1EESU_EEDaSP_SQ_EUlSP_E0_NS1_11comp_targetILNS1_3genE9ELNS1_11target_archE1100ELNS1_3gpuE3ELNS1_3repE0EEENS1_30default_config_static_selectorELNS0_4arch9wavefront6targetE1EEEvT1_: ; @_ZN7rocprim17ROCPRIM_400000_NS6detail17trampoline_kernelINS0_14default_configENS1_20scan_config_selectorIyEEZZNS1_9scan_implILNS1_25lookback_scan_determinismE0ELb0ELb0ES3_N6thrust23THRUST_200600_302600_NS6detail15normal_iteratorINS9_10device_ptrIyEEEESE_yNS9_4plusIvEEyEEDaPvRmT3_T4_T5_mT6_P12ihipStream_tbENKUlT_T0_E_clISt17integral_constantIbLb1EESU_EEDaSP_SQ_EUlSP_E0_NS1_11comp_targetILNS1_3genE9ELNS1_11target_archE1100ELNS1_3gpuE3ELNS1_3repE0EEENS1_30default_config_static_selectorELNS0_4arch9wavefront6targetE1EEEvT1_
; %bb.0:
	.section	.rodata,"a",@progbits
	.p2align	6, 0x0
	.amdhsa_kernel _ZN7rocprim17ROCPRIM_400000_NS6detail17trampoline_kernelINS0_14default_configENS1_20scan_config_selectorIyEEZZNS1_9scan_implILNS1_25lookback_scan_determinismE0ELb0ELb0ES3_N6thrust23THRUST_200600_302600_NS6detail15normal_iteratorINS9_10device_ptrIyEEEESE_yNS9_4plusIvEEyEEDaPvRmT3_T4_T5_mT6_P12ihipStream_tbENKUlT_T0_E_clISt17integral_constantIbLb1EESU_EEDaSP_SQ_EUlSP_E0_NS1_11comp_targetILNS1_3genE9ELNS1_11target_archE1100ELNS1_3gpuE3ELNS1_3repE0EEENS1_30default_config_static_selectorELNS0_4arch9wavefront6targetE1EEEvT1_
		.amdhsa_group_segment_fixed_size 0
		.amdhsa_private_segment_fixed_size 0
		.amdhsa_kernarg_size 40
		.amdhsa_user_sgpr_count 6
		.amdhsa_user_sgpr_private_segment_buffer 1
		.amdhsa_user_sgpr_dispatch_ptr 0
		.amdhsa_user_sgpr_queue_ptr 0
		.amdhsa_user_sgpr_kernarg_segment_ptr 1
		.amdhsa_user_sgpr_dispatch_id 0
		.amdhsa_user_sgpr_flat_scratch_init 0
		.amdhsa_user_sgpr_kernarg_preload_length 0
		.amdhsa_user_sgpr_kernarg_preload_offset 0
		.amdhsa_user_sgpr_private_segment_size 0
		.amdhsa_uses_dynamic_stack 0
		.amdhsa_system_sgpr_private_segment_wavefront_offset 0
		.amdhsa_system_sgpr_workgroup_id_x 1
		.amdhsa_system_sgpr_workgroup_id_y 0
		.amdhsa_system_sgpr_workgroup_id_z 0
		.amdhsa_system_sgpr_workgroup_info 0
		.amdhsa_system_vgpr_workitem_id 0
		.amdhsa_next_free_vgpr 1
		.amdhsa_next_free_sgpr 0
		.amdhsa_accum_offset 4
		.amdhsa_reserve_vcc 0
		.amdhsa_reserve_flat_scratch 0
		.amdhsa_float_round_mode_32 0
		.amdhsa_float_round_mode_16_64 0
		.amdhsa_float_denorm_mode_32 3
		.amdhsa_float_denorm_mode_16_64 3
		.amdhsa_dx10_clamp 1
		.amdhsa_ieee_mode 1
		.amdhsa_fp16_overflow 0
		.amdhsa_tg_split 0
		.amdhsa_exception_fp_ieee_invalid_op 0
		.amdhsa_exception_fp_denorm_src 0
		.amdhsa_exception_fp_ieee_div_zero 0
		.amdhsa_exception_fp_ieee_overflow 0
		.amdhsa_exception_fp_ieee_underflow 0
		.amdhsa_exception_fp_ieee_inexact 0
		.amdhsa_exception_int_div_zero 0
	.end_amdhsa_kernel
	.section	.text._ZN7rocprim17ROCPRIM_400000_NS6detail17trampoline_kernelINS0_14default_configENS1_20scan_config_selectorIyEEZZNS1_9scan_implILNS1_25lookback_scan_determinismE0ELb0ELb0ES3_N6thrust23THRUST_200600_302600_NS6detail15normal_iteratorINS9_10device_ptrIyEEEESE_yNS9_4plusIvEEyEEDaPvRmT3_T4_T5_mT6_P12ihipStream_tbENKUlT_T0_E_clISt17integral_constantIbLb1EESU_EEDaSP_SQ_EUlSP_E0_NS1_11comp_targetILNS1_3genE9ELNS1_11target_archE1100ELNS1_3gpuE3ELNS1_3repE0EEENS1_30default_config_static_selectorELNS0_4arch9wavefront6targetE1EEEvT1_,"axG",@progbits,_ZN7rocprim17ROCPRIM_400000_NS6detail17trampoline_kernelINS0_14default_configENS1_20scan_config_selectorIyEEZZNS1_9scan_implILNS1_25lookback_scan_determinismE0ELb0ELb0ES3_N6thrust23THRUST_200600_302600_NS6detail15normal_iteratorINS9_10device_ptrIyEEEESE_yNS9_4plusIvEEyEEDaPvRmT3_T4_T5_mT6_P12ihipStream_tbENKUlT_T0_E_clISt17integral_constantIbLb1EESU_EEDaSP_SQ_EUlSP_E0_NS1_11comp_targetILNS1_3genE9ELNS1_11target_archE1100ELNS1_3gpuE3ELNS1_3repE0EEENS1_30default_config_static_selectorELNS0_4arch9wavefront6targetE1EEEvT1_,comdat
.Lfunc_end4464:
	.size	_ZN7rocprim17ROCPRIM_400000_NS6detail17trampoline_kernelINS0_14default_configENS1_20scan_config_selectorIyEEZZNS1_9scan_implILNS1_25lookback_scan_determinismE0ELb0ELb0ES3_N6thrust23THRUST_200600_302600_NS6detail15normal_iteratorINS9_10device_ptrIyEEEESE_yNS9_4plusIvEEyEEDaPvRmT3_T4_T5_mT6_P12ihipStream_tbENKUlT_T0_E_clISt17integral_constantIbLb1EESU_EEDaSP_SQ_EUlSP_E0_NS1_11comp_targetILNS1_3genE9ELNS1_11target_archE1100ELNS1_3gpuE3ELNS1_3repE0EEENS1_30default_config_static_selectorELNS0_4arch9wavefront6targetE1EEEvT1_, .Lfunc_end4464-_ZN7rocprim17ROCPRIM_400000_NS6detail17trampoline_kernelINS0_14default_configENS1_20scan_config_selectorIyEEZZNS1_9scan_implILNS1_25lookback_scan_determinismE0ELb0ELb0ES3_N6thrust23THRUST_200600_302600_NS6detail15normal_iteratorINS9_10device_ptrIyEEEESE_yNS9_4plusIvEEyEEDaPvRmT3_T4_T5_mT6_P12ihipStream_tbENKUlT_T0_E_clISt17integral_constantIbLb1EESU_EEDaSP_SQ_EUlSP_E0_NS1_11comp_targetILNS1_3genE9ELNS1_11target_archE1100ELNS1_3gpuE3ELNS1_3repE0EEENS1_30default_config_static_selectorELNS0_4arch9wavefront6targetE1EEEvT1_
                                        ; -- End function
	.section	.AMDGPU.csdata,"",@progbits
; Kernel info:
; codeLenInByte = 0
; NumSgprs: 4
; NumVgprs: 0
; NumAgprs: 0
; TotalNumVgprs: 0
; ScratchSize: 0
; MemoryBound: 0
; FloatMode: 240
; IeeeMode: 1
; LDSByteSize: 0 bytes/workgroup (compile time only)
; SGPRBlocks: 0
; VGPRBlocks: 0
; NumSGPRsForWavesPerEU: 4
; NumVGPRsForWavesPerEU: 1
; AccumOffset: 4
; Occupancy: 8
; WaveLimiterHint : 0
; COMPUTE_PGM_RSRC2:SCRATCH_EN: 0
; COMPUTE_PGM_RSRC2:USER_SGPR: 6
; COMPUTE_PGM_RSRC2:TRAP_HANDLER: 0
; COMPUTE_PGM_RSRC2:TGID_X_EN: 1
; COMPUTE_PGM_RSRC2:TGID_Y_EN: 0
; COMPUTE_PGM_RSRC2:TGID_Z_EN: 0
; COMPUTE_PGM_RSRC2:TIDIG_COMP_CNT: 0
; COMPUTE_PGM_RSRC3_GFX90A:ACCUM_OFFSET: 0
; COMPUTE_PGM_RSRC3_GFX90A:TG_SPLIT: 0
	.section	.text._ZN7rocprim17ROCPRIM_400000_NS6detail17trampoline_kernelINS0_14default_configENS1_20scan_config_selectorIyEEZZNS1_9scan_implILNS1_25lookback_scan_determinismE0ELb0ELb0ES3_N6thrust23THRUST_200600_302600_NS6detail15normal_iteratorINS9_10device_ptrIyEEEESE_yNS9_4plusIvEEyEEDaPvRmT3_T4_T5_mT6_P12ihipStream_tbENKUlT_T0_E_clISt17integral_constantIbLb1EESU_EEDaSP_SQ_EUlSP_E0_NS1_11comp_targetILNS1_3genE8ELNS1_11target_archE1030ELNS1_3gpuE2ELNS1_3repE0EEENS1_30default_config_static_selectorELNS0_4arch9wavefront6targetE1EEEvT1_,"axG",@progbits,_ZN7rocprim17ROCPRIM_400000_NS6detail17trampoline_kernelINS0_14default_configENS1_20scan_config_selectorIyEEZZNS1_9scan_implILNS1_25lookback_scan_determinismE0ELb0ELb0ES3_N6thrust23THRUST_200600_302600_NS6detail15normal_iteratorINS9_10device_ptrIyEEEESE_yNS9_4plusIvEEyEEDaPvRmT3_T4_T5_mT6_P12ihipStream_tbENKUlT_T0_E_clISt17integral_constantIbLb1EESU_EEDaSP_SQ_EUlSP_E0_NS1_11comp_targetILNS1_3genE8ELNS1_11target_archE1030ELNS1_3gpuE2ELNS1_3repE0EEENS1_30default_config_static_selectorELNS0_4arch9wavefront6targetE1EEEvT1_,comdat
	.protected	_ZN7rocprim17ROCPRIM_400000_NS6detail17trampoline_kernelINS0_14default_configENS1_20scan_config_selectorIyEEZZNS1_9scan_implILNS1_25lookback_scan_determinismE0ELb0ELb0ES3_N6thrust23THRUST_200600_302600_NS6detail15normal_iteratorINS9_10device_ptrIyEEEESE_yNS9_4plusIvEEyEEDaPvRmT3_T4_T5_mT6_P12ihipStream_tbENKUlT_T0_E_clISt17integral_constantIbLb1EESU_EEDaSP_SQ_EUlSP_E0_NS1_11comp_targetILNS1_3genE8ELNS1_11target_archE1030ELNS1_3gpuE2ELNS1_3repE0EEENS1_30default_config_static_selectorELNS0_4arch9wavefront6targetE1EEEvT1_ ; -- Begin function _ZN7rocprim17ROCPRIM_400000_NS6detail17trampoline_kernelINS0_14default_configENS1_20scan_config_selectorIyEEZZNS1_9scan_implILNS1_25lookback_scan_determinismE0ELb0ELb0ES3_N6thrust23THRUST_200600_302600_NS6detail15normal_iteratorINS9_10device_ptrIyEEEESE_yNS9_4plusIvEEyEEDaPvRmT3_T4_T5_mT6_P12ihipStream_tbENKUlT_T0_E_clISt17integral_constantIbLb1EESU_EEDaSP_SQ_EUlSP_E0_NS1_11comp_targetILNS1_3genE8ELNS1_11target_archE1030ELNS1_3gpuE2ELNS1_3repE0EEENS1_30default_config_static_selectorELNS0_4arch9wavefront6targetE1EEEvT1_
	.globl	_ZN7rocprim17ROCPRIM_400000_NS6detail17trampoline_kernelINS0_14default_configENS1_20scan_config_selectorIyEEZZNS1_9scan_implILNS1_25lookback_scan_determinismE0ELb0ELb0ES3_N6thrust23THRUST_200600_302600_NS6detail15normal_iteratorINS9_10device_ptrIyEEEESE_yNS9_4plusIvEEyEEDaPvRmT3_T4_T5_mT6_P12ihipStream_tbENKUlT_T0_E_clISt17integral_constantIbLb1EESU_EEDaSP_SQ_EUlSP_E0_NS1_11comp_targetILNS1_3genE8ELNS1_11target_archE1030ELNS1_3gpuE2ELNS1_3repE0EEENS1_30default_config_static_selectorELNS0_4arch9wavefront6targetE1EEEvT1_
	.p2align	8
	.type	_ZN7rocprim17ROCPRIM_400000_NS6detail17trampoline_kernelINS0_14default_configENS1_20scan_config_selectorIyEEZZNS1_9scan_implILNS1_25lookback_scan_determinismE0ELb0ELb0ES3_N6thrust23THRUST_200600_302600_NS6detail15normal_iteratorINS9_10device_ptrIyEEEESE_yNS9_4plusIvEEyEEDaPvRmT3_T4_T5_mT6_P12ihipStream_tbENKUlT_T0_E_clISt17integral_constantIbLb1EESU_EEDaSP_SQ_EUlSP_E0_NS1_11comp_targetILNS1_3genE8ELNS1_11target_archE1030ELNS1_3gpuE2ELNS1_3repE0EEENS1_30default_config_static_selectorELNS0_4arch9wavefront6targetE1EEEvT1_,@function
_ZN7rocprim17ROCPRIM_400000_NS6detail17trampoline_kernelINS0_14default_configENS1_20scan_config_selectorIyEEZZNS1_9scan_implILNS1_25lookback_scan_determinismE0ELb0ELb0ES3_N6thrust23THRUST_200600_302600_NS6detail15normal_iteratorINS9_10device_ptrIyEEEESE_yNS9_4plusIvEEyEEDaPvRmT3_T4_T5_mT6_P12ihipStream_tbENKUlT_T0_E_clISt17integral_constantIbLb1EESU_EEDaSP_SQ_EUlSP_E0_NS1_11comp_targetILNS1_3genE8ELNS1_11target_archE1030ELNS1_3gpuE2ELNS1_3repE0EEENS1_30default_config_static_selectorELNS0_4arch9wavefront6targetE1EEEvT1_: ; @_ZN7rocprim17ROCPRIM_400000_NS6detail17trampoline_kernelINS0_14default_configENS1_20scan_config_selectorIyEEZZNS1_9scan_implILNS1_25lookback_scan_determinismE0ELb0ELb0ES3_N6thrust23THRUST_200600_302600_NS6detail15normal_iteratorINS9_10device_ptrIyEEEESE_yNS9_4plusIvEEyEEDaPvRmT3_T4_T5_mT6_P12ihipStream_tbENKUlT_T0_E_clISt17integral_constantIbLb1EESU_EEDaSP_SQ_EUlSP_E0_NS1_11comp_targetILNS1_3genE8ELNS1_11target_archE1030ELNS1_3gpuE2ELNS1_3repE0EEENS1_30default_config_static_selectorELNS0_4arch9wavefront6targetE1EEEvT1_
; %bb.0:
	.section	.rodata,"a",@progbits
	.p2align	6, 0x0
	.amdhsa_kernel _ZN7rocprim17ROCPRIM_400000_NS6detail17trampoline_kernelINS0_14default_configENS1_20scan_config_selectorIyEEZZNS1_9scan_implILNS1_25lookback_scan_determinismE0ELb0ELb0ES3_N6thrust23THRUST_200600_302600_NS6detail15normal_iteratorINS9_10device_ptrIyEEEESE_yNS9_4plusIvEEyEEDaPvRmT3_T4_T5_mT6_P12ihipStream_tbENKUlT_T0_E_clISt17integral_constantIbLb1EESU_EEDaSP_SQ_EUlSP_E0_NS1_11comp_targetILNS1_3genE8ELNS1_11target_archE1030ELNS1_3gpuE2ELNS1_3repE0EEENS1_30default_config_static_selectorELNS0_4arch9wavefront6targetE1EEEvT1_
		.amdhsa_group_segment_fixed_size 0
		.amdhsa_private_segment_fixed_size 0
		.amdhsa_kernarg_size 40
		.amdhsa_user_sgpr_count 6
		.amdhsa_user_sgpr_private_segment_buffer 1
		.amdhsa_user_sgpr_dispatch_ptr 0
		.amdhsa_user_sgpr_queue_ptr 0
		.amdhsa_user_sgpr_kernarg_segment_ptr 1
		.amdhsa_user_sgpr_dispatch_id 0
		.amdhsa_user_sgpr_flat_scratch_init 0
		.amdhsa_user_sgpr_kernarg_preload_length 0
		.amdhsa_user_sgpr_kernarg_preload_offset 0
		.amdhsa_user_sgpr_private_segment_size 0
		.amdhsa_uses_dynamic_stack 0
		.amdhsa_system_sgpr_private_segment_wavefront_offset 0
		.amdhsa_system_sgpr_workgroup_id_x 1
		.amdhsa_system_sgpr_workgroup_id_y 0
		.amdhsa_system_sgpr_workgroup_id_z 0
		.amdhsa_system_sgpr_workgroup_info 0
		.amdhsa_system_vgpr_workitem_id 0
		.amdhsa_next_free_vgpr 1
		.amdhsa_next_free_sgpr 0
		.amdhsa_accum_offset 4
		.amdhsa_reserve_vcc 0
		.amdhsa_reserve_flat_scratch 0
		.amdhsa_float_round_mode_32 0
		.amdhsa_float_round_mode_16_64 0
		.amdhsa_float_denorm_mode_32 3
		.amdhsa_float_denorm_mode_16_64 3
		.amdhsa_dx10_clamp 1
		.amdhsa_ieee_mode 1
		.amdhsa_fp16_overflow 0
		.amdhsa_tg_split 0
		.amdhsa_exception_fp_ieee_invalid_op 0
		.amdhsa_exception_fp_denorm_src 0
		.amdhsa_exception_fp_ieee_div_zero 0
		.amdhsa_exception_fp_ieee_overflow 0
		.amdhsa_exception_fp_ieee_underflow 0
		.amdhsa_exception_fp_ieee_inexact 0
		.amdhsa_exception_int_div_zero 0
	.end_amdhsa_kernel
	.section	.text._ZN7rocprim17ROCPRIM_400000_NS6detail17trampoline_kernelINS0_14default_configENS1_20scan_config_selectorIyEEZZNS1_9scan_implILNS1_25lookback_scan_determinismE0ELb0ELb0ES3_N6thrust23THRUST_200600_302600_NS6detail15normal_iteratorINS9_10device_ptrIyEEEESE_yNS9_4plusIvEEyEEDaPvRmT3_T4_T5_mT6_P12ihipStream_tbENKUlT_T0_E_clISt17integral_constantIbLb1EESU_EEDaSP_SQ_EUlSP_E0_NS1_11comp_targetILNS1_3genE8ELNS1_11target_archE1030ELNS1_3gpuE2ELNS1_3repE0EEENS1_30default_config_static_selectorELNS0_4arch9wavefront6targetE1EEEvT1_,"axG",@progbits,_ZN7rocprim17ROCPRIM_400000_NS6detail17trampoline_kernelINS0_14default_configENS1_20scan_config_selectorIyEEZZNS1_9scan_implILNS1_25lookback_scan_determinismE0ELb0ELb0ES3_N6thrust23THRUST_200600_302600_NS6detail15normal_iteratorINS9_10device_ptrIyEEEESE_yNS9_4plusIvEEyEEDaPvRmT3_T4_T5_mT6_P12ihipStream_tbENKUlT_T0_E_clISt17integral_constantIbLb1EESU_EEDaSP_SQ_EUlSP_E0_NS1_11comp_targetILNS1_3genE8ELNS1_11target_archE1030ELNS1_3gpuE2ELNS1_3repE0EEENS1_30default_config_static_selectorELNS0_4arch9wavefront6targetE1EEEvT1_,comdat
.Lfunc_end4465:
	.size	_ZN7rocprim17ROCPRIM_400000_NS6detail17trampoline_kernelINS0_14default_configENS1_20scan_config_selectorIyEEZZNS1_9scan_implILNS1_25lookback_scan_determinismE0ELb0ELb0ES3_N6thrust23THRUST_200600_302600_NS6detail15normal_iteratorINS9_10device_ptrIyEEEESE_yNS9_4plusIvEEyEEDaPvRmT3_T4_T5_mT6_P12ihipStream_tbENKUlT_T0_E_clISt17integral_constantIbLb1EESU_EEDaSP_SQ_EUlSP_E0_NS1_11comp_targetILNS1_3genE8ELNS1_11target_archE1030ELNS1_3gpuE2ELNS1_3repE0EEENS1_30default_config_static_selectorELNS0_4arch9wavefront6targetE1EEEvT1_, .Lfunc_end4465-_ZN7rocprim17ROCPRIM_400000_NS6detail17trampoline_kernelINS0_14default_configENS1_20scan_config_selectorIyEEZZNS1_9scan_implILNS1_25lookback_scan_determinismE0ELb0ELb0ES3_N6thrust23THRUST_200600_302600_NS6detail15normal_iteratorINS9_10device_ptrIyEEEESE_yNS9_4plusIvEEyEEDaPvRmT3_T4_T5_mT6_P12ihipStream_tbENKUlT_T0_E_clISt17integral_constantIbLb1EESU_EEDaSP_SQ_EUlSP_E0_NS1_11comp_targetILNS1_3genE8ELNS1_11target_archE1030ELNS1_3gpuE2ELNS1_3repE0EEENS1_30default_config_static_selectorELNS0_4arch9wavefront6targetE1EEEvT1_
                                        ; -- End function
	.section	.AMDGPU.csdata,"",@progbits
; Kernel info:
; codeLenInByte = 0
; NumSgprs: 4
; NumVgprs: 0
; NumAgprs: 0
; TotalNumVgprs: 0
; ScratchSize: 0
; MemoryBound: 0
; FloatMode: 240
; IeeeMode: 1
; LDSByteSize: 0 bytes/workgroup (compile time only)
; SGPRBlocks: 0
; VGPRBlocks: 0
; NumSGPRsForWavesPerEU: 4
; NumVGPRsForWavesPerEU: 1
; AccumOffset: 4
; Occupancy: 8
; WaveLimiterHint : 0
; COMPUTE_PGM_RSRC2:SCRATCH_EN: 0
; COMPUTE_PGM_RSRC2:USER_SGPR: 6
; COMPUTE_PGM_RSRC2:TRAP_HANDLER: 0
; COMPUTE_PGM_RSRC2:TGID_X_EN: 1
; COMPUTE_PGM_RSRC2:TGID_Y_EN: 0
; COMPUTE_PGM_RSRC2:TGID_Z_EN: 0
; COMPUTE_PGM_RSRC2:TIDIG_COMP_CNT: 0
; COMPUTE_PGM_RSRC3_GFX90A:ACCUM_OFFSET: 0
; COMPUTE_PGM_RSRC3_GFX90A:TG_SPLIT: 0
	.section	.text._ZN7rocprim17ROCPRIM_400000_NS6detail17trampoline_kernelINS0_14default_configENS1_20scan_config_selectorIyEEZZNS1_9scan_implILNS1_25lookback_scan_determinismE0ELb0ELb0ES3_N6thrust23THRUST_200600_302600_NS6detail15normal_iteratorINS9_10device_ptrIyEEEESE_yNS9_4plusIvEEyEEDaPvRmT3_T4_T5_mT6_P12ihipStream_tbENKUlT_T0_E_clISt17integral_constantIbLb1EEST_IbLb0EEEEDaSP_SQ_EUlSP_E_NS1_11comp_targetILNS1_3genE0ELNS1_11target_archE4294967295ELNS1_3gpuE0ELNS1_3repE0EEENS1_30default_config_static_selectorELNS0_4arch9wavefront6targetE1EEEvT1_,"axG",@progbits,_ZN7rocprim17ROCPRIM_400000_NS6detail17trampoline_kernelINS0_14default_configENS1_20scan_config_selectorIyEEZZNS1_9scan_implILNS1_25lookback_scan_determinismE0ELb0ELb0ES3_N6thrust23THRUST_200600_302600_NS6detail15normal_iteratorINS9_10device_ptrIyEEEESE_yNS9_4plusIvEEyEEDaPvRmT3_T4_T5_mT6_P12ihipStream_tbENKUlT_T0_E_clISt17integral_constantIbLb1EEST_IbLb0EEEEDaSP_SQ_EUlSP_E_NS1_11comp_targetILNS1_3genE0ELNS1_11target_archE4294967295ELNS1_3gpuE0ELNS1_3repE0EEENS1_30default_config_static_selectorELNS0_4arch9wavefront6targetE1EEEvT1_,comdat
	.protected	_ZN7rocprim17ROCPRIM_400000_NS6detail17trampoline_kernelINS0_14default_configENS1_20scan_config_selectorIyEEZZNS1_9scan_implILNS1_25lookback_scan_determinismE0ELb0ELb0ES3_N6thrust23THRUST_200600_302600_NS6detail15normal_iteratorINS9_10device_ptrIyEEEESE_yNS9_4plusIvEEyEEDaPvRmT3_T4_T5_mT6_P12ihipStream_tbENKUlT_T0_E_clISt17integral_constantIbLb1EEST_IbLb0EEEEDaSP_SQ_EUlSP_E_NS1_11comp_targetILNS1_3genE0ELNS1_11target_archE4294967295ELNS1_3gpuE0ELNS1_3repE0EEENS1_30default_config_static_selectorELNS0_4arch9wavefront6targetE1EEEvT1_ ; -- Begin function _ZN7rocprim17ROCPRIM_400000_NS6detail17trampoline_kernelINS0_14default_configENS1_20scan_config_selectorIyEEZZNS1_9scan_implILNS1_25lookback_scan_determinismE0ELb0ELb0ES3_N6thrust23THRUST_200600_302600_NS6detail15normal_iteratorINS9_10device_ptrIyEEEESE_yNS9_4plusIvEEyEEDaPvRmT3_T4_T5_mT6_P12ihipStream_tbENKUlT_T0_E_clISt17integral_constantIbLb1EEST_IbLb0EEEEDaSP_SQ_EUlSP_E_NS1_11comp_targetILNS1_3genE0ELNS1_11target_archE4294967295ELNS1_3gpuE0ELNS1_3repE0EEENS1_30default_config_static_selectorELNS0_4arch9wavefront6targetE1EEEvT1_
	.globl	_ZN7rocprim17ROCPRIM_400000_NS6detail17trampoline_kernelINS0_14default_configENS1_20scan_config_selectorIyEEZZNS1_9scan_implILNS1_25lookback_scan_determinismE0ELb0ELb0ES3_N6thrust23THRUST_200600_302600_NS6detail15normal_iteratorINS9_10device_ptrIyEEEESE_yNS9_4plusIvEEyEEDaPvRmT3_T4_T5_mT6_P12ihipStream_tbENKUlT_T0_E_clISt17integral_constantIbLb1EEST_IbLb0EEEEDaSP_SQ_EUlSP_E_NS1_11comp_targetILNS1_3genE0ELNS1_11target_archE4294967295ELNS1_3gpuE0ELNS1_3repE0EEENS1_30default_config_static_selectorELNS0_4arch9wavefront6targetE1EEEvT1_
	.p2align	8
	.type	_ZN7rocprim17ROCPRIM_400000_NS6detail17trampoline_kernelINS0_14default_configENS1_20scan_config_selectorIyEEZZNS1_9scan_implILNS1_25lookback_scan_determinismE0ELb0ELb0ES3_N6thrust23THRUST_200600_302600_NS6detail15normal_iteratorINS9_10device_ptrIyEEEESE_yNS9_4plusIvEEyEEDaPvRmT3_T4_T5_mT6_P12ihipStream_tbENKUlT_T0_E_clISt17integral_constantIbLb1EEST_IbLb0EEEEDaSP_SQ_EUlSP_E_NS1_11comp_targetILNS1_3genE0ELNS1_11target_archE4294967295ELNS1_3gpuE0ELNS1_3repE0EEENS1_30default_config_static_selectorELNS0_4arch9wavefront6targetE1EEEvT1_,@function
_ZN7rocprim17ROCPRIM_400000_NS6detail17trampoline_kernelINS0_14default_configENS1_20scan_config_selectorIyEEZZNS1_9scan_implILNS1_25lookback_scan_determinismE0ELb0ELb0ES3_N6thrust23THRUST_200600_302600_NS6detail15normal_iteratorINS9_10device_ptrIyEEEESE_yNS9_4plusIvEEyEEDaPvRmT3_T4_T5_mT6_P12ihipStream_tbENKUlT_T0_E_clISt17integral_constantIbLb1EEST_IbLb0EEEEDaSP_SQ_EUlSP_E_NS1_11comp_targetILNS1_3genE0ELNS1_11target_archE4294967295ELNS1_3gpuE0ELNS1_3repE0EEENS1_30default_config_static_selectorELNS0_4arch9wavefront6targetE1EEEvT1_: ; @_ZN7rocprim17ROCPRIM_400000_NS6detail17trampoline_kernelINS0_14default_configENS1_20scan_config_selectorIyEEZZNS1_9scan_implILNS1_25lookback_scan_determinismE0ELb0ELb0ES3_N6thrust23THRUST_200600_302600_NS6detail15normal_iteratorINS9_10device_ptrIyEEEESE_yNS9_4plusIvEEyEEDaPvRmT3_T4_T5_mT6_P12ihipStream_tbENKUlT_T0_E_clISt17integral_constantIbLb1EEST_IbLb0EEEEDaSP_SQ_EUlSP_E_NS1_11comp_targetILNS1_3genE0ELNS1_11target_archE4294967295ELNS1_3gpuE0ELNS1_3repE0EEENS1_30default_config_static_selectorELNS0_4arch9wavefront6targetE1EEEvT1_
; %bb.0:
	.section	.rodata,"a",@progbits
	.p2align	6, 0x0
	.amdhsa_kernel _ZN7rocprim17ROCPRIM_400000_NS6detail17trampoline_kernelINS0_14default_configENS1_20scan_config_selectorIyEEZZNS1_9scan_implILNS1_25lookback_scan_determinismE0ELb0ELb0ES3_N6thrust23THRUST_200600_302600_NS6detail15normal_iteratorINS9_10device_ptrIyEEEESE_yNS9_4plusIvEEyEEDaPvRmT3_T4_T5_mT6_P12ihipStream_tbENKUlT_T0_E_clISt17integral_constantIbLb1EEST_IbLb0EEEEDaSP_SQ_EUlSP_E_NS1_11comp_targetILNS1_3genE0ELNS1_11target_archE4294967295ELNS1_3gpuE0ELNS1_3repE0EEENS1_30default_config_static_selectorELNS0_4arch9wavefront6targetE1EEEvT1_
		.amdhsa_group_segment_fixed_size 0
		.amdhsa_private_segment_fixed_size 0
		.amdhsa_kernarg_size 104
		.amdhsa_user_sgpr_count 6
		.amdhsa_user_sgpr_private_segment_buffer 1
		.amdhsa_user_sgpr_dispatch_ptr 0
		.amdhsa_user_sgpr_queue_ptr 0
		.amdhsa_user_sgpr_kernarg_segment_ptr 1
		.amdhsa_user_sgpr_dispatch_id 0
		.amdhsa_user_sgpr_flat_scratch_init 0
		.amdhsa_user_sgpr_kernarg_preload_length 0
		.amdhsa_user_sgpr_kernarg_preload_offset 0
		.amdhsa_user_sgpr_private_segment_size 0
		.amdhsa_uses_dynamic_stack 0
		.amdhsa_system_sgpr_private_segment_wavefront_offset 0
		.amdhsa_system_sgpr_workgroup_id_x 1
		.amdhsa_system_sgpr_workgroup_id_y 0
		.amdhsa_system_sgpr_workgroup_id_z 0
		.amdhsa_system_sgpr_workgroup_info 0
		.amdhsa_system_vgpr_workitem_id 0
		.amdhsa_next_free_vgpr 1
		.amdhsa_next_free_sgpr 0
		.amdhsa_accum_offset 4
		.amdhsa_reserve_vcc 0
		.amdhsa_reserve_flat_scratch 0
		.amdhsa_float_round_mode_32 0
		.amdhsa_float_round_mode_16_64 0
		.amdhsa_float_denorm_mode_32 3
		.amdhsa_float_denorm_mode_16_64 3
		.amdhsa_dx10_clamp 1
		.amdhsa_ieee_mode 1
		.amdhsa_fp16_overflow 0
		.amdhsa_tg_split 0
		.amdhsa_exception_fp_ieee_invalid_op 0
		.amdhsa_exception_fp_denorm_src 0
		.amdhsa_exception_fp_ieee_div_zero 0
		.amdhsa_exception_fp_ieee_overflow 0
		.amdhsa_exception_fp_ieee_underflow 0
		.amdhsa_exception_fp_ieee_inexact 0
		.amdhsa_exception_int_div_zero 0
	.end_amdhsa_kernel
	.section	.text._ZN7rocprim17ROCPRIM_400000_NS6detail17trampoline_kernelINS0_14default_configENS1_20scan_config_selectorIyEEZZNS1_9scan_implILNS1_25lookback_scan_determinismE0ELb0ELb0ES3_N6thrust23THRUST_200600_302600_NS6detail15normal_iteratorINS9_10device_ptrIyEEEESE_yNS9_4plusIvEEyEEDaPvRmT3_T4_T5_mT6_P12ihipStream_tbENKUlT_T0_E_clISt17integral_constantIbLb1EEST_IbLb0EEEEDaSP_SQ_EUlSP_E_NS1_11comp_targetILNS1_3genE0ELNS1_11target_archE4294967295ELNS1_3gpuE0ELNS1_3repE0EEENS1_30default_config_static_selectorELNS0_4arch9wavefront6targetE1EEEvT1_,"axG",@progbits,_ZN7rocprim17ROCPRIM_400000_NS6detail17trampoline_kernelINS0_14default_configENS1_20scan_config_selectorIyEEZZNS1_9scan_implILNS1_25lookback_scan_determinismE0ELb0ELb0ES3_N6thrust23THRUST_200600_302600_NS6detail15normal_iteratorINS9_10device_ptrIyEEEESE_yNS9_4plusIvEEyEEDaPvRmT3_T4_T5_mT6_P12ihipStream_tbENKUlT_T0_E_clISt17integral_constantIbLb1EEST_IbLb0EEEEDaSP_SQ_EUlSP_E_NS1_11comp_targetILNS1_3genE0ELNS1_11target_archE4294967295ELNS1_3gpuE0ELNS1_3repE0EEENS1_30default_config_static_selectorELNS0_4arch9wavefront6targetE1EEEvT1_,comdat
.Lfunc_end4466:
	.size	_ZN7rocprim17ROCPRIM_400000_NS6detail17trampoline_kernelINS0_14default_configENS1_20scan_config_selectorIyEEZZNS1_9scan_implILNS1_25lookback_scan_determinismE0ELb0ELb0ES3_N6thrust23THRUST_200600_302600_NS6detail15normal_iteratorINS9_10device_ptrIyEEEESE_yNS9_4plusIvEEyEEDaPvRmT3_T4_T5_mT6_P12ihipStream_tbENKUlT_T0_E_clISt17integral_constantIbLb1EEST_IbLb0EEEEDaSP_SQ_EUlSP_E_NS1_11comp_targetILNS1_3genE0ELNS1_11target_archE4294967295ELNS1_3gpuE0ELNS1_3repE0EEENS1_30default_config_static_selectorELNS0_4arch9wavefront6targetE1EEEvT1_, .Lfunc_end4466-_ZN7rocprim17ROCPRIM_400000_NS6detail17trampoline_kernelINS0_14default_configENS1_20scan_config_selectorIyEEZZNS1_9scan_implILNS1_25lookback_scan_determinismE0ELb0ELb0ES3_N6thrust23THRUST_200600_302600_NS6detail15normal_iteratorINS9_10device_ptrIyEEEESE_yNS9_4plusIvEEyEEDaPvRmT3_T4_T5_mT6_P12ihipStream_tbENKUlT_T0_E_clISt17integral_constantIbLb1EEST_IbLb0EEEEDaSP_SQ_EUlSP_E_NS1_11comp_targetILNS1_3genE0ELNS1_11target_archE4294967295ELNS1_3gpuE0ELNS1_3repE0EEENS1_30default_config_static_selectorELNS0_4arch9wavefront6targetE1EEEvT1_
                                        ; -- End function
	.section	.AMDGPU.csdata,"",@progbits
; Kernel info:
; codeLenInByte = 0
; NumSgprs: 4
; NumVgprs: 0
; NumAgprs: 0
; TotalNumVgprs: 0
; ScratchSize: 0
; MemoryBound: 0
; FloatMode: 240
; IeeeMode: 1
; LDSByteSize: 0 bytes/workgroup (compile time only)
; SGPRBlocks: 0
; VGPRBlocks: 0
; NumSGPRsForWavesPerEU: 4
; NumVGPRsForWavesPerEU: 1
; AccumOffset: 4
; Occupancy: 8
; WaveLimiterHint : 0
; COMPUTE_PGM_RSRC2:SCRATCH_EN: 0
; COMPUTE_PGM_RSRC2:USER_SGPR: 6
; COMPUTE_PGM_RSRC2:TRAP_HANDLER: 0
; COMPUTE_PGM_RSRC2:TGID_X_EN: 1
; COMPUTE_PGM_RSRC2:TGID_Y_EN: 0
; COMPUTE_PGM_RSRC2:TGID_Z_EN: 0
; COMPUTE_PGM_RSRC2:TIDIG_COMP_CNT: 0
; COMPUTE_PGM_RSRC3_GFX90A:ACCUM_OFFSET: 0
; COMPUTE_PGM_RSRC3_GFX90A:TG_SPLIT: 0
	.section	.text._ZN7rocprim17ROCPRIM_400000_NS6detail17trampoline_kernelINS0_14default_configENS1_20scan_config_selectorIyEEZZNS1_9scan_implILNS1_25lookback_scan_determinismE0ELb0ELb0ES3_N6thrust23THRUST_200600_302600_NS6detail15normal_iteratorINS9_10device_ptrIyEEEESE_yNS9_4plusIvEEyEEDaPvRmT3_T4_T5_mT6_P12ihipStream_tbENKUlT_T0_E_clISt17integral_constantIbLb1EEST_IbLb0EEEEDaSP_SQ_EUlSP_E_NS1_11comp_targetILNS1_3genE5ELNS1_11target_archE942ELNS1_3gpuE9ELNS1_3repE0EEENS1_30default_config_static_selectorELNS0_4arch9wavefront6targetE1EEEvT1_,"axG",@progbits,_ZN7rocprim17ROCPRIM_400000_NS6detail17trampoline_kernelINS0_14default_configENS1_20scan_config_selectorIyEEZZNS1_9scan_implILNS1_25lookback_scan_determinismE0ELb0ELb0ES3_N6thrust23THRUST_200600_302600_NS6detail15normal_iteratorINS9_10device_ptrIyEEEESE_yNS9_4plusIvEEyEEDaPvRmT3_T4_T5_mT6_P12ihipStream_tbENKUlT_T0_E_clISt17integral_constantIbLb1EEST_IbLb0EEEEDaSP_SQ_EUlSP_E_NS1_11comp_targetILNS1_3genE5ELNS1_11target_archE942ELNS1_3gpuE9ELNS1_3repE0EEENS1_30default_config_static_selectorELNS0_4arch9wavefront6targetE1EEEvT1_,comdat
	.protected	_ZN7rocprim17ROCPRIM_400000_NS6detail17trampoline_kernelINS0_14default_configENS1_20scan_config_selectorIyEEZZNS1_9scan_implILNS1_25lookback_scan_determinismE0ELb0ELb0ES3_N6thrust23THRUST_200600_302600_NS6detail15normal_iteratorINS9_10device_ptrIyEEEESE_yNS9_4plusIvEEyEEDaPvRmT3_T4_T5_mT6_P12ihipStream_tbENKUlT_T0_E_clISt17integral_constantIbLb1EEST_IbLb0EEEEDaSP_SQ_EUlSP_E_NS1_11comp_targetILNS1_3genE5ELNS1_11target_archE942ELNS1_3gpuE9ELNS1_3repE0EEENS1_30default_config_static_selectorELNS0_4arch9wavefront6targetE1EEEvT1_ ; -- Begin function _ZN7rocprim17ROCPRIM_400000_NS6detail17trampoline_kernelINS0_14default_configENS1_20scan_config_selectorIyEEZZNS1_9scan_implILNS1_25lookback_scan_determinismE0ELb0ELb0ES3_N6thrust23THRUST_200600_302600_NS6detail15normal_iteratorINS9_10device_ptrIyEEEESE_yNS9_4plusIvEEyEEDaPvRmT3_T4_T5_mT6_P12ihipStream_tbENKUlT_T0_E_clISt17integral_constantIbLb1EEST_IbLb0EEEEDaSP_SQ_EUlSP_E_NS1_11comp_targetILNS1_3genE5ELNS1_11target_archE942ELNS1_3gpuE9ELNS1_3repE0EEENS1_30default_config_static_selectorELNS0_4arch9wavefront6targetE1EEEvT1_
	.globl	_ZN7rocprim17ROCPRIM_400000_NS6detail17trampoline_kernelINS0_14default_configENS1_20scan_config_selectorIyEEZZNS1_9scan_implILNS1_25lookback_scan_determinismE0ELb0ELb0ES3_N6thrust23THRUST_200600_302600_NS6detail15normal_iteratorINS9_10device_ptrIyEEEESE_yNS9_4plusIvEEyEEDaPvRmT3_T4_T5_mT6_P12ihipStream_tbENKUlT_T0_E_clISt17integral_constantIbLb1EEST_IbLb0EEEEDaSP_SQ_EUlSP_E_NS1_11comp_targetILNS1_3genE5ELNS1_11target_archE942ELNS1_3gpuE9ELNS1_3repE0EEENS1_30default_config_static_selectorELNS0_4arch9wavefront6targetE1EEEvT1_
	.p2align	8
	.type	_ZN7rocprim17ROCPRIM_400000_NS6detail17trampoline_kernelINS0_14default_configENS1_20scan_config_selectorIyEEZZNS1_9scan_implILNS1_25lookback_scan_determinismE0ELb0ELb0ES3_N6thrust23THRUST_200600_302600_NS6detail15normal_iteratorINS9_10device_ptrIyEEEESE_yNS9_4plusIvEEyEEDaPvRmT3_T4_T5_mT6_P12ihipStream_tbENKUlT_T0_E_clISt17integral_constantIbLb1EEST_IbLb0EEEEDaSP_SQ_EUlSP_E_NS1_11comp_targetILNS1_3genE5ELNS1_11target_archE942ELNS1_3gpuE9ELNS1_3repE0EEENS1_30default_config_static_selectorELNS0_4arch9wavefront6targetE1EEEvT1_,@function
_ZN7rocprim17ROCPRIM_400000_NS6detail17trampoline_kernelINS0_14default_configENS1_20scan_config_selectorIyEEZZNS1_9scan_implILNS1_25lookback_scan_determinismE0ELb0ELb0ES3_N6thrust23THRUST_200600_302600_NS6detail15normal_iteratorINS9_10device_ptrIyEEEESE_yNS9_4plusIvEEyEEDaPvRmT3_T4_T5_mT6_P12ihipStream_tbENKUlT_T0_E_clISt17integral_constantIbLb1EEST_IbLb0EEEEDaSP_SQ_EUlSP_E_NS1_11comp_targetILNS1_3genE5ELNS1_11target_archE942ELNS1_3gpuE9ELNS1_3repE0EEENS1_30default_config_static_selectorELNS0_4arch9wavefront6targetE1EEEvT1_: ; @_ZN7rocprim17ROCPRIM_400000_NS6detail17trampoline_kernelINS0_14default_configENS1_20scan_config_selectorIyEEZZNS1_9scan_implILNS1_25lookback_scan_determinismE0ELb0ELb0ES3_N6thrust23THRUST_200600_302600_NS6detail15normal_iteratorINS9_10device_ptrIyEEEESE_yNS9_4plusIvEEyEEDaPvRmT3_T4_T5_mT6_P12ihipStream_tbENKUlT_T0_E_clISt17integral_constantIbLb1EEST_IbLb0EEEEDaSP_SQ_EUlSP_E_NS1_11comp_targetILNS1_3genE5ELNS1_11target_archE942ELNS1_3gpuE9ELNS1_3repE0EEENS1_30default_config_static_selectorELNS0_4arch9wavefront6targetE1EEEvT1_
; %bb.0:
	.section	.rodata,"a",@progbits
	.p2align	6, 0x0
	.amdhsa_kernel _ZN7rocprim17ROCPRIM_400000_NS6detail17trampoline_kernelINS0_14default_configENS1_20scan_config_selectorIyEEZZNS1_9scan_implILNS1_25lookback_scan_determinismE0ELb0ELb0ES3_N6thrust23THRUST_200600_302600_NS6detail15normal_iteratorINS9_10device_ptrIyEEEESE_yNS9_4plusIvEEyEEDaPvRmT3_T4_T5_mT6_P12ihipStream_tbENKUlT_T0_E_clISt17integral_constantIbLb1EEST_IbLb0EEEEDaSP_SQ_EUlSP_E_NS1_11comp_targetILNS1_3genE5ELNS1_11target_archE942ELNS1_3gpuE9ELNS1_3repE0EEENS1_30default_config_static_selectorELNS0_4arch9wavefront6targetE1EEEvT1_
		.amdhsa_group_segment_fixed_size 0
		.amdhsa_private_segment_fixed_size 0
		.amdhsa_kernarg_size 104
		.amdhsa_user_sgpr_count 6
		.amdhsa_user_sgpr_private_segment_buffer 1
		.amdhsa_user_sgpr_dispatch_ptr 0
		.amdhsa_user_sgpr_queue_ptr 0
		.amdhsa_user_sgpr_kernarg_segment_ptr 1
		.amdhsa_user_sgpr_dispatch_id 0
		.amdhsa_user_sgpr_flat_scratch_init 0
		.amdhsa_user_sgpr_kernarg_preload_length 0
		.amdhsa_user_sgpr_kernarg_preload_offset 0
		.amdhsa_user_sgpr_private_segment_size 0
		.amdhsa_uses_dynamic_stack 0
		.amdhsa_system_sgpr_private_segment_wavefront_offset 0
		.amdhsa_system_sgpr_workgroup_id_x 1
		.amdhsa_system_sgpr_workgroup_id_y 0
		.amdhsa_system_sgpr_workgroup_id_z 0
		.amdhsa_system_sgpr_workgroup_info 0
		.amdhsa_system_vgpr_workitem_id 0
		.amdhsa_next_free_vgpr 1
		.amdhsa_next_free_sgpr 0
		.amdhsa_accum_offset 4
		.amdhsa_reserve_vcc 0
		.amdhsa_reserve_flat_scratch 0
		.amdhsa_float_round_mode_32 0
		.amdhsa_float_round_mode_16_64 0
		.amdhsa_float_denorm_mode_32 3
		.amdhsa_float_denorm_mode_16_64 3
		.amdhsa_dx10_clamp 1
		.amdhsa_ieee_mode 1
		.amdhsa_fp16_overflow 0
		.amdhsa_tg_split 0
		.amdhsa_exception_fp_ieee_invalid_op 0
		.amdhsa_exception_fp_denorm_src 0
		.amdhsa_exception_fp_ieee_div_zero 0
		.amdhsa_exception_fp_ieee_overflow 0
		.amdhsa_exception_fp_ieee_underflow 0
		.amdhsa_exception_fp_ieee_inexact 0
		.amdhsa_exception_int_div_zero 0
	.end_amdhsa_kernel
	.section	.text._ZN7rocprim17ROCPRIM_400000_NS6detail17trampoline_kernelINS0_14default_configENS1_20scan_config_selectorIyEEZZNS1_9scan_implILNS1_25lookback_scan_determinismE0ELb0ELb0ES3_N6thrust23THRUST_200600_302600_NS6detail15normal_iteratorINS9_10device_ptrIyEEEESE_yNS9_4plusIvEEyEEDaPvRmT3_T4_T5_mT6_P12ihipStream_tbENKUlT_T0_E_clISt17integral_constantIbLb1EEST_IbLb0EEEEDaSP_SQ_EUlSP_E_NS1_11comp_targetILNS1_3genE5ELNS1_11target_archE942ELNS1_3gpuE9ELNS1_3repE0EEENS1_30default_config_static_selectorELNS0_4arch9wavefront6targetE1EEEvT1_,"axG",@progbits,_ZN7rocprim17ROCPRIM_400000_NS6detail17trampoline_kernelINS0_14default_configENS1_20scan_config_selectorIyEEZZNS1_9scan_implILNS1_25lookback_scan_determinismE0ELb0ELb0ES3_N6thrust23THRUST_200600_302600_NS6detail15normal_iteratorINS9_10device_ptrIyEEEESE_yNS9_4plusIvEEyEEDaPvRmT3_T4_T5_mT6_P12ihipStream_tbENKUlT_T0_E_clISt17integral_constantIbLb1EEST_IbLb0EEEEDaSP_SQ_EUlSP_E_NS1_11comp_targetILNS1_3genE5ELNS1_11target_archE942ELNS1_3gpuE9ELNS1_3repE0EEENS1_30default_config_static_selectorELNS0_4arch9wavefront6targetE1EEEvT1_,comdat
.Lfunc_end4467:
	.size	_ZN7rocprim17ROCPRIM_400000_NS6detail17trampoline_kernelINS0_14default_configENS1_20scan_config_selectorIyEEZZNS1_9scan_implILNS1_25lookback_scan_determinismE0ELb0ELb0ES3_N6thrust23THRUST_200600_302600_NS6detail15normal_iteratorINS9_10device_ptrIyEEEESE_yNS9_4plusIvEEyEEDaPvRmT3_T4_T5_mT6_P12ihipStream_tbENKUlT_T0_E_clISt17integral_constantIbLb1EEST_IbLb0EEEEDaSP_SQ_EUlSP_E_NS1_11comp_targetILNS1_3genE5ELNS1_11target_archE942ELNS1_3gpuE9ELNS1_3repE0EEENS1_30default_config_static_selectorELNS0_4arch9wavefront6targetE1EEEvT1_, .Lfunc_end4467-_ZN7rocprim17ROCPRIM_400000_NS6detail17trampoline_kernelINS0_14default_configENS1_20scan_config_selectorIyEEZZNS1_9scan_implILNS1_25lookback_scan_determinismE0ELb0ELb0ES3_N6thrust23THRUST_200600_302600_NS6detail15normal_iteratorINS9_10device_ptrIyEEEESE_yNS9_4plusIvEEyEEDaPvRmT3_T4_T5_mT6_P12ihipStream_tbENKUlT_T0_E_clISt17integral_constantIbLb1EEST_IbLb0EEEEDaSP_SQ_EUlSP_E_NS1_11comp_targetILNS1_3genE5ELNS1_11target_archE942ELNS1_3gpuE9ELNS1_3repE0EEENS1_30default_config_static_selectorELNS0_4arch9wavefront6targetE1EEEvT1_
                                        ; -- End function
	.section	.AMDGPU.csdata,"",@progbits
; Kernel info:
; codeLenInByte = 0
; NumSgprs: 4
; NumVgprs: 0
; NumAgprs: 0
; TotalNumVgprs: 0
; ScratchSize: 0
; MemoryBound: 0
; FloatMode: 240
; IeeeMode: 1
; LDSByteSize: 0 bytes/workgroup (compile time only)
; SGPRBlocks: 0
; VGPRBlocks: 0
; NumSGPRsForWavesPerEU: 4
; NumVGPRsForWavesPerEU: 1
; AccumOffset: 4
; Occupancy: 8
; WaveLimiterHint : 0
; COMPUTE_PGM_RSRC2:SCRATCH_EN: 0
; COMPUTE_PGM_RSRC2:USER_SGPR: 6
; COMPUTE_PGM_RSRC2:TRAP_HANDLER: 0
; COMPUTE_PGM_RSRC2:TGID_X_EN: 1
; COMPUTE_PGM_RSRC2:TGID_Y_EN: 0
; COMPUTE_PGM_RSRC2:TGID_Z_EN: 0
; COMPUTE_PGM_RSRC2:TIDIG_COMP_CNT: 0
; COMPUTE_PGM_RSRC3_GFX90A:ACCUM_OFFSET: 0
; COMPUTE_PGM_RSRC3_GFX90A:TG_SPLIT: 0
	.section	.text._ZN7rocprim17ROCPRIM_400000_NS6detail17trampoline_kernelINS0_14default_configENS1_20scan_config_selectorIyEEZZNS1_9scan_implILNS1_25lookback_scan_determinismE0ELb0ELb0ES3_N6thrust23THRUST_200600_302600_NS6detail15normal_iteratorINS9_10device_ptrIyEEEESE_yNS9_4plusIvEEyEEDaPvRmT3_T4_T5_mT6_P12ihipStream_tbENKUlT_T0_E_clISt17integral_constantIbLb1EEST_IbLb0EEEEDaSP_SQ_EUlSP_E_NS1_11comp_targetILNS1_3genE4ELNS1_11target_archE910ELNS1_3gpuE8ELNS1_3repE0EEENS1_30default_config_static_selectorELNS0_4arch9wavefront6targetE1EEEvT1_,"axG",@progbits,_ZN7rocprim17ROCPRIM_400000_NS6detail17trampoline_kernelINS0_14default_configENS1_20scan_config_selectorIyEEZZNS1_9scan_implILNS1_25lookback_scan_determinismE0ELb0ELb0ES3_N6thrust23THRUST_200600_302600_NS6detail15normal_iteratorINS9_10device_ptrIyEEEESE_yNS9_4plusIvEEyEEDaPvRmT3_T4_T5_mT6_P12ihipStream_tbENKUlT_T0_E_clISt17integral_constantIbLb1EEST_IbLb0EEEEDaSP_SQ_EUlSP_E_NS1_11comp_targetILNS1_3genE4ELNS1_11target_archE910ELNS1_3gpuE8ELNS1_3repE0EEENS1_30default_config_static_selectorELNS0_4arch9wavefront6targetE1EEEvT1_,comdat
	.protected	_ZN7rocprim17ROCPRIM_400000_NS6detail17trampoline_kernelINS0_14default_configENS1_20scan_config_selectorIyEEZZNS1_9scan_implILNS1_25lookback_scan_determinismE0ELb0ELb0ES3_N6thrust23THRUST_200600_302600_NS6detail15normal_iteratorINS9_10device_ptrIyEEEESE_yNS9_4plusIvEEyEEDaPvRmT3_T4_T5_mT6_P12ihipStream_tbENKUlT_T0_E_clISt17integral_constantIbLb1EEST_IbLb0EEEEDaSP_SQ_EUlSP_E_NS1_11comp_targetILNS1_3genE4ELNS1_11target_archE910ELNS1_3gpuE8ELNS1_3repE0EEENS1_30default_config_static_selectorELNS0_4arch9wavefront6targetE1EEEvT1_ ; -- Begin function _ZN7rocprim17ROCPRIM_400000_NS6detail17trampoline_kernelINS0_14default_configENS1_20scan_config_selectorIyEEZZNS1_9scan_implILNS1_25lookback_scan_determinismE0ELb0ELb0ES3_N6thrust23THRUST_200600_302600_NS6detail15normal_iteratorINS9_10device_ptrIyEEEESE_yNS9_4plusIvEEyEEDaPvRmT3_T4_T5_mT6_P12ihipStream_tbENKUlT_T0_E_clISt17integral_constantIbLb1EEST_IbLb0EEEEDaSP_SQ_EUlSP_E_NS1_11comp_targetILNS1_3genE4ELNS1_11target_archE910ELNS1_3gpuE8ELNS1_3repE0EEENS1_30default_config_static_selectorELNS0_4arch9wavefront6targetE1EEEvT1_
	.globl	_ZN7rocprim17ROCPRIM_400000_NS6detail17trampoline_kernelINS0_14default_configENS1_20scan_config_selectorIyEEZZNS1_9scan_implILNS1_25lookback_scan_determinismE0ELb0ELb0ES3_N6thrust23THRUST_200600_302600_NS6detail15normal_iteratorINS9_10device_ptrIyEEEESE_yNS9_4plusIvEEyEEDaPvRmT3_T4_T5_mT6_P12ihipStream_tbENKUlT_T0_E_clISt17integral_constantIbLb1EEST_IbLb0EEEEDaSP_SQ_EUlSP_E_NS1_11comp_targetILNS1_3genE4ELNS1_11target_archE910ELNS1_3gpuE8ELNS1_3repE0EEENS1_30default_config_static_selectorELNS0_4arch9wavefront6targetE1EEEvT1_
	.p2align	8
	.type	_ZN7rocprim17ROCPRIM_400000_NS6detail17trampoline_kernelINS0_14default_configENS1_20scan_config_selectorIyEEZZNS1_9scan_implILNS1_25lookback_scan_determinismE0ELb0ELb0ES3_N6thrust23THRUST_200600_302600_NS6detail15normal_iteratorINS9_10device_ptrIyEEEESE_yNS9_4plusIvEEyEEDaPvRmT3_T4_T5_mT6_P12ihipStream_tbENKUlT_T0_E_clISt17integral_constantIbLb1EEST_IbLb0EEEEDaSP_SQ_EUlSP_E_NS1_11comp_targetILNS1_3genE4ELNS1_11target_archE910ELNS1_3gpuE8ELNS1_3repE0EEENS1_30default_config_static_selectorELNS0_4arch9wavefront6targetE1EEEvT1_,@function
_ZN7rocprim17ROCPRIM_400000_NS6detail17trampoline_kernelINS0_14default_configENS1_20scan_config_selectorIyEEZZNS1_9scan_implILNS1_25lookback_scan_determinismE0ELb0ELb0ES3_N6thrust23THRUST_200600_302600_NS6detail15normal_iteratorINS9_10device_ptrIyEEEESE_yNS9_4plusIvEEyEEDaPvRmT3_T4_T5_mT6_P12ihipStream_tbENKUlT_T0_E_clISt17integral_constantIbLb1EEST_IbLb0EEEEDaSP_SQ_EUlSP_E_NS1_11comp_targetILNS1_3genE4ELNS1_11target_archE910ELNS1_3gpuE8ELNS1_3repE0EEENS1_30default_config_static_selectorELNS0_4arch9wavefront6targetE1EEEvT1_: ; @_ZN7rocprim17ROCPRIM_400000_NS6detail17trampoline_kernelINS0_14default_configENS1_20scan_config_selectorIyEEZZNS1_9scan_implILNS1_25lookback_scan_determinismE0ELb0ELb0ES3_N6thrust23THRUST_200600_302600_NS6detail15normal_iteratorINS9_10device_ptrIyEEEESE_yNS9_4plusIvEEyEEDaPvRmT3_T4_T5_mT6_P12ihipStream_tbENKUlT_T0_E_clISt17integral_constantIbLb1EEST_IbLb0EEEEDaSP_SQ_EUlSP_E_NS1_11comp_targetILNS1_3genE4ELNS1_11target_archE910ELNS1_3gpuE8ELNS1_3repE0EEENS1_30default_config_static_selectorELNS0_4arch9wavefront6targetE1EEEvT1_
; %bb.0:
	s_load_dwordx8 s[8:15], s[4:5], 0x0
	s_load_dword s1, s[4:5], 0x38
	s_mul_i32 s0, s6, 0x380
	v_lshlrev_b32_e32 v36, 3, v0
	s_waitcnt lgkmcnt(0)
	s_lshl_b64 s[16:17], s[10:11], 3
	s_add_u32 s2, s8, s16
	s_addc_u32 s3, s9, s17
	s_add_i32 s7, s1, -1
	s_mul_i32 s8, s7, 0x380
	s_sub_u32 s24, s14, s8
	s_subb_u32 s25, s15, 0
	s_mov_b32 s1, 0
	s_cmp_lg_u32 s6, s7
	s_cselect_b64 s[14:15], -1, 0
	s_lshl_b64 s[18:19], s[0:1], 3
	s_add_u32 s2, s2, s18
	s_addc_u32 s3, s3, s19
	s_mov_b64 s[0:1], -1
	s_and_b64 vcc, exec, s[14:15]
	s_cbranch_vccz .LBB4468_2
; %bb.1:
	v_mov_b32_e32 v1, s3
	v_add_co_u32_e32 v2, vcc, s2, v36
	v_addc_co_u32_e32 v3, vcc, 0, v1, vcc
	flat_load_dwordx2 v[4:5], v[2:3]
	flat_load_dwordx2 v[6:7], v[2:3] offset:1024
	flat_load_dwordx2 v[8:9], v[2:3] offset:2048
	;; [unrolled: 1-line block ×3, first 2 shown]
	v_add_co_u32_e32 v2, vcc, 0x1000, v2
	v_addc_co_u32_e32 v3, vcc, 0, v3, vcc
	flat_load_dwordx2 v[12:13], v[2:3]
	flat_load_dwordx2 v[14:15], v[2:3] offset:1024
	flat_load_dwordx2 v[16:17], v[2:3] offset:2048
	s_mov_b64 s[0:1], 0
	s_waitcnt vmcnt(0) lgkmcnt(0)
	ds_write2st64_b64 v36, v[4:5], v[6:7] offset1:2
	ds_write2st64_b64 v36, v[8:9], v[10:11] offset0:4 offset1:6
	ds_write2st64_b64 v36, v[12:13], v[14:15] offset0:8 offset1:10
	ds_write_b64 v36, v[16:17] offset:6144
	s_waitcnt lgkmcnt(0)
	s_barrier
.LBB4468_2:
	s_load_dwordx2 s[20:21], s[4:5], 0x30
	s_andn2_b64 vcc, exec, s[0:1]
	v_cmp_gt_u32_e64 s[0:1], s24, v0
	s_cbranch_vccnz .LBB4468_18
; %bb.3:
	v_pk_mov_b32 v[2:3], s[2:3], s[2:3] op_sel:[0,1]
	flat_load_dwordx2 v[2:3], v[2:3]
	s_waitcnt vmcnt(0) lgkmcnt(0)
	v_mov_b32_e32 v4, v2
	v_mov_b32_e32 v5, v3
	;; [unrolled: 1-line block ×10, first 2 shown]
	v_pk_mov_b32 v[18:19], v[14:15], v[14:15] op_sel:[0,1]
	v_pk_mov_b32 v[16:17], v[12:13], v[12:13] op_sel:[0,1]
	;; [unrolled: 1-line block ×8, first 2 shown]
	s_and_saveexec_b64 s[8:9], s[0:1]
	s_cbranch_execz .LBB4468_5
; %bb.4:
	v_mov_b32_e32 v1, s3
	v_add_co_u32_e32 v4, vcc, s2, v36
	v_addc_co_u32_e32 v5, vcc, 0, v1, vcc
	flat_load_dwordx2 v[20:21], v[4:5]
	v_mov_b32_e32 v4, v2
	v_mov_b32_e32 v5, v3
	;; [unrolled: 1-line block ×10, first 2 shown]
	v_pk_mov_b32 v[18:19], v[14:15], v[14:15] op_sel:[0,1]
	v_pk_mov_b32 v[16:17], v[12:13], v[12:13] op_sel:[0,1]
	;; [unrolled: 1-line block ×8, first 2 shown]
	s_waitcnt vmcnt(0) lgkmcnt(0)
	v_pk_mov_b32 v[2:3], v[20:21], v[20:21] op_sel:[0,1]
.LBB4468_5:
	s_or_b64 exec, exec, s[8:9]
	v_or_b32_e32 v1, 0x80, v0
	v_cmp_gt_u32_e32 vcc, s24, v1
	s_and_saveexec_b64 s[0:1], vcc
	s_cbranch_execz .LBB4468_7
; %bb.6:
	v_mov_b32_e32 v1, s3
	v_add_co_u32_e32 v4, vcc, s2, v36
	v_addc_co_u32_e32 v5, vcc, 0, v1, vcc
	flat_load_dwordx2 v[6:7], v[4:5] offset:1024
.LBB4468_7:
	s_or_b64 exec, exec, s[0:1]
	v_or_b32_e32 v1, 0x100, v0
	v_cmp_gt_u32_e32 vcc, s24, v1
	s_and_saveexec_b64 s[0:1], vcc
	s_cbranch_execz .LBB4468_9
; %bb.8:
	v_mov_b32_e32 v1, s3
	v_add_co_u32_e32 v4, vcc, s2, v36
	v_addc_co_u32_e32 v5, vcc, 0, v1, vcc
	flat_load_dwordx2 v[8:9], v[4:5] offset:2048
.LBB4468_9:
	;; [unrolled: 11-line block ×3, first 2 shown]
	s_or_b64 exec, exec, s[0:1]
	v_or_b32_e32 v1, 0x200, v0
	v_cmp_gt_u32_e32 vcc, s24, v1
	s_and_saveexec_b64 s[0:1], vcc
	s_cbranch_execz .LBB4468_13
; %bb.12:
	v_lshlrev_b32_e32 v1, 3, v1
	v_mov_b32_e32 v5, s3
	v_add_co_u32_e32 v4, vcc, s2, v1
	v_addc_co_u32_e32 v5, vcc, 0, v5, vcc
	flat_load_dwordx2 v[12:13], v[4:5]
.LBB4468_13:
	s_or_b64 exec, exec, s[0:1]
	v_or_b32_e32 v1, 0x280, v0
	v_cmp_gt_u32_e32 vcc, s24, v1
	s_and_saveexec_b64 s[0:1], vcc
	s_cbranch_execz .LBB4468_15
; %bb.14:
	v_lshlrev_b32_e32 v1, 3, v1
	v_mov_b32_e32 v5, s3
	v_add_co_u32_e32 v4, vcc, s2, v1
	v_addc_co_u32_e32 v5, vcc, 0, v5, vcc
	flat_load_dwordx2 v[14:15], v[4:5]
.LBB4468_15:
	;; [unrolled: 12-line block ×3, first 2 shown]
	s_or_b64 exec, exec, s[0:1]
	s_waitcnt vmcnt(0) lgkmcnt(0)
	ds_write2st64_b64 v36, v[2:3], v[6:7] offset1:2
	ds_write2st64_b64 v36, v[8:9], v[10:11] offset0:4 offset1:6
	ds_write2st64_b64 v36, v[12:13], v[14:15] offset0:8 offset1:10
	ds_write_b64 v36, v[16:17] offset:6144
	s_waitcnt lgkmcnt(0)
	s_barrier
.LBB4468_18:
	v_mul_u32_u24_e32 v37, 7, v0
	v_lshlrev_b32_e32 v1, 3, v37
	s_waitcnt lgkmcnt(0)
	ds_read2_b64 v[2:5], v1 offset1:1
	ds_read2_b64 v[10:13], v1 offset0:2 offset1:3
	ds_read2_b64 v[6:9], v1 offset0:4 offset1:5
	ds_read_b64 v[28:29], v1 offset:48
	s_cmp_lg_u32 s6, 0
	v_lshrrev_b32_e32 v38, 5, v0
	v_cmp_gt_u32_e32 vcc, 64, v0
	s_waitcnt lgkmcnt(0)
	s_barrier
	s_cbranch_scc0 .LBB4468_49
; %bb.19:
	v_add_co_u32_e64 v1, s[0:1], v4, v2
	v_addc_co_u32_e64 v14, s[0:1], v5, v3, s[0:1]
	v_add_co_u32_e64 v1, s[0:1], v1, v10
	v_addc_co_u32_e64 v14, s[0:1], v14, v11, s[0:1]
	;; [unrolled: 2-line block ×6, first 2 shown]
	v_add_lshl_u32 v1, v38, v0, 3
	ds_write_b64 v1, v[18:19]
	s_waitcnt lgkmcnt(0)
	s_barrier
	s_and_saveexec_b64 s[8:9], vcc
	s_cbranch_execz .LBB4468_23
; %bb.20:
	v_lshlrev_b32_e32 v1, 1, v0
	v_lshrrev_b32_e32 v14, 4, v0
	v_add_lshl_u32 v20, v14, v1, 3
	ds_read2_b64 v[14:17], v20 offset1:1
	v_mbcnt_lo_u32_b32 v1, -1, 0
	s_waitcnt lgkmcnt(0)
	v_add_co_u32_e64 v21, s[0:1], v16, v14
	v_addc_co_u32_e64 v22, s[0:1], v17, v15, s[0:1]
	s_nop 0
	v_mov_b32_dpp v16, v21 row_shr:1 row_mask:0xf bank_mask:0xf
	v_add_co_u32_e64 v16, s[0:1], v21, v16
	v_addc_co_u32_e64 v24, s[0:1], 0, v22, s[0:1]
	v_mbcnt_hi_u32_b32 v17, -1, v1
	v_mov_b32_dpp v23, v22 row_shr:1 row_mask:0xf bank_mask:0xf
	v_add_co_u32_e64 v25, s[0:1], 0, v16
	v_and_b32_e32 v1, 15, v17
	v_addc_co_u32_e64 v23, s[0:1], v23, v24, s[0:1]
	v_cmp_eq_u32_e64 s[0:1], 0, v1
	v_cndmask_b32_e64 v16, v16, v21, s[0:1]
	v_cndmask_b32_e64 v23, v23, v22, s[0:1]
	v_cndmask_b32_e64 v24, v25, v21, s[0:1]
	v_mov_b32_dpp v25, v16 row_shr:2 row_mask:0xf bank_mask:0xf
	v_mov_b32_dpp v26, v23 row_shr:2 row_mask:0xf bank_mask:0xf
	v_add_co_u32_e64 v25, s[0:1], v25, v24
	v_addc_co_u32_e64 v26, s[0:1], v26, v23, s[0:1]
	v_cmp_lt_u32_e64 s[0:1], 1, v1
	v_cndmask_b32_e64 v16, v16, v25, s[0:1]
	v_cndmask_b32_e64 v23, v23, v26, s[0:1]
	v_cndmask_b32_e64 v24, v24, v25, s[0:1]
	v_mov_b32_dpp v25, v16 row_shr:4 row_mask:0xf bank_mask:0xf
	v_mov_b32_dpp v26, v23 row_shr:4 row_mask:0xf bank_mask:0xf
	v_add_co_u32_e64 v25, s[0:1], v25, v24
	v_addc_co_u32_e64 v26, s[0:1], v26, v23, s[0:1]
	v_cmp_lt_u32_e64 s[0:1], 3, v1
	;; [unrolled: 8-line block ×3, first 2 shown]
	v_cndmask_b32_e64 v27, v16, v25, s[0:1]
	v_cndmask_b32_e64 v1, v23, v26, s[0:1]
	;; [unrolled: 1-line block ×3, first 2 shown]
	v_mov_b32_dpp v23, v27 row_bcast:15 row_mask:0xf bank_mask:0xf
	v_mov_b32_dpp v24, v1 row_bcast:15 row_mask:0xf bank_mask:0xf
	v_add_co_u32_e64 v23, s[0:1], v23, v16
	v_and_b32_e32 v26, 16, v17
	v_addc_co_u32_e64 v25, s[0:1], v24, v1, s[0:1]
	v_cmp_eq_u32_e64 s[0:1], 0, v26
	v_cndmask_b32_e64 v26, v25, v1, s[0:1]
	v_cndmask_b32_e64 v24, v23, v27, s[0:1]
	v_cmp_ne_u32_e64 s[2:3], 0, v17
	v_mov_b32_dpp v26, v26 row_bcast:31 row_mask:0xf bank_mask:0xf
	v_mov_b32_dpp v24, v24 row_bcast:31 row_mask:0xf bank_mask:0xf
	s_and_saveexec_b64 s[10:11], s[2:3]
; %bb.21:
	v_cndmask_b32_e64 v1, v25, v1, s[0:1]
	v_cndmask_b32_e64 v16, v23, v16, s[0:1]
	v_cmp_lt_u32_e64 s[0:1], 31, v17
	v_cndmask_b32_e64 v21, 0, v24, s[0:1]
	v_cndmask_b32_e64 v22, 0, v26, s[0:1]
	v_add_co_u32_e64 v21, s[0:1], v21, v16
	v_addc_co_u32_e64 v22, s[0:1], v22, v1, s[0:1]
; %bb.22:
	s_or_b64 exec, exec, s[10:11]
	v_add_u32_e32 v1, -1, v17
	v_and_b32_e32 v16, 64, v17
	v_cmp_lt_i32_e64 s[0:1], v1, v16
	v_cndmask_b32_e64 v1, v1, v17, s[0:1]
	v_lshlrev_b32_e32 v1, 2, v1
	ds_bpermute_b32 v16, v1, v21
	ds_bpermute_b32 v1, v1, v22
	; wave barrier
	s_waitcnt lgkmcnt(1)
	v_add_co_u32_e64 v14, s[0:1], v14, v16
	v_addc_co_u32_e64 v15, s[0:1], 0, v15, s[0:1]
	v_add_co_u32_e64 v14, s[0:1], 0, v14
	s_waitcnt lgkmcnt(0)
	v_addc_co_u32_e64 v1, s[0:1], v15, v1, s[0:1]
	v_cmp_eq_u32_e64 s[0:1], 0, v0
	v_cndmask_b32_e64 v15, v1, v19, s[0:1]
	v_cndmask_b32_e64 v14, v14, v18, s[0:1]
	ds_write_b64 v20, v[14:15]
	; wave barrier
	ds_read_b64 v[16:17], v20 offset:8
	s_waitcnt lgkmcnt(0)
	v_add_co_u32_e64 v14, s[0:1], v16, v14
	v_addc_co_u32_e64 v15, s[0:1], v17, v15, s[0:1]
	ds_write_b64 v20, v[14:15] offset:8
.LBB4468_23:
	s_or_b64 exec, exec, s[8:9]
	v_cmp_eq_u32_e64 s[0:1], 0, v0
	v_cmp_ne_u32_e64 s[2:3], 0, v0
	v_pk_mov_b32 v[22:23], 0, 0
	s_waitcnt lgkmcnt(0)
	s_barrier
	s_and_saveexec_b64 s[8:9], s[2:3]
	s_cbranch_execz .LBB4468_25
; %bb.24:
	v_add_u32_e32 v1, -1, v0
	v_lshrrev_b32_e32 v14, 5, v1
	v_add_lshl_u32 v1, v14, v1, 3
	ds_read_b64 v[22:23], v1
.LBB4468_25:
	s_or_b64 exec, exec, s[8:9]
	s_and_saveexec_b64 s[22:23], vcc
	s_cbranch_execz .LBB4468_48
; %bb.26:
	v_mov_b32_e32 v17, 0
	ds_read_b64 v[14:15], v17 offset:1040
	v_mbcnt_lo_u32_b32 v1, -1, 0
	v_mbcnt_hi_u32_b32 v30, -1, v1
	s_mov_b32 s11, 0
	v_cmp_eq_u32_e64 s[2:3], 0, v30
	s_and_saveexec_b64 s[8:9], s[2:3]
	s_cbranch_execz .LBB4468_28
; %bb.27:
	s_add_i32 s10, s6, 64
	s_lshl_b64 s[10:11], s[10:11], 4
	s_add_u32 s10, s20, s10
	s_addc_u32 s11, s21, s11
	v_mov_b32_e32 v16, 1
	v_pk_mov_b32 v[18:19], s[10:11], s[10:11] op_sel:[0,1]
	s_waitcnt lgkmcnt(0)
	;;#ASMSTART
	global_store_dwordx4 v[18:19], v[14:17] off	
s_waitcnt vmcnt(0)
	;;#ASMEND
.LBB4468_28:
	s_or_b64 exec, exec, s[8:9]
	v_xad_u32 v24, v30, -1, s6
	v_add_u32_e32 v16, 64, v24
	v_lshlrev_b64 v[18:19], 4, v[16:17]
	v_mov_b32_e32 v1, s21
	v_add_co_u32_e32 v26, vcc, s20, v18
	v_addc_co_u32_e32 v27, vcc, v1, v19, vcc
	;;#ASMSTART
	global_load_dwordx4 v[18:21], v[26:27] off glc	
s_waitcnt vmcnt(0)
	;;#ASMEND
	v_and_b32_e32 v1, 0xff, v19
	v_and_b32_e32 v16, 0xff00, v19
	v_or3_b32 v1, 0, v1, v16
	v_or3_b32 v16, v18, 0, 0
	v_and_b32_e32 v18, 0xff000000, v19
	v_and_b32_e32 v19, 0xff0000, v19
	v_or3_b32 v19, v1, v19, v18
	v_or3_b32 v18, v16, 0, 0
	v_cmp_eq_u16_sdwa s[10:11], v20, v17 src0_sel:BYTE_0 src1_sel:DWORD
	s_and_saveexec_b64 s[8:9], s[10:11]
	s_cbranch_execz .LBB4468_34
; %bb.29:
	s_mov_b32 s7, 1
	s_mov_b64 s[10:11], 0
	v_mov_b32_e32 v1, 0
.LBB4468_30:                            ; =>This Loop Header: Depth=1
                                        ;     Child Loop BB4468_31 Depth 2
	s_max_u32 s26, s7, 1
.LBB4468_31:                            ;   Parent Loop BB4468_30 Depth=1
                                        ; =>  This Inner Loop Header: Depth=2
	s_add_i32 s26, s26, -1
	s_cmp_eq_u32 s26, 0
	s_sleep 1
	s_cbranch_scc0 .LBB4468_31
; %bb.32:                               ;   in Loop: Header=BB4468_30 Depth=1
	s_cmp_lt_u32 s7, 32
	s_cselect_b64 s[26:27], -1, 0
	s_cmp_lg_u64 s[26:27], 0
	s_addc_u32 s7, s7, 0
	;;#ASMSTART
	global_load_dwordx4 v[18:21], v[26:27] off glc	
s_waitcnt vmcnt(0)
	;;#ASMEND
	v_cmp_ne_u16_sdwa s[26:27], v20, v1 src0_sel:BYTE_0 src1_sel:DWORD
	s_or_b64 s[10:11], s[26:27], s[10:11]
	s_andn2_b64 exec, exec, s[10:11]
	s_cbranch_execnz .LBB4468_30
; %bb.33:
	s_or_b64 exec, exec, s[10:11]
.LBB4468_34:
	s_or_b64 exec, exec, s[8:9]
	v_and_b32_e32 v32, 63, v30
	v_cmp_ne_u32_e32 vcc, 63, v32
	v_addc_co_u32_e32 v26, vcc, 0, v30, vcc
	v_lshlrev_b32_e32 v33, 2, v26
	ds_bpermute_b32 v26, v33, v18
	v_mov_b32_e32 v1, 2
	v_cmp_eq_u16_sdwa s[8:9], v20, v1 src0_sel:BYTE_0 src1_sel:DWORD
	v_lshlrev_b64 v[16:17], v30, -1
	ds_bpermute_b32 v27, v33, v19
	v_and_b32_e32 v21, s9, v17
	v_or_b32_e32 v21, 0x80000000, v21
	s_waitcnt lgkmcnt(1)
	v_add_co_u32_e32 v26, vcc, v18, v26
	v_and_b32_e32 v25, s8, v16
	v_ffbl_b32_e32 v21, v21
	v_addc_co_u32_e32 v31, vcc, 0, v19, vcc
	v_add_u32_e32 v21, 32, v21
	v_ffbl_b32_e32 v25, v25
	v_add_co_u32_e32 v35, vcc, 0, v26
	v_cmp_gt_u32_e64 s[8:9], 62, v32
	v_min_u32_e32 v21, v25, v21
	s_waitcnt lgkmcnt(0)
	v_addc_co_u32_e32 v27, vcc, v27, v31, vcc
	v_cndmask_b32_e64 v31, 0, 1, s[8:9]
	v_cmp_lt_u32_e32 vcc, v32, v21
	v_lshlrev_b32_e32 v31, 1, v31
	v_cndmask_b32_e32 v26, v18, v26, vcc
	v_add_lshl_u32 v34, v31, v30, 2
	v_cndmask_b32_e32 v27, v19, v27, vcc
	ds_bpermute_b32 v31, v34, v26
	ds_bpermute_b32 v39, v34, v27
	v_cndmask_b32_e32 v40, v18, v35, vcc
	v_add_u32_e32 v35, 2, v32
	v_cmp_gt_u32_e64 s[10:11], 60, v32
	s_waitcnt lgkmcnt(1)
	v_add_co_u32_e64 v31, s[8:9], v31, v40
	s_waitcnt lgkmcnt(0)
	v_addc_co_u32_e64 v39, s[8:9], v39, v27, s[8:9]
	v_cmp_gt_u32_e64 s[8:9], v35, v21
	v_cndmask_b32_e64 v27, v39, v27, s[8:9]
	v_cndmask_b32_e64 v39, 0, 1, s[10:11]
	v_lshlrev_b32_e32 v39, 2, v39
	v_cndmask_b32_e64 v26, v31, v26, s[8:9]
	v_add_lshl_u32 v39, v39, v30, 2
	ds_bpermute_b32 v41, v39, v26
	ds_bpermute_b32 v42, v39, v27
	v_cndmask_b32_e64 v31, v31, v40, s[8:9]
	v_add_u32_e32 v40, 4, v32
	v_cmp_gt_u32_e64 s[10:11], 56, v32
	s_waitcnt lgkmcnt(1)
	v_add_co_u32_e64 v43, s[8:9], v41, v31
	s_waitcnt lgkmcnt(0)
	v_addc_co_u32_e64 v41, s[8:9], v42, v27, s[8:9]
	v_cmp_gt_u32_e64 s[8:9], v40, v21
	v_cndmask_b32_e64 v27, v41, v27, s[8:9]
	v_cndmask_b32_e64 v41, 0, 1, s[10:11]
	v_lshlrev_b32_e32 v41, 3, v41
	v_cndmask_b32_e64 v26, v43, v26, s[8:9]
	v_add_lshl_u32 v41, v41, v30, 2
	ds_bpermute_b32 v44, v41, v26
	v_cndmask_b32_e64 v31, v43, v31, s[8:9]
	ds_bpermute_b32 v43, v41, v27
	v_add_u32_e32 v42, 8, v32
	v_cmp_gt_u32_e64 s[10:11], 48, v32
	s_waitcnt lgkmcnt(1)
	v_add_co_u32_e64 v44, s[8:9], v44, v31
	s_waitcnt lgkmcnt(0)
	v_addc_co_u32_e64 v43, s[8:9], v43, v27, s[8:9]
	v_cmp_gt_u32_e64 s[8:9], v42, v21
	v_cndmask_b32_e64 v27, v43, v27, s[8:9]
	v_cndmask_b32_e64 v43, 0, 1, s[10:11]
	v_lshlrev_b32_e32 v43, 4, v43
	v_cndmask_b32_e64 v26, v44, v26, s[8:9]
	v_add_lshl_u32 v43, v43, v30, 2
	ds_bpermute_b32 v45, v43, v26
	ds_bpermute_b32 v46, v43, v27
	v_cndmask_b32_e64 v31, v44, v31, s[8:9]
	v_cmp_gt_u32_e64 s[10:11], 32, v32
	v_add_u32_e32 v44, 16, v32
	s_waitcnt lgkmcnt(1)
	v_add_co_u32_e64 v47, s[8:9], v45, v31
	s_waitcnt lgkmcnt(0)
	v_addc_co_u32_e64 v46, s[8:9], v46, v27, s[8:9]
	v_cndmask_b32_e64 v45, 0, 1, s[10:11]
	v_cmp_gt_u32_e64 s[8:9], v44, v21
	v_lshlrev_b32_e32 v45, 5, v45
	v_cndmask_b32_e64 v26, v47, v26, s[8:9]
	v_add_lshl_u32 v45, v45, v30, 2
	v_cndmask_b32_e64 v27, v46, v27, s[8:9]
	ds_bpermute_b32 v26, v45, v26
	ds_bpermute_b32 v30, v45, v27
	v_add_u32_e32 v46, 32, v32
	v_cndmask_b32_e64 v31, v47, v31, s[8:9]
	v_cmp_le_u32_e64 s[8:9], v46, v21
	s_waitcnt lgkmcnt(1)
	v_cndmask_b32_e64 v26, 0, v26, s[8:9]
	s_waitcnt lgkmcnt(0)
	v_cndmask_b32_e64 v21, 0, v30, s[8:9]
	v_add_co_u32_e64 v26, s[8:9], v26, v31
	v_addc_co_u32_e64 v21, s[8:9], v21, v27, s[8:9]
	v_mov_b32_e32 v25, 0
	v_cndmask_b32_e32 v19, v19, v21, vcc
	v_cndmask_b32_e32 v18, v18, v26, vcc
	s_branch .LBB4468_36
.LBB4468_35:                            ;   in Loop: Header=BB4468_36 Depth=1
	s_or_b64 exec, exec, s[8:9]
	v_cmp_eq_u16_sdwa s[8:9], v20, v1 src0_sel:BYTE_0 src1_sel:DWORD
	v_and_b32_e32 v21, s9, v17
	v_or_b32_e32 v21, 0x80000000, v21
	ds_bpermute_b32 v31, v33, v18
	v_and_b32_e32 v30, s8, v16
	v_ffbl_b32_e32 v21, v21
	v_add_u32_e32 v21, 32, v21
	v_ffbl_b32_e32 v30, v30
	v_min_u32_e32 v21, v30, v21
	ds_bpermute_b32 v30, v33, v19
	s_waitcnt lgkmcnt(1)
	v_add_co_u32_e32 v31, vcc, v18, v31
	v_addc_co_u32_e32 v47, vcc, 0, v19, vcc
	v_add_co_u32_e32 v48, vcc, 0, v31
	s_waitcnt lgkmcnt(0)
	v_addc_co_u32_e32 v30, vcc, v30, v47, vcc
	v_cmp_lt_u32_e32 vcc, v32, v21
	v_cndmask_b32_e32 v31, v18, v31, vcc
	ds_bpermute_b32 v47, v34, v31
	v_cndmask_b32_e32 v30, v19, v30, vcc
	ds_bpermute_b32 v49, v34, v30
	v_cndmask_b32_e32 v48, v18, v48, vcc
	v_subrev_u32_e32 v24, 64, v24
	s_waitcnt lgkmcnt(1)
	v_add_co_u32_e64 v47, s[8:9], v47, v48
	s_waitcnt lgkmcnt(0)
	v_addc_co_u32_e64 v49, s[8:9], v49, v30, s[8:9]
	v_cmp_gt_u32_e64 s[8:9], v35, v21
	v_cndmask_b32_e64 v31, v47, v31, s[8:9]
	ds_bpermute_b32 v50, v39, v31
	v_cndmask_b32_e64 v30, v49, v30, s[8:9]
	ds_bpermute_b32 v49, v39, v30
	v_cndmask_b32_e64 v47, v47, v48, s[8:9]
	s_waitcnt lgkmcnt(1)
	v_add_co_u32_e64 v48, s[8:9], v50, v47
	s_waitcnt lgkmcnt(0)
	v_addc_co_u32_e64 v49, s[8:9], v49, v30, s[8:9]
	v_cmp_gt_u32_e64 s[8:9], v40, v21
	v_cndmask_b32_e64 v31, v48, v31, s[8:9]
	ds_bpermute_b32 v50, v41, v31
	v_cndmask_b32_e64 v30, v49, v30, s[8:9]
	ds_bpermute_b32 v49, v41, v30
	v_cndmask_b32_e64 v47, v48, v47, s[8:9]
	;; [unrolled: 10-line block ×3, first 2 shown]
	s_waitcnt lgkmcnt(1)
	v_add_co_u32_e64 v48, s[8:9], v50, v47
	s_waitcnt lgkmcnt(0)
	v_addc_co_u32_e64 v49, s[8:9], v49, v30, s[8:9]
	v_cmp_gt_u32_e64 s[8:9], v44, v21
	v_cndmask_b32_e64 v31, v48, v31, s[8:9]
	v_cndmask_b32_e64 v30, v49, v30, s[8:9]
	ds_bpermute_b32 v31, v45, v31
	ds_bpermute_b32 v49, v45, v30
	v_cndmask_b32_e64 v47, v48, v47, s[8:9]
	v_cmp_le_u32_e64 s[8:9], v46, v21
	s_waitcnt lgkmcnt(1)
	v_cndmask_b32_e64 v31, 0, v31, s[8:9]
	s_waitcnt lgkmcnt(0)
	v_cndmask_b32_e64 v21, 0, v49, s[8:9]
	v_add_co_u32_e64 v31, s[8:9], v31, v47
	v_addc_co_u32_e64 v21, s[8:9], v21, v30, s[8:9]
	v_cndmask_b32_e32 v18, v18, v31, vcc
	v_cndmask_b32_e32 v19, v19, v21, vcc
	v_add_co_u32_e32 v18, vcc, v18, v26
	v_addc_co_u32_e32 v19, vcc, v19, v27, vcc
.LBB4468_36:                            ; =>This Loop Header: Depth=1
                                        ;     Child Loop BB4468_39 Depth 2
                                        ;       Child Loop BB4468_40 Depth 3
	v_cmp_ne_u16_sdwa s[8:9], v20, v1 src0_sel:BYTE_0 src1_sel:DWORD
	v_cndmask_b32_e64 v20, 0, 1, s[8:9]
	;;#ASMSTART
	;;#ASMEND
	v_cmp_ne_u32_e32 vcc, 0, v20
	s_cmp_lg_u64 vcc, exec
	v_pk_mov_b32 v[26:27], v[18:19], v[18:19] op_sel:[0,1]
	s_cbranch_scc1 .LBB4468_43
; %bb.37:                               ;   in Loop: Header=BB4468_36 Depth=1
	v_lshlrev_b64 v[18:19], 4, v[24:25]
	v_mov_b32_e32 v20, s21
	v_add_co_u32_e32 v30, vcc, s20, v18
	v_addc_co_u32_e32 v31, vcc, v20, v19, vcc
	;;#ASMSTART
	global_load_dwordx4 v[18:21], v[30:31] off glc	
s_waitcnt vmcnt(0)
	;;#ASMEND
	v_and_b32_e32 v21, 0xff, v19
	v_and_b32_e32 v47, 0xff00, v19
	v_or3_b32 v21, 0, v21, v47
	v_or3_b32 v18, v18, 0, 0
	v_and_b32_e32 v47, 0xff000000, v19
	v_and_b32_e32 v19, 0xff0000, v19
	v_or3_b32 v19, v21, v19, v47
	v_or3_b32 v18, v18, 0, 0
	v_cmp_eq_u16_sdwa s[10:11], v20, v25 src0_sel:BYTE_0 src1_sel:DWORD
	s_and_saveexec_b64 s[8:9], s[10:11]
	s_cbranch_execz .LBB4468_35
; %bb.38:                               ;   in Loop: Header=BB4468_36 Depth=1
	s_mov_b32 s7, 1
	s_mov_b64 s[10:11], 0
.LBB4468_39:                            ;   Parent Loop BB4468_36 Depth=1
                                        ; =>  This Loop Header: Depth=2
                                        ;       Child Loop BB4468_40 Depth 3
	s_max_u32 s26, s7, 1
.LBB4468_40:                            ;   Parent Loop BB4468_36 Depth=1
                                        ;     Parent Loop BB4468_39 Depth=2
                                        ; =>    This Inner Loop Header: Depth=3
	s_add_i32 s26, s26, -1
	s_cmp_eq_u32 s26, 0
	s_sleep 1
	s_cbranch_scc0 .LBB4468_40
; %bb.41:                               ;   in Loop: Header=BB4468_39 Depth=2
	s_cmp_lt_u32 s7, 32
	s_cselect_b64 s[26:27], -1, 0
	s_cmp_lg_u64 s[26:27], 0
	s_addc_u32 s7, s7, 0
	;;#ASMSTART
	global_load_dwordx4 v[18:21], v[30:31] off glc	
s_waitcnt vmcnt(0)
	;;#ASMEND
	v_cmp_ne_u16_sdwa s[26:27], v20, v25 src0_sel:BYTE_0 src1_sel:DWORD
	s_or_b64 s[10:11], s[26:27], s[10:11]
	s_andn2_b64 exec, exec, s[10:11]
	s_cbranch_execnz .LBB4468_39
; %bb.42:                               ;   in Loop: Header=BB4468_36 Depth=1
	s_or_b64 exec, exec, s[10:11]
	s_branch .LBB4468_35
.LBB4468_43:                            ;   in Loop: Header=BB4468_36 Depth=1
                                        ; implicit-def: $vgpr18_vgpr19
                                        ; implicit-def: $vgpr20
	s_cbranch_execz .LBB4468_36
; %bb.44:
	s_and_saveexec_b64 s[8:9], s[2:3]
	s_cbranch_execz .LBB4468_46
; %bb.45:
	s_add_i32 s2, s6, 64
	s_mov_b32 s3, 0
	s_lshl_b64 s[2:3], s[2:3], 4
	s_add_u32 s2, s20, s2
	v_add_co_u32_e32 v14, vcc, v26, v14
	s_addc_u32 s3, s21, s3
	v_addc_co_u32_e32 v15, vcc, v27, v15, vcc
	v_mov_b32_e32 v16, 2
	v_mov_b32_e32 v17, 0
	v_pk_mov_b32 v[18:19], s[2:3], s[2:3] op_sel:[0,1]
	;;#ASMSTART
	global_store_dwordx4 v[18:19], v[14:17] off	
s_waitcnt vmcnt(0)
	;;#ASMEND
.LBB4468_46:
	s_or_b64 exec, exec, s[8:9]
	s_and_b64 exec, exec, s[0:1]
	s_cbranch_execz .LBB4468_48
; %bb.47:
	v_mov_b32_e32 v1, 0
	ds_write_b64 v1, v[26:27]
.LBB4468_48:
	s_or_b64 exec, exec, s[22:23]
	v_mov_b32_e32 v1, 0
	s_waitcnt lgkmcnt(0)
	s_barrier
	ds_read_b64 v[14:15], v1
	v_add_co_u32_e32 v1, vcc, v22, v2
	v_addc_co_u32_e32 v16, vcc, v23, v3, vcc
	s_waitcnt lgkmcnt(0)
	v_add_co_u32_e32 v24, vcc, v1, v14
	v_addc_co_u32_e32 v25, vcc, v16, v15, vcc
	v_add_co_u32_e32 v30, vcc, v24, v4
	v_addc_co_u32_e32 v31, vcc, v25, v5, vcc
	;; [unrolled: 2-line block ×7, first 2 shown]
	s_load_dwordx8 s[4:11], s[4:5], 0x40
	s_branch .LBB4468_63
.LBB4468_49:
                                        ; implicit-def: $vgpr22_vgpr23
                                        ; implicit-def: $vgpr34_vgpr35
                                        ; implicit-def: $vgpr32_vgpr33
                                        ; implicit-def: $vgpr30_vgpr31
                                        ; implicit-def: $vgpr18_vgpr19_vgpr20_vgpr21
                                        ; implicit-def: $vgpr14_vgpr15_vgpr16_vgpr17
                                        ; implicit-def: $vgpr24_vgpr25_vgpr26_vgpr27
	s_load_dwordx8 s[4:11], s[4:5], 0x40
	s_cbranch_execz .LBB4468_63
; %bb.50:
	s_waitcnt lgkmcnt(0)
	s_cmp_lg_u64 s[8:9], 0
	s_cselect_b64 s[2:3], -1, 0
	v_cmp_eq_u32_e64 s[0:1], 0, v0
	v_cmp_ne_u32_e32 vcc, 0, v0
	s_and_b64 s[2:3], s[0:1], s[2:3]
	s_and_saveexec_b64 s[8:9], s[2:3]
	s_cbranch_execz .LBB4468_52
; %bb.51:
	v_mov_b32_e32 v1, 0
	global_load_dwordx2 v[14:15], v1, s[4:5]
	s_waitcnt vmcnt(0)
	v_add_co_u32_e64 v2, s[2:3], v14, v2
	v_addc_co_u32_e64 v3, s[2:3], v15, v3, s[2:3]
.LBB4468_52:
	s_or_b64 exec, exec, s[8:9]
	v_add_co_u32_e64 v30, s[2:3], v4, v2
	v_addc_co_u32_e64 v31, s[2:3], v5, v3, s[2:3]
	v_add_co_u32_e64 v14, s[2:3], v30, v10
	v_addc_co_u32_e64 v15, s[2:3], v31, v11, s[2:3]
	;; [unrolled: 2-line block ×6, first 2 shown]
	v_add_lshl_u32 v1, v38, v0, 3
	v_cmp_gt_u32_e64 s[2:3], 64, v0
	ds_write_b64 v1, v[22:23]
	s_waitcnt lgkmcnt(0)
	s_barrier
	s_and_saveexec_b64 s[8:9], s[2:3]
	s_cbranch_execz .LBB4468_56
; %bb.53:
	v_lshlrev_b32_e32 v1, 1, v0
	v_lshrrev_b32_e32 v16, 4, v0
	v_add_lshl_u32 v17, v16, v1, 3
	ds_read2_b64 v[24:27], v17 offset1:1
	v_mbcnt_lo_u32_b32 v1, -1, 0
	v_mbcnt_hi_u32_b32 v20, -1, v1
	v_and_b32_e32 v1, 15, v20
	v_cmp_ne_u32_e64 s[4:5], 0, v20
	s_waitcnt lgkmcnt(0)
	v_add_co_u32_e64 v21, s[2:3], v26, v24
	v_addc_co_u32_e64 v26, s[2:3], v27, v25, s[2:3]
	s_nop 0
	v_mov_b32_dpp v16, v21 row_shr:1 row_mask:0xf bank_mask:0xf
	v_add_co_u32_e64 v16, s[2:3], v21, v16
	v_addc_co_u32_e64 v38, s[2:3], 0, v26, s[2:3]
	v_mov_b32_dpp v27, v26 row_shr:1 row_mask:0xf bank_mask:0xf
	v_add_co_u32_e64 v39, s[2:3], 0, v16
	v_addc_co_u32_e64 v27, s[2:3], v27, v38, s[2:3]
	v_cmp_eq_u32_e64 s[2:3], 0, v1
	v_cndmask_b32_e64 v16, v16, v21, s[2:3]
	v_cndmask_b32_e64 v27, v27, v26, s[2:3]
	v_cndmask_b32_e64 v38, v39, v21, s[2:3]
	v_mov_b32_dpp v39, v16 row_shr:2 row_mask:0xf bank_mask:0xf
	v_mov_b32_dpp v40, v27 row_shr:2 row_mask:0xf bank_mask:0xf
	v_add_co_u32_e64 v39, s[2:3], v39, v38
	v_addc_co_u32_e64 v40, s[2:3], v40, v27, s[2:3]
	v_cmp_lt_u32_e64 s[2:3], 1, v1
	v_cndmask_b32_e64 v16, v16, v39, s[2:3]
	v_cndmask_b32_e64 v27, v27, v40, s[2:3]
	v_cndmask_b32_e64 v38, v38, v39, s[2:3]
	v_mov_b32_dpp v39, v16 row_shr:4 row_mask:0xf bank_mask:0xf
	v_mov_b32_dpp v40, v27 row_shr:4 row_mask:0xf bank_mask:0xf
	v_add_co_u32_e64 v39, s[2:3], v39, v38
	v_addc_co_u32_e64 v40, s[2:3], v40, v27, s[2:3]
	v_cmp_lt_u32_e64 s[2:3], 3, v1
	;; [unrolled: 8-line block ×3, first 2 shown]
	v_cndmask_b32_e64 v41, v16, v39, s[2:3]
	v_cndmask_b32_e64 v1, v27, v40, s[2:3]
	;; [unrolled: 1-line block ×3, first 2 shown]
	v_mov_b32_dpp v27, v41 row_bcast:15 row_mask:0xf bank_mask:0xf
	v_mov_b32_dpp v38, v1 row_bcast:15 row_mask:0xf bank_mask:0xf
	v_add_co_u32_e64 v27, s[2:3], v27, v16
	v_and_b32_e32 v40, 16, v20
	v_addc_co_u32_e64 v39, s[2:3], v38, v1, s[2:3]
	v_cmp_eq_u32_e64 s[2:3], 0, v40
	v_cndmask_b32_e64 v40, v39, v1, s[2:3]
	v_cndmask_b32_e64 v38, v27, v41, s[2:3]
	s_nop 0
	v_mov_b32_dpp v40, v40 row_bcast:31 row_mask:0xf bank_mask:0xf
	v_mov_b32_dpp v38, v38 row_bcast:31 row_mask:0xf bank_mask:0xf
	s_and_saveexec_b64 s[22:23], s[4:5]
; %bb.54:
	v_cndmask_b32_e64 v1, v39, v1, s[2:3]
	v_cndmask_b32_e64 v16, v27, v16, s[2:3]
	v_cmp_lt_u32_e64 s[2:3], 31, v20
	v_cndmask_b32_e64 v21, 0, v38, s[2:3]
	v_cndmask_b32_e64 v26, 0, v40, s[2:3]
	v_add_co_u32_e64 v21, s[2:3], v21, v16
	v_addc_co_u32_e64 v26, s[2:3], v26, v1, s[2:3]
; %bb.55:
	s_or_b64 exec, exec, s[22:23]
	v_add_u32_e32 v1, -1, v20
	v_and_b32_e32 v16, 64, v20
	v_cmp_lt_i32_e64 s[2:3], v1, v16
	v_cndmask_b32_e64 v1, v1, v20, s[2:3]
	v_lshlrev_b32_e32 v1, 2, v1
	ds_bpermute_b32 v16, v1, v21
	ds_bpermute_b32 v1, v1, v26
	; wave barrier
	s_waitcnt lgkmcnt(1)
	v_add_co_u32_e64 v16, s[2:3], v24, v16
	v_addc_co_u32_e64 v20, s[2:3], 0, v25, s[2:3]
	v_add_co_u32_e64 v16, s[2:3], 0, v16
	s_waitcnt lgkmcnt(0)
	v_addc_co_u32_e64 v1, s[2:3], v20, v1, s[2:3]
	v_cndmask_b32_e64 v21, v1, v23, s[0:1]
	v_cndmask_b32_e64 v20, v16, v22, s[0:1]
	ds_write_b64 v17, v[20:21]
	; wave barrier
	ds_read_b64 v[24:25], v17 offset:8
	s_waitcnt lgkmcnt(0)
	v_add_co_u32_e64 v20, s[0:1], v24, v20
	v_addc_co_u32_e64 v21, s[0:1], v25, v21, s[0:1]
	ds_write_b64 v17, v[20:21] offset:8
.LBB4468_56:
	s_or_b64 exec, exec, s[8:9]
	v_pk_mov_b32 v[16:17], v[22:23], v[22:23] op_sel:[0,1]
	s_waitcnt lgkmcnt(0)
	s_barrier
	s_and_saveexec_b64 s[0:1], vcc
	s_cbranch_execz .LBB4468_58
; %bb.57:
	v_add_u32_e32 v1, -1, v0
	v_lshrrev_b32_e32 v16, 5, v1
	v_add_lshl_u32 v1, v16, v1, 3
	ds_read_b64 v[16:17], v1
.LBB4468_58:
	s_or_b64 exec, exec, s[0:1]
	s_and_saveexec_b64 s[0:1], vcc
	s_cbranch_execz .LBB4468_60
; %bb.59:
	s_waitcnt lgkmcnt(0)
	v_add_co_u32_e32 v2, vcc, v16, v2
	v_addc_co_u32_e32 v3, vcc, v17, v3, vcc
	v_add_co_u32_e32 v30, vcc, v2, v4
	v_addc_co_u32_e32 v31, vcc, v3, v5, vcc
	;; [unrolled: 2-line block ×7, first 2 shown]
	;;#ASMSTART
	;;#ASMEND
.LBB4468_60:
	s_or_b64 exec, exec, s[0:1]
	s_movk_i32 s0, 0x7f
	v_cmp_eq_u32_e32 vcc, s0, v0
	s_and_saveexec_b64 s[0:1], vcc
	s_cbranch_execz .LBB4468_62
; %bb.61:
	s_add_u32 s2, s20, 0x400
	s_addc_u32 s3, s21, 0
	v_mov_b32_e32 v24, 2
	v_mov_b32_e32 v25, 0
	v_pk_mov_b32 v[4:5], s[2:3], s[2:3] op_sel:[0,1]
	;;#ASMSTART
	global_store_dwordx4 v[4:5], v[22:25] off	
s_waitcnt vmcnt(0)
	;;#ASMEND
.LBB4468_62:
	s_or_b64 exec, exec, s[0:1]
	v_pk_mov_b32 v[24:25], v[2:3], v[2:3] op_sel:[0,1]
.LBB4468_63:
	s_add_u32 s0, s12, s16
	s_addc_u32 s1, s13, s17
	s_add_u32 s2, s0, s18
	s_addc_u32 s3, s1, s19
	s_mov_b64 s[0:1], -1
	s_and_b64 vcc, exec, s[14:15]
	v_mul_u32_u24_e32 v1, 56, v0
	s_waitcnt lgkmcnt(0)
	s_barrier
	s_cbranch_vccz .LBB4468_65
; %bb.64:
	v_mul_i32_i24_e32 v2, 0xffffffd0, v0
	v_mad_u32_u24 v16, v0, 56, v2
	ds_write2_b64 v1, v[24:25], v[30:31] offset1:1
	ds_write2_b64 v1, v[14:15], v[32:33] offset0:2 offset1:3
	ds_write2_b64 v1, v[18:19], v[34:35] offset0:4 offset1:5
	ds_write_b64 v1, v[22:23] offset:48
	s_waitcnt lgkmcnt(0)
	s_barrier
	ds_read2st64_b64 v[2:5], v16 offset1:2
	ds_read2st64_b64 v[6:9], v16 offset0:4 offset1:6
	ds_read2st64_b64 v[10:13], v16 offset0:8 offset1:10
	ds_read_b64 v[16:17], v16 offset:6144
	v_mov_b32_e32 v21, s3
	v_add_co_u32_e32 v20, vcc, s2, v36
	v_addc_co_u32_e32 v21, vcc, 0, v21, vcc
	s_waitcnt lgkmcnt(3)
	flat_store_dwordx2 v[20:21], v[2:3]
	flat_store_dwordx2 v[20:21], v[4:5] offset:1024
	s_waitcnt lgkmcnt(0)
	flat_store_dwordx2 v[20:21], v[6:7] offset:2048
	flat_store_dwordx2 v[20:21], v[8:9] offset:3072
	v_add_co_u32_e32 v2, vcc, 0x1000, v20
	v_addc_co_u32_e32 v3, vcc, 0, v21, vcc
	flat_store_dwordx2 v[2:3], v[10:11]
	flat_store_dwordx2 v[2:3], v[12:13] offset:1024
	flat_store_dwordx2 v[2:3], v[16:17] offset:2048
	s_mov_b64 s[0:1], 0
.LBB4468_65:
	s_andn2_b64 vcc, exec, s[0:1]
	s_cbranch_vccnz .LBB4468_104
; %bb.66:
	v_mul_i32_i24_e32 v2, 0xffffffd0, v0
	ds_write2_b64 v1, v[24:25], v[30:31] offset1:1
	ds_write2_b64 v1, v[14:15], v[32:33] offset0:2 offset1:3
	ds_write2_b64 v1, v[18:19], v[34:35] offset0:4 offset1:5
	ds_write_b64 v1, v[22:23] offset:48
	v_mad_u32_u24 v14, v0, 56, v2
	s_waitcnt lgkmcnt(0)
	s_barrier
	ds_read2st64_b64 v[2:5], v14 offset1:2
	ds_read2st64_b64 v[6:9], v14 offset0:4 offset1:6
	ds_read2st64_b64 v[10:13], v14 offset0:8 offset1:10
	ds_read_b64 v[14:15], v14 offset:6144
	v_mov_b32_e32 v17, s3
	v_add_co_u32_e32 v16, vcc, s2, v36
	v_addc_co_u32_e32 v17, vcc, 0, v17, vcc
	v_mov_b32_e32 v1, 0
	v_cmp_gt_u32_e32 vcc, s24, v0
	s_and_saveexec_b64 s[0:1], vcc
	s_cbranch_execz .LBB4468_68
; %bb.67:
	s_waitcnt lgkmcnt(0)
	flat_store_dwordx2 v[16:17], v[2:3]
.LBB4468_68:
	s_or_b64 exec, exec, s[0:1]
	v_or_b32_e32 v18, 0x80, v0
	v_cmp_gt_u32_e32 vcc, s24, v18
	s_and_saveexec_b64 s[0:1], vcc
	s_cbranch_execz .LBB4468_70
; %bb.69:
	s_waitcnt lgkmcnt(0)
	flat_store_dwordx2 v[16:17], v[4:5] offset:1024
.LBB4468_70:
	s_or_b64 exec, exec, s[0:1]
	v_or_b32_e32 v18, 0x100, v0
	v_cmp_gt_u32_e32 vcc, s24, v18
	s_and_saveexec_b64 s[0:1], vcc
	s_cbranch_execz .LBB4468_72
; %bb.71:
	s_waitcnt lgkmcnt(0)
	flat_store_dwordx2 v[16:17], v[6:7] offset:2048
.LBB4468_72:
	;; [unrolled: 9-line block ×3, first 2 shown]
	s_or_b64 exec, exec, s[0:1]
	v_or_b32_e32 v18, 0x200, v0
	v_cmp_gt_u32_e32 vcc, s24, v18
	s_and_saveexec_b64 s[0:1], vcc
	s_cbranch_execz .LBB4468_76
; %bb.75:
	v_add_co_u32_e32 v18, vcc, 0x1000, v16
	v_addc_co_u32_e32 v19, vcc, 0, v17, vcc
	s_waitcnt lgkmcnt(0)
	flat_store_dwordx2 v[18:19], v[10:11]
.LBB4468_76:
	s_or_b64 exec, exec, s[0:1]
	v_or_b32_e32 v18, 0x280, v0
	v_cmp_gt_u32_e32 vcc, s24, v18
	s_and_saveexec_b64 s[0:1], vcc
	s_cbranch_execz .LBB4468_78
; %bb.77:
	v_add_co_u32_e32 v18, vcc, 0x1000, v16
	v_addc_co_u32_e32 v19, vcc, 0, v17, vcc
	s_waitcnt lgkmcnt(0)
	flat_store_dwordx2 v[18:19], v[12:13] offset:1024
.LBB4468_78:
	s_or_b64 exec, exec, s[0:1]
	v_or_b32_e32 v18, 0x300, v0
	v_cmp_gt_u32_e32 vcc, s24, v18
	s_and_saveexec_b64 s[0:1], vcc
	s_cbranch_execz .LBB4468_80
; %bb.79:
	v_add_co_u32_e32 v16, vcc, 0x1000, v16
	v_addc_co_u32_e32 v17, vcc, 0, v17, vcc
	s_waitcnt lgkmcnt(0)
	flat_store_dwordx2 v[16:17], v[14:15] offset:2048
.LBB4468_80:
	s_or_b64 exec, exec, s[0:1]
	v_cmp_lt_u64_e64 s[0:1], s[10:11], 2
	s_and_b64 vcc, exec, s[0:1]
	s_cbranch_vccnz .LBB4468_104
; %bb.81:
	s_add_u32 s0, s24, -1
	s_addc_u32 s1, s25, -1
	s_add_u32 s2, 0, 0x92481000
	s_addc_u32 s3, 0, 0x64
	s_add_i32 s3, s3, 0x249248c0
	s_mul_hi_u32 s9, s2, -7
	s_sub_i32 s9, s9, s2
	s_mul_i32 s10, s3, -7
	s_mul_i32 s4, s2, -7
	s_add_i32 s9, s9, s10
	s_mul_hi_u32 s5, s3, s4
	s_mul_i32 s8, s3, s4
	s_mul_i32 s11, s2, s9
	s_mul_hi_u32 s4, s2, s4
	s_mul_hi_u32 s10, s2, s9
	s_add_u32 s4, s4, s11
	s_addc_u32 s10, 0, s10
	s_add_u32 s4, s4, s8
	s_mul_hi_u32 s11, s3, s9
	s_addc_u32 s4, s10, s5
	s_addc_u32 s5, s11, 0
	s_mul_i32 s8, s3, s9
	s_add_u32 s4, s4, s8
	v_mov_b32_e32 v16, s4
	s_addc_u32 s5, 0, s5
	v_add_co_u32_e32 v16, vcc, s2, v16
	s_cmp_lg_u64 vcc, 0
	s_addc_u32 s2, s3, s5
	v_readfirstlane_b32 s5, v16
	s_mul_i32 s4, s0, s2
	s_mul_hi_u32 s8, s0, s5
	s_mul_hi_u32 s3, s0, s2
	s_add_u32 s4, s8, s4
	s_addc_u32 s3, 0, s3
	s_mul_hi_u32 s9, s1, s5
	s_mul_i32 s5, s1, s5
	s_add_u32 s4, s4, s5
	s_mul_hi_u32 s8, s1, s2
	s_addc_u32 s3, s3, s9
	s_addc_u32 s4, s8, 0
	s_mul_i32 s2, s1, s2
	s_add_u32 s2, s3, s2
	s_addc_u32 s3, 0, s4
	s_add_u32 s4, s2, 1
	s_addc_u32 s5, s3, 0
	s_add_u32 s8, s2, 2
	s_mul_i32 s10, s3, 7
	s_mul_hi_u32 s11, s2, 7
	s_addc_u32 s9, s3, 0
	s_add_i32 s11, s11, s10
	s_mul_i32 s10, s2, 7
	v_mov_b32_e32 v16, s10
	v_sub_co_u32_e32 v16, vcc, s0, v16
	s_cmp_lg_u64 vcc, 0
	s_subb_u32 s10, s1, s11
	v_subrev_co_u32_e32 v17, vcc, 7, v16
	s_cmp_lg_u64 vcc, 0
	s_subb_u32 s11, s10, 0
	v_readfirstlane_b32 s12, v17
	s_cmp_gt_u32 s12, 6
	s_cselect_b32 s12, -1, 0
	s_cmp_eq_u32 s11, 0
	s_cselect_b32 s11, s12, -1
	s_cmp_lg_u32 s11, 0
	s_cselect_b32 s4, s8, s4
	v_readfirstlane_b32 s8, v16
	s_cselect_b32 s5, s9, s5
	s_cmp_gt_u32 s8, 6
	s_cselect_b32 s8, -1, 0
	s_cmp_eq_u32 s10, 0
	s_cselect_b32 s8, s8, -1
	s_cmp_lg_u32 s8, 0
	s_cselect_b32 s3, s5, s3
	s_cselect_b32 s2, s4, s2
	v_cmp_eq_u64_e32 vcc, s[2:3], v[0:1]
	s_and_saveexec_b64 s[2:3], vcc
	s_cbranch_execz .LBB4468_104
; %bb.82:
	v_mul_hi_u32_u24_e32 v1, 7, v0
	v_mov_b32_e32 v16, s1
	v_sub_co_u32_e32 v0, vcc, s0, v37
	v_subb_co_u32_e32 v1, vcc, v16, v1, vcc
	v_cmp_lt_i64_e32 vcc, 3, v[0:1]
	s_and_saveexec_b64 s[0:1], vcc
	s_xor_b64 s[0:1], exec, s[0:1]
	s_cbranch_execz .LBB4468_92
; %bb.83:
	v_cmp_lt_i64_e32 vcc, 4, v[0:1]
	s_and_saveexec_b64 s[2:3], vcc
	s_xor_b64 s[2:3], exec, s[2:3]
	s_cbranch_execz .LBB4468_89
; %bb.84:
	;; [unrolled: 5-line block ×3, first 2 shown]
	v_mov_b32_e32 v0, 0
	s_waitcnt lgkmcnt(0)
	global_store_dwordx2 v0, v[14:15], s[6:7]
                                        ; implicit-def: $vgpr10_vgpr11_vgpr12_vgpr13
.LBB4468_86:
	s_andn2_saveexec_b64 s[4:5], s[4:5]
	s_cbranch_execz .LBB4468_88
; %bb.87:
	v_mov_b32_e32 v0, 0
	s_waitcnt lgkmcnt(0)
	global_store_dwordx2 v0, v[12:13], s[6:7]
.LBB4468_88:
	s_or_b64 exec, exec, s[4:5]
                                        ; implicit-def: $vgpr10_vgpr11_vgpr12_vgpr13
.LBB4468_89:
	s_andn2_saveexec_b64 s[2:3], s[2:3]
	s_cbranch_execz .LBB4468_91
; %bb.90:
	v_mov_b32_e32 v0, 0
	s_waitcnt lgkmcnt(0)
	global_store_dwordx2 v0, v[10:11], s[6:7]
.LBB4468_91:
	s_or_b64 exec, exec, s[2:3]
                                        ; implicit-def: $vgpr0_vgpr1
                                        ; implicit-def: $vgpr2_vgpr3_vgpr4_vgpr5
                                        ; implicit-def: $vgpr6_vgpr7_vgpr8_vgpr9
.LBB4468_92:
	s_andn2_saveexec_b64 s[0:1], s[0:1]
	s_cbranch_execz .LBB4468_104
; %bb.93:
	v_cmp_lt_i64_e32 vcc, 1, v[0:1]
	s_and_saveexec_b64 s[0:1], vcc
	s_xor_b64 s[0:1], exec, s[0:1]
	s_cbranch_execz .LBB4468_99
; %bb.94:
	v_cmp_lt_i64_e32 vcc, 2, v[0:1]
	s_and_saveexec_b64 s[2:3], vcc
	s_xor_b64 s[2:3], exec, s[2:3]
	s_cbranch_execz .LBB4468_96
; %bb.95:
	v_mov_b32_e32 v0, 0
	s_waitcnt lgkmcnt(0)
	global_store_dwordx2 v0, v[8:9], s[6:7]
                                        ; implicit-def: $vgpr6_vgpr7_vgpr8_vgpr9
.LBB4468_96:
	s_andn2_saveexec_b64 s[2:3], s[2:3]
	s_cbranch_execz .LBB4468_98
; %bb.97:
	v_mov_b32_e32 v0, 0
	s_waitcnt lgkmcnt(0)
	global_store_dwordx2 v0, v[6:7], s[6:7]
.LBB4468_98:
	s_or_b64 exec, exec, s[2:3]
                                        ; implicit-def: $vgpr2_vgpr3_vgpr4_vgpr5
                                        ; implicit-def: $vgpr0_vgpr1
.LBB4468_99:
	s_andn2_saveexec_b64 s[0:1], s[0:1]
	s_cbranch_execz .LBB4468_104
; %bb.100:
	v_cmp_ne_u64_e32 vcc, 1, v[0:1]
	s_and_saveexec_b64 s[0:1], vcc
	s_xor_b64 s[0:1], exec, s[0:1]
	s_cbranch_execz .LBB4468_102
; %bb.101:
	v_mov_b32_e32 v0, 0
	s_waitcnt lgkmcnt(0)
	global_store_dwordx2 v0, v[2:3], s[6:7]
                                        ; implicit-def: $vgpr2_vgpr3_vgpr4_vgpr5
.LBB4468_102:
	s_andn2_saveexec_b64 s[0:1], s[0:1]
	s_cbranch_execz .LBB4468_104
; %bb.103:
	v_mov_b32_e32 v0, 0
	s_waitcnt lgkmcnt(0)
	global_store_dwordx2 v0, v[4:5], s[6:7]
.LBB4468_104:
	s_endpgm
	.section	.rodata,"a",@progbits
	.p2align	6, 0x0
	.amdhsa_kernel _ZN7rocprim17ROCPRIM_400000_NS6detail17trampoline_kernelINS0_14default_configENS1_20scan_config_selectorIyEEZZNS1_9scan_implILNS1_25lookback_scan_determinismE0ELb0ELb0ES3_N6thrust23THRUST_200600_302600_NS6detail15normal_iteratorINS9_10device_ptrIyEEEESE_yNS9_4plusIvEEyEEDaPvRmT3_T4_T5_mT6_P12ihipStream_tbENKUlT_T0_E_clISt17integral_constantIbLb1EEST_IbLb0EEEEDaSP_SQ_EUlSP_E_NS1_11comp_targetILNS1_3genE4ELNS1_11target_archE910ELNS1_3gpuE8ELNS1_3repE0EEENS1_30default_config_static_selectorELNS0_4arch9wavefront6targetE1EEEvT1_
		.amdhsa_group_segment_fixed_size 7168
		.amdhsa_private_segment_fixed_size 0
		.amdhsa_kernarg_size 104
		.amdhsa_user_sgpr_count 6
		.amdhsa_user_sgpr_private_segment_buffer 1
		.amdhsa_user_sgpr_dispatch_ptr 0
		.amdhsa_user_sgpr_queue_ptr 0
		.amdhsa_user_sgpr_kernarg_segment_ptr 1
		.amdhsa_user_sgpr_dispatch_id 0
		.amdhsa_user_sgpr_flat_scratch_init 0
		.amdhsa_user_sgpr_kernarg_preload_length 0
		.amdhsa_user_sgpr_kernarg_preload_offset 0
		.amdhsa_user_sgpr_private_segment_size 0
		.amdhsa_uses_dynamic_stack 0
		.amdhsa_system_sgpr_private_segment_wavefront_offset 0
		.amdhsa_system_sgpr_workgroup_id_x 1
		.amdhsa_system_sgpr_workgroup_id_y 0
		.amdhsa_system_sgpr_workgroup_id_z 0
		.amdhsa_system_sgpr_workgroup_info 0
		.amdhsa_system_vgpr_workitem_id 0
		.amdhsa_next_free_vgpr 51
		.amdhsa_next_free_sgpr 28
		.amdhsa_accum_offset 52
		.amdhsa_reserve_vcc 1
		.amdhsa_reserve_flat_scratch 0
		.amdhsa_float_round_mode_32 0
		.amdhsa_float_round_mode_16_64 0
		.amdhsa_float_denorm_mode_32 3
		.amdhsa_float_denorm_mode_16_64 3
		.amdhsa_dx10_clamp 1
		.amdhsa_ieee_mode 1
		.amdhsa_fp16_overflow 0
		.amdhsa_tg_split 0
		.amdhsa_exception_fp_ieee_invalid_op 0
		.amdhsa_exception_fp_denorm_src 0
		.amdhsa_exception_fp_ieee_div_zero 0
		.amdhsa_exception_fp_ieee_overflow 0
		.amdhsa_exception_fp_ieee_underflow 0
		.amdhsa_exception_fp_ieee_inexact 0
		.amdhsa_exception_int_div_zero 0
	.end_amdhsa_kernel
	.section	.text._ZN7rocprim17ROCPRIM_400000_NS6detail17trampoline_kernelINS0_14default_configENS1_20scan_config_selectorIyEEZZNS1_9scan_implILNS1_25lookback_scan_determinismE0ELb0ELb0ES3_N6thrust23THRUST_200600_302600_NS6detail15normal_iteratorINS9_10device_ptrIyEEEESE_yNS9_4plusIvEEyEEDaPvRmT3_T4_T5_mT6_P12ihipStream_tbENKUlT_T0_E_clISt17integral_constantIbLb1EEST_IbLb0EEEEDaSP_SQ_EUlSP_E_NS1_11comp_targetILNS1_3genE4ELNS1_11target_archE910ELNS1_3gpuE8ELNS1_3repE0EEENS1_30default_config_static_selectorELNS0_4arch9wavefront6targetE1EEEvT1_,"axG",@progbits,_ZN7rocprim17ROCPRIM_400000_NS6detail17trampoline_kernelINS0_14default_configENS1_20scan_config_selectorIyEEZZNS1_9scan_implILNS1_25lookback_scan_determinismE0ELb0ELb0ES3_N6thrust23THRUST_200600_302600_NS6detail15normal_iteratorINS9_10device_ptrIyEEEESE_yNS9_4plusIvEEyEEDaPvRmT3_T4_T5_mT6_P12ihipStream_tbENKUlT_T0_E_clISt17integral_constantIbLb1EEST_IbLb0EEEEDaSP_SQ_EUlSP_E_NS1_11comp_targetILNS1_3genE4ELNS1_11target_archE910ELNS1_3gpuE8ELNS1_3repE0EEENS1_30default_config_static_selectorELNS0_4arch9wavefront6targetE1EEEvT1_,comdat
.Lfunc_end4468:
	.size	_ZN7rocprim17ROCPRIM_400000_NS6detail17trampoline_kernelINS0_14default_configENS1_20scan_config_selectorIyEEZZNS1_9scan_implILNS1_25lookback_scan_determinismE0ELb0ELb0ES3_N6thrust23THRUST_200600_302600_NS6detail15normal_iteratorINS9_10device_ptrIyEEEESE_yNS9_4plusIvEEyEEDaPvRmT3_T4_T5_mT6_P12ihipStream_tbENKUlT_T0_E_clISt17integral_constantIbLb1EEST_IbLb0EEEEDaSP_SQ_EUlSP_E_NS1_11comp_targetILNS1_3genE4ELNS1_11target_archE910ELNS1_3gpuE8ELNS1_3repE0EEENS1_30default_config_static_selectorELNS0_4arch9wavefront6targetE1EEEvT1_, .Lfunc_end4468-_ZN7rocprim17ROCPRIM_400000_NS6detail17trampoline_kernelINS0_14default_configENS1_20scan_config_selectorIyEEZZNS1_9scan_implILNS1_25lookback_scan_determinismE0ELb0ELb0ES3_N6thrust23THRUST_200600_302600_NS6detail15normal_iteratorINS9_10device_ptrIyEEEESE_yNS9_4plusIvEEyEEDaPvRmT3_T4_T5_mT6_P12ihipStream_tbENKUlT_T0_E_clISt17integral_constantIbLb1EEST_IbLb0EEEEDaSP_SQ_EUlSP_E_NS1_11comp_targetILNS1_3genE4ELNS1_11target_archE910ELNS1_3gpuE8ELNS1_3repE0EEENS1_30default_config_static_selectorELNS0_4arch9wavefront6targetE1EEEvT1_
                                        ; -- End function
	.section	.AMDGPU.csdata,"",@progbits
; Kernel info:
; codeLenInByte = 5936
; NumSgprs: 32
; NumVgprs: 51
; NumAgprs: 0
; TotalNumVgprs: 51
; ScratchSize: 0
; MemoryBound: 0
; FloatMode: 240
; IeeeMode: 1
; LDSByteSize: 7168 bytes/workgroup (compile time only)
; SGPRBlocks: 3
; VGPRBlocks: 6
; NumSGPRsForWavesPerEU: 32
; NumVGPRsForWavesPerEU: 51
; AccumOffset: 52
; Occupancy: 5
; WaveLimiterHint : 1
; COMPUTE_PGM_RSRC2:SCRATCH_EN: 0
; COMPUTE_PGM_RSRC2:USER_SGPR: 6
; COMPUTE_PGM_RSRC2:TRAP_HANDLER: 0
; COMPUTE_PGM_RSRC2:TGID_X_EN: 1
; COMPUTE_PGM_RSRC2:TGID_Y_EN: 0
; COMPUTE_PGM_RSRC2:TGID_Z_EN: 0
; COMPUTE_PGM_RSRC2:TIDIG_COMP_CNT: 0
; COMPUTE_PGM_RSRC3_GFX90A:ACCUM_OFFSET: 12
; COMPUTE_PGM_RSRC3_GFX90A:TG_SPLIT: 0
	.section	.text._ZN7rocprim17ROCPRIM_400000_NS6detail17trampoline_kernelINS0_14default_configENS1_20scan_config_selectorIyEEZZNS1_9scan_implILNS1_25lookback_scan_determinismE0ELb0ELb0ES3_N6thrust23THRUST_200600_302600_NS6detail15normal_iteratorINS9_10device_ptrIyEEEESE_yNS9_4plusIvEEyEEDaPvRmT3_T4_T5_mT6_P12ihipStream_tbENKUlT_T0_E_clISt17integral_constantIbLb1EEST_IbLb0EEEEDaSP_SQ_EUlSP_E_NS1_11comp_targetILNS1_3genE3ELNS1_11target_archE908ELNS1_3gpuE7ELNS1_3repE0EEENS1_30default_config_static_selectorELNS0_4arch9wavefront6targetE1EEEvT1_,"axG",@progbits,_ZN7rocprim17ROCPRIM_400000_NS6detail17trampoline_kernelINS0_14default_configENS1_20scan_config_selectorIyEEZZNS1_9scan_implILNS1_25lookback_scan_determinismE0ELb0ELb0ES3_N6thrust23THRUST_200600_302600_NS6detail15normal_iteratorINS9_10device_ptrIyEEEESE_yNS9_4plusIvEEyEEDaPvRmT3_T4_T5_mT6_P12ihipStream_tbENKUlT_T0_E_clISt17integral_constantIbLb1EEST_IbLb0EEEEDaSP_SQ_EUlSP_E_NS1_11comp_targetILNS1_3genE3ELNS1_11target_archE908ELNS1_3gpuE7ELNS1_3repE0EEENS1_30default_config_static_selectorELNS0_4arch9wavefront6targetE1EEEvT1_,comdat
	.protected	_ZN7rocprim17ROCPRIM_400000_NS6detail17trampoline_kernelINS0_14default_configENS1_20scan_config_selectorIyEEZZNS1_9scan_implILNS1_25lookback_scan_determinismE0ELb0ELb0ES3_N6thrust23THRUST_200600_302600_NS6detail15normal_iteratorINS9_10device_ptrIyEEEESE_yNS9_4plusIvEEyEEDaPvRmT3_T4_T5_mT6_P12ihipStream_tbENKUlT_T0_E_clISt17integral_constantIbLb1EEST_IbLb0EEEEDaSP_SQ_EUlSP_E_NS1_11comp_targetILNS1_3genE3ELNS1_11target_archE908ELNS1_3gpuE7ELNS1_3repE0EEENS1_30default_config_static_selectorELNS0_4arch9wavefront6targetE1EEEvT1_ ; -- Begin function _ZN7rocprim17ROCPRIM_400000_NS6detail17trampoline_kernelINS0_14default_configENS1_20scan_config_selectorIyEEZZNS1_9scan_implILNS1_25lookback_scan_determinismE0ELb0ELb0ES3_N6thrust23THRUST_200600_302600_NS6detail15normal_iteratorINS9_10device_ptrIyEEEESE_yNS9_4plusIvEEyEEDaPvRmT3_T4_T5_mT6_P12ihipStream_tbENKUlT_T0_E_clISt17integral_constantIbLb1EEST_IbLb0EEEEDaSP_SQ_EUlSP_E_NS1_11comp_targetILNS1_3genE3ELNS1_11target_archE908ELNS1_3gpuE7ELNS1_3repE0EEENS1_30default_config_static_selectorELNS0_4arch9wavefront6targetE1EEEvT1_
	.globl	_ZN7rocprim17ROCPRIM_400000_NS6detail17trampoline_kernelINS0_14default_configENS1_20scan_config_selectorIyEEZZNS1_9scan_implILNS1_25lookback_scan_determinismE0ELb0ELb0ES3_N6thrust23THRUST_200600_302600_NS6detail15normal_iteratorINS9_10device_ptrIyEEEESE_yNS9_4plusIvEEyEEDaPvRmT3_T4_T5_mT6_P12ihipStream_tbENKUlT_T0_E_clISt17integral_constantIbLb1EEST_IbLb0EEEEDaSP_SQ_EUlSP_E_NS1_11comp_targetILNS1_3genE3ELNS1_11target_archE908ELNS1_3gpuE7ELNS1_3repE0EEENS1_30default_config_static_selectorELNS0_4arch9wavefront6targetE1EEEvT1_
	.p2align	8
	.type	_ZN7rocprim17ROCPRIM_400000_NS6detail17trampoline_kernelINS0_14default_configENS1_20scan_config_selectorIyEEZZNS1_9scan_implILNS1_25lookback_scan_determinismE0ELb0ELb0ES3_N6thrust23THRUST_200600_302600_NS6detail15normal_iteratorINS9_10device_ptrIyEEEESE_yNS9_4plusIvEEyEEDaPvRmT3_T4_T5_mT6_P12ihipStream_tbENKUlT_T0_E_clISt17integral_constantIbLb1EEST_IbLb0EEEEDaSP_SQ_EUlSP_E_NS1_11comp_targetILNS1_3genE3ELNS1_11target_archE908ELNS1_3gpuE7ELNS1_3repE0EEENS1_30default_config_static_selectorELNS0_4arch9wavefront6targetE1EEEvT1_,@function
_ZN7rocprim17ROCPRIM_400000_NS6detail17trampoline_kernelINS0_14default_configENS1_20scan_config_selectorIyEEZZNS1_9scan_implILNS1_25lookback_scan_determinismE0ELb0ELb0ES3_N6thrust23THRUST_200600_302600_NS6detail15normal_iteratorINS9_10device_ptrIyEEEESE_yNS9_4plusIvEEyEEDaPvRmT3_T4_T5_mT6_P12ihipStream_tbENKUlT_T0_E_clISt17integral_constantIbLb1EEST_IbLb0EEEEDaSP_SQ_EUlSP_E_NS1_11comp_targetILNS1_3genE3ELNS1_11target_archE908ELNS1_3gpuE7ELNS1_3repE0EEENS1_30default_config_static_selectorELNS0_4arch9wavefront6targetE1EEEvT1_: ; @_ZN7rocprim17ROCPRIM_400000_NS6detail17trampoline_kernelINS0_14default_configENS1_20scan_config_selectorIyEEZZNS1_9scan_implILNS1_25lookback_scan_determinismE0ELb0ELb0ES3_N6thrust23THRUST_200600_302600_NS6detail15normal_iteratorINS9_10device_ptrIyEEEESE_yNS9_4plusIvEEyEEDaPvRmT3_T4_T5_mT6_P12ihipStream_tbENKUlT_T0_E_clISt17integral_constantIbLb1EEST_IbLb0EEEEDaSP_SQ_EUlSP_E_NS1_11comp_targetILNS1_3genE3ELNS1_11target_archE908ELNS1_3gpuE7ELNS1_3repE0EEENS1_30default_config_static_selectorELNS0_4arch9wavefront6targetE1EEEvT1_
; %bb.0:
	.section	.rodata,"a",@progbits
	.p2align	6, 0x0
	.amdhsa_kernel _ZN7rocprim17ROCPRIM_400000_NS6detail17trampoline_kernelINS0_14default_configENS1_20scan_config_selectorIyEEZZNS1_9scan_implILNS1_25lookback_scan_determinismE0ELb0ELb0ES3_N6thrust23THRUST_200600_302600_NS6detail15normal_iteratorINS9_10device_ptrIyEEEESE_yNS9_4plusIvEEyEEDaPvRmT3_T4_T5_mT6_P12ihipStream_tbENKUlT_T0_E_clISt17integral_constantIbLb1EEST_IbLb0EEEEDaSP_SQ_EUlSP_E_NS1_11comp_targetILNS1_3genE3ELNS1_11target_archE908ELNS1_3gpuE7ELNS1_3repE0EEENS1_30default_config_static_selectorELNS0_4arch9wavefront6targetE1EEEvT1_
		.amdhsa_group_segment_fixed_size 0
		.amdhsa_private_segment_fixed_size 0
		.amdhsa_kernarg_size 104
		.amdhsa_user_sgpr_count 6
		.amdhsa_user_sgpr_private_segment_buffer 1
		.amdhsa_user_sgpr_dispatch_ptr 0
		.amdhsa_user_sgpr_queue_ptr 0
		.amdhsa_user_sgpr_kernarg_segment_ptr 1
		.amdhsa_user_sgpr_dispatch_id 0
		.amdhsa_user_sgpr_flat_scratch_init 0
		.amdhsa_user_sgpr_kernarg_preload_length 0
		.amdhsa_user_sgpr_kernarg_preload_offset 0
		.amdhsa_user_sgpr_private_segment_size 0
		.amdhsa_uses_dynamic_stack 0
		.amdhsa_system_sgpr_private_segment_wavefront_offset 0
		.amdhsa_system_sgpr_workgroup_id_x 1
		.amdhsa_system_sgpr_workgroup_id_y 0
		.amdhsa_system_sgpr_workgroup_id_z 0
		.amdhsa_system_sgpr_workgroup_info 0
		.amdhsa_system_vgpr_workitem_id 0
		.amdhsa_next_free_vgpr 1
		.amdhsa_next_free_sgpr 0
		.amdhsa_accum_offset 4
		.amdhsa_reserve_vcc 0
		.amdhsa_reserve_flat_scratch 0
		.amdhsa_float_round_mode_32 0
		.amdhsa_float_round_mode_16_64 0
		.amdhsa_float_denorm_mode_32 3
		.amdhsa_float_denorm_mode_16_64 3
		.amdhsa_dx10_clamp 1
		.amdhsa_ieee_mode 1
		.amdhsa_fp16_overflow 0
		.amdhsa_tg_split 0
		.amdhsa_exception_fp_ieee_invalid_op 0
		.amdhsa_exception_fp_denorm_src 0
		.amdhsa_exception_fp_ieee_div_zero 0
		.amdhsa_exception_fp_ieee_overflow 0
		.amdhsa_exception_fp_ieee_underflow 0
		.amdhsa_exception_fp_ieee_inexact 0
		.amdhsa_exception_int_div_zero 0
	.end_amdhsa_kernel
	.section	.text._ZN7rocprim17ROCPRIM_400000_NS6detail17trampoline_kernelINS0_14default_configENS1_20scan_config_selectorIyEEZZNS1_9scan_implILNS1_25lookback_scan_determinismE0ELb0ELb0ES3_N6thrust23THRUST_200600_302600_NS6detail15normal_iteratorINS9_10device_ptrIyEEEESE_yNS9_4plusIvEEyEEDaPvRmT3_T4_T5_mT6_P12ihipStream_tbENKUlT_T0_E_clISt17integral_constantIbLb1EEST_IbLb0EEEEDaSP_SQ_EUlSP_E_NS1_11comp_targetILNS1_3genE3ELNS1_11target_archE908ELNS1_3gpuE7ELNS1_3repE0EEENS1_30default_config_static_selectorELNS0_4arch9wavefront6targetE1EEEvT1_,"axG",@progbits,_ZN7rocprim17ROCPRIM_400000_NS6detail17trampoline_kernelINS0_14default_configENS1_20scan_config_selectorIyEEZZNS1_9scan_implILNS1_25lookback_scan_determinismE0ELb0ELb0ES3_N6thrust23THRUST_200600_302600_NS6detail15normal_iteratorINS9_10device_ptrIyEEEESE_yNS9_4plusIvEEyEEDaPvRmT3_T4_T5_mT6_P12ihipStream_tbENKUlT_T0_E_clISt17integral_constantIbLb1EEST_IbLb0EEEEDaSP_SQ_EUlSP_E_NS1_11comp_targetILNS1_3genE3ELNS1_11target_archE908ELNS1_3gpuE7ELNS1_3repE0EEENS1_30default_config_static_selectorELNS0_4arch9wavefront6targetE1EEEvT1_,comdat
.Lfunc_end4469:
	.size	_ZN7rocprim17ROCPRIM_400000_NS6detail17trampoline_kernelINS0_14default_configENS1_20scan_config_selectorIyEEZZNS1_9scan_implILNS1_25lookback_scan_determinismE0ELb0ELb0ES3_N6thrust23THRUST_200600_302600_NS6detail15normal_iteratorINS9_10device_ptrIyEEEESE_yNS9_4plusIvEEyEEDaPvRmT3_T4_T5_mT6_P12ihipStream_tbENKUlT_T0_E_clISt17integral_constantIbLb1EEST_IbLb0EEEEDaSP_SQ_EUlSP_E_NS1_11comp_targetILNS1_3genE3ELNS1_11target_archE908ELNS1_3gpuE7ELNS1_3repE0EEENS1_30default_config_static_selectorELNS0_4arch9wavefront6targetE1EEEvT1_, .Lfunc_end4469-_ZN7rocprim17ROCPRIM_400000_NS6detail17trampoline_kernelINS0_14default_configENS1_20scan_config_selectorIyEEZZNS1_9scan_implILNS1_25lookback_scan_determinismE0ELb0ELb0ES3_N6thrust23THRUST_200600_302600_NS6detail15normal_iteratorINS9_10device_ptrIyEEEESE_yNS9_4plusIvEEyEEDaPvRmT3_T4_T5_mT6_P12ihipStream_tbENKUlT_T0_E_clISt17integral_constantIbLb1EEST_IbLb0EEEEDaSP_SQ_EUlSP_E_NS1_11comp_targetILNS1_3genE3ELNS1_11target_archE908ELNS1_3gpuE7ELNS1_3repE0EEENS1_30default_config_static_selectorELNS0_4arch9wavefront6targetE1EEEvT1_
                                        ; -- End function
	.section	.AMDGPU.csdata,"",@progbits
; Kernel info:
; codeLenInByte = 0
; NumSgprs: 4
; NumVgprs: 0
; NumAgprs: 0
; TotalNumVgprs: 0
; ScratchSize: 0
; MemoryBound: 0
; FloatMode: 240
; IeeeMode: 1
; LDSByteSize: 0 bytes/workgroup (compile time only)
; SGPRBlocks: 0
; VGPRBlocks: 0
; NumSGPRsForWavesPerEU: 4
; NumVGPRsForWavesPerEU: 1
; AccumOffset: 4
; Occupancy: 8
; WaveLimiterHint : 0
; COMPUTE_PGM_RSRC2:SCRATCH_EN: 0
; COMPUTE_PGM_RSRC2:USER_SGPR: 6
; COMPUTE_PGM_RSRC2:TRAP_HANDLER: 0
; COMPUTE_PGM_RSRC2:TGID_X_EN: 1
; COMPUTE_PGM_RSRC2:TGID_Y_EN: 0
; COMPUTE_PGM_RSRC2:TGID_Z_EN: 0
; COMPUTE_PGM_RSRC2:TIDIG_COMP_CNT: 0
; COMPUTE_PGM_RSRC3_GFX90A:ACCUM_OFFSET: 0
; COMPUTE_PGM_RSRC3_GFX90A:TG_SPLIT: 0
	.section	.text._ZN7rocprim17ROCPRIM_400000_NS6detail17trampoline_kernelINS0_14default_configENS1_20scan_config_selectorIyEEZZNS1_9scan_implILNS1_25lookback_scan_determinismE0ELb0ELb0ES3_N6thrust23THRUST_200600_302600_NS6detail15normal_iteratorINS9_10device_ptrIyEEEESE_yNS9_4plusIvEEyEEDaPvRmT3_T4_T5_mT6_P12ihipStream_tbENKUlT_T0_E_clISt17integral_constantIbLb1EEST_IbLb0EEEEDaSP_SQ_EUlSP_E_NS1_11comp_targetILNS1_3genE2ELNS1_11target_archE906ELNS1_3gpuE6ELNS1_3repE0EEENS1_30default_config_static_selectorELNS0_4arch9wavefront6targetE1EEEvT1_,"axG",@progbits,_ZN7rocprim17ROCPRIM_400000_NS6detail17trampoline_kernelINS0_14default_configENS1_20scan_config_selectorIyEEZZNS1_9scan_implILNS1_25lookback_scan_determinismE0ELb0ELb0ES3_N6thrust23THRUST_200600_302600_NS6detail15normal_iteratorINS9_10device_ptrIyEEEESE_yNS9_4plusIvEEyEEDaPvRmT3_T4_T5_mT6_P12ihipStream_tbENKUlT_T0_E_clISt17integral_constantIbLb1EEST_IbLb0EEEEDaSP_SQ_EUlSP_E_NS1_11comp_targetILNS1_3genE2ELNS1_11target_archE906ELNS1_3gpuE6ELNS1_3repE0EEENS1_30default_config_static_selectorELNS0_4arch9wavefront6targetE1EEEvT1_,comdat
	.protected	_ZN7rocprim17ROCPRIM_400000_NS6detail17trampoline_kernelINS0_14default_configENS1_20scan_config_selectorIyEEZZNS1_9scan_implILNS1_25lookback_scan_determinismE0ELb0ELb0ES3_N6thrust23THRUST_200600_302600_NS6detail15normal_iteratorINS9_10device_ptrIyEEEESE_yNS9_4plusIvEEyEEDaPvRmT3_T4_T5_mT6_P12ihipStream_tbENKUlT_T0_E_clISt17integral_constantIbLb1EEST_IbLb0EEEEDaSP_SQ_EUlSP_E_NS1_11comp_targetILNS1_3genE2ELNS1_11target_archE906ELNS1_3gpuE6ELNS1_3repE0EEENS1_30default_config_static_selectorELNS0_4arch9wavefront6targetE1EEEvT1_ ; -- Begin function _ZN7rocprim17ROCPRIM_400000_NS6detail17trampoline_kernelINS0_14default_configENS1_20scan_config_selectorIyEEZZNS1_9scan_implILNS1_25lookback_scan_determinismE0ELb0ELb0ES3_N6thrust23THRUST_200600_302600_NS6detail15normal_iteratorINS9_10device_ptrIyEEEESE_yNS9_4plusIvEEyEEDaPvRmT3_T4_T5_mT6_P12ihipStream_tbENKUlT_T0_E_clISt17integral_constantIbLb1EEST_IbLb0EEEEDaSP_SQ_EUlSP_E_NS1_11comp_targetILNS1_3genE2ELNS1_11target_archE906ELNS1_3gpuE6ELNS1_3repE0EEENS1_30default_config_static_selectorELNS0_4arch9wavefront6targetE1EEEvT1_
	.globl	_ZN7rocprim17ROCPRIM_400000_NS6detail17trampoline_kernelINS0_14default_configENS1_20scan_config_selectorIyEEZZNS1_9scan_implILNS1_25lookback_scan_determinismE0ELb0ELb0ES3_N6thrust23THRUST_200600_302600_NS6detail15normal_iteratorINS9_10device_ptrIyEEEESE_yNS9_4plusIvEEyEEDaPvRmT3_T4_T5_mT6_P12ihipStream_tbENKUlT_T0_E_clISt17integral_constantIbLb1EEST_IbLb0EEEEDaSP_SQ_EUlSP_E_NS1_11comp_targetILNS1_3genE2ELNS1_11target_archE906ELNS1_3gpuE6ELNS1_3repE0EEENS1_30default_config_static_selectorELNS0_4arch9wavefront6targetE1EEEvT1_
	.p2align	8
	.type	_ZN7rocprim17ROCPRIM_400000_NS6detail17trampoline_kernelINS0_14default_configENS1_20scan_config_selectorIyEEZZNS1_9scan_implILNS1_25lookback_scan_determinismE0ELb0ELb0ES3_N6thrust23THRUST_200600_302600_NS6detail15normal_iteratorINS9_10device_ptrIyEEEESE_yNS9_4plusIvEEyEEDaPvRmT3_T4_T5_mT6_P12ihipStream_tbENKUlT_T0_E_clISt17integral_constantIbLb1EEST_IbLb0EEEEDaSP_SQ_EUlSP_E_NS1_11comp_targetILNS1_3genE2ELNS1_11target_archE906ELNS1_3gpuE6ELNS1_3repE0EEENS1_30default_config_static_selectorELNS0_4arch9wavefront6targetE1EEEvT1_,@function
_ZN7rocprim17ROCPRIM_400000_NS6detail17trampoline_kernelINS0_14default_configENS1_20scan_config_selectorIyEEZZNS1_9scan_implILNS1_25lookback_scan_determinismE0ELb0ELb0ES3_N6thrust23THRUST_200600_302600_NS6detail15normal_iteratorINS9_10device_ptrIyEEEESE_yNS9_4plusIvEEyEEDaPvRmT3_T4_T5_mT6_P12ihipStream_tbENKUlT_T0_E_clISt17integral_constantIbLb1EEST_IbLb0EEEEDaSP_SQ_EUlSP_E_NS1_11comp_targetILNS1_3genE2ELNS1_11target_archE906ELNS1_3gpuE6ELNS1_3repE0EEENS1_30default_config_static_selectorELNS0_4arch9wavefront6targetE1EEEvT1_: ; @_ZN7rocprim17ROCPRIM_400000_NS6detail17trampoline_kernelINS0_14default_configENS1_20scan_config_selectorIyEEZZNS1_9scan_implILNS1_25lookback_scan_determinismE0ELb0ELb0ES3_N6thrust23THRUST_200600_302600_NS6detail15normal_iteratorINS9_10device_ptrIyEEEESE_yNS9_4plusIvEEyEEDaPvRmT3_T4_T5_mT6_P12ihipStream_tbENKUlT_T0_E_clISt17integral_constantIbLb1EEST_IbLb0EEEEDaSP_SQ_EUlSP_E_NS1_11comp_targetILNS1_3genE2ELNS1_11target_archE906ELNS1_3gpuE6ELNS1_3repE0EEENS1_30default_config_static_selectorELNS0_4arch9wavefront6targetE1EEEvT1_
; %bb.0:
	.section	.rodata,"a",@progbits
	.p2align	6, 0x0
	.amdhsa_kernel _ZN7rocprim17ROCPRIM_400000_NS6detail17trampoline_kernelINS0_14default_configENS1_20scan_config_selectorIyEEZZNS1_9scan_implILNS1_25lookback_scan_determinismE0ELb0ELb0ES3_N6thrust23THRUST_200600_302600_NS6detail15normal_iteratorINS9_10device_ptrIyEEEESE_yNS9_4plusIvEEyEEDaPvRmT3_T4_T5_mT6_P12ihipStream_tbENKUlT_T0_E_clISt17integral_constantIbLb1EEST_IbLb0EEEEDaSP_SQ_EUlSP_E_NS1_11comp_targetILNS1_3genE2ELNS1_11target_archE906ELNS1_3gpuE6ELNS1_3repE0EEENS1_30default_config_static_selectorELNS0_4arch9wavefront6targetE1EEEvT1_
		.amdhsa_group_segment_fixed_size 0
		.amdhsa_private_segment_fixed_size 0
		.amdhsa_kernarg_size 104
		.amdhsa_user_sgpr_count 6
		.amdhsa_user_sgpr_private_segment_buffer 1
		.amdhsa_user_sgpr_dispatch_ptr 0
		.amdhsa_user_sgpr_queue_ptr 0
		.amdhsa_user_sgpr_kernarg_segment_ptr 1
		.amdhsa_user_sgpr_dispatch_id 0
		.amdhsa_user_sgpr_flat_scratch_init 0
		.amdhsa_user_sgpr_kernarg_preload_length 0
		.amdhsa_user_sgpr_kernarg_preload_offset 0
		.amdhsa_user_sgpr_private_segment_size 0
		.amdhsa_uses_dynamic_stack 0
		.amdhsa_system_sgpr_private_segment_wavefront_offset 0
		.amdhsa_system_sgpr_workgroup_id_x 1
		.amdhsa_system_sgpr_workgroup_id_y 0
		.amdhsa_system_sgpr_workgroup_id_z 0
		.amdhsa_system_sgpr_workgroup_info 0
		.amdhsa_system_vgpr_workitem_id 0
		.amdhsa_next_free_vgpr 1
		.amdhsa_next_free_sgpr 0
		.amdhsa_accum_offset 4
		.amdhsa_reserve_vcc 0
		.amdhsa_reserve_flat_scratch 0
		.amdhsa_float_round_mode_32 0
		.amdhsa_float_round_mode_16_64 0
		.amdhsa_float_denorm_mode_32 3
		.amdhsa_float_denorm_mode_16_64 3
		.amdhsa_dx10_clamp 1
		.amdhsa_ieee_mode 1
		.amdhsa_fp16_overflow 0
		.amdhsa_tg_split 0
		.amdhsa_exception_fp_ieee_invalid_op 0
		.amdhsa_exception_fp_denorm_src 0
		.amdhsa_exception_fp_ieee_div_zero 0
		.amdhsa_exception_fp_ieee_overflow 0
		.amdhsa_exception_fp_ieee_underflow 0
		.amdhsa_exception_fp_ieee_inexact 0
		.amdhsa_exception_int_div_zero 0
	.end_amdhsa_kernel
	.section	.text._ZN7rocprim17ROCPRIM_400000_NS6detail17trampoline_kernelINS0_14default_configENS1_20scan_config_selectorIyEEZZNS1_9scan_implILNS1_25lookback_scan_determinismE0ELb0ELb0ES3_N6thrust23THRUST_200600_302600_NS6detail15normal_iteratorINS9_10device_ptrIyEEEESE_yNS9_4plusIvEEyEEDaPvRmT3_T4_T5_mT6_P12ihipStream_tbENKUlT_T0_E_clISt17integral_constantIbLb1EEST_IbLb0EEEEDaSP_SQ_EUlSP_E_NS1_11comp_targetILNS1_3genE2ELNS1_11target_archE906ELNS1_3gpuE6ELNS1_3repE0EEENS1_30default_config_static_selectorELNS0_4arch9wavefront6targetE1EEEvT1_,"axG",@progbits,_ZN7rocprim17ROCPRIM_400000_NS6detail17trampoline_kernelINS0_14default_configENS1_20scan_config_selectorIyEEZZNS1_9scan_implILNS1_25lookback_scan_determinismE0ELb0ELb0ES3_N6thrust23THRUST_200600_302600_NS6detail15normal_iteratorINS9_10device_ptrIyEEEESE_yNS9_4plusIvEEyEEDaPvRmT3_T4_T5_mT6_P12ihipStream_tbENKUlT_T0_E_clISt17integral_constantIbLb1EEST_IbLb0EEEEDaSP_SQ_EUlSP_E_NS1_11comp_targetILNS1_3genE2ELNS1_11target_archE906ELNS1_3gpuE6ELNS1_3repE0EEENS1_30default_config_static_selectorELNS0_4arch9wavefront6targetE1EEEvT1_,comdat
.Lfunc_end4470:
	.size	_ZN7rocprim17ROCPRIM_400000_NS6detail17trampoline_kernelINS0_14default_configENS1_20scan_config_selectorIyEEZZNS1_9scan_implILNS1_25lookback_scan_determinismE0ELb0ELb0ES3_N6thrust23THRUST_200600_302600_NS6detail15normal_iteratorINS9_10device_ptrIyEEEESE_yNS9_4plusIvEEyEEDaPvRmT3_T4_T5_mT6_P12ihipStream_tbENKUlT_T0_E_clISt17integral_constantIbLb1EEST_IbLb0EEEEDaSP_SQ_EUlSP_E_NS1_11comp_targetILNS1_3genE2ELNS1_11target_archE906ELNS1_3gpuE6ELNS1_3repE0EEENS1_30default_config_static_selectorELNS0_4arch9wavefront6targetE1EEEvT1_, .Lfunc_end4470-_ZN7rocprim17ROCPRIM_400000_NS6detail17trampoline_kernelINS0_14default_configENS1_20scan_config_selectorIyEEZZNS1_9scan_implILNS1_25lookback_scan_determinismE0ELb0ELb0ES3_N6thrust23THRUST_200600_302600_NS6detail15normal_iteratorINS9_10device_ptrIyEEEESE_yNS9_4plusIvEEyEEDaPvRmT3_T4_T5_mT6_P12ihipStream_tbENKUlT_T0_E_clISt17integral_constantIbLb1EEST_IbLb0EEEEDaSP_SQ_EUlSP_E_NS1_11comp_targetILNS1_3genE2ELNS1_11target_archE906ELNS1_3gpuE6ELNS1_3repE0EEENS1_30default_config_static_selectorELNS0_4arch9wavefront6targetE1EEEvT1_
                                        ; -- End function
	.section	.AMDGPU.csdata,"",@progbits
; Kernel info:
; codeLenInByte = 0
; NumSgprs: 4
; NumVgprs: 0
; NumAgprs: 0
; TotalNumVgprs: 0
; ScratchSize: 0
; MemoryBound: 0
; FloatMode: 240
; IeeeMode: 1
; LDSByteSize: 0 bytes/workgroup (compile time only)
; SGPRBlocks: 0
; VGPRBlocks: 0
; NumSGPRsForWavesPerEU: 4
; NumVGPRsForWavesPerEU: 1
; AccumOffset: 4
; Occupancy: 8
; WaveLimiterHint : 0
; COMPUTE_PGM_RSRC2:SCRATCH_EN: 0
; COMPUTE_PGM_RSRC2:USER_SGPR: 6
; COMPUTE_PGM_RSRC2:TRAP_HANDLER: 0
; COMPUTE_PGM_RSRC2:TGID_X_EN: 1
; COMPUTE_PGM_RSRC2:TGID_Y_EN: 0
; COMPUTE_PGM_RSRC2:TGID_Z_EN: 0
; COMPUTE_PGM_RSRC2:TIDIG_COMP_CNT: 0
; COMPUTE_PGM_RSRC3_GFX90A:ACCUM_OFFSET: 0
; COMPUTE_PGM_RSRC3_GFX90A:TG_SPLIT: 0
	.section	.text._ZN7rocprim17ROCPRIM_400000_NS6detail17trampoline_kernelINS0_14default_configENS1_20scan_config_selectorIyEEZZNS1_9scan_implILNS1_25lookback_scan_determinismE0ELb0ELb0ES3_N6thrust23THRUST_200600_302600_NS6detail15normal_iteratorINS9_10device_ptrIyEEEESE_yNS9_4plusIvEEyEEDaPvRmT3_T4_T5_mT6_P12ihipStream_tbENKUlT_T0_E_clISt17integral_constantIbLb1EEST_IbLb0EEEEDaSP_SQ_EUlSP_E_NS1_11comp_targetILNS1_3genE10ELNS1_11target_archE1201ELNS1_3gpuE5ELNS1_3repE0EEENS1_30default_config_static_selectorELNS0_4arch9wavefront6targetE1EEEvT1_,"axG",@progbits,_ZN7rocprim17ROCPRIM_400000_NS6detail17trampoline_kernelINS0_14default_configENS1_20scan_config_selectorIyEEZZNS1_9scan_implILNS1_25lookback_scan_determinismE0ELb0ELb0ES3_N6thrust23THRUST_200600_302600_NS6detail15normal_iteratorINS9_10device_ptrIyEEEESE_yNS9_4plusIvEEyEEDaPvRmT3_T4_T5_mT6_P12ihipStream_tbENKUlT_T0_E_clISt17integral_constantIbLb1EEST_IbLb0EEEEDaSP_SQ_EUlSP_E_NS1_11comp_targetILNS1_3genE10ELNS1_11target_archE1201ELNS1_3gpuE5ELNS1_3repE0EEENS1_30default_config_static_selectorELNS0_4arch9wavefront6targetE1EEEvT1_,comdat
	.protected	_ZN7rocprim17ROCPRIM_400000_NS6detail17trampoline_kernelINS0_14default_configENS1_20scan_config_selectorIyEEZZNS1_9scan_implILNS1_25lookback_scan_determinismE0ELb0ELb0ES3_N6thrust23THRUST_200600_302600_NS6detail15normal_iteratorINS9_10device_ptrIyEEEESE_yNS9_4plusIvEEyEEDaPvRmT3_T4_T5_mT6_P12ihipStream_tbENKUlT_T0_E_clISt17integral_constantIbLb1EEST_IbLb0EEEEDaSP_SQ_EUlSP_E_NS1_11comp_targetILNS1_3genE10ELNS1_11target_archE1201ELNS1_3gpuE5ELNS1_3repE0EEENS1_30default_config_static_selectorELNS0_4arch9wavefront6targetE1EEEvT1_ ; -- Begin function _ZN7rocprim17ROCPRIM_400000_NS6detail17trampoline_kernelINS0_14default_configENS1_20scan_config_selectorIyEEZZNS1_9scan_implILNS1_25lookback_scan_determinismE0ELb0ELb0ES3_N6thrust23THRUST_200600_302600_NS6detail15normal_iteratorINS9_10device_ptrIyEEEESE_yNS9_4plusIvEEyEEDaPvRmT3_T4_T5_mT6_P12ihipStream_tbENKUlT_T0_E_clISt17integral_constantIbLb1EEST_IbLb0EEEEDaSP_SQ_EUlSP_E_NS1_11comp_targetILNS1_3genE10ELNS1_11target_archE1201ELNS1_3gpuE5ELNS1_3repE0EEENS1_30default_config_static_selectorELNS0_4arch9wavefront6targetE1EEEvT1_
	.globl	_ZN7rocprim17ROCPRIM_400000_NS6detail17trampoline_kernelINS0_14default_configENS1_20scan_config_selectorIyEEZZNS1_9scan_implILNS1_25lookback_scan_determinismE0ELb0ELb0ES3_N6thrust23THRUST_200600_302600_NS6detail15normal_iteratorINS9_10device_ptrIyEEEESE_yNS9_4plusIvEEyEEDaPvRmT3_T4_T5_mT6_P12ihipStream_tbENKUlT_T0_E_clISt17integral_constantIbLb1EEST_IbLb0EEEEDaSP_SQ_EUlSP_E_NS1_11comp_targetILNS1_3genE10ELNS1_11target_archE1201ELNS1_3gpuE5ELNS1_3repE0EEENS1_30default_config_static_selectorELNS0_4arch9wavefront6targetE1EEEvT1_
	.p2align	8
	.type	_ZN7rocprim17ROCPRIM_400000_NS6detail17trampoline_kernelINS0_14default_configENS1_20scan_config_selectorIyEEZZNS1_9scan_implILNS1_25lookback_scan_determinismE0ELb0ELb0ES3_N6thrust23THRUST_200600_302600_NS6detail15normal_iteratorINS9_10device_ptrIyEEEESE_yNS9_4plusIvEEyEEDaPvRmT3_T4_T5_mT6_P12ihipStream_tbENKUlT_T0_E_clISt17integral_constantIbLb1EEST_IbLb0EEEEDaSP_SQ_EUlSP_E_NS1_11comp_targetILNS1_3genE10ELNS1_11target_archE1201ELNS1_3gpuE5ELNS1_3repE0EEENS1_30default_config_static_selectorELNS0_4arch9wavefront6targetE1EEEvT1_,@function
_ZN7rocprim17ROCPRIM_400000_NS6detail17trampoline_kernelINS0_14default_configENS1_20scan_config_selectorIyEEZZNS1_9scan_implILNS1_25lookback_scan_determinismE0ELb0ELb0ES3_N6thrust23THRUST_200600_302600_NS6detail15normal_iteratorINS9_10device_ptrIyEEEESE_yNS9_4plusIvEEyEEDaPvRmT3_T4_T5_mT6_P12ihipStream_tbENKUlT_T0_E_clISt17integral_constantIbLb1EEST_IbLb0EEEEDaSP_SQ_EUlSP_E_NS1_11comp_targetILNS1_3genE10ELNS1_11target_archE1201ELNS1_3gpuE5ELNS1_3repE0EEENS1_30default_config_static_selectorELNS0_4arch9wavefront6targetE1EEEvT1_: ; @_ZN7rocprim17ROCPRIM_400000_NS6detail17trampoline_kernelINS0_14default_configENS1_20scan_config_selectorIyEEZZNS1_9scan_implILNS1_25lookback_scan_determinismE0ELb0ELb0ES3_N6thrust23THRUST_200600_302600_NS6detail15normal_iteratorINS9_10device_ptrIyEEEESE_yNS9_4plusIvEEyEEDaPvRmT3_T4_T5_mT6_P12ihipStream_tbENKUlT_T0_E_clISt17integral_constantIbLb1EEST_IbLb0EEEEDaSP_SQ_EUlSP_E_NS1_11comp_targetILNS1_3genE10ELNS1_11target_archE1201ELNS1_3gpuE5ELNS1_3repE0EEENS1_30default_config_static_selectorELNS0_4arch9wavefront6targetE1EEEvT1_
; %bb.0:
	.section	.rodata,"a",@progbits
	.p2align	6, 0x0
	.amdhsa_kernel _ZN7rocprim17ROCPRIM_400000_NS6detail17trampoline_kernelINS0_14default_configENS1_20scan_config_selectorIyEEZZNS1_9scan_implILNS1_25lookback_scan_determinismE0ELb0ELb0ES3_N6thrust23THRUST_200600_302600_NS6detail15normal_iteratorINS9_10device_ptrIyEEEESE_yNS9_4plusIvEEyEEDaPvRmT3_T4_T5_mT6_P12ihipStream_tbENKUlT_T0_E_clISt17integral_constantIbLb1EEST_IbLb0EEEEDaSP_SQ_EUlSP_E_NS1_11comp_targetILNS1_3genE10ELNS1_11target_archE1201ELNS1_3gpuE5ELNS1_3repE0EEENS1_30default_config_static_selectorELNS0_4arch9wavefront6targetE1EEEvT1_
		.amdhsa_group_segment_fixed_size 0
		.amdhsa_private_segment_fixed_size 0
		.amdhsa_kernarg_size 104
		.amdhsa_user_sgpr_count 6
		.amdhsa_user_sgpr_private_segment_buffer 1
		.amdhsa_user_sgpr_dispatch_ptr 0
		.amdhsa_user_sgpr_queue_ptr 0
		.amdhsa_user_sgpr_kernarg_segment_ptr 1
		.amdhsa_user_sgpr_dispatch_id 0
		.amdhsa_user_sgpr_flat_scratch_init 0
		.amdhsa_user_sgpr_kernarg_preload_length 0
		.amdhsa_user_sgpr_kernarg_preload_offset 0
		.amdhsa_user_sgpr_private_segment_size 0
		.amdhsa_uses_dynamic_stack 0
		.amdhsa_system_sgpr_private_segment_wavefront_offset 0
		.amdhsa_system_sgpr_workgroup_id_x 1
		.amdhsa_system_sgpr_workgroup_id_y 0
		.amdhsa_system_sgpr_workgroup_id_z 0
		.amdhsa_system_sgpr_workgroup_info 0
		.amdhsa_system_vgpr_workitem_id 0
		.amdhsa_next_free_vgpr 1
		.amdhsa_next_free_sgpr 0
		.amdhsa_accum_offset 4
		.amdhsa_reserve_vcc 0
		.amdhsa_reserve_flat_scratch 0
		.amdhsa_float_round_mode_32 0
		.amdhsa_float_round_mode_16_64 0
		.amdhsa_float_denorm_mode_32 3
		.amdhsa_float_denorm_mode_16_64 3
		.amdhsa_dx10_clamp 1
		.amdhsa_ieee_mode 1
		.amdhsa_fp16_overflow 0
		.amdhsa_tg_split 0
		.amdhsa_exception_fp_ieee_invalid_op 0
		.amdhsa_exception_fp_denorm_src 0
		.amdhsa_exception_fp_ieee_div_zero 0
		.amdhsa_exception_fp_ieee_overflow 0
		.amdhsa_exception_fp_ieee_underflow 0
		.amdhsa_exception_fp_ieee_inexact 0
		.amdhsa_exception_int_div_zero 0
	.end_amdhsa_kernel
	.section	.text._ZN7rocprim17ROCPRIM_400000_NS6detail17trampoline_kernelINS0_14default_configENS1_20scan_config_selectorIyEEZZNS1_9scan_implILNS1_25lookback_scan_determinismE0ELb0ELb0ES3_N6thrust23THRUST_200600_302600_NS6detail15normal_iteratorINS9_10device_ptrIyEEEESE_yNS9_4plusIvEEyEEDaPvRmT3_T4_T5_mT6_P12ihipStream_tbENKUlT_T0_E_clISt17integral_constantIbLb1EEST_IbLb0EEEEDaSP_SQ_EUlSP_E_NS1_11comp_targetILNS1_3genE10ELNS1_11target_archE1201ELNS1_3gpuE5ELNS1_3repE0EEENS1_30default_config_static_selectorELNS0_4arch9wavefront6targetE1EEEvT1_,"axG",@progbits,_ZN7rocprim17ROCPRIM_400000_NS6detail17trampoline_kernelINS0_14default_configENS1_20scan_config_selectorIyEEZZNS1_9scan_implILNS1_25lookback_scan_determinismE0ELb0ELb0ES3_N6thrust23THRUST_200600_302600_NS6detail15normal_iteratorINS9_10device_ptrIyEEEESE_yNS9_4plusIvEEyEEDaPvRmT3_T4_T5_mT6_P12ihipStream_tbENKUlT_T0_E_clISt17integral_constantIbLb1EEST_IbLb0EEEEDaSP_SQ_EUlSP_E_NS1_11comp_targetILNS1_3genE10ELNS1_11target_archE1201ELNS1_3gpuE5ELNS1_3repE0EEENS1_30default_config_static_selectorELNS0_4arch9wavefront6targetE1EEEvT1_,comdat
.Lfunc_end4471:
	.size	_ZN7rocprim17ROCPRIM_400000_NS6detail17trampoline_kernelINS0_14default_configENS1_20scan_config_selectorIyEEZZNS1_9scan_implILNS1_25lookback_scan_determinismE0ELb0ELb0ES3_N6thrust23THRUST_200600_302600_NS6detail15normal_iteratorINS9_10device_ptrIyEEEESE_yNS9_4plusIvEEyEEDaPvRmT3_T4_T5_mT6_P12ihipStream_tbENKUlT_T0_E_clISt17integral_constantIbLb1EEST_IbLb0EEEEDaSP_SQ_EUlSP_E_NS1_11comp_targetILNS1_3genE10ELNS1_11target_archE1201ELNS1_3gpuE5ELNS1_3repE0EEENS1_30default_config_static_selectorELNS0_4arch9wavefront6targetE1EEEvT1_, .Lfunc_end4471-_ZN7rocprim17ROCPRIM_400000_NS6detail17trampoline_kernelINS0_14default_configENS1_20scan_config_selectorIyEEZZNS1_9scan_implILNS1_25lookback_scan_determinismE0ELb0ELb0ES3_N6thrust23THRUST_200600_302600_NS6detail15normal_iteratorINS9_10device_ptrIyEEEESE_yNS9_4plusIvEEyEEDaPvRmT3_T4_T5_mT6_P12ihipStream_tbENKUlT_T0_E_clISt17integral_constantIbLb1EEST_IbLb0EEEEDaSP_SQ_EUlSP_E_NS1_11comp_targetILNS1_3genE10ELNS1_11target_archE1201ELNS1_3gpuE5ELNS1_3repE0EEENS1_30default_config_static_selectorELNS0_4arch9wavefront6targetE1EEEvT1_
                                        ; -- End function
	.section	.AMDGPU.csdata,"",@progbits
; Kernel info:
; codeLenInByte = 0
; NumSgprs: 4
; NumVgprs: 0
; NumAgprs: 0
; TotalNumVgprs: 0
; ScratchSize: 0
; MemoryBound: 0
; FloatMode: 240
; IeeeMode: 1
; LDSByteSize: 0 bytes/workgroup (compile time only)
; SGPRBlocks: 0
; VGPRBlocks: 0
; NumSGPRsForWavesPerEU: 4
; NumVGPRsForWavesPerEU: 1
; AccumOffset: 4
; Occupancy: 8
; WaveLimiterHint : 0
; COMPUTE_PGM_RSRC2:SCRATCH_EN: 0
; COMPUTE_PGM_RSRC2:USER_SGPR: 6
; COMPUTE_PGM_RSRC2:TRAP_HANDLER: 0
; COMPUTE_PGM_RSRC2:TGID_X_EN: 1
; COMPUTE_PGM_RSRC2:TGID_Y_EN: 0
; COMPUTE_PGM_RSRC2:TGID_Z_EN: 0
; COMPUTE_PGM_RSRC2:TIDIG_COMP_CNT: 0
; COMPUTE_PGM_RSRC3_GFX90A:ACCUM_OFFSET: 0
; COMPUTE_PGM_RSRC3_GFX90A:TG_SPLIT: 0
	.section	.text._ZN7rocprim17ROCPRIM_400000_NS6detail17trampoline_kernelINS0_14default_configENS1_20scan_config_selectorIyEEZZNS1_9scan_implILNS1_25lookback_scan_determinismE0ELb0ELb0ES3_N6thrust23THRUST_200600_302600_NS6detail15normal_iteratorINS9_10device_ptrIyEEEESE_yNS9_4plusIvEEyEEDaPvRmT3_T4_T5_mT6_P12ihipStream_tbENKUlT_T0_E_clISt17integral_constantIbLb1EEST_IbLb0EEEEDaSP_SQ_EUlSP_E_NS1_11comp_targetILNS1_3genE10ELNS1_11target_archE1200ELNS1_3gpuE4ELNS1_3repE0EEENS1_30default_config_static_selectorELNS0_4arch9wavefront6targetE1EEEvT1_,"axG",@progbits,_ZN7rocprim17ROCPRIM_400000_NS6detail17trampoline_kernelINS0_14default_configENS1_20scan_config_selectorIyEEZZNS1_9scan_implILNS1_25lookback_scan_determinismE0ELb0ELb0ES3_N6thrust23THRUST_200600_302600_NS6detail15normal_iteratorINS9_10device_ptrIyEEEESE_yNS9_4plusIvEEyEEDaPvRmT3_T4_T5_mT6_P12ihipStream_tbENKUlT_T0_E_clISt17integral_constantIbLb1EEST_IbLb0EEEEDaSP_SQ_EUlSP_E_NS1_11comp_targetILNS1_3genE10ELNS1_11target_archE1200ELNS1_3gpuE4ELNS1_3repE0EEENS1_30default_config_static_selectorELNS0_4arch9wavefront6targetE1EEEvT1_,comdat
	.protected	_ZN7rocprim17ROCPRIM_400000_NS6detail17trampoline_kernelINS0_14default_configENS1_20scan_config_selectorIyEEZZNS1_9scan_implILNS1_25lookback_scan_determinismE0ELb0ELb0ES3_N6thrust23THRUST_200600_302600_NS6detail15normal_iteratorINS9_10device_ptrIyEEEESE_yNS9_4plusIvEEyEEDaPvRmT3_T4_T5_mT6_P12ihipStream_tbENKUlT_T0_E_clISt17integral_constantIbLb1EEST_IbLb0EEEEDaSP_SQ_EUlSP_E_NS1_11comp_targetILNS1_3genE10ELNS1_11target_archE1200ELNS1_3gpuE4ELNS1_3repE0EEENS1_30default_config_static_selectorELNS0_4arch9wavefront6targetE1EEEvT1_ ; -- Begin function _ZN7rocprim17ROCPRIM_400000_NS6detail17trampoline_kernelINS0_14default_configENS1_20scan_config_selectorIyEEZZNS1_9scan_implILNS1_25lookback_scan_determinismE0ELb0ELb0ES3_N6thrust23THRUST_200600_302600_NS6detail15normal_iteratorINS9_10device_ptrIyEEEESE_yNS9_4plusIvEEyEEDaPvRmT3_T4_T5_mT6_P12ihipStream_tbENKUlT_T0_E_clISt17integral_constantIbLb1EEST_IbLb0EEEEDaSP_SQ_EUlSP_E_NS1_11comp_targetILNS1_3genE10ELNS1_11target_archE1200ELNS1_3gpuE4ELNS1_3repE0EEENS1_30default_config_static_selectorELNS0_4arch9wavefront6targetE1EEEvT1_
	.globl	_ZN7rocprim17ROCPRIM_400000_NS6detail17trampoline_kernelINS0_14default_configENS1_20scan_config_selectorIyEEZZNS1_9scan_implILNS1_25lookback_scan_determinismE0ELb0ELb0ES3_N6thrust23THRUST_200600_302600_NS6detail15normal_iteratorINS9_10device_ptrIyEEEESE_yNS9_4plusIvEEyEEDaPvRmT3_T4_T5_mT6_P12ihipStream_tbENKUlT_T0_E_clISt17integral_constantIbLb1EEST_IbLb0EEEEDaSP_SQ_EUlSP_E_NS1_11comp_targetILNS1_3genE10ELNS1_11target_archE1200ELNS1_3gpuE4ELNS1_3repE0EEENS1_30default_config_static_selectorELNS0_4arch9wavefront6targetE1EEEvT1_
	.p2align	8
	.type	_ZN7rocprim17ROCPRIM_400000_NS6detail17trampoline_kernelINS0_14default_configENS1_20scan_config_selectorIyEEZZNS1_9scan_implILNS1_25lookback_scan_determinismE0ELb0ELb0ES3_N6thrust23THRUST_200600_302600_NS6detail15normal_iteratorINS9_10device_ptrIyEEEESE_yNS9_4plusIvEEyEEDaPvRmT3_T4_T5_mT6_P12ihipStream_tbENKUlT_T0_E_clISt17integral_constantIbLb1EEST_IbLb0EEEEDaSP_SQ_EUlSP_E_NS1_11comp_targetILNS1_3genE10ELNS1_11target_archE1200ELNS1_3gpuE4ELNS1_3repE0EEENS1_30default_config_static_selectorELNS0_4arch9wavefront6targetE1EEEvT1_,@function
_ZN7rocprim17ROCPRIM_400000_NS6detail17trampoline_kernelINS0_14default_configENS1_20scan_config_selectorIyEEZZNS1_9scan_implILNS1_25lookback_scan_determinismE0ELb0ELb0ES3_N6thrust23THRUST_200600_302600_NS6detail15normal_iteratorINS9_10device_ptrIyEEEESE_yNS9_4plusIvEEyEEDaPvRmT3_T4_T5_mT6_P12ihipStream_tbENKUlT_T0_E_clISt17integral_constantIbLb1EEST_IbLb0EEEEDaSP_SQ_EUlSP_E_NS1_11comp_targetILNS1_3genE10ELNS1_11target_archE1200ELNS1_3gpuE4ELNS1_3repE0EEENS1_30default_config_static_selectorELNS0_4arch9wavefront6targetE1EEEvT1_: ; @_ZN7rocprim17ROCPRIM_400000_NS6detail17trampoline_kernelINS0_14default_configENS1_20scan_config_selectorIyEEZZNS1_9scan_implILNS1_25lookback_scan_determinismE0ELb0ELb0ES3_N6thrust23THRUST_200600_302600_NS6detail15normal_iteratorINS9_10device_ptrIyEEEESE_yNS9_4plusIvEEyEEDaPvRmT3_T4_T5_mT6_P12ihipStream_tbENKUlT_T0_E_clISt17integral_constantIbLb1EEST_IbLb0EEEEDaSP_SQ_EUlSP_E_NS1_11comp_targetILNS1_3genE10ELNS1_11target_archE1200ELNS1_3gpuE4ELNS1_3repE0EEENS1_30default_config_static_selectorELNS0_4arch9wavefront6targetE1EEEvT1_
; %bb.0:
	.section	.rodata,"a",@progbits
	.p2align	6, 0x0
	.amdhsa_kernel _ZN7rocprim17ROCPRIM_400000_NS6detail17trampoline_kernelINS0_14default_configENS1_20scan_config_selectorIyEEZZNS1_9scan_implILNS1_25lookback_scan_determinismE0ELb0ELb0ES3_N6thrust23THRUST_200600_302600_NS6detail15normal_iteratorINS9_10device_ptrIyEEEESE_yNS9_4plusIvEEyEEDaPvRmT3_T4_T5_mT6_P12ihipStream_tbENKUlT_T0_E_clISt17integral_constantIbLb1EEST_IbLb0EEEEDaSP_SQ_EUlSP_E_NS1_11comp_targetILNS1_3genE10ELNS1_11target_archE1200ELNS1_3gpuE4ELNS1_3repE0EEENS1_30default_config_static_selectorELNS0_4arch9wavefront6targetE1EEEvT1_
		.amdhsa_group_segment_fixed_size 0
		.amdhsa_private_segment_fixed_size 0
		.amdhsa_kernarg_size 104
		.amdhsa_user_sgpr_count 6
		.amdhsa_user_sgpr_private_segment_buffer 1
		.amdhsa_user_sgpr_dispatch_ptr 0
		.amdhsa_user_sgpr_queue_ptr 0
		.amdhsa_user_sgpr_kernarg_segment_ptr 1
		.amdhsa_user_sgpr_dispatch_id 0
		.amdhsa_user_sgpr_flat_scratch_init 0
		.amdhsa_user_sgpr_kernarg_preload_length 0
		.amdhsa_user_sgpr_kernarg_preload_offset 0
		.amdhsa_user_sgpr_private_segment_size 0
		.amdhsa_uses_dynamic_stack 0
		.amdhsa_system_sgpr_private_segment_wavefront_offset 0
		.amdhsa_system_sgpr_workgroup_id_x 1
		.amdhsa_system_sgpr_workgroup_id_y 0
		.amdhsa_system_sgpr_workgroup_id_z 0
		.amdhsa_system_sgpr_workgroup_info 0
		.amdhsa_system_vgpr_workitem_id 0
		.amdhsa_next_free_vgpr 1
		.amdhsa_next_free_sgpr 0
		.amdhsa_accum_offset 4
		.amdhsa_reserve_vcc 0
		.amdhsa_reserve_flat_scratch 0
		.amdhsa_float_round_mode_32 0
		.amdhsa_float_round_mode_16_64 0
		.amdhsa_float_denorm_mode_32 3
		.amdhsa_float_denorm_mode_16_64 3
		.amdhsa_dx10_clamp 1
		.amdhsa_ieee_mode 1
		.amdhsa_fp16_overflow 0
		.amdhsa_tg_split 0
		.amdhsa_exception_fp_ieee_invalid_op 0
		.amdhsa_exception_fp_denorm_src 0
		.amdhsa_exception_fp_ieee_div_zero 0
		.amdhsa_exception_fp_ieee_overflow 0
		.amdhsa_exception_fp_ieee_underflow 0
		.amdhsa_exception_fp_ieee_inexact 0
		.amdhsa_exception_int_div_zero 0
	.end_amdhsa_kernel
	.section	.text._ZN7rocprim17ROCPRIM_400000_NS6detail17trampoline_kernelINS0_14default_configENS1_20scan_config_selectorIyEEZZNS1_9scan_implILNS1_25lookback_scan_determinismE0ELb0ELb0ES3_N6thrust23THRUST_200600_302600_NS6detail15normal_iteratorINS9_10device_ptrIyEEEESE_yNS9_4plusIvEEyEEDaPvRmT3_T4_T5_mT6_P12ihipStream_tbENKUlT_T0_E_clISt17integral_constantIbLb1EEST_IbLb0EEEEDaSP_SQ_EUlSP_E_NS1_11comp_targetILNS1_3genE10ELNS1_11target_archE1200ELNS1_3gpuE4ELNS1_3repE0EEENS1_30default_config_static_selectorELNS0_4arch9wavefront6targetE1EEEvT1_,"axG",@progbits,_ZN7rocprim17ROCPRIM_400000_NS6detail17trampoline_kernelINS0_14default_configENS1_20scan_config_selectorIyEEZZNS1_9scan_implILNS1_25lookback_scan_determinismE0ELb0ELb0ES3_N6thrust23THRUST_200600_302600_NS6detail15normal_iteratorINS9_10device_ptrIyEEEESE_yNS9_4plusIvEEyEEDaPvRmT3_T4_T5_mT6_P12ihipStream_tbENKUlT_T0_E_clISt17integral_constantIbLb1EEST_IbLb0EEEEDaSP_SQ_EUlSP_E_NS1_11comp_targetILNS1_3genE10ELNS1_11target_archE1200ELNS1_3gpuE4ELNS1_3repE0EEENS1_30default_config_static_selectorELNS0_4arch9wavefront6targetE1EEEvT1_,comdat
.Lfunc_end4472:
	.size	_ZN7rocprim17ROCPRIM_400000_NS6detail17trampoline_kernelINS0_14default_configENS1_20scan_config_selectorIyEEZZNS1_9scan_implILNS1_25lookback_scan_determinismE0ELb0ELb0ES3_N6thrust23THRUST_200600_302600_NS6detail15normal_iteratorINS9_10device_ptrIyEEEESE_yNS9_4plusIvEEyEEDaPvRmT3_T4_T5_mT6_P12ihipStream_tbENKUlT_T0_E_clISt17integral_constantIbLb1EEST_IbLb0EEEEDaSP_SQ_EUlSP_E_NS1_11comp_targetILNS1_3genE10ELNS1_11target_archE1200ELNS1_3gpuE4ELNS1_3repE0EEENS1_30default_config_static_selectorELNS0_4arch9wavefront6targetE1EEEvT1_, .Lfunc_end4472-_ZN7rocprim17ROCPRIM_400000_NS6detail17trampoline_kernelINS0_14default_configENS1_20scan_config_selectorIyEEZZNS1_9scan_implILNS1_25lookback_scan_determinismE0ELb0ELb0ES3_N6thrust23THRUST_200600_302600_NS6detail15normal_iteratorINS9_10device_ptrIyEEEESE_yNS9_4plusIvEEyEEDaPvRmT3_T4_T5_mT6_P12ihipStream_tbENKUlT_T0_E_clISt17integral_constantIbLb1EEST_IbLb0EEEEDaSP_SQ_EUlSP_E_NS1_11comp_targetILNS1_3genE10ELNS1_11target_archE1200ELNS1_3gpuE4ELNS1_3repE0EEENS1_30default_config_static_selectorELNS0_4arch9wavefront6targetE1EEEvT1_
                                        ; -- End function
	.section	.AMDGPU.csdata,"",@progbits
; Kernel info:
; codeLenInByte = 0
; NumSgprs: 4
; NumVgprs: 0
; NumAgprs: 0
; TotalNumVgprs: 0
; ScratchSize: 0
; MemoryBound: 0
; FloatMode: 240
; IeeeMode: 1
; LDSByteSize: 0 bytes/workgroup (compile time only)
; SGPRBlocks: 0
; VGPRBlocks: 0
; NumSGPRsForWavesPerEU: 4
; NumVGPRsForWavesPerEU: 1
; AccumOffset: 4
; Occupancy: 8
; WaveLimiterHint : 0
; COMPUTE_PGM_RSRC2:SCRATCH_EN: 0
; COMPUTE_PGM_RSRC2:USER_SGPR: 6
; COMPUTE_PGM_RSRC2:TRAP_HANDLER: 0
; COMPUTE_PGM_RSRC2:TGID_X_EN: 1
; COMPUTE_PGM_RSRC2:TGID_Y_EN: 0
; COMPUTE_PGM_RSRC2:TGID_Z_EN: 0
; COMPUTE_PGM_RSRC2:TIDIG_COMP_CNT: 0
; COMPUTE_PGM_RSRC3_GFX90A:ACCUM_OFFSET: 0
; COMPUTE_PGM_RSRC3_GFX90A:TG_SPLIT: 0
	.section	.text._ZN7rocprim17ROCPRIM_400000_NS6detail17trampoline_kernelINS0_14default_configENS1_20scan_config_selectorIyEEZZNS1_9scan_implILNS1_25lookback_scan_determinismE0ELb0ELb0ES3_N6thrust23THRUST_200600_302600_NS6detail15normal_iteratorINS9_10device_ptrIyEEEESE_yNS9_4plusIvEEyEEDaPvRmT3_T4_T5_mT6_P12ihipStream_tbENKUlT_T0_E_clISt17integral_constantIbLb1EEST_IbLb0EEEEDaSP_SQ_EUlSP_E_NS1_11comp_targetILNS1_3genE9ELNS1_11target_archE1100ELNS1_3gpuE3ELNS1_3repE0EEENS1_30default_config_static_selectorELNS0_4arch9wavefront6targetE1EEEvT1_,"axG",@progbits,_ZN7rocprim17ROCPRIM_400000_NS6detail17trampoline_kernelINS0_14default_configENS1_20scan_config_selectorIyEEZZNS1_9scan_implILNS1_25lookback_scan_determinismE0ELb0ELb0ES3_N6thrust23THRUST_200600_302600_NS6detail15normal_iteratorINS9_10device_ptrIyEEEESE_yNS9_4plusIvEEyEEDaPvRmT3_T4_T5_mT6_P12ihipStream_tbENKUlT_T0_E_clISt17integral_constantIbLb1EEST_IbLb0EEEEDaSP_SQ_EUlSP_E_NS1_11comp_targetILNS1_3genE9ELNS1_11target_archE1100ELNS1_3gpuE3ELNS1_3repE0EEENS1_30default_config_static_selectorELNS0_4arch9wavefront6targetE1EEEvT1_,comdat
	.protected	_ZN7rocprim17ROCPRIM_400000_NS6detail17trampoline_kernelINS0_14default_configENS1_20scan_config_selectorIyEEZZNS1_9scan_implILNS1_25lookback_scan_determinismE0ELb0ELb0ES3_N6thrust23THRUST_200600_302600_NS6detail15normal_iteratorINS9_10device_ptrIyEEEESE_yNS9_4plusIvEEyEEDaPvRmT3_T4_T5_mT6_P12ihipStream_tbENKUlT_T0_E_clISt17integral_constantIbLb1EEST_IbLb0EEEEDaSP_SQ_EUlSP_E_NS1_11comp_targetILNS1_3genE9ELNS1_11target_archE1100ELNS1_3gpuE3ELNS1_3repE0EEENS1_30default_config_static_selectorELNS0_4arch9wavefront6targetE1EEEvT1_ ; -- Begin function _ZN7rocprim17ROCPRIM_400000_NS6detail17trampoline_kernelINS0_14default_configENS1_20scan_config_selectorIyEEZZNS1_9scan_implILNS1_25lookback_scan_determinismE0ELb0ELb0ES3_N6thrust23THRUST_200600_302600_NS6detail15normal_iteratorINS9_10device_ptrIyEEEESE_yNS9_4plusIvEEyEEDaPvRmT3_T4_T5_mT6_P12ihipStream_tbENKUlT_T0_E_clISt17integral_constantIbLb1EEST_IbLb0EEEEDaSP_SQ_EUlSP_E_NS1_11comp_targetILNS1_3genE9ELNS1_11target_archE1100ELNS1_3gpuE3ELNS1_3repE0EEENS1_30default_config_static_selectorELNS0_4arch9wavefront6targetE1EEEvT1_
	.globl	_ZN7rocprim17ROCPRIM_400000_NS6detail17trampoline_kernelINS0_14default_configENS1_20scan_config_selectorIyEEZZNS1_9scan_implILNS1_25lookback_scan_determinismE0ELb0ELb0ES3_N6thrust23THRUST_200600_302600_NS6detail15normal_iteratorINS9_10device_ptrIyEEEESE_yNS9_4plusIvEEyEEDaPvRmT3_T4_T5_mT6_P12ihipStream_tbENKUlT_T0_E_clISt17integral_constantIbLb1EEST_IbLb0EEEEDaSP_SQ_EUlSP_E_NS1_11comp_targetILNS1_3genE9ELNS1_11target_archE1100ELNS1_3gpuE3ELNS1_3repE0EEENS1_30default_config_static_selectorELNS0_4arch9wavefront6targetE1EEEvT1_
	.p2align	8
	.type	_ZN7rocprim17ROCPRIM_400000_NS6detail17trampoline_kernelINS0_14default_configENS1_20scan_config_selectorIyEEZZNS1_9scan_implILNS1_25lookback_scan_determinismE0ELb0ELb0ES3_N6thrust23THRUST_200600_302600_NS6detail15normal_iteratorINS9_10device_ptrIyEEEESE_yNS9_4plusIvEEyEEDaPvRmT3_T4_T5_mT6_P12ihipStream_tbENKUlT_T0_E_clISt17integral_constantIbLb1EEST_IbLb0EEEEDaSP_SQ_EUlSP_E_NS1_11comp_targetILNS1_3genE9ELNS1_11target_archE1100ELNS1_3gpuE3ELNS1_3repE0EEENS1_30default_config_static_selectorELNS0_4arch9wavefront6targetE1EEEvT1_,@function
_ZN7rocprim17ROCPRIM_400000_NS6detail17trampoline_kernelINS0_14default_configENS1_20scan_config_selectorIyEEZZNS1_9scan_implILNS1_25lookback_scan_determinismE0ELb0ELb0ES3_N6thrust23THRUST_200600_302600_NS6detail15normal_iteratorINS9_10device_ptrIyEEEESE_yNS9_4plusIvEEyEEDaPvRmT3_T4_T5_mT6_P12ihipStream_tbENKUlT_T0_E_clISt17integral_constantIbLb1EEST_IbLb0EEEEDaSP_SQ_EUlSP_E_NS1_11comp_targetILNS1_3genE9ELNS1_11target_archE1100ELNS1_3gpuE3ELNS1_3repE0EEENS1_30default_config_static_selectorELNS0_4arch9wavefront6targetE1EEEvT1_: ; @_ZN7rocprim17ROCPRIM_400000_NS6detail17trampoline_kernelINS0_14default_configENS1_20scan_config_selectorIyEEZZNS1_9scan_implILNS1_25lookback_scan_determinismE0ELb0ELb0ES3_N6thrust23THRUST_200600_302600_NS6detail15normal_iteratorINS9_10device_ptrIyEEEESE_yNS9_4plusIvEEyEEDaPvRmT3_T4_T5_mT6_P12ihipStream_tbENKUlT_T0_E_clISt17integral_constantIbLb1EEST_IbLb0EEEEDaSP_SQ_EUlSP_E_NS1_11comp_targetILNS1_3genE9ELNS1_11target_archE1100ELNS1_3gpuE3ELNS1_3repE0EEENS1_30default_config_static_selectorELNS0_4arch9wavefront6targetE1EEEvT1_
; %bb.0:
	.section	.rodata,"a",@progbits
	.p2align	6, 0x0
	.amdhsa_kernel _ZN7rocprim17ROCPRIM_400000_NS6detail17trampoline_kernelINS0_14default_configENS1_20scan_config_selectorIyEEZZNS1_9scan_implILNS1_25lookback_scan_determinismE0ELb0ELb0ES3_N6thrust23THRUST_200600_302600_NS6detail15normal_iteratorINS9_10device_ptrIyEEEESE_yNS9_4plusIvEEyEEDaPvRmT3_T4_T5_mT6_P12ihipStream_tbENKUlT_T0_E_clISt17integral_constantIbLb1EEST_IbLb0EEEEDaSP_SQ_EUlSP_E_NS1_11comp_targetILNS1_3genE9ELNS1_11target_archE1100ELNS1_3gpuE3ELNS1_3repE0EEENS1_30default_config_static_selectorELNS0_4arch9wavefront6targetE1EEEvT1_
		.amdhsa_group_segment_fixed_size 0
		.amdhsa_private_segment_fixed_size 0
		.amdhsa_kernarg_size 104
		.amdhsa_user_sgpr_count 6
		.amdhsa_user_sgpr_private_segment_buffer 1
		.amdhsa_user_sgpr_dispatch_ptr 0
		.amdhsa_user_sgpr_queue_ptr 0
		.amdhsa_user_sgpr_kernarg_segment_ptr 1
		.amdhsa_user_sgpr_dispatch_id 0
		.amdhsa_user_sgpr_flat_scratch_init 0
		.amdhsa_user_sgpr_kernarg_preload_length 0
		.amdhsa_user_sgpr_kernarg_preload_offset 0
		.amdhsa_user_sgpr_private_segment_size 0
		.amdhsa_uses_dynamic_stack 0
		.amdhsa_system_sgpr_private_segment_wavefront_offset 0
		.amdhsa_system_sgpr_workgroup_id_x 1
		.amdhsa_system_sgpr_workgroup_id_y 0
		.amdhsa_system_sgpr_workgroup_id_z 0
		.amdhsa_system_sgpr_workgroup_info 0
		.amdhsa_system_vgpr_workitem_id 0
		.amdhsa_next_free_vgpr 1
		.amdhsa_next_free_sgpr 0
		.amdhsa_accum_offset 4
		.amdhsa_reserve_vcc 0
		.amdhsa_reserve_flat_scratch 0
		.amdhsa_float_round_mode_32 0
		.amdhsa_float_round_mode_16_64 0
		.amdhsa_float_denorm_mode_32 3
		.amdhsa_float_denorm_mode_16_64 3
		.amdhsa_dx10_clamp 1
		.amdhsa_ieee_mode 1
		.amdhsa_fp16_overflow 0
		.amdhsa_tg_split 0
		.amdhsa_exception_fp_ieee_invalid_op 0
		.amdhsa_exception_fp_denorm_src 0
		.amdhsa_exception_fp_ieee_div_zero 0
		.amdhsa_exception_fp_ieee_overflow 0
		.amdhsa_exception_fp_ieee_underflow 0
		.amdhsa_exception_fp_ieee_inexact 0
		.amdhsa_exception_int_div_zero 0
	.end_amdhsa_kernel
	.section	.text._ZN7rocprim17ROCPRIM_400000_NS6detail17trampoline_kernelINS0_14default_configENS1_20scan_config_selectorIyEEZZNS1_9scan_implILNS1_25lookback_scan_determinismE0ELb0ELb0ES3_N6thrust23THRUST_200600_302600_NS6detail15normal_iteratorINS9_10device_ptrIyEEEESE_yNS9_4plusIvEEyEEDaPvRmT3_T4_T5_mT6_P12ihipStream_tbENKUlT_T0_E_clISt17integral_constantIbLb1EEST_IbLb0EEEEDaSP_SQ_EUlSP_E_NS1_11comp_targetILNS1_3genE9ELNS1_11target_archE1100ELNS1_3gpuE3ELNS1_3repE0EEENS1_30default_config_static_selectorELNS0_4arch9wavefront6targetE1EEEvT1_,"axG",@progbits,_ZN7rocprim17ROCPRIM_400000_NS6detail17trampoline_kernelINS0_14default_configENS1_20scan_config_selectorIyEEZZNS1_9scan_implILNS1_25lookback_scan_determinismE0ELb0ELb0ES3_N6thrust23THRUST_200600_302600_NS6detail15normal_iteratorINS9_10device_ptrIyEEEESE_yNS9_4plusIvEEyEEDaPvRmT3_T4_T5_mT6_P12ihipStream_tbENKUlT_T0_E_clISt17integral_constantIbLb1EEST_IbLb0EEEEDaSP_SQ_EUlSP_E_NS1_11comp_targetILNS1_3genE9ELNS1_11target_archE1100ELNS1_3gpuE3ELNS1_3repE0EEENS1_30default_config_static_selectorELNS0_4arch9wavefront6targetE1EEEvT1_,comdat
.Lfunc_end4473:
	.size	_ZN7rocprim17ROCPRIM_400000_NS6detail17trampoline_kernelINS0_14default_configENS1_20scan_config_selectorIyEEZZNS1_9scan_implILNS1_25lookback_scan_determinismE0ELb0ELb0ES3_N6thrust23THRUST_200600_302600_NS6detail15normal_iteratorINS9_10device_ptrIyEEEESE_yNS9_4plusIvEEyEEDaPvRmT3_T4_T5_mT6_P12ihipStream_tbENKUlT_T0_E_clISt17integral_constantIbLb1EEST_IbLb0EEEEDaSP_SQ_EUlSP_E_NS1_11comp_targetILNS1_3genE9ELNS1_11target_archE1100ELNS1_3gpuE3ELNS1_3repE0EEENS1_30default_config_static_selectorELNS0_4arch9wavefront6targetE1EEEvT1_, .Lfunc_end4473-_ZN7rocprim17ROCPRIM_400000_NS6detail17trampoline_kernelINS0_14default_configENS1_20scan_config_selectorIyEEZZNS1_9scan_implILNS1_25lookback_scan_determinismE0ELb0ELb0ES3_N6thrust23THRUST_200600_302600_NS6detail15normal_iteratorINS9_10device_ptrIyEEEESE_yNS9_4plusIvEEyEEDaPvRmT3_T4_T5_mT6_P12ihipStream_tbENKUlT_T0_E_clISt17integral_constantIbLb1EEST_IbLb0EEEEDaSP_SQ_EUlSP_E_NS1_11comp_targetILNS1_3genE9ELNS1_11target_archE1100ELNS1_3gpuE3ELNS1_3repE0EEENS1_30default_config_static_selectorELNS0_4arch9wavefront6targetE1EEEvT1_
                                        ; -- End function
	.section	.AMDGPU.csdata,"",@progbits
; Kernel info:
; codeLenInByte = 0
; NumSgprs: 4
; NumVgprs: 0
; NumAgprs: 0
; TotalNumVgprs: 0
; ScratchSize: 0
; MemoryBound: 0
; FloatMode: 240
; IeeeMode: 1
; LDSByteSize: 0 bytes/workgroup (compile time only)
; SGPRBlocks: 0
; VGPRBlocks: 0
; NumSGPRsForWavesPerEU: 4
; NumVGPRsForWavesPerEU: 1
; AccumOffset: 4
; Occupancy: 8
; WaveLimiterHint : 0
; COMPUTE_PGM_RSRC2:SCRATCH_EN: 0
; COMPUTE_PGM_RSRC2:USER_SGPR: 6
; COMPUTE_PGM_RSRC2:TRAP_HANDLER: 0
; COMPUTE_PGM_RSRC2:TGID_X_EN: 1
; COMPUTE_PGM_RSRC2:TGID_Y_EN: 0
; COMPUTE_PGM_RSRC2:TGID_Z_EN: 0
; COMPUTE_PGM_RSRC2:TIDIG_COMP_CNT: 0
; COMPUTE_PGM_RSRC3_GFX90A:ACCUM_OFFSET: 0
; COMPUTE_PGM_RSRC3_GFX90A:TG_SPLIT: 0
	.section	.text._ZN7rocprim17ROCPRIM_400000_NS6detail17trampoline_kernelINS0_14default_configENS1_20scan_config_selectorIyEEZZNS1_9scan_implILNS1_25lookback_scan_determinismE0ELb0ELb0ES3_N6thrust23THRUST_200600_302600_NS6detail15normal_iteratorINS9_10device_ptrIyEEEESE_yNS9_4plusIvEEyEEDaPvRmT3_T4_T5_mT6_P12ihipStream_tbENKUlT_T0_E_clISt17integral_constantIbLb1EEST_IbLb0EEEEDaSP_SQ_EUlSP_E_NS1_11comp_targetILNS1_3genE8ELNS1_11target_archE1030ELNS1_3gpuE2ELNS1_3repE0EEENS1_30default_config_static_selectorELNS0_4arch9wavefront6targetE1EEEvT1_,"axG",@progbits,_ZN7rocprim17ROCPRIM_400000_NS6detail17trampoline_kernelINS0_14default_configENS1_20scan_config_selectorIyEEZZNS1_9scan_implILNS1_25lookback_scan_determinismE0ELb0ELb0ES3_N6thrust23THRUST_200600_302600_NS6detail15normal_iteratorINS9_10device_ptrIyEEEESE_yNS9_4plusIvEEyEEDaPvRmT3_T4_T5_mT6_P12ihipStream_tbENKUlT_T0_E_clISt17integral_constantIbLb1EEST_IbLb0EEEEDaSP_SQ_EUlSP_E_NS1_11comp_targetILNS1_3genE8ELNS1_11target_archE1030ELNS1_3gpuE2ELNS1_3repE0EEENS1_30default_config_static_selectorELNS0_4arch9wavefront6targetE1EEEvT1_,comdat
	.protected	_ZN7rocprim17ROCPRIM_400000_NS6detail17trampoline_kernelINS0_14default_configENS1_20scan_config_selectorIyEEZZNS1_9scan_implILNS1_25lookback_scan_determinismE0ELb0ELb0ES3_N6thrust23THRUST_200600_302600_NS6detail15normal_iteratorINS9_10device_ptrIyEEEESE_yNS9_4plusIvEEyEEDaPvRmT3_T4_T5_mT6_P12ihipStream_tbENKUlT_T0_E_clISt17integral_constantIbLb1EEST_IbLb0EEEEDaSP_SQ_EUlSP_E_NS1_11comp_targetILNS1_3genE8ELNS1_11target_archE1030ELNS1_3gpuE2ELNS1_3repE0EEENS1_30default_config_static_selectorELNS0_4arch9wavefront6targetE1EEEvT1_ ; -- Begin function _ZN7rocprim17ROCPRIM_400000_NS6detail17trampoline_kernelINS0_14default_configENS1_20scan_config_selectorIyEEZZNS1_9scan_implILNS1_25lookback_scan_determinismE0ELb0ELb0ES3_N6thrust23THRUST_200600_302600_NS6detail15normal_iteratorINS9_10device_ptrIyEEEESE_yNS9_4plusIvEEyEEDaPvRmT3_T4_T5_mT6_P12ihipStream_tbENKUlT_T0_E_clISt17integral_constantIbLb1EEST_IbLb0EEEEDaSP_SQ_EUlSP_E_NS1_11comp_targetILNS1_3genE8ELNS1_11target_archE1030ELNS1_3gpuE2ELNS1_3repE0EEENS1_30default_config_static_selectorELNS0_4arch9wavefront6targetE1EEEvT1_
	.globl	_ZN7rocprim17ROCPRIM_400000_NS6detail17trampoline_kernelINS0_14default_configENS1_20scan_config_selectorIyEEZZNS1_9scan_implILNS1_25lookback_scan_determinismE0ELb0ELb0ES3_N6thrust23THRUST_200600_302600_NS6detail15normal_iteratorINS9_10device_ptrIyEEEESE_yNS9_4plusIvEEyEEDaPvRmT3_T4_T5_mT6_P12ihipStream_tbENKUlT_T0_E_clISt17integral_constantIbLb1EEST_IbLb0EEEEDaSP_SQ_EUlSP_E_NS1_11comp_targetILNS1_3genE8ELNS1_11target_archE1030ELNS1_3gpuE2ELNS1_3repE0EEENS1_30default_config_static_selectorELNS0_4arch9wavefront6targetE1EEEvT1_
	.p2align	8
	.type	_ZN7rocprim17ROCPRIM_400000_NS6detail17trampoline_kernelINS0_14default_configENS1_20scan_config_selectorIyEEZZNS1_9scan_implILNS1_25lookback_scan_determinismE0ELb0ELb0ES3_N6thrust23THRUST_200600_302600_NS6detail15normal_iteratorINS9_10device_ptrIyEEEESE_yNS9_4plusIvEEyEEDaPvRmT3_T4_T5_mT6_P12ihipStream_tbENKUlT_T0_E_clISt17integral_constantIbLb1EEST_IbLb0EEEEDaSP_SQ_EUlSP_E_NS1_11comp_targetILNS1_3genE8ELNS1_11target_archE1030ELNS1_3gpuE2ELNS1_3repE0EEENS1_30default_config_static_selectorELNS0_4arch9wavefront6targetE1EEEvT1_,@function
_ZN7rocprim17ROCPRIM_400000_NS6detail17trampoline_kernelINS0_14default_configENS1_20scan_config_selectorIyEEZZNS1_9scan_implILNS1_25lookback_scan_determinismE0ELb0ELb0ES3_N6thrust23THRUST_200600_302600_NS6detail15normal_iteratorINS9_10device_ptrIyEEEESE_yNS9_4plusIvEEyEEDaPvRmT3_T4_T5_mT6_P12ihipStream_tbENKUlT_T0_E_clISt17integral_constantIbLb1EEST_IbLb0EEEEDaSP_SQ_EUlSP_E_NS1_11comp_targetILNS1_3genE8ELNS1_11target_archE1030ELNS1_3gpuE2ELNS1_3repE0EEENS1_30default_config_static_selectorELNS0_4arch9wavefront6targetE1EEEvT1_: ; @_ZN7rocprim17ROCPRIM_400000_NS6detail17trampoline_kernelINS0_14default_configENS1_20scan_config_selectorIyEEZZNS1_9scan_implILNS1_25lookback_scan_determinismE0ELb0ELb0ES3_N6thrust23THRUST_200600_302600_NS6detail15normal_iteratorINS9_10device_ptrIyEEEESE_yNS9_4plusIvEEyEEDaPvRmT3_T4_T5_mT6_P12ihipStream_tbENKUlT_T0_E_clISt17integral_constantIbLb1EEST_IbLb0EEEEDaSP_SQ_EUlSP_E_NS1_11comp_targetILNS1_3genE8ELNS1_11target_archE1030ELNS1_3gpuE2ELNS1_3repE0EEENS1_30default_config_static_selectorELNS0_4arch9wavefront6targetE1EEEvT1_
; %bb.0:
	.section	.rodata,"a",@progbits
	.p2align	6, 0x0
	.amdhsa_kernel _ZN7rocprim17ROCPRIM_400000_NS6detail17trampoline_kernelINS0_14default_configENS1_20scan_config_selectorIyEEZZNS1_9scan_implILNS1_25lookback_scan_determinismE0ELb0ELb0ES3_N6thrust23THRUST_200600_302600_NS6detail15normal_iteratorINS9_10device_ptrIyEEEESE_yNS9_4plusIvEEyEEDaPvRmT3_T4_T5_mT6_P12ihipStream_tbENKUlT_T0_E_clISt17integral_constantIbLb1EEST_IbLb0EEEEDaSP_SQ_EUlSP_E_NS1_11comp_targetILNS1_3genE8ELNS1_11target_archE1030ELNS1_3gpuE2ELNS1_3repE0EEENS1_30default_config_static_selectorELNS0_4arch9wavefront6targetE1EEEvT1_
		.amdhsa_group_segment_fixed_size 0
		.amdhsa_private_segment_fixed_size 0
		.amdhsa_kernarg_size 104
		.amdhsa_user_sgpr_count 6
		.amdhsa_user_sgpr_private_segment_buffer 1
		.amdhsa_user_sgpr_dispatch_ptr 0
		.amdhsa_user_sgpr_queue_ptr 0
		.amdhsa_user_sgpr_kernarg_segment_ptr 1
		.amdhsa_user_sgpr_dispatch_id 0
		.amdhsa_user_sgpr_flat_scratch_init 0
		.amdhsa_user_sgpr_kernarg_preload_length 0
		.amdhsa_user_sgpr_kernarg_preload_offset 0
		.amdhsa_user_sgpr_private_segment_size 0
		.amdhsa_uses_dynamic_stack 0
		.amdhsa_system_sgpr_private_segment_wavefront_offset 0
		.amdhsa_system_sgpr_workgroup_id_x 1
		.amdhsa_system_sgpr_workgroup_id_y 0
		.amdhsa_system_sgpr_workgroup_id_z 0
		.amdhsa_system_sgpr_workgroup_info 0
		.amdhsa_system_vgpr_workitem_id 0
		.amdhsa_next_free_vgpr 1
		.amdhsa_next_free_sgpr 0
		.amdhsa_accum_offset 4
		.amdhsa_reserve_vcc 0
		.amdhsa_reserve_flat_scratch 0
		.amdhsa_float_round_mode_32 0
		.amdhsa_float_round_mode_16_64 0
		.amdhsa_float_denorm_mode_32 3
		.amdhsa_float_denorm_mode_16_64 3
		.amdhsa_dx10_clamp 1
		.amdhsa_ieee_mode 1
		.amdhsa_fp16_overflow 0
		.amdhsa_tg_split 0
		.amdhsa_exception_fp_ieee_invalid_op 0
		.amdhsa_exception_fp_denorm_src 0
		.amdhsa_exception_fp_ieee_div_zero 0
		.amdhsa_exception_fp_ieee_overflow 0
		.amdhsa_exception_fp_ieee_underflow 0
		.amdhsa_exception_fp_ieee_inexact 0
		.amdhsa_exception_int_div_zero 0
	.end_amdhsa_kernel
	.section	.text._ZN7rocprim17ROCPRIM_400000_NS6detail17trampoline_kernelINS0_14default_configENS1_20scan_config_selectorIyEEZZNS1_9scan_implILNS1_25lookback_scan_determinismE0ELb0ELb0ES3_N6thrust23THRUST_200600_302600_NS6detail15normal_iteratorINS9_10device_ptrIyEEEESE_yNS9_4plusIvEEyEEDaPvRmT3_T4_T5_mT6_P12ihipStream_tbENKUlT_T0_E_clISt17integral_constantIbLb1EEST_IbLb0EEEEDaSP_SQ_EUlSP_E_NS1_11comp_targetILNS1_3genE8ELNS1_11target_archE1030ELNS1_3gpuE2ELNS1_3repE0EEENS1_30default_config_static_selectorELNS0_4arch9wavefront6targetE1EEEvT1_,"axG",@progbits,_ZN7rocprim17ROCPRIM_400000_NS6detail17trampoline_kernelINS0_14default_configENS1_20scan_config_selectorIyEEZZNS1_9scan_implILNS1_25lookback_scan_determinismE0ELb0ELb0ES3_N6thrust23THRUST_200600_302600_NS6detail15normal_iteratorINS9_10device_ptrIyEEEESE_yNS9_4plusIvEEyEEDaPvRmT3_T4_T5_mT6_P12ihipStream_tbENKUlT_T0_E_clISt17integral_constantIbLb1EEST_IbLb0EEEEDaSP_SQ_EUlSP_E_NS1_11comp_targetILNS1_3genE8ELNS1_11target_archE1030ELNS1_3gpuE2ELNS1_3repE0EEENS1_30default_config_static_selectorELNS0_4arch9wavefront6targetE1EEEvT1_,comdat
.Lfunc_end4474:
	.size	_ZN7rocprim17ROCPRIM_400000_NS6detail17trampoline_kernelINS0_14default_configENS1_20scan_config_selectorIyEEZZNS1_9scan_implILNS1_25lookback_scan_determinismE0ELb0ELb0ES3_N6thrust23THRUST_200600_302600_NS6detail15normal_iteratorINS9_10device_ptrIyEEEESE_yNS9_4plusIvEEyEEDaPvRmT3_T4_T5_mT6_P12ihipStream_tbENKUlT_T0_E_clISt17integral_constantIbLb1EEST_IbLb0EEEEDaSP_SQ_EUlSP_E_NS1_11comp_targetILNS1_3genE8ELNS1_11target_archE1030ELNS1_3gpuE2ELNS1_3repE0EEENS1_30default_config_static_selectorELNS0_4arch9wavefront6targetE1EEEvT1_, .Lfunc_end4474-_ZN7rocprim17ROCPRIM_400000_NS6detail17trampoline_kernelINS0_14default_configENS1_20scan_config_selectorIyEEZZNS1_9scan_implILNS1_25lookback_scan_determinismE0ELb0ELb0ES3_N6thrust23THRUST_200600_302600_NS6detail15normal_iteratorINS9_10device_ptrIyEEEESE_yNS9_4plusIvEEyEEDaPvRmT3_T4_T5_mT6_P12ihipStream_tbENKUlT_T0_E_clISt17integral_constantIbLb1EEST_IbLb0EEEEDaSP_SQ_EUlSP_E_NS1_11comp_targetILNS1_3genE8ELNS1_11target_archE1030ELNS1_3gpuE2ELNS1_3repE0EEENS1_30default_config_static_selectorELNS0_4arch9wavefront6targetE1EEEvT1_
                                        ; -- End function
	.section	.AMDGPU.csdata,"",@progbits
; Kernel info:
; codeLenInByte = 0
; NumSgprs: 4
; NumVgprs: 0
; NumAgprs: 0
; TotalNumVgprs: 0
; ScratchSize: 0
; MemoryBound: 0
; FloatMode: 240
; IeeeMode: 1
; LDSByteSize: 0 bytes/workgroup (compile time only)
; SGPRBlocks: 0
; VGPRBlocks: 0
; NumSGPRsForWavesPerEU: 4
; NumVGPRsForWavesPerEU: 1
; AccumOffset: 4
; Occupancy: 8
; WaveLimiterHint : 0
; COMPUTE_PGM_RSRC2:SCRATCH_EN: 0
; COMPUTE_PGM_RSRC2:USER_SGPR: 6
; COMPUTE_PGM_RSRC2:TRAP_HANDLER: 0
; COMPUTE_PGM_RSRC2:TGID_X_EN: 1
; COMPUTE_PGM_RSRC2:TGID_Y_EN: 0
; COMPUTE_PGM_RSRC2:TGID_Z_EN: 0
; COMPUTE_PGM_RSRC2:TIDIG_COMP_CNT: 0
; COMPUTE_PGM_RSRC3_GFX90A:ACCUM_OFFSET: 0
; COMPUTE_PGM_RSRC3_GFX90A:TG_SPLIT: 0
	.section	.text._ZN7rocprim17ROCPRIM_400000_NS6detail17trampoline_kernelINS0_14default_configENS1_20scan_config_selectorIyEEZZNS1_9scan_implILNS1_25lookback_scan_determinismE0ELb0ELb0ES3_N6thrust23THRUST_200600_302600_NS6detail15normal_iteratorINS9_10device_ptrIyEEEESE_yNS9_4plusIvEEyEEDaPvRmT3_T4_T5_mT6_P12ihipStream_tbENKUlT_T0_E_clISt17integral_constantIbLb1EEST_IbLb0EEEEDaSP_SQ_EUlSP_E0_NS1_11comp_targetILNS1_3genE0ELNS1_11target_archE4294967295ELNS1_3gpuE0ELNS1_3repE0EEENS1_30default_config_static_selectorELNS0_4arch9wavefront6targetE1EEEvT1_,"axG",@progbits,_ZN7rocprim17ROCPRIM_400000_NS6detail17trampoline_kernelINS0_14default_configENS1_20scan_config_selectorIyEEZZNS1_9scan_implILNS1_25lookback_scan_determinismE0ELb0ELb0ES3_N6thrust23THRUST_200600_302600_NS6detail15normal_iteratorINS9_10device_ptrIyEEEESE_yNS9_4plusIvEEyEEDaPvRmT3_T4_T5_mT6_P12ihipStream_tbENKUlT_T0_E_clISt17integral_constantIbLb1EEST_IbLb0EEEEDaSP_SQ_EUlSP_E0_NS1_11comp_targetILNS1_3genE0ELNS1_11target_archE4294967295ELNS1_3gpuE0ELNS1_3repE0EEENS1_30default_config_static_selectorELNS0_4arch9wavefront6targetE1EEEvT1_,comdat
	.protected	_ZN7rocprim17ROCPRIM_400000_NS6detail17trampoline_kernelINS0_14default_configENS1_20scan_config_selectorIyEEZZNS1_9scan_implILNS1_25lookback_scan_determinismE0ELb0ELb0ES3_N6thrust23THRUST_200600_302600_NS6detail15normal_iteratorINS9_10device_ptrIyEEEESE_yNS9_4plusIvEEyEEDaPvRmT3_T4_T5_mT6_P12ihipStream_tbENKUlT_T0_E_clISt17integral_constantIbLb1EEST_IbLb0EEEEDaSP_SQ_EUlSP_E0_NS1_11comp_targetILNS1_3genE0ELNS1_11target_archE4294967295ELNS1_3gpuE0ELNS1_3repE0EEENS1_30default_config_static_selectorELNS0_4arch9wavefront6targetE1EEEvT1_ ; -- Begin function _ZN7rocprim17ROCPRIM_400000_NS6detail17trampoline_kernelINS0_14default_configENS1_20scan_config_selectorIyEEZZNS1_9scan_implILNS1_25lookback_scan_determinismE0ELb0ELb0ES3_N6thrust23THRUST_200600_302600_NS6detail15normal_iteratorINS9_10device_ptrIyEEEESE_yNS9_4plusIvEEyEEDaPvRmT3_T4_T5_mT6_P12ihipStream_tbENKUlT_T0_E_clISt17integral_constantIbLb1EEST_IbLb0EEEEDaSP_SQ_EUlSP_E0_NS1_11comp_targetILNS1_3genE0ELNS1_11target_archE4294967295ELNS1_3gpuE0ELNS1_3repE0EEENS1_30default_config_static_selectorELNS0_4arch9wavefront6targetE1EEEvT1_
	.globl	_ZN7rocprim17ROCPRIM_400000_NS6detail17trampoline_kernelINS0_14default_configENS1_20scan_config_selectorIyEEZZNS1_9scan_implILNS1_25lookback_scan_determinismE0ELb0ELb0ES3_N6thrust23THRUST_200600_302600_NS6detail15normal_iteratorINS9_10device_ptrIyEEEESE_yNS9_4plusIvEEyEEDaPvRmT3_T4_T5_mT6_P12ihipStream_tbENKUlT_T0_E_clISt17integral_constantIbLb1EEST_IbLb0EEEEDaSP_SQ_EUlSP_E0_NS1_11comp_targetILNS1_3genE0ELNS1_11target_archE4294967295ELNS1_3gpuE0ELNS1_3repE0EEENS1_30default_config_static_selectorELNS0_4arch9wavefront6targetE1EEEvT1_
	.p2align	8
	.type	_ZN7rocprim17ROCPRIM_400000_NS6detail17trampoline_kernelINS0_14default_configENS1_20scan_config_selectorIyEEZZNS1_9scan_implILNS1_25lookback_scan_determinismE0ELb0ELb0ES3_N6thrust23THRUST_200600_302600_NS6detail15normal_iteratorINS9_10device_ptrIyEEEESE_yNS9_4plusIvEEyEEDaPvRmT3_T4_T5_mT6_P12ihipStream_tbENKUlT_T0_E_clISt17integral_constantIbLb1EEST_IbLb0EEEEDaSP_SQ_EUlSP_E0_NS1_11comp_targetILNS1_3genE0ELNS1_11target_archE4294967295ELNS1_3gpuE0ELNS1_3repE0EEENS1_30default_config_static_selectorELNS0_4arch9wavefront6targetE1EEEvT1_,@function
_ZN7rocprim17ROCPRIM_400000_NS6detail17trampoline_kernelINS0_14default_configENS1_20scan_config_selectorIyEEZZNS1_9scan_implILNS1_25lookback_scan_determinismE0ELb0ELb0ES3_N6thrust23THRUST_200600_302600_NS6detail15normal_iteratorINS9_10device_ptrIyEEEESE_yNS9_4plusIvEEyEEDaPvRmT3_T4_T5_mT6_P12ihipStream_tbENKUlT_T0_E_clISt17integral_constantIbLb1EEST_IbLb0EEEEDaSP_SQ_EUlSP_E0_NS1_11comp_targetILNS1_3genE0ELNS1_11target_archE4294967295ELNS1_3gpuE0ELNS1_3repE0EEENS1_30default_config_static_selectorELNS0_4arch9wavefront6targetE1EEEvT1_: ; @_ZN7rocprim17ROCPRIM_400000_NS6detail17trampoline_kernelINS0_14default_configENS1_20scan_config_selectorIyEEZZNS1_9scan_implILNS1_25lookback_scan_determinismE0ELb0ELb0ES3_N6thrust23THRUST_200600_302600_NS6detail15normal_iteratorINS9_10device_ptrIyEEEESE_yNS9_4plusIvEEyEEDaPvRmT3_T4_T5_mT6_P12ihipStream_tbENKUlT_T0_E_clISt17integral_constantIbLb1EEST_IbLb0EEEEDaSP_SQ_EUlSP_E0_NS1_11comp_targetILNS1_3genE0ELNS1_11target_archE4294967295ELNS1_3gpuE0ELNS1_3repE0EEENS1_30default_config_static_selectorELNS0_4arch9wavefront6targetE1EEEvT1_
; %bb.0:
	.section	.rodata,"a",@progbits
	.p2align	6, 0x0
	.amdhsa_kernel _ZN7rocprim17ROCPRIM_400000_NS6detail17trampoline_kernelINS0_14default_configENS1_20scan_config_selectorIyEEZZNS1_9scan_implILNS1_25lookback_scan_determinismE0ELb0ELb0ES3_N6thrust23THRUST_200600_302600_NS6detail15normal_iteratorINS9_10device_ptrIyEEEESE_yNS9_4plusIvEEyEEDaPvRmT3_T4_T5_mT6_P12ihipStream_tbENKUlT_T0_E_clISt17integral_constantIbLb1EEST_IbLb0EEEEDaSP_SQ_EUlSP_E0_NS1_11comp_targetILNS1_3genE0ELNS1_11target_archE4294967295ELNS1_3gpuE0ELNS1_3repE0EEENS1_30default_config_static_selectorELNS0_4arch9wavefront6targetE1EEEvT1_
		.amdhsa_group_segment_fixed_size 0
		.amdhsa_private_segment_fixed_size 0
		.amdhsa_kernarg_size 40
		.amdhsa_user_sgpr_count 6
		.amdhsa_user_sgpr_private_segment_buffer 1
		.amdhsa_user_sgpr_dispatch_ptr 0
		.amdhsa_user_sgpr_queue_ptr 0
		.amdhsa_user_sgpr_kernarg_segment_ptr 1
		.amdhsa_user_sgpr_dispatch_id 0
		.amdhsa_user_sgpr_flat_scratch_init 0
		.amdhsa_user_sgpr_kernarg_preload_length 0
		.amdhsa_user_sgpr_kernarg_preload_offset 0
		.amdhsa_user_sgpr_private_segment_size 0
		.amdhsa_uses_dynamic_stack 0
		.amdhsa_system_sgpr_private_segment_wavefront_offset 0
		.amdhsa_system_sgpr_workgroup_id_x 1
		.amdhsa_system_sgpr_workgroup_id_y 0
		.amdhsa_system_sgpr_workgroup_id_z 0
		.amdhsa_system_sgpr_workgroup_info 0
		.amdhsa_system_vgpr_workitem_id 0
		.amdhsa_next_free_vgpr 1
		.amdhsa_next_free_sgpr 0
		.amdhsa_accum_offset 4
		.amdhsa_reserve_vcc 0
		.amdhsa_reserve_flat_scratch 0
		.amdhsa_float_round_mode_32 0
		.amdhsa_float_round_mode_16_64 0
		.amdhsa_float_denorm_mode_32 3
		.amdhsa_float_denorm_mode_16_64 3
		.amdhsa_dx10_clamp 1
		.amdhsa_ieee_mode 1
		.amdhsa_fp16_overflow 0
		.amdhsa_tg_split 0
		.amdhsa_exception_fp_ieee_invalid_op 0
		.amdhsa_exception_fp_denorm_src 0
		.amdhsa_exception_fp_ieee_div_zero 0
		.amdhsa_exception_fp_ieee_overflow 0
		.amdhsa_exception_fp_ieee_underflow 0
		.amdhsa_exception_fp_ieee_inexact 0
		.amdhsa_exception_int_div_zero 0
	.end_amdhsa_kernel
	.section	.text._ZN7rocprim17ROCPRIM_400000_NS6detail17trampoline_kernelINS0_14default_configENS1_20scan_config_selectorIyEEZZNS1_9scan_implILNS1_25lookback_scan_determinismE0ELb0ELb0ES3_N6thrust23THRUST_200600_302600_NS6detail15normal_iteratorINS9_10device_ptrIyEEEESE_yNS9_4plusIvEEyEEDaPvRmT3_T4_T5_mT6_P12ihipStream_tbENKUlT_T0_E_clISt17integral_constantIbLb1EEST_IbLb0EEEEDaSP_SQ_EUlSP_E0_NS1_11comp_targetILNS1_3genE0ELNS1_11target_archE4294967295ELNS1_3gpuE0ELNS1_3repE0EEENS1_30default_config_static_selectorELNS0_4arch9wavefront6targetE1EEEvT1_,"axG",@progbits,_ZN7rocprim17ROCPRIM_400000_NS6detail17trampoline_kernelINS0_14default_configENS1_20scan_config_selectorIyEEZZNS1_9scan_implILNS1_25lookback_scan_determinismE0ELb0ELb0ES3_N6thrust23THRUST_200600_302600_NS6detail15normal_iteratorINS9_10device_ptrIyEEEESE_yNS9_4plusIvEEyEEDaPvRmT3_T4_T5_mT6_P12ihipStream_tbENKUlT_T0_E_clISt17integral_constantIbLb1EEST_IbLb0EEEEDaSP_SQ_EUlSP_E0_NS1_11comp_targetILNS1_3genE0ELNS1_11target_archE4294967295ELNS1_3gpuE0ELNS1_3repE0EEENS1_30default_config_static_selectorELNS0_4arch9wavefront6targetE1EEEvT1_,comdat
.Lfunc_end4475:
	.size	_ZN7rocprim17ROCPRIM_400000_NS6detail17trampoline_kernelINS0_14default_configENS1_20scan_config_selectorIyEEZZNS1_9scan_implILNS1_25lookback_scan_determinismE0ELb0ELb0ES3_N6thrust23THRUST_200600_302600_NS6detail15normal_iteratorINS9_10device_ptrIyEEEESE_yNS9_4plusIvEEyEEDaPvRmT3_T4_T5_mT6_P12ihipStream_tbENKUlT_T0_E_clISt17integral_constantIbLb1EEST_IbLb0EEEEDaSP_SQ_EUlSP_E0_NS1_11comp_targetILNS1_3genE0ELNS1_11target_archE4294967295ELNS1_3gpuE0ELNS1_3repE0EEENS1_30default_config_static_selectorELNS0_4arch9wavefront6targetE1EEEvT1_, .Lfunc_end4475-_ZN7rocprim17ROCPRIM_400000_NS6detail17trampoline_kernelINS0_14default_configENS1_20scan_config_selectorIyEEZZNS1_9scan_implILNS1_25lookback_scan_determinismE0ELb0ELb0ES3_N6thrust23THRUST_200600_302600_NS6detail15normal_iteratorINS9_10device_ptrIyEEEESE_yNS9_4plusIvEEyEEDaPvRmT3_T4_T5_mT6_P12ihipStream_tbENKUlT_T0_E_clISt17integral_constantIbLb1EEST_IbLb0EEEEDaSP_SQ_EUlSP_E0_NS1_11comp_targetILNS1_3genE0ELNS1_11target_archE4294967295ELNS1_3gpuE0ELNS1_3repE0EEENS1_30default_config_static_selectorELNS0_4arch9wavefront6targetE1EEEvT1_
                                        ; -- End function
	.section	.AMDGPU.csdata,"",@progbits
; Kernel info:
; codeLenInByte = 0
; NumSgprs: 4
; NumVgprs: 0
; NumAgprs: 0
; TotalNumVgprs: 0
; ScratchSize: 0
; MemoryBound: 0
; FloatMode: 240
; IeeeMode: 1
; LDSByteSize: 0 bytes/workgroup (compile time only)
; SGPRBlocks: 0
; VGPRBlocks: 0
; NumSGPRsForWavesPerEU: 4
; NumVGPRsForWavesPerEU: 1
; AccumOffset: 4
; Occupancy: 8
; WaveLimiterHint : 0
; COMPUTE_PGM_RSRC2:SCRATCH_EN: 0
; COMPUTE_PGM_RSRC2:USER_SGPR: 6
; COMPUTE_PGM_RSRC2:TRAP_HANDLER: 0
; COMPUTE_PGM_RSRC2:TGID_X_EN: 1
; COMPUTE_PGM_RSRC2:TGID_Y_EN: 0
; COMPUTE_PGM_RSRC2:TGID_Z_EN: 0
; COMPUTE_PGM_RSRC2:TIDIG_COMP_CNT: 0
; COMPUTE_PGM_RSRC3_GFX90A:ACCUM_OFFSET: 0
; COMPUTE_PGM_RSRC3_GFX90A:TG_SPLIT: 0
	.section	.text._ZN7rocprim17ROCPRIM_400000_NS6detail17trampoline_kernelINS0_14default_configENS1_20scan_config_selectorIyEEZZNS1_9scan_implILNS1_25lookback_scan_determinismE0ELb0ELb0ES3_N6thrust23THRUST_200600_302600_NS6detail15normal_iteratorINS9_10device_ptrIyEEEESE_yNS9_4plusIvEEyEEDaPvRmT3_T4_T5_mT6_P12ihipStream_tbENKUlT_T0_E_clISt17integral_constantIbLb1EEST_IbLb0EEEEDaSP_SQ_EUlSP_E0_NS1_11comp_targetILNS1_3genE5ELNS1_11target_archE942ELNS1_3gpuE9ELNS1_3repE0EEENS1_30default_config_static_selectorELNS0_4arch9wavefront6targetE1EEEvT1_,"axG",@progbits,_ZN7rocprim17ROCPRIM_400000_NS6detail17trampoline_kernelINS0_14default_configENS1_20scan_config_selectorIyEEZZNS1_9scan_implILNS1_25lookback_scan_determinismE0ELb0ELb0ES3_N6thrust23THRUST_200600_302600_NS6detail15normal_iteratorINS9_10device_ptrIyEEEESE_yNS9_4plusIvEEyEEDaPvRmT3_T4_T5_mT6_P12ihipStream_tbENKUlT_T0_E_clISt17integral_constantIbLb1EEST_IbLb0EEEEDaSP_SQ_EUlSP_E0_NS1_11comp_targetILNS1_3genE5ELNS1_11target_archE942ELNS1_3gpuE9ELNS1_3repE0EEENS1_30default_config_static_selectorELNS0_4arch9wavefront6targetE1EEEvT1_,comdat
	.protected	_ZN7rocprim17ROCPRIM_400000_NS6detail17trampoline_kernelINS0_14default_configENS1_20scan_config_selectorIyEEZZNS1_9scan_implILNS1_25lookback_scan_determinismE0ELb0ELb0ES3_N6thrust23THRUST_200600_302600_NS6detail15normal_iteratorINS9_10device_ptrIyEEEESE_yNS9_4plusIvEEyEEDaPvRmT3_T4_T5_mT6_P12ihipStream_tbENKUlT_T0_E_clISt17integral_constantIbLb1EEST_IbLb0EEEEDaSP_SQ_EUlSP_E0_NS1_11comp_targetILNS1_3genE5ELNS1_11target_archE942ELNS1_3gpuE9ELNS1_3repE0EEENS1_30default_config_static_selectorELNS0_4arch9wavefront6targetE1EEEvT1_ ; -- Begin function _ZN7rocprim17ROCPRIM_400000_NS6detail17trampoline_kernelINS0_14default_configENS1_20scan_config_selectorIyEEZZNS1_9scan_implILNS1_25lookback_scan_determinismE0ELb0ELb0ES3_N6thrust23THRUST_200600_302600_NS6detail15normal_iteratorINS9_10device_ptrIyEEEESE_yNS9_4plusIvEEyEEDaPvRmT3_T4_T5_mT6_P12ihipStream_tbENKUlT_T0_E_clISt17integral_constantIbLb1EEST_IbLb0EEEEDaSP_SQ_EUlSP_E0_NS1_11comp_targetILNS1_3genE5ELNS1_11target_archE942ELNS1_3gpuE9ELNS1_3repE0EEENS1_30default_config_static_selectorELNS0_4arch9wavefront6targetE1EEEvT1_
	.globl	_ZN7rocprim17ROCPRIM_400000_NS6detail17trampoline_kernelINS0_14default_configENS1_20scan_config_selectorIyEEZZNS1_9scan_implILNS1_25lookback_scan_determinismE0ELb0ELb0ES3_N6thrust23THRUST_200600_302600_NS6detail15normal_iteratorINS9_10device_ptrIyEEEESE_yNS9_4plusIvEEyEEDaPvRmT3_T4_T5_mT6_P12ihipStream_tbENKUlT_T0_E_clISt17integral_constantIbLb1EEST_IbLb0EEEEDaSP_SQ_EUlSP_E0_NS1_11comp_targetILNS1_3genE5ELNS1_11target_archE942ELNS1_3gpuE9ELNS1_3repE0EEENS1_30default_config_static_selectorELNS0_4arch9wavefront6targetE1EEEvT1_
	.p2align	8
	.type	_ZN7rocprim17ROCPRIM_400000_NS6detail17trampoline_kernelINS0_14default_configENS1_20scan_config_selectorIyEEZZNS1_9scan_implILNS1_25lookback_scan_determinismE0ELb0ELb0ES3_N6thrust23THRUST_200600_302600_NS6detail15normal_iteratorINS9_10device_ptrIyEEEESE_yNS9_4plusIvEEyEEDaPvRmT3_T4_T5_mT6_P12ihipStream_tbENKUlT_T0_E_clISt17integral_constantIbLb1EEST_IbLb0EEEEDaSP_SQ_EUlSP_E0_NS1_11comp_targetILNS1_3genE5ELNS1_11target_archE942ELNS1_3gpuE9ELNS1_3repE0EEENS1_30default_config_static_selectorELNS0_4arch9wavefront6targetE1EEEvT1_,@function
_ZN7rocprim17ROCPRIM_400000_NS6detail17trampoline_kernelINS0_14default_configENS1_20scan_config_selectorIyEEZZNS1_9scan_implILNS1_25lookback_scan_determinismE0ELb0ELb0ES3_N6thrust23THRUST_200600_302600_NS6detail15normal_iteratorINS9_10device_ptrIyEEEESE_yNS9_4plusIvEEyEEDaPvRmT3_T4_T5_mT6_P12ihipStream_tbENKUlT_T0_E_clISt17integral_constantIbLb1EEST_IbLb0EEEEDaSP_SQ_EUlSP_E0_NS1_11comp_targetILNS1_3genE5ELNS1_11target_archE942ELNS1_3gpuE9ELNS1_3repE0EEENS1_30default_config_static_selectorELNS0_4arch9wavefront6targetE1EEEvT1_: ; @_ZN7rocprim17ROCPRIM_400000_NS6detail17trampoline_kernelINS0_14default_configENS1_20scan_config_selectorIyEEZZNS1_9scan_implILNS1_25lookback_scan_determinismE0ELb0ELb0ES3_N6thrust23THRUST_200600_302600_NS6detail15normal_iteratorINS9_10device_ptrIyEEEESE_yNS9_4plusIvEEyEEDaPvRmT3_T4_T5_mT6_P12ihipStream_tbENKUlT_T0_E_clISt17integral_constantIbLb1EEST_IbLb0EEEEDaSP_SQ_EUlSP_E0_NS1_11comp_targetILNS1_3genE5ELNS1_11target_archE942ELNS1_3gpuE9ELNS1_3repE0EEENS1_30default_config_static_selectorELNS0_4arch9wavefront6targetE1EEEvT1_
; %bb.0:
	.section	.rodata,"a",@progbits
	.p2align	6, 0x0
	.amdhsa_kernel _ZN7rocprim17ROCPRIM_400000_NS6detail17trampoline_kernelINS0_14default_configENS1_20scan_config_selectorIyEEZZNS1_9scan_implILNS1_25lookback_scan_determinismE0ELb0ELb0ES3_N6thrust23THRUST_200600_302600_NS6detail15normal_iteratorINS9_10device_ptrIyEEEESE_yNS9_4plusIvEEyEEDaPvRmT3_T4_T5_mT6_P12ihipStream_tbENKUlT_T0_E_clISt17integral_constantIbLb1EEST_IbLb0EEEEDaSP_SQ_EUlSP_E0_NS1_11comp_targetILNS1_3genE5ELNS1_11target_archE942ELNS1_3gpuE9ELNS1_3repE0EEENS1_30default_config_static_selectorELNS0_4arch9wavefront6targetE1EEEvT1_
		.amdhsa_group_segment_fixed_size 0
		.amdhsa_private_segment_fixed_size 0
		.amdhsa_kernarg_size 40
		.amdhsa_user_sgpr_count 6
		.amdhsa_user_sgpr_private_segment_buffer 1
		.amdhsa_user_sgpr_dispatch_ptr 0
		.amdhsa_user_sgpr_queue_ptr 0
		.amdhsa_user_sgpr_kernarg_segment_ptr 1
		.amdhsa_user_sgpr_dispatch_id 0
		.amdhsa_user_sgpr_flat_scratch_init 0
		.amdhsa_user_sgpr_kernarg_preload_length 0
		.amdhsa_user_sgpr_kernarg_preload_offset 0
		.amdhsa_user_sgpr_private_segment_size 0
		.amdhsa_uses_dynamic_stack 0
		.amdhsa_system_sgpr_private_segment_wavefront_offset 0
		.amdhsa_system_sgpr_workgroup_id_x 1
		.amdhsa_system_sgpr_workgroup_id_y 0
		.amdhsa_system_sgpr_workgroup_id_z 0
		.amdhsa_system_sgpr_workgroup_info 0
		.amdhsa_system_vgpr_workitem_id 0
		.amdhsa_next_free_vgpr 1
		.amdhsa_next_free_sgpr 0
		.amdhsa_accum_offset 4
		.amdhsa_reserve_vcc 0
		.amdhsa_reserve_flat_scratch 0
		.amdhsa_float_round_mode_32 0
		.amdhsa_float_round_mode_16_64 0
		.amdhsa_float_denorm_mode_32 3
		.amdhsa_float_denorm_mode_16_64 3
		.amdhsa_dx10_clamp 1
		.amdhsa_ieee_mode 1
		.amdhsa_fp16_overflow 0
		.amdhsa_tg_split 0
		.amdhsa_exception_fp_ieee_invalid_op 0
		.amdhsa_exception_fp_denorm_src 0
		.amdhsa_exception_fp_ieee_div_zero 0
		.amdhsa_exception_fp_ieee_overflow 0
		.amdhsa_exception_fp_ieee_underflow 0
		.amdhsa_exception_fp_ieee_inexact 0
		.amdhsa_exception_int_div_zero 0
	.end_amdhsa_kernel
	.section	.text._ZN7rocprim17ROCPRIM_400000_NS6detail17trampoline_kernelINS0_14default_configENS1_20scan_config_selectorIyEEZZNS1_9scan_implILNS1_25lookback_scan_determinismE0ELb0ELb0ES3_N6thrust23THRUST_200600_302600_NS6detail15normal_iteratorINS9_10device_ptrIyEEEESE_yNS9_4plusIvEEyEEDaPvRmT3_T4_T5_mT6_P12ihipStream_tbENKUlT_T0_E_clISt17integral_constantIbLb1EEST_IbLb0EEEEDaSP_SQ_EUlSP_E0_NS1_11comp_targetILNS1_3genE5ELNS1_11target_archE942ELNS1_3gpuE9ELNS1_3repE0EEENS1_30default_config_static_selectorELNS0_4arch9wavefront6targetE1EEEvT1_,"axG",@progbits,_ZN7rocprim17ROCPRIM_400000_NS6detail17trampoline_kernelINS0_14default_configENS1_20scan_config_selectorIyEEZZNS1_9scan_implILNS1_25lookback_scan_determinismE0ELb0ELb0ES3_N6thrust23THRUST_200600_302600_NS6detail15normal_iteratorINS9_10device_ptrIyEEEESE_yNS9_4plusIvEEyEEDaPvRmT3_T4_T5_mT6_P12ihipStream_tbENKUlT_T0_E_clISt17integral_constantIbLb1EEST_IbLb0EEEEDaSP_SQ_EUlSP_E0_NS1_11comp_targetILNS1_3genE5ELNS1_11target_archE942ELNS1_3gpuE9ELNS1_3repE0EEENS1_30default_config_static_selectorELNS0_4arch9wavefront6targetE1EEEvT1_,comdat
.Lfunc_end4476:
	.size	_ZN7rocprim17ROCPRIM_400000_NS6detail17trampoline_kernelINS0_14default_configENS1_20scan_config_selectorIyEEZZNS1_9scan_implILNS1_25lookback_scan_determinismE0ELb0ELb0ES3_N6thrust23THRUST_200600_302600_NS6detail15normal_iteratorINS9_10device_ptrIyEEEESE_yNS9_4plusIvEEyEEDaPvRmT3_T4_T5_mT6_P12ihipStream_tbENKUlT_T0_E_clISt17integral_constantIbLb1EEST_IbLb0EEEEDaSP_SQ_EUlSP_E0_NS1_11comp_targetILNS1_3genE5ELNS1_11target_archE942ELNS1_3gpuE9ELNS1_3repE0EEENS1_30default_config_static_selectorELNS0_4arch9wavefront6targetE1EEEvT1_, .Lfunc_end4476-_ZN7rocprim17ROCPRIM_400000_NS6detail17trampoline_kernelINS0_14default_configENS1_20scan_config_selectorIyEEZZNS1_9scan_implILNS1_25lookback_scan_determinismE0ELb0ELb0ES3_N6thrust23THRUST_200600_302600_NS6detail15normal_iteratorINS9_10device_ptrIyEEEESE_yNS9_4plusIvEEyEEDaPvRmT3_T4_T5_mT6_P12ihipStream_tbENKUlT_T0_E_clISt17integral_constantIbLb1EEST_IbLb0EEEEDaSP_SQ_EUlSP_E0_NS1_11comp_targetILNS1_3genE5ELNS1_11target_archE942ELNS1_3gpuE9ELNS1_3repE0EEENS1_30default_config_static_selectorELNS0_4arch9wavefront6targetE1EEEvT1_
                                        ; -- End function
	.section	.AMDGPU.csdata,"",@progbits
; Kernel info:
; codeLenInByte = 0
; NumSgprs: 4
; NumVgprs: 0
; NumAgprs: 0
; TotalNumVgprs: 0
; ScratchSize: 0
; MemoryBound: 0
; FloatMode: 240
; IeeeMode: 1
; LDSByteSize: 0 bytes/workgroup (compile time only)
; SGPRBlocks: 0
; VGPRBlocks: 0
; NumSGPRsForWavesPerEU: 4
; NumVGPRsForWavesPerEU: 1
; AccumOffset: 4
; Occupancy: 8
; WaveLimiterHint : 0
; COMPUTE_PGM_RSRC2:SCRATCH_EN: 0
; COMPUTE_PGM_RSRC2:USER_SGPR: 6
; COMPUTE_PGM_RSRC2:TRAP_HANDLER: 0
; COMPUTE_PGM_RSRC2:TGID_X_EN: 1
; COMPUTE_PGM_RSRC2:TGID_Y_EN: 0
; COMPUTE_PGM_RSRC2:TGID_Z_EN: 0
; COMPUTE_PGM_RSRC2:TIDIG_COMP_CNT: 0
; COMPUTE_PGM_RSRC3_GFX90A:ACCUM_OFFSET: 0
; COMPUTE_PGM_RSRC3_GFX90A:TG_SPLIT: 0
	.section	.text._ZN7rocprim17ROCPRIM_400000_NS6detail17trampoline_kernelINS0_14default_configENS1_20scan_config_selectorIyEEZZNS1_9scan_implILNS1_25lookback_scan_determinismE0ELb0ELb0ES3_N6thrust23THRUST_200600_302600_NS6detail15normal_iteratorINS9_10device_ptrIyEEEESE_yNS9_4plusIvEEyEEDaPvRmT3_T4_T5_mT6_P12ihipStream_tbENKUlT_T0_E_clISt17integral_constantIbLb1EEST_IbLb0EEEEDaSP_SQ_EUlSP_E0_NS1_11comp_targetILNS1_3genE4ELNS1_11target_archE910ELNS1_3gpuE8ELNS1_3repE0EEENS1_30default_config_static_selectorELNS0_4arch9wavefront6targetE1EEEvT1_,"axG",@progbits,_ZN7rocprim17ROCPRIM_400000_NS6detail17trampoline_kernelINS0_14default_configENS1_20scan_config_selectorIyEEZZNS1_9scan_implILNS1_25lookback_scan_determinismE0ELb0ELb0ES3_N6thrust23THRUST_200600_302600_NS6detail15normal_iteratorINS9_10device_ptrIyEEEESE_yNS9_4plusIvEEyEEDaPvRmT3_T4_T5_mT6_P12ihipStream_tbENKUlT_T0_E_clISt17integral_constantIbLb1EEST_IbLb0EEEEDaSP_SQ_EUlSP_E0_NS1_11comp_targetILNS1_3genE4ELNS1_11target_archE910ELNS1_3gpuE8ELNS1_3repE0EEENS1_30default_config_static_selectorELNS0_4arch9wavefront6targetE1EEEvT1_,comdat
	.protected	_ZN7rocprim17ROCPRIM_400000_NS6detail17trampoline_kernelINS0_14default_configENS1_20scan_config_selectorIyEEZZNS1_9scan_implILNS1_25lookback_scan_determinismE0ELb0ELb0ES3_N6thrust23THRUST_200600_302600_NS6detail15normal_iteratorINS9_10device_ptrIyEEEESE_yNS9_4plusIvEEyEEDaPvRmT3_T4_T5_mT6_P12ihipStream_tbENKUlT_T0_E_clISt17integral_constantIbLb1EEST_IbLb0EEEEDaSP_SQ_EUlSP_E0_NS1_11comp_targetILNS1_3genE4ELNS1_11target_archE910ELNS1_3gpuE8ELNS1_3repE0EEENS1_30default_config_static_selectorELNS0_4arch9wavefront6targetE1EEEvT1_ ; -- Begin function _ZN7rocprim17ROCPRIM_400000_NS6detail17trampoline_kernelINS0_14default_configENS1_20scan_config_selectorIyEEZZNS1_9scan_implILNS1_25lookback_scan_determinismE0ELb0ELb0ES3_N6thrust23THRUST_200600_302600_NS6detail15normal_iteratorINS9_10device_ptrIyEEEESE_yNS9_4plusIvEEyEEDaPvRmT3_T4_T5_mT6_P12ihipStream_tbENKUlT_T0_E_clISt17integral_constantIbLb1EEST_IbLb0EEEEDaSP_SQ_EUlSP_E0_NS1_11comp_targetILNS1_3genE4ELNS1_11target_archE910ELNS1_3gpuE8ELNS1_3repE0EEENS1_30default_config_static_selectorELNS0_4arch9wavefront6targetE1EEEvT1_
	.globl	_ZN7rocprim17ROCPRIM_400000_NS6detail17trampoline_kernelINS0_14default_configENS1_20scan_config_selectorIyEEZZNS1_9scan_implILNS1_25lookback_scan_determinismE0ELb0ELb0ES3_N6thrust23THRUST_200600_302600_NS6detail15normal_iteratorINS9_10device_ptrIyEEEESE_yNS9_4plusIvEEyEEDaPvRmT3_T4_T5_mT6_P12ihipStream_tbENKUlT_T0_E_clISt17integral_constantIbLb1EEST_IbLb0EEEEDaSP_SQ_EUlSP_E0_NS1_11comp_targetILNS1_3genE4ELNS1_11target_archE910ELNS1_3gpuE8ELNS1_3repE0EEENS1_30default_config_static_selectorELNS0_4arch9wavefront6targetE1EEEvT1_
	.p2align	8
	.type	_ZN7rocprim17ROCPRIM_400000_NS6detail17trampoline_kernelINS0_14default_configENS1_20scan_config_selectorIyEEZZNS1_9scan_implILNS1_25lookback_scan_determinismE0ELb0ELb0ES3_N6thrust23THRUST_200600_302600_NS6detail15normal_iteratorINS9_10device_ptrIyEEEESE_yNS9_4plusIvEEyEEDaPvRmT3_T4_T5_mT6_P12ihipStream_tbENKUlT_T0_E_clISt17integral_constantIbLb1EEST_IbLb0EEEEDaSP_SQ_EUlSP_E0_NS1_11comp_targetILNS1_3genE4ELNS1_11target_archE910ELNS1_3gpuE8ELNS1_3repE0EEENS1_30default_config_static_selectorELNS0_4arch9wavefront6targetE1EEEvT1_,@function
_ZN7rocprim17ROCPRIM_400000_NS6detail17trampoline_kernelINS0_14default_configENS1_20scan_config_selectorIyEEZZNS1_9scan_implILNS1_25lookback_scan_determinismE0ELb0ELb0ES3_N6thrust23THRUST_200600_302600_NS6detail15normal_iteratorINS9_10device_ptrIyEEEESE_yNS9_4plusIvEEyEEDaPvRmT3_T4_T5_mT6_P12ihipStream_tbENKUlT_T0_E_clISt17integral_constantIbLb1EEST_IbLb0EEEEDaSP_SQ_EUlSP_E0_NS1_11comp_targetILNS1_3genE4ELNS1_11target_archE910ELNS1_3gpuE8ELNS1_3repE0EEENS1_30default_config_static_selectorELNS0_4arch9wavefront6targetE1EEEvT1_: ; @_ZN7rocprim17ROCPRIM_400000_NS6detail17trampoline_kernelINS0_14default_configENS1_20scan_config_selectorIyEEZZNS1_9scan_implILNS1_25lookback_scan_determinismE0ELb0ELb0ES3_N6thrust23THRUST_200600_302600_NS6detail15normal_iteratorINS9_10device_ptrIyEEEESE_yNS9_4plusIvEEyEEDaPvRmT3_T4_T5_mT6_P12ihipStream_tbENKUlT_T0_E_clISt17integral_constantIbLb1EEST_IbLb0EEEEDaSP_SQ_EUlSP_E0_NS1_11comp_targetILNS1_3genE4ELNS1_11target_archE910ELNS1_3gpuE8ELNS1_3repE0EEENS1_30default_config_static_selectorELNS0_4arch9wavefront6targetE1EEEvT1_
; %bb.0:
	s_load_dwordx4 s[16:19], s[4:5], 0x0
	v_lshlrev_b32_e32 v21, 3, v0
	s_waitcnt lgkmcnt(0)
	s_load_dwordx2 s[14:15], s[16:17], 0x0
	v_cmp_gt_u32_e32 vcc, s18, v0
	s_waitcnt lgkmcnt(0)
	v_pk_mov_b32 v[2:3], s[14:15], s[14:15] op_sel:[0,1]
	s_and_saveexec_b64 s[0:1], vcc
	s_cbranch_execz .LBB4477_2
; %bb.1:
	global_load_dwordx2 v[2:3], v21, s[16:17]
.LBB4477_2:
	s_or_b64 exec, exec, s[0:1]
	v_or_b32_e32 v1, 0x80, v0
	v_cmp_gt_u32_e64 s[0:1], s18, v1
	v_pk_mov_b32 v[4:5], s[14:15], s[14:15] op_sel:[0,1]
	s_and_saveexec_b64 s[2:3], s[0:1]
	s_cbranch_execz .LBB4477_4
; %bb.3:
	global_load_dwordx2 v[4:5], v21, s[16:17] offset:1024
.LBB4477_4:
	s_or_b64 exec, exec, s[2:3]
	v_or_b32_e32 v1, 0x100, v0
	v_cmp_gt_u32_e64 s[2:3], s18, v1
	v_pk_mov_b32 v[6:7], s[14:15], s[14:15] op_sel:[0,1]
	s_and_saveexec_b64 s[6:7], s[2:3]
	s_cbranch_execz .LBB4477_6
; %bb.5:
	global_load_dwordx2 v[6:7], v21, s[16:17] offset:2048
.LBB4477_6:
	;; [unrolled: 9-line block ×3, first 2 shown]
	s_or_b64 exec, exec, s[6:7]
	v_or_b32_e32 v1, 0x200, v0
	v_cmp_gt_u32_e64 s[6:7], s18, v1
	v_pk_mov_b32 v[10:11], s[14:15], s[14:15] op_sel:[0,1]
	s_and_saveexec_b64 s[8:9], s[6:7]
	s_cbranch_execz .LBB4477_10
; %bb.9:
	v_lshlrev_b32_e32 v1, 3, v1
	global_load_dwordx2 v[10:11], v1, s[16:17]
.LBB4477_10:
	s_or_b64 exec, exec, s[8:9]
	v_or_b32_e32 v1, 0x280, v0
	v_cmp_gt_u32_e64 s[8:9], s18, v1
	v_pk_mov_b32 v[12:13], s[14:15], s[14:15] op_sel:[0,1]
	s_and_saveexec_b64 s[10:11], s[8:9]
	s_cbranch_execz .LBB4477_12
; %bb.11:
	v_lshlrev_b32_e32 v1, 3, v1
	global_load_dwordx2 v[12:13], v1, s[16:17]
.LBB4477_12:
	;; [unrolled: 10-line block ×3, first 2 shown]
	s_or_b64 exec, exec, s[14:15]
	v_mad_u32_u24 v1, v0, 48, v21
	s_waitcnt vmcnt(0)
	ds_write2st64_b64 v21, v[2:3], v[4:5] offset1:2
	ds_write2st64_b64 v21, v[6:7], v[8:9] offset0:4 offset1:6
	ds_write2st64_b64 v21, v[10:11], v[12:13] offset0:8 offset1:10
	ds_write_b64 v21, v[14:15] offset:6144
	s_waitcnt lgkmcnt(0)
	s_barrier
	ds_read2_b64 v[2:5], v1 offset1:1
	ds_read2_b64 v[6:9], v1 offset0:2 offset1:3
	ds_read2_b64 v[10:13], v1 offset0:4 offset1:5
	ds_read_b64 v[28:29], v1 offset:48
	s_load_dwordx2 s[16:17], s[4:5], 0x20
	s_waitcnt lgkmcnt(0)
	v_add_co_u32_e64 v20, s[4:5], v4, v2
	v_addc_co_u32_e64 v1, s[4:5], v5, v3, s[4:5]
	v_add_co_u32_e64 v18, s[4:5], v20, v6
	v_addc_co_u32_e64 v19, s[4:5], v1, v7, s[4:5]
	v_add_co_u32_e64 v24, s[4:5], v18, v8
	v_addc_co_u32_e64 v25, s[4:5], v19, v9, s[4:5]
	v_add_co_u32_e64 v22, s[4:5], v24, v10
	v_addc_co_u32_e64 v23, s[4:5], v25, v11, s[4:5]
	v_add_co_u32_e64 v26, s[4:5], v22, v12
	v_addc_co_u32_e64 v27, s[4:5], v23, v13, s[4:5]
	v_add_co_u32_e64 v30, s[4:5], v26, v28
	v_lshrrev_b32_e32 v14, 2, v0
	v_addc_co_u32_e64 v31, s[4:5], v27, v29, s[4:5]
	v_and_b32_e32 v14, 24, v14
	v_add_u32_e32 v14, v21, v14
	v_cmp_gt_u32_e64 s[4:5], 64, v0
	s_barrier
	ds_write_b64 v14, v[30:31]
	s_waitcnt lgkmcnt(0)
	s_barrier
	s_and_saveexec_b64 s[18:19], s[4:5]
	s_cbranch_execz .LBB4477_18
; %bb.15:
	v_lshlrev_b32_e32 v14, 1, v0
	v_lshrrev_b32_e32 v15, 4, v0
	v_add_lshl_u32 v32, v15, v14, 3
	ds_read2_b64 v[14:17], v32 offset1:1
	s_waitcnt lgkmcnt(0)
	v_add_co_u32_e64 v34, s[4:5], v16, v14
	v_addc_co_u32_e64 v35, s[4:5], v17, v15, s[4:5]
	s_nop 0
	v_mov_b32_dpp v17, v34 row_shr:1 row_mask:0xf bank_mask:0xf
	v_add_co_u32_e64 v17, s[4:5], v34, v17
	v_mbcnt_lo_u32_b32 v16, -1, 0
	v_addc_co_u32_e64 v37, s[4:5], 0, v35, s[4:5]
	v_mbcnt_hi_u32_b32 v33, -1, v16
	v_mov_b32_dpp v36, v35 row_shr:1 row_mask:0xf bank_mask:0xf
	v_add_co_u32_e64 v38, s[4:5], 0, v17
	v_and_b32_e32 v16, 15, v33
	v_addc_co_u32_e64 v36, s[4:5], v36, v37, s[4:5]
	v_cmp_eq_u32_e64 s[4:5], 0, v16
	v_cndmask_b32_e64 v17, v17, v34, s[4:5]
	v_cndmask_b32_e64 v36, v36, v35, s[4:5]
	v_cndmask_b32_e64 v37, v38, v34, s[4:5]
	v_mov_b32_dpp v38, v17 row_shr:2 row_mask:0xf bank_mask:0xf
	v_mov_b32_dpp v39, v36 row_shr:2 row_mask:0xf bank_mask:0xf
	v_add_co_u32_e64 v38, s[4:5], v38, v37
	v_addc_co_u32_e64 v39, s[4:5], v39, v36, s[4:5]
	v_cmp_lt_u32_e64 s[4:5], 1, v16
	v_cndmask_b32_e64 v17, v17, v38, s[4:5]
	v_cndmask_b32_e64 v36, v36, v39, s[4:5]
	v_cndmask_b32_e64 v37, v37, v38, s[4:5]
	v_mov_b32_dpp v38, v17 row_shr:4 row_mask:0xf bank_mask:0xf
	v_mov_b32_dpp v39, v36 row_shr:4 row_mask:0xf bank_mask:0xf
	v_add_co_u32_e64 v38, s[4:5], v38, v37
	v_addc_co_u32_e64 v39, s[4:5], v39, v36, s[4:5]
	v_cmp_lt_u32_e64 s[4:5], 3, v16
	;; [unrolled: 8-line block ×3, first 2 shown]
	v_cndmask_b32_e64 v40, v17, v38, s[4:5]
	v_cndmask_b32_e64 v17, v36, v39, s[4:5]
	;; [unrolled: 1-line block ×3, first 2 shown]
	v_mov_b32_dpp v36, v40 row_bcast:15 row_mask:0xf bank_mask:0xf
	v_mov_b32_dpp v37, v17 row_bcast:15 row_mask:0xf bank_mask:0xf
	v_add_co_u32_e64 v36, s[4:5], v36, v16
	v_and_b32_e32 v39, 16, v33
	v_addc_co_u32_e64 v38, s[4:5], v37, v17, s[4:5]
	v_cmp_eq_u32_e64 s[4:5], 0, v39
	v_cndmask_b32_e64 v39, v38, v17, s[4:5]
	v_cndmask_b32_e64 v37, v36, v40, s[4:5]
	v_cmp_ne_u32_e64 s[14:15], 0, v33
	v_mov_b32_dpp v39, v39 row_bcast:31 row_mask:0xf bank_mask:0xf
	v_mov_b32_dpp v37, v37 row_bcast:31 row_mask:0xf bank_mask:0xf
	s_and_saveexec_b64 s[20:21], s[14:15]
; %bb.16:
	v_cndmask_b32_e64 v17, v38, v17, s[4:5]
	v_cndmask_b32_e64 v16, v36, v16, s[4:5]
	v_cmp_lt_u32_e64 s[4:5], 31, v33
	v_cndmask_b32_e64 v34, 0, v37, s[4:5]
	v_cndmask_b32_e64 v35, 0, v39, s[4:5]
	v_add_co_u32_e64 v34, s[4:5], v34, v16
	v_addc_co_u32_e64 v35, s[4:5], v35, v17, s[4:5]
; %bb.17:
	s_or_b64 exec, exec, s[20:21]
	v_add_u32_e32 v16, -1, v33
	v_and_b32_e32 v17, 64, v33
	v_cmp_lt_i32_e64 s[4:5], v16, v17
	v_cndmask_b32_e64 v16, v16, v33, s[4:5]
	v_lshlrev_b32_e32 v16, 2, v16
	ds_bpermute_b32 v17, v16, v34
	ds_bpermute_b32 v16, v16, v35
	; wave barrier
	s_waitcnt lgkmcnt(1)
	v_add_co_u32_e64 v14, s[4:5], v14, v17
	v_addc_co_u32_e64 v15, s[4:5], 0, v15, s[4:5]
	v_add_co_u32_e64 v14, s[4:5], 0, v14
	s_waitcnt lgkmcnt(0)
	v_addc_co_u32_e64 v15, s[4:5], v15, v16, s[4:5]
	v_cmp_eq_u32_e64 s[4:5], 0, v0
	v_cndmask_b32_e64 v15, v15, v31, s[4:5]
	v_cndmask_b32_e64 v14, v14, v30, s[4:5]
	ds_write_b64 v32, v[14:15]
	; wave barrier
	ds_read_b64 v[16:17], v32 offset:8
	s_waitcnt lgkmcnt(0)
	v_add_co_u32_e64 v14, s[4:5], v16, v14
	v_addc_co_u32_e64 v15, s[4:5], v17, v15, s[4:5]
	ds_write_b64 v32, v[14:15] offset:8
.LBB4477_18:
	s_or_b64 exec, exec, s[18:19]
	v_mul_u32_u24_e32 v16, 48, v0
	v_cmp_ne_u32_e64 s[4:5], 0, v0
	v_pk_mov_b32 v[14:15], v[30:31], v[30:31] op_sel:[0,1]
	s_waitcnt lgkmcnt(0)
	s_barrier
	s_and_saveexec_b64 s[14:15], s[4:5]
	s_cbranch_execz .LBB4477_20
; %bb.19:
	v_add_u32_e32 v0, -1, v0
	v_lshrrev_b32_e32 v14, 5, v0
	v_add_lshl_u32 v0, v14, v0, 3
	ds_read_b64 v[14:15], v0
.LBB4477_20:
	s_or_b64 exec, exec, s[14:15]
	s_and_saveexec_b64 s[14:15], s[4:5]
	s_cbranch_execz .LBB4477_22
; %bb.21:
	s_waitcnt lgkmcnt(0)
	v_add_co_u32_e64 v2, s[4:5], v14, v2
	v_addc_co_u32_e64 v3, s[4:5], v15, v3, s[4:5]
	v_add_co_u32_e64 v20, s[4:5], v2, v4
	v_addc_co_u32_e64 v1, s[4:5], v3, v5, s[4:5]
	;; [unrolled: 2-line block ×7, first 2 shown]
	;;#ASMSTART
	;;#ASMEND
.LBB4477_22:
	s_or_b64 exec, exec, s[14:15]
	v_add_u32_e32 v4, v21, v16
	v_mov_b32_e32 v0, v20
	s_waitcnt lgkmcnt(0)
	s_barrier
	ds_write2_b64 v4, v[2:3], v[0:1] offset1:1
	ds_write2_b64 v4, v[18:19], v[24:25] offset0:2 offset1:3
	ds_write2_b64 v4, v[22:23], v[26:27] offset0:4 offset1:5
	ds_write_b64 v4, v[30:31] offset:48
	s_waitcnt lgkmcnt(0)
	s_barrier
	ds_read2st64_b64 v[8:11], v21 offset0:2 offset1:4
	ds_read2st64_b64 v[4:7], v21 offset0:6 offset1:8
	;; [unrolled: 1-line block ×3, first 2 shown]
	v_mov_b32_e32 v13, s17
	v_add_co_u32_e64 v12, s[4:5], s16, v21
	v_addc_co_u32_e64 v13, s[4:5], 0, v13, s[4:5]
	s_and_saveexec_b64 s[4:5], vcc
	s_cbranch_execnz .LBB4477_30
; %bb.23:
	s_or_b64 exec, exec, s[4:5]
	s_and_saveexec_b64 s[4:5], s[0:1]
	s_cbranch_execnz .LBB4477_31
.LBB4477_24:
	s_or_b64 exec, exec, s[4:5]
	s_and_saveexec_b64 s[0:1], s[2:3]
	s_cbranch_execnz .LBB4477_32
.LBB4477_25:
	s_or_b64 exec, exec, s[0:1]
	s_and_saveexec_b64 s[0:1], s[12:13]
	s_cbranch_execnz .LBB4477_33
.LBB4477_26:
	s_or_b64 exec, exec, s[0:1]
	s_and_saveexec_b64 s[0:1], s[6:7]
	s_cbranch_execnz .LBB4477_34
.LBB4477_27:
	s_or_b64 exec, exec, s[0:1]
	s_and_saveexec_b64 s[0:1], s[8:9]
	s_cbranch_execnz .LBB4477_35
.LBB4477_28:
	s_or_b64 exec, exec, s[0:1]
	s_and_saveexec_b64 s[0:1], s[10:11]
	s_cbranch_execnz .LBB4477_36
.LBB4477_29:
	s_endpgm
.LBB4477_30:
	ds_read_b64 v[14:15], v21
	s_waitcnt lgkmcnt(0)
	global_store_dwordx2 v[12:13], v[14:15], off
	s_or_b64 exec, exec, s[4:5]
	s_and_saveexec_b64 s[4:5], s[0:1]
	s_cbranch_execz .LBB4477_24
.LBB4477_31:
	s_waitcnt lgkmcnt(2)
	global_store_dwordx2 v[12:13], v[8:9], off offset:1024
	s_or_b64 exec, exec, s[4:5]
	s_and_saveexec_b64 s[0:1], s[2:3]
	s_cbranch_execz .LBB4477_25
.LBB4477_32:
	s_waitcnt lgkmcnt(2)
	global_store_dwordx2 v[12:13], v[10:11], off offset:2048
	s_or_b64 exec, exec, s[0:1]
	s_and_saveexec_b64 s[0:1], s[12:13]
	s_cbranch_execz .LBB4477_26
.LBB4477_33:
	s_waitcnt lgkmcnt(1)
	global_store_dwordx2 v[12:13], v[4:5], off offset:3072
	s_or_b64 exec, exec, s[0:1]
	s_and_saveexec_b64 s[0:1], s[6:7]
	s_cbranch_execz .LBB4477_27
.LBB4477_34:
	s_waitcnt lgkmcnt(1)
	v_add_co_u32_e32 v4, vcc, 0x1000, v12
	v_addc_co_u32_e32 v5, vcc, 0, v13, vcc
	global_store_dwordx2 v[4:5], v[6:7], off
	s_or_b64 exec, exec, s[0:1]
	s_and_saveexec_b64 s[0:1], s[8:9]
	s_cbranch_execz .LBB4477_28
.LBB4477_35:
	s_waitcnt lgkmcnt(1)
	v_add_co_u32_e32 v4, vcc, 0x1000, v12
	v_addc_co_u32_e32 v5, vcc, 0, v13, vcc
	s_waitcnt lgkmcnt(0)
	global_store_dwordx2 v[4:5], v[0:1], off offset:1024
	s_or_b64 exec, exec, s[0:1]
	s_and_saveexec_b64 s[0:1], s[10:11]
	s_cbranch_execz .LBB4477_29
.LBB4477_36:
	s_waitcnt lgkmcnt(0)
	v_add_co_u32_e32 v0, vcc, 0x1000, v12
	v_addc_co_u32_e32 v1, vcc, 0, v13, vcc
	global_store_dwordx2 v[0:1], v[2:3], off offset:2048
	s_endpgm
	.section	.rodata,"a",@progbits
	.p2align	6, 0x0
	.amdhsa_kernel _ZN7rocprim17ROCPRIM_400000_NS6detail17trampoline_kernelINS0_14default_configENS1_20scan_config_selectorIyEEZZNS1_9scan_implILNS1_25lookback_scan_determinismE0ELb0ELb0ES3_N6thrust23THRUST_200600_302600_NS6detail15normal_iteratorINS9_10device_ptrIyEEEESE_yNS9_4plusIvEEyEEDaPvRmT3_T4_T5_mT6_P12ihipStream_tbENKUlT_T0_E_clISt17integral_constantIbLb1EEST_IbLb0EEEEDaSP_SQ_EUlSP_E0_NS1_11comp_targetILNS1_3genE4ELNS1_11target_archE910ELNS1_3gpuE8ELNS1_3repE0EEENS1_30default_config_static_selectorELNS0_4arch9wavefront6targetE1EEEvT1_
		.amdhsa_group_segment_fixed_size 7168
		.amdhsa_private_segment_fixed_size 0
		.amdhsa_kernarg_size 40
		.amdhsa_user_sgpr_count 6
		.amdhsa_user_sgpr_private_segment_buffer 1
		.amdhsa_user_sgpr_dispatch_ptr 0
		.amdhsa_user_sgpr_queue_ptr 0
		.amdhsa_user_sgpr_kernarg_segment_ptr 1
		.amdhsa_user_sgpr_dispatch_id 0
		.amdhsa_user_sgpr_flat_scratch_init 0
		.amdhsa_user_sgpr_kernarg_preload_length 0
		.amdhsa_user_sgpr_kernarg_preload_offset 0
		.amdhsa_user_sgpr_private_segment_size 0
		.amdhsa_uses_dynamic_stack 0
		.amdhsa_system_sgpr_private_segment_wavefront_offset 0
		.amdhsa_system_sgpr_workgroup_id_x 1
		.amdhsa_system_sgpr_workgroup_id_y 0
		.amdhsa_system_sgpr_workgroup_id_z 0
		.amdhsa_system_sgpr_workgroup_info 0
		.amdhsa_system_vgpr_workitem_id 0
		.amdhsa_next_free_vgpr 41
		.amdhsa_next_free_sgpr 22
		.amdhsa_accum_offset 44
		.amdhsa_reserve_vcc 1
		.amdhsa_reserve_flat_scratch 0
		.amdhsa_float_round_mode_32 0
		.amdhsa_float_round_mode_16_64 0
		.amdhsa_float_denorm_mode_32 3
		.amdhsa_float_denorm_mode_16_64 3
		.amdhsa_dx10_clamp 1
		.amdhsa_ieee_mode 1
		.amdhsa_fp16_overflow 0
		.amdhsa_tg_split 0
		.amdhsa_exception_fp_ieee_invalid_op 0
		.amdhsa_exception_fp_denorm_src 0
		.amdhsa_exception_fp_ieee_div_zero 0
		.amdhsa_exception_fp_ieee_overflow 0
		.amdhsa_exception_fp_ieee_underflow 0
		.amdhsa_exception_fp_ieee_inexact 0
		.amdhsa_exception_int_div_zero 0
	.end_amdhsa_kernel
	.section	.text._ZN7rocprim17ROCPRIM_400000_NS6detail17trampoline_kernelINS0_14default_configENS1_20scan_config_selectorIyEEZZNS1_9scan_implILNS1_25lookback_scan_determinismE0ELb0ELb0ES3_N6thrust23THRUST_200600_302600_NS6detail15normal_iteratorINS9_10device_ptrIyEEEESE_yNS9_4plusIvEEyEEDaPvRmT3_T4_T5_mT6_P12ihipStream_tbENKUlT_T0_E_clISt17integral_constantIbLb1EEST_IbLb0EEEEDaSP_SQ_EUlSP_E0_NS1_11comp_targetILNS1_3genE4ELNS1_11target_archE910ELNS1_3gpuE8ELNS1_3repE0EEENS1_30default_config_static_selectorELNS0_4arch9wavefront6targetE1EEEvT1_,"axG",@progbits,_ZN7rocprim17ROCPRIM_400000_NS6detail17trampoline_kernelINS0_14default_configENS1_20scan_config_selectorIyEEZZNS1_9scan_implILNS1_25lookback_scan_determinismE0ELb0ELb0ES3_N6thrust23THRUST_200600_302600_NS6detail15normal_iteratorINS9_10device_ptrIyEEEESE_yNS9_4plusIvEEyEEDaPvRmT3_T4_T5_mT6_P12ihipStream_tbENKUlT_T0_E_clISt17integral_constantIbLb1EEST_IbLb0EEEEDaSP_SQ_EUlSP_E0_NS1_11comp_targetILNS1_3genE4ELNS1_11target_archE910ELNS1_3gpuE8ELNS1_3repE0EEENS1_30default_config_static_selectorELNS0_4arch9wavefront6targetE1EEEvT1_,comdat
.Lfunc_end4477:
	.size	_ZN7rocprim17ROCPRIM_400000_NS6detail17trampoline_kernelINS0_14default_configENS1_20scan_config_selectorIyEEZZNS1_9scan_implILNS1_25lookback_scan_determinismE0ELb0ELb0ES3_N6thrust23THRUST_200600_302600_NS6detail15normal_iteratorINS9_10device_ptrIyEEEESE_yNS9_4plusIvEEyEEDaPvRmT3_T4_T5_mT6_P12ihipStream_tbENKUlT_T0_E_clISt17integral_constantIbLb1EEST_IbLb0EEEEDaSP_SQ_EUlSP_E0_NS1_11comp_targetILNS1_3genE4ELNS1_11target_archE910ELNS1_3gpuE8ELNS1_3repE0EEENS1_30default_config_static_selectorELNS0_4arch9wavefront6targetE1EEEvT1_, .Lfunc_end4477-_ZN7rocprim17ROCPRIM_400000_NS6detail17trampoline_kernelINS0_14default_configENS1_20scan_config_selectorIyEEZZNS1_9scan_implILNS1_25lookback_scan_determinismE0ELb0ELb0ES3_N6thrust23THRUST_200600_302600_NS6detail15normal_iteratorINS9_10device_ptrIyEEEESE_yNS9_4plusIvEEyEEDaPvRmT3_T4_T5_mT6_P12ihipStream_tbENKUlT_T0_E_clISt17integral_constantIbLb1EEST_IbLb0EEEEDaSP_SQ_EUlSP_E0_NS1_11comp_targetILNS1_3genE4ELNS1_11target_archE910ELNS1_3gpuE8ELNS1_3repE0EEENS1_30default_config_static_selectorELNS0_4arch9wavefront6targetE1EEEvT1_
                                        ; -- End function
	.section	.AMDGPU.csdata,"",@progbits
; Kernel info:
; codeLenInByte = 1804
; NumSgprs: 26
; NumVgprs: 41
; NumAgprs: 0
; TotalNumVgprs: 41
; ScratchSize: 0
; MemoryBound: 0
; FloatMode: 240
; IeeeMode: 1
; LDSByteSize: 7168 bytes/workgroup (compile time only)
; SGPRBlocks: 3
; VGPRBlocks: 5
; NumSGPRsForWavesPerEU: 26
; NumVGPRsForWavesPerEU: 41
; AccumOffset: 44
; Occupancy: 5
; WaveLimiterHint : 0
; COMPUTE_PGM_RSRC2:SCRATCH_EN: 0
; COMPUTE_PGM_RSRC2:USER_SGPR: 6
; COMPUTE_PGM_RSRC2:TRAP_HANDLER: 0
; COMPUTE_PGM_RSRC2:TGID_X_EN: 1
; COMPUTE_PGM_RSRC2:TGID_Y_EN: 0
; COMPUTE_PGM_RSRC2:TGID_Z_EN: 0
; COMPUTE_PGM_RSRC2:TIDIG_COMP_CNT: 0
; COMPUTE_PGM_RSRC3_GFX90A:ACCUM_OFFSET: 10
; COMPUTE_PGM_RSRC3_GFX90A:TG_SPLIT: 0
	.section	.text._ZN7rocprim17ROCPRIM_400000_NS6detail17trampoline_kernelINS0_14default_configENS1_20scan_config_selectorIyEEZZNS1_9scan_implILNS1_25lookback_scan_determinismE0ELb0ELb0ES3_N6thrust23THRUST_200600_302600_NS6detail15normal_iteratorINS9_10device_ptrIyEEEESE_yNS9_4plusIvEEyEEDaPvRmT3_T4_T5_mT6_P12ihipStream_tbENKUlT_T0_E_clISt17integral_constantIbLb1EEST_IbLb0EEEEDaSP_SQ_EUlSP_E0_NS1_11comp_targetILNS1_3genE3ELNS1_11target_archE908ELNS1_3gpuE7ELNS1_3repE0EEENS1_30default_config_static_selectorELNS0_4arch9wavefront6targetE1EEEvT1_,"axG",@progbits,_ZN7rocprim17ROCPRIM_400000_NS6detail17trampoline_kernelINS0_14default_configENS1_20scan_config_selectorIyEEZZNS1_9scan_implILNS1_25lookback_scan_determinismE0ELb0ELb0ES3_N6thrust23THRUST_200600_302600_NS6detail15normal_iteratorINS9_10device_ptrIyEEEESE_yNS9_4plusIvEEyEEDaPvRmT3_T4_T5_mT6_P12ihipStream_tbENKUlT_T0_E_clISt17integral_constantIbLb1EEST_IbLb0EEEEDaSP_SQ_EUlSP_E0_NS1_11comp_targetILNS1_3genE3ELNS1_11target_archE908ELNS1_3gpuE7ELNS1_3repE0EEENS1_30default_config_static_selectorELNS0_4arch9wavefront6targetE1EEEvT1_,comdat
	.protected	_ZN7rocprim17ROCPRIM_400000_NS6detail17trampoline_kernelINS0_14default_configENS1_20scan_config_selectorIyEEZZNS1_9scan_implILNS1_25lookback_scan_determinismE0ELb0ELb0ES3_N6thrust23THRUST_200600_302600_NS6detail15normal_iteratorINS9_10device_ptrIyEEEESE_yNS9_4plusIvEEyEEDaPvRmT3_T4_T5_mT6_P12ihipStream_tbENKUlT_T0_E_clISt17integral_constantIbLb1EEST_IbLb0EEEEDaSP_SQ_EUlSP_E0_NS1_11comp_targetILNS1_3genE3ELNS1_11target_archE908ELNS1_3gpuE7ELNS1_3repE0EEENS1_30default_config_static_selectorELNS0_4arch9wavefront6targetE1EEEvT1_ ; -- Begin function _ZN7rocprim17ROCPRIM_400000_NS6detail17trampoline_kernelINS0_14default_configENS1_20scan_config_selectorIyEEZZNS1_9scan_implILNS1_25lookback_scan_determinismE0ELb0ELb0ES3_N6thrust23THRUST_200600_302600_NS6detail15normal_iteratorINS9_10device_ptrIyEEEESE_yNS9_4plusIvEEyEEDaPvRmT3_T4_T5_mT6_P12ihipStream_tbENKUlT_T0_E_clISt17integral_constantIbLb1EEST_IbLb0EEEEDaSP_SQ_EUlSP_E0_NS1_11comp_targetILNS1_3genE3ELNS1_11target_archE908ELNS1_3gpuE7ELNS1_3repE0EEENS1_30default_config_static_selectorELNS0_4arch9wavefront6targetE1EEEvT1_
	.globl	_ZN7rocprim17ROCPRIM_400000_NS6detail17trampoline_kernelINS0_14default_configENS1_20scan_config_selectorIyEEZZNS1_9scan_implILNS1_25lookback_scan_determinismE0ELb0ELb0ES3_N6thrust23THRUST_200600_302600_NS6detail15normal_iteratorINS9_10device_ptrIyEEEESE_yNS9_4plusIvEEyEEDaPvRmT3_T4_T5_mT6_P12ihipStream_tbENKUlT_T0_E_clISt17integral_constantIbLb1EEST_IbLb0EEEEDaSP_SQ_EUlSP_E0_NS1_11comp_targetILNS1_3genE3ELNS1_11target_archE908ELNS1_3gpuE7ELNS1_3repE0EEENS1_30default_config_static_selectorELNS0_4arch9wavefront6targetE1EEEvT1_
	.p2align	8
	.type	_ZN7rocprim17ROCPRIM_400000_NS6detail17trampoline_kernelINS0_14default_configENS1_20scan_config_selectorIyEEZZNS1_9scan_implILNS1_25lookback_scan_determinismE0ELb0ELb0ES3_N6thrust23THRUST_200600_302600_NS6detail15normal_iteratorINS9_10device_ptrIyEEEESE_yNS9_4plusIvEEyEEDaPvRmT3_T4_T5_mT6_P12ihipStream_tbENKUlT_T0_E_clISt17integral_constantIbLb1EEST_IbLb0EEEEDaSP_SQ_EUlSP_E0_NS1_11comp_targetILNS1_3genE3ELNS1_11target_archE908ELNS1_3gpuE7ELNS1_3repE0EEENS1_30default_config_static_selectorELNS0_4arch9wavefront6targetE1EEEvT1_,@function
_ZN7rocprim17ROCPRIM_400000_NS6detail17trampoline_kernelINS0_14default_configENS1_20scan_config_selectorIyEEZZNS1_9scan_implILNS1_25lookback_scan_determinismE0ELb0ELb0ES3_N6thrust23THRUST_200600_302600_NS6detail15normal_iteratorINS9_10device_ptrIyEEEESE_yNS9_4plusIvEEyEEDaPvRmT3_T4_T5_mT6_P12ihipStream_tbENKUlT_T0_E_clISt17integral_constantIbLb1EEST_IbLb0EEEEDaSP_SQ_EUlSP_E0_NS1_11comp_targetILNS1_3genE3ELNS1_11target_archE908ELNS1_3gpuE7ELNS1_3repE0EEENS1_30default_config_static_selectorELNS0_4arch9wavefront6targetE1EEEvT1_: ; @_ZN7rocprim17ROCPRIM_400000_NS6detail17trampoline_kernelINS0_14default_configENS1_20scan_config_selectorIyEEZZNS1_9scan_implILNS1_25lookback_scan_determinismE0ELb0ELb0ES3_N6thrust23THRUST_200600_302600_NS6detail15normal_iteratorINS9_10device_ptrIyEEEESE_yNS9_4plusIvEEyEEDaPvRmT3_T4_T5_mT6_P12ihipStream_tbENKUlT_T0_E_clISt17integral_constantIbLb1EEST_IbLb0EEEEDaSP_SQ_EUlSP_E0_NS1_11comp_targetILNS1_3genE3ELNS1_11target_archE908ELNS1_3gpuE7ELNS1_3repE0EEENS1_30default_config_static_selectorELNS0_4arch9wavefront6targetE1EEEvT1_
; %bb.0:
	.section	.rodata,"a",@progbits
	.p2align	6, 0x0
	.amdhsa_kernel _ZN7rocprim17ROCPRIM_400000_NS6detail17trampoline_kernelINS0_14default_configENS1_20scan_config_selectorIyEEZZNS1_9scan_implILNS1_25lookback_scan_determinismE0ELb0ELb0ES3_N6thrust23THRUST_200600_302600_NS6detail15normal_iteratorINS9_10device_ptrIyEEEESE_yNS9_4plusIvEEyEEDaPvRmT3_T4_T5_mT6_P12ihipStream_tbENKUlT_T0_E_clISt17integral_constantIbLb1EEST_IbLb0EEEEDaSP_SQ_EUlSP_E0_NS1_11comp_targetILNS1_3genE3ELNS1_11target_archE908ELNS1_3gpuE7ELNS1_3repE0EEENS1_30default_config_static_selectorELNS0_4arch9wavefront6targetE1EEEvT1_
		.amdhsa_group_segment_fixed_size 0
		.amdhsa_private_segment_fixed_size 0
		.amdhsa_kernarg_size 40
		.amdhsa_user_sgpr_count 6
		.amdhsa_user_sgpr_private_segment_buffer 1
		.amdhsa_user_sgpr_dispatch_ptr 0
		.amdhsa_user_sgpr_queue_ptr 0
		.amdhsa_user_sgpr_kernarg_segment_ptr 1
		.amdhsa_user_sgpr_dispatch_id 0
		.amdhsa_user_sgpr_flat_scratch_init 0
		.amdhsa_user_sgpr_kernarg_preload_length 0
		.amdhsa_user_sgpr_kernarg_preload_offset 0
		.amdhsa_user_sgpr_private_segment_size 0
		.amdhsa_uses_dynamic_stack 0
		.amdhsa_system_sgpr_private_segment_wavefront_offset 0
		.amdhsa_system_sgpr_workgroup_id_x 1
		.amdhsa_system_sgpr_workgroup_id_y 0
		.amdhsa_system_sgpr_workgroup_id_z 0
		.amdhsa_system_sgpr_workgroup_info 0
		.amdhsa_system_vgpr_workitem_id 0
		.amdhsa_next_free_vgpr 1
		.amdhsa_next_free_sgpr 0
		.amdhsa_accum_offset 4
		.amdhsa_reserve_vcc 0
		.amdhsa_reserve_flat_scratch 0
		.amdhsa_float_round_mode_32 0
		.amdhsa_float_round_mode_16_64 0
		.amdhsa_float_denorm_mode_32 3
		.amdhsa_float_denorm_mode_16_64 3
		.amdhsa_dx10_clamp 1
		.amdhsa_ieee_mode 1
		.amdhsa_fp16_overflow 0
		.amdhsa_tg_split 0
		.amdhsa_exception_fp_ieee_invalid_op 0
		.amdhsa_exception_fp_denorm_src 0
		.amdhsa_exception_fp_ieee_div_zero 0
		.amdhsa_exception_fp_ieee_overflow 0
		.amdhsa_exception_fp_ieee_underflow 0
		.amdhsa_exception_fp_ieee_inexact 0
		.amdhsa_exception_int_div_zero 0
	.end_amdhsa_kernel
	.section	.text._ZN7rocprim17ROCPRIM_400000_NS6detail17trampoline_kernelINS0_14default_configENS1_20scan_config_selectorIyEEZZNS1_9scan_implILNS1_25lookback_scan_determinismE0ELb0ELb0ES3_N6thrust23THRUST_200600_302600_NS6detail15normal_iteratorINS9_10device_ptrIyEEEESE_yNS9_4plusIvEEyEEDaPvRmT3_T4_T5_mT6_P12ihipStream_tbENKUlT_T0_E_clISt17integral_constantIbLb1EEST_IbLb0EEEEDaSP_SQ_EUlSP_E0_NS1_11comp_targetILNS1_3genE3ELNS1_11target_archE908ELNS1_3gpuE7ELNS1_3repE0EEENS1_30default_config_static_selectorELNS0_4arch9wavefront6targetE1EEEvT1_,"axG",@progbits,_ZN7rocprim17ROCPRIM_400000_NS6detail17trampoline_kernelINS0_14default_configENS1_20scan_config_selectorIyEEZZNS1_9scan_implILNS1_25lookback_scan_determinismE0ELb0ELb0ES3_N6thrust23THRUST_200600_302600_NS6detail15normal_iteratorINS9_10device_ptrIyEEEESE_yNS9_4plusIvEEyEEDaPvRmT3_T4_T5_mT6_P12ihipStream_tbENKUlT_T0_E_clISt17integral_constantIbLb1EEST_IbLb0EEEEDaSP_SQ_EUlSP_E0_NS1_11comp_targetILNS1_3genE3ELNS1_11target_archE908ELNS1_3gpuE7ELNS1_3repE0EEENS1_30default_config_static_selectorELNS0_4arch9wavefront6targetE1EEEvT1_,comdat
.Lfunc_end4478:
	.size	_ZN7rocprim17ROCPRIM_400000_NS6detail17trampoline_kernelINS0_14default_configENS1_20scan_config_selectorIyEEZZNS1_9scan_implILNS1_25lookback_scan_determinismE0ELb0ELb0ES3_N6thrust23THRUST_200600_302600_NS6detail15normal_iteratorINS9_10device_ptrIyEEEESE_yNS9_4plusIvEEyEEDaPvRmT3_T4_T5_mT6_P12ihipStream_tbENKUlT_T0_E_clISt17integral_constantIbLb1EEST_IbLb0EEEEDaSP_SQ_EUlSP_E0_NS1_11comp_targetILNS1_3genE3ELNS1_11target_archE908ELNS1_3gpuE7ELNS1_3repE0EEENS1_30default_config_static_selectorELNS0_4arch9wavefront6targetE1EEEvT1_, .Lfunc_end4478-_ZN7rocprim17ROCPRIM_400000_NS6detail17trampoline_kernelINS0_14default_configENS1_20scan_config_selectorIyEEZZNS1_9scan_implILNS1_25lookback_scan_determinismE0ELb0ELb0ES3_N6thrust23THRUST_200600_302600_NS6detail15normal_iteratorINS9_10device_ptrIyEEEESE_yNS9_4plusIvEEyEEDaPvRmT3_T4_T5_mT6_P12ihipStream_tbENKUlT_T0_E_clISt17integral_constantIbLb1EEST_IbLb0EEEEDaSP_SQ_EUlSP_E0_NS1_11comp_targetILNS1_3genE3ELNS1_11target_archE908ELNS1_3gpuE7ELNS1_3repE0EEENS1_30default_config_static_selectorELNS0_4arch9wavefront6targetE1EEEvT1_
                                        ; -- End function
	.section	.AMDGPU.csdata,"",@progbits
; Kernel info:
; codeLenInByte = 0
; NumSgprs: 4
; NumVgprs: 0
; NumAgprs: 0
; TotalNumVgprs: 0
; ScratchSize: 0
; MemoryBound: 0
; FloatMode: 240
; IeeeMode: 1
; LDSByteSize: 0 bytes/workgroup (compile time only)
; SGPRBlocks: 0
; VGPRBlocks: 0
; NumSGPRsForWavesPerEU: 4
; NumVGPRsForWavesPerEU: 1
; AccumOffset: 4
; Occupancy: 8
; WaveLimiterHint : 0
; COMPUTE_PGM_RSRC2:SCRATCH_EN: 0
; COMPUTE_PGM_RSRC2:USER_SGPR: 6
; COMPUTE_PGM_RSRC2:TRAP_HANDLER: 0
; COMPUTE_PGM_RSRC2:TGID_X_EN: 1
; COMPUTE_PGM_RSRC2:TGID_Y_EN: 0
; COMPUTE_PGM_RSRC2:TGID_Z_EN: 0
; COMPUTE_PGM_RSRC2:TIDIG_COMP_CNT: 0
; COMPUTE_PGM_RSRC3_GFX90A:ACCUM_OFFSET: 0
; COMPUTE_PGM_RSRC3_GFX90A:TG_SPLIT: 0
	.section	.text._ZN7rocprim17ROCPRIM_400000_NS6detail17trampoline_kernelINS0_14default_configENS1_20scan_config_selectorIyEEZZNS1_9scan_implILNS1_25lookback_scan_determinismE0ELb0ELb0ES3_N6thrust23THRUST_200600_302600_NS6detail15normal_iteratorINS9_10device_ptrIyEEEESE_yNS9_4plusIvEEyEEDaPvRmT3_T4_T5_mT6_P12ihipStream_tbENKUlT_T0_E_clISt17integral_constantIbLb1EEST_IbLb0EEEEDaSP_SQ_EUlSP_E0_NS1_11comp_targetILNS1_3genE2ELNS1_11target_archE906ELNS1_3gpuE6ELNS1_3repE0EEENS1_30default_config_static_selectorELNS0_4arch9wavefront6targetE1EEEvT1_,"axG",@progbits,_ZN7rocprim17ROCPRIM_400000_NS6detail17trampoline_kernelINS0_14default_configENS1_20scan_config_selectorIyEEZZNS1_9scan_implILNS1_25lookback_scan_determinismE0ELb0ELb0ES3_N6thrust23THRUST_200600_302600_NS6detail15normal_iteratorINS9_10device_ptrIyEEEESE_yNS9_4plusIvEEyEEDaPvRmT3_T4_T5_mT6_P12ihipStream_tbENKUlT_T0_E_clISt17integral_constantIbLb1EEST_IbLb0EEEEDaSP_SQ_EUlSP_E0_NS1_11comp_targetILNS1_3genE2ELNS1_11target_archE906ELNS1_3gpuE6ELNS1_3repE0EEENS1_30default_config_static_selectorELNS0_4arch9wavefront6targetE1EEEvT1_,comdat
	.protected	_ZN7rocprim17ROCPRIM_400000_NS6detail17trampoline_kernelINS0_14default_configENS1_20scan_config_selectorIyEEZZNS1_9scan_implILNS1_25lookback_scan_determinismE0ELb0ELb0ES3_N6thrust23THRUST_200600_302600_NS6detail15normal_iteratorINS9_10device_ptrIyEEEESE_yNS9_4plusIvEEyEEDaPvRmT3_T4_T5_mT6_P12ihipStream_tbENKUlT_T0_E_clISt17integral_constantIbLb1EEST_IbLb0EEEEDaSP_SQ_EUlSP_E0_NS1_11comp_targetILNS1_3genE2ELNS1_11target_archE906ELNS1_3gpuE6ELNS1_3repE0EEENS1_30default_config_static_selectorELNS0_4arch9wavefront6targetE1EEEvT1_ ; -- Begin function _ZN7rocprim17ROCPRIM_400000_NS6detail17trampoline_kernelINS0_14default_configENS1_20scan_config_selectorIyEEZZNS1_9scan_implILNS1_25lookback_scan_determinismE0ELb0ELb0ES3_N6thrust23THRUST_200600_302600_NS6detail15normal_iteratorINS9_10device_ptrIyEEEESE_yNS9_4plusIvEEyEEDaPvRmT3_T4_T5_mT6_P12ihipStream_tbENKUlT_T0_E_clISt17integral_constantIbLb1EEST_IbLb0EEEEDaSP_SQ_EUlSP_E0_NS1_11comp_targetILNS1_3genE2ELNS1_11target_archE906ELNS1_3gpuE6ELNS1_3repE0EEENS1_30default_config_static_selectorELNS0_4arch9wavefront6targetE1EEEvT1_
	.globl	_ZN7rocprim17ROCPRIM_400000_NS6detail17trampoline_kernelINS0_14default_configENS1_20scan_config_selectorIyEEZZNS1_9scan_implILNS1_25lookback_scan_determinismE0ELb0ELb0ES3_N6thrust23THRUST_200600_302600_NS6detail15normal_iteratorINS9_10device_ptrIyEEEESE_yNS9_4plusIvEEyEEDaPvRmT3_T4_T5_mT6_P12ihipStream_tbENKUlT_T0_E_clISt17integral_constantIbLb1EEST_IbLb0EEEEDaSP_SQ_EUlSP_E0_NS1_11comp_targetILNS1_3genE2ELNS1_11target_archE906ELNS1_3gpuE6ELNS1_3repE0EEENS1_30default_config_static_selectorELNS0_4arch9wavefront6targetE1EEEvT1_
	.p2align	8
	.type	_ZN7rocprim17ROCPRIM_400000_NS6detail17trampoline_kernelINS0_14default_configENS1_20scan_config_selectorIyEEZZNS1_9scan_implILNS1_25lookback_scan_determinismE0ELb0ELb0ES3_N6thrust23THRUST_200600_302600_NS6detail15normal_iteratorINS9_10device_ptrIyEEEESE_yNS9_4plusIvEEyEEDaPvRmT3_T4_T5_mT6_P12ihipStream_tbENKUlT_T0_E_clISt17integral_constantIbLb1EEST_IbLb0EEEEDaSP_SQ_EUlSP_E0_NS1_11comp_targetILNS1_3genE2ELNS1_11target_archE906ELNS1_3gpuE6ELNS1_3repE0EEENS1_30default_config_static_selectorELNS0_4arch9wavefront6targetE1EEEvT1_,@function
_ZN7rocprim17ROCPRIM_400000_NS6detail17trampoline_kernelINS0_14default_configENS1_20scan_config_selectorIyEEZZNS1_9scan_implILNS1_25lookback_scan_determinismE0ELb0ELb0ES3_N6thrust23THRUST_200600_302600_NS6detail15normal_iteratorINS9_10device_ptrIyEEEESE_yNS9_4plusIvEEyEEDaPvRmT3_T4_T5_mT6_P12ihipStream_tbENKUlT_T0_E_clISt17integral_constantIbLb1EEST_IbLb0EEEEDaSP_SQ_EUlSP_E0_NS1_11comp_targetILNS1_3genE2ELNS1_11target_archE906ELNS1_3gpuE6ELNS1_3repE0EEENS1_30default_config_static_selectorELNS0_4arch9wavefront6targetE1EEEvT1_: ; @_ZN7rocprim17ROCPRIM_400000_NS6detail17trampoline_kernelINS0_14default_configENS1_20scan_config_selectorIyEEZZNS1_9scan_implILNS1_25lookback_scan_determinismE0ELb0ELb0ES3_N6thrust23THRUST_200600_302600_NS6detail15normal_iteratorINS9_10device_ptrIyEEEESE_yNS9_4plusIvEEyEEDaPvRmT3_T4_T5_mT6_P12ihipStream_tbENKUlT_T0_E_clISt17integral_constantIbLb1EEST_IbLb0EEEEDaSP_SQ_EUlSP_E0_NS1_11comp_targetILNS1_3genE2ELNS1_11target_archE906ELNS1_3gpuE6ELNS1_3repE0EEENS1_30default_config_static_selectorELNS0_4arch9wavefront6targetE1EEEvT1_
; %bb.0:
	.section	.rodata,"a",@progbits
	.p2align	6, 0x0
	.amdhsa_kernel _ZN7rocprim17ROCPRIM_400000_NS6detail17trampoline_kernelINS0_14default_configENS1_20scan_config_selectorIyEEZZNS1_9scan_implILNS1_25lookback_scan_determinismE0ELb0ELb0ES3_N6thrust23THRUST_200600_302600_NS6detail15normal_iteratorINS9_10device_ptrIyEEEESE_yNS9_4plusIvEEyEEDaPvRmT3_T4_T5_mT6_P12ihipStream_tbENKUlT_T0_E_clISt17integral_constantIbLb1EEST_IbLb0EEEEDaSP_SQ_EUlSP_E0_NS1_11comp_targetILNS1_3genE2ELNS1_11target_archE906ELNS1_3gpuE6ELNS1_3repE0EEENS1_30default_config_static_selectorELNS0_4arch9wavefront6targetE1EEEvT1_
		.amdhsa_group_segment_fixed_size 0
		.amdhsa_private_segment_fixed_size 0
		.amdhsa_kernarg_size 40
		.amdhsa_user_sgpr_count 6
		.amdhsa_user_sgpr_private_segment_buffer 1
		.amdhsa_user_sgpr_dispatch_ptr 0
		.amdhsa_user_sgpr_queue_ptr 0
		.amdhsa_user_sgpr_kernarg_segment_ptr 1
		.amdhsa_user_sgpr_dispatch_id 0
		.amdhsa_user_sgpr_flat_scratch_init 0
		.amdhsa_user_sgpr_kernarg_preload_length 0
		.amdhsa_user_sgpr_kernarg_preload_offset 0
		.amdhsa_user_sgpr_private_segment_size 0
		.amdhsa_uses_dynamic_stack 0
		.amdhsa_system_sgpr_private_segment_wavefront_offset 0
		.amdhsa_system_sgpr_workgroup_id_x 1
		.amdhsa_system_sgpr_workgroup_id_y 0
		.amdhsa_system_sgpr_workgroup_id_z 0
		.amdhsa_system_sgpr_workgroup_info 0
		.amdhsa_system_vgpr_workitem_id 0
		.amdhsa_next_free_vgpr 1
		.amdhsa_next_free_sgpr 0
		.amdhsa_accum_offset 4
		.amdhsa_reserve_vcc 0
		.amdhsa_reserve_flat_scratch 0
		.amdhsa_float_round_mode_32 0
		.amdhsa_float_round_mode_16_64 0
		.amdhsa_float_denorm_mode_32 3
		.amdhsa_float_denorm_mode_16_64 3
		.amdhsa_dx10_clamp 1
		.amdhsa_ieee_mode 1
		.amdhsa_fp16_overflow 0
		.amdhsa_tg_split 0
		.amdhsa_exception_fp_ieee_invalid_op 0
		.amdhsa_exception_fp_denorm_src 0
		.amdhsa_exception_fp_ieee_div_zero 0
		.amdhsa_exception_fp_ieee_overflow 0
		.amdhsa_exception_fp_ieee_underflow 0
		.amdhsa_exception_fp_ieee_inexact 0
		.amdhsa_exception_int_div_zero 0
	.end_amdhsa_kernel
	.section	.text._ZN7rocprim17ROCPRIM_400000_NS6detail17trampoline_kernelINS0_14default_configENS1_20scan_config_selectorIyEEZZNS1_9scan_implILNS1_25lookback_scan_determinismE0ELb0ELb0ES3_N6thrust23THRUST_200600_302600_NS6detail15normal_iteratorINS9_10device_ptrIyEEEESE_yNS9_4plusIvEEyEEDaPvRmT3_T4_T5_mT6_P12ihipStream_tbENKUlT_T0_E_clISt17integral_constantIbLb1EEST_IbLb0EEEEDaSP_SQ_EUlSP_E0_NS1_11comp_targetILNS1_3genE2ELNS1_11target_archE906ELNS1_3gpuE6ELNS1_3repE0EEENS1_30default_config_static_selectorELNS0_4arch9wavefront6targetE1EEEvT1_,"axG",@progbits,_ZN7rocprim17ROCPRIM_400000_NS6detail17trampoline_kernelINS0_14default_configENS1_20scan_config_selectorIyEEZZNS1_9scan_implILNS1_25lookback_scan_determinismE0ELb0ELb0ES3_N6thrust23THRUST_200600_302600_NS6detail15normal_iteratorINS9_10device_ptrIyEEEESE_yNS9_4plusIvEEyEEDaPvRmT3_T4_T5_mT6_P12ihipStream_tbENKUlT_T0_E_clISt17integral_constantIbLb1EEST_IbLb0EEEEDaSP_SQ_EUlSP_E0_NS1_11comp_targetILNS1_3genE2ELNS1_11target_archE906ELNS1_3gpuE6ELNS1_3repE0EEENS1_30default_config_static_selectorELNS0_4arch9wavefront6targetE1EEEvT1_,comdat
.Lfunc_end4479:
	.size	_ZN7rocprim17ROCPRIM_400000_NS6detail17trampoline_kernelINS0_14default_configENS1_20scan_config_selectorIyEEZZNS1_9scan_implILNS1_25lookback_scan_determinismE0ELb0ELb0ES3_N6thrust23THRUST_200600_302600_NS6detail15normal_iteratorINS9_10device_ptrIyEEEESE_yNS9_4plusIvEEyEEDaPvRmT3_T4_T5_mT6_P12ihipStream_tbENKUlT_T0_E_clISt17integral_constantIbLb1EEST_IbLb0EEEEDaSP_SQ_EUlSP_E0_NS1_11comp_targetILNS1_3genE2ELNS1_11target_archE906ELNS1_3gpuE6ELNS1_3repE0EEENS1_30default_config_static_selectorELNS0_4arch9wavefront6targetE1EEEvT1_, .Lfunc_end4479-_ZN7rocprim17ROCPRIM_400000_NS6detail17trampoline_kernelINS0_14default_configENS1_20scan_config_selectorIyEEZZNS1_9scan_implILNS1_25lookback_scan_determinismE0ELb0ELb0ES3_N6thrust23THRUST_200600_302600_NS6detail15normal_iteratorINS9_10device_ptrIyEEEESE_yNS9_4plusIvEEyEEDaPvRmT3_T4_T5_mT6_P12ihipStream_tbENKUlT_T0_E_clISt17integral_constantIbLb1EEST_IbLb0EEEEDaSP_SQ_EUlSP_E0_NS1_11comp_targetILNS1_3genE2ELNS1_11target_archE906ELNS1_3gpuE6ELNS1_3repE0EEENS1_30default_config_static_selectorELNS0_4arch9wavefront6targetE1EEEvT1_
                                        ; -- End function
	.section	.AMDGPU.csdata,"",@progbits
; Kernel info:
; codeLenInByte = 0
; NumSgprs: 4
; NumVgprs: 0
; NumAgprs: 0
; TotalNumVgprs: 0
; ScratchSize: 0
; MemoryBound: 0
; FloatMode: 240
; IeeeMode: 1
; LDSByteSize: 0 bytes/workgroup (compile time only)
; SGPRBlocks: 0
; VGPRBlocks: 0
; NumSGPRsForWavesPerEU: 4
; NumVGPRsForWavesPerEU: 1
; AccumOffset: 4
; Occupancy: 8
; WaveLimiterHint : 0
; COMPUTE_PGM_RSRC2:SCRATCH_EN: 0
; COMPUTE_PGM_RSRC2:USER_SGPR: 6
; COMPUTE_PGM_RSRC2:TRAP_HANDLER: 0
; COMPUTE_PGM_RSRC2:TGID_X_EN: 1
; COMPUTE_PGM_RSRC2:TGID_Y_EN: 0
; COMPUTE_PGM_RSRC2:TGID_Z_EN: 0
; COMPUTE_PGM_RSRC2:TIDIG_COMP_CNT: 0
; COMPUTE_PGM_RSRC3_GFX90A:ACCUM_OFFSET: 0
; COMPUTE_PGM_RSRC3_GFX90A:TG_SPLIT: 0
	.section	.text._ZN7rocprim17ROCPRIM_400000_NS6detail17trampoline_kernelINS0_14default_configENS1_20scan_config_selectorIyEEZZNS1_9scan_implILNS1_25lookback_scan_determinismE0ELb0ELb0ES3_N6thrust23THRUST_200600_302600_NS6detail15normal_iteratorINS9_10device_ptrIyEEEESE_yNS9_4plusIvEEyEEDaPvRmT3_T4_T5_mT6_P12ihipStream_tbENKUlT_T0_E_clISt17integral_constantIbLb1EEST_IbLb0EEEEDaSP_SQ_EUlSP_E0_NS1_11comp_targetILNS1_3genE10ELNS1_11target_archE1201ELNS1_3gpuE5ELNS1_3repE0EEENS1_30default_config_static_selectorELNS0_4arch9wavefront6targetE1EEEvT1_,"axG",@progbits,_ZN7rocprim17ROCPRIM_400000_NS6detail17trampoline_kernelINS0_14default_configENS1_20scan_config_selectorIyEEZZNS1_9scan_implILNS1_25lookback_scan_determinismE0ELb0ELb0ES3_N6thrust23THRUST_200600_302600_NS6detail15normal_iteratorINS9_10device_ptrIyEEEESE_yNS9_4plusIvEEyEEDaPvRmT3_T4_T5_mT6_P12ihipStream_tbENKUlT_T0_E_clISt17integral_constantIbLb1EEST_IbLb0EEEEDaSP_SQ_EUlSP_E0_NS1_11comp_targetILNS1_3genE10ELNS1_11target_archE1201ELNS1_3gpuE5ELNS1_3repE0EEENS1_30default_config_static_selectorELNS0_4arch9wavefront6targetE1EEEvT1_,comdat
	.protected	_ZN7rocprim17ROCPRIM_400000_NS6detail17trampoline_kernelINS0_14default_configENS1_20scan_config_selectorIyEEZZNS1_9scan_implILNS1_25lookback_scan_determinismE0ELb0ELb0ES3_N6thrust23THRUST_200600_302600_NS6detail15normal_iteratorINS9_10device_ptrIyEEEESE_yNS9_4plusIvEEyEEDaPvRmT3_T4_T5_mT6_P12ihipStream_tbENKUlT_T0_E_clISt17integral_constantIbLb1EEST_IbLb0EEEEDaSP_SQ_EUlSP_E0_NS1_11comp_targetILNS1_3genE10ELNS1_11target_archE1201ELNS1_3gpuE5ELNS1_3repE0EEENS1_30default_config_static_selectorELNS0_4arch9wavefront6targetE1EEEvT1_ ; -- Begin function _ZN7rocprim17ROCPRIM_400000_NS6detail17trampoline_kernelINS0_14default_configENS1_20scan_config_selectorIyEEZZNS1_9scan_implILNS1_25lookback_scan_determinismE0ELb0ELb0ES3_N6thrust23THRUST_200600_302600_NS6detail15normal_iteratorINS9_10device_ptrIyEEEESE_yNS9_4plusIvEEyEEDaPvRmT3_T4_T5_mT6_P12ihipStream_tbENKUlT_T0_E_clISt17integral_constantIbLb1EEST_IbLb0EEEEDaSP_SQ_EUlSP_E0_NS1_11comp_targetILNS1_3genE10ELNS1_11target_archE1201ELNS1_3gpuE5ELNS1_3repE0EEENS1_30default_config_static_selectorELNS0_4arch9wavefront6targetE1EEEvT1_
	.globl	_ZN7rocprim17ROCPRIM_400000_NS6detail17trampoline_kernelINS0_14default_configENS1_20scan_config_selectorIyEEZZNS1_9scan_implILNS1_25lookback_scan_determinismE0ELb0ELb0ES3_N6thrust23THRUST_200600_302600_NS6detail15normal_iteratorINS9_10device_ptrIyEEEESE_yNS9_4plusIvEEyEEDaPvRmT3_T4_T5_mT6_P12ihipStream_tbENKUlT_T0_E_clISt17integral_constantIbLb1EEST_IbLb0EEEEDaSP_SQ_EUlSP_E0_NS1_11comp_targetILNS1_3genE10ELNS1_11target_archE1201ELNS1_3gpuE5ELNS1_3repE0EEENS1_30default_config_static_selectorELNS0_4arch9wavefront6targetE1EEEvT1_
	.p2align	8
	.type	_ZN7rocprim17ROCPRIM_400000_NS6detail17trampoline_kernelINS0_14default_configENS1_20scan_config_selectorIyEEZZNS1_9scan_implILNS1_25lookback_scan_determinismE0ELb0ELb0ES3_N6thrust23THRUST_200600_302600_NS6detail15normal_iteratorINS9_10device_ptrIyEEEESE_yNS9_4plusIvEEyEEDaPvRmT3_T4_T5_mT6_P12ihipStream_tbENKUlT_T0_E_clISt17integral_constantIbLb1EEST_IbLb0EEEEDaSP_SQ_EUlSP_E0_NS1_11comp_targetILNS1_3genE10ELNS1_11target_archE1201ELNS1_3gpuE5ELNS1_3repE0EEENS1_30default_config_static_selectorELNS0_4arch9wavefront6targetE1EEEvT1_,@function
_ZN7rocprim17ROCPRIM_400000_NS6detail17trampoline_kernelINS0_14default_configENS1_20scan_config_selectorIyEEZZNS1_9scan_implILNS1_25lookback_scan_determinismE0ELb0ELb0ES3_N6thrust23THRUST_200600_302600_NS6detail15normal_iteratorINS9_10device_ptrIyEEEESE_yNS9_4plusIvEEyEEDaPvRmT3_T4_T5_mT6_P12ihipStream_tbENKUlT_T0_E_clISt17integral_constantIbLb1EEST_IbLb0EEEEDaSP_SQ_EUlSP_E0_NS1_11comp_targetILNS1_3genE10ELNS1_11target_archE1201ELNS1_3gpuE5ELNS1_3repE0EEENS1_30default_config_static_selectorELNS0_4arch9wavefront6targetE1EEEvT1_: ; @_ZN7rocprim17ROCPRIM_400000_NS6detail17trampoline_kernelINS0_14default_configENS1_20scan_config_selectorIyEEZZNS1_9scan_implILNS1_25lookback_scan_determinismE0ELb0ELb0ES3_N6thrust23THRUST_200600_302600_NS6detail15normal_iteratorINS9_10device_ptrIyEEEESE_yNS9_4plusIvEEyEEDaPvRmT3_T4_T5_mT6_P12ihipStream_tbENKUlT_T0_E_clISt17integral_constantIbLb1EEST_IbLb0EEEEDaSP_SQ_EUlSP_E0_NS1_11comp_targetILNS1_3genE10ELNS1_11target_archE1201ELNS1_3gpuE5ELNS1_3repE0EEENS1_30default_config_static_selectorELNS0_4arch9wavefront6targetE1EEEvT1_
; %bb.0:
	.section	.rodata,"a",@progbits
	.p2align	6, 0x0
	.amdhsa_kernel _ZN7rocprim17ROCPRIM_400000_NS6detail17trampoline_kernelINS0_14default_configENS1_20scan_config_selectorIyEEZZNS1_9scan_implILNS1_25lookback_scan_determinismE0ELb0ELb0ES3_N6thrust23THRUST_200600_302600_NS6detail15normal_iteratorINS9_10device_ptrIyEEEESE_yNS9_4plusIvEEyEEDaPvRmT3_T4_T5_mT6_P12ihipStream_tbENKUlT_T0_E_clISt17integral_constantIbLb1EEST_IbLb0EEEEDaSP_SQ_EUlSP_E0_NS1_11comp_targetILNS1_3genE10ELNS1_11target_archE1201ELNS1_3gpuE5ELNS1_3repE0EEENS1_30default_config_static_selectorELNS0_4arch9wavefront6targetE1EEEvT1_
		.amdhsa_group_segment_fixed_size 0
		.amdhsa_private_segment_fixed_size 0
		.amdhsa_kernarg_size 40
		.amdhsa_user_sgpr_count 6
		.amdhsa_user_sgpr_private_segment_buffer 1
		.amdhsa_user_sgpr_dispatch_ptr 0
		.amdhsa_user_sgpr_queue_ptr 0
		.amdhsa_user_sgpr_kernarg_segment_ptr 1
		.amdhsa_user_sgpr_dispatch_id 0
		.amdhsa_user_sgpr_flat_scratch_init 0
		.amdhsa_user_sgpr_kernarg_preload_length 0
		.amdhsa_user_sgpr_kernarg_preload_offset 0
		.amdhsa_user_sgpr_private_segment_size 0
		.amdhsa_uses_dynamic_stack 0
		.amdhsa_system_sgpr_private_segment_wavefront_offset 0
		.amdhsa_system_sgpr_workgroup_id_x 1
		.amdhsa_system_sgpr_workgroup_id_y 0
		.amdhsa_system_sgpr_workgroup_id_z 0
		.amdhsa_system_sgpr_workgroup_info 0
		.amdhsa_system_vgpr_workitem_id 0
		.amdhsa_next_free_vgpr 1
		.amdhsa_next_free_sgpr 0
		.amdhsa_accum_offset 4
		.amdhsa_reserve_vcc 0
		.amdhsa_reserve_flat_scratch 0
		.amdhsa_float_round_mode_32 0
		.amdhsa_float_round_mode_16_64 0
		.amdhsa_float_denorm_mode_32 3
		.amdhsa_float_denorm_mode_16_64 3
		.amdhsa_dx10_clamp 1
		.amdhsa_ieee_mode 1
		.amdhsa_fp16_overflow 0
		.amdhsa_tg_split 0
		.amdhsa_exception_fp_ieee_invalid_op 0
		.amdhsa_exception_fp_denorm_src 0
		.amdhsa_exception_fp_ieee_div_zero 0
		.amdhsa_exception_fp_ieee_overflow 0
		.amdhsa_exception_fp_ieee_underflow 0
		.amdhsa_exception_fp_ieee_inexact 0
		.amdhsa_exception_int_div_zero 0
	.end_amdhsa_kernel
	.section	.text._ZN7rocprim17ROCPRIM_400000_NS6detail17trampoline_kernelINS0_14default_configENS1_20scan_config_selectorIyEEZZNS1_9scan_implILNS1_25lookback_scan_determinismE0ELb0ELb0ES3_N6thrust23THRUST_200600_302600_NS6detail15normal_iteratorINS9_10device_ptrIyEEEESE_yNS9_4plusIvEEyEEDaPvRmT3_T4_T5_mT6_P12ihipStream_tbENKUlT_T0_E_clISt17integral_constantIbLb1EEST_IbLb0EEEEDaSP_SQ_EUlSP_E0_NS1_11comp_targetILNS1_3genE10ELNS1_11target_archE1201ELNS1_3gpuE5ELNS1_3repE0EEENS1_30default_config_static_selectorELNS0_4arch9wavefront6targetE1EEEvT1_,"axG",@progbits,_ZN7rocprim17ROCPRIM_400000_NS6detail17trampoline_kernelINS0_14default_configENS1_20scan_config_selectorIyEEZZNS1_9scan_implILNS1_25lookback_scan_determinismE0ELb0ELb0ES3_N6thrust23THRUST_200600_302600_NS6detail15normal_iteratorINS9_10device_ptrIyEEEESE_yNS9_4plusIvEEyEEDaPvRmT3_T4_T5_mT6_P12ihipStream_tbENKUlT_T0_E_clISt17integral_constantIbLb1EEST_IbLb0EEEEDaSP_SQ_EUlSP_E0_NS1_11comp_targetILNS1_3genE10ELNS1_11target_archE1201ELNS1_3gpuE5ELNS1_3repE0EEENS1_30default_config_static_selectorELNS0_4arch9wavefront6targetE1EEEvT1_,comdat
.Lfunc_end4480:
	.size	_ZN7rocprim17ROCPRIM_400000_NS6detail17trampoline_kernelINS0_14default_configENS1_20scan_config_selectorIyEEZZNS1_9scan_implILNS1_25lookback_scan_determinismE0ELb0ELb0ES3_N6thrust23THRUST_200600_302600_NS6detail15normal_iteratorINS9_10device_ptrIyEEEESE_yNS9_4plusIvEEyEEDaPvRmT3_T4_T5_mT6_P12ihipStream_tbENKUlT_T0_E_clISt17integral_constantIbLb1EEST_IbLb0EEEEDaSP_SQ_EUlSP_E0_NS1_11comp_targetILNS1_3genE10ELNS1_11target_archE1201ELNS1_3gpuE5ELNS1_3repE0EEENS1_30default_config_static_selectorELNS0_4arch9wavefront6targetE1EEEvT1_, .Lfunc_end4480-_ZN7rocprim17ROCPRIM_400000_NS6detail17trampoline_kernelINS0_14default_configENS1_20scan_config_selectorIyEEZZNS1_9scan_implILNS1_25lookback_scan_determinismE0ELb0ELb0ES3_N6thrust23THRUST_200600_302600_NS6detail15normal_iteratorINS9_10device_ptrIyEEEESE_yNS9_4plusIvEEyEEDaPvRmT3_T4_T5_mT6_P12ihipStream_tbENKUlT_T0_E_clISt17integral_constantIbLb1EEST_IbLb0EEEEDaSP_SQ_EUlSP_E0_NS1_11comp_targetILNS1_3genE10ELNS1_11target_archE1201ELNS1_3gpuE5ELNS1_3repE0EEENS1_30default_config_static_selectorELNS0_4arch9wavefront6targetE1EEEvT1_
                                        ; -- End function
	.section	.AMDGPU.csdata,"",@progbits
; Kernel info:
; codeLenInByte = 0
; NumSgprs: 4
; NumVgprs: 0
; NumAgprs: 0
; TotalNumVgprs: 0
; ScratchSize: 0
; MemoryBound: 0
; FloatMode: 240
; IeeeMode: 1
; LDSByteSize: 0 bytes/workgroup (compile time only)
; SGPRBlocks: 0
; VGPRBlocks: 0
; NumSGPRsForWavesPerEU: 4
; NumVGPRsForWavesPerEU: 1
; AccumOffset: 4
; Occupancy: 8
; WaveLimiterHint : 0
; COMPUTE_PGM_RSRC2:SCRATCH_EN: 0
; COMPUTE_PGM_RSRC2:USER_SGPR: 6
; COMPUTE_PGM_RSRC2:TRAP_HANDLER: 0
; COMPUTE_PGM_RSRC2:TGID_X_EN: 1
; COMPUTE_PGM_RSRC2:TGID_Y_EN: 0
; COMPUTE_PGM_RSRC2:TGID_Z_EN: 0
; COMPUTE_PGM_RSRC2:TIDIG_COMP_CNT: 0
; COMPUTE_PGM_RSRC3_GFX90A:ACCUM_OFFSET: 0
; COMPUTE_PGM_RSRC3_GFX90A:TG_SPLIT: 0
	.section	.text._ZN7rocprim17ROCPRIM_400000_NS6detail17trampoline_kernelINS0_14default_configENS1_20scan_config_selectorIyEEZZNS1_9scan_implILNS1_25lookback_scan_determinismE0ELb0ELb0ES3_N6thrust23THRUST_200600_302600_NS6detail15normal_iteratorINS9_10device_ptrIyEEEESE_yNS9_4plusIvEEyEEDaPvRmT3_T4_T5_mT6_P12ihipStream_tbENKUlT_T0_E_clISt17integral_constantIbLb1EEST_IbLb0EEEEDaSP_SQ_EUlSP_E0_NS1_11comp_targetILNS1_3genE10ELNS1_11target_archE1200ELNS1_3gpuE4ELNS1_3repE0EEENS1_30default_config_static_selectorELNS0_4arch9wavefront6targetE1EEEvT1_,"axG",@progbits,_ZN7rocprim17ROCPRIM_400000_NS6detail17trampoline_kernelINS0_14default_configENS1_20scan_config_selectorIyEEZZNS1_9scan_implILNS1_25lookback_scan_determinismE0ELb0ELb0ES3_N6thrust23THRUST_200600_302600_NS6detail15normal_iteratorINS9_10device_ptrIyEEEESE_yNS9_4plusIvEEyEEDaPvRmT3_T4_T5_mT6_P12ihipStream_tbENKUlT_T0_E_clISt17integral_constantIbLb1EEST_IbLb0EEEEDaSP_SQ_EUlSP_E0_NS1_11comp_targetILNS1_3genE10ELNS1_11target_archE1200ELNS1_3gpuE4ELNS1_3repE0EEENS1_30default_config_static_selectorELNS0_4arch9wavefront6targetE1EEEvT1_,comdat
	.protected	_ZN7rocprim17ROCPRIM_400000_NS6detail17trampoline_kernelINS0_14default_configENS1_20scan_config_selectorIyEEZZNS1_9scan_implILNS1_25lookback_scan_determinismE0ELb0ELb0ES3_N6thrust23THRUST_200600_302600_NS6detail15normal_iteratorINS9_10device_ptrIyEEEESE_yNS9_4plusIvEEyEEDaPvRmT3_T4_T5_mT6_P12ihipStream_tbENKUlT_T0_E_clISt17integral_constantIbLb1EEST_IbLb0EEEEDaSP_SQ_EUlSP_E0_NS1_11comp_targetILNS1_3genE10ELNS1_11target_archE1200ELNS1_3gpuE4ELNS1_3repE0EEENS1_30default_config_static_selectorELNS0_4arch9wavefront6targetE1EEEvT1_ ; -- Begin function _ZN7rocprim17ROCPRIM_400000_NS6detail17trampoline_kernelINS0_14default_configENS1_20scan_config_selectorIyEEZZNS1_9scan_implILNS1_25lookback_scan_determinismE0ELb0ELb0ES3_N6thrust23THRUST_200600_302600_NS6detail15normal_iteratorINS9_10device_ptrIyEEEESE_yNS9_4plusIvEEyEEDaPvRmT3_T4_T5_mT6_P12ihipStream_tbENKUlT_T0_E_clISt17integral_constantIbLb1EEST_IbLb0EEEEDaSP_SQ_EUlSP_E0_NS1_11comp_targetILNS1_3genE10ELNS1_11target_archE1200ELNS1_3gpuE4ELNS1_3repE0EEENS1_30default_config_static_selectorELNS0_4arch9wavefront6targetE1EEEvT1_
	.globl	_ZN7rocprim17ROCPRIM_400000_NS6detail17trampoline_kernelINS0_14default_configENS1_20scan_config_selectorIyEEZZNS1_9scan_implILNS1_25lookback_scan_determinismE0ELb0ELb0ES3_N6thrust23THRUST_200600_302600_NS6detail15normal_iteratorINS9_10device_ptrIyEEEESE_yNS9_4plusIvEEyEEDaPvRmT3_T4_T5_mT6_P12ihipStream_tbENKUlT_T0_E_clISt17integral_constantIbLb1EEST_IbLb0EEEEDaSP_SQ_EUlSP_E0_NS1_11comp_targetILNS1_3genE10ELNS1_11target_archE1200ELNS1_3gpuE4ELNS1_3repE0EEENS1_30default_config_static_selectorELNS0_4arch9wavefront6targetE1EEEvT1_
	.p2align	8
	.type	_ZN7rocprim17ROCPRIM_400000_NS6detail17trampoline_kernelINS0_14default_configENS1_20scan_config_selectorIyEEZZNS1_9scan_implILNS1_25lookback_scan_determinismE0ELb0ELb0ES3_N6thrust23THRUST_200600_302600_NS6detail15normal_iteratorINS9_10device_ptrIyEEEESE_yNS9_4plusIvEEyEEDaPvRmT3_T4_T5_mT6_P12ihipStream_tbENKUlT_T0_E_clISt17integral_constantIbLb1EEST_IbLb0EEEEDaSP_SQ_EUlSP_E0_NS1_11comp_targetILNS1_3genE10ELNS1_11target_archE1200ELNS1_3gpuE4ELNS1_3repE0EEENS1_30default_config_static_selectorELNS0_4arch9wavefront6targetE1EEEvT1_,@function
_ZN7rocprim17ROCPRIM_400000_NS6detail17trampoline_kernelINS0_14default_configENS1_20scan_config_selectorIyEEZZNS1_9scan_implILNS1_25lookback_scan_determinismE0ELb0ELb0ES3_N6thrust23THRUST_200600_302600_NS6detail15normal_iteratorINS9_10device_ptrIyEEEESE_yNS9_4plusIvEEyEEDaPvRmT3_T4_T5_mT6_P12ihipStream_tbENKUlT_T0_E_clISt17integral_constantIbLb1EEST_IbLb0EEEEDaSP_SQ_EUlSP_E0_NS1_11comp_targetILNS1_3genE10ELNS1_11target_archE1200ELNS1_3gpuE4ELNS1_3repE0EEENS1_30default_config_static_selectorELNS0_4arch9wavefront6targetE1EEEvT1_: ; @_ZN7rocprim17ROCPRIM_400000_NS6detail17trampoline_kernelINS0_14default_configENS1_20scan_config_selectorIyEEZZNS1_9scan_implILNS1_25lookback_scan_determinismE0ELb0ELb0ES3_N6thrust23THRUST_200600_302600_NS6detail15normal_iteratorINS9_10device_ptrIyEEEESE_yNS9_4plusIvEEyEEDaPvRmT3_T4_T5_mT6_P12ihipStream_tbENKUlT_T0_E_clISt17integral_constantIbLb1EEST_IbLb0EEEEDaSP_SQ_EUlSP_E0_NS1_11comp_targetILNS1_3genE10ELNS1_11target_archE1200ELNS1_3gpuE4ELNS1_3repE0EEENS1_30default_config_static_selectorELNS0_4arch9wavefront6targetE1EEEvT1_
; %bb.0:
	.section	.rodata,"a",@progbits
	.p2align	6, 0x0
	.amdhsa_kernel _ZN7rocprim17ROCPRIM_400000_NS6detail17trampoline_kernelINS0_14default_configENS1_20scan_config_selectorIyEEZZNS1_9scan_implILNS1_25lookback_scan_determinismE0ELb0ELb0ES3_N6thrust23THRUST_200600_302600_NS6detail15normal_iteratorINS9_10device_ptrIyEEEESE_yNS9_4plusIvEEyEEDaPvRmT3_T4_T5_mT6_P12ihipStream_tbENKUlT_T0_E_clISt17integral_constantIbLb1EEST_IbLb0EEEEDaSP_SQ_EUlSP_E0_NS1_11comp_targetILNS1_3genE10ELNS1_11target_archE1200ELNS1_3gpuE4ELNS1_3repE0EEENS1_30default_config_static_selectorELNS0_4arch9wavefront6targetE1EEEvT1_
		.amdhsa_group_segment_fixed_size 0
		.amdhsa_private_segment_fixed_size 0
		.amdhsa_kernarg_size 40
		.amdhsa_user_sgpr_count 6
		.amdhsa_user_sgpr_private_segment_buffer 1
		.amdhsa_user_sgpr_dispatch_ptr 0
		.amdhsa_user_sgpr_queue_ptr 0
		.amdhsa_user_sgpr_kernarg_segment_ptr 1
		.amdhsa_user_sgpr_dispatch_id 0
		.amdhsa_user_sgpr_flat_scratch_init 0
		.amdhsa_user_sgpr_kernarg_preload_length 0
		.amdhsa_user_sgpr_kernarg_preload_offset 0
		.amdhsa_user_sgpr_private_segment_size 0
		.amdhsa_uses_dynamic_stack 0
		.amdhsa_system_sgpr_private_segment_wavefront_offset 0
		.amdhsa_system_sgpr_workgroup_id_x 1
		.amdhsa_system_sgpr_workgroup_id_y 0
		.amdhsa_system_sgpr_workgroup_id_z 0
		.amdhsa_system_sgpr_workgroup_info 0
		.amdhsa_system_vgpr_workitem_id 0
		.amdhsa_next_free_vgpr 1
		.amdhsa_next_free_sgpr 0
		.amdhsa_accum_offset 4
		.amdhsa_reserve_vcc 0
		.amdhsa_reserve_flat_scratch 0
		.amdhsa_float_round_mode_32 0
		.amdhsa_float_round_mode_16_64 0
		.amdhsa_float_denorm_mode_32 3
		.amdhsa_float_denorm_mode_16_64 3
		.amdhsa_dx10_clamp 1
		.amdhsa_ieee_mode 1
		.amdhsa_fp16_overflow 0
		.amdhsa_tg_split 0
		.amdhsa_exception_fp_ieee_invalid_op 0
		.amdhsa_exception_fp_denorm_src 0
		.amdhsa_exception_fp_ieee_div_zero 0
		.amdhsa_exception_fp_ieee_overflow 0
		.amdhsa_exception_fp_ieee_underflow 0
		.amdhsa_exception_fp_ieee_inexact 0
		.amdhsa_exception_int_div_zero 0
	.end_amdhsa_kernel
	.section	.text._ZN7rocprim17ROCPRIM_400000_NS6detail17trampoline_kernelINS0_14default_configENS1_20scan_config_selectorIyEEZZNS1_9scan_implILNS1_25lookback_scan_determinismE0ELb0ELb0ES3_N6thrust23THRUST_200600_302600_NS6detail15normal_iteratorINS9_10device_ptrIyEEEESE_yNS9_4plusIvEEyEEDaPvRmT3_T4_T5_mT6_P12ihipStream_tbENKUlT_T0_E_clISt17integral_constantIbLb1EEST_IbLb0EEEEDaSP_SQ_EUlSP_E0_NS1_11comp_targetILNS1_3genE10ELNS1_11target_archE1200ELNS1_3gpuE4ELNS1_3repE0EEENS1_30default_config_static_selectorELNS0_4arch9wavefront6targetE1EEEvT1_,"axG",@progbits,_ZN7rocprim17ROCPRIM_400000_NS6detail17trampoline_kernelINS0_14default_configENS1_20scan_config_selectorIyEEZZNS1_9scan_implILNS1_25lookback_scan_determinismE0ELb0ELb0ES3_N6thrust23THRUST_200600_302600_NS6detail15normal_iteratorINS9_10device_ptrIyEEEESE_yNS9_4plusIvEEyEEDaPvRmT3_T4_T5_mT6_P12ihipStream_tbENKUlT_T0_E_clISt17integral_constantIbLb1EEST_IbLb0EEEEDaSP_SQ_EUlSP_E0_NS1_11comp_targetILNS1_3genE10ELNS1_11target_archE1200ELNS1_3gpuE4ELNS1_3repE0EEENS1_30default_config_static_selectorELNS0_4arch9wavefront6targetE1EEEvT1_,comdat
.Lfunc_end4481:
	.size	_ZN7rocprim17ROCPRIM_400000_NS6detail17trampoline_kernelINS0_14default_configENS1_20scan_config_selectorIyEEZZNS1_9scan_implILNS1_25lookback_scan_determinismE0ELb0ELb0ES3_N6thrust23THRUST_200600_302600_NS6detail15normal_iteratorINS9_10device_ptrIyEEEESE_yNS9_4plusIvEEyEEDaPvRmT3_T4_T5_mT6_P12ihipStream_tbENKUlT_T0_E_clISt17integral_constantIbLb1EEST_IbLb0EEEEDaSP_SQ_EUlSP_E0_NS1_11comp_targetILNS1_3genE10ELNS1_11target_archE1200ELNS1_3gpuE4ELNS1_3repE0EEENS1_30default_config_static_selectorELNS0_4arch9wavefront6targetE1EEEvT1_, .Lfunc_end4481-_ZN7rocprim17ROCPRIM_400000_NS6detail17trampoline_kernelINS0_14default_configENS1_20scan_config_selectorIyEEZZNS1_9scan_implILNS1_25lookback_scan_determinismE0ELb0ELb0ES3_N6thrust23THRUST_200600_302600_NS6detail15normal_iteratorINS9_10device_ptrIyEEEESE_yNS9_4plusIvEEyEEDaPvRmT3_T4_T5_mT6_P12ihipStream_tbENKUlT_T0_E_clISt17integral_constantIbLb1EEST_IbLb0EEEEDaSP_SQ_EUlSP_E0_NS1_11comp_targetILNS1_3genE10ELNS1_11target_archE1200ELNS1_3gpuE4ELNS1_3repE0EEENS1_30default_config_static_selectorELNS0_4arch9wavefront6targetE1EEEvT1_
                                        ; -- End function
	.section	.AMDGPU.csdata,"",@progbits
; Kernel info:
; codeLenInByte = 0
; NumSgprs: 4
; NumVgprs: 0
; NumAgprs: 0
; TotalNumVgprs: 0
; ScratchSize: 0
; MemoryBound: 0
; FloatMode: 240
; IeeeMode: 1
; LDSByteSize: 0 bytes/workgroup (compile time only)
; SGPRBlocks: 0
; VGPRBlocks: 0
; NumSGPRsForWavesPerEU: 4
; NumVGPRsForWavesPerEU: 1
; AccumOffset: 4
; Occupancy: 8
; WaveLimiterHint : 0
; COMPUTE_PGM_RSRC2:SCRATCH_EN: 0
; COMPUTE_PGM_RSRC2:USER_SGPR: 6
; COMPUTE_PGM_RSRC2:TRAP_HANDLER: 0
; COMPUTE_PGM_RSRC2:TGID_X_EN: 1
; COMPUTE_PGM_RSRC2:TGID_Y_EN: 0
; COMPUTE_PGM_RSRC2:TGID_Z_EN: 0
; COMPUTE_PGM_RSRC2:TIDIG_COMP_CNT: 0
; COMPUTE_PGM_RSRC3_GFX90A:ACCUM_OFFSET: 0
; COMPUTE_PGM_RSRC3_GFX90A:TG_SPLIT: 0
	.section	.text._ZN7rocprim17ROCPRIM_400000_NS6detail17trampoline_kernelINS0_14default_configENS1_20scan_config_selectorIyEEZZNS1_9scan_implILNS1_25lookback_scan_determinismE0ELb0ELb0ES3_N6thrust23THRUST_200600_302600_NS6detail15normal_iteratorINS9_10device_ptrIyEEEESE_yNS9_4plusIvEEyEEDaPvRmT3_T4_T5_mT6_P12ihipStream_tbENKUlT_T0_E_clISt17integral_constantIbLb1EEST_IbLb0EEEEDaSP_SQ_EUlSP_E0_NS1_11comp_targetILNS1_3genE9ELNS1_11target_archE1100ELNS1_3gpuE3ELNS1_3repE0EEENS1_30default_config_static_selectorELNS0_4arch9wavefront6targetE1EEEvT1_,"axG",@progbits,_ZN7rocprim17ROCPRIM_400000_NS6detail17trampoline_kernelINS0_14default_configENS1_20scan_config_selectorIyEEZZNS1_9scan_implILNS1_25lookback_scan_determinismE0ELb0ELb0ES3_N6thrust23THRUST_200600_302600_NS6detail15normal_iteratorINS9_10device_ptrIyEEEESE_yNS9_4plusIvEEyEEDaPvRmT3_T4_T5_mT6_P12ihipStream_tbENKUlT_T0_E_clISt17integral_constantIbLb1EEST_IbLb0EEEEDaSP_SQ_EUlSP_E0_NS1_11comp_targetILNS1_3genE9ELNS1_11target_archE1100ELNS1_3gpuE3ELNS1_3repE0EEENS1_30default_config_static_selectorELNS0_4arch9wavefront6targetE1EEEvT1_,comdat
	.protected	_ZN7rocprim17ROCPRIM_400000_NS6detail17trampoline_kernelINS0_14default_configENS1_20scan_config_selectorIyEEZZNS1_9scan_implILNS1_25lookback_scan_determinismE0ELb0ELb0ES3_N6thrust23THRUST_200600_302600_NS6detail15normal_iteratorINS9_10device_ptrIyEEEESE_yNS9_4plusIvEEyEEDaPvRmT3_T4_T5_mT6_P12ihipStream_tbENKUlT_T0_E_clISt17integral_constantIbLb1EEST_IbLb0EEEEDaSP_SQ_EUlSP_E0_NS1_11comp_targetILNS1_3genE9ELNS1_11target_archE1100ELNS1_3gpuE3ELNS1_3repE0EEENS1_30default_config_static_selectorELNS0_4arch9wavefront6targetE1EEEvT1_ ; -- Begin function _ZN7rocprim17ROCPRIM_400000_NS6detail17trampoline_kernelINS0_14default_configENS1_20scan_config_selectorIyEEZZNS1_9scan_implILNS1_25lookback_scan_determinismE0ELb0ELb0ES3_N6thrust23THRUST_200600_302600_NS6detail15normal_iteratorINS9_10device_ptrIyEEEESE_yNS9_4plusIvEEyEEDaPvRmT3_T4_T5_mT6_P12ihipStream_tbENKUlT_T0_E_clISt17integral_constantIbLb1EEST_IbLb0EEEEDaSP_SQ_EUlSP_E0_NS1_11comp_targetILNS1_3genE9ELNS1_11target_archE1100ELNS1_3gpuE3ELNS1_3repE0EEENS1_30default_config_static_selectorELNS0_4arch9wavefront6targetE1EEEvT1_
	.globl	_ZN7rocprim17ROCPRIM_400000_NS6detail17trampoline_kernelINS0_14default_configENS1_20scan_config_selectorIyEEZZNS1_9scan_implILNS1_25lookback_scan_determinismE0ELb0ELb0ES3_N6thrust23THRUST_200600_302600_NS6detail15normal_iteratorINS9_10device_ptrIyEEEESE_yNS9_4plusIvEEyEEDaPvRmT3_T4_T5_mT6_P12ihipStream_tbENKUlT_T0_E_clISt17integral_constantIbLb1EEST_IbLb0EEEEDaSP_SQ_EUlSP_E0_NS1_11comp_targetILNS1_3genE9ELNS1_11target_archE1100ELNS1_3gpuE3ELNS1_3repE0EEENS1_30default_config_static_selectorELNS0_4arch9wavefront6targetE1EEEvT1_
	.p2align	8
	.type	_ZN7rocprim17ROCPRIM_400000_NS6detail17trampoline_kernelINS0_14default_configENS1_20scan_config_selectorIyEEZZNS1_9scan_implILNS1_25lookback_scan_determinismE0ELb0ELb0ES3_N6thrust23THRUST_200600_302600_NS6detail15normal_iteratorINS9_10device_ptrIyEEEESE_yNS9_4plusIvEEyEEDaPvRmT3_T4_T5_mT6_P12ihipStream_tbENKUlT_T0_E_clISt17integral_constantIbLb1EEST_IbLb0EEEEDaSP_SQ_EUlSP_E0_NS1_11comp_targetILNS1_3genE9ELNS1_11target_archE1100ELNS1_3gpuE3ELNS1_3repE0EEENS1_30default_config_static_selectorELNS0_4arch9wavefront6targetE1EEEvT1_,@function
_ZN7rocprim17ROCPRIM_400000_NS6detail17trampoline_kernelINS0_14default_configENS1_20scan_config_selectorIyEEZZNS1_9scan_implILNS1_25lookback_scan_determinismE0ELb0ELb0ES3_N6thrust23THRUST_200600_302600_NS6detail15normal_iteratorINS9_10device_ptrIyEEEESE_yNS9_4plusIvEEyEEDaPvRmT3_T4_T5_mT6_P12ihipStream_tbENKUlT_T0_E_clISt17integral_constantIbLb1EEST_IbLb0EEEEDaSP_SQ_EUlSP_E0_NS1_11comp_targetILNS1_3genE9ELNS1_11target_archE1100ELNS1_3gpuE3ELNS1_3repE0EEENS1_30default_config_static_selectorELNS0_4arch9wavefront6targetE1EEEvT1_: ; @_ZN7rocprim17ROCPRIM_400000_NS6detail17trampoline_kernelINS0_14default_configENS1_20scan_config_selectorIyEEZZNS1_9scan_implILNS1_25lookback_scan_determinismE0ELb0ELb0ES3_N6thrust23THRUST_200600_302600_NS6detail15normal_iteratorINS9_10device_ptrIyEEEESE_yNS9_4plusIvEEyEEDaPvRmT3_T4_T5_mT6_P12ihipStream_tbENKUlT_T0_E_clISt17integral_constantIbLb1EEST_IbLb0EEEEDaSP_SQ_EUlSP_E0_NS1_11comp_targetILNS1_3genE9ELNS1_11target_archE1100ELNS1_3gpuE3ELNS1_3repE0EEENS1_30default_config_static_selectorELNS0_4arch9wavefront6targetE1EEEvT1_
; %bb.0:
	.section	.rodata,"a",@progbits
	.p2align	6, 0x0
	.amdhsa_kernel _ZN7rocprim17ROCPRIM_400000_NS6detail17trampoline_kernelINS0_14default_configENS1_20scan_config_selectorIyEEZZNS1_9scan_implILNS1_25lookback_scan_determinismE0ELb0ELb0ES3_N6thrust23THRUST_200600_302600_NS6detail15normal_iteratorINS9_10device_ptrIyEEEESE_yNS9_4plusIvEEyEEDaPvRmT3_T4_T5_mT6_P12ihipStream_tbENKUlT_T0_E_clISt17integral_constantIbLb1EEST_IbLb0EEEEDaSP_SQ_EUlSP_E0_NS1_11comp_targetILNS1_3genE9ELNS1_11target_archE1100ELNS1_3gpuE3ELNS1_3repE0EEENS1_30default_config_static_selectorELNS0_4arch9wavefront6targetE1EEEvT1_
		.amdhsa_group_segment_fixed_size 0
		.amdhsa_private_segment_fixed_size 0
		.amdhsa_kernarg_size 40
		.amdhsa_user_sgpr_count 6
		.amdhsa_user_sgpr_private_segment_buffer 1
		.amdhsa_user_sgpr_dispatch_ptr 0
		.amdhsa_user_sgpr_queue_ptr 0
		.amdhsa_user_sgpr_kernarg_segment_ptr 1
		.amdhsa_user_sgpr_dispatch_id 0
		.amdhsa_user_sgpr_flat_scratch_init 0
		.amdhsa_user_sgpr_kernarg_preload_length 0
		.amdhsa_user_sgpr_kernarg_preload_offset 0
		.amdhsa_user_sgpr_private_segment_size 0
		.amdhsa_uses_dynamic_stack 0
		.amdhsa_system_sgpr_private_segment_wavefront_offset 0
		.amdhsa_system_sgpr_workgroup_id_x 1
		.amdhsa_system_sgpr_workgroup_id_y 0
		.amdhsa_system_sgpr_workgroup_id_z 0
		.amdhsa_system_sgpr_workgroup_info 0
		.amdhsa_system_vgpr_workitem_id 0
		.amdhsa_next_free_vgpr 1
		.amdhsa_next_free_sgpr 0
		.amdhsa_accum_offset 4
		.amdhsa_reserve_vcc 0
		.amdhsa_reserve_flat_scratch 0
		.amdhsa_float_round_mode_32 0
		.amdhsa_float_round_mode_16_64 0
		.amdhsa_float_denorm_mode_32 3
		.amdhsa_float_denorm_mode_16_64 3
		.amdhsa_dx10_clamp 1
		.amdhsa_ieee_mode 1
		.amdhsa_fp16_overflow 0
		.amdhsa_tg_split 0
		.amdhsa_exception_fp_ieee_invalid_op 0
		.amdhsa_exception_fp_denorm_src 0
		.amdhsa_exception_fp_ieee_div_zero 0
		.amdhsa_exception_fp_ieee_overflow 0
		.amdhsa_exception_fp_ieee_underflow 0
		.amdhsa_exception_fp_ieee_inexact 0
		.amdhsa_exception_int_div_zero 0
	.end_amdhsa_kernel
	.section	.text._ZN7rocprim17ROCPRIM_400000_NS6detail17trampoline_kernelINS0_14default_configENS1_20scan_config_selectorIyEEZZNS1_9scan_implILNS1_25lookback_scan_determinismE0ELb0ELb0ES3_N6thrust23THRUST_200600_302600_NS6detail15normal_iteratorINS9_10device_ptrIyEEEESE_yNS9_4plusIvEEyEEDaPvRmT3_T4_T5_mT6_P12ihipStream_tbENKUlT_T0_E_clISt17integral_constantIbLb1EEST_IbLb0EEEEDaSP_SQ_EUlSP_E0_NS1_11comp_targetILNS1_3genE9ELNS1_11target_archE1100ELNS1_3gpuE3ELNS1_3repE0EEENS1_30default_config_static_selectorELNS0_4arch9wavefront6targetE1EEEvT1_,"axG",@progbits,_ZN7rocprim17ROCPRIM_400000_NS6detail17trampoline_kernelINS0_14default_configENS1_20scan_config_selectorIyEEZZNS1_9scan_implILNS1_25lookback_scan_determinismE0ELb0ELb0ES3_N6thrust23THRUST_200600_302600_NS6detail15normal_iteratorINS9_10device_ptrIyEEEESE_yNS9_4plusIvEEyEEDaPvRmT3_T4_T5_mT6_P12ihipStream_tbENKUlT_T0_E_clISt17integral_constantIbLb1EEST_IbLb0EEEEDaSP_SQ_EUlSP_E0_NS1_11comp_targetILNS1_3genE9ELNS1_11target_archE1100ELNS1_3gpuE3ELNS1_3repE0EEENS1_30default_config_static_selectorELNS0_4arch9wavefront6targetE1EEEvT1_,comdat
.Lfunc_end4482:
	.size	_ZN7rocprim17ROCPRIM_400000_NS6detail17trampoline_kernelINS0_14default_configENS1_20scan_config_selectorIyEEZZNS1_9scan_implILNS1_25lookback_scan_determinismE0ELb0ELb0ES3_N6thrust23THRUST_200600_302600_NS6detail15normal_iteratorINS9_10device_ptrIyEEEESE_yNS9_4plusIvEEyEEDaPvRmT3_T4_T5_mT6_P12ihipStream_tbENKUlT_T0_E_clISt17integral_constantIbLb1EEST_IbLb0EEEEDaSP_SQ_EUlSP_E0_NS1_11comp_targetILNS1_3genE9ELNS1_11target_archE1100ELNS1_3gpuE3ELNS1_3repE0EEENS1_30default_config_static_selectorELNS0_4arch9wavefront6targetE1EEEvT1_, .Lfunc_end4482-_ZN7rocprim17ROCPRIM_400000_NS6detail17trampoline_kernelINS0_14default_configENS1_20scan_config_selectorIyEEZZNS1_9scan_implILNS1_25lookback_scan_determinismE0ELb0ELb0ES3_N6thrust23THRUST_200600_302600_NS6detail15normal_iteratorINS9_10device_ptrIyEEEESE_yNS9_4plusIvEEyEEDaPvRmT3_T4_T5_mT6_P12ihipStream_tbENKUlT_T0_E_clISt17integral_constantIbLb1EEST_IbLb0EEEEDaSP_SQ_EUlSP_E0_NS1_11comp_targetILNS1_3genE9ELNS1_11target_archE1100ELNS1_3gpuE3ELNS1_3repE0EEENS1_30default_config_static_selectorELNS0_4arch9wavefront6targetE1EEEvT1_
                                        ; -- End function
	.section	.AMDGPU.csdata,"",@progbits
; Kernel info:
; codeLenInByte = 0
; NumSgprs: 4
; NumVgprs: 0
; NumAgprs: 0
; TotalNumVgprs: 0
; ScratchSize: 0
; MemoryBound: 0
; FloatMode: 240
; IeeeMode: 1
; LDSByteSize: 0 bytes/workgroup (compile time only)
; SGPRBlocks: 0
; VGPRBlocks: 0
; NumSGPRsForWavesPerEU: 4
; NumVGPRsForWavesPerEU: 1
; AccumOffset: 4
; Occupancy: 8
; WaveLimiterHint : 0
; COMPUTE_PGM_RSRC2:SCRATCH_EN: 0
; COMPUTE_PGM_RSRC2:USER_SGPR: 6
; COMPUTE_PGM_RSRC2:TRAP_HANDLER: 0
; COMPUTE_PGM_RSRC2:TGID_X_EN: 1
; COMPUTE_PGM_RSRC2:TGID_Y_EN: 0
; COMPUTE_PGM_RSRC2:TGID_Z_EN: 0
; COMPUTE_PGM_RSRC2:TIDIG_COMP_CNT: 0
; COMPUTE_PGM_RSRC3_GFX90A:ACCUM_OFFSET: 0
; COMPUTE_PGM_RSRC3_GFX90A:TG_SPLIT: 0
	.section	.text._ZN7rocprim17ROCPRIM_400000_NS6detail17trampoline_kernelINS0_14default_configENS1_20scan_config_selectorIyEEZZNS1_9scan_implILNS1_25lookback_scan_determinismE0ELb0ELb0ES3_N6thrust23THRUST_200600_302600_NS6detail15normal_iteratorINS9_10device_ptrIyEEEESE_yNS9_4plusIvEEyEEDaPvRmT3_T4_T5_mT6_P12ihipStream_tbENKUlT_T0_E_clISt17integral_constantIbLb1EEST_IbLb0EEEEDaSP_SQ_EUlSP_E0_NS1_11comp_targetILNS1_3genE8ELNS1_11target_archE1030ELNS1_3gpuE2ELNS1_3repE0EEENS1_30default_config_static_selectorELNS0_4arch9wavefront6targetE1EEEvT1_,"axG",@progbits,_ZN7rocprim17ROCPRIM_400000_NS6detail17trampoline_kernelINS0_14default_configENS1_20scan_config_selectorIyEEZZNS1_9scan_implILNS1_25lookback_scan_determinismE0ELb0ELb0ES3_N6thrust23THRUST_200600_302600_NS6detail15normal_iteratorINS9_10device_ptrIyEEEESE_yNS9_4plusIvEEyEEDaPvRmT3_T4_T5_mT6_P12ihipStream_tbENKUlT_T0_E_clISt17integral_constantIbLb1EEST_IbLb0EEEEDaSP_SQ_EUlSP_E0_NS1_11comp_targetILNS1_3genE8ELNS1_11target_archE1030ELNS1_3gpuE2ELNS1_3repE0EEENS1_30default_config_static_selectorELNS0_4arch9wavefront6targetE1EEEvT1_,comdat
	.protected	_ZN7rocprim17ROCPRIM_400000_NS6detail17trampoline_kernelINS0_14default_configENS1_20scan_config_selectorIyEEZZNS1_9scan_implILNS1_25lookback_scan_determinismE0ELb0ELb0ES3_N6thrust23THRUST_200600_302600_NS6detail15normal_iteratorINS9_10device_ptrIyEEEESE_yNS9_4plusIvEEyEEDaPvRmT3_T4_T5_mT6_P12ihipStream_tbENKUlT_T0_E_clISt17integral_constantIbLb1EEST_IbLb0EEEEDaSP_SQ_EUlSP_E0_NS1_11comp_targetILNS1_3genE8ELNS1_11target_archE1030ELNS1_3gpuE2ELNS1_3repE0EEENS1_30default_config_static_selectorELNS0_4arch9wavefront6targetE1EEEvT1_ ; -- Begin function _ZN7rocprim17ROCPRIM_400000_NS6detail17trampoline_kernelINS0_14default_configENS1_20scan_config_selectorIyEEZZNS1_9scan_implILNS1_25lookback_scan_determinismE0ELb0ELb0ES3_N6thrust23THRUST_200600_302600_NS6detail15normal_iteratorINS9_10device_ptrIyEEEESE_yNS9_4plusIvEEyEEDaPvRmT3_T4_T5_mT6_P12ihipStream_tbENKUlT_T0_E_clISt17integral_constantIbLb1EEST_IbLb0EEEEDaSP_SQ_EUlSP_E0_NS1_11comp_targetILNS1_3genE8ELNS1_11target_archE1030ELNS1_3gpuE2ELNS1_3repE0EEENS1_30default_config_static_selectorELNS0_4arch9wavefront6targetE1EEEvT1_
	.globl	_ZN7rocprim17ROCPRIM_400000_NS6detail17trampoline_kernelINS0_14default_configENS1_20scan_config_selectorIyEEZZNS1_9scan_implILNS1_25lookback_scan_determinismE0ELb0ELb0ES3_N6thrust23THRUST_200600_302600_NS6detail15normal_iteratorINS9_10device_ptrIyEEEESE_yNS9_4plusIvEEyEEDaPvRmT3_T4_T5_mT6_P12ihipStream_tbENKUlT_T0_E_clISt17integral_constantIbLb1EEST_IbLb0EEEEDaSP_SQ_EUlSP_E0_NS1_11comp_targetILNS1_3genE8ELNS1_11target_archE1030ELNS1_3gpuE2ELNS1_3repE0EEENS1_30default_config_static_selectorELNS0_4arch9wavefront6targetE1EEEvT1_
	.p2align	8
	.type	_ZN7rocprim17ROCPRIM_400000_NS6detail17trampoline_kernelINS0_14default_configENS1_20scan_config_selectorIyEEZZNS1_9scan_implILNS1_25lookback_scan_determinismE0ELb0ELb0ES3_N6thrust23THRUST_200600_302600_NS6detail15normal_iteratorINS9_10device_ptrIyEEEESE_yNS9_4plusIvEEyEEDaPvRmT3_T4_T5_mT6_P12ihipStream_tbENKUlT_T0_E_clISt17integral_constantIbLb1EEST_IbLb0EEEEDaSP_SQ_EUlSP_E0_NS1_11comp_targetILNS1_3genE8ELNS1_11target_archE1030ELNS1_3gpuE2ELNS1_3repE0EEENS1_30default_config_static_selectorELNS0_4arch9wavefront6targetE1EEEvT1_,@function
_ZN7rocprim17ROCPRIM_400000_NS6detail17trampoline_kernelINS0_14default_configENS1_20scan_config_selectorIyEEZZNS1_9scan_implILNS1_25lookback_scan_determinismE0ELb0ELb0ES3_N6thrust23THRUST_200600_302600_NS6detail15normal_iteratorINS9_10device_ptrIyEEEESE_yNS9_4plusIvEEyEEDaPvRmT3_T4_T5_mT6_P12ihipStream_tbENKUlT_T0_E_clISt17integral_constantIbLb1EEST_IbLb0EEEEDaSP_SQ_EUlSP_E0_NS1_11comp_targetILNS1_3genE8ELNS1_11target_archE1030ELNS1_3gpuE2ELNS1_3repE0EEENS1_30default_config_static_selectorELNS0_4arch9wavefront6targetE1EEEvT1_: ; @_ZN7rocprim17ROCPRIM_400000_NS6detail17trampoline_kernelINS0_14default_configENS1_20scan_config_selectorIyEEZZNS1_9scan_implILNS1_25lookback_scan_determinismE0ELb0ELb0ES3_N6thrust23THRUST_200600_302600_NS6detail15normal_iteratorINS9_10device_ptrIyEEEESE_yNS9_4plusIvEEyEEDaPvRmT3_T4_T5_mT6_P12ihipStream_tbENKUlT_T0_E_clISt17integral_constantIbLb1EEST_IbLb0EEEEDaSP_SQ_EUlSP_E0_NS1_11comp_targetILNS1_3genE8ELNS1_11target_archE1030ELNS1_3gpuE2ELNS1_3repE0EEENS1_30default_config_static_selectorELNS0_4arch9wavefront6targetE1EEEvT1_
; %bb.0:
	.section	.rodata,"a",@progbits
	.p2align	6, 0x0
	.amdhsa_kernel _ZN7rocprim17ROCPRIM_400000_NS6detail17trampoline_kernelINS0_14default_configENS1_20scan_config_selectorIyEEZZNS1_9scan_implILNS1_25lookback_scan_determinismE0ELb0ELb0ES3_N6thrust23THRUST_200600_302600_NS6detail15normal_iteratorINS9_10device_ptrIyEEEESE_yNS9_4plusIvEEyEEDaPvRmT3_T4_T5_mT6_P12ihipStream_tbENKUlT_T0_E_clISt17integral_constantIbLb1EEST_IbLb0EEEEDaSP_SQ_EUlSP_E0_NS1_11comp_targetILNS1_3genE8ELNS1_11target_archE1030ELNS1_3gpuE2ELNS1_3repE0EEENS1_30default_config_static_selectorELNS0_4arch9wavefront6targetE1EEEvT1_
		.amdhsa_group_segment_fixed_size 0
		.amdhsa_private_segment_fixed_size 0
		.amdhsa_kernarg_size 40
		.amdhsa_user_sgpr_count 6
		.amdhsa_user_sgpr_private_segment_buffer 1
		.amdhsa_user_sgpr_dispatch_ptr 0
		.amdhsa_user_sgpr_queue_ptr 0
		.amdhsa_user_sgpr_kernarg_segment_ptr 1
		.amdhsa_user_sgpr_dispatch_id 0
		.amdhsa_user_sgpr_flat_scratch_init 0
		.amdhsa_user_sgpr_kernarg_preload_length 0
		.amdhsa_user_sgpr_kernarg_preload_offset 0
		.amdhsa_user_sgpr_private_segment_size 0
		.amdhsa_uses_dynamic_stack 0
		.amdhsa_system_sgpr_private_segment_wavefront_offset 0
		.amdhsa_system_sgpr_workgroup_id_x 1
		.amdhsa_system_sgpr_workgroup_id_y 0
		.amdhsa_system_sgpr_workgroup_id_z 0
		.amdhsa_system_sgpr_workgroup_info 0
		.amdhsa_system_vgpr_workitem_id 0
		.amdhsa_next_free_vgpr 1
		.amdhsa_next_free_sgpr 0
		.amdhsa_accum_offset 4
		.amdhsa_reserve_vcc 0
		.amdhsa_reserve_flat_scratch 0
		.amdhsa_float_round_mode_32 0
		.amdhsa_float_round_mode_16_64 0
		.amdhsa_float_denorm_mode_32 3
		.amdhsa_float_denorm_mode_16_64 3
		.amdhsa_dx10_clamp 1
		.amdhsa_ieee_mode 1
		.amdhsa_fp16_overflow 0
		.amdhsa_tg_split 0
		.amdhsa_exception_fp_ieee_invalid_op 0
		.amdhsa_exception_fp_denorm_src 0
		.amdhsa_exception_fp_ieee_div_zero 0
		.amdhsa_exception_fp_ieee_overflow 0
		.amdhsa_exception_fp_ieee_underflow 0
		.amdhsa_exception_fp_ieee_inexact 0
		.amdhsa_exception_int_div_zero 0
	.end_amdhsa_kernel
	.section	.text._ZN7rocprim17ROCPRIM_400000_NS6detail17trampoline_kernelINS0_14default_configENS1_20scan_config_selectorIyEEZZNS1_9scan_implILNS1_25lookback_scan_determinismE0ELb0ELb0ES3_N6thrust23THRUST_200600_302600_NS6detail15normal_iteratorINS9_10device_ptrIyEEEESE_yNS9_4plusIvEEyEEDaPvRmT3_T4_T5_mT6_P12ihipStream_tbENKUlT_T0_E_clISt17integral_constantIbLb1EEST_IbLb0EEEEDaSP_SQ_EUlSP_E0_NS1_11comp_targetILNS1_3genE8ELNS1_11target_archE1030ELNS1_3gpuE2ELNS1_3repE0EEENS1_30default_config_static_selectorELNS0_4arch9wavefront6targetE1EEEvT1_,"axG",@progbits,_ZN7rocprim17ROCPRIM_400000_NS6detail17trampoline_kernelINS0_14default_configENS1_20scan_config_selectorIyEEZZNS1_9scan_implILNS1_25lookback_scan_determinismE0ELb0ELb0ES3_N6thrust23THRUST_200600_302600_NS6detail15normal_iteratorINS9_10device_ptrIyEEEESE_yNS9_4plusIvEEyEEDaPvRmT3_T4_T5_mT6_P12ihipStream_tbENKUlT_T0_E_clISt17integral_constantIbLb1EEST_IbLb0EEEEDaSP_SQ_EUlSP_E0_NS1_11comp_targetILNS1_3genE8ELNS1_11target_archE1030ELNS1_3gpuE2ELNS1_3repE0EEENS1_30default_config_static_selectorELNS0_4arch9wavefront6targetE1EEEvT1_,comdat
.Lfunc_end4483:
	.size	_ZN7rocprim17ROCPRIM_400000_NS6detail17trampoline_kernelINS0_14default_configENS1_20scan_config_selectorIyEEZZNS1_9scan_implILNS1_25lookback_scan_determinismE0ELb0ELb0ES3_N6thrust23THRUST_200600_302600_NS6detail15normal_iteratorINS9_10device_ptrIyEEEESE_yNS9_4plusIvEEyEEDaPvRmT3_T4_T5_mT6_P12ihipStream_tbENKUlT_T0_E_clISt17integral_constantIbLb1EEST_IbLb0EEEEDaSP_SQ_EUlSP_E0_NS1_11comp_targetILNS1_3genE8ELNS1_11target_archE1030ELNS1_3gpuE2ELNS1_3repE0EEENS1_30default_config_static_selectorELNS0_4arch9wavefront6targetE1EEEvT1_, .Lfunc_end4483-_ZN7rocprim17ROCPRIM_400000_NS6detail17trampoline_kernelINS0_14default_configENS1_20scan_config_selectorIyEEZZNS1_9scan_implILNS1_25lookback_scan_determinismE0ELb0ELb0ES3_N6thrust23THRUST_200600_302600_NS6detail15normal_iteratorINS9_10device_ptrIyEEEESE_yNS9_4plusIvEEyEEDaPvRmT3_T4_T5_mT6_P12ihipStream_tbENKUlT_T0_E_clISt17integral_constantIbLb1EEST_IbLb0EEEEDaSP_SQ_EUlSP_E0_NS1_11comp_targetILNS1_3genE8ELNS1_11target_archE1030ELNS1_3gpuE2ELNS1_3repE0EEENS1_30default_config_static_selectorELNS0_4arch9wavefront6targetE1EEEvT1_
                                        ; -- End function
	.section	.AMDGPU.csdata,"",@progbits
; Kernel info:
; codeLenInByte = 0
; NumSgprs: 4
; NumVgprs: 0
; NumAgprs: 0
; TotalNumVgprs: 0
; ScratchSize: 0
; MemoryBound: 0
; FloatMode: 240
; IeeeMode: 1
; LDSByteSize: 0 bytes/workgroup (compile time only)
; SGPRBlocks: 0
; VGPRBlocks: 0
; NumSGPRsForWavesPerEU: 4
; NumVGPRsForWavesPerEU: 1
; AccumOffset: 4
; Occupancy: 8
; WaveLimiterHint : 0
; COMPUTE_PGM_RSRC2:SCRATCH_EN: 0
; COMPUTE_PGM_RSRC2:USER_SGPR: 6
; COMPUTE_PGM_RSRC2:TRAP_HANDLER: 0
; COMPUTE_PGM_RSRC2:TGID_X_EN: 1
; COMPUTE_PGM_RSRC2:TGID_Y_EN: 0
; COMPUTE_PGM_RSRC2:TGID_Z_EN: 0
; COMPUTE_PGM_RSRC2:TIDIG_COMP_CNT: 0
; COMPUTE_PGM_RSRC3_GFX90A:ACCUM_OFFSET: 0
; COMPUTE_PGM_RSRC3_GFX90A:TG_SPLIT: 0
	.section	.text._ZN7rocprim17ROCPRIM_400000_NS6detail17trampoline_kernelINS0_14default_configENS1_20scan_config_selectorIyEEZZNS1_9scan_implILNS1_25lookback_scan_determinismE0ELb0ELb0ES3_N6thrust23THRUST_200600_302600_NS6detail15normal_iteratorINS9_10device_ptrIyEEEESE_yNS9_4plusIvEEyEEDaPvRmT3_T4_T5_mT6_P12ihipStream_tbENKUlT_T0_E_clISt17integral_constantIbLb0EEST_IbLb1EEEEDaSP_SQ_EUlSP_E_NS1_11comp_targetILNS1_3genE0ELNS1_11target_archE4294967295ELNS1_3gpuE0ELNS1_3repE0EEENS1_30default_config_static_selectorELNS0_4arch9wavefront6targetE1EEEvT1_,"axG",@progbits,_ZN7rocprim17ROCPRIM_400000_NS6detail17trampoline_kernelINS0_14default_configENS1_20scan_config_selectorIyEEZZNS1_9scan_implILNS1_25lookback_scan_determinismE0ELb0ELb0ES3_N6thrust23THRUST_200600_302600_NS6detail15normal_iteratorINS9_10device_ptrIyEEEESE_yNS9_4plusIvEEyEEDaPvRmT3_T4_T5_mT6_P12ihipStream_tbENKUlT_T0_E_clISt17integral_constantIbLb0EEST_IbLb1EEEEDaSP_SQ_EUlSP_E_NS1_11comp_targetILNS1_3genE0ELNS1_11target_archE4294967295ELNS1_3gpuE0ELNS1_3repE0EEENS1_30default_config_static_selectorELNS0_4arch9wavefront6targetE1EEEvT1_,comdat
	.protected	_ZN7rocprim17ROCPRIM_400000_NS6detail17trampoline_kernelINS0_14default_configENS1_20scan_config_selectorIyEEZZNS1_9scan_implILNS1_25lookback_scan_determinismE0ELb0ELb0ES3_N6thrust23THRUST_200600_302600_NS6detail15normal_iteratorINS9_10device_ptrIyEEEESE_yNS9_4plusIvEEyEEDaPvRmT3_T4_T5_mT6_P12ihipStream_tbENKUlT_T0_E_clISt17integral_constantIbLb0EEST_IbLb1EEEEDaSP_SQ_EUlSP_E_NS1_11comp_targetILNS1_3genE0ELNS1_11target_archE4294967295ELNS1_3gpuE0ELNS1_3repE0EEENS1_30default_config_static_selectorELNS0_4arch9wavefront6targetE1EEEvT1_ ; -- Begin function _ZN7rocprim17ROCPRIM_400000_NS6detail17trampoline_kernelINS0_14default_configENS1_20scan_config_selectorIyEEZZNS1_9scan_implILNS1_25lookback_scan_determinismE0ELb0ELb0ES3_N6thrust23THRUST_200600_302600_NS6detail15normal_iteratorINS9_10device_ptrIyEEEESE_yNS9_4plusIvEEyEEDaPvRmT3_T4_T5_mT6_P12ihipStream_tbENKUlT_T0_E_clISt17integral_constantIbLb0EEST_IbLb1EEEEDaSP_SQ_EUlSP_E_NS1_11comp_targetILNS1_3genE0ELNS1_11target_archE4294967295ELNS1_3gpuE0ELNS1_3repE0EEENS1_30default_config_static_selectorELNS0_4arch9wavefront6targetE1EEEvT1_
	.globl	_ZN7rocprim17ROCPRIM_400000_NS6detail17trampoline_kernelINS0_14default_configENS1_20scan_config_selectorIyEEZZNS1_9scan_implILNS1_25lookback_scan_determinismE0ELb0ELb0ES3_N6thrust23THRUST_200600_302600_NS6detail15normal_iteratorINS9_10device_ptrIyEEEESE_yNS9_4plusIvEEyEEDaPvRmT3_T4_T5_mT6_P12ihipStream_tbENKUlT_T0_E_clISt17integral_constantIbLb0EEST_IbLb1EEEEDaSP_SQ_EUlSP_E_NS1_11comp_targetILNS1_3genE0ELNS1_11target_archE4294967295ELNS1_3gpuE0ELNS1_3repE0EEENS1_30default_config_static_selectorELNS0_4arch9wavefront6targetE1EEEvT1_
	.p2align	8
	.type	_ZN7rocprim17ROCPRIM_400000_NS6detail17trampoline_kernelINS0_14default_configENS1_20scan_config_selectorIyEEZZNS1_9scan_implILNS1_25lookback_scan_determinismE0ELb0ELb0ES3_N6thrust23THRUST_200600_302600_NS6detail15normal_iteratorINS9_10device_ptrIyEEEESE_yNS9_4plusIvEEyEEDaPvRmT3_T4_T5_mT6_P12ihipStream_tbENKUlT_T0_E_clISt17integral_constantIbLb0EEST_IbLb1EEEEDaSP_SQ_EUlSP_E_NS1_11comp_targetILNS1_3genE0ELNS1_11target_archE4294967295ELNS1_3gpuE0ELNS1_3repE0EEENS1_30default_config_static_selectorELNS0_4arch9wavefront6targetE1EEEvT1_,@function
_ZN7rocprim17ROCPRIM_400000_NS6detail17trampoline_kernelINS0_14default_configENS1_20scan_config_selectorIyEEZZNS1_9scan_implILNS1_25lookback_scan_determinismE0ELb0ELb0ES3_N6thrust23THRUST_200600_302600_NS6detail15normal_iteratorINS9_10device_ptrIyEEEESE_yNS9_4plusIvEEyEEDaPvRmT3_T4_T5_mT6_P12ihipStream_tbENKUlT_T0_E_clISt17integral_constantIbLb0EEST_IbLb1EEEEDaSP_SQ_EUlSP_E_NS1_11comp_targetILNS1_3genE0ELNS1_11target_archE4294967295ELNS1_3gpuE0ELNS1_3repE0EEENS1_30default_config_static_selectorELNS0_4arch9wavefront6targetE1EEEvT1_: ; @_ZN7rocprim17ROCPRIM_400000_NS6detail17trampoline_kernelINS0_14default_configENS1_20scan_config_selectorIyEEZZNS1_9scan_implILNS1_25lookback_scan_determinismE0ELb0ELb0ES3_N6thrust23THRUST_200600_302600_NS6detail15normal_iteratorINS9_10device_ptrIyEEEESE_yNS9_4plusIvEEyEEDaPvRmT3_T4_T5_mT6_P12ihipStream_tbENKUlT_T0_E_clISt17integral_constantIbLb0EEST_IbLb1EEEEDaSP_SQ_EUlSP_E_NS1_11comp_targetILNS1_3genE0ELNS1_11target_archE4294967295ELNS1_3gpuE0ELNS1_3repE0EEENS1_30default_config_static_selectorELNS0_4arch9wavefront6targetE1EEEvT1_
; %bb.0:
	.section	.rodata,"a",@progbits
	.p2align	6, 0x0
	.amdhsa_kernel _ZN7rocprim17ROCPRIM_400000_NS6detail17trampoline_kernelINS0_14default_configENS1_20scan_config_selectorIyEEZZNS1_9scan_implILNS1_25lookback_scan_determinismE0ELb0ELb0ES3_N6thrust23THRUST_200600_302600_NS6detail15normal_iteratorINS9_10device_ptrIyEEEESE_yNS9_4plusIvEEyEEDaPvRmT3_T4_T5_mT6_P12ihipStream_tbENKUlT_T0_E_clISt17integral_constantIbLb0EEST_IbLb1EEEEDaSP_SQ_EUlSP_E_NS1_11comp_targetILNS1_3genE0ELNS1_11target_archE4294967295ELNS1_3gpuE0ELNS1_3repE0EEENS1_30default_config_static_selectorELNS0_4arch9wavefront6targetE1EEEvT1_
		.amdhsa_group_segment_fixed_size 0
		.amdhsa_private_segment_fixed_size 0
		.amdhsa_kernarg_size 104
		.amdhsa_user_sgpr_count 6
		.amdhsa_user_sgpr_private_segment_buffer 1
		.amdhsa_user_sgpr_dispatch_ptr 0
		.amdhsa_user_sgpr_queue_ptr 0
		.amdhsa_user_sgpr_kernarg_segment_ptr 1
		.amdhsa_user_sgpr_dispatch_id 0
		.amdhsa_user_sgpr_flat_scratch_init 0
		.amdhsa_user_sgpr_kernarg_preload_length 0
		.amdhsa_user_sgpr_kernarg_preload_offset 0
		.amdhsa_user_sgpr_private_segment_size 0
		.amdhsa_uses_dynamic_stack 0
		.amdhsa_system_sgpr_private_segment_wavefront_offset 0
		.amdhsa_system_sgpr_workgroup_id_x 1
		.amdhsa_system_sgpr_workgroup_id_y 0
		.amdhsa_system_sgpr_workgroup_id_z 0
		.amdhsa_system_sgpr_workgroup_info 0
		.amdhsa_system_vgpr_workitem_id 0
		.amdhsa_next_free_vgpr 1
		.amdhsa_next_free_sgpr 0
		.amdhsa_accum_offset 4
		.amdhsa_reserve_vcc 0
		.amdhsa_reserve_flat_scratch 0
		.amdhsa_float_round_mode_32 0
		.amdhsa_float_round_mode_16_64 0
		.amdhsa_float_denorm_mode_32 3
		.amdhsa_float_denorm_mode_16_64 3
		.amdhsa_dx10_clamp 1
		.amdhsa_ieee_mode 1
		.amdhsa_fp16_overflow 0
		.amdhsa_tg_split 0
		.amdhsa_exception_fp_ieee_invalid_op 0
		.amdhsa_exception_fp_denorm_src 0
		.amdhsa_exception_fp_ieee_div_zero 0
		.amdhsa_exception_fp_ieee_overflow 0
		.amdhsa_exception_fp_ieee_underflow 0
		.amdhsa_exception_fp_ieee_inexact 0
		.amdhsa_exception_int_div_zero 0
	.end_amdhsa_kernel
	.section	.text._ZN7rocprim17ROCPRIM_400000_NS6detail17trampoline_kernelINS0_14default_configENS1_20scan_config_selectorIyEEZZNS1_9scan_implILNS1_25lookback_scan_determinismE0ELb0ELb0ES3_N6thrust23THRUST_200600_302600_NS6detail15normal_iteratorINS9_10device_ptrIyEEEESE_yNS9_4plusIvEEyEEDaPvRmT3_T4_T5_mT6_P12ihipStream_tbENKUlT_T0_E_clISt17integral_constantIbLb0EEST_IbLb1EEEEDaSP_SQ_EUlSP_E_NS1_11comp_targetILNS1_3genE0ELNS1_11target_archE4294967295ELNS1_3gpuE0ELNS1_3repE0EEENS1_30default_config_static_selectorELNS0_4arch9wavefront6targetE1EEEvT1_,"axG",@progbits,_ZN7rocprim17ROCPRIM_400000_NS6detail17trampoline_kernelINS0_14default_configENS1_20scan_config_selectorIyEEZZNS1_9scan_implILNS1_25lookback_scan_determinismE0ELb0ELb0ES3_N6thrust23THRUST_200600_302600_NS6detail15normal_iteratorINS9_10device_ptrIyEEEESE_yNS9_4plusIvEEyEEDaPvRmT3_T4_T5_mT6_P12ihipStream_tbENKUlT_T0_E_clISt17integral_constantIbLb0EEST_IbLb1EEEEDaSP_SQ_EUlSP_E_NS1_11comp_targetILNS1_3genE0ELNS1_11target_archE4294967295ELNS1_3gpuE0ELNS1_3repE0EEENS1_30default_config_static_selectorELNS0_4arch9wavefront6targetE1EEEvT1_,comdat
.Lfunc_end4484:
	.size	_ZN7rocprim17ROCPRIM_400000_NS6detail17trampoline_kernelINS0_14default_configENS1_20scan_config_selectorIyEEZZNS1_9scan_implILNS1_25lookback_scan_determinismE0ELb0ELb0ES3_N6thrust23THRUST_200600_302600_NS6detail15normal_iteratorINS9_10device_ptrIyEEEESE_yNS9_4plusIvEEyEEDaPvRmT3_T4_T5_mT6_P12ihipStream_tbENKUlT_T0_E_clISt17integral_constantIbLb0EEST_IbLb1EEEEDaSP_SQ_EUlSP_E_NS1_11comp_targetILNS1_3genE0ELNS1_11target_archE4294967295ELNS1_3gpuE0ELNS1_3repE0EEENS1_30default_config_static_selectorELNS0_4arch9wavefront6targetE1EEEvT1_, .Lfunc_end4484-_ZN7rocprim17ROCPRIM_400000_NS6detail17trampoline_kernelINS0_14default_configENS1_20scan_config_selectorIyEEZZNS1_9scan_implILNS1_25lookback_scan_determinismE0ELb0ELb0ES3_N6thrust23THRUST_200600_302600_NS6detail15normal_iteratorINS9_10device_ptrIyEEEESE_yNS9_4plusIvEEyEEDaPvRmT3_T4_T5_mT6_P12ihipStream_tbENKUlT_T0_E_clISt17integral_constantIbLb0EEST_IbLb1EEEEDaSP_SQ_EUlSP_E_NS1_11comp_targetILNS1_3genE0ELNS1_11target_archE4294967295ELNS1_3gpuE0ELNS1_3repE0EEENS1_30default_config_static_selectorELNS0_4arch9wavefront6targetE1EEEvT1_
                                        ; -- End function
	.section	.AMDGPU.csdata,"",@progbits
; Kernel info:
; codeLenInByte = 0
; NumSgprs: 4
; NumVgprs: 0
; NumAgprs: 0
; TotalNumVgprs: 0
; ScratchSize: 0
; MemoryBound: 0
; FloatMode: 240
; IeeeMode: 1
; LDSByteSize: 0 bytes/workgroup (compile time only)
; SGPRBlocks: 0
; VGPRBlocks: 0
; NumSGPRsForWavesPerEU: 4
; NumVGPRsForWavesPerEU: 1
; AccumOffset: 4
; Occupancy: 8
; WaveLimiterHint : 0
; COMPUTE_PGM_RSRC2:SCRATCH_EN: 0
; COMPUTE_PGM_RSRC2:USER_SGPR: 6
; COMPUTE_PGM_RSRC2:TRAP_HANDLER: 0
; COMPUTE_PGM_RSRC2:TGID_X_EN: 1
; COMPUTE_PGM_RSRC2:TGID_Y_EN: 0
; COMPUTE_PGM_RSRC2:TGID_Z_EN: 0
; COMPUTE_PGM_RSRC2:TIDIG_COMP_CNT: 0
; COMPUTE_PGM_RSRC3_GFX90A:ACCUM_OFFSET: 0
; COMPUTE_PGM_RSRC3_GFX90A:TG_SPLIT: 0
	.section	.text._ZN7rocprim17ROCPRIM_400000_NS6detail17trampoline_kernelINS0_14default_configENS1_20scan_config_selectorIyEEZZNS1_9scan_implILNS1_25lookback_scan_determinismE0ELb0ELb0ES3_N6thrust23THRUST_200600_302600_NS6detail15normal_iteratorINS9_10device_ptrIyEEEESE_yNS9_4plusIvEEyEEDaPvRmT3_T4_T5_mT6_P12ihipStream_tbENKUlT_T0_E_clISt17integral_constantIbLb0EEST_IbLb1EEEEDaSP_SQ_EUlSP_E_NS1_11comp_targetILNS1_3genE5ELNS1_11target_archE942ELNS1_3gpuE9ELNS1_3repE0EEENS1_30default_config_static_selectorELNS0_4arch9wavefront6targetE1EEEvT1_,"axG",@progbits,_ZN7rocprim17ROCPRIM_400000_NS6detail17trampoline_kernelINS0_14default_configENS1_20scan_config_selectorIyEEZZNS1_9scan_implILNS1_25lookback_scan_determinismE0ELb0ELb0ES3_N6thrust23THRUST_200600_302600_NS6detail15normal_iteratorINS9_10device_ptrIyEEEESE_yNS9_4plusIvEEyEEDaPvRmT3_T4_T5_mT6_P12ihipStream_tbENKUlT_T0_E_clISt17integral_constantIbLb0EEST_IbLb1EEEEDaSP_SQ_EUlSP_E_NS1_11comp_targetILNS1_3genE5ELNS1_11target_archE942ELNS1_3gpuE9ELNS1_3repE0EEENS1_30default_config_static_selectorELNS0_4arch9wavefront6targetE1EEEvT1_,comdat
	.protected	_ZN7rocprim17ROCPRIM_400000_NS6detail17trampoline_kernelINS0_14default_configENS1_20scan_config_selectorIyEEZZNS1_9scan_implILNS1_25lookback_scan_determinismE0ELb0ELb0ES3_N6thrust23THRUST_200600_302600_NS6detail15normal_iteratorINS9_10device_ptrIyEEEESE_yNS9_4plusIvEEyEEDaPvRmT3_T4_T5_mT6_P12ihipStream_tbENKUlT_T0_E_clISt17integral_constantIbLb0EEST_IbLb1EEEEDaSP_SQ_EUlSP_E_NS1_11comp_targetILNS1_3genE5ELNS1_11target_archE942ELNS1_3gpuE9ELNS1_3repE0EEENS1_30default_config_static_selectorELNS0_4arch9wavefront6targetE1EEEvT1_ ; -- Begin function _ZN7rocprim17ROCPRIM_400000_NS6detail17trampoline_kernelINS0_14default_configENS1_20scan_config_selectorIyEEZZNS1_9scan_implILNS1_25lookback_scan_determinismE0ELb0ELb0ES3_N6thrust23THRUST_200600_302600_NS6detail15normal_iteratorINS9_10device_ptrIyEEEESE_yNS9_4plusIvEEyEEDaPvRmT3_T4_T5_mT6_P12ihipStream_tbENKUlT_T0_E_clISt17integral_constantIbLb0EEST_IbLb1EEEEDaSP_SQ_EUlSP_E_NS1_11comp_targetILNS1_3genE5ELNS1_11target_archE942ELNS1_3gpuE9ELNS1_3repE0EEENS1_30default_config_static_selectorELNS0_4arch9wavefront6targetE1EEEvT1_
	.globl	_ZN7rocprim17ROCPRIM_400000_NS6detail17trampoline_kernelINS0_14default_configENS1_20scan_config_selectorIyEEZZNS1_9scan_implILNS1_25lookback_scan_determinismE0ELb0ELb0ES3_N6thrust23THRUST_200600_302600_NS6detail15normal_iteratorINS9_10device_ptrIyEEEESE_yNS9_4plusIvEEyEEDaPvRmT3_T4_T5_mT6_P12ihipStream_tbENKUlT_T0_E_clISt17integral_constantIbLb0EEST_IbLb1EEEEDaSP_SQ_EUlSP_E_NS1_11comp_targetILNS1_3genE5ELNS1_11target_archE942ELNS1_3gpuE9ELNS1_3repE0EEENS1_30default_config_static_selectorELNS0_4arch9wavefront6targetE1EEEvT1_
	.p2align	8
	.type	_ZN7rocprim17ROCPRIM_400000_NS6detail17trampoline_kernelINS0_14default_configENS1_20scan_config_selectorIyEEZZNS1_9scan_implILNS1_25lookback_scan_determinismE0ELb0ELb0ES3_N6thrust23THRUST_200600_302600_NS6detail15normal_iteratorINS9_10device_ptrIyEEEESE_yNS9_4plusIvEEyEEDaPvRmT3_T4_T5_mT6_P12ihipStream_tbENKUlT_T0_E_clISt17integral_constantIbLb0EEST_IbLb1EEEEDaSP_SQ_EUlSP_E_NS1_11comp_targetILNS1_3genE5ELNS1_11target_archE942ELNS1_3gpuE9ELNS1_3repE0EEENS1_30default_config_static_selectorELNS0_4arch9wavefront6targetE1EEEvT1_,@function
_ZN7rocprim17ROCPRIM_400000_NS6detail17trampoline_kernelINS0_14default_configENS1_20scan_config_selectorIyEEZZNS1_9scan_implILNS1_25lookback_scan_determinismE0ELb0ELb0ES3_N6thrust23THRUST_200600_302600_NS6detail15normal_iteratorINS9_10device_ptrIyEEEESE_yNS9_4plusIvEEyEEDaPvRmT3_T4_T5_mT6_P12ihipStream_tbENKUlT_T0_E_clISt17integral_constantIbLb0EEST_IbLb1EEEEDaSP_SQ_EUlSP_E_NS1_11comp_targetILNS1_3genE5ELNS1_11target_archE942ELNS1_3gpuE9ELNS1_3repE0EEENS1_30default_config_static_selectorELNS0_4arch9wavefront6targetE1EEEvT1_: ; @_ZN7rocprim17ROCPRIM_400000_NS6detail17trampoline_kernelINS0_14default_configENS1_20scan_config_selectorIyEEZZNS1_9scan_implILNS1_25lookback_scan_determinismE0ELb0ELb0ES3_N6thrust23THRUST_200600_302600_NS6detail15normal_iteratorINS9_10device_ptrIyEEEESE_yNS9_4plusIvEEyEEDaPvRmT3_T4_T5_mT6_P12ihipStream_tbENKUlT_T0_E_clISt17integral_constantIbLb0EEST_IbLb1EEEEDaSP_SQ_EUlSP_E_NS1_11comp_targetILNS1_3genE5ELNS1_11target_archE942ELNS1_3gpuE9ELNS1_3repE0EEENS1_30default_config_static_selectorELNS0_4arch9wavefront6targetE1EEEvT1_
; %bb.0:
	.section	.rodata,"a",@progbits
	.p2align	6, 0x0
	.amdhsa_kernel _ZN7rocprim17ROCPRIM_400000_NS6detail17trampoline_kernelINS0_14default_configENS1_20scan_config_selectorIyEEZZNS1_9scan_implILNS1_25lookback_scan_determinismE0ELb0ELb0ES3_N6thrust23THRUST_200600_302600_NS6detail15normal_iteratorINS9_10device_ptrIyEEEESE_yNS9_4plusIvEEyEEDaPvRmT3_T4_T5_mT6_P12ihipStream_tbENKUlT_T0_E_clISt17integral_constantIbLb0EEST_IbLb1EEEEDaSP_SQ_EUlSP_E_NS1_11comp_targetILNS1_3genE5ELNS1_11target_archE942ELNS1_3gpuE9ELNS1_3repE0EEENS1_30default_config_static_selectorELNS0_4arch9wavefront6targetE1EEEvT1_
		.amdhsa_group_segment_fixed_size 0
		.amdhsa_private_segment_fixed_size 0
		.amdhsa_kernarg_size 104
		.amdhsa_user_sgpr_count 6
		.amdhsa_user_sgpr_private_segment_buffer 1
		.amdhsa_user_sgpr_dispatch_ptr 0
		.amdhsa_user_sgpr_queue_ptr 0
		.amdhsa_user_sgpr_kernarg_segment_ptr 1
		.amdhsa_user_sgpr_dispatch_id 0
		.amdhsa_user_sgpr_flat_scratch_init 0
		.amdhsa_user_sgpr_kernarg_preload_length 0
		.amdhsa_user_sgpr_kernarg_preload_offset 0
		.amdhsa_user_sgpr_private_segment_size 0
		.amdhsa_uses_dynamic_stack 0
		.amdhsa_system_sgpr_private_segment_wavefront_offset 0
		.amdhsa_system_sgpr_workgroup_id_x 1
		.amdhsa_system_sgpr_workgroup_id_y 0
		.amdhsa_system_sgpr_workgroup_id_z 0
		.amdhsa_system_sgpr_workgroup_info 0
		.amdhsa_system_vgpr_workitem_id 0
		.amdhsa_next_free_vgpr 1
		.amdhsa_next_free_sgpr 0
		.amdhsa_accum_offset 4
		.amdhsa_reserve_vcc 0
		.amdhsa_reserve_flat_scratch 0
		.amdhsa_float_round_mode_32 0
		.amdhsa_float_round_mode_16_64 0
		.amdhsa_float_denorm_mode_32 3
		.amdhsa_float_denorm_mode_16_64 3
		.amdhsa_dx10_clamp 1
		.amdhsa_ieee_mode 1
		.amdhsa_fp16_overflow 0
		.amdhsa_tg_split 0
		.amdhsa_exception_fp_ieee_invalid_op 0
		.amdhsa_exception_fp_denorm_src 0
		.amdhsa_exception_fp_ieee_div_zero 0
		.amdhsa_exception_fp_ieee_overflow 0
		.amdhsa_exception_fp_ieee_underflow 0
		.amdhsa_exception_fp_ieee_inexact 0
		.amdhsa_exception_int_div_zero 0
	.end_amdhsa_kernel
	.section	.text._ZN7rocprim17ROCPRIM_400000_NS6detail17trampoline_kernelINS0_14default_configENS1_20scan_config_selectorIyEEZZNS1_9scan_implILNS1_25lookback_scan_determinismE0ELb0ELb0ES3_N6thrust23THRUST_200600_302600_NS6detail15normal_iteratorINS9_10device_ptrIyEEEESE_yNS9_4plusIvEEyEEDaPvRmT3_T4_T5_mT6_P12ihipStream_tbENKUlT_T0_E_clISt17integral_constantIbLb0EEST_IbLb1EEEEDaSP_SQ_EUlSP_E_NS1_11comp_targetILNS1_3genE5ELNS1_11target_archE942ELNS1_3gpuE9ELNS1_3repE0EEENS1_30default_config_static_selectorELNS0_4arch9wavefront6targetE1EEEvT1_,"axG",@progbits,_ZN7rocprim17ROCPRIM_400000_NS6detail17trampoline_kernelINS0_14default_configENS1_20scan_config_selectorIyEEZZNS1_9scan_implILNS1_25lookback_scan_determinismE0ELb0ELb0ES3_N6thrust23THRUST_200600_302600_NS6detail15normal_iteratorINS9_10device_ptrIyEEEESE_yNS9_4plusIvEEyEEDaPvRmT3_T4_T5_mT6_P12ihipStream_tbENKUlT_T0_E_clISt17integral_constantIbLb0EEST_IbLb1EEEEDaSP_SQ_EUlSP_E_NS1_11comp_targetILNS1_3genE5ELNS1_11target_archE942ELNS1_3gpuE9ELNS1_3repE0EEENS1_30default_config_static_selectorELNS0_4arch9wavefront6targetE1EEEvT1_,comdat
.Lfunc_end4485:
	.size	_ZN7rocprim17ROCPRIM_400000_NS6detail17trampoline_kernelINS0_14default_configENS1_20scan_config_selectorIyEEZZNS1_9scan_implILNS1_25lookback_scan_determinismE0ELb0ELb0ES3_N6thrust23THRUST_200600_302600_NS6detail15normal_iteratorINS9_10device_ptrIyEEEESE_yNS9_4plusIvEEyEEDaPvRmT3_T4_T5_mT6_P12ihipStream_tbENKUlT_T0_E_clISt17integral_constantIbLb0EEST_IbLb1EEEEDaSP_SQ_EUlSP_E_NS1_11comp_targetILNS1_3genE5ELNS1_11target_archE942ELNS1_3gpuE9ELNS1_3repE0EEENS1_30default_config_static_selectorELNS0_4arch9wavefront6targetE1EEEvT1_, .Lfunc_end4485-_ZN7rocprim17ROCPRIM_400000_NS6detail17trampoline_kernelINS0_14default_configENS1_20scan_config_selectorIyEEZZNS1_9scan_implILNS1_25lookback_scan_determinismE0ELb0ELb0ES3_N6thrust23THRUST_200600_302600_NS6detail15normal_iteratorINS9_10device_ptrIyEEEESE_yNS9_4plusIvEEyEEDaPvRmT3_T4_T5_mT6_P12ihipStream_tbENKUlT_T0_E_clISt17integral_constantIbLb0EEST_IbLb1EEEEDaSP_SQ_EUlSP_E_NS1_11comp_targetILNS1_3genE5ELNS1_11target_archE942ELNS1_3gpuE9ELNS1_3repE0EEENS1_30default_config_static_selectorELNS0_4arch9wavefront6targetE1EEEvT1_
                                        ; -- End function
	.section	.AMDGPU.csdata,"",@progbits
; Kernel info:
; codeLenInByte = 0
; NumSgprs: 4
; NumVgprs: 0
; NumAgprs: 0
; TotalNumVgprs: 0
; ScratchSize: 0
; MemoryBound: 0
; FloatMode: 240
; IeeeMode: 1
; LDSByteSize: 0 bytes/workgroup (compile time only)
; SGPRBlocks: 0
; VGPRBlocks: 0
; NumSGPRsForWavesPerEU: 4
; NumVGPRsForWavesPerEU: 1
; AccumOffset: 4
; Occupancy: 8
; WaveLimiterHint : 0
; COMPUTE_PGM_RSRC2:SCRATCH_EN: 0
; COMPUTE_PGM_RSRC2:USER_SGPR: 6
; COMPUTE_PGM_RSRC2:TRAP_HANDLER: 0
; COMPUTE_PGM_RSRC2:TGID_X_EN: 1
; COMPUTE_PGM_RSRC2:TGID_Y_EN: 0
; COMPUTE_PGM_RSRC2:TGID_Z_EN: 0
; COMPUTE_PGM_RSRC2:TIDIG_COMP_CNT: 0
; COMPUTE_PGM_RSRC3_GFX90A:ACCUM_OFFSET: 0
; COMPUTE_PGM_RSRC3_GFX90A:TG_SPLIT: 0
	.section	.text._ZN7rocprim17ROCPRIM_400000_NS6detail17trampoline_kernelINS0_14default_configENS1_20scan_config_selectorIyEEZZNS1_9scan_implILNS1_25lookback_scan_determinismE0ELb0ELb0ES3_N6thrust23THRUST_200600_302600_NS6detail15normal_iteratorINS9_10device_ptrIyEEEESE_yNS9_4plusIvEEyEEDaPvRmT3_T4_T5_mT6_P12ihipStream_tbENKUlT_T0_E_clISt17integral_constantIbLb0EEST_IbLb1EEEEDaSP_SQ_EUlSP_E_NS1_11comp_targetILNS1_3genE4ELNS1_11target_archE910ELNS1_3gpuE8ELNS1_3repE0EEENS1_30default_config_static_selectorELNS0_4arch9wavefront6targetE1EEEvT1_,"axG",@progbits,_ZN7rocprim17ROCPRIM_400000_NS6detail17trampoline_kernelINS0_14default_configENS1_20scan_config_selectorIyEEZZNS1_9scan_implILNS1_25lookback_scan_determinismE0ELb0ELb0ES3_N6thrust23THRUST_200600_302600_NS6detail15normal_iteratorINS9_10device_ptrIyEEEESE_yNS9_4plusIvEEyEEDaPvRmT3_T4_T5_mT6_P12ihipStream_tbENKUlT_T0_E_clISt17integral_constantIbLb0EEST_IbLb1EEEEDaSP_SQ_EUlSP_E_NS1_11comp_targetILNS1_3genE4ELNS1_11target_archE910ELNS1_3gpuE8ELNS1_3repE0EEENS1_30default_config_static_selectorELNS0_4arch9wavefront6targetE1EEEvT1_,comdat
	.protected	_ZN7rocprim17ROCPRIM_400000_NS6detail17trampoline_kernelINS0_14default_configENS1_20scan_config_selectorIyEEZZNS1_9scan_implILNS1_25lookback_scan_determinismE0ELb0ELb0ES3_N6thrust23THRUST_200600_302600_NS6detail15normal_iteratorINS9_10device_ptrIyEEEESE_yNS9_4plusIvEEyEEDaPvRmT3_T4_T5_mT6_P12ihipStream_tbENKUlT_T0_E_clISt17integral_constantIbLb0EEST_IbLb1EEEEDaSP_SQ_EUlSP_E_NS1_11comp_targetILNS1_3genE4ELNS1_11target_archE910ELNS1_3gpuE8ELNS1_3repE0EEENS1_30default_config_static_selectorELNS0_4arch9wavefront6targetE1EEEvT1_ ; -- Begin function _ZN7rocprim17ROCPRIM_400000_NS6detail17trampoline_kernelINS0_14default_configENS1_20scan_config_selectorIyEEZZNS1_9scan_implILNS1_25lookback_scan_determinismE0ELb0ELb0ES3_N6thrust23THRUST_200600_302600_NS6detail15normal_iteratorINS9_10device_ptrIyEEEESE_yNS9_4plusIvEEyEEDaPvRmT3_T4_T5_mT6_P12ihipStream_tbENKUlT_T0_E_clISt17integral_constantIbLb0EEST_IbLb1EEEEDaSP_SQ_EUlSP_E_NS1_11comp_targetILNS1_3genE4ELNS1_11target_archE910ELNS1_3gpuE8ELNS1_3repE0EEENS1_30default_config_static_selectorELNS0_4arch9wavefront6targetE1EEEvT1_
	.globl	_ZN7rocprim17ROCPRIM_400000_NS6detail17trampoline_kernelINS0_14default_configENS1_20scan_config_selectorIyEEZZNS1_9scan_implILNS1_25lookback_scan_determinismE0ELb0ELb0ES3_N6thrust23THRUST_200600_302600_NS6detail15normal_iteratorINS9_10device_ptrIyEEEESE_yNS9_4plusIvEEyEEDaPvRmT3_T4_T5_mT6_P12ihipStream_tbENKUlT_T0_E_clISt17integral_constantIbLb0EEST_IbLb1EEEEDaSP_SQ_EUlSP_E_NS1_11comp_targetILNS1_3genE4ELNS1_11target_archE910ELNS1_3gpuE8ELNS1_3repE0EEENS1_30default_config_static_selectorELNS0_4arch9wavefront6targetE1EEEvT1_
	.p2align	8
	.type	_ZN7rocprim17ROCPRIM_400000_NS6detail17trampoline_kernelINS0_14default_configENS1_20scan_config_selectorIyEEZZNS1_9scan_implILNS1_25lookback_scan_determinismE0ELb0ELb0ES3_N6thrust23THRUST_200600_302600_NS6detail15normal_iteratorINS9_10device_ptrIyEEEESE_yNS9_4plusIvEEyEEDaPvRmT3_T4_T5_mT6_P12ihipStream_tbENKUlT_T0_E_clISt17integral_constantIbLb0EEST_IbLb1EEEEDaSP_SQ_EUlSP_E_NS1_11comp_targetILNS1_3genE4ELNS1_11target_archE910ELNS1_3gpuE8ELNS1_3repE0EEENS1_30default_config_static_selectorELNS0_4arch9wavefront6targetE1EEEvT1_,@function
_ZN7rocprim17ROCPRIM_400000_NS6detail17trampoline_kernelINS0_14default_configENS1_20scan_config_selectorIyEEZZNS1_9scan_implILNS1_25lookback_scan_determinismE0ELb0ELb0ES3_N6thrust23THRUST_200600_302600_NS6detail15normal_iteratorINS9_10device_ptrIyEEEESE_yNS9_4plusIvEEyEEDaPvRmT3_T4_T5_mT6_P12ihipStream_tbENKUlT_T0_E_clISt17integral_constantIbLb0EEST_IbLb1EEEEDaSP_SQ_EUlSP_E_NS1_11comp_targetILNS1_3genE4ELNS1_11target_archE910ELNS1_3gpuE8ELNS1_3repE0EEENS1_30default_config_static_selectorELNS0_4arch9wavefront6targetE1EEEvT1_: ; @_ZN7rocprim17ROCPRIM_400000_NS6detail17trampoline_kernelINS0_14default_configENS1_20scan_config_selectorIyEEZZNS1_9scan_implILNS1_25lookback_scan_determinismE0ELb0ELb0ES3_N6thrust23THRUST_200600_302600_NS6detail15normal_iteratorINS9_10device_ptrIyEEEESE_yNS9_4plusIvEEyEEDaPvRmT3_T4_T5_mT6_P12ihipStream_tbENKUlT_T0_E_clISt17integral_constantIbLb0EEST_IbLb1EEEEDaSP_SQ_EUlSP_E_NS1_11comp_targetILNS1_3genE4ELNS1_11target_archE910ELNS1_3gpuE8ELNS1_3repE0EEENS1_30default_config_static_selectorELNS0_4arch9wavefront6targetE1EEEvT1_
; %bb.0:
	s_load_dwordx2 s[10:11], s[4:5], 0x30
	v_cmp_ne_u32_e64 s[0:1], 0, v0
	v_cmp_eq_u32_e64 s[2:3], 0, v0
	s_and_saveexec_b64 s[6:7], s[2:3]
	s_cbranch_execz .LBB4486_4
; %bb.1:
	s_mov_b64 s[12:13], exec
	v_mbcnt_lo_u32_b32 v1, s12, 0
	v_mbcnt_hi_u32_b32 v1, s13, v1
	v_cmp_eq_u32_e32 vcc, 0, v1
                                        ; implicit-def: $vgpr2
	s_and_saveexec_b64 s[8:9], vcc
	s_cbranch_execz .LBB4486_3
; %bb.2:
	s_load_dwordx2 s[14:15], s[4:5], 0x60
	s_bcnt1_i32_b64 s12, s[12:13]
	v_mov_b32_e32 v2, 0
	v_mov_b32_e32 v3, s12
	s_waitcnt lgkmcnt(0)
	global_atomic_add v2, v2, v3, s[14:15] glc
.LBB4486_3:
	s_or_b64 exec, exec, s[8:9]
	s_waitcnt vmcnt(0)
	v_readfirstlane_b32 s8, v2
	v_add_u32_e32 v1, s8, v1
	v_mov_b32_e32 v2, 0
	ds_write_b32 v2, v1
.LBB4486_4:
	s_or_b64 exec, exec, s[6:7]
	s_load_dwordx8 s[20:27], s[4:5], 0x0
	s_load_dword s6, s[4:5], 0x38
	s_load_dwordx8 s[12:19], s[4:5], 0x40
	v_mov_b32_e32 v1, 0
	s_waitcnt lgkmcnt(0)
	s_barrier
	ds_read_b32 v1, v1
	s_lshl_b64 s[22:23], s[22:23], 3
	s_add_u32 s7, s20, s22
	s_addc_u32 s8, s21, s23
	s_add_i32 s6, s6, -1
	s_mul_i32 s9, s6, 0x380
	s_sub_u32 s30, s26, s9
	s_waitcnt lgkmcnt(0)
	v_readfirstlane_b32 s33, v1
	s_subb_u32 s31, s27, 0
	s_mul_i32 s4, s33, 0x380
	s_mov_b32 s5, 0
	s_cmp_lg_u32 s33, s6
	s_cselect_b64 s[20:21], -1, 0
	s_lshl_b64 s[26:27], s[4:5], 3
	s_add_u32 s6, s7, s26
	s_addc_u32 s7, s8, s27
	s_mov_b64 s[4:5], -1
	s_and_b64 vcc, exec, s[20:21]
	v_lshlrev_b32_e32 v36, 3, v0
	s_barrier
	s_cbranch_vccz .LBB4486_6
; %bb.5:
	v_mov_b32_e32 v1, s7
	v_add_co_u32_e32 v2, vcc, s6, v36
	v_addc_co_u32_e32 v3, vcc, 0, v1, vcc
	flat_load_dwordx2 v[4:5], v[2:3]
	flat_load_dwordx2 v[6:7], v[2:3] offset:1024
	flat_load_dwordx2 v[8:9], v[2:3] offset:2048
	;; [unrolled: 1-line block ×3, first 2 shown]
	v_add_co_u32_e32 v2, vcc, 0x1000, v2
	v_addc_co_u32_e32 v3, vcc, 0, v3, vcc
	flat_load_dwordx2 v[12:13], v[2:3]
	flat_load_dwordx2 v[14:15], v[2:3] offset:1024
	flat_load_dwordx2 v[16:17], v[2:3] offset:2048
	s_mov_b64 s[4:5], 0
	s_waitcnt vmcnt(0) lgkmcnt(0)
	ds_write2st64_b64 v36, v[4:5], v[6:7] offset1:2
	ds_write2st64_b64 v36, v[8:9], v[10:11] offset0:4 offset1:6
	ds_write2st64_b64 v36, v[12:13], v[14:15] offset0:8 offset1:10
	ds_write_b64 v36, v[16:17] offset:6144
	s_waitcnt lgkmcnt(0)
	s_barrier
.LBB4486_6:
	s_andn2_b64 vcc, exec, s[4:5]
	v_cmp_gt_u32_e64 s[4:5], s30, v0
	s_cbranch_vccnz .LBB4486_22
; %bb.7:
	v_pk_mov_b32 v[2:3], s[6:7], s[6:7] op_sel:[0,1]
	flat_load_dwordx2 v[2:3], v[2:3]
	s_waitcnt vmcnt(0) lgkmcnt(0)
	v_mov_b32_e32 v4, v2
	v_mov_b32_e32 v5, v3
	;; [unrolled: 1-line block ×10, first 2 shown]
	v_pk_mov_b32 v[18:19], v[14:15], v[14:15] op_sel:[0,1]
	v_pk_mov_b32 v[16:17], v[12:13], v[12:13] op_sel:[0,1]
	;; [unrolled: 1-line block ×8, first 2 shown]
	s_and_saveexec_b64 s[8:9], s[4:5]
	s_cbranch_execz .LBB4486_9
; %bb.8:
	v_mov_b32_e32 v1, s7
	v_add_co_u32_e32 v4, vcc, s6, v36
	v_addc_co_u32_e32 v5, vcc, 0, v1, vcc
	flat_load_dwordx2 v[20:21], v[4:5]
	v_mov_b32_e32 v4, v2
	v_mov_b32_e32 v5, v3
	;; [unrolled: 1-line block ×10, first 2 shown]
	v_pk_mov_b32 v[18:19], v[14:15], v[14:15] op_sel:[0,1]
	v_pk_mov_b32 v[16:17], v[12:13], v[12:13] op_sel:[0,1]
	;; [unrolled: 1-line block ×8, first 2 shown]
	s_waitcnt vmcnt(0) lgkmcnt(0)
	v_pk_mov_b32 v[2:3], v[20:21], v[20:21] op_sel:[0,1]
.LBB4486_9:
	s_or_b64 exec, exec, s[8:9]
	v_or_b32_e32 v1, 0x80, v0
	v_cmp_gt_u32_e32 vcc, s30, v1
	s_and_saveexec_b64 s[4:5], vcc
	s_cbranch_execz .LBB4486_11
; %bb.10:
	v_mov_b32_e32 v1, s7
	v_add_co_u32_e32 v4, vcc, s6, v36
	v_addc_co_u32_e32 v5, vcc, 0, v1, vcc
	flat_load_dwordx2 v[6:7], v[4:5] offset:1024
.LBB4486_11:
	s_or_b64 exec, exec, s[4:5]
	v_or_b32_e32 v1, 0x100, v0
	v_cmp_gt_u32_e32 vcc, s30, v1
	s_and_saveexec_b64 s[4:5], vcc
	s_cbranch_execz .LBB4486_13
; %bb.12:
	v_mov_b32_e32 v1, s7
	v_add_co_u32_e32 v4, vcc, s6, v36
	v_addc_co_u32_e32 v5, vcc, 0, v1, vcc
	flat_load_dwordx2 v[8:9], v[4:5] offset:2048
.LBB4486_13:
	;; [unrolled: 11-line block ×3, first 2 shown]
	s_or_b64 exec, exec, s[4:5]
	v_or_b32_e32 v1, 0x200, v0
	v_cmp_gt_u32_e32 vcc, s30, v1
	s_and_saveexec_b64 s[4:5], vcc
	s_cbranch_execz .LBB4486_17
; %bb.16:
	v_lshlrev_b32_e32 v1, 3, v1
	v_mov_b32_e32 v5, s7
	v_add_co_u32_e32 v4, vcc, s6, v1
	v_addc_co_u32_e32 v5, vcc, 0, v5, vcc
	flat_load_dwordx2 v[12:13], v[4:5]
.LBB4486_17:
	s_or_b64 exec, exec, s[4:5]
	v_or_b32_e32 v1, 0x280, v0
	v_cmp_gt_u32_e32 vcc, s30, v1
	s_and_saveexec_b64 s[4:5], vcc
	s_cbranch_execz .LBB4486_19
; %bb.18:
	v_lshlrev_b32_e32 v1, 3, v1
	v_mov_b32_e32 v5, s7
	v_add_co_u32_e32 v4, vcc, s6, v1
	v_addc_co_u32_e32 v5, vcc, 0, v5, vcc
	flat_load_dwordx2 v[14:15], v[4:5]
.LBB4486_19:
	;; [unrolled: 12-line block ×3, first 2 shown]
	s_or_b64 exec, exec, s[4:5]
	s_waitcnt vmcnt(0) lgkmcnt(0)
	ds_write2st64_b64 v36, v[2:3], v[6:7] offset1:2
	ds_write2st64_b64 v36, v[8:9], v[10:11] offset0:4 offset1:6
	ds_write2st64_b64 v36, v[12:13], v[14:15] offset0:8 offset1:10
	ds_write_b64 v36, v[16:17] offset:6144
	s_waitcnt lgkmcnt(0)
	s_barrier
.LBB4486_22:
	v_mul_u32_u24_e32 v37, 7, v0
	v_lshlrev_b32_e32 v1, 3, v37
	ds_read2_b64 v[2:5], v1 offset1:1
	ds_read2_b64 v[10:13], v1 offset0:2 offset1:3
	ds_read2_b64 v[6:9], v1 offset0:4 offset1:5
	ds_read_b64 v[28:29], v1 offset:48
	s_cmp_lg_u32 s33, 0
	v_lshrrev_b32_e32 v38, 5, v0
	v_cmp_gt_u32_e32 vcc, 64, v0
	s_waitcnt lgkmcnt(0)
	s_barrier
	s_cbranch_scc0 .LBB4486_49
; %bb.23:
	v_add_co_u32_e64 v1, s[4:5], v4, v2
	v_addc_co_u32_e64 v14, s[4:5], v5, v3, s[4:5]
	v_add_co_u32_e64 v1, s[4:5], v1, v10
	v_addc_co_u32_e64 v14, s[4:5], v14, v11, s[4:5]
	;; [unrolled: 2-line block ×6, first 2 shown]
	v_add_lshl_u32 v1, v38, v0, 3
	ds_write_b64 v1, v[18:19]
	s_waitcnt lgkmcnt(0)
	s_barrier
	s_and_saveexec_b64 s[8:9], vcc
	s_cbranch_execz .LBB4486_27
; %bb.24:
	v_lshlrev_b32_e32 v1, 1, v0
	v_lshrrev_b32_e32 v14, 4, v0
	v_add_lshl_u32 v20, v14, v1, 3
	ds_read2_b64 v[14:17], v20 offset1:1
	v_mbcnt_lo_u32_b32 v1, -1, 0
	s_waitcnt lgkmcnt(0)
	v_add_co_u32_e64 v21, s[4:5], v16, v14
	v_addc_co_u32_e64 v22, s[4:5], v17, v15, s[4:5]
	s_nop 0
	v_mov_b32_dpp v16, v21 row_shr:1 row_mask:0xf bank_mask:0xf
	v_add_co_u32_e64 v16, s[4:5], v21, v16
	v_addc_co_u32_e64 v24, s[4:5], 0, v22, s[4:5]
	v_mbcnt_hi_u32_b32 v17, -1, v1
	v_mov_b32_dpp v23, v22 row_shr:1 row_mask:0xf bank_mask:0xf
	v_add_co_u32_e64 v25, s[4:5], 0, v16
	v_and_b32_e32 v1, 15, v17
	v_addc_co_u32_e64 v23, s[4:5], v23, v24, s[4:5]
	v_cmp_eq_u32_e64 s[4:5], 0, v1
	v_cndmask_b32_e64 v16, v16, v21, s[4:5]
	v_cndmask_b32_e64 v23, v23, v22, s[4:5]
	v_cndmask_b32_e64 v24, v25, v21, s[4:5]
	v_mov_b32_dpp v25, v16 row_shr:2 row_mask:0xf bank_mask:0xf
	v_mov_b32_dpp v26, v23 row_shr:2 row_mask:0xf bank_mask:0xf
	v_add_co_u32_e64 v25, s[4:5], v25, v24
	v_addc_co_u32_e64 v26, s[4:5], v26, v23, s[4:5]
	v_cmp_lt_u32_e64 s[4:5], 1, v1
	v_cndmask_b32_e64 v16, v16, v25, s[4:5]
	v_cndmask_b32_e64 v23, v23, v26, s[4:5]
	v_cndmask_b32_e64 v24, v24, v25, s[4:5]
	v_mov_b32_dpp v25, v16 row_shr:4 row_mask:0xf bank_mask:0xf
	v_mov_b32_dpp v26, v23 row_shr:4 row_mask:0xf bank_mask:0xf
	v_add_co_u32_e64 v25, s[4:5], v25, v24
	v_addc_co_u32_e64 v26, s[4:5], v26, v23, s[4:5]
	v_cmp_lt_u32_e64 s[4:5], 3, v1
	;; [unrolled: 8-line block ×3, first 2 shown]
	v_cndmask_b32_e64 v27, v16, v25, s[4:5]
	v_cndmask_b32_e64 v1, v23, v26, s[4:5]
	;; [unrolled: 1-line block ×3, first 2 shown]
	v_mov_b32_dpp v23, v27 row_bcast:15 row_mask:0xf bank_mask:0xf
	v_mov_b32_dpp v24, v1 row_bcast:15 row_mask:0xf bank_mask:0xf
	v_add_co_u32_e64 v23, s[4:5], v23, v16
	v_and_b32_e32 v26, 16, v17
	v_addc_co_u32_e64 v25, s[4:5], v24, v1, s[4:5]
	v_cmp_eq_u32_e64 s[4:5], 0, v26
	v_cndmask_b32_e64 v26, v25, v1, s[4:5]
	v_cndmask_b32_e64 v24, v23, v27, s[4:5]
	v_cmp_ne_u32_e64 s[6:7], 0, v17
	v_mov_b32_dpp v26, v26 row_bcast:31 row_mask:0xf bank_mask:0xf
	v_mov_b32_dpp v24, v24 row_bcast:31 row_mask:0xf bank_mask:0xf
	s_and_saveexec_b64 s[28:29], s[6:7]
; %bb.25:
	v_cndmask_b32_e64 v1, v25, v1, s[4:5]
	v_cndmask_b32_e64 v16, v23, v16, s[4:5]
	v_cmp_lt_u32_e64 s[4:5], 31, v17
	v_cndmask_b32_e64 v21, 0, v24, s[4:5]
	v_cndmask_b32_e64 v22, 0, v26, s[4:5]
	v_add_co_u32_e64 v21, s[4:5], v21, v16
	v_addc_co_u32_e64 v22, s[4:5], v22, v1, s[4:5]
; %bb.26:
	s_or_b64 exec, exec, s[28:29]
	v_add_u32_e32 v1, -1, v17
	v_and_b32_e32 v16, 64, v17
	v_cmp_lt_i32_e64 s[4:5], v1, v16
	v_cndmask_b32_e64 v1, v1, v17, s[4:5]
	v_lshlrev_b32_e32 v1, 2, v1
	ds_bpermute_b32 v16, v1, v21
	ds_bpermute_b32 v1, v1, v22
	; wave barrier
	s_waitcnt lgkmcnt(1)
	v_add_co_u32_e64 v14, s[4:5], v14, v16
	v_addc_co_u32_e64 v15, s[4:5], 0, v15, s[4:5]
	v_add_co_u32_e64 v14, s[4:5], 0, v14
	s_waitcnt lgkmcnt(0)
	v_addc_co_u32_e64 v1, s[4:5], v15, v1, s[4:5]
	v_cndmask_b32_e64 v15, v1, v19, s[2:3]
	v_cndmask_b32_e64 v14, v14, v18, s[2:3]
	ds_write_b64 v20, v[14:15]
	; wave barrier
	ds_read_b64 v[16:17], v20 offset:8
	s_waitcnt lgkmcnt(0)
	v_add_co_u32_e64 v14, s[4:5], v16, v14
	v_addc_co_u32_e64 v15, s[4:5], v17, v15, s[4:5]
	ds_write_b64 v20, v[14:15] offset:8
.LBB4486_27:
	s_or_b64 exec, exec, s[8:9]
	v_pk_mov_b32 v[22:23], 0, 0
	s_waitcnt lgkmcnt(0)
	s_barrier
	s_and_saveexec_b64 s[4:5], s[0:1]
	s_cbranch_execz .LBB4486_29
; %bb.28:
	v_add_u32_e32 v1, -1, v0
	v_lshrrev_b32_e32 v14, 5, v1
	v_add_lshl_u32 v1, v14, v1, 3
	ds_read_b64 v[22:23], v1
.LBB4486_29:
	s_or_b64 exec, exec, s[4:5]
	s_and_saveexec_b64 s[28:29], vcc
	s_cbranch_execz .LBB4486_48
; %bb.30:
	v_mov_b32_e32 v17, 0
	ds_read_b64 v[14:15], v17 offset:1040
	v_mbcnt_lo_u32_b32 v1, -1, 0
	v_mbcnt_hi_u32_b32 v30, -1, v1
	s_mov_b32 s9, 0
	v_cmp_eq_u32_e64 s[4:5], 0, v30
	s_and_saveexec_b64 s[6:7], s[4:5]
	s_cbranch_execz .LBB4486_32
; %bb.31:
	s_add_i32 s8, s33, 64
	s_lshl_b64 s[8:9], s[8:9], 4
	s_add_u32 s8, s10, s8
	s_addc_u32 s9, s11, s9
	v_mov_b32_e32 v16, 1
	v_pk_mov_b32 v[18:19], s[8:9], s[8:9] op_sel:[0,1]
	s_waitcnt lgkmcnt(0)
	;;#ASMSTART
	global_store_dwordx4 v[18:19], v[14:17] off	
s_waitcnt vmcnt(0)
	;;#ASMEND
.LBB4486_32:
	s_or_b64 exec, exec, s[6:7]
	v_xad_u32 v24, v30, -1, s33
	v_add_u32_e32 v16, 64, v24
	v_lshlrev_b64 v[18:19], 4, v[16:17]
	v_mov_b32_e32 v1, s11
	v_add_co_u32_e32 v26, vcc, s10, v18
	v_addc_co_u32_e32 v27, vcc, v1, v19, vcc
	;;#ASMSTART
	global_load_dwordx4 v[18:21], v[26:27] off glc	
s_waitcnt vmcnt(0)
	;;#ASMEND
	v_and_b32_e32 v1, 0xff, v19
	v_and_b32_e32 v16, 0xff00, v19
	v_or3_b32 v1, 0, v1, v16
	v_or3_b32 v16, v18, 0, 0
	v_and_b32_e32 v18, 0xff000000, v19
	v_and_b32_e32 v19, 0xff0000, v19
	v_or3_b32 v19, v1, v19, v18
	v_or3_b32 v18, v16, 0, 0
	v_cmp_eq_u16_sdwa s[8:9], v20, v17 src0_sel:BYTE_0 src1_sel:DWORD
	s_and_saveexec_b64 s[6:7], s[8:9]
	s_cbranch_execz .LBB4486_36
; %bb.33:
	s_mov_b64 s[8:9], 0
	v_mov_b32_e32 v1, 0
.LBB4486_34:                            ; =>This Inner Loop Header: Depth=1
	;;#ASMSTART
	global_load_dwordx4 v[18:21], v[26:27] off glc	
s_waitcnt vmcnt(0)
	;;#ASMEND
	v_cmp_ne_u16_sdwa s[34:35], v20, v1 src0_sel:BYTE_0 src1_sel:DWORD
	s_or_b64 s[8:9], s[34:35], s[8:9]
	s_andn2_b64 exec, exec, s[8:9]
	s_cbranch_execnz .LBB4486_34
; %bb.35:
	s_or_b64 exec, exec, s[8:9]
.LBB4486_36:
	s_or_b64 exec, exec, s[6:7]
	v_and_b32_e32 v32, 63, v30
	v_cmp_ne_u32_e32 vcc, 63, v32
	v_addc_co_u32_e32 v26, vcc, 0, v30, vcc
	v_lshlrev_b32_e32 v33, 2, v26
	ds_bpermute_b32 v26, v33, v18
	v_mov_b32_e32 v1, 2
	v_cmp_eq_u16_sdwa s[6:7], v20, v1 src0_sel:BYTE_0 src1_sel:DWORD
	v_lshlrev_b64 v[16:17], v30, -1
	ds_bpermute_b32 v27, v33, v19
	v_and_b32_e32 v21, s7, v17
	v_or_b32_e32 v21, 0x80000000, v21
	s_waitcnt lgkmcnt(1)
	v_add_co_u32_e32 v26, vcc, v18, v26
	v_and_b32_e32 v25, s6, v16
	v_ffbl_b32_e32 v21, v21
	v_addc_co_u32_e32 v31, vcc, 0, v19, vcc
	v_add_u32_e32 v21, 32, v21
	v_ffbl_b32_e32 v25, v25
	v_add_co_u32_e32 v35, vcc, 0, v26
	v_cmp_gt_u32_e64 s[6:7], 62, v32
	v_min_u32_e32 v21, v25, v21
	s_waitcnt lgkmcnt(0)
	v_addc_co_u32_e32 v27, vcc, v27, v31, vcc
	v_cndmask_b32_e64 v31, 0, 1, s[6:7]
	v_cmp_lt_u32_e32 vcc, v32, v21
	v_lshlrev_b32_e32 v31, 1, v31
	v_cndmask_b32_e32 v26, v18, v26, vcc
	v_add_lshl_u32 v34, v31, v30, 2
	v_cndmask_b32_e32 v27, v19, v27, vcc
	ds_bpermute_b32 v31, v34, v26
	ds_bpermute_b32 v39, v34, v27
	v_cndmask_b32_e32 v40, v18, v35, vcc
	v_add_u32_e32 v35, 2, v32
	v_cmp_gt_u32_e64 s[8:9], 60, v32
	s_waitcnt lgkmcnt(1)
	v_add_co_u32_e64 v31, s[6:7], v31, v40
	s_waitcnt lgkmcnt(0)
	v_addc_co_u32_e64 v39, s[6:7], v39, v27, s[6:7]
	v_cmp_gt_u32_e64 s[6:7], v35, v21
	v_cndmask_b32_e64 v27, v39, v27, s[6:7]
	v_cndmask_b32_e64 v39, 0, 1, s[8:9]
	v_lshlrev_b32_e32 v39, 2, v39
	v_cndmask_b32_e64 v26, v31, v26, s[6:7]
	v_add_lshl_u32 v39, v39, v30, 2
	ds_bpermute_b32 v41, v39, v26
	ds_bpermute_b32 v42, v39, v27
	v_cndmask_b32_e64 v31, v31, v40, s[6:7]
	v_add_u32_e32 v40, 4, v32
	v_cmp_gt_u32_e64 s[8:9], 56, v32
	s_waitcnt lgkmcnt(1)
	v_add_co_u32_e64 v43, s[6:7], v41, v31
	s_waitcnt lgkmcnt(0)
	v_addc_co_u32_e64 v41, s[6:7], v42, v27, s[6:7]
	v_cmp_gt_u32_e64 s[6:7], v40, v21
	v_cndmask_b32_e64 v27, v41, v27, s[6:7]
	v_cndmask_b32_e64 v41, 0, 1, s[8:9]
	v_lshlrev_b32_e32 v41, 3, v41
	v_cndmask_b32_e64 v26, v43, v26, s[6:7]
	v_add_lshl_u32 v41, v41, v30, 2
	ds_bpermute_b32 v44, v41, v26
	v_cndmask_b32_e64 v31, v43, v31, s[6:7]
	ds_bpermute_b32 v43, v41, v27
	v_add_u32_e32 v42, 8, v32
	v_cmp_gt_u32_e64 s[8:9], 48, v32
	s_waitcnt lgkmcnt(1)
	v_add_co_u32_e64 v44, s[6:7], v44, v31
	s_waitcnt lgkmcnt(0)
	v_addc_co_u32_e64 v43, s[6:7], v43, v27, s[6:7]
	v_cmp_gt_u32_e64 s[6:7], v42, v21
	v_cndmask_b32_e64 v27, v43, v27, s[6:7]
	v_cndmask_b32_e64 v43, 0, 1, s[8:9]
	v_lshlrev_b32_e32 v43, 4, v43
	v_cndmask_b32_e64 v26, v44, v26, s[6:7]
	v_add_lshl_u32 v43, v43, v30, 2
	ds_bpermute_b32 v45, v43, v26
	ds_bpermute_b32 v46, v43, v27
	v_cndmask_b32_e64 v31, v44, v31, s[6:7]
	v_cmp_gt_u32_e64 s[8:9], 32, v32
	v_add_u32_e32 v44, 16, v32
	s_waitcnt lgkmcnt(1)
	v_add_co_u32_e64 v47, s[6:7], v45, v31
	s_waitcnt lgkmcnt(0)
	v_addc_co_u32_e64 v46, s[6:7], v46, v27, s[6:7]
	v_cndmask_b32_e64 v45, 0, 1, s[8:9]
	v_cmp_gt_u32_e64 s[6:7], v44, v21
	v_lshlrev_b32_e32 v45, 5, v45
	v_cndmask_b32_e64 v26, v47, v26, s[6:7]
	v_add_lshl_u32 v45, v45, v30, 2
	v_cndmask_b32_e64 v27, v46, v27, s[6:7]
	ds_bpermute_b32 v26, v45, v26
	ds_bpermute_b32 v30, v45, v27
	v_add_u32_e32 v46, 32, v32
	v_cndmask_b32_e64 v31, v47, v31, s[6:7]
	v_cmp_le_u32_e64 s[6:7], v46, v21
	s_waitcnt lgkmcnt(1)
	v_cndmask_b32_e64 v26, 0, v26, s[6:7]
	s_waitcnt lgkmcnt(0)
	v_cndmask_b32_e64 v21, 0, v30, s[6:7]
	v_add_co_u32_e64 v26, s[6:7], v26, v31
	v_addc_co_u32_e64 v21, s[6:7], v21, v27, s[6:7]
	v_mov_b32_e32 v25, 0
	v_cndmask_b32_e32 v19, v19, v21, vcc
	v_cndmask_b32_e32 v18, v18, v26, vcc
	s_branch .LBB4486_38
.LBB4486_37:                            ;   in Loop: Header=BB4486_38 Depth=1
	s_or_b64 exec, exec, s[6:7]
	v_cmp_eq_u16_sdwa s[6:7], v20, v1 src0_sel:BYTE_0 src1_sel:DWORD
	v_and_b32_e32 v21, s7, v17
	v_or_b32_e32 v21, 0x80000000, v21
	ds_bpermute_b32 v31, v33, v18
	v_and_b32_e32 v30, s6, v16
	v_ffbl_b32_e32 v21, v21
	v_add_u32_e32 v21, 32, v21
	v_ffbl_b32_e32 v30, v30
	v_min_u32_e32 v21, v30, v21
	ds_bpermute_b32 v30, v33, v19
	s_waitcnt lgkmcnt(1)
	v_add_co_u32_e32 v31, vcc, v18, v31
	v_addc_co_u32_e32 v47, vcc, 0, v19, vcc
	v_add_co_u32_e32 v48, vcc, 0, v31
	s_waitcnt lgkmcnt(0)
	v_addc_co_u32_e32 v30, vcc, v30, v47, vcc
	v_cmp_lt_u32_e32 vcc, v32, v21
	v_cndmask_b32_e32 v31, v18, v31, vcc
	ds_bpermute_b32 v47, v34, v31
	v_cndmask_b32_e32 v30, v19, v30, vcc
	ds_bpermute_b32 v49, v34, v30
	v_cndmask_b32_e32 v48, v18, v48, vcc
	v_subrev_u32_e32 v24, 64, v24
	s_waitcnt lgkmcnt(1)
	v_add_co_u32_e64 v47, s[6:7], v47, v48
	s_waitcnt lgkmcnt(0)
	v_addc_co_u32_e64 v49, s[6:7], v49, v30, s[6:7]
	v_cmp_gt_u32_e64 s[6:7], v35, v21
	v_cndmask_b32_e64 v31, v47, v31, s[6:7]
	ds_bpermute_b32 v50, v39, v31
	v_cndmask_b32_e64 v30, v49, v30, s[6:7]
	ds_bpermute_b32 v49, v39, v30
	v_cndmask_b32_e64 v47, v47, v48, s[6:7]
	s_waitcnt lgkmcnt(1)
	v_add_co_u32_e64 v48, s[6:7], v50, v47
	s_waitcnt lgkmcnt(0)
	v_addc_co_u32_e64 v49, s[6:7], v49, v30, s[6:7]
	v_cmp_gt_u32_e64 s[6:7], v40, v21
	v_cndmask_b32_e64 v31, v48, v31, s[6:7]
	ds_bpermute_b32 v50, v41, v31
	v_cndmask_b32_e64 v30, v49, v30, s[6:7]
	ds_bpermute_b32 v49, v41, v30
	v_cndmask_b32_e64 v47, v48, v47, s[6:7]
	;; [unrolled: 10-line block ×3, first 2 shown]
	s_waitcnt lgkmcnt(1)
	v_add_co_u32_e64 v48, s[6:7], v50, v47
	s_waitcnt lgkmcnt(0)
	v_addc_co_u32_e64 v49, s[6:7], v49, v30, s[6:7]
	v_cmp_gt_u32_e64 s[6:7], v44, v21
	v_cndmask_b32_e64 v31, v48, v31, s[6:7]
	v_cndmask_b32_e64 v30, v49, v30, s[6:7]
	ds_bpermute_b32 v31, v45, v31
	ds_bpermute_b32 v49, v45, v30
	v_cndmask_b32_e64 v47, v48, v47, s[6:7]
	v_cmp_le_u32_e64 s[6:7], v46, v21
	s_waitcnt lgkmcnt(1)
	v_cndmask_b32_e64 v31, 0, v31, s[6:7]
	s_waitcnt lgkmcnt(0)
	v_cndmask_b32_e64 v21, 0, v49, s[6:7]
	v_add_co_u32_e64 v31, s[6:7], v31, v47
	v_addc_co_u32_e64 v21, s[6:7], v21, v30, s[6:7]
	v_cndmask_b32_e32 v18, v18, v31, vcc
	v_cndmask_b32_e32 v19, v19, v21, vcc
	v_add_co_u32_e32 v18, vcc, v18, v26
	v_addc_co_u32_e32 v19, vcc, v19, v27, vcc
.LBB4486_38:                            ; =>This Loop Header: Depth=1
                                        ;     Child Loop BB4486_41 Depth 2
	v_cmp_ne_u16_sdwa s[6:7], v20, v1 src0_sel:BYTE_0 src1_sel:DWORD
	v_cndmask_b32_e64 v20, 0, 1, s[6:7]
	;;#ASMSTART
	;;#ASMEND
	v_cmp_ne_u32_e32 vcc, 0, v20
	s_cmp_lg_u64 vcc, exec
	v_pk_mov_b32 v[26:27], v[18:19], v[18:19] op_sel:[0,1]
	s_cbranch_scc1 .LBB4486_43
; %bb.39:                               ;   in Loop: Header=BB4486_38 Depth=1
	v_lshlrev_b64 v[18:19], 4, v[24:25]
	v_mov_b32_e32 v20, s11
	v_add_co_u32_e32 v30, vcc, s10, v18
	v_addc_co_u32_e32 v31, vcc, v20, v19, vcc
	;;#ASMSTART
	global_load_dwordx4 v[18:21], v[30:31] off glc	
s_waitcnt vmcnt(0)
	;;#ASMEND
	v_and_b32_e32 v21, 0xff, v19
	v_and_b32_e32 v47, 0xff00, v19
	v_or3_b32 v21, 0, v21, v47
	v_or3_b32 v18, v18, 0, 0
	v_and_b32_e32 v47, 0xff000000, v19
	v_and_b32_e32 v19, 0xff0000, v19
	v_or3_b32 v19, v21, v19, v47
	v_or3_b32 v18, v18, 0, 0
	v_cmp_eq_u16_sdwa s[8:9], v20, v25 src0_sel:BYTE_0 src1_sel:DWORD
	s_and_saveexec_b64 s[6:7], s[8:9]
	s_cbranch_execz .LBB4486_37
; %bb.40:                               ;   in Loop: Header=BB4486_38 Depth=1
	s_mov_b64 s[8:9], 0
.LBB4486_41:                            ;   Parent Loop BB4486_38 Depth=1
                                        ; =>  This Inner Loop Header: Depth=2
	;;#ASMSTART
	global_load_dwordx4 v[18:21], v[30:31] off glc	
s_waitcnt vmcnt(0)
	;;#ASMEND
	v_cmp_ne_u16_sdwa s[34:35], v20, v25 src0_sel:BYTE_0 src1_sel:DWORD
	s_or_b64 s[8:9], s[34:35], s[8:9]
	s_andn2_b64 exec, exec, s[8:9]
	s_cbranch_execnz .LBB4486_41
; %bb.42:                               ;   in Loop: Header=BB4486_38 Depth=1
	s_or_b64 exec, exec, s[8:9]
	s_branch .LBB4486_37
.LBB4486_43:                            ;   in Loop: Header=BB4486_38 Depth=1
                                        ; implicit-def: $vgpr18_vgpr19
                                        ; implicit-def: $vgpr20
	s_cbranch_execz .LBB4486_38
; %bb.44:
	s_and_saveexec_b64 s[6:7], s[4:5]
	s_cbranch_execz .LBB4486_46
; %bb.45:
	s_add_i32 s4, s33, 64
	s_mov_b32 s5, 0
	s_lshl_b64 s[4:5], s[4:5], 4
	s_add_u32 s4, s10, s4
	v_add_co_u32_e32 v14, vcc, v26, v14
	s_addc_u32 s5, s11, s5
	v_addc_co_u32_e32 v15, vcc, v27, v15, vcc
	v_mov_b32_e32 v16, 2
	v_mov_b32_e32 v17, 0
	v_pk_mov_b32 v[18:19], s[4:5], s[4:5] op_sel:[0,1]
	;;#ASMSTART
	global_store_dwordx4 v[18:19], v[14:17] off	
s_waitcnt vmcnt(0)
	;;#ASMEND
.LBB4486_46:
	s_or_b64 exec, exec, s[6:7]
	s_and_b64 exec, exec, s[2:3]
	s_cbranch_execz .LBB4486_48
; %bb.47:
	v_mov_b32_e32 v1, 0
	ds_write_b64 v1, v[26:27]
.LBB4486_48:
	s_or_b64 exec, exec, s[28:29]
	v_mov_b32_e32 v1, 0
	s_waitcnt lgkmcnt(0)
	s_barrier
	ds_read_b64 v[14:15], v1
	v_add_co_u32_e32 v1, vcc, v22, v2
	v_addc_co_u32_e32 v16, vcc, v23, v3, vcc
	s_waitcnt lgkmcnt(0)
	v_add_co_u32_e32 v24, vcc, v1, v14
	v_addc_co_u32_e32 v25, vcc, v16, v15, vcc
	v_add_co_u32_e32 v30, vcc, v24, v4
	v_addc_co_u32_e32 v31, vcc, v25, v5, vcc
	;; [unrolled: 2-line block ×7, first 2 shown]
	s_branch .LBB4486_63
.LBB4486_49:
                                        ; implicit-def: $vgpr22_vgpr23
                                        ; implicit-def: $vgpr34_vgpr35
                                        ; implicit-def: $vgpr32_vgpr33
                                        ; implicit-def: $vgpr30_vgpr31
                                        ; implicit-def: $vgpr18_vgpr19_vgpr20_vgpr21
                                        ; implicit-def: $vgpr14_vgpr15_vgpr16_vgpr17
                                        ; implicit-def: $vgpr24_vgpr25_vgpr26_vgpr27
	s_cbranch_execz .LBB4486_63
; %bb.50:
	s_cmp_lg_u64 s[16:17], 0
	s_cselect_b64 s[4:5], -1, 0
	s_and_b64 s[6:7], s[2:3], s[4:5]
	s_and_saveexec_b64 s[4:5], s[6:7]
	s_cbranch_execz .LBB4486_52
; %bb.51:
	v_mov_b32_e32 v1, 0
	global_load_dwordx2 v[14:15], v1, s[12:13]
	s_waitcnt vmcnt(0)
	v_add_co_u32_e32 v2, vcc, v14, v2
	v_addc_co_u32_e32 v3, vcc, v15, v3, vcc
.LBB4486_52:
	s_or_b64 exec, exec, s[4:5]
	v_add_co_u32_e32 v30, vcc, v4, v2
	v_addc_co_u32_e32 v31, vcc, v5, v3, vcc
	v_add_co_u32_e32 v14, vcc, v30, v10
	v_addc_co_u32_e32 v15, vcc, v31, v11, vcc
	;; [unrolled: 2-line block ×6, first 2 shown]
	v_add_lshl_u32 v1, v38, v0, 3
	v_cmp_gt_u32_e32 vcc, 64, v0
	ds_write_b64 v1, v[22:23]
	s_waitcnt lgkmcnt(0)
	s_barrier
	s_and_saveexec_b64 s[6:7], vcc
	s_cbranch_execz .LBB4486_56
; %bb.53:
	v_lshlrev_b32_e32 v1, 1, v0
	v_lshrrev_b32_e32 v16, 4, v0
	v_add_lshl_u32 v17, v16, v1, 3
	ds_read2_b64 v[24:27], v17 offset1:1
	v_mbcnt_lo_u32_b32 v1, -1, 0
	v_mbcnt_hi_u32_b32 v20, -1, v1
	v_and_b32_e32 v1, 15, v20
	v_cmp_ne_u32_e64 s[4:5], 0, v20
	s_waitcnt lgkmcnt(0)
	v_add_co_u32_e32 v21, vcc, v26, v24
	v_addc_co_u32_e32 v26, vcc, v27, v25, vcc
	s_nop 0
	v_mov_b32_dpp v16, v21 row_shr:1 row_mask:0xf bank_mask:0xf
	v_add_co_u32_e32 v16, vcc, v21, v16
	v_addc_co_u32_e32 v38, vcc, 0, v26, vcc
	v_mov_b32_dpp v27, v26 row_shr:1 row_mask:0xf bank_mask:0xf
	v_add_co_u32_e32 v39, vcc, 0, v16
	v_addc_co_u32_e32 v27, vcc, v27, v38, vcc
	v_cmp_eq_u32_e32 vcc, 0, v1
	v_cndmask_b32_e32 v16, v16, v21, vcc
	v_cndmask_b32_e32 v27, v27, v26, vcc
	v_cndmask_b32_e32 v38, v39, v21, vcc
	v_mov_b32_dpp v39, v16 row_shr:2 row_mask:0xf bank_mask:0xf
	v_mov_b32_dpp v40, v27 row_shr:2 row_mask:0xf bank_mask:0xf
	v_add_co_u32_e32 v39, vcc, v39, v38
	v_addc_co_u32_e32 v40, vcc, v40, v27, vcc
	v_cmp_lt_u32_e32 vcc, 1, v1
	v_cndmask_b32_e32 v16, v16, v39, vcc
	v_cndmask_b32_e32 v27, v27, v40, vcc
	v_cndmask_b32_e32 v38, v38, v39, vcc
	v_mov_b32_dpp v39, v16 row_shr:4 row_mask:0xf bank_mask:0xf
	v_mov_b32_dpp v40, v27 row_shr:4 row_mask:0xf bank_mask:0xf
	v_add_co_u32_e32 v39, vcc, v39, v38
	v_addc_co_u32_e32 v40, vcc, v40, v27, vcc
	v_cmp_lt_u32_e32 vcc, 3, v1
	;; [unrolled: 8-line block ×3, first 2 shown]
	v_cndmask_b32_e32 v41, v16, v39, vcc
	v_cndmask_b32_e32 v1, v27, v40, vcc
	;; [unrolled: 1-line block ×3, first 2 shown]
	v_mov_b32_dpp v27, v41 row_bcast:15 row_mask:0xf bank_mask:0xf
	v_mov_b32_dpp v38, v1 row_bcast:15 row_mask:0xf bank_mask:0xf
	v_add_co_u32_e32 v27, vcc, v27, v16
	v_and_b32_e32 v40, 16, v20
	v_addc_co_u32_e32 v39, vcc, v38, v1, vcc
	v_cmp_eq_u32_e32 vcc, 0, v40
	v_cndmask_b32_e32 v40, v39, v1, vcc
	v_cndmask_b32_e32 v38, v27, v41, vcc
	s_nop 0
	v_mov_b32_dpp v40, v40 row_bcast:31 row_mask:0xf bank_mask:0xf
	v_mov_b32_dpp v38, v38 row_bcast:31 row_mask:0xf bank_mask:0xf
	s_and_saveexec_b64 s[8:9], s[4:5]
; %bb.54:
	v_cndmask_b32_e32 v1, v39, v1, vcc
	v_cndmask_b32_e32 v16, v27, v16, vcc
	v_cmp_lt_u32_e32 vcc, 31, v20
	v_cndmask_b32_e32 v21, 0, v38, vcc
	v_cndmask_b32_e32 v26, 0, v40, vcc
	v_add_co_u32_e32 v21, vcc, v21, v16
	v_addc_co_u32_e32 v26, vcc, v26, v1, vcc
; %bb.55:
	s_or_b64 exec, exec, s[8:9]
	v_add_u32_e32 v1, -1, v20
	v_and_b32_e32 v16, 64, v20
	v_cmp_lt_i32_e32 vcc, v1, v16
	v_cndmask_b32_e32 v1, v1, v20, vcc
	v_lshlrev_b32_e32 v1, 2, v1
	ds_bpermute_b32 v16, v1, v21
	ds_bpermute_b32 v1, v1, v26
	; wave barrier
	s_waitcnt lgkmcnt(1)
	v_add_co_u32_e32 v16, vcc, v24, v16
	v_addc_co_u32_e32 v20, vcc, 0, v25, vcc
	v_add_co_u32_e32 v16, vcc, 0, v16
	s_waitcnt lgkmcnt(0)
	v_addc_co_u32_e32 v1, vcc, v20, v1, vcc
	v_cndmask_b32_e64 v21, v1, v23, s[2:3]
	v_cndmask_b32_e64 v20, v16, v22, s[2:3]
	ds_write_b64 v17, v[20:21]
	; wave barrier
	ds_read_b64 v[24:25], v17 offset:8
	s_waitcnt lgkmcnt(0)
	v_add_co_u32_e32 v20, vcc, v24, v20
	v_addc_co_u32_e32 v21, vcc, v25, v21, vcc
	ds_write_b64 v17, v[20:21] offset:8
.LBB4486_56:
	s_or_b64 exec, exec, s[6:7]
	v_pk_mov_b32 v[16:17], v[22:23], v[22:23] op_sel:[0,1]
	s_waitcnt lgkmcnt(0)
	s_barrier
	s_and_saveexec_b64 s[2:3], s[0:1]
	s_cbranch_execz .LBB4486_58
; %bb.57:
	v_add_u32_e32 v1, -1, v0
	v_lshrrev_b32_e32 v16, 5, v1
	v_add_lshl_u32 v1, v16, v1, 3
	ds_read_b64 v[16:17], v1
.LBB4486_58:
	s_or_b64 exec, exec, s[2:3]
	s_and_saveexec_b64 s[2:3], s[0:1]
	s_cbranch_execz .LBB4486_60
; %bb.59:
	s_waitcnt lgkmcnt(0)
	v_add_co_u32_e32 v2, vcc, v16, v2
	v_addc_co_u32_e32 v3, vcc, v17, v3, vcc
	v_add_co_u32_e32 v30, vcc, v2, v4
	v_addc_co_u32_e32 v31, vcc, v3, v5, vcc
	;; [unrolled: 2-line block ×7, first 2 shown]
	;;#ASMSTART
	;;#ASMEND
.LBB4486_60:
	s_or_b64 exec, exec, s[2:3]
	s_movk_i32 s0, 0x7f
	v_cmp_eq_u32_e32 vcc, s0, v0
	s_and_saveexec_b64 s[0:1], vcc
	s_cbranch_execz .LBB4486_62
; %bb.61:
	s_add_u32 s2, s10, 0x400
	s_addc_u32 s3, s11, 0
	v_mov_b32_e32 v24, 2
	v_mov_b32_e32 v25, 0
	v_pk_mov_b32 v[4:5], s[2:3], s[2:3] op_sel:[0,1]
	;;#ASMSTART
	global_store_dwordx4 v[4:5], v[22:25] off	
s_waitcnt vmcnt(0)
	;;#ASMEND
.LBB4486_62:
	s_or_b64 exec, exec, s[0:1]
	v_pk_mov_b32 v[24:25], v[2:3], v[2:3] op_sel:[0,1]
.LBB4486_63:
	s_add_u32 s0, s24, s22
	s_addc_u32 s1, s25, s23
	s_add_u32 s2, s0, s26
	s_addc_u32 s3, s1, s27
	s_mov_b64 s[0:1], -1
	s_and_b64 vcc, exec, s[20:21]
	v_mul_u32_u24_e32 v1, 56, v0
	s_waitcnt lgkmcnt(0)
	s_barrier
	s_cbranch_vccz .LBB4486_65
; %bb.64:
	v_mul_i32_i24_e32 v2, 0xffffffd0, v0
	v_mad_u32_u24 v16, v0, 56, v2
	ds_write2_b64 v1, v[24:25], v[30:31] offset1:1
	ds_write2_b64 v1, v[14:15], v[32:33] offset0:2 offset1:3
	ds_write2_b64 v1, v[18:19], v[34:35] offset0:4 offset1:5
	ds_write_b64 v1, v[22:23] offset:48
	s_waitcnt lgkmcnt(0)
	s_barrier
	ds_read2st64_b64 v[2:5], v16 offset1:2
	ds_read2st64_b64 v[6:9], v16 offset0:4 offset1:6
	ds_read2st64_b64 v[10:13], v16 offset0:8 offset1:10
	ds_read_b64 v[16:17], v16 offset:6144
	v_mov_b32_e32 v21, s3
	v_add_co_u32_e32 v20, vcc, s2, v36
	v_addc_co_u32_e32 v21, vcc, 0, v21, vcc
	s_waitcnt lgkmcnt(3)
	flat_store_dwordx2 v[20:21], v[2:3]
	flat_store_dwordx2 v[20:21], v[4:5] offset:1024
	s_waitcnt lgkmcnt(0)
	flat_store_dwordx2 v[20:21], v[6:7] offset:2048
	flat_store_dwordx2 v[20:21], v[8:9] offset:3072
	v_add_co_u32_e32 v2, vcc, 0x1000, v20
	v_addc_co_u32_e32 v3, vcc, 0, v21, vcc
	flat_store_dwordx2 v[2:3], v[10:11]
	flat_store_dwordx2 v[2:3], v[12:13] offset:1024
	flat_store_dwordx2 v[2:3], v[16:17] offset:2048
	s_mov_b64 s[0:1], 0
.LBB4486_65:
	s_andn2_b64 vcc, exec, s[0:1]
	s_cbranch_vccnz .LBB4486_104
; %bb.66:
	v_mul_i32_i24_e32 v2, 0xffffffd0, v0
	ds_write2_b64 v1, v[24:25], v[30:31] offset1:1
	ds_write2_b64 v1, v[14:15], v[32:33] offset0:2 offset1:3
	ds_write2_b64 v1, v[18:19], v[34:35] offset0:4 offset1:5
	ds_write_b64 v1, v[22:23] offset:48
	v_mad_u32_u24 v14, v0, 56, v2
	s_waitcnt lgkmcnt(0)
	s_barrier
	ds_read2st64_b64 v[2:5], v14 offset1:2
	ds_read2st64_b64 v[6:9], v14 offset0:4 offset1:6
	ds_read2st64_b64 v[10:13], v14 offset0:8 offset1:10
	ds_read_b64 v[14:15], v14 offset:6144
	v_mov_b32_e32 v17, s3
	v_add_co_u32_e32 v16, vcc, s2, v36
	v_addc_co_u32_e32 v17, vcc, 0, v17, vcc
	v_mov_b32_e32 v1, 0
	v_cmp_gt_u32_e32 vcc, s30, v0
	s_and_saveexec_b64 s[0:1], vcc
	s_cbranch_execz .LBB4486_68
; %bb.67:
	s_waitcnt lgkmcnt(0)
	flat_store_dwordx2 v[16:17], v[2:3]
.LBB4486_68:
	s_or_b64 exec, exec, s[0:1]
	v_or_b32_e32 v18, 0x80, v0
	v_cmp_gt_u32_e32 vcc, s30, v18
	s_and_saveexec_b64 s[0:1], vcc
	s_cbranch_execz .LBB4486_70
; %bb.69:
	s_waitcnt lgkmcnt(0)
	flat_store_dwordx2 v[16:17], v[4:5] offset:1024
.LBB4486_70:
	s_or_b64 exec, exec, s[0:1]
	v_or_b32_e32 v18, 0x100, v0
	v_cmp_gt_u32_e32 vcc, s30, v18
	s_and_saveexec_b64 s[0:1], vcc
	s_cbranch_execz .LBB4486_72
; %bb.71:
	s_waitcnt lgkmcnt(0)
	flat_store_dwordx2 v[16:17], v[6:7] offset:2048
.LBB4486_72:
	;; [unrolled: 9-line block ×3, first 2 shown]
	s_or_b64 exec, exec, s[0:1]
	v_or_b32_e32 v18, 0x200, v0
	v_cmp_gt_u32_e32 vcc, s30, v18
	s_and_saveexec_b64 s[0:1], vcc
	s_cbranch_execz .LBB4486_76
; %bb.75:
	v_add_co_u32_e32 v18, vcc, 0x1000, v16
	v_addc_co_u32_e32 v19, vcc, 0, v17, vcc
	s_waitcnt lgkmcnt(0)
	flat_store_dwordx2 v[18:19], v[10:11]
.LBB4486_76:
	s_or_b64 exec, exec, s[0:1]
	v_or_b32_e32 v18, 0x280, v0
	v_cmp_gt_u32_e32 vcc, s30, v18
	s_and_saveexec_b64 s[0:1], vcc
	s_cbranch_execz .LBB4486_78
; %bb.77:
	v_add_co_u32_e32 v18, vcc, 0x1000, v16
	v_addc_co_u32_e32 v19, vcc, 0, v17, vcc
	s_waitcnt lgkmcnt(0)
	flat_store_dwordx2 v[18:19], v[12:13] offset:1024
.LBB4486_78:
	s_or_b64 exec, exec, s[0:1]
	v_or_b32_e32 v18, 0x300, v0
	v_cmp_gt_u32_e32 vcc, s30, v18
	s_and_saveexec_b64 s[0:1], vcc
	s_cbranch_execz .LBB4486_80
; %bb.79:
	v_add_co_u32_e32 v16, vcc, 0x1000, v16
	v_addc_co_u32_e32 v17, vcc, 0, v17, vcc
	s_waitcnt lgkmcnt(0)
	flat_store_dwordx2 v[16:17], v[14:15] offset:2048
.LBB4486_80:
	s_or_b64 exec, exec, s[0:1]
	v_cmp_lt_u64_e64 s[0:1], s[18:19], 2
	s_and_b64 vcc, exec, s[0:1]
	s_cbranch_vccnz .LBB4486_104
; %bb.81:
	s_add_u32 s0, s30, -1
	s_addc_u32 s1, s31, -1
	s_add_u32 s2, 0, 0x92481000
	s_addc_u32 s3, 0, 0x64
	s_add_i32 s3, s3, 0x249248c0
	s_mul_hi_u32 s7, s2, -7
	s_sub_i32 s7, s7, s2
	s_mul_i32 s8, s3, -7
	s_mul_i32 s4, s2, -7
	s_add_i32 s7, s7, s8
	s_mul_hi_u32 s5, s3, s4
	s_mul_i32 s6, s3, s4
	s_mul_i32 s9, s2, s7
	s_mul_hi_u32 s4, s2, s4
	s_mul_hi_u32 s8, s2, s7
	s_add_u32 s4, s4, s9
	s_addc_u32 s8, 0, s8
	s_add_u32 s4, s4, s6
	s_mul_hi_u32 s9, s3, s7
	s_addc_u32 s4, s8, s5
	s_addc_u32 s5, s9, 0
	s_mul_i32 s6, s3, s7
	s_add_u32 s4, s4, s6
	v_mov_b32_e32 v16, s4
	s_addc_u32 s5, 0, s5
	v_add_co_u32_e32 v16, vcc, s2, v16
	s_cmp_lg_u64 vcc, 0
	s_addc_u32 s2, s3, s5
	v_readfirstlane_b32 s5, v16
	s_mul_i32 s4, s0, s2
	s_mul_hi_u32 s6, s0, s5
	s_mul_hi_u32 s3, s0, s2
	s_add_u32 s4, s6, s4
	s_addc_u32 s3, 0, s3
	s_mul_hi_u32 s7, s1, s5
	s_mul_i32 s5, s1, s5
	s_add_u32 s4, s4, s5
	s_mul_hi_u32 s6, s1, s2
	s_addc_u32 s3, s3, s7
	s_addc_u32 s4, s6, 0
	s_mul_i32 s2, s1, s2
	s_add_u32 s2, s3, s2
	s_addc_u32 s3, 0, s4
	s_add_u32 s4, s2, 1
	s_addc_u32 s5, s3, 0
	s_add_u32 s6, s2, 2
	s_mul_i32 s8, s3, 7
	s_mul_hi_u32 s9, s2, 7
	s_addc_u32 s7, s3, 0
	s_add_i32 s9, s9, s8
	s_mul_i32 s8, s2, 7
	v_mov_b32_e32 v16, s8
	v_sub_co_u32_e32 v16, vcc, s0, v16
	s_cmp_lg_u64 vcc, 0
	s_subb_u32 s8, s1, s9
	v_subrev_co_u32_e32 v17, vcc, 7, v16
	s_cmp_lg_u64 vcc, 0
	s_subb_u32 s9, s8, 0
	v_readfirstlane_b32 s10, v17
	s_cmp_gt_u32 s10, 6
	s_cselect_b32 s10, -1, 0
	s_cmp_eq_u32 s9, 0
	s_cselect_b32 s9, s10, -1
	s_cmp_lg_u32 s9, 0
	s_cselect_b32 s4, s6, s4
	v_readfirstlane_b32 s6, v16
	s_cselect_b32 s5, s7, s5
	s_cmp_gt_u32 s6, 6
	s_cselect_b32 s6, -1, 0
	s_cmp_eq_u32 s8, 0
	s_cselect_b32 s6, s6, -1
	s_cmp_lg_u32 s6, 0
	s_cselect_b32 s3, s5, s3
	s_cselect_b32 s2, s4, s2
	v_cmp_eq_u64_e32 vcc, s[2:3], v[0:1]
	s_and_saveexec_b64 s[2:3], vcc
	s_cbranch_execz .LBB4486_104
; %bb.82:
	v_mul_hi_u32_u24_e32 v1, 7, v0
	v_mov_b32_e32 v16, s1
	v_sub_co_u32_e32 v0, vcc, s0, v37
	v_subb_co_u32_e32 v1, vcc, v16, v1, vcc
	v_cmp_lt_i64_e32 vcc, 3, v[0:1]
	s_and_saveexec_b64 s[0:1], vcc
	s_xor_b64 s[0:1], exec, s[0:1]
	s_cbranch_execz .LBB4486_92
; %bb.83:
	v_cmp_lt_i64_e32 vcc, 4, v[0:1]
	s_and_saveexec_b64 s[2:3], vcc
	s_xor_b64 s[2:3], exec, s[2:3]
	s_cbranch_execz .LBB4486_89
; %bb.84:
	;; [unrolled: 5-line block ×3, first 2 shown]
	v_mov_b32_e32 v0, 0
	s_waitcnt lgkmcnt(0)
	global_store_dwordx2 v0, v[14:15], s[14:15]
                                        ; implicit-def: $vgpr10_vgpr11_vgpr12_vgpr13
.LBB4486_86:
	s_andn2_saveexec_b64 s[4:5], s[4:5]
	s_cbranch_execz .LBB4486_88
; %bb.87:
	v_mov_b32_e32 v0, 0
	s_waitcnt lgkmcnt(0)
	global_store_dwordx2 v0, v[12:13], s[14:15]
.LBB4486_88:
	s_or_b64 exec, exec, s[4:5]
                                        ; implicit-def: $vgpr10_vgpr11_vgpr12_vgpr13
.LBB4486_89:
	s_andn2_saveexec_b64 s[2:3], s[2:3]
	s_cbranch_execz .LBB4486_91
; %bb.90:
	v_mov_b32_e32 v0, 0
	s_waitcnt lgkmcnt(0)
	global_store_dwordx2 v0, v[10:11], s[14:15]
.LBB4486_91:
	s_or_b64 exec, exec, s[2:3]
                                        ; implicit-def: $vgpr0_vgpr1
                                        ; implicit-def: $vgpr2_vgpr3_vgpr4_vgpr5
                                        ; implicit-def: $vgpr6_vgpr7_vgpr8_vgpr9
.LBB4486_92:
	s_andn2_saveexec_b64 s[0:1], s[0:1]
	s_cbranch_execz .LBB4486_104
; %bb.93:
	v_cmp_lt_i64_e32 vcc, 1, v[0:1]
	s_and_saveexec_b64 s[0:1], vcc
	s_xor_b64 s[0:1], exec, s[0:1]
	s_cbranch_execz .LBB4486_99
; %bb.94:
	v_cmp_lt_i64_e32 vcc, 2, v[0:1]
	s_and_saveexec_b64 s[2:3], vcc
	s_xor_b64 s[2:3], exec, s[2:3]
	s_cbranch_execz .LBB4486_96
; %bb.95:
	v_mov_b32_e32 v0, 0
	s_waitcnt lgkmcnt(0)
	global_store_dwordx2 v0, v[8:9], s[14:15]
                                        ; implicit-def: $vgpr6_vgpr7_vgpr8_vgpr9
.LBB4486_96:
	s_andn2_saveexec_b64 s[2:3], s[2:3]
	s_cbranch_execz .LBB4486_98
; %bb.97:
	v_mov_b32_e32 v0, 0
	s_waitcnt lgkmcnt(0)
	global_store_dwordx2 v0, v[6:7], s[14:15]
.LBB4486_98:
	s_or_b64 exec, exec, s[2:3]
                                        ; implicit-def: $vgpr2_vgpr3_vgpr4_vgpr5
                                        ; implicit-def: $vgpr0_vgpr1
.LBB4486_99:
	s_andn2_saveexec_b64 s[0:1], s[0:1]
	s_cbranch_execz .LBB4486_104
; %bb.100:
	v_cmp_ne_u64_e32 vcc, 1, v[0:1]
	s_and_saveexec_b64 s[0:1], vcc
	s_xor_b64 s[0:1], exec, s[0:1]
	s_cbranch_execz .LBB4486_102
; %bb.101:
	v_mov_b32_e32 v0, 0
	s_waitcnt lgkmcnt(0)
	global_store_dwordx2 v0, v[2:3], s[14:15]
                                        ; implicit-def: $vgpr2_vgpr3_vgpr4_vgpr5
.LBB4486_102:
	s_andn2_saveexec_b64 s[0:1], s[0:1]
	s_cbranch_execz .LBB4486_104
; %bb.103:
	v_mov_b32_e32 v0, 0
	s_waitcnt lgkmcnt(0)
	global_store_dwordx2 v0, v[4:5], s[14:15]
.LBB4486_104:
	s_endpgm
	.section	.rodata,"a",@progbits
	.p2align	6, 0x0
	.amdhsa_kernel _ZN7rocprim17ROCPRIM_400000_NS6detail17trampoline_kernelINS0_14default_configENS1_20scan_config_selectorIyEEZZNS1_9scan_implILNS1_25lookback_scan_determinismE0ELb0ELb0ES3_N6thrust23THRUST_200600_302600_NS6detail15normal_iteratorINS9_10device_ptrIyEEEESE_yNS9_4plusIvEEyEEDaPvRmT3_T4_T5_mT6_P12ihipStream_tbENKUlT_T0_E_clISt17integral_constantIbLb0EEST_IbLb1EEEEDaSP_SQ_EUlSP_E_NS1_11comp_targetILNS1_3genE4ELNS1_11target_archE910ELNS1_3gpuE8ELNS1_3repE0EEENS1_30default_config_static_selectorELNS0_4arch9wavefront6targetE1EEEvT1_
		.amdhsa_group_segment_fixed_size 7168
		.amdhsa_private_segment_fixed_size 0
		.amdhsa_kernarg_size 104
		.amdhsa_user_sgpr_count 6
		.amdhsa_user_sgpr_private_segment_buffer 1
		.amdhsa_user_sgpr_dispatch_ptr 0
		.amdhsa_user_sgpr_queue_ptr 0
		.amdhsa_user_sgpr_kernarg_segment_ptr 1
		.amdhsa_user_sgpr_dispatch_id 0
		.amdhsa_user_sgpr_flat_scratch_init 0
		.amdhsa_user_sgpr_kernarg_preload_length 0
		.amdhsa_user_sgpr_kernarg_preload_offset 0
		.amdhsa_user_sgpr_private_segment_size 0
		.amdhsa_uses_dynamic_stack 0
		.amdhsa_system_sgpr_private_segment_wavefront_offset 0
		.amdhsa_system_sgpr_workgroup_id_x 1
		.amdhsa_system_sgpr_workgroup_id_y 0
		.amdhsa_system_sgpr_workgroup_id_z 0
		.amdhsa_system_sgpr_workgroup_info 0
		.amdhsa_system_vgpr_workitem_id 0
		.amdhsa_next_free_vgpr 51
		.amdhsa_next_free_sgpr 36
		.amdhsa_accum_offset 52
		.amdhsa_reserve_vcc 1
		.amdhsa_reserve_flat_scratch 0
		.amdhsa_float_round_mode_32 0
		.amdhsa_float_round_mode_16_64 0
		.amdhsa_float_denorm_mode_32 3
		.amdhsa_float_denorm_mode_16_64 3
		.amdhsa_dx10_clamp 1
		.amdhsa_ieee_mode 1
		.amdhsa_fp16_overflow 0
		.amdhsa_tg_split 0
		.amdhsa_exception_fp_ieee_invalid_op 0
		.amdhsa_exception_fp_denorm_src 0
		.amdhsa_exception_fp_ieee_div_zero 0
		.amdhsa_exception_fp_ieee_overflow 0
		.amdhsa_exception_fp_ieee_underflow 0
		.amdhsa_exception_fp_ieee_inexact 0
		.amdhsa_exception_int_div_zero 0
	.end_amdhsa_kernel
	.section	.text._ZN7rocprim17ROCPRIM_400000_NS6detail17trampoline_kernelINS0_14default_configENS1_20scan_config_selectorIyEEZZNS1_9scan_implILNS1_25lookback_scan_determinismE0ELb0ELb0ES3_N6thrust23THRUST_200600_302600_NS6detail15normal_iteratorINS9_10device_ptrIyEEEESE_yNS9_4plusIvEEyEEDaPvRmT3_T4_T5_mT6_P12ihipStream_tbENKUlT_T0_E_clISt17integral_constantIbLb0EEST_IbLb1EEEEDaSP_SQ_EUlSP_E_NS1_11comp_targetILNS1_3genE4ELNS1_11target_archE910ELNS1_3gpuE8ELNS1_3repE0EEENS1_30default_config_static_selectorELNS0_4arch9wavefront6targetE1EEEvT1_,"axG",@progbits,_ZN7rocprim17ROCPRIM_400000_NS6detail17trampoline_kernelINS0_14default_configENS1_20scan_config_selectorIyEEZZNS1_9scan_implILNS1_25lookback_scan_determinismE0ELb0ELb0ES3_N6thrust23THRUST_200600_302600_NS6detail15normal_iteratorINS9_10device_ptrIyEEEESE_yNS9_4plusIvEEyEEDaPvRmT3_T4_T5_mT6_P12ihipStream_tbENKUlT_T0_E_clISt17integral_constantIbLb0EEST_IbLb1EEEEDaSP_SQ_EUlSP_E_NS1_11comp_targetILNS1_3genE4ELNS1_11target_archE910ELNS1_3gpuE8ELNS1_3repE0EEENS1_30default_config_static_selectorELNS0_4arch9wavefront6targetE1EEEvT1_,comdat
.Lfunc_end4486:
	.size	_ZN7rocprim17ROCPRIM_400000_NS6detail17trampoline_kernelINS0_14default_configENS1_20scan_config_selectorIyEEZZNS1_9scan_implILNS1_25lookback_scan_determinismE0ELb0ELb0ES3_N6thrust23THRUST_200600_302600_NS6detail15normal_iteratorINS9_10device_ptrIyEEEESE_yNS9_4plusIvEEyEEDaPvRmT3_T4_T5_mT6_P12ihipStream_tbENKUlT_T0_E_clISt17integral_constantIbLb0EEST_IbLb1EEEEDaSP_SQ_EUlSP_E_NS1_11comp_targetILNS1_3genE4ELNS1_11target_archE910ELNS1_3gpuE8ELNS1_3repE0EEENS1_30default_config_static_selectorELNS0_4arch9wavefront6targetE1EEEvT1_, .Lfunc_end4486-_ZN7rocprim17ROCPRIM_400000_NS6detail17trampoline_kernelINS0_14default_configENS1_20scan_config_selectorIyEEZZNS1_9scan_implILNS1_25lookback_scan_determinismE0ELb0ELb0ES3_N6thrust23THRUST_200600_302600_NS6detail15normal_iteratorINS9_10device_ptrIyEEEESE_yNS9_4plusIvEEyEEDaPvRmT3_T4_T5_mT6_P12ihipStream_tbENKUlT_T0_E_clISt17integral_constantIbLb0EEST_IbLb1EEEEDaSP_SQ_EUlSP_E_NS1_11comp_targetILNS1_3genE4ELNS1_11target_archE910ELNS1_3gpuE8ELNS1_3repE0EEENS1_30default_config_static_selectorELNS0_4arch9wavefront6targetE1EEEvT1_
                                        ; -- End function
	.section	.AMDGPU.csdata,"",@progbits
; Kernel info:
; codeLenInByte = 5700
; NumSgprs: 40
; NumVgprs: 51
; NumAgprs: 0
; TotalNumVgprs: 51
; ScratchSize: 0
; MemoryBound: 0
; FloatMode: 240
; IeeeMode: 1
; LDSByteSize: 7168 bytes/workgroup (compile time only)
; SGPRBlocks: 4
; VGPRBlocks: 6
; NumSGPRsForWavesPerEU: 40
; NumVGPRsForWavesPerEU: 51
; AccumOffset: 52
; Occupancy: 5
; WaveLimiterHint : 1
; COMPUTE_PGM_RSRC2:SCRATCH_EN: 0
; COMPUTE_PGM_RSRC2:USER_SGPR: 6
; COMPUTE_PGM_RSRC2:TRAP_HANDLER: 0
; COMPUTE_PGM_RSRC2:TGID_X_EN: 1
; COMPUTE_PGM_RSRC2:TGID_Y_EN: 0
; COMPUTE_PGM_RSRC2:TGID_Z_EN: 0
; COMPUTE_PGM_RSRC2:TIDIG_COMP_CNT: 0
; COMPUTE_PGM_RSRC3_GFX90A:ACCUM_OFFSET: 12
; COMPUTE_PGM_RSRC3_GFX90A:TG_SPLIT: 0
	.section	.text._ZN7rocprim17ROCPRIM_400000_NS6detail17trampoline_kernelINS0_14default_configENS1_20scan_config_selectorIyEEZZNS1_9scan_implILNS1_25lookback_scan_determinismE0ELb0ELb0ES3_N6thrust23THRUST_200600_302600_NS6detail15normal_iteratorINS9_10device_ptrIyEEEESE_yNS9_4plusIvEEyEEDaPvRmT3_T4_T5_mT6_P12ihipStream_tbENKUlT_T0_E_clISt17integral_constantIbLb0EEST_IbLb1EEEEDaSP_SQ_EUlSP_E_NS1_11comp_targetILNS1_3genE3ELNS1_11target_archE908ELNS1_3gpuE7ELNS1_3repE0EEENS1_30default_config_static_selectorELNS0_4arch9wavefront6targetE1EEEvT1_,"axG",@progbits,_ZN7rocprim17ROCPRIM_400000_NS6detail17trampoline_kernelINS0_14default_configENS1_20scan_config_selectorIyEEZZNS1_9scan_implILNS1_25lookback_scan_determinismE0ELb0ELb0ES3_N6thrust23THRUST_200600_302600_NS6detail15normal_iteratorINS9_10device_ptrIyEEEESE_yNS9_4plusIvEEyEEDaPvRmT3_T4_T5_mT6_P12ihipStream_tbENKUlT_T0_E_clISt17integral_constantIbLb0EEST_IbLb1EEEEDaSP_SQ_EUlSP_E_NS1_11comp_targetILNS1_3genE3ELNS1_11target_archE908ELNS1_3gpuE7ELNS1_3repE0EEENS1_30default_config_static_selectorELNS0_4arch9wavefront6targetE1EEEvT1_,comdat
	.protected	_ZN7rocprim17ROCPRIM_400000_NS6detail17trampoline_kernelINS0_14default_configENS1_20scan_config_selectorIyEEZZNS1_9scan_implILNS1_25lookback_scan_determinismE0ELb0ELb0ES3_N6thrust23THRUST_200600_302600_NS6detail15normal_iteratorINS9_10device_ptrIyEEEESE_yNS9_4plusIvEEyEEDaPvRmT3_T4_T5_mT6_P12ihipStream_tbENKUlT_T0_E_clISt17integral_constantIbLb0EEST_IbLb1EEEEDaSP_SQ_EUlSP_E_NS1_11comp_targetILNS1_3genE3ELNS1_11target_archE908ELNS1_3gpuE7ELNS1_3repE0EEENS1_30default_config_static_selectorELNS0_4arch9wavefront6targetE1EEEvT1_ ; -- Begin function _ZN7rocprim17ROCPRIM_400000_NS6detail17trampoline_kernelINS0_14default_configENS1_20scan_config_selectorIyEEZZNS1_9scan_implILNS1_25lookback_scan_determinismE0ELb0ELb0ES3_N6thrust23THRUST_200600_302600_NS6detail15normal_iteratorINS9_10device_ptrIyEEEESE_yNS9_4plusIvEEyEEDaPvRmT3_T4_T5_mT6_P12ihipStream_tbENKUlT_T0_E_clISt17integral_constantIbLb0EEST_IbLb1EEEEDaSP_SQ_EUlSP_E_NS1_11comp_targetILNS1_3genE3ELNS1_11target_archE908ELNS1_3gpuE7ELNS1_3repE0EEENS1_30default_config_static_selectorELNS0_4arch9wavefront6targetE1EEEvT1_
	.globl	_ZN7rocprim17ROCPRIM_400000_NS6detail17trampoline_kernelINS0_14default_configENS1_20scan_config_selectorIyEEZZNS1_9scan_implILNS1_25lookback_scan_determinismE0ELb0ELb0ES3_N6thrust23THRUST_200600_302600_NS6detail15normal_iteratorINS9_10device_ptrIyEEEESE_yNS9_4plusIvEEyEEDaPvRmT3_T4_T5_mT6_P12ihipStream_tbENKUlT_T0_E_clISt17integral_constantIbLb0EEST_IbLb1EEEEDaSP_SQ_EUlSP_E_NS1_11comp_targetILNS1_3genE3ELNS1_11target_archE908ELNS1_3gpuE7ELNS1_3repE0EEENS1_30default_config_static_selectorELNS0_4arch9wavefront6targetE1EEEvT1_
	.p2align	8
	.type	_ZN7rocprim17ROCPRIM_400000_NS6detail17trampoline_kernelINS0_14default_configENS1_20scan_config_selectorIyEEZZNS1_9scan_implILNS1_25lookback_scan_determinismE0ELb0ELb0ES3_N6thrust23THRUST_200600_302600_NS6detail15normal_iteratorINS9_10device_ptrIyEEEESE_yNS9_4plusIvEEyEEDaPvRmT3_T4_T5_mT6_P12ihipStream_tbENKUlT_T0_E_clISt17integral_constantIbLb0EEST_IbLb1EEEEDaSP_SQ_EUlSP_E_NS1_11comp_targetILNS1_3genE3ELNS1_11target_archE908ELNS1_3gpuE7ELNS1_3repE0EEENS1_30default_config_static_selectorELNS0_4arch9wavefront6targetE1EEEvT1_,@function
_ZN7rocprim17ROCPRIM_400000_NS6detail17trampoline_kernelINS0_14default_configENS1_20scan_config_selectorIyEEZZNS1_9scan_implILNS1_25lookback_scan_determinismE0ELb0ELb0ES3_N6thrust23THRUST_200600_302600_NS6detail15normal_iteratorINS9_10device_ptrIyEEEESE_yNS9_4plusIvEEyEEDaPvRmT3_T4_T5_mT6_P12ihipStream_tbENKUlT_T0_E_clISt17integral_constantIbLb0EEST_IbLb1EEEEDaSP_SQ_EUlSP_E_NS1_11comp_targetILNS1_3genE3ELNS1_11target_archE908ELNS1_3gpuE7ELNS1_3repE0EEENS1_30default_config_static_selectorELNS0_4arch9wavefront6targetE1EEEvT1_: ; @_ZN7rocprim17ROCPRIM_400000_NS6detail17trampoline_kernelINS0_14default_configENS1_20scan_config_selectorIyEEZZNS1_9scan_implILNS1_25lookback_scan_determinismE0ELb0ELb0ES3_N6thrust23THRUST_200600_302600_NS6detail15normal_iteratorINS9_10device_ptrIyEEEESE_yNS9_4plusIvEEyEEDaPvRmT3_T4_T5_mT6_P12ihipStream_tbENKUlT_T0_E_clISt17integral_constantIbLb0EEST_IbLb1EEEEDaSP_SQ_EUlSP_E_NS1_11comp_targetILNS1_3genE3ELNS1_11target_archE908ELNS1_3gpuE7ELNS1_3repE0EEENS1_30default_config_static_selectorELNS0_4arch9wavefront6targetE1EEEvT1_
; %bb.0:
	.section	.rodata,"a",@progbits
	.p2align	6, 0x0
	.amdhsa_kernel _ZN7rocprim17ROCPRIM_400000_NS6detail17trampoline_kernelINS0_14default_configENS1_20scan_config_selectorIyEEZZNS1_9scan_implILNS1_25lookback_scan_determinismE0ELb0ELb0ES3_N6thrust23THRUST_200600_302600_NS6detail15normal_iteratorINS9_10device_ptrIyEEEESE_yNS9_4plusIvEEyEEDaPvRmT3_T4_T5_mT6_P12ihipStream_tbENKUlT_T0_E_clISt17integral_constantIbLb0EEST_IbLb1EEEEDaSP_SQ_EUlSP_E_NS1_11comp_targetILNS1_3genE3ELNS1_11target_archE908ELNS1_3gpuE7ELNS1_3repE0EEENS1_30default_config_static_selectorELNS0_4arch9wavefront6targetE1EEEvT1_
		.amdhsa_group_segment_fixed_size 0
		.amdhsa_private_segment_fixed_size 0
		.amdhsa_kernarg_size 104
		.amdhsa_user_sgpr_count 6
		.amdhsa_user_sgpr_private_segment_buffer 1
		.amdhsa_user_sgpr_dispatch_ptr 0
		.amdhsa_user_sgpr_queue_ptr 0
		.amdhsa_user_sgpr_kernarg_segment_ptr 1
		.amdhsa_user_sgpr_dispatch_id 0
		.amdhsa_user_sgpr_flat_scratch_init 0
		.amdhsa_user_sgpr_kernarg_preload_length 0
		.amdhsa_user_sgpr_kernarg_preload_offset 0
		.amdhsa_user_sgpr_private_segment_size 0
		.amdhsa_uses_dynamic_stack 0
		.amdhsa_system_sgpr_private_segment_wavefront_offset 0
		.amdhsa_system_sgpr_workgroup_id_x 1
		.amdhsa_system_sgpr_workgroup_id_y 0
		.amdhsa_system_sgpr_workgroup_id_z 0
		.amdhsa_system_sgpr_workgroup_info 0
		.amdhsa_system_vgpr_workitem_id 0
		.amdhsa_next_free_vgpr 1
		.amdhsa_next_free_sgpr 0
		.amdhsa_accum_offset 4
		.amdhsa_reserve_vcc 0
		.amdhsa_reserve_flat_scratch 0
		.amdhsa_float_round_mode_32 0
		.amdhsa_float_round_mode_16_64 0
		.amdhsa_float_denorm_mode_32 3
		.amdhsa_float_denorm_mode_16_64 3
		.amdhsa_dx10_clamp 1
		.amdhsa_ieee_mode 1
		.amdhsa_fp16_overflow 0
		.amdhsa_tg_split 0
		.amdhsa_exception_fp_ieee_invalid_op 0
		.amdhsa_exception_fp_denorm_src 0
		.amdhsa_exception_fp_ieee_div_zero 0
		.amdhsa_exception_fp_ieee_overflow 0
		.amdhsa_exception_fp_ieee_underflow 0
		.amdhsa_exception_fp_ieee_inexact 0
		.amdhsa_exception_int_div_zero 0
	.end_amdhsa_kernel
	.section	.text._ZN7rocprim17ROCPRIM_400000_NS6detail17trampoline_kernelINS0_14default_configENS1_20scan_config_selectorIyEEZZNS1_9scan_implILNS1_25lookback_scan_determinismE0ELb0ELb0ES3_N6thrust23THRUST_200600_302600_NS6detail15normal_iteratorINS9_10device_ptrIyEEEESE_yNS9_4plusIvEEyEEDaPvRmT3_T4_T5_mT6_P12ihipStream_tbENKUlT_T0_E_clISt17integral_constantIbLb0EEST_IbLb1EEEEDaSP_SQ_EUlSP_E_NS1_11comp_targetILNS1_3genE3ELNS1_11target_archE908ELNS1_3gpuE7ELNS1_3repE0EEENS1_30default_config_static_selectorELNS0_4arch9wavefront6targetE1EEEvT1_,"axG",@progbits,_ZN7rocprim17ROCPRIM_400000_NS6detail17trampoline_kernelINS0_14default_configENS1_20scan_config_selectorIyEEZZNS1_9scan_implILNS1_25lookback_scan_determinismE0ELb0ELb0ES3_N6thrust23THRUST_200600_302600_NS6detail15normal_iteratorINS9_10device_ptrIyEEEESE_yNS9_4plusIvEEyEEDaPvRmT3_T4_T5_mT6_P12ihipStream_tbENKUlT_T0_E_clISt17integral_constantIbLb0EEST_IbLb1EEEEDaSP_SQ_EUlSP_E_NS1_11comp_targetILNS1_3genE3ELNS1_11target_archE908ELNS1_3gpuE7ELNS1_3repE0EEENS1_30default_config_static_selectorELNS0_4arch9wavefront6targetE1EEEvT1_,comdat
.Lfunc_end4487:
	.size	_ZN7rocprim17ROCPRIM_400000_NS6detail17trampoline_kernelINS0_14default_configENS1_20scan_config_selectorIyEEZZNS1_9scan_implILNS1_25lookback_scan_determinismE0ELb0ELb0ES3_N6thrust23THRUST_200600_302600_NS6detail15normal_iteratorINS9_10device_ptrIyEEEESE_yNS9_4plusIvEEyEEDaPvRmT3_T4_T5_mT6_P12ihipStream_tbENKUlT_T0_E_clISt17integral_constantIbLb0EEST_IbLb1EEEEDaSP_SQ_EUlSP_E_NS1_11comp_targetILNS1_3genE3ELNS1_11target_archE908ELNS1_3gpuE7ELNS1_3repE0EEENS1_30default_config_static_selectorELNS0_4arch9wavefront6targetE1EEEvT1_, .Lfunc_end4487-_ZN7rocprim17ROCPRIM_400000_NS6detail17trampoline_kernelINS0_14default_configENS1_20scan_config_selectorIyEEZZNS1_9scan_implILNS1_25lookback_scan_determinismE0ELb0ELb0ES3_N6thrust23THRUST_200600_302600_NS6detail15normal_iteratorINS9_10device_ptrIyEEEESE_yNS9_4plusIvEEyEEDaPvRmT3_T4_T5_mT6_P12ihipStream_tbENKUlT_T0_E_clISt17integral_constantIbLb0EEST_IbLb1EEEEDaSP_SQ_EUlSP_E_NS1_11comp_targetILNS1_3genE3ELNS1_11target_archE908ELNS1_3gpuE7ELNS1_3repE0EEENS1_30default_config_static_selectorELNS0_4arch9wavefront6targetE1EEEvT1_
                                        ; -- End function
	.section	.AMDGPU.csdata,"",@progbits
; Kernel info:
; codeLenInByte = 0
; NumSgprs: 4
; NumVgprs: 0
; NumAgprs: 0
; TotalNumVgprs: 0
; ScratchSize: 0
; MemoryBound: 0
; FloatMode: 240
; IeeeMode: 1
; LDSByteSize: 0 bytes/workgroup (compile time only)
; SGPRBlocks: 0
; VGPRBlocks: 0
; NumSGPRsForWavesPerEU: 4
; NumVGPRsForWavesPerEU: 1
; AccumOffset: 4
; Occupancy: 8
; WaveLimiterHint : 0
; COMPUTE_PGM_RSRC2:SCRATCH_EN: 0
; COMPUTE_PGM_RSRC2:USER_SGPR: 6
; COMPUTE_PGM_RSRC2:TRAP_HANDLER: 0
; COMPUTE_PGM_RSRC2:TGID_X_EN: 1
; COMPUTE_PGM_RSRC2:TGID_Y_EN: 0
; COMPUTE_PGM_RSRC2:TGID_Z_EN: 0
; COMPUTE_PGM_RSRC2:TIDIG_COMP_CNT: 0
; COMPUTE_PGM_RSRC3_GFX90A:ACCUM_OFFSET: 0
; COMPUTE_PGM_RSRC3_GFX90A:TG_SPLIT: 0
	.section	.text._ZN7rocprim17ROCPRIM_400000_NS6detail17trampoline_kernelINS0_14default_configENS1_20scan_config_selectorIyEEZZNS1_9scan_implILNS1_25lookback_scan_determinismE0ELb0ELb0ES3_N6thrust23THRUST_200600_302600_NS6detail15normal_iteratorINS9_10device_ptrIyEEEESE_yNS9_4plusIvEEyEEDaPvRmT3_T4_T5_mT6_P12ihipStream_tbENKUlT_T0_E_clISt17integral_constantIbLb0EEST_IbLb1EEEEDaSP_SQ_EUlSP_E_NS1_11comp_targetILNS1_3genE2ELNS1_11target_archE906ELNS1_3gpuE6ELNS1_3repE0EEENS1_30default_config_static_selectorELNS0_4arch9wavefront6targetE1EEEvT1_,"axG",@progbits,_ZN7rocprim17ROCPRIM_400000_NS6detail17trampoline_kernelINS0_14default_configENS1_20scan_config_selectorIyEEZZNS1_9scan_implILNS1_25lookback_scan_determinismE0ELb0ELb0ES3_N6thrust23THRUST_200600_302600_NS6detail15normal_iteratorINS9_10device_ptrIyEEEESE_yNS9_4plusIvEEyEEDaPvRmT3_T4_T5_mT6_P12ihipStream_tbENKUlT_T0_E_clISt17integral_constantIbLb0EEST_IbLb1EEEEDaSP_SQ_EUlSP_E_NS1_11comp_targetILNS1_3genE2ELNS1_11target_archE906ELNS1_3gpuE6ELNS1_3repE0EEENS1_30default_config_static_selectorELNS0_4arch9wavefront6targetE1EEEvT1_,comdat
	.protected	_ZN7rocprim17ROCPRIM_400000_NS6detail17trampoline_kernelINS0_14default_configENS1_20scan_config_selectorIyEEZZNS1_9scan_implILNS1_25lookback_scan_determinismE0ELb0ELb0ES3_N6thrust23THRUST_200600_302600_NS6detail15normal_iteratorINS9_10device_ptrIyEEEESE_yNS9_4plusIvEEyEEDaPvRmT3_T4_T5_mT6_P12ihipStream_tbENKUlT_T0_E_clISt17integral_constantIbLb0EEST_IbLb1EEEEDaSP_SQ_EUlSP_E_NS1_11comp_targetILNS1_3genE2ELNS1_11target_archE906ELNS1_3gpuE6ELNS1_3repE0EEENS1_30default_config_static_selectorELNS0_4arch9wavefront6targetE1EEEvT1_ ; -- Begin function _ZN7rocprim17ROCPRIM_400000_NS6detail17trampoline_kernelINS0_14default_configENS1_20scan_config_selectorIyEEZZNS1_9scan_implILNS1_25lookback_scan_determinismE0ELb0ELb0ES3_N6thrust23THRUST_200600_302600_NS6detail15normal_iteratorINS9_10device_ptrIyEEEESE_yNS9_4plusIvEEyEEDaPvRmT3_T4_T5_mT6_P12ihipStream_tbENKUlT_T0_E_clISt17integral_constantIbLb0EEST_IbLb1EEEEDaSP_SQ_EUlSP_E_NS1_11comp_targetILNS1_3genE2ELNS1_11target_archE906ELNS1_3gpuE6ELNS1_3repE0EEENS1_30default_config_static_selectorELNS0_4arch9wavefront6targetE1EEEvT1_
	.globl	_ZN7rocprim17ROCPRIM_400000_NS6detail17trampoline_kernelINS0_14default_configENS1_20scan_config_selectorIyEEZZNS1_9scan_implILNS1_25lookback_scan_determinismE0ELb0ELb0ES3_N6thrust23THRUST_200600_302600_NS6detail15normal_iteratorINS9_10device_ptrIyEEEESE_yNS9_4plusIvEEyEEDaPvRmT3_T4_T5_mT6_P12ihipStream_tbENKUlT_T0_E_clISt17integral_constantIbLb0EEST_IbLb1EEEEDaSP_SQ_EUlSP_E_NS1_11comp_targetILNS1_3genE2ELNS1_11target_archE906ELNS1_3gpuE6ELNS1_3repE0EEENS1_30default_config_static_selectorELNS0_4arch9wavefront6targetE1EEEvT1_
	.p2align	8
	.type	_ZN7rocprim17ROCPRIM_400000_NS6detail17trampoline_kernelINS0_14default_configENS1_20scan_config_selectorIyEEZZNS1_9scan_implILNS1_25lookback_scan_determinismE0ELb0ELb0ES3_N6thrust23THRUST_200600_302600_NS6detail15normal_iteratorINS9_10device_ptrIyEEEESE_yNS9_4plusIvEEyEEDaPvRmT3_T4_T5_mT6_P12ihipStream_tbENKUlT_T0_E_clISt17integral_constantIbLb0EEST_IbLb1EEEEDaSP_SQ_EUlSP_E_NS1_11comp_targetILNS1_3genE2ELNS1_11target_archE906ELNS1_3gpuE6ELNS1_3repE0EEENS1_30default_config_static_selectorELNS0_4arch9wavefront6targetE1EEEvT1_,@function
_ZN7rocprim17ROCPRIM_400000_NS6detail17trampoline_kernelINS0_14default_configENS1_20scan_config_selectorIyEEZZNS1_9scan_implILNS1_25lookback_scan_determinismE0ELb0ELb0ES3_N6thrust23THRUST_200600_302600_NS6detail15normal_iteratorINS9_10device_ptrIyEEEESE_yNS9_4plusIvEEyEEDaPvRmT3_T4_T5_mT6_P12ihipStream_tbENKUlT_T0_E_clISt17integral_constantIbLb0EEST_IbLb1EEEEDaSP_SQ_EUlSP_E_NS1_11comp_targetILNS1_3genE2ELNS1_11target_archE906ELNS1_3gpuE6ELNS1_3repE0EEENS1_30default_config_static_selectorELNS0_4arch9wavefront6targetE1EEEvT1_: ; @_ZN7rocprim17ROCPRIM_400000_NS6detail17trampoline_kernelINS0_14default_configENS1_20scan_config_selectorIyEEZZNS1_9scan_implILNS1_25lookback_scan_determinismE0ELb0ELb0ES3_N6thrust23THRUST_200600_302600_NS6detail15normal_iteratorINS9_10device_ptrIyEEEESE_yNS9_4plusIvEEyEEDaPvRmT3_T4_T5_mT6_P12ihipStream_tbENKUlT_T0_E_clISt17integral_constantIbLb0EEST_IbLb1EEEEDaSP_SQ_EUlSP_E_NS1_11comp_targetILNS1_3genE2ELNS1_11target_archE906ELNS1_3gpuE6ELNS1_3repE0EEENS1_30default_config_static_selectorELNS0_4arch9wavefront6targetE1EEEvT1_
; %bb.0:
	.section	.rodata,"a",@progbits
	.p2align	6, 0x0
	.amdhsa_kernel _ZN7rocprim17ROCPRIM_400000_NS6detail17trampoline_kernelINS0_14default_configENS1_20scan_config_selectorIyEEZZNS1_9scan_implILNS1_25lookback_scan_determinismE0ELb0ELb0ES3_N6thrust23THRUST_200600_302600_NS6detail15normal_iteratorINS9_10device_ptrIyEEEESE_yNS9_4plusIvEEyEEDaPvRmT3_T4_T5_mT6_P12ihipStream_tbENKUlT_T0_E_clISt17integral_constantIbLb0EEST_IbLb1EEEEDaSP_SQ_EUlSP_E_NS1_11comp_targetILNS1_3genE2ELNS1_11target_archE906ELNS1_3gpuE6ELNS1_3repE0EEENS1_30default_config_static_selectorELNS0_4arch9wavefront6targetE1EEEvT1_
		.amdhsa_group_segment_fixed_size 0
		.amdhsa_private_segment_fixed_size 0
		.amdhsa_kernarg_size 104
		.amdhsa_user_sgpr_count 6
		.amdhsa_user_sgpr_private_segment_buffer 1
		.amdhsa_user_sgpr_dispatch_ptr 0
		.amdhsa_user_sgpr_queue_ptr 0
		.amdhsa_user_sgpr_kernarg_segment_ptr 1
		.amdhsa_user_sgpr_dispatch_id 0
		.amdhsa_user_sgpr_flat_scratch_init 0
		.amdhsa_user_sgpr_kernarg_preload_length 0
		.amdhsa_user_sgpr_kernarg_preload_offset 0
		.amdhsa_user_sgpr_private_segment_size 0
		.amdhsa_uses_dynamic_stack 0
		.amdhsa_system_sgpr_private_segment_wavefront_offset 0
		.amdhsa_system_sgpr_workgroup_id_x 1
		.amdhsa_system_sgpr_workgroup_id_y 0
		.amdhsa_system_sgpr_workgroup_id_z 0
		.amdhsa_system_sgpr_workgroup_info 0
		.amdhsa_system_vgpr_workitem_id 0
		.amdhsa_next_free_vgpr 1
		.amdhsa_next_free_sgpr 0
		.amdhsa_accum_offset 4
		.amdhsa_reserve_vcc 0
		.amdhsa_reserve_flat_scratch 0
		.amdhsa_float_round_mode_32 0
		.amdhsa_float_round_mode_16_64 0
		.amdhsa_float_denorm_mode_32 3
		.amdhsa_float_denorm_mode_16_64 3
		.amdhsa_dx10_clamp 1
		.amdhsa_ieee_mode 1
		.amdhsa_fp16_overflow 0
		.amdhsa_tg_split 0
		.amdhsa_exception_fp_ieee_invalid_op 0
		.amdhsa_exception_fp_denorm_src 0
		.amdhsa_exception_fp_ieee_div_zero 0
		.amdhsa_exception_fp_ieee_overflow 0
		.amdhsa_exception_fp_ieee_underflow 0
		.amdhsa_exception_fp_ieee_inexact 0
		.amdhsa_exception_int_div_zero 0
	.end_amdhsa_kernel
	.section	.text._ZN7rocprim17ROCPRIM_400000_NS6detail17trampoline_kernelINS0_14default_configENS1_20scan_config_selectorIyEEZZNS1_9scan_implILNS1_25lookback_scan_determinismE0ELb0ELb0ES3_N6thrust23THRUST_200600_302600_NS6detail15normal_iteratorINS9_10device_ptrIyEEEESE_yNS9_4plusIvEEyEEDaPvRmT3_T4_T5_mT6_P12ihipStream_tbENKUlT_T0_E_clISt17integral_constantIbLb0EEST_IbLb1EEEEDaSP_SQ_EUlSP_E_NS1_11comp_targetILNS1_3genE2ELNS1_11target_archE906ELNS1_3gpuE6ELNS1_3repE0EEENS1_30default_config_static_selectorELNS0_4arch9wavefront6targetE1EEEvT1_,"axG",@progbits,_ZN7rocprim17ROCPRIM_400000_NS6detail17trampoline_kernelINS0_14default_configENS1_20scan_config_selectorIyEEZZNS1_9scan_implILNS1_25lookback_scan_determinismE0ELb0ELb0ES3_N6thrust23THRUST_200600_302600_NS6detail15normal_iteratorINS9_10device_ptrIyEEEESE_yNS9_4plusIvEEyEEDaPvRmT3_T4_T5_mT6_P12ihipStream_tbENKUlT_T0_E_clISt17integral_constantIbLb0EEST_IbLb1EEEEDaSP_SQ_EUlSP_E_NS1_11comp_targetILNS1_3genE2ELNS1_11target_archE906ELNS1_3gpuE6ELNS1_3repE0EEENS1_30default_config_static_selectorELNS0_4arch9wavefront6targetE1EEEvT1_,comdat
.Lfunc_end4488:
	.size	_ZN7rocprim17ROCPRIM_400000_NS6detail17trampoline_kernelINS0_14default_configENS1_20scan_config_selectorIyEEZZNS1_9scan_implILNS1_25lookback_scan_determinismE0ELb0ELb0ES3_N6thrust23THRUST_200600_302600_NS6detail15normal_iteratorINS9_10device_ptrIyEEEESE_yNS9_4plusIvEEyEEDaPvRmT3_T4_T5_mT6_P12ihipStream_tbENKUlT_T0_E_clISt17integral_constantIbLb0EEST_IbLb1EEEEDaSP_SQ_EUlSP_E_NS1_11comp_targetILNS1_3genE2ELNS1_11target_archE906ELNS1_3gpuE6ELNS1_3repE0EEENS1_30default_config_static_selectorELNS0_4arch9wavefront6targetE1EEEvT1_, .Lfunc_end4488-_ZN7rocprim17ROCPRIM_400000_NS6detail17trampoline_kernelINS0_14default_configENS1_20scan_config_selectorIyEEZZNS1_9scan_implILNS1_25lookback_scan_determinismE0ELb0ELb0ES3_N6thrust23THRUST_200600_302600_NS6detail15normal_iteratorINS9_10device_ptrIyEEEESE_yNS9_4plusIvEEyEEDaPvRmT3_T4_T5_mT6_P12ihipStream_tbENKUlT_T0_E_clISt17integral_constantIbLb0EEST_IbLb1EEEEDaSP_SQ_EUlSP_E_NS1_11comp_targetILNS1_3genE2ELNS1_11target_archE906ELNS1_3gpuE6ELNS1_3repE0EEENS1_30default_config_static_selectorELNS0_4arch9wavefront6targetE1EEEvT1_
                                        ; -- End function
	.section	.AMDGPU.csdata,"",@progbits
; Kernel info:
; codeLenInByte = 0
; NumSgprs: 4
; NumVgprs: 0
; NumAgprs: 0
; TotalNumVgprs: 0
; ScratchSize: 0
; MemoryBound: 0
; FloatMode: 240
; IeeeMode: 1
; LDSByteSize: 0 bytes/workgroup (compile time only)
; SGPRBlocks: 0
; VGPRBlocks: 0
; NumSGPRsForWavesPerEU: 4
; NumVGPRsForWavesPerEU: 1
; AccumOffset: 4
; Occupancy: 8
; WaveLimiterHint : 0
; COMPUTE_PGM_RSRC2:SCRATCH_EN: 0
; COMPUTE_PGM_RSRC2:USER_SGPR: 6
; COMPUTE_PGM_RSRC2:TRAP_HANDLER: 0
; COMPUTE_PGM_RSRC2:TGID_X_EN: 1
; COMPUTE_PGM_RSRC2:TGID_Y_EN: 0
; COMPUTE_PGM_RSRC2:TGID_Z_EN: 0
; COMPUTE_PGM_RSRC2:TIDIG_COMP_CNT: 0
; COMPUTE_PGM_RSRC3_GFX90A:ACCUM_OFFSET: 0
; COMPUTE_PGM_RSRC3_GFX90A:TG_SPLIT: 0
	.section	.text._ZN7rocprim17ROCPRIM_400000_NS6detail17trampoline_kernelINS0_14default_configENS1_20scan_config_selectorIyEEZZNS1_9scan_implILNS1_25lookback_scan_determinismE0ELb0ELb0ES3_N6thrust23THRUST_200600_302600_NS6detail15normal_iteratorINS9_10device_ptrIyEEEESE_yNS9_4plusIvEEyEEDaPvRmT3_T4_T5_mT6_P12ihipStream_tbENKUlT_T0_E_clISt17integral_constantIbLb0EEST_IbLb1EEEEDaSP_SQ_EUlSP_E_NS1_11comp_targetILNS1_3genE10ELNS1_11target_archE1201ELNS1_3gpuE5ELNS1_3repE0EEENS1_30default_config_static_selectorELNS0_4arch9wavefront6targetE1EEEvT1_,"axG",@progbits,_ZN7rocprim17ROCPRIM_400000_NS6detail17trampoline_kernelINS0_14default_configENS1_20scan_config_selectorIyEEZZNS1_9scan_implILNS1_25lookback_scan_determinismE0ELb0ELb0ES3_N6thrust23THRUST_200600_302600_NS6detail15normal_iteratorINS9_10device_ptrIyEEEESE_yNS9_4plusIvEEyEEDaPvRmT3_T4_T5_mT6_P12ihipStream_tbENKUlT_T0_E_clISt17integral_constantIbLb0EEST_IbLb1EEEEDaSP_SQ_EUlSP_E_NS1_11comp_targetILNS1_3genE10ELNS1_11target_archE1201ELNS1_3gpuE5ELNS1_3repE0EEENS1_30default_config_static_selectorELNS0_4arch9wavefront6targetE1EEEvT1_,comdat
	.protected	_ZN7rocprim17ROCPRIM_400000_NS6detail17trampoline_kernelINS0_14default_configENS1_20scan_config_selectorIyEEZZNS1_9scan_implILNS1_25lookback_scan_determinismE0ELb0ELb0ES3_N6thrust23THRUST_200600_302600_NS6detail15normal_iteratorINS9_10device_ptrIyEEEESE_yNS9_4plusIvEEyEEDaPvRmT3_T4_T5_mT6_P12ihipStream_tbENKUlT_T0_E_clISt17integral_constantIbLb0EEST_IbLb1EEEEDaSP_SQ_EUlSP_E_NS1_11comp_targetILNS1_3genE10ELNS1_11target_archE1201ELNS1_3gpuE5ELNS1_3repE0EEENS1_30default_config_static_selectorELNS0_4arch9wavefront6targetE1EEEvT1_ ; -- Begin function _ZN7rocprim17ROCPRIM_400000_NS6detail17trampoline_kernelINS0_14default_configENS1_20scan_config_selectorIyEEZZNS1_9scan_implILNS1_25lookback_scan_determinismE0ELb0ELb0ES3_N6thrust23THRUST_200600_302600_NS6detail15normal_iteratorINS9_10device_ptrIyEEEESE_yNS9_4plusIvEEyEEDaPvRmT3_T4_T5_mT6_P12ihipStream_tbENKUlT_T0_E_clISt17integral_constantIbLb0EEST_IbLb1EEEEDaSP_SQ_EUlSP_E_NS1_11comp_targetILNS1_3genE10ELNS1_11target_archE1201ELNS1_3gpuE5ELNS1_3repE0EEENS1_30default_config_static_selectorELNS0_4arch9wavefront6targetE1EEEvT1_
	.globl	_ZN7rocprim17ROCPRIM_400000_NS6detail17trampoline_kernelINS0_14default_configENS1_20scan_config_selectorIyEEZZNS1_9scan_implILNS1_25lookback_scan_determinismE0ELb0ELb0ES3_N6thrust23THRUST_200600_302600_NS6detail15normal_iteratorINS9_10device_ptrIyEEEESE_yNS9_4plusIvEEyEEDaPvRmT3_T4_T5_mT6_P12ihipStream_tbENKUlT_T0_E_clISt17integral_constantIbLb0EEST_IbLb1EEEEDaSP_SQ_EUlSP_E_NS1_11comp_targetILNS1_3genE10ELNS1_11target_archE1201ELNS1_3gpuE5ELNS1_3repE0EEENS1_30default_config_static_selectorELNS0_4arch9wavefront6targetE1EEEvT1_
	.p2align	8
	.type	_ZN7rocprim17ROCPRIM_400000_NS6detail17trampoline_kernelINS0_14default_configENS1_20scan_config_selectorIyEEZZNS1_9scan_implILNS1_25lookback_scan_determinismE0ELb0ELb0ES3_N6thrust23THRUST_200600_302600_NS6detail15normal_iteratorINS9_10device_ptrIyEEEESE_yNS9_4plusIvEEyEEDaPvRmT3_T4_T5_mT6_P12ihipStream_tbENKUlT_T0_E_clISt17integral_constantIbLb0EEST_IbLb1EEEEDaSP_SQ_EUlSP_E_NS1_11comp_targetILNS1_3genE10ELNS1_11target_archE1201ELNS1_3gpuE5ELNS1_3repE0EEENS1_30default_config_static_selectorELNS0_4arch9wavefront6targetE1EEEvT1_,@function
_ZN7rocprim17ROCPRIM_400000_NS6detail17trampoline_kernelINS0_14default_configENS1_20scan_config_selectorIyEEZZNS1_9scan_implILNS1_25lookback_scan_determinismE0ELb0ELb0ES3_N6thrust23THRUST_200600_302600_NS6detail15normal_iteratorINS9_10device_ptrIyEEEESE_yNS9_4plusIvEEyEEDaPvRmT3_T4_T5_mT6_P12ihipStream_tbENKUlT_T0_E_clISt17integral_constantIbLb0EEST_IbLb1EEEEDaSP_SQ_EUlSP_E_NS1_11comp_targetILNS1_3genE10ELNS1_11target_archE1201ELNS1_3gpuE5ELNS1_3repE0EEENS1_30default_config_static_selectorELNS0_4arch9wavefront6targetE1EEEvT1_: ; @_ZN7rocprim17ROCPRIM_400000_NS6detail17trampoline_kernelINS0_14default_configENS1_20scan_config_selectorIyEEZZNS1_9scan_implILNS1_25lookback_scan_determinismE0ELb0ELb0ES3_N6thrust23THRUST_200600_302600_NS6detail15normal_iteratorINS9_10device_ptrIyEEEESE_yNS9_4plusIvEEyEEDaPvRmT3_T4_T5_mT6_P12ihipStream_tbENKUlT_T0_E_clISt17integral_constantIbLb0EEST_IbLb1EEEEDaSP_SQ_EUlSP_E_NS1_11comp_targetILNS1_3genE10ELNS1_11target_archE1201ELNS1_3gpuE5ELNS1_3repE0EEENS1_30default_config_static_selectorELNS0_4arch9wavefront6targetE1EEEvT1_
; %bb.0:
	.section	.rodata,"a",@progbits
	.p2align	6, 0x0
	.amdhsa_kernel _ZN7rocprim17ROCPRIM_400000_NS6detail17trampoline_kernelINS0_14default_configENS1_20scan_config_selectorIyEEZZNS1_9scan_implILNS1_25lookback_scan_determinismE0ELb0ELb0ES3_N6thrust23THRUST_200600_302600_NS6detail15normal_iteratorINS9_10device_ptrIyEEEESE_yNS9_4plusIvEEyEEDaPvRmT3_T4_T5_mT6_P12ihipStream_tbENKUlT_T0_E_clISt17integral_constantIbLb0EEST_IbLb1EEEEDaSP_SQ_EUlSP_E_NS1_11comp_targetILNS1_3genE10ELNS1_11target_archE1201ELNS1_3gpuE5ELNS1_3repE0EEENS1_30default_config_static_selectorELNS0_4arch9wavefront6targetE1EEEvT1_
		.amdhsa_group_segment_fixed_size 0
		.amdhsa_private_segment_fixed_size 0
		.amdhsa_kernarg_size 104
		.amdhsa_user_sgpr_count 6
		.amdhsa_user_sgpr_private_segment_buffer 1
		.amdhsa_user_sgpr_dispatch_ptr 0
		.amdhsa_user_sgpr_queue_ptr 0
		.amdhsa_user_sgpr_kernarg_segment_ptr 1
		.amdhsa_user_sgpr_dispatch_id 0
		.amdhsa_user_sgpr_flat_scratch_init 0
		.amdhsa_user_sgpr_kernarg_preload_length 0
		.amdhsa_user_sgpr_kernarg_preload_offset 0
		.amdhsa_user_sgpr_private_segment_size 0
		.amdhsa_uses_dynamic_stack 0
		.amdhsa_system_sgpr_private_segment_wavefront_offset 0
		.amdhsa_system_sgpr_workgroup_id_x 1
		.amdhsa_system_sgpr_workgroup_id_y 0
		.amdhsa_system_sgpr_workgroup_id_z 0
		.amdhsa_system_sgpr_workgroup_info 0
		.amdhsa_system_vgpr_workitem_id 0
		.amdhsa_next_free_vgpr 1
		.amdhsa_next_free_sgpr 0
		.amdhsa_accum_offset 4
		.amdhsa_reserve_vcc 0
		.amdhsa_reserve_flat_scratch 0
		.amdhsa_float_round_mode_32 0
		.amdhsa_float_round_mode_16_64 0
		.amdhsa_float_denorm_mode_32 3
		.amdhsa_float_denorm_mode_16_64 3
		.amdhsa_dx10_clamp 1
		.amdhsa_ieee_mode 1
		.amdhsa_fp16_overflow 0
		.amdhsa_tg_split 0
		.amdhsa_exception_fp_ieee_invalid_op 0
		.amdhsa_exception_fp_denorm_src 0
		.amdhsa_exception_fp_ieee_div_zero 0
		.amdhsa_exception_fp_ieee_overflow 0
		.amdhsa_exception_fp_ieee_underflow 0
		.amdhsa_exception_fp_ieee_inexact 0
		.amdhsa_exception_int_div_zero 0
	.end_amdhsa_kernel
	.section	.text._ZN7rocprim17ROCPRIM_400000_NS6detail17trampoline_kernelINS0_14default_configENS1_20scan_config_selectorIyEEZZNS1_9scan_implILNS1_25lookback_scan_determinismE0ELb0ELb0ES3_N6thrust23THRUST_200600_302600_NS6detail15normal_iteratorINS9_10device_ptrIyEEEESE_yNS9_4plusIvEEyEEDaPvRmT3_T4_T5_mT6_P12ihipStream_tbENKUlT_T0_E_clISt17integral_constantIbLb0EEST_IbLb1EEEEDaSP_SQ_EUlSP_E_NS1_11comp_targetILNS1_3genE10ELNS1_11target_archE1201ELNS1_3gpuE5ELNS1_3repE0EEENS1_30default_config_static_selectorELNS0_4arch9wavefront6targetE1EEEvT1_,"axG",@progbits,_ZN7rocprim17ROCPRIM_400000_NS6detail17trampoline_kernelINS0_14default_configENS1_20scan_config_selectorIyEEZZNS1_9scan_implILNS1_25lookback_scan_determinismE0ELb0ELb0ES3_N6thrust23THRUST_200600_302600_NS6detail15normal_iteratorINS9_10device_ptrIyEEEESE_yNS9_4plusIvEEyEEDaPvRmT3_T4_T5_mT6_P12ihipStream_tbENKUlT_T0_E_clISt17integral_constantIbLb0EEST_IbLb1EEEEDaSP_SQ_EUlSP_E_NS1_11comp_targetILNS1_3genE10ELNS1_11target_archE1201ELNS1_3gpuE5ELNS1_3repE0EEENS1_30default_config_static_selectorELNS0_4arch9wavefront6targetE1EEEvT1_,comdat
.Lfunc_end4489:
	.size	_ZN7rocprim17ROCPRIM_400000_NS6detail17trampoline_kernelINS0_14default_configENS1_20scan_config_selectorIyEEZZNS1_9scan_implILNS1_25lookback_scan_determinismE0ELb0ELb0ES3_N6thrust23THRUST_200600_302600_NS6detail15normal_iteratorINS9_10device_ptrIyEEEESE_yNS9_4plusIvEEyEEDaPvRmT3_T4_T5_mT6_P12ihipStream_tbENKUlT_T0_E_clISt17integral_constantIbLb0EEST_IbLb1EEEEDaSP_SQ_EUlSP_E_NS1_11comp_targetILNS1_3genE10ELNS1_11target_archE1201ELNS1_3gpuE5ELNS1_3repE0EEENS1_30default_config_static_selectorELNS0_4arch9wavefront6targetE1EEEvT1_, .Lfunc_end4489-_ZN7rocprim17ROCPRIM_400000_NS6detail17trampoline_kernelINS0_14default_configENS1_20scan_config_selectorIyEEZZNS1_9scan_implILNS1_25lookback_scan_determinismE0ELb0ELb0ES3_N6thrust23THRUST_200600_302600_NS6detail15normal_iteratorINS9_10device_ptrIyEEEESE_yNS9_4plusIvEEyEEDaPvRmT3_T4_T5_mT6_P12ihipStream_tbENKUlT_T0_E_clISt17integral_constantIbLb0EEST_IbLb1EEEEDaSP_SQ_EUlSP_E_NS1_11comp_targetILNS1_3genE10ELNS1_11target_archE1201ELNS1_3gpuE5ELNS1_3repE0EEENS1_30default_config_static_selectorELNS0_4arch9wavefront6targetE1EEEvT1_
                                        ; -- End function
	.section	.AMDGPU.csdata,"",@progbits
; Kernel info:
; codeLenInByte = 0
; NumSgprs: 4
; NumVgprs: 0
; NumAgprs: 0
; TotalNumVgprs: 0
; ScratchSize: 0
; MemoryBound: 0
; FloatMode: 240
; IeeeMode: 1
; LDSByteSize: 0 bytes/workgroup (compile time only)
; SGPRBlocks: 0
; VGPRBlocks: 0
; NumSGPRsForWavesPerEU: 4
; NumVGPRsForWavesPerEU: 1
; AccumOffset: 4
; Occupancy: 8
; WaveLimiterHint : 0
; COMPUTE_PGM_RSRC2:SCRATCH_EN: 0
; COMPUTE_PGM_RSRC2:USER_SGPR: 6
; COMPUTE_PGM_RSRC2:TRAP_HANDLER: 0
; COMPUTE_PGM_RSRC2:TGID_X_EN: 1
; COMPUTE_PGM_RSRC2:TGID_Y_EN: 0
; COMPUTE_PGM_RSRC2:TGID_Z_EN: 0
; COMPUTE_PGM_RSRC2:TIDIG_COMP_CNT: 0
; COMPUTE_PGM_RSRC3_GFX90A:ACCUM_OFFSET: 0
; COMPUTE_PGM_RSRC3_GFX90A:TG_SPLIT: 0
	.section	.text._ZN7rocprim17ROCPRIM_400000_NS6detail17trampoline_kernelINS0_14default_configENS1_20scan_config_selectorIyEEZZNS1_9scan_implILNS1_25lookback_scan_determinismE0ELb0ELb0ES3_N6thrust23THRUST_200600_302600_NS6detail15normal_iteratorINS9_10device_ptrIyEEEESE_yNS9_4plusIvEEyEEDaPvRmT3_T4_T5_mT6_P12ihipStream_tbENKUlT_T0_E_clISt17integral_constantIbLb0EEST_IbLb1EEEEDaSP_SQ_EUlSP_E_NS1_11comp_targetILNS1_3genE10ELNS1_11target_archE1200ELNS1_3gpuE4ELNS1_3repE0EEENS1_30default_config_static_selectorELNS0_4arch9wavefront6targetE1EEEvT1_,"axG",@progbits,_ZN7rocprim17ROCPRIM_400000_NS6detail17trampoline_kernelINS0_14default_configENS1_20scan_config_selectorIyEEZZNS1_9scan_implILNS1_25lookback_scan_determinismE0ELb0ELb0ES3_N6thrust23THRUST_200600_302600_NS6detail15normal_iteratorINS9_10device_ptrIyEEEESE_yNS9_4plusIvEEyEEDaPvRmT3_T4_T5_mT6_P12ihipStream_tbENKUlT_T0_E_clISt17integral_constantIbLb0EEST_IbLb1EEEEDaSP_SQ_EUlSP_E_NS1_11comp_targetILNS1_3genE10ELNS1_11target_archE1200ELNS1_3gpuE4ELNS1_3repE0EEENS1_30default_config_static_selectorELNS0_4arch9wavefront6targetE1EEEvT1_,comdat
	.protected	_ZN7rocprim17ROCPRIM_400000_NS6detail17trampoline_kernelINS0_14default_configENS1_20scan_config_selectorIyEEZZNS1_9scan_implILNS1_25lookback_scan_determinismE0ELb0ELb0ES3_N6thrust23THRUST_200600_302600_NS6detail15normal_iteratorINS9_10device_ptrIyEEEESE_yNS9_4plusIvEEyEEDaPvRmT3_T4_T5_mT6_P12ihipStream_tbENKUlT_T0_E_clISt17integral_constantIbLb0EEST_IbLb1EEEEDaSP_SQ_EUlSP_E_NS1_11comp_targetILNS1_3genE10ELNS1_11target_archE1200ELNS1_3gpuE4ELNS1_3repE0EEENS1_30default_config_static_selectorELNS0_4arch9wavefront6targetE1EEEvT1_ ; -- Begin function _ZN7rocprim17ROCPRIM_400000_NS6detail17trampoline_kernelINS0_14default_configENS1_20scan_config_selectorIyEEZZNS1_9scan_implILNS1_25lookback_scan_determinismE0ELb0ELb0ES3_N6thrust23THRUST_200600_302600_NS6detail15normal_iteratorINS9_10device_ptrIyEEEESE_yNS9_4plusIvEEyEEDaPvRmT3_T4_T5_mT6_P12ihipStream_tbENKUlT_T0_E_clISt17integral_constantIbLb0EEST_IbLb1EEEEDaSP_SQ_EUlSP_E_NS1_11comp_targetILNS1_3genE10ELNS1_11target_archE1200ELNS1_3gpuE4ELNS1_3repE0EEENS1_30default_config_static_selectorELNS0_4arch9wavefront6targetE1EEEvT1_
	.globl	_ZN7rocprim17ROCPRIM_400000_NS6detail17trampoline_kernelINS0_14default_configENS1_20scan_config_selectorIyEEZZNS1_9scan_implILNS1_25lookback_scan_determinismE0ELb0ELb0ES3_N6thrust23THRUST_200600_302600_NS6detail15normal_iteratorINS9_10device_ptrIyEEEESE_yNS9_4plusIvEEyEEDaPvRmT3_T4_T5_mT6_P12ihipStream_tbENKUlT_T0_E_clISt17integral_constantIbLb0EEST_IbLb1EEEEDaSP_SQ_EUlSP_E_NS1_11comp_targetILNS1_3genE10ELNS1_11target_archE1200ELNS1_3gpuE4ELNS1_3repE0EEENS1_30default_config_static_selectorELNS0_4arch9wavefront6targetE1EEEvT1_
	.p2align	8
	.type	_ZN7rocprim17ROCPRIM_400000_NS6detail17trampoline_kernelINS0_14default_configENS1_20scan_config_selectorIyEEZZNS1_9scan_implILNS1_25lookback_scan_determinismE0ELb0ELb0ES3_N6thrust23THRUST_200600_302600_NS6detail15normal_iteratorINS9_10device_ptrIyEEEESE_yNS9_4plusIvEEyEEDaPvRmT3_T4_T5_mT6_P12ihipStream_tbENKUlT_T0_E_clISt17integral_constantIbLb0EEST_IbLb1EEEEDaSP_SQ_EUlSP_E_NS1_11comp_targetILNS1_3genE10ELNS1_11target_archE1200ELNS1_3gpuE4ELNS1_3repE0EEENS1_30default_config_static_selectorELNS0_4arch9wavefront6targetE1EEEvT1_,@function
_ZN7rocprim17ROCPRIM_400000_NS6detail17trampoline_kernelINS0_14default_configENS1_20scan_config_selectorIyEEZZNS1_9scan_implILNS1_25lookback_scan_determinismE0ELb0ELb0ES3_N6thrust23THRUST_200600_302600_NS6detail15normal_iteratorINS9_10device_ptrIyEEEESE_yNS9_4plusIvEEyEEDaPvRmT3_T4_T5_mT6_P12ihipStream_tbENKUlT_T0_E_clISt17integral_constantIbLb0EEST_IbLb1EEEEDaSP_SQ_EUlSP_E_NS1_11comp_targetILNS1_3genE10ELNS1_11target_archE1200ELNS1_3gpuE4ELNS1_3repE0EEENS1_30default_config_static_selectorELNS0_4arch9wavefront6targetE1EEEvT1_: ; @_ZN7rocprim17ROCPRIM_400000_NS6detail17trampoline_kernelINS0_14default_configENS1_20scan_config_selectorIyEEZZNS1_9scan_implILNS1_25lookback_scan_determinismE0ELb0ELb0ES3_N6thrust23THRUST_200600_302600_NS6detail15normal_iteratorINS9_10device_ptrIyEEEESE_yNS9_4plusIvEEyEEDaPvRmT3_T4_T5_mT6_P12ihipStream_tbENKUlT_T0_E_clISt17integral_constantIbLb0EEST_IbLb1EEEEDaSP_SQ_EUlSP_E_NS1_11comp_targetILNS1_3genE10ELNS1_11target_archE1200ELNS1_3gpuE4ELNS1_3repE0EEENS1_30default_config_static_selectorELNS0_4arch9wavefront6targetE1EEEvT1_
; %bb.0:
	.section	.rodata,"a",@progbits
	.p2align	6, 0x0
	.amdhsa_kernel _ZN7rocprim17ROCPRIM_400000_NS6detail17trampoline_kernelINS0_14default_configENS1_20scan_config_selectorIyEEZZNS1_9scan_implILNS1_25lookback_scan_determinismE0ELb0ELb0ES3_N6thrust23THRUST_200600_302600_NS6detail15normal_iteratorINS9_10device_ptrIyEEEESE_yNS9_4plusIvEEyEEDaPvRmT3_T4_T5_mT6_P12ihipStream_tbENKUlT_T0_E_clISt17integral_constantIbLb0EEST_IbLb1EEEEDaSP_SQ_EUlSP_E_NS1_11comp_targetILNS1_3genE10ELNS1_11target_archE1200ELNS1_3gpuE4ELNS1_3repE0EEENS1_30default_config_static_selectorELNS0_4arch9wavefront6targetE1EEEvT1_
		.amdhsa_group_segment_fixed_size 0
		.amdhsa_private_segment_fixed_size 0
		.amdhsa_kernarg_size 104
		.amdhsa_user_sgpr_count 6
		.amdhsa_user_sgpr_private_segment_buffer 1
		.amdhsa_user_sgpr_dispatch_ptr 0
		.amdhsa_user_sgpr_queue_ptr 0
		.amdhsa_user_sgpr_kernarg_segment_ptr 1
		.amdhsa_user_sgpr_dispatch_id 0
		.amdhsa_user_sgpr_flat_scratch_init 0
		.amdhsa_user_sgpr_kernarg_preload_length 0
		.amdhsa_user_sgpr_kernarg_preload_offset 0
		.amdhsa_user_sgpr_private_segment_size 0
		.amdhsa_uses_dynamic_stack 0
		.amdhsa_system_sgpr_private_segment_wavefront_offset 0
		.amdhsa_system_sgpr_workgroup_id_x 1
		.amdhsa_system_sgpr_workgroup_id_y 0
		.amdhsa_system_sgpr_workgroup_id_z 0
		.amdhsa_system_sgpr_workgroup_info 0
		.amdhsa_system_vgpr_workitem_id 0
		.amdhsa_next_free_vgpr 1
		.amdhsa_next_free_sgpr 0
		.amdhsa_accum_offset 4
		.amdhsa_reserve_vcc 0
		.amdhsa_reserve_flat_scratch 0
		.amdhsa_float_round_mode_32 0
		.amdhsa_float_round_mode_16_64 0
		.amdhsa_float_denorm_mode_32 3
		.amdhsa_float_denorm_mode_16_64 3
		.amdhsa_dx10_clamp 1
		.amdhsa_ieee_mode 1
		.amdhsa_fp16_overflow 0
		.amdhsa_tg_split 0
		.amdhsa_exception_fp_ieee_invalid_op 0
		.amdhsa_exception_fp_denorm_src 0
		.amdhsa_exception_fp_ieee_div_zero 0
		.amdhsa_exception_fp_ieee_overflow 0
		.amdhsa_exception_fp_ieee_underflow 0
		.amdhsa_exception_fp_ieee_inexact 0
		.amdhsa_exception_int_div_zero 0
	.end_amdhsa_kernel
	.section	.text._ZN7rocprim17ROCPRIM_400000_NS6detail17trampoline_kernelINS0_14default_configENS1_20scan_config_selectorIyEEZZNS1_9scan_implILNS1_25lookback_scan_determinismE0ELb0ELb0ES3_N6thrust23THRUST_200600_302600_NS6detail15normal_iteratorINS9_10device_ptrIyEEEESE_yNS9_4plusIvEEyEEDaPvRmT3_T4_T5_mT6_P12ihipStream_tbENKUlT_T0_E_clISt17integral_constantIbLb0EEST_IbLb1EEEEDaSP_SQ_EUlSP_E_NS1_11comp_targetILNS1_3genE10ELNS1_11target_archE1200ELNS1_3gpuE4ELNS1_3repE0EEENS1_30default_config_static_selectorELNS0_4arch9wavefront6targetE1EEEvT1_,"axG",@progbits,_ZN7rocprim17ROCPRIM_400000_NS6detail17trampoline_kernelINS0_14default_configENS1_20scan_config_selectorIyEEZZNS1_9scan_implILNS1_25lookback_scan_determinismE0ELb0ELb0ES3_N6thrust23THRUST_200600_302600_NS6detail15normal_iteratorINS9_10device_ptrIyEEEESE_yNS9_4plusIvEEyEEDaPvRmT3_T4_T5_mT6_P12ihipStream_tbENKUlT_T0_E_clISt17integral_constantIbLb0EEST_IbLb1EEEEDaSP_SQ_EUlSP_E_NS1_11comp_targetILNS1_3genE10ELNS1_11target_archE1200ELNS1_3gpuE4ELNS1_3repE0EEENS1_30default_config_static_selectorELNS0_4arch9wavefront6targetE1EEEvT1_,comdat
.Lfunc_end4490:
	.size	_ZN7rocprim17ROCPRIM_400000_NS6detail17trampoline_kernelINS0_14default_configENS1_20scan_config_selectorIyEEZZNS1_9scan_implILNS1_25lookback_scan_determinismE0ELb0ELb0ES3_N6thrust23THRUST_200600_302600_NS6detail15normal_iteratorINS9_10device_ptrIyEEEESE_yNS9_4plusIvEEyEEDaPvRmT3_T4_T5_mT6_P12ihipStream_tbENKUlT_T0_E_clISt17integral_constantIbLb0EEST_IbLb1EEEEDaSP_SQ_EUlSP_E_NS1_11comp_targetILNS1_3genE10ELNS1_11target_archE1200ELNS1_3gpuE4ELNS1_3repE0EEENS1_30default_config_static_selectorELNS0_4arch9wavefront6targetE1EEEvT1_, .Lfunc_end4490-_ZN7rocprim17ROCPRIM_400000_NS6detail17trampoline_kernelINS0_14default_configENS1_20scan_config_selectorIyEEZZNS1_9scan_implILNS1_25lookback_scan_determinismE0ELb0ELb0ES3_N6thrust23THRUST_200600_302600_NS6detail15normal_iteratorINS9_10device_ptrIyEEEESE_yNS9_4plusIvEEyEEDaPvRmT3_T4_T5_mT6_P12ihipStream_tbENKUlT_T0_E_clISt17integral_constantIbLb0EEST_IbLb1EEEEDaSP_SQ_EUlSP_E_NS1_11comp_targetILNS1_3genE10ELNS1_11target_archE1200ELNS1_3gpuE4ELNS1_3repE0EEENS1_30default_config_static_selectorELNS0_4arch9wavefront6targetE1EEEvT1_
                                        ; -- End function
	.section	.AMDGPU.csdata,"",@progbits
; Kernel info:
; codeLenInByte = 0
; NumSgprs: 4
; NumVgprs: 0
; NumAgprs: 0
; TotalNumVgprs: 0
; ScratchSize: 0
; MemoryBound: 0
; FloatMode: 240
; IeeeMode: 1
; LDSByteSize: 0 bytes/workgroup (compile time only)
; SGPRBlocks: 0
; VGPRBlocks: 0
; NumSGPRsForWavesPerEU: 4
; NumVGPRsForWavesPerEU: 1
; AccumOffset: 4
; Occupancy: 8
; WaveLimiterHint : 0
; COMPUTE_PGM_RSRC2:SCRATCH_EN: 0
; COMPUTE_PGM_RSRC2:USER_SGPR: 6
; COMPUTE_PGM_RSRC2:TRAP_HANDLER: 0
; COMPUTE_PGM_RSRC2:TGID_X_EN: 1
; COMPUTE_PGM_RSRC2:TGID_Y_EN: 0
; COMPUTE_PGM_RSRC2:TGID_Z_EN: 0
; COMPUTE_PGM_RSRC2:TIDIG_COMP_CNT: 0
; COMPUTE_PGM_RSRC3_GFX90A:ACCUM_OFFSET: 0
; COMPUTE_PGM_RSRC3_GFX90A:TG_SPLIT: 0
	.section	.text._ZN7rocprim17ROCPRIM_400000_NS6detail17trampoline_kernelINS0_14default_configENS1_20scan_config_selectorIyEEZZNS1_9scan_implILNS1_25lookback_scan_determinismE0ELb0ELb0ES3_N6thrust23THRUST_200600_302600_NS6detail15normal_iteratorINS9_10device_ptrIyEEEESE_yNS9_4plusIvEEyEEDaPvRmT3_T4_T5_mT6_P12ihipStream_tbENKUlT_T0_E_clISt17integral_constantIbLb0EEST_IbLb1EEEEDaSP_SQ_EUlSP_E_NS1_11comp_targetILNS1_3genE9ELNS1_11target_archE1100ELNS1_3gpuE3ELNS1_3repE0EEENS1_30default_config_static_selectorELNS0_4arch9wavefront6targetE1EEEvT1_,"axG",@progbits,_ZN7rocprim17ROCPRIM_400000_NS6detail17trampoline_kernelINS0_14default_configENS1_20scan_config_selectorIyEEZZNS1_9scan_implILNS1_25lookback_scan_determinismE0ELb0ELb0ES3_N6thrust23THRUST_200600_302600_NS6detail15normal_iteratorINS9_10device_ptrIyEEEESE_yNS9_4plusIvEEyEEDaPvRmT3_T4_T5_mT6_P12ihipStream_tbENKUlT_T0_E_clISt17integral_constantIbLb0EEST_IbLb1EEEEDaSP_SQ_EUlSP_E_NS1_11comp_targetILNS1_3genE9ELNS1_11target_archE1100ELNS1_3gpuE3ELNS1_3repE0EEENS1_30default_config_static_selectorELNS0_4arch9wavefront6targetE1EEEvT1_,comdat
	.protected	_ZN7rocprim17ROCPRIM_400000_NS6detail17trampoline_kernelINS0_14default_configENS1_20scan_config_selectorIyEEZZNS1_9scan_implILNS1_25lookback_scan_determinismE0ELb0ELb0ES3_N6thrust23THRUST_200600_302600_NS6detail15normal_iteratorINS9_10device_ptrIyEEEESE_yNS9_4plusIvEEyEEDaPvRmT3_T4_T5_mT6_P12ihipStream_tbENKUlT_T0_E_clISt17integral_constantIbLb0EEST_IbLb1EEEEDaSP_SQ_EUlSP_E_NS1_11comp_targetILNS1_3genE9ELNS1_11target_archE1100ELNS1_3gpuE3ELNS1_3repE0EEENS1_30default_config_static_selectorELNS0_4arch9wavefront6targetE1EEEvT1_ ; -- Begin function _ZN7rocprim17ROCPRIM_400000_NS6detail17trampoline_kernelINS0_14default_configENS1_20scan_config_selectorIyEEZZNS1_9scan_implILNS1_25lookback_scan_determinismE0ELb0ELb0ES3_N6thrust23THRUST_200600_302600_NS6detail15normal_iteratorINS9_10device_ptrIyEEEESE_yNS9_4plusIvEEyEEDaPvRmT3_T4_T5_mT6_P12ihipStream_tbENKUlT_T0_E_clISt17integral_constantIbLb0EEST_IbLb1EEEEDaSP_SQ_EUlSP_E_NS1_11comp_targetILNS1_3genE9ELNS1_11target_archE1100ELNS1_3gpuE3ELNS1_3repE0EEENS1_30default_config_static_selectorELNS0_4arch9wavefront6targetE1EEEvT1_
	.globl	_ZN7rocprim17ROCPRIM_400000_NS6detail17trampoline_kernelINS0_14default_configENS1_20scan_config_selectorIyEEZZNS1_9scan_implILNS1_25lookback_scan_determinismE0ELb0ELb0ES3_N6thrust23THRUST_200600_302600_NS6detail15normal_iteratorINS9_10device_ptrIyEEEESE_yNS9_4plusIvEEyEEDaPvRmT3_T4_T5_mT6_P12ihipStream_tbENKUlT_T0_E_clISt17integral_constantIbLb0EEST_IbLb1EEEEDaSP_SQ_EUlSP_E_NS1_11comp_targetILNS1_3genE9ELNS1_11target_archE1100ELNS1_3gpuE3ELNS1_3repE0EEENS1_30default_config_static_selectorELNS0_4arch9wavefront6targetE1EEEvT1_
	.p2align	8
	.type	_ZN7rocprim17ROCPRIM_400000_NS6detail17trampoline_kernelINS0_14default_configENS1_20scan_config_selectorIyEEZZNS1_9scan_implILNS1_25lookback_scan_determinismE0ELb0ELb0ES3_N6thrust23THRUST_200600_302600_NS6detail15normal_iteratorINS9_10device_ptrIyEEEESE_yNS9_4plusIvEEyEEDaPvRmT3_T4_T5_mT6_P12ihipStream_tbENKUlT_T0_E_clISt17integral_constantIbLb0EEST_IbLb1EEEEDaSP_SQ_EUlSP_E_NS1_11comp_targetILNS1_3genE9ELNS1_11target_archE1100ELNS1_3gpuE3ELNS1_3repE0EEENS1_30default_config_static_selectorELNS0_4arch9wavefront6targetE1EEEvT1_,@function
_ZN7rocprim17ROCPRIM_400000_NS6detail17trampoline_kernelINS0_14default_configENS1_20scan_config_selectorIyEEZZNS1_9scan_implILNS1_25lookback_scan_determinismE0ELb0ELb0ES3_N6thrust23THRUST_200600_302600_NS6detail15normal_iteratorINS9_10device_ptrIyEEEESE_yNS9_4plusIvEEyEEDaPvRmT3_T4_T5_mT6_P12ihipStream_tbENKUlT_T0_E_clISt17integral_constantIbLb0EEST_IbLb1EEEEDaSP_SQ_EUlSP_E_NS1_11comp_targetILNS1_3genE9ELNS1_11target_archE1100ELNS1_3gpuE3ELNS1_3repE0EEENS1_30default_config_static_selectorELNS0_4arch9wavefront6targetE1EEEvT1_: ; @_ZN7rocprim17ROCPRIM_400000_NS6detail17trampoline_kernelINS0_14default_configENS1_20scan_config_selectorIyEEZZNS1_9scan_implILNS1_25lookback_scan_determinismE0ELb0ELb0ES3_N6thrust23THRUST_200600_302600_NS6detail15normal_iteratorINS9_10device_ptrIyEEEESE_yNS9_4plusIvEEyEEDaPvRmT3_T4_T5_mT6_P12ihipStream_tbENKUlT_T0_E_clISt17integral_constantIbLb0EEST_IbLb1EEEEDaSP_SQ_EUlSP_E_NS1_11comp_targetILNS1_3genE9ELNS1_11target_archE1100ELNS1_3gpuE3ELNS1_3repE0EEENS1_30default_config_static_selectorELNS0_4arch9wavefront6targetE1EEEvT1_
; %bb.0:
	.section	.rodata,"a",@progbits
	.p2align	6, 0x0
	.amdhsa_kernel _ZN7rocprim17ROCPRIM_400000_NS6detail17trampoline_kernelINS0_14default_configENS1_20scan_config_selectorIyEEZZNS1_9scan_implILNS1_25lookback_scan_determinismE0ELb0ELb0ES3_N6thrust23THRUST_200600_302600_NS6detail15normal_iteratorINS9_10device_ptrIyEEEESE_yNS9_4plusIvEEyEEDaPvRmT3_T4_T5_mT6_P12ihipStream_tbENKUlT_T0_E_clISt17integral_constantIbLb0EEST_IbLb1EEEEDaSP_SQ_EUlSP_E_NS1_11comp_targetILNS1_3genE9ELNS1_11target_archE1100ELNS1_3gpuE3ELNS1_3repE0EEENS1_30default_config_static_selectorELNS0_4arch9wavefront6targetE1EEEvT1_
		.amdhsa_group_segment_fixed_size 0
		.amdhsa_private_segment_fixed_size 0
		.amdhsa_kernarg_size 104
		.amdhsa_user_sgpr_count 6
		.amdhsa_user_sgpr_private_segment_buffer 1
		.amdhsa_user_sgpr_dispatch_ptr 0
		.amdhsa_user_sgpr_queue_ptr 0
		.amdhsa_user_sgpr_kernarg_segment_ptr 1
		.amdhsa_user_sgpr_dispatch_id 0
		.amdhsa_user_sgpr_flat_scratch_init 0
		.amdhsa_user_sgpr_kernarg_preload_length 0
		.amdhsa_user_sgpr_kernarg_preload_offset 0
		.amdhsa_user_sgpr_private_segment_size 0
		.amdhsa_uses_dynamic_stack 0
		.amdhsa_system_sgpr_private_segment_wavefront_offset 0
		.amdhsa_system_sgpr_workgroup_id_x 1
		.amdhsa_system_sgpr_workgroup_id_y 0
		.amdhsa_system_sgpr_workgroup_id_z 0
		.amdhsa_system_sgpr_workgroup_info 0
		.amdhsa_system_vgpr_workitem_id 0
		.amdhsa_next_free_vgpr 1
		.amdhsa_next_free_sgpr 0
		.amdhsa_accum_offset 4
		.amdhsa_reserve_vcc 0
		.amdhsa_reserve_flat_scratch 0
		.amdhsa_float_round_mode_32 0
		.amdhsa_float_round_mode_16_64 0
		.amdhsa_float_denorm_mode_32 3
		.amdhsa_float_denorm_mode_16_64 3
		.amdhsa_dx10_clamp 1
		.amdhsa_ieee_mode 1
		.amdhsa_fp16_overflow 0
		.amdhsa_tg_split 0
		.amdhsa_exception_fp_ieee_invalid_op 0
		.amdhsa_exception_fp_denorm_src 0
		.amdhsa_exception_fp_ieee_div_zero 0
		.amdhsa_exception_fp_ieee_overflow 0
		.amdhsa_exception_fp_ieee_underflow 0
		.amdhsa_exception_fp_ieee_inexact 0
		.amdhsa_exception_int_div_zero 0
	.end_amdhsa_kernel
	.section	.text._ZN7rocprim17ROCPRIM_400000_NS6detail17trampoline_kernelINS0_14default_configENS1_20scan_config_selectorIyEEZZNS1_9scan_implILNS1_25lookback_scan_determinismE0ELb0ELb0ES3_N6thrust23THRUST_200600_302600_NS6detail15normal_iteratorINS9_10device_ptrIyEEEESE_yNS9_4plusIvEEyEEDaPvRmT3_T4_T5_mT6_P12ihipStream_tbENKUlT_T0_E_clISt17integral_constantIbLb0EEST_IbLb1EEEEDaSP_SQ_EUlSP_E_NS1_11comp_targetILNS1_3genE9ELNS1_11target_archE1100ELNS1_3gpuE3ELNS1_3repE0EEENS1_30default_config_static_selectorELNS0_4arch9wavefront6targetE1EEEvT1_,"axG",@progbits,_ZN7rocprim17ROCPRIM_400000_NS6detail17trampoline_kernelINS0_14default_configENS1_20scan_config_selectorIyEEZZNS1_9scan_implILNS1_25lookback_scan_determinismE0ELb0ELb0ES3_N6thrust23THRUST_200600_302600_NS6detail15normal_iteratorINS9_10device_ptrIyEEEESE_yNS9_4plusIvEEyEEDaPvRmT3_T4_T5_mT6_P12ihipStream_tbENKUlT_T0_E_clISt17integral_constantIbLb0EEST_IbLb1EEEEDaSP_SQ_EUlSP_E_NS1_11comp_targetILNS1_3genE9ELNS1_11target_archE1100ELNS1_3gpuE3ELNS1_3repE0EEENS1_30default_config_static_selectorELNS0_4arch9wavefront6targetE1EEEvT1_,comdat
.Lfunc_end4491:
	.size	_ZN7rocprim17ROCPRIM_400000_NS6detail17trampoline_kernelINS0_14default_configENS1_20scan_config_selectorIyEEZZNS1_9scan_implILNS1_25lookback_scan_determinismE0ELb0ELb0ES3_N6thrust23THRUST_200600_302600_NS6detail15normal_iteratorINS9_10device_ptrIyEEEESE_yNS9_4plusIvEEyEEDaPvRmT3_T4_T5_mT6_P12ihipStream_tbENKUlT_T0_E_clISt17integral_constantIbLb0EEST_IbLb1EEEEDaSP_SQ_EUlSP_E_NS1_11comp_targetILNS1_3genE9ELNS1_11target_archE1100ELNS1_3gpuE3ELNS1_3repE0EEENS1_30default_config_static_selectorELNS0_4arch9wavefront6targetE1EEEvT1_, .Lfunc_end4491-_ZN7rocprim17ROCPRIM_400000_NS6detail17trampoline_kernelINS0_14default_configENS1_20scan_config_selectorIyEEZZNS1_9scan_implILNS1_25lookback_scan_determinismE0ELb0ELb0ES3_N6thrust23THRUST_200600_302600_NS6detail15normal_iteratorINS9_10device_ptrIyEEEESE_yNS9_4plusIvEEyEEDaPvRmT3_T4_T5_mT6_P12ihipStream_tbENKUlT_T0_E_clISt17integral_constantIbLb0EEST_IbLb1EEEEDaSP_SQ_EUlSP_E_NS1_11comp_targetILNS1_3genE9ELNS1_11target_archE1100ELNS1_3gpuE3ELNS1_3repE0EEENS1_30default_config_static_selectorELNS0_4arch9wavefront6targetE1EEEvT1_
                                        ; -- End function
	.section	.AMDGPU.csdata,"",@progbits
; Kernel info:
; codeLenInByte = 0
; NumSgprs: 4
; NumVgprs: 0
; NumAgprs: 0
; TotalNumVgprs: 0
; ScratchSize: 0
; MemoryBound: 0
; FloatMode: 240
; IeeeMode: 1
; LDSByteSize: 0 bytes/workgroup (compile time only)
; SGPRBlocks: 0
; VGPRBlocks: 0
; NumSGPRsForWavesPerEU: 4
; NumVGPRsForWavesPerEU: 1
; AccumOffset: 4
; Occupancy: 8
; WaveLimiterHint : 0
; COMPUTE_PGM_RSRC2:SCRATCH_EN: 0
; COMPUTE_PGM_RSRC2:USER_SGPR: 6
; COMPUTE_PGM_RSRC2:TRAP_HANDLER: 0
; COMPUTE_PGM_RSRC2:TGID_X_EN: 1
; COMPUTE_PGM_RSRC2:TGID_Y_EN: 0
; COMPUTE_PGM_RSRC2:TGID_Z_EN: 0
; COMPUTE_PGM_RSRC2:TIDIG_COMP_CNT: 0
; COMPUTE_PGM_RSRC3_GFX90A:ACCUM_OFFSET: 0
; COMPUTE_PGM_RSRC3_GFX90A:TG_SPLIT: 0
	.section	.text._ZN7rocprim17ROCPRIM_400000_NS6detail17trampoline_kernelINS0_14default_configENS1_20scan_config_selectorIyEEZZNS1_9scan_implILNS1_25lookback_scan_determinismE0ELb0ELb0ES3_N6thrust23THRUST_200600_302600_NS6detail15normal_iteratorINS9_10device_ptrIyEEEESE_yNS9_4plusIvEEyEEDaPvRmT3_T4_T5_mT6_P12ihipStream_tbENKUlT_T0_E_clISt17integral_constantIbLb0EEST_IbLb1EEEEDaSP_SQ_EUlSP_E_NS1_11comp_targetILNS1_3genE8ELNS1_11target_archE1030ELNS1_3gpuE2ELNS1_3repE0EEENS1_30default_config_static_selectorELNS0_4arch9wavefront6targetE1EEEvT1_,"axG",@progbits,_ZN7rocprim17ROCPRIM_400000_NS6detail17trampoline_kernelINS0_14default_configENS1_20scan_config_selectorIyEEZZNS1_9scan_implILNS1_25lookback_scan_determinismE0ELb0ELb0ES3_N6thrust23THRUST_200600_302600_NS6detail15normal_iteratorINS9_10device_ptrIyEEEESE_yNS9_4plusIvEEyEEDaPvRmT3_T4_T5_mT6_P12ihipStream_tbENKUlT_T0_E_clISt17integral_constantIbLb0EEST_IbLb1EEEEDaSP_SQ_EUlSP_E_NS1_11comp_targetILNS1_3genE8ELNS1_11target_archE1030ELNS1_3gpuE2ELNS1_3repE0EEENS1_30default_config_static_selectorELNS0_4arch9wavefront6targetE1EEEvT1_,comdat
	.protected	_ZN7rocprim17ROCPRIM_400000_NS6detail17trampoline_kernelINS0_14default_configENS1_20scan_config_selectorIyEEZZNS1_9scan_implILNS1_25lookback_scan_determinismE0ELb0ELb0ES3_N6thrust23THRUST_200600_302600_NS6detail15normal_iteratorINS9_10device_ptrIyEEEESE_yNS9_4plusIvEEyEEDaPvRmT3_T4_T5_mT6_P12ihipStream_tbENKUlT_T0_E_clISt17integral_constantIbLb0EEST_IbLb1EEEEDaSP_SQ_EUlSP_E_NS1_11comp_targetILNS1_3genE8ELNS1_11target_archE1030ELNS1_3gpuE2ELNS1_3repE0EEENS1_30default_config_static_selectorELNS0_4arch9wavefront6targetE1EEEvT1_ ; -- Begin function _ZN7rocprim17ROCPRIM_400000_NS6detail17trampoline_kernelINS0_14default_configENS1_20scan_config_selectorIyEEZZNS1_9scan_implILNS1_25lookback_scan_determinismE0ELb0ELb0ES3_N6thrust23THRUST_200600_302600_NS6detail15normal_iteratorINS9_10device_ptrIyEEEESE_yNS9_4plusIvEEyEEDaPvRmT3_T4_T5_mT6_P12ihipStream_tbENKUlT_T0_E_clISt17integral_constantIbLb0EEST_IbLb1EEEEDaSP_SQ_EUlSP_E_NS1_11comp_targetILNS1_3genE8ELNS1_11target_archE1030ELNS1_3gpuE2ELNS1_3repE0EEENS1_30default_config_static_selectorELNS0_4arch9wavefront6targetE1EEEvT1_
	.globl	_ZN7rocprim17ROCPRIM_400000_NS6detail17trampoline_kernelINS0_14default_configENS1_20scan_config_selectorIyEEZZNS1_9scan_implILNS1_25lookback_scan_determinismE0ELb0ELb0ES3_N6thrust23THRUST_200600_302600_NS6detail15normal_iteratorINS9_10device_ptrIyEEEESE_yNS9_4plusIvEEyEEDaPvRmT3_T4_T5_mT6_P12ihipStream_tbENKUlT_T0_E_clISt17integral_constantIbLb0EEST_IbLb1EEEEDaSP_SQ_EUlSP_E_NS1_11comp_targetILNS1_3genE8ELNS1_11target_archE1030ELNS1_3gpuE2ELNS1_3repE0EEENS1_30default_config_static_selectorELNS0_4arch9wavefront6targetE1EEEvT1_
	.p2align	8
	.type	_ZN7rocprim17ROCPRIM_400000_NS6detail17trampoline_kernelINS0_14default_configENS1_20scan_config_selectorIyEEZZNS1_9scan_implILNS1_25lookback_scan_determinismE0ELb0ELb0ES3_N6thrust23THRUST_200600_302600_NS6detail15normal_iteratorINS9_10device_ptrIyEEEESE_yNS9_4plusIvEEyEEDaPvRmT3_T4_T5_mT6_P12ihipStream_tbENKUlT_T0_E_clISt17integral_constantIbLb0EEST_IbLb1EEEEDaSP_SQ_EUlSP_E_NS1_11comp_targetILNS1_3genE8ELNS1_11target_archE1030ELNS1_3gpuE2ELNS1_3repE0EEENS1_30default_config_static_selectorELNS0_4arch9wavefront6targetE1EEEvT1_,@function
_ZN7rocprim17ROCPRIM_400000_NS6detail17trampoline_kernelINS0_14default_configENS1_20scan_config_selectorIyEEZZNS1_9scan_implILNS1_25lookback_scan_determinismE0ELb0ELb0ES3_N6thrust23THRUST_200600_302600_NS6detail15normal_iteratorINS9_10device_ptrIyEEEESE_yNS9_4plusIvEEyEEDaPvRmT3_T4_T5_mT6_P12ihipStream_tbENKUlT_T0_E_clISt17integral_constantIbLb0EEST_IbLb1EEEEDaSP_SQ_EUlSP_E_NS1_11comp_targetILNS1_3genE8ELNS1_11target_archE1030ELNS1_3gpuE2ELNS1_3repE0EEENS1_30default_config_static_selectorELNS0_4arch9wavefront6targetE1EEEvT1_: ; @_ZN7rocprim17ROCPRIM_400000_NS6detail17trampoline_kernelINS0_14default_configENS1_20scan_config_selectorIyEEZZNS1_9scan_implILNS1_25lookback_scan_determinismE0ELb0ELb0ES3_N6thrust23THRUST_200600_302600_NS6detail15normal_iteratorINS9_10device_ptrIyEEEESE_yNS9_4plusIvEEyEEDaPvRmT3_T4_T5_mT6_P12ihipStream_tbENKUlT_T0_E_clISt17integral_constantIbLb0EEST_IbLb1EEEEDaSP_SQ_EUlSP_E_NS1_11comp_targetILNS1_3genE8ELNS1_11target_archE1030ELNS1_3gpuE2ELNS1_3repE0EEENS1_30default_config_static_selectorELNS0_4arch9wavefront6targetE1EEEvT1_
; %bb.0:
	.section	.rodata,"a",@progbits
	.p2align	6, 0x0
	.amdhsa_kernel _ZN7rocprim17ROCPRIM_400000_NS6detail17trampoline_kernelINS0_14default_configENS1_20scan_config_selectorIyEEZZNS1_9scan_implILNS1_25lookback_scan_determinismE0ELb0ELb0ES3_N6thrust23THRUST_200600_302600_NS6detail15normal_iteratorINS9_10device_ptrIyEEEESE_yNS9_4plusIvEEyEEDaPvRmT3_T4_T5_mT6_P12ihipStream_tbENKUlT_T0_E_clISt17integral_constantIbLb0EEST_IbLb1EEEEDaSP_SQ_EUlSP_E_NS1_11comp_targetILNS1_3genE8ELNS1_11target_archE1030ELNS1_3gpuE2ELNS1_3repE0EEENS1_30default_config_static_selectorELNS0_4arch9wavefront6targetE1EEEvT1_
		.amdhsa_group_segment_fixed_size 0
		.amdhsa_private_segment_fixed_size 0
		.amdhsa_kernarg_size 104
		.amdhsa_user_sgpr_count 6
		.amdhsa_user_sgpr_private_segment_buffer 1
		.amdhsa_user_sgpr_dispatch_ptr 0
		.amdhsa_user_sgpr_queue_ptr 0
		.amdhsa_user_sgpr_kernarg_segment_ptr 1
		.amdhsa_user_sgpr_dispatch_id 0
		.amdhsa_user_sgpr_flat_scratch_init 0
		.amdhsa_user_sgpr_kernarg_preload_length 0
		.amdhsa_user_sgpr_kernarg_preload_offset 0
		.amdhsa_user_sgpr_private_segment_size 0
		.amdhsa_uses_dynamic_stack 0
		.amdhsa_system_sgpr_private_segment_wavefront_offset 0
		.amdhsa_system_sgpr_workgroup_id_x 1
		.amdhsa_system_sgpr_workgroup_id_y 0
		.amdhsa_system_sgpr_workgroup_id_z 0
		.amdhsa_system_sgpr_workgroup_info 0
		.amdhsa_system_vgpr_workitem_id 0
		.amdhsa_next_free_vgpr 1
		.amdhsa_next_free_sgpr 0
		.amdhsa_accum_offset 4
		.amdhsa_reserve_vcc 0
		.amdhsa_reserve_flat_scratch 0
		.amdhsa_float_round_mode_32 0
		.amdhsa_float_round_mode_16_64 0
		.amdhsa_float_denorm_mode_32 3
		.amdhsa_float_denorm_mode_16_64 3
		.amdhsa_dx10_clamp 1
		.amdhsa_ieee_mode 1
		.amdhsa_fp16_overflow 0
		.amdhsa_tg_split 0
		.amdhsa_exception_fp_ieee_invalid_op 0
		.amdhsa_exception_fp_denorm_src 0
		.amdhsa_exception_fp_ieee_div_zero 0
		.amdhsa_exception_fp_ieee_overflow 0
		.amdhsa_exception_fp_ieee_underflow 0
		.amdhsa_exception_fp_ieee_inexact 0
		.amdhsa_exception_int_div_zero 0
	.end_amdhsa_kernel
	.section	.text._ZN7rocprim17ROCPRIM_400000_NS6detail17trampoline_kernelINS0_14default_configENS1_20scan_config_selectorIyEEZZNS1_9scan_implILNS1_25lookback_scan_determinismE0ELb0ELb0ES3_N6thrust23THRUST_200600_302600_NS6detail15normal_iteratorINS9_10device_ptrIyEEEESE_yNS9_4plusIvEEyEEDaPvRmT3_T4_T5_mT6_P12ihipStream_tbENKUlT_T0_E_clISt17integral_constantIbLb0EEST_IbLb1EEEEDaSP_SQ_EUlSP_E_NS1_11comp_targetILNS1_3genE8ELNS1_11target_archE1030ELNS1_3gpuE2ELNS1_3repE0EEENS1_30default_config_static_selectorELNS0_4arch9wavefront6targetE1EEEvT1_,"axG",@progbits,_ZN7rocprim17ROCPRIM_400000_NS6detail17trampoline_kernelINS0_14default_configENS1_20scan_config_selectorIyEEZZNS1_9scan_implILNS1_25lookback_scan_determinismE0ELb0ELb0ES3_N6thrust23THRUST_200600_302600_NS6detail15normal_iteratorINS9_10device_ptrIyEEEESE_yNS9_4plusIvEEyEEDaPvRmT3_T4_T5_mT6_P12ihipStream_tbENKUlT_T0_E_clISt17integral_constantIbLb0EEST_IbLb1EEEEDaSP_SQ_EUlSP_E_NS1_11comp_targetILNS1_3genE8ELNS1_11target_archE1030ELNS1_3gpuE2ELNS1_3repE0EEENS1_30default_config_static_selectorELNS0_4arch9wavefront6targetE1EEEvT1_,comdat
.Lfunc_end4492:
	.size	_ZN7rocprim17ROCPRIM_400000_NS6detail17trampoline_kernelINS0_14default_configENS1_20scan_config_selectorIyEEZZNS1_9scan_implILNS1_25lookback_scan_determinismE0ELb0ELb0ES3_N6thrust23THRUST_200600_302600_NS6detail15normal_iteratorINS9_10device_ptrIyEEEESE_yNS9_4plusIvEEyEEDaPvRmT3_T4_T5_mT6_P12ihipStream_tbENKUlT_T0_E_clISt17integral_constantIbLb0EEST_IbLb1EEEEDaSP_SQ_EUlSP_E_NS1_11comp_targetILNS1_3genE8ELNS1_11target_archE1030ELNS1_3gpuE2ELNS1_3repE0EEENS1_30default_config_static_selectorELNS0_4arch9wavefront6targetE1EEEvT1_, .Lfunc_end4492-_ZN7rocprim17ROCPRIM_400000_NS6detail17trampoline_kernelINS0_14default_configENS1_20scan_config_selectorIyEEZZNS1_9scan_implILNS1_25lookback_scan_determinismE0ELb0ELb0ES3_N6thrust23THRUST_200600_302600_NS6detail15normal_iteratorINS9_10device_ptrIyEEEESE_yNS9_4plusIvEEyEEDaPvRmT3_T4_T5_mT6_P12ihipStream_tbENKUlT_T0_E_clISt17integral_constantIbLb0EEST_IbLb1EEEEDaSP_SQ_EUlSP_E_NS1_11comp_targetILNS1_3genE8ELNS1_11target_archE1030ELNS1_3gpuE2ELNS1_3repE0EEENS1_30default_config_static_selectorELNS0_4arch9wavefront6targetE1EEEvT1_
                                        ; -- End function
	.section	.AMDGPU.csdata,"",@progbits
; Kernel info:
; codeLenInByte = 0
; NumSgprs: 4
; NumVgprs: 0
; NumAgprs: 0
; TotalNumVgprs: 0
; ScratchSize: 0
; MemoryBound: 0
; FloatMode: 240
; IeeeMode: 1
; LDSByteSize: 0 bytes/workgroup (compile time only)
; SGPRBlocks: 0
; VGPRBlocks: 0
; NumSGPRsForWavesPerEU: 4
; NumVGPRsForWavesPerEU: 1
; AccumOffset: 4
; Occupancy: 8
; WaveLimiterHint : 0
; COMPUTE_PGM_RSRC2:SCRATCH_EN: 0
; COMPUTE_PGM_RSRC2:USER_SGPR: 6
; COMPUTE_PGM_RSRC2:TRAP_HANDLER: 0
; COMPUTE_PGM_RSRC2:TGID_X_EN: 1
; COMPUTE_PGM_RSRC2:TGID_Y_EN: 0
; COMPUTE_PGM_RSRC2:TGID_Z_EN: 0
; COMPUTE_PGM_RSRC2:TIDIG_COMP_CNT: 0
; COMPUTE_PGM_RSRC3_GFX90A:ACCUM_OFFSET: 0
; COMPUTE_PGM_RSRC3_GFX90A:TG_SPLIT: 0
	.section	.text._ZN7rocprim17ROCPRIM_400000_NS6detail17trampoline_kernelINS0_14default_configENS1_20scan_config_selectorIyEEZZNS1_9scan_implILNS1_25lookback_scan_determinismE0ELb0ELb0ES3_N6thrust23THRUST_200600_302600_NS6detail15normal_iteratorINS9_10device_ptrIyEEEESE_yNS9_4plusIvEEyEEDaPvRmT3_T4_T5_mT6_P12ihipStream_tbENKUlT_T0_E_clISt17integral_constantIbLb0EEST_IbLb1EEEEDaSP_SQ_EUlSP_E0_NS1_11comp_targetILNS1_3genE0ELNS1_11target_archE4294967295ELNS1_3gpuE0ELNS1_3repE0EEENS1_30default_config_static_selectorELNS0_4arch9wavefront6targetE1EEEvT1_,"axG",@progbits,_ZN7rocprim17ROCPRIM_400000_NS6detail17trampoline_kernelINS0_14default_configENS1_20scan_config_selectorIyEEZZNS1_9scan_implILNS1_25lookback_scan_determinismE0ELb0ELb0ES3_N6thrust23THRUST_200600_302600_NS6detail15normal_iteratorINS9_10device_ptrIyEEEESE_yNS9_4plusIvEEyEEDaPvRmT3_T4_T5_mT6_P12ihipStream_tbENKUlT_T0_E_clISt17integral_constantIbLb0EEST_IbLb1EEEEDaSP_SQ_EUlSP_E0_NS1_11comp_targetILNS1_3genE0ELNS1_11target_archE4294967295ELNS1_3gpuE0ELNS1_3repE0EEENS1_30default_config_static_selectorELNS0_4arch9wavefront6targetE1EEEvT1_,comdat
	.protected	_ZN7rocprim17ROCPRIM_400000_NS6detail17trampoline_kernelINS0_14default_configENS1_20scan_config_selectorIyEEZZNS1_9scan_implILNS1_25lookback_scan_determinismE0ELb0ELb0ES3_N6thrust23THRUST_200600_302600_NS6detail15normal_iteratorINS9_10device_ptrIyEEEESE_yNS9_4plusIvEEyEEDaPvRmT3_T4_T5_mT6_P12ihipStream_tbENKUlT_T0_E_clISt17integral_constantIbLb0EEST_IbLb1EEEEDaSP_SQ_EUlSP_E0_NS1_11comp_targetILNS1_3genE0ELNS1_11target_archE4294967295ELNS1_3gpuE0ELNS1_3repE0EEENS1_30default_config_static_selectorELNS0_4arch9wavefront6targetE1EEEvT1_ ; -- Begin function _ZN7rocprim17ROCPRIM_400000_NS6detail17trampoline_kernelINS0_14default_configENS1_20scan_config_selectorIyEEZZNS1_9scan_implILNS1_25lookback_scan_determinismE0ELb0ELb0ES3_N6thrust23THRUST_200600_302600_NS6detail15normal_iteratorINS9_10device_ptrIyEEEESE_yNS9_4plusIvEEyEEDaPvRmT3_T4_T5_mT6_P12ihipStream_tbENKUlT_T0_E_clISt17integral_constantIbLb0EEST_IbLb1EEEEDaSP_SQ_EUlSP_E0_NS1_11comp_targetILNS1_3genE0ELNS1_11target_archE4294967295ELNS1_3gpuE0ELNS1_3repE0EEENS1_30default_config_static_selectorELNS0_4arch9wavefront6targetE1EEEvT1_
	.globl	_ZN7rocprim17ROCPRIM_400000_NS6detail17trampoline_kernelINS0_14default_configENS1_20scan_config_selectorIyEEZZNS1_9scan_implILNS1_25lookback_scan_determinismE0ELb0ELb0ES3_N6thrust23THRUST_200600_302600_NS6detail15normal_iteratorINS9_10device_ptrIyEEEESE_yNS9_4plusIvEEyEEDaPvRmT3_T4_T5_mT6_P12ihipStream_tbENKUlT_T0_E_clISt17integral_constantIbLb0EEST_IbLb1EEEEDaSP_SQ_EUlSP_E0_NS1_11comp_targetILNS1_3genE0ELNS1_11target_archE4294967295ELNS1_3gpuE0ELNS1_3repE0EEENS1_30default_config_static_selectorELNS0_4arch9wavefront6targetE1EEEvT1_
	.p2align	8
	.type	_ZN7rocprim17ROCPRIM_400000_NS6detail17trampoline_kernelINS0_14default_configENS1_20scan_config_selectorIyEEZZNS1_9scan_implILNS1_25lookback_scan_determinismE0ELb0ELb0ES3_N6thrust23THRUST_200600_302600_NS6detail15normal_iteratorINS9_10device_ptrIyEEEESE_yNS9_4plusIvEEyEEDaPvRmT3_T4_T5_mT6_P12ihipStream_tbENKUlT_T0_E_clISt17integral_constantIbLb0EEST_IbLb1EEEEDaSP_SQ_EUlSP_E0_NS1_11comp_targetILNS1_3genE0ELNS1_11target_archE4294967295ELNS1_3gpuE0ELNS1_3repE0EEENS1_30default_config_static_selectorELNS0_4arch9wavefront6targetE1EEEvT1_,@function
_ZN7rocprim17ROCPRIM_400000_NS6detail17trampoline_kernelINS0_14default_configENS1_20scan_config_selectorIyEEZZNS1_9scan_implILNS1_25lookback_scan_determinismE0ELb0ELb0ES3_N6thrust23THRUST_200600_302600_NS6detail15normal_iteratorINS9_10device_ptrIyEEEESE_yNS9_4plusIvEEyEEDaPvRmT3_T4_T5_mT6_P12ihipStream_tbENKUlT_T0_E_clISt17integral_constantIbLb0EEST_IbLb1EEEEDaSP_SQ_EUlSP_E0_NS1_11comp_targetILNS1_3genE0ELNS1_11target_archE4294967295ELNS1_3gpuE0ELNS1_3repE0EEENS1_30default_config_static_selectorELNS0_4arch9wavefront6targetE1EEEvT1_: ; @_ZN7rocprim17ROCPRIM_400000_NS6detail17trampoline_kernelINS0_14default_configENS1_20scan_config_selectorIyEEZZNS1_9scan_implILNS1_25lookback_scan_determinismE0ELb0ELb0ES3_N6thrust23THRUST_200600_302600_NS6detail15normal_iteratorINS9_10device_ptrIyEEEESE_yNS9_4plusIvEEyEEDaPvRmT3_T4_T5_mT6_P12ihipStream_tbENKUlT_T0_E_clISt17integral_constantIbLb0EEST_IbLb1EEEEDaSP_SQ_EUlSP_E0_NS1_11comp_targetILNS1_3genE0ELNS1_11target_archE4294967295ELNS1_3gpuE0ELNS1_3repE0EEENS1_30default_config_static_selectorELNS0_4arch9wavefront6targetE1EEEvT1_
; %bb.0:
	.section	.rodata,"a",@progbits
	.p2align	6, 0x0
	.amdhsa_kernel _ZN7rocprim17ROCPRIM_400000_NS6detail17trampoline_kernelINS0_14default_configENS1_20scan_config_selectorIyEEZZNS1_9scan_implILNS1_25lookback_scan_determinismE0ELb0ELb0ES3_N6thrust23THRUST_200600_302600_NS6detail15normal_iteratorINS9_10device_ptrIyEEEESE_yNS9_4plusIvEEyEEDaPvRmT3_T4_T5_mT6_P12ihipStream_tbENKUlT_T0_E_clISt17integral_constantIbLb0EEST_IbLb1EEEEDaSP_SQ_EUlSP_E0_NS1_11comp_targetILNS1_3genE0ELNS1_11target_archE4294967295ELNS1_3gpuE0ELNS1_3repE0EEENS1_30default_config_static_selectorELNS0_4arch9wavefront6targetE1EEEvT1_
		.amdhsa_group_segment_fixed_size 0
		.amdhsa_private_segment_fixed_size 0
		.amdhsa_kernarg_size 40
		.amdhsa_user_sgpr_count 6
		.amdhsa_user_sgpr_private_segment_buffer 1
		.amdhsa_user_sgpr_dispatch_ptr 0
		.amdhsa_user_sgpr_queue_ptr 0
		.amdhsa_user_sgpr_kernarg_segment_ptr 1
		.amdhsa_user_sgpr_dispatch_id 0
		.amdhsa_user_sgpr_flat_scratch_init 0
		.amdhsa_user_sgpr_kernarg_preload_length 0
		.amdhsa_user_sgpr_kernarg_preload_offset 0
		.amdhsa_user_sgpr_private_segment_size 0
		.amdhsa_uses_dynamic_stack 0
		.amdhsa_system_sgpr_private_segment_wavefront_offset 0
		.amdhsa_system_sgpr_workgroup_id_x 1
		.amdhsa_system_sgpr_workgroup_id_y 0
		.amdhsa_system_sgpr_workgroup_id_z 0
		.amdhsa_system_sgpr_workgroup_info 0
		.amdhsa_system_vgpr_workitem_id 0
		.amdhsa_next_free_vgpr 1
		.amdhsa_next_free_sgpr 0
		.amdhsa_accum_offset 4
		.amdhsa_reserve_vcc 0
		.amdhsa_reserve_flat_scratch 0
		.amdhsa_float_round_mode_32 0
		.amdhsa_float_round_mode_16_64 0
		.amdhsa_float_denorm_mode_32 3
		.amdhsa_float_denorm_mode_16_64 3
		.amdhsa_dx10_clamp 1
		.amdhsa_ieee_mode 1
		.amdhsa_fp16_overflow 0
		.amdhsa_tg_split 0
		.amdhsa_exception_fp_ieee_invalid_op 0
		.amdhsa_exception_fp_denorm_src 0
		.amdhsa_exception_fp_ieee_div_zero 0
		.amdhsa_exception_fp_ieee_overflow 0
		.amdhsa_exception_fp_ieee_underflow 0
		.amdhsa_exception_fp_ieee_inexact 0
		.amdhsa_exception_int_div_zero 0
	.end_amdhsa_kernel
	.section	.text._ZN7rocprim17ROCPRIM_400000_NS6detail17trampoline_kernelINS0_14default_configENS1_20scan_config_selectorIyEEZZNS1_9scan_implILNS1_25lookback_scan_determinismE0ELb0ELb0ES3_N6thrust23THRUST_200600_302600_NS6detail15normal_iteratorINS9_10device_ptrIyEEEESE_yNS9_4plusIvEEyEEDaPvRmT3_T4_T5_mT6_P12ihipStream_tbENKUlT_T0_E_clISt17integral_constantIbLb0EEST_IbLb1EEEEDaSP_SQ_EUlSP_E0_NS1_11comp_targetILNS1_3genE0ELNS1_11target_archE4294967295ELNS1_3gpuE0ELNS1_3repE0EEENS1_30default_config_static_selectorELNS0_4arch9wavefront6targetE1EEEvT1_,"axG",@progbits,_ZN7rocprim17ROCPRIM_400000_NS6detail17trampoline_kernelINS0_14default_configENS1_20scan_config_selectorIyEEZZNS1_9scan_implILNS1_25lookback_scan_determinismE0ELb0ELb0ES3_N6thrust23THRUST_200600_302600_NS6detail15normal_iteratorINS9_10device_ptrIyEEEESE_yNS9_4plusIvEEyEEDaPvRmT3_T4_T5_mT6_P12ihipStream_tbENKUlT_T0_E_clISt17integral_constantIbLb0EEST_IbLb1EEEEDaSP_SQ_EUlSP_E0_NS1_11comp_targetILNS1_3genE0ELNS1_11target_archE4294967295ELNS1_3gpuE0ELNS1_3repE0EEENS1_30default_config_static_selectorELNS0_4arch9wavefront6targetE1EEEvT1_,comdat
.Lfunc_end4493:
	.size	_ZN7rocprim17ROCPRIM_400000_NS6detail17trampoline_kernelINS0_14default_configENS1_20scan_config_selectorIyEEZZNS1_9scan_implILNS1_25lookback_scan_determinismE0ELb0ELb0ES3_N6thrust23THRUST_200600_302600_NS6detail15normal_iteratorINS9_10device_ptrIyEEEESE_yNS9_4plusIvEEyEEDaPvRmT3_T4_T5_mT6_P12ihipStream_tbENKUlT_T0_E_clISt17integral_constantIbLb0EEST_IbLb1EEEEDaSP_SQ_EUlSP_E0_NS1_11comp_targetILNS1_3genE0ELNS1_11target_archE4294967295ELNS1_3gpuE0ELNS1_3repE0EEENS1_30default_config_static_selectorELNS0_4arch9wavefront6targetE1EEEvT1_, .Lfunc_end4493-_ZN7rocprim17ROCPRIM_400000_NS6detail17trampoline_kernelINS0_14default_configENS1_20scan_config_selectorIyEEZZNS1_9scan_implILNS1_25lookback_scan_determinismE0ELb0ELb0ES3_N6thrust23THRUST_200600_302600_NS6detail15normal_iteratorINS9_10device_ptrIyEEEESE_yNS9_4plusIvEEyEEDaPvRmT3_T4_T5_mT6_P12ihipStream_tbENKUlT_T0_E_clISt17integral_constantIbLb0EEST_IbLb1EEEEDaSP_SQ_EUlSP_E0_NS1_11comp_targetILNS1_3genE0ELNS1_11target_archE4294967295ELNS1_3gpuE0ELNS1_3repE0EEENS1_30default_config_static_selectorELNS0_4arch9wavefront6targetE1EEEvT1_
                                        ; -- End function
	.section	.AMDGPU.csdata,"",@progbits
; Kernel info:
; codeLenInByte = 0
; NumSgprs: 4
; NumVgprs: 0
; NumAgprs: 0
; TotalNumVgprs: 0
; ScratchSize: 0
; MemoryBound: 0
; FloatMode: 240
; IeeeMode: 1
; LDSByteSize: 0 bytes/workgroup (compile time only)
; SGPRBlocks: 0
; VGPRBlocks: 0
; NumSGPRsForWavesPerEU: 4
; NumVGPRsForWavesPerEU: 1
; AccumOffset: 4
; Occupancy: 8
; WaveLimiterHint : 0
; COMPUTE_PGM_RSRC2:SCRATCH_EN: 0
; COMPUTE_PGM_RSRC2:USER_SGPR: 6
; COMPUTE_PGM_RSRC2:TRAP_HANDLER: 0
; COMPUTE_PGM_RSRC2:TGID_X_EN: 1
; COMPUTE_PGM_RSRC2:TGID_Y_EN: 0
; COMPUTE_PGM_RSRC2:TGID_Z_EN: 0
; COMPUTE_PGM_RSRC2:TIDIG_COMP_CNT: 0
; COMPUTE_PGM_RSRC3_GFX90A:ACCUM_OFFSET: 0
; COMPUTE_PGM_RSRC3_GFX90A:TG_SPLIT: 0
	.section	.text._ZN7rocprim17ROCPRIM_400000_NS6detail17trampoline_kernelINS0_14default_configENS1_20scan_config_selectorIyEEZZNS1_9scan_implILNS1_25lookback_scan_determinismE0ELb0ELb0ES3_N6thrust23THRUST_200600_302600_NS6detail15normal_iteratorINS9_10device_ptrIyEEEESE_yNS9_4plusIvEEyEEDaPvRmT3_T4_T5_mT6_P12ihipStream_tbENKUlT_T0_E_clISt17integral_constantIbLb0EEST_IbLb1EEEEDaSP_SQ_EUlSP_E0_NS1_11comp_targetILNS1_3genE5ELNS1_11target_archE942ELNS1_3gpuE9ELNS1_3repE0EEENS1_30default_config_static_selectorELNS0_4arch9wavefront6targetE1EEEvT1_,"axG",@progbits,_ZN7rocprim17ROCPRIM_400000_NS6detail17trampoline_kernelINS0_14default_configENS1_20scan_config_selectorIyEEZZNS1_9scan_implILNS1_25lookback_scan_determinismE0ELb0ELb0ES3_N6thrust23THRUST_200600_302600_NS6detail15normal_iteratorINS9_10device_ptrIyEEEESE_yNS9_4plusIvEEyEEDaPvRmT3_T4_T5_mT6_P12ihipStream_tbENKUlT_T0_E_clISt17integral_constantIbLb0EEST_IbLb1EEEEDaSP_SQ_EUlSP_E0_NS1_11comp_targetILNS1_3genE5ELNS1_11target_archE942ELNS1_3gpuE9ELNS1_3repE0EEENS1_30default_config_static_selectorELNS0_4arch9wavefront6targetE1EEEvT1_,comdat
	.protected	_ZN7rocprim17ROCPRIM_400000_NS6detail17trampoline_kernelINS0_14default_configENS1_20scan_config_selectorIyEEZZNS1_9scan_implILNS1_25lookback_scan_determinismE0ELb0ELb0ES3_N6thrust23THRUST_200600_302600_NS6detail15normal_iteratorINS9_10device_ptrIyEEEESE_yNS9_4plusIvEEyEEDaPvRmT3_T4_T5_mT6_P12ihipStream_tbENKUlT_T0_E_clISt17integral_constantIbLb0EEST_IbLb1EEEEDaSP_SQ_EUlSP_E0_NS1_11comp_targetILNS1_3genE5ELNS1_11target_archE942ELNS1_3gpuE9ELNS1_3repE0EEENS1_30default_config_static_selectorELNS0_4arch9wavefront6targetE1EEEvT1_ ; -- Begin function _ZN7rocprim17ROCPRIM_400000_NS6detail17trampoline_kernelINS0_14default_configENS1_20scan_config_selectorIyEEZZNS1_9scan_implILNS1_25lookback_scan_determinismE0ELb0ELb0ES3_N6thrust23THRUST_200600_302600_NS6detail15normal_iteratorINS9_10device_ptrIyEEEESE_yNS9_4plusIvEEyEEDaPvRmT3_T4_T5_mT6_P12ihipStream_tbENKUlT_T0_E_clISt17integral_constantIbLb0EEST_IbLb1EEEEDaSP_SQ_EUlSP_E0_NS1_11comp_targetILNS1_3genE5ELNS1_11target_archE942ELNS1_3gpuE9ELNS1_3repE0EEENS1_30default_config_static_selectorELNS0_4arch9wavefront6targetE1EEEvT1_
	.globl	_ZN7rocprim17ROCPRIM_400000_NS6detail17trampoline_kernelINS0_14default_configENS1_20scan_config_selectorIyEEZZNS1_9scan_implILNS1_25lookback_scan_determinismE0ELb0ELb0ES3_N6thrust23THRUST_200600_302600_NS6detail15normal_iteratorINS9_10device_ptrIyEEEESE_yNS9_4plusIvEEyEEDaPvRmT3_T4_T5_mT6_P12ihipStream_tbENKUlT_T0_E_clISt17integral_constantIbLb0EEST_IbLb1EEEEDaSP_SQ_EUlSP_E0_NS1_11comp_targetILNS1_3genE5ELNS1_11target_archE942ELNS1_3gpuE9ELNS1_3repE0EEENS1_30default_config_static_selectorELNS0_4arch9wavefront6targetE1EEEvT1_
	.p2align	8
	.type	_ZN7rocprim17ROCPRIM_400000_NS6detail17trampoline_kernelINS0_14default_configENS1_20scan_config_selectorIyEEZZNS1_9scan_implILNS1_25lookback_scan_determinismE0ELb0ELb0ES3_N6thrust23THRUST_200600_302600_NS6detail15normal_iteratorINS9_10device_ptrIyEEEESE_yNS9_4plusIvEEyEEDaPvRmT3_T4_T5_mT6_P12ihipStream_tbENKUlT_T0_E_clISt17integral_constantIbLb0EEST_IbLb1EEEEDaSP_SQ_EUlSP_E0_NS1_11comp_targetILNS1_3genE5ELNS1_11target_archE942ELNS1_3gpuE9ELNS1_3repE0EEENS1_30default_config_static_selectorELNS0_4arch9wavefront6targetE1EEEvT1_,@function
_ZN7rocprim17ROCPRIM_400000_NS6detail17trampoline_kernelINS0_14default_configENS1_20scan_config_selectorIyEEZZNS1_9scan_implILNS1_25lookback_scan_determinismE0ELb0ELb0ES3_N6thrust23THRUST_200600_302600_NS6detail15normal_iteratorINS9_10device_ptrIyEEEESE_yNS9_4plusIvEEyEEDaPvRmT3_T4_T5_mT6_P12ihipStream_tbENKUlT_T0_E_clISt17integral_constantIbLb0EEST_IbLb1EEEEDaSP_SQ_EUlSP_E0_NS1_11comp_targetILNS1_3genE5ELNS1_11target_archE942ELNS1_3gpuE9ELNS1_3repE0EEENS1_30default_config_static_selectorELNS0_4arch9wavefront6targetE1EEEvT1_: ; @_ZN7rocprim17ROCPRIM_400000_NS6detail17trampoline_kernelINS0_14default_configENS1_20scan_config_selectorIyEEZZNS1_9scan_implILNS1_25lookback_scan_determinismE0ELb0ELb0ES3_N6thrust23THRUST_200600_302600_NS6detail15normal_iteratorINS9_10device_ptrIyEEEESE_yNS9_4plusIvEEyEEDaPvRmT3_T4_T5_mT6_P12ihipStream_tbENKUlT_T0_E_clISt17integral_constantIbLb0EEST_IbLb1EEEEDaSP_SQ_EUlSP_E0_NS1_11comp_targetILNS1_3genE5ELNS1_11target_archE942ELNS1_3gpuE9ELNS1_3repE0EEENS1_30default_config_static_selectorELNS0_4arch9wavefront6targetE1EEEvT1_
; %bb.0:
	.section	.rodata,"a",@progbits
	.p2align	6, 0x0
	.amdhsa_kernel _ZN7rocprim17ROCPRIM_400000_NS6detail17trampoline_kernelINS0_14default_configENS1_20scan_config_selectorIyEEZZNS1_9scan_implILNS1_25lookback_scan_determinismE0ELb0ELb0ES3_N6thrust23THRUST_200600_302600_NS6detail15normal_iteratorINS9_10device_ptrIyEEEESE_yNS9_4plusIvEEyEEDaPvRmT3_T4_T5_mT6_P12ihipStream_tbENKUlT_T0_E_clISt17integral_constantIbLb0EEST_IbLb1EEEEDaSP_SQ_EUlSP_E0_NS1_11comp_targetILNS1_3genE5ELNS1_11target_archE942ELNS1_3gpuE9ELNS1_3repE0EEENS1_30default_config_static_selectorELNS0_4arch9wavefront6targetE1EEEvT1_
		.amdhsa_group_segment_fixed_size 0
		.amdhsa_private_segment_fixed_size 0
		.amdhsa_kernarg_size 40
		.amdhsa_user_sgpr_count 6
		.amdhsa_user_sgpr_private_segment_buffer 1
		.amdhsa_user_sgpr_dispatch_ptr 0
		.amdhsa_user_sgpr_queue_ptr 0
		.amdhsa_user_sgpr_kernarg_segment_ptr 1
		.amdhsa_user_sgpr_dispatch_id 0
		.amdhsa_user_sgpr_flat_scratch_init 0
		.amdhsa_user_sgpr_kernarg_preload_length 0
		.amdhsa_user_sgpr_kernarg_preload_offset 0
		.amdhsa_user_sgpr_private_segment_size 0
		.amdhsa_uses_dynamic_stack 0
		.amdhsa_system_sgpr_private_segment_wavefront_offset 0
		.amdhsa_system_sgpr_workgroup_id_x 1
		.amdhsa_system_sgpr_workgroup_id_y 0
		.amdhsa_system_sgpr_workgroup_id_z 0
		.amdhsa_system_sgpr_workgroup_info 0
		.amdhsa_system_vgpr_workitem_id 0
		.amdhsa_next_free_vgpr 1
		.amdhsa_next_free_sgpr 0
		.amdhsa_accum_offset 4
		.amdhsa_reserve_vcc 0
		.amdhsa_reserve_flat_scratch 0
		.amdhsa_float_round_mode_32 0
		.amdhsa_float_round_mode_16_64 0
		.amdhsa_float_denorm_mode_32 3
		.amdhsa_float_denorm_mode_16_64 3
		.amdhsa_dx10_clamp 1
		.amdhsa_ieee_mode 1
		.amdhsa_fp16_overflow 0
		.amdhsa_tg_split 0
		.amdhsa_exception_fp_ieee_invalid_op 0
		.amdhsa_exception_fp_denorm_src 0
		.amdhsa_exception_fp_ieee_div_zero 0
		.amdhsa_exception_fp_ieee_overflow 0
		.amdhsa_exception_fp_ieee_underflow 0
		.amdhsa_exception_fp_ieee_inexact 0
		.amdhsa_exception_int_div_zero 0
	.end_amdhsa_kernel
	.section	.text._ZN7rocprim17ROCPRIM_400000_NS6detail17trampoline_kernelINS0_14default_configENS1_20scan_config_selectorIyEEZZNS1_9scan_implILNS1_25lookback_scan_determinismE0ELb0ELb0ES3_N6thrust23THRUST_200600_302600_NS6detail15normal_iteratorINS9_10device_ptrIyEEEESE_yNS9_4plusIvEEyEEDaPvRmT3_T4_T5_mT6_P12ihipStream_tbENKUlT_T0_E_clISt17integral_constantIbLb0EEST_IbLb1EEEEDaSP_SQ_EUlSP_E0_NS1_11comp_targetILNS1_3genE5ELNS1_11target_archE942ELNS1_3gpuE9ELNS1_3repE0EEENS1_30default_config_static_selectorELNS0_4arch9wavefront6targetE1EEEvT1_,"axG",@progbits,_ZN7rocprim17ROCPRIM_400000_NS6detail17trampoline_kernelINS0_14default_configENS1_20scan_config_selectorIyEEZZNS1_9scan_implILNS1_25lookback_scan_determinismE0ELb0ELb0ES3_N6thrust23THRUST_200600_302600_NS6detail15normal_iteratorINS9_10device_ptrIyEEEESE_yNS9_4plusIvEEyEEDaPvRmT3_T4_T5_mT6_P12ihipStream_tbENKUlT_T0_E_clISt17integral_constantIbLb0EEST_IbLb1EEEEDaSP_SQ_EUlSP_E0_NS1_11comp_targetILNS1_3genE5ELNS1_11target_archE942ELNS1_3gpuE9ELNS1_3repE0EEENS1_30default_config_static_selectorELNS0_4arch9wavefront6targetE1EEEvT1_,comdat
.Lfunc_end4494:
	.size	_ZN7rocprim17ROCPRIM_400000_NS6detail17trampoline_kernelINS0_14default_configENS1_20scan_config_selectorIyEEZZNS1_9scan_implILNS1_25lookback_scan_determinismE0ELb0ELb0ES3_N6thrust23THRUST_200600_302600_NS6detail15normal_iteratorINS9_10device_ptrIyEEEESE_yNS9_4plusIvEEyEEDaPvRmT3_T4_T5_mT6_P12ihipStream_tbENKUlT_T0_E_clISt17integral_constantIbLb0EEST_IbLb1EEEEDaSP_SQ_EUlSP_E0_NS1_11comp_targetILNS1_3genE5ELNS1_11target_archE942ELNS1_3gpuE9ELNS1_3repE0EEENS1_30default_config_static_selectorELNS0_4arch9wavefront6targetE1EEEvT1_, .Lfunc_end4494-_ZN7rocprim17ROCPRIM_400000_NS6detail17trampoline_kernelINS0_14default_configENS1_20scan_config_selectorIyEEZZNS1_9scan_implILNS1_25lookback_scan_determinismE0ELb0ELb0ES3_N6thrust23THRUST_200600_302600_NS6detail15normal_iteratorINS9_10device_ptrIyEEEESE_yNS9_4plusIvEEyEEDaPvRmT3_T4_T5_mT6_P12ihipStream_tbENKUlT_T0_E_clISt17integral_constantIbLb0EEST_IbLb1EEEEDaSP_SQ_EUlSP_E0_NS1_11comp_targetILNS1_3genE5ELNS1_11target_archE942ELNS1_3gpuE9ELNS1_3repE0EEENS1_30default_config_static_selectorELNS0_4arch9wavefront6targetE1EEEvT1_
                                        ; -- End function
	.section	.AMDGPU.csdata,"",@progbits
; Kernel info:
; codeLenInByte = 0
; NumSgprs: 4
; NumVgprs: 0
; NumAgprs: 0
; TotalNumVgprs: 0
; ScratchSize: 0
; MemoryBound: 0
; FloatMode: 240
; IeeeMode: 1
; LDSByteSize: 0 bytes/workgroup (compile time only)
; SGPRBlocks: 0
; VGPRBlocks: 0
; NumSGPRsForWavesPerEU: 4
; NumVGPRsForWavesPerEU: 1
; AccumOffset: 4
; Occupancy: 8
; WaveLimiterHint : 0
; COMPUTE_PGM_RSRC2:SCRATCH_EN: 0
; COMPUTE_PGM_RSRC2:USER_SGPR: 6
; COMPUTE_PGM_RSRC2:TRAP_HANDLER: 0
; COMPUTE_PGM_RSRC2:TGID_X_EN: 1
; COMPUTE_PGM_RSRC2:TGID_Y_EN: 0
; COMPUTE_PGM_RSRC2:TGID_Z_EN: 0
; COMPUTE_PGM_RSRC2:TIDIG_COMP_CNT: 0
; COMPUTE_PGM_RSRC3_GFX90A:ACCUM_OFFSET: 0
; COMPUTE_PGM_RSRC3_GFX90A:TG_SPLIT: 0
	.section	.text._ZN7rocprim17ROCPRIM_400000_NS6detail17trampoline_kernelINS0_14default_configENS1_20scan_config_selectorIyEEZZNS1_9scan_implILNS1_25lookback_scan_determinismE0ELb0ELb0ES3_N6thrust23THRUST_200600_302600_NS6detail15normal_iteratorINS9_10device_ptrIyEEEESE_yNS9_4plusIvEEyEEDaPvRmT3_T4_T5_mT6_P12ihipStream_tbENKUlT_T0_E_clISt17integral_constantIbLb0EEST_IbLb1EEEEDaSP_SQ_EUlSP_E0_NS1_11comp_targetILNS1_3genE4ELNS1_11target_archE910ELNS1_3gpuE8ELNS1_3repE0EEENS1_30default_config_static_selectorELNS0_4arch9wavefront6targetE1EEEvT1_,"axG",@progbits,_ZN7rocprim17ROCPRIM_400000_NS6detail17trampoline_kernelINS0_14default_configENS1_20scan_config_selectorIyEEZZNS1_9scan_implILNS1_25lookback_scan_determinismE0ELb0ELb0ES3_N6thrust23THRUST_200600_302600_NS6detail15normal_iteratorINS9_10device_ptrIyEEEESE_yNS9_4plusIvEEyEEDaPvRmT3_T4_T5_mT6_P12ihipStream_tbENKUlT_T0_E_clISt17integral_constantIbLb0EEST_IbLb1EEEEDaSP_SQ_EUlSP_E0_NS1_11comp_targetILNS1_3genE4ELNS1_11target_archE910ELNS1_3gpuE8ELNS1_3repE0EEENS1_30default_config_static_selectorELNS0_4arch9wavefront6targetE1EEEvT1_,comdat
	.protected	_ZN7rocprim17ROCPRIM_400000_NS6detail17trampoline_kernelINS0_14default_configENS1_20scan_config_selectorIyEEZZNS1_9scan_implILNS1_25lookback_scan_determinismE0ELb0ELb0ES3_N6thrust23THRUST_200600_302600_NS6detail15normal_iteratorINS9_10device_ptrIyEEEESE_yNS9_4plusIvEEyEEDaPvRmT3_T4_T5_mT6_P12ihipStream_tbENKUlT_T0_E_clISt17integral_constantIbLb0EEST_IbLb1EEEEDaSP_SQ_EUlSP_E0_NS1_11comp_targetILNS1_3genE4ELNS1_11target_archE910ELNS1_3gpuE8ELNS1_3repE0EEENS1_30default_config_static_selectorELNS0_4arch9wavefront6targetE1EEEvT1_ ; -- Begin function _ZN7rocprim17ROCPRIM_400000_NS6detail17trampoline_kernelINS0_14default_configENS1_20scan_config_selectorIyEEZZNS1_9scan_implILNS1_25lookback_scan_determinismE0ELb0ELb0ES3_N6thrust23THRUST_200600_302600_NS6detail15normal_iteratorINS9_10device_ptrIyEEEESE_yNS9_4plusIvEEyEEDaPvRmT3_T4_T5_mT6_P12ihipStream_tbENKUlT_T0_E_clISt17integral_constantIbLb0EEST_IbLb1EEEEDaSP_SQ_EUlSP_E0_NS1_11comp_targetILNS1_3genE4ELNS1_11target_archE910ELNS1_3gpuE8ELNS1_3repE0EEENS1_30default_config_static_selectorELNS0_4arch9wavefront6targetE1EEEvT1_
	.globl	_ZN7rocprim17ROCPRIM_400000_NS6detail17trampoline_kernelINS0_14default_configENS1_20scan_config_selectorIyEEZZNS1_9scan_implILNS1_25lookback_scan_determinismE0ELb0ELb0ES3_N6thrust23THRUST_200600_302600_NS6detail15normal_iteratorINS9_10device_ptrIyEEEESE_yNS9_4plusIvEEyEEDaPvRmT3_T4_T5_mT6_P12ihipStream_tbENKUlT_T0_E_clISt17integral_constantIbLb0EEST_IbLb1EEEEDaSP_SQ_EUlSP_E0_NS1_11comp_targetILNS1_3genE4ELNS1_11target_archE910ELNS1_3gpuE8ELNS1_3repE0EEENS1_30default_config_static_selectorELNS0_4arch9wavefront6targetE1EEEvT1_
	.p2align	8
	.type	_ZN7rocprim17ROCPRIM_400000_NS6detail17trampoline_kernelINS0_14default_configENS1_20scan_config_selectorIyEEZZNS1_9scan_implILNS1_25lookback_scan_determinismE0ELb0ELb0ES3_N6thrust23THRUST_200600_302600_NS6detail15normal_iteratorINS9_10device_ptrIyEEEESE_yNS9_4plusIvEEyEEDaPvRmT3_T4_T5_mT6_P12ihipStream_tbENKUlT_T0_E_clISt17integral_constantIbLb0EEST_IbLb1EEEEDaSP_SQ_EUlSP_E0_NS1_11comp_targetILNS1_3genE4ELNS1_11target_archE910ELNS1_3gpuE8ELNS1_3repE0EEENS1_30default_config_static_selectorELNS0_4arch9wavefront6targetE1EEEvT1_,@function
_ZN7rocprim17ROCPRIM_400000_NS6detail17trampoline_kernelINS0_14default_configENS1_20scan_config_selectorIyEEZZNS1_9scan_implILNS1_25lookback_scan_determinismE0ELb0ELb0ES3_N6thrust23THRUST_200600_302600_NS6detail15normal_iteratorINS9_10device_ptrIyEEEESE_yNS9_4plusIvEEyEEDaPvRmT3_T4_T5_mT6_P12ihipStream_tbENKUlT_T0_E_clISt17integral_constantIbLb0EEST_IbLb1EEEEDaSP_SQ_EUlSP_E0_NS1_11comp_targetILNS1_3genE4ELNS1_11target_archE910ELNS1_3gpuE8ELNS1_3repE0EEENS1_30default_config_static_selectorELNS0_4arch9wavefront6targetE1EEEvT1_: ; @_ZN7rocprim17ROCPRIM_400000_NS6detail17trampoline_kernelINS0_14default_configENS1_20scan_config_selectorIyEEZZNS1_9scan_implILNS1_25lookback_scan_determinismE0ELb0ELb0ES3_N6thrust23THRUST_200600_302600_NS6detail15normal_iteratorINS9_10device_ptrIyEEEESE_yNS9_4plusIvEEyEEDaPvRmT3_T4_T5_mT6_P12ihipStream_tbENKUlT_T0_E_clISt17integral_constantIbLb0EEST_IbLb1EEEEDaSP_SQ_EUlSP_E0_NS1_11comp_targetILNS1_3genE4ELNS1_11target_archE910ELNS1_3gpuE8ELNS1_3repE0EEENS1_30default_config_static_selectorELNS0_4arch9wavefront6targetE1EEEvT1_
; %bb.0:
	s_load_dwordx4 s[16:19], s[4:5], 0x0
	v_lshlrev_b32_e32 v21, 3, v0
	s_waitcnt lgkmcnt(0)
	s_load_dwordx2 s[14:15], s[16:17], 0x0
	v_cmp_gt_u32_e32 vcc, s18, v0
	s_waitcnt lgkmcnt(0)
	v_pk_mov_b32 v[2:3], s[14:15], s[14:15] op_sel:[0,1]
	s_and_saveexec_b64 s[0:1], vcc
	s_cbranch_execz .LBB4495_2
; %bb.1:
	global_load_dwordx2 v[2:3], v21, s[16:17]
.LBB4495_2:
	s_or_b64 exec, exec, s[0:1]
	v_or_b32_e32 v1, 0x80, v0
	v_cmp_gt_u32_e64 s[0:1], s18, v1
	v_pk_mov_b32 v[4:5], s[14:15], s[14:15] op_sel:[0,1]
	s_and_saveexec_b64 s[2:3], s[0:1]
	s_cbranch_execz .LBB4495_4
; %bb.3:
	global_load_dwordx2 v[4:5], v21, s[16:17] offset:1024
.LBB4495_4:
	s_or_b64 exec, exec, s[2:3]
	v_or_b32_e32 v1, 0x100, v0
	v_cmp_gt_u32_e64 s[2:3], s18, v1
	v_pk_mov_b32 v[6:7], s[14:15], s[14:15] op_sel:[0,1]
	s_and_saveexec_b64 s[6:7], s[2:3]
	s_cbranch_execz .LBB4495_6
; %bb.5:
	global_load_dwordx2 v[6:7], v21, s[16:17] offset:2048
.LBB4495_6:
	;; [unrolled: 9-line block ×3, first 2 shown]
	s_or_b64 exec, exec, s[6:7]
	v_or_b32_e32 v1, 0x200, v0
	v_cmp_gt_u32_e64 s[6:7], s18, v1
	v_pk_mov_b32 v[10:11], s[14:15], s[14:15] op_sel:[0,1]
	s_and_saveexec_b64 s[8:9], s[6:7]
	s_cbranch_execz .LBB4495_10
; %bb.9:
	v_lshlrev_b32_e32 v1, 3, v1
	global_load_dwordx2 v[10:11], v1, s[16:17]
.LBB4495_10:
	s_or_b64 exec, exec, s[8:9]
	v_or_b32_e32 v1, 0x280, v0
	v_cmp_gt_u32_e64 s[8:9], s18, v1
	v_pk_mov_b32 v[12:13], s[14:15], s[14:15] op_sel:[0,1]
	s_and_saveexec_b64 s[10:11], s[8:9]
	s_cbranch_execz .LBB4495_12
; %bb.11:
	v_lshlrev_b32_e32 v1, 3, v1
	global_load_dwordx2 v[12:13], v1, s[16:17]
.LBB4495_12:
	;; [unrolled: 10-line block ×3, first 2 shown]
	s_or_b64 exec, exec, s[14:15]
	v_mad_u32_u24 v1, v0, 48, v21
	s_waitcnt vmcnt(0)
	ds_write2st64_b64 v21, v[2:3], v[4:5] offset1:2
	ds_write2st64_b64 v21, v[6:7], v[8:9] offset0:4 offset1:6
	ds_write2st64_b64 v21, v[10:11], v[12:13] offset0:8 offset1:10
	ds_write_b64 v21, v[14:15] offset:6144
	s_waitcnt lgkmcnt(0)
	s_barrier
	ds_read2_b64 v[2:5], v1 offset1:1
	ds_read2_b64 v[6:9], v1 offset0:2 offset1:3
	ds_read2_b64 v[10:13], v1 offset0:4 offset1:5
	ds_read_b64 v[28:29], v1 offset:48
	s_load_dwordx2 s[16:17], s[4:5], 0x20
	s_waitcnt lgkmcnt(0)
	v_add_co_u32_e64 v20, s[4:5], v4, v2
	v_addc_co_u32_e64 v1, s[4:5], v5, v3, s[4:5]
	v_add_co_u32_e64 v18, s[4:5], v20, v6
	v_addc_co_u32_e64 v19, s[4:5], v1, v7, s[4:5]
	;; [unrolled: 2-line block ×5, first 2 shown]
	v_add_co_u32_e64 v30, s[4:5], v26, v28
	v_lshrrev_b32_e32 v14, 2, v0
	v_addc_co_u32_e64 v31, s[4:5], v27, v29, s[4:5]
	v_and_b32_e32 v14, 24, v14
	v_add_u32_e32 v14, v21, v14
	v_cmp_gt_u32_e64 s[4:5], 64, v0
	s_barrier
	ds_write_b64 v14, v[30:31]
	s_waitcnt lgkmcnt(0)
	s_barrier
	s_and_saveexec_b64 s[18:19], s[4:5]
	s_cbranch_execz .LBB4495_18
; %bb.15:
	v_lshlrev_b32_e32 v14, 1, v0
	v_lshrrev_b32_e32 v15, 4, v0
	v_add_lshl_u32 v32, v15, v14, 3
	ds_read2_b64 v[14:17], v32 offset1:1
	s_waitcnt lgkmcnt(0)
	v_add_co_u32_e64 v34, s[4:5], v16, v14
	v_addc_co_u32_e64 v35, s[4:5], v17, v15, s[4:5]
	s_nop 0
	v_mov_b32_dpp v17, v34 row_shr:1 row_mask:0xf bank_mask:0xf
	v_add_co_u32_e64 v17, s[4:5], v34, v17
	v_mbcnt_lo_u32_b32 v16, -1, 0
	v_addc_co_u32_e64 v37, s[4:5], 0, v35, s[4:5]
	v_mbcnt_hi_u32_b32 v33, -1, v16
	v_mov_b32_dpp v36, v35 row_shr:1 row_mask:0xf bank_mask:0xf
	v_add_co_u32_e64 v38, s[4:5], 0, v17
	v_and_b32_e32 v16, 15, v33
	v_addc_co_u32_e64 v36, s[4:5], v36, v37, s[4:5]
	v_cmp_eq_u32_e64 s[4:5], 0, v16
	v_cndmask_b32_e64 v17, v17, v34, s[4:5]
	v_cndmask_b32_e64 v36, v36, v35, s[4:5]
	v_cndmask_b32_e64 v37, v38, v34, s[4:5]
	v_mov_b32_dpp v38, v17 row_shr:2 row_mask:0xf bank_mask:0xf
	v_mov_b32_dpp v39, v36 row_shr:2 row_mask:0xf bank_mask:0xf
	v_add_co_u32_e64 v38, s[4:5], v38, v37
	v_addc_co_u32_e64 v39, s[4:5], v39, v36, s[4:5]
	v_cmp_lt_u32_e64 s[4:5], 1, v16
	v_cndmask_b32_e64 v17, v17, v38, s[4:5]
	v_cndmask_b32_e64 v36, v36, v39, s[4:5]
	v_cndmask_b32_e64 v37, v37, v38, s[4:5]
	v_mov_b32_dpp v38, v17 row_shr:4 row_mask:0xf bank_mask:0xf
	v_mov_b32_dpp v39, v36 row_shr:4 row_mask:0xf bank_mask:0xf
	v_add_co_u32_e64 v38, s[4:5], v38, v37
	v_addc_co_u32_e64 v39, s[4:5], v39, v36, s[4:5]
	v_cmp_lt_u32_e64 s[4:5], 3, v16
	;; [unrolled: 8-line block ×3, first 2 shown]
	v_cndmask_b32_e64 v40, v17, v38, s[4:5]
	v_cndmask_b32_e64 v17, v36, v39, s[4:5]
	;; [unrolled: 1-line block ×3, first 2 shown]
	v_mov_b32_dpp v36, v40 row_bcast:15 row_mask:0xf bank_mask:0xf
	v_mov_b32_dpp v37, v17 row_bcast:15 row_mask:0xf bank_mask:0xf
	v_add_co_u32_e64 v36, s[4:5], v36, v16
	v_and_b32_e32 v39, 16, v33
	v_addc_co_u32_e64 v38, s[4:5], v37, v17, s[4:5]
	v_cmp_eq_u32_e64 s[4:5], 0, v39
	v_cndmask_b32_e64 v39, v38, v17, s[4:5]
	v_cndmask_b32_e64 v37, v36, v40, s[4:5]
	v_cmp_ne_u32_e64 s[14:15], 0, v33
	v_mov_b32_dpp v39, v39 row_bcast:31 row_mask:0xf bank_mask:0xf
	v_mov_b32_dpp v37, v37 row_bcast:31 row_mask:0xf bank_mask:0xf
	s_and_saveexec_b64 s[20:21], s[14:15]
; %bb.16:
	v_cndmask_b32_e64 v17, v38, v17, s[4:5]
	v_cndmask_b32_e64 v16, v36, v16, s[4:5]
	v_cmp_lt_u32_e64 s[4:5], 31, v33
	v_cndmask_b32_e64 v34, 0, v37, s[4:5]
	v_cndmask_b32_e64 v35, 0, v39, s[4:5]
	v_add_co_u32_e64 v34, s[4:5], v34, v16
	v_addc_co_u32_e64 v35, s[4:5], v35, v17, s[4:5]
; %bb.17:
	s_or_b64 exec, exec, s[20:21]
	v_add_u32_e32 v16, -1, v33
	v_and_b32_e32 v17, 64, v33
	v_cmp_lt_i32_e64 s[4:5], v16, v17
	v_cndmask_b32_e64 v16, v16, v33, s[4:5]
	v_lshlrev_b32_e32 v16, 2, v16
	ds_bpermute_b32 v17, v16, v34
	ds_bpermute_b32 v16, v16, v35
	; wave barrier
	s_waitcnt lgkmcnt(1)
	v_add_co_u32_e64 v14, s[4:5], v14, v17
	v_addc_co_u32_e64 v15, s[4:5], 0, v15, s[4:5]
	v_add_co_u32_e64 v14, s[4:5], 0, v14
	s_waitcnt lgkmcnt(0)
	v_addc_co_u32_e64 v15, s[4:5], v15, v16, s[4:5]
	v_cmp_eq_u32_e64 s[4:5], 0, v0
	v_cndmask_b32_e64 v15, v15, v31, s[4:5]
	v_cndmask_b32_e64 v14, v14, v30, s[4:5]
	ds_write_b64 v32, v[14:15]
	; wave barrier
	ds_read_b64 v[16:17], v32 offset:8
	s_waitcnt lgkmcnt(0)
	v_add_co_u32_e64 v14, s[4:5], v16, v14
	v_addc_co_u32_e64 v15, s[4:5], v17, v15, s[4:5]
	ds_write_b64 v32, v[14:15] offset:8
.LBB4495_18:
	s_or_b64 exec, exec, s[18:19]
	v_mul_u32_u24_e32 v16, 48, v0
	v_cmp_ne_u32_e64 s[4:5], 0, v0
	v_pk_mov_b32 v[14:15], v[30:31], v[30:31] op_sel:[0,1]
	s_waitcnt lgkmcnt(0)
	s_barrier
	s_and_saveexec_b64 s[14:15], s[4:5]
	s_cbranch_execz .LBB4495_20
; %bb.19:
	v_add_u32_e32 v0, -1, v0
	v_lshrrev_b32_e32 v14, 5, v0
	v_add_lshl_u32 v0, v14, v0, 3
	ds_read_b64 v[14:15], v0
.LBB4495_20:
	s_or_b64 exec, exec, s[14:15]
	s_and_saveexec_b64 s[14:15], s[4:5]
	s_cbranch_execz .LBB4495_22
; %bb.21:
	s_waitcnt lgkmcnt(0)
	v_add_co_u32_e64 v2, s[4:5], v14, v2
	v_addc_co_u32_e64 v3, s[4:5], v15, v3, s[4:5]
	v_add_co_u32_e64 v20, s[4:5], v2, v4
	v_addc_co_u32_e64 v1, s[4:5], v3, v5, s[4:5]
	;; [unrolled: 2-line block ×7, first 2 shown]
	;;#ASMSTART
	;;#ASMEND
.LBB4495_22:
	s_or_b64 exec, exec, s[14:15]
	v_add_u32_e32 v4, v21, v16
	v_mov_b32_e32 v0, v20
	s_waitcnt lgkmcnt(0)
	s_barrier
	ds_write2_b64 v4, v[2:3], v[0:1] offset1:1
	ds_write2_b64 v4, v[18:19], v[24:25] offset0:2 offset1:3
	ds_write2_b64 v4, v[22:23], v[26:27] offset0:4 offset1:5
	ds_write_b64 v4, v[30:31] offset:48
	s_waitcnt lgkmcnt(0)
	s_barrier
	ds_read2st64_b64 v[8:11], v21 offset0:2 offset1:4
	ds_read2st64_b64 v[4:7], v21 offset0:6 offset1:8
	;; [unrolled: 1-line block ×3, first 2 shown]
	v_mov_b32_e32 v13, s17
	v_add_co_u32_e64 v12, s[4:5], s16, v21
	v_addc_co_u32_e64 v13, s[4:5], 0, v13, s[4:5]
	s_and_saveexec_b64 s[4:5], vcc
	s_cbranch_execnz .LBB4495_30
; %bb.23:
	s_or_b64 exec, exec, s[4:5]
	s_and_saveexec_b64 s[4:5], s[0:1]
	s_cbranch_execnz .LBB4495_31
.LBB4495_24:
	s_or_b64 exec, exec, s[4:5]
	s_and_saveexec_b64 s[0:1], s[2:3]
	s_cbranch_execnz .LBB4495_32
.LBB4495_25:
	s_or_b64 exec, exec, s[0:1]
	s_and_saveexec_b64 s[0:1], s[12:13]
	s_cbranch_execnz .LBB4495_33
.LBB4495_26:
	s_or_b64 exec, exec, s[0:1]
	s_and_saveexec_b64 s[0:1], s[6:7]
	s_cbranch_execnz .LBB4495_34
.LBB4495_27:
	s_or_b64 exec, exec, s[0:1]
	s_and_saveexec_b64 s[0:1], s[8:9]
	s_cbranch_execnz .LBB4495_35
.LBB4495_28:
	s_or_b64 exec, exec, s[0:1]
	s_and_saveexec_b64 s[0:1], s[10:11]
	s_cbranch_execnz .LBB4495_36
.LBB4495_29:
	s_endpgm
.LBB4495_30:
	ds_read_b64 v[14:15], v21
	s_waitcnt lgkmcnt(0)
	global_store_dwordx2 v[12:13], v[14:15], off
	s_or_b64 exec, exec, s[4:5]
	s_and_saveexec_b64 s[4:5], s[0:1]
	s_cbranch_execz .LBB4495_24
.LBB4495_31:
	s_waitcnt lgkmcnt(2)
	global_store_dwordx2 v[12:13], v[8:9], off offset:1024
	s_or_b64 exec, exec, s[4:5]
	s_and_saveexec_b64 s[0:1], s[2:3]
	s_cbranch_execz .LBB4495_25
.LBB4495_32:
	s_waitcnt lgkmcnt(2)
	global_store_dwordx2 v[12:13], v[10:11], off offset:2048
	s_or_b64 exec, exec, s[0:1]
	s_and_saveexec_b64 s[0:1], s[12:13]
	s_cbranch_execz .LBB4495_26
.LBB4495_33:
	s_waitcnt lgkmcnt(1)
	global_store_dwordx2 v[12:13], v[4:5], off offset:3072
	s_or_b64 exec, exec, s[0:1]
	s_and_saveexec_b64 s[0:1], s[6:7]
	s_cbranch_execz .LBB4495_27
.LBB4495_34:
	s_waitcnt lgkmcnt(1)
	v_add_co_u32_e32 v4, vcc, 0x1000, v12
	v_addc_co_u32_e32 v5, vcc, 0, v13, vcc
	global_store_dwordx2 v[4:5], v[6:7], off
	s_or_b64 exec, exec, s[0:1]
	s_and_saveexec_b64 s[0:1], s[8:9]
	s_cbranch_execz .LBB4495_28
.LBB4495_35:
	s_waitcnt lgkmcnt(1)
	v_add_co_u32_e32 v4, vcc, 0x1000, v12
	v_addc_co_u32_e32 v5, vcc, 0, v13, vcc
	s_waitcnt lgkmcnt(0)
	global_store_dwordx2 v[4:5], v[0:1], off offset:1024
	s_or_b64 exec, exec, s[0:1]
	s_and_saveexec_b64 s[0:1], s[10:11]
	s_cbranch_execz .LBB4495_29
.LBB4495_36:
	s_waitcnt lgkmcnt(0)
	v_add_co_u32_e32 v0, vcc, 0x1000, v12
	v_addc_co_u32_e32 v1, vcc, 0, v13, vcc
	global_store_dwordx2 v[0:1], v[2:3], off offset:2048
	s_endpgm
	.section	.rodata,"a",@progbits
	.p2align	6, 0x0
	.amdhsa_kernel _ZN7rocprim17ROCPRIM_400000_NS6detail17trampoline_kernelINS0_14default_configENS1_20scan_config_selectorIyEEZZNS1_9scan_implILNS1_25lookback_scan_determinismE0ELb0ELb0ES3_N6thrust23THRUST_200600_302600_NS6detail15normal_iteratorINS9_10device_ptrIyEEEESE_yNS9_4plusIvEEyEEDaPvRmT3_T4_T5_mT6_P12ihipStream_tbENKUlT_T0_E_clISt17integral_constantIbLb0EEST_IbLb1EEEEDaSP_SQ_EUlSP_E0_NS1_11comp_targetILNS1_3genE4ELNS1_11target_archE910ELNS1_3gpuE8ELNS1_3repE0EEENS1_30default_config_static_selectorELNS0_4arch9wavefront6targetE1EEEvT1_
		.amdhsa_group_segment_fixed_size 7168
		.amdhsa_private_segment_fixed_size 0
		.amdhsa_kernarg_size 40
		.amdhsa_user_sgpr_count 6
		.amdhsa_user_sgpr_private_segment_buffer 1
		.amdhsa_user_sgpr_dispatch_ptr 0
		.amdhsa_user_sgpr_queue_ptr 0
		.amdhsa_user_sgpr_kernarg_segment_ptr 1
		.amdhsa_user_sgpr_dispatch_id 0
		.amdhsa_user_sgpr_flat_scratch_init 0
		.amdhsa_user_sgpr_kernarg_preload_length 0
		.amdhsa_user_sgpr_kernarg_preload_offset 0
		.amdhsa_user_sgpr_private_segment_size 0
		.amdhsa_uses_dynamic_stack 0
		.amdhsa_system_sgpr_private_segment_wavefront_offset 0
		.amdhsa_system_sgpr_workgroup_id_x 1
		.amdhsa_system_sgpr_workgroup_id_y 0
		.amdhsa_system_sgpr_workgroup_id_z 0
		.amdhsa_system_sgpr_workgroup_info 0
		.amdhsa_system_vgpr_workitem_id 0
		.amdhsa_next_free_vgpr 41
		.amdhsa_next_free_sgpr 22
		.amdhsa_accum_offset 44
		.amdhsa_reserve_vcc 1
		.amdhsa_reserve_flat_scratch 0
		.amdhsa_float_round_mode_32 0
		.amdhsa_float_round_mode_16_64 0
		.amdhsa_float_denorm_mode_32 3
		.amdhsa_float_denorm_mode_16_64 3
		.amdhsa_dx10_clamp 1
		.amdhsa_ieee_mode 1
		.amdhsa_fp16_overflow 0
		.amdhsa_tg_split 0
		.amdhsa_exception_fp_ieee_invalid_op 0
		.amdhsa_exception_fp_denorm_src 0
		.amdhsa_exception_fp_ieee_div_zero 0
		.amdhsa_exception_fp_ieee_overflow 0
		.amdhsa_exception_fp_ieee_underflow 0
		.amdhsa_exception_fp_ieee_inexact 0
		.amdhsa_exception_int_div_zero 0
	.end_amdhsa_kernel
	.section	.text._ZN7rocprim17ROCPRIM_400000_NS6detail17trampoline_kernelINS0_14default_configENS1_20scan_config_selectorIyEEZZNS1_9scan_implILNS1_25lookback_scan_determinismE0ELb0ELb0ES3_N6thrust23THRUST_200600_302600_NS6detail15normal_iteratorINS9_10device_ptrIyEEEESE_yNS9_4plusIvEEyEEDaPvRmT3_T4_T5_mT6_P12ihipStream_tbENKUlT_T0_E_clISt17integral_constantIbLb0EEST_IbLb1EEEEDaSP_SQ_EUlSP_E0_NS1_11comp_targetILNS1_3genE4ELNS1_11target_archE910ELNS1_3gpuE8ELNS1_3repE0EEENS1_30default_config_static_selectorELNS0_4arch9wavefront6targetE1EEEvT1_,"axG",@progbits,_ZN7rocprim17ROCPRIM_400000_NS6detail17trampoline_kernelINS0_14default_configENS1_20scan_config_selectorIyEEZZNS1_9scan_implILNS1_25lookback_scan_determinismE0ELb0ELb0ES3_N6thrust23THRUST_200600_302600_NS6detail15normal_iteratorINS9_10device_ptrIyEEEESE_yNS9_4plusIvEEyEEDaPvRmT3_T4_T5_mT6_P12ihipStream_tbENKUlT_T0_E_clISt17integral_constantIbLb0EEST_IbLb1EEEEDaSP_SQ_EUlSP_E0_NS1_11comp_targetILNS1_3genE4ELNS1_11target_archE910ELNS1_3gpuE8ELNS1_3repE0EEENS1_30default_config_static_selectorELNS0_4arch9wavefront6targetE1EEEvT1_,comdat
.Lfunc_end4495:
	.size	_ZN7rocprim17ROCPRIM_400000_NS6detail17trampoline_kernelINS0_14default_configENS1_20scan_config_selectorIyEEZZNS1_9scan_implILNS1_25lookback_scan_determinismE0ELb0ELb0ES3_N6thrust23THRUST_200600_302600_NS6detail15normal_iteratorINS9_10device_ptrIyEEEESE_yNS9_4plusIvEEyEEDaPvRmT3_T4_T5_mT6_P12ihipStream_tbENKUlT_T0_E_clISt17integral_constantIbLb0EEST_IbLb1EEEEDaSP_SQ_EUlSP_E0_NS1_11comp_targetILNS1_3genE4ELNS1_11target_archE910ELNS1_3gpuE8ELNS1_3repE0EEENS1_30default_config_static_selectorELNS0_4arch9wavefront6targetE1EEEvT1_, .Lfunc_end4495-_ZN7rocprim17ROCPRIM_400000_NS6detail17trampoline_kernelINS0_14default_configENS1_20scan_config_selectorIyEEZZNS1_9scan_implILNS1_25lookback_scan_determinismE0ELb0ELb0ES3_N6thrust23THRUST_200600_302600_NS6detail15normal_iteratorINS9_10device_ptrIyEEEESE_yNS9_4plusIvEEyEEDaPvRmT3_T4_T5_mT6_P12ihipStream_tbENKUlT_T0_E_clISt17integral_constantIbLb0EEST_IbLb1EEEEDaSP_SQ_EUlSP_E0_NS1_11comp_targetILNS1_3genE4ELNS1_11target_archE910ELNS1_3gpuE8ELNS1_3repE0EEENS1_30default_config_static_selectorELNS0_4arch9wavefront6targetE1EEEvT1_
                                        ; -- End function
	.section	.AMDGPU.csdata,"",@progbits
; Kernel info:
; codeLenInByte = 1804
; NumSgprs: 26
; NumVgprs: 41
; NumAgprs: 0
; TotalNumVgprs: 41
; ScratchSize: 0
; MemoryBound: 0
; FloatMode: 240
; IeeeMode: 1
; LDSByteSize: 7168 bytes/workgroup (compile time only)
; SGPRBlocks: 3
; VGPRBlocks: 5
; NumSGPRsForWavesPerEU: 26
; NumVGPRsForWavesPerEU: 41
; AccumOffset: 44
; Occupancy: 5
; WaveLimiterHint : 0
; COMPUTE_PGM_RSRC2:SCRATCH_EN: 0
; COMPUTE_PGM_RSRC2:USER_SGPR: 6
; COMPUTE_PGM_RSRC2:TRAP_HANDLER: 0
; COMPUTE_PGM_RSRC2:TGID_X_EN: 1
; COMPUTE_PGM_RSRC2:TGID_Y_EN: 0
; COMPUTE_PGM_RSRC2:TGID_Z_EN: 0
; COMPUTE_PGM_RSRC2:TIDIG_COMP_CNT: 0
; COMPUTE_PGM_RSRC3_GFX90A:ACCUM_OFFSET: 10
; COMPUTE_PGM_RSRC3_GFX90A:TG_SPLIT: 0
	.section	.text._ZN7rocprim17ROCPRIM_400000_NS6detail17trampoline_kernelINS0_14default_configENS1_20scan_config_selectorIyEEZZNS1_9scan_implILNS1_25lookback_scan_determinismE0ELb0ELb0ES3_N6thrust23THRUST_200600_302600_NS6detail15normal_iteratorINS9_10device_ptrIyEEEESE_yNS9_4plusIvEEyEEDaPvRmT3_T4_T5_mT6_P12ihipStream_tbENKUlT_T0_E_clISt17integral_constantIbLb0EEST_IbLb1EEEEDaSP_SQ_EUlSP_E0_NS1_11comp_targetILNS1_3genE3ELNS1_11target_archE908ELNS1_3gpuE7ELNS1_3repE0EEENS1_30default_config_static_selectorELNS0_4arch9wavefront6targetE1EEEvT1_,"axG",@progbits,_ZN7rocprim17ROCPRIM_400000_NS6detail17trampoline_kernelINS0_14default_configENS1_20scan_config_selectorIyEEZZNS1_9scan_implILNS1_25lookback_scan_determinismE0ELb0ELb0ES3_N6thrust23THRUST_200600_302600_NS6detail15normal_iteratorINS9_10device_ptrIyEEEESE_yNS9_4plusIvEEyEEDaPvRmT3_T4_T5_mT6_P12ihipStream_tbENKUlT_T0_E_clISt17integral_constantIbLb0EEST_IbLb1EEEEDaSP_SQ_EUlSP_E0_NS1_11comp_targetILNS1_3genE3ELNS1_11target_archE908ELNS1_3gpuE7ELNS1_3repE0EEENS1_30default_config_static_selectorELNS0_4arch9wavefront6targetE1EEEvT1_,comdat
	.protected	_ZN7rocprim17ROCPRIM_400000_NS6detail17trampoline_kernelINS0_14default_configENS1_20scan_config_selectorIyEEZZNS1_9scan_implILNS1_25lookback_scan_determinismE0ELb0ELb0ES3_N6thrust23THRUST_200600_302600_NS6detail15normal_iteratorINS9_10device_ptrIyEEEESE_yNS9_4plusIvEEyEEDaPvRmT3_T4_T5_mT6_P12ihipStream_tbENKUlT_T0_E_clISt17integral_constantIbLb0EEST_IbLb1EEEEDaSP_SQ_EUlSP_E0_NS1_11comp_targetILNS1_3genE3ELNS1_11target_archE908ELNS1_3gpuE7ELNS1_3repE0EEENS1_30default_config_static_selectorELNS0_4arch9wavefront6targetE1EEEvT1_ ; -- Begin function _ZN7rocprim17ROCPRIM_400000_NS6detail17trampoline_kernelINS0_14default_configENS1_20scan_config_selectorIyEEZZNS1_9scan_implILNS1_25lookback_scan_determinismE0ELb0ELb0ES3_N6thrust23THRUST_200600_302600_NS6detail15normal_iteratorINS9_10device_ptrIyEEEESE_yNS9_4plusIvEEyEEDaPvRmT3_T4_T5_mT6_P12ihipStream_tbENKUlT_T0_E_clISt17integral_constantIbLb0EEST_IbLb1EEEEDaSP_SQ_EUlSP_E0_NS1_11comp_targetILNS1_3genE3ELNS1_11target_archE908ELNS1_3gpuE7ELNS1_3repE0EEENS1_30default_config_static_selectorELNS0_4arch9wavefront6targetE1EEEvT1_
	.globl	_ZN7rocprim17ROCPRIM_400000_NS6detail17trampoline_kernelINS0_14default_configENS1_20scan_config_selectorIyEEZZNS1_9scan_implILNS1_25lookback_scan_determinismE0ELb0ELb0ES3_N6thrust23THRUST_200600_302600_NS6detail15normal_iteratorINS9_10device_ptrIyEEEESE_yNS9_4plusIvEEyEEDaPvRmT3_T4_T5_mT6_P12ihipStream_tbENKUlT_T0_E_clISt17integral_constantIbLb0EEST_IbLb1EEEEDaSP_SQ_EUlSP_E0_NS1_11comp_targetILNS1_3genE3ELNS1_11target_archE908ELNS1_3gpuE7ELNS1_3repE0EEENS1_30default_config_static_selectorELNS0_4arch9wavefront6targetE1EEEvT1_
	.p2align	8
	.type	_ZN7rocprim17ROCPRIM_400000_NS6detail17trampoline_kernelINS0_14default_configENS1_20scan_config_selectorIyEEZZNS1_9scan_implILNS1_25lookback_scan_determinismE0ELb0ELb0ES3_N6thrust23THRUST_200600_302600_NS6detail15normal_iteratorINS9_10device_ptrIyEEEESE_yNS9_4plusIvEEyEEDaPvRmT3_T4_T5_mT6_P12ihipStream_tbENKUlT_T0_E_clISt17integral_constantIbLb0EEST_IbLb1EEEEDaSP_SQ_EUlSP_E0_NS1_11comp_targetILNS1_3genE3ELNS1_11target_archE908ELNS1_3gpuE7ELNS1_3repE0EEENS1_30default_config_static_selectorELNS0_4arch9wavefront6targetE1EEEvT1_,@function
_ZN7rocprim17ROCPRIM_400000_NS6detail17trampoline_kernelINS0_14default_configENS1_20scan_config_selectorIyEEZZNS1_9scan_implILNS1_25lookback_scan_determinismE0ELb0ELb0ES3_N6thrust23THRUST_200600_302600_NS6detail15normal_iteratorINS9_10device_ptrIyEEEESE_yNS9_4plusIvEEyEEDaPvRmT3_T4_T5_mT6_P12ihipStream_tbENKUlT_T0_E_clISt17integral_constantIbLb0EEST_IbLb1EEEEDaSP_SQ_EUlSP_E0_NS1_11comp_targetILNS1_3genE3ELNS1_11target_archE908ELNS1_3gpuE7ELNS1_3repE0EEENS1_30default_config_static_selectorELNS0_4arch9wavefront6targetE1EEEvT1_: ; @_ZN7rocprim17ROCPRIM_400000_NS6detail17trampoline_kernelINS0_14default_configENS1_20scan_config_selectorIyEEZZNS1_9scan_implILNS1_25lookback_scan_determinismE0ELb0ELb0ES3_N6thrust23THRUST_200600_302600_NS6detail15normal_iteratorINS9_10device_ptrIyEEEESE_yNS9_4plusIvEEyEEDaPvRmT3_T4_T5_mT6_P12ihipStream_tbENKUlT_T0_E_clISt17integral_constantIbLb0EEST_IbLb1EEEEDaSP_SQ_EUlSP_E0_NS1_11comp_targetILNS1_3genE3ELNS1_11target_archE908ELNS1_3gpuE7ELNS1_3repE0EEENS1_30default_config_static_selectorELNS0_4arch9wavefront6targetE1EEEvT1_
; %bb.0:
	.section	.rodata,"a",@progbits
	.p2align	6, 0x0
	.amdhsa_kernel _ZN7rocprim17ROCPRIM_400000_NS6detail17trampoline_kernelINS0_14default_configENS1_20scan_config_selectorIyEEZZNS1_9scan_implILNS1_25lookback_scan_determinismE0ELb0ELb0ES3_N6thrust23THRUST_200600_302600_NS6detail15normal_iteratorINS9_10device_ptrIyEEEESE_yNS9_4plusIvEEyEEDaPvRmT3_T4_T5_mT6_P12ihipStream_tbENKUlT_T0_E_clISt17integral_constantIbLb0EEST_IbLb1EEEEDaSP_SQ_EUlSP_E0_NS1_11comp_targetILNS1_3genE3ELNS1_11target_archE908ELNS1_3gpuE7ELNS1_3repE0EEENS1_30default_config_static_selectorELNS0_4arch9wavefront6targetE1EEEvT1_
		.amdhsa_group_segment_fixed_size 0
		.amdhsa_private_segment_fixed_size 0
		.amdhsa_kernarg_size 40
		.amdhsa_user_sgpr_count 6
		.amdhsa_user_sgpr_private_segment_buffer 1
		.amdhsa_user_sgpr_dispatch_ptr 0
		.amdhsa_user_sgpr_queue_ptr 0
		.amdhsa_user_sgpr_kernarg_segment_ptr 1
		.amdhsa_user_sgpr_dispatch_id 0
		.amdhsa_user_sgpr_flat_scratch_init 0
		.amdhsa_user_sgpr_kernarg_preload_length 0
		.amdhsa_user_sgpr_kernarg_preload_offset 0
		.amdhsa_user_sgpr_private_segment_size 0
		.amdhsa_uses_dynamic_stack 0
		.amdhsa_system_sgpr_private_segment_wavefront_offset 0
		.amdhsa_system_sgpr_workgroup_id_x 1
		.amdhsa_system_sgpr_workgroup_id_y 0
		.amdhsa_system_sgpr_workgroup_id_z 0
		.amdhsa_system_sgpr_workgroup_info 0
		.amdhsa_system_vgpr_workitem_id 0
		.amdhsa_next_free_vgpr 1
		.amdhsa_next_free_sgpr 0
		.amdhsa_accum_offset 4
		.amdhsa_reserve_vcc 0
		.amdhsa_reserve_flat_scratch 0
		.amdhsa_float_round_mode_32 0
		.amdhsa_float_round_mode_16_64 0
		.amdhsa_float_denorm_mode_32 3
		.amdhsa_float_denorm_mode_16_64 3
		.amdhsa_dx10_clamp 1
		.amdhsa_ieee_mode 1
		.amdhsa_fp16_overflow 0
		.amdhsa_tg_split 0
		.amdhsa_exception_fp_ieee_invalid_op 0
		.amdhsa_exception_fp_denorm_src 0
		.amdhsa_exception_fp_ieee_div_zero 0
		.amdhsa_exception_fp_ieee_overflow 0
		.amdhsa_exception_fp_ieee_underflow 0
		.amdhsa_exception_fp_ieee_inexact 0
		.amdhsa_exception_int_div_zero 0
	.end_amdhsa_kernel
	.section	.text._ZN7rocprim17ROCPRIM_400000_NS6detail17trampoline_kernelINS0_14default_configENS1_20scan_config_selectorIyEEZZNS1_9scan_implILNS1_25lookback_scan_determinismE0ELb0ELb0ES3_N6thrust23THRUST_200600_302600_NS6detail15normal_iteratorINS9_10device_ptrIyEEEESE_yNS9_4plusIvEEyEEDaPvRmT3_T4_T5_mT6_P12ihipStream_tbENKUlT_T0_E_clISt17integral_constantIbLb0EEST_IbLb1EEEEDaSP_SQ_EUlSP_E0_NS1_11comp_targetILNS1_3genE3ELNS1_11target_archE908ELNS1_3gpuE7ELNS1_3repE0EEENS1_30default_config_static_selectorELNS0_4arch9wavefront6targetE1EEEvT1_,"axG",@progbits,_ZN7rocprim17ROCPRIM_400000_NS6detail17trampoline_kernelINS0_14default_configENS1_20scan_config_selectorIyEEZZNS1_9scan_implILNS1_25lookback_scan_determinismE0ELb0ELb0ES3_N6thrust23THRUST_200600_302600_NS6detail15normal_iteratorINS9_10device_ptrIyEEEESE_yNS9_4plusIvEEyEEDaPvRmT3_T4_T5_mT6_P12ihipStream_tbENKUlT_T0_E_clISt17integral_constantIbLb0EEST_IbLb1EEEEDaSP_SQ_EUlSP_E0_NS1_11comp_targetILNS1_3genE3ELNS1_11target_archE908ELNS1_3gpuE7ELNS1_3repE0EEENS1_30default_config_static_selectorELNS0_4arch9wavefront6targetE1EEEvT1_,comdat
.Lfunc_end4496:
	.size	_ZN7rocprim17ROCPRIM_400000_NS6detail17trampoline_kernelINS0_14default_configENS1_20scan_config_selectorIyEEZZNS1_9scan_implILNS1_25lookback_scan_determinismE0ELb0ELb0ES3_N6thrust23THRUST_200600_302600_NS6detail15normal_iteratorINS9_10device_ptrIyEEEESE_yNS9_4plusIvEEyEEDaPvRmT3_T4_T5_mT6_P12ihipStream_tbENKUlT_T0_E_clISt17integral_constantIbLb0EEST_IbLb1EEEEDaSP_SQ_EUlSP_E0_NS1_11comp_targetILNS1_3genE3ELNS1_11target_archE908ELNS1_3gpuE7ELNS1_3repE0EEENS1_30default_config_static_selectorELNS0_4arch9wavefront6targetE1EEEvT1_, .Lfunc_end4496-_ZN7rocprim17ROCPRIM_400000_NS6detail17trampoline_kernelINS0_14default_configENS1_20scan_config_selectorIyEEZZNS1_9scan_implILNS1_25lookback_scan_determinismE0ELb0ELb0ES3_N6thrust23THRUST_200600_302600_NS6detail15normal_iteratorINS9_10device_ptrIyEEEESE_yNS9_4plusIvEEyEEDaPvRmT3_T4_T5_mT6_P12ihipStream_tbENKUlT_T0_E_clISt17integral_constantIbLb0EEST_IbLb1EEEEDaSP_SQ_EUlSP_E0_NS1_11comp_targetILNS1_3genE3ELNS1_11target_archE908ELNS1_3gpuE7ELNS1_3repE0EEENS1_30default_config_static_selectorELNS0_4arch9wavefront6targetE1EEEvT1_
                                        ; -- End function
	.section	.AMDGPU.csdata,"",@progbits
; Kernel info:
; codeLenInByte = 0
; NumSgprs: 4
; NumVgprs: 0
; NumAgprs: 0
; TotalNumVgprs: 0
; ScratchSize: 0
; MemoryBound: 0
; FloatMode: 240
; IeeeMode: 1
; LDSByteSize: 0 bytes/workgroup (compile time only)
; SGPRBlocks: 0
; VGPRBlocks: 0
; NumSGPRsForWavesPerEU: 4
; NumVGPRsForWavesPerEU: 1
; AccumOffset: 4
; Occupancy: 8
; WaveLimiterHint : 0
; COMPUTE_PGM_RSRC2:SCRATCH_EN: 0
; COMPUTE_PGM_RSRC2:USER_SGPR: 6
; COMPUTE_PGM_RSRC2:TRAP_HANDLER: 0
; COMPUTE_PGM_RSRC2:TGID_X_EN: 1
; COMPUTE_PGM_RSRC2:TGID_Y_EN: 0
; COMPUTE_PGM_RSRC2:TGID_Z_EN: 0
; COMPUTE_PGM_RSRC2:TIDIG_COMP_CNT: 0
; COMPUTE_PGM_RSRC3_GFX90A:ACCUM_OFFSET: 0
; COMPUTE_PGM_RSRC3_GFX90A:TG_SPLIT: 0
	.section	.text._ZN7rocprim17ROCPRIM_400000_NS6detail17trampoline_kernelINS0_14default_configENS1_20scan_config_selectorIyEEZZNS1_9scan_implILNS1_25lookback_scan_determinismE0ELb0ELb0ES3_N6thrust23THRUST_200600_302600_NS6detail15normal_iteratorINS9_10device_ptrIyEEEESE_yNS9_4plusIvEEyEEDaPvRmT3_T4_T5_mT6_P12ihipStream_tbENKUlT_T0_E_clISt17integral_constantIbLb0EEST_IbLb1EEEEDaSP_SQ_EUlSP_E0_NS1_11comp_targetILNS1_3genE2ELNS1_11target_archE906ELNS1_3gpuE6ELNS1_3repE0EEENS1_30default_config_static_selectorELNS0_4arch9wavefront6targetE1EEEvT1_,"axG",@progbits,_ZN7rocprim17ROCPRIM_400000_NS6detail17trampoline_kernelINS0_14default_configENS1_20scan_config_selectorIyEEZZNS1_9scan_implILNS1_25lookback_scan_determinismE0ELb0ELb0ES3_N6thrust23THRUST_200600_302600_NS6detail15normal_iteratorINS9_10device_ptrIyEEEESE_yNS9_4plusIvEEyEEDaPvRmT3_T4_T5_mT6_P12ihipStream_tbENKUlT_T0_E_clISt17integral_constantIbLb0EEST_IbLb1EEEEDaSP_SQ_EUlSP_E0_NS1_11comp_targetILNS1_3genE2ELNS1_11target_archE906ELNS1_3gpuE6ELNS1_3repE0EEENS1_30default_config_static_selectorELNS0_4arch9wavefront6targetE1EEEvT1_,comdat
	.protected	_ZN7rocprim17ROCPRIM_400000_NS6detail17trampoline_kernelINS0_14default_configENS1_20scan_config_selectorIyEEZZNS1_9scan_implILNS1_25lookback_scan_determinismE0ELb0ELb0ES3_N6thrust23THRUST_200600_302600_NS6detail15normal_iteratorINS9_10device_ptrIyEEEESE_yNS9_4plusIvEEyEEDaPvRmT3_T4_T5_mT6_P12ihipStream_tbENKUlT_T0_E_clISt17integral_constantIbLb0EEST_IbLb1EEEEDaSP_SQ_EUlSP_E0_NS1_11comp_targetILNS1_3genE2ELNS1_11target_archE906ELNS1_3gpuE6ELNS1_3repE0EEENS1_30default_config_static_selectorELNS0_4arch9wavefront6targetE1EEEvT1_ ; -- Begin function _ZN7rocprim17ROCPRIM_400000_NS6detail17trampoline_kernelINS0_14default_configENS1_20scan_config_selectorIyEEZZNS1_9scan_implILNS1_25lookback_scan_determinismE0ELb0ELb0ES3_N6thrust23THRUST_200600_302600_NS6detail15normal_iteratorINS9_10device_ptrIyEEEESE_yNS9_4plusIvEEyEEDaPvRmT3_T4_T5_mT6_P12ihipStream_tbENKUlT_T0_E_clISt17integral_constantIbLb0EEST_IbLb1EEEEDaSP_SQ_EUlSP_E0_NS1_11comp_targetILNS1_3genE2ELNS1_11target_archE906ELNS1_3gpuE6ELNS1_3repE0EEENS1_30default_config_static_selectorELNS0_4arch9wavefront6targetE1EEEvT1_
	.globl	_ZN7rocprim17ROCPRIM_400000_NS6detail17trampoline_kernelINS0_14default_configENS1_20scan_config_selectorIyEEZZNS1_9scan_implILNS1_25lookback_scan_determinismE0ELb0ELb0ES3_N6thrust23THRUST_200600_302600_NS6detail15normal_iteratorINS9_10device_ptrIyEEEESE_yNS9_4plusIvEEyEEDaPvRmT3_T4_T5_mT6_P12ihipStream_tbENKUlT_T0_E_clISt17integral_constantIbLb0EEST_IbLb1EEEEDaSP_SQ_EUlSP_E0_NS1_11comp_targetILNS1_3genE2ELNS1_11target_archE906ELNS1_3gpuE6ELNS1_3repE0EEENS1_30default_config_static_selectorELNS0_4arch9wavefront6targetE1EEEvT1_
	.p2align	8
	.type	_ZN7rocprim17ROCPRIM_400000_NS6detail17trampoline_kernelINS0_14default_configENS1_20scan_config_selectorIyEEZZNS1_9scan_implILNS1_25lookback_scan_determinismE0ELb0ELb0ES3_N6thrust23THRUST_200600_302600_NS6detail15normal_iteratorINS9_10device_ptrIyEEEESE_yNS9_4plusIvEEyEEDaPvRmT3_T4_T5_mT6_P12ihipStream_tbENKUlT_T0_E_clISt17integral_constantIbLb0EEST_IbLb1EEEEDaSP_SQ_EUlSP_E0_NS1_11comp_targetILNS1_3genE2ELNS1_11target_archE906ELNS1_3gpuE6ELNS1_3repE0EEENS1_30default_config_static_selectorELNS0_4arch9wavefront6targetE1EEEvT1_,@function
_ZN7rocprim17ROCPRIM_400000_NS6detail17trampoline_kernelINS0_14default_configENS1_20scan_config_selectorIyEEZZNS1_9scan_implILNS1_25lookback_scan_determinismE0ELb0ELb0ES3_N6thrust23THRUST_200600_302600_NS6detail15normal_iteratorINS9_10device_ptrIyEEEESE_yNS9_4plusIvEEyEEDaPvRmT3_T4_T5_mT6_P12ihipStream_tbENKUlT_T0_E_clISt17integral_constantIbLb0EEST_IbLb1EEEEDaSP_SQ_EUlSP_E0_NS1_11comp_targetILNS1_3genE2ELNS1_11target_archE906ELNS1_3gpuE6ELNS1_3repE0EEENS1_30default_config_static_selectorELNS0_4arch9wavefront6targetE1EEEvT1_: ; @_ZN7rocprim17ROCPRIM_400000_NS6detail17trampoline_kernelINS0_14default_configENS1_20scan_config_selectorIyEEZZNS1_9scan_implILNS1_25lookback_scan_determinismE0ELb0ELb0ES3_N6thrust23THRUST_200600_302600_NS6detail15normal_iteratorINS9_10device_ptrIyEEEESE_yNS9_4plusIvEEyEEDaPvRmT3_T4_T5_mT6_P12ihipStream_tbENKUlT_T0_E_clISt17integral_constantIbLb0EEST_IbLb1EEEEDaSP_SQ_EUlSP_E0_NS1_11comp_targetILNS1_3genE2ELNS1_11target_archE906ELNS1_3gpuE6ELNS1_3repE0EEENS1_30default_config_static_selectorELNS0_4arch9wavefront6targetE1EEEvT1_
; %bb.0:
	.section	.rodata,"a",@progbits
	.p2align	6, 0x0
	.amdhsa_kernel _ZN7rocprim17ROCPRIM_400000_NS6detail17trampoline_kernelINS0_14default_configENS1_20scan_config_selectorIyEEZZNS1_9scan_implILNS1_25lookback_scan_determinismE0ELb0ELb0ES3_N6thrust23THRUST_200600_302600_NS6detail15normal_iteratorINS9_10device_ptrIyEEEESE_yNS9_4plusIvEEyEEDaPvRmT3_T4_T5_mT6_P12ihipStream_tbENKUlT_T0_E_clISt17integral_constantIbLb0EEST_IbLb1EEEEDaSP_SQ_EUlSP_E0_NS1_11comp_targetILNS1_3genE2ELNS1_11target_archE906ELNS1_3gpuE6ELNS1_3repE0EEENS1_30default_config_static_selectorELNS0_4arch9wavefront6targetE1EEEvT1_
		.amdhsa_group_segment_fixed_size 0
		.amdhsa_private_segment_fixed_size 0
		.amdhsa_kernarg_size 40
		.amdhsa_user_sgpr_count 6
		.amdhsa_user_sgpr_private_segment_buffer 1
		.amdhsa_user_sgpr_dispatch_ptr 0
		.amdhsa_user_sgpr_queue_ptr 0
		.amdhsa_user_sgpr_kernarg_segment_ptr 1
		.amdhsa_user_sgpr_dispatch_id 0
		.amdhsa_user_sgpr_flat_scratch_init 0
		.amdhsa_user_sgpr_kernarg_preload_length 0
		.amdhsa_user_sgpr_kernarg_preload_offset 0
		.amdhsa_user_sgpr_private_segment_size 0
		.amdhsa_uses_dynamic_stack 0
		.amdhsa_system_sgpr_private_segment_wavefront_offset 0
		.amdhsa_system_sgpr_workgroup_id_x 1
		.amdhsa_system_sgpr_workgroup_id_y 0
		.amdhsa_system_sgpr_workgroup_id_z 0
		.amdhsa_system_sgpr_workgroup_info 0
		.amdhsa_system_vgpr_workitem_id 0
		.amdhsa_next_free_vgpr 1
		.amdhsa_next_free_sgpr 0
		.amdhsa_accum_offset 4
		.amdhsa_reserve_vcc 0
		.amdhsa_reserve_flat_scratch 0
		.amdhsa_float_round_mode_32 0
		.amdhsa_float_round_mode_16_64 0
		.amdhsa_float_denorm_mode_32 3
		.amdhsa_float_denorm_mode_16_64 3
		.amdhsa_dx10_clamp 1
		.amdhsa_ieee_mode 1
		.amdhsa_fp16_overflow 0
		.amdhsa_tg_split 0
		.amdhsa_exception_fp_ieee_invalid_op 0
		.amdhsa_exception_fp_denorm_src 0
		.amdhsa_exception_fp_ieee_div_zero 0
		.amdhsa_exception_fp_ieee_overflow 0
		.amdhsa_exception_fp_ieee_underflow 0
		.amdhsa_exception_fp_ieee_inexact 0
		.amdhsa_exception_int_div_zero 0
	.end_amdhsa_kernel
	.section	.text._ZN7rocprim17ROCPRIM_400000_NS6detail17trampoline_kernelINS0_14default_configENS1_20scan_config_selectorIyEEZZNS1_9scan_implILNS1_25lookback_scan_determinismE0ELb0ELb0ES3_N6thrust23THRUST_200600_302600_NS6detail15normal_iteratorINS9_10device_ptrIyEEEESE_yNS9_4plusIvEEyEEDaPvRmT3_T4_T5_mT6_P12ihipStream_tbENKUlT_T0_E_clISt17integral_constantIbLb0EEST_IbLb1EEEEDaSP_SQ_EUlSP_E0_NS1_11comp_targetILNS1_3genE2ELNS1_11target_archE906ELNS1_3gpuE6ELNS1_3repE0EEENS1_30default_config_static_selectorELNS0_4arch9wavefront6targetE1EEEvT1_,"axG",@progbits,_ZN7rocprim17ROCPRIM_400000_NS6detail17trampoline_kernelINS0_14default_configENS1_20scan_config_selectorIyEEZZNS1_9scan_implILNS1_25lookback_scan_determinismE0ELb0ELb0ES3_N6thrust23THRUST_200600_302600_NS6detail15normal_iteratorINS9_10device_ptrIyEEEESE_yNS9_4plusIvEEyEEDaPvRmT3_T4_T5_mT6_P12ihipStream_tbENKUlT_T0_E_clISt17integral_constantIbLb0EEST_IbLb1EEEEDaSP_SQ_EUlSP_E0_NS1_11comp_targetILNS1_3genE2ELNS1_11target_archE906ELNS1_3gpuE6ELNS1_3repE0EEENS1_30default_config_static_selectorELNS0_4arch9wavefront6targetE1EEEvT1_,comdat
.Lfunc_end4497:
	.size	_ZN7rocprim17ROCPRIM_400000_NS6detail17trampoline_kernelINS0_14default_configENS1_20scan_config_selectorIyEEZZNS1_9scan_implILNS1_25lookback_scan_determinismE0ELb0ELb0ES3_N6thrust23THRUST_200600_302600_NS6detail15normal_iteratorINS9_10device_ptrIyEEEESE_yNS9_4plusIvEEyEEDaPvRmT3_T4_T5_mT6_P12ihipStream_tbENKUlT_T0_E_clISt17integral_constantIbLb0EEST_IbLb1EEEEDaSP_SQ_EUlSP_E0_NS1_11comp_targetILNS1_3genE2ELNS1_11target_archE906ELNS1_3gpuE6ELNS1_3repE0EEENS1_30default_config_static_selectorELNS0_4arch9wavefront6targetE1EEEvT1_, .Lfunc_end4497-_ZN7rocprim17ROCPRIM_400000_NS6detail17trampoline_kernelINS0_14default_configENS1_20scan_config_selectorIyEEZZNS1_9scan_implILNS1_25lookback_scan_determinismE0ELb0ELb0ES3_N6thrust23THRUST_200600_302600_NS6detail15normal_iteratorINS9_10device_ptrIyEEEESE_yNS9_4plusIvEEyEEDaPvRmT3_T4_T5_mT6_P12ihipStream_tbENKUlT_T0_E_clISt17integral_constantIbLb0EEST_IbLb1EEEEDaSP_SQ_EUlSP_E0_NS1_11comp_targetILNS1_3genE2ELNS1_11target_archE906ELNS1_3gpuE6ELNS1_3repE0EEENS1_30default_config_static_selectorELNS0_4arch9wavefront6targetE1EEEvT1_
                                        ; -- End function
	.section	.AMDGPU.csdata,"",@progbits
; Kernel info:
; codeLenInByte = 0
; NumSgprs: 4
; NumVgprs: 0
; NumAgprs: 0
; TotalNumVgprs: 0
; ScratchSize: 0
; MemoryBound: 0
; FloatMode: 240
; IeeeMode: 1
; LDSByteSize: 0 bytes/workgroup (compile time only)
; SGPRBlocks: 0
; VGPRBlocks: 0
; NumSGPRsForWavesPerEU: 4
; NumVGPRsForWavesPerEU: 1
; AccumOffset: 4
; Occupancy: 8
; WaveLimiterHint : 0
; COMPUTE_PGM_RSRC2:SCRATCH_EN: 0
; COMPUTE_PGM_RSRC2:USER_SGPR: 6
; COMPUTE_PGM_RSRC2:TRAP_HANDLER: 0
; COMPUTE_PGM_RSRC2:TGID_X_EN: 1
; COMPUTE_PGM_RSRC2:TGID_Y_EN: 0
; COMPUTE_PGM_RSRC2:TGID_Z_EN: 0
; COMPUTE_PGM_RSRC2:TIDIG_COMP_CNT: 0
; COMPUTE_PGM_RSRC3_GFX90A:ACCUM_OFFSET: 0
; COMPUTE_PGM_RSRC3_GFX90A:TG_SPLIT: 0
	.section	.text._ZN7rocprim17ROCPRIM_400000_NS6detail17trampoline_kernelINS0_14default_configENS1_20scan_config_selectorIyEEZZNS1_9scan_implILNS1_25lookback_scan_determinismE0ELb0ELb0ES3_N6thrust23THRUST_200600_302600_NS6detail15normal_iteratorINS9_10device_ptrIyEEEESE_yNS9_4plusIvEEyEEDaPvRmT3_T4_T5_mT6_P12ihipStream_tbENKUlT_T0_E_clISt17integral_constantIbLb0EEST_IbLb1EEEEDaSP_SQ_EUlSP_E0_NS1_11comp_targetILNS1_3genE10ELNS1_11target_archE1201ELNS1_3gpuE5ELNS1_3repE0EEENS1_30default_config_static_selectorELNS0_4arch9wavefront6targetE1EEEvT1_,"axG",@progbits,_ZN7rocprim17ROCPRIM_400000_NS6detail17trampoline_kernelINS0_14default_configENS1_20scan_config_selectorIyEEZZNS1_9scan_implILNS1_25lookback_scan_determinismE0ELb0ELb0ES3_N6thrust23THRUST_200600_302600_NS6detail15normal_iteratorINS9_10device_ptrIyEEEESE_yNS9_4plusIvEEyEEDaPvRmT3_T4_T5_mT6_P12ihipStream_tbENKUlT_T0_E_clISt17integral_constantIbLb0EEST_IbLb1EEEEDaSP_SQ_EUlSP_E0_NS1_11comp_targetILNS1_3genE10ELNS1_11target_archE1201ELNS1_3gpuE5ELNS1_3repE0EEENS1_30default_config_static_selectorELNS0_4arch9wavefront6targetE1EEEvT1_,comdat
	.protected	_ZN7rocprim17ROCPRIM_400000_NS6detail17trampoline_kernelINS0_14default_configENS1_20scan_config_selectorIyEEZZNS1_9scan_implILNS1_25lookback_scan_determinismE0ELb0ELb0ES3_N6thrust23THRUST_200600_302600_NS6detail15normal_iteratorINS9_10device_ptrIyEEEESE_yNS9_4plusIvEEyEEDaPvRmT3_T4_T5_mT6_P12ihipStream_tbENKUlT_T0_E_clISt17integral_constantIbLb0EEST_IbLb1EEEEDaSP_SQ_EUlSP_E0_NS1_11comp_targetILNS1_3genE10ELNS1_11target_archE1201ELNS1_3gpuE5ELNS1_3repE0EEENS1_30default_config_static_selectorELNS0_4arch9wavefront6targetE1EEEvT1_ ; -- Begin function _ZN7rocprim17ROCPRIM_400000_NS6detail17trampoline_kernelINS0_14default_configENS1_20scan_config_selectorIyEEZZNS1_9scan_implILNS1_25lookback_scan_determinismE0ELb0ELb0ES3_N6thrust23THRUST_200600_302600_NS6detail15normal_iteratorINS9_10device_ptrIyEEEESE_yNS9_4plusIvEEyEEDaPvRmT3_T4_T5_mT6_P12ihipStream_tbENKUlT_T0_E_clISt17integral_constantIbLb0EEST_IbLb1EEEEDaSP_SQ_EUlSP_E0_NS1_11comp_targetILNS1_3genE10ELNS1_11target_archE1201ELNS1_3gpuE5ELNS1_3repE0EEENS1_30default_config_static_selectorELNS0_4arch9wavefront6targetE1EEEvT1_
	.globl	_ZN7rocprim17ROCPRIM_400000_NS6detail17trampoline_kernelINS0_14default_configENS1_20scan_config_selectorIyEEZZNS1_9scan_implILNS1_25lookback_scan_determinismE0ELb0ELb0ES3_N6thrust23THRUST_200600_302600_NS6detail15normal_iteratorINS9_10device_ptrIyEEEESE_yNS9_4plusIvEEyEEDaPvRmT3_T4_T5_mT6_P12ihipStream_tbENKUlT_T0_E_clISt17integral_constantIbLb0EEST_IbLb1EEEEDaSP_SQ_EUlSP_E0_NS1_11comp_targetILNS1_3genE10ELNS1_11target_archE1201ELNS1_3gpuE5ELNS1_3repE0EEENS1_30default_config_static_selectorELNS0_4arch9wavefront6targetE1EEEvT1_
	.p2align	8
	.type	_ZN7rocprim17ROCPRIM_400000_NS6detail17trampoline_kernelINS0_14default_configENS1_20scan_config_selectorIyEEZZNS1_9scan_implILNS1_25lookback_scan_determinismE0ELb0ELb0ES3_N6thrust23THRUST_200600_302600_NS6detail15normal_iteratorINS9_10device_ptrIyEEEESE_yNS9_4plusIvEEyEEDaPvRmT3_T4_T5_mT6_P12ihipStream_tbENKUlT_T0_E_clISt17integral_constantIbLb0EEST_IbLb1EEEEDaSP_SQ_EUlSP_E0_NS1_11comp_targetILNS1_3genE10ELNS1_11target_archE1201ELNS1_3gpuE5ELNS1_3repE0EEENS1_30default_config_static_selectorELNS0_4arch9wavefront6targetE1EEEvT1_,@function
_ZN7rocprim17ROCPRIM_400000_NS6detail17trampoline_kernelINS0_14default_configENS1_20scan_config_selectorIyEEZZNS1_9scan_implILNS1_25lookback_scan_determinismE0ELb0ELb0ES3_N6thrust23THRUST_200600_302600_NS6detail15normal_iteratorINS9_10device_ptrIyEEEESE_yNS9_4plusIvEEyEEDaPvRmT3_T4_T5_mT6_P12ihipStream_tbENKUlT_T0_E_clISt17integral_constantIbLb0EEST_IbLb1EEEEDaSP_SQ_EUlSP_E0_NS1_11comp_targetILNS1_3genE10ELNS1_11target_archE1201ELNS1_3gpuE5ELNS1_3repE0EEENS1_30default_config_static_selectorELNS0_4arch9wavefront6targetE1EEEvT1_: ; @_ZN7rocprim17ROCPRIM_400000_NS6detail17trampoline_kernelINS0_14default_configENS1_20scan_config_selectorIyEEZZNS1_9scan_implILNS1_25lookback_scan_determinismE0ELb0ELb0ES3_N6thrust23THRUST_200600_302600_NS6detail15normal_iteratorINS9_10device_ptrIyEEEESE_yNS9_4plusIvEEyEEDaPvRmT3_T4_T5_mT6_P12ihipStream_tbENKUlT_T0_E_clISt17integral_constantIbLb0EEST_IbLb1EEEEDaSP_SQ_EUlSP_E0_NS1_11comp_targetILNS1_3genE10ELNS1_11target_archE1201ELNS1_3gpuE5ELNS1_3repE0EEENS1_30default_config_static_selectorELNS0_4arch9wavefront6targetE1EEEvT1_
; %bb.0:
	.section	.rodata,"a",@progbits
	.p2align	6, 0x0
	.amdhsa_kernel _ZN7rocprim17ROCPRIM_400000_NS6detail17trampoline_kernelINS0_14default_configENS1_20scan_config_selectorIyEEZZNS1_9scan_implILNS1_25lookback_scan_determinismE0ELb0ELb0ES3_N6thrust23THRUST_200600_302600_NS6detail15normal_iteratorINS9_10device_ptrIyEEEESE_yNS9_4plusIvEEyEEDaPvRmT3_T4_T5_mT6_P12ihipStream_tbENKUlT_T0_E_clISt17integral_constantIbLb0EEST_IbLb1EEEEDaSP_SQ_EUlSP_E0_NS1_11comp_targetILNS1_3genE10ELNS1_11target_archE1201ELNS1_3gpuE5ELNS1_3repE0EEENS1_30default_config_static_selectorELNS0_4arch9wavefront6targetE1EEEvT1_
		.amdhsa_group_segment_fixed_size 0
		.amdhsa_private_segment_fixed_size 0
		.amdhsa_kernarg_size 40
		.amdhsa_user_sgpr_count 6
		.amdhsa_user_sgpr_private_segment_buffer 1
		.amdhsa_user_sgpr_dispatch_ptr 0
		.amdhsa_user_sgpr_queue_ptr 0
		.amdhsa_user_sgpr_kernarg_segment_ptr 1
		.amdhsa_user_sgpr_dispatch_id 0
		.amdhsa_user_sgpr_flat_scratch_init 0
		.amdhsa_user_sgpr_kernarg_preload_length 0
		.amdhsa_user_sgpr_kernarg_preload_offset 0
		.amdhsa_user_sgpr_private_segment_size 0
		.amdhsa_uses_dynamic_stack 0
		.amdhsa_system_sgpr_private_segment_wavefront_offset 0
		.amdhsa_system_sgpr_workgroup_id_x 1
		.amdhsa_system_sgpr_workgroup_id_y 0
		.amdhsa_system_sgpr_workgroup_id_z 0
		.amdhsa_system_sgpr_workgroup_info 0
		.amdhsa_system_vgpr_workitem_id 0
		.amdhsa_next_free_vgpr 1
		.amdhsa_next_free_sgpr 0
		.amdhsa_accum_offset 4
		.amdhsa_reserve_vcc 0
		.amdhsa_reserve_flat_scratch 0
		.amdhsa_float_round_mode_32 0
		.amdhsa_float_round_mode_16_64 0
		.amdhsa_float_denorm_mode_32 3
		.amdhsa_float_denorm_mode_16_64 3
		.amdhsa_dx10_clamp 1
		.amdhsa_ieee_mode 1
		.amdhsa_fp16_overflow 0
		.amdhsa_tg_split 0
		.amdhsa_exception_fp_ieee_invalid_op 0
		.amdhsa_exception_fp_denorm_src 0
		.amdhsa_exception_fp_ieee_div_zero 0
		.amdhsa_exception_fp_ieee_overflow 0
		.amdhsa_exception_fp_ieee_underflow 0
		.amdhsa_exception_fp_ieee_inexact 0
		.amdhsa_exception_int_div_zero 0
	.end_amdhsa_kernel
	.section	.text._ZN7rocprim17ROCPRIM_400000_NS6detail17trampoline_kernelINS0_14default_configENS1_20scan_config_selectorIyEEZZNS1_9scan_implILNS1_25lookback_scan_determinismE0ELb0ELb0ES3_N6thrust23THRUST_200600_302600_NS6detail15normal_iteratorINS9_10device_ptrIyEEEESE_yNS9_4plusIvEEyEEDaPvRmT3_T4_T5_mT6_P12ihipStream_tbENKUlT_T0_E_clISt17integral_constantIbLb0EEST_IbLb1EEEEDaSP_SQ_EUlSP_E0_NS1_11comp_targetILNS1_3genE10ELNS1_11target_archE1201ELNS1_3gpuE5ELNS1_3repE0EEENS1_30default_config_static_selectorELNS0_4arch9wavefront6targetE1EEEvT1_,"axG",@progbits,_ZN7rocprim17ROCPRIM_400000_NS6detail17trampoline_kernelINS0_14default_configENS1_20scan_config_selectorIyEEZZNS1_9scan_implILNS1_25lookback_scan_determinismE0ELb0ELb0ES3_N6thrust23THRUST_200600_302600_NS6detail15normal_iteratorINS9_10device_ptrIyEEEESE_yNS9_4plusIvEEyEEDaPvRmT3_T4_T5_mT6_P12ihipStream_tbENKUlT_T0_E_clISt17integral_constantIbLb0EEST_IbLb1EEEEDaSP_SQ_EUlSP_E0_NS1_11comp_targetILNS1_3genE10ELNS1_11target_archE1201ELNS1_3gpuE5ELNS1_3repE0EEENS1_30default_config_static_selectorELNS0_4arch9wavefront6targetE1EEEvT1_,comdat
.Lfunc_end4498:
	.size	_ZN7rocprim17ROCPRIM_400000_NS6detail17trampoline_kernelINS0_14default_configENS1_20scan_config_selectorIyEEZZNS1_9scan_implILNS1_25lookback_scan_determinismE0ELb0ELb0ES3_N6thrust23THRUST_200600_302600_NS6detail15normal_iteratorINS9_10device_ptrIyEEEESE_yNS9_4plusIvEEyEEDaPvRmT3_T4_T5_mT6_P12ihipStream_tbENKUlT_T0_E_clISt17integral_constantIbLb0EEST_IbLb1EEEEDaSP_SQ_EUlSP_E0_NS1_11comp_targetILNS1_3genE10ELNS1_11target_archE1201ELNS1_3gpuE5ELNS1_3repE0EEENS1_30default_config_static_selectorELNS0_4arch9wavefront6targetE1EEEvT1_, .Lfunc_end4498-_ZN7rocprim17ROCPRIM_400000_NS6detail17trampoline_kernelINS0_14default_configENS1_20scan_config_selectorIyEEZZNS1_9scan_implILNS1_25lookback_scan_determinismE0ELb0ELb0ES3_N6thrust23THRUST_200600_302600_NS6detail15normal_iteratorINS9_10device_ptrIyEEEESE_yNS9_4plusIvEEyEEDaPvRmT3_T4_T5_mT6_P12ihipStream_tbENKUlT_T0_E_clISt17integral_constantIbLb0EEST_IbLb1EEEEDaSP_SQ_EUlSP_E0_NS1_11comp_targetILNS1_3genE10ELNS1_11target_archE1201ELNS1_3gpuE5ELNS1_3repE0EEENS1_30default_config_static_selectorELNS0_4arch9wavefront6targetE1EEEvT1_
                                        ; -- End function
	.section	.AMDGPU.csdata,"",@progbits
; Kernel info:
; codeLenInByte = 0
; NumSgprs: 4
; NumVgprs: 0
; NumAgprs: 0
; TotalNumVgprs: 0
; ScratchSize: 0
; MemoryBound: 0
; FloatMode: 240
; IeeeMode: 1
; LDSByteSize: 0 bytes/workgroup (compile time only)
; SGPRBlocks: 0
; VGPRBlocks: 0
; NumSGPRsForWavesPerEU: 4
; NumVGPRsForWavesPerEU: 1
; AccumOffset: 4
; Occupancy: 8
; WaveLimiterHint : 0
; COMPUTE_PGM_RSRC2:SCRATCH_EN: 0
; COMPUTE_PGM_RSRC2:USER_SGPR: 6
; COMPUTE_PGM_RSRC2:TRAP_HANDLER: 0
; COMPUTE_PGM_RSRC2:TGID_X_EN: 1
; COMPUTE_PGM_RSRC2:TGID_Y_EN: 0
; COMPUTE_PGM_RSRC2:TGID_Z_EN: 0
; COMPUTE_PGM_RSRC2:TIDIG_COMP_CNT: 0
; COMPUTE_PGM_RSRC3_GFX90A:ACCUM_OFFSET: 0
; COMPUTE_PGM_RSRC3_GFX90A:TG_SPLIT: 0
	.section	.text._ZN7rocprim17ROCPRIM_400000_NS6detail17trampoline_kernelINS0_14default_configENS1_20scan_config_selectorIyEEZZNS1_9scan_implILNS1_25lookback_scan_determinismE0ELb0ELb0ES3_N6thrust23THRUST_200600_302600_NS6detail15normal_iteratorINS9_10device_ptrIyEEEESE_yNS9_4plusIvEEyEEDaPvRmT3_T4_T5_mT6_P12ihipStream_tbENKUlT_T0_E_clISt17integral_constantIbLb0EEST_IbLb1EEEEDaSP_SQ_EUlSP_E0_NS1_11comp_targetILNS1_3genE10ELNS1_11target_archE1200ELNS1_3gpuE4ELNS1_3repE0EEENS1_30default_config_static_selectorELNS0_4arch9wavefront6targetE1EEEvT1_,"axG",@progbits,_ZN7rocprim17ROCPRIM_400000_NS6detail17trampoline_kernelINS0_14default_configENS1_20scan_config_selectorIyEEZZNS1_9scan_implILNS1_25lookback_scan_determinismE0ELb0ELb0ES3_N6thrust23THRUST_200600_302600_NS6detail15normal_iteratorINS9_10device_ptrIyEEEESE_yNS9_4plusIvEEyEEDaPvRmT3_T4_T5_mT6_P12ihipStream_tbENKUlT_T0_E_clISt17integral_constantIbLb0EEST_IbLb1EEEEDaSP_SQ_EUlSP_E0_NS1_11comp_targetILNS1_3genE10ELNS1_11target_archE1200ELNS1_3gpuE4ELNS1_3repE0EEENS1_30default_config_static_selectorELNS0_4arch9wavefront6targetE1EEEvT1_,comdat
	.protected	_ZN7rocprim17ROCPRIM_400000_NS6detail17trampoline_kernelINS0_14default_configENS1_20scan_config_selectorIyEEZZNS1_9scan_implILNS1_25lookback_scan_determinismE0ELb0ELb0ES3_N6thrust23THRUST_200600_302600_NS6detail15normal_iteratorINS9_10device_ptrIyEEEESE_yNS9_4plusIvEEyEEDaPvRmT3_T4_T5_mT6_P12ihipStream_tbENKUlT_T0_E_clISt17integral_constantIbLb0EEST_IbLb1EEEEDaSP_SQ_EUlSP_E0_NS1_11comp_targetILNS1_3genE10ELNS1_11target_archE1200ELNS1_3gpuE4ELNS1_3repE0EEENS1_30default_config_static_selectorELNS0_4arch9wavefront6targetE1EEEvT1_ ; -- Begin function _ZN7rocprim17ROCPRIM_400000_NS6detail17trampoline_kernelINS0_14default_configENS1_20scan_config_selectorIyEEZZNS1_9scan_implILNS1_25lookback_scan_determinismE0ELb0ELb0ES3_N6thrust23THRUST_200600_302600_NS6detail15normal_iteratorINS9_10device_ptrIyEEEESE_yNS9_4plusIvEEyEEDaPvRmT3_T4_T5_mT6_P12ihipStream_tbENKUlT_T0_E_clISt17integral_constantIbLb0EEST_IbLb1EEEEDaSP_SQ_EUlSP_E0_NS1_11comp_targetILNS1_3genE10ELNS1_11target_archE1200ELNS1_3gpuE4ELNS1_3repE0EEENS1_30default_config_static_selectorELNS0_4arch9wavefront6targetE1EEEvT1_
	.globl	_ZN7rocprim17ROCPRIM_400000_NS6detail17trampoline_kernelINS0_14default_configENS1_20scan_config_selectorIyEEZZNS1_9scan_implILNS1_25lookback_scan_determinismE0ELb0ELb0ES3_N6thrust23THRUST_200600_302600_NS6detail15normal_iteratorINS9_10device_ptrIyEEEESE_yNS9_4plusIvEEyEEDaPvRmT3_T4_T5_mT6_P12ihipStream_tbENKUlT_T0_E_clISt17integral_constantIbLb0EEST_IbLb1EEEEDaSP_SQ_EUlSP_E0_NS1_11comp_targetILNS1_3genE10ELNS1_11target_archE1200ELNS1_3gpuE4ELNS1_3repE0EEENS1_30default_config_static_selectorELNS0_4arch9wavefront6targetE1EEEvT1_
	.p2align	8
	.type	_ZN7rocprim17ROCPRIM_400000_NS6detail17trampoline_kernelINS0_14default_configENS1_20scan_config_selectorIyEEZZNS1_9scan_implILNS1_25lookback_scan_determinismE0ELb0ELb0ES3_N6thrust23THRUST_200600_302600_NS6detail15normal_iteratorINS9_10device_ptrIyEEEESE_yNS9_4plusIvEEyEEDaPvRmT3_T4_T5_mT6_P12ihipStream_tbENKUlT_T0_E_clISt17integral_constantIbLb0EEST_IbLb1EEEEDaSP_SQ_EUlSP_E0_NS1_11comp_targetILNS1_3genE10ELNS1_11target_archE1200ELNS1_3gpuE4ELNS1_3repE0EEENS1_30default_config_static_selectorELNS0_4arch9wavefront6targetE1EEEvT1_,@function
_ZN7rocprim17ROCPRIM_400000_NS6detail17trampoline_kernelINS0_14default_configENS1_20scan_config_selectorIyEEZZNS1_9scan_implILNS1_25lookback_scan_determinismE0ELb0ELb0ES3_N6thrust23THRUST_200600_302600_NS6detail15normal_iteratorINS9_10device_ptrIyEEEESE_yNS9_4plusIvEEyEEDaPvRmT3_T4_T5_mT6_P12ihipStream_tbENKUlT_T0_E_clISt17integral_constantIbLb0EEST_IbLb1EEEEDaSP_SQ_EUlSP_E0_NS1_11comp_targetILNS1_3genE10ELNS1_11target_archE1200ELNS1_3gpuE4ELNS1_3repE0EEENS1_30default_config_static_selectorELNS0_4arch9wavefront6targetE1EEEvT1_: ; @_ZN7rocprim17ROCPRIM_400000_NS6detail17trampoline_kernelINS0_14default_configENS1_20scan_config_selectorIyEEZZNS1_9scan_implILNS1_25lookback_scan_determinismE0ELb0ELb0ES3_N6thrust23THRUST_200600_302600_NS6detail15normal_iteratorINS9_10device_ptrIyEEEESE_yNS9_4plusIvEEyEEDaPvRmT3_T4_T5_mT6_P12ihipStream_tbENKUlT_T0_E_clISt17integral_constantIbLb0EEST_IbLb1EEEEDaSP_SQ_EUlSP_E0_NS1_11comp_targetILNS1_3genE10ELNS1_11target_archE1200ELNS1_3gpuE4ELNS1_3repE0EEENS1_30default_config_static_selectorELNS0_4arch9wavefront6targetE1EEEvT1_
; %bb.0:
	.section	.rodata,"a",@progbits
	.p2align	6, 0x0
	.amdhsa_kernel _ZN7rocprim17ROCPRIM_400000_NS6detail17trampoline_kernelINS0_14default_configENS1_20scan_config_selectorIyEEZZNS1_9scan_implILNS1_25lookback_scan_determinismE0ELb0ELb0ES3_N6thrust23THRUST_200600_302600_NS6detail15normal_iteratorINS9_10device_ptrIyEEEESE_yNS9_4plusIvEEyEEDaPvRmT3_T4_T5_mT6_P12ihipStream_tbENKUlT_T0_E_clISt17integral_constantIbLb0EEST_IbLb1EEEEDaSP_SQ_EUlSP_E0_NS1_11comp_targetILNS1_3genE10ELNS1_11target_archE1200ELNS1_3gpuE4ELNS1_3repE0EEENS1_30default_config_static_selectorELNS0_4arch9wavefront6targetE1EEEvT1_
		.amdhsa_group_segment_fixed_size 0
		.amdhsa_private_segment_fixed_size 0
		.amdhsa_kernarg_size 40
		.amdhsa_user_sgpr_count 6
		.amdhsa_user_sgpr_private_segment_buffer 1
		.amdhsa_user_sgpr_dispatch_ptr 0
		.amdhsa_user_sgpr_queue_ptr 0
		.amdhsa_user_sgpr_kernarg_segment_ptr 1
		.amdhsa_user_sgpr_dispatch_id 0
		.amdhsa_user_sgpr_flat_scratch_init 0
		.amdhsa_user_sgpr_kernarg_preload_length 0
		.amdhsa_user_sgpr_kernarg_preload_offset 0
		.amdhsa_user_sgpr_private_segment_size 0
		.amdhsa_uses_dynamic_stack 0
		.amdhsa_system_sgpr_private_segment_wavefront_offset 0
		.amdhsa_system_sgpr_workgroup_id_x 1
		.amdhsa_system_sgpr_workgroup_id_y 0
		.amdhsa_system_sgpr_workgroup_id_z 0
		.amdhsa_system_sgpr_workgroup_info 0
		.amdhsa_system_vgpr_workitem_id 0
		.amdhsa_next_free_vgpr 1
		.amdhsa_next_free_sgpr 0
		.amdhsa_accum_offset 4
		.amdhsa_reserve_vcc 0
		.amdhsa_reserve_flat_scratch 0
		.amdhsa_float_round_mode_32 0
		.amdhsa_float_round_mode_16_64 0
		.amdhsa_float_denorm_mode_32 3
		.amdhsa_float_denorm_mode_16_64 3
		.amdhsa_dx10_clamp 1
		.amdhsa_ieee_mode 1
		.amdhsa_fp16_overflow 0
		.amdhsa_tg_split 0
		.amdhsa_exception_fp_ieee_invalid_op 0
		.amdhsa_exception_fp_denorm_src 0
		.amdhsa_exception_fp_ieee_div_zero 0
		.amdhsa_exception_fp_ieee_overflow 0
		.amdhsa_exception_fp_ieee_underflow 0
		.amdhsa_exception_fp_ieee_inexact 0
		.amdhsa_exception_int_div_zero 0
	.end_amdhsa_kernel
	.section	.text._ZN7rocprim17ROCPRIM_400000_NS6detail17trampoline_kernelINS0_14default_configENS1_20scan_config_selectorIyEEZZNS1_9scan_implILNS1_25lookback_scan_determinismE0ELb0ELb0ES3_N6thrust23THRUST_200600_302600_NS6detail15normal_iteratorINS9_10device_ptrIyEEEESE_yNS9_4plusIvEEyEEDaPvRmT3_T4_T5_mT6_P12ihipStream_tbENKUlT_T0_E_clISt17integral_constantIbLb0EEST_IbLb1EEEEDaSP_SQ_EUlSP_E0_NS1_11comp_targetILNS1_3genE10ELNS1_11target_archE1200ELNS1_3gpuE4ELNS1_3repE0EEENS1_30default_config_static_selectorELNS0_4arch9wavefront6targetE1EEEvT1_,"axG",@progbits,_ZN7rocprim17ROCPRIM_400000_NS6detail17trampoline_kernelINS0_14default_configENS1_20scan_config_selectorIyEEZZNS1_9scan_implILNS1_25lookback_scan_determinismE0ELb0ELb0ES3_N6thrust23THRUST_200600_302600_NS6detail15normal_iteratorINS9_10device_ptrIyEEEESE_yNS9_4plusIvEEyEEDaPvRmT3_T4_T5_mT6_P12ihipStream_tbENKUlT_T0_E_clISt17integral_constantIbLb0EEST_IbLb1EEEEDaSP_SQ_EUlSP_E0_NS1_11comp_targetILNS1_3genE10ELNS1_11target_archE1200ELNS1_3gpuE4ELNS1_3repE0EEENS1_30default_config_static_selectorELNS0_4arch9wavefront6targetE1EEEvT1_,comdat
.Lfunc_end4499:
	.size	_ZN7rocprim17ROCPRIM_400000_NS6detail17trampoline_kernelINS0_14default_configENS1_20scan_config_selectorIyEEZZNS1_9scan_implILNS1_25lookback_scan_determinismE0ELb0ELb0ES3_N6thrust23THRUST_200600_302600_NS6detail15normal_iteratorINS9_10device_ptrIyEEEESE_yNS9_4plusIvEEyEEDaPvRmT3_T4_T5_mT6_P12ihipStream_tbENKUlT_T0_E_clISt17integral_constantIbLb0EEST_IbLb1EEEEDaSP_SQ_EUlSP_E0_NS1_11comp_targetILNS1_3genE10ELNS1_11target_archE1200ELNS1_3gpuE4ELNS1_3repE0EEENS1_30default_config_static_selectorELNS0_4arch9wavefront6targetE1EEEvT1_, .Lfunc_end4499-_ZN7rocprim17ROCPRIM_400000_NS6detail17trampoline_kernelINS0_14default_configENS1_20scan_config_selectorIyEEZZNS1_9scan_implILNS1_25lookback_scan_determinismE0ELb0ELb0ES3_N6thrust23THRUST_200600_302600_NS6detail15normal_iteratorINS9_10device_ptrIyEEEESE_yNS9_4plusIvEEyEEDaPvRmT3_T4_T5_mT6_P12ihipStream_tbENKUlT_T0_E_clISt17integral_constantIbLb0EEST_IbLb1EEEEDaSP_SQ_EUlSP_E0_NS1_11comp_targetILNS1_3genE10ELNS1_11target_archE1200ELNS1_3gpuE4ELNS1_3repE0EEENS1_30default_config_static_selectorELNS0_4arch9wavefront6targetE1EEEvT1_
                                        ; -- End function
	.section	.AMDGPU.csdata,"",@progbits
; Kernel info:
; codeLenInByte = 0
; NumSgprs: 4
; NumVgprs: 0
; NumAgprs: 0
; TotalNumVgprs: 0
; ScratchSize: 0
; MemoryBound: 0
; FloatMode: 240
; IeeeMode: 1
; LDSByteSize: 0 bytes/workgroup (compile time only)
; SGPRBlocks: 0
; VGPRBlocks: 0
; NumSGPRsForWavesPerEU: 4
; NumVGPRsForWavesPerEU: 1
; AccumOffset: 4
; Occupancy: 8
; WaveLimiterHint : 0
; COMPUTE_PGM_RSRC2:SCRATCH_EN: 0
; COMPUTE_PGM_RSRC2:USER_SGPR: 6
; COMPUTE_PGM_RSRC2:TRAP_HANDLER: 0
; COMPUTE_PGM_RSRC2:TGID_X_EN: 1
; COMPUTE_PGM_RSRC2:TGID_Y_EN: 0
; COMPUTE_PGM_RSRC2:TGID_Z_EN: 0
; COMPUTE_PGM_RSRC2:TIDIG_COMP_CNT: 0
; COMPUTE_PGM_RSRC3_GFX90A:ACCUM_OFFSET: 0
; COMPUTE_PGM_RSRC3_GFX90A:TG_SPLIT: 0
	.section	.text._ZN7rocprim17ROCPRIM_400000_NS6detail17trampoline_kernelINS0_14default_configENS1_20scan_config_selectorIyEEZZNS1_9scan_implILNS1_25lookback_scan_determinismE0ELb0ELb0ES3_N6thrust23THRUST_200600_302600_NS6detail15normal_iteratorINS9_10device_ptrIyEEEESE_yNS9_4plusIvEEyEEDaPvRmT3_T4_T5_mT6_P12ihipStream_tbENKUlT_T0_E_clISt17integral_constantIbLb0EEST_IbLb1EEEEDaSP_SQ_EUlSP_E0_NS1_11comp_targetILNS1_3genE9ELNS1_11target_archE1100ELNS1_3gpuE3ELNS1_3repE0EEENS1_30default_config_static_selectorELNS0_4arch9wavefront6targetE1EEEvT1_,"axG",@progbits,_ZN7rocprim17ROCPRIM_400000_NS6detail17trampoline_kernelINS0_14default_configENS1_20scan_config_selectorIyEEZZNS1_9scan_implILNS1_25lookback_scan_determinismE0ELb0ELb0ES3_N6thrust23THRUST_200600_302600_NS6detail15normal_iteratorINS9_10device_ptrIyEEEESE_yNS9_4plusIvEEyEEDaPvRmT3_T4_T5_mT6_P12ihipStream_tbENKUlT_T0_E_clISt17integral_constantIbLb0EEST_IbLb1EEEEDaSP_SQ_EUlSP_E0_NS1_11comp_targetILNS1_3genE9ELNS1_11target_archE1100ELNS1_3gpuE3ELNS1_3repE0EEENS1_30default_config_static_selectorELNS0_4arch9wavefront6targetE1EEEvT1_,comdat
	.protected	_ZN7rocprim17ROCPRIM_400000_NS6detail17trampoline_kernelINS0_14default_configENS1_20scan_config_selectorIyEEZZNS1_9scan_implILNS1_25lookback_scan_determinismE0ELb0ELb0ES3_N6thrust23THRUST_200600_302600_NS6detail15normal_iteratorINS9_10device_ptrIyEEEESE_yNS9_4plusIvEEyEEDaPvRmT3_T4_T5_mT6_P12ihipStream_tbENKUlT_T0_E_clISt17integral_constantIbLb0EEST_IbLb1EEEEDaSP_SQ_EUlSP_E0_NS1_11comp_targetILNS1_3genE9ELNS1_11target_archE1100ELNS1_3gpuE3ELNS1_3repE0EEENS1_30default_config_static_selectorELNS0_4arch9wavefront6targetE1EEEvT1_ ; -- Begin function _ZN7rocprim17ROCPRIM_400000_NS6detail17trampoline_kernelINS0_14default_configENS1_20scan_config_selectorIyEEZZNS1_9scan_implILNS1_25lookback_scan_determinismE0ELb0ELb0ES3_N6thrust23THRUST_200600_302600_NS6detail15normal_iteratorINS9_10device_ptrIyEEEESE_yNS9_4plusIvEEyEEDaPvRmT3_T4_T5_mT6_P12ihipStream_tbENKUlT_T0_E_clISt17integral_constantIbLb0EEST_IbLb1EEEEDaSP_SQ_EUlSP_E0_NS1_11comp_targetILNS1_3genE9ELNS1_11target_archE1100ELNS1_3gpuE3ELNS1_3repE0EEENS1_30default_config_static_selectorELNS0_4arch9wavefront6targetE1EEEvT1_
	.globl	_ZN7rocprim17ROCPRIM_400000_NS6detail17trampoline_kernelINS0_14default_configENS1_20scan_config_selectorIyEEZZNS1_9scan_implILNS1_25lookback_scan_determinismE0ELb0ELb0ES3_N6thrust23THRUST_200600_302600_NS6detail15normal_iteratorINS9_10device_ptrIyEEEESE_yNS9_4plusIvEEyEEDaPvRmT3_T4_T5_mT6_P12ihipStream_tbENKUlT_T0_E_clISt17integral_constantIbLb0EEST_IbLb1EEEEDaSP_SQ_EUlSP_E0_NS1_11comp_targetILNS1_3genE9ELNS1_11target_archE1100ELNS1_3gpuE3ELNS1_3repE0EEENS1_30default_config_static_selectorELNS0_4arch9wavefront6targetE1EEEvT1_
	.p2align	8
	.type	_ZN7rocprim17ROCPRIM_400000_NS6detail17trampoline_kernelINS0_14default_configENS1_20scan_config_selectorIyEEZZNS1_9scan_implILNS1_25lookback_scan_determinismE0ELb0ELb0ES3_N6thrust23THRUST_200600_302600_NS6detail15normal_iteratorINS9_10device_ptrIyEEEESE_yNS9_4plusIvEEyEEDaPvRmT3_T4_T5_mT6_P12ihipStream_tbENKUlT_T0_E_clISt17integral_constantIbLb0EEST_IbLb1EEEEDaSP_SQ_EUlSP_E0_NS1_11comp_targetILNS1_3genE9ELNS1_11target_archE1100ELNS1_3gpuE3ELNS1_3repE0EEENS1_30default_config_static_selectorELNS0_4arch9wavefront6targetE1EEEvT1_,@function
_ZN7rocprim17ROCPRIM_400000_NS6detail17trampoline_kernelINS0_14default_configENS1_20scan_config_selectorIyEEZZNS1_9scan_implILNS1_25lookback_scan_determinismE0ELb0ELb0ES3_N6thrust23THRUST_200600_302600_NS6detail15normal_iteratorINS9_10device_ptrIyEEEESE_yNS9_4plusIvEEyEEDaPvRmT3_T4_T5_mT6_P12ihipStream_tbENKUlT_T0_E_clISt17integral_constantIbLb0EEST_IbLb1EEEEDaSP_SQ_EUlSP_E0_NS1_11comp_targetILNS1_3genE9ELNS1_11target_archE1100ELNS1_3gpuE3ELNS1_3repE0EEENS1_30default_config_static_selectorELNS0_4arch9wavefront6targetE1EEEvT1_: ; @_ZN7rocprim17ROCPRIM_400000_NS6detail17trampoline_kernelINS0_14default_configENS1_20scan_config_selectorIyEEZZNS1_9scan_implILNS1_25lookback_scan_determinismE0ELb0ELb0ES3_N6thrust23THRUST_200600_302600_NS6detail15normal_iteratorINS9_10device_ptrIyEEEESE_yNS9_4plusIvEEyEEDaPvRmT3_T4_T5_mT6_P12ihipStream_tbENKUlT_T0_E_clISt17integral_constantIbLb0EEST_IbLb1EEEEDaSP_SQ_EUlSP_E0_NS1_11comp_targetILNS1_3genE9ELNS1_11target_archE1100ELNS1_3gpuE3ELNS1_3repE0EEENS1_30default_config_static_selectorELNS0_4arch9wavefront6targetE1EEEvT1_
; %bb.0:
	.section	.rodata,"a",@progbits
	.p2align	6, 0x0
	.amdhsa_kernel _ZN7rocprim17ROCPRIM_400000_NS6detail17trampoline_kernelINS0_14default_configENS1_20scan_config_selectorIyEEZZNS1_9scan_implILNS1_25lookback_scan_determinismE0ELb0ELb0ES3_N6thrust23THRUST_200600_302600_NS6detail15normal_iteratorINS9_10device_ptrIyEEEESE_yNS9_4plusIvEEyEEDaPvRmT3_T4_T5_mT6_P12ihipStream_tbENKUlT_T0_E_clISt17integral_constantIbLb0EEST_IbLb1EEEEDaSP_SQ_EUlSP_E0_NS1_11comp_targetILNS1_3genE9ELNS1_11target_archE1100ELNS1_3gpuE3ELNS1_3repE0EEENS1_30default_config_static_selectorELNS0_4arch9wavefront6targetE1EEEvT1_
		.amdhsa_group_segment_fixed_size 0
		.amdhsa_private_segment_fixed_size 0
		.amdhsa_kernarg_size 40
		.amdhsa_user_sgpr_count 6
		.amdhsa_user_sgpr_private_segment_buffer 1
		.amdhsa_user_sgpr_dispatch_ptr 0
		.amdhsa_user_sgpr_queue_ptr 0
		.amdhsa_user_sgpr_kernarg_segment_ptr 1
		.amdhsa_user_sgpr_dispatch_id 0
		.amdhsa_user_sgpr_flat_scratch_init 0
		.amdhsa_user_sgpr_kernarg_preload_length 0
		.amdhsa_user_sgpr_kernarg_preload_offset 0
		.amdhsa_user_sgpr_private_segment_size 0
		.amdhsa_uses_dynamic_stack 0
		.amdhsa_system_sgpr_private_segment_wavefront_offset 0
		.amdhsa_system_sgpr_workgroup_id_x 1
		.amdhsa_system_sgpr_workgroup_id_y 0
		.amdhsa_system_sgpr_workgroup_id_z 0
		.amdhsa_system_sgpr_workgroup_info 0
		.amdhsa_system_vgpr_workitem_id 0
		.amdhsa_next_free_vgpr 1
		.amdhsa_next_free_sgpr 0
		.amdhsa_accum_offset 4
		.amdhsa_reserve_vcc 0
		.amdhsa_reserve_flat_scratch 0
		.amdhsa_float_round_mode_32 0
		.amdhsa_float_round_mode_16_64 0
		.amdhsa_float_denorm_mode_32 3
		.amdhsa_float_denorm_mode_16_64 3
		.amdhsa_dx10_clamp 1
		.amdhsa_ieee_mode 1
		.amdhsa_fp16_overflow 0
		.amdhsa_tg_split 0
		.amdhsa_exception_fp_ieee_invalid_op 0
		.amdhsa_exception_fp_denorm_src 0
		.amdhsa_exception_fp_ieee_div_zero 0
		.amdhsa_exception_fp_ieee_overflow 0
		.amdhsa_exception_fp_ieee_underflow 0
		.amdhsa_exception_fp_ieee_inexact 0
		.amdhsa_exception_int_div_zero 0
	.end_amdhsa_kernel
	.section	.text._ZN7rocprim17ROCPRIM_400000_NS6detail17trampoline_kernelINS0_14default_configENS1_20scan_config_selectorIyEEZZNS1_9scan_implILNS1_25lookback_scan_determinismE0ELb0ELb0ES3_N6thrust23THRUST_200600_302600_NS6detail15normal_iteratorINS9_10device_ptrIyEEEESE_yNS9_4plusIvEEyEEDaPvRmT3_T4_T5_mT6_P12ihipStream_tbENKUlT_T0_E_clISt17integral_constantIbLb0EEST_IbLb1EEEEDaSP_SQ_EUlSP_E0_NS1_11comp_targetILNS1_3genE9ELNS1_11target_archE1100ELNS1_3gpuE3ELNS1_3repE0EEENS1_30default_config_static_selectorELNS0_4arch9wavefront6targetE1EEEvT1_,"axG",@progbits,_ZN7rocprim17ROCPRIM_400000_NS6detail17trampoline_kernelINS0_14default_configENS1_20scan_config_selectorIyEEZZNS1_9scan_implILNS1_25lookback_scan_determinismE0ELb0ELb0ES3_N6thrust23THRUST_200600_302600_NS6detail15normal_iteratorINS9_10device_ptrIyEEEESE_yNS9_4plusIvEEyEEDaPvRmT3_T4_T5_mT6_P12ihipStream_tbENKUlT_T0_E_clISt17integral_constantIbLb0EEST_IbLb1EEEEDaSP_SQ_EUlSP_E0_NS1_11comp_targetILNS1_3genE9ELNS1_11target_archE1100ELNS1_3gpuE3ELNS1_3repE0EEENS1_30default_config_static_selectorELNS0_4arch9wavefront6targetE1EEEvT1_,comdat
.Lfunc_end4500:
	.size	_ZN7rocprim17ROCPRIM_400000_NS6detail17trampoline_kernelINS0_14default_configENS1_20scan_config_selectorIyEEZZNS1_9scan_implILNS1_25lookback_scan_determinismE0ELb0ELb0ES3_N6thrust23THRUST_200600_302600_NS6detail15normal_iteratorINS9_10device_ptrIyEEEESE_yNS9_4plusIvEEyEEDaPvRmT3_T4_T5_mT6_P12ihipStream_tbENKUlT_T0_E_clISt17integral_constantIbLb0EEST_IbLb1EEEEDaSP_SQ_EUlSP_E0_NS1_11comp_targetILNS1_3genE9ELNS1_11target_archE1100ELNS1_3gpuE3ELNS1_3repE0EEENS1_30default_config_static_selectorELNS0_4arch9wavefront6targetE1EEEvT1_, .Lfunc_end4500-_ZN7rocprim17ROCPRIM_400000_NS6detail17trampoline_kernelINS0_14default_configENS1_20scan_config_selectorIyEEZZNS1_9scan_implILNS1_25lookback_scan_determinismE0ELb0ELb0ES3_N6thrust23THRUST_200600_302600_NS6detail15normal_iteratorINS9_10device_ptrIyEEEESE_yNS9_4plusIvEEyEEDaPvRmT3_T4_T5_mT6_P12ihipStream_tbENKUlT_T0_E_clISt17integral_constantIbLb0EEST_IbLb1EEEEDaSP_SQ_EUlSP_E0_NS1_11comp_targetILNS1_3genE9ELNS1_11target_archE1100ELNS1_3gpuE3ELNS1_3repE0EEENS1_30default_config_static_selectorELNS0_4arch9wavefront6targetE1EEEvT1_
                                        ; -- End function
	.section	.AMDGPU.csdata,"",@progbits
; Kernel info:
; codeLenInByte = 0
; NumSgprs: 4
; NumVgprs: 0
; NumAgprs: 0
; TotalNumVgprs: 0
; ScratchSize: 0
; MemoryBound: 0
; FloatMode: 240
; IeeeMode: 1
; LDSByteSize: 0 bytes/workgroup (compile time only)
; SGPRBlocks: 0
; VGPRBlocks: 0
; NumSGPRsForWavesPerEU: 4
; NumVGPRsForWavesPerEU: 1
; AccumOffset: 4
; Occupancy: 8
; WaveLimiterHint : 0
; COMPUTE_PGM_RSRC2:SCRATCH_EN: 0
; COMPUTE_PGM_RSRC2:USER_SGPR: 6
; COMPUTE_PGM_RSRC2:TRAP_HANDLER: 0
; COMPUTE_PGM_RSRC2:TGID_X_EN: 1
; COMPUTE_PGM_RSRC2:TGID_Y_EN: 0
; COMPUTE_PGM_RSRC2:TGID_Z_EN: 0
; COMPUTE_PGM_RSRC2:TIDIG_COMP_CNT: 0
; COMPUTE_PGM_RSRC3_GFX90A:ACCUM_OFFSET: 0
; COMPUTE_PGM_RSRC3_GFX90A:TG_SPLIT: 0
	.section	.text._ZN7rocprim17ROCPRIM_400000_NS6detail17trampoline_kernelINS0_14default_configENS1_20scan_config_selectorIyEEZZNS1_9scan_implILNS1_25lookback_scan_determinismE0ELb0ELb0ES3_N6thrust23THRUST_200600_302600_NS6detail15normal_iteratorINS9_10device_ptrIyEEEESE_yNS9_4plusIvEEyEEDaPvRmT3_T4_T5_mT6_P12ihipStream_tbENKUlT_T0_E_clISt17integral_constantIbLb0EEST_IbLb1EEEEDaSP_SQ_EUlSP_E0_NS1_11comp_targetILNS1_3genE8ELNS1_11target_archE1030ELNS1_3gpuE2ELNS1_3repE0EEENS1_30default_config_static_selectorELNS0_4arch9wavefront6targetE1EEEvT1_,"axG",@progbits,_ZN7rocprim17ROCPRIM_400000_NS6detail17trampoline_kernelINS0_14default_configENS1_20scan_config_selectorIyEEZZNS1_9scan_implILNS1_25lookback_scan_determinismE0ELb0ELb0ES3_N6thrust23THRUST_200600_302600_NS6detail15normal_iteratorINS9_10device_ptrIyEEEESE_yNS9_4plusIvEEyEEDaPvRmT3_T4_T5_mT6_P12ihipStream_tbENKUlT_T0_E_clISt17integral_constantIbLb0EEST_IbLb1EEEEDaSP_SQ_EUlSP_E0_NS1_11comp_targetILNS1_3genE8ELNS1_11target_archE1030ELNS1_3gpuE2ELNS1_3repE0EEENS1_30default_config_static_selectorELNS0_4arch9wavefront6targetE1EEEvT1_,comdat
	.protected	_ZN7rocprim17ROCPRIM_400000_NS6detail17trampoline_kernelINS0_14default_configENS1_20scan_config_selectorIyEEZZNS1_9scan_implILNS1_25lookback_scan_determinismE0ELb0ELb0ES3_N6thrust23THRUST_200600_302600_NS6detail15normal_iteratorINS9_10device_ptrIyEEEESE_yNS9_4plusIvEEyEEDaPvRmT3_T4_T5_mT6_P12ihipStream_tbENKUlT_T0_E_clISt17integral_constantIbLb0EEST_IbLb1EEEEDaSP_SQ_EUlSP_E0_NS1_11comp_targetILNS1_3genE8ELNS1_11target_archE1030ELNS1_3gpuE2ELNS1_3repE0EEENS1_30default_config_static_selectorELNS0_4arch9wavefront6targetE1EEEvT1_ ; -- Begin function _ZN7rocprim17ROCPRIM_400000_NS6detail17trampoline_kernelINS0_14default_configENS1_20scan_config_selectorIyEEZZNS1_9scan_implILNS1_25lookback_scan_determinismE0ELb0ELb0ES3_N6thrust23THRUST_200600_302600_NS6detail15normal_iteratorINS9_10device_ptrIyEEEESE_yNS9_4plusIvEEyEEDaPvRmT3_T4_T5_mT6_P12ihipStream_tbENKUlT_T0_E_clISt17integral_constantIbLb0EEST_IbLb1EEEEDaSP_SQ_EUlSP_E0_NS1_11comp_targetILNS1_3genE8ELNS1_11target_archE1030ELNS1_3gpuE2ELNS1_3repE0EEENS1_30default_config_static_selectorELNS0_4arch9wavefront6targetE1EEEvT1_
	.globl	_ZN7rocprim17ROCPRIM_400000_NS6detail17trampoline_kernelINS0_14default_configENS1_20scan_config_selectorIyEEZZNS1_9scan_implILNS1_25lookback_scan_determinismE0ELb0ELb0ES3_N6thrust23THRUST_200600_302600_NS6detail15normal_iteratorINS9_10device_ptrIyEEEESE_yNS9_4plusIvEEyEEDaPvRmT3_T4_T5_mT6_P12ihipStream_tbENKUlT_T0_E_clISt17integral_constantIbLb0EEST_IbLb1EEEEDaSP_SQ_EUlSP_E0_NS1_11comp_targetILNS1_3genE8ELNS1_11target_archE1030ELNS1_3gpuE2ELNS1_3repE0EEENS1_30default_config_static_selectorELNS0_4arch9wavefront6targetE1EEEvT1_
	.p2align	8
	.type	_ZN7rocprim17ROCPRIM_400000_NS6detail17trampoline_kernelINS0_14default_configENS1_20scan_config_selectorIyEEZZNS1_9scan_implILNS1_25lookback_scan_determinismE0ELb0ELb0ES3_N6thrust23THRUST_200600_302600_NS6detail15normal_iteratorINS9_10device_ptrIyEEEESE_yNS9_4plusIvEEyEEDaPvRmT3_T4_T5_mT6_P12ihipStream_tbENKUlT_T0_E_clISt17integral_constantIbLb0EEST_IbLb1EEEEDaSP_SQ_EUlSP_E0_NS1_11comp_targetILNS1_3genE8ELNS1_11target_archE1030ELNS1_3gpuE2ELNS1_3repE0EEENS1_30default_config_static_selectorELNS0_4arch9wavefront6targetE1EEEvT1_,@function
_ZN7rocprim17ROCPRIM_400000_NS6detail17trampoline_kernelINS0_14default_configENS1_20scan_config_selectorIyEEZZNS1_9scan_implILNS1_25lookback_scan_determinismE0ELb0ELb0ES3_N6thrust23THRUST_200600_302600_NS6detail15normal_iteratorINS9_10device_ptrIyEEEESE_yNS9_4plusIvEEyEEDaPvRmT3_T4_T5_mT6_P12ihipStream_tbENKUlT_T0_E_clISt17integral_constantIbLb0EEST_IbLb1EEEEDaSP_SQ_EUlSP_E0_NS1_11comp_targetILNS1_3genE8ELNS1_11target_archE1030ELNS1_3gpuE2ELNS1_3repE0EEENS1_30default_config_static_selectorELNS0_4arch9wavefront6targetE1EEEvT1_: ; @_ZN7rocprim17ROCPRIM_400000_NS6detail17trampoline_kernelINS0_14default_configENS1_20scan_config_selectorIyEEZZNS1_9scan_implILNS1_25lookback_scan_determinismE0ELb0ELb0ES3_N6thrust23THRUST_200600_302600_NS6detail15normal_iteratorINS9_10device_ptrIyEEEESE_yNS9_4plusIvEEyEEDaPvRmT3_T4_T5_mT6_P12ihipStream_tbENKUlT_T0_E_clISt17integral_constantIbLb0EEST_IbLb1EEEEDaSP_SQ_EUlSP_E0_NS1_11comp_targetILNS1_3genE8ELNS1_11target_archE1030ELNS1_3gpuE2ELNS1_3repE0EEENS1_30default_config_static_selectorELNS0_4arch9wavefront6targetE1EEEvT1_
; %bb.0:
	.section	.rodata,"a",@progbits
	.p2align	6, 0x0
	.amdhsa_kernel _ZN7rocprim17ROCPRIM_400000_NS6detail17trampoline_kernelINS0_14default_configENS1_20scan_config_selectorIyEEZZNS1_9scan_implILNS1_25lookback_scan_determinismE0ELb0ELb0ES3_N6thrust23THRUST_200600_302600_NS6detail15normal_iteratorINS9_10device_ptrIyEEEESE_yNS9_4plusIvEEyEEDaPvRmT3_T4_T5_mT6_P12ihipStream_tbENKUlT_T0_E_clISt17integral_constantIbLb0EEST_IbLb1EEEEDaSP_SQ_EUlSP_E0_NS1_11comp_targetILNS1_3genE8ELNS1_11target_archE1030ELNS1_3gpuE2ELNS1_3repE0EEENS1_30default_config_static_selectorELNS0_4arch9wavefront6targetE1EEEvT1_
		.amdhsa_group_segment_fixed_size 0
		.amdhsa_private_segment_fixed_size 0
		.amdhsa_kernarg_size 40
		.amdhsa_user_sgpr_count 6
		.amdhsa_user_sgpr_private_segment_buffer 1
		.amdhsa_user_sgpr_dispatch_ptr 0
		.amdhsa_user_sgpr_queue_ptr 0
		.amdhsa_user_sgpr_kernarg_segment_ptr 1
		.amdhsa_user_sgpr_dispatch_id 0
		.amdhsa_user_sgpr_flat_scratch_init 0
		.amdhsa_user_sgpr_kernarg_preload_length 0
		.amdhsa_user_sgpr_kernarg_preload_offset 0
		.amdhsa_user_sgpr_private_segment_size 0
		.amdhsa_uses_dynamic_stack 0
		.amdhsa_system_sgpr_private_segment_wavefront_offset 0
		.amdhsa_system_sgpr_workgroup_id_x 1
		.amdhsa_system_sgpr_workgroup_id_y 0
		.amdhsa_system_sgpr_workgroup_id_z 0
		.amdhsa_system_sgpr_workgroup_info 0
		.amdhsa_system_vgpr_workitem_id 0
		.amdhsa_next_free_vgpr 1
		.amdhsa_next_free_sgpr 0
		.amdhsa_accum_offset 4
		.amdhsa_reserve_vcc 0
		.amdhsa_reserve_flat_scratch 0
		.amdhsa_float_round_mode_32 0
		.amdhsa_float_round_mode_16_64 0
		.amdhsa_float_denorm_mode_32 3
		.amdhsa_float_denorm_mode_16_64 3
		.amdhsa_dx10_clamp 1
		.amdhsa_ieee_mode 1
		.amdhsa_fp16_overflow 0
		.amdhsa_tg_split 0
		.amdhsa_exception_fp_ieee_invalid_op 0
		.amdhsa_exception_fp_denorm_src 0
		.amdhsa_exception_fp_ieee_div_zero 0
		.amdhsa_exception_fp_ieee_overflow 0
		.amdhsa_exception_fp_ieee_underflow 0
		.amdhsa_exception_fp_ieee_inexact 0
		.amdhsa_exception_int_div_zero 0
	.end_amdhsa_kernel
	.section	.text._ZN7rocprim17ROCPRIM_400000_NS6detail17trampoline_kernelINS0_14default_configENS1_20scan_config_selectorIyEEZZNS1_9scan_implILNS1_25lookback_scan_determinismE0ELb0ELb0ES3_N6thrust23THRUST_200600_302600_NS6detail15normal_iteratorINS9_10device_ptrIyEEEESE_yNS9_4plusIvEEyEEDaPvRmT3_T4_T5_mT6_P12ihipStream_tbENKUlT_T0_E_clISt17integral_constantIbLb0EEST_IbLb1EEEEDaSP_SQ_EUlSP_E0_NS1_11comp_targetILNS1_3genE8ELNS1_11target_archE1030ELNS1_3gpuE2ELNS1_3repE0EEENS1_30default_config_static_selectorELNS0_4arch9wavefront6targetE1EEEvT1_,"axG",@progbits,_ZN7rocprim17ROCPRIM_400000_NS6detail17trampoline_kernelINS0_14default_configENS1_20scan_config_selectorIyEEZZNS1_9scan_implILNS1_25lookback_scan_determinismE0ELb0ELb0ES3_N6thrust23THRUST_200600_302600_NS6detail15normal_iteratorINS9_10device_ptrIyEEEESE_yNS9_4plusIvEEyEEDaPvRmT3_T4_T5_mT6_P12ihipStream_tbENKUlT_T0_E_clISt17integral_constantIbLb0EEST_IbLb1EEEEDaSP_SQ_EUlSP_E0_NS1_11comp_targetILNS1_3genE8ELNS1_11target_archE1030ELNS1_3gpuE2ELNS1_3repE0EEENS1_30default_config_static_selectorELNS0_4arch9wavefront6targetE1EEEvT1_,comdat
.Lfunc_end4501:
	.size	_ZN7rocprim17ROCPRIM_400000_NS6detail17trampoline_kernelINS0_14default_configENS1_20scan_config_selectorIyEEZZNS1_9scan_implILNS1_25lookback_scan_determinismE0ELb0ELb0ES3_N6thrust23THRUST_200600_302600_NS6detail15normal_iteratorINS9_10device_ptrIyEEEESE_yNS9_4plusIvEEyEEDaPvRmT3_T4_T5_mT6_P12ihipStream_tbENKUlT_T0_E_clISt17integral_constantIbLb0EEST_IbLb1EEEEDaSP_SQ_EUlSP_E0_NS1_11comp_targetILNS1_3genE8ELNS1_11target_archE1030ELNS1_3gpuE2ELNS1_3repE0EEENS1_30default_config_static_selectorELNS0_4arch9wavefront6targetE1EEEvT1_, .Lfunc_end4501-_ZN7rocprim17ROCPRIM_400000_NS6detail17trampoline_kernelINS0_14default_configENS1_20scan_config_selectorIyEEZZNS1_9scan_implILNS1_25lookback_scan_determinismE0ELb0ELb0ES3_N6thrust23THRUST_200600_302600_NS6detail15normal_iteratorINS9_10device_ptrIyEEEESE_yNS9_4plusIvEEyEEDaPvRmT3_T4_T5_mT6_P12ihipStream_tbENKUlT_T0_E_clISt17integral_constantIbLb0EEST_IbLb1EEEEDaSP_SQ_EUlSP_E0_NS1_11comp_targetILNS1_3genE8ELNS1_11target_archE1030ELNS1_3gpuE2ELNS1_3repE0EEENS1_30default_config_static_selectorELNS0_4arch9wavefront6targetE1EEEvT1_
                                        ; -- End function
	.section	.AMDGPU.csdata,"",@progbits
; Kernel info:
; codeLenInByte = 0
; NumSgprs: 4
; NumVgprs: 0
; NumAgprs: 0
; TotalNumVgprs: 0
; ScratchSize: 0
; MemoryBound: 0
; FloatMode: 240
; IeeeMode: 1
; LDSByteSize: 0 bytes/workgroup (compile time only)
; SGPRBlocks: 0
; VGPRBlocks: 0
; NumSGPRsForWavesPerEU: 4
; NumVGPRsForWavesPerEU: 1
; AccumOffset: 4
; Occupancy: 8
; WaveLimiterHint : 0
; COMPUTE_PGM_RSRC2:SCRATCH_EN: 0
; COMPUTE_PGM_RSRC2:USER_SGPR: 6
; COMPUTE_PGM_RSRC2:TRAP_HANDLER: 0
; COMPUTE_PGM_RSRC2:TGID_X_EN: 1
; COMPUTE_PGM_RSRC2:TGID_Y_EN: 0
; COMPUTE_PGM_RSRC2:TGID_Z_EN: 0
; COMPUTE_PGM_RSRC2:TIDIG_COMP_CNT: 0
; COMPUTE_PGM_RSRC3_GFX90A:ACCUM_OFFSET: 0
; COMPUTE_PGM_RSRC3_GFX90A:TG_SPLIT: 0
	.section	.text._ZN7rocprim17ROCPRIM_400000_NS6detail17trampoline_kernelINS0_14default_configENS1_20scan_config_selectorIyEEZZNS1_9scan_implILNS1_25lookback_scan_determinismE0ELb1ELb1ES3_N6thrust23THRUST_200600_302600_NS6detail15normal_iteratorINS9_10device_ptrIyEEEESE_yNS9_4plusIvEEyEEDaPvRmT3_T4_T5_mT6_P12ihipStream_tbENKUlT_T0_E_clISt17integral_constantIbLb0EESU_EEDaSP_SQ_EUlSP_E_NS1_11comp_targetILNS1_3genE0ELNS1_11target_archE4294967295ELNS1_3gpuE0ELNS1_3repE0EEENS1_30default_config_static_selectorELNS0_4arch9wavefront6targetE1EEEvT1_,"axG",@progbits,_ZN7rocprim17ROCPRIM_400000_NS6detail17trampoline_kernelINS0_14default_configENS1_20scan_config_selectorIyEEZZNS1_9scan_implILNS1_25lookback_scan_determinismE0ELb1ELb1ES3_N6thrust23THRUST_200600_302600_NS6detail15normal_iteratorINS9_10device_ptrIyEEEESE_yNS9_4plusIvEEyEEDaPvRmT3_T4_T5_mT6_P12ihipStream_tbENKUlT_T0_E_clISt17integral_constantIbLb0EESU_EEDaSP_SQ_EUlSP_E_NS1_11comp_targetILNS1_3genE0ELNS1_11target_archE4294967295ELNS1_3gpuE0ELNS1_3repE0EEENS1_30default_config_static_selectorELNS0_4arch9wavefront6targetE1EEEvT1_,comdat
	.protected	_ZN7rocprim17ROCPRIM_400000_NS6detail17trampoline_kernelINS0_14default_configENS1_20scan_config_selectorIyEEZZNS1_9scan_implILNS1_25lookback_scan_determinismE0ELb1ELb1ES3_N6thrust23THRUST_200600_302600_NS6detail15normal_iteratorINS9_10device_ptrIyEEEESE_yNS9_4plusIvEEyEEDaPvRmT3_T4_T5_mT6_P12ihipStream_tbENKUlT_T0_E_clISt17integral_constantIbLb0EESU_EEDaSP_SQ_EUlSP_E_NS1_11comp_targetILNS1_3genE0ELNS1_11target_archE4294967295ELNS1_3gpuE0ELNS1_3repE0EEENS1_30default_config_static_selectorELNS0_4arch9wavefront6targetE1EEEvT1_ ; -- Begin function _ZN7rocprim17ROCPRIM_400000_NS6detail17trampoline_kernelINS0_14default_configENS1_20scan_config_selectorIyEEZZNS1_9scan_implILNS1_25lookback_scan_determinismE0ELb1ELb1ES3_N6thrust23THRUST_200600_302600_NS6detail15normal_iteratorINS9_10device_ptrIyEEEESE_yNS9_4plusIvEEyEEDaPvRmT3_T4_T5_mT6_P12ihipStream_tbENKUlT_T0_E_clISt17integral_constantIbLb0EESU_EEDaSP_SQ_EUlSP_E_NS1_11comp_targetILNS1_3genE0ELNS1_11target_archE4294967295ELNS1_3gpuE0ELNS1_3repE0EEENS1_30default_config_static_selectorELNS0_4arch9wavefront6targetE1EEEvT1_
	.globl	_ZN7rocprim17ROCPRIM_400000_NS6detail17trampoline_kernelINS0_14default_configENS1_20scan_config_selectorIyEEZZNS1_9scan_implILNS1_25lookback_scan_determinismE0ELb1ELb1ES3_N6thrust23THRUST_200600_302600_NS6detail15normal_iteratorINS9_10device_ptrIyEEEESE_yNS9_4plusIvEEyEEDaPvRmT3_T4_T5_mT6_P12ihipStream_tbENKUlT_T0_E_clISt17integral_constantIbLb0EESU_EEDaSP_SQ_EUlSP_E_NS1_11comp_targetILNS1_3genE0ELNS1_11target_archE4294967295ELNS1_3gpuE0ELNS1_3repE0EEENS1_30default_config_static_selectorELNS0_4arch9wavefront6targetE1EEEvT1_
	.p2align	8
	.type	_ZN7rocprim17ROCPRIM_400000_NS6detail17trampoline_kernelINS0_14default_configENS1_20scan_config_selectorIyEEZZNS1_9scan_implILNS1_25lookback_scan_determinismE0ELb1ELb1ES3_N6thrust23THRUST_200600_302600_NS6detail15normal_iteratorINS9_10device_ptrIyEEEESE_yNS9_4plusIvEEyEEDaPvRmT3_T4_T5_mT6_P12ihipStream_tbENKUlT_T0_E_clISt17integral_constantIbLb0EESU_EEDaSP_SQ_EUlSP_E_NS1_11comp_targetILNS1_3genE0ELNS1_11target_archE4294967295ELNS1_3gpuE0ELNS1_3repE0EEENS1_30default_config_static_selectorELNS0_4arch9wavefront6targetE1EEEvT1_,@function
_ZN7rocprim17ROCPRIM_400000_NS6detail17trampoline_kernelINS0_14default_configENS1_20scan_config_selectorIyEEZZNS1_9scan_implILNS1_25lookback_scan_determinismE0ELb1ELb1ES3_N6thrust23THRUST_200600_302600_NS6detail15normal_iteratorINS9_10device_ptrIyEEEESE_yNS9_4plusIvEEyEEDaPvRmT3_T4_T5_mT6_P12ihipStream_tbENKUlT_T0_E_clISt17integral_constantIbLb0EESU_EEDaSP_SQ_EUlSP_E_NS1_11comp_targetILNS1_3genE0ELNS1_11target_archE4294967295ELNS1_3gpuE0ELNS1_3repE0EEENS1_30default_config_static_selectorELNS0_4arch9wavefront6targetE1EEEvT1_: ; @_ZN7rocprim17ROCPRIM_400000_NS6detail17trampoline_kernelINS0_14default_configENS1_20scan_config_selectorIyEEZZNS1_9scan_implILNS1_25lookback_scan_determinismE0ELb1ELb1ES3_N6thrust23THRUST_200600_302600_NS6detail15normal_iteratorINS9_10device_ptrIyEEEESE_yNS9_4plusIvEEyEEDaPvRmT3_T4_T5_mT6_P12ihipStream_tbENKUlT_T0_E_clISt17integral_constantIbLb0EESU_EEDaSP_SQ_EUlSP_E_NS1_11comp_targetILNS1_3genE0ELNS1_11target_archE4294967295ELNS1_3gpuE0ELNS1_3repE0EEENS1_30default_config_static_selectorELNS0_4arch9wavefront6targetE1EEEvT1_
; %bb.0:
	.section	.rodata,"a",@progbits
	.p2align	6, 0x0
	.amdhsa_kernel _ZN7rocprim17ROCPRIM_400000_NS6detail17trampoline_kernelINS0_14default_configENS1_20scan_config_selectorIyEEZZNS1_9scan_implILNS1_25lookback_scan_determinismE0ELb1ELb1ES3_N6thrust23THRUST_200600_302600_NS6detail15normal_iteratorINS9_10device_ptrIyEEEESE_yNS9_4plusIvEEyEEDaPvRmT3_T4_T5_mT6_P12ihipStream_tbENKUlT_T0_E_clISt17integral_constantIbLb0EESU_EEDaSP_SQ_EUlSP_E_NS1_11comp_targetILNS1_3genE0ELNS1_11target_archE4294967295ELNS1_3gpuE0ELNS1_3repE0EEENS1_30default_config_static_selectorELNS0_4arch9wavefront6targetE1EEEvT1_
		.amdhsa_group_segment_fixed_size 0
		.amdhsa_private_segment_fixed_size 0
		.amdhsa_kernarg_size 104
		.amdhsa_user_sgpr_count 6
		.amdhsa_user_sgpr_private_segment_buffer 1
		.amdhsa_user_sgpr_dispatch_ptr 0
		.amdhsa_user_sgpr_queue_ptr 0
		.amdhsa_user_sgpr_kernarg_segment_ptr 1
		.amdhsa_user_sgpr_dispatch_id 0
		.amdhsa_user_sgpr_flat_scratch_init 0
		.amdhsa_user_sgpr_kernarg_preload_length 0
		.amdhsa_user_sgpr_kernarg_preload_offset 0
		.amdhsa_user_sgpr_private_segment_size 0
		.amdhsa_uses_dynamic_stack 0
		.amdhsa_system_sgpr_private_segment_wavefront_offset 0
		.amdhsa_system_sgpr_workgroup_id_x 1
		.amdhsa_system_sgpr_workgroup_id_y 0
		.amdhsa_system_sgpr_workgroup_id_z 0
		.amdhsa_system_sgpr_workgroup_info 0
		.amdhsa_system_vgpr_workitem_id 0
		.amdhsa_next_free_vgpr 1
		.amdhsa_next_free_sgpr 0
		.amdhsa_accum_offset 4
		.amdhsa_reserve_vcc 0
		.amdhsa_reserve_flat_scratch 0
		.amdhsa_float_round_mode_32 0
		.amdhsa_float_round_mode_16_64 0
		.amdhsa_float_denorm_mode_32 3
		.amdhsa_float_denorm_mode_16_64 3
		.amdhsa_dx10_clamp 1
		.amdhsa_ieee_mode 1
		.amdhsa_fp16_overflow 0
		.amdhsa_tg_split 0
		.amdhsa_exception_fp_ieee_invalid_op 0
		.amdhsa_exception_fp_denorm_src 0
		.amdhsa_exception_fp_ieee_div_zero 0
		.amdhsa_exception_fp_ieee_overflow 0
		.amdhsa_exception_fp_ieee_underflow 0
		.amdhsa_exception_fp_ieee_inexact 0
		.amdhsa_exception_int_div_zero 0
	.end_amdhsa_kernel
	.section	.text._ZN7rocprim17ROCPRIM_400000_NS6detail17trampoline_kernelINS0_14default_configENS1_20scan_config_selectorIyEEZZNS1_9scan_implILNS1_25lookback_scan_determinismE0ELb1ELb1ES3_N6thrust23THRUST_200600_302600_NS6detail15normal_iteratorINS9_10device_ptrIyEEEESE_yNS9_4plusIvEEyEEDaPvRmT3_T4_T5_mT6_P12ihipStream_tbENKUlT_T0_E_clISt17integral_constantIbLb0EESU_EEDaSP_SQ_EUlSP_E_NS1_11comp_targetILNS1_3genE0ELNS1_11target_archE4294967295ELNS1_3gpuE0ELNS1_3repE0EEENS1_30default_config_static_selectorELNS0_4arch9wavefront6targetE1EEEvT1_,"axG",@progbits,_ZN7rocprim17ROCPRIM_400000_NS6detail17trampoline_kernelINS0_14default_configENS1_20scan_config_selectorIyEEZZNS1_9scan_implILNS1_25lookback_scan_determinismE0ELb1ELb1ES3_N6thrust23THRUST_200600_302600_NS6detail15normal_iteratorINS9_10device_ptrIyEEEESE_yNS9_4plusIvEEyEEDaPvRmT3_T4_T5_mT6_P12ihipStream_tbENKUlT_T0_E_clISt17integral_constantIbLb0EESU_EEDaSP_SQ_EUlSP_E_NS1_11comp_targetILNS1_3genE0ELNS1_11target_archE4294967295ELNS1_3gpuE0ELNS1_3repE0EEENS1_30default_config_static_selectorELNS0_4arch9wavefront6targetE1EEEvT1_,comdat
.Lfunc_end4502:
	.size	_ZN7rocprim17ROCPRIM_400000_NS6detail17trampoline_kernelINS0_14default_configENS1_20scan_config_selectorIyEEZZNS1_9scan_implILNS1_25lookback_scan_determinismE0ELb1ELb1ES3_N6thrust23THRUST_200600_302600_NS6detail15normal_iteratorINS9_10device_ptrIyEEEESE_yNS9_4plusIvEEyEEDaPvRmT3_T4_T5_mT6_P12ihipStream_tbENKUlT_T0_E_clISt17integral_constantIbLb0EESU_EEDaSP_SQ_EUlSP_E_NS1_11comp_targetILNS1_3genE0ELNS1_11target_archE4294967295ELNS1_3gpuE0ELNS1_3repE0EEENS1_30default_config_static_selectorELNS0_4arch9wavefront6targetE1EEEvT1_, .Lfunc_end4502-_ZN7rocprim17ROCPRIM_400000_NS6detail17trampoline_kernelINS0_14default_configENS1_20scan_config_selectorIyEEZZNS1_9scan_implILNS1_25lookback_scan_determinismE0ELb1ELb1ES3_N6thrust23THRUST_200600_302600_NS6detail15normal_iteratorINS9_10device_ptrIyEEEESE_yNS9_4plusIvEEyEEDaPvRmT3_T4_T5_mT6_P12ihipStream_tbENKUlT_T0_E_clISt17integral_constantIbLb0EESU_EEDaSP_SQ_EUlSP_E_NS1_11comp_targetILNS1_3genE0ELNS1_11target_archE4294967295ELNS1_3gpuE0ELNS1_3repE0EEENS1_30default_config_static_selectorELNS0_4arch9wavefront6targetE1EEEvT1_
                                        ; -- End function
	.section	.AMDGPU.csdata,"",@progbits
; Kernel info:
; codeLenInByte = 0
; NumSgprs: 4
; NumVgprs: 0
; NumAgprs: 0
; TotalNumVgprs: 0
; ScratchSize: 0
; MemoryBound: 0
; FloatMode: 240
; IeeeMode: 1
; LDSByteSize: 0 bytes/workgroup (compile time only)
; SGPRBlocks: 0
; VGPRBlocks: 0
; NumSGPRsForWavesPerEU: 4
; NumVGPRsForWavesPerEU: 1
; AccumOffset: 4
; Occupancy: 8
; WaveLimiterHint : 0
; COMPUTE_PGM_RSRC2:SCRATCH_EN: 0
; COMPUTE_PGM_RSRC2:USER_SGPR: 6
; COMPUTE_PGM_RSRC2:TRAP_HANDLER: 0
; COMPUTE_PGM_RSRC2:TGID_X_EN: 1
; COMPUTE_PGM_RSRC2:TGID_Y_EN: 0
; COMPUTE_PGM_RSRC2:TGID_Z_EN: 0
; COMPUTE_PGM_RSRC2:TIDIG_COMP_CNT: 0
; COMPUTE_PGM_RSRC3_GFX90A:ACCUM_OFFSET: 0
; COMPUTE_PGM_RSRC3_GFX90A:TG_SPLIT: 0
	.section	.text._ZN7rocprim17ROCPRIM_400000_NS6detail17trampoline_kernelINS0_14default_configENS1_20scan_config_selectorIyEEZZNS1_9scan_implILNS1_25lookback_scan_determinismE0ELb1ELb1ES3_N6thrust23THRUST_200600_302600_NS6detail15normal_iteratorINS9_10device_ptrIyEEEESE_yNS9_4plusIvEEyEEDaPvRmT3_T4_T5_mT6_P12ihipStream_tbENKUlT_T0_E_clISt17integral_constantIbLb0EESU_EEDaSP_SQ_EUlSP_E_NS1_11comp_targetILNS1_3genE5ELNS1_11target_archE942ELNS1_3gpuE9ELNS1_3repE0EEENS1_30default_config_static_selectorELNS0_4arch9wavefront6targetE1EEEvT1_,"axG",@progbits,_ZN7rocprim17ROCPRIM_400000_NS6detail17trampoline_kernelINS0_14default_configENS1_20scan_config_selectorIyEEZZNS1_9scan_implILNS1_25lookback_scan_determinismE0ELb1ELb1ES3_N6thrust23THRUST_200600_302600_NS6detail15normal_iteratorINS9_10device_ptrIyEEEESE_yNS9_4plusIvEEyEEDaPvRmT3_T4_T5_mT6_P12ihipStream_tbENKUlT_T0_E_clISt17integral_constantIbLb0EESU_EEDaSP_SQ_EUlSP_E_NS1_11comp_targetILNS1_3genE5ELNS1_11target_archE942ELNS1_3gpuE9ELNS1_3repE0EEENS1_30default_config_static_selectorELNS0_4arch9wavefront6targetE1EEEvT1_,comdat
	.protected	_ZN7rocprim17ROCPRIM_400000_NS6detail17trampoline_kernelINS0_14default_configENS1_20scan_config_selectorIyEEZZNS1_9scan_implILNS1_25lookback_scan_determinismE0ELb1ELb1ES3_N6thrust23THRUST_200600_302600_NS6detail15normal_iteratorINS9_10device_ptrIyEEEESE_yNS9_4plusIvEEyEEDaPvRmT3_T4_T5_mT6_P12ihipStream_tbENKUlT_T0_E_clISt17integral_constantIbLb0EESU_EEDaSP_SQ_EUlSP_E_NS1_11comp_targetILNS1_3genE5ELNS1_11target_archE942ELNS1_3gpuE9ELNS1_3repE0EEENS1_30default_config_static_selectorELNS0_4arch9wavefront6targetE1EEEvT1_ ; -- Begin function _ZN7rocprim17ROCPRIM_400000_NS6detail17trampoline_kernelINS0_14default_configENS1_20scan_config_selectorIyEEZZNS1_9scan_implILNS1_25lookback_scan_determinismE0ELb1ELb1ES3_N6thrust23THRUST_200600_302600_NS6detail15normal_iteratorINS9_10device_ptrIyEEEESE_yNS9_4plusIvEEyEEDaPvRmT3_T4_T5_mT6_P12ihipStream_tbENKUlT_T0_E_clISt17integral_constantIbLb0EESU_EEDaSP_SQ_EUlSP_E_NS1_11comp_targetILNS1_3genE5ELNS1_11target_archE942ELNS1_3gpuE9ELNS1_3repE0EEENS1_30default_config_static_selectorELNS0_4arch9wavefront6targetE1EEEvT1_
	.globl	_ZN7rocprim17ROCPRIM_400000_NS6detail17trampoline_kernelINS0_14default_configENS1_20scan_config_selectorIyEEZZNS1_9scan_implILNS1_25lookback_scan_determinismE0ELb1ELb1ES3_N6thrust23THRUST_200600_302600_NS6detail15normal_iteratorINS9_10device_ptrIyEEEESE_yNS9_4plusIvEEyEEDaPvRmT3_T4_T5_mT6_P12ihipStream_tbENKUlT_T0_E_clISt17integral_constantIbLb0EESU_EEDaSP_SQ_EUlSP_E_NS1_11comp_targetILNS1_3genE5ELNS1_11target_archE942ELNS1_3gpuE9ELNS1_3repE0EEENS1_30default_config_static_selectorELNS0_4arch9wavefront6targetE1EEEvT1_
	.p2align	8
	.type	_ZN7rocprim17ROCPRIM_400000_NS6detail17trampoline_kernelINS0_14default_configENS1_20scan_config_selectorIyEEZZNS1_9scan_implILNS1_25lookback_scan_determinismE0ELb1ELb1ES3_N6thrust23THRUST_200600_302600_NS6detail15normal_iteratorINS9_10device_ptrIyEEEESE_yNS9_4plusIvEEyEEDaPvRmT3_T4_T5_mT6_P12ihipStream_tbENKUlT_T0_E_clISt17integral_constantIbLb0EESU_EEDaSP_SQ_EUlSP_E_NS1_11comp_targetILNS1_3genE5ELNS1_11target_archE942ELNS1_3gpuE9ELNS1_3repE0EEENS1_30default_config_static_selectorELNS0_4arch9wavefront6targetE1EEEvT1_,@function
_ZN7rocprim17ROCPRIM_400000_NS6detail17trampoline_kernelINS0_14default_configENS1_20scan_config_selectorIyEEZZNS1_9scan_implILNS1_25lookback_scan_determinismE0ELb1ELb1ES3_N6thrust23THRUST_200600_302600_NS6detail15normal_iteratorINS9_10device_ptrIyEEEESE_yNS9_4plusIvEEyEEDaPvRmT3_T4_T5_mT6_P12ihipStream_tbENKUlT_T0_E_clISt17integral_constantIbLb0EESU_EEDaSP_SQ_EUlSP_E_NS1_11comp_targetILNS1_3genE5ELNS1_11target_archE942ELNS1_3gpuE9ELNS1_3repE0EEENS1_30default_config_static_selectorELNS0_4arch9wavefront6targetE1EEEvT1_: ; @_ZN7rocprim17ROCPRIM_400000_NS6detail17trampoline_kernelINS0_14default_configENS1_20scan_config_selectorIyEEZZNS1_9scan_implILNS1_25lookback_scan_determinismE0ELb1ELb1ES3_N6thrust23THRUST_200600_302600_NS6detail15normal_iteratorINS9_10device_ptrIyEEEESE_yNS9_4plusIvEEyEEDaPvRmT3_T4_T5_mT6_P12ihipStream_tbENKUlT_T0_E_clISt17integral_constantIbLb0EESU_EEDaSP_SQ_EUlSP_E_NS1_11comp_targetILNS1_3genE5ELNS1_11target_archE942ELNS1_3gpuE9ELNS1_3repE0EEENS1_30default_config_static_selectorELNS0_4arch9wavefront6targetE1EEEvT1_
; %bb.0:
	.section	.rodata,"a",@progbits
	.p2align	6, 0x0
	.amdhsa_kernel _ZN7rocprim17ROCPRIM_400000_NS6detail17trampoline_kernelINS0_14default_configENS1_20scan_config_selectorIyEEZZNS1_9scan_implILNS1_25lookback_scan_determinismE0ELb1ELb1ES3_N6thrust23THRUST_200600_302600_NS6detail15normal_iteratorINS9_10device_ptrIyEEEESE_yNS9_4plusIvEEyEEDaPvRmT3_T4_T5_mT6_P12ihipStream_tbENKUlT_T0_E_clISt17integral_constantIbLb0EESU_EEDaSP_SQ_EUlSP_E_NS1_11comp_targetILNS1_3genE5ELNS1_11target_archE942ELNS1_3gpuE9ELNS1_3repE0EEENS1_30default_config_static_selectorELNS0_4arch9wavefront6targetE1EEEvT1_
		.amdhsa_group_segment_fixed_size 0
		.amdhsa_private_segment_fixed_size 0
		.amdhsa_kernarg_size 104
		.amdhsa_user_sgpr_count 6
		.amdhsa_user_sgpr_private_segment_buffer 1
		.amdhsa_user_sgpr_dispatch_ptr 0
		.amdhsa_user_sgpr_queue_ptr 0
		.amdhsa_user_sgpr_kernarg_segment_ptr 1
		.amdhsa_user_sgpr_dispatch_id 0
		.amdhsa_user_sgpr_flat_scratch_init 0
		.amdhsa_user_sgpr_kernarg_preload_length 0
		.amdhsa_user_sgpr_kernarg_preload_offset 0
		.amdhsa_user_sgpr_private_segment_size 0
		.amdhsa_uses_dynamic_stack 0
		.amdhsa_system_sgpr_private_segment_wavefront_offset 0
		.amdhsa_system_sgpr_workgroup_id_x 1
		.amdhsa_system_sgpr_workgroup_id_y 0
		.amdhsa_system_sgpr_workgroup_id_z 0
		.amdhsa_system_sgpr_workgroup_info 0
		.amdhsa_system_vgpr_workitem_id 0
		.amdhsa_next_free_vgpr 1
		.amdhsa_next_free_sgpr 0
		.amdhsa_accum_offset 4
		.amdhsa_reserve_vcc 0
		.amdhsa_reserve_flat_scratch 0
		.amdhsa_float_round_mode_32 0
		.amdhsa_float_round_mode_16_64 0
		.amdhsa_float_denorm_mode_32 3
		.amdhsa_float_denorm_mode_16_64 3
		.amdhsa_dx10_clamp 1
		.amdhsa_ieee_mode 1
		.amdhsa_fp16_overflow 0
		.amdhsa_tg_split 0
		.amdhsa_exception_fp_ieee_invalid_op 0
		.amdhsa_exception_fp_denorm_src 0
		.amdhsa_exception_fp_ieee_div_zero 0
		.amdhsa_exception_fp_ieee_overflow 0
		.amdhsa_exception_fp_ieee_underflow 0
		.amdhsa_exception_fp_ieee_inexact 0
		.amdhsa_exception_int_div_zero 0
	.end_amdhsa_kernel
	.section	.text._ZN7rocprim17ROCPRIM_400000_NS6detail17trampoline_kernelINS0_14default_configENS1_20scan_config_selectorIyEEZZNS1_9scan_implILNS1_25lookback_scan_determinismE0ELb1ELb1ES3_N6thrust23THRUST_200600_302600_NS6detail15normal_iteratorINS9_10device_ptrIyEEEESE_yNS9_4plusIvEEyEEDaPvRmT3_T4_T5_mT6_P12ihipStream_tbENKUlT_T0_E_clISt17integral_constantIbLb0EESU_EEDaSP_SQ_EUlSP_E_NS1_11comp_targetILNS1_3genE5ELNS1_11target_archE942ELNS1_3gpuE9ELNS1_3repE0EEENS1_30default_config_static_selectorELNS0_4arch9wavefront6targetE1EEEvT1_,"axG",@progbits,_ZN7rocprim17ROCPRIM_400000_NS6detail17trampoline_kernelINS0_14default_configENS1_20scan_config_selectorIyEEZZNS1_9scan_implILNS1_25lookback_scan_determinismE0ELb1ELb1ES3_N6thrust23THRUST_200600_302600_NS6detail15normal_iteratorINS9_10device_ptrIyEEEESE_yNS9_4plusIvEEyEEDaPvRmT3_T4_T5_mT6_P12ihipStream_tbENKUlT_T0_E_clISt17integral_constantIbLb0EESU_EEDaSP_SQ_EUlSP_E_NS1_11comp_targetILNS1_3genE5ELNS1_11target_archE942ELNS1_3gpuE9ELNS1_3repE0EEENS1_30default_config_static_selectorELNS0_4arch9wavefront6targetE1EEEvT1_,comdat
.Lfunc_end4503:
	.size	_ZN7rocprim17ROCPRIM_400000_NS6detail17trampoline_kernelINS0_14default_configENS1_20scan_config_selectorIyEEZZNS1_9scan_implILNS1_25lookback_scan_determinismE0ELb1ELb1ES3_N6thrust23THRUST_200600_302600_NS6detail15normal_iteratorINS9_10device_ptrIyEEEESE_yNS9_4plusIvEEyEEDaPvRmT3_T4_T5_mT6_P12ihipStream_tbENKUlT_T0_E_clISt17integral_constantIbLb0EESU_EEDaSP_SQ_EUlSP_E_NS1_11comp_targetILNS1_3genE5ELNS1_11target_archE942ELNS1_3gpuE9ELNS1_3repE0EEENS1_30default_config_static_selectorELNS0_4arch9wavefront6targetE1EEEvT1_, .Lfunc_end4503-_ZN7rocprim17ROCPRIM_400000_NS6detail17trampoline_kernelINS0_14default_configENS1_20scan_config_selectorIyEEZZNS1_9scan_implILNS1_25lookback_scan_determinismE0ELb1ELb1ES3_N6thrust23THRUST_200600_302600_NS6detail15normal_iteratorINS9_10device_ptrIyEEEESE_yNS9_4plusIvEEyEEDaPvRmT3_T4_T5_mT6_P12ihipStream_tbENKUlT_T0_E_clISt17integral_constantIbLb0EESU_EEDaSP_SQ_EUlSP_E_NS1_11comp_targetILNS1_3genE5ELNS1_11target_archE942ELNS1_3gpuE9ELNS1_3repE0EEENS1_30default_config_static_selectorELNS0_4arch9wavefront6targetE1EEEvT1_
                                        ; -- End function
	.section	.AMDGPU.csdata,"",@progbits
; Kernel info:
; codeLenInByte = 0
; NumSgprs: 4
; NumVgprs: 0
; NumAgprs: 0
; TotalNumVgprs: 0
; ScratchSize: 0
; MemoryBound: 0
; FloatMode: 240
; IeeeMode: 1
; LDSByteSize: 0 bytes/workgroup (compile time only)
; SGPRBlocks: 0
; VGPRBlocks: 0
; NumSGPRsForWavesPerEU: 4
; NumVGPRsForWavesPerEU: 1
; AccumOffset: 4
; Occupancy: 8
; WaveLimiterHint : 0
; COMPUTE_PGM_RSRC2:SCRATCH_EN: 0
; COMPUTE_PGM_RSRC2:USER_SGPR: 6
; COMPUTE_PGM_RSRC2:TRAP_HANDLER: 0
; COMPUTE_PGM_RSRC2:TGID_X_EN: 1
; COMPUTE_PGM_RSRC2:TGID_Y_EN: 0
; COMPUTE_PGM_RSRC2:TGID_Z_EN: 0
; COMPUTE_PGM_RSRC2:TIDIG_COMP_CNT: 0
; COMPUTE_PGM_RSRC3_GFX90A:ACCUM_OFFSET: 0
; COMPUTE_PGM_RSRC3_GFX90A:TG_SPLIT: 0
	.section	.text._ZN7rocprim17ROCPRIM_400000_NS6detail17trampoline_kernelINS0_14default_configENS1_20scan_config_selectorIyEEZZNS1_9scan_implILNS1_25lookback_scan_determinismE0ELb1ELb1ES3_N6thrust23THRUST_200600_302600_NS6detail15normal_iteratorINS9_10device_ptrIyEEEESE_yNS9_4plusIvEEyEEDaPvRmT3_T4_T5_mT6_P12ihipStream_tbENKUlT_T0_E_clISt17integral_constantIbLb0EESU_EEDaSP_SQ_EUlSP_E_NS1_11comp_targetILNS1_3genE4ELNS1_11target_archE910ELNS1_3gpuE8ELNS1_3repE0EEENS1_30default_config_static_selectorELNS0_4arch9wavefront6targetE1EEEvT1_,"axG",@progbits,_ZN7rocprim17ROCPRIM_400000_NS6detail17trampoline_kernelINS0_14default_configENS1_20scan_config_selectorIyEEZZNS1_9scan_implILNS1_25lookback_scan_determinismE0ELb1ELb1ES3_N6thrust23THRUST_200600_302600_NS6detail15normal_iteratorINS9_10device_ptrIyEEEESE_yNS9_4plusIvEEyEEDaPvRmT3_T4_T5_mT6_P12ihipStream_tbENKUlT_T0_E_clISt17integral_constantIbLb0EESU_EEDaSP_SQ_EUlSP_E_NS1_11comp_targetILNS1_3genE4ELNS1_11target_archE910ELNS1_3gpuE8ELNS1_3repE0EEENS1_30default_config_static_selectorELNS0_4arch9wavefront6targetE1EEEvT1_,comdat
	.protected	_ZN7rocprim17ROCPRIM_400000_NS6detail17trampoline_kernelINS0_14default_configENS1_20scan_config_selectorIyEEZZNS1_9scan_implILNS1_25lookback_scan_determinismE0ELb1ELb1ES3_N6thrust23THRUST_200600_302600_NS6detail15normal_iteratorINS9_10device_ptrIyEEEESE_yNS9_4plusIvEEyEEDaPvRmT3_T4_T5_mT6_P12ihipStream_tbENKUlT_T0_E_clISt17integral_constantIbLb0EESU_EEDaSP_SQ_EUlSP_E_NS1_11comp_targetILNS1_3genE4ELNS1_11target_archE910ELNS1_3gpuE8ELNS1_3repE0EEENS1_30default_config_static_selectorELNS0_4arch9wavefront6targetE1EEEvT1_ ; -- Begin function _ZN7rocprim17ROCPRIM_400000_NS6detail17trampoline_kernelINS0_14default_configENS1_20scan_config_selectorIyEEZZNS1_9scan_implILNS1_25lookback_scan_determinismE0ELb1ELb1ES3_N6thrust23THRUST_200600_302600_NS6detail15normal_iteratorINS9_10device_ptrIyEEEESE_yNS9_4plusIvEEyEEDaPvRmT3_T4_T5_mT6_P12ihipStream_tbENKUlT_T0_E_clISt17integral_constantIbLb0EESU_EEDaSP_SQ_EUlSP_E_NS1_11comp_targetILNS1_3genE4ELNS1_11target_archE910ELNS1_3gpuE8ELNS1_3repE0EEENS1_30default_config_static_selectorELNS0_4arch9wavefront6targetE1EEEvT1_
	.globl	_ZN7rocprim17ROCPRIM_400000_NS6detail17trampoline_kernelINS0_14default_configENS1_20scan_config_selectorIyEEZZNS1_9scan_implILNS1_25lookback_scan_determinismE0ELb1ELb1ES3_N6thrust23THRUST_200600_302600_NS6detail15normal_iteratorINS9_10device_ptrIyEEEESE_yNS9_4plusIvEEyEEDaPvRmT3_T4_T5_mT6_P12ihipStream_tbENKUlT_T0_E_clISt17integral_constantIbLb0EESU_EEDaSP_SQ_EUlSP_E_NS1_11comp_targetILNS1_3genE4ELNS1_11target_archE910ELNS1_3gpuE8ELNS1_3repE0EEENS1_30default_config_static_selectorELNS0_4arch9wavefront6targetE1EEEvT1_
	.p2align	8
	.type	_ZN7rocprim17ROCPRIM_400000_NS6detail17trampoline_kernelINS0_14default_configENS1_20scan_config_selectorIyEEZZNS1_9scan_implILNS1_25lookback_scan_determinismE0ELb1ELb1ES3_N6thrust23THRUST_200600_302600_NS6detail15normal_iteratorINS9_10device_ptrIyEEEESE_yNS9_4plusIvEEyEEDaPvRmT3_T4_T5_mT6_P12ihipStream_tbENKUlT_T0_E_clISt17integral_constantIbLb0EESU_EEDaSP_SQ_EUlSP_E_NS1_11comp_targetILNS1_3genE4ELNS1_11target_archE910ELNS1_3gpuE8ELNS1_3repE0EEENS1_30default_config_static_selectorELNS0_4arch9wavefront6targetE1EEEvT1_,@function
_ZN7rocprim17ROCPRIM_400000_NS6detail17trampoline_kernelINS0_14default_configENS1_20scan_config_selectorIyEEZZNS1_9scan_implILNS1_25lookback_scan_determinismE0ELb1ELb1ES3_N6thrust23THRUST_200600_302600_NS6detail15normal_iteratorINS9_10device_ptrIyEEEESE_yNS9_4plusIvEEyEEDaPvRmT3_T4_T5_mT6_P12ihipStream_tbENKUlT_T0_E_clISt17integral_constantIbLb0EESU_EEDaSP_SQ_EUlSP_E_NS1_11comp_targetILNS1_3genE4ELNS1_11target_archE910ELNS1_3gpuE8ELNS1_3repE0EEENS1_30default_config_static_selectorELNS0_4arch9wavefront6targetE1EEEvT1_: ; @_ZN7rocprim17ROCPRIM_400000_NS6detail17trampoline_kernelINS0_14default_configENS1_20scan_config_selectorIyEEZZNS1_9scan_implILNS1_25lookback_scan_determinismE0ELb1ELb1ES3_N6thrust23THRUST_200600_302600_NS6detail15normal_iteratorINS9_10device_ptrIyEEEESE_yNS9_4plusIvEEyEEDaPvRmT3_T4_T5_mT6_P12ihipStream_tbENKUlT_T0_E_clISt17integral_constantIbLb0EESU_EEDaSP_SQ_EUlSP_E_NS1_11comp_targetILNS1_3genE4ELNS1_11target_archE910ELNS1_3gpuE8ELNS1_3repE0EEENS1_30default_config_static_selectorELNS0_4arch9wavefront6targetE1EEEvT1_
; %bb.0:
	s_load_dwordx8 s[8:15], s[4:5], 0x0
	s_load_dword s1, s[4:5], 0x38
	s_mul_i32 s0, s6, 0x380
	v_lshlrev_b32_e32 v36, 3, v0
	s_waitcnt lgkmcnt(0)
	s_lshl_b64 s[16:17], s[10:11], 3
	s_add_u32 s28, s8, s16
	s_addc_u32 s29, s9, s17
	s_add_i32 s2, s1, -1
	s_mul_i32 s3, s2, 0x380
	s_sub_u32 s26, s14, s3
	s_subb_u32 s27, s15, 0
	s_mov_b32 s1, 0
	s_cmp_lg_u32 s6, s2
	s_cselect_b64 s[14:15], -1, 0
	s_lshl_b64 s[18:19], s[0:1], 3
	s_add_u32 s2, s28, s18
	s_addc_u32 s3, s29, s19
	s_mov_b64 s[0:1], -1
	s_and_b64 vcc, exec, s[14:15]
	s_cbranch_vccz .LBB4504_2
; %bb.1:
	v_mov_b32_e32 v1, s3
	v_add_co_u32_e32 v2, vcc, s2, v36
	v_addc_co_u32_e32 v3, vcc, 0, v1, vcc
	flat_load_dwordx2 v[4:5], v[2:3]
	flat_load_dwordx2 v[6:7], v[2:3] offset:1024
	flat_load_dwordx2 v[8:9], v[2:3] offset:2048
	;; [unrolled: 1-line block ×3, first 2 shown]
	v_add_co_u32_e32 v2, vcc, 0x1000, v2
	v_addc_co_u32_e32 v3, vcc, 0, v3, vcc
	flat_load_dwordx2 v[12:13], v[2:3]
	flat_load_dwordx2 v[14:15], v[2:3] offset:1024
	flat_load_dwordx2 v[16:17], v[2:3] offset:2048
	s_mov_b64 s[0:1], 0
	s_waitcnt vmcnt(0) lgkmcnt(0)
	ds_write2st64_b64 v36, v[4:5], v[6:7] offset1:2
	ds_write2st64_b64 v36, v[8:9], v[10:11] offset0:4 offset1:6
	ds_write2st64_b64 v36, v[12:13], v[14:15] offset0:8 offset1:10
	ds_write_b64 v36, v[16:17] offset:6144
	s_waitcnt lgkmcnt(0)
	s_barrier
.LBB4504_2:
	s_load_dwordx2 s[22:23], s[4:5], 0x20
	s_load_dwordx2 s[20:21], s[4:5], 0x30
	s_andn2_b64 vcc, exec, s[0:1]
	v_cmp_gt_u32_e64 s[0:1], s26, v0
	s_cbranch_vccnz .LBB4504_18
; %bb.3:
	v_pk_mov_b32 v[2:3], s[2:3], s[2:3] op_sel:[0,1]
	flat_load_dwordx2 v[2:3], v[2:3]
	s_waitcnt vmcnt(0) lgkmcnt(0)
	v_mov_b32_e32 v4, v2
	v_mov_b32_e32 v5, v3
	v_mov_b32_e32 v6, v2
	v_mov_b32_e32 v7, v3
	v_mov_b32_e32 v8, v2
	v_mov_b32_e32 v9, v3
	v_mov_b32_e32 v10, v2
	v_mov_b32_e32 v11, v3
	v_mov_b32_e32 v12, v2
	v_mov_b32_e32 v13, v3
	v_pk_mov_b32 v[18:19], v[14:15], v[14:15] op_sel:[0,1]
	v_pk_mov_b32 v[16:17], v[12:13], v[12:13] op_sel:[0,1]
	;; [unrolled: 1-line block ×8, first 2 shown]
	s_and_saveexec_b64 s[8:9], s[0:1]
	s_cbranch_execz .LBB4504_5
; %bb.4:
	v_mov_b32_e32 v1, s3
	v_add_co_u32_e32 v4, vcc, s2, v36
	v_addc_co_u32_e32 v5, vcc, 0, v1, vcc
	flat_load_dwordx2 v[20:21], v[4:5]
	v_mov_b32_e32 v4, v2
	v_mov_b32_e32 v5, v3
	;; [unrolled: 1-line block ×10, first 2 shown]
	v_pk_mov_b32 v[18:19], v[14:15], v[14:15] op_sel:[0,1]
	v_pk_mov_b32 v[16:17], v[12:13], v[12:13] op_sel:[0,1]
	;; [unrolled: 1-line block ×8, first 2 shown]
	s_waitcnt vmcnt(0) lgkmcnt(0)
	v_pk_mov_b32 v[2:3], v[20:21], v[20:21] op_sel:[0,1]
.LBB4504_5:
	s_or_b64 exec, exec, s[8:9]
	v_or_b32_e32 v1, 0x80, v0
	v_cmp_gt_u32_e32 vcc, s26, v1
	s_and_saveexec_b64 s[0:1], vcc
	s_cbranch_execz .LBB4504_7
; %bb.6:
	v_mov_b32_e32 v1, s3
	v_add_co_u32_e32 v4, vcc, s2, v36
	v_addc_co_u32_e32 v5, vcc, 0, v1, vcc
	flat_load_dwordx2 v[6:7], v[4:5] offset:1024
.LBB4504_7:
	s_or_b64 exec, exec, s[0:1]
	v_or_b32_e32 v1, 0x100, v0
	v_cmp_gt_u32_e32 vcc, s26, v1
	s_and_saveexec_b64 s[0:1], vcc
	s_cbranch_execz .LBB4504_9
; %bb.8:
	v_mov_b32_e32 v1, s3
	v_add_co_u32_e32 v4, vcc, s2, v36
	v_addc_co_u32_e32 v5, vcc, 0, v1, vcc
	flat_load_dwordx2 v[8:9], v[4:5] offset:2048
.LBB4504_9:
	;; [unrolled: 11-line block ×3, first 2 shown]
	s_or_b64 exec, exec, s[0:1]
	v_or_b32_e32 v1, 0x200, v0
	v_cmp_gt_u32_e32 vcc, s26, v1
	s_and_saveexec_b64 s[0:1], vcc
	s_cbranch_execz .LBB4504_13
; %bb.12:
	v_lshlrev_b32_e32 v1, 3, v1
	v_mov_b32_e32 v5, s3
	v_add_co_u32_e32 v4, vcc, s2, v1
	v_addc_co_u32_e32 v5, vcc, 0, v5, vcc
	flat_load_dwordx2 v[12:13], v[4:5]
.LBB4504_13:
	s_or_b64 exec, exec, s[0:1]
	v_or_b32_e32 v1, 0x280, v0
	v_cmp_gt_u32_e32 vcc, s26, v1
	s_and_saveexec_b64 s[0:1], vcc
	s_cbranch_execz .LBB4504_15
; %bb.14:
	v_lshlrev_b32_e32 v1, 3, v1
	v_mov_b32_e32 v5, s3
	v_add_co_u32_e32 v4, vcc, s2, v1
	v_addc_co_u32_e32 v5, vcc, 0, v5, vcc
	flat_load_dwordx2 v[14:15], v[4:5]
.LBB4504_15:
	;; [unrolled: 12-line block ×3, first 2 shown]
	s_or_b64 exec, exec, s[0:1]
	s_waitcnt vmcnt(0) lgkmcnt(0)
	ds_write2st64_b64 v36, v[2:3], v[6:7] offset1:2
	ds_write2st64_b64 v36, v[8:9], v[10:11] offset0:4 offset1:6
	ds_write2st64_b64 v36, v[12:13], v[14:15] offset0:8 offset1:10
	ds_write_b64 v36, v[16:17] offset:6144
	s_waitcnt lgkmcnt(0)
	s_barrier
.LBB4504_18:
	v_mul_u32_u24_e32 v37, 7, v0
	v_lshlrev_b32_e32 v1, 3, v37
	s_waitcnt lgkmcnt(0)
	ds_read2_b64 v[10:13], v1 offset1:1
	ds_read2_b64 v[6:9], v1 offset0:2 offset1:3
	ds_read2_b64 v[2:5], v1 offset0:4 offset1:5
	ds_read_b64 v[26:27], v1 offset:48
	s_cmp_lg_u32 s6, 0
	v_lshrrev_b32_e32 v38, 5, v0
	v_cmp_gt_u32_e32 vcc, 64, v0
	s_waitcnt lgkmcnt(0)
	s_barrier
	s_cbranch_scc0 .LBB4504_45
; %bb.19:
	v_add_co_u32_e64 v1, s[0:1], v12, v10
	v_addc_co_u32_e64 v14, s[0:1], v13, v11, s[0:1]
	v_add_co_u32_e64 v1, s[0:1], v1, v6
	v_addc_co_u32_e64 v14, s[0:1], v14, v7, s[0:1]
	;; [unrolled: 2-line block ×6, first 2 shown]
	v_add_lshl_u32 v1, v38, v0, 3
	ds_write_b64 v1, v[18:19]
	s_waitcnt lgkmcnt(0)
	s_barrier
	s_and_saveexec_b64 s[8:9], vcc
	s_cbranch_execz .LBB4504_23
; %bb.20:
	v_lshlrev_b32_e32 v1, 1, v0
	v_lshrrev_b32_e32 v14, 4, v0
	v_add_lshl_u32 v20, v14, v1, 3
	ds_read2_b64 v[14:17], v20 offset1:1
	v_mbcnt_lo_u32_b32 v1, -1, 0
	s_waitcnt lgkmcnt(0)
	v_add_co_u32_e64 v21, s[0:1], v16, v14
	v_addc_co_u32_e64 v22, s[0:1], v17, v15, s[0:1]
	s_nop 0
	v_mov_b32_dpp v16, v21 row_shr:1 row_mask:0xf bank_mask:0xf
	v_add_co_u32_e64 v16, s[0:1], v21, v16
	v_addc_co_u32_e64 v24, s[0:1], 0, v22, s[0:1]
	v_mbcnt_hi_u32_b32 v17, -1, v1
	v_mov_b32_dpp v23, v22 row_shr:1 row_mask:0xf bank_mask:0xf
	v_add_co_u32_e64 v25, s[0:1], 0, v16
	v_and_b32_e32 v1, 15, v17
	v_addc_co_u32_e64 v23, s[0:1], v23, v24, s[0:1]
	v_cmp_eq_u32_e64 s[0:1], 0, v1
	v_cndmask_b32_e64 v16, v16, v21, s[0:1]
	v_cndmask_b32_e64 v23, v23, v22, s[0:1]
	v_cndmask_b32_e64 v24, v25, v21, s[0:1]
	v_mov_b32_dpp v25, v16 row_shr:2 row_mask:0xf bank_mask:0xf
	v_mov_b32_dpp v28, v23 row_shr:2 row_mask:0xf bank_mask:0xf
	v_add_co_u32_e64 v25, s[0:1], v25, v24
	v_addc_co_u32_e64 v28, s[0:1], v28, v23, s[0:1]
	v_cmp_lt_u32_e64 s[0:1], 1, v1
	v_cndmask_b32_e64 v16, v16, v25, s[0:1]
	v_cndmask_b32_e64 v23, v23, v28, s[0:1]
	v_cndmask_b32_e64 v24, v24, v25, s[0:1]
	v_mov_b32_dpp v25, v16 row_shr:4 row_mask:0xf bank_mask:0xf
	v_mov_b32_dpp v28, v23 row_shr:4 row_mask:0xf bank_mask:0xf
	v_add_co_u32_e64 v25, s[0:1], v25, v24
	v_addc_co_u32_e64 v28, s[0:1], v28, v23, s[0:1]
	v_cmp_lt_u32_e64 s[0:1], 3, v1
	;; [unrolled: 8-line block ×3, first 2 shown]
	v_cndmask_b32_e64 v29, v16, v25, s[0:1]
	v_cndmask_b32_e64 v1, v23, v28, s[0:1]
	;; [unrolled: 1-line block ×3, first 2 shown]
	v_mov_b32_dpp v23, v29 row_bcast:15 row_mask:0xf bank_mask:0xf
	v_mov_b32_dpp v24, v1 row_bcast:15 row_mask:0xf bank_mask:0xf
	v_add_co_u32_e64 v23, s[0:1], v23, v16
	v_and_b32_e32 v28, 16, v17
	v_addc_co_u32_e64 v25, s[0:1], v24, v1, s[0:1]
	v_cmp_eq_u32_e64 s[0:1], 0, v28
	v_cndmask_b32_e64 v28, v25, v1, s[0:1]
	v_cndmask_b32_e64 v24, v23, v29, s[0:1]
	v_cmp_ne_u32_e64 s[2:3], 0, v17
	v_mov_b32_dpp v28, v28 row_bcast:31 row_mask:0xf bank_mask:0xf
	v_mov_b32_dpp v24, v24 row_bcast:31 row_mask:0xf bank_mask:0xf
	s_and_saveexec_b64 s[10:11], s[2:3]
; %bb.21:
	v_cndmask_b32_e64 v1, v25, v1, s[0:1]
	v_cndmask_b32_e64 v16, v23, v16, s[0:1]
	v_cmp_lt_u32_e64 s[0:1], 31, v17
	v_cndmask_b32_e64 v21, 0, v24, s[0:1]
	v_cndmask_b32_e64 v22, 0, v28, s[0:1]
	v_add_co_u32_e64 v21, s[0:1], v21, v16
	v_addc_co_u32_e64 v22, s[0:1], v22, v1, s[0:1]
; %bb.22:
	s_or_b64 exec, exec, s[10:11]
	v_add_u32_e32 v1, -1, v17
	v_and_b32_e32 v16, 64, v17
	v_cmp_lt_i32_e64 s[0:1], v1, v16
	v_cndmask_b32_e64 v1, v1, v17, s[0:1]
	v_lshlrev_b32_e32 v1, 2, v1
	ds_bpermute_b32 v16, v1, v21
	ds_bpermute_b32 v1, v1, v22
	; wave barrier
	s_waitcnt lgkmcnt(1)
	v_add_co_u32_e64 v14, s[0:1], v14, v16
	v_addc_co_u32_e64 v15, s[0:1], 0, v15, s[0:1]
	v_add_co_u32_e64 v14, s[0:1], 0, v14
	s_waitcnt lgkmcnt(0)
	v_addc_co_u32_e64 v1, s[0:1], v15, v1, s[0:1]
	v_cmp_eq_u32_e64 s[0:1], 0, v0
	v_cndmask_b32_e64 v15, v1, v19, s[0:1]
	v_cndmask_b32_e64 v14, v14, v18, s[0:1]
	ds_write_b64 v20, v[14:15]
	; wave barrier
	ds_read_b64 v[16:17], v20 offset:8
	s_waitcnt lgkmcnt(0)
	v_add_co_u32_e64 v14, s[0:1], v16, v14
	v_addc_co_u32_e64 v15, s[0:1], v17, v15, s[0:1]
	ds_write_b64 v20, v[14:15] offset:8
.LBB4504_23:
	s_or_b64 exec, exec, s[8:9]
	v_cmp_eq_u32_e64 s[0:1], 0, v0
	v_cmp_ne_u32_e64 s[2:3], 0, v0
	v_pk_mov_b32 v[22:23], 0, 0
	s_waitcnt lgkmcnt(0)
	s_barrier
	s_and_saveexec_b64 s[8:9], s[2:3]
	s_cbranch_execz .LBB4504_25
; %bb.24:
	v_add_u32_e32 v1, -1, v0
	v_lshrrev_b32_e32 v14, 5, v1
	v_add_lshl_u32 v1, v14, v1, 3
	ds_read_b64 v[22:23], v1
.LBB4504_25:
	s_or_b64 exec, exec, s[8:9]
	s_and_saveexec_b64 s[24:25], vcc
	s_cbranch_execz .LBB4504_44
; %bb.26:
	v_mov_b32_e32 v17, 0
	ds_read_b64 v[14:15], v17 offset:1040
	v_mbcnt_lo_u32_b32 v1, -1, 0
	v_mbcnt_hi_u32_b32 v30, -1, v1
	s_mov_b32 s11, 0
	v_cmp_eq_u32_e64 s[2:3], 0, v30
	s_and_saveexec_b64 s[8:9], s[2:3]
	s_cbranch_execz .LBB4504_28
; %bb.27:
	s_add_i32 s10, s6, 64
	s_lshl_b64 s[10:11], s[10:11], 4
	s_add_u32 s10, s20, s10
	s_addc_u32 s11, s21, s11
	v_mov_b32_e32 v16, 1
	v_pk_mov_b32 v[18:19], s[10:11], s[10:11] op_sel:[0,1]
	s_waitcnt lgkmcnt(0)
	;;#ASMSTART
	global_store_dwordx4 v[18:19], v[14:17] off	
s_waitcnt vmcnt(0)
	;;#ASMEND
.LBB4504_28:
	s_or_b64 exec, exec, s[8:9]
	v_xad_u32 v24, v30, -1, s6
	v_add_u32_e32 v16, 64, v24
	v_lshlrev_b64 v[18:19], 4, v[16:17]
	v_mov_b32_e32 v1, s21
	v_add_co_u32_e32 v28, vcc, s20, v18
	v_addc_co_u32_e32 v29, vcc, v1, v19, vcc
	;;#ASMSTART
	global_load_dwordx4 v[18:21], v[28:29] off glc	
s_waitcnt vmcnt(0)
	;;#ASMEND
	v_and_b32_e32 v1, 0xff, v19
	v_and_b32_e32 v16, 0xff00, v19
	v_or3_b32 v1, 0, v1, v16
	v_or3_b32 v16, v18, 0, 0
	v_and_b32_e32 v18, 0xff000000, v19
	v_and_b32_e32 v19, 0xff0000, v19
	v_or3_b32 v19, v1, v19, v18
	v_or3_b32 v18, v16, 0, 0
	v_cmp_eq_u16_sdwa s[10:11], v20, v17 src0_sel:BYTE_0 src1_sel:DWORD
	s_and_saveexec_b64 s[8:9], s[10:11]
	s_cbranch_execz .LBB4504_32
; %bb.29:
	s_mov_b64 s[10:11], 0
	v_mov_b32_e32 v1, 0
.LBB4504_30:                            ; =>This Inner Loop Header: Depth=1
	;;#ASMSTART
	global_load_dwordx4 v[18:21], v[28:29] off glc	
s_waitcnt vmcnt(0)
	;;#ASMEND
	v_cmp_ne_u16_sdwa s[30:31], v20, v1 src0_sel:BYTE_0 src1_sel:DWORD
	s_or_b64 s[10:11], s[30:31], s[10:11]
	s_andn2_b64 exec, exec, s[10:11]
	s_cbranch_execnz .LBB4504_30
; %bb.31:
	s_or_b64 exec, exec, s[10:11]
.LBB4504_32:
	s_or_b64 exec, exec, s[8:9]
	v_and_b32_e32 v32, 63, v30
	v_cmp_ne_u32_e32 vcc, 63, v32
	v_addc_co_u32_e32 v28, vcc, 0, v30, vcc
	v_lshlrev_b32_e32 v33, 2, v28
	ds_bpermute_b32 v28, v33, v18
	v_mov_b32_e32 v1, 2
	v_cmp_eq_u16_sdwa s[8:9], v20, v1 src0_sel:BYTE_0 src1_sel:DWORD
	v_lshlrev_b64 v[16:17], v30, -1
	ds_bpermute_b32 v29, v33, v19
	v_and_b32_e32 v21, s9, v17
	v_or_b32_e32 v21, 0x80000000, v21
	s_waitcnt lgkmcnt(1)
	v_add_co_u32_e32 v28, vcc, v18, v28
	v_and_b32_e32 v25, s8, v16
	v_ffbl_b32_e32 v21, v21
	v_addc_co_u32_e32 v31, vcc, 0, v19, vcc
	v_add_u32_e32 v21, 32, v21
	v_ffbl_b32_e32 v25, v25
	v_add_co_u32_e32 v35, vcc, 0, v28
	v_cmp_gt_u32_e64 s[8:9], 62, v32
	v_min_u32_e32 v21, v25, v21
	s_waitcnt lgkmcnt(0)
	v_addc_co_u32_e32 v29, vcc, v29, v31, vcc
	v_cndmask_b32_e64 v31, 0, 1, s[8:9]
	v_cmp_lt_u32_e32 vcc, v32, v21
	v_lshlrev_b32_e32 v31, 1, v31
	v_cndmask_b32_e32 v28, v18, v28, vcc
	v_add_lshl_u32 v34, v31, v30, 2
	v_cndmask_b32_e32 v29, v19, v29, vcc
	ds_bpermute_b32 v31, v34, v28
	ds_bpermute_b32 v39, v34, v29
	v_cndmask_b32_e32 v40, v18, v35, vcc
	v_add_u32_e32 v35, 2, v32
	v_cmp_gt_u32_e64 s[10:11], 60, v32
	s_waitcnt lgkmcnt(1)
	v_add_co_u32_e64 v31, s[8:9], v31, v40
	s_waitcnt lgkmcnt(0)
	v_addc_co_u32_e64 v39, s[8:9], v39, v29, s[8:9]
	v_cmp_gt_u32_e64 s[8:9], v35, v21
	v_cndmask_b32_e64 v29, v39, v29, s[8:9]
	v_cndmask_b32_e64 v39, 0, 1, s[10:11]
	v_lshlrev_b32_e32 v39, 2, v39
	v_cndmask_b32_e64 v28, v31, v28, s[8:9]
	v_add_lshl_u32 v39, v39, v30, 2
	ds_bpermute_b32 v41, v39, v28
	ds_bpermute_b32 v42, v39, v29
	v_cndmask_b32_e64 v31, v31, v40, s[8:9]
	v_add_u32_e32 v40, 4, v32
	v_cmp_gt_u32_e64 s[10:11], 56, v32
	s_waitcnt lgkmcnt(1)
	v_add_co_u32_e64 v43, s[8:9], v41, v31
	s_waitcnt lgkmcnt(0)
	v_addc_co_u32_e64 v41, s[8:9], v42, v29, s[8:9]
	v_cmp_gt_u32_e64 s[8:9], v40, v21
	v_cndmask_b32_e64 v29, v41, v29, s[8:9]
	v_cndmask_b32_e64 v41, 0, 1, s[10:11]
	v_lshlrev_b32_e32 v41, 3, v41
	v_cndmask_b32_e64 v28, v43, v28, s[8:9]
	v_add_lshl_u32 v41, v41, v30, 2
	ds_bpermute_b32 v44, v41, v28
	v_cndmask_b32_e64 v31, v43, v31, s[8:9]
	ds_bpermute_b32 v43, v41, v29
	v_add_u32_e32 v42, 8, v32
	v_cmp_gt_u32_e64 s[10:11], 48, v32
	s_waitcnt lgkmcnt(1)
	v_add_co_u32_e64 v44, s[8:9], v44, v31
	s_waitcnt lgkmcnt(0)
	v_addc_co_u32_e64 v43, s[8:9], v43, v29, s[8:9]
	v_cmp_gt_u32_e64 s[8:9], v42, v21
	v_cndmask_b32_e64 v29, v43, v29, s[8:9]
	v_cndmask_b32_e64 v43, 0, 1, s[10:11]
	v_lshlrev_b32_e32 v43, 4, v43
	v_cndmask_b32_e64 v28, v44, v28, s[8:9]
	v_add_lshl_u32 v43, v43, v30, 2
	ds_bpermute_b32 v45, v43, v28
	ds_bpermute_b32 v46, v43, v29
	v_cndmask_b32_e64 v31, v44, v31, s[8:9]
	v_cmp_gt_u32_e64 s[10:11], 32, v32
	v_add_u32_e32 v44, 16, v32
	s_waitcnt lgkmcnt(1)
	v_add_co_u32_e64 v47, s[8:9], v45, v31
	s_waitcnt lgkmcnt(0)
	v_addc_co_u32_e64 v46, s[8:9], v46, v29, s[8:9]
	v_cndmask_b32_e64 v45, 0, 1, s[10:11]
	v_cmp_gt_u32_e64 s[8:9], v44, v21
	v_lshlrev_b32_e32 v45, 5, v45
	v_cndmask_b32_e64 v28, v47, v28, s[8:9]
	v_add_lshl_u32 v45, v45, v30, 2
	v_cndmask_b32_e64 v29, v46, v29, s[8:9]
	ds_bpermute_b32 v28, v45, v28
	ds_bpermute_b32 v30, v45, v29
	v_add_u32_e32 v46, 32, v32
	v_cndmask_b32_e64 v31, v47, v31, s[8:9]
	v_cmp_le_u32_e64 s[8:9], v46, v21
	s_waitcnt lgkmcnt(1)
	v_cndmask_b32_e64 v28, 0, v28, s[8:9]
	s_waitcnt lgkmcnt(0)
	v_cndmask_b32_e64 v21, 0, v30, s[8:9]
	v_add_co_u32_e64 v28, s[8:9], v28, v31
	v_addc_co_u32_e64 v21, s[8:9], v21, v29, s[8:9]
	v_mov_b32_e32 v25, 0
	v_cndmask_b32_e32 v19, v19, v21, vcc
	v_cndmask_b32_e32 v18, v18, v28, vcc
	s_branch .LBB4504_34
.LBB4504_33:                            ;   in Loop: Header=BB4504_34 Depth=1
	s_or_b64 exec, exec, s[8:9]
	v_cmp_eq_u16_sdwa s[8:9], v20, v1 src0_sel:BYTE_0 src1_sel:DWORD
	v_and_b32_e32 v21, s9, v17
	v_or_b32_e32 v21, 0x80000000, v21
	ds_bpermute_b32 v31, v33, v18
	v_and_b32_e32 v30, s8, v16
	v_ffbl_b32_e32 v21, v21
	v_add_u32_e32 v21, 32, v21
	v_ffbl_b32_e32 v30, v30
	v_min_u32_e32 v21, v30, v21
	ds_bpermute_b32 v30, v33, v19
	s_waitcnt lgkmcnt(1)
	v_add_co_u32_e32 v31, vcc, v18, v31
	v_addc_co_u32_e32 v47, vcc, 0, v19, vcc
	v_add_co_u32_e32 v48, vcc, 0, v31
	s_waitcnt lgkmcnt(0)
	v_addc_co_u32_e32 v30, vcc, v30, v47, vcc
	v_cmp_lt_u32_e32 vcc, v32, v21
	v_cndmask_b32_e32 v31, v18, v31, vcc
	ds_bpermute_b32 v47, v34, v31
	v_cndmask_b32_e32 v30, v19, v30, vcc
	ds_bpermute_b32 v49, v34, v30
	v_cndmask_b32_e32 v48, v18, v48, vcc
	v_subrev_u32_e32 v24, 64, v24
	s_waitcnt lgkmcnt(1)
	v_add_co_u32_e64 v47, s[8:9], v47, v48
	s_waitcnt lgkmcnt(0)
	v_addc_co_u32_e64 v49, s[8:9], v49, v30, s[8:9]
	v_cmp_gt_u32_e64 s[8:9], v35, v21
	v_cndmask_b32_e64 v31, v47, v31, s[8:9]
	ds_bpermute_b32 v50, v39, v31
	v_cndmask_b32_e64 v30, v49, v30, s[8:9]
	ds_bpermute_b32 v49, v39, v30
	v_cndmask_b32_e64 v47, v47, v48, s[8:9]
	s_waitcnt lgkmcnt(1)
	v_add_co_u32_e64 v48, s[8:9], v50, v47
	s_waitcnt lgkmcnt(0)
	v_addc_co_u32_e64 v49, s[8:9], v49, v30, s[8:9]
	v_cmp_gt_u32_e64 s[8:9], v40, v21
	v_cndmask_b32_e64 v31, v48, v31, s[8:9]
	ds_bpermute_b32 v50, v41, v31
	v_cndmask_b32_e64 v30, v49, v30, s[8:9]
	ds_bpermute_b32 v49, v41, v30
	v_cndmask_b32_e64 v47, v48, v47, s[8:9]
	;; [unrolled: 10-line block ×3, first 2 shown]
	s_waitcnt lgkmcnt(1)
	v_add_co_u32_e64 v48, s[8:9], v50, v47
	s_waitcnt lgkmcnt(0)
	v_addc_co_u32_e64 v49, s[8:9], v49, v30, s[8:9]
	v_cmp_gt_u32_e64 s[8:9], v44, v21
	v_cndmask_b32_e64 v31, v48, v31, s[8:9]
	v_cndmask_b32_e64 v30, v49, v30, s[8:9]
	ds_bpermute_b32 v31, v45, v31
	ds_bpermute_b32 v49, v45, v30
	v_cndmask_b32_e64 v47, v48, v47, s[8:9]
	v_cmp_le_u32_e64 s[8:9], v46, v21
	s_waitcnt lgkmcnt(1)
	v_cndmask_b32_e64 v31, 0, v31, s[8:9]
	s_waitcnt lgkmcnt(0)
	v_cndmask_b32_e64 v21, 0, v49, s[8:9]
	v_add_co_u32_e64 v31, s[8:9], v31, v47
	v_addc_co_u32_e64 v21, s[8:9], v21, v30, s[8:9]
	v_cndmask_b32_e32 v18, v18, v31, vcc
	v_cndmask_b32_e32 v19, v19, v21, vcc
	v_add_co_u32_e32 v18, vcc, v18, v28
	v_addc_co_u32_e32 v19, vcc, v19, v29, vcc
.LBB4504_34:                            ; =>This Loop Header: Depth=1
                                        ;     Child Loop BB4504_37 Depth 2
	v_cmp_ne_u16_sdwa s[8:9], v20, v1 src0_sel:BYTE_0 src1_sel:DWORD
	v_cndmask_b32_e64 v20, 0, 1, s[8:9]
	;;#ASMSTART
	;;#ASMEND
	v_cmp_ne_u32_e32 vcc, 0, v20
	s_cmp_lg_u64 vcc, exec
	v_pk_mov_b32 v[28:29], v[18:19], v[18:19] op_sel:[0,1]
	s_cbranch_scc1 .LBB4504_39
; %bb.35:                               ;   in Loop: Header=BB4504_34 Depth=1
	v_lshlrev_b64 v[18:19], 4, v[24:25]
	v_mov_b32_e32 v20, s21
	v_add_co_u32_e32 v30, vcc, s20, v18
	v_addc_co_u32_e32 v31, vcc, v20, v19, vcc
	;;#ASMSTART
	global_load_dwordx4 v[18:21], v[30:31] off glc	
s_waitcnt vmcnt(0)
	;;#ASMEND
	v_and_b32_e32 v21, 0xff, v19
	v_and_b32_e32 v47, 0xff00, v19
	v_or3_b32 v21, 0, v21, v47
	v_or3_b32 v18, v18, 0, 0
	v_and_b32_e32 v47, 0xff000000, v19
	v_and_b32_e32 v19, 0xff0000, v19
	v_or3_b32 v19, v21, v19, v47
	v_or3_b32 v18, v18, 0, 0
	v_cmp_eq_u16_sdwa s[10:11], v20, v25 src0_sel:BYTE_0 src1_sel:DWORD
	s_and_saveexec_b64 s[8:9], s[10:11]
	s_cbranch_execz .LBB4504_33
; %bb.36:                               ;   in Loop: Header=BB4504_34 Depth=1
	s_mov_b64 s[10:11], 0
.LBB4504_37:                            ;   Parent Loop BB4504_34 Depth=1
                                        ; =>  This Inner Loop Header: Depth=2
	;;#ASMSTART
	global_load_dwordx4 v[18:21], v[30:31] off glc	
s_waitcnt vmcnt(0)
	;;#ASMEND
	v_cmp_ne_u16_sdwa s[30:31], v20, v25 src0_sel:BYTE_0 src1_sel:DWORD
	s_or_b64 s[10:11], s[30:31], s[10:11]
	s_andn2_b64 exec, exec, s[10:11]
	s_cbranch_execnz .LBB4504_37
; %bb.38:                               ;   in Loop: Header=BB4504_34 Depth=1
	s_or_b64 exec, exec, s[10:11]
	s_branch .LBB4504_33
.LBB4504_39:                            ;   in Loop: Header=BB4504_34 Depth=1
                                        ; implicit-def: $vgpr18_vgpr19
                                        ; implicit-def: $vgpr20
	s_cbranch_execz .LBB4504_34
; %bb.40:
	s_and_saveexec_b64 s[8:9], s[2:3]
	s_cbranch_execz .LBB4504_42
; %bb.41:
	s_add_i32 s2, s6, 64
	s_mov_b32 s3, 0
	s_lshl_b64 s[2:3], s[2:3], 4
	s_add_u32 s2, s20, s2
	v_add_co_u32_e32 v14, vcc, v28, v14
	s_addc_u32 s3, s21, s3
	v_addc_co_u32_e32 v15, vcc, v29, v15, vcc
	v_mov_b32_e32 v16, 2
	v_mov_b32_e32 v17, 0
	v_pk_mov_b32 v[18:19], s[2:3], s[2:3] op_sel:[0,1]
	;;#ASMSTART
	global_store_dwordx4 v[18:19], v[14:17] off	
s_waitcnt vmcnt(0)
	;;#ASMEND
.LBB4504_42:
	s_or_b64 exec, exec, s[8:9]
	s_and_b64 exec, exec, s[0:1]
	s_cbranch_execz .LBB4504_44
; %bb.43:
	v_mov_b32_e32 v1, 0
	ds_write_b64 v1, v[28:29]
.LBB4504_44:
	s_or_b64 exec, exec, s[24:25]
	v_mov_b32_e32 v1, 0
	s_waitcnt lgkmcnt(0)
	s_barrier
	ds_read_b64 v[14:15], v1
	s_waitcnt lgkmcnt(0)
	v_add_co_u32_e32 v14, vcc, v14, v22
	v_addc_co_u32_e32 v15, vcc, v15, v23, vcc
	v_add_co_u32_e32 v28, vcc, v14, v10
	v_addc_co_u32_e32 v29, vcc, v15, v11, vcc
	;; [unrolled: 2-line block ×7, first 2 shown]
	s_load_dwordx8 s[0:7], s[4:5], 0x40
	s_branch .LBB4504_57
.LBB4504_45:
                                        ; implicit-def: $vgpr34_vgpr35
                                        ; implicit-def: $vgpr32_vgpr33
                                        ; implicit-def: $vgpr30_vgpr31
                                        ; implicit-def: $vgpr28_vgpr29
                                        ; implicit-def: $vgpr22_vgpr23_vgpr24_vgpr25
                                        ; implicit-def: $vgpr18_vgpr19_vgpr20_vgpr21
                                        ; implicit-def: $vgpr14_vgpr15_vgpr16_vgpr17
	s_load_dwordx8 s[0:7], s[4:5], 0x40
	s_cbranch_execz .LBB4504_57
; %bb.46:
	s_waitcnt lgkmcnt(0)
	s_cmp_eq_u64 s[4:5], 0
	v_pk_mov_b32 v[20:21], s[22:23], s[22:23] op_sel:[0,1]
	s_cbranch_scc1 .LBB4504_48
; %bb.47:
	v_mov_b32_e32 v1, 0
	v_mov_b32_e32 v15, s29
	v_add_co_u32_e64 v14, vcc, -8, s28
	v_addc_co_u32_e32 v15, vcc, -1, v15, vcc
	global_load_dwordx2 v[16:17], v1, s[0:1]
	flat_load_dwordx2 v[18:19], v[14:15]
	s_waitcnt vmcnt(0) lgkmcnt(0)
	v_add_co_u32_e32 v20, vcc, v16, v18
	v_addc_co_u32_e32 v21, vcc, v17, v19, vcc
.LBB4504_48:
	v_add_co_u32_e32 v1, vcc, v12, v10
	v_addc_co_u32_e32 v14, vcc, v13, v11, vcc
	v_add_co_u32_e32 v1, vcc, v1, v6
	v_addc_co_u32_e32 v14, vcc, v14, v7, vcc
	;; [unrolled: 2-line block ×6, first 2 shown]
	v_add_lshl_u32 v1, v38, v0, 3
	v_cmp_gt_u32_e32 vcc, 64, v0
	ds_write_b64 v1, v[18:19]
	s_waitcnt lgkmcnt(0)
	s_barrier
	s_and_saveexec_b64 s[4:5], vcc
	s_cbranch_execz .LBB4504_52
; %bb.49:
	v_lshlrev_b32_e32 v1, 1, v0
	v_lshrrev_b32_e32 v14, 4, v0
	v_add_lshl_u32 v22, v14, v1, 3
	ds_read2_b64 v[14:17], v22 offset1:1
	v_mbcnt_lo_u32_b32 v1, -1, 0
	s_waitcnt lgkmcnt(0)
	v_add_co_u32_e32 v23, vcc, v16, v14
	v_addc_co_u32_e32 v24, vcc, v17, v15, vcc
	s_nop 0
	v_mov_b32_dpp v16, v23 row_shr:1 row_mask:0xf bank_mask:0xf
	v_add_co_u32_e32 v16, vcc, v23, v16
	v_addc_co_u32_e32 v26, vcc, 0, v24, vcc
	v_mbcnt_hi_u32_b32 v17, -1, v1
	v_mov_b32_dpp v25, v24 row_shr:1 row_mask:0xf bank_mask:0xf
	v_add_co_u32_e32 v27, vcc, 0, v16
	v_and_b32_e32 v1, 15, v17
	v_addc_co_u32_e32 v25, vcc, v25, v26, vcc
	v_cmp_eq_u32_e32 vcc, 0, v1
	v_cndmask_b32_e32 v16, v16, v23, vcc
	v_cndmask_b32_e32 v25, v25, v24, vcc
	v_cndmask_b32_e32 v26, v27, v23, vcc
	v_mov_b32_dpp v27, v16 row_shr:2 row_mask:0xf bank_mask:0xf
	v_mov_b32_dpp v28, v25 row_shr:2 row_mask:0xf bank_mask:0xf
	v_add_co_u32_e32 v27, vcc, v27, v26
	v_addc_co_u32_e32 v28, vcc, v28, v25, vcc
	v_cmp_lt_u32_e32 vcc, 1, v1
	v_cndmask_b32_e32 v16, v16, v27, vcc
	v_cndmask_b32_e32 v25, v25, v28, vcc
	v_cndmask_b32_e32 v26, v26, v27, vcc
	v_mov_b32_dpp v27, v16 row_shr:4 row_mask:0xf bank_mask:0xf
	v_mov_b32_dpp v28, v25 row_shr:4 row_mask:0xf bank_mask:0xf
	v_add_co_u32_e32 v27, vcc, v27, v26
	v_addc_co_u32_e32 v28, vcc, v28, v25, vcc
	v_cmp_lt_u32_e32 vcc, 3, v1
	;; [unrolled: 8-line block ×3, first 2 shown]
	v_cndmask_b32_e32 v29, v16, v27, vcc
	v_cndmask_b32_e32 v1, v25, v28, vcc
	;; [unrolled: 1-line block ×3, first 2 shown]
	v_mov_b32_dpp v25, v29 row_bcast:15 row_mask:0xf bank_mask:0xf
	v_mov_b32_dpp v26, v1 row_bcast:15 row_mask:0xf bank_mask:0xf
	v_add_co_u32_e32 v25, vcc, v25, v16
	v_and_b32_e32 v28, 16, v17
	v_addc_co_u32_e32 v27, vcc, v26, v1, vcc
	v_cmp_eq_u32_e32 vcc, 0, v28
	v_cndmask_b32_e32 v28, v27, v1, vcc
	v_cndmask_b32_e32 v26, v25, v29, vcc
	v_cmp_ne_u32_e64 s[0:1], 0, v17
	v_mov_b32_dpp v28, v28 row_bcast:31 row_mask:0xf bank_mask:0xf
	v_mov_b32_dpp v26, v26 row_bcast:31 row_mask:0xf bank_mask:0xf
	s_and_saveexec_b64 s[8:9], s[0:1]
; %bb.50:
	v_cndmask_b32_e32 v1, v27, v1, vcc
	v_cndmask_b32_e32 v16, v25, v16, vcc
	v_cmp_lt_u32_e32 vcc, 31, v17
	v_cndmask_b32_e32 v23, 0, v26, vcc
	v_cndmask_b32_e32 v24, 0, v28, vcc
	v_add_co_u32_e32 v23, vcc, v23, v16
	v_addc_co_u32_e32 v24, vcc, v24, v1, vcc
; %bb.51:
	s_or_b64 exec, exec, s[8:9]
	v_add_u32_e32 v1, -1, v17
	v_and_b32_e32 v16, 64, v17
	v_cmp_lt_i32_e32 vcc, v1, v16
	v_cndmask_b32_e32 v1, v1, v17, vcc
	v_lshlrev_b32_e32 v1, 2, v1
	ds_bpermute_b32 v16, v1, v23
	ds_bpermute_b32 v1, v1, v24
	; wave barrier
	s_waitcnt lgkmcnt(1)
	v_add_co_u32_e32 v14, vcc, v14, v16
	v_addc_co_u32_e32 v15, vcc, 0, v15, vcc
	v_add_co_u32_e32 v14, vcc, 0, v14
	s_waitcnt lgkmcnt(0)
	v_addc_co_u32_e32 v1, vcc, v15, v1, vcc
	v_cmp_eq_u32_e32 vcc, 0, v0
	v_cndmask_b32_e32 v15, v1, v19, vcc
	v_cndmask_b32_e32 v14, v14, v18, vcc
	ds_write_b64 v22, v[14:15]
	; wave barrier
	ds_read_b64 v[16:17], v22 offset:8
	s_waitcnt lgkmcnt(0)
	v_add_co_u32_e32 v14, vcc, v16, v14
	v_addc_co_u32_e32 v15, vcc, v17, v15, vcc
	ds_write_b64 v22, v[14:15] offset:8
.LBB4504_52:
	s_or_b64 exec, exec, s[4:5]
	v_cmp_eq_u32_e32 vcc, 0, v0
	v_cmp_ne_u32_e64 s[0:1], 0, v0
	v_pk_mov_b32 v[14:15], v[20:21], v[20:21] op_sel:[0,1]
	s_waitcnt lgkmcnt(0)
	s_barrier
	s_and_saveexec_b64 s[4:5], s[0:1]
	s_cbranch_execz .LBB4504_54
; %bb.53:
	v_add_u32_e32 v1, -1, v0
	v_lshrrev_b32_e32 v14, 5, v1
	v_add_lshl_u32 v1, v14, v1, 3
	ds_read_b64 v[14:15], v1
	s_waitcnt lgkmcnt(0)
	v_add_co_u32_e64 v14, s[0:1], v14, v20
	v_addc_co_u32_e64 v15, s[0:1], v15, v21, s[0:1]
.LBB4504_54:
	s_or_b64 exec, exec, s[4:5]
	v_add_co_u32_e64 v28, s[0:1], v14, v10
	v_addc_co_u32_e64 v29, s[0:1], v15, v11, s[0:1]
	v_add_co_u32_e64 v18, s[0:1], v28, v12
	v_addc_co_u32_e64 v19, s[0:1], v29, v13, s[0:1]
	;; [unrolled: 2-line block ×6, first 2 shown]
	s_and_saveexec_b64 s[0:1], vcc
	s_cbranch_execz .LBB4504_56
; %bb.55:
	v_mov_b32_e32 v5, 0
	ds_read_b64 v[2:3], v5 offset:1040
	s_add_u32 s4, s20, 0x400
	s_addc_u32 s5, s21, 0
	v_mov_b32_e32 v4, 2
	v_pk_mov_b32 v[6:7], s[4:5], s[4:5] op_sel:[0,1]
	s_waitcnt lgkmcnt(0)
	v_add_co_u32_e32 v2, vcc, v2, v20
	v_addc_co_u32_e32 v3, vcc, v3, v21, vcc
	;;#ASMSTART
	global_store_dwordx4 v[6:7], v[2:5] off	
s_waitcnt vmcnt(0)
	;;#ASMEND
.LBB4504_56:
	s_or_b64 exec, exec, s[0:1]
.LBB4504_57:
	s_waitcnt lgkmcnt(0)
	s_add_u32 s0, s12, s16
	s_addc_u32 s1, s13, s17
	s_add_u32 s4, s0, s18
	s_addc_u32 s5, s1, s19
	s_mov_b64 s[0:1], -1
	s_and_b64 vcc, exec, s[14:15]
	v_mul_u32_u24_e32 v1, 56, v0
	s_barrier
	s_cbranch_vccz .LBB4504_59
; %bb.58:
	v_mul_i32_i24_e32 v2, 0xffffffd0, v0
	v_mad_u32_u24 v16, v0, 56, v2
	ds_write2_b64 v1, v[14:15], v[28:29] offset1:1
	ds_write2_b64 v1, v[18:19], v[30:31] offset0:2 offset1:3
	ds_write2_b64 v1, v[22:23], v[32:33] offset0:4 offset1:5
	ds_write_b64 v1, v[34:35] offset:48
	s_waitcnt lgkmcnt(0)
	s_barrier
	ds_read2st64_b64 v[2:5], v16 offset1:2
	ds_read2st64_b64 v[6:9], v16 offset0:4 offset1:6
	ds_read2st64_b64 v[10:13], v16 offset0:8 offset1:10
	ds_read_b64 v[16:17], v16 offset:6144
	v_mov_b32_e32 v21, s5
	v_add_co_u32_e32 v20, vcc, s4, v36
	v_addc_co_u32_e32 v21, vcc, 0, v21, vcc
	s_waitcnt lgkmcnt(3)
	flat_store_dwordx2 v[20:21], v[2:3]
	flat_store_dwordx2 v[20:21], v[4:5] offset:1024
	s_waitcnt lgkmcnt(0)
	flat_store_dwordx2 v[20:21], v[6:7] offset:2048
	flat_store_dwordx2 v[20:21], v[8:9] offset:3072
	v_add_co_u32_e32 v2, vcc, 0x1000, v20
	v_addc_co_u32_e32 v3, vcc, 0, v21, vcc
	flat_store_dwordx2 v[2:3], v[10:11]
	flat_store_dwordx2 v[2:3], v[12:13] offset:1024
	flat_store_dwordx2 v[2:3], v[16:17] offset:2048
	s_mov_b64 s[0:1], 0
.LBB4504_59:
	s_andn2_b64 vcc, exec, s[0:1]
	s_cbranch_vccnz .LBB4504_98
; %bb.60:
	v_mul_i32_i24_e32 v2, 0xffffffd0, v0
	ds_write2_b64 v1, v[14:15], v[28:29] offset1:1
	ds_write2_b64 v1, v[18:19], v[30:31] offset0:2 offset1:3
	ds_write2_b64 v1, v[22:23], v[32:33] offset0:4 offset1:5
	ds_write_b64 v1, v[34:35] offset:48
	v_mad_u32_u24 v14, v0, 56, v2
	s_waitcnt lgkmcnt(0)
	s_barrier
	ds_read2st64_b64 v[2:5], v14 offset1:2
	ds_read2st64_b64 v[6:9], v14 offset0:4 offset1:6
	ds_read2st64_b64 v[10:13], v14 offset0:8 offset1:10
	ds_read_b64 v[14:15], v14 offset:6144
	v_mov_b32_e32 v17, s5
	v_add_co_u32_e32 v16, vcc, s4, v36
	v_addc_co_u32_e32 v17, vcc, 0, v17, vcc
	v_mov_b32_e32 v1, 0
	v_cmp_gt_u32_e32 vcc, s26, v0
	s_and_saveexec_b64 s[0:1], vcc
	s_cbranch_execz .LBB4504_62
; %bb.61:
	s_waitcnt lgkmcnt(0)
	flat_store_dwordx2 v[16:17], v[2:3]
.LBB4504_62:
	s_or_b64 exec, exec, s[0:1]
	v_or_b32_e32 v18, 0x80, v0
	v_cmp_gt_u32_e32 vcc, s26, v18
	s_and_saveexec_b64 s[0:1], vcc
	s_cbranch_execz .LBB4504_64
; %bb.63:
	s_waitcnt lgkmcnt(0)
	flat_store_dwordx2 v[16:17], v[4:5] offset:1024
.LBB4504_64:
	s_or_b64 exec, exec, s[0:1]
	v_or_b32_e32 v18, 0x100, v0
	v_cmp_gt_u32_e32 vcc, s26, v18
	s_and_saveexec_b64 s[0:1], vcc
	s_cbranch_execz .LBB4504_66
; %bb.65:
	s_waitcnt lgkmcnt(0)
	flat_store_dwordx2 v[16:17], v[6:7] offset:2048
.LBB4504_66:
	;; [unrolled: 9-line block ×3, first 2 shown]
	s_or_b64 exec, exec, s[0:1]
	v_or_b32_e32 v18, 0x200, v0
	v_cmp_gt_u32_e32 vcc, s26, v18
	s_and_saveexec_b64 s[0:1], vcc
	s_cbranch_execz .LBB4504_70
; %bb.69:
	v_add_co_u32_e32 v18, vcc, 0x1000, v16
	v_addc_co_u32_e32 v19, vcc, 0, v17, vcc
	s_waitcnt lgkmcnt(0)
	flat_store_dwordx2 v[18:19], v[10:11]
.LBB4504_70:
	s_or_b64 exec, exec, s[0:1]
	v_or_b32_e32 v18, 0x280, v0
	v_cmp_gt_u32_e32 vcc, s26, v18
	s_and_saveexec_b64 s[0:1], vcc
	s_cbranch_execz .LBB4504_72
; %bb.71:
	v_add_co_u32_e32 v18, vcc, 0x1000, v16
	v_addc_co_u32_e32 v19, vcc, 0, v17, vcc
	s_waitcnt lgkmcnt(0)
	flat_store_dwordx2 v[18:19], v[12:13] offset:1024
.LBB4504_72:
	s_or_b64 exec, exec, s[0:1]
	v_or_b32_e32 v18, 0x300, v0
	v_cmp_gt_u32_e32 vcc, s26, v18
	s_and_saveexec_b64 s[0:1], vcc
	s_cbranch_execz .LBB4504_74
; %bb.73:
	v_add_co_u32_e32 v16, vcc, 0x1000, v16
	v_addc_co_u32_e32 v17, vcc, 0, v17, vcc
	s_waitcnt lgkmcnt(0)
	flat_store_dwordx2 v[16:17], v[14:15] offset:2048
.LBB4504_74:
	s_or_b64 exec, exec, s[0:1]
	v_cmp_lt_u64_e64 s[0:1], s[6:7], 2
	s_and_b64 vcc, exec, s[0:1]
	s_cbranch_vccnz .LBB4504_98
; %bb.75:
	s_add_u32 s0, s26, -1
	s_addc_u32 s1, s27, -1
	s_add_u32 s4, 0, 0x92481000
	s_addc_u32 s5, 0, 0x64
	s_add_i32 s5, s5, 0x249248c0
	s_mul_hi_u32 s9, s4, -7
	s_sub_i32 s9, s9, s4
	s_mul_i32 s10, s5, -7
	s_mul_i32 s6, s4, -7
	s_add_i32 s9, s9, s10
	s_mul_hi_u32 s7, s5, s6
	s_mul_i32 s8, s5, s6
	s_mul_i32 s11, s4, s9
	s_mul_hi_u32 s6, s4, s6
	s_mul_hi_u32 s10, s4, s9
	s_add_u32 s6, s6, s11
	s_addc_u32 s10, 0, s10
	s_add_u32 s6, s6, s8
	s_mul_hi_u32 s11, s5, s9
	s_addc_u32 s6, s10, s7
	s_addc_u32 s7, s11, 0
	s_mul_i32 s8, s5, s9
	s_add_u32 s6, s6, s8
	v_mov_b32_e32 v16, s6
	s_addc_u32 s7, 0, s7
	v_add_co_u32_e32 v16, vcc, s4, v16
	s_cmp_lg_u64 vcc, 0
	s_addc_u32 s4, s5, s7
	v_readfirstlane_b32 s7, v16
	s_mul_i32 s6, s0, s4
	s_mul_hi_u32 s8, s0, s7
	s_mul_hi_u32 s5, s0, s4
	s_add_u32 s6, s8, s6
	s_addc_u32 s5, 0, s5
	s_mul_hi_u32 s9, s1, s7
	s_mul_i32 s7, s1, s7
	s_add_u32 s6, s6, s7
	s_mul_hi_u32 s8, s1, s4
	s_addc_u32 s5, s5, s9
	s_addc_u32 s6, s8, 0
	s_mul_i32 s4, s1, s4
	s_add_u32 s4, s5, s4
	s_addc_u32 s5, 0, s6
	s_add_u32 s6, s4, 1
	s_addc_u32 s7, s5, 0
	s_add_u32 s8, s4, 2
	s_mul_i32 s10, s5, 7
	s_mul_hi_u32 s11, s4, 7
	s_addc_u32 s9, s5, 0
	s_add_i32 s11, s11, s10
	s_mul_i32 s10, s4, 7
	v_mov_b32_e32 v16, s10
	v_sub_co_u32_e32 v16, vcc, s0, v16
	s_cmp_lg_u64 vcc, 0
	s_subb_u32 s10, s1, s11
	v_subrev_co_u32_e32 v17, vcc, 7, v16
	s_cmp_lg_u64 vcc, 0
	s_subb_u32 s11, s10, 0
	v_readfirstlane_b32 s12, v17
	s_cmp_gt_u32 s12, 6
	s_cselect_b32 s12, -1, 0
	s_cmp_eq_u32 s11, 0
	s_cselect_b32 s11, s12, -1
	s_cmp_lg_u32 s11, 0
	s_cselect_b32 s6, s8, s6
	v_readfirstlane_b32 s8, v16
	s_cselect_b32 s7, s9, s7
	s_cmp_gt_u32 s8, 6
	s_cselect_b32 s8, -1, 0
	s_cmp_eq_u32 s10, 0
	s_cselect_b32 s8, s8, -1
	s_cmp_lg_u32 s8, 0
	s_cselect_b32 s5, s7, s5
	s_cselect_b32 s4, s6, s4
	v_cmp_eq_u64_e32 vcc, s[4:5], v[0:1]
	s_and_saveexec_b64 s[4:5], vcc
	s_cbranch_execz .LBB4504_98
; %bb.76:
	v_mul_hi_u32_u24_e32 v1, 7, v0
	v_mov_b32_e32 v16, s1
	v_sub_co_u32_e32 v0, vcc, s0, v37
	v_subb_co_u32_e32 v1, vcc, v16, v1, vcc
	v_cmp_lt_i64_e32 vcc, 3, v[0:1]
	s_and_saveexec_b64 s[0:1], vcc
	s_xor_b64 s[0:1], exec, s[0:1]
	s_cbranch_execz .LBB4504_86
; %bb.77:
	v_cmp_lt_i64_e32 vcc, 4, v[0:1]
	s_and_saveexec_b64 s[4:5], vcc
	s_xor_b64 s[4:5], exec, s[4:5]
	s_cbranch_execz .LBB4504_83
; %bb.78:
	;; [unrolled: 5-line block ×3, first 2 shown]
	v_mov_b32_e32 v0, 0
	s_waitcnt lgkmcnt(0)
	global_store_dwordx2 v0, v[14:15], s[2:3]
                                        ; implicit-def: $vgpr10_vgpr11_vgpr12_vgpr13
.LBB4504_80:
	s_andn2_saveexec_b64 s[6:7], s[6:7]
	s_cbranch_execz .LBB4504_82
; %bb.81:
	v_mov_b32_e32 v0, 0
	s_waitcnt lgkmcnt(0)
	global_store_dwordx2 v0, v[12:13], s[2:3]
.LBB4504_82:
	s_or_b64 exec, exec, s[6:7]
                                        ; implicit-def: $vgpr10_vgpr11_vgpr12_vgpr13
.LBB4504_83:
	s_andn2_saveexec_b64 s[4:5], s[4:5]
	s_cbranch_execz .LBB4504_85
; %bb.84:
	v_mov_b32_e32 v0, 0
	s_waitcnt lgkmcnt(0)
	global_store_dwordx2 v0, v[10:11], s[2:3]
.LBB4504_85:
	s_or_b64 exec, exec, s[4:5]
                                        ; implicit-def: $vgpr0_vgpr1
                                        ; implicit-def: $vgpr2_vgpr3_vgpr4_vgpr5
                                        ; implicit-def: $vgpr6_vgpr7_vgpr8_vgpr9
.LBB4504_86:
	s_andn2_saveexec_b64 s[0:1], s[0:1]
	s_cbranch_execz .LBB4504_98
; %bb.87:
	v_cmp_lt_i64_e32 vcc, 1, v[0:1]
	s_and_saveexec_b64 s[0:1], vcc
	s_xor_b64 s[0:1], exec, s[0:1]
	s_cbranch_execz .LBB4504_93
; %bb.88:
	v_cmp_lt_i64_e32 vcc, 2, v[0:1]
	s_and_saveexec_b64 s[4:5], vcc
	s_xor_b64 s[4:5], exec, s[4:5]
	s_cbranch_execz .LBB4504_90
; %bb.89:
	v_mov_b32_e32 v0, 0
	s_waitcnt lgkmcnt(0)
	global_store_dwordx2 v0, v[8:9], s[2:3]
                                        ; implicit-def: $vgpr6_vgpr7_vgpr8_vgpr9
.LBB4504_90:
	s_andn2_saveexec_b64 s[4:5], s[4:5]
	s_cbranch_execz .LBB4504_92
; %bb.91:
	v_mov_b32_e32 v0, 0
	s_waitcnt lgkmcnt(0)
	global_store_dwordx2 v0, v[6:7], s[2:3]
.LBB4504_92:
	s_or_b64 exec, exec, s[4:5]
                                        ; implicit-def: $vgpr2_vgpr3_vgpr4_vgpr5
                                        ; implicit-def: $vgpr0_vgpr1
.LBB4504_93:
	s_andn2_saveexec_b64 s[0:1], s[0:1]
	s_cbranch_execz .LBB4504_98
; %bb.94:
	v_cmp_ne_u64_e32 vcc, 1, v[0:1]
	s_and_saveexec_b64 s[0:1], vcc
	s_xor_b64 s[0:1], exec, s[0:1]
	s_cbranch_execz .LBB4504_96
; %bb.95:
	v_mov_b32_e32 v0, 0
	s_waitcnt lgkmcnt(0)
	global_store_dwordx2 v0, v[2:3], s[2:3]
                                        ; implicit-def: $vgpr2_vgpr3_vgpr4_vgpr5
.LBB4504_96:
	s_andn2_saveexec_b64 s[0:1], s[0:1]
	s_cbranch_execz .LBB4504_98
; %bb.97:
	v_mov_b32_e32 v0, 0
	s_waitcnt lgkmcnt(0)
	global_store_dwordx2 v0, v[4:5], s[2:3]
.LBB4504_98:
	s_endpgm
	.section	.rodata,"a",@progbits
	.p2align	6, 0x0
	.amdhsa_kernel _ZN7rocprim17ROCPRIM_400000_NS6detail17trampoline_kernelINS0_14default_configENS1_20scan_config_selectorIyEEZZNS1_9scan_implILNS1_25lookback_scan_determinismE0ELb1ELb1ES3_N6thrust23THRUST_200600_302600_NS6detail15normal_iteratorINS9_10device_ptrIyEEEESE_yNS9_4plusIvEEyEEDaPvRmT3_T4_T5_mT6_P12ihipStream_tbENKUlT_T0_E_clISt17integral_constantIbLb0EESU_EEDaSP_SQ_EUlSP_E_NS1_11comp_targetILNS1_3genE4ELNS1_11target_archE910ELNS1_3gpuE8ELNS1_3repE0EEENS1_30default_config_static_selectorELNS0_4arch9wavefront6targetE1EEEvT1_
		.amdhsa_group_segment_fixed_size 7168
		.amdhsa_private_segment_fixed_size 0
		.amdhsa_kernarg_size 104
		.amdhsa_user_sgpr_count 6
		.amdhsa_user_sgpr_private_segment_buffer 1
		.amdhsa_user_sgpr_dispatch_ptr 0
		.amdhsa_user_sgpr_queue_ptr 0
		.amdhsa_user_sgpr_kernarg_segment_ptr 1
		.amdhsa_user_sgpr_dispatch_id 0
		.amdhsa_user_sgpr_flat_scratch_init 0
		.amdhsa_user_sgpr_kernarg_preload_length 0
		.amdhsa_user_sgpr_kernarg_preload_offset 0
		.amdhsa_user_sgpr_private_segment_size 0
		.amdhsa_uses_dynamic_stack 0
		.amdhsa_system_sgpr_private_segment_wavefront_offset 0
		.amdhsa_system_sgpr_workgroup_id_x 1
		.amdhsa_system_sgpr_workgroup_id_y 0
		.amdhsa_system_sgpr_workgroup_id_z 0
		.amdhsa_system_sgpr_workgroup_info 0
		.amdhsa_system_vgpr_workitem_id 0
		.amdhsa_next_free_vgpr 51
		.amdhsa_next_free_sgpr 32
		.amdhsa_accum_offset 52
		.amdhsa_reserve_vcc 1
		.amdhsa_reserve_flat_scratch 0
		.amdhsa_float_round_mode_32 0
		.amdhsa_float_round_mode_16_64 0
		.amdhsa_float_denorm_mode_32 3
		.amdhsa_float_denorm_mode_16_64 3
		.amdhsa_dx10_clamp 1
		.amdhsa_ieee_mode 1
		.amdhsa_fp16_overflow 0
		.amdhsa_tg_split 0
		.amdhsa_exception_fp_ieee_invalid_op 0
		.amdhsa_exception_fp_denorm_src 0
		.amdhsa_exception_fp_ieee_div_zero 0
		.amdhsa_exception_fp_ieee_overflow 0
		.amdhsa_exception_fp_ieee_underflow 0
		.amdhsa_exception_fp_ieee_inexact 0
		.amdhsa_exception_int_div_zero 0
	.end_amdhsa_kernel
	.section	.text._ZN7rocprim17ROCPRIM_400000_NS6detail17trampoline_kernelINS0_14default_configENS1_20scan_config_selectorIyEEZZNS1_9scan_implILNS1_25lookback_scan_determinismE0ELb1ELb1ES3_N6thrust23THRUST_200600_302600_NS6detail15normal_iteratorINS9_10device_ptrIyEEEESE_yNS9_4plusIvEEyEEDaPvRmT3_T4_T5_mT6_P12ihipStream_tbENKUlT_T0_E_clISt17integral_constantIbLb0EESU_EEDaSP_SQ_EUlSP_E_NS1_11comp_targetILNS1_3genE4ELNS1_11target_archE910ELNS1_3gpuE8ELNS1_3repE0EEENS1_30default_config_static_selectorELNS0_4arch9wavefront6targetE1EEEvT1_,"axG",@progbits,_ZN7rocprim17ROCPRIM_400000_NS6detail17trampoline_kernelINS0_14default_configENS1_20scan_config_selectorIyEEZZNS1_9scan_implILNS1_25lookback_scan_determinismE0ELb1ELb1ES3_N6thrust23THRUST_200600_302600_NS6detail15normal_iteratorINS9_10device_ptrIyEEEESE_yNS9_4plusIvEEyEEDaPvRmT3_T4_T5_mT6_P12ihipStream_tbENKUlT_T0_E_clISt17integral_constantIbLb0EESU_EEDaSP_SQ_EUlSP_E_NS1_11comp_targetILNS1_3genE4ELNS1_11target_archE910ELNS1_3gpuE8ELNS1_3repE0EEENS1_30default_config_static_selectorELNS0_4arch9wavefront6targetE1EEEvT1_,comdat
.Lfunc_end4504:
	.size	_ZN7rocprim17ROCPRIM_400000_NS6detail17trampoline_kernelINS0_14default_configENS1_20scan_config_selectorIyEEZZNS1_9scan_implILNS1_25lookback_scan_determinismE0ELb1ELb1ES3_N6thrust23THRUST_200600_302600_NS6detail15normal_iteratorINS9_10device_ptrIyEEEESE_yNS9_4plusIvEEyEEDaPvRmT3_T4_T5_mT6_P12ihipStream_tbENKUlT_T0_E_clISt17integral_constantIbLb0EESU_EEDaSP_SQ_EUlSP_E_NS1_11comp_targetILNS1_3genE4ELNS1_11target_archE910ELNS1_3gpuE8ELNS1_3repE0EEENS1_30default_config_static_selectorELNS0_4arch9wavefront6targetE1EEEvT1_, .Lfunc_end4504-_ZN7rocprim17ROCPRIM_400000_NS6detail17trampoline_kernelINS0_14default_configENS1_20scan_config_selectorIyEEZZNS1_9scan_implILNS1_25lookback_scan_determinismE0ELb1ELb1ES3_N6thrust23THRUST_200600_302600_NS6detail15normal_iteratorINS9_10device_ptrIyEEEESE_yNS9_4plusIvEEyEEDaPvRmT3_T4_T5_mT6_P12ihipStream_tbENKUlT_T0_E_clISt17integral_constantIbLb0EESU_EEDaSP_SQ_EUlSP_E_NS1_11comp_targetILNS1_3genE4ELNS1_11target_archE910ELNS1_3gpuE8ELNS1_3repE0EEENS1_30default_config_static_selectorELNS0_4arch9wavefront6targetE1EEEvT1_
                                        ; -- End function
	.section	.AMDGPU.csdata,"",@progbits
; Kernel info:
; codeLenInByte = 5660
; NumSgprs: 36
; NumVgprs: 51
; NumAgprs: 0
; TotalNumVgprs: 51
; ScratchSize: 0
; MemoryBound: 0
; FloatMode: 240
; IeeeMode: 1
; LDSByteSize: 7168 bytes/workgroup (compile time only)
; SGPRBlocks: 4
; VGPRBlocks: 6
; NumSGPRsForWavesPerEU: 36
; NumVGPRsForWavesPerEU: 51
; AccumOffset: 52
; Occupancy: 5
; WaveLimiterHint : 1
; COMPUTE_PGM_RSRC2:SCRATCH_EN: 0
; COMPUTE_PGM_RSRC2:USER_SGPR: 6
; COMPUTE_PGM_RSRC2:TRAP_HANDLER: 0
; COMPUTE_PGM_RSRC2:TGID_X_EN: 1
; COMPUTE_PGM_RSRC2:TGID_Y_EN: 0
; COMPUTE_PGM_RSRC2:TGID_Z_EN: 0
; COMPUTE_PGM_RSRC2:TIDIG_COMP_CNT: 0
; COMPUTE_PGM_RSRC3_GFX90A:ACCUM_OFFSET: 12
; COMPUTE_PGM_RSRC3_GFX90A:TG_SPLIT: 0
	.section	.text._ZN7rocprim17ROCPRIM_400000_NS6detail17trampoline_kernelINS0_14default_configENS1_20scan_config_selectorIyEEZZNS1_9scan_implILNS1_25lookback_scan_determinismE0ELb1ELb1ES3_N6thrust23THRUST_200600_302600_NS6detail15normal_iteratorINS9_10device_ptrIyEEEESE_yNS9_4plusIvEEyEEDaPvRmT3_T4_T5_mT6_P12ihipStream_tbENKUlT_T0_E_clISt17integral_constantIbLb0EESU_EEDaSP_SQ_EUlSP_E_NS1_11comp_targetILNS1_3genE3ELNS1_11target_archE908ELNS1_3gpuE7ELNS1_3repE0EEENS1_30default_config_static_selectorELNS0_4arch9wavefront6targetE1EEEvT1_,"axG",@progbits,_ZN7rocprim17ROCPRIM_400000_NS6detail17trampoline_kernelINS0_14default_configENS1_20scan_config_selectorIyEEZZNS1_9scan_implILNS1_25lookback_scan_determinismE0ELb1ELb1ES3_N6thrust23THRUST_200600_302600_NS6detail15normal_iteratorINS9_10device_ptrIyEEEESE_yNS9_4plusIvEEyEEDaPvRmT3_T4_T5_mT6_P12ihipStream_tbENKUlT_T0_E_clISt17integral_constantIbLb0EESU_EEDaSP_SQ_EUlSP_E_NS1_11comp_targetILNS1_3genE3ELNS1_11target_archE908ELNS1_3gpuE7ELNS1_3repE0EEENS1_30default_config_static_selectorELNS0_4arch9wavefront6targetE1EEEvT1_,comdat
	.protected	_ZN7rocprim17ROCPRIM_400000_NS6detail17trampoline_kernelINS0_14default_configENS1_20scan_config_selectorIyEEZZNS1_9scan_implILNS1_25lookback_scan_determinismE0ELb1ELb1ES3_N6thrust23THRUST_200600_302600_NS6detail15normal_iteratorINS9_10device_ptrIyEEEESE_yNS9_4plusIvEEyEEDaPvRmT3_T4_T5_mT6_P12ihipStream_tbENKUlT_T0_E_clISt17integral_constantIbLb0EESU_EEDaSP_SQ_EUlSP_E_NS1_11comp_targetILNS1_3genE3ELNS1_11target_archE908ELNS1_3gpuE7ELNS1_3repE0EEENS1_30default_config_static_selectorELNS0_4arch9wavefront6targetE1EEEvT1_ ; -- Begin function _ZN7rocprim17ROCPRIM_400000_NS6detail17trampoline_kernelINS0_14default_configENS1_20scan_config_selectorIyEEZZNS1_9scan_implILNS1_25lookback_scan_determinismE0ELb1ELb1ES3_N6thrust23THRUST_200600_302600_NS6detail15normal_iteratorINS9_10device_ptrIyEEEESE_yNS9_4plusIvEEyEEDaPvRmT3_T4_T5_mT6_P12ihipStream_tbENKUlT_T0_E_clISt17integral_constantIbLb0EESU_EEDaSP_SQ_EUlSP_E_NS1_11comp_targetILNS1_3genE3ELNS1_11target_archE908ELNS1_3gpuE7ELNS1_3repE0EEENS1_30default_config_static_selectorELNS0_4arch9wavefront6targetE1EEEvT1_
	.globl	_ZN7rocprim17ROCPRIM_400000_NS6detail17trampoline_kernelINS0_14default_configENS1_20scan_config_selectorIyEEZZNS1_9scan_implILNS1_25lookback_scan_determinismE0ELb1ELb1ES3_N6thrust23THRUST_200600_302600_NS6detail15normal_iteratorINS9_10device_ptrIyEEEESE_yNS9_4plusIvEEyEEDaPvRmT3_T4_T5_mT6_P12ihipStream_tbENKUlT_T0_E_clISt17integral_constantIbLb0EESU_EEDaSP_SQ_EUlSP_E_NS1_11comp_targetILNS1_3genE3ELNS1_11target_archE908ELNS1_3gpuE7ELNS1_3repE0EEENS1_30default_config_static_selectorELNS0_4arch9wavefront6targetE1EEEvT1_
	.p2align	8
	.type	_ZN7rocprim17ROCPRIM_400000_NS6detail17trampoline_kernelINS0_14default_configENS1_20scan_config_selectorIyEEZZNS1_9scan_implILNS1_25lookback_scan_determinismE0ELb1ELb1ES3_N6thrust23THRUST_200600_302600_NS6detail15normal_iteratorINS9_10device_ptrIyEEEESE_yNS9_4plusIvEEyEEDaPvRmT3_T4_T5_mT6_P12ihipStream_tbENKUlT_T0_E_clISt17integral_constantIbLb0EESU_EEDaSP_SQ_EUlSP_E_NS1_11comp_targetILNS1_3genE3ELNS1_11target_archE908ELNS1_3gpuE7ELNS1_3repE0EEENS1_30default_config_static_selectorELNS0_4arch9wavefront6targetE1EEEvT1_,@function
_ZN7rocprim17ROCPRIM_400000_NS6detail17trampoline_kernelINS0_14default_configENS1_20scan_config_selectorIyEEZZNS1_9scan_implILNS1_25lookback_scan_determinismE0ELb1ELb1ES3_N6thrust23THRUST_200600_302600_NS6detail15normal_iteratorINS9_10device_ptrIyEEEESE_yNS9_4plusIvEEyEEDaPvRmT3_T4_T5_mT6_P12ihipStream_tbENKUlT_T0_E_clISt17integral_constantIbLb0EESU_EEDaSP_SQ_EUlSP_E_NS1_11comp_targetILNS1_3genE3ELNS1_11target_archE908ELNS1_3gpuE7ELNS1_3repE0EEENS1_30default_config_static_selectorELNS0_4arch9wavefront6targetE1EEEvT1_: ; @_ZN7rocprim17ROCPRIM_400000_NS6detail17trampoline_kernelINS0_14default_configENS1_20scan_config_selectorIyEEZZNS1_9scan_implILNS1_25lookback_scan_determinismE0ELb1ELb1ES3_N6thrust23THRUST_200600_302600_NS6detail15normal_iteratorINS9_10device_ptrIyEEEESE_yNS9_4plusIvEEyEEDaPvRmT3_T4_T5_mT6_P12ihipStream_tbENKUlT_T0_E_clISt17integral_constantIbLb0EESU_EEDaSP_SQ_EUlSP_E_NS1_11comp_targetILNS1_3genE3ELNS1_11target_archE908ELNS1_3gpuE7ELNS1_3repE0EEENS1_30default_config_static_selectorELNS0_4arch9wavefront6targetE1EEEvT1_
; %bb.0:
	.section	.rodata,"a",@progbits
	.p2align	6, 0x0
	.amdhsa_kernel _ZN7rocprim17ROCPRIM_400000_NS6detail17trampoline_kernelINS0_14default_configENS1_20scan_config_selectorIyEEZZNS1_9scan_implILNS1_25lookback_scan_determinismE0ELb1ELb1ES3_N6thrust23THRUST_200600_302600_NS6detail15normal_iteratorINS9_10device_ptrIyEEEESE_yNS9_4plusIvEEyEEDaPvRmT3_T4_T5_mT6_P12ihipStream_tbENKUlT_T0_E_clISt17integral_constantIbLb0EESU_EEDaSP_SQ_EUlSP_E_NS1_11comp_targetILNS1_3genE3ELNS1_11target_archE908ELNS1_3gpuE7ELNS1_3repE0EEENS1_30default_config_static_selectorELNS0_4arch9wavefront6targetE1EEEvT1_
		.amdhsa_group_segment_fixed_size 0
		.amdhsa_private_segment_fixed_size 0
		.amdhsa_kernarg_size 104
		.amdhsa_user_sgpr_count 6
		.amdhsa_user_sgpr_private_segment_buffer 1
		.amdhsa_user_sgpr_dispatch_ptr 0
		.amdhsa_user_sgpr_queue_ptr 0
		.amdhsa_user_sgpr_kernarg_segment_ptr 1
		.amdhsa_user_sgpr_dispatch_id 0
		.amdhsa_user_sgpr_flat_scratch_init 0
		.amdhsa_user_sgpr_kernarg_preload_length 0
		.amdhsa_user_sgpr_kernarg_preload_offset 0
		.amdhsa_user_sgpr_private_segment_size 0
		.amdhsa_uses_dynamic_stack 0
		.amdhsa_system_sgpr_private_segment_wavefront_offset 0
		.amdhsa_system_sgpr_workgroup_id_x 1
		.amdhsa_system_sgpr_workgroup_id_y 0
		.amdhsa_system_sgpr_workgroup_id_z 0
		.amdhsa_system_sgpr_workgroup_info 0
		.amdhsa_system_vgpr_workitem_id 0
		.amdhsa_next_free_vgpr 1
		.amdhsa_next_free_sgpr 0
		.amdhsa_accum_offset 4
		.amdhsa_reserve_vcc 0
		.amdhsa_reserve_flat_scratch 0
		.amdhsa_float_round_mode_32 0
		.amdhsa_float_round_mode_16_64 0
		.amdhsa_float_denorm_mode_32 3
		.amdhsa_float_denorm_mode_16_64 3
		.amdhsa_dx10_clamp 1
		.amdhsa_ieee_mode 1
		.amdhsa_fp16_overflow 0
		.amdhsa_tg_split 0
		.amdhsa_exception_fp_ieee_invalid_op 0
		.amdhsa_exception_fp_denorm_src 0
		.amdhsa_exception_fp_ieee_div_zero 0
		.amdhsa_exception_fp_ieee_overflow 0
		.amdhsa_exception_fp_ieee_underflow 0
		.amdhsa_exception_fp_ieee_inexact 0
		.amdhsa_exception_int_div_zero 0
	.end_amdhsa_kernel
	.section	.text._ZN7rocprim17ROCPRIM_400000_NS6detail17trampoline_kernelINS0_14default_configENS1_20scan_config_selectorIyEEZZNS1_9scan_implILNS1_25lookback_scan_determinismE0ELb1ELb1ES3_N6thrust23THRUST_200600_302600_NS6detail15normal_iteratorINS9_10device_ptrIyEEEESE_yNS9_4plusIvEEyEEDaPvRmT3_T4_T5_mT6_P12ihipStream_tbENKUlT_T0_E_clISt17integral_constantIbLb0EESU_EEDaSP_SQ_EUlSP_E_NS1_11comp_targetILNS1_3genE3ELNS1_11target_archE908ELNS1_3gpuE7ELNS1_3repE0EEENS1_30default_config_static_selectorELNS0_4arch9wavefront6targetE1EEEvT1_,"axG",@progbits,_ZN7rocprim17ROCPRIM_400000_NS6detail17trampoline_kernelINS0_14default_configENS1_20scan_config_selectorIyEEZZNS1_9scan_implILNS1_25lookback_scan_determinismE0ELb1ELb1ES3_N6thrust23THRUST_200600_302600_NS6detail15normal_iteratorINS9_10device_ptrIyEEEESE_yNS9_4plusIvEEyEEDaPvRmT3_T4_T5_mT6_P12ihipStream_tbENKUlT_T0_E_clISt17integral_constantIbLb0EESU_EEDaSP_SQ_EUlSP_E_NS1_11comp_targetILNS1_3genE3ELNS1_11target_archE908ELNS1_3gpuE7ELNS1_3repE0EEENS1_30default_config_static_selectorELNS0_4arch9wavefront6targetE1EEEvT1_,comdat
.Lfunc_end4505:
	.size	_ZN7rocprim17ROCPRIM_400000_NS6detail17trampoline_kernelINS0_14default_configENS1_20scan_config_selectorIyEEZZNS1_9scan_implILNS1_25lookback_scan_determinismE0ELb1ELb1ES3_N6thrust23THRUST_200600_302600_NS6detail15normal_iteratorINS9_10device_ptrIyEEEESE_yNS9_4plusIvEEyEEDaPvRmT3_T4_T5_mT6_P12ihipStream_tbENKUlT_T0_E_clISt17integral_constantIbLb0EESU_EEDaSP_SQ_EUlSP_E_NS1_11comp_targetILNS1_3genE3ELNS1_11target_archE908ELNS1_3gpuE7ELNS1_3repE0EEENS1_30default_config_static_selectorELNS0_4arch9wavefront6targetE1EEEvT1_, .Lfunc_end4505-_ZN7rocprim17ROCPRIM_400000_NS6detail17trampoline_kernelINS0_14default_configENS1_20scan_config_selectorIyEEZZNS1_9scan_implILNS1_25lookback_scan_determinismE0ELb1ELb1ES3_N6thrust23THRUST_200600_302600_NS6detail15normal_iteratorINS9_10device_ptrIyEEEESE_yNS9_4plusIvEEyEEDaPvRmT3_T4_T5_mT6_P12ihipStream_tbENKUlT_T0_E_clISt17integral_constantIbLb0EESU_EEDaSP_SQ_EUlSP_E_NS1_11comp_targetILNS1_3genE3ELNS1_11target_archE908ELNS1_3gpuE7ELNS1_3repE0EEENS1_30default_config_static_selectorELNS0_4arch9wavefront6targetE1EEEvT1_
                                        ; -- End function
	.section	.AMDGPU.csdata,"",@progbits
; Kernel info:
; codeLenInByte = 0
; NumSgprs: 4
; NumVgprs: 0
; NumAgprs: 0
; TotalNumVgprs: 0
; ScratchSize: 0
; MemoryBound: 0
; FloatMode: 240
; IeeeMode: 1
; LDSByteSize: 0 bytes/workgroup (compile time only)
; SGPRBlocks: 0
; VGPRBlocks: 0
; NumSGPRsForWavesPerEU: 4
; NumVGPRsForWavesPerEU: 1
; AccumOffset: 4
; Occupancy: 8
; WaveLimiterHint : 0
; COMPUTE_PGM_RSRC2:SCRATCH_EN: 0
; COMPUTE_PGM_RSRC2:USER_SGPR: 6
; COMPUTE_PGM_RSRC2:TRAP_HANDLER: 0
; COMPUTE_PGM_RSRC2:TGID_X_EN: 1
; COMPUTE_PGM_RSRC2:TGID_Y_EN: 0
; COMPUTE_PGM_RSRC2:TGID_Z_EN: 0
; COMPUTE_PGM_RSRC2:TIDIG_COMP_CNT: 0
; COMPUTE_PGM_RSRC3_GFX90A:ACCUM_OFFSET: 0
; COMPUTE_PGM_RSRC3_GFX90A:TG_SPLIT: 0
	.section	.text._ZN7rocprim17ROCPRIM_400000_NS6detail17trampoline_kernelINS0_14default_configENS1_20scan_config_selectorIyEEZZNS1_9scan_implILNS1_25lookback_scan_determinismE0ELb1ELb1ES3_N6thrust23THRUST_200600_302600_NS6detail15normal_iteratorINS9_10device_ptrIyEEEESE_yNS9_4plusIvEEyEEDaPvRmT3_T4_T5_mT6_P12ihipStream_tbENKUlT_T0_E_clISt17integral_constantIbLb0EESU_EEDaSP_SQ_EUlSP_E_NS1_11comp_targetILNS1_3genE2ELNS1_11target_archE906ELNS1_3gpuE6ELNS1_3repE0EEENS1_30default_config_static_selectorELNS0_4arch9wavefront6targetE1EEEvT1_,"axG",@progbits,_ZN7rocprim17ROCPRIM_400000_NS6detail17trampoline_kernelINS0_14default_configENS1_20scan_config_selectorIyEEZZNS1_9scan_implILNS1_25lookback_scan_determinismE0ELb1ELb1ES3_N6thrust23THRUST_200600_302600_NS6detail15normal_iteratorINS9_10device_ptrIyEEEESE_yNS9_4plusIvEEyEEDaPvRmT3_T4_T5_mT6_P12ihipStream_tbENKUlT_T0_E_clISt17integral_constantIbLb0EESU_EEDaSP_SQ_EUlSP_E_NS1_11comp_targetILNS1_3genE2ELNS1_11target_archE906ELNS1_3gpuE6ELNS1_3repE0EEENS1_30default_config_static_selectorELNS0_4arch9wavefront6targetE1EEEvT1_,comdat
	.protected	_ZN7rocprim17ROCPRIM_400000_NS6detail17trampoline_kernelINS0_14default_configENS1_20scan_config_selectorIyEEZZNS1_9scan_implILNS1_25lookback_scan_determinismE0ELb1ELb1ES3_N6thrust23THRUST_200600_302600_NS6detail15normal_iteratorINS9_10device_ptrIyEEEESE_yNS9_4plusIvEEyEEDaPvRmT3_T4_T5_mT6_P12ihipStream_tbENKUlT_T0_E_clISt17integral_constantIbLb0EESU_EEDaSP_SQ_EUlSP_E_NS1_11comp_targetILNS1_3genE2ELNS1_11target_archE906ELNS1_3gpuE6ELNS1_3repE0EEENS1_30default_config_static_selectorELNS0_4arch9wavefront6targetE1EEEvT1_ ; -- Begin function _ZN7rocprim17ROCPRIM_400000_NS6detail17trampoline_kernelINS0_14default_configENS1_20scan_config_selectorIyEEZZNS1_9scan_implILNS1_25lookback_scan_determinismE0ELb1ELb1ES3_N6thrust23THRUST_200600_302600_NS6detail15normal_iteratorINS9_10device_ptrIyEEEESE_yNS9_4plusIvEEyEEDaPvRmT3_T4_T5_mT6_P12ihipStream_tbENKUlT_T0_E_clISt17integral_constantIbLb0EESU_EEDaSP_SQ_EUlSP_E_NS1_11comp_targetILNS1_3genE2ELNS1_11target_archE906ELNS1_3gpuE6ELNS1_3repE0EEENS1_30default_config_static_selectorELNS0_4arch9wavefront6targetE1EEEvT1_
	.globl	_ZN7rocprim17ROCPRIM_400000_NS6detail17trampoline_kernelINS0_14default_configENS1_20scan_config_selectorIyEEZZNS1_9scan_implILNS1_25lookback_scan_determinismE0ELb1ELb1ES3_N6thrust23THRUST_200600_302600_NS6detail15normal_iteratorINS9_10device_ptrIyEEEESE_yNS9_4plusIvEEyEEDaPvRmT3_T4_T5_mT6_P12ihipStream_tbENKUlT_T0_E_clISt17integral_constantIbLb0EESU_EEDaSP_SQ_EUlSP_E_NS1_11comp_targetILNS1_3genE2ELNS1_11target_archE906ELNS1_3gpuE6ELNS1_3repE0EEENS1_30default_config_static_selectorELNS0_4arch9wavefront6targetE1EEEvT1_
	.p2align	8
	.type	_ZN7rocprim17ROCPRIM_400000_NS6detail17trampoline_kernelINS0_14default_configENS1_20scan_config_selectorIyEEZZNS1_9scan_implILNS1_25lookback_scan_determinismE0ELb1ELb1ES3_N6thrust23THRUST_200600_302600_NS6detail15normal_iteratorINS9_10device_ptrIyEEEESE_yNS9_4plusIvEEyEEDaPvRmT3_T4_T5_mT6_P12ihipStream_tbENKUlT_T0_E_clISt17integral_constantIbLb0EESU_EEDaSP_SQ_EUlSP_E_NS1_11comp_targetILNS1_3genE2ELNS1_11target_archE906ELNS1_3gpuE6ELNS1_3repE0EEENS1_30default_config_static_selectorELNS0_4arch9wavefront6targetE1EEEvT1_,@function
_ZN7rocprim17ROCPRIM_400000_NS6detail17trampoline_kernelINS0_14default_configENS1_20scan_config_selectorIyEEZZNS1_9scan_implILNS1_25lookback_scan_determinismE0ELb1ELb1ES3_N6thrust23THRUST_200600_302600_NS6detail15normal_iteratorINS9_10device_ptrIyEEEESE_yNS9_4plusIvEEyEEDaPvRmT3_T4_T5_mT6_P12ihipStream_tbENKUlT_T0_E_clISt17integral_constantIbLb0EESU_EEDaSP_SQ_EUlSP_E_NS1_11comp_targetILNS1_3genE2ELNS1_11target_archE906ELNS1_3gpuE6ELNS1_3repE0EEENS1_30default_config_static_selectorELNS0_4arch9wavefront6targetE1EEEvT1_: ; @_ZN7rocprim17ROCPRIM_400000_NS6detail17trampoline_kernelINS0_14default_configENS1_20scan_config_selectorIyEEZZNS1_9scan_implILNS1_25lookback_scan_determinismE0ELb1ELb1ES3_N6thrust23THRUST_200600_302600_NS6detail15normal_iteratorINS9_10device_ptrIyEEEESE_yNS9_4plusIvEEyEEDaPvRmT3_T4_T5_mT6_P12ihipStream_tbENKUlT_T0_E_clISt17integral_constantIbLb0EESU_EEDaSP_SQ_EUlSP_E_NS1_11comp_targetILNS1_3genE2ELNS1_11target_archE906ELNS1_3gpuE6ELNS1_3repE0EEENS1_30default_config_static_selectorELNS0_4arch9wavefront6targetE1EEEvT1_
; %bb.0:
	.section	.rodata,"a",@progbits
	.p2align	6, 0x0
	.amdhsa_kernel _ZN7rocprim17ROCPRIM_400000_NS6detail17trampoline_kernelINS0_14default_configENS1_20scan_config_selectorIyEEZZNS1_9scan_implILNS1_25lookback_scan_determinismE0ELb1ELb1ES3_N6thrust23THRUST_200600_302600_NS6detail15normal_iteratorINS9_10device_ptrIyEEEESE_yNS9_4plusIvEEyEEDaPvRmT3_T4_T5_mT6_P12ihipStream_tbENKUlT_T0_E_clISt17integral_constantIbLb0EESU_EEDaSP_SQ_EUlSP_E_NS1_11comp_targetILNS1_3genE2ELNS1_11target_archE906ELNS1_3gpuE6ELNS1_3repE0EEENS1_30default_config_static_selectorELNS0_4arch9wavefront6targetE1EEEvT1_
		.amdhsa_group_segment_fixed_size 0
		.amdhsa_private_segment_fixed_size 0
		.amdhsa_kernarg_size 104
		.amdhsa_user_sgpr_count 6
		.amdhsa_user_sgpr_private_segment_buffer 1
		.amdhsa_user_sgpr_dispatch_ptr 0
		.amdhsa_user_sgpr_queue_ptr 0
		.amdhsa_user_sgpr_kernarg_segment_ptr 1
		.amdhsa_user_sgpr_dispatch_id 0
		.amdhsa_user_sgpr_flat_scratch_init 0
		.amdhsa_user_sgpr_kernarg_preload_length 0
		.amdhsa_user_sgpr_kernarg_preload_offset 0
		.amdhsa_user_sgpr_private_segment_size 0
		.amdhsa_uses_dynamic_stack 0
		.amdhsa_system_sgpr_private_segment_wavefront_offset 0
		.amdhsa_system_sgpr_workgroup_id_x 1
		.amdhsa_system_sgpr_workgroup_id_y 0
		.amdhsa_system_sgpr_workgroup_id_z 0
		.amdhsa_system_sgpr_workgroup_info 0
		.amdhsa_system_vgpr_workitem_id 0
		.amdhsa_next_free_vgpr 1
		.amdhsa_next_free_sgpr 0
		.amdhsa_accum_offset 4
		.amdhsa_reserve_vcc 0
		.amdhsa_reserve_flat_scratch 0
		.amdhsa_float_round_mode_32 0
		.amdhsa_float_round_mode_16_64 0
		.amdhsa_float_denorm_mode_32 3
		.amdhsa_float_denorm_mode_16_64 3
		.amdhsa_dx10_clamp 1
		.amdhsa_ieee_mode 1
		.amdhsa_fp16_overflow 0
		.amdhsa_tg_split 0
		.amdhsa_exception_fp_ieee_invalid_op 0
		.amdhsa_exception_fp_denorm_src 0
		.amdhsa_exception_fp_ieee_div_zero 0
		.amdhsa_exception_fp_ieee_overflow 0
		.amdhsa_exception_fp_ieee_underflow 0
		.amdhsa_exception_fp_ieee_inexact 0
		.amdhsa_exception_int_div_zero 0
	.end_amdhsa_kernel
	.section	.text._ZN7rocprim17ROCPRIM_400000_NS6detail17trampoline_kernelINS0_14default_configENS1_20scan_config_selectorIyEEZZNS1_9scan_implILNS1_25lookback_scan_determinismE0ELb1ELb1ES3_N6thrust23THRUST_200600_302600_NS6detail15normal_iteratorINS9_10device_ptrIyEEEESE_yNS9_4plusIvEEyEEDaPvRmT3_T4_T5_mT6_P12ihipStream_tbENKUlT_T0_E_clISt17integral_constantIbLb0EESU_EEDaSP_SQ_EUlSP_E_NS1_11comp_targetILNS1_3genE2ELNS1_11target_archE906ELNS1_3gpuE6ELNS1_3repE0EEENS1_30default_config_static_selectorELNS0_4arch9wavefront6targetE1EEEvT1_,"axG",@progbits,_ZN7rocprim17ROCPRIM_400000_NS6detail17trampoline_kernelINS0_14default_configENS1_20scan_config_selectorIyEEZZNS1_9scan_implILNS1_25lookback_scan_determinismE0ELb1ELb1ES3_N6thrust23THRUST_200600_302600_NS6detail15normal_iteratorINS9_10device_ptrIyEEEESE_yNS9_4plusIvEEyEEDaPvRmT3_T4_T5_mT6_P12ihipStream_tbENKUlT_T0_E_clISt17integral_constantIbLb0EESU_EEDaSP_SQ_EUlSP_E_NS1_11comp_targetILNS1_3genE2ELNS1_11target_archE906ELNS1_3gpuE6ELNS1_3repE0EEENS1_30default_config_static_selectorELNS0_4arch9wavefront6targetE1EEEvT1_,comdat
.Lfunc_end4506:
	.size	_ZN7rocprim17ROCPRIM_400000_NS6detail17trampoline_kernelINS0_14default_configENS1_20scan_config_selectorIyEEZZNS1_9scan_implILNS1_25lookback_scan_determinismE0ELb1ELb1ES3_N6thrust23THRUST_200600_302600_NS6detail15normal_iteratorINS9_10device_ptrIyEEEESE_yNS9_4plusIvEEyEEDaPvRmT3_T4_T5_mT6_P12ihipStream_tbENKUlT_T0_E_clISt17integral_constantIbLb0EESU_EEDaSP_SQ_EUlSP_E_NS1_11comp_targetILNS1_3genE2ELNS1_11target_archE906ELNS1_3gpuE6ELNS1_3repE0EEENS1_30default_config_static_selectorELNS0_4arch9wavefront6targetE1EEEvT1_, .Lfunc_end4506-_ZN7rocprim17ROCPRIM_400000_NS6detail17trampoline_kernelINS0_14default_configENS1_20scan_config_selectorIyEEZZNS1_9scan_implILNS1_25lookback_scan_determinismE0ELb1ELb1ES3_N6thrust23THRUST_200600_302600_NS6detail15normal_iteratorINS9_10device_ptrIyEEEESE_yNS9_4plusIvEEyEEDaPvRmT3_T4_T5_mT6_P12ihipStream_tbENKUlT_T0_E_clISt17integral_constantIbLb0EESU_EEDaSP_SQ_EUlSP_E_NS1_11comp_targetILNS1_3genE2ELNS1_11target_archE906ELNS1_3gpuE6ELNS1_3repE0EEENS1_30default_config_static_selectorELNS0_4arch9wavefront6targetE1EEEvT1_
                                        ; -- End function
	.section	.AMDGPU.csdata,"",@progbits
; Kernel info:
; codeLenInByte = 0
; NumSgprs: 4
; NumVgprs: 0
; NumAgprs: 0
; TotalNumVgprs: 0
; ScratchSize: 0
; MemoryBound: 0
; FloatMode: 240
; IeeeMode: 1
; LDSByteSize: 0 bytes/workgroup (compile time only)
; SGPRBlocks: 0
; VGPRBlocks: 0
; NumSGPRsForWavesPerEU: 4
; NumVGPRsForWavesPerEU: 1
; AccumOffset: 4
; Occupancy: 8
; WaveLimiterHint : 0
; COMPUTE_PGM_RSRC2:SCRATCH_EN: 0
; COMPUTE_PGM_RSRC2:USER_SGPR: 6
; COMPUTE_PGM_RSRC2:TRAP_HANDLER: 0
; COMPUTE_PGM_RSRC2:TGID_X_EN: 1
; COMPUTE_PGM_RSRC2:TGID_Y_EN: 0
; COMPUTE_PGM_RSRC2:TGID_Z_EN: 0
; COMPUTE_PGM_RSRC2:TIDIG_COMP_CNT: 0
; COMPUTE_PGM_RSRC3_GFX90A:ACCUM_OFFSET: 0
; COMPUTE_PGM_RSRC3_GFX90A:TG_SPLIT: 0
	.section	.text._ZN7rocprim17ROCPRIM_400000_NS6detail17trampoline_kernelINS0_14default_configENS1_20scan_config_selectorIyEEZZNS1_9scan_implILNS1_25lookback_scan_determinismE0ELb1ELb1ES3_N6thrust23THRUST_200600_302600_NS6detail15normal_iteratorINS9_10device_ptrIyEEEESE_yNS9_4plusIvEEyEEDaPvRmT3_T4_T5_mT6_P12ihipStream_tbENKUlT_T0_E_clISt17integral_constantIbLb0EESU_EEDaSP_SQ_EUlSP_E_NS1_11comp_targetILNS1_3genE10ELNS1_11target_archE1201ELNS1_3gpuE5ELNS1_3repE0EEENS1_30default_config_static_selectorELNS0_4arch9wavefront6targetE1EEEvT1_,"axG",@progbits,_ZN7rocprim17ROCPRIM_400000_NS6detail17trampoline_kernelINS0_14default_configENS1_20scan_config_selectorIyEEZZNS1_9scan_implILNS1_25lookback_scan_determinismE0ELb1ELb1ES3_N6thrust23THRUST_200600_302600_NS6detail15normal_iteratorINS9_10device_ptrIyEEEESE_yNS9_4plusIvEEyEEDaPvRmT3_T4_T5_mT6_P12ihipStream_tbENKUlT_T0_E_clISt17integral_constantIbLb0EESU_EEDaSP_SQ_EUlSP_E_NS1_11comp_targetILNS1_3genE10ELNS1_11target_archE1201ELNS1_3gpuE5ELNS1_3repE0EEENS1_30default_config_static_selectorELNS0_4arch9wavefront6targetE1EEEvT1_,comdat
	.protected	_ZN7rocprim17ROCPRIM_400000_NS6detail17trampoline_kernelINS0_14default_configENS1_20scan_config_selectorIyEEZZNS1_9scan_implILNS1_25lookback_scan_determinismE0ELb1ELb1ES3_N6thrust23THRUST_200600_302600_NS6detail15normal_iteratorINS9_10device_ptrIyEEEESE_yNS9_4plusIvEEyEEDaPvRmT3_T4_T5_mT6_P12ihipStream_tbENKUlT_T0_E_clISt17integral_constantIbLb0EESU_EEDaSP_SQ_EUlSP_E_NS1_11comp_targetILNS1_3genE10ELNS1_11target_archE1201ELNS1_3gpuE5ELNS1_3repE0EEENS1_30default_config_static_selectorELNS0_4arch9wavefront6targetE1EEEvT1_ ; -- Begin function _ZN7rocprim17ROCPRIM_400000_NS6detail17trampoline_kernelINS0_14default_configENS1_20scan_config_selectorIyEEZZNS1_9scan_implILNS1_25lookback_scan_determinismE0ELb1ELb1ES3_N6thrust23THRUST_200600_302600_NS6detail15normal_iteratorINS9_10device_ptrIyEEEESE_yNS9_4plusIvEEyEEDaPvRmT3_T4_T5_mT6_P12ihipStream_tbENKUlT_T0_E_clISt17integral_constantIbLb0EESU_EEDaSP_SQ_EUlSP_E_NS1_11comp_targetILNS1_3genE10ELNS1_11target_archE1201ELNS1_3gpuE5ELNS1_3repE0EEENS1_30default_config_static_selectorELNS0_4arch9wavefront6targetE1EEEvT1_
	.globl	_ZN7rocprim17ROCPRIM_400000_NS6detail17trampoline_kernelINS0_14default_configENS1_20scan_config_selectorIyEEZZNS1_9scan_implILNS1_25lookback_scan_determinismE0ELb1ELb1ES3_N6thrust23THRUST_200600_302600_NS6detail15normal_iteratorINS9_10device_ptrIyEEEESE_yNS9_4plusIvEEyEEDaPvRmT3_T4_T5_mT6_P12ihipStream_tbENKUlT_T0_E_clISt17integral_constantIbLb0EESU_EEDaSP_SQ_EUlSP_E_NS1_11comp_targetILNS1_3genE10ELNS1_11target_archE1201ELNS1_3gpuE5ELNS1_3repE0EEENS1_30default_config_static_selectorELNS0_4arch9wavefront6targetE1EEEvT1_
	.p2align	8
	.type	_ZN7rocprim17ROCPRIM_400000_NS6detail17trampoline_kernelINS0_14default_configENS1_20scan_config_selectorIyEEZZNS1_9scan_implILNS1_25lookback_scan_determinismE0ELb1ELb1ES3_N6thrust23THRUST_200600_302600_NS6detail15normal_iteratorINS9_10device_ptrIyEEEESE_yNS9_4plusIvEEyEEDaPvRmT3_T4_T5_mT6_P12ihipStream_tbENKUlT_T0_E_clISt17integral_constantIbLb0EESU_EEDaSP_SQ_EUlSP_E_NS1_11comp_targetILNS1_3genE10ELNS1_11target_archE1201ELNS1_3gpuE5ELNS1_3repE0EEENS1_30default_config_static_selectorELNS0_4arch9wavefront6targetE1EEEvT1_,@function
_ZN7rocprim17ROCPRIM_400000_NS6detail17trampoline_kernelINS0_14default_configENS1_20scan_config_selectorIyEEZZNS1_9scan_implILNS1_25lookback_scan_determinismE0ELb1ELb1ES3_N6thrust23THRUST_200600_302600_NS6detail15normal_iteratorINS9_10device_ptrIyEEEESE_yNS9_4plusIvEEyEEDaPvRmT3_T4_T5_mT6_P12ihipStream_tbENKUlT_T0_E_clISt17integral_constantIbLb0EESU_EEDaSP_SQ_EUlSP_E_NS1_11comp_targetILNS1_3genE10ELNS1_11target_archE1201ELNS1_3gpuE5ELNS1_3repE0EEENS1_30default_config_static_selectorELNS0_4arch9wavefront6targetE1EEEvT1_: ; @_ZN7rocprim17ROCPRIM_400000_NS6detail17trampoline_kernelINS0_14default_configENS1_20scan_config_selectorIyEEZZNS1_9scan_implILNS1_25lookback_scan_determinismE0ELb1ELb1ES3_N6thrust23THRUST_200600_302600_NS6detail15normal_iteratorINS9_10device_ptrIyEEEESE_yNS9_4plusIvEEyEEDaPvRmT3_T4_T5_mT6_P12ihipStream_tbENKUlT_T0_E_clISt17integral_constantIbLb0EESU_EEDaSP_SQ_EUlSP_E_NS1_11comp_targetILNS1_3genE10ELNS1_11target_archE1201ELNS1_3gpuE5ELNS1_3repE0EEENS1_30default_config_static_selectorELNS0_4arch9wavefront6targetE1EEEvT1_
; %bb.0:
	.section	.rodata,"a",@progbits
	.p2align	6, 0x0
	.amdhsa_kernel _ZN7rocprim17ROCPRIM_400000_NS6detail17trampoline_kernelINS0_14default_configENS1_20scan_config_selectorIyEEZZNS1_9scan_implILNS1_25lookback_scan_determinismE0ELb1ELb1ES3_N6thrust23THRUST_200600_302600_NS6detail15normal_iteratorINS9_10device_ptrIyEEEESE_yNS9_4plusIvEEyEEDaPvRmT3_T4_T5_mT6_P12ihipStream_tbENKUlT_T0_E_clISt17integral_constantIbLb0EESU_EEDaSP_SQ_EUlSP_E_NS1_11comp_targetILNS1_3genE10ELNS1_11target_archE1201ELNS1_3gpuE5ELNS1_3repE0EEENS1_30default_config_static_selectorELNS0_4arch9wavefront6targetE1EEEvT1_
		.amdhsa_group_segment_fixed_size 0
		.amdhsa_private_segment_fixed_size 0
		.amdhsa_kernarg_size 104
		.amdhsa_user_sgpr_count 6
		.amdhsa_user_sgpr_private_segment_buffer 1
		.amdhsa_user_sgpr_dispatch_ptr 0
		.amdhsa_user_sgpr_queue_ptr 0
		.amdhsa_user_sgpr_kernarg_segment_ptr 1
		.amdhsa_user_sgpr_dispatch_id 0
		.amdhsa_user_sgpr_flat_scratch_init 0
		.amdhsa_user_sgpr_kernarg_preload_length 0
		.amdhsa_user_sgpr_kernarg_preload_offset 0
		.amdhsa_user_sgpr_private_segment_size 0
		.amdhsa_uses_dynamic_stack 0
		.amdhsa_system_sgpr_private_segment_wavefront_offset 0
		.amdhsa_system_sgpr_workgroup_id_x 1
		.amdhsa_system_sgpr_workgroup_id_y 0
		.amdhsa_system_sgpr_workgroup_id_z 0
		.amdhsa_system_sgpr_workgroup_info 0
		.amdhsa_system_vgpr_workitem_id 0
		.amdhsa_next_free_vgpr 1
		.amdhsa_next_free_sgpr 0
		.amdhsa_accum_offset 4
		.amdhsa_reserve_vcc 0
		.amdhsa_reserve_flat_scratch 0
		.amdhsa_float_round_mode_32 0
		.amdhsa_float_round_mode_16_64 0
		.amdhsa_float_denorm_mode_32 3
		.amdhsa_float_denorm_mode_16_64 3
		.amdhsa_dx10_clamp 1
		.amdhsa_ieee_mode 1
		.amdhsa_fp16_overflow 0
		.amdhsa_tg_split 0
		.amdhsa_exception_fp_ieee_invalid_op 0
		.amdhsa_exception_fp_denorm_src 0
		.amdhsa_exception_fp_ieee_div_zero 0
		.amdhsa_exception_fp_ieee_overflow 0
		.amdhsa_exception_fp_ieee_underflow 0
		.amdhsa_exception_fp_ieee_inexact 0
		.amdhsa_exception_int_div_zero 0
	.end_amdhsa_kernel
	.section	.text._ZN7rocprim17ROCPRIM_400000_NS6detail17trampoline_kernelINS0_14default_configENS1_20scan_config_selectorIyEEZZNS1_9scan_implILNS1_25lookback_scan_determinismE0ELb1ELb1ES3_N6thrust23THRUST_200600_302600_NS6detail15normal_iteratorINS9_10device_ptrIyEEEESE_yNS9_4plusIvEEyEEDaPvRmT3_T4_T5_mT6_P12ihipStream_tbENKUlT_T0_E_clISt17integral_constantIbLb0EESU_EEDaSP_SQ_EUlSP_E_NS1_11comp_targetILNS1_3genE10ELNS1_11target_archE1201ELNS1_3gpuE5ELNS1_3repE0EEENS1_30default_config_static_selectorELNS0_4arch9wavefront6targetE1EEEvT1_,"axG",@progbits,_ZN7rocprim17ROCPRIM_400000_NS6detail17trampoline_kernelINS0_14default_configENS1_20scan_config_selectorIyEEZZNS1_9scan_implILNS1_25lookback_scan_determinismE0ELb1ELb1ES3_N6thrust23THRUST_200600_302600_NS6detail15normal_iteratorINS9_10device_ptrIyEEEESE_yNS9_4plusIvEEyEEDaPvRmT3_T4_T5_mT6_P12ihipStream_tbENKUlT_T0_E_clISt17integral_constantIbLb0EESU_EEDaSP_SQ_EUlSP_E_NS1_11comp_targetILNS1_3genE10ELNS1_11target_archE1201ELNS1_3gpuE5ELNS1_3repE0EEENS1_30default_config_static_selectorELNS0_4arch9wavefront6targetE1EEEvT1_,comdat
.Lfunc_end4507:
	.size	_ZN7rocprim17ROCPRIM_400000_NS6detail17trampoline_kernelINS0_14default_configENS1_20scan_config_selectorIyEEZZNS1_9scan_implILNS1_25lookback_scan_determinismE0ELb1ELb1ES3_N6thrust23THRUST_200600_302600_NS6detail15normal_iteratorINS9_10device_ptrIyEEEESE_yNS9_4plusIvEEyEEDaPvRmT3_T4_T5_mT6_P12ihipStream_tbENKUlT_T0_E_clISt17integral_constantIbLb0EESU_EEDaSP_SQ_EUlSP_E_NS1_11comp_targetILNS1_3genE10ELNS1_11target_archE1201ELNS1_3gpuE5ELNS1_3repE0EEENS1_30default_config_static_selectorELNS0_4arch9wavefront6targetE1EEEvT1_, .Lfunc_end4507-_ZN7rocprim17ROCPRIM_400000_NS6detail17trampoline_kernelINS0_14default_configENS1_20scan_config_selectorIyEEZZNS1_9scan_implILNS1_25lookback_scan_determinismE0ELb1ELb1ES3_N6thrust23THRUST_200600_302600_NS6detail15normal_iteratorINS9_10device_ptrIyEEEESE_yNS9_4plusIvEEyEEDaPvRmT3_T4_T5_mT6_P12ihipStream_tbENKUlT_T0_E_clISt17integral_constantIbLb0EESU_EEDaSP_SQ_EUlSP_E_NS1_11comp_targetILNS1_3genE10ELNS1_11target_archE1201ELNS1_3gpuE5ELNS1_3repE0EEENS1_30default_config_static_selectorELNS0_4arch9wavefront6targetE1EEEvT1_
                                        ; -- End function
	.section	.AMDGPU.csdata,"",@progbits
; Kernel info:
; codeLenInByte = 0
; NumSgprs: 4
; NumVgprs: 0
; NumAgprs: 0
; TotalNumVgprs: 0
; ScratchSize: 0
; MemoryBound: 0
; FloatMode: 240
; IeeeMode: 1
; LDSByteSize: 0 bytes/workgroup (compile time only)
; SGPRBlocks: 0
; VGPRBlocks: 0
; NumSGPRsForWavesPerEU: 4
; NumVGPRsForWavesPerEU: 1
; AccumOffset: 4
; Occupancy: 8
; WaveLimiterHint : 0
; COMPUTE_PGM_RSRC2:SCRATCH_EN: 0
; COMPUTE_PGM_RSRC2:USER_SGPR: 6
; COMPUTE_PGM_RSRC2:TRAP_HANDLER: 0
; COMPUTE_PGM_RSRC2:TGID_X_EN: 1
; COMPUTE_PGM_RSRC2:TGID_Y_EN: 0
; COMPUTE_PGM_RSRC2:TGID_Z_EN: 0
; COMPUTE_PGM_RSRC2:TIDIG_COMP_CNT: 0
; COMPUTE_PGM_RSRC3_GFX90A:ACCUM_OFFSET: 0
; COMPUTE_PGM_RSRC3_GFX90A:TG_SPLIT: 0
	.section	.text._ZN7rocprim17ROCPRIM_400000_NS6detail17trampoline_kernelINS0_14default_configENS1_20scan_config_selectorIyEEZZNS1_9scan_implILNS1_25lookback_scan_determinismE0ELb1ELb1ES3_N6thrust23THRUST_200600_302600_NS6detail15normal_iteratorINS9_10device_ptrIyEEEESE_yNS9_4plusIvEEyEEDaPvRmT3_T4_T5_mT6_P12ihipStream_tbENKUlT_T0_E_clISt17integral_constantIbLb0EESU_EEDaSP_SQ_EUlSP_E_NS1_11comp_targetILNS1_3genE10ELNS1_11target_archE1200ELNS1_3gpuE4ELNS1_3repE0EEENS1_30default_config_static_selectorELNS0_4arch9wavefront6targetE1EEEvT1_,"axG",@progbits,_ZN7rocprim17ROCPRIM_400000_NS6detail17trampoline_kernelINS0_14default_configENS1_20scan_config_selectorIyEEZZNS1_9scan_implILNS1_25lookback_scan_determinismE0ELb1ELb1ES3_N6thrust23THRUST_200600_302600_NS6detail15normal_iteratorINS9_10device_ptrIyEEEESE_yNS9_4plusIvEEyEEDaPvRmT3_T4_T5_mT6_P12ihipStream_tbENKUlT_T0_E_clISt17integral_constantIbLb0EESU_EEDaSP_SQ_EUlSP_E_NS1_11comp_targetILNS1_3genE10ELNS1_11target_archE1200ELNS1_3gpuE4ELNS1_3repE0EEENS1_30default_config_static_selectorELNS0_4arch9wavefront6targetE1EEEvT1_,comdat
	.protected	_ZN7rocprim17ROCPRIM_400000_NS6detail17trampoline_kernelINS0_14default_configENS1_20scan_config_selectorIyEEZZNS1_9scan_implILNS1_25lookback_scan_determinismE0ELb1ELb1ES3_N6thrust23THRUST_200600_302600_NS6detail15normal_iteratorINS9_10device_ptrIyEEEESE_yNS9_4plusIvEEyEEDaPvRmT3_T4_T5_mT6_P12ihipStream_tbENKUlT_T0_E_clISt17integral_constantIbLb0EESU_EEDaSP_SQ_EUlSP_E_NS1_11comp_targetILNS1_3genE10ELNS1_11target_archE1200ELNS1_3gpuE4ELNS1_3repE0EEENS1_30default_config_static_selectorELNS0_4arch9wavefront6targetE1EEEvT1_ ; -- Begin function _ZN7rocprim17ROCPRIM_400000_NS6detail17trampoline_kernelINS0_14default_configENS1_20scan_config_selectorIyEEZZNS1_9scan_implILNS1_25lookback_scan_determinismE0ELb1ELb1ES3_N6thrust23THRUST_200600_302600_NS6detail15normal_iteratorINS9_10device_ptrIyEEEESE_yNS9_4plusIvEEyEEDaPvRmT3_T4_T5_mT6_P12ihipStream_tbENKUlT_T0_E_clISt17integral_constantIbLb0EESU_EEDaSP_SQ_EUlSP_E_NS1_11comp_targetILNS1_3genE10ELNS1_11target_archE1200ELNS1_3gpuE4ELNS1_3repE0EEENS1_30default_config_static_selectorELNS0_4arch9wavefront6targetE1EEEvT1_
	.globl	_ZN7rocprim17ROCPRIM_400000_NS6detail17trampoline_kernelINS0_14default_configENS1_20scan_config_selectorIyEEZZNS1_9scan_implILNS1_25lookback_scan_determinismE0ELb1ELb1ES3_N6thrust23THRUST_200600_302600_NS6detail15normal_iteratorINS9_10device_ptrIyEEEESE_yNS9_4plusIvEEyEEDaPvRmT3_T4_T5_mT6_P12ihipStream_tbENKUlT_T0_E_clISt17integral_constantIbLb0EESU_EEDaSP_SQ_EUlSP_E_NS1_11comp_targetILNS1_3genE10ELNS1_11target_archE1200ELNS1_3gpuE4ELNS1_3repE0EEENS1_30default_config_static_selectorELNS0_4arch9wavefront6targetE1EEEvT1_
	.p2align	8
	.type	_ZN7rocprim17ROCPRIM_400000_NS6detail17trampoline_kernelINS0_14default_configENS1_20scan_config_selectorIyEEZZNS1_9scan_implILNS1_25lookback_scan_determinismE0ELb1ELb1ES3_N6thrust23THRUST_200600_302600_NS6detail15normal_iteratorINS9_10device_ptrIyEEEESE_yNS9_4plusIvEEyEEDaPvRmT3_T4_T5_mT6_P12ihipStream_tbENKUlT_T0_E_clISt17integral_constantIbLb0EESU_EEDaSP_SQ_EUlSP_E_NS1_11comp_targetILNS1_3genE10ELNS1_11target_archE1200ELNS1_3gpuE4ELNS1_3repE0EEENS1_30default_config_static_selectorELNS0_4arch9wavefront6targetE1EEEvT1_,@function
_ZN7rocprim17ROCPRIM_400000_NS6detail17trampoline_kernelINS0_14default_configENS1_20scan_config_selectorIyEEZZNS1_9scan_implILNS1_25lookback_scan_determinismE0ELb1ELb1ES3_N6thrust23THRUST_200600_302600_NS6detail15normal_iteratorINS9_10device_ptrIyEEEESE_yNS9_4plusIvEEyEEDaPvRmT3_T4_T5_mT6_P12ihipStream_tbENKUlT_T0_E_clISt17integral_constantIbLb0EESU_EEDaSP_SQ_EUlSP_E_NS1_11comp_targetILNS1_3genE10ELNS1_11target_archE1200ELNS1_3gpuE4ELNS1_3repE0EEENS1_30default_config_static_selectorELNS0_4arch9wavefront6targetE1EEEvT1_: ; @_ZN7rocprim17ROCPRIM_400000_NS6detail17trampoline_kernelINS0_14default_configENS1_20scan_config_selectorIyEEZZNS1_9scan_implILNS1_25lookback_scan_determinismE0ELb1ELb1ES3_N6thrust23THRUST_200600_302600_NS6detail15normal_iteratorINS9_10device_ptrIyEEEESE_yNS9_4plusIvEEyEEDaPvRmT3_T4_T5_mT6_P12ihipStream_tbENKUlT_T0_E_clISt17integral_constantIbLb0EESU_EEDaSP_SQ_EUlSP_E_NS1_11comp_targetILNS1_3genE10ELNS1_11target_archE1200ELNS1_3gpuE4ELNS1_3repE0EEENS1_30default_config_static_selectorELNS0_4arch9wavefront6targetE1EEEvT1_
; %bb.0:
	.section	.rodata,"a",@progbits
	.p2align	6, 0x0
	.amdhsa_kernel _ZN7rocprim17ROCPRIM_400000_NS6detail17trampoline_kernelINS0_14default_configENS1_20scan_config_selectorIyEEZZNS1_9scan_implILNS1_25lookback_scan_determinismE0ELb1ELb1ES3_N6thrust23THRUST_200600_302600_NS6detail15normal_iteratorINS9_10device_ptrIyEEEESE_yNS9_4plusIvEEyEEDaPvRmT3_T4_T5_mT6_P12ihipStream_tbENKUlT_T0_E_clISt17integral_constantIbLb0EESU_EEDaSP_SQ_EUlSP_E_NS1_11comp_targetILNS1_3genE10ELNS1_11target_archE1200ELNS1_3gpuE4ELNS1_3repE0EEENS1_30default_config_static_selectorELNS0_4arch9wavefront6targetE1EEEvT1_
		.amdhsa_group_segment_fixed_size 0
		.amdhsa_private_segment_fixed_size 0
		.amdhsa_kernarg_size 104
		.amdhsa_user_sgpr_count 6
		.amdhsa_user_sgpr_private_segment_buffer 1
		.amdhsa_user_sgpr_dispatch_ptr 0
		.amdhsa_user_sgpr_queue_ptr 0
		.amdhsa_user_sgpr_kernarg_segment_ptr 1
		.amdhsa_user_sgpr_dispatch_id 0
		.amdhsa_user_sgpr_flat_scratch_init 0
		.amdhsa_user_sgpr_kernarg_preload_length 0
		.amdhsa_user_sgpr_kernarg_preload_offset 0
		.amdhsa_user_sgpr_private_segment_size 0
		.amdhsa_uses_dynamic_stack 0
		.amdhsa_system_sgpr_private_segment_wavefront_offset 0
		.amdhsa_system_sgpr_workgroup_id_x 1
		.amdhsa_system_sgpr_workgroup_id_y 0
		.amdhsa_system_sgpr_workgroup_id_z 0
		.amdhsa_system_sgpr_workgroup_info 0
		.amdhsa_system_vgpr_workitem_id 0
		.amdhsa_next_free_vgpr 1
		.amdhsa_next_free_sgpr 0
		.amdhsa_accum_offset 4
		.amdhsa_reserve_vcc 0
		.amdhsa_reserve_flat_scratch 0
		.amdhsa_float_round_mode_32 0
		.amdhsa_float_round_mode_16_64 0
		.amdhsa_float_denorm_mode_32 3
		.amdhsa_float_denorm_mode_16_64 3
		.amdhsa_dx10_clamp 1
		.amdhsa_ieee_mode 1
		.amdhsa_fp16_overflow 0
		.amdhsa_tg_split 0
		.amdhsa_exception_fp_ieee_invalid_op 0
		.amdhsa_exception_fp_denorm_src 0
		.amdhsa_exception_fp_ieee_div_zero 0
		.amdhsa_exception_fp_ieee_overflow 0
		.amdhsa_exception_fp_ieee_underflow 0
		.amdhsa_exception_fp_ieee_inexact 0
		.amdhsa_exception_int_div_zero 0
	.end_amdhsa_kernel
	.section	.text._ZN7rocprim17ROCPRIM_400000_NS6detail17trampoline_kernelINS0_14default_configENS1_20scan_config_selectorIyEEZZNS1_9scan_implILNS1_25lookback_scan_determinismE0ELb1ELb1ES3_N6thrust23THRUST_200600_302600_NS6detail15normal_iteratorINS9_10device_ptrIyEEEESE_yNS9_4plusIvEEyEEDaPvRmT3_T4_T5_mT6_P12ihipStream_tbENKUlT_T0_E_clISt17integral_constantIbLb0EESU_EEDaSP_SQ_EUlSP_E_NS1_11comp_targetILNS1_3genE10ELNS1_11target_archE1200ELNS1_3gpuE4ELNS1_3repE0EEENS1_30default_config_static_selectorELNS0_4arch9wavefront6targetE1EEEvT1_,"axG",@progbits,_ZN7rocprim17ROCPRIM_400000_NS6detail17trampoline_kernelINS0_14default_configENS1_20scan_config_selectorIyEEZZNS1_9scan_implILNS1_25lookback_scan_determinismE0ELb1ELb1ES3_N6thrust23THRUST_200600_302600_NS6detail15normal_iteratorINS9_10device_ptrIyEEEESE_yNS9_4plusIvEEyEEDaPvRmT3_T4_T5_mT6_P12ihipStream_tbENKUlT_T0_E_clISt17integral_constantIbLb0EESU_EEDaSP_SQ_EUlSP_E_NS1_11comp_targetILNS1_3genE10ELNS1_11target_archE1200ELNS1_3gpuE4ELNS1_3repE0EEENS1_30default_config_static_selectorELNS0_4arch9wavefront6targetE1EEEvT1_,comdat
.Lfunc_end4508:
	.size	_ZN7rocprim17ROCPRIM_400000_NS6detail17trampoline_kernelINS0_14default_configENS1_20scan_config_selectorIyEEZZNS1_9scan_implILNS1_25lookback_scan_determinismE0ELb1ELb1ES3_N6thrust23THRUST_200600_302600_NS6detail15normal_iteratorINS9_10device_ptrIyEEEESE_yNS9_4plusIvEEyEEDaPvRmT3_T4_T5_mT6_P12ihipStream_tbENKUlT_T0_E_clISt17integral_constantIbLb0EESU_EEDaSP_SQ_EUlSP_E_NS1_11comp_targetILNS1_3genE10ELNS1_11target_archE1200ELNS1_3gpuE4ELNS1_3repE0EEENS1_30default_config_static_selectorELNS0_4arch9wavefront6targetE1EEEvT1_, .Lfunc_end4508-_ZN7rocprim17ROCPRIM_400000_NS6detail17trampoline_kernelINS0_14default_configENS1_20scan_config_selectorIyEEZZNS1_9scan_implILNS1_25lookback_scan_determinismE0ELb1ELb1ES3_N6thrust23THRUST_200600_302600_NS6detail15normal_iteratorINS9_10device_ptrIyEEEESE_yNS9_4plusIvEEyEEDaPvRmT3_T4_T5_mT6_P12ihipStream_tbENKUlT_T0_E_clISt17integral_constantIbLb0EESU_EEDaSP_SQ_EUlSP_E_NS1_11comp_targetILNS1_3genE10ELNS1_11target_archE1200ELNS1_3gpuE4ELNS1_3repE0EEENS1_30default_config_static_selectorELNS0_4arch9wavefront6targetE1EEEvT1_
                                        ; -- End function
	.section	.AMDGPU.csdata,"",@progbits
; Kernel info:
; codeLenInByte = 0
; NumSgprs: 4
; NumVgprs: 0
; NumAgprs: 0
; TotalNumVgprs: 0
; ScratchSize: 0
; MemoryBound: 0
; FloatMode: 240
; IeeeMode: 1
; LDSByteSize: 0 bytes/workgroup (compile time only)
; SGPRBlocks: 0
; VGPRBlocks: 0
; NumSGPRsForWavesPerEU: 4
; NumVGPRsForWavesPerEU: 1
; AccumOffset: 4
; Occupancy: 8
; WaveLimiterHint : 0
; COMPUTE_PGM_RSRC2:SCRATCH_EN: 0
; COMPUTE_PGM_RSRC2:USER_SGPR: 6
; COMPUTE_PGM_RSRC2:TRAP_HANDLER: 0
; COMPUTE_PGM_RSRC2:TGID_X_EN: 1
; COMPUTE_PGM_RSRC2:TGID_Y_EN: 0
; COMPUTE_PGM_RSRC2:TGID_Z_EN: 0
; COMPUTE_PGM_RSRC2:TIDIG_COMP_CNT: 0
; COMPUTE_PGM_RSRC3_GFX90A:ACCUM_OFFSET: 0
; COMPUTE_PGM_RSRC3_GFX90A:TG_SPLIT: 0
	.section	.text._ZN7rocprim17ROCPRIM_400000_NS6detail17trampoline_kernelINS0_14default_configENS1_20scan_config_selectorIyEEZZNS1_9scan_implILNS1_25lookback_scan_determinismE0ELb1ELb1ES3_N6thrust23THRUST_200600_302600_NS6detail15normal_iteratorINS9_10device_ptrIyEEEESE_yNS9_4plusIvEEyEEDaPvRmT3_T4_T5_mT6_P12ihipStream_tbENKUlT_T0_E_clISt17integral_constantIbLb0EESU_EEDaSP_SQ_EUlSP_E_NS1_11comp_targetILNS1_3genE9ELNS1_11target_archE1100ELNS1_3gpuE3ELNS1_3repE0EEENS1_30default_config_static_selectorELNS0_4arch9wavefront6targetE1EEEvT1_,"axG",@progbits,_ZN7rocprim17ROCPRIM_400000_NS6detail17trampoline_kernelINS0_14default_configENS1_20scan_config_selectorIyEEZZNS1_9scan_implILNS1_25lookback_scan_determinismE0ELb1ELb1ES3_N6thrust23THRUST_200600_302600_NS6detail15normal_iteratorINS9_10device_ptrIyEEEESE_yNS9_4plusIvEEyEEDaPvRmT3_T4_T5_mT6_P12ihipStream_tbENKUlT_T0_E_clISt17integral_constantIbLb0EESU_EEDaSP_SQ_EUlSP_E_NS1_11comp_targetILNS1_3genE9ELNS1_11target_archE1100ELNS1_3gpuE3ELNS1_3repE0EEENS1_30default_config_static_selectorELNS0_4arch9wavefront6targetE1EEEvT1_,comdat
	.protected	_ZN7rocprim17ROCPRIM_400000_NS6detail17trampoline_kernelINS0_14default_configENS1_20scan_config_selectorIyEEZZNS1_9scan_implILNS1_25lookback_scan_determinismE0ELb1ELb1ES3_N6thrust23THRUST_200600_302600_NS6detail15normal_iteratorINS9_10device_ptrIyEEEESE_yNS9_4plusIvEEyEEDaPvRmT3_T4_T5_mT6_P12ihipStream_tbENKUlT_T0_E_clISt17integral_constantIbLb0EESU_EEDaSP_SQ_EUlSP_E_NS1_11comp_targetILNS1_3genE9ELNS1_11target_archE1100ELNS1_3gpuE3ELNS1_3repE0EEENS1_30default_config_static_selectorELNS0_4arch9wavefront6targetE1EEEvT1_ ; -- Begin function _ZN7rocprim17ROCPRIM_400000_NS6detail17trampoline_kernelINS0_14default_configENS1_20scan_config_selectorIyEEZZNS1_9scan_implILNS1_25lookback_scan_determinismE0ELb1ELb1ES3_N6thrust23THRUST_200600_302600_NS6detail15normal_iteratorINS9_10device_ptrIyEEEESE_yNS9_4plusIvEEyEEDaPvRmT3_T4_T5_mT6_P12ihipStream_tbENKUlT_T0_E_clISt17integral_constantIbLb0EESU_EEDaSP_SQ_EUlSP_E_NS1_11comp_targetILNS1_3genE9ELNS1_11target_archE1100ELNS1_3gpuE3ELNS1_3repE0EEENS1_30default_config_static_selectorELNS0_4arch9wavefront6targetE1EEEvT1_
	.globl	_ZN7rocprim17ROCPRIM_400000_NS6detail17trampoline_kernelINS0_14default_configENS1_20scan_config_selectorIyEEZZNS1_9scan_implILNS1_25lookback_scan_determinismE0ELb1ELb1ES3_N6thrust23THRUST_200600_302600_NS6detail15normal_iteratorINS9_10device_ptrIyEEEESE_yNS9_4plusIvEEyEEDaPvRmT3_T4_T5_mT6_P12ihipStream_tbENKUlT_T0_E_clISt17integral_constantIbLb0EESU_EEDaSP_SQ_EUlSP_E_NS1_11comp_targetILNS1_3genE9ELNS1_11target_archE1100ELNS1_3gpuE3ELNS1_3repE0EEENS1_30default_config_static_selectorELNS0_4arch9wavefront6targetE1EEEvT1_
	.p2align	8
	.type	_ZN7rocprim17ROCPRIM_400000_NS6detail17trampoline_kernelINS0_14default_configENS1_20scan_config_selectorIyEEZZNS1_9scan_implILNS1_25lookback_scan_determinismE0ELb1ELb1ES3_N6thrust23THRUST_200600_302600_NS6detail15normal_iteratorINS9_10device_ptrIyEEEESE_yNS9_4plusIvEEyEEDaPvRmT3_T4_T5_mT6_P12ihipStream_tbENKUlT_T0_E_clISt17integral_constantIbLb0EESU_EEDaSP_SQ_EUlSP_E_NS1_11comp_targetILNS1_3genE9ELNS1_11target_archE1100ELNS1_3gpuE3ELNS1_3repE0EEENS1_30default_config_static_selectorELNS0_4arch9wavefront6targetE1EEEvT1_,@function
_ZN7rocprim17ROCPRIM_400000_NS6detail17trampoline_kernelINS0_14default_configENS1_20scan_config_selectorIyEEZZNS1_9scan_implILNS1_25lookback_scan_determinismE0ELb1ELb1ES3_N6thrust23THRUST_200600_302600_NS6detail15normal_iteratorINS9_10device_ptrIyEEEESE_yNS9_4plusIvEEyEEDaPvRmT3_T4_T5_mT6_P12ihipStream_tbENKUlT_T0_E_clISt17integral_constantIbLb0EESU_EEDaSP_SQ_EUlSP_E_NS1_11comp_targetILNS1_3genE9ELNS1_11target_archE1100ELNS1_3gpuE3ELNS1_3repE0EEENS1_30default_config_static_selectorELNS0_4arch9wavefront6targetE1EEEvT1_: ; @_ZN7rocprim17ROCPRIM_400000_NS6detail17trampoline_kernelINS0_14default_configENS1_20scan_config_selectorIyEEZZNS1_9scan_implILNS1_25lookback_scan_determinismE0ELb1ELb1ES3_N6thrust23THRUST_200600_302600_NS6detail15normal_iteratorINS9_10device_ptrIyEEEESE_yNS9_4plusIvEEyEEDaPvRmT3_T4_T5_mT6_P12ihipStream_tbENKUlT_T0_E_clISt17integral_constantIbLb0EESU_EEDaSP_SQ_EUlSP_E_NS1_11comp_targetILNS1_3genE9ELNS1_11target_archE1100ELNS1_3gpuE3ELNS1_3repE0EEENS1_30default_config_static_selectorELNS0_4arch9wavefront6targetE1EEEvT1_
; %bb.0:
	.section	.rodata,"a",@progbits
	.p2align	6, 0x0
	.amdhsa_kernel _ZN7rocprim17ROCPRIM_400000_NS6detail17trampoline_kernelINS0_14default_configENS1_20scan_config_selectorIyEEZZNS1_9scan_implILNS1_25lookback_scan_determinismE0ELb1ELb1ES3_N6thrust23THRUST_200600_302600_NS6detail15normal_iteratorINS9_10device_ptrIyEEEESE_yNS9_4plusIvEEyEEDaPvRmT3_T4_T5_mT6_P12ihipStream_tbENKUlT_T0_E_clISt17integral_constantIbLb0EESU_EEDaSP_SQ_EUlSP_E_NS1_11comp_targetILNS1_3genE9ELNS1_11target_archE1100ELNS1_3gpuE3ELNS1_3repE0EEENS1_30default_config_static_selectorELNS0_4arch9wavefront6targetE1EEEvT1_
		.amdhsa_group_segment_fixed_size 0
		.amdhsa_private_segment_fixed_size 0
		.amdhsa_kernarg_size 104
		.amdhsa_user_sgpr_count 6
		.amdhsa_user_sgpr_private_segment_buffer 1
		.amdhsa_user_sgpr_dispatch_ptr 0
		.amdhsa_user_sgpr_queue_ptr 0
		.amdhsa_user_sgpr_kernarg_segment_ptr 1
		.amdhsa_user_sgpr_dispatch_id 0
		.amdhsa_user_sgpr_flat_scratch_init 0
		.amdhsa_user_sgpr_kernarg_preload_length 0
		.amdhsa_user_sgpr_kernarg_preload_offset 0
		.amdhsa_user_sgpr_private_segment_size 0
		.amdhsa_uses_dynamic_stack 0
		.amdhsa_system_sgpr_private_segment_wavefront_offset 0
		.amdhsa_system_sgpr_workgroup_id_x 1
		.amdhsa_system_sgpr_workgroup_id_y 0
		.amdhsa_system_sgpr_workgroup_id_z 0
		.amdhsa_system_sgpr_workgroup_info 0
		.amdhsa_system_vgpr_workitem_id 0
		.amdhsa_next_free_vgpr 1
		.amdhsa_next_free_sgpr 0
		.amdhsa_accum_offset 4
		.amdhsa_reserve_vcc 0
		.amdhsa_reserve_flat_scratch 0
		.amdhsa_float_round_mode_32 0
		.amdhsa_float_round_mode_16_64 0
		.amdhsa_float_denorm_mode_32 3
		.amdhsa_float_denorm_mode_16_64 3
		.amdhsa_dx10_clamp 1
		.amdhsa_ieee_mode 1
		.amdhsa_fp16_overflow 0
		.amdhsa_tg_split 0
		.amdhsa_exception_fp_ieee_invalid_op 0
		.amdhsa_exception_fp_denorm_src 0
		.amdhsa_exception_fp_ieee_div_zero 0
		.amdhsa_exception_fp_ieee_overflow 0
		.amdhsa_exception_fp_ieee_underflow 0
		.amdhsa_exception_fp_ieee_inexact 0
		.amdhsa_exception_int_div_zero 0
	.end_amdhsa_kernel
	.section	.text._ZN7rocprim17ROCPRIM_400000_NS6detail17trampoline_kernelINS0_14default_configENS1_20scan_config_selectorIyEEZZNS1_9scan_implILNS1_25lookback_scan_determinismE0ELb1ELb1ES3_N6thrust23THRUST_200600_302600_NS6detail15normal_iteratorINS9_10device_ptrIyEEEESE_yNS9_4plusIvEEyEEDaPvRmT3_T4_T5_mT6_P12ihipStream_tbENKUlT_T0_E_clISt17integral_constantIbLb0EESU_EEDaSP_SQ_EUlSP_E_NS1_11comp_targetILNS1_3genE9ELNS1_11target_archE1100ELNS1_3gpuE3ELNS1_3repE0EEENS1_30default_config_static_selectorELNS0_4arch9wavefront6targetE1EEEvT1_,"axG",@progbits,_ZN7rocprim17ROCPRIM_400000_NS6detail17trampoline_kernelINS0_14default_configENS1_20scan_config_selectorIyEEZZNS1_9scan_implILNS1_25lookback_scan_determinismE0ELb1ELb1ES3_N6thrust23THRUST_200600_302600_NS6detail15normal_iteratorINS9_10device_ptrIyEEEESE_yNS9_4plusIvEEyEEDaPvRmT3_T4_T5_mT6_P12ihipStream_tbENKUlT_T0_E_clISt17integral_constantIbLb0EESU_EEDaSP_SQ_EUlSP_E_NS1_11comp_targetILNS1_3genE9ELNS1_11target_archE1100ELNS1_3gpuE3ELNS1_3repE0EEENS1_30default_config_static_selectorELNS0_4arch9wavefront6targetE1EEEvT1_,comdat
.Lfunc_end4509:
	.size	_ZN7rocprim17ROCPRIM_400000_NS6detail17trampoline_kernelINS0_14default_configENS1_20scan_config_selectorIyEEZZNS1_9scan_implILNS1_25lookback_scan_determinismE0ELb1ELb1ES3_N6thrust23THRUST_200600_302600_NS6detail15normal_iteratorINS9_10device_ptrIyEEEESE_yNS9_4plusIvEEyEEDaPvRmT3_T4_T5_mT6_P12ihipStream_tbENKUlT_T0_E_clISt17integral_constantIbLb0EESU_EEDaSP_SQ_EUlSP_E_NS1_11comp_targetILNS1_3genE9ELNS1_11target_archE1100ELNS1_3gpuE3ELNS1_3repE0EEENS1_30default_config_static_selectorELNS0_4arch9wavefront6targetE1EEEvT1_, .Lfunc_end4509-_ZN7rocprim17ROCPRIM_400000_NS6detail17trampoline_kernelINS0_14default_configENS1_20scan_config_selectorIyEEZZNS1_9scan_implILNS1_25lookback_scan_determinismE0ELb1ELb1ES3_N6thrust23THRUST_200600_302600_NS6detail15normal_iteratorINS9_10device_ptrIyEEEESE_yNS9_4plusIvEEyEEDaPvRmT3_T4_T5_mT6_P12ihipStream_tbENKUlT_T0_E_clISt17integral_constantIbLb0EESU_EEDaSP_SQ_EUlSP_E_NS1_11comp_targetILNS1_3genE9ELNS1_11target_archE1100ELNS1_3gpuE3ELNS1_3repE0EEENS1_30default_config_static_selectorELNS0_4arch9wavefront6targetE1EEEvT1_
                                        ; -- End function
	.section	.AMDGPU.csdata,"",@progbits
; Kernel info:
; codeLenInByte = 0
; NumSgprs: 4
; NumVgprs: 0
; NumAgprs: 0
; TotalNumVgprs: 0
; ScratchSize: 0
; MemoryBound: 0
; FloatMode: 240
; IeeeMode: 1
; LDSByteSize: 0 bytes/workgroup (compile time only)
; SGPRBlocks: 0
; VGPRBlocks: 0
; NumSGPRsForWavesPerEU: 4
; NumVGPRsForWavesPerEU: 1
; AccumOffset: 4
; Occupancy: 8
; WaveLimiterHint : 0
; COMPUTE_PGM_RSRC2:SCRATCH_EN: 0
; COMPUTE_PGM_RSRC2:USER_SGPR: 6
; COMPUTE_PGM_RSRC2:TRAP_HANDLER: 0
; COMPUTE_PGM_RSRC2:TGID_X_EN: 1
; COMPUTE_PGM_RSRC2:TGID_Y_EN: 0
; COMPUTE_PGM_RSRC2:TGID_Z_EN: 0
; COMPUTE_PGM_RSRC2:TIDIG_COMP_CNT: 0
; COMPUTE_PGM_RSRC3_GFX90A:ACCUM_OFFSET: 0
; COMPUTE_PGM_RSRC3_GFX90A:TG_SPLIT: 0
	.section	.text._ZN7rocprim17ROCPRIM_400000_NS6detail17trampoline_kernelINS0_14default_configENS1_20scan_config_selectorIyEEZZNS1_9scan_implILNS1_25lookback_scan_determinismE0ELb1ELb1ES3_N6thrust23THRUST_200600_302600_NS6detail15normal_iteratorINS9_10device_ptrIyEEEESE_yNS9_4plusIvEEyEEDaPvRmT3_T4_T5_mT6_P12ihipStream_tbENKUlT_T0_E_clISt17integral_constantIbLb0EESU_EEDaSP_SQ_EUlSP_E_NS1_11comp_targetILNS1_3genE8ELNS1_11target_archE1030ELNS1_3gpuE2ELNS1_3repE0EEENS1_30default_config_static_selectorELNS0_4arch9wavefront6targetE1EEEvT1_,"axG",@progbits,_ZN7rocprim17ROCPRIM_400000_NS6detail17trampoline_kernelINS0_14default_configENS1_20scan_config_selectorIyEEZZNS1_9scan_implILNS1_25lookback_scan_determinismE0ELb1ELb1ES3_N6thrust23THRUST_200600_302600_NS6detail15normal_iteratorINS9_10device_ptrIyEEEESE_yNS9_4plusIvEEyEEDaPvRmT3_T4_T5_mT6_P12ihipStream_tbENKUlT_T0_E_clISt17integral_constantIbLb0EESU_EEDaSP_SQ_EUlSP_E_NS1_11comp_targetILNS1_3genE8ELNS1_11target_archE1030ELNS1_3gpuE2ELNS1_3repE0EEENS1_30default_config_static_selectorELNS0_4arch9wavefront6targetE1EEEvT1_,comdat
	.protected	_ZN7rocprim17ROCPRIM_400000_NS6detail17trampoline_kernelINS0_14default_configENS1_20scan_config_selectorIyEEZZNS1_9scan_implILNS1_25lookback_scan_determinismE0ELb1ELb1ES3_N6thrust23THRUST_200600_302600_NS6detail15normal_iteratorINS9_10device_ptrIyEEEESE_yNS9_4plusIvEEyEEDaPvRmT3_T4_T5_mT6_P12ihipStream_tbENKUlT_T0_E_clISt17integral_constantIbLb0EESU_EEDaSP_SQ_EUlSP_E_NS1_11comp_targetILNS1_3genE8ELNS1_11target_archE1030ELNS1_3gpuE2ELNS1_3repE0EEENS1_30default_config_static_selectorELNS0_4arch9wavefront6targetE1EEEvT1_ ; -- Begin function _ZN7rocprim17ROCPRIM_400000_NS6detail17trampoline_kernelINS0_14default_configENS1_20scan_config_selectorIyEEZZNS1_9scan_implILNS1_25lookback_scan_determinismE0ELb1ELb1ES3_N6thrust23THRUST_200600_302600_NS6detail15normal_iteratorINS9_10device_ptrIyEEEESE_yNS9_4plusIvEEyEEDaPvRmT3_T4_T5_mT6_P12ihipStream_tbENKUlT_T0_E_clISt17integral_constantIbLb0EESU_EEDaSP_SQ_EUlSP_E_NS1_11comp_targetILNS1_3genE8ELNS1_11target_archE1030ELNS1_3gpuE2ELNS1_3repE0EEENS1_30default_config_static_selectorELNS0_4arch9wavefront6targetE1EEEvT1_
	.globl	_ZN7rocprim17ROCPRIM_400000_NS6detail17trampoline_kernelINS0_14default_configENS1_20scan_config_selectorIyEEZZNS1_9scan_implILNS1_25lookback_scan_determinismE0ELb1ELb1ES3_N6thrust23THRUST_200600_302600_NS6detail15normal_iteratorINS9_10device_ptrIyEEEESE_yNS9_4plusIvEEyEEDaPvRmT3_T4_T5_mT6_P12ihipStream_tbENKUlT_T0_E_clISt17integral_constantIbLb0EESU_EEDaSP_SQ_EUlSP_E_NS1_11comp_targetILNS1_3genE8ELNS1_11target_archE1030ELNS1_3gpuE2ELNS1_3repE0EEENS1_30default_config_static_selectorELNS0_4arch9wavefront6targetE1EEEvT1_
	.p2align	8
	.type	_ZN7rocprim17ROCPRIM_400000_NS6detail17trampoline_kernelINS0_14default_configENS1_20scan_config_selectorIyEEZZNS1_9scan_implILNS1_25lookback_scan_determinismE0ELb1ELb1ES3_N6thrust23THRUST_200600_302600_NS6detail15normal_iteratorINS9_10device_ptrIyEEEESE_yNS9_4plusIvEEyEEDaPvRmT3_T4_T5_mT6_P12ihipStream_tbENKUlT_T0_E_clISt17integral_constantIbLb0EESU_EEDaSP_SQ_EUlSP_E_NS1_11comp_targetILNS1_3genE8ELNS1_11target_archE1030ELNS1_3gpuE2ELNS1_3repE0EEENS1_30default_config_static_selectorELNS0_4arch9wavefront6targetE1EEEvT1_,@function
_ZN7rocprim17ROCPRIM_400000_NS6detail17trampoline_kernelINS0_14default_configENS1_20scan_config_selectorIyEEZZNS1_9scan_implILNS1_25lookback_scan_determinismE0ELb1ELb1ES3_N6thrust23THRUST_200600_302600_NS6detail15normal_iteratorINS9_10device_ptrIyEEEESE_yNS9_4plusIvEEyEEDaPvRmT3_T4_T5_mT6_P12ihipStream_tbENKUlT_T0_E_clISt17integral_constantIbLb0EESU_EEDaSP_SQ_EUlSP_E_NS1_11comp_targetILNS1_3genE8ELNS1_11target_archE1030ELNS1_3gpuE2ELNS1_3repE0EEENS1_30default_config_static_selectorELNS0_4arch9wavefront6targetE1EEEvT1_: ; @_ZN7rocprim17ROCPRIM_400000_NS6detail17trampoline_kernelINS0_14default_configENS1_20scan_config_selectorIyEEZZNS1_9scan_implILNS1_25lookback_scan_determinismE0ELb1ELb1ES3_N6thrust23THRUST_200600_302600_NS6detail15normal_iteratorINS9_10device_ptrIyEEEESE_yNS9_4plusIvEEyEEDaPvRmT3_T4_T5_mT6_P12ihipStream_tbENKUlT_T0_E_clISt17integral_constantIbLb0EESU_EEDaSP_SQ_EUlSP_E_NS1_11comp_targetILNS1_3genE8ELNS1_11target_archE1030ELNS1_3gpuE2ELNS1_3repE0EEENS1_30default_config_static_selectorELNS0_4arch9wavefront6targetE1EEEvT1_
; %bb.0:
	.section	.rodata,"a",@progbits
	.p2align	6, 0x0
	.amdhsa_kernel _ZN7rocprim17ROCPRIM_400000_NS6detail17trampoline_kernelINS0_14default_configENS1_20scan_config_selectorIyEEZZNS1_9scan_implILNS1_25lookback_scan_determinismE0ELb1ELb1ES3_N6thrust23THRUST_200600_302600_NS6detail15normal_iteratorINS9_10device_ptrIyEEEESE_yNS9_4plusIvEEyEEDaPvRmT3_T4_T5_mT6_P12ihipStream_tbENKUlT_T0_E_clISt17integral_constantIbLb0EESU_EEDaSP_SQ_EUlSP_E_NS1_11comp_targetILNS1_3genE8ELNS1_11target_archE1030ELNS1_3gpuE2ELNS1_3repE0EEENS1_30default_config_static_selectorELNS0_4arch9wavefront6targetE1EEEvT1_
		.amdhsa_group_segment_fixed_size 0
		.amdhsa_private_segment_fixed_size 0
		.amdhsa_kernarg_size 104
		.amdhsa_user_sgpr_count 6
		.amdhsa_user_sgpr_private_segment_buffer 1
		.amdhsa_user_sgpr_dispatch_ptr 0
		.amdhsa_user_sgpr_queue_ptr 0
		.amdhsa_user_sgpr_kernarg_segment_ptr 1
		.amdhsa_user_sgpr_dispatch_id 0
		.amdhsa_user_sgpr_flat_scratch_init 0
		.amdhsa_user_sgpr_kernarg_preload_length 0
		.amdhsa_user_sgpr_kernarg_preload_offset 0
		.amdhsa_user_sgpr_private_segment_size 0
		.amdhsa_uses_dynamic_stack 0
		.amdhsa_system_sgpr_private_segment_wavefront_offset 0
		.amdhsa_system_sgpr_workgroup_id_x 1
		.amdhsa_system_sgpr_workgroup_id_y 0
		.amdhsa_system_sgpr_workgroup_id_z 0
		.amdhsa_system_sgpr_workgroup_info 0
		.amdhsa_system_vgpr_workitem_id 0
		.amdhsa_next_free_vgpr 1
		.amdhsa_next_free_sgpr 0
		.amdhsa_accum_offset 4
		.amdhsa_reserve_vcc 0
		.amdhsa_reserve_flat_scratch 0
		.amdhsa_float_round_mode_32 0
		.amdhsa_float_round_mode_16_64 0
		.amdhsa_float_denorm_mode_32 3
		.amdhsa_float_denorm_mode_16_64 3
		.amdhsa_dx10_clamp 1
		.amdhsa_ieee_mode 1
		.amdhsa_fp16_overflow 0
		.amdhsa_tg_split 0
		.amdhsa_exception_fp_ieee_invalid_op 0
		.amdhsa_exception_fp_denorm_src 0
		.amdhsa_exception_fp_ieee_div_zero 0
		.amdhsa_exception_fp_ieee_overflow 0
		.amdhsa_exception_fp_ieee_underflow 0
		.amdhsa_exception_fp_ieee_inexact 0
		.amdhsa_exception_int_div_zero 0
	.end_amdhsa_kernel
	.section	.text._ZN7rocprim17ROCPRIM_400000_NS6detail17trampoline_kernelINS0_14default_configENS1_20scan_config_selectorIyEEZZNS1_9scan_implILNS1_25lookback_scan_determinismE0ELb1ELb1ES3_N6thrust23THRUST_200600_302600_NS6detail15normal_iteratorINS9_10device_ptrIyEEEESE_yNS9_4plusIvEEyEEDaPvRmT3_T4_T5_mT6_P12ihipStream_tbENKUlT_T0_E_clISt17integral_constantIbLb0EESU_EEDaSP_SQ_EUlSP_E_NS1_11comp_targetILNS1_3genE8ELNS1_11target_archE1030ELNS1_3gpuE2ELNS1_3repE0EEENS1_30default_config_static_selectorELNS0_4arch9wavefront6targetE1EEEvT1_,"axG",@progbits,_ZN7rocprim17ROCPRIM_400000_NS6detail17trampoline_kernelINS0_14default_configENS1_20scan_config_selectorIyEEZZNS1_9scan_implILNS1_25lookback_scan_determinismE0ELb1ELb1ES3_N6thrust23THRUST_200600_302600_NS6detail15normal_iteratorINS9_10device_ptrIyEEEESE_yNS9_4plusIvEEyEEDaPvRmT3_T4_T5_mT6_P12ihipStream_tbENKUlT_T0_E_clISt17integral_constantIbLb0EESU_EEDaSP_SQ_EUlSP_E_NS1_11comp_targetILNS1_3genE8ELNS1_11target_archE1030ELNS1_3gpuE2ELNS1_3repE0EEENS1_30default_config_static_selectorELNS0_4arch9wavefront6targetE1EEEvT1_,comdat
.Lfunc_end4510:
	.size	_ZN7rocprim17ROCPRIM_400000_NS6detail17trampoline_kernelINS0_14default_configENS1_20scan_config_selectorIyEEZZNS1_9scan_implILNS1_25lookback_scan_determinismE0ELb1ELb1ES3_N6thrust23THRUST_200600_302600_NS6detail15normal_iteratorINS9_10device_ptrIyEEEESE_yNS9_4plusIvEEyEEDaPvRmT3_T4_T5_mT6_P12ihipStream_tbENKUlT_T0_E_clISt17integral_constantIbLb0EESU_EEDaSP_SQ_EUlSP_E_NS1_11comp_targetILNS1_3genE8ELNS1_11target_archE1030ELNS1_3gpuE2ELNS1_3repE0EEENS1_30default_config_static_selectorELNS0_4arch9wavefront6targetE1EEEvT1_, .Lfunc_end4510-_ZN7rocprim17ROCPRIM_400000_NS6detail17trampoline_kernelINS0_14default_configENS1_20scan_config_selectorIyEEZZNS1_9scan_implILNS1_25lookback_scan_determinismE0ELb1ELb1ES3_N6thrust23THRUST_200600_302600_NS6detail15normal_iteratorINS9_10device_ptrIyEEEESE_yNS9_4plusIvEEyEEDaPvRmT3_T4_T5_mT6_P12ihipStream_tbENKUlT_T0_E_clISt17integral_constantIbLb0EESU_EEDaSP_SQ_EUlSP_E_NS1_11comp_targetILNS1_3genE8ELNS1_11target_archE1030ELNS1_3gpuE2ELNS1_3repE0EEENS1_30default_config_static_selectorELNS0_4arch9wavefront6targetE1EEEvT1_
                                        ; -- End function
	.section	.AMDGPU.csdata,"",@progbits
; Kernel info:
; codeLenInByte = 0
; NumSgprs: 4
; NumVgprs: 0
; NumAgprs: 0
; TotalNumVgprs: 0
; ScratchSize: 0
; MemoryBound: 0
; FloatMode: 240
; IeeeMode: 1
; LDSByteSize: 0 bytes/workgroup (compile time only)
; SGPRBlocks: 0
; VGPRBlocks: 0
; NumSGPRsForWavesPerEU: 4
; NumVGPRsForWavesPerEU: 1
; AccumOffset: 4
; Occupancy: 8
; WaveLimiterHint : 0
; COMPUTE_PGM_RSRC2:SCRATCH_EN: 0
; COMPUTE_PGM_RSRC2:USER_SGPR: 6
; COMPUTE_PGM_RSRC2:TRAP_HANDLER: 0
; COMPUTE_PGM_RSRC2:TGID_X_EN: 1
; COMPUTE_PGM_RSRC2:TGID_Y_EN: 0
; COMPUTE_PGM_RSRC2:TGID_Z_EN: 0
; COMPUTE_PGM_RSRC2:TIDIG_COMP_CNT: 0
; COMPUTE_PGM_RSRC3_GFX90A:ACCUM_OFFSET: 0
; COMPUTE_PGM_RSRC3_GFX90A:TG_SPLIT: 0
	.section	.text._ZN7rocprim17ROCPRIM_400000_NS6detail17trampoline_kernelINS0_14default_configENS1_20scan_config_selectorIyEEZZNS1_9scan_implILNS1_25lookback_scan_determinismE0ELb1ELb1ES3_N6thrust23THRUST_200600_302600_NS6detail15normal_iteratorINS9_10device_ptrIyEEEESE_yNS9_4plusIvEEyEEDaPvRmT3_T4_T5_mT6_P12ihipStream_tbENKUlT_T0_E_clISt17integral_constantIbLb0EESU_EEDaSP_SQ_EUlSP_E0_NS1_11comp_targetILNS1_3genE0ELNS1_11target_archE4294967295ELNS1_3gpuE0ELNS1_3repE0EEENS1_30default_config_static_selectorELNS0_4arch9wavefront6targetE1EEEvT1_,"axG",@progbits,_ZN7rocprim17ROCPRIM_400000_NS6detail17trampoline_kernelINS0_14default_configENS1_20scan_config_selectorIyEEZZNS1_9scan_implILNS1_25lookback_scan_determinismE0ELb1ELb1ES3_N6thrust23THRUST_200600_302600_NS6detail15normal_iteratorINS9_10device_ptrIyEEEESE_yNS9_4plusIvEEyEEDaPvRmT3_T4_T5_mT6_P12ihipStream_tbENKUlT_T0_E_clISt17integral_constantIbLb0EESU_EEDaSP_SQ_EUlSP_E0_NS1_11comp_targetILNS1_3genE0ELNS1_11target_archE4294967295ELNS1_3gpuE0ELNS1_3repE0EEENS1_30default_config_static_selectorELNS0_4arch9wavefront6targetE1EEEvT1_,comdat
	.protected	_ZN7rocprim17ROCPRIM_400000_NS6detail17trampoline_kernelINS0_14default_configENS1_20scan_config_selectorIyEEZZNS1_9scan_implILNS1_25lookback_scan_determinismE0ELb1ELb1ES3_N6thrust23THRUST_200600_302600_NS6detail15normal_iteratorINS9_10device_ptrIyEEEESE_yNS9_4plusIvEEyEEDaPvRmT3_T4_T5_mT6_P12ihipStream_tbENKUlT_T0_E_clISt17integral_constantIbLb0EESU_EEDaSP_SQ_EUlSP_E0_NS1_11comp_targetILNS1_3genE0ELNS1_11target_archE4294967295ELNS1_3gpuE0ELNS1_3repE0EEENS1_30default_config_static_selectorELNS0_4arch9wavefront6targetE1EEEvT1_ ; -- Begin function _ZN7rocprim17ROCPRIM_400000_NS6detail17trampoline_kernelINS0_14default_configENS1_20scan_config_selectorIyEEZZNS1_9scan_implILNS1_25lookback_scan_determinismE0ELb1ELb1ES3_N6thrust23THRUST_200600_302600_NS6detail15normal_iteratorINS9_10device_ptrIyEEEESE_yNS9_4plusIvEEyEEDaPvRmT3_T4_T5_mT6_P12ihipStream_tbENKUlT_T0_E_clISt17integral_constantIbLb0EESU_EEDaSP_SQ_EUlSP_E0_NS1_11comp_targetILNS1_3genE0ELNS1_11target_archE4294967295ELNS1_3gpuE0ELNS1_3repE0EEENS1_30default_config_static_selectorELNS0_4arch9wavefront6targetE1EEEvT1_
	.globl	_ZN7rocprim17ROCPRIM_400000_NS6detail17trampoline_kernelINS0_14default_configENS1_20scan_config_selectorIyEEZZNS1_9scan_implILNS1_25lookback_scan_determinismE0ELb1ELb1ES3_N6thrust23THRUST_200600_302600_NS6detail15normal_iteratorINS9_10device_ptrIyEEEESE_yNS9_4plusIvEEyEEDaPvRmT3_T4_T5_mT6_P12ihipStream_tbENKUlT_T0_E_clISt17integral_constantIbLb0EESU_EEDaSP_SQ_EUlSP_E0_NS1_11comp_targetILNS1_3genE0ELNS1_11target_archE4294967295ELNS1_3gpuE0ELNS1_3repE0EEENS1_30default_config_static_selectorELNS0_4arch9wavefront6targetE1EEEvT1_
	.p2align	8
	.type	_ZN7rocprim17ROCPRIM_400000_NS6detail17trampoline_kernelINS0_14default_configENS1_20scan_config_selectorIyEEZZNS1_9scan_implILNS1_25lookback_scan_determinismE0ELb1ELb1ES3_N6thrust23THRUST_200600_302600_NS6detail15normal_iteratorINS9_10device_ptrIyEEEESE_yNS9_4plusIvEEyEEDaPvRmT3_T4_T5_mT6_P12ihipStream_tbENKUlT_T0_E_clISt17integral_constantIbLb0EESU_EEDaSP_SQ_EUlSP_E0_NS1_11comp_targetILNS1_3genE0ELNS1_11target_archE4294967295ELNS1_3gpuE0ELNS1_3repE0EEENS1_30default_config_static_selectorELNS0_4arch9wavefront6targetE1EEEvT1_,@function
_ZN7rocprim17ROCPRIM_400000_NS6detail17trampoline_kernelINS0_14default_configENS1_20scan_config_selectorIyEEZZNS1_9scan_implILNS1_25lookback_scan_determinismE0ELb1ELb1ES3_N6thrust23THRUST_200600_302600_NS6detail15normal_iteratorINS9_10device_ptrIyEEEESE_yNS9_4plusIvEEyEEDaPvRmT3_T4_T5_mT6_P12ihipStream_tbENKUlT_T0_E_clISt17integral_constantIbLb0EESU_EEDaSP_SQ_EUlSP_E0_NS1_11comp_targetILNS1_3genE0ELNS1_11target_archE4294967295ELNS1_3gpuE0ELNS1_3repE0EEENS1_30default_config_static_selectorELNS0_4arch9wavefront6targetE1EEEvT1_: ; @_ZN7rocprim17ROCPRIM_400000_NS6detail17trampoline_kernelINS0_14default_configENS1_20scan_config_selectorIyEEZZNS1_9scan_implILNS1_25lookback_scan_determinismE0ELb1ELb1ES3_N6thrust23THRUST_200600_302600_NS6detail15normal_iteratorINS9_10device_ptrIyEEEESE_yNS9_4plusIvEEyEEDaPvRmT3_T4_T5_mT6_P12ihipStream_tbENKUlT_T0_E_clISt17integral_constantIbLb0EESU_EEDaSP_SQ_EUlSP_E0_NS1_11comp_targetILNS1_3genE0ELNS1_11target_archE4294967295ELNS1_3gpuE0ELNS1_3repE0EEENS1_30default_config_static_selectorELNS0_4arch9wavefront6targetE1EEEvT1_
; %bb.0:
	.section	.rodata,"a",@progbits
	.p2align	6, 0x0
	.amdhsa_kernel _ZN7rocprim17ROCPRIM_400000_NS6detail17trampoline_kernelINS0_14default_configENS1_20scan_config_selectorIyEEZZNS1_9scan_implILNS1_25lookback_scan_determinismE0ELb1ELb1ES3_N6thrust23THRUST_200600_302600_NS6detail15normal_iteratorINS9_10device_ptrIyEEEESE_yNS9_4plusIvEEyEEDaPvRmT3_T4_T5_mT6_P12ihipStream_tbENKUlT_T0_E_clISt17integral_constantIbLb0EESU_EEDaSP_SQ_EUlSP_E0_NS1_11comp_targetILNS1_3genE0ELNS1_11target_archE4294967295ELNS1_3gpuE0ELNS1_3repE0EEENS1_30default_config_static_selectorELNS0_4arch9wavefront6targetE1EEEvT1_
		.amdhsa_group_segment_fixed_size 0
		.amdhsa_private_segment_fixed_size 0
		.amdhsa_kernarg_size 40
		.amdhsa_user_sgpr_count 6
		.amdhsa_user_sgpr_private_segment_buffer 1
		.amdhsa_user_sgpr_dispatch_ptr 0
		.amdhsa_user_sgpr_queue_ptr 0
		.amdhsa_user_sgpr_kernarg_segment_ptr 1
		.amdhsa_user_sgpr_dispatch_id 0
		.amdhsa_user_sgpr_flat_scratch_init 0
		.amdhsa_user_sgpr_kernarg_preload_length 0
		.amdhsa_user_sgpr_kernarg_preload_offset 0
		.amdhsa_user_sgpr_private_segment_size 0
		.amdhsa_uses_dynamic_stack 0
		.amdhsa_system_sgpr_private_segment_wavefront_offset 0
		.amdhsa_system_sgpr_workgroup_id_x 1
		.amdhsa_system_sgpr_workgroup_id_y 0
		.amdhsa_system_sgpr_workgroup_id_z 0
		.amdhsa_system_sgpr_workgroup_info 0
		.amdhsa_system_vgpr_workitem_id 0
		.amdhsa_next_free_vgpr 1
		.amdhsa_next_free_sgpr 0
		.amdhsa_accum_offset 4
		.amdhsa_reserve_vcc 0
		.amdhsa_reserve_flat_scratch 0
		.amdhsa_float_round_mode_32 0
		.amdhsa_float_round_mode_16_64 0
		.amdhsa_float_denorm_mode_32 3
		.amdhsa_float_denorm_mode_16_64 3
		.amdhsa_dx10_clamp 1
		.amdhsa_ieee_mode 1
		.amdhsa_fp16_overflow 0
		.amdhsa_tg_split 0
		.amdhsa_exception_fp_ieee_invalid_op 0
		.amdhsa_exception_fp_denorm_src 0
		.amdhsa_exception_fp_ieee_div_zero 0
		.amdhsa_exception_fp_ieee_overflow 0
		.amdhsa_exception_fp_ieee_underflow 0
		.amdhsa_exception_fp_ieee_inexact 0
		.amdhsa_exception_int_div_zero 0
	.end_amdhsa_kernel
	.section	.text._ZN7rocprim17ROCPRIM_400000_NS6detail17trampoline_kernelINS0_14default_configENS1_20scan_config_selectorIyEEZZNS1_9scan_implILNS1_25lookback_scan_determinismE0ELb1ELb1ES3_N6thrust23THRUST_200600_302600_NS6detail15normal_iteratorINS9_10device_ptrIyEEEESE_yNS9_4plusIvEEyEEDaPvRmT3_T4_T5_mT6_P12ihipStream_tbENKUlT_T0_E_clISt17integral_constantIbLb0EESU_EEDaSP_SQ_EUlSP_E0_NS1_11comp_targetILNS1_3genE0ELNS1_11target_archE4294967295ELNS1_3gpuE0ELNS1_3repE0EEENS1_30default_config_static_selectorELNS0_4arch9wavefront6targetE1EEEvT1_,"axG",@progbits,_ZN7rocprim17ROCPRIM_400000_NS6detail17trampoline_kernelINS0_14default_configENS1_20scan_config_selectorIyEEZZNS1_9scan_implILNS1_25lookback_scan_determinismE0ELb1ELb1ES3_N6thrust23THRUST_200600_302600_NS6detail15normal_iteratorINS9_10device_ptrIyEEEESE_yNS9_4plusIvEEyEEDaPvRmT3_T4_T5_mT6_P12ihipStream_tbENKUlT_T0_E_clISt17integral_constantIbLb0EESU_EEDaSP_SQ_EUlSP_E0_NS1_11comp_targetILNS1_3genE0ELNS1_11target_archE4294967295ELNS1_3gpuE0ELNS1_3repE0EEENS1_30default_config_static_selectorELNS0_4arch9wavefront6targetE1EEEvT1_,comdat
.Lfunc_end4511:
	.size	_ZN7rocprim17ROCPRIM_400000_NS6detail17trampoline_kernelINS0_14default_configENS1_20scan_config_selectorIyEEZZNS1_9scan_implILNS1_25lookback_scan_determinismE0ELb1ELb1ES3_N6thrust23THRUST_200600_302600_NS6detail15normal_iteratorINS9_10device_ptrIyEEEESE_yNS9_4plusIvEEyEEDaPvRmT3_T4_T5_mT6_P12ihipStream_tbENKUlT_T0_E_clISt17integral_constantIbLb0EESU_EEDaSP_SQ_EUlSP_E0_NS1_11comp_targetILNS1_3genE0ELNS1_11target_archE4294967295ELNS1_3gpuE0ELNS1_3repE0EEENS1_30default_config_static_selectorELNS0_4arch9wavefront6targetE1EEEvT1_, .Lfunc_end4511-_ZN7rocprim17ROCPRIM_400000_NS6detail17trampoline_kernelINS0_14default_configENS1_20scan_config_selectorIyEEZZNS1_9scan_implILNS1_25lookback_scan_determinismE0ELb1ELb1ES3_N6thrust23THRUST_200600_302600_NS6detail15normal_iteratorINS9_10device_ptrIyEEEESE_yNS9_4plusIvEEyEEDaPvRmT3_T4_T5_mT6_P12ihipStream_tbENKUlT_T0_E_clISt17integral_constantIbLb0EESU_EEDaSP_SQ_EUlSP_E0_NS1_11comp_targetILNS1_3genE0ELNS1_11target_archE4294967295ELNS1_3gpuE0ELNS1_3repE0EEENS1_30default_config_static_selectorELNS0_4arch9wavefront6targetE1EEEvT1_
                                        ; -- End function
	.section	.AMDGPU.csdata,"",@progbits
; Kernel info:
; codeLenInByte = 0
; NumSgprs: 4
; NumVgprs: 0
; NumAgprs: 0
; TotalNumVgprs: 0
; ScratchSize: 0
; MemoryBound: 0
; FloatMode: 240
; IeeeMode: 1
; LDSByteSize: 0 bytes/workgroup (compile time only)
; SGPRBlocks: 0
; VGPRBlocks: 0
; NumSGPRsForWavesPerEU: 4
; NumVGPRsForWavesPerEU: 1
; AccumOffset: 4
; Occupancy: 8
; WaveLimiterHint : 0
; COMPUTE_PGM_RSRC2:SCRATCH_EN: 0
; COMPUTE_PGM_RSRC2:USER_SGPR: 6
; COMPUTE_PGM_RSRC2:TRAP_HANDLER: 0
; COMPUTE_PGM_RSRC2:TGID_X_EN: 1
; COMPUTE_PGM_RSRC2:TGID_Y_EN: 0
; COMPUTE_PGM_RSRC2:TGID_Z_EN: 0
; COMPUTE_PGM_RSRC2:TIDIG_COMP_CNT: 0
; COMPUTE_PGM_RSRC3_GFX90A:ACCUM_OFFSET: 0
; COMPUTE_PGM_RSRC3_GFX90A:TG_SPLIT: 0
	.section	.text._ZN7rocprim17ROCPRIM_400000_NS6detail17trampoline_kernelINS0_14default_configENS1_20scan_config_selectorIyEEZZNS1_9scan_implILNS1_25lookback_scan_determinismE0ELb1ELb1ES3_N6thrust23THRUST_200600_302600_NS6detail15normal_iteratorINS9_10device_ptrIyEEEESE_yNS9_4plusIvEEyEEDaPvRmT3_T4_T5_mT6_P12ihipStream_tbENKUlT_T0_E_clISt17integral_constantIbLb0EESU_EEDaSP_SQ_EUlSP_E0_NS1_11comp_targetILNS1_3genE5ELNS1_11target_archE942ELNS1_3gpuE9ELNS1_3repE0EEENS1_30default_config_static_selectorELNS0_4arch9wavefront6targetE1EEEvT1_,"axG",@progbits,_ZN7rocprim17ROCPRIM_400000_NS6detail17trampoline_kernelINS0_14default_configENS1_20scan_config_selectorIyEEZZNS1_9scan_implILNS1_25lookback_scan_determinismE0ELb1ELb1ES3_N6thrust23THRUST_200600_302600_NS6detail15normal_iteratorINS9_10device_ptrIyEEEESE_yNS9_4plusIvEEyEEDaPvRmT3_T4_T5_mT6_P12ihipStream_tbENKUlT_T0_E_clISt17integral_constantIbLb0EESU_EEDaSP_SQ_EUlSP_E0_NS1_11comp_targetILNS1_3genE5ELNS1_11target_archE942ELNS1_3gpuE9ELNS1_3repE0EEENS1_30default_config_static_selectorELNS0_4arch9wavefront6targetE1EEEvT1_,comdat
	.protected	_ZN7rocprim17ROCPRIM_400000_NS6detail17trampoline_kernelINS0_14default_configENS1_20scan_config_selectorIyEEZZNS1_9scan_implILNS1_25lookback_scan_determinismE0ELb1ELb1ES3_N6thrust23THRUST_200600_302600_NS6detail15normal_iteratorINS9_10device_ptrIyEEEESE_yNS9_4plusIvEEyEEDaPvRmT3_T4_T5_mT6_P12ihipStream_tbENKUlT_T0_E_clISt17integral_constantIbLb0EESU_EEDaSP_SQ_EUlSP_E0_NS1_11comp_targetILNS1_3genE5ELNS1_11target_archE942ELNS1_3gpuE9ELNS1_3repE0EEENS1_30default_config_static_selectorELNS0_4arch9wavefront6targetE1EEEvT1_ ; -- Begin function _ZN7rocprim17ROCPRIM_400000_NS6detail17trampoline_kernelINS0_14default_configENS1_20scan_config_selectorIyEEZZNS1_9scan_implILNS1_25lookback_scan_determinismE0ELb1ELb1ES3_N6thrust23THRUST_200600_302600_NS6detail15normal_iteratorINS9_10device_ptrIyEEEESE_yNS9_4plusIvEEyEEDaPvRmT3_T4_T5_mT6_P12ihipStream_tbENKUlT_T0_E_clISt17integral_constantIbLb0EESU_EEDaSP_SQ_EUlSP_E0_NS1_11comp_targetILNS1_3genE5ELNS1_11target_archE942ELNS1_3gpuE9ELNS1_3repE0EEENS1_30default_config_static_selectorELNS0_4arch9wavefront6targetE1EEEvT1_
	.globl	_ZN7rocprim17ROCPRIM_400000_NS6detail17trampoline_kernelINS0_14default_configENS1_20scan_config_selectorIyEEZZNS1_9scan_implILNS1_25lookback_scan_determinismE0ELb1ELb1ES3_N6thrust23THRUST_200600_302600_NS6detail15normal_iteratorINS9_10device_ptrIyEEEESE_yNS9_4plusIvEEyEEDaPvRmT3_T4_T5_mT6_P12ihipStream_tbENKUlT_T0_E_clISt17integral_constantIbLb0EESU_EEDaSP_SQ_EUlSP_E0_NS1_11comp_targetILNS1_3genE5ELNS1_11target_archE942ELNS1_3gpuE9ELNS1_3repE0EEENS1_30default_config_static_selectorELNS0_4arch9wavefront6targetE1EEEvT1_
	.p2align	8
	.type	_ZN7rocprim17ROCPRIM_400000_NS6detail17trampoline_kernelINS0_14default_configENS1_20scan_config_selectorIyEEZZNS1_9scan_implILNS1_25lookback_scan_determinismE0ELb1ELb1ES3_N6thrust23THRUST_200600_302600_NS6detail15normal_iteratorINS9_10device_ptrIyEEEESE_yNS9_4plusIvEEyEEDaPvRmT3_T4_T5_mT6_P12ihipStream_tbENKUlT_T0_E_clISt17integral_constantIbLb0EESU_EEDaSP_SQ_EUlSP_E0_NS1_11comp_targetILNS1_3genE5ELNS1_11target_archE942ELNS1_3gpuE9ELNS1_3repE0EEENS1_30default_config_static_selectorELNS0_4arch9wavefront6targetE1EEEvT1_,@function
_ZN7rocprim17ROCPRIM_400000_NS6detail17trampoline_kernelINS0_14default_configENS1_20scan_config_selectorIyEEZZNS1_9scan_implILNS1_25lookback_scan_determinismE0ELb1ELb1ES3_N6thrust23THRUST_200600_302600_NS6detail15normal_iteratorINS9_10device_ptrIyEEEESE_yNS9_4plusIvEEyEEDaPvRmT3_T4_T5_mT6_P12ihipStream_tbENKUlT_T0_E_clISt17integral_constantIbLb0EESU_EEDaSP_SQ_EUlSP_E0_NS1_11comp_targetILNS1_3genE5ELNS1_11target_archE942ELNS1_3gpuE9ELNS1_3repE0EEENS1_30default_config_static_selectorELNS0_4arch9wavefront6targetE1EEEvT1_: ; @_ZN7rocprim17ROCPRIM_400000_NS6detail17trampoline_kernelINS0_14default_configENS1_20scan_config_selectorIyEEZZNS1_9scan_implILNS1_25lookback_scan_determinismE0ELb1ELb1ES3_N6thrust23THRUST_200600_302600_NS6detail15normal_iteratorINS9_10device_ptrIyEEEESE_yNS9_4plusIvEEyEEDaPvRmT3_T4_T5_mT6_P12ihipStream_tbENKUlT_T0_E_clISt17integral_constantIbLb0EESU_EEDaSP_SQ_EUlSP_E0_NS1_11comp_targetILNS1_3genE5ELNS1_11target_archE942ELNS1_3gpuE9ELNS1_3repE0EEENS1_30default_config_static_selectorELNS0_4arch9wavefront6targetE1EEEvT1_
; %bb.0:
	.section	.rodata,"a",@progbits
	.p2align	6, 0x0
	.amdhsa_kernel _ZN7rocprim17ROCPRIM_400000_NS6detail17trampoline_kernelINS0_14default_configENS1_20scan_config_selectorIyEEZZNS1_9scan_implILNS1_25lookback_scan_determinismE0ELb1ELb1ES3_N6thrust23THRUST_200600_302600_NS6detail15normal_iteratorINS9_10device_ptrIyEEEESE_yNS9_4plusIvEEyEEDaPvRmT3_T4_T5_mT6_P12ihipStream_tbENKUlT_T0_E_clISt17integral_constantIbLb0EESU_EEDaSP_SQ_EUlSP_E0_NS1_11comp_targetILNS1_3genE5ELNS1_11target_archE942ELNS1_3gpuE9ELNS1_3repE0EEENS1_30default_config_static_selectorELNS0_4arch9wavefront6targetE1EEEvT1_
		.amdhsa_group_segment_fixed_size 0
		.amdhsa_private_segment_fixed_size 0
		.amdhsa_kernarg_size 40
		.amdhsa_user_sgpr_count 6
		.amdhsa_user_sgpr_private_segment_buffer 1
		.amdhsa_user_sgpr_dispatch_ptr 0
		.amdhsa_user_sgpr_queue_ptr 0
		.amdhsa_user_sgpr_kernarg_segment_ptr 1
		.amdhsa_user_sgpr_dispatch_id 0
		.amdhsa_user_sgpr_flat_scratch_init 0
		.amdhsa_user_sgpr_kernarg_preload_length 0
		.amdhsa_user_sgpr_kernarg_preload_offset 0
		.amdhsa_user_sgpr_private_segment_size 0
		.amdhsa_uses_dynamic_stack 0
		.amdhsa_system_sgpr_private_segment_wavefront_offset 0
		.amdhsa_system_sgpr_workgroup_id_x 1
		.amdhsa_system_sgpr_workgroup_id_y 0
		.amdhsa_system_sgpr_workgroup_id_z 0
		.amdhsa_system_sgpr_workgroup_info 0
		.amdhsa_system_vgpr_workitem_id 0
		.amdhsa_next_free_vgpr 1
		.amdhsa_next_free_sgpr 0
		.amdhsa_accum_offset 4
		.amdhsa_reserve_vcc 0
		.amdhsa_reserve_flat_scratch 0
		.amdhsa_float_round_mode_32 0
		.amdhsa_float_round_mode_16_64 0
		.amdhsa_float_denorm_mode_32 3
		.amdhsa_float_denorm_mode_16_64 3
		.amdhsa_dx10_clamp 1
		.amdhsa_ieee_mode 1
		.amdhsa_fp16_overflow 0
		.amdhsa_tg_split 0
		.amdhsa_exception_fp_ieee_invalid_op 0
		.amdhsa_exception_fp_denorm_src 0
		.amdhsa_exception_fp_ieee_div_zero 0
		.amdhsa_exception_fp_ieee_overflow 0
		.amdhsa_exception_fp_ieee_underflow 0
		.amdhsa_exception_fp_ieee_inexact 0
		.amdhsa_exception_int_div_zero 0
	.end_amdhsa_kernel
	.section	.text._ZN7rocprim17ROCPRIM_400000_NS6detail17trampoline_kernelINS0_14default_configENS1_20scan_config_selectorIyEEZZNS1_9scan_implILNS1_25lookback_scan_determinismE0ELb1ELb1ES3_N6thrust23THRUST_200600_302600_NS6detail15normal_iteratorINS9_10device_ptrIyEEEESE_yNS9_4plusIvEEyEEDaPvRmT3_T4_T5_mT6_P12ihipStream_tbENKUlT_T0_E_clISt17integral_constantIbLb0EESU_EEDaSP_SQ_EUlSP_E0_NS1_11comp_targetILNS1_3genE5ELNS1_11target_archE942ELNS1_3gpuE9ELNS1_3repE0EEENS1_30default_config_static_selectorELNS0_4arch9wavefront6targetE1EEEvT1_,"axG",@progbits,_ZN7rocprim17ROCPRIM_400000_NS6detail17trampoline_kernelINS0_14default_configENS1_20scan_config_selectorIyEEZZNS1_9scan_implILNS1_25lookback_scan_determinismE0ELb1ELb1ES3_N6thrust23THRUST_200600_302600_NS6detail15normal_iteratorINS9_10device_ptrIyEEEESE_yNS9_4plusIvEEyEEDaPvRmT3_T4_T5_mT6_P12ihipStream_tbENKUlT_T0_E_clISt17integral_constantIbLb0EESU_EEDaSP_SQ_EUlSP_E0_NS1_11comp_targetILNS1_3genE5ELNS1_11target_archE942ELNS1_3gpuE9ELNS1_3repE0EEENS1_30default_config_static_selectorELNS0_4arch9wavefront6targetE1EEEvT1_,comdat
.Lfunc_end4512:
	.size	_ZN7rocprim17ROCPRIM_400000_NS6detail17trampoline_kernelINS0_14default_configENS1_20scan_config_selectorIyEEZZNS1_9scan_implILNS1_25lookback_scan_determinismE0ELb1ELb1ES3_N6thrust23THRUST_200600_302600_NS6detail15normal_iteratorINS9_10device_ptrIyEEEESE_yNS9_4plusIvEEyEEDaPvRmT3_T4_T5_mT6_P12ihipStream_tbENKUlT_T0_E_clISt17integral_constantIbLb0EESU_EEDaSP_SQ_EUlSP_E0_NS1_11comp_targetILNS1_3genE5ELNS1_11target_archE942ELNS1_3gpuE9ELNS1_3repE0EEENS1_30default_config_static_selectorELNS0_4arch9wavefront6targetE1EEEvT1_, .Lfunc_end4512-_ZN7rocprim17ROCPRIM_400000_NS6detail17trampoline_kernelINS0_14default_configENS1_20scan_config_selectorIyEEZZNS1_9scan_implILNS1_25lookback_scan_determinismE0ELb1ELb1ES3_N6thrust23THRUST_200600_302600_NS6detail15normal_iteratorINS9_10device_ptrIyEEEESE_yNS9_4plusIvEEyEEDaPvRmT3_T4_T5_mT6_P12ihipStream_tbENKUlT_T0_E_clISt17integral_constantIbLb0EESU_EEDaSP_SQ_EUlSP_E0_NS1_11comp_targetILNS1_3genE5ELNS1_11target_archE942ELNS1_3gpuE9ELNS1_3repE0EEENS1_30default_config_static_selectorELNS0_4arch9wavefront6targetE1EEEvT1_
                                        ; -- End function
	.section	.AMDGPU.csdata,"",@progbits
; Kernel info:
; codeLenInByte = 0
; NumSgprs: 4
; NumVgprs: 0
; NumAgprs: 0
; TotalNumVgprs: 0
; ScratchSize: 0
; MemoryBound: 0
; FloatMode: 240
; IeeeMode: 1
; LDSByteSize: 0 bytes/workgroup (compile time only)
; SGPRBlocks: 0
; VGPRBlocks: 0
; NumSGPRsForWavesPerEU: 4
; NumVGPRsForWavesPerEU: 1
; AccumOffset: 4
; Occupancy: 8
; WaveLimiterHint : 0
; COMPUTE_PGM_RSRC2:SCRATCH_EN: 0
; COMPUTE_PGM_RSRC2:USER_SGPR: 6
; COMPUTE_PGM_RSRC2:TRAP_HANDLER: 0
; COMPUTE_PGM_RSRC2:TGID_X_EN: 1
; COMPUTE_PGM_RSRC2:TGID_Y_EN: 0
; COMPUTE_PGM_RSRC2:TGID_Z_EN: 0
; COMPUTE_PGM_RSRC2:TIDIG_COMP_CNT: 0
; COMPUTE_PGM_RSRC3_GFX90A:ACCUM_OFFSET: 0
; COMPUTE_PGM_RSRC3_GFX90A:TG_SPLIT: 0
	.section	.text._ZN7rocprim17ROCPRIM_400000_NS6detail17trampoline_kernelINS0_14default_configENS1_20scan_config_selectorIyEEZZNS1_9scan_implILNS1_25lookback_scan_determinismE0ELb1ELb1ES3_N6thrust23THRUST_200600_302600_NS6detail15normal_iteratorINS9_10device_ptrIyEEEESE_yNS9_4plusIvEEyEEDaPvRmT3_T4_T5_mT6_P12ihipStream_tbENKUlT_T0_E_clISt17integral_constantIbLb0EESU_EEDaSP_SQ_EUlSP_E0_NS1_11comp_targetILNS1_3genE4ELNS1_11target_archE910ELNS1_3gpuE8ELNS1_3repE0EEENS1_30default_config_static_selectorELNS0_4arch9wavefront6targetE1EEEvT1_,"axG",@progbits,_ZN7rocprim17ROCPRIM_400000_NS6detail17trampoline_kernelINS0_14default_configENS1_20scan_config_selectorIyEEZZNS1_9scan_implILNS1_25lookback_scan_determinismE0ELb1ELb1ES3_N6thrust23THRUST_200600_302600_NS6detail15normal_iteratorINS9_10device_ptrIyEEEESE_yNS9_4plusIvEEyEEDaPvRmT3_T4_T5_mT6_P12ihipStream_tbENKUlT_T0_E_clISt17integral_constantIbLb0EESU_EEDaSP_SQ_EUlSP_E0_NS1_11comp_targetILNS1_3genE4ELNS1_11target_archE910ELNS1_3gpuE8ELNS1_3repE0EEENS1_30default_config_static_selectorELNS0_4arch9wavefront6targetE1EEEvT1_,comdat
	.protected	_ZN7rocprim17ROCPRIM_400000_NS6detail17trampoline_kernelINS0_14default_configENS1_20scan_config_selectorIyEEZZNS1_9scan_implILNS1_25lookback_scan_determinismE0ELb1ELb1ES3_N6thrust23THRUST_200600_302600_NS6detail15normal_iteratorINS9_10device_ptrIyEEEESE_yNS9_4plusIvEEyEEDaPvRmT3_T4_T5_mT6_P12ihipStream_tbENKUlT_T0_E_clISt17integral_constantIbLb0EESU_EEDaSP_SQ_EUlSP_E0_NS1_11comp_targetILNS1_3genE4ELNS1_11target_archE910ELNS1_3gpuE8ELNS1_3repE0EEENS1_30default_config_static_selectorELNS0_4arch9wavefront6targetE1EEEvT1_ ; -- Begin function _ZN7rocprim17ROCPRIM_400000_NS6detail17trampoline_kernelINS0_14default_configENS1_20scan_config_selectorIyEEZZNS1_9scan_implILNS1_25lookback_scan_determinismE0ELb1ELb1ES3_N6thrust23THRUST_200600_302600_NS6detail15normal_iteratorINS9_10device_ptrIyEEEESE_yNS9_4plusIvEEyEEDaPvRmT3_T4_T5_mT6_P12ihipStream_tbENKUlT_T0_E_clISt17integral_constantIbLb0EESU_EEDaSP_SQ_EUlSP_E0_NS1_11comp_targetILNS1_3genE4ELNS1_11target_archE910ELNS1_3gpuE8ELNS1_3repE0EEENS1_30default_config_static_selectorELNS0_4arch9wavefront6targetE1EEEvT1_
	.globl	_ZN7rocprim17ROCPRIM_400000_NS6detail17trampoline_kernelINS0_14default_configENS1_20scan_config_selectorIyEEZZNS1_9scan_implILNS1_25lookback_scan_determinismE0ELb1ELb1ES3_N6thrust23THRUST_200600_302600_NS6detail15normal_iteratorINS9_10device_ptrIyEEEESE_yNS9_4plusIvEEyEEDaPvRmT3_T4_T5_mT6_P12ihipStream_tbENKUlT_T0_E_clISt17integral_constantIbLb0EESU_EEDaSP_SQ_EUlSP_E0_NS1_11comp_targetILNS1_3genE4ELNS1_11target_archE910ELNS1_3gpuE8ELNS1_3repE0EEENS1_30default_config_static_selectorELNS0_4arch9wavefront6targetE1EEEvT1_
	.p2align	8
	.type	_ZN7rocprim17ROCPRIM_400000_NS6detail17trampoline_kernelINS0_14default_configENS1_20scan_config_selectorIyEEZZNS1_9scan_implILNS1_25lookback_scan_determinismE0ELb1ELb1ES3_N6thrust23THRUST_200600_302600_NS6detail15normal_iteratorINS9_10device_ptrIyEEEESE_yNS9_4plusIvEEyEEDaPvRmT3_T4_T5_mT6_P12ihipStream_tbENKUlT_T0_E_clISt17integral_constantIbLb0EESU_EEDaSP_SQ_EUlSP_E0_NS1_11comp_targetILNS1_3genE4ELNS1_11target_archE910ELNS1_3gpuE8ELNS1_3repE0EEENS1_30default_config_static_selectorELNS0_4arch9wavefront6targetE1EEEvT1_,@function
_ZN7rocprim17ROCPRIM_400000_NS6detail17trampoline_kernelINS0_14default_configENS1_20scan_config_selectorIyEEZZNS1_9scan_implILNS1_25lookback_scan_determinismE0ELb1ELb1ES3_N6thrust23THRUST_200600_302600_NS6detail15normal_iteratorINS9_10device_ptrIyEEEESE_yNS9_4plusIvEEyEEDaPvRmT3_T4_T5_mT6_P12ihipStream_tbENKUlT_T0_E_clISt17integral_constantIbLb0EESU_EEDaSP_SQ_EUlSP_E0_NS1_11comp_targetILNS1_3genE4ELNS1_11target_archE910ELNS1_3gpuE8ELNS1_3repE0EEENS1_30default_config_static_selectorELNS0_4arch9wavefront6targetE1EEEvT1_: ; @_ZN7rocprim17ROCPRIM_400000_NS6detail17trampoline_kernelINS0_14default_configENS1_20scan_config_selectorIyEEZZNS1_9scan_implILNS1_25lookback_scan_determinismE0ELb1ELb1ES3_N6thrust23THRUST_200600_302600_NS6detail15normal_iteratorINS9_10device_ptrIyEEEESE_yNS9_4plusIvEEyEEDaPvRmT3_T4_T5_mT6_P12ihipStream_tbENKUlT_T0_E_clISt17integral_constantIbLb0EESU_EEDaSP_SQ_EUlSP_E0_NS1_11comp_targetILNS1_3genE4ELNS1_11target_archE910ELNS1_3gpuE8ELNS1_3repE0EEENS1_30default_config_static_selectorELNS0_4arch9wavefront6targetE1EEEvT1_
; %bb.0:
	s_load_dwordx4 s[16:19], s[4:5], 0x0
	v_lshlrev_b32_e32 v20, 3, v0
	s_waitcnt lgkmcnt(0)
	s_load_dwordx2 s[14:15], s[16:17], 0x0
	v_cmp_gt_u32_e32 vcc, s18, v0
	s_waitcnt lgkmcnt(0)
	v_pk_mov_b32 v[2:3], s[14:15], s[14:15] op_sel:[0,1]
	s_and_saveexec_b64 s[0:1], vcc
	s_cbranch_execz .LBB4513_2
; %bb.1:
	global_load_dwordx2 v[2:3], v20, s[16:17]
.LBB4513_2:
	s_or_b64 exec, exec, s[0:1]
	v_or_b32_e32 v1, 0x80, v0
	v_cmp_gt_u32_e64 s[0:1], s18, v1
	v_pk_mov_b32 v[4:5], s[14:15], s[14:15] op_sel:[0,1]
	s_and_saveexec_b64 s[2:3], s[0:1]
	s_cbranch_execz .LBB4513_4
; %bb.3:
	global_load_dwordx2 v[4:5], v20, s[16:17] offset:1024
.LBB4513_4:
	s_or_b64 exec, exec, s[2:3]
	v_or_b32_e32 v1, 0x100, v0
	v_cmp_gt_u32_e64 s[2:3], s18, v1
	v_pk_mov_b32 v[6:7], s[14:15], s[14:15] op_sel:[0,1]
	s_and_saveexec_b64 s[6:7], s[2:3]
	s_cbranch_execz .LBB4513_6
; %bb.5:
	global_load_dwordx2 v[6:7], v20, s[16:17] offset:2048
.LBB4513_6:
	;; [unrolled: 9-line block ×3, first 2 shown]
	s_or_b64 exec, exec, s[6:7]
	v_or_b32_e32 v1, 0x200, v0
	v_cmp_gt_u32_e64 s[6:7], s18, v1
	v_pk_mov_b32 v[10:11], s[14:15], s[14:15] op_sel:[0,1]
	s_and_saveexec_b64 s[8:9], s[6:7]
	s_cbranch_execz .LBB4513_10
; %bb.9:
	v_lshlrev_b32_e32 v1, 3, v1
	global_load_dwordx2 v[10:11], v1, s[16:17]
.LBB4513_10:
	s_or_b64 exec, exec, s[8:9]
	v_or_b32_e32 v1, 0x280, v0
	v_cmp_gt_u32_e64 s[8:9], s18, v1
	v_pk_mov_b32 v[12:13], s[14:15], s[14:15] op_sel:[0,1]
	s_and_saveexec_b64 s[10:11], s[8:9]
	s_cbranch_execz .LBB4513_12
; %bb.11:
	v_lshlrev_b32_e32 v1, 3, v1
	global_load_dwordx2 v[12:13], v1, s[16:17]
.LBB4513_12:
	s_or_b64 exec, exec, s[10:11]
	s_load_dwordx2 s[20:21], s[4:5], 0x10
	v_or_b32_e32 v1, 0x300, v0
	v_cmp_gt_u32_e64 s[10:11], s18, v1
	v_pk_mov_b32 v[14:15], s[14:15], s[14:15] op_sel:[0,1]
	s_and_saveexec_b64 s[14:15], s[10:11]
	s_cbranch_execz .LBB4513_14
; %bb.13:
	v_lshlrev_b32_e32 v1, 3, v1
	global_load_dwordx2 v[14:15], v1, s[16:17]
.LBB4513_14:
	s_or_b64 exec, exec, s[14:15]
	v_mad_u32_u24 v1, v0, 48, v20
	s_waitcnt vmcnt(0)
	ds_write2st64_b64 v20, v[2:3], v[4:5] offset1:2
	ds_write2st64_b64 v20, v[6:7], v[8:9] offset0:4 offset1:6
	ds_write2st64_b64 v20, v[10:11], v[12:13] offset0:8 offset1:10
	ds_write_b64 v20, v[14:15] offset:6144
	s_waitcnt lgkmcnt(0)
	s_barrier
	ds_read2_b64 v[2:5], v1 offset1:1
	ds_read2_b64 v[6:9], v1 offset0:2 offset1:3
	ds_read2_b64 v[10:13], v1 offset0:4 offset1:5
	ds_read_b64 v[14:15], v1 offset:48
	s_load_dwordx2 s[16:17], s[4:5], 0x20
	s_waitcnt lgkmcnt(0)
	v_add_co_u32_e64 v1, s[4:5], v4, v2
	v_addc_co_u32_e64 v16, s[4:5], v5, v3, s[4:5]
	v_add_co_u32_e64 v1, s[4:5], v1, v6
	v_addc_co_u32_e64 v16, s[4:5], v16, v7, s[4:5]
	;; [unrolled: 2-line block ×5, first 2 shown]
	v_add_co_u32_e64 v18, s[4:5], v1, v14
	v_lshrrev_b32_e32 v1, 2, v0
	v_addc_co_u32_e64 v19, s[4:5], v16, v15, s[4:5]
	v_and_b32_e32 v1, 24, v1
	v_add_u32_e32 v1, v20, v1
	v_cmp_gt_u32_e64 s[4:5], 64, v0
	s_barrier
	ds_write_b64 v1, v[18:19]
	s_waitcnt lgkmcnt(0)
	s_barrier
	s_and_saveexec_b64 s[18:19], s[4:5]
	s_cbranch_execz .LBB4513_18
; %bb.15:
	v_lshlrev_b32_e32 v1, 1, v0
	v_lshrrev_b32_e32 v14, 4, v0
	v_add_lshl_u32 v21, v14, v1, 3
	ds_read2_b64 v[14:17], v21 offset1:1
	v_mbcnt_lo_u32_b32 v1, -1, 0
	s_waitcnt lgkmcnt(0)
	v_add_co_u32_e64 v22, s[4:5], v16, v14
	v_addc_co_u32_e64 v23, s[4:5], v17, v15, s[4:5]
	s_nop 0
	v_mov_b32_dpp v16, v22 row_shr:1 row_mask:0xf bank_mask:0xf
	v_add_co_u32_e64 v16, s[4:5], v22, v16
	v_addc_co_u32_e64 v25, s[4:5], 0, v23, s[4:5]
	v_mbcnt_hi_u32_b32 v17, -1, v1
	v_mov_b32_dpp v24, v23 row_shr:1 row_mask:0xf bank_mask:0xf
	v_add_co_u32_e64 v26, s[4:5], 0, v16
	v_and_b32_e32 v1, 15, v17
	v_addc_co_u32_e64 v24, s[4:5], v24, v25, s[4:5]
	v_cmp_eq_u32_e64 s[4:5], 0, v1
	v_cndmask_b32_e64 v16, v16, v22, s[4:5]
	v_cndmask_b32_e64 v24, v24, v23, s[4:5]
	v_cndmask_b32_e64 v25, v26, v22, s[4:5]
	v_mov_b32_dpp v26, v16 row_shr:2 row_mask:0xf bank_mask:0xf
	v_mov_b32_dpp v27, v24 row_shr:2 row_mask:0xf bank_mask:0xf
	v_add_co_u32_e64 v26, s[4:5], v26, v25
	v_addc_co_u32_e64 v27, s[4:5], v27, v24, s[4:5]
	v_cmp_lt_u32_e64 s[4:5], 1, v1
	v_cndmask_b32_e64 v16, v16, v26, s[4:5]
	v_cndmask_b32_e64 v24, v24, v27, s[4:5]
	v_cndmask_b32_e64 v25, v25, v26, s[4:5]
	v_mov_b32_dpp v26, v16 row_shr:4 row_mask:0xf bank_mask:0xf
	v_mov_b32_dpp v27, v24 row_shr:4 row_mask:0xf bank_mask:0xf
	v_add_co_u32_e64 v26, s[4:5], v26, v25
	v_addc_co_u32_e64 v27, s[4:5], v27, v24, s[4:5]
	v_cmp_lt_u32_e64 s[4:5], 3, v1
	;; [unrolled: 8-line block ×3, first 2 shown]
	v_cndmask_b32_e64 v28, v16, v26, s[4:5]
	v_cndmask_b32_e64 v1, v24, v27, s[4:5]
	;; [unrolled: 1-line block ×3, first 2 shown]
	v_mov_b32_dpp v24, v28 row_bcast:15 row_mask:0xf bank_mask:0xf
	v_mov_b32_dpp v25, v1 row_bcast:15 row_mask:0xf bank_mask:0xf
	v_add_co_u32_e64 v24, s[4:5], v24, v16
	v_and_b32_e32 v27, 16, v17
	v_addc_co_u32_e64 v26, s[4:5], v25, v1, s[4:5]
	v_cmp_eq_u32_e64 s[4:5], 0, v27
	v_cndmask_b32_e64 v27, v26, v1, s[4:5]
	v_cndmask_b32_e64 v25, v24, v28, s[4:5]
	v_cmp_ne_u32_e64 s[14:15], 0, v17
	v_mov_b32_dpp v27, v27 row_bcast:31 row_mask:0xf bank_mask:0xf
	v_mov_b32_dpp v25, v25 row_bcast:31 row_mask:0xf bank_mask:0xf
	s_and_saveexec_b64 s[22:23], s[14:15]
; %bb.16:
	v_cndmask_b32_e64 v1, v26, v1, s[4:5]
	v_cndmask_b32_e64 v16, v24, v16, s[4:5]
	v_cmp_lt_u32_e64 s[4:5], 31, v17
	v_cndmask_b32_e64 v22, 0, v25, s[4:5]
	v_cndmask_b32_e64 v23, 0, v27, s[4:5]
	v_add_co_u32_e64 v22, s[4:5], v22, v16
	v_addc_co_u32_e64 v23, s[4:5], v23, v1, s[4:5]
; %bb.17:
	s_or_b64 exec, exec, s[22:23]
	v_add_u32_e32 v1, -1, v17
	v_and_b32_e32 v16, 64, v17
	v_cmp_lt_i32_e64 s[4:5], v1, v16
	v_cndmask_b32_e64 v1, v1, v17, s[4:5]
	v_lshlrev_b32_e32 v1, 2, v1
	ds_bpermute_b32 v16, v1, v22
	ds_bpermute_b32 v1, v1, v23
	; wave barrier
	s_waitcnt lgkmcnt(1)
	v_add_co_u32_e64 v14, s[4:5], v14, v16
	v_addc_co_u32_e64 v15, s[4:5], 0, v15, s[4:5]
	v_add_co_u32_e64 v14, s[4:5], 0, v14
	s_waitcnt lgkmcnt(0)
	v_addc_co_u32_e64 v1, s[4:5], v15, v1, s[4:5]
	v_cmp_eq_u32_e64 s[4:5], 0, v0
	v_cndmask_b32_e64 v15, v1, v19, s[4:5]
	v_cndmask_b32_e64 v14, v14, v18, s[4:5]
	ds_write_b64 v21, v[14:15]
	; wave barrier
	ds_read_b64 v[16:17], v21 offset:8
	s_waitcnt lgkmcnt(0)
	v_add_co_u32_e64 v14, s[4:5], v16, v14
	v_addc_co_u32_e64 v15, s[4:5], v17, v15, s[4:5]
	ds_write_b64 v21, v[14:15] offset:8
.LBB4513_18:
	s_or_b64 exec, exec, s[18:19]
	v_mul_u32_u24_e32 v1, 48, v0
	v_cmp_ne_u32_e64 s[4:5], 0, v0
	v_pk_mov_b32 v[14:15], s[20:21], s[20:21] op_sel:[0,1]
	s_waitcnt lgkmcnt(0)
	s_barrier
	s_and_saveexec_b64 s[14:15], s[4:5]
	s_cbranch_execz .LBB4513_20
; %bb.19:
	v_add_u32_e32 v0, -1, v0
	v_lshrrev_b32_e32 v14, 5, v0
	v_add_lshl_u32 v0, v14, v0, 3
	ds_read_b64 v[14:15], v0
	v_mov_b32_e32 v0, s21
	s_waitcnt lgkmcnt(0)
	v_add_co_u32_e64 v14, s[4:5], s20, v14
	v_addc_co_u32_e64 v15, s[4:5], v15, v0, s[4:5]
.LBB4513_20:
	s_or_b64 exec, exec, s[14:15]
	v_add_co_u32_e64 v2, s[4:5], v14, v2
	v_addc_co_u32_e64 v3, s[4:5], v15, v3, s[4:5]
	v_add_co_u32_e64 v4, s[4:5], v2, v4
	v_addc_co_u32_e64 v5, s[4:5], v3, v5, s[4:5]
	;; [unrolled: 2-line block ×5, first 2 shown]
	v_add_co_u32_e64 v12, s[4:5], v10, v12
	v_add_u32_e32 v0, v20, v1
	v_addc_co_u32_e64 v13, s[4:5], v11, v13, s[4:5]
	s_barrier
	ds_write2_b64 v0, v[14:15], v[2:3] offset1:1
	ds_write2_b64 v0, v[4:5], v[6:7] offset0:2 offset1:3
	ds_write2_b64 v0, v[8:9], v[10:11] offset0:4 offset1:5
	ds_write_b64 v0, v[12:13] offset:48
	s_waitcnt lgkmcnt(0)
	s_barrier
	ds_read2st64_b64 v[8:11], v20 offset0:2 offset1:4
	ds_read2st64_b64 v[4:7], v20 offset0:6 offset1:8
	;; [unrolled: 1-line block ×3, first 2 shown]
	v_mov_b32_e32 v13, s17
	v_add_co_u32_e64 v12, s[4:5], s16, v20
	v_addc_co_u32_e64 v13, s[4:5], 0, v13, s[4:5]
	s_and_saveexec_b64 s[4:5], vcc
	s_cbranch_execnz .LBB4513_28
; %bb.21:
	s_or_b64 exec, exec, s[4:5]
	s_and_saveexec_b64 s[4:5], s[0:1]
	s_cbranch_execnz .LBB4513_29
.LBB4513_22:
	s_or_b64 exec, exec, s[4:5]
	s_and_saveexec_b64 s[0:1], s[2:3]
	s_cbranch_execnz .LBB4513_30
.LBB4513_23:
	s_or_b64 exec, exec, s[0:1]
	s_and_saveexec_b64 s[0:1], s[12:13]
	s_cbranch_execnz .LBB4513_31
.LBB4513_24:
	s_or_b64 exec, exec, s[0:1]
	s_and_saveexec_b64 s[0:1], s[6:7]
	s_cbranch_execnz .LBB4513_32
.LBB4513_25:
	s_or_b64 exec, exec, s[0:1]
	s_and_saveexec_b64 s[0:1], s[8:9]
	s_cbranch_execnz .LBB4513_33
.LBB4513_26:
	s_or_b64 exec, exec, s[0:1]
	s_and_saveexec_b64 s[0:1], s[10:11]
	s_cbranch_execnz .LBB4513_34
.LBB4513_27:
	s_endpgm
.LBB4513_28:
	ds_read_b64 v[14:15], v20
	s_waitcnt lgkmcnt(0)
	global_store_dwordx2 v[12:13], v[14:15], off
	s_or_b64 exec, exec, s[4:5]
	s_and_saveexec_b64 s[4:5], s[0:1]
	s_cbranch_execz .LBB4513_22
.LBB4513_29:
	s_waitcnt lgkmcnt(2)
	global_store_dwordx2 v[12:13], v[8:9], off offset:1024
	s_or_b64 exec, exec, s[4:5]
	s_and_saveexec_b64 s[0:1], s[2:3]
	s_cbranch_execz .LBB4513_23
.LBB4513_30:
	s_waitcnt lgkmcnt(2)
	global_store_dwordx2 v[12:13], v[10:11], off offset:2048
	s_or_b64 exec, exec, s[0:1]
	s_and_saveexec_b64 s[0:1], s[12:13]
	s_cbranch_execz .LBB4513_24
.LBB4513_31:
	s_waitcnt lgkmcnt(1)
	global_store_dwordx2 v[12:13], v[4:5], off offset:3072
	s_or_b64 exec, exec, s[0:1]
	s_and_saveexec_b64 s[0:1], s[6:7]
	s_cbranch_execz .LBB4513_25
.LBB4513_32:
	s_waitcnt lgkmcnt(1)
	v_add_co_u32_e32 v4, vcc, 0x1000, v12
	v_addc_co_u32_e32 v5, vcc, 0, v13, vcc
	global_store_dwordx2 v[4:5], v[6:7], off
	s_or_b64 exec, exec, s[0:1]
	s_and_saveexec_b64 s[0:1], s[8:9]
	s_cbranch_execz .LBB4513_26
.LBB4513_33:
	s_waitcnt lgkmcnt(1)
	v_add_co_u32_e32 v4, vcc, 0x1000, v12
	v_addc_co_u32_e32 v5, vcc, 0, v13, vcc
	s_waitcnt lgkmcnt(0)
	global_store_dwordx2 v[4:5], v[0:1], off offset:1024
	s_or_b64 exec, exec, s[0:1]
	s_and_saveexec_b64 s[0:1], s[10:11]
	s_cbranch_execz .LBB4513_27
.LBB4513_34:
	s_waitcnt lgkmcnt(0)
	v_add_co_u32_e32 v0, vcc, 0x1000, v12
	v_addc_co_u32_e32 v1, vcc, 0, v13, vcc
	global_store_dwordx2 v[0:1], v[2:3], off offset:2048
	s_endpgm
	.section	.rodata,"a",@progbits
	.p2align	6, 0x0
	.amdhsa_kernel _ZN7rocprim17ROCPRIM_400000_NS6detail17trampoline_kernelINS0_14default_configENS1_20scan_config_selectorIyEEZZNS1_9scan_implILNS1_25lookback_scan_determinismE0ELb1ELb1ES3_N6thrust23THRUST_200600_302600_NS6detail15normal_iteratorINS9_10device_ptrIyEEEESE_yNS9_4plusIvEEyEEDaPvRmT3_T4_T5_mT6_P12ihipStream_tbENKUlT_T0_E_clISt17integral_constantIbLb0EESU_EEDaSP_SQ_EUlSP_E0_NS1_11comp_targetILNS1_3genE4ELNS1_11target_archE910ELNS1_3gpuE8ELNS1_3repE0EEENS1_30default_config_static_selectorELNS0_4arch9wavefront6targetE1EEEvT1_
		.amdhsa_group_segment_fixed_size 7168
		.amdhsa_private_segment_fixed_size 0
		.amdhsa_kernarg_size 40
		.amdhsa_user_sgpr_count 6
		.amdhsa_user_sgpr_private_segment_buffer 1
		.amdhsa_user_sgpr_dispatch_ptr 0
		.amdhsa_user_sgpr_queue_ptr 0
		.amdhsa_user_sgpr_kernarg_segment_ptr 1
		.amdhsa_user_sgpr_dispatch_id 0
		.amdhsa_user_sgpr_flat_scratch_init 0
		.amdhsa_user_sgpr_kernarg_preload_length 0
		.amdhsa_user_sgpr_kernarg_preload_offset 0
		.amdhsa_user_sgpr_private_segment_size 0
		.amdhsa_uses_dynamic_stack 0
		.amdhsa_system_sgpr_private_segment_wavefront_offset 0
		.amdhsa_system_sgpr_workgroup_id_x 1
		.amdhsa_system_sgpr_workgroup_id_y 0
		.amdhsa_system_sgpr_workgroup_id_z 0
		.amdhsa_system_sgpr_workgroup_info 0
		.amdhsa_system_vgpr_workitem_id 0
		.amdhsa_next_free_vgpr 29
		.amdhsa_next_free_sgpr 24
		.amdhsa_accum_offset 32
		.amdhsa_reserve_vcc 1
		.amdhsa_reserve_flat_scratch 0
		.amdhsa_float_round_mode_32 0
		.amdhsa_float_round_mode_16_64 0
		.amdhsa_float_denorm_mode_32 3
		.amdhsa_float_denorm_mode_16_64 3
		.amdhsa_dx10_clamp 1
		.amdhsa_ieee_mode 1
		.amdhsa_fp16_overflow 0
		.amdhsa_tg_split 0
		.amdhsa_exception_fp_ieee_invalid_op 0
		.amdhsa_exception_fp_denorm_src 0
		.amdhsa_exception_fp_ieee_div_zero 0
		.amdhsa_exception_fp_ieee_overflow 0
		.amdhsa_exception_fp_ieee_underflow 0
		.amdhsa_exception_fp_ieee_inexact 0
		.amdhsa_exception_int_div_zero 0
	.end_amdhsa_kernel
	.section	.text._ZN7rocprim17ROCPRIM_400000_NS6detail17trampoline_kernelINS0_14default_configENS1_20scan_config_selectorIyEEZZNS1_9scan_implILNS1_25lookback_scan_determinismE0ELb1ELb1ES3_N6thrust23THRUST_200600_302600_NS6detail15normal_iteratorINS9_10device_ptrIyEEEESE_yNS9_4plusIvEEyEEDaPvRmT3_T4_T5_mT6_P12ihipStream_tbENKUlT_T0_E_clISt17integral_constantIbLb0EESU_EEDaSP_SQ_EUlSP_E0_NS1_11comp_targetILNS1_3genE4ELNS1_11target_archE910ELNS1_3gpuE8ELNS1_3repE0EEENS1_30default_config_static_selectorELNS0_4arch9wavefront6targetE1EEEvT1_,"axG",@progbits,_ZN7rocprim17ROCPRIM_400000_NS6detail17trampoline_kernelINS0_14default_configENS1_20scan_config_selectorIyEEZZNS1_9scan_implILNS1_25lookback_scan_determinismE0ELb1ELb1ES3_N6thrust23THRUST_200600_302600_NS6detail15normal_iteratorINS9_10device_ptrIyEEEESE_yNS9_4plusIvEEyEEDaPvRmT3_T4_T5_mT6_P12ihipStream_tbENKUlT_T0_E_clISt17integral_constantIbLb0EESU_EEDaSP_SQ_EUlSP_E0_NS1_11comp_targetILNS1_3genE4ELNS1_11target_archE910ELNS1_3gpuE8ELNS1_3repE0EEENS1_30default_config_static_selectorELNS0_4arch9wavefront6targetE1EEEvT1_,comdat
.Lfunc_end4513:
	.size	_ZN7rocprim17ROCPRIM_400000_NS6detail17trampoline_kernelINS0_14default_configENS1_20scan_config_selectorIyEEZZNS1_9scan_implILNS1_25lookback_scan_determinismE0ELb1ELb1ES3_N6thrust23THRUST_200600_302600_NS6detail15normal_iteratorINS9_10device_ptrIyEEEESE_yNS9_4plusIvEEyEEDaPvRmT3_T4_T5_mT6_P12ihipStream_tbENKUlT_T0_E_clISt17integral_constantIbLb0EESU_EEDaSP_SQ_EUlSP_E0_NS1_11comp_targetILNS1_3genE4ELNS1_11target_archE910ELNS1_3gpuE8ELNS1_3repE0EEENS1_30default_config_static_selectorELNS0_4arch9wavefront6targetE1EEEvT1_, .Lfunc_end4513-_ZN7rocprim17ROCPRIM_400000_NS6detail17trampoline_kernelINS0_14default_configENS1_20scan_config_selectorIyEEZZNS1_9scan_implILNS1_25lookback_scan_determinismE0ELb1ELb1ES3_N6thrust23THRUST_200600_302600_NS6detail15normal_iteratorINS9_10device_ptrIyEEEESE_yNS9_4plusIvEEyEEDaPvRmT3_T4_T5_mT6_P12ihipStream_tbENKUlT_T0_E_clISt17integral_constantIbLb0EESU_EEDaSP_SQ_EUlSP_E0_NS1_11comp_targetILNS1_3genE4ELNS1_11target_archE910ELNS1_3gpuE8ELNS1_3repE0EEENS1_30default_config_static_selectorELNS0_4arch9wavefront6targetE1EEEvT1_
                                        ; -- End function
	.section	.AMDGPU.csdata,"",@progbits
; Kernel info:
; codeLenInByte = 1796
; NumSgprs: 28
; NumVgprs: 29
; NumAgprs: 0
; TotalNumVgprs: 29
; ScratchSize: 0
; MemoryBound: 0
; FloatMode: 240
; IeeeMode: 1
; LDSByteSize: 7168 bytes/workgroup (compile time only)
; SGPRBlocks: 3
; VGPRBlocks: 3
; NumSGPRsForWavesPerEU: 28
; NumVGPRsForWavesPerEU: 29
; AccumOffset: 32
; Occupancy: 5
; WaveLimiterHint : 0
; COMPUTE_PGM_RSRC2:SCRATCH_EN: 0
; COMPUTE_PGM_RSRC2:USER_SGPR: 6
; COMPUTE_PGM_RSRC2:TRAP_HANDLER: 0
; COMPUTE_PGM_RSRC2:TGID_X_EN: 1
; COMPUTE_PGM_RSRC2:TGID_Y_EN: 0
; COMPUTE_PGM_RSRC2:TGID_Z_EN: 0
; COMPUTE_PGM_RSRC2:TIDIG_COMP_CNT: 0
; COMPUTE_PGM_RSRC3_GFX90A:ACCUM_OFFSET: 7
; COMPUTE_PGM_RSRC3_GFX90A:TG_SPLIT: 0
	.section	.text._ZN7rocprim17ROCPRIM_400000_NS6detail17trampoline_kernelINS0_14default_configENS1_20scan_config_selectorIyEEZZNS1_9scan_implILNS1_25lookback_scan_determinismE0ELb1ELb1ES3_N6thrust23THRUST_200600_302600_NS6detail15normal_iteratorINS9_10device_ptrIyEEEESE_yNS9_4plusIvEEyEEDaPvRmT3_T4_T5_mT6_P12ihipStream_tbENKUlT_T0_E_clISt17integral_constantIbLb0EESU_EEDaSP_SQ_EUlSP_E0_NS1_11comp_targetILNS1_3genE3ELNS1_11target_archE908ELNS1_3gpuE7ELNS1_3repE0EEENS1_30default_config_static_selectorELNS0_4arch9wavefront6targetE1EEEvT1_,"axG",@progbits,_ZN7rocprim17ROCPRIM_400000_NS6detail17trampoline_kernelINS0_14default_configENS1_20scan_config_selectorIyEEZZNS1_9scan_implILNS1_25lookback_scan_determinismE0ELb1ELb1ES3_N6thrust23THRUST_200600_302600_NS6detail15normal_iteratorINS9_10device_ptrIyEEEESE_yNS9_4plusIvEEyEEDaPvRmT3_T4_T5_mT6_P12ihipStream_tbENKUlT_T0_E_clISt17integral_constantIbLb0EESU_EEDaSP_SQ_EUlSP_E0_NS1_11comp_targetILNS1_3genE3ELNS1_11target_archE908ELNS1_3gpuE7ELNS1_3repE0EEENS1_30default_config_static_selectorELNS0_4arch9wavefront6targetE1EEEvT1_,comdat
	.protected	_ZN7rocprim17ROCPRIM_400000_NS6detail17trampoline_kernelINS0_14default_configENS1_20scan_config_selectorIyEEZZNS1_9scan_implILNS1_25lookback_scan_determinismE0ELb1ELb1ES3_N6thrust23THRUST_200600_302600_NS6detail15normal_iteratorINS9_10device_ptrIyEEEESE_yNS9_4plusIvEEyEEDaPvRmT3_T4_T5_mT6_P12ihipStream_tbENKUlT_T0_E_clISt17integral_constantIbLb0EESU_EEDaSP_SQ_EUlSP_E0_NS1_11comp_targetILNS1_3genE3ELNS1_11target_archE908ELNS1_3gpuE7ELNS1_3repE0EEENS1_30default_config_static_selectorELNS0_4arch9wavefront6targetE1EEEvT1_ ; -- Begin function _ZN7rocprim17ROCPRIM_400000_NS6detail17trampoline_kernelINS0_14default_configENS1_20scan_config_selectorIyEEZZNS1_9scan_implILNS1_25lookback_scan_determinismE0ELb1ELb1ES3_N6thrust23THRUST_200600_302600_NS6detail15normal_iteratorINS9_10device_ptrIyEEEESE_yNS9_4plusIvEEyEEDaPvRmT3_T4_T5_mT6_P12ihipStream_tbENKUlT_T0_E_clISt17integral_constantIbLb0EESU_EEDaSP_SQ_EUlSP_E0_NS1_11comp_targetILNS1_3genE3ELNS1_11target_archE908ELNS1_3gpuE7ELNS1_3repE0EEENS1_30default_config_static_selectorELNS0_4arch9wavefront6targetE1EEEvT1_
	.globl	_ZN7rocprim17ROCPRIM_400000_NS6detail17trampoline_kernelINS0_14default_configENS1_20scan_config_selectorIyEEZZNS1_9scan_implILNS1_25lookback_scan_determinismE0ELb1ELb1ES3_N6thrust23THRUST_200600_302600_NS6detail15normal_iteratorINS9_10device_ptrIyEEEESE_yNS9_4plusIvEEyEEDaPvRmT3_T4_T5_mT6_P12ihipStream_tbENKUlT_T0_E_clISt17integral_constantIbLb0EESU_EEDaSP_SQ_EUlSP_E0_NS1_11comp_targetILNS1_3genE3ELNS1_11target_archE908ELNS1_3gpuE7ELNS1_3repE0EEENS1_30default_config_static_selectorELNS0_4arch9wavefront6targetE1EEEvT1_
	.p2align	8
	.type	_ZN7rocprim17ROCPRIM_400000_NS6detail17trampoline_kernelINS0_14default_configENS1_20scan_config_selectorIyEEZZNS1_9scan_implILNS1_25lookback_scan_determinismE0ELb1ELb1ES3_N6thrust23THRUST_200600_302600_NS6detail15normal_iteratorINS9_10device_ptrIyEEEESE_yNS9_4plusIvEEyEEDaPvRmT3_T4_T5_mT6_P12ihipStream_tbENKUlT_T0_E_clISt17integral_constantIbLb0EESU_EEDaSP_SQ_EUlSP_E0_NS1_11comp_targetILNS1_3genE3ELNS1_11target_archE908ELNS1_3gpuE7ELNS1_3repE0EEENS1_30default_config_static_selectorELNS0_4arch9wavefront6targetE1EEEvT1_,@function
_ZN7rocprim17ROCPRIM_400000_NS6detail17trampoline_kernelINS0_14default_configENS1_20scan_config_selectorIyEEZZNS1_9scan_implILNS1_25lookback_scan_determinismE0ELb1ELb1ES3_N6thrust23THRUST_200600_302600_NS6detail15normal_iteratorINS9_10device_ptrIyEEEESE_yNS9_4plusIvEEyEEDaPvRmT3_T4_T5_mT6_P12ihipStream_tbENKUlT_T0_E_clISt17integral_constantIbLb0EESU_EEDaSP_SQ_EUlSP_E0_NS1_11comp_targetILNS1_3genE3ELNS1_11target_archE908ELNS1_3gpuE7ELNS1_3repE0EEENS1_30default_config_static_selectorELNS0_4arch9wavefront6targetE1EEEvT1_: ; @_ZN7rocprim17ROCPRIM_400000_NS6detail17trampoline_kernelINS0_14default_configENS1_20scan_config_selectorIyEEZZNS1_9scan_implILNS1_25lookback_scan_determinismE0ELb1ELb1ES3_N6thrust23THRUST_200600_302600_NS6detail15normal_iteratorINS9_10device_ptrIyEEEESE_yNS9_4plusIvEEyEEDaPvRmT3_T4_T5_mT6_P12ihipStream_tbENKUlT_T0_E_clISt17integral_constantIbLb0EESU_EEDaSP_SQ_EUlSP_E0_NS1_11comp_targetILNS1_3genE3ELNS1_11target_archE908ELNS1_3gpuE7ELNS1_3repE0EEENS1_30default_config_static_selectorELNS0_4arch9wavefront6targetE1EEEvT1_
; %bb.0:
	.section	.rodata,"a",@progbits
	.p2align	6, 0x0
	.amdhsa_kernel _ZN7rocprim17ROCPRIM_400000_NS6detail17trampoline_kernelINS0_14default_configENS1_20scan_config_selectorIyEEZZNS1_9scan_implILNS1_25lookback_scan_determinismE0ELb1ELb1ES3_N6thrust23THRUST_200600_302600_NS6detail15normal_iteratorINS9_10device_ptrIyEEEESE_yNS9_4plusIvEEyEEDaPvRmT3_T4_T5_mT6_P12ihipStream_tbENKUlT_T0_E_clISt17integral_constantIbLb0EESU_EEDaSP_SQ_EUlSP_E0_NS1_11comp_targetILNS1_3genE3ELNS1_11target_archE908ELNS1_3gpuE7ELNS1_3repE0EEENS1_30default_config_static_selectorELNS0_4arch9wavefront6targetE1EEEvT1_
		.amdhsa_group_segment_fixed_size 0
		.amdhsa_private_segment_fixed_size 0
		.amdhsa_kernarg_size 40
		.amdhsa_user_sgpr_count 6
		.amdhsa_user_sgpr_private_segment_buffer 1
		.amdhsa_user_sgpr_dispatch_ptr 0
		.amdhsa_user_sgpr_queue_ptr 0
		.amdhsa_user_sgpr_kernarg_segment_ptr 1
		.amdhsa_user_sgpr_dispatch_id 0
		.amdhsa_user_sgpr_flat_scratch_init 0
		.amdhsa_user_sgpr_kernarg_preload_length 0
		.amdhsa_user_sgpr_kernarg_preload_offset 0
		.amdhsa_user_sgpr_private_segment_size 0
		.amdhsa_uses_dynamic_stack 0
		.amdhsa_system_sgpr_private_segment_wavefront_offset 0
		.amdhsa_system_sgpr_workgroup_id_x 1
		.amdhsa_system_sgpr_workgroup_id_y 0
		.amdhsa_system_sgpr_workgroup_id_z 0
		.amdhsa_system_sgpr_workgroup_info 0
		.amdhsa_system_vgpr_workitem_id 0
		.amdhsa_next_free_vgpr 1
		.amdhsa_next_free_sgpr 0
		.amdhsa_accum_offset 4
		.amdhsa_reserve_vcc 0
		.amdhsa_reserve_flat_scratch 0
		.amdhsa_float_round_mode_32 0
		.amdhsa_float_round_mode_16_64 0
		.amdhsa_float_denorm_mode_32 3
		.amdhsa_float_denorm_mode_16_64 3
		.amdhsa_dx10_clamp 1
		.amdhsa_ieee_mode 1
		.amdhsa_fp16_overflow 0
		.amdhsa_tg_split 0
		.amdhsa_exception_fp_ieee_invalid_op 0
		.amdhsa_exception_fp_denorm_src 0
		.amdhsa_exception_fp_ieee_div_zero 0
		.amdhsa_exception_fp_ieee_overflow 0
		.amdhsa_exception_fp_ieee_underflow 0
		.amdhsa_exception_fp_ieee_inexact 0
		.amdhsa_exception_int_div_zero 0
	.end_amdhsa_kernel
	.section	.text._ZN7rocprim17ROCPRIM_400000_NS6detail17trampoline_kernelINS0_14default_configENS1_20scan_config_selectorIyEEZZNS1_9scan_implILNS1_25lookback_scan_determinismE0ELb1ELb1ES3_N6thrust23THRUST_200600_302600_NS6detail15normal_iteratorINS9_10device_ptrIyEEEESE_yNS9_4plusIvEEyEEDaPvRmT3_T4_T5_mT6_P12ihipStream_tbENKUlT_T0_E_clISt17integral_constantIbLb0EESU_EEDaSP_SQ_EUlSP_E0_NS1_11comp_targetILNS1_3genE3ELNS1_11target_archE908ELNS1_3gpuE7ELNS1_3repE0EEENS1_30default_config_static_selectorELNS0_4arch9wavefront6targetE1EEEvT1_,"axG",@progbits,_ZN7rocprim17ROCPRIM_400000_NS6detail17trampoline_kernelINS0_14default_configENS1_20scan_config_selectorIyEEZZNS1_9scan_implILNS1_25lookback_scan_determinismE0ELb1ELb1ES3_N6thrust23THRUST_200600_302600_NS6detail15normal_iteratorINS9_10device_ptrIyEEEESE_yNS9_4plusIvEEyEEDaPvRmT3_T4_T5_mT6_P12ihipStream_tbENKUlT_T0_E_clISt17integral_constantIbLb0EESU_EEDaSP_SQ_EUlSP_E0_NS1_11comp_targetILNS1_3genE3ELNS1_11target_archE908ELNS1_3gpuE7ELNS1_3repE0EEENS1_30default_config_static_selectorELNS0_4arch9wavefront6targetE1EEEvT1_,comdat
.Lfunc_end4514:
	.size	_ZN7rocprim17ROCPRIM_400000_NS6detail17trampoline_kernelINS0_14default_configENS1_20scan_config_selectorIyEEZZNS1_9scan_implILNS1_25lookback_scan_determinismE0ELb1ELb1ES3_N6thrust23THRUST_200600_302600_NS6detail15normal_iteratorINS9_10device_ptrIyEEEESE_yNS9_4plusIvEEyEEDaPvRmT3_T4_T5_mT6_P12ihipStream_tbENKUlT_T0_E_clISt17integral_constantIbLb0EESU_EEDaSP_SQ_EUlSP_E0_NS1_11comp_targetILNS1_3genE3ELNS1_11target_archE908ELNS1_3gpuE7ELNS1_3repE0EEENS1_30default_config_static_selectorELNS0_4arch9wavefront6targetE1EEEvT1_, .Lfunc_end4514-_ZN7rocprim17ROCPRIM_400000_NS6detail17trampoline_kernelINS0_14default_configENS1_20scan_config_selectorIyEEZZNS1_9scan_implILNS1_25lookback_scan_determinismE0ELb1ELb1ES3_N6thrust23THRUST_200600_302600_NS6detail15normal_iteratorINS9_10device_ptrIyEEEESE_yNS9_4plusIvEEyEEDaPvRmT3_T4_T5_mT6_P12ihipStream_tbENKUlT_T0_E_clISt17integral_constantIbLb0EESU_EEDaSP_SQ_EUlSP_E0_NS1_11comp_targetILNS1_3genE3ELNS1_11target_archE908ELNS1_3gpuE7ELNS1_3repE0EEENS1_30default_config_static_selectorELNS0_4arch9wavefront6targetE1EEEvT1_
                                        ; -- End function
	.section	.AMDGPU.csdata,"",@progbits
; Kernel info:
; codeLenInByte = 0
; NumSgprs: 4
; NumVgprs: 0
; NumAgprs: 0
; TotalNumVgprs: 0
; ScratchSize: 0
; MemoryBound: 0
; FloatMode: 240
; IeeeMode: 1
; LDSByteSize: 0 bytes/workgroup (compile time only)
; SGPRBlocks: 0
; VGPRBlocks: 0
; NumSGPRsForWavesPerEU: 4
; NumVGPRsForWavesPerEU: 1
; AccumOffset: 4
; Occupancy: 8
; WaveLimiterHint : 0
; COMPUTE_PGM_RSRC2:SCRATCH_EN: 0
; COMPUTE_PGM_RSRC2:USER_SGPR: 6
; COMPUTE_PGM_RSRC2:TRAP_HANDLER: 0
; COMPUTE_PGM_RSRC2:TGID_X_EN: 1
; COMPUTE_PGM_RSRC2:TGID_Y_EN: 0
; COMPUTE_PGM_RSRC2:TGID_Z_EN: 0
; COMPUTE_PGM_RSRC2:TIDIG_COMP_CNT: 0
; COMPUTE_PGM_RSRC3_GFX90A:ACCUM_OFFSET: 0
; COMPUTE_PGM_RSRC3_GFX90A:TG_SPLIT: 0
	.section	.text._ZN7rocprim17ROCPRIM_400000_NS6detail17trampoline_kernelINS0_14default_configENS1_20scan_config_selectorIyEEZZNS1_9scan_implILNS1_25lookback_scan_determinismE0ELb1ELb1ES3_N6thrust23THRUST_200600_302600_NS6detail15normal_iteratorINS9_10device_ptrIyEEEESE_yNS9_4plusIvEEyEEDaPvRmT3_T4_T5_mT6_P12ihipStream_tbENKUlT_T0_E_clISt17integral_constantIbLb0EESU_EEDaSP_SQ_EUlSP_E0_NS1_11comp_targetILNS1_3genE2ELNS1_11target_archE906ELNS1_3gpuE6ELNS1_3repE0EEENS1_30default_config_static_selectorELNS0_4arch9wavefront6targetE1EEEvT1_,"axG",@progbits,_ZN7rocprim17ROCPRIM_400000_NS6detail17trampoline_kernelINS0_14default_configENS1_20scan_config_selectorIyEEZZNS1_9scan_implILNS1_25lookback_scan_determinismE0ELb1ELb1ES3_N6thrust23THRUST_200600_302600_NS6detail15normal_iteratorINS9_10device_ptrIyEEEESE_yNS9_4plusIvEEyEEDaPvRmT3_T4_T5_mT6_P12ihipStream_tbENKUlT_T0_E_clISt17integral_constantIbLb0EESU_EEDaSP_SQ_EUlSP_E0_NS1_11comp_targetILNS1_3genE2ELNS1_11target_archE906ELNS1_3gpuE6ELNS1_3repE0EEENS1_30default_config_static_selectorELNS0_4arch9wavefront6targetE1EEEvT1_,comdat
	.protected	_ZN7rocprim17ROCPRIM_400000_NS6detail17trampoline_kernelINS0_14default_configENS1_20scan_config_selectorIyEEZZNS1_9scan_implILNS1_25lookback_scan_determinismE0ELb1ELb1ES3_N6thrust23THRUST_200600_302600_NS6detail15normal_iteratorINS9_10device_ptrIyEEEESE_yNS9_4plusIvEEyEEDaPvRmT3_T4_T5_mT6_P12ihipStream_tbENKUlT_T0_E_clISt17integral_constantIbLb0EESU_EEDaSP_SQ_EUlSP_E0_NS1_11comp_targetILNS1_3genE2ELNS1_11target_archE906ELNS1_3gpuE6ELNS1_3repE0EEENS1_30default_config_static_selectorELNS0_4arch9wavefront6targetE1EEEvT1_ ; -- Begin function _ZN7rocprim17ROCPRIM_400000_NS6detail17trampoline_kernelINS0_14default_configENS1_20scan_config_selectorIyEEZZNS1_9scan_implILNS1_25lookback_scan_determinismE0ELb1ELb1ES3_N6thrust23THRUST_200600_302600_NS6detail15normal_iteratorINS9_10device_ptrIyEEEESE_yNS9_4plusIvEEyEEDaPvRmT3_T4_T5_mT6_P12ihipStream_tbENKUlT_T0_E_clISt17integral_constantIbLb0EESU_EEDaSP_SQ_EUlSP_E0_NS1_11comp_targetILNS1_3genE2ELNS1_11target_archE906ELNS1_3gpuE6ELNS1_3repE0EEENS1_30default_config_static_selectorELNS0_4arch9wavefront6targetE1EEEvT1_
	.globl	_ZN7rocprim17ROCPRIM_400000_NS6detail17trampoline_kernelINS0_14default_configENS1_20scan_config_selectorIyEEZZNS1_9scan_implILNS1_25lookback_scan_determinismE0ELb1ELb1ES3_N6thrust23THRUST_200600_302600_NS6detail15normal_iteratorINS9_10device_ptrIyEEEESE_yNS9_4plusIvEEyEEDaPvRmT3_T4_T5_mT6_P12ihipStream_tbENKUlT_T0_E_clISt17integral_constantIbLb0EESU_EEDaSP_SQ_EUlSP_E0_NS1_11comp_targetILNS1_3genE2ELNS1_11target_archE906ELNS1_3gpuE6ELNS1_3repE0EEENS1_30default_config_static_selectorELNS0_4arch9wavefront6targetE1EEEvT1_
	.p2align	8
	.type	_ZN7rocprim17ROCPRIM_400000_NS6detail17trampoline_kernelINS0_14default_configENS1_20scan_config_selectorIyEEZZNS1_9scan_implILNS1_25lookback_scan_determinismE0ELb1ELb1ES3_N6thrust23THRUST_200600_302600_NS6detail15normal_iteratorINS9_10device_ptrIyEEEESE_yNS9_4plusIvEEyEEDaPvRmT3_T4_T5_mT6_P12ihipStream_tbENKUlT_T0_E_clISt17integral_constantIbLb0EESU_EEDaSP_SQ_EUlSP_E0_NS1_11comp_targetILNS1_3genE2ELNS1_11target_archE906ELNS1_3gpuE6ELNS1_3repE0EEENS1_30default_config_static_selectorELNS0_4arch9wavefront6targetE1EEEvT1_,@function
_ZN7rocprim17ROCPRIM_400000_NS6detail17trampoline_kernelINS0_14default_configENS1_20scan_config_selectorIyEEZZNS1_9scan_implILNS1_25lookback_scan_determinismE0ELb1ELb1ES3_N6thrust23THRUST_200600_302600_NS6detail15normal_iteratorINS9_10device_ptrIyEEEESE_yNS9_4plusIvEEyEEDaPvRmT3_T4_T5_mT6_P12ihipStream_tbENKUlT_T0_E_clISt17integral_constantIbLb0EESU_EEDaSP_SQ_EUlSP_E0_NS1_11comp_targetILNS1_3genE2ELNS1_11target_archE906ELNS1_3gpuE6ELNS1_3repE0EEENS1_30default_config_static_selectorELNS0_4arch9wavefront6targetE1EEEvT1_: ; @_ZN7rocprim17ROCPRIM_400000_NS6detail17trampoline_kernelINS0_14default_configENS1_20scan_config_selectorIyEEZZNS1_9scan_implILNS1_25lookback_scan_determinismE0ELb1ELb1ES3_N6thrust23THRUST_200600_302600_NS6detail15normal_iteratorINS9_10device_ptrIyEEEESE_yNS9_4plusIvEEyEEDaPvRmT3_T4_T5_mT6_P12ihipStream_tbENKUlT_T0_E_clISt17integral_constantIbLb0EESU_EEDaSP_SQ_EUlSP_E0_NS1_11comp_targetILNS1_3genE2ELNS1_11target_archE906ELNS1_3gpuE6ELNS1_3repE0EEENS1_30default_config_static_selectorELNS0_4arch9wavefront6targetE1EEEvT1_
; %bb.0:
	.section	.rodata,"a",@progbits
	.p2align	6, 0x0
	.amdhsa_kernel _ZN7rocprim17ROCPRIM_400000_NS6detail17trampoline_kernelINS0_14default_configENS1_20scan_config_selectorIyEEZZNS1_9scan_implILNS1_25lookback_scan_determinismE0ELb1ELb1ES3_N6thrust23THRUST_200600_302600_NS6detail15normal_iteratorINS9_10device_ptrIyEEEESE_yNS9_4plusIvEEyEEDaPvRmT3_T4_T5_mT6_P12ihipStream_tbENKUlT_T0_E_clISt17integral_constantIbLb0EESU_EEDaSP_SQ_EUlSP_E0_NS1_11comp_targetILNS1_3genE2ELNS1_11target_archE906ELNS1_3gpuE6ELNS1_3repE0EEENS1_30default_config_static_selectorELNS0_4arch9wavefront6targetE1EEEvT1_
		.amdhsa_group_segment_fixed_size 0
		.amdhsa_private_segment_fixed_size 0
		.amdhsa_kernarg_size 40
		.amdhsa_user_sgpr_count 6
		.amdhsa_user_sgpr_private_segment_buffer 1
		.amdhsa_user_sgpr_dispatch_ptr 0
		.amdhsa_user_sgpr_queue_ptr 0
		.amdhsa_user_sgpr_kernarg_segment_ptr 1
		.amdhsa_user_sgpr_dispatch_id 0
		.amdhsa_user_sgpr_flat_scratch_init 0
		.amdhsa_user_sgpr_kernarg_preload_length 0
		.amdhsa_user_sgpr_kernarg_preload_offset 0
		.amdhsa_user_sgpr_private_segment_size 0
		.amdhsa_uses_dynamic_stack 0
		.amdhsa_system_sgpr_private_segment_wavefront_offset 0
		.amdhsa_system_sgpr_workgroup_id_x 1
		.amdhsa_system_sgpr_workgroup_id_y 0
		.amdhsa_system_sgpr_workgroup_id_z 0
		.amdhsa_system_sgpr_workgroup_info 0
		.amdhsa_system_vgpr_workitem_id 0
		.amdhsa_next_free_vgpr 1
		.amdhsa_next_free_sgpr 0
		.amdhsa_accum_offset 4
		.amdhsa_reserve_vcc 0
		.amdhsa_reserve_flat_scratch 0
		.amdhsa_float_round_mode_32 0
		.amdhsa_float_round_mode_16_64 0
		.amdhsa_float_denorm_mode_32 3
		.amdhsa_float_denorm_mode_16_64 3
		.amdhsa_dx10_clamp 1
		.amdhsa_ieee_mode 1
		.amdhsa_fp16_overflow 0
		.amdhsa_tg_split 0
		.amdhsa_exception_fp_ieee_invalid_op 0
		.amdhsa_exception_fp_denorm_src 0
		.amdhsa_exception_fp_ieee_div_zero 0
		.amdhsa_exception_fp_ieee_overflow 0
		.amdhsa_exception_fp_ieee_underflow 0
		.amdhsa_exception_fp_ieee_inexact 0
		.amdhsa_exception_int_div_zero 0
	.end_amdhsa_kernel
	.section	.text._ZN7rocprim17ROCPRIM_400000_NS6detail17trampoline_kernelINS0_14default_configENS1_20scan_config_selectorIyEEZZNS1_9scan_implILNS1_25lookback_scan_determinismE0ELb1ELb1ES3_N6thrust23THRUST_200600_302600_NS6detail15normal_iteratorINS9_10device_ptrIyEEEESE_yNS9_4plusIvEEyEEDaPvRmT3_T4_T5_mT6_P12ihipStream_tbENKUlT_T0_E_clISt17integral_constantIbLb0EESU_EEDaSP_SQ_EUlSP_E0_NS1_11comp_targetILNS1_3genE2ELNS1_11target_archE906ELNS1_3gpuE6ELNS1_3repE0EEENS1_30default_config_static_selectorELNS0_4arch9wavefront6targetE1EEEvT1_,"axG",@progbits,_ZN7rocprim17ROCPRIM_400000_NS6detail17trampoline_kernelINS0_14default_configENS1_20scan_config_selectorIyEEZZNS1_9scan_implILNS1_25lookback_scan_determinismE0ELb1ELb1ES3_N6thrust23THRUST_200600_302600_NS6detail15normal_iteratorINS9_10device_ptrIyEEEESE_yNS9_4plusIvEEyEEDaPvRmT3_T4_T5_mT6_P12ihipStream_tbENKUlT_T0_E_clISt17integral_constantIbLb0EESU_EEDaSP_SQ_EUlSP_E0_NS1_11comp_targetILNS1_3genE2ELNS1_11target_archE906ELNS1_3gpuE6ELNS1_3repE0EEENS1_30default_config_static_selectorELNS0_4arch9wavefront6targetE1EEEvT1_,comdat
.Lfunc_end4515:
	.size	_ZN7rocprim17ROCPRIM_400000_NS6detail17trampoline_kernelINS0_14default_configENS1_20scan_config_selectorIyEEZZNS1_9scan_implILNS1_25lookback_scan_determinismE0ELb1ELb1ES3_N6thrust23THRUST_200600_302600_NS6detail15normal_iteratorINS9_10device_ptrIyEEEESE_yNS9_4plusIvEEyEEDaPvRmT3_T4_T5_mT6_P12ihipStream_tbENKUlT_T0_E_clISt17integral_constantIbLb0EESU_EEDaSP_SQ_EUlSP_E0_NS1_11comp_targetILNS1_3genE2ELNS1_11target_archE906ELNS1_3gpuE6ELNS1_3repE0EEENS1_30default_config_static_selectorELNS0_4arch9wavefront6targetE1EEEvT1_, .Lfunc_end4515-_ZN7rocprim17ROCPRIM_400000_NS6detail17trampoline_kernelINS0_14default_configENS1_20scan_config_selectorIyEEZZNS1_9scan_implILNS1_25lookback_scan_determinismE0ELb1ELb1ES3_N6thrust23THRUST_200600_302600_NS6detail15normal_iteratorINS9_10device_ptrIyEEEESE_yNS9_4plusIvEEyEEDaPvRmT3_T4_T5_mT6_P12ihipStream_tbENKUlT_T0_E_clISt17integral_constantIbLb0EESU_EEDaSP_SQ_EUlSP_E0_NS1_11comp_targetILNS1_3genE2ELNS1_11target_archE906ELNS1_3gpuE6ELNS1_3repE0EEENS1_30default_config_static_selectorELNS0_4arch9wavefront6targetE1EEEvT1_
                                        ; -- End function
	.section	.AMDGPU.csdata,"",@progbits
; Kernel info:
; codeLenInByte = 0
; NumSgprs: 4
; NumVgprs: 0
; NumAgprs: 0
; TotalNumVgprs: 0
; ScratchSize: 0
; MemoryBound: 0
; FloatMode: 240
; IeeeMode: 1
; LDSByteSize: 0 bytes/workgroup (compile time only)
; SGPRBlocks: 0
; VGPRBlocks: 0
; NumSGPRsForWavesPerEU: 4
; NumVGPRsForWavesPerEU: 1
; AccumOffset: 4
; Occupancy: 8
; WaveLimiterHint : 0
; COMPUTE_PGM_RSRC2:SCRATCH_EN: 0
; COMPUTE_PGM_RSRC2:USER_SGPR: 6
; COMPUTE_PGM_RSRC2:TRAP_HANDLER: 0
; COMPUTE_PGM_RSRC2:TGID_X_EN: 1
; COMPUTE_PGM_RSRC2:TGID_Y_EN: 0
; COMPUTE_PGM_RSRC2:TGID_Z_EN: 0
; COMPUTE_PGM_RSRC2:TIDIG_COMP_CNT: 0
; COMPUTE_PGM_RSRC3_GFX90A:ACCUM_OFFSET: 0
; COMPUTE_PGM_RSRC3_GFX90A:TG_SPLIT: 0
	.section	.text._ZN7rocprim17ROCPRIM_400000_NS6detail17trampoline_kernelINS0_14default_configENS1_20scan_config_selectorIyEEZZNS1_9scan_implILNS1_25lookback_scan_determinismE0ELb1ELb1ES3_N6thrust23THRUST_200600_302600_NS6detail15normal_iteratorINS9_10device_ptrIyEEEESE_yNS9_4plusIvEEyEEDaPvRmT3_T4_T5_mT6_P12ihipStream_tbENKUlT_T0_E_clISt17integral_constantIbLb0EESU_EEDaSP_SQ_EUlSP_E0_NS1_11comp_targetILNS1_3genE10ELNS1_11target_archE1201ELNS1_3gpuE5ELNS1_3repE0EEENS1_30default_config_static_selectorELNS0_4arch9wavefront6targetE1EEEvT1_,"axG",@progbits,_ZN7rocprim17ROCPRIM_400000_NS6detail17trampoline_kernelINS0_14default_configENS1_20scan_config_selectorIyEEZZNS1_9scan_implILNS1_25lookback_scan_determinismE0ELb1ELb1ES3_N6thrust23THRUST_200600_302600_NS6detail15normal_iteratorINS9_10device_ptrIyEEEESE_yNS9_4plusIvEEyEEDaPvRmT3_T4_T5_mT6_P12ihipStream_tbENKUlT_T0_E_clISt17integral_constantIbLb0EESU_EEDaSP_SQ_EUlSP_E0_NS1_11comp_targetILNS1_3genE10ELNS1_11target_archE1201ELNS1_3gpuE5ELNS1_3repE0EEENS1_30default_config_static_selectorELNS0_4arch9wavefront6targetE1EEEvT1_,comdat
	.protected	_ZN7rocprim17ROCPRIM_400000_NS6detail17trampoline_kernelINS0_14default_configENS1_20scan_config_selectorIyEEZZNS1_9scan_implILNS1_25lookback_scan_determinismE0ELb1ELb1ES3_N6thrust23THRUST_200600_302600_NS6detail15normal_iteratorINS9_10device_ptrIyEEEESE_yNS9_4plusIvEEyEEDaPvRmT3_T4_T5_mT6_P12ihipStream_tbENKUlT_T0_E_clISt17integral_constantIbLb0EESU_EEDaSP_SQ_EUlSP_E0_NS1_11comp_targetILNS1_3genE10ELNS1_11target_archE1201ELNS1_3gpuE5ELNS1_3repE0EEENS1_30default_config_static_selectorELNS0_4arch9wavefront6targetE1EEEvT1_ ; -- Begin function _ZN7rocprim17ROCPRIM_400000_NS6detail17trampoline_kernelINS0_14default_configENS1_20scan_config_selectorIyEEZZNS1_9scan_implILNS1_25lookback_scan_determinismE0ELb1ELb1ES3_N6thrust23THRUST_200600_302600_NS6detail15normal_iteratorINS9_10device_ptrIyEEEESE_yNS9_4plusIvEEyEEDaPvRmT3_T4_T5_mT6_P12ihipStream_tbENKUlT_T0_E_clISt17integral_constantIbLb0EESU_EEDaSP_SQ_EUlSP_E0_NS1_11comp_targetILNS1_3genE10ELNS1_11target_archE1201ELNS1_3gpuE5ELNS1_3repE0EEENS1_30default_config_static_selectorELNS0_4arch9wavefront6targetE1EEEvT1_
	.globl	_ZN7rocprim17ROCPRIM_400000_NS6detail17trampoline_kernelINS0_14default_configENS1_20scan_config_selectorIyEEZZNS1_9scan_implILNS1_25lookback_scan_determinismE0ELb1ELb1ES3_N6thrust23THRUST_200600_302600_NS6detail15normal_iteratorINS9_10device_ptrIyEEEESE_yNS9_4plusIvEEyEEDaPvRmT3_T4_T5_mT6_P12ihipStream_tbENKUlT_T0_E_clISt17integral_constantIbLb0EESU_EEDaSP_SQ_EUlSP_E0_NS1_11comp_targetILNS1_3genE10ELNS1_11target_archE1201ELNS1_3gpuE5ELNS1_3repE0EEENS1_30default_config_static_selectorELNS0_4arch9wavefront6targetE1EEEvT1_
	.p2align	8
	.type	_ZN7rocprim17ROCPRIM_400000_NS6detail17trampoline_kernelINS0_14default_configENS1_20scan_config_selectorIyEEZZNS1_9scan_implILNS1_25lookback_scan_determinismE0ELb1ELb1ES3_N6thrust23THRUST_200600_302600_NS6detail15normal_iteratorINS9_10device_ptrIyEEEESE_yNS9_4plusIvEEyEEDaPvRmT3_T4_T5_mT6_P12ihipStream_tbENKUlT_T0_E_clISt17integral_constantIbLb0EESU_EEDaSP_SQ_EUlSP_E0_NS1_11comp_targetILNS1_3genE10ELNS1_11target_archE1201ELNS1_3gpuE5ELNS1_3repE0EEENS1_30default_config_static_selectorELNS0_4arch9wavefront6targetE1EEEvT1_,@function
_ZN7rocprim17ROCPRIM_400000_NS6detail17trampoline_kernelINS0_14default_configENS1_20scan_config_selectorIyEEZZNS1_9scan_implILNS1_25lookback_scan_determinismE0ELb1ELb1ES3_N6thrust23THRUST_200600_302600_NS6detail15normal_iteratorINS9_10device_ptrIyEEEESE_yNS9_4plusIvEEyEEDaPvRmT3_T4_T5_mT6_P12ihipStream_tbENKUlT_T0_E_clISt17integral_constantIbLb0EESU_EEDaSP_SQ_EUlSP_E0_NS1_11comp_targetILNS1_3genE10ELNS1_11target_archE1201ELNS1_3gpuE5ELNS1_3repE0EEENS1_30default_config_static_selectorELNS0_4arch9wavefront6targetE1EEEvT1_: ; @_ZN7rocprim17ROCPRIM_400000_NS6detail17trampoline_kernelINS0_14default_configENS1_20scan_config_selectorIyEEZZNS1_9scan_implILNS1_25lookback_scan_determinismE0ELb1ELb1ES3_N6thrust23THRUST_200600_302600_NS6detail15normal_iteratorINS9_10device_ptrIyEEEESE_yNS9_4plusIvEEyEEDaPvRmT3_T4_T5_mT6_P12ihipStream_tbENKUlT_T0_E_clISt17integral_constantIbLb0EESU_EEDaSP_SQ_EUlSP_E0_NS1_11comp_targetILNS1_3genE10ELNS1_11target_archE1201ELNS1_3gpuE5ELNS1_3repE0EEENS1_30default_config_static_selectorELNS0_4arch9wavefront6targetE1EEEvT1_
; %bb.0:
	.section	.rodata,"a",@progbits
	.p2align	6, 0x0
	.amdhsa_kernel _ZN7rocprim17ROCPRIM_400000_NS6detail17trampoline_kernelINS0_14default_configENS1_20scan_config_selectorIyEEZZNS1_9scan_implILNS1_25lookback_scan_determinismE0ELb1ELb1ES3_N6thrust23THRUST_200600_302600_NS6detail15normal_iteratorINS9_10device_ptrIyEEEESE_yNS9_4plusIvEEyEEDaPvRmT3_T4_T5_mT6_P12ihipStream_tbENKUlT_T0_E_clISt17integral_constantIbLb0EESU_EEDaSP_SQ_EUlSP_E0_NS1_11comp_targetILNS1_3genE10ELNS1_11target_archE1201ELNS1_3gpuE5ELNS1_3repE0EEENS1_30default_config_static_selectorELNS0_4arch9wavefront6targetE1EEEvT1_
		.amdhsa_group_segment_fixed_size 0
		.amdhsa_private_segment_fixed_size 0
		.amdhsa_kernarg_size 40
		.amdhsa_user_sgpr_count 6
		.amdhsa_user_sgpr_private_segment_buffer 1
		.amdhsa_user_sgpr_dispatch_ptr 0
		.amdhsa_user_sgpr_queue_ptr 0
		.amdhsa_user_sgpr_kernarg_segment_ptr 1
		.amdhsa_user_sgpr_dispatch_id 0
		.amdhsa_user_sgpr_flat_scratch_init 0
		.amdhsa_user_sgpr_kernarg_preload_length 0
		.amdhsa_user_sgpr_kernarg_preload_offset 0
		.amdhsa_user_sgpr_private_segment_size 0
		.amdhsa_uses_dynamic_stack 0
		.amdhsa_system_sgpr_private_segment_wavefront_offset 0
		.amdhsa_system_sgpr_workgroup_id_x 1
		.amdhsa_system_sgpr_workgroup_id_y 0
		.amdhsa_system_sgpr_workgroup_id_z 0
		.amdhsa_system_sgpr_workgroup_info 0
		.amdhsa_system_vgpr_workitem_id 0
		.amdhsa_next_free_vgpr 1
		.amdhsa_next_free_sgpr 0
		.amdhsa_accum_offset 4
		.amdhsa_reserve_vcc 0
		.amdhsa_reserve_flat_scratch 0
		.amdhsa_float_round_mode_32 0
		.amdhsa_float_round_mode_16_64 0
		.amdhsa_float_denorm_mode_32 3
		.amdhsa_float_denorm_mode_16_64 3
		.amdhsa_dx10_clamp 1
		.amdhsa_ieee_mode 1
		.amdhsa_fp16_overflow 0
		.amdhsa_tg_split 0
		.amdhsa_exception_fp_ieee_invalid_op 0
		.amdhsa_exception_fp_denorm_src 0
		.amdhsa_exception_fp_ieee_div_zero 0
		.amdhsa_exception_fp_ieee_overflow 0
		.amdhsa_exception_fp_ieee_underflow 0
		.amdhsa_exception_fp_ieee_inexact 0
		.amdhsa_exception_int_div_zero 0
	.end_amdhsa_kernel
	.section	.text._ZN7rocprim17ROCPRIM_400000_NS6detail17trampoline_kernelINS0_14default_configENS1_20scan_config_selectorIyEEZZNS1_9scan_implILNS1_25lookback_scan_determinismE0ELb1ELb1ES3_N6thrust23THRUST_200600_302600_NS6detail15normal_iteratorINS9_10device_ptrIyEEEESE_yNS9_4plusIvEEyEEDaPvRmT3_T4_T5_mT6_P12ihipStream_tbENKUlT_T0_E_clISt17integral_constantIbLb0EESU_EEDaSP_SQ_EUlSP_E0_NS1_11comp_targetILNS1_3genE10ELNS1_11target_archE1201ELNS1_3gpuE5ELNS1_3repE0EEENS1_30default_config_static_selectorELNS0_4arch9wavefront6targetE1EEEvT1_,"axG",@progbits,_ZN7rocprim17ROCPRIM_400000_NS6detail17trampoline_kernelINS0_14default_configENS1_20scan_config_selectorIyEEZZNS1_9scan_implILNS1_25lookback_scan_determinismE0ELb1ELb1ES3_N6thrust23THRUST_200600_302600_NS6detail15normal_iteratorINS9_10device_ptrIyEEEESE_yNS9_4plusIvEEyEEDaPvRmT3_T4_T5_mT6_P12ihipStream_tbENKUlT_T0_E_clISt17integral_constantIbLb0EESU_EEDaSP_SQ_EUlSP_E0_NS1_11comp_targetILNS1_3genE10ELNS1_11target_archE1201ELNS1_3gpuE5ELNS1_3repE0EEENS1_30default_config_static_selectorELNS0_4arch9wavefront6targetE1EEEvT1_,comdat
.Lfunc_end4516:
	.size	_ZN7rocprim17ROCPRIM_400000_NS6detail17trampoline_kernelINS0_14default_configENS1_20scan_config_selectorIyEEZZNS1_9scan_implILNS1_25lookback_scan_determinismE0ELb1ELb1ES3_N6thrust23THRUST_200600_302600_NS6detail15normal_iteratorINS9_10device_ptrIyEEEESE_yNS9_4plusIvEEyEEDaPvRmT3_T4_T5_mT6_P12ihipStream_tbENKUlT_T0_E_clISt17integral_constantIbLb0EESU_EEDaSP_SQ_EUlSP_E0_NS1_11comp_targetILNS1_3genE10ELNS1_11target_archE1201ELNS1_3gpuE5ELNS1_3repE0EEENS1_30default_config_static_selectorELNS0_4arch9wavefront6targetE1EEEvT1_, .Lfunc_end4516-_ZN7rocprim17ROCPRIM_400000_NS6detail17trampoline_kernelINS0_14default_configENS1_20scan_config_selectorIyEEZZNS1_9scan_implILNS1_25lookback_scan_determinismE0ELb1ELb1ES3_N6thrust23THRUST_200600_302600_NS6detail15normal_iteratorINS9_10device_ptrIyEEEESE_yNS9_4plusIvEEyEEDaPvRmT3_T4_T5_mT6_P12ihipStream_tbENKUlT_T0_E_clISt17integral_constantIbLb0EESU_EEDaSP_SQ_EUlSP_E0_NS1_11comp_targetILNS1_3genE10ELNS1_11target_archE1201ELNS1_3gpuE5ELNS1_3repE0EEENS1_30default_config_static_selectorELNS0_4arch9wavefront6targetE1EEEvT1_
                                        ; -- End function
	.section	.AMDGPU.csdata,"",@progbits
; Kernel info:
; codeLenInByte = 0
; NumSgprs: 4
; NumVgprs: 0
; NumAgprs: 0
; TotalNumVgprs: 0
; ScratchSize: 0
; MemoryBound: 0
; FloatMode: 240
; IeeeMode: 1
; LDSByteSize: 0 bytes/workgroup (compile time only)
; SGPRBlocks: 0
; VGPRBlocks: 0
; NumSGPRsForWavesPerEU: 4
; NumVGPRsForWavesPerEU: 1
; AccumOffset: 4
; Occupancy: 8
; WaveLimiterHint : 0
; COMPUTE_PGM_RSRC2:SCRATCH_EN: 0
; COMPUTE_PGM_RSRC2:USER_SGPR: 6
; COMPUTE_PGM_RSRC2:TRAP_HANDLER: 0
; COMPUTE_PGM_RSRC2:TGID_X_EN: 1
; COMPUTE_PGM_RSRC2:TGID_Y_EN: 0
; COMPUTE_PGM_RSRC2:TGID_Z_EN: 0
; COMPUTE_PGM_RSRC2:TIDIG_COMP_CNT: 0
; COMPUTE_PGM_RSRC3_GFX90A:ACCUM_OFFSET: 0
; COMPUTE_PGM_RSRC3_GFX90A:TG_SPLIT: 0
	.section	.text._ZN7rocprim17ROCPRIM_400000_NS6detail17trampoline_kernelINS0_14default_configENS1_20scan_config_selectorIyEEZZNS1_9scan_implILNS1_25lookback_scan_determinismE0ELb1ELb1ES3_N6thrust23THRUST_200600_302600_NS6detail15normal_iteratorINS9_10device_ptrIyEEEESE_yNS9_4plusIvEEyEEDaPvRmT3_T4_T5_mT6_P12ihipStream_tbENKUlT_T0_E_clISt17integral_constantIbLb0EESU_EEDaSP_SQ_EUlSP_E0_NS1_11comp_targetILNS1_3genE10ELNS1_11target_archE1200ELNS1_3gpuE4ELNS1_3repE0EEENS1_30default_config_static_selectorELNS0_4arch9wavefront6targetE1EEEvT1_,"axG",@progbits,_ZN7rocprim17ROCPRIM_400000_NS6detail17trampoline_kernelINS0_14default_configENS1_20scan_config_selectorIyEEZZNS1_9scan_implILNS1_25lookback_scan_determinismE0ELb1ELb1ES3_N6thrust23THRUST_200600_302600_NS6detail15normal_iteratorINS9_10device_ptrIyEEEESE_yNS9_4plusIvEEyEEDaPvRmT3_T4_T5_mT6_P12ihipStream_tbENKUlT_T0_E_clISt17integral_constantIbLb0EESU_EEDaSP_SQ_EUlSP_E0_NS1_11comp_targetILNS1_3genE10ELNS1_11target_archE1200ELNS1_3gpuE4ELNS1_3repE0EEENS1_30default_config_static_selectorELNS0_4arch9wavefront6targetE1EEEvT1_,comdat
	.protected	_ZN7rocprim17ROCPRIM_400000_NS6detail17trampoline_kernelINS0_14default_configENS1_20scan_config_selectorIyEEZZNS1_9scan_implILNS1_25lookback_scan_determinismE0ELb1ELb1ES3_N6thrust23THRUST_200600_302600_NS6detail15normal_iteratorINS9_10device_ptrIyEEEESE_yNS9_4plusIvEEyEEDaPvRmT3_T4_T5_mT6_P12ihipStream_tbENKUlT_T0_E_clISt17integral_constantIbLb0EESU_EEDaSP_SQ_EUlSP_E0_NS1_11comp_targetILNS1_3genE10ELNS1_11target_archE1200ELNS1_3gpuE4ELNS1_3repE0EEENS1_30default_config_static_selectorELNS0_4arch9wavefront6targetE1EEEvT1_ ; -- Begin function _ZN7rocprim17ROCPRIM_400000_NS6detail17trampoline_kernelINS0_14default_configENS1_20scan_config_selectorIyEEZZNS1_9scan_implILNS1_25lookback_scan_determinismE0ELb1ELb1ES3_N6thrust23THRUST_200600_302600_NS6detail15normal_iteratorINS9_10device_ptrIyEEEESE_yNS9_4plusIvEEyEEDaPvRmT3_T4_T5_mT6_P12ihipStream_tbENKUlT_T0_E_clISt17integral_constantIbLb0EESU_EEDaSP_SQ_EUlSP_E0_NS1_11comp_targetILNS1_3genE10ELNS1_11target_archE1200ELNS1_3gpuE4ELNS1_3repE0EEENS1_30default_config_static_selectorELNS0_4arch9wavefront6targetE1EEEvT1_
	.globl	_ZN7rocprim17ROCPRIM_400000_NS6detail17trampoline_kernelINS0_14default_configENS1_20scan_config_selectorIyEEZZNS1_9scan_implILNS1_25lookback_scan_determinismE0ELb1ELb1ES3_N6thrust23THRUST_200600_302600_NS6detail15normal_iteratorINS9_10device_ptrIyEEEESE_yNS9_4plusIvEEyEEDaPvRmT3_T4_T5_mT6_P12ihipStream_tbENKUlT_T0_E_clISt17integral_constantIbLb0EESU_EEDaSP_SQ_EUlSP_E0_NS1_11comp_targetILNS1_3genE10ELNS1_11target_archE1200ELNS1_3gpuE4ELNS1_3repE0EEENS1_30default_config_static_selectorELNS0_4arch9wavefront6targetE1EEEvT1_
	.p2align	8
	.type	_ZN7rocprim17ROCPRIM_400000_NS6detail17trampoline_kernelINS0_14default_configENS1_20scan_config_selectorIyEEZZNS1_9scan_implILNS1_25lookback_scan_determinismE0ELb1ELb1ES3_N6thrust23THRUST_200600_302600_NS6detail15normal_iteratorINS9_10device_ptrIyEEEESE_yNS9_4plusIvEEyEEDaPvRmT3_T4_T5_mT6_P12ihipStream_tbENKUlT_T0_E_clISt17integral_constantIbLb0EESU_EEDaSP_SQ_EUlSP_E0_NS1_11comp_targetILNS1_3genE10ELNS1_11target_archE1200ELNS1_3gpuE4ELNS1_3repE0EEENS1_30default_config_static_selectorELNS0_4arch9wavefront6targetE1EEEvT1_,@function
_ZN7rocprim17ROCPRIM_400000_NS6detail17trampoline_kernelINS0_14default_configENS1_20scan_config_selectorIyEEZZNS1_9scan_implILNS1_25lookback_scan_determinismE0ELb1ELb1ES3_N6thrust23THRUST_200600_302600_NS6detail15normal_iteratorINS9_10device_ptrIyEEEESE_yNS9_4plusIvEEyEEDaPvRmT3_T4_T5_mT6_P12ihipStream_tbENKUlT_T0_E_clISt17integral_constantIbLb0EESU_EEDaSP_SQ_EUlSP_E0_NS1_11comp_targetILNS1_3genE10ELNS1_11target_archE1200ELNS1_3gpuE4ELNS1_3repE0EEENS1_30default_config_static_selectorELNS0_4arch9wavefront6targetE1EEEvT1_: ; @_ZN7rocprim17ROCPRIM_400000_NS6detail17trampoline_kernelINS0_14default_configENS1_20scan_config_selectorIyEEZZNS1_9scan_implILNS1_25lookback_scan_determinismE0ELb1ELb1ES3_N6thrust23THRUST_200600_302600_NS6detail15normal_iteratorINS9_10device_ptrIyEEEESE_yNS9_4plusIvEEyEEDaPvRmT3_T4_T5_mT6_P12ihipStream_tbENKUlT_T0_E_clISt17integral_constantIbLb0EESU_EEDaSP_SQ_EUlSP_E0_NS1_11comp_targetILNS1_3genE10ELNS1_11target_archE1200ELNS1_3gpuE4ELNS1_3repE0EEENS1_30default_config_static_selectorELNS0_4arch9wavefront6targetE1EEEvT1_
; %bb.0:
	.section	.rodata,"a",@progbits
	.p2align	6, 0x0
	.amdhsa_kernel _ZN7rocprim17ROCPRIM_400000_NS6detail17trampoline_kernelINS0_14default_configENS1_20scan_config_selectorIyEEZZNS1_9scan_implILNS1_25lookback_scan_determinismE0ELb1ELb1ES3_N6thrust23THRUST_200600_302600_NS6detail15normal_iteratorINS9_10device_ptrIyEEEESE_yNS9_4plusIvEEyEEDaPvRmT3_T4_T5_mT6_P12ihipStream_tbENKUlT_T0_E_clISt17integral_constantIbLb0EESU_EEDaSP_SQ_EUlSP_E0_NS1_11comp_targetILNS1_3genE10ELNS1_11target_archE1200ELNS1_3gpuE4ELNS1_3repE0EEENS1_30default_config_static_selectorELNS0_4arch9wavefront6targetE1EEEvT1_
		.amdhsa_group_segment_fixed_size 0
		.amdhsa_private_segment_fixed_size 0
		.amdhsa_kernarg_size 40
		.amdhsa_user_sgpr_count 6
		.amdhsa_user_sgpr_private_segment_buffer 1
		.amdhsa_user_sgpr_dispatch_ptr 0
		.amdhsa_user_sgpr_queue_ptr 0
		.amdhsa_user_sgpr_kernarg_segment_ptr 1
		.amdhsa_user_sgpr_dispatch_id 0
		.amdhsa_user_sgpr_flat_scratch_init 0
		.amdhsa_user_sgpr_kernarg_preload_length 0
		.amdhsa_user_sgpr_kernarg_preload_offset 0
		.amdhsa_user_sgpr_private_segment_size 0
		.amdhsa_uses_dynamic_stack 0
		.amdhsa_system_sgpr_private_segment_wavefront_offset 0
		.amdhsa_system_sgpr_workgroup_id_x 1
		.amdhsa_system_sgpr_workgroup_id_y 0
		.amdhsa_system_sgpr_workgroup_id_z 0
		.amdhsa_system_sgpr_workgroup_info 0
		.amdhsa_system_vgpr_workitem_id 0
		.amdhsa_next_free_vgpr 1
		.amdhsa_next_free_sgpr 0
		.amdhsa_accum_offset 4
		.amdhsa_reserve_vcc 0
		.amdhsa_reserve_flat_scratch 0
		.amdhsa_float_round_mode_32 0
		.amdhsa_float_round_mode_16_64 0
		.amdhsa_float_denorm_mode_32 3
		.amdhsa_float_denorm_mode_16_64 3
		.amdhsa_dx10_clamp 1
		.amdhsa_ieee_mode 1
		.amdhsa_fp16_overflow 0
		.amdhsa_tg_split 0
		.amdhsa_exception_fp_ieee_invalid_op 0
		.amdhsa_exception_fp_denorm_src 0
		.amdhsa_exception_fp_ieee_div_zero 0
		.amdhsa_exception_fp_ieee_overflow 0
		.amdhsa_exception_fp_ieee_underflow 0
		.amdhsa_exception_fp_ieee_inexact 0
		.amdhsa_exception_int_div_zero 0
	.end_amdhsa_kernel
	.section	.text._ZN7rocprim17ROCPRIM_400000_NS6detail17trampoline_kernelINS0_14default_configENS1_20scan_config_selectorIyEEZZNS1_9scan_implILNS1_25lookback_scan_determinismE0ELb1ELb1ES3_N6thrust23THRUST_200600_302600_NS6detail15normal_iteratorINS9_10device_ptrIyEEEESE_yNS9_4plusIvEEyEEDaPvRmT3_T4_T5_mT6_P12ihipStream_tbENKUlT_T0_E_clISt17integral_constantIbLb0EESU_EEDaSP_SQ_EUlSP_E0_NS1_11comp_targetILNS1_3genE10ELNS1_11target_archE1200ELNS1_3gpuE4ELNS1_3repE0EEENS1_30default_config_static_selectorELNS0_4arch9wavefront6targetE1EEEvT1_,"axG",@progbits,_ZN7rocprim17ROCPRIM_400000_NS6detail17trampoline_kernelINS0_14default_configENS1_20scan_config_selectorIyEEZZNS1_9scan_implILNS1_25lookback_scan_determinismE0ELb1ELb1ES3_N6thrust23THRUST_200600_302600_NS6detail15normal_iteratorINS9_10device_ptrIyEEEESE_yNS9_4plusIvEEyEEDaPvRmT3_T4_T5_mT6_P12ihipStream_tbENKUlT_T0_E_clISt17integral_constantIbLb0EESU_EEDaSP_SQ_EUlSP_E0_NS1_11comp_targetILNS1_3genE10ELNS1_11target_archE1200ELNS1_3gpuE4ELNS1_3repE0EEENS1_30default_config_static_selectorELNS0_4arch9wavefront6targetE1EEEvT1_,comdat
.Lfunc_end4517:
	.size	_ZN7rocprim17ROCPRIM_400000_NS6detail17trampoline_kernelINS0_14default_configENS1_20scan_config_selectorIyEEZZNS1_9scan_implILNS1_25lookback_scan_determinismE0ELb1ELb1ES3_N6thrust23THRUST_200600_302600_NS6detail15normal_iteratorINS9_10device_ptrIyEEEESE_yNS9_4plusIvEEyEEDaPvRmT3_T4_T5_mT6_P12ihipStream_tbENKUlT_T0_E_clISt17integral_constantIbLb0EESU_EEDaSP_SQ_EUlSP_E0_NS1_11comp_targetILNS1_3genE10ELNS1_11target_archE1200ELNS1_3gpuE4ELNS1_3repE0EEENS1_30default_config_static_selectorELNS0_4arch9wavefront6targetE1EEEvT1_, .Lfunc_end4517-_ZN7rocprim17ROCPRIM_400000_NS6detail17trampoline_kernelINS0_14default_configENS1_20scan_config_selectorIyEEZZNS1_9scan_implILNS1_25lookback_scan_determinismE0ELb1ELb1ES3_N6thrust23THRUST_200600_302600_NS6detail15normal_iteratorINS9_10device_ptrIyEEEESE_yNS9_4plusIvEEyEEDaPvRmT3_T4_T5_mT6_P12ihipStream_tbENKUlT_T0_E_clISt17integral_constantIbLb0EESU_EEDaSP_SQ_EUlSP_E0_NS1_11comp_targetILNS1_3genE10ELNS1_11target_archE1200ELNS1_3gpuE4ELNS1_3repE0EEENS1_30default_config_static_selectorELNS0_4arch9wavefront6targetE1EEEvT1_
                                        ; -- End function
	.section	.AMDGPU.csdata,"",@progbits
; Kernel info:
; codeLenInByte = 0
; NumSgprs: 4
; NumVgprs: 0
; NumAgprs: 0
; TotalNumVgprs: 0
; ScratchSize: 0
; MemoryBound: 0
; FloatMode: 240
; IeeeMode: 1
; LDSByteSize: 0 bytes/workgroup (compile time only)
; SGPRBlocks: 0
; VGPRBlocks: 0
; NumSGPRsForWavesPerEU: 4
; NumVGPRsForWavesPerEU: 1
; AccumOffset: 4
; Occupancy: 8
; WaveLimiterHint : 0
; COMPUTE_PGM_RSRC2:SCRATCH_EN: 0
; COMPUTE_PGM_RSRC2:USER_SGPR: 6
; COMPUTE_PGM_RSRC2:TRAP_HANDLER: 0
; COMPUTE_PGM_RSRC2:TGID_X_EN: 1
; COMPUTE_PGM_RSRC2:TGID_Y_EN: 0
; COMPUTE_PGM_RSRC2:TGID_Z_EN: 0
; COMPUTE_PGM_RSRC2:TIDIG_COMP_CNT: 0
; COMPUTE_PGM_RSRC3_GFX90A:ACCUM_OFFSET: 0
; COMPUTE_PGM_RSRC3_GFX90A:TG_SPLIT: 0
	.section	.text._ZN7rocprim17ROCPRIM_400000_NS6detail17trampoline_kernelINS0_14default_configENS1_20scan_config_selectorIyEEZZNS1_9scan_implILNS1_25lookback_scan_determinismE0ELb1ELb1ES3_N6thrust23THRUST_200600_302600_NS6detail15normal_iteratorINS9_10device_ptrIyEEEESE_yNS9_4plusIvEEyEEDaPvRmT3_T4_T5_mT6_P12ihipStream_tbENKUlT_T0_E_clISt17integral_constantIbLb0EESU_EEDaSP_SQ_EUlSP_E0_NS1_11comp_targetILNS1_3genE9ELNS1_11target_archE1100ELNS1_3gpuE3ELNS1_3repE0EEENS1_30default_config_static_selectorELNS0_4arch9wavefront6targetE1EEEvT1_,"axG",@progbits,_ZN7rocprim17ROCPRIM_400000_NS6detail17trampoline_kernelINS0_14default_configENS1_20scan_config_selectorIyEEZZNS1_9scan_implILNS1_25lookback_scan_determinismE0ELb1ELb1ES3_N6thrust23THRUST_200600_302600_NS6detail15normal_iteratorINS9_10device_ptrIyEEEESE_yNS9_4plusIvEEyEEDaPvRmT3_T4_T5_mT6_P12ihipStream_tbENKUlT_T0_E_clISt17integral_constantIbLb0EESU_EEDaSP_SQ_EUlSP_E0_NS1_11comp_targetILNS1_3genE9ELNS1_11target_archE1100ELNS1_3gpuE3ELNS1_3repE0EEENS1_30default_config_static_selectorELNS0_4arch9wavefront6targetE1EEEvT1_,comdat
	.protected	_ZN7rocprim17ROCPRIM_400000_NS6detail17trampoline_kernelINS0_14default_configENS1_20scan_config_selectorIyEEZZNS1_9scan_implILNS1_25lookback_scan_determinismE0ELb1ELb1ES3_N6thrust23THRUST_200600_302600_NS6detail15normal_iteratorINS9_10device_ptrIyEEEESE_yNS9_4plusIvEEyEEDaPvRmT3_T4_T5_mT6_P12ihipStream_tbENKUlT_T0_E_clISt17integral_constantIbLb0EESU_EEDaSP_SQ_EUlSP_E0_NS1_11comp_targetILNS1_3genE9ELNS1_11target_archE1100ELNS1_3gpuE3ELNS1_3repE0EEENS1_30default_config_static_selectorELNS0_4arch9wavefront6targetE1EEEvT1_ ; -- Begin function _ZN7rocprim17ROCPRIM_400000_NS6detail17trampoline_kernelINS0_14default_configENS1_20scan_config_selectorIyEEZZNS1_9scan_implILNS1_25lookback_scan_determinismE0ELb1ELb1ES3_N6thrust23THRUST_200600_302600_NS6detail15normal_iteratorINS9_10device_ptrIyEEEESE_yNS9_4plusIvEEyEEDaPvRmT3_T4_T5_mT6_P12ihipStream_tbENKUlT_T0_E_clISt17integral_constantIbLb0EESU_EEDaSP_SQ_EUlSP_E0_NS1_11comp_targetILNS1_3genE9ELNS1_11target_archE1100ELNS1_3gpuE3ELNS1_3repE0EEENS1_30default_config_static_selectorELNS0_4arch9wavefront6targetE1EEEvT1_
	.globl	_ZN7rocprim17ROCPRIM_400000_NS6detail17trampoline_kernelINS0_14default_configENS1_20scan_config_selectorIyEEZZNS1_9scan_implILNS1_25lookback_scan_determinismE0ELb1ELb1ES3_N6thrust23THRUST_200600_302600_NS6detail15normal_iteratorINS9_10device_ptrIyEEEESE_yNS9_4plusIvEEyEEDaPvRmT3_T4_T5_mT6_P12ihipStream_tbENKUlT_T0_E_clISt17integral_constantIbLb0EESU_EEDaSP_SQ_EUlSP_E0_NS1_11comp_targetILNS1_3genE9ELNS1_11target_archE1100ELNS1_3gpuE3ELNS1_3repE0EEENS1_30default_config_static_selectorELNS0_4arch9wavefront6targetE1EEEvT1_
	.p2align	8
	.type	_ZN7rocprim17ROCPRIM_400000_NS6detail17trampoline_kernelINS0_14default_configENS1_20scan_config_selectorIyEEZZNS1_9scan_implILNS1_25lookback_scan_determinismE0ELb1ELb1ES3_N6thrust23THRUST_200600_302600_NS6detail15normal_iteratorINS9_10device_ptrIyEEEESE_yNS9_4plusIvEEyEEDaPvRmT3_T4_T5_mT6_P12ihipStream_tbENKUlT_T0_E_clISt17integral_constantIbLb0EESU_EEDaSP_SQ_EUlSP_E0_NS1_11comp_targetILNS1_3genE9ELNS1_11target_archE1100ELNS1_3gpuE3ELNS1_3repE0EEENS1_30default_config_static_selectorELNS0_4arch9wavefront6targetE1EEEvT1_,@function
_ZN7rocprim17ROCPRIM_400000_NS6detail17trampoline_kernelINS0_14default_configENS1_20scan_config_selectorIyEEZZNS1_9scan_implILNS1_25lookback_scan_determinismE0ELb1ELb1ES3_N6thrust23THRUST_200600_302600_NS6detail15normal_iteratorINS9_10device_ptrIyEEEESE_yNS9_4plusIvEEyEEDaPvRmT3_T4_T5_mT6_P12ihipStream_tbENKUlT_T0_E_clISt17integral_constantIbLb0EESU_EEDaSP_SQ_EUlSP_E0_NS1_11comp_targetILNS1_3genE9ELNS1_11target_archE1100ELNS1_3gpuE3ELNS1_3repE0EEENS1_30default_config_static_selectorELNS0_4arch9wavefront6targetE1EEEvT1_: ; @_ZN7rocprim17ROCPRIM_400000_NS6detail17trampoline_kernelINS0_14default_configENS1_20scan_config_selectorIyEEZZNS1_9scan_implILNS1_25lookback_scan_determinismE0ELb1ELb1ES3_N6thrust23THRUST_200600_302600_NS6detail15normal_iteratorINS9_10device_ptrIyEEEESE_yNS9_4plusIvEEyEEDaPvRmT3_T4_T5_mT6_P12ihipStream_tbENKUlT_T0_E_clISt17integral_constantIbLb0EESU_EEDaSP_SQ_EUlSP_E0_NS1_11comp_targetILNS1_3genE9ELNS1_11target_archE1100ELNS1_3gpuE3ELNS1_3repE0EEENS1_30default_config_static_selectorELNS0_4arch9wavefront6targetE1EEEvT1_
; %bb.0:
	.section	.rodata,"a",@progbits
	.p2align	6, 0x0
	.amdhsa_kernel _ZN7rocprim17ROCPRIM_400000_NS6detail17trampoline_kernelINS0_14default_configENS1_20scan_config_selectorIyEEZZNS1_9scan_implILNS1_25lookback_scan_determinismE0ELb1ELb1ES3_N6thrust23THRUST_200600_302600_NS6detail15normal_iteratorINS9_10device_ptrIyEEEESE_yNS9_4plusIvEEyEEDaPvRmT3_T4_T5_mT6_P12ihipStream_tbENKUlT_T0_E_clISt17integral_constantIbLb0EESU_EEDaSP_SQ_EUlSP_E0_NS1_11comp_targetILNS1_3genE9ELNS1_11target_archE1100ELNS1_3gpuE3ELNS1_3repE0EEENS1_30default_config_static_selectorELNS0_4arch9wavefront6targetE1EEEvT1_
		.amdhsa_group_segment_fixed_size 0
		.amdhsa_private_segment_fixed_size 0
		.amdhsa_kernarg_size 40
		.amdhsa_user_sgpr_count 6
		.amdhsa_user_sgpr_private_segment_buffer 1
		.amdhsa_user_sgpr_dispatch_ptr 0
		.amdhsa_user_sgpr_queue_ptr 0
		.amdhsa_user_sgpr_kernarg_segment_ptr 1
		.amdhsa_user_sgpr_dispatch_id 0
		.amdhsa_user_sgpr_flat_scratch_init 0
		.amdhsa_user_sgpr_kernarg_preload_length 0
		.amdhsa_user_sgpr_kernarg_preload_offset 0
		.amdhsa_user_sgpr_private_segment_size 0
		.amdhsa_uses_dynamic_stack 0
		.amdhsa_system_sgpr_private_segment_wavefront_offset 0
		.amdhsa_system_sgpr_workgroup_id_x 1
		.amdhsa_system_sgpr_workgroup_id_y 0
		.amdhsa_system_sgpr_workgroup_id_z 0
		.amdhsa_system_sgpr_workgroup_info 0
		.amdhsa_system_vgpr_workitem_id 0
		.amdhsa_next_free_vgpr 1
		.amdhsa_next_free_sgpr 0
		.amdhsa_accum_offset 4
		.amdhsa_reserve_vcc 0
		.amdhsa_reserve_flat_scratch 0
		.amdhsa_float_round_mode_32 0
		.amdhsa_float_round_mode_16_64 0
		.amdhsa_float_denorm_mode_32 3
		.amdhsa_float_denorm_mode_16_64 3
		.amdhsa_dx10_clamp 1
		.amdhsa_ieee_mode 1
		.amdhsa_fp16_overflow 0
		.amdhsa_tg_split 0
		.amdhsa_exception_fp_ieee_invalid_op 0
		.amdhsa_exception_fp_denorm_src 0
		.amdhsa_exception_fp_ieee_div_zero 0
		.amdhsa_exception_fp_ieee_overflow 0
		.amdhsa_exception_fp_ieee_underflow 0
		.amdhsa_exception_fp_ieee_inexact 0
		.amdhsa_exception_int_div_zero 0
	.end_amdhsa_kernel
	.section	.text._ZN7rocprim17ROCPRIM_400000_NS6detail17trampoline_kernelINS0_14default_configENS1_20scan_config_selectorIyEEZZNS1_9scan_implILNS1_25lookback_scan_determinismE0ELb1ELb1ES3_N6thrust23THRUST_200600_302600_NS6detail15normal_iteratorINS9_10device_ptrIyEEEESE_yNS9_4plusIvEEyEEDaPvRmT3_T4_T5_mT6_P12ihipStream_tbENKUlT_T0_E_clISt17integral_constantIbLb0EESU_EEDaSP_SQ_EUlSP_E0_NS1_11comp_targetILNS1_3genE9ELNS1_11target_archE1100ELNS1_3gpuE3ELNS1_3repE0EEENS1_30default_config_static_selectorELNS0_4arch9wavefront6targetE1EEEvT1_,"axG",@progbits,_ZN7rocprim17ROCPRIM_400000_NS6detail17trampoline_kernelINS0_14default_configENS1_20scan_config_selectorIyEEZZNS1_9scan_implILNS1_25lookback_scan_determinismE0ELb1ELb1ES3_N6thrust23THRUST_200600_302600_NS6detail15normal_iteratorINS9_10device_ptrIyEEEESE_yNS9_4plusIvEEyEEDaPvRmT3_T4_T5_mT6_P12ihipStream_tbENKUlT_T0_E_clISt17integral_constantIbLb0EESU_EEDaSP_SQ_EUlSP_E0_NS1_11comp_targetILNS1_3genE9ELNS1_11target_archE1100ELNS1_3gpuE3ELNS1_3repE0EEENS1_30default_config_static_selectorELNS0_4arch9wavefront6targetE1EEEvT1_,comdat
.Lfunc_end4518:
	.size	_ZN7rocprim17ROCPRIM_400000_NS6detail17trampoline_kernelINS0_14default_configENS1_20scan_config_selectorIyEEZZNS1_9scan_implILNS1_25lookback_scan_determinismE0ELb1ELb1ES3_N6thrust23THRUST_200600_302600_NS6detail15normal_iteratorINS9_10device_ptrIyEEEESE_yNS9_4plusIvEEyEEDaPvRmT3_T4_T5_mT6_P12ihipStream_tbENKUlT_T0_E_clISt17integral_constantIbLb0EESU_EEDaSP_SQ_EUlSP_E0_NS1_11comp_targetILNS1_3genE9ELNS1_11target_archE1100ELNS1_3gpuE3ELNS1_3repE0EEENS1_30default_config_static_selectorELNS0_4arch9wavefront6targetE1EEEvT1_, .Lfunc_end4518-_ZN7rocprim17ROCPRIM_400000_NS6detail17trampoline_kernelINS0_14default_configENS1_20scan_config_selectorIyEEZZNS1_9scan_implILNS1_25lookback_scan_determinismE0ELb1ELb1ES3_N6thrust23THRUST_200600_302600_NS6detail15normal_iteratorINS9_10device_ptrIyEEEESE_yNS9_4plusIvEEyEEDaPvRmT3_T4_T5_mT6_P12ihipStream_tbENKUlT_T0_E_clISt17integral_constantIbLb0EESU_EEDaSP_SQ_EUlSP_E0_NS1_11comp_targetILNS1_3genE9ELNS1_11target_archE1100ELNS1_3gpuE3ELNS1_3repE0EEENS1_30default_config_static_selectorELNS0_4arch9wavefront6targetE1EEEvT1_
                                        ; -- End function
	.section	.AMDGPU.csdata,"",@progbits
; Kernel info:
; codeLenInByte = 0
; NumSgprs: 4
; NumVgprs: 0
; NumAgprs: 0
; TotalNumVgprs: 0
; ScratchSize: 0
; MemoryBound: 0
; FloatMode: 240
; IeeeMode: 1
; LDSByteSize: 0 bytes/workgroup (compile time only)
; SGPRBlocks: 0
; VGPRBlocks: 0
; NumSGPRsForWavesPerEU: 4
; NumVGPRsForWavesPerEU: 1
; AccumOffset: 4
; Occupancy: 8
; WaveLimiterHint : 0
; COMPUTE_PGM_RSRC2:SCRATCH_EN: 0
; COMPUTE_PGM_RSRC2:USER_SGPR: 6
; COMPUTE_PGM_RSRC2:TRAP_HANDLER: 0
; COMPUTE_PGM_RSRC2:TGID_X_EN: 1
; COMPUTE_PGM_RSRC2:TGID_Y_EN: 0
; COMPUTE_PGM_RSRC2:TGID_Z_EN: 0
; COMPUTE_PGM_RSRC2:TIDIG_COMP_CNT: 0
; COMPUTE_PGM_RSRC3_GFX90A:ACCUM_OFFSET: 0
; COMPUTE_PGM_RSRC3_GFX90A:TG_SPLIT: 0
	.section	.text._ZN7rocprim17ROCPRIM_400000_NS6detail17trampoline_kernelINS0_14default_configENS1_20scan_config_selectorIyEEZZNS1_9scan_implILNS1_25lookback_scan_determinismE0ELb1ELb1ES3_N6thrust23THRUST_200600_302600_NS6detail15normal_iteratorINS9_10device_ptrIyEEEESE_yNS9_4plusIvEEyEEDaPvRmT3_T4_T5_mT6_P12ihipStream_tbENKUlT_T0_E_clISt17integral_constantIbLb0EESU_EEDaSP_SQ_EUlSP_E0_NS1_11comp_targetILNS1_3genE8ELNS1_11target_archE1030ELNS1_3gpuE2ELNS1_3repE0EEENS1_30default_config_static_selectorELNS0_4arch9wavefront6targetE1EEEvT1_,"axG",@progbits,_ZN7rocprim17ROCPRIM_400000_NS6detail17trampoline_kernelINS0_14default_configENS1_20scan_config_selectorIyEEZZNS1_9scan_implILNS1_25lookback_scan_determinismE0ELb1ELb1ES3_N6thrust23THRUST_200600_302600_NS6detail15normal_iteratorINS9_10device_ptrIyEEEESE_yNS9_4plusIvEEyEEDaPvRmT3_T4_T5_mT6_P12ihipStream_tbENKUlT_T0_E_clISt17integral_constantIbLb0EESU_EEDaSP_SQ_EUlSP_E0_NS1_11comp_targetILNS1_3genE8ELNS1_11target_archE1030ELNS1_3gpuE2ELNS1_3repE0EEENS1_30default_config_static_selectorELNS0_4arch9wavefront6targetE1EEEvT1_,comdat
	.protected	_ZN7rocprim17ROCPRIM_400000_NS6detail17trampoline_kernelINS0_14default_configENS1_20scan_config_selectorIyEEZZNS1_9scan_implILNS1_25lookback_scan_determinismE0ELb1ELb1ES3_N6thrust23THRUST_200600_302600_NS6detail15normal_iteratorINS9_10device_ptrIyEEEESE_yNS9_4plusIvEEyEEDaPvRmT3_T4_T5_mT6_P12ihipStream_tbENKUlT_T0_E_clISt17integral_constantIbLb0EESU_EEDaSP_SQ_EUlSP_E0_NS1_11comp_targetILNS1_3genE8ELNS1_11target_archE1030ELNS1_3gpuE2ELNS1_3repE0EEENS1_30default_config_static_selectorELNS0_4arch9wavefront6targetE1EEEvT1_ ; -- Begin function _ZN7rocprim17ROCPRIM_400000_NS6detail17trampoline_kernelINS0_14default_configENS1_20scan_config_selectorIyEEZZNS1_9scan_implILNS1_25lookback_scan_determinismE0ELb1ELb1ES3_N6thrust23THRUST_200600_302600_NS6detail15normal_iteratorINS9_10device_ptrIyEEEESE_yNS9_4plusIvEEyEEDaPvRmT3_T4_T5_mT6_P12ihipStream_tbENKUlT_T0_E_clISt17integral_constantIbLb0EESU_EEDaSP_SQ_EUlSP_E0_NS1_11comp_targetILNS1_3genE8ELNS1_11target_archE1030ELNS1_3gpuE2ELNS1_3repE0EEENS1_30default_config_static_selectorELNS0_4arch9wavefront6targetE1EEEvT1_
	.globl	_ZN7rocprim17ROCPRIM_400000_NS6detail17trampoline_kernelINS0_14default_configENS1_20scan_config_selectorIyEEZZNS1_9scan_implILNS1_25lookback_scan_determinismE0ELb1ELb1ES3_N6thrust23THRUST_200600_302600_NS6detail15normal_iteratorINS9_10device_ptrIyEEEESE_yNS9_4plusIvEEyEEDaPvRmT3_T4_T5_mT6_P12ihipStream_tbENKUlT_T0_E_clISt17integral_constantIbLb0EESU_EEDaSP_SQ_EUlSP_E0_NS1_11comp_targetILNS1_3genE8ELNS1_11target_archE1030ELNS1_3gpuE2ELNS1_3repE0EEENS1_30default_config_static_selectorELNS0_4arch9wavefront6targetE1EEEvT1_
	.p2align	8
	.type	_ZN7rocprim17ROCPRIM_400000_NS6detail17trampoline_kernelINS0_14default_configENS1_20scan_config_selectorIyEEZZNS1_9scan_implILNS1_25lookback_scan_determinismE0ELb1ELb1ES3_N6thrust23THRUST_200600_302600_NS6detail15normal_iteratorINS9_10device_ptrIyEEEESE_yNS9_4plusIvEEyEEDaPvRmT3_T4_T5_mT6_P12ihipStream_tbENKUlT_T0_E_clISt17integral_constantIbLb0EESU_EEDaSP_SQ_EUlSP_E0_NS1_11comp_targetILNS1_3genE8ELNS1_11target_archE1030ELNS1_3gpuE2ELNS1_3repE0EEENS1_30default_config_static_selectorELNS0_4arch9wavefront6targetE1EEEvT1_,@function
_ZN7rocprim17ROCPRIM_400000_NS6detail17trampoline_kernelINS0_14default_configENS1_20scan_config_selectorIyEEZZNS1_9scan_implILNS1_25lookback_scan_determinismE0ELb1ELb1ES3_N6thrust23THRUST_200600_302600_NS6detail15normal_iteratorINS9_10device_ptrIyEEEESE_yNS9_4plusIvEEyEEDaPvRmT3_T4_T5_mT6_P12ihipStream_tbENKUlT_T0_E_clISt17integral_constantIbLb0EESU_EEDaSP_SQ_EUlSP_E0_NS1_11comp_targetILNS1_3genE8ELNS1_11target_archE1030ELNS1_3gpuE2ELNS1_3repE0EEENS1_30default_config_static_selectorELNS0_4arch9wavefront6targetE1EEEvT1_: ; @_ZN7rocprim17ROCPRIM_400000_NS6detail17trampoline_kernelINS0_14default_configENS1_20scan_config_selectorIyEEZZNS1_9scan_implILNS1_25lookback_scan_determinismE0ELb1ELb1ES3_N6thrust23THRUST_200600_302600_NS6detail15normal_iteratorINS9_10device_ptrIyEEEESE_yNS9_4plusIvEEyEEDaPvRmT3_T4_T5_mT6_P12ihipStream_tbENKUlT_T0_E_clISt17integral_constantIbLb0EESU_EEDaSP_SQ_EUlSP_E0_NS1_11comp_targetILNS1_3genE8ELNS1_11target_archE1030ELNS1_3gpuE2ELNS1_3repE0EEENS1_30default_config_static_selectorELNS0_4arch9wavefront6targetE1EEEvT1_
; %bb.0:
	.section	.rodata,"a",@progbits
	.p2align	6, 0x0
	.amdhsa_kernel _ZN7rocprim17ROCPRIM_400000_NS6detail17trampoline_kernelINS0_14default_configENS1_20scan_config_selectorIyEEZZNS1_9scan_implILNS1_25lookback_scan_determinismE0ELb1ELb1ES3_N6thrust23THRUST_200600_302600_NS6detail15normal_iteratorINS9_10device_ptrIyEEEESE_yNS9_4plusIvEEyEEDaPvRmT3_T4_T5_mT6_P12ihipStream_tbENKUlT_T0_E_clISt17integral_constantIbLb0EESU_EEDaSP_SQ_EUlSP_E0_NS1_11comp_targetILNS1_3genE8ELNS1_11target_archE1030ELNS1_3gpuE2ELNS1_3repE0EEENS1_30default_config_static_selectorELNS0_4arch9wavefront6targetE1EEEvT1_
		.amdhsa_group_segment_fixed_size 0
		.amdhsa_private_segment_fixed_size 0
		.amdhsa_kernarg_size 40
		.amdhsa_user_sgpr_count 6
		.amdhsa_user_sgpr_private_segment_buffer 1
		.amdhsa_user_sgpr_dispatch_ptr 0
		.amdhsa_user_sgpr_queue_ptr 0
		.amdhsa_user_sgpr_kernarg_segment_ptr 1
		.amdhsa_user_sgpr_dispatch_id 0
		.amdhsa_user_sgpr_flat_scratch_init 0
		.amdhsa_user_sgpr_kernarg_preload_length 0
		.amdhsa_user_sgpr_kernarg_preload_offset 0
		.amdhsa_user_sgpr_private_segment_size 0
		.amdhsa_uses_dynamic_stack 0
		.amdhsa_system_sgpr_private_segment_wavefront_offset 0
		.amdhsa_system_sgpr_workgroup_id_x 1
		.amdhsa_system_sgpr_workgroup_id_y 0
		.amdhsa_system_sgpr_workgroup_id_z 0
		.amdhsa_system_sgpr_workgroup_info 0
		.amdhsa_system_vgpr_workitem_id 0
		.amdhsa_next_free_vgpr 1
		.amdhsa_next_free_sgpr 0
		.amdhsa_accum_offset 4
		.amdhsa_reserve_vcc 0
		.amdhsa_reserve_flat_scratch 0
		.amdhsa_float_round_mode_32 0
		.amdhsa_float_round_mode_16_64 0
		.amdhsa_float_denorm_mode_32 3
		.amdhsa_float_denorm_mode_16_64 3
		.amdhsa_dx10_clamp 1
		.amdhsa_ieee_mode 1
		.amdhsa_fp16_overflow 0
		.amdhsa_tg_split 0
		.amdhsa_exception_fp_ieee_invalid_op 0
		.amdhsa_exception_fp_denorm_src 0
		.amdhsa_exception_fp_ieee_div_zero 0
		.amdhsa_exception_fp_ieee_overflow 0
		.amdhsa_exception_fp_ieee_underflow 0
		.amdhsa_exception_fp_ieee_inexact 0
		.amdhsa_exception_int_div_zero 0
	.end_amdhsa_kernel
	.section	.text._ZN7rocprim17ROCPRIM_400000_NS6detail17trampoline_kernelINS0_14default_configENS1_20scan_config_selectorIyEEZZNS1_9scan_implILNS1_25lookback_scan_determinismE0ELb1ELb1ES3_N6thrust23THRUST_200600_302600_NS6detail15normal_iteratorINS9_10device_ptrIyEEEESE_yNS9_4plusIvEEyEEDaPvRmT3_T4_T5_mT6_P12ihipStream_tbENKUlT_T0_E_clISt17integral_constantIbLb0EESU_EEDaSP_SQ_EUlSP_E0_NS1_11comp_targetILNS1_3genE8ELNS1_11target_archE1030ELNS1_3gpuE2ELNS1_3repE0EEENS1_30default_config_static_selectorELNS0_4arch9wavefront6targetE1EEEvT1_,"axG",@progbits,_ZN7rocprim17ROCPRIM_400000_NS6detail17trampoline_kernelINS0_14default_configENS1_20scan_config_selectorIyEEZZNS1_9scan_implILNS1_25lookback_scan_determinismE0ELb1ELb1ES3_N6thrust23THRUST_200600_302600_NS6detail15normal_iteratorINS9_10device_ptrIyEEEESE_yNS9_4plusIvEEyEEDaPvRmT3_T4_T5_mT6_P12ihipStream_tbENKUlT_T0_E_clISt17integral_constantIbLb0EESU_EEDaSP_SQ_EUlSP_E0_NS1_11comp_targetILNS1_3genE8ELNS1_11target_archE1030ELNS1_3gpuE2ELNS1_3repE0EEENS1_30default_config_static_selectorELNS0_4arch9wavefront6targetE1EEEvT1_,comdat
.Lfunc_end4519:
	.size	_ZN7rocprim17ROCPRIM_400000_NS6detail17trampoline_kernelINS0_14default_configENS1_20scan_config_selectorIyEEZZNS1_9scan_implILNS1_25lookback_scan_determinismE0ELb1ELb1ES3_N6thrust23THRUST_200600_302600_NS6detail15normal_iteratorINS9_10device_ptrIyEEEESE_yNS9_4plusIvEEyEEDaPvRmT3_T4_T5_mT6_P12ihipStream_tbENKUlT_T0_E_clISt17integral_constantIbLb0EESU_EEDaSP_SQ_EUlSP_E0_NS1_11comp_targetILNS1_3genE8ELNS1_11target_archE1030ELNS1_3gpuE2ELNS1_3repE0EEENS1_30default_config_static_selectorELNS0_4arch9wavefront6targetE1EEEvT1_, .Lfunc_end4519-_ZN7rocprim17ROCPRIM_400000_NS6detail17trampoline_kernelINS0_14default_configENS1_20scan_config_selectorIyEEZZNS1_9scan_implILNS1_25lookback_scan_determinismE0ELb1ELb1ES3_N6thrust23THRUST_200600_302600_NS6detail15normal_iteratorINS9_10device_ptrIyEEEESE_yNS9_4plusIvEEyEEDaPvRmT3_T4_T5_mT6_P12ihipStream_tbENKUlT_T0_E_clISt17integral_constantIbLb0EESU_EEDaSP_SQ_EUlSP_E0_NS1_11comp_targetILNS1_3genE8ELNS1_11target_archE1030ELNS1_3gpuE2ELNS1_3repE0EEENS1_30default_config_static_selectorELNS0_4arch9wavefront6targetE1EEEvT1_
                                        ; -- End function
	.section	.AMDGPU.csdata,"",@progbits
; Kernel info:
; codeLenInByte = 0
; NumSgprs: 4
; NumVgprs: 0
; NumAgprs: 0
; TotalNumVgprs: 0
; ScratchSize: 0
; MemoryBound: 0
; FloatMode: 240
; IeeeMode: 1
; LDSByteSize: 0 bytes/workgroup (compile time only)
; SGPRBlocks: 0
; VGPRBlocks: 0
; NumSGPRsForWavesPerEU: 4
; NumVGPRsForWavesPerEU: 1
; AccumOffset: 4
; Occupancy: 8
; WaveLimiterHint : 0
; COMPUTE_PGM_RSRC2:SCRATCH_EN: 0
; COMPUTE_PGM_RSRC2:USER_SGPR: 6
; COMPUTE_PGM_RSRC2:TRAP_HANDLER: 0
; COMPUTE_PGM_RSRC2:TGID_X_EN: 1
; COMPUTE_PGM_RSRC2:TGID_Y_EN: 0
; COMPUTE_PGM_RSRC2:TGID_Z_EN: 0
; COMPUTE_PGM_RSRC2:TIDIG_COMP_CNT: 0
; COMPUTE_PGM_RSRC3_GFX90A:ACCUM_OFFSET: 0
; COMPUTE_PGM_RSRC3_GFX90A:TG_SPLIT: 0
	.section	.text._ZN7rocprim17ROCPRIM_400000_NS6detail17trampoline_kernelINS0_14default_configENS1_20scan_config_selectorIyEEZZNS1_9scan_implILNS1_25lookback_scan_determinismE0ELb1ELb1ES3_N6thrust23THRUST_200600_302600_NS6detail15normal_iteratorINS9_10device_ptrIyEEEESE_yNS9_4plusIvEEyEEDaPvRmT3_T4_T5_mT6_P12ihipStream_tbENKUlT_T0_E_clISt17integral_constantIbLb1EESU_EEDaSP_SQ_EUlSP_E_NS1_11comp_targetILNS1_3genE0ELNS1_11target_archE4294967295ELNS1_3gpuE0ELNS1_3repE0EEENS1_30default_config_static_selectorELNS0_4arch9wavefront6targetE1EEEvT1_,"axG",@progbits,_ZN7rocprim17ROCPRIM_400000_NS6detail17trampoline_kernelINS0_14default_configENS1_20scan_config_selectorIyEEZZNS1_9scan_implILNS1_25lookback_scan_determinismE0ELb1ELb1ES3_N6thrust23THRUST_200600_302600_NS6detail15normal_iteratorINS9_10device_ptrIyEEEESE_yNS9_4plusIvEEyEEDaPvRmT3_T4_T5_mT6_P12ihipStream_tbENKUlT_T0_E_clISt17integral_constantIbLb1EESU_EEDaSP_SQ_EUlSP_E_NS1_11comp_targetILNS1_3genE0ELNS1_11target_archE4294967295ELNS1_3gpuE0ELNS1_3repE0EEENS1_30default_config_static_selectorELNS0_4arch9wavefront6targetE1EEEvT1_,comdat
	.protected	_ZN7rocprim17ROCPRIM_400000_NS6detail17trampoline_kernelINS0_14default_configENS1_20scan_config_selectorIyEEZZNS1_9scan_implILNS1_25lookback_scan_determinismE0ELb1ELb1ES3_N6thrust23THRUST_200600_302600_NS6detail15normal_iteratorINS9_10device_ptrIyEEEESE_yNS9_4plusIvEEyEEDaPvRmT3_T4_T5_mT6_P12ihipStream_tbENKUlT_T0_E_clISt17integral_constantIbLb1EESU_EEDaSP_SQ_EUlSP_E_NS1_11comp_targetILNS1_3genE0ELNS1_11target_archE4294967295ELNS1_3gpuE0ELNS1_3repE0EEENS1_30default_config_static_selectorELNS0_4arch9wavefront6targetE1EEEvT1_ ; -- Begin function _ZN7rocprim17ROCPRIM_400000_NS6detail17trampoline_kernelINS0_14default_configENS1_20scan_config_selectorIyEEZZNS1_9scan_implILNS1_25lookback_scan_determinismE0ELb1ELb1ES3_N6thrust23THRUST_200600_302600_NS6detail15normal_iteratorINS9_10device_ptrIyEEEESE_yNS9_4plusIvEEyEEDaPvRmT3_T4_T5_mT6_P12ihipStream_tbENKUlT_T0_E_clISt17integral_constantIbLb1EESU_EEDaSP_SQ_EUlSP_E_NS1_11comp_targetILNS1_3genE0ELNS1_11target_archE4294967295ELNS1_3gpuE0ELNS1_3repE0EEENS1_30default_config_static_selectorELNS0_4arch9wavefront6targetE1EEEvT1_
	.globl	_ZN7rocprim17ROCPRIM_400000_NS6detail17trampoline_kernelINS0_14default_configENS1_20scan_config_selectorIyEEZZNS1_9scan_implILNS1_25lookback_scan_determinismE0ELb1ELb1ES3_N6thrust23THRUST_200600_302600_NS6detail15normal_iteratorINS9_10device_ptrIyEEEESE_yNS9_4plusIvEEyEEDaPvRmT3_T4_T5_mT6_P12ihipStream_tbENKUlT_T0_E_clISt17integral_constantIbLb1EESU_EEDaSP_SQ_EUlSP_E_NS1_11comp_targetILNS1_3genE0ELNS1_11target_archE4294967295ELNS1_3gpuE0ELNS1_3repE0EEENS1_30default_config_static_selectorELNS0_4arch9wavefront6targetE1EEEvT1_
	.p2align	8
	.type	_ZN7rocprim17ROCPRIM_400000_NS6detail17trampoline_kernelINS0_14default_configENS1_20scan_config_selectorIyEEZZNS1_9scan_implILNS1_25lookback_scan_determinismE0ELb1ELb1ES3_N6thrust23THRUST_200600_302600_NS6detail15normal_iteratorINS9_10device_ptrIyEEEESE_yNS9_4plusIvEEyEEDaPvRmT3_T4_T5_mT6_P12ihipStream_tbENKUlT_T0_E_clISt17integral_constantIbLb1EESU_EEDaSP_SQ_EUlSP_E_NS1_11comp_targetILNS1_3genE0ELNS1_11target_archE4294967295ELNS1_3gpuE0ELNS1_3repE0EEENS1_30default_config_static_selectorELNS0_4arch9wavefront6targetE1EEEvT1_,@function
_ZN7rocprim17ROCPRIM_400000_NS6detail17trampoline_kernelINS0_14default_configENS1_20scan_config_selectorIyEEZZNS1_9scan_implILNS1_25lookback_scan_determinismE0ELb1ELb1ES3_N6thrust23THRUST_200600_302600_NS6detail15normal_iteratorINS9_10device_ptrIyEEEESE_yNS9_4plusIvEEyEEDaPvRmT3_T4_T5_mT6_P12ihipStream_tbENKUlT_T0_E_clISt17integral_constantIbLb1EESU_EEDaSP_SQ_EUlSP_E_NS1_11comp_targetILNS1_3genE0ELNS1_11target_archE4294967295ELNS1_3gpuE0ELNS1_3repE0EEENS1_30default_config_static_selectorELNS0_4arch9wavefront6targetE1EEEvT1_: ; @_ZN7rocprim17ROCPRIM_400000_NS6detail17trampoline_kernelINS0_14default_configENS1_20scan_config_selectorIyEEZZNS1_9scan_implILNS1_25lookback_scan_determinismE0ELb1ELb1ES3_N6thrust23THRUST_200600_302600_NS6detail15normal_iteratorINS9_10device_ptrIyEEEESE_yNS9_4plusIvEEyEEDaPvRmT3_T4_T5_mT6_P12ihipStream_tbENKUlT_T0_E_clISt17integral_constantIbLb1EESU_EEDaSP_SQ_EUlSP_E_NS1_11comp_targetILNS1_3genE0ELNS1_11target_archE4294967295ELNS1_3gpuE0ELNS1_3repE0EEENS1_30default_config_static_selectorELNS0_4arch9wavefront6targetE1EEEvT1_
; %bb.0:
	.section	.rodata,"a",@progbits
	.p2align	6, 0x0
	.amdhsa_kernel _ZN7rocprim17ROCPRIM_400000_NS6detail17trampoline_kernelINS0_14default_configENS1_20scan_config_selectorIyEEZZNS1_9scan_implILNS1_25lookback_scan_determinismE0ELb1ELb1ES3_N6thrust23THRUST_200600_302600_NS6detail15normal_iteratorINS9_10device_ptrIyEEEESE_yNS9_4plusIvEEyEEDaPvRmT3_T4_T5_mT6_P12ihipStream_tbENKUlT_T0_E_clISt17integral_constantIbLb1EESU_EEDaSP_SQ_EUlSP_E_NS1_11comp_targetILNS1_3genE0ELNS1_11target_archE4294967295ELNS1_3gpuE0ELNS1_3repE0EEENS1_30default_config_static_selectorELNS0_4arch9wavefront6targetE1EEEvT1_
		.amdhsa_group_segment_fixed_size 0
		.amdhsa_private_segment_fixed_size 0
		.amdhsa_kernarg_size 104
		.amdhsa_user_sgpr_count 6
		.amdhsa_user_sgpr_private_segment_buffer 1
		.amdhsa_user_sgpr_dispatch_ptr 0
		.amdhsa_user_sgpr_queue_ptr 0
		.amdhsa_user_sgpr_kernarg_segment_ptr 1
		.amdhsa_user_sgpr_dispatch_id 0
		.amdhsa_user_sgpr_flat_scratch_init 0
		.amdhsa_user_sgpr_kernarg_preload_length 0
		.amdhsa_user_sgpr_kernarg_preload_offset 0
		.amdhsa_user_sgpr_private_segment_size 0
		.amdhsa_uses_dynamic_stack 0
		.amdhsa_system_sgpr_private_segment_wavefront_offset 0
		.amdhsa_system_sgpr_workgroup_id_x 1
		.amdhsa_system_sgpr_workgroup_id_y 0
		.amdhsa_system_sgpr_workgroup_id_z 0
		.amdhsa_system_sgpr_workgroup_info 0
		.amdhsa_system_vgpr_workitem_id 0
		.amdhsa_next_free_vgpr 1
		.amdhsa_next_free_sgpr 0
		.amdhsa_accum_offset 4
		.amdhsa_reserve_vcc 0
		.amdhsa_reserve_flat_scratch 0
		.amdhsa_float_round_mode_32 0
		.amdhsa_float_round_mode_16_64 0
		.amdhsa_float_denorm_mode_32 3
		.amdhsa_float_denorm_mode_16_64 3
		.amdhsa_dx10_clamp 1
		.amdhsa_ieee_mode 1
		.amdhsa_fp16_overflow 0
		.amdhsa_tg_split 0
		.amdhsa_exception_fp_ieee_invalid_op 0
		.amdhsa_exception_fp_denorm_src 0
		.amdhsa_exception_fp_ieee_div_zero 0
		.amdhsa_exception_fp_ieee_overflow 0
		.amdhsa_exception_fp_ieee_underflow 0
		.amdhsa_exception_fp_ieee_inexact 0
		.amdhsa_exception_int_div_zero 0
	.end_amdhsa_kernel
	.section	.text._ZN7rocprim17ROCPRIM_400000_NS6detail17trampoline_kernelINS0_14default_configENS1_20scan_config_selectorIyEEZZNS1_9scan_implILNS1_25lookback_scan_determinismE0ELb1ELb1ES3_N6thrust23THRUST_200600_302600_NS6detail15normal_iteratorINS9_10device_ptrIyEEEESE_yNS9_4plusIvEEyEEDaPvRmT3_T4_T5_mT6_P12ihipStream_tbENKUlT_T0_E_clISt17integral_constantIbLb1EESU_EEDaSP_SQ_EUlSP_E_NS1_11comp_targetILNS1_3genE0ELNS1_11target_archE4294967295ELNS1_3gpuE0ELNS1_3repE0EEENS1_30default_config_static_selectorELNS0_4arch9wavefront6targetE1EEEvT1_,"axG",@progbits,_ZN7rocprim17ROCPRIM_400000_NS6detail17trampoline_kernelINS0_14default_configENS1_20scan_config_selectorIyEEZZNS1_9scan_implILNS1_25lookback_scan_determinismE0ELb1ELb1ES3_N6thrust23THRUST_200600_302600_NS6detail15normal_iteratorINS9_10device_ptrIyEEEESE_yNS9_4plusIvEEyEEDaPvRmT3_T4_T5_mT6_P12ihipStream_tbENKUlT_T0_E_clISt17integral_constantIbLb1EESU_EEDaSP_SQ_EUlSP_E_NS1_11comp_targetILNS1_3genE0ELNS1_11target_archE4294967295ELNS1_3gpuE0ELNS1_3repE0EEENS1_30default_config_static_selectorELNS0_4arch9wavefront6targetE1EEEvT1_,comdat
.Lfunc_end4520:
	.size	_ZN7rocprim17ROCPRIM_400000_NS6detail17trampoline_kernelINS0_14default_configENS1_20scan_config_selectorIyEEZZNS1_9scan_implILNS1_25lookback_scan_determinismE0ELb1ELb1ES3_N6thrust23THRUST_200600_302600_NS6detail15normal_iteratorINS9_10device_ptrIyEEEESE_yNS9_4plusIvEEyEEDaPvRmT3_T4_T5_mT6_P12ihipStream_tbENKUlT_T0_E_clISt17integral_constantIbLb1EESU_EEDaSP_SQ_EUlSP_E_NS1_11comp_targetILNS1_3genE0ELNS1_11target_archE4294967295ELNS1_3gpuE0ELNS1_3repE0EEENS1_30default_config_static_selectorELNS0_4arch9wavefront6targetE1EEEvT1_, .Lfunc_end4520-_ZN7rocprim17ROCPRIM_400000_NS6detail17trampoline_kernelINS0_14default_configENS1_20scan_config_selectorIyEEZZNS1_9scan_implILNS1_25lookback_scan_determinismE0ELb1ELb1ES3_N6thrust23THRUST_200600_302600_NS6detail15normal_iteratorINS9_10device_ptrIyEEEESE_yNS9_4plusIvEEyEEDaPvRmT3_T4_T5_mT6_P12ihipStream_tbENKUlT_T0_E_clISt17integral_constantIbLb1EESU_EEDaSP_SQ_EUlSP_E_NS1_11comp_targetILNS1_3genE0ELNS1_11target_archE4294967295ELNS1_3gpuE0ELNS1_3repE0EEENS1_30default_config_static_selectorELNS0_4arch9wavefront6targetE1EEEvT1_
                                        ; -- End function
	.section	.AMDGPU.csdata,"",@progbits
; Kernel info:
; codeLenInByte = 0
; NumSgprs: 4
; NumVgprs: 0
; NumAgprs: 0
; TotalNumVgprs: 0
; ScratchSize: 0
; MemoryBound: 0
; FloatMode: 240
; IeeeMode: 1
; LDSByteSize: 0 bytes/workgroup (compile time only)
; SGPRBlocks: 0
; VGPRBlocks: 0
; NumSGPRsForWavesPerEU: 4
; NumVGPRsForWavesPerEU: 1
; AccumOffset: 4
; Occupancy: 8
; WaveLimiterHint : 0
; COMPUTE_PGM_RSRC2:SCRATCH_EN: 0
; COMPUTE_PGM_RSRC2:USER_SGPR: 6
; COMPUTE_PGM_RSRC2:TRAP_HANDLER: 0
; COMPUTE_PGM_RSRC2:TGID_X_EN: 1
; COMPUTE_PGM_RSRC2:TGID_Y_EN: 0
; COMPUTE_PGM_RSRC2:TGID_Z_EN: 0
; COMPUTE_PGM_RSRC2:TIDIG_COMP_CNT: 0
; COMPUTE_PGM_RSRC3_GFX90A:ACCUM_OFFSET: 0
; COMPUTE_PGM_RSRC3_GFX90A:TG_SPLIT: 0
	.section	.text._ZN7rocprim17ROCPRIM_400000_NS6detail17trampoline_kernelINS0_14default_configENS1_20scan_config_selectorIyEEZZNS1_9scan_implILNS1_25lookback_scan_determinismE0ELb1ELb1ES3_N6thrust23THRUST_200600_302600_NS6detail15normal_iteratorINS9_10device_ptrIyEEEESE_yNS9_4plusIvEEyEEDaPvRmT3_T4_T5_mT6_P12ihipStream_tbENKUlT_T0_E_clISt17integral_constantIbLb1EESU_EEDaSP_SQ_EUlSP_E_NS1_11comp_targetILNS1_3genE5ELNS1_11target_archE942ELNS1_3gpuE9ELNS1_3repE0EEENS1_30default_config_static_selectorELNS0_4arch9wavefront6targetE1EEEvT1_,"axG",@progbits,_ZN7rocprim17ROCPRIM_400000_NS6detail17trampoline_kernelINS0_14default_configENS1_20scan_config_selectorIyEEZZNS1_9scan_implILNS1_25lookback_scan_determinismE0ELb1ELb1ES3_N6thrust23THRUST_200600_302600_NS6detail15normal_iteratorINS9_10device_ptrIyEEEESE_yNS9_4plusIvEEyEEDaPvRmT3_T4_T5_mT6_P12ihipStream_tbENKUlT_T0_E_clISt17integral_constantIbLb1EESU_EEDaSP_SQ_EUlSP_E_NS1_11comp_targetILNS1_3genE5ELNS1_11target_archE942ELNS1_3gpuE9ELNS1_3repE0EEENS1_30default_config_static_selectorELNS0_4arch9wavefront6targetE1EEEvT1_,comdat
	.protected	_ZN7rocprim17ROCPRIM_400000_NS6detail17trampoline_kernelINS0_14default_configENS1_20scan_config_selectorIyEEZZNS1_9scan_implILNS1_25lookback_scan_determinismE0ELb1ELb1ES3_N6thrust23THRUST_200600_302600_NS6detail15normal_iteratorINS9_10device_ptrIyEEEESE_yNS9_4plusIvEEyEEDaPvRmT3_T4_T5_mT6_P12ihipStream_tbENKUlT_T0_E_clISt17integral_constantIbLb1EESU_EEDaSP_SQ_EUlSP_E_NS1_11comp_targetILNS1_3genE5ELNS1_11target_archE942ELNS1_3gpuE9ELNS1_3repE0EEENS1_30default_config_static_selectorELNS0_4arch9wavefront6targetE1EEEvT1_ ; -- Begin function _ZN7rocprim17ROCPRIM_400000_NS6detail17trampoline_kernelINS0_14default_configENS1_20scan_config_selectorIyEEZZNS1_9scan_implILNS1_25lookback_scan_determinismE0ELb1ELb1ES3_N6thrust23THRUST_200600_302600_NS6detail15normal_iteratorINS9_10device_ptrIyEEEESE_yNS9_4plusIvEEyEEDaPvRmT3_T4_T5_mT6_P12ihipStream_tbENKUlT_T0_E_clISt17integral_constantIbLb1EESU_EEDaSP_SQ_EUlSP_E_NS1_11comp_targetILNS1_3genE5ELNS1_11target_archE942ELNS1_3gpuE9ELNS1_3repE0EEENS1_30default_config_static_selectorELNS0_4arch9wavefront6targetE1EEEvT1_
	.globl	_ZN7rocprim17ROCPRIM_400000_NS6detail17trampoline_kernelINS0_14default_configENS1_20scan_config_selectorIyEEZZNS1_9scan_implILNS1_25lookback_scan_determinismE0ELb1ELb1ES3_N6thrust23THRUST_200600_302600_NS6detail15normal_iteratorINS9_10device_ptrIyEEEESE_yNS9_4plusIvEEyEEDaPvRmT3_T4_T5_mT6_P12ihipStream_tbENKUlT_T0_E_clISt17integral_constantIbLb1EESU_EEDaSP_SQ_EUlSP_E_NS1_11comp_targetILNS1_3genE5ELNS1_11target_archE942ELNS1_3gpuE9ELNS1_3repE0EEENS1_30default_config_static_selectorELNS0_4arch9wavefront6targetE1EEEvT1_
	.p2align	8
	.type	_ZN7rocprim17ROCPRIM_400000_NS6detail17trampoline_kernelINS0_14default_configENS1_20scan_config_selectorIyEEZZNS1_9scan_implILNS1_25lookback_scan_determinismE0ELb1ELb1ES3_N6thrust23THRUST_200600_302600_NS6detail15normal_iteratorINS9_10device_ptrIyEEEESE_yNS9_4plusIvEEyEEDaPvRmT3_T4_T5_mT6_P12ihipStream_tbENKUlT_T0_E_clISt17integral_constantIbLb1EESU_EEDaSP_SQ_EUlSP_E_NS1_11comp_targetILNS1_3genE5ELNS1_11target_archE942ELNS1_3gpuE9ELNS1_3repE0EEENS1_30default_config_static_selectorELNS0_4arch9wavefront6targetE1EEEvT1_,@function
_ZN7rocprim17ROCPRIM_400000_NS6detail17trampoline_kernelINS0_14default_configENS1_20scan_config_selectorIyEEZZNS1_9scan_implILNS1_25lookback_scan_determinismE0ELb1ELb1ES3_N6thrust23THRUST_200600_302600_NS6detail15normal_iteratorINS9_10device_ptrIyEEEESE_yNS9_4plusIvEEyEEDaPvRmT3_T4_T5_mT6_P12ihipStream_tbENKUlT_T0_E_clISt17integral_constantIbLb1EESU_EEDaSP_SQ_EUlSP_E_NS1_11comp_targetILNS1_3genE5ELNS1_11target_archE942ELNS1_3gpuE9ELNS1_3repE0EEENS1_30default_config_static_selectorELNS0_4arch9wavefront6targetE1EEEvT1_: ; @_ZN7rocprim17ROCPRIM_400000_NS6detail17trampoline_kernelINS0_14default_configENS1_20scan_config_selectorIyEEZZNS1_9scan_implILNS1_25lookback_scan_determinismE0ELb1ELb1ES3_N6thrust23THRUST_200600_302600_NS6detail15normal_iteratorINS9_10device_ptrIyEEEESE_yNS9_4plusIvEEyEEDaPvRmT3_T4_T5_mT6_P12ihipStream_tbENKUlT_T0_E_clISt17integral_constantIbLb1EESU_EEDaSP_SQ_EUlSP_E_NS1_11comp_targetILNS1_3genE5ELNS1_11target_archE942ELNS1_3gpuE9ELNS1_3repE0EEENS1_30default_config_static_selectorELNS0_4arch9wavefront6targetE1EEEvT1_
; %bb.0:
	.section	.rodata,"a",@progbits
	.p2align	6, 0x0
	.amdhsa_kernel _ZN7rocprim17ROCPRIM_400000_NS6detail17trampoline_kernelINS0_14default_configENS1_20scan_config_selectorIyEEZZNS1_9scan_implILNS1_25lookback_scan_determinismE0ELb1ELb1ES3_N6thrust23THRUST_200600_302600_NS6detail15normal_iteratorINS9_10device_ptrIyEEEESE_yNS9_4plusIvEEyEEDaPvRmT3_T4_T5_mT6_P12ihipStream_tbENKUlT_T0_E_clISt17integral_constantIbLb1EESU_EEDaSP_SQ_EUlSP_E_NS1_11comp_targetILNS1_3genE5ELNS1_11target_archE942ELNS1_3gpuE9ELNS1_3repE0EEENS1_30default_config_static_selectorELNS0_4arch9wavefront6targetE1EEEvT1_
		.amdhsa_group_segment_fixed_size 0
		.amdhsa_private_segment_fixed_size 0
		.amdhsa_kernarg_size 104
		.amdhsa_user_sgpr_count 6
		.amdhsa_user_sgpr_private_segment_buffer 1
		.amdhsa_user_sgpr_dispatch_ptr 0
		.amdhsa_user_sgpr_queue_ptr 0
		.amdhsa_user_sgpr_kernarg_segment_ptr 1
		.amdhsa_user_sgpr_dispatch_id 0
		.amdhsa_user_sgpr_flat_scratch_init 0
		.amdhsa_user_sgpr_kernarg_preload_length 0
		.amdhsa_user_sgpr_kernarg_preload_offset 0
		.amdhsa_user_sgpr_private_segment_size 0
		.amdhsa_uses_dynamic_stack 0
		.amdhsa_system_sgpr_private_segment_wavefront_offset 0
		.amdhsa_system_sgpr_workgroup_id_x 1
		.amdhsa_system_sgpr_workgroup_id_y 0
		.amdhsa_system_sgpr_workgroup_id_z 0
		.amdhsa_system_sgpr_workgroup_info 0
		.amdhsa_system_vgpr_workitem_id 0
		.amdhsa_next_free_vgpr 1
		.amdhsa_next_free_sgpr 0
		.amdhsa_accum_offset 4
		.amdhsa_reserve_vcc 0
		.amdhsa_reserve_flat_scratch 0
		.amdhsa_float_round_mode_32 0
		.amdhsa_float_round_mode_16_64 0
		.amdhsa_float_denorm_mode_32 3
		.amdhsa_float_denorm_mode_16_64 3
		.amdhsa_dx10_clamp 1
		.amdhsa_ieee_mode 1
		.amdhsa_fp16_overflow 0
		.amdhsa_tg_split 0
		.amdhsa_exception_fp_ieee_invalid_op 0
		.amdhsa_exception_fp_denorm_src 0
		.amdhsa_exception_fp_ieee_div_zero 0
		.amdhsa_exception_fp_ieee_overflow 0
		.amdhsa_exception_fp_ieee_underflow 0
		.amdhsa_exception_fp_ieee_inexact 0
		.amdhsa_exception_int_div_zero 0
	.end_amdhsa_kernel
	.section	.text._ZN7rocprim17ROCPRIM_400000_NS6detail17trampoline_kernelINS0_14default_configENS1_20scan_config_selectorIyEEZZNS1_9scan_implILNS1_25lookback_scan_determinismE0ELb1ELb1ES3_N6thrust23THRUST_200600_302600_NS6detail15normal_iteratorINS9_10device_ptrIyEEEESE_yNS9_4plusIvEEyEEDaPvRmT3_T4_T5_mT6_P12ihipStream_tbENKUlT_T0_E_clISt17integral_constantIbLb1EESU_EEDaSP_SQ_EUlSP_E_NS1_11comp_targetILNS1_3genE5ELNS1_11target_archE942ELNS1_3gpuE9ELNS1_3repE0EEENS1_30default_config_static_selectorELNS0_4arch9wavefront6targetE1EEEvT1_,"axG",@progbits,_ZN7rocprim17ROCPRIM_400000_NS6detail17trampoline_kernelINS0_14default_configENS1_20scan_config_selectorIyEEZZNS1_9scan_implILNS1_25lookback_scan_determinismE0ELb1ELb1ES3_N6thrust23THRUST_200600_302600_NS6detail15normal_iteratorINS9_10device_ptrIyEEEESE_yNS9_4plusIvEEyEEDaPvRmT3_T4_T5_mT6_P12ihipStream_tbENKUlT_T0_E_clISt17integral_constantIbLb1EESU_EEDaSP_SQ_EUlSP_E_NS1_11comp_targetILNS1_3genE5ELNS1_11target_archE942ELNS1_3gpuE9ELNS1_3repE0EEENS1_30default_config_static_selectorELNS0_4arch9wavefront6targetE1EEEvT1_,comdat
.Lfunc_end4521:
	.size	_ZN7rocprim17ROCPRIM_400000_NS6detail17trampoline_kernelINS0_14default_configENS1_20scan_config_selectorIyEEZZNS1_9scan_implILNS1_25lookback_scan_determinismE0ELb1ELb1ES3_N6thrust23THRUST_200600_302600_NS6detail15normal_iteratorINS9_10device_ptrIyEEEESE_yNS9_4plusIvEEyEEDaPvRmT3_T4_T5_mT6_P12ihipStream_tbENKUlT_T0_E_clISt17integral_constantIbLb1EESU_EEDaSP_SQ_EUlSP_E_NS1_11comp_targetILNS1_3genE5ELNS1_11target_archE942ELNS1_3gpuE9ELNS1_3repE0EEENS1_30default_config_static_selectorELNS0_4arch9wavefront6targetE1EEEvT1_, .Lfunc_end4521-_ZN7rocprim17ROCPRIM_400000_NS6detail17trampoline_kernelINS0_14default_configENS1_20scan_config_selectorIyEEZZNS1_9scan_implILNS1_25lookback_scan_determinismE0ELb1ELb1ES3_N6thrust23THRUST_200600_302600_NS6detail15normal_iteratorINS9_10device_ptrIyEEEESE_yNS9_4plusIvEEyEEDaPvRmT3_T4_T5_mT6_P12ihipStream_tbENKUlT_T0_E_clISt17integral_constantIbLb1EESU_EEDaSP_SQ_EUlSP_E_NS1_11comp_targetILNS1_3genE5ELNS1_11target_archE942ELNS1_3gpuE9ELNS1_3repE0EEENS1_30default_config_static_selectorELNS0_4arch9wavefront6targetE1EEEvT1_
                                        ; -- End function
	.section	.AMDGPU.csdata,"",@progbits
; Kernel info:
; codeLenInByte = 0
; NumSgprs: 4
; NumVgprs: 0
; NumAgprs: 0
; TotalNumVgprs: 0
; ScratchSize: 0
; MemoryBound: 0
; FloatMode: 240
; IeeeMode: 1
; LDSByteSize: 0 bytes/workgroup (compile time only)
; SGPRBlocks: 0
; VGPRBlocks: 0
; NumSGPRsForWavesPerEU: 4
; NumVGPRsForWavesPerEU: 1
; AccumOffset: 4
; Occupancy: 8
; WaveLimiterHint : 0
; COMPUTE_PGM_RSRC2:SCRATCH_EN: 0
; COMPUTE_PGM_RSRC2:USER_SGPR: 6
; COMPUTE_PGM_RSRC2:TRAP_HANDLER: 0
; COMPUTE_PGM_RSRC2:TGID_X_EN: 1
; COMPUTE_PGM_RSRC2:TGID_Y_EN: 0
; COMPUTE_PGM_RSRC2:TGID_Z_EN: 0
; COMPUTE_PGM_RSRC2:TIDIG_COMP_CNT: 0
; COMPUTE_PGM_RSRC3_GFX90A:ACCUM_OFFSET: 0
; COMPUTE_PGM_RSRC3_GFX90A:TG_SPLIT: 0
	.section	.text._ZN7rocprim17ROCPRIM_400000_NS6detail17trampoline_kernelINS0_14default_configENS1_20scan_config_selectorIyEEZZNS1_9scan_implILNS1_25lookback_scan_determinismE0ELb1ELb1ES3_N6thrust23THRUST_200600_302600_NS6detail15normal_iteratorINS9_10device_ptrIyEEEESE_yNS9_4plusIvEEyEEDaPvRmT3_T4_T5_mT6_P12ihipStream_tbENKUlT_T0_E_clISt17integral_constantIbLb1EESU_EEDaSP_SQ_EUlSP_E_NS1_11comp_targetILNS1_3genE4ELNS1_11target_archE910ELNS1_3gpuE8ELNS1_3repE0EEENS1_30default_config_static_selectorELNS0_4arch9wavefront6targetE1EEEvT1_,"axG",@progbits,_ZN7rocprim17ROCPRIM_400000_NS6detail17trampoline_kernelINS0_14default_configENS1_20scan_config_selectorIyEEZZNS1_9scan_implILNS1_25lookback_scan_determinismE0ELb1ELb1ES3_N6thrust23THRUST_200600_302600_NS6detail15normal_iteratorINS9_10device_ptrIyEEEESE_yNS9_4plusIvEEyEEDaPvRmT3_T4_T5_mT6_P12ihipStream_tbENKUlT_T0_E_clISt17integral_constantIbLb1EESU_EEDaSP_SQ_EUlSP_E_NS1_11comp_targetILNS1_3genE4ELNS1_11target_archE910ELNS1_3gpuE8ELNS1_3repE0EEENS1_30default_config_static_selectorELNS0_4arch9wavefront6targetE1EEEvT1_,comdat
	.protected	_ZN7rocprim17ROCPRIM_400000_NS6detail17trampoline_kernelINS0_14default_configENS1_20scan_config_selectorIyEEZZNS1_9scan_implILNS1_25lookback_scan_determinismE0ELb1ELb1ES3_N6thrust23THRUST_200600_302600_NS6detail15normal_iteratorINS9_10device_ptrIyEEEESE_yNS9_4plusIvEEyEEDaPvRmT3_T4_T5_mT6_P12ihipStream_tbENKUlT_T0_E_clISt17integral_constantIbLb1EESU_EEDaSP_SQ_EUlSP_E_NS1_11comp_targetILNS1_3genE4ELNS1_11target_archE910ELNS1_3gpuE8ELNS1_3repE0EEENS1_30default_config_static_selectorELNS0_4arch9wavefront6targetE1EEEvT1_ ; -- Begin function _ZN7rocprim17ROCPRIM_400000_NS6detail17trampoline_kernelINS0_14default_configENS1_20scan_config_selectorIyEEZZNS1_9scan_implILNS1_25lookback_scan_determinismE0ELb1ELb1ES3_N6thrust23THRUST_200600_302600_NS6detail15normal_iteratorINS9_10device_ptrIyEEEESE_yNS9_4plusIvEEyEEDaPvRmT3_T4_T5_mT6_P12ihipStream_tbENKUlT_T0_E_clISt17integral_constantIbLb1EESU_EEDaSP_SQ_EUlSP_E_NS1_11comp_targetILNS1_3genE4ELNS1_11target_archE910ELNS1_3gpuE8ELNS1_3repE0EEENS1_30default_config_static_selectorELNS0_4arch9wavefront6targetE1EEEvT1_
	.globl	_ZN7rocprim17ROCPRIM_400000_NS6detail17trampoline_kernelINS0_14default_configENS1_20scan_config_selectorIyEEZZNS1_9scan_implILNS1_25lookback_scan_determinismE0ELb1ELb1ES3_N6thrust23THRUST_200600_302600_NS6detail15normal_iteratorINS9_10device_ptrIyEEEESE_yNS9_4plusIvEEyEEDaPvRmT3_T4_T5_mT6_P12ihipStream_tbENKUlT_T0_E_clISt17integral_constantIbLb1EESU_EEDaSP_SQ_EUlSP_E_NS1_11comp_targetILNS1_3genE4ELNS1_11target_archE910ELNS1_3gpuE8ELNS1_3repE0EEENS1_30default_config_static_selectorELNS0_4arch9wavefront6targetE1EEEvT1_
	.p2align	8
	.type	_ZN7rocprim17ROCPRIM_400000_NS6detail17trampoline_kernelINS0_14default_configENS1_20scan_config_selectorIyEEZZNS1_9scan_implILNS1_25lookback_scan_determinismE0ELb1ELb1ES3_N6thrust23THRUST_200600_302600_NS6detail15normal_iteratorINS9_10device_ptrIyEEEESE_yNS9_4plusIvEEyEEDaPvRmT3_T4_T5_mT6_P12ihipStream_tbENKUlT_T0_E_clISt17integral_constantIbLb1EESU_EEDaSP_SQ_EUlSP_E_NS1_11comp_targetILNS1_3genE4ELNS1_11target_archE910ELNS1_3gpuE8ELNS1_3repE0EEENS1_30default_config_static_selectorELNS0_4arch9wavefront6targetE1EEEvT1_,@function
_ZN7rocprim17ROCPRIM_400000_NS6detail17trampoline_kernelINS0_14default_configENS1_20scan_config_selectorIyEEZZNS1_9scan_implILNS1_25lookback_scan_determinismE0ELb1ELb1ES3_N6thrust23THRUST_200600_302600_NS6detail15normal_iteratorINS9_10device_ptrIyEEEESE_yNS9_4plusIvEEyEEDaPvRmT3_T4_T5_mT6_P12ihipStream_tbENKUlT_T0_E_clISt17integral_constantIbLb1EESU_EEDaSP_SQ_EUlSP_E_NS1_11comp_targetILNS1_3genE4ELNS1_11target_archE910ELNS1_3gpuE8ELNS1_3repE0EEENS1_30default_config_static_selectorELNS0_4arch9wavefront6targetE1EEEvT1_: ; @_ZN7rocprim17ROCPRIM_400000_NS6detail17trampoline_kernelINS0_14default_configENS1_20scan_config_selectorIyEEZZNS1_9scan_implILNS1_25lookback_scan_determinismE0ELb1ELb1ES3_N6thrust23THRUST_200600_302600_NS6detail15normal_iteratorINS9_10device_ptrIyEEEESE_yNS9_4plusIvEEyEEDaPvRmT3_T4_T5_mT6_P12ihipStream_tbENKUlT_T0_E_clISt17integral_constantIbLb1EESU_EEDaSP_SQ_EUlSP_E_NS1_11comp_targetILNS1_3genE4ELNS1_11target_archE910ELNS1_3gpuE8ELNS1_3repE0EEENS1_30default_config_static_selectorELNS0_4arch9wavefront6targetE1EEEvT1_
; %bb.0:
	s_load_dwordx8 s[20:27], s[4:5], 0x0
	s_load_dwordx2 s[28:29], s[4:5], 0x20
	s_load_dwordx2 s[10:11], s[4:5], 0x30
	v_cmp_ne_u32_e64 s[2:3], 0, v0
	v_cmp_eq_u32_e64 s[0:1], 0, v0
	s_and_saveexec_b64 s[6:7], s[0:1]
	s_cbranch_execz .LBB4522_4
; %bb.1:
	s_mov_b64 s[12:13], exec
	v_mbcnt_lo_u32_b32 v1, s12, 0
	v_mbcnt_hi_u32_b32 v1, s13, v1
	v_cmp_eq_u32_e32 vcc, 0, v1
                                        ; implicit-def: $vgpr2
	s_and_saveexec_b64 s[8:9], vcc
	s_cbranch_execz .LBB4522_3
; %bb.2:
	s_load_dwordx2 s[14:15], s[4:5], 0x60
	s_bcnt1_i32_b64 s12, s[12:13]
	v_mov_b32_e32 v2, 0
	v_mov_b32_e32 v3, s12
	s_waitcnt lgkmcnt(0)
	global_atomic_add v2, v2, v3, s[14:15] glc
.LBB4522_3:
	s_or_b64 exec, exec, s[8:9]
	s_waitcnt vmcnt(0)
	v_readfirstlane_b32 s8, v2
	v_add_u32_e32 v1, s8, v1
	v_mov_b32_e32 v2, 0
	ds_write_b32 v2, v1
.LBB4522_4:
	s_or_b64 exec, exec, s[6:7]
	s_load_dword s6, s[4:5], 0x38
	s_load_dwordx8 s[12:19], s[4:5], 0x40
	v_mov_b32_e32 v1, 0
	s_waitcnt lgkmcnt(0)
	s_barrier
	ds_read_b32 v1, v1
	s_lshl_b64 s[22:23], s[22:23], 3
	s_add_u32 s35, s20, s22
	s_addc_u32 s36, s21, s23
	s_add_i32 s6, s6, -1
	s_mul_i32 s7, s6, 0x380
	s_sub_u32 s33, s26, s7
	s_waitcnt lgkmcnt(0)
	v_readfirstlane_b32 s37, v1
	s_subb_u32 s34, s27, 0
	s_mul_i32 s4, s37, 0x380
	s_mov_b32 s5, 0
	s_cmp_lg_u32 s37, s6
	s_cselect_b64 s[20:21], -1, 0
	s_lshl_b64 s[26:27], s[4:5], 3
	s_add_u32 s6, s35, s26
	s_addc_u32 s7, s36, s27
	s_mov_b64 s[4:5], -1
	s_and_b64 vcc, exec, s[20:21]
	v_lshlrev_b32_e32 v36, 3, v0
	s_barrier
	s_cbranch_vccz .LBB4522_6
; %bb.5:
	v_mov_b32_e32 v1, s7
	v_add_co_u32_e32 v2, vcc, s6, v36
	v_addc_co_u32_e32 v3, vcc, 0, v1, vcc
	flat_load_dwordx2 v[4:5], v[2:3]
	flat_load_dwordx2 v[6:7], v[2:3] offset:1024
	flat_load_dwordx2 v[8:9], v[2:3] offset:2048
	;; [unrolled: 1-line block ×3, first 2 shown]
	v_add_co_u32_e32 v2, vcc, 0x1000, v2
	v_addc_co_u32_e32 v3, vcc, 0, v3, vcc
	flat_load_dwordx2 v[12:13], v[2:3]
	flat_load_dwordx2 v[14:15], v[2:3] offset:1024
	flat_load_dwordx2 v[16:17], v[2:3] offset:2048
	s_mov_b64 s[4:5], 0
	s_waitcnt vmcnt(0) lgkmcnt(0)
	ds_write2st64_b64 v36, v[4:5], v[6:7] offset1:2
	ds_write2st64_b64 v36, v[8:9], v[10:11] offset0:4 offset1:6
	ds_write2st64_b64 v36, v[12:13], v[14:15] offset0:8 offset1:10
	ds_write_b64 v36, v[16:17] offset:6144
	s_waitcnt lgkmcnt(0)
	s_barrier
.LBB4522_6:
	s_andn2_b64 vcc, exec, s[4:5]
	v_cmp_gt_u32_e64 s[4:5], s33, v0
	s_cbranch_vccnz .LBB4522_22
; %bb.7:
	v_pk_mov_b32 v[2:3], s[6:7], s[6:7] op_sel:[0,1]
	flat_load_dwordx2 v[2:3], v[2:3]
	s_waitcnt vmcnt(0) lgkmcnt(0)
	v_mov_b32_e32 v4, v2
	v_mov_b32_e32 v5, v3
	;; [unrolled: 1-line block ×10, first 2 shown]
	v_pk_mov_b32 v[18:19], v[14:15], v[14:15] op_sel:[0,1]
	v_pk_mov_b32 v[16:17], v[12:13], v[12:13] op_sel:[0,1]
	;; [unrolled: 1-line block ×8, first 2 shown]
	s_and_saveexec_b64 s[8:9], s[4:5]
	s_cbranch_execz .LBB4522_9
; %bb.8:
	v_mov_b32_e32 v1, s7
	v_add_co_u32_e32 v4, vcc, s6, v36
	v_addc_co_u32_e32 v5, vcc, 0, v1, vcc
	flat_load_dwordx2 v[20:21], v[4:5]
	v_mov_b32_e32 v4, v2
	v_mov_b32_e32 v5, v3
	;; [unrolled: 1-line block ×10, first 2 shown]
	v_pk_mov_b32 v[18:19], v[14:15], v[14:15] op_sel:[0,1]
	v_pk_mov_b32 v[16:17], v[12:13], v[12:13] op_sel:[0,1]
	;; [unrolled: 1-line block ×8, first 2 shown]
	s_waitcnt vmcnt(0) lgkmcnt(0)
	v_pk_mov_b32 v[2:3], v[20:21], v[20:21] op_sel:[0,1]
.LBB4522_9:
	s_or_b64 exec, exec, s[8:9]
	v_or_b32_e32 v1, 0x80, v0
	v_cmp_gt_u32_e32 vcc, s33, v1
	s_and_saveexec_b64 s[4:5], vcc
	s_cbranch_execz .LBB4522_11
; %bb.10:
	v_mov_b32_e32 v1, s7
	v_add_co_u32_e32 v4, vcc, s6, v36
	v_addc_co_u32_e32 v5, vcc, 0, v1, vcc
	flat_load_dwordx2 v[6:7], v[4:5] offset:1024
.LBB4522_11:
	s_or_b64 exec, exec, s[4:5]
	v_or_b32_e32 v1, 0x100, v0
	v_cmp_gt_u32_e32 vcc, s33, v1
	s_and_saveexec_b64 s[4:5], vcc
	s_cbranch_execz .LBB4522_13
; %bb.12:
	v_mov_b32_e32 v1, s7
	v_add_co_u32_e32 v4, vcc, s6, v36
	v_addc_co_u32_e32 v5, vcc, 0, v1, vcc
	flat_load_dwordx2 v[8:9], v[4:5] offset:2048
.LBB4522_13:
	;; [unrolled: 11-line block ×3, first 2 shown]
	s_or_b64 exec, exec, s[4:5]
	v_or_b32_e32 v1, 0x200, v0
	v_cmp_gt_u32_e32 vcc, s33, v1
	s_and_saveexec_b64 s[4:5], vcc
	s_cbranch_execz .LBB4522_17
; %bb.16:
	v_lshlrev_b32_e32 v1, 3, v1
	v_mov_b32_e32 v5, s7
	v_add_co_u32_e32 v4, vcc, s6, v1
	v_addc_co_u32_e32 v5, vcc, 0, v5, vcc
	flat_load_dwordx2 v[12:13], v[4:5]
.LBB4522_17:
	s_or_b64 exec, exec, s[4:5]
	v_or_b32_e32 v1, 0x280, v0
	v_cmp_gt_u32_e32 vcc, s33, v1
	s_and_saveexec_b64 s[4:5], vcc
	s_cbranch_execz .LBB4522_19
; %bb.18:
	v_lshlrev_b32_e32 v1, 3, v1
	v_mov_b32_e32 v5, s7
	v_add_co_u32_e32 v4, vcc, s6, v1
	v_addc_co_u32_e32 v5, vcc, 0, v5, vcc
	flat_load_dwordx2 v[14:15], v[4:5]
.LBB4522_19:
	;; [unrolled: 12-line block ×3, first 2 shown]
	s_or_b64 exec, exec, s[4:5]
	s_waitcnt vmcnt(0) lgkmcnt(0)
	ds_write2st64_b64 v36, v[2:3], v[6:7] offset1:2
	ds_write2st64_b64 v36, v[8:9], v[10:11] offset0:4 offset1:6
	ds_write2st64_b64 v36, v[12:13], v[14:15] offset0:8 offset1:10
	ds_write_b64 v36, v[16:17] offset:6144
	s_waitcnt lgkmcnt(0)
	s_barrier
.LBB4522_22:
	v_mul_u32_u24_e32 v37, 7, v0
	v_lshlrev_b32_e32 v1, 3, v37
	ds_read2_b64 v[10:13], v1 offset1:1
	ds_read2_b64 v[6:9], v1 offset0:2 offset1:3
	ds_read2_b64 v[2:5], v1 offset0:4 offset1:5
	ds_read_b64 v[26:27], v1 offset:48
	s_cmp_lg_u32 s37, 0
	v_lshrrev_b32_e32 v38, 5, v0
	v_cmp_gt_u32_e32 vcc, 64, v0
	s_waitcnt lgkmcnt(0)
	s_barrier
	s_cbranch_scc0 .LBB4522_53
; %bb.23:
	v_add_co_u32_e64 v1, s[4:5], v12, v10
	v_addc_co_u32_e64 v14, s[4:5], v13, v11, s[4:5]
	v_add_co_u32_e64 v1, s[4:5], v1, v6
	v_addc_co_u32_e64 v14, s[4:5], v14, v7, s[4:5]
	;; [unrolled: 2-line block ×6, first 2 shown]
	v_add_lshl_u32 v1, v38, v0, 3
	ds_write_b64 v1, v[18:19]
	s_waitcnt lgkmcnt(0)
	s_barrier
	s_and_saveexec_b64 s[8:9], vcc
	s_cbranch_execz .LBB4522_27
; %bb.24:
	v_lshlrev_b32_e32 v1, 1, v0
	v_lshrrev_b32_e32 v14, 4, v0
	v_add_lshl_u32 v20, v14, v1, 3
	ds_read2_b64 v[14:17], v20 offset1:1
	v_mbcnt_lo_u32_b32 v1, -1, 0
	s_waitcnt lgkmcnt(0)
	v_add_co_u32_e64 v21, s[4:5], v16, v14
	v_addc_co_u32_e64 v22, s[4:5], v17, v15, s[4:5]
	s_nop 0
	v_mov_b32_dpp v16, v21 row_shr:1 row_mask:0xf bank_mask:0xf
	v_add_co_u32_e64 v16, s[4:5], v21, v16
	v_addc_co_u32_e64 v24, s[4:5], 0, v22, s[4:5]
	v_mbcnt_hi_u32_b32 v17, -1, v1
	v_mov_b32_dpp v23, v22 row_shr:1 row_mask:0xf bank_mask:0xf
	v_add_co_u32_e64 v25, s[4:5], 0, v16
	v_and_b32_e32 v1, 15, v17
	v_addc_co_u32_e64 v23, s[4:5], v23, v24, s[4:5]
	v_cmp_eq_u32_e64 s[4:5], 0, v1
	v_cndmask_b32_e64 v16, v16, v21, s[4:5]
	v_cndmask_b32_e64 v23, v23, v22, s[4:5]
	v_cndmask_b32_e64 v24, v25, v21, s[4:5]
	v_mov_b32_dpp v25, v16 row_shr:2 row_mask:0xf bank_mask:0xf
	v_mov_b32_dpp v28, v23 row_shr:2 row_mask:0xf bank_mask:0xf
	v_add_co_u32_e64 v25, s[4:5], v25, v24
	v_addc_co_u32_e64 v28, s[4:5], v28, v23, s[4:5]
	v_cmp_lt_u32_e64 s[4:5], 1, v1
	v_cndmask_b32_e64 v16, v16, v25, s[4:5]
	v_cndmask_b32_e64 v23, v23, v28, s[4:5]
	v_cndmask_b32_e64 v24, v24, v25, s[4:5]
	v_mov_b32_dpp v25, v16 row_shr:4 row_mask:0xf bank_mask:0xf
	v_mov_b32_dpp v28, v23 row_shr:4 row_mask:0xf bank_mask:0xf
	v_add_co_u32_e64 v25, s[4:5], v25, v24
	v_addc_co_u32_e64 v28, s[4:5], v28, v23, s[4:5]
	v_cmp_lt_u32_e64 s[4:5], 3, v1
	;; [unrolled: 8-line block ×3, first 2 shown]
	v_cndmask_b32_e64 v29, v16, v25, s[4:5]
	v_cndmask_b32_e64 v1, v23, v28, s[4:5]
	;; [unrolled: 1-line block ×3, first 2 shown]
	v_mov_b32_dpp v23, v29 row_bcast:15 row_mask:0xf bank_mask:0xf
	v_mov_b32_dpp v24, v1 row_bcast:15 row_mask:0xf bank_mask:0xf
	v_add_co_u32_e64 v23, s[4:5], v23, v16
	v_and_b32_e32 v28, 16, v17
	v_addc_co_u32_e64 v25, s[4:5], v24, v1, s[4:5]
	v_cmp_eq_u32_e64 s[4:5], 0, v28
	v_cndmask_b32_e64 v28, v25, v1, s[4:5]
	v_cndmask_b32_e64 v24, v23, v29, s[4:5]
	v_cmp_ne_u32_e64 s[6:7], 0, v17
	v_mov_b32_dpp v28, v28 row_bcast:31 row_mask:0xf bank_mask:0xf
	v_mov_b32_dpp v24, v24 row_bcast:31 row_mask:0xf bank_mask:0xf
	s_and_saveexec_b64 s[30:31], s[6:7]
; %bb.25:
	v_cndmask_b32_e64 v1, v25, v1, s[4:5]
	v_cndmask_b32_e64 v16, v23, v16, s[4:5]
	v_cmp_lt_u32_e64 s[4:5], 31, v17
	v_cndmask_b32_e64 v21, 0, v24, s[4:5]
	v_cndmask_b32_e64 v22, 0, v28, s[4:5]
	v_add_co_u32_e64 v21, s[4:5], v21, v16
	v_addc_co_u32_e64 v22, s[4:5], v22, v1, s[4:5]
; %bb.26:
	s_or_b64 exec, exec, s[30:31]
	v_add_u32_e32 v1, -1, v17
	v_and_b32_e32 v16, 64, v17
	v_cmp_lt_i32_e64 s[4:5], v1, v16
	v_cndmask_b32_e64 v1, v1, v17, s[4:5]
	v_lshlrev_b32_e32 v1, 2, v1
	ds_bpermute_b32 v16, v1, v21
	ds_bpermute_b32 v1, v1, v22
	; wave barrier
	s_waitcnt lgkmcnt(1)
	v_add_co_u32_e64 v14, s[4:5], v14, v16
	v_addc_co_u32_e64 v15, s[4:5], 0, v15, s[4:5]
	v_add_co_u32_e64 v14, s[4:5], 0, v14
	s_waitcnt lgkmcnt(0)
	v_addc_co_u32_e64 v1, s[4:5], v15, v1, s[4:5]
	v_cndmask_b32_e64 v15, v1, v19, s[0:1]
	v_cndmask_b32_e64 v14, v14, v18, s[0:1]
	ds_write_b64 v20, v[14:15]
	; wave barrier
	ds_read_b64 v[16:17], v20 offset:8
	s_waitcnt lgkmcnt(0)
	v_add_co_u32_e64 v14, s[4:5], v16, v14
	v_addc_co_u32_e64 v15, s[4:5], v17, v15, s[4:5]
	ds_write_b64 v20, v[14:15] offset:8
.LBB4522_27:
	s_or_b64 exec, exec, s[8:9]
	v_pk_mov_b32 v[22:23], 0, 0
	s_waitcnt lgkmcnt(0)
	s_barrier
	s_and_saveexec_b64 s[4:5], s[2:3]
	s_cbranch_execz .LBB4522_29
; %bb.28:
	v_add_u32_e32 v1, -1, v0
	v_lshrrev_b32_e32 v14, 5, v1
	v_add_lshl_u32 v1, v14, v1, 3
	ds_read_b64 v[22:23], v1
.LBB4522_29:
	s_or_b64 exec, exec, s[4:5]
	s_and_saveexec_b64 s[30:31], vcc
	s_cbranch_execz .LBB4522_52
; %bb.30:
	v_mov_b32_e32 v17, 0
	ds_read_b64 v[14:15], v17 offset:1040
	v_mbcnt_lo_u32_b32 v1, -1, 0
	v_mbcnt_hi_u32_b32 v30, -1, v1
	s_mov_b32 s9, 0
	v_cmp_eq_u32_e64 s[4:5], 0, v30
	s_and_saveexec_b64 s[6:7], s[4:5]
	s_cbranch_execz .LBB4522_32
; %bb.31:
	s_add_i32 s8, s37, 64
	s_lshl_b64 s[8:9], s[8:9], 4
	s_add_u32 s8, s10, s8
	s_addc_u32 s9, s11, s9
	v_mov_b32_e32 v16, 1
	v_pk_mov_b32 v[18:19], s[8:9], s[8:9] op_sel:[0,1]
	s_waitcnt lgkmcnt(0)
	;;#ASMSTART
	global_store_dwordx4 v[18:19], v[14:17] off	
s_waitcnt vmcnt(0)
	;;#ASMEND
.LBB4522_32:
	s_or_b64 exec, exec, s[6:7]
	v_xad_u32 v24, v30, -1, s37
	v_add_u32_e32 v16, 64, v24
	v_lshlrev_b64 v[18:19], 4, v[16:17]
	v_mov_b32_e32 v1, s11
	v_add_co_u32_e32 v28, vcc, s10, v18
	v_addc_co_u32_e32 v29, vcc, v1, v19, vcc
	;;#ASMSTART
	global_load_dwordx4 v[18:21], v[28:29] off glc	
s_waitcnt vmcnt(0)
	;;#ASMEND
	v_and_b32_e32 v1, 0xff, v19
	v_and_b32_e32 v16, 0xff00, v19
	v_or3_b32 v1, 0, v1, v16
	v_or3_b32 v16, v18, 0, 0
	v_and_b32_e32 v18, 0xff000000, v19
	v_and_b32_e32 v19, 0xff0000, v19
	v_or3_b32 v19, v1, v19, v18
	v_or3_b32 v18, v16, 0, 0
	v_cmp_eq_u16_sdwa s[8:9], v20, v17 src0_sel:BYTE_0 src1_sel:DWORD
	s_and_saveexec_b64 s[6:7], s[8:9]
	s_cbranch_execz .LBB4522_38
; %bb.33:
	s_mov_b32 s38, 1
	s_mov_b64 s[8:9], 0
	v_mov_b32_e32 v1, 0
.LBB4522_34:                            ; =>This Loop Header: Depth=1
                                        ;     Child Loop BB4522_35 Depth 2
	s_max_u32 s39, s38, 1
.LBB4522_35:                            ;   Parent Loop BB4522_34 Depth=1
                                        ; =>  This Inner Loop Header: Depth=2
	s_add_i32 s39, s39, -1
	s_cmp_eq_u32 s39, 0
	s_sleep 1
	s_cbranch_scc0 .LBB4522_35
; %bb.36:                               ;   in Loop: Header=BB4522_34 Depth=1
	s_cmp_lt_u32 s38, 32
	s_cselect_b64 s[40:41], -1, 0
	s_cmp_lg_u64 s[40:41], 0
	s_addc_u32 s38, s38, 0
	;;#ASMSTART
	global_load_dwordx4 v[18:21], v[28:29] off glc	
s_waitcnt vmcnt(0)
	;;#ASMEND
	v_cmp_ne_u16_sdwa s[40:41], v20, v1 src0_sel:BYTE_0 src1_sel:DWORD
	s_or_b64 s[8:9], s[40:41], s[8:9]
	s_andn2_b64 exec, exec, s[8:9]
	s_cbranch_execnz .LBB4522_34
; %bb.37:
	s_or_b64 exec, exec, s[8:9]
.LBB4522_38:
	s_or_b64 exec, exec, s[6:7]
	v_and_b32_e32 v32, 63, v30
	v_cmp_ne_u32_e32 vcc, 63, v32
	v_addc_co_u32_e32 v28, vcc, 0, v30, vcc
	v_lshlrev_b32_e32 v33, 2, v28
	ds_bpermute_b32 v28, v33, v18
	v_mov_b32_e32 v1, 2
	v_cmp_eq_u16_sdwa s[6:7], v20, v1 src0_sel:BYTE_0 src1_sel:DWORD
	v_lshlrev_b64 v[16:17], v30, -1
	ds_bpermute_b32 v29, v33, v19
	v_and_b32_e32 v21, s7, v17
	v_or_b32_e32 v21, 0x80000000, v21
	s_waitcnt lgkmcnt(1)
	v_add_co_u32_e32 v28, vcc, v18, v28
	v_and_b32_e32 v25, s6, v16
	v_ffbl_b32_e32 v21, v21
	v_addc_co_u32_e32 v31, vcc, 0, v19, vcc
	v_add_u32_e32 v21, 32, v21
	v_ffbl_b32_e32 v25, v25
	v_add_co_u32_e32 v35, vcc, 0, v28
	v_cmp_gt_u32_e64 s[6:7], 62, v32
	v_min_u32_e32 v21, v25, v21
	s_waitcnt lgkmcnt(0)
	v_addc_co_u32_e32 v29, vcc, v29, v31, vcc
	v_cndmask_b32_e64 v31, 0, 1, s[6:7]
	v_cmp_lt_u32_e32 vcc, v32, v21
	v_lshlrev_b32_e32 v31, 1, v31
	v_cndmask_b32_e32 v28, v18, v28, vcc
	v_add_lshl_u32 v34, v31, v30, 2
	v_cndmask_b32_e32 v29, v19, v29, vcc
	ds_bpermute_b32 v31, v34, v28
	ds_bpermute_b32 v39, v34, v29
	v_cndmask_b32_e32 v40, v18, v35, vcc
	v_add_u32_e32 v35, 2, v32
	v_cmp_gt_u32_e64 s[8:9], 60, v32
	s_waitcnt lgkmcnt(1)
	v_add_co_u32_e64 v31, s[6:7], v31, v40
	s_waitcnt lgkmcnt(0)
	v_addc_co_u32_e64 v39, s[6:7], v39, v29, s[6:7]
	v_cmp_gt_u32_e64 s[6:7], v35, v21
	v_cndmask_b32_e64 v29, v39, v29, s[6:7]
	v_cndmask_b32_e64 v39, 0, 1, s[8:9]
	v_lshlrev_b32_e32 v39, 2, v39
	v_cndmask_b32_e64 v28, v31, v28, s[6:7]
	v_add_lshl_u32 v39, v39, v30, 2
	ds_bpermute_b32 v41, v39, v28
	ds_bpermute_b32 v42, v39, v29
	v_cndmask_b32_e64 v31, v31, v40, s[6:7]
	v_add_u32_e32 v40, 4, v32
	v_cmp_gt_u32_e64 s[8:9], 56, v32
	s_waitcnt lgkmcnt(1)
	v_add_co_u32_e64 v43, s[6:7], v41, v31
	s_waitcnt lgkmcnt(0)
	v_addc_co_u32_e64 v41, s[6:7], v42, v29, s[6:7]
	v_cmp_gt_u32_e64 s[6:7], v40, v21
	v_cndmask_b32_e64 v29, v41, v29, s[6:7]
	v_cndmask_b32_e64 v41, 0, 1, s[8:9]
	v_lshlrev_b32_e32 v41, 3, v41
	v_cndmask_b32_e64 v28, v43, v28, s[6:7]
	v_add_lshl_u32 v41, v41, v30, 2
	ds_bpermute_b32 v44, v41, v28
	v_cndmask_b32_e64 v31, v43, v31, s[6:7]
	ds_bpermute_b32 v43, v41, v29
	v_add_u32_e32 v42, 8, v32
	v_cmp_gt_u32_e64 s[8:9], 48, v32
	s_waitcnt lgkmcnt(1)
	v_add_co_u32_e64 v44, s[6:7], v44, v31
	s_waitcnt lgkmcnt(0)
	v_addc_co_u32_e64 v43, s[6:7], v43, v29, s[6:7]
	v_cmp_gt_u32_e64 s[6:7], v42, v21
	v_cndmask_b32_e64 v29, v43, v29, s[6:7]
	v_cndmask_b32_e64 v43, 0, 1, s[8:9]
	v_lshlrev_b32_e32 v43, 4, v43
	v_cndmask_b32_e64 v28, v44, v28, s[6:7]
	v_add_lshl_u32 v43, v43, v30, 2
	ds_bpermute_b32 v45, v43, v28
	ds_bpermute_b32 v46, v43, v29
	v_cndmask_b32_e64 v31, v44, v31, s[6:7]
	v_cmp_gt_u32_e64 s[8:9], 32, v32
	v_add_u32_e32 v44, 16, v32
	s_waitcnt lgkmcnt(1)
	v_add_co_u32_e64 v47, s[6:7], v45, v31
	s_waitcnt lgkmcnt(0)
	v_addc_co_u32_e64 v46, s[6:7], v46, v29, s[6:7]
	v_cndmask_b32_e64 v45, 0, 1, s[8:9]
	v_cmp_gt_u32_e64 s[6:7], v44, v21
	v_lshlrev_b32_e32 v45, 5, v45
	v_cndmask_b32_e64 v28, v47, v28, s[6:7]
	v_add_lshl_u32 v45, v45, v30, 2
	v_cndmask_b32_e64 v29, v46, v29, s[6:7]
	ds_bpermute_b32 v28, v45, v28
	ds_bpermute_b32 v30, v45, v29
	v_add_u32_e32 v46, 32, v32
	v_cndmask_b32_e64 v31, v47, v31, s[6:7]
	v_cmp_le_u32_e64 s[6:7], v46, v21
	s_waitcnt lgkmcnt(1)
	v_cndmask_b32_e64 v28, 0, v28, s[6:7]
	s_waitcnt lgkmcnt(0)
	v_cndmask_b32_e64 v21, 0, v30, s[6:7]
	v_add_co_u32_e64 v28, s[6:7], v28, v31
	v_addc_co_u32_e64 v21, s[6:7], v21, v29, s[6:7]
	v_mov_b32_e32 v25, 0
	v_cndmask_b32_e32 v19, v19, v21, vcc
	v_cndmask_b32_e32 v18, v18, v28, vcc
	s_branch .LBB4522_40
.LBB4522_39:                            ;   in Loop: Header=BB4522_40 Depth=1
	s_or_b64 exec, exec, s[6:7]
	v_cmp_eq_u16_sdwa s[6:7], v20, v1 src0_sel:BYTE_0 src1_sel:DWORD
	v_and_b32_e32 v21, s7, v17
	v_or_b32_e32 v21, 0x80000000, v21
	ds_bpermute_b32 v31, v33, v18
	v_and_b32_e32 v30, s6, v16
	v_ffbl_b32_e32 v21, v21
	v_add_u32_e32 v21, 32, v21
	v_ffbl_b32_e32 v30, v30
	v_min_u32_e32 v21, v30, v21
	ds_bpermute_b32 v30, v33, v19
	s_waitcnt lgkmcnt(1)
	v_add_co_u32_e32 v31, vcc, v18, v31
	v_addc_co_u32_e32 v47, vcc, 0, v19, vcc
	v_add_co_u32_e32 v48, vcc, 0, v31
	s_waitcnt lgkmcnt(0)
	v_addc_co_u32_e32 v30, vcc, v30, v47, vcc
	v_cmp_lt_u32_e32 vcc, v32, v21
	v_cndmask_b32_e32 v31, v18, v31, vcc
	ds_bpermute_b32 v47, v34, v31
	v_cndmask_b32_e32 v30, v19, v30, vcc
	ds_bpermute_b32 v49, v34, v30
	v_cndmask_b32_e32 v48, v18, v48, vcc
	v_subrev_u32_e32 v24, 64, v24
	s_waitcnt lgkmcnt(1)
	v_add_co_u32_e64 v47, s[6:7], v47, v48
	s_waitcnt lgkmcnt(0)
	v_addc_co_u32_e64 v49, s[6:7], v49, v30, s[6:7]
	v_cmp_gt_u32_e64 s[6:7], v35, v21
	v_cndmask_b32_e64 v31, v47, v31, s[6:7]
	ds_bpermute_b32 v50, v39, v31
	v_cndmask_b32_e64 v30, v49, v30, s[6:7]
	ds_bpermute_b32 v49, v39, v30
	v_cndmask_b32_e64 v47, v47, v48, s[6:7]
	s_waitcnt lgkmcnt(1)
	v_add_co_u32_e64 v48, s[6:7], v50, v47
	s_waitcnt lgkmcnt(0)
	v_addc_co_u32_e64 v49, s[6:7], v49, v30, s[6:7]
	v_cmp_gt_u32_e64 s[6:7], v40, v21
	v_cndmask_b32_e64 v31, v48, v31, s[6:7]
	ds_bpermute_b32 v50, v41, v31
	v_cndmask_b32_e64 v30, v49, v30, s[6:7]
	ds_bpermute_b32 v49, v41, v30
	v_cndmask_b32_e64 v47, v48, v47, s[6:7]
	;; [unrolled: 10-line block ×3, first 2 shown]
	s_waitcnt lgkmcnt(1)
	v_add_co_u32_e64 v48, s[6:7], v50, v47
	s_waitcnt lgkmcnt(0)
	v_addc_co_u32_e64 v49, s[6:7], v49, v30, s[6:7]
	v_cmp_gt_u32_e64 s[6:7], v44, v21
	v_cndmask_b32_e64 v31, v48, v31, s[6:7]
	v_cndmask_b32_e64 v30, v49, v30, s[6:7]
	ds_bpermute_b32 v31, v45, v31
	ds_bpermute_b32 v49, v45, v30
	v_cndmask_b32_e64 v47, v48, v47, s[6:7]
	v_cmp_le_u32_e64 s[6:7], v46, v21
	s_waitcnt lgkmcnt(1)
	v_cndmask_b32_e64 v31, 0, v31, s[6:7]
	s_waitcnt lgkmcnt(0)
	v_cndmask_b32_e64 v21, 0, v49, s[6:7]
	v_add_co_u32_e64 v31, s[6:7], v31, v47
	v_addc_co_u32_e64 v21, s[6:7], v21, v30, s[6:7]
	v_cndmask_b32_e32 v18, v18, v31, vcc
	v_cndmask_b32_e32 v19, v19, v21, vcc
	v_add_co_u32_e32 v18, vcc, v18, v28
	v_addc_co_u32_e32 v19, vcc, v19, v29, vcc
.LBB4522_40:                            ; =>This Loop Header: Depth=1
                                        ;     Child Loop BB4522_43 Depth 2
                                        ;       Child Loop BB4522_44 Depth 3
	v_cmp_ne_u16_sdwa s[6:7], v20, v1 src0_sel:BYTE_0 src1_sel:DWORD
	v_cndmask_b32_e64 v20, 0, 1, s[6:7]
	;;#ASMSTART
	;;#ASMEND
	v_cmp_ne_u32_e32 vcc, 0, v20
	s_cmp_lg_u64 vcc, exec
	v_pk_mov_b32 v[28:29], v[18:19], v[18:19] op_sel:[0,1]
	s_cbranch_scc1 .LBB4522_47
; %bb.41:                               ;   in Loop: Header=BB4522_40 Depth=1
	v_lshlrev_b64 v[18:19], 4, v[24:25]
	v_mov_b32_e32 v20, s11
	v_add_co_u32_e32 v30, vcc, s10, v18
	v_addc_co_u32_e32 v31, vcc, v20, v19, vcc
	;;#ASMSTART
	global_load_dwordx4 v[18:21], v[30:31] off glc	
s_waitcnt vmcnt(0)
	;;#ASMEND
	v_and_b32_e32 v21, 0xff, v19
	v_and_b32_e32 v47, 0xff00, v19
	v_or3_b32 v21, 0, v21, v47
	v_or3_b32 v18, v18, 0, 0
	v_and_b32_e32 v47, 0xff000000, v19
	v_and_b32_e32 v19, 0xff0000, v19
	v_or3_b32 v19, v21, v19, v47
	v_or3_b32 v18, v18, 0, 0
	v_cmp_eq_u16_sdwa s[8:9], v20, v25 src0_sel:BYTE_0 src1_sel:DWORD
	s_and_saveexec_b64 s[6:7], s[8:9]
	s_cbranch_execz .LBB4522_39
; %bb.42:                               ;   in Loop: Header=BB4522_40 Depth=1
	s_mov_b32 s38, 1
	s_mov_b64 s[8:9], 0
.LBB4522_43:                            ;   Parent Loop BB4522_40 Depth=1
                                        ; =>  This Loop Header: Depth=2
                                        ;       Child Loop BB4522_44 Depth 3
	s_max_u32 s39, s38, 1
.LBB4522_44:                            ;   Parent Loop BB4522_40 Depth=1
                                        ;     Parent Loop BB4522_43 Depth=2
                                        ; =>    This Inner Loop Header: Depth=3
	s_add_i32 s39, s39, -1
	s_cmp_eq_u32 s39, 0
	s_sleep 1
	s_cbranch_scc0 .LBB4522_44
; %bb.45:                               ;   in Loop: Header=BB4522_43 Depth=2
	s_cmp_lt_u32 s38, 32
	s_cselect_b64 s[40:41], -1, 0
	s_cmp_lg_u64 s[40:41], 0
	s_addc_u32 s38, s38, 0
	;;#ASMSTART
	global_load_dwordx4 v[18:21], v[30:31] off glc	
s_waitcnt vmcnt(0)
	;;#ASMEND
	v_cmp_ne_u16_sdwa s[40:41], v20, v25 src0_sel:BYTE_0 src1_sel:DWORD
	s_or_b64 s[8:9], s[40:41], s[8:9]
	s_andn2_b64 exec, exec, s[8:9]
	s_cbranch_execnz .LBB4522_43
; %bb.46:                               ;   in Loop: Header=BB4522_40 Depth=1
	s_or_b64 exec, exec, s[8:9]
	s_branch .LBB4522_39
.LBB4522_47:                            ;   in Loop: Header=BB4522_40 Depth=1
                                        ; implicit-def: $vgpr18_vgpr19
                                        ; implicit-def: $vgpr20
	s_cbranch_execz .LBB4522_40
; %bb.48:
	s_and_saveexec_b64 s[6:7], s[4:5]
	s_cbranch_execz .LBB4522_50
; %bb.49:
	s_add_i32 s4, s37, 64
	s_mov_b32 s5, 0
	s_lshl_b64 s[4:5], s[4:5], 4
	s_add_u32 s4, s10, s4
	v_add_co_u32_e32 v14, vcc, v28, v14
	s_addc_u32 s5, s11, s5
	v_addc_co_u32_e32 v15, vcc, v29, v15, vcc
	v_mov_b32_e32 v16, 2
	v_mov_b32_e32 v17, 0
	v_pk_mov_b32 v[18:19], s[4:5], s[4:5] op_sel:[0,1]
	;;#ASMSTART
	global_store_dwordx4 v[18:19], v[14:17] off	
s_waitcnt vmcnt(0)
	;;#ASMEND
.LBB4522_50:
	s_or_b64 exec, exec, s[6:7]
	s_and_b64 exec, exec, s[0:1]
	s_cbranch_execz .LBB4522_52
; %bb.51:
	v_mov_b32_e32 v1, 0
	ds_write_b64 v1, v[28:29]
.LBB4522_52:
	s_or_b64 exec, exec, s[30:31]
	v_mov_b32_e32 v1, 0
	s_waitcnt lgkmcnt(0)
	s_barrier
	ds_read_b64 v[14:15], v1
	s_waitcnt lgkmcnt(0)
	v_add_co_u32_e32 v14, vcc, v14, v22
	v_addc_co_u32_e32 v15, vcc, v15, v23, vcc
	v_add_co_u32_e32 v28, vcc, v14, v10
	v_addc_co_u32_e32 v29, vcc, v15, v11, vcc
	;; [unrolled: 2-line block ×7, first 2 shown]
	s_branch .LBB4522_65
.LBB4522_53:
                                        ; implicit-def: $vgpr34_vgpr35
                                        ; implicit-def: $vgpr32_vgpr33
                                        ; implicit-def: $vgpr30_vgpr31
                                        ; implicit-def: $vgpr28_vgpr29
                                        ; implicit-def: $vgpr22_vgpr23_vgpr24_vgpr25
                                        ; implicit-def: $vgpr18_vgpr19_vgpr20_vgpr21
                                        ; implicit-def: $vgpr14_vgpr15_vgpr16_vgpr17
	s_cbranch_execz .LBB4522_65
; %bb.54:
	s_cmp_eq_u64 s[16:17], 0
	v_pk_mov_b32 v[20:21], s[28:29], s[28:29] op_sel:[0,1]
	s_cbranch_scc1 .LBB4522_56
; %bb.55:
	v_mov_b32_e32 v1, 0
	v_mov_b32_e32 v15, s36
	v_add_co_u32_e64 v14, vcc, -8, s35
	v_addc_co_u32_e32 v15, vcc, -1, v15, vcc
	global_load_dwordx2 v[16:17], v1, s[12:13]
	flat_load_dwordx2 v[18:19], v[14:15]
	s_waitcnt vmcnt(0) lgkmcnt(0)
	v_add_co_u32_e32 v20, vcc, v16, v18
	v_addc_co_u32_e32 v21, vcc, v17, v19, vcc
.LBB4522_56:
	v_add_co_u32_e32 v1, vcc, v12, v10
	v_addc_co_u32_e32 v14, vcc, v13, v11, vcc
	v_add_co_u32_e32 v1, vcc, v1, v6
	v_addc_co_u32_e32 v14, vcc, v14, v7, vcc
	;; [unrolled: 2-line block ×6, first 2 shown]
	v_add_lshl_u32 v1, v38, v0, 3
	v_cmp_gt_u32_e32 vcc, 64, v0
	ds_write_b64 v1, v[18:19]
	s_waitcnt lgkmcnt(0)
	s_barrier
	s_and_saveexec_b64 s[6:7], vcc
	s_cbranch_execz .LBB4522_60
; %bb.57:
	v_lshlrev_b32_e32 v1, 1, v0
	v_lshrrev_b32_e32 v14, 4, v0
	v_add_lshl_u32 v22, v14, v1, 3
	ds_read2_b64 v[14:17], v22 offset1:1
	v_mbcnt_lo_u32_b32 v1, -1, 0
	s_waitcnt lgkmcnt(0)
	v_add_co_u32_e32 v23, vcc, v16, v14
	v_addc_co_u32_e32 v24, vcc, v17, v15, vcc
	s_nop 0
	v_mov_b32_dpp v16, v23 row_shr:1 row_mask:0xf bank_mask:0xf
	v_add_co_u32_e32 v16, vcc, v23, v16
	v_addc_co_u32_e32 v26, vcc, 0, v24, vcc
	v_mbcnt_hi_u32_b32 v17, -1, v1
	v_mov_b32_dpp v25, v24 row_shr:1 row_mask:0xf bank_mask:0xf
	v_add_co_u32_e32 v27, vcc, 0, v16
	v_and_b32_e32 v1, 15, v17
	v_addc_co_u32_e32 v25, vcc, v25, v26, vcc
	v_cmp_eq_u32_e32 vcc, 0, v1
	v_cndmask_b32_e32 v16, v16, v23, vcc
	v_cndmask_b32_e32 v25, v25, v24, vcc
	v_cndmask_b32_e32 v26, v27, v23, vcc
	v_mov_b32_dpp v27, v16 row_shr:2 row_mask:0xf bank_mask:0xf
	v_mov_b32_dpp v28, v25 row_shr:2 row_mask:0xf bank_mask:0xf
	v_add_co_u32_e32 v27, vcc, v27, v26
	v_addc_co_u32_e32 v28, vcc, v28, v25, vcc
	v_cmp_lt_u32_e32 vcc, 1, v1
	v_cndmask_b32_e32 v16, v16, v27, vcc
	v_cndmask_b32_e32 v25, v25, v28, vcc
	v_cndmask_b32_e32 v26, v26, v27, vcc
	v_mov_b32_dpp v27, v16 row_shr:4 row_mask:0xf bank_mask:0xf
	v_mov_b32_dpp v28, v25 row_shr:4 row_mask:0xf bank_mask:0xf
	v_add_co_u32_e32 v27, vcc, v27, v26
	v_addc_co_u32_e32 v28, vcc, v28, v25, vcc
	v_cmp_lt_u32_e32 vcc, 3, v1
	v_cndmask_b32_e32 v16, v16, v27, vcc
	v_cndmask_b32_e32 v25, v25, v28, vcc
	v_cndmask_b32_e32 v26, v26, v27, vcc
	v_mov_b32_dpp v27, v16 row_shr:8 row_mask:0xf bank_mask:0xf
	v_mov_b32_dpp v28, v25 row_shr:8 row_mask:0xf bank_mask:0xf
	v_add_co_u32_e32 v27, vcc, v27, v26
	v_addc_co_u32_e32 v28, vcc, v28, v25, vcc
	v_cmp_lt_u32_e32 vcc, 7, v1
	v_cndmask_b32_e32 v29, v16, v27, vcc
	v_cndmask_b32_e32 v1, v25, v28, vcc
	;; [unrolled: 1-line block ×3, first 2 shown]
	v_mov_b32_dpp v25, v29 row_bcast:15 row_mask:0xf bank_mask:0xf
	v_mov_b32_dpp v26, v1 row_bcast:15 row_mask:0xf bank_mask:0xf
	v_add_co_u32_e32 v25, vcc, v25, v16
	v_and_b32_e32 v28, 16, v17
	v_addc_co_u32_e32 v27, vcc, v26, v1, vcc
	v_cmp_eq_u32_e32 vcc, 0, v28
	v_cndmask_b32_e32 v28, v27, v1, vcc
	v_cndmask_b32_e32 v26, v25, v29, vcc
	v_cmp_ne_u32_e64 s[4:5], 0, v17
	v_mov_b32_dpp v28, v28 row_bcast:31 row_mask:0xf bank_mask:0xf
	v_mov_b32_dpp v26, v26 row_bcast:31 row_mask:0xf bank_mask:0xf
	s_and_saveexec_b64 s[8:9], s[4:5]
; %bb.58:
	v_cndmask_b32_e32 v1, v27, v1, vcc
	v_cndmask_b32_e32 v16, v25, v16, vcc
	v_cmp_lt_u32_e32 vcc, 31, v17
	v_cndmask_b32_e32 v23, 0, v26, vcc
	v_cndmask_b32_e32 v24, 0, v28, vcc
	v_add_co_u32_e32 v23, vcc, v23, v16
	v_addc_co_u32_e32 v24, vcc, v24, v1, vcc
; %bb.59:
	s_or_b64 exec, exec, s[8:9]
	v_add_u32_e32 v1, -1, v17
	v_and_b32_e32 v16, 64, v17
	v_cmp_lt_i32_e32 vcc, v1, v16
	v_cndmask_b32_e32 v1, v1, v17, vcc
	v_lshlrev_b32_e32 v1, 2, v1
	ds_bpermute_b32 v16, v1, v23
	ds_bpermute_b32 v1, v1, v24
	; wave barrier
	s_waitcnt lgkmcnt(1)
	v_add_co_u32_e32 v14, vcc, v14, v16
	v_addc_co_u32_e32 v15, vcc, 0, v15, vcc
	v_add_co_u32_e32 v14, vcc, 0, v14
	s_waitcnt lgkmcnt(0)
	v_addc_co_u32_e32 v1, vcc, v15, v1, vcc
	v_cndmask_b32_e64 v15, v1, v19, s[0:1]
	v_cndmask_b32_e64 v14, v14, v18, s[0:1]
	ds_write_b64 v22, v[14:15]
	; wave barrier
	ds_read_b64 v[16:17], v22 offset:8
	s_waitcnt lgkmcnt(0)
	v_add_co_u32_e32 v14, vcc, v16, v14
	v_addc_co_u32_e32 v15, vcc, v17, v15, vcc
	ds_write_b64 v22, v[14:15] offset:8
.LBB4522_60:
	s_or_b64 exec, exec, s[6:7]
	v_pk_mov_b32 v[14:15], v[20:21], v[20:21] op_sel:[0,1]
	s_waitcnt lgkmcnt(0)
	s_barrier
	s_and_saveexec_b64 s[4:5], s[2:3]
	s_cbranch_execz .LBB4522_62
; %bb.61:
	v_add_u32_e32 v1, -1, v0
	v_lshrrev_b32_e32 v14, 5, v1
	v_add_lshl_u32 v1, v14, v1, 3
	ds_read_b64 v[14:15], v1
	s_waitcnt lgkmcnt(0)
	v_add_co_u32_e32 v14, vcc, v14, v20
	v_addc_co_u32_e32 v15, vcc, v15, v21, vcc
.LBB4522_62:
	s_or_b64 exec, exec, s[4:5]
	v_add_co_u32_e32 v28, vcc, v14, v10
	v_addc_co_u32_e32 v29, vcc, v15, v11, vcc
	v_add_co_u32_e32 v18, vcc, v28, v12
	v_addc_co_u32_e32 v19, vcc, v29, v13, vcc
	;; [unrolled: 2-line block ×6, first 2 shown]
	s_and_saveexec_b64 s[2:3], s[0:1]
	s_cbranch_execz .LBB4522_64
; %bb.63:
	v_mov_b32_e32 v5, 0
	ds_read_b64 v[2:3], v5 offset:1040
	s_add_u32 s0, s10, 0x400
	s_addc_u32 s1, s11, 0
	v_mov_b32_e32 v4, 2
	v_pk_mov_b32 v[6:7], s[0:1], s[0:1] op_sel:[0,1]
	s_waitcnt lgkmcnt(0)
	v_add_co_u32_e32 v2, vcc, v2, v20
	v_addc_co_u32_e32 v3, vcc, v3, v21, vcc
	;;#ASMSTART
	global_store_dwordx4 v[6:7], v[2:5] off	
s_waitcnt vmcnt(0)
	;;#ASMEND
.LBB4522_64:
	s_or_b64 exec, exec, s[2:3]
.LBB4522_65:
	s_add_u32 s0, s24, s22
	s_addc_u32 s1, s25, s23
	s_add_u32 s2, s0, s26
	s_addc_u32 s3, s1, s27
	s_mov_b64 s[0:1], -1
	s_and_b64 vcc, exec, s[20:21]
	v_mul_u32_u24_e32 v1, 56, v0
	s_barrier
	s_cbranch_vccz .LBB4522_67
; %bb.66:
	v_mul_i32_i24_e32 v2, 0xffffffd0, v0
	v_mad_u32_u24 v16, v0, 56, v2
	ds_write2_b64 v1, v[14:15], v[28:29] offset1:1
	ds_write2_b64 v1, v[18:19], v[30:31] offset0:2 offset1:3
	ds_write2_b64 v1, v[22:23], v[32:33] offset0:4 offset1:5
	ds_write_b64 v1, v[34:35] offset:48
	s_waitcnt lgkmcnt(0)
	s_barrier
	ds_read2st64_b64 v[2:5], v16 offset1:2
	ds_read2st64_b64 v[6:9], v16 offset0:4 offset1:6
	ds_read2st64_b64 v[10:13], v16 offset0:8 offset1:10
	ds_read_b64 v[16:17], v16 offset:6144
	v_mov_b32_e32 v21, s3
	v_add_co_u32_e32 v20, vcc, s2, v36
	v_addc_co_u32_e32 v21, vcc, 0, v21, vcc
	s_waitcnt lgkmcnt(3)
	flat_store_dwordx2 v[20:21], v[2:3]
	flat_store_dwordx2 v[20:21], v[4:5] offset:1024
	s_waitcnt lgkmcnt(0)
	flat_store_dwordx2 v[20:21], v[6:7] offset:2048
	flat_store_dwordx2 v[20:21], v[8:9] offset:3072
	v_add_co_u32_e32 v2, vcc, 0x1000, v20
	v_addc_co_u32_e32 v3, vcc, 0, v21, vcc
	flat_store_dwordx2 v[2:3], v[10:11]
	flat_store_dwordx2 v[2:3], v[12:13] offset:1024
	flat_store_dwordx2 v[2:3], v[16:17] offset:2048
	s_mov_b64 s[0:1], 0
.LBB4522_67:
	s_andn2_b64 vcc, exec, s[0:1]
	s_cbranch_vccnz .LBB4522_106
; %bb.68:
	v_mul_i32_i24_e32 v2, 0xffffffd0, v0
	ds_write2_b64 v1, v[14:15], v[28:29] offset1:1
	ds_write2_b64 v1, v[18:19], v[30:31] offset0:2 offset1:3
	ds_write2_b64 v1, v[22:23], v[32:33] offset0:4 offset1:5
	ds_write_b64 v1, v[34:35] offset:48
	v_mad_u32_u24 v14, v0, 56, v2
	s_waitcnt lgkmcnt(0)
	s_barrier
	ds_read2st64_b64 v[2:5], v14 offset1:2
	ds_read2st64_b64 v[6:9], v14 offset0:4 offset1:6
	ds_read2st64_b64 v[10:13], v14 offset0:8 offset1:10
	ds_read_b64 v[14:15], v14 offset:6144
	v_mov_b32_e32 v17, s3
	v_add_co_u32_e32 v16, vcc, s2, v36
	v_addc_co_u32_e32 v17, vcc, 0, v17, vcc
	v_mov_b32_e32 v1, 0
	v_cmp_gt_u32_e32 vcc, s33, v0
	s_and_saveexec_b64 s[0:1], vcc
	s_cbranch_execz .LBB4522_70
; %bb.69:
	s_waitcnt lgkmcnt(0)
	flat_store_dwordx2 v[16:17], v[2:3]
.LBB4522_70:
	s_or_b64 exec, exec, s[0:1]
	v_or_b32_e32 v18, 0x80, v0
	v_cmp_gt_u32_e32 vcc, s33, v18
	s_and_saveexec_b64 s[0:1], vcc
	s_cbranch_execz .LBB4522_72
; %bb.71:
	s_waitcnt lgkmcnt(0)
	flat_store_dwordx2 v[16:17], v[4:5] offset:1024
.LBB4522_72:
	s_or_b64 exec, exec, s[0:1]
	v_or_b32_e32 v18, 0x100, v0
	v_cmp_gt_u32_e32 vcc, s33, v18
	s_and_saveexec_b64 s[0:1], vcc
	s_cbranch_execz .LBB4522_74
; %bb.73:
	s_waitcnt lgkmcnt(0)
	flat_store_dwordx2 v[16:17], v[6:7] offset:2048
.LBB4522_74:
	s_or_b64 exec, exec, s[0:1]
	v_or_b32_e32 v18, 0x180, v0
	v_cmp_gt_u32_e32 vcc, s33, v18
	s_and_saveexec_b64 s[0:1], vcc
	s_cbranch_execz .LBB4522_76
; %bb.75:
	s_waitcnt lgkmcnt(0)
	flat_store_dwordx2 v[16:17], v[8:9] offset:3072
.LBB4522_76:
	s_or_b64 exec, exec, s[0:1]
	v_or_b32_e32 v18, 0x200, v0
	v_cmp_gt_u32_e32 vcc, s33, v18
	s_and_saveexec_b64 s[0:1], vcc
	s_cbranch_execz .LBB4522_78
; %bb.77:
	v_add_co_u32_e32 v18, vcc, 0x1000, v16
	v_addc_co_u32_e32 v19, vcc, 0, v17, vcc
	s_waitcnt lgkmcnt(0)
	flat_store_dwordx2 v[18:19], v[10:11]
.LBB4522_78:
	s_or_b64 exec, exec, s[0:1]
	v_or_b32_e32 v18, 0x280, v0
	v_cmp_gt_u32_e32 vcc, s33, v18
	s_and_saveexec_b64 s[0:1], vcc
	s_cbranch_execz .LBB4522_80
; %bb.79:
	v_add_co_u32_e32 v18, vcc, 0x1000, v16
	v_addc_co_u32_e32 v19, vcc, 0, v17, vcc
	s_waitcnt lgkmcnt(0)
	flat_store_dwordx2 v[18:19], v[12:13] offset:1024
.LBB4522_80:
	s_or_b64 exec, exec, s[0:1]
	v_or_b32_e32 v18, 0x300, v0
	v_cmp_gt_u32_e32 vcc, s33, v18
	s_and_saveexec_b64 s[0:1], vcc
	s_cbranch_execz .LBB4522_82
; %bb.81:
	v_add_co_u32_e32 v16, vcc, 0x1000, v16
	v_addc_co_u32_e32 v17, vcc, 0, v17, vcc
	s_waitcnt lgkmcnt(0)
	flat_store_dwordx2 v[16:17], v[14:15] offset:2048
.LBB4522_82:
	s_or_b64 exec, exec, s[0:1]
	v_cmp_lt_u64_e64 s[0:1], s[18:19], 2
	s_and_b64 vcc, exec, s[0:1]
	s_cbranch_vccnz .LBB4522_106
; %bb.83:
	s_add_u32 s0, s33, -1
	s_addc_u32 s1, s34, -1
	s_add_u32 s2, 0, 0x92481000
	s_addc_u32 s3, 0, 0x64
	s_add_i32 s3, s3, 0x249248c0
	s_mul_hi_u32 s7, s2, -7
	s_sub_i32 s7, s7, s2
	s_mul_i32 s8, s3, -7
	s_mul_i32 s4, s2, -7
	s_add_i32 s7, s7, s8
	s_mul_hi_u32 s5, s3, s4
	s_mul_i32 s6, s3, s4
	s_mul_i32 s9, s2, s7
	s_mul_hi_u32 s4, s2, s4
	s_mul_hi_u32 s8, s2, s7
	s_add_u32 s4, s4, s9
	s_addc_u32 s8, 0, s8
	s_add_u32 s4, s4, s6
	s_mul_hi_u32 s9, s3, s7
	s_addc_u32 s4, s8, s5
	s_addc_u32 s5, s9, 0
	s_mul_i32 s6, s3, s7
	s_add_u32 s4, s4, s6
	v_mov_b32_e32 v16, s4
	s_addc_u32 s5, 0, s5
	v_add_co_u32_e32 v16, vcc, s2, v16
	s_cmp_lg_u64 vcc, 0
	s_addc_u32 s2, s3, s5
	v_readfirstlane_b32 s5, v16
	s_mul_i32 s4, s0, s2
	s_mul_hi_u32 s6, s0, s5
	s_mul_hi_u32 s3, s0, s2
	s_add_u32 s4, s6, s4
	s_addc_u32 s3, 0, s3
	s_mul_hi_u32 s7, s1, s5
	s_mul_i32 s5, s1, s5
	s_add_u32 s4, s4, s5
	s_mul_hi_u32 s6, s1, s2
	s_addc_u32 s3, s3, s7
	s_addc_u32 s4, s6, 0
	s_mul_i32 s2, s1, s2
	s_add_u32 s2, s3, s2
	s_addc_u32 s3, 0, s4
	s_add_u32 s4, s2, 1
	s_addc_u32 s5, s3, 0
	s_add_u32 s6, s2, 2
	s_mul_i32 s8, s3, 7
	s_mul_hi_u32 s9, s2, 7
	s_addc_u32 s7, s3, 0
	s_add_i32 s9, s9, s8
	s_mul_i32 s8, s2, 7
	v_mov_b32_e32 v16, s8
	v_sub_co_u32_e32 v16, vcc, s0, v16
	s_cmp_lg_u64 vcc, 0
	s_subb_u32 s8, s1, s9
	v_subrev_co_u32_e32 v17, vcc, 7, v16
	s_cmp_lg_u64 vcc, 0
	s_subb_u32 s9, s8, 0
	v_readfirstlane_b32 s10, v17
	s_cmp_gt_u32 s10, 6
	s_cselect_b32 s10, -1, 0
	s_cmp_eq_u32 s9, 0
	s_cselect_b32 s9, s10, -1
	s_cmp_lg_u32 s9, 0
	s_cselect_b32 s4, s6, s4
	v_readfirstlane_b32 s6, v16
	s_cselect_b32 s5, s7, s5
	s_cmp_gt_u32 s6, 6
	s_cselect_b32 s6, -1, 0
	s_cmp_eq_u32 s8, 0
	s_cselect_b32 s6, s6, -1
	s_cmp_lg_u32 s6, 0
	s_cselect_b32 s3, s5, s3
	s_cselect_b32 s2, s4, s2
	v_cmp_eq_u64_e32 vcc, s[2:3], v[0:1]
	s_and_saveexec_b64 s[2:3], vcc
	s_cbranch_execz .LBB4522_106
; %bb.84:
	v_mul_hi_u32_u24_e32 v1, 7, v0
	v_mov_b32_e32 v16, s1
	v_sub_co_u32_e32 v0, vcc, s0, v37
	v_subb_co_u32_e32 v1, vcc, v16, v1, vcc
	v_cmp_lt_i64_e32 vcc, 3, v[0:1]
	s_and_saveexec_b64 s[0:1], vcc
	s_xor_b64 s[0:1], exec, s[0:1]
	s_cbranch_execz .LBB4522_94
; %bb.85:
	v_cmp_lt_i64_e32 vcc, 4, v[0:1]
	s_and_saveexec_b64 s[2:3], vcc
	s_xor_b64 s[2:3], exec, s[2:3]
	s_cbranch_execz .LBB4522_91
; %bb.86:
	;; [unrolled: 5-line block ×3, first 2 shown]
	v_mov_b32_e32 v0, 0
	s_waitcnt lgkmcnt(0)
	global_store_dwordx2 v0, v[14:15], s[14:15]
                                        ; implicit-def: $vgpr10_vgpr11_vgpr12_vgpr13
.LBB4522_88:
	s_andn2_saveexec_b64 s[4:5], s[4:5]
	s_cbranch_execz .LBB4522_90
; %bb.89:
	v_mov_b32_e32 v0, 0
	s_waitcnt lgkmcnt(0)
	global_store_dwordx2 v0, v[12:13], s[14:15]
.LBB4522_90:
	s_or_b64 exec, exec, s[4:5]
                                        ; implicit-def: $vgpr10_vgpr11_vgpr12_vgpr13
.LBB4522_91:
	s_andn2_saveexec_b64 s[2:3], s[2:3]
	s_cbranch_execz .LBB4522_93
; %bb.92:
	v_mov_b32_e32 v0, 0
	s_waitcnt lgkmcnt(0)
	global_store_dwordx2 v0, v[10:11], s[14:15]
.LBB4522_93:
	s_or_b64 exec, exec, s[2:3]
                                        ; implicit-def: $vgpr0_vgpr1
                                        ; implicit-def: $vgpr2_vgpr3_vgpr4_vgpr5
                                        ; implicit-def: $vgpr6_vgpr7_vgpr8_vgpr9
.LBB4522_94:
	s_andn2_saveexec_b64 s[0:1], s[0:1]
	s_cbranch_execz .LBB4522_106
; %bb.95:
	v_cmp_lt_i64_e32 vcc, 1, v[0:1]
	s_and_saveexec_b64 s[0:1], vcc
	s_xor_b64 s[0:1], exec, s[0:1]
	s_cbranch_execz .LBB4522_101
; %bb.96:
	v_cmp_lt_i64_e32 vcc, 2, v[0:1]
	s_and_saveexec_b64 s[2:3], vcc
	s_xor_b64 s[2:3], exec, s[2:3]
	s_cbranch_execz .LBB4522_98
; %bb.97:
	v_mov_b32_e32 v0, 0
	s_waitcnt lgkmcnt(0)
	global_store_dwordx2 v0, v[8:9], s[14:15]
                                        ; implicit-def: $vgpr6_vgpr7_vgpr8_vgpr9
.LBB4522_98:
	s_andn2_saveexec_b64 s[2:3], s[2:3]
	s_cbranch_execz .LBB4522_100
; %bb.99:
	v_mov_b32_e32 v0, 0
	s_waitcnt lgkmcnt(0)
	global_store_dwordx2 v0, v[6:7], s[14:15]
.LBB4522_100:
	s_or_b64 exec, exec, s[2:3]
                                        ; implicit-def: $vgpr2_vgpr3_vgpr4_vgpr5
                                        ; implicit-def: $vgpr0_vgpr1
.LBB4522_101:
	s_andn2_saveexec_b64 s[0:1], s[0:1]
	s_cbranch_execz .LBB4522_106
; %bb.102:
	v_cmp_ne_u64_e32 vcc, 1, v[0:1]
	s_and_saveexec_b64 s[0:1], vcc
	s_xor_b64 s[0:1], exec, s[0:1]
	s_cbranch_execz .LBB4522_104
; %bb.103:
	v_mov_b32_e32 v0, 0
	s_waitcnt lgkmcnt(0)
	global_store_dwordx2 v0, v[2:3], s[14:15]
                                        ; implicit-def: $vgpr2_vgpr3_vgpr4_vgpr5
.LBB4522_104:
	s_andn2_saveexec_b64 s[0:1], s[0:1]
	s_cbranch_execz .LBB4522_106
; %bb.105:
	v_mov_b32_e32 v0, 0
	s_waitcnt lgkmcnt(0)
	global_store_dwordx2 v0, v[4:5], s[14:15]
.LBB4522_106:
	s_endpgm
	.section	.rodata,"a",@progbits
	.p2align	6, 0x0
	.amdhsa_kernel _ZN7rocprim17ROCPRIM_400000_NS6detail17trampoline_kernelINS0_14default_configENS1_20scan_config_selectorIyEEZZNS1_9scan_implILNS1_25lookback_scan_determinismE0ELb1ELb1ES3_N6thrust23THRUST_200600_302600_NS6detail15normal_iteratorINS9_10device_ptrIyEEEESE_yNS9_4plusIvEEyEEDaPvRmT3_T4_T5_mT6_P12ihipStream_tbENKUlT_T0_E_clISt17integral_constantIbLb1EESU_EEDaSP_SQ_EUlSP_E_NS1_11comp_targetILNS1_3genE4ELNS1_11target_archE910ELNS1_3gpuE8ELNS1_3repE0EEENS1_30default_config_static_selectorELNS0_4arch9wavefront6targetE1EEEvT1_
		.amdhsa_group_segment_fixed_size 7168
		.amdhsa_private_segment_fixed_size 0
		.amdhsa_kernarg_size 104
		.amdhsa_user_sgpr_count 6
		.amdhsa_user_sgpr_private_segment_buffer 1
		.amdhsa_user_sgpr_dispatch_ptr 0
		.amdhsa_user_sgpr_queue_ptr 0
		.amdhsa_user_sgpr_kernarg_segment_ptr 1
		.amdhsa_user_sgpr_dispatch_id 0
		.amdhsa_user_sgpr_flat_scratch_init 0
		.amdhsa_user_sgpr_kernarg_preload_length 0
		.amdhsa_user_sgpr_kernarg_preload_offset 0
		.amdhsa_user_sgpr_private_segment_size 0
		.amdhsa_uses_dynamic_stack 0
		.amdhsa_system_sgpr_private_segment_wavefront_offset 0
		.amdhsa_system_sgpr_workgroup_id_x 1
		.amdhsa_system_sgpr_workgroup_id_y 0
		.amdhsa_system_sgpr_workgroup_id_z 0
		.amdhsa_system_sgpr_workgroup_info 0
		.amdhsa_system_vgpr_workitem_id 0
		.amdhsa_next_free_vgpr 51
		.amdhsa_next_free_sgpr 42
		.amdhsa_accum_offset 52
		.amdhsa_reserve_vcc 1
		.amdhsa_reserve_flat_scratch 0
		.amdhsa_float_round_mode_32 0
		.amdhsa_float_round_mode_16_64 0
		.amdhsa_float_denorm_mode_32 3
		.amdhsa_float_denorm_mode_16_64 3
		.amdhsa_dx10_clamp 1
		.amdhsa_ieee_mode 1
		.amdhsa_fp16_overflow 0
		.amdhsa_tg_split 0
		.amdhsa_exception_fp_ieee_invalid_op 0
		.amdhsa_exception_fp_denorm_src 0
		.amdhsa_exception_fp_ieee_div_zero 0
		.amdhsa_exception_fp_ieee_overflow 0
		.amdhsa_exception_fp_ieee_underflow 0
		.amdhsa_exception_fp_ieee_inexact 0
		.amdhsa_exception_int_div_zero 0
	.end_amdhsa_kernel
	.section	.text._ZN7rocprim17ROCPRIM_400000_NS6detail17trampoline_kernelINS0_14default_configENS1_20scan_config_selectorIyEEZZNS1_9scan_implILNS1_25lookback_scan_determinismE0ELb1ELb1ES3_N6thrust23THRUST_200600_302600_NS6detail15normal_iteratorINS9_10device_ptrIyEEEESE_yNS9_4plusIvEEyEEDaPvRmT3_T4_T5_mT6_P12ihipStream_tbENKUlT_T0_E_clISt17integral_constantIbLb1EESU_EEDaSP_SQ_EUlSP_E_NS1_11comp_targetILNS1_3genE4ELNS1_11target_archE910ELNS1_3gpuE8ELNS1_3repE0EEENS1_30default_config_static_selectorELNS0_4arch9wavefront6targetE1EEEvT1_,"axG",@progbits,_ZN7rocprim17ROCPRIM_400000_NS6detail17trampoline_kernelINS0_14default_configENS1_20scan_config_selectorIyEEZZNS1_9scan_implILNS1_25lookback_scan_determinismE0ELb1ELb1ES3_N6thrust23THRUST_200600_302600_NS6detail15normal_iteratorINS9_10device_ptrIyEEEESE_yNS9_4plusIvEEyEEDaPvRmT3_T4_T5_mT6_P12ihipStream_tbENKUlT_T0_E_clISt17integral_constantIbLb1EESU_EEDaSP_SQ_EUlSP_E_NS1_11comp_targetILNS1_3genE4ELNS1_11target_archE910ELNS1_3gpuE8ELNS1_3repE0EEENS1_30default_config_static_selectorELNS0_4arch9wavefront6targetE1EEEvT1_,comdat
.Lfunc_end4522:
	.size	_ZN7rocprim17ROCPRIM_400000_NS6detail17trampoline_kernelINS0_14default_configENS1_20scan_config_selectorIyEEZZNS1_9scan_implILNS1_25lookback_scan_determinismE0ELb1ELb1ES3_N6thrust23THRUST_200600_302600_NS6detail15normal_iteratorINS9_10device_ptrIyEEEESE_yNS9_4plusIvEEyEEDaPvRmT3_T4_T5_mT6_P12ihipStream_tbENKUlT_T0_E_clISt17integral_constantIbLb1EESU_EEDaSP_SQ_EUlSP_E_NS1_11comp_targetILNS1_3genE4ELNS1_11target_archE910ELNS1_3gpuE8ELNS1_3repE0EEENS1_30default_config_static_selectorELNS0_4arch9wavefront6targetE1EEEvT1_, .Lfunc_end4522-_ZN7rocprim17ROCPRIM_400000_NS6detail17trampoline_kernelINS0_14default_configENS1_20scan_config_selectorIyEEZZNS1_9scan_implILNS1_25lookback_scan_determinismE0ELb1ELb1ES3_N6thrust23THRUST_200600_302600_NS6detail15normal_iteratorINS9_10device_ptrIyEEEESE_yNS9_4plusIvEEyEEDaPvRmT3_T4_T5_mT6_P12ihipStream_tbENKUlT_T0_E_clISt17integral_constantIbLb1EESU_EEDaSP_SQ_EUlSP_E_NS1_11comp_targetILNS1_3genE4ELNS1_11target_archE910ELNS1_3gpuE8ELNS1_3repE0EEENS1_30default_config_static_selectorELNS0_4arch9wavefront6targetE1EEEvT1_
                                        ; -- End function
	.section	.AMDGPU.csdata,"",@progbits
; Kernel info:
; codeLenInByte = 5780
; NumSgprs: 46
; NumVgprs: 51
; NumAgprs: 0
; TotalNumVgprs: 51
; ScratchSize: 0
; MemoryBound: 0
; FloatMode: 240
; IeeeMode: 1
; LDSByteSize: 7168 bytes/workgroup (compile time only)
; SGPRBlocks: 5
; VGPRBlocks: 6
; NumSGPRsForWavesPerEU: 46
; NumVGPRsForWavesPerEU: 51
; AccumOffset: 52
; Occupancy: 5
; WaveLimiterHint : 1
; COMPUTE_PGM_RSRC2:SCRATCH_EN: 0
; COMPUTE_PGM_RSRC2:USER_SGPR: 6
; COMPUTE_PGM_RSRC2:TRAP_HANDLER: 0
; COMPUTE_PGM_RSRC2:TGID_X_EN: 1
; COMPUTE_PGM_RSRC2:TGID_Y_EN: 0
; COMPUTE_PGM_RSRC2:TGID_Z_EN: 0
; COMPUTE_PGM_RSRC2:TIDIG_COMP_CNT: 0
; COMPUTE_PGM_RSRC3_GFX90A:ACCUM_OFFSET: 12
; COMPUTE_PGM_RSRC3_GFX90A:TG_SPLIT: 0
	.section	.text._ZN7rocprim17ROCPRIM_400000_NS6detail17trampoline_kernelINS0_14default_configENS1_20scan_config_selectorIyEEZZNS1_9scan_implILNS1_25lookback_scan_determinismE0ELb1ELb1ES3_N6thrust23THRUST_200600_302600_NS6detail15normal_iteratorINS9_10device_ptrIyEEEESE_yNS9_4plusIvEEyEEDaPvRmT3_T4_T5_mT6_P12ihipStream_tbENKUlT_T0_E_clISt17integral_constantIbLb1EESU_EEDaSP_SQ_EUlSP_E_NS1_11comp_targetILNS1_3genE3ELNS1_11target_archE908ELNS1_3gpuE7ELNS1_3repE0EEENS1_30default_config_static_selectorELNS0_4arch9wavefront6targetE1EEEvT1_,"axG",@progbits,_ZN7rocprim17ROCPRIM_400000_NS6detail17trampoline_kernelINS0_14default_configENS1_20scan_config_selectorIyEEZZNS1_9scan_implILNS1_25lookback_scan_determinismE0ELb1ELb1ES3_N6thrust23THRUST_200600_302600_NS6detail15normal_iteratorINS9_10device_ptrIyEEEESE_yNS9_4plusIvEEyEEDaPvRmT3_T4_T5_mT6_P12ihipStream_tbENKUlT_T0_E_clISt17integral_constantIbLb1EESU_EEDaSP_SQ_EUlSP_E_NS1_11comp_targetILNS1_3genE3ELNS1_11target_archE908ELNS1_3gpuE7ELNS1_3repE0EEENS1_30default_config_static_selectorELNS0_4arch9wavefront6targetE1EEEvT1_,comdat
	.protected	_ZN7rocprim17ROCPRIM_400000_NS6detail17trampoline_kernelINS0_14default_configENS1_20scan_config_selectorIyEEZZNS1_9scan_implILNS1_25lookback_scan_determinismE0ELb1ELb1ES3_N6thrust23THRUST_200600_302600_NS6detail15normal_iteratorINS9_10device_ptrIyEEEESE_yNS9_4plusIvEEyEEDaPvRmT3_T4_T5_mT6_P12ihipStream_tbENKUlT_T0_E_clISt17integral_constantIbLb1EESU_EEDaSP_SQ_EUlSP_E_NS1_11comp_targetILNS1_3genE3ELNS1_11target_archE908ELNS1_3gpuE7ELNS1_3repE0EEENS1_30default_config_static_selectorELNS0_4arch9wavefront6targetE1EEEvT1_ ; -- Begin function _ZN7rocprim17ROCPRIM_400000_NS6detail17trampoline_kernelINS0_14default_configENS1_20scan_config_selectorIyEEZZNS1_9scan_implILNS1_25lookback_scan_determinismE0ELb1ELb1ES3_N6thrust23THRUST_200600_302600_NS6detail15normal_iteratorINS9_10device_ptrIyEEEESE_yNS9_4plusIvEEyEEDaPvRmT3_T4_T5_mT6_P12ihipStream_tbENKUlT_T0_E_clISt17integral_constantIbLb1EESU_EEDaSP_SQ_EUlSP_E_NS1_11comp_targetILNS1_3genE3ELNS1_11target_archE908ELNS1_3gpuE7ELNS1_3repE0EEENS1_30default_config_static_selectorELNS0_4arch9wavefront6targetE1EEEvT1_
	.globl	_ZN7rocprim17ROCPRIM_400000_NS6detail17trampoline_kernelINS0_14default_configENS1_20scan_config_selectorIyEEZZNS1_9scan_implILNS1_25lookback_scan_determinismE0ELb1ELb1ES3_N6thrust23THRUST_200600_302600_NS6detail15normal_iteratorINS9_10device_ptrIyEEEESE_yNS9_4plusIvEEyEEDaPvRmT3_T4_T5_mT6_P12ihipStream_tbENKUlT_T0_E_clISt17integral_constantIbLb1EESU_EEDaSP_SQ_EUlSP_E_NS1_11comp_targetILNS1_3genE3ELNS1_11target_archE908ELNS1_3gpuE7ELNS1_3repE0EEENS1_30default_config_static_selectorELNS0_4arch9wavefront6targetE1EEEvT1_
	.p2align	8
	.type	_ZN7rocprim17ROCPRIM_400000_NS6detail17trampoline_kernelINS0_14default_configENS1_20scan_config_selectorIyEEZZNS1_9scan_implILNS1_25lookback_scan_determinismE0ELb1ELb1ES3_N6thrust23THRUST_200600_302600_NS6detail15normal_iteratorINS9_10device_ptrIyEEEESE_yNS9_4plusIvEEyEEDaPvRmT3_T4_T5_mT6_P12ihipStream_tbENKUlT_T0_E_clISt17integral_constantIbLb1EESU_EEDaSP_SQ_EUlSP_E_NS1_11comp_targetILNS1_3genE3ELNS1_11target_archE908ELNS1_3gpuE7ELNS1_3repE0EEENS1_30default_config_static_selectorELNS0_4arch9wavefront6targetE1EEEvT1_,@function
_ZN7rocprim17ROCPRIM_400000_NS6detail17trampoline_kernelINS0_14default_configENS1_20scan_config_selectorIyEEZZNS1_9scan_implILNS1_25lookback_scan_determinismE0ELb1ELb1ES3_N6thrust23THRUST_200600_302600_NS6detail15normal_iteratorINS9_10device_ptrIyEEEESE_yNS9_4plusIvEEyEEDaPvRmT3_T4_T5_mT6_P12ihipStream_tbENKUlT_T0_E_clISt17integral_constantIbLb1EESU_EEDaSP_SQ_EUlSP_E_NS1_11comp_targetILNS1_3genE3ELNS1_11target_archE908ELNS1_3gpuE7ELNS1_3repE0EEENS1_30default_config_static_selectorELNS0_4arch9wavefront6targetE1EEEvT1_: ; @_ZN7rocprim17ROCPRIM_400000_NS6detail17trampoline_kernelINS0_14default_configENS1_20scan_config_selectorIyEEZZNS1_9scan_implILNS1_25lookback_scan_determinismE0ELb1ELb1ES3_N6thrust23THRUST_200600_302600_NS6detail15normal_iteratorINS9_10device_ptrIyEEEESE_yNS9_4plusIvEEyEEDaPvRmT3_T4_T5_mT6_P12ihipStream_tbENKUlT_T0_E_clISt17integral_constantIbLb1EESU_EEDaSP_SQ_EUlSP_E_NS1_11comp_targetILNS1_3genE3ELNS1_11target_archE908ELNS1_3gpuE7ELNS1_3repE0EEENS1_30default_config_static_selectorELNS0_4arch9wavefront6targetE1EEEvT1_
; %bb.0:
	.section	.rodata,"a",@progbits
	.p2align	6, 0x0
	.amdhsa_kernel _ZN7rocprim17ROCPRIM_400000_NS6detail17trampoline_kernelINS0_14default_configENS1_20scan_config_selectorIyEEZZNS1_9scan_implILNS1_25lookback_scan_determinismE0ELb1ELb1ES3_N6thrust23THRUST_200600_302600_NS6detail15normal_iteratorINS9_10device_ptrIyEEEESE_yNS9_4plusIvEEyEEDaPvRmT3_T4_T5_mT6_P12ihipStream_tbENKUlT_T0_E_clISt17integral_constantIbLb1EESU_EEDaSP_SQ_EUlSP_E_NS1_11comp_targetILNS1_3genE3ELNS1_11target_archE908ELNS1_3gpuE7ELNS1_3repE0EEENS1_30default_config_static_selectorELNS0_4arch9wavefront6targetE1EEEvT1_
		.amdhsa_group_segment_fixed_size 0
		.amdhsa_private_segment_fixed_size 0
		.amdhsa_kernarg_size 104
		.amdhsa_user_sgpr_count 6
		.amdhsa_user_sgpr_private_segment_buffer 1
		.amdhsa_user_sgpr_dispatch_ptr 0
		.amdhsa_user_sgpr_queue_ptr 0
		.amdhsa_user_sgpr_kernarg_segment_ptr 1
		.amdhsa_user_sgpr_dispatch_id 0
		.amdhsa_user_sgpr_flat_scratch_init 0
		.amdhsa_user_sgpr_kernarg_preload_length 0
		.amdhsa_user_sgpr_kernarg_preload_offset 0
		.amdhsa_user_sgpr_private_segment_size 0
		.amdhsa_uses_dynamic_stack 0
		.amdhsa_system_sgpr_private_segment_wavefront_offset 0
		.amdhsa_system_sgpr_workgroup_id_x 1
		.amdhsa_system_sgpr_workgroup_id_y 0
		.amdhsa_system_sgpr_workgroup_id_z 0
		.amdhsa_system_sgpr_workgroup_info 0
		.amdhsa_system_vgpr_workitem_id 0
		.amdhsa_next_free_vgpr 1
		.amdhsa_next_free_sgpr 0
		.amdhsa_accum_offset 4
		.amdhsa_reserve_vcc 0
		.amdhsa_reserve_flat_scratch 0
		.amdhsa_float_round_mode_32 0
		.amdhsa_float_round_mode_16_64 0
		.amdhsa_float_denorm_mode_32 3
		.amdhsa_float_denorm_mode_16_64 3
		.amdhsa_dx10_clamp 1
		.amdhsa_ieee_mode 1
		.amdhsa_fp16_overflow 0
		.amdhsa_tg_split 0
		.amdhsa_exception_fp_ieee_invalid_op 0
		.amdhsa_exception_fp_denorm_src 0
		.amdhsa_exception_fp_ieee_div_zero 0
		.amdhsa_exception_fp_ieee_overflow 0
		.amdhsa_exception_fp_ieee_underflow 0
		.amdhsa_exception_fp_ieee_inexact 0
		.amdhsa_exception_int_div_zero 0
	.end_amdhsa_kernel
	.section	.text._ZN7rocprim17ROCPRIM_400000_NS6detail17trampoline_kernelINS0_14default_configENS1_20scan_config_selectorIyEEZZNS1_9scan_implILNS1_25lookback_scan_determinismE0ELb1ELb1ES3_N6thrust23THRUST_200600_302600_NS6detail15normal_iteratorINS9_10device_ptrIyEEEESE_yNS9_4plusIvEEyEEDaPvRmT3_T4_T5_mT6_P12ihipStream_tbENKUlT_T0_E_clISt17integral_constantIbLb1EESU_EEDaSP_SQ_EUlSP_E_NS1_11comp_targetILNS1_3genE3ELNS1_11target_archE908ELNS1_3gpuE7ELNS1_3repE0EEENS1_30default_config_static_selectorELNS0_4arch9wavefront6targetE1EEEvT1_,"axG",@progbits,_ZN7rocprim17ROCPRIM_400000_NS6detail17trampoline_kernelINS0_14default_configENS1_20scan_config_selectorIyEEZZNS1_9scan_implILNS1_25lookback_scan_determinismE0ELb1ELb1ES3_N6thrust23THRUST_200600_302600_NS6detail15normal_iteratorINS9_10device_ptrIyEEEESE_yNS9_4plusIvEEyEEDaPvRmT3_T4_T5_mT6_P12ihipStream_tbENKUlT_T0_E_clISt17integral_constantIbLb1EESU_EEDaSP_SQ_EUlSP_E_NS1_11comp_targetILNS1_3genE3ELNS1_11target_archE908ELNS1_3gpuE7ELNS1_3repE0EEENS1_30default_config_static_selectorELNS0_4arch9wavefront6targetE1EEEvT1_,comdat
.Lfunc_end4523:
	.size	_ZN7rocprim17ROCPRIM_400000_NS6detail17trampoline_kernelINS0_14default_configENS1_20scan_config_selectorIyEEZZNS1_9scan_implILNS1_25lookback_scan_determinismE0ELb1ELb1ES3_N6thrust23THRUST_200600_302600_NS6detail15normal_iteratorINS9_10device_ptrIyEEEESE_yNS9_4plusIvEEyEEDaPvRmT3_T4_T5_mT6_P12ihipStream_tbENKUlT_T0_E_clISt17integral_constantIbLb1EESU_EEDaSP_SQ_EUlSP_E_NS1_11comp_targetILNS1_3genE3ELNS1_11target_archE908ELNS1_3gpuE7ELNS1_3repE0EEENS1_30default_config_static_selectorELNS0_4arch9wavefront6targetE1EEEvT1_, .Lfunc_end4523-_ZN7rocprim17ROCPRIM_400000_NS6detail17trampoline_kernelINS0_14default_configENS1_20scan_config_selectorIyEEZZNS1_9scan_implILNS1_25lookback_scan_determinismE0ELb1ELb1ES3_N6thrust23THRUST_200600_302600_NS6detail15normal_iteratorINS9_10device_ptrIyEEEESE_yNS9_4plusIvEEyEEDaPvRmT3_T4_T5_mT6_P12ihipStream_tbENKUlT_T0_E_clISt17integral_constantIbLb1EESU_EEDaSP_SQ_EUlSP_E_NS1_11comp_targetILNS1_3genE3ELNS1_11target_archE908ELNS1_3gpuE7ELNS1_3repE0EEENS1_30default_config_static_selectorELNS0_4arch9wavefront6targetE1EEEvT1_
                                        ; -- End function
	.section	.AMDGPU.csdata,"",@progbits
; Kernel info:
; codeLenInByte = 0
; NumSgprs: 4
; NumVgprs: 0
; NumAgprs: 0
; TotalNumVgprs: 0
; ScratchSize: 0
; MemoryBound: 0
; FloatMode: 240
; IeeeMode: 1
; LDSByteSize: 0 bytes/workgroup (compile time only)
; SGPRBlocks: 0
; VGPRBlocks: 0
; NumSGPRsForWavesPerEU: 4
; NumVGPRsForWavesPerEU: 1
; AccumOffset: 4
; Occupancy: 8
; WaveLimiterHint : 0
; COMPUTE_PGM_RSRC2:SCRATCH_EN: 0
; COMPUTE_PGM_RSRC2:USER_SGPR: 6
; COMPUTE_PGM_RSRC2:TRAP_HANDLER: 0
; COMPUTE_PGM_RSRC2:TGID_X_EN: 1
; COMPUTE_PGM_RSRC2:TGID_Y_EN: 0
; COMPUTE_PGM_RSRC2:TGID_Z_EN: 0
; COMPUTE_PGM_RSRC2:TIDIG_COMP_CNT: 0
; COMPUTE_PGM_RSRC3_GFX90A:ACCUM_OFFSET: 0
; COMPUTE_PGM_RSRC3_GFX90A:TG_SPLIT: 0
	.section	.text._ZN7rocprim17ROCPRIM_400000_NS6detail17trampoline_kernelINS0_14default_configENS1_20scan_config_selectorIyEEZZNS1_9scan_implILNS1_25lookback_scan_determinismE0ELb1ELb1ES3_N6thrust23THRUST_200600_302600_NS6detail15normal_iteratorINS9_10device_ptrIyEEEESE_yNS9_4plusIvEEyEEDaPvRmT3_T4_T5_mT6_P12ihipStream_tbENKUlT_T0_E_clISt17integral_constantIbLb1EESU_EEDaSP_SQ_EUlSP_E_NS1_11comp_targetILNS1_3genE2ELNS1_11target_archE906ELNS1_3gpuE6ELNS1_3repE0EEENS1_30default_config_static_selectorELNS0_4arch9wavefront6targetE1EEEvT1_,"axG",@progbits,_ZN7rocprim17ROCPRIM_400000_NS6detail17trampoline_kernelINS0_14default_configENS1_20scan_config_selectorIyEEZZNS1_9scan_implILNS1_25lookback_scan_determinismE0ELb1ELb1ES3_N6thrust23THRUST_200600_302600_NS6detail15normal_iteratorINS9_10device_ptrIyEEEESE_yNS9_4plusIvEEyEEDaPvRmT3_T4_T5_mT6_P12ihipStream_tbENKUlT_T0_E_clISt17integral_constantIbLb1EESU_EEDaSP_SQ_EUlSP_E_NS1_11comp_targetILNS1_3genE2ELNS1_11target_archE906ELNS1_3gpuE6ELNS1_3repE0EEENS1_30default_config_static_selectorELNS0_4arch9wavefront6targetE1EEEvT1_,comdat
	.protected	_ZN7rocprim17ROCPRIM_400000_NS6detail17trampoline_kernelINS0_14default_configENS1_20scan_config_selectorIyEEZZNS1_9scan_implILNS1_25lookback_scan_determinismE0ELb1ELb1ES3_N6thrust23THRUST_200600_302600_NS6detail15normal_iteratorINS9_10device_ptrIyEEEESE_yNS9_4plusIvEEyEEDaPvRmT3_T4_T5_mT6_P12ihipStream_tbENKUlT_T0_E_clISt17integral_constantIbLb1EESU_EEDaSP_SQ_EUlSP_E_NS1_11comp_targetILNS1_3genE2ELNS1_11target_archE906ELNS1_3gpuE6ELNS1_3repE0EEENS1_30default_config_static_selectorELNS0_4arch9wavefront6targetE1EEEvT1_ ; -- Begin function _ZN7rocprim17ROCPRIM_400000_NS6detail17trampoline_kernelINS0_14default_configENS1_20scan_config_selectorIyEEZZNS1_9scan_implILNS1_25lookback_scan_determinismE0ELb1ELb1ES3_N6thrust23THRUST_200600_302600_NS6detail15normal_iteratorINS9_10device_ptrIyEEEESE_yNS9_4plusIvEEyEEDaPvRmT3_T4_T5_mT6_P12ihipStream_tbENKUlT_T0_E_clISt17integral_constantIbLb1EESU_EEDaSP_SQ_EUlSP_E_NS1_11comp_targetILNS1_3genE2ELNS1_11target_archE906ELNS1_3gpuE6ELNS1_3repE0EEENS1_30default_config_static_selectorELNS0_4arch9wavefront6targetE1EEEvT1_
	.globl	_ZN7rocprim17ROCPRIM_400000_NS6detail17trampoline_kernelINS0_14default_configENS1_20scan_config_selectorIyEEZZNS1_9scan_implILNS1_25lookback_scan_determinismE0ELb1ELb1ES3_N6thrust23THRUST_200600_302600_NS6detail15normal_iteratorINS9_10device_ptrIyEEEESE_yNS9_4plusIvEEyEEDaPvRmT3_T4_T5_mT6_P12ihipStream_tbENKUlT_T0_E_clISt17integral_constantIbLb1EESU_EEDaSP_SQ_EUlSP_E_NS1_11comp_targetILNS1_3genE2ELNS1_11target_archE906ELNS1_3gpuE6ELNS1_3repE0EEENS1_30default_config_static_selectorELNS0_4arch9wavefront6targetE1EEEvT1_
	.p2align	8
	.type	_ZN7rocprim17ROCPRIM_400000_NS6detail17trampoline_kernelINS0_14default_configENS1_20scan_config_selectorIyEEZZNS1_9scan_implILNS1_25lookback_scan_determinismE0ELb1ELb1ES3_N6thrust23THRUST_200600_302600_NS6detail15normal_iteratorINS9_10device_ptrIyEEEESE_yNS9_4plusIvEEyEEDaPvRmT3_T4_T5_mT6_P12ihipStream_tbENKUlT_T0_E_clISt17integral_constantIbLb1EESU_EEDaSP_SQ_EUlSP_E_NS1_11comp_targetILNS1_3genE2ELNS1_11target_archE906ELNS1_3gpuE6ELNS1_3repE0EEENS1_30default_config_static_selectorELNS0_4arch9wavefront6targetE1EEEvT1_,@function
_ZN7rocprim17ROCPRIM_400000_NS6detail17trampoline_kernelINS0_14default_configENS1_20scan_config_selectorIyEEZZNS1_9scan_implILNS1_25lookback_scan_determinismE0ELb1ELb1ES3_N6thrust23THRUST_200600_302600_NS6detail15normal_iteratorINS9_10device_ptrIyEEEESE_yNS9_4plusIvEEyEEDaPvRmT3_T4_T5_mT6_P12ihipStream_tbENKUlT_T0_E_clISt17integral_constantIbLb1EESU_EEDaSP_SQ_EUlSP_E_NS1_11comp_targetILNS1_3genE2ELNS1_11target_archE906ELNS1_3gpuE6ELNS1_3repE0EEENS1_30default_config_static_selectorELNS0_4arch9wavefront6targetE1EEEvT1_: ; @_ZN7rocprim17ROCPRIM_400000_NS6detail17trampoline_kernelINS0_14default_configENS1_20scan_config_selectorIyEEZZNS1_9scan_implILNS1_25lookback_scan_determinismE0ELb1ELb1ES3_N6thrust23THRUST_200600_302600_NS6detail15normal_iteratorINS9_10device_ptrIyEEEESE_yNS9_4plusIvEEyEEDaPvRmT3_T4_T5_mT6_P12ihipStream_tbENKUlT_T0_E_clISt17integral_constantIbLb1EESU_EEDaSP_SQ_EUlSP_E_NS1_11comp_targetILNS1_3genE2ELNS1_11target_archE906ELNS1_3gpuE6ELNS1_3repE0EEENS1_30default_config_static_selectorELNS0_4arch9wavefront6targetE1EEEvT1_
; %bb.0:
	.section	.rodata,"a",@progbits
	.p2align	6, 0x0
	.amdhsa_kernel _ZN7rocprim17ROCPRIM_400000_NS6detail17trampoline_kernelINS0_14default_configENS1_20scan_config_selectorIyEEZZNS1_9scan_implILNS1_25lookback_scan_determinismE0ELb1ELb1ES3_N6thrust23THRUST_200600_302600_NS6detail15normal_iteratorINS9_10device_ptrIyEEEESE_yNS9_4plusIvEEyEEDaPvRmT3_T4_T5_mT6_P12ihipStream_tbENKUlT_T0_E_clISt17integral_constantIbLb1EESU_EEDaSP_SQ_EUlSP_E_NS1_11comp_targetILNS1_3genE2ELNS1_11target_archE906ELNS1_3gpuE6ELNS1_3repE0EEENS1_30default_config_static_selectorELNS0_4arch9wavefront6targetE1EEEvT1_
		.amdhsa_group_segment_fixed_size 0
		.amdhsa_private_segment_fixed_size 0
		.amdhsa_kernarg_size 104
		.amdhsa_user_sgpr_count 6
		.amdhsa_user_sgpr_private_segment_buffer 1
		.amdhsa_user_sgpr_dispatch_ptr 0
		.amdhsa_user_sgpr_queue_ptr 0
		.amdhsa_user_sgpr_kernarg_segment_ptr 1
		.amdhsa_user_sgpr_dispatch_id 0
		.amdhsa_user_sgpr_flat_scratch_init 0
		.amdhsa_user_sgpr_kernarg_preload_length 0
		.amdhsa_user_sgpr_kernarg_preload_offset 0
		.amdhsa_user_sgpr_private_segment_size 0
		.amdhsa_uses_dynamic_stack 0
		.amdhsa_system_sgpr_private_segment_wavefront_offset 0
		.amdhsa_system_sgpr_workgroup_id_x 1
		.amdhsa_system_sgpr_workgroup_id_y 0
		.amdhsa_system_sgpr_workgroup_id_z 0
		.amdhsa_system_sgpr_workgroup_info 0
		.amdhsa_system_vgpr_workitem_id 0
		.amdhsa_next_free_vgpr 1
		.amdhsa_next_free_sgpr 0
		.amdhsa_accum_offset 4
		.amdhsa_reserve_vcc 0
		.amdhsa_reserve_flat_scratch 0
		.amdhsa_float_round_mode_32 0
		.amdhsa_float_round_mode_16_64 0
		.amdhsa_float_denorm_mode_32 3
		.amdhsa_float_denorm_mode_16_64 3
		.amdhsa_dx10_clamp 1
		.amdhsa_ieee_mode 1
		.amdhsa_fp16_overflow 0
		.amdhsa_tg_split 0
		.amdhsa_exception_fp_ieee_invalid_op 0
		.amdhsa_exception_fp_denorm_src 0
		.amdhsa_exception_fp_ieee_div_zero 0
		.amdhsa_exception_fp_ieee_overflow 0
		.amdhsa_exception_fp_ieee_underflow 0
		.amdhsa_exception_fp_ieee_inexact 0
		.amdhsa_exception_int_div_zero 0
	.end_amdhsa_kernel
	.section	.text._ZN7rocprim17ROCPRIM_400000_NS6detail17trampoline_kernelINS0_14default_configENS1_20scan_config_selectorIyEEZZNS1_9scan_implILNS1_25lookback_scan_determinismE0ELb1ELb1ES3_N6thrust23THRUST_200600_302600_NS6detail15normal_iteratorINS9_10device_ptrIyEEEESE_yNS9_4plusIvEEyEEDaPvRmT3_T4_T5_mT6_P12ihipStream_tbENKUlT_T0_E_clISt17integral_constantIbLb1EESU_EEDaSP_SQ_EUlSP_E_NS1_11comp_targetILNS1_3genE2ELNS1_11target_archE906ELNS1_3gpuE6ELNS1_3repE0EEENS1_30default_config_static_selectorELNS0_4arch9wavefront6targetE1EEEvT1_,"axG",@progbits,_ZN7rocprim17ROCPRIM_400000_NS6detail17trampoline_kernelINS0_14default_configENS1_20scan_config_selectorIyEEZZNS1_9scan_implILNS1_25lookback_scan_determinismE0ELb1ELb1ES3_N6thrust23THRUST_200600_302600_NS6detail15normal_iteratorINS9_10device_ptrIyEEEESE_yNS9_4plusIvEEyEEDaPvRmT3_T4_T5_mT6_P12ihipStream_tbENKUlT_T0_E_clISt17integral_constantIbLb1EESU_EEDaSP_SQ_EUlSP_E_NS1_11comp_targetILNS1_3genE2ELNS1_11target_archE906ELNS1_3gpuE6ELNS1_3repE0EEENS1_30default_config_static_selectorELNS0_4arch9wavefront6targetE1EEEvT1_,comdat
.Lfunc_end4524:
	.size	_ZN7rocprim17ROCPRIM_400000_NS6detail17trampoline_kernelINS0_14default_configENS1_20scan_config_selectorIyEEZZNS1_9scan_implILNS1_25lookback_scan_determinismE0ELb1ELb1ES3_N6thrust23THRUST_200600_302600_NS6detail15normal_iteratorINS9_10device_ptrIyEEEESE_yNS9_4plusIvEEyEEDaPvRmT3_T4_T5_mT6_P12ihipStream_tbENKUlT_T0_E_clISt17integral_constantIbLb1EESU_EEDaSP_SQ_EUlSP_E_NS1_11comp_targetILNS1_3genE2ELNS1_11target_archE906ELNS1_3gpuE6ELNS1_3repE0EEENS1_30default_config_static_selectorELNS0_4arch9wavefront6targetE1EEEvT1_, .Lfunc_end4524-_ZN7rocprim17ROCPRIM_400000_NS6detail17trampoline_kernelINS0_14default_configENS1_20scan_config_selectorIyEEZZNS1_9scan_implILNS1_25lookback_scan_determinismE0ELb1ELb1ES3_N6thrust23THRUST_200600_302600_NS6detail15normal_iteratorINS9_10device_ptrIyEEEESE_yNS9_4plusIvEEyEEDaPvRmT3_T4_T5_mT6_P12ihipStream_tbENKUlT_T0_E_clISt17integral_constantIbLb1EESU_EEDaSP_SQ_EUlSP_E_NS1_11comp_targetILNS1_3genE2ELNS1_11target_archE906ELNS1_3gpuE6ELNS1_3repE0EEENS1_30default_config_static_selectorELNS0_4arch9wavefront6targetE1EEEvT1_
                                        ; -- End function
	.section	.AMDGPU.csdata,"",@progbits
; Kernel info:
; codeLenInByte = 0
; NumSgprs: 4
; NumVgprs: 0
; NumAgprs: 0
; TotalNumVgprs: 0
; ScratchSize: 0
; MemoryBound: 0
; FloatMode: 240
; IeeeMode: 1
; LDSByteSize: 0 bytes/workgroup (compile time only)
; SGPRBlocks: 0
; VGPRBlocks: 0
; NumSGPRsForWavesPerEU: 4
; NumVGPRsForWavesPerEU: 1
; AccumOffset: 4
; Occupancy: 8
; WaveLimiterHint : 0
; COMPUTE_PGM_RSRC2:SCRATCH_EN: 0
; COMPUTE_PGM_RSRC2:USER_SGPR: 6
; COMPUTE_PGM_RSRC2:TRAP_HANDLER: 0
; COMPUTE_PGM_RSRC2:TGID_X_EN: 1
; COMPUTE_PGM_RSRC2:TGID_Y_EN: 0
; COMPUTE_PGM_RSRC2:TGID_Z_EN: 0
; COMPUTE_PGM_RSRC2:TIDIG_COMP_CNT: 0
; COMPUTE_PGM_RSRC3_GFX90A:ACCUM_OFFSET: 0
; COMPUTE_PGM_RSRC3_GFX90A:TG_SPLIT: 0
	.section	.text._ZN7rocprim17ROCPRIM_400000_NS6detail17trampoline_kernelINS0_14default_configENS1_20scan_config_selectorIyEEZZNS1_9scan_implILNS1_25lookback_scan_determinismE0ELb1ELb1ES3_N6thrust23THRUST_200600_302600_NS6detail15normal_iteratorINS9_10device_ptrIyEEEESE_yNS9_4plusIvEEyEEDaPvRmT3_T4_T5_mT6_P12ihipStream_tbENKUlT_T0_E_clISt17integral_constantIbLb1EESU_EEDaSP_SQ_EUlSP_E_NS1_11comp_targetILNS1_3genE10ELNS1_11target_archE1201ELNS1_3gpuE5ELNS1_3repE0EEENS1_30default_config_static_selectorELNS0_4arch9wavefront6targetE1EEEvT1_,"axG",@progbits,_ZN7rocprim17ROCPRIM_400000_NS6detail17trampoline_kernelINS0_14default_configENS1_20scan_config_selectorIyEEZZNS1_9scan_implILNS1_25lookback_scan_determinismE0ELb1ELb1ES3_N6thrust23THRUST_200600_302600_NS6detail15normal_iteratorINS9_10device_ptrIyEEEESE_yNS9_4plusIvEEyEEDaPvRmT3_T4_T5_mT6_P12ihipStream_tbENKUlT_T0_E_clISt17integral_constantIbLb1EESU_EEDaSP_SQ_EUlSP_E_NS1_11comp_targetILNS1_3genE10ELNS1_11target_archE1201ELNS1_3gpuE5ELNS1_3repE0EEENS1_30default_config_static_selectorELNS0_4arch9wavefront6targetE1EEEvT1_,comdat
	.protected	_ZN7rocprim17ROCPRIM_400000_NS6detail17trampoline_kernelINS0_14default_configENS1_20scan_config_selectorIyEEZZNS1_9scan_implILNS1_25lookback_scan_determinismE0ELb1ELb1ES3_N6thrust23THRUST_200600_302600_NS6detail15normal_iteratorINS9_10device_ptrIyEEEESE_yNS9_4plusIvEEyEEDaPvRmT3_T4_T5_mT6_P12ihipStream_tbENKUlT_T0_E_clISt17integral_constantIbLb1EESU_EEDaSP_SQ_EUlSP_E_NS1_11comp_targetILNS1_3genE10ELNS1_11target_archE1201ELNS1_3gpuE5ELNS1_3repE0EEENS1_30default_config_static_selectorELNS0_4arch9wavefront6targetE1EEEvT1_ ; -- Begin function _ZN7rocprim17ROCPRIM_400000_NS6detail17trampoline_kernelINS0_14default_configENS1_20scan_config_selectorIyEEZZNS1_9scan_implILNS1_25lookback_scan_determinismE0ELb1ELb1ES3_N6thrust23THRUST_200600_302600_NS6detail15normal_iteratorINS9_10device_ptrIyEEEESE_yNS9_4plusIvEEyEEDaPvRmT3_T4_T5_mT6_P12ihipStream_tbENKUlT_T0_E_clISt17integral_constantIbLb1EESU_EEDaSP_SQ_EUlSP_E_NS1_11comp_targetILNS1_3genE10ELNS1_11target_archE1201ELNS1_3gpuE5ELNS1_3repE0EEENS1_30default_config_static_selectorELNS0_4arch9wavefront6targetE1EEEvT1_
	.globl	_ZN7rocprim17ROCPRIM_400000_NS6detail17trampoline_kernelINS0_14default_configENS1_20scan_config_selectorIyEEZZNS1_9scan_implILNS1_25lookback_scan_determinismE0ELb1ELb1ES3_N6thrust23THRUST_200600_302600_NS6detail15normal_iteratorINS9_10device_ptrIyEEEESE_yNS9_4plusIvEEyEEDaPvRmT3_T4_T5_mT6_P12ihipStream_tbENKUlT_T0_E_clISt17integral_constantIbLb1EESU_EEDaSP_SQ_EUlSP_E_NS1_11comp_targetILNS1_3genE10ELNS1_11target_archE1201ELNS1_3gpuE5ELNS1_3repE0EEENS1_30default_config_static_selectorELNS0_4arch9wavefront6targetE1EEEvT1_
	.p2align	8
	.type	_ZN7rocprim17ROCPRIM_400000_NS6detail17trampoline_kernelINS0_14default_configENS1_20scan_config_selectorIyEEZZNS1_9scan_implILNS1_25lookback_scan_determinismE0ELb1ELb1ES3_N6thrust23THRUST_200600_302600_NS6detail15normal_iteratorINS9_10device_ptrIyEEEESE_yNS9_4plusIvEEyEEDaPvRmT3_T4_T5_mT6_P12ihipStream_tbENKUlT_T0_E_clISt17integral_constantIbLb1EESU_EEDaSP_SQ_EUlSP_E_NS1_11comp_targetILNS1_3genE10ELNS1_11target_archE1201ELNS1_3gpuE5ELNS1_3repE0EEENS1_30default_config_static_selectorELNS0_4arch9wavefront6targetE1EEEvT1_,@function
_ZN7rocprim17ROCPRIM_400000_NS6detail17trampoline_kernelINS0_14default_configENS1_20scan_config_selectorIyEEZZNS1_9scan_implILNS1_25lookback_scan_determinismE0ELb1ELb1ES3_N6thrust23THRUST_200600_302600_NS6detail15normal_iteratorINS9_10device_ptrIyEEEESE_yNS9_4plusIvEEyEEDaPvRmT3_T4_T5_mT6_P12ihipStream_tbENKUlT_T0_E_clISt17integral_constantIbLb1EESU_EEDaSP_SQ_EUlSP_E_NS1_11comp_targetILNS1_3genE10ELNS1_11target_archE1201ELNS1_3gpuE5ELNS1_3repE0EEENS1_30default_config_static_selectorELNS0_4arch9wavefront6targetE1EEEvT1_: ; @_ZN7rocprim17ROCPRIM_400000_NS6detail17trampoline_kernelINS0_14default_configENS1_20scan_config_selectorIyEEZZNS1_9scan_implILNS1_25lookback_scan_determinismE0ELb1ELb1ES3_N6thrust23THRUST_200600_302600_NS6detail15normal_iteratorINS9_10device_ptrIyEEEESE_yNS9_4plusIvEEyEEDaPvRmT3_T4_T5_mT6_P12ihipStream_tbENKUlT_T0_E_clISt17integral_constantIbLb1EESU_EEDaSP_SQ_EUlSP_E_NS1_11comp_targetILNS1_3genE10ELNS1_11target_archE1201ELNS1_3gpuE5ELNS1_3repE0EEENS1_30default_config_static_selectorELNS0_4arch9wavefront6targetE1EEEvT1_
; %bb.0:
	.section	.rodata,"a",@progbits
	.p2align	6, 0x0
	.amdhsa_kernel _ZN7rocprim17ROCPRIM_400000_NS6detail17trampoline_kernelINS0_14default_configENS1_20scan_config_selectorIyEEZZNS1_9scan_implILNS1_25lookback_scan_determinismE0ELb1ELb1ES3_N6thrust23THRUST_200600_302600_NS6detail15normal_iteratorINS9_10device_ptrIyEEEESE_yNS9_4plusIvEEyEEDaPvRmT3_T4_T5_mT6_P12ihipStream_tbENKUlT_T0_E_clISt17integral_constantIbLb1EESU_EEDaSP_SQ_EUlSP_E_NS1_11comp_targetILNS1_3genE10ELNS1_11target_archE1201ELNS1_3gpuE5ELNS1_3repE0EEENS1_30default_config_static_selectorELNS0_4arch9wavefront6targetE1EEEvT1_
		.amdhsa_group_segment_fixed_size 0
		.amdhsa_private_segment_fixed_size 0
		.amdhsa_kernarg_size 104
		.amdhsa_user_sgpr_count 6
		.amdhsa_user_sgpr_private_segment_buffer 1
		.amdhsa_user_sgpr_dispatch_ptr 0
		.amdhsa_user_sgpr_queue_ptr 0
		.amdhsa_user_sgpr_kernarg_segment_ptr 1
		.amdhsa_user_sgpr_dispatch_id 0
		.amdhsa_user_sgpr_flat_scratch_init 0
		.amdhsa_user_sgpr_kernarg_preload_length 0
		.amdhsa_user_sgpr_kernarg_preload_offset 0
		.amdhsa_user_sgpr_private_segment_size 0
		.amdhsa_uses_dynamic_stack 0
		.amdhsa_system_sgpr_private_segment_wavefront_offset 0
		.amdhsa_system_sgpr_workgroup_id_x 1
		.amdhsa_system_sgpr_workgroup_id_y 0
		.amdhsa_system_sgpr_workgroup_id_z 0
		.amdhsa_system_sgpr_workgroup_info 0
		.amdhsa_system_vgpr_workitem_id 0
		.amdhsa_next_free_vgpr 1
		.amdhsa_next_free_sgpr 0
		.amdhsa_accum_offset 4
		.amdhsa_reserve_vcc 0
		.amdhsa_reserve_flat_scratch 0
		.amdhsa_float_round_mode_32 0
		.amdhsa_float_round_mode_16_64 0
		.amdhsa_float_denorm_mode_32 3
		.amdhsa_float_denorm_mode_16_64 3
		.amdhsa_dx10_clamp 1
		.amdhsa_ieee_mode 1
		.amdhsa_fp16_overflow 0
		.amdhsa_tg_split 0
		.amdhsa_exception_fp_ieee_invalid_op 0
		.amdhsa_exception_fp_denorm_src 0
		.amdhsa_exception_fp_ieee_div_zero 0
		.amdhsa_exception_fp_ieee_overflow 0
		.amdhsa_exception_fp_ieee_underflow 0
		.amdhsa_exception_fp_ieee_inexact 0
		.amdhsa_exception_int_div_zero 0
	.end_amdhsa_kernel
	.section	.text._ZN7rocprim17ROCPRIM_400000_NS6detail17trampoline_kernelINS0_14default_configENS1_20scan_config_selectorIyEEZZNS1_9scan_implILNS1_25lookback_scan_determinismE0ELb1ELb1ES3_N6thrust23THRUST_200600_302600_NS6detail15normal_iteratorINS9_10device_ptrIyEEEESE_yNS9_4plusIvEEyEEDaPvRmT3_T4_T5_mT6_P12ihipStream_tbENKUlT_T0_E_clISt17integral_constantIbLb1EESU_EEDaSP_SQ_EUlSP_E_NS1_11comp_targetILNS1_3genE10ELNS1_11target_archE1201ELNS1_3gpuE5ELNS1_3repE0EEENS1_30default_config_static_selectorELNS0_4arch9wavefront6targetE1EEEvT1_,"axG",@progbits,_ZN7rocprim17ROCPRIM_400000_NS6detail17trampoline_kernelINS0_14default_configENS1_20scan_config_selectorIyEEZZNS1_9scan_implILNS1_25lookback_scan_determinismE0ELb1ELb1ES3_N6thrust23THRUST_200600_302600_NS6detail15normal_iteratorINS9_10device_ptrIyEEEESE_yNS9_4plusIvEEyEEDaPvRmT3_T4_T5_mT6_P12ihipStream_tbENKUlT_T0_E_clISt17integral_constantIbLb1EESU_EEDaSP_SQ_EUlSP_E_NS1_11comp_targetILNS1_3genE10ELNS1_11target_archE1201ELNS1_3gpuE5ELNS1_3repE0EEENS1_30default_config_static_selectorELNS0_4arch9wavefront6targetE1EEEvT1_,comdat
.Lfunc_end4525:
	.size	_ZN7rocprim17ROCPRIM_400000_NS6detail17trampoline_kernelINS0_14default_configENS1_20scan_config_selectorIyEEZZNS1_9scan_implILNS1_25lookback_scan_determinismE0ELb1ELb1ES3_N6thrust23THRUST_200600_302600_NS6detail15normal_iteratorINS9_10device_ptrIyEEEESE_yNS9_4plusIvEEyEEDaPvRmT3_T4_T5_mT6_P12ihipStream_tbENKUlT_T0_E_clISt17integral_constantIbLb1EESU_EEDaSP_SQ_EUlSP_E_NS1_11comp_targetILNS1_3genE10ELNS1_11target_archE1201ELNS1_3gpuE5ELNS1_3repE0EEENS1_30default_config_static_selectorELNS0_4arch9wavefront6targetE1EEEvT1_, .Lfunc_end4525-_ZN7rocprim17ROCPRIM_400000_NS6detail17trampoline_kernelINS0_14default_configENS1_20scan_config_selectorIyEEZZNS1_9scan_implILNS1_25lookback_scan_determinismE0ELb1ELb1ES3_N6thrust23THRUST_200600_302600_NS6detail15normal_iteratorINS9_10device_ptrIyEEEESE_yNS9_4plusIvEEyEEDaPvRmT3_T4_T5_mT6_P12ihipStream_tbENKUlT_T0_E_clISt17integral_constantIbLb1EESU_EEDaSP_SQ_EUlSP_E_NS1_11comp_targetILNS1_3genE10ELNS1_11target_archE1201ELNS1_3gpuE5ELNS1_3repE0EEENS1_30default_config_static_selectorELNS0_4arch9wavefront6targetE1EEEvT1_
                                        ; -- End function
	.section	.AMDGPU.csdata,"",@progbits
; Kernel info:
; codeLenInByte = 0
; NumSgprs: 4
; NumVgprs: 0
; NumAgprs: 0
; TotalNumVgprs: 0
; ScratchSize: 0
; MemoryBound: 0
; FloatMode: 240
; IeeeMode: 1
; LDSByteSize: 0 bytes/workgroup (compile time only)
; SGPRBlocks: 0
; VGPRBlocks: 0
; NumSGPRsForWavesPerEU: 4
; NumVGPRsForWavesPerEU: 1
; AccumOffset: 4
; Occupancy: 8
; WaveLimiterHint : 0
; COMPUTE_PGM_RSRC2:SCRATCH_EN: 0
; COMPUTE_PGM_RSRC2:USER_SGPR: 6
; COMPUTE_PGM_RSRC2:TRAP_HANDLER: 0
; COMPUTE_PGM_RSRC2:TGID_X_EN: 1
; COMPUTE_PGM_RSRC2:TGID_Y_EN: 0
; COMPUTE_PGM_RSRC2:TGID_Z_EN: 0
; COMPUTE_PGM_RSRC2:TIDIG_COMP_CNT: 0
; COMPUTE_PGM_RSRC3_GFX90A:ACCUM_OFFSET: 0
; COMPUTE_PGM_RSRC3_GFX90A:TG_SPLIT: 0
	.section	.text._ZN7rocprim17ROCPRIM_400000_NS6detail17trampoline_kernelINS0_14default_configENS1_20scan_config_selectorIyEEZZNS1_9scan_implILNS1_25lookback_scan_determinismE0ELb1ELb1ES3_N6thrust23THRUST_200600_302600_NS6detail15normal_iteratorINS9_10device_ptrIyEEEESE_yNS9_4plusIvEEyEEDaPvRmT3_T4_T5_mT6_P12ihipStream_tbENKUlT_T0_E_clISt17integral_constantIbLb1EESU_EEDaSP_SQ_EUlSP_E_NS1_11comp_targetILNS1_3genE10ELNS1_11target_archE1200ELNS1_3gpuE4ELNS1_3repE0EEENS1_30default_config_static_selectorELNS0_4arch9wavefront6targetE1EEEvT1_,"axG",@progbits,_ZN7rocprim17ROCPRIM_400000_NS6detail17trampoline_kernelINS0_14default_configENS1_20scan_config_selectorIyEEZZNS1_9scan_implILNS1_25lookback_scan_determinismE0ELb1ELb1ES3_N6thrust23THRUST_200600_302600_NS6detail15normal_iteratorINS9_10device_ptrIyEEEESE_yNS9_4plusIvEEyEEDaPvRmT3_T4_T5_mT6_P12ihipStream_tbENKUlT_T0_E_clISt17integral_constantIbLb1EESU_EEDaSP_SQ_EUlSP_E_NS1_11comp_targetILNS1_3genE10ELNS1_11target_archE1200ELNS1_3gpuE4ELNS1_3repE0EEENS1_30default_config_static_selectorELNS0_4arch9wavefront6targetE1EEEvT1_,comdat
	.protected	_ZN7rocprim17ROCPRIM_400000_NS6detail17trampoline_kernelINS0_14default_configENS1_20scan_config_selectorIyEEZZNS1_9scan_implILNS1_25lookback_scan_determinismE0ELb1ELb1ES3_N6thrust23THRUST_200600_302600_NS6detail15normal_iteratorINS9_10device_ptrIyEEEESE_yNS9_4plusIvEEyEEDaPvRmT3_T4_T5_mT6_P12ihipStream_tbENKUlT_T0_E_clISt17integral_constantIbLb1EESU_EEDaSP_SQ_EUlSP_E_NS1_11comp_targetILNS1_3genE10ELNS1_11target_archE1200ELNS1_3gpuE4ELNS1_3repE0EEENS1_30default_config_static_selectorELNS0_4arch9wavefront6targetE1EEEvT1_ ; -- Begin function _ZN7rocprim17ROCPRIM_400000_NS6detail17trampoline_kernelINS0_14default_configENS1_20scan_config_selectorIyEEZZNS1_9scan_implILNS1_25lookback_scan_determinismE0ELb1ELb1ES3_N6thrust23THRUST_200600_302600_NS6detail15normal_iteratorINS9_10device_ptrIyEEEESE_yNS9_4plusIvEEyEEDaPvRmT3_T4_T5_mT6_P12ihipStream_tbENKUlT_T0_E_clISt17integral_constantIbLb1EESU_EEDaSP_SQ_EUlSP_E_NS1_11comp_targetILNS1_3genE10ELNS1_11target_archE1200ELNS1_3gpuE4ELNS1_3repE0EEENS1_30default_config_static_selectorELNS0_4arch9wavefront6targetE1EEEvT1_
	.globl	_ZN7rocprim17ROCPRIM_400000_NS6detail17trampoline_kernelINS0_14default_configENS1_20scan_config_selectorIyEEZZNS1_9scan_implILNS1_25lookback_scan_determinismE0ELb1ELb1ES3_N6thrust23THRUST_200600_302600_NS6detail15normal_iteratorINS9_10device_ptrIyEEEESE_yNS9_4plusIvEEyEEDaPvRmT3_T4_T5_mT6_P12ihipStream_tbENKUlT_T0_E_clISt17integral_constantIbLb1EESU_EEDaSP_SQ_EUlSP_E_NS1_11comp_targetILNS1_3genE10ELNS1_11target_archE1200ELNS1_3gpuE4ELNS1_3repE0EEENS1_30default_config_static_selectorELNS0_4arch9wavefront6targetE1EEEvT1_
	.p2align	8
	.type	_ZN7rocprim17ROCPRIM_400000_NS6detail17trampoline_kernelINS0_14default_configENS1_20scan_config_selectorIyEEZZNS1_9scan_implILNS1_25lookback_scan_determinismE0ELb1ELb1ES3_N6thrust23THRUST_200600_302600_NS6detail15normal_iteratorINS9_10device_ptrIyEEEESE_yNS9_4plusIvEEyEEDaPvRmT3_T4_T5_mT6_P12ihipStream_tbENKUlT_T0_E_clISt17integral_constantIbLb1EESU_EEDaSP_SQ_EUlSP_E_NS1_11comp_targetILNS1_3genE10ELNS1_11target_archE1200ELNS1_3gpuE4ELNS1_3repE0EEENS1_30default_config_static_selectorELNS0_4arch9wavefront6targetE1EEEvT1_,@function
_ZN7rocprim17ROCPRIM_400000_NS6detail17trampoline_kernelINS0_14default_configENS1_20scan_config_selectorIyEEZZNS1_9scan_implILNS1_25lookback_scan_determinismE0ELb1ELb1ES3_N6thrust23THRUST_200600_302600_NS6detail15normal_iteratorINS9_10device_ptrIyEEEESE_yNS9_4plusIvEEyEEDaPvRmT3_T4_T5_mT6_P12ihipStream_tbENKUlT_T0_E_clISt17integral_constantIbLb1EESU_EEDaSP_SQ_EUlSP_E_NS1_11comp_targetILNS1_3genE10ELNS1_11target_archE1200ELNS1_3gpuE4ELNS1_3repE0EEENS1_30default_config_static_selectorELNS0_4arch9wavefront6targetE1EEEvT1_: ; @_ZN7rocprim17ROCPRIM_400000_NS6detail17trampoline_kernelINS0_14default_configENS1_20scan_config_selectorIyEEZZNS1_9scan_implILNS1_25lookback_scan_determinismE0ELb1ELb1ES3_N6thrust23THRUST_200600_302600_NS6detail15normal_iteratorINS9_10device_ptrIyEEEESE_yNS9_4plusIvEEyEEDaPvRmT3_T4_T5_mT6_P12ihipStream_tbENKUlT_T0_E_clISt17integral_constantIbLb1EESU_EEDaSP_SQ_EUlSP_E_NS1_11comp_targetILNS1_3genE10ELNS1_11target_archE1200ELNS1_3gpuE4ELNS1_3repE0EEENS1_30default_config_static_selectorELNS0_4arch9wavefront6targetE1EEEvT1_
; %bb.0:
	.section	.rodata,"a",@progbits
	.p2align	6, 0x0
	.amdhsa_kernel _ZN7rocprim17ROCPRIM_400000_NS6detail17trampoline_kernelINS0_14default_configENS1_20scan_config_selectorIyEEZZNS1_9scan_implILNS1_25lookback_scan_determinismE0ELb1ELb1ES3_N6thrust23THRUST_200600_302600_NS6detail15normal_iteratorINS9_10device_ptrIyEEEESE_yNS9_4plusIvEEyEEDaPvRmT3_T4_T5_mT6_P12ihipStream_tbENKUlT_T0_E_clISt17integral_constantIbLb1EESU_EEDaSP_SQ_EUlSP_E_NS1_11comp_targetILNS1_3genE10ELNS1_11target_archE1200ELNS1_3gpuE4ELNS1_3repE0EEENS1_30default_config_static_selectorELNS0_4arch9wavefront6targetE1EEEvT1_
		.amdhsa_group_segment_fixed_size 0
		.amdhsa_private_segment_fixed_size 0
		.amdhsa_kernarg_size 104
		.amdhsa_user_sgpr_count 6
		.amdhsa_user_sgpr_private_segment_buffer 1
		.amdhsa_user_sgpr_dispatch_ptr 0
		.amdhsa_user_sgpr_queue_ptr 0
		.amdhsa_user_sgpr_kernarg_segment_ptr 1
		.amdhsa_user_sgpr_dispatch_id 0
		.amdhsa_user_sgpr_flat_scratch_init 0
		.amdhsa_user_sgpr_kernarg_preload_length 0
		.amdhsa_user_sgpr_kernarg_preload_offset 0
		.amdhsa_user_sgpr_private_segment_size 0
		.amdhsa_uses_dynamic_stack 0
		.amdhsa_system_sgpr_private_segment_wavefront_offset 0
		.amdhsa_system_sgpr_workgroup_id_x 1
		.amdhsa_system_sgpr_workgroup_id_y 0
		.amdhsa_system_sgpr_workgroup_id_z 0
		.amdhsa_system_sgpr_workgroup_info 0
		.amdhsa_system_vgpr_workitem_id 0
		.amdhsa_next_free_vgpr 1
		.amdhsa_next_free_sgpr 0
		.amdhsa_accum_offset 4
		.amdhsa_reserve_vcc 0
		.amdhsa_reserve_flat_scratch 0
		.amdhsa_float_round_mode_32 0
		.amdhsa_float_round_mode_16_64 0
		.amdhsa_float_denorm_mode_32 3
		.amdhsa_float_denorm_mode_16_64 3
		.amdhsa_dx10_clamp 1
		.amdhsa_ieee_mode 1
		.amdhsa_fp16_overflow 0
		.amdhsa_tg_split 0
		.amdhsa_exception_fp_ieee_invalid_op 0
		.amdhsa_exception_fp_denorm_src 0
		.amdhsa_exception_fp_ieee_div_zero 0
		.amdhsa_exception_fp_ieee_overflow 0
		.amdhsa_exception_fp_ieee_underflow 0
		.amdhsa_exception_fp_ieee_inexact 0
		.amdhsa_exception_int_div_zero 0
	.end_amdhsa_kernel
	.section	.text._ZN7rocprim17ROCPRIM_400000_NS6detail17trampoline_kernelINS0_14default_configENS1_20scan_config_selectorIyEEZZNS1_9scan_implILNS1_25lookback_scan_determinismE0ELb1ELb1ES3_N6thrust23THRUST_200600_302600_NS6detail15normal_iteratorINS9_10device_ptrIyEEEESE_yNS9_4plusIvEEyEEDaPvRmT3_T4_T5_mT6_P12ihipStream_tbENKUlT_T0_E_clISt17integral_constantIbLb1EESU_EEDaSP_SQ_EUlSP_E_NS1_11comp_targetILNS1_3genE10ELNS1_11target_archE1200ELNS1_3gpuE4ELNS1_3repE0EEENS1_30default_config_static_selectorELNS0_4arch9wavefront6targetE1EEEvT1_,"axG",@progbits,_ZN7rocprim17ROCPRIM_400000_NS6detail17trampoline_kernelINS0_14default_configENS1_20scan_config_selectorIyEEZZNS1_9scan_implILNS1_25lookback_scan_determinismE0ELb1ELb1ES3_N6thrust23THRUST_200600_302600_NS6detail15normal_iteratorINS9_10device_ptrIyEEEESE_yNS9_4plusIvEEyEEDaPvRmT3_T4_T5_mT6_P12ihipStream_tbENKUlT_T0_E_clISt17integral_constantIbLb1EESU_EEDaSP_SQ_EUlSP_E_NS1_11comp_targetILNS1_3genE10ELNS1_11target_archE1200ELNS1_3gpuE4ELNS1_3repE0EEENS1_30default_config_static_selectorELNS0_4arch9wavefront6targetE1EEEvT1_,comdat
.Lfunc_end4526:
	.size	_ZN7rocprim17ROCPRIM_400000_NS6detail17trampoline_kernelINS0_14default_configENS1_20scan_config_selectorIyEEZZNS1_9scan_implILNS1_25lookback_scan_determinismE0ELb1ELb1ES3_N6thrust23THRUST_200600_302600_NS6detail15normal_iteratorINS9_10device_ptrIyEEEESE_yNS9_4plusIvEEyEEDaPvRmT3_T4_T5_mT6_P12ihipStream_tbENKUlT_T0_E_clISt17integral_constantIbLb1EESU_EEDaSP_SQ_EUlSP_E_NS1_11comp_targetILNS1_3genE10ELNS1_11target_archE1200ELNS1_3gpuE4ELNS1_3repE0EEENS1_30default_config_static_selectorELNS0_4arch9wavefront6targetE1EEEvT1_, .Lfunc_end4526-_ZN7rocprim17ROCPRIM_400000_NS6detail17trampoline_kernelINS0_14default_configENS1_20scan_config_selectorIyEEZZNS1_9scan_implILNS1_25lookback_scan_determinismE0ELb1ELb1ES3_N6thrust23THRUST_200600_302600_NS6detail15normal_iteratorINS9_10device_ptrIyEEEESE_yNS9_4plusIvEEyEEDaPvRmT3_T4_T5_mT6_P12ihipStream_tbENKUlT_T0_E_clISt17integral_constantIbLb1EESU_EEDaSP_SQ_EUlSP_E_NS1_11comp_targetILNS1_3genE10ELNS1_11target_archE1200ELNS1_3gpuE4ELNS1_3repE0EEENS1_30default_config_static_selectorELNS0_4arch9wavefront6targetE1EEEvT1_
                                        ; -- End function
	.section	.AMDGPU.csdata,"",@progbits
; Kernel info:
; codeLenInByte = 0
; NumSgprs: 4
; NumVgprs: 0
; NumAgprs: 0
; TotalNumVgprs: 0
; ScratchSize: 0
; MemoryBound: 0
; FloatMode: 240
; IeeeMode: 1
; LDSByteSize: 0 bytes/workgroup (compile time only)
; SGPRBlocks: 0
; VGPRBlocks: 0
; NumSGPRsForWavesPerEU: 4
; NumVGPRsForWavesPerEU: 1
; AccumOffset: 4
; Occupancy: 8
; WaveLimiterHint : 0
; COMPUTE_PGM_RSRC2:SCRATCH_EN: 0
; COMPUTE_PGM_RSRC2:USER_SGPR: 6
; COMPUTE_PGM_RSRC2:TRAP_HANDLER: 0
; COMPUTE_PGM_RSRC2:TGID_X_EN: 1
; COMPUTE_PGM_RSRC2:TGID_Y_EN: 0
; COMPUTE_PGM_RSRC2:TGID_Z_EN: 0
; COMPUTE_PGM_RSRC2:TIDIG_COMP_CNT: 0
; COMPUTE_PGM_RSRC3_GFX90A:ACCUM_OFFSET: 0
; COMPUTE_PGM_RSRC3_GFX90A:TG_SPLIT: 0
	.section	.text._ZN7rocprim17ROCPRIM_400000_NS6detail17trampoline_kernelINS0_14default_configENS1_20scan_config_selectorIyEEZZNS1_9scan_implILNS1_25lookback_scan_determinismE0ELb1ELb1ES3_N6thrust23THRUST_200600_302600_NS6detail15normal_iteratorINS9_10device_ptrIyEEEESE_yNS9_4plusIvEEyEEDaPvRmT3_T4_T5_mT6_P12ihipStream_tbENKUlT_T0_E_clISt17integral_constantIbLb1EESU_EEDaSP_SQ_EUlSP_E_NS1_11comp_targetILNS1_3genE9ELNS1_11target_archE1100ELNS1_3gpuE3ELNS1_3repE0EEENS1_30default_config_static_selectorELNS0_4arch9wavefront6targetE1EEEvT1_,"axG",@progbits,_ZN7rocprim17ROCPRIM_400000_NS6detail17trampoline_kernelINS0_14default_configENS1_20scan_config_selectorIyEEZZNS1_9scan_implILNS1_25lookback_scan_determinismE0ELb1ELb1ES3_N6thrust23THRUST_200600_302600_NS6detail15normal_iteratorINS9_10device_ptrIyEEEESE_yNS9_4plusIvEEyEEDaPvRmT3_T4_T5_mT6_P12ihipStream_tbENKUlT_T0_E_clISt17integral_constantIbLb1EESU_EEDaSP_SQ_EUlSP_E_NS1_11comp_targetILNS1_3genE9ELNS1_11target_archE1100ELNS1_3gpuE3ELNS1_3repE0EEENS1_30default_config_static_selectorELNS0_4arch9wavefront6targetE1EEEvT1_,comdat
	.protected	_ZN7rocprim17ROCPRIM_400000_NS6detail17trampoline_kernelINS0_14default_configENS1_20scan_config_selectorIyEEZZNS1_9scan_implILNS1_25lookback_scan_determinismE0ELb1ELb1ES3_N6thrust23THRUST_200600_302600_NS6detail15normal_iteratorINS9_10device_ptrIyEEEESE_yNS9_4plusIvEEyEEDaPvRmT3_T4_T5_mT6_P12ihipStream_tbENKUlT_T0_E_clISt17integral_constantIbLb1EESU_EEDaSP_SQ_EUlSP_E_NS1_11comp_targetILNS1_3genE9ELNS1_11target_archE1100ELNS1_3gpuE3ELNS1_3repE0EEENS1_30default_config_static_selectorELNS0_4arch9wavefront6targetE1EEEvT1_ ; -- Begin function _ZN7rocprim17ROCPRIM_400000_NS6detail17trampoline_kernelINS0_14default_configENS1_20scan_config_selectorIyEEZZNS1_9scan_implILNS1_25lookback_scan_determinismE0ELb1ELb1ES3_N6thrust23THRUST_200600_302600_NS6detail15normal_iteratorINS9_10device_ptrIyEEEESE_yNS9_4plusIvEEyEEDaPvRmT3_T4_T5_mT6_P12ihipStream_tbENKUlT_T0_E_clISt17integral_constantIbLb1EESU_EEDaSP_SQ_EUlSP_E_NS1_11comp_targetILNS1_3genE9ELNS1_11target_archE1100ELNS1_3gpuE3ELNS1_3repE0EEENS1_30default_config_static_selectorELNS0_4arch9wavefront6targetE1EEEvT1_
	.globl	_ZN7rocprim17ROCPRIM_400000_NS6detail17trampoline_kernelINS0_14default_configENS1_20scan_config_selectorIyEEZZNS1_9scan_implILNS1_25lookback_scan_determinismE0ELb1ELb1ES3_N6thrust23THRUST_200600_302600_NS6detail15normal_iteratorINS9_10device_ptrIyEEEESE_yNS9_4plusIvEEyEEDaPvRmT3_T4_T5_mT6_P12ihipStream_tbENKUlT_T0_E_clISt17integral_constantIbLb1EESU_EEDaSP_SQ_EUlSP_E_NS1_11comp_targetILNS1_3genE9ELNS1_11target_archE1100ELNS1_3gpuE3ELNS1_3repE0EEENS1_30default_config_static_selectorELNS0_4arch9wavefront6targetE1EEEvT1_
	.p2align	8
	.type	_ZN7rocprim17ROCPRIM_400000_NS6detail17trampoline_kernelINS0_14default_configENS1_20scan_config_selectorIyEEZZNS1_9scan_implILNS1_25lookback_scan_determinismE0ELb1ELb1ES3_N6thrust23THRUST_200600_302600_NS6detail15normal_iteratorINS9_10device_ptrIyEEEESE_yNS9_4plusIvEEyEEDaPvRmT3_T4_T5_mT6_P12ihipStream_tbENKUlT_T0_E_clISt17integral_constantIbLb1EESU_EEDaSP_SQ_EUlSP_E_NS1_11comp_targetILNS1_3genE9ELNS1_11target_archE1100ELNS1_3gpuE3ELNS1_3repE0EEENS1_30default_config_static_selectorELNS0_4arch9wavefront6targetE1EEEvT1_,@function
_ZN7rocprim17ROCPRIM_400000_NS6detail17trampoline_kernelINS0_14default_configENS1_20scan_config_selectorIyEEZZNS1_9scan_implILNS1_25lookback_scan_determinismE0ELb1ELb1ES3_N6thrust23THRUST_200600_302600_NS6detail15normal_iteratorINS9_10device_ptrIyEEEESE_yNS9_4plusIvEEyEEDaPvRmT3_T4_T5_mT6_P12ihipStream_tbENKUlT_T0_E_clISt17integral_constantIbLb1EESU_EEDaSP_SQ_EUlSP_E_NS1_11comp_targetILNS1_3genE9ELNS1_11target_archE1100ELNS1_3gpuE3ELNS1_3repE0EEENS1_30default_config_static_selectorELNS0_4arch9wavefront6targetE1EEEvT1_: ; @_ZN7rocprim17ROCPRIM_400000_NS6detail17trampoline_kernelINS0_14default_configENS1_20scan_config_selectorIyEEZZNS1_9scan_implILNS1_25lookback_scan_determinismE0ELb1ELb1ES3_N6thrust23THRUST_200600_302600_NS6detail15normal_iteratorINS9_10device_ptrIyEEEESE_yNS9_4plusIvEEyEEDaPvRmT3_T4_T5_mT6_P12ihipStream_tbENKUlT_T0_E_clISt17integral_constantIbLb1EESU_EEDaSP_SQ_EUlSP_E_NS1_11comp_targetILNS1_3genE9ELNS1_11target_archE1100ELNS1_3gpuE3ELNS1_3repE0EEENS1_30default_config_static_selectorELNS0_4arch9wavefront6targetE1EEEvT1_
; %bb.0:
	.section	.rodata,"a",@progbits
	.p2align	6, 0x0
	.amdhsa_kernel _ZN7rocprim17ROCPRIM_400000_NS6detail17trampoline_kernelINS0_14default_configENS1_20scan_config_selectorIyEEZZNS1_9scan_implILNS1_25lookback_scan_determinismE0ELb1ELb1ES3_N6thrust23THRUST_200600_302600_NS6detail15normal_iteratorINS9_10device_ptrIyEEEESE_yNS9_4plusIvEEyEEDaPvRmT3_T4_T5_mT6_P12ihipStream_tbENKUlT_T0_E_clISt17integral_constantIbLb1EESU_EEDaSP_SQ_EUlSP_E_NS1_11comp_targetILNS1_3genE9ELNS1_11target_archE1100ELNS1_3gpuE3ELNS1_3repE0EEENS1_30default_config_static_selectorELNS0_4arch9wavefront6targetE1EEEvT1_
		.amdhsa_group_segment_fixed_size 0
		.amdhsa_private_segment_fixed_size 0
		.amdhsa_kernarg_size 104
		.amdhsa_user_sgpr_count 6
		.amdhsa_user_sgpr_private_segment_buffer 1
		.amdhsa_user_sgpr_dispatch_ptr 0
		.amdhsa_user_sgpr_queue_ptr 0
		.amdhsa_user_sgpr_kernarg_segment_ptr 1
		.amdhsa_user_sgpr_dispatch_id 0
		.amdhsa_user_sgpr_flat_scratch_init 0
		.amdhsa_user_sgpr_kernarg_preload_length 0
		.amdhsa_user_sgpr_kernarg_preload_offset 0
		.amdhsa_user_sgpr_private_segment_size 0
		.amdhsa_uses_dynamic_stack 0
		.amdhsa_system_sgpr_private_segment_wavefront_offset 0
		.amdhsa_system_sgpr_workgroup_id_x 1
		.amdhsa_system_sgpr_workgroup_id_y 0
		.amdhsa_system_sgpr_workgroup_id_z 0
		.amdhsa_system_sgpr_workgroup_info 0
		.amdhsa_system_vgpr_workitem_id 0
		.amdhsa_next_free_vgpr 1
		.amdhsa_next_free_sgpr 0
		.amdhsa_accum_offset 4
		.amdhsa_reserve_vcc 0
		.amdhsa_reserve_flat_scratch 0
		.amdhsa_float_round_mode_32 0
		.amdhsa_float_round_mode_16_64 0
		.amdhsa_float_denorm_mode_32 3
		.amdhsa_float_denorm_mode_16_64 3
		.amdhsa_dx10_clamp 1
		.amdhsa_ieee_mode 1
		.amdhsa_fp16_overflow 0
		.amdhsa_tg_split 0
		.amdhsa_exception_fp_ieee_invalid_op 0
		.amdhsa_exception_fp_denorm_src 0
		.amdhsa_exception_fp_ieee_div_zero 0
		.amdhsa_exception_fp_ieee_overflow 0
		.amdhsa_exception_fp_ieee_underflow 0
		.amdhsa_exception_fp_ieee_inexact 0
		.amdhsa_exception_int_div_zero 0
	.end_amdhsa_kernel
	.section	.text._ZN7rocprim17ROCPRIM_400000_NS6detail17trampoline_kernelINS0_14default_configENS1_20scan_config_selectorIyEEZZNS1_9scan_implILNS1_25lookback_scan_determinismE0ELb1ELb1ES3_N6thrust23THRUST_200600_302600_NS6detail15normal_iteratorINS9_10device_ptrIyEEEESE_yNS9_4plusIvEEyEEDaPvRmT3_T4_T5_mT6_P12ihipStream_tbENKUlT_T0_E_clISt17integral_constantIbLb1EESU_EEDaSP_SQ_EUlSP_E_NS1_11comp_targetILNS1_3genE9ELNS1_11target_archE1100ELNS1_3gpuE3ELNS1_3repE0EEENS1_30default_config_static_selectorELNS0_4arch9wavefront6targetE1EEEvT1_,"axG",@progbits,_ZN7rocprim17ROCPRIM_400000_NS6detail17trampoline_kernelINS0_14default_configENS1_20scan_config_selectorIyEEZZNS1_9scan_implILNS1_25lookback_scan_determinismE0ELb1ELb1ES3_N6thrust23THRUST_200600_302600_NS6detail15normal_iteratorINS9_10device_ptrIyEEEESE_yNS9_4plusIvEEyEEDaPvRmT3_T4_T5_mT6_P12ihipStream_tbENKUlT_T0_E_clISt17integral_constantIbLb1EESU_EEDaSP_SQ_EUlSP_E_NS1_11comp_targetILNS1_3genE9ELNS1_11target_archE1100ELNS1_3gpuE3ELNS1_3repE0EEENS1_30default_config_static_selectorELNS0_4arch9wavefront6targetE1EEEvT1_,comdat
.Lfunc_end4527:
	.size	_ZN7rocprim17ROCPRIM_400000_NS6detail17trampoline_kernelINS0_14default_configENS1_20scan_config_selectorIyEEZZNS1_9scan_implILNS1_25lookback_scan_determinismE0ELb1ELb1ES3_N6thrust23THRUST_200600_302600_NS6detail15normal_iteratorINS9_10device_ptrIyEEEESE_yNS9_4plusIvEEyEEDaPvRmT3_T4_T5_mT6_P12ihipStream_tbENKUlT_T0_E_clISt17integral_constantIbLb1EESU_EEDaSP_SQ_EUlSP_E_NS1_11comp_targetILNS1_3genE9ELNS1_11target_archE1100ELNS1_3gpuE3ELNS1_3repE0EEENS1_30default_config_static_selectorELNS0_4arch9wavefront6targetE1EEEvT1_, .Lfunc_end4527-_ZN7rocprim17ROCPRIM_400000_NS6detail17trampoline_kernelINS0_14default_configENS1_20scan_config_selectorIyEEZZNS1_9scan_implILNS1_25lookback_scan_determinismE0ELb1ELb1ES3_N6thrust23THRUST_200600_302600_NS6detail15normal_iteratorINS9_10device_ptrIyEEEESE_yNS9_4plusIvEEyEEDaPvRmT3_T4_T5_mT6_P12ihipStream_tbENKUlT_T0_E_clISt17integral_constantIbLb1EESU_EEDaSP_SQ_EUlSP_E_NS1_11comp_targetILNS1_3genE9ELNS1_11target_archE1100ELNS1_3gpuE3ELNS1_3repE0EEENS1_30default_config_static_selectorELNS0_4arch9wavefront6targetE1EEEvT1_
                                        ; -- End function
	.section	.AMDGPU.csdata,"",@progbits
; Kernel info:
; codeLenInByte = 0
; NumSgprs: 4
; NumVgprs: 0
; NumAgprs: 0
; TotalNumVgprs: 0
; ScratchSize: 0
; MemoryBound: 0
; FloatMode: 240
; IeeeMode: 1
; LDSByteSize: 0 bytes/workgroup (compile time only)
; SGPRBlocks: 0
; VGPRBlocks: 0
; NumSGPRsForWavesPerEU: 4
; NumVGPRsForWavesPerEU: 1
; AccumOffset: 4
; Occupancy: 8
; WaveLimiterHint : 0
; COMPUTE_PGM_RSRC2:SCRATCH_EN: 0
; COMPUTE_PGM_RSRC2:USER_SGPR: 6
; COMPUTE_PGM_RSRC2:TRAP_HANDLER: 0
; COMPUTE_PGM_RSRC2:TGID_X_EN: 1
; COMPUTE_PGM_RSRC2:TGID_Y_EN: 0
; COMPUTE_PGM_RSRC2:TGID_Z_EN: 0
; COMPUTE_PGM_RSRC2:TIDIG_COMP_CNT: 0
; COMPUTE_PGM_RSRC3_GFX90A:ACCUM_OFFSET: 0
; COMPUTE_PGM_RSRC3_GFX90A:TG_SPLIT: 0
	.section	.text._ZN7rocprim17ROCPRIM_400000_NS6detail17trampoline_kernelINS0_14default_configENS1_20scan_config_selectorIyEEZZNS1_9scan_implILNS1_25lookback_scan_determinismE0ELb1ELb1ES3_N6thrust23THRUST_200600_302600_NS6detail15normal_iteratorINS9_10device_ptrIyEEEESE_yNS9_4plusIvEEyEEDaPvRmT3_T4_T5_mT6_P12ihipStream_tbENKUlT_T0_E_clISt17integral_constantIbLb1EESU_EEDaSP_SQ_EUlSP_E_NS1_11comp_targetILNS1_3genE8ELNS1_11target_archE1030ELNS1_3gpuE2ELNS1_3repE0EEENS1_30default_config_static_selectorELNS0_4arch9wavefront6targetE1EEEvT1_,"axG",@progbits,_ZN7rocprim17ROCPRIM_400000_NS6detail17trampoline_kernelINS0_14default_configENS1_20scan_config_selectorIyEEZZNS1_9scan_implILNS1_25lookback_scan_determinismE0ELb1ELb1ES3_N6thrust23THRUST_200600_302600_NS6detail15normal_iteratorINS9_10device_ptrIyEEEESE_yNS9_4plusIvEEyEEDaPvRmT3_T4_T5_mT6_P12ihipStream_tbENKUlT_T0_E_clISt17integral_constantIbLb1EESU_EEDaSP_SQ_EUlSP_E_NS1_11comp_targetILNS1_3genE8ELNS1_11target_archE1030ELNS1_3gpuE2ELNS1_3repE0EEENS1_30default_config_static_selectorELNS0_4arch9wavefront6targetE1EEEvT1_,comdat
	.protected	_ZN7rocprim17ROCPRIM_400000_NS6detail17trampoline_kernelINS0_14default_configENS1_20scan_config_selectorIyEEZZNS1_9scan_implILNS1_25lookback_scan_determinismE0ELb1ELb1ES3_N6thrust23THRUST_200600_302600_NS6detail15normal_iteratorINS9_10device_ptrIyEEEESE_yNS9_4plusIvEEyEEDaPvRmT3_T4_T5_mT6_P12ihipStream_tbENKUlT_T0_E_clISt17integral_constantIbLb1EESU_EEDaSP_SQ_EUlSP_E_NS1_11comp_targetILNS1_3genE8ELNS1_11target_archE1030ELNS1_3gpuE2ELNS1_3repE0EEENS1_30default_config_static_selectorELNS0_4arch9wavefront6targetE1EEEvT1_ ; -- Begin function _ZN7rocprim17ROCPRIM_400000_NS6detail17trampoline_kernelINS0_14default_configENS1_20scan_config_selectorIyEEZZNS1_9scan_implILNS1_25lookback_scan_determinismE0ELb1ELb1ES3_N6thrust23THRUST_200600_302600_NS6detail15normal_iteratorINS9_10device_ptrIyEEEESE_yNS9_4plusIvEEyEEDaPvRmT3_T4_T5_mT6_P12ihipStream_tbENKUlT_T0_E_clISt17integral_constantIbLb1EESU_EEDaSP_SQ_EUlSP_E_NS1_11comp_targetILNS1_3genE8ELNS1_11target_archE1030ELNS1_3gpuE2ELNS1_3repE0EEENS1_30default_config_static_selectorELNS0_4arch9wavefront6targetE1EEEvT1_
	.globl	_ZN7rocprim17ROCPRIM_400000_NS6detail17trampoline_kernelINS0_14default_configENS1_20scan_config_selectorIyEEZZNS1_9scan_implILNS1_25lookback_scan_determinismE0ELb1ELb1ES3_N6thrust23THRUST_200600_302600_NS6detail15normal_iteratorINS9_10device_ptrIyEEEESE_yNS9_4plusIvEEyEEDaPvRmT3_T4_T5_mT6_P12ihipStream_tbENKUlT_T0_E_clISt17integral_constantIbLb1EESU_EEDaSP_SQ_EUlSP_E_NS1_11comp_targetILNS1_3genE8ELNS1_11target_archE1030ELNS1_3gpuE2ELNS1_3repE0EEENS1_30default_config_static_selectorELNS0_4arch9wavefront6targetE1EEEvT1_
	.p2align	8
	.type	_ZN7rocprim17ROCPRIM_400000_NS6detail17trampoline_kernelINS0_14default_configENS1_20scan_config_selectorIyEEZZNS1_9scan_implILNS1_25lookback_scan_determinismE0ELb1ELb1ES3_N6thrust23THRUST_200600_302600_NS6detail15normal_iteratorINS9_10device_ptrIyEEEESE_yNS9_4plusIvEEyEEDaPvRmT3_T4_T5_mT6_P12ihipStream_tbENKUlT_T0_E_clISt17integral_constantIbLb1EESU_EEDaSP_SQ_EUlSP_E_NS1_11comp_targetILNS1_3genE8ELNS1_11target_archE1030ELNS1_3gpuE2ELNS1_3repE0EEENS1_30default_config_static_selectorELNS0_4arch9wavefront6targetE1EEEvT1_,@function
_ZN7rocprim17ROCPRIM_400000_NS6detail17trampoline_kernelINS0_14default_configENS1_20scan_config_selectorIyEEZZNS1_9scan_implILNS1_25lookback_scan_determinismE0ELb1ELb1ES3_N6thrust23THRUST_200600_302600_NS6detail15normal_iteratorINS9_10device_ptrIyEEEESE_yNS9_4plusIvEEyEEDaPvRmT3_T4_T5_mT6_P12ihipStream_tbENKUlT_T0_E_clISt17integral_constantIbLb1EESU_EEDaSP_SQ_EUlSP_E_NS1_11comp_targetILNS1_3genE8ELNS1_11target_archE1030ELNS1_3gpuE2ELNS1_3repE0EEENS1_30default_config_static_selectorELNS0_4arch9wavefront6targetE1EEEvT1_: ; @_ZN7rocprim17ROCPRIM_400000_NS6detail17trampoline_kernelINS0_14default_configENS1_20scan_config_selectorIyEEZZNS1_9scan_implILNS1_25lookback_scan_determinismE0ELb1ELb1ES3_N6thrust23THRUST_200600_302600_NS6detail15normal_iteratorINS9_10device_ptrIyEEEESE_yNS9_4plusIvEEyEEDaPvRmT3_T4_T5_mT6_P12ihipStream_tbENKUlT_T0_E_clISt17integral_constantIbLb1EESU_EEDaSP_SQ_EUlSP_E_NS1_11comp_targetILNS1_3genE8ELNS1_11target_archE1030ELNS1_3gpuE2ELNS1_3repE0EEENS1_30default_config_static_selectorELNS0_4arch9wavefront6targetE1EEEvT1_
; %bb.0:
	.section	.rodata,"a",@progbits
	.p2align	6, 0x0
	.amdhsa_kernel _ZN7rocprim17ROCPRIM_400000_NS6detail17trampoline_kernelINS0_14default_configENS1_20scan_config_selectorIyEEZZNS1_9scan_implILNS1_25lookback_scan_determinismE0ELb1ELb1ES3_N6thrust23THRUST_200600_302600_NS6detail15normal_iteratorINS9_10device_ptrIyEEEESE_yNS9_4plusIvEEyEEDaPvRmT3_T4_T5_mT6_P12ihipStream_tbENKUlT_T0_E_clISt17integral_constantIbLb1EESU_EEDaSP_SQ_EUlSP_E_NS1_11comp_targetILNS1_3genE8ELNS1_11target_archE1030ELNS1_3gpuE2ELNS1_3repE0EEENS1_30default_config_static_selectorELNS0_4arch9wavefront6targetE1EEEvT1_
		.amdhsa_group_segment_fixed_size 0
		.amdhsa_private_segment_fixed_size 0
		.amdhsa_kernarg_size 104
		.amdhsa_user_sgpr_count 6
		.amdhsa_user_sgpr_private_segment_buffer 1
		.amdhsa_user_sgpr_dispatch_ptr 0
		.amdhsa_user_sgpr_queue_ptr 0
		.amdhsa_user_sgpr_kernarg_segment_ptr 1
		.amdhsa_user_sgpr_dispatch_id 0
		.amdhsa_user_sgpr_flat_scratch_init 0
		.amdhsa_user_sgpr_kernarg_preload_length 0
		.amdhsa_user_sgpr_kernarg_preload_offset 0
		.amdhsa_user_sgpr_private_segment_size 0
		.amdhsa_uses_dynamic_stack 0
		.amdhsa_system_sgpr_private_segment_wavefront_offset 0
		.amdhsa_system_sgpr_workgroup_id_x 1
		.amdhsa_system_sgpr_workgroup_id_y 0
		.amdhsa_system_sgpr_workgroup_id_z 0
		.amdhsa_system_sgpr_workgroup_info 0
		.amdhsa_system_vgpr_workitem_id 0
		.amdhsa_next_free_vgpr 1
		.amdhsa_next_free_sgpr 0
		.amdhsa_accum_offset 4
		.amdhsa_reserve_vcc 0
		.amdhsa_reserve_flat_scratch 0
		.amdhsa_float_round_mode_32 0
		.amdhsa_float_round_mode_16_64 0
		.amdhsa_float_denorm_mode_32 3
		.amdhsa_float_denorm_mode_16_64 3
		.amdhsa_dx10_clamp 1
		.amdhsa_ieee_mode 1
		.amdhsa_fp16_overflow 0
		.amdhsa_tg_split 0
		.amdhsa_exception_fp_ieee_invalid_op 0
		.amdhsa_exception_fp_denorm_src 0
		.amdhsa_exception_fp_ieee_div_zero 0
		.amdhsa_exception_fp_ieee_overflow 0
		.amdhsa_exception_fp_ieee_underflow 0
		.amdhsa_exception_fp_ieee_inexact 0
		.amdhsa_exception_int_div_zero 0
	.end_amdhsa_kernel
	.section	.text._ZN7rocprim17ROCPRIM_400000_NS6detail17trampoline_kernelINS0_14default_configENS1_20scan_config_selectorIyEEZZNS1_9scan_implILNS1_25lookback_scan_determinismE0ELb1ELb1ES3_N6thrust23THRUST_200600_302600_NS6detail15normal_iteratorINS9_10device_ptrIyEEEESE_yNS9_4plusIvEEyEEDaPvRmT3_T4_T5_mT6_P12ihipStream_tbENKUlT_T0_E_clISt17integral_constantIbLb1EESU_EEDaSP_SQ_EUlSP_E_NS1_11comp_targetILNS1_3genE8ELNS1_11target_archE1030ELNS1_3gpuE2ELNS1_3repE0EEENS1_30default_config_static_selectorELNS0_4arch9wavefront6targetE1EEEvT1_,"axG",@progbits,_ZN7rocprim17ROCPRIM_400000_NS6detail17trampoline_kernelINS0_14default_configENS1_20scan_config_selectorIyEEZZNS1_9scan_implILNS1_25lookback_scan_determinismE0ELb1ELb1ES3_N6thrust23THRUST_200600_302600_NS6detail15normal_iteratorINS9_10device_ptrIyEEEESE_yNS9_4plusIvEEyEEDaPvRmT3_T4_T5_mT6_P12ihipStream_tbENKUlT_T0_E_clISt17integral_constantIbLb1EESU_EEDaSP_SQ_EUlSP_E_NS1_11comp_targetILNS1_3genE8ELNS1_11target_archE1030ELNS1_3gpuE2ELNS1_3repE0EEENS1_30default_config_static_selectorELNS0_4arch9wavefront6targetE1EEEvT1_,comdat
.Lfunc_end4528:
	.size	_ZN7rocprim17ROCPRIM_400000_NS6detail17trampoline_kernelINS0_14default_configENS1_20scan_config_selectorIyEEZZNS1_9scan_implILNS1_25lookback_scan_determinismE0ELb1ELb1ES3_N6thrust23THRUST_200600_302600_NS6detail15normal_iteratorINS9_10device_ptrIyEEEESE_yNS9_4plusIvEEyEEDaPvRmT3_T4_T5_mT6_P12ihipStream_tbENKUlT_T0_E_clISt17integral_constantIbLb1EESU_EEDaSP_SQ_EUlSP_E_NS1_11comp_targetILNS1_3genE8ELNS1_11target_archE1030ELNS1_3gpuE2ELNS1_3repE0EEENS1_30default_config_static_selectorELNS0_4arch9wavefront6targetE1EEEvT1_, .Lfunc_end4528-_ZN7rocprim17ROCPRIM_400000_NS6detail17trampoline_kernelINS0_14default_configENS1_20scan_config_selectorIyEEZZNS1_9scan_implILNS1_25lookback_scan_determinismE0ELb1ELb1ES3_N6thrust23THRUST_200600_302600_NS6detail15normal_iteratorINS9_10device_ptrIyEEEESE_yNS9_4plusIvEEyEEDaPvRmT3_T4_T5_mT6_P12ihipStream_tbENKUlT_T0_E_clISt17integral_constantIbLb1EESU_EEDaSP_SQ_EUlSP_E_NS1_11comp_targetILNS1_3genE8ELNS1_11target_archE1030ELNS1_3gpuE2ELNS1_3repE0EEENS1_30default_config_static_selectorELNS0_4arch9wavefront6targetE1EEEvT1_
                                        ; -- End function
	.section	.AMDGPU.csdata,"",@progbits
; Kernel info:
; codeLenInByte = 0
; NumSgprs: 4
; NumVgprs: 0
; NumAgprs: 0
; TotalNumVgprs: 0
; ScratchSize: 0
; MemoryBound: 0
; FloatMode: 240
; IeeeMode: 1
; LDSByteSize: 0 bytes/workgroup (compile time only)
; SGPRBlocks: 0
; VGPRBlocks: 0
; NumSGPRsForWavesPerEU: 4
; NumVGPRsForWavesPerEU: 1
; AccumOffset: 4
; Occupancy: 8
; WaveLimiterHint : 0
; COMPUTE_PGM_RSRC2:SCRATCH_EN: 0
; COMPUTE_PGM_RSRC2:USER_SGPR: 6
; COMPUTE_PGM_RSRC2:TRAP_HANDLER: 0
; COMPUTE_PGM_RSRC2:TGID_X_EN: 1
; COMPUTE_PGM_RSRC2:TGID_Y_EN: 0
; COMPUTE_PGM_RSRC2:TGID_Z_EN: 0
; COMPUTE_PGM_RSRC2:TIDIG_COMP_CNT: 0
; COMPUTE_PGM_RSRC3_GFX90A:ACCUM_OFFSET: 0
; COMPUTE_PGM_RSRC3_GFX90A:TG_SPLIT: 0
	.section	.text._ZN7rocprim17ROCPRIM_400000_NS6detail17trampoline_kernelINS0_14default_configENS1_20scan_config_selectorIyEEZZNS1_9scan_implILNS1_25lookback_scan_determinismE0ELb1ELb1ES3_N6thrust23THRUST_200600_302600_NS6detail15normal_iteratorINS9_10device_ptrIyEEEESE_yNS9_4plusIvEEyEEDaPvRmT3_T4_T5_mT6_P12ihipStream_tbENKUlT_T0_E_clISt17integral_constantIbLb1EESU_EEDaSP_SQ_EUlSP_E0_NS1_11comp_targetILNS1_3genE0ELNS1_11target_archE4294967295ELNS1_3gpuE0ELNS1_3repE0EEENS1_30default_config_static_selectorELNS0_4arch9wavefront6targetE1EEEvT1_,"axG",@progbits,_ZN7rocprim17ROCPRIM_400000_NS6detail17trampoline_kernelINS0_14default_configENS1_20scan_config_selectorIyEEZZNS1_9scan_implILNS1_25lookback_scan_determinismE0ELb1ELb1ES3_N6thrust23THRUST_200600_302600_NS6detail15normal_iteratorINS9_10device_ptrIyEEEESE_yNS9_4plusIvEEyEEDaPvRmT3_T4_T5_mT6_P12ihipStream_tbENKUlT_T0_E_clISt17integral_constantIbLb1EESU_EEDaSP_SQ_EUlSP_E0_NS1_11comp_targetILNS1_3genE0ELNS1_11target_archE4294967295ELNS1_3gpuE0ELNS1_3repE0EEENS1_30default_config_static_selectorELNS0_4arch9wavefront6targetE1EEEvT1_,comdat
	.protected	_ZN7rocprim17ROCPRIM_400000_NS6detail17trampoline_kernelINS0_14default_configENS1_20scan_config_selectorIyEEZZNS1_9scan_implILNS1_25lookback_scan_determinismE0ELb1ELb1ES3_N6thrust23THRUST_200600_302600_NS6detail15normal_iteratorINS9_10device_ptrIyEEEESE_yNS9_4plusIvEEyEEDaPvRmT3_T4_T5_mT6_P12ihipStream_tbENKUlT_T0_E_clISt17integral_constantIbLb1EESU_EEDaSP_SQ_EUlSP_E0_NS1_11comp_targetILNS1_3genE0ELNS1_11target_archE4294967295ELNS1_3gpuE0ELNS1_3repE0EEENS1_30default_config_static_selectorELNS0_4arch9wavefront6targetE1EEEvT1_ ; -- Begin function _ZN7rocprim17ROCPRIM_400000_NS6detail17trampoline_kernelINS0_14default_configENS1_20scan_config_selectorIyEEZZNS1_9scan_implILNS1_25lookback_scan_determinismE0ELb1ELb1ES3_N6thrust23THRUST_200600_302600_NS6detail15normal_iteratorINS9_10device_ptrIyEEEESE_yNS9_4plusIvEEyEEDaPvRmT3_T4_T5_mT6_P12ihipStream_tbENKUlT_T0_E_clISt17integral_constantIbLb1EESU_EEDaSP_SQ_EUlSP_E0_NS1_11comp_targetILNS1_3genE0ELNS1_11target_archE4294967295ELNS1_3gpuE0ELNS1_3repE0EEENS1_30default_config_static_selectorELNS0_4arch9wavefront6targetE1EEEvT1_
	.globl	_ZN7rocprim17ROCPRIM_400000_NS6detail17trampoline_kernelINS0_14default_configENS1_20scan_config_selectorIyEEZZNS1_9scan_implILNS1_25lookback_scan_determinismE0ELb1ELb1ES3_N6thrust23THRUST_200600_302600_NS6detail15normal_iteratorINS9_10device_ptrIyEEEESE_yNS9_4plusIvEEyEEDaPvRmT3_T4_T5_mT6_P12ihipStream_tbENKUlT_T0_E_clISt17integral_constantIbLb1EESU_EEDaSP_SQ_EUlSP_E0_NS1_11comp_targetILNS1_3genE0ELNS1_11target_archE4294967295ELNS1_3gpuE0ELNS1_3repE0EEENS1_30default_config_static_selectorELNS0_4arch9wavefront6targetE1EEEvT1_
	.p2align	8
	.type	_ZN7rocprim17ROCPRIM_400000_NS6detail17trampoline_kernelINS0_14default_configENS1_20scan_config_selectorIyEEZZNS1_9scan_implILNS1_25lookback_scan_determinismE0ELb1ELb1ES3_N6thrust23THRUST_200600_302600_NS6detail15normal_iteratorINS9_10device_ptrIyEEEESE_yNS9_4plusIvEEyEEDaPvRmT3_T4_T5_mT6_P12ihipStream_tbENKUlT_T0_E_clISt17integral_constantIbLb1EESU_EEDaSP_SQ_EUlSP_E0_NS1_11comp_targetILNS1_3genE0ELNS1_11target_archE4294967295ELNS1_3gpuE0ELNS1_3repE0EEENS1_30default_config_static_selectorELNS0_4arch9wavefront6targetE1EEEvT1_,@function
_ZN7rocprim17ROCPRIM_400000_NS6detail17trampoline_kernelINS0_14default_configENS1_20scan_config_selectorIyEEZZNS1_9scan_implILNS1_25lookback_scan_determinismE0ELb1ELb1ES3_N6thrust23THRUST_200600_302600_NS6detail15normal_iteratorINS9_10device_ptrIyEEEESE_yNS9_4plusIvEEyEEDaPvRmT3_T4_T5_mT6_P12ihipStream_tbENKUlT_T0_E_clISt17integral_constantIbLb1EESU_EEDaSP_SQ_EUlSP_E0_NS1_11comp_targetILNS1_3genE0ELNS1_11target_archE4294967295ELNS1_3gpuE0ELNS1_3repE0EEENS1_30default_config_static_selectorELNS0_4arch9wavefront6targetE1EEEvT1_: ; @_ZN7rocprim17ROCPRIM_400000_NS6detail17trampoline_kernelINS0_14default_configENS1_20scan_config_selectorIyEEZZNS1_9scan_implILNS1_25lookback_scan_determinismE0ELb1ELb1ES3_N6thrust23THRUST_200600_302600_NS6detail15normal_iteratorINS9_10device_ptrIyEEEESE_yNS9_4plusIvEEyEEDaPvRmT3_T4_T5_mT6_P12ihipStream_tbENKUlT_T0_E_clISt17integral_constantIbLb1EESU_EEDaSP_SQ_EUlSP_E0_NS1_11comp_targetILNS1_3genE0ELNS1_11target_archE4294967295ELNS1_3gpuE0ELNS1_3repE0EEENS1_30default_config_static_selectorELNS0_4arch9wavefront6targetE1EEEvT1_
; %bb.0:
	.section	.rodata,"a",@progbits
	.p2align	6, 0x0
	.amdhsa_kernel _ZN7rocprim17ROCPRIM_400000_NS6detail17trampoline_kernelINS0_14default_configENS1_20scan_config_selectorIyEEZZNS1_9scan_implILNS1_25lookback_scan_determinismE0ELb1ELb1ES3_N6thrust23THRUST_200600_302600_NS6detail15normal_iteratorINS9_10device_ptrIyEEEESE_yNS9_4plusIvEEyEEDaPvRmT3_T4_T5_mT6_P12ihipStream_tbENKUlT_T0_E_clISt17integral_constantIbLb1EESU_EEDaSP_SQ_EUlSP_E0_NS1_11comp_targetILNS1_3genE0ELNS1_11target_archE4294967295ELNS1_3gpuE0ELNS1_3repE0EEENS1_30default_config_static_selectorELNS0_4arch9wavefront6targetE1EEEvT1_
		.amdhsa_group_segment_fixed_size 0
		.amdhsa_private_segment_fixed_size 0
		.amdhsa_kernarg_size 40
		.amdhsa_user_sgpr_count 6
		.amdhsa_user_sgpr_private_segment_buffer 1
		.amdhsa_user_sgpr_dispatch_ptr 0
		.amdhsa_user_sgpr_queue_ptr 0
		.amdhsa_user_sgpr_kernarg_segment_ptr 1
		.amdhsa_user_sgpr_dispatch_id 0
		.amdhsa_user_sgpr_flat_scratch_init 0
		.amdhsa_user_sgpr_kernarg_preload_length 0
		.amdhsa_user_sgpr_kernarg_preload_offset 0
		.amdhsa_user_sgpr_private_segment_size 0
		.amdhsa_uses_dynamic_stack 0
		.amdhsa_system_sgpr_private_segment_wavefront_offset 0
		.amdhsa_system_sgpr_workgroup_id_x 1
		.amdhsa_system_sgpr_workgroup_id_y 0
		.amdhsa_system_sgpr_workgroup_id_z 0
		.amdhsa_system_sgpr_workgroup_info 0
		.amdhsa_system_vgpr_workitem_id 0
		.amdhsa_next_free_vgpr 1
		.amdhsa_next_free_sgpr 0
		.amdhsa_accum_offset 4
		.amdhsa_reserve_vcc 0
		.amdhsa_reserve_flat_scratch 0
		.amdhsa_float_round_mode_32 0
		.amdhsa_float_round_mode_16_64 0
		.amdhsa_float_denorm_mode_32 3
		.amdhsa_float_denorm_mode_16_64 3
		.amdhsa_dx10_clamp 1
		.amdhsa_ieee_mode 1
		.amdhsa_fp16_overflow 0
		.amdhsa_tg_split 0
		.amdhsa_exception_fp_ieee_invalid_op 0
		.amdhsa_exception_fp_denorm_src 0
		.amdhsa_exception_fp_ieee_div_zero 0
		.amdhsa_exception_fp_ieee_overflow 0
		.amdhsa_exception_fp_ieee_underflow 0
		.amdhsa_exception_fp_ieee_inexact 0
		.amdhsa_exception_int_div_zero 0
	.end_amdhsa_kernel
	.section	.text._ZN7rocprim17ROCPRIM_400000_NS6detail17trampoline_kernelINS0_14default_configENS1_20scan_config_selectorIyEEZZNS1_9scan_implILNS1_25lookback_scan_determinismE0ELb1ELb1ES3_N6thrust23THRUST_200600_302600_NS6detail15normal_iteratorINS9_10device_ptrIyEEEESE_yNS9_4plusIvEEyEEDaPvRmT3_T4_T5_mT6_P12ihipStream_tbENKUlT_T0_E_clISt17integral_constantIbLb1EESU_EEDaSP_SQ_EUlSP_E0_NS1_11comp_targetILNS1_3genE0ELNS1_11target_archE4294967295ELNS1_3gpuE0ELNS1_3repE0EEENS1_30default_config_static_selectorELNS0_4arch9wavefront6targetE1EEEvT1_,"axG",@progbits,_ZN7rocprim17ROCPRIM_400000_NS6detail17trampoline_kernelINS0_14default_configENS1_20scan_config_selectorIyEEZZNS1_9scan_implILNS1_25lookback_scan_determinismE0ELb1ELb1ES3_N6thrust23THRUST_200600_302600_NS6detail15normal_iteratorINS9_10device_ptrIyEEEESE_yNS9_4plusIvEEyEEDaPvRmT3_T4_T5_mT6_P12ihipStream_tbENKUlT_T0_E_clISt17integral_constantIbLb1EESU_EEDaSP_SQ_EUlSP_E0_NS1_11comp_targetILNS1_3genE0ELNS1_11target_archE4294967295ELNS1_3gpuE0ELNS1_3repE0EEENS1_30default_config_static_selectorELNS0_4arch9wavefront6targetE1EEEvT1_,comdat
.Lfunc_end4529:
	.size	_ZN7rocprim17ROCPRIM_400000_NS6detail17trampoline_kernelINS0_14default_configENS1_20scan_config_selectorIyEEZZNS1_9scan_implILNS1_25lookback_scan_determinismE0ELb1ELb1ES3_N6thrust23THRUST_200600_302600_NS6detail15normal_iteratorINS9_10device_ptrIyEEEESE_yNS9_4plusIvEEyEEDaPvRmT3_T4_T5_mT6_P12ihipStream_tbENKUlT_T0_E_clISt17integral_constantIbLb1EESU_EEDaSP_SQ_EUlSP_E0_NS1_11comp_targetILNS1_3genE0ELNS1_11target_archE4294967295ELNS1_3gpuE0ELNS1_3repE0EEENS1_30default_config_static_selectorELNS0_4arch9wavefront6targetE1EEEvT1_, .Lfunc_end4529-_ZN7rocprim17ROCPRIM_400000_NS6detail17trampoline_kernelINS0_14default_configENS1_20scan_config_selectorIyEEZZNS1_9scan_implILNS1_25lookback_scan_determinismE0ELb1ELb1ES3_N6thrust23THRUST_200600_302600_NS6detail15normal_iteratorINS9_10device_ptrIyEEEESE_yNS9_4plusIvEEyEEDaPvRmT3_T4_T5_mT6_P12ihipStream_tbENKUlT_T0_E_clISt17integral_constantIbLb1EESU_EEDaSP_SQ_EUlSP_E0_NS1_11comp_targetILNS1_3genE0ELNS1_11target_archE4294967295ELNS1_3gpuE0ELNS1_3repE0EEENS1_30default_config_static_selectorELNS0_4arch9wavefront6targetE1EEEvT1_
                                        ; -- End function
	.section	.AMDGPU.csdata,"",@progbits
; Kernel info:
; codeLenInByte = 0
; NumSgprs: 4
; NumVgprs: 0
; NumAgprs: 0
; TotalNumVgprs: 0
; ScratchSize: 0
; MemoryBound: 0
; FloatMode: 240
; IeeeMode: 1
; LDSByteSize: 0 bytes/workgroup (compile time only)
; SGPRBlocks: 0
; VGPRBlocks: 0
; NumSGPRsForWavesPerEU: 4
; NumVGPRsForWavesPerEU: 1
; AccumOffset: 4
; Occupancy: 8
; WaveLimiterHint : 0
; COMPUTE_PGM_RSRC2:SCRATCH_EN: 0
; COMPUTE_PGM_RSRC2:USER_SGPR: 6
; COMPUTE_PGM_RSRC2:TRAP_HANDLER: 0
; COMPUTE_PGM_RSRC2:TGID_X_EN: 1
; COMPUTE_PGM_RSRC2:TGID_Y_EN: 0
; COMPUTE_PGM_RSRC2:TGID_Z_EN: 0
; COMPUTE_PGM_RSRC2:TIDIG_COMP_CNT: 0
; COMPUTE_PGM_RSRC3_GFX90A:ACCUM_OFFSET: 0
; COMPUTE_PGM_RSRC3_GFX90A:TG_SPLIT: 0
	.section	.text._ZN7rocprim17ROCPRIM_400000_NS6detail17trampoline_kernelINS0_14default_configENS1_20scan_config_selectorIyEEZZNS1_9scan_implILNS1_25lookback_scan_determinismE0ELb1ELb1ES3_N6thrust23THRUST_200600_302600_NS6detail15normal_iteratorINS9_10device_ptrIyEEEESE_yNS9_4plusIvEEyEEDaPvRmT3_T4_T5_mT6_P12ihipStream_tbENKUlT_T0_E_clISt17integral_constantIbLb1EESU_EEDaSP_SQ_EUlSP_E0_NS1_11comp_targetILNS1_3genE5ELNS1_11target_archE942ELNS1_3gpuE9ELNS1_3repE0EEENS1_30default_config_static_selectorELNS0_4arch9wavefront6targetE1EEEvT1_,"axG",@progbits,_ZN7rocprim17ROCPRIM_400000_NS6detail17trampoline_kernelINS0_14default_configENS1_20scan_config_selectorIyEEZZNS1_9scan_implILNS1_25lookback_scan_determinismE0ELb1ELb1ES3_N6thrust23THRUST_200600_302600_NS6detail15normal_iteratorINS9_10device_ptrIyEEEESE_yNS9_4plusIvEEyEEDaPvRmT3_T4_T5_mT6_P12ihipStream_tbENKUlT_T0_E_clISt17integral_constantIbLb1EESU_EEDaSP_SQ_EUlSP_E0_NS1_11comp_targetILNS1_3genE5ELNS1_11target_archE942ELNS1_3gpuE9ELNS1_3repE0EEENS1_30default_config_static_selectorELNS0_4arch9wavefront6targetE1EEEvT1_,comdat
	.protected	_ZN7rocprim17ROCPRIM_400000_NS6detail17trampoline_kernelINS0_14default_configENS1_20scan_config_selectorIyEEZZNS1_9scan_implILNS1_25lookback_scan_determinismE0ELb1ELb1ES3_N6thrust23THRUST_200600_302600_NS6detail15normal_iteratorINS9_10device_ptrIyEEEESE_yNS9_4plusIvEEyEEDaPvRmT3_T4_T5_mT6_P12ihipStream_tbENKUlT_T0_E_clISt17integral_constantIbLb1EESU_EEDaSP_SQ_EUlSP_E0_NS1_11comp_targetILNS1_3genE5ELNS1_11target_archE942ELNS1_3gpuE9ELNS1_3repE0EEENS1_30default_config_static_selectorELNS0_4arch9wavefront6targetE1EEEvT1_ ; -- Begin function _ZN7rocprim17ROCPRIM_400000_NS6detail17trampoline_kernelINS0_14default_configENS1_20scan_config_selectorIyEEZZNS1_9scan_implILNS1_25lookback_scan_determinismE0ELb1ELb1ES3_N6thrust23THRUST_200600_302600_NS6detail15normal_iteratorINS9_10device_ptrIyEEEESE_yNS9_4plusIvEEyEEDaPvRmT3_T4_T5_mT6_P12ihipStream_tbENKUlT_T0_E_clISt17integral_constantIbLb1EESU_EEDaSP_SQ_EUlSP_E0_NS1_11comp_targetILNS1_3genE5ELNS1_11target_archE942ELNS1_3gpuE9ELNS1_3repE0EEENS1_30default_config_static_selectorELNS0_4arch9wavefront6targetE1EEEvT1_
	.globl	_ZN7rocprim17ROCPRIM_400000_NS6detail17trampoline_kernelINS0_14default_configENS1_20scan_config_selectorIyEEZZNS1_9scan_implILNS1_25lookback_scan_determinismE0ELb1ELb1ES3_N6thrust23THRUST_200600_302600_NS6detail15normal_iteratorINS9_10device_ptrIyEEEESE_yNS9_4plusIvEEyEEDaPvRmT3_T4_T5_mT6_P12ihipStream_tbENKUlT_T0_E_clISt17integral_constantIbLb1EESU_EEDaSP_SQ_EUlSP_E0_NS1_11comp_targetILNS1_3genE5ELNS1_11target_archE942ELNS1_3gpuE9ELNS1_3repE0EEENS1_30default_config_static_selectorELNS0_4arch9wavefront6targetE1EEEvT1_
	.p2align	8
	.type	_ZN7rocprim17ROCPRIM_400000_NS6detail17trampoline_kernelINS0_14default_configENS1_20scan_config_selectorIyEEZZNS1_9scan_implILNS1_25lookback_scan_determinismE0ELb1ELb1ES3_N6thrust23THRUST_200600_302600_NS6detail15normal_iteratorINS9_10device_ptrIyEEEESE_yNS9_4plusIvEEyEEDaPvRmT3_T4_T5_mT6_P12ihipStream_tbENKUlT_T0_E_clISt17integral_constantIbLb1EESU_EEDaSP_SQ_EUlSP_E0_NS1_11comp_targetILNS1_3genE5ELNS1_11target_archE942ELNS1_3gpuE9ELNS1_3repE0EEENS1_30default_config_static_selectorELNS0_4arch9wavefront6targetE1EEEvT1_,@function
_ZN7rocprim17ROCPRIM_400000_NS6detail17trampoline_kernelINS0_14default_configENS1_20scan_config_selectorIyEEZZNS1_9scan_implILNS1_25lookback_scan_determinismE0ELb1ELb1ES3_N6thrust23THRUST_200600_302600_NS6detail15normal_iteratorINS9_10device_ptrIyEEEESE_yNS9_4plusIvEEyEEDaPvRmT3_T4_T5_mT6_P12ihipStream_tbENKUlT_T0_E_clISt17integral_constantIbLb1EESU_EEDaSP_SQ_EUlSP_E0_NS1_11comp_targetILNS1_3genE5ELNS1_11target_archE942ELNS1_3gpuE9ELNS1_3repE0EEENS1_30default_config_static_selectorELNS0_4arch9wavefront6targetE1EEEvT1_: ; @_ZN7rocprim17ROCPRIM_400000_NS6detail17trampoline_kernelINS0_14default_configENS1_20scan_config_selectorIyEEZZNS1_9scan_implILNS1_25lookback_scan_determinismE0ELb1ELb1ES3_N6thrust23THRUST_200600_302600_NS6detail15normal_iteratorINS9_10device_ptrIyEEEESE_yNS9_4plusIvEEyEEDaPvRmT3_T4_T5_mT6_P12ihipStream_tbENKUlT_T0_E_clISt17integral_constantIbLb1EESU_EEDaSP_SQ_EUlSP_E0_NS1_11comp_targetILNS1_3genE5ELNS1_11target_archE942ELNS1_3gpuE9ELNS1_3repE0EEENS1_30default_config_static_selectorELNS0_4arch9wavefront6targetE1EEEvT1_
; %bb.0:
	.section	.rodata,"a",@progbits
	.p2align	6, 0x0
	.amdhsa_kernel _ZN7rocprim17ROCPRIM_400000_NS6detail17trampoline_kernelINS0_14default_configENS1_20scan_config_selectorIyEEZZNS1_9scan_implILNS1_25lookback_scan_determinismE0ELb1ELb1ES3_N6thrust23THRUST_200600_302600_NS6detail15normal_iteratorINS9_10device_ptrIyEEEESE_yNS9_4plusIvEEyEEDaPvRmT3_T4_T5_mT6_P12ihipStream_tbENKUlT_T0_E_clISt17integral_constantIbLb1EESU_EEDaSP_SQ_EUlSP_E0_NS1_11comp_targetILNS1_3genE5ELNS1_11target_archE942ELNS1_3gpuE9ELNS1_3repE0EEENS1_30default_config_static_selectorELNS0_4arch9wavefront6targetE1EEEvT1_
		.amdhsa_group_segment_fixed_size 0
		.amdhsa_private_segment_fixed_size 0
		.amdhsa_kernarg_size 40
		.amdhsa_user_sgpr_count 6
		.amdhsa_user_sgpr_private_segment_buffer 1
		.amdhsa_user_sgpr_dispatch_ptr 0
		.amdhsa_user_sgpr_queue_ptr 0
		.amdhsa_user_sgpr_kernarg_segment_ptr 1
		.amdhsa_user_sgpr_dispatch_id 0
		.amdhsa_user_sgpr_flat_scratch_init 0
		.amdhsa_user_sgpr_kernarg_preload_length 0
		.amdhsa_user_sgpr_kernarg_preload_offset 0
		.amdhsa_user_sgpr_private_segment_size 0
		.amdhsa_uses_dynamic_stack 0
		.amdhsa_system_sgpr_private_segment_wavefront_offset 0
		.amdhsa_system_sgpr_workgroup_id_x 1
		.amdhsa_system_sgpr_workgroup_id_y 0
		.amdhsa_system_sgpr_workgroup_id_z 0
		.amdhsa_system_sgpr_workgroup_info 0
		.amdhsa_system_vgpr_workitem_id 0
		.amdhsa_next_free_vgpr 1
		.amdhsa_next_free_sgpr 0
		.amdhsa_accum_offset 4
		.amdhsa_reserve_vcc 0
		.amdhsa_reserve_flat_scratch 0
		.amdhsa_float_round_mode_32 0
		.amdhsa_float_round_mode_16_64 0
		.amdhsa_float_denorm_mode_32 3
		.amdhsa_float_denorm_mode_16_64 3
		.amdhsa_dx10_clamp 1
		.amdhsa_ieee_mode 1
		.amdhsa_fp16_overflow 0
		.amdhsa_tg_split 0
		.amdhsa_exception_fp_ieee_invalid_op 0
		.amdhsa_exception_fp_denorm_src 0
		.amdhsa_exception_fp_ieee_div_zero 0
		.amdhsa_exception_fp_ieee_overflow 0
		.amdhsa_exception_fp_ieee_underflow 0
		.amdhsa_exception_fp_ieee_inexact 0
		.amdhsa_exception_int_div_zero 0
	.end_amdhsa_kernel
	.section	.text._ZN7rocprim17ROCPRIM_400000_NS6detail17trampoline_kernelINS0_14default_configENS1_20scan_config_selectorIyEEZZNS1_9scan_implILNS1_25lookback_scan_determinismE0ELb1ELb1ES3_N6thrust23THRUST_200600_302600_NS6detail15normal_iteratorINS9_10device_ptrIyEEEESE_yNS9_4plusIvEEyEEDaPvRmT3_T4_T5_mT6_P12ihipStream_tbENKUlT_T0_E_clISt17integral_constantIbLb1EESU_EEDaSP_SQ_EUlSP_E0_NS1_11comp_targetILNS1_3genE5ELNS1_11target_archE942ELNS1_3gpuE9ELNS1_3repE0EEENS1_30default_config_static_selectorELNS0_4arch9wavefront6targetE1EEEvT1_,"axG",@progbits,_ZN7rocprim17ROCPRIM_400000_NS6detail17trampoline_kernelINS0_14default_configENS1_20scan_config_selectorIyEEZZNS1_9scan_implILNS1_25lookback_scan_determinismE0ELb1ELb1ES3_N6thrust23THRUST_200600_302600_NS6detail15normal_iteratorINS9_10device_ptrIyEEEESE_yNS9_4plusIvEEyEEDaPvRmT3_T4_T5_mT6_P12ihipStream_tbENKUlT_T0_E_clISt17integral_constantIbLb1EESU_EEDaSP_SQ_EUlSP_E0_NS1_11comp_targetILNS1_3genE5ELNS1_11target_archE942ELNS1_3gpuE9ELNS1_3repE0EEENS1_30default_config_static_selectorELNS0_4arch9wavefront6targetE1EEEvT1_,comdat
.Lfunc_end4530:
	.size	_ZN7rocprim17ROCPRIM_400000_NS6detail17trampoline_kernelINS0_14default_configENS1_20scan_config_selectorIyEEZZNS1_9scan_implILNS1_25lookback_scan_determinismE0ELb1ELb1ES3_N6thrust23THRUST_200600_302600_NS6detail15normal_iteratorINS9_10device_ptrIyEEEESE_yNS9_4plusIvEEyEEDaPvRmT3_T4_T5_mT6_P12ihipStream_tbENKUlT_T0_E_clISt17integral_constantIbLb1EESU_EEDaSP_SQ_EUlSP_E0_NS1_11comp_targetILNS1_3genE5ELNS1_11target_archE942ELNS1_3gpuE9ELNS1_3repE0EEENS1_30default_config_static_selectorELNS0_4arch9wavefront6targetE1EEEvT1_, .Lfunc_end4530-_ZN7rocprim17ROCPRIM_400000_NS6detail17trampoline_kernelINS0_14default_configENS1_20scan_config_selectorIyEEZZNS1_9scan_implILNS1_25lookback_scan_determinismE0ELb1ELb1ES3_N6thrust23THRUST_200600_302600_NS6detail15normal_iteratorINS9_10device_ptrIyEEEESE_yNS9_4plusIvEEyEEDaPvRmT3_T4_T5_mT6_P12ihipStream_tbENKUlT_T0_E_clISt17integral_constantIbLb1EESU_EEDaSP_SQ_EUlSP_E0_NS1_11comp_targetILNS1_3genE5ELNS1_11target_archE942ELNS1_3gpuE9ELNS1_3repE0EEENS1_30default_config_static_selectorELNS0_4arch9wavefront6targetE1EEEvT1_
                                        ; -- End function
	.section	.AMDGPU.csdata,"",@progbits
; Kernel info:
; codeLenInByte = 0
; NumSgprs: 4
; NumVgprs: 0
; NumAgprs: 0
; TotalNumVgprs: 0
; ScratchSize: 0
; MemoryBound: 0
; FloatMode: 240
; IeeeMode: 1
; LDSByteSize: 0 bytes/workgroup (compile time only)
; SGPRBlocks: 0
; VGPRBlocks: 0
; NumSGPRsForWavesPerEU: 4
; NumVGPRsForWavesPerEU: 1
; AccumOffset: 4
; Occupancy: 8
; WaveLimiterHint : 0
; COMPUTE_PGM_RSRC2:SCRATCH_EN: 0
; COMPUTE_PGM_RSRC2:USER_SGPR: 6
; COMPUTE_PGM_RSRC2:TRAP_HANDLER: 0
; COMPUTE_PGM_RSRC2:TGID_X_EN: 1
; COMPUTE_PGM_RSRC2:TGID_Y_EN: 0
; COMPUTE_PGM_RSRC2:TGID_Z_EN: 0
; COMPUTE_PGM_RSRC2:TIDIG_COMP_CNT: 0
; COMPUTE_PGM_RSRC3_GFX90A:ACCUM_OFFSET: 0
; COMPUTE_PGM_RSRC3_GFX90A:TG_SPLIT: 0
	.section	.text._ZN7rocprim17ROCPRIM_400000_NS6detail17trampoline_kernelINS0_14default_configENS1_20scan_config_selectorIyEEZZNS1_9scan_implILNS1_25lookback_scan_determinismE0ELb1ELb1ES3_N6thrust23THRUST_200600_302600_NS6detail15normal_iteratorINS9_10device_ptrIyEEEESE_yNS9_4plusIvEEyEEDaPvRmT3_T4_T5_mT6_P12ihipStream_tbENKUlT_T0_E_clISt17integral_constantIbLb1EESU_EEDaSP_SQ_EUlSP_E0_NS1_11comp_targetILNS1_3genE4ELNS1_11target_archE910ELNS1_3gpuE8ELNS1_3repE0EEENS1_30default_config_static_selectorELNS0_4arch9wavefront6targetE1EEEvT1_,"axG",@progbits,_ZN7rocprim17ROCPRIM_400000_NS6detail17trampoline_kernelINS0_14default_configENS1_20scan_config_selectorIyEEZZNS1_9scan_implILNS1_25lookback_scan_determinismE0ELb1ELb1ES3_N6thrust23THRUST_200600_302600_NS6detail15normal_iteratorINS9_10device_ptrIyEEEESE_yNS9_4plusIvEEyEEDaPvRmT3_T4_T5_mT6_P12ihipStream_tbENKUlT_T0_E_clISt17integral_constantIbLb1EESU_EEDaSP_SQ_EUlSP_E0_NS1_11comp_targetILNS1_3genE4ELNS1_11target_archE910ELNS1_3gpuE8ELNS1_3repE0EEENS1_30default_config_static_selectorELNS0_4arch9wavefront6targetE1EEEvT1_,comdat
	.protected	_ZN7rocprim17ROCPRIM_400000_NS6detail17trampoline_kernelINS0_14default_configENS1_20scan_config_selectorIyEEZZNS1_9scan_implILNS1_25lookback_scan_determinismE0ELb1ELb1ES3_N6thrust23THRUST_200600_302600_NS6detail15normal_iteratorINS9_10device_ptrIyEEEESE_yNS9_4plusIvEEyEEDaPvRmT3_T4_T5_mT6_P12ihipStream_tbENKUlT_T0_E_clISt17integral_constantIbLb1EESU_EEDaSP_SQ_EUlSP_E0_NS1_11comp_targetILNS1_3genE4ELNS1_11target_archE910ELNS1_3gpuE8ELNS1_3repE0EEENS1_30default_config_static_selectorELNS0_4arch9wavefront6targetE1EEEvT1_ ; -- Begin function _ZN7rocprim17ROCPRIM_400000_NS6detail17trampoline_kernelINS0_14default_configENS1_20scan_config_selectorIyEEZZNS1_9scan_implILNS1_25lookback_scan_determinismE0ELb1ELb1ES3_N6thrust23THRUST_200600_302600_NS6detail15normal_iteratorINS9_10device_ptrIyEEEESE_yNS9_4plusIvEEyEEDaPvRmT3_T4_T5_mT6_P12ihipStream_tbENKUlT_T0_E_clISt17integral_constantIbLb1EESU_EEDaSP_SQ_EUlSP_E0_NS1_11comp_targetILNS1_3genE4ELNS1_11target_archE910ELNS1_3gpuE8ELNS1_3repE0EEENS1_30default_config_static_selectorELNS0_4arch9wavefront6targetE1EEEvT1_
	.globl	_ZN7rocprim17ROCPRIM_400000_NS6detail17trampoline_kernelINS0_14default_configENS1_20scan_config_selectorIyEEZZNS1_9scan_implILNS1_25lookback_scan_determinismE0ELb1ELb1ES3_N6thrust23THRUST_200600_302600_NS6detail15normal_iteratorINS9_10device_ptrIyEEEESE_yNS9_4plusIvEEyEEDaPvRmT3_T4_T5_mT6_P12ihipStream_tbENKUlT_T0_E_clISt17integral_constantIbLb1EESU_EEDaSP_SQ_EUlSP_E0_NS1_11comp_targetILNS1_3genE4ELNS1_11target_archE910ELNS1_3gpuE8ELNS1_3repE0EEENS1_30default_config_static_selectorELNS0_4arch9wavefront6targetE1EEEvT1_
	.p2align	8
	.type	_ZN7rocprim17ROCPRIM_400000_NS6detail17trampoline_kernelINS0_14default_configENS1_20scan_config_selectorIyEEZZNS1_9scan_implILNS1_25lookback_scan_determinismE0ELb1ELb1ES3_N6thrust23THRUST_200600_302600_NS6detail15normal_iteratorINS9_10device_ptrIyEEEESE_yNS9_4plusIvEEyEEDaPvRmT3_T4_T5_mT6_P12ihipStream_tbENKUlT_T0_E_clISt17integral_constantIbLb1EESU_EEDaSP_SQ_EUlSP_E0_NS1_11comp_targetILNS1_3genE4ELNS1_11target_archE910ELNS1_3gpuE8ELNS1_3repE0EEENS1_30default_config_static_selectorELNS0_4arch9wavefront6targetE1EEEvT1_,@function
_ZN7rocprim17ROCPRIM_400000_NS6detail17trampoline_kernelINS0_14default_configENS1_20scan_config_selectorIyEEZZNS1_9scan_implILNS1_25lookback_scan_determinismE0ELb1ELb1ES3_N6thrust23THRUST_200600_302600_NS6detail15normal_iteratorINS9_10device_ptrIyEEEESE_yNS9_4plusIvEEyEEDaPvRmT3_T4_T5_mT6_P12ihipStream_tbENKUlT_T0_E_clISt17integral_constantIbLb1EESU_EEDaSP_SQ_EUlSP_E0_NS1_11comp_targetILNS1_3genE4ELNS1_11target_archE910ELNS1_3gpuE8ELNS1_3repE0EEENS1_30default_config_static_selectorELNS0_4arch9wavefront6targetE1EEEvT1_: ; @_ZN7rocprim17ROCPRIM_400000_NS6detail17trampoline_kernelINS0_14default_configENS1_20scan_config_selectorIyEEZZNS1_9scan_implILNS1_25lookback_scan_determinismE0ELb1ELb1ES3_N6thrust23THRUST_200600_302600_NS6detail15normal_iteratorINS9_10device_ptrIyEEEESE_yNS9_4plusIvEEyEEDaPvRmT3_T4_T5_mT6_P12ihipStream_tbENKUlT_T0_E_clISt17integral_constantIbLb1EESU_EEDaSP_SQ_EUlSP_E0_NS1_11comp_targetILNS1_3genE4ELNS1_11target_archE910ELNS1_3gpuE8ELNS1_3repE0EEENS1_30default_config_static_selectorELNS0_4arch9wavefront6targetE1EEEvT1_
; %bb.0:
	s_load_dwordx4 s[16:19], s[4:5], 0x0
	v_lshlrev_b32_e32 v20, 3, v0
	s_waitcnt lgkmcnt(0)
	s_load_dwordx2 s[14:15], s[16:17], 0x0
	v_cmp_gt_u32_e32 vcc, s18, v0
	s_waitcnt lgkmcnt(0)
	v_pk_mov_b32 v[2:3], s[14:15], s[14:15] op_sel:[0,1]
	s_and_saveexec_b64 s[0:1], vcc
	s_cbranch_execz .LBB4531_2
; %bb.1:
	global_load_dwordx2 v[2:3], v20, s[16:17]
.LBB4531_2:
	s_or_b64 exec, exec, s[0:1]
	v_or_b32_e32 v1, 0x80, v0
	v_cmp_gt_u32_e64 s[0:1], s18, v1
	v_pk_mov_b32 v[4:5], s[14:15], s[14:15] op_sel:[0,1]
	s_and_saveexec_b64 s[2:3], s[0:1]
	s_cbranch_execz .LBB4531_4
; %bb.3:
	global_load_dwordx2 v[4:5], v20, s[16:17] offset:1024
.LBB4531_4:
	s_or_b64 exec, exec, s[2:3]
	v_or_b32_e32 v1, 0x100, v0
	v_cmp_gt_u32_e64 s[2:3], s18, v1
	v_pk_mov_b32 v[6:7], s[14:15], s[14:15] op_sel:[0,1]
	s_and_saveexec_b64 s[6:7], s[2:3]
	s_cbranch_execz .LBB4531_6
; %bb.5:
	global_load_dwordx2 v[6:7], v20, s[16:17] offset:2048
.LBB4531_6:
	;; [unrolled: 9-line block ×3, first 2 shown]
	s_or_b64 exec, exec, s[6:7]
	v_or_b32_e32 v1, 0x200, v0
	v_cmp_gt_u32_e64 s[6:7], s18, v1
	v_pk_mov_b32 v[10:11], s[14:15], s[14:15] op_sel:[0,1]
	s_and_saveexec_b64 s[8:9], s[6:7]
	s_cbranch_execz .LBB4531_10
; %bb.9:
	v_lshlrev_b32_e32 v1, 3, v1
	global_load_dwordx2 v[10:11], v1, s[16:17]
.LBB4531_10:
	s_or_b64 exec, exec, s[8:9]
	v_or_b32_e32 v1, 0x280, v0
	v_cmp_gt_u32_e64 s[8:9], s18, v1
	v_pk_mov_b32 v[12:13], s[14:15], s[14:15] op_sel:[0,1]
	s_and_saveexec_b64 s[10:11], s[8:9]
	s_cbranch_execz .LBB4531_12
; %bb.11:
	v_lshlrev_b32_e32 v1, 3, v1
	global_load_dwordx2 v[12:13], v1, s[16:17]
.LBB4531_12:
	s_or_b64 exec, exec, s[10:11]
	s_load_dwordx2 s[20:21], s[4:5], 0x10
	v_or_b32_e32 v1, 0x300, v0
	v_cmp_gt_u32_e64 s[10:11], s18, v1
	v_pk_mov_b32 v[14:15], s[14:15], s[14:15] op_sel:[0,1]
	s_and_saveexec_b64 s[14:15], s[10:11]
	s_cbranch_execz .LBB4531_14
; %bb.13:
	v_lshlrev_b32_e32 v1, 3, v1
	global_load_dwordx2 v[14:15], v1, s[16:17]
.LBB4531_14:
	s_or_b64 exec, exec, s[14:15]
	v_mad_u32_u24 v1, v0, 48, v20
	s_waitcnt vmcnt(0)
	ds_write2st64_b64 v20, v[2:3], v[4:5] offset1:2
	ds_write2st64_b64 v20, v[6:7], v[8:9] offset0:4 offset1:6
	ds_write2st64_b64 v20, v[10:11], v[12:13] offset0:8 offset1:10
	ds_write_b64 v20, v[14:15] offset:6144
	s_waitcnt lgkmcnt(0)
	s_barrier
	ds_read2_b64 v[2:5], v1 offset1:1
	ds_read2_b64 v[6:9], v1 offset0:2 offset1:3
	ds_read2_b64 v[10:13], v1 offset0:4 offset1:5
	ds_read_b64 v[14:15], v1 offset:48
	s_load_dwordx2 s[16:17], s[4:5], 0x20
	s_waitcnt lgkmcnt(0)
	v_add_co_u32_e64 v1, s[4:5], v4, v2
	v_addc_co_u32_e64 v16, s[4:5], v5, v3, s[4:5]
	v_add_co_u32_e64 v1, s[4:5], v1, v6
	v_addc_co_u32_e64 v16, s[4:5], v16, v7, s[4:5]
	;; [unrolled: 2-line block ×5, first 2 shown]
	v_add_co_u32_e64 v18, s[4:5], v1, v14
	v_lshrrev_b32_e32 v1, 2, v0
	v_addc_co_u32_e64 v19, s[4:5], v16, v15, s[4:5]
	v_and_b32_e32 v1, 24, v1
	v_add_u32_e32 v1, v20, v1
	v_cmp_gt_u32_e64 s[4:5], 64, v0
	s_barrier
	ds_write_b64 v1, v[18:19]
	s_waitcnt lgkmcnt(0)
	s_barrier
	s_and_saveexec_b64 s[18:19], s[4:5]
	s_cbranch_execz .LBB4531_18
; %bb.15:
	v_lshlrev_b32_e32 v1, 1, v0
	v_lshrrev_b32_e32 v14, 4, v0
	v_add_lshl_u32 v21, v14, v1, 3
	ds_read2_b64 v[14:17], v21 offset1:1
	v_mbcnt_lo_u32_b32 v1, -1, 0
	s_waitcnt lgkmcnt(0)
	v_add_co_u32_e64 v22, s[4:5], v16, v14
	v_addc_co_u32_e64 v23, s[4:5], v17, v15, s[4:5]
	s_nop 0
	v_mov_b32_dpp v16, v22 row_shr:1 row_mask:0xf bank_mask:0xf
	v_add_co_u32_e64 v16, s[4:5], v22, v16
	v_addc_co_u32_e64 v25, s[4:5], 0, v23, s[4:5]
	v_mbcnt_hi_u32_b32 v17, -1, v1
	v_mov_b32_dpp v24, v23 row_shr:1 row_mask:0xf bank_mask:0xf
	v_add_co_u32_e64 v26, s[4:5], 0, v16
	v_and_b32_e32 v1, 15, v17
	v_addc_co_u32_e64 v24, s[4:5], v24, v25, s[4:5]
	v_cmp_eq_u32_e64 s[4:5], 0, v1
	v_cndmask_b32_e64 v16, v16, v22, s[4:5]
	v_cndmask_b32_e64 v24, v24, v23, s[4:5]
	v_cndmask_b32_e64 v25, v26, v22, s[4:5]
	v_mov_b32_dpp v26, v16 row_shr:2 row_mask:0xf bank_mask:0xf
	v_mov_b32_dpp v27, v24 row_shr:2 row_mask:0xf bank_mask:0xf
	v_add_co_u32_e64 v26, s[4:5], v26, v25
	v_addc_co_u32_e64 v27, s[4:5], v27, v24, s[4:5]
	v_cmp_lt_u32_e64 s[4:5], 1, v1
	v_cndmask_b32_e64 v16, v16, v26, s[4:5]
	v_cndmask_b32_e64 v24, v24, v27, s[4:5]
	v_cndmask_b32_e64 v25, v25, v26, s[4:5]
	v_mov_b32_dpp v26, v16 row_shr:4 row_mask:0xf bank_mask:0xf
	v_mov_b32_dpp v27, v24 row_shr:4 row_mask:0xf bank_mask:0xf
	v_add_co_u32_e64 v26, s[4:5], v26, v25
	v_addc_co_u32_e64 v27, s[4:5], v27, v24, s[4:5]
	v_cmp_lt_u32_e64 s[4:5], 3, v1
	v_cndmask_b32_e64 v16, v16, v26, s[4:5]
	v_cndmask_b32_e64 v24, v24, v27, s[4:5]
	v_cndmask_b32_e64 v25, v25, v26, s[4:5]
	v_mov_b32_dpp v26, v16 row_shr:8 row_mask:0xf bank_mask:0xf
	v_mov_b32_dpp v27, v24 row_shr:8 row_mask:0xf bank_mask:0xf
	v_add_co_u32_e64 v26, s[4:5], v26, v25
	v_addc_co_u32_e64 v27, s[4:5], v27, v24, s[4:5]
	v_cmp_lt_u32_e64 s[4:5], 7, v1
	v_cndmask_b32_e64 v28, v16, v26, s[4:5]
	v_cndmask_b32_e64 v1, v24, v27, s[4:5]
	;; [unrolled: 1-line block ×3, first 2 shown]
	v_mov_b32_dpp v24, v28 row_bcast:15 row_mask:0xf bank_mask:0xf
	v_mov_b32_dpp v25, v1 row_bcast:15 row_mask:0xf bank_mask:0xf
	v_add_co_u32_e64 v24, s[4:5], v24, v16
	v_and_b32_e32 v27, 16, v17
	v_addc_co_u32_e64 v26, s[4:5], v25, v1, s[4:5]
	v_cmp_eq_u32_e64 s[4:5], 0, v27
	v_cndmask_b32_e64 v27, v26, v1, s[4:5]
	v_cndmask_b32_e64 v25, v24, v28, s[4:5]
	v_cmp_ne_u32_e64 s[14:15], 0, v17
	v_mov_b32_dpp v27, v27 row_bcast:31 row_mask:0xf bank_mask:0xf
	v_mov_b32_dpp v25, v25 row_bcast:31 row_mask:0xf bank_mask:0xf
	s_and_saveexec_b64 s[22:23], s[14:15]
; %bb.16:
	v_cndmask_b32_e64 v1, v26, v1, s[4:5]
	v_cndmask_b32_e64 v16, v24, v16, s[4:5]
	v_cmp_lt_u32_e64 s[4:5], 31, v17
	v_cndmask_b32_e64 v22, 0, v25, s[4:5]
	v_cndmask_b32_e64 v23, 0, v27, s[4:5]
	v_add_co_u32_e64 v22, s[4:5], v22, v16
	v_addc_co_u32_e64 v23, s[4:5], v23, v1, s[4:5]
; %bb.17:
	s_or_b64 exec, exec, s[22:23]
	v_add_u32_e32 v1, -1, v17
	v_and_b32_e32 v16, 64, v17
	v_cmp_lt_i32_e64 s[4:5], v1, v16
	v_cndmask_b32_e64 v1, v1, v17, s[4:5]
	v_lshlrev_b32_e32 v1, 2, v1
	ds_bpermute_b32 v16, v1, v22
	ds_bpermute_b32 v1, v1, v23
	; wave barrier
	s_waitcnt lgkmcnt(1)
	v_add_co_u32_e64 v14, s[4:5], v14, v16
	v_addc_co_u32_e64 v15, s[4:5], 0, v15, s[4:5]
	v_add_co_u32_e64 v14, s[4:5], 0, v14
	s_waitcnt lgkmcnt(0)
	v_addc_co_u32_e64 v1, s[4:5], v15, v1, s[4:5]
	v_cmp_eq_u32_e64 s[4:5], 0, v0
	v_cndmask_b32_e64 v15, v1, v19, s[4:5]
	v_cndmask_b32_e64 v14, v14, v18, s[4:5]
	ds_write_b64 v21, v[14:15]
	; wave barrier
	ds_read_b64 v[16:17], v21 offset:8
	s_waitcnt lgkmcnt(0)
	v_add_co_u32_e64 v14, s[4:5], v16, v14
	v_addc_co_u32_e64 v15, s[4:5], v17, v15, s[4:5]
	ds_write_b64 v21, v[14:15] offset:8
.LBB4531_18:
	s_or_b64 exec, exec, s[18:19]
	v_mul_u32_u24_e32 v1, 48, v0
	v_cmp_ne_u32_e64 s[4:5], 0, v0
	v_pk_mov_b32 v[14:15], s[20:21], s[20:21] op_sel:[0,1]
	s_waitcnt lgkmcnt(0)
	s_barrier
	s_and_saveexec_b64 s[14:15], s[4:5]
	s_cbranch_execz .LBB4531_20
; %bb.19:
	v_add_u32_e32 v0, -1, v0
	v_lshrrev_b32_e32 v14, 5, v0
	v_add_lshl_u32 v0, v14, v0, 3
	ds_read_b64 v[14:15], v0
	v_mov_b32_e32 v0, s21
	s_waitcnt lgkmcnt(0)
	v_add_co_u32_e64 v14, s[4:5], s20, v14
	v_addc_co_u32_e64 v15, s[4:5], v15, v0, s[4:5]
.LBB4531_20:
	s_or_b64 exec, exec, s[14:15]
	v_add_co_u32_e64 v2, s[4:5], v14, v2
	v_addc_co_u32_e64 v3, s[4:5], v15, v3, s[4:5]
	v_add_co_u32_e64 v4, s[4:5], v2, v4
	v_addc_co_u32_e64 v5, s[4:5], v3, v5, s[4:5]
	;; [unrolled: 2-line block ×5, first 2 shown]
	v_add_co_u32_e64 v12, s[4:5], v10, v12
	v_add_u32_e32 v0, v20, v1
	v_addc_co_u32_e64 v13, s[4:5], v11, v13, s[4:5]
	s_barrier
	ds_write2_b64 v0, v[14:15], v[2:3] offset1:1
	ds_write2_b64 v0, v[4:5], v[6:7] offset0:2 offset1:3
	ds_write2_b64 v0, v[8:9], v[10:11] offset0:4 offset1:5
	ds_write_b64 v0, v[12:13] offset:48
	s_waitcnt lgkmcnt(0)
	s_barrier
	ds_read2st64_b64 v[8:11], v20 offset0:2 offset1:4
	ds_read2st64_b64 v[4:7], v20 offset0:6 offset1:8
	;; [unrolled: 1-line block ×3, first 2 shown]
	v_mov_b32_e32 v13, s17
	v_add_co_u32_e64 v12, s[4:5], s16, v20
	v_addc_co_u32_e64 v13, s[4:5], 0, v13, s[4:5]
	s_and_saveexec_b64 s[4:5], vcc
	s_cbranch_execnz .LBB4531_28
; %bb.21:
	s_or_b64 exec, exec, s[4:5]
	s_and_saveexec_b64 s[4:5], s[0:1]
	s_cbranch_execnz .LBB4531_29
.LBB4531_22:
	s_or_b64 exec, exec, s[4:5]
	s_and_saveexec_b64 s[0:1], s[2:3]
	s_cbranch_execnz .LBB4531_30
.LBB4531_23:
	s_or_b64 exec, exec, s[0:1]
	s_and_saveexec_b64 s[0:1], s[12:13]
	s_cbranch_execnz .LBB4531_31
.LBB4531_24:
	s_or_b64 exec, exec, s[0:1]
	s_and_saveexec_b64 s[0:1], s[6:7]
	s_cbranch_execnz .LBB4531_32
.LBB4531_25:
	s_or_b64 exec, exec, s[0:1]
	s_and_saveexec_b64 s[0:1], s[8:9]
	s_cbranch_execnz .LBB4531_33
.LBB4531_26:
	s_or_b64 exec, exec, s[0:1]
	s_and_saveexec_b64 s[0:1], s[10:11]
	s_cbranch_execnz .LBB4531_34
.LBB4531_27:
	s_endpgm
.LBB4531_28:
	ds_read_b64 v[14:15], v20
	s_waitcnt lgkmcnt(0)
	global_store_dwordx2 v[12:13], v[14:15], off
	s_or_b64 exec, exec, s[4:5]
	s_and_saveexec_b64 s[4:5], s[0:1]
	s_cbranch_execz .LBB4531_22
.LBB4531_29:
	s_waitcnt lgkmcnt(2)
	global_store_dwordx2 v[12:13], v[8:9], off offset:1024
	s_or_b64 exec, exec, s[4:5]
	s_and_saveexec_b64 s[0:1], s[2:3]
	s_cbranch_execz .LBB4531_23
.LBB4531_30:
	s_waitcnt lgkmcnt(2)
	global_store_dwordx2 v[12:13], v[10:11], off offset:2048
	s_or_b64 exec, exec, s[0:1]
	s_and_saveexec_b64 s[0:1], s[12:13]
	s_cbranch_execz .LBB4531_24
.LBB4531_31:
	s_waitcnt lgkmcnt(1)
	global_store_dwordx2 v[12:13], v[4:5], off offset:3072
	s_or_b64 exec, exec, s[0:1]
	s_and_saveexec_b64 s[0:1], s[6:7]
	s_cbranch_execz .LBB4531_25
.LBB4531_32:
	s_waitcnt lgkmcnt(1)
	v_add_co_u32_e32 v4, vcc, 0x1000, v12
	v_addc_co_u32_e32 v5, vcc, 0, v13, vcc
	global_store_dwordx2 v[4:5], v[6:7], off
	s_or_b64 exec, exec, s[0:1]
	s_and_saveexec_b64 s[0:1], s[8:9]
	s_cbranch_execz .LBB4531_26
.LBB4531_33:
	s_waitcnt lgkmcnt(1)
	v_add_co_u32_e32 v4, vcc, 0x1000, v12
	v_addc_co_u32_e32 v5, vcc, 0, v13, vcc
	s_waitcnt lgkmcnt(0)
	global_store_dwordx2 v[4:5], v[0:1], off offset:1024
	s_or_b64 exec, exec, s[0:1]
	s_and_saveexec_b64 s[0:1], s[10:11]
	s_cbranch_execz .LBB4531_27
.LBB4531_34:
	s_waitcnt lgkmcnt(0)
	v_add_co_u32_e32 v0, vcc, 0x1000, v12
	v_addc_co_u32_e32 v1, vcc, 0, v13, vcc
	global_store_dwordx2 v[0:1], v[2:3], off offset:2048
	s_endpgm
	.section	.rodata,"a",@progbits
	.p2align	6, 0x0
	.amdhsa_kernel _ZN7rocprim17ROCPRIM_400000_NS6detail17trampoline_kernelINS0_14default_configENS1_20scan_config_selectorIyEEZZNS1_9scan_implILNS1_25lookback_scan_determinismE0ELb1ELb1ES3_N6thrust23THRUST_200600_302600_NS6detail15normal_iteratorINS9_10device_ptrIyEEEESE_yNS9_4plusIvEEyEEDaPvRmT3_T4_T5_mT6_P12ihipStream_tbENKUlT_T0_E_clISt17integral_constantIbLb1EESU_EEDaSP_SQ_EUlSP_E0_NS1_11comp_targetILNS1_3genE4ELNS1_11target_archE910ELNS1_3gpuE8ELNS1_3repE0EEENS1_30default_config_static_selectorELNS0_4arch9wavefront6targetE1EEEvT1_
		.amdhsa_group_segment_fixed_size 7168
		.amdhsa_private_segment_fixed_size 0
		.amdhsa_kernarg_size 40
		.amdhsa_user_sgpr_count 6
		.amdhsa_user_sgpr_private_segment_buffer 1
		.amdhsa_user_sgpr_dispatch_ptr 0
		.amdhsa_user_sgpr_queue_ptr 0
		.amdhsa_user_sgpr_kernarg_segment_ptr 1
		.amdhsa_user_sgpr_dispatch_id 0
		.amdhsa_user_sgpr_flat_scratch_init 0
		.amdhsa_user_sgpr_kernarg_preload_length 0
		.amdhsa_user_sgpr_kernarg_preload_offset 0
		.amdhsa_user_sgpr_private_segment_size 0
		.amdhsa_uses_dynamic_stack 0
		.amdhsa_system_sgpr_private_segment_wavefront_offset 0
		.amdhsa_system_sgpr_workgroup_id_x 1
		.amdhsa_system_sgpr_workgroup_id_y 0
		.amdhsa_system_sgpr_workgroup_id_z 0
		.amdhsa_system_sgpr_workgroup_info 0
		.amdhsa_system_vgpr_workitem_id 0
		.amdhsa_next_free_vgpr 29
		.amdhsa_next_free_sgpr 24
		.amdhsa_accum_offset 32
		.amdhsa_reserve_vcc 1
		.amdhsa_reserve_flat_scratch 0
		.amdhsa_float_round_mode_32 0
		.amdhsa_float_round_mode_16_64 0
		.amdhsa_float_denorm_mode_32 3
		.amdhsa_float_denorm_mode_16_64 3
		.amdhsa_dx10_clamp 1
		.amdhsa_ieee_mode 1
		.amdhsa_fp16_overflow 0
		.amdhsa_tg_split 0
		.amdhsa_exception_fp_ieee_invalid_op 0
		.amdhsa_exception_fp_denorm_src 0
		.amdhsa_exception_fp_ieee_div_zero 0
		.amdhsa_exception_fp_ieee_overflow 0
		.amdhsa_exception_fp_ieee_underflow 0
		.amdhsa_exception_fp_ieee_inexact 0
		.amdhsa_exception_int_div_zero 0
	.end_amdhsa_kernel
	.section	.text._ZN7rocprim17ROCPRIM_400000_NS6detail17trampoline_kernelINS0_14default_configENS1_20scan_config_selectorIyEEZZNS1_9scan_implILNS1_25lookback_scan_determinismE0ELb1ELb1ES3_N6thrust23THRUST_200600_302600_NS6detail15normal_iteratorINS9_10device_ptrIyEEEESE_yNS9_4plusIvEEyEEDaPvRmT3_T4_T5_mT6_P12ihipStream_tbENKUlT_T0_E_clISt17integral_constantIbLb1EESU_EEDaSP_SQ_EUlSP_E0_NS1_11comp_targetILNS1_3genE4ELNS1_11target_archE910ELNS1_3gpuE8ELNS1_3repE0EEENS1_30default_config_static_selectorELNS0_4arch9wavefront6targetE1EEEvT1_,"axG",@progbits,_ZN7rocprim17ROCPRIM_400000_NS6detail17trampoline_kernelINS0_14default_configENS1_20scan_config_selectorIyEEZZNS1_9scan_implILNS1_25lookback_scan_determinismE0ELb1ELb1ES3_N6thrust23THRUST_200600_302600_NS6detail15normal_iteratorINS9_10device_ptrIyEEEESE_yNS9_4plusIvEEyEEDaPvRmT3_T4_T5_mT6_P12ihipStream_tbENKUlT_T0_E_clISt17integral_constantIbLb1EESU_EEDaSP_SQ_EUlSP_E0_NS1_11comp_targetILNS1_3genE4ELNS1_11target_archE910ELNS1_3gpuE8ELNS1_3repE0EEENS1_30default_config_static_selectorELNS0_4arch9wavefront6targetE1EEEvT1_,comdat
.Lfunc_end4531:
	.size	_ZN7rocprim17ROCPRIM_400000_NS6detail17trampoline_kernelINS0_14default_configENS1_20scan_config_selectorIyEEZZNS1_9scan_implILNS1_25lookback_scan_determinismE0ELb1ELb1ES3_N6thrust23THRUST_200600_302600_NS6detail15normal_iteratorINS9_10device_ptrIyEEEESE_yNS9_4plusIvEEyEEDaPvRmT3_T4_T5_mT6_P12ihipStream_tbENKUlT_T0_E_clISt17integral_constantIbLb1EESU_EEDaSP_SQ_EUlSP_E0_NS1_11comp_targetILNS1_3genE4ELNS1_11target_archE910ELNS1_3gpuE8ELNS1_3repE0EEENS1_30default_config_static_selectorELNS0_4arch9wavefront6targetE1EEEvT1_, .Lfunc_end4531-_ZN7rocprim17ROCPRIM_400000_NS6detail17trampoline_kernelINS0_14default_configENS1_20scan_config_selectorIyEEZZNS1_9scan_implILNS1_25lookback_scan_determinismE0ELb1ELb1ES3_N6thrust23THRUST_200600_302600_NS6detail15normal_iteratorINS9_10device_ptrIyEEEESE_yNS9_4plusIvEEyEEDaPvRmT3_T4_T5_mT6_P12ihipStream_tbENKUlT_T0_E_clISt17integral_constantIbLb1EESU_EEDaSP_SQ_EUlSP_E0_NS1_11comp_targetILNS1_3genE4ELNS1_11target_archE910ELNS1_3gpuE8ELNS1_3repE0EEENS1_30default_config_static_selectorELNS0_4arch9wavefront6targetE1EEEvT1_
                                        ; -- End function
	.section	.AMDGPU.csdata,"",@progbits
; Kernel info:
; codeLenInByte = 1796
; NumSgprs: 28
; NumVgprs: 29
; NumAgprs: 0
; TotalNumVgprs: 29
; ScratchSize: 0
; MemoryBound: 0
; FloatMode: 240
; IeeeMode: 1
; LDSByteSize: 7168 bytes/workgroup (compile time only)
; SGPRBlocks: 3
; VGPRBlocks: 3
; NumSGPRsForWavesPerEU: 28
; NumVGPRsForWavesPerEU: 29
; AccumOffset: 32
; Occupancy: 5
; WaveLimiterHint : 0
; COMPUTE_PGM_RSRC2:SCRATCH_EN: 0
; COMPUTE_PGM_RSRC2:USER_SGPR: 6
; COMPUTE_PGM_RSRC2:TRAP_HANDLER: 0
; COMPUTE_PGM_RSRC2:TGID_X_EN: 1
; COMPUTE_PGM_RSRC2:TGID_Y_EN: 0
; COMPUTE_PGM_RSRC2:TGID_Z_EN: 0
; COMPUTE_PGM_RSRC2:TIDIG_COMP_CNT: 0
; COMPUTE_PGM_RSRC3_GFX90A:ACCUM_OFFSET: 7
; COMPUTE_PGM_RSRC3_GFX90A:TG_SPLIT: 0
	.section	.text._ZN7rocprim17ROCPRIM_400000_NS6detail17trampoline_kernelINS0_14default_configENS1_20scan_config_selectorIyEEZZNS1_9scan_implILNS1_25lookback_scan_determinismE0ELb1ELb1ES3_N6thrust23THRUST_200600_302600_NS6detail15normal_iteratorINS9_10device_ptrIyEEEESE_yNS9_4plusIvEEyEEDaPvRmT3_T4_T5_mT6_P12ihipStream_tbENKUlT_T0_E_clISt17integral_constantIbLb1EESU_EEDaSP_SQ_EUlSP_E0_NS1_11comp_targetILNS1_3genE3ELNS1_11target_archE908ELNS1_3gpuE7ELNS1_3repE0EEENS1_30default_config_static_selectorELNS0_4arch9wavefront6targetE1EEEvT1_,"axG",@progbits,_ZN7rocprim17ROCPRIM_400000_NS6detail17trampoline_kernelINS0_14default_configENS1_20scan_config_selectorIyEEZZNS1_9scan_implILNS1_25lookback_scan_determinismE0ELb1ELb1ES3_N6thrust23THRUST_200600_302600_NS6detail15normal_iteratorINS9_10device_ptrIyEEEESE_yNS9_4plusIvEEyEEDaPvRmT3_T4_T5_mT6_P12ihipStream_tbENKUlT_T0_E_clISt17integral_constantIbLb1EESU_EEDaSP_SQ_EUlSP_E0_NS1_11comp_targetILNS1_3genE3ELNS1_11target_archE908ELNS1_3gpuE7ELNS1_3repE0EEENS1_30default_config_static_selectorELNS0_4arch9wavefront6targetE1EEEvT1_,comdat
	.protected	_ZN7rocprim17ROCPRIM_400000_NS6detail17trampoline_kernelINS0_14default_configENS1_20scan_config_selectorIyEEZZNS1_9scan_implILNS1_25lookback_scan_determinismE0ELb1ELb1ES3_N6thrust23THRUST_200600_302600_NS6detail15normal_iteratorINS9_10device_ptrIyEEEESE_yNS9_4plusIvEEyEEDaPvRmT3_T4_T5_mT6_P12ihipStream_tbENKUlT_T0_E_clISt17integral_constantIbLb1EESU_EEDaSP_SQ_EUlSP_E0_NS1_11comp_targetILNS1_3genE3ELNS1_11target_archE908ELNS1_3gpuE7ELNS1_3repE0EEENS1_30default_config_static_selectorELNS0_4arch9wavefront6targetE1EEEvT1_ ; -- Begin function _ZN7rocprim17ROCPRIM_400000_NS6detail17trampoline_kernelINS0_14default_configENS1_20scan_config_selectorIyEEZZNS1_9scan_implILNS1_25lookback_scan_determinismE0ELb1ELb1ES3_N6thrust23THRUST_200600_302600_NS6detail15normal_iteratorINS9_10device_ptrIyEEEESE_yNS9_4plusIvEEyEEDaPvRmT3_T4_T5_mT6_P12ihipStream_tbENKUlT_T0_E_clISt17integral_constantIbLb1EESU_EEDaSP_SQ_EUlSP_E0_NS1_11comp_targetILNS1_3genE3ELNS1_11target_archE908ELNS1_3gpuE7ELNS1_3repE0EEENS1_30default_config_static_selectorELNS0_4arch9wavefront6targetE1EEEvT1_
	.globl	_ZN7rocprim17ROCPRIM_400000_NS6detail17trampoline_kernelINS0_14default_configENS1_20scan_config_selectorIyEEZZNS1_9scan_implILNS1_25lookback_scan_determinismE0ELb1ELb1ES3_N6thrust23THRUST_200600_302600_NS6detail15normal_iteratorINS9_10device_ptrIyEEEESE_yNS9_4plusIvEEyEEDaPvRmT3_T4_T5_mT6_P12ihipStream_tbENKUlT_T0_E_clISt17integral_constantIbLb1EESU_EEDaSP_SQ_EUlSP_E0_NS1_11comp_targetILNS1_3genE3ELNS1_11target_archE908ELNS1_3gpuE7ELNS1_3repE0EEENS1_30default_config_static_selectorELNS0_4arch9wavefront6targetE1EEEvT1_
	.p2align	8
	.type	_ZN7rocprim17ROCPRIM_400000_NS6detail17trampoline_kernelINS0_14default_configENS1_20scan_config_selectorIyEEZZNS1_9scan_implILNS1_25lookback_scan_determinismE0ELb1ELb1ES3_N6thrust23THRUST_200600_302600_NS6detail15normal_iteratorINS9_10device_ptrIyEEEESE_yNS9_4plusIvEEyEEDaPvRmT3_T4_T5_mT6_P12ihipStream_tbENKUlT_T0_E_clISt17integral_constantIbLb1EESU_EEDaSP_SQ_EUlSP_E0_NS1_11comp_targetILNS1_3genE3ELNS1_11target_archE908ELNS1_3gpuE7ELNS1_3repE0EEENS1_30default_config_static_selectorELNS0_4arch9wavefront6targetE1EEEvT1_,@function
_ZN7rocprim17ROCPRIM_400000_NS6detail17trampoline_kernelINS0_14default_configENS1_20scan_config_selectorIyEEZZNS1_9scan_implILNS1_25lookback_scan_determinismE0ELb1ELb1ES3_N6thrust23THRUST_200600_302600_NS6detail15normal_iteratorINS9_10device_ptrIyEEEESE_yNS9_4plusIvEEyEEDaPvRmT3_T4_T5_mT6_P12ihipStream_tbENKUlT_T0_E_clISt17integral_constantIbLb1EESU_EEDaSP_SQ_EUlSP_E0_NS1_11comp_targetILNS1_3genE3ELNS1_11target_archE908ELNS1_3gpuE7ELNS1_3repE0EEENS1_30default_config_static_selectorELNS0_4arch9wavefront6targetE1EEEvT1_: ; @_ZN7rocprim17ROCPRIM_400000_NS6detail17trampoline_kernelINS0_14default_configENS1_20scan_config_selectorIyEEZZNS1_9scan_implILNS1_25lookback_scan_determinismE0ELb1ELb1ES3_N6thrust23THRUST_200600_302600_NS6detail15normal_iteratorINS9_10device_ptrIyEEEESE_yNS9_4plusIvEEyEEDaPvRmT3_T4_T5_mT6_P12ihipStream_tbENKUlT_T0_E_clISt17integral_constantIbLb1EESU_EEDaSP_SQ_EUlSP_E0_NS1_11comp_targetILNS1_3genE3ELNS1_11target_archE908ELNS1_3gpuE7ELNS1_3repE0EEENS1_30default_config_static_selectorELNS0_4arch9wavefront6targetE1EEEvT1_
; %bb.0:
	.section	.rodata,"a",@progbits
	.p2align	6, 0x0
	.amdhsa_kernel _ZN7rocprim17ROCPRIM_400000_NS6detail17trampoline_kernelINS0_14default_configENS1_20scan_config_selectorIyEEZZNS1_9scan_implILNS1_25lookback_scan_determinismE0ELb1ELb1ES3_N6thrust23THRUST_200600_302600_NS6detail15normal_iteratorINS9_10device_ptrIyEEEESE_yNS9_4plusIvEEyEEDaPvRmT3_T4_T5_mT6_P12ihipStream_tbENKUlT_T0_E_clISt17integral_constantIbLb1EESU_EEDaSP_SQ_EUlSP_E0_NS1_11comp_targetILNS1_3genE3ELNS1_11target_archE908ELNS1_3gpuE7ELNS1_3repE0EEENS1_30default_config_static_selectorELNS0_4arch9wavefront6targetE1EEEvT1_
		.amdhsa_group_segment_fixed_size 0
		.amdhsa_private_segment_fixed_size 0
		.amdhsa_kernarg_size 40
		.amdhsa_user_sgpr_count 6
		.amdhsa_user_sgpr_private_segment_buffer 1
		.amdhsa_user_sgpr_dispatch_ptr 0
		.amdhsa_user_sgpr_queue_ptr 0
		.amdhsa_user_sgpr_kernarg_segment_ptr 1
		.amdhsa_user_sgpr_dispatch_id 0
		.amdhsa_user_sgpr_flat_scratch_init 0
		.amdhsa_user_sgpr_kernarg_preload_length 0
		.amdhsa_user_sgpr_kernarg_preload_offset 0
		.amdhsa_user_sgpr_private_segment_size 0
		.amdhsa_uses_dynamic_stack 0
		.amdhsa_system_sgpr_private_segment_wavefront_offset 0
		.amdhsa_system_sgpr_workgroup_id_x 1
		.amdhsa_system_sgpr_workgroup_id_y 0
		.amdhsa_system_sgpr_workgroup_id_z 0
		.amdhsa_system_sgpr_workgroup_info 0
		.amdhsa_system_vgpr_workitem_id 0
		.amdhsa_next_free_vgpr 1
		.amdhsa_next_free_sgpr 0
		.amdhsa_accum_offset 4
		.amdhsa_reserve_vcc 0
		.amdhsa_reserve_flat_scratch 0
		.amdhsa_float_round_mode_32 0
		.amdhsa_float_round_mode_16_64 0
		.amdhsa_float_denorm_mode_32 3
		.amdhsa_float_denorm_mode_16_64 3
		.amdhsa_dx10_clamp 1
		.amdhsa_ieee_mode 1
		.amdhsa_fp16_overflow 0
		.amdhsa_tg_split 0
		.amdhsa_exception_fp_ieee_invalid_op 0
		.amdhsa_exception_fp_denorm_src 0
		.amdhsa_exception_fp_ieee_div_zero 0
		.amdhsa_exception_fp_ieee_overflow 0
		.amdhsa_exception_fp_ieee_underflow 0
		.amdhsa_exception_fp_ieee_inexact 0
		.amdhsa_exception_int_div_zero 0
	.end_amdhsa_kernel
	.section	.text._ZN7rocprim17ROCPRIM_400000_NS6detail17trampoline_kernelINS0_14default_configENS1_20scan_config_selectorIyEEZZNS1_9scan_implILNS1_25lookback_scan_determinismE0ELb1ELb1ES3_N6thrust23THRUST_200600_302600_NS6detail15normal_iteratorINS9_10device_ptrIyEEEESE_yNS9_4plusIvEEyEEDaPvRmT3_T4_T5_mT6_P12ihipStream_tbENKUlT_T0_E_clISt17integral_constantIbLb1EESU_EEDaSP_SQ_EUlSP_E0_NS1_11comp_targetILNS1_3genE3ELNS1_11target_archE908ELNS1_3gpuE7ELNS1_3repE0EEENS1_30default_config_static_selectorELNS0_4arch9wavefront6targetE1EEEvT1_,"axG",@progbits,_ZN7rocprim17ROCPRIM_400000_NS6detail17trampoline_kernelINS0_14default_configENS1_20scan_config_selectorIyEEZZNS1_9scan_implILNS1_25lookback_scan_determinismE0ELb1ELb1ES3_N6thrust23THRUST_200600_302600_NS6detail15normal_iteratorINS9_10device_ptrIyEEEESE_yNS9_4plusIvEEyEEDaPvRmT3_T4_T5_mT6_P12ihipStream_tbENKUlT_T0_E_clISt17integral_constantIbLb1EESU_EEDaSP_SQ_EUlSP_E0_NS1_11comp_targetILNS1_3genE3ELNS1_11target_archE908ELNS1_3gpuE7ELNS1_3repE0EEENS1_30default_config_static_selectorELNS0_4arch9wavefront6targetE1EEEvT1_,comdat
.Lfunc_end4532:
	.size	_ZN7rocprim17ROCPRIM_400000_NS6detail17trampoline_kernelINS0_14default_configENS1_20scan_config_selectorIyEEZZNS1_9scan_implILNS1_25lookback_scan_determinismE0ELb1ELb1ES3_N6thrust23THRUST_200600_302600_NS6detail15normal_iteratorINS9_10device_ptrIyEEEESE_yNS9_4plusIvEEyEEDaPvRmT3_T4_T5_mT6_P12ihipStream_tbENKUlT_T0_E_clISt17integral_constantIbLb1EESU_EEDaSP_SQ_EUlSP_E0_NS1_11comp_targetILNS1_3genE3ELNS1_11target_archE908ELNS1_3gpuE7ELNS1_3repE0EEENS1_30default_config_static_selectorELNS0_4arch9wavefront6targetE1EEEvT1_, .Lfunc_end4532-_ZN7rocprim17ROCPRIM_400000_NS6detail17trampoline_kernelINS0_14default_configENS1_20scan_config_selectorIyEEZZNS1_9scan_implILNS1_25lookback_scan_determinismE0ELb1ELb1ES3_N6thrust23THRUST_200600_302600_NS6detail15normal_iteratorINS9_10device_ptrIyEEEESE_yNS9_4plusIvEEyEEDaPvRmT3_T4_T5_mT6_P12ihipStream_tbENKUlT_T0_E_clISt17integral_constantIbLb1EESU_EEDaSP_SQ_EUlSP_E0_NS1_11comp_targetILNS1_3genE3ELNS1_11target_archE908ELNS1_3gpuE7ELNS1_3repE0EEENS1_30default_config_static_selectorELNS0_4arch9wavefront6targetE1EEEvT1_
                                        ; -- End function
	.section	.AMDGPU.csdata,"",@progbits
; Kernel info:
; codeLenInByte = 0
; NumSgprs: 4
; NumVgprs: 0
; NumAgprs: 0
; TotalNumVgprs: 0
; ScratchSize: 0
; MemoryBound: 0
; FloatMode: 240
; IeeeMode: 1
; LDSByteSize: 0 bytes/workgroup (compile time only)
; SGPRBlocks: 0
; VGPRBlocks: 0
; NumSGPRsForWavesPerEU: 4
; NumVGPRsForWavesPerEU: 1
; AccumOffset: 4
; Occupancy: 8
; WaveLimiterHint : 0
; COMPUTE_PGM_RSRC2:SCRATCH_EN: 0
; COMPUTE_PGM_RSRC2:USER_SGPR: 6
; COMPUTE_PGM_RSRC2:TRAP_HANDLER: 0
; COMPUTE_PGM_RSRC2:TGID_X_EN: 1
; COMPUTE_PGM_RSRC2:TGID_Y_EN: 0
; COMPUTE_PGM_RSRC2:TGID_Z_EN: 0
; COMPUTE_PGM_RSRC2:TIDIG_COMP_CNT: 0
; COMPUTE_PGM_RSRC3_GFX90A:ACCUM_OFFSET: 0
; COMPUTE_PGM_RSRC3_GFX90A:TG_SPLIT: 0
	.section	.text._ZN7rocprim17ROCPRIM_400000_NS6detail17trampoline_kernelINS0_14default_configENS1_20scan_config_selectorIyEEZZNS1_9scan_implILNS1_25lookback_scan_determinismE0ELb1ELb1ES3_N6thrust23THRUST_200600_302600_NS6detail15normal_iteratorINS9_10device_ptrIyEEEESE_yNS9_4plusIvEEyEEDaPvRmT3_T4_T5_mT6_P12ihipStream_tbENKUlT_T0_E_clISt17integral_constantIbLb1EESU_EEDaSP_SQ_EUlSP_E0_NS1_11comp_targetILNS1_3genE2ELNS1_11target_archE906ELNS1_3gpuE6ELNS1_3repE0EEENS1_30default_config_static_selectorELNS0_4arch9wavefront6targetE1EEEvT1_,"axG",@progbits,_ZN7rocprim17ROCPRIM_400000_NS6detail17trampoline_kernelINS0_14default_configENS1_20scan_config_selectorIyEEZZNS1_9scan_implILNS1_25lookback_scan_determinismE0ELb1ELb1ES3_N6thrust23THRUST_200600_302600_NS6detail15normal_iteratorINS9_10device_ptrIyEEEESE_yNS9_4plusIvEEyEEDaPvRmT3_T4_T5_mT6_P12ihipStream_tbENKUlT_T0_E_clISt17integral_constantIbLb1EESU_EEDaSP_SQ_EUlSP_E0_NS1_11comp_targetILNS1_3genE2ELNS1_11target_archE906ELNS1_3gpuE6ELNS1_3repE0EEENS1_30default_config_static_selectorELNS0_4arch9wavefront6targetE1EEEvT1_,comdat
	.protected	_ZN7rocprim17ROCPRIM_400000_NS6detail17trampoline_kernelINS0_14default_configENS1_20scan_config_selectorIyEEZZNS1_9scan_implILNS1_25lookback_scan_determinismE0ELb1ELb1ES3_N6thrust23THRUST_200600_302600_NS6detail15normal_iteratorINS9_10device_ptrIyEEEESE_yNS9_4plusIvEEyEEDaPvRmT3_T4_T5_mT6_P12ihipStream_tbENKUlT_T0_E_clISt17integral_constantIbLb1EESU_EEDaSP_SQ_EUlSP_E0_NS1_11comp_targetILNS1_3genE2ELNS1_11target_archE906ELNS1_3gpuE6ELNS1_3repE0EEENS1_30default_config_static_selectorELNS0_4arch9wavefront6targetE1EEEvT1_ ; -- Begin function _ZN7rocprim17ROCPRIM_400000_NS6detail17trampoline_kernelINS0_14default_configENS1_20scan_config_selectorIyEEZZNS1_9scan_implILNS1_25lookback_scan_determinismE0ELb1ELb1ES3_N6thrust23THRUST_200600_302600_NS6detail15normal_iteratorINS9_10device_ptrIyEEEESE_yNS9_4plusIvEEyEEDaPvRmT3_T4_T5_mT6_P12ihipStream_tbENKUlT_T0_E_clISt17integral_constantIbLb1EESU_EEDaSP_SQ_EUlSP_E0_NS1_11comp_targetILNS1_3genE2ELNS1_11target_archE906ELNS1_3gpuE6ELNS1_3repE0EEENS1_30default_config_static_selectorELNS0_4arch9wavefront6targetE1EEEvT1_
	.globl	_ZN7rocprim17ROCPRIM_400000_NS6detail17trampoline_kernelINS0_14default_configENS1_20scan_config_selectorIyEEZZNS1_9scan_implILNS1_25lookback_scan_determinismE0ELb1ELb1ES3_N6thrust23THRUST_200600_302600_NS6detail15normal_iteratorINS9_10device_ptrIyEEEESE_yNS9_4plusIvEEyEEDaPvRmT3_T4_T5_mT6_P12ihipStream_tbENKUlT_T0_E_clISt17integral_constantIbLb1EESU_EEDaSP_SQ_EUlSP_E0_NS1_11comp_targetILNS1_3genE2ELNS1_11target_archE906ELNS1_3gpuE6ELNS1_3repE0EEENS1_30default_config_static_selectorELNS0_4arch9wavefront6targetE1EEEvT1_
	.p2align	8
	.type	_ZN7rocprim17ROCPRIM_400000_NS6detail17trampoline_kernelINS0_14default_configENS1_20scan_config_selectorIyEEZZNS1_9scan_implILNS1_25lookback_scan_determinismE0ELb1ELb1ES3_N6thrust23THRUST_200600_302600_NS6detail15normal_iteratorINS9_10device_ptrIyEEEESE_yNS9_4plusIvEEyEEDaPvRmT3_T4_T5_mT6_P12ihipStream_tbENKUlT_T0_E_clISt17integral_constantIbLb1EESU_EEDaSP_SQ_EUlSP_E0_NS1_11comp_targetILNS1_3genE2ELNS1_11target_archE906ELNS1_3gpuE6ELNS1_3repE0EEENS1_30default_config_static_selectorELNS0_4arch9wavefront6targetE1EEEvT1_,@function
_ZN7rocprim17ROCPRIM_400000_NS6detail17trampoline_kernelINS0_14default_configENS1_20scan_config_selectorIyEEZZNS1_9scan_implILNS1_25lookback_scan_determinismE0ELb1ELb1ES3_N6thrust23THRUST_200600_302600_NS6detail15normal_iteratorINS9_10device_ptrIyEEEESE_yNS9_4plusIvEEyEEDaPvRmT3_T4_T5_mT6_P12ihipStream_tbENKUlT_T0_E_clISt17integral_constantIbLb1EESU_EEDaSP_SQ_EUlSP_E0_NS1_11comp_targetILNS1_3genE2ELNS1_11target_archE906ELNS1_3gpuE6ELNS1_3repE0EEENS1_30default_config_static_selectorELNS0_4arch9wavefront6targetE1EEEvT1_: ; @_ZN7rocprim17ROCPRIM_400000_NS6detail17trampoline_kernelINS0_14default_configENS1_20scan_config_selectorIyEEZZNS1_9scan_implILNS1_25lookback_scan_determinismE0ELb1ELb1ES3_N6thrust23THRUST_200600_302600_NS6detail15normal_iteratorINS9_10device_ptrIyEEEESE_yNS9_4plusIvEEyEEDaPvRmT3_T4_T5_mT6_P12ihipStream_tbENKUlT_T0_E_clISt17integral_constantIbLb1EESU_EEDaSP_SQ_EUlSP_E0_NS1_11comp_targetILNS1_3genE2ELNS1_11target_archE906ELNS1_3gpuE6ELNS1_3repE0EEENS1_30default_config_static_selectorELNS0_4arch9wavefront6targetE1EEEvT1_
; %bb.0:
	.section	.rodata,"a",@progbits
	.p2align	6, 0x0
	.amdhsa_kernel _ZN7rocprim17ROCPRIM_400000_NS6detail17trampoline_kernelINS0_14default_configENS1_20scan_config_selectorIyEEZZNS1_9scan_implILNS1_25lookback_scan_determinismE0ELb1ELb1ES3_N6thrust23THRUST_200600_302600_NS6detail15normal_iteratorINS9_10device_ptrIyEEEESE_yNS9_4plusIvEEyEEDaPvRmT3_T4_T5_mT6_P12ihipStream_tbENKUlT_T0_E_clISt17integral_constantIbLb1EESU_EEDaSP_SQ_EUlSP_E0_NS1_11comp_targetILNS1_3genE2ELNS1_11target_archE906ELNS1_3gpuE6ELNS1_3repE0EEENS1_30default_config_static_selectorELNS0_4arch9wavefront6targetE1EEEvT1_
		.amdhsa_group_segment_fixed_size 0
		.amdhsa_private_segment_fixed_size 0
		.amdhsa_kernarg_size 40
		.amdhsa_user_sgpr_count 6
		.amdhsa_user_sgpr_private_segment_buffer 1
		.amdhsa_user_sgpr_dispatch_ptr 0
		.amdhsa_user_sgpr_queue_ptr 0
		.amdhsa_user_sgpr_kernarg_segment_ptr 1
		.amdhsa_user_sgpr_dispatch_id 0
		.amdhsa_user_sgpr_flat_scratch_init 0
		.amdhsa_user_sgpr_kernarg_preload_length 0
		.amdhsa_user_sgpr_kernarg_preload_offset 0
		.amdhsa_user_sgpr_private_segment_size 0
		.amdhsa_uses_dynamic_stack 0
		.amdhsa_system_sgpr_private_segment_wavefront_offset 0
		.amdhsa_system_sgpr_workgroup_id_x 1
		.amdhsa_system_sgpr_workgroup_id_y 0
		.amdhsa_system_sgpr_workgroup_id_z 0
		.amdhsa_system_sgpr_workgroup_info 0
		.amdhsa_system_vgpr_workitem_id 0
		.amdhsa_next_free_vgpr 1
		.amdhsa_next_free_sgpr 0
		.amdhsa_accum_offset 4
		.amdhsa_reserve_vcc 0
		.amdhsa_reserve_flat_scratch 0
		.amdhsa_float_round_mode_32 0
		.amdhsa_float_round_mode_16_64 0
		.amdhsa_float_denorm_mode_32 3
		.amdhsa_float_denorm_mode_16_64 3
		.amdhsa_dx10_clamp 1
		.amdhsa_ieee_mode 1
		.amdhsa_fp16_overflow 0
		.amdhsa_tg_split 0
		.amdhsa_exception_fp_ieee_invalid_op 0
		.amdhsa_exception_fp_denorm_src 0
		.amdhsa_exception_fp_ieee_div_zero 0
		.amdhsa_exception_fp_ieee_overflow 0
		.amdhsa_exception_fp_ieee_underflow 0
		.amdhsa_exception_fp_ieee_inexact 0
		.amdhsa_exception_int_div_zero 0
	.end_amdhsa_kernel
	.section	.text._ZN7rocprim17ROCPRIM_400000_NS6detail17trampoline_kernelINS0_14default_configENS1_20scan_config_selectorIyEEZZNS1_9scan_implILNS1_25lookback_scan_determinismE0ELb1ELb1ES3_N6thrust23THRUST_200600_302600_NS6detail15normal_iteratorINS9_10device_ptrIyEEEESE_yNS9_4plusIvEEyEEDaPvRmT3_T4_T5_mT6_P12ihipStream_tbENKUlT_T0_E_clISt17integral_constantIbLb1EESU_EEDaSP_SQ_EUlSP_E0_NS1_11comp_targetILNS1_3genE2ELNS1_11target_archE906ELNS1_3gpuE6ELNS1_3repE0EEENS1_30default_config_static_selectorELNS0_4arch9wavefront6targetE1EEEvT1_,"axG",@progbits,_ZN7rocprim17ROCPRIM_400000_NS6detail17trampoline_kernelINS0_14default_configENS1_20scan_config_selectorIyEEZZNS1_9scan_implILNS1_25lookback_scan_determinismE0ELb1ELb1ES3_N6thrust23THRUST_200600_302600_NS6detail15normal_iteratorINS9_10device_ptrIyEEEESE_yNS9_4plusIvEEyEEDaPvRmT3_T4_T5_mT6_P12ihipStream_tbENKUlT_T0_E_clISt17integral_constantIbLb1EESU_EEDaSP_SQ_EUlSP_E0_NS1_11comp_targetILNS1_3genE2ELNS1_11target_archE906ELNS1_3gpuE6ELNS1_3repE0EEENS1_30default_config_static_selectorELNS0_4arch9wavefront6targetE1EEEvT1_,comdat
.Lfunc_end4533:
	.size	_ZN7rocprim17ROCPRIM_400000_NS6detail17trampoline_kernelINS0_14default_configENS1_20scan_config_selectorIyEEZZNS1_9scan_implILNS1_25lookback_scan_determinismE0ELb1ELb1ES3_N6thrust23THRUST_200600_302600_NS6detail15normal_iteratorINS9_10device_ptrIyEEEESE_yNS9_4plusIvEEyEEDaPvRmT3_T4_T5_mT6_P12ihipStream_tbENKUlT_T0_E_clISt17integral_constantIbLb1EESU_EEDaSP_SQ_EUlSP_E0_NS1_11comp_targetILNS1_3genE2ELNS1_11target_archE906ELNS1_3gpuE6ELNS1_3repE0EEENS1_30default_config_static_selectorELNS0_4arch9wavefront6targetE1EEEvT1_, .Lfunc_end4533-_ZN7rocprim17ROCPRIM_400000_NS6detail17trampoline_kernelINS0_14default_configENS1_20scan_config_selectorIyEEZZNS1_9scan_implILNS1_25lookback_scan_determinismE0ELb1ELb1ES3_N6thrust23THRUST_200600_302600_NS6detail15normal_iteratorINS9_10device_ptrIyEEEESE_yNS9_4plusIvEEyEEDaPvRmT3_T4_T5_mT6_P12ihipStream_tbENKUlT_T0_E_clISt17integral_constantIbLb1EESU_EEDaSP_SQ_EUlSP_E0_NS1_11comp_targetILNS1_3genE2ELNS1_11target_archE906ELNS1_3gpuE6ELNS1_3repE0EEENS1_30default_config_static_selectorELNS0_4arch9wavefront6targetE1EEEvT1_
                                        ; -- End function
	.section	.AMDGPU.csdata,"",@progbits
; Kernel info:
; codeLenInByte = 0
; NumSgprs: 4
; NumVgprs: 0
; NumAgprs: 0
; TotalNumVgprs: 0
; ScratchSize: 0
; MemoryBound: 0
; FloatMode: 240
; IeeeMode: 1
; LDSByteSize: 0 bytes/workgroup (compile time only)
; SGPRBlocks: 0
; VGPRBlocks: 0
; NumSGPRsForWavesPerEU: 4
; NumVGPRsForWavesPerEU: 1
; AccumOffset: 4
; Occupancy: 8
; WaveLimiterHint : 0
; COMPUTE_PGM_RSRC2:SCRATCH_EN: 0
; COMPUTE_PGM_RSRC2:USER_SGPR: 6
; COMPUTE_PGM_RSRC2:TRAP_HANDLER: 0
; COMPUTE_PGM_RSRC2:TGID_X_EN: 1
; COMPUTE_PGM_RSRC2:TGID_Y_EN: 0
; COMPUTE_PGM_RSRC2:TGID_Z_EN: 0
; COMPUTE_PGM_RSRC2:TIDIG_COMP_CNT: 0
; COMPUTE_PGM_RSRC3_GFX90A:ACCUM_OFFSET: 0
; COMPUTE_PGM_RSRC3_GFX90A:TG_SPLIT: 0
	.section	.text._ZN7rocprim17ROCPRIM_400000_NS6detail17trampoline_kernelINS0_14default_configENS1_20scan_config_selectorIyEEZZNS1_9scan_implILNS1_25lookback_scan_determinismE0ELb1ELb1ES3_N6thrust23THRUST_200600_302600_NS6detail15normal_iteratorINS9_10device_ptrIyEEEESE_yNS9_4plusIvEEyEEDaPvRmT3_T4_T5_mT6_P12ihipStream_tbENKUlT_T0_E_clISt17integral_constantIbLb1EESU_EEDaSP_SQ_EUlSP_E0_NS1_11comp_targetILNS1_3genE10ELNS1_11target_archE1201ELNS1_3gpuE5ELNS1_3repE0EEENS1_30default_config_static_selectorELNS0_4arch9wavefront6targetE1EEEvT1_,"axG",@progbits,_ZN7rocprim17ROCPRIM_400000_NS6detail17trampoline_kernelINS0_14default_configENS1_20scan_config_selectorIyEEZZNS1_9scan_implILNS1_25lookback_scan_determinismE0ELb1ELb1ES3_N6thrust23THRUST_200600_302600_NS6detail15normal_iteratorINS9_10device_ptrIyEEEESE_yNS9_4plusIvEEyEEDaPvRmT3_T4_T5_mT6_P12ihipStream_tbENKUlT_T0_E_clISt17integral_constantIbLb1EESU_EEDaSP_SQ_EUlSP_E0_NS1_11comp_targetILNS1_3genE10ELNS1_11target_archE1201ELNS1_3gpuE5ELNS1_3repE0EEENS1_30default_config_static_selectorELNS0_4arch9wavefront6targetE1EEEvT1_,comdat
	.protected	_ZN7rocprim17ROCPRIM_400000_NS6detail17trampoline_kernelINS0_14default_configENS1_20scan_config_selectorIyEEZZNS1_9scan_implILNS1_25lookback_scan_determinismE0ELb1ELb1ES3_N6thrust23THRUST_200600_302600_NS6detail15normal_iteratorINS9_10device_ptrIyEEEESE_yNS9_4plusIvEEyEEDaPvRmT3_T4_T5_mT6_P12ihipStream_tbENKUlT_T0_E_clISt17integral_constantIbLb1EESU_EEDaSP_SQ_EUlSP_E0_NS1_11comp_targetILNS1_3genE10ELNS1_11target_archE1201ELNS1_3gpuE5ELNS1_3repE0EEENS1_30default_config_static_selectorELNS0_4arch9wavefront6targetE1EEEvT1_ ; -- Begin function _ZN7rocprim17ROCPRIM_400000_NS6detail17trampoline_kernelINS0_14default_configENS1_20scan_config_selectorIyEEZZNS1_9scan_implILNS1_25lookback_scan_determinismE0ELb1ELb1ES3_N6thrust23THRUST_200600_302600_NS6detail15normal_iteratorINS9_10device_ptrIyEEEESE_yNS9_4plusIvEEyEEDaPvRmT3_T4_T5_mT6_P12ihipStream_tbENKUlT_T0_E_clISt17integral_constantIbLb1EESU_EEDaSP_SQ_EUlSP_E0_NS1_11comp_targetILNS1_3genE10ELNS1_11target_archE1201ELNS1_3gpuE5ELNS1_3repE0EEENS1_30default_config_static_selectorELNS0_4arch9wavefront6targetE1EEEvT1_
	.globl	_ZN7rocprim17ROCPRIM_400000_NS6detail17trampoline_kernelINS0_14default_configENS1_20scan_config_selectorIyEEZZNS1_9scan_implILNS1_25lookback_scan_determinismE0ELb1ELb1ES3_N6thrust23THRUST_200600_302600_NS6detail15normal_iteratorINS9_10device_ptrIyEEEESE_yNS9_4plusIvEEyEEDaPvRmT3_T4_T5_mT6_P12ihipStream_tbENKUlT_T0_E_clISt17integral_constantIbLb1EESU_EEDaSP_SQ_EUlSP_E0_NS1_11comp_targetILNS1_3genE10ELNS1_11target_archE1201ELNS1_3gpuE5ELNS1_3repE0EEENS1_30default_config_static_selectorELNS0_4arch9wavefront6targetE1EEEvT1_
	.p2align	8
	.type	_ZN7rocprim17ROCPRIM_400000_NS6detail17trampoline_kernelINS0_14default_configENS1_20scan_config_selectorIyEEZZNS1_9scan_implILNS1_25lookback_scan_determinismE0ELb1ELb1ES3_N6thrust23THRUST_200600_302600_NS6detail15normal_iteratorINS9_10device_ptrIyEEEESE_yNS9_4plusIvEEyEEDaPvRmT3_T4_T5_mT6_P12ihipStream_tbENKUlT_T0_E_clISt17integral_constantIbLb1EESU_EEDaSP_SQ_EUlSP_E0_NS1_11comp_targetILNS1_3genE10ELNS1_11target_archE1201ELNS1_3gpuE5ELNS1_3repE0EEENS1_30default_config_static_selectorELNS0_4arch9wavefront6targetE1EEEvT1_,@function
_ZN7rocprim17ROCPRIM_400000_NS6detail17trampoline_kernelINS0_14default_configENS1_20scan_config_selectorIyEEZZNS1_9scan_implILNS1_25lookback_scan_determinismE0ELb1ELb1ES3_N6thrust23THRUST_200600_302600_NS6detail15normal_iteratorINS9_10device_ptrIyEEEESE_yNS9_4plusIvEEyEEDaPvRmT3_T4_T5_mT6_P12ihipStream_tbENKUlT_T0_E_clISt17integral_constantIbLb1EESU_EEDaSP_SQ_EUlSP_E0_NS1_11comp_targetILNS1_3genE10ELNS1_11target_archE1201ELNS1_3gpuE5ELNS1_3repE0EEENS1_30default_config_static_selectorELNS0_4arch9wavefront6targetE1EEEvT1_: ; @_ZN7rocprim17ROCPRIM_400000_NS6detail17trampoline_kernelINS0_14default_configENS1_20scan_config_selectorIyEEZZNS1_9scan_implILNS1_25lookback_scan_determinismE0ELb1ELb1ES3_N6thrust23THRUST_200600_302600_NS6detail15normal_iteratorINS9_10device_ptrIyEEEESE_yNS9_4plusIvEEyEEDaPvRmT3_T4_T5_mT6_P12ihipStream_tbENKUlT_T0_E_clISt17integral_constantIbLb1EESU_EEDaSP_SQ_EUlSP_E0_NS1_11comp_targetILNS1_3genE10ELNS1_11target_archE1201ELNS1_3gpuE5ELNS1_3repE0EEENS1_30default_config_static_selectorELNS0_4arch9wavefront6targetE1EEEvT1_
; %bb.0:
	.section	.rodata,"a",@progbits
	.p2align	6, 0x0
	.amdhsa_kernel _ZN7rocprim17ROCPRIM_400000_NS6detail17trampoline_kernelINS0_14default_configENS1_20scan_config_selectorIyEEZZNS1_9scan_implILNS1_25lookback_scan_determinismE0ELb1ELb1ES3_N6thrust23THRUST_200600_302600_NS6detail15normal_iteratorINS9_10device_ptrIyEEEESE_yNS9_4plusIvEEyEEDaPvRmT3_T4_T5_mT6_P12ihipStream_tbENKUlT_T0_E_clISt17integral_constantIbLb1EESU_EEDaSP_SQ_EUlSP_E0_NS1_11comp_targetILNS1_3genE10ELNS1_11target_archE1201ELNS1_3gpuE5ELNS1_3repE0EEENS1_30default_config_static_selectorELNS0_4arch9wavefront6targetE1EEEvT1_
		.amdhsa_group_segment_fixed_size 0
		.amdhsa_private_segment_fixed_size 0
		.amdhsa_kernarg_size 40
		.amdhsa_user_sgpr_count 6
		.amdhsa_user_sgpr_private_segment_buffer 1
		.amdhsa_user_sgpr_dispatch_ptr 0
		.amdhsa_user_sgpr_queue_ptr 0
		.amdhsa_user_sgpr_kernarg_segment_ptr 1
		.amdhsa_user_sgpr_dispatch_id 0
		.amdhsa_user_sgpr_flat_scratch_init 0
		.amdhsa_user_sgpr_kernarg_preload_length 0
		.amdhsa_user_sgpr_kernarg_preload_offset 0
		.amdhsa_user_sgpr_private_segment_size 0
		.amdhsa_uses_dynamic_stack 0
		.amdhsa_system_sgpr_private_segment_wavefront_offset 0
		.amdhsa_system_sgpr_workgroup_id_x 1
		.amdhsa_system_sgpr_workgroup_id_y 0
		.amdhsa_system_sgpr_workgroup_id_z 0
		.amdhsa_system_sgpr_workgroup_info 0
		.amdhsa_system_vgpr_workitem_id 0
		.amdhsa_next_free_vgpr 1
		.amdhsa_next_free_sgpr 0
		.amdhsa_accum_offset 4
		.amdhsa_reserve_vcc 0
		.amdhsa_reserve_flat_scratch 0
		.amdhsa_float_round_mode_32 0
		.amdhsa_float_round_mode_16_64 0
		.amdhsa_float_denorm_mode_32 3
		.amdhsa_float_denorm_mode_16_64 3
		.amdhsa_dx10_clamp 1
		.amdhsa_ieee_mode 1
		.amdhsa_fp16_overflow 0
		.amdhsa_tg_split 0
		.amdhsa_exception_fp_ieee_invalid_op 0
		.amdhsa_exception_fp_denorm_src 0
		.amdhsa_exception_fp_ieee_div_zero 0
		.amdhsa_exception_fp_ieee_overflow 0
		.amdhsa_exception_fp_ieee_underflow 0
		.amdhsa_exception_fp_ieee_inexact 0
		.amdhsa_exception_int_div_zero 0
	.end_amdhsa_kernel
	.section	.text._ZN7rocprim17ROCPRIM_400000_NS6detail17trampoline_kernelINS0_14default_configENS1_20scan_config_selectorIyEEZZNS1_9scan_implILNS1_25lookback_scan_determinismE0ELb1ELb1ES3_N6thrust23THRUST_200600_302600_NS6detail15normal_iteratorINS9_10device_ptrIyEEEESE_yNS9_4plusIvEEyEEDaPvRmT3_T4_T5_mT6_P12ihipStream_tbENKUlT_T0_E_clISt17integral_constantIbLb1EESU_EEDaSP_SQ_EUlSP_E0_NS1_11comp_targetILNS1_3genE10ELNS1_11target_archE1201ELNS1_3gpuE5ELNS1_3repE0EEENS1_30default_config_static_selectorELNS0_4arch9wavefront6targetE1EEEvT1_,"axG",@progbits,_ZN7rocprim17ROCPRIM_400000_NS6detail17trampoline_kernelINS0_14default_configENS1_20scan_config_selectorIyEEZZNS1_9scan_implILNS1_25lookback_scan_determinismE0ELb1ELb1ES3_N6thrust23THRUST_200600_302600_NS6detail15normal_iteratorINS9_10device_ptrIyEEEESE_yNS9_4plusIvEEyEEDaPvRmT3_T4_T5_mT6_P12ihipStream_tbENKUlT_T0_E_clISt17integral_constantIbLb1EESU_EEDaSP_SQ_EUlSP_E0_NS1_11comp_targetILNS1_3genE10ELNS1_11target_archE1201ELNS1_3gpuE5ELNS1_3repE0EEENS1_30default_config_static_selectorELNS0_4arch9wavefront6targetE1EEEvT1_,comdat
.Lfunc_end4534:
	.size	_ZN7rocprim17ROCPRIM_400000_NS6detail17trampoline_kernelINS0_14default_configENS1_20scan_config_selectorIyEEZZNS1_9scan_implILNS1_25lookback_scan_determinismE0ELb1ELb1ES3_N6thrust23THRUST_200600_302600_NS6detail15normal_iteratorINS9_10device_ptrIyEEEESE_yNS9_4plusIvEEyEEDaPvRmT3_T4_T5_mT6_P12ihipStream_tbENKUlT_T0_E_clISt17integral_constantIbLb1EESU_EEDaSP_SQ_EUlSP_E0_NS1_11comp_targetILNS1_3genE10ELNS1_11target_archE1201ELNS1_3gpuE5ELNS1_3repE0EEENS1_30default_config_static_selectorELNS0_4arch9wavefront6targetE1EEEvT1_, .Lfunc_end4534-_ZN7rocprim17ROCPRIM_400000_NS6detail17trampoline_kernelINS0_14default_configENS1_20scan_config_selectorIyEEZZNS1_9scan_implILNS1_25lookback_scan_determinismE0ELb1ELb1ES3_N6thrust23THRUST_200600_302600_NS6detail15normal_iteratorINS9_10device_ptrIyEEEESE_yNS9_4plusIvEEyEEDaPvRmT3_T4_T5_mT6_P12ihipStream_tbENKUlT_T0_E_clISt17integral_constantIbLb1EESU_EEDaSP_SQ_EUlSP_E0_NS1_11comp_targetILNS1_3genE10ELNS1_11target_archE1201ELNS1_3gpuE5ELNS1_3repE0EEENS1_30default_config_static_selectorELNS0_4arch9wavefront6targetE1EEEvT1_
                                        ; -- End function
	.section	.AMDGPU.csdata,"",@progbits
; Kernel info:
; codeLenInByte = 0
; NumSgprs: 4
; NumVgprs: 0
; NumAgprs: 0
; TotalNumVgprs: 0
; ScratchSize: 0
; MemoryBound: 0
; FloatMode: 240
; IeeeMode: 1
; LDSByteSize: 0 bytes/workgroup (compile time only)
; SGPRBlocks: 0
; VGPRBlocks: 0
; NumSGPRsForWavesPerEU: 4
; NumVGPRsForWavesPerEU: 1
; AccumOffset: 4
; Occupancy: 8
; WaveLimiterHint : 0
; COMPUTE_PGM_RSRC2:SCRATCH_EN: 0
; COMPUTE_PGM_RSRC2:USER_SGPR: 6
; COMPUTE_PGM_RSRC2:TRAP_HANDLER: 0
; COMPUTE_PGM_RSRC2:TGID_X_EN: 1
; COMPUTE_PGM_RSRC2:TGID_Y_EN: 0
; COMPUTE_PGM_RSRC2:TGID_Z_EN: 0
; COMPUTE_PGM_RSRC2:TIDIG_COMP_CNT: 0
; COMPUTE_PGM_RSRC3_GFX90A:ACCUM_OFFSET: 0
; COMPUTE_PGM_RSRC3_GFX90A:TG_SPLIT: 0
	.section	.text._ZN7rocprim17ROCPRIM_400000_NS6detail17trampoline_kernelINS0_14default_configENS1_20scan_config_selectorIyEEZZNS1_9scan_implILNS1_25lookback_scan_determinismE0ELb1ELb1ES3_N6thrust23THRUST_200600_302600_NS6detail15normal_iteratorINS9_10device_ptrIyEEEESE_yNS9_4plusIvEEyEEDaPvRmT3_T4_T5_mT6_P12ihipStream_tbENKUlT_T0_E_clISt17integral_constantIbLb1EESU_EEDaSP_SQ_EUlSP_E0_NS1_11comp_targetILNS1_3genE10ELNS1_11target_archE1200ELNS1_3gpuE4ELNS1_3repE0EEENS1_30default_config_static_selectorELNS0_4arch9wavefront6targetE1EEEvT1_,"axG",@progbits,_ZN7rocprim17ROCPRIM_400000_NS6detail17trampoline_kernelINS0_14default_configENS1_20scan_config_selectorIyEEZZNS1_9scan_implILNS1_25lookback_scan_determinismE0ELb1ELb1ES3_N6thrust23THRUST_200600_302600_NS6detail15normal_iteratorINS9_10device_ptrIyEEEESE_yNS9_4plusIvEEyEEDaPvRmT3_T4_T5_mT6_P12ihipStream_tbENKUlT_T0_E_clISt17integral_constantIbLb1EESU_EEDaSP_SQ_EUlSP_E0_NS1_11comp_targetILNS1_3genE10ELNS1_11target_archE1200ELNS1_3gpuE4ELNS1_3repE0EEENS1_30default_config_static_selectorELNS0_4arch9wavefront6targetE1EEEvT1_,comdat
	.protected	_ZN7rocprim17ROCPRIM_400000_NS6detail17trampoline_kernelINS0_14default_configENS1_20scan_config_selectorIyEEZZNS1_9scan_implILNS1_25lookback_scan_determinismE0ELb1ELb1ES3_N6thrust23THRUST_200600_302600_NS6detail15normal_iteratorINS9_10device_ptrIyEEEESE_yNS9_4plusIvEEyEEDaPvRmT3_T4_T5_mT6_P12ihipStream_tbENKUlT_T0_E_clISt17integral_constantIbLb1EESU_EEDaSP_SQ_EUlSP_E0_NS1_11comp_targetILNS1_3genE10ELNS1_11target_archE1200ELNS1_3gpuE4ELNS1_3repE0EEENS1_30default_config_static_selectorELNS0_4arch9wavefront6targetE1EEEvT1_ ; -- Begin function _ZN7rocprim17ROCPRIM_400000_NS6detail17trampoline_kernelINS0_14default_configENS1_20scan_config_selectorIyEEZZNS1_9scan_implILNS1_25lookback_scan_determinismE0ELb1ELb1ES3_N6thrust23THRUST_200600_302600_NS6detail15normal_iteratorINS9_10device_ptrIyEEEESE_yNS9_4plusIvEEyEEDaPvRmT3_T4_T5_mT6_P12ihipStream_tbENKUlT_T0_E_clISt17integral_constantIbLb1EESU_EEDaSP_SQ_EUlSP_E0_NS1_11comp_targetILNS1_3genE10ELNS1_11target_archE1200ELNS1_3gpuE4ELNS1_3repE0EEENS1_30default_config_static_selectorELNS0_4arch9wavefront6targetE1EEEvT1_
	.globl	_ZN7rocprim17ROCPRIM_400000_NS6detail17trampoline_kernelINS0_14default_configENS1_20scan_config_selectorIyEEZZNS1_9scan_implILNS1_25lookback_scan_determinismE0ELb1ELb1ES3_N6thrust23THRUST_200600_302600_NS6detail15normal_iteratorINS9_10device_ptrIyEEEESE_yNS9_4plusIvEEyEEDaPvRmT3_T4_T5_mT6_P12ihipStream_tbENKUlT_T0_E_clISt17integral_constantIbLb1EESU_EEDaSP_SQ_EUlSP_E0_NS1_11comp_targetILNS1_3genE10ELNS1_11target_archE1200ELNS1_3gpuE4ELNS1_3repE0EEENS1_30default_config_static_selectorELNS0_4arch9wavefront6targetE1EEEvT1_
	.p2align	8
	.type	_ZN7rocprim17ROCPRIM_400000_NS6detail17trampoline_kernelINS0_14default_configENS1_20scan_config_selectorIyEEZZNS1_9scan_implILNS1_25lookback_scan_determinismE0ELb1ELb1ES3_N6thrust23THRUST_200600_302600_NS6detail15normal_iteratorINS9_10device_ptrIyEEEESE_yNS9_4plusIvEEyEEDaPvRmT3_T4_T5_mT6_P12ihipStream_tbENKUlT_T0_E_clISt17integral_constantIbLb1EESU_EEDaSP_SQ_EUlSP_E0_NS1_11comp_targetILNS1_3genE10ELNS1_11target_archE1200ELNS1_3gpuE4ELNS1_3repE0EEENS1_30default_config_static_selectorELNS0_4arch9wavefront6targetE1EEEvT1_,@function
_ZN7rocprim17ROCPRIM_400000_NS6detail17trampoline_kernelINS0_14default_configENS1_20scan_config_selectorIyEEZZNS1_9scan_implILNS1_25lookback_scan_determinismE0ELb1ELb1ES3_N6thrust23THRUST_200600_302600_NS6detail15normal_iteratorINS9_10device_ptrIyEEEESE_yNS9_4plusIvEEyEEDaPvRmT3_T4_T5_mT6_P12ihipStream_tbENKUlT_T0_E_clISt17integral_constantIbLb1EESU_EEDaSP_SQ_EUlSP_E0_NS1_11comp_targetILNS1_3genE10ELNS1_11target_archE1200ELNS1_3gpuE4ELNS1_3repE0EEENS1_30default_config_static_selectorELNS0_4arch9wavefront6targetE1EEEvT1_: ; @_ZN7rocprim17ROCPRIM_400000_NS6detail17trampoline_kernelINS0_14default_configENS1_20scan_config_selectorIyEEZZNS1_9scan_implILNS1_25lookback_scan_determinismE0ELb1ELb1ES3_N6thrust23THRUST_200600_302600_NS6detail15normal_iteratorINS9_10device_ptrIyEEEESE_yNS9_4plusIvEEyEEDaPvRmT3_T4_T5_mT6_P12ihipStream_tbENKUlT_T0_E_clISt17integral_constantIbLb1EESU_EEDaSP_SQ_EUlSP_E0_NS1_11comp_targetILNS1_3genE10ELNS1_11target_archE1200ELNS1_3gpuE4ELNS1_3repE0EEENS1_30default_config_static_selectorELNS0_4arch9wavefront6targetE1EEEvT1_
; %bb.0:
	.section	.rodata,"a",@progbits
	.p2align	6, 0x0
	.amdhsa_kernel _ZN7rocprim17ROCPRIM_400000_NS6detail17trampoline_kernelINS0_14default_configENS1_20scan_config_selectorIyEEZZNS1_9scan_implILNS1_25lookback_scan_determinismE0ELb1ELb1ES3_N6thrust23THRUST_200600_302600_NS6detail15normal_iteratorINS9_10device_ptrIyEEEESE_yNS9_4plusIvEEyEEDaPvRmT3_T4_T5_mT6_P12ihipStream_tbENKUlT_T0_E_clISt17integral_constantIbLb1EESU_EEDaSP_SQ_EUlSP_E0_NS1_11comp_targetILNS1_3genE10ELNS1_11target_archE1200ELNS1_3gpuE4ELNS1_3repE0EEENS1_30default_config_static_selectorELNS0_4arch9wavefront6targetE1EEEvT1_
		.amdhsa_group_segment_fixed_size 0
		.amdhsa_private_segment_fixed_size 0
		.amdhsa_kernarg_size 40
		.amdhsa_user_sgpr_count 6
		.amdhsa_user_sgpr_private_segment_buffer 1
		.amdhsa_user_sgpr_dispatch_ptr 0
		.amdhsa_user_sgpr_queue_ptr 0
		.amdhsa_user_sgpr_kernarg_segment_ptr 1
		.amdhsa_user_sgpr_dispatch_id 0
		.amdhsa_user_sgpr_flat_scratch_init 0
		.amdhsa_user_sgpr_kernarg_preload_length 0
		.amdhsa_user_sgpr_kernarg_preload_offset 0
		.amdhsa_user_sgpr_private_segment_size 0
		.amdhsa_uses_dynamic_stack 0
		.amdhsa_system_sgpr_private_segment_wavefront_offset 0
		.amdhsa_system_sgpr_workgroup_id_x 1
		.amdhsa_system_sgpr_workgroup_id_y 0
		.amdhsa_system_sgpr_workgroup_id_z 0
		.amdhsa_system_sgpr_workgroup_info 0
		.amdhsa_system_vgpr_workitem_id 0
		.amdhsa_next_free_vgpr 1
		.amdhsa_next_free_sgpr 0
		.amdhsa_accum_offset 4
		.amdhsa_reserve_vcc 0
		.amdhsa_reserve_flat_scratch 0
		.amdhsa_float_round_mode_32 0
		.amdhsa_float_round_mode_16_64 0
		.amdhsa_float_denorm_mode_32 3
		.amdhsa_float_denorm_mode_16_64 3
		.amdhsa_dx10_clamp 1
		.amdhsa_ieee_mode 1
		.amdhsa_fp16_overflow 0
		.amdhsa_tg_split 0
		.amdhsa_exception_fp_ieee_invalid_op 0
		.amdhsa_exception_fp_denorm_src 0
		.amdhsa_exception_fp_ieee_div_zero 0
		.amdhsa_exception_fp_ieee_overflow 0
		.amdhsa_exception_fp_ieee_underflow 0
		.amdhsa_exception_fp_ieee_inexact 0
		.amdhsa_exception_int_div_zero 0
	.end_amdhsa_kernel
	.section	.text._ZN7rocprim17ROCPRIM_400000_NS6detail17trampoline_kernelINS0_14default_configENS1_20scan_config_selectorIyEEZZNS1_9scan_implILNS1_25lookback_scan_determinismE0ELb1ELb1ES3_N6thrust23THRUST_200600_302600_NS6detail15normal_iteratorINS9_10device_ptrIyEEEESE_yNS9_4plusIvEEyEEDaPvRmT3_T4_T5_mT6_P12ihipStream_tbENKUlT_T0_E_clISt17integral_constantIbLb1EESU_EEDaSP_SQ_EUlSP_E0_NS1_11comp_targetILNS1_3genE10ELNS1_11target_archE1200ELNS1_3gpuE4ELNS1_3repE0EEENS1_30default_config_static_selectorELNS0_4arch9wavefront6targetE1EEEvT1_,"axG",@progbits,_ZN7rocprim17ROCPRIM_400000_NS6detail17trampoline_kernelINS0_14default_configENS1_20scan_config_selectorIyEEZZNS1_9scan_implILNS1_25lookback_scan_determinismE0ELb1ELb1ES3_N6thrust23THRUST_200600_302600_NS6detail15normal_iteratorINS9_10device_ptrIyEEEESE_yNS9_4plusIvEEyEEDaPvRmT3_T4_T5_mT6_P12ihipStream_tbENKUlT_T0_E_clISt17integral_constantIbLb1EESU_EEDaSP_SQ_EUlSP_E0_NS1_11comp_targetILNS1_3genE10ELNS1_11target_archE1200ELNS1_3gpuE4ELNS1_3repE0EEENS1_30default_config_static_selectorELNS0_4arch9wavefront6targetE1EEEvT1_,comdat
.Lfunc_end4535:
	.size	_ZN7rocprim17ROCPRIM_400000_NS6detail17trampoline_kernelINS0_14default_configENS1_20scan_config_selectorIyEEZZNS1_9scan_implILNS1_25lookback_scan_determinismE0ELb1ELb1ES3_N6thrust23THRUST_200600_302600_NS6detail15normal_iteratorINS9_10device_ptrIyEEEESE_yNS9_4plusIvEEyEEDaPvRmT3_T4_T5_mT6_P12ihipStream_tbENKUlT_T0_E_clISt17integral_constantIbLb1EESU_EEDaSP_SQ_EUlSP_E0_NS1_11comp_targetILNS1_3genE10ELNS1_11target_archE1200ELNS1_3gpuE4ELNS1_3repE0EEENS1_30default_config_static_selectorELNS0_4arch9wavefront6targetE1EEEvT1_, .Lfunc_end4535-_ZN7rocprim17ROCPRIM_400000_NS6detail17trampoline_kernelINS0_14default_configENS1_20scan_config_selectorIyEEZZNS1_9scan_implILNS1_25lookback_scan_determinismE0ELb1ELb1ES3_N6thrust23THRUST_200600_302600_NS6detail15normal_iteratorINS9_10device_ptrIyEEEESE_yNS9_4plusIvEEyEEDaPvRmT3_T4_T5_mT6_P12ihipStream_tbENKUlT_T0_E_clISt17integral_constantIbLb1EESU_EEDaSP_SQ_EUlSP_E0_NS1_11comp_targetILNS1_3genE10ELNS1_11target_archE1200ELNS1_3gpuE4ELNS1_3repE0EEENS1_30default_config_static_selectorELNS0_4arch9wavefront6targetE1EEEvT1_
                                        ; -- End function
	.section	.AMDGPU.csdata,"",@progbits
; Kernel info:
; codeLenInByte = 0
; NumSgprs: 4
; NumVgprs: 0
; NumAgprs: 0
; TotalNumVgprs: 0
; ScratchSize: 0
; MemoryBound: 0
; FloatMode: 240
; IeeeMode: 1
; LDSByteSize: 0 bytes/workgroup (compile time only)
; SGPRBlocks: 0
; VGPRBlocks: 0
; NumSGPRsForWavesPerEU: 4
; NumVGPRsForWavesPerEU: 1
; AccumOffset: 4
; Occupancy: 8
; WaveLimiterHint : 0
; COMPUTE_PGM_RSRC2:SCRATCH_EN: 0
; COMPUTE_PGM_RSRC2:USER_SGPR: 6
; COMPUTE_PGM_RSRC2:TRAP_HANDLER: 0
; COMPUTE_PGM_RSRC2:TGID_X_EN: 1
; COMPUTE_PGM_RSRC2:TGID_Y_EN: 0
; COMPUTE_PGM_RSRC2:TGID_Z_EN: 0
; COMPUTE_PGM_RSRC2:TIDIG_COMP_CNT: 0
; COMPUTE_PGM_RSRC3_GFX90A:ACCUM_OFFSET: 0
; COMPUTE_PGM_RSRC3_GFX90A:TG_SPLIT: 0
	.section	.text._ZN7rocprim17ROCPRIM_400000_NS6detail17trampoline_kernelINS0_14default_configENS1_20scan_config_selectorIyEEZZNS1_9scan_implILNS1_25lookback_scan_determinismE0ELb1ELb1ES3_N6thrust23THRUST_200600_302600_NS6detail15normal_iteratorINS9_10device_ptrIyEEEESE_yNS9_4plusIvEEyEEDaPvRmT3_T4_T5_mT6_P12ihipStream_tbENKUlT_T0_E_clISt17integral_constantIbLb1EESU_EEDaSP_SQ_EUlSP_E0_NS1_11comp_targetILNS1_3genE9ELNS1_11target_archE1100ELNS1_3gpuE3ELNS1_3repE0EEENS1_30default_config_static_selectorELNS0_4arch9wavefront6targetE1EEEvT1_,"axG",@progbits,_ZN7rocprim17ROCPRIM_400000_NS6detail17trampoline_kernelINS0_14default_configENS1_20scan_config_selectorIyEEZZNS1_9scan_implILNS1_25lookback_scan_determinismE0ELb1ELb1ES3_N6thrust23THRUST_200600_302600_NS6detail15normal_iteratorINS9_10device_ptrIyEEEESE_yNS9_4plusIvEEyEEDaPvRmT3_T4_T5_mT6_P12ihipStream_tbENKUlT_T0_E_clISt17integral_constantIbLb1EESU_EEDaSP_SQ_EUlSP_E0_NS1_11comp_targetILNS1_3genE9ELNS1_11target_archE1100ELNS1_3gpuE3ELNS1_3repE0EEENS1_30default_config_static_selectorELNS0_4arch9wavefront6targetE1EEEvT1_,comdat
	.protected	_ZN7rocprim17ROCPRIM_400000_NS6detail17trampoline_kernelINS0_14default_configENS1_20scan_config_selectorIyEEZZNS1_9scan_implILNS1_25lookback_scan_determinismE0ELb1ELb1ES3_N6thrust23THRUST_200600_302600_NS6detail15normal_iteratorINS9_10device_ptrIyEEEESE_yNS9_4plusIvEEyEEDaPvRmT3_T4_T5_mT6_P12ihipStream_tbENKUlT_T0_E_clISt17integral_constantIbLb1EESU_EEDaSP_SQ_EUlSP_E0_NS1_11comp_targetILNS1_3genE9ELNS1_11target_archE1100ELNS1_3gpuE3ELNS1_3repE0EEENS1_30default_config_static_selectorELNS0_4arch9wavefront6targetE1EEEvT1_ ; -- Begin function _ZN7rocprim17ROCPRIM_400000_NS6detail17trampoline_kernelINS0_14default_configENS1_20scan_config_selectorIyEEZZNS1_9scan_implILNS1_25lookback_scan_determinismE0ELb1ELb1ES3_N6thrust23THRUST_200600_302600_NS6detail15normal_iteratorINS9_10device_ptrIyEEEESE_yNS9_4plusIvEEyEEDaPvRmT3_T4_T5_mT6_P12ihipStream_tbENKUlT_T0_E_clISt17integral_constantIbLb1EESU_EEDaSP_SQ_EUlSP_E0_NS1_11comp_targetILNS1_3genE9ELNS1_11target_archE1100ELNS1_3gpuE3ELNS1_3repE0EEENS1_30default_config_static_selectorELNS0_4arch9wavefront6targetE1EEEvT1_
	.globl	_ZN7rocprim17ROCPRIM_400000_NS6detail17trampoline_kernelINS0_14default_configENS1_20scan_config_selectorIyEEZZNS1_9scan_implILNS1_25lookback_scan_determinismE0ELb1ELb1ES3_N6thrust23THRUST_200600_302600_NS6detail15normal_iteratorINS9_10device_ptrIyEEEESE_yNS9_4plusIvEEyEEDaPvRmT3_T4_T5_mT6_P12ihipStream_tbENKUlT_T0_E_clISt17integral_constantIbLb1EESU_EEDaSP_SQ_EUlSP_E0_NS1_11comp_targetILNS1_3genE9ELNS1_11target_archE1100ELNS1_3gpuE3ELNS1_3repE0EEENS1_30default_config_static_selectorELNS0_4arch9wavefront6targetE1EEEvT1_
	.p2align	8
	.type	_ZN7rocprim17ROCPRIM_400000_NS6detail17trampoline_kernelINS0_14default_configENS1_20scan_config_selectorIyEEZZNS1_9scan_implILNS1_25lookback_scan_determinismE0ELb1ELb1ES3_N6thrust23THRUST_200600_302600_NS6detail15normal_iteratorINS9_10device_ptrIyEEEESE_yNS9_4plusIvEEyEEDaPvRmT3_T4_T5_mT6_P12ihipStream_tbENKUlT_T0_E_clISt17integral_constantIbLb1EESU_EEDaSP_SQ_EUlSP_E0_NS1_11comp_targetILNS1_3genE9ELNS1_11target_archE1100ELNS1_3gpuE3ELNS1_3repE0EEENS1_30default_config_static_selectorELNS0_4arch9wavefront6targetE1EEEvT1_,@function
_ZN7rocprim17ROCPRIM_400000_NS6detail17trampoline_kernelINS0_14default_configENS1_20scan_config_selectorIyEEZZNS1_9scan_implILNS1_25lookback_scan_determinismE0ELb1ELb1ES3_N6thrust23THRUST_200600_302600_NS6detail15normal_iteratorINS9_10device_ptrIyEEEESE_yNS9_4plusIvEEyEEDaPvRmT3_T4_T5_mT6_P12ihipStream_tbENKUlT_T0_E_clISt17integral_constantIbLb1EESU_EEDaSP_SQ_EUlSP_E0_NS1_11comp_targetILNS1_3genE9ELNS1_11target_archE1100ELNS1_3gpuE3ELNS1_3repE0EEENS1_30default_config_static_selectorELNS0_4arch9wavefront6targetE1EEEvT1_: ; @_ZN7rocprim17ROCPRIM_400000_NS6detail17trampoline_kernelINS0_14default_configENS1_20scan_config_selectorIyEEZZNS1_9scan_implILNS1_25lookback_scan_determinismE0ELb1ELb1ES3_N6thrust23THRUST_200600_302600_NS6detail15normal_iteratorINS9_10device_ptrIyEEEESE_yNS9_4plusIvEEyEEDaPvRmT3_T4_T5_mT6_P12ihipStream_tbENKUlT_T0_E_clISt17integral_constantIbLb1EESU_EEDaSP_SQ_EUlSP_E0_NS1_11comp_targetILNS1_3genE9ELNS1_11target_archE1100ELNS1_3gpuE3ELNS1_3repE0EEENS1_30default_config_static_selectorELNS0_4arch9wavefront6targetE1EEEvT1_
; %bb.0:
	.section	.rodata,"a",@progbits
	.p2align	6, 0x0
	.amdhsa_kernel _ZN7rocprim17ROCPRIM_400000_NS6detail17trampoline_kernelINS0_14default_configENS1_20scan_config_selectorIyEEZZNS1_9scan_implILNS1_25lookback_scan_determinismE0ELb1ELb1ES3_N6thrust23THRUST_200600_302600_NS6detail15normal_iteratorINS9_10device_ptrIyEEEESE_yNS9_4plusIvEEyEEDaPvRmT3_T4_T5_mT6_P12ihipStream_tbENKUlT_T0_E_clISt17integral_constantIbLb1EESU_EEDaSP_SQ_EUlSP_E0_NS1_11comp_targetILNS1_3genE9ELNS1_11target_archE1100ELNS1_3gpuE3ELNS1_3repE0EEENS1_30default_config_static_selectorELNS0_4arch9wavefront6targetE1EEEvT1_
		.amdhsa_group_segment_fixed_size 0
		.amdhsa_private_segment_fixed_size 0
		.amdhsa_kernarg_size 40
		.amdhsa_user_sgpr_count 6
		.amdhsa_user_sgpr_private_segment_buffer 1
		.amdhsa_user_sgpr_dispatch_ptr 0
		.amdhsa_user_sgpr_queue_ptr 0
		.amdhsa_user_sgpr_kernarg_segment_ptr 1
		.amdhsa_user_sgpr_dispatch_id 0
		.amdhsa_user_sgpr_flat_scratch_init 0
		.amdhsa_user_sgpr_kernarg_preload_length 0
		.amdhsa_user_sgpr_kernarg_preload_offset 0
		.amdhsa_user_sgpr_private_segment_size 0
		.amdhsa_uses_dynamic_stack 0
		.amdhsa_system_sgpr_private_segment_wavefront_offset 0
		.amdhsa_system_sgpr_workgroup_id_x 1
		.amdhsa_system_sgpr_workgroup_id_y 0
		.amdhsa_system_sgpr_workgroup_id_z 0
		.amdhsa_system_sgpr_workgroup_info 0
		.amdhsa_system_vgpr_workitem_id 0
		.amdhsa_next_free_vgpr 1
		.amdhsa_next_free_sgpr 0
		.amdhsa_accum_offset 4
		.amdhsa_reserve_vcc 0
		.amdhsa_reserve_flat_scratch 0
		.amdhsa_float_round_mode_32 0
		.amdhsa_float_round_mode_16_64 0
		.amdhsa_float_denorm_mode_32 3
		.amdhsa_float_denorm_mode_16_64 3
		.amdhsa_dx10_clamp 1
		.amdhsa_ieee_mode 1
		.amdhsa_fp16_overflow 0
		.amdhsa_tg_split 0
		.amdhsa_exception_fp_ieee_invalid_op 0
		.amdhsa_exception_fp_denorm_src 0
		.amdhsa_exception_fp_ieee_div_zero 0
		.amdhsa_exception_fp_ieee_overflow 0
		.amdhsa_exception_fp_ieee_underflow 0
		.amdhsa_exception_fp_ieee_inexact 0
		.amdhsa_exception_int_div_zero 0
	.end_amdhsa_kernel
	.section	.text._ZN7rocprim17ROCPRIM_400000_NS6detail17trampoline_kernelINS0_14default_configENS1_20scan_config_selectorIyEEZZNS1_9scan_implILNS1_25lookback_scan_determinismE0ELb1ELb1ES3_N6thrust23THRUST_200600_302600_NS6detail15normal_iteratorINS9_10device_ptrIyEEEESE_yNS9_4plusIvEEyEEDaPvRmT3_T4_T5_mT6_P12ihipStream_tbENKUlT_T0_E_clISt17integral_constantIbLb1EESU_EEDaSP_SQ_EUlSP_E0_NS1_11comp_targetILNS1_3genE9ELNS1_11target_archE1100ELNS1_3gpuE3ELNS1_3repE0EEENS1_30default_config_static_selectorELNS0_4arch9wavefront6targetE1EEEvT1_,"axG",@progbits,_ZN7rocprim17ROCPRIM_400000_NS6detail17trampoline_kernelINS0_14default_configENS1_20scan_config_selectorIyEEZZNS1_9scan_implILNS1_25lookback_scan_determinismE0ELb1ELb1ES3_N6thrust23THRUST_200600_302600_NS6detail15normal_iteratorINS9_10device_ptrIyEEEESE_yNS9_4plusIvEEyEEDaPvRmT3_T4_T5_mT6_P12ihipStream_tbENKUlT_T0_E_clISt17integral_constantIbLb1EESU_EEDaSP_SQ_EUlSP_E0_NS1_11comp_targetILNS1_3genE9ELNS1_11target_archE1100ELNS1_3gpuE3ELNS1_3repE0EEENS1_30default_config_static_selectorELNS0_4arch9wavefront6targetE1EEEvT1_,comdat
.Lfunc_end4536:
	.size	_ZN7rocprim17ROCPRIM_400000_NS6detail17trampoline_kernelINS0_14default_configENS1_20scan_config_selectorIyEEZZNS1_9scan_implILNS1_25lookback_scan_determinismE0ELb1ELb1ES3_N6thrust23THRUST_200600_302600_NS6detail15normal_iteratorINS9_10device_ptrIyEEEESE_yNS9_4plusIvEEyEEDaPvRmT3_T4_T5_mT6_P12ihipStream_tbENKUlT_T0_E_clISt17integral_constantIbLb1EESU_EEDaSP_SQ_EUlSP_E0_NS1_11comp_targetILNS1_3genE9ELNS1_11target_archE1100ELNS1_3gpuE3ELNS1_3repE0EEENS1_30default_config_static_selectorELNS0_4arch9wavefront6targetE1EEEvT1_, .Lfunc_end4536-_ZN7rocprim17ROCPRIM_400000_NS6detail17trampoline_kernelINS0_14default_configENS1_20scan_config_selectorIyEEZZNS1_9scan_implILNS1_25lookback_scan_determinismE0ELb1ELb1ES3_N6thrust23THRUST_200600_302600_NS6detail15normal_iteratorINS9_10device_ptrIyEEEESE_yNS9_4plusIvEEyEEDaPvRmT3_T4_T5_mT6_P12ihipStream_tbENKUlT_T0_E_clISt17integral_constantIbLb1EESU_EEDaSP_SQ_EUlSP_E0_NS1_11comp_targetILNS1_3genE9ELNS1_11target_archE1100ELNS1_3gpuE3ELNS1_3repE0EEENS1_30default_config_static_selectorELNS0_4arch9wavefront6targetE1EEEvT1_
                                        ; -- End function
	.section	.AMDGPU.csdata,"",@progbits
; Kernel info:
; codeLenInByte = 0
; NumSgprs: 4
; NumVgprs: 0
; NumAgprs: 0
; TotalNumVgprs: 0
; ScratchSize: 0
; MemoryBound: 0
; FloatMode: 240
; IeeeMode: 1
; LDSByteSize: 0 bytes/workgroup (compile time only)
; SGPRBlocks: 0
; VGPRBlocks: 0
; NumSGPRsForWavesPerEU: 4
; NumVGPRsForWavesPerEU: 1
; AccumOffset: 4
; Occupancy: 8
; WaveLimiterHint : 0
; COMPUTE_PGM_RSRC2:SCRATCH_EN: 0
; COMPUTE_PGM_RSRC2:USER_SGPR: 6
; COMPUTE_PGM_RSRC2:TRAP_HANDLER: 0
; COMPUTE_PGM_RSRC2:TGID_X_EN: 1
; COMPUTE_PGM_RSRC2:TGID_Y_EN: 0
; COMPUTE_PGM_RSRC2:TGID_Z_EN: 0
; COMPUTE_PGM_RSRC2:TIDIG_COMP_CNT: 0
; COMPUTE_PGM_RSRC3_GFX90A:ACCUM_OFFSET: 0
; COMPUTE_PGM_RSRC3_GFX90A:TG_SPLIT: 0
	.section	.text._ZN7rocprim17ROCPRIM_400000_NS6detail17trampoline_kernelINS0_14default_configENS1_20scan_config_selectorIyEEZZNS1_9scan_implILNS1_25lookback_scan_determinismE0ELb1ELb1ES3_N6thrust23THRUST_200600_302600_NS6detail15normal_iteratorINS9_10device_ptrIyEEEESE_yNS9_4plusIvEEyEEDaPvRmT3_T4_T5_mT6_P12ihipStream_tbENKUlT_T0_E_clISt17integral_constantIbLb1EESU_EEDaSP_SQ_EUlSP_E0_NS1_11comp_targetILNS1_3genE8ELNS1_11target_archE1030ELNS1_3gpuE2ELNS1_3repE0EEENS1_30default_config_static_selectorELNS0_4arch9wavefront6targetE1EEEvT1_,"axG",@progbits,_ZN7rocprim17ROCPRIM_400000_NS6detail17trampoline_kernelINS0_14default_configENS1_20scan_config_selectorIyEEZZNS1_9scan_implILNS1_25lookback_scan_determinismE0ELb1ELb1ES3_N6thrust23THRUST_200600_302600_NS6detail15normal_iteratorINS9_10device_ptrIyEEEESE_yNS9_4plusIvEEyEEDaPvRmT3_T4_T5_mT6_P12ihipStream_tbENKUlT_T0_E_clISt17integral_constantIbLb1EESU_EEDaSP_SQ_EUlSP_E0_NS1_11comp_targetILNS1_3genE8ELNS1_11target_archE1030ELNS1_3gpuE2ELNS1_3repE0EEENS1_30default_config_static_selectorELNS0_4arch9wavefront6targetE1EEEvT1_,comdat
	.protected	_ZN7rocprim17ROCPRIM_400000_NS6detail17trampoline_kernelINS0_14default_configENS1_20scan_config_selectorIyEEZZNS1_9scan_implILNS1_25lookback_scan_determinismE0ELb1ELb1ES3_N6thrust23THRUST_200600_302600_NS6detail15normal_iteratorINS9_10device_ptrIyEEEESE_yNS9_4plusIvEEyEEDaPvRmT3_T4_T5_mT6_P12ihipStream_tbENKUlT_T0_E_clISt17integral_constantIbLb1EESU_EEDaSP_SQ_EUlSP_E0_NS1_11comp_targetILNS1_3genE8ELNS1_11target_archE1030ELNS1_3gpuE2ELNS1_3repE0EEENS1_30default_config_static_selectorELNS0_4arch9wavefront6targetE1EEEvT1_ ; -- Begin function _ZN7rocprim17ROCPRIM_400000_NS6detail17trampoline_kernelINS0_14default_configENS1_20scan_config_selectorIyEEZZNS1_9scan_implILNS1_25lookback_scan_determinismE0ELb1ELb1ES3_N6thrust23THRUST_200600_302600_NS6detail15normal_iteratorINS9_10device_ptrIyEEEESE_yNS9_4plusIvEEyEEDaPvRmT3_T4_T5_mT6_P12ihipStream_tbENKUlT_T0_E_clISt17integral_constantIbLb1EESU_EEDaSP_SQ_EUlSP_E0_NS1_11comp_targetILNS1_3genE8ELNS1_11target_archE1030ELNS1_3gpuE2ELNS1_3repE0EEENS1_30default_config_static_selectorELNS0_4arch9wavefront6targetE1EEEvT1_
	.globl	_ZN7rocprim17ROCPRIM_400000_NS6detail17trampoline_kernelINS0_14default_configENS1_20scan_config_selectorIyEEZZNS1_9scan_implILNS1_25lookback_scan_determinismE0ELb1ELb1ES3_N6thrust23THRUST_200600_302600_NS6detail15normal_iteratorINS9_10device_ptrIyEEEESE_yNS9_4plusIvEEyEEDaPvRmT3_T4_T5_mT6_P12ihipStream_tbENKUlT_T0_E_clISt17integral_constantIbLb1EESU_EEDaSP_SQ_EUlSP_E0_NS1_11comp_targetILNS1_3genE8ELNS1_11target_archE1030ELNS1_3gpuE2ELNS1_3repE0EEENS1_30default_config_static_selectorELNS0_4arch9wavefront6targetE1EEEvT1_
	.p2align	8
	.type	_ZN7rocprim17ROCPRIM_400000_NS6detail17trampoline_kernelINS0_14default_configENS1_20scan_config_selectorIyEEZZNS1_9scan_implILNS1_25lookback_scan_determinismE0ELb1ELb1ES3_N6thrust23THRUST_200600_302600_NS6detail15normal_iteratorINS9_10device_ptrIyEEEESE_yNS9_4plusIvEEyEEDaPvRmT3_T4_T5_mT6_P12ihipStream_tbENKUlT_T0_E_clISt17integral_constantIbLb1EESU_EEDaSP_SQ_EUlSP_E0_NS1_11comp_targetILNS1_3genE8ELNS1_11target_archE1030ELNS1_3gpuE2ELNS1_3repE0EEENS1_30default_config_static_selectorELNS0_4arch9wavefront6targetE1EEEvT1_,@function
_ZN7rocprim17ROCPRIM_400000_NS6detail17trampoline_kernelINS0_14default_configENS1_20scan_config_selectorIyEEZZNS1_9scan_implILNS1_25lookback_scan_determinismE0ELb1ELb1ES3_N6thrust23THRUST_200600_302600_NS6detail15normal_iteratorINS9_10device_ptrIyEEEESE_yNS9_4plusIvEEyEEDaPvRmT3_T4_T5_mT6_P12ihipStream_tbENKUlT_T0_E_clISt17integral_constantIbLb1EESU_EEDaSP_SQ_EUlSP_E0_NS1_11comp_targetILNS1_3genE8ELNS1_11target_archE1030ELNS1_3gpuE2ELNS1_3repE0EEENS1_30default_config_static_selectorELNS0_4arch9wavefront6targetE1EEEvT1_: ; @_ZN7rocprim17ROCPRIM_400000_NS6detail17trampoline_kernelINS0_14default_configENS1_20scan_config_selectorIyEEZZNS1_9scan_implILNS1_25lookback_scan_determinismE0ELb1ELb1ES3_N6thrust23THRUST_200600_302600_NS6detail15normal_iteratorINS9_10device_ptrIyEEEESE_yNS9_4plusIvEEyEEDaPvRmT3_T4_T5_mT6_P12ihipStream_tbENKUlT_T0_E_clISt17integral_constantIbLb1EESU_EEDaSP_SQ_EUlSP_E0_NS1_11comp_targetILNS1_3genE8ELNS1_11target_archE1030ELNS1_3gpuE2ELNS1_3repE0EEENS1_30default_config_static_selectorELNS0_4arch9wavefront6targetE1EEEvT1_
; %bb.0:
	.section	.rodata,"a",@progbits
	.p2align	6, 0x0
	.amdhsa_kernel _ZN7rocprim17ROCPRIM_400000_NS6detail17trampoline_kernelINS0_14default_configENS1_20scan_config_selectorIyEEZZNS1_9scan_implILNS1_25lookback_scan_determinismE0ELb1ELb1ES3_N6thrust23THRUST_200600_302600_NS6detail15normal_iteratorINS9_10device_ptrIyEEEESE_yNS9_4plusIvEEyEEDaPvRmT3_T4_T5_mT6_P12ihipStream_tbENKUlT_T0_E_clISt17integral_constantIbLb1EESU_EEDaSP_SQ_EUlSP_E0_NS1_11comp_targetILNS1_3genE8ELNS1_11target_archE1030ELNS1_3gpuE2ELNS1_3repE0EEENS1_30default_config_static_selectorELNS0_4arch9wavefront6targetE1EEEvT1_
		.amdhsa_group_segment_fixed_size 0
		.amdhsa_private_segment_fixed_size 0
		.amdhsa_kernarg_size 40
		.amdhsa_user_sgpr_count 6
		.amdhsa_user_sgpr_private_segment_buffer 1
		.amdhsa_user_sgpr_dispatch_ptr 0
		.amdhsa_user_sgpr_queue_ptr 0
		.amdhsa_user_sgpr_kernarg_segment_ptr 1
		.amdhsa_user_sgpr_dispatch_id 0
		.amdhsa_user_sgpr_flat_scratch_init 0
		.amdhsa_user_sgpr_kernarg_preload_length 0
		.amdhsa_user_sgpr_kernarg_preload_offset 0
		.amdhsa_user_sgpr_private_segment_size 0
		.amdhsa_uses_dynamic_stack 0
		.amdhsa_system_sgpr_private_segment_wavefront_offset 0
		.amdhsa_system_sgpr_workgroup_id_x 1
		.amdhsa_system_sgpr_workgroup_id_y 0
		.amdhsa_system_sgpr_workgroup_id_z 0
		.amdhsa_system_sgpr_workgroup_info 0
		.amdhsa_system_vgpr_workitem_id 0
		.amdhsa_next_free_vgpr 1
		.amdhsa_next_free_sgpr 0
		.amdhsa_accum_offset 4
		.amdhsa_reserve_vcc 0
		.amdhsa_reserve_flat_scratch 0
		.amdhsa_float_round_mode_32 0
		.amdhsa_float_round_mode_16_64 0
		.amdhsa_float_denorm_mode_32 3
		.amdhsa_float_denorm_mode_16_64 3
		.amdhsa_dx10_clamp 1
		.amdhsa_ieee_mode 1
		.amdhsa_fp16_overflow 0
		.amdhsa_tg_split 0
		.amdhsa_exception_fp_ieee_invalid_op 0
		.amdhsa_exception_fp_denorm_src 0
		.amdhsa_exception_fp_ieee_div_zero 0
		.amdhsa_exception_fp_ieee_overflow 0
		.amdhsa_exception_fp_ieee_underflow 0
		.amdhsa_exception_fp_ieee_inexact 0
		.amdhsa_exception_int_div_zero 0
	.end_amdhsa_kernel
	.section	.text._ZN7rocprim17ROCPRIM_400000_NS6detail17trampoline_kernelINS0_14default_configENS1_20scan_config_selectorIyEEZZNS1_9scan_implILNS1_25lookback_scan_determinismE0ELb1ELb1ES3_N6thrust23THRUST_200600_302600_NS6detail15normal_iteratorINS9_10device_ptrIyEEEESE_yNS9_4plusIvEEyEEDaPvRmT3_T4_T5_mT6_P12ihipStream_tbENKUlT_T0_E_clISt17integral_constantIbLb1EESU_EEDaSP_SQ_EUlSP_E0_NS1_11comp_targetILNS1_3genE8ELNS1_11target_archE1030ELNS1_3gpuE2ELNS1_3repE0EEENS1_30default_config_static_selectorELNS0_4arch9wavefront6targetE1EEEvT1_,"axG",@progbits,_ZN7rocprim17ROCPRIM_400000_NS6detail17trampoline_kernelINS0_14default_configENS1_20scan_config_selectorIyEEZZNS1_9scan_implILNS1_25lookback_scan_determinismE0ELb1ELb1ES3_N6thrust23THRUST_200600_302600_NS6detail15normal_iteratorINS9_10device_ptrIyEEEESE_yNS9_4plusIvEEyEEDaPvRmT3_T4_T5_mT6_P12ihipStream_tbENKUlT_T0_E_clISt17integral_constantIbLb1EESU_EEDaSP_SQ_EUlSP_E0_NS1_11comp_targetILNS1_3genE8ELNS1_11target_archE1030ELNS1_3gpuE2ELNS1_3repE0EEENS1_30default_config_static_selectorELNS0_4arch9wavefront6targetE1EEEvT1_,comdat
.Lfunc_end4537:
	.size	_ZN7rocprim17ROCPRIM_400000_NS6detail17trampoline_kernelINS0_14default_configENS1_20scan_config_selectorIyEEZZNS1_9scan_implILNS1_25lookback_scan_determinismE0ELb1ELb1ES3_N6thrust23THRUST_200600_302600_NS6detail15normal_iteratorINS9_10device_ptrIyEEEESE_yNS9_4plusIvEEyEEDaPvRmT3_T4_T5_mT6_P12ihipStream_tbENKUlT_T0_E_clISt17integral_constantIbLb1EESU_EEDaSP_SQ_EUlSP_E0_NS1_11comp_targetILNS1_3genE8ELNS1_11target_archE1030ELNS1_3gpuE2ELNS1_3repE0EEENS1_30default_config_static_selectorELNS0_4arch9wavefront6targetE1EEEvT1_, .Lfunc_end4537-_ZN7rocprim17ROCPRIM_400000_NS6detail17trampoline_kernelINS0_14default_configENS1_20scan_config_selectorIyEEZZNS1_9scan_implILNS1_25lookback_scan_determinismE0ELb1ELb1ES3_N6thrust23THRUST_200600_302600_NS6detail15normal_iteratorINS9_10device_ptrIyEEEESE_yNS9_4plusIvEEyEEDaPvRmT3_T4_T5_mT6_P12ihipStream_tbENKUlT_T0_E_clISt17integral_constantIbLb1EESU_EEDaSP_SQ_EUlSP_E0_NS1_11comp_targetILNS1_3genE8ELNS1_11target_archE1030ELNS1_3gpuE2ELNS1_3repE0EEENS1_30default_config_static_selectorELNS0_4arch9wavefront6targetE1EEEvT1_
                                        ; -- End function
	.section	.AMDGPU.csdata,"",@progbits
; Kernel info:
; codeLenInByte = 0
; NumSgprs: 4
; NumVgprs: 0
; NumAgprs: 0
; TotalNumVgprs: 0
; ScratchSize: 0
; MemoryBound: 0
; FloatMode: 240
; IeeeMode: 1
; LDSByteSize: 0 bytes/workgroup (compile time only)
; SGPRBlocks: 0
; VGPRBlocks: 0
; NumSGPRsForWavesPerEU: 4
; NumVGPRsForWavesPerEU: 1
; AccumOffset: 4
; Occupancy: 8
; WaveLimiterHint : 0
; COMPUTE_PGM_RSRC2:SCRATCH_EN: 0
; COMPUTE_PGM_RSRC2:USER_SGPR: 6
; COMPUTE_PGM_RSRC2:TRAP_HANDLER: 0
; COMPUTE_PGM_RSRC2:TGID_X_EN: 1
; COMPUTE_PGM_RSRC2:TGID_Y_EN: 0
; COMPUTE_PGM_RSRC2:TGID_Z_EN: 0
; COMPUTE_PGM_RSRC2:TIDIG_COMP_CNT: 0
; COMPUTE_PGM_RSRC3_GFX90A:ACCUM_OFFSET: 0
; COMPUTE_PGM_RSRC3_GFX90A:TG_SPLIT: 0
	.section	.text._ZN7rocprim17ROCPRIM_400000_NS6detail17trampoline_kernelINS0_14default_configENS1_20scan_config_selectorIyEEZZNS1_9scan_implILNS1_25lookback_scan_determinismE0ELb1ELb1ES3_N6thrust23THRUST_200600_302600_NS6detail15normal_iteratorINS9_10device_ptrIyEEEESE_yNS9_4plusIvEEyEEDaPvRmT3_T4_T5_mT6_P12ihipStream_tbENKUlT_T0_E_clISt17integral_constantIbLb1EEST_IbLb0EEEEDaSP_SQ_EUlSP_E_NS1_11comp_targetILNS1_3genE0ELNS1_11target_archE4294967295ELNS1_3gpuE0ELNS1_3repE0EEENS1_30default_config_static_selectorELNS0_4arch9wavefront6targetE1EEEvT1_,"axG",@progbits,_ZN7rocprim17ROCPRIM_400000_NS6detail17trampoline_kernelINS0_14default_configENS1_20scan_config_selectorIyEEZZNS1_9scan_implILNS1_25lookback_scan_determinismE0ELb1ELb1ES3_N6thrust23THRUST_200600_302600_NS6detail15normal_iteratorINS9_10device_ptrIyEEEESE_yNS9_4plusIvEEyEEDaPvRmT3_T4_T5_mT6_P12ihipStream_tbENKUlT_T0_E_clISt17integral_constantIbLb1EEST_IbLb0EEEEDaSP_SQ_EUlSP_E_NS1_11comp_targetILNS1_3genE0ELNS1_11target_archE4294967295ELNS1_3gpuE0ELNS1_3repE0EEENS1_30default_config_static_selectorELNS0_4arch9wavefront6targetE1EEEvT1_,comdat
	.protected	_ZN7rocprim17ROCPRIM_400000_NS6detail17trampoline_kernelINS0_14default_configENS1_20scan_config_selectorIyEEZZNS1_9scan_implILNS1_25lookback_scan_determinismE0ELb1ELb1ES3_N6thrust23THRUST_200600_302600_NS6detail15normal_iteratorINS9_10device_ptrIyEEEESE_yNS9_4plusIvEEyEEDaPvRmT3_T4_T5_mT6_P12ihipStream_tbENKUlT_T0_E_clISt17integral_constantIbLb1EEST_IbLb0EEEEDaSP_SQ_EUlSP_E_NS1_11comp_targetILNS1_3genE0ELNS1_11target_archE4294967295ELNS1_3gpuE0ELNS1_3repE0EEENS1_30default_config_static_selectorELNS0_4arch9wavefront6targetE1EEEvT1_ ; -- Begin function _ZN7rocprim17ROCPRIM_400000_NS6detail17trampoline_kernelINS0_14default_configENS1_20scan_config_selectorIyEEZZNS1_9scan_implILNS1_25lookback_scan_determinismE0ELb1ELb1ES3_N6thrust23THRUST_200600_302600_NS6detail15normal_iteratorINS9_10device_ptrIyEEEESE_yNS9_4plusIvEEyEEDaPvRmT3_T4_T5_mT6_P12ihipStream_tbENKUlT_T0_E_clISt17integral_constantIbLb1EEST_IbLb0EEEEDaSP_SQ_EUlSP_E_NS1_11comp_targetILNS1_3genE0ELNS1_11target_archE4294967295ELNS1_3gpuE0ELNS1_3repE0EEENS1_30default_config_static_selectorELNS0_4arch9wavefront6targetE1EEEvT1_
	.globl	_ZN7rocprim17ROCPRIM_400000_NS6detail17trampoline_kernelINS0_14default_configENS1_20scan_config_selectorIyEEZZNS1_9scan_implILNS1_25lookback_scan_determinismE0ELb1ELb1ES3_N6thrust23THRUST_200600_302600_NS6detail15normal_iteratorINS9_10device_ptrIyEEEESE_yNS9_4plusIvEEyEEDaPvRmT3_T4_T5_mT6_P12ihipStream_tbENKUlT_T0_E_clISt17integral_constantIbLb1EEST_IbLb0EEEEDaSP_SQ_EUlSP_E_NS1_11comp_targetILNS1_3genE0ELNS1_11target_archE4294967295ELNS1_3gpuE0ELNS1_3repE0EEENS1_30default_config_static_selectorELNS0_4arch9wavefront6targetE1EEEvT1_
	.p2align	8
	.type	_ZN7rocprim17ROCPRIM_400000_NS6detail17trampoline_kernelINS0_14default_configENS1_20scan_config_selectorIyEEZZNS1_9scan_implILNS1_25lookback_scan_determinismE0ELb1ELb1ES3_N6thrust23THRUST_200600_302600_NS6detail15normal_iteratorINS9_10device_ptrIyEEEESE_yNS9_4plusIvEEyEEDaPvRmT3_T4_T5_mT6_P12ihipStream_tbENKUlT_T0_E_clISt17integral_constantIbLb1EEST_IbLb0EEEEDaSP_SQ_EUlSP_E_NS1_11comp_targetILNS1_3genE0ELNS1_11target_archE4294967295ELNS1_3gpuE0ELNS1_3repE0EEENS1_30default_config_static_selectorELNS0_4arch9wavefront6targetE1EEEvT1_,@function
_ZN7rocprim17ROCPRIM_400000_NS6detail17trampoline_kernelINS0_14default_configENS1_20scan_config_selectorIyEEZZNS1_9scan_implILNS1_25lookback_scan_determinismE0ELb1ELb1ES3_N6thrust23THRUST_200600_302600_NS6detail15normal_iteratorINS9_10device_ptrIyEEEESE_yNS9_4plusIvEEyEEDaPvRmT3_T4_T5_mT6_P12ihipStream_tbENKUlT_T0_E_clISt17integral_constantIbLb1EEST_IbLb0EEEEDaSP_SQ_EUlSP_E_NS1_11comp_targetILNS1_3genE0ELNS1_11target_archE4294967295ELNS1_3gpuE0ELNS1_3repE0EEENS1_30default_config_static_selectorELNS0_4arch9wavefront6targetE1EEEvT1_: ; @_ZN7rocprim17ROCPRIM_400000_NS6detail17trampoline_kernelINS0_14default_configENS1_20scan_config_selectorIyEEZZNS1_9scan_implILNS1_25lookback_scan_determinismE0ELb1ELb1ES3_N6thrust23THRUST_200600_302600_NS6detail15normal_iteratorINS9_10device_ptrIyEEEESE_yNS9_4plusIvEEyEEDaPvRmT3_T4_T5_mT6_P12ihipStream_tbENKUlT_T0_E_clISt17integral_constantIbLb1EEST_IbLb0EEEEDaSP_SQ_EUlSP_E_NS1_11comp_targetILNS1_3genE0ELNS1_11target_archE4294967295ELNS1_3gpuE0ELNS1_3repE0EEENS1_30default_config_static_selectorELNS0_4arch9wavefront6targetE1EEEvT1_
; %bb.0:
	.section	.rodata,"a",@progbits
	.p2align	6, 0x0
	.amdhsa_kernel _ZN7rocprim17ROCPRIM_400000_NS6detail17trampoline_kernelINS0_14default_configENS1_20scan_config_selectorIyEEZZNS1_9scan_implILNS1_25lookback_scan_determinismE0ELb1ELb1ES3_N6thrust23THRUST_200600_302600_NS6detail15normal_iteratorINS9_10device_ptrIyEEEESE_yNS9_4plusIvEEyEEDaPvRmT3_T4_T5_mT6_P12ihipStream_tbENKUlT_T0_E_clISt17integral_constantIbLb1EEST_IbLb0EEEEDaSP_SQ_EUlSP_E_NS1_11comp_targetILNS1_3genE0ELNS1_11target_archE4294967295ELNS1_3gpuE0ELNS1_3repE0EEENS1_30default_config_static_selectorELNS0_4arch9wavefront6targetE1EEEvT1_
		.amdhsa_group_segment_fixed_size 0
		.amdhsa_private_segment_fixed_size 0
		.amdhsa_kernarg_size 104
		.amdhsa_user_sgpr_count 6
		.amdhsa_user_sgpr_private_segment_buffer 1
		.amdhsa_user_sgpr_dispatch_ptr 0
		.amdhsa_user_sgpr_queue_ptr 0
		.amdhsa_user_sgpr_kernarg_segment_ptr 1
		.amdhsa_user_sgpr_dispatch_id 0
		.amdhsa_user_sgpr_flat_scratch_init 0
		.amdhsa_user_sgpr_kernarg_preload_length 0
		.amdhsa_user_sgpr_kernarg_preload_offset 0
		.amdhsa_user_sgpr_private_segment_size 0
		.amdhsa_uses_dynamic_stack 0
		.amdhsa_system_sgpr_private_segment_wavefront_offset 0
		.amdhsa_system_sgpr_workgroup_id_x 1
		.amdhsa_system_sgpr_workgroup_id_y 0
		.amdhsa_system_sgpr_workgroup_id_z 0
		.amdhsa_system_sgpr_workgroup_info 0
		.amdhsa_system_vgpr_workitem_id 0
		.amdhsa_next_free_vgpr 1
		.amdhsa_next_free_sgpr 0
		.amdhsa_accum_offset 4
		.amdhsa_reserve_vcc 0
		.amdhsa_reserve_flat_scratch 0
		.amdhsa_float_round_mode_32 0
		.amdhsa_float_round_mode_16_64 0
		.amdhsa_float_denorm_mode_32 3
		.amdhsa_float_denorm_mode_16_64 3
		.amdhsa_dx10_clamp 1
		.amdhsa_ieee_mode 1
		.amdhsa_fp16_overflow 0
		.amdhsa_tg_split 0
		.amdhsa_exception_fp_ieee_invalid_op 0
		.amdhsa_exception_fp_denorm_src 0
		.amdhsa_exception_fp_ieee_div_zero 0
		.amdhsa_exception_fp_ieee_overflow 0
		.amdhsa_exception_fp_ieee_underflow 0
		.amdhsa_exception_fp_ieee_inexact 0
		.amdhsa_exception_int_div_zero 0
	.end_amdhsa_kernel
	.section	.text._ZN7rocprim17ROCPRIM_400000_NS6detail17trampoline_kernelINS0_14default_configENS1_20scan_config_selectorIyEEZZNS1_9scan_implILNS1_25lookback_scan_determinismE0ELb1ELb1ES3_N6thrust23THRUST_200600_302600_NS6detail15normal_iteratorINS9_10device_ptrIyEEEESE_yNS9_4plusIvEEyEEDaPvRmT3_T4_T5_mT6_P12ihipStream_tbENKUlT_T0_E_clISt17integral_constantIbLb1EEST_IbLb0EEEEDaSP_SQ_EUlSP_E_NS1_11comp_targetILNS1_3genE0ELNS1_11target_archE4294967295ELNS1_3gpuE0ELNS1_3repE0EEENS1_30default_config_static_selectorELNS0_4arch9wavefront6targetE1EEEvT1_,"axG",@progbits,_ZN7rocprim17ROCPRIM_400000_NS6detail17trampoline_kernelINS0_14default_configENS1_20scan_config_selectorIyEEZZNS1_9scan_implILNS1_25lookback_scan_determinismE0ELb1ELb1ES3_N6thrust23THRUST_200600_302600_NS6detail15normal_iteratorINS9_10device_ptrIyEEEESE_yNS9_4plusIvEEyEEDaPvRmT3_T4_T5_mT6_P12ihipStream_tbENKUlT_T0_E_clISt17integral_constantIbLb1EEST_IbLb0EEEEDaSP_SQ_EUlSP_E_NS1_11comp_targetILNS1_3genE0ELNS1_11target_archE4294967295ELNS1_3gpuE0ELNS1_3repE0EEENS1_30default_config_static_selectorELNS0_4arch9wavefront6targetE1EEEvT1_,comdat
.Lfunc_end4538:
	.size	_ZN7rocprim17ROCPRIM_400000_NS6detail17trampoline_kernelINS0_14default_configENS1_20scan_config_selectorIyEEZZNS1_9scan_implILNS1_25lookback_scan_determinismE0ELb1ELb1ES3_N6thrust23THRUST_200600_302600_NS6detail15normal_iteratorINS9_10device_ptrIyEEEESE_yNS9_4plusIvEEyEEDaPvRmT3_T4_T5_mT6_P12ihipStream_tbENKUlT_T0_E_clISt17integral_constantIbLb1EEST_IbLb0EEEEDaSP_SQ_EUlSP_E_NS1_11comp_targetILNS1_3genE0ELNS1_11target_archE4294967295ELNS1_3gpuE0ELNS1_3repE0EEENS1_30default_config_static_selectorELNS0_4arch9wavefront6targetE1EEEvT1_, .Lfunc_end4538-_ZN7rocprim17ROCPRIM_400000_NS6detail17trampoline_kernelINS0_14default_configENS1_20scan_config_selectorIyEEZZNS1_9scan_implILNS1_25lookback_scan_determinismE0ELb1ELb1ES3_N6thrust23THRUST_200600_302600_NS6detail15normal_iteratorINS9_10device_ptrIyEEEESE_yNS9_4plusIvEEyEEDaPvRmT3_T4_T5_mT6_P12ihipStream_tbENKUlT_T0_E_clISt17integral_constantIbLb1EEST_IbLb0EEEEDaSP_SQ_EUlSP_E_NS1_11comp_targetILNS1_3genE0ELNS1_11target_archE4294967295ELNS1_3gpuE0ELNS1_3repE0EEENS1_30default_config_static_selectorELNS0_4arch9wavefront6targetE1EEEvT1_
                                        ; -- End function
	.section	.AMDGPU.csdata,"",@progbits
; Kernel info:
; codeLenInByte = 0
; NumSgprs: 4
; NumVgprs: 0
; NumAgprs: 0
; TotalNumVgprs: 0
; ScratchSize: 0
; MemoryBound: 0
; FloatMode: 240
; IeeeMode: 1
; LDSByteSize: 0 bytes/workgroup (compile time only)
; SGPRBlocks: 0
; VGPRBlocks: 0
; NumSGPRsForWavesPerEU: 4
; NumVGPRsForWavesPerEU: 1
; AccumOffset: 4
; Occupancy: 8
; WaveLimiterHint : 0
; COMPUTE_PGM_RSRC2:SCRATCH_EN: 0
; COMPUTE_PGM_RSRC2:USER_SGPR: 6
; COMPUTE_PGM_RSRC2:TRAP_HANDLER: 0
; COMPUTE_PGM_RSRC2:TGID_X_EN: 1
; COMPUTE_PGM_RSRC2:TGID_Y_EN: 0
; COMPUTE_PGM_RSRC2:TGID_Z_EN: 0
; COMPUTE_PGM_RSRC2:TIDIG_COMP_CNT: 0
; COMPUTE_PGM_RSRC3_GFX90A:ACCUM_OFFSET: 0
; COMPUTE_PGM_RSRC3_GFX90A:TG_SPLIT: 0
	.section	.text._ZN7rocprim17ROCPRIM_400000_NS6detail17trampoline_kernelINS0_14default_configENS1_20scan_config_selectorIyEEZZNS1_9scan_implILNS1_25lookback_scan_determinismE0ELb1ELb1ES3_N6thrust23THRUST_200600_302600_NS6detail15normal_iteratorINS9_10device_ptrIyEEEESE_yNS9_4plusIvEEyEEDaPvRmT3_T4_T5_mT6_P12ihipStream_tbENKUlT_T0_E_clISt17integral_constantIbLb1EEST_IbLb0EEEEDaSP_SQ_EUlSP_E_NS1_11comp_targetILNS1_3genE5ELNS1_11target_archE942ELNS1_3gpuE9ELNS1_3repE0EEENS1_30default_config_static_selectorELNS0_4arch9wavefront6targetE1EEEvT1_,"axG",@progbits,_ZN7rocprim17ROCPRIM_400000_NS6detail17trampoline_kernelINS0_14default_configENS1_20scan_config_selectorIyEEZZNS1_9scan_implILNS1_25lookback_scan_determinismE0ELb1ELb1ES3_N6thrust23THRUST_200600_302600_NS6detail15normal_iteratorINS9_10device_ptrIyEEEESE_yNS9_4plusIvEEyEEDaPvRmT3_T4_T5_mT6_P12ihipStream_tbENKUlT_T0_E_clISt17integral_constantIbLb1EEST_IbLb0EEEEDaSP_SQ_EUlSP_E_NS1_11comp_targetILNS1_3genE5ELNS1_11target_archE942ELNS1_3gpuE9ELNS1_3repE0EEENS1_30default_config_static_selectorELNS0_4arch9wavefront6targetE1EEEvT1_,comdat
	.protected	_ZN7rocprim17ROCPRIM_400000_NS6detail17trampoline_kernelINS0_14default_configENS1_20scan_config_selectorIyEEZZNS1_9scan_implILNS1_25lookback_scan_determinismE0ELb1ELb1ES3_N6thrust23THRUST_200600_302600_NS6detail15normal_iteratorINS9_10device_ptrIyEEEESE_yNS9_4plusIvEEyEEDaPvRmT3_T4_T5_mT6_P12ihipStream_tbENKUlT_T0_E_clISt17integral_constantIbLb1EEST_IbLb0EEEEDaSP_SQ_EUlSP_E_NS1_11comp_targetILNS1_3genE5ELNS1_11target_archE942ELNS1_3gpuE9ELNS1_3repE0EEENS1_30default_config_static_selectorELNS0_4arch9wavefront6targetE1EEEvT1_ ; -- Begin function _ZN7rocprim17ROCPRIM_400000_NS6detail17trampoline_kernelINS0_14default_configENS1_20scan_config_selectorIyEEZZNS1_9scan_implILNS1_25lookback_scan_determinismE0ELb1ELb1ES3_N6thrust23THRUST_200600_302600_NS6detail15normal_iteratorINS9_10device_ptrIyEEEESE_yNS9_4plusIvEEyEEDaPvRmT3_T4_T5_mT6_P12ihipStream_tbENKUlT_T0_E_clISt17integral_constantIbLb1EEST_IbLb0EEEEDaSP_SQ_EUlSP_E_NS1_11comp_targetILNS1_3genE5ELNS1_11target_archE942ELNS1_3gpuE9ELNS1_3repE0EEENS1_30default_config_static_selectorELNS0_4arch9wavefront6targetE1EEEvT1_
	.globl	_ZN7rocprim17ROCPRIM_400000_NS6detail17trampoline_kernelINS0_14default_configENS1_20scan_config_selectorIyEEZZNS1_9scan_implILNS1_25lookback_scan_determinismE0ELb1ELb1ES3_N6thrust23THRUST_200600_302600_NS6detail15normal_iteratorINS9_10device_ptrIyEEEESE_yNS9_4plusIvEEyEEDaPvRmT3_T4_T5_mT6_P12ihipStream_tbENKUlT_T0_E_clISt17integral_constantIbLb1EEST_IbLb0EEEEDaSP_SQ_EUlSP_E_NS1_11comp_targetILNS1_3genE5ELNS1_11target_archE942ELNS1_3gpuE9ELNS1_3repE0EEENS1_30default_config_static_selectorELNS0_4arch9wavefront6targetE1EEEvT1_
	.p2align	8
	.type	_ZN7rocprim17ROCPRIM_400000_NS6detail17trampoline_kernelINS0_14default_configENS1_20scan_config_selectorIyEEZZNS1_9scan_implILNS1_25lookback_scan_determinismE0ELb1ELb1ES3_N6thrust23THRUST_200600_302600_NS6detail15normal_iteratorINS9_10device_ptrIyEEEESE_yNS9_4plusIvEEyEEDaPvRmT3_T4_T5_mT6_P12ihipStream_tbENKUlT_T0_E_clISt17integral_constantIbLb1EEST_IbLb0EEEEDaSP_SQ_EUlSP_E_NS1_11comp_targetILNS1_3genE5ELNS1_11target_archE942ELNS1_3gpuE9ELNS1_3repE0EEENS1_30default_config_static_selectorELNS0_4arch9wavefront6targetE1EEEvT1_,@function
_ZN7rocprim17ROCPRIM_400000_NS6detail17trampoline_kernelINS0_14default_configENS1_20scan_config_selectorIyEEZZNS1_9scan_implILNS1_25lookback_scan_determinismE0ELb1ELb1ES3_N6thrust23THRUST_200600_302600_NS6detail15normal_iteratorINS9_10device_ptrIyEEEESE_yNS9_4plusIvEEyEEDaPvRmT3_T4_T5_mT6_P12ihipStream_tbENKUlT_T0_E_clISt17integral_constantIbLb1EEST_IbLb0EEEEDaSP_SQ_EUlSP_E_NS1_11comp_targetILNS1_3genE5ELNS1_11target_archE942ELNS1_3gpuE9ELNS1_3repE0EEENS1_30default_config_static_selectorELNS0_4arch9wavefront6targetE1EEEvT1_: ; @_ZN7rocprim17ROCPRIM_400000_NS6detail17trampoline_kernelINS0_14default_configENS1_20scan_config_selectorIyEEZZNS1_9scan_implILNS1_25lookback_scan_determinismE0ELb1ELb1ES3_N6thrust23THRUST_200600_302600_NS6detail15normal_iteratorINS9_10device_ptrIyEEEESE_yNS9_4plusIvEEyEEDaPvRmT3_T4_T5_mT6_P12ihipStream_tbENKUlT_T0_E_clISt17integral_constantIbLb1EEST_IbLb0EEEEDaSP_SQ_EUlSP_E_NS1_11comp_targetILNS1_3genE5ELNS1_11target_archE942ELNS1_3gpuE9ELNS1_3repE0EEENS1_30default_config_static_selectorELNS0_4arch9wavefront6targetE1EEEvT1_
; %bb.0:
	.section	.rodata,"a",@progbits
	.p2align	6, 0x0
	.amdhsa_kernel _ZN7rocprim17ROCPRIM_400000_NS6detail17trampoline_kernelINS0_14default_configENS1_20scan_config_selectorIyEEZZNS1_9scan_implILNS1_25lookback_scan_determinismE0ELb1ELb1ES3_N6thrust23THRUST_200600_302600_NS6detail15normal_iteratorINS9_10device_ptrIyEEEESE_yNS9_4plusIvEEyEEDaPvRmT3_T4_T5_mT6_P12ihipStream_tbENKUlT_T0_E_clISt17integral_constantIbLb1EEST_IbLb0EEEEDaSP_SQ_EUlSP_E_NS1_11comp_targetILNS1_3genE5ELNS1_11target_archE942ELNS1_3gpuE9ELNS1_3repE0EEENS1_30default_config_static_selectorELNS0_4arch9wavefront6targetE1EEEvT1_
		.amdhsa_group_segment_fixed_size 0
		.amdhsa_private_segment_fixed_size 0
		.amdhsa_kernarg_size 104
		.amdhsa_user_sgpr_count 6
		.amdhsa_user_sgpr_private_segment_buffer 1
		.amdhsa_user_sgpr_dispatch_ptr 0
		.amdhsa_user_sgpr_queue_ptr 0
		.amdhsa_user_sgpr_kernarg_segment_ptr 1
		.amdhsa_user_sgpr_dispatch_id 0
		.amdhsa_user_sgpr_flat_scratch_init 0
		.amdhsa_user_sgpr_kernarg_preload_length 0
		.amdhsa_user_sgpr_kernarg_preload_offset 0
		.amdhsa_user_sgpr_private_segment_size 0
		.amdhsa_uses_dynamic_stack 0
		.amdhsa_system_sgpr_private_segment_wavefront_offset 0
		.amdhsa_system_sgpr_workgroup_id_x 1
		.amdhsa_system_sgpr_workgroup_id_y 0
		.amdhsa_system_sgpr_workgroup_id_z 0
		.amdhsa_system_sgpr_workgroup_info 0
		.amdhsa_system_vgpr_workitem_id 0
		.amdhsa_next_free_vgpr 1
		.amdhsa_next_free_sgpr 0
		.amdhsa_accum_offset 4
		.amdhsa_reserve_vcc 0
		.amdhsa_reserve_flat_scratch 0
		.amdhsa_float_round_mode_32 0
		.amdhsa_float_round_mode_16_64 0
		.amdhsa_float_denorm_mode_32 3
		.amdhsa_float_denorm_mode_16_64 3
		.amdhsa_dx10_clamp 1
		.amdhsa_ieee_mode 1
		.amdhsa_fp16_overflow 0
		.amdhsa_tg_split 0
		.amdhsa_exception_fp_ieee_invalid_op 0
		.amdhsa_exception_fp_denorm_src 0
		.amdhsa_exception_fp_ieee_div_zero 0
		.amdhsa_exception_fp_ieee_overflow 0
		.amdhsa_exception_fp_ieee_underflow 0
		.amdhsa_exception_fp_ieee_inexact 0
		.amdhsa_exception_int_div_zero 0
	.end_amdhsa_kernel
	.section	.text._ZN7rocprim17ROCPRIM_400000_NS6detail17trampoline_kernelINS0_14default_configENS1_20scan_config_selectorIyEEZZNS1_9scan_implILNS1_25lookback_scan_determinismE0ELb1ELb1ES3_N6thrust23THRUST_200600_302600_NS6detail15normal_iteratorINS9_10device_ptrIyEEEESE_yNS9_4plusIvEEyEEDaPvRmT3_T4_T5_mT6_P12ihipStream_tbENKUlT_T0_E_clISt17integral_constantIbLb1EEST_IbLb0EEEEDaSP_SQ_EUlSP_E_NS1_11comp_targetILNS1_3genE5ELNS1_11target_archE942ELNS1_3gpuE9ELNS1_3repE0EEENS1_30default_config_static_selectorELNS0_4arch9wavefront6targetE1EEEvT1_,"axG",@progbits,_ZN7rocprim17ROCPRIM_400000_NS6detail17trampoline_kernelINS0_14default_configENS1_20scan_config_selectorIyEEZZNS1_9scan_implILNS1_25lookback_scan_determinismE0ELb1ELb1ES3_N6thrust23THRUST_200600_302600_NS6detail15normal_iteratorINS9_10device_ptrIyEEEESE_yNS9_4plusIvEEyEEDaPvRmT3_T4_T5_mT6_P12ihipStream_tbENKUlT_T0_E_clISt17integral_constantIbLb1EEST_IbLb0EEEEDaSP_SQ_EUlSP_E_NS1_11comp_targetILNS1_3genE5ELNS1_11target_archE942ELNS1_3gpuE9ELNS1_3repE0EEENS1_30default_config_static_selectorELNS0_4arch9wavefront6targetE1EEEvT1_,comdat
.Lfunc_end4539:
	.size	_ZN7rocprim17ROCPRIM_400000_NS6detail17trampoline_kernelINS0_14default_configENS1_20scan_config_selectorIyEEZZNS1_9scan_implILNS1_25lookback_scan_determinismE0ELb1ELb1ES3_N6thrust23THRUST_200600_302600_NS6detail15normal_iteratorINS9_10device_ptrIyEEEESE_yNS9_4plusIvEEyEEDaPvRmT3_T4_T5_mT6_P12ihipStream_tbENKUlT_T0_E_clISt17integral_constantIbLb1EEST_IbLb0EEEEDaSP_SQ_EUlSP_E_NS1_11comp_targetILNS1_3genE5ELNS1_11target_archE942ELNS1_3gpuE9ELNS1_3repE0EEENS1_30default_config_static_selectorELNS0_4arch9wavefront6targetE1EEEvT1_, .Lfunc_end4539-_ZN7rocprim17ROCPRIM_400000_NS6detail17trampoline_kernelINS0_14default_configENS1_20scan_config_selectorIyEEZZNS1_9scan_implILNS1_25lookback_scan_determinismE0ELb1ELb1ES3_N6thrust23THRUST_200600_302600_NS6detail15normal_iteratorINS9_10device_ptrIyEEEESE_yNS9_4plusIvEEyEEDaPvRmT3_T4_T5_mT6_P12ihipStream_tbENKUlT_T0_E_clISt17integral_constantIbLb1EEST_IbLb0EEEEDaSP_SQ_EUlSP_E_NS1_11comp_targetILNS1_3genE5ELNS1_11target_archE942ELNS1_3gpuE9ELNS1_3repE0EEENS1_30default_config_static_selectorELNS0_4arch9wavefront6targetE1EEEvT1_
                                        ; -- End function
	.section	.AMDGPU.csdata,"",@progbits
; Kernel info:
; codeLenInByte = 0
; NumSgprs: 4
; NumVgprs: 0
; NumAgprs: 0
; TotalNumVgprs: 0
; ScratchSize: 0
; MemoryBound: 0
; FloatMode: 240
; IeeeMode: 1
; LDSByteSize: 0 bytes/workgroup (compile time only)
; SGPRBlocks: 0
; VGPRBlocks: 0
; NumSGPRsForWavesPerEU: 4
; NumVGPRsForWavesPerEU: 1
; AccumOffset: 4
; Occupancy: 8
; WaveLimiterHint : 0
; COMPUTE_PGM_RSRC2:SCRATCH_EN: 0
; COMPUTE_PGM_RSRC2:USER_SGPR: 6
; COMPUTE_PGM_RSRC2:TRAP_HANDLER: 0
; COMPUTE_PGM_RSRC2:TGID_X_EN: 1
; COMPUTE_PGM_RSRC2:TGID_Y_EN: 0
; COMPUTE_PGM_RSRC2:TGID_Z_EN: 0
; COMPUTE_PGM_RSRC2:TIDIG_COMP_CNT: 0
; COMPUTE_PGM_RSRC3_GFX90A:ACCUM_OFFSET: 0
; COMPUTE_PGM_RSRC3_GFX90A:TG_SPLIT: 0
	.section	.text._ZN7rocprim17ROCPRIM_400000_NS6detail17trampoline_kernelINS0_14default_configENS1_20scan_config_selectorIyEEZZNS1_9scan_implILNS1_25lookback_scan_determinismE0ELb1ELb1ES3_N6thrust23THRUST_200600_302600_NS6detail15normal_iteratorINS9_10device_ptrIyEEEESE_yNS9_4plusIvEEyEEDaPvRmT3_T4_T5_mT6_P12ihipStream_tbENKUlT_T0_E_clISt17integral_constantIbLb1EEST_IbLb0EEEEDaSP_SQ_EUlSP_E_NS1_11comp_targetILNS1_3genE4ELNS1_11target_archE910ELNS1_3gpuE8ELNS1_3repE0EEENS1_30default_config_static_selectorELNS0_4arch9wavefront6targetE1EEEvT1_,"axG",@progbits,_ZN7rocprim17ROCPRIM_400000_NS6detail17trampoline_kernelINS0_14default_configENS1_20scan_config_selectorIyEEZZNS1_9scan_implILNS1_25lookback_scan_determinismE0ELb1ELb1ES3_N6thrust23THRUST_200600_302600_NS6detail15normal_iteratorINS9_10device_ptrIyEEEESE_yNS9_4plusIvEEyEEDaPvRmT3_T4_T5_mT6_P12ihipStream_tbENKUlT_T0_E_clISt17integral_constantIbLb1EEST_IbLb0EEEEDaSP_SQ_EUlSP_E_NS1_11comp_targetILNS1_3genE4ELNS1_11target_archE910ELNS1_3gpuE8ELNS1_3repE0EEENS1_30default_config_static_selectorELNS0_4arch9wavefront6targetE1EEEvT1_,comdat
	.protected	_ZN7rocprim17ROCPRIM_400000_NS6detail17trampoline_kernelINS0_14default_configENS1_20scan_config_selectorIyEEZZNS1_9scan_implILNS1_25lookback_scan_determinismE0ELb1ELb1ES3_N6thrust23THRUST_200600_302600_NS6detail15normal_iteratorINS9_10device_ptrIyEEEESE_yNS9_4plusIvEEyEEDaPvRmT3_T4_T5_mT6_P12ihipStream_tbENKUlT_T0_E_clISt17integral_constantIbLb1EEST_IbLb0EEEEDaSP_SQ_EUlSP_E_NS1_11comp_targetILNS1_3genE4ELNS1_11target_archE910ELNS1_3gpuE8ELNS1_3repE0EEENS1_30default_config_static_selectorELNS0_4arch9wavefront6targetE1EEEvT1_ ; -- Begin function _ZN7rocprim17ROCPRIM_400000_NS6detail17trampoline_kernelINS0_14default_configENS1_20scan_config_selectorIyEEZZNS1_9scan_implILNS1_25lookback_scan_determinismE0ELb1ELb1ES3_N6thrust23THRUST_200600_302600_NS6detail15normal_iteratorINS9_10device_ptrIyEEEESE_yNS9_4plusIvEEyEEDaPvRmT3_T4_T5_mT6_P12ihipStream_tbENKUlT_T0_E_clISt17integral_constantIbLb1EEST_IbLb0EEEEDaSP_SQ_EUlSP_E_NS1_11comp_targetILNS1_3genE4ELNS1_11target_archE910ELNS1_3gpuE8ELNS1_3repE0EEENS1_30default_config_static_selectorELNS0_4arch9wavefront6targetE1EEEvT1_
	.globl	_ZN7rocprim17ROCPRIM_400000_NS6detail17trampoline_kernelINS0_14default_configENS1_20scan_config_selectorIyEEZZNS1_9scan_implILNS1_25lookback_scan_determinismE0ELb1ELb1ES3_N6thrust23THRUST_200600_302600_NS6detail15normal_iteratorINS9_10device_ptrIyEEEESE_yNS9_4plusIvEEyEEDaPvRmT3_T4_T5_mT6_P12ihipStream_tbENKUlT_T0_E_clISt17integral_constantIbLb1EEST_IbLb0EEEEDaSP_SQ_EUlSP_E_NS1_11comp_targetILNS1_3genE4ELNS1_11target_archE910ELNS1_3gpuE8ELNS1_3repE0EEENS1_30default_config_static_selectorELNS0_4arch9wavefront6targetE1EEEvT1_
	.p2align	8
	.type	_ZN7rocprim17ROCPRIM_400000_NS6detail17trampoline_kernelINS0_14default_configENS1_20scan_config_selectorIyEEZZNS1_9scan_implILNS1_25lookback_scan_determinismE0ELb1ELb1ES3_N6thrust23THRUST_200600_302600_NS6detail15normal_iteratorINS9_10device_ptrIyEEEESE_yNS9_4plusIvEEyEEDaPvRmT3_T4_T5_mT6_P12ihipStream_tbENKUlT_T0_E_clISt17integral_constantIbLb1EEST_IbLb0EEEEDaSP_SQ_EUlSP_E_NS1_11comp_targetILNS1_3genE4ELNS1_11target_archE910ELNS1_3gpuE8ELNS1_3repE0EEENS1_30default_config_static_selectorELNS0_4arch9wavefront6targetE1EEEvT1_,@function
_ZN7rocprim17ROCPRIM_400000_NS6detail17trampoline_kernelINS0_14default_configENS1_20scan_config_selectorIyEEZZNS1_9scan_implILNS1_25lookback_scan_determinismE0ELb1ELb1ES3_N6thrust23THRUST_200600_302600_NS6detail15normal_iteratorINS9_10device_ptrIyEEEESE_yNS9_4plusIvEEyEEDaPvRmT3_T4_T5_mT6_P12ihipStream_tbENKUlT_T0_E_clISt17integral_constantIbLb1EEST_IbLb0EEEEDaSP_SQ_EUlSP_E_NS1_11comp_targetILNS1_3genE4ELNS1_11target_archE910ELNS1_3gpuE8ELNS1_3repE0EEENS1_30default_config_static_selectorELNS0_4arch9wavefront6targetE1EEEvT1_: ; @_ZN7rocprim17ROCPRIM_400000_NS6detail17trampoline_kernelINS0_14default_configENS1_20scan_config_selectorIyEEZZNS1_9scan_implILNS1_25lookback_scan_determinismE0ELb1ELb1ES3_N6thrust23THRUST_200600_302600_NS6detail15normal_iteratorINS9_10device_ptrIyEEEESE_yNS9_4plusIvEEyEEDaPvRmT3_T4_T5_mT6_P12ihipStream_tbENKUlT_T0_E_clISt17integral_constantIbLb1EEST_IbLb0EEEEDaSP_SQ_EUlSP_E_NS1_11comp_targetILNS1_3genE4ELNS1_11target_archE910ELNS1_3gpuE8ELNS1_3repE0EEENS1_30default_config_static_selectorELNS0_4arch9wavefront6targetE1EEEvT1_
; %bb.0:
	s_load_dwordx8 s[8:15], s[4:5], 0x0
	s_load_dword s1, s[4:5], 0x38
	s_mul_i32 s0, s6, 0x380
	v_lshlrev_b32_e32 v36, 3, v0
	s_waitcnt lgkmcnt(0)
	s_lshl_b64 s[16:17], s[10:11], 3
	s_add_u32 s28, s8, s16
	s_addc_u32 s29, s9, s17
	s_add_i32 s2, s1, -1
	s_mul_i32 s3, s2, 0x380
	s_sub_u32 s26, s14, s3
	s_subb_u32 s27, s15, 0
	s_mov_b32 s1, 0
	s_cmp_lg_u32 s6, s2
	s_cselect_b64 s[14:15], -1, 0
	s_lshl_b64 s[18:19], s[0:1], 3
	s_add_u32 s2, s28, s18
	s_addc_u32 s3, s29, s19
	s_mov_b64 s[0:1], -1
	s_and_b64 vcc, exec, s[14:15]
	s_cbranch_vccz .LBB4540_2
; %bb.1:
	v_mov_b32_e32 v1, s3
	v_add_co_u32_e32 v2, vcc, s2, v36
	v_addc_co_u32_e32 v3, vcc, 0, v1, vcc
	flat_load_dwordx2 v[4:5], v[2:3]
	flat_load_dwordx2 v[6:7], v[2:3] offset:1024
	flat_load_dwordx2 v[8:9], v[2:3] offset:2048
	;; [unrolled: 1-line block ×3, first 2 shown]
	v_add_co_u32_e32 v2, vcc, 0x1000, v2
	v_addc_co_u32_e32 v3, vcc, 0, v3, vcc
	flat_load_dwordx2 v[12:13], v[2:3]
	flat_load_dwordx2 v[14:15], v[2:3] offset:1024
	flat_load_dwordx2 v[16:17], v[2:3] offset:2048
	s_mov_b64 s[0:1], 0
	s_waitcnt vmcnt(0) lgkmcnt(0)
	ds_write2st64_b64 v36, v[4:5], v[6:7] offset1:2
	ds_write2st64_b64 v36, v[8:9], v[10:11] offset0:4 offset1:6
	ds_write2st64_b64 v36, v[12:13], v[14:15] offset0:8 offset1:10
	ds_write_b64 v36, v[16:17] offset:6144
	s_waitcnt lgkmcnt(0)
	s_barrier
.LBB4540_2:
	s_load_dwordx2 s[22:23], s[4:5], 0x20
	s_load_dwordx2 s[20:21], s[4:5], 0x30
	s_andn2_b64 vcc, exec, s[0:1]
	v_cmp_gt_u32_e64 s[0:1], s26, v0
	s_cbranch_vccnz .LBB4540_18
; %bb.3:
	v_pk_mov_b32 v[2:3], s[2:3], s[2:3] op_sel:[0,1]
	flat_load_dwordx2 v[2:3], v[2:3]
	s_waitcnt vmcnt(0) lgkmcnt(0)
	v_mov_b32_e32 v4, v2
	v_mov_b32_e32 v5, v3
	;; [unrolled: 1-line block ×10, first 2 shown]
	v_pk_mov_b32 v[18:19], v[14:15], v[14:15] op_sel:[0,1]
	v_pk_mov_b32 v[16:17], v[12:13], v[12:13] op_sel:[0,1]
	;; [unrolled: 1-line block ×8, first 2 shown]
	s_and_saveexec_b64 s[8:9], s[0:1]
	s_cbranch_execz .LBB4540_5
; %bb.4:
	v_mov_b32_e32 v1, s3
	v_add_co_u32_e32 v4, vcc, s2, v36
	v_addc_co_u32_e32 v5, vcc, 0, v1, vcc
	flat_load_dwordx2 v[20:21], v[4:5]
	v_mov_b32_e32 v4, v2
	v_mov_b32_e32 v5, v3
	;; [unrolled: 1-line block ×10, first 2 shown]
	v_pk_mov_b32 v[18:19], v[14:15], v[14:15] op_sel:[0,1]
	v_pk_mov_b32 v[16:17], v[12:13], v[12:13] op_sel:[0,1]
	;; [unrolled: 1-line block ×8, first 2 shown]
	s_waitcnt vmcnt(0) lgkmcnt(0)
	v_pk_mov_b32 v[2:3], v[20:21], v[20:21] op_sel:[0,1]
.LBB4540_5:
	s_or_b64 exec, exec, s[8:9]
	v_or_b32_e32 v1, 0x80, v0
	v_cmp_gt_u32_e32 vcc, s26, v1
	s_and_saveexec_b64 s[0:1], vcc
	s_cbranch_execz .LBB4540_7
; %bb.6:
	v_mov_b32_e32 v1, s3
	v_add_co_u32_e32 v4, vcc, s2, v36
	v_addc_co_u32_e32 v5, vcc, 0, v1, vcc
	flat_load_dwordx2 v[6:7], v[4:5] offset:1024
.LBB4540_7:
	s_or_b64 exec, exec, s[0:1]
	v_or_b32_e32 v1, 0x100, v0
	v_cmp_gt_u32_e32 vcc, s26, v1
	s_and_saveexec_b64 s[0:1], vcc
	s_cbranch_execz .LBB4540_9
; %bb.8:
	v_mov_b32_e32 v1, s3
	v_add_co_u32_e32 v4, vcc, s2, v36
	v_addc_co_u32_e32 v5, vcc, 0, v1, vcc
	flat_load_dwordx2 v[8:9], v[4:5] offset:2048
.LBB4540_9:
	;; [unrolled: 11-line block ×3, first 2 shown]
	s_or_b64 exec, exec, s[0:1]
	v_or_b32_e32 v1, 0x200, v0
	v_cmp_gt_u32_e32 vcc, s26, v1
	s_and_saveexec_b64 s[0:1], vcc
	s_cbranch_execz .LBB4540_13
; %bb.12:
	v_lshlrev_b32_e32 v1, 3, v1
	v_mov_b32_e32 v5, s3
	v_add_co_u32_e32 v4, vcc, s2, v1
	v_addc_co_u32_e32 v5, vcc, 0, v5, vcc
	flat_load_dwordx2 v[12:13], v[4:5]
.LBB4540_13:
	s_or_b64 exec, exec, s[0:1]
	v_or_b32_e32 v1, 0x280, v0
	v_cmp_gt_u32_e32 vcc, s26, v1
	s_and_saveexec_b64 s[0:1], vcc
	s_cbranch_execz .LBB4540_15
; %bb.14:
	v_lshlrev_b32_e32 v1, 3, v1
	v_mov_b32_e32 v5, s3
	v_add_co_u32_e32 v4, vcc, s2, v1
	v_addc_co_u32_e32 v5, vcc, 0, v5, vcc
	flat_load_dwordx2 v[14:15], v[4:5]
.LBB4540_15:
	;; [unrolled: 12-line block ×3, first 2 shown]
	s_or_b64 exec, exec, s[0:1]
	s_waitcnt vmcnt(0) lgkmcnt(0)
	ds_write2st64_b64 v36, v[2:3], v[6:7] offset1:2
	ds_write2st64_b64 v36, v[8:9], v[10:11] offset0:4 offset1:6
	ds_write2st64_b64 v36, v[12:13], v[14:15] offset0:8 offset1:10
	ds_write_b64 v36, v[16:17] offset:6144
	s_waitcnt lgkmcnt(0)
	s_barrier
.LBB4540_18:
	v_mul_u32_u24_e32 v37, 7, v0
	v_lshlrev_b32_e32 v1, 3, v37
	s_waitcnt lgkmcnt(0)
	ds_read2_b64 v[10:13], v1 offset1:1
	ds_read2_b64 v[6:9], v1 offset0:2 offset1:3
	ds_read2_b64 v[2:5], v1 offset0:4 offset1:5
	ds_read_b64 v[26:27], v1 offset:48
	s_cmp_lg_u32 s6, 0
	v_lshrrev_b32_e32 v38, 5, v0
	v_cmp_gt_u32_e32 vcc, 64, v0
	s_waitcnt lgkmcnt(0)
	s_barrier
	s_cbranch_scc0 .LBB4540_49
; %bb.19:
	v_add_co_u32_e64 v1, s[0:1], v12, v10
	v_addc_co_u32_e64 v14, s[0:1], v13, v11, s[0:1]
	v_add_co_u32_e64 v1, s[0:1], v1, v6
	v_addc_co_u32_e64 v14, s[0:1], v14, v7, s[0:1]
	;; [unrolled: 2-line block ×6, first 2 shown]
	v_add_lshl_u32 v1, v38, v0, 3
	ds_write_b64 v1, v[18:19]
	s_waitcnt lgkmcnt(0)
	s_barrier
	s_and_saveexec_b64 s[8:9], vcc
	s_cbranch_execz .LBB4540_23
; %bb.20:
	v_lshlrev_b32_e32 v1, 1, v0
	v_lshrrev_b32_e32 v14, 4, v0
	v_add_lshl_u32 v20, v14, v1, 3
	ds_read2_b64 v[14:17], v20 offset1:1
	v_mbcnt_lo_u32_b32 v1, -1, 0
	s_waitcnt lgkmcnt(0)
	v_add_co_u32_e64 v21, s[0:1], v16, v14
	v_addc_co_u32_e64 v22, s[0:1], v17, v15, s[0:1]
	s_nop 0
	v_mov_b32_dpp v16, v21 row_shr:1 row_mask:0xf bank_mask:0xf
	v_add_co_u32_e64 v16, s[0:1], v21, v16
	v_addc_co_u32_e64 v24, s[0:1], 0, v22, s[0:1]
	v_mbcnt_hi_u32_b32 v17, -1, v1
	v_mov_b32_dpp v23, v22 row_shr:1 row_mask:0xf bank_mask:0xf
	v_add_co_u32_e64 v25, s[0:1], 0, v16
	v_and_b32_e32 v1, 15, v17
	v_addc_co_u32_e64 v23, s[0:1], v23, v24, s[0:1]
	v_cmp_eq_u32_e64 s[0:1], 0, v1
	v_cndmask_b32_e64 v16, v16, v21, s[0:1]
	v_cndmask_b32_e64 v23, v23, v22, s[0:1]
	v_cndmask_b32_e64 v24, v25, v21, s[0:1]
	v_mov_b32_dpp v25, v16 row_shr:2 row_mask:0xf bank_mask:0xf
	v_mov_b32_dpp v28, v23 row_shr:2 row_mask:0xf bank_mask:0xf
	v_add_co_u32_e64 v25, s[0:1], v25, v24
	v_addc_co_u32_e64 v28, s[0:1], v28, v23, s[0:1]
	v_cmp_lt_u32_e64 s[0:1], 1, v1
	v_cndmask_b32_e64 v16, v16, v25, s[0:1]
	v_cndmask_b32_e64 v23, v23, v28, s[0:1]
	v_cndmask_b32_e64 v24, v24, v25, s[0:1]
	v_mov_b32_dpp v25, v16 row_shr:4 row_mask:0xf bank_mask:0xf
	v_mov_b32_dpp v28, v23 row_shr:4 row_mask:0xf bank_mask:0xf
	v_add_co_u32_e64 v25, s[0:1], v25, v24
	v_addc_co_u32_e64 v28, s[0:1], v28, v23, s[0:1]
	v_cmp_lt_u32_e64 s[0:1], 3, v1
	v_cndmask_b32_e64 v16, v16, v25, s[0:1]
	v_cndmask_b32_e64 v23, v23, v28, s[0:1]
	v_cndmask_b32_e64 v24, v24, v25, s[0:1]
	v_mov_b32_dpp v25, v16 row_shr:8 row_mask:0xf bank_mask:0xf
	v_mov_b32_dpp v28, v23 row_shr:8 row_mask:0xf bank_mask:0xf
	v_add_co_u32_e64 v25, s[0:1], v25, v24
	v_addc_co_u32_e64 v28, s[0:1], v28, v23, s[0:1]
	v_cmp_lt_u32_e64 s[0:1], 7, v1
	v_cndmask_b32_e64 v29, v16, v25, s[0:1]
	v_cndmask_b32_e64 v1, v23, v28, s[0:1]
	;; [unrolled: 1-line block ×3, first 2 shown]
	v_mov_b32_dpp v23, v29 row_bcast:15 row_mask:0xf bank_mask:0xf
	v_mov_b32_dpp v24, v1 row_bcast:15 row_mask:0xf bank_mask:0xf
	v_add_co_u32_e64 v23, s[0:1], v23, v16
	v_and_b32_e32 v28, 16, v17
	v_addc_co_u32_e64 v25, s[0:1], v24, v1, s[0:1]
	v_cmp_eq_u32_e64 s[0:1], 0, v28
	v_cndmask_b32_e64 v28, v25, v1, s[0:1]
	v_cndmask_b32_e64 v24, v23, v29, s[0:1]
	v_cmp_ne_u32_e64 s[2:3], 0, v17
	v_mov_b32_dpp v28, v28 row_bcast:31 row_mask:0xf bank_mask:0xf
	v_mov_b32_dpp v24, v24 row_bcast:31 row_mask:0xf bank_mask:0xf
	s_and_saveexec_b64 s[10:11], s[2:3]
; %bb.21:
	v_cndmask_b32_e64 v1, v25, v1, s[0:1]
	v_cndmask_b32_e64 v16, v23, v16, s[0:1]
	v_cmp_lt_u32_e64 s[0:1], 31, v17
	v_cndmask_b32_e64 v21, 0, v24, s[0:1]
	v_cndmask_b32_e64 v22, 0, v28, s[0:1]
	v_add_co_u32_e64 v21, s[0:1], v21, v16
	v_addc_co_u32_e64 v22, s[0:1], v22, v1, s[0:1]
; %bb.22:
	s_or_b64 exec, exec, s[10:11]
	v_add_u32_e32 v1, -1, v17
	v_and_b32_e32 v16, 64, v17
	v_cmp_lt_i32_e64 s[0:1], v1, v16
	v_cndmask_b32_e64 v1, v1, v17, s[0:1]
	v_lshlrev_b32_e32 v1, 2, v1
	ds_bpermute_b32 v16, v1, v21
	ds_bpermute_b32 v1, v1, v22
	; wave barrier
	s_waitcnt lgkmcnt(1)
	v_add_co_u32_e64 v14, s[0:1], v14, v16
	v_addc_co_u32_e64 v15, s[0:1], 0, v15, s[0:1]
	v_add_co_u32_e64 v14, s[0:1], 0, v14
	s_waitcnt lgkmcnt(0)
	v_addc_co_u32_e64 v1, s[0:1], v15, v1, s[0:1]
	v_cmp_eq_u32_e64 s[0:1], 0, v0
	v_cndmask_b32_e64 v15, v1, v19, s[0:1]
	v_cndmask_b32_e64 v14, v14, v18, s[0:1]
	ds_write_b64 v20, v[14:15]
	; wave barrier
	ds_read_b64 v[16:17], v20 offset:8
	s_waitcnt lgkmcnt(0)
	v_add_co_u32_e64 v14, s[0:1], v16, v14
	v_addc_co_u32_e64 v15, s[0:1], v17, v15, s[0:1]
	ds_write_b64 v20, v[14:15] offset:8
.LBB4540_23:
	s_or_b64 exec, exec, s[8:9]
	v_cmp_eq_u32_e64 s[0:1], 0, v0
	v_cmp_ne_u32_e64 s[2:3], 0, v0
	v_pk_mov_b32 v[22:23], 0, 0
	s_waitcnt lgkmcnt(0)
	s_barrier
	s_and_saveexec_b64 s[8:9], s[2:3]
	s_cbranch_execz .LBB4540_25
; %bb.24:
	v_add_u32_e32 v1, -1, v0
	v_lshrrev_b32_e32 v14, 5, v1
	v_add_lshl_u32 v1, v14, v1, 3
	ds_read_b64 v[22:23], v1
.LBB4540_25:
	s_or_b64 exec, exec, s[8:9]
	s_and_saveexec_b64 s[24:25], vcc
	s_cbranch_execz .LBB4540_48
; %bb.26:
	v_mov_b32_e32 v17, 0
	ds_read_b64 v[14:15], v17 offset:1040
	v_mbcnt_lo_u32_b32 v1, -1, 0
	v_mbcnt_hi_u32_b32 v30, -1, v1
	s_mov_b32 s11, 0
	v_cmp_eq_u32_e64 s[2:3], 0, v30
	s_and_saveexec_b64 s[8:9], s[2:3]
	s_cbranch_execz .LBB4540_28
; %bb.27:
	s_add_i32 s10, s6, 64
	s_lshl_b64 s[10:11], s[10:11], 4
	s_add_u32 s10, s20, s10
	s_addc_u32 s11, s21, s11
	v_mov_b32_e32 v16, 1
	v_pk_mov_b32 v[18:19], s[10:11], s[10:11] op_sel:[0,1]
	s_waitcnt lgkmcnt(0)
	;;#ASMSTART
	global_store_dwordx4 v[18:19], v[14:17] off	
s_waitcnt vmcnt(0)
	;;#ASMEND
.LBB4540_28:
	s_or_b64 exec, exec, s[8:9]
	v_xad_u32 v24, v30, -1, s6
	v_add_u32_e32 v16, 64, v24
	v_lshlrev_b64 v[18:19], 4, v[16:17]
	v_mov_b32_e32 v1, s21
	v_add_co_u32_e32 v28, vcc, s20, v18
	v_addc_co_u32_e32 v29, vcc, v1, v19, vcc
	;;#ASMSTART
	global_load_dwordx4 v[18:21], v[28:29] off glc	
s_waitcnt vmcnt(0)
	;;#ASMEND
	v_and_b32_e32 v1, 0xff, v19
	v_and_b32_e32 v16, 0xff00, v19
	v_or3_b32 v1, 0, v1, v16
	v_or3_b32 v16, v18, 0, 0
	v_and_b32_e32 v18, 0xff000000, v19
	v_and_b32_e32 v19, 0xff0000, v19
	v_or3_b32 v19, v1, v19, v18
	v_or3_b32 v18, v16, 0, 0
	v_cmp_eq_u16_sdwa s[10:11], v20, v17 src0_sel:BYTE_0 src1_sel:DWORD
	s_and_saveexec_b64 s[8:9], s[10:11]
	s_cbranch_execz .LBB4540_34
; %bb.29:
	s_mov_b32 s7, 1
	s_mov_b64 s[10:11], 0
	v_mov_b32_e32 v1, 0
.LBB4540_30:                            ; =>This Loop Header: Depth=1
                                        ;     Child Loop BB4540_31 Depth 2
	s_max_u32 s30, s7, 1
.LBB4540_31:                            ;   Parent Loop BB4540_30 Depth=1
                                        ; =>  This Inner Loop Header: Depth=2
	s_add_i32 s30, s30, -1
	s_cmp_eq_u32 s30, 0
	s_sleep 1
	s_cbranch_scc0 .LBB4540_31
; %bb.32:                               ;   in Loop: Header=BB4540_30 Depth=1
	s_cmp_lt_u32 s7, 32
	s_cselect_b64 s[30:31], -1, 0
	s_cmp_lg_u64 s[30:31], 0
	s_addc_u32 s7, s7, 0
	;;#ASMSTART
	global_load_dwordx4 v[18:21], v[28:29] off glc	
s_waitcnt vmcnt(0)
	;;#ASMEND
	v_cmp_ne_u16_sdwa s[30:31], v20, v1 src0_sel:BYTE_0 src1_sel:DWORD
	s_or_b64 s[10:11], s[30:31], s[10:11]
	s_andn2_b64 exec, exec, s[10:11]
	s_cbranch_execnz .LBB4540_30
; %bb.33:
	s_or_b64 exec, exec, s[10:11]
.LBB4540_34:
	s_or_b64 exec, exec, s[8:9]
	v_and_b32_e32 v32, 63, v30
	v_cmp_ne_u32_e32 vcc, 63, v32
	v_addc_co_u32_e32 v28, vcc, 0, v30, vcc
	v_lshlrev_b32_e32 v33, 2, v28
	ds_bpermute_b32 v28, v33, v18
	v_mov_b32_e32 v1, 2
	v_cmp_eq_u16_sdwa s[8:9], v20, v1 src0_sel:BYTE_0 src1_sel:DWORD
	v_lshlrev_b64 v[16:17], v30, -1
	ds_bpermute_b32 v29, v33, v19
	v_and_b32_e32 v21, s9, v17
	v_or_b32_e32 v21, 0x80000000, v21
	s_waitcnt lgkmcnt(1)
	v_add_co_u32_e32 v28, vcc, v18, v28
	v_and_b32_e32 v25, s8, v16
	v_ffbl_b32_e32 v21, v21
	v_addc_co_u32_e32 v31, vcc, 0, v19, vcc
	v_add_u32_e32 v21, 32, v21
	v_ffbl_b32_e32 v25, v25
	v_add_co_u32_e32 v35, vcc, 0, v28
	v_cmp_gt_u32_e64 s[8:9], 62, v32
	v_min_u32_e32 v21, v25, v21
	s_waitcnt lgkmcnt(0)
	v_addc_co_u32_e32 v29, vcc, v29, v31, vcc
	v_cndmask_b32_e64 v31, 0, 1, s[8:9]
	v_cmp_lt_u32_e32 vcc, v32, v21
	v_lshlrev_b32_e32 v31, 1, v31
	v_cndmask_b32_e32 v28, v18, v28, vcc
	v_add_lshl_u32 v34, v31, v30, 2
	v_cndmask_b32_e32 v29, v19, v29, vcc
	ds_bpermute_b32 v31, v34, v28
	ds_bpermute_b32 v39, v34, v29
	v_cndmask_b32_e32 v40, v18, v35, vcc
	v_add_u32_e32 v35, 2, v32
	v_cmp_gt_u32_e64 s[10:11], 60, v32
	s_waitcnt lgkmcnt(1)
	v_add_co_u32_e64 v31, s[8:9], v31, v40
	s_waitcnt lgkmcnt(0)
	v_addc_co_u32_e64 v39, s[8:9], v39, v29, s[8:9]
	v_cmp_gt_u32_e64 s[8:9], v35, v21
	v_cndmask_b32_e64 v29, v39, v29, s[8:9]
	v_cndmask_b32_e64 v39, 0, 1, s[10:11]
	v_lshlrev_b32_e32 v39, 2, v39
	v_cndmask_b32_e64 v28, v31, v28, s[8:9]
	v_add_lshl_u32 v39, v39, v30, 2
	ds_bpermute_b32 v41, v39, v28
	ds_bpermute_b32 v42, v39, v29
	v_cndmask_b32_e64 v31, v31, v40, s[8:9]
	v_add_u32_e32 v40, 4, v32
	v_cmp_gt_u32_e64 s[10:11], 56, v32
	s_waitcnt lgkmcnt(1)
	v_add_co_u32_e64 v43, s[8:9], v41, v31
	s_waitcnt lgkmcnt(0)
	v_addc_co_u32_e64 v41, s[8:9], v42, v29, s[8:9]
	v_cmp_gt_u32_e64 s[8:9], v40, v21
	v_cndmask_b32_e64 v29, v41, v29, s[8:9]
	v_cndmask_b32_e64 v41, 0, 1, s[10:11]
	v_lshlrev_b32_e32 v41, 3, v41
	v_cndmask_b32_e64 v28, v43, v28, s[8:9]
	v_add_lshl_u32 v41, v41, v30, 2
	ds_bpermute_b32 v44, v41, v28
	v_cndmask_b32_e64 v31, v43, v31, s[8:9]
	ds_bpermute_b32 v43, v41, v29
	v_add_u32_e32 v42, 8, v32
	v_cmp_gt_u32_e64 s[10:11], 48, v32
	s_waitcnt lgkmcnt(1)
	v_add_co_u32_e64 v44, s[8:9], v44, v31
	s_waitcnt lgkmcnt(0)
	v_addc_co_u32_e64 v43, s[8:9], v43, v29, s[8:9]
	v_cmp_gt_u32_e64 s[8:9], v42, v21
	v_cndmask_b32_e64 v29, v43, v29, s[8:9]
	v_cndmask_b32_e64 v43, 0, 1, s[10:11]
	v_lshlrev_b32_e32 v43, 4, v43
	v_cndmask_b32_e64 v28, v44, v28, s[8:9]
	v_add_lshl_u32 v43, v43, v30, 2
	ds_bpermute_b32 v45, v43, v28
	ds_bpermute_b32 v46, v43, v29
	v_cndmask_b32_e64 v31, v44, v31, s[8:9]
	v_cmp_gt_u32_e64 s[10:11], 32, v32
	v_add_u32_e32 v44, 16, v32
	s_waitcnt lgkmcnt(1)
	v_add_co_u32_e64 v47, s[8:9], v45, v31
	s_waitcnt lgkmcnt(0)
	v_addc_co_u32_e64 v46, s[8:9], v46, v29, s[8:9]
	v_cndmask_b32_e64 v45, 0, 1, s[10:11]
	v_cmp_gt_u32_e64 s[8:9], v44, v21
	v_lshlrev_b32_e32 v45, 5, v45
	v_cndmask_b32_e64 v28, v47, v28, s[8:9]
	v_add_lshl_u32 v45, v45, v30, 2
	v_cndmask_b32_e64 v29, v46, v29, s[8:9]
	ds_bpermute_b32 v28, v45, v28
	ds_bpermute_b32 v30, v45, v29
	v_add_u32_e32 v46, 32, v32
	v_cndmask_b32_e64 v31, v47, v31, s[8:9]
	v_cmp_le_u32_e64 s[8:9], v46, v21
	s_waitcnt lgkmcnt(1)
	v_cndmask_b32_e64 v28, 0, v28, s[8:9]
	s_waitcnt lgkmcnt(0)
	v_cndmask_b32_e64 v21, 0, v30, s[8:9]
	v_add_co_u32_e64 v28, s[8:9], v28, v31
	v_addc_co_u32_e64 v21, s[8:9], v21, v29, s[8:9]
	v_mov_b32_e32 v25, 0
	v_cndmask_b32_e32 v19, v19, v21, vcc
	v_cndmask_b32_e32 v18, v18, v28, vcc
	s_branch .LBB4540_36
.LBB4540_35:                            ;   in Loop: Header=BB4540_36 Depth=1
	s_or_b64 exec, exec, s[8:9]
	v_cmp_eq_u16_sdwa s[8:9], v20, v1 src0_sel:BYTE_0 src1_sel:DWORD
	v_and_b32_e32 v21, s9, v17
	v_or_b32_e32 v21, 0x80000000, v21
	ds_bpermute_b32 v31, v33, v18
	v_and_b32_e32 v30, s8, v16
	v_ffbl_b32_e32 v21, v21
	v_add_u32_e32 v21, 32, v21
	v_ffbl_b32_e32 v30, v30
	v_min_u32_e32 v21, v30, v21
	ds_bpermute_b32 v30, v33, v19
	s_waitcnt lgkmcnt(1)
	v_add_co_u32_e32 v31, vcc, v18, v31
	v_addc_co_u32_e32 v47, vcc, 0, v19, vcc
	v_add_co_u32_e32 v48, vcc, 0, v31
	s_waitcnt lgkmcnt(0)
	v_addc_co_u32_e32 v30, vcc, v30, v47, vcc
	v_cmp_lt_u32_e32 vcc, v32, v21
	v_cndmask_b32_e32 v31, v18, v31, vcc
	ds_bpermute_b32 v47, v34, v31
	v_cndmask_b32_e32 v30, v19, v30, vcc
	ds_bpermute_b32 v49, v34, v30
	v_cndmask_b32_e32 v48, v18, v48, vcc
	v_subrev_u32_e32 v24, 64, v24
	s_waitcnt lgkmcnt(1)
	v_add_co_u32_e64 v47, s[8:9], v47, v48
	s_waitcnt lgkmcnt(0)
	v_addc_co_u32_e64 v49, s[8:9], v49, v30, s[8:9]
	v_cmp_gt_u32_e64 s[8:9], v35, v21
	v_cndmask_b32_e64 v31, v47, v31, s[8:9]
	ds_bpermute_b32 v50, v39, v31
	v_cndmask_b32_e64 v30, v49, v30, s[8:9]
	ds_bpermute_b32 v49, v39, v30
	v_cndmask_b32_e64 v47, v47, v48, s[8:9]
	s_waitcnt lgkmcnt(1)
	v_add_co_u32_e64 v48, s[8:9], v50, v47
	s_waitcnt lgkmcnt(0)
	v_addc_co_u32_e64 v49, s[8:9], v49, v30, s[8:9]
	v_cmp_gt_u32_e64 s[8:9], v40, v21
	v_cndmask_b32_e64 v31, v48, v31, s[8:9]
	ds_bpermute_b32 v50, v41, v31
	v_cndmask_b32_e64 v30, v49, v30, s[8:9]
	ds_bpermute_b32 v49, v41, v30
	v_cndmask_b32_e64 v47, v48, v47, s[8:9]
	;; [unrolled: 10-line block ×3, first 2 shown]
	s_waitcnt lgkmcnt(1)
	v_add_co_u32_e64 v48, s[8:9], v50, v47
	s_waitcnt lgkmcnt(0)
	v_addc_co_u32_e64 v49, s[8:9], v49, v30, s[8:9]
	v_cmp_gt_u32_e64 s[8:9], v44, v21
	v_cndmask_b32_e64 v31, v48, v31, s[8:9]
	v_cndmask_b32_e64 v30, v49, v30, s[8:9]
	ds_bpermute_b32 v31, v45, v31
	ds_bpermute_b32 v49, v45, v30
	v_cndmask_b32_e64 v47, v48, v47, s[8:9]
	v_cmp_le_u32_e64 s[8:9], v46, v21
	s_waitcnt lgkmcnt(1)
	v_cndmask_b32_e64 v31, 0, v31, s[8:9]
	s_waitcnt lgkmcnt(0)
	v_cndmask_b32_e64 v21, 0, v49, s[8:9]
	v_add_co_u32_e64 v31, s[8:9], v31, v47
	v_addc_co_u32_e64 v21, s[8:9], v21, v30, s[8:9]
	v_cndmask_b32_e32 v18, v18, v31, vcc
	v_cndmask_b32_e32 v19, v19, v21, vcc
	v_add_co_u32_e32 v18, vcc, v18, v28
	v_addc_co_u32_e32 v19, vcc, v19, v29, vcc
.LBB4540_36:                            ; =>This Loop Header: Depth=1
                                        ;     Child Loop BB4540_39 Depth 2
                                        ;       Child Loop BB4540_40 Depth 3
	v_cmp_ne_u16_sdwa s[8:9], v20, v1 src0_sel:BYTE_0 src1_sel:DWORD
	v_cndmask_b32_e64 v20, 0, 1, s[8:9]
	;;#ASMSTART
	;;#ASMEND
	v_cmp_ne_u32_e32 vcc, 0, v20
	s_cmp_lg_u64 vcc, exec
	v_pk_mov_b32 v[28:29], v[18:19], v[18:19] op_sel:[0,1]
	s_cbranch_scc1 .LBB4540_43
; %bb.37:                               ;   in Loop: Header=BB4540_36 Depth=1
	v_lshlrev_b64 v[18:19], 4, v[24:25]
	v_mov_b32_e32 v20, s21
	v_add_co_u32_e32 v30, vcc, s20, v18
	v_addc_co_u32_e32 v31, vcc, v20, v19, vcc
	;;#ASMSTART
	global_load_dwordx4 v[18:21], v[30:31] off glc	
s_waitcnt vmcnt(0)
	;;#ASMEND
	v_and_b32_e32 v21, 0xff, v19
	v_and_b32_e32 v47, 0xff00, v19
	v_or3_b32 v21, 0, v21, v47
	v_or3_b32 v18, v18, 0, 0
	v_and_b32_e32 v47, 0xff000000, v19
	v_and_b32_e32 v19, 0xff0000, v19
	v_or3_b32 v19, v21, v19, v47
	v_or3_b32 v18, v18, 0, 0
	v_cmp_eq_u16_sdwa s[10:11], v20, v25 src0_sel:BYTE_0 src1_sel:DWORD
	s_and_saveexec_b64 s[8:9], s[10:11]
	s_cbranch_execz .LBB4540_35
; %bb.38:                               ;   in Loop: Header=BB4540_36 Depth=1
	s_mov_b32 s7, 1
	s_mov_b64 s[10:11], 0
.LBB4540_39:                            ;   Parent Loop BB4540_36 Depth=1
                                        ; =>  This Loop Header: Depth=2
                                        ;       Child Loop BB4540_40 Depth 3
	s_max_u32 s30, s7, 1
.LBB4540_40:                            ;   Parent Loop BB4540_36 Depth=1
                                        ;     Parent Loop BB4540_39 Depth=2
                                        ; =>    This Inner Loop Header: Depth=3
	s_add_i32 s30, s30, -1
	s_cmp_eq_u32 s30, 0
	s_sleep 1
	s_cbranch_scc0 .LBB4540_40
; %bb.41:                               ;   in Loop: Header=BB4540_39 Depth=2
	s_cmp_lt_u32 s7, 32
	s_cselect_b64 s[30:31], -1, 0
	s_cmp_lg_u64 s[30:31], 0
	s_addc_u32 s7, s7, 0
	;;#ASMSTART
	global_load_dwordx4 v[18:21], v[30:31] off glc	
s_waitcnt vmcnt(0)
	;;#ASMEND
	v_cmp_ne_u16_sdwa s[30:31], v20, v25 src0_sel:BYTE_0 src1_sel:DWORD
	s_or_b64 s[10:11], s[30:31], s[10:11]
	s_andn2_b64 exec, exec, s[10:11]
	s_cbranch_execnz .LBB4540_39
; %bb.42:                               ;   in Loop: Header=BB4540_36 Depth=1
	s_or_b64 exec, exec, s[10:11]
	s_branch .LBB4540_35
.LBB4540_43:                            ;   in Loop: Header=BB4540_36 Depth=1
                                        ; implicit-def: $vgpr18_vgpr19
                                        ; implicit-def: $vgpr20
	s_cbranch_execz .LBB4540_36
; %bb.44:
	s_and_saveexec_b64 s[8:9], s[2:3]
	s_cbranch_execz .LBB4540_46
; %bb.45:
	s_add_i32 s2, s6, 64
	s_mov_b32 s3, 0
	s_lshl_b64 s[2:3], s[2:3], 4
	s_add_u32 s2, s20, s2
	v_add_co_u32_e32 v14, vcc, v28, v14
	s_addc_u32 s3, s21, s3
	v_addc_co_u32_e32 v15, vcc, v29, v15, vcc
	v_mov_b32_e32 v16, 2
	v_mov_b32_e32 v17, 0
	v_pk_mov_b32 v[18:19], s[2:3], s[2:3] op_sel:[0,1]
	;;#ASMSTART
	global_store_dwordx4 v[18:19], v[14:17] off	
s_waitcnt vmcnt(0)
	;;#ASMEND
.LBB4540_46:
	s_or_b64 exec, exec, s[8:9]
	s_and_b64 exec, exec, s[0:1]
	s_cbranch_execz .LBB4540_48
; %bb.47:
	v_mov_b32_e32 v1, 0
	ds_write_b64 v1, v[28:29]
.LBB4540_48:
	s_or_b64 exec, exec, s[24:25]
	v_mov_b32_e32 v1, 0
	s_waitcnt lgkmcnt(0)
	s_barrier
	ds_read_b64 v[14:15], v1
	s_waitcnt lgkmcnt(0)
	v_add_co_u32_e32 v14, vcc, v14, v22
	v_addc_co_u32_e32 v15, vcc, v15, v23, vcc
	v_add_co_u32_e32 v28, vcc, v14, v10
	v_addc_co_u32_e32 v29, vcc, v15, v11, vcc
	;; [unrolled: 2-line block ×7, first 2 shown]
	s_load_dwordx8 s[0:7], s[4:5], 0x40
	s_branch .LBB4540_61
.LBB4540_49:
                                        ; implicit-def: $vgpr34_vgpr35
                                        ; implicit-def: $vgpr32_vgpr33
                                        ; implicit-def: $vgpr30_vgpr31
                                        ; implicit-def: $vgpr28_vgpr29
                                        ; implicit-def: $vgpr22_vgpr23_vgpr24_vgpr25
                                        ; implicit-def: $vgpr18_vgpr19_vgpr20_vgpr21
                                        ; implicit-def: $vgpr14_vgpr15_vgpr16_vgpr17
	s_load_dwordx8 s[0:7], s[4:5], 0x40
	s_cbranch_execz .LBB4540_61
; %bb.50:
	s_waitcnt lgkmcnt(0)
	s_cmp_eq_u64 s[4:5], 0
	v_pk_mov_b32 v[20:21], s[22:23], s[22:23] op_sel:[0,1]
	s_cbranch_scc1 .LBB4540_52
; %bb.51:
	v_mov_b32_e32 v1, 0
	v_mov_b32_e32 v15, s29
	v_add_co_u32_e64 v14, vcc, -8, s28
	v_addc_co_u32_e32 v15, vcc, -1, v15, vcc
	global_load_dwordx2 v[16:17], v1, s[0:1]
	flat_load_dwordx2 v[18:19], v[14:15]
	s_waitcnt vmcnt(0) lgkmcnt(0)
	v_add_co_u32_e32 v20, vcc, v16, v18
	v_addc_co_u32_e32 v21, vcc, v17, v19, vcc
.LBB4540_52:
	v_add_co_u32_e32 v1, vcc, v12, v10
	v_addc_co_u32_e32 v14, vcc, v13, v11, vcc
	v_add_co_u32_e32 v1, vcc, v1, v6
	v_addc_co_u32_e32 v14, vcc, v14, v7, vcc
	;; [unrolled: 2-line block ×6, first 2 shown]
	v_add_lshl_u32 v1, v38, v0, 3
	v_cmp_gt_u32_e32 vcc, 64, v0
	ds_write_b64 v1, v[18:19]
	s_waitcnt lgkmcnt(0)
	s_barrier
	s_and_saveexec_b64 s[4:5], vcc
	s_cbranch_execz .LBB4540_56
; %bb.53:
	v_lshlrev_b32_e32 v1, 1, v0
	v_lshrrev_b32_e32 v14, 4, v0
	v_add_lshl_u32 v22, v14, v1, 3
	ds_read2_b64 v[14:17], v22 offset1:1
	v_mbcnt_lo_u32_b32 v1, -1, 0
	s_waitcnt lgkmcnt(0)
	v_add_co_u32_e32 v23, vcc, v16, v14
	v_addc_co_u32_e32 v24, vcc, v17, v15, vcc
	s_nop 0
	v_mov_b32_dpp v16, v23 row_shr:1 row_mask:0xf bank_mask:0xf
	v_add_co_u32_e32 v16, vcc, v23, v16
	v_addc_co_u32_e32 v26, vcc, 0, v24, vcc
	v_mbcnt_hi_u32_b32 v17, -1, v1
	v_mov_b32_dpp v25, v24 row_shr:1 row_mask:0xf bank_mask:0xf
	v_add_co_u32_e32 v27, vcc, 0, v16
	v_and_b32_e32 v1, 15, v17
	v_addc_co_u32_e32 v25, vcc, v25, v26, vcc
	v_cmp_eq_u32_e32 vcc, 0, v1
	v_cndmask_b32_e32 v16, v16, v23, vcc
	v_cndmask_b32_e32 v25, v25, v24, vcc
	v_cndmask_b32_e32 v26, v27, v23, vcc
	v_mov_b32_dpp v27, v16 row_shr:2 row_mask:0xf bank_mask:0xf
	v_mov_b32_dpp v28, v25 row_shr:2 row_mask:0xf bank_mask:0xf
	v_add_co_u32_e32 v27, vcc, v27, v26
	v_addc_co_u32_e32 v28, vcc, v28, v25, vcc
	v_cmp_lt_u32_e32 vcc, 1, v1
	v_cndmask_b32_e32 v16, v16, v27, vcc
	v_cndmask_b32_e32 v25, v25, v28, vcc
	v_cndmask_b32_e32 v26, v26, v27, vcc
	v_mov_b32_dpp v27, v16 row_shr:4 row_mask:0xf bank_mask:0xf
	v_mov_b32_dpp v28, v25 row_shr:4 row_mask:0xf bank_mask:0xf
	v_add_co_u32_e32 v27, vcc, v27, v26
	v_addc_co_u32_e32 v28, vcc, v28, v25, vcc
	v_cmp_lt_u32_e32 vcc, 3, v1
	;; [unrolled: 8-line block ×3, first 2 shown]
	v_cndmask_b32_e32 v29, v16, v27, vcc
	v_cndmask_b32_e32 v1, v25, v28, vcc
	;; [unrolled: 1-line block ×3, first 2 shown]
	v_mov_b32_dpp v25, v29 row_bcast:15 row_mask:0xf bank_mask:0xf
	v_mov_b32_dpp v26, v1 row_bcast:15 row_mask:0xf bank_mask:0xf
	v_add_co_u32_e32 v25, vcc, v25, v16
	v_and_b32_e32 v28, 16, v17
	v_addc_co_u32_e32 v27, vcc, v26, v1, vcc
	v_cmp_eq_u32_e32 vcc, 0, v28
	v_cndmask_b32_e32 v28, v27, v1, vcc
	v_cndmask_b32_e32 v26, v25, v29, vcc
	v_cmp_ne_u32_e64 s[0:1], 0, v17
	v_mov_b32_dpp v28, v28 row_bcast:31 row_mask:0xf bank_mask:0xf
	v_mov_b32_dpp v26, v26 row_bcast:31 row_mask:0xf bank_mask:0xf
	s_and_saveexec_b64 s[8:9], s[0:1]
; %bb.54:
	v_cndmask_b32_e32 v1, v27, v1, vcc
	v_cndmask_b32_e32 v16, v25, v16, vcc
	v_cmp_lt_u32_e32 vcc, 31, v17
	v_cndmask_b32_e32 v23, 0, v26, vcc
	v_cndmask_b32_e32 v24, 0, v28, vcc
	v_add_co_u32_e32 v23, vcc, v23, v16
	v_addc_co_u32_e32 v24, vcc, v24, v1, vcc
; %bb.55:
	s_or_b64 exec, exec, s[8:9]
	v_add_u32_e32 v1, -1, v17
	v_and_b32_e32 v16, 64, v17
	v_cmp_lt_i32_e32 vcc, v1, v16
	v_cndmask_b32_e32 v1, v1, v17, vcc
	v_lshlrev_b32_e32 v1, 2, v1
	ds_bpermute_b32 v16, v1, v23
	ds_bpermute_b32 v1, v1, v24
	; wave barrier
	s_waitcnt lgkmcnt(1)
	v_add_co_u32_e32 v14, vcc, v14, v16
	v_addc_co_u32_e32 v15, vcc, 0, v15, vcc
	v_add_co_u32_e32 v14, vcc, 0, v14
	s_waitcnt lgkmcnt(0)
	v_addc_co_u32_e32 v1, vcc, v15, v1, vcc
	v_cmp_eq_u32_e32 vcc, 0, v0
	v_cndmask_b32_e32 v15, v1, v19, vcc
	v_cndmask_b32_e32 v14, v14, v18, vcc
	ds_write_b64 v22, v[14:15]
	; wave barrier
	ds_read_b64 v[16:17], v22 offset:8
	s_waitcnt lgkmcnt(0)
	v_add_co_u32_e32 v14, vcc, v16, v14
	v_addc_co_u32_e32 v15, vcc, v17, v15, vcc
	ds_write_b64 v22, v[14:15] offset:8
.LBB4540_56:
	s_or_b64 exec, exec, s[4:5]
	v_cmp_eq_u32_e32 vcc, 0, v0
	v_cmp_ne_u32_e64 s[0:1], 0, v0
	v_pk_mov_b32 v[14:15], v[20:21], v[20:21] op_sel:[0,1]
	s_waitcnt lgkmcnt(0)
	s_barrier
	s_and_saveexec_b64 s[4:5], s[0:1]
	s_cbranch_execz .LBB4540_58
; %bb.57:
	v_add_u32_e32 v1, -1, v0
	v_lshrrev_b32_e32 v14, 5, v1
	v_add_lshl_u32 v1, v14, v1, 3
	ds_read_b64 v[14:15], v1
	s_waitcnt lgkmcnt(0)
	v_add_co_u32_e64 v14, s[0:1], v14, v20
	v_addc_co_u32_e64 v15, s[0:1], v15, v21, s[0:1]
.LBB4540_58:
	s_or_b64 exec, exec, s[4:5]
	v_add_co_u32_e64 v28, s[0:1], v14, v10
	v_addc_co_u32_e64 v29, s[0:1], v15, v11, s[0:1]
	v_add_co_u32_e64 v18, s[0:1], v28, v12
	v_addc_co_u32_e64 v19, s[0:1], v29, v13, s[0:1]
	;; [unrolled: 2-line block ×6, first 2 shown]
	s_and_saveexec_b64 s[0:1], vcc
	s_cbranch_execz .LBB4540_60
; %bb.59:
	v_mov_b32_e32 v5, 0
	ds_read_b64 v[2:3], v5 offset:1040
	s_add_u32 s4, s20, 0x400
	s_addc_u32 s5, s21, 0
	v_mov_b32_e32 v4, 2
	v_pk_mov_b32 v[6:7], s[4:5], s[4:5] op_sel:[0,1]
	s_waitcnt lgkmcnt(0)
	v_add_co_u32_e32 v2, vcc, v2, v20
	v_addc_co_u32_e32 v3, vcc, v3, v21, vcc
	;;#ASMSTART
	global_store_dwordx4 v[6:7], v[2:5] off	
s_waitcnt vmcnt(0)
	;;#ASMEND
.LBB4540_60:
	s_or_b64 exec, exec, s[0:1]
.LBB4540_61:
	s_waitcnt lgkmcnt(0)
	s_add_u32 s0, s12, s16
	s_addc_u32 s1, s13, s17
	s_add_u32 s4, s0, s18
	s_addc_u32 s5, s1, s19
	s_mov_b64 s[0:1], -1
	s_and_b64 vcc, exec, s[14:15]
	v_mul_u32_u24_e32 v1, 56, v0
	s_barrier
	s_cbranch_vccz .LBB4540_63
; %bb.62:
	v_mul_i32_i24_e32 v2, 0xffffffd0, v0
	v_mad_u32_u24 v16, v0, 56, v2
	ds_write2_b64 v1, v[14:15], v[28:29] offset1:1
	ds_write2_b64 v1, v[18:19], v[30:31] offset0:2 offset1:3
	ds_write2_b64 v1, v[22:23], v[32:33] offset0:4 offset1:5
	ds_write_b64 v1, v[34:35] offset:48
	s_waitcnt lgkmcnt(0)
	s_barrier
	ds_read2st64_b64 v[2:5], v16 offset1:2
	ds_read2st64_b64 v[6:9], v16 offset0:4 offset1:6
	ds_read2st64_b64 v[10:13], v16 offset0:8 offset1:10
	ds_read_b64 v[16:17], v16 offset:6144
	v_mov_b32_e32 v21, s5
	v_add_co_u32_e32 v20, vcc, s4, v36
	v_addc_co_u32_e32 v21, vcc, 0, v21, vcc
	s_waitcnt lgkmcnt(3)
	flat_store_dwordx2 v[20:21], v[2:3]
	flat_store_dwordx2 v[20:21], v[4:5] offset:1024
	s_waitcnt lgkmcnt(0)
	flat_store_dwordx2 v[20:21], v[6:7] offset:2048
	flat_store_dwordx2 v[20:21], v[8:9] offset:3072
	v_add_co_u32_e32 v2, vcc, 0x1000, v20
	v_addc_co_u32_e32 v3, vcc, 0, v21, vcc
	flat_store_dwordx2 v[2:3], v[10:11]
	flat_store_dwordx2 v[2:3], v[12:13] offset:1024
	flat_store_dwordx2 v[2:3], v[16:17] offset:2048
	s_mov_b64 s[0:1], 0
.LBB4540_63:
	s_andn2_b64 vcc, exec, s[0:1]
	s_cbranch_vccnz .LBB4540_102
; %bb.64:
	v_mul_i32_i24_e32 v2, 0xffffffd0, v0
	ds_write2_b64 v1, v[14:15], v[28:29] offset1:1
	ds_write2_b64 v1, v[18:19], v[30:31] offset0:2 offset1:3
	ds_write2_b64 v1, v[22:23], v[32:33] offset0:4 offset1:5
	ds_write_b64 v1, v[34:35] offset:48
	v_mad_u32_u24 v14, v0, 56, v2
	s_waitcnt lgkmcnt(0)
	s_barrier
	ds_read2st64_b64 v[2:5], v14 offset1:2
	ds_read2st64_b64 v[6:9], v14 offset0:4 offset1:6
	ds_read2st64_b64 v[10:13], v14 offset0:8 offset1:10
	ds_read_b64 v[14:15], v14 offset:6144
	v_mov_b32_e32 v17, s5
	v_add_co_u32_e32 v16, vcc, s4, v36
	v_addc_co_u32_e32 v17, vcc, 0, v17, vcc
	v_mov_b32_e32 v1, 0
	v_cmp_gt_u32_e32 vcc, s26, v0
	s_and_saveexec_b64 s[0:1], vcc
	s_cbranch_execz .LBB4540_66
; %bb.65:
	s_waitcnt lgkmcnt(0)
	flat_store_dwordx2 v[16:17], v[2:3]
.LBB4540_66:
	s_or_b64 exec, exec, s[0:1]
	v_or_b32_e32 v18, 0x80, v0
	v_cmp_gt_u32_e32 vcc, s26, v18
	s_and_saveexec_b64 s[0:1], vcc
	s_cbranch_execz .LBB4540_68
; %bb.67:
	s_waitcnt lgkmcnt(0)
	flat_store_dwordx2 v[16:17], v[4:5] offset:1024
.LBB4540_68:
	s_or_b64 exec, exec, s[0:1]
	v_or_b32_e32 v18, 0x100, v0
	v_cmp_gt_u32_e32 vcc, s26, v18
	s_and_saveexec_b64 s[0:1], vcc
	s_cbranch_execz .LBB4540_70
; %bb.69:
	s_waitcnt lgkmcnt(0)
	flat_store_dwordx2 v[16:17], v[6:7] offset:2048
.LBB4540_70:
	;; [unrolled: 9-line block ×3, first 2 shown]
	s_or_b64 exec, exec, s[0:1]
	v_or_b32_e32 v18, 0x200, v0
	v_cmp_gt_u32_e32 vcc, s26, v18
	s_and_saveexec_b64 s[0:1], vcc
	s_cbranch_execz .LBB4540_74
; %bb.73:
	v_add_co_u32_e32 v18, vcc, 0x1000, v16
	v_addc_co_u32_e32 v19, vcc, 0, v17, vcc
	s_waitcnt lgkmcnt(0)
	flat_store_dwordx2 v[18:19], v[10:11]
.LBB4540_74:
	s_or_b64 exec, exec, s[0:1]
	v_or_b32_e32 v18, 0x280, v0
	v_cmp_gt_u32_e32 vcc, s26, v18
	s_and_saveexec_b64 s[0:1], vcc
	s_cbranch_execz .LBB4540_76
; %bb.75:
	v_add_co_u32_e32 v18, vcc, 0x1000, v16
	v_addc_co_u32_e32 v19, vcc, 0, v17, vcc
	s_waitcnt lgkmcnt(0)
	flat_store_dwordx2 v[18:19], v[12:13] offset:1024
.LBB4540_76:
	s_or_b64 exec, exec, s[0:1]
	v_or_b32_e32 v18, 0x300, v0
	v_cmp_gt_u32_e32 vcc, s26, v18
	s_and_saveexec_b64 s[0:1], vcc
	s_cbranch_execz .LBB4540_78
; %bb.77:
	v_add_co_u32_e32 v16, vcc, 0x1000, v16
	v_addc_co_u32_e32 v17, vcc, 0, v17, vcc
	s_waitcnt lgkmcnt(0)
	flat_store_dwordx2 v[16:17], v[14:15] offset:2048
.LBB4540_78:
	s_or_b64 exec, exec, s[0:1]
	v_cmp_lt_u64_e64 s[0:1], s[6:7], 2
	s_and_b64 vcc, exec, s[0:1]
	s_cbranch_vccnz .LBB4540_102
; %bb.79:
	s_add_u32 s0, s26, -1
	s_addc_u32 s1, s27, -1
	s_add_u32 s4, 0, 0x92481000
	s_addc_u32 s5, 0, 0x64
	s_add_i32 s5, s5, 0x249248c0
	s_mul_hi_u32 s9, s4, -7
	s_sub_i32 s9, s9, s4
	s_mul_i32 s10, s5, -7
	s_mul_i32 s6, s4, -7
	s_add_i32 s9, s9, s10
	s_mul_hi_u32 s7, s5, s6
	s_mul_i32 s8, s5, s6
	s_mul_i32 s11, s4, s9
	s_mul_hi_u32 s6, s4, s6
	s_mul_hi_u32 s10, s4, s9
	s_add_u32 s6, s6, s11
	s_addc_u32 s10, 0, s10
	s_add_u32 s6, s6, s8
	s_mul_hi_u32 s11, s5, s9
	s_addc_u32 s6, s10, s7
	s_addc_u32 s7, s11, 0
	s_mul_i32 s8, s5, s9
	s_add_u32 s6, s6, s8
	v_mov_b32_e32 v16, s6
	s_addc_u32 s7, 0, s7
	v_add_co_u32_e32 v16, vcc, s4, v16
	s_cmp_lg_u64 vcc, 0
	s_addc_u32 s4, s5, s7
	v_readfirstlane_b32 s7, v16
	s_mul_i32 s6, s0, s4
	s_mul_hi_u32 s8, s0, s7
	s_mul_hi_u32 s5, s0, s4
	s_add_u32 s6, s8, s6
	s_addc_u32 s5, 0, s5
	s_mul_hi_u32 s9, s1, s7
	s_mul_i32 s7, s1, s7
	s_add_u32 s6, s6, s7
	s_mul_hi_u32 s8, s1, s4
	s_addc_u32 s5, s5, s9
	s_addc_u32 s6, s8, 0
	s_mul_i32 s4, s1, s4
	s_add_u32 s4, s5, s4
	s_addc_u32 s5, 0, s6
	s_add_u32 s6, s4, 1
	s_addc_u32 s7, s5, 0
	s_add_u32 s8, s4, 2
	s_mul_i32 s10, s5, 7
	s_mul_hi_u32 s11, s4, 7
	s_addc_u32 s9, s5, 0
	s_add_i32 s11, s11, s10
	s_mul_i32 s10, s4, 7
	v_mov_b32_e32 v16, s10
	v_sub_co_u32_e32 v16, vcc, s0, v16
	s_cmp_lg_u64 vcc, 0
	s_subb_u32 s10, s1, s11
	v_subrev_co_u32_e32 v17, vcc, 7, v16
	s_cmp_lg_u64 vcc, 0
	s_subb_u32 s11, s10, 0
	v_readfirstlane_b32 s12, v17
	s_cmp_gt_u32 s12, 6
	s_cselect_b32 s12, -1, 0
	s_cmp_eq_u32 s11, 0
	s_cselect_b32 s11, s12, -1
	s_cmp_lg_u32 s11, 0
	s_cselect_b32 s6, s8, s6
	v_readfirstlane_b32 s8, v16
	s_cselect_b32 s7, s9, s7
	s_cmp_gt_u32 s8, 6
	s_cselect_b32 s8, -1, 0
	s_cmp_eq_u32 s10, 0
	s_cselect_b32 s8, s8, -1
	s_cmp_lg_u32 s8, 0
	s_cselect_b32 s5, s7, s5
	s_cselect_b32 s4, s6, s4
	v_cmp_eq_u64_e32 vcc, s[4:5], v[0:1]
	s_and_saveexec_b64 s[4:5], vcc
	s_cbranch_execz .LBB4540_102
; %bb.80:
	v_mul_hi_u32_u24_e32 v1, 7, v0
	v_mov_b32_e32 v16, s1
	v_sub_co_u32_e32 v0, vcc, s0, v37
	v_subb_co_u32_e32 v1, vcc, v16, v1, vcc
	v_cmp_lt_i64_e32 vcc, 3, v[0:1]
	s_and_saveexec_b64 s[0:1], vcc
	s_xor_b64 s[0:1], exec, s[0:1]
	s_cbranch_execz .LBB4540_90
; %bb.81:
	v_cmp_lt_i64_e32 vcc, 4, v[0:1]
	s_and_saveexec_b64 s[4:5], vcc
	s_xor_b64 s[4:5], exec, s[4:5]
	s_cbranch_execz .LBB4540_87
; %bb.82:
	v_cmp_lt_i64_e32 vcc, 5, v[0:1]
	s_and_saveexec_b64 s[6:7], vcc
	s_xor_b64 s[6:7], exec, s[6:7]
	s_cbranch_execz .LBB4540_84
; %bb.83:
	v_mov_b32_e32 v0, 0
	s_waitcnt lgkmcnt(0)
	global_store_dwordx2 v0, v[14:15], s[2:3]
                                        ; implicit-def: $vgpr10_vgpr11_vgpr12_vgpr13
.LBB4540_84:
	s_andn2_saveexec_b64 s[6:7], s[6:7]
	s_cbranch_execz .LBB4540_86
; %bb.85:
	v_mov_b32_e32 v0, 0
	s_waitcnt lgkmcnt(0)
	global_store_dwordx2 v0, v[12:13], s[2:3]
.LBB4540_86:
	s_or_b64 exec, exec, s[6:7]
                                        ; implicit-def: $vgpr10_vgpr11_vgpr12_vgpr13
.LBB4540_87:
	s_andn2_saveexec_b64 s[4:5], s[4:5]
	s_cbranch_execz .LBB4540_89
; %bb.88:
	v_mov_b32_e32 v0, 0
	s_waitcnt lgkmcnt(0)
	global_store_dwordx2 v0, v[10:11], s[2:3]
.LBB4540_89:
	s_or_b64 exec, exec, s[4:5]
                                        ; implicit-def: $vgpr0_vgpr1
                                        ; implicit-def: $vgpr2_vgpr3_vgpr4_vgpr5
                                        ; implicit-def: $vgpr6_vgpr7_vgpr8_vgpr9
.LBB4540_90:
	s_andn2_saveexec_b64 s[0:1], s[0:1]
	s_cbranch_execz .LBB4540_102
; %bb.91:
	v_cmp_lt_i64_e32 vcc, 1, v[0:1]
	s_and_saveexec_b64 s[0:1], vcc
	s_xor_b64 s[0:1], exec, s[0:1]
	s_cbranch_execz .LBB4540_97
; %bb.92:
	v_cmp_lt_i64_e32 vcc, 2, v[0:1]
	s_and_saveexec_b64 s[4:5], vcc
	s_xor_b64 s[4:5], exec, s[4:5]
	s_cbranch_execz .LBB4540_94
; %bb.93:
	v_mov_b32_e32 v0, 0
	s_waitcnt lgkmcnt(0)
	global_store_dwordx2 v0, v[8:9], s[2:3]
                                        ; implicit-def: $vgpr6_vgpr7_vgpr8_vgpr9
.LBB4540_94:
	s_andn2_saveexec_b64 s[4:5], s[4:5]
	s_cbranch_execz .LBB4540_96
; %bb.95:
	v_mov_b32_e32 v0, 0
	s_waitcnt lgkmcnt(0)
	global_store_dwordx2 v0, v[6:7], s[2:3]
.LBB4540_96:
	s_or_b64 exec, exec, s[4:5]
                                        ; implicit-def: $vgpr2_vgpr3_vgpr4_vgpr5
                                        ; implicit-def: $vgpr0_vgpr1
.LBB4540_97:
	s_andn2_saveexec_b64 s[0:1], s[0:1]
	s_cbranch_execz .LBB4540_102
; %bb.98:
	v_cmp_ne_u64_e32 vcc, 1, v[0:1]
	s_and_saveexec_b64 s[0:1], vcc
	s_xor_b64 s[0:1], exec, s[0:1]
	s_cbranch_execz .LBB4540_100
; %bb.99:
	v_mov_b32_e32 v0, 0
	s_waitcnt lgkmcnt(0)
	global_store_dwordx2 v0, v[2:3], s[2:3]
                                        ; implicit-def: $vgpr2_vgpr3_vgpr4_vgpr5
.LBB4540_100:
	s_andn2_saveexec_b64 s[0:1], s[0:1]
	s_cbranch_execz .LBB4540_102
; %bb.101:
	v_mov_b32_e32 v0, 0
	s_waitcnt lgkmcnt(0)
	global_store_dwordx2 v0, v[4:5], s[2:3]
.LBB4540_102:
	s_endpgm
	.section	.rodata,"a",@progbits
	.p2align	6, 0x0
	.amdhsa_kernel _ZN7rocprim17ROCPRIM_400000_NS6detail17trampoline_kernelINS0_14default_configENS1_20scan_config_selectorIyEEZZNS1_9scan_implILNS1_25lookback_scan_determinismE0ELb1ELb1ES3_N6thrust23THRUST_200600_302600_NS6detail15normal_iteratorINS9_10device_ptrIyEEEESE_yNS9_4plusIvEEyEEDaPvRmT3_T4_T5_mT6_P12ihipStream_tbENKUlT_T0_E_clISt17integral_constantIbLb1EEST_IbLb0EEEEDaSP_SQ_EUlSP_E_NS1_11comp_targetILNS1_3genE4ELNS1_11target_archE910ELNS1_3gpuE8ELNS1_3repE0EEENS1_30default_config_static_selectorELNS0_4arch9wavefront6targetE1EEEvT1_
		.amdhsa_group_segment_fixed_size 7168
		.amdhsa_private_segment_fixed_size 0
		.amdhsa_kernarg_size 104
		.amdhsa_user_sgpr_count 6
		.amdhsa_user_sgpr_private_segment_buffer 1
		.amdhsa_user_sgpr_dispatch_ptr 0
		.amdhsa_user_sgpr_queue_ptr 0
		.amdhsa_user_sgpr_kernarg_segment_ptr 1
		.amdhsa_user_sgpr_dispatch_id 0
		.amdhsa_user_sgpr_flat_scratch_init 0
		.amdhsa_user_sgpr_kernarg_preload_length 0
		.amdhsa_user_sgpr_kernarg_preload_offset 0
		.amdhsa_user_sgpr_private_segment_size 0
		.amdhsa_uses_dynamic_stack 0
		.amdhsa_system_sgpr_private_segment_wavefront_offset 0
		.amdhsa_system_sgpr_workgroup_id_x 1
		.amdhsa_system_sgpr_workgroup_id_y 0
		.amdhsa_system_sgpr_workgroup_id_z 0
		.amdhsa_system_sgpr_workgroup_info 0
		.amdhsa_system_vgpr_workitem_id 0
		.amdhsa_next_free_vgpr 51
		.amdhsa_next_free_sgpr 32
		.amdhsa_accum_offset 52
		.amdhsa_reserve_vcc 1
		.amdhsa_reserve_flat_scratch 0
		.amdhsa_float_round_mode_32 0
		.amdhsa_float_round_mode_16_64 0
		.amdhsa_float_denorm_mode_32 3
		.amdhsa_float_denorm_mode_16_64 3
		.amdhsa_dx10_clamp 1
		.amdhsa_ieee_mode 1
		.amdhsa_fp16_overflow 0
		.amdhsa_tg_split 0
		.amdhsa_exception_fp_ieee_invalid_op 0
		.amdhsa_exception_fp_denorm_src 0
		.amdhsa_exception_fp_ieee_div_zero 0
		.amdhsa_exception_fp_ieee_overflow 0
		.amdhsa_exception_fp_ieee_underflow 0
		.amdhsa_exception_fp_ieee_inexact 0
		.amdhsa_exception_int_div_zero 0
	.end_amdhsa_kernel
	.section	.text._ZN7rocprim17ROCPRIM_400000_NS6detail17trampoline_kernelINS0_14default_configENS1_20scan_config_selectorIyEEZZNS1_9scan_implILNS1_25lookback_scan_determinismE0ELb1ELb1ES3_N6thrust23THRUST_200600_302600_NS6detail15normal_iteratorINS9_10device_ptrIyEEEESE_yNS9_4plusIvEEyEEDaPvRmT3_T4_T5_mT6_P12ihipStream_tbENKUlT_T0_E_clISt17integral_constantIbLb1EEST_IbLb0EEEEDaSP_SQ_EUlSP_E_NS1_11comp_targetILNS1_3genE4ELNS1_11target_archE910ELNS1_3gpuE8ELNS1_3repE0EEENS1_30default_config_static_selectorELNS0_4arch9wavefront6targetE1EEEvT1_,"axG",@progbits,_ZN7rocprim17ROCPRIM_400000_NS6detail17trampoline_kernelINS0_14default_configENS1_20scan_config_selectorIyEEZZNS1_9scan_implILNS1_25lookback_scan_determinismE0ELb1ELb1ES3_N6thrust23THRUST_200600_302600_NS6detail15normal_iteratorINS9_10device_ptrIyEEEESE_yNS9_4plusIvEEyEEDaPvRmT3_T4_T5_mT6_P12ihipStream_tbENKUlT_T0_E_clISt17integral_constantIbLb1EEST_IbLb0EEEEDaSP_SQ_EUlSP_E_NS1_11comp_targetILNS1_3genE4ELNS1_11target_archE910ELNS1_3gpuE8ELNS1_3repE0EEENS1_30default_config_static_selectorELNS0_4arch9wavefront6targetE1EEEvT1_,comdat
.Lfunc_end4540:
	.size	_ZN7rocprim17ROCPRIM_400000_NS6detail17trampoline_kernelINS0_14default_configENS1_20scan_config_selectorIyEEZZNS1_9scan_implILNS1_25lookback_scan_determinismE0ELb1ELb1ES3_N6thrust23THRUST_200600_302600_NS6detail15normal_iteratorINS9_10device_ptrIyEEEESE_yNS9_4plusIvEEyEEDaPvRmT3_T4_T5_mT6_P12ihipStream_tbENKUlT_T0_E_clISt17integral_constantIbLb1EEST_IbLb0EEEEDaSP_SQ_EUlSP_E_NS1_11comp_targetILNS1_3genE4ELNS1_11target_archE910ELNS1_3gpuE8ELNS1_3repE0EEENS1_30default_config_static_selectorELNS0_4arch9wavefront6targetE1EEEvT1_, .Lfunc_end4540-_ZN7rocprim17ROCPRIM_400000_NS6detail17trampoline_kernelINS0_14default_configENS1_20scan_config_selectorIyEEZZNS1_9scan_implILNS1_25lookback_scan_determinismE0ELb1ELb1ES3_N6thrust23THRUST_200600_302600_NS6detail15normal_iteratorINS9_10device_ptrIyEEEESE_yNS9_4plusIvEEyEEDaPvRmT3_T4_T5_mT6_P12ihipStream_tbENKUlT_T0_E_clISt17integral_constantIbLb1EEST_IbLb0EEEEDaSP_SQ_EUlSP_E_NS1_11comp_targetILNS1_3genE4ELNS1_11target_archE910ELNS1_3gpuE8ELNS1_3repE0EEENS1_30default_config_static_selectorELNS0_4arch9wavefront6targetE1EEEvT1_
                                        ; -- End function
	.section	.AMDGPU.csdata,"",@progbits
; Kernel info:
; codeLenInByte = 5740
; NumSgprs: 36
; NumVgprs: 51
; NumAgprs: 0
; TotalNumVgprs: 51
; ScratchSize: 0
; MemoryBound: 0
; FloatMode: 240
; IeeeMode: 1
; LDSByteSize: 7168 bytes/workgroup (compile time only)
; SGPRBlocks: 4
; VGPRBlocks: 6
; NumSGPRsForWavesPerEU: 36
; NumVGPRsForWavesPerEU: 51
; AccumOffset: 52
; Occupancy: 5
; WaveLimiterHint : 1
; COMPUTE_PGM_RSRC2:SCRATCH_EN: 0
; COMPUTE_PGM_RSRC2:USER_SGPR: 6
; COMPUTE_PGM_RSRC2:TRAP_HANDLER: 0
; COMPUTE_PGM_RSRC2:TGID_X_EN: 1
; COMPUTE_PGM_RSRC2:TGID_Y_EN: 0
; COMPUTE_PGM_RSRC2:TGID_Z_EN: 0
; COMPUTE_PGM_RSRC2:TIDIG_COMP_CNT: 0
; COMPUTE_PGM_RSRC3_GFX90A:ACCUM_OFFSET: 12
; COMPUTE_PGM_RSRC3_GFX90A:TG_SPLIT: 0
	.section	.text._ZN7rocprim17ROCPRIM_400000_NS6detail17trampoline_kernelINS0_14default_configENS1_20scan_config_selectorIyEEZZNS1_9scan_implILNS1_25lookback_scan_determinismE0ELb1ELb1ES3_N6thrust23THRUST_200600_302600_NS6detail15normal_iteratorINS9_10device_ptrIyEEEESE_yNS9_4plusIvEEyEEDaPvRmT3_T4_T5_mT6_P12ihipStream_tbENKUlT_T0_E_clISt17integral_constantIbLb1EEST_IbLb0EEEEDaSP_SQ_EUlSP_E_NS1_11comp_targetILNS1_3genE3ELNS1_11target_archE908ELNS1_3gpuE7ELNS1_3repE0EEENS1_30default_config_static_selectorELNS0_4arch9wavefront6targetE1EEEvT1_,"axG",@progbits,_ZN7rocprim17ROCPRIM_400000_NS6detail17trampoline_kernelINS0_14default_configENS1_20scan_config_selectorIyEEZZNS1_9scan_implILNS1_25lookback_scan_determinismE0ELb1ELb1ES3_N6thrust23THRUST_200600_302600_NS6detail15normal_iteratorINS9_10device_ptrIyEEEESE_yNS9_4plusIvEEyEEDaPvRmT3_T4_T5_mT6_P12ihipStream_tbENKUlT_T0_E_clISt17integral_constantIbLb1EEST_IbLb0EEEEDaSP_SQ_EUlSP_E_NS1_11comp_targetILNS1_3genE3ELNS1_11target_archE908ELNS1_3gpuE7ELNS1_3repE0EEENS1_30default_config_static_selectorELNS0_4arch9wavefront6targetE1EEEvT1_,comdat
	.protected	_ZN7rocprim17ROCPRIM_400000_NS6detail17trampoline_kernelINS0_14default_configENS1_20scan_config_selectorIyEEZZNS1_9scan_implILNS1_25lookback_scan_determinismE0ELb1ELb1ES3_N6thrust23THRUST_200600_302600_NS6detail15normal_iteratorINS9_10device_ptrIyEEEESE_yNS9_4plusIvEEyEEDaPvRmT3_T4_T5_mT6_P12ihipStream_tbENKUlT_T0_E_clISt17integral_constantIbLb1EEST_IbLb0EEEEDaSP_SQ_EUlSP_E_NS1_11comp_targetILNS1_3genE3ELNS1_11target_archE908ELNS1_3gpuE7ELNS1_3repE0EEENS1_30default_config_static_selectorELNS0_4arch9wavefront6targetE1EEEvT1_ ; -- Begin function _ZN7rocprim17ROCPRIM_400000_NS6detail17trampoline_kernelINS0_14default_configENS1_20scan_config_selectorIyEEZZNS1_9scan_implILNS1_25lookback_scan_determinismE0ELb1ELb1ES3_N6thrust23THRUST_200600_302600_NS6detail15normal_iteratorINS9_10device_ptrIyEEEESE_yNS9_4plusIvEEyEEDaPvRmT3_T4_T5_mT6_P12ihipStream_tbENKUlT_T0_E_clISt17integral_constantIbLb1EEST_IbLb0EEEEDaSP_SQ_EUlSP_E_NS1_11comp_targetILNS1_3genE3ELNS1_11target_archE908ELNS1_3gpuE7ELNS1_3repE0EEENS1_30default_config_static_selectorELNS0_4arch9wavefront6targetE1EEEvT1_
	.globl	_ZN7rocprim17ROCPRIM_400000_NS6detail17trampoline_kernelINS0_14default_configENS1_20scan_config_selectorIyEEZZNS1_9scan_implILNS1_25lookback_scan_determinismE0ELb1ELb1ES3_N6thrust23THRUST_200600_302600_NS6detail15normal_iteratorINS9_10device_ptrIyEEEESE_yNS9_4plusIvEEyEEDaPvRmT3_T4_T5_mT6_P12ihipStream_tbENKUlT_T0_E_clISt17integral_constantIbLb1EEST_IbLb0EEEEDaSP_SQ_EUlSP_E_NS1_11comp_targetILNS1_3genE3ELNS1_11target_archE908ELNS1_3gpuE7ELNS1_3repE0EEENS1_30default_config_static_selectorELNS0_4arch9wavefront6targetE1EEEvT1_
	.p2align	8
	.type	_ZN7rocprim17ROCPRIM_400000_NS6detail17trampoline_kernelINS0_14default_configENS1_20scan_config_selectorIyEEZZNS1_9scan_implILNS1_25lookback_scan_determinismE0ELb1ELb1ES3_N6thrust23THRUST_200600_302600_NS6detail15normal_iteratorINS9_10device_ptrIyEEEESE_yNS9_4plusIvEEyEEDaPvRmT3_T4_T5_mT6_P12ihipStream_tbENKUlT_T0_E_clISt17integral_constantIbLb1EEST_IbLb0EEEEDaSP_SQ_EUlSP_E_NS1_11comp_targetILNS1_3genE3ELNS1_11target_archE908ELNS1_3gpuE7ELNS1_3repE0EEENS1_30default_config_static_selectorELNS0_4arch9wavefront6targetE1EEEvT1_,@function
_ZN7rocprim17ROCPRIM_400000_NS6detail17trampoline_kernelINS0_14default_configENS1_20scan_config_selectorIyEEZZNS1_9scan_implILNS1_25lookback_scan_determinismE0ELb1ELb1ES3_N6thrust23THRUST_200600_302600_NS6detail15normal_iteratorINS9_10device_ptrIyEEEESE_yNS9_4plusIvEEyEEDaPvRmT3_T4_T5_mT6_P12ihipStream_tbENKUlT_T0_E_clISt17integral_constantIbLb1EEST_IbLb0EEEEDaSP_SQ_EUlSP_E_NS1_11comp_targetILNS1_3genE3ELNS1_11target_archE908ELNS1_3gpuE7ELNS1_3repE0EEENS1_30default_config_static_selectorELNS0_4arch9wavefront6targetE1EEEvT1_: ; @_ZN7rocprim17ROCPRIM_400000_NS6detail17trampoline_kernelINS0_14default_configENS1_20scan_config_selectorIyEEZZNS1_9scan_implILNS1_25lookback_scan_determinismE0ELb1ELb1ES3_N6thrust23THRUST_200600_302600_NS6detail15normal_iteratorINS9_10device_ptrIyEEEESE_yNS9_4plusIvEEyEEDaPvRmT3_T4_T5_mT6_P12ihipStream_tbENKUlT_T0_E_clISt17integral_constantIbLb1EEST_IbLb0EEEEDaSP_SQ_EUlSP_E_NS1_11comp_targetILNS1_3genE3ELNS1_11target_archE908ELNS1_3gpuE7ELNS1_3repE0EEENS1_30default_config_static_selectorELNS0_4arch9wavefront6targetE1EEEvT1_
; %bb.0:
	.section	.rodata,"a",@progbits
	.p2align	6, 0x0
	.amdhsa_kernel _ZN7rocprim17ROCPRIM_400000_NS6detail17trampoline_kernelINS0_14default_configENS1_20scan_config_selectorIyEEZZNS1_9scan_implILNS1_25lookback_scan_determinismE0ELb1ELb1ES3_N6thrust23THRUST_200600_302600_NS6detail15normal_iteratorINS9_10device_ptrIyEEEESE_yNS9_4plusIvEEyEEDaPvRmT3_T4_T5_mT6_P12ihipStream_tbENKUlT_T0_E_clISt17integral_constantIbLb1EEST_IbLb0EEEEDaSP_SQ_EUlSP_E_NS1_11comp_targetILNS1_3genE3ELNS1_11target_archE908ELNS1_3gpuE7ELNS1_3repE0EEENS1_30default_config_static_selectorELNS0_4arch9wavefront6targetE1EEEvT1_
		.amdhsa_group_segment_fixed_size 0
		.amdhsa_private_segment_fixed_size 0
		.amdhsa_kernarg_size 104
		.amdhsa_user_sgpr_count 6
		.amdhsa_user_sgpr_private_segment_buffer 1
		.amdhsa_user_sgpr_dispatch_ptr 0
		.amdhsa_user_sgpr_queue_ptr 0
		.amdhsa_user_sgpr_kernarg_segment_ptr 1
		.amdhsa_user_sgpr_dispatch_id 0
		.amdhsa_user_sgpr_flat_scratch_init 0
		.amdhsa_user_sgpr_kernarg_preload_length 0
		.amdhsa_user_sgpr_kernarg_preload_offset 0
		.amdhsa_user_sgpr_private_segment_size 0
		.amdhsa_uses_dynamic_stack 0
		.amdhsa_system_sgpr_private_segment_wavefront_offset 0
		.amdhsa_system_sgpr_workgroup_id_x 1
		.amdhsa_system_sgpr_workgroup_id_y 0
		.amdhsa_system_sgpr_workgroup_id_z 0
		.amdhsa_system_sgpr_workgroup_info 0
		.amdhsa_system_vgpr_workitem_id 0
		.amdhsa_next_free_vgpr 1
		.amdhsa_next_free_sgpr 0
		.amdhsa_accum_offset 4
		.amdhsa_reserve_vcc 0
		.amdhsa_reserve_flat_scratch 0
		.amdhsa_float_round_mode_32 0
		.amdhsa_float_round_mode_16_64 0
		.amdhsa_float_denorm_mode_32 3
		.amdhsa_float_denorm_mode_16_64 3
		.amdhsa_dx10_clamp 1
		.amdhsa_ieee_mode 1
		.amdhsa_fp16_overflow 0
		.amdhsa_tg_split 0
		.amdhsa_exception_fp_ieee_invalid_op 0
		.amdhsa_exception_fp_denorm_src 0
		.amdhsa_exception_fp_ieee_div_zero 0
		.amdhsa_exception_fp_ieee_overflow 0
		.amdhsa_exception_fp_ieee_underflow 0
		.amdhsa_exception_fp_ieee_inexact 0
		.amdhsa_exception_int_div_zero 0
	.end_amdhsa_kernel
	.section	.text._ZN7rocprim17ROCPRIM_400000_NS6detail17trampoline_kernelINS0_14default_configENS1_20scan_config_selectorIyEEZZNS1_9scan_implILNS1_25lookback_scan_determinismE0ELb1ELb1ES3_N6thrust23THRUST_200600_302600_NS6detail15normal_iteratorINS9_10device_ptrIyEEEESE_yNS9_4plusIvEEyEEDaPvRmT3_T4_T5_mT6_P12ihipStream_tbENKUlT_T0_E_clISt17integral_constantIbLb1EEST_IbLb0EEEEDaSP_SQ_EUlSP_E_NS1_11comp_targetILNS1_3genE3ELNS1_11target_archE908ELNS1_3gpuE7ELNS1_3repE0EEENS1_30default_config_static_selectorELNS0_4arch9wavefront6targetE1EEEvT1_,"axG",@progbits,_ZN7rocprim17ROCPRIM_400000_NS6detail17trampoline_kernelINS0_14default_configENS1_20scan_config_selectorIyEEZZNS1_9scan_implILNS1_25lookback_scan_determinismE0ELb1ELb1ES3_N6thrust23THRUST_200600_302600_NS6detail15normal_iteratorINS9_10device_ptrIyEEEESE_yNS9_4plusIvEEyEEDaPvRmT3_T4_T5_mT6_P12ihipStream_tbENKUlT_T0_E_clISt17integral_constantIbLb1EEST_IbLb0EEEEDaSP_SQ_EUlSP_E_NS1_11comp_targetILNS1_3genE3ELNS1_11target_archE908ELNS1_3gpuE7ELNS1_3repE0EEENS1_30default_config_static_selectorELNS0_4arch9wavefront6targetE1EEEvT1_,comdat
.Lfunc_end4541:
	.size	_ZN7rocprim17ROCPRIM_400000_NS6detail17trampoline_kernelINS0_14default_configENS1_20scan_config_selectorIyEEZZNS1_9scan_implILNS1_25lookback_scan_determinismE0ELb1ELb1ES3_N6thrust23THRUST_200600_302600_NS6detail15normal_iteratorINS9_10device_ptrIyEEEESE_yNS9_4plusIvEEyEEDaPvRmT3_T4_T5_mT6_P12ihipStream_tbENKUlT_T0_E_clISt17integral_constantIbLb1EEST_IbLb0EEEEDaSP_SQ_EUlSP_E_NS1_11comp_targetILNS1_3genE3ELNS1_11target_archE908ELNS1_3gpuE7ELNS1_3repE0EEENS1_30default_config_static_selectorELNS0_4arch9wavefront6targetE1EEEvT1_, .Lfunc_end4541-_ZN7rocprim17ROCPRIM_400000_NS6detail17trampoline_kernelINS0_14default_configENS1_20scan_config_selectorIyEEZZNS1_9scan_implILNS1_25lookback_scan_determinismE0ELb1ELb1ES3_N6thrust23THRUST_200600_302600_NS6detail15normal_iteratorINS9_10device_ptrIyEEEESE_yNS9_4plusIvEEyEEDaPvRmT3_T4_T5_mT6_P12ihipStream_tbENKUlT_T0_E_clISt17integral_constantIbLb1EEST_IbLb0EEEEDaSP_SQ_EUlSP_E_NS1_11comp_targetILNS1_3genE3ELNS1_11target_archE908ELNS1_3gpuE7ELNS1_3repE0EEENS1_30default_config_static_selectorELNS0_4arch9wavefront6targetE1EEEvT1_
                                        ; -- End function
	.section	.AMDGPU.csdata,"",@progbits
; Kernel info:
; codeLenInByte = 0
; NumSgprs: 4
; NumVgprs: 0
; NumAgprs: 0
; TotalNumVgprs: 0
; ScratchSize: 0
; MemoryBound: 0
; FloatMode: 240
; IeeeMode: 1
; LDSByteSize: 0 bytes/workgroup (compile time only)
; SGPRBlocks: 0
; VGPRBlocks: 0
; NumSGPRsForWavesPerEU: 4
; NumVGPRsForWavesPerEU: 1
; AccumOffset: 4
; Occupancy: 8
; WaveLimiterHint : 0
; COMPUTE_PGM_RSRC2:SCRATCH_EN: 0
; COMPUTE_PGM_RSRC2:USER_SGPR: 6
; COMPUTE_PGM_RSRC2:TRAP_HANDLER: 0
; COMPUTE_PGM_RSRC2:TGID_X_EN: 1
; COMPUTE_PGM_RSRC2:TGID_Y_EN: 0
; COMPUTE_PGM_RSRC2:TGID_Z_EN: 0
; COMPUTE_PGM_RSRC2:TIDIG_COMP_CNT: 0
; COMPUTE_PGM_RSRC3_GFX90A:ACCUM_OFFSET: 0
; COMPUTE_PGM_RSRC3_GFX90A:TG_SPLIT: 0
	.section	.text._ZN7rocprim17ROCPRIM_400000_NS6detail17trampoline_kernelINS0_14default_configENS1_20scan_config_selectorIyEEZZNS1_9scan_implILNS1_25lookback_scan_determinismE0ELb1ELb1ES3_N6thrust23THRUST_200600_302600_NS6detail15normal_iteratorINS9_10device_ptrIyEEEESE_yNS9_4plusIvEEyEEDaPvRmT3_T4_T5_mT6_P12ihipStream_tbENKUlT_T0_E_clISt17integral_constantIbLb1EEST_IbLb0EEEEDaSP_SQ_EUlSP_E_NS1_11comp_targetILNS1_3genE2ELNS1_11target_archE906ELNS1_3gpuE6ELNS1_3repE0EEENS1_30default_config_static_selectorELNS0_4arch9wavefront6targetE1EEEvT1_,"axG",@progbits,_ZN7rocprim17ROCPRIM_400000_NS6detail17trampoline_kernelINS0_14default_configENS1_20scan_config_selectorIyEEZZNS1_9scan_implILNS1_25lookback_scan_determinismE0ELb1ELb1ES3_N6thrust23THRUST_200600_302600_NS6detail15normal_iteratorINS9_10device_ptrIyEEEESE_yNS9_4plusIvEEyEEDaPvRmT3_T4_T5_mT6_P12ihipStream_tbENKUlT_T0_E_clISt17integral_constantIbLb1EEST_IbLb0EEEEDaSP_SQ_EUlSP_E_NS1_11comp_targetILNS1_3genE2ELNS1_11target_archE906ELNS1_3gpuE6ELNS1_3repE0EEENS1_30default_config_static_selectorELNS0_4arch9wavefront6targetE1EEEvT1_,comdat
	.protected	_ZN7rocprim17ROCPRIM_400000_NS6detail17trampoline_kernelINS0_14default_configENS1_20scan_config_selectorIyEEZZNS1_9scan_implILNS1_25lookback_scan_determinismE0ELb1ELb1ES3_N6thrust23THRUST_200600_302600_NS6detail15normal_iteratorINS9_10device_ptrIyEEEESE_yNS9_4plusIvEEyEEDaPvRmT3_T4_T5_mT6_P12ihipStream_tbENKUlT_T0_E_clISt17integral_constantIbLb1EEST_IbLb0EEEEDaSP_SQ_EUlSP_E_NS1_11comp_targetILNS1_3genE2ELNS1_11target_archE906ELNS1_3gpuE6ELNS1_3repE0EEENS1_30default_config_static_selectorELNS0_4arch9wavefront6targetE1EEEvT1_ ; -- Begin function _ZN7rocprim17ROCPRIM_400000_NS6detail17trampoline_kernelINS0_14default_configENS1_20scan_config_selectorIyEEZZNS1_9scan_implILNS1_25lookback_scan_determinismE0ELb1ELb1ES3_N6thrust23THRUST_200600_302600_NS6detail15normal_iteratorINS9_10device_ptrIyEEEESE_yNS9_4plusIvEEyEEDaPvRmT3_T4_T5_mT6_P12ihipStream_tbENKUlT_T0_E_clISt17integral_constantIbLb1EEST_IbLb0EEEEDaSP_SQ_EUlSP_E_NS1_11comp_targetILNS1_3genE2ELNS1_11target_archE906ELNS1_3gpuE6ELNS1_3repE0EEENS1_30default_config_static_selectorELNS0_4arch9wavefront6targetE1EEEvT1_
	.globl	_ZN7rocprim17ROCPRIM_400000_NS6detail17trampoline_kernelINS0_14default_configENS1_20scan_config_selectorIyEEZZNS1_9scan_implILNS1_25lookback_scan_determinismE0ELb1ELb1ES3_N6thrust23THRUST_200600_302600_NS6detail15normal_iteratorINS9_10device_ptrIyEEEESE_yNS9_4plusIvEEyEEDaPvRmT3_T4_T5_mT6_P12ihipStream_tbENKUlT_T0_E_clISt17integral_constantIbLb1EEST_IbLb0EEEEDaSP_SQ_EUlSP_E_NS1_11comp_targetILNS1_3genE2ELNS1_11target_archE906ELNS1_3gpuE6ELNS1_3repE0EEENS1_30default_config_static_selectorELNS0_4arch9wavefront6targetE1EEEvT1_
	.p2align	8
	.type	_ZN7rocprim17ROCPRIM_400000_NS6detail17trampoline_kernelINS0_14default_configENS1_20scan_config_selectorIyEEZZNS1_9scan_implILNS1_25lookback_scan_determinismE0ELb1ELb1ES3_N6thrust23THRUST_200600_302600_NS6detail15normal_iteratorINS9_10device_ptrIyEEEESE_yNS9_4plusIvEEyEEDaPvRmT3_T4_T5_mT6_P12ihipStream_tbENKUlT_T0_E_clISt17integral_constantIbLb1EEST_IbLb0EEEEDaSP_SQ_EUlSP_E_NS1_11comp_targetILNS1_3genE2ELNS1_11target_archE906ELNS1_3gpuE6ELNS1_3repE0EEENS1_30default_config_static_selectorELNS0_4arch9wavefront6targetE1EEEvT1_,@function
_ZN7rocprim17ROCPRIM_400000_NS6detail17trampoline_kernelINS0_14default_configENS1_20scan_config_selectorIyEEZZNS1_9scan_implILNS1_25lookback_scan_determinismE0ELb1ELb1ES3_N6thrust23THRUST_200600_302600_NS6detail15normal_iteratorINS9_10device_ptrIyEEEESE_yNS9_4plusIvEEyEEDaPvRmT3_T4_T5_mT6_P12ihipStream_tbENKUlT_T0_E_clISt17integral_constantIbLb1EEST_IbLb0EEEEDaSP_SQ_EUlSP_E_NS1_11comp_targetILNS1_3genE2ELNS1_11target_archE906ELNS1_3gpuE6ELNS1_3repE0EEENS1_30default_config_static_selectorELNS0_4arch9wavefront6targetE1EEEvT1_: ; @_ZN7rocprim17ROCPRIM_400000_NS6detail17trampoline_kernelINS0_14default_configENS1_20scan_config_selectorIyEEZZNS1_9scan_implILNS1_25lookback_scan_determinismE0ELb1ELb1ES3_N6thrust23THRUST_200600_302600_NS6detail15normal_iteratorINS9_10device_ptrIyEEEESE_yNS9_4plusIvEEyEEDaPvRmT3_T4_T5_mT6_P12ihipStream_tbENKUlT_T0_E_clISt17integral_constantIbLb1EEST_IbLb0EEEEDaSP_SQ_EUlSP_E_NS1_11comp_targetILNS1_3genE2ELNS1_11target_archE906ELNS1_3gpuE6ELNS1_3repE0EEENS1_30default_config_static_selectorELNS0_4arch9wavefront6targetE1EEEvT1_
; %bb.0:
	.section	.rodata,"a",@progbits
	.p2align	6, 0x0
	.amdhsa_kernel _ZN7rocprim17ROCPRIM_400000_NS6detail17trampoline_kernelINS0_14default_configENS1_20scan_config_selectorIyEEZZNS1_9scan_implILNS1_25lookback_scan_determinismE0ELb1ELb1ES3_N6thrust23THRUST_200600_302600_NS6detail15normal_iteratorINS9_10device_ptrIyEEEESE_yNS9_4plusIvEEyEEDaPvRmT3_T4_T5_mT6_P12ihipStream_tbENKUlT_T0_E_clISt17integral_constantIbLb1EEST_IbLb0EEEEDaSP_SQ_EUlSP_E_NS1_11comp_targetILNS1_3genE2ELNS1_11target_archE906ELNS1_3gpuE6ELNS1_3repE0EEENS1_30default_config_static_selectorELNS0_4arch9wavefront6targetE1EEEvT1_
		.amdhsa_group_segment_fixed_size 0
		.amdhsa_private_segment_fixed_size 0
		.amdhsa_kernarg_size 104
		.amdhsa_user_sgpr_count 6
		.amdhsa_user_sgpr_private_segment_buffer 1
		.amdhsa_user_sgpr_dispatch_ptr 0
		.amdhsa_user_sgpr_queue_ptr 0
		.amdhsa_user_sgpr_kernarg_segment_ptr 1
		.amdhsa_user_sgpr_dispatch_id 0
		.amdhsa_user_sgpr_flat_scratch_init 0
		.amdhsa_user_sgpr_kernarg_preload_length 0
		.amdhsa_user_sgpr_kernarg_preload_offset 0
		.amdhsa_user_sgpr_private_segment_size 0
		.amdhsa_uses_dynamic_stack 0
		.amdhsa_system_sgpr_private_segment_wavefront_offset 0
		.amdhsa_system_sgpr_workgroup_id_x 1
		.amdhsa_system_sgpr_workgroup_id_y 0
		.amdhsa_system_sgpr_workgroup_id_z 0
		.amdhsa_system_sgpr_workgroup_info 0
		.amdhsa_system_vgpr_workitem_id 0
		.amdhsa_next_free_vgpr 1
		.amdhsa_next_free_sgpr 0
		.amdhsa_accum_offset 4
		.amdhsa_reserve_vcc 0
		.amdhsa_reserve_flat_scratch 0
		.amdhsa_float_round_mode_32 0
		.amdhsa_float_round_mode_16_64 0
		.amdhsa_float_denorm_mode_32 3
		.amdhsa_float_denorm_mode_16_64 3
		.amdhsa_dx10_clamp 1
		.amdhsa_ieee_mode 1
		.amdhsa_fp16_overflow 0
		.amdhsa_tg_split 0
		.amdhsa_exception_fp_ieee_invalid_op 0
		.amdhsa_exception_fp_denorm_src 0
		.amdhsa_exception_fp_ieee_div_zero 0
		.amdhsa_exception_fp_ieee_overflow 0
		.amdhsa_exception_fp_ieee_underflow 0
		.amdhsa_exception_fp_ieee_inexact 0
		.amdhsa_exception_int_div_zero 0
	.end_amdhsa_kernel
	.section	.text._ZN7rocprim17ROCPRIM_400000_NS6detail17trampoline_kernelINS0_14default_configENS1_20scan_config_selectorIyEEZZNS1_9scan_implILNS1_25lookback_scan_determinismE0ELb1ELb1ES3_N6thrust23THRUST_200600_302600_NS6detail15normal_iteratorINS9_10device_ptrIyEEEESE_yNS9_4plusIvEEyEEDaPvRmT3_T4_T5_mT6_P12ihipStream_tbENKUlT_T0_E_clISt17integral_constantIbLb1EEST_IbLb0EEEEDaSP_SQ_EUlSP_E_NS1_11comp_targetILNS1_3genE2ELNS1_11target_archE906ELNS1_3gpuE6ELNS1_3repE0EEENS1_30default_config_static_selectorELNS0_4arch9wavefront6targetE1EEEvT1_,"axG",@progbits,_ZN7rocprim17ROCPRIM_400000_NS6detail17trampoline_kernelINS0_14default_configENS1_20scan_config_selectorIyEEZZNS1_9scan_implILNS1_25lookback_scan_determinismE0ELb1ELb1ES3_N6thrust23THRUST_200600_302600_NS6detail15normal_iteratorINS9_10device_ptrIyEEEESE_yNS9_4plusIvEEyEEDaPvRmT3_T4_T5_mT6_P12ihipStream_tbENKUlT_T0_E_clISt17integral_constantIbLb1EEST_IbLb0EEEEDaSP_SQ_EUlSP_E_NS1_11comp_targetILNS1_3genE2ELNS1_11target_archE906ELNS1_3gpuE6ELNS1_3repE0EEENS1_30default_config_static_selectorELNS0_4arch9wavefront6targetE1EEEvT1_,comdat
.Lfunc_end4542:
	.size	_ZN7rocprim17ROCPRIM_400000_NS6detail17trampoline_kernelINS0_14default_configENS1_20scan_config_selectorIyEEZZNS1_9scan_implILNS1_25lookback_scan_determinismE0ELb1ELb1ES3_N6thrust23THRUST_200600_302600_NS6detail15normal_iteratorINS9_10device_ptrIyEEEESE_yNS9_4plusIvEEyEEDaPvRmT3_T4_T5_mT6_P12ihipStream_tbENKUlT_T0_E_clISt17integral_constantIbLb1EEST_IbLb0EEEEDaSP_SQ_EUlSP_E_NS1_11comp_targetILNS1_3genE2ELNS1_11target_archE906ELNS1_3gpuE6ELNS1_3repE0EEENS1_30default_config_static_selectorELNS0_4arch9wavefront6targetE1EEEvT1_, .Lfunc_end4542-_ZN7rocprim17ROCPRIM_400000_NS6detail17trampoline_kernelINS0_14default_configENS1_20scan_config_selectorIyEEZZNS1_9scan_implILNS1_25lookback_scan_determinismE0ELb1ELb1ES3_N6thrust23THRUST_200600_302600_NS6detail15normal_iteratorINS9_10device_ptrIyEEEESE_yNS9_4plusIvEEyEEDaPvRmT3_T4_T5_mT6_P12ihipStream_tbENKUlT_T0_E_clISt17integral_constantIbLb1EEST_IbLb0EEEEDaSP_SQ_EUlSP_E_NS1_11comp_targetILNS1_3genE2ELNS1_11target_archE906ELNS1_3gpuE6ELNS1_3repE0EEENS1_30default_config_static_selectorELNS0_4arch9wavefront6targetE1EEEvT1_
                                        ; -- End function
	.section	.AMDGPU.csdata,"",@progbits
; Kernel info:
; codeLenInByte = 0
; NumSgprs: 4
; NumVgprs: 0
; NumAgprs: 0
; TotalNumVgprs: 0
; ScratchSize: 0
; MemoryBound: 0
; FloatMode: 240
; IeeeMode: 1
; LDSByteSize: 0 bytes/workgroup (compile time only)
; SGPRBlocks: 0
; VGPRBlocks: 0
; NumSGPRsForWavesPerEU: 4
; NumVGPRsForWavesPerEU: 1
; AccumOffset: 4
; Occupancy: 8
; WaveLimiterHint : 0
; COMPUTE_PGM_RSRC2:SCRATCH_EN: 0
; COMPUTE_PGM_RSRC2:USER_SGPR: 6
; COMPUTE_PGM_RSRC2:TRAP_HANDLER: 0
; COMPUTE_PGM_RSRC2:TGID_X_EN: 1
; COMPUTE_PGM_RSRC2:TGID_Y_EN: 0
; COMPUTE_PGM_RSRC2:TGID_Z_EN: 0
; COMPUTE_PGM_RSRC2:TIDIG_COMP_CNT: 0
; COMPUTE_PGM_RSRC3_GFX90A:ACCUM_OFFSET: 0
; COMPUTE_PGM_RSRC3_GFX90A:TG_SPLIT: 0
	.section	.text._ZN7rocprim17ROCPRIM_400000_NS6detail17trampoline_kernelINS0_14default_configENS1_20scan_config_selectorIyEEZZNS1_9scan_implILNS1_25lookback_scan_determinismE0ELb1ELb1ES3_N6thrust23THRUST_200600_302600_NS6detail15normal_iteratorINS9_10device_ptrIyEEEESE_yNS9_4plusIvEEyEEDaPvRmT3_T4_T5_mT6_P12ihipStream_tbENKUlT_T0_E_clISt17integral_constantIbLb1EEST_IbLb0EEEEDaSP_SQ_EUlSP_E_NS1_11comp_targetILNS1_3genE10ELNS1_11target_archE1201ELNS1_3gpuE5ELNS1_3repE0EEENS1_30default_config_static_selectorELNS0_4arch9wavefront6targetE1EEEvT1_,"axG",@progbits,_ZN7rocprim17ROCPRIM_400000_NS6detail17trampoline_kernelINS0_14default_configENS1_20scan_config_selectorIyEEZZNS1_9scan_implILNS1_25lookback_scan_determinismE0ELb1ELb1ES3_N6thrust23THRUST_200600_302600_NS6detail15normal_iteratorINS9_10device_ptrIyEEEESE_yNS9_4plusIvEEyEEDaPvRmT3_T4_T5_mT6_P12ihipStream_tbENKUlT_T0_E_clISt17integral_constantIbLb1EEST_IbLb0EEEEDaSP_SQ_EUlSP_E_NS1_11comp_targetILNS1_3genE10ELNS1_11target_archE1201ELNS1_3gpuE5ELNS1_3repE0EEENS1_30default_config_static_selectorELNS0_4arch9wavefront6targetE1EEEvT1_,comdat
	.protected	_ZN7rocprim17ROCPRIM_400000_NS6detail17trampoline_kernelINS0_14default_configENS1_20scan_config_selectorIyEEZZNS1_9scan_implILNS1_25lookback_scan_determinismE0ELb1ELb1ES3_N6thrust23THRUST_200600_302600_NS6detail15normal_iteratorINS9_10device_ptrIyEEEESE_yNS9_4plusIvEEyEEDaPvRmT3_T4_T5_mT6_P12ihipStream_tbENKUlT_T0_E_clISt17integral_constantIbLb1EEST_IbLb0EEEEDaSP_SQ_EUlSP_E_NS1_11comp_targetILNS1_3genE10ELNS1_11target_archE1201ELNS1_3gpuE5ELNS1_3repE0EEENS1_30default_config_static_selectorELNS0_4arch9wavefront6targetE1EEEvT1_ ; -- Begin function _ZN7rocprim17ROCPRIM_400000_NS6detail17trampoline_kernelINS0_14default_configENS1_20scan_config_selectorIyEEZZNS1_9scan_implILNS1_25lookback_scan_determinismE0ELb1ELb1ES3_N6thrust23THRUST_200600_302600_NS6detail15normal_iteratorINS9_10device_ptrIyEEEESE_yNS9_4plusIvEEyEEDaPvRmT3_T4_T5_mT6_P12ihipStream_tbENKUlT_T0_E_clISt17integral_constantIbLb1EEST_IbLb0EEEEDaSP_SQ_EUlSP_E_NS1_11comp_targetILNS1_3genE10ELNS1_11target_archE1201ELNS1_3gpuE5ELNS1_3repE0EEENS1_30default_config_static_selectorELNS0_4arch9wavefront6targetE1EEEvT1_
	.globl	_ZN7rocprim17ROCPRIM_400000_NS6detail17trampoline_kernelINS0_14default_configENS1_20scan_config_selectorIyEEZZNS1_9scan_implILNS1_25lookback_scan_determinismE0ELb1ELb1ES3_N6thrust23THRUST_200600_302600_NS6detail15normal_iteratorINS9_10device_ptrIyEEEESE_yNS9_4plusIvEEyEEDaPvRmT3_T4_T5_mT6_P12ihipStream_tbENKUlT_T0_E_clISt17integral_constantIbLb1EEST_IbLb0EEEEDaSP_SQ_EUlSP_E_NS1_11comp_targetILNS1_3genE10ELNS1_11target_archE1201ELNS1_3gpuE5ELNS1_3repE0EEENS1_30default_config_static_selectorELNS0_4arch9wavefront6targetE1EEEvT1_
	.p2align	8
	.type	_ZN7rocprim17ROCPRIM_400000_NS6detail17trampoline_kernelINS0_14default_configENS1_20scan_config_selectorIyEEZZNS1_9scan_implILNS1_25lookback_scan_determinismE0ELb1ELb1ES3_N6thrust23THRUST_200600_302600_NS6detail15normal_iteratorINS9_10device_ptrIyEEEESE_yNS9_4plusIvEEyEEDaPvRmT3_T4_T5_mT6_P12ihipStream_tbENKUlT_T0_E_clISt17integral_constantIbLb1EEST_IbLb0EEEEDaSP_SQ_EUlSP_E_NS1_11comp_targetILNS1_3genE10ELNS1_11target_archE1201ELNS1_3gpuE5ELNS1_3repE0EEENS1_30default_config_static_selectorELNS0_4arch9wavefront6targetE1EEEvT1_,@function
_ZN7rocprim17ROCPRIM_400000_NS6detail17trampoline_kernelINS0_14default_configENS1_20scan_config_selectorIyEEZZNS1_9scan_implILNS1_25lookback_scan_determinismE0ELb1ELb1ES3_N6thrust23THRUST_200600_302600_NS6detail15normal_iteratorINS9_10device_ptrIyEEEESE_yNS9_4plusIvEEyEEDaPvRmT3_T4_T5_mT6_P12ihipStream_tbENKUlT_T0_E_clISt17integral_constantIbLb1EEST_IbLb0EEEEDaSP_SQ_EUlSP_E_NS1_11comp_targetILNS1_3genE10ELNS1_11target_archE1201ELNS1_3gpuE5ELNS1_3repE0EEENS1_30default_config_static_selectorELNS0_4arch9wavefront6targetE1EEEvT1_: ; @_ZN7rocprim17ROCPRIM_400000_NS6detail17trampoline_kernelINS0_14default_configENS1_20scan_config_selectorIyEEZZNS1_9scan_implILNS1_25lookback_scan_determinismE0ELb1ELb1ES3_N6thrust23THRUST_200600_302600_NS6detail15normal_iteratorINS9_10device_ptrIyEEEESE_yNS9_4plusIvEEyEEDaPvRmT3_T4_T5_mT6_P12ihipStream_tbENKUlT_T0_E_clISt17integral_constantIbLb1EEST_IbLb0EEEEDaSP_SQ_EUlSP_E_NS1_11comp_targetILNS1_3genE10ELNS1_11target_archE1201ELNS1_3gpuE5ELNS1_3repE0EEENS1_30default_config_static_selectorELNS0_4arch9wavefront6targetE1EEEvT1_
; %bb.0:
	.section	.rodata,"a",@progbits
	.p2align	6, 0x0
	.amdhsa_kernel _ZN7rocprim17ROCPRIM_400000_NS6detail17trampoline_kernelINS0_14default_configENS1_20scan_config_selectorIyEEZZNS1_9scan_implILNS1_25lookback_scan_determinismE0ELb1ELb1ES3_N6thrust23THRUST_200600_302600_NS6detail15normal_iteratorINS9_10device_ptrIyEEEESE_yNS9_4plusIvEEyEEDaPvRmT3_T4_T5_mT6_P12ihipStream_tbENKUlT_T0_E_clISt17integral_constantIbLb1EEST_IbLb0EEEEDaSP_SQ_EUlSP_E_NS1_11comp_targetILNS1_3genE10ELNS1_11target_archE1201ELNS1_3gpuE5ELNS1_3repE0EEENS1_30default_config_static_selectorELNS0_4arch9wavefront6targetE1EEEvT1_
		.amdhsa_group_segment_fixed_size 0
		.amdhsa_private_segment_fixed_size 0
		.amdhsa_kernarg_size 104
		.amdhsa_user_sgpr_count 6
		.amdhsa_user_sgpr_private_segment_buffer 1
		.amdhsa_user_sgpr_dispatch_ptr 0
		.amdhsa_user_sgpr_queue_ptr 0
		.amdhsa_user_sgpr_kernarg_segment_ptr 1
		.amdhsa_user_sgpr_dispatch_id 0
		.amdhsa_user_sgpr_flat_scratch_init 0
		.amdhsa_user_sgpr_kernarg_preload_length 0
		.amdhsa_user_sgpr_kernarg_preload_offset 0
		.amdhsa_user_sgpr_private_segment_size 0
		.amdhsa_uses_dynamic_stack 0
		.amdhsa_system_sgpr_private_segment_wavefront_offset 0
		.amdhsa_system_sgpr_workgroup_id_x 1
		.amdhsa_system_sgpr_workgroup_id_y 0
		.amdhsa_system_sgpr_workgroup_id_z 0
		.amdhsa_system_sgpr_workgroup_info 0
		.amdhsa_system_vgpr_workitem_id 0
		.amdhsa_next_free_vgpr 1
		.amdhsa_next_free_sgpr 0
		.amdhsa_accum_offset 4
		.amdhsa_reserve_vcc 0
		.amdhsa_reserve_flat_scratch 0
		.amdhsa_float_round_mode_32 0
		.amdhsa_float_round_mode_16_64 0
		.amdhsa_float_denorm_mode_32 3
		.amdhsa_float_denorm_mode_16_64 3
		.amdhsa_dx10_clamp 1
		.amdhsa_ieee_mode 1
		.amdhsa_fp16_overflow 0
		.amdhsa_tg_split 0
		.amdhsa_exception_fp_ieee_invalid_op 0
		.amdhsa_exception_fp_denorm_src 0
		.amdhsa_exception_fp_ieee_div_zero 0
		.amdhsa_exception_fp_ieee_overflow 0
		.amdhsa_exception_fp_ieee_underflow 0
		.amdhsa_exception_fp_ieee_inexact 0
		.amdhsa_exception_int_div_zero 0
	.end_amdhsa_kernel
	.section	.text._ZN7rocprim17ROCPRIM_400000_NS6detail17trampoline_kernelINS0_14default_configENS1_20scan_config_selectorIyEEZZNS1_9scan_implILNS1_25lookback_scan_determinismE0ELb1ELb1ES3_N6thrust23THRUST_200600_302600_NS6detail15normal_iteratorINS9_10device_ptrIyEEEESE_yNS9_4plusIvEEyEEDaPvRmT3_T4_T5_mT6_P12ihipStream_tbENKUlT_T0_E_clISt17integral_constantIbLb1EEST_IbLb0EEEEDaSP_SQ_EUlSP_E_NS1_11comp_targetILNS1_3genE10ELNS1_11target_archE1201ELNS1_3gpuE5ELNS1_3repE0EEENS1_30default_config_static_selectorELNS0_4arch9wavefront6targetE1EEEvT1_,"axG",@progbits,_ZN7rocprim17ROCPRIM_400000_NS6detail17trampoline_kernelINS0_14default_configENS1_20scan_config_selectorIyEEZZNS1_9scan_implILNS1_25lookback_scan_determinismE0ELb1ELb1ES3_N6thrust23THRUST_200600_302600_NS6detail15normal_iteratorINS9_10device_ptrIyEEEESE_yNS9_4plusIvEEyEEDaPvRmT3_T4_T5_mT6_P12ihipStream_tbENKUlT_T0_E_clISt17integral_constantIbLb1EEST_IbLb0EEEEDaSP_SQ_EUlSP_E_NS1_11comp_targetILNS1_3genE10ELNS1_11target_archE1201ELNS1_3gpuE5ELNS1_3repE0EEENS1_30default_config_static_selectorELNS0_4arch9wavefront6targetE1EEEvT1_,comdat
.Lfunc_end4543:
	.size	_ZN7rocprim17ROCPRIM_400000_NS6detail17trampoline_kernelINS0_14default_configENS1_20scan_config_selectorIyEEZZNS1_9scan_implILNS1_25lookback_scan_determinismE0ELb1ELb1ES3_N6thrust23THRUST_200600_302600_NS6detail15normal_iteratorINS9_10device_ptrIyEEEESE_yNS9_4plusIvEEyEEDaPvRmT3_T4_T5_mT6_P12ihipStream_tbENKUlT_T0_E_clISt17integral_constantIbLb1EEST_IbLb0EEEEDaSP_SQ_EUlSP_E_NS1_11comp_targetILNS1_3genE10ELNS1_11target_archE1201ELNS1_3gpuE5ELNS1_3repE0EEENS1_30default_config_static_selectorELNS0_4arch9wavefront6targetE1EEEvT1_, .Lfunc_end4543-_ZN7rocprim17ROCPRIM_400000_NS6detail17trampoline_kernelINS0_14default_configENS1_20scan_config_selectorIyEEZZNS1_9scan_implILNS1_25lookback_scan_determinismE0ELb1ELb1ES3_N6thrust23THRUST_200600_302600_NS6detail15normal_iteratorINS9_10device_ptrIyEEEESE_yNS9_4plusIvEEyEEDaPvRmT3_T4_T5_mT6_P12ihipStream_tbENKUlT_T0_E_clISt17integral_constantIbLb1EEST_IbLb0EEEEDaSP_SQ_EUlSP_E_NS1_11comp_targetILNS1_3genE10ELNS1_11target_archE1201ELNS1_3gpuE5ELNS1_3repE0EEENS1_30default_config_static_selectorELNS0_4arch9wavefront6targetE1EEEvT1_
                                        ; -- End function
	.section	.AMDGPU.csdata,"",@progbits
; Kernel info:
; codeLenInByte = 0
; NumSgprs: 4
; NumVgprs: 0
; NumAgprs: 0
; TotalNumVgprs: 0
; ScratchSize: 0
; MemoryBound: 0
; FloatMode: 240
; IeeeMode: 1
; LDSByteSize: 0 bytes/workgroup (compile time only)
; SGPRBlocks: 0
; VGPRBlocks: 0
; NumSGPRsForWavesPerEU: 4
; NumVGPRsForWavesPerEU: 1
; AccumOffset: 4
; Occupancy: 8
; WaveLimiterHint : 0
; COMPUTE_PGM_RSRC2:SCRATCH_EN: 0
; COMPUTE_PGM_RSRC2:USER_SGPR: 6
; COMPUTE_PGM_RSRC2:TRAP_HANDLER: 0
; COMPUTE_PGM_RSRC2:TGID_X_EN: 1
; COMPUTE_PGM_RSRC2:TGID_Y_EN: 0
; COMPUTE_PGM_RSRC2:TGID_Z_EN: 0
; COMPUTE_PGM_RSRC2:TIDIG_COMP_CNT: 0
; COMPUTE_PGM_RSRC3_GFX90A:ACCUM_OFFSET: 0
; COMPUTE_PGM_RSRC3_GFX90A:TG_SPLIT: 0
	.section	.text._ZN7rocprim17ROCPRIM_400000_NS6detail17trampoline_kernelINS0_14default_configENS1_20scan_config_selectorIyEEZZNS1_9scan_implILNS1_25lookback_scan_determinismE0ELb1ELb1ES3_N6thrust23THRUST_200600_302600_NS6detail15normal_iteratorINS9_10device_ptrIyEEEESE_yNS9_4plusIvEEyEEDaPvRmT3_T4_T5_mT6_P12ihipStream_tbENKUlT_T0_E_clISt17integral_constantIbLb1EEST_IbLb0EEEEDaSP_SQ_EUlSP_E_NS1_11comp_targetILNS1_3genE10ELNS1_11target_archE1200ELNS1_3gpuE4ELNS1_3repE0EEENS1_30default_config_static_selectorELNS0_4arch9wavefront6targetE1EEEvT1_,"axG",@progbits,_ZN7rocprim17ROCPRIM_400000_NS6detail17trampoline_kernelINS0_14default_configENS1_20scan_config_selectorIyEEZZNS1_9scan_implILNS1_25lookback_scan_determinismE0ELb1ELb1ES3_N6thrust23THRUST_200600_302600_NS6detail15normal_iteratorINS9_10device_ptrIyEEEESE_yNS9_4plusIvEEyEEDaPvRmT3_T4_T5_mT6_P12ihipStream_tbENKUlT_T0_E_clISt17integral_constantIbLb1EEST_IbLb0EEEEDaSP_SQ_EUlSP_E_NS1_11comp_targetILNS1_3genE10ELNS1_11target_archE1200ELNS1_3gpuE4ELNS1_3repE0EEENS1_30default_config_static_selectorELNS0_4arch9wavefront6targetE1EEEvT1_,comdat
	.protected	_ZN7rocprim17ROCPRIM_400000_NS6detail17trampoline_kernelINS0_14default_configENS1_20scan_config_selectorIyEEZZNS1_9scan_implILNS1_25lookback_scan_determinismE0ELb1ELb1ES3_N6thrust23THRUST_200600_302600_NS6detail15normal_iteratorINS9_10device_ptrIyEEEESE_yNS9_4plusIvEEyEEDaPvRmT3_T4_T5_mT6_P12ihipStream_tbENKUlT_T0_E_clISt17integral_constantIbLb1EEST_IbLb0EEEEDaSP_SQ_EUlSP_E_NS1_11comp_targetILNS1_3genE10ELNS1_11target_archE1200ELNS1_3gpuE4ELNS1_3repE0EEENS1_30default_config_static_selectorELNS0_4arch9wavefront6targetE1EEEvT1_ ; -- Begin function _ZN7rocprim17ROCPRIM_400000_NS6detail17trampoline_kernelINS0_14default_configENS1_20scan_config_selectorIyEEZZNS1_9scan_implILNS1_25lookback_scan_determinismE0ELb1ELb1ES3_N6thrust23THRUST_200600_302600_NS6detail15normal_iteratorINS9_10device_ptrIyEEEESE_yNS9_4plusIvEEyEEDaPvRmT3_T4_T5_mT6_P12ihipStream_tbENKUlT_T0_E_clISt17integral_constantIbLb1EEST_IbLb0EEEEDaSP_SQ_EUlSP_E_NS1_11comp_targetILNS1_3genE10ELNS1_11target_archE1200ELNS1_3gpuE4ELNS1_3repE0EEENS1_30default_config_static_selectorELNS0_4arch9wavefront6targetE1EEEvT1_
	.globl	_ZN7rocprim17ROCPRIM_400000_NS6detail17trampoline_kernelINS0_14default_configENS1_20scan_config_selectorIyEEZZNS1_9scan_implILNS1_25lookback_scan_determinismE0ELb1ELb1ES3_N6thrust23THRUST_200600_302600_NS6detail15normal_iteratorINS9_10device_ptrIyEEEESE_yNS9_4plusIvEEyEEDaPvRmT3_T4_T5_mT6_P12ihipStream_tbENKUlT_T0_E_clISt17integral_constantIbLb1EEST_IbLb0EEEEDaSP_SQ_EUlSP_E_NS1_11comp_targetILNS1_3genE10ELNS1_11target_archE1200ELNS1_3gpuE4ELNS1_3repE0EEENS1_30default_config_static_selectorELNS0_4arch9wavefront6targetE1EEEvT1_
	.p2align	8
	.type	_ZN7rocprim17ROCPRIM_400000_NS6detail17trampoline_kernelINS0_14default_configENS1_20scan_config_selectorIyEEZZNS1_9scan_implILNS1_25lookback_scan_determinismE0ELb1ELb1ES3_N6thrust23THRUST_200600_302600_NS6detail15normal_iteratorINS9_10device_ptrIyEEEESE_yNS9_4plusIvEEyEEDaPvRmT3_T4_T5_mT6_P12ihipStream_tbENKUlT_T0_E_clISt17integral_constantIbLb1EEST_IbLb0EEEEDaSP_SQ_EUlSP_E_NS1_11comp_targetILNS1_3genE10ELNS1_11target_archE1200ELNS1_3gpuE4ELNS1_3repE0EEENS1_30default_config_static_selectorELNS0_4arch9wavefront6targetE1EEEvT1_,@function
_ZN7rocprim17ROCPRIM_400000_NS6detail17trampoline_kernelINS0_14default_configENS1_20scan_config_selectorIyEEZZNS1_9scan_implILNS1_25lookback_scan_determinismE0ELb1ELb1ES3_N6thrust23THRUST_200600_302600_NS6detail15normal_iteratorINS9_10device_ptrIyEEEESE_yNS9_4plusIvEEyEEDaPvRmT3_T4_T5_mT6_P12ihipStream_tbENKUlT_T0_E_clISt17integral_constantIbLb1EEST_IbLb0EEEEDaSP_SQ_EUlSP_E_NS1_11comp_targetILNS1_3genE10ELNS1_11target_archE1200ELNS1_3gpuE4ELNS1_3repE0EEENS1_30default_config_static_selectorELNS0_4arch9wavefront6targetE1EEEvT1_: ; @_ZN7rocprim17ROCPRIM_400000_NS6detail17trampoline_kernelINS0_14default_configENS1_20scan_config_selectorIyEEZZNS1_9scan_implILNS1_25lookback_scan_determinismE0ELb1ELb1ES3_N6thrust23THRUST_200600_302600_NS6detail15normal_iteratorINS9_10device_ptrIyEEEESE_yNS9_4plusIvEEyEEDaPvRmT3_T4_T5_mT6_P12ihipStream_tbENKUlT_T0_E_clISt17integral_constantIbLb1EEST_IbLb0EEEEDaSP_SQ_EUlSP_E_NS1_11comp_targetILNS1_3genE10ELNS1_11target_archE1200ELNS1_3gpuE4ELNS1_3repE0EEENS1_30default_config_static_selectorELNS0_4arch9wavefront6targetE1EEEvT1_
; %bb.0:
	.section	.rodata,"a",@progbits
	.p2align	6, 0x0
	.amdhsa_kernel _ZN7rocprim17ROCPRIM_400000_NS6detail17trampoline_kernelINS0_14default_configENS1_20scan_config_selectorIyEEZZNS1_9scan_implILNS1_25lookback_scan_determinismE0ELb1ELb1ES3_N6thrust23THRUST_200600_302600_NS6detail15normal_iteratorINS9_10device_ptrIyEEEESE_yNS9_4plusIvEEyEEDaPvRmT3_T4_T5_mT6_P12ihipStream_tbENKUlT_T0_E_clISt17integral_constantIbLb1EEST_IbLb0EEEEDaSP_SQ_EUlSP_E_NS1_11comp_targetILNS1_3genE10ELNS1_11target_archE1200ELNS1_3gpuE4ELNS1_3repE0EEENS1_30default_config_static_selectorELNS0_4arch9wavefront6targetE1EEEvT1_
		.amdhsa_group_segment_fixed_size 0
		.amdhsa_private_segment_fixed_size 0
		.amdhsa_kernarg_size 104
		.amdhsa_user_sgpr_count 6
		.amdhsa_user_sgpr_private_segment_buffer 1
		.amdhsa_user_sgpr_dispatch_ptr 0
		.amdhsa_user_sgpr_queue_ptr 0
		.amdhsa_user_sgpr_kernarg_segment_ptr 1
		.amdhsa_user_sgpr_dispatch_id 0
		.amdhsa_user_sgpr_flat_scratch_init 0
		.amdhsa_user_sgpr_kernarg_preload_length 0
		.amdhsa_user_sgpr_kernarg_preload_offset 0
		.amdhsa_user_sgpr_private_segment_size 0
		.amdhsa_uses_dynamic_stack 0
		.amdhsa_system_sgpr_private_segment_wavefront_offset 0
		.amdhsa_system_sgpr_workgroup_id_x 1
		.amdhsa_system_sgpr_workgroup_id_y 0
		.amdhsa_system_sgpr_workgroup_id_z 0
		.amdhsa_system_sgpr_workgroup_info 0
		.amdhsa_system_vgpr_workitem_id 0
		.amdhsa_next_free_vgpr 1
		.amdhsa_next_free_sgpr 0
		.amdhsa_accum_offset 4
		.amdhsa_reserve_vcc 0
		.amdhsa_reserve_flat_scratch 0
		.amdhsa_float_round_mode_32 0
		.amdhsa_float_round_mode_16_64 0
		.amdhsa_float_denorm_mode_32 3
		.amdhsa_float_denorm_mode_16_64 3
		.amdhsa_dx10_clamp 1
		.amdhsa_ieee_mode 1
		.amdhsa_fp16_overflow 0
		.amdhsa_tg_split 0
		.amdhsa_exception_fp_ieee_invalid_op 0
		.amdhsa_exception_fp_denorm_src 0
		.amdhsa_exception_fp_ieee_div_zero 0
		.amdhsa_exception_fp_ieee_overflow 0
		.amdhsa_exception_fp_ieee_underflow 0
		.amdhsa_exception_fp_ieee_inexact 0
		.amdhsa_exception_int_div_zero 0
	.end_amdhsa_kernel
	.section	.text._ZN7rocprim17ROCPRIM_400000_NS6detail17trampoline_kernelINS0_14default_configENS1_20scan_config_selectorIyEEZZNS1_9scan_implILNS1_25lookback_scan_determinismE0ELb1ELb1ES3_N6thrust23THRUST_200600_302600_NS6detail15normal_iteratorINS9_10device_ptrIyEEEESE_yNS9_4plusIvEEyEEDaPvRmT3_T4_T5_mT6_P12ihipStream_tbENKUlT_T0_E_clISt17integral_constantIbLb1EEST_IbLb0EEEEDaSP_SQ_EUlSP_E_NS1_11comp_targetILNS1_3genE10ELNS1_11target_archE1200ELNS1_3gpuE4ELNS1_3repE0EEENS1_30default_config_static_selectorELNS0_4arch9wavefront6targetE1EEEvT1_,"axG",@progbits,_ZN7rocprim17ROCPRIM_400000_NS6detail17trampoline_kernelINS0_14default_configENS1_20scan_config_selectorIyEEZZNS1_9scan_implILNS1_25lookback_scan_determinismE0ELb1ELb1ES3_N6thrust23THRUST_200600_302600_NS6detail15normal_iteratorINS9_10device_ptrIyEEEESE_yNS9_4plusIvEEyEEDaPvRmT3_T4_T5_mT6_P12ihipStream_tbENKUlT_T0_E_clISt17integral_constantIbLb1EEST_IbLb0EEEEDaSP_SQ_EUlSP_E_NS1_11comp_targetILNS1_3genE10ELNS1_11target_archE1200ELNS1_3gpuE4ELNS1_3repE0EEENS1_30default_config_static_selectorELNS0_4arch9wavefront6targetE1EEEvT1_,comdat
.Lfunc_end4544:
	.size	_ZN7rocprim17ROCPRIM_400000_NS6detail17trampoline_kernelINS0_14default_configENS1_20scan_config_selectorIyEEZZNS1_9scan_implILNS1_25lookback_scan_determinismE0ELb1ELb1ES3_N6thrust23THRUST_200600_302600_NS6detail15normal_iteratorINS9_10device_ptrIyEEEESE_yNS9_4plusIvEEyEEDaPvRmT3_T4_T5_mT6_P12ihipStream_tbENKUlT_T0_E_clISt17integral_constantIbLb1EEST_IbLb0EEEEDaSP_SQ_EUlSP_E_NS1_11comp_targetILNS1_3genE10ELNS1_11target_archE1200ELNS1_3gpuE4ELNS1_3repE0EEENS1_30default_config_static_selectorELNS0_4arch9wavefront6targetE1EEEvT1_, .Lfunc_end4544-_ZN7rocprim17ROCPRIM_400000_NS6detail17trampoline_kernelINS0_14default_configENS1_20scan_config_selectorIyEEZZNS1_9scan_implILNS1_25lookback_scan_determinismE0ELb1ELb1ES3_N6thrust23THRUST_200600_302600_NS6detail15normal_iteratorINS9_10device_ptrIyEEEESE_yNS9_4plusIvEEyEEDaPvRmT3_T4_T5_mT6_P12ihipStream_tbENKUlT_T0_E_clISt17integral_constantIbLb1EEST_IbLb0EEEEDaSP_SQ_EUlSP_E_NS1_11comp_targetILNS1_3genE10ELNS1_11target_archE1200ELNS1_3gpuE4ELNS1_3repE0EEENS1_30default_config_static_selectorELNS0_4arch9wavefront6targetE1EEEvT1_
                                        ; -- End function
	.section	.AMDGPU.csdata,"",@progbits
; Kernel info:
; codeLenInByte = 0
; NumSgprs: 4
; NumVgprs: 0
; NumAgprs: 0
; TotalNumVgprs: 0
; ScratchSize: 0
; MemoryBound: 0
; FloatMode: 240
; IeeeMode: 1
; LDSByteSize: 0 bytes/workgroup (compile time only)
; SGPRBlocks: 0
; VGPRBlocks: 0
; NumSGPRsForWavesPerEU: 4
; NumVGPRsForWavesPerEU: 1
; AccumOffset: 4
; Occupancy: 8
; WaveLimiterHint : 0
; COMPUTE_PGM_RSRC2:SCRATCH_EN: 0
; COMPUTE_PGM_RSRC2:USER_SGPR: 6
; COMPUTE_PGM_RSRC2:TRAP_HANDLER: 0
; COMPUTE_PGM_RSRC2:TGID_X_EN: 1
; COMPUTE_PGM_RSRC2:TGID_Y_EN: 0
; COMPUTE_PGM_RSRC2:TGID_Z_EN: 0
; COMPUTE_PGM_RSRC2:TIDIG_COMP_CNT: 0
; COMPUTE_PGM_RSRC3_GFX90A:ACCUM_OFFSET: 0
; COMPUTE_PGM_RSRC3_GFX90A:TG_SPLIT: 0
	.section	.text._ZN7rocprim17ROCPRIM_400000_NS6detail17trampoline_kernelINS0_14default_configENS1_20scan_config_selectorIyEEZZNS1_9scan_implILNS1_25lookback_scan_determinismE0ELb1ELb1ES3_N6thrust23THRUST_200600_302600_NS6detail15normal_iteratorINS9_10device_ptrIyEEEESE_yNS9_4plusIvEEyEEDaPvRmT3_T4_T5_mT6_P12ihipStream_tbENKUlT_T0_E_clISt17integral_constantIbLb1EEST_IbLb0EEEEDaSP_SQ_EUlSP_E_NS1_11comp_targetILNS1_3genE9ELNS1_11target_archE1100ELNS1_3gpuE3ELNS1_3repE0EEENS1_30default_config_static_selectorELNS0_4arch9wavefront6targetE1EEEvT1_,"axG",@progbits,_ZN7rocprim17ROCPRIM_400000_NS6detail17trampoline_kernelINS0_14default_configENS1_20scan_config_selectorIyEEZZNS1_9scan_implILNS1_25lookback_scan_determinismE0ELb1ELb1ES3_N6thrust23THRUST_200600_302600_NS6detail15normal_iteratorINS9_10device_ptrIyEEEESE_yNS9_4plusIvEEyEEDaPvRmT3_T4_T5_mT6_P12ihipStream_tbENKUlT_T0_E_clISt17integral_constantIbLb1EEST_IbLb0EEEEDaSP_SQ_EUlSP_E_NS1_11comp_targetILNS1_3genE9ELNS1_11target_archE1100ELNS1_3gpuE3ELNS1_3repE0EEENS1_30default_config_static_selectorELNS0_4arch9wavefront6targetE1EEEvT1_,comdat
	.protected	_ZN7rocprim17ROCPRIM_400000_NS6detail17trampoline_kernelINS0_14default_configENS1_20scan_config_selectorIyEEZZNS1_9scan_implILNS1_25lookback_scan_determinismE0ELb1ELb1ES3_N6thrust23THRUST_200600_302600_NS6detail15normal_iteratorINS9_10device_ptrIyEEEESE_yNS9_4plusIvEEyEEDaPvRmT3_T4_T5_mT6_P12ihipStream_tbENKUlT_T0_E_clISt17integral_constantIbLb1EEST_IbLb0EEEEDaSP_SQ_EUlSP_E_NS1_11comp_targetILNS1_3genE9ELNS1_11target_archE1100ELNS1_3gpuE3ELNS1_3repE0EEENS1_30default_config_static_selectorELNS0_4arch9wavefront6targetE1EEEvT1_ ; -- Begin function _ZN7rocprim17ROCPRIM_400000_NS6detail17trampoline_kernelINS0_14default_configENS1_20scan_config_selectorIyEEZZNS1_9scan_implILNS1_25lookback_scan_determinismE0ELb1ELb1ES3_N6thrust23THRUST_200600_302600_NS6detail15normal_iteratorINS9_10device_ptrIyEEEESE_yNS9_4plusIvEEyEEDaPvRmT3_T4_T5_mT6_P12ihipStream_tbENKUlT_T0_E_clISt17integral_constantIbLb1EEST_IbLb0EEEEDaSP_SQ_EUlSP_E_NS1_11comp_targetILNS1_3genE9ELNS1_11target_archE1100ELNS1_3gpuE3ELNS1_3repE0EEENS1_30default_config_static_selectorELNS0_4arch9wavefront6targetE1EEEvT1_
	.globl	_ZN7rocprim17ROCPRIM_400000_NS6detail17trampoline_kernelINS0_14default_configENS1_20scan_config_selectorIyEEZZNS1_9scan_implILNS1_25lookback_scan_determinismE0ELb1ELb1ES3_N6thrust23THRUST_200600_302600_NS6detail15normal_iteratorINS9_10device_ptrIyEEEESE_yNS9_4plusIvEEyEEDaPvRmT3_T4_T5_mT6_P12ihipStream_tbENKUlT_T0_E_clISt17integral_constantIbLb1EEST_IbLb0EEEEDaSP_SQ_EUlSP_E_NS1_11comp_targetILNS1_3genE9ELNS1_11target_archE1100ELNS1_3gpuE3ELNS1_3repE0EEENS1_30default_config_static_selectorELNS0_4arch9wavefront6targetE1EEEvT1_
	.p2align	8
	.type	_ZN7rocprim17ROCPRIM_400000_NS6detail17trampoline_kernelINS0_14default_configENS1_20scan_config_selectorIyEEZZNS1_9scan_implILNS1_25lookback_scan_determinismE0ELb1ELb1ES3_N6thrust23THRUST_200600_302600_NS6detail15normal_iteratorINS9_10device_ptrIyEEEESE_yNS9_4plusIvEEyEEDaPvRmT3_T4_T5_mT6_P12ihipStream_tbENKUlT_T0_E_clISt17integral_constantIbLb1EEST_IbLb0EEEEDaSP_SQ_EUlSP_E_NS1_11comp_targetILNS1_3genE9ELNS1_11target_archE1100ELNS1_3gpuE3ELNS1_3repE0EEENS1_30default_config_static_selectorELNS0_4arch9wavefront6targetE1EEEvT1_,@function
_ZN7rocprim17ROCPRIM_400000_NS6detail17trampoline_kernelINS0_14default_configENS1_20scan_config_selectorIyEEZZNS1_9scan_implILNS1_25lookback_scan_determinismE0ELb1ELb1ES3_N6thrust23THRUST_200600_302600_NS6detail15normal_iteratorINS9_10device_ptrIyEEEESE_yNS9_4plusIvEEyEEDaPvRmT3_T4_T5_mT6_P12ihipStream_tbENKUlT_T0_E_clISt17integral_constantIbLb1EEST_IbLb0EEEEDaSP_SQ_EUlSP_E_NS1_11comp_targetILNS1_3genE9ELNS1_11target_archE1100ELNS1_3gpuE3ELNS1_3repE0EEENS1_30default_config_static_selectorELNS0_4arch9wavefront6targetE1EEEvT1_: ; @_ZN7rocprim17ROCPRIM_400000_NS6detail17trampoline_kernelINS0_14default_configENS1_20scan_config_selectorIyEEZZNS1_9scan_implILNS1_25lookback_scan_determinismE0ELb1ELb1ES3_N6thrust23THRUST_200600_302600_NS6detail15normal_iteratorINS9_10device_ptrIyEEEESE_yNS9_4plusIvEEyEEDaPvRmT3_T4_T5_mT6_P12ihipStream_tbENKUlT_T0_E_clISt17integral_constantIbLb1EEST_IbLb0EEEEDaSP_SQ_EUlSP_E_NS1_11comp_targetILNS1_3genE9ELNS1_11target_archE1100ELNS1_3gpuE3ELNS1_3repE0EEENS1_30default_config_static_selectorELNS0_4arch9wavefront6targetE1EEEvT1_
; %bb.0:
	.section	.rodata,"a",@progbits
	.p2align	6, 0x0
	.amdhsa_kernel _ZN7rocprim17ROCPRIM_400000_NS6detail17trampoline_kernelINS0_14default_configENS1_20scan_config_selectorIyEEZZNS1_9scan_implILNS1_25lookback_scan_determinismE0ELb1ELb1ES3_N6thrust23THRUST_200600_302600_NS6detail15normal_iteratorINS9_10device_ptrIyEEEESE_yNS9_4plusIvEEyEEDaPvRmT3_T4_T5_mT6_P12ihipStream_tbENKUlT_T0_E_clISt17integral_constantIbLb1EEST_IbLb0EEEEDaSP_SQ_EUlSP_E_NS1_11comp_targetILNS1_3genE9ELNS1_11target_archE1100ELNS1_3gpuE3ELNS1_3repE0EEENS1_30default_config_static_selectorELNS0_4arch9wavefront6targetE1EEEvT1_
		.amdhsa_group_segment_fixed_size 0
		.amdhsa_private_segment_fixed_size 0
		.amdhsa_kernarg_size 104
		.amdhsa_user_sgpr_count 6
		.amdhsa_user_sgpr_private_segment_buffer 1
		.amdhsa_user_sgpr_dispatch_ptr 0
		.amdhsa_user_sgpr_queue_ptr 0
		.amdhsa_user_sgpr_kernarg_segment_ptr 1
		.amdhsa_user_sgpr_dispatch_id 0
		.amdhsa_user_sgpr_flat_scratch_init 0
		.amdhsa_user_sgpr_kernarg_preload_length 0
		.amdhsa_user_sgpr_kernarg_preload_offset 0
		.amdhsa_user_sgpr_private_segment_size 0
		.amdhsa_uses_dynamic_stack 0
		.amdhsa_system_sgpr_private_segment_wavefront_offset 0
		.amdhsa_system_sgpr_workgroup_id_x 1
		.amdhsa_system_sgpr_workgroup_id_y 0
		.amdhsa_system_sgpr_workgroup_id_z 0
		.amdhsa_system_sgpr_workgroup_info 0
		.amdhsa_system_vgpr_workitem_id 0
		.amdhsa_next_free_vgpr 1
		.amdhsa_next_free_sgpr 0
		.amdhsa_accum_offset 4
		.amdhsa_reserve_vcc 0
		.amdhsa_reserve_flat_scratch 0
		.amdhsa_float_round_mode_32 0
		.amdhsa_float_round_mode_16_64 0
		.amdhsa_float_denorm_mode_32 3
		.amdhsa_float_denorm_mode_16_64 3
		.amdhsa_dx10_clamp 1
		.amdhsa_ieee_mode 1
		.amdhsa_fp16_overflow 0
		.amdhsa_tg_split 0
		.amdhsa_exception_fp_ieee_invalid_op 0
		.amdhsa_exception_fp_denorm_src 0
		.amdhsa_exception_fp_ieee_div_zero 0
		.amdhsa_exception_fp_ieee_overflow 0
		.amdhsa_exception_fp_ieee_underflow 0
		.amdhsa_exception_fp_ieee_inexact 0
		.amdhsa_exception_int_div_zero 0
	.end_amdhsa_kernel
	.section	.text._ZN7rocprim17ROCPRIM_400000_NS6detail17trampoline_kernelINS0_14default_configENS1_20scan_config_selectorIyEEZZNS1_9scan_implILNS1_25lookback_scan_determinismE0ELb1ELb1ES3_N6thrust23THRUST_200600_302600_NS6detail15normal_iteratorINS9_10device_ptrIyEEEESE_yNS9_4plusIvEEyEEDaPvRmT3_T4_T5_mT6_P12ihipStream_tbENKUlT_T0_E_clISt17integral_constantIbLb1EEST_IbLb0EEEEDaSP_SQ_EUlSP_E_NS1_11comp_targetILNS1_3genE9ELNS1_11target_archE1100ELNS1_3gpuE3ELNS1_3repE0EEENS1_30default_config_static_selectorELNS0_4arch9wavefront6targetE1EEEvT1_,"axG",@progbits,_ZN7rocprim17ROCPRIM_400000_NS6detail17trampoline_kernelINS0_14default_configENS1_20scan_config_selectorIyEEZZNS1_9scan_implILNS1_25lookback_scan_determinismE0ELb1ELb1ES3_N6thrust23THRUST_200600_302600_NS6detail15normal_iteratorINS9_10device_ptrIyEEEESE_yNS9_4plusIvEEyEEDaPvRmT3_T4_T5_mT6_P12ihipStream_tbENKUlT_T0_E_clISt17integral_constantIbLb1EEST_IbLb0EEEEDaSP_SQ_EUlSP_E_NS1_11comp_targetILNS1_3genE9ELNS1_11target_archE1100ELNS1_3gpuE3ELNS1_3repE0EEENS1_30default_config_static_selectorELNS0_4arch9wavefront6targetE1EEEvT1_,comdat
.Lfunc_end4545:
	.size	_ZN7rocprim17ROCPRIM_400000_NS6detail17trampoline_kernelINS0_14default_configENS1_20scan_config_selectorIyEEZZNS1_9scan_implILNS1_25lookback_scan_determinismE0ELb1ELb1ES3_N6thrust23THRUST_200600_302600_NS6detail15normal_iteratorINS9_10device_ptrIyEEEESE_yNS9_4plusIvEEyEEDaPvRmT3_T4_T5_mT6_P12ihipStream_tbENKUlT_T0_E_clISt17integral_constantIbLb1EEST_IbLb0EEEEDaSP_SQ_EUlSP_E_NS1_11comp_targetILNS1_3genE9ELNS1_11target_archE1100ELNS1_3gpuE3ELNS1_3repE0EEENS1_30default_config_static_selectorELNS0_4arch9wavefront6targetE1EEEvT1_, .Lfunc_end4545-_ZN7rocprim17ROCPRIM_400000_NS6detail17trampoline_kernelINS0_14default_configENS1_20scan_config_selectorIyEEZZNS1_9scan_implILNS1_25lookback_scan_determinismE0ELb1ELb1ES3_N6thrust23THRUST_200600_302600_NS6detail15normal_iteratorINS9_10device_ptrIyEEEESE_yNS9_4plusIvEEyEEDaPvRmT3_T4_T5_mT6_P12ihipStream_tbENKUlT_T0_E_clISt17integral_constantIbLb1EEST_IbLb0EEEEDaSP_SQ_EUlSP_E_NS1_11comp_targetILNS1_3genE9ELNS1_11target_archE1100ELNS1_3gpuE3ELNS1_3repE0EEENS1_30default_config_static_selectorELNS0_4arch9wavefront6targetE1EEEvT1_
                                        ; -- End function
	.section	.AMDGPU.csdata,"",@progbits
; Kernel info:
; codeLenInByte = 0
; NumSgprs: 4
; NumVgprs: 0
; NumAgprs: 0
; TotalNumVgprs: 0
; ScratchSize: 0
; MemoryBound: 0
; FloatMode: 240
; IeeeMode: 1
; LDSByteSize: 0 bytes/workgroup (compile time only)
; SGPRBlocks: 0
; VGPRBlocks: 0
; NumSGPRsForWavesPerEU: 4
; NumVGPRsForWavesPerEU: 1
; AccumOffset: 4
; Occupancy: 8
; WaveLimiterHint : 0
; COMPUTE_PGM_RSRC2:SCRATCH_EN: 0
; COMPUTE_PGM_RSRC2:USER_SGPR: 6
; COMPUTE_PGM_RSRC2:TRAP_HANDLER: 0
; COMPUTE_PGM_RSRC2:TGID_X_EN: 1
; COMPUTE_PGM_RSRC2:TGID_Y_EN: 0
; COMPUTE_PGM_RSRC2:TGID_Z_EN: 0
; COMPUTE_PGM_RSRC2:TIDIG_COMP_CNT: 0
; COMPUTE_PGM_RSRC3_GFX90A:ACCUM_OFFSET: 0
; COMPUTE_PGM_RSRC3_GFX90A:TG_SPLIT: 0
	.section	.text._ZN7rocprim17ROCPRIM_400000_NS6detail17trampoline_kernelINS0_14default_configENS1_20scan_config_selectorIyEEZZNS1_9scan_implILNS1_25lookback_scan_determinismE0ELb1ELb1ES3_N6thrust23THRUST_200600_302600_NS6detail15normal_iteratorINS9_10device_ptrIyEEEESE_yNS9_4plusIvEEyEEDaPvRmT3_T4_T5_mT6_P12ihipStream_tbENKUlT_T0_E_clISt17integral_constantIbLb1EEST_IbLb0EEEEDaSP_SQ_EUlSP_E_NS1_11comp_targetILNS1_3genE8ELNS1_11target_archE1030ELNS1_3gpuE2ELNS1_3repE0EEENS1_30default_config_static_selectorELNS0_4arch9wavefront6targetE1EEEvT1_,"axG",@progbits,_ZN7rocprim17ROCPRIM_400000_NS6detail17trampoline_kernelINS0_14default_configENS1_20scan_config_selectorIyEEZZNS1_9scan_implILNS1_25lookback_scan_determinismE0ELb1ELb1ES3_N6thrust23THRUST_200600_302600_NS6detail15normal_iteratorINS9_10device_ptrIyEEEESE_yNS9_4plusIvEEyEEDaPvRmT3_T4_T5_mT6_P12ihipStream_tbENKUlT_T0_E_clISt17integral_constantIbLb1EEST_IbLb0EEEEDaSP_SQ_EUlSP_E_NS1_11comp_targetILNS1_3genE8ELNS1_11target_archE1030ELNS1_3gpuE2ELNS1_3repE0EEENS1_30default_config_static_selectorELNS0_4arch9wavefront6targetE1EEEvT1_,comdat
	.protected	_ZN7rocprim17ROCPRIM_400000_NS6detail17trampoline_kernelINS0_14default_configENS1_20scan_config_selectorIyEEZZNS1_9scan_implILNS1_25lookback_scan_determinismE0ELb1ELb1ES3_N6thrust23THRUST_200600_302600_NS6detail15normal_iteratorINS9_10device_ptrIyEEEESE_yNS9_4plusIvEEyEEDaPvRmT3_T4_T5_mT6_P12ihipStream_tbENKUlT_T0_E_clISt17integral_constantIbLb1EEST_IbLb0EEEEDaSP_SQ_EUlSP_E_NS1_11comp_targetILNS1_3genE8ELNS1_11target_archE1030ELNS1_3gpuE2ELNS1_3repE0EEENS1_30default_config_static_selectorELNS0_4arch9wavefront6targetE1EEEvT1_ ; -- Begin function _ZN7rocprim17ROCPRIM_400000_NS6detail17trampoline_kernelINS0_14default_configENS1_20scan_config_selectorIyEEZZNS1_9scan_implILNS1_25lookback_scan_determinismE0ELb1ELb1ES3_N6thrust23THRUST_200600_302600_NS6detail15normal_iteratorINS9_10device_ptrIyEEEESE_yNS9_4plusIvEEyEEDaPvRmT3_T4_T5_mT6_P12ihipStream_tbENKUlT_T0_E_clISt17integral_constantIbLb1EEST_IbLb0EEEEDaSP_SQ_EUlSP_E_NS1_11comp_targetILNS1_3genE8ELNS1_11target_archE1030ELNS1_3gpuE2ELNS1_3repE0EEENS1_30default_config_static_selectorELNS0_4arch9wavefront6targetE1EEEvT1_
	.globl	_ZN7rocprim17ROCPRIM_400000_NS6detail17trampoline_kernelINS0_14default_configENS1_20scan_config_selectorIyEEZZNS1_9scan_implILNS1_25lookback_scan_determinismE0ELb1ELb1ES3_N6thrust23THRUST_200600_302600_NS6detail15normal_iteratorINS9_10device_ptrIyEEEESE_yNS9_4plusIvEEyEEDaPvRmT3_T4_T5_mT6_P12ihipStream_tbENKUlT_T0_E_clISt17integral_constantIbLb1EEST_IbLb0EEEEDaSP_SQ_EUlSP_E_NS1_11comp_targetILNS1_3genE8ELNS1_11target_archE1030ELNS1_3gpuE2ELNS1_3repE0EEENS1_30default_config_static_selectorELNS0_4arch9wavefront6targetE1EEEvT1_
	.p2align	8
	.type	_ZN7rocprim17ROCPRIM_400000_NS6detail17trampoline_kernelINS0_14default_configENS1_20scan_config_selectorIyEEZZNS1_9scan_implILNS1_25lookback_scan_determinismE0ELb1ELb1ES3_N6thrust23THRUST_200600_302600_NS6detail15normal_iteratorINS9_10device_ptrIyEEEESE_yNS9_4plusIvEEyEEDaPvRmT3_T4_T5_mT6_P12ihipStream_tbENKUlT_T0_E_clISt17integral_constantIbLb1EEST_IbLb0EEEEDaSP_SQ_EUlSP_E_NS1_11comp_targetILNS1_3genE8ELNS1_11target_archE1030ELNS1_3gpuE2ELNS1_3repE0EEENS1_30default_config_static_selectorELNS0_4arch9wavefront6targetE1EEEvT1_,@function
_ZN7rocprim17ROCPRIM_400000_NS6detail17trampoline_kernelINS0_14default_configENS1_20scan_config_selectorIyEEZZNS1_9scan_implILNS1_25lookback_scan_determinismE0ELb1ELb1ES3_N6thrust23THRUST_200600_302600_NS6detail15normal_iteratorINS9_10device_ptrIyEEEESE_yNS9_4plusIvEEyEEDaPvRmT3_T4_T5_mT6_P12ihipStream_tbENKUlT_T0_E_clISt17integral_constantIbLb1EEST_IbLb0EEEEDaSP_SQ_EUlSP_E_NS1_11comp_targetILNS1_3genE8ELNS1_11target_archE1030ELNS1_3gpuE2ELNS1_3repE0EEENS1_30default_config_static_selectorELNS0_4arch9wavefront6targetE1EEEvT1_: ; @_ZN7rocprim17ROCPRIM_400000_NS6detail17trampoline_kernelINS0_14default_configENS1_20scan_config_selectorIyEEZZNS1_9scan_implILNS1_25lookback_scan_determinismE0ELb1ELb1ES3_N6thrust23THRUST_200600_302600_NS6detail15normal_iteratorINS9_10device_ptrIyEEEESE_yNS9_4plusIvEEyEEDaPvRmT3_T4_T5_mT6_P12ihipStream_tbENKUlT_T0_E_clISt17integral_constantIbLb1EEST_IbLb0EEEEDaSP_SQ_EUlSP_E_NS1_11comp_targetILNS1_3genE8ELNS1_11target_archE1030ELNS1_3gpuE2ELNS1_3repE0EEENS1_30default_config_static_selectorELNS0_4arch9wavefront6targetE1EEEvT1_
; %bb.0:
	.section	.rodata,"a",@progbits
	.p2align	6, 0x0
	.amdhsa_kernel _ZN7rocprim17ROCPRIM_400000_NS6detail17trampoline_kernelINS0_14default_configENS1_20scan_config_selectorIyEEZZNS1_9scan_implILNS1_25lookback_scan_determinismE0ELb1ELb1ES3_N6thrust23THRUST_200600_302600_NS6detail15normal_iteratorINS9_10device_ptrIyEEEESE_yNS9_4plusIvEEyEEDaPvRmT3_T4_T5_mT6_P12ihipStream_tbENKUlT_T0_E_clISt17integral_constantIbLb1EEST_IbLb0EEEEDaSP_SQ_EUlSP_E_NS1_11comp_targetILNS1_3genE8ELNS1_11target_archE1030ELNS1_3gpuE2ELNS1_3repE0EEENS1_30default_config_static_selectorELNS0_4arch9wavefront6targetE1EEEvT1_
		.amdhsa_group_segment_fixed_size 0
		.amdhsa_private_segment_fixed_size 0
		.amdhsa_kernarg_size 104
		.amdhsa_user_sgpr_count 6
		.amdhsa_user_sgpr_private_segment_buffer 1
		.amdhsa_user_sgpr_dispatch_ptr 0
		.amdhsa_user_sgpr_queue_ptr 0
		.amdhsa_user_sgpr_kernarg_segment_ptr 1
		.amdhsa_user_sgpr_dispatch_id 0
		.amdhsa_user_sgpr_flat_scratch_init 0
		.amdhsa_user_sgpr_kernarg_preload_length 0
		.amdhsa_user_sgpr_kernarg_preload_offset 0
		.amdhsa_user_sgpr_private_segment_size 0
		.amdhsa_uses_dynamic_stack 0
		.amdhsa_system_sgpr_private_segment_wavefront_offset 0
		.amdhsa_system_sgpr_workgroup_id_x 1
		.amdhsa_system_sgpr_workgroup_id_y 0
		.amdhsa_system_sgpr_workgroup_id_z 0
		.amdhsa_system_sgpr_workgroup_info 0
		.amdhsa_system_vgpr_workitem_id 0
		.amdhsa_next_free_vgpr 1
		.amdhsa_next_free_sgpr 0
		.amdhsa_accum_offset 4
		.amdhsa_reserve_vcc 0
		.amdhsa_reserve_flat_scratch 0
		.amdhsa_float_round_mode_32 0
		.amdhsa_float_round_mode_16_64 0
		.amdhsa_float_denorm_mode_32 3
		.amdhsa_float_denorm_mode_16_64 3
		.amdhsa_dx10_clamp 1
		.amdhsa_ieee_mode 1
		.amdhsa_fp16_overflow 0
		.amdhsa_tg_split 0
		.amdhsa_exception_fp_ieee_invalid_op 0
		.amdhsa_exception_fp_denorm_src 0
		.amdhsa_exception_fp_ieee_div_zero 0
		.amdhsa_exception_fp_ieee_overflow 0
		.amdhsa_exception_fp_ieee_underflow 0
		.amdhsa_exception_fp_ieee_inexact 0
		.amdhsa_exception_int_div_zero 0
	.end_amdhsa_kernel
	.section	.text._ZN7rocprim17ROCPRIM_400000_NS6detail17trampoline_kernelINS0_14default_configENS1_20scan_config_selectorIyEEZZNS1_9scan_implILNS1_25lookback_scan_determinismE0ELb1ELb1ES3_N6thrust23THRUST_200600_302600_NS6detail15normal_iteratorINS9_10device_ptrIyEEEESE_yNS9_4plusIvEEyEEDaPvRmT3_T4_T5_mT6_P12ihipStream_tbENKUlT_T0_E_clISt17integral_constantIbLb1EEST_IbLb0EEEEDaSP_SQ_EUlSP_E_NS1_11comp_targetILNS1_3genE8ELNS1_11target_archE1030ELNS1_3gpuE2ELNS1_3repE0EEENS1_30default_config_static_selectorELNS0_4arch9wavefront6targetE1EEEvT1_,"axG",@progbits,_ZN7rocprim17ROCPRIM_400000_NS6detail17trampoline_kernelINS0_14default_configENS1_20scan_config_selectorIyEEZZNS1_9scan_implILNS1_25lookback_scan_determinismE0ELb1ELb1ES3_N6thrust23THRUST_200600_302600_NS6detail15normal_iteratorINS9_10device_ptrIyEEEESE_yNS9_4plusIvEEyEEDaPvRmT3_T4_T5_mT6_P12ihipStream_tbENKUlT_T0_E_clISt17integral_constantIbLb1EEST_IbLb0EEEEDaSP_SQ_EUlSP_E_NS1_11comp_targetILNS1_3genE8ELNS1_11target_archE1030ELNS1_3gpuE2ELNS1_3repE0EEENS1_30default_config_static_selectorELNS0_4arch9wavefront6targetE1EEEvT1_,comdat
.Lfunc_end4546:
	.size	_ZN7rocprim17ROCPRIM_400000_NS6detail17trampoline_kernelINS0_14default_configENS1_20scan_config_selectorIyEEZZNS1_9scan_implILNS1_25lookback_scan_determinismE0ELb1ELb1ES3_N6thrust23THRUST_200600_302600_NS6detail15normal_iteratorINS9_10device_ptrIyEEEESE_yNS9_4plusIvEEyEEDaPvRmT3_T4_T5_mT6_P12ihipStream_tbENKUlT_T0_E_clISt17integral_constantIbLb1EEST_IbLb0EEEEDaSP_SQ_EUlSP_E_NS1_11comp_targetILNS1_3genE8ELNS1_11target_archE1030ELNS1_3gpuE2ELNS1_3repE0EEENS1_30default_config_static_selectorELNS0_4arch9wavefront6targetE1EEEvT1_, .Lfunc_end4546-_ZN7rocprim17ROCPRIM_400000_NS6detail17trampoline_kernelINS0_14default_configENS1_20scan_config_selectorIyEEZZNS1_9scan_implILNS1_25lookback_scan_determinismE0ELb1ELb1ES3_N6thrust23THRUST_200600_302600_NS6detail15normal_iteratorINS9_10device_ptrIyEEEESE_yNS9_4plusIvEEyEEDaPvRmT3_T4_T5_mT6_P12ihipStream_tbENKUlT_T0_E_clISt17integral_constantIbLb1EEST_IbLb0EEEEDaSP_SQ_EUlSP_E_NS1_11comp_targetILNS1_3genE8ELNS1_11target_archE1030ELNS1_3gpuE2ELNS1_3repE0EEENS1_30default_config_static_selectorELNS0_4arch9wavefront6targetE1EEEvT1_
                                        ; -- End function
	.section	.AMDGPU.csdata,"",@progbits
; Kernel info:
; codeLenInByte = 0
; NumSgprs: 4
; NumVgprs: 0
; NumAgprs: 0
; TotalNumVgprs: 0
; ScratchSize: 0
; MemoryBound: 0
; FloatMode: 240
; IeeeMode: 1
; LDSByteSize: 0 bytes/workgroup (compile time only)
; SGPRBlocks: 0
; VGPRBlocks: 0
; NumSGPRsForWavesPerEU: 4
; NumVGPRsForWavesPerEU: 1
; AccumOffset: 4
; Occupancy: 8
; WaveLimiterHint : 0
; COMPUTE_PGM_RSRC2:SCRATCH_EN: 0
; COMPUTE_PGM_RSRC2:USER_SGPR: 6
; COMPUTE_PGM_RSRC2:TRAP_HANDLER: 0
; COMPUTE_PGM_RSRC2:TGID_X_EN: 1
; COMPUTE_PGM_RSRC2:TGID_Y_EN: 0
; COMPUTE_PGM_RSRC2:TGID_Z_EN: 0
; COMPUTE_PGM_RSRC2:TIDIG_COMP_CNT: 0
; COMPUTE_PGM_RSRC3_GFX90A:ACCUM_OFFSET: 0
; COMPUTE_PGM_RSRC3_GFX90A:TG_SPLIT: 0
	.section	.text._ZN7rocprim17ROCPRIM_400000_NS6detail17trampoline_kernelINS0_14default_configENS1_20scan_config_selectorIyEEZZNS1_9scan_implILNS1_25lookback_scan_determinismE0ELb1ELb1ES3_N6thrust23THRUST_200600_302600_NS6detail15normal_iteratorINS9_10device_ptrIyEEEESE_yNS9_4plusIvEEyEEDaPvRmT3_T4_T5_mT6_P12ihipStream_tbENKUlT_T0_E_clISt17integral_constantIbLb1EEST_IbLb0EEEEDaSP_SQ_EUlSP_E0_NS1_11comp_targetILNS1_3genE0ELNS1_11target_archE4294967295ELNS1_3gpuE0ELNS1_3repE0EEENS1_30default_config_static_selectorELNS0_4arch9wavefront6targetE1EEEvT1_,"axG",@progbits,_ZN7rocprim17ROCPRIM_400000_NS6detail17trampoline_kernelINS0_14default_configENS1_20scan_config_selectorIyEEZZNS1_9scan_implILNS1_25lookback_scan_determinismE0ELb1ELb1ES3_N6thrust23THRUST_200600_302600_NS6detail15normal_iteratorINS9_10device_ptrIyEEEESE_yNS9_4plusIvEEyEEDaPvRmT3_T4_T5_mT6_P12ihipStream_tbENKUlT_T0_E_clISt17integral_constantIbLb1EEST_IbLb0EEEEDaSP_SQ_EUlSP_E0_NS1_11comp_targetILNS1_3genE0ELNS1_11target_archE4294967295ELNS1_3gpuE0ELNS1_3repE0EEENS1_30default_config_static_selectorELNS0_4arch9wavefront6targetE1EEEvT1_,comdat
	.protected	_ZN7rocprim17ROCPRIM_400000_NS6detail17trampoline_kernelINS0_14default_configENS1_20scan_config_selectorIyEEZZNS1_9scan_implILNS1_25lookback_scan_determinismE0ELb1ELb1ES3_N6thrust23THRUST_200600_302600_NS6detail15normal_iteratorINS9_10device_ptrIyEEEESE_yNS9_4plusIvEEyEEDaPvRmT3_T4_T5_mT6_P12ihipStream_tbENKUlT_T0_E_clISt17integral_constantIbLb1EEST_IbLb0EEEEDaSP_SQ_EUlSP_E0_NS1_11comp_targetILNS1_3genE0ELNS1_11target_archE4294967295ELNS1_3gpuE0ELNS1_3repE0EEENS1_30default_config_static_selectorELNS0_4arch9wavefront6targetE1EEEvT1_ ; -- Begin function _ZN7rocprim17ROCPRIM_400000_NS6detail17trampoline_kernelINS0_14default_configENS1_20scan_config_selectorIyEEZZNS1_9scan_implILNS1_25lookback_scan_determinismE0ELb1ELb1ES3_N6thrust23THRUST_200600_302600_NS6detail15normal_iteratorINS9_10device_ptrIyEEEESE_yNS9_4plusIvEEyEEDaPvRmT3_T4_T5_mT6_P12ihipStream_tbENKUlT_T0_E_clISt17integral_constantIbLb1EEST_IbLb0EEEEDaSP_SQ_EUlSP_E0_NS1_11comp_targetILNS1_3genE0ELNS1_11target_archE4294967295ELNS1_3gpuE0ELNS1_3repE0EEENS1_30default_config_static_selectorELNS0_4arch9wavefront6targetE1EEEvT1_
	.globl	_ZN7rocprim17ROCPRIM_400000_NS6detail17trampoline_kernelINS0_14default_configENS1_20scan_config_selectorIyEEZZNS1_9scan_implILNS1_25lookback_scan_determinismE0ELb1ELb1ES3_N6thrust23THRUST_200600_302600_NS6detail15normal_iteratorINS9_10device_ptrIyEEEESE_yNS9_4plusIvEEyEEDaPvRmT3_T4_T5_mT6_P12ihipStream_tbENKUlT_T0_E_clISt17integral_constantIbLb1EEST_IbLb0EEEEDaSP_SQ_EUlSP_E0_NS1_11comp_targetILNS1_3genE0ELNS1_11target_archE4294967295ELNS1_3gpuE0ELNS1_3repE0EEENS1_30default_config_static_selectorELNS0_4arch9wavefront6targetE1EEEvT1_
	.p2align	8
	.type	_ZN7rocprim17ROCPRIM_400000_NS6detail17trampoline_kernelINS0_14default_configENS1_20scan_config_selectorIyEEZZNS1_9scan_implILNS1_25lookback_scan_determinismE0ELb1ELb1ES3_N6thrust23THRUST_200600_302600_NS6detail15normal_iteratorINS9_10device_ptrIyEEEESE_yNS9_4plusIvEEyEEDaPvRmT3_T4_T5_mT6_P12ihipStream_tbENKUlT_T0_E_clISt17integral_constantIbLb1EEST_IbLb0EEEEDaSP_SQ_EUlSP_E0_NS1_11comp_targetILNS1_3genE0ELNS1_11target_archE4294967295ELNS1_3gpuE0ELNS1_3repE0EEENS1_30default_config_static_selectorELNS0_4arch9wavefront6targetE1EEEvT1_,@function
_ZN7rocprim17ROCPRIM_400000_NS6detail17trampoline_kernelINS0_14default_configENS1_20scan_config_selectorIyEEZZNS1_9scan_implILNS1_25lookback_scan_determinismE0ELb1ELb1ES3_N6thrust23THRUST_200600_302600_NS6detail15normal_iteratorINS9_10device_ptrIyEEEESE_yNS9_4plusIvEEyEEDaPvRmT3_T4_T5_mT6_P12ihipStream_tbENKUlT_T0_E_clISt17integral_constantIbLb1EEST_IbLb0EEEEDaSP_SQ_EUlSP_E0_NS1_11comp_targetILNS1_3genE0ELNS1_11target_archE4294967295ELNS1_3gpuE0ELNS1_3repE0EEENS1_30default_config_static_selectorELNS0_4arch9wavefront6targetE1EEEvT1_: ; @_ZN7rocprim17ROCPRIM_400000_NS6detail17trampoline_kernelINS0_14default_configENS1_20scan_config_selectorIyEEZZNS1_9scan_implILNS1_25lookback_scan_determinismE0ELb1ELb1ES3_N6thrust23THRUST_200600_302600_NS6detail15normal_iteratorINS9_10device_ptrIyEEEESE_yNS9_4plusIvEEyEEDaPvRmT3_T4_T5_mT6_P12ihipStream_tbENKUlT_T0_E_clISt17integral_constantIbLb1EEST_IbLb0EEEEDaSP_SQ_EUlSP_E0_NS1_11comp_targetILNS1_3genE0ELNS1_11target_archE4294967295ELNS1_3gpuE0ELNS1_3repE0EEENS1_30default_config_static_selectorELNS0_4arch9wavefront6targetE1EEEvT1_
; %bb.0:
	.section	.rodata,"a",@progbits
	.p2align	6, 0x0
	.amdhsa_kernel _ZN7rocprim17ROCPRIM_400000_NS6detail17trampoline_kernelINS0_14default_configENS1_20scan_config_selectorIyEEZZNS1_9scan_implILNS1_25lookback_scan_determinismE0ELb1ELb1ES3_N6thrust23THRUST_200600_302600_NS6detail15normal_iteratorINS9_10device_ptrIyEEEESE_yNS9_4plusIvEEyEEDaPvRmT3_T4_T5_mT6_P12ihipStream_tbENKUlT_T0_E_clISt17integral_constantIbLb1EEST_IbLb0EEEEDaSP_SQ_EUlSP_E0_NS1_11comp_targetILNS1_3genE0ELNS1_11target_archE4294967295ELNS1_3gpuE0ELNS1_3repE0EEENS1_30default_config_static_selectorELNS0_4arch9wavefront6targetE1EEEvT1_
		.amdhsa_group_segment_fixed_size 0
		.amdhsa_private_segment_fixed_size 0
		.amdhsa_kernarg_size 40
		.amdhsa_user_sgpr_count 6
		.amdhsa_user_sgpr_private_segment_buffer 1
		.amdhsa_user_sgpr_dispatch_ptr 0
		.amdhsa_user_sgpr_queue_ptr 0
		.amdhsa_user_sgpr_kernarg_segment_ptr 1
		.amdhsa_user_sgpr_dispatch_id 0
		.amdhsa_user_sgpr_flat_scratch_init 0
		.amdhsa_user_sgpr_kernarg_preload_length 0
		.amdhsa_user_sgpr_kernarg_preload_offset 0
		.amdhsa_user_sgpr_private_segment_size 0
		.amdhsa_uses_dynamic_stack 0
		.amdhsa_system_sgpr_private_segment_wavefront_offset 0
		.amdhsa_system_sgpr_workgroup_id_x 1
		.amdhsa_system_sgpr_workgroup_id_y 0
		.amdhsa_system_sgpr_workgroup_id_z 0
		.amdhsa_system_sgpr_workgroup_info 0
		.amdhsa_system_vgpr_workitem_id 0
		.amdhsa_next_free_vgpr 1
		.amdhsa_next_free_sgpr 0
		.amdhsa_accum_offset 4
		.amdhsa_reserve_vcc 0
		.amdhsa_reserve_flat_scratch 0
		.amdhsa_float_round_mode_32 0
		.amdhsa_float_round_mode_16_64 0
		.amdhsa_float_denorm_mode_32 3
		.amdhsa_float_denorm_mode_16_64 3
		.amdhsa_dx10_clamp 1
		.amdhsa_ieee_mode 1
		.amdhsa_fp16_overflow 0
		.amdhsa_tg_split 0
		.amdhsa_exception_fp_ieee_invalid_op 0
		.amdhsa_exception_fp_denorm_src 0
		.amdhsa_exception_fp_ieee_div_zero 0
		.amdhsa_exception_fp_ieee_overflow 0
		.amdhsa_exception_fp_ieee_underflow 0
		.amdhsa_exception_fp_ieee_inexact 0
		.amdhsa_exception_int_div_zero 0
	.end_amdhsa_kernel
	.section	.text._ZN7rocprim17ROCPRIM_400000_NS6detail17trampoline_kernelINS0_14default_configENS1_20scan_config_selectorIyEEZZNS1_9scan_implILNS1_25lookback_scan_determinismE0ELb1ELb1ES3_N6thrust23THRUST_200600_302600_NS6detail15normal_iteratorINS9_10device_ptrIyEEEESE_yNS9_4plusIvEEyEEDaPvRmT3_T4_T5_mT6_P12ihipStream_tbENKUlT_T0_E_clISt17integral_constantIbLb1EEST_IbLb0EEEEDaSP_SQ_EUlSP_E0_NS1_11comp_targetILNS1_3genE0ELNS1_11target_archE4294967295ELNS1_3gpuE0ELNS1_3repE0EEENS1_30default_config_static_selectorELNS0_4arch9wavefront6targetE1EEEvT1_,"axG",@progbits,_ZN7rocprim17ROCPRIM_400000_NS6detail17trampoline_kernelINS0_14default_configENS1_20scan_config_selectorIyEEZZNS1_9scan_implILNS1_25lookback_scan_determinismE0ELb1ELb1ES3_N6thrust23THRUST_200600_302600_NS6detail15normal_iteratorINS9_10device_ptrIyEEEESE_yNS9_4plusIvEEyEEDaPvRmT3_T4_T5_mT6_P12ihipStream_tbENKUlT_T0_E_clISt17integral_constantIbLb1EEST_IbLb0EEEEDaSP_SQ_EUlSP_E0_NS1_11comp_targetILNS1_3genE0ELNS1_11target_archE4294967295ELNS1_3gpuE0ELNS1_3repE0EEENS1_30default_config_static_selectorELNS0_4arch9wavefront6targetE1EEEvT1_,comdat
.Lfunc_end4547:
	.size	_ZN7rocprim17ROCPRIM_400000_NS6detail17trampoline_kernelINS0_14default_configENS1_20scan_config_selectorIyEEZZNS1_9scan_implILNS1_25lookback_scan_determinismE0ELb1ELb1ES3_N6thrust23THRUST_200600_302600_NS6detail15normal_iteratorINS9_10device_ptrIyEEEESE_yNS9_4plusIvEEyEEDaPvRmT3_T4_T5_mT6_P12ihipStream_tbENKUlT_T0_E_clISt17integral_constantIbLb1EEST_IbLb0EEEEDaSP_SQ_EUlSP_E0_NS1_11comp_targetILNS1_3genE0ELNS1_11target_archE4294967295ELNS1_3gpuE0ELNS1_3repE0EEENS1_30default_config_static_selectorELNS0_4arch9wavefront6targetE1EEEvT1_, .Lfunc_end4547-_ZN7rocprim17ROCPRIM_400000_NS6detail17trampoline_kernelINS0_14default_configENS1_20scan_config_selectorIyEEZZNS1_9scan_implILNS1_25lookback_scan_determinismE0ELb1ELb1ES3_N6thrust23THRUST_200600_302600_NS6detail15normal_iteratorINS9_10device_ptrIyEEEESE_yNS9_4plusIvEEyEEDaPvRmT3_T4_T5_mT6_P12ihipStream_tbENKUlT_T0_E_clISt17integral_constantIbLb1EEST_IbLb0EEEEDaSP_SQ_EUlSP_E0_NS1_11comp_targetILNS1_3genE0ELNS1_11target_archE4294967295ELNS1_3gpuE0ELNS1_3repE0EEENS1_30default_config_static_selectorELNS0_4arch9wavefront6targetE1EEEvT1_
                                        ; -- End function
	.section	.AMDGPU.csdata,"",@progbits
; Kernel info:
; codeLenInByte = 0
; NumSgprs: 4
; NumVgprs: 0
; NumAgprs: 0
; TotalNumVgprs: 0
; ScratchSize: 0
; MemoryBound: 0
; FloatMode: 240
; IeeeMode: 1
; LDSByteSize: 0 bytes/workgroup (compile time only)
; SGPRBlocks: 0
; VGPRBlocks: 0
; NumSGPRsForWavesPerEU: 4
; NumVGPRsForWavesPerEU: 1
; AccumOffset: 4
; Occupancy: 8
; WaveLimiterHint : 0
; COMPUTE_PGM_RSRC2:SCRATCH_EN: 0
; COMPUTE_PGM_RSRC2:USER_SGPR: 6
; COMPUTE_PGM_RSRC2:TRAP_HANDLER: 0
; COMPUTE_PGM_RSRC2:TGID_X_EN: 1
; COMPUTE_PGM_RSRC2:TGID_Y_EN: 0
; COMPUTE_PGM_RSRC2:TGID_Z_EN: 0
; COMPUTE_PGM_RSRC2:TIDIG_COMP_CNT: 0
; COMPUTE_PGM_RSRC3_GFX90A:ACCUM_OFFSET: 0
; COMPUTE_PGM_RSRC3_GFX90A:TG_SPLIT: 0
	.section	.text._ZN7rocprim17ROCPRIM_400000_NS6detail17trampoline_kernelINS0_14default_configENS1_20scan_config_selectorIyEEZZNS1_9scan_implILNS1_25lookback_scan_determinismE0ELb1ELb1ES3_N6thrust23THRUST_200600_302600_NS6detail15normal_iteratorINS9_10device_ptrIyEEEESE_yNS9_4plusIvEEyEEDaPvRmT3_T4_T5_mT6_P12ihipStream_tbENKUlT_T0_E_clISt17integral_constantIbLb1EEST_IbLb0EEEEDaSP_SQ_EUlSP_E0_NS1_11comp_targetILNS1_3genE5ELNS1_11target_archE942ELNS1_3gpuE9ELNS1_3repE0EEENS1_30default_config_static_selectorELNS0_4arch9wavefront6targetE1EEEvT1_,"axG",@progbits,_ZN7rocprim17ROCPRIM_400000_NS6detail17trampoline_kernelINS0_14default_configENS1_20scan_config_selectorIyEEZZNS1_9scan_implILNS1_25lookback_scan_determinismE0ELb1ELb1ES3_N6thrust23THRUST_200600_302600_NS6detail15normal_iteratorINS9_10device_ptrIyEEEESE_yNS9_4plusIvEEyEEDaPvRmT3_T4_T5_mT6_P12ihipStream_tbENKUlT_T0_E_clISt17integral_constantIbLb1EEST_IbLb0EEEEDaSP_SQ_EUlSP_E0_NS1_11comp_targetILNS1_3genE5ELNS1_11target_archE942ELNS1_3gpuE9ELNS1_3repE0EEENS1_30default_config_static_selectorELNS0_4arch9wavefront6targetE1EEEvT1_,comdat
	.protected	_ZN7rocprim17ROCPRIM_400000_NS6detail17trampoline_kernelINS0_14default_configENS1_20scan_config_selectorIyEEZZNS1_9scan_implILNS1_25lookback_scan_determinismE0ELb1ELb1ES3_N6thrust23THRUST_200600_302600_NS6detail15normal_iteratorINS9_10device_ptrIyEEEESE_yNS9_4plusIvEEyEEDaPvRmT3_T4_T5_mT6_P12ihipStream_tbENKUlT_T0_E_clISt17integral_constantIbLb1EEST_IbLb0EEEEDaSP_SQ_EUlSP_E0_NS1_11comp_targetILNS1_3genE5ELNS1_11target_archE942ELNS1_3gpuE9ELNS1_3repE0EEENS1_30default_config_static_selectorELNS0_4arch9wavefront6targetE1EEEvT1_ ; -- Begin function _ZN7rocprim17ROCPRIM_400000_NS6detail17trampoline_kernelINS0_14default_configENS1_20scan_config_selectorIyEEZZNS1_9scan_implILNS1_25lookback_scan_determinismE0ELb1ELb1ES3_N6thrust23THRUST_200600_302600_NS6detail15normal_iteratorINS9_10device_ptrIyEEEESE_yNS9_4plusIvEEyEEDaPvRmT3_T4_T5_mT6_P12ihipStream_tbENKUlT_T0_E_clISt17integral_constantIbLb1EEST_IbLb0EEEEDaSP_SQ_EUlSP_E0_NS1_11comp_targetILNS1_3genE5ELNS1_11target_archE942ELNS1_3gpuE9ELNS1_3repE0EEENS1_30default_config_static_selectorELNS0_4arch9wavefront6targetE1EEEvT1_
	.globl	_ZN7rocprim17ROCPRIM_400000_NS6detail17trampoline_kernelINS0_14default_configENS1_20scan_config_selectorIyEEZZNS1_9scan_implILNS1_25lookback_scan_determinismE0ELb1ELb1ES3_N6thrust23THRUST_200600_302600_NS6detail15normal_iteratorINS9_10device_ptrIyEEEESE_yNS9_4plusIvEEyEEDaPvRmT3_T4_T5_mT6_P12ihipStream_tbENKUlT_T0_E_clISt17integral_constantIbLb1EEST_IbLb0EEEEDaSP_SQ_EUlSP_E0_NS1_11comp_targetILNS1_3genE5ELNS1_11target_archE942ELNS1_3gpuE9ELNS1_3repE0EEENS1_30default_config_static_selectorELNS0_4arch9wavefront6targetE1EEEvT1_
	.p2align	8
	.type	_ZN7rocprim17ROCPRIM_400000_NS6detail17trampoline_kernelINS0_14default_configENS1_20scan_config_selectorIyEEZZNS1_9scan_implILNS1_25lookback_scan_determinismE0ELb1ELb1ES3_N6thrust23THRUST_200600_302600_NS6detail15normal_iteratorINS9_10device_ptrIyEEEESE_yNS9_4plusIvEEyEEDaPvRmT3_T4_T5_mT6_P12ihipStream_tbENKUlT_T0_E_clISt17integral_constantIbLb1EEST_IbLb0EEEEDaSP_SQ_EUlSP_E0_NS1_11comp_targetILNS1_3genE5ELNS1_11target_archE942ELNS1_3gpuE9ELNS1_3repE0EEENS1_30default_config_static_selectorELNS0_4arch9wavefront6targetE1EEEvT1_,@function
_ZN7rocprim17ROCPRIM_400000_NS6detail17trampoline_kernelINS0_14default_configENS1_20scan_config_selectorIyEEZZNS1_9scan_implILNS1_25lookback_scan_determinismE0ELb1ELb1ES3_N6thrust23THRUST_200600_302600_NS6detail15normal_iteratorINS9_10device_ptrIyEEEESE_yNS9_4plusIvEEyEEDaPvRmT3_T4_T5_mT6_P12ihipStream_tbENKUlT_T0_E_clISt17integral_constantIbLb1EEST_IbLb0EEEEDaSP_SQ_EUlSP_E0_NS1_11comp_targetILNS1_3genE5ELNS1_11target_archE942ELNS1_3gpuE9ELNS1_3repE0EEENS1_30default_config_static_selectorELNS0_4arch9wavefront6targetE1EEEvT1_: ; @_ZN7rocprim17ROCPRIM_400000_NS6detail17trampoline_kernelINS0_14default_configENS1_20scan_config_selectorIyEEZZNS1_9scan_implILNS1_25lookback_scan_determinismE0ELb1ELb1ES3_N6thrust23THRUST_200600_302600_NS6detail15normal_iteratorINS9_10device_ptrIyEEEESE_yNS9_4plusIvEEyEEDaPvRmT3_T4_T5_mT6_P12ihipStream_tbENKUlT_T0_E_clISt17integral_constantIbLb1EEST_IbLb0EEEEDaSP_SQ_EUlSP_E0_NS1_11comp_targetILNS1_3genE5ELNS1_11target_archE942ELNS1_3gpuE9ELNS1_3repE0EEENS1_30default_config_static_selectorELNS0_4arch9wavefront6targetE1EEEvT1_
; %bb.0:
	.section	.rodata,"a",@progbits
	.p2align	6, 0x0
	.amdhsa_kernel _ZN7rocprim17ROCPRIM_400000_NS6detail17trampoline_kernelINS0_14default_configENS1_20scan_config_selectorIyEEZZNS1_9scan_implILNS1_25lookback_scan_determinismE0ELb1ELb1ES3_N6thrust23THRUST_200600_302600_NS6detail15normal_iteratorINS9_10device_ptrIyEEEESE_yNS9_4plusIvEEyEEDaPvRmT3_T4_T5_mT6_P12ihipStream_tbENKUlT_T0_E_clISt17integral_constantIbLb1EEST_IbLb0EEEEDaSP_SQ_EUlSP_E0_NS1_11comp_targetILNS1_3genE5ELNS1_11target_archE942ELNS1_3gpuE9ELNS1_3repE0EEENS1_30default_config_static_selectorELNS0_4arch9wavefront6targetE1EEEvT1_
		.amdhsa_group_segment_fixed_size 0
		.amdhsa_private_segment_fixed_size 0
		.amdhsa_kernarg_size 40
		.amdhsa_user_sgpr_count 6
		.amdhsa_user_sgpr_private_segment_buffer 1
		.amdhsa_user_sgpr_dispatch_ptr 0
		.amdhsa_user_sgpr_queue_ptr 0
		.amdhsa_user_sgpr_kernarg_segment_ptr 1
		.amdhsa_user_sgpr_dispatch_id 0
		.amdhsa_user_sgpr_flat_scratch_init 0
		.amdhsa_user_sgpr_kernarg_preload_length 0
		.amdhsa_user_sgpr_kernarg_preload_offset 0
		.amdhsa_user_sgpr_private_segment_size 0
		.amdhsa_uses_dynamic_stack 0
		.amdhsa_system_sgpr_private_segment_wavefront_offset 0
		.amdhsa_system_sgpr_workgroup_id_x 1
		.amdhsa_system_sgpr_workgroup_id_y 0
		.amdhsa_system_sgpr_workgroup_id_z 0
		.amdhsa_system_sgpr_workgroup_info 0
		.amdhsa_system_vgpr_workitem_id 0
		.amdhsa_next_free_vgpr 1
		.amdhsa_next_free_sgpr 0
		.amdhsa_accum_offset 4
		.amdhsa_reserve_vcc 0
		.amdhsa_reserve_flat_scratch 0
		.amdhsa_float_round_mode_32 0
		.amdhsa_float_round_mode_16_64 0
		.amdhsa_float_denorm_mode_32 3
		.amdhsa_float_denorm_mode_16_64 3
		.amdhsa_dx10_clamp 1
		.amdhsa_ieee_mode 1
		.amdhsa_fp16_overflow 0
		.amdhsa_tg_split 0
		.amdhsa_exception_fp_ieee_invalid_op 0
		.amdhsa_exception_fp_denorm_src 0
		.amdhsa_exception_fp_ieee_div_zero 0
		.amdhsa_exception_fp_ieee_overflow 0
		.amdhsa_exception_fp_ieee_underflow 0
		.amdhsa_exception_fp_ieee_inexact 0
		.amdhsa_exception_int_div_zero 0
	.end_amdhsa_kernel
	.section	.text._ZN7rocprim17ROCPRIM_400000_NS6detail17trampoline_kernelINS0_14default_configENS1_20scan_config_selectorIyEEZZNS1_9scan_implILNS1_25lookback_scan_determinismE0ELb1ELb1ES3_N6thrust23THRUST_200600_302600_NS6detail15normal_iteratorINS9_10device_ptrIyEEEESE_yNS9_4plusIvEEyEEDaPvRmT3_T4_T5_mT6_P12ihipStream_tbENKUlT_T0_E_clISt17integral_constantIbLb1EEST_IbLb0EEEEDaSP_SQ_EUlSP_E0_NS1_11comp_targetILNS1_3genE5ELNS1_11target_archE942ELNS1_3gpuE9ELNS1_3repE0EEENS1_30default_config_static_selectorELNS0_4arch9wavefront6targetE1EEEvT1_,"axG",@progbits,_ZN7rocprim17ROCPRIM_400000_NS6detail17trampoline_kernelINS0_14default_configENS1_20scan_config_selectorIyEEZZNS1_9scan_implILNS1_25lookback_scan_determinismE0ELb1ELb1ES3_N6thrust23THRUST_200600_302600_NS6detail15normal_iteratorINS9_10device_ptrIyEEEESE_yNS9_4plusIvEEyEEDaPvRmT3_T4_T5_mT6_P12ihipStream_tbENKUlT_T0_E_clISt17integral_constantIbLb1EEST_IbLb0EEEEDaSP_SQ_EUlSP_E0_NS1_11comp_targetILNS1_3genE5ELNS1_11target_archE942ELNS1_3gpuE9ELNS1_3repE0EEENS1_30default_config_static_selectorELNS0_4arch9wavefront6targetE1EEEvT1_,comdat
.Lfunc_end4548:
	.size	_ZN7rocprim17ROCPRIM_400000_NS6detail17trampoline_kernelINS0_14default_configENS1_20scan_config_selectorIyEEZZNS1_9scan_implILNS1_25lookback_scan_determinismE0ELb1ELb1ES3_N6thrust23THRUST_200600_302600_NS6detail15normal_iteratorINS9_10device_ptrIyEEEESE_yNS9_4plusIvEEyEEDaPvRmT3_T4_T5_mT6_P12ihipStream_tbENKUlT_T0_E_clISt17integral_constantIbLb1EEST_IbLb0EEEEDaSP_SQ_EUlSP_E0_NS1_11comp_targetILNS1_3genE5ELNS1_11target_archE942ELNS1_3gpuE9ELNS1_3repE0EEENS1_30default_config_static_selectorELNS0_4arch9wavefront6targetE1EEEvT1_, .Lfunc_end4548-_ZN7rocprim17ROCPRIM_400000_NS6detail17trampoline_kernelINS0_14default_configENS1_20scan_config_selectorIyEEZZNS1_9scan_implILNS1_25lookback_scan_determinismE0ELb1ELb1ES3_N6thrust23THRUST_200600_302600_NS6detail15normal_iteratorINS9_10device_ptrIyEEEESE_yNS9_4plusIvEEyEEDaPvRmT3_T4_T5_mT6_P12ihipStream_tbENKUlT_T0_E_clISt17integral_constantIbLb1EEST_IbLb0EEEEDaSP_SQ_EUlSP_E0_NS1_11comp_targetILNS1_3genE5ELNS1_11target_archE942ELNS1_3gpuE9ELNS1_3repE0EEENS1_30default_config_static_selectorELNS0_4arch9wavefront6targetE1EEEvT1_
                                        ; -- End function
	.section	.AMDGPU.csdata,"",@progbits
; Kernel info:
; codeLenInByte = 0
; NumSgprs: 4
; NumVgprs: 0
; NumAgprs: 0
; TotalNumVgprs: 0
; ScratchSize: 0
; MemoryBound: 0
; FloatMode: 240
; IeeeMode: 1
; LDSByteSize: 0 bytes/workgroup (compile time only)
; SGPRBlocks: 0
; VGPRBlocks: 0
; NumSGPRsForWavesPerEU: 4
; NumVGPRsForWavesPerEU: 1
; AccumOffset: 4
; Occupancy: 8
; WaveLimiterHint : 0
; COMPUTE_PGM_RSRC2:SCRATCH_EN: 0
; COMPUTE_PGM_RSRC2:USER_SGPR: 6
; COMPUTE_PGM_RSRC2:TRAP_HANDLER: 0
; COMPUTE_PGM_RSRC2:TGID_X_EN: 1
; COMPUTE_PGM_RSRC2:TGID_Y_EN: 0
; COMPUTE_PGM_RSRC2:TGID_Z_EN: 0
; COMPUTE_PGM_RSRC2:TIDIG_COMP_CNT: 0
; COMPUTE_PGM_RSRC3_GFX90A:ACCUM_OFFSET: 0
; COMPUTE_PGM_RSRC3_GFX90A:TG_SPLIT: 0
	.section	.text._ZN7rocprim17ROCPRIM_400000_NS6detail17trampoline_kernelINS0_14default_configENS1_20scan_config_selectorIyEEZZNS1_9scan_implILNS1_25lookback_scan_determinismE0ELb1ELb1ES3_N6thrust23THRUST_200600_302600_NS6detail15normal_iteratorINS9_10device_ptrIyEEEESE_yNS9_4plusIvEEyEEDaPvRmT3_T4_T5_mT6_P12ihipStream_tbENKUlT_T0_E_clISt17integral_constantIbLb1EEST_IbLb0EEEEDaSP_SQ_EUlSP_E0_NS1_11comp_targetILNS1_3genE4ELNS1_11target_archE910ELNS1_3gpuE8ELNS1_3repE0EEENS1_30default_config_static_selectorELNS0_4arch9wavefront6targetE1EEEvT1_,"axG",@progbits,_ZN7rocprim17ROCPRIM_400000_NS6detail17trampoline_kernelINS0_14default_configENS1_20scan_config_selectorIyEEZZNS1_9scan_implILNS1_25lookback_scan_determinismE0ELb1ELb1ES3_N6thrust23THRUST_200600_302600_NS6detail15normal_iteratorINS9_10device_ptrIyEEEESE_yNS9_4plusIvEEyEEDaPvRmT3_T4_T5_mT6_P12ihipStream_tbENKUlT_T0_E_clISt17integral_constantIbLb1EEST_IbLb0EEEEDaSP_SQ_EUlSP_E0_NS1_11comp_targetILNS1_3genE4ELNS1_11target_archE910ELNS1_3gpuE8ELNS1_3repE0EEENS1_30default_config_static_selectorELNS0_4arch9wavefront6targetE1EEEvT1_,comdat
	.protected	_ZN7rocprim17ROCPRIM_400000_NS6detail17trampoline_kernelINS0_14default_configENS1_20scan_config_selectorIyEEZZNS1_9scan_implILNS1_25lookback_scan_determinismE0ELb1ELb1ES3_N6thrust23THRUST_200600_302600_NS6detail15normal_iteratorINS9_10device_ptrIyEEEESE_yNS9_4plusIvEEyEEDaPvRmT3_T4_T5_mT6_P12ihipStream_tbENKUlT_T0_E_clISt17integral_constantIbLb1EEST_IbLb0EEEEDaSP_SQ_EUlSP_E0_NS1_11comp_targetILNS1_3genE4ELNS1_11target_archE910ELNS1_3gpuE8ELNS1_3repE0EEENS1_30default_config_static_selectorELNS0_4arch9wavefront6targetE1EEEvT1_ ; -- Begin function _ZN7rocprim17ROCPRIM_400000_NS6detail17trampoline_kernelINS0_14default_configENS1_20scan_config_selectorIyEEZZNS1_9scan_implILNS1_25lookback_scan_determinismE0ELb1ELb1ES3_N6thrust23THRUST_200600_302600_NS6detail15normal_iteratorINS9_10device_ptrIyEEEESE_yNS9_4plusIvEEyEEDaPvRmT3_T4_T5_mT6_P12ihipStream_tbENKUlT_T0_E_clISt17integral_constantIbLb1EEST_IbLb0EEEEDaSP_SQ_EUlSP_E0_NS1_11comp_targetILNS1_3genE4ELNS1_11target_archE910ELNS1_3gpuE8ELNS1_3repE0EEENS1_30default_config_static_selectorELNS0_4arch9wavefront6targetE1EEEvT1_
	.globl	_ZN7rocprim17ROCPRIM_400000_NS6detail17trampoline_kernelINS0_14default_configENS1_20scan_config_selectorIyEEZZNS1_9scan_implILNS1_25lookback_scan_determinismE0ELb1ELb1ES3_N6thrust23THRUST_200600_302600_NS6detail15normal_iteratorINS9_10device_ptrIyEEEESE_yNS9_4plusIvEEyEEDaPvRmT3_T4_T5_mT6_P12ihipStream_tbENKUlT_T0_E_clISt17integral_constantIbLb1EEST_IbLb0EEEEDaSP_SQ_EUlSP_E0_NS1_11comp_targetILNS1_3genE4ELNS1_11target_archE910ELNS1_3gpuE8ELNS1_3repE0EEENS1_30default_config_static_selectorELNS0_4arch9wavefront6targetE1EEEvT1_
	.p2align	8
	.type	_ZN7rocprim17ROCPRIM_400000_NS6detail17trampoline_kernelINS0_14default_configENS1_20scan_config_selectorIyEEZZNS1_9scan_implILNS1_25lookback_scan_determinismE0ELb1ELb1ES3_N6thrust23THRUST_200600_302600_NS6detail15normal_iteratorINS9_10device_ptrIyEEEESE_yNS9_4plusIvEEyEEDaPvRmT3_T4_T5_mT6_P12ihipStream_tbENKUlT_T0_E_clISt17integral_constantIbLb1EEST_IbLb0EEEEDaSP_SQ_EUlSP_E0_NS1_11comp_targetILNS1_3genE4ELNS1_11target_archE910ELNS1_3gpuE8ELNS1_3repE0EEENS1_30default_config_static_selectorELNS0_4arch9wavefront6targetE1EEEvT1_,@function
_ZN7rocprim17ROCPRIM_400000_NS6detail17trampoline_kernelINS0_14default_configENS1_20scan_config_selectorIyEEZZNS1_9scan_implILNS1_25lookback_scan_determinismE0ELb1ELb1ES3_N6thrust23THRUST_200600_302600_NS6detail15normal_iteratorINS9_10device_ptrIyEEEESE_yNS9_4plusIvEEyEEDaPvRmT3_T4_T5_mT6_P12ihipStream_tbENKUlT_T0_E_clISt17integral_constantIbLb1EEST_IbLb0EEEEDaSP_SQ_EUlSP_E0_NS1_11comp_targetILNS1_3genE4ELNS1_11target_archE910ELNS1_3gpuE8ELNS1_3repE0EEENS1_30default_config_static_selectorELNS0_4arch9wavefront6targetE1EEEvT1_: ; @_ZN7rocprim17ROCPRIM_400000_NS6detail17trampoline_kernelINS0_14default_configENS1_20scan_config_selectorIyEEZZNS1_9scan_implILNS1_25lookback_scan_determinismE0ELb1ELb1ES3_N6thrust23THRUST_200600_302600_NS6detail15normal_iteratorINS9_10device_ptrIyEEEESE_yNS9_4plusIvEEyEEDaPvRmT3_T4_T5_mT6_P12ihipStream_tbENKUlT_T0_E_clISt17integral_constantIbLb1EEST_IbLb0EEEEDaSP_SQ_EUlSP_E0_NS1_11comp_targetILNS1_3genE4ELNS1_11target_archE910ELNS1_3gpuE8ELNS1_3repE0EEENS1_30default_config_static_selectorELNS0_4arch9wavefront6targetE1EEEvT1_
; %bb.0:
	s_load_dwordx4 s[16:19], s[4:5], 0x0
	v_lshlrev_b32_e32 v20, 3, v0
	s_waitcnt lgkmcnt(0)
	s_load_dwordx2 s[14:15], s[16:17], 0x0
	v_cmp_gt_u32_e32 vcc, s18, v0
	s_waitcnt lgkmcnt(0)
	v_pk_mov_b32 v[2:3], s[14:15], s[14:15] op_sel:[0,1]
	s_and_saveexec_b64 s[0:1], vcc
	s_cbranch_execz .LBB4549_2
; %bb.1:
	global_load_dwordx2 v[2:3], v20, s[16:17]
.LBB4549_2:
	s_or_b64 exec, exec, s[0:1]
	v_or_b32_e32 v1, 0x80, v0
	v_cmp_gt_u32_e64 s[0:1], s18, v1
	v_pk_mov_b32 v[4:5], s[14:15], s[14:15] op_sel:[0,1]
	s_and_saveexec_b64 s[2:3], s[0:1]
	s_cbranch_execz .LBB4549_4
; %bb.3:
	global_load_dwordx2 v[4:5], v20, s[16:17] offset:1024
.LBB4549_4:
	s_or_b64 exec, exec, s[2:3]
	v_or_b32_e32 v1, 0x100, v0
	v_cmp_gt_u32_e64 s[2:3], s18, v1
	v_pk_mov_b32 v[6:7], s[14:15], s[14:15] op_sel:[0,1]
	s_and_saveexec_b64 s[6:7], s[2:3]
	s_cbranch_execz .LBB4549_6
; %bb.5:
	global_load_dwordx2 v[6:7], v20, s[16:17] offset:2048
.LBB4549_6:
	;; [unrolled: 9-line block ×3, first 2 shown]
	s_or_b64 exec, exec, s[6:7]
	v_or_b32_e32 v1, 0x200, v0
	v_cmp_gt_u32_e64 s[6:7], s18, v1
	v_pk_mov_b32 v[10:11], s[14:15], s[14:15] op_sel:[0,1]
	s_and_saveexec_b64 s[8:9], s[6:7]
	s_cbranch_execz .LBB4549_10
; %bb.9:
	v_lshlrev_b32_e32 v1, 3, v1
	global_load_dwordx2 v[10:11], v1, s[16:17]
.LBB4549_10:
	s_or_b64 exec, exec, s[8:9]
	v_or_b32_e32 v1, 0x280, v0
	v_cmp_gt_u32_e64 s[8:9], s18, v1
	v_pk_mov_b32 v[12:13], s[14:15], s[14:15] op_sel:[0,1]
	s_and_saveexec_b64 s[10:11], s[8:9]
	s_cbranch_execz .LBB4549_12
; %bb.11:
	v_lshlrev_b32_e32 v1, 3, v1
	global_load_dwordx2 v[12:13], v1, s[16:17]
.LBB4549_12:
	s_or_b64 exec, exec, s[10:11]
	s_load_dwordx2 s[20:21], s[4:5], 0x10
	v_or_b32_e32 v1, 0x300, v0
	v_cmp_gt_u32_e64 s[10:11], s18, v1
	v_pk_mov_b32 v[14:15], s[14:15], s[14:15] op_sel:[0,1]
	s_and_saveexec_b64 s[14:15], s[10:11]
	s_cbranch_execz .LBB4549_14
; %bb.13:
	v_lshlrev_b32_e32 v1, 3, v1
	global_load_dwordx2 v[14:15], v1, s[16:17]
.LBB4549_14:
	s_or_b64 exec, exec, s[14:15]
	v_mad_u32_u24 v1, v0, 48, v20
	s_waitcnt vmcnt(0)
	ds_write2st64_b64 v20, v[2:3], v[4:5] offset1:2
	ds_write2st64_b64 v20, v[6:7], v[8:9] offset0:4 offset1:6
	ds_write2st64_b64 v20, v[10:11], v[12:13] offset0:8 offset1:10
	ds_write_b64 v20, v[14:15] offset:6144
	s_waitcnt lgkmcnt(0)
	s_barrier
	ds_read2_b64 v[2:5], v1 offset1:1
	ds_read2_b64 v[6:9], v1 offset0:2 offset1:3
	ds_read2_b64 v[10:13], v1 offset0:4 offset1:5
	ds_read_b64 v[14:15], v1 offset:48
	s_load_dwordx2 s[16:17], s[4:5], 0x20
	s_waitcnt lgkmcnt(0)
	v_add_co_u32_e64 v1, s[4:5], v4, v2
	v_addc_co_u32_e64 v16, s[4:5], v5, v3, s[4:5]
	v_add_co_u32_e64 v1, s[4:5], v1, v6
	v_addc_co_u32_e64 v16, s[4:5], v16, v7, s[4:5]
	;; [unrolled: 2-line block ×5, first 2 shown]
	v_add_co_u32_e64 v18, s[4:5], v1, v14
	v_lshrrev_b32_e32 v1, 2, v0
	v_addc_co_u32_e64 v19, s[4:5], v16, v15, s[4:5]
	v_and_b32_e32 v1, 24, v1
	v_add_u32_e32 v1, v20, v1
	v_cmp_gt_u32_e64 s[4:5], 64, v0
	s_barrier
	ds_write_b64 v1, v[18:19]
	s_waitcnt lgkmcnt(0)
	s_barrier
	s_and_saveexec_b64 s[18:19], s[4:5]
	s_cbranch_execz .LBB4549_18
; %bb.15:
	v_lshlrev_b32_e32 v1, 1, v0
	v_lshrrev_b32_e32 v14, 4, v0
	v_add_lshl_u32 v21, v14, v1, 3
	ds_read2_b64 v[14:17], v21 offset1:1
	v_mbcnt_lo_u32_b32 v1, -1, 0
	s_waitcnt lgkmcnt(0)
	v_add_co_u32_e64 v22, s[4:5], v16, v14
	v_addc_co_u32_e64 v23, s[4:5], v17, v15, s[4:5]
	s_nop 0
	v_mov_b32_dpp v16, v22 row_shr:1 row_mask:0xf bank_mask:0xf
	v_add_co_u32_e64 v16, s[4:5], v22, v16
	v_addc_co_u32_e64 v25, s[4:5], 0, v23, s[4:5]
	v_mbcnt_hi_u32_b32 v17, -1, v1
	v_mov_b32_dpp v24, v23 row_shr:1 row_mask:0xf bank_mask:0xf
	v_add_co_u32_e64 v26, s[4:5], 0, v16
	v_and_b32_e32 v1, 15, v17
	v_addc_co_u32_e64 v24, s[4:5], v24, v25, s[4:5]
	v_cmp_eq_u32_e64 s[4:5], 0, v1
	v_cndmask_b32_e64 v16, v16, v22, s[4:5]
	v_cndmask_b32_e64 v24, v24, v23, s[4:5]
	v_cndmask_b32_e64 v25, v26, v22, s[4:5]
	v_mov_b32_dpp v26, v16 row_shr:2 row_mask:0xf bank_mask:0xf
	v_mov_b32_dpp v27, v24 row_shr:2 row_mask:0xf bank_mask:0xf
	v_add_co_u32_e64 v26, s[4:5], v26, v25
	v_addc_co_u32_e64 v27, s[4:5], v27, v24, s[4:5]
	v_cmp_lt_u32_e64 s[4:5], 1, v1
	v_cndmask_b32_e64 v16, v16, v26, s[4:5]
	v_cndmask_b32_e64 v24, v24, v27, s[4:5]
	v_cndmask_b32_e64 v25, v25, v26, s[4:5]
	v_mov_b32_dpp v26, v16 row_shr:4 row_mask:0xf bank_mask:0xf
	v_mov_b32_dpp v27, v24 row_shr:4 row_mask:0xf bank_mask:0xf
	v_add_co_u32_e64 v26, s[4:5], v26, v25
	v_addc_co_u32_e64 v27, s[4:5], v27, v24, s[4:5]
	v_cmp_lt_u32_e64 s[4:5], 3, v1
	;; [unrolled: 8-line block ×3, first 2 shown]
	v_cndmask_b32_e64 v28, v16, v26, s[4:5]
	v_cndmask_b32_e64 v1, v24, v27, s[4:5]
	;; [unrolled: 1-line block ×3, first 2 shown]
	v_mov_b32_dpp v24, v28 row_bcast:15 row_mask:0xf bank_mask:0xf
	v_mov_b32_dpp v25, v1 row_bcast:15 row_mask:0xf bank_mask:0xf
	v_add_co_u32_e64 v24, s[4:5], v24, v16
	v_and_b32_e32 v27, 16, v17
	v_addc_co_u32_e64 v26, s[4:5], v25, v1, s[4:5]
	v_cmp_eq_u32_e64 s[4:5], 0, v27
	v_cndmask_b32_e64 v27, v26, v1, s[4:5]
	v_cndmask_b32_e64 v25, v24, v28, s[4:5]
	v_cmp_ne_u32_e64 s[14:15], 0, v17
	v_mov_b32_dpp v27, v27 row_bcast:31 row_mask:0xf bank_mask:0xf
	v_mov_b32_dpp v25, v25 row_bcast:31 row_mask:0xf bank_mask:0xf
	s_and_saveexec_b64 s[22:23], s[14:15]
; %bb.16:
	v_cndmask_b32_e64 v1, v26, v1, s[4:5]
	v_cndmask_b32_e64 v16, v24, v16, s[4:5]
	v_cmp_lt_u32_e64 s[4:5], 31, v17
	v_cndmask_b32_e64 v22, 0, v25, s[4:5]
	v_cndmask_b32_e64 v23, 0, v27, s[4:5]
	v_add_co_u32_e64 v22, s[4:5], v22, v16
	v_addc_co_u32_e64 v23, s[4:5], v23, v1, s[4:5]
; %bb.17:
	s_or_b64 exec, exec, s[22:23]
	v_add_u32_e32 v1, -1, v17
	v_and_b32_e32 v16, 64, v17
	v_cmp_lt_i32_e64 s[4:5], v1, v16
	v_cndmask_b32_e64 v1, v1, v17, s[4:5]
	v_lshlrev_b32_e32 v1, 2, v1
	ds_bpermute_b32 v16, v1, v22
	ds_bpermute_b32 v1, v1, v23
	; wave barrier
	s_waitcnt lgkmcnt(1)
	v_add_co_u32_e64 v14, s[4:5], v14, v16
	v_addc_co_u32_e64 v15, s[4:5], 0, v15, s[4:5]
	v_add_co_u32_e64 v14, s[4:5], 0, v14
	s_waitcnt lgkmcnt(0)
	v_addc_co_u32_e64 v1, s[4:5], v15, v1, s[4:5]
	v_cmp_eq_u32_e64 s[4:5], 0, v0
	v_cndmask_b32_e64 v15, v1, v19, s[4:5]
	v_cndmask_b32_e64 v14, v14, v18, s[4:5]
	ds_write_b64 v21, v[14:15]
	; wave barrier
	ds_read_b64 v[16:17], v21 offset:8
	s_waitcnt lgkmcnt(0)
	v_add_co_u32_e64 v14, s[4:5], v16, v14
	v_addc_co_u32_e64 v15, s[4:5], v17, v15, s[4:5]
	ds_write_b64 v21, v[14:15] offset:8
.LBB4549_18:
	s_or_b64 exec, exec, s[18:19]
	v_mul_u32_u24_e32 v1, 48, v0
	v_cmp_ne_u32_e64 s[4:5], 0, v0
	v_pk_mov_b32 v[14:15], s[20:21], s[20:21] op_sel:[0,1]
	s_waitcnt lgkmcnt(0)
	s_barrier
	s_and_saveexec_b64 s[14:15], s[4:5]
	s_cbranch_execz .LBB4549_20
; %bb.19:
	v_add_u32_e32 v0, -1, v0
	v_lshrrev_b32_e32 v14, 5, v0
	v_add_lshl_u32 v0, v14, v0, 3
	ds_read_b64 v[14:15], v0
	v_mov_b32_e32 v0, s21
	s_waitcnt lgkmcnt(0)
	v_add_co_u32_e64 v14, s[4:5], s20, v14
	v_addc_co_u32_e64 v15, s[4:5], v15, v0, s[4:5]
.LBB4549_20:
	s_or_b64 exec, exec, s[14:15]
	v_add_co_u32_e64 v2, s[4:5], v14, v2
	v_addc_co_u32_e64 v3, s[4:5], v15, v3, s[4:5]
	v_add_co_u32_e64 v4, s[4:5], v2, v4
	v_addc_co_u32_e64 v5, s[4:5], v3, v5, s[4:5]
	;; [unrolled: 2-line block ×5, first 2 shown]
	v_add_co_u32_e64 v12, s[4:5], v10, v12
	v_add_u32_e32 v0, v20, v1
	v_addc_co_u32_e64 v13, s[4:5], v11, v13, s[4:5]
	s_barrier
	ds_write2_b64 v0, v[14:15], v[2:3] offset1:1
	ds_write2_b64 v0, v[4:5], v[6:7] offset0:2 offset1:3
	ds_write2_b64 v0, v[8:9], v[10:11] offset0:4 offset1:5
	ds_write_b64 v0, v[12:13] offset:48
	s_waitcnt lgkmcnt(0)
	s_barrier
	ds_read2st64_b64 v[8:11], v20 offset0:2 offset1:4
	ds_read2st64_b64 v[4:7], v20 offset0:6 offset1:8
	;; [unrolled: 1-line block ×3, first 2 shown]
	v_mov_b32_e32 v13, s17
	v_add_co_u32_e64 v12, s[4:5], s16, v20
	v_addc_co_u32_e64 v13, s[4:5], 0, v13, s[4:5]
	s_and_saveexec_b64 s[4:5], vcc
	s_cbranch_execnz .LBB4549_28
; %bb.21:
	s_or_b64 exec, exec, s[4:5]
	s_and_saveexec_b64 s[4:5], s[0:1]
	s_cbranch_execnz .LBB4549_29
.LBB4549_22:
	s_or_b64 exec, exec, s[4:5]
	s_and_saveexec_b64 s[0:1], s[2:3]
	s_cbranch_execnz .LBB4549_30
.LBB4549_23:
	s_or_b64 exec, exec, s[0:1]
	s_and_saveexec_b64 s[0:1], s[12:13]
	s_cbranch_execnz .LBB4549_31
.LBB4549_24:
	s_or_b64 exec, exec, s[0:1]
	s_and_saveexec_b64 s[0:1], s[6:7]
	s_cbranch_execnz .LBB4549_32
.LBB4549_25:
	s_or_b64 exec, exec, s[0:1]
	s_and_saveexec_b64 s[0:1], s[8:9]
	s_cbranch_execnz .LBB4549_33
.LBB4549_26:
	s_or_b64 exec, exec, s[0:1]
	s_and_saveexec_b64 s[0:1], s[10:11]
	s_cbranch_execnz .LBB4549_34
.LBB4549_27:
	s_endpgm
.LBB4549_28:
	ds_read_b64 v[14:15], v20
	s_waitcnt lgkmcnt(0)
	global_store_dwordx2 v[12:13], v[14:15], off
	s_or_b64 exec, exec, s[4:5]
	s_and_saveexec_b64 s[4:5], s[0:1]
	s_cbranch_execz .LBB4549_22
.LBB4549_29:
	s_waitcnt lgkmcnt(2)
	global_store_dwordx2 v[12:13], v[8:9], off offset:1024
	s_or_b64 exec, exec, s[4:5]
	s_and_saveexec_b64 s[0:1], s[2:3]
	s_cbranch_execz .LBB4549_23
.LBB4549_30:
	s_waitcnt lgkmcnt(2)
	global_store_dwordx2 v[12:13], v[10:11], off offset:2048
	s_or_b64 exec, exec, s[0:1]
	s_and_saveexec_b64 s[0:1], s[12:13]
	s_cbranch_execz .LBB4549_24
.LBB4549_31:
	s_waitcnt lgkmcnt(1)
	global_store_dwordx2 v[12:13], v[4:5], off offset:3072
	s_or_b64 exec, exec, s[0:1]
	s_and_saveexec_b64 s[0:1], s[6:7]
	s_cbranch_execz .LBB4549_25
.LBB4549_32:
	s_waitcnt lgkmcnt(1)
	v_add_co_u32_e32 v4, vcc, 0x1000, v12
	v_addc_co_u32_e32 v5, vcc, 0, v13, vcc
	global_store_dwordx2 v[4:5], v[6:7], off
	s_or_b64 exec, exec, s[0:1]
	s_and_saveexec_b64 s[0:1], s[8:9]
	s_cbranch_execz .LBB4549_26
.LBB4549_33:
	s_waitcnt lgkmcnt(1)
	v_add_co_u32_e32 v4, vcc, 0x1000, v12
	v_addc_co_u32_e32 v5, vcc, 0, v13, vcc
	s_waitcnt lgkmcnt(0)
	global_store_dwordx2 v[4:5], v[0:1], off offset:1024
	s_or_b64 exec, exec, s[0:1]
	s_and_saveexec_b64 s[0:1], s[10:11]
	s_cbranch_execz .LBB4549_27
.LBB4549_34:
	s_waitcnt lgkmcnt(0)
	v_add_co_u32_e32 v0, vcc, 0x1000, v12
	v_addc_co_u32_e32 v1, vcc, 0, v13, vcc
	global_store_dwordx2 v[0:1], v[2:3], off offset:2048
	s_endpgm
	.section	.rodata,"a",@progbits
	.p2align	6, 0x0
	.amdhsa_kernel _ZN7rocprim17ROCPRIM_400000_NS6detail17trampoline_kernelINS0_14default_configENS1_20scan_config_selectorIyEEZZNS1_9scan_implILNS1_25lookback_scan_determinismE0ELb1ELb1ES3_N6thrust23THRUST_200600_302600_NS6detail15normal_iteratorINS9_10device_ptrIyEEEESE_yNS9_4plusIvEEyEEDaPvRmT3_T4_T5_mT6_P12ihipStream_tbENKUlT_T0_E_clISt17integral_constantIbLb1EEST_IbLb0EEEEDaSP_SQ_EUlSP_E0_NS1_11comp_targetILNS1_3genE4ELNS1_11target_archE910ELNS1_3gpuE8ELNS1_3repE0EEENS1_30default_config_static_selectorELNS0_4arch9wavefront6targetE1EEEvT1_
		.amdhsa_group_segment_fixed_size 7168
		.amdhsa_private_segment_fixed_size 0
		.amdhsa_kernarg_size 40
		.amdhsa_user_sgpr_count 6
		.amdhsa_user_sgpr_private_segment_buffer 1
		.amdhsa_user_sgpr_dispatch_ptr 0
		.amdhsa_user_sgpr_queue_ptr 0
		.amdhsa_user_sgpr_kernarg_segment_ptr 1
		.amdhsa_user_sgpr_dispatch_id 0
		.amdhsa_user_sgpr_flat_scratch_init 0
		.amdhsa_user_sgpr_kernarg_preload_length 0
		.amdhsa_user_sgpr_kernarg_preload_offset 0
		.amdhsa_user_sgpr_private_segment_size 0
		.amdhsa_uses_dynamic_stack 0
		.amdhsa_system_sgpr_private_segment_wavefront_offset 0
		.amdhsa_system_sgpr_workgroup_id_x 1
		.amdhsa_system_sgpr_workgroup_id_y 0
		.amdhsa_system_sgpr_workgroup_id_z 0
		.amdhsa_system_sgpr_workgroup_info 0
		.amdhsa_system_vgpr_workitem_id 0
		.amdhsa_next_free_vgpr 29
		.amdhsa_next_free_sgpr 24
		.amdhsa_accum_offset 32
		.amdhsa_reserve_vcc 1
		.amdhsa_reserve_flat_scratch 0
		.amdhsa_float_round_mode_32 0
		.amdhsa_float_round_mode_16_64 0
		.amdhsa_float_denorm_mode_32 3
		.amdhsa_float_denorm_mode_16_64 3
		.amdhsa_dx10_clamp 1
		.amdhsa_ieee_mode 1
		.amdhsa_fp16_overflow 0
		.amdhsa_tg_split 0
		.amdhsa_exception_fp_ieee_invalid_op 0
		.amdhsa_exception_fp_denorm_src 0
		.amdhsa_exception_fp_ieee_div_zero 0
		.amdhsa_exception_fp_ieee_overflow 0
		.amdhsa_exception_fp_ieee_underflow 0
		.amdhsa_exception_fp_ieee_inexact 0
		.amdhsa_exception_int_div_zero 0
	.end_amdhsa_kernel
	.section	.text._ZN7rocprim17ROCPRIM_400000_NS6detail17trampoline_kernelINS0_14default_configENS1_20scan_config_selectorIyEEZZNS1_9scan_implILNS1_25lookback_scan_determinismE0ELb1ELb1ES3_N6thrust23THRUST_200600_302600_NS6detail15normal_iteratorINS9_10device_ptrIyEEEESE_yNS9_4plusIvEEyEEDaPvRmT3_T4_T5_mT6_P12ihipStream_tbENKUlT_T0_E_clISt17integral_constantIbLb1EEST_IbLb0EEEEDaSP_SQ_EUlSP_E0_NS1_11comp_targetILNS1_3genE4ELNS1_11target_archE910ELNS1_3gpuE8ELNS1_3repE0EEENS1_30default_config_static_selectorELNS0_4arch9wavefront6targetE1EEEvT1_,"axG",@progbits,_ZN7rocprim17ROCPRIM_400000_NS6detail17trampoline_kernelINS0_14default_configENS1_20scan_config_selectorIyEEZZNS1_9scan_implILNS1_25lookback_scan_determinismE0ELb1ELb1ES3_N6thrust23THRUST_200600_302600_NS6detail15normal_iteratorINS9_10device_ptrIyEEEESE_yNS9_4plusIvEEyEEDaPvRmT3_T4_T5_mT6_P12ihipStream_tbENKUlT_T0_E_clISt17integral_constantIbLb1EEST_IbLb0EEEEDaSP_SQ_EUlSP_E0_NS1_11comp_targetILNS1_3genE4ELNS1_11target_archE910ELNS1_3gpuE8ELNS1_3repE0EEENS1_30default_config_static_selectorELNS0_4arch9wavefront6targetE1EEEvT1_,comdat
.Lfunc_end4549:
	.size	_ZN7rocprim17ROCPRIM_400000_NS6detail17trampoline_kernelINS0_14default_configENS1_20scan_config_selectorIyEEZZNS1_9scan_implILNS1_25lookback_scan_determinismE0ELb1ELb1ES3_N6thrust23THRUST_200600_302600_NS6detail15normal_iteratorINS9_10device_ptrIyEEEESE_yNS9_4plusIvEEyEEDaPvRmT3_T4_T5_mT6_P12ihipStream_tbENKUlT_T0_E_clISt17integral_constantIbLb1EEST_IbLb0EEEEDaSP_SQ_EUlSP_E0_NS1_11comp_targetILNS1_3genE4ELNS1_11target_archE910ELNS1_3gpuE8ELNS1_3repE0EEENS1_30default_config_static_selectorELNS0_4arch9wavefront6targetE1EEEvT1_, .Lfunc_end4549-_ZN7rocprim17ROCPRIM_400000_NS6detail17trampoline_kernelINS0_14default_configENS1_20scan_config_selectorIyEEZZNS1_9scan_implILNS1_25lookback_scan_determinismE0ELb1ELb1ES3_N6thrust23THRUST_200600_302600_NS6detail15normal_iteratorINS9_10device_ptrIyEEEESE_yNS9_4plusIvEEyEEDaPvRmT3_T4_T5_mT6_P12ihipStream_tbENKUlT_T0_E_clISt17integral_constantIbLb1EEST_IbLb0EEEEDaSP_SQ_EUlSP_E0_NS1_11comp_targetILNS1_3genE4ELNS1_11target_archE910ELNS1_3gpuE8ELNS1_3repE0EEENS1_30default_config_static_selectorELNS0_4arch9wavefront6targetE1EEEvT1_
                                        ; -- End function
	.section	.AMDGPU.csdata,"",@progbits
; Kernel info:
; codeLenInByte = 1796
; NumSgprs: 28
; NumVgprs: 29
; NumAgprs: 0
; TotalNumVgprs: 29
; ScratchSize: 0
; MemoryBound: 0
; FloatMode: 240
; IeeeMode: 1
; LDSByteSize: 7168 bytes/workgroup (compile time only)
; SGPRBlocks: 3
; VGPRBlocks: 3
; NumSGPRsForWavesPerEU: 28
; NumVGPRsForWavesPerEU: 29
; AccumOffset: 32
; Occupancy: 5
; WaveLimiterHint : 0
; COMPUTE_PGM_RSRC2:SCRATCH_EN: 0
; COMPUTE_PGM_RSRC2:USER_SGPR: 6
; COMPUTE_PGM_RSRC2:TRAP_HANDLER: 0
; COMPUTE_PGM_RSRC2:TGID_X_EN: 1
; COMPUTE_PGM_RSRC2:TGID_Y_EN: 0
; COMPUTE_PGM_RSRC2:TGID_Z_EN: 0
; COMPUTE_PGM_RSRC2:TIDIG_COMP_CNT: 0
; COMPUTE_PGM_RSRC3_GFX90A:ACCUM_OFFSET: 7
; COMPUTE_PGM_RSRC3_GFX90A:TG_SPLIT: 0
	.section	.text._ZN7rocprim17ROCPRIM_400000_NS6detail17trampoline_kernelINS0_14default_configENS1_20scan_config_selectorIyEEZZNS1_9scan_implILNS1_25lookback_scan_determinismE0ELb1ELb1ES3_N6thrust23THRUST_200600_302600_NS6detail15normal_iteratorINS9_10device_ptrIyEEEESE_yNS9_4plusIvEEyEEDaPvRmT3_T4_T5_mT6_P12ihipStream_tbENKUlT_T0_E_clISt17integral_constantIbLb1EEST_IbLb0EEEEDaSP_SQ_EUlSP_E0_NS1_11comp_targetILNS1_3genE3ELNS1_11target_archE908ELNS1_3gpuE7ELNS1_3repE0EEENS1_30default_config_static_selectorELNS0_4arch9wavefront6targetE1EEEvT1_,"axG",@progbits,_ZN7rocprim17ROCPRIM_400000_NS6detail17trampoline_kernelINS0_14default_configENS1_20scan_config_selectorIyEEZZNS1_9scan_implILNS1_25lookback_scan_determinismE0ELb1ELb1ES3_N6thrust23THRUST_200600_302600_NS6detail15normal_iteratorINS9_10device_ptrIyEEEESE_yNS9_4plusIvEEyEEDaPvRmT3_T4_T5_mT6_P12ihipStream_tbENKUlT_T0_E_clISt17integral_constantIbLb1EEST_IbLb0EEEEDaSP_SQ_EUlSP_E0_NS1_11comp_targetILNS1_3genE3ELNS1_11target_archE908ELNS1_3gpuE7ELNS1_3repE0EEENS1_30default_config_static_selectorELNS0_4arch9wavefront6targetE1EEEvT1_,comdat
	.protected	_ZN7rocprim17ROCPRIM_400000_NS6detail17trampoline_kernelINS0_14default_configENS1_20scan_config_selectorIyEEZZNS1_9scan_implILNS1_25lookback_scan_determinismE0ELb1ELb1ES3_N6thrust23THRUST_200600_302600_NS6detail15normal_iteratorINS9_10device_ptrIyEEEESE_yNS9_4plusIvEEyEEDaPvRmT3_T4_T5_mT6_P12ihipStream_tbENKUlT_T0_E_clISt17integral_constantIbLb1EEST_IbLb0EEEEDaSP_SQ_EUlSP_E0_NS1_11comp_targetILNS1_3genE3ELNS1_11target_archE908ELNS1_3gpuE7ELNS1_3repE0EEENS1_30default_config_static_selectorELNS0_4arch9wavefront6targetE1EEEvT1_ ; -- Begin function _ZN7rocprim17ROCPRIM_400000_NS6detail17trampoline_kernelINS0_14default_configENS1_20scan_config_selectorIyEEZZNS1_9scan_implILNS1_25lookback_scan_determinismE0ELb1ELb1ES3_N6thrust23THRUST_200600_302600_NS6detail15normal_iteratorINS9_10device_ptrIyEEEESE_yNS9_4plusIvEEyEEDaPvRmT3_T4_T5_mT6_P12ihipStream_tbENKUlT_T0_E_clISt17integral_constantIbLb1EEST_IbLb0EEEEDaSP_SQ_EUlSP_E0_NS1_11comp_targetILNS1_3genE3ELNS1_11target_archE908ELNS1_3gpuE7ELNS1_3repE0EEENS1_30default_config_static_selectorELNS0_4arch9wavefront6targetE1EEEvT1_
	.globl	_ZN7rocprim17ROCPRIM_400000_NS6detail17trampoline_kernelINS0_14default_configENS1_20scan_config_selectorIyEEZZNS1_9scan_implILNS1_25lookback_scan_determinismE0ELb1ELb1ES3_N6thrust23THRUST_200600_302600_NS6detail15normal_iteratorINS9_10device_ptrIyEEEESE_yNS9_4plusIvEEyEEDaPvRmT3_T4_T5_mT6_P12ihipStream_tbENKUlT_T0_E_clISt17integral_constantIbLb1EEST_IbLb0EEEEDaSP_SQ_EUlSP_E0_NS1_11comp_targetILNS1_3genE3ELNS1_11target_archE908ELNS1_3gpuE7ELNS1_3repE0EEENS1_30default_config_static_selectorELNS0_4arch9wavefront6targetE1EEEvT1_
	.p2align	8
	.type	_ZN7rocprim17ROCPRIM_400000_NS6detail17trampoline_kernelINS0_14default_configENS1_20scan_config_selectorIyEEZZNS1_9scan_implILNS1_25lookback_scan_determinismE0ELb1ELb1ES3_N6thrust23THRUST_200600_302600_NS6detail15normal_iteratorINS9_10device_ptrIyEEEESE_yNS9_4plusIvEEyEEDaPvRmT3_T4_T5_mT6_P12ihipStream_tbENKUlT_T0_E_clISt17integral_constantIbLb1EEST_IbLb0EEEEDaSP_SQ_EUlSP_E0_NS1_11comp_targetILNS1_3genE3ELNS1_11target_archE908ELNS1_3gpuE7ELNS1_3repE0EEENS1_30default_config_static_selectorELNS0_4arch9wavefront6targetE1EEEvT1_,@function
_ZN7rocprim17ROCPRIM_400000_NS6detail17trampoline_kernelINS0_14default_configENS1_20scan_config_selectorIyEEZZNS1_9scan_implILNS1_25lookback_scan_determinismE0ELb1ELb1ES3_N6thrust23THRUST_200600_302600_NS6detail15normal_iteratorINS9_10device_ptrIyEEEESE_yNS9_4plusIvEEyEEDaPvRmT3_T4_T5_mT6_P12ihipStream_tbENKUlT_T0_E_clISt17integral_constantIbLb1EEST_IbLb0EEEEDaSP_SQ_EUlSP_E0_NS1_11comp_targetILNS1_3genE3ELNS1_11target_archE908ELNS1_3gpuE7ELNS1_3repE0EEENS1_30default_config_static_selectorELNS0_4arch9wavefront6targetE1EEEvT1_: ; @_ZN7rocprim17ROCPRIM_400000_NS6detail17trampoline_kernelINS0_14default_configENS1_20scan_config_selectorIyEEZZNS1_9scan_implILNS1_25lookback_scan_determinismE0ELb1ELb1ES3_N6thrust23THRUST_200600_302600_NS6detail15normal_iteratorINS9_10device_ptrIyEEEESE_yNS9_4plusIvEEyEEDaPvRmT3_T4_T5_mT6_P12ihipStream_tbENKUlT_T0_E_clISt17integral_constantIbLb1EEST_IbLb0EEEEDaSP_SQ_EUlSP_E0_NS1_11comp_targetILNS1_3genE3ELNS1_11target_archE908ELNS1_3gpuE7ELNS1_3repE0EEENS1_30default_config_static_selectorELNS0_4arch9wavefront6targetE1EEEvT1_
; %bb.0:
	.section	.rodata,"a",@progbits
	.p2align	6, 0x0
	.amdhsa_kernel _ZN7rocprim17ROCPRIM_400000_NS6detail17trampoline_kernelINS0_14default_configENS1_20scan_config_selectorIyEEZZNS1_9scan_implILNS1_25lookback_scan_determinismE0ELb1ELb1ES3_N6thrust23THRUST_200600_302600_NS6detail15normal_iteratorINS9_10device_ptrIyEEEESE_yNS9_4plusIvEEyEEDaPvRmT3_T4_T5_mT6_P12ihipStream_tbENKUlT_T0_E_clISt17integral_constantIbLb1EEST_IbLb0EEEEDaSP_SQ_EUlSP_E0_NS1_11comp_targetILNS1_3genE3ELNS1_11target_archE908ELNS1_3gpuE7ELNS1_3repE0EEENS1_30default_config_static_selectorELNS0_4arch9wavefront6targetE1EEEvT1_
		.amdhsa_group_segment_fixed_size 0
		.amdhsa_private_segment_fixed_size 0
		.amdhsa_kernarg_size 40
		.amdhsa_user_sgpr_count 6
		.amdhsa_user_sgpr_private_segment_buffer 1
		.amdhsa_user_sgpr_dispatch_ptr 0
		.amdhsa_user_sgpr_queue_ptr 0
		.amdhsa_user_sgpr_kernarg_segment_ptr 1
		.amdhsa_user_sgpr_dispatch_id 0
		.amdhsa_user_sgpr_flat_scratch_init 0
		.amdhsa_user_sgpr_kernarg_preload_length 0
		.amdhsa_user_sgpr_kernarg_preload_offset 0
		.amdhsa_user_sgpr_private_segment_size 0
		.amdhsa_uses_dynamic_stack 0
		.amdhsa_system_sgpr_private_segment_wavefront_offset 0
		.amdhsa_system_sgpr_workgroup_id_x 1
		.amdhsa_system_sgpr_workgroup_id_y 0
		.amdhsa_system_sgpr_workgroup_id_z 0
		.amdhsa_system_sgpr_workgroup_info 0
		.amdhsa_system_vgpr_workitem_id 0
		.amdhsa_next_free_vgpr 1
		.amdhsa_next_free_sgpr 0
		.amdhsa_accum_offset 4
		.amdhsa_reserve_vcc 0
		.amdhsa_reserve_flat_scratch 0
		.amdhsa_float_round_mode_32 0
		.amdhsa_float_round_mode_16_64 0
		.amdhsa_float_denorm_mode_32 3
		.amdhsa_float_denorm_mode_16_64 3
		.amdhsa_dx10_clamp 1
		.amdhsa_ieee_mode 1
		.amdhsa_fp16_overflow 0
		.amdhsa_tg_split 0
		.amdhsa_exception_fp_ieee_invalid_op 0
		.amdhsa_exception_fp_denorm_src 0
		.amdhsa_exception_fp_ieee_div_zero 0
		.amdhsa_exception_fp_ieee_overflow 0
		.amdhsa_exception_fp_ieee_underflow 0
		.amdhsa_exception_fp_ieee_inexact 0
		.amdhsa_exception_int_div_zero 0
	.end_amdhsa_kernel
	.section	.text._ZN7rocprim17ROCPRIM_400000_NS6detail17trampoline_kernelINS0_14default_configENS1_20scan_config_selectorIyEEZZNS1_9scan_implILNS1_25lookback_scan_determinismE0ELb1ELb1ES3_N6thrust23THRUST_200600_302600_NS6detail15normal_iteratorINS9_10device_ptrIyEEEESE_yNS9_4plusIvEEyEEDaPvRmT3_T4_T5_mT6_P12ihipStream_tbENKUlT_T0_E_clISt17integral_constantIbLb1EEST_IbLb0EEEEDaSP_SQ_EUlSP_E0_NS1_11comp_targetILNS1_3genE3ELNS1_11target_archE908ELNS1_3gpuE7ELNS1_3repE0EEENS1_30default_config_static_selectorELNS0_4arch9wavefront6targetE1EEEvT1_,"axG",@progbits,_ZN7rocprim17ROCPRIM_400000_NS6detail17trampoline_kernelINS0_14default_configENS1_20scan_config_selectorIyEEZZNS1_9scan_implILNS1_25lookback_scan_determinismE0ELb1ELb1ES3_N6thrust23THRUST_200600_302600_NS6detail15normal_iteratorINS9_10device_ptrIyEEEESE_yNS9_4plusIvEEyEEDaPvRmT3_T4_T5_mT6_P12ihipStream_tbENKUlT_T0_E_clISt17integral_constantIbLb1EEST_IbLb0EEEEDaSP_SQ_EUlSP_E0_NS1_11comp_targetILNS1_3genE3ELNS1_11target_archE908ELNS1_3gpuE7ELNS1_3repE0EEENS1_30default_config_static_selectorELNS0_4arch9wavefront6targetE1EEEvT1_,comdat
.Lfunc_end4550:
	.size	_ZN7rocprim17ROCPRIM_400000_NS6detail17trampoline_kernelINS0_14default_configENS1_20scan_config_selectorIyEEZZNS1_9scan_implILNS1_25lookback_scan_determinismE0ELb1ELb1ES3_N6thrust23THRUST_200600_302600_NS6detail15normal_iteratorINS9_10device_ptrIyEEEESE_yNS9_4plusIvEEyEEDaPvRmT3_T4_T5_mT6_P12ihipStream_tbENKUlT_T0_E_clISt17integral_constantIbLb1EEST_IbLb0EEEEDaSP_SQ_EUlSP_E0_NS1_11comp_targetILNS1_3genE3ELNS1_11target_archE908ELNS1_3gpuE7ELNS1_3repE0EEENS1_30default_config_static_selectorELNS0_4arch9wavefront6targetE1EEEvT1_, .Lfunc_end4550-_ZN7rocprim17ROCPRIM_400000_NS6detail17trampoline_kernelINS0_14default_configENS1_20scan_config_selectorIyEEZZNS1_9scan_implILNS1_25lookback_scan_determinismE0ELb1ELb1ES3_N6thrust23THRUST_200600_302600_NS6detail15normal_iteratorINS9_10device_ptrIyEEEESE_yNS9_4plusIvEEyEEDaPvRmT3_T4_T5_mT6_P12ihipStream_tbENKUlT_T0_E_clISt17integral_constantIbLb1EEST_IbLb0EEEEDaSP_SQ_EUlSP_E0_NS1_11comp_targetILNS1_3genE3ELNS1_11target_archE908ELNS1_3gpuE7ELNS1_3repE0EEENS1_30default_config_static_selectorELNS0_4arch9wavefront6targetE1EEEvT1_
                                        ; -- End function
	.section	.AMDGPU.csdata,"",@progbits
; Kernel info:
; codeLenInByte = 0
; NumSgprs: 4
; NumVgprs: 0
; NumAgprs: 0
; TotalNumVgprs: 0
; ScratchSize: 0
; MemoryBound: 0
; FloatMode: 240
; IeeeMode: 1
; LDSByteSize: 0 bytes/workgroup (compile time only)
; SGPRBlocks: 0
; VGPRBlocks: 0
; NumSGPRsForWavesPerEU: 4
; NumVGPRsForWavesPerEU: 1
; AccumOffset: 4
; Occupancy: 8
; WaveLimiterHint : 0
; COMPUTE_PGM_RSRC2:SCRATCH_EN: 0
; COMPUTE_PGM_RSRC2:USER_SGPR: 6
; COMPUTE_PGM_RSRC2:TRAP_HANDLER: 0
; COMPUTE_PGM_RSRC2:TGID_X_EN: 1
; COMPUTE_PGM_RSRC2:TGID_Y_EN: 0
; COMPUTE_PGM_RSRC2:TGID_Z_EN: 0
; COMPUTE_PGM_RSRC2:TIDIG_COMP_CNT: 0
; COMPUTE_PGM_RSRC3_GFX90A:ACCUM_OFFSET: 0
; COMPUTE_PGM_RSRC3_GFX90A:TG_SPLIT: 0
	.section	.text._ZN7rocprim17ROCPRIM_400000_NS6detail17trampoline_kernelINS0_14default_configENS1_20scan_config_selectorIyEEZZNS1_9scan_implILNS1_25lookback_scan_determinismE0ELb1ELb1ES3_N6thrust23THRUST_200600_302600_NS6detail15normal_iteratorINS9_10device_ptrIyEEEESE_yNS9_4plusIvEEyEEDaPvRmT3_T4_T5_mT6_P12ihipStream_tbENKUlT_T0_E_clISt17integral_constantIbLb1EEST_IbLb0EEEEDaSP_SQ_EUlSP_E0_NS1_11comp_targetILNS1_3genE2ELNS1_11target_archE906ELNS1_3gpuE6ELNS1_3repE0EEENS1_30default_config_static_selectorELNS0_4arch9wavefront6targetE1EEEvT1_,"axG",@progbits,_ZN7rocprim17ROCPRIM_400000_NS6detail17trampoline_kernelINS0_14default_configENS1_20scan_config_selectorIyEEZZNS1_9scan_implILNS1_25lookback_scan_determinismE0ELb1ELb1ES3_N6thrust23THRUST_200600_302600_NS6detail15normal_iteratorINS9_10device_ptrIyEEEESE_yNS9_4plusIvEEyEEDaPvRmT3_T4_T5_mT6_P12ihipStream_tbENKUlT_T0_E_clISt17integral_constantIbLb1EEST_IbLb0EEEEDaSP_SQ_EUlSP_E0_NS1_11comp_targetILNS1_3genE2ELNS1_11target_archE906ELNS1_3gpuE6ELNS1_3repE0EEENS1_30default_config_static_selectorELNS0_4arch9wavefront6targetE1EEEvT1_,comdat
	.protected	_ZN7rocprim17ROCPRIM_400000_NS6detail17trampoline_kernelINS0_14default_configENS1_20scan_config_selectorIyEEZZNS1_9scan_implILNS1_25lookback_scan_determinismE0ELb1ELb1ES3_N6thrust23THRUST_200600_302600_NS6detail15normal_iteratorINS9_10device_ptrIyEEEESE_yNS9_4plusIvEEyEEDaPvRmT3_T4_T5_mT6_P12ihipStream_tbENKUlT_T0_E_clISt17integral_constantIbLb1EEST_IbLb0EEEEDaSP_SQ_EUlSP_E0_NS1_11comp_targetILNS1_3genE2ELNS1_11target_archE906ELNS1_3gpuE6ELNS1_3repE0EEENS1_30default_config_static_selectorELNS0_4arch9wavefront6targetE1EEEvT1_ ; -- Begin function _ZN7rocprim17ROCPRIM_400000_NS6detail17trampoline_kernelINS0_14default_configENS1_20scan_config_selectorIyEEZZNS1_9scan_implILNS1_25lookback_scan_determinismE0ELb1ELb1ES3_N6thrust23THRUST_200600_302600_NS6detail15normal_iteratorINS9_10device_ptrIyEEEESE_yNS9_4plusIvEEyEEDaPvRmT3_T4_T5_mT6_P12ihipStream_tbENKUlT_T0_E_clISt17integral_constantIbLb1EEST_IbLb0EEEEDaSP_SQ_EUlSP_E0_NS1_11comp_targetILNS1_3genE2ELNS1_11target_archE906ELNS1_3gpuE6ELNS1_3repE0EEENS1_30default_config_static_selectorELNS0_4arch9wavefront6targetE1EEEvT1_
	.globl	_ZN7rocprim17ROCPRIM_400000_NS6detail17trampoline_kernelINS0_14default_configENS1_20scan_config_selectorIyEEZZNS1_9scan_implILNS1_25lookback_scan_determinismE0ELb1ELb1ES3_N6thrust23THRUST_200600_302600_NS6detail15normal_iteratorINS9_10device_ptrIyEEEESE_yNS9_4plusIvEEyEEDaPvRmT3_T4_T5_mT6_P12ihipStream_tbENKUlT_T0_E_clISt17integral_constantIbLb1EEST_IbLb0EEEEDaSP_SQ_EUlSP_E0_NS1_11comp_targetILNS1_3genE2ELNS1_11target_archE906ELNS1_3gpuE6ELNS1_3repE0EEENS1_30default_config_static_selectorELNS0_4arch9wavefront6targetE1EEEvT1_
	.p2align	8
	.type	_ZN7rocprim17ROCPRIM_400000_NS6detail17trampoline_kernelINS0_14default_configENS1_20scan_config_selectorIyEEZZNS1_9scan_implILNS1_25lookback_scan_determinismE0ELb1ELb1ES3_N6thrust23THRUST_200600_302600_NS6detail15normal_iteratorINS9_10device_ptrIyEEEESE_yNS9_4plusIvEEyEEDaPvRmT3_T4_T5_mT6_P12ihipStream_tbENKUlT_T0_E_clISt17integral_constantIbLb1EEST_IbLb0EEEEDaSP_SQ_EUlSP_E0_NS1_11comp_targetILNS1_3genE2ELNS1_11target_archE906ELNS1_3gpuE6ELNS1_3repE0EEENS1_30default_config_static_selectorELNS0_4arch9wavefront6targetE1EEEvT1_,@function
_ZN7rocprim17ROCPRIM_400000_NS6detail17trampoline_kernelINS0_14default_configENS1_20scan_config_selectorIyEEZZNS1_9scan_implILNS1_25lookback_scan_determinismE0ELb1ELb1ES3_N6thrust23THRUST_200600_302600_NS6detail15normal_iteratorINS9_10device_ptrIyEEEESE_yNS9_4plusIvEEyEEDaPvRmT3_T4_T5_mT6_P12ihipStream_tbENKUlT_T0_E_clISt17integral_constantIbLb1EEST_IbLb0EEEEDaSP_SQ_EUlSP_E0_NS1_11comp_targetILNS1_3genE2ELNS1_11target_archE906ELNS1_3gpuE6ELNS1_3repE0EEENS1_30default_config_static_selectorELNS0_4arch9wavefront6targetE1EEEvT1_: ; @_ZN7rocprim17ROCPRIM_400000_NS6detail17trampoline_kernelINS0_14default_configENS1_20scan_config_selectorIyEEZZNS1_9scan_implILNS1_25lookback_scan_determinismE0ELb1ELb1ES3_N6thrust23THRUST_200600_302600_NS6detail15normal_iteratorINS9_10device_ptrIyEEEESE_yNS9_4plusIvEEyEEDaPvRmT3_T4_T5_mT6_P12ihipStream_tbENKUlT_T0_E_clISt17integral_constantIbLb1EEST_IbLb0EEEEDaSP_SQ_EUlSP_E0_NS1_11comp_targetILNS1_3genE2ELNS1_11target_archE906ELNS1_3gpuE6ELNS1_3repE0EEENS1_30default_config_static_selectorELNS0_4arch9wavefront6targetE1EEEvT1_
; %bb.0:
	.section	.rodata,"a",@progbits
	.p2align	6, 0x0
	.amdhsa_kernel _ZN7rocprim17ROCPRIM_400000_NS6detail17trampoline_kernelINS0_14default_configENS1_20scan_config_selectorIyEEZZNS1_9scan_implILNS1_25lookback_scan_determinismE0ELb1ELb1ES3_N6thrust23THRUST_200600_302600_NS6detail15normal_iteratorINS9_10device_ptrIyEEEESE_yNS9_4plusIvEEyEEDaPvRmT3_T4_T5_mT6_P12ihipStream_tbENKUlT_T0_E_clISt17integral_constantIbLb1EEST_IbLb0EEEEDaSP_SQ_EUlSP_E0_NS1_11comp_targetILNS1_3genE2ELNS1_11target_archE906ELNS1_3gpuE6ELNS1_3repE0EEENS1_30default_config_static_selectorELNS0_4arch9wavefront6targetE1EEEvT1_
		.amdhsa_group_segment_fixed_size 0
		.amdhsa_private_segment_fixed_size 0
		.amdhsa_kernarg_size 40
		.amdhsa_user_sgpr_count 6
		.amdhsa_user_sgpr_private_segment_buffer 1
		.amdhsa_user_sgpr_dispatch_ptr 0
		.amdhsa_user_sgpr_queue_ptr 0
		.amdhsa_user_sgpr_kernarg_segment_ptr 1
		.amdhsa_user_sgpr_dispatch_id 0
		.amdhsa_user_sgpr_flat_scratch_init 0
		.amdhsa_user_sgpr_kernarg_preload_length 0
		.amdhsa_user_sgpr_kernarg_preload_offset 0
		.amdhsa_user_sgpr_private_segment_size 0
		.amdhsa_uses_dynamic_stack 0
		.amdhsa_system_sgpr_private_segment_wavefront_offset 0
		.amdhsa_system_sgpr_workgroup_id_x 1
		.amdhsa_system_sgpr_workgroup_id_y 0
		.amdhsa_system_sgpr_workgroup_id_z 0
		.amdhsa_system_sgpr_workgroup_info 0
		.amdhsa_system_vgpr_workitem_id 0
		.amdhsa_next_free_vgpr 1
		.amdhsa_next_free_sgpr 0
		.amdhsa_accum_offset 4
		.amdhsa_reserve_vcc 0
		.amdhsa_reserve_flat_scratch 0
		.amdhsa_float_round_mode_32 0
		.amdhsa_float_round_mode_16_64 0
		.amdhsa_float_denorm_mode_32 3
		.amdhsa_float_denorm_mode_16_64 3
		.amdhsa_dx10_clamp 1
		.amdhsa_ieee_mode 1
		.amdhsa_fp16_overflow 0
		.amdhsa_tg_split 0
		.amdhsa_exception_fp_ieee_invalid_op 0
		.amdhsa_exception_fp_denorm_src 0
		.amdhsa_exception_fp_ieee_div_zero 0
		.amdhsa_exception_fp_ieee_overflow 0
		.amdhsa_exception_fp_ieee_underflow 0
		.amdhsa_exception_fp_ieee_inexact 0
		.amdhsa_exception_int_div_zero 0
	.end_amdhsa_kernel
	.section	.text._ZN7rocprim17ROCPRIM_400000_NS6detail17trampoline_kernelINS0_14default_configENS1_20scan_config_selectorIyEEZZNS1_9scan_implILNS1_25lookback_scan_determinismE0ELb1ELb1ES3_N6thrust23THRUST_200600_302600_NS6detail15normal_iteratorINS9_10device_ptrIyEEEESE_yNS9_4plusIvEEyEEDaPvRmT3_T4_T5_mT6_P12ihipStream_tbENKUlT_T0_E_clISt17integral_constantIbLb1EEST_IbLb0EEEEDaSP_SQ_EUlSP_E0_NS1_11comp_targetILNS1_3genE2ELNS1_11target_archE906ELNS1_3gpuE6ELNS1_3repE0EEENS1_30default_config_static_selectorELNS0_4arch9wavefront6targetE1EEEvT1_,"axG",@progbits,_ZN7rocprim17ROCPRIM_400000_NS6detail17trampoline_kernelINS0_14default_configENS1_20scan_config_selectorIyEEZZNS1_9scan_implILNS1_25lookback_scan_determinismE0ELb1ELb1ES3_N6thrust23THRUST_200600_302600_NS6detail15normal_iteratorINS9_10device_ptrIyEEEESE_yNS9_4plusIvEEyEEDaPvRmT3_T4_T5_mT6_P12ihipStream_tbENKUlT_T0_E_clISt17integral_constantIbLb1EEST_IbLb0EEEEDaSP_SQ_EUlSP_E0_NS1_11comp_targetILNS1_3genE2ELNS1_11target_archE906ELNS1_3gpuE6ELNS1_3repE0EEENS1_30default_config_static_selectorELNS0_4arch9wavefront6targetE1EEEvT1_,comdat
.Lfunc_end4551:
	.size	_ZN7rocprim17ROCPRIM_400000_NS6detail17trampoline_kernelINS0_14default_configENS1_20scan_config_selectorIyEEZZNS1_9scan_implILNS1_25lookback_scan_determinismE0ELb1ELb1ES3_N6thrust23THRUST_200600_302600_NS6detail15normal_iteratorINS9_10device_ptrIyEEEESE_yNS9_4plusIvEEyEEDaPvRmT3_T4_T5_mT6_P12ihipStream_tbENKUlT_T0_E_clISt17integral_constantIbLb1EEST_IbLb0EEEEDaSP_SQ_EUlSP_E0_NS1_11comp_targetILNS1_3genE2ELNS1_11target_archE906ELNS1_3gpuE6ELNS1_3repE0EEENS1_30default_config_static_selectorELNS0_4arch9wavefront6targetE1EEEvT1_, .Lfunc_end4551-_ZN7rocprim17ROCPRIM_400000_NS6detail17trampoline_kernelINS0_14default_configENS1_20scan_config_selectorIyEEZZNS1_9scan_implILNS1_25lookback_scan_determinismE0ELb1ELb1ES3_N6thrust23THRUST_200600_302600_NS6detail15normal_iteratorINS9_10device_ptrIyEEEESE_yNS9_4plusIvEEyEEDaPvRmT3_T4_T5_mT6_P12ihipStream_tbENKUlT_T0_E_clISt17integral_constantIbLb1EEST_IbLb0EEEEDaSP_SQ_EUlSP_E0_NS1_11comp_targetILNS1_3genE2ELNS1_11target_archE906ELNS1_3gpuE6ELNS1_3repE0EEENS1_30default_config_static_selectorELNS0_4arch9wavefront6targetE1EEEvT1_
                                        ; -- End function
	.section	.AMDGPU.csdata,"",@progbits
; Kernel info:
; codeLenInByte = 0
; NumSgprs: 4
; NumVgprs: 0
; NumAgprs: 0
; TotalNumVgprs: 0
; ScratchSize: 0
; MemoryBound: 0
; FloatMode: 240
; IeeeMode: 1
; LDSByteSize: 0 bytes/workgroup (compile time only)
; SGPRBlocks: 0
; VGPRBlocks: 0
; NumSGPRsForWavesPerEU: 4
; NumVGPRsForWavesPerEU: 1
; AccumOffset: 4
; Occupancy: 8
; WaveLimiterHint : 0
; COMPUTE_PGM_RSRC2:SCRATCH_EN: 0
; COMPUTE_PGM_RSRC2:USER_SGPR: 6
; COMPUTE_PGM_RSRC2:TRAP_HANDLER: 0
; COMPUTE_PGM_RSRC2:TGID_X_EN: 1
; COMPUTE_PGM_RSRC2:TGID_Y_EN: 0
; COMPUTE_PGM_RSRC2:TGID_Z_EN: 0
; COMPUTE_PGM_RSRC2:TIDIG_COMP_CNT: 0
; COMPUTE_PGM_RSRC3_GFX90A:ACCUM_OFFSET: 0
; COMPUTE_PGM_RSRC3_GFX90A:TG_SPLIT: 0
	.section	.text._ZN7rocprim17ROCPRIM_400000_NS6detail17trampoline_kernelINS0_14default_configENS1_20scan_config_selectorIyEEZZNS1_9scan_implILNS1_25lookback_scan_determinismE0ELb1ELb1ES3_N6thrust23THRUST_200600_302600_NS6detail15normal_iteratorINS9_10device_ptrIyEEEESE_yNS9_4plusIvEEyEEDaPvRmT3_T4_T5_mT6_P12ihipStream_tbENKUlT_T0_E_clISt17integral_constantIbLb1EEST_IbLb0EEEEDaSP_SQ_EUlSP_E0_NS1_11comp_targetILNS1_3genE10ELNS1_11target_archE1201ELNS1_3gpuE5ELNS1_3repE0EEENS1_30default_config_static_selectorELNS0_4arch9wavefront6targetE1EEEvT1_,"axG",@progbits,_ZN7rocprim17ROCPRIM_400000_NS6detail17trampoline_kernelINS0_14default_configENS1_20scan_config_selectorIyEEZZNS1_9scan_implILNS1_25lookback_scan_determinismE0ELb1ELb1ES3_N6thrust23THRUST_200600_302600_NS6detail15normal_iteratorINS9_10device_ptrIyEEEESE_yNS9_4plusIvEEyEEDaPvRmT3_T4_T5_mT6_P12ihipStream_tbENKUlT_T0_E_clISt17integral_constantIbLb1EEST_IbLb0EEEEDaSP_SQ_EUlSP_E0_NS1_11comp_targetILNS1_3genE10ELNS1_11target_archE1201ELNS1_3gpuE5ELNS1_3repE0EEENS1_30default_config_static_selectorELNS0_4arch9wavefront6targetE1EEEvT1_,comdat
	.protected	_ZN7rocprim17ROCPRIM_400000_NS6detail17trampoline_kernelINS0_14default_configENS1_20scan_config_selectorIyEEZZNS1_9scan_implILNS1_25lookback_scan_determinismE0ELb1ELb1ES3_N6thrust23THRUST_200600_302600_NS6detail15normal_iteratorINS9_10device_ptrIyEEEESE_yNS9_4plusIvEEyEEDaPvRmT3_T4_T5_mT6_P12ihipStream_tbENKUlT_T0_E_clISt17integral_constantIbLb1EEST_IbLb0EEEEDaSP_SQ_EUlSP_E0_NS1_11comp_targetILNS1_3genE10ELNS1_11target_archE1201ELNS1_3gpuE5ELNS1_3repE0EEENS1_30default_config_static_selectorELNS0_4arch9wavefront6targetE1EEEvT1_ ; -- Begin function _ZN7rocprim17ROCPRIM_400000_NS6detail17trampoline_kernelINS0_14default_configENS1_20scan_config_selectorIyEEZZNS1_9scan_implILNS1_25lookback_scan_determinismE0ELb1ELb1ES3_N6thrust23THRUST_200600_302600_NS6detail15normal_iteratorINS9_10device_ptrIyEEEESE_yNS9_4plusIvEEyEEDaPvRmT3_T4_T5_mT6_P12ihipStream_tbENKUlT_T0_E_clISt17integral_constantIbLb1EEST_IbLb0EEEEDaSP_SQ_EUlSP_E0_NS1_11comp_targetILNS1_3genE10ELNS1_11target_archE1201ELNS1_3gpuE5ELNS1_3repE0EEENS1_30default_config_static_selectorELNS0_4arch9wavefront6targetE1EEEvT1_
	.globl	_ZN7rocprim17ROCPRIM_400000_NS6detail17trampoline_kernelINS0_14default_configENS1_20scan_config_selectorIyEEZZNS1_9scan_implILNS1_25lookback_scan_determinismE0ELb1ELb1ES3_N6thrust23THRUST_200600_302600_NS6detail15normal_iteratorINS9_10device_ptrIyEEEESE_yNS9_4plusIvEEyEEDaPvRmT3_T4_T5_mT6_P12ihipStream_tbENKUlT_T0_E_clISt17integral_constantIbLb1EEST_IbLb0EEEEDaSP_SQ_EUlSP_E0_NS1_11comp_targetILNS1_3genE10ELNS1_11target_archE1201ELNS1_3gpuE5ELNS1_3repE0EEENS1_30default_config_static_selectorELNS0_4arch9wavefront6targetE1EEEvT1_
	.p2align	8
	.type	_ZN7rocprim17ROCPRIM_400000_NS6detail17trampoline_kernelINS0_14default_configENS1_20scan_config_selectorIyEEZZNS1_9scan_implILNS1_25lookback_scan_determinismE0ELb1ELb1ES3_N6thrust23THRUST_200600_302600_NS6detail15normal_iteratorINS9_10device_ptrIyEEEESE_yNS9_4plusIvEEyEEDaPvRmT3_T4_T5_mT6_P12ihipStream_tbENKUlT_T0_E_clISt17integral_constantIbLb1EEST_IbLb0EEEEDaSP_SQ_EUlSP_E0_NS1_11comp_targetILNS1_3genE10ELNS1_11target_archE1201ELNS1_3gpuE5ELNS1_3repE0EEENS1_30default_config_static_selectorELNS0_4arch9wavefront6targetE1EEEvT1_,@function
_ZN7rocprim17ROCPRIM_400000_NS6detail17trampoline_kernelINS0_14default_configENS1_20scan_config_selectorIyEEZZNS1_9scan_implILNS1_25lookback_scan_determinismE0ELb1ELb1ES3_N6thrust23THRUST_200600_302600_NS6detail15normal_iteratorINS9_10device_ptrIyEEEESE_yNS9_4plusIvEEyEEDaPvRmT3_T4_T5_mT6_P12ihipStream_tbENKUlT_T0_E_clISt17integral_constantIbLb1EEST_IbLb0EEEEDaSP_SQ_EUlSP_E0_NS1_11comp_targetILNS1_3genE10ELNS1_11target_archE1201ELNS1_3gpuE5ELNS1_3repE0EEENS1_30default_config_static_selectorELNS0_4arch9wavefront6targetE1EEEvT1_: ; @_ZN7rocprim17ROCPRIM_400000_NS6detail17trampoline_kernelINS0_14default_configENS1_20scan_config_selectorIyEEZZNS1_9scan_implILNS1_25lookback_scan_determinismE0ELb1ELb1ES3_N6thrust23THRUST_200600_302600_NS6detail15normal_iteratorINS9_10device_ptrIyEEEESE_yNS9_4plusIvEEyEEDaPvRmT3_T4_T5_mT6_P12ihipStream_tbENKUlT_T0_E_clISt17integral_constantIbLb1EEST_IbLb0EEEEDaSP_SQ_EUlSP_E0_NS1_11comp_targetILNS1_3genE10ELNS1_11target_archE1201ELNS1_3gpuE5ELNS1_3repE0EEENS1_30default_config_static_selectorELNS0_4arch9wavefront6targetE1EEEvT1_
; %bb.0:
	.section	.rodata,"a",@progbits
	.p2align	6, 0x0
	.amdhsa_kernel _ZN7rocprim17ROCPRIM_400000_NS6detail17trampoline_kernelINS0_14default_configENS1_20scan_config_selectorIyEEZZNS1_9scan_implILNS1_25lookback_scan_determinismE0ELb1ELb1ES3_N6thrust23THRUST_200600_302600_NS6detail15normal_iteratorINS9_10device_ptrIyEEEESE_yNS9_4plusIvEEyEEDaPvRmT3_T4_T5_mT6_P12ihipStream_tbENKUlT_T0_E_clISt17integral_constantIbLb1EEST_IbLb0EEEEDaSP_SQ_EUlSP_E0_NS1_11comp_targetILNS1_3genE10ELNS1_11target_archE1201ELNS1_3gpuE5ELNS1_3repE0EEENS1_30default_config_static_selectorELNS0_4arch9wavefront6targetE1EEEvT1_
		.amdhsa_group_segment_fixed_size 0
		.amdhsa_private_segment_fixed_size 0
		.amdhsa_kernarg_size 40
		.amdhsa_user_sgpr_count 6
		.amdhsa_user_sgpr_private_segment_buffer 1
		.amdhsa_user_sgpr_dispatch_ptr 0
		.amdhsa_user_sgpr_queue_ptr 0
		.amdhsa_user_sgpr_kernarg_segment_ptr 1
		.amdhsa_user_sgpr_dispatch_id 0
		.amdhsa_user_sgpr_flat_scratch_init 0
		.amdhsa_user_sgpr_kernarg_preload_length 0
		.amdhsa_user_sgpr_kernarg_preload_offset 0
		.amdhsa_user_sgpr_private_segment_size 0
		.amdhsa_uses_dynamic_stack 0
		.amdhsa_system_sgpr_private_segment_wavefront_offset 0
		.amdhsa_system_sgpr_workgroup_id_x 1
		.amdhsa_system_sgpr_workgroup_id_y 0
		.amdhsa_system_sgpr_workgroup_id_z 0
		.amdhsa_system_sgpr_workgroup_info 0
		.amdhsa_system_vgpr_workitem_id 0
		.amdhsa_next_free_vgpr 1
		.amdhsa_next_free_sgpr 0
		.amdhsa_accum_offset 4
		.amdhsa_reserve_vcc 0
		.amdhsa_reserve_flat_scratch 0
		.amdhsa_float_round_mode_32 0
		.amdhsa_float_round_mode_16_64 0
		.amdhsa_float_denorm_mode_32 3
		.amdhsa_float_denorm_mode_16_64 3
		.amdhsa_dx10_clamp 1
		.amdhsa_ieee_mode 1
		.amdhsa_fp16_overflow 0
		.amdhsa_tg_split 0
		.amdhsa_exception_fp_ieee_invalid_op 0
		.amdhsa_exception_fp_denorm_src 0
		.amdhsa_exception_fp_ieee_div_zero 0
		.amdhsa_exception_fp_ieee_overflow 0
		.amdhsa_exception_fp_ieee_underflow 0
		.amdhsa_exception_fp_ieee_inexact 0
		.amdhsa_exception_int_div_zero 0
	.end_amdhsa_kernel
	.section	.text._ZN7rocprim17ROCPRIM_400000_NS6detail17trampoline_kernelINS0_14default_configENS1_20scan_config_selectorIyEEZZNS1_9scan_implILNS1_25lookback_scan_determinismE0ELb1ELb1ES3_N6thrust23THRUST_200600_302600_NS6detail15normal_iteratorINS9_10device_ptrIyEEEESE_yNS9_4plusIvEEyEEDaPvRmT3_T4_T5_mT6_P12ihipStream_tbENKUlT_T0_E_clISt17integral_constantIbLb1EEST_IbLb0EEEEDaSP_SQ_EUlSP_E0_NS1_11comp_targetILNS1_3genE10ELNS1_11target_archE1201ELNS1_3gpuE5ELNS1_3repE0EEENS1_30default_config_static_selectorELNS0_4arch9wavefront6targetE1EEEvT1_,"axG",@progbits,_ZN7rocprim17ROCPRIM_400000_NS6detail17trampoline_kernelINS0_14default_configENS1_20scan_config_selectorIyEEZZNS1_9scan_implILNS1_25lookback_scan_determinismE0ELb1ELb1ES3_N6thrust23THRUST_200600_302600_NS6detail15normal_iteratorINS9_10device_ptrIyEEEESE_yNS9_4plusIvEEyEEDaPvRmT3_T4_T5_mT6_P12ihipStream_tbENKUlT_T0_E_clISt17integral_constantIbLb1EEST_IbLb0EEEEDaSP_SQ_EUlSP_E0_NS1_11comp_targetILNS1_3genE10ELNS1_11target_archE1201ELNS1_3gpuE5ELNS1_3repE0EEENS1_30default_config_static_selectorELNS0_4arch9wavefront6targetE1EEEvT1_,comdat
.Lfunc_end4552:
	.size	_ZN7rocprim17ROCPRIM_400000_NS6detail17trampoline_kernelINS0_14default_configENS1_20scan_config_selectorIyEEZZNS1_9scan_implILNS1_25lookback_scan_determinismE0ELb1ELb1ES3_N6thrust23THRUST_200600_302600_NS6detail15normal_iteratorINS9_10device_ptrIyEEEESE_yNS9_4plusIvEEyEEDaPvRmT3_T4_T5_mT6_P12ihipStream_tbENKUlT_T0_E_clISt17integral_constantIbLb1EEST_IbLb0EEEEDaSP_SQ_EUlSP_E0_NS1_11comp_targetILNS1_3genE10ELNS1_11target_archE1201ELNS1_3gpuE5ELNS1_3repE0EEENS1_30default_config_static_selectorELNS0_4arch9wavefront6targetE1EEEvT1_, .Lfunc_end4552-_ZN7rocprim17ROCPRIM_400000_NS6detail17trampoline_kernelINS0_14default_configENS1_20scan_config_selectorIyEEZZNS1_9scan_implILNS1_25lookback_scan_determinismE0ELb1ELb1ES3_N6thrust23THRUST_200600_302600_NS6detail15normal_iteratorINS9_10device_ptrIyEEEESE_yNS9_4plusIvEEyEEDaPvRmT3_T4_T5_mT6_P12ihipStream_tbENKUlT_T0_E_clISt17integral_constantIbLb1EEST_IbLb0EEEEDaSP_SQ_EUlSP_E0_NS1_11comp_targetILNS1_3genE10ELNS1_11target_archE1201ELNS1_3gpuE5ELNS1_3repE0EEENS1_30default_config_static_selectorELNS0_4arch9wavefront6targetE1EEEvT1_
                                        ; -- End function
	.section	.AMDGPU.csdata,"",@progbits
; Kernel info:
; codeLenInByte = 0
; NumSgprs: 4
; NumVgprs: 0
; NumAgprs: 0
; TotalNumVgprs: 0
; ScratchSize: 0
; MemoryBound: 0
; FloatMode: 240
; IeeeMode: 1
; LDSByteSize: 0 bytes/workgroup (compile time only)
; SGPRBlocks: 0
; VGPRBlocks: 0
; NumSGPRsForWavesPerEU: 4
; NumVGPRsForWavesPerEU: 1
; AccumOffset: 4
; Occupancy: 8
; WaveLimiterHint : 0
; COMPUTE_PGM_RSRC2:SCRATCH_EN: 0
; COMPUTE_PGM_RSRC2:USER_SGPR: 6
; COMPUTE_PGM_RSRC2:TRAP_HANDLER: 0
; COMPUTE_PGM_RSRC2:TGID_X_EN: 1
; COMPUTE_PGM_RSRC2:TGID_Y_EN: 0
; COMPUTE_PGM_RSRC2:TGID_Z_EN: 0
; COMPUTE_PGM_RSRC2:TIDIG_COMP_CNT: 0
; COMPUTE_PGM_RSRC3_GFX90A:ACCUM_OFFSET: 0
; COMPUTE_PGM_RSRC3_GFX90A:TG_SPLIT: 0
	.section	.text._ZN7rocprim17ROCPRIM_400000_NS6detail17trampoline_kernelINS0_14default_configENS1_20scan_config_selectorIyEEZZNS1_9scan_implILNS1_25lookback_scan_determinismE0ELb1ELb1ES3_N6thrust23THRUST_200600_302600_NS6detail15normal_iteratorINS9_10device_ptrIyEEEESE_yNS9_4plusIvEEyEEDaPvRmT3_T4_T5_mT6_P12ihipStream_tbENKUlT_T0_E_clISt17integral_constantIbLb1EEST_IbLb0EEEEDaSP_SQ_EUlSP_E0_NS1_11comp_targetILNS1_3genE10ELNS1_11target_archE1200ELNS1_3gpuE4ELNS1_3repE0EEENS1_30default_config_static_selectorELNS0_4arch9wavefront6targetE1EEEvT1_,"axG",@progbits,_ZN7rocprim17ROCPRIM_400000_NS6detail17trampoline_kernelINS0_14default_configENS1_20scan_config_selectorIyEEZZNS1_9scan_implILNS1_25lookback_scan_determinismE0ELb1ELb1ES3_N6thrust23THRUST_200600_302600_NS6detail15normal_iteratorINS9_10device_ptrIyEEEESE_yNS9_4plusIvEEyEEDaPvRmT3_T4_T5_mT6_P12ihipStream_tbENKUlT_T0_E_clISt17integral_constantIbLb1EEST_IbLb0EEEEDaSP_SQ_EUlSP_E0_NS1_11comp_targetILNS1_3genE10ELNS1_11target_archE1200ELNS1_3gpuE4ELNS1_3repE0EEENS1_30default_config_static_selectorELNS0_4arch9wavefront6targetE1EEEvT1_,comdat
	.protected	_ZN7rocprim17ROCPRIM_400000_NS6detail17trampoline_kernelINS0_14default_configENS1_20scan_config_selectorIyEEZZNS1_9scan_implILNS1_25lookback_scan_determinismE0ELb1ELb1ES3_N6thrust23THRUST_200600_302600_NS6detail15normal_iteratorINS9_10device_ptrIyEEEESE_yNS9_4plusIvEEyEEDaPvRmT3_T4_T5_mT6_P12ihipStream_tbENKUlT_T0_E_clISt17integral_constantIbLb1EEST_IbLb0EEEEDaSP_SQ_EUlSP_E0_NS1_11comp_targetILNS1_3genE10ELNS1_11target_archE1200ELNS1_3gpuE4ELNS1_3repE0EEENS1_30default_config_static_selectorELNS0_4arch9wavefront6targetE1EEEvT1_ ; -- Begin function _ZN7rocprim17ROCPRIM_400000_NS6detail17trampoline_kernelINS0_14default_configENS1_20scan_config_selectorIyEEZZNS1_9scan_implILNS1_25lookback_scan_determinismE0ELb1ELb1ES3_N6thrust23THRUST_200600_302600_NS6detail15normal_iteratorINS9_10device_ptrIyEEEESE_yNS9_4plusIvEEyEEDaPvRmT3_T4_T5_mT6_P12ihipStream_tbENKUlT_T0_E_clISt17integral_constantIbLb1EEST_IbLb0EEEEDaSP_SQ_EUlSP_E0_NS1_11comp_targetILNS1_3genE10ELNS1_11target_archE1200ELNS1_3gpuE4ELNS1_3repE0EEENS1_30default_config_static_selectorELNS0_4arch9wavefront6targetE1EEEvT1_
	.globl	_ZN7rocprim17ROCPRIM_400000_NS6detail17trampoline_kernelINS0_14default_configENS1_20scan_config_selectorIyEEZZNS1_9scan_implILNS1_25lookback_scan_determinismE0ELb1ELb1ES3_N6thrust23THRUST_200600_302600_NS6detail15normal_iteratorINS9_10device_ptrIyEEEESE_yNS9_4plusIvEEyEEDaPvRmT3_T4_T5_mT6_P12ihipStream_tbENKUlT_T0_E_clISt17integral_constantIbLb1EEST_IbLb0EEEEDaSP_SQ_EUlSP_E0_NS1_11comp_targetILNS1_3genE10ELNS1_11target_archE1200ELNS1_3gpuE4ELNS1_3repE0EEENS1_30default_config_static_selectorELNS0_4arch9wavefront6targetE1EEEvT1_
	.p2align	8
	.type	_ZN7rocprim17ROCPRIM_400000_NS6detail17trampoline_kernelINS0_14default_configENS1_20scan_config_selectorIyEEZZNS1_9scan_implILNS1_25lookback_scan_determinismE0ELb1ELb1ES3_N6thrust23THRUST_200600_302600_NS6detail15normal_iteratorINS9_10device_ptrIyEEEESE_yNS9_4plusIvEEyEEDaPvRmT3_T4_T5_mT6_P12ihipStream_tbENKUlT_T0_E_clISt17integral_constantIbLb1EEST_IbLb0EEEEDaSP_SQ_EUlSP_E0_NS1_11comp_targetILNS1_3genE10ELNS1_11target_archE1200ELNS1_3gpuE4ELNS1_3repE0EEENS1_30default_config_static_selectorELNS0_4arch9wavefront6targetE1EEEvT1_,@function
_ZN7rocprim17ROCPRIM_400000_NS6detail17trampoline_kernelINS0_14default_configENS1_20scan_config_selectorIyEEZZNS1_9scan_implILNS1_25lookback_scan_determinismE0ELb1ELb1ES3_N6thrust23THRUST_200600_302600_NS6detail15normal_iteratorINS9_10device_ptrIyEEEESE_yNS9_4plusIvEEyEEDaPvRmT3_T4_T5_mT6_P12ihipStream_tbENKUlT_T0_E_clISt17integral_constantIbLb1EEST_IbLb0EEEEDaSP_SQ_EUlSP_E0_NS1_11comp_targetILNS1_3genE10ELNS1_11target_archE1200ELNS1_3gpuE4ELNS1_3repE0EEENS1_30default_config_static_selectorELNS0_4arch9wavefront6targetE1EEEvT1_: ; @_ZN7rocprim17ROCPRIM_400000_NS6detail17trampoline_kernelINS0_14default_configENS1_20scan_config_selectorIyEEZZNS1_9scan_implILNS1_25lookback_scan_determinismE0ELb1ELb1ES3_N6thrust23THRUST_200600_302600_NS6detail15normal_iteratorINS9_10device_ptrIyEEEESE_yNS9_4plusIvEEyEEDaPvRmT3_T4_T5_mT6_P12ihipStream_tbENKUlT_T0_E_clISt17integral_constantIbLb1EEST_IbLb0EEEEDaSP_SQ_EUlSP_E0_NS1_11comp_targetILNS1_3genE10ELNS1_11target_archE1200ELNS1_3gpuE4ELNS1_3repE0EEENS1_30default_config_static_selectorELNS0_4arch9wavefront6targetE1EEEvT1_
; %bb.0:
	.section	.rodata,"a",@progbits
	.p2align	6, 0x0
	.amdhsa_kernel _ZN7rocprim17ROCPRIM_400000_NS6detail17trampoline_kernelINS0_14default_configENS1_20scan_config_selectorIyEEZZNS1_9scan_implILNS1_25lookback_scan_determinismE0ELb1ELb1ES3_N6thrust23THRUST_200600_302600_NS6detail15normal_iteratorINS9_10device_ptrIyEEEESE_yNS9_4plusIvEEyEEDaPvRmT3_T4_T5_mT6_P12ihipStream_tbENKUlT_T0_E_clISt17integral_constantIbLb1EEST_IbLb0EEEEDaSP_SQ_EUlSP_E0_NS1_11comp_targetILNS1_3genE10ELNS1_11target_archE1200ELNS1_3gpuE4ELNS1_3repE0EEENS1_30default_config_static_selectorELNS0_4arch9wavefront6targetE1EEEvT1_
		.amdhsa_group_segment_fixed_size 0
		.amdhsa_private_segment_fixed_size 0
		.amdhsa_kernarg_size 40
		.amdhsa_user_sgpr_count 6
		.amdhsa_user_sgpr_private_segment_buffer 1
		.amdhsa_user_sgpr_dispatch_ptr 0
		.amdhsa_user_sgpr_queue_ptr 0
		.amdhsa_user_sgpr_kernarg_segment_ptr 1
		.amdhsa_user_sgpr_dispatch_id 0
		.amdhsa_user_sgpr_flat_scratch_init 0
		.amdhsa_user_sgpr_kernarg_preload_length 0
		.amdhsa_user_sgpr_kernarg_preload_offset 0
		.amdhsa_user_sgpr_private_segment_size 0
		.amdhsa_uses_dynamic_stack 0
		.amdhsa_system_sgpr_private_segment_wavefront_offset 0
		.amdhsa_system_sgpr_workgroup_id_x 1
		.amdhsa_system_sgpr_workgroup_id_y 0
		.amdhsa_system_sgpr_workgroup_id_z 0
		.amdhsa_system_sgpr_workgroup_info 0
		.amdhsa_system_vgpr_workitem_id 0
		.amdhsa_next_free_vgpr 1
		.amdhsa_next_free_sgpr 0
		.amdhsa_accum_offset 4
		.amdhsa_reserve_vcc 0
		.amdhsa_reserve_flat_scratch 0
		.amdhsa_float_round_mode_32 0
		.amdhsa_float_round_mode_16_64 0
		.amdhsa_float_denorm_mode_32 3
		.amdhsa_float_denorm_mode_16_64 3
		.amdhsa_dx10_clamp 1
		.amdhsa_ieee_mode 1
		.amdhsa_fp16_overflow 0
		.amdhsa_tg_split 0
		.amdhsa_exception_fp_ieee_invalid_op 0
		.amdhsa_exception_fp_denorm_src 0
		.amdhsa_exception_fp_ieee_div_zero 0
		.amdhsa_exception_fp_ieee_overflow 0
		.amdhsa_exception_fp_ieee_underflow 0
		.amdhsa_exception_fp_ieee_inexact 0
		.amdhsa_exception_int_div_zero 0
	.end_amdhsa_kernel
	.section	.text._ZN7rocprim17ROCPRIM_400000_NS6detail17trampoline_kernelINS0_14default_configENS1_20scan_config_selectorIyEEZZNS1_9scan_implILNS1_25lookback_scan_determinismE0ELb1ELb1ES3_N6thrust23THRUST_200600_302600_NS6detail15normal_iteratorINS9_10device_ptrIyEEEESE_yNS9_4plusIvEEyEEDaPvRmT3_T4_T5_mT6_P12ihipStream_tbENKUlT_T0_E_clISt17integral_constantIbLb1EEST_IbLb0EEEEDaSP_SQ_EUlSP_E0_NS1_11comp_targetILNS1_3genE10ELNS1_11target_archE1200ELNS1_3gpuE4ELNS1_3repE0EEENS1_30default_config_static_selectorELNS0_4arch9wavefront6targetE1EEEvT1_,"axG",@progbits,_ZN7rocprim17ROCPRIM_400000_NS6detail17trampoline_kernelINS0_14default_configENS1_20scan_config_selectorIyEEZZNS1_9scan_implILNS1_25lookback_scan_determinismE0ELb1ELb1ES3_N6thrust23THRUST_200600_302600_NS6detail15normal_iteratorINS9_10device_ptrIyEEEESE_yNS9_4plusIvEEyEEDaPvRmT3_T4_T5_mT6_P12ihipStream_tbENKUlT_T0_E_clISt17integral_constantIbLb1EEST_IbLb0EEEEDaSP_SQ_EUlSP_E0_NS1_11comp_targetILNS1_3genE10ELNS1_11target_archE1200ELNS1_3gpuE4ELNS1_3repE0EEENS1_30default_config_static_selectorELNS0_4arch9wavefront6targetE1EEEvT1_,comdat
.Lfunc_end4553:
	.size	_ZN7rocprim17ROCPRIM_400000_NS6detail17trampoline_kernelINS0_14default_configENS1_20scan_config_selectorIyEEZZNS1_9scan_implILNS1_25lookback_scan_determinismE0ELb1ELb1ES3_N6thrust23THRUST_200600_302600_NS6detail15normal_iteratorINS9_10device_ptrIyEEEESE_yNS9_4plusIvEEyEEDaPvRmT3_T4_T5_mT6_P12ihipStream_tbENKUlT_T0_E_clISt17integral_constantIbLb1EEST_IbLb0EEEEDaSP_SQ_EUlSP_E0_NS1_11comp_targetILNS1_3genE10ELNS1_11target_archE1200ELNS1_3gpuE4ELNS1_3repE0EEENS1_30default_config_static_selectorELNS0_4arch9wavefront6targetE1EEEvT1_, .Lfunc_end4553-_ZN7rocprim17ROCPRIM_400000_NS6detail17trampoline_kernelINS0_14default_configENS1_20scan_config_selectorIyEEZZNS1_9scan_implILNS1_25lookback_scan_determinismE0ELb1ELb1ES3_N6thrust23THRUST_200600_302600_NS6detail15normal_iteratorINS9_10device_ptrIyEEEESE_yNS9_4plusIvEEyEEDaPvRmT3_T4_T5_mT6_P12ihipStream_tbENKUlT_T0_E_clISt17integral_constantIbLb1EEST_IbLb0EEEEDaSP_SQ_EUlSP_E0_NS1_11comp_targetILNS1_3genE10ELNS1_11target_archE1200ELNS1_3gpuE4ELNS1_3repE0EEENS1_30default_config_static_selectorELNS0_4arch9wavefront6targetE1EEEvT1_
                                        ; -- End function
	.section	.AMDGPU.csdata,"",@progbits
; Kernel info:
; codeLenInByte = 0
; NumSgprs: 4
; NumVgprs: 0
; NumAgprs: 0
; TotalNumVgprs: 0
; ScratchSize: 0
; MemoryBound: 0
; FloatMode: 240
; IeeeMode: 1
; LDSByteSize: 0 bytes/workgroup (compile time only)
; SGPRBlocks: 0
; VGPRBlocks: 0
; NumSGPRsForWavesPerEU: 4
; NumVGPRsForWavesPerEU: 1
; AccumOffset: 4
; Occupancy: 8
; WaveLimiterHint : 0
; COMPUTE_PGM_RSRC2:SCRATCH_EN: 0
; COMPUTE_PGM_RSRC2:USER_SGPR: 6
; COMPUTE_PGM_RSRC2:TRAP_HANDLER: 0
; COMPUTE_PGM_RSRC2:TGID_X_EN: 1
; COMPUTE_PGM_RSRC2:TGID_Y_EN: 0
; COMPUTE_PGM_RSRC2:TGID_Z_EN: 0
; COMPUTE_PGM_RSRC2:TIDIG_COMP_CNT: 0
; COMPUTE_PGM_RSRC3_GFX90A:ACCUM_OFFSET: 0
; COMPUTE_PGM_RSRC3_GFX90A:TG_SPLIT: 0
	.section	.text._ZN7rocprim17ROCPRIM_400000_NS6detail17trampoline_kernelINS0_14default_configENS1_20scan_config_selectorIyEEZZNS1_9scan_implILNS1_25lookback_scan_determinismE0ELb1ELb1ES3_N6thrust23THRUST_200600_302600_NS6detail15normal_iteratorINS9_10device_ptrIyEEEESE_yNS9_4plusIvEEyEEDaPvRmT3_T4_T5_mT6_P12ihipStream_tbENKUlT_T0_E_clISt17integral_constantIbLb1EEST_IbLb0EEEEDaSP_SQ_EUlSP_E0_NS1_11comp_targetILNS1_3genE9ELNS1_11target_archE1100ELNS1_3gpuE3ELNS1_3repE0EEENS1_30default_config_static_selectorELNS0_4arch9wavefront6targetE1EEEvT1_,"axG",@progbits,_ZN7rocprim17ROCPRIM_400000_NS6detail17trampoline_kernelINS0_14default_configENS1_20scan_config_selectorIyEEZZNS1_9scan_implILNS1_25lookback_scan_determinismE0ELb1ELb1ES3_N6thrust23THRUST_200600_302600_NS6detail15normal_iteratorINS9_10device_ptrIyEEEESE_yNS9_4plusIvEEyEEDaPvRmT3_T4_T5_mT6_P12ihipStream_tbENKUlT_T0_E_clISt17integral_constantIbLb1EEST_IbLb0EEEEDaSP_SQ_EUlSP_E0_NS1_11comp_targetILNS1_3genE9ELNS1_11target_archE1100ELNS1_3gpuE3ELNS1_3repE0EEENS1_30default_config_static_selectorELNS0_4arch9wavefront6targetE1EEEvT1_,comdat
	.protected	_ZN7rocprim17ROCPRIM_400000_NS6detail17trampoline_kernelINS0_14default_configENS1_20scan_config_selectorIyEEZZNS1_9scan_implILNS1_25lookback_scan_determinismE0ELb1ELb1ES3_N6thrust23THRUST_200600_302600_NS6detail15normal_iteratorINS9_10device_ptrIyEEEESE_yNS9_4plusIvEEyEEDaPvRmT3_T4_T5_mT6_P12ihipStream_tbENKUlT_T0_E_clISt17integral_constantIbLb1EEST_IbLb0EEEEDaSP_SQ_EUlSP_E0_NS1_11comp_targetILNS1_3genE9ELNS1_11target_archE1100ELNS1_3gpuE3ELNS1_3repE0EEENS1_30default_config_static_selectorELNS0_4arch9wavefront6targetE1EEEvT1_ ; -- Begin function _ZN7rocprim17ROCPRIM_400000_NS6detail17trampoline_kernelINS0_14default_configENS1_20scan_config_selectorIyEEZZNS1_9scan_implILNS1_25lookback_scan_determinismE0ELb1ELb1ES3_N6thrust23THRUST_200600_302600_NS6detail15normal_iteratorINS9_10device_ptrIyEEEESE_yNS9_4plusIvEEyEEDaPvRmT3_T4_T5_mT6_P12ihipStream_tbENKUlT_T0_E_clISt17integral_constantIbLb1EEST_IbLb0EEEEDaSP_SQ_EUlSP_E0_NS1_11comp_targetILNS1_3genE9ELNS1_11target_archE1100ELNS1_3gpuE3ELNS1_3repE0EEENS1_30default_config_static_selectorELNS0_4arch9wavefront6targetE1EEEvT1_
	.globl	_ZN7rocprim17ROCPRIM_400000_NS6detail17trampoline_kernelINS0_14default_configENS1_20scan_config_selectorIyEEZZNS1_9scan_implILNS1_25lookback_scan_determinismE0ELb1ELb1ES3_N6thrust23THRUST_200600_302600_NS6detail15normal_iteratorINS9_10device_ptrIyEEEESE_yNS9_4plusIvEEyEEDaPvRmT3_T4_T5_mT6_P12ihipStream_tbENKUlT_T0_E_clISt17integral_constantIbLb1EEST_IbLb0EEEEDaSP_SQ_EUlSP_E0_NS1_11comp_targetILNS1_3genE9ELNS1_11target_archE1100ELNS1_3gpuE3ELNS1_3repE0EEENS1_30default_config_static_selectorELNS0_4arch9wavefront6targetE1EEEvT1_
	.p2align	8
	.type	_ZN7rocprim17ROCPRIM_400000_NS6detail17trampoline_kernelINS0_14default_configENS1_20scan_config_selectorIyEEZZNS1_9scan_implILNS1_25lookback_scan_determinismE0ELb1ELb1ES3_N6thrust23THRUST_200600_302600_NS6detail15normal_iteratorINS9_10device_ptrIyEEEESE_yNS9_4plusIvEEyEEDaPvRmT3_T4_T5_mT6_P12ihipStream_tbENKUlT_T0_E_clISt17integral_constantIbLb1EEST_IbLb0EEEEDaSP_SQ_EUlSP_E0_NS1_11comp_targetILNS1_3genE9ELNS1_11target_archE1100ELNS1_3gpuE3ELNS1_3repE0EEENS1_30default_config_static_selectorELNS0_4arch9wavefront6targetE1EEEvT1_,@function
_ZN7rocprim17ROCPRIM_400000_NS6detail17trampoline_kernelINS0_14default_configENS1_20scan_config_selectorIyEEZZNS1_9scan_implILNS1_25lookback_scan_determinismE0ELb1ELb1ES3_N6thrust23THRUST_200600_302600_NS6detail15normal_iteratorINS9_10device_ptrIyEEEESE_yNS9_4plusIvEEyEEDaPvRmT3_T4_T5_mT6_P12ihipStream_tbENKUlT_T0_E_clISt17integral_constantIbLb1EEST_IbLb0EEEEDaSP_SQ_EUlSP_E0_NS1_11comp_targetILNS1_3genE9ELNS1_11target_archE1100ELNS1_3gpuE3ELNS1_3repE0EEENS1_30default_config_static_selectorELNS0_4arch9wavefront6targetE1EEEvT1_: ; @_ZN7rocprim17ROCPRIM_400000_NS6detail17trampoline_kernelINS0_14default_configENS1_20scan_config_selectorIyEEZZNS1_9scan_implILNS1_25lookback_scan_determinismE0ELb1ELb1ES3_N6thrust23THRUST_200600_302600_NS6detail15normal_iteratorINS9_10device_ptrIyEEEESE_yNS9_4plusIvEEyEEDaPvRmT3_T4_T5_mT6_P12ihipStream_tbENKUlT_T0_E_clISt17integral_constantIbLb1EEST_IbLb0EEEEDaSP_SQ_EUlSP_E0_NS1_11comp_targetILNS1_3genE9ELNS1_11target_archE1100ELNS1_3gpuE3ELNS1_3repE0EEENS1_30default_config_static_selectorELNS0_4arch9wavefront6targetE1EEEvT1_
; %bb.0:
	.section	.rodata,"a",@progbits
	.p2align	6, 0x0
	.amdhsa_kernel _ZN7rocprim17ROCPRIM_400000_NS6detail17trampoline_kernelINS0_14default_configENS1_20scan_config_selectorIyEEZZNS1_9scan_implILNS1_25lookback_scan_determinismE0ELb1ELb1ES3_N6thrust23THRUST_200600_302600_NS6detail15normal_iteratorINS9_10device_ptrIyEEEESE_yNS9_4plusIvEEyEEDaPvRmT3_T4_T5_mT6_P12ihipStream_tbENKUlT_T0_E_clISt17integral_constantIbLb1EEST_IbLb0EEEEDaSP_SQ_EUlSP_E0_NS1_11comp_targetILNS1_3genE9ELNS1_11target_archE1100ELNS1_3gpuE3ELNS1_3repE0EEENS1_30default_config_static_selectorELNS0_4arch9wavefront6targetE1EEEvT1_
		.amdhsa_group_segment_fixed_size 0
		.amdhsa_private_segment_fixed_size 0
		.amdhsa_kernarg_size 40
		.amdhsa_user_sgpr_count 6
		.amdhsa_user_sgpr_private_segment_buffer 1
		.amdhsa_user_sgpr_dispatch_ptr 0
		.amdhsa_user_sgpr_queue_ptr 0
		.amdhsa_user_sgpr_kernarg_segment_ptr 1
		.amdhsa_user_sgpr_dispatch_id 0
		.amdhsa_user_sgpr_flat_scratch_init 0
		.amdhsa_user_sgpr_kernarg_preload_length 0
		.amdhsa_user_sgpr_kernarg_preload_offset 0
		.amdhsa_user_sgpr_private_segment_size 0
		.amdhsa_uses_dynamic_stack 0
		.amdhsa_system_sgpr_private_segment_wavefront_offset 0
		.amdhsa_system_sgpr_workgroup_id_x 1
		.amdhsa_system_sgpr_workgroup_id_y 0
		.amdhsa_system_sgpr_workgroup_id_z 0
		.amdhsa_system_sgpr_workgroup_info 0
		.amdhsa_system_vgpr_workitem_id 0
		.amdhsa_next_free_vgpr 1
		.amdhsa_next_free_sgpr 0
		.amdhsa_accum_offset 4
		.amdhsa_reserve_vcc 0
		.amdhsa_reserve_flat_scratch 0
		.amdhsa_float_round_mode_32 0
		.amdhsa_float_round_mode_16_64 0
		.amdhsa_float_denorm_mode_32 3
		.amdhsa_float_denorm_mode_16_64 3
		.amdhsa_dx10_clamp 1
		.amdhsa_ieee_mode 1
		.amdhsa_fp16_overflow 0
		.amdhsa_tg_split 0
		.amdhsa_exception_fp_ieee_invalid_op 0
		.amdhsa_exception_fp_denorm_src 0
		.amdhsa_exception_fp_ieee_div_zero 0
		.amdhsa_exception_fp_ieee_overflow 0
		.amdhsa_exception_fp_ieee_underflow 0
		.amdhsa_exception_fp_ieee_inexact 0
		.amdhsa_exception_int_div_zero 0
	.end_amdhsa_kernel
	.section	.text._ZN7rocprim17ROCPRIM_400000_NS6detail17trampoline_kernelINS0_14default_configENS1_20scan_config_selectorIyEEZZNS1_9scan_implILNS1_25lookback_scan_determinismE0ELb1ELb1ES3_N6thrust23THRUST_200600_302600_NS6detail15normal_iteratorINS9_10device_ptrIyEEEESE_yNS9_4plusIvEEyEEDaPvRmT3_T4_T5_mT6_P12ihipStream_tbENKUlT_T0_E_clISt17integral_constantIbLb1EEST_IbLb0EEEEDaSP_SQ_EUlSP_E0_NS1_11comp_targetILNS1_3genE9ELNS1_11target_archE1100ELNS1_3gpuE3ELNS1_3repE0EEENS1_30default_config_static_selectorELNS0_4arch9wavefront6targetE1EEEvT1_,"axG",@progbits,_ZN7rocprim17ROCPRIM_400000_NS6detail17trampoline_kernelINS0_14default_configENS1_20scan_config_selectorIyEEZZNS1_9scan_implILNS1_25lookback_scan_determinismE0ELb1ELb1ES3_N6thrust23THRUST_200600_302600_NS6detail15normal_iteratorINS9_10device_ptrIyEEEESE_yNS9_4plusIvEEyEEDaPvRmT3_T4_T5_mT6_P12ihipStream_tbENKUlT_T0_E_clISt17integral_constantIbLb1EEST_IbLb0EEEEDaSP_SQ_EUlSP_E0_NS1_11comp_targetILNS1_3genE9ELNS1_11target_archE1100ELNS1_3gpuE3ELNS1_3repE0EEENS1_30default_config_static_selectorELNS0_4arch9wavefront6targetE1EEEvT1_,comdat
.Lfunc_end4554:
	.size	_ZN7rocprim17ROCPRIM_400000_NS6detail17trampoline_kernelINS0_14default_configENS1_20scan_config_selectorIyEEZZNS1_9scan_implILNS1_25lookback_scan_determinismE0ELb1ELb1ES3_N6thrust23THRUST_200600_302600_NS6detail15normal_iteratorINS9_10device_ptrIyEEEESE_yNS9_4plusIvEEyEEDaPvRmT3_T4_T5_mT6_P12ihipStream_tbENKUlT_T0_E_clISt17integral_constantIbLb1EEST_IbLb0EEEEDaSP_SQ_EUlSP_E0_NS1_11comp_targetILNS1_3genE9ELNS1_11target_archE1100ELNS1_3gpuE3ELNS1_3repE0EEENS1_30default_config_static_selectorELNS0_4arch9wavefront6targetE1EEEvT1_, .Lfunc_end4554-_ZN7rocprim17ROCPRIM_400000_NS6detail17trampoline_kernelINS0_14default_configENS1_20scan_config_selectorIyEEZZNS1_9scan_implILNS1_25lookback_scan_determinismE0ELb1ELb1ES3_N6thrust23THRUST_200600_302600_NS6detail15normal_iteratorINS9_10device_ptrIyEEEESE_yNS9_4plusIvEEyEEDaPvRmT3_T4_T5_mT6_P12ihipStream_tbENKUlT_T0_E_clISt17integral_constantIbLb1EEST_IbLb0EEEEDaSP_SQ_EUlSP_E0_NS1_11comp_targetILNS1_3genE9ELNS1_11target_archE1100ELNS1_3gpuE3ELNS1_3repE0EEENS1_30default_config_static_selectorELNS0_4arch9wavefront6targetE1EEEvT1_
                                        ; -- End function
	.section	.AMDGPU.csdata,"",@progbits
; Kernel info:
; codeLenInByte = 0
; NumSgprs: 4
; NumVgprs: 0
; NumAgprs: 0
; TotalNumVgprs: 0
; ScratchSize: 0
; MemoryBound: 0
; FloatMode: 240
; IeeeMode: 1
; LDSByteSize: 0 bytes/workgroup (compile time only)
; SGPRBlocks: 0
; VGPRBlocks: 0
; NumSGPRsForWavesPerEU: 4
; NumVGPRsForWavesPerEU: 1
; AccumOffset: 4
; Occupancy: 8
; WaveLimiterHint : 0
; COMPUTE_PGM_RSRC2:SCRATCH_EN: 0
; COMPUTE_PGM_RSRC2:USER_SGPR: 6
; COMPUTE_PGM_RSRC2:TRAP_HANDLER: 0
; COMPUTE_PGM_RSRC2:TGID_X_EN: 1
; COMPUTE_PGM_RSRC2:TGID_Y_EN: 0
; COMPUTE_PGM_RSRC2:TGID_Z_EN: 0
; COMPUTE_PGM_RSRC2:TIDIG_COMP_CNT: 0
; COMPUTE_PGM_RSRC3_GFX90A:ACCUM_OFFSET: 0
; COMPUTE_PGM_RSRC3_GFX90A:TG_SPLIT: 0
	.section	.text._ZN7rocprim17ROCPRIM_400000_NS6detail17trampoline_kernelINS0_14default_configENS1_20scan_config_selectorIyEEZZNS1_9scan_implILNS1_25lookback_scan_determinismE0ELb1ELb1ES3_N6thrust23THRUST_200600_302600_NS6detail15normal_iteratorINS9_10device_ptrIyEEEESE_yNS9_4plusIvEEyEEDaPvRmT3_T4_T5_mT6_P12ihipStream_tbENKUlT_T0_E_clISt17integral_constantIbLb1EEST_IbLb0EEEEDaSP_SQ_EUlSP_E0_NS1_11comp_targetILNS1_3genE8ELNS1_11target_archE1030ELNS1_3gpuE2ELNS1_3repE0EEENS1_30default_config_static_selectorELNS0_4arch9wavefront6targetE1EEEvT1_,"axG",@progbits,_ZN7rocprim17ROCPRIM_400000_NS6detail17trampoline_kernelINS0_14default_configENS1_20scan_config_selectorIyEEZZNS1_9scan_implILNS1_25lookback_scan_determinismE0ELb1ELb1ES3_N6thrust23THRUST_200600_302600_NS6detail15normal_iteratorINS9_10device_ptrIyEEEESE_yNS9_4plusIvEEyEEDaPvRmT3_T4_T5_mT6_P12ihipStream_tbENKUlT_T0_E_clISt17integral_constantIbLb1EEST_IbLb0EEEEDaSP_SQ_EUlSP_E0_NS1_11comp_targetILNS1_3genE8ELNS1_11target_archE1030ELNS1_3gpuE2ELNS1_3repE0EEENS1_30default_config_static_selectorELNS0_4arch9wavefront6targetE1EEEvT1_,comdat
	.protected	_ZN7rocprim17ROCPRIM_400000_NS6detail17trampoline_kernelINS0_14default_configENS1_20scan_config_selectorIyEEZZNS1_9scan_implILNS1_25lookback_scan_determinismE0ELb1ELb1ES3_N6thrust23THRUST_200600_302600_NS6detail15normal_iteratorINS9_10device_ptrIyEEEESE_yNS9_4plusIvEEyEEDaPvRmT3_T4_T5_mT6_P12ihipStream_tbENKUlT_T0_E_clISt17integral_constantIbLb1EEST_IbLb0EEEEDaSP_SQ_EUlSP_E0_NS1_11comp_targetILNS1_3genE8ELNS1_11target_archE1030ELNS1_3gpuE2ELNS1_3repE0EEENS1_30default_config_static_selectorELNS0_4arch9wavefront6targetE1EEEvT1_ ; -- Begin function _ZN7rocprim17ROCPRIM_400000_NS6detail17trampoline_kernelINS0_14default_configENS1_20scan_config_selectorIyEEZZNS1_9scan_implILNS1_25lookback_scan_determinismE0ELb1ELb1ES3_N6thrust23THRUST_200600_302600_NS6detail15normal_iteratorINS9_10device_ptrIyEEEESE_yNS9_4plusIvEEyEEDaPvRmT3_T4_T5_mT6_P12ihipStream_tbENKUlT_T0_E_clISt17integral_constantIbLb1EEST_IbLb0EEEEDaSP_SQ_EUlSP_E0_NS1_11comp_targetILNS1_3genE8ELNS1_11target_archE1030ELNS1_3gpuE2ELNS1_3repE0EEENS1_30default_config_static_selectorELNS0_4arch9wavefront6targetE1EEEvT1_
	.globl	_ZN7rocprim17ROCPRIM_400000_NS6detail17trampoline_kernelINS0_14default_configENS1_20scan_config_selectorIyEEZZNS1_9scan_implILNS1_25lookback_scan_determinismE0ELb1ELb1ES3_N6thrust23THRUST_200600_302600_NS6detail15normal_iteratorINS9_10device_ptrIyEEEESE_yNS9_4plusIvEEyEEDaPvRmT3_T4_T5_mT6_P12ihipStream_tbENKUlT_T0_E_clISt17integral_constantIbLb1EEST_IbLb0EEEEDaSP_SQ_EUlSP_E0_NS1_11comp_targetILNS1_3genE8ELNS1_11target_archE1030ELNS1_3gpuE2ELNS1_3repE0EEENS1_30default_config_static_selectorELNS0_4arch9wavefront6targetE1EEEvT1_
	.p2align	8
	.type	_ZN7rocprim17ROCPRIM_400000_NS6detail17trampoline_kernelINS0_14default_configENS1_20scan_config_selectorIyEEZZNS1_9scan_implILNS1_25lookback_scan_determinismE0ELb1ELb1ES3_N6thrust23THRUST_200600_302600_NS6detail15normal_iteratorINS9_10device_ptrIyEEEESE_yNS9_4plusIvEEyEEDaPvRmT3_T4_T5_mT6_P12ihipStream_tbENKUlT_T0_E_clISt17integral_constantIbLb1EEST_IbLb0EEEEDaSP_SQ_EUlSP_E0_NS1_11comp_targetILNS1_3genE8ELNS1_11target_archE1030ELNS1_3gpuE2ELNS1_3repE0EEENS1_30default_config_static_selectorELNS0_4arch9wavefront6targetE1EEEvT1_,@function
_ZN7rocprim17ROCPRIM_400000_NS6detail17trampoline_kernelINS0_14default_configENS1_20scan_config_selectorIyEEZZNS1_9scan_implILNS1_25lookback_scan_determinismE0ELb1ELb1ES3_N6thrust23THRUST_200600_302600_NS6detail15normal_iteratorINS9_10device_ptrIyEEEESE_yNS9_4plusIvEEyEEDaPvRmT3_T4_T5_mT6_P12ihipStream_tbENKUlT_T0_E_clISt17integral_constantIbLb1EEST_IbLb0EEEEDaSP_SQ_EUlSP_E0_NS1_11comp_targetILNS1_3genE8ELNS1_11target_archE1030ELNS1_3gpuE2ELNS1_3repE0EEENS1_30default_config_static_selectorELNS0_4arch9wavefront6targetE1EEEvT1_: ; @_ZN7rocprim17ROCPRIM_400000_NS6detail17trampoline_kernelINS0_14default_configENS1_20scan_config_selectorIyEEZZNS1_9scan_implILNS1_25lookback_scan_determinismE0ELb1ELb1ES3_N6thrust23THRUST_200600_302600_NS6detail15normal_iteratorINS9_10device_ptrIyEEEESE_yNS9_4plusIvEEyEEDaPvRmT3_T4_T5_mT6_P12ihipStream_tbENKUlT_T0_E_clISt17integral_constantIbLb1EEST_IbLb0EEEEDaSP_SQ_EUlSP_E0_NS1_11comp_targetILNS1_3genE8ELNS1_11target_archE1030ELNS1_3gpuE2ELNS1_3repE0EEENS1_30default_config_static_selectorELNS0_4arch9wavefront6targetE1EEEvT1_
; %bb.0:
	.section	.rodata,"a",@progbits
	.p2align	6, 0x0
	.amdhsa_kernel _ZN7rocprim17ROCPRIM_400000_NS6detail17trampoline_kernelINS0_14default_configENS1_20scan_config_selectorIyEEZZNS1_9scan_implILNS1_25lookback_scan_determinismE0ELb1ELb1ES3_N6thrust23THRUST_200600_302600_NS6detail15normal_iteratorINS9_10device_ptrIyEEEESE_yNS9_4plusIvEEyEEDaPvRmT3_T4_T5_mT6_P12ihipStream_tbENKUlT_T0_E_clISt17integral_constantIbLb1EEST_IbLb0EEEEDaSP_SQ_EUlSP_E0_NS1_11comp_targetILNS1_3genE8ELNS1_11target_archE1030ELNS1_3gpuE2ELNS1_3repE0EEENS1_30default_config_static_selectorELNS0_4arch9wavefront6targetE1EEEvT1_
		.amdhsa_group_segment_fixed_size 0
		.amdhsa_private_segment_fixed_size 0
		.amdhsa_kernarg_size 40
		.amdhsa_user_sgpr_count 6
		.amdhsa_user_sgpr_private_segment_buffer 1
		.amdhsa_user_sgpr_dispatch_ptr 0
		.amdhsa_user_sgpr_queue_ptr 0
		.amdhsa_user_sgpr_kernarg_segment_ptr 1
		.amdhsa_user_sgpr_dispatch_id 0
		.amdhsa_user_sgpr_flat_scratch_init 0
		.amdhsa_user_sgpr_kernarg_preload_length 0
		.amdhsa_user_sgpr_kernarg_preload_offset 0
		.amdhsa_user_sgpr_private_segment_size 0
		.amdhsa_uses_dynamic_stack 0
		.amdhsa_system_sgpr_private_segment_wavefront_offset 0
		.amdhsa_system_sgpr_workgroup_id_x 1
		.amdhsa_system_sgpr_workgroup_id_y 0
		.amdhsa_system_sgpr_workgroup_id_z 0
		.amdhsa_system_sgpr_workgroup_info 0
		.amdhsa_system_vgpr_workitem_id 0
		.amdhsa_next_free_vgpr 1
		.amdhsa_next_free_sgpr 0
		.amdhsa_accum_offset 4
		.amdhsa_reserve_vcc 0
		.amdhsa_reserve_flat_scratch 0
		.amdhsa_float_round_mode_32 0
		.amdhsa_float_round_mode_16_64 0
		.amdhsa_float_denorm_mode_32 3
		.amdhsa_float_denorm_mode_16_64 3
		.amdhsa_dx10_clamp 1
		.amdhsa_ieee_mode 1
		.amdhsa_fp16_overflow 0
		.amdhsa_tg_split 0
		.amdhsa_exception_fp_ieee_invalid_op 0
		.amdhsa_exception_fp_denorm_src 0
		.amdhsa_exception_fp_ieee_div_zero 0
		.amdhsa_exception_fp_ieee_overflow 0
		.amdhsa_exception_fp_ieee_underflow 0
		.amdhsa_exception_fp_ieee_inexact 0
		.amdhsa_exception_int_div_zero 0
	.end_amdhsa_kernel
	.section	.text._ZN7rocprim17ROCPRIM_400000_NS6detail17trampoline_kernelINS0_14default_configENS1_20scan_config_selectorIyEEZZNS1_9scan_implILNS1_25lookback_scan_determinismE0ELb1ELb1ES3_N6thrust23THRUST_200600_302600_NS6detail15normal_iteratorINS9_10device_ptrIyEEEESE_yNS9_4plusIvEEyEEDaPvRmT3_T4_T5_mT6_P12ihipStream_tbENKUlT_T0_E_clISt17integral_constantIbLb1EEST_IbLb0EEEEDaSP_SQ_EUlSP_E0_NS1_11comp_targetILNS1_3genE8ELNS1_11target_archE1030ELNS1_3gpuE2ELNS1_3repE0EEENS1_30default_config_static_selectorELNS0_4arch9wavefront6targetE1EEEvT1_,"axG",@progbits,_ZN7rocprim17ROCPRIM_400000_NS6detail17trampoline_kernelINS0_14default_configENS1_20scan_config_selectorIyEEZZNS1_9scan_implILNS1_25lookback_scan_determinismE0ELb1ELb1ES3_N6thrust23THRUST_200600_302600_NS6detail15normal_iteratorINS9_10device_ptrIyEEEESE_yNS9_4plusIvEEyEEDaPvRmT3_T4_T5_mT6_P12ihipStream_tbENKUlT_T0_E_clISt17integral_constantIbLb1EEST_IbLb0EEEEDaSP_SQ_EUlSP_E0_NS1_11comp_targetILNS1_3genE8ELNS1_11target_archE1030ELNS1_3gpuE2ELNS1_3repE0EEENS1_30default_config_static_selectorELNS0_4arch9wavefront6targetE1EEEvT1_,comdat
.Lfunc_end4555:
	.size	_ZN7rocprim17ROCPRIM_400000_NS6detail17trampoline_kernelINS0_14default_configENS1_20scan_config_selectorIyEEZZNS1_9scan_implILNS1_25lookback_scan_determinismE0ELb1ELb1ES3_N6thrust23THRUST_200600_302600_NS6detail15normal_iteratorINS9_10device_ptrIyEEEESE_yNS9_4plusIvEEyEEDaPvRmT3_T4_T5_mT6_P12ihipStream_tbENKUlT_T0_E_clISt17integral_constantIbLb1EEST_IbLb0EEEEDaSP_SQ_EUlSP_E0_NS1_11comp_targetILNS1_3genE8ELNS1_11target_archE1030ELNS1_3gpuE2ELNS1_3repE0EEENS1_30default_config_static_selectorELNS0_4arch9wavefront6targetE1EEEvT1_, .Lfunc_end4555-_ZN7rocprim17ROCPRIM_400000_NS6detail17trampoline_kernelINS0_14default_configENS1_20scan_config_selectorIyEEZZNS1_9scan_implILNS1_25lookback_scan_determinismE0ELb1ELb1ES3_N6thrust23THRUST_200600_302600_NS6detail15normal_iteratorINS9_10device_ptrIyEEEESE_yNS9_4plusIvEEyEEDaPvRmT3_T4_T5_mT6_P12ihipStream_tbENKUlT_T0_E_clISt17integral_constantIbLb1EEST_IbLb0EEEEDaSP_SQ_EUlSP_E0_NS1_11comp_targetILNS1_3genE8ELNS1_11target_archE1030ELNS1_3gpuE2ELNS1_3repE0EEENS1_30default_config_static_selectorELNS0_4arch9wavefront6targetE1EEEvT1_
                                        ; -- End function
	.section	.AMDGPU.csdata,"",@progbits
; Kernel info:
; codeLenInByte = 0
; NumSgprs: 4
; NumVgprs: 0
; NumAgprs: 0
; TotalNumVgprs: 0
; ScratchSize: 0
; MemoryBound: 0
; FloatMode: 240
; IeeeMode: 1
; LDSByteSize: 0 bytes/workgroup (compile time only)
; SGPRBlocks: 0
; VGPRBlocks: 0
; NumSGPRsForWavesPerEU: 4
; NumVGPRsForWavesPerEU: 1
; AccumOffset: 4
; Occupancy: 8
; WaveLimiterHint : 0
; COMPUTE_PGM_RSRC2:SCRATCH_EN: 0
; COMPUTE_PGM_RSRC2:USER_SGPR: 6
; COMPUTE_PGM_RSRC2:TRAP_HANDLER: 0
; COMPUTE_PGM_RSRC2:TGID_X_EN: 1
; COMPUTE_PGM_RSRC2:TGID_Y_EN: 0
; COMPUTE_PGM_RSRC2:TGID_Z_EN: 0
; COMPUTE_PGM_RSRC2:TIDIG_COMP_CNT: 0
; COMPUTE_PGM_RSRC3_GFX90A:ACCUM_OFFSET: 0
; COMPUTE_PGM_RSRC3_GFX90A:TG_SPLIT: 0
	.section	.text._ZN7rocprim17ROCPRIM_400000_NS6detail17trampoline_kernelINS0_14default_configENS1_20scan_config_selectorIyEEZZNS1_9scan_implILNS1_25lookback_scan_determinismE0ELb1ELb1ES3_N6thrust23THRUST_200600_302600_NS6detail15normal_iteratorINS9_10device_ptrIyEEEESE_yNS9_4plusIvEEyEEDaPvRmT3_T4_T5_mT6_P12ihipStream_tbENKUlT_T0_E_clISt17integral_constantIbLb0EEST_IbLb1EEEEDaSP_SQ_EUlSP_E_NS1_11comp_targetILNS1_3genE0ELNS1_11target_archE4294967295ELNS1_3gpuE0ELNS1_3repE0EEENS1_30default_config_static_selectorELNS0_4arch9wavefront6targetE1EEEvT1_,"axG",@progbits,_ZN7rocprim17ROCPRIM_400000_NS6detail17trampoline_kernelINS0_14default_configENS1_20scan_config_selectorIyEEZZNS1_9scan_implILNS1_25lookback_scan_determinismE0ELb1ELb1ES3_N6thrust23THRUST_200600_302600_NS6detail15normal_iteratorINS9_10device_ptrIyEEEESE_yNS9_4plusIvEEyEEDaPvRmT3_T4_T5_mT6_P12ihipStream_tbENKUlT_T0_E_clISt17integral_constantIbLb0EEST_IbLb1EEEEDaSP_SQ_EUlSP_E_NS1_11comp_targetILNS1_3genE0ELNS1_11target_archE4294967295ELNS1_3gpuE0ELNS1_3repE0EEENS1_30default_config_static_selectorELNS0_4arch9wavefront6targetE1EEEvT1_,comdat
	.protected	_ZN7rocprim17ROCPRIM_400000_NS6detail17trampoline_kernelINS0_14default_configENS1_20scan_config_selectorIyEEZZNS1_9scan_implILNS1_25lookback_scan_determinismE0ELb1ELb1ES3_N6thrust23THRUST_200600_302600_NS6detail15normal_iteratorINS9_10device_ptrIyEEEESE_yNS9_4plusIvEEyEEDaPvRmT3_T4_T5_mT6_P12ihipStream_tbENKUlT_T0_E_clISt17integral_constantIbLb0EEST_IbLb1EEEEDaSP_SQ_EUlSP_E_NS1_11comp_targetILNS1_3genE0ELNS1_11target_archE4294967295ELNS1_3gpuE0ELNS1_3repE0EEENS1_30default_config_static_selectorELNS0_4arch9wavefront6targetE1EEEvT1_ ; -- Begin function _ZN7rocprim17ROCPRIM_400000_NS6detail17trampoline_kernelINS0_14default_configENS1_20scan_config_selectorIyEEZZNS1_9scan_implILNS1_25lookback_scan_determinismE0ELb1ELb1ES3_N6thrust23THRUST_200600_302600_NS6detail15normal_iteratorINS9_10device_ptrIyEEEESE_yNS9_4plusIvEEyEEDaPvRmT3_T4_T5_mT6_P12ihipStream_tbENKUlT_T0_E_clISt17integral_constantIbLb0EEST_IbLb1EEEEDaSP_SQ_EUlSP_E_NS1_11comp_targetILNS1_3genE0ELNS1_11target_archE4294967295ELNS1_3gpuE0ELNS1_3repE0EEENS1_30default_config_static_selectorELNS0_4arch9wavefront6targetE1EEEvT1_
	.globl	_ZN7rocprim17ROCPRIM_400000_NS6detail17trampoline_kernelINS0_14default_configENS1_20scan_config_selectorIyEEZZNS1_9scan_implILNS1_25lookback_scan_determinismE0ELb1ELb1ES3_N6thrust23THRUST_200600_302600_NS6detail15normal_iteratorINS9_10device_ptrIyEEEESE_yNS9_4plusIvEEyEEDaPvRmT3_T4_T5_mT6_P12ihipStream_tbENKUlT_T0_E_clISt17integral_constantIbLb0EEST_IbLb1EEEEDaSP_SQ_EUlSP_E_NS1_11comp_targetILNS1_3genE0ELNS1_11target_archE4294967295ELNS1_3gpuE0ELNS1_3repE0EEENS1_30default_config_static_selectorELNS0_4arch9wavefront6targetE1EEEvT1_
	.p2align	8
	.type	_ZN7rocprim17ROCPRIM_400000_NS6detail17trampoline_kernelINS0_14default_configENS1_20scan_config_selectorIyEEZZNS1_9scan_implILNS1_25lookback_scan_determinismE0ELb1ELb1ES3_N6thrust23THRUST_200600_302600_NS6detail15normal_iteratorINS9_10device_ptrIyEEEESE_yNS9_4plusIvEEyEEDaPvRmT3_T4_T5_mT6_P12ihipStream_tbENKUlT_T0_E_clISt17integral_constantIbLb0EEST_IbLb1EEEEDaSP_SQ_EUlSP_E_NS1_11comp_targetILNS1_3genE0ELNS1_11target_archE4294967295ELNS1_3gpuE0ELNS1_3repE0EEENS1_30default_config_static_selectorELNS0_4arch9wavefront6targetE1EEEvT1_,@function
_ZN7rocprim17ROCPRIM_400000_NS6detail17trampoline_kernelINS0_14default_configENS1_20scan_config_selectorIyEEZZNS1_9scan_implILNS1_25lookback_scan_determinismE0ELb1ELb1ES3_N6thrust23THRUST_200600_302600_NS6detail15normal_iteratorINS9_10device_ptrIyEEEESE_yNS9_4plusIvEEyEEDaPvRmT3_T4_T5_mT6_P12ihipStream_tbENKUlT_T0_E_clISt17integral_constantIbLb0EEST_IbLb1EEEEDaSP_SQ_EUlSP_E_NS1_11comp_targetILNS1_3genE0ELNS1_11target_archE4294967295ELNS1_3gpuE0ELNS1_3repE0EEENS1_30default_config_static_selectorELNS0_4arch9wavefront6targetE1EEEvT1_: ; @_ZN7rocprim17ROCPRIM_400000_NS6detail17trampoline_kernelINS0_14default_configENS1_20scan_config_selectorIyEEZZNS1_9scan_implILNS1_25lookback_scan_determinismE0ELb1ELb1ES3_N6thrust23THRUST_200600_302600_NS6detail15normal_iteratorINS9_10device_ptrIyEEEESE_yNS9_4plusIvEEyEEDaPvRmT3_T4_T5_mT6_P12ihipStream_tbENKUlT_T0_E_clISt17integral_constantIbLb0EEST_IbLb1EEEEDaSP_SQ_EUlSP_E_NS1_11comp_targetILNS1_3genE0ELNS1_11target_archE4294967295ELNS1_3gpuE0ELNS1_3repE0EEENS1_30default_config_static_selectorELNS0_4arch9wavefront6targetE1EEEvT1_
; %bb.0:
	.section	.rodata,"a",@progbits
	.p2align	6, 0x0
	.amdhsa_kernel _ZN7rocprim17ROCPRIM_400000_NS6detail17trampoline_kernelINS0_14default_configENS1_20scan_config_selectorIyEEZZNS1_9scan_implILNS1_25lookback_scan_determinismE0ELb1ELb1ES3_N6thrust23THRUST_200600_302600_NS6detail15normal_iteratorINS9_10device_ptrIyEEEESE_yNS9_4plusIvEEyEEDaPvRmT3_T4_T5_mT6_P12ihipStream_tbENKUlT_T0_E_clISt17integral_constantIbLb0EEST_IbLb1EEEEDaSP_SQ_EUlSP_E_NS1_11comp_targetILNS1_3genE0ELNS1_11target_archE4294967295ELNS1_3gpuE0ELNS1_3repE0EEENS1_30default_config_static_selectorELNS0_4arch9wavefront6targetE1EEEvT1_
		.amdhsa_group_segment_fixed_size 0
		.amdhsa_private_segment_fixed_size 0
		.amdhsa_kernarg_size 104
		.amdhsa_user_sgpr_count 6
		.amdhsa_user_sgpr_private_segment_buffer 1
		.amdhsa_user_sgpr_dispatch_ptr 0
		.amdhsa_user_sgpr_queue_ptr 0
		.amdhsa_user_sgpr_kernarg_segment_ptr 1
		.amdhsa_user_sgpr_dispatch_id 0
		.amdhsa_user_sgpr_flat_scratch_init 0
		.amdhsa_user_sgpr_kernarg_preload_length 0
		.amdhsa_user_sgpr_kernarg_preload_offset 0
		.amdhsa_user_sgpr_private_segment_size 0
		.amdhsa_uses_dynamic_stack 0
		.amdhsa_system_sgpr_private_segment_wavefront_offset 0
		.amdhsa_system_sgpr_workgroup_id_x 1
		.amdhsa_system_sgpr_workgroup_id_y 0
		.amdhsa_system_sgpr_workgroup_id_z 0
		.amdhsa_system_sgpr_workgroup_info 0
		.amdhsa_system_vgpr_workitem_id 0
		.amdhsa_next_free_vgpr 1
		.amdhsa_next_free_sgpr 0
		.amdhsa_accum_offset 4
		.amdhsa_reserve_vcc 0
		.amdhsa_reserve_flat_scratch 0
		.amdhsa_float_round_mode_32 0
		.amdhsa_float_round_mode_16_64 0
		.amdhsa_float_denorm_mode_32 3
		.amdhsa_float_denorm_mode_16_64 3
		.amdhsa_dx10_clamp 1
		.amdhsa_ieee_mode 1
		.amdhsa_fp16_overflow 0
		.amdhsa_tg_split 0
		.amdhsa_exception_fp_ieee_invalid_op 0
		.amdhsa_exception_fp_denorm_src 0
		.amdhsa_exception_fp_ieee_div_zero 0
		.amdhsa_exception_fp_ieee_overflow 0
		.amdhsa_exception_fp_ieee_underflow 0
		.amdhsa_exception_fp_ieee_inexact 0
		.amdhsa_exception_int_div_zero 0
	.end_amdhsa_kernel
	.section	.text._ZN7rocprim17ROCPRIM_400000_NS6detail17trampoline_kernelINS0_14default_configENS1_20scan_config_selectorIyEEZZNS1_9scan_implILNS1_25lookback_scan_determinismE0ELb1ELb1ES3_N6thrust23THRUST_200600_302600_NS6detail15normal_iteratorINS9_10device_ptrIyEEEESE_yNS9_4plusIvEEyEEDaPvRmT3_T4_T5_mT6_P12ihipStream_tbENKUlT_T0_E_clISt17integral_constantIbLb0EEST_IbLb1EEEEDaSP_SQ_EUlSP_E_NS1_11comp_targetILNS1_3genE0ELNS1_11target_archE4294967295ELNS1_3gpuE0ELNS1_3repE0EEENS1_30default_config_static_selectorELNS0_4arch9wavefront6targetE1EEEvT1_,"axG",@progbits,_ZN7rocprim17ROCPRIM_400000_NS6detail17trampoline_kernelINS0_14default_configENS1_20scan_config_selectorIyEEZZNS1_9scan_implILNS1_25lookback_scan_determinismE0ELb1ELb1ES3_N6thrust23THRUST_200600_302600_NS6detail15normal_iteratorINS9_10device_ptrIyEEEESE_yNS9_4plusIvEEyEEDaPvRmT3_T4_T5_mT6_P12ihipStream_tbENKUlT_T0_E_clISt17integral_constantIbLb0EEST_IbLb1EEEEDaSP_SQ_EUlSP_E_NS1_11comp_targetILNS1_3genE0ELNS1_11target_archE4294967295ELNS1_3gpuE0ELNS1_3repE0EEENS1_30default_config_static_selectorELNS0_4arch9wavefront6targetE1EEEvT1_,comdat
.Lfunc_end4556:
	.size	_ZN7rocprim17ROCPRIM_400000_NS6detail17trampoline_kernelINS0_14default_configENS1_20scan_config_selectorIyEEZZNS1_9scan_implILNS1_25lookback_scan_determinismE0ELb1ELb1ES3_N6thrust23THRUST_200600_302600_NS6detail15normal_iteratorINS9_10device_ptrIyEEEESE_yNS9_4plusIvEEyEEDaPvRmT3_T4_T5_mT6_P12ihipStream_tbENKUlT_T0_E_clISt17integral_constantIbLb0EEST_IbLb1EEEEDaSP_SQ_EUlSP_E_NS1_11comp_targetILNS1_3genE0ELNS1_11target_archE4294967295ELNS1_3gpuE0ELNS1_3repE0EEENS1_30default_config_static_selectorELNS0_4arch9wavefront6targetE1EEEvT1_, .Lfunc_end4556-_ZN7rocprim17ROCPRIM_400000_NS6detail17trampoline_kernelINS0_14default_configENS1_20scan_config_selectorIyEEZZNS1_9scan_implILNS1_25lookback_scan_determinismE0ELb1ELb1ES3_N6thrust23THRUST_200600_302600_NS6detail15normal_iteratorINS9_10device_ptrIyEEEESE_yNS9_4plusIvEEyEEDaPvRmT3_T4_T5_mT6_P12ihipStream_tbENKUlT_T0_E_clISt17integral_constantIbLb0EEST_IbLb1EEEEDaSP_SQ_EUlSP_E_NS1_11comp_targetILNS1_3genE0ELNS1_11target_archE4294967295ELNS1_3gpuE0ELNS1_3repE0EEENS1_30default_config_static_selectorELNS0_4arch9wavefront6targetE1EEEvT1_
                                        ; -- End function
	.section	.AMDGPU.csdata,"",@progbits
; Kernel info:
; codeLenInByte = 0
; NumSgprs: 4
; NumVgprs: 0
; NumAgprs: 0
; TotalNumVgprs: 0
; ScratchSize: 0
; MemoryBound: 0
; FloatMode: 240
; IeeeMode: 1
; LDSByteSize: 0 bytes/workgroup (compile time only)
; SGPRBlocks: 0
; VGPRBlocks: 0
; NumSGPRsForWavesPerEU: 4
; NumVGPRsForWavesPerEU: 1
; AccumOffset: 4
; Occupancy: 8
; WaveLimiterHint : 0
; COMPUTE_PGM_RSRC2:SCRATCH_EN: 0
; COMPUTE_PGM_RSRC2:USER_SGPR: 6
; COMPUTE_PGM_RSRC2:TRAP_HANDLER: 0
; COMPUTE_PGM_RSRC2:TGID_X_EN: 1
; COMPUTE_PGM_RSRC2:TGID_Y_EN: 0
; COMPUTE_PGM_RSRC2:TGID_Z_EN: 0
; COMPUTE_PGM_RSRC2:TIDIG_COMP_CNT: 0
; COMPUTE_PGM_RSRC3_GFX90A:ACCUM_OFFSET: 0
; COMPUTE_PGM_RSRC3_GFX90A:TG_SPLIT: 0
	.section	.text._ZN7rocprim17ROCPRIM_400000_NS6detail17trampoline_kernelINS0_14default_configENS1_20scan_config_selectorIyEEZZNS1_9scan_implILNS1_25lookback_scan_determinismE0ELb1ELb1ES3_N6thrust23THRUST_200600_302600_NS6detail15normal_iteratorINS9_10device_ptrIyEEEESE_yNS9_4plusIvEEyEEDaPvRmT3_T4_T5_mT6_P12ihipStream_tbENKUlT_T0_E_clISt17integral_constantIbLb0EEST_IbLb1EEEEDaSP_SQ_EUlSP_E_NS1_11comp_targetILNS1_3genE5ELNS1_11target_archE942ELNS1_3gpuE9ELNS1_3repE0EEENS1_30default_config_static_selectorELNS0_4arch9wavefront6targetE1EEEvT1_,"axG",@progbits,_ZN7rocprim17ROCPRIM_400000_NS6detail17trampoline_kernelINS0_14default_configENS1_20scan_config_selectorIyEEZZNS1_9scan_implILNS1_25lookback_scan_determinismE0ELb1ELb1ES3_N6thrust23THRUST_200600_302600_NS6detail15normal_iteratorINS9_10device_ptrIyEEEESE_yNS9_4plusIvEEyEEDaPvRmT3_T4_T5_mT6_P12ihipStream_tbENKUlT_T0_E_clISt17integral_constantIbLb0EEST_IbLb1EEEEDaSP_SQ_EUlSP_E_NS1_11comp_targetILNS1_3genE5ELNS1_11target_archE942ELNS1_3gpuE9ELNS1_3repE0EEENS1_30default_config_static_selectorELNS0_4arch9wavefront6targetE1EEEvT1_,comdat
	.protected	_ZN7rocprim17ROCPRIM_400000_NS6detail17trampoline_kernelINS0_14default_configENS1_20scan_config_selectorIyEEZZNS1_9scan_implILNS1_25lookback_scan_determinismE0ELb1ELb1ES3_N6thrust23THRUST_200600_302600_NS6detail15normal_iteratorINS9_10device_ptrIyEEEESE_yNS9_4plusIvEEyEEDaPvRmT3_T4_T5_mT6_P12ihipStream_tbENKUlT_T0_E_clISt17integral_constantIbLb0EEST_IbLb1EEEEDaSP_SQ_EUlSP_E_NS1_11comp_targetILNS1_3genE5ELNS1_11target_archE942ELNS1_3gpuE9ELNS1_3repE0EEENS1_30default_config_static_selectorELNS0_4arch9wavefront6targetE1EEEvT1_ ; -- Begin function _ZN7rocprim17ROCPRIM_400000_NS6detail17trampoline_kernelINS0_14default_configENS1_20scan_config_selectorIyEEZZNS1_9scan_implILNS1_25lookback_scan_determinismE0ELb1ELb1ES3_N6thrust23THRUST_200600_302600_NS6detail15normal_iteratorINS9_10device_ptrIyEEEESE_yNS9_4plusIvEEyEEDaPvRmT3_T4_T5_mT6_P12ihipStream_tbENKUlT_T0_E_clISt17integral_constantIbLb0EEST_IbLb1EEEEDaSP_SQ_EUlSP_E_NS1_11comp_targetILNS1_3genE5ELNS1_11target_archE942ELNS1_3gpuE9ELNS1_3repE0EEENS1_30default_config_static_selectorELNS0_4arch9wavefront6targetE1EEEvT1_
	.globl	_ZN7rocprim17ROCPRIM_400000_NS6detail17trampoline_kernelINS0_14default_configENS1_20scan_config_selectorIyEEZZNS1_9scan_implILNS1_25lookback_scan_determinismE0ELb1ELb1ES3_N6thrust23THRUST_200600_302600_NS6detail15normal_iteratorINS9_10device_ptrIyEEEESE_yNS9_4plusIvEEyEEDaPvRmT3_T4_T5_mT6_P12ihipStream_tbENKUlT_T0_E_clISt17integral_constantIbLb0EEST_IbLb1EEEEDaSP_SQ_EUlSP_E_NS1_11comp_targetILNS1_3genE5ELNS1_11target_archE942ELNS1_3gpuE9ELNS1_3repE0EEENS1_30default_config_static_selectorELNS0_4arch9wavefront6targetE1EEEvT1_
	.p2align	8
	.type	_ZN7rocprim17ROCPRIM_400000_NS6detail17trampoline_kernelINS0_14default_configENS1_20scan_config_selectorIyEEZZNS1_9scan_implILNS1_25lookback_scan_determinismE0ELb1ELb1ES3_N6thrust23THRUST_200600_302600_NS6detail15normal_iteratorINS9_10device_ptrIyEEEESE_yNS9_4plusIvEEyEEDaPvRmT3_T4_T5_mT6_P12ihipStream_tbENKUlT_T0_E_clISt17integral_constantIbLb0EEST_IbLb1EEEEDaSP_SQ_EUlSP_E_NS1_11comp_targetILNS1_3genE5ELNS1_11target_archE942ELNS1_3gpuE9ELNS1_3repE0EEENS1_30default_config_static_selectorELNS0_4arch9wavefront6targetE1EEEvT1_,@function
_ZN7rocprim17ROCPRIM_400000_NS6detail17trampoline_kernelINS0_14default_configENS1_20scan_config_selectorIyEEZZNS1_9scan_implILNS1_25lookback_scan_determinismE0ELb1ELb1ES3_N6thrust23THRUST_200600_302600_NS6detail15normal_iteratorINS9_10device_ptrIyEEEESE_yNS9_4plusIvEEyEEDaPvRmT3_T4_T5_mT6_P12ihipStream_tbENKUlT_T0_E_clISt17integral_constantIbLb0EEST_IbLb1EEEEDaSP_SQ_EUlSP_E_NS1_11comp_targetILNS1_3genE5ELNS1_11target_archE942ELNS1_3gpuE9ELNS1_3repE0EEENS1_30default_config_static_selectorELNS0_4arch9wavefront6targetE1EEEvT1_: ; @_ZN7rocprim17ROCPRIM_400000_NS6detail17trampoline_kernelINS0_14default_configENS1_20scan_config_selectorIyEEZZNS1_9scan_implILNS1_25lookback_scan_determinismE0ELb1ELb1ES3_N6thrust23THRUST_200600_302600_NS6detail15normal_iteratorINS9_10device_ptrIyEEEESE_yNS9_4plusIvEEyEEDaPvRmT3_T4_T5_mT6_P12ihipStream_tbENKUlT_T0_E_clISt17integral_constantIbLb0EEST_IbLb1EEEEDaSP_SQ_EUlSP_E_NS1_11comp_targetILNS1_3genE5ELNS1_11target_archE942ELNS1_3gpuE9ELNS1_3repE0EEENS1_30default_config_static_selectorELNS0_4arch9wavefront6targetE1EEEvT1_
; %bb.0:
	.section	.rodata,"a",@progbits
	.p2align	6, 0x0
	.amdhsa_kernel _ZN7rocprim17ROCPRIM_400000_NS6detail17trampoline_kernelINS0_14default_configENS1_20scan_config_selectorIyEEZZNS1_9scan_implILNS1_25lookback_scan_determinismE0ELb1ELb1ES3_N6thrust23THRUST_200600_302600_NS6detail15normal_iteratorINS9_10device_ptrIyEEEESE_yNS9_4plusIvEEyEEDaPvRmT3_T4_T5_mT6_P12ihipStream_tbENKUlT_T0_E_clISt17integral_constantIbLb0EEST_IbLb1EEEEDaSP_SQ_EUlSP_E_NS1_11comp_targetILNS1_3genE5ELNS1_11target_archE942ELNS1_3gpuE9ELNS1_3repE0EEENS1_30default_config_static_selectorELNS0_4arch9wavefront6targetE1EEEvT1_
		.amdhsa_group_segment_fixed_size 0
		.amdhsa_private_segment_fixed_size 0
		.amdhsa_kernarg_size 104
		.amdhsa_user_sgpr_count 6
		.amdhsa_user_sgpr_private_segment_buffer 1
		.amdhsa_user_sgpr_dispatch_ptr 0
		.amdhsa_user_sgpr_queue_ptr 0
		.amdhsa_user_sgpr_kernarg_segment_ptr 1
		.amdhsa_user_sgpr_dispatch_id 0
		.amdhsa_user_sgpr_flat_scratch_init 0
		.amdhsa_user_sgpr_kernarg_preload_length 0
		.amdhsa_user_sgpr_kernarg_preload_offset 0
		.amdhsa_user_sgpr_private_segment_size 0
		.amdhsa_uses_dynamic_stack 0
		.amdhsa_system_sgpr_private_segment_wavefront_offset 0
		.amdhsa_system_sgpr_workgroup_id_x 1
		.amdhsa_system_sgpr_workgroup_id_y 0
		.amdhsa_system_sgpr_workgroup_id_z 0
		.amdhsa_system_sgpr_workgroup_info 0
		.amdhsa_system_vgpr_workitem_id 0
		.amdhsa_next_free_vgpr 1
		.amdhsa_next_free_sgpr 0
		.amdhsa_accum_offset 4
		.amdhsa_reserve_vcc 0
		.amdhsa_reserve_flat_scratch 0
		.amdhsa_float_round_mode_32 0
		.amdhsa_float_round_mode_16_64 0
		.amdhsa_float_denorm_mode_32 3
		.amdhsa_float_denorm_mode_16_64 3
		.amdhsa_dx10_clamp 1
		.amdhsa_ieee_mode 1
		.amdhsa_fp16_overflow 0
		.amdhsa_tg_split 0
		.amdhsa_exception_fp_ieee_invalid_op 0
		.amdhsa_exception_fp_denorm_src 0
		.amdhsa_exception_fp_ieee_div_zero 0
		.amdhsa_exception_fp_ieee_overflow 0
		.amdhsa_exception_fp_ieee_underflow 0
		.amdhsa_exception_fp_ieee_inexact 0
		.amdhsa_exception_int_div_zero 0
	.end_amdhsa_kernel
	.section	.text._ZN7rocprim17ROCPRIM_400000_NS6detail17trampoline_kernelINS0_14default_configENS1_20scan_config_selectorIyEEZZNS1_9scan_implILNS1_25lookback_scan_determinismE0ELb1ELb1ES3_N6thrust23THRUST_200600_302600_NS6detail15normal_iteratorINS9_10device_ptrIyEEEESE_yNS9_4plusIvEEyEEDaPvRmT3_T4_T5_mT6_P12ihipStream_tbENKUlT_T0_E_clISt17integral_constantIbLb0EEST_IbLb1EEEEDaSP_SQ_EUlSP_E_NS1_11comp_targetILNS1_3genE5ELNS1_11target_archE942ELNS1_3gpuE9ELNS1_3repE0EEENS1_30default_config_static_selectorELNS0_4arch9wavefront6targetE1EEEvT1_,"axG",@progbits,_ZN7rocprim17ROCPRIM_400000_NS6detail17trampoline_kernelINS0_14default_configENS1_20scan_config_selectorIyEEZZNS1_9scan_implILNS1_25lookback_scan_determinismE0ELb1ELb1ES3_N6thrust23THRUST_200600_302600_NS6detail15normal_iteratorINS9_10device_ptrIyEEEESE_yNS9_4plusIvEEyEEDaPvRmT3_T4_T5_mT6_P12ihipStream_tbENKUlT_T0_E_clISt17integral_constantIbLb0EEST_IbLb1EEEEDaSP_SQ_EUlSP_E_NS1_11comp_targetILNS1_3genE5ELNS1_11target_archE942ELNS1_3gpuE9ELNS1_3repE0EEENS1_30default_config_static_selectorELNS0_4arch9wavefront6targetE1EEEvT1_,comdat
.Lfunc_end4557:
	.size	_ZN7rocprim17ROCPRIM_400000_NS6detail17trampoline_kernelINS0_14default_configENS1_20scan_config_selectorIyEEZZNS1_9scan_implILNS1_25lookback_scan_determinismE0ELb1ELb1ES3_N6thrust23THRUST_200600_302600_NS6detail15normal_iteratorINS9_10device_ptrIyEEEESE_yNS9_4plusIvEEyEEDaPvRmT3_T4_T5_mT6_P12ihipStream_tbENKUlT_T0_E_clISt17integral_constantIbLb0EEST_IbLb1EEEEDaSP_SQ_EUlSP_E_NS1_11comp_targetILNS1_3genE5ELNS1_11target_archE942ELNS1_3gpuE9ELNS1_3repE0EEENS1_30default_config_static_selectorELNS0_4arch9wavefront6targetE1EEEvT1_, .Lfunc_end4557-_ZN7rocprim17ROCPRIM_400000_NS6detail17trampoline_kernelINS0_14default_configENS1_20scan_config_selectorIyEEZZNS1_9scan_implILNS1_25lookback_scan_determinismE0ELb1ELb1ES3_N6thrust23THRUST_200600_302600_NS6detail15normal_iteratorINS9_10device_ptrIyEEEESE_yNS9_4plusIvEEyEEDaPvRmT3_T4_T5_mT6_P12ihipStream_tbENKUlT_T0_E_clISt17integral_constantIbLb0EEST_IbLb1EEEEDaSP_SQ_EUlSP_E_NS1_11comp_targetILNS1_3genE5ELNS1_11target_archE942ELNS1_3gpuE9ELNS1_3repE0EEENS1_30default_config_static_selectorELNS0_4arch9wavefront6targetE1EEEvT1_
                                        ; -- End function
	.section	.AMDGPU.csdata,"",@progbits
; Kernel info:
; codeLenInByte = 0
; NumSgprs: 4
; NumVgprs: 0
; NumAgprs: 0
; TotalNumVgprs: 0
; ScratchSize: 0
; MemoryBound: 0
; FloatMode: 240
; IeeeMode: 1
; LDSByteSize: 0 bytes/workgroup (compile time only)
; SGPRBlocks: 0
; VGPRBlocks: 0
; NumSGPRsForWavesPerEU: 4
; NumVGPRsForWavesPerEU: 1
; AccumOffset: 4
; Occupancy: 8
; WaveLimiterHint : 0
; COMPUTE_PGM_RSRC2:SCRATCH_EN: 0
; COMPUTE_PGM_RSRC2:USER_SGPR: 6
; COMPUTE_PGM_RSRC2:TRAP_HANDLER: 0
; COMPUTE_PGM_RSRC2:TGID_X_EN: 1
; COMPUTE_PGM_RSRC2:TGID_Y_EN: 0
; COMPUTE_PGM_RSRC2:TGID_Z_EN: 0
; COMPUTE_PGM_RSRC2:TIDIG_COMP_CNT: 0
; COMPUTE_PGM_RSRC3_GFX90A:ACCUM_OFFSET: 0
; COMPUTE_PGM_RSRC3_GFX90A:TG_SPLIT: 0
	.section	.text._ZN7rocprim17ROCPRIM_400000_NS6detail17trampoline_kernelINS0_14default_configENS1_20scan_config_selectorIyEEZZNS1_9scan_implILNS1_25lookback_scan_determinismE0ELb1ELb1ES3_N6thrust23THRUST_200600_302600_NS6detail15normal_iteratorINS9_10device_ptrIyEEEESE_yNS9_4plusIvEEyEEDaPvRmT3_T4_T5_mT6_P12ihipStream_tbENKUlT_T0_E_clISt17integral_constantIbLb0EEST_IbLb1EEEEDaSP_SQ_EUlSP_E_NS1_11comp_targetILNS1_3genE4ELNS1_11target_archE910ELNS1_3gpuE8ELNS1_3repE0EEENS1_30default_config_static_selectorELNS0_4arch9wavefront6targetE1EEEvT1_,"axG",@progbits,_ZN7rocprim17ROCPRIM_400000_NS6detail17trampoline_kernelINS0_14default_configENS1_20scan_config_selectorIyEEZZNS1_9scan_implILNS1_25lookback_scan_determinismE0ELb1ELb1ES3_N6thrust23THRUST_200600_302600_NS6detail15normal_iteratorINS9_10device_ptrIyEEEESE_yNS9_4plusIvEEyEEDaPvRmT3_T4_T5_mT6_P12ihipStream_tbENKUlT_T0_E_clISt17integral_constantIbLb0EEST_IbLb1EEEEDaSP_SQ_EUlSP_E_NS1_11comp_targetILNS1_3genE4ELNS1_11target_archE910ELNS1_3gpuE8ELNS1_3repE0EEENS1_30default_config_static_selectorELNS0_4arch9wavefront6targetE1EEEvT1_,comdat
	.protected	_ZN7rocprim17ROCPRIM_400000_NS6detail17trampoline_kernelINS0_14default_configENS1_20scan_config_selectorIyEEZZNS1_9scan_implILNS1_25lookback_scan_determinismE0ELb1ELb1ES3_N6thrust23THRUST_200600_302600_NS6detail15normal_iteratorINS9_10device_ptrIyEEEESE_yNS9_4plusIvEEyEEDaPvRmT3_T4_T5_mT6_P12ihipStream_tbENKUlT_T0_E_clISt17integral_constantIbLb0EEST_IbLb1EEEEDaSP_SQ_EUlSP_E_NS1_11comp_targetILNS1_3genE4ELNS1_11target_archE910ELNS1_3gpuE8ELNS1_3repE0EEENS1_30default_config_static_selectorELNS0_4arch9wavefront6targetE1EEEvT1_ ; -- Begin function _ZN7rocprim17ROCPRIM_400000_NS6detail17trampoline_kernelINS0_14default_configENS1_20scan_config_selectorIyEEZZNS1_9scan_implILNS1_25lookback_scan_determinismE0ELb1ELb1ES3_N6thrust23THRUST_200600_302600_NS6detail15normal_iteratorINS9_10device_ptrIyEEEESE_yNS9_4plusIvEEyEEDaPvRmT3_T4_T5_mT6_P12ihipStream_tbENKUlT_T0_E_clISt17integral_constantIbLb0EEST_IbLb1EEEEDaSP_SQ_EUlSP_E_NS1_11comp_targetILNS1_3genE4ELNS1_11target_archE910ELNS1_3gpuE8ELNS1_3repE0EEENS1_30default_config_static_selectorELNS0_4arch9wavefront6targetE1EEEvT1_
	.globl	_ZN7rocprim17ROCPRIM_400000_NS6detail17trampoline_kernelINS0_14default_configENS1_20scan_config_selectorIyEEZZNS1_9scan_implILNS1_25lookback_scan_determinismE0ELb1ELb1ES3_N6thrust23THRUST_200600_302600_NS6detail15normal_iteratorINS9_10device_ptrIyEEEESE_yNS9_4plusIvEEyEEDaPvRmT3_T4_T5_mT6_P12ihipStream_tbENKUlT_T0_E_clISt17integral_constantIbLb0EEST_IbLb1EEEEDaSP_SQ_EUlSP_E_NS1_11comp_targetILNS1_3genE4ELNS1_11target_archE910ELNS1_3gpuE8ELNS1_3repE0EEENS1_30default_config_static_selectorELNS0_4arch9wavefront6targetE1EEEvT1_
	.p2align	8
	.type	_ZN7rocprim17ROCPRIM_400000_NS6detail17trampoline_kernelINS0_14default_configENS1_20scan_config_selectorIyEEZZNS1_9scan_implILNS1_25lookback_scan_determinismE0ELb1ELb1ES3_N6thrust23THRUST_200600_302600_NS6detail15normal_iteratorINS9_10device_ptrIyEEEESE_yNS9_4plusIvEEyEEDaPvRmT3_T4_T5_mT6_P12ihipStream_tbENKUlT_T0_E_clISt17integral_constantIbLb0EEST_IbLb1EEEEDaSP_SQ_EUlSP_E_NS1_11comp_targetILNS1_3genE4ELNS1_11target_archE910ELNS1_3gpuE8ELNS1_3repE0EEENS1_30default_config_static_selectorELNS0_4arch9wavefront6targetE1EEEvT1_,@function
_ZN7rocprim17ROCPRIM_400000_NS6detail17trampoline_kernelINS0_14default_configENS1_20scan_config_selectorIyEEZZNS1_9scan_implILNS1_25lookback_scan_determinismE0ELb1ELb1ES3_N6thrust23THRUST_200600_302600_NS6detail15normal_iteratorINS9_10device_ptrIyEEEESE_yNS9_4plusIvEEyEEDaPvRmT3_T4_T5_mT6_P12ihipStream_tbENKUlT_T0_E_clISt17integral_constantIbLb0EEST_IbLb1EEEEDaSP_SQ_EUlSP_E_NS1_11comp_targetILNS1_3genE4ELNS1_11target_archE910ELNS1_3gpuE8ELNS1_3repE0EEENS1_30default_config_static_selectorELNS0_4arch9wavefront6targetE1EEEvT1_: ; @_ZN7rocprim17ROCPRIM_400000_NS6detail17trampoline_kernelINS0_14default_configENS1_20scan_config_selectorIyEEZZNS1_9scan_implILNS1_25lookback_scan_determinismE0ELb1ELb1ES3_N6thrust23THRUST_200600_302600_NS6detail15normal_iteratorINS9_10device_ptrIyEEEESE_yNS9_4plusIvEEyEEDaPvRmT3_T4_T5_mT6_P12ihipStream_tbENKUlT_T0_E_clISt17integral_constantIbLb0EEST_IbLb1EEEEDaSP_SQ_EUlSP_E_NS1_11comp_targetILNS1_3genE4ELNS1_11target_archE910ELNS1_3gpuE8ELNS1_3repE0EEENS1_30default_config_static_selectorELNS0_4arch9wavefront6targetE1EEEvT1_
; %bb.0:
	s_load_dwordx8 s[20:27], s[4:5], 0x0
	s_load_dwordx2 s[28:29], s[4:5], 0x20
	s_load_dwordx2 s[10:11], s[4:5], 0x30
	v_cmp_ne_u32_e64 s[2:3], 0, v0
	v_cmp_eq_u32_e64 s[0:1], 0, v0
	s_and_saveexec_b64 s[6:7], s[0:1]
	s_cbranch_execz .LBB4558_4
; %bb.1:
	s_mov_b64 s[12:13], exec
	v_mbcnt_lo_u32_b32 v1, s12, 0
	v_mbcnt_hi_u32_b32 v1, s13, v1
	v_cmp_eq_u32_e32 vcc, 0, v1
                                        ; implicit-def: $vgpr2
	s_and_saveexec_b64 s[8:9], vcc
	s_cbranch_execz .LBB4558_3
; %bb.2:
	s_load_dwordx2 s[14:15], s[4:5], 0x60
	s_bcnt1_i32_b64 s12, s[12:13]
	v_mov_b32_e32 v2, 0
	v_mov_b32_e32 v3, s12
	s_waitcnt lgkmcnt(0)
	global_atomic_add v2, v2, v3, s[14:15] glc
.LBB4558_3:
	s_or_b64 exec, exec, s[8:9]
	s_waitcnt vmcnt(0)
	v_readfirstlane_b32 s8, v2
	v_add_u32_e32 v1, s8, v1
	v_mov_b32_e32 v2, 0
	ds_write_b32 v2, v1
.LBB4558_4:
	s_or_b64 exec, exec, s[6:7]
	s_load_dword s6, s[4:5], 0x38
	s_load_dwordx8 s[12:19], s[4:5], 0x40
	v_mov_b32_e32 v1, 0
	s_waitcnt lgkmcnt(0)
	s_barrier
	ds_read_b32 v1, v1
	s_lshl_b64 s[22:23], s[22:23], 3
	s_add_u32 s35, s20, s22
	s_addc_u32 s36, s21, s23
	s_add_i32 s6, s6, -1
	s_mul_i32 s7, s6, 0x380
	s_sub_u32 s33, s26, s7
	s_waitcnt lgkmcnt(0)
	v_readfirstlane_b32 s37, v1
	s_subb_u32 s34, s27, 0
	s_mul_i32 s4, s37, 0x380
	s_mov_b32 s5, 0
	s_cmp_lg_u32 s37, s6
	s_cselect_b64 s[20:21], -1, 0
	s_lshl_b64 s[26:27], s[4:5], 3
	s_add_u32 s6, s35, s26
	s_addc_u32 s7, s36, s27
	s_mov_b64 s[4:5], -1
	s_and_b64 vcc, exec, s[20:21]
	v_lshlrev_b32_e32 v36, 3, v0
	s_barrier
	s_cbranch_vccz .LBB4558_6
; %bb.5:
	v_mov_b32_e32 v1, s7
	v_add_co_u32_e32 v2, vcc, s6, v36
	v_addc_co_u32_e32 v3, vcc, 0, v1, vcc
	flat_load_dwordx2 v[4:5], v[2:3]
	flat_load_dwordx2 v[6:7], v[2:3] offset:1024
	flat_load_dwordx2 v[8:9], v[2:3] offset:2048
	;; [unrolled: 1-line block ×3, first 2 shown]
	v_add_co_u32_e32 v2, vcc, 0x1000, v2
	v_addc_co_u32_e32 v3, vcc, 0, v3, vcc
	flat_load_dwordx2 v[12:13], v[2:3]
	flat_load_dwordx2 v[14:15], v[2:3] offset:1024
	flat_load_dwordx2 v[16:17], v[2:3] offset:2048
	s_mov_b64 s[4:5], 0
	s_waitcnt vmcnt(0) lgkmcnt(0)
	ds_write2st64_b64 v36, v[4:5], v[6:7] offset1:2
	ds_write2st64_b64 v36, v[8:9], v[10:11] offset0:4 offset1:6
	ds_write2st64_b64 v36, v[12:13], v[14:15] offset0:8 offset1:10
	ds_write_b64 v36, v[16:17] offset:6144
	s_waitcnt lgkmcnt(0)
	s_barrier
.LBB4558_6:
	s_andn2_b64 vcc, exec, s[4:5]
	v_cmp_gt_u32_e64 s[4:5], s33, v0
	s_cbranch_vccnz .LBB4558_22
; %bb.7:
	v_pk_mov_b32 v[2:3], s[6:7], s[6:7] op_sel:[0,1]
	flat_load_dwordx2 v[2:3], v[2:3]
	s_waitcnt vmcnt(0) lgkmcnt(0)
	v_mov_b32_e32 v4, v2
	v_mov_b32_e32 v5, v3
	;; [unrolled: 1-line block ×10, first 2 shown]
	v_pk_mov_b32 v[18:19], v[14:15], v[14:15] op_sel:[0,1]
	v_pk_mov_b32 v[16:17], v[12:13], v[12:13] op_sel:[0,1]
	;; [unrolled: 1-line block ×8, first 2 shown]
	s_and_saveexec_b64 s[8:9], s[4:5]
	s_cbranch_execz .LBB4558_9
; %bb.8:
	v_mov_b32_e32 v1, s7
	v_add_co_u32_e32 v4, vcc, s6, v36
	v_addc_co_u32_e32 v5, vcc, 0, v1, vcc
	flat_load_dwordx2 v[20:21], v[4:5]
	v_mov_b32_e32 v4, v2
	v_mov_b32_e32 v5, v3
	v_mov_b32_e32 v6, v2
	v_mov_b32_e32 v7, v3
	v_mov_b32_e32 v8, v2
	v_mov_b32_e32 v9, v3
	v_mov_b32_e32 v10, v2
	v_mov_b32_e32 v11, v3
	v_mov_b32_e32 v12, v2
	v_mov_b32_e32 v13, v3
	v_pk_mov_b32 v[18:19], v[14:15], v[14:15] op_sel:[0,1]
	v_pk_mov_b32 v[16:17], v[12:13], v[12:13] op_sel:[0,1]
	;; [unrolled: 1-line block ×8, first 2 shown]
	s_waitcnt vmcnt(0) lgkmcnt(0)
	v_pk_mov_b32 v[2:3], v[20:21], v[20:21] op_sel:[0,1]
.LBB4558_9:
	s_or_b64 exec, exec, s[8:9]
	v_or_b32_e32 v1, 0x80, v0
	v_cmp_gt_u32_e32 vcc, s33, v1
	s_and_saveexec_b64 s[4:5], vcc
	s_cbranch_execz .LBB4558_11
; %bb.10:
	v_mov_b32_e32 v1, s7
	v_add_co_u32_e32 v4, vcc, s6, v36
	v_addc_co_u32_e32 v5, vcc, 0, v1, vcc
	flat_load_dwordx2 v[6:7], v[4:5] offset:1024
.LBB4558_11:
	s_or_b64 exec, exec, s[4:5]
	v_or_b32_e32 v1, 0x100, v0
	v_cmp_gt_u32_e32 vcc, s33, v1
	s_and_saveexec_b64 s[4:5], vcc
	s_cbranch_execz .LBB4558_13
; %bb.12:
	v_mov_b32_e32 v1, s7
	v_add_co_u32_e32 v4, vcc, s6, v36
	v_addc_co_u32_e32 v5, vcc, 0, v1, vcc
	flat_load_dwordx2 v[8:9], v[4:5] offset:2048
.LBB4558_13:
	;; [unrolled: 11-line block ×3, first 2 shown]
	s_or_b64 exec, exec, s[4:5]
	v_or_b32_e32 v1, 0x200, v0
	v_cmp_gt_u32_e32 vcc, s33, v1
	s_and_saveexec_b64 s[4:5], vcc
	s_cbranch_execz .LBB4558_17
; %bb.16:
	v_lshlrev_b32_e32 v1, 3, v1
	v_mov_b32_e32 v5, s7
	v_add_co_u32_e32 v4, vcc, s6, v1
	v_addc_co_u32_e32 v5, vcc, 0, v5, vcc
	flat_load_dwordx2 v[12:13], v[4:5]
.LBB4558_17:
	s_or_b64 exec, exec, s[4:5]
	v_or_b32_e32 v1, 0x280, v0
	v_cmp_gt_u32_e32 vcc, s33, v1
	s_and_saveexec_b64 s[4:5], vcc
	s_cbranch_execz .LBB4558_19
; %bb.18:
	v_lshlrev_b32_e32 v1, 3, v1
	v_mov_b32_e32 v5, s7
	v_add_co_u32_e32 v4, vcc, s6, v1
	v_addc_co_u32_e32 v5, vcc, 0, v5, vcc
	flat_load_dwordx2 v[14:15], v[4:5]
.LBB4558_19:
	;; [unrolled: 12-line block ×3, first 2 shown]
	s_or_b64 exec, exec, s[4:5]
	s_waitcnt vmcnt(0) lgkmcnt(0)
	ds_write2st64_b64 v36, v[2:3], v[6:7] offset1:2
	ds_write2st64_b64 v36, v[8:9], v[10:11] offset0:4 offset1:6
	ds_write2st64_b64 v36, v[12:13], v[14:15] offset0:8 offset1:10
	ds_write_b64 v36, v[16:17] offset:6144
	s_waitcnt lgkmcnt(0)
	s_barrier
.LBB4558_22:
	v_mul_u32_u24_e32 v37, 7, v0
	v_lshlrev_b32_e32 v1, 3, v37
	ds_read2_b64 v[10:13], v1 offset1:1
	ds_read2_b64 v[6:9], v1 offset0:2 offset1:3
	ds_read2_b64 v[2:5], v1 offset0:4 offset1:5
	ds_read_b64 v[26:27], v1 offset:48
	s_cmp_lg_u32 s37, 0
	v_lshrrev_b32_e32 v38, 5, v0
	v_cmp_gt_u32_e32 vcc, 64, v0
	s_waitcnt lgkmcnt(0)
	s_barrier
	s_cbranch_scc0 .LBB4558_49
; %bb.23:
	v_add_co_u32_e64 v1, s[4:5], v12, v10
	v_addc_co_u32_e64 v14, s[4:5], v13, v11, s[4:5]
	v_add_co_u32_e64 v1, s[4:5], v1, v6
	v_addc_co_u32_e64 v14, s[4:5], v14, v7, s[4:5]
	;; [unrolled: 2-line block ×6, first 2 shown]
	v_add_lshl_u32 v1, v38, v0, 3
	ds_write_b64 v1, v[18:19]
	s_waitcnt lgkmcnt(0)
	s_barrier
	s_and_saveexec_b64 s[8:9], vcc
	s_cbranch_execz .LBB4558_27
; %bb.24:
	v_lshlrev_b32_e32 v1, 1, v0
	v_lshrrev_b32_e32 v14, 4, v0
	v_add_lshl_u32 v20, v14, v1, 3
	ds_read2_b64 v[14:17], v20 offset1:1
	v_mbcnt_lo_u32_b32 v1, -1, 0
	s_waitcnt lgkmcnt(0)
	v_add_co_u32_e64 v21, s[4:5], v16, v14
	v_addc_co_u32_e64 v22, s[4:5], v17, v15, s[4:5]
	s_nop 0
	v_mov_b32_dpp v16, v21 row_shr:1 row_mask:0xf bank_mask:0xf
	v_add_co_u32_e64 v16, s[4:5], v21, v16
	v_addc_co_u32_e64 v24, s[4:5], 0, v22, s[4:5]
	v_mbcnt_hi_u32_b32 v17, -1, v1
	v_mov_b32_dpp v23, v22 row_shr:1 row_mask:0xf bank_mask:0xf
	v_add_co_u32_e64 v25, s[4:5], 0, v16
	v_and_b32_e32 v1, 15, v17
	v_addc_co_u32_e64 v23, s[4:5], v23, v24, s[4:5]
	v_cmp_eq_u32_e64 s[4:5], 0, v1
	v_cndmask_b32_e64 v16, v16, v21, s[4:5]
	v_cndmask_b32_e64 v23, v23, v22, s[4:5]
	v_cndmask_b32_e64 v24, v25, v21, s[4:5]
	v_mov_b32_dpp v25, v16 row_shr:2 row_mask:0xf bank_mask:0xf
	v_mov_b32_dpp v28, v23 row_shr:2 row_mask:0xf bank_mask:0xf
	v_add_co_u32_e64 v25, s[4:5], v25, v24
	v_addc_co_u32_e64 v28, s[4:5], v28, v23, s[4:5]
	v_cmp_lt_u32_e64 s[4:5], 1, v1
	v_cndmask_b32_e64 v16, v16, v25, s[4:5]
	v_cndmask_b32_e64 v23, v23, v28, s[4:5]
	v_cndmask_b32_e64 v24, v24, v25, s[4:5]
	v_mov_b32_dpp v25, v16 row_shr:4 row_mask:0xf bank_mask:0xf
	v_mov_b32_dpp v28, v23 row_shr:4 row_mask:0xf bank_mask:0xf
	v_add_co_u32_e64 v25, s[4:5], v25, v24
	v_addc_co_u32_e64 v28, s[4:5], v28, v23, s[4:5]
	v_cmp_lt_u32_e64 s[4:5], 3, v1
	;; [unrolled: 8-line block ×3, first 2 shown]
	v_cndmask_b32_e64 v29, v16, v25, s[4:5]
	v_cndmask_b32_e64 v1, v23, v28, s[4:5]
	v_cndmask_b32_e64 v16, v24, v25, s[4:5]
	v_mov_b32_dpp v23, v29 row_bcast:15 row_mask:0xf bank_mask:0xf
	v_mov_b32_dpp v24, v1 row_bcast:15 row_mask:0xf bank_mask:0xf
	v_add_co_u32_e64 v23, s[4:5], v23, v16
	v_and_b32_e32 v28, 16, v17
	v_addc_co_u32_e64 v25, s[4:5], v24, v1, s[4:5]
	v_cmp_eq_u32_e64 s[4:5], 0, v28
	v_cndmask_b32_e64 v28, v25, v1, s[4:5]
	v_cndmask_b32_e64 v24, v23, v29, s[4:5]
	v_cmp_ne_u32_e64 s[6:7], 0, v17
	v_mov_b32_dpp v28, v28 row_bcast:31 row_mask:0xf bank_mask:0xf
	v_mov_b32_dpp v24, v24 row_bcast:31 row_mask:0xf bank_mask:0xf
	s_and_saveexec_b64 s[30:31], s[6:7]
; %bb.25:
	v_cndmask_b32_e64 v1, v25, v1, s[4:5]
	v_cndmask_b32_e64 v16, v23, v16, s[4:5]
	v_cmp_lt_u32_e64 s[4:5], 31, v17
	v_cndmask_b32_e64 v21, 0, v24, s[4:5]
	v_cndmask_b32_e64 v22, 0, v28, s[4:5]
	v_add_co_u32_e64 v21, s[4:5], v21, v16
	v_addc_co_u32_e64 v22, s[4:5], v22, v1, s[4:5]
; %bb.26:
	s_or_b64 exec, exec, s[30:31]
	v_add_u32_e32 v1, -1, v17
	v_and_b32_e32 v16, 64, v17
	v_cmp_lt_i32_e64 s[4:5], v1, v16
	v_cndmask_b32_e64 v1, v1, v17, s[4:5]
	v_lshlrev_b32_e32 v1, 2, v1
	ds_bpermute_b32 v16, v1, v21
	ds_bpermute_b32 v1, v1, v22
	; wave barrier
	s_waitcnt lgkmcnt(1)
	v_add_co_u32_e64 v14, s[4:5], v14, v16
	v_addc_co_u32_e64 v15, s[4:5], 0, v15, s[4:5]
	v_add_co_u32_e64 v14, s[4:5], 0, v14
	s_waitcnt lgkmcnt(0)
	v_addc_co_u32_e64 v1, s[4:5], v15, v1, s[4:5]
	v_cndmask_b32_e64 v15, v1, v19, s[0:1]
	v_cndmask_b32_e64 v14, v14, v18, s[0:1]
	ds_write_b64 v20, v[14:15]
	; wave barrier
	ds_read_b64 v[16:17], v20 offset:8
	s_waitcnt lgkmcnt(0)
	v_add_co_u32_e64 v14, s[4:5], v16, v14
	v_addc_co_u32_e64 v15, s[4:5], v17, v15, s[4:5]
	ds_write_b64 v20, v[14:15] offset:8
.LBB4558_27:
	s_or_b64 exec, exec, s[8:9]
	v_pk_mov_b32 v[22:23], 0, 0
	s_waitcnt lgkmcnt(0)
	s_barrier
	s_and_saveexec_b64 s[4:5], s[2:3]
	s_cbranch_execz .LBB4558_29
; %bb.28:
	v_add_u32_e32 v1, -1, v0
	v_lshrrev_b32_e32 v14, 5, v1
	v_add_lshl_u32 v1, v14, v1, 3
	ds_read_b64 v[22:23], v1
.LBB4558_29:
	s_or_b64 exec, exec, s[4:5]
	s_and_saveexec_b64 s[30:31], vcc
	s_cbranch_execz .LBB4558_48
; %bb.30:
	v_mov_b32_e32 v17, 0
	ds_read_b64 v[14:15], v17 offset:1040
	v_mbcnt_lo_u32_b32 v1, -1, 0
	v_mbcnt_hi_u32_b32 v30, -1, v1
	s_mov_b32 s9, 0
	v_cmp_eq_u32_e64 s[4:5], 0, v30
	s_and_saveexec_b64 s[6:7], s[4:5]
	s_cbranch_execz .LBB4558_32
; %bb.31:
	s_add_i32 s8, s37, 64
	s_lshl_b64 s[8:9], s[8:9], 4
	s_add_u32 s8, s10, s8
	s_addc_u32 s9, s11, s9
	v_mov_b32_e32 v16, 1
	v_pk_mov_b32 v[18:19], s[8:9], s[8:9] op_sel:[0,1]
	s_waitcnt lgkmcnt(0)
	;;#ASMSTART
	global_store_dwordx4 v[18:19], v[14:17] off	
s_waitcnt vmcnt(0)
	;;#ASMEND
.LBB4558_32:
	s_or_b64 exec, exec, s[6:7]
	v_xad_u32 v24, v30, -1, s37
	v_add_u32_e32 v16, 64, v24
	v_lshlrev_b64 v[18:19], 4, v[16:17]
	v_mov_b32_e32 v1, s11
	v_add_co_u32_e32 v28, vcc, s10, v18
	v_addc_co_u32_e32 v29, vcc, v1, v19, vcc
	;;#ASMSTART
	global_load_dwordx4 v[18:21], v[28:29] off glc	
s_waitcnt vmcnt(0)
	;;#ASMEND
	v_and_b32_e32 v1, 0xff, v19
	v_and_b32_e32 v16, 0xff00, v19
	v_or3_b32 v1, 0, v1, v16
	v_or3_b32 v16, v18, 0, 0
	v_and_b32_e32 v18, 0xff000000, v19
	v_and_b32_e32 v19, 0xff0000, v19
	v_or3_b32 v19, v1, v19, v18
	v_or3_b32 v18, v16, 0, 0
	v_cmp_eq_u16_sdwa s[8:9], v20, v17 src0_sel:BYTE_0 src1_sel:DWORD
	s_and_saveexec_b64 s[6:7], s[8:9]
	s_cbranch_execz .LBB4558_36
; %bb.33:
	s_mov_b64 s[8:9], 0
	v_mov_b32_e32 v1, 0
.LBB4558_34:                            ; =>This Inner Loop Header: Depth=1
	;;#ASMSTART
	global_load_dwordx4 v[18:21], v[28:29] off glc	
s_waitcnt vmcnt(0)
	;;#ASMEND
	v_cmp_ne_u16_sdwa s[38:39], v20, v1 src0_sel:BYTE_0 src1_sel:DWORD
	s_or_b64 s[8:9], s[38:39], s[8:9]
	s_andn2_b64 exec, exec, s[8:9]
	s_cbranch_execnz .LBB4558_34
; %bb.35:
	s_or_b64 exec, exec, s[8:9]
.LBB4558_36:
	s_or_b64 exec, exec, s[6:7]
	v_and_b32_e32 v32, 63, v30
	v_cmp_ne_u32_e32 vcc, 63, v32
	v_addc_co_u32_e32 v28, vcc, 0, v30, vcc
	v_lshlrev_b32_e32 v33, 2, v28
	ds_bpermute_b32 v28, v33, v18
	v_mov_b32_e32 v1, 2
	v_cmp_eq_u16_sdwa s[6:7], v20, v1 src0_sel:BYTE_0 src1_sel:DWORD
	v_lshlrev_b64 v[16:17], v30, -1
	ds_bpermute_b32 v29, v33, v19
	v_and_b32_e32 v21, s7, v17
	v_or_b32_e32 v21, 0x80000000, v21
	s_waitcnt lgkmcnt(1)
	v_add_co_u32_e32 v28, vcc, v18, v28
	v_and_b32_e32 v25, s6, v16
	v_ffbl_b32_e32 v21, v21
	v_addc_co_u32_e32 v31, vcc, 0, v19, vcc
	v_add_u32_e32 v21, 32, v21
	v_ffbl_b32_e32 v25, v25
	v_add_co_u32_e32 v35, vcc, 0, v28
	v_cmp_gt_u32_e64 s[6:7], 62, v32
	v_min_u32_e32 v21, v25, v21
	s_waitcnt lgkmcnt(0)
	v_addc_co_u32_e32 v29, vcc, v29, v31, vcc
	v_cndmask_b32_e64 v31, 0, 1, s[6:7]
	v_cmp_lt_u32_e32 vcc, v32, v21
	v_lshlrev_b32_e32 v31, 1, v31
	v_cndmask_b32_e32 v28, v18, v28, vcc
	v_add_lshl_u32 v34, v31, v30, 2
	v_cndmask_b32_e32 v29, v19, v29, vcc
	ds_bpermute_b32 v31, v34, v28
	ds_bpermute_b32 v39, v34, v29
	v_cndmask_b32_e32 v40, v18, v35, vcc
	v_add_u32_e32 v35, 2, v32
	v_cmp_gt_u32_e64 s[8:9], 60, v32
	s_waitcnt lgkmcnt(1)
	v_add_co_u32_e64 v31, s[6:7], v31, v40
	s_waitcnt lgkmcnt(0)
	v_addc_co_u32_e64 v39, s[6:7], v39, v29, s[6:7]
	v_cmp_gt_u32_e64 s[6:7], v35, v21
	v_cndmask_b32_e64 v29, v39, v29, s[6:7]
	v_cndmask_b32_e64 v39, 0, 1, s[8:9]
	v_lshlrev_b32_e32 v39, 2, v39
	v_cndmask_b32_e64 v28, v31, v28, s[6:7]
	v_add_lshl_u32 v39, v39, v30, 2
	ds_bpermute_b32 v41, v39, v28
	ds_bpermute_b32 v42, v39, v29
	v_cndmask_b32_e64 v31, v31, v40, s[6:7]
	v_add_u32_e32 v40, 4, v32
	v_cmp_gt_u32_e64 s[8:9], 56, v32
	s_waitcnt lgkmcnt(1)
	v_add_co_u32_e64 v43, s[6:7], v41, v31
	s_waitcnt lgkmcnt(0)
	v_addc_co_u32_e64 v41, s[6:7], v42, v29, s[6:7]
	v_cmp_gt_u32_e64 s[6:7], v40, v21
	v_cndmask_b32_e64 v29, v41, v29, s[6:7]
	v_cndmask_b32_e64 v41, 0, 1, s[8:9]
	v_lshlrev_b32_e32 v41, 3, v41
	v_cndmask_b32_e64 v28, v43, v28, s[6:7]
	v_add_lshl_u32 v41, v41, v30, 2
	ds_bpermute_b32 v44, v41, v28
	v_cndmask_b32_e64 v31, v43, v31, s[6:7]
	ds_bpermute_b32 v43, v41, v29
	v_add_u32_e32 v42, 8, v32
	v_cmp_gt_u32_e64 s[8:9], 48, v32
	s_waitcnt lgkmcnt(1)
	v_add_co_u32_e64 v44, s[6:7], v44, v31
	s_waitcnt lgkmcnt(0)
	v_addc_co_u32_e64 v43, s[6:7], v43, v29, s[6:7]
	v_cmp_gt_u32_e64 s[6:7], v42, v21
	v_cndmask_b32_e64 v29, v43, v29, s[6:7]
	v_cndmask_b32_e64 v43, 0, 1, s[8:9]
	v_lshlrev_b32_e32 v43, 4, v43
	v_cndmask_b32_e64 v28, v44, v28, s[6:7]
	v_add_lshl_u32 v43, v43, v30, 2
	ds_bpermute_b32 v45, v43, v28
	ds_bpermute_b32 v46, v43, v29
	v_cndmask_b32_e64 v31, v44, v31, s[6:7]
	v_cmp_gt_u32_e64 s[8:9], 32, v32
	v_add_u32_e32 v44, 16, v32
	s_waitcnt lgkmcnt(1)
	v_add_co_u32_e64 v47, s[6:7], v45, v31
	s_waitcnt lgkmcnt(0)
	v_addc_co_u32_e64 v46, s[6:7], v46, v29, s[6:7]
	v_cndmask_b32_e64 v45, 0, 1, s[8:9]
	v_cmp_gt_u32_e64 s[6:7], v44, v21
	v_lshlrev_b32_e32 v45, 5, v45
	v_cndmask_b32_e64 v28, v47, v28, s[6:7]
	v_add_lshl_u32 v45, v45, v30, 2
	v_cndmask_b32_e64 v29, v46, v29, s[6:7]
	ds_bpermute_b32 v28, v45, v28
	ds_bpermute_b32 v30, v45, v29
	v_add_u32_e32 v46, 32, v32
	v_cndmask_b32_e64 v31, v47, v31, s[6:7]
	v_cmp_le_u32_e64 s[6:7], v46, v21
	s_waitcnt lgkmcnt(1)
	v_cndmask_b32_e64 v28, 0, v28, s[6:7]
	s_waitcnt lgkmcnt(0)
	v_cndmask_b32_e64 v21, 0, v30, s[6:7]
	v_add_co_u32_e64 v28, s[6:7], v28, v31
	v_addc_co_u32_e64 v21, s[6:7], v21, v29, s[6:7]
	v_mov_b32_e32 v25, 0
	v_cndmask_b32_e32 v19, v19, v21, vcc
	v_cndmask_b32_e32 v18, v18, v28, vcc
	s_branch .LBB4558_38
.LBB4558_37:                            ;   in Loop: Header=BB4558_38 Depth=1
	s_or_b64 exec, exec, s[6:7]
	v_cmp_eq_u16_sdwa s[6:7], v20, v1 src0_sel:BYTE_0 src1_sel:DWORD
	v_and_b32_e32 v21, s7, v17
	v_or_b32_e32 v21, 0x80000000, v21
	ds_bpermute_b32 v31, v33, v18
	v_and_b32_e32 v30, s6, v16
	v_ffbl_b32_e32 v21, v21
	v_add_u32_e32 v21, 32, v21
	v_ffbl_b32_e32 v30, v30
	v_min_u32_e32 v21, v30, v21
	ds_bpermute_b32 v30, v33, v19
	s_waitcnt lgkmcnt(1)
	v_add_co_u32_e32 v31, vcc, v18, v31
	v_addc_co_u32_e32 v47, vcc, 0, v19, vcc
	v_add_co_u32_e32 v48, vcc, 0, v31
	s_waitcnt lgkmcnt(0)
	v_addc_co_u32_e32 v30, vcc, v30, v47, vcc
	v_cmp_lt_u32_e32 vcc, v32, v21
	v_cndmask_b32_e32 v31, v18, v31, vcc
	ds_bpermute_b32 v47, v34, v31
	v_cndmask_b32_e32 v30, v19, v30, vcc
	ds_bpermute_b32 v49, v34, v30
	v_cndmask_b32_e32 v48, v18, v48, vcc
	v_subrev_u32_e32 v24, 64, v24
	s_waitcnt lgkmcnt(1)
	v_add_co_u32_e64 v47, s[6:7], v47, v48
	s_waitcnt lgkmcnt(0)
	v_addc_co_u32_e64 v49, s[6:7], v49, v30, s[6:7]
	v_cmp_gt_u32_e64 s[6:7], v35, v21
	v_cndmask_b32_e64 v31, v47, v31, s[6:7]
	ds_bpermute_b32 v50, v39, v31
	v_cndmask_b32_e64 v30, v49, v30, s[6:7]
	ds_bpermute_b32 v49, v39, v30
	v_cndmask_b32_e64 v47, v47, v48, s[6:7]
	s_waitcnt lgkmcnt(1)
	v_add_co_u32_e64 v48, s[6:7], v50, v47
	s_waitcnt lgkmcnt(0)
	v_addc_co_u32_e64 v49, s[6:7], v49, v30, s[6:7]
	v_cmp_gt_u32_e64 s[6:7], v40, v21
	v_cndmask_b32_e64 v31, v48, v31, s[6:7]
	ds_bpermute_b32 v50, v41, v31
	v_cndmask_b32_e64 v30, v49, v30, s[6:7]
	ds_bpermute_b32 v49, v41, v30
	v_cndmask_b32_e64 v47, v48, v47, s[6:7]
	;; [unrolled: 10-line block ×3, first 2 shown]
	s_waitcnt lgkmcnt(1)
	v_add_co_u32_e64 v48, s[6:7], v50, v47
	s_waitcnt lgkmcnt(0)
	v_addc_co_u32_e64 v49, s[6:7], v49, v30, s[6:7]
	v_cmp_gt_u32_e64 s[6:7], v44, v21
	v_cndmask_b32_e64 v31, v48, v31, s[6:7]
	v_cndmask_b32_e64 v30, v49, v30, s[6:7]
	ds_bpermute_b32 v31, v45, v31
	ds_bpermute_b32 v49, v45, v30
	v_cndmask_b32_e64 v47, v48, v47, s[6:7]
	v_cmp_le_u32_e64 s[6:7], v46, v21
	s_waitcnt lgkmcnt(1)
	v_cndmask_b32_e64 v31, 0, v31, s[6:7]
	s_waitcnt lgkmcnt(0)
	v_cndmask_b32_e64 v21, 0, v49, s[6:7]
	v_add_co_u32_e64 v31, s[6:7], v31, v47
	v_addc_co_u32_e64 v21, s[6:7], v21, v30, s[6:7]
	v_cndmask_b32_e32 v18, v18, v31, vcc
	v_cndmask_b32_e32 v19, v19, v21, vcc
	v_add_co_u32_e32 v18, vcc, v18, v28
	v_addc_co_u32_e32 v19, vcc, v19, v29, vcc
.LBB4558_38:                            ; =>This Loop Header: Depth=1
                                        ;     Child Loop BB4558_41 Depth 2
	v_cmp_ne_u16_sdwa s[6:7], v20, v1 src0_sel:BYTE_0 src1_sel:DWORD
	v_cndmask_b32_e64 v20, 0, 1, s[6:7]
	;;#ASMSTART
	;;#ASMEND
	v_cmp_ne_u32_e32 vcc, 0, v20
	s_cmp_lg_u64 vcc, exec
	v_pk_mov_b32 v[28:29], v[18:19], v[18:19] op_sel:[0,1]
	s_cbranch_scc1 .LBB4558_43
; %bb.39:                               ;   in Loop: Header=BB4558_38 Depth=1
	v_lshlrev_b64 v[18:19], 4, v[24:25]
	v_mov_b32_e32 v20, s11
	v_add_co_u32_e32 v30, vcc, s10, v18
	v_addc_co_u32_e32 v31, vcc, v20, v19, vcc
	;;#ASMSTART
	global_load_dwordx4 v[18:21], v[30:31] off glc	
s_waitcnt vmcnt(0)
	;;#ASMEND
	v_and_b32_e32 v21, 0xff, v19
	v_and_b32_e32 v47, 0xff00, v19
	v_or3_b32 v21, 0, v21, v47
	v_or3_b32 v18, v18, 0, 0
	v_and_b32_e32 v47, 0xff000000, v19
	v_and_b32_e32 v19, 0xff0000, v19
	v_or3_b32 v19, v21, v19, v47
	v_or3_b32 v18, v18, 0, 0
	v_cmp_eq_u16_sdwa s[8:9], v20, v25 src0_sel:BYTE_0 src1_sel:DWORD
	s_and_saveexec_b64 s[6:7], s[8:9]
	s_cbranch_execz .LBB4558_37
; %bb.40:                               ;   in Loop: Header=BB4558_38 Depth=1
	s_mov_b64 s[8:9], 0
.LBB4558_41:                            ;   Parent Loop BB4558_38 Depth=1
                                        ; =>  This Inner Loop Header: Depth=2
	;;#ASMSTART
	global_load_dwordx4 v[18:21], v[30:31] off glc	
s_waitcnt vmcnt(0)
	;;#ASMEND
	v_cmp_ne_u16_sdwa s[38:39], v20, v25 src0_sel:BYTE_0 src1_sel:DWORD
	s_or_b64 s[8:9], s[38:39], s[8:9]
	s_andn2_b64 exec, exec, s[8:9]
	s_cbranch_execnz .LBB4558_41
; %bb.42:                               ;   in Loop: Header=BB4558_38 Depth=1
	s_or_b64 exec, exec, s[8:9]
	s_branch .LBB4558_37
.LBB4558_43:                            ;   in Loop: Header=BB4558_38 Depth=1
                                        ; implicit-def: $vgpr18_vgpr19
                                        ; implicit-def: $vgpr20
	s_cbranch_execz .LBB4558_38
; %bb.44:
	s_and_saveexec_b64 s[6:7], s[4:5]
	s_cbranch_execz .LBB4558_46
; %bb.45:
	s_add_i32 s4, s37, 64
	s_mov_b32 s5, 0
	s_lshl_b64 s[4:5], s[4:5], 4
	s_add_u32 s4, s10, s4
	v_add_co_u32_e32 v14, vcc, v28, v14
	s_addc_u32 s5, s11, s5
	v_addc_co_u32_e32 v15, vcc, v29, v15, vcc
	v_mov_b32_e32 v16, 2
	v_mov_b32_e32 v17, 0
	v_pk_mov_b32 v[18:19], s[4:5], s[4:5] op_sel:[0,1]
	;;#ASMSTART
	global_store_dwordx4 v[18:19], v[14:17] off	
s_waitcnt vmcnt(0)
	;;#ASMEND
.LBB4558_46:
	s_or_b64 exec, exec, s[6:7]
	s_and_b64 exec, exec, s[0:1]
	s_cbranch_execz .LBB4558_48
; %bb.47:
	v_mov_b32_e32 v1, 0
	ds_write_b64 v1, v[28:29]
.LBB4558_48:
	s_or_b64 exec, exec, s[30:31]
	v_mov_b32_e32 v1, 0
	s_waitcnt lgkmcnt(0)
	s_barrier
	ds_read_b64 v[14:15], v1
	s_waitcnt lgkmcnt(0)
	v_add_co_u32_e32 v14, vcc, v14, v22
	v_addc_co_u32_e32 v15, vcc, v15, v23, vcc
	v_add_co_u32_e32 v28, vcc, v14, v10
	v_addc_co_u32_e32 v29, vcc, v15, v11, vcc
	;; [unrolled: 2-line block ×7, first 2 shown]
	s_branch .LBB4558_61
.LBB4558_49:
                                        ; implicit-def: $vgpr34_vgpr35
                                        ; implicit-def: $vgpr32_vgpr33
                                        ; implicit-def: $vgpr30_vgpr31
                                        ; implicit-def: $vgpr28_vgpr29
                                        ; implicit-def: $vgpr22_vgpr23_vgpr24_vgpr25
                                        ; implicit-def: $vgpr18_vgpr19_vgpr20_vgpr21
                                        ; implicit-def: $vgpr14_vgpr15_vgpr16_vgpr17
	s_cbranch_execz .LBB4558_61
; %bb.50:
	s_cmp_eq_u64 s[16:17], 0
	v_pk_mov_b32 v[20:21], s[28:29], s[28:29] op_sel:[0,1]
	s_cbranch_scc1 .LBB4558_52
; %bb.51:
	v_mov_b32_e32 v1, 0
	v_mov_b32_e32 v15, s36
	v_add_co_u32_e64 v14, vcc, -8, s35
	v_addc_co_u32_e32 v15, vcc, -1, v15, vcc
	global_load_dwordx2 v[16:17], v1, s[12:13]
	flat_load_dwordx2 v[18:19], v[14:15]
	s_waitcnt vmcnt(0) lgkmcnt(0)
	v_add_co_u32_e32 v20, vcc, v16, v18
	v_addc_co_u32_e32 v21, vcc, v17, v19, vcc
.LBB4558_52:
	v_add_co_u32_e32 v1, vcc, v12, v10
	v_addc_co_u32_e32 v14, vcc, v13, v11, vcc
	v_add_co_u32_e32 v1, vcc, v1, v6
	v_addc_co_u32_e32 v14, vcc, v14, v7, vcc
	;; [unrolled: 2-line block ×6, first 2 shown]
	v_add_lshl_u32 v1, v38, v0, 3
	v_cmp_gt_u32_e32 vcc, 64, v0
	ds_write_b64 v1, v[18:19]
	s_waitcnt lgkmcnt(0)
	s_barrier
	s_and_saveexec_b64 s[6:7], vcc
	s_cbranch_execz .LBB4558_56
; %bb.53:
	v_lshlrev_b32_e32 v1, 1, v0
	v_lshrrev_b32_e32 v14, 4, v0
	v_add_lshl_u32 v22, v14, v1, 3
	ds_read2_b64 v[14:17], v22 offset1:1
	v_mbcnt_lo_u32_b32 v1, -1, 0
	s_waitcnt lgkmcnt(0)
	v_add_co_u32_e32 v23, vcc, v16, v14
	v_addc_co_u32_e32 v24, vcc, v17, v15, vcc
	s_nop 0
	v_mov_b32_dpp v16, v23 row_shr:1 row_mask:0xf bank_mask:0xf
	v_add_co_u32_e32 v16, vcc, v23, v16
	v_addc_co_u32_e32 v26, vcc, 0, v24, vcc
	v_mbcnt_hi_u32_b32 v17, -1, v1
	v_mov_b32_dpp v25, v24 row_shr:1 row_mask:0xf bank_mask:0xf
	v_add_co_u32_e32 v27, vcc, 0, v16
	v_and_b32_e32 v1, 15, v17
	v_addc_co_u32_e32 v25, vcc, v25, v26, vcc
	v_cmp_eq_u32_e32 vcc, 0, v1
	v_cndmask_b32_e32 v16, v16, v23, vcc
	v_cndmask_b32_e32 v25, v25, v24, vcc
	v_cndmask_b32_e32 v26, v27, v23, vcc
	v_mov_b32_dpp v27, v16 row_shr:2 row_mask:0xf bank_mask:0xf
	v_mov_b32_dpp v28, v25 row_shr:2 row_mask:0xf bank_mask:0xf
	v_add_co_u32_e32 v27, vcc, v27, v26
	v_addc_co_u32_e32 v28, vcc, v28, v25, vcc
	v_cmp_lt_u32_e32 vcc, 1, v1
	v_cndmask_b32_e32 v16, v16, v27, vcc
	v_cndmask_b32_e32 v25, v25, v28, vcc
	v_cndmask_b32_e32 v26, v26, v27, vcc
	v_mov_b32_dpp v27, v16 row_shr:4 row_mask:0xf bank_mask:0xf
	v_mov_b32_dpp v28, v25 row_shr:4 row_mask:0xf bank_mask:0xf
	v_add_co_u32_e32 v27, vcc, v27, v26
	v_addc_co_u32_e32 v28, vcc, v28, v25, vcc
	v_cmp_lt_u32_e32 vcc, 3, v1
	;; [unrolled: 8-line block ×3, first 2 shown]
	v_cndmask_b32_e32 v29, v16, v27, vcc
	v_cndmask_b32_e32 v1, v25, v28, vcc
	;; [unrolled: 1-line block ×3, first 2 shown]
	v_mov_b32_dpp v25, v29 row_bcast:15 row_mask:0xf bank_mask:0xf
	v_mov_b32_dpp v26, v1 row_bcast:15 row_mask:0xf bank_mask:0xf
	v_add_co_u32_e32 v25, vcc, v25, v16
	v_and_b32_e32 v28, 16, v17
	v_addc_co_u32_e32 v27, vcc, v26, v1, vcc
	v_cmp_eq_u32_e32 vcc, 0, v28
	v_cndmask_b32_e32 v28, v27, v1, vcc
	v_cndmask_b32_e32 v26, v25, v29, vcc
	v_cmp_ne_u32_e64 s[4:5], 0, v17
	v_mov_b32_dpp v28, v28 row_bcast:31 row_mask:0xf bank_mask:0xf
	v_mov_b32_dpp v26, v26 row_bcast:31 row_mask:0xf bank_mask:0xf
	s_and_saveexec_b64 s[8:9], s[4:5]
; %bb.54:
	v_cndmask_b32_e32 v1, v27, v1, vcc
	v_cndmask_b32_e32 v16, v25, v16, vcc
	v_cmp_lt_u32_e32 vcc, 31, v17
	v_cndmask_b32_e32 v23, 0, v26, vcc
	v_cndmask_b32_e32 v24, 0, v28, vcc
	v_add_co_u32_e32 v23, vcc, v23, v16
	v_addc_co_u32_e32 v24, vcc, v24, v1, vcc
; %bb.55:
	s_or_b64 exec, exec, s[8:9]
	v_add_u32_e32 v1, -1, v17
	v_and_b32_e32 v16, 64, v17
	v_cmp_lt_i32_e32 vcc, v1, v16
	v_cndmask_b32_e32 v1, v1, v17, vcc
	v_lshlrev_b32_e32 v1, 2, v1
	ds_bpermute_b32 v16, v1, v23
	ds_bpermute_b32 v1, v1, v24
	; wave barrier
	s_waitcnt lgkmcnt(1)
	v_add_co_u32_e32 v14, vcc, v14, v16
	v_addc_co_u32_e32 v15, vcc, 0, v15, vcc
	v_add_co_u32_e32 v14, vcc, 0, v14
	s_waitcnt lgkmcnt(0)
	v_addc_co_u32_e32 v1, vcc, v15, v1, vcc
	v_cndmask_b32_e64 v15, v1, v19, s[0:1]
	v_cndmask_b32_e64 v14, v14, v18, s[0:1]
	ds_write_b64 v22, v[14:15]
	; wave barrier
	ds_read_b64 v[16:17], v22 offset:8
	s_waitcnt lgkmcnt(0)
	v_add_co_u32_e32 v14, vcc, v16, v14
	v_addc_co_u32_e32 v15, vcc, v17, v15, vcc
	ds_write_b64 v22, v[14:15] offset:8
.LBB4558_56:
	s_or_b64 exec, exec, s[6:7]
	v_pk_mov_b32 v[14:15], v[20:21], v[20:21] op_sel:[0,1]
	s_waitcnt lgkmcnt(0)
	s_barrier
	s_and_saveexec_b64 s[4:5], s[2:3]
	s_cbranch_execz .LBB4558_58
; %bb.57:
	v_add_u32_e32 v1, -1, v0
	v_lshrrev_b32_e32 v14, 5, v1
	v_add_lshl_u32 v1, v14, v1, 3
	ds_read_b64 v[14:15], v1
	s_waitcnt lgkmcnt(0)
	v_add_co_u32_e32 v14, vcc, v14, v20
	v_addc_co_u32_e32 v15, vcc, v15, v21, vcc
.LBB4558_58:
	s_or_b64 exec, exec, s[4:5]
	v_add_co_u32_e32 v28, vcc, v14, v10
	v_addc_co_u32_e32 v29, vcc, v15, v11, vcc
	v_add_co_u32_e32 v18, vcc, v28, v12
	v_addc_co_u32_e32 v19, vcc, v29, v13, vcc
	v_add_co_u32_e32 v30, vcc, v18, v6
	v_addc_co_u32_e32 v31, vcc, v19, v7, vcc
	v_add_co_u32_e32 v22, vcc, v30, v8
	v_addc_co_u32_e32 v23, vcc, v31, v9, vcc
	v_add_co_u32_e32 v32, vcc, v22, v2
	v_addc_co_u32_e32 v33, vcc, v23, v3, vcc
	v_add_co_u32_e32 v34, vcc, v32, v4
	v_addc_co_u32_e32 v35, vcc, v33, v5, vcc
	s_and_saveexec_b64 s[2:3], s[0:1]
	s_cbranch_execz .LBB4558_60
; %bb.59:
	v_mov_b32_e32 v5, 0
	ds_read_b64 v[2:3], v5 offset:1040
	s_add_u32 s0, s10, 0x400
	s_addc_u32 s1, s11, 0
	v_mov_b32_e32 v4, 2
	v_pk_mov_b32 v[6:7], s[0:1], s[0:1] op_sel:[0,1]
	s_waitcnt lgkmcnt(0)
	v_add_co_u32_e32 v2, vcc, v2, v20
	v_addc_co_u32_e32 v3, vcc, v3, v21, vcc
	;;#ASMSTART
	global_store_dwordx4 v[6:7], v[2:5] off	
s_waitcnt vmcnt(0)
	;;#ASMEND
.LBB4558_60:
	s_or_b64 exec, exec, s[2:3]
.LBB4558_61:
	s_add_u32 s0, s24, s22
	s_addc_u32 s1, s25, s23
	s_add_u32 s2, s0, s26
	s_addc_u32 s3, s1, s27
	s_mov_b64 s[0:1], -1
	s_and_b64 vcc, exec, s[20:21]
	v_mul_u32_u24_e32 v1, 56, v0
	s_barrier
	s_cbranch_vccz .LBB4558_63
; %bb.62:
	v_mul_i32_i24_e32 v2, 0xffffffd0, v0
	v_mad_u32_u24 v16, v0, 56, v2
	ds_write2_b64 v1, v[14:15], v[28:29] offset1:1
	ds_write2_b64 v1, v[18:19], v[30:31] offset0:2 offset1:3
	ds_write2_b64 v1, v[22:23], v[32:33] offset0:4 offset1:5
	ds_write_b64 v1, v[34:35] offset:48
	s_waitcnt lgkmcnt(0)
	s_barrier
	ds_read2st64_b64 v[2:5], v16 offset1:2
	ds_read2st64_b64 v[6:9], v16 offset0:4 offset1:6
	ds_read2st64_b64 v[10:13], v16 offset0:8 offset1:10
	ds_read_b64 v[16:17], v16 offset:6144
	v_mov_b32_e32 v21, s3
	v_add_co_u32_e32 v20, vcc, s2, v36
	v_addc_co_u32_e32 v21, vcc, 0, v21, vcc
	s_waitcnt lgkmcnt(3)
	flat_store_dwordx2 v[20:21], v[2:3]
	flat_store_dwordx2 v[20:21], v[4:5] offset:1024
	s_waitcnt lgkmcnt(0)
	flat_store_dwordx2 v[20:21], v[6:7] offset:2048
	flat_store_dwordx2 v[20:21], v[8:9] offset:3072
	v_add_co_u32_e32 v2, vcc, 0x1000, v20
	v_addc_co_u32_e32 v3, vcc, 0, v21, vcc
	flat_store_dwordx2 v[2:3], v[10:11]
	flat_store_dwordx2 v[2:3], v[12:13] offset:1024
	flat_store_dwordx2 v[2:3], v[16:17] offset:2048
	s_mov_b64 s[0:1], 0
.LBB4558_63:
	s_andn2_b64 vcc, exec, s[0:1]
	s_cbranch_vccnz .LBB4558_102
; %bb.64:
	v_mul_i32_i24_e32 v2, 0xffffffd0, v0
	ds_write2_b64 v1, v[14:15], v[28:29] offset1:1
	ds_write2_b64 v1, v[18:19], v[30:31] offset0:2 offset1:3
	ds_write2_b64 v1, v[22:23], v[32:33] offset0:4 offset1:5
	ds_write_b64 v1, v[34:35] offset:48
	v_mad_u32_u24 v14, v0, 56, v2
	s_waitcnt lgkmcnt(0)
	s_barrier
	ds_read2st64_b64 v[2:5], v14 offset1:2
	ds_read2st64_b64 v[6:9], v14 offset0:4 offset1:6
	ds_read2st64_b64 v[10:13], v14 offset0:8 offset1:10
	ds_read_b64 v[14:15], v14 offset:6144
	v_mov_b32_e32 v17, s3
	v_add_co_u32_e32 v16, vcc, s2, v36
	v_addc_co_u32_e32 v17, vcc, 0, v17, vcc
	v_mov_b32_e32 v1, 0
	v_cmp_gt_u32_e32 vcc, s33, v0
	s_and_saveexec_b64 s[0:1], vcc
	s_cbranch_execz .LBB4558_66
; %bb.65:
	s_waitcnt lgkmcnt(0)
	flat_store_dwordx2 v[16:17], v[2:3]
.LBB4558_66:
	s_or_b64 exec, exec, s[0:1]
	v_or_b32_e32 v18, 0x80, v0
	v_cmp_gt_u32_e32 vcc, s33, v18
	s_and_saveexec_b64 s[0:1], vcc
	s_cbranch_execz .LBB4558_68
; %bb.67:
	s_waitcnt lgkmcnt(0)
	flat_store_dwordx2 v[16:17], v[4:5] offset:1024
.LBB4558_68:
	s_or_b64 exec, exec, s[0:1]
	v_or_b32_e32 v18, 0x100, v0
	v_cmp_gt_u32_e32 vcc, s33, v18
	s_and_saveexec_b64 s[0:1], vcc
	s_cbranch_execz .LBB4558_70
; %bb.69:
	s_waitcnt lgkmcnt(0)
	flat_store_dwordx2 v[16:17], v[6:7] offset:2048
.LBB4558_70:
	;; [unrolled: 9-line block ×3, first 2 shown]
	s_or_b64 exec, exec, s[0:1]
	v_or_b32_e32 v18, 0x200, v0
	v_cmp_gt_u32_e32 vcc, s33, v18
	s_and_saveexec_b64 s[0:1], vcc
	s_cbranch_execz .LBB4558_74
; %bb.73:
	v_add_co_u32_e32 v18, vcc, 0x1000, v16
	v_addc_co_u32_e32 v19, vcc, 0, v17, vcc
	s_waitcnt lgkmcnt(0)
	flat_store_dwordx2 v[18:19], v[10:11]
.LBB4558_74:
	s_or_b64 exec, exec, s[0:1]
	v_or_b32_e32 v18, 0x280, v0
	v_cmp_gt_u32_e32 vcc, s33, v18
	s_and_saveexec_b64 s[0:1], vcc
	s_cbranch_execz .LBB4558_76
; %bb.75:
	v_add_co_u32_e32 v18, vcc, 0x1000, v16
	v_addc_co_u32_e32 v19, vcc, 0, v17, vcc
	s_waitcnt lgkmcnt(0)
	flat_store_dwordx2 v[18:19], v[12:13] offset:1024
.LBB4558_76:
	s_or_b64 exec, exec, s[0:1]
	v_or_b32_e32 v18, 0x300, v0
	v_cmp_gt_u32_e32 vcc, s33, v18
	s_and_saveexec_b64 s[0:1], vcc
	s_cbranch_execz .LBB4558_78
; %bb.77:
	v_add_co_u32_e32 v16, vcc, 0x1000, v16
	v_addc_co_u32_e32 v17, vcc, 0, v17, vcc
	s_waitcnt lgkmcnt(0)
	flat_store_dwordx2 v[16:17], v[14:15] offset:2048
.LBB4558_78:
	s_or_b64 exec, exec, s[0:1]
	v_cmp_lt_u64_e64 s[0:1], s[18:19], 2
	s_and_b64 vcc, exec, s[0:1]
	s_cbranch_vccnz .LBB4558_102
; %bb.79:
	s_add_u32 s0, s33, -1
	s_addc_u32 s1, s34, -1
	s_add_u32 s2, 0, 0x92481000
	s_addc_u32 s3, 0, 0x64
	s_add_i32 s3, s3, 0x249248c0
	s_mul_hi_u32 s7, s2, -7
	s_sub_i32 s7, s7, s2
	s_mul_i32 s8, s3, -7
	s_mul_i32 s4, s2, -7
	s_add_i32 s7, s7, s8
	s_mul_hi_u32 s5, s3, s4
	s_mul_i32 s6, s3, s4
	s_mul_i32 s9, s2, s7
	s_mul_hi_u32 s4, s2, s4
	s_mul_hi_u32 s8, s2, s7
	s_add_u32 s4, s4, s9
	s_addc_u32 s8, 0, s8
	s_add_u32 s4, s4, s6
	s_mul_hi_u32 s9, s3, s7
	s_addc_u32 s4, s8, s5
	s_addc_u32 s5, s9, 0
	s_mul_i32 s6, s3, s7
	s_add_u32 s4, s4, s6
	v_mov_b32_e32 v16, s4
	s_addc_u32 s5, 0, s5
	v_add_co_u32_e32 v16, vcc, s2, v16
	s_cmp_lg_u64 vcc, 0
	s_addc_u32 s2, s3, s5
	v_readfirstlane_b32 s5, v16
	s_mul_i32 s4, s0, s2
	s_mul_hi_u32 s6, s0, s5
	s_mul_hi_u32 s3, s0, s2
	s_add_u32 s4, s6, s4
	s_addc_u32 s3, 0, s3
	s_mul_hi_u32 s7, s1, s5
	s_mul_i32 s5, s1, s5
	s_add_u32 s4, s4, s5
	s_mul_hi_u32 s6, s1, s2
	s_addc_u32 s3, s3, s7
	s_addc_u32 s4, s6, 0
	s_mul_i32 s2, s1, s2
	s_add_u32 s2, s3, s2
	s_addc_u32 s3, 0, s4
	s_add_u32 s4, s2, 1
	s_addc_u32 s5, s3, 0
	s_add_u32 s6, s2, 2
	s_mul_i32 s8, s3, 7
	s_mul_hi_u32 s9, s2, 7
	s_addc_u32 s7, s3, 0
	s_add_i32 s9, s9, s8
	s_mul_i32 s8, s2, 7
	v_mov_b32_e32 v16, s8
	v_sub_co_u32_e32 v16, vcc, s0, v16
	s_cmp_lg_u64 vcc, 0
	s_subb_u32 s8, s1, s9
	v_subrev_co_u32_e32 v17, vcc, 7, v16
	s_cmp_lg_u64 vcc, 0
	s_subb_u32 s9, s8, 0
	v_readfirstlane_b32 s10, v17
	s_cmp_gt_u32 s10, 6
	s_cselect_b32 s10, -1, 0
	s_cmp_eq_u32 s9, 0
	s_cselect_b32 s9, s10, -1
	s_cmp_lg_u32 s9, 0
	s_cselect_b32 s4, s6, s4
	v_readfirstlane_b32 s6, v16
	s_cselect_b32 s5, s7, s5
	s_cmp_gt_u32 s6, 6
	s_cselect_b32 s6, -1, 0
	s_cmp_eq_u32 s8, 0
	s_cselect_b32 s6, s6, -1
	s_cmp_lg_u32 s6, 0
	s_cselect_b32 s3, s5, s3
	s_cselect_b32 s2, s4, s2
	v_cmp_eq_u64_e32 vcc, s[2:3], v[0:1]
	s_and_saveexec_b64 s[2:3], vcc
	s_cbranch_execz .LBB4558_102
; %bb.80:
	v_mul_hi_u32_u24_e32 v1, 7, v0
	v_mov_b32_e32 v16, s1
	v_sub_co_u32_e32 v0, vcc, s0, v37
	v_subb_co_u32_e32 v1, vcc, v16, v1, vcc
	v_cmp_lt_i64_e32 vcc, 3, v[0:1]
	s_and_saveexec_b64 s[0:1], vcc
	s_xor_b64 s[0:1], exec, s[0:1]
	s_cbranch_execz .LBB4558_90
; %bb.81:
	v_cmp_lt_i64_e32 vcc, 4, v[0:1]
	s_and_saveexec_b64 s[2:3], vcc
	s_xor_b64 s[2:3], exec, s[2:3]
	s_cbranch_execz .LBB4558_87
; %bb.82:
	;; [unrolled: 5-line block ×3, first 2 shown]
	v_mov_b32_e32 v0, 0
	s_waitcnt lgkmcnt(0)
	global_store_dwordx2 v0, v[14:15], s[14:15]
                                        ; implicit-def: $vgpr10_vgpr11_vgpr12_vgpr13
.LBB4558_84:
	s_andn2_saveexec_b64 s[4:5], s[4:5]
	s_cbranch_execz .LBB4558_86
; %bb.85:
	v_mov_b32_e32 v0, 0
	s_waitcnt lgkmcnt(0)
	global_store_dwordx2 v0, v[12:13], s[14:15]
.LBB4558_86:
	s_or_b64 exec, exec, s[4:5]
                                        ; implicit-def: $vgpr10_vgpr11_vgpr12_vgpr13
.LBB4558_87:
	s_andn2_saveexec_b64 s[2:3], s[2:3]
	s_cbranch_execz .LBB4558_89
; %bb.88:
	v_mov_b32_e32 v0, 0
	s_waitcnt lgkmcnt(0)
	global_store_dwordx2 v0, v[10:11], s[14:15]
.LBB4558_89:
	s_or_b64 exec, exec, s[2:3]
                                        ; implicit-def: $vgpr0_vgpr1
                                        ; implicit-def: $vgpr2_vgpr3_vgpr4_vgpr5
                                        ; implicit-def: $vgpr6_vgpr7_vgpr8_vgpr9
.LBB4558_90:
	s_andn2_saveexec_b64 s[0:1], s[0:1]
	s_cbranch_execz .LBB4558_102
; %bb.91:
	v_cmp_lt_i64_e32 vcc, 1, v[0:1]
	s_and_saveexec_b64 s[0:1], vcc
	s_xor_b64 s[0:1], exec, s[0:1]
	s_cbranch_execz .LBB4558_97
; %bb.92:
	v_cmp_lt_i64_e32 vcc, 2, v[0:1]
	s_and_saveexec_b64 s[2:3], vcc
	s_xor_b64 s[2:3], exec, s[2:3]
	s_cbranch_execz .LBB4558_94
; %bb.93:
	v_mov_b32_e32 v0, 0
	s_waitcnt lgkmcnt(0)
	global_store_dwordx2 v0, v[8:9], s[14:15]
                                        ; implicit-def: $vgpr6_vgpr7_vgpr8_vgpr9
.LBB4558_94:
	s_andn2_saveexec_b64 s[2:3], s[2:3]
	s_cbranch_execz .LBB4558_96
; %bb.95:
	v_mov_b32_e32 v0, 0
	s_waitcnt lgkmcnt(0)
	global_store_dwordx2 v0, v[6:7], s[14:15]
.LBB4558_96:
	s_or_b64 exec, exec, s[2:3]
                                        ; implicit-def: $vgpr2_vgpr3_vgpr4_vgpr5
                                        ; implicit-def: $vgpr0_vgpr1
.LBB4558_97:
	s_andn2_saveexec_b64 s[0:1], s[0:1]
	s_cbranch_execz .LBB4558_102
; %bb.98:
	v_cmp_ne_u64_e32 vcc, 1, v[0:1]
	s_and_saveexec_b64 s[0:1], vcc
	s_xor_b64 s[0:1], exec, s[0:1]
	s_cbranch_execz .LBB4558_100
; %bb.99:
	v_mov_b32_e32 v0, 0
	s_waitcnt lgkmcnt(0)
	global_store_dwordx2 v0, v[2:3], s[14:15]
                                        ; implicit-def: $vgpr2_vgpr3_vgpr4_vgpr5
.LBB4558_100:
	s_andn2_saveexec_b64 s[0:1], s[0:1]
	s_cbranch_execz .LBB4558_102
; %bb.101:
	v_mov_b32_e32 v0, 0
	s_waitcnt lgkmcnt(0)
	global_store_dwordx2 v0, v[4:5], s[14:15]
.LBB4558_102:
	s_endpgm
	.section	.rodata,"a",@progbits
	.p2align	6, 0x0
	.amdhsa_kernel _ZN7rocprim17ROCPRIM_400000_NS6detail17trampoline_kernelINS0_14default_configENS1_20scan_config_selectorIyEEZZNS1_9scan_implILNS1_25lookback_scan_determinismE0ELb1ELb1ES3_N6thrust23THRUST_200600_302600_NS6detail15normal_iteratorINS9_10device_ptrIyEEEESE_yNS9_4plusIvEEyEEDaPvRmT3_T4_T5_mT6_P12ihipStream_tbENKUlT_T0_E_clISt17integral_constantIbLb0EEST_IbLb1EEEEDaSP_SQ_EUlSP_E_NS1_11comp_targetILNS1_3genE4ELNS1_11target_archE910ELNS1_3gpuE8ELNS1_3repE0EEENS1_30default_config_static_selectorELNS0_4arch9wavefront6targetE1EEEvT1_
		.amdhsa_group_segment_fixed_size 7168
		.amdhsa_private_segment_fixed_size 0
		.amdhsa_kernarg_size 104
		.amdhsa_user_sgpr_count 6
		.amdhsa_user_sgpr_private_segment_buffer 1
		.amdhsa_user_sgpr_dispatch_ptr 0
		.amdhsa_user_sgpr_queue_ptr 0
		.amdhsa_user_sgpr_kernarg_segment_ptr 1
		.amdhsa_user_sgpr_dispatch_id 0
		.amdhsa_user_sgpr_flat_scratch_init 0
		.amdhsa_user_sgpr_kernarg_preload_length 0
		.amdhsa_user_sgpr_kernarg_preload_offset 0
		.amdhsa_user_sgpr_private_segment_size 0
		.amdhsa_uses_dynamic_stack 0
		.amdhsa_system_sgpr_private_segment_wavefront_offset 0
		.amdhsa_system_sgpr_workgroup_id_x 1
		.amdhsa_system_sgpr_workgroup_id_y 0
		.amdhsa_system_sgpr_workgroup_id_z 0
		.amdhsa_system_sgpr_workgroup_info 0
		.amdhsa_system_vgpr_workitem_id 0
		.amdhsa_next_free_vgpr 51
		.amdhsa_next_free_sgpr 40
		.amdhsa_accum_offset 52
		.amdhsa_reserve_vcc 1
		.amdhsa_reserve_flat_scratch 0
		.amdhsa_float_round_mode_32 0
		.amdhsa_float_round_mode_16_64 0
		.amdhsa_float_denorm_mode_32 3
		.amdhsa_float_denorm_mode_16_64 3
		.amdhsa_dx10_clamp 1
		.amdhsa_ieee_mode 1
		.amdhsa_fp16_overflow 0
		.amdhsa_tg_split 0
		.amdhsa_exception_fp_ieee_invalid_op 0
		.amdhsa_exception_fp_denorm_src 0
		.amdhsa_exception_fp_ieee_div_zero 0
		.amdhsa_exception_fp_ieee_overflow 0
		.amdhsa_exception_fp_ieee_underflow 0
		.amdhsa_exception_fp_ieee_inexact 0
		.amdhsa_exception_int_div_zero 0
	.end_amdhsa_kernel
	.section	.text._ZN7rocprim17ROCPRIM_400000_NS6detail17trampoline_kernelINS0_14default_configENS1_20scan_config_selectorIyEEZZNS1_9scan_implILNS1_25lookback_scan_determinismE0ELb1ELb1ES3_N6thrust23THRUST_200600_302600_NS6detail15normal_iteratorINS9_10device_ptrIyEEEESE_yNS9_4plusIvEEyEEDaPvRmT3_T4_T5_mT6_P12ihipStream_tbENKUlT_T0_E_clISt17integral_constantIbLb0EEST_IbLb1EEEEDaSP_SQ_EUlSP_E_NS1_11comp_targetILNS1_3genE4ELNS1_11target_archE910ELNS1_3gpuE8ELNS1_3repE0EEENS1_30default_config_static_selectorELNS0_4arch9wavefront6targetE1EEEvT1_,"axG",@progbits,_ZN7rocprim17ROCPRIM_400000_NS6detail17trampoline_kernelINS0_14default_configENS1_20scan_config_selectorIyEEZZNS1_9scan_implILNS1_25lookback_scan_determinismE0ELb1ELb1ES3_N6thrust23THRUST_200600_302600_NS6detail15normal_iteratorINS9_10device_ptrIyEEEESE_yNS9_4plusIvEEyEEDaPvRmT3_T4_T5_mT6_P12ihipStream_tbENKUlT_T0_E_clISt17integral_constantIbLb0EEST_IbLb1EEEEDaSP_SQ_EUlSP_E_NS1_11comp_targetILNS1_3genE4ELNS1_11target_archE910ELNS1_3gpuE8ELNS1_3repE0EEENS1_30default_config_static_selectorELNS0_4arch9wavefront6targetE1EEEvT1_,comdat
.Lfunc_end4558:
	.size	_ZN7rocprim17ROCPRIM_400000_NS6detail17trampoline_kernelINS0_14default_configENS1_20scan_config_selectorIyEEZZNS1_9scan_implILNS1_25lookback_scan_determinismE0ELb1ELb1ES3_N6thrust23THRUST_200600_302600_NS6detail15normal_iteratorINS9_10device_ptrIyEEEESE_yNS9_4plusIvEEyEEDaPvRmT3_T4_T5_mT6_P12ihipStream_tbENKUlT_T0_E_clISt17integral_constantIbLb0EEST_IbLb1EEEEDaSP_SQ_EUlSP_E_NS1_11comp_targetILNS1_3genE4ELNS1_11target_archE910ELNS1_3gpuE8ELNS1_3repE0EEENS1_30default_config_static_selectorELNS0_4arch9wavefront6targetE1EEEvT1_, .Lfunc_end4558-_ZN7rocprim17ROCPRIM_400000_NS6detail17trampoline_kernelINS0_14default_configENS1_20scan_config_selectorIyEEZZNS1_9scan_implILNS1_25lookback_scan_determinismE0ELb1ELb1ES3_N6thrust23THRUST_200600_302600_NS6detail15normal_iteratorINS9_10device_ptrIyEEEESE_yNS9_4plusIvEEyEEDaPvRmT3_T4_T5_mT6_P12ihipStream_tbENKUlT_T0_E_clISt17integral_constantIbLb0EEST_IbLb1EEEEDaSP_SQ_EUlSP_E_NS1_11comp_targetILNS1_3genE4ELNS1_11target_archE910ELNS1_3gpuE8ELNS1_3repE0EEENS1_30default_config_static_selectorELNS0_4arch9wavefront6targetE1EEEvT1_
                                        ; -- End function
	.section	.AMDGPU.csdata,"",@progbits
; Kernel info:
; codeLenInByte = 5700
; NumSgprs: 44
; NumVgprs: 51
; NumAgprs: 0
; TotalNumVgprs: 51
; ScratchSize: 0
; MemoryBound: 0
; FloatMode: 240
; IeeeMode: 1
; LDSByteSize: 7168 bytes/workgroup (compile time only)
; SGPRBlocks: 5
; VGPRBlocks: 6
; NumSGPRsForWavesPerEU: 44
; NumVGPRsForWavesPerEU: 51
; AccumOffset: 52
; Occupancy: 5
; WaveLimiterHint : 1
; COMPUTE_PGM_RSRC2:SCRATCH_EN: 0
; COMPUTE_PGM_RSRC2:USER_SGPR: 6
; COMPUTE_PGM_RSRC2:TRAP_HANDLER: 0
; COMPUTE_PGM_RSRC2:TGID_X_EN: 1
; COMPUTE_PGM_RSRC2:TGID_Y_EN: 0
; COMPUTE_PGM_RSRC2:TGID_Z_EN: 0
; COMPUTE_PGM_RSRC2:TIDIG_COMP_CNT: 0
; COMPUTE_PGM_RSRC3_GFX90A:ACCUM_OFFSET: 12
; COMPUTE_PGM_RSRC3_GFX90A:TG_SPLIT: 0
	.section	.text._ZN7rocprim17ROCPRIM_400000_NS6detail17trampoline_kernelINS0_14default_configENS1_20scan_config_selectorIyEEZZNS1_9scan_implILNS1_25lookback_scan_determinismE0ELb1ELb1ES3_N6thrust23THRUST_200600_302600_NS6detail15normal_iteratorINS9_10device_ptrIyEEEESE_yNS9_4plusIvEEyEEDaPvRmT3_T4_T5_mT6_P12ihipStream_tbENKUlT_T0_E_clISt17integral_constantIbLb0EEST_IbLb1EEEEDaSP_SQ_EUlSP_E_NS1_11comp_targetILNS1_3genE3ELNS1_11target_archE908ELNS1_3gpuE7ELNS1_3repE0EEENS1_30default_config_static_selectorELNS0_4arch9wavefront6targetE1EEEvT1_,"axG",@progbits,_ZN7rocprim17ROCPRIM_400000_NS6detail17trampoline_kernelINS0_14default_configENS1_20scan_config_selectorIyEEZZNS1_9scan_implILNS1_25lookback_scan_determinismE0ELb1ELb1ES3_N6thrust23THRUST_200600_302600_NS6detail15normal_iteratorINS9_10device_ptrIyEEEESE_yNS9_4plusIvEEyEEDaPvRmT3_T4_T5_mT6_P12ihipStream_tbENKUlT_T0_E_clISt17integral_constantIbLb0EEST_IbLb1EEEEDaSP_SQ_EUlSP_E_NS1_11comp_targetILNS1_3genE3ELNS1_11target_archE908ELNS1_3gpuE7ELNS1_3repE0EEENS1_30default_config_static_selectorELNS0_4arch9wavefront6targetE1EEEvT1_,comdat
	.protected	_ZN7rocprim17ROCPRIM_400000_NS6detail17trampoline_kernelINS0_14default_configENS1_20scan_config_selectorIyEEZZNS1_9scan_implILNS1_25lookback_scan_determinismE0ELb1ELb1ES3_N6thrust23THRUST_200600_302600_NS6detail15normal_iteratorINS9_10device_ptrIyEEEESE_yNS9_4plusIvEEyEEDaPvRmT3_T4_T5_mT6_P12ihipStream_tbENKUlT_T0_E_clISt17integral_constantIbLb0EEST_IbLb1EEEEDaSP_SQ_EUlSP_E_NS1_11comp_targetILNS1_3genE3ELNS1_11target_archE908ELNS1_3gpuE7ELNS1_3repE0EEENS1_30default_config_static_selectorELNS0_4arch9wavefront6targetE1EEEvT1_ ; -- Begin function _ZN7rocprim17ROCPRIM_400000_NS6detail17trampoline_kernelINS0_14default_configENS1_20scan_config_selectorIyEEZZNS1_9scan_implILNS1_25lookback_scan_determinismE0ELb1ELb1ES3_N6thrust23THRUST_200600_302600_NS6detail15normal_iteratorINS9_10device_ptrIyEEEESE_yNS9_4plusIvEEyEEDaPvRmT3_T4_T5_mT6_P12ihipStream_tbENKUlT_T0_E_clISt17integral_constantIbLb0EEST_IbLb1EEEEDaSP_SQ_EUlSP_E_NS1_11comp_targetILNS1_3genE3ELNS1_11target_archE908ELNS1_3gpuE7ELNS1_3repE0EEENS1_30default_config_static_selectorELNS0_4arch9wavefront6targetE1EEEvT1_
	.globl	_ZN7rocprim17ROCPRIM_400000_NS6detail17trampoline_kernelINS0_14default_configENS1_20scan_config_selectorIyEEZZNS1_9scan_implILNS1_25lookback_scan_determinismE0ELb1ELb1ES3_N6thrust23THRUST_200600_302600_NS6detail15normal_iteratorINS9_10device_ptrIyEEEESE_yNS9_4plusIvEEyEEDaPvRmT3_T4_T5_mT6_P12ihipStream_tbENKUlT_T0_E_clISt17integral_constantIbLb0EEST_IbLb1EEEEDaSP_SQ_EUlSP_E_NS1_11comp_targetILNS1_3genE3ELNS1_11target_archE908ELNS1_3gpuE7ELNS1_3repE0EEENS1_30default_config_static_selectorELNS0_4arch9wavefront6targetE1EEEvT1_
	.p2align	8
	.type	_ZN7rocprim17ROCPRIM_400000_NS6detail17trampoline_kernelINS0_14default_configENS1_20scan_config_selectorIyEEZZNS1_9scan_implILNS1_25lookback_scan_determinismE0ELb1ELb1ES3_N6thrust23THRUST_200600_302600_NS6detail15normal_iteratorINS9_10device_ptrIyEEEESE_yNS9_4plusIvEEyEEDaPvRmT3_T4_T5_mT6_P12ihipStream_tbENKUlT_T0_E_clISt17integral_constantIbLb0EEST_IbLb1EEEEDaSP_SQ_EUlSP_E_NS1_11comp_targetILNS1_3genE3ELNS1_11target_archE908ELNS1_3gpuE7ELNS1_3repE0EEENS1_30default_config_static_selectorELNS0_4arch9wavefront6targetE1EEEvT1_,@function
_ZN7rocprim17ROCPRIM_400000_NS6detail17trampoline_kernelINS0_14default_configENS1_20scan_config_selectorIyEEZZNS1_9scan_implILNS1_25lookback_scan_determinismE0ELb1ELb1ES3_N6thrust23THRUST_200600_302600_NS6detail15normal_iteratorINS9_10device_ptrIyEEEESE_yNS9_4plusIvEEyEEDaPvRmT3_T4_T5_mT6_P12ihipStream_tbENKUlT_T0_E_clISt17integral_constantIbLb0EEST_IbLb1EEEEDaSP_SQ_EUlSP_E_NS1_11comp_targetILNS1_3genE3ELNS1_11target_archE908ELNS1_3gpuE7ELNS1_3repE0EEENS1_30default_config_static_selectorELNS0_4arch9wavefront6targetE1EEEvT1_: ; @_ZN7rocprim17ROCPRIM_400000_NS6detail17trampoline_kernelINS0_14default_configENS1_20scan_config_selectorIyEEZZNS1_9scan_implILNS1_25lookback_scan_determinismE0ELb1ELb1ES3_N6thrust23THRUST_200600_302600_NS6detail15normal_iteratorINS9_10device_ptrIyEEEESE_yNS9_4plusIvEEyEEDaPvRmT3_T4_T5_mT6_P12ihipStream_tbENKUlT_T0_E_clISt17integral_constantIbLb0EEST_IbLb1EEEEDaSP_SQ_EUlSP_E_NS1_11comp_targetILNS1_3genE3ELNS1_11target_archE908ELNS1_3gpuE7ELNS1_3repE0EEENS1_30default_config_static_selectorELNS0_4arch9wavefront6targetE1EEEvT1_
; %bb.0:
	.section	.rodata,"a",@progbits
	.p2align	6, 0x0
	.amdhsa_kernel _ZN7rocprim17ROCPRIM_400000_NS6detail17trampoline_kernelINS0_14default_configENS1_20scan_config_selectorIyEEZZNS1_9scan_implILNS1_25lookback_scan_determinismE0ELb1ELb1ES3_N6thrust23THRUST_200600_302600_NS6detail15normal_iteratorINS9_10device_ptrIyEEEESE_yNS9_4plusIvEEyEEDaPvRmT3_T4_T5_mT6_P12ihipStream_tbENKUlT_T0_E_clISt17integral_constantIbLb0EEST_IbLb1EEEEDaSP_SQ_EUlSP_E_NS1_11comp_targetILNS1_3genE3ELNS1_11target_archE908ELNS1_3gpuE7ELNS1_3repE0EEENS1_30default_config_static_selectorELNS0_4arch9wavefront6targetE1EEEvT1_
		.amdhsa_group_segment_fixed_size 0
		.amdhsa_private_segment_fixed_size 0
		.amdhsa_kernarg_size 104
		.amdhsa_user_sgpr_count 6
		.amdhsa_user_sgpr_private_segment_buffer 1
		.amdhsa_user_sgpr_dispatch_ptr 0
		.amdhsa_user_sgpr_queue_ptr 0
		.amdhsa_user_sgpr_kernarg_segment_ptr 1
		.amdhsa_user_sgpr_dispatch_id 0
		.amdhsa_user_sgpr_flat_scratch_init 0
		.amdhsa_user_sgpr_kernarg_preload_length 0
		.amdhsa_user_sgpr_kernarg_preload_offset 0
		.amdhsa_user_sgpr_private_segment_size 0
		.amdhsa_uses_dynamic_stack 0
		.amdhsa_system_sgpr_private_segment_wavefront_offset 0
		.amdhsa_system_sgpr_workgroup_id_x 1
		.amdhsa_system_sgpr_workgroup_id_y 0
		.amdhsa_system_sgpr_workgroup_id_z 0
		.amdhsa_system_sgpr_workgroup_info 0
		.amdhsa_system_vgpr_workitem_id 0
		.amdhsa_next_free_vgpr 1
		.amdhsa_next_free_sgpr 0
		.amdhsa_accum_offset 4
		.amdhsa_reserve_vcc 0
		.amdhsa_reserve_flat_scratch 0
		.amdhsa_float_round_mode_32 0
		.amdhsa_float_round_mode_16_64 0
		.amdhsa_float_denorm_mode_32 3
		.amdhsa_float_denorm_mode_16_64 3
		.amdhsa_dx10_clamp 1
		.amdhsa_ieee_mode 1
		.amdhsa_fp16_overflow 0
		.amdhsa_tg_split 0
		.amdhsa_exception_fp_ieee_invalid_op 0
		.amdhsa_exception_fp_denorm_src 0
		.amdhsa_exception_fp_ieee_div_zero 0
		.amdhsa_exception_fp_ieee_overflow 0
		.amdhsa_exception_fp_ieee_underflow 0
		.amdhsa_exception_fp_ieee_inexact 0
		.amdhsa_exception_int_div_zero 0
	.end_amdhsa_kernel
	.section	.text._ZN7rocprim17ROCPRIM_400000_NS6detail17trampoline_kernelINS0_14default_configENS1_20scan_config_selectorIyEEZZNS1_9scan_implILNS1_25lookback_scan_determinismE0ELb1ELb1ES3_N6thrust23THRUST_200600_302600_NS6detail15normal_iteratorINS9_10device_ptrIyEEEESE_yNS9_4plusIvEEyEEDaPvRmT3_T4_T5_mT6_P12ihipStream_tbENKUlT_T0_E_clISt17integral_constantIbLb0EEST_IbLb1EEEEDaSP_SQ_EUlSP_E_NS1_11comp_targetILNS1_3genE3ELNS1_11target_archE908ELNS1_3gpuE7ELNS1_3repE0EEENS1_30default_config_static_selectorELNS0_4arch9wavefront6targetE1EEEvT1_,"axG",@progbits,_ZN7rocprim17ROCPRIM_400000_NS6detail17trampoline_kernelINS0_14default_configENS1_20scan_config_selectorIyEEZZNS1_9scan_implILNS1_25lookback_scan_determinismE0ELb1ELb1ES3_N6thrust23THRUST_200600_302600_NS6detail15normal_iteratorINS9_10device_ptrIyEEEESE_yNS9_4plusIvEEyEEDaPvRmT3_T4_T5_mT6_P12ihipStream_tbENKUlT_T0_E_clISt17integral_constantIbLb0EEST_IbLb1EEEEDaSP_SQ_EUlSP_E_NS1_11comp_targetILNS1_3genE3ELNS1_11target_archE908ELNS1_3gpuE7ELNS1_3repE0EEENS1_30default_config_static_selectorELNS0_4arch9wavefront6targetE1EEEvT1_,comdat
.Lfunc_end4559:
	.size	_ZN7rocprim17ROCPRIM_400000_NS6detail17trampoline_kernelINS0_14default_configENS1_20scan_config_selectorIyEEZZNS1_9scan_implILNS1_25lookback_scan_determinismE0ELb1ELb1ES3_N6thrust23THRUST_200600_302600_NS6detail15normal_iteratorINS9_10device_ptrIyEEEESE_yNS9_4plusIvEEyEEDaPvRmT3_T4_T5_mT6_P12ihipStream_tbENKUlT_T0_E_clISt17integral_constantIbLb0EEST_IbLb1EEEEDaSP_SQ_EUlSP_E_NS1_11comp_targetILNS1_3genE3ELNS1_11target_archE908ELNS1_3gpuE7ELNS1_3repE0EEENS1_30default_config_static_selectorELNS0_4arch9wavefront6targetE1EEEvT1_, .Lfunc_end4559-_ZN7rocprim17ROCPRIM_400000_NS6detail17trampoline_kernelINS0_14default_configENS1_20scan_config_selectorIyEEZZNS1_9scan_implILNS1_25lookback_scan_determinismE0ELb1ELb1ES3_N6thrust23THRUST_200600_302600_NS6detail15normal_iteratorINS9_10device_ptrIyEEEESE_yNS9_4plusIvEEyEEDaPvRmT3_T4_T5_mT6_P12ihipStream_tbENKUlT_T0_E_clISt17integral_constantIbLb0EEST_IbLb1EEEEDaSP_SQ_EUlSP_E_NS1_11comp_targetILNS1_3genE3ELNS1_11target_archE908ELNS1_3gpuE7ELNS1_3repE0EEENS1_30default_config_static_selectorELNS0_4arch9wavefront6targetE1EEEvT1_
                                        ; -- End function
	.section	.AMDGPU.csdata,"",@progbits
; Kernel info:
; codeLenInByte = 0
; NumSgprs: 4
; NumVgprs: 0
; NumAgprs: 0
; TotalNumVgprs: 0
; ScratchSize: 0
; MemoryBound: 0
; FloatMode: 240
; IeeeMode: 1
; LDSByteSize: 0 bytes/workgroup (compile time only)
; SGPRBlocks: 0
; VGPRBlocks: 0
; NumSGPRsForWavesPerEU: 4
; NumVGPRsForWavesPerEU: 1
; AccumOffset: 4
; Occupancy: 8
; WaveLimiterHint : 0
; COMPUTE_PGM_RSRC2:SCRATCH_EN: 0
; COMPUTE_PGM_RSRC2:USER_SGPR: 6
; COMPUTE_PGM_RSRC2:TRAP_HANDLER: 0
; COMPUTE_PGM_RSRC2:TGID_X_EN: 1
; COMPUTE_PGM_RSRC2:TGID_Y_EN: 0
; COMPUTE_PGM_RSRC2:TGID_Z_EN: 0
; COMPUTE_PGM_RSRC2:TIDIG_COMP_CNT: 0
; COMPUTE_PGM_RSRC3_GFX90A:ACCUM_OFFSET: 0
; COMPUTE_PGM_RSRC3_GFX90A:TG_SPLIT: 0
	.section	.text._ZN7rocprim17ROCPRIM_400000_NS6detail17trampoline_kernelINS0_14default_configENS1_20scan_config_selectorIyEEZZNS1_9scan_implILNS1_25lookback_scan_determinismE0ELb1ELb1ES3_N6thrust23THRUST_200600_302600_NS6detail15normal_iteratorINS9_10device_ptrIyEEEESE_yNS9_4plusIvEEyEEDaPvRmT3_T4_T5_mT6_P12ihipStream_tbENKUlT_T0_E_clISt17integral_constantIbLb0EEST_IbLb1EEEEDaSP_SQ_EUlSP_E_NS1_11comp_targetILNS1_3genE2ELNS1_11target_archE906ELNS1_3gpuE6ELNS1_3repE0EEENS1_30default_config_static_selectorELNS0_4arch9wavefront6targetE1EEEvT1_,"axG",@progbits,_ZN7rocprim17ROCPRIM_400000_NS6detail17trampoline_kernelINS0_14default_configENS1_20scan_config_selectorIyEEZZNS1_9scan_implILNS1_25lookback_scan_determinismE0ELb1ELb1ES3_N6thrust23THRUST_200600_302600_NS6detail15normal_iteratorINS9_10device_ptrIyEEEESE_yNS9_4plusIvEEyEEDaPvRmT3_T4_T5_mT6_P12ihipStream_tbENKUlT_T0_E_clISt17integral_constantIbLb0EEST_IbLb1EEEEDaSP_SQ_EUlSP_E_NS1_11comp_targetILNS1_3genE2ELNS1_11target_archE906ELNS1_3gpuE6ELNS1_3repE0EEENS1_30default_config_static_selectorELNS0_4arch9wavefront6targetE1EEEvT1_,comdat
	.protected	_ZN7rocprim17ROCPRIM_400000_NS6detail17trampoline_kernelINS0_14default_configENS1_20scan_config_selectorIyEEZZNS1_9scan_implILNS1_25lookback_scan_determinismE0ELb1ELb1ES3_N6thrust23THRUST_200600_302600_NS6detail15normal_iteratorINS9_10device_ptrIyEEEESE_yNS9_4plusIvEEyEEDaPvRmT3_T4_T5_mT6_P12ihipStream_tbENKUlT_T0_E_clISt17integral_constantIbLb0EEST_IbLb1EEEEDaSP_SQ_EUlSP_E_NS1_11comp_targetILNS1_3genE2ELNS1_11target_archE906ELNS1_3gpuE6ELNS1_3repE0EEENS1_30default_config_static_selectorELNS0_4arch9wavefront6targetE1EEEvT1_ ; -- Begin function _ZN7rocprim17ROCPRIM_400000_NS6detail17trampoline_kernelINS0_14default_configENS1_20scan_config_selectorIyEEZZNS1_9scan_implILNS1_25lookback_scan_determinismE0ELb1ELb1ES3_N6thrust23THRUST_200600_302600_NS6detail15normal_iteratorINS9_10device_ptrIyEEEESE_yNS9_4plusIvEEyEEDaPvRmT3_T4_T5_mT6_P12ihipStream_tbENKUlT_T0_E_clISt17integral_constantIbLb0EEST_IbLb1EEEEDaSP_SQ_EUlSP_E_NS1_11comp_targetILNS1_3genE2ELNS1_11target_archE906ELNS1_3gpuE6ELNS1_3repE0EEENS1_30default_config_static_selectorELNS0_4arch9wavefront6targetE1EEEvT1_
	.globl	_ZN7rocprim17ROCPRIM_400000_NS6detail17trampoline_kernelINS0_14default_configENS1_20scan_config_selectorIyEEZZNS1_9scan_implILNS1_25lookback_scan_determinismE0ELb1ELb1ES3_N6thrust23THRUST_200600_302600_NS6detail15normal_iteratorINS9_10device_ptrIyEEEESE_yNS9_4plusIvEEyEEDaPvRmT3_T4_T5_mT6_P12ihipStream_tbENKUlT_T0_E_clISt17integral_constantIbLb0EEST_IbLb1EEEEDaSP_SQ_EUlSP_E_NS1_11comp_targetILNS1_3genE2ELNS1_11target_archE906ELNS1_3gpuE6ELNS1_3repE0EEENS1_30default_config_static_selectorELNS0_4arch9wavefront6targetE1EEEvT1_
	.p2align	8
	.type	_ZN7rocprim17ROCPRIM_400000_NS6detail17trampoline_kernelINS0_14default_configENS1_20scan_config_selectorIyEEZZNS1_9scan_implILNS1_25lookback_scan_determinismE0ELb1ELb1ES3_N6thrust23THRUST_200600_302600_NS6detail15normal_iteratorINS9_10device_ptrIyEEEESE_yNS9_4plusIvEEyEEDaPvRmT3_T4_T5_mT6_P12ihipStream_tbENKUlT_T0_E_clISt17integral_constantIbLb0EEST_IbLb1EEEEDaSP_SQ_EUlSP_E_NS1_11comp_targetILNS1_3genE2ELNS1_11target_archE906ELNS1_3gpuE6ELNS1_3repE0EEENS1_30default_config_static_selectorELNS0_4arch9wavefront6targetE1EEEvT1_,@function
_ZN7rocprim17ROCPRIM_400000_NS6detail17trampoline_kernelINS0_14default_configENS1_20scan_config_selectorIyEEZZNS1_9scan_implILNS1_25lookback_scan_determinismE0ELb1ELb1ES3_N6thrust23THRUST_200600_302600_NS6detail15normal_iteratorINS9_10device_ptrIyEEEESE_yNS9_4plusIvEEyEEDaPvRmT3_T4_T5_mT6_P12ihipStream_tbENKUlT_T0_E_clISt17integral_constantIbLb0EEST_IbLb1EEEEDaSP_SQ_EUlSP_E_NS1_11comp_targetILNS1_3genE2ELNS1_11target_archE906ELNS1_3gpuE6ELNS1_3repE0EEENS1_30default_config_static_selectorELNS0_4arch9wavefront6targetE1EEEvT1_: ; @_ZN7rocprim17ROCPRIM_400000_NS6detail17trampoline_kernelINS0_14default_configENS1_20scan_config_selectorIyEEZZNS1_9scan_implILNS1_25lookback_scan_determinismE0ELb1ELb1ES3_N6thrust23THRUST_200600_302600_NS6detail15normal_iteratorINS9_10device_ptrIyEEEESE_yNS9_4plusIvEEyEEDaPvRmT3_T4_T5_mT6_P12ihipStream_tbENKUlT_T0_E_clISt17integral_constantIbLb0EEST_IbLb1EEEEDaSP_SQ_EUlSP_E_NS1_11comp_targetILNS1_3genE2ELNS1_11target_archE906ELNS1_3gpuE6ELNS1_3repE0EEENS1_30default_config_static_selectorELNS0_4arch9wavefront6targetE1EEEvT1_
; %bb.0:
	.section	.rodata,"a",@progbits
	.p2align	6, 0x0
	.amdhsa_kernel _ZN7rocprim17ROCPRIM_400000_NS6detail17trampoline_kernelINS0_14default_configENS1_20scan_config_selectorIyEEZZNS1_9scan_implILNS1_25lookback_scan_determinismE0ELb1ELb1ES3_N6thrust23THRUST_200600_302600_NS6detail15normal_iteratorINS9_10device_ptrIyEEEESE_yNS9_4plusIvEEyEEDaPvRmT3_T4_T5_mT6_P12ihipStream_tbENKUlT_T0_E_clISt17integral_constantIbLb0EEST_IbLb1EEEEDaSP_SQ_EUlSP_E_NS1_11comp_targetILNS1_3genE2ELNS1_11target_archE906ELNS1_3gpuE6ELNS1_3repE0EEENS1_30default_config_static_selectorELNS0_4arch9wavefront6targetE1EEEvT1_
		.amdhsa_group_segment_fixed_size 0
		.amdhsa_private_segment_fixed_size 0
		.amdhsa_kernarg_size 104
		.amdhsa_user_sgpr_count 6
		.amdhsa_user_sgpr_private_segment_buffer 1
		.amdhsa_user_sgpr_dispatch_ptr 0
		.amdhsa_user_sgpr_queue_ptr 0
		.amdhsa_user_sgpr_kernarg_segment_ptr 1
		.amdhsa_user_sgpr_dispatch_id 0
		.amdhsa_user_sgpr_flat_scratch_init 0
		.amdhsa_user_sgpr_kernarg_preload_length 0
		.amdhsa_user_sgpr_kernarg_preload_offset 0
		.amdhsa_user_sgpr_private_segment_size 0
		.amdhsa_uses_dynamic_stack 0
		.amdhsa_system_sgpr_private_segment_wavefront_offset 0
		.amdhsa_system_sgpr_workgroup_id_x 1
		.amdhsa_system_sgpr_workgroup_id_y 0
		.amdhsa_system_sgpr_workgroup_id_z 0
		.amdhsa_system_sgpr_workgroup_info 0
		.amdhsa_system_vgpr_workitem_id 0
		.amdhsa_next_free_vgpr 1
		.amdhsa_next_free_sgpr 0
		.amdhsa_accum_offset 4
		.amdhsa_reserve_vcc 0
		.amdhsa_reserve_flat_scratch 0
		.amdhsa_float_round_mode_32 0
		.amdhsa_float_round_mode_16_64 0
		.amdhsa_float_denorm_mode_32 3
		.amdhsa_float_denorm_mode_16_64 3
		.amdhsa_dx10_clamp 1
		.amdhsa_ieee_mode 1
		.amdhsa_fp16_overflow 0
		.amdhsa_tg_split 0
		.amdhsa_exception_fp_ieee_invalid_op 0
		.amdhsa_exception_fp_denorm_src 0
		.amdhsa_exception_fp_ieee_div_zero 0
		.amdhsa_exception_fp_ieee_overflow 0
		.amdhsa_exception_fp_ieee_underflow 0
		.amdhsa_exception_fp_ieee_inexact 0
		.amdhsa_exception_int_div_zero 0
	.end_amdhsa_kernel
	.section	.text._ZN7rocprim17ROCPRIM_400000_NS6detail17trampoline_kernelINS0_14default_configENS1_20scan_config_selectorIyEEZZNS1_9scan_implILNS1_25lookback_scan_determinismE0ELb1ELb1ES3_N6thrust23THRUST_200600_302600_NS6detail15normal_iteratorINS9_10device_ptrIyEEEESE_yNS9_4plusIvEEyEEDaPvRmT3_T4_T5_mT6_P12ihipStream_tbENKUlT_T0_E_clISt17integral_constantIbLb0EEST_IbLb1EEEEDaSP_SQ_EUlSP_E_NS1_11comp_targetILNS1_3genE2ELNS1_11target_archE906ELNS1_3gpuE6ELNS1_3repE0EEENS1_30default_config_static_selectorELNS0_4arch9wavefront6targetE1EEEvT1_,"axG",@progbits,_ZN7rocprim17ROCPRIM_400000_NS6detail17trampoline_kernelINS0_14default_configENS1_20scan_config_selectorIyEEZZNS1_9scan_implILNS1_25lookback_scan_determinismE0ELb1ELb1ES3_N6thrust23THRUST_200600_302600_NS6detail15normal_iteratorINS9_10device_ptrIyEEEESE_yNS9_4plusIvEEyEEDaPvRmT3_T4_T5_mT6_P12ihipStream_tbENKUlT_T0_E_clISt17integral_constantIbLb0EEST_IbLb1EEEEDaSP_SQ_EUlSP_E_NS1_11comp_targetILNS1_3genE2ELNS1_11target_archE906ELNS1_3gpuE6ELNS1_3repE0EEENS1_30default_config_static_selectorELNS0_4arch9wavefront6targetE1EEEvT1_,comdat
.Lfunc_end4560:
	.size	_ZN7rocprim17ROCPRIM_400000_NS6detail17trampoline_kernelINS0_14default_configENS1_20scan_config_selectorIyEEZZNS1_9scan_implILNS1_25lookback_scan_determinismE0ELb1ELb1ES3_N6thrust23THRUST_200600_302600_NS6detail15normal_iteratorINS9_10device_ptrIyEEEESE_yNS9_4plusIvEEyEEDaPvRmT3_T4_T5_mT6_P12ihipStream_tbENKUlT_T0_E_clISt17integral_constantIbLb0EEST_IbLb1EEEEDaSP_SQ_EUlSP_E_NS1_11comp_targetILNS1_3genE2ELNS1_11target_archE906ELNS1_3gpuE6ELNS1_3repE0EEENS1_30default_config_static_selectorELNS0_4arch9wavefront6targetE1EEEvT1_, .Lfunc_end4560-_ZN7rocprim17ROCPRIM_400000_NS6detail17trampoline_kernelINS0_14default_configENS1_20scan_config_selectorIyEEZZNS1_9scan_implILNS1_25lookback_scan_determinismE0ELb1ELb1ES3_N6thrust23THRUST_200600_302600_NS6detail15normal_iteratorINS9_10device_ptrIyEEEESE_yNS9_4plusIvEEyEEDaPvRmT3_T4_T5_mT6_P12ihipStream_tbENKUlT_T0_E_clISt17integral_constantIbLb0EEST_IbLb1EEEEDaSP_SQ_EUlSP_E_NS1_11comp_targetILNS1_3genE2ELNS1_11target_archE906ELNS1_3gpuE6ELNS1_3repE0EEENS1_30default_config_static_selectorELNS0_4arch9wavefront6targetE1EEEvT1_
                                        ; -- End function
	.section	.AMDGPU.csdata,"",@progbits
; Kernel info:
; codeLenInByte = 0
; NumSgprs: 4
; NumVgprs: 0
; NumAgprs: 0
; TotalNumVgprs: 0
; ScratchSize: 0
; MemoryBound: 0
; FloatMode: 240
; IeeeMode: 1
; LDSByteSize: 0 bytes/workgroup (compile time only)
; SGPRBlocks: 0
; VGPRBlocks: 0
; NumSGPRsForWavesPerEU: 4
; NumVGPRsForWavesPerEU: 1
; AccumOffset: 4
; Occupancy: 8
; WaveLimiterHint : 0
; COMPUTE_PGM_RSRC2:SCRATCH_EN: 0
; COMPUTE_PGM_RSRC2:USER_SGPR: 6
; COMPUTE_PGM_RSRC2:TRAP_HANDLER: 0
; COMPUTE_PGM_RSRC2:TGID_X_EN: 1
; COMPUTE_PGM_RSRC2:TGID_Y_EN: 0
; COMPUTE_PGM_RSRC2:TGID_Z_EN: 0
; COMPUTE_PGM_RSRC2:TIDIG_COMP_CNT: 0
; COMPUTE_PGM_RSRC3_GFX90A:ACCUM_OFFSET: 0
; COMPUTE_PGM_RSRC3_GFX90A:TG_SPLIT: 0
	.section	.text._ZN7rocprim17ROCPRIM_400000_NS6detail17trampoline_kernelINS0_14default_configENS1_20scan_config_selectorIyEEZZNS1_9scan_implILNS1_25lookback_scan_determinismE0ELb1ELb1ES3_N6thrust23THRUST_200600_302600_NS6detail15normal_iteratorINS9_10device_ptrIyEEEESE_yNS9_4plusIvEEyEEDaPvRmT3_T4_T5_mT6_P12ihipStream_tbENKUlT_T0_E_clISt17integral_constantIbLb0EEST_IbLb1EEEEDaSP_SQ_EUlSP_E_NS1_11comp_targetILNS1_3genE10ELNS1_11target_archE1201ELNS1_3gpuE5ELNS1_3repE0EEENS1_30default_config_static_selectorELNS0_4arch9wavefront6targetE1EEEvT1_,"axG",@progbits,_ZN7rocprim17ROCPRIM_400000_NS6detail17trampoline_kernelINS0_14default_configENS1_20scan_config_selectorIyEEZZNS1_9scan_implILNS1_25lookback_scan_determinismE0ELb1ELb1ES3_N6thrust23THRUST_200600_302600_NS6detail15normal_iteratorINS9_10device_ptrIyEEEESE_yNS9_4plusIvEEyEEDaPvRmT3_T4_T5_mT6_P12ihipStream_tbENKUlT_T0_E_clISt17integral_constantIbLb0EEST_IbLb1EEEEDaSP_SQ_EUlSP_E_NS1_11comp_targetILNS1_3genE10ELNS1_11target_archE1201ELNS1_3gpuE5ELNS1_3repE0EEENS1_30default_config_static_selectorELNS0_4arch9wavefront6targetE1EEEvT1_,comdat
	.protected	_ZN7rocprim17ROCPRIM_400000_NS6detail17trampoline_kernelINS0_14default_configENS1_20scan_config_selectorIyEEZZNS1_9scan_implILNS1_25lookback_scan_determinismE0ELb1ELb1ES3_N6thrust23THRUST_200600_302600_NS6detail15normal_iteratorINS9_10device_ptrIyEEEESE_yNS9_4plusIvEEyEEDaPvRmT3_T4_T5_mT6_P12ihipStream_tbENKUlT_T0_E_clISt17integral_constantIbLb0EEST_IbLb1EEEEDaSP_SQ_EUlSP_E_NS1_11comp_targetILNS1_3genE10ELNS1_11target_archE1201ELNS1_3gpuE5ELNS1_3repE0EEENS1_30default_config_static_selectorELNS0_4arch9wavefront6targetE1EEEvT1_ ; -- Begin function _ZN7rocprim17ROCPRIM_400000_NS6detail17trampoline_kernelINS0_14default_configENS1_20scan_config_selectorIyEEZZNS1_9scan_implILNS1_25lookback_scan_determinismE0ELb1ELb1ES3_N6thrust23THRUST_200600_302600_NS6detail15normal_iteratorINS9_10device_ptrIyEEEESE_yNS9_4plusIvEEyEEDaPvRmT3_T4_T5_mT6_P12ihipStream_tbENKUlT_T0_E_clISt17integral_constantIbLb0EEST_IbLb1EEEEDaSP_SQ_EUlSP_E_NS1_11comp_targetILNS1_3genE10ELNS1_11target_archE1201ELNS1_3gpuE5ELNS1_3repE0EEENS1_30default_config_static_selectorELNS0_4arch9wavefront6targetE1EEEvT1_
	.globl	_ZN7rocprim17ROCPRIM_400000_NS6detail17trampoline_kernelINS0_14default_configENS1_20scan_config_selectorIyEEZZNS1_9scan_implILNS1_25lookback_scan_determinismE0ELb1ELb1ES3_N6thrust23THRUST_200600_302600_NS6detail15normal_iteratorINS9_10device_ptrIyEEEESE_yNS9_4plusIvEEyEEDaPvRmT3_T4_T5_mT6_P12ihipStream_tbENKUlT_T0_E_clISt17integral_constantIbLb0EEST_IbLb1EEEEDaSP_SQ_EUlSP_E_NS1_11comp_targetILNS1_3genE10ELNS1_11target_archE1201ELNS1_3gpuE5ELNS1_3repE0EEENS1_30default_config_static_selectorELNS0_4arch9wavefront6targetE1EEEvT1_
	.p2align	8
	.type	_ZN7rocprim17ROCPRIM_400000_NS6detail17trampoline_kernelINS0_14default_configENS1_20scan_config_selectorIyEEZZNS1_9scan_implILNS1_25lookback_scan_determinismE0ELb1ELb1ES3_N6thrust23THRUST_200600_302600_NS6detail15normal_iteratorINS9_10device_ptrIyEEEESE_yNS9_4plusIvEEyEEDaPvRmT3_T4_T5_mT6_P12ihipStream_tbENKUlT_T0_E_clISt17integral_constantIbLb0EEST_IbLb1EEEEDaSP_SQ_EUlSP_E_NS1_11comp_targetILNS1_3genE10ELNS1_11target_archE1201ELNS1_3gpuE5ELNS1_3repE0EEENS1_30default_config_static_selectorELNS0_4arch9wavefront6targetE1EEEvT1_,@function
_ZN7rocprim17ROCPRIM_400000_NS6detail17trampoline_kernelINS0_14default_configENS1_20scan_config_selectorIyEEZZNS1_9scan_implILNS1_25lookback_scan_determinismE0ELb1ELb1ES3_N6thrust23THRUST_200600_302600_NS6detail15normal_iteratorINS9_10device_ptrIyEEEESE_yNS9_4plusIvEEyEEDaPvRmT3_T4_T5_mT6_P12ihipStream_tbENKUlT_T0_E_clISt17integral_constantIbLb0EEST_IbLb1EEEEDaSP_SQ_EUlSP_E_NS1_11comp_targetILNS1_3genE10ELNS1_11target_archE1201ELNS1_3gpuE5ELNS1_3repE0EEENS1_30default_config_static_selectorELNS0_4arch9wavefront6targetE1EEEvT1_: ; @_ZN7rocprim17ROCPRIM_400000_NS6detail17trampoline_kernelINS0_14default_configENS1_20scan_config_selectorIyEEZZNS1_9scan_implILNS1_25lookback_scan_determinismE0ELb1ELb1ES3_N6thrust23THRUST_200600_302600_NS6detail15normal_iteratorINS9_10device_ptrIyEEEESE_yNS9_4plusIvEEyEEDaPvRmT3_T4_T5_mT6_P12ihipStream_tbENKUlT_T0_E_clISt17integral_constantIbLb0EEST_IbLb1EEEEDaSP_SQ_EUlSP_E_NS1_11comp_targetILNS1_3genE10ELNS1_11target_archE1201ELNS1_3gpuE5ELNS1_3repE0EEENS1_30default_config_static_selectorELNS0_4arch9wavefront6targetE1EEEvT1_
; %bb.0:
	.section	.rodata,"a",@progbits
	.p2align	6, 0x0
	.amdhsa_kernel _ZN7rocprim17ROCPRIM_400000_NS6detail17trampoline_kernelINS0_14default_configENS1_20scan_config_selectorIyEEZZNS1_9scan_implILNS1_25lookback_scan_determinismE0ELb1ELb1ES3_N6thrust23THRUST_200600_302600_NS6detail15normal_iteratorINS9_10device_ptrIyEEEESE_yNS9_4plusIvEEyEEDaPvRmT3_T4_T5_mT6_P12ihipStream_tbENKUlT_T0_E_clISt17integral_constantIbLb0EEST_IbLb1EEEEDaSP_SQ_EUlSP_E_NS1_11comp_targetILNS1_3genE10ELNS1_11target_archE1201ELNS1_3gpuE5ELNS1_3repE0EEENS1_30default_config_static_selectorELNS0_4arch9wavefront6targetE1EEEvT1_
		.amdhsa_group_segment_fixed_size 0
		.amdhsa_private_segment_fixed_size 0
		.amdhsa_kernarg_size 104
		.amdhsa_user_sgpr_count 6
		.amdhsa_user_sgpr_private_segment_buffer 1
		.amdhsa_user_sgpr_dispatch_ptr 0
		.amdhsa_user_sgpr_queue_ptr 0
		.amdhsa_user_sgpr_kernarg_segment_ptr 1
		.amdhsa_user_sgpr_dispatch_id 0
		.amdhsa_user_sgpr_flat_scratch_init 0
		.amdhsa_user_sgpr_kernarg_preload_length 0
		.amdhsa_user_sgpr_kernarg_preload_offset 0
		.amdhsa_user_sgpr_private_segment_size 0
		.amdhsa_uses_dynamic_stack 0
		.amdhsa_system_sgpr_private_segment_wavefront_offset 0
		.amdhsa_system_sgpr_workgroup_id_x 1
		.amdhsa_system_sgpr_workgroup_id_y 0
		.amdhsa_system_sgpr_workgroup_id_z 0
		.amdhsa_system_sgpr_workgroup_info 0
		.amdhsa_system_vgpr_workitem_id 0
		.amdhsa_next_free_vgpr 1
		.amdhsa_next_free_sgpr 0
		.amdhsa_accum_offset 4
		.amdhsa_reserve_vcc 0
		.amdhsa_reserve_flat_scratch 0
		.amdhsa_float_round_mode_32 0
		.amdhsa_float_round_mode_16_64 0
		.amdhsa_float_denorm_mode_32 3
		.amdhsa_float_denorm_mode_16_64 3
		.amdhsa_dx10_clamp 1
		.amdhsa_ieee_mode 1
		.amdhsa_fp16_overflow 0
		.amdhsa_tg_split 0
		.amdhsa_exception_fp_ieee_invalid_op 0
		.amdhsa_exception_fp_denorm_src 0
		.amdhsa_exception_fp_ieee_div_zero 0
		.amdhsa_exception_fp_ieee_overflow 0
		.amdhsa_exception_fp_ieee_underflow 0
		.amdhsa_exception_fp_ieee_inexact 0
		.amdhsa_exception_int_div_zero 0
	.end_amdhsa_kernel
	.section	.text._ZN7rocprim17ROCPRIM_400000_NS6detail17trampoline_kernelINS0_14default_configENS1_20scan_config_selectorIyEEZZNS1_9scan_implILNS1_25lookback_scan_determinismE0ELb1ELb1ES3_N6thrust23THRUST_200600_302600_NS6detail15normal_iteratorINS9_10device_ptrIyEEEESE_yNS9_4plusIvEEyEEDaPvRmT3_T4_T5_mT6_P12ihipStream_tbENKUlT_T0_E_clISt17integral_constantIbLb0EEST_IbLb1EEEEDaSP_SQ_EUlSP_E_NS1_11comp_targetILNS1_3genE10ELNS1_11target_archE1201ELNS1_3gpuE5ELNS1_3repE0EEENS1_30default_config_static_selectorELNS0_4arch9wavefront6targetE1EEEvT1_,"axG",@progbits,_ZN7rocprim17ROCPRIM_400000_NS6detail17trampoline_kernelINS0_14default_configENS1_20scan_config_selectorIyEEZZNS1_9scan_implILNS1_25lookback_scan_determinismE0ELb1ELb1ES3_N6thrust23THRUST_200600_302600_NS6detail15normal_iteratorINS9_10device_ptrIyEEEESE_yNS9_4plusIvEEyEEDaPvRmT3_T4_T5_mT6_P12ihipStream_tbENKUlT_T0_E_clISt17integral_constantIbLb0EEST_IbLb1EEEEDaSP_SQ_EUlSP_E_NS1_11comp_targetILNS1_3genE10ELNS1_11target_archE1201ELNS1_3gpuE5ELNS1_3repE0EEENS1_30default_config_static_selectorELNS0_4arch9wavefront6targetE1EEEvT1_,comdat
.Lfunc_end4561:
	.size	_ZN7rocprim17ROCPRIM_400000_NS6detail17trampoline_kernelINS0_14default_configENS1_20scan_config_selectorIyEEZZNS1_9scan_implILNS1_25lookback_scan_determinismE0ELb1ELb1ES3_N6thrust23THRUST_200600_302600_NS6detail15normal_iteratorINS9_10device_ptrIyEEEESE_yNS9_4plusIvEEyEEDaPvRmT3_T4_T5_mT6_P12ihipStream_tbENKUlT_T0_E_clISt17integral_constantIbLb0EEST_IbLb1EEEEDaSP_SQ_EUlSP_E_NS1_11comp_targetILNS1_3genE10ELNS1_11target_archE1201ELNS1_3gpuE5ELNS1_3repE0EEENS1_30default_config_static_selectorELNS0_4arch9wavefront6targetE1EEEvT1_, .Lfunc_end4561-_ZN7rocprim17ROCPRIM_400000_NS6detail17trampoline_kernelINS0_14default_configENS1_20scan_config_selectorIyEEZZNS1_9scan_implILNS1_25lookback_scan_determinismE0ELb1ELb1ES3_N6thrust23THRUST_200600_302600_NS6detail15normal_iteratorINS9_10device_ptrIyEEEESE_yNS9_4plusIvEEyEEDaPvRmT3_T4_T5_mT6_P12ihipStream_tbENKUlT_T0_E_clISt17integral_constantIbLb0EEST_IbLb1EEEEDaSP_SQ_EUlSP_E_NS1_11comp_targetILNS1_3genE10ELNS1_11target_archE1201ELNS1_3gpuE5ELNS1_3repE0EEENS1_30default_config_static_selectorELNS0_4arch9wavefront6targetE1EEEvT1_
                                        ; -- End function
	.section	.AMDGPU.csdata,"",@progbits
; Kernel info:
; codeLenInByte = 0
; NumSgprs: 4
; NumVgprs: 0
; NumAgprs: 0
; TotalNumVgprs: 0
; ScratchSize: 0
; MemoryBound: 0
; FloatMode: 240
; IeeeMode: 1
; LDSByteSize: 0 bytes/workgroup (compile time only)
; SGPRBlocks: 0
; VGPRBlocks: 0
; NumSGPRsForWavesPerEU: 4
; NumVGPRsForWavesPerEU: 1
; AccumOffset: 4
; Occupancy: 8
; WaveLimiterHint : 0
; COMPUTE_PGM_RSRC2:SCRATCH_EN: 0
; COMPUTE_PGM_RSRC2:USER_SGPR: 6
; COMPUTE_PGM_RSRC2:TRAP_HANDLER: 0
; COMPUTE_PGM_RSRC2:TGID_X_EN: 1
; COMPUTE_PGM_RSRC2:TGID_Y_EN: 0
; COMPUTE_PGM_RSRC2:TGID_Z_EN: 0
; COMPUTE_PGM_RSRC2:TIDIG_COMP_CNT: 0
; COMPUTE_PGM_RSRC3_GFX90A:ACCUM_OFFSET: 0
; COMPUTE_PGM_RSRC3_GFX90A:TG_SPLIT: 0
	.section	.text._ZN7rocprim17ROCPRIM_400000_NS6detail17trampoline_kernelINS0_14default_configENS1_20scan_config_selectorIyEEZZNS1_9scan_implILNS1_25lookback_scan_determinismE0ELb1ELb1ES3_N6thrust23THRUST_200600_302600_NS6detail15normal_iteratorINS9_10device_ptrIyEEEESE_yNS9_4plusIvEEyEEDaPvRmT3_T4_T5_mT6_P12ihipStream_tbENKUlT_T0_E_clISt17integral_constantIbLb0EEST_IbLb1EEEEDaSP_SQ_EUlSP_E_NS1_11comp_targetILNS1_3genE10ELNS1_11target_archE1200ELNS1_3gpuE4ELNS1_3repE0EEENS1_30default_config_static_selectorELNS0_4arch9wavefront6targetE1EEEvT1_,"axG",@progbits,_ZN7rocprim17ROCPRIM_400000_NS6detail17trampoline_kernelINS0_14default_configENS1_20scan_config_selectorIyEEZZNS1_9scan_implILNS1_25lookback_scan_determinismE0ELb1ELb1ES3_N6thrust23THRUST_200600_302600_NS6detail15normal_iteratorINS9_10device_ptrIyEEEESE_yNS9_4plusIvEEyEEDaPvRmT3_T4_T5_mT6_P12ihipStream_tbENKUlT_T0_E_clISt17integral_constantIbLb0EEST_IbLb1EEEEDaSP_SQ_EUlSP_E_NS1_11comp_targetILNS1_3genE10ELNS1_11target_archE1200ELNS1_3gpuE4ELNS1_3repE0EEENS1_30default_config_static_selectorELNS0_4arch9wavefront6targetE1EEEvT1_,comdat
	.protected	_ZN7rocprim17ROCPRIM_400000_NS6detail17trampoline_kernelINS0_14default_configENS1_20scan_config_selectorIyEEZZNS1_9scan_implILNS1_25lookback_scan_determinismE0ELb1ELb1ES3_N6thrust23THRUST_200600_302600_NS6detail15normal_iteratorINS9_10device_ptrIyEEEESE_yNS9_4plusIvEEyEEDaPvRmT3_T4_T5_mT6_P12ihipStream_tbENKUlT_T0_E_clISt17integral_constantIbLb0EEST_IbLb1EEEEDaSP_SQ_EUlSP_E_NS1_11comp_targetILNS1_3genE10ELNS1_11target_archE1200ELNS1_3gpuE4ELNS1_3repE0EEENS1_30default_config_static_selectorELNS0_4arch9wavefront6targetE1EEEvT1_ ; -- Begin function _ZN7rocprim17ROCPRIM_400000_NS6detail17trampoline_kernelINS0_14default_configENS1_20scan_config_selectorIyEEZZNS1_9scan_implILNS1_25lookback_scan_determinismE0ELb1ELb1ES3_N6thrust23THRUST_200600_302600_NS6detail15normal_iteratorINS9_10device_ptrIyEEEESE_yNS9_4plusIvEEyEEDaPvRmT3_T4_T5_mT6_P12ihipStream_tbENKUlT_T0_E_clISt17integral_constantIbLb0EEST_IbLb1EEEEDaSP_SQ_EUlSP_E_NS1_11comp_targetILNS1_3genE10ELNS1_11target_archE1200ELNS1_3gpuE4ELNS1_3repE0EEENS1_30default_config_static_selectorELNS0_4arch9wavefront6targetE1EEEvT1_
	.globl	_ZN7rocprim17ROCPRIM_400000_NS6detail17trampoline_kernelINS0_14default_configENS1_20scan_config_selectorIyEEZZNS1_9scan_implILNS1_25lookback_scan_determinismE0ELb1ELb1ES3_N6thrust23THRUST_200600_302600_NS6detail15normal_iteratorINS9_10device_ptrIyEEEESE_yNS9_4plusIvEEyEEDaPvRmT3_T4_T5_mT6_P12ihipStream_tbENKUlT_T0_E_clISt17integral_constantIbLb0EEST_IbLb1EEEEDaSP_SQ_EUlSP_E_NS1_11comp_targetILNS1_3genE10ELNS1_11target_archE1200ELNS1_3gpuE4ELNS1_3repE0EEENS1_30default_config_static_selectorELNS0_4arch9wavefront6targetE1EEEvT1_
	.p2align	8
	.type	_ZN7rocprim17ROCPRIM_400000_NS6detail17trampoline_kernelINS0_14default_configENS1_20scan_config_selectorIyEEZZNS1_9scan_implILNS1_25lookback_scan_determinismE0ELb1ELb1ES3_N6thrust23THRUST_200600_302600_NS6detail15normal_iteratorINS9_10device_ptrIyEEEESE_yNS9_4plusIvEEyEEDaPvRmT3_T4_T5_mT6_P12ihipStream_tbENKUlT_T0_E_clISt17integral_constantIbLb0EEST_IbLb1EEEEDaSP_SQ_EUlSP_E_NS1_11comp_targetILNS1_3genE10ELNS1_11target_archE1200ELNS1_3gpuE4ELNS1_3repE0EEENS1_30default_config_static_selectorELNS0_4arch9wavefront6targetE1EEEvT1_,@function
_ZN7rocprim17ROCPRIM_400000_NS6detail17trampoline_kernelINS0_14default_configENS1_20scan_config_selectorIyEEZZNS1_9scan_implILNS1_25lookback_scan_determinismE0ELb1ELb1ES3_N6thrust23THRUST_200600_302600_NS6detail15normal_iteratorINS9_10device_ptrIyEEEESE_yNS9_4plusIvEEyEEDaPvRmT3_T4_T5_mT6_P12ihipStream_tbENKUlT_T0_E_clISt17integral_constantIbLb0EEST_IbLb1EEEEDaSP_SQ_EUlSP_E_NS1_11comp_targetILNS1_3genE10ELNS1_11target_archE1200ELNS1_3gpuE4ELNS1_3repE0EEENS1_30default_config_static_selectorELNS0_4arch9wavefront6targetE1EEEvT1_: ; @_ZN7rocprim17ROCPRIM_400000_NS6detail17trampoline_kernelINS0_14default_configENS1_20scan_config_selectorIyEEZZNS1_9scan_implILNS1_25lookback_scan_determinismE0ELb1ELb1ES3_N6thrust23THRUST_200600_302600_NS6detail15normal_iteratorINS9_10device_ptrIyEEEESE_yNS9_4plusIvEEyEEDaPvRmT3_T4_T5_mT6_P12ihipStream_tbENKUlT_T0_E_clISt17integral_constantIbLb0EEST_IbLb1EEEEDaSP_SQ_EUlSP_E_NS1_11comp_targetILNS1_3genE10ELNS1_11target_archE1200ELNS1_3gpuE4ELNS1_3repE0EEENS1_30default_config_static_selectorELNS0_4arch9wavefront6targetE1EEEvT1_
; %bb.0:
	.section	.rodata,"a",@progbits
	.p2align	6, 0x0
	.amdhsa_kernel _ZN7rocprim17ROCPRIM_400000_NS6detail17trampoline_kernelINS0_14default_configENS1_20scan_config_selectorIyEEZZNS1_9scan_implILNS1_25lookback_scan_determinismE0ELb1ELb1ES3_N6thrust23THRUST_200600_302600_NS6detail15normal_iteratorINS9_10device_ptrIyEEEESE_yNS9_4plusIvEEyEEDaPvRmT3_T4_T5_mT6_P12ihipStream_tbENKUlT_T0_E_clISt17integral_constantIbLb0EEST_IbLb1EEEEDaSP_SQ_EUlSP_E_NS1_11comp_targetILNS1_3genE10ELNS1_11target_archE1200ELNS1_3gpuE4ELNS1_3repE0EEENS1_30default_config_static_selectorELNS0_4arch9wavefront6targetE1EEEvT1_
		.amdhsa_group_segment_fixed_size 0
		.amdhsa_private_segment_fixed_size 0
		.amdhsa_kernarg_size 104
		.amdhsa_user_sgpr_count 6
		.amdhsa_user_sgpr_private_segment_buffer 1
		.amdhsa_user_sgpr_dispatch_ptr 0
		.amdhsa_user_sgpr_queue_ptr 0
		.amdhsa_user_sgpr_kernarg_segment_ptr 1
		.amdhsa_user_sgpr_dispatch_id 0
		.amdhsa_user_sgpr_flat_scratch_init 0
		.amdhsa_user_sgpr_kernarg_preload_length 0
		.amdhsa_user_sgpr_kernarg_preload_offset 0
		.amdhsa_user_sgpr_private_segment_size 0
		.amdhsa_uses_dynamic_stack 0
		.amdhsa_system_sgpr_private_segment_wavefront_offset 0
		.amdhsa_system_sgpr_workgroup_id_x 1
		.amdhsa_system_sgpr_workgroup_id_y 0
		.amdhsa_system_sgpr_workgroup_id_z 0
		.amdhsa_system_sgpr_workgroup_info 0
		.amdhsa_system_vgpr_workitem_id 0
		.amdhsa_next_free_vgpr 1
		.amdhsa_next_free_sgpr 0
		.amdhsa_accum_offset 4
		.amdhsa_reserve_vcc 0
		.amdhsa_reserve_flat_scratch 0
		.amdhsa_float_round_mode_32 0
		.amdhsa_float_round_mode_16_64 0
		.amdhsa_float_denorm_mode_32 3
		.amdhsa_float_denorm_mode_16_64 3
		.amdhsa_dx10_clamp 1
		.amdhsa_ieee_mode 1
		.amdhsa_fp16_overflow 0
		.amdhsa_tg_split 0
		.amdhsa_exception_fp_ieee_invalid_op 0
		.amdhsa_exception_fp_denorm_src 0
		.amdhsa_exception_fp_ieee_div_zero 0
		.amdhsa_exception_fp_ieee_overflow 0
		.amdhsa_exception_fp_ieee_underflow 0
		.amdhsa_exception_fp_ieee_inexact 0
		.amdhsa_exception_int_div_zero 0
	.end_amdhsa_kernel
	.section	.text._ZN7rocprim17ROCPRIM_400000_NS6detail17trampoline_kernelINS0_14default_configENS1_20scan_config_selectorIyEEZZNS1_9scan_implILNS1_25lookback_scan_determinismE0ELb1ELb1ES3_N6thrust23THRUST_200600_302600_NS6detail15normal_iteratorINS9_10device_ptrIyEEEESE_yNS9_4plusIvEEyEEDaPvRmT3_T4_T5_mT6_P12ihipStream_tbENKUlT_T0_E_clISt17integral_constantIbLb0EEST_IbLb1EEEEDaSP_SQ_EUlSP_E_NS1_11comp_targetILNS1_3genE10ELNS1_11target_archE1200ELNS1_3gpuE4ELNS1_3repE0EEENS1_30default_config_static_selectorELNS0_4arch9wavefront6targetE1EEEvT1_,"axG",@progbits,_ZN7rocprim17ROCPRIM_400000_NS6detail17trampoline_kernelINS0_14default_configENS1_20scan_config_selectorIyEEZZNS1_9scan_implILNS1_25lookback_scan_determinismE0ELb1ELb1ES3_N6thrust23THRUST_200600_302600_NS6detail15normal_iteratorINS9_10device_ptrIyEEEESE_yNS9_4plusIvEEyEEDaPvRmT3_T4_T5_mT6_P12ihipStream_tbENKUlT_T0_E_clISt17integral_constantIbLb0EEST_IbLb1EEEEDaSP_SQ_EUlSP_E_NS1_11comp_targetILNS1_3genE10ELNS1_11target_archE1200ELNS1_3gpuE4ELNS1_3repE0EEENS1_30default_config_static_selectorELNS0_4arch9wavefront6targetE1EEEvT1_,comdat
.Lfunc_end4562:
	.size	_ZN7rocprim17ROCPRIM_400000_NS6detail17trampoline_kernelINS0_14default_configENS1_20scan_config_selectorIyEEZZNS1_9scan_implILNS1_25lookback_scan_determinismE0ELb1ELb1ES3_N6thrust23THRUST_200600_302600_NS6detail15normal_iteratorINS9_10device_ptrIyEEEESE_yNS9_4plusIvEEyEEDaPvRmT3_T4_T5_mT6_P12ihipStream_tbENKUlT_T0_E_clISt17integral_constantIbLb0EEST_IbLb1EEEEDaSP_SQ_EUlSP_E_NS1_11comp_targetILNS1_3genE10ELNS1_11target_archE1200ELNS1_3gpuE4ELNS1_3repE0EEENS1_30default_config_static_selectorELNS0_4arch9wavefront6targetE1EEEvT1_, .Lfunc_end4562-_ZN7rocprim17ROCPRIM_400000_NS6detail17trampoline_kernelINS0_14default_configENS1_20scan_config_selectorIyEEZZNS1_9scan_implILNS1_25lookback_scan_determinismE0ELb1ELb1ES3_N6thrust23THRUST_200600_302600_NS6detail15normal_iteratorINS9_10device_ptrIyEEEESE_yNS9_4plusIvEEyEEDaPvRmT3_T4_T5_mT6_P12ihipStream_tbENKUlT_T0_E_clISt17integral_constantIbLb0EEST_IbLb1EEEEDaSP_SQ_EUlSP_E_NS1_11comp_targetILNS1_3genE10ELNS1_11target_archE1200ELNS1_3gpuE4ELNS1_3repE0EEENS1_30default_config_static_selectorELNS0_4arch9wavefront6targetE1EEEvT1_
                                        ; -- End function
	.section	.AMDGPU.csdata,"",@progbits
; Kernel info:
; codeLenInByte = 0
; NumSgprs: 4
; NumVgprs: 0
; NumAgprs: 0
; TotalNumVgprs: 0
; ScratchSize: 0
; MemoryBound: 0
; FloatMode: 240
; IeeeMode: 1
; LDSByteSize: 0 bytes/workgroup (compile time only)
; SGPRBlocks: 0
; VGPRBlocks: 0
; NumSGPRsForWavesPerEU: 4
; NumVGPRsForWavesPerEU: 1
; AccumOffset: 4
; Occupancy: 8
; WaveLimiterHint : 0
; COMPUTE_PGM_RSRC2:SCRATCH_EN: 0
; COMPUTE_PGM_RSRC2:USER_SGPR: 6
; COMPUTE_PGM_RSRC2:TRAP_HANDLER: 0
; COMPUTE_PGM_RSRC2:TGID_X_EN: 1
; COMPUTE_PGM_RSRC2:TGID_Y_EN: 0
; COMPUTE_PGM_RSRC2:TGID_Z_EN: 0
; COMPUTE_PGM_RSRC2:TIDIG_COMP_CNT: 0
; COMPUTE_PGM_RSRC3_GFX90A:ACCUM_OFFSET: 0
; COMPUTE_PGM_RSRC3_GFX90A:TG_SPLIT: 0
	.section	.text._ZN7rocprim17ROCPRIM_400000_NS6detail17trampoline_kernelINS0_14default_configENS1_20scan_config_selectorIyEEZZNS1_9scan_implILNS1_25lookback_scan_determinismE0ELb1ELb1ES3_N6thrust23THRUST_200600_302600_NS6detail15normal_iteratorINS9_10device_ptrIyEEEESE_yNS9_4plusIvEEyEEDaPvRmT3_T4_T5_mT6_P12ihipStream_tbENKUlT_T0_E_clISt17integral_constantIbLb0EEST_IbLb1EEEEDaSP_SQ_EUlSP_E_NS1_11comp_targetILNS1_3genE9ELNS1_11target_archE1100ELNS1_3gpuE3ELNS1_3repE0EEENS1_30default_config_static_selectorELNS0_4arch9wavefront6targetE1EEEvT1_,"axG",@progbits,_ZN7rocprim17ROCPRIM_400000_NS6detail17trampoline_kernelINS0_14default_configENS1_20scan_config_selectorIyEEZZNS1_9scan_implILNS1_25lookback_scan_determinismE0ELb1ELb1ES3_N6thrust23THRUST_200600_302600_NS6detail15normal_iteratorINS9_10device_ptrIyEEEESE_yNS9_4plusIvEEyEEDaPvRmT3_T4_T5_mT6_P12ihipStream_tbENKUlT_T0_E_clISt17integral_constantIbLb0EEST_IbLb1EEEEDaSP_SQ_EUlSP_E_NS1_11comp_targetILNS1_3genE9ELNS1_11target_archE1100ELNS1_3gpuE3ELNS1_3repE0EEENS1_30default_config_static_selectorELNS0_4arch9wavefront6targetE1EEEvT1_,comdat
	.protected	_ZN7rocprim17ROCPRIM_400000_NS6detail17trampoline_kernelINS0_14default_configENS1_20scan_config_selectorIyEEZZNS1_9scan_implILNS1_25lookback_scan_determinismE0ELb1ELb1ES3_N6thrust23THRUST_200600_302600_NS6detail15normal_iteratorINS9_10device_ptrIyEEEESE_yNS9_4plusIvEEyEEDaPvRmT3_T4_T5_mT6_P12ihipStream_tbENKUlT_T0_E_clISt17integral_constantIbLb0EEST_IbLb1EEEEDaSP_SQ_EUlSP_E_NS1_11comp_targetILNS1_3genE9ELNS1_11target_archE1100ELNS1_3gpuE3ELNS1_3repE0EEENS1_30default_config_static_selectorELNS0_4arch9wavefront6targetE1EEEvT1_ ; -- Begin function _ZN7rocprim17ROCPRIM_400000_NS6detail17trampoline_kernelINS0_14default_configENS1_20scan_config_selectorIyEEZZNS1_9scan_implILNS1_25lookback_scan_determinismE0ELb1ELb1ES3_N6thrust23THRUST_200600_302600_NS6detail15normal_iteratorINS9_10device_ptrIyEEEESE_yNS9_4plusIvEEyEEDaPvRmT3_T4_T5_mT6_P12ihipStream_tbENKUlT_T0_E_clISt17integral_constantIbLb0EEST_IbLb1EEEEDaSP_SQ_EUlSP_E_NS1_11comp_targetILNS1_3genE9ELNS1_11target_archE1100ELNS1_3gpuE3ELNS1_3repE0EEENS1_30default_config_static_selectorELNS0_4arch9wavefront6targetE1EEEvT1_
	.globl	_ZN7rocprim17ROCPRIM_400000_NS6detail17trampoline_kernelINS0_14default_configENS1_20scan_config_selectorIyEEZZNS1_9scan_implILNS1_25lookback_scan_determinismE0ELb1ELb1ES3_N6thrust23THRUST_200600_302600_NS6detail15normal_iteratorINS9_10device_ptrIyEEEESE_yNS9_4plusIvEEyEEDaPvRmT3_T4_T5_mT6_P12ihipStream_tbENKUlT_T0_E_clISt17integral_constantIbLb0EEST_IbLb1EEEEDaSP_SQ_EUlSP_E_NS1_11comp_targetILNS1_3genE9ELNS1_11target_archE1100ELNS1_3gpuE3ELNS1_3repE0EEENS1_30default_config_static_selectorELNS0_4arch9wavefront6targetE1EEEvT1_
	.p2align	8
	.type	_ZN7rocprim17ROCPRIM_400000_NS6detail17trampoline_kernelINS0_14default_configENS1_20scan_config_selectorIyEEZZNS1_9scan_implILNS1_25lookback_scan_determinismE0ELb1ELb1ES3_N6thrust23THRUST_200600_302600_NS6detail15normal_iteratorINS9_10device_ptrIyEEEESE_yNS9_4plusIvEEyEEDaPvRmT3_T4_T5_mT6_P12ihipStream_tbENKUlT_T0_E_clISt17integral_constantIbLb0EEST_IbLb1EEEEDaSP_SQ_EUlSP_E_NS1_11comp_targetILNS1_3genE9ELNS1_11target_archE1100ELNS1_3gpuE3ELNS1_3repE0EEENS1_30default_config_static_selectorELNS0_4arch9wavefront6targetE1EEEvT1_,@function
_ZN7rocprim17ROCPRIM_400000_NS6detail17trampoline_kernelINS0_14default_configENS1_20scan_config_selectorIyEEZZNS1_9scan_implILNS1_25lookback_scan_determinismE0ELb1ELb1ES3_N6thrust23THRUST_200600_302600_NS6detail15normal_iteratorINS9_10device_ptrIyEEEESE_yNS9_4plusIvEEyEEDaPvRmT3_T4_T5_mT6_P12ihipStream_tbENKUlT_T0_E_clISt17integral_constantIbLb0EEST_IbLb1EEEEDaSP_SQ_EUlSP_E_NS1_11comp_targetILNS1_3genE9ELNS1_11target_archE1100ELNS1_3gpuE3ELNS1_3repE0EEENS1_30default_config_static_selectorELNS0_4arch9wavefront6targetE1EEEvT1_: ; @_ZN7rocprim17ROCPRIM_400000_NS6detail17trampoline_kernelINS0_14default_configENS1_20scan_config_selectorIyEEZZNS1_9scan_implILNS1_25lookback_scan_determinismE0ELb1ELb1ES3_N6thrust23THRUST_200600_302600_NS6detail15normal_iteratorINS9_10device_ptrIyEEEESE_yNS9_4plusIvEEyEEDaPvRmT3_T4_T5_mT6_P12ihipStream_tbENKUlT_T0_E_clISt17integral_constantIbLb0EEST_IbLb1EEEEDaSP_SQ_EUlSP_E_NS1_11comp_targetILNS1_3genE9ELNS1_11target_archE1100ELNS1_3gpuE3ELNS1_3repE0EEENS1_30default_config_static_selectorELNS0_4arch9wavefront6targetE1EEEvT1_
; %bb.0:
	.section	.rodata,"a",@progbits
	.p2align	6, 0x0
	.amdhsa_kernel _ZN7rocprim17ROCPRIM_400000_NS6detail17trampoline_kernelINS0_14default_configENS1_20scan_config_selectorIyEEZZNS1_9scan_implILNS1_25lookback_scan_determinismE0ELb1ELb1ES3_N6thrust23THRUST_200600_302600_NS6detail15normal_iteratorINS9_10device_ptrIyEEEESE_yNS9_4plusIvEEyEEDaPvRmT3_T4_T5_mT6_P12ihipStream_tbENKUlT_T0_E_clISt17integral_constantIbLb0EEST_IbLb1EEEEDaSP_SQ_EUlSP_E_NS1_11comp_targetILNS1_3genE9ELNS1_11target_archE1100ELNS1_3gpuE3ELNS1_3repE0EEENS1_30default_config_static_selectorELNS0_4arch9wavefront6targetE1EEEvT1_
		.amdhsa_group_segment_fixed_size 0
		.amdhsa_private_segment_fixed_size 0
		.amdhsa_kernarg_size 104
		.amdhsa_user_sgpr_count 6
		.amdhsa_user_sgpr_private_segment_buffer 1
		.amdhsa_user_sgpr_dispatch_ptr 0
		.amdhsa_user_sgpr_queue_ptr 0
		.amdhsa_user_sgpr_kernarg_segment_ptr 1
		.amdhsa_user_sgpr_dispatch_id 0
		.amdhsa_user_sgpr_flat_scratch_init 0
		.amdhsa_user_sgpr_kernarg_preload_length 0
		.amdhsa_user_sgpr_kernarg_preload_offset 0
		.amdhsa_user_sgpr_private_segment_size 0
		.amdhsa_uses_dynamic_stack 0
		.amdhsa_system_sgpr_private_segment_wavefront_offset 0
		.amdhsa_system_sgpr_workgroup_id_x 1
		.amdhsa_system_sgpr_workgroup_id_y 0
		.amdhsa_system_sgpr_workgroup_id_z 0
		.amdhsa_system_sgpr_workgroup_info 0
		.amdhsa_system_vgpr_workitem_id 0
		.amdhsa_next_free_vgpr 1
		.amdhsa_next_free_sgpr 0
		.amdhsa_accum_offset 4
		.amdhsa_reserve_vcc 0
		.amdhsa_reserve_flat_scratch 0
		.amdhsa_float_round_mode_32 0
		.amdhsa_float_round_mode_16_64 0
		.amdhsa_float_denorm_mode_32 3
		.amdhsa_float_denorm_mode_16_64 3
		.amdhsa_dx10_clamp 1
		.amdhsa_ieee_mode 1
		.amdhsa_fp16_overflow 0
		.amdhsa_tg_split 0
		.amdhsa_exception_fp_ieee_invalid_op 0
		.amdhsa_exception_fp_denorm_src 0
		.amdhsa_exception_fp_ieee_div_zero 0
		.amdhsa_exception_fp_ieee_overflow 0
		.amdhsa_exception_fp_ieee_underflow 0
		.amdhsa_exception_fp_ieee_inexact 0
		.amdhsa_exception_int_div_zero 0
	.end_amdhsa_kernel
	.section	.text._ZN7rocprim17ROCPRIM_400000_NS6detail17trampoline_kernelINS0_14default_configENS1_20scan_config_selectorIyEEZZNS1_9scan_implILNS1_25lookback_scan_determinismE0ELb1ELb1ES3_N6thrust23THRUST_200600_302600_NS6detail15normal_iteratorINS9_10device_ptrIyEEEESE_yNS9_4plusIvEEyEEDaPvRmT3_T4_T5_mT6_P12ihipStream_tbENKUlT_T0_E_clISt17integral_constantIbLb0EEST_IbLb1EEEEDaSP_SQ_EUlSP_E_NS1_11comp_targetILNS1_3genE9ELNS1_11target_archE1100ELNS1_3gpuE3ELNS1_3repE0EEENS1_30default_config_static_selectorELNS0_4arch9wavefront6targetE1EEEvT1_,"axG",@progbits,_ZN7rocprim17ROCPRIM_400000_NS6detail17trampoline_kernelINS0_14default_configENS1_20scan_config_selectorIyEEZZNS1_9scan_implILNS1_25lookback_scan_determinismE0ELb1ELb1ES3_N6thrust23THRUST_200600_302600_NS6detail15normal_iteratorINS9_10device_ptrIyEEEESE_yNS9_4plusIvEEyEEDaPvRmT3_T4_T5_mT6_P12ihipStream_tbENKUlT_T0_E_clISt17integral_constantIbLb0EEST_IbLb1EEEEDaSP_SQ_EUlSP_E_NS1_11comp_targetILNS1_3genE9ELNS1_11target_archE1100ELNS1_3gpuE3ELNS1_3repE0EEENS1_30default_config_static_selectorELNS0_4arch9wavefront6targetE1EEEvT1_,comdat
.Lfunc_end4563:
	.size	_ZN7rocprim17ROCPRIM_400000_NS6detail17trampoline_kernelINS0_14default_configENS1_20scan_config_selectorIyEEZZNS1_9scan_implILNS1_25lookback_scan_determinismE0ELb1ELb1ES3_N6thrust23THRUST_200600_302600_NS6detail15normal_iteratorINS9_10device_ptrIyEEEESE_yNS9_4plusIvEEyEEDaPvRmT3_T4_T5_mT6_P12ihipStream_tbENKUlT_T0_E_clISt17integral_constantIbLb0EEST_IbLb1EEEEDaSP_SQ_EUlSP_E_NS1_11comp_targetILNS1_3genE9ELNS1_11target_archE1100ELNS1_3gpuE3ELNS1_3repE0EEENS1_30default_config_static_selectorELNS0_4arch9wavefront6targetE1EEEvT1_, .Lfunc_end4563-_ZN7rocprim17ROCPRIM_400000_NS6detail17trampoline_kernelINS0_14default_configENS1_20scan_config_selectorIyEEZZNS1_9scan_implILNS1_25lookback_scan_determinismE0ELb1ELb1ES3_N6thrust23THRUST_200600_302600_NS6detail15normal_iteratorINS9_10device_ptrIyEEEESE_yNS9_4plusIvEEyEEDaPvRmT3_T4_T5_mT6_P12ihipStream_tbENKUlT_T0_E_clISt17integral_constantIbLb0EEST_IbLb1EEEEDaSP_SQ_EUlSP_E_NS1_11comp_targetILNS1_3genE9ELNS1_11target_archE1100ELNS1_3gpuE3ELNS1_3repE0EEENS1_30default_config_static_selectorELNS0_4arch9wavefront6targetE1EEEvT1_
                                        ; -- End function
	.section	.AMDGPU.csdata,"",@progbits
; Kernel info:
; codeLenInByte = 0
; NumSgprs: 4
; NumVgprs: 0
; NumAgprs: 0
; TotalNumVgprs: 0
; ScratchSize: 0
; MemoryBound: 0
; FloatMode: 240
; IeeeMode: 1
; LDSByteSize: 0 bytes/workgroup (compile time only)
; SGPRBlocks: 0
; VGPRBlocks: 0
; NumSGPRsForWavesPerEU: 4
; NumVGPRsForWavesPerEU: 1
; AccumOffset: 4
; Occupancy: 8
; WaveLimiterHint : 0
; COMPUTE_PGM_RSRC2:SCRATCH_EN: 0
; COMPUTE_PGM_RSRC2:USER_SGPR: 6
; COMPUTE_PGM_RSRC2:TRAP_HANDLER: 0
; COMPUTE_PGM_RSRC2:TGID_X_EN: 1
; COMPUTE_PGM_RSRC2:TGID_Y_EN: 0
; COMPUTE_PGM_RSRC2:TGID_Z_EN: 0
; COMPUTE_PGM_RSRC2:TIDIG_COMP_CNT: 0
; COMPUTE_PGM_RSRC3_GFX90A:ACCUM_OFFSET: 0
; COMPUTE_PGM_RSRC3_GFX90A:TG_SPLIT: 0
	.section	.text._ZN7rocprim17ROCPRIM_400000_NS6detail17trampoline_kernelINS0_14default_configENS1_20scan_config_selectorIyEEZZNS1_9scan_implILNS1_25lookback_scan_determinismE0ELb1ELb1ES3_N6thrust23THRUST_200600_302600_NS6detail15normal_iteratorINS9_10device_ptrIyEEEESE_yNS9_4plusIvEEyEEDaPvRmT3_T4_T5_mT6_P12ihipStream_tbENKUlT_T0_E_clISt17integral_constantIbLb0EEST_IbLb1EEEEDaSP_SQ_EUlSP_E_NS1_11comp_targetILNS1_3genE8ELNS1_11target_archE1030ELNS1_3gpuE2ELNS1_3repE0EEENS1_30default_config_static_selectorELNS0_4arch9wavefront6targetE1EEEvT1_,"axG",@progbits,_ZN7rocprim17ROCPRIM_400000_NS6detail17trampoline_kernelINS0_14default_configENS1_20scan_config_selectorIyEEZZNS1_9scan_implILNS1_25lookback_scan_determinismE0ELb1ELb1ES3_N6thrust23THRUST_200600_302600_NS6detail15normal_iteratorINS9_10device_ptrIyEEEESE_yNS9_4plusIvEEyEEDaPvRmT3_T4_T5_mT6_P12ihipStream_tbENKUlT_T0_E_clISt17integral_constantIbLb0EEST_IbLb1EEEEDaSP_SQ_EUlSP_E_NS1_11comp_targetILNS1_3genE8ELNS1_11target_archE1030ELNS1_3gpuE2ELNS1_3repE0EEENS1_30default_config_static_selectorELNS0_4arch9wavefront6targetE1EEEvT1_,comdat
	.protected	_ZN7rocprim17ROCPRIM_400000_NS6detail17trampoline_kernelINS0_14default_configENS1_20scan_config_selectorIyEEZZNS1_9scan_implILNS1_25lookback_scan_determinismE0ELb1ELb1ES3_N6thrust23THRUST_200600_302600_NS6detail15normal_iteratorINS9_10device_ptrIyEEEESE_yNS9_4plusIvEEyEEDaPvRmT3_T4_T5_mT6_P12ihipStream_tbENKUlT_T0_E_clISt17integral_constantIbLb0EEST_IbLb1EEEEDaSP_SQ_EUlSP_E_NS1_11comp_targetILNS1_3genE8ELNS1_11target_archE1030ELNS1_3gpuE2ELNS1_3repE0EEENS1_30default_config_static_selectorELNS0_4arch9wavefront6targetE1EEEvT1_ ; -- Begin function _ZN7rocprim17ROCPRIM_400000_NS6detail17trampoline_kernelINS0_14default_configENS1_20scan_config_selectorIyEEZZNS1_9scan_implILNS1_25lookback_scan_determinismE0ELb1ELb1ES3_N6thrust23THRUST_200600_302600_NS6detail15normal_iteratorINS9_10device_ptrIyEEEESE_yNS9_4plusIvEEyEEDaPvRmT3_T4_T5_mT6_P12ihipStream_tbENKUlT_T0_E_clISt17integral_constantIbLb0EEST_IbLb1EEEEDaSP_SQ_EUlSP_E_NS1_11comp_targetILNS1_3genE8ELNS1_11target_archE1030ELNS1_3gpuE2ELNS1_3repE0EEENS1_30default_config_static_selectorELNS0_4arch9wavefront6targetE1EEEvT1_
	.globl	_ZN7rocprim17ROCPRIM_400000_NS6detail17trampoline_kernelINS0_14default_configENS1_20scan_config_selectorIyEEZZNS1_9scan_implILNS1_25lookback_scan_determinismE0ELb1ELb1ES3_N6thrust23THRUST_200600_302600_NS6detail15normal_iteratorINS9_10device_ptrIyEEEESE_yNS9_4plusIvEEyEEDaPvRmT3_T4_T5_mT6_P12ihipStream_tbENKUlT_T0_E_clISt17integral_constantIbLb0EEST_IbLb1EEEEDaSP_SQ_EUlSP_E_NS1_11comp_targetILNS1_3genE8ELNS1_11target_archE1030ELNS1_3gpuE2ELNS1_3repE0EEENS1_30default_config_static_selectorELNS0_4arch9wavefront6targetE1EEEvT1_
	.p2align	8
	.type	_ZN7rocprim17ROCPRIM_400000_NS6detail17trampoline_kernelINS0_14default_configENS1_20scan_config_selectorIyEEZZNS1_9scan_implILNS1_25lookback_scan_determinismE0ELb1ELb1ES3_N6thrust23THRUST_200600_302600_NS6detail15normal_iteratorINS9_10device_ptrIyEEEESE_yNS9_4plusIvEEyEEDaPvRmT3_T4_T5_mT6_P12ihipStream_tbENKUlT_T0_E_clISt17integral_constantIbLb0EEST_IbLb1EEEEDaSP_SQ_EUlSP_E_NS1_11comp_targetILNS1_3genE8ELNS1_11target_archE1030ELNS1_3gpuE2ELNS1_3repE0EEENS1_30default_config_static_selectorELNS0_4arch9wavefront6targetE1EEEvT1_,@function
_ZN7rocprim17ROCPRIM_400000_NS6detail17trampoline_kernelINS0_14default_configENS1_20scan_config_selectorIyEEZZNS1_9scan_implILNS1_25lookback_scan_determinismE0ELb1ELb1ES3_N6thrust23THRUST_200600_302600_NS6detail15normal_iteratorINS9_10device_ptrIyEEEESE_yNS9_4plusIvEEyEEDaPvRmT3_T4_T5_mT6_P12ihipStream_tbENKUlT_T0_E_clISt17integral_constantIbLb0EEST_IbLb1EEEEDaSP_SQ_EUlSP_E_NS1_11comp_targetILNS1_3genE8ELNS1_11target_archE1030ELNS1_3gpuE2ELNS1_3repE0EEENS1_30default_config_static_selectorELNS0_4arch9wavefront6targetE1EEEvT1_: ; @_ZN7rocprim17ROCPRIM_400000_NS6detail17trampoline_kernelINS0_14default_configENS1_20scan_config_selectorIyEEZZNS1_9scan_implILNS1_25lookback_scan_determinismE0ELb1ELb1ES3_N6thrust23THRUST_200600_302600_NS6detail15normal_iteratorINS9_10device_ptrIyEEEESE_yNS9_4plusIvEEyEEDaPvRmT3_T4_T5_mT6_P12ihipStream_tbENKUlT_T0_E_clISt17integral_constantIbLb0EEST_IbLb1EEEEDaSP_SQ_EUlSP_E_NS1_11comp_targetILNS1_3genE8ELNS1_11target_archE1030ELNS1_3gpuE2ELNS1_3repE0EEENS1_30default_config_static_selectorELNS0_4arch9wavefront6targetE1EEEvT1_
; %bb.0:
	.section	.rodata,"a",@progbits
	.p2align	6, 0x0
	.amdhsa_kernel _ZN7rocprim17ROCPRIM_400000_NS6detail17trampoline_kernelINS0_14default_configENS1_20scan_config_selectorIyEEZZNS1_9scan_implILNS1_25lookback_scan_determinismE0ELb1ELb1ES3_N6thrust23THRUST_200600_302600_NS6detail15normal_iteratorINS9_10device_ptrIyEEEESE_yNS9_4plusIvEEyEEDaPvRmT3_T4_T5_mT6_P12ihipStream_tbENKUlT_T0_E_clISt17integral_constantIbLb0EEST_IbLb1EEEEDaSP_SQ_EUlSP_E_NS1_11comp_targetILNS1_3genE8ELNS1_11target_archE1030ELNS1_3gpuE2ELNS1_3repE0EEENS1_30default_config_static_selectorELNS0_4arch9wavefront6targetE1EEEvT1_
		.amdhsa_group_segment_fixed_size 0
		.amdhsa_private_segment_fixed_size 0
		.amdhsa_kernarg_size 104
		.amdhsa_user_sgpr_count 6
		.amdhsa_user_sgpr_private_segment_buffer 1
		.amdhsa_user_sgpr_dispatch_ptr 0
		.amdhsa_user_sgpr_queue_ptr 0
		.amdhsa_user_sgpr_kernarg_segment_ptr 1
		.amdhsa_user_sgpr_dispatch_id 0
		.amdhsa_user_sgpr_flat_scratch_init 0
		.amdhsa_user_sgpr_kernarg_preload_length 0
		.amdhsa_user_sgpr_kernarg_preload_offset 0
		.amdhsa_user_sgpr_private_segment_size 0
		.amdhsa_uses_dynamic_stack 0
		.amdhsa_system_sgpr_private_segment_wavefront_offset 0
		.amdhsa_system_sgpr_workgroup_id_x 1
		.amdhsa_system_sgpr_workgroup_id_y 0
		.amdhsa_system_sgpr_workgroup_id_z 0
		.amdhsa_system_sgpr_workgroup_info 0
		.amdhsa_system_vgpr_workitem_id 0
		.amdhsa_next_free_vgpr 1
		.amdhsa_next_free_sgpr 0
		.amdhsa_accum_offset 4
		.amdhsa_reserve_vcc 0
		.amdhsa_reserve_flat_scratch 0
		.amdhsa_float_round_mode_32 0
		.amdhsa_float_round_mode_16_64 0
		.amdhsa_float_denorm_mode_32 3
		.amdhsa_float_denorm_mode_16_64 3
		.amdhsa_dx10_clamp 1
		.amdhsa_ieee_mode 1
		.amdhsa_fp16_overflow 0
		.amdhsa_tg_split 0
		.amdhsa_exception_fp_ieee_invalid_op 0
		.amdhsa_exception_fp_denorm_src 0
		.amdhsa_exception_fp_ieee_div_zero 0
		.amdhsa_exception_fp_ieee_overflow 0
		.amdhsa_exception_fp_ieee_underflow 0
		.amdhsa_exception_fp_ieee_inexact 0
		.amdhsa_exception_int_div_zero 0
	.end_amdhsa_kernel
	.section	.text._ZN7rocprim17ROCPRIM_400000_NS6detail17trampoline_kernelINS0_14default_configENS1_20scan_config_selectorIyEEZZNS1_9scan_implILNS1_25lookback_scan_determinismE0ELb1ELb1ES3_N6thrust23THRUST_200600_302600_NS6detail15normal_iteratorINS9_10device_ptrIyEEEESE_yNS9_4plusIvEEyEEDaPvRmT3_T4_T5_mT6_P12ihipStream_tbENKUlT_T0_E_clISt17integral_constantIbLb0EEST_IbLb1EEEEDaSP_SQ_EUlSP_E_NS1_11comp_targetILNS1_3genE8ELNS1_11target_archE1030ELNS1_3gpuE2ELNS1_3repE0EEENS1_30default_config_static_selectorELNS0_4arch9wavefront6targetE1EEEvT1_,"axG",@progbits,_ZN7rocprim17ROCPRIM_400000_NS6detail17trampoline_kernelINS0_14default_configENS1_20scan_config_selectorIyEEZZNS1_9scan_implILNS1_25lookback_scan_determinismE0ELb1ELb1ES3_N6thrust23THRUST_200600_302600_NS6detail15normal_iteratorINS9_10device_ptrIyEEEESE_yNS9_4plusIvEEyEEDaPvRmT3_T4_T5_mT6_P12ihipStream_tbENKUlT_T0_E_clISt17integral_constantIbLb0EEST_IbLb1EEEEDaSP_SQ_EUlSP_E_NS1_11comp_targetILNS1_3genE8ELNS1_11target_archE1030ELNS1_3gpuE2ELNS1_3repE0EEENS1_30default_config_static_selectorELNS0_4arch9wavefront6targetE1EEEvT1_,comdat
.Lfunc_end4564:
	.size	_ZN7rocprim17ROCPRIM_400000_NS6detail17trampoline_kernelINS0_14default_configENS1_20scan_config_selectorIyEEZZNS1_9scan_implILNS1_25lookback_scan_determinismE0ELb1ELb1ES3_N6thrust23THRUST_200600_302600_NS6detail15normal_iteratorINS9_10device_ptrIyEEEESE_yNS9_4plusIvEEyEEDaPvRmT3_T4_T5_mT6_P12ihipStream_tbENKUlT_T0_E_clISt17integral_constantIbLb0EEST_IbLb1EEEEDaSP_SQ_EUlSP_E_NS1_11comp_targetILNS1_3genE8ELNS1_11target_archE1030ELNS1_3gpuE2ELNS1_3repE0EEENS1_30default_config_static_selectorELNS0_4arch9wavefront6targetE1EEEvT1_, .Lfunc_end4564-_ZN7rocprim17ROCPRIM_400000_NS6detail17trampoline_kernelINS0_14default_configENS1_20scan_config_selectorIyEEZZNS1_9scan_implILNS1_25lookback_scan_determinismE0ELb1ELb1ES3_N6thrust23THRUST_200600_302600_NS6detail15normal_iteratorINS9_10device_ptrIyEEEESE_yNS9_4plusIvEEyEEDaPvRmT3_T4_T5_mT6_P12ihipStream_tbENKUlT_T0_E_clISt17integral_constantIbLb0EEST_IbLb1EEEEDaSP_SQ_EUlSP_E_NS1_11comp_targetILNS1_3genE8ELNS1_11target_archE1030ELNS1_3gpuE2ELNS1_3repE0EEENS1_30default_config_static_selectorELNS0_4arch9wavefront6targetE1EEEvT1_
                                        ; -- End function
	.section	.AMDGPU.csdata,"",@progbits
; Kernel info:
; codeLenInByte = 0
; NumSgprs: 4
; NumVgprs: 0
; NumAgprs: 0
; TotalNumVgprs: 0
; ScratchSize: 0
; MemoryBound: 0
; FloatMode: 240
; IeeeMode: 1
; LDSByteSize: 0 bytes/workgroup (compile time only)
; SGPRBlocks: 0
; VGPRBlocks: 0
; NumSGPRsForWavesPerEU: 4
; NumVGPRsForWavesPerEU: 1
; AccumOffset: 4
; Occupancy: 8
; WaveLimiterHint : 0
; COMPUTE_PGM_RSRC2:SCRATCH_EN: 0
; COMPUTE_PGM_RSRC2:USER_SGPR: 6
; COMPUTE_PGM_RSRC2:TRAP_HANDLER: 0
; COMPUTE_PGM_RSRC2:TGID_X_EN: 1
; COMPUTE_PGM_RSRC2:TGID_Y_EN: 0
; COMPUTE_PGM_RSRC2:TGID_Z_EN: 0
; COMPUTE_PGM_RSRC2:TIDIG_COMP_CNT: 0
; COMPUTE_PGM_RSRC3_GFX90A:ACCUM_OFFSET: 0
; COMPUTE_PGM_RSRC3_GFX90A:TG_SPLIT: 0
	.section	.text._ZN7rocprim17ROCPRIM_400000_NS6detail17trampoline_kernelINS0_14default_configENS1_20scan_config_selectorIyEEZZNS1_9scan_implILNS1_25lookback_scan_determinismE0ELb1ELb1ES3_N6thrust23THRUST_200600_302600_NS6detail15normal_iteratorINS9_10device_ptrIyEEEESE_yNS9_4plusIvEEyEEDaPvRmT3_T4_T5_mT6_P12ihipStream_tbENKUlT_T0_E_clISt17integral_constantIbLb0EEST_IbLb1EEEEDaSP_SQ_EUlSP_E0_NS1_11comp_targetILNS1_3genE0ELNS1_11target_archE4294967295ELNS1_3gpuE0ELNS1_3repE0EEENS1_30default_config_static_selectorELNS0_4arch9wavefront6targetE1EEEvT1_,"axG",@progbits,_ZN7rocprim17ROCPRIM_400000_NS6detail17trampoline_kernelINS0_14default_configENS1_20scan_config_selectorIyEEZZNS1_9scan_implILNS1_25lookback_scan_determinismE0ELb1ELb1ES3_N6thrust23THRUST_200600_302600_NS6detail15normal_iteratorINS9_10device_ptrIyEEEESE_yNS9_4plusIvEEyEEDaPvRmT3_T4_T5_mT6_P12ihipStream_tbENKUlT_T0_E_clISt17integral_constantIbLb0EEST_IbLb1EEEEDaSP_SQ_EUlSP_E0_NS1_11comp_targetILNS1_3genE0ELNS1_11target_archE4294967295ELNS1_3gpuE0ELNS1_3repE0EEENS1_30default_config_static_selectorELNS0_4arch9wavefront6targetE1EEEvT1_,comdat
	.protected	_ZN7rocprim17ROCPRIM_400000_NS6detail17trampoline_kernelINS0_14default_configENS1_20scan_config_selectorIyEEZZNS1_9scan_implILNS1_25lookback_scan_determinismE0ELb1ELb1ES3_N6thrust23THRUST_200600_302600_NS6detail15normal_iteratorINS9_10device_ptrIyEEEESE_yNS9_4plusIvEEyEEDaPvRmT3_T4_T5_mT6_P12ihipStream_tbENKUlT_T0_E_clISt17integral_constantIbLb0EEST_IbLb1EEEEDaSP_SQ_EUlSP_E0_NS1_11comp_targetILNS1_3genE0ELNS1_11target_archE4294967295ELNS1_3gpuE0ELNS1_3repE0EEENS1_30default_config_static_selectorELNS0_4arch9wavefront6targetE1EEEvT1_ ; -- Begin function _ZN7rocprim17ROCPRIM_400000_NS6detail17trampoline_kernelINS0_14default_configENS1_20scan_config_selectorIyEEZZNS1_9scan_implILNS1_25lookback_scan_determinismE0ELb1ELb1ES3_N6thrust23THRUST_200600_302600_NS6detail15normal_iteratorINS9_10device_ptrIyEEEESE_yNS9_4plusIvEEyEEDaPvRmT3_T4_T5_mT6_P12ihipStream_tbENKUlT_T0_E_clISt17integral_constantIbLb0EEST_IbLb1EEEEDaSP_SQ_EUlSP_E0_NS1_11comp_targetILNS1_3genE0ELNS1_11target_archE4294967295ELNS1_3gpuE0ELNS1_3repE0EEENS1_30default_config_static_selectorELNS0_4arch9wavefront6targetE1EEEvT1_
	.globl	_ZN7rocprim17ROCPRIM_400000_NS6detail17trampoline_kernelINS0_14default_configENS1_20scan_config_selectorIyEEZZNS1_9scan_implILNS1_25lookback_scan_determinismE0ELb1ELb1ES3_N6thrust23THRUST_200600_302600_NS6detail15normal_iteratorINS9_10device_ptrIyEEEESE_yNS9_4plusIvEEyEEDaPvRmT3_T4_T5_mT6_P12ihipStream_tbENKUlT_T0_E_clISt17integral_constantIbLb0EEST_IbLb1EEEEDaSP_SQ_EUlSP_E0_NS1_11comp_targetILNS1_3genE0ELNS1_11target_archE4294967295ELNS1_3gpuE0ELNS1_3repE0EEENS1_30default_config_static_selectorELNS0_4arch9wavefront6targetE1EEEvT1_
	.p2align	8
	.type	_ZN7rocprim17ROCPRIM_400000_NS6detail17trampoline_kernelINS0_14default_configENS1_20scan_config_selectorIyEEZZNS1_9scan_implILNS1_25lookback_scan_determinismE0ELb1ELb1ES3_N6thrust23THRUST_200600_302600_NS6detail15normal_iteratorINS9_10device_ptrIyEEEESE_yNS9_4plusIvEEyEEDaPvRmT3_T4_T5_mT6_P12ihipStream_tbENKUlT_T0_E_clISt17integral_constantIbLb0EEST_IbLb1EEEEDaSP_SQ_EUlSP_E0_NS1_11comp_targetILNS1_3genE0ELNS1_11target_archE4294967295ELNS1_3gpuE0ELNS1_3repE0EEENS1_30default_config_static_selectorELNS0_4arch9wavefront6targetE1EEEvT1_,@function
_ZN7rocprim17ROCPRIM_400000_NS6detail17trampoline_kernelINS0_14default_configENS1_20scan_config_selectorIyEEZZNS1_9scan_implILNS1_25lookback_scan_determinismE0ELb1ELb1ES3_N6thrust23THRUST_200600_302600_NS6detail15normal_iteratorINS9_10device_ptrIyEEEESE_yNS9_4plusIvEEyEEDaPvRmT3_T4_T5_mT6_P12ihipStream_tbENKUlT_T0_E_clISt17integral_constantIbLb0EEST_IbLb1EEEEDaSP_SQ_EUlSP_E0_NS1_11comp_targetILNS1_3genE0ELNS1_11target_archE4294967295ELNS1_3gpuE0ELNS1_3repE0EEENS1_30default_config_static_selectorELNS0_4arch9wavefront6targetE1EEEvT1_: ; @_ZN7rocprim17ROCPRIM_400000_NS6detail17trampoline_kernelINS0_14default_configENS1_20scan_config_selectorIyEEZZNS1_9scan_implILNS1_25lookback_scan_determinismE0ELb1ELb1ES3_N6thrust23THRUST_200600_302600_NS6detail15normal_iteratorINS9_10device_ptrIyEEEESE_yNS9_4plusIvEEyEEDaPvRmT3_T4_T5_mT6_P12ihipStream_tbENKUlT_T0_E_clISt17integral_constantIbLb0EEST_IbLb1EEEEDaSP_SQ_EUlSP_E0_NS1_11comp_targetILNS1_3genE0ELNS1_11target_archE4294967295ELNS1_3gpuE0ELNS1_3repE0EEENS1_30default_config_static_selectorELNS0_4arch9wavefront6targetE1EEEvT1_
; %bb.0:
	.section	.rodata,"a",@progbits
	.p2align	6, 0x0
	.amdhsa_kernel _ZN7rocprim17ROCPRIM_400000_NS6detail17trampoline_kernelINS0_14default_configENS1_20scan_config_selectorIyEEZZNS1_9scan_implILNS1_25lookback_scan_determinismE0ELb1ELb1ES3_N6thrust23THRUST_200600_302600_NS6detail15normal_iteratorINS9_10device_ptrIyEEEESE_yNS9_4plusIvEEyEEDaPvRmT3_T4_T5_mT6_P12ihipStream_tbENKUlT_T0_E_clISt17integral_constantIbLb0EEST_IbLb1EEEEDaSP_SQ_EUlSP_E0_NS1_11comp_targetILNS1_3genE0ELNS1_11target_archE4294967295ELNS1_3gpuE0ELNS1_3repE0EEENS1_30default_config_static_selectorELNS0_4arch9wavefront6targetE1EEEvT1_
		.amdhsa_group_segment_fixed_size 0
		.amdhsa_private_segment_fixed_size 0
		.amdhsa_kernarg_size 40
		.amdhsa_user_sgpr_count 6
		.amdhsa_user_sgpr_private_segment_buffer 1
		.amdhsa_user_sgpr_dispatch_ptr 0
		.amdhsa_user_sgpr_queue_ptr 0
		.amdhsa_user_sgpr_kernarg_segment_ptr 1
		.amdhsa_user_sgpr_dispatch_id 0
		.amdhsa_user_sgpr_flat_scratch_init 0
		.amdhsa_user_sgpr_kernarg_preload_length 0
		.amdhsa_user_sgpr_kernarg_preload_offset 0
		.amdhsa_user_sgpr_private_segment_size 0
		.amdhsa_uses_dynamic_stack 0
		.amdhsa_system_sgpr_private_segment_wavefront_offset 0
		.amdhsa_system_sgpr_workgroup_id_x 1
		.amdhsa_system_sgpr_workgroup_id_y 0
		.amdhsa_system_sgpr_workgroup_id_z 0
		.amdhsa_system_sgpr_workgroup_info 0
		.amdhsa_system_vgpr_workitem_id 0
		.amdhsa_next_free_vgpr 1
		.amdhsa_next_free_sgpr 0
		.amdhsa_accum_offset 4
		.amdhsa_reserve_vcc 0
		.amdhsa_reserve_flat_scratch 0
		.amdhsa_float_round_mode_32 0
		.amdhsa_float_round_mode_16_64 0
		.amdhsa_float_denorm_mode_32 3
		.amdhsa_float_denorm_mode_16_64 3
		.amdhsa_dx10_clamp 1
		.amdhsa_ieee_mode 1
		.amdhsa_fp16_overflow 0
		.amdhsa_tg_split 0
		.amdhsa_exception_fp_ieee_invalid_op 0
		.amdhsa_exception_fp_denorm_src 0
		.amdhsa_exception_fp_ieee_div_zero 0
		.amdhsa_exception_fp_ieee_overflow 0
		.amdhsa_exception_fp_ieee_underflow 0
		.amdhsa_exception_fp_ieee_inexact 0
		.amdhsa_exception_int_div_zero 0
	.end_amdhsa_kernel
	.section	.text._ZN7rocprim17ROCPRIM_400000_NS6detail17trampoline_kernelINS0_14default_configENS1_20scan_config_selectorIyEEZZNS1_9scan_implILNS1_25lookback_scan_determinismE0ELb1ELb1ES3_N6thrust23THRUST_200600_302600_NS6detail15normal_iteratorINS9_10device_ptrIyEEEESE_yNS9_4plusIvEEyEEDaPvRmT3_T4_T5_mT6_P12ihipStream_tbENKUlT_T0_E_clISt17integral_constantIbLb0EEST_IbLb1EEEEDaSP_SQ_EUlSP_E0_NS1_11comp_targetILNS1_3genE0ELNS1_11target_archE4294967295ELNS1_3gpuE0ELNS1_3repE0EEENS1_30default_config_static_selectorELNS0_4arch9wavefront6targetE1EEEvT1_,"axG",@progbits,_ZN7rocprim17ROCPRIM_400000_NS6detail17trampoline_kernelINS0_14default_configENS1_20scan_config_selectorIyEEZZNS1_9scan_implILNS1_25lookback_scan_determinismE0ELb1ELb1ES3_N6thrust23THRUST_200600_302600_NS6detail15normal_iteratorINS9_10device_ptrIyEEEESE_yNS9_4plusIvEEyEEDaPvRmT3_T4_T5_mT6_P12ihipStream_tbENKUlT_T0_E_clISt17integral_constantIbLb0EEST_IbLb1EEEEDaSP_SQ_EUlSP_E0_NS1_11comp_targetILNS1_3genE0ELNS1_11target_archE4294967295ELNS1_3gpuE0ELNS1_3repE0EEENS1_30default_config_static_selectorELNS0_4arch9wavefront6targetE1EEEvT1_,comdat
.Lfunc_end4565:
	.size	_ZN7rocprim17ROCPRIM_400000_NS6detail17trampoline_kernelINS0_14default_configENS1_20scan_config_selectorIyEEZZNS1_9scan_implILNS1_25lookback_scan_determinismE0ELb1ELb1ES3_N6thrust23THRUST_200600_302600_NS6detail15normal_iteratorINS9_10device_ptrIyEEEESE_yNS9_4plusIvEEyEEDaPvRmT3_T4_T5_mT6_P12ihipStream_tbENKUlT_T0_E_clISt17integral_constantIbLb0EEST_IbLb1EEEEDaSP_SQ_EUlSP_E0_NS1_11comp_targetILNS1_3genE0ELNS1_11target_archE4294967295ELNS1_3gpuE0ELNS1_3repE0EEENS1_30default_config_static_selectorELNS0_4arch9wavefront6targetE1EEEvT1_, .Lfunc_end4565-_ZN7rocprim17ROCPRIM_400000_NS6detail17trampoline_kernelINS0_14default_configENS1_20scan_config_selectorIyEEZZNS1_9scan_implILNS1_25lookback_scan_determinismE0ELb1ELb1ES3_N6thrust23THRUST_200600_302600_NS6detail15normal_iteratorINS9_10device_ptrIyEEEESE_yNS9_4plusIvEEyEEDaPvRmT3_T4_T5_mT6_P12ihipStream_tbENKUlT_T0_E_clISt17integral_constantIbLb0EEST_IbLb1EEEEDaSP_SQ_EUlSP_E0_NS1_11comp_targetILNS1_3genE0ELNS1_11target_archE4294967295ELNS1_3gpuE0ELNS1_3repE0EEENS1_30default_config_static_selectorELNS0_4arch9wavefront6targetE1EEEvT1_
                                        ; -- End function
	.section	.AMDGPU.csdata,"",@progbits
; Kernel info:
; codeLenInByte = 0
; NumSgprs: 4
; NumVgprs: 0
; NumAgprs: 0
; TotalNumVgprs: 0
; ScratchSize: 0
; MemoryBound: 0
; FloatMode: 240
; IeeeMode: 1
; LDSByteSize: 0 bytes/workgroup (compile time only)
; SGPRBlocks: 0
; VGPRBlocks: 0
; NumSGPRsForWavesPerEU: 4
; NumVGPRsForWavesPerEU: 1
; AccumOffset: 4
; Occupancy: 8
; WaveLimiterHint : 0
; COMPUTE_PGM_RSRC2:SCRATCH_EN: 0
; COMPUTE_PGM_RSRC2:USER_SGPR: 6
; COMPUTE_PGM_RSRC2:TRAP_HANDLER: 0
; COMPUTE_PGM_RSRC2:TGID_X_EN: 1
; COMPUTE_PGM_RSRC2:TGID_Y_EN: 0
; COMPUTE_PGM_RSRC2:TGID_Z_EN: 0
; COMPUTE_PGM_RSRC2:TIDIG_COMP_CNT: 0
; COMPUTE_PGM_RSRC3_GFX90A:ACCUM_OFFSET: 0
; COMPUTE_PGM_RSRC3_GFX90A:TG_SPLIT: 0
	.section	.text._ZN7rocprim17ROCPRIM_400000_NS6detail17trampoline_kernelINS0_14default_configENS1_20scan_config_selectorIyEEZZNS1_9scan_implILNS1_25lookback_scan_determinismE0ELb1ELb1ES3_N6thrust23THRUST_200600_302600_NS6detail15normal_iteratorINS9_10device_ptrIyEEEESE_yNS9_4plusIvEEyEEDaPvRmT3_T4_T5_mT6_P12ihipStream_tbENKUlT_T0_E_clISt17integral_constantIbLb0EEST_IbLb1EEEEDaSP_SQ_EUlSP_E0_NS1_11comp_targetILNS1_3genE5ELNS1_11target_archE942ELNS1_3gpuE9ELNS1_3repE0EEENS1_30default_config_static_selectorELNS0_4arch9wavefront6targetE1EEEvT1_,"axG",@progbits,_ZN7rocprim17ROCPRIM_400000_NS6detail17trampoline_kernelINS0_14default_configENS1_20scan_config_selectorIyEEZZNS1_9scan_implILNS1_25lookback_scan_determinismE0ELb1ELb1ES3_N6thrust23THRUST_200600_302600_NS6detail15normal_iteratorINS9_10device_ptrIyEEEESE_yNS9_4plusIvEEyEEDaPvRmT3_T4_T5_mT6_P12ihipStream_tbENKUlT_T0_E_clISt17integral_constantIbLb0EEST_IbLb1EEEEDaSP_SQ_EUlSP_E0_NS1_11comp_targetILNS1_3genE5ELNS1_11target_archE942ELNS1_3gpuE9ELNS1_3repE0EEENS1_30default_config_static_selectorELNS0_4arch9wavefront6targetE1EEEvT1_,comdat
	.protected	_ZN7rocprim17ROCPRIM_400000_NS6detail17trampoline_kernelINS0_14default_configENS1_20scan_config_selectorIyEEZZNS1_9scan_implILNS1_25lookback_scan_determinismE0ELb1ELb1ES3_N6thrust23THRUST_200600_302600_NS6detail15normal_iteratorINS9_10device_ptrIyEEEESE_yNS9_4plusIvEEyEEDaPvRmT3_T4_T5_mT6_P12ihipStream_tbENKUlT_T0_E_clISt17integral_constantIbLb0EEST_IbLb1EEEEDaSP_SQ_EUlSP_E0_NS1_11comp_targetILNS1_3genE5ELNS1_11target_archE942ELNS1_3gpuE9ELNS1_3repE0EEENS1_30default_config_static_selectorELNS0_4arch9wavefront6targetE1EEEvT1_ ; -- Begin function _ZN7rocprim17ROCPRIM_400000_NS6detail17trampoline_kernelINS0_14default_configENS1_20scan_config_selectorIyEEZZNS1_9scan_implILNS1_25lookback_scan_determinismE0ELb1ELb1ES3_N6thrust23THRUST_200600_302600_NS6detail15normal_iteratorINS9_10device_ptrIyEEEESE_yNS9_4plusIvEEyEEDaPvRmT3_T4_T5_mT6_P12ihipStream_tbENKUlT_T0_E_clISt17integral_constantIbLb0EEST_IbLb1EEEEDaSP_SQ_EUlSP_E0_NS1_11comp_targetILNS1_3genE5ELNS1_11target_archE942ELNS1_3gpuE9ELNS1_3repE0EEENS1_30default_config_static_selectorELNS0_4arch9wavefront6targetE1EEEvT1_
	.globl	_ZN7rocprim17ROCPRIM_400000_NS6detail17trampoline_kernelINS0_14default_configENS1_20scan_config_selectorIyEEZZNS1_9scan_implILNS1_25lookback_scan_determinismE0ELb1ELb1ES3_N6thrust23THRUST_200600_302600_NS6detail15normal_iteratorINS9_10device_ptrIyEEEESE_yNS9_4plusIvEEyEEDaPvRmT3_T4_T5_mT6_P12ihipStream_tbENKUlT_T0_E_clISt17integral_constantIbLb0EEST_IbLb1EEEEDaSP_SQ_EUlSP_E0_NS1_11comp_targetILNS1_3genE5ELNS1_11target_archE942ELNS1_3gpuE9ELNS1_3repE0EEENS1_30default_config_static_selectorELNS0_4arch9wavefront6targetE1EEEvT1_
	.p2align	8
	.type	_ZN7rocprim17ROCPRIM_400000_NS6detail17trampoline_kernelINS0_14default_configENS1_20scan_config_selectorIyEEZZNS1_9scan_implILNS1_25lookback_scan_determinismE0ELb1ELb1ES3_N6thrust23THRUST_200600_302600_NS6detail15normal_iteratorINS9_10device_ptrIyEEEESE_yNS9_4plusIvEEyEEDaPvRmT3_T4_T5_mT6_P12ihipStream_tbENKUlT_T0_E_clISt17integral_constantIbLb0EEST_IbLb1EEEEDaSP_SQ_EUlSP_E0_NS1_11comp_targetILNS1_3genE5ELNS1_11target_archE942ELNS1_3gpuE9ELNS1_3repE0EEENS1_30default_config_static_selectorELNS0_4arch9wavefront6targetE1EEEvT1_,@function
_ZN7rocprim17ROCPRIM_400000_NS6detail17trampoline_kernelINS0_14default_configENS1_20scan_config_selectorIyEEZZNS1_9scan_implILNS1_25lookback_scan_determinismE0ELb1ELb1ES3_N6thrust23THRUST_200600_302600_NS6detail15normal_iteratorINS9_10device_ptrIyEEEESE_yNS9_4plusIvEEyEEDaPvRmT3_T4_T5_mT6_P12ihipStream_tbENKUlT_T0_E_clISt17integral_constantIbLb0EEST_IbLb1EEEEDaSP_SQ_EUlSP_E0_NS1_11comp_targetILNS1_3genE5ELNS1_11target_archE942ELNS1_3gpuE9ELNS1_3repE0EEENS1_30default_config_static_selectorELNS0_4arch9wavefront6targetE1EEEvT1_: ; @_ZN7rocprim17ROCPRIM_400000_NS6detail17trampoline_kernelINS0_14default_configENS1_20scan_config_selectorIyEEZZNS1_9scan_implILNS1_25lookback_scan_determinismE0ELb1ELb1ES3_N6thrust23THRUST_200600_302600_NS6detail15normal_iteratorINS9_10device_ptrIyEEEESE_yNS9_4plusIvEEyEEDaPvRmT3_T4_T5_mT6_P12ihipStream_tbENKUlT_T0_E_clISt17integral_constantIbLb0EEST_IbLb1EEEEDaSP_SQ_EUlSP_E0_NS1_11comp_targetILNS1_3genE5ELNS1_11target_archE942ELNS1_3gpuE9ELNS1_3repE0EEENS1_30default_config_static_selectorELNS0_4arch9wavefront6targetE1EEEvT1_
; %bb.0:
	.section	.rodata,"a",@progbits
	.p2align	6, 0x0
	.amdhsa_kernel _ZN7rocprim17ROCPRIM_400000_NS6detail17trampoline_kernelINS0_14default_configENS1_20scan_config_selectorIyEEZZNS1_9scan_implILNS1_25lookback_scan_determinismE0ELb1ELb1ES3_N6thrust23THRUST_200600_302600_NS6detail15normal_iteratorINS9_10device_ptrIyEEEESE_yNS9_4plusIvEEyEEDaPvRmT3_T4_T5_mT6_P12ihipStream_tbENKUlT_T0_E_clISt17integral_constantIbLb0EEST_IbLb1EEEEDaSP_SQ_EUlSP_E0_NS1_11comp_targetILNS1_3genE5ELNS1_11target_archE942ELNS1_3gpuE9ELNS1_3repE0EEENS1_30default_config_static_selectorELNS0_4arch9wavefront6targetE1EEEvT1_
		.amdhsa_group_segment_fixed_size 0
		.amdhsa_private_segment_fixed_size 0
		.amdhsa_kernarg_size 40
		.amdhsa_user_sgpr_count 6
		.amdhsa_user_sgpr_private_segment_buffer 1
		.amdhsa_user_sgpr_dispatch_ptr 0
		.amdhsa_user_sgpr_queue_ptr 0
		.amdhsa_user_sgpr_kernarg_segment_ptr 1
		.amdhsa_user_sgpr_dispatch_id 0
		.amdhsa_user_sgpr_flat_scratch_init 0
		.amdhsa_user_sgpr_kernarg_preload_length 0
		.amdhsa_user_sgpr_kernarg_preload_offset 0
		.amdhsa_user_sgpr_private_segment_size 0
		.amdhsa_uses_dynamic_stack 0
		.amdhsa_system_sgpr_private_segment_wavefront_offset 0
		.amdhsa_system_sgpr_workgroup_id_x 1
		.amdhsa_system_sgpr_workgroup_id_y 0
		.amdhsa_system_sgpr_workgroup_id_z 0
		.amdhsa_system_sgpr_workgroup_info 0
		.amdhsa_system_vgpr_workitem_id 0
		.amdhsa_next_free_vgpr 1
		.amdhsa_next_free_sgpr 0
		.amdhsa_accum_offset 4
		.amdhsa_reserve_vcc 0
		.amdhsa_reserve_flat_scratch 0
		.amdhsa_float_round_mode_32 0
		.amdhsa_float_round_mode_16_64 0
		.amdhsa_float_denorm_mode_32 3
		.amdhsa_float_denorm_mode_16_64 3
		.amdhsa_dx10_clamp 1
		.amdhsa_ieee_mode 1
		.amdhsa_fp16_overflow 0
		.amdhsa_tg_split 0
		.amdhsa_exception_fp_ieee_invalid_op 0
		.amdhsa_exception_fp_denorm_src 0
		.amdhsa_exception_fp_ieee_div_zero 0
		.amdhsa_exception_fp_ieee_overflow 0
		.amdhsa_exception_fp_ieee_underflow 0
		.amdhsa_exception_fp_ieee_inexact 0
		.amdhsa_exception_int_div_zero 0
	.end_amdhsa_kernel
	.section	.text._ZN7rocprim17ROCPRIM_400000_NS6detail17trampoline_kernelINS0_14default_configENS1_20scan_config_selectorIyEEZZNS1_9scan_implILNS1_25lookback_scan_determinismE0ELb1ELb1ES3_N6thrust23THRUST_200600_302600_NS6detail15normal_iteratorINS9_10device_ptrIyEEEESE_yNS9_4plusIvEEyEEDaPvRmT3_T4_T5_mT6_P12ihipStream_tbENKUlT_T0_E_clISt17integral_constantIbLb0EEST_IbLb1EEEEDaSP_SQ_EUlSP_E0_NS1_11comp_targetILNS1_3genE5ELNS1_11target_archE942ELNS1_3gpuE9ELNS1_3repE0EEENS1_30default_config_static_selectorELNS0_4arch9wavefront6targetE1EEEvT1_,"axG",@progbits,_ZN7rocprim17ROCPRIM_400000_NS6detail17trampoline_kernelINS0_14default_configENS1_20scan_config_selectorIyEEZZNS1_9scan_implILNS1_25lookback_scan_determinismE0ELb1ELb1ES3_N6thrust23THRUST_200600_302600_NS6detail15normal_iteratorINS9_10device_ptrIyEEEESE_yNS9_4plusIvEEyEEDaPvRmT3_T4_T5_mT6_P12ihipStream_tbENKUlT_T0_E_clISt17integral_constantIbLb0EEST_IbLb1EEEEDaSP_SQ_EUlSP_E0_NS1_11comp_targetILNS1_3genE5ELNS1_11target_archE942ELNS1_3gpuE9ELNS1_3repE0EEENS1_30default_config_static_selectorELNS0_4arch9wavefront6targetE1EEEvT1_,comdat
.Lfunc_end4566:
	.size	_ZN7rocprim17ROCPRIM_400000_NS6detail17trampoline_kernelINS0_14default_configENS1_20scan_config_selectorIyEEZZNS1_9scan_implILNS1_25lookback_scan_determinismE0ELb1ELb1ES3_N6thrust23THRUST_200600_302600_NS6detail15normal_iteratorINS9_10device_ptrIyEEEESE_yNS9_4plusIvEEyEEDaPvRmT3_T4_T5_mT6_P12ihipStream_tbENKUlT_T0_E_clISt17integral_constantIbLb0EEST_IbLb1EEEEDaSP_SQ_EUlSP_E0_NS1_11comp_targetILNS1_3genE5ELNS1_11target_archE942ELNS1_3gpuE9ELNS1_3repE0EEENS1_30default_config_static_selectorELNS0_4arch9wavefront6targetE1EEEvT1_, .Lfunc_end4566-_ZN7rocprim17ROCPRIM_400000_NS6detail17trampoline_kernelINS0_14default_configENS1_20scan_config_selectorIyEEZZNS1_9scan_implILNS1_25lookback_scan_determinismE0ELb1ELb1ES3_N6thrust23THRUST_200600_302600_NS6detail15normal_iteratorINS9_10device_ptrIyEEEESE_yNS9_4plusIvEEyEEDaPvRmT3_T4_T5_mT6_P12ihipStream_tbENKUlT_T0_E_clISt17integral_constantIbLb0EEST_IbLb1EEEEDaSP_SQ_EUlSP_E0_NS1_11comp_targetILNS1_3genE5ELNS1_11target_archE942ELNS1_3gpuE9ELNS1_3repE0EEENS1_30default_config_static_selectorELNS0_4arch9wavefront6targetE1EEEvT1_
                                        ; -- End function
	.section	.AMDGPU.csdata,"",@progbits
; Kernel info:
; codeLenInByte = 0
; NumSgprs: 4
; NumVgprs: 0
; NumAgprs: 0
; TotalNumVgprs: 0
; ScratchSize: 0
; MemoryBound: 0
; FloatMode: 240
; IeeeMode: 1
; LDSByteSize: 0 bytes/workgroup (compile time only)
; SGPRBlocks: 0
; VGPRBlocks: 0
; NumSGPRsForWavesPerEU: 4
; NumVGPRsForWavesPerEU: 1
; AccumOffset: 4
; Occupancy: 8
; WaveLimiterHint : 0
; COMPUTE_PGM_RSRC2:SCRATCH_EN: 0
; COMPUTE_PGM_RSRC2:USER_SGPR: 6
; COMPUTE_PGM_RSRC2:TRAP_HANDLER: 0
; COMPUTE_PGM_RSRC2:TGID_X_EN: 1
; COMPUTE_PGM_RSRC2:TGID_Y_EN: 0
; COMPUTE_PGM_RSRC2:TGID_Z_EN: 0
; COMPUTE_PGM_RSRC2:TIDIG_COMP_CNT: 0
; COMPUTE_PGM_RSRC3_GFX90A:ACCUM_OFFSET: 0
; COMPUTE_PGM_RSRC3_GFX90A:TG_SPLIT: 0
	.section	.text._ZN7rocprim17ROCPRIM_400000_NS6detail17trampoline_kernelINS0_14default_configENS1_20scan_config_selectorIyEEZZNS1_9scan_implILNS1_25lookback_scan_determinismE0ELb1ELb1ES3_N6thrust23THRUST_200600_302600_NS6detail15normal_iteratorINS9_10device_ptrIyEEEESE_yNS9_4plusIvEEyEEDaPvRmT3_T4_T5_mT6_P12ihipStream_tbENKUlT_T0_E_clISt17integral_constantIbLb0EEST_IbLb1EEEEDaSP_SQ_EUlSP_E0_NS1_11comp_targetILNS1_3genE4ELNS1_11target_archE910ELNS1_3gpuE8ELNS1_3repE0EEENS1_30default_config_static_selectorELNS0_4arch9wavefront6targetE1EEEvT1_,"axG",@progbits,_ZN7rocprim17ROCPRIM_400000_NS6detail17trampoline_kernelINS0_14default_configENS1_20scan_config_selectorIyEEZZNS1_9scan_implILNS1_25lookback_scan_determinismE0ELb1ELb1ES3_N6thrust23THRUST_200600_302600_NS6detail15normal_iteratorINS9_10device_ptrIyEEEESE_yNS9_4plusIvEEyEEDaPvRmT3_T4_T5_mT6_P12ihipStream_tbENKUlT_T0_E_clISt17integral_constantIbLb0EEST_IbLb1EEEEDaSP_SQ_EUlSP_E0_NS1_11comp_targetILNS1_3genE4ELNS1_11target_archE910ELNS1_3gpuE8ELNS1_3repE0EEENS1_30default_config_static_selectorELNS0_4arch9wavefront6targetE1EEEvT1_,comdat
	.protected	_ZN7rocprim17ROCPRIM_400000_NS6detail17trampoline_kernelINS0_14default_configENS1_20scan_config_selectorIyEEZZNS1_9scan_implILNS1_25lookback_scan_determinismE0ELb1ELb1ES3_N6thrust23THRUST_200600_302600_NS6detail15normal_iteratorINS9_10device_ptrIyEEEESE_yNS9_4plusIvEEyEEDaPvRmT3_T4_T5_mT6_P12ihipStream_tbENKUlT_T0_E_clISt17integral_constantIbLb0EEST_IbLb1EEEEDaSP_SQ_EUlSP_E0_NS1_11comp_targetILNS1_3genE4ELNS1_11target_archE910ELNS1_3gpuE8ELNS1_3repE0EEENS1_30default_config_static_selectorELNS0_4arch9wavefront6targetE1EEEvT1_ ; -- Begin function _ZN7rocprim17ROCPRIM_400000_NS6detail17trampoline_kernelINS0_14default_configENS1_20scan_config_selectorIyEEZZNS1_9scan_implILNS1_25lookback_scan_determinismE0ELb1ELb1ES3_N6thrust23THRUST_200600_302600_NS6detail15normal_iteratorINS9_10device_ptrIyEEEESE_yNS9_4plusIvEEyEEDaPvRmT3_T4_T5_mT6_P12ihipStream_tbENKUlT_T0_E_clISt17integral_constantIbLb0EEST_IbLb1EEEEDaSP_SQ_EUlSP_E0_NS1_11comp_targetILNS1_3genE4ELNS1_11target_archE910ELNS1_3gpuE8ELNS1_3repE0EEENS1_30default_config_static_selectorELNS0_4arch9wavefront6targetE1EEEvT1_
	.globl	_ZN7rocprim17ROCPRIM_400000_NS6detail17trampoline_kernelINS0_14default_configENS1_20scan_config_selectorIyEEZZNS1_9scan_implILNS1_25lookback_scan_determinismE0ELb1ELb1ES3_N6thrust23THRUST_200600_302600_NS6detail15normal_iteratorINS9_10device_ptrIyEEEESE_yNS9_4plusIvEEyEEDaPvRmT3_T4_T5_mT6_P12ihipStream_tbENKUlT_T0_E_clISt17integral_constantIbLb0EEST_IbLb1EEEEDaSP_SQ_EUlSP_E0_NS1_11comp_targetILNS1_3genE4ELNS1_11target_archE910ELNS1_3gpuE8ELNS1_3repE0EEENS1_30default_config_static_selectorELNS0_4arch9wavefront6targetE1EEEvT1_
	.p2align	8
	.type	_ZN7rocprim17ROCPRIM_400000_NS6detail17trampoline_kernelINS0_14default_configENS1_20scan_config_selectorIyEEZZNS1_9scan_implILNS1_25lookback_scan_determinismE0ELb1ELb1ES3_N6thrust23THRUST_200600_302600_NS6detail15normal_iteratorINS9_10device_ptrIyEEEESE_yNS9_4plusIvEEyEEDaPvRmT3_T4_T5_mT6_P12ihipStream_tbENKUlT_T0_E_clISt17integral_constantIbLb0EEST_IbLb1EEEEDaSP_SQ_EUlSP_E0_NS1_11comp_targetILNS1_3genE4ELNS1_11target_archE910ELNS1_3gpuE8ELNS1_3repE0EEENS1_30default_config_static_selectorELNS0_4arch9wavefront6targetE1EEEvT1_,@function
_ZN7rocprim17ROCPRIM_400000_NS6detail17trampoline_kernelINS0_14default_configENS1_20scan_config_selectorIyEEZZNS1_9scan_implILNS1_25lookback_scan_determinismE0ELb1ELb1ES3_N6thrust23THRUST_200600_302600_NS6detail15normal_iteratorINS9_10device_ptrIyEEEESE_yNS9_4plusIvEEyEEDaPvRmT3_T4_T5_mT6_P12ihipStream_tbENKUlT_T0_E_clISt17integral_constantIbLb0EEST_IbLb1EEEEDaSP_SQ_EUlSP_E0_NS1_11comp_targetILNS1_3genE4ELNS1_11target_archE910ELNS1_3gpuE8ELNS1_3repE0EEENS1_30default_config_static_selectorELNS0_4arch9wavefront6targetE1EEEvT1_: ; @_ZN7rocprim17ROCPRIM_400000_NS6detail17trampoline_kernelINS0_14default_configENS1_20scan_config_selectorIyEEZZNS1_9scan_implILNS1_25lookback_scan_determinismE0ELb1ELb1ES3_N6thrust23THRUST_200600_302600_NS6detail15normal_iteratorINS9_10device_ptrIyEEEESE_yNS9_4plusIvEEyEEDaPvRmT3_T4_T5_mT6_P12ihipStream_tbENKUlT_T0_E_clISt17integral_constantIbLb0EEST_IbLb1EEEEDaSP_SQ_EUlSP_E0_NS1_11comp_targetILNS1_3genE4ELNS1_11target_archE910ELNS1_3gpuE8ELNS1_3repE0EEENS1_30default_config_static_selectorELNS0_4arch9wavefront6targetE1EEEvT1_
; %bb.0:
	s_load_dwordx4 s[16:19], s[4:5], 0x0
	v_lshlrev_b32_e32 v20, 3, v0
	s_waitcnt lgkmcnt(0)
	s_load_dwordx2 s[14:15], s[16:17], 0x0
	v_cmp_gt_u32_e32 vcc, s18, v0
	s_waitcnt lgkmcnt(0)
	v_pk_mov_b32 v[2:3], s[14:15], s[14:15] op_sel:[0,1]
	s_and_saveexec_b64 s[0:1], vcc
	s_cbranch_execz .LBB4567_2
; %bb.1:
	global_load_dwordx2 v[2:3], v20, s[16:17]
.LBB4567_2:
	s_or_b64 exec, exec, s[0:1]
	v_or_b32_e32 v1, 0x80, v0
	v_cmp_gt_u32_e64 s[0:1], s18, v1
	v_pk_mov_b32 v[4:5], s[14:15], s[14:15] op_sel:[0,1]
	s_and_saveexec_b64 s[2:3], s[0:1]
	s_cbranch_execz .LBB4567_4
; %bb.3:
	global_load_dwordx2 v[4:5], v20, s[16:17] offset:1024
.LBB4567_4:
	s_or_b64 exec, exec, s[2:3]
	v_or_b32_e32 v1, 0x100, v0
	v_cmp_gt_u32_e64 s[2:3], s18, v1
	v_pk_mov_b32 v[6:7], s[14:15], s[14:15] op_sel:[0,1]
	s_and_saveexec_b64 s[6:7], s[2:3]
	s_cbranch_execz .LBB4567_6
; %bb.5:
	global_load_dwordx2 v[6:7], v20, s[16:17] offset:2048
.LBB4567_6:
	;; [unrolled: 9-line block ×3, first 2 shown]
	s_or_b64 exec, exec, s[6:7]
	v_or_b32_e32 v1, 0x200, v0
	v_cmp_gt_u32_e64 s[6:7], s18, v1
	v_pk_mov_b32 v[10:11], s[14:15], s[14:15] op_sel:[0,1]
	s_and_saveexec_b64 s[8:9], s[6:7]
	s_cbranch_execz .LBB4567_10
; %bb.9:
	v_lshlrev_b32_e32 v1, 3, v1
	global_load_dwordx2 v[10:11], v1, s[16:17]
.LBB4567_10:
	s_or_b64 exec, exec, s[8:9]
	v_or_b32_e32 v1, 0x280, v0
	v_cmp_gt_u32_e64 s[8:9], s18, v1
	v_pk_mov_b32 v[12:13], s[14:15], s[14:15] op_sel:[0,1]
	s_and_saveexec_b64 s[10:11], s[8:9]
	s_cbranch_execz .LBB4567_12
; %bb.11:
	v_lshlrev_b32_e32 v1, 3, v1
	global_load_dwordx2 v[12:13], v1, s[16:17]
.LBB4567_12:
	s_or_b64 exec, exec, s[10:11]
	s_load_dwordx2 s[20:21], s[4:5], 0x10
	v_or_b32_e32 v1, 0x300, v0
	v_cmp_gt_u32_e64 s[10:11], s18, v1
	v_pk_mov_b32 v[14:15], s[14:15], s[14:15] op_sel:[0,1]
	s_and_saveexec_b64 s[14:15], s[10:11]
	s_cbranch_execz .LBB4567_14
; %bb.13:
	v_lshlrev_b32_e32 v1, 3, v1
	global_load_dwordx2 v[14:15], v1, s[16:17]
.LBB4567_14:
	s_or_b64 exec, exec, s[14:15]
	v_mad_u32_u24 v1, v0, 48, v20
	s_waitcnt vmcnt(0)
	ds_write2st64_b64 v20, v[2:3], v[4:5] offset1:2
	ds_write2st64_b64 v20, v[6:7], v[8:9] offset0:4 offset1:6
	ds_write2st64_b64 v20, v[10:11], v[12:13] offset0:8 offset1:10
	ds_write_b64 v20, v[14:15] offset:6144
	s_waitcnt lgkmcnt(0)
	s_barrier
	ds_read2_b64 v[2:5], v1 offset1:1
	ds_read2_b64 v[6:9], v1 offset0:2 offset1:3
	ds_read2_b64 v[10:13], v1 offset0:4 offset1:5
	ds_read_b64 v[14:15], v1 offset:48
	s_load_dwordx2 s[16:17], s[4:5], 0x20
	s_waitcnt lgkmcnt(0)
	v_add_co_u32_e64 v1, s[4:5], v4, v2
	v_addc_co_u32_e64 v16, s[4:5], v5, v3, s[4:5]
	v_add_co_u32_e64 v1, s[4:5], v1, v6
	v_addc_co_u32_e64 v16, s[4:5], v16, v7, s[4:5]
	;; [unrolled: 2-line block ×5, first 2 shown]
	v_add_co_u32_e64 v18, s[4:5], v1, v14
	v_lshrrev_b32_e32 v1, 2, v0
	v_addc_co_u32_e64 v19, s[4:5], v16, v15, s[4:5]
	v_and_b32_e32 v1, 24, v1
	v_add_u32_e32 v1, v20, v1
	v_cmp_gt_u32_e64 s[4:5], 64, v0
	s_barrier
	ds_write_b64 v1, v[18:19]
	s_waitcnt lgkmcnt(0)
	s_barrier
	s_and_saveexec_b64 s[18:19], s[4:5]
	s_cbranch_execz .LBB4567_18
; %bb.15:
	v_lshlrev_b32_e32 v1, 1, v0
	v_lshrrev_b32_e32 v14, 4, v0
	v_add_lshl_u32 v21, v14, v1, 3
	ds_read2_b64 v[14:17], v21 offset1:1
	v_mbcnt_lo_u32_b32 v1, -1, 0
	s_waitcnt lgkmcnt(0)
	v_add_co_u32_e64 v22, s[4:5], v16, v14
	v_addc_co_u32_e64 v23, s[4:5], v17, v15, s[4:5]
	s_nop 0
	v_mov_b32_dpp v16, v22 row_shr:1 row_mask:0xf bank_mask:0xf
	v_add_co_u32_e64 v16, s[4:5], v22, v16
	v_addc_co_u32_e64 v25, s[4:5], 0, v23, s[4:5]
	v_mbcnt_hi_u32_b32 v17, -1, v1
	v_mov_b32_dpp v24, v23 row_shr:1 row_mask:0xf bank_mask:0xf
	v_add_co_u32_e64 v26, s[4:5], 0, v16
	v_and_b32_e32 v1, 15, v17
	v_addc_co_u32_e64 v24, s[4:5], v24, v25, s[4:5]
	v_cmp_eq_u32_e64 s[4:5], 0, v1
	v_cndmask_b32_e64 v16, v16, v22, s[4:5]
	v_cndmask_b32_e64 v24, v24, v23, s[4:5]
	v_cndmask_b32_e64 v25, v26, v22, s[4:5]
	v_mov_b32_dpp v26, v16 row_shr:2 row_mask:0xf bank_mask:0xf
	v_mov_b32_dpp v27, v24 row_shr:2 row_mask:0xf bank_mask:0xf
	v_add_co_u32_e64 v26, s[4:5], v26, v25
	v_addc_co_u32_e64 v27, s[4:5], v27, v24, s[4:5]
	v_cmp_lt_u32_e64 s[4:5], 1, v1
	v_cndmask_b32_e64 v16, v16, v26, s[4:5]
	v_cndmask_b32_e64 v24, v24, v27, s[4:5]
	v_cndmask_b32_e64 v25, v25, v26, s[4:5]
	v_mov_b32_dpp v26, v16 row_shr:4 row_mask:0xf bank_mask:0xf
	v_mov_b32_dpp v27, v24 row_shr:4 row_mask:0xf bank_mask:0xf
	v_add_co_u32_e64 v26, s[4:5], v26, v25
	v_addc_co_u32_e64 v27, s[4:5], v27, v24, s[4:5]
	v_cmp_lt_u32_e64 s[4:5], 3, v1
	;; [unrolled: 8-line block ×3, first 2 shown]
	v_cndmask_b32_e64 v28, v16, v26, s[4:5]
	v_cndmask_b32_e64 v1, v24, v27, s[4:5]
	;; [unrolled: 1-line block ×3, first 2 shown]
	v_mov_b32_dpp v24, v28 row_bcast:15 row_mask:0xf bank_mask:0xf
	v_mov_b32_dpp v25, v1 row_bcast:15 row_mask:0xf bank_mask:0xf
	v_add_co_u32_e64 v24, s[4:5], v24, v16
	v_and_b32_e32 v27, 16, v17
	v_addc_co_u32_e64 v26, s[4:5], v25, v1, s[4:5]
	v_cmp_eq_u32_e64 s[4:5], 0, v27
	v_cndmask_b32_e64 v27, v26, v1, s[4:5]
	v_cndmask_b32_e64 v25, v24, v28, s[4:5]
	v_cmp_ne_u32_e64 s[14:15], 0, v17
	v_mov_b32_dpp v27, v27 row_bcast:31 row_mask:0xf bank_mask:0xf
	v_mov_b32_dpp v25, v25 row_bcast:31 row_mask:0xf bank_mask:0xf
	s_and_saveexec_b64 s[22:23], s[14:15]
; %bb.16:
	v_cndmask_b32_e64 v1, v26, v1, s[4:5]
	v_cndmask_b32_e64 v16, v24, v16, s[4:5]
	v_cmp_lt_u32_e64 s[4:5], 31, v17
	v_cndmask_b32_e64 v22, 0, v25, s[4:5]
	v_cndmask_b32_e64 v23, 0, v27, s[4:5]
	v_add_co_u32_e64 v22, s[4:5], v22, v16
	v_addc_co_u32_e64 v23, s[4:5], v23, v1, s[4:5]
; %bb.17:
	s_or_b64 exec, exec, s[22:23]
	v_add_u32_e32 v1, -1, v17
	v_and_b32_e32 v16, 64, v17
	v_cmp_lt_i32_e64 s[4:5], v1, v16
	v_cndmask_b32_e64 v1, v1, v17, s[4:5]
	v_lshlrev_b32_e32 v1, 2, v1
	ds_bpermute_b32 v16, v1, v22
	ds_bpermute_b32 v1, v1, v23
	; wave barrier
	s_waitcnt lgkmcnt(1)
	v_add_co_u32_e64 v14, s[4:5], v14, v16
	v_addc_co_u32_e64 v15, s[4:5], 0, v15, s[4:5]
	v_add_co_u32_e64 v14, s[4:5], 0, v14
	s_waitcnt lgkmcnt(0)
	v_addc_co_u32_e64 v1, s[4:5], v15, v1, s[4:5]
	v_cmp_eq_u32_e64 s[4:5], 0, v0
	v_cndmask_b32_e64 v15, v1, v19, s[4:5]
	v_cndmask_b32_e64 v14, v14, v18, s[4:5]
	ds_write_b64 v21, v[14:15]
	; wave barrier
	ds_read_b64 v[16:17], v21 offset:8
	s_waitcnt lgkmcnt(0)
	v_add_co_u32_e64 v14, s[4:5], v16, v14
	v_addc_co_u32_e64 v15, s[4:5], v17, v15, s[4:5]
	ds_write_b64 v21, v[14:15] offset:8
.LBB4567_18:
	s_or_b64 exec, exec, s[18:19]
	v_mul_u32_u24_e32 v1, 48, v0
	v_cmp_ne_u32_e64 s[4:5], 0, v0
	v_pk_mov_b32 v[14:15], s[20:21], s[20:21] op_sel:[0,1]
	s_waitcnt lgkmcnt(0)
	s_barrier
	s_and_saveexec_b64 s[14:15], s[4:5]
	s_cbranch_execz .LBB4567_20
; %bb.19:
	v_add_u32_e32 v0, -1, v0
	v_lshrrev_b32_e32 v14, 5, v0
	v_add_lshl_u32 v0, v14, v0, 3
	ds_read_b64 v[14:15], v0
	v_mov_b32_e32 v0, s21
	s_waitcnt lgkmcnt(0)
	v_add_co_u32_e64 v14, s[4:5], s20, v14
	v_addc_co_u32_e64 v15, s[4:5], v15, v0, s[4:5]
.LBB4567_20:
	s_or_b64 exec, exec, s[14:15]
	v_add_co_u32_e64 v2, s[4:5], v14, v2
	v_addc_co_u32_e64 v3, s[4:5], v15, v3, s[4:5]
	v_add_co_u32_e64 v4, s[4:5], v2, v4
	v_addc_co_u32_e64 v5, s[4:5], v3, v5, s[4:5]
	;; [unrolled: 2-line block ×5, first 2 shown]
	v_add_co_u32_e64 v12, s[4:5], v10, v12
	v_add_u32_e32 v0, v20, v1
	v_addc_co_u32_e64 v13, s[4:5], v11, v13, s[4:5]
	s_barrier
	ds_write2_b64 v0, v[14:15], v[2:3] offset1:1
	ds_write2_b64 v0, v[4:5], v[6:7] offset0:2 offset1:3
	ds_write2_b64 v0, v[8:9], v[10:11] offset0:4 offset1:5
	ds_write_b64 v0, v[12:13] offset:48
	s_waitcnt lgkmcnt(0)
	s_barrier
	ds_read2st64_b64 v[8:11], v20 offset0:2 offset1:4
	ds_read2st64_b64 v[4:7], v20 offset0:6 offset1:8
	;; [unrolled: 1-line block ×3, first 2 shown]
	v_mov_b32_e32 v13, s17
	v_add_co_u32_e64 v12, s[4:5], s16, v20
	v_addc_co_u32_e64 v13, s[4:5], 0, v13, s[4:5]
	s_and_saveexec_b64 s[4:5], vcc
	s_cbranch_execnz .LBB4567_28
; %bb.21:
	s_or_b64 exec, exec, s[4:5]
	s_and_saveexec_b64 s[4:5], s[0:1]
	s_cbranch_execnz .LBB4567_29
.LBB4567_22:
	s_or_b64 exec, exec, s[4:5]
	s_and_saveexec_b64 s[0:1], s[2:3]
	s_cbranch_execnz .LBB4567_30
.LBB4567_23:
	s_or_b64 exec, exec, s[0:1]
	s_and_saveexec_b64 s[0:1], s[12:13]
	s_cbranch_execnz .LBB4567_31
.LBB4567_24:
	s_or_b64 exec, exec, s[0:1]
	s_and_saveexec_b64 s[0:1], s[6:7]
	s_cbranch_execnz .LBB4567_32
.LBB4567_25:
	s_or_b64 exec, exec, s[0:1]
	s_and_saveexec_b64 s[0:1], s[8:9]
	s_cbranch_execnz .LBB4567_33
.LBB4567_26:
	s_or_b64 exec, exec, s[0:1]
	s_and_saveexec_b64 s[0:1], s[10:11]
	s_cbranch_execnz .LBB4567_34
.LBB4567_27:
	s_endpgm
.LBB4567_28:
	ds_read_b64 v[14:15], v20
	s_waitcnt lgkmcnt(0)
	global_store_dwordx2 v[12:13], v[14:15], off
	s_or_b64 exec, exec, s[4:5]
	s_and_saveexec_b64 s[4:5], s[0:1]
	s_cbranch_execz .LBB4567_22
.LBB4567_29:
	s_waitcnt lgkmcnt(2)
	global_store_dwordx2 v[12:13], v[8:9], off offset:1024
	s_or_b64 exec, exec, s[4:5]
	s_and_saveexec_b64 s[0:1], s[2:3]
	s_cbranch_execz .LBB4567_23
.LBB4567_30:
	s_waitcnt lgkmcnt(2)
	global_store_dwordx2 v[12:13], v[10:11], off offset:2048
	s_or_b64 exec, exec, s[0:1]
	s_and_saveexec_b64 s[0:1], s[12:13]
	s_cbranch_execz .LBB4567_24
.LBB4567_31:
	s_waitcnt lgkmcnt(1)
	global_store_dwordx2 v[12:13], v[4:5], off offset:3072
	s_or_b64 exec, exec, s[0:1]
	s_and_saveexec_b64 s[0:1], s[6:7]
	s_cbranch_execz .LBB4567_25
.LBB4567_32:
	s_waitcnt lgkmcnt(1)
	v_add_co_u32_e32 v4, vcc, 0x1000, v12
	v_addc_co_u32_e32 v5, vcc, 0, v13, vcc
	global_store_dwordx2 v[4:5], v[6:7], off
	s_or_b64 exec, exec, s[0:1]
	s_and_saveexec_b64 s[0:1], s[8:9]
	s_cbranch_execz .LBB4567_26
.LBB4567_33:
	s_waitcnt lgkmcnt(1)
	v_add_co_u32_e32 v4, vcc, 0x1000, v12
	v_addc_co_u32_e32 v5, vcc, 0, v13, vcc
	s_waitcnt lgkmcnt(0)
	global_store_dwordx2 v[4:5], v[0:1], off offset:1024
	s_or_b64 exec, exec, s[0:1]
	s_and_saveexec_b64 s[0:1], s[10:11]
	s_cbranch_execz .LBB4567_27
.LBB4567_34:
	s_waitcnt lgkmcnt(0)
	v_add_co_u32_e32 v0, vcc, 0x1000, v12
	v_addc_co_u32_e32 v1, vcc, 0, v13, vcc
	global_store_dwordx2 v[0:1], v[2:3], off offset:2048
	s_endpgm
	.section	.rodata,"a",@progbits
	.p2align	6, 0x0
	.amdhsa_kernel _ZN7rocprim17ROCPRIM_400000_NS6detail17trampoline_kernelINS0_14default_configENS1_20scan_config_selectorIyEEZZNS1_9scan_implILNS1_25lookback_scan_determinismE0ELb1ELb1ES3_N6thrust23THRUST_200600_302600_NS6detail15normal_iteratorINS9_10device_ptrIyEEEESE_yNS9_4plusIvEEyEEDaPvRmT3_T4_T5_mT6_P12ihipStream_tbENKUlT_T0_E_clISt17integral_constantIbLb0EEST_IbLb1EEEEDaSP_SQ_EUlSP_E0_NS1_11comp_targetILNS1_3genE4ELNS1_11target_archE910ELNS1_3gpuE8ELNS1_3repE0EEENS1_30default_config_static_selectorELNS0_4arch9wavefront6targetE1EEEvT1_
		.amdhsa_group_segment_fixed_size 7168
		.amdhsa_private_segment_fixed_size 0
		.amdhsa_kernarg_size 40
		.amdhsa_user_sgpr_count 6
		.amdhsa_user_sgpr_private_segment_buffer 1
		.amdhsa_user_sgpr_dispatch_ptr 0
		.amdhsa_user_sgpr_queue_ptr 0
		.amdhsa_user_sgpr_kernarg_segment_ptr 1
		.amdhsa_user_sgpr_dispatch_id 0
		.amdhsa_user_sgpr_flat_scratch_init 0
		.amdhsa_user_sgpr_kernarg_preload_length 0
		.amdhsa_user_sgpr_kernarg_preload_offset 0
		.amdhsa_user_sgpr_private_segment_size 0
		.amdhsa_uses_dynamic_stack 0
		.amdhsa_system_sgpr_private_segment_wavefront_offset 0
		.amdhsa_system_sgpr_workgroup_id_x 1
		.amdhsa_system_sgpr_workgroup_id_y 0
		.amdhsa_system_sgpr_workgroup_id_z 0
		.amdhsa_system_sgpr_workgroup_info 0
		.amdhsa_system_vgpr_workitem_id 0
		.amdhsa_next_free_vgpr 29
		.amdhsa_next_free_sgpr 24
		.amdhsa_accum_offset 32
		.amdhsa_reserve_vcc 1
		.amdhsa_reserve_flat_scratch 0
		.amdhsa_float_round_mode_32 0
		.amdhsa_float_round_mode_16_64 0
		.amdhsa_float_denorm_mode_32 3
		.amdhsa_float_denorm_mode_16_64 3
		.amdhsa_dx10_clamp 1
		.amdhsa_ieee_mode 1
		.amdhsa_fp16_overflow 0
		.amdhsa_tg_split 0
		.amdhsa_exception_fp_ieee_invalid_op 0
		.amdhsa_exception_fp_denorm_src 0
		.amdhsa_exception_fp_ieee_div_zero 0
		.amdhsa_exception_fp_ieee_overflow 0
		.amdhsa_exception_fp_ieee_underflow 0
		.amdhsa_exception_fp_ieee_inexact 0
		.amdhsa_exception_int_div_zero 0
	.end_amdhsa_kernel
	.section	.text._ZN7rocprim17ROCPRIM_400000_NS6detail17trampoline_kernelINS0_14default_configENS1_20scan_config_selectorIyEEZZNS1_9scan_implILNS1_25lookback_scan_determinismE0ELb1ELb1ES3_N6thrust23THRUST_200600_302600_NS6detail15normal_iteratorINS9_10device_ptrIyEEEESE_yNS9_4plusIvEEyEEDaPvRmT3_T4_T5_mT6_P12ihipStream_tbENKUlT_T0_E_clISt17integral_constantIbLb0EEST_IbLb1EEEEDaSP_SQ_EUlSP_E0_NS1_11comp_targetILNS1_3genE4ELNS1_11target_archE910ELNS1_3gpuE8ELNS1_3repE0EEENS1_30default_config_static_selectorELNS0_4arch9wavefront6targetE1EEEvT1_,"axG",@progbits,_ZN7rocprim17ROCPRIM_400000_NS6detail17trampoline_kernelINS0_14default_configENS1_20scan_config_selectorIyEEZZNS1_9scan_implILNS1_25lookback_scan_determinismE0ELb1ELb1ES3_N6thrust23THRUST_200600_302600_NS6detail15normal_iteratorINS9_10device_ptrIyEEEESE_yNS9_4plusIvEEyEEDaPvRmT3_T4_T5_mT6_P12ihipStream_tbENKUlT_T0_E_clISt17integral_constantIbLb0EEST_IbLb1EEEEDaSP_SQ_EUlSP_E0_NS1_11comp_targetILNS1_3genE4ELNS1_11target_archE910ELNS1_3gpuE8ELNS1_3repE0EEENS1_30default_config_static_selectorELNS0_4arch9wavefront6targetE1EEEvT1_,comdat
.Lfunc_end4567:
	.size	_ZN7rocprim17ROCPRIM_400000_NS6detail17trampoline_kernelINS0_14default_configENS1_20scan_config_selectorIyEEZZNS1_9scan_implILNS1_25lookback_scan_determinismE0ELb1ELb1ES3_N6thrust23THRUST_200600_302600_NS6detail15normal_iteratorINS9_10device_ptrIyEEEESE_yNS9_4plusIvEEyEEDaPvRmT3_T4_T5_mT6_P12ihipStream_tbENKUlT_T0_E_clISt17integral_constantIbLb0EEST_IbLb1EEEEDaSP_SQ_EUlSP_E0_NS1_11comp_targetILNS1_3genE4ELNS1_11target_archE910ELNS1_3gpuE8ELNS1_3repE0EEENS1_30default_config_static_selectorELNS0_4arch9wavefront6targetE1EEEvT1_, .Lfunc_end4567-_ZN7rocprim17ROCPRIM_400000_NS6detail17trampoline_kernelINS0_14default_configENS1_20scan_config_selectorIyEEZZNS1_9scan_implILNS1_25lookback_scan_determinismE0ELb1ELb1ES3_N6thrust23THRUST_200600_302600_NS6detail15normal_iteratorINS9_10device_ptrIyEEEESE_yNS9_4plusIvEEyEEDaPvRmT3_T4_T5_mT6_P12ihipStream_tbENKUlT_T0_E_clISt17integral_constantIbLb0EEST_IbLb1EEEEDaSP_SQ_EUlSP_E0_NS1_11comp_targetILNS1_3genE4ELNS1_11target_archE910ELNS1_3gpuE8ELNS1_3repE0EEENS1_30default_config_static_selectorELNS0_4arch9wavefront6targetE1EEEvT1_
                                        ; -- End function
	.section	.AMDGPU.csdata,"",@progbits
; Kernel info:
; codeLenInByte = 1796
; NumSgprs: 28
; NumVgprs: 29
; NumAgprs: 0
; TotalNumVgprs: 29
; ScratchSize: 0
; MemoryBound: 0
; FloatMode: 240
; IeeeMode: 1
; LDSByteSize: 7168 bytes/workgroup (compile time only)
; SGPRBlocks: 3
; VGPRBlocks: 3
; NumSGPRsForWavesPerEU: 28
; NumVGPRsForWavesPerEU: 29
; AccumOffset: 32
; Occupancy: 5
; WaveLimiterHint : 0
; COMPUTE_PGM_RSRC2:SCRATCH_EN: 0
; COMPUTE_PGM_RSRC2:USER_SGPR: 6
; COMPUTE_PGM_RSRC2:TRAP_HANDLER: 0
; COMPUTE_PGM_RSRC2:TGID_X_EN: 1
; COMPUTE_PGM_RSRC2:TGID_Y_EN: 0
; COMPUTE_PGM_RSRC2:TGID_Z_EN: 0
; COMPUTE_PGM_RSRC2:TIDIG_COMP_CNT: 0
; COMPUTE_PGM_RSRC3_GFX90A:ACCUM_OFFSET: 7
; COMPUTE_PGM_RSRC3_GFX90A:TG_SPLIT: 0
	.section	.text._ZN7rocprim17ROCPRIM_400000_NS6detail17trampoline_kernelINS0_14default_configENS1_20scan_config_selectorIyEEZZNS1_9scan_implILNS1_25lookback_scan_determinismE0ELb1ELb1ES3_N6thrust23THRUST_200600_302600_NS6detail15normal_iteratorINS9_10device_ptrIyEEEESE_yNS9_4plusIvEEyEEDaPvRmT3_T4_T5_mT6_P12ihipStream_tbENKUlT_T0_E_clISt17integral_constantIbLb0EEST_IbLb1EEEEDaSP_SQ_EUlSP_E0_NS1_11comp_targetILNS1_3genE3ELNS1_11target_archE908ELNS1_3gpuE7ELNS1_3repE0EEENS1_30default_config_static_selectorELNS0_4arch9wavefront6targetE1EEEvT1_,"axG",@progbits,_ZN7rocprim17ROCPRIM_400000_NS6detail17trampoline_kernelINS0_14default_configENS1_20scan_config_selectorIyEEZZNS1_9scan_implILNS1_25lookback_scan_determinismE0ELb1ELb1ES3_N6thrust23THRUST_200600_302600_NS6detail15normal_iteratorINS9_10device_ptrIyEEEESE_yNS9_4plusIvEEyEEDaPvRmT3_T4_T5_mT6_P12ihipStream_tbENKUlT_T0_E_clISt17integral_constantIbLb0EEST_IbLb1EEEEDaSP_SQ_EUlSP_E0_NS1_11comp_targetILNS1_3genE3ELNS1_11target_archE908ELNS1_3gpuE7ELNS1_3repE0EEENS1_30default_config_static_selectorELNS0_4arch9wavefront6targetE1EEEvT1_,comdat
	.protected	_ZN7rocprim17ROCPRIM_400000_NS6detail17trampoline_kernelINS0_14default_configENS1_20scan_config_selectorIyEEZZNS1_9scan_implILNS1_25lookback_scan_determinismE0ELb1ELb1ES3_N6thrust23THRUST_200600_302600_NS6detail15normal_iteratorINS9_10device_ptrIyEEEESE_yNS9_4plusIvEEyEEDaPvRmT3_T4_T5_mT6_P12ihipStream_tbENKUlT_T0_E_clISt17integral_constantIbLb0EEST_IbLb1EEEEDaSP_SQ_EUlSP_E0_NS1_11comp_targetILNS1_3genE3ELNS1_11target_archE908ELNS1_3gpuE7ELNS1_3repE0EEENS1_30default_config_static_selectorELNS0_4arch9wavefront6targetE1EEEvT1_ ; -- Begin function _ZN7rocprim17ROCPRIM_400000_NS6detail17trampoline_kernelINS0_14default_configENS1_20scan_config_selectorIyEEZZNS1_9scan_implILNS1_25lookback_scan_determinismE0ELb1ELb1ES3_N6thrust23THRUST_200600_302600_NS6detail15normal_iteratorINS9_10device_ptrIyEEEESE_yNS9_4plusIvEEyEEDaPvRmT3_T4_T5_mT6_P12ihipStream_tbENKUlT_T0_E_clISt17integral_constantIbLb0EEST_IbLb1EEEEDaSP_SQ_EUlSP_E0_NS1_11comp_targetILNS1_3genE3ELNS1_11target_archE908ELNS1_3gpuE7ELNS1_3repE0EEENS1_30default_config_static_selectorELNS0_4arch9wavefront6targetE1EEEvT1_
	.globl	_ZN7rocprim17ROCPRIM_400000_NS6detail17trampoline_kernelINS0_14default_configENS1_20scan_config_selectorIyEEZZNS1_9scan_implILNS1_25lookback_scan_determinismE0ELb1ELb1ES3_N6thrust23THRUST_200600_302600_NS6detail15normal_iteratorINS9_10device_ptrIyEEEESE_yNS9_4plusIvEEyEEDaPvRmT3_T4_T5_mT6_P12ihipStream_tbENKUlT_T0_E_clISt17integral_constantIbLb0EEST_IbLb1EEEEDaSP_SQ_EUlSP_E0_NS1_11comp_targetILNS1_3genE3ELNS1_11target_archE908ELNS1_3gpuE7ELNS1_3repE0EEENS1_30default_config_static_selectorELNS0_4arch9wavefront6targetE1EEEvT1_
	.p2align	8
	.type	_ZN7rocprim17ROCPRIM_400000_NS6detail17trampoline_kernelINS0_14default_configENS1_20scan_config_selectorIyEEZZNS1_9scan_implILNS1_25lookback_scan_determinismE0ELb1ELb1ES3_N6thrust23THRUST_200600_302600_NS6detail15normal_iteratorINS9_10device_ptrIyEEEESE_yNS9_4plusIvEEyEEDaPvRmT3_T4_T5_mT6_P12ihipStream_tbENKUlT_T0_E_clISt17integral_constantIbLb0EEST_IbLb1EEEEDaSP_SQ_EUlSP_E0_NS1_11comp_targetILNS1_3genE3ELNS1_11target_archE908ELNS1_3gpuE7ELNS1_3repE0EEENS1_30default_config_static_selectorELNS0_4arch9wavefront6targetE1EEEvT1_,@function
_ZN7rocprim17ROCPRIM_400000_NS6detail17trampoline_kernelINS0_14default_configENS1_20scan_config_selectorIyEEZZNS1_9scan_implILNS1_25lookback_scan_determinismE0ELb1ELb1ES3_N6thrust23THRUST_200600_302600_NS6detail15normal_iteratorINS9_10device_ptrIyEEEESE_yNS9_4plusIvEEyEEDaPvRmT3_T4_T5_mT6_P12ihipStream_tbENKUlT_T0_E_clISt17integral_constantIbLb0EEST_IbLb1EEEEDaSP_SQ_EUlSP_E0_NS1_11comp_targetILNS1_3genE3ELNS1_11target_archE908ELNS1_3gpuE7ELNS1_3repE0EEENS1_30default_config_static_selectorELNS0_4arch9wavefront6targetE1EEEvT1_: ; @_ZN7rocprim17ROCPRIM_400000_NS6detail17trampoline_kernelINS0_14default_configENS1_20scan_config_selectorIyEEZZNS1_9scan_implILNS1_25lookback_scan_determinismE0ELb1ELb1ES3_N6thrust23THRUST_200600_302600_NS6detail15normal_iteratorINS9_10device_ptrIyEEEESE_yNS9_4plusIvEEyEEDaPvRmT3_T4_T5_mT6_P12ihipStream_tbENKUlT_T0_E_clISt17integral_constantIbLb0EEST_IbLb1EEEEDaSP_SQ_EUlSP_E0_NS1_11comp_targetILNS1_3genE3ELNS1_11target_archE908ELNS1_3gpuE7ELNS1_3repE0EEENS1_30default_config_static_selectorELNS0_4arch9wavefront6targetE1EEEvT1_
; %bb.0:
	.section	.rodata,"a",@progbits
	.p2align	6, 0x0
	.amdhsa_kernel _ZN7rocprim17ROCPRIM_400000_NS6detail17trampoline_kernelINS0_14default_configENS1_20scan_config_selectorIyEEZZNS1_9scan_implILNS1_25lookback_scan_determinismE0ELb1ELb1ES3_N6thrust23THRUST_200600_302600_NS6detail15normal_iteratorINS9_10device_ptrIyEEEESE_yNS9_4plusIvEEyEEDaPvRmT3_T4_T5_mT6_P12ihipStream_tbENKUlT_T0_E_clISt17integral_constantIbLb0EEST_IbLb1EEEEDaSP_SQ_EUlSP_E0_NS1_11comp_targetILNS1_3genE3ELNS1_11target_archE908ELNS1_3gpuE7ELNS1_3repE0EEENS1_30default_config_static_selectorELNS0_4arch9wavefront6targetE1EEEvT1_
		.amdhsa_group_segment_fixed_size 0
		.amdhsa_private_segment_fixed_size 0
		.amdhsa_kernarg_size 40
		.amdhsa_user_sgpr_count 6
		.amdhsa_user_sgpr_private_segment_buffer 1
		.amdhsa_user_sgpr_dispatch_ptr 0
		.amdhsa_user_sgpr_queue_ptr 0
		.amdhsa_user_sgpr_kernarg_segment_ptr 1
		.amdhsa_user_sgpr_dispatch_id 0
		.amdhsa_user_sgpr_flat_scratch_init 0
		.amdhsa_user_sgpr_kernarg_preload_length 0
		.amdhsa_user_sgpr_kernarg_preload_offset 0
		.amdhsa_user_sgpr_private_segment_size 0
		.amdhsa_uses_dynamic_stack 0
		.amdhsa_system_sgpr_private_segment_wavefront_offset 0
		.amdhsa_system_sgpr_workgroup_id_x 1
		.amdhsa_system_sgpr_workgroup_id_y 0
		.amdhsa_system_sgpr_workgroup_id_z 0
		.amdhsa_system_sgpr_workgroup_info 0
		.amdhsa_system_vgpr_workitem_id 0
		.amdhsa_next_free_vgpr 1
		.amdhsa_next_free_sgpr 0
		.amdhsa_accum_offset 4
		.amdhsa_reserve_vcc 0
		.amdhsa_reserve_flat_scratch 0
		.amdhsa_float_round_mode_32 0
		.amdhsa_float_round_mode_16_64 0
		.amdhsa_float_denorm_mode_32 3
		.amdhsa_float_denorm_mode_16_64 3
		.amdhsa_dx10_clamp 1
		.amdhsa_ieee_mode 1
		.amdhsa_fp16_overflow 0
		.amdhsa_tg_split 0
		.amdhsa_exception_fp_ieee_invalid_op 0
		.amdhsa_exception_fp_denorm_src 0
		.amdhsa_exception_fp_ieee_div_zero 0
		.amdhsa_exception_fp_ieee_overflow 0
		.amdhsa_exception_fp_ieee_underflow 0
		.amdhsa_exception_fp_ieee_inexact 0
		.amdhsa_exception_int_div_zero 0
	.end_amdhsa_kernel
	.section	.text._ZN7rocprim17ROCPRIM_400000_NS6detail17trampoline_kernelINS0_14default_configENS1_20scan_config_selectorIyEEZZNS1_9scan_implILNS1_25lookback_scan_determinismE0ELb1ELb1ES3_N6thrust23THRUST_200600_302600_NS6detail15normal_iteratorINS9_10device_ptrIyEEEESE_yNS9_4plusIvEEyEEDaPvRmT3_T4_T5_mT6_P12ihipStream_tbENKUlT_T0_E_clISt17integral_constantIbLb0EEST_IbLb1EEEEDaSP_SQ_EUlSP_E0_NS1_11comp_targetILNS1_3genE3ELNS1_11target_archE908ELNS1_3gpuE7ELNS1_3repE0EEENS1_30default_config_static_selectorELNS0_4arch9wavefront6targetE1EEEvT1_,"axG",@progbits,_ZN7rocprim17ROCPRIM_400000_NS6detail17trampoline_kernelINS0_14default_configENS1_20scan_config_selectorIyEEZZNS1_9scan_implILNS1_25lookback_scan_determinismE0ELb1ELb1ES3_N6thrust23THRUST_200600_302600_NS6detail15normal_iteratorINS9_10device_ptrIyEEEESE_yNS9_4plusIvEEyEEDaPvRmT3_T4_T5_mT6_P12ihipStream_tbENKUlT_T0_E_clISt17integral_constantIbLb0EEST_IbLb1EEEEDaSP_SQ_EUlSP_E0_NS1_11comp_targetILNS1_3genE3ELNS1_11target_archE908ELNS1_3gpuE7ELNS1_3repE0EEENS1_30default_config_static_selectorELNS0_4arch9wavefront6targetE1EEEvT1_,comdat
.Lfunc_end4568:
	.size	_ZN7rocprim17ROCPRIM_400000_NS6detail17trampoline_kernelINS0_14default_configENS1_20scan_config_selectorIyEEZZNS1_9scan_implILNS1_25lookback_scan_determinismE0ELb1ELb1ES3_N6thrust23THRUST_200600_302600_NS6detail15normal_iteratorINS9_10device_ptrIyEEEESE_yNS9_4plusIvEEyEEDaPvRmT3_T4_T5_mT6_P12ihipStream_tbENKUlT_T0_E_clISt17integral_constantIbLb0EEST_IbLb1EEEEDaSP_SQ_EUlSP_E0_NS1_11comp_targetILNS1_3genE3ELNS1_11target_archE908ELNS1_3gpuE7ELNS1_3repE0EEENS1_30default_config_static_selectorELNS0_4arch9wavefront6targetE1EEEvT1_, .Lfunc_end4568-_ZN7rocprim17ROCPRIM_400000_NS6detail17trampoline_kernelINS0_14default_configENS1_20scan_config_selectorIyEEZZNS1_9scan_implILNS1_25lookback_scan_determinismE0ELb1ELb1ES3_N6thrust23THRUST_200600_302600_NS6detail15normal_iteratorINS9_10device_ptrIyEEEESE_yNS9_4plusIvEEyEEDaPvRmT3_T4_T5_mT6_P12ihipStream_tbENKUlT_T0_E_clISt17integral_constantIbLb0EEST_IbLb1EEEEDaSP_SQ_EUlSP_E0_NS1_11comp_targetILNS1_3genE3ELNS1_11target_archE908ELNS1_3gpuE7ELNS1_3repE0EEENS1_30default_config_static_selectorELNS0_4arch9wavefront6targetE1EEEvT1_
                                        ; -- End function
	.section	.AMDGPU.csdata,"",@progbits
; Kernel info:
; codeLenInByte = 0
; NumSgprs: 4
; NumVgprs: 0
; NumAgprs: 0
; TotalNumVgprs: 0
; ScratchSize: 0
; MemoryBound: 0
; FloatMode: 240
; IeeeMode: 1
; LDSByteSize: 0 bytes/workgroup (compile time only)
; SGPRBlocks: 0
; VGPRBlocks: 0
; NumSGPRsForWavesPerEU: 4
; NumVGPRsForWavesPerEU: 1
; AccumOffset: 4
; Occupancy: 8
; WaveLimiterHint : 0
; COMPUTE_PGM_RSRC2:SCRATCH_EN: 0
; COMPUTE_PGM_RSRC2:USER_SGPR: 6
; COMPUTE_PGM_RSRC2:TRAP_HANDLER: 0
; COMPUTE_PGM_RSRC2:TGID_X_EN: 1
; COMPUTE_PGM_RSRC2:TGID_Y_EN: 0
; COMPUTE_PGM_RSRC2:TGID_Z_EN: 0
; COMPUTE_PGM_RSRC2:TIDIG_COMP_CNT: 0
; COMPUTE_PGM_RSRC3_GFX90A:ACCUM_OFFSET: 0
; COMPUTE_PGM_RSRC3_GFX90A:TG_SPLIT: 0
	.section	.text._ZN7rocprim17ROCPRIM_400000_NS6detail17trampoline_kernelINS0_14default_configENS1_20scan_config_selectorIyEEZZNS1_9scan_implILNS1_25lookback_scan_determinismE0ELb1ELb1ES3_N6thrust23THRUST_200600_302600_NS6detail15normal_iteratorINS9_10device_ptrIyEEEESE_yNS9_4plusIvEEyEEDaPvRmT3_T4_T5_mT6_P12ihipStream_tbENKUlT_T0_E_clISt17integral_constantIbLb0EEST_IbLb1EEEEDaSP_SQ_EUlSP_E0_NS1_11comp_targetILNS1_3genE2ELNS1_11target_archE906ELNS1_3gpuE6ELNS1_3repE0EEENS1_30default_config_static_selectorELNS0_4arch9wavefront6targetE1EEEvT1_,"axG",@progbits,_ZN7rocprim17ROCPRIM_400000_NS6detail17trampoline_kernelINS0_14default_configENS1_20scan_config_selectorIyEEZZNS1_9scan_implILNS1_25lookback_scan_determinismE0ELb1ELb1ES3_N6thrust23THRUST_200600_302600_NS6detail15normal_iteratorINS9_10device_ptrIyEEEESE_yNS9_4plusIvEEyEEDaPvRmT3_T4_T5_mT6_P12ihipStream_tbENKUlT_T0_E_clISt17integral_constantIbLb0EEST_IbLb1EEEEDaSP_SQ_EUlSP_E0_NS1_11comp_targetILNS1_3genE2ELNS1_11target_archE906ELNS1_3gpuE6ELNS1_3repE0EEENS1_30default_config_static_selectorELNS0_4arch9wavefront6targetE1EEEvT1_,comdat
	.protected	_ZN7rocprim17ROCPRIM_400000_NS6detail17trampoline_kernelINS0_14default_configENS1_20scan_config_selectorIyEEZZNS1_9scan_implILNS1_25lookback_scan_determinismE0ELb1ELb1ES3_N6thrust23THRUST_200600_302600_NS6detail15normal_iteratorINS9_10device_ptrIyEEEESE_yNS9_4plusIvEEyEEDaPvRmT3_T4_T5_mT6_P12ihipStream_tbENKUlT_T0_E_clISt17integral_constantIbLb0EEST_IbLb1EEEEDaSP_SQ_EUlSP_E0_NS1_11comp_targetILNS1_3genE2ELNS1_11target_archE906ELNS1_3gpuE6ELNS1_3repE0EEENS1_30default_config_static_selectorELNS0_4arch9wavefront6targetE1EEEvT1_ ; -- Begin function _ZN7rocprim17ROCPRIM_400000_NS6detail17trampoline_kernelINS0_14default_configENS1_20scan_config_selectorIyEEZZNS1_9scan_implILNS1_25lookback_scan_determinismE0ELb1ELb1ES3_N6thrust23THRUST_200600_302600_NS6detail15normal_iteratorINS9_10device_ptrIyEEEESE_yNS9_4plusIvEEyEEDaPvRmT3_T4_T5_mT6_P12ihipStream_tbENKUlT_T0_E_clISt17integral_constantIbLb0EEST_IbLb1EEEEDaSP_SQ_EUlSP_E0_NS1_11comp_targetILNS1_3genE2ELNS1_11target_archE906ELNS1_3gpuE6ELNS1_3repE0EEENS1_30default_config_static_selectorELNS0_4arch9wavefront6targetE1EEEvT1_
	.globl	_ZN7rocprim17ROCPRIM_400000_NS6detail17trampoline_kernelINS0_14default_configENS1_20scan_config_selectorIyEEZZNS1_9scan_implILNS1_25lookback_scan_determinismE0ELb1ELb1ES3_N6thrust23THRUST_200600_302600_NS6detail15normal_iteratorINS9_10device_ptrIyEEEESE_yNS9_4plusIvEEyEEDaPvRmT3_T4_T5_mT6_P12ihipStream_tbENKUlT_T0_E_clISt17integral_constantIbLb0EEST_IbLb1EEEEDaSP_SQ_EUlSP_E0_NS1_11comp_targetILNS1_3genE2ELNS1_11target_archE906ELNS1_3gpuE6ELNS1_3repE0EEENS1_30default_config_static_selectorELNS0_4arch9wavefront6targetE1EEEvT1_
	.p2align	8
	.type	_ZN7rocprim17ROCPRIM_400000_NS6detail17trampoline_kernelINS0_14default_configENS1_20scan_config_selectorIyEEZZNS1_9scan_implILNS1_25lookback_scan_determinismE0ELb1ELb1ES3_N6thrust23THRUST_200600_302600_NS6detail15normal_iteratorINS9_10device_ptrIyEEEESE_yNS9_4plusIvEEyEEDaPvRmT3_T4_T5_mT6_P12ihipStream_tbENKUlT_T0_E_clISt17integral_constantIbLb0EEST_IbLb1EEEEDaSP_SQ_EUlSP_E0_NS1_11comp_targetILNS1_3genE2ELNS1_11target_archE906ELNS1_3gpuE6ELNS1_3repE0EEENS1_30default_config_static_selectorELNS0_4arch9wavefront6targetE1EEEvT1_,@function
_ZN7rocprim17ROCPRIM_400000_NS6detail17trampoline_kernelINS0_14default_configENS1_20scan_config_selectorIyEEZZNS1_9scan_implILNS1_25lookback_scan_determinismE0ELb1ELb1ES3_N6thrust23THRUST_200600_302600_NS6detail15normal_iteratorINS9_10device_ptrIyEEEESE_yNS9_4plusIvEEyEEDaPvRmT3_T4_T5_mT6_P12ihipStream_tbENKUlT_T0_E_clISt17integral_constantIbLb0EEST_IbLb1EEEEDaSP_SQ_EUlSP_E0_NS1_11comp_targetILNS1_3genE2ELNS1_11target_archE906ELNS1_3gpuE6ELNS1_3repE0EEENS1_30default_config_static_selectorELNS0_4arch9wavefront6targetE1EEEvT1_: ; @_ZN7rocprim17ROCPRIM_400000_NS6detail17trampoline_kernelINS0_14default_configENS1_20scan_config_selectorIyEEZZNS1_9scan_implILNS1_25lookback_scan_determinismE0ELb1ELb1ES3_N6thrust23THRUST_200600_302600_NS6detail15normal_iteratorINS9_10device_ptrIyEEEESE_yNS9_4plusIvEEyEEDaPvRmT3_T4_T5_mT6_P12ihipStream_tbENKUlT_T0_E_clISt17integral_constantIbLb0EEST_IbLb1EEEEDaSP_SQ_EUlSP_E0_NS1_11comp_targetILNS1_3genE2ELNS1_11target_archE906ELNS1_3gpuE6ELNS1_3repE0EEENS1_30default_config_static_selectorELNS0_4arch9wavefront6targetE1EEEvT1_
; %bb.0:
	.section	.rodata,"a",@progbits
	.p2align	6, 0x0
	.amdhsa_kernel _ZN7rocprim17ROCPRIM_400000_NS6detail17trampoline_kernelINS0_14default_configENS1_20scan_config_selectorIyEEZZNS1_9scan_implILNS1_25lookback_scan_determinismE0ELb1ELb1ES3_N6thrust23THRUST_200600_302600_NS6detail15normal_iteratorINS9_10device_ptrIyEEEESE_yNS9_4plusIvEEyEEDaPvRmT3_T4_T5_mT6_P12ihipStream_tbENKUlT_T0_E_clISt17integral_constantIbLb0EEST_IbLb1EEEEDaSP_SQ_EUlSP_E0_NS1_11comp_targetILNS1_3genE2ELNS1_11target_archE906ELNS1_3gpuE6ELNS1_3repE0EEENS1_30default_config_static_selectorELNS0_4arch9wavefront6targetE1EEEvT1_
		.amdhsa_group_segment_fixed_size 0
		.amdhsa_private_segment_fixed_size 0
		.amdhsa_kernarg_size 40
		.amdhsa_user_sgpr_count 6
		.amdhsa_user_sgpr_private_segment_buffer 1
		.amdhsa_user_sgpr_dispatch_ptr 0
		.amdhsa_user_sgpr_queue_ptr 0
		.amdhsa_user_sgpr_kernarg_segment_ptr 1
		.amdhsa_user_sgpr_dispatch_id 0
		.amdhsa_user_sgpr_flat_scratch_init 0
		.amdhsa_user_sgpr_kernarg_preload_length 0
		.amdhsa_user_sgpr_kernarg_preload_offset 0
		.amdhsa_user_sgpr_private_segment_size 0
		.amdhsa_uses_dynamic_stack 0
		.amdhsa_system_sgpr_private_segment_wavefront_offset 0
		.amdhsa_system_sgpr_workgroup_id_x 1
		.amdhsa_system_sgpr_workgroup_id_y 0
		.amdhsa_system_sgpr_workgroup_id_z 0
		.amdhsa_system_sgpr_workgroup_info 0
		.amdhsa_system_vgpr_workitem_id 0
		.amdhsa_next_free_vgpr 1
		.amdhsa_next_free_sgpr 0
		.amdhsa_accum_offset 4
		.amdhsa_reserve_vcc 0
		.amdhsa_reserve_flat_scratch 0
		.amdhsa_float_round_mode_32 0
		.amdhsa_float_round_mode_16_64 0
		.amdhsa_float_denorm_mode_32 3
		.amdhsa_float_denorm_mode_16_64 3
		.amdhsa_dx10_clamp 1
		.amdhsa_ieee_mode 1
		.amdhsa_fp16_overflow 0
		.amdhsa_tg_split 0
		.amdhsa_exception_fp_ieee_invalid_op 0
		.amdhsa_exception_fp_denorm_src 0
		.amdhsa_exception_fp_ieee_div_zero 0
		.amdhsa_exception_fp_ieee_overflow 0
		.amdhsa_exception_fp_ieee_underflow 0
		.amdhsa_exception_fp_ieee_inexact 0
		.amdhsa_exception_int_div_zero 0
	.end_amdhsa_kernel
	.section	.text._ZN7rocprim17ROCPRIM_400000_NS6detail17trampoline_kernelINS0_14default_configENS1_20scan_config_selectorIyEEZZNS1_9scan_implILNS1_25lookback_scan_determinismE0ELb1ELb1ES3_N6thrust23THRUST_200600_302600_NS6detail15normal_iteratorINS9_10device_ptrIyEEEESE_yNS9_4plusIvEEyEEDaPvRmT3_T4_T5_mT6_P12ihipStream_tbENKUlT_T0_E_clISt17integral_constantIbLb0EEST_IbLb1EEEEDaSP_SQ_EUlSP_E0_NS1_11comp_targetILNS1_3genE2ELNS1_11target_archE906ELNS1_3gpuE6ELNS1_3repE0EEENS1_30default_config_static_selectorELNS0_4arch9wavefront6targetE1EEEvT1_,"axG",@progbits,_ZN7rocprim17ROCPRIM_400000_NS6detail17trampoline_kernelINS0_14default_configENS1_20scan_config_selectorIyEEZZNS1_9scan_implILNS1_25lookback_scan_determinismE0ELb1ELb1ES3_N6thrust23THRUST_200600_302600_NS6detail15normal_iteratorINS9_10device_ptrIyEEEESE_yNS9_4plusIvEEyEEDaPvRmT3_T4_T5_mT6_P12ihipStream_tbENKUlT_T0_E_clISt17integral_constantIbLb0EEST_IbLb1EEEEDaSP_SQ_EUlSP_E0_NS1_11comp_targetILNS1_3genE2ELNS1_11target_archE906ELNS1_3gpuE6ELNS1_3repE0EEENS1_30default_config_static_selectorELNS0_4arch9wavefront6targetE1EEEvT1_,comdat
.Lfunc_end4569:
	.size	_ZN7rocprim17ROCPRIM_400000_NS6detail17trampoline_kernelINS0_14default_configENS1_20scan_config_selectorIyEEZZNS1_9scan_implILNS1_25lookback_scan_determinismE0ELb1ELb1ES3_N6thrust23THRUST_200600_302600_NS6detail15normal_iteratorINS9_10device_ptrIyEEEESE_yNS9_4plusIvEEyEEDaPvRmT3_T4_T5_mT6_P12ihipStream_tbENKUlT_T0_E_clISt17integral_constantIbLb0EEST_IbLb1EEEEDaSP_SQ_EUlSP_E0_NS1_11comp_targetILNS1_3genE2ELNS1_11target_archE906ELNS1_3gpuE6ELNS1_3repE0EEENS1_30default_config_static_selectorELNS0_4arch9wavefront6targetE1EEEvT1_, .Lfunc_end4569-_ZN7rocprim17ROCPRIM_400000_NS6detail17trampoline_kernelINS0_14default_configENS1_20scan_config_selectorIyEEZZNS1_9scan_implILNS1_25lookback_scan_determinismE0ELb1ELb1ES3_N6thrust23THRUST_200600_302600_NS6detail15normal_iteratorINS9_10device_ptrIyEEEESE_yNS9_4plusIvEEyEEDaPvRmT3_T4_T5_mT6_P12ihipStream_tbENKUlT_T0_E_clISt17integral_constantIbLb0EEST_IbLb1EEEEDaSP_SQ_EUlSP_E0_NS1_11comp_targetILNS1_3genE2ELNS1_11target_archE906ELNS1_3gpuE6ELNS1_3repE0EEENS1_30default_config_static_selectorELNS0_4arch9wavefront6targetE1EEEvT1_
                                        ; -- End function
	.section	.AMDGPU.csdata,"",@progbits
; Kernel info:
; codeLenInByte = 0
; NumSgprs: 4
; NumVgprs: 0
; NumAgprs: 0
; TotalNumVgprs: 0
; ScratchSize: 0
; MemoryBound: 0
; FloatMode: 240
; IeeeMode: 1
; LDSByteSize: 0 bytes/workgroup (compile time only)
; SGPRBlocks: 0
; VGPRBlocks: 0
; NumSGPRsForWavesPerEU: 4
; NumVGPRsForWavesPerEU: 1
; AccumOffset: 4
; Occupancy: 8
; WaveLimiterHint : 0
; COMPUTE_PGM_RSRC2:SCRATCH_EN: 0
; COMPUTE_PGM_RSRC2:USER_SGPR: 6
; COMPUTE_PGM_RSRC2:TRAP_HANDLER: 0
; COMPUTE_PGM_RSRC2:TGID_X_EN: 1
; COMPUTE_PGM_RSRC2:TGID_Y_EN: 0
; COMPUTE_PGM_RSRC2:TGID_Z_EN: 0
; COMPUTE_PGM_RSRC2:TIDIG_COMP_CNT: 0
; COMPUTE_PGM_RSRC3_GFX90A:ACCUM_OFFSET: 0
; COMPUTE_PGM_RSRC3_GFX90A:TG_SPLIT: 0
	.section	.text._ZN7rocprim17ROCPRIM_400000_NS6detail17trampoline_kernelINS0_14default_configENS1_20scan_config_selectorIyEEZZNS1_9scan_implILNS1_25lookback_scan_determinismE0ELb1ELb1ES3_N6thrust23THRUST_200600_302600_NS6detail15normal_iteratorINS9_10device_ptrIyEEEESE_yNS9_4plusIvEEyEEDaPvRmT3_T4_T5_mT6_P12ihipStream_tbENKUlT_T0_E_clISt17integral_constantIbLb0EEST_IbLb1EEEEDaSP_SQ_EUlSP_E0_NS1_11comp_targetILNS1_3genE10ELNS1_11target_archE1201ELNS1_3gpuE5ELNS1_3repE0EEENS1_30default_config_static_selectorELNS0_4arch9wavefront6targetE1EEEvT1_,"axG",@progbits,_ZN7rocprim17ROCPRIM_400000_NS6detail17trampoline_kernelINS0_14default_configENS1_20scan_config_selectorIyEEZZNS1_9scan_implILNS1_25lookback_scan_determinismE0ELb1ELb1ES3_N6thrust23THRUST_200600_302600_NS6detail15normal_iteratorINS9_10device_ptrIyEEEESE_yNS9_4plusIvEEyEEDaPvRmT3_T4_T5_mT6_P12ihipStream_tbENKUlT_T0_E_clISt17integral_constantIbLb0EEST_IbLb1EEEEDaSP_SQ_EUlSP_E0_NS1_11comp_targetILNS1_3genE10ELNS1_11target_archE1201ELNS1_3gpuE5ELNS1_3repE0EEENS1_30default_config_static_selectorELNS0_4arch9wavefront6targetE1EEEvT1_,comdat
	.protected	_ZN7rocprim17ROCPRIM_400000_NS6detail17trampoline_kernelINS0_14default_configENS1_20scan_config_selectorIyEEZZNS1_9scan_implILNS1_25lookback_scan_determinismE0ELb1ELb1ES3_N6thrust23THRUST_200600_302600_NS6detail15normal_iteratorINS9_10device_ptrIyEEEESE_yNS9_4plusIvEEyEEDaPvRmT3_T4_T5_mT6_P12ihipStream_tbENKUlT_T0_E_clISt17integral_constantIbLb0EEST_IbLb1EEEEDaSP_SQ_EUlSP_E0_NS1_11comp_targetILNS1_3genE10ELNS1_11target_archE1201ELNS1_3gpuE5ELNS1_3repE0EEENS1_30default_config_static_selectorELNS0_4arch9wavefront6targetE1EEEvT1_ ; -- Begin function _ZN7rocprim17ROCPRIM_400000_NS6detail17trampoline_kernelINS0_14default_configENS1_20scan_config_selectorIyEEZZNS1_9scan_implILNS1_25lookback_scan_determinismE0ELb1ELb1ES3_N6thrust23THRUST_200600_302600_NS6detail15normal_iteratorINS9_10device_ptrIyEEEESE_yNS9_4plusIvEEyEEDaPvRmT3_T4_T5_mT6_P12ihipStream_tbENKUlT_T0_E_clISt17integral_constantIbLb0EEST_IbLb1EEEEDaSP_SQ_EUlSP_E0_NS1_11comp_targetILNS1_3genE10ELNS1_11target_archE1201ELNS1_3gpuE5ELNS1_3repE0EEENS1_30default_config_static_selectorELNS0_4arch9wavefront6targetE1EEEvT1_
	.globl	_ZN7rocprim17ROCPRIM_400000_NS6detail17trampoline_kernelINS0_14default_configENS1_20scan_config_selectorIyEEZZNS1_9scan_implILNS1_25lookback_scan_determinismE0ELb1ELb1ES3_N6thrust23THRUST_200600_302600_NS6detail15normal_iteratorINS9_10device_ptrIyEEEESE_yNS9_4plusIvEEyEEDaPvRmT3_T4_T5_mT6_P12ihipStream_tbENKUlT_T0_E_clISt17integral_constantIbLb0EEST_IbLb1EEEEDaSP_SQ_EUlSP_E0_NS1_11comp_targetILNS1_3genE10ELNS1_11target_archE1201ELNS1_3gpuE5ELNS1_3repE0EEENS1_30default_config_static_selectorELNS0_4arch9wavefront6targetE1EEEvT1_
	.p2align	8
	.type	_ZN7rocprim17ROCPRIM_400000_NS6detail17trampoline_kernelINS0_14default_configENS1_20scan_config_selectorIyEEZZNS1_9scan_implILNS1_25lookback_scan_determinismE0ELb1ELb1ES3_N6thrust23THRUST_200600_302600_NS6detail15normal_iteratorINS9_10device_ptrIyEEEESE_yNS9_4plusIvEEyEEDaPvRmT3_T4_T5_mT6_P12ihipStream_tbENKUlT_T0_E_clISt17integral_constantIbLb0EEST_IbLb1EEEEDaSP_SQ_EUlSP_E0_NS1_11comp_targetILNS1_3genE10ELNS1_11target_archE1201ELNS1_3gpuE5ELNS1_3repE0EEENS1_30default_config_static_selectorELNS0_4arch9wavefront6targetE1EEEvT1_,@function
_ZN7rocprim17ROCPRIM_400000_NS6detail17trampoline_kernelINS0_14default_configENS1_20scan_config_selectorIyEEZZNS1_9scan_implILNS1_25lookback_scan_determinismE0ELb1ELb1ES3_N6thrust23THRUST_200600_302600_NS6detail15normal_iteratorINS9_10device_ptrIyEEEESE_yNS9_4plusIvEEyEEDaPvRmT3_T4_T5_mT6_P12ihipStream_tbENKUlT_T0_E_clISt17integral_constantIbLb0EEST_IbLb1EEEEDaSP_SQ_EUlSP_E0_NS1_11comp_targetILNS1_3genE10ELNS1_11target_archE1201ELNS1_3gpuE5ELNS1_3repE0EEENS1_30default_config_static_selectorELNS0_4arch9wavefront6targetE1EEEvT1_: ; @_ZN7rocprim17ROCPRIM_400000_NS6detail17trampoline_kernelINS0_14default_configENS1_20scan_config_selectorIyEEZZNS1_9scan_implILNS1_25lookback_scan_determinismE0ELb1ELb1ES3_N6thrust23THRUST_200600_302600_NS6detail15normal_iteratorINS9_10device_ptrIyEEEESE_yNS9_4plusIvEEyEEDaPvRmT3_T4_T5_mT6_P12ihipStream_tbENKUlT_T0_E_clISt17integral_constantIbLb0EEST_IbLb1EEEEDaSP_SQ_EUlSP_E0_NS1_11comp_targetILNS1_3genE10ELNS1_11target_archE1201ELNS1_3gpuE5ELNS1_3repE0EEENS1_30default_config_static_selectorELNS0_4arch9wavefront6targetE1EEEvT1_
; %bb.0:
	.section	.rodata,"a",@progbits
	.p2align	6, 0x0
	.amdhsa_kernel _ZN7rocprim17ROCPRIM_400000_NS6detail17trampoline_kernelINS0_14default_configENS1_20scan_config_selectorIyEEZZNS1_9scan_implILNS1_25lookback_scan_determinismE0ELb1ELb1ES3_N6thrust23THRUST_200600_302600_NS6detail15normal_iteratorINS9_10device_ptrIyEEEESE_yNS9_4plusIvEEyEEDaPvRmT3_T4_T5_mT6_P12ihipStream_tbENKUlT_T0_E_clISt17integral_constantIbLb0EEST_IbLb1EEEEDaSP_SQ_EUlSP_E0_NS1_11comp_targetILNS1_3genE10ELNS1_11target_archE1201ELNS1_3gpuE5ELNS1_3repE0EEENS1_30default_config_static_selectorELNS0_4arch9wavefront6targetE1EEEvT1_
		.amdhsa_group_segment_fixed_size 0
		.amdhsa_private_segment_fixed_size 0
		.amdhsa_kernarg_size 40
		.amdhsa_user_sgpr_count 6
		.amdhsa_user_sgpr_private_segment_buffer 1
		.amdhsa_user_sgpr_dispatch_ptr 0
		.amdhsa_user_sgpr_queue_ptr 0
		.amdhsa_user_sgpr_kernarg_segment_ptr 1
		.amdhsa_user_sgpr_dispatch_id 0
		.amdhsa_user_sgpr_flat_scratch_init 0
		.amdhsa_user_sgpr_kernarg_preload_length 0
		.amdhsa_user_sgpr_kernarg_preload_offset 0
		.amdhsa_user_sgpr_private_segment_size 0
		.amdhsa_uses_dynamic_stack 0
		.amdhsa_system_sgpr_private_segment_wavefront_offset 0
		.amdhsa_system_sgpr_workgroup_id_x 1
		.amdhsa_system_sgpr_workgroup_id_y 0
		.amdhsa_system_sgpr_workgroup_id_z 0
		.amdhsa_system_sgpr_workgroup_info 0
		.amdhsa_system_vgpr_workitem_id 0
		.amdhsa_next_free_vgpr 1
		.amdhsa_next_free_sgpr 0
		.amdhsa_accum_offset 4
		.amdhsa_reserve_vcc 0
		.amdhsa_reserve_flat_scratch 0
		.amdhsa_float_round_mode_32 0
		.amdhsa_float_round_mode_16_64 0
		.amdhsa_float_denorm_mode_32 3
		.amdhsa_float_denorm_mode_16_64 3
		.amdhsa_dx10_clamp 1
		.amdhsa_ieee_mode 1
		.amdhsa_fp16_overflow 0
		.amdhsa_tg_split 0
		.amdhsa_exception_fp_ieee_invalid_op 0
		.amdhsa_exception_fp_denorm_src 0
		.amdhsa_exception_fp_ieee_div_zero 0
		.amdhsa_exception_fp_ieee_overflow 0
		.amdhsa_exception_fp_ieee_underflow 0
		.amdhsa_exception_fp_ieee_inexact 0
		.amdhsa_exception_int_div_zero 0
	.end_amdhsa_kernel
	.section	.text._ZN7rocprim17ROCPRIM_400000_NS6detail17trampoline_kernelINS0_14default_configENS1_20scan_config_selectorIyEEZZNS1_9scan_implILNS1_25lookback_scan_determinismE0ELb1ELb1ES3_N6thrust23THRUST_200600_302600_NS6detail15normal_iteratorINS9_10device_ptrIyEEEESE_yNS9_4plusIvEEyEEDaPvRmT3_T4_T5_mT6_P12ihipStream_tbENKUlT_T0_E_clISt17integral_constantIbLb0EEST_IbLb1EEEEDaSP_SQ_EUlSP_E0_NS1_11comp_targetILNS1_3genE10ELNS1_11target_archE1201ELNS1_3gpuE5ELNS1_3repE0EEENS1_30default_config_static_selectorELNS0_4arch9wavefront6targetE1EEEvT1_,"axG",@progbits,_ZN7rocprim17ROCPRIM_400000_NS6detail17trampoline_kernelINS0_14default_configENS1_20scan_config_selectorIyEEZZNS1_9scan_implILNS1_25lookback_scan_determinismE0ELb1ELb1ES3_N6thrust23THRUST_200600_302600_NS6detail15normal_iteratorINS9_10device_ptrIyEEEESE_yNS9_4plusIvEEyEEDaPvRmT3_T4_T5_mT6_P12ihipStream_tbENKUlT_T0_E_clISt17integral_constantIbLb0EEST_IbLb1EEEEDaSP_SQ_EUlSP_E0_NS1_11comp_targetILNS1_3genE10ELNS1_11target_archE1201ELNS1_3gpuE5ELNS1_3repE0EEENS1_30default_config_static_selectorELNS0_4arch9wavefront6targetE1EEEvT1_,comdat
.Lfunc_end4570:
	.size	_ZN7rocprim17ROCPRIM_400000_NS6detail17trampoline_kernelINS0_14default_configENS1_20scan_config_selectorIyEEZZNS1_9scan_implILNS1_25lookback_scan_determinismE0ELb1ELb1ES3_N6thrust23THRUST_200600_302600_NS6detail15normal_iteratorINS9_10device_ptrIyEEEESE_yNS9_4plusIvEEyEEDaPvRmT3_T4_T5_mT6_P12ihipStream_tbENKUlT_T0_E_clISt17integral_constantIbLb0EEST_IbLb1EEEEDaSP_SQ_EUlSP_E0_NS1_11comp_targetILNS1_3genE10ELNS1_11target_archE1201ELNS1_3gpuE5ELNS1_3repE0EEENS1_30default_config_static_selectorELNS0_4arch9wavefront6targetE1EEEvT1_, .Lfunc_end4570-_ZN7rocprim17ROCPRIM_400000_NS6detail17trampoline_kernelINS0_14default_configENS1_20scan_config_selectorIyEEZZNS1_9scan_implILNS1_25lookback_scan_determinismE0ELb1ELb1ES3_N6thrust23THRUST_200600_302600_NS6detail15normal_iteratorINS9_10device_ptrIyEEEESE_yNS9_4plusIvEEyEEDaPvRmT3_T4_T5_mT6_P12ihipStream_tbENKUlT_T0_E_clISt17integral_constantIbLb0EEST_IbLb1EEEEDaSP_SQ_EUlSP_E0_NS1_11comp_targetILNS1_3genE10ELNS1_11target_archE1201ELNS1_3gpuE5ELNS1_3repE0EEENS1_30default_config_static_selectorELNS0_4arch9wavefront6targetE1EEEvT1_
                                        ; -- End function
	.section	.AMDGPU.csdata,"",@progbits
; Kernel info:
; codeLenInByte = 0
; NumSgprs: 4
; NumVgprs: 0
; NumAgprs: 0
; TotalNumVgprs: 0
; ScratchSize: 0
; MemoryBound: 0
; FloatMode: 240
; IeeeMode: 1
; LDSByteSize: 0 bytes/workgroup (compile time only)
; SGPRBlocks: 0
; VGPRBlocks: 0
; NumSGPRsForWavesPerEU: 4
; NumVGPRsForWavesPerEU: 1
; AccumOffset: 4
; Occupancy: 8
; WaveLimiterHint : 0
; COMPUTE_PGM_RSRC2:SCRATCH_EN: 0
; COMPUTE_PGM_RSRC2:USER_SGPR: 6
; COMPUTE_PGM_RSRC2:TRAP_HANDLER: 0
; COMPUTE_PGM_RSRC2:TGID_X_EN: 1
; COMPUTE_PGM_RSRC2:TGID_Y_EN: 0
; COMPUTE_PGM_RSRC2:TGID_Z_EN: 0
; COMPUTE_PGM_RSRC2:TIDIG_COMP_CNT: 0
; COMPUTE_PGM_RSRC3_GFX90A:ACCUM_OFFSET: 0
; COMPUTE_PGM_RSRC3_GFX90A:TG_SPLIT: 0
	.section	.text._ZN7rocprim17ROCPRIM_400000_NS6detail17trampoline_kernelINS0_14default_configENS1_20scan_config_selectorIyEEZZNS1_9scan_implILNS1_25lookback_scan_determinismE0ELb1ELb1ES3_N6thrust23THRUST_200600_302600_NS6detail15normal_iteratorINS9_10device_ptrIyEEEESE_yNS9_4plusIvEEyEEDaPvRmT3_T4_T5_mT6_P12ihipStream_tbENKUlT_T0_E_clISt17integral_constantIbLb0EEST_IbLb1EEEEDaSP_SQ_EUlSP_E0_NS1_11comp_targetILNS1_3genE10ELNS1_11target_archE1200ELNS1_3gpuE4ELNS1_3repE0EEENS1_30default_config_static_selectorELNS0_4arch9wavefront6targetE1EEEvT1_,"axG",@progbits,_ZN7rocprim17ROCPRIM_400000_NS6detail17trampoline_kernelINS0_14default_configENS1_20scan_config_selectorIyEEZZNS1_9scan_implILNS1_25lookback_scan_determinismE0ELb1ELb1ES3_N6thrust23THRUST_200600_302600_NS6detail15normal_iteratorINS9_10device_ptrIyEEEESE_yNS9_4plusIvEEyEEDaPvRmT3_T4_T5_mT6_P12ihipStream_tbENKUlT_T0_E_clISt17integral_constantIbLb0EEST_IbLb1EEEEDaSP_SQ_EUlSP_E0_NS1_11comp_targetILNS1_3genE10ELNS1_11target_archE1200ELNS1_3gpuE4ELNS1_3repE0EEENS1_30default_config_static_selectorELNS0_4arch9wavefront6targetE1EEEvT1_,comdat
	.protected	_ZN7rocprim17ROCPRIM_400000_NS6detail17trampoline_kernelINS0_14default_configENS1_20scan_config_selectorIyEEZZNS1_9scan_implILNS1_25lookback_scan_determinismE0ELb1ELb1ES3_N6thrust23THRUST_200600_302600_NS6detail15normal_iteratorINS9_10device_ptrIyEEEESE_yNS9_4plusIvEEyEEDaPvRmT3_T4_T5_mT6_P12ihipStream_tbENKUlT_T0_E_clISt17integral_constantIbLb0EEST_IbLb1EEEEDaSP_SQ_EUlSP_E0_NS1_11comp_targetILNS1_3genE10ELNS1_11target_archE1200ELNS1_3gpuE4ELNS1_3repE0EEENS1_30default_config_static_selectorELNS0_4arch9wavefront6targetE1EEEvT1_ ; -- Begin function _ZN7rocprim17ROCPRIM_400000_NS6detail17trampoline_kernelINS0_14default_configENS1_20scan_config_selectorIyEEZZNS1_9scan_implILNS1_25lookback_scan_determinismE0ELb1ELb1ES3_N6thrust23THRUST_200600_302600_NS6detail15normal_iteratorINS9_10device_ptrIyEEEESE_yNS9_4plusIvEEyEEDaPvRmT3_T4_T5_mT6_P12ihipStream_tbENKUlT_T0_E_clISt17integral_constantIbLb0EEST_IbLb1EEEEDaSP_SQ_EUlSP_E0_NS1_11comp_targetILNS1_3genE10ELNS1_11target_archE1200ELNS1_3gpuE4ELNS1_3repE0EEENS1_30default_config_static_selectorELNS0_4arch9wavefront6targetE1EEEvT1_
	.globl	_ZN7rocprim17ROCPRIM_400000_NS6detail17trampoline_kernelINS0_14default_configENS1_20scan_config_selectorIyEEZZNS1_9scan_implILNS1_25lookback_scan_determinismE0ELb1ELb1ES3_N6thrust23THRUST_200600_302600_NS6detail15normal_iteratorINS9_10device_ptrIyEEEESE_yNS9_4plusIvEEyEEDaPvRmT3_T4_T5_mT6_P12ihipStream_tbENKUlT_T0_E_clISt17integral_constantIbLb0EEST_IbLb1EEEEDaSP_SQ_EUlSP_E0_NS1_11comp_targetILNS1_3genE10ELNS1_11target_archE1200ELNS1_3gpuE4ELNS1_3repE0EEENS1_30default_config_static_selectorELNS0_4arch9wavefront6targetE1EEEvT1_
	.p2align	8
	.type	_ZN7rocprim17ROCPRIM_400000_NS6detail17trampoline_kernelINS0_14default_configENS1_20scan_config_selectorIyEEZZNS1_9scan_implILNS1_25lookback_scan_determinismE0ELb1ELb1ES3_N6thrust23THRUST_200600_302600_NS6detail15normal_iteratorINS9_10device_ptrIyEEEESE_yNS9_4plusIvEEyEEDaPvRmT3_T4_T5_mT6_P12ihipStream_tbENKUlT_T0_E_clISt17integral_constantIbLb0EEST_IbLb1EEEEDaSP_SQ_EUlSP_E0_NS1_11comp_targetILNS1_3genE10ELNS1_11target_archE1200ELNS1_3gpuE4ELNS1_3repE0EEENS1_30default_config_static_selectorELNS0_4arch9wavefront6targetE1EEEvT1_,@function
_ZN7rocprim17ROCPRIM_400000_NS6detail17trampoline_kernelINS0_14default_configENS1_20scan_config_selectorIyEEZZNS1_9scan_implILNS1_25lookback_scan_determinismE0ELb1ELb1ES3_N6thrust23THRUST_200600_302600_NS6detail15normal_iteratorINS9_10device_ptrIyEEEESE_yNS9_4plusIvEEyEEDaPvRmT3_T4_T5_mT6_P12ihipStream_tbENKUlT_T0_E_clISt17integral_constantIbLb0EEST_IbLb1EEEEDaSP_SQ_EUlSP_E0_NS1_11comp_targetILNS1_3genE10ELNS1_11target_archE1200ELNS1_3gpuE4ELNS1_3repE0EEENS1_30default_config_static_selectorELNS0_4arch9wavefront6targetE1EEEvT1_: ; @_ZN7rocprim17ROCPRIM_400000_NS6detail17trampoline_kernelINS0_14default_configENS1_20scan_config_selectorIyEEZZNS1_9scan_implILNS1_25lookback_scan_determinismE0ELb1ELb1ES3_N6thrust23THRUST_200600_302600_NS6detail15normal_iteratorINS9_10device_ptrIyEEEESE_yNS9_4plusIvEEyEEDaPvRmT3_T4_T5_mT6_P12ihipStream_tbENKUlT_T0_E_clISt17integral_constantIbLb0EEST_IbLb1EEEEDaSP_SQ_EUlSP_E0_NS1_11comp_targetILNS1_3genE10ELNS1_11target_archE1200ELNS1_3gpuE4ELNS1_3repE0EEENS1_30default_config_static_selectorELNS0_4arch9wavefront6targetE1EEEvT1_
; %bb.0:
	.section	.rodata,"a",@progbits
	.p2align	6, 0x0
	.amdhsa_kernel _ZN7rocprim17ROCPRIM_400000_NS6detail17trampoline_kernelINS0_14default_configENS1_20scan_config_selectorIyEEZZNS1_9scan_implILNS1_25lookback_scan_determinismE0ELb1ELb1ES3_N6thrust23THRUST_200600_302600_NS6detail15normal_iteratorINS9_10device_ptrIyEEEESE_yNS9_4plusIvEEyEEDaPvRmT3_T4_T5_mT6_P12ihipStream_tbENKUlT_T0_E_clISt17integral_constantIbLb0EEST_IbLb1EEEEDaSP_SQ_EUlSP_E0_NS1_11comp_targetILNS1_3genE10ELNS1_11target_archE1200ELNS1_3gpuE4ELNS1_3repE0EEENS1_30default_config_static_selectorELNS0_4arch9wavefront6targetE1EEEvT1_
		.amdhsa_group_segment_fixed_size 0
		.amdhsa_private_segment_fixed_size 0
		.amdhsa_kernarg_size 40
		.amdhsa_user_sgpr_count 6
		.amdhsa_user_sgpr_private_segment_buffer 1
		.amdhsa_user_sgpr_dispatch_ptr 0
		.amdhsa_user_sgpr_queue_ptr 0
		.amdhsa_user_sgpr_kernarg_segment_ptr 1
		.amdhsa_user_sgpr_dispatch_id 0
		.amdhsa_user_sgpr_flat_scratch_init 0
		.amdhsa_user_sgpr_kernarg_preload_length 0
		.amdhsa_user_sgpr_kernarg_preload_offset 0
		.amdhsa_user_sgpr_private_segment_size 0
		.amdhsa_uses_dynamic_stack 0
		.amdhsa_system_sgpr_private_segment_wavefront_offset 0
		.amdhsa_system_sgpr_workgroup_id_x 1
		.amdhsa_system_sgpr_workgroup_id_y 0
		.amdhsa_system_sgpr_workgroup_id_z 0
		.amdhsa_system_sgpr_workgroup_info 0
		.amdhsa_system_vgpr_workitem_id 0
		.amdhsa_next_free_vgpr 1
		.amdhsa_next_free_sgpr 0
		.amdhsa_accum_offset 4
		.amdhsa_reserve_vcc 0
		.amdhsa_reserve_flat_scratch 0
		.amdhsa_float_round_mode_32 0
		.amdhsa_float_round_mode_16_64 0
		.amdhsa_float_denorm_mode_32 3
		.amdhsa_float_denorm_mode_16_64 3
		.amdhsa_dx10_clamp 1
		.amdhsa_ieee_mode 1
		.amdhsa_fp16_overflow 0
		.amdhsa_tg_split 0
		.amdhsa_exception_fp_ieee_invalid_op 0
		.amdhsa_exception_fp_denorm_src 0
		.amdhsa_exception_fp_ieee_div_zero 0
		.amdhsa_exception_fp_ieee_overflow 0
		.amdhsa_exception_fp_ieee_underflow 0
		.amdhsa_exception_fp_ieee_inexact 0
		.amdhsa_exception_int_div_zero 0
	.end_amdhsa_kernel
	.section	.text._ZN7rocprim17ROCPRIM_400000_NS6detail17trampoline_kernelINS0_14default_configENS1_20scan_config_selectorIyEEZZNS1_9scan_implILNS1_25lookback_scan_determinismE0ELb1ELb1ES3_N6thrust23THRUST_200600_302600_NS6detail15normal_iteratorINS9_10device_ptrIyEEEESE_yNS9_4plusIvEEyEEDaPvRmT3_T4_T5_mT6_P12ihipStream_tbENKUlT_T0_E_clISt17integral_constantIbLb0EEST_IbLb1EEEEDaSP_SQ_EUlSP_E0_NS1_11comp_targetILNS1_3genE10ELNS1_11target_archE1200ELNS1_3gpuE4ELNS1_3repE0EEENS1_30default_config_static_selectorELNS0_4arch9wavefront6targetE1EEEvT1_,"axG",@progbits,_ZN7rocprim17ROCPRIM_400000_NS6detail17trampoline_kernelINS0_14default_configENS1_20scan_config_selectorIyEEZZNS1_9scan_implILNS1_25lookback_scan_determinismE0ELb1ELb1ES3_N6thrust23THRUST_200600_302600_NS6detail15normal_iteratorINS9_10device_ptrIyEEEESE_yNS9_4plusIvEEyEEDaPvRmT3_T4_T5_mT6_P12ihipStream_tbENKUlT_T0_E_clISt17integral_constantIbLb0EEST_IbLb1EEEEDaSP_SQ_EUlSP_E0_NS1_11comp_targetILNS1_3genE10ELNS1_11target_archE1200ELNS1_3gpuE4ELNS1_3repE0EEENS1_30default_config_static_selectorELNS0_4arch9wavefront6targetE1EEEvT1_,comdat
.Lfunc_end4571:
	.size	_ZN7rocprim17ROCPRIM_400000_NS6detail17trampoline_kernelINS0_14default_configENS1_20scan_config_selectorIyEEZZNS1_9scan_implILNS1_25lookback_scan_determinismE0ELb1ELb1ES3_N6thrust23THRUST_200600_302600_NS6detail15normal_iteratorINS9_10device_ptrIyEEEESE_yNS9_4plusIvEEyEEDaPvRmT3_T4_T5_mT6_P12ihipStream_tbENKUlT_T0_E_clISt17integral_constantIbLb0EEST_IbLb1EEEEDaSP_SQ_EUlSP_E0_NS1_11comp_targetILNS1_3genE10ELNS1_11target_archE1200ELNS1_3gpuE4ELNS1_3repE0EEENS1_30default_config_static_selectorELNS0_4arch9wavefront6targetE1EEEvT1_, .Lfunc_end4571-_ZN7rocprim17ROCPRIM_400000_NS6detail17trampoline_kernelINS0_14default_configENS1_20scan_config_selectorIyEEZZNS1_9scan_implILNS1_25lookback_scan_determinismE0ELb1ELb1ES3_N6thrust23THRUST_200600_302600_NS6detail15normal_iteratorINS9_10device_ptrIyEEEESE_yNS9_4plusIvEEyEEDaPvRmT3_T4_T5_mT6_P12ihipStream_tbENKUlT_T0_E_clISt17integral_constantIbLb0EEST_IbLb1EEEEDaSP_SQ_EUlSP_E0_NS1_11comp_targetILNS1_3genE10ELNS1_11target_archE1200ELNS1_3gpuE4ELNS1_3repE0EEENS1_30default_config_static_selectorELNS0_4arch9wavefront6targetE1EEEvT1_
                                        ; -- End function
	.section	.AMDGPU.csdata,"",@progbits
; Kernel info:
; codeLenInByte = 0
; NumSgprs: 4
; NumVgprs: 0
; NumAgprs: 0
; TotalNumVgprs: 0
; ScratchSize: 0
; MemoryBound: 0
; FloatMode: 240
; IeeeMode: 1
; LDSByteSize: 0 bytes/workgroup (compile time only)
; SGPRBlocks: 0
; VGPRBlocks: 0
; NumSGPRsForWavesPerEU: 4
; NumVGPRsForWavesPerEU: 1
; AccumOffset: 4
; Occupancy: 8
; WaveLimiterHint : 0
; COMPUTE_PGM_RSRC2:SCRATCH_EN: 0
; COMPUTE_PGM_RSRC2:USER_SGPR: 6
; COMPUTE_PGM_RSRC2:TRAP_HANDLER: 0
; COMPUTE_PGM_RSRC2:TGID_X_EN: 1
; COMPUTE_PGM_RSRC2:TGID_Y_EN: 0
; COMPUTE_PGM_RSRC2:TGID_Z_EN: 0
; COMPUTE_PGM_RSRC2:TIDIG_COMP_CNT: 0
; COMPUTE_PGM_RSRC3_GFX90A:ACCUM_OFFSET: 0
; COMPUTE_PGM_RSRC3_GFX90A:TG_SPLIT: 0
	.section	.text._ZN7rocprim17ROCPRIM_400000_NS6detail17trampoline_kernelINS0_14default_configENS1_20scan_config_selectorIyEEZZNS1_9scan_implILNS1_25lookback_scan_determinismE0ELb1ELb1ES3_N6thrust23THRUST_200600_302600_NS6detail15normal_iteratorINS9_10device_ptrIyEEEESE_yNS9_4plusIvEEyEEDaPvRmT3_T4_T5_mT6_P12ihipStream_tbENKUlT_T0_E_clISt17integral_constantIbLb0EEST_IbLb1EEEEDaSP_SQ_EUlSP_E0_NS1_11comp_targetILNS1_3genE9ELNS1_11target_archE1100ELNS1_3gpuE3ELNS1_3repE0EEENS1_30default_config_static_selectorELNS0_4arch9wavefront6targetE1EEEvT1_,"axG",@progbits,_ZN7rocprim17ROCPRIM_400000_NS6detail17trampoline_kernelINS0_14default_configENS1_20scan_config_selectorIyEEZZNS1_9scan_implILNS1_25lookback_scan_determinismE0ELb1ELb1ES3_N6thrust23THRUST_200600_302600_NS6detail15normal_iteratorINS9_10device_ptrIyEEEESE_yNS9_4plusIvEEyEEDaPvRmT3_T4_T5_mT6_P12ihipStream_tbENKUlT_T0_E_clISt17integral_constantIbLb0EEST_IbLb1EEEEDaSP_SQ_EUlSP_E0_NS1_11comp_targetILNS1_3genE9ELNS1_11target_archE1100ELNS1_3gpuE3ELNS1_3repE0EEENS1_30default_config_static_selectorELNS0_4arch9wavefront6targetE1EEEvT1_,comdat
	.protected	_ZN7rocprim17ROCPRIM_400000_NS6detail17trampoline_kernelINS0_14default_configENS1_20scan_config_selectorIyEEZZNS1_9scan_implILNS1_25lookback_scan_determinismE0ELb1ELb1ES3_N6thrust23THRUST_200600_302600_NS6detail15normal_iteratorINS9_10device_ptrIyEEEESE_yNS9_4plusIvEEyEEDaPvRmT3_T4_T5_mT6_P12ihipStream_tbENKUlT_T0_E_clISt17integral_constantIbLb0EEST_IbLb1EEEEDaSP_SQ_EUlSP_E0_NS1_11comp_targetILNS1_3genE9ELNS1_11target_archE1100ELNS1_3gpuE3ELNS1_3repE0EEENS1_30default_config_static_selectorELNS0_4arch9wavefront6targetE1EEEvT1_ ; -- Begin function _ZN7rocprim17ROCPRIM_400000_NS6detail17trampoline_kernelINS0_14default_configENS1_20scan_config_selectorIyEEZZNS1_9scan_implILNS1_25lookback_scan_determinismE0ELb1ELb1ES3_N6thrust23THRUST_200600_302600_NS6detail15normal_iteratorINS9_10device_ptrIyEEEESE_yNS9_4plusIvEEyEEDaPvRmT3_T4_T5_mT6_P12ihipStream_tbENKUlT_T0_E_clISt17integral_constantIbLb0EEST_IbLb1EEEEDaSP_SQ_EUlSP_E0_NS1_11comp_targetILNS1_3genE9ELNS1_11target_archE1100ELNS1_3gpuE3ELNS1_3repE0EEENS1_30default_config_static_selectorELNS0_4arch9wavefront6targetE1EEEvT1_
	.globl	_ZN7rocprim17ROCPRIM_400000_NS6detail17trampoline_kernelINS0_14default_configENS1_20scan_config_selectorIyEEZZNS1_9scan_implILNS1_25lookback_scan_determinismE0ELb1ELb1ES3_N6thrust23THRUST_200600_302600_NS6detail15normal_iteratorINS9_10device_ptrIyEEEESE_yNS9_4plusIvEEyEEDaPvRmT3_T4_T5_mT6_P12ihipStream_tbENKUlT_T0_E_clISt17integral_constantIbLb0EEST_IbLb1EEEEDaSP_SQ_EUlSP_E0_NS1_11comp_targetILNS1_3genE9ELNS1_11target_archE1100ELNS1_3gpuE3ELNS1_3repE0EEENS1_30default_config_static_selectorELNS0_4arch9wavefront6targetE1EEEvT1_
	.p2align	8
	.type	_ZN7rocprim17ROCPRIM_400000_NS6detail17trampoline_kernelINS0_14default_configENS1_20scan_config_selectorIyEEZZNS1_9scan_implILNS1_25lookback_scan_determinismE0ELb1ELb1ES3_N6thrust23THRUST_200600_302600_NS6detail15normal_iteratorINS9_10device_ptrIyEEEESE_yNS9_4plusIvEEyEEDaPvRmT3_T4_T5_mT6_P12ihipStream_tbENKUlT_T0_E_clISt17integral_constantIbLb0EEST_IbLb1EEEEDaSP_SQ_EUlSP_E0_NS1_11comp_targetILNS1_3genE9ELNS1_11target_archE1100ELNS1_3gpuE3ELNS1_3repE0EEENS1_30default_config_static_selectorELNS0_4arch9wavefront6targetE1EEEvT1_,@function
_ZN7rocprim17ROCPRIM_400000_NS6detail17trampoline_kernelINS0_14default_configENS1_20scan_config_selectorIyEEZZNS1_9scan_implILNS1_25lookback_scan_determinismE0ELb1ELb1ES3_N6thrust23THRUST_200600_302600_NS6detail15normal_iteratorINS9_10device_ptrIyEEEESE_yNS9_4plusIvEEyEEDaPvRmT3_T4_T5_mT6_P12ihipStream_tbENKUlT_T0_E_clISt17integral_constantIbLb0EEST_IbLb1EEEEDaSP_SQ_EUlSP_E0_NS1_11comp_targetILNS1_3genE9ELNS1_11target_archE1100ELNS1_3gpuE3ELNS1_3repE0EEENS1_30default_config_static_selectorELNS0_4arch9wavefront6targetE1EEEvT1_: ; @_ZN7rocprim17ROCPRIM_400000_NS6detail17trampoline_kernelINS0_14default_configENS1_20scan_config_selectorIyEEZZNS1_9scan_implILNS1_25lookback_scan_determinismE0ELb1ELb1ES3_N6thrust23THRUST_200600_302600_NS6detail15normal_iteratorINS9_10device_ptrIyEEEESE_yNS9_4plusIvEEyEEDaPvRmT3_T4_T5_mT6_P12ihipStream_tbENKUlT_T0_E_clISt17integral_constantIbLb0EEST_IbLb1EEEEDaSP_SQ_EUlSP_E0_NS1_11comp_targetILNS1_3genE9ELNS1_11target_archE1100ELNS1_3gpuE3ELNS1_3repE0EEENS1_30default_config_static_selectorELNS0_4arch9wavefront6targetE1EEEvT1_
; %bb.0:
	.section	.rodata,"a",@progbits
	.p2align	6, 0x0
	.amdhsa_kernel _ZN7rocprim17ROCPRIM_400000_NS6detail17trampoline_kernelINS0_14default_configENS1_20scan_config_selectorIyEEZZNS1_9scan_implILNS1_25lookback_scan_determinismE0ELb1ELb1ES3_N6thrust23THRUST_200600_302600_NS6detail15normal_iteratorINS9_10device_ptrIyEEEESE_yNS9_4plusIvEEyEEDaPvRmT3_T4_T5_mT6_P12ihipStream_tbENKUlT_T0_E_clISt17integral_constantIbLb0EEST_IbLb1EEEEDaSP_SQ_EUlSP_E0_NS1_11comp_targetILNS1_3genE9ELNS1_11target_archE1100ELNS1_3gpuE3ELNS1_3repE0EEENS1_30default_config_static_selectorELNS0_4arch9wavefront6targetE1EEEvT1_
		.amdhsa_group_segment_fixed_size 0
		.amdhsa_private_segment_fixed_size 0
		.amdhsa_kernarg_size 40
		.amdhsa_user_sgpr_count 6
		.amdhsa_user_sgpr_private_segment_buffer 1
		.amdhsa_user_sgpr_dispatch_ptr 0
		.amdhsa_user_sgpr_queue_ptr 0
		.amdhsa_user_sgpr_kernarg_segment_ptr 1
		.amdhsa_user_sgpr_dispatch_id 0
		.amdhsa_user_sgpr_flat_scratch_init 0
		.amdhsa_user_sgpr_kernarg_preload_length 0
		.amdhsa_user_sgpr_kernarg_preload_offset 0
		.amdhsa_user_sgpr_private_segment_size 0
		.amdhsa_uses_dynamic_stack 0
		.amdhsa_system_sgpr_private_segment_wavefront_offset 0
		.amdhsa_system_sgpr_workgroup_id_x 1
		.amdhsa_system_sgpr_workgroup_id_y 0
		.amdhsa_system_sgpr_workgroup_id_z 0
		.amdhsa_system_sgpr_workgroup_info 0
		.amdhsa_system_vgpr_workitem_id 0
		.amdhsa_next_free_vgpr 1
		.amdhsa_next_free_sgpr 0
		.amdhsa_accum_offset 4
		.amdhsa_reserve_vcc 0
		.amdhsa_reserve_flat_scratch 0
		.amdhsa_float_round_mode_32 0
		.amdhsa_float_round_mode_16_64 0
		.amdhsa_float_denorm_mode_32 3
		.amdhsa_float_denorm_mode_16_64 3
		.amdhsa_dx10_clamp 1
		.amdhsa_ieee_mode 1
		.amdhsa_fp16_overflow 0
		.amdhsa_tg_split 0
		.amdhsa_exception_fp_ieee_invalid_op 0
		.amdhsa_exception_fp_denorm_src 0
		.amdhsa_exception_fp_ieee_div_zero 0
		.amdhsa_exception_fp_ieee_overflow 0
		.amdhsa_exception_fp_ieee_underflow 0
		.amdhsa_exception_fp_ieee_inexact 0
		.amdhsa_exception_int_div_zero 0
	.end_amdhsa_kernel
	.section	.text._ZN7rocprim17ROCPRIM_400000_NS6detail17trampoline_kernelINS0_14default_configENS1_20scan_config_selectorIyEEZZNS1_9scan_implILNS1_25lookback_scan_determinismE0ELb1ELb1ES3_N6thrust23THRUST_200600_302600_NS6detail15normal_iteratorINS9_10device_ptrIyEEEESE_yNS9_4plusIvEEyEEDaPvRmT3_T4_T5_mT6_P12ihipStream_tbENKUlT_T0_E_clISt17integral_constantIbLb0EEST_IbLb1EEEEDaSP_SQ_EUlSP_E0_NS1_11comp_targetILNS1_3genE9ELNS1_11target_archE1100ELNS1_3gpuE3ELNS1_3repE0EEENS1_30default_config_static_selectorELNS0_4arch9wavefront6targetE1EEEvT1_,"axG",@progbits,_ZN7rocprim17ROCPRIM_400000_NS6detail17trampoline_kernelINS0_14default_configENS1_20scan_config_selectorIyEEZZNS1_9scan_implILNS1_25lookback_scan_determinismE0ELb1ELb1ES3_N6thrust23THRUST_200600_302600_NS6detail15normal_iteratorINS9_10device_ptrIyEEEESE_yNS9_4plusIvEEyEEDaPvRmT3_T4_T5_mT6_P12ihipStream_tbENKUlT_T0_E_clISt17integral_constantIbLb0EEST_IbLb1EEEEDaSP_SQ_EUlSP_E0_NS1_11comp_targetILNS1_3genE9ELNS1_11target_archE1100ELNS1_3gpuE3ELNS1_3repE0EEENS1_30default_config_static_selectorELNS0_4arch9wavefront6targetE1EEEvT1_,comdat
.Lfunc_end4572:
	.size	_ZN7rocprim17ROCPRIM_400000_NS6detail17trampoline_kernelINS0_14default_configENS1_20scan_config_selectorIyEEZZNS1_9scan_implILNS1_25lookback_scan_determinismE0ELb1ELb1ES3_N6thrust23THRUST_200600_302600_NS6detail15normal_iteratorINS9_10device_ptrIyEEEESE_yNS9_4plusIvEEyEEDaPvRmT3_T4_T5_mT6_P12ihipStream_tbENKUlT_T0_E_clISt17integral_constantIbLb0EEST_IbLb1EEEEDaSP_SQ_EUlSP_E0_NS1_11comp_targetILNS1_3genE9ELNS1_11target_archE1100ELNS1_3gpuE3ELNS1_3repE0EEENS1_30default_config_static_selectorELNS0_4arch9wavefront6targetE1EEEvT1_, .Lfunc_end4572-_ZN7rocprim17ROCPRIM_400000_NS6detail17trampoline_kernelINS0_14default_configENS1_20scan_config_selectorIyEEZZNS1_9scan_implILNS1_25lookback_scan_determinismE0ELb1ELb1ES3_N6thrust23THRUST_200600_302600_NS6detail15normal_iteratorINS9_10device_ptrIyEEEESE_yNS9_4plusIvEEyEEDaPvRmT3_T4_T5_mT6_P12ihipStream_tbENKUlT_T0_E_clISt17integral_constantIbLb0EEST_IbLb1EEEEDaSP_SQ_EUlSP_E0_NS1_11comp_targetILNS1_3genE9ELNS1_11target_archE1100ELNS1_3gpuE3ELNS1_3repE0EEENS1_30default_config_static_selectorELNS0_4arch9wavefront6targetE1EEEvT1_
                                        ; -- End function
	.section	.AMDGPU.csdata,"",@progbits
; Kernel info:
; codeLenInByte = 0
; NumSgprs: 4
; NumVgprs: 0
; NumAgprs: 0
; TotalNumVgprs: 0
; ScratchSize: 0
; MemoryBound: 0
; FloatMode: 240
; IeeeMode: 1
; LDSByteSize: 0 bytes/workgroup (compile time only)
; SGPRBlocks: 0
; VGPRBlocks: 0
; NumSGPRsForWavesPerEU: 4
; NumVGPRsForWavesPerEU: 1
; AccumOffset: 4
; Occupancy: 8
; WaveLimiterHint : 0
; COMPUTE_PGM_RSRC2:SCRATCH_EN: 0
; COMPUTE_PGM_RSRC2:USER_SGPR: 6
; COMPUTE_PGM_RSRC2:TRAP_HANDLER: 0
; COMPUTE_PGM_RSRC2:TGID_X_EN: 1
; COMPUTE_PGM_RSRC2:TGID_Y_EN: 0
; COMPUTE_PGM_RSRC2:TGID_Z_EN: 0
; COMPUTE_PGM_RSRC2:TIDIG_COMP_CNT: 0
; COMPUTE_PGM_RSRC3_GFX90A:ACCUM_OFFSET: 0
; COMPUTE_PGM_RSRC3_GFX90A:TG_SPLIT: 0
	.section	.text._ZN7rocprim17ROCPRIM_400000_NS6detail17trampoline_kernelINS0_14default_configENS1_20scan_config_selectorIyEEZZNS1_9scan_implILNS1_25lookback_scan_determinismE0ELb1ELb1ES3_N6thrust23THRUST_200600_302600_NS6detail15normal_iteratorINS9_10device_ptrIyEEEESE_yNS9_4plusIvEEyEEDaPvRmT3_T4_T5_mT6_P12ihipStream_tbENKUlT_T0_E_clISt17integral_constantIbLb0EEST_IbLb1EEEEDaSP_SQ_EUlSP_E0_NS1_11comp_targetILNS1_3genE8ELNS1_11target_archE1030ELNS1_3gpuE2ELNS1_3repE0EEENS1_30default_config_static_selectorELNS0_4arch9wavefront6targetE1EEEvT1_,"axG",@progbits,_ZN7rocprim17ROCPRIM_400000_NS6detail17trampoline_kernelINS0_14default_configENS1_20scan_config_selectorIyEEZZNS1_9scan_implILNS1_25lookback_scan_determinismE0ELb1ELb1ES3_N6thrust23THRUST_200600_302600_NS6detail15normal_iteratorINS9_10device_ptrIyEEEESE_yNS9_4plusIvEEyEEDaPvRmT3_T4_T5_mT6_P12ihipStream_tbENKUlT_T0_E_clISt17integral_constantIbLb0EEST_IbLb1EEEEDaSP_SQ_EUlSP_E0_NS1_11comp_targetILNS1_3genE8ELNS1_11target_archE1030ELNS1_3gpuE2ELNS1_3repE0EEENS1_30default_config_static_selectorELNS0_4arch9wavefront6targetE1EEEvT1_,comdat
	.protected	_ZN7rocprim17ROCPRIM_400000_NS6detail17trampoline_kernelINS0_14default_configENS1_20scan_config_selectorIyEEZZNS1_9scan_implILNS1_25lookback_scan_determinismE0ELb1ELb1ES3_N6thrust23THRUST_200600_302600_NS6detail15normal_iteratorINS9_10device_ptrIyEEEESE_yNS9_4plusIvEEyEEDaPvRmT3_T4_T5_mT6_P12ihipStream_tbENKUlT_T0_E_clISt17integral_constantIbLb0EEST_IbLb1EEEEDaSP_SQ_EUlSP_E0_NS1_11comp_targetILNS1_3genE8ELNS1_11target_archE1030ELNS1_3gpuE2ELNS1_3repE0EEENS1_30default_config_static_selectorELNS0_4arch9wavefront6targetE1EEEvT1_ ; -- Begin function _ZN7rocprim17ROCPRIM_400000_NS6detail17trampoline_kernelINS0_14default_configENS1_20scan_config_selectorIyEEZZNS1_9scan_implILNS1_25lookback_scan_determinismE0ELb1ELb1ES3_N6thrust23THRUST_200600_302600_NS6detail15normal_iteratorINS9_10device_ptrIyEEEESE_yNS9_4plusIvEEyEEDaPvRmT3_T4_T5_mT6_P12ihipStream_tbENKUlT_T0_E_clISt17integral_constantIbLb0EEST_IbLb1EEEEDaSP_SQ_EUlSP_E0_NS1_11comp_targetILNS1_3genE8ELNS1_11target_archE1030ELNS1_3gpuE2ELNS1_3repE0EEENS1_30default_config_static_selectorELNS0_4arch9wavefront6targetE1EEEvT1_
	.globl	_ZN7rocprim17ROCPRIM_400000_NS6detail17trampoline_kernelINS0_14default_configENS1_20scan_config_selectorIyEEZZNS1_9scan_implILNS1_25lookback_scan_determinismE0ELb1ELb1ES3_N6thrust23THRUST_200600_302600_NS6detail15normal_iteratorINS9_10device_ptrIyEEEESE_yNS9_4plusIvEEyEEDaPvRmT3_T4_T5_mT6_P12ihipStream_tbENKUlT_T0_E_clISt17integral_constantIbLb0EEST_IbLb1EEEEDaSP_SQ_EUlSP_E0_NS1_11comp_targetILNS1_3genE8ELNS1_11target_archE1030ELNS1_3gpuE2ELNS1_3repE0EEENS1_30default_config_static_selectorELNS0_4arch9wavefront6targetE1EEEvT1_
	.p2align	8
	.type	_ZN7rocprim17ROCPRIM_400000_NS6detail17trampoline_kernelINS0_14default_configENS1_20scan_config_selectorIyEEZZNS1_9scan_implILNS1_25lookback_scan_determinismE0ELb1ELb1ES3_N6thrust23THRUST_200600_302600_NS6detail15normal_iteratorINS9_10device_ptrIyEEEESE_yNS9_4plusIvEEyEEDaPvRmT3_T4_T5_mT6_P12ihipStream_tbENKUlT_T0_E_clISt17integral_constantIbLb0EEST_IbLb1EEEEDaSP_SQ_EUlSP_E0_NS1_11comp_targetILNS1_3genE8ELNS1_11target_archE1030ELNS1_3gpuE2ELNS1_3repE0EEENS1_30default_config_static_selectorELNS0_4arch9wavefront6targetE1EEEvT1_,@function
_ZN7rocprim17ROCPRIM_400000_NS6detail17trampoline_kernelINS0_14default_configENS1_20scan_config_selectorIyEEZZNS1_9scan_implILNS1_25lookback_scan_determinismE0ELb1ELb1ES3_N6thrust23THRUST_200600_302600_NS6detail15normal_iteratorINS9_10device_ptrIyEEEESE_yNS9_4plusIvEEyEEDaPvRmT3_T4_T5_mT6_P12ihipStream_tbENKUlT_T0_E_clISt17integral_constantIbLb0EEST_IbLb1EEEEDaSP_SQ_EUlSP_E0_NS1_11comp_targetILNS1_3genE8ELNS1_11target_archE1030ELNS1_3gpuE2ELNS1_3repE0EEENS1_30default_config_static_selectorELNS0_4arch9wavefront6targetE1EEEvT1_: ; @_ZN7rocprim17ROCPRIM_400000_NS6detail17trampoline_kernelINS0_14default_configENS1_20scan_config_selectorIyEEZZNS1_9scan_implILNS1_25lookback_scan_determinismE0ELb1ELb1ES3_N6thrust23THRUST_200600_302600_NS6detail15normal_iteratorINS9_10device_ptrIyEEEESE_yNS9_4plusIvEEyEEDaPvRmT3_T4_T5_mT6_P12ihipStream_tbENKUlT_T0_E_clISt17integral_constantIbLb0EEST_IbLb1EEEEDaSP_SQ_EUlSP_E0_NS1_11comp_targetILNS1_3genE8ELNS1_11target_archE1030ELNS1_3gpuE2ELNS1_3repE0EEENS1_30default_config_static_selectorELNS0_4arch9wavefront6targetE1EEEvT1_
; %bb.0:
	.section	.rodata,"a",@progbits
	.p2align	6, 0x0
	.amdhsa_kernel _ZN7rocprim17ROCPRIM_400000_NS6detail17trampoline_kernelINS0_14default_configENS1_20scan_config_selectorIyEEZZNS1_9scan_implILNS1_25lookback_scan_determinismE0ELb1ELb1ES3_N6thrust23THRUST_200600_302600_NS6detail15normal_iteratorINS9_10device_ptrIyEEEESE_yNS9_4plusIvEEyEEDaPvRmT3_T4_T5_mT6_P12ihipStream_tbENKUlT_T0_E_clISt17integral_constantIbLb0EEST_IbLb1EEEEDaSP_SQ_EUlSP_E0_NS1_11comp_targetILNS1_3genE8ELNS1_11target_archE1030ELNS1_3gpuE2ELNS1_3repE0EEENS1_30default_config_static_selectorELNS0_4arch9wavefront6targetE1EEEvT1_
		.amdhsa_group_segment_fixed_size 0
		.amdhsa_private_segment_fixed_size 0
		.amdhsa_kernarg_size 40
		.amdhsa_user_sgpr_count 6
		.amdhsa_user_sgpr_private_segment_buffer 1
		.amdhsa_user_sgpr_dispatch_ptr 0
		.amdhsa_user_sgpr_queue_ptr 0
		.amdhsa_user_sgpr_kernarg_segment_ptr 1
		.amdhsa_user_sgpr_dispatch_id 0
		.amdhsa_user_sgpr_flat_scratch_init 0
		.amdhsa_user_sgpr_kernarg_preload_length 0
		.amdhsa_user_sgpr_kernarg_preload_offset 0
		.amdhsa_user_sgpr_private_segment_size 0
		.amdhsa_uses_dynamic_stack 0
		.amdhsa_system_sgpr_private_segment_wavefront_offset 0
		.amdhsa_system_sgpr_workgroup_id_x 1
		.amdhsa_system_sgpr_workgroup_id_y 0
		.amdhsa_system_sgpr_workgroup_id_z 0
		.amdhsa_system_sgpr_workgroup_info 0
		.amdhsa_system_vgpr_workitem_id 0
		.amdhsa_next_free_vgpr 1
		.amdhsa_next_free_sgpr 0
		.amdhsa_accum_offset 4
		.amdhsa_reserve_vcc 0
		.amdhsa_reserve_flat_scratch 0
		.amdhsa_float_round_mode_32 0
		.amdhsa_float_round_mode_16_64 0
		.amdhsa_float_denorm_mode_32 3
		.amdhsa_float_denorm_mode_16_64 3
		.amdhsa_dx10_clamp 1
		.amdhsa_ieee_mode 1
		.amdhsa_fp16_overflow 0
		.amdhsa_tg_split 0
		.amdhsa_exception_fp_ieee_invalid_op 0
		.amdhsa_exception_fp_denorm_src 0
		.amdhsa_exception_fp_ieee_div_zero 0
		.amdhsa_exception_fp_ieee_overflow 0
		.amdhsa_exception_fp_ieee_underflow 0
		.amdhsa_exception_fp_ieee_inexact 0
		.amdhsa_exception_int_div_zero 0
	.end_amdhsa_kernel
	.section	.text._ZN7rocprim17ROCPRIM_400000_NS6detail17trampoline_kernelINS0_14default_configENS1_20scan_config_selectorIyEEZZNS1_9scan_implILNS1_25lookback_scan_determinismE0ELb1ELb1ES3_N6thrust23THRUST_200600_302600_NS6detail15normal_iteratorINS9_10device_ptrIyEEEESE_yNS9_4plusIvEEyEEDaPvRmT3_T4_T5_mT6_P12ihipStream_tbENKUlT_T0_E_clISt17integral_constantIbLb0EEST_IbLb1EEEEDaSP_SQ_EUlSP_E0_NS1_11comp_targetILNS1_3genE8ELNS1_11target_archE1030ELNS1_3gpuE2ELNS1_3repE0EEENS1_30default_config_static_selectorELNS0_4arch9wavefront6targetE1EEEvT1_,"axG",@progbits,_ZN7rocprim17ROCPRIM_400000_NS6detail17trampoline_kernelINS0_14default_configENS1_20scan_config_selectorIyEEZZNS1_9scan_implILNS1_25lookback_scan_determinismE0ELb1ELb1ES3_N6thrust23THRUST_200600_302600_NS6detail15normal_iteratorINS9_10device_ptrIyEEEESE_yNS9_4plusIvEEyEEDaPvRmT3_T4_T5_mT6_P12ihipStream_tbENKUlT_T0_E_clISt17integral_constantIbLb0EEST_IbLb1EEEEDaSP_SQ_EUlSP_E0_NS1_11comp_targetILNS1_3genE8ELNS1_11target_archE1030ELNS1_3gpuE2ELNS1_3repE0EEENS1_30default_config_static_selectorELNS0_4arch9wavefront6targetE1EEEvT1_,comdat
.Lfunc_end4573:
	.size	_ZN7rocprim17ROCPRIM_400000_NS6detail17trampoline_kernelINS0_14default_configENS1_20scan_config_selectorIyEEZZNS1_9scan_implILNS1_25lookback_scan_determinismE0ELb1ELb1ES3_N6thrust23THRUST_200600_302600_NS6detail15normal_iteratorINS9_10device_ptrIyEEEESE_yNS9_4plusIvEEyEEDaPvRmT3_T4_T5_mT6_P12ihipStream_tbENKUlT_T0_E_clISt17integral_constantIbLb0EEST_IbLb1EEEEDaSP_SQ_EUlSP_E0_NS1_11comp_targetILNS1_3genE8ELNS1_11target_archE1030ELNS1_3gpuE2ELNS1_3repE0EEENS1_30default_config_static_selectorELNS0_4arch9wavefront6targetE1EEEvT1_, .Lfunc_end4573-_ZN7rocprim17ROCPRIM_400000_NS6detail17trampoline_kernelINS0_14default_configENS1_20scan_config_selectorIyEEZZNS1_9scan_implILNS1_25lookback_scan_determinismE0ELb1ELb1ES3_N6thrust23THRUST_200600_302600_NS6detail15normal_iteratorINS9_10device_ptrIyEEEESE_yNS9_4plusIvEEyEEDaPvRmT3_T4_T5_mT6_P12ihipStream_tbENKUlT_T0_E_clISt17integral_constantIbLb0EEST_IbLb1EEEEDaSP_SQ_EUlSP_E0_NS1_11comp_targetILNS1_3genE8ELNS1_11target_archE1030ELNS1_3gpuE2ELNS1_3repE0EEENS1_30default_config_static_selectorELNS0_4arch9wavefront6targetE1EEEvT1_
                                        ; -- End function
	.section	.AMDGPU.csdata,"",@progbits
; Kernel info:
; codeLenInByte = 0
; NumSgprs: 4
; NumVgprs: 0
; NumAgprs: 0
; TotalNumVgprs: 0
; ScratchSize: 0
; MemoryBound: 0
; FloatMode: 240
; IeeeMode: 1
; LDSByteSize: 0 bytes/workgroup (compile time only)
; SGPRBlocks: 0
; VGPRBlocks: 0
; NumSGPRsForWavesPerEU: 4
; NumVGPRsForWavesPerEU: 1
; AccumOffset: 4
; Occupancy: 8
; WaveLimiterHint : 0
; COMPUTE_PGM_RSRC2:SCRATCH_EN: 0
; COMPUTE_PGM_RSRC2:USER_SGPR: 6
; COMPUTE_PGM_RSRC2:TRAP_HANDLER: 0
; COMPUTE_PGM_RSRC2:TGID_X_EN: 1
; COMPUTE_PGM_RSRC2:TGID_Y_EN: 0
; COMPUTE_PGM_RSRC2:TGID_Z_EN: 0
; COMPUTE_PGM_RSRC2:TIDIG_COMP_CNT: 0
; COMPUTE_PGM_RSRC3_GFX90A:ACCUM_OFFSET: 0
; COMPUTE_PGM_RSRC3_GFX90A:TG_SPLIT: 0
	.section	.text._ZN7rocprim17ROCPRIM_400000_NS6detail17trampoline_kernelINS0_14default_configENS1_20scan_config_selectorIjEEZZNS1_9scan_implILNS1_25lookback_scan_determinismE0ELb0ELb0ES3_N6thrust23THRUST_200600_302600_NS6detail15normal_iteratorINS9_10device_ptrIjEEEESE_jNS9_4plusIvEEjEEDaPvRmT3_T4_T5_mT6_P12ihipStream_tbENKUlT_T0_E_clISt17integral_constantIbLb0EESU_EEDaSP_SQ_EUlSP_E_NS1_11comp_targetILNS1_3genE0ELNS1_11target_archE4294967295ELNS1_3gpuE0ELNS1_3repE0EEENS1_30default_config_static_selectorELNS0_4arch9wavefront6targetE1EEEvT1_,"axG",@progbits,_ZN7rocprim17ROCPRIM_400000_NS6detail17trampoline_kernelINS0_14default_configENS1_20scan_config_selectorIjEEZZNS1_9scan_implILNS1_25lookback_scan_determinismE0ELb0ELb0ES3_N6thrust23THRUST_200600_302600_NS6detail15normal_iteratorINS9_10device_ptrIjEEEESE_jNS9_4plusIvEEjEEDaPvRmT3_T4_T5_mT6_P12ihipStream_tbENKUlT_T0_E_clISt17integral_constantIbLb0EESU_EEDaSP_SQ_EUlSP_E_NS1_11comp_targetILNS1_3genE0ELNS1_11target_archE4294967295ELNS1_3gpuE0ELNS1_3repE0EEENS1_30default_config_static_selectorELNS0_4arch9wavefront6targetE1EEEvT1_,comdat
	.protected	_ZN7rocprim17ROCPRIM_400000_NS6detail17trampoline_kernelINS0_14default_configENS1_20scan_config_selectorIjEEZZNS1_9scan_implILNS1_25lookback_scan_determinismE0ELb0ELb0ES3_N6thrust23THRUST_200600_302600_NS6detail15normal_iteratorINS9_10device_ptrIjEEEESE_jNS9_4plusIvEEjEEDaPvRmT3_T4_T5_mT6_P12ihipStream_tbENKUlT_T0_E_clISt17integral_constantIbLb0EESU_EEDaSP_SQ_EUlSP_E_NS1_11comp_targetILNS1_3genE0ELNS1_11target_archE4294967295ELNS1_3gpuE0ELNS1_3repE0EEENS1_30default_config_static_selectorELNS0_4arch9wavefront6targetE1EEEvT1_ ; -- Begin function _ZN7rocprim17ROCPRIM_400000_NS6detail17trampoline_kernelINS0_14default_configENS1_20scan_config_selectorIjEEZZNS1_9scan_implILNS1_25lookback_scan_determinismE0ELb0ELb0ES3_N6thrust23THRUST_200600_302600_NS6detail15normal_iteratorINS9_10device_ptrIjEEEESE_jNS9_4plusIvEEjEEDaPvRmT3_T4_T5_mT6_P12ihipStream_tbENKUlT_T0_E_clISt17integral_constantIbLb0EESU_EEDaSP_SQ_EUlSP_E_NS1_11comp_targetILNS1_3genE0ELNS1_11target_archE4294967295ELNS1_3gpuE0ELNS1_3repE0EEENS1_30default_config_static_selectorELNS0_4arch9wavefront6targetE1EEEvT1_
	.globl	_ZN7rocprim17ROCPRIM_400000_NS6detail17trampoline_kernelINS0_14default_configENS1_20scan_config_selectorIjEEZZNS1_9scan_implILNS1_25lookback_scan_determinismE0ELb0ELb0ES3_N6thrust23THRUST_200600_302600_NS6detail15normal_iteratorINS9_10device_ptrIjEEEESE_jNS9_4plusIvEEjEEDaPvRmT3_T4_T5_mT6_P12ihipStream_tbENKUlT_T0_E_clISt17integral_constantIbLb0EESU_EEDaSP_SQ_EUlSP_E_NS1_11comp_targetILNS1_3genE0ELNS1_11target_archE4294967295ELNS1_3gpuE0ELNS1_3repE0EEENS1_30default_config_static_selectorELNS0_4arch9wavefront6targetE1EEEvT1_
	.p2align	8
	.type	_ZN7rocprim17ROCPRIM_400000_NS6detail17trampoline_kernelINS0_14default_configENS1_20scan_config_selectorIjEEZZNS1_9scan_implILNS1_25lookback_scan_determinismE0ELb0ELb0ES3_N6thrust23THRUST_200600_302600_NS6detail15normal_iteratorINS9_10device_ptrIjEEEESE_jNS9_4plusIvEEjEEDaPvRmT3_T4_T5_mT6_P12ihipStream_tbENKUlT_T0_E_clISt17integral_constantIbLb0EESU_EEDaSP_SQ_EUlSP_E_NS1_11comp_targetILNS1_3genE0ELNS1_11target_archE4294967295ELNS1_3gpuE0ELNS1_3repE0EEENS1_30default_config_static_selectorELNS0_4arch9wavefront6targetE1EEEvT1_,@function
_ZN7rocprim17ROCPRIM_400000_NS6detail17trampoline_kernelINS0_14default_configENS1_20scan_config_selectorIjEEZZNS1_9scan_implILNS1_25lookback_scan_determinismE0ELb0ELb0ES3_N6thrust23THRUST_200600_302600_NS6detail15normal_iteratorINS9_10device_ptrIjEEEESE_jNS9_4plusIvEEjEEDaPvRmT3_T4_T5_mT6_P12ihipStream_tbENKUlT_T0_E_clISt17integral_constantIbLb0EESU_EEDaSP_SQ_EUlSP_E_NS1_11comp_targetILNS1_3genE0ELNS1_11target_archE4294967295ELNS1_3gpuE0ELNS1_3repE0EEENS1_30default_config_static_selectorELNS0_4arch9wavefront6targetE1EEEvT1_: ; @_ZN7rocprim17ROCPRIM_400000_NS6detail17trampoline_kernelINS0_14default_configENS1_20scan_config_selectorIjEEZZNS1_9scan_implILNS1_25lookback_scan_determinismE0ELb0ELb0ES3_N6thrust23THRUST_200600_302600_NS6detail15normal_iteratorINS9_10device_ptrIjEEEESE_jNS9_4plusIvEEjEEDaPvRmT3_T4_T5_mT6_P12ihipStream_tbENKUlT_T0_E_clISt17integral_constantIbLb0EESU_EEDaSP_SQ_EUlSP_E_NS1_11comp_targetILNS1_3genE0ELNS1_11target_archE4294967295ELNS1_3gpuE0ELNS1_3repE0EEENS1_30default_config_static_selectorELNS0_4arch9wavefront6targetE1EEEvT1_
; %bb.0:
	.section	.rodata,"a",@progbits
	.p2align	6, 0x0
	.amdhsa_kernel _ZN7rocprim17ROCPRIM_400000_NS6detail17trampoline_kernelINS0_14default_configENS1_20scan_config_selectorIjEEZZNS1_9scan_implILNS1_25lookback_scan_determinismE0ELb0ELb0ES3_N6thrust23THRUST_200600_302600_NS6detail15normal_iteratorINS9_10device_ptrIjEEEESE_jNS9_4plusIvEEjEEDaPvRmT3_T4_T5_mT6_P12ihipStream_tbENKUlT_T0_E_clISt17integral_constantIbLb0EESU_EEDaSP_SQ_EUlSP_E_NS1_11comp_targetILNS1_3genE0ELNS1_11target_archE4294967295ELNS1_3gpuE0ELNS1_3repE0EEENS1_30default_config_static_selectorELNS0_4arch9wavefront6targetE1EEEvT1_
		.amdhsa_group_segment_fixed_size 0
		.amdhsa_private_segment_fixed_size 0
		.amdhsa_kernarg_size 96
		.amdhsa_user_sgpr_count 6
		.amdhsa_user_sgpr_private_segment_buffer 1
		.amdhsa_user_sgpr_dispatch_ptr 0
		.amdhsa_user_sgpr_queue_ptr 0
		.amdhsa_user_sgpr_kernarg_segment_ptr 1
		.amdhsa_user_sgpr_dispatch_id 0
		.amdhsa_user_sgpr_flat_scratch_init 0
		.amdhsa_user_sgpr_kernarg_preload_length 0
		.amdhsa_user_sgpr_kernarg_preload_offset 0
		.amdhsa_user_sgpr_private_segment_size 0
		.amdhsa_uses_dynamic_stack 0
		.amdhsa_system_sgpr_private_segment_wavefront_offset 0
		.amdhsa_system_sgpr_workgroup_id_x 1
		.amdhsa_system_sgpr_workgroup_id_y 0
		.amdhsa_system_sgpr_workgroup_id_z 0
		.amdhsa_system_sgpr_workgroup_info 0
		.amdhsa_system_vgpr_workitem_id 0
		.amdhsa_next_free_vgpr 1
		.amdhsa_next_free_sgpr 0
		.amdhsa_accum_offset 4
		.amdhsa_reserve_vcc 0
		.amdhsa_reserve_flat_scratch 0
		.amdhsa_float_round_mode_32 0
		.amdhsa_float_round_mode_16_64 0
		.amdhsa_float_denorm_mode_32 3
		.amdhsa_float_denorm_mode_16_64 3
		.amdhsa_dx10_clamp 1
		.amdhsa_ieee_mode 1
		.amdhsa_fp16_overflow 0
		.amdhsa_tg_split 0
		.amdhsa_exception_fp_ieee_invalid_op 0
		.amdhsa_exception_fp_denorm_src 0
		.amdhsa_exception_fp_ieee_div_zero 0
		.amdhsa_exception_fp_ieee_overflow 0
		.amdhsa_exception_fp_ieee_underflow 0
		.amdhsa_exception_fp_ieee_inexact 0
		.amdhsa_exception_int_div_zero 0
	.end_amdhsa_kernel
	.section	.text._ZN7rocprim17ROCPRIM_400000_NS6detail17trampoline_kernelINS0_14default_configENS1_20scan_config_selectorIjEEZZNS1_9scan_implILNS1_25lookback_scan_determinismE0ELb0ELb0ES3_N6thrust23THRUST_200600_302600_NS6detail15normal_iteratorINS9_10device_ptrIjEEEESE_jNS9_4plusIvEEjEEDaPvRmT3_T4_T5_mT6_P12ihipStream_tbENKUlT_T0_E_clISt17integral_constantIbLb0EESU_EEDaSP_SQ_EUlSP_E_NS1_11comp_targetILNS1_3genE0ELNS1_11target_archE4294967295ELNS1_3gpuE0ELNS1_3repE0EEENS1_30default_config_static_selectorELNS0_4arch9wavefront6targetE1EEEvT1_,"axG",@progbits,_ZN7rocprim17ROCPRIM_400000_NS6detail17trampoline_kernelINS0_14default_configENS1_20scan_config_selectorIjEEZZNS1_9scan_implILNS1_25lookback_scan_determinismE0ELb0ELb0ES3_N6thrust23THRUST_200600_302600_NS6detail15normal_iteratorINS9_10device_ptrIjEEEESE_jNS9_4plusIvEEjEEDaPvRmT3_T4_T5_mT6_P12ihipStream_tbENKUlT_T0_E_clISt17integral_constantIbLb0EESU_EEDaSP_SQ_EUlSP_E_NS1_11comp_targetILNS1_3genE0ELNS1_11target_archE4294967295ELNS1_3gpuE0ELNS1_3repE0EEENS1_30default_config_static_selectorELNS0_4arch9wavefront6targetE1EEEvT1_,comdat
.Lfunc_end4574:
	.size	_ZN7rocprim17ROCPRIM_400000_NS6detail17trampoline_kernelINS0_14default_configENS1_20scan_config_selectorIjEEZZNS1_9scan_implILNS1_25lookback_scan_determinismE0ELb0ELb0ES3_N6thrust23THRUST_200600_302600_NS6detail15normal_iteratorINS9_10device_ptrIjEEEESE_jNS9_4plusIvEEjEEDaPvRmT3_T4_T5_mT6_P12ihipStream_tbENKUlT_T0_E_clISt17integral_constantIbLb0EESU_EEDaSP_SQ_EUlSP_E_NS1_11comp_targetILNS1_3genE0ELNS1_11target_archE4294967295ELNS1_3gpuE0ELNS1_3repE0EEENS1_30default_config_static_selectorELNS0_4arch9wavefront6targetE1EEEvT1_, .Lfunc_end4574-_ZN7rocprim17ROCPRIM_400000_NS6detail17trampoline_kernelINS0_14default_configENS1_20scan_config_selectorIjEEZZNS1_9scan_implILNS1_25lookback_scan_determinismE0ELb0ELb0ES3_N6thrust23THRUST_200600_302600_NS6detail15normal_iteratorINS9_10device_ptrIjEEEESE_jNS9_4plusIvEEjEEDaPvRmT3_T4_T5_mT6_P12ihipStream_tbENKUlT_T0_E_clISt17integral_constantIbLb0EESU_EEDaSP_SQ_EUlSP_E_NS1_11comp_targetILNS1_3genE0ELNS1_11target_archE4294967295ELNS1_3gpuE0ELNS1_3repE0EEENS1_30default_config_static_selectorELNS0_4arch9wavefront6targetE1EEEvT1_
                                        ; -- End function
	.section	.AMDGPU.csdata,"",@progbits
; Kernel info:
; codeLenInByte = 0
; NumSgprs: 4
; NumVgprs: 0
; NumAgprs: 0
; TotalNumVgprs: 0
; ScratchSize: 0
; MemoryBound: 0
; FloatMode: 240
; IeeeMode: 1
; LDSByteSize: 0 bytes/workgroup (compile time only)
; SGPRBlocks: 0
; VGPRBlocks: 0
; NumSGPRsForWavesPerEU: 4
; NumVGPRsForWavesPerEU: 1
; AccumOffset: 4
; Occupancy: 8
; WaveLimiterHint : 0
; COMPUTE_PGM_RSRC2:SCRATCH_EN: 0
; COMPUTE_PGM_RSRC2:USER_SGPR: 6
; COMPUTE_PGM_RSRC2:TRAP_HANDLER: 0
; COMPUTE_PGM_RSRC2:TGID_X_EN: 1
; COMPUTE_PGM_RSRC2:TGID_Y_EN: 0
; COMPUTE_PGM_RSRC2:TGID_Z_EN: 0
; COMPUTE_PGM_RSRC2:TIDIG_COMP_CNT: 0
; COMPUTE_PGM_RSRC3_GFX90A:ACCUM_OFFSET: 0
; COMPUTE_PGM_RSRC3_GFX90A:TG_SPLIT: 0
	.section	.text._ZN7rocprim17ROCPRIM_400000_NS6detail17trampoline_kernelINS0_14default_configENS1_20scan_config_selectorIjEEZZNS1_9scan_implILNS1_25lookback_scan_determinismE0ELb0ELb0ES3_N6thrust23THRUST_200600_302600_NS6detail15normal_iteratorINS9_10device_ptrIjEEEESE_jNS9_4plusIvEEjEEDaPvRmT3_T4_T5_mT6_P12ihipStream_tbENKUlT_T0_E_clISt17integral_constantIbLb0EESU_EEDaSP_SQ_EUlSP_E_NS1_11comp_targetILNS1_3genE5ELNS1_11target_archE942ELNS1_3gpuE9ELNS1_3repE0EEENS1_30default_config_static_selectorELNS0_4arch9wavefront6targetE1EEEvT1_,"axG",@progbits,_ZN7rocprim17ROCPRIM_400000_NS6detail17trampoline_kernelINS0_14default_configENS1_20scan_config_selectorIjEEZZNS1_9scan_implILNS1_25lookback_scan_determinismE0ELb0ELb0ES3_N6thrust23THRUST_200600_302600_NS6detail15normal_iteratorINS9_10device_ptrIjEEEESE_jNS9_4plusIvEEjEEDaPvRmT3_T4_T5_mT6_P12ihipStream_tbENKUlT_T0_E_clISt17integral_constantIbLb0EESU_EEDaSP_SQ_EUlSP_E_NS1_11comp_targetILNS1_3genE5ELNS1_11target_archE942ELNS1_3gpuE9ELNS1_3repE0EEENS1_30default_config_static_selectorELNS0_4arch9wavefront6targetE1EEEvT1_,comdat
	.protected	_ZN7rocprim17ROCPRIM_400000_NS6detail17trampoline_kernelINS0_14default_configENS1_20scan_config_selectorIjEEZZNS1_9scan_implILNS1_25lookback_scan_determinismE0ELb0ELb0ES3_N6thrust23THRUST_200600_302600_NS6detail15normal_iteratorINS9_10device_ptrIjEEEESE_jNS9_4plusIvEEjEEDaPvRmT3_T4_T5_mT6_P12ihipStream_tbENKUlT_T0_E_clISt17integral_constantIbLb0EESU_EEDaSP_SQ_EUlSP_E_NS1_11comp_targetILNS1_3genE5ELNS1_11target_archE942ELNS1_3gpuE9ELNS1_3repE0EEENS1_30default_config_static_selectorELNS0_4arch9wavefront6targetE1EEEvT1_ ; -- Begin function _ZN7rocprim17ROCPRIM_400000_NS6detail17trampoline_kernelINS0_14default_configENS1_20scan_config_selectorIjEEZZNS1_9scan_implILNS1_25lookback_scan_determinismE0ELb0ELb0ES3_N6thrust23THRUST_200600_302600_NS6detail15normal_iteratorINS9_10device_ptrIjEEEESE_jNS9_4plusIvEEjEEDaPvRmT3_T4_T5_mT6_P12ihipStream_tbENKUlT_T0_E_clISt17integral_constantIbLb0EESU_EEDaSP_SQ_EUlSP_E_NS1_11comp_targetILNS1_3genE5ELNS1_11target_archE942ELNS1_3gpuE9ELNS1_3repE0EEENS1_30default_config_static_selectorELNS0_4arch9wavefront6targetE1EEEvT1_
	.globl	_ZN7rocprim17ROCPRIM_400000_NS6detail17trampoline_kernelINS0_14default_configENS1_20scan_config_selectorIjEEZZNS1_9scan_implILNS1_25lookback_scan_determinismE0ELb0ELb0ES3_N6thrust23THRUST_200600_302600_NS6detail15normal_iteratorINS9_10device_ptrIjEEEESE_jNS9_4plusIvEEjEEDaPvRmT3_T4_T5_mT6_P12ihipStream_tbENKUlT_T0_E_clISt17integral_constantIbLb0EESU_EEDaSP_SQ_EUlSP_E_NS1_11comp_targetILNS1_3genE5ELNS1_11target_archE942ELNS1_3gpuE9ELNS1_3repE0EEENS1_30default_config_static_selectorELNS0_4arch9wavefront6targetE1EEEvT1_
	.p2align	8
	.type	_ZN7rocprim17ROCPRIM_400000_NS6detail17trampoline_kernelINS0_14default_configENS1_20scan_config_selectorIjEEZZNS1_9scan_implILNS1_25lookback_scan_determinismE0ELb0ELb0ES3_N6thrust23THRUST_200600_302600_NS6detail15normal_iteratorINS9_10device_ptrIjEEEESE_jNS9_4plusIvEEjEEDaPvRmT3_T4_T5_mT6_P12ihipStream_tbENKUlT_T0_E_clISt17integral_constantIbLb0EESU_EEDaSP_SQ_EUlSP_E_NS1_11comp_targetILNS1_3genE5ELNS1_11target_archE942ELNS1_3gpuE9ELNS1_3repE0EEENS1_30default_config_static_selectorELNS0_4arch9wavefront6targetE1EEEvT1_,@function
_ZN7rocprim17ROCPRIM_400000_NS6detail17trampoline_kernelINS0_14default_configENS1_20scan_config_selectorIjEEZZNS1_9scan_implILNS1_25lookback_scan_determinismE0ELb0ELb0ES3_N6thrust23THRUST_200600_302600_NS6detail15normal_iteratorINS9_10device_ptrIjEEEESE_jNS9_4plusIvEEjEEDaPvRmT3_T4_T5_mT6_P12ihipStream_tbENKUlT_T0_E_clISt17integral_constantIbLb0EESU_EEDaSP_SQ_EUlSP_E_NS1_11comp_targetILNS1_3genE5ELNS1_11target_archE942ELNS1_3gpuE9ELNS1_3repE0EEENS1_30default_config_static_selectorELNS0_4arch9wavefront6targetE1EEEvT1_: ; @_ZN7rocprim17ROCPRIM_400000_NS6detail17trampoline_kernelINS0_14default_configENS1_20scan_config_selectorIjEEZZNS1_9scan_implILNS1_25lookback_scan_determinismE0ELb0ELb0ES3_N6thrust23THRUST_200600_302600_NS6detail15normal_iteratorINS9_10device_ptrIjEEEESE_jNS9_4plusIvEEjEEDaPvRmT3_T4_T5_mT6_P12ihipStream_tbENKUlT_T0_E_clISt17integral_constantIbLb0EESU_EEDaSP_SQ_EUlSP_E_NS1_11comp_targetILNS1_3genE5ELNS1_11target_archE942ELNS1_3gpuE9ELNS1_3repE0EEENS1_30default_config_static_selectorELNS0_4arch9wavefront6targetE1EEEvT1_
; %bb.0:
	.section	.rodata,"a",@progbits
	.p2align	6, 0x0
	.amdhsa_kernel _ZN7rocprim17ROCPRIM_400000_NS6detail17trampoline_kernelINS0_14default_configENS1_20scan_config_selectorIjEEZZNS1_9scan_implILNS1_25lookback_scan_determinismE0ELb0ELb0ES3_N6thrust23THRUST_200600_302600_NS6detail15normal_iteratorINS9_10device_ptrIjEEEESE_jNS9_4plusIvEEjEEDaPvRmT3_T4_T5_mT6_P12ihipStream_tbENKUlT_T0_E_clISt17integral_constantIbLb0EESU_EEDaSP_SQ_EUlSP_E_NS1_11comp_targetILNS1_3genE5ELNS1_11target_archE942ELNS1_3gpuE9ELNS1_3repE0EEENS1_30default_config_static_selectorELNS0_4arch9wavefront6targetE1EEEvT1_
		.amdhsa_group_segment_fixed_size 0
		.amdhsa_private_segment_fixed_size 0
		.amdhsa_kernarg_size 96
		.amdhsa_user_sgpr_count 6
		.amdhsa_user_sgpr_private_segment_buffer 1
		.amdhsa_user_sgpr_dispatch_ptr 0
		.amdhsa_user_sgpr_queue_ptr 0
		.amdhsa_user_sgpr_kernarg_segment_ptr 1
		.amdhsa_user_sgpr_dispatch_id 0
		.amdhsa_user_sgpr_flat_scratch_init 0
		.amdhsa_user_sgpr_kernarg_preload_length 0
		.amdhsa_user_sgpr_kernarg_preload_offset 0
		.amdhsa_user_sgpr_private_segment_size 0
		.amdhsa_uses_dynamic_stack 0
		.amdhsa_system_sgpr_private_segment_wavefront_offset 0
		.amdhsa_system_sgpr_workgroup_id_x 1
		.amdhsa_system_sgpr_workgroup_id_y 0
		.amdhsa_system_sgpr_workgroup_id_z 0
		.amdhsa_system_sgpr_workgroup_info 0
		.amdhsa_system_vgpr_workitem_id 0
		.amdhsa_next_free_vgpr 1
		.amdhsa_next_free_sgpr 0
		.amdhsa_accum_offset 4
		.amdhsa_reserve_vcc 0
		.amdhsa_reserve_flat_scratch 0
		.amdhsa_float_round_mode_32 0
		.amdhsa_float_round_mode_16_64 0
		.amdhsa_float_denorm_mode_32 3
		.amdhsa_float_denorm_mode_16_64 3
		.amdhsa_dx10_clamp 1
		.amdhsa_ieee_mode 1
		.amdhsa_fp16_overflow 0
		.amdhsa_tg_split 0
		.amdhsa_exception_fp_ieee_invalid_op 0
		.amdhsa_exception_fp_denorm_src 0
		.amdhsa_exception_fp_ieee_div_zero 0
		.amdhsa_exception_fp_ieee_overflow 0
		.amdhsa_exception_fp_ieee_underflow 0
		.amdhsa_exception_fp_ieee_inexact 0
		.amdhsa_exception_int_div_zero 0
	.end_amdhsa_kernel
	.section	.text._ZN7rocprim17ROCPRIM_400000_NS6detail17trampoline_kernelINS0_14default_configENS1_20scan_config_selectorIjEEZZNS1_9scan_implILNS1_25lookback_scan_determinismE0ELb0ELb0ES3_N6thrust23THRUST_200600_302600_NS6detail15normal_iteratorINS9_10device_ptrIjEEEESE_jNS9_4plusIvEEjEEDaPvRmT3_T4_T5_mT6_P12ihipStream_tbENKUlT_T0_E_clISt17integral_constantIbLb0EESU_EEDaSP_SQ_EUlSP_E_NS1_11comp_targetILNS1_3genE5ELNS1_11target_archE942ELNS1_3gpuE9ELNS1_3repE0EEENS1_30default_config_static_selectorELNS0_4arch9wavefront6targetE1EEEvT1_,"axG",@progbits,_ZN7rocprim17ROCPRIM_400000_NS6detail17trampoline_kernelINS0_14default_configENS1_20scan_config_selectorIjEEZZNS1_9scan_implILNS1_25lookback_scan_determinismE0ELb0ELb0ES3_N6thrust23THRUST_200600_302600_NS6detail15normal_iteratorINS9_10device_ptrIjEEEESE_jNS9_4plusIvEEjEEDaPvRmT3_T4_T5_mT6_P12ihipStream_tbENKUlT_T0_E_clISt17integral_constantIbLb0EESU_EEDaSP_SQ_EUlSP_E_NS1_11comp_targetILNS1_3genE5ELNS1_11target_archE942ELNS1_3gpuE9ELNS1_3repE0EEENS1_30default_config_static_selectorELNS0_4arch9wavefront6targetE1EEEvT1_,comdat
.Lfunc_end4575:
	.size	_ZN7rocprim17ROCPRIM_400000_NS6detail17trampoline_kernelINS0_14default_configENS1_20scan_config_selectorIjEEZZNS1_9scan_implILNS1_25lookback_scan_determinismE0ELb0ELb0ES3_N6thrust23THRUST_200600_302600_NS6detail15normal_iteratorINS9_10device_ptrIjEEEESE_jNS9_4plusIvEEjEEDaPvRmT3_T4_T5_mT6_P12ihipStream_tbENKUlT_T0_E_clISt17integral_constantIbLb0EESU_EEDaSP_SQ_EUlSP_E_NS1_11comp_targetILNS1_3genE5ELNS1_11target_archE942ELNS1_3gpuE9ELNS1_3repE0EEENS1_30default_config_static_selectorELNS0_4arch9wavefront6targetE1EEEvT1_, .Lfunc_end4575-_ZN7rocprim17ROCPRIM_400000_NS6detail17trampoline_kernelINS0_14default_configENS1_20scan_config_selectorIjEEZZNS1_9scan_implILNS1_25lookback_scan_determinismE0ELb0ELb0ES3_N6thrust23THRUST_200600_302600_NS6detail15normal_iteratorINS9_10device_ptrIjEEEESE_jNS9_4plusIvEEjEEDaPvRmT3_T4_T5_mT6_P12ihipStream_tbENKUlT_T0_E_clISt17integral_constantIbLb0EESU_EEDaSP_SQ_EUlSP_E_NS1_11comp_targetILNS1_3genE5ELNS1_11target_archE942ELNS1_3gpuE9ELNS1_3repE0EEENS1_30default_config_static_selectorELNS0_4arch9wavefront6targetE1EEEvT1_
                                        ; -- End function
	.section	.AMDGPU.csdata,"",@progbits
; Kernel info:
; codeLenInByte = 0
; NumSgprs: 4
; NumVgprs: 0
; NumAgprs: 0
; TotalNumVgprs: 0
; ScratchSize: 0
; MemoryBound: 0
; FloatMode: 240
; IeeeMode: 1
; LDSByteSize: 0 bytes/workgroup (compile time only)
; SGPRBlocks: 0
; VGPRBlocks: 0
; NumSGPRsForWavesPerEU: 4
; NumVGPRsForWavesPerEU: 1
; AccumOffset: 4
; Occupancy: 8
; WaveLimiterHint : 0
; COMPUTE_PGM_RSRC2:SCRATCH_EN: 0
; COMPUTE_PGM_RSRC2:USER_SGPR: 6
; COMPUTE_PGM_RSRC2:TRAP_HANDLER: 0
; COMPUTE_PGM_RSRC2:TGID_X_EN: 1
; COMPUTE_PGM_RSRC2:TGID_Y_EN: 0
; COMPUTE_PGM_RSRC2:TGID_Z_EN: 0
; COMPUTE_PGM_RSRC2:TIDIG_COMP_CNT: 0
; COMPUTE_PGM_RSRC3_GFX90A:ACCUM_OFFSET: 0
; COMPUTE_PGM_RSRC3_GFX90A:TG_SPLIT: 0
	.section	.text._ZN7rocprim17ROCPRIM_400000_NS6detail17trampoline_kernelINS0_14default_configENS1_20scan_config_selectorIjEEZZNS1_9scan_implILNS1_25lookback_scan_determinismE0ELb0ELb0ES3_N6thrust23THRUST_200600_302600_NS6detail15normal_iteratorINS9_10device_ptrIjEEEESE_jNS9_4plusIvEEjEEDaPvRmT3_T4_T5_mT6_P12ihipStream_tbENKUlT_T0_E_clISt17integral_constantIbLb0EESU_EEDaSP_SQ_EUlSP_E_NS1_11comp_targetILNS1_3genE4ELNS1_11target_archE910ELNS1_3gpuE8ELNS1_3repE0EEENS1_30default_config_static_selectorELNS0_4arch9wavefront6targetE1EEEvT1_,"axG",@progbits,_ZN7rocprim17ROCPRIM_400000_NS6detail17trampoline_kernelINS0_14default_configENS1_20scan_config_selectorIjEEZZNS1_9scan_implILNS1_25lookback_scan_determinismE0ELb0ELb0ES3_N6thrust23THRUST_200600_302600_NS6detail15normal_iteratorINS9_10device_ptrIjEEEESE_jNS9_4plusIvEEjEEDaPvRmT3_T4_T5_mT6_P12ihipStream_tbENKUlT_T0_E_clISt17integral_constantIbLb0EESU_EEDaSP_SQ_EUlSP_E_NS1_11comp_targetILNS1_3genE4ELNS1_11target_archE910ELNS1_3gpuE8ELNS1_3repE0EEENS1_30default_config_static_selectorELNS0_4arch9wavefront6targetE1EEEvT1_,comdat
	.protected	_ZN7rocprim17ROCPRIM_400000_NS6detail17trampoline_kernelINS0_14default_configENS1_20scan_config_selectorIjEEZZNS1_9scan_implILNS1_25lookback_scan_determinismE0ELb0ELb0ES3_N6thrust23THRUST_200600_302600_NS6detail15normal_iteratorINS9_10device_ptrIjEEEESE_jNS9_4plusIvEEjEEDaPvRmT3_T4_T5_mT6_P12ihipStream_tbENKUlT_T0_E_clISt17integral_constantIbLb0EESU_EEDaSP_SQ_EUlSP_E_NS1_11comp_targetILNS1_3genE4ELNS1_11target_archE910ELNS1_3gpuE8ELNS1_3repE0EEENS1_30default_config_static_selectorELNS0_4arch9wavefront6targetE1EEEvT1_ ; -- Begin function _ZN7rocprim17ROCPRIM_400000_NS6detail17trampoline_kernelINS0_14default_configENS1_20scan_config_selectorIjEEZZNS1_9scan_implILNS1_25lookback_scan_determinismE0ELb0ELb0ES3_N6thrust23THRUST_200600_302600_NS6detail15normal_iteratorINS9_10device_ptrIjEEEESE_jNS9_4plusIvEEjEEDaPvRmT3_T4_T5_mT6_P12ihipStream_tbENKUlT_T0_E_clISt17integral_constantIbLb0EESU_EEDaSP_SQ_EUlSP_E_NS1_11comp_targetILNS1_3genE4ELNS1_11target_archE910ELNS1_3gpuE8ELNS1_3repE0EEENS1_30default_config_static_selectorELNS0_4arch9wavefront6targetE1EEEvT1_
	.globl	_ZN7rocprim17ROCPRIM_400000_NS6detail17trampoline_kernelINS0_14default_configENS1_20scan_config_selectorIjEEZZNS1_9scan_implILNS1_25lookback_scan_determinismE0ELb0ELb0ES3_N6thrust23THRUST_200600_302600_NS6detail15normal_iteratorINS9_10device_ptrIjEEEESE_jNS9_4plusIvEEjEEDaPvRmT3_T4_T5_mT6_P12ihipStream_tbENKUlT_T0_E_clISt17integral_constantIbLb0EESU_EEDaSP_SQ_EUlSP_E_NS1_11comp_targetILNS1_3genE4ELNS1_11target_archE910ELNS1_3gpuE8ELNS1_3repE0EEENS1_30default_config_static_selectorELNS0_4arch9wavefront6targetE1EEEvT1_
	.p2align	8
	.type	_ZN7rocprim17ROCPRIM_400000_NS6detail17trampoline_kernelINS0_14default_configENS1_20scan_config_selectorIjEEZZNS1_9scan_implILNS1_25lookback_scan_determinismE0ELb0ELb0ES3_N6thrust23THRUST_200600_302600_NS6detail15normal_iteratorINS9_10device_ptrIjEEEESE_jNS9_4plusIvEEjEEDaPvRmT3_T4_T5_mT6_P12ihipStream_tbENKUlT_T0_E_clISt17integral_constantIbLb0EESU_EEDaSP_SQ_EUlSP_E_NS1_11comp_targetILNS1_3genE4ELNS1_11target_archE910ELNS1_3gpuE8ELNS1_3repE0EEENS1_30default_config_static_selectorELNS0_4arch9wavefront6targetE1EEEvT1_,@function
_ZN7rocprim17ROCPRIM_400000_NS6detail17trampoline_kernelINS0_14default_configENS1_20scan_config_selectorIjEEZZNS1_9scan_implILNS1_25lookback_scan_determinismE0ELb0ELb0ES3_N6thrust23THRUST_200600_302600_NS6detail15normal_iteratorINS9_10device_ptrIjEEEESE_jNS9_4plusIvEEjEEDaPvRmT3_T4_T5_mT6_P12ihipStream_tbENKUlT_T0_E_clISt17integral_constantIbLb0EESU_EEDaSP_SQ_EUlSP_E_NS1_11comp_targetILNS1_3genE4ELNS1_11target_archE910ELNS1_3gpuE8ELNS1_3repE0EEENS1_30default_config_static_selectorELNS0_4arch9wavefront6targetE1EEEvT1_: ; @_ZN7rocprim17ROCPRIM_400000_NS6detail17trampoline_kernelINS0_14default_configENS1_20scan_config_selectorIjEEZZNS1_9scan_implILNS1_25lookback_scan_determinismE0ELb0ELb0ES3_N6thrust23THRUST_200600_302600_NS6detail15normal_iteratorINS9_10device_ptrIjEEEESE_jNS9_4plusIvEEjEEDaPvRmT3_T4_T5_mT6_P12ihipStream_tbENKUlT_T0_E_clISt17integral_constantIbLb0EESU_EEDaSP_SQ_EUlSP_E_NS1_11comp_targetILNS1_3genE4ELNS1_11target_archE910ELNS1_3gpuE8ELNS1_3repE0EEENS1_30default_config_static_selectorELNS0_4arch9wavefront6targetE1EEEvT1_
; %bb.0:
	s_load_dwordx8 s[8:15], s[4:5], 0x0
	s_load_dword s1, s[4:5], 0x30
	s_mul_i32 s0, s6, 0x500
	v_lshlrev_b32_e32 v22, 2, v0
	s_waitcnt lgkmcnt(0)
	s_lshl_b64 s[16:17], s[10:11], 2
	s_add_u32 s2, s8, s16
	s_addc_u32 s3, s9, s17
	s_add_i32 s7, s1, -1
	s_mul_i32 s8, s7, 0x500
	s_sub_u32 s24, s14, s8
	s_subb_u32 s25, s15, 0
	s_mov_b32 s1, 0
	s_cmp_lg_u32 s6, s7
	s_cselect_b64 s[14:15], -1, 0
	s_lshl_b64 s[18:19], s[0:1], 2
	s_add_u32 s2, s2, s18
	s_addc_u32 s3, s3, s19
	s_mov_b64 s[0:1], -1
	s_and_b64 vcc, exec, s[14:15]
	s_cbranch_vccz .LBB4576_2
; %bb.1:
	v_mov_b32_e32 v1, s3
	v_add_co_u32_e32 v2, vcc, s2, v22
	v_addc_co_u32_e32 v3, vcc, 0, v1, vcc
	flat_load_dword v1, v[2:3]
	flat_load_dword v4, v[2:3] offset:512
	flat_load_dword v5, v[2:3] offset:1024
	;; [unrolled: 1-line block ×7, first 2 shown]
	v_add_co_u32_e32 v2, vcc, 0x1000, v2
	v_addc_co_u32_e32 v3, vcc, 0, v3, vcc
	flat_load_dword v11, v[2:3]
	flat_load_dword v12, v[2:3] offset:512
	s_mov_b64 s[0:1], 0
	s_waitcnt vmcnt(0) lgkmcnt(0)
	ds_write2st64_b32 v22, v1, v4 offset1:2
	ds_write2st64_b32 v22, v5, v6 offset0:4 offset1:6
	ds_write2st64_b32 v22, v7, v8 offset0:8 offset1:10
	;; [unrolled: 1-line block ×4, first 2 shown]
	s_waitcnt lgkmcnt(0)
	s_barrier
.LBB4576_2:
	s_load_dwordx2 s[20:21], s[4:5], 0x28
	s_andn2_b64 vcc, exec, s[0:1]
	v_cmp_gt_u32_e64 s[0:1], s24, v0
	s_cbranch_vccnz .LBB4576_24
; %bb.3:
	v_pk_mov_b32 v[2:3], s[2:3], s[2:3] op_sel:[0,1]
	flat_load_dword v1, v[2:3]
	s_waitcnt vmcnt(0) lgkmcnt(0)
	v_mov_b32_e32 v2, v1
	v_mov_b32_e32 v3, v1
	;; [unrolled: 1-line block ×9, first 2 shown]
	s_and_saveexec_b64 s[8:9], s[0:1]
	s_cbranch_execz .LBB4576_5
; %bb.4:
	v_mov_b32_e32 v11, s3
	v_add_co_u32_e32 v10, vcc, s2, v22
	v_addc_co_u32_e32 v11, vcc, 0, v11, vcc
	flat_load_dword v10, v[10:11]
.LBB4576_5:
	s_or_b64 exec, exec, s[8:9]
	v_or_b32_e32 v11, 0x80, v0
	v_cmp_gt_u32_e32 vcc, s24, v11
	s_and_saveexec_b64 s[0:1], vcc
	s_cbranch_execz .LBB4576_7
; %bb.6:
	v_mov_b32_e32 v1, s3
	v_add_co_u32_e32 v12, vcc, s2, v22
	v_addc_co_u32_e32 v13, vcc, 0, v1, vcc
	flat_load_dword v1, v[12:13] offset:512
.LBB4576_7:
	s_or_b64 exec, exec, s[0:1]
	v_or_b32_e32 v11, 0x100, v0
	v_cmp_gt_u32_e32 vcc, s24, v11
	s_and_saveexec_b64 s[0:1], vcc
	s_cbranch_execz .LBB4576_9
; %bb.8:
	v_mov_b32_e32 v2, s3
	v_add_co_u32_e32 v12, vcc, s2, v22
	v_addc_co_u32_e32 v13, vcc, 0, v2, vcc
	flat_load_dword v2, v[12:13] offset:1024
.LBB4576_9:
	;; [unrolled: 11-line block ×7, first 2 shown]
	s_or_b64 exec, exec, s[0:1]
	v_or_b32_e32 v11, 0x400, v0
	v_cmp_gt_u32_e32 vcc, s24, v11
	s_and_saveexec_b64 s[0:1], vcc
	s_cbranch_execz .LBB4576_21
; %bb.20:
	v_lshlrev_b32_e32 v8, 2, v11
	v_mov_b32_e32 v11, s3
	v_add_co_u32_e32 v12, vcc, s2, v8
	v_addc_co_u32_e32 v13, vcc, 0, v11, vcc
	flat_load_dword v8, v[12:13]
.LBB4576_21:
	s_or_b64 exec, exec, s[0:1]
	v_or_b32_e32 v11, 0x480, v0
	v_cmp_gt_u32_e32 vcc, s24, v11
	s_and_saveexec_b64 s[0:1], vcc
	s_cbranch_execz .LBB4576_23
; %bb.22:
	v_lshlrev_b32_e32 v9, 2, v11
	v_mov_b32_e32 v11, s3
	v_add_co_u32_e32 v12, vcc, s2, v9
	v_addc_co_u32_e32 v13, vcc, 0, v11, vcc
	flat_load_dword v9, v[12:13]
.LBB4576_23:
	s_or_b64 exec, exec, s[0:1]
	s_waitcnt vmcnt(0) lgkmcnt(0)
	ds_write2st64_b32 v22, v10, v1 offset1:2
	ds_write2st64_b32 v22, v2, v3 offset0:4 offset1:6
	ds_write2st64_b32 v22, v4, v5 offset0:8 offset1:10
	ds_write2st64_b32 v22, v6, v7 offset0:12 offset1:14
	ds_write2st64_b32 v22, v8, v9 offset0:16 offset1:18
	s_waitcnt lgkmcnt(0)
	s_barrier
.LBB4576_24:
	v_mul_u32_u24_e32 v23, 10, v0
	v_lshlrev_b32_e32 v1, 2, v23
	s_waitcnt lgkmcnt(0)
	ds_read2_b64 v[2:5], v1 offset1:1
	ds_read2_b64 v[16:19], v1 offset0:2 offset1:3
	ds_read_b64 v[20:21], v1 offset:32
	s_cmp_lg_u32 s6, 0
	v_lshrrev_b32_e32 v24, 5, v0
	v_cmp_gt_u32_e32 vcc, 64, v0
	s_waitcnt lgkmcnt(0)
	s_barrier
	s_cbranch_scc0 .LBB4576_49
; %bb.25:
	v_add_u32_e32 v6, v3, v2
	v_add3_u32 v6, v6, v4, v5
	v_add3_u32 v6, v6, v16, v17
	;; [unrolled: 1-line block ×4, first 2 shown]
	v_add_lshl_u32 v7, v24, v0, 2
	ds_write_b32 v7, v6
	s_waitcnt lgkmcnt(0)
	s_barrier
	s_and_saveexec_b64 s[2:3], vcc
	s_cbranch_execz .LBB4576_27
; %bb.26:
	v_lshlrev_b32_e32 v7, 1, v0
	v_lshrrev_b32_e32 v8, 4, v0
	v_add_lshl_u32 v7, v8, v7, 2
	ds_read2_b32 v[8:9], v7 offset1:1
	v_mbcnt_lo_u32_b32 v10, -1, 0
	v_mbcnt_hi_u32_b32 v10, -1, v10
	v_and_b32_e32 v11, 15, v10
	v_cmp_ne_u32_e64 s[0:1], 0, v11
	s_waitcnt lgkmcnt(0)
	v_add_u32_e32 v9, v9, v8
	; wave barrier
	s_nop 1
	v_mov_b32_dpp v12, v9 row_shr:1 row_mask:0xf bank_mask:0xf
	v_cndmask_b32_e64 v12, 0, v12, s[0:1]
	v_add_u32_e32 v9, v12, v9
	v_cmp_lt_u32_e64 s[0:1], 1, v11
	s_nop 0
	v_mov_b32_dpp v12, v9 row_shr:2 row_mask:0xf bank_mask:0xf
	v_cndmask_b32_e64 v12, 0, v12, s[0:1]
	v_add_u32_e32 v9, v9, v12
	v_cmp_lt_u32_e64 s[0:1], 3, v11
	;; [unrolled: 5-line block ×3, first 2 shown]
	s_nop 0
	v_mov_b32_dpp v12, v9 row_shr:8 row_mask:0xf bank_mask:0xf
	v_cndmask_b32_e64 v11, 0, v12, s[0:1]
	v_add_u32_e32 v9, v9, v11
	v_bfe_i32 v12, v10, 4, 1
	v_cmp_lt_u32_e64 s[0:1], 31, v10
	v_mov_b32_dpp v11, v9 row_bcast:15 row_mask:0xf bank_mask:0xf
	v_and_b32_e32 v11, v12, v11
	v_add_u32_e32 v9, v9, v11
	v_and_b32_e32 v12, 64, v10
	s_nop 0
	v_mov_b32_dpp v11, v9 row_bcast:31 row_mask:0xf bank_mask:0xf
	v_cndmask_b32_e64 v11, 0, v11, s[0:1]
	v_add_u32_e32 v9, v9, v11
	v_add_u32_e32 v11, -1, v10
	v_cmp_lt_i32_e64 s[0:1], v11, v12
	v_cndmask_b32_e64 v10, v11, v10, s[0:1]
	v_lshlrev_b32_e32 v10, 2, v10
	ds_bpermute_b32 v9, v10, v9
	v_cmp_eq_u32_e64 s[0:1], 0, v0
	s_waitcnt lgkmcnt(0)
	v_add_u32_e32 v8, v9, v8
	v_cndmask_b32_e64 v6, v8, v6, s[0:1]
	ds_write_b32 v7, v6
	; wave barrier
	ds_read_b32 v8, v7 offset:4
	s_waitcnt lgkmcnt(0)
	v_add_u32_e32 v6, v8, v6
	ds_write_b32 v7, v6 offset:4
.LBB4576_27:
	s_or_b64 exec, exec, s[2:3]
	v_cmp_eq_u32_e64 s[0:1], 0, v0
	v_cmp_ne_u32_e64 s[2:3], 0, v0
	v_mov_b32_e32 v25, 0
	s_waitcnt lgkmcnt(0)
	s_barrier
	s_and_saveexec_b64 s[8:9], s[2:3]
	s_cbranch_execz .LBB4576_29
; %bb.28:
	v_add_u32_e32 v6, -1, v0
	v_lshrrev_b32_e32 v7, 5, v6
	v_add_lshl_u32 v6, v7, v6, 2
	ds_read_b32 v25, v6
.LBB4576_29:
	s_or_b64 exec, exec, s[8:9]
	s_and_saveexec_b64 s[8:9], vcc
	s_cbranch_execz .LBB4576_48
; %bb.30:
	v_mov_b32_e32 v13, 0
	ds_read_b32 v6, v13 offset:520
	v_mbcnt_lo_u32_b32 v7, -1, 0
	v_mbcnt_hi_u32_b32 v9, -1, v7
	s_mov_b32 s23, 0
	v_cmp_eq_u32_e64 s[2:3], 0, v9
	s_and_saveexec_b64 s[10:11], s[2:3]
	s_cbranch_execz .LBB4576_32
; %bb.31:
	s_add_i32 s22, s6, 64
	s_lshl_b64 s[22:23], s[22:23], 3
	s_add_u32 s22, s20, s22
	v_mov_b32_e32 v7, 1
	s_addc_u32 s23, s21, s23
	s_waitcnt lgkmcnt(0)
	global_store_dwordx2 v13, v[6:7], s[22:23]
.LBB4576_32:
	s_or_b64 exec, exec, s[10:11]
	v_xad_u32 v8, v9, -1, s6
	v_add_u32_e32 v12, 64, v8
	v_lshlrev_b64 v[10:11], 3, v[12:13]
	v_mov_b32_e32 v7, s21
	v_add_co_u32_e32 v14, vcc, s20, v10
	v_addc_co_u32_e32 v15, vcc, v7, v11, vcc
	global_load_dwordx2 v[10:11], v[14:15], off glc
	s_waitcnt vmcnt(0)
	v_cmp_eq_u16_sdwa s[22:23], v11, v13 src0_sel:BYTE_0 src1_sel:DWORD
	s_and_saveexec_b64 s[10:11], s[22:23]
	s_cbranch_execz .LBB4576_36
; %bb.33:
	s_mov_b64 s[22:23], 0
	v_mov_b32_e32 v7, 0
.LBB4576_34:                            ; =>This Inner Loop Header: Depth=1
	global_load_dwordx2 v[10:11], v[14:15], off glc
	s_waitcnt vmcnt(0)
	v_cmp_ne_u16_sdwa s[26:27], v11, v7 src0_sel:BYTE_0 src1_sel:DWORD
	s_or_b64 s[22:23], s[26:27], s[22:23]
	s_andn2_b64 exec, exec, s[22:23]
	s_cbranch_execnz .LBB4576_34
; %bb.35:
	s_or_b64 exec, exec, s[22:23]
.LBB4576_36:
	s_or_b64 exec, exec, s[10:11]
	v_and_b32_e32 v26, 63, v9
	v_mov_b32_e32 v7, 2
	v_cmp_ne_u32_e32 vcc, 63, v26
	v_cmp_eq_u16_sdwa s[10:11], v11, v7 src0_sel:BYTE_0 src1_sel:DWORD
	v_lshlrev_b64 v[12:13], v9, -1
	v_addc_co_u32_e32 v27, vcc, 0, v9, vcc
	v_and_b32_e32 v14, s11, v13
	v_lshlrev_b32_e32 v27, 2, v27
	v_or_b32_e32 v14, 0x80000000, v14
	ds_bpermute_b32 v28, v27, v10
	v_and_b32_e32 v15, s10, v12
	v_ffbl_b32_e32 v14, v14
	v_add_u32_e32 v14, 32, v14
	v_ffbl_b32_e32 v15, v15
	v_min_u32_e32 v14, v15, v14
	v_cmp_lt_u32_e32 vcc, v26, v14
	s_waitcnt lgkmcnt(0)
	v_cndmask_b32_e32 v15, 0, v28, vcc
	v_cmp_gt_u32_e32 vcc, 62, v26
	v_add_u32_e32 v10, v15, v10
	v_cndmask_b32_e64 v15, 0, 1, vcc
	v_lshlrev_b32_e32 v15, 1, v15
	v_add_lshl_u32 v28, v15, v9, 2
	ds_bpermute_b32 v15, v28, v10
	v_add_u32_e32 v29, 2, v26
	v_cmp_le_u32_e32 vcc, v29, v14
	v_add_u32_e32 v31, 4, v26
	v_add_u32_e32 v33, 8, v26
	s_waitcnt lgkmcnt(0)
	v_cndmask_b32_e32 v15, 0, v15, vcc
	v_cmp_gt_u32_e32 vcc, 60, v26
	v_add_u32_e32 v10, v10, v15
	v_cndmask_b32_e64 v15, 0, 1, vcc
	v_lshlrev_b32_e32 v15, 2, v15
	v_add_lshl_u32 v30, v15, v9, 2
	ds_bpermute_b32 v15, v30, v10
	v_cmp_le_u32_e32 vcc, v31, v14
	v_add_u32_e32 v36, 16, v26
	v_add_u32_e32 v38, 32, v26
	s_waitcnt lgkmcnt(0)
	v_cndmask_b32_e32 v15, 0, v15, vcc
	v_cmp_gt_u32_e32 vcc, 56, v26
	v_add_u32_e32 v10, v10, v15
	v_cndmask_b32_e64 v15, 0, 1, vcc
	v_lshlrev_b32_e32 v15, 3, v15
	v_add_lshl_u32 v32, v15, v9, 2
	ds_bpermute_b32 v15, v32, v10
	v_cmp_le_u32_e32 vcc, v33, v14
	s_waitcnt lgkmcnt(0)
	v_cndmask_b32_e32 v15, 0, v15, vcc
	v_cmp_gt_u32_e32 vcc, 48, v26
	v_add_u32_e32 v10, v10, v15
	v_cndmask_b32_e64 v15, 0, 1, vcc
	v_lshlrev_b32_e32 v15, 4, v15
	v_add_lshl_u32 v35, v15, v9, 2
	ds_bpermute_b32 v15, v35, v10
	v_cmp_le_u32_e32 vcc, v36, v14
	;; [unrolled: 9-line block ×3, first 2 shown]
	s_waitcnt lgkmcnt(0)
	v_cndmask_b32_e32 v9, 0, v9, vcc
	v_add_u32_e32 v10, v10, v9
	v_mov_b32_e32 v9, 0
	s_branch .LBB4576_38
.LBB4576_37:                            ;   in Loop: Header=BB4576_38 Depth=1
	s_or_b64 exec, exec, s[10:11]
	v_cmp_eq_u16_sdwa s[10:11], v11, v7 src0_sel:BYTE_0 src1_sel:DWORD
	v_and_b32_e32 v14, s11, v13
	v_or_b32_e32 v14, 0x80000000, v14
	ds_bpermute_b32 v39, v27, v10
	v_and_b32_e32 v15, s10, v12
	v_ffbl_b32_e32 v14, v14
	v_add_u32_e32 v14, 32, v14
	v_ffbl_b32_e32 v15, v15
	v_min_u32_e32 v14, v15, v14
	v_cmp_lt_u32_e32 vcc, v26, v14
	s_waitcnt lgkmcnt(0)
	v_cndmask_b32_e32 v15, 0, v39, vcc
	v_add_u32_e32 v10, v15, v10
	ds_bpermute_b32 v15, v28, v10
	v_cmp_le_u32_e32 vcc, v29, v14
	v_subrev_u32_e32 v8, 64, v8
	s_waitcnt lgkmcnt(0)
	v_cndmask_b32_e32 v15, 0, v15, vcc
	v_add_u32_e32 v10, v10, v15
	ds_bpermute_b32 v15, v30, v10
	v_cmp_le_u32_e32 vcc, v31, v14
	s_waitcnt lgkmcnt(0)
	v_cndmask_b32_e32 v15, 0, v15, vcc
	v_add_u32_e32 v10, v10, v15
	ds_bpermute_b32 v15, v32, v10
	v_cmp_le_u32_e32 vcc, v33, v14
	;; [unrolled: 5-line block ×4, first 2 shown]
	s_waitcnt lgkmcnt(0)
	v_cndmask_b32_e32 v14, 0, v15, vcc
	v_add3_u32 v10, v14, v34, v10
.LBB4576_38:                            ; =>This Loop Header: Depth=1
                                        ;     Child Loop BB4576_41 Depth 2
	v_cmp_ne_u16_sdwa s[10:11], v11, v7 src0_sel:BYTE_0 src1_sel:DWORD
	v_cndmask_b32_e64 v11, 0, 1, s[10:11]
	;;#ASMSTART
	;;#ASMEND
	v_cmp_ne_u32_e32 vcc, 0, v11
	s_cmp_lg_u64 vcc, exec
	v_mov_b32_e32 v34, v10
	s_cbranch_scc1 .LBB4576_43
; %bb.39:                               ;   in Loop: Header=BB4576_38 Depth=1
	v_lshlrev_b64 v[10:11], 3, v[8:9]
	v_mov_b32_e32 v15, s21
	v_add_co_u32_e32 v14, vcc, s20, v10
	v_addc_co_u32_e32 v15, vcc, v15, v11, vcc
	global_load_dwordx2 v[10:11], v[14:15], off glc
	s_waitcnt vmcnt(0)
	v_cmp_eq_u16_sdwa s[22:23], v11, v9 src0_sel:BYTE_0 src1_sel:DWORD
	s_and_saveexec_b64 s[10:11], s[22:23]
	s_cbranch_execz .LBB4576_37
; %bb.40:                               ;   in Loop: Header=BB4576_38 Depth=1
	s_mov_b64 s[22:23], 0
.LBB4576_41:                            ;   Parent Loop BB4576_38 Depth=1
                                        ; =>  This Inner Loop Header: Depth=2
	global_load_dwordx2 v[10:11], v[14:15], off glc
	s_waitcnt vmcnt(0)
	v_cmp_ne_u16_sdwa s[26:27], v11, v9 src0_sel:BYTE_0 src1_sel:DWORD
	s_or_b64 s[22:23], s[26:27], s[22:23]
	s_andn2_b64 exec, exec, s[22:23]
	s_cbranch_execnz .LBB4576_41
; %bb.42:                               ;   in Loop: Header=BB4576_38 Depth=1
	s_or_b64 exec, exec, s[22:23]
	s_branch .LBB4576_37
.LBB4576_43:                            ;   in Loop: Header=BB4576_38 Depth=1
                                        ; implicit-def: $vgpr10
                                        ; implicit-def: $vgpr11
	s_cbranch_execz .LBB4576_38
; %bb.44:
	s_and_saveexec_b64 s[10:11], s[2:3]
	s_cbranch_execz .LBB4576_46
; %bb.45:
	s_add_i32 s2, s6, 64
	s_mov_b32 s3, 0
	s_lshl_b64 s[2:3], s[2:3], 3
	s_add_u32 s2, s20, s2
	v_add_u32_e32 v6, v34, v6
	v_mov_b32_e32 v7, 2
	s_addc_u32 s3, s21, s3
	v_mov_b32_e32 v8, 0
	global_store_dwordx2 v8, v[6:7], s[2:3]
.LBB4576_46:
	s_or_b64 exec, exec, s[10:11]
	s_and_b64 exec, exec, s[0:1]
	s_cbranch_execz .LBB4576_48
; %bb.47:
	v_mov_b32_e32 v6, 0
	ds_write_b32 v6, v34
.LBB4576_48:
	s_or_b64 exec, exec, s[8:9]
	v_mov_b32_e32 v6, 0
	s_waitcnt lgkmcnt(0)
	s_barrier
	ds_read_b32 v6, v6
	s_waitcnt lgkmcnt(0)
	v_add3_u32 v6, v25, v2, v6
	v_add_u32_e32 v7, v6, v3
	v_add_u32_e32 v8, v7, v4
	;; [unrolled: 1-line block ×9, first 2 shown]
	s_load_dwordx8 s[4:11], s[4:5], 0x38
	s_branch .LBB4576_61
.LBB4576_49:
                                        ; implicit-def: $vgpr6_vgpr7_vgpr8_vgpr9_vgpr10_vgpr11_vgpr12_vgpr13_vgpr14_vgpr15
	s_load_dwordx8 s[4:11], s[4:5], 0x38
	s_cbranch_execz .LBB4576_61
; %bb.50:
	s_waitcnt lgkmcnt(0)
	s_cmp_lg_u64 s[8:9], 0
	s_cselect_b64 s[2:3], -1, 0
	v_cmp_eq_u32_e64 s[0:1], 0, v0
	v_cmp_ne_u32_e32 vcc, 0, v0
	s_and_b64 s[8:9], s[0:1], s[2:3]
	v_mov_b32_e32 v12, v3
	v_mov_b32_e32 v13, v4
	;; [unrolled: 1-line block ×3, first 2 shown]
	s_and_saveexec_b64 s[2:3], s[8:9]
	s_cbranch_execz .LBB4576_52
; %bb.51:
	v_mov_b32_e32 v6, 0
	global_load_dword v6, v6, s[4:5]
	v_mov_b32_e32 v12, v3
	v_mov_b32_e32 v13, v4
	;; [unrolled: 1-line block ×3, first 2 shown]
	s_waitcnt vmcnt(0)
	v_add_u32_e32 v2, v6, v2
.LBB4576_52:
	s_or_b64 exec, exec, s[2:3]
	v_add_u32_e32 v3, v12, v2
	v_add_u32_e32 v4, v3, v13
	;; [unrolled: 1-line block ×9, first 2 shown]
	v_add_lshl_u32 v15, v24, v0, 2
	v_cmp_gt_u32_e64 s[2:3], 64, v0
	ds_write_b32 v15, v11
	s_waitcnt lgkmcnt(0)
	s_barrier
	s_and_saveexec_b64 s[4:5], s[2:3]
	s_cbranch_execz .LBB4576_54
; %bb.53:
	v_lshlrev_b32_e32 v15, 1, v0
	v_lshrrev_b32_e32 v24, 4, v0
	v_add_lshl_u32 v15, v24, v15, 2
	ds_read2_b32 v[24:25], v15 offset1:1
	v_mbcnt_lo_u32_b32 v26, -1, 0
	v_mbcnt_hi_u32_b32 v26, -1, v26
	v_and_b32_e32 v27, 15, v26
	v_cmp_ne_u32_e64 s[2:3], 0, v27
	s_waitcnt lgkmcnt(0)
	v_add_u32_e32 v25, v25, v24
	; wave barrier
	s_nop 1
	v_mov_b32_dpp v28, v25 row_shr:1 row_mask:0xf bank_mask:0xf
	v_cndmask_b32_e64 v28, 0, v28, s[2:3]
	v_add_u32_e32 v25, v28, v25
	v_cmp_lt_u32_e64 s[2:3], 1, v27
	s_nop 0
	v_mov_b32_dpp v28, v25 row_shr:2 row_mask:0xf bank_mask:0xf
	v_cndmask_b32_e64 v28, 0, v28, s[2:3]
	v_add_u32_e32 v25, v25, v28
	v_cmp_lt_u32_e64 s[2:3], 3, v27
	;; [unrolled: 5-line block ×3, first 2 shown]
	s_nop 0
	v_mov_b32_dpp v28, v25 row_shr:8 row_mask:0xf bank_mask:0xf
	v_cndmask_b32_e64 v27, 0, v28, s[2:3]
	v_add_u32_e32 v25, v25, v27
	v_bfe_i32 v28, v26, 4, 1
	v_cmp_lt_u32_e64 s[2:3], 31, v26
	v_mov_b32_dpp v27, v25 row_bcast:15 row_mask:0xf bank_mask:0xf
	v_and_b32_e32 v27, v28, v27
	v_add_u32_e32 v25, v25, v27
	v_and_b32_e32 v28, 64, v26
	s_nop 0
	v_mov_b32_dpp v27, v25 row_bcast:31 row_mask:0xf bank_mask:0xf
	v_cndmask_b32_e64 v27, 0, v27, s[2:3]
	v_add_u32_e32 v25, v25, v27
	v_add_u32_e32 v27, -1, v26
	v_cmp_lt_i32_e64 s[2:3], v27, v28
	v_cndmask_b32_e64 v26, v27, v26, s[2:3]
	v_lshlrev_b32_e32 v26, 2, v26
	ds_bpermute_b32 v25, v26, v25
	s_waitcnt lgkmcnt(0)
	v_add_u32_e32 v24, v25, v24
	v_cndmask_b32_e64 v24, v24, v11, s[0:1]
	ds_write_b32 v15, v24
	; wave barrier
	ds_read_b32 v25, v15 offset:4
	s_waitcnt lgkmcnt(0)
	v_add_u32_e32 v24, v25, v24
	ds_write_b32 v15, v24 offset:4
.LBB4576_54:
	s_or_b64 exec, exec, s[4:5]
	v_mov_b32_e32 v15, v11
	s_waitcnt lgkmcnt(0)
	s_barrier
	s_and_saveexec_b64 s[0:1], vcc
	s_cbranch_execz .LBB4576_56
; %bb.55:
	v_add_u32_e32 v15, -1, v0
	v_lshrrev_b32_e32 v24, 5, v15
	v_add_lshl_u32 v15, v24, v15, 2
	ds_read_b32 v15, v15
.LBB4576_56:
	s_or_b64 exec, exec, s[0:1]
	s_and_saveexec_b64 s[0:1], vcc
	s_cbranch_execz .LBB4576_58
; %bb.57:
	s_waitcnt lgkmcnt(0)
	v_add_u32_e32 v2, v15, v2
	v_add_u32_e32 v3, v2, v12
	v_add_u32_e32 v4, v3, v13
	v_add_u32_e32 v5, v4, v14
	v_add_u32_e32 v6, v5, v16
	v_add_u32_e32 v7, v6, v17
	v_add_u32_e32 v8, v7, v18
	v_add_u32_e32 v9, v8, v19
	v_add_u32_e32 v10, v9, v20
	v_add_u32_e32 v11, v10, v21
	;;#ASMSTART
	;;#ASMEND
.LBB4576_58:
	s_or_b64 exec, exec, s[0:1]
	s_movk_i32 s0, 0x7f
	v_cmp_eq_u32_e32 vcc, s0, v0
	s_and_saveexec_b64 s[0:1], vcc
	s_cbranch_execz .LBB4576_60
; %bb.59:
	v_mov_b32_e32 v14, 0
	v_mov_b32_e32 v13, 2
	;; [unrolled: 1-line block ×3, first 2 shown]
	global_store_dwordx2 v14, v[12:13], s[20:21] offset:512
.LBB4576_60:
	s_or_b64 exec, exec, s[0:1]
	s_waitcnt lgkmcnt(0)
	v_pk_mov_b32 v[14:15], v[10:11], v[10:11] op_sel:[0,1]
	v_pk_mov_b32 v[12:13], v[8:9], v[8:9] op_sel:[0,1]
	v_pk_mov_b32 v[10:11], v[6:7], v[6:7] op_sel:[0,1]
	v_pk_mov_b32 v[8:9], v[4:5], v[4:5] op_sel:[0,1]
	v_pk_mov_b32 v[6:7], v[2:3], v[2:3] op_sel:[0,1]
.LBB4576_61:
	s_add_u32 s0, s12, s16
	s_addc_u32 s1, s13, s17
	s_add_u32 s2, s0, s18
	s_addc_u32 s3, s1, s19
	s_mov_b64 s[0:1], -1
	s_and_b64 vcc, exec, s[14:15]
	s_waitcnt lgkmcnt(0)
	s_barrier
	s_cbranch_vccz .LBB4576_63
; %bb.62:
	ds_write2_b64 v1, v[6:7], v[8:9] offset1:1
	ds_write2_b64 v1, v[10:11], v[12:13] offset0:2 offset1:3
	ds_write_b64 v1, v[14:15] offset:32
	s_waitcnt lgkmcnt(0)
	s_barrier
	ds_read2st64_b32 v[2:3], v22 offset1:2
	ds_read2st64_b32 v[4:5], v22 offset0:4 offset1:6
	ds_read2st64_b32 v[16:17], v22 offset0:8 offset1:10
	;; [unrolled: 1-line block ×4, first 2 shown]
	v_mov_b32_e32 v25, s3
	v_add_co_u32_e32 v24, vcc, s2, v22
	v_addc_co_u32_e32 v25, vcc, 0, v25, vcc
	s_waitcnt lgkmcnt(4)
	flat_store_dword v[24:25], v2
	flat_store_dword v[24:25], v3 offset:512
	s_waitcnt lgkmcnt(0)
	flat_store_dword v[24:25], v4 offset:1024
	flat_store_dword v[24:25], v5 offset:1536
	;; [unrolled: 1-line block ×6, first 2 shown]
	v_add_co_u32_e32 v2, vcc, 0x1000, v24
	v_addc_co_u32_e32 v3, vcc, 0, v25, vcc
	flat_store_dword v[2:3], v20
	flat_store_dword v[2:3], v21 offset:512
	s_mov_b64 s[0:1], 0
.LBB4576_63:
	s_andn2_b64 vcc, exec, s[0:1]
	s_cbranch_vccnz .LBB4576_119
; %bb.64:
	ds_write2_b64 v1, v[6:7], v[8:9] offset1:1
	ds_write2_b64 v1, v[10:11], v[12:13] offset0:2 offset1:3
	ds_write_b64 v1, v[14:15] offset:32
	s_waitcnt lgkmcnt(0)
	s_barrier
	ds_read2st64_b32 v[2:3], v22 offset1:2
	ds_read2st64_b32 v[6:7], v22 offset0:4 offset1:6
	ds_read2st64_b32 v[4:5], v22 offset0:8 offset1:10
	;; [unrolled: 1-line block ×4, first 2 shown]
	v_mov_b32_e32 v13, s3
	v_add_co_u32_e32 v12, vcc, s2, v22
	v_addc_co_u32_e32 v13, vcc, 0, v13, vcc
	v_mov_b32_e32 v1, 0
	v_cmp_gt_u32_e32 vcc, s24, v0
	s_and_saveexec_b64 s[0:1], vcc
	s_cbranch_execz .LBB4576_66
; %bb.65:
	s_waitcnt lgkmcnt(0)
	flat_store_dword v[12:13], v2
.LBB4576_66:
	s_or_b64 exec, exec, s[0:1]
	v_or_b32_e32 v14, 0x80, v0
	v_cmp_gt_u32_e32 vcc, s24, v14
	s_and_saveexec_b64 s[0:1], vcc
	s_cbranch_execz .LBB4576_68
; %bb.67:
	s_waitcnt lgkmcnt(0)
	flat_store_dword v[12:13], v3 offset:512
.LBB4576_68:
	s_or_b64 exec, exec, s[0:1]
	v_or_b32_e32 v14, 0x100, v0
	v_cmp_gt_u32_e32 vcc, s24, v14
	s_and_saveexec_b64 s[0:1], vcc
	s_cbranch_execz .LBB4576_70
; %bb.69:
	s_waitcnt lgkmcnt(0)
	flat_store_dword v[12:13], v6 offset:1024
.LBB4576_70:
	;; [unrolled: 9-line block ×7, first 2 shown]
	s_or_b64 exec, exec, s[0:1]
	v_or_b32_e32 v14, 0x400, v0
	v_cmp_gt_u32_e32 vcc, s24, v14
	s_and_saveexec_b64 s[0:1], vcc
	s_cbranch_execz .LBB4576_82
; %bb.81:
	v_add_co_u32_e32 v14, vcc, 0x1000, v12
	v_addc_co_u32_e32 v15, vcc, 0, v13, vcc
	s_waitcnt lgkmcnt(0)
	flat_store_dword v[14:15], v10
.LBB4576_82:
	s_or_b64 exec, exec, s[0:1]
	v_or_b32_e32 v14, 0x480, v0
	v_cmp_gt_u32_e32 vcc, s24, v14
	s_and_saveexec_b64 s[0:1], vcc
	s_cbranch_execz .LBB4576_84
; %bb.83:
	v_add_co_u32_e32 v12, vcc, 0x1000, v12
	v_addc_co_u32_e32 v13, vcc, 0, v13, vcc
	s_waitcnt lgkmcnt(0)
	flat_store_dword v[12:13], v11 offset:512
.LBB4576_84:
	s_or_b64 exec, exec, s[0:1]
	v_cmp_lt_u64_e64 s[0:1], s[10:11], 2
	s_and_b64 vcc, exec, s[0:1]
	s_cbranch_vccnz .LBB4576_119
; %bb.85:
	s_add_u32 s0, s24, -1
	s_addc_u32 s1, s25, -1
	s_add_u32 s2, 0, 0x99986000
	s_addc_u32 s3, 0, 0x59
	s_add_i32 s3, s3, 0x19999940
	s_mul_hi_u32 s9, s2, -10
	s_sub_i32 s9, s9, s2
	s_mul_i32 s10, s3, -10
	s_mul_i32 s4, s2, -10
	s_add_i32 s9, s9, s10
	s_mul_hi_u32 s5, s3, s4
	s_mul_i32 s8, s3, s4
	s_mul_i32 s11, s2, s9
	s_mul_hi_u32 s4, s2, s4
	s_mul_hi_u32 s10, s2, s9
	s_add_u32 s4, s4, s11
	s_addc_u32 s10, 0, s10
	s_add_u32 s4, s4, s8
	s_mul_hi_u32 s11, s3, s9
	s_addc_u32 s4, s10, s5
	s_addc_u32 s5, s11, 0
	s_mul_i32 s8, s3, s9
	s_add_u32 s4, s4, s8
	v_mov_b32_e32 v12, s4
	s_addc_u32 s5, 0, s5
	v_add_co_u32_e32 v12, vcc, s2, v12
	s_cmp_lg_u64 vcc, 0
	s_addc_u32 s2, s3, s5
	v_readfirstlane_b32 s5, v12
	s_mul_i32 s4, s0, s2
	s_mul_hi_u32 s8, s0, s5
	s_mul_hi_u32 s3, s0, s2
	s_add_u32 s4, s8, s4
	s_addc_u32 s3, 0, s3
	s_mul_hi_u32 s9, s1, s5
	s_mul_i32 s5, s1, s5
	s_add_u32 s4, s4, s5
	s_mul_hi_u32 s8, s1, s2
	s_addc_u32 s3, s3, s9
	s_addc_u32 s4, s8, 0
	s_mul_i32 s2, s1, s2
	s_add_u32 s2, s3, s2
	s_addc_u32 s3, 0, s4
	s_add_u32 s4, s2, 1
	s_addc_u32 s5, s3, 0
	s_add_u32 s8, s2, 2
	s_mul_i32 s10, s3, 10
	s_mul_hi_u32 s11, s2, 10
	s_addc_u32 s9, s3, 0
	s_add_i32 s11, s11, s10
	s_mul_i32 s10, s2, 10
	v_mov_b32_e32 v12, s10
	v_sub_co_u32_e32 v12, vcc, s0, v12
	s_cmp_lg_u64 vcc, 0
	s_subb_u32 s10, s1, s11
	v_subrev_co_u32_e32 v13, vcc, 10, v12
	s_cmp_lg_u64 vcc, 0
	s_subb_u32 s11, s10, 0
	v_readfirstlane_b32 s12, v13
	s_cmp_gt_u32 s12, 9
	s_cselect_b32 s12, -1, 0
	s_cmp_eq_u32 s11, 0
	s_cselect_b32 s11, s12, -1
	s_cmp_lg_u32 s11, 0
	s_cselect_b32 s4, s8, s4
	v_readfirstlane_b32 s8, v12
	s_cselect_b32 s5, s9, s5
	s_cmp_gt_u32 s8, 9
	s_cselect_b32 s8, -1, 0
	s_cmp_eq_u32 s10, 0
	s_cselect_b32 s8, s8, -1
	s_cmp_lg_u32 s8, 0
	s_cselect_b32 s3, s5, s3
	s_cselect_b32 s2, s4, s2
	v_cmp_eq_u64_e32 vcc, s[2:3], v[0:1]
	s_and_saveexec_b64 s[2:3], vcc
	s_cbranch_execz .LBB4576_119
; %bb.86:
	v_mul_hi_u32_u24_e32 v1, 10, v0
	v_mov_b32_e32 v12, s1
	v_sub_co_u32_e32 v0, vcc, s0, v23
	v_subb_co_u32_e32 v1, vcc, v12, v1, vcc
	v_cmp_lt_i64_e32 vcc, 4, v[0:1]
	s_and_saveexec_b64 s[0:1], vcc
	s_xor_b64 s[0:1], exec, s[0:1]
	s_cbranch_execz .LBB4576_104
; %bb.87:
	v_cmp_lt_i64_e32 vcc, 6, v[0:1]
	s_and_saveexec_b64 s[2:3], vcc
	s_xor_b64 s[2:3], exec, s[2:3]
	s_cbranch_execz .LBB4576_97
; %bb.88:
	;; [unrolled: 5-line block ×4, first 2 shown]
	v_mov_b32_e32 v0, 0
	s_waitcnt lgkmcnt(0)
	global_store_dword v0, v11, s[6:7]
                                        ; implicit-def: $vgpr10_vgpr11
.LBB4576_91:
	s_andn2_saveexec_b64 s[8:9], s[8:9]
	s_cbranch_execz .LBB4576_93
; %bb.92:
	v_mov_b32_e32 v0, 0
	s_waitcnt lgkmcnt(0)
	global_store_dword v0, v10, s[6:7]
.LBB4576_93:
	s_or_b64 exec, exec, s[8:9]
                                        ; implicit-def: $vgpr8_vgpr9
.LBB4576_94:
	s_andn2_saveexec_b64 s[4:5], s[4:5]
	s_cbranch_execz .LBB4576_96
; %bb.95:
	v_mov_b32_e32 v0, 0
	s_waitcnt lgkmcnt(0)
	global_store_dword v0, v9, s[6:7]
.LBB4576_96:
	s_or_b64 exec, exec, s[4:5]
                                        ; implicit-def: $vgpr4_vgpr5
                                        ; implicit-def: $vgpr0_vgpr1
                                        ; implicit-def: $vgpr8_vgpr9
.LBB4576_97:
	s_andn2_saveexec_b64 s[2:3], s[2:3]
	s_cbranch_execz .LBB4576_103
; %bb.98:
	v_cmp_lt_i64_e32 vcc, 5, v[0:1]
	s_and_saveexec_b64 s[4:5], vcc
	s_xor_b64 s[4:5], exec, s[4:5]
	s_cbranch_execz .LBB4576_100
; %bb.99:
	v_mov_b32_e32 v0, 0
	s_waitcnt lgkmcnt(0)
	global_store_dword v0, v8, s[6:7]
                                        ; implicit-def: $vgpr4_vgpr5
.LBB4576_100:
	s_andn2_saveexec_b64 s[4:5], s[4:5]
	s_cbranch_execz .LBB4576_102
; %bb.101:
	v_mov_b32_e32 v0, 0
	s_waitcnt lgkmcnt(0)
	global_store_dword v0, v5, s[6:7]
.LBB4576_102:
	s_or_b64 exec, exec, s[4:5]
.LBB4576_103:
	s_or_b64 exec, exec, s[2:3]
                                        ; implicit-def: $vgpr0_vgpr1
                                        ; implicit-def: $vgpr6_vgpr7
                                        ; implicit-def: $vgpr2_vgpr3
                                        ; implicit-def: $vgpr4_vgpr5
.LBB4576_104:
	s_andn2_saveexec_b64 s[0:1], s[0:1]
	s_cbranch_execz .LBB4576_119
; %bb.105:
	v_cmp_lt_i64_e32 vcc, 2, v[0:1]
	s_and_saveexec_b64 s[0:1], vcc
	s_xor_b64 s[0:1], exec, s[0:1]
	s_cbranch_execz .LBB4576_111
; %bb.106:
	v_cmp_lt_i64_e32 vcc, 3, v[0:1]
	s_and_saveexec_b64 s[2:3], vcc
	s_xor_b64 s[2:3], exec, s[2:3]
	s_cbranch_execz .LBB4576_108
; %bb.107:
	v_mov_b32_e32 v0, 0
	s_waitcnt lgkmcnt(0)
	global_store_dword v0, v4, s[6:7]
                                        ; implicit-def: $vgpr6_vgpr7
.LBB4576_108:
	s_andn2_saveexec_b64 s[2:3], s[2:3]
	s_cbranch_execz .LBB4576_110
; %bb.109:
	v_mov_b32_e32 v0, 0
	s_waitcnt lgkmcnt(0)
	global_store_dword v0, v7, s[6:7]
.LBB4576_110:
	s_or_b64 exec, exec, s[2:3]
                                        ; implicit-def: $vgpr0_vgpr1
                                        ; implicit-def: $vgpr6_vgpr7
                                        ; implicit-def: $vgpr2_vgpr3
.LBB4576_111:
	s_andn2_saveexec_b64 s[0:1], s[0:1]
	s_cbranch_execz .LBB4576_119
; %bb.112:
	v_cmp_lt_i64_e32 vcc, 1, v[0:1]
	s_and_saveexec_b64 s[0:1], vcc
	s_xor_b64 s[0:1], exec, s[0:1]
	s_cbranch_execz .LBB4576_114
; %bb.113:
	v_mov_b32_e32 v0, 0
	s_waitcnt lgkmcnt(0)
	global_store_dword v0, v6, s[6:7]
                                        ; implicit-def: $vgpr2_vgpr3
                                        ; implicit-def: $vgpr0_vgpr1
.LBB4576_114:
	s_andn2_saveexec_b64 s[0:1], s[0:1]
	s_cbranch_execz .LBB4576_119
; %bb.115:
	v_cmp_ne_u64_e32 vcc, 1, v[0:1]
	s_and_saveexec_b64 s[0:1], vcc
	s_xor_b64 s[0:1], exec, s[0:1]
	s_cbranch_execz .LBB4576_117
; %bb.116:
	v_mov_b32_e32 v0, 0
	s_waitcnt lgkmcnt(0)
	global_store_dword v0, v2, s[6:7]
                                        ; implicit-def: $vgpr2_vgpr3
.LBB4576_117:
	s_andn2_saveexec_b64 s[0:1], s[0:1]
	s_cbranch_execz .LBB4576_119
; %bb.118:
	v_mov_b32_e32 v0, 0
	s_waitcnt lgkmcnt(0)
	global_store_dword v0, v3, s[6:7]
.LBB4576_119:
	s_endpgm
	.section	.rodata,"a",@progbits
	.p2align	6, 0x0
	.amdhsa_kernel _ZN7rocprim17ROCPRIM_400000_NS6detail17trampoline_kernelINS0_14default_configENS1_20scan_config_selectorIjEEZZNS1_9scan_implILNS1_25lookback_scan_determinismE0ELb0ELb0ES3_N6thrust23THRUST_200600_302600_NS6detail15normal_iteratorINS9_10device_ptrIjEEEESE_jNS9_4plusIvEEjEEDaPvRmT3_T4_T5_mT6_P12ihipStream_tbENKUlT_T0_E_clISt17integral_constantIbLb0EESU_EEDaSP_SQ_EUlSP_E_NS1_11comp_targetILNS1_3genE4ELNS1_11target_archE910ELNS1_3gpuE8ELNS1_3repE0EEENS1_30default_config_static_selectorELNS0_4arch9wavefront6targetE1EEEvT1_
		.amdhsa_group_segment_fixed_size 5120
		.amdhsa_private_segment_fixed_size 0
		.amdhsa_kernarg_size 96
		.amdhsa_user_sgpr_count 6
		.amdhsa_user_sgpr_private_segment_buffer 1
		.amdhsa_user_sgpr_dispatch_ptr 0
		.amdhsa_user_sgpr_queue_ptr 0
		.amdhsa_user_sgpr_kernarg_segment_ptr 1
		.amdhsa_user_sgpr_dispatch_id 0
		.amdhsa_user_sgpr_flat_scratch_init 0
		.amdhsa_user_sgpr_kernarg_preload_length 0
		.amdhsa_user_sgpr_kernarg_preload_offset 0
		.amdhsa_user_sgpr_private_segment_size 0
		.amdhsa_uses_dynamic_stack 0
		.amdhsa_system_sgpr_private_segment_wavefront_offset 0
		.amdhsa_system_sgpr_workgroup_id_x 1
		.amdhsa_system_sgpr_workgroup_id_y 0
		.amdhsa_system_sgpr_workgroup_id_z 0
		.amdhsa_system_sgpr_workgroup_info 0
		.amdhsa_system_vgpr_workitem_id 0
		.amdhsa_next_free_vgpr 40
		.amdhsa_next_free_sgpr 28
		.amdhsa_accum_offset 40
		.amdhsa_reserve_vcc 1
		.amdhsa_reserve_flat_scratch 0
		.amdhsa_float_round_mode_32 0
		.amdhsa_float_round_mode_16_64 0
		.amdhsa_float_denorm_mode_32 3
		.amdhsa_float_denorm_mode_16_64 3
		.amdhsa_dx10_clamp 1
		.amdhsa_ieee_mode 1
		.amdhsa_fp16_overflow 0
		.amdhsa_tg_split 0
		.amdhsa_exception_fp_ieee_invalid_op 0
		.amdhsa_exception_fp_denorm_src 0
		.amdhsa_exception_fp_ieee_div_zero 0
		.amdhsa_exception_fp_ieee_overflow 0
		.amdhsa_exception_fp_ieee_underflow 0
		.amdhsa_exception_fp_ieee_inexact 0
		.amdhsa_exception_int_div_zero 0
	.end_amdhsa_kernel
	.section	.text._ZN7rocprim17ROCPRIM_400000_NS6detail17trampoline_kernelINS0_14default_configENS1_20scan_config_selectorIjEEZZNS1_9scan_implILNS1_25lookback_scan_determinismE0ELb0ELb0ES3_N6thrust23THRUST_200600_302600_NS6detail15normal_iteratorINS9_10device_ptrIjEEEESE_jNS9_4plusIvEEjEEDaPvRmT3_T4_T5_mT6_P12ihipStream_tbENKUlT_T0_E_clISt17integral_constantIbLb0EESU_EEDaSP_SQ_EUlSP_E_NS1_11comp_targetILNS1_3genE4ELNS1_11target_archE910ELNS1_3gpuE8ELNS1_3repE0EEENS1_30default_config_static_selectorELNS0_4arch9wavefront6targetE1EEEvT1_,"axG",@progbits,_ZN7rocprim17ROCPRIM_400000_NS6detail17trampoline_kernelINS0_14default_configENS1_20scan_config_selectorIjEEZZNS1_9scan_implILNS1_25lookback_scan_determinismE0ELb0ELb0ES3_N6thrust23THRUST_200600_302600_NS6detail15normal_iteratorINS9_10device_ptrIjEEEESE_jNS9_4plusIvEEjEEDaPvRmT3_T4_T5_mT6_P12ihipStream_tbENKUlT_T0_E_clISt17integral_constantIbLb0EESU_EEDaSP_SQ_EUlSP_E_NS1_11comp_targetILNS1_3genE4ELNS1_11target_archE910ELNS1_3gpuE8ELNS1_3repE0EEENS1_30default_config_static_selectorELNS0_4arch9wavefront6targetE1EEEvT1_,comdat
.Lfunc_end4576:
	.size	_ZN7rocprim17ROCPRIM_400000_NS6detail17trampoline_kernelINS0_14default_configENS1_20scan_config_selectorIjEEZZNS1_9scan_implILNS1_25lookback_scan_determinismE0ELb0ELb0ES3_N6thrust23THRUST_200600_302600_NS6detail15normal_iteratorINS9_10device_ptrIjEEEESE_jNS9_4plusIvEEjEEDaPvRmT3_T4_T5_mT6_P12ihipStream_tbENKUlT_T0_E_clISt17integral_constantIbLb0EESU_EEDaSP_SQ_EUlSP_E_NS1_11comp_targetILNS1_3genE4ELNS1_11target_archE910ELNS1_3gpuE8ELNS1_3repE0EEENS1_30default_config_static_selectorELNS0_4arch9wavefront6targetE1EEEvT1_, .Lfunc_end4576-_ZN7rocprim17ROCPRIM_400000_NS6detail17trampoline_kernelINS0_14default_configENS1_20scan_config_selectorIjEEZZNS1_9scan_implILNS1_25lookback_scan_determinismE0ELb0ELb0ES3_N6thrust23THRUST_200600_302600_NS6detail15normal_iteratorINS9_10device_ptrIjEEEESE_jNS9_4plusIvEEjEEDaPvRmT3_T4_T5_mT6_P12ihipStream_tbENKUlT_T0_E_clISt17integral_constantIbLb0EESU_EEDaSP_SQ_EUlSP_E_NS1_11comp_targetILNS1_3genE4ELNS1_11target_archE910ELNS1_3gpuE8ELNS1_3repE0EEENS1_30default_config_static_selectorELNS0_4arch9wavefront6targetE1EEEvT1_
                                        ; -- End function
	.section	.AMDGPU.csdata,"",@progbits
; Kernel info:
; codeLenInByte = 4524
; NumSgprs: 32
; NumVgprs: 40
; NumAgprs: 0
; TotalNumVgprs: 40
; ScratchSize: 0
; MemoryBound: 0
; FloatMode: 240
; IeeeMode: 1
; LDSByteSize: 5120 bytes/workgroup (compile time only)
; SGPRBlocks: 3
; VGPRBlocks: 4
; NumSGPRsForWavesPerEU: 32
; NumVGPRsForWavesPerEU: 40
; AccumOffset: 40
; Occupancy: 6
; WaveLimiterHint : 1
; COMPUTE_PGM_RSRC2:SCRATCH_EN: 0
; COMPUTE_PGM_RSRC2:USER_SGPR: 6
; COMPUTE_PGM_RSRC2:TRAP_HANDLER: 0
; COMPUTE_PGM_RSRC2:TGID_X_EN: 1
; COMPUTE_PGM_RSRC2:TGID_Y_EN: 0
; COMPUTE_PGM_RSRC2:TGID_Z_EN: 0
; COMPUTE_PGM_RSRC2:TIDIG_COMP_CNT: 0
; COMPUTE_PGM_RSRC3_GFX90A:ACCUM_OFFSET: 9
; COMPUTE_PGM_RSRC3_GFX90A:TG_SPLIT: 0
	.section	.text._ZN7rocprim17ROCPRIM_400000_NS6detail17trampoline_kernelINS0_14default_configENS1_20scan_config_selectorIjEEZZNS1_9scan_implILNS1_25lookback_scan_determinismE0ELb0ELb0ES3_N6thrust23THRUST_200600_302600_NS6detail15normal_iteratorINS9_10device_ptrIjEEEESE_jNS9_4plusIvEEjEEDaPvRmT3_T4_T5_mT6_P12ihipStream_tbENKUlT_T0_E_clISt17integral_constantIbLb0EESU_EEDaSP_SQ_EUlSP_E_NS1_11comp_targetILNS1_3genE3ELNS1_11target_archE908ELNS1_3gpuE7ELNS1_3repE0EEENS1_30default_config_static_selectorELNS0_4arch9wavefront6targetE1EEEvT1_,"axG",@progbits,_ZN7rocprim17ROCPRIM_400000_NS6detail17trampoline_kernelINS0_14default_configENS1_20scan_config_selectorIjEEZZNS1_9scan_implILNS1_25lookback_scan_determinismE0ELb0ELb0ES3_N6thrust23THRUST_200600_302600_NS6detail15normal_iteratorINS9_10device_ptrIjEEEESE_jNS9_4plusIvEEjEEDaPvRmT3_T4_T5_mT6_P12ihipStream_tbENKUlT_T0_E_clISt17integral_constantIbLb0EESU_EEDaSP_SQ_EUlSP_E_NS1_11comp_targetILNS1_3genE3ELNS1_11target_archE908ELNS1_3gpuE7ELNS1_3repE0EEENS1_30default_config_static_selectorELNS0_4arch9wavefront6targetE1EEEvT1_,comdat
	.protected	_ZN7rocprim17ROCPRIM_400000_NS6detail17trampoline_kernelINS0_14default_configENS1_20scan_config_selectorIjEEZZNS1_9scan_implILNS1_25lookback_scan_determinismE0ELb0ELb0ES3_N6thrust23THRUST_200600_302600_NS6detail15normal_iteratorINS9_10device_ptrIjEEEESE_jNS9_4plusIvEEjEEDaPvRmT3_T4_T5_mT6_P12ihipStream_tbENKUlT_T0_E_clISt17integral_constantIbLb0EESU_EEDaSP_SQ_EUlSP_E_NS1_11comp_targetILNS1_3genE3ELNS1_11target_archE908ELNS1_3gpuE7ELNS1_3repE0EEENS1_30default_config_static_selectorELNS0_4arch9wavefront6targetE1EEEvT1_ ; -- Begin function _ZN7rocprim17ROCPRIM_400000_NS6detail17trampoline_kernelINS0_14default_configENS1_20scan_config_selectorIjEEZZNS1_9scan_implILNS1_25lookback_scan_determinismE0ELb0ELb0ES3_N6thrust23THRUST_200600_302600_NS6detail15normal_iteratorINS9_10device_ptrIjEEEESE_jNS9_4plusIvEEjEEDaPvRmT3_T4_T5_mT6_P12ihipStream_tbENKUlT_T0_E_clISt17integral_constantIbLb0EESU_EEDaSP_SQ_EUlSP_E_NS1_11comp_targetILNS1_3genE3ELNS1_11target_archE908ELNS1_3gpuE7ELNS1_3repE0EEENS1_30default_config_static_selectorELNS0_4arch9wavefront6targetE1EEEvT1_
	.globl	_ZN7rocprim17ROCPRIM_400000_NS6detail17trampoline_kernelINS0_14default_configENS1_20scan_config_selectorIjEEZZNS1_9scan_implILNS1_25lookback_scan_determinismE0ELb0ELb0ES3_N6thrust23THRUST_200600_302600_NS6detail15normal_iteratorINS9_10device_ptrIjEEEESE_jNS9_4plusIvEEjEEDaPvRmT3_T4_T5_mT6_P12ihipStream_tbENKUlT_T0_E_clISt17integral_constantIbLb0EESU_EEDaSP_SQ_EUlSP_E_NS1_11comp_targetILNS1_3genE3ELNS1_11target_archE908ELNS1_3gpuE7ELNS1_3repE0EEENS1_30default_config_static_selectorELNS0_4arch9wavefront6targetE1EEEvT1_
	.p2align	8
	.type	_ZN7rocprim17ROCPRIM_400000_NS6detail17trampoline_kernelINS0_14default_configENS1_20scan_config_selectorIjEEZZNS1_9scan_implILNS1_25lookback_scan_determinismE0ELb0ELb0ES3_N6thrust23THRUST_200600_302600_NS6detail15normal_iteratorINS9_10device_ptrIjEEEESE_jNS9_4plusIvEEjEEDaPvRmT3_T4_T5_mT6_P12ihipStream_tbENKUlT_T0_E_clISt17integral_constantIbLb0EESU_EEDaSP_SQ_EUlSP_E_NS1_11comp_targetILNS1_3genE3ELNS1_11target_archE908ELNS1_3gpuE7ELNS1_3repE0EEENS1_30default_config_static_selectorELNS0_4arch9wavefront6targetE1EEEvT1_,@function
_ZN7rocprim17ROCPRIM_400000_NS6detail17trampoline_kernelINS0_14default_configENS1_20scan_config_selectorIjEEZZNS1_9scan_implILNS1_25lookback_scan_determinismE0ELb0ELb0ES3_N6thrust23THRUST_200600_302600_NS6detail15normal_iteratorINS9_10device_ptrIjEEEESE_jNS9_4plusIvEEjEEDaPvRmT3_T4_T5_mT6_P12ihipStream_tbENKUlT_T0_E_clISt17integral_constantIbLb0EESU_EEDaSP_SQ_EUlSP_E_NS1_11comp_targetILNS1_3genE3ELNS1_11target_archE908ELNS1_3gpuE7ELNS1_3repE0EEENS1_30default_config_static_selectorELNS0_4arch9wavefront6targetE1EEEvT1_: ; @_ZN7rocprim17ROCPRIM_400000_NS6detail17trampoline_kernelINS0_14default_configENS1_20scan_config_selectorIjEEZZNS1_9scan_implILNS1_25lookback_scan_determinismE0ELb0ELb0ES3_N6thrust23THRUST_200600_302600_NS6detail15normal_iteratorINS9_10device_ptrIjEEEESE_jNS9_4plusIvEEjEEDaPvRmT3_T4_T5_mT6_P12ihipStream_tbENKUlT_T0_E_clISt17integral_constantIbLb0EESU_EEDaSP_SQ_EUlSP_E_NS1_11comp_targetILNS1_3genE3ELNS1_11target_archE908ELNS1_3gpuE7ELNS1_3repE0EEENS1_30default_config_static_selectorELNS0_4arch9wavefront6targetE1EEEvT1_
; %bb.0:
	.section	.rodata,"a",@progbits
	.p2align	6, 0x0
	.amdhsa_kernel _ZN7rocprim17ROCPRIM_400000_NS6detail17trampoline_kernelINS0_14default_configENS1_20scan_config_selectorIjEEZZNS1_9scan_implILNS1_25lookback_scan_determinismE0ELb0ELb0ES3_N6thrust23THRUST_200600_302600_NS6detail15normal_iteratorINS9_10device_ptrIjEEEESE_jNS9_4plusIvEEjEEDaPvRmT3_T4_T5_mT6_P12ihipStream_tbENKUlT_T0_E_clISt17integral_constantIbLb0EESU_EEDaSP_SQ_EUlSP_E_NS1_11comp_targetILNS1_3genE3ELNS1_11target_archE908ELNS1_3gpuE7ELNS1_3repE0EEENS1_30default_config_static_selectorELNS0_4arch9wavefront6targetE1EEEvT1_
		.amdhsa_group_segment_fixed_size 0
		.amdhsa_private_segment_fixed_size 0
		.amdhsa_kernarg_size 96
		.amdhsa_user_sgpr_count 6
		.amdhsa_user_sgpr_private_segment_buffer 1
		.amdhsa_user_sgpr_dispatch_ptr 0
		.amdhsa_user_sgpr_queue_ptr 0
		.amdhsa_user_sgpr_kernarg_segment_ptr 1
		.amdhsa_user_sgpr_dispatch_id 0
		.amdhsa_user_sgpr_flat_scratch_init 0
		.amdhsa_user_sgpr_kernarg_preload_length 0
		.amdhsa_user_sgpr_kernarg_preload_offset 0
		.amdhsa_user_sgpr_private_segment_size 0
		.amdhsa_uses_dynamic_stack 0
		.amdhsa_system_sgpr_private_segment_wavefront_offset 0
		.amdhsa_system_sgpr_workgroup_id_x 1
		.amdhsa_system_sgpr_workgroup_id_y 0
		.amdhsa_system_sgpr_workgroup_id_z 0
		.amdhsa_system_sgpr_workgroup_info 0
		.amdhsa_system_vgpr_workitem_id 0
		.amdhsa_next_free_vgpr 1
		.amdhsa_next_free_sgpr 0
		.amdhsa_accum_offset 4
		.amdhsa_reserve_vcc 0
		.amdhsa_reserve_flat_scratch 0
		.amdhsa_float_round_mode_32 0
		.amdhsa_float_round_mode_16_64 0
		.amdhsa_float_denorm_mode_32 3
		.amdhsa_float_denorm_mode_16_64 3
		.amdhsa_dx10_clamp 1
		.amdhsa_ieee_mode 1
		.amdhsa_fp16_overflow 0
		.amdhsa_tg_split 0
		.amdhsa_exception_fp_ieee_invalid_op 0
		.amdhsa_exception_fp_denorm_src 0
		.amdhsa_exception_fp_ieee_div_zero 0
		.amdhsa_exception_fp_ieee_overflow 0
		.amdhsa_exception_fp_ieee_underflow 0
		.amdhsa_exception_fp_ieee_inexact 0
		.amdhsa_exception_int_div_zero 0
	.end_amdhsa_kernel
	.section	.text._ZN7rocprim17ROCPRIM_400000_NS6detail17trampoline_kernelINS0_14default_configENS1_20scan_config_selectorIjEEZZNS1_9scan_implILNS1_25lookback_scan_determinismE0ELb0ELb0ES3_N6thrust23THRUST_200600_302600_NS6detail15normal_iteratorINS9_10device_ptrIjEEEESE_jNS9_4plusIvEEjEEDaPvRmT3_T4_T5_mT6_P12ihipStream_tbENKUlT_T0_E_clISt17integral_constantIbLb0EESU_EEDaSP_SQ_EUlSP_E_NS1_11comp_targetILNS1_3genE3ELNS1_11target_archE908ELNS1_3gpuE7ELNS1_3repE0EEENS1_30default_config_static_selectorELNS0_4arch9wavefront6targetE1EEEvT1_,"axG",@progbits,_ZN7rocprim17ROCPRIM_400000_NS6detail17trampoline_kernelINS0_14default_configENS1_20scan_config_selectorIjEEZZNS1_9scan_implILNS1_25lookback_scan_determinismE0ELb0ELb0ES3_N6thrust23THRUST_200600_302600_NS6detail15normal_iteratorINS9_10device_ptrIjEEEESE_jNS9_4plusIvEEjEEDaPvRmT3_T4_T5_mT6_P12ihipStream_tbENKUlT_T0_E_clISt17integral_constantIbLb0EESU_EEDaSP_SQ_EUlSP_E_NS1_11comp_targetILNS1_3genE3ELNS1_11target_archE908ELNS1_3gpuE7ELNS1_3repE0EEENS1_30default_config_static_selectorELNS0_4arch9wavefront6targetE1EEEvT1_,comdat
.Lfunc_end4577:
	.size	_ZN7rocprim17ROCPRIM_400000_NS6detail17trampoline_kernelINS0_14default_configENS1_20scan_config_selectorIjEEZZNS1_9scan_implILNS1_25lookback_scan_determinismE0ELb0ELb0ES3_N6thrust23THRUST_200600_302600_NS6detail15normal_iteratorINS9_10device_ptrIjEEEESE_jNS9_4plusIvEEjEEDaPvRmT3_T4_T5_mT6_P12ihipStream_tbENKUlT_T0_E_clISt17integral_constantIbLb0EESU_EEDaSP_SQ_EUlSP_E_NS1_11comp_targetILNS1_3genE3ELNS1_11target_archE908ELNS1_3gpuE7ELNS1_3repE0EEENS1_30default_config_static_selectorELNS0_4arch9wavefront6targetE1EEEvT1_, .Lfunc_end4577-_ZN7rocprim17ROCPRIM_400000_NS6detail17trampoline_kernelINS0_14default_configENS1_20scan_config_selectorIjEEZZNS1_9scan_implILNS1_25lookback_scan_determinismE0ELb0ELb0ES3_N6thrust23THRUST_200600_302600_NS6detail15normal_iteratorINS9_10device_ptrIjEEEESE_jNS9_4plusIvEEjEEDaPvRmT3_T4_T5_mT6_P12ihipStream_tbENKUlT_T0_E_clISt17integral_constantIbLb0EESU_EEDaSP_SQ_EUlSP_E_NS1_11comp_targetILNS1_3genE3ELNS1_11target_archE908ELNS1_3gpuE7ELNS1_3repE0EEENS1_30default_config_static_selectorELNS0_4arch9wavefront6targetE1EEEvT1_
                                        ; -- End function
	.section	.AMDGPU.csdata,"",@progbits
; Kernel info:
; codeLenInByte = 0
; NumSgprs: 4
; NumVgprs: 0
; NumAgprs: 0
; TotalNumVgprs: 0
; ScratchSize: 0
; MemoryBound: 0
; FloatMode: 240
; IeeeMode: 1
; LDSByteSize: 0 bytes/workgroup (compile time only)
; SGPRBlocks: 0
; VGPRBlocks: 0
; NumSGPRsForWavesPerEU: 4
; NumVGPRsForWavesPerEU: 1
; AccumOffset: 4
; Occupancy: 8
; WaveLimiterHint : 0
; COMPUTE_PGM_RSRC2:SCRATCH_EN: 0
; COMPUTE_PGM_RSRC2:USER_SGPR: 6
; COMPUTE_PGM_RSRC2:TRAP_HANDLER: 0
; COMPUTE_PGM_RSRC2:TGID_X_EN: 1
; COMPUTE_PGM_RSRC2:TGID_Y_EN: 0
; COMPUTE_PGM_RSRC2:TGID_Z_EN: 0
; COMPUTE_PGM_RSRC2:TIDIG_COMP_CNT: 0
; COMPUTE_PGM_RSRC3_GFX90A:ACCUM_OFFSET: 0
; COMPUTE_PGM_RSRC3_GFX90A:TG_SPLIT: 0
	.section	.text._ZN7rocprim17ROCPRIM_400000_NS6detail17trampoline_kernelINS0_14default_configENS1_20scan_config_selectorIjEEZZNS1_9scan_implILNS1_25lookback_scan_determinismE0ELb0ELb0ES3_N6thrust23THRUST_200600_302600_NS6detail15normal_iteratorINS9_10device_ptrIjEEEESE_jNS9_4plusIvEEjEEDaPvRmT3_T4_T5_mT6_P12ihipStream_tbENKUlT_T0_E_clISt17integral_constantIbLb0EESU_EEDaSP_SQ_EUlSP_E_NS1_11comp_targetILNS1_3genE2ELNS1_11target_archE906ELNS1_3gpuE6ELNS1_3repE0EEENS1_30default_config_static_selectorELNS0_4arch9wavefront6targetE1EEEvT1_,"axG",@progbits,_ZN7rocprim17ROCPRIM_400000_NS6detail17trampoline_kernelINS0_14default_configENS1_20scan_config_selectorIjEEZZNS1_9scan_implILNS1_25lookback_scan_determinismE0ELb0ELb0ES3_N6thrust23THRUST_200600_302600_NS6detail15normal_iteratorINS9_10device_ptrIjEEEESE_jNS9_4plusIvEEjEEDaPvRmT3_T4_T5_mT6_P12ihipStream_tbENKUlT_T0_E_clISt17integral_constantIbLb0EESU_EEDaSP_SQ_EUlSP_E_NS1_11comp_targetILNS1_3genE2ELNS1_11target_archE906ELNS1_3gpuE6ELNS1_3repE0EEENS1_30default_config_static_selectorELNS0_4arch9wavefront6targetE1EEEvT1_,comdat
	.protected	_ZN7rocprim17ROCPRIM_400000_NS6detail17trampoline_kernelINS0_14default_configENS1_20scan_config_selectorIjEEZZNS1_9scan_implILNS1_25lookback_scan_determinismE0ELb0ELb0ES3_N6thrust23THRUST_200600_302600_NS6detail15normal_iteratorINS9_10device_ptrIjEEEESE_jNS9_4plusIvEEjEEDaPvRmT3_T4_T5_mT6_P12ihipStream_tbENKUlT_T0_E_clISt17integral_constantIbLb0EESU_EEDaSP_SQ_EUlSP_E_NS1_11comp_targetILNS1_3genE2ELNS1_11target_archE906ELNS1_3gpuE6ELNS1_3repE0EEENS1_30default_config_static_selectorELNS0_4arch9wavefront6targetE1EEEvT1_ ; -- Begin function _ZN7rocprim17ROCPRIM_400000_NS6detail17trampoline_kernelINS0_14default_configENS1_20scan_config_selectorIjEEZZNS1_9scan_implILNS1_25lookback_scan_determinismE0ELb0ELb0ES3_N6thrust23THRUST_200600_302600_NS6detail15normal_iteratorINS9_10device_ptrIjEEEESE_jNS9_4plusIvEEjEEDaPvRmT3_T4_T5_mT6_P12ihipStream_tbENKUlT_T0_E_clISt17integral_constantIbLb0EESU_EEDaSP_SQ_EUlSP_E_NS1_11comp_targetILNS1_3genE2ELNS1_11target_archE906ELNS1_3gpuE6ELNS1_3repE0EEENS1_30default_config_static_selectorELNS0_4arch9wavefront6targetE1EEEvT1_
	.globl	_ZN7rocprim17ROCPRIM_400000_NS6detail17trampoline_kernelINS0_14default_configENS1_20scan_config_selectorIjEEZZNS1_9scan_implILNS1_25lookback_scan_determinismE0ELb0ELb0ES3_N6thrust23THRUST_200600_302600_NS6detail15normal_iteratorINS9_10device_ptrIjEEEESE_jNS9_4plusIvEEjEEDaPvRmT3_T4_T5_mT6_P12ihipStream_tbENKUlT_T0_E_clISt17integral_constantIbLb0EESU_EEDaSP_SQ_EUlSP_E_NS1_11comp_targetILNS1_3genE2ELNS1_11target_archE906ELNS1_3gpuE6ELNS1_3repE0EEENS1_30default_config_static_selectorELNS0_4arch9wavefront6targetE1EEEvT1_
	.p2align	8
	.type	_ZN7rocprim17ROCPRIM_400000_NS6detail17trampoline_kernelINS0_14default_configENS1_20scan_config_selectorIjEEZZNS1_9scan_implILNS1_25lookback_scan_determinismE0ELb0ELb0ES3_N6thrust23THRUST_200600_302600_NS6detail15normal_iteratorINS9_10device_ptrIjEEEESE_jNS9_4plusIvEEjEEDaPvRmT3_T4_T5_mT6_P12ihipStream_tbENKUlT_T0_E_clISt17integral_constantIbLb0EESU_EEDaSP_SQ_EUlSP_E_NS1_11comp_targetILNS1_3genE2ELNS1_11target_archE906ELNS1_3gpuE6ELNS1_3repE0EEENS1_30default_config_static_selectorELNS0_4arch9wavefront6targetE1EEEvT1_,@function
_ZN7rocprim17ROCPRIM_400000_NS6detail17trampoline_kernelINS0_14default_configENS1_20scan_config_selectorIjEEZZNS1_9scan_implILNS1_25lookback_scan_determinismE0ELb0ELb0ES3_N6thrust23THRUST_200600_302600_NS6detail15normal_iteratorINS9_10device_ptrIjEEEESE_jNS9_4plusIvEEjEEDaPvRmT3_T4_T5_mT6_P12ihipStream_tbENKUlT_T0_E_clISt17integral_constantIbLb0EESU_EEDaSP_SQ_EUlSP_E_NS1_11comp_targetILNS1_3genE2ELNS1_11target_archE906ELNS1_3gpuE6ELNS1_3repE0EEENS1_30default_config_static_selectorELNS0_4arch9wavefront6targetE1EEEvT1_: ; @_ZN7rocprim17ROCPRIM_400000_NS6detail17trampoline_kernelINS0_14default_configENS1_20scan_config_selectorIjEEZZNS1_9scan_implILNS1_25lookback_scan_determinismE0ELb0ELb0ES3_N6thrust23THRUST_200600_302600_NS6detail15normal_iteratorINS9_10device_ptrIjEEEESE_jNS9_4plusIvEEjEEDaPvRmT3_T4_T5_mT6_P12ihipStream_tbENKUlT_T0_E_clISt17integral_constantIbLb0EESU_EEDaSP_SQ_EUlSP_E_NS1_11comp_targetILNS1_3genE2ELNS1_11target_archE906ELNS1_3gpuE6ELNS1_3repE0EEENS1_30default_config_static_selectorELNS0_4arch9wavefront6targetE1EEEvT1_
; %bb.0:
	.section	.rodata,"a",@progbits
	.p2align	6, 0x0
	.amdhsa_kernel _ZN7rocprim17ROCPRIM_400000_NS6detail17trampoline_kernelINS0_14default_configENS1_20scan_config_selectorIjEEZZNS1_9scan_implILNS1_25lookback_scan_determinismE0ELb0ELb0ES3_N6thrust23THRUST_200600_302600_NS6detail15normal_iteratorINS9_10device_ptrIjEEEESE_jNS9_4plusIvEEjEEDaPvRmT3_T4_T5_mT6_P12ihipStream_tbENKUlT_T0_E_clISt17integral_constantIbLb0EESU_EEDaSP_SQ_EUlSP_E_NS1_11comp_targetILNS1_3genE2ELNS1_11target_archE906ELNS1_3gpuE6ELNS1_3repE0EEENS1_30default_config_static_selectorELNS0_4arch9wavefront6targetE1EEEvT1_
		.amdhsa_group_segment_fixed_size 0
		.amdhsa_private_segment_fixed_size 0
		.amdhsa_kernarg_size 96
		.amdhsa_user_sgpr_count 6
		.amdhsa_user_sgpr_private_segment_buffer 1
		.amdhsa_user_sgpr_dispatch_ptr 0
		.amdhsa_user_sgpr_queue_ptr 0
		.amdhsa_user_sgpr_kernarg_segment_ptr 1
		.amdhsa_user_sgpr_dispatch_id 0
		.amdhsa_user_sgpr_flat_scratch_init 0
		.amdhsa_user_sgpr_kernarg_preload_length 0
		.amdhsa_user_sgpr_kernarg_preload_offset 0
		.amdhsa_user_sgpr_private_segment_size 0
		.amdhsa_uses_dynamic_stack 0
		.amdhsa_system_sgpr_private_segment_wavefront_offset 0
		.amdhsa_system_sgpr_workgroup_id_x 1
		.amdhsa_system_sgpr_workgroup_id_y 0
		.amdhsa_system_sgpr_workgroup_id_z 0
		.amdhsa_system_sgpr_workgroup_info 0
		.amdhsa_system_vgpr_workitem_id 0
		.amdhsa_next_free_vgpr 1
		.amdhsa_next_free_sgpr 0
		.amdhsa_accum_offset 4
		.amdhsa_reserve_vcc 0
		.amdhsa_reserve_flat_scratch 0
		.amdhsa_float_round_mode_32 0
		.amdhsa_float_round_mode_16_64 0
		.amdhsa_float_denorm_mode_32 3
		.amdhsa_float_denorm_mode_16_64 3
		.amdhsa_dx10_clamp 1
		.amdhsa_ieee_mode 1
		.amdhsa_fp16_overflow 0
		.amdhsa_tg_split 0
		.amdhsa_exception_fp_ieee_invalid_op 0
		.amdhsa_exception_fp_denorm_src 0
		.amdhsa_exception_fp_ieee_div_zero 0
		.amdhsa_exception_fp_ieee_overflow 0
		.amdhsa_exception_fp_ieee_underflow 0
		.amdhsa_exception_fp_ieee_inexact 0
		.amdhsa_exception_int_div_zero 0
	.end_amdhsa_kernel
	.section	.text._ZN7rocprim17ROCPRIM_400000_NS6detail17trampoline_kernelINS0_14default_configENS1_20scan_config_selectorIjEEZZNS1_9scan_implILNS1_25lookback_scan_determinismE0ELb0ELb0ES3_N6thrust23THRUST_200600_302600_NS6detail15normal_iteratorINS9_10device_ptrIjEEEESE_jNS9_4plusIvEEjEEDaPvRmT3_T4_T5_mT6_P12ihipStream_tbENKUlT_T0_E_clISt17integral_constantIbLb0EESU_EEDaSP_SQ_EUlSP_E_NS1_11comp_targetILNS1_3genE2ELNS1_11target_archE906ELNS1_3gpuE6ELNS1_3repE0EEENS1_30default_config_static_selectorELNS0_4arch9wavefront6targetE1EEEvT1_,"axG",@progbits,_ZN7rocprim17ROCPRIM_400000_NS6detail17trampoline_kernelINS0_14default_configENS1_20scan_config_selectorIjEEZZNS1_9scan_implILNS1_25lookback_scan_determinismE0ELb0ELb0ES3_N6thrust23THRUST_200600_302600_NS6detail15normal_iteratorINS9_10device_ptrIjEEEESE_jNS9_4plusIvEEjEEDaPvRmT3_T4_T5_mT6_P12ihipStream_tbENKUlT_T0_E_clISt17integral_constantIbLb0EESU_EEDaSP_SQ_EUlSP_E_NS1_11comp_targetILNS1_3genE2ELNS1_11target_archE906ELNS1_3gpuE6ELNS1_3repE0EEENS1_30default_config_static_selectorELNS0_4arch9wavefront6targetE1EEEvT1_,comdat
.Lfunc_end4578:
	.size	_ZN7rocprim17ROCPRIM_400000_NS6detail17trampoline_kernelINS0_14default_configENS1_20scan_config_selectorIjEEZZNS1_9scan_implILNS1_25lookback_scan_determinismE0ELb0ELb0ES3_N6thrust23THRUST_200600_302600_NS6detail15normal_iteratorINS9_10device_ptrIjEEEESE_jNS9_4plusIvEEjEEDaPvRmT3_T4_T5_mT6_P12ihipStream_tbENKUlT_T0_E_clISt17integral_constantIbLb0EESU_EEDaSP_SQ_EUlSP_E_NS1_11comp_targetILNS1_3genE2ELNS1_11target_archE906ELNS1_3gpuE6ELNS1_3repE0EEENS1_30default_config_static_selectorELNS0_4arch9wavefront6targetE1EEEvT1_, .Lfunc_end4578-_ZN7rocprim17ROCPRIM_400000_NS6detail17trampoline_kernelINS0_14default_configENS1_20scan_config_selectorIjEEZZNS1_9scan_implILNS1_25lookback_scan_determinismE0ELb0ELb0ES3_N6thrust23THRUST_200600_302600_NS6detail15normal_iteratorINS9_10device_ptrIjEEEESE_jNS9_4plusIvEEjEEDaPvRmT3_T4_T5_mT6_P12ihipStream_tbENKUlT_T0_E_clISt17integral_constantIbLb0EESU_EEDaSP_SQ_EUlSP_E_NS1_11comp_targetILNS1_3genE2ELNS1_11target_archE906ELNS1_3gpuE6ELNS1_3repE0EEENS1_30default_config_static_selectorELNS0_4arch9wavefront6targetE1EEEvT1_
                                        ; -- End function
	.section	.AMDGPU.csdata,"",@progbits
; Kernel info:
; codeLenInByte = 0
; NumSgprs: 4
; NumVgprs: 0
; NumAgprs: 0
; TotalNumVgprs: 0
; ScratchSize: 0
; MemoryBound: 0
; FloatMode: 240
; IeeeMode: 1
; LDSByteSize: 0 bytes/workgroup (compile time only)
; SGPRBlocks: 0
; VGPRBlocks: 0
; NumSGPRsForWavesPerEU: 4
; NumVGPRsForWavesPerEU: 1
; AccumOffset: 4
; Occupancy: 8
; WaveLimiterHint : 0
; COMPUTE_PGM_RSRC2:SCRATCH_EN: 0
; COMPUTE_PGM_RSRC2:USER_SGPR: 6
; COMPUTE_PGM_RSRC2:TRAP_HANDLER: 0
; COMPUTE_PGM_RSRC2:TGID_X_EN: 1
; COMPUTE_PGM_RSRC2:TGID_Y_EN: 0
; COMPUTE_PGM_RSRC2:TGID_Z_EN: 0
; COMPUTE_PGM_RSRC2:TIDIG_COMP_CNT: 0
; COMPUTE_PGM_RSRC3_GFX90A:ACCUM_OFFSET: 0
; COMPUTE_PGM_RSRC3_GFX90A:TG_SPLIT: 0
	.section	.text._ZN7rocprim17ROCPRIM_400000_NS6detail17trampoline_kernelINS0_14default_configENS1_20scan_config_selectorIjEEZZNS1_9scan_implILNS1_25lookback_scan_determinismE0ELb0ELb0ES3_N6thrust23THRUST_200600_302600_NS6detail15normal_iteratorINS9_10device_ptrIjEEEESE_jNS9_4plusIvEEjEEDaPvRmT3_T4_T5_mT6_P12ihipStream_tbENKUlT_T0_E_clISt17integral_constantIbLb0EESU_EEDaSP_SQ_EUlSP_E_NS1_11comp_targetILNS1_3genE10ELNS1_11target_archE1201ELNS1_3gpuE5ELNS1_3repE0EEENS1_30default_config_static_selectorELNS0_4arch9wavefront6targetE1EEEvT1_,"axG",@progbits,_ZN7rocprim17ROCPRIM_400000_NS6detail17trampoline_kernelINS0_14default_configENS1_20scan_config_selectorIjEEZZNS1_9scan_implILNS1_25lookback_scan_determinismE0ELb0ELb0ES3_N6thrust23THRUST_200600_302600_NS6detail15normal_iteratorINS9_10device_ptrIjEEEESE_jNS9_4plusIvEEjEEDaPvRmT3_T4_T5_mT6_P12ihipStream_tbENKUlT_T0_E_clISt17integral_constantIbLb0EESU_EEDaSP_SQ_EUlSP_E_NS1_11comp_targetILNS1_3genE10ELNS1_11target_archE1201ELNS1_3gpuE5ELNS1_3repE0EEENS1_30default_config_static_selectorELNS0_4arch9wavefront6targetE1EEEvT1_,comdat
	.protected	_ZN7rocprim17ROCPRIM_400000_NS6detail17trampoline_kernelINS0_14default_configENS1_20scan_config_selectorIjEEZZNS1_9scan_implILNS1_25lookback_scan_determinismE0ELb0ELb0ES3_N6thrust23THRUST_200600_302600_NS6detail15normal_iteratorINS9_10device_ptrIjEEEESE_jNS9_4plusIvEEjEEDaPvRmT3_T4_T5_mT6_P12ihipStream_tbENKUlT_T0_E_clISt17integral_constantIbLb0EESU_EEDaSP_SQ_EUlSP_E_NS1_11comp_targetILNS1_3genE10ELNS1_11target_archE1201ELNS1_3gpuE5ELNS1_3repE0EEENS1_30default_config_static_selectorELNS0_4arch9wavefront6targetE1EEEvT1_ ; -- Begin function _ZN7rocprim17ROCPRIM_400000_NS6detail17trampoline_kernelINS0_14default_configENS1_20scan_config_selectorIjEEZZNS1_9scan_implILNS1_25lookback_scan_determinismE0ELb0ELb0ES3_N6thrust23THRUST_200600_302600_NS6detail15normal_iteratorINS9_10device_ptrIjEEEESE_jNS9_4plusIvEEjEEDaPvRmT3_T4_T5_mT6_P12ihipStream_tbENKUlT_T0_E_clISt17integral_constantIbLb0EESU_EEDaSP_SQ_EUlSP_E_NS1_11comp_targetILNS1_3genE10ELNS1_11target_archE1201ELNS1_3gpuE5ELNS1_3repE0EEENS1_30default_config_static_selectorELNS0_4arch9wavefront6targetE1EEEvT1_
	.globl	_ZN7rocprim17ROCPRIM_400000_NS6detail17trampoline_kernelINS0_14default_configENS1_20scan_config_selectorIjEEZZNS1_9scan_implILNS1_25lookback_scan_determinismE0ELb0ELb0ES3_N6thrust23THRUST_200600_302600_NS6detail15normal_iteratorINS9_10device_ptrIjEEEESE_jNS9_4plusIvEEjEEDaPvRmT3_T4_T5_mT6_P12ihipStream_tbENKUlT_T0_E_clISt17integral_constantIbLb0EESU_EEDaSP_SQ_EUlSP_E_NS1_11comp_targetILNS1_3genE10ELNS1_11target_archE1201ELNS1_3gpuE5ELNS1_3repE0EEENS1_30default_config_static_selectorELNS0_4arch9wavefront6targetE1EEEvT1_
	.p2align	8
	.type	_ZN7rocprim17ROCPRIM_400000_NS6detail17trampoline_kernelINS0_14default_configENS1_20scan_config_selectorIjEEZZNS1_9scan_implILNS1_25lookback_scan_determinismE0ELb0ELb0ES3_N6thrust23THRUST_200600_302600_NS6detail15normal_iteratorINS9_10device_ptrIjEEEESE_jNS9_4plusIvEEjEEDaPvRmT3_T4_T5_mT6_P12ihipStream_tbENKUlT_T0_E_clISt17integral_constantIbLb0EESU_EEDaSP_SQ_EUlSP_E_NS1_11comp_targetILNS1_3genE10ELNS1_11target_archE1201ELNS1_3gpuE5ELNS1_3repE0EEENS1_30default_config_static_selectorELNS0_4arch9wavefront6targetE1EEEvT1_,@function
_ZN7rocprim17ROCPRIM_400000_NS6detail17trampoline_kernelINS0_14default_configENS1_20scan_config_selectorIjEEZZNS1_9scan_implILNS1_25lookback_scan_determinismE0ELb0ELb0ES3_N6thrust23THRUST_200600_302600_NS6detail15normal_iteratorINS9_10device_ptrIjEEEESE_jNS9_4plusIvEEjEEDaPvRmT3_T4_T5_mT6_P12ihipStream_tbENKUlT_T0_E_clISt17integral_constantIbLb0EESU_EEDaSP_SQ_EUlSP_E_NS1_11comp_targetILNS1_3genE10ELNS1_11target_archE1201ELNS1_3gpuE5ELNS1_3repE0EEENS1_30default_config_static_selectorELNS0_4arch9wavefront6targetE1EEEvT1_: ; @_ZN7rocprim17ROCPRIM_400000_NS6detail17trampoline_kernelINS0_14default_configENS1_20scan_config_selectorIjEEZZNS1_9scan_implILNS1_25lookback_scan_determinismE0ELb0ELb0ES3_N6thrust23THRUST_200600_302600_NS6detail15normal_iteratorINS9_10device_ptrIjEEEESE_jNS9_4plusIvEEjEEDaPvRmT3_T4_T5_mT6_P12ihipStream_tbENKUlT_T0_E_clISt17integral_constantIbLb0EESU_EEDaSP_SQ_EUlSP_E_NS1_11comp_targetILNS1_3genE10ELNS1_11target_archE1201ELNS1_3gpuE5ELNS1_3repE0EEENS1_30default_config_static_selectorELNS0_4arch9wavefront6targetE1EEEvT1_
; %bb.0:
	.section	.rodata,"a",@progbits
	.p2align	6, 0x0
	.amdhsa_kernel _ZN7rocprim17ROCPRIM_400000_NS6detail17trampoline_kernelINS0_14default_configENS1_20scan_config_selectorIjEEZZNS1_9scan_implILNS1_25lookback_scan_determinismE0ELb0ELb0ES3_N6thrust23THRUST_200600_302600_NS6detail15normal_iteratorINS9_10device_ptrIjEEEESE_jNS9_4plusIvEEjEEDaPvRmT3_T4_T5_mT6_P12ihipStream_tbENKUlT_T0_E_clISt17integral_constantIbLb0EESU_EEDaSP_SQ_EUlSP_E_NS1_11comp_targetILNS1_3genE10ELNS1_11target_archE1201ELNS1_3gpuE5ELNS1_3repE0EEENS1_30default_config_static_selectorELNS0_4arch9wavefront6targetE1EEEvT1_
		.amdhsa_group_segment_fixed_size 0
		.amdhsa_private_segment_fixed_size 0
		.amdhsa_kernarg_size 96
		.amdhsa_user_sgpr_count 6
		.amdhsa_user_sgpr_private_segment_buffer 1
		.amdhsa_user_sgpr_dispatch_ptr 0
		.amdhsa_user_sgpr_queue_ptr 0
		.amdhsa_user_sgpr_kernarg_segment_ptr 1
		.amdhsa_user_sgpr_dispatch_id 0
		.amdhsa_user_sgpr_flat_scratch_init 0
		.amdhsa_user_sgpr_kernarg_preload_length 0
		.amdhsa_user_sgpr_kernarg_preload_offset 0
		.amdhsa_user_sgpr_private_segment_size 0
		.amdhsa_uses_dynamic_stack 0
		.amdhsa_system_sgpr_private_segment_wavefront_offset 0
		.amdhsa_system_sgpr_workgroup_id_x 1
		.amdhsa_system_sgpr_workgroup_id_y 0
		.amdhsa_system_sgpr_workgroup_id_z 0
		.amdhsa_system_sgpr_workgroup_info 0
		.amdhsa_system_vgpr_workitem_id 0
		.amdhsa_next_free_vgpr 1
		.amdhsa_next_free_sgpr 0
		.amdhsa_accum_offset 4
		.amdhsa_reserve_vcc 0
		.amdhsa_reserve_flat_scratch 0
		.amdhsa_float_round_mode_32 0
		.amdhsa_float_round_mode_16_64 0
		.amdhsa_float_denorm_mode_32 3
		.amdhsa_float_denorm_mode_16_64 3
		.amdhsa_dx10_clamp 1
		.amdhsa_ieee_mode 1
		.amdhsa_fp16_overflow 0
		.amdhsa_tg_split 0
		.amdhsa_exception_fp_ieee_invalid_op 0
		.amdhsa_exception_fp_denorm_src 0
		.amdhsa_exception_fp_ieee_div_zero 0
		.amdhsa_exception_fp_ieee_overflow 0
		.amdhsa_exception_fp_ieee_underflow 0
		.amdhsa_exception_fp_ieee_inexact 0
		.amdhsa_exception_int_div_zero 0
	.end_amdhsa_kernel
	.section	.text._ZN7rocprim17ROCPRIM_400000_NS6detail17trampoline_kernelINS0_14default_configENS1_20scan_config_selectorIjEEZZNS1_9scan_implILNS1_25lookback_scan_determinismE0ELb0ELb0ES3_N6thrust23THRUST_200600_302600_NS6detail15normal_iteratorINS9_10device_ptrIjEEEESE_jNS9_4plusIvEEjEEDaPvRmT3_T4_T5_mT6_P12ihipStream_tbENKUlT_T0_E_clISt17integral_constantIbLb0EESU_EEDaSP_SQ_EUlSP_E_NS1_11comp_targetILNS1_3genE10ELNS1_11target_archE1201ELNS1_3gpuE5ELNS1_3repE0EEENS1_30default_config_static_selectorELNS0_4arch9wavefront6targetE1EEEvT1_,"axG",@progbits,_ZN7rocprim17ROCPRIM_400000_NS6detail17trampoline_kernelINS0_14default_configENS1_20scan_config_selectorIjEEZZNS1_9scan_implILNS1_25lookback_scan_determinismE0ELb0ELb0ES3_N6thrust23THRUST_200600_302600_NS6detail15normal_iteratorINS9_10device_ptrIjEEEESE_jNS9_4plusIvEEjEEDaPvRmT3_T4_T5_mT6_P12ihipStream_tbENKUlT_T0_E_clISt17integral_constantIbLb0EESU_EEDaSP_SQ_EUlSP_E_NS1_11comp_targetILNS1_3genE10ELNS1_11target_archE1201ELNS1_3gpuE5ELNS1_3repE0EEENS1_30default_config_static_selectorELNS0_4arch9wavefront6targetE1EEEvT1_,comdat
.Lfunc_end4579:
	.size	_ZN7rocprim17ROCPRIM_400000_NS6detail17trampoline_kernelINS0_14default_configENS1_20scan_config_selectorIjEEZZNS1_9scan_implILNS1_25lookback_scan_determinismE0ELb0ELb0ES3_N6thrust23THRUST_200600_302600_NS6detail15normal_iteratorINS9_10device_ptrIjEEEESE_jNS9_4plusIvEEjEEDaPvRmT3_T4_T5_mT6_P12ihipStream_tbENKUlT_T0_E_clISt17integral_constantIbLb0EESU_EEDaSP_SQ_EUlSP_E_NS1_11comp_targetILNS1_3genE10ELNS1_11target_archE1201ELNS1_3gpuE5ELNS1_3repE0EEENS1_30default_config_static_selectorELNS0_4arch9wavefront6targetE1EEEvT1_, .Lfunc_end4579-_ZN7rocprim17ROCPRIM_400000_NS6detail17trampoline_kernelINS0_14default_configENS1_20scan_config_selectorIjEEZZNS1_9scan_implILNS1_25lookback_scan_determinismE0ELb0ELb0ES3_N6thrust23THRUST_200600_302600_NS6detail15normal_iteratorINS9_10device_ptrIjEEEESE_jNS9_4plusIvEEjEEDaPvRmT3_T4_T5_mT6_P12ihipStream_tbENKUlT_T0_E_clISt17integral_constantIbLb0EESU_EEDaSP_SQ_EUlSP_E_NS1_11comp_targetILNS1_3genE10ELNS1_11target_archE1201ELNS1_3gpuE5ELNS1_3repE0EEENS1_30default_config_static_selectorELNS0_4arch9wavefront6targetE1EEEvT1_
                                        ; -- End function
	.section	.AMDGPU.csdata,"",@progbits
; Kernel info:
; codeLenInByte = 0
; NumSgprs: 4
; NumVgprs: 0
; NumAgprs: 0
; TotalNumVgprs: 0
; ScratchSize: 0
; MemoryBound: 0
; FloatMode: 240
; IeeeMode: 1
; LDSByteSize: 0 bytes/workgroup (compile time only)
; SGPRBlocks: 0
; VGPRBlocks: 0
; NumSGPRsForWavesPerEU: 4
; NumVGPRsForWavesPerEU: 1
; AccumOffset: 4
; Occupancy: 8
; WaveLimiterHint : 0
; COMPUTE_PGM_RSRC2:SCRATCH_EN: 0
; COMPUTE_PGM_RSRC2:USER_SGPR: 6
; COMPUTE_PGM_RSRC2:TRAP_HANDLER: 0
; COMPUTE_PGM_RSRC2:TGID_X_EN: 1
; COMPUTE_PGM_RSRC2:TGID_Y_EN: 0
; COMPUTE_PGM_RSRC2:TGID_Z_EN: 0
; COMPUTE_PGM_RSRC2:TIDIG_COMP_CNT: 0
; COMPUTE_PGM_RSRC3_GFX90A:ACCUM_OFFSET: 0
; COMPUTE_PGM_RSRC3_GFX90A:TG_SPLIT: 0
	.section	.text._ZN7rocprim17ROCPRIM_400000_NS6detail17trampoline_kernelINS0_14default_configENS1_20scan_config_selectorIjEEZZNS1_9scan_implILNS1_25lookback_scan_determinismE0ELb0ELb0ES3_N6thrust23THRUST_200600_302600_NS6detail15normal_iteratorINS9_10device_ptrIjEEEESE_jNS9_4plusIvEEjEEDaPvRmT3_T4_T5_mT6_P12ihipStream_tbENKUlT_T0_E_clISt17integral_constantIbLb0EESU_EEDaSP_SQ_EUlSP_E_NS1_11comp_targetILNS1_3genE10ELNS1_11target_archE1200ELNS1_3gpuE4ELNS1_3repE0EEENS1_30default_config_static_selectorELNS0_4arch9wavefront6targetE1EEEvT1_,"axG",@progbits,_ZN7rocprim17ROCPRIM_400000_NS6detail17trampoline_kernelINS0_14default_configENS1_20scan_config_selectorIjEEZZNS1_9scan_implILNS1_25lookback_scan_determinismE0ELb0ELb0ES3_N6thrust23THRUST_200600_302600_NS6detail15normal_iteratorINS9_10device_ptrIjEEEESE_jNS9_4plusIvEEjEEDaPvRmT3_T4_T5_mT6_P12ihipStream_tbENKUlT_T0_E_clISt17integral_constantIbLb0EESU_EEDaSP_SQ_EUlSP_E_NS1_11comp_targetILNS1_3genE10ELNS1_11target_archE1200ELNS1_3gpuE4ELNS1_3repE0EEENS1_30default_config_static_selectorELNS0_4arch9wavefront6targetE1EEEvT1_,comdat
	.protected	_ZN7rocprim17ROCPRIM_400000_NS6detail17trampoline_kernelINS0_14default_configENS1_20scan_config_selectorIjEEZZNS1_9scan_implILNS1_25lookback_scan_determinismE0ELb0ELb0ES3_N6thrust23THRUST_200600_302600_NS6detail15normal_iteratorINS9_10device_ptrIjEEEESE_jNS9_4plusIvEEjEEDaPvRmT3_T4_T5_mT6_P12ihipStream_tbENKUlT_T0_E_clISt17integral_constantIbLb0EESU_EEDaSP_SQ_EUlSP_E_NS1_11comp_targetILNS1_3genE10ELNS1_11target_archE1200ELNS1_3gpuE4ELNS1_3repE0EEENS1_30default_config_static_selectorELNS0_4arch9wavefront6targetE1EEEvT1_ ; -- Begin function _ZN7rocprim17ROCPRIM_400000_NS6detail17trampoline_kernelINS0_14default_configENS1_20scan_config_selectorIjEEZZNS1_9scan_implILNS1_25lookback_scan_determinismE0ELb0ELb0ES3_N6thrust23THRUST_200600_302600_NS6detail15normal_iteratorINS9_10device_ptrIjEEEESE_jNS9_4plusIvEEjEEDaPvRmT3_T4_T5_mT6_P12ihipStream_tbENKUlT_T0_E_clISt17integral_constantIbLb0EESU_EEDaSP_SQ_EUlSP_E_NS1_11comp_targetILNS1_3genE10ELNS1_11target_archE1200ELNS1_3gpuE4ELNS1_3repE0EEENS1_30default_config_static_selectorELNS0_4arch9wavefront6targetE1EEEvT1_
	.globl	_ZN7rocprim17ROCPRIM_400000_NS6detail17trampoline_kernelINS0_14default_configENS1_20scan_config_selectorIjEEZZNS1_9scan_implILNS1_25lookback_scan_determinismE0ELb0ELb0ES3_N6thrust23THRUST_200600_302600_NS6detail15normal_iteratorINS9_10device_ptrIjEEEESE_jNS9_4plusIvEEjEEDaPvRmT3_T4_T5_mT6_P12ihipStream_tbENKUlT_T0_E_clISt17integral_constantIbLb0EESU_EEDaSP_SQ_EUlSP_E_NS1_11comp_targetILNS1_3genE10ELNS1_11target_archE1200ELNS1_3gpuE4ELNS1_3repE0EEENS1_30default_config_static_selectorELNS0_4arch9wavefront6targetE1EEEvT1_
	.p2align	8
	.type	_ZN7rocprim17ROCPRIM_400000_NS6detail17trampoline_kernelINS0_14default_configENS1_20scan_config_selectorIjEEZZNS1_9scan_implILNS1_25lookback_scan_determinismE0ELb0ELb0ES3_N6thrust23THRUST_200600_302600_NS6detail15normal_iteratorINS9_10device_ptrIjEEEESE_jNS9_4plusIvEEjEEDaPvRmT3_T4_T5_mT6_P12ihipStream_tbENKUlT_T0_E_clISt17integral_constantIbLb0EESU_EEDaSP_SQ_EUlSP_E_NS1_11comp_targetILNS1_3genE10ELNS1_11target_archE1200ELNS1_3gpuE4ELNS1_3repE0EEENS1_30default_config_static_selectorELNS0_4arch9wavefront6targetE1EEEvT1_,@function
_ZN7rocprim17ROCPRIM_400000_NS6detail17trampoline_kernelINS0_14default_configENS1_20scan_config_selectorIjEEZZNS1_9scan_implILNS1_25lookback_scan_determinismE0ELb0ELb0ES3_N6thrust23THRUST_200600_302600_NS6detail15normal_iteratorINS9_10device_ptrIjEEEESE_jNS9_4plusIvEEjEEDaPvRmT3_T4_T5_mT6_P12ihipStream_tbENKUlT_T0_E_clISt17integral_constantIbLb0EESU_EEDaSP_SQ_EUlSP_E_NS1_11comp_targetILNS1_3genE10ELNS1_11target_archE1200ELNS1_3gpuE4ELNS1_3repE0EEENS1_30default_config_static_selectorELNS0_4arch9wavefront6targetE1EEEvT1_: ; @_ZN7rocprim17ROCPRIM_400000_NS6detail17trampoline_kernelINS0_14default_configENS1_20scan_config_selectorIjEEZZNS1_9scan_implILNS1_25lookback_scan_determinismE0ELb0ELb0ES3_N6thrust23THRUST_200600_302600_NS6detail15normal_iteratorINS9_10device_ptrIjEEEESE_jNS9_4plusIvEEjEEDaPvRmT3_T4_T5_mT6_P12ihipStream_tbENKUlT_T0_E_clISt17integral_constantIbLb0EESU_EEDaSP_SQ_EUlSP_E_NS1_11comp_targetILNS1_3genE10ELNS1_11target_archE1200ELNS1_3gpuE4ELNS1_3repE0EEENS1_30default_config_static_selectorELNS0_4arch9wavefront6targetE1EEEvT1_
; %bb.0:
	.section	.rodata,"a",@progbits
	.p2align	6, 0x0
	.amdhsa_kernel _ZN7rocprim17ROCPRIM_400000_NS6detail17trampoline_kernelINS0_14default_configENS1_20scan_config_selectorIjEEZZNS1_9scan_implILNS1_25lookback_scan_determinismE0ELb0ELb0ES3_N6thrust23THRUST_200600_302600_NS6detail15normal_iteratorINS9_10device_ptrIjEEEESE_jNS9_4plusIvEEjEEDaPvRmT3_T4_T5_mT6_P12ihipStream_tbENKUlT_T0_E_clISt17integral_constantIbLb0EESU_EEDaSP_SQ_EUlSP_E_NS1_11comp_targetILNS1_3genE10ELNS1_11target_archE1200ELNS1_3gpuE4ELNS1_3repE0EEENS1_30default_config_static_selectorELNS0_4arch9wavefront6targetE1EEEvT1_
		.amdhsa_group_segment_fixed_size 0
		.amdhsa_private_segment_fixed_size 0
		.amdhsa_kernarg_size 96
		.amdhsa_user_sgpr_count 6
		.amdhsa_user_sgpr_private_segment_buffer 1
		.amdhsa_user_sgpr_dispatch_ptr 0
		.amdhsa_user_sgpr_queue_ptr 0
		.amdhsa_user_sgpr_kernarg_segment_ptr 1
		.amdhsa_user_sgpr_dispatch_id 0
		.amdhsa_user_sgpr_flat_scratch_init 0
		.amdhsa_user_sgpr_kernarg_preload_length 0
		.amdhsa_user_sgpr_kernarg_preload_offset 0
		.amdhsa_user_sgpr_private_segment_size 0
		.amdhsa_uses_dynamic_stack 0
		.amdhsa_system_sgpr_private_segment_wavefront_offset 0
		.amdhsa_system_sgpr_workgroup_id_x 1
		.amdhsa_system_sgpr_workgroup_id_y 0
		.amdhsa_system_sgpr_workgroup_id_z 0
		.amdhsa_system_sgpr_workgroup_info 0
		.amdhsa_system_vgpr_workitem_id 0
		.amdhsa_next_free_vgpr 1
		.amdhsa_next_free_sgpr 0
		.amdhsa_accum_offset 4
		.amdhsa_reserve_vcc 0
		.amdhsa_reserve_flat_scratch 0
		.amdhsa_float_round_mode_32 0
		.amdhsa_float_round_mode_16_64 0
		.amdhsa_float_denorm_mode_32 3
		.amdhsa_float_denorm_mode_16_64 3
		.amdhsa_dx10_clamp 1
		.amdhsa_ieee_mode 1
		.amdhsa_fp16_overflow 0
		.amdhsa_tg_split 0
		.amdhsa_exception_fp_ieee_invalid_op 0
		.amdhsa_exception_fp_denorm_src 0
		.amdhsa_exception_fp_ieee_div_zero 0
		.amdhsa_exception_fp_ieee_overflow 0
		.amdhsa_exception_fp_ieee_underflow 0
		.amdhsa_exception_fp_ieee_inexact 0
		.amdhsa_exception_int_div_zero 0
	.end_amdhsa_kernel
	.section	.text._ZN7rocprim17ROCPRIM_400000_NS6detail17trampoline_kernelINS0_14default_configENS1_20scan_config_selectorIjEEZZNS1_9scan_implILNS1_25lookback_scan_determinismE0ELb0ELb0ES3_N6thrust23THRUST_200600_302600_NS6detail15normal_iteratorINS9_10device_ptrIjEEEESE_jNS9_4plusIvEEjEEDaPvRmT3_T4_T5_mT6_P12ihipStream_tbENKUlT_T0_E_clISt17integral_constantIbLb0EESU_EEDaSP_SQ_EUlSP_E_NS1_11comp_targetILNS1_3genE10ELNS1_11target_archE1200ELNS1_3gpuE4ELNS1_3repE0EEENS1_30default_config_static_selectorELNS0_4arch9wavefront6targetE1EEEvT1_,"axG",@progbits,_ZN7rocprim17ROCPRIM_400000_NS6detail17trampoline_kernelINS0_14default_configENS1_20scan_config_selectorIjEEZZNS1_9scan_implILNS1_25lookback_scan_determinismE0ELb0ELb0ES3_N6thrust23THRUST_200600_302600_NS6detail15normal_iteratorINS9_10device_ptrIjEEEESE_jNS9_4plusIvEEjEEDaPvRmT3_T4_T5_mT6_P12ihipStream_tbENKUlT_T0_E_clISt17integral_constantIbLb0EESU_EEDaSP_SQ_EUlSP_E_NS1_11comp_targetILNS1_3genE10ELNS1_11target_archE1200ELNS1_3gpuE4ELNS1_3repE0EEENS1_30default_config_static_selectorELNS0_4arch9wavefront6targetE1EEEvT1_,comdat
.Lfunc_end4580:
	.size	_ZN7rocprim17ROCPRIM_400000_NS6detail17trampoline_kernelINS0_14default_configENS1_20scan_config_selectorIjEEZZNS1_9scan_implILNS1_25lookback_scan_determinismE0ELb0ELb0ES3_N6thrust23THRUST_200600_302600_NS6detail15normal_iteratorINS9_10device_ptrIjEEEESE_jNS9_4plusIvEEjEEDaPvRmT3_T4_T5_mT6_P12ihipStream_tbENKUlT_T0_E_clISt17integral_constantIbLb0EESU_EEDaSP_SQ_EUlSP_E_NS1_11comp_targetILNS1_3genE10ELNS1_11target_archE1200ELNS1_3gpuE4ELNS1_3repE0EEENS1_30default_config_static_selectorELNS0_4arch9wavefront6targetE1EEEvT1_, .Lfunc_end4580-_ZN7rocprim17ROCPRIM_400000_NS6detail17trampoline_kernelINS0_14default_configENS1_20scan_config_selectorIjEEZZNS1_9scan_implILNS1_25lookback_scan_determinismE0ELb0ELb0ES3_N6thrust23THRUST_200600_302600_NS6detail15normal_iteratorINS9_10device_ptrIjEEEESE_jNS9_4plusIvEEjEEDaPvRmT3_T4_T5_mT6_P12ihipStream_tbENKUlT_T0_E_clISt17integral_constantIbLb0EESU_EEDaSP_SQ_EUlSP_E_NS1_11comp_targetILNS1_3genE10ELNS1_11target_archE1200ELNS1_3gpuE4ELNS1_3repE0EEENS1_30default_config_static_selectorELNS0_4arch9wavefront6targetE1EEEvT1_
                                        ; -- End function
	.section	.AMDGPU.csdata,"",@progbits
; Kernel info:
; codeLenInByte = 0
; NumSgprs: 4
; NumVgprs: 0
; NumAgprs: 0
; TotalNumVgprs: 0
; ScratchSize: 0
; MemoryBound: 0
; FloatMode: 240
; IeeeMode: 1
; LDSByteSize: 0 bytes/workgroup (compile time only)
; SGPRBlocks: 0
; VGPRBlocks: 0
; NumSGPRsForWavesPerEU: 4
; NumVGPRsForWavesPerEU: 1
; AccumOffset: 4
; Occupancy: 8
; WaveLimiterHint : 0
; COMPUTE_PGM_RSRC2:SCRATCH_EN: 0
; COMPUTE_PGM_RSRC2:USER_SGPR: 6
; COMPUTE_PGM_RSRC2:TRAP_HANDLER: 0
; COMPUTE_PGM_RSRC2:TGID_X_EN: 1
; COMPUTE_PGM_RSRC2:TGID_Y_EN: 0
; COMPUTE_PGM_RSRC2:TGID_Z_EN: 0
; COMPUTE_PGM_RSRC2:TIDIG_COMP_CNT: 0
; COMPUTE_PGM_RSRC3_GFX90A:ACCUM_OFFSET: 0
; COMPUTE_PGM_RSRC3_GFX90A:TG_SPLIT: 0
	.section	.text._ZN7rocprim17ROCPRIM_400000_NS6detail17trampoline_kernelINS0_14default_configENS1_20scan_config_selectorIjEEZZNS1_9scan_implILNS1_25lookback_scan_determinismE0ELb0ELb0ES3_N6thrust23THRUST_200600_302600_NS6detail15normal_iteratorINS9_10device_ptrIjEEEESE_jNS9_4plusIvEEjEEDaPvRmT3_T4_T5_mT6_P12ihipStream_tbENKUlT_T0_E_clISt17integral_constantIbLb0EESU_EEDaSP_SQ_EUlSP_E_NS1_11comp_targetILNS1_3genE9ELNS1_11target_archE1100ELNS1_3gpuE3ELNS1_3repE0EEENS1_30default_config_static_selectorELNS0_4arch9wavefront6targetE1EEEvT1_,"axG",@progbits,_ZN7rocprim17ROCPRIM_400000_NS6detail17trampoline_kernelINS0_14default_configENS1_20scan_config_selectorIjEEZZNS1_9scan_implILNS1_25lookback_scan_determinismE0ELb0ELb0ES3_N6thrust23THRUST_200600_302600_NS6detail15normal_iteratorINS9_10device_ptrIjEEEESE_jNS9_4plusIvEEjEEDaPvRmT3_T4_T5_mT6_P12ihipStream_tbENKUlT_T0_E_clISt17integral_constantIbLb0EESU_EEDaSP_SQ_EUlSP_E_NS1_11comp_targetILNS1_3genE9ELNS1_11target_archE1100ELNS1_3gpuE3ELNS1_3repE0EEENS1_30default_config_static_selectorELNS0_4arch9wavefront6targetE1EEEvT1_,comdat
	.protected	_ZN7rocprim17ROCPRIM_400000_NS6detail17trampoline_kernelINS0_14default_configENS1_20scan_config_selectorIjEEZZNS1_9scan_implILNS1_25lookback_scan_determinismE0ELb0ELb0ES3_N6thrust23THRUST_200600_302600_NS6detail15normal_iteratorINS9_10device_ptrIjEEEESE_jNS9_4plusIvEEjEEDaPvRmT3_T4_T5_mT6_P12ihipStream_tbENKUlT_T0_E_clISt17integral_constantIbLb0EESU_EEDaSP_SQ_EUlSP_E_NS1_11comp_targetILNS1_3genE9ELNS1_11target_archE1100ELNS1_3gpuE3ELNS1_3repE0EEENS1_30default_config_static_selectorELNS0_4arch9wavefront6targetE1EEEvT1_ ; -- Begin function _ZN7rocprim17ROCPRIM_400000_NS6detail17trampoline_kernelINS0_14default_configENS1_20scan_config_selectorIjEEZZNS1_9scan_implILNS1_25lookback_scan_determinismE0ELb0ELb0ES3_N6thrust23THRUST_200600_302600_NS6detail15normal_iteratorINS9_10device_ptrIjEEEESE_jNS9_4plusIvEEjEEDaPvRmT3_T4_T5_mT6_P12ihipStream_tbENKUlT_T0_E_clISt17integral_constantIbLb0EESU_EEDaSP_SQ_EUlSP_E_NS1_11comp_targetILNS1_3genE9ELNS1_11target_archE1100ELNS1_3gpuE3ELNS1_3repE0EEENS1_30default_config_static_selectorELNS0_4arch9wavefront6targetE1EEEvT1_
	.globl	_ZN7rocprim17ROCPRIM_400000_NS6detail17trampoline_kernelINS0_14default_configENS1_20scan_config_selectorIjEEZZNS1_9scan_implILNS1_25lookback_scan_determinismE0ELb0ELb0ES3_N6thrust23THRUST_200600_302600_NS6detail15normal_iteratorINS9_10device_ptrIjEEEESE_jNS9_4plusIvEEjEEDaPvRmT3_T4_T5_mT6_P12ihipStream_tbENKUlT_T0_E_clISt17integral_constantIbLb0EESU_EEDaSP_SQ_EUlSP_E_NS1_11comp_targetILNS1_3genE9ELNS1_11target_archE1100ELNS1_3gpuE3ELNS1_3repE0EEENS1_30default_config_static_selectorELNS0_4arch9wavefront6targetE1EEEvT1_
	.p2align	8
	.type	_ZN7rocprim17ROCPRIM_400000_NS6detail17trampoline_kernelINS0_14default_configENS1_20scan_config_selectorIjEEZZNS1_9scan_implILNS1_25lookback_scan_determinismE0ELb0ELb0ES3_N6thrust23THRUST_200600_302600_NS6detail15normal_iteratorINS9_10device_ptrIjEEEESE_jNS9_4plusIvEEjEEDaPvRmT3_T4_T5_mT6_P12ihipStream_tbENKUlT_T0_E_clISt17integral_constantIbLb0EESU_EEDaSP_SQ_EUlSP_E_NS1_11comp_targetILNS1_3genE9ELNS1_11target_archE1100ELNS1_3gpuE3ELNS1_3repE0EEENS1_30default_config_static_selectorELNS0_4arch9wavefront6targetE1EEEvT1_,@function
_ZN7rocprim17ROCPRIM_400000_NS6detail17trampoline_kernelINS0_14default_configENS1_20scan_config_selectorIjEEZZNS1_9scan_implILNS1_25lookback_scan_determinismE0ELb0ELb0ES3_N6thrust23THRUST_200600_302600_NS6detail15normal_iteratorINS9_10device_ptrIjEEEESE_jNS9_4plusIvEEjEEDaPvRmT3_T4_T5_mT6_P12ihipStream_tbENKUlT_T0_E_clISt17integral_constantIbLb0EESU_EEDaSP_SQ_EUlSP_E_NS1_11comp_targetILNS1_3genE9ELNS1_11target_archE1100ELNS1_3gpuE3ELNS1_3repE0EEENS1_30default_config_static_selectorELNS0_4arch9wavefront6targetE1EEEvT1_: ; @_ZN7rocprim17ROCPRIM_400000_NS6detail17trampoline_kernelINS0_14default_configENS1_20scan_config_selectorIjEEZZNS1_9scan_implILNS1_25lookback_scan_determinismE0ELb0ELb0ES3_N6thrust23THRUST_200600_302600_NS6detail15normal_iteratorINS9_10device_ptrIjEEEESE_jNS9_4plusIvEEjEEDaPvRmT3_T4_T5_mT6_P12ihipStream_tbENKUlT_T0_E_clISt17integral_constantIbLb0EESU_EEDaSP_SQ_EUlSP_E_NS1_11comp_targetILNS1_3genE9ELNS1_11target_archE1100ELNS1_3gpuE3ELNS1_3repE0EEENS1_30default_config_static_selectorELNS0_4arch9wavefront6targetE1EEEvT1_
; %bb.0:
	.section	.rodata,"a",@progbits
	.p2align	6, 0x0
	.amdhsa_kernel _ZN7rocprim17ROCPRIM_400000_NS6detail17trampoline_kernelINS0_14default_configENS1_20scan_config_selectorIjEEZZNS1_9scan_implILNS1_25lookback_scan_determinismE0ELb0ELb0ES3_N6thrust23THRUST_200600_302600_NS6detail15normal_iteratorINS9_10device_ptrIjEEEESE_jNS9_4plusIvEEjEEDaPvRmT3_T4_T5_mT6_P12ihipStream_tbENKUlT_T0_E_clISt17integral_constantIbLb0EESU_EEDaSP_SQ_EUlSP_E_NS1_11comp_targetILNS1_3genE9ELNS1_11target_archE1100ELNS1_3gpuE3ELNS1_3repE0EEENS1_30default_config_static_selectorELNS0_4arch9wavefront6targetE1EEEvT1_
		.amdhsa_group_segment_fixed_size 0
		.amdhsa_private_segment_fixed_size 0
		.amdhsa_kernarg_size 96
		.amdhsa_user_sgpr_count 6
		.amdhsa_user_sgpr_private_segment_buffer 1
		.amdhsa_user_sgpr_dispatch_ptr 0
		.amdhsa_user_sgpr_queue_ptr 0
		.amdhsa_user_sgpr_kernarg_segment_ptr 1
		.amdhsa_user_sgpr_dispatch_id 0
		.amdhsa_user_sgpr_flat_scratch_init 0
		.amdhsa_user_sgpr_kernarg_preload_length 0
		.amdhsa_user_sgpr_kernarg_preload_offset 0
		.amdhsa_user_sgpr_private_segment_size 0
		.amdhsa_uses_dynamic_stack 0
		.amdhsa_system_sgpr_private_segment_wavefront_offset 0
		.amdhsa_system_sgpr_workgroup_id_x 1
		.amdhsa_system_sgpr_workgroup_id_y 0
		.amdhsa_system_sgpr_workgroup_id_z 0
		.amdhsa_system_sgpr_workgroup_info 0
		.amdhsa_system_vgpr_workitem_id 0
		.amdhsa_next_free_vgpr 1
		.amdhsa_next_free_sgpr 0
		.amdhsa_accum_offset 4
		.amdhsa_reserve_vcc 0
		.amdhsa_reserve_flat_scratch 0
		.amdhsa_float_round_mode_32 0
		.amdhsa_float_round_mode_16_64 0
		.amdhsa_float_denorm_mode_32 3
		.amdhsa_float_denorm_mode_16_64 3
		.amdhsa_dx10_clamp 1
		.amdhsa_ieee_mode 1
		.amdhsa_fp16_overflow 0
		.amdhsa_tg_split 0
		.amdhsa_exception_fp_ieee_invalid_op 0
		.amdhsa_exception_fp_denorm_src 0
		.amdhsa_exception_fp_ieee_div_zero 0
		.amdhsa_exception_fp_ieee_overflow 0
		.amdhsa_exception_fp_ieee_underflow 0
		.amdhsa_exception_fp_ieee_inexact 0
		.amdhsa_exception_int_div_zero 0
	.end_amdhsa_kernel
	.section	.text._ZN7rocprim17ROCPRIM_400000_NS6detail17trampoline_kernelINS0_14default_configENS1_20scan_config_selectorIjEEZZNS1_9scan_implILNS1_25lookback_scan_determinismE0ELb0ELb0ES3_N6thrust23THRUST_200600_302600_NS6detail15normal_iteratorINS9_10device_ptrIjEEEESE_jNS9_4plusIvEEjEEDaPvRmT3_T4_T5_mT6_P12ihipStream_tbENKUlT_T0_E_clISt17integral_constantIbLb0EESU_EEDaSP_SQ_EUlSP_E_NS1_11comp_targetILNS1_3genE9ELNS1_11target_archE1100ELNS1_3gpuE3ELNS1_3repE0EEENS1_30default_config_static_selectorELNS0_4arch9wavefront6targetE1EEEvT1_,"axG",@progbits,_ZN7rocprim17ROCPRIM_400000_NS6detail17trampoline_kernelINS0_14default_configENS1_20scan_config_selectorIjEEZZNS1_9scan_implILNS1_25lookback_scan_determinismE0ELb0ELb0ES3_N6thrust23THRUST_200600_302600_NS6detail15normal_iteratorINS9_10device_ptrIjEEEESE_jNS9_4plusIvEEjEEDaPvRmT3_T4_T5_mT6_P12ihipStream_tbENKUlT_T0_E_clISt17integral_constantIbLb0EESU_EEDaSP_SQ_EUlSP_E_NS1_11comp_targetILNS1_3genE9ELNS1_11target_archE1100ELNS1_3gpuE3ELNS1_3repE0EEENS1_30default_config_static_selectorELNS0_4arch9wavefront6targetE1EEEvT1_,comdat
.Lfunc_end4581:
	.size	_ZN7rocprim17ROCPRIM_400000_NS6detail17trampoline_kernelINS0_14default_configENS1_20scan_config_selectorIjEEZZNS1_9scan_implILNS1_25lookback_scan_determinismE0ELb0ELb0ES3_N6thrust23THRUST_200600_302600_NS6detail15normal_iteratorINS9_10device_ptrIjEEEESE_jNS9_4plusIvEEjEEDaPvRmT3_T4_T5_mT6_P12ihipStream_tbENKUlT_T0_E_clISt17integral_constantIbLb0EESU_EEDaSP_SQ_EUlSP_E_NS1_11comp_targetILNS1_3genE9ELNS1_11target_archE1100ELNS1_3gpuE3ELNS1_3repE0EEENS1_30default_config_static_selectorELNS0_4arch9wavefront6targetE1EEEvT1_, .Lfunc_end4581-_ZN7rocprim17ROCPRIM_400000_NS6detail17trampoline_kernelINS0_14default_configENS1_20scan_config_selectorIjEEZZNS1_9scan_implILNS1_25lookback_scan_determinismE0ELb0ELb0ES3_N6thrust23THRUST_200600_302600_NS6detail15normal_iteratorINS9_10device_ptrIjEEEESE_jNS9_4plusIvEEjEEDaPvRmT3_T4_T5_mT6_P12ihipStream_tbENKUlT_T0_E_clISt17integral_constantIbLb0EESU_EEDaSP_SQ_EUlSP_E_NS1_11comp_targetILNS1_3genE9ELNS1_11target_archE1100ELNS1_3gpuE3ELNS1_3repE0EEENS1_30default_config_static_selectorELNS0_4arch9wavefront6targetE1EEEvT1_
                                        ; -- End function
	.section	.AMDGPU.csdata,"",@progbits
; Kernel info:
; codeLenInByte = 0
; NumSgprs: 4
; NumVgprs: 0
; NumAgprs: 0
; TotalNumVgprs: 0
; ScratchSize: 0
; MemoryBound: 0
; FloatMode: 240
; IeeeMode: 1
; LDSByteSize: 0 bytes/workgroup (compile time only)
; SGPRBlocks: 0
; VGPRBlocks: 0
; NumSGPRsForWavesPerEU: 4
; NumVGPRsForWavesPerEU: 1
; AccumOffset: 4
; Occupancy: 8
; WaveLimiterHint : 0
; COMPUTE_PGM_RSRC2:SCRATCH_EN: 0
; COMPUTE_PGM_RSRC2:USER_SGPR: 6
; COMPUTE_PGM_RSRC2:TRAP_HANDLER: 0
; COMPUTE_PGM_RSRC2:TGID_X_EN: 1
; COMPUTE_PGM_RSRC2:TGID_Y_EN: 0
; COMPUTE_PGM_RSRC2:TGID_Z_EN: 0
; COMPUTE_PGM_RSRC2:TIDIG_COMP_CNT: 0
; COMPUTE_PGM_RSRC3_GFX90A:ACCUM_OFFSET: 0
; COMPUTE_PGM_RSRC3_GFX90A:TG_SPLIT: 0
	.section	.text._ZN7rocprim17ROCPRIM_400000_NS6detail17trampoline_kernelINS0_14default_configENS1_20scan_config_selectorIjEEZZNS1_9scan_implILNS1_25lookback_scan_determinismE0ELb0ELb0ES3_N6thrust23THRUST_200600_302600_NS6detail15normal_iteratorINS9_10device_ptrIjEEEESE_jNS9_4plusIvEEjEEDaPvRmT3_T4_T5_mT6_P12ihipStream_tbENKUlT_T0_E_clISt17integral_constantIbLb0EESU_EEDaSP_SQ_EUlSP_E_NS1_11comp_targetILNS1_3genE8ELNS1_11target_archE1030ELNS1_3gpuE2ELNS1_3repE0EEENS1_30default_config_static_selectorELNS0_4arch9wavefront6targetE1EEEvT1_,"axG",@progbits,_ZN7rocprim17ROCPRIM_400000_NS6detail17trampoline_kernelINS0_14default_configENS1_20scan_config_selectorIjEEZZNS1_9scan_implILNS1_25lookback_scan_determinismE0ELb0ELb0ES3_N6thrust23THRUST_200600_302600_NS6detail15normal_iteratorINS9_10device_ptrIjEEEESE_jNS9_4plusIvEEjEEDaPvRmT3_T4_T5_mT6_P12ihipStream_tbENKUlT_T0_E_clISt17integral_constantIbLb0EESU_EEDaSP_SQ_EUlSP_E_NS1_11comp_targetILNS1_3genE8ELNS1_11target_archE1030ELNS1_3gpuE2ELNS1_3repE0EEENS1_30default_config_static_selectorELNS0_4arch9wavefront6targetE1EEEvT1_,comdat
	.protected	_ZN7rocprim17ROCPRIM_400000_NS6detail17trampoline_kernelINS0_14default_configENS1_20scan_config_selectorIjEEZZNS1_9scan_implILNS1_25lookback_scan_determinismE0ELb0ELb0ES3_N6thrust23THRUST_200600_302600_NS6detail15normal_iteratorINS9_10device_ptrIjEEEESE_jNS9_4plusIvEEjEEDaPvRmT3_T4_T5_mT6_P12ihipStream_tbENKUlT_T0_E_clISt17integral_constantIbLb0EESU_EEDaSP_SQ_EUlSP_E_NS1_11comp_targetILNS1_3genE8ELNS1_11target_archE1030ELNS1_3gpuE2ELNS1_3repE0EEENS1_30default_config_static_selectorELNS0_4arch9wavefront6targetE1EEEvT1_ ; -- Begin function _ZN7rocprim17ROCPRIM_400000_NS6detail17trampoline_kernelINS0_14default_configENS1_20scan_config_selectorIjEEZZNS1_9scan_implILNS1_25lookback_scan_determinismE0ELb0ELb0ES3_N6thrust23THRUST_200600_302600_NS6detail15normal_iteratorINS9_10device_ptrIjEEEESE_jNS9_4plusIvEEjEEDaPvRmT3_T4_T5_mT6_P12ihipStream_tbENKUlT_T0_E_clISt17integral_constantIbLb0EESU_EEDaSP_SQ_EUlSP_E_NS1_11comp_targetILNS1_3genE8ELNS1_11target_archE1030ELNS1_3gpuE2ELNS1_3repE0EEENS1_30default_config_static_selectorELNS0_4arch9wavefront6targetE1EEEvT1_
	.globl	_ZN7rocprim17ROCPRIM_400000_NS6detail17trampoline_kernelINS0_14default_configENS1_20scan_config_selectorIjEEZZNS1_9scan_implILNS1_25lookback_scan_determinismE0ELb0ELb0ES3_N6thrust23THRUST_200600_302600_NS6detail15normal_iteratorINS9_10device_ptrIjEEEESE_jNS9_4plusIvEEjEEDaPvRmT3_T4_T5_mT6_P12ihipStream_tbENKUlT_T0_E_clISt17integral_constantIbLb0EESU_EEDaSP_SQ_EUlSP_E_NS1_11comp_targetILNS1_3genE8ELNS1_11target_archE1030ELNS1_3gpuE2ELNS1_3repE0EEENS1_30default_config_static_selectorELNS0_4arch9wavefront6targetE1EEEvT1_
	.p2align	8
	.type	_ZN7rocprim17ROCPRIM_400000_NS6detail17trampoline_kernelINS0_14default_configENS1_20scan_config_selectorIjEEZZNS1_9scan_implILNS1_25lookback_scan_determinismE0ELb0ELb0ES3_N6thrust23THRUST_200600_302600_NS6detail15normal_iteratorINS9_10device_ptrIjEEEESE_jNS9_4plusIvEEjEEDaPvRmT3_T4_T5_mT6_P12ihipStream_tbENKUlT_T0_E_clISt17integral_constantIbLb0EESU_EEDaSP_SQ_EUlSP_E_NS1_11comp_targetILNS1_3genE8ELNS1_11target_archE1030ELNS1_3gpuE2ELNS1_3repE0EEENS1_30default_config_static_selectorELNS0_4arch9wavefront6targetE1EEEvT1_,@function
_ZN7rocprim17ROCPRIM_400000_NS6detail17trampoline_kernelINS0_14default_configENS1_20scan_config_selectorIjEEZZNS1_9scan_implILNS1_25lookback_scan_determinismE0ELb0ELb0ES3_N6thrust23THRUST_200600_302600_NS6detail15normal_iteratorINS9_10device_ptrIjEEEESE_jNS9_4plusIvEEjEEDaPvRmT3_T4_T5_mT6_P12ihipStream_tbENKUlT_T0_E_clISt17integral_constantIbLb0EESU_EEDaSP_SQ_EUlSP_E_NS1_11comp_targetILNS1_3genE8ELNS1_11target_archE1030ELNS1_3gpuE2ELNS1_3repE0EEENS1_30default_config_static_selectorELNS0_4arch9wavefront6targetE1EEEvT1_: ; @_ZN7rocprim17ROCPRIM_400000_NS6detail17trampoline_kernelINS0_14default_configENS1_20scan_config_selectorIjEEZZNS1_9scan_implILNS1_25lookback_scan_determinismE0ELb0ELb0ES3_N6thrust23THRUST_200600_302600_NS6detail15normal_iteratorINS9_10device_ptrIjEEEESE_jNS9_4plusIvEEjEEDaPvRmT3_T4_T5_mT6_P12ihipStream_tbENKUlT_T0_E_clISt17integral_constantIbLb0EESU_EEDaSP_SQ_EUlSP_E_NS1_11comp_targetILNS1_3genE8ELNS1_11target_archE1030ELNS1_3gpuE2ELNS1_3repE0EEENS1_30default_config_static_selectorELNS0_4arch9wavefront6targetE1EEEvT1_
; %bb.0:
	.section	.rodata,"a",@progbits
	.p2align	6, 0x0
	.amdhsa_kernel _ZN7rocprim17ROCPRIM_400000_NS6detail17trampoline_kernelINS0_14default_configENS1_20scan_config_selectorIjEEZZNS1_9scan_implILNS1_25lookback_scan_determinismE0ELb0ELb0ES3_N6thrust23THRUST_200600_302600_NS6detail15normal_iteratorINS9_10device_ptrIjEEEESE_jNS9_4plusIvEEjEEDaPvRmT3_T4_T5_mT6_P12ihipStream_tbENKUlT_T0_E_clISt17integral_constantIbLb0EESU_EEDaSP_SQ_EUlSP_E_NS1_11comp_targetILNS1_3genE8ELNS1_11target_archE1030ELNS1_3gpuE2ELNS1_3repE0EEENS1_30default_config_static_selectorELNS0_4arch9wavefront6targetE1EEEvT1_
		.amdhsa_group_segment_fixed_size 0
		.amdhsa_private_segment_fixed_size 0
		.amdhsa_kernarg_size 96
		.amdhsa_user_sgpr_count 6
		.amdhsa_user_sgpr_private_segment_buffer 1
		.amdhsa_user_sgpr_dispatch_ptr 0
		.amdhsa_user_sgpr_queue_ptr 0
		.amdhsa_user_sgpr_kernarg_segment_ptr 1
		.amdhsa_user_sgpr_dispatch_id 0
		.amdhsa_user_sgpr_flat_scratch_init 0
		.amdhsa_user_sgpr_kernarg_preload_length 0
		.amdhsa_user_sgpr_kernarg_preload_offset 0
		.amdhsa_user_sgpr_private_segment_size 0
		.amdhsa_uses_dynamic_stack 0
		.amdhsa_system_sgpr_private_segment_wavefront_offset 0
		.amdhsa_system_sgpr_workgroup_id_x 1
		.amdhsa_system_sgpr_workgroup_id_y 0
		.amdhsa_system_sgpr_workgroup_id_z 0
		.amdhsa_system_sgpr_workgroup_info 0
		.amdhsa_system_vgpr_workitem_id 0
		.amdhsa_next_free_vgpr 1
		.amdhsa_next_free_sgpr 0
		.amdhsa_accum_offset 4
		.amdhsa_reserve_vcc 0
		.amdhsa_reserve_flat_scratch 0
		.amdhsa_float_round_mode_32 0
		.amdhsa_float_round_mode_16_64 0
		.amdhsa_float_denorm_mode_32 3
		.amdhsa_float_denorm_mode_16_64 3
		.amdhsa_dx10_clamp 1
		.amdhsa_ieee_mode 1
		.amdhsa_fp16_overflow 0
		.amdhsa_tg_split 0
		.amdhsa_exception_fp_ieee_invalid_op 0
		.amdhsa_exception_fp_denorm_src 0
		.amdhsa_exception_fp_ieee_div_zero 0
		.amdhsa_exception_fp_ieee_overflow 0
		.amdhsa_exception_fp_ieee_underflow 0
		.amdhsa_exception_fp_ieee_inexact 0
		.amdhsa_exception_int_div_zero 0
	.end_amdhsa_kernel
	.section	.text._ZN7rocprim17ROCPRIM_400000_NS6detail17trampoline_kernelINS0_14default_configENS1_20scan_config_selectorIjEEZZNS1_9scan_implILNS1_25lookback_scan_determinismE0ELb0ELb0ES3_N6thrust23THRUST_200600_302600_NS6detail15normal_iteratorINS9_10device_ptrIjEEEESE_jNS9_4plusIvEEjEEDaPvRmT3_T4_T5_mT6_P12ihipStream_tbENKUlT_T0_E_clISt17integral_constantIbLb0EESU_EEDaSP_SQ_EUlSP_E_NS1_11comp_targetILNS1_3genE8ELNS1_11target_archE1030ELNS1_3gpuE2ELNS1_3repE0EEENS1_30default_config_static_selectorELNS0_4arch9wavefront6targetE1EEEvT1_,"axG",@progbits,_ZN7rocprim17ROCPRIM_400000_NS6detail17trampoline_kernelINS0_14default_configENS1_20scan_config_selectorIjEEZZNS1_9scan_implILNS1_25lookback_scan_determinismE0ELb0ELb0ES3_N6thrust23THRUST_200600_302600_NS6detail15normal_iteratorINS9_10device_ptrIjEEEESE_jNS9_4plusIvEEjEEDaPvRmT3_T4_T5_mT6_P12ihipStream_tbENKUlT_T0_E_clISt17integral_constantIbLb0EESU_EEDaSP_SQ_EUlSP_E_NS1_11comp_targetILNS1_3genE8ELNS1_11target_archE1030ELNS1_3gpuE2ELNS1_3repE0EEENS1_30default_config_static_selectorELNS0_4arch9wavefront6targetE1EEEvT1_,comdat
.Lfunc_end4582:
	.size	_ZN7rocprim17ROCPRIM_400000_NS6detail17trampoline_kernelINS0_14default_configENS1_20scan_config_selectorIjEEZZNS1_9scan_implILNS1_25lookback_scan_determinismE0ELb0ELb0ES3_N6thrust23THRUST_200600_302600_NS6detail15normal_iteratorINS9_10device_ptrIjEEEESE_jNS9_4plusIvEEjEEDaPvRmT3_T4_T5_mT6_P12ihipStream_tbENKUlT_T0_E_clISt17integral_constantIbLb0EESU_EEDaSP_SQ_EUlSP_E_NS1_11comp_targetILNS1_3genE8ELNS1_11target_archE1030ELNS1_3gpuE2ELNS1_3repE0EEENS1_30default_config_static_selectorELNS0_4arch9wavefront6targetE1EEEvT1_, .Lfunc_end4582-_ZN7rocprim17ROCPRIM_400000_NS6detail17trampoline_kernelINS0_14default_configENS1_20scan_config_selectorIjEEZZNS1_9scan_implILNS1_25lookback_scan_determinismE0ELb0ELb0ES3_N6thrust23THRUST_200600_302600_NS6detail15normal_iteratorINS9_10device_ptrIjEEEESE_jNS9_4plusIvEEjEEDaPvRmT3_T4_T5_mT6_P12ihipStream_tbENKUlT_T0_E_clISt17integral_constantIbLb0EESU_EEDaSP_SQ_EUlSP_E_NS1_11comp_targetILNS1_3genE8ELNS1_11target_archE1030ELNS1_3gpuE2ELNS1_3repE0EEENS1_30default_config_static_selectorELNS0_4arch9wavefront6targetE1EEEvT1_
                                        ; -- End function
	.section	.AMDGPU.csdata,"",@progbits
; Kernel info:
; codeLenInByte = 0
; NumSgprs: 4
; NumVgprs: 0
; NumAgprs: 0
; TotalNumVgprs: 0
; ScratchSize: 0
; MemoryBound: 0
; FloatMode: 240
; IeeeMode: 1
; LDSByteSize: 0 bytes/workgroup (compile time only)
; SGPRBlocks: 0
; VGPRBlocks: 0
; NumSGPRsForWavesPerEU: 4
; NumVGPRsForWavesPerEU: 1
; AccumOffset: 4
; Occupancy: 8
; WaveLimiterHint : 0
; COMPUTE_PGM_RSRC2:SCRATCH_EN: 0
; COMPUTE_PGM_RSRC2:USER_SGPR: 6
; COMPUTE_PGM_RSRC2:TRAP_HANDLER: 0
; COMPUTE_PGM_RSRC2:TGID_X_EN: 1
; COMPUTE_PGM_RSRC2:TGID_Y_EN: 0
; COMPUTE_PGM_RSRC2:TGID_Z_EN: 0
; COMPUTE_PGM_RSRC2:TIDIG_COMP_CNT: 0
; COMPUTE_PGM_RSRC3_GFX90A:ACCUM_OFFSET: 0
; COMPUTE_PGM_RSRC3_GFX90A:TG_SPLIT: 0
	.section	.text._ZN7rocprim17ROCPRIM_400000_NS6detail17trampoline_kernelINS0_14default_configENS1_20scan_config_selectorIjEEZZNS1_9scan_implILNS1_25lookback_scan_determinismE0ELb0ELb0ES3_N6thrust23THRUST_200600_302600_NS6detail15normal_iteratorINS9_10device_ptrIjEEEESE_jNS9_4plusIvEEjEEDaPvRmT3_T4_T5_mT6_P12ihipStream_tbENKUlT_T0_E_clISt17integral_constantIbLb0EESU_EEDaSP_SQ_EUlSP_E0_NS1_11comp_targetILNS1_3genE0ELNS1_11target_archE4294967295ELNS1_3gpuE0ELNS1_3repE0EEENS1_30default_config_static_selectorELNS0_4arch9wavefront6targetE1EEEvT1_,"axG",@progbits,_ZN7rocprim17ROCPRIM_400000_NS6detail17trampoline_kernelINS0_14default_configENS1_20scan_config_selectorIjEEZZNS1_9scan_implILNS1_25lookback_scan_determinismE0ELb0ELb0ES3_N6thrust23THRUST_200600_302600_NS6detail15normal_iteratorINS9_10device_ptrIjEEEESE_jNS9_4plusIvEEjEEDaPvRmT3_T4_T5_mT6_P12ihipStream_tbENKUlT_T0_E_clISt17integral_constantIbLb0EESU_EEDaSP_SQ_EUlSP_E0_NS1_11comp_targetILNS1_3genE0ELNS1_11target_archE4294967295ELNS1_3gpuE0ELNS1_3repE0EEENS1_30default_config_static_selectorELNS0_4arch9wavefront6targetE1EEEvT1_,comdat
	.protected	_ZN7rocprim17ROCPRIM_400000_NS6detail17trampoline_kernelINS0_14default_configENS1_20scan_config_selectorIjEEZZNS1_9scan_implILNS1_25lookback_scan_determinismE0ELb0ELb0ES3_N6thrust23THRUST_200600_302600_NS6detail15normal_iteratorINS9_10device_ptrIjEEEESE_jNS9_4plusIvEEjEEDaPvRmT3_T4_T5_mT6_P12ihipStream_tbENKUlT_T0_E_clISt17integral_constantIbLb0EESU_EEDaSP_SQ_EUlSP_E0_NS1_11comp_targetILNS1_3genE0ELNS1_11target_archE4294967295ELNS1_3gpuE0ELNS1_3repE0EEENS1_30default_config_static_selectorELNS0_4arch9wavefront6targetE1EEEvT1_ ; -- Begin function _ZN7rocprim17ROCPRIM_400000_NS6detail17trampoline_kernelINS0_14default_configENS1_20scan_config_selectorIjEEZZNS1_9scan_implILNS1_25lookback_scan_determinismE0ELb0ELb0ES3_N6thrust23THRUST_200600_302600_NS6detail15normal_iteratorINS9_10device_ptrIjEEEESE_jNS9_4plusIvEEjEEDaPvRmT3_T4_T5_mT6_P12ihipStream_tbENKUlT_T0_E_clISt17integral_constantIbLb0EESU_EEDaSP_SQ_EUlSP_E0_NS1_11comp_targetILNS1_3genE0ELNS1_11target_archE4294967295ELNS1_3gpuE0ELNS1_3repE0EEENS1_30default_config_static_selectorELNS0_4arch9wavefront6targetE1EEEvT1_
	.globl	_ZN7rocprim17ROCPRIM_400000_NS6detail17trampoline_kernelINS0_14default_configENS1_20scan_config_selectorIjEEZZNS1_9scan_implILNS1_25lookback_scan_determinismE0ELb0ELb0ES3_N6thrust23THRUST_200600_302600_NS6detail15normal_iteratorINS9_10device_ptrIjEEEESE_jNS9_4plusIvEEjEEDaPvRmT3_T4_T5_mT6_P12ihipStream_tbENKUlT_T0_E_clISt17integral_constantIbLb0EESU_EEDaSP_SQ_EUlSP_E0_NS1_11comp_targetILNS1_3genE0ELNS1_11target_archE4294967295ELNS1_3gpuE0ELNS1_3repE0EEENS1_30default_config_static_selectorELNS0_4arch9wavefront6targetE1EEEvT1_
	.p2align	8
	.type	_ZN7rocprim17ROCPRIM_400000_NS6detail17trampoline_kernelINS0_14default_configENS1_20scan_config_selectorIjEEZZNS1_9scan_implILNS1_25lookback_scan_determinismE0ELb0ELb0ES3_N6thrust23THRUST_200600_302600_NS6detail15normal_iteratorINS9_10device_ptrIjEEEESE_jNS9_4plusIvEEjEEDaPvRmT3_T4_T5_mT6_P12ihipStream_tbENKUlT_T0_E_clISt17integral_constantIbLb0EESU_EEDaSP_SQ_EUlSP_E0_NS1_11comp_targetILNS1_3genE0ELNS1_11target_archE4294967295ELNS1_3gpuE0ELNS1_3repE0EEENS1_30default_config_static_selectorELNS0_4arch9wavefront6targetE1EEEvT1_,@function
_ZN7rocprim17ROCPRIM_400000_NS6detail17trampoline_kernelINS0_14default_configENS1_20scan_config_selectorIjEEZZNS1_9scan_implILNS1_25lookback_scan_determinismE0ELb0ELb0ES3_N6thrust23THRUST_200600_302600_NS6detail15normal_iteratorINS9_10device_ptrIjEEEESE_jNS9_4plusIvEEjEEDaPvRmT3_T4_T5_mT6_P12ihipStream_tbENKUlT_T0_E_clISt17integral_constantIbLb0EESU_EEDaSP_SQ_EUlSP_E0_NS1_11comp_targetILNS1_3genE0ELNS1_11target_archE4294967295ELNS1_3gpuE0ELNS1_3repE0EEENS1_30default_config_static_selectorELNS0_4arch9wavefront6targetE1EEEvT1_: ; @_ZN7rocprim17ROCPRIM_400000_NS6detail17trampoline_kernelINS0_14default_configENS1_20scan_config_selectorIjEEZZNS1_9scan_implILNS1_25lookback_scan_determinismE0ELb0ELb0ES3_N6thrust23THRUST_200600_302600_NS6detail15normal_iteratorINS9_10device_ptrIjEEEESE_jNS9_4plusIvEEjEEDaPvRmT3_T4_T5_mT6_P12ihipStream_tbENKUlT_T0_E_clISt17integral_constantIbLb0EESU_EEDaSP_SQ_EUlSP_E0_NS1_11comp_targetILNS1_3genE0ELNS1_11target_archE4294967295ELNS1_3gpuE0ELNS1_3repE0EEENS1_30default_config_static_selectorELNS0_4arch9wavefront6targetE1EEEvT1_
; %bb.0:
	.section	.rodata,"a",@progbits
	.p2align	6, 0x0
	.amdhsa_kernel _ZN7rocprim17ROCPRIM_400000_NS6detail17trampoline_kernelINS0_14default_configENS1_20scan_config_selectorIjEEZZNS1_9scan_implILNS1_25lookback_scan_determinismE0ELb0ELb0ES3_N6thrust23THRUST_200600_302600_NS6detail15normal_iteratorINS9_10device_ptrIjEEEESE_jNS9_4plusIvEEjEEDaPvRmT3_T4_T5_mT6_P12ihipStream_tbENKUlT_T0_E_clISt17integral_constantIbLb0EESU_EEDaSP_SQ_EUlSP_E0_NS1_11comp_targetILNS1_3genE0ELNS1_11target_archE4294967295ELNS1_3gpuE0ELNS1_3repE0EEENS1_30default_config_static_selectorELNS0_4arch9wavefront6targetE1EEEvT1_
		.amdhsa_group_segment_fixed_size 0
		.amdhsa_private_segment_fixed_size 0
		.amdhsa_kernarg_size 32
		.amdhsa_user_sgpr_count 6
		.amdhsa_user_sgpr_private_segment_buffer 1
		.amdhsa_user_sgpr_dispatch_ptr 0
		.amdhsa_user_sgpr_queue_ptr 0
		.amdhsa_user_sgpr_kernarg_segment_ptr 1
		.amdhsa_user_sgpr_dispatch_id 0
		.amdhsa_user_sgpr_flat_scratch_init 0
		.amdhsa_user_sgpr_kernarg_preload_length 0
		.amdhsa_user_sgpr_kernarg_preload_offset 0
		.amdhsa_user_sgpr_private_segment_size 0
		.amdhsa_uses_dynamic_stack 0
		.amdhsa_system_sgpr_private_segment_wavefront_offset 0
		.amdhsa_system_sgpr_workgroup_id_x 1
		.amdhsa_system_sgpr_workgroup_id_y 0
		.amdhsa_system_sgpr_workgroup_id_z 0
		.amdhsa_system_sgpr_workgroup_info 0
		.amdhsa_system_vgpr_workitem_id 0
		.amdhsa_next_free_vgpr 1
		.amdhsa_next_free_sgpr 0
		.amdhsa_accum_offset 4
		.amdhsa_reserve_vcc 0
		.amdhsa_reserve_flat_scratch 0
		.amdhsa_float_round_mode_32 0
		.amdhsa_float_round_mode_16_64 0
		.amdhsa_float_denorm_mode_32 3
		.amdhsa_float_denorm_mode_16_64 3
		.amdhsa_dx10_clamp 1
		.amdhsa_ieee_mode 1
		.amdhsa_fp16_overflow 0
		.amdhsa_tg_split 0
		.amdhsa_exception_fp_ieee_invalid_op 0
		.amdhsa_exception_fp_denorm_src 0
		.amdhsa_exception_fp_ieee_div_zero 0
		.amdhsa_exception_fp_ieee_overflow 0
		.amdhsa_exception_fp_ieee_underflow 0
		.amdhsa_exception_fp_ieee_inexact 0
		.amdhsa_exception_int_div_zero 0
	.end_amdhsa_kernel
	.section	.text._ZN7rocprim17ROCPRIM_400000_NS6detail17trampoline_kernelINS0_14default_configENS1_20scan_config_selectorIjEEZZNS1_9scan_implILNS1_25lookback_scan_determinismE0ELb0ELb0ES3_N6thrust23THRUST_200600_302600_NS6detail15normal_iteratorINS9_10device_ptrIjEEEESE_jNS9_4plusIvEEjEEDaPvRmT3_T4_T5_mT6_P12ihipStream_tbENKUlT_T0_E_clISt17integral_constantIbLb0EESU_EEDaSP_SQ_EUlSP_E0_NS1_11comp_targetILNS1_3genE0ELNS1_11target_archE4294967295ELNS1_3gpuE0ELNS1_3repE0EEENS1_30default_config_static_selectorELNS0_4arch9wavefront6targetE1EEEvT1_,"axG",@progbits,_ZN7rocprim17ROCPRIM_400000_NS6detail17trampoline_kernelINS0_14default_configENS1_20scan_config_selectorIjEEZZNS1_9scan_implILNS1_25lookback_scan_determinismE0ELb0ELb0ES3_N6thrust23THRUST_200600_302600_NS6detail15normal_iteratorINS9_10device_ptrIjEEEESE_jNS9_4plusIvEEjEEDaPvRmT3_T4_T5_mT6_P12ihipStream_tbENKUlT_T0_E_clISt17integral_constantIbLb0EESU_EEDaSP_SQ_EUlSP_E0_NS1_11comp_targetILNS1_3genE0ELNS1_11target_archE4294967295ELNS1_3gpuE0ELNS1_3repE0EEENS1_30default_config_static_selectorELNS0_4arch9wavefront6targetE1EEEvT1_,comdat
.Lfunc_end4583:
	.size	_ZN7rocprim17ROCPRIM_400000_NS6detail17trampoline_kernelINS0_14default_configENS1_20scan_config_selectorIjEEZZNS1_9scan_implILNS1_25lookback_scan_determinismE0ELb0ELb0ES3_N6thrust23THRUST_200600_302600_NS6detail15normal_iteratorINS9_10device_ptrIjEEEESE_jNS9_4plusIvEEjEEDaPvRmT3_T4_T5_mT6_P12ihipStream_tbENKUlT_T0_E_clISt17integral_constantIbLb0EESU_EEDaSP_SQ_EUlSP_E0_NS1_11comp_targetILNS1_3genE0ELNS1_11target_archE4294967295ELNS1_3gpuE0ELNS1_3repE0EEENS1_30default_config_static_selectorELNS0_4arch9wavefront6targetE1EEEvT1_, .Lfunc_end4583-_ZN7rocprim17ROCPRIM_400000_NS6detail17trampoline_kernelINS0_14default_configENS1_20scan_config_selectorIjEEZZNS1_9scan_implILNS1_25lookback_scan_determinismE0ELb0ELb0ES3_N6thrust23THRUST_200600_302600_NS6detail15normal_iteratorINS9_10device_ptrIjEEEESE_jNS9_4plusIvEEjEEDaPvRmT3_T4_T5_mT6_P12ihipStream_tbENKUlT_T0_E_clISt17integral_constantIbLb0EESU_EEDaSP_SQ_EUlSP_E0_NS1_11comp_targetILNS1_3genE0ELNS1_11target_archE4294967295ELNS1_3gpuE0ELNS1_3repE0EEENS1_30default_config_static_selectorELNS0_4arch9wavefront6targetE1EEEvT1_
                                        ; -- End function
	.section	.AMDGPU.csdata,"",@progbits
; Kernel info:
; codeLenInByte = 0
; NumSgprs: 4
; NumVgprs: 0
; NumAgprs: 0
; TotalNumVgprs: 0
; ScratchSize: 0
; MemoryBound: 0
; FloatMode: 240
; IeeeMode: 1
; LDSByteSize: 0 bytes/workgroup (compile time only)
; SGPRBlocks: 0
; VGPRBlocks: 0
; NumSGPRsForWavesPerEU: 4
; NumVGPRsForWavesPerEU: 1
; AccumOffset: 4
; Occupancy: 8
; WaveLimiterHint : 0
; COMPUTE_PGM_RSRC2:SCRATCH_EN: 0
; COMPUTE_PGM_RSRC2:USER_SGPR: 6
; COMPUTE_PGM_RSRC2:TRAP_HANDLER: 0
; COMPUTE_PGM_RSRC2:TGID_X_EN: 1
; COMPUTE_PGM_RSRC2:TGID_Y_EN: 0
; COMPUTE_PGM_RSRC2:TGID_Z_EN: 0
; COMPUTE_PGM_RSRC2:TIDIG_COMP_CNT: 0
; COMPUTE_PGM_RSRC3_GFX90A:ACCUM_OFFSET: 0
; COMPUTE_PGM_RSRC3_GFX90A:TG_SPLIT: 0
	.section	.text._ZN7rocprim17ROCPRIM_400000_NS6detail17trampoline_kernelINS0_14default_configENS1_20scan_config_selectorIjEEZZNS1_9scan_implILNS1_25lookback_scan_determinismE0ELb0ELb0ES3_N6thrust23THRUST_200600_302600_NS6detail15normal_iteratorINS9_10device_ptrIjEEEESE_jNS9_4plusIvEEjEEDaPvRmT3_T4_T5_mT6_P12ihipStream_tbENKUlT_T0_E_clISt17integral_constantIbLb0EESU_EEDaSP_SQ_EUlSP_E0_NS1_11comp_targetILNS1_3genE5ELNS1_11target_archE942ELNS1_3gpuE9ELNS1_3repE0EEENS1_30default_config_static_selectorELNS0_4arch9wavefront6targetE1EEEvT1_,"axG",@progbits,_ZN7rocprim17ROCPRIM_400000_NS6detail17trampoline_kernelINS0_14default_configENS1_20scan_config_selectorIjEEZZNS1_9scan_implILNS1_25lookback_scan_determinismE0ELb0ELb0ES3_N6thrust23THRUST_200600_302600_NS6detail15normal_iteratorINS9_10device_ptrIjEEEESE_jNS9_4plusIvEEjEEDaPvRmT3_T4_T5_mT6_P12ihipStream_tbENKUlT_T0_E_clISt17integral_constantIbLb0EESU_EEDaSP_SQ_EUlSP_E0_NS1_11comp_targetILNS1_3genE5ELNS1_11target_archE942ELNS1_3gpuE9ELNS1_3repE0EEENS1_30default_config_static_selectorELNS0_4arch9wavefront6targetE1EEEvT1_,comdat
	.protected	_ZN7rocprim17ROCPRIM_400000_NS6detail17trampoline_kernelINS0_14default_configENS1_20scan_config_selectorIjEEZZNS1_9scan_implILNS1_25lookback_scan_determinismE0ELb0ELb0ES3_N6thrust23THRUST_200600_302600_NS6detail15normal_iteratorINS9_10device_ptrIjEEEESE_jNS9_4plusIvEEjEEDaPvRmT3_T4_T5_mT6_P12ihipStream_tbENKUlT_T0_E_clISt17integral_constantIbLb0EESU_EEDaSP_SQ_EUlSP_E0_NS1_11comp_targetILNS1_3genE5ELNS1_11target_archE942ELNS1_3gpuE9ELNS1_3repE0EEENS1_30default_config_static_selectorELNS0_4arch9wavefront6targetE1EEEvT1_ ; -- Begin function _ZN7rocprim17ROCPRIM_400000_NS6detail17trampoline_kernelINS0_14default_configENS1_20scan_config_selectorIjEEZZNS1_9scan_implILNS1_25lookback_scan_determinismE0ELb0ELb0ES3_N6thrust23THRUST_200600_302600_NS6detail15normal_iteratorINS9_10device_ptrIjEEEESE_jNS9_4plusIvEEjEEDaPvRmT3_T4_T5_mT6_P12ihipStream_tbENKUlT_T0_E_clISt17integral_constantIbLb0EESU_EEDaSP_SQ_EUlSP_E0_NS1_11comp_targetILNS1_3genE5ELNS1_11target_archE942ELNS1_3gpuE9ELNS1_3repE0EEENS1_30default_config_static_selectorELNS0_4arch9wavefront6targetE1EEEvT1_
	.globl	_ZN7rocprim17ROCPRIM_400000_NS6detail17trampoline_kernelINS0_14default_configENS1_20scan_config_selectorIjEEZZNS1_9scan_implILNS1_25lookback_scan_determinismE0ELb0ELb0ES3_N6thrust23THRUST_200600_302600_NS6detail15normal_iteratorINS9_10device_ptrIjEEEESE_jNS9_4plusIvEEjEEDaPvRmT3_T4_T5_mT6_P12ihipStream_tbENKUlT_T0_E_clISt17integral_constantIbLb0EESU_EEDaSP_SQ_EUlSP_E0_NS1_11comp_targetILNS1_3genE5ELNS1_11target_archE942ELNS1_3gpuE9ELNS1_3repE0EEENS1_30default_config_static_selectorELNS0_4arch9wavefront6targetE1EEEvT1_
	.p2align	8
	.type	_ZN7rocprim17ROCPRIM_400000_NS6detail17trampoline_kernelINS0_14default_configENS1_20scan_config_selectorIjEEZZNS1_9scan_implILNS1_25lookback_scan_determinismE0ELb0ELb0ES3_N6thrust23THRUST_200600_302600_NS6detail15normal_iteratorINS9_10device_ptrIjEEEESE_jNS9_4plusIvEEjEEDaPvRmT3_T4_T5_mT6_P12ihipStream_tbENKUlT_T0_E_clISt17integral_constantIbLb0EESU_EEDaSP_SQ_EUlSP_E0_NS1_11comp_targetILNS1_3genE5ELNS1_11target_archE942ELNS1_3gpuE9ELNS1_3repE0EEENS1_30default_config_static_selectorELNS0_4arch9wavefront6targetE1EEEvT1_,@function
_ZN7rocprim17ROCPRIM_400000_NS6detail17trampoline_kernelINS0_14default_configENS1_20scan_config_selectorIjEEZZNS1_9scan_implILNS1_25lookback_scan_determinismE0ELb0ELb0ES3_N6thrust23THRUST_200600_302600_NS6detail15normal_iteratorINS9_10device_ptrIjEEEESE_jNS9_4plusIvEEjEEDaPvRmT3_T4_T5_mT6_P12ihipStream_tbENKUlT_T0_E_clISt17integral_constantIbLb0EESU_EEDaSP_SQ_EUlSP_E0_NS1_11comp_targetILNS1_3genE5ELNS1_11target_archE942ELNS1_3gpuE9ELNS1_3repE0EEENS1_30default_config_static_selectorELNS0_4arch9wavefront6targetE1EEEvT1_: ; @_ZN7rocprim17ROCPRIM_400000_NS6detail17trampoline_kernelINS0_14default_configENS1_20scan_config_selectorIjEEZZNS1_9scan_implILNS1_25lookback_scan_determinismE0ELb0ELb0ES3_N6thrust23THRUST_200600_302600_NS6detail15normal_iteratorINS9_10device_ptrIjEEEESE_jNS9_4plusIvEEjEEDaPvRmT3_T4_T5_mT6_P12ihipStream_tbENKUlT_T0_E_clISt17integral_constantIbLb0EESU_EEDaSP_SQ_EUlSP_E0_NS1_11comp_targetILNS1_3genE5ELNS1_11target_archE942ELNS1_3gpuE9ELNS1_3repE0EEENS1_30default_config_static_selectorELNS0_4arch9wavefront6targetE1EEEvT1_
; %bb.0:
	.section	.rodata,"a",@progbits
	.p2align	6, 0x0
	.amdhsa_kernel _ZN7rocprim17ROCPRIM_400000_NS6detail17trampoline_kernelINS0_14default_configENS1_20scan_config_selectorIjEEZZNS1_9scan_implILNS1_25lookback_scan_determinismE0ELb0ELb0ES3_N6thrust23THRUST_200600_302600_NS6detail15normal_iteratorINS9_10device_ptrIjEEEESE_jNS9_4plusIvEEjEEDaPvRmT3_T4_T5_mT6_P12ihipStream_tbENKUlT_T0_E_clISt17integral_constantIbLb0EESU_EEDaSP_SQ_EUlSP_E0_NS1_11comp_targetILNS1_3genE5ELNS1_11target_archE942ELNS1_3gpuE9ELNS1_3repE0EEENS1_30default_config_static_selectorELNS0_4arch9wavefront6targetE1EEEvT1_
		.amdhsa_group_segment_fixed_size 0
		.amdhsa_private_segment_fixed_size 0
		.amdhsa_kernarg_size 32
		.amdhsa_user_sgpr_count 6
		.amdhsa_user_sgpr_private_segment_buffer 1
		.amdhsa_user_sgpr_dispatch_ptr 0
		.amdhsa_user_sgpr_queue_ptr 0
		.amdhsa_user_sgpr_kernarg_segment_ptr 1
		.amdhsa_user_sgpr_dispatch_id 0
		.amdhsa_user_sgpr_flat_scratch_init 0
		.amdhsa_user_sgpr_kernarg_preload_length 0
		.amdhsa_user_sgpr_kernarg_preload_offset 0
		.amdhsa_user_sgpr_private_segment_size 0
		.amdhsa_uses_dynamic_stack 0
		.amdhsa_system_sgpr_private_segment_wavefront_offset 0
		.amdhsa_system_sgpr_workgroup_id_x 1
		.amdhsa_system_sgpr_workgroup_id_y 0
		.amdhsa_system_sgpr_workgroup_id_z 0
		.amdhsa_system_sgpr_workgroup_info 0
		.amdhsa_system_vgpr_workitem_id 0
		.amdhsa_next_free_vgpr 1
		.amdhsa_next_free_sgpr 0
		.amdhsa_accum_offset 4
		.amdhsa_reserve_vcc 0
		.amdhsa_reserve_flat_scratch 0
		.amdhsa_float_round_mode_32 0
		.amdhsa_float_round_mode_16_64 0
		.amdhsa_float_denorm_mode_32 3
		.amdhsa_float_denorm_mode_16_64 3
		.amdhsa_dx10_clamp 1
		.amdhsa_ieee_mode 1
		.amdhsa_fp16_overflow 0
		.amdhsa_tg_split 0
		.amdhsa_exception_fp_ieee_invalid_op 0
		.amdhsa_exception_fp_denorm_src 0
		.amdhsa_exception_fp_ieee_div_zero 0
		.amdhsa_exception_fp_ieee_overflow 0
		.amdhsa_exception_fp_ieee_underflow 0
		.amdhsa_exception_fp_ieee_inexact 0
		.amdhsa_exception_int_div_zero 0
	.end_amdhsa_kernel
	.section	.text._ZN7rocprim17ROCPRIM_400000_NS6detail17trampoline_kernelINS0_14default_configENS1_20scan_config_selectorIjEEZZNS1_9scan_implILNS1_25lookback_scan_determinismE0ELb0ELb0ES3_N6thrust23THRUST_200600_302600_NS6detail15normal_iteratorINS9_10device_ptrIjEEEESE_jNS9_4plusIvEEjEEDaPvRmT3_T4_T5_mT6_P12ihipStream_tbENKUlT_T0_E_clISt17integral_constantIbLb0EESU_EEDaSP_SQ_EUlSP_E0_NS1_11comp_targetILNS1_3genE5ELNS1_11target_archE942ELNS1_3gpuE9ELNS1_3repE0EEENS1_30default_config_static_selectorELNS0_4arch9wavefront6targetE1EEEvT1_,"axG",@progbits,_ZN7rocprim17ROCPRIM_400000_NS6detail17trampoline_kernelINS0_14default_configENS1_20scan_config_selectorIjEEZZNS1_9scan_implILNS1_25lookback_scan_determinismE0ELb0ELb0ES3_N6thrust23THRUST_200600_302600_NS6detail15normal_iteratorINS9_10device_ptrIjEEEESE_jNS9_4plusIvEEjEEDaPvRmT3_T4_T5_mT6_P12ihipStream_tbENKUlT_T0_E_clISt17integral_constantIbLb0EESU_EEDaSP_SQ_EUlSP_E0_NS1_11comp_targetILNS1_3genE5ELNS1_11target_archE942ELNS1_3gpuE9ELNS1_3repE0EEENS1_30default_config_static_selectorELNS0_4arch9wavefront6targetE1EEEvT1_,comdat
.Lfunc_end4584:
	.size	_ZN7rocprim17ROCPRIM_400000_NS6detail17trampoline_kernelINS0_14default_configENS1_20scan_config_selectorIjEEZZNS1_9scan_implILNS1_25lookback_scan_determinismE0ELb0ELb0ES3_N6thrust23THRUST_200600_302600_NS6detail15normal_iteratorINS9_10device_ptrIjEEEESE_jNS9_4plusIvEEjEEDaPvRmT3_T4_T5_mT6_P12ihipStream_tbENKUlT_T0_E_clISt17integral_constantIbLb0EESU_EEDaSP_SQ_EUlSP_E0_NS1_11comp_targetILNS1_3genE5ELNS1_11target_archE942ELNS1_3gpuE9ELNS1_3repE0EEENS1_30default_config_static_selectorELNS0_4arch9wavefront6targetE1EEEvT1_, .Lfunc_end4584-_ZN7rocprim17ROCPRIM_400000_NS6detail17trampoline_kernelINS0_14default_configENS1_20scan_config_selectorIjEEZZNS1_9scan_implILNS1_25lookback_scan_determinismE0ELb0ELb0ES3_N6thrust23THRUST_200600_302600_NS6detail15normal_iteratorINS9_10device_ptrIjEEEESE_jNS9_4plusIvEEjEEDaPvRmT3_T4_T5_mT6_P12ihipStream_tbENKUlT_T0_E_clISt17integral_constantIbLb0EESU_EEDaSP_SQ_EUlSP_E0_NS1_11comp_targetILNS1_3genE5ELNS1_11target_archE942ELNS1_3gpuE9ELNS1_3repE0EEENS1_30default_config_static_selectorELNS0_4arch9wavefront6targetE1EEEvT1_
                                        ; -- End function
	.section	.AMDGPU.csdata,"",@progbits
; Kernel info:
; codeLenInByte = 0
; NumSgprs: 4
; NumVgprs: 0
; NumAgprs: 0
; TotalNumVgprs: 0
; ScratchSize: 0
; MemoryBound: 0
; FloatMode: 240
; IeeeMode: 1
; LDSByteSize: 0 bytes/workgroup (compile time only)
; SGPRBlocks: 0
; VGPRBlocks: 0
; NumSGPRsForWavesPerEU: 4
; NumVGPRsForWavesPerEU: 1
; AccumOffset: 4
; Occupancy: 8
; WaveLimiterHint : 0
; COMPUTE_PGM_RSRC2:SCRATCH_EN: 0
; COMPUTE_PGM_RSRC2:USER_SGPR: 6
; COMPUTE_PGM_RSRC2:TRAP_HANDLER: 0
; COMPUTE_PGM_RSRC2:TGID_X_EN: 1
; COMPUTE_PGM_RSRC2:TGID_Y_EN: 0
; COMPUTE_PGM_RSRC2:TGID_Z_EN: 0
; COMPUTE_PGM_RSRC2:TIDIG_COMP_CNT: 0
; COMPUTE_PGM_RSRC3_GFX90A:ACCUM_OFFSET: 0
; COMPUTE_PGM_RSRC3_GFX90A:TG_SPLIT: 0
	.section	.text._ZN7rocprim17ROCPRIM_400000_NS6detail17trampoline_kernelINS0_14default_configENS1_20scan_config_selectorIjEEZZNS1_9scan_implILNS1_25lookback_scan_determinismE0ELb0ELb0ES3_N6thrust23THRUST_200600_302600_NS6detail15normal_iteratorINS9_10device_ptrIjEEEESE_jNS9_4plusIvEEjEEDaPvRmT3_T4_T5_mT6_P12ihipStream_tbENKUlT_T0_E_clISt17integral_constantIbLb0EESU_EEDaSP_SQ_EUlSP_E0_NS1_11comp_targetILNS1_3genE4ELNS1_11target_archE910ELNS1_3gpuE8ELNS1_3repE0EEENS1_30default_config_static_selectorELNS0_4arch9wavefront6targetE1EEEvT1_,"axG",@progbits,_ZN7rocprim17ROCPRIM_400000_NS6detail17trampoline_kernelINS0_14default_configENS1_20scan_config_selectorIjEEZZNS1_9scan_implILNS1_25lookback_scan_determinismE0ELb0ELb0ES3_N6thrust23THRUST_200600_302600_NS6detail15normal_iteratorINS9_10device_ptrIjEEEESE_jNS9_4plusIvEEjEEDaPvRmT3_T4_T5_mT6_P12ihipStream_tbENKUlT_T0_E_clISt17integral_constantIbLb0EESU_EEDaSP_SQ_EUlSP_E0_NS1_11comp_targetILNS1_3genE4ELNS1_11target_archE910ELNS1_3gpuE8ELNS1_3repE0EEENS1_30default_config_static_selectorELNS0_4arch9wavefront6targetE1EEEvT1_,comdat
	.protected	_ZN7rocprim17ROCPRIM_400000_NS6detail17trampoline_kernelINS0_14default_configENS1_20scan_config_selectorIjEEZZNS1_9scan_implILNS1_25lookback_scan_determinismE0ELb0ELb0ES3_N6thrust23THRUST_200600_302600_NS6detail15normal_iteratorINS9_10device_ptrIjEEEESE_jNS9_4plusIvEEjEEDaPvRmT3_T4_T5_mT6_P12ihipStream_tbENKUlT_T0_E_clISt17integral_constantIbLb0EESU_EEDaSP_SQ_EUlSP_E0_NS1_11comp_targetILNS1_3genE4ELNS1_11target_archE910ELNS1_3gpuE8ELNS1_3repE0EEENS1_30default_config_static_selectorELNS0_4arch9wavefront6targetE1EEEvT1_ ; -- Begin function _ZN7rocprim17ROCPRIM_400000_NS6detail17trampoline_kernelINS0_14default_configENS1_20scan_config_selectorIjEEZZNS1_9scan_implILNS1_25lookback_scan_determinismE0ELb0ELb0ES3_N6thrust23THRUST_200600_302600_NS6detail15normal_iteratorINS9_10device_ptrIjEEEESE_jNS9_4plusIvEEjEEDaPvRmT3_T4_T5_mT6_P12ihipStream_tbENKUlT_T0_E_clISt17integral_constantIbLb0EESU_EEDaSP_SQ_EUlSP_E0_NS1_11comp_targetILNS1_3genE4ELNS1_11target_archE910ELNS1_3gpuE8ELNS1_3repE0EEENS1_30default_config_static_selectorELNS0_4arch9wavefront6targetE1EEEvT1_
	.globl	_ZN7rocprim17ROCPRIM_400000_NS6detail17trampoline_kernelINS0_14default_configENS1_20scan_config_selectorIjEEZZNS1_9scan_implILNS1_25lookback_scan_determinismE0ELb0ELb0ES3_N6thrust23THRUST_200600_302600_NS6detail15normal_iteratorINS9_10device_ptrIjEEEESE_jNS9_4plusIvEEjEEDaPvRmT3_T4_T5_mT6_P12ihipStream_tbENKUlT_T0_E_clISt17integral_constantIbLb0EESU_EEDaSP_SQ_EUlSP_E0_NS1_11comp_targetILNS1_3genE4ELNS1_11target_archE910ELNS1_3gpuE8ELNS1_3repE0EEENS1_30default_config_static_selectorELNS0_4arch9wavefront6targetE1EEEvT1_
	.p2align	8
	.type	_ZN7rocprim17ROCPRIM_400000_NS6detail17trampoline_kernelINS0_14default_configENS1_20scan_config_selectorIjEEZZNS1_9scan_implILNS1_25lookback_scan_determinismE0ELb0ELb0ES3_N6thrust23THRUST_200600_302600_NS6detail15normal_iteratorINS9_10device_ptrIjEEEESE_jNS9_4plusIvEEjEEDaPvRmT3_T4_T5_mT6_P12ihipStream_tbENKUlT_T0_E_clISt17integral_constantIbLb0EESU_EEDaSP_SQ_EUlSP_E0_NS1_11comp_targetILNS1_3genE4ELNS1_11target_archE910ELNS1_3gpuE8ELNS1_3repE0EEENS1_30default_config_static_selectorELNS0_4arch9wavefront6targetE1EEEvT1_,@function
_ZN7rocprim17ROCPRIM_400000_NS6detail17trampoline_kernelINS0_14default_configENS1_20scan_config_selectorIjEEZZNS1_9scan_implILNS1_25lookback_scan_determinismE0ELb0ELb0ES3_N6thrust23THRUST_200600_302600_NS6detail15normal_iteratorINS9_10device_ptrIjEEEESE_jNS9_4plusIvEEjEEDaPvRmT3_T4_T5_mT6_P12ihipStream_tbENKUlT_T0_E_clISt17integral_constantIbLb0EESU_EEDaSP_SQ_EUlSP_E0_NS1_11comp_targetILNS1_3genE4ELNS1_11target_archE910ELNS1_3gpuE8ELNS1_3repE0EEENS1_30default_config_static_selectorELNS0_4arch9wavefront6targetE1EEEvT1_: ; @_ZN7rocprim17ROCPRIM_400000_NS6detail17trampoline_kernelINS0_14default_configENS1_20scan_config_selectorIjEEZZNS1_9scan_implILNS1_25lookback_scan_determinismE0ELb0ELb0ES3_N6thrust23THRUST_200600_302600_NS6detail15normal_iteratorINS9_10device_ptrIjEEEESE_jNS9_4plusIvEEjEEDaPvRmT3_T4_T5_mT6_P12ihipStream_tbENKUlT_T0_E_clISt17integral_constantIbLb0EESU_EEDaSP_SQ_EUlSP_E0_NS1_11comp_targetILNS1_3genE4ELNS1_11target_archE910ELNS1_3gpuE8ELNS1_3repE0EEENS1_30default_config_static_selectorELNS0_4arch9wavefront6targetE1EEEvT1_
; %bb.0:
	s_load_dwordx4 s[20:23], s[4:5], 0x0
	v_lshlrev_b32_e32 v20, 2, v0
	s_waitcnt lgkmcnt(0)
	s_load_dword s23, s[20:21], 0x0
	v_cmp_gt_u32_e32 vcc, s22, v0
	s_waitcnt lgkmcnt(0)
	v_mov_b32_e32 v1, s23
	s_and_saveexec_b64 s[0:1], vcc
	s_cbranch_execz .LBB4585_2
; %bb.1:
	global_load_dword v1, v20, s[20:21]
.LBB4585_2:
	s_or_b64 exec, exec, s[0:1]
	v_or_b32_e32 v2, 0x80, v0
	v_cmp_gt_u32_e64 s[0:1], s22, v2
	v_mov_b32_e32 v2, s23
	s_and_saveexec_b64 s[2:3], s[0:1]
	s_cbranch_execz .LBB4585_4
; %bb.3:
	global_load_dword v2, v20, s[20:21] offset:512
.LBB4585_4:
	s_or_b64 exec, exec, s[2:3]
	v_or_b32_e32 v3, 0x100, v0
	v_cmp_gt_u32_e64 s[2:3], s22, v3
	v_mov_b32_e32 v3, s23
	s_and_saveexec_b64 s[6:7], s[2:3]
	s_cbranch_execz .LBB4585_6
; %bb.5:
	global_load_dword v3, v20, s[20:21] offset:1024
.LBB4585_6:
	;; [unrolled: 9-line block ×7, first 2 shown]
	s_or_b64 exec, exec, s[14:15]
	v_or_b32_e32 v10, 0x400, v0
	v_cmp_gt_u32_e64 s[14:15], s22, v10
	v_mov_b32_e32 v9, s23
	s_and_saveexec_b64 s[16:17], s[14:15]
	s_cbranch_execz .LBB4585_18
; %bb.17:
	v_lshlrev_b32_e32 v9, 2, v10
	global_load_dword v9, v9, s[20:21]
.LBB4585_18:
	s_or_b64 exec, exec, s[16:17]
	v_or_b32_e32 v11, 0x480, v0
	v_cmp_gt_u32_e64 s[16:17], s22, v11
	v_mov_b32_e32 v10, s23
	s_and_saveexec_b64 s[22:23], s[16:17]
	s_cbranch_execz .LBB4585_20
; %bb.19:
	v_lshlrev_b32_e32 v10, 2, v11
	global_load_dword v10, v10, s[20:21]
.LBB4585_20:
	s_or_b64 exec, exec, s[22:23]
	s_waitcnt vmcnt(0)
	ds_write2st64_b32 v20, v1, v2 offset1:2
	ds_write2st64_b32 v20, v3, v4 offset0:4 offset1:6
	ds_write2st64_b32 v20, v5, v6 offset0:8 offset1:10
	;; [unrolled: 1-line block ×4, first 2 shown]
	v_mad_u32_u24 v1, v0, 36, v20
	s_waitcnt lgkmcnt(0)
	s_barrier
	ds_read2_b64 v[6:9], v1 offset1:1
	ds_read2_b64 v[2:5], v1 offset0:2 offset1:3
	ds_read_b64 v[18:19], v1 offset:32
	v_lshrrev_b32_e32 v21, 3, v0
	v_and_b32_e32 v21, 12, v21
	s_waitcnt lgkmcnt(2)
	v_add_u32_e32 v1, v7, v6
	v_add_u32_e32 v14, v1, v8
	;; [unrolled: 1-line block ×3, first 2 shown]
	s_waitcnt lgkmcnt(1)
	v_add_u32_e32 v10, v15, v2
	v_add_u32_e32 v11, v10, v3
	;; [unrolled: 1-line block ×4, first 2 shown]
	s_waitcnt lgkmcnt(0)
	v_add_u32_e32 v16, v13, v18
	v_add_u32_e32 v17, v16, v19
	;; [unrolled: 1-line block ×3, first 2 shown]
	v_cmp_gt_u32_e64 s[20:21], 64, v0
	s_barrier
	ds_write_b32 v21, v17
	s_waitcnt lgkmcnt(0)
	s_barrier
	s_and_saveexec_b64 s[22:23], s[20:21]
	s_cbranch_execz .LBB4585_22
; %bb.21:
	v_lshlrev_b32_e32 v21, 1, v0
	v_lshrrev_b32_e32 v22, 4, v0
	v_add_lshl_u32 v21, v22, v21, 2
	ds_read2_b32 v[22:23], v21 offset1:1
	v_mbcnt_lo_u32_b32 v24, -1, 0
	v_mbcnt_hi_u32_b32 v24, -1, v24
	v_and_b32_e32 v25, 15, v24
	v_cmp_ne_u32_e64 s[20:21], 0, v25
	s_waitcnt lgkmcnt(0)
	v_add_u32_e32 v23, v23, v22
	; wave barrier
	s_nop 1
	v_mov_b32_dpp v26, v23 row_shr:1 row_mask:0xf bank_mask:0xf
	v_cndmask_b32_e64 v26, 0, v26, s[20:21]
	v_add_u32_e32 v23, v26, v23
	v_cmp_lt_u32_e64 s[20:21], 1, v25
	s_nop 0
	v_mov_b32_dpp v26, v23 row_shr:2 row_mask:0xf bank_mask:0xf
	v_cndmask_b32_e64 v26, 0, v26, s[20:21]
	v_add_u32_e32 v23, v23, v26
	v_cmp_lt_u32_e64 s[20:21], 3, v25
	;; [unrolled: 5-line block ×3, first 2 shown]
	s_nop 0
	v_mov_b32_dpp v26, v23 row_shr:8 row_mask:0xf bank_mask:0xf
	v_cndmask_b32_e64 v25, 0, v26, s[20:21]
	v_add_u32_e32 v23, v23, v25
	v_bfe_i32 v26, v24, 4, 1
	v_cmp_lt_u32_e64 s[20:21], 31, v24
	v_mov_b32_dpp v25, v23 row_bcast:15 row_mask:0xf bank_mask:0xf
	v_and_b32_e32 v25, v26, v25
	v_add_u32_e32 v23, v23, v25
	v_and_b32_e32 v26, 64, v24
	s_nop 0
	v_mov_b32_dpp v25, v23 row_bcast:31 row_mask:0xf bank_mask:0xf
	v_cndmask_b32_e64 v25, 0, v25, s[20:21]
	v_add_u32_e32 v23, v23, v25
	v_add_u32_e32 v25, -1, v24
	v_cmp_lt_i32_e64 s[20:21], v25, v26
	v_cndmask_b32_e64 v24, v25, v24, s[20:21]
	v_lshlrev_b32_e32 v24, 2, v24
	ds_bpermute_b32 v23, v24, v23
	v_cmp_eq_u32_e64 s[20:21], 0, v0
	s_waitcnt lgkmcnt(0)
	v_add_u32_e32 v22, v23, v22
	v_cndmask_b32_e64 v22, v22, v17, s[20:21]
	ds_write_b32 v21, v22
	; wave barrier
	ds_read_b32 v23, v21 offset:4
	s_waitcnt lgkmcnt(0)
	v_add_u32_e32 v22, v23, v22
	ds_write_b32 v21, v22 offset:4
.LBB4585_22:
	s_or_b64 exec, exec, s[22:23]
	s_load_dwordx2 s[20:21], s[4:5], 0x18
	v_cmp_ne_u32_e64 s[4:5], 0, v0
	v_mov_b32_e32 v22, v17
	s_waitcnt lgkmcnt(0)
	s_barrier
	s_and_saveexec_b64 s[22:23], s[4:5]
	s_cbranch_execz .LBB4585_24
; %bb.23:
	v_add_u32_e32 v21, -1, v0
	v_lshrrev_b32_e32 v22, 5, v21
	v_add_lshl_u32 v21, v22, v21, 2
	ds_read_b32 v22, v21
.LBB4585_24:
	s_or_b64 exec, exec, s[22:23]
	v_mul_u32_u24_e32 v21, 36, v0
	v_mov_b32_e32 v0, v6
	s_and_saveexec_b64 s[22:23], s[4:5]
	s_cbranch_execz .LBB4585_26
; %bb.25:
	s_waitcnt lgkmcnt(0)
	v_add_u32_e32 v0, v22, v6
	v_add_u32_e32 v1, v0, v7
	;; [unrolled: 1-line block ×10, first 2 shown]
	;;#ASMSTART
	;;#ASMEND
.LBB4585_26:
	s_or_b64 exec, exec, s[22:23]
	v_add_u32_e32 v2, v20, v21
	s_waitcnt lgkmcnt(0)
	s_barrier
	ds_write2_b64 v2, v[0:1], v[14:15] offset1:1
	ds_write2_b64 v2, v[10:11], v[12:13] offset0:2 offset1:3
	ds_write_b64 v2, v[16:17] offset:32
	s_waitcnt lgkmcnt(0)
	s_barrier
	ds_read2st64_b32 v[8:9], v20 offset0:2 offset1:4
	ds_read2st64_b32 v[6:7], v20 offset0:6 offset1:8
	;; [unrolled: 1-line block ×4, first 2 shown]
	ds_read_b32 v10, v20 offset:4608
	v_mov_b32_e32 v1, s21
	v_add_co_u32_e64 v0, s[4:5], s20, v20
	v_addc_co_u32_e64 v1, s[4:5], 0, v1, s[4:5]
	s_and_saveexec_b64 s[4:5], vcc
	s_cbranch_execnz .LBB4585_37
; %bb.27:
	s_or_b64 exec, exec, s[4:5]
	s_and_saveexec_b64 s[4:5], s[0:1]
	s_cbranch_execnz .LBB4585_38
.LBB4585_28:
	s_or_b64 exec, exec, s[4:5]
	s_and_saveexec_b64 s[0:1], s[2:3]
	s_cbranch_execnz .LBB4585_39
.LBB4585_29:
	s_or_b64 exec, exec, s[0:1]
	s_and_saveexec_b64 s[0:1], s[18:19]
	s_cbranch_execnz .LBB4585_40
.LBB4585_30:
	s_or_b64 exec, exec, s[0:1]
	s_and_saveexec_b64 s[0:1], s[6:7]
	s_cbranch_execnz .LBB4585_41
.LBB4585_31:
	s_or_b64 exec, exec, s[0:1]
	s_and_saveexec_b64 s[0:1], s[8:9]
	s_cbranch_execnz .LBB4585_42
.LBB4585_32:
	s_or_b64 exec, exec, s[0:1]
	s_and_saveexec_b64 s[0:1], s[10:11]
	s_cbranch_execnz .LBB4585_43
.LBB4585_33:
	s_or_b64 exec, exec, s[0:1]
	s_and_saveexec_b64 s[0:1], s[12:13]
	s_cbranch_execnz .LBB4585_44
.LBB4585_34:
	s_or_b64 exec, exec, s[0:1]
	s_and_saveexec_b64 s[0:1], s[14:15]
	s_cbranch_execnz .LBB4585_45
.LBB4585_35:
	s_or_b64 exec, exec, s[0:1]
	s_and_saveexec_b64 s[0:1], s[16:17]
	s_cbranch_execnz .LBB4585_46
.LBB4585_36:
	s_endpgm
.LBB4585_37:
	ds_read_b32 v11, v20
	s_waitcnt lgkmcnt(0)
	global_store_dword v[0:1], v11, off
	s_or_b64 exec, exec, s[4:5]
	s_and_saveexec_b64 s[4:5], s[0:1]
	s_cbranch_execz .LBB4585_28
.LBB4585_38:
	s_waitcnt lgkmcnt(4)
	global_store_dword v[0:1], v8, off offset:512
	s_or_b64 exec, exec, s[4:5]
	s_and_saveexec_b64 s[0:1], s[2:3]
	s_cbranch_execz .LBB4585_29
.LBB4585_39:
	s_waitcnt lgkmcnt(4)
	global_store_dword v[0:1], v9, off offset:1024
	s_or_b64 exec, exec, s[0:1]
	s_and_saveexec_b64 s[0:1], s[18:19]
	s_cbranch_execz .LBB4585_30
.LBB4585_40:
	s_waitcnt lgkmcnt(3)
	global_store_dword v[0:1], v6, off offset:1536
	s_or_b64 exec, exec, s[0:1]
	s_and_saveexec_b64 s[0:1], s[6:7]
	s_cbranch_execz .LBB4585_31
.LBB4585_41:
	s_waitcnt lgkmcnt(3)
	global_store_dword v[0:1], v7, off offset:2048
	s_or_b64 exec, exec, s[0:1]
	s_and_saveexec_b64 s[0:1], s[8:9]
	s_cbranch_execz .LBB4585_32
.LBB4585_42:
	s_waitcnt lgkmcnt(2)
	global_store_dword v[0:1], v4, off offset:2560
	s_or_b64 exec, exec, s[0:1]
	s_and_saveexec_b64 s[0:1], s[10:11]
	s_cbranch_execz .LBB4585_33
.LBB4585_43:
	s_waitcnt lgkmcnt(2)
	global_store_dword v[0:1], v5, off offset:3072
	s_or_b64 exec, exec, s[0:1]
	s_and_saveexec_b64 s[0:1], s[12:13]
	s_cbranch_execz .LBB4585_34
.LBB4585_44:
	s_waitcnt lgkmcnt(1)
	global_store_dword v[0:1], v2, off offset:3584
	s_or_b64 exec, exec, s[0:1]
	s_and_saveexec_b64 s[0:1], s[14:15]
	s_cbranch_execz .LBB4585_35
.LBB4585_45:
	s_waitcnt lgkmcnt(2)
	v_add_co_u32_e32 v4, vcc, 0x1000, v0
	v_addc_co_u32_e32 v5, vcc, 0, v1, vcc
	s_waitcnt lgkmcnt(1)
	global_store_dword v[4:5], v3, off
	s_or_b64 exec, exec, s[0:1]
	s_and_saveexec_b64 s[0:1], s[16:17]
	s_cbranch_execz .LBB4585_36
.LBB4585_46:
	v_add_co_u32_e32 v0, vcc, 0x1000, v0
	v_addc_co_u32_e32 v1, vcc, 0, v1, vcc
	s_waitcnt lgkmcnt(0)
	global_store_dword v[0:1], v10, off offset:512
	s_endpgm
	.section	.rodata,"a",@progbits
	.p2align	6, 0x0
	.amdhsa_kernel _ZN7rocprim17ROCPRIM_400000_NS6detail17trampoline_kernelINS0_14default_configENS1_20scan_config_selectorIjEEZZNS1_9scan_implILNS1_25lookback_scan_determinismE0ELb0ELb0ES3_N6thrust23THRUST_200600_302600_NS6detail15normal_iteratorINS9_10device_ptrIjEEEESE_jNS9_4plusIvEEjEEDaPvRmT3_T4_T5_mT6_P12ihipStream_tbENKUlT_T0_E_clISt17integral_constantIbLb0EESU_EEDaSP_SQ_EUlSP_E0_NS1_11comp_targetILNS1_3genE4ELNS1_11target_archE910ELNS1_3gpuE8ELNS1_3repE0EEENS1_30default_config_static_selectorELNS0_4arch9wavefront6targetE1EEEvT1_
		.amdhsa_group_segment_fixed_size 5120
		.amdhsa_private_segment_fixed_size 0
		.amdhsa_kernarg_size 32
		.amdhsa_user_sgpr_count 6
		.amdhsa_user_sgpr_private_segment_buffer 1
		.amdhsa_user_sgpr_dispatch_ptr 0
		.amdhsa_user_sgpr_queue_ptr 0
		.amdhsa_user_sgpr_kernarg_segment_ptr 1
		.amdhsa_user_sgpr_dispatch_id 0
		.amdhsa_user_sgpr_flat_scratch_init 0
		.amdhsa_user_sgpr_kernarg_preload_length 0
		.amdhsa_user_sgpr_kernarg_preload_offset 0
		.amdhsa_user_sgpr_private_segment_size 0
		.amdhsa_uses_dynamic_stack 0
		.amdhsa_system_sgpr_private_segment_wavefront_offset 0
		.amdhsa_system_sgpr_workgroup_id_x 1
		.amdhsa_system_sgpr_workgroup_id_y 0
		.amdhsa_system_sgpr_workgroup_id_z 0
		.amdhsa_system_sgpr_workgroup_info 0
		.amdhsa_system_vgpr_workitem_id 0
		.amdhsa_next_free_vgpr 27
		.amdhsa_next_free_sgpr 24
		.amdhsa_accum_offset 28
		.amdhsa_reserve_vcc 1
		.amdhsa_reserve_flat_scratch 0
		.amdhsa_float_round_mode_32 0
		.amdhsa_float_round_mode_16_64 0
		.amdhsa_float_denorm_mode_32 3
		.amdhsa_float_denorm_mode_16_64 3
		.amdhsa_dx10_clamp 1
		.amdhsa_ieee_mode 1
		.amdhsa_fp16_overflow 0
		.amdhsa_tg_split 0
		.amdhsa_exception_fp_ieee_invalid_op 0
		.amdhsa_exception_fp_denorm_src 0
		.amdhsa_exception_fp_ieee_div_zero 0
		.amdhsa_exception_fp_ieee_overflow 0
		.amdhsa_exception_fp_ieee_underflow 0
		.amdhsa_exception_fp_ieee_inexact 0
		.amdhsa_exception_int_div_zero 0
	.end_amdhsa_kernel
	.section	.text._ZN7rocprim17ROCPRIM_400000_NS6detail17trampoline_kernelINS0_14default_configENS1_20scan_config_selectorIjEEZZNS1_9scan_implILNS1_25lookback_scan_determinismE0ELb0ELb0ES3_N6thrust23THRUST_200600_302600_NS6detail15normal_iteratorINS9_10device_ptrIjEEEESE_jNS9_4plusIvEEjEEDaPvRmT3_T4_T5_mT6_P12ihipStream_tbENKUlT_T0_E_clISt17integral_constantIbLb0EESU_EEDaSP_SQ_EUlSP_E0_NS1_11comp_targetILNS1_3genE4ELNS1_11target_archE910ELNS1_3gpuE8ELNS1_3repE0EEENS1_30default_config_static_selectorELNS0_4arch9wavefront6targetE1EEEvT1_,"axG",@progbits,_ZN7rocprim17ROCPRIM_400000_NS6detail17trampoline_kernelINS0_14default_configENS1_20scan_config_selectorIjEEZZNS1_9scan_implILNS1_25lookback_scan_determinismE0ELb0ELb0ES3_N6thrust23THRUST_200600_302600_NS6detail15normal_iteratorINS9_10device_ptrIjEEEESE_jNS9_4plusIvEEjEEDaPvRmT3_T4_T5_mT6_P12ihipStream_tbENKUlT_T0_E_clISt17integral_constantIbLb0EESU_EEDaSP_SQ_EUlSP_E0_NS1_11comp_targetILNS1_3genE4ELNS1_11target_archE910ELNS1_3gpuE8ELNS1_3repE0EEENS1_30default_config_static_selectorELNS0_4arch9wavefront6targetE1EEEvT1_,comdat
.Lfunc_end4585:
	.size	_ZN7rocprim17ROCPRIM_400000_NS6detail17trampoline_kernelINS0_14default_configENS1_20scan_config_selectorIjEEZZNS1_9scan_implILNS1_25lookback_scan_determinismE0ELb0ELb0ES3_N6thrust23THRUST_200600_302600_NS6detail15normal_iteratorINS9_10device_ptrIjEEEESE_jNS9_4plusIvEEjEEDaPvRmT3_T4_T5_mT6_P12ihipStream_tbENKUlT_T0_E_clISt17integral_constantIbLb0EESU_EEDaSP_SQ_EUlSP_E0_NS1_11comp_targetILNS1_3genE4ELNS1_11target_archE910ELNS1_3gpuE8ELNS1_3repE0EEENS1_30default_config_static_selectorELNS0_4arch9wavefront6targetE1EEEvT1_, .Lfunc_end4585-_ZN7rocprim17ROCPRIM_400000_NS6detail17trampoline_kernelINS0_14default_configENS1_20scan_config_selectorIjEEZZNS1_9scan_implILNS1_25lookback_scan_determinismE0ELb0ELb0ES3_N6thrust23THRUST_200600_302600_NS6detail15normal_iteratorINS9_10device_ptrIjEEEESE_jNS9_4plusIvEEjEEDaPvRmT3_T4_T5_mT6_P12ihipStream_tbENKUlT_T0_E_clISt17integral_constantIbLb0EESU_EEDaSP_SQ_EUlSP_E0_NS1_11comp_targetILNS1_3genE4ELNS1_11target_archE910ELNS1_3gpuE8ELNS1_3repE0EEENS1_30default_config_static_selectorELNS0_4arch9wavefront6targetE1EEEvT1_
                                        ; -- End function
	.section	.AMDGPU.csdata,"",@progbits
; Kernel info:
; codeLenInByte = 1556
; NumSgprs: 28
; NumVgprs: 27
; NumAgprs: 0
; TotalNumVgprs: 27
; ScratchSize: 0
; MemoryBound: 0
; FloatMode: 240
; IeeeMode: 1
; LDSByteSize: 5120 bytes/workgroup (compile time only)
; SGPRBlocks: 3
; VGPRBlocks: 3
; NumSGPRsForWavesPerEU: 28
; NumVGPRsForWavesPerEU: 27
; AccumOffset: 28
; Occupancy: 6
; WaveLimiterHint : 0
; COMPUTE_PGM_RSRC2:SCRATCH_EN: 0
; COMPUTE_PGM_RSRC2:USER_SGPR: 6
; COMPUTE_PGM_RSRC2:TRAP_HANDLER: 0
; COMPUTE_PGM_RSRC2:TGID_X_EN: 1
; COMPUTE_PGM_RSRC2:TGID_Y_EN: 0
; COMPUTE_PGM_RSRC2:TGID_Z_EN: 0
; COMPUTE_PGM_RSRC2:TIDIG_COMP_CNT: 0
; COMPUTE_PGM_RSRC3_GFX90A:ACCUM_OFFSET: 6
; COMPUTE_PGM_RSRC3_GFX90A:TG_SPLIT: 0
	.section	.text._ZN7rocprim17ROCPRIM_400000_NS6detail17trampoline_kernelINS0_14default_configENS1_20scan_config_selectorIjEEZZNS1_9scan_implILNS1_25lookback_scan_determinismE0ELb0ELb0ES3_N6thrust23THRUST_200600_302600_NS6detail15normal_iteratorINS9_10device_ptrIjEEEESE_jNS9_4plusIvEEjEEDaPvRmT3_T4_T5_mT6_P12ihipStream_tbENKUlT_T0_E_clISt17integral_constantIbLb0EESU_EEDaSP_SQ_EUlSP_E0_NS1_11comp_targetILNS1_3genE3ELNS1_11target_archE908ELNS1_3gpuE7ELNS1_3repE0EEENS1_30default_config_static_selectorELNS0_4arch9wavefront6targetE1EEEvT1_,"axG",@progbits,_ZN7rocprim17ROCPRIM_400000_NS6detail17trampoline_kernelINS0_14default_configENS1_20scan_config_selectorIjEEZZNS1_9scan_implILNS1_25lookback_scan_determinismE0ELb0ELb0ES3_N6thrust23THRUST_200600_302600_NS6detail15normal_iteratorINS9_10device_ptrIjEEEESE_jNS9_4plusIvEEjEEDaPvRmT3_T4_T5_mT6_P12ihipStream_tbENKUlT_T0_E_clISt17integral_constantIbLb0EESU_EEDaSP_SQ_EUlSP_E0_NS1_11comp_targetILNS1_3genE3ELNS1_11target_archE908ELNS1_3gpuE7ELNS1_3repE0EEENS1_30default_config_static_selectorELNS0_4arch9wavefront6targetE1EEEvT1_,comdat
	.protected	_ZN7rocprim17ROCPRIM_400000_NS6detail17trampoline_kernelINS0_14default_configENS1_20scan_config_selectorIjEEZZNS1_9scan_implILNS1_25lookback_scan_determinismE0ELb0ELb0ES3_N6thrust23THRUST_200600_302600_NS6detail15normal_iteratorINS9_10device_ptrIjEEEESE_jNS9_4plusIvEEjEEDaPvRmT3_T4_T5_mT6_P12ihipStream_tbENKUlT_T0_E_clISt17integral_constantIbLb0EESU_EEDaSP_SQ_EUlSP_E0_NS1_11comp_targetILNS1_3genE3ELNS1_11target_archE908ELNS1_3gpuE7ELNS1_3repE0EEENS1_30default_config_static_selectorELNS0_4arch9wavefront6targetE1EEEvT1_ ; -- Begin function _ZN7rocprim17ROCPRIM_400000_NS6detail17trampoline_kernelINS0_14default_configENS1_20scan_config_selectorIjEEZZNS1_9scan_implILNS1_25lookback_scan_determinismE0ELb0ELb0ES3_N6thrust23THRUST_200600_302600_NS6detail15normal_iteratorINS9_10device_ptrIjEEEESE_jNS9_4plusIvEEjEEDaPvRmT3_T4_T5_mT6_P12ihipStream_tbENKUlT_T0_E_clISt17integral_constantIbLb0EESU_EEDaSP_SQ_EUlSP_E0_NS1_11comp_targetILNS1_3genE3ELNS1_11target_archE908ELNS1_3gpuE7ELNS1_3repE0EEENS1_30default_config_static_selectorELNS0_4arch9wavefront6targetE1EEEvT1_
	.globl	_ZN7rocprim17ROCPRIM_400000_NS6detail17trampoline_kernelINS0_14default_configENS1_20scan_config_selectorIjEEZZNS1_9scan_implILNS1_25lookback_scan_determinismE0ELb0ELb0ES3_N6thrust23THRUST_200600_302600_NS6detail15normal_iteratorINS9_10device_ptrIjEEEESE_jNS9_4plusIvEEjEEDaPvRmT3_T4_T5_mT6_P12ihipStream_tbENKUlT_T0_E_clISt17integral_constantIbLb0EESU_EEDaSP_SQ_EUlSP_E0_NS1_11comp_targetILNS1_3genE3ELNS1_11target_archE908ELNS1_3gpuE7ELNS1_3repE0EEENS1_30default_config_static_selectorELNS0_4arch9wavefront6targetE1EEEvT1_
	.p2align	8
	.type	_ZN7rocprim17ROCPRIM_400000_NS6detail17trampoline_kernelINS0_14default_configENS1_20scan_config_selectorIjEEZZNS1_9scan_implILNS1_25lookback_scan_determinismE0ELb0ELb0ES3_N6thrust23THRUST_200600_302600_NS6detail15normal_iteratorINS9_10device_ptrIjEEEESE_jNS9_4plusIvEEjEEDaPvRmT3_T4_T5_mT6_P12ihipStream_tbENKUlT_T0_E_clISt17integral_constantIbLb0EESU_EEDaSP_SQ_EUlSP_E0_NS1_11comp_targetILNS1_3genE3ELNS1_11target_archE908ELNS1_3gpuE7ELNS1_3repE0EEENS1_30default_config_static_selectorELNS0_4arch9wavefront6targetE1EEEvT1_,@function
_ZN7rocprim17ROCPRIM_400000_NS6detail17trampoline_kernelINS0_14default_configENS1_20scan_config_selectorIjEEZZNS1_9scan_implILNS1_25lookback_scan_determinismE0ELb0ELb0ES3_N6thrust23THRUST_200600_302600_NS6detail15normal_iteratorINS9_10device_ptrIjEEEESE_jNS9_4plusIvEEjEEDaPvRmT3_T4_T5_mT6_P12ihipStream_tbENKUlT_T0_E_clISt17integral_constantIbLb0EESU_EEDaSP_SQ_EUlSP_E0_NS1_11comp_targetILNS1_3genE3ELNS1_11target_archE908ELNS1_3gpuE7ELNS1_3repE0EEENS1_30default_config_static_selectorELNS0_4arch9wavefront6targetE1EEEvT1_: ; @_ZN7rocprim17ROCPRIM_400000_NS6detail17trampoline_kernelINS0_14default_configENS1_20scan_config_selectorIjEEZZNS1_9scan_implILNS1_25lookback_scan_determinismE0ELb0ELb0ES3_N6thrust23THRUST_200600_302600_NS6detail15normal_iteratorINS9_10device_ptrIjEEEESE_jNS9_4plusIvEEjEEDaPvRmT3_T4_T5_mT6_P12ihipStream_tbENKUlT_T0_E_clISt17integral_constantIbLb0EESU_EEDaSP_SQ_EUlSP_E0_NS1_11comp_targetILNS1_3genE3ELNS1_11target_archE908ELNS1_3gpuE7ELNS1_3repE0EEENS1_30default_config_static_selectorELNS0_4arch9wavefront6targetE1EEEvT1_
; %bb.0:
	.section	.rodata,"a",@progbits
	.p2align	6, 0x0
	.amdhsa_kernel _ZN7rocprim17ROCPRIM_400000_NS6detail17trampoline_kernelINS0_14default_configENS1_20scan_config_selectorIjEEZZNS1_9scan_implILNS1_25lookback_scan_determinismE0ELb0ELb0ES3_N6thrust23THRUST_200600_302600_NS6detail15normal_iteratorINS9_10device_ptrIjEEEESE_jNS9_4plusIvEEjEEDaPvRmT3_T4_T5_mT6_P12ihipStream_tbENKUlT_T0_E_clISt17integral_constantIbLb0EESU_EEDaSP_SQ_EUlSP_E0_NS1_11comp_targetILNS1_3genE3ELNS1_11target_archE908ELNS1_3gpuE7ELNS1_3repE0EEENS1_30default_config_static_selectorELNS0_4arch9wavefront6targetE1EEEvT1_
		.amdhsa_group_segment_fixed_size 0
		.amdhsa_private_segment_fixed_size 0
		.amdhsa_kernarg_size 32
		.amdhsa_user_sgpr_count 6
		.amdhsa_user_sgpr_private_segment_buffer 1
		.amdhsa_user_sgpr_dispatch_ptr 0
		.amdhsa_user_sgpr_queue_ptr 0
		.amdhsa_user_sgpr_kernarg_segment_ptr 1
		.amdhsa_user_sgpr_dispatch_id 0
		.amdhsa_user_sgpr_flat_scratch_init 0
		.amdhsa_user_sgpr_kernarg_preload_length 0
		.amdhsa_user_sgpr_kernarg_preload_offset 0
		.amdhsa_user_sgpr_private_segment_size 0
		.amdhsa_uses_dynamic_stack 0
		.amdhsa_system_sgpr_private_segment_wavefront_offset 0
		.amdhsa_system_sgpr_workgroup_id_x 1
		.amdhsa_system_sgpr_workgroup_id_y 0
		.amdhsa_system_sgpr_workgroup_id_z 0
		.amdhsa_system_sgpr_workgroup_info 0
		.amdhsa_system_vgpr_workitem_id 0
		.amdhsa_next_free_vgpr 1
		.amdhsa_next_free_sgpr 0
		.amdhsa_accum_offset 4
		.amdhsa_reserve_vcc 0
		.amdhsa_reserve_flat_scratch 0
		.amdhsa_float_round_mode_32 0
		.amdhsa_float_round_mode_16_64 0
		.amdhsa_float_denorm_mode_32 3
		.amdhsa_float_denorm_mode_16_64 3
		.amdhsa_dx10_clamp 1
		.amdhsa_ieee_mode 1
		.amdhsa_fp16_overflow 0
		.amdhsa_tg_split 0
		.amdhsa_exception_fp_ieee_invalid_op 0
		.amdhsa_exception_fp_denorm_src 0
		.amdhsa_exception_fp_ieee_div_zero 0
		.amdhsa_exception_fp_ieee_overflow 0
		.amdhsa_exception_fp_ieee_underflow 0
		.amdhsa_exception_fp_ieee_inexact 0
		.amdhsa_exception_int_div_zero 0
	.end_amdhsa_kernel
	.section	.text._ZN7rocprim17ROCPRIM_400000_NS6detail17trampoline_kernelINS0_14default_configENS1_20scan_config_selectorIjEEZZNS1_9scan_implILNS1_25lookback_scan_determinismE0ELb0ELb0ES3_N6thrust23THRUST_200600_302600_NS6detail15normal_iteratorINS9_10device_ptrIjEEEESE_jNS9_4plusIvEEjEEDaPvRmT3_T4_T5_mT6_P12ihipStream_tbENKUlT_T0_E_clISt17integral_constantIbLb0EESU_EEDaSP_SQ_EUlSP_E0_NS1_11comp_targetILNS1_3genE3ELNS1_11target_archE908ELNS1_3gpuE7ELNS1_3repE0EEENS1_30default_config_static_selectorELNS0_4arch9wavefront6targetE1EEEvT1_,"axG",@progbits,_ZN7rocprim17ROCPRIM_400000_NS6detail17trampoline_kernelINS0_14default_configENS1_20scan_config_selectorIjEEZZNS1_9scan_implILNS1_25lookback_scan_determinismE0ELb0ELb0ES3_N6thrust23THRUST_200600_302600_NS6detail15normal_iteratorINS9_10device_ptrIjEEEESE_jNS9_4plusIvEEjEEDaPvRmT3_T4_T5_mT6_P12ihipStream_tbENKUlT_T0_E_clISt17integral_constantIbLb0EESU_EEDaSP_SQ_EUlSP_E0_NS1_11comp_targetILNS1_3genE3ELNS1_11target_archE908ELNS1_3gpuE7ELNS1_3repE0EEENS1_30default_config_static_selectorELNS0_4arch9wavefront6targetE1EEEvT1_,comdat
.Lfunc_end4586:
	.size	_ZN7rocprim17ROCPRIM_400000_NS6detail17trampoline_kernelINS0_14default_configENS1_20scan_config_selectorIjEEZZNS1_9scan_implILNS1_25lookback_scan_determinismE0ELb0ELb0ES3_N6thrust23THRUST_200600_302600_NS6detail15normal_iteratorINS9_10device_ptrIjEEEESE_jNS9_4plusIvEEjEEDaPvRmT3_T4_T5_mT6_P12ihipStream_tbENKUlT_T0_E_clISt17integral_constantIbLb0EESU_EEDaSP_SQ_EUlSP_E0_NS1_11comp_targetILNS1_3genE3ELNS1_11target_archE908ELNS1_3gpuE7ELNS1_3repE0EEENS1_30default_config_static_selectorELNS0_4arch9wavefront6targetE1EEEvT1_, .Lfunc_end4586-_ZN7rocprim17ROCPRIM_400000_NS6detail17trampoline_kernelINS0_14default_configENS1_20scan_config_selectorIjEEZZNS1_9scan_implILNS1_25lookback_scan_determinismE0ELb0ELb0ES3_N6thrust23THRUST_200600_302600_NS6detail15normal_iteratorINS9_10device_ptrIjEEEESE_jNS9_4plusIvEEjEEDaPvRmT3_T4_T5_mT6_P12ihipStream_tbENKUlT_T0_E_clISt17integral_constantIbLb0EESU_EEDaSP_SQ_EUlSP_E0_NS1_11comp_targetILNS1_3genE3ELNS1_11target_archE908ELNS1_3gpuE7ELNS1_3repE0EEENS1_30default_config_static_selectorELNS0_4arch9wavefront6targetE1EEEvT1_
                                        ; -- End function
	.section	.AMDGPU.csdata,"",@progbits
; Kernel info:
; codeLenInByte = 0
; NumSgprs: 4
; NumVgprs: 0
; NumAgprs: 0
; TotalNumVgprs: 0
; ScratchSize: 0
; MemoryBound: 0
; FloatMode: 240
; IeeeMode: 1
; LDSByteSize: 0 bytes/workgroup (compile time only)
; SGPRBlocks: 0
; VGPRBlocks: 0
; NumSGPRsForWavesPerEU: 4
; NumVGPRsForWavesPerEU: 1
; AccumOffset: 4
; Occupancy: 8
; WaveLimiterHint : 0
; COMPUTE_PGM_RSRC2:SCRATCH_EN: 0
; COMPUTE_PGM_RSRC2:USER_SGPR: 6
; COMPUTE_PGM_RSRC2:TRAP_HANDLER: 0
; COMPUTE_PGM_RSRC2:TGID_X_EN: 1
; COMPUTE_PGM_RSRC2:TGID_Y_EN: 0
; COMPUTE_PGM_RSRC2:TGID_Z_EN: 0
; COMPUTE_PGM_RSRC2:TIDIG_COMP_CNT: 0
; COMPUTE_PGM_RSRC3_GFX90A:ACCUM_OFFSET: 0
; COMPUTE_PGM_RSRC3_GFX90A:TG_SPLIT: 0
	.section	.text._ZN7rocprim17ROCPRIM_400000_NS6detail17trampoline_kernelINS0_14default_configENS1_20scan_config_selectorIjEEZZNS1_9scan_implILNS1_25lookback_scan_determinismE0ELb0ELb0ES3_N6thrust23THRUST_200600_302600_NS6detail15normal_iteratorINS9_10device_ptrIjEEEESE_jNS9_4plusIvEEjEEDaPvRmT3_T4_T5_mT6_P12ihipStream_tbENKUlT_T0_E_clISt17integral_constantIbLb0EESU_EEDaSP_SQ_EUlSP_E0_NS1_11comp_targetILNS1_3genE2ELNS1_11target_archE906ELNS1_3gpuE6ELNS1_3repE0EEENS1_30default_config_static_selectorELNS0_4arch9wavefront6targetE1EEEvT1_,"axG",@progbits,_ZN7rocprim17ROCPRIM_400000_NS6detail17trampoline_kernelINS0_14default_configENS1_20scan_config_selectorIjEEZZNS1_9scan_implILNS1_25lookback_scan_determinismE0ELb0ELb0ES3_N6thrust23THRUST_200600_302600_NS6detail15normal_iteratorINS9_10device_ptrIjEEEESE_jNS9_4plusIvEEjEEDaPvRmT3_T4_T5_mT6_P12ihipStream_tbENKUlT_T0_E_clISt17integral_constantIbLb0EESU_EEDaSP_SQ_EUlSP_E0_NS1_11comp_targetILNS1_3genE2ELNS1_11target_archE906ELNS1_3gpuE6ELNS1_3repE0EEENS1_30default_config_static_selectorELNS0_4arch9wavefront6targetE1EEEvT1_,comdat
	.protected	_ZN7rocprim17ROCPRIM_400000_NS6detail17trampoline_kernelINS0_14default_configENS1_20scan_config_selectorIjEEZZNS1_9scan_implILNS1_25lookback_scan_determinismE0ELb0ELb0ES3_N6thrust23THRUST_200600_302600_NS6detail15normal_iteratorINS9_10device_ptrIjEEEESE_jNS9_4plusIvEEjEEDaPvRmT3_T4_T5_mT6_P12ihipStream_tbENKUlT_T0_E_clISt17integral_constantIbLb0EESU_EEDaSP_SQ_EUlSP_E0_NS1_11comp_targetILNS1_3genE2ELNS1_11target_archE906ELNS1_3gpuE6ELNS1_3repE0EEENS1_30default_config_static_selectorELNS0_4arch9wavefront6targetE1EEEvT1_ ; -- Begin function _ZN7rocprim17ROCPRIM_400000_NS6detail17trampoline_kernelINS0_14default_configENS1_20scan_config_selectorIjEEZZNS1_9scan_implILNS1_25lookback_scan_determinismE0ELb0ELb0ES3_N6thrust23THRUST_200600_302600_NS6detail15normal_iteratorINS9_10device_ptrIjEEEESE_jNS9_4plusIvEEjEEDaPvRmT3_T4_T5_mT6_P12ihipStream_tbENKUlT_T0_E_clISt17integral_constantIbLb0EESU_EEDaSP_SQ_EUlSP_E0_NS1_11comp_targetILNS1_3genE2ELNS1_11target_archE906ELNS1_3gpuE6ELNS1_3repE0EEENS1_30default_config_static_selectorELNS0_4arch9wavefront6targetE1EEEvT1_
	.globl	_ZN7rocprim17ROCPRIM_400000_NS6detail17trampoline_kernelINS0_14default_configENS1_20scan_config_selectorIjEEZZNS1_9scan_implILNS1_25lookback_scan_determinismE0ELb0ELb0ES3_N6thrust23THRUST_200600_302600_NS6detail15normal_iteratorINS9_10device_ptrIjEEEESE_jNS9_4plusIvEEjEEDaPvRmT3_T4_T5_mT6_P12ihipStream_tbENKUlT_T0_E_clISt17integral_constantIbLb0EESU_EEDaSP_SQ_EUlSP_E0_NS1_11comp_targetILNS1_3genE2ELNS1_11target_archE906ELNS1_3gpuE6ELNS1_3repE0EEENS1_30default_config_static_selectorELNS0_4arch9wavefront6targetE1EEEvT1_
	.p2align	8
	.type	_ZN7rocprim17ROCPRIM_400000_NS6detail17trampoline_kernelINS0_14default_configENS1_20scan_config_selectorIjEEZZNS1_9scan_implILNS1_25lookback_scan_determinismE0ELb0ELb0ES3_N6thrust23THRUST_200600_302600_NS6detail15normal_iteratorINS9_10device_ptrIjEEEESE_jNS9_4plusIvEEjEEDaPvRmT3_T4_T5_mT6_P12ihipStream_tbENKUlT_T0_E_clISt17integral_constantIbLb0EESU_EEDaSP_SQ_EUlSP_E0_NS1_11comp_targetILNS1_3genE2ELNS1_11target_archE906ELNS1_3gpuE6ELNS1_3repE0EEENS1_30default_config_static_selectorELNS0_4arch9wavefront6targetE1EEEvT1_,@function
_ZN7rocprim17ROCPRIM_400000_NS6detail17trampoline_kernelINS0_14default_configENS1_20scan_config_selectorIjEEZZNS1_9scan_implILNS1_25lookback_scan_determinismE0ELb0ELb0ES3_N6thrust23THRUST_200600_302600_NS6detail15normal_iteratorINS9_10device_ptrIjEEEESE_jNS9_4plusIvEEjEEDaPvRmT3_T4_T5_mT6_P12ihipStream_tbENKUlT_T0_E_clISt17integral_constantIbLb0EESU_EEDaSP_SQ_EUlSP_E0_NS1_11comp_targetILNS1_3genE2ELNS1_11target_archE906ELNS1_3gpuE6ELNS1_3repE0EEENS1_30default_config_static_selectorELNS0_4arch9wavefront6targetE1EEEvT1_: ; @_ZN7rocprim17ROCPRIM_400000_NS6detail17trampoline_kernelINS0_14default_configENS1_20scan_config_selectorIjEEZZNS1_9scan_implILNS1_25lookback_scan_determinismE0ELb0ELb0ES3_N6thrust23THRUST_200600_302600_NS6detail15normal_iteratorINS9_10device_ptrIjEEEESE_jNS9_4plusIvEEjEEDaPvRmT3_T4_T5_mT6_P12ihipStream_tbENKUlT_T0_E_clISt17integral_constantIbLb0EESU_EEDaSP_SQ_EUlSP_E0_NS1_11comp_targetILNS1_3genE2ELNS1_11target_archE906ELNS1_3gpuE6ELNS1_3repE0EEENS1_30default_config_static_selectorELNS0_4arch9wavefront6targetE1EEEvT1_
; %bb.0:
	.section	.rodata,"a",@progbits
	.p2align	6, 0x0
	.amdhsa_kernel _ZN7rocprim17ROCPRIM_400000_NS6detail17trampoline_kernelINS0_14default_configENS1_20scan_config_selectorIjEEZZNS1_9scan_implILNS1_25lookback_scan_determinismE0ELb0ELb0ES3_N6thrust23THRUST_200600_302600_NS6detail15normal_iteratorINS9_10device_ptrIjEEEESE_jNS9_4plusIvEEjEEDaPvRmT3_T4_T5_mT6_P12ihipStream_tbENKUlT_T0_E_clISt17integral_constantIbLb0EESU_EEDaSP_SQ_EUlSP_E0_NS1_11comp_targetILNS1_3genE2ELNS1_11target_archE906ELNS1_3gpuE6ELNS1_3repE0EEENS1_30default_config_static_selectorELNS0_4arch9wavefront6targetE1EEEvT1_
		.amdhsa_group_segment_fixed_size 0
		.amdhsa_private_segment_fixed_size 0
		.amdhsa_kernarg_size 32
		.amdhsa_user_sgpr_count 6
		.amdhsa_user_sgpr_private_segment_buffer 1
		.amdhsa_user_sgpr_dispatch_ptr 0
		.amdhsa_user_sgpr_queue_ptr 0
		.amdhsa_user_sgpr_kernarg_segment_ptr 1
		.amdhsa_user_sgpr_dispatch_id 0
		.amdhsa_user_sgpr_flat_scratch_init 0
		.amdhsa_user_sgpr_kernarg_preload_length 0
		.amdhsa_user_sgpr_kernarg_preload_offset 0
		.amdhsa_user_sgpr_private_segment_size 0
		.amdhsa_uses_dynamic_stack 0
		.amdhsa_system_sgpr_private_segment_wavefront_offset 0
		.amdhsa_system_sgpr_workgroup_id_x 1
		.amdhsa_system_sgpr_workgroup_id_y 0
		.amdhsa_system_sgpr_workgroup_id_z 0
		.amdhsa_system_sgpr_workgroup_info 0
		.amdhsa_system_vgpr_workitem_id 0
		.amdhsa_next_free_vgpr 1
		.amdhsa_next_free_sgpr 0
		.amdhsa_accum_offset 4
		.amdhsa_reserve_vcc 0
		.amdhsa_reserve_flat_scratch 0
		.amdhsa_float_round_mode_32 0
		.amdhsa_float_round_mode_16_64 0
		.amdhsa_float_denorm_mode_32 3
		.amdhsa_float_denorm_mode_16_64 3
		.amdhsa_dx10_clamp 1
		.amdhsa_ieee_mode 1
		.amdhsa_fp16_overflow 0
		.amdhsa_tg_split 0
		.amdhsa_exception_fp_ieee_invalid_op 0
		.amdhsa_exception_fp_denorm_src 0
		.amdhsa_exception_fp_ieee_div_zero 0
		.amdhsa_exception_fp_ieee_overflow 0
		.amdhsa_exception_fp_ieee_underflow 0
		.amdhsa_exception_fp_ieee_inexact 0
		.amdhsa_exception_int_div_zero 0
	.end_amdhsa_kernel
	.section	.text._ZN7rocprim17ROCPRIM_400000_NS6detail17trampoline_kernelINS0_14default_configENS1_20scan_config_selectorIjEEZZNS1_9scan_implILNS1_25lookback_scan_determinismE0ELb0ELb0ES3_N6thrust23THRUST_200600_302600_NS6detail15normal_iteratorINS9_10device_ptrIjEEEESE_jNS9_4plusIvEEjEEDaPvRmT3_T4_T5_mT6_P12ihipStream_tbENKUlT_T0_E_clISt17integral_constantIbLb0EESU_EEDaSP_SQ_EUlSP_E0_NS1_11comp_targetILNS1_3genE2ELNS1_11target_archE906ELNS1_3gpuE6ELNS1_3repE0EEENS1_30default_config_static_selectorELNS0_4arch9wavefront6targetE1EEEvT1_,"axG",@progbits,_ZN7rocprim17ROCPRIM_400000_NS6detail17trampoline_kernelINS0_14default_configENS1_20scan_config_selectorIjEEZZNS1_9scan_implILNS1_25lookback_scan_determinismE0ELb0ELb0ES3_N6thrust23THRUST_200600_302600_NS6detail15normal_iteratorINS9_10device_ptrIjEEEESE_jNS9_4plusIvEEjEEDaPvRmT3_T4_T5_mT6_P12ihipStream_tbENKUlT_T0_E_clISt17integral_constantIbLb0EESU_EEDaSP_SQ_EUlSP_E0_NS1_11comp_targetILNS1_3genE2ELNS1_11target_archE906ELNS1_3gpuE6ELNS1_3repE0EEENS1_30default_config_static_selectorELNS0_4arch9wavefront6targetE1EEEvT1_,comdat
.Lfunc_end4587:
	.size	_ZN7rocprim17ROCPRIM_400000_NS6detail17trampoline_kernelINS0_14default_configENS1_20scan_config_selectorIjEEZZNS1_9scan_implILNS1_25lookback_scan_determinismE0ELb0ELb0ES3_N6thrust23THRUST_200600_302600_NS6detail15normal_iteratorINS9_10device_ptrIjEEEESE_jNS9_4plusIvEEjEEDaPvRmT3_T4_T5_mT6_P12ihipStream_tbENKUlT_T0_E_clISt17integral_constantIbLb0EESU_EEDaSP_SQ_EUlSP_E0_NS1_11comp_targetILNS1_3genE2ELNS1_11target_archE906ELNS1_3gpuE6ELNS1_3repE0EEENS1_30default_config_static_selectorELNS0_4arch9wavefront6targetE1EEEvT1_, .Lfunc_end4587-_ZN7rocprim17ROCPRIM_400000_NS6detail17trampoline_kernelINS0_14default_configENS1_20scan_config_selectorIjEEZZNS1_9scan_implILNS1_25lookback_scan_determinismE0ELb0ELb0ES3_N6thrust23THRUST_200600_302600_NS6detail15normal_iteratorINS9_10device_ptrIjEEEESE_jNS9_4plusIvEEjEEDaPvRmT3_T4_T5_mT6_P12ihipStream_tbENKUlT_T0_E_clISt17integral_constantIbLb0EESU_EEDaSP_SQ_EUlSP_E0_NS1_11comp_targetILNS1_3genE2ELNS1_11target_archE906ELNS1_3gpuE6ELNS1_3repE0EEENS1_30default_config_static_selectorELNS0_4arch9wavefront6targetE1EEEvT1_
                                        ; -- End function
	.section	.AMDGPU.csdata,"",@progbits
; Kernel info:
; codeLenInByte = 0
; NumSgprs: 4
; NumVgprs: 0
; NumAgprs: 0
; TotalNumVgprs: 0
; ScratchSize: 0
; MemoryBound: 0
; FloatMode: 240
; IeeeMode: 1
; LDSByteSize: 0 bytes/workgroup (compile time only)
; SGPRBlocks: 0
; VGPRBlocks: 0
; NumSGPRsForWavesPerEU: 4
; NumVGPRsForWavesPerEU: 1
; AccumOffset: 4
; Occupancy: 8
; WaveLimiterHint : 0
; COMPUTE_PGM_RSRC2:SCRATCH_EN: 0
; COMPUTE_PGM_RSRC2:USER_SGPR: 6
; COMPUTE_PGM_RSRC2:TRAP_HANDLER: 0
; COMPUTE_PGM_RSRC2:TGID_X_EN: 1
; COMPUTE_PGM_RSRC2:TGID_Y_EN: 0
; COMPUTE_PGM_RSRC2:TGID_Z_EN: 0
; COMPUTE_PGM_RSRC2:TIDIG_COMP_CNT: 0
; COMPUTE_PGM_RSRC3_GFX90A:ACCUM_OFFSET: 0
; COMPUTE_PGM_RSRC3_GFX90A:TG_SPLIT: 0
	.section	.text._ZN7rocprim17ROCPRIM_400000_NS6detail17trampoline_kernelINS0_14default_configENS1_20scan_config_selectorIjEEZZNS1_9scan_implILNS1_25lookback_scan_determinismE0ELb0ELb0ES3_N6thrust23THRUST_200600_302600_NS6detail15normal_iteratorINS9_10device_ptrIjEEEESE_jNS9_4plusIvEEjEEDaPvRmT3_T4_T5_mT6_P12ihipStream_tbENKUlT_T0_E_clISt17integral_constantIbLb0EESU_EEDaSP_SQ_EUlSP_E0_NS1_11comp_targetILNS1_3genE10ELNS1_11target_archE1201ELNS1_3gpuE5ELNS1_3repE0EEENS1_30default_config_static_selectorELNS0_4arch9wavefront6targetE1EEEvT1_,"axG",@progbits,_ZN7rocprim17ROCPRIM_400000_NS6detail17trampoline_kernelINS0_14default_configENS1_20scan_config_selectorIjEEZZNS1_9scan_implILNS1_25lookback_scan_determinismE0ELb0ELb0ES3_N6thrust23THRUST_200600_302600_NS6detail15normal_iteratorINS9_10device_ptrIjEEEESE_jNS9_4plusIvEEjEEDaPvRmT3_T4_T5_mT6_P12ihipStream_tbENKUlT_T0_E_clISt17integral_constantIbLb0EESU_EEDaSP_SQ_EUlSP_E0_NS1_11comp_targetILNS1_3genE10ELNS1_11target_archE1201ELNS1_3gpuE5ELNS1_3repE0EEENS1_30default_config_static_selectorELNS0_4arch9wavefront6targetE1EEEvT1_,comdat
	.protected	_ZN7rocprim17ROCPRIM_400000_NS6detail17trampoline_kernelINS0_14default_configENS1_20scan_config_selectorIjEEZZNS1_9scan_implILNS1_25lookback_scan_determinismE0ELb0ELb0ES3_N6thrust23THRUST_200600_302600_NS6detail15normal_iteratorINS9_10device_ptrIjEEEESE_jNS9_4plusIvEEjEEDaPvRmT3_T4_T5_mT6_P12ihipStream_tbENKUlT_T0_E_clISt17integral_constantIbLb0EESU_EEDaSP_SQ_EUlSP_E0_NS1_11comp_targetILNS1_3genE10ELNS1_11target_archE1201ELNS1_3gpuE5ELNS1_3repE0EEENS1_30default_config_static_selectorELNS0_4arch9wavefront6targetE1EEEvT1_ ; -- Begin function _ZN7rocprim17ROCPRIM_400000_NS6detail17trampoline_kernelINS0_14default_configENS1_20scan_config_selectorIjEEZZNS1_9scan_implILNS1_25lookback_scan_determinismE0ELb0ELb0ES3_N6thrust23THRUST_200600_302600_NS6detail15normal_iteratorINS9_10device_ptrIjEEEESE_jNS9_4plusIvEEjEEDaPvRmT3_T4_T5_mT6_P12ihipStream_tbENKUlT_T0_E_clISt17integral_constantIbLb0EESU_EEDaSP_SQ_EUlSP_E0_NS1_11comp_targetILNS1_3genE10ELNS1_11target_archE1201ELNS1_3gpuE5ELNS1_3repE0EEENS1_30default_config_static_selectorELNS0_4arch9wavefront6targetE1EEEvT1_
	.globl	_ZN7rocprim17ROCPRIM_400000_NS6detail17trampoline_kernelINS0_14default_configENS1_20scan_config_selectorIjEEZZNS1_9scan_implILNS1_25lookback_scan_determinismE0ELb0ELb0ES3_N6thrust23THRUST_200600_302600_NS6detail15normal_iteratorINS9_10device_ptrIjEEEESE_jNS9_4plusIvEEjEEDaPvRmT3_T4_T5_mT6_P12ihipStream_tbENKUlT_T0_E_clISt17integral_constantIbLb0EESU_EEDaSP_SQ_EUlSP_E0_NS1_11comp_targetILNS1_3genE10ELNS1_11target_archE1201ELNS1_3gpuE5ELNS1_3repE0EEENS1_30default_config_static_selectorELNS0_4arch9wavefront6targetE1EEEvT1_
	.p2align	8
	.type	_ZN7rocprim17ROCPRIM_400000_NS6detail17trampoline_kernelINS0_14default_configENS1_20scan_config_selectorIjEEZZNS1_9scan_implILNS1_25lookback_scan_determinismE0ELb0ELb0ES3_N6thrust23THRUST_200600_302600_NS6detail15normal_iteratorINS9_10device_ptrIjEEEESE_jNS9_4plusIvEEjEEDaPvRmT3_T4_T5_mT6_P12ihipStream_tbENKUlT_T0_E_clISt17integral_constantIbLb0EESU_EEDaSP_SQ_EUlSP_E0_NS1_11comp_targetILNS1_3genE10ELNS1_11target_archE1201ELNS1_3gpuE5ELNS1_3repE0EEENS1_30default_config_static_selectorELNS0_4arch9wavefront6targetE1EEEvT1_,@function
_ZN7rocprim17ROCPRIM_400000_NS6detail17trampoline_kernelINS0_14default_configENS1_20scan_config_selectorIjEEZZNS1_9scan_implILNS1_25lookback_scan_determinismE0ELb0ELb0ES3_N6thrust23THRUST_200600_302600_NS6detail15normal_iteratorINS9_10device_ptrIjEEEESE_jNS9_4plusIvEEjEEDaPvRmT3_T4_T5_mT6_P12ihipStream_tbENKUlT_T0_E_clISt17integral_constantIbLb0EESU_EEDaSP_SQ_EUlSP_E0_NS1_11comp_targetILNS1_3genE10ELNS1_11target_archE1201ELNS1_3gpuE5ELNS1_3repE0EEENS1_30default_config_static_selectorELNS0_4arch9wavefront6targetE1EEEvT1_: ; @_ZN7rocprim17ROCPRIM_400000_NS6detail17trampoline_kernelINS0_14default_configENS1_20scan_config_selectorIjEEZZNS1_9scan_implILNS1_25lookback_scan_determinismE0ELb0ELb0ES3_N6thrust23THRUST_200600_302600_NS6detail15normal_iteratorINS9_10device_ptrIjEEEESE_jNS9_4plusIvEEjEEDaPvRmT3_T4_T5_mT6_P12ihipStream_tbENKUlT_T0_E_clISt17integral_constantIbLb0EESU_EEDaSP_SQ_EUlSP_E0_NS1_11comp_targetILNS1_3genE10ELNS1_11target_archE1201ELNS1_3gpuE5ELNS1_3repE0EEENS1_30default_config_static_selectorELNS0_4arch9wavefront6targetE1EEEvT1_
; %bb.0:
	.section	.rodata,"a",@progbits
	.p2align	6, 0x0
	.amdhsa_kernel _ZN7rocprim17ROCPRIM_400000_NS6detail17trampoline_kernelINS0_14default_configENS1_20scan_config_selectorIjEEZZNS1_9scan_implILNS1_25lookback_scan_determinismE0ELb0ELb0ES3_N6thrust23THRUST_200600_302600_NS6detail15normal_iteratorINS9_10device_ptrIjEEEESE_jNS9_4plusIvEEjEEDaPvRmT3_T4_T5_mT6_P12ihipStream_tbENKUlT_T0_E_clISt17integral_constantIbLb0EESU_EEDaSP_SQ_EUlSP_E0_NS1_11comp_targetILNS1_3genE10ELNS1_11target_archE1201ELNS1_3gpuE5ELNS1_3repE0EEENS1_30default_config_static_selectorELNS0_4arch9wavefront6targetE1EEEvT1_
		.amdhsa_group_segment_fixed_size 0
		.amdhsa_private_segment_fixed_size 0
		.amdhsa_kernarg_size 32
		.amdhsa_user_sgpr_count 6
		.amdhsa_user_sgpr_private_segment_buffer 1
		.amdhsa_user_sgpr_dispatch_ptr 0
		.amdhsa_user_sgpr_queue_ptr 0
		.amdhsa_user_sgpr_kernarg_segment_ptr 1
		.amdhsa_user_sgpr_dispatch_id 0
		.amdhsa_user_sgpr_flat_scratch_init 0
		.amdhsa_user_sgpr_kernarg_preload_length 0
		.amdhsa_user_sgpr_kernarg_preload_offset 0
		.amdhsa_user_sgpr_private_segment_size 0
		.amdhsa_uses_dynamic_stack 0
		.amdhsa_system_sgpr_private_segment_wavefront_offset 0
		.amdhsa_system_sgpr_workgroup_id_x 1
		.amdhsa_system_sgpr_workgroup_id_y 0
		.amdhsa_system_sgpr_workgroup_id_z 0
		.amdhsa_system_sgpr_workgroup_info 0
		.amdhsa_system_vgpr_workitem_id 0
		.amdhsa_next_free_vgpr 1
		.amdhsa_next_free_sgpr 0
		.amdhsa_accum_offset 4
		.amdhsa_reserve_vcc 0
		.amdhsa_reserve_flat_scratch 0
		.amdhsa_float_round_mode_32 0
		.amdhsa_float_round_mode_16_64 0
		.amdhsa_float_denorm_mode_32 3
		.amdhsa_float_denorm_mode_16_64 3
		.amdhsa_dx10_clamp 1
		.amdhsa_ieee_mode 1
		.amdhsa_fp16_overflow 0
		.amdhsa_tg_split 0
		.amdhsa_exception_fp_ieee_invalid_op 0
		.amdhsa_exception_fp_denorm_src 0
		.amdhsa_exception_fp_ieee_div_zero 0
		.amdhsa_exception_fp_ieee_overflow 0
		.amdhsa_exception_fp_ieee_underflow 0
		.amdhsa_exception_fp_ieee_inexact 0
		.amdhsa_exception_int_div_zero 0
	.end_amdhsa_kernel
	.section	.text._ZN7rocprim17ROCPRIM_400000_NS6detail17trampoline_kernelINS0_14default_configENS1_20scan_config_selectorIjEEZZNS1_9scan_implILNS1_25lookback_scan_determinismE0ELb0ELb0ES3_N6thrust23THRUST_200600_302600_NS6detail15normal_iteratorINS9_10device_ptrIjEEEESE_jNS9_4plusIvEEjEEDaPvRmT3_T4_T5_mT6_P12ihipStream_tbENKUlT_T0_E_clISt17integral_constantIbLb0EESU_EEDaSP_SQ_EUlSP_E0_NS1_11comp_targetILNS1_3genE10ELNS1_11target_archE1201ELNS1_3gpuE5ELNS1_3repE0EEENS1_30default_config_static_selectorELNS0_4arch9wavefront6targetE1EEEvT1_,"axG",@progbits,_ZN7rocprim17ROCPRIM_400000_NS6detail17trampoline_kernelINS0_14default_configENS1_20scan_config_selectorIjEEZZNS1_9scan_implILNS1_25lookback_scan_determinismE0ELb0ELb0ES3_N6thrust23THRUST_200600_302600_NS6detail15normal_iteratorINS9_10device_ptrIjEEEESE_jNS9_4plusIvEEjEEDaPvRmT3_T4_T5_mT6_P12ihipStream_tbENKUlT_T0_E_clISt17integral_constantIbLb0EESU_EEDaSP_SQ_EUlSP_E0_NS1_11comp_targetILNS1_3genE10ELNS1_11target_archE1201ELNS1_3gpuE5ELNS1_3repE0EEENS1_30default_config_static_selectorELNS0_4arch9wavefront6targetE1EEEvT1_,comdat
.Lfunc_end4588:
	.size	_ZN7rocprim17ROCPRIM_400000_NS6detail17trampoline_kernelINS0_14default_configENS1_20scan_config_selectorIjEEZZNS1_9scan_implILNS1_25lookback_scan_determinismE0ELb0ELb0ES3_N6thrust23THRUST_200600_302600_NS6detail15normal_iteratorINS9_10device_ptrIjEEEESE_jNS9_4plusIvEEjEEDaPvRmT3_T4_T5_mT6_P12ihipStream_tbENKUlT_T0_E_clISt17integral_constantIbLb0EESU_EEDaSP_SQ_EUlSP_E0_NS1_11comp_targetILNS1_3genE10ELNS1_11target_archE1201ELNS1_3gpuE5ELNS1_3repE0EEENS1_30default_config_static_selectorELNS0_4arch9wavefront6targetE1EEEvT1_, .Lfunc_end4588-_ZN7rocprim17ROCPRIM_400000_NS6detail17trampoline_kernelINS0_14default_configENS1_20scan_config_selectorIjEEZZNS1_9scan_implILNS1_25lookback_scan_determinismE0ELb0ELb0ES3_N6thrust23THRUST_200600_302600_NS6detail15normal_iteratorINS9_10device_ptrIjEEEESE_jNS9_4plusIvEEjEEDaPvRmT3_T4_T5_mT6_P12ihipStream_tbENKUlT_T0_E_clISt17integral_constantIbLb0EESU_EEDaSP_SQ_EUlSP_E0_NS1_11comp_targetILNS1_3genE10ELNS1_11target_archE1201ELNS1_3gpuE5ELNS1_3repE0EEENS1_30default_config_static_selectorELNS0_4arch9wavefront6targetE1EEEvT1_
                                        ; -- End function
	.section	.AMDGPU.csdata,"",@progbits
; Kernel info:
; codeLenInByte = 0
; NumSgprs: 4
; NumVgprs: 0
; NumAgprs: 0
; TotalNumVgprs: 0
; ScratchSize: 0
; MemoryBound: 0
; FloatMode: 240
; IeeeMode: 1
; LDSByteSize: 0 bytes/workgroup (compile time only)
; SGPRBlocks: 0
; VGPRBlocks: 0
; NumSGPRsForWavesPerEU: 4
; NumVGPRsForWavesPerEU: 1
; AccumOffset: 4
; Occupancy: 8
; WaveLimiterHint : 0
; COMPUTE_PGM_RSRC2:SCRATCH_EN: 0
; COMPUTE_PGM_RSRC2:USER_SGPR: 6
; COMPUTE_PGM_RSRC2:TRAP_HANDLER: 0
; COMPUTE_PGM_RSRC2:TGID_X_EN: 1
; COMPUTE_PGM_RSRC2:TGID_Y_EN: 0
; COMPUTE_PGM_RSRC2:TGID_Z_EN: 0
; COMPUTE_PGM_RSRC2:TIDIG_COMP_CNT: 0
; COMPUTE_PGM_RSRC3_GFX90A:ACCUM_OFFSET: 0
; COMPUTE_PGM_RSRC3_GFX90A:TG_SPLIT: 0
	.section	.text._ZN7rocprim17ROCPRIM_400000_NS6detail17trampoline_kernelINS0_14default_configENS1_20scan_config_selectorIjEEZZNS1_9scan_implILNS1_25lookback_scan_determinismE0ELb0ELb0ES3_N6thrust23THRUST_200600_302600_NS6detail15normal_iteratorINS9_10device_ptrIjEEEESE_jNS9_4plusIvEEjEEDaPvRmT3_T4_T5_mT6_P12ihipStream_tbENKUlT_T0_E_clISt17integral_constantIbLb0EESU_EEDaSP_SQ_EUlSP_E0_NS1_11comp_targetILNS1_3genE10ELNS1_11target_archE1200ELNS1_3gpuE4ELNS1_3repE0EEENS1_30default_config_static_selectorELNS0_4arch9wavefront6targetE1EEEvT1_,"axG",@progbits,_ZN7rocprim17ROCPRIM_400000_NS6detail17trampoline_kernelINS0_14default_configENS1_20scan_config_selectorIjEEZZNS1_9scan_implILNS1_25lookback_scan_determinismE0ELb0ELb0ES3_N6thrust23THRUST_200600_302600_NS6detail15normal_iteratorINS9_10device_ptrIjEEEESE_jNS9_4plusIvEEjEEDaPvRmT3_T4_T5_mT6_P12ihipStream_tbENKUlT_T0_E_clISt17integral_constantIbLb0EESU_EEDaSP_SQ_EUlSP_E0_NS1_11comp_targetILNS1_3genE10ELNS1_11target_archE1200ELNS1_3gpuE4ELNS1_3repE0EEENS1_30default_config_static_selectorELNS0_4arch9wavefront6targetE1EEEvT1_,comdat
	.protected	_ZN7rocprim17ROCPRIM_400000_NS6detail17trampoline_kernelINS0_14default_configENS1_20scan_config_selectorIjEEZZNS1_9scan_implILNS1_25lookback_scan_determinismE0ELb0ELb0ES3_N6thrust23THRUST_200600_302600_NS6detail15normal_iteratorINS9_10device_ptrIjEEEESE_jNS9_4plusIvEEjEEDaPvRmT3_T4_T5_mT6_P12ihipStream_tbENKUlT_T0_E_clISt17integral_constantIbLb0EESU_EEDaSP_SQ_EUlSP_E0_NS1_11comp_targetILNS1_3genE10ELNS1_11target_archE1200ELNS1_3gpuE4ELNS1_3repE0EEENS1_30default_config_static_selectorELNS0_4arch9wavefront6targetE1EEEvT1_ ; -- Begin function _ZN7rocprim17ROCPRIM_400000_NS6detail17trampoline_kernelINS0_14default_configENS1_20scan_config_selectorIjEEZZNS1_9scan_implILNS1_25lookback_scan_determinismE0ELb0ELb0ES3_N6thrust23THRUST_200600_302600_NS6detail15normal_iteratorINS9_10device_ptrIjEEEESE_jNS9_4plusIvEEjEEDaPvRmT3_T4_T5_mT6_P12ihipStream_tbENKUlT_T0_E_clISt17integral_constantIbLb0EESU_EEDaSP_SQ_EUlSP_E0_NS1_11comp_targetILNS1_3genE10ELNS1_11target_archE1200ELNS1_3gpuE4ELNS1_3repE0EEENS1_30default_config_static_selectorELNS0_4arch9wavefront6targetE1EEEvT1_
	.globl	_ZN7rocprim17ROCPRIM_400000_NS6detail17trampoline_kernelINS0_14default_configENS1_20scan_config_selectorIjEEZZNS1_9scan_implILNS1_25lookback_scan_determinismE0ELb0ELb0ES3_N6thrust23THRUST_200600_302600_NS6detail15normal_iteratorINS9_10device_ptrIjEEEESE_jNS9_4plusIvEEjEEDaPvRmT3_T4_T5_mT6_P12ihipStream_tbENKUlT_T0_E_clISt17integral_constantIbLb0EESU_EEDaSP_SQ_EUlSP_E0_NS1_11comp_targetILNS1_3genE10ELNS1_11target_archE1200ELNS1_3gpuE4ELNS1_3repE0EEENS1_30default_config_static_selectorELNS0_4arch9wavefront6targetE1EEEvT1_
	.p2align	8
	.type	_ZN7rocprim17ROCPRIM_400000_NS6detail17trampoline_kernelINS0_14default_configENS1_20scan_config_selectorIjEEZZNS1_9scan_implILNS1_25lookback_scan_determinismE0ELb0ELb0ES3_N6thrust23THRUST_200600_302600_NS6detail15normal_iteratorINS9_10device_ptrIjEEEESE_jNS9_4plusIvEEjEEDaPvRmT3_T4_T5_mT6_P12ihipStream_tbENKUlT_T0_E_clISt17integral_constantIbLb0EESU_EEDaSP_SQ_EUlSP_E0_NS1_11comp_targetILNS1_3genE10ELNS1_11target_archE1200ELNS1_3gpuE4ELNS1_3repE0EEENS1_30default_config_static_selectorELNS0_4arch9wavefront6targetE1EEEvT1_,@function
_ZN7rocprim17ROCPRIM_400000_NS6detail17trampoline_kernelINS0_14default_configENS1_20scan_config_selectorIjEEZZNS1_9scan_implILNS1_25lookback_scan_determinismE0ELb0ELb0ES3_N6thrust23THRUST_200600_302600_NS6detail15normal_iteratorINS9_10device_ptrIjEEEESE_jNS9_4plusIvEEjEEDaPvRmT3_T4_T5_mT6_P12ihipStream_tbENKUlT_T0_E_clISt17integral_constantIbLb0EESU_EEDaSP_SQ_EUlSP_E0_NS1_11comp_targetILNS1_3genE10ELNS1_11target_archE1200ELNS1_3gpuE4ELNS1_3repE0EEENS1_30default_config_static_selectorELNS0_4arch9wavefront6targetE1EEEvT1_: ; @_ZN7rocprim17ROCPRIM_400000_NS6detail17trampoline_kernelINS0_14default_configENS1_20scan_config_selectorIjEEZZNS1_9scan_implILNS1_25lookback_scan_determinismE0ELb0ELb0ES3_N6thrust23THRUST_200600_302600_NS6detail15normal_iteratorINS9_10device_ptrIjEEEESE_jNS9_4plusIvEEjEEDaPvRmT3_T4_T5_mT6_P12ihipStream_tbENKUlT_T0_E_clISt17integral_constantIbLb0EESU_EEDaSP_SQ_EUlSP_E0_NS1_11comp_targetILNS1_3genE10ELNS1_11target_archE1200ELNS1_3gpuE4ELNS1_3repE0EEENS1_30default_config_static_selectorELNS0_4arch9wavefront6targetE1EEEvT1_
; %bb.0:
	.section	.rodata,"a",@progbits
	.p2align	6, 0x0
	.amdhsa_kernel _ZN7rocprim17ROCPRIM_400000_NS6detail17trampoline_kernelINS0_14default_configENS1_20scan_config_selectorIjEEZZNS1_9scan_implILNS1_25lookback_scan_determinismE0ELb0ELb0ES3_N6thrust23THRUST_200600_302600_NS6detail15normal_iteratorINS9_10device_ptrIjEEEESE_jNS9_4plusIvEEjEEDaPvRmT3_T4_T5_mT6_P12ihipStream_tbENKUlT_T0_E_clISt17integral_constantIbLb0EESU_EEDaSP_SQ_EUlSP_E0_NS1_11comp_targetILNS1_3genE10ELNS1_11target_archE1200ELNS1_3gpuE4ELNS1_3repE0EEENS1_30default_config_static_selectorELNS0_4arch9wavefront6targetE1EEEvT1_
		.amdhsa_group_segment_fixed_size 0
		.amdhsa_private_segment_fixed_size 0
		.amdhsa_kernarg_size 32
		.amdhsa_user_sgpr_count 6
		.amdhsa_user_sgpr_private_segment_buffer 1
		.amdhsa_user_sgpr_dispatch_ptr 0
		.amdhsa_user_sgpr_queue_ptr 0
		.amdhsa_user_sgpr_kernarg_segment_ptr 1
		.amdhsa_user_sgpr_dispatch_id 0
		.amdhsa_user_sgpr_flat_scratch_init 0
		.amdhsa_user_sgpr_kernarg_preload_length 0
		.amdhsa_user_sgpr_kernarg_preload_offset 0
		.amdhsa_user_sgpr_private_segment_size 0
		.amdhsa_uses_dynamic_stack 0
		.amdhsa_system_sgpr_private_segment_wavefront_offset 0
		.amdhsa_system_sgpr_workgroup_id_x 1
		.amdhsa_system_sgpr_workgroup_id_y 0
		.amdhsa_system_sgpr_workgroup_id_z 0
		.amdhsa_system_sgpr_workgroup_info 0
		.amdhsa_system_vgpr_workitem_id 0
		.amdhsa_next_free_vgpr 1
		.amdhsa_next_free_sgpr 0
		.amdhsa_accum_offset 4
		.amdhsa_reserve_vcc 0
		.amdhsa_reserve_flat_scratch 0
		.amdhsa_float_round_mode_32 0
		.amdhsa_float_round_mode_16_64 0
		.amdhsa_float_denorm_mode_32 3
		.amdhsa_float_denorm_mode_16_64 3
		.amdhsa_dx10_clamp 1
		.amdhsa_ieee_mode 1
		.amdhsa_fp16_overflow 0
		.amdhsa_tg_split 0
		.amdhsa_exception_fp_ieee_invalid_op 0
		.amdhsa_exception_fp_denorm_src 0
		.amdhsa_exception_fp_ieee_div_zero 0
		.amdhsa_exception_fp_ieee_overflow 0
		.amdhsa_exception_fp_ieee_underflow 0
		.amdhsa_exception_fp_ieee_inexact 0
		.amdhsa_exception_int_div_zero 0
	.end_amdhsa_kernel
	.section	.text._ZN7rocprim17ROCPRIM_400000_NS6detail17trampoline_kernelINS0_14default_configENS1_20scan_config_selectorIjEEZZNS1_9scan_implILNS1_25lookback_scan_determinismE0ELb0ELb0ES3_N6thrust23THRUST_200600_302600_NS6detail15normal_iteratorINS9_10device_ptrIjEEEESE_jNS9_4plusIvEEjEEDaPvRmT3_T4_T5_mT6_P12ihipStream_tbENKUlT_T0_E_clISt17integral_constantIbLb0EESU_EEDaSP_SQ_EUlSP_E0_NS1_11comp_targetILNS1_3genE10ELNS1_11target_archE1200ELNS1_3gpuE4ELNS1_3repE0EEENS1_30default_config_static_selectorELNS0_4arch9wavefront6targetE1EEEvT1_,"axG",@progbits,_ZN7rocprim17ROCPRIM_400000_NS6detail17trampoline_kernelINS0_14default_configENS1_20scan_config_selectorIjEEZZNS1_9scan_implILNS1_25lookback_scan_determinismE0ELb0ELb0ES3_N6thrust23THRUST_200600_302600_NS6detail15normal_iteratorINS9_10device_ptrIjEEEESE_jNS9_4plusIvEEjEEDaPvRmT3_T4_T5_mT6_P12ihipStream_tbENKUlT_T0_E_clISt17integral_constantIbLb0EESU_EEDaSP_SQ_EUlSP_E0_NS1_11comp_targetILNS1_3genE10ELNS1_11target_archE1200ELNS1_3gpuE4ELNS1_3repE0EEENS1_30default_config_static_selectorELNS0_4arch9wavefront6targetE1EEEvT1_,comdat
.Lfunc_end4589:
	.size	_ZN7rocprim17ROCPRIM_400000_NS6detail17trampoline_kernelINS0_14default_configENS1_20scan_config_selectorIjEEZZNS1_9scan_implILNS1_25lookback_scan_determinismE0ELb0ELb0ES3_N6thrust23THRUST_200600_302600_NS6detail15normal_iteratorINS9_10device_ptrIjEEEESE_jNS9_4plusIvEEjEEDaPvRmT3_T4_T5_mT6_P12ihipStream_tbENKUlT_T0_E_clISt17integral_constantIbLb0EESU_EEDaSP_SQ_EUlSP_E0_NS1_11comp_targetILNS1_3genE10ELNS1_11target_archE1200ELNS1_3gpuE4ELNS1_3repE0EEENS1_30default_config_static_selectorELNS0_4arch9wavefront6targetE1EEEvT1_, .Lfunc_end4589-_ZN7rocprim17ROCPRIM_400000_NS6detail17trampoline_kernelINS0_14default_configENS1_20scan_config_selectorIjEEZZNS1_9scan_implILNS1_25lookback_scan_determinismE0ELb0ELb0ES3_N6thrust23THRUST_200600_302600_NS6detail15normal_iteratorINS9_10device_ptrIjEEEESE_jNS9_4plusIvEEjEEDaPvRmT3_T4_T5_mT6_P12ihipStream_tbENKUlT_T0_E_clISt17integral_constantIbLb0EESU_EEDaSP_SQ_EUlSP_E0_NS1_11comp_targetILNS1_3genE10ELNS1_11target_archE1200ELNS1_3gpuE4ELNS1_3repE0EEENS1_30default_config_static_selectorELNS0_4arch9wavefront6targetE1EEEvT1_
                                        ; -- End function
	.section	.AMDGPU.csdata,"",@progbits
; Kernel info:
; codeLenInByte = 0
; NumSgprs: 4
; NumVgprs: 0
; NumAgprs: 0
; TotalNumVgprs: 0
; ScratchSize: 0
; MemoryBound: 0
; FloatMode: 240
; IeeeMode: 1
; LDSByteSize: 0 bytes/workgroup (compile time only)
; SGPRBlocks: 0
; VGPRBlocks: 0
; NumSGPRsForWavesPerEU: 4
; NumVGPRsForWavesPerEU: 1
; AccumOffset: 4
; Occupancy: 8
; WaveLimiterHint : 0
; COMPUTE_PGM_RSRC2:SCRATCH_EN: 0
; COMPUTE_PGM_RSRC2:USER_SGPR: 6
; COMPUTE_PGM_RSRC2:TRAP_HANDLER: 0
; COMPUTE_PGM_RSRC2:TGID_X_EN: 1
; COMPUTE_PGM_RSRC2:TGID_Y_EN: 0
; COMPUTE_PGM_RSRC2:TGID_Z_EN: 0
; COMPUTE_PGM_RSRC2:TIDIG_COMP_CNT: 0
; COMPUTE_PGM_RSRC3_GFX90A:ACCUM_OFFSET: 0
; COMPUTE_PGM_RSRC3_GFX90A:TG_SPLIT: 0
	.section	.text._ZN7rocprim17ROCPRIM_400000_NS6detail17trampoline_kernelINS0_14default_configENS1_20scan_config_selectorIjEEZZNS1_9scan_implILNS1_25lookback_scan_determinismE0ELb0ELb0ES3_N6thrust23THRUST_200600_302600_NS6detail15normal_iteratorINS9_10device_ptrIjEEEESE_jNS9_4plusIvEEjEEDaPvRmT3_T4_T5_mT6_P12ihipStream_tbENKUlT_T0_E_clISt17integral_constantIbLb0EESU_EEDaSP_SQ_EUlSP_E0_NS1_11comp_targetILNS1_3genE9ELNS1_11target_archE1100ELNS1_3gpuE3ELNS1_3repE0EEENS1_30default_config_static_selectorELNS0_4arch9wavefront6targetE1EEEvT1_,"axG",@progbits,_ZN7rocprim17ROCPRIM_400000_NS6detail17trampoline_kernelINS0_14default_configENS1_20scan_config_selectorIjEEZZNS1_9scan_implILNS1_25lookback_scan_determinismE0ELb0ELb0ES3_N6thrust23THRUST_200600_302600_NS6detail15normal_iteratorINS9_10device_ptrIjEEEESE_jNS9_4plusIvEEjEEDaPvRmT3_T4_T5_mT6_P12ihipStream_tbENKUlT_T0_E_clISt17integral_constantIbLb0EESU_EEDaSP_SQ_EUlSP_E0_NS1_11comp_targetILNS1_3genE9ELNS1_11target_archE1100ELNS1_3gpuE3ELNS1_3repE0EEENS1_30default_config_static_selectorELNS0_4arch9wavefront6targetE1EEEvT1_,comdat
	.protected	_ZN7rocprim17ROCPRIM_400000_NS6detail17trampoline_kernelINS0_14default_configENS1_20scan_config_selectorIjEEZZNS1_9scan_implILNS1_25lookback_scan_determinismE0ELb0ELb0ES3_N6thrust23THRUST_200600_302600_NS6detail15normal_iteratorINS9_10device_ptrIjEEEESE_jNS9_4plusIvEEjEEDaPvRmT3_T4_T5_mT6_P12ihipStream_tbENKUlT_T0_E_clISt17integral_constantIbLb0EESU_EEDaSP_SQ_EUlSP_E0_NS1_11comp_targetILNS1_3genE9ELNS1_11target_archE1100ELNS1_3gpuE3ELNS1_3repE0EEENS1_30default_config_static_selectorELNS0_4arch9wavefront6targetE1EEEvT1_ ; -- Begin function _ZN7rocprim17ROCPRIM_400000_NS6detail17trampoline_kernelINS0_14default_configENS1_20scan_config_selectorIjEEZZNS1_9scan_implILNS1_25lookback_scan_determinismE0ELb0ELb0ES3_N6thrust23THRUST_200600_302600_NS6detail15normal_iteratorINS9_10device_ptrIjEEEESE_jNS9_4plusIvEEjEEDaPvRmT3_T4_T5_mT6_P12ihipStream_tbENKUlT_T0_E_clISt17integral_constantIbLb0EESU_EEDaSP_SQ_EUlSP_E0_NS1_11comp_targetILNS1_3genE9ELNS1_11target_archE1100ELNS1_3gpuE3ELNS1_3repE0EEENS1_30default_config_static_selectorELNS0_4arch9wavefront6targetE1EEEvT1_
	.globl	_ZN7rocprim17ROCPRIM_400000_NS6detail17trampoline_kernelINS0_14default_configENS1_20scan_config_selectorIjEEZZNS1_9scan_implILNS1_25lookback_scan_determinismE0ELb0ELb0ES3_N6thrust23THRUST_200600_302600_NS6detail15normal_iteratorINS9_10device_ptrIjEEEESE_jNS9_4plusIvEEjEEDaPvRmT3_T4_T5_mT6_P12ihipStream_tbENKUlT_T0_E_clISt17integral_constantIbLb0EESU_EEDaSP_SQ_EUlSP_E0_NS1_11comp_targetILNS1_3genE9ELNS1_11target_archE1100ELNS1_3gpuE3ELNS1_3repE0EEENS1_30default_config_static_selectorELNS0_4arch9wavefront6targetE1EEEvT1_
	.p2align	8
	.type	_ZN7rocprim17ROCPRIM_400000_NS6detail17trampoline_kernelINS0_14default_configENS1_20scan_config_selectorIjEEZZNS1_9scan_implILNS1_25lookback_scan_determinismE0ELb0ELb0ES3_N6thrust23THRUST_200600_302600_NS6detail15normal_iteratorINS9_10device_ptrIjEEEESE_jNS9_4plusIvEEjEEDaPvRmT3_T4_T5_mT6_P12ihipStream_tbENKUlT_T0_E_clISt17integral_constantIbLb0EESU_EEDaSP_SQ_EUlSP_E0_NS1_11comp_targetILNS1_3genE9ELNS1_11target_archE1100ELNS1_3gpuE3ELNS1_3repE0EEENS1_30default_config_static_selectorELNS0_4arch9wavefront6targetE1EEEvT1_,@function
_ZN7rocprim17ROCPRIM_400000_NS6detail17trampoline_kernelINS0_14default_configENS1_20scan_config_selectorIjEEZZNS1_9scan_implILNS1_25lookback_scan_determinismE0ELb0ELb0ES3_N6thrust23THRUST_200600_302600_NS6detail15normal_iteratorINS9_10device_ptrIjEEEESE_jNS9_4plusIvEEjEEDaPvRmT3_T4_T5_mT6_P12ihipStream_tbENKUlT_T0_E_clISt17integral_constantIbLb0EESU_EEDaSP_SQ_EUlSP_E0_NS1_11comp_targetILNS1_3genE9ELNS1_11target_archE1100ELNS1_3gpuE3ELNS1_3repE0EEENS1_30default_config_static_selectorELNS0_4arch9wavefront6targetE1EEEvT1_: ; @_ZN7rocprim17ROCPRIM_400000_NS6detail17trampoline_kernelINS0_14default_configENS1_20scan_config_selectorIjEEZZNS1_9scan_implILNS1_25lookback_scan_determinismE0ELb0ELb0ES3_N6thrust23THRUST_200600_302600_NS6detail15normal_iteratorINS9_10device_ptrIjEEEESE_jNS9_4plusIvEEjEEDaPvRmT3_T4_T5_mT6_P12ihipStream_tbENKUlT_T0_E_clISt17integral_constantIbLb0EESU_EEDaSP_SQ_EUlSP_E0_NS1_11comp_targetILNS1_3genE9ELNS1_11target_archE1100ELNS1_3gpuE3ELNS1_3repE0EEENS1_30default_config_static_selectorELNS0_4arch9wavefront6targetE1EEEvT1_
; %bb.0:
	.section	.rodata,"a",@progbits
	.p2align	6, 0x0
	.amdhsa_kernel _ZN7rocprim17ROCPRIM_400000_NS6detail17trampoline_kernelINS0_14default_configENS1_20scan_config_selectorIjEEZZNS1_9scan_implILNS1_25lookback_scan_determinismE0ELb0ELb0ES3_N6thrust23THRUST_200600_302600_NS6detail15normal_iteratorINS9_10device_ptrIjEEEESE_jNS9_4plusIvEEjEEDaPvRmT3_T4_T5_mT6_P12ihipStream_tbENKUlT_T0_E_clISt17integral_constantIbLb0EESU_EEDaSP_SQ_EUlSP_E0_NS1_11comp_targetILNS1_3genE9ELNS1_11target_archE1100ELNS1_3gpuE3ELNS1_3repE0EEENS1_30default_config_static_selectorELNS0_4arch9wavefront6targetE1EEEvT1_
		.amdhsa_group_segment_fixed_size 0
		.amdhsa_private_segment_fixed_size 0
		.amdhsa_kernarg_size 32
		.amdhsa_user_sgpr_count 6
		.amdhsa_user_sgpr_private_segment_buffer 1
		.amdhsa_user_sgpr_dispatch_ptr 0
		.amdhsa_user_sgpr_queue_ptr 0
		.amdhsa_user_sgpr_kernarg_segment_ptr 1
		.amdhsa_user_sgpr_dispatch_id 0
		.amdhsa_user_sgpr_flat_scratch_init 0
		.amdhsa_user_sgpr_kernarg_preload_length 0
		.amdhsa_user_sgpr_kernarg_preload_offset 0
		.amdhsa_user_sgpr_private_segment_size 0
		.amdhsa_uses_dynamic_stack 0
		.amdhsa_system_sgpr_private_segment_wavefront_offset 0
		.amdhsa_system_sgpr_workgroup_id_x 1
		.amdhsa_system_sgpr_workgroup_id_y 0
		.amdhsa_system_sgpr_workgroup_id_z 0
		.amdhsa_system_sgpr_workgroup_info 0
		.amdhsa_system_vgpr_workitem_id 0
		.amdhsa_next_free_vgpr 1
		.amdhsa_next_free_sgpr 0
		.amdhsa_accum_offset 4
		.amdhsa_reserve_vcc 0
		.amdhsa_reserve_flat_scratch 0
		.amdhsa_float_round_mode_32 0
		.amdhsa_float_round_mode_16_64 0
		.amdhsa_float_denorm_mode_32 3
		.amdhsa_float_denorm_mode_16_64 3
		.amdhsa_dx10_clamp 1
		.amdhsa_ieee_mode 1
		.amdhsa_fp16_overflow 0
		.amdhsa_tg_split 0
		.amdhsa_exception_fp_ieee_invalid_op 0
		.amdhsa_exception_fp_denorm_src 0
		.amdhsa_exception_fp_ieee_div_zero 0
		.amdhsa_exception_fp_ieee_overflow 0
		.amdhsa_exception_fp_ieee_underflow 0
		.amdhsa_exception_fp_ieee_inexact 0
		.amdhsa_exception_int_div_zero 0
	.end_amdhsa_kernel
	.section	.text._ZN7rocprim17ROCPRIM_400000_NS6detail17trampoline_kernelINS0_14default_configENS1_20scan_config_selectorIjEEZZNS1_9scan_implILNS1_25lookback_scan_determinismE0ELb0ELb0ES3_N6thrust23THRUST_200600_302600_NS6detail15normal_iteratorINS9_10device_ptrIjEEEESE_jNS9_4plusIvEEjEEDaPvRmT3_T4_T5_mT6_P12ihipStream_tbENKUlT_T0_E_clISt17integral_constantIbLb0EESU_EEDaSP_SQ_EUlSP_E0_NS1_11comp_targetILNS1_3genE9ELNS1_11target_archE1100ELNS1_3gpuE3ELNS1_3repE0EEENS1_30default_config_static_selectorELNS0_4arch9wavefront6targetE1EEEvT1_,"axG",@progbits,_ZN7rocprim17ROCPRIM_400000_NS6detail17trampoline_kernelINS0_14default_configENS1_20scan_config_selectorIjEEZZNS1_9scan_implILNS1_25lookback_scan_determinismE0ELb0ELb0ES3_N6thrust23THRUST_200600_302600_NS6detail15normal_iteratorINS9_10device_ptrIjEEEESE_jNS9_4plusIvEEjEEDaPvRmT3_T4_T5_mT6_P12ihipStream_tbENKUlT_T0_E_clISt17integral_constantIbLb0EESU_EEDaSP_SQ_EUlSP_E0_NS1_11comp_targetILNS1_3genE9ELNS1_11target_archE1100ELNS1_3gpuE3ELNS1_3repE0EEENS1_30default_config_static_selectorELNS0_4arch9wavefront6targetE1EEEvT1_,comdat
.Lfunc_end4590:
	.size	_ZN7rocprim17ROCPRIM_400000_NS6detail17trampoline_kernelINS0_14default_configENS1_20scan_config_selectorIjEEZZNS1_9scan_implILNS1_25lookback_scan_determinismE0ELb0ELb0ES3_N6thrust23THRUST_200600_302600_NS6detail15normal_iteratorINS9_10device_ptrIjEEEESE_jNS9_4plusIvEEjEEDaPvRmT3_T4_T5_mT6_P12ihipStream_tbENKUlT_T0_E_clISt17integral_constantIbLb0EESU_EEDaSP_SQ_EUlSP_E0_NS1_11comp_targetILNS1_3genE9ELNS1_11target_archE1100ELNS1_3gpuE3ELNS1_3repE0EEENS1_30default_config_static_selectorELNS0_4arch9wavefront6targetE1EEEvT1_, .Lfunc_end4590-_ZN7rocprim17ROCPRIM_400000_NS6detail17trampoline_kernelINS0_14default_configENS1_20scan_config_selectorIjEEZZNS1_9scan_implILNS1_25lookback_scan_determinismE0ELb0ELb0ES3_N6thrust23THRUST_200600_302600_NS6detail15normal_iteratorINS9_10device_ptrIjEEEESE_jNS9_4plusIvEEjEEDaPvRmT3_T4_T5_mT6_P12ihipStream_tbENKUlT_T0_E_clISt17integral_constantIbLb0EESU_EEDaSP_SQ_EUlSP_E0_NS1_11comp_targetILNS1_3genE9ELNS1_11target_archE1100ELNS1_3gpuE3ELNS1_3repE0EEENS1_30default_config_static_selectorELNS0_4arch9wavefront6targetE1EEEvT1_
                                        ; -- End function
	.section	.AMDGPU.csdata,"",@progbits
; Kernel info:
; codeLenInByte = 0
; NumSgprs: 4
; NumVgprs: 0
; NumAgprs: 0
; TotalNumVgprs: 0
; ScratchSize: 0
; MemoryBound: 0
; FloatMode: 240
; IeeeMode: 1
; LDSByteSize: 0 bytes/workgroup (compile time only)
; SGPRBlocks: 0
; VGPRBlocks: 0
; NumSGPRsForWavesPerEU: 4
; NumVGPRsForWavesPerEU: 1
; AccumOffset: 4
; Occupancy: 8
; WaveLimiterHint : 0
; COMPUTE_PGM_RSRC2:SCRATCH_EN: 0
; COMPUTE_PGM_RSRC2:USER_SGPR: 6
; COMPUTE_PGM_RSRC2:TRAP_HANDLER: 0
; COMPUTE_PGM_RSRC2:TGID_X_EN: 1
; COMPUTE_PGM_RSRC2:TGID_Y_EN: 0
; COMPUTE_PGM_RSRC2:TGID_Z_EN: 0
; COMPUTE_PGM_RSRC2:TIDIG_COMP_CNT: 0
; COMPUTE_PGM_RSRC3_GFX90A:ACCUM_OFFSET: 0
; COMPUTE_PGM_RSRC3_GFX90A:TG_SPLIT: 0
	.section	.text._ZN7rocprim17ROCPRIM_400000_NS6detail17trampoline_kernelINS0_14default_configENS1_20scan_config_selectorIjEEZZNS1_9scan_implILNS1_25lookback_scan_determinismE0ELb0ELb0ES3_N6thrust23THRUST_200600_302600_NS6detail15normal_iteratorINS9_10device_ptrIjEEEESE_jNS9_4plusIvEEjEEDaPvRmT3_T4_T5_mT6_P12ihipStream_tbENKUlT_T0_E_clISt17integral_constantIbLb0EESU_EEDaSP_SQ_EUlSP_E0_NS1_11comp_targetILNS1_3genE8ELNS1_11target_archE1030ELNS1_3gpuE2ELNS1_3repE0EEENS1_30default_config_static_selectorELNS0_4arch9wavefront6targetE1EEEvT1_,"axG",@progbits,_ZN7rocprim17ROCPRIM_400000_NS6detail17trampoline_kernelINS0_14default_configENS1_20scan_config_selectorIjEEZZNS1_9scan_implILNS1_25lookback_scan_determinismE0ELb0ELb0ES3_N6thrust23THRUST_200600_302600_NS6detail15normal_iteratorINS9_10device_ptrIjEEEESE_jNS9_4plusIvEEjEEDaPvRmT3_T4_T5_mT6_P12ihipStream_tbENKUlT_T0_E_clISt17integral_constantIbLb0EESU_EEDaSP_SQ_EUlSP_E0_NS1_11comp_targetILNS1_3genE8ELNS1_11target_archE1030ELNS1_3gpuE2ELNS1_3repE0EEENS1_30default_config_static_selectorELNS0_4arch9wavefront6targetE1EEEvT1_,comdat
	.protected	_ZN7rocprim17ROCPRIM_400000_NS6detail17trampoline_kernelINS0_14default_configENS1_20scan_config_selectorIjEEZZNS1_9scan_implILNS1_25lookback_scan_determinismE0ELb0ELb0ES3_N6thrust23THRUST_200600_302600_NS6detail15normal_iteratorINS9_10device_ptrIjEEEESE_jNS9_4plusIvEEjEEDaPvRmT3_T4_T5_mT6_P12ihipStream_tbENKUlT_T0_E_clISt17integral_constantIbLb0EESU_EEDaSP_SQ_EUlSP_E0_NS1_11comp_targetILNS1_3genE8ELNS1_11target_archE1030ELNS1_3gpuE2ELNS1_3repE0EEENS1_30default_config_static_selectorELNS0_4arch9wavefront6targetE1EEEvT1_ ; -- Begin function _ZN7rocprim17ROCPRIM_400000_NS6detail17trampoline_kernelINS0_14default_configENS1_20scan_config_selectorIjEEZZNS1_9scan_implILNS1_25lookback_scan_determinismE0ELb0ELb0ES3_N6thrust23THRUST_200600_302600_NS6detail15normal_iteratorINS9_10device_ptrIjEEEESE_jNS9_4plusIvEEjEEDaPvRmT3_T4_T5_mT6_P12ihipStream_tbENKUlT_T0_E_clISt17integral_constantIbLb0EESU_EEDaSP_SQ_EUlSP_E0_NS1_11comp_targetILNS1_3genE8ELNS1_11target_archE1030ELNS1_3gpuE2ELNS1_3repE0EEENS1_30default_config_static_selectorELNS0_4arch9wavefront6targetE1EEEvT1_
	.globl	_ZN7rocprim17ROCPRIM_400000_NS6detail17trampoline_kernelINS0_14default_configENS1_20scan_config_selectorIjEEZZNS1_9scan_implILNS1_25lookback_scan_determinismE0ELb0ELb0ES3_N6thrust23THRUST_200600_302600_NS6detail15normal_iteratorINS9_10device_ptrIjEEEESE_jNS9_4plusIvEEjEEDaPvRmT3_T4_T5_mT6_P12ihipStream_tbENKUlT_T0_E_clISt17integral_constantIbLb0EESU_EEDaSP_SQ_EUlSP_E0_NS1_11comp_targetILNS1_3genE8ELNS1_11target_archE1030ELNS1_3gpuE2ELNS1_3repE0EEENS1_30default_config_static_selectorELNS0_4arch9wavefront6targetE1EEEvT1_
	.p2align	8
	.type	_ZN7rocprim17ROCPRIM_400000_NS6detail17trampoline_kernelINS0_14default_configENS1_20scan_config_selectorIjEEZZNS1_9scan_implILNS1_25lookback_scan_determinismE0ELb0ELb0ES3_N6thrust23THRUST_200600_302600_NS6detail15normal_iteratorINS9_10device_ptrIjEEEESE_jNS9_4plusIvEEjEEDaPvRmT3_T4_T5_mT6_P12ihipStream_tbENKUlT_T0_E_clISt17integral_constantIbLb0EESU_EEDaSP_SQ_EUlSP_E0_NS1_11comp_targetILNS1_3genE8ELNS1_11target_archE1030ELNS1_3gpuE2ELNS1_3repE0EEENS1_30default_config_static_selectorELNS0_4arch9wavefront6targetE1EEEvT1_,@function
_ZN7rocprim17ROCPRIM_400000_NS6detail17trampoline_kernelINS0_14default_configENS1_20scan_config_selectorIjEEZZNS1_9scan_implILNS1_25lookback_scan_determinismE0ELb0ELb0ES3_N6thrust23THRUST_200600_302600_NS6detail15normal_iteratorINS9_10device_ptrIjEEEESE_jNS9_4plusIvEEjEEDaPvRmT3_T4_T5_mT6_P12ihipStream_tbENKUlT_T0_E_clISt17integral_constantIbLb0EESU_EEDaSP_SQ_EUlSP_E0_NS1_11comp_targetILNS1_3genE8ELNS1_11target_archE1030ELNS1_3gpuE2ELNS1_3repE0EEENS1_30default_config_static_selectorELNS0_4arch9wavefront6targetE1EEEvT1_: ; @_ZN7rocprim17ROCPRIM_400000_NS6detail17trampoline_kernelINS0_14default_configENS1_20scan_config_selectorIjEEZZNS1_9scan_implILNS1_25lookback_scan_determinismE0ELb0ELb0ES3_N6thrust23THRUST_200600_302600_NS6detail15normal_iteratorINS9_10device_ptrIjEEEESE_jNS9_4plusIvEEjEEDaPvRmT3_T4_T5_mT6_P12ihipStream_tbENKUlT_T0_E_clISt17integral_constantIbLb0EESU_EEDaSP_SQ_EUlSP_E0_NS1_11comp_targetILNS1_3genE8ELNS1_11target_archE1030ELNS1_3gpuE2ELNS1_3repE0EEENS1_30default_config_static_selectorELNS0_4arch9wavefront6targetE1EEEvT1_
; %bb.0:
	.section	.rodata,"a",@progbits
	.p2align	6, 0x0
	.amdhsa_kernel _ZN7rocprim17ROCPRIM_400000_NS6detail17trampoline_kernelINS0_14default_configENS1_20scan_config_selectorIjEEZZNS1_9scan_implILNS1_25lookback_scan_determinismE0ELb0ELb0ES3_N6thrust23THRUST_200600_302600_NS6detail15normal_iteratorINS9_10device_ptrIjEEEESE_jNS9_4plusIvEEjEEDaPvRmT3_T4_T5_mT6_P12ihipStream_tbENKUlT_T0_E_clISt17integral_constantIbLb0EESU_EEDaSP_SQ_EUlSP_E0_NS1_11comp_targetILNS1_3genE8ELNS1_11target_archE1030ELNS1_3gpuE2ELNS1_3repE0EEENS1_30default_config_static_selectorELNS0_4arch9wavefront6targetE1EEEvT1_
		.amdhsa_group_segment_fixed_size 0
		.amdhsa_private_segment_fixed_size 0
		.amdhsa_kernarg_size 32
		.amdhsa_user_sgpr_count 6
		.amdhsa_user_sgpr_private_segment_buffer 1
		.amdhsa_user_sgpr_dispatch_ptr 0
		.amdhsa_user_sgpr_queue_ptr 0
		.amdhsa_user_sgpr_kernarg_segment_ptr 1
		.amdhsa_user_sgpr_dispatch_id 0
		.amdhsa_user_sgpr_flat_scratch_init 0
		.amdhsa_user_sgpr_kernarg_preload_length 0
		.amdhsa_user_sgpr_kernarg_preload_offset 0
		.amdhsa_user_sgpr_private_segment_size 0
		.amdhsa_uses_dynamic_stack 0
		.amdhsa_system_sgpr_private_segment_wavefront_offset 0
		.amdhsa_system_sgpr_workgroup_id_x 1
		.amdhsa_system_sgpr_workgroup_id_y 0
		.amdhsa_system_sgpr_workgroup_id_z 0
		.amdhsa_system_sgpr_workgroup_info 0
		.amdhsa_system_vgpr_workitem_id 0
		.amdhsa_next_free_vgpr 1
		.amdhsa_next_free_sgpr 0
		.amdhsa_accum_offset 4
		.amdhsa_reserve_vcc 0
		.amdhsa_reserve_flat_scratch 0
		.amdhsa_float_round_mode_32 0
		.amdhsa_float_round_mode_16_64 0
		.amdhsa_float_denorm_mode_32 3
		.amdhsa_float_denorm_mode_16_64 3
		.amdhsa_dx10_clamp 1
		.amdhsa_ieee_mode 1
		.amdhsa_fp16_overflow 0
		.amdhsa_tg_split 0
		.amdhsa_exception_fp_ieee_invalid_op 0
		.amdhsa_exception_fp_denorm_src 0
		.amdhsa_exception_fp_ieee_div_zero 0
		.amdhsa_exception_fp_ieee_overflow 0
		.amdhsa_exception_fp_ieee_underflow 0
		.amdhsa_exception_fp_ieee_inexact 0
		.amdhsa_exception_int_div_zero 0
	.end_amdhsa_kernel
	.section	.text._ZN7rocprim17ROCPRIM_400000_NS6detail17trampoline_kernelINS0_14default_configENS1_20scan_config_selectorIjEEZZNS1_9scan_implILNS1_25lookback_scan_determinismE0ELb0ELb0ES3_N6thrust23THRUST_200600_302600_NS6detail15normal_iteratorINS9_10device_ptrIjEEEESE_jNS9_4plusIvEEjEEDaPvRmT3_T4_T5_mT6_P12ihipStream_tbENKUlT_T0_E_clISt17integral_constantIbLb0EESU_EEDaSP_SQ_EUlSP_E0_NS1_11comp_targetILNS1_3genE8ELNS1_11target_archE1030ELNS1_3gpuE2ELNS1_3repE0EEENS1_30default_config_static_selectorELNS0_4arch9wavefront6targetE1EEEvT1_,"axG",@progbits,_ZN7rocprim17ROCPRIM_400000_NS6detail17trampoline_kernelINS0_14default_configENS1_20scan_config_selectorIjEEZZNS1_9scan_implILNS1_25lookback_scan_determinismE0ELb0ELb0ES3_N6thrust23THRUST_200600_302600_NS6detail15normal_iteratorINS9_10device_ptrIjEEEESE_jNS9_4plusIvEEjEEDaPvRmT3_T4_T5_mT6_P12ihipStream_tbENKUlT_T0_E_clISt17integral_constantIbLb0EESU_EEDaSP_SQ_EUlSP_E0_NS1_11comp_targetILNS1_3genE8ELNS1_11target_archE1030ELNS1_3gpuE2ELNS1_3repE0EEENS1_30default_config_static_selectorELNS0_4arch9wavefront6targetE1EEEvT1_,comdat
.Lfunc_end4591:
	.size	_ZN7rocprim17ROCPRIM_400000_NS6detail17trampoline_kernelINS0_14default_configENS1_20scan_config_selectorIjEEZZNS1_9scan_implILNS1_25lookback_scan_determinismE0ELb0ELb0ES3_N6thrust23THRUST_200600_302600_NS6detail15normal_iteratorINS9_10device_ptrIjEEEESE_jNS9_4plusIvEEjEEDaPvRmT3_T4_T5_mT6_P12ihipStream_tbENKUlT_T0_E_clISt17integral_constantIbLb0EESU_EEDaSP_SQ_EUlSP_E0_NS1_11comp_targetILNS1_3genE8ELNS1_11target_archE1030ELNS1_3gpuE2ELNS1_3repE0EEENS1_30default_config_static_selectorELNS0_4arch9wavefront6targetE1EEEvT1_, .Lfunc_end4591-_ZN7rocprim17ROCPRIM_400000_NS6detail17trampoline_kernelINS0_14default_configENS1_20scan_config_selectorIjEEZZNS1_9scan_implILNS1_25lookback_scan_determinismE0ELb0ELb0ES3_N6thrust23THRUST_200600_302600_NS6detail15normal_iteratorINS9_10device_ptrIjEEEESE_jNS9_4plusIvEEjEEDaPvRmT3_T4_T5_mT6_P12ihipStream_tbENKUlT_T0_E_clISt17integral_constantIbLb0EESU_EEDaSP_SQ_EUlSP_E0_NS1_11comp_targetILNS1_3genE8ELNS1_11target_archE1030ELNS1_3gpuE2ELNS1_3repE0EEENS1_30default_config_static_selectorELNS0_4arch9wavefront6targetE1EEEvT1_
                                        ; -- End function
	.section	.AMDGPU.csdata,"",@progbits
; Kernel info:
; codeLenInByte = 0
; NumSgprs: 4
; NumVgprs: 0
; NumAgprs: 0
; TotalNumVgprs: 0
; ScratchSize: 0
; MemoryBound: 0
; FloatMode: 240
; IeeeMode: 1
; LDSByteSize: 0 bytes/workgroup (compile time only)
; SGPRBlocks: 0
; VGPRBlocks: 0
; NumSGPRsForWavesPerEU: 4
; NumVGPRsForWavesPerEU: 1
; AccumOffset: 4
; Occupancy: 8
; WaveLimiterHint : 0
; COMPUTE_PGM_RSRC2:SCRATCH_EN: 0
; COMPUTE_PGM_RSRC2:USER_SGPR: 6
; COMPUTE_PGM_RSRC2:TRAP_HANDLER: 0
; COMPUTE_PGM_RSRC2:TGID_X_EN: 1
; COMPUTE_PGM_RSRC2:TGID_Y_EN: 0
; COMPUTE_PGM_RSRC2:TGID_Z_EN: 0
; COMPUTE_PGM_RSRC2:TIDIG_COMP_CNT: 0
; COMPUTE_PGM_RSRC3_GFX90A:ACCUM_OFFSET: 0
; COMPUTE_PGM_RSRC3_GFX90A:TG_SPLIT: 0
	.section	.text._ZN7rocprim17ROCPRIM_400000_NS6detail17trampoline_kernelINS0_14default_configENS1_20scan_config_selectorIjEEZZNS1_9scan_implILNS1_25lookback_scan_determinismE0ELb0ELb0ES3_N6thrust23THRUST_200600_302600_NS6detail15normal_iteratorINS9_10device_ptrIjEEEESE_jNS9_4plusIvEEjEEDaPvRmT3_T4_T5_mT6_P12ihipStream_tbENKUlT_T0_E_clISt17integral_constantIbLb1EESU_EEDaSP_SQ_EUlSP_E_NS1_11comp_targetILNS1_3genE0ELNS1_11target_archE4294967295ELNS1_3gpuE0ELNS1_3repE0EEENS1_30default_config_static_selectorELNS0_4arch9wavefront6targetE1EEEvT1_,"axG",@progbits,_ZN7rocprim17ROCPRIM_400000_NS6detail17trampoline_kernelINS0_14default_configENS1_20scan_config_selectorIjEEZZNS1_9scan_implILNS1_25lookback_scan_determinismE0ELb0ELb0ES3_N6thrust23THRUST_200600_302600_NS6detail15normal_iteratorINS9_10device_ptrIjEEEESE_jNS9_4plusIvEEjEEDaPvRmT3_T4_T5_mT6_P12ihipStream_tbENKUlT_T0_E_clISt17integral_constantIbLb1EESU_EEDaSP_SQ_EUlSP_E_NS1_11comp_targetILNS1_3genE0ELNS1_11target_archE4294967295ELNS1_3gpuE0ELNS1_3repE0EEENS1_30default_config_static_selectorELNS0_4arch9wavefront6targetE1EEEvT1_,comdat
	.protected	_ZN7rocprim17ROCPRIM_400000_NS6detail17trampoline_kernelINS0_14default_configENS1_20scan_config_selectorIjEEZZNS1_9scan_implILNS1_25lookback_scan_determinismE0ELb0ELb0ES3_N6thrust23THRUST_200600_302600_NS6detail15normal_iteratorINS9_10device_ptrIjEEEESE_jNS9_4plusIvEEjEEDaPvRmT3_T4_T5_mT6_P12ihipStream_tbENKUlT_T0_E_clISt17integral_constantIbLb1EESU_EEDaSP_SQ_EUlSP_E_NS1_11comp_targetILNS1_3genE0ELNS1_11target_archE4294967295ELNS1_3gpuE0ELNS1_3repE0EEENS1_30default_config_static_selectorELNS0_4arch9wavefront6targetE1EEEvT1_ ; -- Begin function _ZN7rocprim17ROCPRIM_400000_NS6detail17trampoline_kernelINS0_14default_configENS1_20scan_config_selectorIjEEZZNS1_9scan_implILNS1_25lookback_scan_determinismE0ELb0ELb0ES3_N6thrust23THRUST_200600_302600_NS6detail15normal_iteratorINS9_10device_ptrIjEEEESE_jNS9_4plusIvEEjEEDaPvRmT3_T4_T5_mT6_P12ihipStream_tbENKUlT_T0_E_clISt17integral_constantIbLb1EESU_EEDaSP_SQ_EUlSP_E_NS1_11comp_targetILNS1_3genE0ELNS1_11target_archE4294967295ELNS1_3gpuE0ELNS1_3repE0EEENS1_30default_config_static_selectorELNS0_4arch9wavefront6targetE1EEEvT1_
	.globl	_ZN7rocprim17ROCPRIM_400000_NS6detail17trampoline_kernelINS0_14default_configENS1_20scan_config_selectorIjEEZZNS1_9scan_implILNS1_25lookback_scan_determinismE0ELb0ELb0ES3_N6thrust23THRUST_200600_302600_NS6detail15normal_iteratorINS9_10device_ptrIjEEEESE_jNS9_4plusIvEEjEEDaPvRmT3_T4_T5_mT6_P12ihipStream_tbENKUlT_T0_E_clISt17integral_constantIbLb1EESU_EEDaSP_SQ_EUlSP_E_NS1_11comp_targetILNS1_3genE0ELNS1_11target_archE4294967295ELNS1_3gpuE0ELNS1_3repE0EEENS1_30default_config_static_selectorELNS0_4arch9wavefront6targetE1EEEvT1_
	.p2align	8
	.type	_ZN7rocprim17ROCPRIM_400000_NS6detail17trampoline_kernelINS0_14default_configENS1_20scan_config_selectorIjEEZZNS1_9scan_implILNS1_25lookback_scan_determinismE0ELb0ELb0ES3_N6thrust23THRUST_200600_302600_NS6detail15normal_iteratorINS9_10device_ptrIjEEEESE_jNS9_4plusIvEEjEEDaPvRmT3_T4_T5_mT6_P12ihipStream_tbENKUlT_T0_E_clISt17integral_constantIbLb1EESU_EEDaSP_SQ_EUlSP_E_NS1_11comp_targetILNS1_3genE0ELNS1_11target_archE4294967295ELNS1_3gpuE0ELNS1_3repE0EEENS1_30default_config_static_selectorELNS0_4arch9wavefront6targetE1EEEvT1_,@function
_ZN7rocprim17ROCPRIM_400000_NS6detail17trampoline_kernelINS0_14default_configENS1_20scan_config_selectorIjEEZZNS1_9scan_implILNS1_25lookback_scan_determinismE0ELb0ELb0ES3_N6thrust23THRUST_200600_302600_NS6detail15normal_iteratorINS9_10device_ptrIjEEEESE_jNS9_4plusIvEEjEEDaPvRmT3_T4_T5_mT6_P12ihipStream_tbENKUlT_T0_E_clISt17integral_constantIbLb1EESU_EEDaSP_SQ_EUlSP_E_NS1_11comp_targetILNS1_3genE0ELNS1_11target_archE4294967295ELNS1_3gpuE0ELNS1_3repE0EEENS1_30default_config_static_selectorELNS0_4arch9wavefront6targetE1EEEvT1_: ; @_ZN7rocprim17ROCPRIM_400000_NS6detail17trampoline_kernelINS0_14default_configENS1_20scan_config_selectorIjEEZZNS1_9scan_implILNS1_25lookback_scan_determinismE0ELb0ELb0ES3_N6thrust23THRUST_200600_302600_NS6detail15normal_iteratorINS9_10device_ptrIjEEEESE_jNS9_4plusIvEEjEEDaPvRmT3_T4_T5_mT6_P12ihipStream_tbENKUlT_T0_E_clISt17integral_constantIbLb1EESU_EEDaSP_SQ_EUlSP_E_NS1_11comp_targetILNS1_3genE0ELNS1_11target_archE4294967295ELNS1_3gpuE0ELNS1_3repE0EEENS1_30default_config_static_selectorELNS0_4arch9wavefront6targetE1EEEvT1_
; %bb.0:
	.section	.rodata,"a",@progbits
	.p2align	6, 0x0
	.amdhsa_kernel _ZN7rocprim17ROCPRIM_400000_NS6detail17trampoline_kernelINS0_14default_configENS1_20scan_config_selectorIjEEZZNS1_9scan_implILNS1_25lookback_scan_determinismE0ELb0ELb0ES3_N6thrust23THRUST_200600_302600_NS6detail15normal_iteratorINS9_10device_ptrIjEEEESE_jNS9_4plusIvEEjEEDaPvRmT3_T4_T5_mT6_P12ihipStream_tbENKUlT_T0_E_clISt17integral_constantIbLb1EESU_EEDaSP_SQ_EUlSP_E_NS1_11comp_targetILNS1_3genE0ELNS1_11target_archE4294967295ELNS1_3gpuE0ELNS1_3repE0EEENS1_30default_config_static_selectorELNS0_4arch9wavefront6targetE1EEEvT1_
		.amdhsa_group_segment_fixed_size 0
		.amdhsa_private_segment_fixed_size 0
		.amdhsa_kernarg_size 96
		.amdhsa_user_sgpr_count 6
		.amdhsa_user_sgpr_private_segment_buffer 1
		.amdhsa_user_sgpr_dispatch_ptr 0
		.amdhsa_user_sgpr_queue_ptr 0
		.amdhsa_user_sgpr_kernarg_segment_ptr 1
		.amdhsa_user_sgpr_dispatch_id 0
		.amdhsa_user_sgpr_flat_scratch_init 0
		.amdhsa_user_sgpr_kernarg_preload_length 0
		.amdhsa_user_sgpr_kernarg_preload_offset 0
		.amdhsa_user_sgpr_private_segment_size 0
		.amdhsa_uses_dynamic_stack 0
		.amdhsa_system_sgpr_private_segment_wavefront_offset 0
		.amdhsa_system_sgpr_workgroup_id_x 1
		.amdhsa_system_sgpr_workgroup_id_y 0
		.amdhsa_system_sgpr_workgroup_id_z 0
		.amdhsa_system_sgpr_workgroup_info 0
		.amdhsa_system_vgpr_workitem_id 0
		.amdhsa_next_free_vgpr 1
		.amdhsa_next_free_sgpr 0
		.amdhsa_accum_offset 4
		.amdhsa_reserve_vcc 0
		.amdhsa_reserve_flat_scratch 0
		.amdhsa_float_round_mode_32 0
		.amdhsa_float_round_mode_16_64 0
		.amdhsa_float_denorm_mode_32 3
		.amdhsa_float_denorm_mode_16_64 3
		.amdhsa_dx10_clamp 1
		.amdhsa_ieee_mode 1
		.amdhsa_fp16_overflow 0
		.amdhsa_tg_split 0
		.amdhsa_exception_fp_ieee_invalid_op 0
		.amdhsa_exception_fp_denorm_src 0
		.amdhsa_exception_fp_ieee_div_zero 0
		.amdhsa_exception_fp_ieee_overflow 0
		.amdhsa_exception_fp_ieee_underflow 0
		.amdhsa_exception_fp_ieee_inexact 0
		.amdhsa_exception_int_div_zero 0
	.end_amdhsa_kernel
	.section	.text._ZN7rocprim17ROCPRIM_400000_NS6detail17trampoline_kernelINS0_14default_configENS1_20scan_config_selectorIjEEZZNS1_9scan_implILNS1_25lookback_scan_determinismE0ELb0ELb0ES3_N6thrust23THRUST_200600_302600_NS6detail15normal_iteratorINS9_10device_ptrIjEEEESE_jNS9_4plusIvEEjEEDaPvRmT3_T4_T5_mT6_P12ihipStream_tbENKUlT_T0_E_clISt17integral_constantIbLb1EESU_EEDaSP_SQ_EUlSP_E_NS1_11comp_targetILNS1_3genE0ELNS1_11target_archE4294967295ELNS1_3gpuE0ELNS1_3repE0EEENS1_30default_config_static_selectorELNS0_4arch9wavefront6targetE1EEEvT1_,"axG",@progbits,_ZN7rocprim17ROCPRIM_400000_NS6detail17trampoline_kernelINS0_14default_configENS1_20scan_config_selectorIjEEZZNS1_9scan_implILNS1_25lookback_scan_determinismE0ELb0ELb0ES3_N6thrust23THRUST_200600_302600_NS6detail15normal_iteratorINS9_10device_ptrIjEEEESE_jNS9_4plusIvEEjEEDaPvRmT3_T4_T5_mT6_P12ihipStream_tbENKUlT_T0_E_clISt17integral_constantIbLb1EESU_EEDaSP_SQ_EUlSP_E_NS1_11comp_targetILNS1_3genE0ELNS1_11target_archE4294967295ELNS1_3gpuE0ELNS1_3repE0EEENS1_30default_config_static_selectorELNS0_4arch9wavefront6targetE1EEEvT1_,comdat
.Lfunc_end4592:
	.size	_ZN7rocprim17ROCPRIM_400000_NS6detail17trampoline_kernelINS0_14default_configENS1_20scan_config_selectorIjEEZZNS1_9scan_implILNS1_25lookback_scan_determinismE0ELb0ELb0ES3_N6thrust23THRUST_200600_302600_NS6detail15normal_iteratorINS9_10device_ptrIjEEEESE_jNS9_4plusIvEEjEEDaPvRmT3_T4_T5_mT6_P12ihipStream_tbENKUlT_T0_E_clISt17integral_constantIbLb1EESU_EEDaSP_SQ_EUlSP_E_NS1_11comp_targetILNS1_3genE0ELNS1_11target_archE4294967295ELNS1_3gpuE0ELNS1_3repE0EEENS1_30default_config_static_selectorELNS0_4arch9wavefront6targetE1EEEvT1_, .Lfunc_end4592-_ZN7rocprim17ROCPRIM_400000_NS6detail17trampoline_kernelINS0_14default_configENS1_20scan_config_selectorIjEEZZNS1_9scan_implILNS1_25lookback_scan_determinismE0ELb0ELb0ES3_N6thrust23THRUST_200600_302600_NS6detail15normal_iteratorINS9_10device_ptrIjEEEESE_jNS9_4plusIvEEjEEDaPvRmT3_T4_T5_mT6_P12ihipStream_tbENKUlT_T0_E_clISt17integral_constantIbLb1EESU_EEDaSP_SQ_EUlSP_E_NS1_11comp_targetILNS1_3genE0ELNS1_11target_archE4294967295ELNS1_3gpuE0ELNS1_3repE0EEENS1_30default_config_static_selectorELNS0_4arch9wavefront6targetE1EEEvT1_
                                        ; -- End function
	.section	.AMDGPU.csdata,"",@progbits
; Kernel info:
; codeLenInByte = 0
; NumSgprs: 4
; NumVgprs: 0
; NumAgprs: 0
; TotalNumVgprs: 0
; ScratchSize: 0
; MemoryBound: 0
; FloatMode: 240
; IeeeMode: 1
; LDSByteSize: 0 bytes/workgroup (compile time only)
; SGPRBlocks: 0
; VGPRBlocks: 0
; NumSGPRsForWavesPerEU: 4
; NumVGPRsForWavesPerEU: 1
; AccumOffset: 4
; Occupancy: 8
; WaveLimiterHint : 0
; COMPUTE_PGM_RSRC2:SCRATCH_EN: 0
; COMPUTE_PGM_RSRC2:USER_SGPR: 6
; COMPUTE_PGM_RSRC2:TRAP_HANDLER: 0
; COMPUTE_PGM_RSRC2:TGID_X_EN: 1
; COMPUTE_PGM_RSRC2:TGID_Y_EN: 0
; COMPUTE_PGM_RSRC2:TGID_Z_EN: 0
; COMPUTE_PGM_RSRC2:TIDIG_COMP_CNT: 0
; COMPUTE_PGM_RSRC3_GFX90A:ACCUM_OFFSET: 0
; COMPUTE_PGM_RSRC3_GFX90A:TG_SPLIT: 0
	.section	.text._ZN7rocprim17ROCPRIM_400000_NS6detail17trampoline_kernelINS0_14default_configENS1_20scan_config_selectorIjEEZZNS1_9scan_implILNS1_25lookback_scan_determinismE0ELb0ELb0ES3_N6thrust23THRUST_200600_302600_NS6detail15normal_iteratorINS9_10device_ptrIjEEEESE_jNS9_4plusIvEEjEEDaPvRmT3_T4_T5_mT6_P12ihipStream_tbENKUlT_T0_E_clISt17integral_constantIbLb1EESU_EEDaSP_SQ_EUlSP_E_NS1_11comp_targetILNS1_3genE5ELNS1_11target_archE942ELNS1_3gpuE9ELNS1_3repE0EEENS1_30default_config_static_selectorELNS0_4arch9wavefront6targetE1EEEvT1_,"axG",@progbits,_ZN7rocprim17ROCPRIM_400000_NS6detail17trampoline_kernelINS0_14default_configENS1_20scan_config_selectorIjEEZZNS1_9scan_implILNS1_25lookback_scan_determinismE0ELb0ELb0ES3_N6thrust23THRUST_200600_302600_NS6detail15normal_iteratorINS9_10device_ptrIjEEEESE_jNS9_4plusIvEEjEEDaPvRmT3_T4_T5_mT6_P12ihipStream_tbENKUlT_T0_E_clISt17integral_constantIbLb1EESU_EEDaSP_SQ_EUlSP_E_NS1_11comp_targetILNS1_3genE5ELNS1_11target_archE942ELNS1_3gpuE9ELNS1_3repE0EEENS1_30default_config_static_selectorELNS0_4arch9wavefront6targetE1EEEvT1_,comdat
	.protected	_ZN7rocprim17ROCPRIM_400000_NS6detail17trampoline_kernelINS0_14default_configENS1_20scan_config_selectorIjEEZZNS1_9scan_implILNS1_25lookback_scan_determinismE0ELb0ELb0ES3_N6thrust23THRUST_200600_302600_NS6detail15normal_iteratorINS9_10device_ptrIjEEEESE_jNS9_4plusIvEEjEEDaPvRmT3_T4_T5_mT6_P12ihipStream_tbENKUlT_T0_E_clISt17integral_constantIbLb1EESU_EEDaSP_SQ_EUlSP_E_NS1_11comp_targetILNS1_3genE5ELNS1_11target_archE942ELNS1_3gpuE9ELNS1_3repE0EEENS1_30default_config_static_selectorELNS0_4arch9wavefront6targetE1EEEvT1_ ; -- Begin function _ZN7rocprim17ROCPRIM_400000_NS6detail17trampoline_kernelINS0_14default_configENS1_20scan_config_selectorIjEEZZNS1_9scan_implILNS1_25lookback_scan_determinismE0ELb0ELb0ES3_N6thrust23THRUST_200600_302600_NS6detail15normal_iteratorINS9_10device_ptrIjEEEESE_jNS9_4plusIvEEjEEDaPvRmT3_T4_T5_mT6_P12ihipStream_tbENKUlT_T0_E_clISt17integral_constantIbLb1EESU_EEDaSP_SQ_EUlSP_E_NS1_11comp_targetILNS1_3genE5ELNS1_11target_archE942ELNS1_3gpuE9ELNS1_3repE0EEENS1_30default_config_static_selectorELNS0_4arch9wavefront6targetE1EEEvT1_
	.globl	_ZN7rocprim17ROCPRIM_400000_NS6detail17trampoline_kernelINS0_14default_configENS1_20scan_config_selectorIjEEZZNS1_9scan_implILNS1_25lookback_scan_determinismE0ELb0ELb0ES3_N6thrust23THRUST_200600_302600_NS6detail15normal_iteratorINS9_10device_ptrIjEEEESE_jNS9_4plusIvEEjEEDaPvRmT3_T4_T5_mT6_P12ihipStream_tbENKUlT_T0_E_clISt17integral_constantIbLb1EESU_EEDaSP_SQ_EUlSP_E_NS1_11comp_targetILNS1_3genE5ELNS1_11target_archE942ELNS1_3gpuE9ELNS1_3repE0EEENS1_30default_config_static_selectorELNS0_4arch9wavefront6targetE1EEEvT1_
	.p2align	8
	.type	_ZN7rocprim17ROCPRIM_400000_NS6detail17trampoline_kernelINS0_14default_configENS1_20scan_config_selectorIjEEZZNS1_9scan_implILNS1_25lookback_scan_determinismE0ELb0ELb0ES3_N6thrust23THRUST_200600_302600_NS6detail15normal_iteratorINS9_10device_ptrIjEEEESE_jNS9_4plusIvEEjEEDaPvRmT3_T4_T5_mT6_P12ihipStream_tbENKUlT_T0_E_clISt17integral_constantIbLb1EESU_EEDaSP_SQ_EUlSP_E_NS1_11comp_targetILNS1_3genE5ELNS1_11target_archE942ELNS1_3gpuE9ELNS1_3repE0EEENS1_30default_config_static_selectorELNS0_4arch9wavefront6targetE1EEEvT1_,@function
_ZN7rocprim17ROCPRIM_400000_NS6detail17trampoline_kernelINS0_14default_configENS1_20scan_config_selectorIjEEZZNS1_9scan_implILNS1_25lookback_scan_determinismE0ELb0ELb0ES3_N6thrust23THRUST_200600_302600_NS6detail15normal_iteratorINS9_10device_ptrIjEEEESE_jNS9_4plusIvEEjEEDaPvRmT3_T4_T5_mT6_P12ihipStream_tbENKUlT_T0_E_clISt17integral_constantIbLb1EESU_EEDaSP_SQ_EUlSP_E_NS1_11comp_targetILNS1_3genE5ELNS1_11target_archE942ELNS1_3gpuE9ELNS1_3repE0EEENS1_30default_config_static_selectorELNS0_4arch9wavefront6targetE1EEEvT1_: ; @_ZN7rocprim17ROCPRIM_400000_NS6detail17trampoline_kernelINS0_14default_configENS1_20scan_config_selectorIjEEZZNS1_9scan_implILNS1_25lookback_scan_determinismE0ELb0ELb0ES3_N6thrust23THRUST_200600_302600_NS6detail15normal_iteratorINS9_10device_ptrIjEEEESE_jNS9_4plusIvEEjEEDaPvRmT3_T4_T5_mT6_P12ihipStream_tbENKUlT_T0_E_clISt17integral_constantIbLb1EESU_EEDaSP_SQ_EUlSP_E_NS1_11comp_targetILNS1_3genE5ELNS1_11target_archE942ELNS1_3gpuE9ELNS1_3repE0EEENS1_30default_config_static_selectorELNS0_4arch9wavefront6targetE1EEEvT1_
; %bb.0:
	.section	.rodata,"a",@progbits
	.p2align	6, 0x0
	.amdhsa_kernel _ZN7rocprim17ROCPRIM_400000_NS6detail17trampoline_kernelINS0_14default_configENS1_20scan_config_selectorIjEEZZNS1_9scan_implILNS1_25lookback_scan_determinismE0ELb0ELb0ES3_N6thrust23THRUST_200600_302600_NS6detail15normal_iteratorINS9_10device_ptrIjEEEESE_jNS9_4plusIvEEjEEDaPvRmT3_T4_T5_mT6_P12ihipStream_tbENKUlT_T0_E_clISt17integral_constantIbLb1EESU_EEDaSP_SQ_EUlSP_E_NS1_11comp_targetILNS1_3genE5ELNS1_11target_archE942ELNS1_3gpuE9ELNS1_3repE0EEENS1_30default_config_static_selectorELNS0_4arch9wavefront6targetE1EEEvT1_
		.amdhsa_group_segment_fixed_size 0
		.amdhsa_private_segment_fixed_size 0
		.amdhsa_kernarg_size 96
		.amdhsa_user_sgpr_count 6
		.amdhsa_user_sgpr_private_segment_buffer 1
		.amdhsa_user_sgpr_dispatch_ptr 0
		.amdhsa_user_sgpr_queue_ptr 0
		.amdhsa_user_sgpr_kernarg_segment_ptr 1
		.amdhsa_user_sgpr_dispatch_id 0
		.amdhsa_user_sgpr_flat_scratch_init 0
		.amdhsa_user_sgpr_kernarg_preload_length 0
		.amdhsa_user_sgpr_kernarg_preload_offset 0
		.amdhsa_user_sgpr_private_segment_size 0
		.amdhsa_uses_dynamic_stack 0
		.amdhsa_system_sgpr_private_segment_wavefront_offset 0
		.amdhsa_system_sgpr_workgroup_id_x 1
		.amdhsa_system_sgpr_workgroup_id_y 0
		.amdhsa_system_sgpr_workgroup_id_z 0
		.amdhsa_system_sgpr_workgroup_info 0
		.amdhsa_system_vgpr_workitem_id 0
		.amdhsa_next_free_vgpr 1
		.amdhsa_next_free_sgpr 0
		.amdhsa_accum_offset 4
		.amdhsa_reserve_vcc 0
		.amdhsa_reserve_flat_scratch 0
		.amdhsa_float_round_mode_32 0
		.amdhsa_float_round_mode_16_64 0
		.amdhsa_float_denorm_mode_32 3
		.amdhsa_float_denorm_mode_16_64 3
		.amdhsa_dx10_clamp 1
		.amdhsa_ieee_mode 1
		.amdhsa_fp16_overflow 0
		.amdhsa_tg_split 0
		.amdhsa_exception_fp_ieee_invalid_op 0
		.amdhsa_exception_fp_denorm_src 0
		.amdhsa_exception_fp_ieee_div_zero 0
		.amdhsa_exception_fp_ieee_overflow 0
		.amdhsa_exception_fp_ieee_underflow 0
		.amdhsa_exception_fp_ieee_inexact 0
		.amdhsa_exception_int_div_zero 0
	.end_amdhsa_kernel
	.section	.text._ZN7rocprim17ROCPRIM_400000_NS6detail17trampoline_kernelINS0_14default_configENS1_20scan_config_selectorIjEEZZNS1_9scan_implILNS1_25lookback_scan_determinismE0ELb0ELb0ES3_N6thrust23THRUST_200600_302600_NS6detail15normal_iteratorINS9_10device_ptrIjEEEESE_jNS9_4plusIvEEjEEDaPvRmT3_T4_T5_mT6_P12ihipStream_tbENKUlT_T0_E_clISt17integral_constantIbLb1EESU_EEDaSP_SQ_EUlSP_E_NS1_11comp_targetILNS1_3genE5ELNS1_11target_archE942ELNS1_3gpuE9ELNS1_3repE0EEENS1_30default_config_static_selectorELNS0_4arch9wavefront6targetE1EEEvT1_,"axG",@progbits,_ZN7rocprim17ROCPRIM_400000_NS6detail17trampoline_kernelINS0_14default_configENS1_20scan_config_selectorIjEEZZNS1_9scan_implILNS1_25lookback_scan_determinismE0ELb0ELb0ES3_N6thrust23THRUST_200600_302600_NS6detail15normal_iteratorINS9_10device_ptrIjEEEESE_jNS9_4plusIvEEjEEDaPvRmT3_T4_T5_mT6_P12ihipStream_tbENKUlT_T0_E_clISt17integral_constantIbLb1EESU_EEDaSP_SQ_EUlSP_E_NS1_11comp_targetILNS1_3genE5ELNS1_11target_archE942ELNS1_3gpuE9ELNS1_3repE0EEENS1_30default_config_static_selectorELNS0_4arch9wavefront6targetE1EEEvT1_,comdat
.Lfunc_end4593:
	.size	_ZN7rocprim17ROCPRIM_400000_NS6detail17trampoline_kernelINS0_14default_configENS1_20scan_config_selectorIjEEZZNS1_9scan_implILNS1_25lookback_scan_determinismE0ELb0ELb0ES3_N6thrust23THRUST_200600_302600_NS6detail15normal_iteratorINS9_10device_ptrIjEEEESE_jNS9_4plusIvEEjEEDaPvRmT3_T4_T5_mT6_P12ihipStream_tbENKUlT_T0_E_clISt17integral_constantIbLb1EESU_EEDaSP_SQ_EUlSP_E_NS1_11comp_targetILNS1_3genE5ELNS1_11target_archE942ELNS1_3gpuE9ELNS1_3repE0EEENS1_30default_config_static_selectorELNS0_4arch9wavefront6targetE1EEEvT1_, .Lfunc_end4593-_ZN7rocprim17ROCPRIM_400000_NS6detail17trampoline_kernelINS0_14default_configENS1_20scan_config_selectorIjEEZZNS1_9scan_implILNS1_25lookback_scan_determinismE0ELb0ELb0ES3_N6thrust23THRUST_200600_302600_NS6detail15normal_iteratorINS9_10device_ptrIjEEEESE_jNS9_4plusIvEEjEEDaPvRmT3_T4_T5_mT6_P12ihipStream_tbENKUlT_T0_E_clISt17integral_constantIbLb1EESU_EEDaSP_SQ_EUlSP_E_NS1_11comp_targetILNS1_3genE5ELNS1_11target_archE942ELNS1_3gpuE9ELNS1_3repE0EEENS1_30default_config_static_selectorELNS0_4arch9wavefront6targetE1EEEvT1_
                                        ; -- End function
	.section	.AMDGPU.csdata,"",@progbits
; Kernel info:
; codeLenInByte = 0
; NumSgprs: 4
; NumVgprs: 0
; NumAgprs: 0
; TotalNumVgprs: 0
; ScratchSize: 0
; MemoryBound: 0
; FloatMode: 240
; IeeeMode: 1
; LDSByteSize: 0 bytes/workgroup (compile time only)
; SGPRBlocks: 0
; VGPRBlocks: 0
; NumSGPRsForWavesPerEU: 4
; NumVGPRsForWavesPerEU: 1
; AccumOffset: 4
; Occupancy: 8
; WaveLimiterHint : 0
; COMPUTE_PGM_RSRC2:SCRATCH_EN: 0
; COMPUTE_PGM_RSRC2:USER_SGPR: 6
; COMPUTE_PGM_RSRC2:TRAP_HANDLER: 0
; COMPUTE_PGM_RSRC2:TGID_X_EN: 1
; COMPUTE_PGM_RSRC2:TGID_Y_EN: 0
; COMPUTE_PGM_RSRC2:TGID_Z_EN: 0
; COMPUTE_PGM_RSRC2:TIDIG_COMP_CNT: 0
; COMPUTE_PGM_RSRC3_GFX90A:ACCUM_OFFSET: 0
; COMPUTE_PGM_RSRC3_GFX90A:TG_SPLIT: 0
	.section	.text._ZN7rocprim17ROCPRIM_400000_NS6detail17trampoline_kernelINS0_14default_configENS1_20scan_config_selectorIjEEZZNS1_9scan_implILNS1_25lookback_scan_determinismE0ELb0ELb0ES3_N6thrust23THRUST_200600_302600_NS6detail15normal_iteratorINS9_10device_ptrIjEEEESE_jNS9_4plusIvEEjEEDaPvRmT3_T4_T5_mT6_P12ihipStream_tbENKUlT_T0_E_clISt17integral_constantIbLb1EESU_EEDaSP_SQ_EUlSP_E_NS1_11comp_targetILNS1_3genE4ELNS1_11target_archE910ELNS1_3gpuE8ELNS1_3repE0EEENS1_30default_config_static_selectorELNS0_4arch9wavefront6targetE1EEEvT1_,"axG",@progbits,_ZN7rocprim17ROCPRIM_400000_NS6detail17trampoline_kernelINS0_14default_configENS1_20scan_config_selectorIjEEZZNS1_9scan_implILNS1_25lookback_scan_determinismE0ELb0ELb0ES3_N6thrust23THRUST_200600_302600_NS6detail15normal_iteratorINS9_10device_ptrIjEEEESE_jNS9_4plusIvEEjEEDaPvRmT3_T4_T5_mT6_P12ihipStream_tbENKUlT_T0_E_clISt17integral_constantIbLb1EESU_EEDaSP_SQ_EUlSP_E_NS1_11comp_targetILNS1_3genE4ELNS1_11target_archE910ELNS1_3gpuE8ELNS1_3repE0EEENS1_30default_config_static_selectorELNS0_4arch9wavefront6targetE1EEEvT1_,comdat
	.protected	_ZN7rocprim17ROCPRIM_400000_NS6detail17trampoline_kernelINS0_14default_configENS1_20scan_config_selectorIjEEZZNS1_9scan_implILNS1_25lookback_scan_determinismE0ELb0ELb0ES3_N6thrust23THRUST_200600_302600_NS6detail15normal_iteratorINS9_10device_ptrIjEEEESE_jNS9_4plusIvEEjEEDaPvRmT3_T4_T5_mT6_P12ihipStream_tbENKUlT_T0_E_clISt17integral_constantIbLb1EESU_EEDaSP_SQ_EUlSP_E_NS1_11comp_targetILNS1_3genE4ELNS1_11target_archE910ELNS1_3gpuE8ELNS1_3repE0EEENS1_30default_config_static_selectorELNS0_4arch9wavefront6targetE1EEEvT1_ ; -- Begin function _ZN7rocprim17ROCPRIM_400000_NS6detail17trampoline_kernelINS0_14default_configENS1_20scan_config_selectorIjEEZZNS1_9scan_implILNS1_25lookback_scan_determinismE0ELb0ELb0ES3_N6thrust23THRUST_200600_302600_NS6detail15normal_iteratorINS9_10device_ptrIjEEEESE_jNS9_4plusIvEEjEEDaPvRmT3_T4_T5_mT6_P12ihipStream_tbENKUlT_T0_E_clISt17integral_constantIbLb1EESU_EEDaSP_SQ_EUlSP_E_NS1_11comp_targetILNS1_3genE4ELNS1_11target_archE910ELNS1_3gpuE8ELNS1_3repE0EEENS1_30default_config_static_selectorELNS0_4arch9wavefront6targetE1EEEvT1_
	.globl	_ZN7rocprim17ROCPRIM_400000_NS6detail17trampoline_kernelINS0_14default_configENS1_20scan_config_selectorIjEEZZNS1_9scan_implILNS1_25lookback_scan_determinismE0ELb0ELb0ES3_N6thrust23THRUST_200600_302600_NS6detail15normal_iteratorINS9_10device_ptrIjEEEESE_jNS9_4plusIvEEjEEDaPvRmT3_T4_T5_mT6_P12ihipStream_tbENKUlT_T0_E_clISt17integral_constantIbLb1EESU_EEDaSP_SQ_EUlSP_E_NS1_11comp_targetILNS1_3genE4ELNS1_11target_archE910ELNS1_3gpuE8ELNS1_3repE0EEENS1_30default_config_static_selectorELNS0_4arch9wavefront6targetE1EEEvT1_
	.p2align	8
	.type	_ZN7rocprim17ROCPRIM_400000_NS6detail17trampoline_kernelINS0_14default_configENS1_20scan_config_selectorIjEEZZNS1_9scan_implILNS1_25lookback_scan_determinismE0ELb0ELb0ES3_N6thrust23THRUST_200600_302600_NS6detail15normal_iteratorINS9_10device_ptrIjEEEESE_jNS9_4plusIvEEjEEDaPvRmT3_T4_T5_mT6_P12ihipStream_tbENKUlT_T0_E_clISt17integral_constantIbLb1EESU_EEDaSP_SQ_EUlSP_E_NS1_11comp_targetILNS1_3genE4ELNS1_11target_archE910ELNS1_3gpuE8ELNS1_3repE0EEENS1_30default_config_static_selectorELNS0_4arch9wavefront6targetE1EEEvT1_,@function
_ZN7rocprim17ROCPRIM_400000_NS6detail17trampoline_kernelINS0_14default_configENS1_20scan_config_selectorIjEEZZNS1_9scan_implILNS1_25lookback_scan_determinismE0ELb0ELb0ES3_N6thrust23THRUST_200600_302600_NS6detail15normal_iteratorINS9_10device_ptrIjEEEESE_jNS9_4plusIvEEjEEDaPvRmT3_T4_T5_mT6_P12ihipStream_tbENKUlT_T0_E_clISt17integral_constantIbLb1EESU_EEDaSP_SQ_EUlSP_E_NS1_11comp_targetILNS1_3genE4ELNS1_11target_archE910ELNS1_3gpuE8ELNS1_3repE0EEENS1_30default_config_static_selectorELNS0_4arch9wavefront6targetE1EEEvT1_: ; @_ZN7rocprim17ROCPRIM_400000_NS6detail17trampoline_kernelINS0_14default_configENS1_20scan_config_selectorIjEEZZNS1_9scan_implILNS1_25lookback_scan_determinismE0ELb0ELb0ES3_N6thrust23THRUST_200600_302600_NS6detail15normal_iteratorINS9_10device_ptrIjEEEESE_jNS9_4plusIvEEjEEDaPvRmT3_T4_T5_mT6_P12ihipStream_tbENKUlT_T0_E_clISt17integral_constantIbLb1EESU_EEDaSP_SQ_EUlSP_E_NS1_11comp_targetILNS1_3genE4ELNS1_11target_archE910ELNS1_3gpuE8ELNS1_3repE0EEENS1_30default_config_static_selectorELNS0_4arch9wavefront6targetE1EEEvT1_
; %bb.0:
	s_load_dwordx2 s[6:7], s[4:5], 0x28
	v_cmp_ne_u32_e64 s[0:1], 0, v0
	v_cmp_eq_u32_e64 s[2:3], 0, v0
	s_and_saveexec_b64 s[8:9], s[2:3]
	s_cbranch_execz .LBB4594_4
; %bb.1:
	s_mov_b64 s[12:13], exec
	v_mbcnt_lo_u32_b32 v1, s12, 0
	v_mbcnt_hi_u32_b32 v1, s13, v1
	v_cmp_eq_u32_e32 vcc, 0, v1
                                        ; implicit-def: $vgpr2
	s_and_saveexec_b64 s[10:11], vcc
	s_cbranch_execz .LBB4594_3
; %bb.2:
	s_load_dwordx2 s[14:15], s[4:5], 0x58
	s_bcnt1_i32_b64 s12, s[12:13]
	v_mov_b32_e32 v2, 0
	v_mov_b32_e32 v3, s12
	s_waitcnt lgkmcnt(0)
	global_atomic_add v2, v2, v3, s[14:15] glc
.LBB4594_3:
	s_or_b64 exec, exec, s[10:11]
	s_waitcnt vmcnt(0)
	v_readfirstlane_b32 s10, v2
	v_add_u32_e32 v1, s10, v1
	v_mov_b32_e32 v2, 0
	ds_write_b32 v2, v1
.LBB4594_4:
	s_or_b64 exec, exec, s[8:9]
	s_load_dwordx8 s[16:23], s[4:5], 0x0
	s_load_dword s24, s[4:5], 0x30
	s_load_dwordx8 s[8:15], s[4:5], 0x38
	v_mov_b32_e32 v1, 0
	s_waitcnt lgkmcnt(0)
	s_barrier
	ds_read_b32 v1, v1
	s_lshl_b64 s[18:19], s[18:19], 2
	s_add_u32 s25, s16, s18
	s_addc_u32 s26, s17, s19
	s_add_i32 s16, s24, -1
	s_mul_i32 s17, s16, 0x500
	s_sub_u32 s30, s22, s17
	s_waitcnt lgkmcnt(0)
	v_readfirstlane_b32 s33, v1
	s_subb_u32 s31, s23, 0
	s_mul_i32 s4, s33, 0x500
	s_mov_b32 s5, 0
	s_cmp_lg_u32 s33, s16
	s_cselect_b64 s[16:17], -1, 0
	s_lshl_b64 s[22:23], s[4:5], 2
	s_add_u32 s24, s25, s22
	s_addc_u32 s25, s26, s23
	s_mov_b64 s[4:5], -1
	s_and_b64 vcc, exec, s[16:17]
	v_lshlrev_b32_e32 v22, 2, v0
	s_barrier
	s_cbranch_vccz .LBB4594_6
; %bb.5:
	v_mov_b32_e32 v1, s25
	v_add_co_u32_e32 v2, vcc, s24, v22
	v_addc_co_u32_e32 v3, vcc, 0, v1, vcc
	flat_load_dword v1, v[2:3]
	flat_load_dword v4, v[2:3] offset:512
	flat_load_dword v5, v[2:3] offset:1024
	flat_load_dword v6, v[2:3] offset:1536
	flat_load_dword v7, v[2:3] offset:2048
	flat_load_dword v8, v[2:3] offset:2560
	flat_load_dword v9, v[2:3] offset:3072
	flat_load_dword v10, v[2:3] offset:3584
	v_add_co_u32_e32 v2, vcc, 0x1000, v2
	v_addc_co_u32_e32 v3, vcc, 0, v3, vcc
	flat_load_dword v11, v[2:3]
	flat_load_dword v12, v[2:3] offset:512
	s_mov_b64 s[4:5], 0
	s_waitcnt vmcnt(0) lgkmcnt(0)
	ds_write2st64_b32 v22, v1, v4 offset1:2
	ds_write2st64_b32 v22, v5, v6 offset0:4 offset1:6
	ds_write2st64_b32 v22, v7, v8 offset0:8 offset1:10
	;; [unrolled: 1-line block ×4, first 2 shown]
	s_waitcnt lgkmcnt(0)
	s_barrier
.LBB4594_6:
	s_andn2_b64 vcc, exec, s[4:5]
	v_cmp_gt_u32_e64 s[4:5], s30, v0
	s_cbranch_vccnz .LBB4594_28
; %bb.7:
	v_pk_mov_b32 v[2:3], s[24:25], s[24:25] op_sel:[0,1]
	flat_load_dword v1, v[2:3]
	s_waitcnt vmcnt(0) lgkmcnt(0)
	v_mov_b32_e32 v2, v1
	v_mov_b32_e32 v3, v1
	;; [unrolled: 1-line block ×9, first 2 shown]
	s_and_saveexec_b64 s[26:27], s[4:5]
	s_cbranch_execz .LBB4594_9
; %bb.8:
	v_mov_b32_e32 v11, s25
	v_add_co_u32_e32 v10, vcc, s24, v22
	v_addc_co_u32_e32 v11, vcc, 0, v11, vcc
	flat_load_dword v10, v[10:11]
.LBB4594_9:
	s_or_b64 exec, exec, s[26:27]
	v_or_b32_e32 v11, 0x80, v0
	v_cmp_gt_u32_e32 vcc, s30, v11
	s_and_saveexec_b64 s[4:5], vcc
	s_cbranch_execz .LBB4594_11
; %bb.10:
	v_mov_b32_e32 v1, s25
	v_add_co_u32_e32 v12, vcc, s24, v22
	v_addc_co_u32_e32 v13, vcc, 0, v1, vcc
	flat_load_dword v1, v[12:13] offset:512
.LBB4594_11:
	s_or_b64 exec, exec, s[4:5]
	v_or_b32_e32 v11, 0x100, v0
	v_cmp_gt_u32_e32 vcc, s30, v11
	s_and_saveexec_b64 s[4:5], vcc
	s_cbranch_execz .LBB4594_13
; %bb.12:
	v_mov_b32_e32 v2, s25
	v_add_co_u32_e32 v12, vcc, s24, v22
	v_addc_co_u32_e32 v13, vcc, 0, v2, vcc
	flat_load_dword v2, v[12:13] offset:1024
.LBB4594_13:
	;; [unrolled: 11-line block ×7, first 2 shown]
	s_or_b64 exec, exec, s[4:5]
	v_or_b32_e32 v11, 0x400, v0
	v_cmp_gt_u32_e32 vcc, s30, v11
	s_and_saveexec_b64 s[4:5], vcc
	s_cbranch_execz .LBB4594_25
; %bb.24:
	v_lshlrev_b32_e32 v8, 2, v11
	v_mov_b32_e32 v11, s25
	v_add_co_u32_e32 v12, vcc, s24, v8
	v_addc_co_u32_e32 v13, vcc, 0, v11, vcc
	flat_load_dword v8, v[12:13]
.LBB4594_25:
	s_or_b64 exec, exec, s[4:5]
	v_or_b32_e32 v11, 0x480, v0
	v_cmp_gt_u32_e32 vcc, s30, v11
	s_and_saveexec_b64 s[4:5], vcc
	s_cbranch_execz .LBB4594_27
; %bb.26:
	v_lshlrev_b32_e32 v9, 2, v11
	v_mov_b32_e32 v11, s25
	v_add_co_u32_e32 v12, vcc, s24, v9
	v_addc_co_u32_e32 v13, vcc, 0, v11, vcc
	flat_load_dword v9, v[12:13]
.LBB4594_27:
	s_or_b64 exec, exec, s[4:5]
	s_waitcnt vmcnt(0) lgkmcnt(0)
	ds_write2st64_b32 v22, v10, v1 offset1:2
	ds_write2st64_b32 v22, v2, v3 offset0:4 offset1:6
	ds_write2st64_b32 v22, v4, v5 offset0:8 offset1:10
	;; [unrolled: 1-line block ×4, first 2 shown]
	s_waitcnt lgkmcnt(0)
	s_barrier
.LBB4594_28:
	v_mul_u32_u24_e32 v23, 10, v0
	v_lshlrev_b32_e32 v1, 2, v23
	ds_read2_b64 v[2:5], v1 offset1:1
	ds_read2_b64 v[16:19], v1 offset0:2 offset1:3
	ds_read_b64 v[20:21], v1 offset:32
	s_cmp_lg_u32 s33, 0
	v_lshrrev_b32_e32 v24, 5, v0
	v_cmp_gt_u32_e32 vcc, 64, v0
	s_waitcnt lgkmcnt(0)
	s_barrier
	s_cbranch_scc0 .LBB4594_57
; %bb.29:
	v_add_u32_e32 v6, v3, v2
	v_add3_u32 v6, v6, v4, v5
	v_add3_u32 v6, v6, v16, v17
	;; [unrolled: 1-line block ×4, first 2 shown]
	v_add_lshl_u32 v7, v24, v0, 2
	ds_write_b32 v7, v6
	s_waitcnt lgkmcnt(0)
	s_barrier
	s_and_saveexec_b64 s[24:25], vcc
	s_cbranch_execz .LBB4594_31
; %bb.30:
	v_lshlrev_b32_e32 v7, 1, v0
	v_lshrrev_b32_e32 v8, 4, v0
	v_add_lshl_u32 v7, v8, v7, 2
	ds_read2_b32 v[8:9], v7 offset1:1
	v_mbcnt_lo_u32_b32 v10, -1, 0
	v_mbcnt_hi_u32_b32 v10, -1, v10
	v_and_b32_e32 v11, 15, v10
	v_cmp_ne_u32_e64 s[4:5], 0, v11
	s_waitcnt lgkmcnt(0)
	v_add_u32_e32 v9, v9, v8
	; wave barrier
	s_nop 1
	v_mov_b32_dpp v12, v9 row_shr:1 row_mask:0xf bank_mask:0xf
	v_cndmask_b32_e64 v12, 0, v12, s[4:5]
	v_add_u32_e32 v9, v12, v9
	v_cmp_lt_u32_e64 s[4:5], 1, v11
	s_nop 0
	v_mov_b32_dpp v12, v9 row_shr:2 row_mask:0xf bank_mask:0xf
	v_cndmask_b32_e64 v12, 0, v12, s[4:5]
	v_add_u32_e32 v9, v9, v12
	v_cmp_lt_u32_e64 s[4:5], 3, v11
	;; [unrolled: 5-line block ×3, first 2 shown]
	s_nop 0
	v_mov_b32_dpp v12, v9 row_shr:8 row_mask:0xf bank_mask:0xf
	v_cndmask_b32_e64 v11, 0, v12, s[4:5]
	v_add_u32_e32 v9, v9, v11
	v_bfe_i32 v12, v10, 4, 1
	v_cmp_lt_u32_e64 s[4:5], 31, v10
	v_mov_b32_dpp v11, v9 row_bcast:15 row_mask:0xf bank_mask:0xf
	v_and_b32_e32 v11, v12, v11
	v_add_u32_e32 v9, v9, v11
	v_and_b32_e32 v12, 64, v10
	s_nop 0
	v_mov_b32_dpp v11, v9 row_bcast:31 row_mask:0xf bank_mask:0xf
	v_cndmask_b32_e64 v11, 0, v11, s[4:5]
	v_add_u32_e32 v9, v9, v11
	v_add_u32_e32 v11, -1, v10
	v_cmp_lt_i32_e64 s[4:5], v11, v12
	v_cndmask_b32_e64 v10, v11, v10, s[4:5]
	v_lshlrev_b32_e32 v10, 2, v10
	ds_bpermute_b32 v9, v10, v9
	s_waitcnt lgkmcnt(0)
	v_add_u32_e32 v8, v9, v8
	v_cndmask_b32_e64 v6, v8, v6, s[2:3]
	ds_write_b32 v7, v6
	; wave barrier
	ds_read_b32 v8, v7 offset:4
	s_waitcnt lgkmcnt(0)
	v_add_u32_e32 v6, v8, v6
	ds_write_b32 v7, v6 offset:4
.LBB4594_31:
	s_or_b64 exec, exec, s[24:25]
	v_mov_b32_e32 v25, 0
	s_waitcnt lgkmcnt(0)
	s_barrier
	s_and_saveexec_b64 s[4:5], s[0:1]
	s_cbranch_execz .LBB4594_33
; %bb.32:
	v_add_u32_e32 v6, -1, v0
	v_lshrrev_b32_e32 v7, 5, v6
	v_add_lshl_u32 v6, v7, v6, 2
	ds_read_b32 v25, v6
.LBB4594_33:
	s_or_b64 exec, exec, s[4:5]
	s_and_saveexec_b64 s[24:25], vcc
	s_cbranch_execz .LBB4594_56
; %bb.34:
	v_mov_b32_e32 v15, 0
	ds_read_b32 v6, v15 offset:520
	v_mbcnt_lo_u32_b32 v7, -1, 0
	v_mbcnt_hi_u32_b32 v9, -1, v7
	s_mov_b32 s29, 0
	v_cmp_eq_u32_e64 s[4:5], 0, v9
	s_and_saveexec_b64 s[26:27], s[4:5]
	s_cbranch_execz .LBB4594_36
; %bb.35:
	s_add_i32 s28, s33, 64
	s_lshl_b64 s[28:29], s[28:29], 3
	s_add_u32 s28, s6, s28
	v_mov_b32_e32 v7, 1
	s_addc_u32 s29, s7, s29
	s_waitcnt lgkmcnt(0)
	global_store_dwordx2 v15, v[6:7], s[28:29]
.LBB4594_36:
	s_or_b64 exec, exec, s[26:27]
	v_xad_u32 v8, v9, -1, s33
	v_add_u32_e32 v14, 64, v8
	v_lshlrev_b64 v[10:11], 3, v[14:15]
	v_mov_b32_e32 v7, s7
	v_add_co_u32_e32 v10, vcc, s6, v10
	v_addc_co_u32_e32 v11, vcc, v7, v11, vcc
	global_load_dwordx2 v[12:13], v[10:11], off glc
	s_waitcnt vmcnt(0)
	v_cmp_eq_u16_sdwa s[28:29], v13, v15 src0_sel:BYTE_0 src1_sel:DWORD
	s_and_saveexec_b64 s[26:27], s[28:29]
	s_cbranch_execz .LBB4594_42
; %bb.37:
	s_mov_b32 s34, 1
	s_mov_b64 s[28:29], 0
	v_mov_b32_e32 v7, 0
.LBB4594_38:                            ; =>This Loop Header: Depth=1
                                        ;     Child Loop BB4594_39 Depth 2
	s_max_u32 s35, s34, 1
.LBB4594_39:                            ;   Parent Loop BB4594_38 Depth=1
                                        ; =>  This Inner Loop Header: Depth=2
	s_add_i32 s35, s35, -1
	s_cmp_eq_u32 s35, 0
	s_sleep 1
	s_cbranch_scc0 .LBB4594_39
; %bb.40:                               ;   in Loop: Header=BB4594_38 Depth=1
	global_load_dwordx2 v[12:13], v[10:11], off glc
	s_cmp_lt_u32 s34, 32
	s_cselect_b64 s[36:37], -1, 0
	s_cmp_lg_u64 s[36:37], 0
	s_addc_u32 s34, s34, 0
	s_waitcnt vmcnt(0)
	v_cmp_ne_u16_sdwa s[36:37], v13, v7 src0_sel:BYTE_0 src1_sel:DWORD
	s_or_b64 s[28:29], s[36:37], s[28:29]
	s_andn2_b64 exec, exec, s[28:29]
	s_cbranch_execnz .LBB4594_38
; %bb.41:
	s_or_b64 exec, exec, s[28:29]
.LBB4594_42:
	s_or_b64 exec, exec, s[26:27]
	v_and_b32_e32 v26, 63, v9
	v_mov_b32_e32 v7, 2
	v_cmp_ne_u32_e32 vcc, 63, v26
	v_cmp_eq_u16_sdwa s[26:27], v13, v7 src0_sel:BYTE_0 src1_sel:DWORD
	v_lshlrev_b64 v[10:11], v9, -1
	v_addc_co_u32_e32 v27, vcc, 0, v9, vcc
	v_and_b32_e32 v14, s27, v11
	v_lshlrev_b32_e32 v27, 2, v27
	v_or_b32_e32 v14, 0x80000000, v14
	ds_bpermute_b32 v28, v27, v12
	v_and_b32_e32 v15, s26, v10
	v_ffbl_b32_e32 v14, v14
	v_add_u32_e32 v14, 32, v14
	v_ffbl_b32_e32 v15, v15
	v_min_u32_e32 v14, v15, v14
	v_cmp_lt_u32_e32 vcc, v26, v14
	s_waitcnt lgkmcnt(0)
	v_cndmask_b32_e32 v15, 0, v28, vcc
	v_cmp_gt_u32_e32 vcc, 62, v26
	v_add_u32_e32 v12, v15, v12
	v_cndmask_b32_e64 v15, 0, 1, vcc
	v_lshlrev_b32_e32 v15, 1, v15
	v_add_lshl_u32 v28, v15, v9, 2
	ds_bpermute_b32 v15, v28, v12
	v_add_u32_e32 v29, 2, v26
	v_cmp_le_u32_e32 vcc, v29, v14
	v_add_u32_e32 v31, 4, v26
	v_add_u32_e32 v33, 8, v26
	s_waitcnt lgkmcnt(0)
	v_cndmask_b32_e32 v15, 0, v15, vcc
	v_cmp_gt_u32_e32 vcc, 60, v26
	v_add_u32_e32 v12, v12, v15
	v_cndmask_b32_e64 v15, 0, 1, vcc
	v_lshlrev_b32_e32 v15, 2, v15
	v_add_lshl_u32 v30, v15, v9, 2
	ds_bpermute_b32 v15, v30, v12
	v_cmp_le_u32_e32 vcc, v31, v14
	v_add_u32_e32 v36, 16, v26
	v_add_u32_e32 v38, 32, v26
	s_waitcnt lgkmcnt(0)
	v_cndmask_b32_e32 v15, 0, v15, vcc
	v_cmp_gt_u32_e32 vcc, 56, v26
	v_add_u32_e32 v12, v12, v15
	v_cndmask_b32_e64 v15, 0, 1, vcc
	v_lshlrev_b32_e32 v15, 3, v15
	v_add_lshl_u32 v32, v15, v9, 2
	ds_bpermute_b32 v15, v32, v12
	v_cmp_le_u32_e32 vcc, v33, v14
	s_waitcnt lgkmcnt(0)
	v_cndmask_b32_e32 v15, 0, v15, vcc
	v_cmp_gt_u32_e32 vcc, 48, v26
	v_add_u32_e32 v12, v12, v15
	v_cndmask_b32_e64 v15, 0, 1, vcc
	v_lshlrev_b32_e32 v15, 4, v15
	v_add_lshl_u32 v35, v15, v9, 2
	ds_bpermute_b32 v15, v35, v12
	v_cmp_le_u32_e32 vcc, v36, v14
	;; [unrolled: 9-line block ×3, first 2 shown]
	s_waitcnt lgkmcnt(0)
	v_cndmask_b32_e32 v9, 0, v9, vcc
	v_add_u32_e32 v12, v12, v9
	v_mov_b32_e32 v9, 0
	s_branch .LBB4594_44
.LBB4594_43:                            ;   in Loop: Header=BB4594_44 Depth=1
	s_or_b64 exec, exec, s[26:27]
	v_cmp_eq_u16_sdwa s[26:27], v13, v7 src0_sel:BYTE_0 src1_sel:DWORD
	v_and_b32_e32 v14, s27, v11
	v_or_b32_e32 v14, 0x80000000, v14
	ds_bpermute_b32 v39, v27, v12
	v_and_b32_e32 v15, s26, v10
	v_ffbl_b32_e32 v14, v14
	v_add_u32_e32 v14, 32, v14
	v_ffbl_b32_e32 v15, v15
	v_min_u32_e32 v14, v15, v14
	v_cmp_lt_u32_e32 vcc, v26, v14
	s_waitcnt lgkmcnt(0)
	v_cndmask_b32_e32 v15, 0, v39, vcc
	v_add_u32_e32 v12, v15, v12
	ds_bpermute_b32 v15, v28, v12
	v_cmp_le_u32_e32 vcc, v29, v14
	v_subrev_u32_e32 v8, 64, v8
	s_waitcnt lgkmcnt(0)
	v_cndmask_b32_e32 v15, 0, v15, vcc
	v_add_u32_e32 v12, v12, v15
	ds_bpermute_b32 v15, v30, v12
	v_cmp_le_u32_e32 vcc, v31, v14
	s_waitcnt lgkmcnt(0)
	v_cndmask_b32_e32 v15, 0, v15, vcc
	v_add_u32_e32 v12, v12, v15
	ds_bpermute_b32 v15, v32, v12
	v_cmp_le_u32_e32 vcc, v33, v14
	;; [unrolled: 5-line block ×4, first 2 shown]
	s_waitcnt lgkmcnt(0)
	v_cndmask_b32_e32 v14, 0, v15, vcc
	v_add3_u32 v12, v14, v34, v12
.LBB4594_44:                            ; =>This Loop Header: Depth=1
                                        ;     Child Loop BB4594_47 Depth 2
                                        ;       Child Loop BB4594_48 Depth 3
	v_cmp_ne_u16_sdwa s[26:27], v13, v7 src0_sel:BYTE_0 src1_sel:DWORD
	v_cndmask_b32_e64 v13, 0, 1, s[26:27]
	;;#ASMSTART
	;;#ASMEND
	v_cmp_ne_u32_e32 vcc, 0, v13
	s_cmp_lg_u64 vcc, exec
	v_mov_b32_e32 v34, v12
	s_cbranch_scc1 .LBB4594_51
; %bb.45:                               ;   in Loop: Header=BB4594_44 Depth=1
	v_lshlrev_b64 v[12:13], 3, v[8:9]
	v_mov_b32_e32 v15, s7
	v_add_co_u32_e32 v14, vcc, s6, v12
	v_addc_co_u32_e32 v15, vcc, v15, v13, vcc
	global_load_dwordx2 v[12:13], v[14:15], off glc
	s_waitcnt vmcnt(0)
	v_cmp_eq_u16_sdwa s[28:29], v13, v9 src0_sel:BYTE_0 src1_sel:DWORD
	s_and_saveexec_b64 s[26:27], s[28:29]
	s_cbranch_execz .LBB4594_43
; %bb.46:                               ;   in Loop: Header=BB4594_44 Depth=1
	s_mov_b32 s34, 1
	s_mov_b64 s[28:29], 0
.LBB4594_47:                            ;   Parent Loop BB4594_44 Depth=1
                                        ; =>  This Loop Header: Depth=2
                                        ;       Child Loop BB4594_48 Depth 3
	s_max_u32 s35, s34, 1
.LBB4594_48:                            ;   Parent Loop BB4594_44 Depth=1
                                        ;     Parent Loop BB4594_47 Depth=2
                                        ; =>    This Inner Loop Header: Depth=3
	s_add_i32 s35, s35, -1
	s_cmp_eq_u32 s35, 0
	s_sleep 1
	s_cbranch_scc0 .LBB4594_48
; %bb.49:                               ;   in Loop: Header=BB4594_47 Depth=2
	global_load_dwordx2 v[12:13], v[14:15], off glc
	s_cmp_lt_u32 s34, 32
	s_cselect_b64 s[36:37], -1, 0
	s_cmp_lg_u64 s[36:37], 0
	s_addc_u32 s34, s34, 0
	s_waitcnt vmcnt(0)
	v_cmp_ne_u16_sdwa s[36:37], v13, v9 src0_sel:BYTE_0 src1_sel:DWORD
	s_or_b64 s[28:29], s[36:37], s[28:29]
	s_andn2_b64 exec, exec, s[28:29]
	s_cbranch_execnz .LBB4594_47
; %bb.50:                               ;   in Loop: Header=BB4594_44 Depth=1
	s_or_b64 exec, exec, s[28:29]
	s_branch .LBB4594_43
.LBB4594_51:                            ;   in Loop: Header=BB4594_44 Depth=1
                                        ; implicit-def: $vgpr12
                                        ; implicit-def: $vgpr13
	s_cbranch_execz .LBB4594_44
; %bb.52:
	s_and_saveexec_b64 s[26:27], s[4:5]
	s_cbranch_execz .LBB4594_54
; %bb.53:
	s_add_i32 s4, s33, 64
	s_mov_b32 s5, 0
	s_lshl_b64 s[4:5], s[4:5], 3
	s_add_u32 s4, s6, s4
	v_add_u32_e32 v6, v34, v6
	v_mov_b32_e32 v7, 2
	s_addc_u32 s5, s7, s5
	v_mov_b32_e32 v8, 0
	global_store_dwordx2 v8, v[6:7], s[4:5]
.LBB4594_54:
	s_or_b64 exec, exec, s[26:27]
	s_and_b64 exec, exec, s[2:3]
	s_cbranch_execz .LBB4594_56
; %bb.55:
	v_mov_b32_e32 v6, 0
	ds_write_b32 v6, v34
.LBB4594_56:
	s_or_b64 exec, exec, s[24:25]
	v_mov_b32_e32 v6, 0
	s_waitcnt lgkmcnt(0)
	s_barrier
	ds_read_b32 v6, v6
	s_waitcnt lgkmcnt(0)
	v_add3_u32 v6, v25, v2, v6
	v_add_u32_e32 v7, v6, v3
	v_add_u32_e32 v8, v7, v4
	;; [unrolled: 1-line block ×9, first 2 shown]
	s_branch .LBB4594_69
.LBB4594_57:
                                        ; implicit-def: $vgpr6_vgpr7_vgpr8_vgpr9_vgpr10_vgpr11_vgpr12_vgpr13_vgpr14_vgpr15
	s_cbranch_execz .LBB4594_69
; %bb.58:
	s_cmp_lg_u64 s[12:13], 0
	s_cselect_b64 s[4:5], -1, 0
	s_and_b64 s[12:13], s[2:3], s[4:5]
	v_mov_b32_e32 v12, v3
	v_mov_b32_e32 v13, v4
	;; [unrolled: 1-line block ×3, first 2 shown]
	s_and_saveexec_b64 s[4:5], s[12:13]
	s_cbranch_execz .LBB4594_60
; %bb.59:
	v_mov_b32_e32 v6, 0
	global_load_dword v6, v6, s[8:9]
	v_mov_b32_e32 v12, v3
	v_mov_b32_e32 v13, v4
	;; [unrolled: 1-line block ×3, first 2 shown]
	s_waitcnt vmcnt(0)
	v_add_u32_e32 v2, v6, v2
.LBB4594_60:
	s_or_b64 exec, exec, s[4:5]
	v_add_u32_e32 v3, v12, v2
	v_add_u32_e32 v4, v3, v13
	;; [unrolled: 1-line block ×9, first 2 shown]
	v_add_lshl_u32 v15, v24, v0, 2
	v_cmp_gt_u32_e32 vcc, 64, v0
	ds_write_b32 v15, v11
	s_waitcnt lgkmcnt(0)
	s_barrier
	s_and_saveexec_b64 s[4:5], vcc
	s_cbranch_execz .LBB4594_62
; %bb.61:
	v_lshlrev_b32_e32 v15, 1, v0
	v_lshrrev_b32_e32 v24, 4, v0
	v_add_lshl_u32 v15, v24, v15, 2
	ds_read2_b32 v[24:25], v15 offset1:1
	v_mbcnt_lo_u32_b32 v26, -1, 0
	v_mbcnt_hi_u32_b32 v26, -1, v26
	v_and_b32_e32 v27, 15, v26
	v_cmp_ne_u32_e32 vcc, 0, v27
	s_waitcnt lgkmcnt(0)
	v_add_u32_e32 v25, v25, v24
	; wave barrier
	s_nop 1
	v_mov_b32_dpp v28, v25 row_shr:1 row_mask:0xf bank_mask:0xf
	v_cndmask_b32_e32 v28, 0, v28, vcc
	v_add_u32_e32 v25, v28, v25
	v_cmp_lt_u32_e32 vcc, 1, v27
	s_nop 0
	v_mov_b32_dpp v28, v25 row_shr:2 row_mask:0xf bank_mask:0xf
	v_cndmask_b32_e32 v28, 0, v28, vcc
	v_add_u32_e32 v25, v25, v28
	v_cmp_lt_u32_e32 vcc, 3, v27
	;; [unrolled: 5-line block ×3, first 2 shown]
	s_nop 0
	v_mov_b32_dpp v28, v25 row_shr:8 row_mask:0xf bank_mask:0xf
	v_cndmask_b32_e32 v27, 0, v28, vcc
	v_add_u32_e32 v25, v25, v27
	v_bfe_i32 v28, v26, 4, 1
	v_cmp_lt_u32_e32 vcc, 31, v26
	v_mov_b32_dpp v27, v25 row_bcast:15 row_mask:0xf bank_mask:0xf
	v_and_b32_e32 v27, v28, v27
	v_add_u32_e32 v25, v25, v27
	v_and_b32_e32 v28, 64, v26
	s_nop 0
	v_mov_b32_dpp v27, v25 row_bcast:31 row_mask:0xf bank_mask:0xf
	v_cndmask_b32_e32 v27, 0, v27, vcc
	v_add_u32_e32 v25, v25, v27
	v_add_u32_e32 v27, -1, v26
	v_cmp_lt_i32_e32 vcc, v27, v28
	v_cndmask_b32_e32 v26, v27, v26, vcc
	v_lshlrev_b32_e32 v26, 2, v26
	ds_bpermute_b32 v25, v26, v25
	s_waitcnt lgkmcnt(0)
	v_add_u32_e32 v24, v25, v24
	v_cndmask_b32_e64 v24, v24, v11, s[2:3]
	ds_write_b32 v15, v24
	; wave barrier
	ds_read_b32 v25, v15 offset:4
	s_waitcnt lgkmcnt(0)
	v_add_u32_e32 v24, v25, v24
	ds_write_b32 v15, v24 offset:4
.LBB4594_62:
	s_or_b64 exec, exec, s[4:5]
	v_mov_b32_e32 v15, v11
	s_waitcnt lgkmcnt(0)
	s_barrier
	s_and_saveexec_b64 s[2:3], s[0:1]
	s_cbranch_execz .LBB4594_64
; %bb.63:
	v_add_u32_e32 v15, -1, v0
	v_lshrrev_b32_e32 v24, 5, v15
	v_add_lshl_u32 v15, v24, v15, 2
	ds_read_b32 v15, v15
.LBB4594_64:
	s_or_b64 exec, exec, s[2:3]
	s_and_saveexec_b64 s[2:3], s[0:1]
	s_cbranch_execz .LBB4594_66
; %bb.65:
	s_waitcnt lgkmcnt(0)
	v_add_u32_e32 v2, v15, v2
	v_add_u32_e32 v3, v2, v12
	;; [unrolled: 1-line block ×10, first 2 shown]
	;;#ASMSTART
	;;#ASMEND
.LBB4594_66:
	s_or_b64 exec, exec, s[2:3]
	s_movk_i32 s0, 0x7f
	v_cmp_eq_u32_e32 vcc, s0, v0
	s_and_saveexec_b64 s[0:1], vcc
	s_cbranch_execz .LBB4594_68
; %bb.67:
	v_mov_b32_e32 v14, 0
	v_mov_b32_e32 v13, 2
	;; [unrolled: 1-line block ×3, first 2 shown]
	global_store_dwordx2 v14, v[12:13], s[6:7] offset:512
.LBB4594_68:
	s_or_b64 exec, exec, s[0:1]
	s_waitcnt lgkmcnt(0)
	v_pk_mov_b32 v[14:15], v[10:11], v[10:11] op_sel:[0,1]
	v_pk_mov_b32 v[12:13], v[8:9], v[8:9] op_sel:[0,1]
	;; [unrolled: 1-line block ×5, first 2 shown]
.LBB4594_69:
	s_add_u32 s0, s20, s18
	s_addc_u32 s1, s21, s19
	s_add_u32 s2, s0, s22
	s_addc_u32 s3, s1, s23
	s_mov_b64 s[0:1], -1
	s_and_b64 vcc, exec, s[16:17]
	s_barrier
	s_cbranch_vccz .LBB4594_71
; %bb.70:
	ds_write2_b64 v1, v[6:7], v[8:9] offset1:1
	ds_write2_b64 v1, v[10:11], v[12:13] offset0:2 offset1:3
	ds_write_b64 v1, v[14:15] offset:32
	s_waitcnt lgkmcnt(0)
	s_barrier
	ds_read2st64_b32 v[2:3], v22 offset1:2
	ds_read2st64_b32 v[4:5], v22 offset0:4 offset1:6
	ds_read2st64_b32 v[16:17], v22 offset0:8 offset1:10
	;; [unrolled: 1-line block ×4, first 2 shown]
	v_mov_b32_e32 v25, s3
	v_add_co_u32_e32 v24, vcc, s2, v22
	v_addc_co_u32_e32 v25, vcc, 0, v25, vcc
	s_waitcnt lgkmcnt(4)
	flat_store_dword v[24:25], v2
	flat_store_dword v[24:25], v3 offset:512
	s_waitcnt lgkmcnt(0)
	flat_store_dword v[24:25], v4 offset:1024
	flat_store_dword v[24:25], v5 offset:1536
	;; [unrolled: 1-line block ×6, first 2 shown]
	v_add_co_u32_e32 v2, vcc, 0x1000, v24
	v_addc_co_u32_e32 v3, vcc, 0, v25, vcc
	flat_store_dword v[2:3], v20
	flat_store_dword v[2:3], v21 offset:512
	s_mov_b64 s[0:1], 0
.LBB4594_71:
	s_andn2_b64 vcc, exec, s[0:1]
	s_cbranch_vccnz .LBB4594_127
; %bb.72:
	ds_write2_b64 v1, v[6:7], v[8:9] offset1:1
	ds_write2_b64 v1, v[10:11], v[12:13] offset0:2 offset1:3
	ds_write_b64 v1, v[14:15] offset:32
	s_waitcnt lgkmcnt(0)
	s_barrier
	ds_read2st64_b32 v[2:3], v22 offset1:2
	ds_read2st64_b32 v[6:7], v22 offset0:4 offset1:6
	ds_read2st64_b32 v[4:5], v22 offset0:8 offset1:10
	;; [unrolled: 1-line block ×4, first 2 shown]
	v_mov_b32_e32 v13, s3
	v_add_co_u32_e32 v12, vcc, s2, v22
	v_addc_co_u32_e32 v13, vcc, 0, v13, vcc
	v_mov_b32_e32 v1, 0
	v_cmp_gt_u32_e32 vcc, s30, v0
	s_and_saveexec_b64 s[0:1], vcc
	s_cbranch_execz .LBB4594_74
; %bb.73:
	s_waitcnt lgkmcnt(0)
	flat_store_dword v[12:13], v2
.LBB4594_74:
	s_or_b64 exec, exec, s[0:1]
	v_or_b32_e32 v14, 0x80, v0
	v_cmp_gt_u32_e32 vcc, s30, v14
	s_and_saveexec_b64 s[0:1], vcc
	s_cbranch_execz .LBB4594_76
; %bb.75:
	s_waitcnt lgkmcnt(0)
	flat_store_dword v[12:13], v3 offset:512
.LBB4594_76:
	s_or_b64 exec, exec, s[0:1]
	v_or_b32_e32 v14, 0x100, v0
	v_cmp_gt_u32_e32 vcc, s30, v14
	s_and_saveexec_b64 s[0:1], vcc
	s_cbranch_execz .LBB4594_78
; %bb.77:
	s_waitcnt lgkmcnt(0)
	flat_store_dword v[12:13], v6 offset:1024
.LBB4594_78:
	;; [unrolled: 9-line block ×7, first 2 shown]
	s_or_b64 exec, exec, s[0:1]
	v_or_b32_e32 v14, 0x400, v0
	v_cmp_gt_u32_e32 vcc, s30, v14
	s_and_saveexec_b64 s[0:1], vcc
	s_cbranch_execz .LBB4594_90
; %bb.89:
	v_add_co_u32_e32 v14, vcc, 0x1000, v12
	v_addc_co_u32_e32 v15, vcc, 0, v13, vcc
	s_waitcnt lgkmcnt(0)
	flat_store_dword v[14:15], v10
.LBB4594_90:
	s_or_b64 exec, exec, s[0:1]
	v_or_b32_e32 v14, 0x480, v0
	v_cmp_gt_u32_e32 vcc, s30, v14
	s_and_saveexec_b64 s[0:1], vcc
	s_cbranch_execz .LBB4594_92
; %bb.91:
	v_add_co_u32_e32 v12, vcc, 0x1000, v12
	v_addc_co_u32_e32 v13, vcc, 0, v13, vcc
	s_waitcnt lgkmcnt(0)
	flat_store_dword v[12:13], v11 offset:512
.LBB4594_92:
	s_or_b64 exec, exec, s[0:1]
	v_cmp_lt_u64_e64 s[0:1], s[14:15], 2
	s_and_b64 vcc, exec, s[0:1]
	s_cbranch_vccnz .LBB4594_127
; %bb.93:
	s_add_u32 s0, s30, -1
	s_addc_u32 s1, s31, -1
	s_add_u32 s2, 0, 0x99986000
	s_addc_u32 s3, 0, 0x59
	s_add_i32 s3, s3, 0x19999940
	s_mul_hi_u32 s7, s2, -10
	s_sub_i32 s7, s7, s2
	s_mul_i32 s8, s3, -10
	s_mul_i32 s4, s2, -10
	s_add_i32 s7, s7, s8
	s_mul_hi_u32 s5, s3, s4
	s_mul_i32 s6, s3, s4
	s_mul_i32 s9, s2, s7
	s_mul_hi_u32 s4, s2, s4
	s_mul_hi_u32 s8, s2, s7
	s_add_u32 s4, s4, s9
	s_addc_u32 s8, 0, s8
	s_add_u32 s4, s4, s6
	s_mul_hi_u32 s9, s3, s7
	s_addc_u32 s4, s8, s5
	s_addc_u32 s5, s9, 0
	s_mul_i32 s6, s3, s7
	s_add_u32 s4, s4, s6
	v_mov_b32_e32 v12, s4
	s_addc_u32 s5, 0, s5
	v_add_co_u32_e32 v12, vcc, s2, v12
	s_cmp_lg_u64 vcc, 0
	s_addc_u32 s2, s3, s5
	v_readfirstlane_b32 s5, v12
	s_mul_i32 s4, s0, s2
	s_mul_hi_u32 s6, s0, s5
	s_mul_hi_u32 s3, s0, s2
	s_add_u32 s4, s6, s4
	s_addc_u32 s3, 0, s3
	s_mul_hi_u32 s7, s1, s5
	s_mul_i32 s5, s1, s5
	s_add_u32 s4, s4, s5
	s_mul_hi_u32 s6, s1, s2
	s_addc_u32 s3, s3, s7
	s_addc_u32 s4, s6, 0
	s_mul_i32 s2, s1, s2
	s_add_u32 s2, s3, s2
	s_addc_u32 s3, 0, s4
	s_add_u32 s4, s2, 1
	s_addc_u32 s5, s3, 0
	s_add_u32 s6, s2, 2
	s_mul_i32 s8, s3, 10
	s_mul_hi_u32 s9, s2, 10
	s_addc_u32 s7, s3, 0
	s_add_i32 s9, s9, s8
	s_mul_i32 s8, s2, 10
	v_mov_b32_e32 v12, s8
	v_sub_co_u32_e32 v12, vcc, s0, v12
	s_cmp_lg_u64 vcc, 0
	s_subb_u32 s8, s1, s9
	v_subrev_co_u32_e32 v13, vcc, 10, v12
	s_cmp_lg_u64 vcc, 0
	s_subb_u32 s9, s8, 0
	v_readfirstlane_b32 s12, v13
	s_cmp_gt_u32 s12, 9
	s_cselect_b32 s12, -1, 0
	s_cmp_eq_u32 s9, 0
	s_cselect_b32 s9, s12, -1
	s_cmp_lg_u32 s9, 0
	s_cselect_b32 s4, s6, s4
	v_readfirstlane_b32 s6, v12
	s_cselect_b32 s5, s7, s5
	s_cmp_gt_u32 s6, 9
	s_cselect_b32 s6, -1, 0
	s_cmp_eq_u32 s8, 0
	s_cselect_b32 s6, s6, -1
	s_cmp_lg_u32 s6, 0
	s_cselect_b32 s3, s5, s3
	s_cselect_b32 s2, s4, s2
	v_cmp_eq_u64_e32 vcc, s[2:3], v[0:1]
	s_and_saveexec_b64 s[2:3], vcc
	s_cbranch_execz .LBB4594_127
; %bb.94:
	v_mul_hi_u32_u24_e32 v1, 10, v0
	v_mov_b32_e32 v12, s1
	v_sub_co_u32_e32 v0, vcc, s0, v23
	v_subb_co_u32_e32 v1, vcc, v12, v1, vcc
	v_cmp_lt_i64_e32 vcc, 4, v[0:1]
	s_and_saveexec_b64 s[0:1], vcc
	s_xor_b64 s[0:1], exec, s[0:1]
	s_cbranch_execz .LBB4594_112
; %bb.95:
	v_cmp_lt_i64_e32 vcc, 6, v[0:1]
	s_and_saveexec_b64 s[2:3], vcc
	s_xor_b64 s[2:3], exec, s[2:3]
	s_cbranch_execz .LBB4594_105
; %bb.96:
	;; [unrolled: 5-line block ×4, first 2 shown]
	v_mov_b32_e32 v0, 0
	s_waitcnt lgkmcnt(0)
	global_store_dword v0, v11, s[10:11]
                                        ; implicit-def: $vgpr10_vgpr11
.LBB4594_99:
	s_andn2_saveexec_b64 s[6:7], s[6:7]
	s_cbranch_execz .LBB4594_101
; %bb.100:
	v_mov_b32_e32 v0, 0
	s_waitcnt lgkmcnt(0)
	global_store_dword v0, v10, s[10:11]
.LBB4594_101:
	s_or_b64 exec, exec, s[6:7]
                                        ; implicit-def: $vgpr8_vgpr9
.LBB4594_102:
	s_andn2_saveexec_b64 s[4:5], s[4:5]
	s_cbranch_execz .LBB4594_104
; %bb.103:
	v_mov_b32_e32 v0, 0
	s_waitcnt lgkmcnt(0)
	global_store_dword v0, v9, s[10:11]
.LBB4594_104:
	s_or_b64 exec, exec, s[4:5]
                                        ; implicit-def: $vgpr4_vgpr5
                                        ; implicit-def: $vgpr0_vgpr1
                                        ; implicit-def: $vgpr8_vgpr9
.LBB4594_105:
	s_andn2_saveexec_b64 s[2:3], s[2:3]
	s_cbranch_execz .LBB4594_111
; %bb.106:
	v_cmp_lt_i64_e32 vcc, 5, v[0:1]
	s_and_saveexec_b64 s[4:5], vcc
	s_xor_b64 s[4:5], exec, s[4:5]
	s_cbranch_execz .LBB4594_108
; %bb.107:
	v_mov_b32_e32 v0, 0
	s_waitcnt lgkmcnt(0)
	global_store_dword v0, v8, s[10:11]
                                        ; implicit-def: $vgpr4_vgpr5
.LBB4594_108:
	s_andn2_saveexec_b64 s[4:5], s[4:5]
	s_cbranch_execz .LBB4594_110
; %bb.109:
	v_mov_b32_e32 v0, 0
	s_waitcnt lgkmcnt(0)
	global_store_dword v0, v5, s[10:11]
.LBB4594_110:
	s_or_b64 exec, exec, s[4:5]
.LBB4594_111:
	s_or_b64 exec, exec, s[2:3]
                                        ; implicit-def: $vgpr0_vgpr1
                                        ; implicit-def: $vgpr6_vgpr7
                                        ; implicit-def: $vgpr2_vgpr3
                                        ; implicit-def: $vgpr4_vgpr5
.LBB4594_112:
	s_andn2_saveexec_b64 s[0:1], s[0:1]
	s_cbranch_execz .LBB4594_127
; %bb.113:
	v_cmp_lt_i64_e32 vcc, 2, v[0:1]
	s_and_saveexec_b64 s[0:1], vcc
	s_xor_b64 s[0:1], exec, s[0:1]
	s_cbranch_execz .LBB4594_119
; %bb.114:
	v_cmp_lt_i64_e32 vcc, 3, v[0:1]
	s_and_saveexec_b64 s[2:3], vcc
	s_xor_b64 s[2:3], exec, s[2:3]
	s_cbranch_execz .LBB4594_116
; %bb.115:
	v_mov_b32_e32 v0, 0
	s_waitcnt lgkmcnt(0)
	global_store_dword v0, v4, s[10:11]
                                        ; implicit-def: $vgpr6_vgpr7
.LBB4594_116:
	s_andn2_saveexec_b64 s[2:3], s[2:3]
	s_cbranch_execz .LBB4594_118
; %bb.117:
	v_mov_b32_e32 v0, 0
	s_waitcnt lgkmcnt(0)
	global_store_dword v0, v7, s[10:11]
.LBB4594_118:
	s_or_b64 exec, exec, s[2:3]
                                        ; implicit-def: $vgpr0_vgpr1
                                        ; implicit-def: $vgpr6_vgpr7
                                        ; implicit-def: $vgpr2_vgpr3
.LBB4594_119:
	s_andn2_saveexec_b64 s[0:1], s[0:1]
	s_cbranch_execz .LBB4594_127
; %bb.120:
	v_cmp_lt_i64_e32 vcc, 1, v[0:1]
	s_and_saveexec_b64 s[0:1], vcc
	s_xor_b64 s[0:1], exec, s[0:1]
	s_cbranch_execz .LBB4594_122
; %bb.121:
	v_mov_b32_e32 v0, 0
	s_waitcnt lgkmcnt(0)
	global_store_dword v0, v6, s[10:11]
                                        ; implicit-def: $vgpr2_vgpr3
                                        ; implicit-def: $vgpr0_vgpr1
.LBB4594_122:
	s_andn2_saveexec_b64 s[0:1], s[0:1]
	s_cbranch_execz .LBB4594_127
; %bb.123:
	v_cmp_ne_u64_e32 vcc, 1, v[0:1]
	s_and_saveexec_b64 s[0:1], vcc
	s_xor_b64 s[0:1], exec, s[0:1]
	s_cbranch_execz .LBB4594_125
; %bb.124:
	v_mov_b32_e32 v0, 0
	s_waitcnt lgkmcnt(0)
	global_store_dword v0, v2, s[10:11]
                                        ; implicit-def: $vgpr2_vgpr3
.LBB4594_125:
	s_andn2_saveexec_b64 s[0:1], s[0:1]
	s_cbranch_execz .LBB4594_127
; %bb.126:
	v_mov_b32_e32 v0, 0
	s_waitcnt lgkmcnt(0)
	global_store_dword v0, v3, s[10:11]
.LBB4594_127:
	s_endpgm
	.section	.rodata,"a",@progbits
	.p2align	6, 0x0
	.amdhsa_kernel _ZN7rocprim17ROCPRIM_400000_NS6detail17trampoline_kernelINS0_14default_configENS1_20scan_config_selectorIjEEZZNS1_9scan_implILNS1_25lookback_scan_determinismE0ELb0ELb0ES3_N6thrust23THRUST_200600_302600_NS6detail15normal_iteratorINS9_10device_ptrIjEEEESE_jNS9_4plusIvEEjEEDaPvRmT3_T4_T5_mT6_P12ihipStream_tbENKUlT_T0_E_clISt17integral_constantIbLb1EESU_EEDaSP_SQ_EUlSP_E_NS1_11comp_targetILNS1_3genE4ELNS1_11target_archE910ELNS1_3gpuE8ELNS1_3repE0EEENS1_30default_config_static_selectorELNS0_4arch9wavefront6targetE1EEEvT1_
		.amdhsa_group_segment_fixed_size 5120
		.amdhsa_private_segment_fixed_size 0
		.amdhsa_kernarg_size 96
		.amdhsa_user_sgpr_count 6
		.amdhsa_user_sgpr_private_segment_buffer 1
		.amdhsa_user_sgpr_dispatch_ptr 0
		.amdhsa_user_sgpr_queue_ptr 0
		.amdhsa_user_sgpr_kernarg_segment_ptr 1
		.amdhsa_user_sgpr_dispatch_id 0
		.amdhsa_user_sgpr_flat_scratch_init 0
		.amdhsa_user_sgpr_kernarg_preload_length 0
		.amdhsa_user_sgpr_kernarg_preload_offset 0
		.amdhsa_user_sgpr_private_segment_size 0
		.amdhsa_uses_dynamic_stack 0
		.amdhsa_system_sgpr_private_segment_wavefront_offset 0
		.amdhsa_system_sgpr_workgroup_id_x 1
		.amdhsa_system_sgpr_workgroup_id_y 0
		.amdhsa_system_sgpr_workgroup_id_z 0
		.amdhsa_system_sgpr_workgroup_info 0
		.amdhsa_system_vgpr_workitem_id 0
		.amdhsa_next_free_vgpr 40
		.amdhsa_next_free_sgpr 38
		.amdhsa_accum_offset 40
		.amdhsa_reserve_vcc 1
		.amdhsa_reserve_flat_scratch 0
		.amdhsa_float_round_mode_32 0
		.amdhsa_float_round_mode_16_64 0
		.amdhsa_float_denorm_mode_32 3
		.amdhsa_float_denorm_mode_16_64 3
		.amdhsa_dx10_clamp 1
		.amdhsa_ieee_mode 1
		.amdhsa_fp16_overflow 0
		.amdhsa_tg_split 0
		.amdhsa_exception_fp_ieee_invalid_op 0
		.amdhsa_exception_fp_denorm_src 0
		.amdhsa_exception_fp_ieee_div_zero 0
		.amdhsa_exception_fp_ieee_overflow 0
		.amdhsa_exception_fp_ieee_underflow 0
		.amdhsa_exception_fp_ieee_inexact 0
		.amdhsa_exception_int_div_zero 0
	.end_amdhsa_kernel
	.section	.text._ZN7rocprim17ROCPRIM_400000_NS6detail17trampoline_kernelINS0_14default_configENS1_20scan_config_selectorIjEEZZNS1_9scan_implILNS1_25lookback_scan_determinismE0ELb0ELb0ES3_N6thrust23THRUST_200600_302600_NS6detail15normal_iteratorINS9_10device_ptrIjEEEESE_jNS9_4plusIvEEjEEDaPvRmT3_T4_T5_mT6_P12ihipStream_tbENKUlT_T0_E_clISt17integral_constantIbLb1EESU_EEDaSP_SQ_EUlSP_E_NS1_11comp_targetILNS1_3genE4ELNS1_11target_archE910ELNS1_3gpuE8ELNS1_3repE0EEENS1_30default_config_static_selectorELNS0_4arch9wavefront6targetE1EEEvT1_,"axG",@progbits,_ZN7rocprim17ROCPRIM_400000_NS6detail17trampoline_kernelINS0_14default_configENS1_20scan_config_selectorIjEEZZNS1_9scan_implILNS1_25lookback_scan_determinismE0ELb0ELb0ES3_N6thrust23THRUST_200600_302600_NS6detail15normal_iteratorINS9_10device_ptrIjEEEESE_jNS9_4plusIvEEjEEDaPvRmT3_T4_T5_mT6_P12ihipStream_tbENKUlT_T0_E_clISt17integral_constantIbLb1EESU_EEDaSP_SQ_EUlSP_E_NS1_11comp_targetILNS1_3genE4ELNS1_11target_archE910ELNS1_3gpuE8ELNS1_3repE0EEENS1_30default_config_static_selectorELNS0_4arch9wavefront6targetE1EEEvT1_,comdat
.Lfunc_end4594:
	.size	_ZN7rocprim17ROCPRIM_400000_NS6detail17trampoline_kernelINS0_14default_configENS1_20scan_config_selectorIjEEZZNS1_9scan_implILNS1_25lookback_scan_determinismE0ELb0ELb0ES3_N6thrust23THRUST_200600_302600_NS6detail15normal_iteratorINS9_10device_ptrIjEEEESE_jNS9_4plusIvEEjEEDaPvRmT3_T4_T5_mT6_P12ihipStream_tbENKUlT_T0_E_clISt17integral_constantIbLb1EESU_EEDaSP_SQ_EUlSP_E_NS1_11comp_targetILNS1_3genE4ELNS1_11target_archE910ELNS1_3gpuE8ELNS1_3repE0EEENS1_30default_config_static_selectorELNS0_4arch9wavefront6targetE1EEEvT1_, .Lfunc_end4594-_ZN7rocprim17ROCPRIM_400000_NS6detail17trampoline_kernelINS0_14default_configENS1_20scan_config_selectorIjEEZZNS1_9scan_implILNS1_25lookback_scan_determinismE0ELb0ELb0ES3_N6thrust23THRUST_200600_302600_NS6detail15normal_iteratorINS9_10device_ptrIjEEEESE_jNS9_4plusIvEEjEEDaPvRmT3_T4_T5_mT6_P12ihipStream_tbENKUlT_T0_E_clISt17integral_constantIbLb1EESU_EEDaSP_SQ_EUlSP_E_NS1_11comp_targetILNS1_3genE4ELNS1_11target_archE910ELNS1_3gpuE8ELNS1_3repE0EEENS1_30default_config_static_selectorELNS0_4arch9wavefront6targetE1EEEvT1_
                                        ; -- End function
	.section	.AMDGPU.csdata,"",@progbits
; Kernel info:
; codeLenInByte = 4644
; NumSgprs: 42
; NumVgprs: 40
; NumAgprs: 0
; TotalNumVgprs: 40
; ScratchSize: 0
; MemoryBound: 0
; FloatMode: 240
; IeeeMode: 1
; LDSByteSize: 5120 bytes/workgroup (compile time only)
; SGPRBlocks: 5
; VGPRBlocks: 4
; NumSGPRsForWavesPerEU: 42
; NumVGPRsForWavesPerEU: 40
; AccumOffset: 40
; Occupancy: 6
; WaveLimiterHint : 1
; COMPUTE_PGM_RSRC2:SCRATCH_EN: 0
; COMPUTE_PGM_RSRC2:USER_SGPR: 6
; COMPUTE_PGM_RSRC2:TRAP_HANDLER: 0
; COMPUTE_PGM_RSRC2:TGID_X_EN: 1
; COMPUTE_PGM_RSRC2:TGID_Y_EN: 0
; COMPUTE_PGM_RSRC2:TGID_Z_EN: 0
; COMPUTE_PGM_RSRC2:TIDIG_COMP_CNT: 0
; COMPUTE_PGM_RSRC3_GFX90A:ACCUM_OFFSET: 9
; COMPUTE_PGM_RSRC3_GFX90A:TG_SPLIT: 0
	.section	.text._ZN7rocprim17ROCPRIM_400000_NS6detail17trampoline_kernelINS0_14default_configENS1_20scan_config_selectorIjEEZZNS1_9scan_implILNS1_25lookback_scan_determinismE0ELb0ELb0ES3_N6thrust23THRUST_200600_302600_NS6detail15normal_iteratorINS9_10device_ptrIjEEEESE_jNS9_4plusIvEEjEEDaPvRmT3_T4_T5_mT6_P12ihipStream_tbENKUlT_T0_E_clISt17integral_constantIbLb1EESU_EEDaSP_SQ_EUlSP_E_NS1_11comp_targetILNS1_3genE3ELNS1_11target_archE908ELNS1_3gpuE7ELNS1_3repE0EEENS1_30default_config_static_selectorELNS0_4arch9wavefront6targetE1EEEvT1_,"axG",@progbits,_ZN7rocprim17ROCPRIM_400000_NS6detail17trampoline_kernelINS0_14default_configENS1_20scan_config_selectorIjEEZZNS1_9scan_implILNS1_25lookback_scan_determinismE0ELb0ELb0ES3_N6thrust23THRUST_200600_302600_NS6detail15normal_iteratorINS9_10device_ptrIjEEEESE_jNS9_4plusIvEEjEEDaPvRmT3_T4_T5_mT6_P12ihipStream_tbENKUlT_T0_E_clISt17integral_constantIbLb1EESU_EEDaSP_SQ_EUlSP_E_NS1_11comp_targetILNS1_3genE3ELNS1_11target_archE908ELNS1_3gpuE7ELNS1_3repE0EEENS1_30default_config_static_selectorELNS0_4arch9wavefront6targetE1EEEvT1_,comdat
	.protected	_ZN7rocprim17ROCPRIM_400000_NS6detail17trampoline_kernelINS0_14default_configENS1_20scan_config_selectorIjEEZZNS1_9scan_implILNS1_25lookback_scan_determinismE0ELb0ELb0ES3_N6thrust23THRUST_200600_302600_NS6detail15normal_iteratorINS9_10device_ptrIjEEEESE_jNS9_4plusIvEEjEEDaPvRmT3_T4_T5_mT6_P12ihipStream_tbENKUlT_T0_E_clISt17integral_constantIbLb1EESU_EEDaSP_SQ_EUlSP_E_NS1_11comp_targetILNS1_3genE3ELNS1_11target_archE908ELNS1_3gpuE7ELNS1_3repE0EEENS1_30default_config_static_selectorELNS0_4arch9wavefront6targetE1EEEvT1_ ; -- Begin function _ZN7rocprim17ROCPRIM_400000_NS6detail17trampoline_kernelINS0_14default_configENS1_20scan_config_selectorIjEEZZNS1_9scan_implILNS1_25lookback_scan_determinismE0ELb0ELb0ES3_N6thrust23THRUST_200600_302600_NS6detail15normal_iteratorINS9_10device_ptrIjEEEESE_jNS9_4plusIvEEjEEDaPvRmT3_T4_T5_mT6_P12ihipStream_tbENKUlT_T0_E_clISt17integral_constantIbLb1EESU_EEDaSP_SQ_EUlSP_E_NS1_11comp_targetILNS1_3genE3ELNS1_11target_archE908ELNS1_3gpuE7ELNS1_3repE0EEENS1_30default_config_static_selectorELNS0_4arch9wavefront6targetE1EEEvT1_
	.globl	_ZN7rocprim17ROCPRIM_400000_NS6detail17trampoline_kernelINS0_14default_configENS1_20scan_config_selectorIjEEZZNS1_9scan_implILNS1_25lookback_scan_determinismE0ELb0ELb0ES3_N6thrust23THRUST_200600_302600_NS6detail15normal_iteratorINS9_10device_ptrIjEEEESE_jNS9_4plusIvEEjEEDaPvRmT3_T4_T5_mT6_P12ihipStream_tbENKUlT_T0_E_clISt17integral_constantIbLb1EESU_EEDaSP_SQ_EUlSP_E_NS1_11comp_targetILNS1_3genE3ELNS1_11target_archE908ELNS1_3gpuE7ELNS1_3repE0EEENS1_30default_config_static_selectorELNS0_4arch9wavefront6targetE1EEEvT1_
	.p2align	8
	.type	_ZN7rocprim17ROCPRIM_400000_NS6detail17trampoline_kernelINS0_14default_configENS1_20scan_config_selectorIjEEZZNS1_9scan_implILNS1_25lookback_scan_determinismE0ELb0ELb0ES3_N6thrust23THRUST_200600_302600_NS6detail15normal_iteratorINS9_10device_ptrIjEEEESE_jNS9_4plusIvEEjEEDaPvRmT3_T4_T5_mT6_P12ihipStream_tbENKUlT_T0_E_clISt17integral_constantIbLb1EESU_EEDaSP_SQ_EUlSP_E_NS1_11comp_targetILNS1_3genE3ELNS1_11target_archE908ELNS1_3gpuE7ELNS1_3repE0EEENS1_30default_config_static_selectorELNS0_4arch9wavefront6targetE1EEEvT1_,@function
_ZN7rocprim17ROCPRIM_400000_NS6detail17trampoline_kernelINS0_14default_configENS1_20scan_config_selectorIjEEZZNS1_9scan_implILNS1_25lookback_scan_determinismE0ELb0ELb0ES3_N6thrust23THRUST_200600_302600_NS6detail15normal_iteratorINS9_10device_ptrIjEEEESE_jNS9_4plusIvEEjEEDaPvRmT3_T4_T5_mT6_P12ihipStream_tbENKUlT_T0_E_clISt17integral_constantIbLb1EESU_EEDaSP_SQ_EUlSP_E_NS1_11comp_targetILNS1_3genE3ELNS1_11target_archE908ELNS1_3gpuE7ELNS1_3repE0EEENS1_30default_config_static_selectorELNS0_4arch9wavefront6targetE1EEEvT1_: ; @_ZN7rocprim17ROCPRIM_400000_NS6detail17trampoline_kernelINS0_14default_configENS1_20scan_config_selectorIjEEZZNS1_9scan_implILNS1_25lookback_scan_determinismE0ELb0ELb0ES3_N6thrust23THRUST_200600_302600_NS6detail15normal_iteratorINS9_10device_ptrIjEEEESE_jNS9_4plusIvEEjEEDaPvRmT3_T4_T5_mT6_P12ihipStream_tbENKUlT_T0_E_clISt17integral_constantIbLb1EESU_EEDaSP_SQ_EUlSP_E_NS1_11comp_targetILNS1_3genE3ELNS1_11target_archE908ELNS1_3gpuE7ELNS1_3repE0EEENS1_30default_config_static_selectorELNS0_4arch9wavefront6targetE1EEEvT1_
; %bb.0:
	.section	.rodata,"a",@progbits
	.p2align	6, 0x0
	.amdhsa_kernel _ZN7rocprim17ROCPRIM_400000_NS6detail17trampoline_kernelINS0_14default_configENS1_20scan_config_selectorIjEEZZNS1_9scan_implILNS1_25lookback_scan_determinismE0ELb0ELb0ES3_N6thrust23THRUST_200600_302600_NS6detail15normal_iteratorINS9_10device_ptrIjEEEESE_jNS9_4plusIvEEjEEDaPvRmT3_T4_T5_mT6_P12ihipStream_tbENKUlT_T0_E_clISt17integral_constantIbLb1EESU_EEDaSP_SQ_EUlSP_E_NS1_11comp_targetILNS1_3genE3ELNS1_11target_archE908ELNS1_3gpuE7ELNS1_3repE0EEENS1_30default_config_static_selectorELNS0_4arch9wavefront6targetE1EEEvT1_
		.amdhsa_group_segment_fixed_size 0
		.amdhsa_private_segment_fixed_size 0
		.amdhsa_kernarg_size 96
		.amdhsa_user_sgpr_count 6
		.amdhsa_user_sgpr_private_segment_buffer 1
		.amdhsa_user_sgpr_dispatch_ptr 0
		.amdhsa_user_sgpr_queue_ptr 0
		.amdhsa_user_sgpr_kernarg_segment_ptr 1
		.amdhsa_user_sgpr_dispatch_id 0
		.amdhsa_user_sgpr_flat_scratch_init 0
		.amdhsa_user_sgpr_kernarg_preload_length 0
		.amdhsa_user_sgpr_kernarg_preload_offset 0
		.amdhsa_user_sgpr_private_segment_size 0
		.amdhsa_uses_dynamic_stack 0
		.amdhsa_system_sgpr_private_segment_wavefront_offset 0
		.amdhsa_system_sgpr_workgroup_id_x 1
		.amdhsa_system_sgpr_workgroup_id_y 0
		.amdhsa_system_sgpr_workgroup_id_z 0
		.amdhsa_system_sgpr_workgroup_info 0
		.amdhsa_system_vgpr_workitem_id 0
		.amdhsa_next_free_vgpr 1
		.amdhsa_next_free_sgpr 0
		.amdhsa_accum_offset 4
		.amdhsa_reserve_vcc 0
		.amdhsa_reserve_flat_scratch 0
		.amdhsa_float_round_mode_32 0
		.amdhsa_float_round_mode_16_64 0
		.amdhsa_float_denorm_mode_32 3
		.amdhsa_float_denorm_mode_16_64 3
		.amdhsa_dx10_clamp 1
		.amdhsa_ieee_mode 1
		.amdhsa_fp16_overflow 0
		.amdhsa_tg_split 0
		.amdhsa_exception_fp_ieee_invalid_op 0
		.amdhsa_exception_fp_denorm_src 0
		.amdhsa_exception_fp_ieee_div_zero 0
		.amdhsa_exception_fp_ieee_overflow 0
		.amdhsa_exception_fp_ieee_underflow 0
		.amdhsa_exception_fp_ieee_inexact 0
		.amdhsa_exception_int_div_zero 0
	.end_amdhsa_kernel
	.section	.text._ZN7rocprim17ROCPRIM_400000_NS6detail17trampoline_kernelINS0_14default_configENS1_20scan_config_selectorIjEEZZNS1_9scan_implILNS1_25lookback_scan_determinismE0ELb0ELb0ES3_N6thrust23THRUST_200600_302600_NS6detail15normal_iteratorINS9_10device_ptrIjEEEESE_jNS9_4plusIvEEjEEDaPvRmT3_T4_T5_mT6_P12ihipStream_tbENKUlT_T0_E_clISt17integral_constantIbLb1EESU_EEDaSP_SQ_EUlSP_E_NS1_11comp_targetILNS1_3genE3ELNS1_11target_archE908ELNS1_3gpuE7ELNS1_3repE0EEENS1_30default_config_static_selectorELNS0_4arch9wavefront6targetE1EEEvT1_,"axG",@progbits,_ZN7rocprim17ROCPRIM_400000_NS6detail17trampoline_kernelINS0_14default_configENS1_20scan_config_selectorIjEEZZNS1_9scan_implILNS1_25lookback_scan_determinismE0ELb0ELb0ES3_N6thrust23THRUST_200600_302600_NS6detail15normal_iteratorINS9_10device_ptrIjEEEESE_jNS9_4plusIvEEjEEDaPvRmT3_T4_T5_mT6_P12ihipStream_tbENKUlT_T0_E_clISt17integral_constantIbLb1EESU_EEDaSP_SQ_EUlSP_E_NS1_11comp_targetILNS1_3genE3ELNS1_11target_archE908ELNS1_3gpuE7ELNS1_3repE0EEENS1_30default_config_static_selectorELNS0_4arch9wavefront6targetE1EEEvT1_,comdat
.Lfunc_end4595:
	.size	_ZN7rocprim17ROCPRIM_400000_NS6detail17trampoline_kernelINS0_14default_configENS1_20scan_config_selectorIjEEZZNS1_9scan_implILNS1_25lookback_scan_determinismE0ELb0ELb0ES3_N6thrust23THRUST_200600_302600_NS6detail15normal_iteratorINS9_10device_ptrIjEEEESE_jNS9_4plusIvEEjEEDaPvRmT3_T4_T5_mT6_P12ihipStream_tbENKUlT_T0_E_clISt17integral_constantIbLb1EESU_EEDaSP_SQ_EUlSP_E_NS1_11comp_targetILNS1_3genE3ELNS1_11target_archE908ELNS1_3gpuE7ELNS1_3repE0EEENS1_30default_config_static_selectorELNS0_4arch9wavefront6targetE1EEEvT1_, .Lfunc_end4595-_ZN7rocprim17ROCPRIM_400000_NS6detail17trampoline_kernelINS0_14default_configENS1_20scan_config_selectorIjEEZZNS1_9scan_implILNS1_25lookback_scan_determinismE0ELb0ELb0ES3_N6thrust23THRUST_200600_302600_NS6detail15normal_iteratorINS9_10device_ptrIjEEEESE_jNS9_4plusIvEEjEEDaPvRmT3_T4_T5_mT6_P12ihipStream_tbENKUlT_T0_E_clISt17integral_constantIbLb1EESU_EEDaSP_SQ_EUlSP_E_NS1_11comp_targetILNS1_3genE3ELNS1_11target_archE908ELNS1_3gpuE7ELNS1_3repE0EEENS1_30default_config_static_selectorELNS0_4arch9wavefront6targetE1EEEvT1_
                                        ; -- End function
	.section	.AMDGPU.csdata,"",@progbits
; Kernel info:
; codeLenInByte = 0
; NumSgprs: 4
; NumVgprs: 0
; NumAgprs: 0
; TotalNumVgprs: 0
; ScratchSize: 0
; MemoryBound: 0
; FloatMode: 240
; IeeeMode: 1
; LDSByteSize: 0 bytes/workgroup (compile time only)
; SGPRBlocks: 0
; VGPRBlocks: 0
; NumSGPRsForWavesPerEU: 4
; NumVGPRsForWavesPerEU: 1
; AccumOffset: 4
; Occupancy: 8
; WaveLimiterHint : 0
; COMPUTE_PGM_RSRC2:SCRATCH_EN: 0
; COMPUTE_PGM_RSRC2:USER_SGPR: 6
; COMPUTE_PGM_RSRC2:TRAP_HANDLER: 0
; COMPUTE_PGM_RSRC2:TGID_X_EN: 1
; COMPUTE_PGM_RSRC2:TGID_Y_EN: 0
; COMPUTE_PGM_RSRC2:TGID_Z_EN: 0
; COMPUTE_PGM_RSRC2:TIDIG_COMP_CNT: 0
; COMPUTE_PGM_RSRC3_GFX90A:ACCUM_OFFSET: 0
; COMPUTE_PGM_RSRC3_GFX90A:TG_SPLIT: 0
	.section	.text._ZN7rocprim17ROCPRIM_400000_NS6detail17trampoline_kernelINS0_14default_configENS1_20scan_config_selectorIjEEZZNS1_9scan_implILNS1_25lookback_scan_determinismE0ELb0ELb0ES3_N6thrust23THRUST_200600_302600_NS6detail15normal_iteratorINS9_10device_ptrIjEEEESE_jNS9_4plusIvEEjEEDaPvRmT3_T4_T5_mT6_P12ihipStream_tbENKUlT_T0_E_clISt17integral_constantIbLb1EESU_EEDaSP_SQ_EUlSP_E_NS1_11comp_targetILNS1_3genE2ELNS1_11target_archE906ELNS1_3gpuE6ELNS1_3repE0EEENS1_30default_config_static_selectorELNS0_4arch9wavefront6targetE1EEEvT1_,"axG",@progbits,_ZN7rocprim17ROCPRIM_400000_NS6detail17trampoline_kernelINS0_14default_configENS1_20scan_config_selectorIjEEZZNS1_9scan_implILNS1_25lookback_scan_determinismE0ELb0ELb0ES3_N6thrust23THRUST_200600_302600_NS6detail15normal_iteratorINS9_10device_ptrIjEEEESE_jNS9_4plusIvEEjEEDaPvRmT3_T4_T5_mT6_P12ihipStream_tbENKUlT_T0_E_clISt17integral_constantIbLb1EESU_EEDaSP_SQ_EUlSP_E_NS1_11comp_targetILNS1_3genE2ELNS1_11target_archE906ELNS1_3gpuE6ELNS1_3repE0EEENS1_30default_config_static_selectorELNS0_4arch9wavefront6targetE1EEEvT1_,comdat
	.protected	_ZN7rocprim17ROCPRIM_400000_NS6detail17trampoline_kernelINS0_14default_configENS1_20scan_config_selectorIjEEZZNS1_9scan_implILNS1_25lookback_scan_determinismE0ELb0ELb0ES3_N6thrust23THRUST_200600_302600_NS6detail15normal_iteratorINS9_10device_ptrIjEEEESE_jNS9_4plusIvEEjEEDaPvRmT3_T4_T5_mT6_P12ihipStream_tbENKUlT_T0_E_clISt17integral_constantIbLb1EESU_EEDaSP_SQ_EUlSP_E_NS1_11comp_targetILNS1_3genE2ELNS1_11target_archE906ELNS1_3gpuE6ELNS1_3repE0EEENS1_30default_config_static_selectorELNS0_4arch9wavefront6targetE1EEEvT1_ ; -- Begin function _ZN7rocprim17ROCPRIM_400000_NS6detail17trampoline_kernelINS0_14default_configENS1_20scan_config_selectorIjEEZZNS1_9scan_implILNS1_25lookback_scan_determinismE0ELb0ELb0ES3_N6thrust23THRUST_200600_302600_NS6detail15normal_iteratorINS9_10device_ptrIjEEEESE_jNS9_4plusIvEEjEEDaPvRmT3_T4_T5_mT6_P12ihipStream_tbENKUlT_T0_E_clISt17integral_constantIbLb1EESU_EEDaSP_SQ_EUlSP_E_NS1_11comp_targetILNS1_3genE2ELNS1_11target_archE906ELNS1_3gpuE6ELNS1_3repE0EEENS1_30default_config_static_selectorELNS0_4arch9wavefront6targetE1EEEvT1_
	.globl	_ZN7rocprim17ROCPRIM_400000_NS6detail17trampoline_kernelINS0_14default_configENS1_20scan_config_selectorIjEEZZNS1_9scan_implILNS1_25lookback_scan_determinismE0ELb0ELb0ES3_N6thrust23THRUST_200600_302600_NS6detail15normal_iteratorINS9_10device_ptrIjEEEESE_jNS9_4plusIvEEjEEDaPvRmT3_T4_T5_mT6_P12ihipStream_tbENKUlT_T0_E_clISt17integral_constantIbLb1EESU_EEDaSP_SQ_EUlSP_E_NS1_11comp_targetILNS1_3genE2ELNS1_11target_archE906ELNS1_3gpuE6ELNS1_3repE0EEENS1_30default_config_static_selectorELNS0_4arch9wavefront6targetE1EEEvT1_
	.p2align	8
	.type	_ZN7rocprim17ROCPRIM_400000_NS6detail17trampoline_kernelINS0_14default_configENS1_20scan_config_selectorIjEEZZNS1_9scan_implILNS1_25lookback_scan_determinismE0ELb0ELb0ES3_N6thrust23THRUST_200600_302600_NS6detail15normal_iteratorINS9_10device_ptrIjEEEESE_jNS9_4plusIvEEjEEDaPvRmT3_T4_T5_mT6_P12ihipStream_tbENKUlT_T0_E_clISt17integral_constantIbLb1EESU_EEDaSP_SQ_EUlSP_E_NS1_11comp_targetILNS1_3genE2ELNS1_11target_archE906ELNS1_3gpuE6ELNS1_3repE0EEENS1_30default_config_static_selectorELNS0_4arch9wavefront6targetE1EEEvT1_,@function
_ZN7rocprim17ROCPRIM_400000_NS6detail17trampoline_kernelINS0_14default_configENS1_20scan_config_selectorIjEEZZNS1_9scan_implILNS1_25lookback_scan_determinismE0ELb0ELb0ES3_N6thrust23THRUST_200600_302600_NS6detail15normal_iteratorINS9_10device_ptrIjEEEESE_jNS9_4plusIvEEjEEDaPvRmT3_T4_T5_mT6_P12ihipStream_tbENKUlT_T0_E_clISt17integral_constantIbLb1EESU_EEDaSP_SQ_EUlSP_E_NS1_11comp_targetILNS1_3genE2ELNS1_11target_archE906ELNS1_3gpuE6ELNS1_3repE0EEENS1_30default_config_static_selectorELNS0_4arch9wavefront6targetE1EEEvT1_: ; @_ZN7rocprim17ROCPRIM_400000_NS6detail17trampoline_kernelINS0_14default_configENS1_20scan_config_selectorIjEEZZNS1_9scan_implILNS1_25lookback_scan_determinismE0ELb0ELb0ES3_N6thrust23THRUST_200600_302600_NS6detail15normal_iteratorINS9_10device_ptrIjEEEESE_jNS9_4plusIvEEjEEDaPvRmT3_T4_T5_mT6_P12ihipStream_tbENKUlT_T0_E_clISt17integral_constantIbLb1EESU_EEDaSP_SQ_EUlSP_E_NS1_11comp_targetILNS1_3genE2ELNS1_11target_archE906ELNS1_3gpuE6ELNS1_3repE0EEENS1_30default_config_static_selectorELNS0_4arch9wavefront6targetE1EEEvT1_
; %bb.0:
	.section	.rodata,"a",@progbits
	.p2align	6, 0x0
	.amdhsa_kernel _ZN7rocprim17ROCPRIM_400000_NS6detail17trampoline_kernelINS0_14default_configENS1_20scan_config_selectorIjEEZZNS1_9scan_implILNS1_25lookback_scan_determinismE0ELb0ELb0ES3_N6thrust23THRUST_200600_302600_NS6detail15normal_iteratorINS9_10device_ptrIjEEEESE_jNS9_4plusIvEEjEEDaPvRmT3_T4_T5_mT6_P12ihipStream_tbENKUlT_T0_E_clISt17integral_constantIbLb1EESU_EEDaSP_SQ_EUlSP_E_NS1_11comp_targetILNS1_3genE2ELNS1_11target_archE906ELNS1_3gpuE6ELNS1_3repE0EEENS1_30default_config_static_selectorELNS0_4arch9wavefront6targetE1EEEvT1_
		.amdhsa_group_segment_fixed_size 0
		.amdhsa_private_segment_fixed_size 0
		.amdhsa_kernarg_size 96
		.amdhsa_user_sgpr_count 6
		.amdhsa_user_sgpr_private_segment_buffer 1
		.amdhsa_user_sgpr_dispatch_ptr 0
		.amdhsa_user_sgpr_queue_ptr 0
		.amdhsa_user_sgpr_kernarg_segment_ptr 1
		.amdhsa_user_sgpr_dispatch_id 0
		.amdhsa_user_sgpr_flat_scratch_init 0
		.amdhsa_user_sgpr_kernarg_preload_length 0
		.amdhsa_user_sgpr_kernarg_preload_offset 0
		.amdhsa_user_sgpr_private_segment_size 0
		.amdhsa_uses_dynamic_stack 0
		.amdhsa_system_sgpr_private_segment_wavefront_offset 0
		.amdhsa_system_sgpr_workgroup_id_x 1
		.amdhsa_system_sgpr_workgroup_id_y 0
		.amdhsa_system_sgpr_workgroup_id_z 0
		.amdhsa_system_sgpr_workgroup_info 0
		.amdhsa_system_vgpr_workitem_id 0
		.amdhsa_next_free_vgpr 1
		.amdhsa_next_free_sgpr 0
		.amdhsa_accum_offset 4
		.amdhsa_reserve_vcc 0
		.amdhsa_reserve_flat_scratch 0
		.amdhsa_float_round_mode_32 0
		.amdhsa_float_round_mode_16_64 0
		.amdhsa_float_denorm_mode_32 3
		.amdhsa_float_denorm_mode_16_64 3
		.amdhsa_dx10_clamp 1
		.amdhsa_ieee_mode 1
		.amdhsa_fp16_overflow 0
		.amdhsa_tg_split 0
		.amdhsa_exception_fp_ieee_invalid_op 0
		.amdhsa_exception_fp_denorm_src 0
		.amdhsa_exception_fp_ieee_div_zero 0
		.amdhsa_exception_fp_ieee_overflow 0
		.amdhsa_exception_fp_ieee_underflow 0
		.amdhsa_exception_fp_ieee_inexact 0
		.amdhsa_exception_int_div_zero 0
	.end_amdhsa_kernel
	.section	.text._ZN7rocprim17ROCPRIM_400000_NS6detail17trampoline_kernelINS0_14default_configENS1_20scan_config_selectorIjEEZZNS1_9scan_implILNS1_25lookback_scan_determinismE0ELb0ELb0ES3_N6thrust23THRUST_200600_302600_NS6detail15normal_iteratorINS9_10device_ptrIjEEEESE_jNS9_4plusIvEEjEEDaPvRmT3_T4_T5_mT6_P12ihipStream_tbENKUlT_T0_E_clISt17integral_constantIbLb1EESU_EEDaSP_SQ_EUlSP_E_NS1_11comp_targetILNS1_3genE2ELNS1_11target_archE906ELNS1_3gpuE6ELNS1_3repE0EEENS1_30default_config_static_selectorELNS0_4arch9wavefront6targetE1EEEvT1_,"axG",@progbits,_ZN7rocprim17ROCPRIM_400000_NS6detail17trampoline_kernelINS0_14default_configENS1_20scan_config_selectorIjEEZZNS1_9scan_implILNS1_25lookback_scan_determinismE0ELb0ELb0ES3_N6thrust23THRUST_200600_302600_NS6detail15normal_iteratorINS9_10device_ptrIjEEEESE_jNS9_4plusIvEEjEEDaPvRmT3_T4_T5_mT6_P12ihipStream_tbENKUlT_T0_E_clISt17integral_constantIbLb1EESU_EEDaSP_SQ_EUlSP_E_NS1_11comp_targetILNS1_3genE2ELNS1_11target_archE906ELNS1_3gpuE6ELNS1_3repE0EEENS1_30default_config_static_selectorELNS0_4arch9wavefront6targetE1EEEvT1_,comdat
.Lfunc_end4596:
	.size	_ZN7rocprim17ROCPRIM_400000_NS6detail17trampoline_kernelINS0_14default_configENS1_20scan_config_selectorIjEEZZNS1_9scan_implILNS1_25lookback_scan_determinismE0ELb0ELb0ES3_N6thrust23THRUST_200600_302600_NS6detail15normal_iteratorINS9_10device_ptrIjEEEESE_jNS9_4plusIvEEjEEDaPvRmT3_T4_T5_mT6_P12ihipStream_tbENKUlT_T0_E_clISt17integral_constantIbLb1EESU_EEDaSP_SQ_EUlSP_E_NS1_11comp_targetILNS1_3genE2ELNS1_11target_archE906ELNS1_3gpuE6ELNS1_3repE0EEENS1_30default_config_static_selectorELNS0_4arch9wavefront6targetE1EEEvT1_, .Lfunc_end4596-_ZN7rocprim17ROCPRIM_400000_NS6detail17trampoline_kernelINS0_14default_configENS1_20scan_config_selectorIjEEZZNS1_9scan_implILNS1_25lookback_scan_determinismE0ELb0ELb0ES3_N6thrust23THRUST_200600_302600_NS6detail15normal_iteratorINS9_10device_ptrIjEEEESE_jNS9_4plusIvEEjEEDaPvRmT3_T4_T5_mT6_P12ihipStream_tbENKUlT_T0_E_clISt17integral_constantIbLb1EESU_EEDaSP_SQ_EUlSP_E_NS1_11comp_targetILNS1_3genE2ELNS1_11target_archE906ELNS1_3gpuE6ELNS1_3repE0EEENS1_30default_config_static_selectorELNS0_4arch9wavefront6targetE1EEEvT1_
                                        ; -- End function
	.section	.AMDGPU.csdata,"",@progbits
; Kernel info:
; codeLenInByte = 0
; NumSgprs: 4
; NumVgprs: 0
; NumAgprs: 0
; TotalNumVgprs: 0
; ScratchSize: 0
; MemoryBound: 0
; FloatMode: 240
; IeeeMode: 1
; LDSByteSize: 0 bytes/workgroup (compile time only)
; SGPRBlocks: 0
; VGPRBlocks: 0
; NumSGPRsForWavesPerEU: 4
; NumVGPRsForWavesPerEU: 1
; AccumOffset: 4
; Occupancy: 8
; WaveLimiterHint : 0
; COMPUTE_PGM_RSRC2:SCRATCH_EN: 0
; COMPUTE_PGM_RSRC2:USER_SGPR: 6
; COMPUTE_PGM_RSRC2:TRAP_HANDLER: 0
; COMPUTE_PGM_RSRC2:TGID_X_EN: 1
; COMPUTE_PGM_RSRC2:TGID_Y_EN: 0
; COMPUTE_PGM_RSRC2:TGID_Z_EN: 0
; COMPUTE_PGM_RSRC2:TIDIG_COMP_CNT: 0
; COMPUTE_PGM_RSRC3_GFX90A:ACCUM_OFFSET: 0
; COMPUTE_PGM_RSRC3_GFX90A:TG_SPLIT: 0
	.section	.text._ZN7rocprim17ROCPRIM_400000_NS6detail17trampoline_kernelINS0_14default_configENS1_20scan_config_selectorIjEEZZNS1_9scan_implILNS1_25lookback_scan_determinismE0ELb0ELb0ES3_N6thrust23THRUST_200600_302600_NS6detail15normal_iteratorINS9_10device_ptrIjEEEESE_jNS9_4plusIvEEjEEDaPvRmT3_T4_T5_mT6_P12ihipStream_tbENKUlT_T0_E_clISt17integral_constantIbLb1EESU_EEDaSP_SQ_EUlSP_E_NS1_11comp_targetILNS1_3genE10ELNS1_11target_archE1201ELNS1_3gpuE5ELNS1_3repE0EEENS1_30default_config_static_selectorELNS0_4arch9wavefront6targetE1EEEvT1_,"axG",@progbits,_ZN7rocprim17ROCPRIM_400000_NS6detail17trampoline_kernelINS0_14default_configENS1_20scan_config_selectorIjEEZZNS1_9scan_implILNS1_25lookback_scan_determinismE0ELb0ELb0ES3_N6thrust23THRUST_200600_302600_NS6detail15normal_iteratorINS9_10device_ptrIjEEEESE_jNS9_4plusIvEEjEEDaPvRmT3_T4_T5_mT6_P12ihipStream_tbENKUlT_T0_E_clISt17integral_constantIbLb1EESU_EEDaSP_SQ_EUlSP_E_NS1_11comp_targetILNS1_3genE10ELNS1_11target_archE1201ELNS1_3gpuE5ELNS1_3repE0EEENS1_30default_config_static_selectorELNS0_4arch9wavefront6targetE1EEEvT1_,comdat
	.protected	_ZN7rocprim17ROCPRIM_400000_NS6detail17trampoline_kernelINS0_14default_configENS1_20scan_config_selectorIjEEZZNS1_9scan_implILNS1_25lookback_scan_determinismE0ELb0ELb0ES3_N6thrust23THRUST_200600_302600_NS6detail15normal_iteratorINS9_10device_ptrIjEEEESE_jNS9_4plusIvEEjEEDaPvRmT3_T4_T5_mT6_P12ihipStream_tbENKUlT_T0_E_clISt17integral_constantIbLb1EESU_EEDaSP_SQ_EUlSP_E_NS1_11comp_targetILNS1_3genE10ELNS1_11target_archE1201ELNS1_3gpuE5ELNS1_3repE0EEENS1_30default_config_static_selectorELNS0_4arch9wavefront6targetE1EEEvT1_ ; -- Begin function _ZN7rocprim17ROCPRIM_400000_NS6detail17trampoline_kernelINS0_14default_configENS1_20scan_config_selectorIjEEZZNS1_9scan_implILNS1_25lookback_scan_determinismE0ELb0ELb0ES3_N6thrust23THRUST_200600_302600_NS6detail15normal_iteratorINS9_10device_ptrIjEEEESE_jNS9_4plusIvEEjEEDaPvRmT3_T4_T5_mT6_P12ihipStream_tbENKUlT_T0_E_clISt17integral_constantIbLb1EESU_EEDaSP_SQ_EUlSP_E_NS1_11comp_targetILNS1_3genE10ELNS1_11target_archE1201ELNS1_3gpuE5ELNS1_3repE0EEENS1_30default_config_static_selectorELNS0_4arch9wavefront6targetE1EEEvT1_
	.globl	_ZN7rocprim17ROCPRIM_400000_NS6detail17trampoline_kernelINS0_14default_configENS1_20scan_config_selectorIjEEZZNS1_9scan_implILNS1_25lookback_scan_determinismE0ELb0ELb0ES3_N6thrust23THRUST_200600_302600_NS6detail15normal_iteratorINS9_10device_ptrIjEEEESE_jNS9_4plusIvEEjEEDaPvRmT3_T4_T5_mT6_P12ihipStream_tbENKUlT_T0_E_clISt17integral_constantIbLb1EESU_EEDaSP_SQ_EUlSP_E_NS1_11comp_targetILNS1_3genE10ELNS1_11target_archE1201ELNS1_3gpuE5ELNS1_3repE0EEENS1_30default_config_static_selectorELNS0_4arch9wavefront6targetE1EEEvT1_
	.p2align	8
	.type	_ZN7rocprim17ROCPRIM_400000_NS6detail17trampoline_kernelINS0_14default_configENS1_20scan_config_selectorIjEEZZNS1_9scan_implILNS1_25lookback_scan_determinismE0ELb0ELb0ES3_N6thrust23THRUST_200600_302600_NS6detail15normal_iteratorINS9_10device_ptrIjEEEESE_jNS9_4plusIvEEjEEDaPvRmT3_T4_T5_mT6_P12ihipStream_tbENKUlT_T0_E_clISt17integral_constantIbLb1EESU_EEDaSP_SQ_EUlSP_E_NS1_11comp_targetILNS1_3genE10ELNS1_11target_archE1201ELNS1_3gpuE5ELNS1_3repE0EEENS1_30default_config_static_selectorELNS0_4arch9wavefront6targetE1EEEvT1_,@function
_ZN7rocprim17ROCPRIM_400000_NS6detail17trampoline_kernelINS0_14default_configENS1_20scan_config_selectorIjEEZZNS1_9scan_implILNS1_25lookback_scan_determinismE0ELb0ELb0ES3_N6thrust23THRUST_200600_302600_NS6detail15normal_iteratorINS9_10device_ptrIjEEEESE_jNS9_4plusIvEEjEEDaPvRmT3_T4_T5_mT6_P12ihipStream_tbENKUlT_T0_E_clISt17integral_constantIbLb1EESU_EEDaSP_SQ_EUlSP_E_NS1_11comp_targetILNS1_3genE10ELNS1_11target_archE1201ELNS1_3gpuE5ELNS1_3repE0EEENS1_30default_config_static_selectorELNS0_4arch9wavefront6targetE1EEEvT1_: ; @_ZN7rocprim17ROCPRIM_400000_NS6detail17trampoline_kernelINS0_14default_configENS1_20scan_config_selectorIjEEZZNS1_9scan_implILNS1_25lookback_scan_determinismE0ELb0ELb0ES3_N6thrust23THRUST_200600_302600_NS6detail15normal_iteratorINS9_10device_ptrIjEEEESE_jNS9_4plusIvEEjEEDaPvRmT3_T4_T5_mT6_P12ihipStream_tbENKUlT_T0_E_clISt17integral_constantIbLb1EESU_EEDaSP_SQ_EUlSP_E_NS1_11comp_targetILNS1_3genE10ELNS1_11target_archE1201ELNS1_3gpuE5ELNS1_3repE0EEENS1_30default_config_static_selectorELNS0_4arch9wavefront6targetE1EEEvT1_
; %bb.0:
	.section	.rodata,"a",@progbits
	.p2align	6, 0x0
	.amdhsa_kernel _ZN7rocprim17ROCPRIM_400000_NS6detail17trampoline_kernelINS0_14default_configENS1_20scan_config_selectorIjEEZZNS1_9scan_implILNS1_25lookback_scan_determinismE0ELb0ELb0ES3_N6thrust23THRUST_200600_302600_NS6detail15normal_iteratorINS9_10device_ptrIjEEEESE_jNS9_4plusIvEEjEEDaPvRmT3_T4_T5_mT6_P12ihipStream_tbENKUlT_T0_E_clISt17integral_constantIbLb1EESU_EEDaSP_SQ_EUlSP_E_NS1_11comp_targetILNS1_3genE10ELNS1_11target_archE1201ELNS1_3gpuE5ELNS1_3repE0EEENS1_30default_config_static_selectorELNS0_4arch9wavefront6targetE1EEEvT1_
		.amdhsa_group_segment_fixed_size 0
		.amdhsa_private_segment_fixed_size 0
		.amdhsa_kernarg_size 96
		.amdhsa_user_sgpr_count 6
		.amdhsa_user_sgpr_private_segment_buffer 1
		.amdhsa_user_sgpr_dispatch_ptr 0
		.amdhsa_user_sgpr_queue_ptr 0
		.amdhsa_user_sgpr_kernarg_segment_ptr 1
		.amdhsa_user_sgpr_dispatch_id 0
		.amdhsa_user_sgpr_flat_scratch_init 0
		.amdhsa_user_sgpr_kernarg_preload_length 0
		.amdhsa_user_sgpr_kernarg_preload_offset 0
		.amdhsa_user_sgpr_private_segment_size 0
		.amdhsa_uses_dynamic_stack 0
		.amdhsa_system_sgpr_private_segment_wavefront_offset 0
		.amdhsa_system_sgpr_workgroup_id_x 1
		.amdhsa_system_sgpr_workgroup_id_y 0
		.amdhsa_system_sgpr_workgroup_id_z 0
		.amdhsa_system_sgpr_workgroup_info 0
		.amdhsa_system_vgpr_workitem_id 0
		.amdhsa_next_free_vgpr 1
		.amdhsa_next_free_sgpr 0
		.amdhsa_accum_offset 4
		.amdhsa_reserve_vcc 0
		.amdhsa_reserve_flat_scratch 0
		.amdhsa_float_round_mode_32 0
		.amdhsa_float_round_mode_16_64 0
		.amdhsa_float_denorm_mode_32 3
		.amdhsa_float_denorm_mode_16_64 3
		.amdhsa_dx10_clamp 1
		.amdhsa_ieee_mode 1
		.amdhsa_fp16_overflow 0
		.amdhsa_tg_split 0
		.amdhsa_exception_fp_ieee_invalid_op 0
		.amdhsa_exception_fp_denorm_src 0
		.amdhsa_exception_fp_ieee_div_zero 0
		.amdhsa_exception_fp_ieee_overflow 0
		.amdhsa_exception_fp_ieee_underflow 0
		.amdhsa_exception_fp_ieee_inexact 0
		.amdhsa_exception_int_div_zero 0
	.end_amdhsa_kernel
	.section	.text._ZN7rocprim17ROCPRIM_400000_NS6detail17trampoline_kernelINS0_14default_configENS1_20scan_config_selectorIjEEZZNS1_9scan_implILNS1_25lookback_scan_determinismE0ELb0ELb0ES3_N6thrust23THRUST_200600_302600_NS6detail15normal_iteratorINS9_10device_ptrIjEEEESE_jNS9_4plusIvEEjEEDaPvRmT3_T4_T5_mT6_P12ihipStream_tbENKUlT_T0_E_clISt17integral_constantIbLb1EESU_EEDaSP_SQ_EUlSP_E_NS1_11comp_targetILNS1_3genE10ELNS1_11target_archE1201ELNS1_3gpuE5ELNS1_3repE0EEENS1_30default_config_static_selectorELNS0_4arch9wavefront6targetE1EEEvT1_,"axG",@progbits,_ZN7rocprim17ROCPRIM_400000_NS6detail17trampoline_kernelINS0_14default_configENS1_20scan_config_selectorIjEEZZNS1_9scan_implILNS1_25lookback_scan_determinismE0ELb0ELb0ES3_N6thrust23THRUST_200600_302600_NS6detail15normal_iteratorINS9_10device_ptrIjEEEESE_jNS9_4plusIvEEjEEDaPvRmT3_T4_T5_mT6_P12ihipStream_tbENKUlT_T0_E_clISt17integral_constantIbLb1EESU_EEDaSP_SQ_EUlSP_E_NS1_11comp_targetILNS1_3genE10ELNS1_11target_archE1201ELNS1_3gpuE5ELNS1_3repE0EEENS1_30default_config_static_selectorELNS0_4arch9wavefront6targetE1EEEvT1_,comdat
.Lfunc_end4597:
	.size	_ZN7rocprim17ROCPRIM_400000_NS6detail17trampoline_kernelINS0_14default_configENS1_20scan_config_selectorIjEEZZNS1_9scan_implILNS1_25lookback_scan_determinismE0ELb0ELb0ES3_N6thrust23THRUST_200600_302600_NS6detail15normal_iteratorINS9_10device_ptrIjEEEESE_jNS9_4plusIvEEjEEDaPvRmT3_T4_T5_mT6_P12ihipStream_tbENKUlT_T0_E_clISt17integral_constantIbLb1EESU_EEDaSP_SQ_EUlSP_E_NS1_11comp_targetILNS1_3genE10ELNS1_11target_archE1201ELNS1_3gpuE5ELNS1_3repE0EEENS1_30default_config_static_selectorELNS0_4arch9wavefront6targetE1EEEvT1_, .Lfunc_end4597-_ZN7rocprim17ROCPRIM_400000_NS6detail17trampoline_kernelINS0_14default_configENS1_20scan_config_selectorIjEEZZNS1_9scan_implILNS1_25lookback_scan_determinismE0ELb0ELb0ES3_N6thrust23THRUST_200600_302600_NS6detail15normal_iteratorINS9_10device_ptrIjEEEESE_jNS9_4plusIvEEjEEDaPvRmT3_T4_T5_mT6_P12ihipStream_tbENKUlT_T0_E_clISt17integral_constantIbLb1EESU_EEDaSP_SQ_EUlSP_E_NS1_11comp_targetILNS1_3genE10ELNS1_11target_archE1201ELNS1_3gpuE5ELNS1_3repE0EEENS1_30default_config_static_selectorELNS0_4arch9wavefront6targetE1EEEvT1_
                                        ; -- End function
	.section	.AMDGPU.csdata,"",@progbits
; Kernel info:
; codeLenInByte = 0
; NumSgprs: 4
; NumVgprs: 0
; NumAgprs: 0
; TotalNumVgprs: 0
; ScratchSize: 0
; MemoryBound: 0
; FloatMode: 240
; IeeeMode: 1
; LDSByteSize: 0 bytes/workgroup (compile time only)
; SGPRBlocks: 0
; VGPRBlocks: 0
; NumSGPRsForWavesPerEU: 4
; NumVGPRsForWavesPerEU: 1
; AccumOffset: 4
; Occupancy: 8
; WaveLimiterHint : 0
; COMPUTE_PGM_RSRC2:SCRATCH_EN: 0
; COMPUTE_PGM_RSRC2:USER_SGPR: 6
; COMPUTE_PGM_RSRC2:TRAP_HANDLER: 0
; COMPUTE_PGM_RSRC2:TGID_X_EN: 1
; COMPUTE_PGM_RSRC2:TGID_Y_EN: 0
; COMPUTE_PGM_RSRC2:TGID_Z_EN: 0
; COMPUTE_PGM_RSRC2:TIDIG_COMP_CNT: 0
; COMPUTE_PGM_RSRC3_GFX90A:ACCUM_OFFSET: 0
; COMPUTE_PGM_RSRC3_GFX90A:TG_SPLIT: 0
	.section	.text._ZN7rocprim17ROCPRIM_400000_NS6detail17trampoline_kernelINS0_14default_configENS1_20scan_config_selectorIjEEZZNS1_9scan_implILNS1_25lookback_scan_determinismE0ELb0ELb0ES3_N6thrust23THRUST_200600_302600_NS6detail15normal_iteratorINS9_10device_ptrIjEEEESE_jNS9_4plusIvEEjEEDaPvRmT3_T4_T5_mT6_P12ihipStream_tbENKUlT_T0_E_clISt17integral_constantIbLb1EESU_EEDaSP_SQ_EUlSP_E_NS1_11comp_targetILNS1_3genE10ELNS1_11target_archE1200ELNS1_3gpuE4ELNS1_3repE0EEENS1_30default_config_static_selectorELNS0_4arch9wavefront6targetE1EEEvT1_,"axG",@progbits,_ZN7rocprim17ROCPRIM_400000_NS6detail17trampoline_kernelINS0_14default_configENS1_20scan_config_selectorIjEEZZNS1_9scan_implILNS1_25lookback_scan_determinismE0ELb0ELb0ES3_N6thrust23THRUST_200600_302600_NS6detail15normal_iteratorINS9_10device_ptrIjEEEESE_jNS9_4plusIvEEjEEDaPvRmT3_T4_T5_mT6_P12ihipStream_tbENKUlT_T0_E_clISt17integral_constantIbLb1EESU_EEDaSP_SQ_EUlSP_E_NS1_11comp_targetILNS1_3genE10ELNS1_11target_archE1200ELNS1_3gpuE4ELNS1_3repE0EEENS1_30default_config_static_selectorELNS0_4arch9wavefront6targetE1EEEvT1_,comdat
	.protected	_ZN7rocprim17ROCPRIM_400000_NS6detail17trampoline_kernelINS0_14default_configENS1_20scan_config_selectorIjEEZZNS1_9scan_implILNS1_25lookback_scan_determinismE0ELb0ELb0ES3_N6thrust23THRUST_200600_302600_NS6detail15normal_iteratorINS9_10device_ptrIjEEEESE_jNS9_4plusIvEEjEEDaPvRmT3_T4_T5_mT6_P12ihipStream_tbENKUlT_T0_E_clISt17integral_constantIbLb1EESU_EEDaSP_SQ_EUlSP_E_NS1_11comp_targetILNS1_3genE10ELNS1_11target_archE1200ELNS1_3gpuE4ELNS1_3repE0EEENS1_30default_config_static_selectorELNS0_4arch9wavefront6targetE1EEEvT1_ ; -- Begin function _ZN7rocprim17ROCPRIM_400000_NS6detail17trampoline_kernelINS0_14default_configENS1_20scan_config_selectorIjEEZZNS1_9scan_implILNS1_25lookback_scan_determinismE0ELb0ELb0ES3_N6thrust23THRUST_200600_302600_NS6detail15normal_iteratorINS9_10device_ptrIjEEEESE_jNS9_4plusIvEEjEEDaPvRmT3_T4_T5_mT6_P12ihipStream_tbENKUlT_T0_E_clISt17integral_constantIbLb1EESU_EEDaSP_SQ_EUlSP_E_NS1_11comp_targetILNS1_3genE10ELNS1_11target_archE1200ELNS1_3gpuE4ELNS1_3repE0EEENS1_30default_config_static_selectorELNS0_4arch9wavefront6targetE1EEEvT1_
	.globl	_ZN7rocprim17ROCPRIM_400000_NS6detail17trampoline_kernelINS0_14default_configENS1_20scan_config_selectorIjEEZZNS1_9scan_implILNS1_25lookback_scan_determinismE0ELb0ELb0ES3_N6thrust23THRUST_200600_302600_NS6detail15normal_iteratorINS9_10device_ptrIjEEEESE_jNS9_4plusIvEEjEEDaPvRmT3_T4_T5_mT6_P12ihipStream_tbENKUlT_T0_E_clISt17integral_constantIbLb1EESU_EEDaSP_SQ_EUlSP_E_NS1_11comp_targetILNS1_3genE10ELNS1_11target_archE1200ELNS1_3gpuE4ELNS1_3repE0EEENS1_30default_config_static_selectorELNS0_4arch9wavefront6targetE1EEEvT1_
	.p2align	8
	.type	_ZN7rocprim17ROCPRIM_400000_NS6detail17trampoline_kernelINS0_14default_configENS1_20scan_config_selectorIjEEZZNS1_9scan_implILNS1_25lookback_scan_determinismE0ELb0ELb0ES3_N6thrust23THRUST_200600_302600_NS6detail15normal_iteratorINS9_10device_ptrIjEEEESE_jNS9_4plusIvEEjEEDaPvRmT3_T4_T5_mT6_P12ihipStream_tbENKUlT_T0_E_clISt17integral_constantIbLb1EESU_EEDaSP_SQ_EUlSP_E_NS1_11comp_targetILNS1_3genE10ELNS1_11target_archE1200ELNS1_3gpuE4ELNS1_3repE0EEENS1_30default_config_static_selectorELNS0_4arch9wavefront6targetE1EEEvT1_,@function
_ZN7rocprim17ROCPRIM_400000_NS6detail17trampoline_kernelINS0_14default_configENS1_20scan_config_selectorIjEEZZNS1_9scan_implILNS1_25lookback_scan_determinismE0ELb0ELb0ES3_N6thrust23THRUST_200600_302600_NS6detail15normal_iteratorINS9_10device_ptrIjEEEESE_jNS9_4plusIvEEjEEDaPvRmT3_T4_T5_mT6_P12ihipStream_tbENKUlT_T0_E_clISt17integral_constantIbLb1EESU_EEDaSP_SQ_EUlSP_E_NS1_11comp_targetILNS1_3genE10ELNS1_11target_archE1200ELNS1_3gpuE4ELNS1_3repE0EEENS1_30default_config_static_selectorELNS0_4arch9wavefront6targetE1EEEvT1_: ; @_ZN7rocprim17ROCPRIM_400000_NS6detail17trampoline_kernelINS0_14default_configENS1_20scan_config_selectorIjEEZZNS1_9scan_implILNS1_25lookback_scan_determinismE0ELb0ELb0ES3_N6thrust23THRUST_200600_302600_NS6detail15normal_iteratorINS9_10device_ptrIjEEEESE_jNS9_4plusIvEEjEEDaPvRmT3_T4_T5_mT6_P12ihipStream_tbENKUlT_T0_E_clISt17integral_constantIbLb1EESU_EEDaSP_SQ_EUlSP_E_NS1_11comp_targetILNS1_3genE10ELNS1_11target_archE1200ELNS1_3gpuE4ELNS1_3repE0EEENS1_30default_config_static_selectorELNS0_4arch9wavefront6targetE1EEEvT1_
; %bb.0:
	.section	.rodata,"a",@progbits
	.p2align	6, 0x0
	.amdhsa_kernel _ZN7rocprim17ROCPRIM_400000_NS6detail17trampoline_kernelINS0_14default_configENS1_20scan_config_selectorIjEEZZNS1_9scan_implILNS1_25lookback_scan_determinismE0ELb0ELb0ES3_N6thrust23THRUST_200600_302600_NS6detail15normal_iteratorINS9_10device_ptrIjEEEESE_jNS9_4plusIvEEjEEDaPvRmT3_T4_T5_mT6_P12ihipStream_tbENKUlT_T0_E_clISt17integral_constantIbLb1EESU_EEDaSP_SQ_EUlSP_E_NS1_11comp_targetILNS1_3genE10ELNS1_11target_archE1200ELNS1_3gpuE4ELNS1_3repE0EEENS1_30default_config_static_selectorELNS0_4arch9wavefront6targetE1EEEvT1_
		.amdhsa_group_segment_fixed_size 0
		.amdhsa_private_segment_fixed_size 0
		.amdhsa_kernarg_size 96
		.amdhsa_user_sgpr_count 6
		.amdhsa_user_sgpr_private_segment_buffer 1
		.amdhsa_user_sgpr_dispatch_ptr 0
		.amdhsa_user_sgpr_queue_ptr 0
		.amdhsa_user_sgpr_kernarg_segment_ptr 1
		.amdhsa_user_sgpr_dispatch_id 0
		.amdhsa_user_sgpr_flat_scratch_init 0
		.amdhsa_user_sgpr_kernarg_preload_length 0
		.amdhsa_user_sgpr_kernarg_preload_offset 0
		.amdhsa_user_sgpr_private_segment_size 0
		.amdhsa_uses_dynamic_stack 0
		.amdhsa_system_sgpr_private_segment_wavefront_offset 0
		.amdhsa_system_sgpr_workgroup_id_x 1
		.amdhsa_system_sgpr_workgroup_id_y 0
		.amdhsa_system_sgpr_workgroup_id_z 0
		.amdhsa_system_sgpr_workgroup_info 0
		.amdhsa_system_vgpr_workitem_id 0
		.amdhsa_next_free_vgpr 1
		.amdhsa_next_free_sgpr 0
		.amdhsa_accum_offset 4
		.amdhsa_reserve_vcc 0
		.amdhsa_reserve_flat_scratch 0
		.amdhsa_float_round_mode_32 0
		.amdhsa_float_round_mode_16_64 0
		.amdhsa_float_denorm_mode_32 3
		.amdhsa_float_denorm_mode_16_64 3
		.amdhsa_dx10_clamp 1
		.amdhsa_ieee_mode 1
		.amdhsa_fp16_overflow 0
		.amdhsa_tg_split 0
		.amdhsa_exception_fp_ieee_invalid_op 0
		.amdhsa_exception_fp_denorm_src 0
		.amdhsa_exception_fp_ieee_div_zero 0
		.amdhsa_exception_fp_ieee_overflow 0
		.amdhsa_exception_fp_ieee_underflow 0
		.amdhsa_exception_fp_ieee_inexact 0
		.amdhsa_exception_int_div_zero 0
	.end_amdhsa_kernel
	.section	.text._ZN7rocprim17ROCPRIM_400000_NS6detail17trampoline_kernelINS0_14default_configENS1_20scan_config_selectorIjEEZZNS1_9scan_implILNS1_25lookback_scan_determinismE0ELb0ELb0ES3_N6thrust23THRUST_200600_302600_NS6detail15normal_iteratorINS9_10device_ptrIjEEEESE_jNS9_4plusIvEEjEEDaPvRmT3_T4_T5_mT6_P12ihipStream_tbENKUlT_T0_E_clISt17integral_constantIbLb1EESU_EEDaSP_SQ_EUlSP_E_NS1_11comp_targetILNS1_3genE10ELNS1_11target_archE1200ELNS1_3gpuE4ELNS1_3repE0EEENS1_30default_config_static_selectorELNS0_4arch9wavefront6targetE1EEEvT1_,"axG",@progbits,_ZN7rocprim17ROCPRIM_400000_NS6detail17trampoline_kernelINS0_14default_configENS1_20scan_config_selectorIjEEZZNS1_9scan_implILNS1_25lookback_scan_determinismE0ELb0ELb0ES3_N6thrust23THRUST_200600_302600_NS6detail15normal_iteratorINS9_10device_ptrIjEEEESE_jNS9_4plusIvEEjEEDaPvRmT3_T4_T5_mT6_P12ihipStream_tbENKUlT_T0_E_clISt17integral_constantIbLb1EESU_EEDaSP_SQ_EUlSP_E_NS1_11comp_targetILNS1_3genE10ELNS1_11target_archE1200ELNS1_3gpuE4ELNS1_3repE0EEENS1_30default_config_static_selectorELNS0_4arch9wavefront6targetE1EEEvT1_,comdat
.Lfunc_end4598:
	.size	_ZN7rocprim17ROCPRIM_400000_NS6detail17trampoline_kernelINS0_14default_configENS1_20scan_config_selectorIjEEZZNS1_9scan_implILNS1_25lookback_scan_determinismE0ELb0ELb0ES3_N6thrust23THRUST_200600_302600_NS6detail15normal_iteratorINS9_10device_ptrIjEEEESE_jNS9_4plusIvEEjEEDaPvRmT3_T4_T5_mT6_P12ihipStream_tbENKUlT_T0_E_clISt17integral_constantIbLb1EESU_EEDaSP_SQ_EUlSP_E_NS1_11comp_targetILNS1_3genE10ELNS1_11target_archE1200ELNS1_3gpuE4ELNS1_3repE0EEENS1_30default_config_static_selectorELNS0_4arch9wavefront6targetE1EEEvT1_, .Lfunc_end4598-_ZN7rocprim17ROCPRIM_400000_NS6detail17trampoline_kernelINS0_14default_configENS1_20scan_config_selectorIjEEZZNS1_9scan_implILNS1_25lookback_scan_determinismE0ELb0ELb0ES3_N6thrust23THRUST_200600_302600_NS6detail15normal_iteratorINS9_10device_ptrIjEEEESE_jNS9_4plusIvEEjEEDaPvRmT3_T4_T5_mT6_P12ihipStream_tbENKUlT_T0_E_clISt17integral_constantIbLb1EESU_EEDaSP_SQ_EUlSP_E_NS1_11comp_targetILNS1_3genE10ELNS1_11target_archE1200ELNS1_3gpuE4ELNS1_3repE0EEENS1_30default_config_static_selectorELNS0_4arch9wavefront6targetE1EEEvT1_
                                        ; -- End function
	.section	.AMDGPU.csdata,"",@progbits
; Kernel info:
; codeLenInByte = 0
; NumSgprs: 4
; NumVgprs: 0
; NumAgprs: 0
; TotalNumVgprs: 0
; ScratchSize: 0
; MemoryBound: 0
; FloatMode: 240
; IeeeMode: 1
; LDSByteSize: 0 bytes/workgroup (compile time only)
; SGPRBlocks: 0
; VGPRBlocks: 0
; NumSGPRsForWavesPerEU: 4
; NumVGPRsForWavesPerEU: 1
; AccumOffset: 4
; Occupancy: 8
; WaveLimiterHint : 0
; COMPUTE_PGM_RSRC2:SCRATCH_EN: 0
; COMPUTE_PGM_RSRC2:USER_SGPR: 6
; COMPUTE_PGM_RSRC2:TRAP_HANDLER: 0
; COMPUTE_PGM_RSRC2:TGID_X_EN: 1
; COMPUTE_PGM_RSRC2:TGID_Y_EN: 0
; COMPUTE_PGM_RSRC2:TGID_Z_EN: 0
; COMPUTE_PGM_RSRC2:TIDIG_COMP_CNT: 0
; COMPUTE_PGM_RSRC3_GFX90A:ACCUM_OFFSET: 0
; COMPUTE_PGM_RSRC3_GFX90A:TG_SPLIT: 0
	.section	.text._ZN7rocprim17ROCPRIM_400000_NS6detail17trampoline_kernelINS0_14default_configENS1_20scan_config_selectorIjEEZZNS1_9scan_implILNS1_25lookback_scan_determinismE0ELb0ELb0ES3_N6thrust23THRUST_200600_302600_NS6detail15normal_iteratorINS9_10device_ptrIjEEEESE_jNS9_4plusIvEEjEEDaPvRmT3_T4_T5_mT6_P12ihipStream_tbENKUlT_T0_E_clISt17integral_constantIbLb1EESU_EEDaSP_SQ_EUlSP_E_NS1_11comp_targetILNS1_3genE9ELNS1_11target_archE1100ELNS1_3gpuE3ELNS1_3repE0EEENS1_30default_config_static_selectorELNS0_4arch9wavefront6targetE1EEEvT1_,"axG",@progbits,_ZN7rocprim17ROCPRIM_400000_NS6detail17trampoline_kernelINS0_14default_configENS1_20scan_config_selectorIjEEZZNS1_9scan_implILNS1_25lookback_scan_determinismE0ELb0ELb0ES3_N6thrust23THRUST_200600_302600_NS6detail15normal_iteratorINS9_10device_ptrIjEEEESE_jNS9_4plusIvEEjEEDaPvRmT3_T4_T5_mT6_P12ihipStream_tbENKUlT_T0_E_clISt17integral_constantIbLb1EESU_EEDaSP_SQ_EUlSP_E_NS1_11comp_targetILNS1_3genE9ELNS1_11target_archE1100ELNS1_3gpuE3ELNS1_3repE0EEENS1_30default_config_static_selectorELNS0_4arch9wavefront6targetE1EEEvT1_,comdat
	.protected	_ZN7rocprim17ROCPRIM_400000_NS6detail17trampoline_kernelINS0_14default_configENS1_20scan_config_selectorIjEEZZNS1_9scan_implILNS1_25lookback_scan_determinismE0ELb0ELb0ES3_N6thrust23THRUST_200600_302600_NS6detail15normal_iteratorINS9_10device_ptrIjEEEESE_jNS9_4plusIvEEjEEDaPvRmT3_T4_T5_mT6_P12ihipStream_tbENKUlT_T0_E_clISt17integral_constantIbLb1EESU_EEDaSP_SQ_EUlSP_E_NS1_11comp_targetILNS1_3genE9ELNS1_11target_archE1100ELNS1_3gpuE3ELNS1_3repE0EEENS1_30default_config_static_selectorELNS0_4arch9wavefront6targetE1EEEvT1_ ; -- Begin function _ZN7rocprim17ROCPRIM_400000_NS6detail17trampoline_kernelINS0_14default_configENS1_20scan_config_selectorIjEEZZNS1_9scan_implILNS1_25lookback_scan_determinismE0ELb0ELb0ES3_N6thrust23THRUST_200600_302600_NS6detail15normal_iteratorINS9_10device_ptrIjEEEESE_jNS9_4plusIvEEjEEDaPvRmT3_T4_T5_mT6_P12ihipStream_tbENKUlT_T0_E_clISt17integral_constantIbLb1EESU_EEDaSP_SQ_EUlSP_E_NS1_11comp_targetILNS1_3genE9ELNS1_11target_archE1100ELNS1_3gpuE3ELNS1_3repE0EEENS1_30default_config_static_selectorELNS0_4arch9wavefront6targetE1EEEvT1_
	.globl	_ZN7rocprim17ROCPRIM_400000_NS6detail17trampoline_kernelINS0_14default_configENS1_20scan_config_selectorIjEEZZNS1_9scan_implILNS1_25lookback_scan_determinismE0ELb0ELb0ES3_N6thrust23THRUST_200600_302600_NS6detail15normal_iteratorINS9_10device_ptrIjEEEESE_jNS9_4plusIvEEjEEDaPvRmT3_T4_T5_mT6_P12ihipStream_tbENKUlT_T0_E_clISt17integral_constantIbLb1EESU_EEDaSP_SQ_EUlSP_E_NS1_11comp_targetILNS1_3genE9ELNS1_11target_archE1100ELNS1_3gpuE3ELNS1_3repE0EEENS1_30default_config_static_selectorELNS0_4arch9wavefront6targetE1EEEvT1_
	.p2align	8
	.type	_ZN7rocprim17ROCPRIM_400000_NS6detail17trampoline_kernelINS0_14default_configENS1_20scan_config_selectorIjEEZZNS1_9scan_implILNS1_25lookback_scan_determinismE0ELb0ELb0ES3_N6thrust23THRUST_200600_302600_NS6detail15normal_iteratorINS9_10device_ptrIjEEEESE_jNS9_4plusIvEEjEEDaPvRmT3_T4_T5_mT6_P12ihipStream_tbENKUlT_T0_E_clISt17integral_constantIbLb1EESU_EEDaSP_SQ_EUlSP_E_NS1_11comp_targetILNS1_3genE9ELNS1_11target_archE1100ELNS1_3gpuE3ELNS1_3repE0EEENS1_30default_config_static_selectorELNS0_4arch9wavefront6targetE1EEEvT1_,@function
_ZN7rocprim17ROCPRIM_400000_NS6detail17trampoline_kernelINS0_14default_configENS1_20scan_config_selectorIjEEZZNS1_9scan_implILNS1_25lookback_scan_determinismE0ELb0ELb0ES3_N6thrust23THRUST_200600_302600_NS6detail15normal_iteratorINS9_10device_ptrIjEEEESE_jNS9_4plusIvEEjEEDaPvRmT3_T4_T5_mT6_P12ihipStream_tbENKUlT_T0_E_clISt17integral_constantIbLb1EESU_EEDaSP_SQ_EUlSP_E_NS1_11comp_targetILNS1_3genE9ELNS1_11target_archE1100ELNS1_3gpuE3ELNS1_3repE0EEENS1_30default_config_static_selectorELNS0_4arch9wavefront6targetE1EEEvT1_: ; @_ZN7rocprim17ROCPRIM_400000_NS6detail17trampoline_kernelINS0_14default_configENS1_20scan_config_selectorIjEEZZNS1_9scan_implILNS1_25lookback_scan_determinismE0ELb0ELb0ES3_N6thrust23THRUST_200600_302600_NS6detail15normal_iteratorINS9_10device_ptrIjEEEESE_jNS9_4plusIvEEjEEDaPvRmT3_T4_T5_mT6_P12ihipStream_tbENKUlT_T0_E_clISt17integral_constantIbLb1EESU_EEDaSP_SQ_EUlSP_E_NS1_11comp_targetILNS1_3genE9ELNS1_11target_archE1100ELNS1_3gpuE3ELNS1_3repE0EEENS1_30default_config_static_selectorELNS0_4arch9wavefront6targetE1EEEvT1_
; %bb.0:
	.section	.rodata,"a",@progbits
	.p2align	6, 0x0
	.amdhsa_kernel _ZN7rocprim17ROCPRIM_400000_NS6detail17trampoline_kernelINS0_14default_configENS1_20scan_config_selectorIjEEZZNS1_9scan_implILNS1_25lookback_scan_determinismE0ELb0ELb0ES3_N6thrust23THRUST_200600_302600_NS6detail15normal_iteratorINS9_10device_ptrIjEEEESE_jNS9_4plusIvEEjEEDaPvRmT3_T4_T5_mT6_P12ihipStream_tbENKUlT_T0_E_clISt17integral_constantIbLb1EESU_EEDaSP_SQ_EUlSP_E_NS1_11comp_targetILNS1_3genE9ELNS1_11target_archE1100ELNS1_3gpuE3ELNS1_3repE0EEENS1_30default_config_static_selectorELNS0_4arch9wavefront6targetE1EEEvT1_
		.amdhsa_group_segment_fixed_size 0
		.amdhsa_private_segment_fixed_size 0
		.amdhsa_kernarg_size 96
		.amdhsa_user_sgpr_count 6
		.amdhsa_user_sgpr_private_segment_buffer 1
		.amdhsa_user_sgpr_dispatch_ptr 0
		.amdhsa_user_sgpr_queue_ptr 0
		.amdhsa_user_sgpr_kernarg_segment_ptr 1
		.amdhsa_user_sgpr_dispatch_id 0
		.amdhsa_user_sgpr_flat_scratch_init 0
		.amdhsa_user_sgpr_kernarg_preload_length 0
		.amdhsa_user_sgpr_kernarg_preload_offset 0
		.amdhsa_user_sgpr_private_segment_size 0
		.amdhsa_uses_dynamic_stack 0
		.amdhsa_system_sgpr_private_segment_wavefront_offset 0
		.amdhsa_system_sgpr_workgroup_id_x 1
		.amdhsa_system_sgpr_workgroup_id_y 0
		.amdhsa_system_sgpr_workgroup_id_z 0
		.amdhsa_system_sgpr_workgroup_info 0
		.amdhsa_system_vgpr_workitem_id 0
		.amdhsa_next_free_vgpr 1
		.amdhsa_next_free_sgpr 0
		.amdhsa_accum_offset 4
		.amdhsa_reserve_vcc 0
		.amdhsa_reserve_flat_scratch 0
		.amdhsa_float_round_mode_32 0
		.amdhsa_float_round_mode_16_64 0
		.amdhsa_float_denorm_mode_32 3
		.amdhsa_float_denorm_mode_16_64 3
		.amdhsa_dx10_clamp 1
		.amdhsa_ieee_mode 1
		.amdhsa_fp16_overflow 0
		.amdhsa_tg_split 0
		.amdhsa_exception_fp_ieee_invalid_op 0
		.amdhsa_exception_fp_denorm_src 0
		.amdhsa_exception_fp_ieee_div_zero 0
		.amdhsa_exception_fp_ieee_overflow 0
		.amdhsa_exception_fp_ieee_underflow 0
		.amdhsa_exception_fp_ieee_inexact 0
		.amdhsa_exception_int_div_zero 0
	.end_amdhsa_kernel
	.section	.text._ZN7rocprim17ROCPRIM_400000_NS6detail17trampoline_kernelINS0_14default_configENS1_20scan_config_selectorIjEEZZNS1_9scan_implILNS1_25lookback_scan_determinismE0ELb0ELb0ES3_N6thrust23THRUST_200600_302600_NS6detail15normal_iteratorINS9_10device_ptrIjEEEESE_jNS9_4plusIvEEjEEDaPvRmT3_T4_T5_mT6_P12ihipStream_tbENKUlT_T0_E_clISt17integral_constantIbLb1EESU_EEDaSP_SQ_EUlSP_E_NS1_11comp_targetILNS1_3genE9ELNS1_11target_archE1100ELNS1_3gpuE3ELNS1_3repE0EEENS1_30default_config_static_selectorELNS0_4arch9wavefront6targetE1EEEvT1_,"axG",@progbits,_ZN7rocprim17ROCPRIM_400000_NS6detail17trampoline_kernelINS0_14default_configENS1_20scan_config_selectorIjEEZZNS1_9scan_implILNS1_25lookback_scan_determinismE0ELb0ELb0ES3_N6thrust23THRUST_200600_302600_NS6detail15normal_iteratorINS9_10device_ptrIjEEEESE_jNS9_4plusIvEEjEEDaPvRmT3_T4_T5_mT6_P12ihipStream_tbENKUlT_T0_E_clISt17integral_constantIbLb1EESU_EEDaSP_SQ_EUlSP_E_NS1_11comp_targetILNS1_3genE9ELNS1_11target_archE1100ELNS1_3gpuE3ELNS1_3repE0EEENS1_30default_config_static_selectorELNS0_4arch9wavefront6targetE1EEEvT1_,comdat
.Lfunc_end4599:
	.size	_ZN7rocprim17ROCPRIM_400000_NS6detail17trampoline_kernelINS0_14default_configENS1_20scan_config_selectorIjEEZZNS1_9scan_implILNS1_25lookback_scan_determinismE0ELb0ELb0ES3_N6thrust23THRUST_200600_302600_NS6detail15normal_iteratorINS9_10device_ptrIjEEEESE_jNS9_4plusIvEEjEEDaPvRmT3_T4_T5_mT6_P12ihipStream_tbENKUlT_T0_E_clISt17integral_constantIbLb1EESU_EEDaSP_SQ_EUlSP_E_NS1_11comp_targetILNS1_3genE9ELNS1_11target_archE1100ELNS1_3gpuE3ELNS1_3repE0EEENS1_30default_config_static_selectorELNS0_4arch9wavefront6targetE1EEEvT1_, .Lfunc_end4599-_ZN7rocprim17ROCPRIM_400000_NS6detail17trampoline_kernelINS0_14default_configENS1_20scan_config_selectorIjEEZZNS1_9scan_implILNS1_25lookback_scan_determinismE0ELb0ELb0ES3_N6thrust23THRUST_200600_302600_NS6detail15normal_iteratorINS9_10device_ptrIjEEEESE_jNS9_4plusIvEEjEEDaPvRmT3_T4_T5_mT6_P12ihipStream_tbENKUlT_T0_E_clISt17integral_constantIbLb1EESU_EEDaSP_SQ_EUlSP_E_NS1_11comp_targetILNS1_3genE9ELNS1_11target_archE1100ELNS1_3gpuE3ELNS1_3repE0EEENS1_30default_config_static_selectorELNS0_4arch9wavefront6targetE1EEEvT1_
                                        ; -- End function
	.section	.AMDGPU.csdata,"",@progbits
; Kernel info:
; codeLenInByte = 0
; NumSgprs: 4
; NumVgprs: 0
; NumAgprs: 0
; TotalNumVgprs: 0
; ScratchSize: 0
; MemoryBound: 0
; FloatMode: 240
; IeeeMode: 1
; LDSByteSize: 0 bytes/workgroup (compile time only)
; SGPRBlocks: 0
; VGPRBlocks: 0
; NumSGPRsForWavesPerEU: 4
; NumVGPRsForWavesPerEU: 1
; AccumOffset: 4
; Occupancy: 8
; WaveLimiterHint : 0
; COMPUTE_PGM_RSRC2:SCRATCH_EN: 0
; COMPUTE_PGM_RSRC2:USER_SGPR: 6
; COMPUTE_PGM_RSRC2:TRAP_HANDLER: 0
; COMPUTE_PGM_RSRC2:TGID_X_EN: 1
; COMPUTE_PGM_RSRC2:TGID_Y_EN: 0
; COMPUTE_PGM_RSRC2:TGID_Z_EN: 0
; COMPUTE_PGM_RSRC2:TIDIG_COMP_CNT: 0
; COMPUTE_PGM_RSRC3_GFX90A:ACCUM_OFFSET: 0
; COMPUTE_PGM_RSRC3_GFX90A:TG_SPLIT: 0
	.section	.text._ZN7rocprim17ROCPRIM_400000_NS6detail17trampoline_kernelINS0_14default_configENS1_20scan_config_selectorIjEEZZNS1_9scan_implILNS1_25lookback_scan_determinismE0ELb0ELb0ES3_N6thrust23THRUST_200600_302600_NS6detail15normal_iteratorINS9_10device_ptrIjEEEESE_jNS9_4plusIvEEjEEDaPvRmT3_T4_T5_mT6_P12ihipStream_tbENKUlT_T0_E_clISt17integral_constantIbLb1EESU_EEDaSP_SQ_EUlSP_E_NS1_11comp_targetILNS1_3genE8ELNS1_11target_archE1030ELNS1_3gpuE2ELNS1_3repE0EEENS1_30default_config_static_selectorELNS0_4arch9wavefront6targetE1EEEvT1_,"axG",@progbits,_ZN7rocprim17ROCPRIM_400000_NS6detail17trampoline_kernelINS0_14default_configENS1_20scan_config_selectorIjEEZZNS1_9scan_implILNS1_25lookback_scan_determinismE0ELb0ELb0ES3_N6thrust23THRUST_200600_302600_NS6detail15normal_iteratorINS9_10device_ptrIjEEEESE_jNS9_4plusIvEEjEEDaPvRmT3_T4_T5_mT6_P12ihipStream_tbENKUlT_T0_E_clISt17integral_constantIbLb1EESU_EEDaSP_SQ_EUlSP_E_NS1_11comp_targetILNS1_3genE8ELNS1_11target_archE1030ELNS1_3gpuE2ELNS1_3repE0EEENS1_30default_config_static_selectorELNS0_4arch9wavefront6targetE1EEEvT1_,comdat
	.protected	_ZN7rocprim17ROCPRIM_400000_NS6detail17trampoline_kernelINS0_14default_configENS1_20scan_config_selectorIjEEZZNS1_9scan_implILNS1_25lookback_scan_determinismE0ELb0ELb0ES3_N6thrust23THRUST_200600_302600_NS6detail15normal_iteratorINS9_10device_ptrIjEEEESE_jNS9_4plusIvEEjEEDaPvRmT3_T4_T5_mT6_P12ihipStream_tbENKUlT_T0_E_clISt17integral_constantIbLb1EESU_EEDaSP_SQ_EUlSP_E_NS1_11comp_targetILNS1_3genE8ELNS1_11target_archE1030ELNS1_3gpuE2ELNS1_3repE0EEENS1_30default_config_static_selectorELNS0_4arch9wavefront6targetE1EEEvT1_ ; -- Begin function _ZN7rocprim17ROCPRIM_400000_NS6detail17trampoline_kernelINS0_14default_configENS1_20scan_config_selectorIjEEZZNS1_9scan_implILNS1_25lookback_scan_determinismE0ELb0ELb0ES3_N6thrust23THRUST_200600_302600_NS6detail15normal_iteratorINS9_10device_ptrIjEEEESE_jNS9_4plusIvEEjEEDaPvRmT3_T4_T5_mT6_P12ihipStream_tbENKUlT_T0_E_clISt17integral_constantIbLb1EESU_EEDaSP_SQ_EUlSP_E_NS1_11comp_targetILNS1_3genE8ELNS1_11target_archE1030ELNS1_3gpuE2ELNS1_3repE0EEENS1_30default_config_static_selectorELNS0_4arch9wavefront6targetE1EEEvT1_
	.globl	_ZN7rocprim17ROCPRIM_400000_NS6detail17trampoline_kernelINS0_14default_configENS1_20scan_config_selectorIjEEZZNS1_9scan_implILNS1_25lookback_scan_determinismE0ELb0ELb0ES3_N6thrust23THRUST_200600_302600_NS6detail15normal_iteratorINS9_10device_ptrIjEEEESE_jNS9_4plusIvEEjEEDaPvRmT3_T4_T5_mT6_P12ihipStream_tbENKUlT_T0_E_clISt17integral_constantIbLb1EESU_EEDaSP_SQ_EUlSP_E_NS1_11comp_targetILNS1_3genE8ELNS1_11target_archE1030ELNS1_3gpuE2ELNS1_3repE0EEENS1_30default_config_static_selectorELNS0_4arch9wavefront6targetE1EEEvT1_
	.p2align	8
	.type	_ZN7rocprim17ROCPRIM_400000_NS6detail17trampoline_kernelINS0_14default_configENS1_20scan_config_selectorIjEEZZNS1_9scan_implILNS1_25lookback_scan_determinismE0ELb0ELb0ES3_N6thrust23THRUST_200600_302600_NS6detail15normal_iteratorINS9_10device_ptrIjEEEESE_jNS9_4plusIvEEjEEDaPvRmT3_T4_T5_mT6_P12ihipStream_tbENKUlT_T0_E_clISt17integral_constantIbLb1EESU_EEDaSP_SQ_EUlSP_E_NS1_11comp_targetILNS1_3genE8ELNS1_11target_archE1030ELNS1_3gpuE2ELNS1_3repE0EEENS1_30default_config_static_selectorELNS0_4arch9wavefront6targetE1EEEvT1_,@function
_ZN7rocprim17ROCPRIM_400000_NS6detail17trampoline_kernelINS0_14default_configENS1_20scan_config_selectorIjEEZZNS1_9scan_implILNS1_25lookback_scan_determinismE0ELb0ELb0ES3_N6thrust23THRUST_200600_302600_NS6detail15normal_iteratorINS9_10device_ptrIjEEEESE_jNS9_4plusIvEEjEEDaPvRmT3_T4_T5_mT6_P12ihipStream_tbENKUlT_T0_E_clISt17integral_constantIbLb1EESU_EEDaSP_SQ_EUlSP_E_NS1_11comp_targetILNS1_3genE8ELNS1_11target_archE1030ELNS1_3gpuE2ELNS1_3repE0EEENS1_30default_config_static_selectorELNS0_4arch9wavefront6targetE1EEEvT1_: ; @_ZN7rocprim17ROCPRIM_400000_NS6detail17trampoline_kernelINS0_14default_configENS1_20scan_config_selectorIjEEZZNS1_9scan_implILNS1_25lookback_scan_determinismE0ELb0ELb0ES3_N6thrust23THRUST_200600_302600_NS6detail15normal_iteratorINS9_10device_ptrIjEEEESE_jNS9_4plusIvEEjEEDaPvRmT3_T4_T5_mT6_P12ihipStream_tbENKUlT_T0_E_clISt17integral_constantIbLb1EESU_EEDaSP_SQ_EUlSP_E_NS1_11comp_targetILNS1_3genE8ELNS1_11target_archE1030ELNS1_3gpuE2ELNS1_3repE0EEENS1_30default_config_static_selectorELNS0_4arch9wavefront6targetE1EEEvT1_
; %bb.0:
	.section	.rodata,"a",@progbits
	.p2align	6, 0x0
	.amdhsa_kernel _ZN7rocprim17ROCPRIM_400000_NS6detail17trampoline_kernelINS0_14default_configENS1_20scan_config_selectorIjEEZZNS1_9scan_implILNS1_25lookback_scan_determinismE0ELb0ELb0ES3_N6thrust23THRUST_200600_302600_NS6detail15normal_iteratorINS9_10device_ptrIjEEEESE_jNS9_4plusIvEEjEEDaPvRmT3_T4_T5_mT6_P12ihipStream_tbENKUlT_T0_E_clISt17integral_constantIbLb1EESU_EEDaSP_SQ_EUlSP_E_NS1_11comp_targetILNS1_3genE8ELNS1_11target_archE1030ELNS1_3gpuE2ELNS1_3repE0EEENS1_30default_config_static_selectorELNS0_4arch9wavefront6targetE1EEEvT1_
		.amdhsa_group_segment_fixed_size 0
		.amdhsa_private_segment_fixed_size 0
		.amdhsa_kernarg_size 96
		.amdhsa_user_sgpr_count 6
		.amdhsa_user_sgpr_private_segment_buffer 1
		.amdhsa_user_sgpr_dispatch_ptr 0
		.amdhsa_user_sgpr_queue_ptr 0
		.amdhsa_user_sgpr_kernarg_segment_ptr 1
		.amdhsa_user_sgpr_dispatch_id 0
		.amdhsa_user_sgpr_flat_scratch_init 0
		.amdhsa_user_sgpr_kernarg_preload_length 0
		.amdhsa_user_sgpr_kernarg_preload_offset 0
		.amdhsa_user_sgpr_private_segment_size 0
		.amdhsa_uses_dynamic_stack 0
		.amdhsa_system_sgpr_private_segment_wavefront_offset 0
		.amdhsa_system_sgpr_workgroup_id_x 1
		.amdhsa_system_sgpr_workgroup_id_y 0
		.amdhsa_system_sgpr_workgroup_id_z 0
		.amdhsa_system_sgpr_workgroup_info 0
		.amdhsa_system_vgpr_workitem_id 0
		.amdhsa_next_free_vgpr 1
		.amdhsa_next_free_sgpr 0
		.amdhsa_accum_offset 4
		.amdhsa_reserve_vcc 0
		.amdhsa_reserve_flat_scratch 0
		.amdhsa_float_round_mode_32 0
		.amdhsa_float_round_mode_16_64 0
		.amdhsa_float_denorm_mode_32 3
		.amdhsa_float_denorm_mode_16_64 3
		.amdhsa_dx10_clamp 1
		.amdhsa_ieee_mode 1
		.amdhsa_fp16_overflow 0
		.amdhsa_tg_split 0
		.amdhsa_exception_fp_ieee_invalid_op 0
		.amdhsa_exception_fp_denorm_src 0
		.amdhsa_exception_fp_ieee_div_zero 0
		.amdhsa_exception_fp_ieee_overflow 0
		.amdhsa_exception_fp_ieee_underflow 0
		.amdhsa_exception_fp_ieee_inexact 0
		.amdhsa_exception_int_div_zero 0
	.end_amdhsa_kernel
	.section	.text._ZN7rocprim17ROCPRIM_400000_NS6detail17trampoline_kernelINS0_14default_configENS1_20scan_config_selectorIjEEZZNS1_9scan_implILNS1_25lookback_scan_determinismE0ELb0ELb0ES3_N6thrust23THRUST_200600_302600_NS6detail15normal_iteratorINS9_10device_ptrIjEEEESE_jNS9_4plusIvEEjEEDaPvRmT3_T4_T5_mT6_P12ihipStream_tbENKUlT_T0_E_clISt17integral_constantIbLb1EESU_EEDaSP_SQ_EUlSP_E_NS1_11comp_targetILNS1_3genE8ELNS1_11target_archE1030ELNS1_3gpuE2ELNS1_3repE0EEENS1_30default_config_static_selectorELNS0_4arch9wavefront6targetE1EEEvT1_,"axG",@progbits,_ZN7rocprim17ROCPRIM_400000_NS6detail17trampoline_kernelINS0_14default_configENS1_20scan_config_selectorIjEEZZNS1_9scan_implILNS1_25lookback_scan_determinismE0ELb0ELb0ES3_N6thrust23THRUST_200600_302600_NS6detail15normal_iteratorINS9_10device_ptrIjEEEESE_jNS9_4plusIvEEjEEDaPvRmT3_T4_T5_mT6_P12ihipStream_tbENKUlT_T0_E_clISt17integral_constantIbLb1EESU_EEDaSP_SQ_EUlSP_E_NS1_11comp_targetILNS1_3genE8ELNS1_11target_archE1030ELNS1_3gpuE2ELNS1_3repE0EEENS1_30default_config_static_selectorELNS0_4arch9wavefront6targetE1EEEvT1_,comdat
.Lfunc_end4600:
	.size	_ZN7rocprim17ROCPRIM_400000_NS6detail17trampoline_kernelINS0_14default_configENS1_20scan_config_selectorIjEEZZNS1_9scan_implILNS1_25lookback_scan_determinismE0ELb0ELb0ES3_N6thrust23THRUST_200600_302600_NS6detail15normal_iteratorINS9_10device_ptrIjEEEESE_jNS9_4plusIvEEjEEDaPvRmT3_T4_T5_mT6_P12ihipStream_tbENKUlT_T0_E_clISt17integral_constantIbLb1EESU_EEDaSP_SQ_EUlSP_E_NS1_11comp_targetILNS1_3genE8ELNS1_11target_archE1030ELNS1_3gpuE2ELNS1_3repE0EEENS1_30default_config_static_selectorELNS0_4arch9wavefront6targetE1EEEvT1_, .Lfunc_end4600-_ZN7rocprim17ROCPRIM_400000_NS6detail17trampoline_kernelINS0_14default_configENS1_20scan_config_selectorIjEEZZNS1_9scan_implILNS1_25lookback_scan_determinismE0ELb0ELb0ES3_N6thrust23THRUST_200600_302600_NS6detail15normal_iteratorINS9_10device_ptrIjEEEESE_jNS9_4plusIvEEjEEDaPvRmT3_T4_T5_mT6_P12ihipStream_tbENKUlT_T0_E_clISt17integral_constantIbLb1EESU_EEDaSP_SQ_EUlSP_E_NS1_11comp_targetILNS1_3genE8ELNS1_11target_archE1030ELNS1_3gpuE2ELNS1_3repE0EEENS1_30default_config_static_selectorELNS0_4arch9wavefront6targetE1EEEvT1_
                                        ; -- End function
	.section	.AMDGPU.csdata,"",@progbits
; Kernel info:
; codeLenInByte = 0
; NumSgprs: 4
; NumVgprs: 0
; NumAgprs: 0
; TotalNumVgprs: 0
; ScratchSize: 0
; MemoryBound: 0
; FloatMode: 240
; IeeeMode: 1
; LDSByteSize: 0 bytes/workgroup (compile time only)
; SGPRBlocks: 0
; VGPRBlocks: 0
; NumSGPRsForWavesPerEU: 4
; NumVGPRsForWavesPerEU: 1
; AccumOffset: 4
; Occupancy: 8
; WaveLimiterHint : 0
; COMPUTE_PGM_RSRC2:SCRATCH_EN: 0
; COMPUTE_PGM_RSRC2:USER_SGPR: 6
; COMPUTE_PGM_RSRC2:TRAP_HANDLER: 0
; COMPUTE_PGM_RSRC2:TGID_X_EN: 1
; COMPUTE_PGM_RSRC2:TGID_Y_EN: 0
; COMPUTE_PGM_RSRC2:TGID_Z_EN: 0
; COMPUTE_PGM_RSRC2:TIDIG_COMP_CNT: 0
; COMPUTE_PGM_RSRC3_GFX90A:ACCUM_OFFSET: 0
; COMPUTE_PGM_RSRC3_GFX90A:TG_SPLIT: 0
	.section	.text._ZN7rocprim17ROCPRIM_400000_NS6detail17trampoline_kernelINS0_14default_configENS1_20scan_config_selectorIjEEZZNS1_9scan_implILNS1_25lookback_scan_determinismE0ELb0ELb0ES3_N6thrust23THRUST_200600_302600_NS6detail15normal_iteratorINS9_10device_ptrIjEEEESE_jNS9_4plusIvEEjEEDaPvRmT3_T4_T5_mT6_P12ihipStream_tbENKUlT_T0_E_clISt17integral_constantIbLb1EESU_EEDaSP_SQ_EUlSP_E0_NS1_11comp_targetILNS1_3genE0ELNS1_11target_archE4294967295ELNS1_3gpuE0ELNS1_3repE0EEENS1_30default_config_static_selectorELNS0_4arch9wavefront6targetE1EEEvT1_,"axG",@progbits,_ZN7rocprim17ROCPRIM_400000_NS6detail17trampoline_kernelINS0_14default_configENS1_20scan_config_selectorIjEEZZNS1_9scan_implILNS1_25lookback_scan_determinismE0ELb0ELb0ES3_N6thrust23THRUST_200600_302600_NS6detail15normal_iteratorINS9_10device_ptrIjEEEESE_jNS9_4plusIvEEjEEDaPvRmT3_T4_T5_mT6_P12ihipStream_tbENKUlT_T0_E_clISt17integral_constantIbLb1EESU_EEDaSP_SQ_EUlSP_E0_NS1_11comp_targetILNS1_3genE0ELNS1_11target_archE4294967295ELNS1_3gpuE0ELNS1_3repE0EEENS1_30default_config_static_selectorELNS0_4arch9wavefront6targetE1EEEvT1_,comdat
	.protected	_ZN7rocprim17ROCPRIM_400000_NS6detail17trampoline_kernelINS0_14default_configENS1_20scan_config_selectorIjEEZZNS1_9scan_implILNS1_25lookback_scan_determinismE0ELb0ELb0ES3_N6thrust23THRUST_200600_302600_NS6detail15normal_iteratorINS9_10device_ptrIjEEEESE_jNS9_4plusIvEEjEEDaPvRmT3_T4_T5_mT6_P12ihipStream_tbENKUlT_T0_E_clISt17integral_constantIbLb1EESU_EEDaSP_SQ_EUlSP_E0_NS1_11comp_targetILNS1_3genE0ELNS1_11target_archE4294967295ELNS1_3gpuE0ELNS1_3repE0EEENS1_30default_config_static_selectorELNS0_4arch9wavefront6targetE1EEEvT1_ ; -- Begin function _ZN7rocprim17ROCPRIM_400000_NS6detail17trampoline_kernelINS0_14default_configENS1_20scan_config_selectorIjEEZZNS1_9scan_implILNS1_25lookback_scan_determinismE0ELb0ELb0ES3_N6thrust23THRUST_200600_302600_NS6detail15normal_iteratorINS9_10device_ptrIjEEEESE_jNS9_4plusIvEEjEEDaPvRmT3_T4_T5_mT6_P12ihipStream_tbENKUlT_T0_E_clISt17integral_constantIbLb1EESU_EEDaSP_SQ_EUlSP_E0_NS1_11comp_targetILNS1_3genE0ELNS1_11target_archE4294967295ELNS1_3gpuE0ELNS1_3repE0EEENS1_30default_config_static_selectorELNS0_4arch9wavefront6targetE1EEEvT1_
	.globl	_ZN7rocprim17ROCPRIM_400000_NS6detail17trampoline_kernelINS0_14default_configENS1_20scan_config_selectorIjEEZZNS1_9scan_implILNS1_25lookback_scan_determinismE0ELb0ELb0ES3_N6thrust23THRUST_200600_302600_NS6detail15normal_iteratorINS9_10device_ptrIjEEEESE_jNS9_4plusIvEEjEEDaPvRmT3_T4_T5_mT6_P12ihipStream_tbENKUlT_T0_E_clISt17integral_constantIbLb1EESU_EEDaSP_SQ_EUlSP_E0_NS1_11comp_targetILNS1_3genE0ELNS1_11target_archE4294967295ELNS1_3gpuE0ELNS1_3repE0EEENS1_30default_config_static_selectorELNS0_4arch9wavefront6targetE1EEEvT1_
	.p2align	8
	.type	_ZN7rocprim17ROCPRIM_400000_NS6detail17trampoline_kernelINS0_14default_configENS1_20scan_config_selectorIjEEZZNS1_9scan_implILNS1_25lookback_scan_determinismE0ELb0ELb0ES3_N6thrust23THRUST_200600_302600_NS6detail15normal_iteratorINS9_10device_ptrIjEEEESE_jNS9_4plusIvEEjEEDaPvRmT3_T4_T5_mT6_P12ihipStream_tbENKUlT_T0_E_clISt17integral_constantIbLb1EESU_EEDaSP_SQ_EUlSP_E0_NS1_11comp_targetILNS1_3genE0ELNS1_11target_archE4294967295ELNS1_3gpuE0ELNS1_3repE0EEENS1_30default_config_static_selectorELNS0_4arch9wavefront6targetE1EEEvT1_,@function
_ZN7rocprim17ROCPRIM_400000_NS6detail17trampoline_kernelINS0_14default_configENS1_20scan_config_selectorIjEEZZNS1_9scan_implILNS1_25lookback_scan_determinismE0ELb0ELb0ES3_N6thrust23THRUST_200600_302600_NS6detail15normal_iteratorINS9_10device_ptrIjEEEESE_jNS9_4plusIvEEjEEDaPvRmT3_T4_T5_mT6_P12ihipStream_tbENKUlT_T0_E_clISt17integral_constantIbLb1EESU_EEDaSP_SQ_EUlSP_E0_NS1_11comp_targetILNS1_3genE0ELNS1_11target_archE4294967295ELNS1_3gpuE0ELNS1_3repE0EEENS1_30default_config_static_selectorELNS0_4arch9wavefront6targetE1EEEvT1_: ; @_ZN7rocprim17ROCPRIM_400000_NS6detail17trampoline_kernelINS0_14default_configENS1_20scan_config_selectorIjEEZZNS1_9scan_implILNS1_25lookback_scan_determinismE0ELb0ELb0ES3_N6thrust23THRUST_200600_302600_NS6detail15normal_iteratorINS9_10device_ptrIjEEEESE_jNS9_4plusIvEEjEEDaPvRmT3_T4_T5_mT6_P12ihipStream_tbENKUlT_T0_E_clISt17integral_constantIbLb1EESU_EEDaSP_SQ_EUlSP_E0_NS1_11comp_targetILNS1_3genE0ELNS1_11target_archE4294967295ELNS1_3gpuE0ELNS1_3repE0EEENS1_30default_config_static_selectorELNS0_4arch9wavefront6targetE1EEEvT1_
; %bb.0:
	.section	.rodata,"a",@progbits
	.p2align	6, 0x0
	.amdhsa_kernel _ZN7rocprim17ROCPRIM_400000_NS6detail17trampoline_kernelINS0_14default_configENS1_20scan_config_selectorIjEEZZNS1_9scan_implILNS1_25lookback_scan_determinismE0ELb0ELb0ES3_N6thrust23THRUST_200600_302600_NS6detail15normal_iteratorINS9_10device_ptrIjEEEESE_jNS9_4plusIvEEjEEDaPvRmT3_T4_T5_mT6_P12ihipStream_tbENKUlT_T0_E_clISt17integral_constantIbLb1EESU_EEDaSP_SQ_EUlSP_E0_NS1_11comp_targetILNS1_3genE0ELNS1_11target_archE4294967295ELNS1_3gpuE0ELNS1_3repE0EEENS1_30default_config_static_selectorELNS0_4arch9wavefront6targetE1EEEvT1_
		.amdhsa_group_segment_fixed_size 0
		.amdhsa_private_segment_fixed_size 0
		.amdhsa_kernarg_size 32
		.amdhsa_user_sgpr_count 6
		.amdhsa_user_sgpr_private_segment_buffer 1
		.amdhsa_user_sgpr_dispatch_ptr 0
		.amdhsa_user_sgpr_queue_ptr 0
		.amdhsa_user_sgpr_kernarg_segment_ptr 1
		.amdhsa_user_sgpr_dispatch_id 0
		.amdhsa_user_sgpr_flat_scratch_init 0
		.amdhsa_user_sgpr_kernarg_preload_length 0
		.amdhsa_user_sgpr_kernarg_preload_offset 0
		.amdhsa_user_sgpr_private_segment_size 0
		.amdhsa_uses_dynamic_stack 0
		.amdhsa_system_sgpr_private_segment_wavefront_offset 0
		.amdhsa_system_sgpr_workgroup_id_x 1
		.amdhsa_system_sgpr_workgroup_id_y 0
		.amdhsa_system_sgpr_workgroup_id_z 0
		.amdhsa_system_sgpr_workgroup_info 0
		.amdhsa_system_vgpr_workitem_id 0
		.amdhsa_next_free_vgpr 1
		.amdhsa_next_free_sgpr 0
		.amdhsa_accum_offset 4
		.amdhsa_reserve_vcc 0
		.amdhsa_reserve_flat_scratch 0
		.amdhsa_float_round_mode_32 0
		.amdhsa_float_round_mode_16_64 0
		.amdhsa_float_denorm_mode_32 3
		.amdhsa_float_denorm_mode_16_64 3
		.amdhsa_dx10_clamp 1
		.amdhsa_ieee_mode 1
		.amdhsa_fp16_overflow 0
		.amdhsa_tg_split 0
		.amdhsa_exception_fp_ieee_invalid_op 0
		.amdhsa_exception_fp_denorm_src 0
		.amdhsa_exception_fp_ieee_div_zero 0
		.amdhsa_exception_fp_ieee_overflow 0
		.amdhsa_exception_fp_ieee_underflow 0
		.amdhsa_exception_fp_ieee_inexact 0
		.amdhsa_exception_int_div_zero 0
	.end_amdhsa_kernel
	.section	.text._ZN7rocprim17ROCPRIM_400000_NS6detail17trampoline_kernelINS0_14default_configENS1_20scan_config_selectorIjEEZZNS1_9scan_implILNS1_25lookback_scan_determinismE0ELb0ELb0ES3_N6thrust23THRUST_200600_302600_NS6detail15normal_iteratorINS9_10device_ptrIjEEEESE_jNS9_4plusIvEEjEEDaPvRmT3_T4_T5_mT6_P12ihipStream_tbENKUlT_T0_E_clISt17integral_constantIbLb1EESU_EEDaSP_SQ_EUlSP_E0_NS1_11comp_targetILNS1_3genE0ELNS1_11target_archE4294967295ELNS1_3gpuE0ELNS1_3repE0EEENS1_30default_config_static_selectorELNS0_4arch9wavefront6targetE1EEEvT1_,"axG",@progbits,_ZN7rocprim17ROCPRIM_400000_NS6detail17trampoline_kernelINS0_14default_configENS1_20scan_config_selectorIjEEZZNS1_9scan_implILNS1_25lookback_scan_determinismE0ELb0ELb0ES3_N6thrust23THRUST_200600_302600_NS6detail15normal_iteratorINS9_10device_ptrIjEEEESE_jNS9_4plusIvEEjEEDaPvRmT3_T4_T5_mT6_P12ihipStream_tbENKUlT_T0_E_clISt17integral_constantIbLb1EESU_EEDaSP_SQ_EUlSP_E0_NS1_11comp_targetILNS1_3genE0ELNS1_11target_archE4294967295ELNS1_3gpuE0ELNS1_3repE0EEENS1_30default_config_static_selectorELNS0_4arch9wavefront6targetE1EEEvT1_,comdat
.Lfunc_end4601:
	.size	_ZN7rocprim17ROCPRIM_400000_NS6detail17trampoline_kernelINS0_14default_configENS1_20scan_config_selectorIjEEZZNS1_9scan_implILNS1_25lookback_scan_determinismE0ELb0ELb0ES3_N6thrust23THRUST_200600_302600_NS6detail15normal_iteratorINS9_10device_ptrIjEEEESE_jNS9_4plusIvEEjEEDaPvRmT3_T4_T5_mT6_P12ihipStream_tbENKUlT_T0_E_clISt17integral_constantIbLb1EESU_EEDaSP_SQ_EUlSP_E0_NS1_11comp_targetILNS1_3genE0ELNS1_11target_archE4294967295ELNS1_3gpuE0ELNS1_3repE0EEENS1_30default_config_static_selectorELNS0_4arch9wavefront6targetE1EEEvT1_, .Lfunc_end4601-_ZN7rocprim17ROCPRIM_400000_NS6detail17trampoline_kernelINS0_14default_configENS1_20scan_config_selectorIjEEZZNS1_9scan_implILNS1_25lookback_scan_determinismE0ELb0ELb0ES3_N6thrust23THRUST_200600_302600_NS6detail15normal_iteratorINS9_10device_ptrIjEEEESE_jNS9_4plusIvEEjEEDaPvRmT3_T4_T5_mT6_P12ihipStream_tbENKUlT_T0_E_clISt17integral_constantIbLb1EESU_EEDaSP_SQ_EUlSP_E0_NS1_11comp_targetILNS1_3genE0ELNS1_11target_archE4294967295ELNS1_3gpuE0ELNS1_3repE0EEENS1_30default_config_static_selectorELNS0_4arch9wavefront6targetE1EEEvT1_
                                        ; -- End function
	.section	.AMDGPU.csdata,"",@progbits
; Kernel info:
; codeLenInByte = 0
; NumSgprs: 4
; NumVgprs: 0
; NumAgprs: 0
; TotalNumVgprs: 0
; ScratchSize: 0
; MemoryBound: 0
; FloatMode: 240
; IeeeMode: 1
; LDSByteSize: 0 bytes/workgroup (compile time only)
; SGPRBlocks: 0
; VGPRBlocks: 0
; NumSGPRsForWavesPerEU: 4
; NumVGPRsForWavesPerEU: 1
; AccumOffset: 4
; Occupancy: 8
; WaveLimiterHint : 0
; COMPUTE_PGM_RSRC2:SCRATCH_EN: 0
; COMPUTE_PGM_RSRC2:USER_SGPR: 6
; COMPUTE_PGM_RSRC2:TRAP_HANDLER: 0
; COMPUTE_PGM_RSRC2:TGID_X_EN: 1
; COMPUTE_PGM_RSRC2:TGID_Y_EN: 0
; COMPUTE_PGM_RSRC2:TGID_Z_EN: 0
; COMPUTE_PGM_RSRC2:TIDIG_COMP_CNT: 0
; COMPUTE_PGM_RSRC3_GFX90A:ACCUM_OFFSET: 0
; COMPUTE_PGM_RSRC3_GFX90A:TG_SPLIT: 0
	.section	.text._ZN7rocprim17ROCPRIM_400000_NS6detail17trampoline_kernelINS0_14default_configENS1_20scan_config_selectorIjEEZZNS1_9scan_implILNS1_25lookback_scan_determinismE0ELb0ELb0ES3_N6thrust23THRUST_200600_302600_NS6detail15normal_iteratorINS9_10device_ptrIjEEEESE_jNS9_4plusIvEEjEEDaPvRmT3_T4_T5_mT6_P12ihipStream_tbENKUlT_T0_E_clISt17integral_constantIbLb1EESU_EEDaSP_SQ_EUlSP_E0_NS1_11comp_targetILNS1_3genE5ELNS1_11target_archE942ELNS1_3gpuE9ELNS1_3repE0EEENS1_30default_config_static_selectorELNS0_4arch9wavefront6targetE1EEEvT1_,"axG",@progbits,_ZN7rocprim17ROCPRIM_400000_NS6detail17trampoline_kernelINS0_14default_configENS1_20scan_config_selectorIjEEZZNS1_9scan_implILNS1_25lookback_scan_determinismE0ELb0ELb0ES3_N6thrust23THRUST_200600_302600_NS6detail15normal_iteratorINS9_10device_ptrIjEEEESE_jNS9_4plusIvEEjEEDaPvRmT3_T4_T5_mT6_P12ihipStream_tbENKUlT_T0_E_clISt17integral_constantIbLb1EESU_EEDaSP_SQ_EUlSP_E0_NS1_11comp_targetILNS1_3genE5ELNS1_11target_archE942ELNS1_3gpuE9ELNS1_3repE0EEENS1_30default_config_static_selectorELNS0_4arch9wavefront6targetE1EEEvT1_,comdat
	.protected	_ZN7rocprim17ROCPRIM_400000_NS6detail17trampoline_kernelINS0_14default_configENS1_20scan_config_selectorIjEEZZNS1_9scan_implILNS1_25lookback_scan_determinismE0ELb0ELb0ES3_N6thrust23THRUST_200600_302600_NS6detail15normal_iteratorINS9_10device_ptrIjEEEESE_jNS9_4plusIvEEjEEDaPvRmT3_T4_T5_mT6_P12ihipStream_tbENKUlT_T0_E_clISt17integral_constantIbLb1EESU_EEDaSP_SQ_EUlSP_E0_NS1_11comp_targetILNS1_3genE5ELNS1_11target_archE942ELNS1_3gpuE9ELNS1_3repE0EEENS1_30default_config_static_selectorELNS0_4arch9wavefront6targetE1EEEvT1_ ; -- Begin function _ZN7rocprim17ROCPRIM_400000_NS6detail17trampoline_kernelINS0_14default_configENS1_20scan_config_selectorIjEEZZNS1_9scan_implILNS1_25lookback_scan_determinismE0ELb0ELb0ES3_N6thrust23THRUST_200600_302600_NS6detail15normal_iteratorINS9_10device_ptrIjEEEESE_jNS9_4plusIvEEjEEDaPvRmT3_T4_T5_mT6_P12ihipStream_tbENKUlT_T0_E_clISt17integral_constantIbLb1EESU_EEDaSP_SQ_EUlSP_E0_NS1_11comp_targetILNS1_3genE5ELNS1_11target_archE942ELNS1_3gpuE9ELNS1_3repE0EEENS1_30default_config_static_selectorELNS0_4arch9wavefront6targetE1EEEvT1_
	.globl	_ZN7rocprim17ROCPRIM_400000_NS6detail17trampoline_kernelINS0_14default_configENS1_20scan_config_selectorIjEEZZNS1_9scan_implILNS1_25lookback_scan_determinismE0ELb0ELb0ES3_N6thrust23THRUST_200600_302600_NS6detail15normal_iteratorINS9_10device_ptrIjEEEESE_jNS9_4plusIvEEjEEDaPvRmT3_T4_T5_mT6_P12ihipStream_tbENKUlT_T0_E_clISt17integral_constantIbLb1EESU_EEDaSP_SQ_EUlSP_E0_NS1_11comp_targetILNS1_3genE5ELNS1_11target_archE942ELNS1_3gpuE9ELNS1_3repE0EEENS1_30default_config_static_selectorELNS0_4arch9wavefront6targetE1EEEvT1_
	.p2align	8
	.type	_ZN7rocprim17ROCPRIM_400000_NS6detail17trampoline_kernelINS0_14default_configENS1_20scan_config_selectorIjEEZZNS1_9scan_implILNS1_25lookback_scan_determinismE0ELb0ELb0ES3_N6thrust23THRUST_200600_302600_NS6detail15normal_iteratorINS9_10device_ptrIjEEEESE_jNS9_4plusIvEEjEEDaPvRmT3_T4_T5_mT6_P12ihipStream_tbENKUlT_T0_E_clISt17integral_constantIbLb1EESU_EEDaSP_SQ_EUlSP_E0_NS1_11comp_targetILNS1_3genE5ELNS1_11target_archE942ELNS1_3gpuE9ELNS1_3repE0EEENS1_30default_config_static_selectorELNS0_4arch9wavefront6targetE1EEEvT1_,@function
_ZN7rocprim17ROCPRIM_400000_NS6detail17trampoline_kernelINS0_14default_configENS1_20scan_config_selectorIjEEZZNS1_9scan_implILNS1_25lookback_scan_determinismE0ELb0ELb0ES3_N6thrust23THRUST_200600_302600_NS6detail15normal_iteratorINS9_10device_ptrIjEEEESE_jNS9_4plusIvEEjEEDaPvRmT3_T4_T5_mT6_P12ihipStream_tbENKUlT_T0_E_clISt17integral_constantIbLb1EESU_EEDaSP_SQ_EUlSP_E0_NS1_11comp_targetILNS1_3genE5ELNS1_11target_archE942ELNS1_3gpuE9ELNS1_3repE0EEENS1_30default_config_static_selectorELNS0_4arch9wavefront6targetE1EEEvT1_: ; @_ZN7rocprim17ROCPRIM_400000_NS6detail17trampoline_kernelINS0_14default_configENS1_20scan_config_selectorIjEEZZNS1_9scan_implILNS1_25lookback_scan_determinismE0ELb0ELb0ES3_N6thrust23THRUST_200600_302600_NS6detail15normal_iteratorINS9_10device_ptrIjEEEESE_jNS9_4plusIvEEjEEDaPvRmT3_T4_T5_mT6_P12ihipStream_tbENKUlT_T0_E_clISt17integral_constantIbLb1EESU_EEDaSP_SQ_EUlSP_E0_NS1_11comp_targetILNS1_3genE5ELNS1_11target_archE942ELNS1_3gpuE9ELNS1_3repE0EEENS1_30default_config_static_selectorELNS0_4arch9wavefront6targetE1EEEvT1_
; %bb.0:
	.section	.rodata,"a",@progbits
	.p2align	6, 0x0
	.amdhsa_kernel _ZN7rocprim17ROCPRIM_400000_NS6detail17trampoline_kernelINS0_14default_configENS1_20scan_config_selectorIjEEZZNS1_9scan_implILNS1_25lookback_scan_determinismE0ELb0ELb0ES3_N6thrust23THRUST_200600_302600_NS6detail15normal_iteratorINS9_10device_ptrIjEEEESE_jNS9_4plusIvEEjEEDaPvRmT3_T4_T5_mT6_P12ihipStream_tbENKUlT_T0_E_clISt17integral_constantIbLb1EESU_EEDaSP_SQ_EUlSP_E0_NS1_11comp_targetILNS1_3genE5ELNS1_11target_archE942ELNS1_3gpuE9ELNS1_3repE0EEENS1_30default_config_static_selectorELNS0_4arch9wavefront6targetE1EEEvT1_
		.amdhsa_group_segment_fixed_size 0
		.amdhsa_private_segment_fixed_size 0
		.amdhsa_kernarg_size 32
		.amdhsa_user_sgpr_count 6
		.amdhsa_user_sgpr_private_segment_buffer 1
		.amdhsa_user_sgpr_dispatch_ptr 0
		.amdhsa_user_sgpr_queue_ptr 0
		.amdhsa_user_sgpr_kernarg_segment_ptr 1
		.amdhsa_user_sgpr_dispatch_id 0
		.amdhsa_user_sgpr_flat_scratch_init 0
		.amdhsa_user_sgpr_kernarg_preload_length 0
		.amdhsa_user_sgpr_kernarg_preload_offset 0
		.amdhsa_user_sgpr_private_segment_size 0
		.amdhsa_uses_dynamic_stack 0
		.amdhsa_system_sgpr_private_segment_wavefront_offset 0
		.amdhsa_system_sgpr_workgroup_id_x 1
		.amdhsa_system_sgpr_workgroup_id_y 0
		.amdhsa_system_sgpr_workgroup_id_z 0
		.amdhsa_system_sgpr_workgroup_info 0
		.amdhsa_system_vgpr_workitem_id 0
		.amdhsa_next_free_vgpr 1
		.amdhsa_next_free_sgpr 0
		.amdhsa_accum_offset 4
		.amdhsa_reserve_vcc 0
		.amdhsa_reserve_flat_scratch 0
		.amdhsa_float_round_mode_32 0
		.amdhsa_float_round_mode_16_64 0
		.amdhsa_float_denorm_mode_32 3
		.amdhsa_float_denorm_mode_16_64 3
		.amdhsa_dx10_clamp 1
		.amdhsa_ieee_mode 1
		.amdhsa_fp16_overflow 0
		.amdhsa_tg_split 0
		.amdhsa_exception_fp_ieee_invalid_op 0
		.amdhsa_exception_fp_denorm_src 0
		.amdhsa_exception_fp_ieee_div_zero 0
		.amdhsa_exception_fp_ieee_overflow 0
		.amdhsa_exception_fp_ieee_underflow 0
		.amdhsa_exception_fp_ieee_inexact 0
		.amdhsa_exception_int_div_zero 0
	.end_amdhsa_kernel
	.section	.text._ZN7rocprim17ROCPRIM_400000_NS6detail17trampoline_kernelINS0_14default_configENS1_20scan_config_selectorIjEEZZNS1_9scan_implILNS1_25lookback_scan_determinismE0ELb0ELb0ES3_N6thrust23THRUST_200600_302600_NS6detail15normal_iteratorINS9_10device_ptrIjEEEESE_jNS9_4plusIvEEjEEDaPvRmT3_T4_T5_mT6_P12ihipStream_tbENKUlT_T0_E_clISt17integral_constantIbLb1EESU_EEDaSP_SQ_EUlSP_E0_NS1_11comp_targetILNS1_3genE5ELNS1_11target_archE942ELNS1_3gpuE9ELNS1_3repE0EEENS1_30default_config_static_selectorELNS0_4arch9wavefront6targetE1EEEvT1_,"axG",@progbits,_ZN7rocprim17ROCPRIM_400000_NS6detail17trampoline_kernelINS0_14default_configENS1_20scan_config_selectorIjEEZZNS1_9scan_implILNS1_25lookback_scan_determinismE0ELb0ELb0ES3_N6thrust23THRUST_200600_302600_NS6detail15normal_iteratorINS9_10device_ptrIjEEEESE_jNS9_4plusIvEEjEEDaPvRmT3_T4_T5_mT6_P12ihipStream_tbENKUlT_T0_E_clISt17integral_constantIbLb1EESU_EEDaSP_SQ_EUlSP_E0_NS1_11comp_targetILNS1_3genE5ELNS1_11target_archE942ELNS1_3gpuE9ELNS1_3repE0EEENS1_30default_config_static_selectorELNS0_4arch9wavefront6targetE1EEEvT1_,comdat
.Lfunc_end4602:
	.size	_ZN7rocprim17ROCPRIM_400000_NS6detail17trampoline_kernelINS0_14default_configENS1_20scan_config_selectorIjEEZZNS1_9scan_implILNS1_25lookback_scan_determinismE0ELb0ELb0ES3_N6thrust23THRUST_200600_302600_NS6detail15normal_iteratorINS9_10device_ptrIjEEEESE_jNS9_4plusIvEEjEEDaPvRmT3_T4_T5_mT6_P12ihipStream_tbENKUlT_T0_E_clISt17integral_constantIbLb1EESU_EEDaSP_SQ_EUlSP_E0_NS1_11comp_targetILNS1_3genE5ELNS1_11target_archE942ELNS1_3gpuE9ELNS1_3repE0EEENS1_30default_config_static_selectorELNS0_4arch9wavefront6targetE1EEEvT1_, .Lfunc_end4602-_ZN7rocprim17ROCPRIM_400000_NS6detail17trampoline_kernelINS0_14default_configENS1_20scan_config_selectorIjEEZZNS1_9scan_implILNS1_25lookback_scan_determinismE0ELb0ELb0ES3_N6thrust23THRUST_200600_302600_NS6detail15normal_iteratorINS9_10device_ptrIjEEEESE_jNS9_4plusIvEEjEEDaPvRmT3_T4_T5_mT6_P12ihipStream_tbENKUlT_T0_E_clISt17integral_constantIbLb1EESU_EEDaSP_SQ_EUlSP_E0_NS1_11comp_targetILNS1_3genE5ELNS1_11target_archE942ELNS1_3gpuE9ELNS1_3repE0EEENS1_30default_config_static_selectorELNS0_4arch9wavefront6targetE1EEEvT1_
                                        ; -- End function
	.section	.AMDGPU.csdata,"",@progbits
; Kernel info:
; codeLenInByte = 0
; NumSgprs: 4
; NumVgprs: 0
; NumAgprs: 0
; TotalNumVgprs: 0
; ScratchSize: 0
; MemoryBound: 0
; FloatMode: 240
; IeeeMode: 1
; LDSByteSize: 0 bytes/workgroup (compile time only)
; SGPRBlocks: 0
; VGPRBlocks: 0
; NumSGPRsForWavesPerEU: 4
; NumVGPRsForWavesPerEU: 1
; AccumOffset: 4
; Occupancy: 8
; WaveLimiterHint : 0
; COMPUTE_PGM_RSRC2:SCRATCH_EN: 0
; COMPUTE_PGM_RSRC2:USER_SGPR: 6
; COMPUTE_PGM_RSRC2:TRAP_HANDLER: 0
; COMPUTE_PGM_RSRC2:TGID_X_EN: 1
; COMPUTE_PGM_RSRC2:TGID_Y_EN: 0
; COMPUTE_PGM_RSRC2:TGID_Z_EN: 0
; COMPUTE_PGM_RSRC2:TIDIG_COMP_CNT: 0
; COMPUTE_PGM_RSRC3_GFX90A:ACCUM_OFFSET: 0
; COMPUTE_PGM_RSRC3_GFX90A:TG_SPLIT: 0
	.section	.text._ZN7rocprim17ROCPRIM_400000_NS6detail17trampoline_kernelINS0_14default_configENS1_20scan_config_selectorIjEEZZNS1_9scan_implILNS1_25lookback_scan_determinismE0ELb0ELb0ES3_N6thrust23THRUST_200600_302600_NS6detail15normal_iteratorINS9_10device_ptrIjEEEESE_jNS9_4plusIvEEjEEDaPvRmT3_T4_T5_mT6_P12ihipStream_tbENKUlT_T0_E_clISt17integral_constantIbLb1EESU_EEDaSP_SQ_EUlSP_E0_NS1_11comp_targetILNS1_3genE4ELNS1_11target_archE910ELNS1_3gpuE8ELNS1_3repE0EEENS1_30default_config_static_selectorELNS0_4arch9wavefront6targetE1EEEvT1_,"axG",@progbits,_ZN7rocprim17ROCPRIM_400000_NS6detail17trampoline_kernelINS0_14default_configENS1_20scan_config_selectorIjEEZZNS1_9scan_implILNS1_25lookback_scan_determinismE0ELb0ELb0ES3_N6thrust23THRUST_200600_302600_NS6detail15normal_iteratorINS9_10device_ptrIjEEEESE_jNS9_4plusIvEEjEEDaPvRmT3_T4_T5_mT6_P12ihipStream_tbENKUlT_T0_E_clISt17integral_constantIbLb1EESU_EEDaSP_SQ_EUlSP_E0_NS1_11comp_targetILNS1_3genE4ELNS1_11target_archE910ELNS1_3gpuE8ELNS1_3repE0EEENS1_30default_config_static_selectorELNS0_4arch9wavefront6targetE1EEEvT1_,comdat
	.protected	_ZN7rocprim17ROCPRIM_400000_NS6detail17trampoline_kernelINS0_14default_configENS1_20scan_config_selectorIjEEZZNS1_9scan_implILNS1_25lookback_scan_determinismE0ELb0ELb0ES3_N6thrust23THRUST_200600_302600_NS6detail15normal_iteratorINS9_10device_ptrIjEEEESE_jNS9_4plusIvEEjEEDaPvRmT3_T4_T5_mT6_P12ihipStream_tbENKUlT_T0_E_clISt17integral_constantIbLb1EESU_EEDaSP_SQ_EUlSP_E0_NS1_11comp_targetILNS1_3genE4ELNS1_11target_archE910ELNS1_3gpuE8ELNS1_3repE0EEENS1_30default_config_static_selectorELNS0_4arch9wavefront6targetE1EEEvT1_ ; -- Begin function _ZN7rocprim17ROCPRIM_400000_NS6detail17trampoline_kernelINS0_14default_configENS1_20scan_config_selectorIjEEZZNS1_9scan_implILNS1_25lookback_scan_determinismE0ELb0ELb0ES3_N6thrust23THRUST_200600_302600_NS6detail15normal_iteratorINS9_10device_ptrIjEEEESE_jNS9_4plusIvEEjEEDaPvRmT3_T4_T5_mT6_P12ihipStream_tbENKUlT_T0_E_clISt17integral_constantIbLb1EESU_EEDaSP_SQ_EUlSP_E0_NS1_11comp_targetILNS1_3genE4ELNS1_11target_archE910ELNS1_3gpuE8ELNS1_3repE0EEENS1_30default_config_static_selectorELNS0_4arch9wavefront6targetE1EEEvT1_
	.globl	_ZN7rocprim17ROCPRIM_400000_NS6detail17trampoline_kernelINS0_14default_configENS1_20scan_config_selectorIjEEZZNS1_9scan_implILNS1_25lookback_scan_determinismE0ELb0ELb0ES3_N6thrust23THRUST_200600_302600_NS6detail15normal_iteratorINS9_10device_ptrIjEEEESE_jNS9_4plusIvEEjEEDaPvRmT3_T4_T5_mT6_P12ihipStream_tbENKUlT_T0_E_clISt17integral_constantIbLb1EESU_EEDaSP_SQ_EUlSP_E0_NS1_11comp_targetILNS1_3genE4ELNS1_11target_archE910ELNS1_3gpuE8ELNS1_3repE0EEENS1_30default_config_static_selectorELNS0_4arch9wavefront6targetE1EEEvT1_
	.p2align	8
	.type	_ZN7rocprim17ROCPRIM_400000_NS6detail17trampoline_kernelINS0_14default_configENS1_20scan_config_selectorIjEEZZNS1_9scan_implILNS1_25lookback_scan_determinismE0ELb0ELb0ES3_N6thrust23THRUST_200600_302600_NS6detail15normal_iteratorINS9_10device_ptrIjEEEESE_jNS9_4plusIvEEjEEDaPvRmT3_T4_T5_mT6_P12ihipStream_tbENKUlT_T0_E_clISt17integral_constantIbLb1EESU_EEDaSP_SQ_EUlSP_E0_NS1_11comp_targetILNS1_3genE4ELNS1_11target_archE910ELNS1_3gpuE8ELNS1_3repE0EEENS1_30default_config_static_selectorELNS0_4arch9wavefront6targetE1EEEvT1_,@function
_ZN7rocprim17ROCPRIM_400000_NS6detail17trampoline_kernelINS0_14default_configENS1_20scan_config_selectorIjEEZZNS1_9scan_implILNS1_25lookback_scan_determinismE0ELb0ELb0ES3_N6thrust23THRUST_200600_302600_NS6detail15normal_iteratorINS9_10device_ptrIjEEEESE_jNS9_4plusIvEEjEEDaPvRmT3_T4_T5_mT6_P12ihipStream_tbENKUlT_T0_E_clISt17integral_constantIbLb1EESU_EEDaSP_SQ_EUlSP_E0_NS1_11comp_targetILNS1_3genE4ELNS1_11target_archE910ELNS1_3gpuE8ELNS1_3repE0EEENS1_30default_config_static_selectorELNS0_4arch9wavefront6targetE1EEEvT1_: ; @_ZN7rocprim17ROCPRIM_400000_NS6detail17trampoline_kernelINS0_14default_configENS1_20scan_config_selectorIjEEZZNS1_9scan_implILNS1_25lookback_scan_determinismE0ELb0ELb0ES3_N6thrust23THRUST_200600_302600_NS6detail15normal_iteratorINS9_10device_ptrIjEEEESE_jNS9_4plusIvEEjEEDaPvRmT3_T4_T5_mT6_P12ihipStream_tbENKUlT_T0_E_clISt17integral_constantIbLb1EESU_EEDaSP_SQ_EUlSP_E0_NS1_11comp_targetILNS1_3genE4ELNS1_11target_archE910ELNS1_3gpuE8ELNS1_3repE0EEENS1_30default_config_static_selectorELNS0_4arch9wavefront6targetE1EEEvT1_
; %bb.0:
	s_load_dwordx4 s[20:23], s[4:5], 0x0
	v_lshlrev_b32_e32 v20, 2, v0
	s_waitcnt lgkmcnt(0)
	s_load_dword s23, s[20:21], 0x0
	v_cmp_gt_u32_e32 vcc, s22, v0
	s_waitcnt lgkmcnt(0)
	v_mov_b32_e32 v1, s23
	s_and_saveexec_b64 s[0:1], vcc
	s_cbranch_execz .LBB4603_2
; %bb.1:
	global_load_dword v1, v20, s[20:21]
.LBB4603_2:
	s_or_b64 exec, exec, s[0:1]
	v_or_b32_e32 v2, 0x80, v0
	v_cmp_gt_u32_e64 s[0:1], s22, v2
	v_mov_b32_e32 v2, s23
	s_and_saveexec_b64 s[2:3], s[0:1]
	s_cbranch_execz .LBB4603_4
; %bb.3:
	global_load_dword v2, v20, s[20:21] offset:512
.LBB4603_4:
	s_or_b64 exec, exec, s[2:3]
	v_or_b32_e32 v3, 0x100, v0
	v_cmp_gt_u32_e64 s[2:3], s22, v3
	v_mov_b32_e32 v3, s23
	s_and_saveexec_b64 s[6:7], s[2:3]
	s_cbranch_execz .LBB4603_6
; %bb.5:
	global_load_dword v3, v20, s[20:21] offset:1024
.LBB4603_6:
	;; [unrolled: 9-line block ×7, first 2 shown]
	s_or_b64 exec, exec, s[14:15]
	v_or_b32_e32 v10, 0x400, v0
	v_cmp_gt_u32_e64 s[14:15], s22, v10
	v_mov_b32_e32 v9, s23
	s_and_saveexec_b64 s[16:17], s[14:15]
	s_cbranch_execz .LBB4603_18
; %bb.17:
	v_lshlrev_b32_e32 v9, 2, v10
	global_load_dword v9, v9, s[20:21]
.LBB4603_18:
	s_or_b64 exec, exec, s[16:17]
	v_or_b32_e32 v11, 0x480, v0
	v_cmp_gt_u32_e64 s[16:17], s22, v11
	v_mov_b32_e32 v10, s23
	s_and_saveexec_b64 s[22:23], s[16:17]
	s_cbranch_execz .LBB4603_20
; %bb.19:
	v_lshlrev_b32_e32 v10, 2, v11
	global_load_dword v10, v10, s[20:21]
.LBB4603_20:
	s_or_b64 exec, exec, s[22:23]
	s_waitcnt vmcnt(0)
	ds_write2st64_b32 v20, v1, v2 offset1:2
	ds_write2st64_b32 v20, v3, v4 offset0:4 offset1:6
	ds_write2st64_b32 v20, v5, v6 offset0:8 offset1:10
	;; [unrolled: 1-line block ×4, first 2 shown]
	v_mad_u32_u24 v1, v0, 36, v20
	s_waitcnt lgkmcnt(0)
	s_barrier
	ds_read2_b64 v[6:9], v1 offset1:1
	ds_read2_b64 v[2:5], v1 offset0:2 offset1:3
	ds_read_b64 v[18:19], v1 offset:32
	v_lshrrev_b32_e32 v21, 3, v0
	v_and_b32_e32 v21, 12, v21
	s_waitcnt lgkmcnt(2)
	v_add_u32_e32 v1, v7, v6
	v_add_u32_e32 v14, v1, v8
	;; [unrolled: 1-line block ×3, first 2 shown]
	s_waitcnt lgkmcnt(1)
	v_add_u32_e32 v10, v15, v2
	v_add_u32_e32 v11, v10, v3
	;; [unrolled: 1-line block ×4, first 2 shown]
	s_waitcnt lgkmcnt(0)
	v_add_u32_e32 v16, v13, v18
	v_add_u32_e32 v17, v16, v19
	;; [unrolled: 1-line block ×3, first 2 shown]
	v_cmp_gt_u32_e64 s[20:21], 64, v0
	s_barrier
	ds_write_b32 v21, v17
	s_waitcnt lgkmcnt(0)
	s_barrier
	s_and_saveexec_b64 s[22:23], s[20:21]
	s_cbranch_execz .LBB4603_22
; %bb.21:
	v_lshlrev_b32_e32 v21, 1, v0
	v_lshrrev_b32_e32 v22, 4, v0
	v_add_lshl_u32 v21, v22, v21, 2
	ds_read2_b32 v[22:23], v21 offset1:1
	v_mbcnt_lo_u32_b32 v24, -1, 0
	v_mbcnt_hi_u32_b32 v24, -1, v24
	v_and_b32_e32 v25, 15, v24
	v_cmp_ne_u32_e64 s[20:21], 0, v25
	s_waitcnt lgkmcnt(0)
	v_add_u32_e32 v23, v23, v22
	; wave barrier
	s_nop 1
	v_mov_b32_dpp v26, v23 row_shr:1 row_mask:0xf bank_mask:0xf
	v_cndmask_b32_e64 v26, 0, v26, s[20:21]
	v_add_u32_e32 v23, v26, v23
	v_cmp_lt_u32_e64 s[20:21], 1, v25
	s_nop 0
	v_mov_b32_dpp v26, v23 row_shr:2 row_mask:0xf bank_mask:0xf
	v_cndmask_b32_e64 v26, 0, v26, s[20:21]
	v_add_u32_e32 v23, v23, v26
	v_cmp_lt_u32_e64 s[20:21], 3, v25
	;; [unrolled: 5-line block ×3, first 2 shown]
	s_nop 0
	v_mov_b32_dpp v26, v23 row_shr:8 row_mask:0xf bank_mask:0xf
	v_cndmask_b32_e64 v25, 0, v26, s[20:21]
	v_add_u32_e32 v23, v23, v25
	v_bfe_i32 v26, v24, 4, 1
	v_cmp_lt_u32_e64 s[20:21], 31, v24
	v_mov_b32_dpp v25, v23 row_bcast:15 row_mask:0xf bank_mask:0xf
	v_and_b32_e32 v25, v26, v25
	v_add_u32_e32 v23, v23, v25
	v_and_b32_e32 v26, 64, v24
	s_nop 0
	v_mov_b32_dpp v25, v23 row_bcast:31 row_mask:0xf bank_mask:0xf
	v_cndmask_b32_e64 v25, 0, v25, s[20:21]
	v_add_u32_e32 v23, v23, v25
	v_add_u32_e32 v25, -1, v24
	v_cmp_lt_i32_e64 s[20:21], v25, v26
	v_cndmask_b32_e64 v24, v25, v24, s[20:21]
	v_lshlrev_b32_e32 v24, 2, v24
	ds_bpermute_b32 v23, v24, v23
	v_cmp_eq_u32_e64 s[20:21], 0, v0
	s_waitcnt lgkmcnt(0)
	v_add_u32_e32 v22, v23, v22
	v_cndmask_b32_e64 v22, v22, v17, s[20:21]
	ds_write_b32 v21, v22
	; wave barrier
	ds_read_b32 v23, v21 offset:4
	s_waitcnt lgkmcnt(0)
	v_add_u32_e32 v22, v23, v22
	ds_write_b32 v21, v22 offset:4
.LBB4603_22:
	s_or_b64 exec, exec, s[22:23]
	s_load_dwordx2 s[20:21], s[4:5], 0x18
	v_cmp_ne_u32_e64 s[4:5], 0, v0
	v_mov_b32_e32 v22, v17
	s_waitcnt lgkmcnt(0)
	s_barrier
	s_and_saveexec_b64 s[22:23], s[4:5]
	s_cbranch_execz .LBB4603_24
; %bb.23:
	v_add_u32_e32 v21, -1, v0
	v_lshrrev_b32_e32 v22, 5, v21
	v_add_lshl_u32 v21, v22, v21, 2
	ds_read_b32 v22, v21
.LBB4603_24:
	s_or_b64 exec, exec, s[22:23]
	v_mul_u32_u24_e32 v21, 36, v0
	v_mov_b32_e32 v0, v6
	s_and_saveexec_b64 s[22:23], s[4:5]
	s_cbranch_execz .LBB4603_26
; %bb.25:
	s_waitcnt lgkmcnt(0)
	v_add_u32_e32 v0, v22, v6
	v_add_u32_e32 v1, v0, v7
	;; [unrolled: 1-line block ×10, first 2 shown]
	;;#ASMSTART
	;;#ASMEND
.LBB4603_26:
	s_or_b64 exec, exec, s[22:23]
	v_add_u32_e32 v2, v20, v21
	s_waitcnt lgkmcnt(0)
	s_barrier
	ds_write2_b64 v2, v[0:1], v[14:15] offset1:1
	ds_write2_b64 v2, v[10:11], v[12:13] offset0:2 offset1:3
	ds_write_b64 v2, v[16:17] offset:32
	s_waitcnt lgkmcnt(0)
	s_barrier
	ds_read2st64_b32 v[8:9], v20 offset0:2 offset1:4
	ds_read2st64_b32 v[6:7], v20 offset0:6 offset1:8
	ds_read2st64_b32 v[4:5], v20 offset0:10 offset1:12
	ds_read2st64_b32 v[2:3], v20 offset0:14 offset1:16
	ds_read_b32 v10, v20 offset:4608
	v_mov_b32_e32 v1, s21
	v_add_co_u32_e64 v0, s[4:5], s20, v20
	v_addc_co_u32_e64 v1, s[4:5], 0, v1, s[4:5]
	s_and_saveexec_b64 s[4:5], vcc
	s_cbranch_execnz .LBB4603_37
; %bb.27:
	s_or_b64 exec, exec, s[4:5]
	s_and_saveexec_b64 s[4:5], s[0:1]
	s_cbranch_execnz .LBB4603_38
.LBB4603_28:
	s_or_b64 exec, exec, s[4:5]
	s_and_saveexec_b64 s[0:1], s[2:3]
	s_cbranch_execnz .LBB4603_39
.LBB4603_29:
	s_or_b64 exec, exec, s[0:1]
	s_and_saveexec_b64 s[0:1], s[18:19]
	s_cbranch_execnz .LBB4603_40
.LBB4603_30:
	s_or_b64 exec, exec, s[0:1]
	s_and_saveexec_b64 s[0:1], s[6:7]
	s_cbranch_execnz .LBB4603_41
.LBB4603_31:
	s_or_b64 exec, exec, s[0:1]
	s_and_saveexec_b64 s[0:1], s[8:9]
	s_cbranch_execnz .LBB4603_42
.LBB4603_32:
	s_or_b64 exec, exec, s[0:1]
	s_and_saveexec_b64 s[0:1], s[10:11]
	s_cbranch_execnz .LBB4603_43
.LBB4603_33:
	s_or_b64 exec, exec, s[0:1]
	s_and_saveexec_b64 s[0:1], s[12:13]
	s_cbranch_execnz .LBB4603_44
.LBB4603_34:
	s_or_b64 exec, exec, s[0:1]
	s_and_saveexec_b64 s[0:1], s[14:15]
	s_cbranch_execnz .LBB4603_45
.LBB4603_35:
	s_or_b64 exec, exec, s[0:1]
	s_and_saveexec_b64 s[0:1], s[16:17]
	s_cbranch_execnz .LBB4603_46
.LBB4603_36:
	s_endpgm
.LBB4603_37:
	ds_read_b32 v11, v20
	s_waitcnt lgkmcnt(0)
	global_store_dword v[0:1], v11, off
	s_or_b64 exec, exec, s[4:5]
	s_and_saveexec_b64 s[4:5], s[0:1]
	s_cbranch_execz .LBB4603_28
.LBB4603_38:
	s_waitcnt lgkmcnt(4)
	global_store_dword v[0:1], v8, off offset:512
	s_or_b64 exec, exec, s[4:5]
	s_and_saveexec_b64 s[0:1], s[2:3]
	s_cbranch_execz .LBB4603_29
.LBB4603_39:
	s_waitcnt lgkmcnt(4)
	global_store_dword v[0:1], v9, off offset:1024
	s_or_b64 exec, exec, s[0:1]
	s_and_saveexec_b64 s[0:1], s[18:19]
	s_cbranch_execz .LBB4603_30
.LBB4603_40:
	s_waitcnt lgkmcnt(3)
	global_store_dword v[0:1], v6, off offset:1536
	s_or_b64 exec, exec, s[0:1]
	s_and_saveexec_b64 s[0:1], s[6:7]
	s_cbranch_execz .LBB4603_31
.LBB4603_41:
	s_waitcnt lgkmcnt(3)
	global_store_dword v[0:1], v7, off offset:2048
	s_or_b64 exec, exec, s[0:1]
	s_and_saveexec_b64 s[0:1], s[8:9]
	s_cbranch_execz .LBB4603_32
.LBB4603_42:
	s_waitcnt lgkmcnt(2)
	global_store_dword v[0:1], v4, off offset:2560
	s_or_b64 exec, exec, s[0:1]
	s_and_saveexec_b64 s[0:1], s[10:11]
	s_cbranch_execz .LBB4603_33
.LBB4603_43:
	s_waitcnt lgkmcnt(2)
	global_store_dword v[0:1], v5, off offset:3072
	s_or_b64 exec, exec, s[0:1]
	s_and_saveexec_b64 s[0:1], s[12:13]
	s_cbranch_execz .LBB4603_34
.LBB4603_44:
	s_waitcnt lgkmcnt(1)
	global_store_dword v[0:1], v2, off offset:3584
	s_or_b64 exec, exec, s[0:1]
	s_and_saveexec_b64 s[0:1], s[14:15]
	s_cbranch_execz .LBB4603_35
.LBB4603_45:
	s_waitcnt lgkmcnt(2)
	v_add_co_u32_e32 v4, vcc, 0x1000, v0
	v_addc_co_u32_e32 v5, vcc, 0, v1, vcc
	s_waitcnt lgkmcnt(1)
	global_store_dword v[4:5], v3, off
	s_or_b64 exec, exec, s[0:1]
	s_and_saveexec_b64 s[0:1], s[16:17]
	s_cbranch_execz .LBB4603_36
.LBB4603_46:
	v_add_co_u32_e32 v0, vcc, 0x1000, v0
	v_addc_co_u32_e32 v1, vcc, 0, v1, vcc
	s_waitcnt lgkmcnt(0)
	global_store_dword v[0:1], v10, off offset:512
	s_endpgm
	.section	.rodata,"a",@progbits
	.p2align	6, 0x0
	.amdhsa_kernel _ZN7rocprim17ROCPRIM_400000_NS6detail17trampoline_kernelINS0_14default_configENS1_20scan_config_selectorIjEEZZNS1_9scan_implILNS1_25lookback_scan_determinismE0ELb0ELb0ES3_N6thrust23THRUST_200600_302600_NS6detail15normal_iteratorINS9_10device_ptrIjEEEESE_jNS9_4plusIvEEjEEDaPvRmT3_T4_T5_mT6_P12ihipStream_tbENKUlT_T0_E_clISt17integral_constantIbLb1EESU_EEDaSP_SQ_EUlSP_E0_NS1_11comp_targetILNS1_3genE4ELNS1_11target_archE910ELNS1_3gpuE8ELNS1_3repE0EEENS1_30default_config_static_selectorELNS0_4arch9wavefront6targetE1EEEvT1_
		.amdhsa_group_segment_fixed_size 5120
		.amdhsa_private_segment_fixed_size 0
		.amdhsa_kernarg_size 32
		.amdhsa_user_sgpr_count 6
		.amdhsa_user_sgpr_private_segment_buffer 1
		.amdhsa_user_sgpr_dispatch_ptr 0
		.amdhsa_user_sgpr_queue_ptr 0
		.amdhsa_user_sgpr_kernarg_segment_ptr 1
		.amdhsa_user_sgpr_dispatch_id 0
		.amdhsa_user_sgpr_flat_scratch_init 0
		.amdhsa_user_sgpr_kernarg_preload_length 0
		.amdhsa_user_sgpr_kernarg_preload_offset 0
		.amdhsa_user_sgpr_private_segment_size 0
		.amdhsa_uses_dynamic_stack 0
		.amdhsa_system_sgpr_private_segment_wavefront_offset 0
		.amdhsa_system_sgpr_workgroup_id_x 1
		.amdhsa_system_sgpr_workgroup_id_y 0
		.amdhsa_system_sgpr_workgroup_id_z 0
		.amdhsa_system_sgpr_workgroup_info 0
		.amdhsa_system_vgpr_workitem_id 0
		.amdhsa_next_free_vgpr 27
		.amdhsa_next_free_sgpr 24
		.amdhsa_accum_offset 28
		.amdhsa_reserve_vcc 1
		.amdhsa_reserve_flat_scratch 0
		.amdhsa_float_round_mode_32 0
		.amdhsa_float_round_mode_16_64 0
		.amdhsa_float_denorm_mode_32 3
		.amdhsa_float_denorm_mode_16_64 3
		.amdhsa_dx10_clamp 1
		.amdhsa_ieee_mode 1
		.amdhsa_fp16_overflow 0
		.amdhsa_tg_split 0
		.amdhsa_exception_fp_ieee_invalid_op 0
		.amdhsa_exception_fp_denorm_src 0
		.amdhsa_exception_fp_ieee_div_zero 0
		.amdhsa_exception_fp_ieee_overflow 0
		.amdhsa_exception_fp_ieee_underflow 0
		.amdhsa_exception_fp_ieee_inexact 0
		.amdhsa_exception_int_div_zero 0
	.end_amdhsa_kernel
	.section	.text._ZN7rocprim17ROCPRIM_400000_NS6detail17trampoline_kernelINS0_14default_configENS1_20scan_config_selectorIjEEZZNS1_9scan_implILNS1_25lookback_scan_determinismE0ELb0ELb0ES3_N6thrust23THRUST_200600_302600_NS6detail15normal_iteratorINS9_10device_ptrIjEEEESE_jNS9_4plusIvEEjEEDaPvRmT3_T4_T5_mT6_P12ihipStream_tbENKUlT_T0_E_clISt17integral_constantIbLb1EESU_EEDaSP_SQ_EUlSP_E0_NS1_11comp_targetILNS1_3genE4ELNS1_11target_archE910ELNS1_3gpuE8ELNS1_3repE0EEENS1_30default_config_static_selectorELNS0_4arch9wavefront6targetE1EEEvT1_,"axG",@progbits,_ZN7rocprim17ROCPRIM_400000_NS6detail17trampoline_kernelINS0_14default_configENS1_20scan_config_selectorIjEEZZNS1_9scan_implILNS1_25lookback_scan_determinismE0ELb0ELb0ES3_N6thrust23THRUST_200600_302600_NS6detail15normal_iteratorINS9_10device_ptrIjEEEESE_jNS9_4plusIvEEjEEDaPvRmT3_T4_T5_mT6_P12ihipStream_tbENKUlT_T0_E_clISt17integral_constantIbLb1EESU_EEDaSP_SQ_EUlSP_E0_NS1_11comp_targetILNS1_3genE4ELNS1_11target_archE910ELNS1_3gpuE8ELNS1_3repE0EEENS1_30default_config_static_selectorELNS0_4arch9wavefront6targetE1EEEvT1_,comdat
.Lfunc_end4603:
	.size	_ZN7rocprim17ROCPRIM_400000_NS6detail17trampoline_kernelINS0_14default_configENS1_20scan_config_selectorIjEEZZNS1_9scan_implILNS1_25lookback_scan_determinismE0ELb0ELb0ES3_N6thrust23THRUST_200600_302600_NS6detail15normal_iteratorINS9_10device_ptrIjEEEESE_jNS9_4plusIvEEjEEDaPvRmT3_T4_T5_mT6_P12ihipStream_tbENKUlT_T0_E_clISt17integral_constantIbLb1EESU_EEDaSP_SQ_EUlSP_E0_NS1_11comp_targetILNS1_3genE4ELNS1_11target_archE910ELNS1_3gpuE8ELNS1_3repE0EEENS1_30default_config_static_selectorELNS0_4arch9wavefront6targetE1EEEvT1_, .Lfunc_end4603-_ZN7rocprim17ROCPRIM_400000_NS6detail17trampoline_kernelINS0_14default_configENS1_20scan_config_selectorIjEEZZNS1_9scan_implILNS1_25lookback_scan_determinismE0ELb0ELb0ES3_N6thrust23THRUST_200600_302600_NS6detail15normal_iteratorINS9_10device_ptrIjEEEESE_jNS9_4plusIvEEjEEDaPvRmT3_T4_T5_mT6_P12ihipStream_tbENKUlT_T0_E_clISt17integral_constantIbLb1EESU_EEDaSP_SQ_EUlSP_E0_NS1_11comp_targetILNS1_3genE4ELNS1_11target_archE910ELNS1_3gpuE8ELNS1_3repE0EEENS1_30default_config_static_selectorELNS0_4arch9wavefront6targetE1EEEvT1_
                                        ; -- End function
	.section	.AMDGPU.csdata,"",@progbits
; Kernel info:
; codeLenInByte = 1556
; NumSgprs: 28
; NumVgprs: 27
; NumAgprs: 0
; TotalNumVgprs: 27
; ScratchSize: 0
; MemoryBound: 0
; FloatMode: 240
; IeeeMode: 1
; LDSByteSize: 5120 bytes/workgroup (compile time only)
; SGPRBlocks: 3
; VGPRBlocks: 3
; NumSGPRsForWavesPerEU: 28
; NumVGPRsForWavesPerEU: 27
; AccumOffset: 28
; Occupancy: 6
; WaveLimiterHint : 0
; COMPUTE_PGM_RSRC2:SCRATCH_EN: 0
; COMPUTE_PGM_RSRC2:USER_SGPR: 6
; COMPUTE_PGM_RSRC2:TRAP_HANDLER: 0
; COMPUTE_PGM_RSRC2:TGID_X_EN: 1
; COMPUTE_PGM_RSRC2:TGID_Y_EN: 0
; COMPUTE_PGM_RSRC2:TGID_Z_EN: 0
; COMPUTE_PGM_RSRC2:TIDIG_COMP_CNT: 0
; COMPUTE_PGM_RSRC3_GFX90A:ACCUM_OFFSET: 6
; COMPUTE_PGM_RSRC3_GFX90A:TG_SPLIT: 0
	.section	.text._ZN7rocprim17ROCPRIM_400000_NS6detail17trampoline_kernelINS0_14default_configENS1_20scan_config_selectorIjEEZZNS1_9scan_implILNS1_25lookback_scan_determinismE0ELb0ELb0ES3_N6thrust23THRUST_200600_302600_NS6detail15normal_iteratorINS9_10device_ptrIjEEEESE_jNS9_4plusIvEEjEEDaPvRmT3_T4_T5_mT6_P12ihipStream_tbENKUlT_T0_E_clISt17integral_constantIbLb1EESU_EEDaSP_SQ_EUlSP_E0_NS1_11comp_targetILNS1_3genE3ELNS1_11target_archE908ELNS1_3gpuE7ELNS1_3repE0EEENS1_30default_config_static_selectorELNS0_4arch9wavefront6targetE1EEEvT1_,"axG",@progbits,_ZN7rocprim17ROCPRIM_400000_NS6detail17trampoline_kernelINS0_14default_configENS1_20scan_config_selectorIjEEZZNS1_9scan_implILNS1_25lookback_scan_determinismE0ELb0ELb0ES3_N6thrust23THRUST_200600_302600_NS6detail15normal_iteratorINS9_10device_ptrIjEEEESE_jNS9_4plusIvEEjEEDaPvRmT3_T4_T5_mT6_P12ihipStream_tbENKUlT_T0_E_clISt17integral_constantIbLb1EESU_EEDaSP_SQ_EUlSP_E0_NS1_11comp_targetILNS1_3genE3ELNS1_11target_archE908ELNS1_3gpuE7ELNS1_3repE0EEENS1_30default_config_static_selectorELNS0_4arch9wavefront6targetE1EEEvT1_,comdat
	.protected	_ZN7rocprim17ROCPRIM_400000_NS6detail17trampoline_kernelINS0_14default_configENS1_20scan_config_selectorIjEEZZNS1_9scan_implILNS1_25lookback_scan_determinismE0ELb0ELb0ES3_N6thrust23THRUST_200600_302600_NS6detail15normal_iteratorINS9_10device_ptrIjEEEESE_jNS9_4plusIvEEjEEDaPvRmT3_T4_T5_mT6_P12ihipStream_tbENKUlT_T0_E_clISt17integral_constantIbLb1EESU_EEDaSP_SQ_EUlSP_E0_NS1_11comp_targetILNS1_3genE3ELNS1_11target_archE908ELNS1_3gpuE7ELNS1_3repE0EEENS1_30default_config_static_selectorELNS0_4arch9wavefront6targetE1EEEvT1_ ; -- Begin function _ZN7rocprim17ROCPRIM_400000_NS6detail17trampoline_kernelINS0_14default_configENS1_20scan_config_selectorIjEEZZNS1_9scan_implILNS1_25lookback_scan_determinismE0ELb0ELb0ES3_N6thrust23THRUST_200600_302600_NS6detail15normal_iteratorINS9_10device_ptrIjEEEESE_jNS9_4plusIvEEjEEDaPvRmT3_T4_T5_mT6_P12ihipStream_tbENKUlT_T0_E_clISt17integral_constantIbLb1EESU_EEDaSP_SQ_EUlSP_E0_NS1_11comp_targetILNS1_3genE3ELNS1_11target_archE908ELNS1_3gpuE7ELNS1_3repE0EEENS1_30default_config_static_selectorELNS0_4arch9wavefront6targetE1EEEvT1_
	.globl	_ZN7rocprim17ROCPRIM_400000_NS6detail17trampoline_kernelINS0_14default_configENS1_20scan_config_selectorIjEEZZNS1_9scan_implILNS1_25lookback_scan_determinismE0ELb0ELb0ES3_N6thrust23THRUST_200600_302600_NS6detail15normal_iteratorINS9_10device_ptrIjEEEESE_jNS9_4plusIvEEjEEDaPvRmT3_T4_T5_mT6_P12ihipStream_tbENKUlT_T0_E_clISt17integral_constantIbLb1EESU_EEDaSP_SQ_EUlSP_E0_NS1_11comp_targetILNS1_3genE3ELNS1_11target_archE908ELNS1_3gpuE7ELNS1_3repE0EEENS1_30default_config_static_selectorELNS0_4arch9wavefront6targetE1EEEvT1_
	.p2align	8
	.type	_ZN7rocprim17ROCPRIM_400000_NS6detail17trampoline_kernelINS0_14default_configENS1_20scan_config_selectorIjEEZZNS1_9scan_implILNS1_25lookback_scan_determinismE0ELb0ELb0ES3_N6thrust23THRUST_200600_302600_NS6detail15normal_iteratorINS9_10device_ptrIjEEEESE_jNS9_4plusIvEEjEEDaPvRmT3_T4_T5_mT6_P12ihipStream_tbENKUlT_T0_E_clISt17integral_constantIbLb1EESU_EEDaSP_SQ_EUlSP_E0_NS1_11comp_targetILNS1_3genE3ELNS1_11target_archE908ELNS1_3gpuE7ELNS1_3repE0EEENS1_30default_config_static_selectorELNS0_4arch9wavefront6targetE1EEEvT1_,@function
_ZN7rocprim17ROCPRIM_400000_NS6detail17trampoline_kernelINS0_14default_configENS1_20scan_config_selectorIjEEZZNS1_9scan_implILNS1_25lookback_scan_determinismE0ELb0ELb0ES3_N6thrust23THRUST_200600_302600_NS6detail15normal_iteratorINS9_10device_ptrIjEEEESE_jNS9_4plusIvEEjEEDaPvRmT3_T4_T5_mT6_P12ihipStream_tbENKUlT_T0_E_clISt17integral_constantIbLb1EESU_EEDaSP_SQ_EUlSP_E0_NS1_11comp_targetILNS1_3genE3ELNS1_11target_archE908ELNS1_3gpuE7ELNS1_3repE0EEENS1_30default_config_static_selectorELNS0_4arch9wavefront6targetE1EEEvT1_: ; @_ZN7rocprim17ROCPRIM_400000_NS6detail17trampoline_kernelINS0_14default_configENS1_20scan_config_selectorIjEEZZNS1_9scan_implILNS1_25lookback_scan_determinismE0ELb0ELb0ES3_N6thrust23THRUST_200600_302600_NS6detail15normal_iteratorINS9_10device_ptrIjEEEESE_jNS9_4plusIvEEjEEDaPvRmT3_T4_T5_mT6_P12ihipStream_tbENKUlT_T0_E_clISt17integral_constantIbLb1EESU_EEDaSP_SQ_EUlSP_E0_NS1_11comp_targetILNS1_3genE3ELNS1_11target_archE908ELNS1_3gpuE7ELNS1_3repE0EEENS1_30default_config_static_selectorELNS0_4arch9wavefront6targetE1EEEvT1_
; %bb.0:
	.section	.rodata,"a",@progbits
	.p2align	6, 0x0
	.amdhsa_kernel _ZN7rocprim17ROCPRIM_400000_NS6detail17trampoline_kernelINS0_14default_configENS1_20scan_config_selectorIjEEZZNS1_9scan_implILNS1_25lookback_scan_determinismE0ELb0ELb0ES3_N6thrust23THRUST_200600_302600_NS6detail15normal_iteratorINS9_10device_ptrIjEEEESE_jNS9_4plusIvEEjEEDaPvRmT3_T4_T5_mT6_P12ihipStream_tbENKUlT_T0_E_clISt17integral_constantIbLb1EESU_EEDaSP_SQ_EUlSP_E0_NS1_11comp_targetILNS1_3genE3ELNS1_11target_archE908ELNS1_3gpuE7ELNS1_3repE0EEENS1_30default_config_static_selectorELNS0_4arch9wavefront6targetE1EEEvT1_
		.amdhsa_group_segment_fixed_size 0
		.amdhsa_private_segment_fixed_size 0
		.amdhsa_kernarg_size 32
		.amdhsa_user_sgpr_count 6
		.amdhsa_user_sgpr_private_segment_buffer 1
		.amdhsa_user_sgpr_dispatch_ptr 0
		.amdhsa_user_sgpr_queue_ptr 0
		.amdhsa_user_sgpr_kernarg_segment_ptr 1
		.amdhsa_user_sgpr_dispatch_id 0
		.amdhsa_user_sgpr_flat_scratch_init 0
		.amdhsa_user_sgpr_kernarg_preload_length 0
		.amdhsa_user_sgpr_kernarg_preload_offset 0
		.amdhsa_user_sgpr_private_segment_size 0
		.amdhsa_uses_dynamic_stack 0
		.amdhsa_system_sgpr_private_segment_wavefront_offset 0
		.amdhsa_system_sgpr_workgroup_id_x 1
		.amdhsa_system_sgpr_workgroup_id_y 0
		.amdhsa_system_sgpr_workgroup_id_z 0
		.amdhsa_system_sgpr_workgroup_info 0
		.amdhsa_system_vgpr_workitem_id 0
		.amdhsa_next_free_vgpr 1
		.amdhsa_next_free_sgpr 0
		.amdhsa_accum_offset 4
		.amdhsa_reserve_vcc 0
		.amdhsa_reserve_flat_scratch 0
		.amdhsa_float_round_mode_32 0
		.amdhsa_float_round_mode_16_64 0
		.amdhsa_float_denorm_mode_32 3
		.amdhsa_float_denorm_mode_16_64 3
		.amdhsa_dx10_clamp 1
		.amdhsa_ieee_mode 1
		.amdhsa_fp16_overflow 0
		.amdhsa_tg_split 0
		.amdhsa_exception_fp_ieee_invalid_op 0
		.amdhsa_exception_fp_denorm_src 0
		.amdhsa_exception_fp_ieee_div_zero 0
		.amdhsa_exception_fp_ieee_overflow 0
		.amdhsa_exception_fp_ieee_underflow 0
		.amdhsa_exception_fp_ieee_inexact 0
		.amdhsa_exception_int_div_zero 0
	.end_amdhsa_kernel
	.section	.text._ZN7rocprim17ROCPRIM_400000_NS6detail17trampoline_kernelINS0_14default_configENS1_20scan_config_selectorIjEEZZNS1_9scan_implILNS1_25lookback_scan_determinismE0ELb0ELb0ES3_N6thrust23THRUST_200600_302600_NS6detail15normal_iteratorINS9_10device_ptrIjEEEESE_jNS9_4plusIvEEjEEDaPvRmT3_T4_T5_mT6_P12ihipStream_tbENKUlT_T0_E_clISt17integral_constantIbLb1EESU_EEDaSP_SQ_EUlSP_E0_NS1_11comp_targetILNS1_3genE3ELNS1_11target_archE908ELNS1_3gpuE7ELNS1_3repE0EEENS1_30default_config_static_selectorELNS0_4arch9wavefront6targetE1EEEvT1_,"axG",@progbits,_ZN7rocprim17ROCPRIM_400000_NS6detail17trampoline_kernelINS0_14default_configENS1_20scan_config_selectorIjEEZZNS1_9scan_implILNS1_25lookback_scan_determinismE0ELb0ELb0ES3_N6thrust23THRUST_200600_302600_NS6detail15normal_iteratorINS9_10device_ptrIjEEEESE_jNS9_4plusIvEEjEEDaPvRmT3_T4_T5_mT6_P12ihipStream_tbENKUlT_T0_E_clISt17integral_constantIbLb1EESU_EEDaSP_SQ_EUlSP_E0_NS1_11comp_targetILNS1_3genE3ELNS1_11target_archE908ELNS1_3gpuE7ELNS1_3repE0EEENS1_30default_config_static_selectorELNS0_4arch9wavefront6targetE1EEEvT1_,comdat
.Lfunc_end4604:
	.size	_ZN7rocprim17ROCPRIM_400000_NS6detail17trampoline_kernelINS0_14default_configENS1_20scan_config_selectorIjEEZZNS1_9scan_implILNS1_25lookback_scan_determinismE0ELb0ELb0ES3_N6thrust23THRUST_200600_302600_NS6detail15normal_iteratorINS9_10device_ptrIjEEEESE_jNS9_4plusIvEEjEEDaPvRmT3_T4_T5_mT6_P12ihipStream_tbENKUlT_T0_E_clISt17integral_constantIbLb1EESU_EEDaSP_SQ_EUlSP_E0_NS1_11comp_targetILNS1_3genE3ELNS1_11target_archE908ELNS1_3gpuE7ELNS1_3repE0EEENS1_30default_config_static_selectorELNS0_4arch9wavefront6targetE1EEEvT1_, .Lfunc_end4604-_ZN7rocprim17ROCPRIM_400000_NS6detail17trampoline_kernelINS0_14default_configENS1_20scan_config_selectorIjEEZZNS1_9scan_implILNS1_25lookback_scan_determinismE0ELb0ELb0ES3_N6thrust23THRUST_200600_302600_NS6detail15normal_iteratorINS9_10device_ptrIjEEEESE_jNS9_4plusIvEEjEEDaPvRmT3_T4_T5_mT6_P12ihipStream_tbENKUlT_T0_E_clISt17integral_constantIbLb1EESU_EEDaSP_SQ_EUlSP_E0_NS1_11comp_targetILNS1_3genE3ELNS1_11target_archE908ELNS1_3gpuE7ELNS1_3repE0EEENS1_30default_config_static_selectorELNS0_4arch9wavefront6targetE1EEEvT1_
                                        ; -- End function
	.section	.AMDGPU.csdata,"",@progbits
; Kernel info:
; codeLenInByte = 0
; NumSgprs: 4
; NumVgprs: 0
; NumAgprs: 0
; TotalNumVgprs: 0
; ScratchSize: 0
; MemoryBound: 0
; FloatMode: 240
; IeeeMode: 1
; LDSByteSize: 0 bytes/workgroup (compile time only)
; SGPRBlocks: 0
; VGPRBlocks: 0
; NumSGPRsForWavesPerEU: 4
; NumVGPRsForWavesPerEU: 1
; AccumOffset: 4
; Occupancy: 8
; WaveLimiterHint : 0
; COMPUTE_PGM_RSRC2:SCRATCH_EN: 0
; COMPUTE_PGM_RSRC2:USER_SGPR: 6
; COMPUTE_PGM_RSRC2:TRAP_HANDLER: 0
; COMPUTE_PGM_RSRC2:TGID_X_EN: 1
; COMPUTE_PGM_RSRC2:TGID_Y_EN: 0
; COMPUTE_PGM_RSRC2:TGID_Z_EN: 0
; COMPUTE_PGM_RSRC2:TIDIG_COMP_CNT: 0
; COMPUTE_PGM_RSRC3_GFX90A:ACCUM_OFFSET: 0
; COMPUTE_PGM_RSRC3_GFX90A:TG_SPLIT: 0
	.section	.text._ZN7rocprim17ROCPRIM_400000_NS6detail17trampoline_kernelINS0_14default_configENS1_20scan_config_selectorIjEEZZNS1_9scan_implILNS1_25lookback_scan_determinismE0ELb0ELb0ES3_N6thrust23THRUST_200600_302600_NS6detail15normal_iteratorINS9_10device_ptrIjEEEESE_jNS9_4plusIvEEjEEDaPvRmT3_T4_T5_mT6_P12ihipStream_tbENKUlT_T0_E_clISt17integral_constantIbLb1EESU_EEDaSP_SQ_EUlSP_E0_NS1_11comp_targetILNS1_3genE2ELNS1_11target_archE906ELNS1_3gpuE6ELNS1_3repE0EEENS1_30default_config_static_selectorELNS0_4arch9wavefront6targetE1EEEvT1_,"axG",@progbits,_ZN7rocprim17ROCPRIM_400000_NS6detail17trampoline_kernelINS0_14default_configENS1_20scan_config_selectorIjEEZZNS1_9scan_implILNS1_25lookback_scan_determinismE0ELb0ELb0ES3_N6thrust23THRUST_200600_302600_NS6detail15normal_iteratorINS9_10device_ptrIjEEEESE_jNS9_4plusIvEEjEEDaPvRmT3_T4_T5_mT6_P12ihipStream_tbENKUlT_T0_E_clISt17integral_constantIbLb1EESU_EEDaSP_SQ_EUlSP_E0_NS1_11comp_targetILNS1_3genE2ELNS1_11target_archE906ELNS1_3gpuE6ELNS1_3repE0EEENS1_30default_config_static_selectorELNS0_4arch9wavefront6targetE1EEEvT1_,comdat
	.protected	_ZN7rocprim17ROCPRIM_400000_NS6detail17trampoline_kernelINS0_14default_configENS1_20scan_config_selectorIjEEZZNS1_9scan_implILNS1_25lookback_scan_determinismE0ELb0ELb0ES3_N6thrust23THRUST_200600_302600_NS6detail15normal_iteratorINS9_10device_ptrIjEEEESE_jNS9_4plusIvEEjEEDaPvRmT3_T4_T5_mT6_P12ihipStream_tbENKUlT_T0_E_clISt17integral_constantIbLb1EESU_EEDaSP_SQ_EUlSP_E0_NS1_11comp_targetILNS1_3genE2ELNS1_11target_archE906ELNS1_3gpuE6ELNS1_3repE0EEENS1_30default_config_static_selectorELNS0_4arch9wavefront6targetE1EEEvT1_ ; -- Begin function _ZN7rocprim17ROCPRIM_400000_NS6detail17trampoline_kernelINS0_14default_configENS1_20scan_config_selectorIjEEZZNS1_9scan_implILNS1_25lookback_scan_determinismE0ELb0ELb0ES3_N6thrust23THRUST_200600_302600_NS6detail15normal_iteratorINS9_10device_ptrIjEEEESE_jNS9_4plusIvEEjEEDaPvRmT3_T4_T5_mT6_P12ihipStream_tbENKUlT_T0_E_clISt17integral_constantIbLb1EESU_EEDaSP_SQ_EUlSP_E0_NS1_11comp_targetILNS1_3genE2ELNS1_11target_archE906ELNS1_3gpuE6ELNS1_3repE0EEENS1_30default_config_static_selectorELNS0_4arch9wavefront6targetE1EEEvT1_
	.globl	_ZN7rocprim17ROCPRIM_400000_NS6detail17trampoline_kernelINS0_14default_configENS1_20scan_config_selectorIjEEZZNS1_9scan_implILNS1_25lookback_scan_determinismE0ELb0ELb0ES3_N6thrust23THRUST_200600_302600_NS6detail15normal_iteratorINS9_10device_ptrIjEEEESE_jNS9_4plusIvEEjEEDaPvRmT3_T4_T5_mT6_P12ihipStream_tbENKUlT_T0_E_clISt17integral_constantIbLb1EESU_EEDaSP_SQ_EUlSP_E0_NS1_11comp_targetILNS1_3genE2ELNS1_11target_archE906ELNS1_3gpuE6ELNS1_3repE0EEENS1_30default_config_static_selectorELNS0_4arch9wavefront6targetE1EEEvT1_
	.p2align	8
	.type	_ZN7rocprim17ROCPRIM_400000_NS6detail17trampoline_kernelINS0_14default_configENS1_20scan_config_selectorIjEEZZNS1_9scan_implILNS1_25lookback_scan_determinismE0ELb0ELb0ES3_N6thrust23THRUST_200600_302600_NS6detail15normal_iteratorINS9_10device_ptrIjEEEESE_jNS9_4plusIvEEjEEDaPvRmT3_T4_T5_mT6_P12ihipStream_tbENKUlT_T0_E_clISt17integral_constantIbLb1EESU_EEDaSP_SQ_EUlSP_E0_NS1_11comp_targetILNS1_3genE2ELNS1_11target_archE906ELNS1_3gpuE6ELNS1_3repE0EEENS1_30default_config_static_selectorELNS0_4arch9wavefront6targetE1EEEvT1_,@function
_ZN7rocprim17ROCPRIM_400000_NS6detail17trampoline_kernelINS0_14default_configENS1_20scan_config_selectorIjEEZZNS1_9scan_implILNS1_25lookback_scan_determinismE0ELb0ELb0ES3_N6thrust23THRUST_200600_302600_NS6detail15normal_iteratorINS9_10device_ptrIjEEEESE_jNS9_4plusIvEEjEEDaPvRmT3_T4_T5_mT6_P12ihipStream_tbENKUlT_T0_E_clISt17integral_constantIbLb1EESU_EEDaSP_SQ_EUlSP_E0_NS1_11comp_targetILNS1_3genE2ELNS1_11target_archE906ELNS1_3gpuE6ELNS1_3repE0EEENS1_30default_config_static_selectorELNS0_4arch9wavefront6targetE1EEEvT1_: ; @_ZN7rocprim17ROCPRIM_400000_NS6detail17trampoline_kernelINS0_14default_configENS1_20scan_config_selectorIjEEZZNS1_9scan_implILNS1_25lookback_scan_determinismE0ELb0ELb0ES3_N6thrust23THRUST_200600_302600_NS6detail15normal_iteratorINS9_10device_ptrIjEEEESE_jNS9_4plusIvEEjEEDaPvRmT3_T4_T5_mT6_P12ihipStream_tbENKUlT_T0_E_clISt17integral_constantIbLb1EESU_EEDaSP_SQ_EUlSP_E0_NS1_11comp_targetILNS1_3genE2ELNS1_11target_archE906ELNS1_3gpuE6ELNS1_3repE0EEENS1_30default_config_static_selectorELNS0_4arch9wavefront6targetE1EEEvT1_
; %bb.0:
	.section	.rodata,"a",@progbits
	.p2align	6, 0x0
	.amdhsa_kernel _ZN7rocprim17ROCPRIM_400000_NS6detail17trampoline_kernelINS0_14default_configENS1_20scan_config_selectorIjEEZZNS1_9scan_implILNS1_25lookback_scan_determinismE0ELb0ELb0ES3_N6thrust23THRUST_200600_302600_NS6detail15normal_iteratorINS9_10device_ptrIjEEEESE_jNS9_4plusIvEEjEEDaPvRmT3_T4_T5_mT6_P12ihipStream_tbENKUlT_T0_E_clISt17integral_constantIbLb1EESU_EEDaSP_SQ_EUlSP_E0_NS1_11comp_targetILNS1_3genE2ELNS1_11target_archE906ELNS1_3gpuE6ELNS1_3repE0EEENS1_30default_config_static_selectorELNS0_4arch9wavefront6targetE1EEEvT1_
		.amdhsa_group_segment_fixed_size 0
		.amdhsa_private_segment_fixed_size 0
		.amdhsa_kernarg_size 32
		.amdhsa_user_sgpr_count 6
		.amdhsa_user_sgpr_private_segment_buffer 1
		.amdhsa_user_sgpr_dispatch_ptr 0
		.amdhsa_user_sgpr_queue_ptr 0
		.amdhsa_user_sgpr_kernarg_segment_ptr 1
		.amdhsa_user_sgpr_dispatch_id 0
		.amdhsa_user_sgpr_flat_scratch_init 0
		.amdhsa_user_sgpr_kernarg_preload_length 0
		.amdhsa_user_sgpr_kernarg_preload_offset 0
		.amdhsa_user_sgpr_private_segment_size 0
		.amdhsa_uses_dynamic_stack 0
		.amdhsa_system_sgpr_private_segment_wavefront_offset 0
		.amdhsa_system_sgpr_workgroup_id_x 1
		.amdhsa_system_sgpr_workgroup_id_y 0
		.amdhsa_system_sgpr_workgroup_id_z 0
		.amdhsa_system_sgpr_workgroup_info 0
		.amdhsa_system_vgpr_workitem_id 0
		.amdhsa_next_free_vgpr 1
		.amdhsa_next_free_sgpr 0
		.amdhsa_accum_offset 4
		.amdhsa_reserve_vcc 0
		.amdhsa_reserve_flat_scratch 0
		.amdhsa_float_round_mode_32 0
		.amdhsa_float_round_mode_16_64 0
		.amdhsa_float_denorm_mode_32 3
		.amdhsa_float_denorm_mode_16_64 3
		.amdhsa_dx10_clamp 1
		.amdhsa_ieee_mode 1
		.amdhsa_fp16_overflow 0
		.amdhsa_tg_split 0
		.amdhsa_exception_fp_ieee_invalid_op 0
		.amdhsa_exception_fp_denorm_src 0
		.amdhsa_exception_fp_ieee_div_zero 0
		.amdhsa_exception_fp_ieee_overflow 0
		.amdhsa_exception_fp_ieee_underflow 0
		.amdhsa_exception_fp_ieee_inexact 0
		.amdhsa_exception_int_div_zero 0
	.end_amdhsa_kernel
	.section	.text._ZN7rocprim17ROCPRIM_400000_NS6detail17trampoline_kernelINS0_14default_configENS1_20scan_config_selectorIjEEZZNS1_9scan_implILNS1_25lookback_scan_determinismE0ELb0ELb0ES3_N6thrust23THRUST_200600_302600_NS6detail15normal_iteratorINS9_10device_ptrIjEEEESE_jNS9_4plusIvEEjEEDaPvRmT3_T4_T5_mT6_P12ihipStream_tbENKUlT_T0_E_clISt17integral_constantIbLb1EESU_EEDaSP_SQ_EUlSP_E0_NS1_11comp_targetILNS1_3genE2ELNS1_11target_archE906ELNS1_3gpuE6ELNS1_3repE0EEENS1_30default_config_static_selectorELNS0_4arch9wavefront6targetE1EEEvT1_,"axG",@progbits,_ZN7rocprim17ROCPRIM_400000_NS6detail17trampoline_kernelINS0_14default_configENS1_20scan_config_selectorIjEEZZNS1_9scan_implILNS1_25lookback_scan_determinismE0ELb0ELb0ES3_N6thrust23THRUST_200600_302600_NS6detail15normal_iteratorINS9_10device_ptrIjEEEESE_jNS9_4plusIvEEjEEDaPvRmT3_T4_T5_mT6_P12ihipStream_tbENKUlT_T0_E_clISt17integral_constantIbLb1EESU_EEDaSP_SQ_EUlSP_E0_NS1_11comp_targetILNS1_3genE2ELNS1_11target_archE906ELNS1_3gpuE6ELNS1_3repE0EEENS1_30default_config_static_selectorELNS0_4arch9wavefront6targetE1EEEvT1_,comdat
.Lfunc_end4605:
	.size	_ZN7rocprim17ROCPRIM_400000_NS6detail17trampoline_kernelINS0_14default_configENS1_20scan_config_selectorIjEEZZNS1_9scan_implILNS1_25lookback_scan_determinismE0ELb0ELb0ES3_N6thrust23THRUST_200600_302600_NS6detail15normal_iteratorINS9_10device_ptrIjEEEESE_jNS9_4plusIvEEjEEDaPvRmT3_T4_T5_mT6_P12ihipStream_tbENKUlT_T0_E_clISt17integral_constantIbLb1EESU_EEDaSP_SQ_EUlSP_E0_NS1_11comp_targetILNS1_3genE2ELNS1_11target_archE906ELNS1_3gpuE6ELNS1_3repE0EEENS1_30default_config_static_selectorELNS0_4arch9wavefront6targetE1EEEvT1_, .Lfunc_end4605-_ZN7rocprim17ROCPRIM_400000_NS6detail17trampoline_kernelINS0_14default_configENS1_20scan_config_selectorIjEEZZNS1_9scan_implILNS1_25lookback_scan_determinismE0ELb0ELb0ES3_N6thrust23THRUST_200600_302600_NS6detail15normal_iteratorINS9_10device_ptrIjEEEESE_jNS9_4plusIvEEjEEDaPvRmT3_T4_T5_mT6_P12ihipStream_tbENKUlT_T0_E_clISt17integral_constantIbLb1EESU_EEDaSP_SQ_EUlSP_E0_NS1_11comp_targetILNS1_3genE2ELNS1_11target_archE906ELNS1_3gpuE6ELNS1_3repE0EEENS1_30default_config_static_selectorELNS0_4arch9wavefront6targetE1EEEvT1_
                                        ; -- End function
	.section	.AMDGPU.csdata,"",@progbits
; Kernel info:
; codeLenInByte = 0
; NumSgprs: 4
; NumVgprs: 0
; NumAgprs: 0
; TotalNumVgprs: 0
; ScratchSize: 0
; MemoryBound: 0
; FloatMode: 240
; IeeeMode: 1
; LDSByteSize: 0 bytes/workgroup (compile time only)
; SGPRBlocks: 0
; VGPRBlocks: 0
; NumSGPRsForWavesPerEU: 4
; NumVGPRsForWavesPerEU: 1
; AccumOffset: 4
; Occupancy: 8
; WaveLimiterHint : 0
; COMPUTE_PGM_RSRC2:SCRATCH_EN: 0
; COMPUTE_PGM_RSRC2:USER_SGPR: 6
; COMPUTE_PGM_RSRC2:TRAP_HANDLER: 0
; COMPUTE_PGM_RSRC2:TGID_X_EN: 1
; COMPUTE_PGM_RSRC2:TGID_Y_EN: 0
; COMPUTE_PGM_RSRC2:TGID_Z_EN: 0
; COMPUTE_PGM_RSRC2:TIDIG_COMP_CNT: 0
; COMPUTE_PGM_RSRC3_GFX90A:ACCUM_OFFSET: 0
; COMPUTE_PGM_RSRC3_GFX90A:TG_SPLIT: 0
	.section	.text._ZN7rocprim17ROCPRIM_400000_NS6detail17trampoline_kernelINS0_14default_configENS1_20scan_config_selectorIjEEZZNS1_9scan_implILNS1_25lookback_scan_determinismE0ELb0ELb0ES3_N6thrust23THRUST_200600_302600_NS6detail15normal_iteratorINS9_10device_ptrIjEEEESE_jNS9_4plusIvEEjEEDaPvRmT3_T4_T5_mT6_P12ihipStream_tbENKUlT_T0_E_clISt17integral_constantIbLb1EESU_EEDaSP_SQ_EUlSP_E0_NS1_11comp_targetILNS1_3genE10ELNS1_11target_archE1201ELNS1_3gpuE5ELNS1_3repE0EEENS1_30default_config_static_selectorELNS0_4arch9wavefront6targetE1EEEvT1_,"axG",@progbits,_ZN7rocprim17ROCPRIM_400000_NS6detail17trampoline_kernelINS0_14default_configENS1_20scan_config_selectorIjEEZZNS1_9scan_implILNS1_25lookback_scan_determinismE0ELb0ELb0ES3_N6thrust23THRUST_200600_302600_NS6detail15normal_iteratorINS9_10device_ptrIjEEEESE_jNS9_4plusIvEEjEEDaPvRmT3_T4_T5_mT6_P12ihipStream_tbENKUlT_T0_E_clISt17integral_constantIbLb1EESU_EEDaSP_SQ_EUlSP_E0_NS1_11comp_targetILNS1_3genE10ELNS1_11target_archE1201ELNS1_3gpuE5ELNS1_3repE0EEENS1_30default_config_static_selectorELNS0_4arch9wavefront6targetE1EEEvT1_,comdat
	.protected	_ZN7rocprim17ROCPRIM_400000_NS6detail17trampoline_kernelINS0_14default_configENS1_20scan_config_selectorIjEEZZNS1_9scan_implILNS1_25lookback_scan_determinismE0ELb0ELb0ES3_N6thrust23THRUST_200600_302600_NS6detail15normal_iteratorINS9_10device_ptrIjEEEESE_jNS9_4plusIvEEjEEDaPvRmT3_T4_T5_mT6_P12ihipStream_tbENKUlT_T0_E_clISt17integral_constantIbLb1EESU_EEDaSP_SQ_EUlSP_E0_NS1_11comp_targetILNS1_3genE10ELNS1_11target_archE1201ELNS1_3gpuE5ELNS1_3repE0EEENS1_30default_config_static_selectorELNS0_4arch9wavefront6targetE1EEEvT1_ ; -- Begin function _ZN7rocprim17ROCPRIM_400000_NS6detail17trampoline_kernelINS0_14default_configENS1_20scan_config_selectorIjEEZZNS1_9scan_implILNS1_25lookback_scan_determinismE0ELb0ELb0ES3_N6thrust23THRUST_200600_302600_NS6detail15normal_iteratorINS9_10device_ptrIjEEEESE_jNS9_4plusIvEEjEEDaPvRmT3_T4_T5_mT6_P12ihipStream_tbENKUlT_T0_E_clISt17integral_constantIbLb1EESU_EEDaSP_SQ_EUlSP_E0_NS1_11comp_targetILNS1_3genE10ELNS1_11target_archE1201ELNS1_3gpuE5ELNS1_3repE0EEENS1_30default_config_static_selectorELNS0_4arch9wavefront6targetE1EEEvT1_
	.globl	_ZN7rocprim17ROCPRIM_400000_NS6detail17trampoline_kernelINS0_14default_configENS1_20scan_config_selectorIjEEZZNS1_9scan_implILNS1_25lookback_scan_determinismE0ELb0ELb0ES3_N6thrust23THRUST_200600_302600_NS6detail15normal_iteratorINS9_10device_ptrIjEEEESE_jNS9_4plusIvEEjEEDaPvRmT3_T4_T5_mT6_P12ihipStream_tbENKUlT_T0_E_clISt17integral_constantIbLb1EESU_EEDaSP_SQ_EUlSP_E0_NS1_11comp_targetILNS1_3genE10ELNS1_11target_archE1201ELNS1_3gpuE5ELNS1_3repE0EEENS1_30default_config_static_selectorELNS0_4arch9wavefront6targetE1EEEvT1_
	.p2align	8
	.type	_ZN7rocprim17ROCPRIM_400000_NS6detail17trampoline_kernelINS0_14default_configENS1_20scan_config_selectorIjEEZZNS1_9scan_implILNS1_25lookback_scan_determinismE0ELb0ELb0ES3_N6thrust23THRUST_200600_302600_NS6detail15normal_iteratorINS9_10device_ptrIjEEEESE_jNS9_4plusIvEEjEEDaPvRmT3_T4_T5_mT6_P12ihipStream_tbENKUlT_T0_E_clISt17integral_constantIbLb1EESU_EEDaSP_SQ_EUlSP_E0_NS1_11comp_targetILNS1_3genE10ELNS1_11target_archE1201ELNS1_3gpuE5ELNS1_3repE0EEENS1_30default_config_static_selectorELNS0_4arch9wavefront6targetE1EEEvT1_,@function
_ZN7rocprim17ROCPRIM_400000_NS6detail17trampoline_kernelINS0_14default_configENS1_20scan_config_selectorIjEEZZNS1_9scan_implILNS1_25lookback_scan_determinismE0ELb0ELb0ES3_N6thrust23THRUST_200600_302600_NS6detail15normal_iteratorINS9_10device_ptrIjEEEESE_jNS9_4plusIvEEjEEDaPvRmT3_T4_T5_mT6_P12ihipStream_tbENKUlT_T0_E_clISt17integral_constantIbLb1EESU_EEDaSP_SQ_EUlSP_E0_NS1_11comp_targetILNS1_3genE10ELNS1_11target_archE1201ELNS1_3gpuE5ELNS1_3repE0EEENS1_30default_config_static_selectorELNS0_4arch9wavefront6targetE1EEEvT1_: ; @_ZN7rocprim17ROCPRIM_400000_NS6detail17trampoline_kernelINS0_14default_configENS1_20scan_config_selectorIjEEZZNS1_9scan_implILNS1_25lookback_scan_determinismE0ELb0ELb0ES3_N6thrust23THRUST_200600_302600_NS6detail15normal_iteratorINS9_10device_ptrIjEEEESE_jNS9_4plusIvEEjEEDaPvRmT3_T4_T5_mT6_P12ihipStream_tbENKUlT_T0_E_clISt17integral_constantIbLb1EESU_EEDaSP_SQ_EUlSP_E0_NS1_11comp_targetILNS1_3genE10ELNS1_11target_archE1201ELNS1_3gpuE5ELNS1_3repE0EEENS1_30default_config_static_selectorELNS0_4arch9wavefront6targetE1EEEvT1_
; %bb.0:
	.section	.rodata,"a",@progbits
	.p2align	6, 0x0
	.amdhsa_kernel _ZN7rocprim17ROCPRIM_400000_NS6detail17trampoline_kernelINS0_14default_configENS1_20scan_config_selectorIjEEZZNS1_9scan_implILNS1_25lookback_scan_determinismE0ELb0ELb0ES3_N6thrust23THRUST_200600_302600_NS6detail15normal_iteratorINS9_10device_ptrIjEEEESE_jNS9_4plusIvEEjEEDaPvRmT3_T4_T5_mT6_P12ihipStream_tbENKUlT_T0_E_clISt17integral_constantIbLb1EESU_EEDaSP_SQ_EUlSP_E0_NS1_11comp_targetILNS1_3genE10ELNS1_11target_archE1201ELNS1_3gpuE5ELNS1_3repE0EEENS1_30default_config_static_selectorELNS0_4arch9wavefront6targetE1EEEvT1_
		.amdhsa_group_segment_fixed_size 0
		.amdhsa_private_segment_fixed_size 0
		.amdhsa_kernarg_size 32
		.amdhsa_user_sgpr_count 6
		.amdhsa_user_sgpr_private_segment_buffer 1
		.amdhsa_user_sgpr_dispatch_ptr 0
		.amdhsa_user_sgpr_queue_ptr 0
		.amdhsa_user_sgpr_kernarg_segment_ptr 1
		.amdhsa_user_sgpr_dispatch_id 0
		.amdhsa_user_sgpr_flat_scratch_init 0
		.amdhsa_user_sgpr_kernarg_preload_length 0
		.amdhsa_user_sgpr_kernarg_preload_offset 0
		.amdhsa_user_sgpr_private_segment_size 0
		.amdhsa_uses_dynamic_stack 0
		.amdhsa_system_sgpr_private_segment_wavefront_offset 0
		.amdhsa_system_sgpr_workgroup_id_x 1
		.amdhsa_system_sgpr_workgroup_id_y 0
		.amdhsa_system_sgpr_workgroup_id_z 0
		.amdhsa_system_sgpr_workgroup_info 0
		.amdhsa_system_vgpr_workitem_id 0
		.amdhsa_next_free_vgpr 1
		.amdhsa_next_free_sgpr 0
		.amdhsa_accum_offset 4
		.amdhsa_reserve_vcc 0
		.amdhsa_reserve_flat_scratch 0
		.amdhsa_float_round_mode_32 0
		.amdhsa_float_round_mode_16_64 0
		.amdhsa_float_denorm_mode_32 3
		.amdhsa_float_denorm_mode_16_64 3
		.amdhsa_dx10_clamp 1
		.amdhsa_ieee_mode 1
		.amdhsa_fp16_overflow 0
		.amdhsa_tg_split 0
		.amdhsa_exception_fp_ieee_invalid_op 0
		.amdhsa_exception_fp_denorm_src 0
		.amdhsa_exception_fp_ieee_div_zero 0
		.amdhsa_exception_fp_ieee_overflow 0
		.amdhsa_exception_fp_ieee_underflow 0
		.amdhsa_exception_fp_ieee_inexact 0
		.amdhsa_exception_int_div_zero 0
	.end_amdhsa_kernel
	.section	.text._ZN7rocprim17ROCPRIM_400000_NS6detail17trampoline_kernelINS0_14default_configENS1_20scan_config_selectorIjEEZZNS1_9scan_implILNS1_25lookback_scan_determinismE0ELb0ELb0ES3_N6thrust23THRUST_200600_302600_NS6detail15normal_iteratorINS9_10device_ptrIjEEEESE_jNS9_4plusIvEEjEEDaPvRmT3_T4_T5_mT6_P12ihipStream_tbENKUlT_T0_E_clISt17integral_constantIbLb1EESU_EEDaSP_SQ_EUlSP_E0_NS1_11comp_targetILNS1_3genE10ELNS1_11target_archE1201ELNS1_3gpuE5ELNS1_3repE0EEENS1_30default_config_static_selectorELNS0_4arch9wavefront6targetE1EEEvT1_,"axG",@progbits,_ZN7rocprim17ROCPRIM_400000_NS6detail17trampoline_kernelINS0_14default_configENS1_20scan_config_selectorIjEEZZNS1_9scan_implILNS1_25lookback_scan_determinismE0ELb0ELb0ES3_N6thrust23THRUST_200600_302600_NS6detail15normal_iteratorINS9_10device_ptrIjEEEESE_jNS9_4plusIvEEjEEDaPvRmT3_T4_T5_mT6_P12ihipStream_tbENKUlT_T0_E_clISt17integral_constantIbLb1EESU_EEDaSP_SQ_EUlSP_E0_NS1_11comp_targetILNS1_3genE10ELNS1_11target_archE1201ELNS1_3gpuE5ELNS1_3repE0EEENS1_30default_config_static_selectorELNS0_4arch9wavefront6targetE1EEEvT1_,comdat
.Lfunc_end4606:
	.size	_ZN7rocprim17ROCPRIM_400000_NS6detail17trampoline_kernelINS0_14default_configENS1_20scan_config_selectorIjEEZZNS1_9scan_implILNS1_25lookback_scan_determinismE0ELb0ELb0ES3_N6thrust23THRUST_200600_302600_NS6detail15normal_iteratorINS9_10device_ptrIjEEEESE_jNS9_4plusIvEEjEEDaPvRmT3_T4_T5_mT6_P12ihipStream_tbENKUlT_T0_E_clISt17integral_constantIbLb1EESU_EEDaSP_SQ_EUlSP_E0_NS1_11comp_targetILNS1_3genE10ELNS1_11target_archE1201ELNS1_3gpuE5ELNS1_3repE0EEENS1_30default_config_static_selectorELNS0_4arch9wavefront6targetE1EEEvT1_, .Lfunc_end4606-_ZN7rocprim17ROCPRIM_400000_NS6detail17trampoline_kernelINS0_14default_configENS1_20scan_config_selectorIjEEZZNS1_9scan_implILNS1_25lookback_scan_determinismE0ELb0ELb0ES3_N6thrust23THRUST_200600_302600_NS6detail15normal_iteratorINS9_10device_ptrIjEEEESE_jNS9_4plusIvEEjEEDaPvRmT3_T4_T5_mT6_P12ihipStream_tbENKUlT_T0_E_clISt17integral_constantIbLb1EESU_EEDaSP_SQ_EUlSP_E0_NS1_11comp_targetILNS1_3genE10ELNS1_11target_archE1201ELNS1_3gpuE5ELNS1_3repE0EEENS1_30default_config_static_selectorELNS0_4arch9wavefront6targetE1EEEvT1_
                                        ; -- End function
	.section	.AMDGPU.csdata,"",@progbits
; Kernel info:
; codeLenInByte = 0
; NumSgprs: 4
; NumVgprs: 0
; NumAgprs: 0
; TotalNumVgprs: 0
; ScratchSize: 0
; MemoryBound: 0
; FloatMode: 240
; IeeeMode: 1
; LDSByteSize: 0 bytes/workgroup (compile time only)
; SGPRBlocks: 0
; VGPRBlocks: 0
; NumSGPRsForWavesPerEU: 4
; NumVGPRsForWavesPerEU: 1
; AccumOffset: 4
; Occupancy: 8
; WaveLimiterHint : 0
; COMPUTE_PGM_RSRC2:SCRATCH_EN: 0
; COMPUTE_PGM_RSRC2:USER_SGPR: 6
; COMPUTE_PGM_RSRC2:TRAP_HANDLER: 0
; COMPUTE_PGM_RSRC2:TGID_X_EN: 1
; COMPUTE_PGM_RSRC2:TGID_Y_EN: 0
; COMPUTE_PGM_RSRC2:TGID_Z_EN: 0
; COMPUTE_PGM_RSRC2:TIDIG_COMP_CNT: 0
; COMPUTE_PGM_RSRC3_GFX90A:ACCUM_OFFSET: 0
; COMPUTE_PGM_RSRC3_GFX90A:TG_SPLIT: 0
	.section	.text._ZN7rocprim17ROCPRIM_400000_NS6detail17trampoline_kernelINS0_14default_configENS1_20scan_config_selectorIjEEZZNS1_9scan_implILNS1_25lookback_scan_determinismE0ELb0ELb0ES3_N6thrust23THRUST_200600_302600_NS6detail15normal_iteratorINS9_10device_ptrIjEEEESE_jNS9_4plusIvEEjEEDaPvRmT3_T4_T5_mT6_P12ihipStream_tbENKUlT_T0_E_clISt17integral_constantIbLb1EESU_EEDaSP_SQ_EUlSP_E0_NS1_11comp_targetILNS1_3genE10ELNS1_11target_archE1200ELNS1_3gpuE4ELNS1_3repE0EEENS1_30default_config_static_selectorELNS0_4arch9wavefront6targetE1EEEvT1_,"axG",@progbits,_ZN7rocprim17ROCPRIM_400000_NS6detail17trampoline_kernelINS0_14default_configENS1_20scan_config_selectorIjEEZZNS1_9scan_implILNS1_25lookback_scan_determinismE0ELb0ELb0ES3_N6thrust23THRUST_200600_302600_NS6detail15normal_iteratorINS9_10device_ptrIjEEEESE_jNS9_4plusIvEEjEEDaPvRmT3_T4_T5_mT6_P12ihipStream_tbENKUlT_T0_E_clISt17integral_constantIbLb1EESU_EEDaSP_SQ_EUlSP_E0_NS1_11comp_targetILNS1_3genE10ELNS1_11target_archE1200ELNS1_3gpuE4ELNS1_3repE0EEENS1_30default_config_static_selectorELNS0_4arch9wavefront6targetE1EEEvT1_,comdat
	.protected	_ZN7rocprim17ROCPRIM_400000_NS6detail17trampoline_kernelINS0_14default_configENS1_20scan_config_selectorIjEEZZNS1_9scan_implILNS1_25lookback_scan_determinismE0ELb0ELb0ES3_N6thrust23THRUST_200600_302600_NS6detail15normal_iteratorINS9_10device_ptrIjEEEESE_jNS9_4plusIvEEjEEDaPvRmT3_T4_T5_mT6_P12ihipStream_tbENKUlT_T0_E_clISt17integral_constantIbLb1EESU_EEDaSP_SQ_EUlSP_E0_NS1_11comp_targetILNS1_3genE10ELNS1_11target_archE1200ELNS1_3gpuE4ELNS1_3repE0EEENS1_30default_config_static_selectorELNS0_4arch9wavefront6targetE1EEEvT1_ ; -- Begin function _ZN7rocprim17ROCPRIM_400000_NS6detail17trampoline_kernelINS0_14default_configENS1_20scan_config_selectorIjEEZZNS1_9scan_implILNS1_25lookback_scan_determinismE0ELb0ELb0ES3_N6thrust23THRUST_200600_302600_NS6detail15normal_iteratorINS9_10device_ptrIjEEEESE_jNS9_4plusIvEEjEEDaPvRmT3_T4_T5_mT6_P12ihipStream_tbENKUlT_T0_E_clISt17integral_constantIbLb1EESU_EEDaSP_SQ_EUlSP_E0_NS1_11comp_targetILNS1_3genE10ELNS1_11target_archE1200ELNS1_3gpuE4ELNS1_3repE0EEENS1_30default_config_static_selectorELNS0_4arch9wavefront6targetE1EEEvT1_
	.globl	_ZN7rocprim17ROCPRIM_400000_NS6detail17trampoline_kernelINS0_14default_configENS1_20scan_config_selectorIjEEZZNS1_9scan_implILNS1_25lookback_scan_determinismE0ELb0ELb0ES3_N6thrust23THRUST_200600_302600_NS6detail15normal_iteratorINS9_10device_ptrIjEEEESE_jNS9_4plusIvEEjEEDaPvRmT3_T4_T5_mT6_P12ihipStream_tbENKUlT_T0_E_clISt17integral_constantIbLb1EESU_EEDaSP_SQ_EUlSP_E0_NS1_11comp_targetILNS1_3genE10ELNS1_11target_archE1200ELNS1_3gpuE4ELNS1_3repE0EEENS1_30default_config_static_selectorELNS0_4arch9wavefront6targetE1EEEvT1_
	.p2align	8
	.type	_ZN7rocprim17ROCPRIM_400000_NS6detail17trampoline_kernelINS0_14default_configENS1_20scan_config_selectorIjEEZZNS1_9scan_implILNS1_25lookback_scan_determinismE0ELb0ELb0ES3_N6thrust23THRUST_200600_302600_NS6detail15normal_iteratorINS9_10device_ptrIjEEEESE_jNS9_4plusIvEEjEEDaPvRmT3_T4_T5_mT6_P12ihipStream_tbENKUlT_T0_E_clISt17integral_constantIbLb1EESU_EEDaSP_SQ_EUlSP_E0_NS1_11comp_targetILNS1_3genE10ELNS1_11target_archE1200ELNS1_3gpuE4ELNS1_3repE0EEENS1_30default_config_static_selectorELNS0_4arch9wavefront6targetE1EEEvT1_,@function
_ZN7rocprim17ROCPRIM_400000_NS6detail17trampoline_kernelINS0_14default_configENS1_20scan_config_selectorIjEEZZNS1_9scan_implILNS1_25lookback_scan_determinismE0ELb0ELb0ES3_N6thrust23THRUST_200600_302600_NS6detail15normal_iteratorINS9_10device_ptrIjEEEESE_jNS9_4plusIvEEjEEDaPvRmT3_T4_T5_mT6_P12ihipStream_tbENKUlT_T0_E_clISt17integral_constantIbLb1EESU_EEDaSP_SQ_EUlSP_E0_NS1_11comp_targetILNS1_3genE10ELNS1_11target_archE1200ELNS1_3gpuE4ELNS1_3repE0EEENS1_30default_config_static_selectorELNS0_4arch9wavefront6targetE1EEEvT1_: ; @_ZN7rocprim17ROCPRIM_400000_NS6detail17trampoline_kernelINS0_14default_configENS1_20scan_config_selectorIjEEZZNS1_9scan_implILNS1_25lookback_scan_determinismE0ELb0ELb0ES3_N6thrust23THRUST_200600_302600_NS6detail15normal_iteratorINS9_10device_ptrIjEEEESE_jNS9_4plusIvEEjEEDaPvRmT3_T4_T5_mT6_P12ihipStream_tbENKUlT_T0_E_clISt17integral_constantIbLb1EESU_EEDaSP_SQ_EUlSP_E0_NS1_11comp_targetILNS1_3genE10ELNS1_11target_archE1200ELNS1_3gpuE4ELNS1_3repE0EEENS1_30default_config_static_selectorELNS0_4arch9wavefront6targetE1EEEvT1_
; %bb.0:
	.section	.rodata,"a",@progbits
	.p2align	6, 0x0
	.amdhsa_kernel _ZN7rocprim17ROCPRIM_400000_NS6detail17trampoline_kernelINS0_14default_configENS1_20scan_config_selectorIjEEZZNS1_9scan_implILNS1_25lookback_scan_determinismE0ELb0ELb0ES3_N6thrust23THRUST_200600_302600_NS6detail15normal_iteratorINS9_10device_ptrIjEEEESE_jNS9_4plusIvEEjEEDaPvRmT3_T4_T5_mT6_P12ihipStream_tbENKUlT_T0_E_clISt17integral_constantIbLb1EESU_EEDaSP_SQ_EUlSP_E0_NS1_11comp_targetILNS1_3genE10ELNS1_11target_archE1200ELNS1_3gpuE4ELNS1_3repE0EEENS1_30default_config_static_selectorELNS0_4arch9wavefront6targetE1EEEvT1_
		.amdhsa_group_segment_fixed_size 0
		.amdhsa_private_segment_fixed_size 0
		.amdhsa_kernarg_size 32
		.amdhsa_user_sgpr_count 6
		.amdhsa_user_sgpr_private_segment_buffer 1
		.amdhsa_user_sgpr_dispatch_ptr 0
		.amdhsa_user_sgpr_queue_ptr 0
		.amdhsa_user_sgpr_kernarg_segment_ptr 1
		.amdhsa_user_sgpr_dispatch_id 0
		.amdhsa_user_sgpr_flat_scratch_init 0
		.amdhsa_user_sgpr_kernarg_preload_length 0
		.amdhsa_user_sgpr_kernarg_preload_offset 0
		.amdhsa_user_sgpr_private_segment_size 0
		.amdhsa_uses_dynamic_stack 0
		.amdhsa_system_sgpr_private_segment_wavefront_offset 0
		.amdhsa_system_sgpr_workgroup_id_x 1
		.amdhsa_system_sgpr_workgroup_id_y 0
		.amdhsa_system_sgpr_workgroup_id_z 0
		.amdhsa_system_sgpr_workgroup_info 0
		.amdhsa_system_vgpr_workitem_id 0
		.amdhsa_next_free_vgpr 1
		.amdhsa_next_free_sgpr 0
		.amdhsa_accum_offset 4
		.amdhsa_reserve_vcc 0
		.amdhsa_reserve_flat_scratch 0
		.amdhsa_float_round_mode_32 0
		.amdhsa_float_round_mode_16_64 0
		.amdhsa_float_denorm_mode_32 3
		.amdhsa_float_denorm_mode_16_64 3
		.amdhsa_dx10_clamp 1
		.amdhsa_ieee_mode 1
		.amdhsa_fp16_overflow 0
		.amdhsa_tg_split 0
		.amdhsa_exception_fp_ieee_invalid_op 0
		.amdhsa_exception_fp_denorm_src 0
		.amdhsa_exception_fp_ieee_div_zero 0
		.amdhsa_exception_fp_ieee_overflow 0
		.amdhsa_exception_fp_ieee_underflow 0
		.amdhsa_exception_fp_ieee_inexact 0
		.amdhsa_exception_int_div_zero 0
	.end_amdhsa_kernel
	.section	.text._ZN7rocprim17ROCPRIM_400000_NS6detail17trampoline_kernelINS0_14default_configENS1_20scan_config_selectorIjEEZZNS1_9scan_implILNS1_25lookback_scan_determinismE0ELb0ELb0ES3_N6thrust23THRUST_200600_302600_NS6detail15normal_iteratorINS9_10device_ptrIjEEEESE_jNS9_4plusIvEEjEEDaPvRmT3_T4_T5_mT6_P12ihipStream_tbENKUlT_T0_E_clISt17integral_constantIbLb1EESU_EEDaSP_SQ_EUlSP_E0_NS1_11comp_targetILNS1_3genE10ELNS1_11target_archE1200ELNS1_3gpuE4ELNS1_3repE0EEENS1_30default_config_static_selectorELNS0_4arch9wavefront6targetE1EEEvT1_,"axG",@progbits,_ZN7rocprim17ROCPRIM_400000_NS6detail17trampoline_kernelINS0_14default_configENS1_20scan_config_selectorIjEEZZNS1_9scan_implILNS1_25lookback_scan_determinismE0ELb0ELb0ES3_N6thrust23THRUST_200600_302600_NS6detail15normal_iteratorINS9_10device_ptrIjEEEESE_jNS9_4plusIvEEjEEDaPvRmT3_T4_T5_mT6_P12ihipStream_tbENKUlT_T0_E_clISt17integral_constantIbLb1EESU_EEDaSP_SQ_EUlSP_E0_NS1_11comp_targetILNS1_3genE10ELNS1_11target_archE1200ELNS1_3gpuE4ELNS1_3repE0EEENS1_30default_config_static_selectorELNS0_4arch9wavefront6targetE1EEEvT1_,comdat
.Lfunc_end4607:
	.size	_ZN7rocprim17ROCPRIM_400000_NS6detail17trampoline_kernelINS0_14default_configENS1_20scan_config_selectorIjEEZZNS1_9scan_implILNS1_25lookback_scan_determinismE0ELb0ELb0ES3_N6thrust23THRUST_200600_302600_NS6detail15normal_iteratorINS9_10device_ptrIjEEEESE_jNS9_4plusIvEEjEEDaPvRmT3_T4_T5_mT6_P12ihipStream_tbENKUlT_T0_E_clISt17integral_constantIbLb1EESU_EEDaSP_SQ_EUlSP_E0_NS1_11comp_targetILNS1_3genE10ELNS1_11target_archE1200ELNS1_3gpuE4ELNS1_3repE0EEENS1_30default_config_static_selectorELNS0_4arch9wavefront6targetE1EEEvT1_, .Lfunc_end4607-_ZN7rocprim17ROCPRIM_400000_NS6detail17trampoline_kernelINS0_14default_configENS1_20scan_config_selectorIjEEZZNS1_9scan_implILNS1_25lookback_scan_determinismE0ELb0ELb0ES3_N6thrust23THRUST_200600_302600_NS6detail15normal_iteratorINS9_10device_ptrIjEEEESE_jNS9_4plusIvEEjEEDaPvRmT3_T4_T5_mT6_P12ihipStream_tbENKUlT_T0_E_clISt17integral_constantIbLb1EESU_EEDaSP_SQ_EUlSP_E0_NS1_11comp_targetILNS1_3genE10ELNS1_11target_archE1200ELNS1_3gpuE4ELNS1_3repE0EEENS1_30default_config_static_selectorELNS0_4arch9wavefront6targetE1EEEvT1_
                                        ; -- End function
	.section	.AMDGPU.csdata,"",@progbits
; Kernel info:
; codeLenInByte = 0
; NumSgprs: 4
; NumVgprs: 0
; NumAgprs: 0
; TotalNumVgprs: 0
; ScratchSize: 0
; MemoryBound: 0
; FloatMode: 240
; IeeeMode: 1
; LDSByteSize: 0 bytes/workgroup (compile time only)
; SGPRBlocks: 0
; VGPRBlocks: 0
; NumSGPRsForWavesPerEU: 4
; NumVGPRsForWavesPerEU: 1
; AccumOffset: 4
; Occupancy: 8
; WaveLimiterHint : 0
; COMPUTE_PGM_RSRC2:SCRATCH_EN: 0
; COMPUTE_PGM_RSRC2:USER_SGPR: 6
; COMPUTE_PGM_RSRC2:TRAP_HANDLER: 0
; COMPUTE_PGM_RSRC2:TGID_X_EN: 1
; COMPUTE_PGM_RSRC2:TGID_Y_EN: 0
; COMPUTE_PGM_RSRC2:TGID_Z_EN: 0
; COMPUTE_PGM_RSRC2:TIDIG_COMP_CNT: 0
; COMPUTE_PGM_RSRC3_GFX90A:ACCUM_OFFSET: 0
; COMPUTE_PGM_RSRC3_GFX90A:TG_SPLIT: 0
	.section	.text._ZN7rocprim17ROCPRIM_400000_NS6detail17trampoline_kernelINS0_14default_configENS1_20scan_config_selectorIjEEZZNS1_9scan_implILNS1_25lookback_scan_determinismE0ELb0ELb0ES3_N6thrust23THRUST_200600_302600_NS6detail15normal_iteratorINS9_10device_ptrIjEEEESE_jNS9_4plusIvEEjEEDaPvRmT3_T4_T5_mT6_P12ihipStream_tbENKUlT_T0_E_clISt17integral_constantIbLb1EESU_EEDaSP_SQ_EUlSP_E0_NS1_11comp_targetILNS1_3genE9ELNS1_11target_archE1100ELNS1_3gpuE3ELNS1_3repE0EEENS1_30default_config_static_selectorELNS0_4arch9wavefront6targetE1EEEvT1_,"axG",@progbits,_ZN7rocprim17ROCPRIM_400000_NS6detail17trampoline_kernelINS0_14default_configENS1_20scan_config_selectorIjEEZZNS1_9scan_implILNS1_25lookback_scan_determinismE0ELb0ELb0ES3_N6thrust23THRUST_200600_302600_NS6detail15normal_iteratorINS9_10device_ptrIjEEEESE_jNS9_4plusIvEEjEEDaPvRmT3_T4_T5_mT6_P12ihipStream_tbENKUlT_T0_E_clISt17integral_constantIbLb1EESU_EEDaSP_SQ_EUlSP_E0_NS1_11comp_targetILNS1_3genE9ELNS1_11target_archE1100ELNS1_3gpuE3ELNS1_3repE0EEENS1_30default_config_static_selectorELNS0_4arch9wavefront6targetE1EEEvT1_,comdat
	.protected	_ZN7rocprim17ROCPRIM_400000_NS6detail17trampoline_kernelINS0_14default_configENS1_20scan_config_selectorIjEEZZNS1_9scan_implILNS1_25lookback_scan_determinismE0ELb0ELb0ES3_N6thrust23THRUST_200600_302600_NS6detail15normal_iteratorINS9_10device_ptrIjEEEESE_jNS9_4plusIvEEjEEDaPvRmT3_T4_T5_mT6_P12ihipStream_tbENKUlT_T0_E_clISt17integral_constantIbLb1EESU_EEDaSP_SQ_EUlSP_E0_NS1_11comp_targetILNS1_3genE9ELNS1_11target_archE1100ELNS1_3gpuE3ELNS1_3repE0EEENS1_30default_config_static_selectorELNS0_4arch9wavefront6targetE1EEEvT1_ ; -- Begin function _ZN7rocprim17ROCPRIM_400000_NS6detail17trampoline_kernelINS0_14default_configENS1_20scan_config_selectorIjEEZZNS1_9scan_implILNS1_25lookback_scan_determinismE0ELb0ELb0ES3_N6thrust23THRUST_200600_302600_NS6detail15normal_iteratorINS9_10device_ptrIjEEEESE_jNS9_4plusIvEEjEEDaPvRmT3_T4_T5_mT6_P12ihipStream_tbENKUlT_T0_E_clISt17integral_constantIbLb1EESU_EEDaSP_SQ_EUlSP_E0_NS1_11comp_targetILNS1_3genE9ELNS1_11target_archE1100ELNS1_3gpuE3ELNS1_3repE0EEENS1_30default_config_static_selectorELNS0_4arch9wavefront6targetE1EEEvT1_
	.globl	_ZN7rocprim17ROCPRIM_400000_NS6detail17trampoline_kernelINS0_14default_configENS1_20scan_config_selectorIjEEZZNS1_9scan_implILNS1_25lookback_scan_determinismE0ELb0ELb0ES3_N6thrust23THRUST_200600_302600_NS6detail15normal_iteratorINS9_10device_ptrIjEEEESE_jNS9_4plusIvEEjEEDaPvRmT3_T4_T5_mT6_P12ihipStream_tbENKUlT_T0_E_clISt17integral_constantIbLb1EESU_EEDaSP_SQ_EUlSP_E0_NS1_11comp_targetILNS1_3genE9ELNS1_11target_archE1100ELNS1_3gpuE3ELNS1_3repE0EEENS1_30default_config_static_selectorELNS0_4arch9wavefront6targetE1EEEvT1_
	.p2align	8
	.type	_ZN7rocprim17ROCPRIM_400000_NS6detail17trampoline_kernelINS0_14default_configENS1_20scan_config_selectorIjEEZZNS1_9scan_implILNS1_25lookback_scan_determinismE0ELb0ELb0ES3_N6thrust23THRUST_200600_302600_NS6detail15normal_iteratorINS9_10device_ptrIjEEEESE_jNS9_4plusIvEEjEEDaPvRmT3_T4_T5_mT6_P12ihipStream_tbENKUlT_T0_E_clISt17integral_constantIbLb1EESU_EEDaSP_SQ_EUlSP_E0_NS1_11comp_targetILNS1_3genE9ELNS1_11target_archE1100ELNS1_3gpuE3ELNS1_3repE0EEENS1_30default_config_static_selectorELNS0_4arch9wavefront6targetE1EEEvT1_,@function
_ZN7rocprim17ROCPRIM_400000_NS6detail17trampoline_kernelINS0_14default_configENS1_20scan_config_selectorIjEEZZNS1_9scan_implILNS1_25lookback_scan_determinismE0ELb0ELb0ES3_N6thrust23THRUST_200600_302600_NS6detail15normal_iteratorINS9_10device_ptrIjEEEESE_jNS9_4plusIvEEjEEDaPvRmT3_T4_T5_mT6_P12ihipStream_tbENKUlT_T0_E_clISt17integral_constantIbLb1EESU_EEDaSP_SQ_EUlSP_E0_NS1_11comp_targetILNS1_3genE9ELNS1_11target_archE1100ELNS1_3gpuE3ELNS1_3repE0EEENS1_30default_config_static_selectorELNS0_4arch9wavefront6targetE1EEEvT1_: ; @_ZN7rocprim17ROCPRIM_400000_NS6detail17trampoline_kernelINS0_14default_configENS1_20scan_config_selectorIjEEZZNS1_9scan_implILNS1_25lookback_scan_determinismE0ELb0ELb0ES3_N6thrust23THRUST_200600_302600_NS6detail15normal_iteratorINS9_10device_ptrIjEEEESE_jNS9_4plusIvEEjEEDaPvRmT3_T4_T5_mT6_P12ihipStream_tbENKUlT_T0_E_clISt17integral_constantIbLb1EESU_EEDaSP_SQ_EUlSP_E0_NS1_11comp_targetILNS1_3genE9ELNS1_11target_archE1100ELNS1_3gpuE3ELNS1_3repE0EEENS1_30default_config_static_selectorELNS0_4arch9wavefront6targetE1EEEvT1_
; %bb.0:
	.section	.rodata,"a",@progbits
	.p2align	6, 0x0
	.amdhsa_kernel _ZN7rocprim17ROCPRIM_400000_NS6detail17trampoline_kernelINS0_14default_configENS1_20scan_config_selectorIjEEZZNS1_9scan_implILNS1_25lookback_scan_determinismE0ELb0ELb0ES3_N6thrust23THRUST_200600_302600_NS6detail15normal_iteratorINS9_10device_ptrIjEEEESE_jNS9_4plusIvEEjEEDaPvRmT3_T4_T5_mT6_P12ihipStream_tbENKUlT_T0_E_clISt17integral_constantIbLb1EESU_EEDaSP_SQ_EUlSP_E0_NS1_11comp_targetILNS1_3genE9ELNS1_11target_archE1100ELNS1_3gpuE3ELNS1_3repE0EEENS1_30default_config_static_selectorELNS0_4arch9wavefront6targetE1EEEvT1_
		.amdhsa_group_segment_fixed_size 0
		.amdhsa_private_segment_fixed_size 0
		.amdhsa_kernarg_size 32
		.amdhsa_user_sgpr_count 6
		.amdhsa_user_sgpr_private_segment_buffer 1
		.amdhsa_user_sgpr_dispatch_ptr 0
		.amdhsa_user_sgpr_queue_ptr 0
		.amdhsa_user_sgpr_kernarg_segment_ptr 1
		.amdhsa_user_sgpr_dispatch_id 0
		.amdhsa_user_sgpr_flat_scratch_init 0
		.amdhsa_user_sgpr_kernarg_preload_length 0
		.amdhsa_user_sgpr_kernarg_preload_offset 0
		.amdhsa_user_sgpr_private_segment_size 0
		.amdhsa_uses_dynamic_stack 0
		.amdhsa_system_sgpr_private_segment_wavefront_offset 0
		.amdhsa_system_sgpr_workgroup_id_x 1
		.amdhsa_system_sgpr_workgroup_id_y 0
		.amdhsa_system_sgpr_workgroup_id_z 0
		.amdhsa_system_sgpr_workgroup_info 0
		.amdhsa_system_vgpr_workitem_id 0
		.amdhsa_next_free_vgpr 1
		.amdhsa_next_free_sgpr 0
		.amdhsa_accum_offset 4
		.amdhsa_reserve_vcc 0
		.amdhsa_reserve_flat_scratch 0
		.amdhsa_float_round_mode_32 0
		.amdhsa_float_round_mode_16_64 0
		.amdhsa_float_denorm_mode_32 3
		.amdhsa_float_denorm_mode_16_64 3
		.amdhsa_dx10_clamp 1
		.amdhsa_ieee_mode 1
		.amdhsa_fp16_overflow 0
		.amdhsa_tg_split 0
		.amdhsa_exception_fp_ieee_invalid_op 0
		.amdhsa_exception_fp_denorm_src 0
		.amdhsa_exception_fp_ieee_div_zero 0
		.amdhsa_exception_fp_ieee_overflow 0
		.amdhsa_exception_fp_ieee_underflow 0
		.amdhsa_exception_fp_ieee_inexact 0
		.amdhsa_exception_int_div_zero 0
	.end_amdhsa_kernel
	.section	.text._ZN7rocprim17ROCPRIM_400000_NS6detail17trampoline_kernelINS0_14default_configENS1_20scan_config_selectorIjEEZZNS1_9scan_implILNS1_25lookback_scan_determinismE0ELb0ELb0ES3_N6thrust23THRUST_200600_302600_NS6detail15normal_iteratorINS9_10device_ptrIjEEEESE_jNS9_4plusIvEEjEEDaPvRmT3_T4_T5_mT6_P12ihipStream_tbENKUlT_T0_E_clISt17integral_constantIbLb1EESU_EEDaSP_SQ_EUlSP_E0_NS1_11comp_targetILNS1_3genE9ELNS1_11target_archE1100ELNS1_3gpuE3ELNS1_3repE0EEENS1_30default_config_static_selectorELNS0_4arch9wavefront6targetE1EEEvT1_,"axG",@progbits,_ZN7rocprim17ROCPRIM_400000_NS6detail17trampoline_kernelINS0_14default_configENS1_20scan_config_selectorIjEEZZNS1_9scan_implILNS1_25lookback_scan_determinismE0ELb0ELb0ES3_N6thrust23THRUST_200600_302600_NS6detail15normal_iteratorINS9_10device_ptrIjEEEESE_jNS9_4plusIvEEjEEDaPvRmT3_T4_T5_mT6_P12ihipStream_tbENKUlT_T0_E_clISt17integral_constantIbLb1EESU_EEDaSP_SQ_EUlSP_E0_NS1_11comp_targetILNS1_3genE9ELNS1_11target_archE1100ELNS1_3gpuE3ELNS1_3repE0EEENS1_30default_config_static_selectorELNS0_4arch9wavefront6targetE1EEEvT1_,comdat
.Lfunc_end4608:
	.size	_ZN7rocprim17ROCPRIM_400000_NS6detail17trampoline_kernelINS0_14default_configENS1_20scan_config_selectorIjEEZZNS1_9scan_implILNS1_25lookback_scan_determinismE0ELb0ELb0ES3_N6thrust23THRUST_200600_302600_NS6detail15normal_iteratorINS9_10device_ptrIjEEEESE_jNS9_4plusIvEEjEEDaPvRmT3_T4_T5_mT6_P12ihipStream_tbENKUlT_T0_E_clISt17integral_constantIbLb1EESU_EEDaSP_SQ_EUlSP_E0_NS1_11comp_targetILNS1_3genE9ELNS1_11target_archE1100ELNS1_3gpuE3ELNS1_3repE0EEENS1_30default_config_static_selectorELNS0_4arch9wavefront6targetE1EEEvT1_, .Lfunc_end4608-_ZN7rocprim17ROCPRIM_400000_NS6detail17trampoline_kernelINS0_14default_configENS1_20scan_config_selectorIjEEZZNS1_9scan_implILNS1_25lookback_scan_determinismE0ELb0ELb0ES3_N6thrust23THRUST_200600_302600_NS6detail15normal_iteratorINS9_10device_ptrIjEEEESE_jNS9_4plusIvEEjEEDaPvRmT3_T4_T5_mT6_P12ihipStream_tbENKUlT_T0_E_clISt17integral_constantIbLb1EESU_EEDaSP_SQ_EUlSP_E0_NS1_11comp_targetILNS1_3genE9ELNS1_11target_archE1100ELNS1_3gpuE3ELNS1_3repE0EEENS1_30default_config_static_selectorELNS0_4arch9wavefront6targetE1EEEvT1_
                                        ; -- End function
	.section	.AMDGPU.csdata,"",@progbits
; Kernel info:
; codeLenInByte = 0
; NumSgprs: 4
; NumVgprs: 0
; NumAgprs: 0
; TotalNumVgprs: 0
; ScratchSize: 0
; MemoryBound: 0
; FloatMode: 240
; IeeeMode: 1
; LDSByteSize: 0 bytes/workgroup (compile time only)
; SGPRBlocks: 0
; VGPRBlocks: 0
; NumSGPRsForWavesPerEU: 4
; NumVGPRsForWavesPerEU: 1
; AccumOffset: 4
; Occupancy: 8
; WaveLimiterHint : 0
; COMPUTE_PGM_RSRC2:SCRATCH_EN: 0
; COMPUTE_PGM_RSRC2:USER_SGPR: 6
; COMPUTE_PGM_RSRC2:TRAP_HANDLER: 0
; COMPUTE_PGM_RSRC2:TGID_X_EN: 1
; COMPUTE_PGM_RSRC2:TGID_Y_EN: 0
; COMPUTE_PGM_RSRC2:TGID_Z_EN: 0
; COMPUTE_PGM_RSRC2:TIDIG_COMP_CNT: 0
; COMPUTE_PGM_RSRC3_GFX90A:ACCUM_OFFSET: 0
; COMPUTE_PGM_RSRC3_GFX90A:TG_SPLIT: 0
	.section	.text._ZN7rocprim17ROCPRIM_400000_NS6detail17trampoline_kernelINS0_14default_configENS1_20scan_config_selectorIjEEZZNS1_9scan_implILNS1_25lookback_scan_determinismE0ELb0ELb0ES3_N6thrust23THRUST_200600_302600_NS6detail15normal_iteratorINS9_10device_ptrIjEEEESE_jNS9_4plusIvEEjEEDaPvRmT3_T4_T5_mT6_P12ihipStream_tbENKUlT_T0_E_clISt17integral_constantIbLb1EESU_EEDaSP_SQ_EUlSP_E0_NS1_11comp_targetILNS1_3genE8ELNS1_11target_archE1030ELNS1_3gpuE2ELNS1_3repE0EEENS1_30default_config_static_selectorELNS0_4arch9wavefront6targetE1EEEvT1_,"axG",@progbits,_ZN7rocprim17ROCPRIM_400000_NS6detail17trampoline_kernelINS0_14default_configENS1_20scan_config_selectorIjEEZZNS1_9scan_implILNS1_25lookback_scan_determinismE0ELb0ELb0ES3_N6thrust23THRUST_200600_302600_NS6detail15normal_iteratorINS9_10device_ptrIjEEEESE_jNS9_4plusIvEEjEEDaPvRmT3_T4_T5_mT6_P12ihipStream_tbENKUlT_T0_E_clISt17integral_constantIbLb1EESU_EEDaSP_SQ_EUlSP_E0_NS1_11comp_targetILNS1_3genE8ELNS1_11target_archE1030ELNS1_3gpuE2ELNS1_3repE0EEENS1_30default_config_static_selectorELNS0_4arch9wavefront6targetE1EEEvT1_,comdat
	.protected	_ZN7rocprim17ROCPRIM_400000_NS6detail17trampoline_kernelINS0_14default_configENS1_20scan_config_selectorIjEEZZNS1_9scan_implILNS1_25lookback_scan_determinismE0ELb0ELb0ES3_N6thrust23THRUST_200600_302600_NS6detail15normal_iteratorINS9_10device_ptrIjEEEESE_jNS9_4plusIvEEjEEDaPvRmT3_T4_T5_mT6_P12ihipStream_tbENKUlT_T0_E_clISt17integral_constantIbLb1EESU_EEDaSP_SQ_EUlSP_E0_NS1_11comp_targetILNS1_3genE8ELNS1_11target_archE1030ELNS1_3gpuE2ELNS1_3repE0EEENS1_30default_config_static_selectorELNS0_4arch9wavefront6targetE1EEEvT1_ ; -- Begin function _ZN7rocprim17ROCPRIM_400000_NS6detail17trampoline_kernelINS0_14default_configENS1_20scan_config_selectorIjEEZZNS1_9scan_implILNS1_25lookback_scan_determinismE0ELb0ELb0ES3_N6thrust23THRUST_200600_302600_NS6detail15normal_iteratorINS9_10device_ptrIjEEEESE_jNS9_4plusIvEEjEEDaPvRmT3_T4_T5_mT6_P12ihipStream_tbENKUlT_T0_E_clISt17integral_constantIbLb1EESU_EEDaSP_SQ_EUlSP_E0_NS1_11comp_targetILNS1_3genE8ELNS1_11target_archE1030ELNS1_3gpuE2ELNS1_3repE0EEENS1_30default_config_static_selectorELNS0_4arch9wavefront6targetE1EEEvT1_
	.globl	_ZN7rocprim17ROCPRIM_400000_NS6detail17trampoline_kernelINS0_14default_configENS1_20scan_config_selectorIjEEZZNS1_9scan_implILNS1_25lookback_scan_determinismE0ELb0ELb0ES3_N6thrust23THRUST_200600_302600_NS6detail15normal_iteratorINS9_10device_ptrIjEEEESE_jNS9_4plusIvEEjEEDaPvRmT3_T4_T5_mT6_P12ihipStream_tbENKUlT_T0_E_clISt17integral_constantIbLb1EESU_EEDaSP_SQ_EUlSP_E0_NS1_11comp_targetILNS1_3genE8ELNS1_11target_archE1030ELNS1_3gpuE2ELNS1_3repE0EEENS1_30default_config_static_selectorELNS0_4arch9wavefront6targetE1EEEvT1_
	.p2align	8
	.type	_ZN7rocprim17ROCPRIM_400000_NS6detail17trampoline_kernelINS0_14default_configENS1_20scan_config_selectorIjEEZZNS1_9scan_implILNS1_25lookback_scan_determinismE0ELb0ELb0ES3_N6thrust23THRUST_200600_302600_NS6detail15normal_iteratorINS9_10device_ptrIjEEEESE_jNS9_4plusIvEEjEEDaPvRmT3_T4_T5_mT6_P12ihipStream_tbENKUlT_T0_E_clISt17integral_constantIbLb1EESU_EEDaSP_SQ_EUlSP_E0_NS1_11comp_targetILNS1_3genE8ELNS1_11target_archE1030ELNS1_3gpuE2ELNS1_3repE0EEENS1_30default_config_static_selectorELNS0_4arch9wavefront6targetE1EEEvT1_,@function
_ZN7rocprim17ROCPRIM_400000_NS6detail17trampoline_kernelINS0_14default_configENS1_20scan_config_selectorIjEEZZNS1_9scan_implILNS1_25lookback_scan_determinismE0ELb0ELb0ES3_N6thrust23THRUST_200600_302600_NS6detail15normal_iteratorINS9_10device_ptrIjEEEESE_jNS9_4plusIvEEjEEDaPvRmT3_T4_T5_mT6_P12ihipStream_tbENKUlT_T0_E_clISt17integral_constantIbLb1EESU_EEDaSP_SQ_EUlSP_E0_NS1_11comp_targetILNS1_3genE8ELNS1_11target_archE1030ELNS1_3gpuE2ELNS1_3repE0EEENS1_30default_config_static_selectorELNS0_4arch9wavefront6targetE1EEEvT1_: ; @_ZN7rocprim17ROCPRIM_400000_NS6detail17trampoline_kernelINS0_14default_configENS1_20scan_config_selectorIjEEZZNS1_9scan_implILNS1_25lookback_scan_determinismE0ELb0ELb0ES3_N6thrust23THRUST_200600_302600_NS6detail15normal_iteratorINS9_10device_ptrIjEEEESE_jNS9_4plusIvEEjEEDaPvRmT3_T4_T5_mT6_P12ihipStream_tbENKUlT_T0_E_clISt17integral_constantIbLb1EESU_EEDaSP_SQ_EUlSP_E0_NS1_11comp_targetILNS1_3genE8ELNS1_11target_archE1030ELNS1_3gpuE2ELNS1_3repE0EEENS1_30default_config_static_selectorELNS0_4arch9wavefront6targetE1EEEvT1_
; %bb.0:
	.section	.rodata,"a",@progbits
	.p2align	6, 0x0
	.amdhsa_kernel _ZN7rocprim17ROCPRIM_400000_NS6detail17trampoline_kernelINS0_14default_configENS1_20scan_config_selectorIjEEZZNS1_9scan_implILNS1_25lookback_scan_determinismE0ELb0ELb0ES3_N6thrust23THRUST_200600_302600_NS6detail15normal_iteratorINS9_10device_ptrIjEEEESE_jNS9_4plusIvEEjEEDaPvRmT3_T4_T5_mT6_P12ihipStream_tbENKUlT_T0_E_clISt17integral_constantIbLb1EESU_EEDaSP_SQ_EUlSP_E0_NS1_11comp_targetILNS1_3genE8ELNS1_11target_archE1030ELNS1_3gpuE2ELNS1_3repE0EEENS1_30default_config_static_selectorELNS0_4arch9wavefront6targetE1EEEvT1_
		.amdhsa_group_segment_fixed_size 0
		.amdhsa_private_segment_fixed_size 0
		.amdhsa_kernarg_size 32
		.amdhsa_user_sgpr_count 6
		.amdhsa_user_sgpr_private_segment_buffer 1
		.amdhsa_user_sgpr_dispatch_ptr 0
		.amdhsa_user_sgpr_queue_ptr 0
		.amdhsa_user_sgpr_kernarg_segment_ptr 1
		.amdhsa_user_sgpr_dispatch_id 0
		.amdhsa_user_sgpr_flat_scratch_init 0
		.amdhsa_user_sgpr_kernarg_preload_length 0
		.amdhsa_user_sgpr_kernarg_preload_offset 0
		.amdhsa_user_sgpr_private_segment_size 0
		.amdhsa_uses_dynamic_stack 0
		.amdhsa_system_sgpr_private_segment_wavefront_offset 0
		.amdhsa_system_sgpr_workgroup_id_x 1
		.amdhsa_system_sgpr_workgroup_id_y 0
		.amdhsa_system_sgpr_workgroup_id_z 0
		.amdhsa_system_sgpr_workgroup_info 0
		.amdhsa_system_vgpr_workitem_id 0
		.amdhsa_next_free_vgpr 1
		.amdhsa_next_free_sgpr 0
		.amdhsa_accum_offset 4
		.amdhsa_reserve_vcc 0
		.amdhsa_reserve_flat_scratch 0
		.amdhsa_float_round_mode_32 0
		.amdhsa_float_round_mode_16_64 0
		.amdhsa_float_denorm_mode_32 3
		.amdhsa_float_denorm_mode_16_64 3
		.amdhsa_dx10_clamp 1
		.amdhsa_ieee_mode 1
		.amdhsa_fp16_overflow 0
		.amdhsa_tg_split 0
		.amdhsa_exception_fp_ieee_invalid_op 0
		.amdhsa_exception_fp_denorm_src 0
		.amdhsa_exception_fp_ieee_div_zero 0
		.amdhsa_exception_fp_ieee_overflow 0
		.amdhsa_exception_fp_ieee_underflow 0
		.amdhsa_exception_fp_ieee_inexact 0
		.amdhsa_exception_int_div_zero 0
	.end_amdhsa_kernel
	.section	.text._ZN7rocprim17ROCPRIM_400000_NS6detail17trampoline_kernelINS0_14default_configENS1_20scan_config_selectorIjEEZZNS1_9scan_implILNS1_25lookback_scan_determinismE0ELb0ELb0ES3_N6thrust23THRUST_200600_302600_NS6detail15normal_iteratorINS9_10device_ptrIjEEEESE_jNS9_4plusIvEEjEEDaPvRmT3_T4_T5_mT6_P12ihipStream_tbENKUlT_T0_E_clISt17integral_constantIbLb1EESU_EEDaSP_SQ_EUlSP_E0_NS1_11comp_targetILNS1_3genE8ELNS1_11target_archE1030ELNS1_3gpuE2ELNS1_3repE0EEENS1_30default_config_static_selectorELNS0_4arch9wavefront6targetE1EEEvT1_,"axG",@progbits,_ZN7rocprim17ROCPRIM_400000_NS6detail17trampoline_kernelINS0_14default_configENS1_20scan_config_selectorIjEEZZNS1_9scan_implILNS1_25lookback_scan_determinismE0ELb0ELb0ES3_N6thrust23THRUST_200600_302600_NS6detail15normal_iteratorINS9_10device_ptrIjEEEESE_jNS9_4plusIvEEjEEDaPvRmT3_T4_T5_mT6_P12ihipStream_tbENKUlT_T0_E_clISt17integral_constantIbLb1EESU_EEDaSP_SQ_EUlSP_E0_NS1_11comp_targetILNS1_3genE8ELNS1_11target_archE1030ELNS1_3gpuE2ELNS1_3repE0EEENS1_30default_config_static_selectorELNS0_4arch9wavefront6targetE1EEEvT1_,comdat
.Lfunc_end4609:
	.size	_ZN7rocprim17ROCPRIM_400000_NS6detail17trampoline_kernelINS0_14default_configENS1_20scan_config_selectorIjEEZZNS1_9scan_implILNS1_25lookback_scan_determinismE0ELb0ELb0ES3_N6thrust23THRUST_200600_302600_NS6detail15normal_iteratorINS9_10device_ptrIjEEEESE_jNS9_4plusIvEEjEEDaPvRmT3_T4_T5_mT6_P12ihipStream_tbENKUlT_T0_E_clISt17integral_constantIbLb1EESU_EEDaSP_SQ_EUlSP_E0_NS1_11comp_targetILNS1_3genE8ELNS1_11target_archE1030ELNS1_3gpuE2ELNS1_3repE0EEENS1_30default_config_static_selectorELNS0_4arch9wavefront6targetE1EEEvT1_, .Lfunc_end4609-_ZN7rocprim17ROCPRIM_400000_NS6detail17trampoline_kernelINS0_14default_configENS1_20scan_config_selectorIjEEZZNS1_9scan_implILNS1_25lookback_scan_determinismE0ELb0ELb0ES3_N6thrust23THRUST_200600_302600_NS6detail15normal_iteratorINS9_10device_ptrIjEEEESE_jNS9_4plusIvEEjEEDaPvRmT3_T4_T5_mT6_P12ihipStream_tbENKUlT_T0_E_clISt17integral_constantIbLb1EESU_EEDaSP_SQ_EUlSP_E0_NS1_11comp_targetILNS1_3genE8ELNS1_11target_archE1030ELNS1_3gpuE2ELNS1_3repE0EEENS1_30default_config_static_selectorELNS0_4arch9wavefront6targetE1EEEvT1_
                                        ; -- End function
	.section	.AMDGPU.csdata,"",@progbits
; Kernel info:
; codeLenInByte = 0
; NumSgprs: 4
; NumVgprs: 0
; NumAgprs: 0
; TotalNumVgprs: 0
; ScratchSize: 0
; MemoryBound: 0
; FloatMode: 240
; IeeeMode: 1
; LDSByteSize: 0 bytes/workgroup (compile time only)
; SGPRBlocks: 0
; VGPRBlocks: 0
; NumSGPRsForWavesPerEU: 4
; NumVGPRsForWavesPerEU: 1
; AccumOffset: 4
; Occupancy: 8
; WaveLimiterHint : 0
; COMPUTE_PGM_RSRC2:SCRATCH_EN: 0
; COMPUTE_PGM_RSRC2:USER_SGPR: 6
; COMPUTE_PGM_RSRC2:TRAP_HANDLER: 0
; COMPUTE_PGM_RSRC2:TGID_X_EN: 1
; COMPUTE_PGM_RSRC2:TGID_Y_EN: 0
; COMPUTE_PGM_RSRC2:TGID_Z_EN: 0
; COMPUTE_PGM_RSRC2:TIDIG_COMP_CNT: 0
; COMPUTE_PGM_RSRC3_GFX90A:ACCUM_OFFSET: 0
; COMPUTE_PGM_RSRC3_GFX90A:TG_SPLIT: 0
	.section	.text._ZN7rocprim17ROCPRIM_400000_NS6detail17trampoline_kernelINS0_14default_configENS1_20scan_config_selectorIjEEZZNS1_9scan_implILNS1_25lookback_scan_determinismE0ELb0ELb0ES3_N6thrust23THRUST_200600_302600_NS6detail15normal_iteratorINS9_10device_ptrIjEEEESE_jNS9_4plusIvEEjEEDaPvRmT3_T4_T5_mT6_P12ihipStream_tbENKUlT_T0_E_clISt17integral_constantIbLb1EEST_IbLb0EEEEDaSP_SQ_EUlSP_E_NS1_11comp_targetILNS1_3genE0ELNS1_11target_archE4294967295ELNS1_3gpuE0ELNS1_3repE0EEENS1_30default_config_static_selectorELNS0_4arch9wavefront6targetE1EEEvT1_,"axG",@progbits,_ZN7rocprim17ROCPRIM_400000_NS6detail17trampoline_kernelINS0_14default_configENS1_20scan_config_selectorIjEEZZNS1_9scan_implILNS1_25lookback_scan_determinismE0ELb0ELb0ES3_N6thrust23THRUST_200600_302600_NS6detail15normal_iteratorINS9_10device_ptrIjEEEESE_jNS9_4plusIvEEjEEDaPvRmT3_T4_T5_mT6_P12ihipStream_tbENKUlT_T0_E_clISt17integral_constantIbLb1EEST_IbLb0EEEEDaSP_SQ_EUlSP_E_NS1_11comp_targetILNS1_3genE0ELNS1_11target_archE4294967295ELNS1_3gpuE0ELNS1_3repE0EEENS1_30default_config_static_selectorELNS0_4arch9wavefront6targetE1EEEvT1_,comdat
	.protected	_ZN7rocprim17ROCPRIM_400000_NS6detail17trampoline_kernelINS0_14default_configENS1_20scan_config_selectorIjEEZZNS1_9scan_implILNS1_25lookback_scan_determinismE0ELb0ELb0ES3_N6thrust23THRUST_200600_302600_NS6detail15normal_iteratorINS9_10device_ptrIjEEEESE_jNS9_4plusIvEEjEEDaPvRmT3_T4_T5_mT6_P12ihipStream_tbENKUlT_T0_E_clISt17integral_constantIbLb1EEST_IbLb0EEEEDaSP_SQ_EUlSP_E_NS1_11comp_targetILNS1_3genE0ELNS1_11target_archE4294967295ELNS1_3gpuE0ELNS1_3repE0EEENS1_30default_config_static_selectorELNS0_4arch9wavefront6targetE1EEEvT1_ ; -- Begin function _ZN7rocprim17ROCPRIM_400000_NS6detail17trampoline_kernelINS0_14default_configENS1_20scan_config_selectorIjEEZZNS1_9scan_implILNS1_25lookback_scan_determinismE0ELb0ELb0ES3_N6thrust23THRUST_200600_302600_NS6detail15normal_iteratorINS9_10device_ptrIjEEEESE_jNS9_4plusIvEEjEEDaPvRmT3_T4_T5_mT6_P12ihipStream_tbENKUlT_T0_E_clISt17integral_constantIbLb1EEST_IbLb0EEEEDaSP_SQ_EUlSP_E_NS1_11comp_targetILNS1_3genE0ELNS1_11target_archE4294967295ELNS1_3gpuE0ELNS1_3repE0EEENS1_30default_config_static_selectorELNS0_4arch9wavefront6targetE1EEEvT1_
	.globl	_ZN7rocprim17ROCPRIM_400000_NS6detail17trampoline_kernelINS0_14default_configENS1_20scan_config_selectorIjEEZZNS1_9scan_implILNS1_25lookback_scan_determinismE0ELb0ELb0ES3_N6thrust23THRUST_200600_302600_NS6detail15normal_iteratorINS9_10device_ptrIjEEEESE_jNS9_4plusIvEEjEEDaPvRmT3_T4_T5_mT6_P12ihipStream_tbENKUlT_T0_E_clISt17integral_constantIbLb1EEST_IbLb0EEEEDaSP_SQ_EUlSP_E_NS1_11comp_targetILNS1_3genE0ELNS1_11target_archE4294967295ELNS1_3gpuE0ELNS1_3repE0EEENS1_30default_config_static_selectorELNS0_4arch9wavefront6targetE1EEEvT1_
	.p2align	8
	.type	_ZN7rocprim17ROCPRIM_400000_NS6detail17trampoline_kernelINS0_14default_configENS1_20scan_config_selectorIjEEZZNS1_9scan_implILNS1_25lookback_scan_determinismE0ELb0ELb0ES3_N6thrust23THRUST_200600_302600_NS6detail15normal_iteratorINS9_10device_ptrIjEEEESE_jNS9_4plusIvEEjEEDaPvRmT3_T4_T5_mT6_P12ihipStream_tbENKUlT_T0_E_clISt17integral_constantIbLb1EEST_IbLb0EEEEDaSP_SQ_EUlSP_E_NS1_11comp_targetILNS1_3genE0ELNS1_11target_archE4294967295ELNS1_3gpuE0ELNS1_3repE0EEENS1_30default_config_static_selectorELNS0_4arch9wavefront6targetE1EEEvT1_,@function
_ZN7rocprim17ROCPRIM_400000_NS6detail17trampoline_kernelINS0_14default_configENS1_20scan_config_selectorIjEEZZNS1_9scan_implILNS1_25lookback_scan_determinismE0ELb0ELb0ES3_N6thrust23THRUST_200600_302600_NS6detail15normal_iteratorINS9_10device_ptrIjEEEESE_jNS9_4plusIvEEjEEDaPvRmT3_T4_T5_mT6_P12ihipStream_tbENKUlT_T0_E_clISt17integral_constantIbLb1EEST_IbLb0EEEEDaSP_SQ_EUlSP_E_NS1_11comp_targetILNS1_3genE0ELNS1_11target_archE4294967295ELNS1_3gpuE0ELNS1_3repE0EEENS1_30default_config_static_selectorELNS0_4arch9wavefront6targetE1EEEvT1_: ; @_ZN7rocprim17ROCPRIM_400000_NS6detail17trampoline_kernelINS0_14default_configENS1_20scan_config_selectorIjEEZZNS1_9scan_implILNS1_25lookback_scan_determinismE0ELb0ELb0ES3_N6thrust23THRUST_200600_302600_NS6detail15normal_iteratorINS9_10device_ptrIjEEEESE_jNS9_4plusIvEEjEEDaPvRmT3_T4_T5_mT6_P12ihipStream_tbENKUlT_T0_E_clISt17integral_constantIbLb1EEST_IbLb0EEEEDaSP_SQ_EUlSP_E_NS1_11comp_targetILNS1_3genE0ELNS1_11target_archE4294967295ELNS1_3gpuE0ELNS1_3repE0EEENS1_30default_config_static_selectorELNS0_4arch9wavefront6targetE1EEEvT1_
; %bb.0:
	.section	.rodata,"a",@progbits
	.p2align	6, 0x0
	.amdhsa_kernel _ZN7rocprim17ROCPRIM_400000_NS6detail17trampoline_kernelINS0_14default_configENS1_20scan_config_selectorIjEEZZNS1_9scan_implILNS1_25lookback_scan_determinismE0ELb0ELb0ES3_N6thrust23THRUST_200600_302600_NS6detail15normal_iteratorINS9_10device_ptrIjEEEESE_jNS9_4plusIvEEjEEDaPvRmT3_T4_T5_mT6_P12ihipStream_tbENKUlT_T0_E_clISt17integral_constantIbLb1EEST_IbLb0EEEEDaSP_SQ_EUlSP_E_NS1_11comp_targetILNS1_3genE0ELNS1_11target_archE4294967295ELNS1_3gpuE0ELNS1_3repE0EEENS1_30default_config_static_selectorELNS0_4arch9wavefront6targetE1EEEvT1_
		.amdhsa_group_segment_fixed_size 0
		.amdhsa_private_segment_fixed_size 0
		.amdhsa_kernarg_size 96
		.amdhsa_user_sgpr_count 6
		.amdhsa_user_sgpr_private_segment_buffer 1
		.amdhsa_user_sgpr_dispatch_ptr 0
		.amdhsa_user_sgpr_queue_ptr 0
		.amdhsa_user_sgpr_kernarg_segment_ptr 1
		.amdhsa_user_sgpr_dispatch_id 0
		.amdhsa_user_sgpr_flat_scratch_init 0
		.amdhsa_user_sgpr_kernarg_preload_length 0
		.amdhsa_user_sgpr_kernarg_preload_offset 0
		.amdhsa_user_sgpr_private_segment_size 0
		.amdhsa_uses_dynamic_stack 0
		.amdhsa_system_sgpr_private_segment_wavefront_offset 0
		.amdhsa_system_sgpr_workgroup_id_x 1
		.amdhsa_system_sgpr_workgroup_id_y 0
		.amdhsa_system_sgpr_workgroup_id_z 0
		.amdhsa_system_sgpr_workgroup_info 0
		.amdhsa_system_vgpr_workitem_id 0
		.amdhsa_next_free_vgpr 1
		.amdhsa_next_free_sgpr 0
		.amdhsa_accum_offset 4
		.amdhsa_reserve_vcc 0
		.amdhsa_reserve_flat_scratch 0
		.amdhsa_float_round_mode_32 0
		.amdhsa_float_round_mode_16_64 0
		.amdhsa_float_denorm_mode_32 3
		.amdhsa_float_denorm_mode_16_64 3
		.amdhsa_dx10_clamp 1
		.amdhsa_ieee_mode 1
		.amdhsa_fp16_overflow 0
		.amdhsa_tg_split 0
		.amdhsa_exception_fp_ieee_invalid_op 0
		.amdhsa_exception_fp_denorm_src 0
		.amdhsa_exception_fp_ieee_div_zero 0
		.amdhsa_exception_fp_ieee_overflow 0
		.amdhsa_exception_fp_ieee_underflow 0
		.amdhsa_exception_fp_ieee_inexact 0
		.amdhsa_exception_int_div_zero 0
	.end_amdhsa_kernel
	.section	.text._ZN7rocprim17ROCPRIM_400000_NS6detail17trampoline_kernelINS0_14default_configENS1_20scan_config_selectorIjEEZZNS1_9scan_implILNS1_25lookback_scan_determinismE0ELb0ELb0ES3_N6thrust23THRUST_200600_302600_NS6detail15normal_iteratorINS9_10device_ptrIjEEEESE_jNS9_4plusIvEEjEEDaPvRmT3_T4_T5_mT6_P12ihipStream_tbENKUlT_T0_E_clISt17integral_constantIbLb1EEST_IbLb0EEEEDaSP_SQ_EUlSP_E_NS1_11comp_targetILNS1_3genE0ELNS1_11target_archE4294967295ELNS1_3gpuE0ELNS1_3repE0EEENS1_30default_config_static_selectorELNS0_4arch9wavefront6targetE1EEEvT1_,"axG",@progbits,_ZN7rocprim17ROCPRIM_400000_NS6detail17trampoline_kernelINS0_14default_configENS1_20scan_config_selectorIjEEZZNS1_9scan_implILNS1_25lookback_scan_determinismE0ELb0ELb0ES3_N6thrust23THRUST_200600_302600_NS6detail15normal_iteratorINS9_10device_ptrIjEEEESE_jNS9_4plusIvEEjEEDaPvRmT3_T4_T5_mT6_P12ihipStream_tbENKUlT_T0_E_clISt17integral_constantIbLb1EEST_IbLb0EEEEDaSP_SQ_EUlSP_E_NS1_11comp_targetILNS1_3genE0ELNS1_11target_archE4294967295ELNS1_3gpuE0ELNS1_3repE0EEENS1_30default_config_static_selectorELNS0_4arch9wavefront6targetE1EEEvT1_,comdat
.Lfunc_end4610:
	.size	_ZN7rocprim17ROCPRIM_400000_NS6detail17trampoline_kernelINS0_14default_configENS1_20scan_config_selectorIjEEZZNS1_9scan_implILNS1_25lookback_scan_determinismE0ELb0ELb0ES3_N6thrust23THRUST_200600_302600_NS6detail15normal_iteratorINS9_10device_ptrIjEEEESE_jNS9_4plusIvEEjEEDaPvRmT3_T4_T5_mT6_P12ihipStream_tbENKUlT_T0_E_clISt17integral_constantIbLb1EEST_IbLb0EEEEDaSP_SQ_EUlSP_E_NS1_11comp_targetILNS1_3genE0ELNS1_11target_archE4294967295ELNS1_3gpuE0ELNS1_3repE0EEENS1_30default_config_static_selectorELNS0_4arch9wavefront6targetE1EEEvT1_, .Lfunc_end4610-_ZN7rocprim17ROCPRIM_400000_NS6detail17trampoline_kernelINS0_14default_configENS1_20scan_config_selectorIjEEZZNS1_9scan_implILNS1_25lookback_scan_determinismE0ELb0ELb0ES3_N6thrust23THRUST_200600_302600_NS6detail15normal_iteratorINS9_10device_ptrIjEEEESE_jNS9_4plusIvEEjEEDaPvRmT3_T4_T5_mT6_P12ihipStream_tbENKUlT_T0_E_clISt17integral_constantIbLb1EEST_IbLb0EEEEDaSP_SQ_EUlSP_E_NS1_11comp_targetILNS1_3genE0ELNS1_11target_archE4294967295ELNS1_3gpuE0ELNS1_3repE0EEENS1_30default_config_static_selectorELNS0_4arch9wavefront6targetE1EEEvT1_
                                        ; -- End function
	.section	.AMDGPU.csdata,"",@progbits
; Kernel info:
; codeLenInByte = 0
; NumSgprs: 4
; NumVgprs: 0
; NumAgprs: 0
; TotalNumVgprs: 0
; ScratchSize: 0
; MemoryBound: 0
; FloatMode: 240
; IeeeMode: 1
; LDSByteSize: 0 bytes/workgroup (compile time only)
; SGPRBlocks: 0
; VGPRBlocks: 0
; NumSGPRsForWavesPerEU: 4
; NumVGPRsForWavesPerEU: 1
; AccumOffset: 4
; Occupancy: 8
; WaveLimiterHint : 0
; COMPUTE_PGM_RSRC2:SCRATCH_EN: 0
; COMPUTE_PGM_RSRC2:USER_SGPR: 6
; COMPUTE_PGM_RSRC2:TRAP_HANDLER: 0
; COMPUTE_PGM_RSRC2:TGID_X_EN: 1
; COMPUTE_PGM_RSRC2:TGID_Y_EN: 0
; COMPUTE_PGM_RSRC2:TGID_Z_EN: 0
; COMPUTE_PGM_RSRC2:TIDIG_COMP_CNT: 0
; COMPUTE_PGM_RSRC3_GFX90A:ACCUM_OFFSET: 0
; COMPUTE_PGM_RSRC3_GFX90A:TG_SPLIT: 0
	.section	.text._ZN7rocprim17ROCPRIM_400000_NS6detail17trampoline_kernelINS0_14default_configENS1_20scan_config_selectorIjEEZZNS1_9scan_implILNS1_25lookback_scan_determinismE0ELb0ELb0ES3_N6thrust23THRUST_200600_302600_NS6detail15normal_iteratorINS9_10device_ptrIjEEEESE_jNS9_4plusIvEEjEEDaPvRmT3_T4_T5_mT6_P12ihipStream_tbENKUlT_T0_E_clISt17integral_constantIbLb1EEST_IbLb0EEEEDaSP_SQ_EUlSP_E_NS1_11comp_targetILNS1_3genE5ELNS1_11target_archE942ELNS1_3gpuE9ELNS1_3repE0EEENS1_30default_config_static_selectorELNS0_4arch9wavefront6targetE1EEEvT1_,"axG",@progbits,_ZN7rocprim17ROCPRIM_400000_NS6detail17trampoline_kernelINS0_14default_configENS1_20scan_config_selectorIjEEZZNS1_9scan_implILNS1_25lookback_scan_determinismE0ELb0ELb0ES3_N6thrust23THRUST_200600_302600_NS6detail15normal_iteratorINS9_10device_ptrIjEEEESE_jNS9_4plusIvEEjEEDaPvRmT3_T4_T5_mT6_P12ihipStream_tbENKUlT_T0_E_clISt17integral_constantIbLb1EEST_IbLb0EEEEDaSP_SQ_EUlSP_E_NS1_11comp_targetILNS1_3genE5ELNS1_11target_archE942ELNS1_3gpuE9ELNS1_3repE0EEENS1_30default_config_static_selectorELNS0_4arch9wavefront6targetE1EEEvT1_,comdat
	.protected	_ZN7rocprim17ROCPRIM_400000_NS6detail17trampoline_kernelINS0_14default_configENS1_20scan_config_selectorIjEEZZNS1_9scan_implILNS1_25lookback_scan_determinismE0ELb0ELb0ES3_N6thrust23THRUST_200600_302600_NS6detail15normal_iteratorINS9_10device_ptrIjEEEESE_jNS9_4plusIvEEjEEDaPvRmT3_T4_T5_mT6_P12ihipStream_tbENKUlT_T0_E_clISt17integral_constantIbLb1EEST_IbLb0EEEEDaSP_SQ_EUlSP_E_NS1_11comp_targetILNS1_3genE5ELNS1_11target_archE942ELNS1_3gpuE9ELNS1_3repE0EEENS1_30default_config_static_selectorELNS0_4arch9wavefront6targetE1EEEvT1_ ; -- Begin function _ZN7rocprim17ROCPRIM_400000_NS6detail17trampoline_kernelINS0_14default_configENS1_20scan_config_selectorIjEEZZNS1_9scan_implILNS1_25lookback_scan_determinismE0ELb0ELb0ES3_N6thrust23THRUST_200600_302600_NS6detail15normal_iteratorINS9_10device_ptrIjEEEESE_jNS9_4plusIvEEjEEDaPvRmT3_T4_T5_mT6_P12ihipStream_tbENKUlT_T0_E_clISt17integral_constantIbLb1EEST_IbLb0EEEEDaSP_SQ_EUlSP_E_NS1_11comp_targetILNS1_3genE5ELNS1_11target_archE942ELNS1_3gpuE9ELNS1_3repE0EEENS1_30default_config_static_selectorELNS0_4arch9wavefront6targetE1EEEvT1_
	.globl	_ZN7rocprim17ROCPRIM_400000_NS6detail17trampoline_kernelINS0_14default_configENS1_20scan_config_selectorIjEEZZNS1_9scan_implILNS1_25lookback_scan_determinismE0ELb0ELb0ES3_N6thrust23THRUST_200600_302600_NS6detail15normal_iteratorINS9_10device_ptrIjEEEESE_jNS9_4plusIvEEjEEDaPvRmT3_T4_T5_mT6_P12ihipStream_tbENKUlT_T0_E_clISt17integral_constantIbLb1EEST_IbLb0EEEEDaSP_SQ_EUlSP_E_NS1_11comp_targetILNS1_3genE5ELNS1_11target_archE942ELNS1_3gpuE9ELNS1_3repE0EEENS1_30default_config_static_selectorELNS0_4arch9wavefront6targetE1EEEvT1_
	.p2align	8
	.type	_ZN7rocprim17ROCPRIM_400000_NS6detail17trampoline_kernelINS0_14default_configENS1_20scan_config_selectorIjEEZZNS1_9scan_implILNS1_25lookback_scan_determinismE0ELb0ELb0ES3_N6thrust23THRUST_200600_302600_NS6detail15normal_iteratorINS9_10device_ptrIjEEEESE_jNS9_4plusIvEEjEEDaPvRmT3_T4_T5_mT6_P12ihipStream_tbENKUlT_T0_E_clISt17integral_constantIbLb1EEST_IbLb0EEEEDaSP_SQ_EUlSP_E_NS1_11comp_targetILNS1_3genE5ELNS1_11target_archE942ELNS1_3gpuE9ELNS1_3repE0EEENS1_30default_config_static_selectorELNS0_4arch9wavefront6targetE1EEEvT1_,@function
_ZN7rocprim17ROCPRIM_400000_NS6detail17trampoline_kernelINS0_14default_configENS1_20scan_config_selectorIjEEZZNS1_9scan_implILNS1_25lookback_scan_determinismE0ELb0ELb0ES3_N6thrust23THRUST_200600_302600_NS6detail15normal_iteratorINS9_10device_ptrIjEEEESE_jNS9_4plusIvEEjEEDaPvRmT3_T4_T5_mT6_P12ihipStream_tbENKUlT_T0_E_clISt17integral_constantIbLb1EEST_IbLb0EEEEDaSP_SQ_EUlSP_E_NS1_11comp_targetILNS1_3genE5ELNS1_11target_archE942ELNS1_3gpuE9ELNS1_3repE0EEENS1_30default_config_static_selectorELNS0_4arch9wavefront6targetE1EEEvT1_: ; @_ZN7rocprim17ROCPRIM_400000_NS6detail17trampoline_kernelINS0_14default_configENS1_20scan_config_selectorIjEEZZNS1_9scan_implILNS1_25lookback_scan_determinismE0ELb0ELb0ES3_N6thrust23THRUST_200600_302600_NS6detail15normal_iteratorINS9_10device_ptrIjEEEESE_jNS9_4plusIvEEjEEDaPvRmT3_T4_T5_mT6_P12ihipStream_tbENKUlT_T0_E_clISt17integral_constantIbLb1EEST_IbLb0EEEEDaSP_SQ_EUlSP_E_NS1_11comp_targetILNS1_3genE5ELNS1_11target_archE942ELNS1_3gpuE9ELNS1_3repE0EEENS1_30default_config_static_selectorELNS0_4arch9wavefront6targetE1EEEvT1_
; %bb.0:
	.section	.rodata,"a",@progbits
	.p2align	6, 0x0
	.amdhsa_kernel _ZN7rocprim17ROCPRIM_400000_NS6detail17trampoline_kernelINS0_14default_configENS1_20scan_config_selectorIjEEZZNS1_9scan_implILNS1_25lookback_scan_determinismE0ELb0ELb0ES3_N6thrust23THRUST_200600_302600_NS6detail15normal_iteratorINS9_10device_ptrIjEEEESE_jNS9_4plusIvEEjEEDaPvRmT3_T4_T5_mT6_P12ihipStream_tbENKUlT_T0_E_clISt17integral_constantIbLb1EEST_IbLb0EEEEDaSP_SQ_EUlSP_E_NS1_11comp_targetILNS1_3genE5ELNS1_11target_archE942ELNS1_3gpuE9ELNS1_3repE0EEENS1_30default_config_static_selectorELNS0_4arch9wavefront6targetE1EEEvT1_
		.amdhsa_group_segment_fixed_size 0
		.amdhsa_private_segment_fixed_size 0
		.amdhsa_kernarg_size 96
		.amdhsa_user_sgpr_count 6
		.amdhsa_user_sgpr_private_segment_buffer 1
		.amdhsa_user_sgpr_dispatch_ptr 0
		.amdhsa_user_sgpr_queue_ptr 0
		.amdhsa_user_sgpr_kernarg_segment_ptr 1
		.amdhsa_user_sgpr_dispatch_id 0
		.amdhsa_user_sgpr_flat_scratch_init 0
		.amdhsa_user_sgpr_kernarg_preload_length 0
		.amdhsa_user_sgpr_kernarg_preload_offset 0
		.amdhsa_user_sgpr_private_segment_size 0
		.amdhsa_uses_dynamic_stack 0
		.amdhsa_system_sgpr_private_segment_wavefront_offset 0
		.amdhsa_system_sgpr_workgroup_id_x 1
		.amdhsa_system_sgpr_workgroup_id_y 0
		.amdhsa_system_sgpr_workgroup_id_z 0
		.amdhsa_system_sgpr_workgroup_info 0
		.amdhsa_system_vgpr_workitem_id 0
		.amdhsa_next_free_vgpr 1
		.amdhsa_next_free_sgpr 0
		.amdhsa_accum_offset 4
		.amdhsa_reserve_vcc 0
		.amdhsa_reserve_flat_scratch 0
		.amdhsa_float_round_mode_32 0
		.amdhsa_float_round_mode_16_64 0
		.amdhsa_float_denorm_mode_32 3
		.amdhsa_float_denorm_mode_16_64 3
		.amdhsa_dx10_clamp 1
		.amdhsa_ieee_mode 1
		.amdhsa_fp16_overflow 0
		.amdhsa_tg_split 0
		.amdhsa_exception_fp_ieee_invalid_op 0
		.amdhsa_exception_fp_denorm_src 0
		.amdhsa_exception_fp_ieee_div_zero 0
		.amdhsa_exception_fp_ieee_overflow 0
		.amdhsa_exception_fp_ieee_underflow 0
		.amdhsa_exception_fp_ieee_inexact 0
		.amdhsa_exception_int_div_zero 0
	.end_amdhsa_kernel
	.section	.text._ZN7rocprim17ROCPRIM_400000_NS6detail17trampoline_kernelINS0_14default_configENS1_20scan_config_selectorIjEEZZNS1_9scan_implILNS1_25lookback_scan_determinismE0ELb0ELb0ES3_N6thrust23THRUST_200600_302600_NS6detail15normal_iteratorINS9_10device_ptrIjEEEESE_jNS9_4plusIvEEjEEDaPvRmT3_T4_T5_mT6_P12ihipStream_tbENKUlT_T0_E_clISt17integral_constantIbLb1EEST_IbLb0EEEEDaSP_SQ_EUlSP_E_NS1_11comp_targetILNS1_3genE5ELNS1_11target_archE942ELNS1_3gpuE9ELNS1_3repE0EEENS1_30default_config_static_selectorELNS0_4arch9wavefront6targetE1EEEvT1_,"axG",@progbits,_ZN7rocprim17ROCPRIM_400000_NS6detail17trampoline_kernelINS0_14default_configENS1_20scan_config_selectorIjEEZZNS1_9scan_implILNS1_25lookback_scan_determinismE0ELb0ELb0ES3_N6thrust23THRUST_200600_302600_NS6detail15normal_iteratorINS9_10device_ptrIjEEEESE_jNS9_4plusIvEEjEEDaPvRmT3_T4_T5_mT6_P12ihipStream_tbENKUlT_T0_E_clISt17integral_constantIbLb1EEST_IbLb0EEEEDaSP_SQ_EUlSP_E_NS1_11comp_targetILNS1_3genE5ELNS1_11target_archE942ELNS1_3gpuE9ELNS1_3repE0EEENS1_30default_config_static_selectorELNS0_4arch9wavefront6targetE1EEEvT1_,comdat
.Lfunc_end4611:
	.size	_ZN7rocprim17ROCPRIM_400000_NS6detail17trampoline_kernelINS0_14default_configENS1_20scan_config_selectorIjEEZZNS1_9scan_implILNS1_25lookback_scan_determinismE0ELb0ELb0ES3_N6thrust23THRUST_200600_302600_NS6detail15normal_iteratorINS9_10device_ptrIjEEEESE_jNS9_4plusIvEEjEEDaPvRmT3_T4_T5_mT6_P12ihipStream_tbENKUlT_T0_E_clISt17integral_constantIbLb1EEST_IbLb0EEEEDaSP_SQ_EUlSP_E_NS1_11comp_targetILNS1_3genE5ELNS1_11target_archE942ELNS1_3gpuE9ELNS1_3repE0EEENS1_30default_config_static_selectorELNS0_4arch9wavefront6targetE1EEEvT1_, .Lfunc_end4611-_ZN7rocprim17ROCPRIM_400000_NS6detail17trampoline_kernelINS0_14default_configENS1_20scan_config_selectorIjEEZZNS1_9scan_implILNS1_25lookback_scan_determinismE0ELb0ELb0ES3_N6thrust23THRUST_200600_302600_NS6detail15normal_iteratorINS9_10device_ptrIjEEEESE_jNS9_4plusIvEEjEEDaPvRmT3_T4_T5_mT6_P12ihipStream_tbENKUlT_T0_E_clISt17integral_constantIbLb1EEST_IbLb0EEEEDaSP_SQ_EUlSP_E_NS1_11comp_targetILNS1_3genE5ELNS1_11target_archE942ELNS1_3gpuE9ELNS1_3repE0EEENS1_30default_config_static_selectorELNS0_4arch9wavefront6targetE1EEEvT1_
                                        ; -- End function
	.section	.AMDGPU.csdata,"",@progbits
; Kernel info:
; codeLenInByte = 0
; NumSgprs: 4
; NumVgprs: 0
; NumAgprs: 0
; TotalNumVgprs: 0
; ScratchSize: 0
; MemoryBound: 0
; FloatMode: 240
; IeeeMode: 1
; LDSByteSize: 0 bytes/workgroup (compile time only)
; SGPRBlocks: 0
; VGPRBlocks: 0
; NumSGPRsForWavesPerEU: 4
; NumVGPRsForWavesPerEU: 1
; AccumOffset: 4
; Occupancy: 8
; WaveLimiterHint : 0
; COMPUTE_PGM_RSRC2:SCRATCH_EN: 0
; COMPUTE_PGM_RSRC2:USER_SGPR: 6
; COMPUTE_PGM_RSRC2:TRAP_HANDLER: 0
; COMPUTE_PGM_RSRC2:TGID_X_EN: 1
; COMPUTE_PGM_RSRC2:TGID_Y_EN: 0
; COMPUTE_PGM_RSRC2:TGID_Z_EN: 0
; COMPUTE_PGM_RSRC2:TIDIG_COMP_CNT: 0
; COMPUTE_PGM_RSRC3_GFX90A:ACCUM_OFFSET: 0
; COMPUTE_PGM_RSRC3_GFX90A:TG_SPLIT: 0
	.section	.text._ZN7rocprim17ROCPRIM_400000_NS6detail17trampoline_kernelINS0_14default_configENS1_20scan_config_selectorIjEEZZNS1_9scan_implILNS1_25lookback_scan_determinismE0ELb0ELb0ES3_N6thrust23THRUST_200600_302600_NS6detail15normal_iteratorINS9_10device_ptrIjEEEESE_jNS9_4plusIvEEjEEDaPvRmT3_T4_T5_mT6_P12ihipStream_tbENKUlT_T0_E_clISt17integral_constantIbLb1EEST_IbLb0EEEEDaSP_SQ_EUlSP_E_NS1_11comp_targetILNS1_3genE4ELNS1_11target_archE910ELNS1_3gpuE8ELNS1_3repE0EEENS1_30default_config_static_selectorELNS0_4arch9wavefront6targetE1EEEvT1_,"axG",@progbits,_ZN7rocprim17ROCPRIM_400000_NS6detail17trampoline_kernelINS0_14default_configENS1_20scan_config_selectorIjEEZZNS1_9scan_implILNS1_25lookback_scan_determinismE0ELb0ELb0ES3_N6thrust23THRUST_200600_302600_NS6detail15normal_iteratorINS9_10device_ptrIjEEEESE_jNS9_4plusIvEEjEEDaPvRmT3_T4_T5_mT6_P12ihipStream_tbENKUlT_T0_E_clISt17integral_constantIbLb1EEST_IbLb0EEEEDaSP_SQ_EUlSP_E_NS1_11comp_targetILNS1_3genE4ELNS1_11target_archE910ELNS1_3gpuE8ELNS1_3repE0EEENS1_30default_config_static_selectorELNS0_4arch9wavefront6targetE1EEEvT1_,comdat
	.protected	_ZN7rocprim17ROCPRIM_400000_NS6detail17trampoline_kernelINS0_14default_configENS1_20scan_config_selectorIjEEZZNS1_9scan_implILNS1_25lookback_scan_determinismE0ELb0ELb0ES3_N6thrust23THRUST_200600_302600_NS6detail15normal_iteratorINS9_10device_ptrIjEEEESE_jNS9_4plusIvEEjEEDaPvRmT3_T4_T5_mT6_P12ihipStream_tbENKUlT_T0_E_clISt17integral_constantIbLb1EEST_IbLb0EEEEDaSP_SQ_EUlSP_E_NS1_11comp_targetILNS1_3genE4ELNS1_11target_archE910ELNS1_3gpuE8ELNS1_3repE0EEENS1_30default_config_static_selectorELNS0_4arch9wavefront6targetE1EEEvT1_ ; -- Begin function _ZN7rocprim17ROCPRIM_400000_NS6detail17trampoline_kernelINS0_14default_configENS1_20scan_config_selectorIjEEZZNS1_9scan_implILNS1_25lookback_scan_determinismE0ELb0ELb0ES3_N6thrust23THRUST_200600_302600_NS6detail15normal_iteratorINS9_10device_ptrIjEEEESE_jNS9_4plusIvEEjEEDaPvRmT3_T4_T5_mT6_P12ihipStream_tbENKUlT_T0_E_clISt17integral_constantIbLb1EEST_IbLb0EEEEDaSP_SQ_EUlSP_E_NS1_11comp_targetILNS1_3genE4ELNS1_11target_archE910ELNS1_3gpuE8ELNS1_3repE0EEENS1_30default_config_static_selectorELNS0_4arch9wavefront6targetE1EEEvT1_
	.globl	_ZN7rocprim17ROCPRIM_400000_NS6detail17trampoline_kernelINS0_14default_configENS1_20scan_config_selectorIjEEZZNS1_9scan_implILNS1_25lookback_scan_determinismE0ELb0ELb0ES3_N6thrust23THRUST_200600_302600_NS6detail15normal_iteratorINS9_10device_ptrIjEEEESE_jNS9_4plusIvEEjEEDaPvRmT3_T4_T5_mT6_P12ihipStream_tbENKUlT_T0_E_clISt17integral_constantIbLb1EEST_IbLb0EEEEDaSP_SQ_EUlSP_E_NS1_11comp_targetILNS1_3genE4ELNS1_11target_archE910ELNS1_3gpuE8ELNS1_3repE0EEENS1_30default_config_static_selectorELNS0_4arch9wavefront6targetE1EEEvT1_
	.p2align	8
	.type	_ZN7rocprim17ROCPRIM_400000_NS6detail17trampoline_kernelINS0_14default_configENS1_20scan_config_selectorIjEEZZNS1_9scan_implILNS1_25lookback_scan_determinismE0ELb0ELb0ES3_N6thrust23THRUST_200600_302600_NS6detail15normal_iteratorINS9_10device_ptrIjEEEESE_jNS9_4plusIvEEjEEDaPvRmT3_T4_T5_mT6_P12ihipStream_tbENKUlT_T0_E_clISt17integral_constantIbLb1EEST_IbLb0EEEEDaSP_SQ_EUlSP_E_NS1_11comp_targetILNS1_3genE4ELNS1_11target_archE910ELNS1_3gpuE8ELNS1_3repE0EEENS1_30default_config_static_selectorELNS0_4arch9wavefront6targetE1EEEvT1_,@function
_ZN7rocprim17ROCPRIM_400000_NS6detail17trampoline_kernelINS0_14default_configENS1_20scan_config_selectorIjEEZZNS1_9scan_implILNS1_25lookback_scan_determinismE0ELb0ELb0ES3_N6thrust23THRUST_200600_302600_NS6detail15normal_iteratorINS9_10device_ptrIjEEEESE_jNS9_4plusIvEEjEEDaPvRmT3_T4_T5_mT6_P12ihipStream_tbENKUlT_T0_E_clISt17integral_constantIbLb1EEST_IbLb0EEEEDaSP_SQ_EUlSP_E_NS1_11comp_targetILNS1_3genE4ELNS1_11target_archE910ELNS1_3gpuE8ELNS1_3repE0EEENS1_30default_config_static_selectorELNS0_4arch9wavefront6targetE1EEEvT1_: ; @_ZN7rocprim17ROCPRIM_400000_NS6detail17trampoline_kernelINS0_14default_configENS1_20scan_config_selectorIjEEZZNS1_9scan_implILNS1_25lookback_scan_determinismE0ELb0ELb0ES3_N6thrust23THRUST_200600_302600_NS6detail15normal_iteratorINS9_10device_ptrIjEEEESE_jNS9_4plusIvEEjEEDaPvRmT3_T4_T5_mT6_P12ihipStream_tbENKUlT_T0_E_clISt17integral_constantIbLb1EEST_IbLb0EEEEDaSP_SQ_EUlSP_E_NS1_11comp_targetILNS1_3genE4ELNS1_11target_archE910ELNS1_3gpuE8ELNS1_3repE0EEENS1_30default_config_static_selectorELNS0_4arch9wavefront6targetE1EEEvT1_
; %bb.0:
	s_load_dwordx8 s[8:15], s[4:5], 0x0
	s_load_dword s1, s[4:5], 0x30
	s_mul_i32 s0, s6, 0x500
	v_lshlrev_b32_e32 v22, 2, v0
	s_waitcnt lgkmcnt(0)
	s_lshl_b64 s[16:17], s[10:11], 2
	s_add_u32 s2, s8, s16
	s_addc_u32 s3, s9, s17
	s_add_i32 s7, s1, -1
	s_mul_i32 s8, s7, 0x500
	s_sub_u32 s24, s14, s8
	s_subb_u32 s25, s15, 0
	s_mov_b32 s1, 0
	s_cmp_lg_u32 s6, s7
	s_cselect_b64 s[14:15], -1, 0
	s_lshl_b64 s[18:19], s[0:1], 2
	s_add_u32 s2, s2, s18
	s_addc_u32 s3, s3, s19
	s_mov_b64 s[0:1], -1
	s_and_b64 vcc, exec, s[14:15]
	s_cbranch_vccz .LBB4612_2
; %bb.1:
	v_mov_b32_e32 v1, s3
	v_add_co_u32_e32 v2, vcc, s2, v22
	v_addc_co_u32_e32 v3, vcc, 0, v1, vcc
	flat_load_dword v1, v[2:3]
	flat_load_dword v4, v[2:3] offset:512
	flat_load_dword v5, v[2:3] offset:1024
	;; [unrolled: 1-line block ×7, first 2 shown]
	v_add_co_u32_e32 v2, vcc, 0x1000, v2
	v_addc_co_u32_e32 v3, vcc, 0, v3, vcc
	flat_load_dword v11, v[2:3]
	flat_load_dword v12, v[2:3] offset:512
	s_mov_b64 s[0:1], 0
	s_waitcnt vmcnt(0) lgkmcnt(0)
	ds_write2st64_b32 v22, v1, v4 offset1:2
	ds_write2st64_b32 v22, v5, v6 offset0:4 offset1:6
	ds_write2st64_b32 v22, v7, v8 offset0:8 offset1:10
	;; [unrolled: 1-line block ×4, first 2 shown]
	s_waitcnt lgkmcnt(0)
	s_barrier
.LBB4612_2:
	s_load_dwordx2 s[20:21], s[4:5], 0x28
	s_andn2_b64 vcc, exec, s[0:1]
	v_cmp_gt_u32_e64 s[0:1], s24, v0
	s_cbranch_vccnz .LBB4612_24
; %bb.3:
	v_pk_mov_b32 v[2:3], s[2:3], s[2:3] op_sel:[0,1]
	flat_load_dword v1, v[2:3]
	s_waitcnt vmcnt(0) lgkmcnt(0)
	v_mov_b32_e32 v2, v1
	v_mov_b32_e32 v3, v1
	;; [unrolled: 1-line block ×9, first 2 shown]
	s_and_saveexec_b64 s[8:9], s[0:1]
	s_cbranch_execz .LBB4612_5
; %bb.4:
	v_mov_b32_e32 v11, s3
	v_add_co_u32_e32 v10, vcc, s2, v22
	v_addc_co_u32_e32 v11, vcc, 0, v11, vcc
	flat_load_dword v10, v[10:11]
.LBB4612_5:
	s_or_b64 exec, exec, s[8:9]
	v_or_b32_e32 v11, 0x80, v0
	v_cmp_gt_u32_e32 vcc, s24, v11
	s_and_saveexec_b64 s[0:1], vcc
	s_cbranch_execz .LBB4612_7
; %bb.6:
	v_mov_b32_e32 v1, s3
	v_add_co_u32_e32 v12, vcc, s2, v22
	v_addc_co_u32_e32 v13, vcc, 0, v1, vcc
	flat_load_dword v1, v[12:13] offset:512
.LBB4612_7:
	s_or_b64 exec, exec, s[0:1]
	v_or_b32_e32 v11, 0x100, v0
	v_cmp_gt_u32_e32 vcc, s24, v11
	s_and_saveexec_b64 s[0:1], vcc
	s_cbranch_execz .LBB4612_9
; %bb.8:
	v_mov_b32_e32 v2, s3
	v_add_co_u32_e32 v12, vcc, s2, v22
	v_addc_co_u32_e32 v13, vcc, 0, v2, vcc
	flat_load_dword v2, v[12:13] offset:1024
.LBB4612_9:
	;; [unrolled: 11-line block ×7, first 2 shown]
	s_or_b64 exec, exec, s[0:1]
	v_or_b32_e32 v11, 0x400, v0
	v_cmp_gt_u32_e32 vcc, s24, v11
	s_and_saveexec_b64 s[0:1], vcc
	s_cbranch_execz .LBB4612_21
; %bb.20:
	v_lshlrev_b32_e32 v8, 2, v11
	v_mov_b32_e32 v11, s3
	v_add_co_u32_e32 v12, vcc, s2, v8
	v_addc_co_u32_e32 v13, vcc, 0, v11, vcc
	flat_load_dword v8, v[12:13]
.LBB4612_21:
	s_or_b64 exec, exec, s[0:1]
	v_or_b32_e32 v11, 0x480, v0
	v_cmp_gt_u32_e32 vcc, s24, v11
	s_and_saveexec_b64 s[0:1], vcc
	s_cbranch_execz .LBB4612_23
; %bb.22:
	v_lshlrev_b32_e32 v9, 2, v11
	v_mov_b32_e32 v11, s3
	v_add_co_u32_e32 v12, vcc, s2, v9
	v_addc_co_u32_e32 v13, vcc, 0, v11, vcc
	flat_load_dword v9, v[12:13]
.LBB4612_23:
	s_or_b64 exec, exec, s[0:1]
	s_waitcnt vmcnt(0) lgkmcnt(0)
	ds_write2st64_b32 v22, v10, v1 offset1:2
	ds_write2st64_b32 v22, v2, v3 offset0:4 offset1:6
	ds_write2st64_b32 v22, v4, v5 offset0:8 offset1:10
	;; [unrolled: 1-line block ×4, first 2 shown]
	s_waitcnt lgkmcnt(0)
	s_barrier
.LBB4612_24:
	v_mul_u32_u24_e32 v23, 10, v0
	v_lshlrev_b32_e32 v1, 2, v23
	s_waitcnt lgkmcnt(0)
	ds_read2_b64 v[2:5], v1 offset1:1
	ds_read2_b64 v[16:19], v1 offset0:2 offset1:3
	ds_read_b64 v[20:21], v1 offset:32
	s_cmp_lg_u32 s6, 0
	v_lshrrev_b32_e32 v24, 5, v0
	v_cmp_gt_u32_e32 vcc, 64, v0
	s_waitcnt lgkmcnt(0)
	s_barrier
	s_cbranch_scc0 .LBB4612_53
; %bb.25:
	v_add_u32_e32 v6, v3, v2
	v_add3_u32 v6, v6, v4, v5
	v_add3_u32 v6, v6, v16, v17
	;; [unrolled: 1-line block ×4, first 2 shown]
	v_add_lshl_u32 v7, v24, v0, 2
	ds_write_b32 v7, v6
	s_waitcnt lgkmcnt(0)
	s_barrier
	s_and_saveexec_b64 s[2:3], vcc
	s_cbranch_execz .LBB4612_27
; %bb.26:
	v_lshlrev_b32_e32 v7, 1, v0
	v_lshrrev_b32_e32 v8, 4, v0
	v_add_lshl_u32 v7, v8, v7, 2
	ds_read2_b32 v[8:9], v7 offset1:1
	v_mbcnt_lo_u32_b32 v10, -1, 0
	v_mbcnt_hi_u32_b32 v10, -1, v10
	v_and_b32_e32 v11, 15, v10
	v_cmp_ne_u32_e64 s[0:1], 0, v11
	s_waitcnt lgkmcnt(0)
	v_add_u32_e32 v9, v9, v8
	; wave barrier
	s_nop 1
	v_mov_b32_dpp v12, v9 row_shr:1 row_mask:0xf bank_mask:0xf
	v_cndmask_b32_e64 v12, 0, v12, s[0:1]
	v_add_u32_e32 v9, v12, v9
	v_cmp_lt_u32_e64 s[0:1], 1, v11
	s_nop 0
	v_mov_b32_dpp v12, v9 row_shr:2 row_mask:0xf bank_mask:0xf
	v_cndmask_b32_e64 v12, 0, v12, s[0:1]
	v_add_u32_e32 v9, v9, v12
	v_cmp_lt_u32_e64 s[0:1], 3, v11
	;; [unrolled: 5-line block ×3, first 2 shown]
	s_nop 0
	v_mov_b32_dpp v12, v9 row_shr:8 row_mask:0xf bank_mask:0xf
	v_cndmask_b32_e64 v11, 0, v12, s[0:1]
	v_add_u32_e32 v9, v9, v11
	v_bfe_i32 v12, v10, 4, 1
	v_cmp_lt_u32_e64 s[0:1], 31, v10
	v_mov_b32_dpp v11, v9 row_bcast:15 row_mask:0xf bank_mask:0xf
	v_and_b32_e32 v11, v12, v11
	v_add_u32_e32 v9, v9, v11
	v_and_b32_e32 v12, 64, v10
	s_nop 0
	v_mov_b32_dpp v11, v9 row_bcast:31 row_mask:0xf bank_mask:0xf
	v_cndmask_b32_e64 v11, 0, v11, s[0:1]
	v_add_u32_e32 v9, v9, v11
	v_add_u32_e32 v11, -1, v10
	v_cmp_lt_i32_e64 s[0:1], v11, v12
	v_cndmask_b32_e64 v10, v11, v10, s[0:1]
	v_lshlrev_b32_e32 v10, 2, v10
	ds_bpermute_b32 v9, v10, v9
	v_cmp_eq_u32_e64 s[0:1], 0, v0
	s_waitcnt lgkmcnt(0)
	v_add_u32_e32 v8, v9, v8
	v_cndmask_b32_e64 v6, v8, v6, s[0:1]
	ds_write_b32 v7, v6
	; wave barrier
	ds_read_b32 v8, v7 offset:4
	s_waitcnt lgkmcnt(0)
	v_add_u32_e32 v6, v8, v6
	ds_write_b32 v7, v6 offset:4
.LBB4612_27:
	s_or_b64 exec, exec, s[2:3]
	v_cmp_eq_u32_e64 s[0:1], 0, v0
	v_cmp_ne_u32_e64 s[2:3], 0, v0
	v_mov_b32_e32 v25, 0
	s_waitcnt lgkmcnt(0)
	s_barrier
	s_and_saveexec_b64 s[8:9], s[2:3]
	s_cbranch_execz .LBB4612_29
; %bb.28:
	v_add_u32_e32 v6, -1, v0
	v_lshrrev_b32_e32 v7, 5, v6
	v_add_lshl_u32 v6, v7, v6, 2
	ds_read_b32 v25, v6
.LBB4612_29:
	s_or_b64 exec, exec, s[8:9]
	s_and_saveexec_b64 s[8:9], vcc
	s_cbranch_execz .LBB4612_52
; %bb.30:
	v_mov_b32_e32 v15, 0
	ds_read_b32 v6, v15 offset:520
	v_mbcnt_lo_u32_b32 v7, -1, 0
	v_mbcnt_hi_u32_b32 v9, -1, v7
	s_mov_b32 s23, 0
	v_cmp_eq_u32_e64 s[2:3], 0, v9
	s_and_saveexec_b64 s[10:11], s[2:3]
	s_cbranch_execz .LBB4612_32
; %bb.31:
	s_add_i32 s22, s6, 64
	s_lshl_b64 s[22:23], s[22:23], 3
	s_add_u32 s22, s20, s22
	v_mov_b32_e32 v7, 1
	s_addc_u32 s23, s21, s23
	s_waitcnt lgkmcnt(0)
	global_store_dwordx2 v15, v[6:7], s[22:23]
.LBB4612_32:
	s_or_b64 exec, exec, s[10:11]
	v_xad_u32 v8, v9, -1, s6
	v_add_u32_e32 v14, 64, v8
	v_lshlrev_b64 v[10:11], 3, v[14:15]
	v_mov_b32_e32 v7, s21
	v_add_co_u32_e32 v10, vcc, s20, v10
	v_addc_co_u32_e32 v11, vcc, v7, v11, vcc
	global_load_dwordx2 v[12:13], v[10:11], off glc
	s_waitcnt vmcnt(0)
	v_cmp_eq_u16_sdwa s[22:23], v13, v15 src0_sel:BYTE_0 src1_sel:DWORD
	s_and_saveexec_b64 s[10:11], s[22:23]
	s_cbranch_execz .LBB4612_38
; %bb.33:
	s_mov_b32 s7, 1
	s_mov_b64 s[22:23], 0
	v_mov_b32_e32 v7, 0
.LBB4612_34:                            ; =>This Loop Header: Depth=1
                                        ;     Child Loop BB4612_35 Depth 2
	s_max_u32 s26, s7, 1
.LBB4612_35:                            ;   Parent Loop BB4612_34 Depth=1
                                        ; =>  This Inner Loop Header: Depth=2
	s_add_i32 s26, s26, -1
	s_cmp_eq_u32 s26, 0
	s_sleep 1
	s_cbranch_scc0 .LBB4612_35
; %bb.36:                               ;   in Loop: Header=BB4612_34 Depth=1
	global_load_dwordx2 v[12:13], v[10:11], off glc
	s_cmp_lt_u32 s7, 32
	s_cselect_b64 s[26:27], -1, 0
	s_cmp_lg_u64 s[26:27], 0
	s_addc_u32 s7, s7, 0
	s_waitcnt vmcnt(0)
	v_cmp_ne_u16_sdwa s[26:27], v13, v7 src0_sel:BYTE_0 src1_sel:DWORD
	s_or_b64 s[22:23], s[26:27], s[22:23]
	s_andn2_b64 exec, exec, s[22:23]
	s_cbranch_execnz .LBB4612_34
; %bb.37:
	s_or_b64 exec, exec, s[22:23]
.LBB4612_38:
	s_or_b64 exec, exec, s[10:11]
	v_and_b32_e32 v26, 63, v9
	v_mov_b32_e32 v7, 2
	v_cmp_ne_u32_e32 vcc, 63, v26
	v_cmp_eq_u16_sdwa s[10:11], v13, v7 src0_sel:BYTE_0 src1_sel:DWORD
	v_lshlrev_b64 v[10:11], v9, -1
	v_addc_co_u32_e32 v27, vcc, 0, v9, vcc
	v_and_b32_e32 v14, s11, v11
	v_lshlrev_b32_e32 v27, 2, v27
	v_or_b32_e32 v14, 0x80000000, v14
	ds_bpermute_b32 v28, v27, v12
	v_and_b32_e32 v15, s10, v10
	v_ffbl_b32_e32 v14, v14
	v_add_u32_e32 v14, 32, v14
	v_ffbl_b32_e32 v15, v15
	v_min_u32_e32 v14, v15, v14
	v_cmp_lt_u32_e32 vcc, v26, v14
	s_waitcnt lgkmcnt(0)
	v_cndmask_b32_e32 v15, 0, v28, vcc
	v_cmp_gt_u32_e32 vcc, 62, v26
	v_add_u32_e32 v12, v15, v12
	v_cndmask_b32_e64 v15, 0, 1, vcc
	v_lshlrev_b32_e32 v15, 1, v15
	v_add_lshl_u32 v28, v15, v9, 2
	ds_bpermute_b32 v15, v28, v12
	v_add_u32_e32 v29, 2, v26
	v_cmp_le_u32_e32 vcc, v29, v14
	v_add_u32_e32 v31, 4, v26
	v_add_u32_e32 v33, 8, v26
	s_waitcnt lgkmcnt(0)
	v_cndmask_b32_e32 v15, 0, v15, vcc
	v_cmp_gt_u32_e32 vcc, 60, v26
	v_add_u32_e32 v12, v12, v15
	v_cndmask_b32_e64 v15, 0, 1, vcc
	v_lshlrev_b32_e32 v15, 2, v15
	v_add_lshl_u32 v30, v15, v9, 2
	ds_bpermute_b32 v15, v30, v12
	v_cmp_le_u32_e32 vcc, v31, v14
	v_add_u32_e32 v36, 16, v26
	v_add_u32_e32 v38, 32, v26
	s_waitcnt lgkmcnt(0)
	v_cndmask_b32_e32 v15, 0, v15, vcc
	v_cmp_gt_u32_e32 vcc, 56, v26
	v_add_u32_e32 v12, v12, v15
	v_cndmask_b32_e64 v15, 0, 1, vcc
	v_lshlrev_b32_e32 v15, 3, v15
	v_add_lshl_u32 v32, v15, v9, 2
	ds_bpermute_b32 v15, v32, v12
	v_cmp_le_u32_e32 vcc, v33, v14
	s_waitcnt lgkmcnt(0)
	v_cndmask_b32_e32 v15, 0, v15, vcc
	v_cmp_gt_u32_e32 vcc, 48, v26
	v_add_u32_e32 v12, v12, v15
	v_cndmask_b32_e64 v15, 0, 1, vcc
	v_lshlrev_b32_e32 v15, 4, v15
	v_add_lshl_u32 v35, v15, v9, 2
	ds_bpermute_b32 v15, v35, v12
	v_cmp_le_u32_e32 vcc, v36, v14
	;; [unrolled: 9-line block ×3, first 2 shown]
	s_waitcnt lgkmcnt(0)
	v_cndmask_b32_e32 v9, 0, v9, vcc
	v_add_u32_e32 v12, v12, v9
	v_mov_b32_e32 v9, 0
	s_branch .LBB4612_40
.LBB4612_39:                            ;   in Loop: Header=BB4612_40 Depth=1
	s_or_b64 exec, exec, s[10:11]
	v_cmp_eq_u16_sdwa s[10:11], v13, v7 src0_sel:BYTE_0 src1_sel:DWORD
	v_and_b32_e32 v14, s11, v11
	v_or_b32_e32 v14, 0x80000000, v14
	ds_bpermute_b32 v39, v27, v12
	v_and_b32_e32 v15, s10, v10
	v_ffbl_b32_e32 v14, v14
	v_add_u32_e32 v14, 32, v14
	v_ffbl_b32_e32 v15, v15
	v_min_u32_e32 v14, v15, v14
	v_cmp_lt_u32_e32 vcc, v26, v14
	s_waitcnt lgkmcnt(0)
	v_cndmask_b32_e32 v15, 0, v39, vcc
	v_add_u32_e32 v12, v15, v12
	ds_bpermute_b32 v15, v28, v12
	v_cmp_le_u32_e32 vcc, v29, v14
	v_subrev_u32_e32 v8, 64, v8
	s_waitcnt lgkmcnt(0)
	v_cndmask_b32_e32 v15, 0, v15, vcc
	v_add_u32_e32 v12, v12, v15
	ds_bpermute_b32 v15, v30, v12
	v_cmp_le_u32_e32 vcc, v31, v14
	s_waitcnt lgkmcnt(0)
	v_cndmask_b32_e32 v15, 0, v15, vcc
	v_add_u32_e32 v12, v12, v15
	ds_bpermute_b32 v15, v32, v12
	v_cmp_le_u32_e32 vcc, v33, v14
	;; [unrolled: 5-line block ×4, first 2 shown]
	s_waitcnt lgkmcnt(0)
	v_cndmask_b32_e32 v14, 0, v15, vcc
	v_add3_u32 v12, v14, v34, v12
.LBB4612_40:                            ; =>This Loop Header: Depth=1
                                        ;     Child Loop BB4612_43 Depth 2
                                        ;       Child Loop BB4612_44 Depth 3
	v_cmp_ne_u16_sdwa s[10:11], v13, v7 src0_sel:BYTE_0 src1_sel:DWORD
	v_cndmask_b32_e64 v13, 0, 1, s[10:11]
	;;#ASMSTART
	;;#ASMEND
	v_cmp_ne_u32_e32 vcc, 0, v13
	s_cmp_lg_u64 vcc, exec
	v_mov_b32_e32 v34, v12
	s_cbranch_scc1 .LBB4612_47
; %bb.41:                               ;   in Loop: Header=BB4612_40 Depth=1
	v_lshlrev_b64 v[12:13], 3, v[8:9]
	v_mov_b32_e32 v15, s21
	v_add_co_u32_e32 v14, vcc, s20, v12
	v_addc_co_u32_e32 v15, vcc, v15, v13, vcc
	global_load_dwordx2 v[12:13], v[14:15], off glc
	s_waitcnt vmcnt(0)
	v_cmp_eq_u16_sdwa s[22:23], v13, v9 src0_sel:BYTE_0 src1_sel:DWORD
	s_and_saveexec_b64 s[10:11], s[22:23]
	s_cbranch_execz .LBB4612_39
; %bb.42:                               ;   in Loop: Header=BB4612_40 Depth=1
	s_mov_b32 s7, 1
	s_mov_b64 s[22:23], 0
.LBB4612_43:                            ;   Parent Loop BB4612_40 Depth=1
                                        ; =>  This Loop Header: Depth=2
                                        ;       Child Loop BB4612_44 Depth 3
	s_max_u32 s26, s7, 1
.LBB4612_44:                            ;   Parent Loop BB4612_40 Depth=1
                                        ;     Parent Loop BB4612_43 Depth=2
                                        ; =>    This Inner Loop Header: Depth=3
	s_add_i32 s26, s26, -1
	s_cmp_eq_u32 s26, 0
	s_sleep 1
	s_cbranch_scc0 .LBB4612_44
; %bb.45:                               ;   in Loop: Header=BB4612_43 Depth=2
	global_load_dwordx2 v[12:13], v[14:15], off glc
	s_cmp_lt_u32 s7, 32
	s_cselect_b64 s[26:27], -1, 0
	s_cmp_lg_u64 s[26:27], 0
	s_addc_u32 s7, s7, 0
	s_waitcnt vmcnt(0)
	v_cmp_ne_u16_sdwa s[26:27], v13, v9 src0_sel:BYTE_0 src1_sel:DWORD
	s_or_b64 s[22:23], s[26:27], s[22:23]
	s_andn2_b64 exec, exec, s[22:23]
	s_cbranch_execnz .LBB4612_43
; %bb.46:                               ;   in Loop: Header=BB4612_40 Depth=1
	s_or_b64 exec, exec, s[22:23]
	s_branch .LBB4612_39
.LBB4612_47:                            ;   in Loop: Header=BB4612_40 Depth=1
                                        ; implicit-def: $vgpr12
                                        ; implicit-def: $vgpr13
	s_cbranch_execz .LBB4612_40
; %bb.48:
	s_and_saveexec_b64 s[10:11], s[2:3]
	s_cbranch_execz .LBB4612_50
; %bb.49:
	s_add_i32 s2, s6, 64
	s_mov_b32 s3, 0
	s_lshl_b64 s[2:3], s[2:3], 3
	s_add_u32 s2, s20, s2
	v_add_u32_e32 v6, v34, v6
	v_mov_b32_e32 v7, 2
	s_addc_u32 s3, s21, s3
	v_mov_b32_e32 v8, 0
	global_store_dwordx2 v8, v[6:7], s[2:3]
.LBB4612_50:
	s_or_b64 exec, exec, s[10:11]
	s_and_b64 exec, exec, s[0:1]
	s_cbranch_execz .LBB4612_52
; %bb.51:
	v_mov_b32_e32 v6, 0
	ds_write_b32 v6, v34
.LBB4612_52:
	s_or_b64 exec, exec, s[8:9]
	v_mov_b32_e32 v6, 0
	s_waitcnt lgkmcnt(0)
	s_barrier
	ds_read_b32 v6, v6
	s_waitcnt lgkmcnt(0)
	v_add3_u32 v6, v25, v2, v6
	v_add_u32_e32 v7, v6, v3
	v_add_u32_e32 v8, v7, v4
	v_add_u32_e32 v9, v8, v5
	v_add_u32_e32 v10, v9, v16
	v_add_u32_e32 v11, v10, v17
	v_add_u32_e32 v12, v11, v18
	v_add_u32_e32 v13, v12, v19
	v_add_u32_e32 v14, v13, v20
	v_add_u32_e32 v15, v14, v21
	s_load_dwordx8 s[4:11], s[4:5], 0x38
	s_branch .LBB4612_65
.LBB4612_53:
                                        ; implicit-def: $vgpr6_vgpr7_vgpr8_vgpr9_vgpr10_vgpr11_vgpr12_vgpr13_vgpr14_vgpr15
	s_load_dwordx8 s[4:11], s[4:5], 0x38
	s_cbranch_execz .LBB4612_65
; %bb.54:
	s_waitcnt lgkmcnt(0)
	s_cmp_lg_u64 s[8:9], 0
	s_cselect_b64 s[2:3], -1, 0
	v_cmp_eq_u32_e64 s[0:1], 0, v0
	v_cmp_ne_u32_e32 vcc, 0, v0
	s_and_b64 s[8:9], s[0:1], s[2:3]
	v_mov_b32_e32 v12, v3
	v_mov_b32_e32 v13, v4
	;; [unrolled: 1-line block ×3, first 2 shown]
	s_and_saveexec_b64 s[2:3], s[8:9]
	s_cbranch_execz .LBB4612_56
; %bb.55:
	v_mov_b32_e32 v6, 0
	global_load_dword v6, v6, s[4:5]
	v_mov_b32_e32 v12, v3
	v_mov_b32_e32 v13, v4
	;; [unrolled: 1-line block ×3, first 2 shown]
	s_waitcnt vmcnt(0)
	v_add_u32_e32 v2, v6, v2
.LBB4612_56:
	s_or_b64 exec, exec, s[2:3]
	v_add_u32_e32 v3, v12, v2
	v_add_u32_e32 v4, v3, v13
	;; [unrolled: 1-line block ×9, first 2 shown]
	v_add_lshl_u32 v15, v24, v0, 2
	v_cmp_gt_u32_e64 s[2:3], 64, v0
	ds_write_b32 v15, v11
	s_waitcnt lgkmcnt(0)
	s_barrier
	s_and_saveexec_b64 s[4:5], s[2:3]
	s_cbranch_execz .LBB4612_58
; %bb.57:
	v_lshlrev_b32_e32 v15, 1, v0
	v_lshrrev_b32_e32 v24, 4, v0
	v_add_lshl_u32 v15, v24, v15, 2
	ds_read2_b32 v[24:25], v15 offset1:1
	v_mbcnt_lo_u32_b32 v26, -1, 0
	v_mbcnt_hi_u32_b32 v26, -1, v26
	v_and_b32_e32 v27, 15, v26
	v_cmp_ne_u32_e64 s[2:3], 0, v27
	s_waitcnt lgkmcnt(0)
	v_add_u32_e32 v25, v25, v24
	; wave barrier
	s_nop 1
	v_mov_b32_dpp v28, v25 row_shr:1 row_mask:0xf bank_mask:0xf
	v_cndmask_b32_e64 v28, 0, v28, s[2:3]
	v_add_u32_e32 v25, v28, v25
	v_cmp_lt_u32_e64 s[2:3], 1, v27
	s_nop 0
	v_mov_b32_dpp v28, v25 row_shr:2 row_mask:0xf bank_mask:0xf
	v_cndmask_b32_e64 v28, 0, v28, s[2:3]
	v_add_u32_e32 v25, v25, v28
	v_cmp_lt_u32_e64 s[2:3], 3, v27
	;; [unrolled: 5-line block ×3, first 2 shown]
	s_nop 0
	v_mov_b32_dpp v28, v25 row_shr:8 row_mask:0xf bank_mask:0xf
	v_cndmask_b32_e64 v27, 0, v28, s[2:3]
	v_add_u32_e32 v25, v25, v27
	v_bfe_i32 v28, v26, 4, 1
	v_cmp_lt_u32_e64 s[2:3], 31, v26
	v_mov_b32_dpp v27, v25 row_bcast:15 row_mask:0xf bank_mask:0xf
	v_and_b32_e32 v27, v28, v27
	v_add_u32_e32 v25, v25, v27
	v_and_b32_e32 v28, 64, v26
	s_nop 0
	v_mov_b32_dpp v27, v25 row_bcast:31 row_mask:0xf bank_mask:0xf
	v_cndmask_b32_e64 v27, 0, v27, s[2:3]
	v_add_u32_e32 v25, v25, v27
	v_add_u32_e32 v27, -1, v26
	v_cmp_lt_i32_e64 s[2:3], v27, v28
	v_cndmask_b32_e64 v26, v27, v26, s[2:3]
	v_lshlrev_b32_e32 v26, 2, v26
	ds_bpermute_b32 v25, v26, v25
	s_waitcnt lgkmcnt(0)
	v_add_u32_e32 v24, v25, v24
	v_cndmask_b32_e64 v24, v24, v11, s[0:1]
	ds_write_b32 v15, v24
	; wave barrier
	ds_read_b32 v25, v15 offset:4
	s_waitcnt lgkmcnt(0)
	v_add_u32_e32 v24, v25, v24
	ds_write_b32 v15, v24 offset:4
.LBB4612_58:
	s_or_b64 exec, exec, s[4:5]
	v_mov_b32_e32 v15, v11
	s_waitcnt lgkmcnt(0)
	s_barrier
	s_and_saveexec_b64 s[0:1], vcc
	s_cbranch_execz .LBB4612_60
; %bb.59:
	v_add_u32_e32 v15, -1, v0
	v_lshrrev_b32_e32 v24, 5, v15
	v_add_lshl_u32 v15, v24, v15, 2
	ds_read_b32 v15, v15
.LBB4612_60:
	s_or_b64 exec, exec, s[0:1]
	s_and_saveexec_b64 s[0:1], vcc
	s_cbranch_execz .LBB4612_62
; %bb.61:
	s_waitcnt lgkmcnt(0)
	v_add_u32_e32 v2, v15, v2
	v_add_u32_e32 v3, v2, v12
	;; [unrolled: 1-line block ×10, first 2 shown]
	;;#ASMSTART
	;;#ASMEND
.LBB4612_62:
	s_or_b64 exec, exec, s[0:1]
	s_movk_i32 s0, 0x7f
	v_cmp_eq_u32_e32 vcc, s0, v0
	s_and_saveexec_b64 s[0:1], vcc
	s_cbranch_execz .LBB4612_64
; %bb.63:
	v_mov_b32_e32 v14, 0
	v_mov_b32_e32 v13, 2
	;; [unrolled: 1-line block ×3, first 2 shown]
	global_store_dwordx2 v14, v[12:13], s[20:21] offset:512
.LBB4612_64:
	s_or_b64 exec, exec, s[0:1]
	s_waitcnt lgkmcnt(0)
	v_pk_mov_b32 v[14:15], v[10:11], v[10:11] op_sel:[0,1]
	v_pk_mov_b32 v[12:13], v[8:9], v[8:9] op_sel:[0,1]
	;; [unrolled: 1-line block ×5, first 2 shown]
.LBB4612_65:
	s_add_u32 s0, s12, s16
	s_addc_u32 s1, s13, s17
	s_add_u32 s2, s0, s18
	s_addc_u32 s3, s1, s19
	s_mov_b64 s[0:1], -1
	s_and_b64 vcc, exec, s[14:15]
	s_waitcnt lgkmcnt(0)
	s_barrier
	s_cbranch_vccz .LBB4612_67
; %bb.66:
	ds_write2_b64 v1, v[6:7], v[8:9] offset1:1
	ds_write2_b64 v1, v[10:11], v[12:13] offset0:2 offset1:3
	ds_write_b64 v1, v[14:15] offset:32
	s_waitcnt lgkmcnt(0)
	s_barrier
	ds_read2st64_b32 v[2:3], v22 offset1:2
	ds_read2st64_b32 v[4:5], v22 offset0:4 offset1:6
	ds_read2st64_b32 v[16:17], v22 offset0:8 offset1:10
	;; [unrolled: 1-line block ×4, first 2 shown]
	v_mov_b32_e32 v25, s3
	v_add_co_u32_e32 v24, vcc, s2, v22
	v_addc_co_u32_e32 v25, vcc, 0, v25, vcc
	s_waitcnt lgkmcnt(4)
	flat_store_dword v[24:25], v2
	flat_store_dword v[24:25], v3 offset:512
	s_waitcnt lgkmcnt(0)
	flat_store_dword v[24:25], v4 offset:1024
	flat_store_dword v[24:25], v5 offset:1536
	;; [unrolled: 1-line block ×6, first 2 shown]
	v_add_co_u32_e32 v2, vcc, 0x1000, v24
	v_addc_co_u32_e32 v3, vcc, 0, v25, vcc
	flat_store_dword v[2:3], v20
	flat_store_dword v[2:3], v21 offset:512
	s_mov_b64 s[0:1], 0
.LBB4612_67:
	s_andn2_b64 vcc, exec, s[0:1]
	s_cbranch_vccnz .LBB4612_123
; %bb.68:
	ds_write2_b64 v1, v[6:7], v[8:9] offset1:1
	ds_write2_b64 v1, v[10:11], v[12:13] offset0:2 offset1:3
	ds_write_b64 v1, v[14:15] offset:32
	s_waitcnt lgkmcnt(0)
	s_barrier
	ds_read2st64_b32 v[2:3], v22 offset1:2
	ds_read2st64_b32 v[6:7], v22 offset0:4 offset1:6
	ds_read2st64_b32 v[4:5], v22 offset0:8 offset1:10
	;; [unrolled: 1-line block ×4, first 2 shown]
	v_mov_b32_e32 v13, s3
	v_add_co_u32_e32 v12, vcc, s2, v22
	v_addc_co_u32_e32 v13, vcc, 0, v13, vcc
	v_mov_b32_e32 v1, 0
	v_cmp_gt_u32_e32 vcc, s24, v0
	s_and_saveexec_b64 s[0:1], vcc
	s_cbranch_execz .LBB4612_70
; %bb.69:
	s_waitcnt lgkmcnt(0)
	flat_store_dword v[12:13], v2
.LBB4612_70:
	s_or_b64 exec, exec, s[0:1]
	v_or_b32_e32 v14, 0x80, v0
	v_cmp_gt_u32_e32 vcc, s24, v14
	s_and_saveexec_b64 s[0:1], vcc
	s_cbranch_execz .LBB4612_72
; %bb.71:
	s_waitcnt lgkmcnt(0)
	flat_store_dword v[12:13], v3 offset:512
.LBB4612_72:
	s_or_b64 exec, exec, s[0:1]
	v_or_b32_e32 v14, 0x100, v0
	v_cmp_gt_u32_e32 vcc, s24, v14
	s_and_saveexec_b64 s[0:1], vcc
	s_cbranch_execz .LBB4612_74
; %bb.73:
	s_waitcnt lgkmcnt(0)
	flat_store_dword v[12:13], v6 offset:1024
.LBB4612_74:
	;; [unrolled: 9-line block ×7, first 2 shown]
	s_or_b64 exec, exec, s[0:1]
	v_or_b32_e32 v14, 0x400, v0
	v_cmp_gt_u32_e32 vcc, s24, v14
	s_and_saveexec_b64 s[0:1], vcc
	s_cbranch_execz .LBB4612_86
; %bb.85:
	v_add_co_u32_e32 v14, vcc, 0x1000, v12
	v_addc_co_u32_e32 v15, vcc, 0, v13, vcc
	s_waitcnt lgkmcnt(0)
	flat_store_dword v[14:15], v10
.LBB4612_86:
	s_or_b64 exec, exec, s[0:1]
	v_or_b32_e32 v14, 0x480, v0
	v_cmp_gt_u32_e32 vcc, s24, v14
	s_and_saveexec_b64 s[0:1], vcc
	s_cbranch_execz .LBB4612_88
; %bb.87:
	v_add_co_u32_e32 v12, vcc, 0x1000, v12
	v_addc_co_u32_e32 v13, vcc, 0, v13, vcc
	s_waitcnt lgkmcnt(0)
	flat_store_dword v[12:13], v11 offset:512
.LBB4612_88:
	s_or_b64 exec, exec, s[0:1]
	v_cmp_lt_u64_e64 s[0:1], s[10:11], 2
	s_and_b64 vcc, exec, s[0:1]
	s_cbranch_vccnz .LBB4612_123
; %bb.89:
	s_add_u32 s0, s24, -1
	s_addc_u32 s1, s25, -1
	s_add_u32 s2, 0, 0x99986000
	s_addc_u32 s3, 0, 0x59
	s_add_i32 s3, s3, 0x19999940
	s_mul_hi_u32 s9, s2, -10
	s_sub_i32 s9, s9, s2
	s_mul_i32 s10, s3, -10
	s_mul_i32 s4, s2, -10
	s_add_i32 s9, s9, s10
	s_mul_hi_u32 s5, s3, s4
	s_mul_i32 s8, s3, s4
	s_mul_i32 s11, s2, s9
	s_mul_hi_u32 s4, s2, s4
	s_mul_hi_u32 s10, s2, s9
	s_add_u32 s4, s4, s11
	s_addc_u32 s10, 0, s10
	s_add_u32 s4, s4, s8
	s_mul_hi_u32 s11, s3, s9
	s_addc_u32 s4, s10, s5
	s_addc_u32 s5, s11, 0
	s_mul_i32 s8, s3, s9
	s_add_u32 s4, s4, s8
	v_mov_b32_e32 v12, s4
	s_addc_u32 s5, 0, s5
	v_add_co_u32_e32 v12, vcc, s2, v12
	s_cmp_lg_u64 vcc, 0
	s_addc_u32 s2, s3, s5
	v_readfirstlane_b32 s5, v12
	s_mul_i32 s4, s0, s2
	s_mul_hi_u32 s8, s0, s5
	s_mul_hi_u32 s3, s0, s2
	s_add_u32 s4, s8, s4
	s_addc_u32 s3, 0, s3
	s_mul_hi_u32 s9, s1, s5
	s_mul_i32 s5, s1, s5
	s_add_u32 s4, s4, s5
	s_mul_hi_u32 s8, s1, s2
	s_addc_u32 s3, s3, s9
	s_addc_u32 s4, s8, 0
	s_mul_i32 s2, s1, s2
	s_add_u32 s2, s3, s2
	s_addc_u32 s3, 0, s4
	s_add_u32 s4, s2, 1
	s_addc_u32 s5, s3, 0
	s_add_u32 s8, s2, 2
	s_mul_i32 s10, s3, 10
	s_mul_hi_u32 s11, s2, 10
	s_addc_u32 s9, s3, 0
	s_add_i32 s11, s11, s10
	s_mul_i32 s10, s2, 10
	v_mov_b32_e32 v12, s10
	v_sub_co_u32_e32 v12, vcc, s0, v12
	s_cmp_lg_u64 vcc, 0
	s_subb_u32 s10, s1, s11
	v_subrev_co_u32_e32 v13, vcc, 10, v12
	s_cmp_lg_u64 vcc, 0
	s_subb_u32 s11, s10, 0
	v_readfirstlane_b32 s12, v13
	s_cmp_gt_u32 s12, 9
	s_cselect_b32 s12, -1, 0
	s_cmp_eq_u32 s11, 0
	s_cselect_b32 s11, s12, -1
	s_cmp_lg_u32 s11, 0
	s_cselect_b32 s4, s8, s4
	v_readfirstlane_b32 s8, v12
	s_cselect_b32 s5, s9, s5
	s_cmp_gt_u32 s8, 9
	s_cselect_b32 s8, -1, 0
	s_cmp_eq_u32 s10, 0
	s_cselect_b32 s8, s8, -1
	s_cmp_lg_u32 s8, 0
	s_cselect_b32 s3, s5, s3
	s_cselect_b32 s2, s4, s2
	v_cmp_eq_u64_e32 vcc, s[2:3], v[0:1]
	s_and_saveexec_b64 s[2:3], vcc
	s_cbranch_execz .LBB4612_123
; %bb.90:
	v_mul_hi_u32_u24_e32 v1, 10, v0
	v_mov_b32_e32 v12, s1
	v_sub_co_u32_e32 v0, vcc, s0, v23
	v_subb_co_u32_e32 v1, vcc, v12, v1, vcc
	v_cmp_lt_i64_e32 vcc, 4, v[0:1]
	s_and_saveexec_b64 s[0:1], vcc
	s_xor_b64 s[0:1], exec, s[0:1]
	s_cbranch_execz .LBB4612_108
; %bb.91:
	v_cmp_lt_i64_e32 vcc, 6, v[0:1]
	s_and_saveexec_b64 s[2:3], vcc
	s_xor_b64 s[2:3], exec, s[2:3]
	s_cbranch_execz .LBB4612_101
; %bb.92:
	;; [unrolled: 5-line block ×4, first 2 shown]
	v_mov_b32_e32 v0, 0
	s_waitcnt lgkmcnt(0)
	global_store_dword v0, v11, s[6:7]
                                        ; implicit-def: $vgpr10_vgpr11
.LBB4612_95:
	s_andn2_saveexec_b64 s[8:9], s[8:9]
	s_cbranch_execz .LBB4612_97
; %bb.96:
	v_mov_b32_e32 v0, 0
	s_waitcnt lgkmcnt(0)
	global_store_dword v0, v10, s[6:7]
.LBB4612_97:
	s_or_b64 exec, exec, s[8:9]
                                        ; implicit-def: $vgpr8_vgpr9
.LBB4612_98:
	s_andn2_saveexec_b64 s[4:5], s[4:5]
	s_cbranch_execz .LBB4612_100
; %bb.99:
	v_mov_b32_e32 v0, 0
	s_waitcnt lgkmcnt(0)
	global_store_dword v0, v9, s[6:7]
.LBB4612_100:
	s_or_b64 exec, exec, s[4:5]
                                        ; implicit-def: $vgpr4_vgpr5
                                        ; implicit-def: $vgpr0_vgpr1
                                        ; implicit-def: $vgpr8_vgpr9
.LBB4612_101:
	s_andn2_saveexec_b64 s[2:3], s[2:3]
	s_cbranch_execz .LBB4612_107
; %bb.102:
	v_cmp_lt_i64_e32 vcc, 5, v[0:1]
	s_and_saveexec_b64 s[4:5], vcc
	s_xor_b64 s[4:5], exec, s[4:5]
	s_cbranch_execz .LBB4612_104
; %bb.103:
	v_mov_b32_e32 v0, 0
	s_waitcnt lgkmcnt(0)
	global_store_dword v0, v8, s[6:7]
                                        ; implicit-def: $vgpr4_vgpr5
.LBB4612_104:
	s_andn2_saveexec_b64 s[4:5], s[4:5]
	s_cbranch_execz .LBB4612_106
; %bb.105:
	v_mov_b32_e32 v0, 0
	s_waitcnt lgkmcnt(0)
	global_store_dword v0, v5, s[6:7]
.LBB4612_106:
	s_or_b64 exec, exec, s[4:5]
.LBB4612_107:
	s_or_b64 exec, exec, s[2:3]
                                        ; implicit-def: $vgpr0_vgpr1
                                        ; implicit-def: $vgpr6_vgpr7
                                        ; implicit-def: $vgpr2_vgpr3
                                        ; implicit-def: $vgpr4_vgpr5
.LBB4612_108:
	s_andn2_saveexec_b64 s[0:1], s[0:1]
	s_cbranch_execz .LBB4612_123
; %bb.109:
	v_cmp_lt_i64_e32 vcc, 2, v[0:1]
	s_and_saveexec_b64 s[0:1], vcc
	s_xor_b64 s[0:1], exec, s[0:1]
	s_cbranch_execz .LBB4612_115
; %bb.110:
	v_cmp_lt_i64_e32 vcc, 3, v[0:1]
	s_and_saveexec_b64 s[2:3], vcc
	s_xor_b64 s[2:3], exec, s[2:3]
	s_cbranch_execz .LBB4612_112
; %bb.111:
	v_mov_b32_e32 v0, 0
	s_waitcnt lgkmcnt(0)
	global_store_dword v0, v4, s[6:7]
                                        ; implicit-def: $vgpr6_vgpr7
.LBB4612_112:
	s_andn2_saveexec_b64 s[2:3], s[2:3]
	s_cbranch_execz .LBB4612_114
; %bb.113:
	v_mov_b32_e32 v0, 0
	s_waitcnt lgkmcnt(0)
	global_store_dword v0, v7, s[6:7]
.LBB4612_114:
	s_or_b64 exec, exec, s[2:3]
                                        ; implicit-def: $vgpr0_vgpr1
                                        ; implicit-def: $vgpr6_vgpr7
                                        ; implicit-def: $vgpr2_vgpr3
.LBB4612_115:
	s_andn2_saveexec_b64 s[0:1], s[0:1]
	s_cbranch_execz .LBB4612_123
; %bb.116:
	v_cmp_lt_i64_e32 vcc, 1, v[0:1]
	s_and_saveexec_b64 s[0:1], vcc
	s_xor_b64 s[0:1], exec, s[0:1]
	s_cbranch_execz .LBB4612_118
; %bb.117:
	v_mov_b32_e32 v0, 0
	s_waitcnt lgkmcnt(0)
	global_store_dword v0, v6, s[6:7]
                                        ; implicit-def: $vgpr2_vgpr3
                                        ; implicit-def: $vgpr0_vgpr1
.LBB4612_118:
	s_andn2_saveexec_b64 s[0:1], s[0:1]
	s_cbranch_execz .LBB4612_123
; %bb.119:
	v_cmp_ne_u64_e32 vcc, 1, v[0:1]
	s_and_saveexec_b64 s[0:1], vcc
	s_xor_b64 s[0:1], exec, s[0:1]
	s_cbranch_execz .LBB4612_121
; %bb.120:
	v_mov_b32_e32 v0, 0
	s_waitcnt lgkmcnt(0)
	global_store_dword v0, v2, s[6:7]
                                        ; implicit-def: $vgpr2_vgpr3
.LBB4612_121:
	s_andn2_saveexec_b64 s[0:1], s[0:1]
	s_cbranch_execz .LBB4612_123
; %bb.122:
	v_mov_b32_e32 v0, 0
	s_waitcnt lgkmcnt(0)
	global_store_dword v0, v3, s[6:7]
.LBB4612_123:
	s_endpgm
	.section	.rodata,"a",@progbits
	.p2align	6, 0x0
	.amdhsa_kernel _ZN7rocprim17ROCPRIM_400000_NS6detail17trampoline_kernelINS0_14default_configENS1_20scan_config_selectorIjEEZZNS1_9scan_implILNS1_25lookback_scan_determinismE0ELb0ELb0ES3_N6thrust23THRUST_200600_302600_NS6detail15normal_iteratorINS9_10device_ptrIjEEEESE_jNS9_4plusIvEEjEEDaPvRmT3_T4_T5_mT6_P12ihipStream_tbENKUlT_T0_E_clISt17integral_constantIbLb1EEST_IbLb0EEEEDaSP_SQ_EUlSP_E_NS1_11comp_targetILNS1_3genE4ELNS1_11target_archE910ELNS1_3gpuE8ELNS1_3repE0EEENS1_30default_config_static_selectorELNS0_4arch9wavefront6targetE1EEEvT1_
		.amdhsa_group_segment_fixed_size 5120
		.amdhsa_private_segment_fixed_size 0
		.amdhsa_kernarg_size 96
		.amdhsa_user_sgpr_count 6
		.amdhsa_user_sgpr_private_segment_buffer 1
		.amdhsa_user_sgpr_dispatch_ptr 0
		.amdhsa_user_sgpr_queue_ptr 0
		.amdhsa_user_sgpr_kernarg_segment_ptr 1
		.amdhsa_user_sgpr_dispatch_id 0
		.amdhsa_user_sgpr_flat_scratch_init 0
		.amdhsa_user_sgpr_kernarg_preload_length 0
		.amdhsa_user_sgpr_kernarg_preload_offset 0
		.amdhsa_user_sgpr_private_segment_size 0
		.amdhsa_uses_dynamic_stack 0
		.amdhsa_system_sgpr_private_segment_wavefront_offset 0
		.amdhsa_system_sgpr_workgroup_id_x 1
		.amdhsa_system_sgpr_workgroup_id_y 0
		.amdhsa_system_sgpr_workgroup_id_z 0
		.amdhsa_system_sgpr_workgroup_info 0
		.amdhsa_system_vgpr_workitem_id 0
		.amdhsa_next_free_vgpr 40
		.amdhsa_next_free_sgpr 28
		.amdhsa_accum_offset 40
		.amdhsa_reserve_vcc 1
		.amdhsa_reserve_flat_scratch 0
		.amdhsa_float_round_mode_32 0
		.amdhsa_float_round_mode_16_64 0
		.amdhsa_float_denorm_mode_32 3
		.amdhsa_float_denorm_mode_16_64 3
		.amdhsa_dx10_clamp 1
		.amdhsa_ieee_mode 1
		.amdhsa_fp16_overflow 0
		.amdhsa_tg_split 0
		.amdhsa_exception_fp_ieee_invalid_op 0
		.amdhsa_exception_fp_denorm_src 0
		.amdhsa_exception_fp_ieee_div_zero 0
		.amdhsa_exception_fp_ieee_overflow 0
		.amdhsa_exception_fp_ieee_underflow 0
		.amdhsa_exception_fp_ieee_inexact 0
		.amdhsa_exception_int_div_zero 0
	.end_amdhsa_kernel
	.section	.text._ZN7rocprim17ROCPRIM_400000_NS6detail17trampoline_kernelINS0_14default_configENS1_20scan_config_selectorIjEEZZNS1_9scan_implILNS1_25lookback_scan_determinismE0ELb0ELb0ES3_N6thrust23THRUST_200600_302600_NS6detail15normal_iteratorINS9_10device_ptrIjEEEESE_jNS9_4plusIvEEjEEDaPvRmT3_T4_T5_mT6_P12ihipStream_tbENKUlT_T0_E_clISt17integral_constantIbLb1EEST_IbLb0EEEEDaSP_SQ_EUlSP_E_NS1_11comp_targetILNS1_3genE4ELNS1_11target_archE910ELNS1_3gpuE8ELNS1_3repE0EEENS1_30default_config_static_selectorELNS0_4arch9wavefront6targetE1EEEvT1_,"axG",@progbits,_ZN7rocprim17ROCPRIM_400000_NS6detail17trampoline_kernelINS0_14default_configENS1_20scan_config_selectorIjEEZZNS1_9scan_implILNS1_25lookback_scan_determinismE0ELb0ELb0ES3_N6thrust23THRUST_200600_302600_NS6detail15normal_iteratorINS9_10device_ptrIjEEEESE_jNS9_4plusIvEEjEEDaPvRmT3_T4_T5_mT6_P12ihipStream_tbENKUlT_T0_E_clISt17integral_constantIbLb1EEST_IbLb0EEEEDaSP_SQ_EUlSP_E_NS1_11comp_targetILNS1_3genE4ELNS1_11target_archE910ELNS1_3gpuE8ELNS1_3repE0EEENS1_30default_config_static_selectorELNS0_4arch9wavefront6targetE1EEEvT1_,comdat
.Lfunc_end4612:
	.size	_ZN7rocprim17ROCPRIM_400000_NS6detail17trampoline_kernelINS0_14default_configENS1_20scan_config_selectorIjEEZZNS1_9scan_implILNS1_25lookback_scan_determinismE0ELb0ELb0ES3_N6thrust23THRUST_200600_302600_NS6detail15normal_iteratorINS9_10device_ptrIjEEEESE_jNS9_4plusIvEEjEEDaPvRmT3_T4_T5_mT6_P12ihipStream_tbENKUlT_T0_E_clISt17integral_constantIbLb1EEST_IbLb0EEEEDaSP_SQ_EUlSP_E_NS1_11comp_targetILNS1_3genE4ELNS1_11target_archE910ELNS1_3gpuE8ELNS1_3repE0EEENS1_30default_config_static_selectorELNS0_4arch9wavefront6targetE1EEEvT1_, .Lfunc_end4612-_ZN7rocprim17ROCPRIM_400000_NS6detail17trampoline_kernelINS0_14default_configENS1_20scan_config_selectorIjEEZZNS1_9scan_implILNS1_25lookback_scan_determinismE0ELb0ELb0ES3_N6thrust23THRUST_200600_302600_NS6detail15normal_iteratorINS9_10device_ptrIjEEEESE_jNS9_4plusIvEEjEEDaPvRmT3_T4_T5_mT6_P12ihipStream_tbENKUlT_T0_E_clISt17integral_constantIbLb1EEST_IbLb0EEEEDaSP_SQ_EUlSP_E_NS1_11comp_targetILNS1_3genE4ELNS1_11target_archE910ELNS1_3gpuE8ELNS1_3repE0EEENS1_30default_config_static_selectorELNS0_4arch9wavefront6targetE1EEEvT1_
                                        ; -- End function
	.section	.AMDGPU.csdata,"",@progbits
; Kernel info:
; codeLenInByte = 4604
; NumSgprs: 32
; NumVgprs: 40
; NumAgprs: 0
; TotalNumVgprs: 40
; ScratchSize: 0
; MemoryBound: 0
; FloatMode: 240
; IeeeMode: 1
; LDSByteSize: 5120 bytes/workgroup (compile time only)
; SGPRBlocks: 3
; VGPRBlocks: 4
; NumSGPRsForWavesPerEU: 32
; NumVGPRsForWavesPerEU: 40
; AccumOffset: 40
; Occupancy: 6
; WaveLimiterHint : 1
; COMPUTE_PGM_RSRC2:SCRATCH_EN: 0
; COMPUTE_PGM_RSRC2:USER_SGPR: 6
; COMPUTE_PGM_RSRC2:TRAP_HANDLER: 0
; COMPUTE_PGM_RSRC2:TGID_X_EN: 1
; COMPUTE_PGM_RSRC2:TGID_Y_EN: 0
; COMPUTE_PGM_RSRC2:TGID_Z_EN: 0
; COMPUTE_PGM_RSRC2:TIDIG_COMP_CNT: 0
; COMPUTE_PGM_RSRC3_GFX90A:ACCUM_OFFSET: 9
; COMPUTE_PGM_RSRC3_GFX90A:TG_SPLIT: 0
	.section	.text._ZN7rocprim17ROCPRIM_400000_NS6detail17trampoline_kernelINS0_14default_configENS1_20scan_config_selectorIjEEZZNS1_9scan_implILNS1_25lookback_scan_determinismE0ELb0ELb0ES3_N6thrust23THRUST_200600_302600_NS6detail15normal_iteratorINS9_10device_ptrIjEEEESE_jNS9_4plusIvEEjEEDaPvRmT3_T4_T5_mT6_P12ihipStream_tbENKUlT_T0_E_clISt17integral_constantIbLb1EEST_IbLb0EEEEDaSP_SQ_EUlSP_E_NS1_11comp_targetILNS1_3genE3ELNS1_11target_archE908ELNS1_3gpuE7ELNS1_3repE0EEENS1_30default_config_static_selectorELNS0_4arch9wavefront6targetE1EEEvT1_,"axG",@progbits,_ZN7rocprim17ROCPRIM_400000_NS6detail17trampoline_kernelINS0_14default_configENS1_20scan_config_selectorIjEEZZNS1_9scan_implILNS1_25lookback_scan_determinismE0ELb0ELb0ES3_N6thrust23THRUST_200600_302600_NS6detail15normal_iteratorINS9_10device_ptrIjEEEESE_jNS9_4plusIvEEjEEDaPvRmT3_T4_T5_mT6_P12ihipStream_tbENKUlT_T0_E_clISt17integral_constantIbLb1EEST_IbLb0EEEEDaSP_SQ_EUlSP_E_NS1_11comp_targetILNS1_3genE3ELNS1_11target_archE908ELNS1_3gpuE7ELNS1_3repE0EEENS1_30default_config_static_selectorELNS0_4arch9wavefront6targetE1EEEvT1_,comdat
	.protected	_ZN7rocprim17ROCPRIM_400000_NS6detail17trampoline_kernelINS0_14default_configENS1_20scan_config_selectorIjEEZZNS1_9scan_implILNS1_25lookback_scan_determinismE0ELb0ELb0ES3_N6thrust23THRUST_200600_302600_NS6detail15normal_iteratorINS9_10device_ptrIjEEEESE_jNS9_4plusIvEEjEEDaPvRmT3_T4_T5_mT6_P12ihipStream_tbENKUlT_T0_E_clISt17integral_constantIbLb1EEST_IbLb0EEEEDaSP_SQ_EUlSP_E_NS1_11comp_targetILNS1_3genE3ELNS1_11target_archE908ELNS1_3gpuE7ELNS1_3repE0EEENS1_30default_config_static_selectorELNS0_4arch9wavefront6targetE1EEEvT1_ ; -- Begin function _ZN7rocprim17ROCPRIM_400000_NS6detail17trampoline_kernelINS0_14default_configENS1_20scan_config_selectorIjEEZZNS1_9scan_implILNS1_25lookback_scan_determinismE0ELb0ELb0ES3_N6thrust23THRUST_200600_302600_NS6detail15normal_iteratorINS9_10device_ptrIjEEEESE_jNS9_4plusIvEEjEEDaPvRmT3_T4_T5_mT6_P12ihipStream_tbENKUlT_T0_E_clISt17integral_constantIbLb1EEST_IbLb0EEEEDaSP_SQ_EUlSP_E_NS1_11comp_targetILNS1_3genE3ELNS1_11target_archE908ELNS1_3gpuE7ELNS1_3repE0EEENS1_30default_config_static_selectorELNS0_4arch9wavefront6targetE1EEEvT1_
	.globl	_ZN7rocprim17ROCPRIM_400000_NS6detail17trampoline_kernelINS0_14default_configENS1_20scan_config_selectorIjEEZZNS1_9scan_implILNS1_25lookback_scan_determinismE0ELb0ELb0ES3_N6thrust23THRUST_200600_302600_NS6detail15normal_iteratorINS9_10device_ptrIjEEEESE_jNS9_4plusIvEEjEEDaPvRmT3_T4_T5_mT6_P12ihipStream_tbENKUlT_T0_E_clISt17integral_constantIbLb1EEST_IbLb0EEEEDaSP_SQ_EUlSP_E_NS1_11comp_targetILNS1_3genE3ELNS1_11target_archE908ELNS1_3gpuE7ELNS1_3repE0EEENS1_30default_config_static_selectorELNS0_4arch9wavefront6targetE1EEEvT1_
	.p2align	8
	.type	_ZN7rocprim17ROCPRIM_400000_NS6detail17trampoline_kernelINS0_14default_configENS1_20scan_config_selectorIjEEZZNS1_9scan_implILNS1_25lookback_scan_determinismE0ELb0ELb0ES3_N6thrust23THRUST_200600_302600_NS6detail15normal_iteratorINS9_10device_ptrIjEEEESE_jNS9_4plusIvEEjEEDaPvRmT3_T4_T5_mT6_P12ihipStream_tbENKUlT_T0_E_clISt17integral_constantIbLb1EEST_IbLb0EEEEDaSP_SQ_EUlSP_E_NS1_11comp_targetILNS1_3genE3ELNS1_11target_archE908ELNS1_3gpuE7ELNS1_3repE0EEENS1_30default_config_static_selectorELNS0_4arch9wavefront6targetE1EEEvT1_,@function
_ZN7rocprim17ROCPRIM_400000_NS6detail17trampoline_kernelINS0_14default_configENS1_20scan_config_selectorIjEEZZNS1_9scan_implILNS1_25lookback_scan_determinismE0ELb0ELb0ES3_N6thrust23THRUST_200600_302600_NS6detail15normal_iteratorINS9_10device_ptrIjEEEESE_jNS9_4plusIvEEjEEDaPvRmT3_T4_T5_mT6_P12ihipStream_tbENKUlT_T0_E_clISt17integral_constantIbLb1EEST_IbLb0EEEEDaSP_SQ_EUlSP_E_NS1_11comp_targetILNS1_3genE3ELNS1_11target_archE908ELNS1_3gpuE7ELNS1_3repE0EEENS1_30default_config_static_selectorELNS0_4arch9wavefront6targetE1EEEvT1_: ; @_ZN7rocprim17ROCPRIM_400000_NS6detail17trampoline_kernelINS0_14default_configENS1_20scan_config_selectorIjEEZZNS1_9scan_implILNS1_25lookback_scan_determinismE0ELb0ELb0ES3_N6thrust23THRUST_200600_302600_NS6detail15normal_iteratorINS9_10device_ptrIjEEEESE_jNS9_4plusIvEEjEEDaPvRmT3_T4_T5_mT6_P12ihipStream_tbENKUlT_T0_E_clISt17integral_constantIbLb1EEST_IbLb0EEEEDaSP_SQ_EUlSP_E_NS1_11comp_targetILNS1_3genE3ELNS1_11target_archE908ELNS1_3gpuE7ELNS1_3repE0EEENS1_30default_config_static_selectorELNS0_4arch9wavefront6targetE1EEEvT1_
; %bb.0:
	.section	.rodata,"a",@progbits
	.p2align	6, 0x0
	.amdhsa_kernel _ZN7rocprim17ROCPRIM_400000_NS6detail17trampoline_kernelINS0_14default_configENS1_20scan_config_selectorIjEEZZNS1_9scan_implILNS1_25lookback_scan_determinismE0ELb0ELb0ES3_N6thrust23THRUST_200600_302600_NS6detail15normal_iteratorINS9_10device_ptrIjEEEESE_jNS9_4plusIvEEjEEDaPvRmT3_T4_T5_mT6_P12ihipStream_tbENKUlT_T0_E_clISt17integral_constantIbLb1EEST_IbLb0EEEEDaSP_SQ_EUlSP_E_NS1_11comp_targetILNS1_3genE3ELNS1_11target_archE908ELNS1_3gpuE7ELNS1_3repE0EEENS1_30default_config_static_selectorELNS0_4arch9wavefront6targetE1EEEvT1_
		.amdhsa_group_segment_fixed_size 0
		.amdhsa_private_segment_fixed_size 0
		.amdhsa_kernarg_size 96
		.amdhsa_user_sgpr_count 6
		.amdhsa_user_sgpr_private_segment_buffer 1
		.amdhsa_user_sgpr_dispatch_ptr 0
		.amdhsa_user_sgpr_queue_ptr 0
		.amdhsa_user_sgpr_kernarg_segment_ptr 1
		.amdhsa_user_sgpr_dispatch_id 0
		.amdhsa_user_sgpr_flat_scratch_init 0
		.amdhsa_user_sgpr_kernarg_preload_length 0
		.amdhsa_user_sgpr_kernarg_preload_offset 0
		.amdhsa_user_sgpr_private_segment_size 0
		.amdhsa_uses_dynamic_stack 0
		.amdhsa_system_sgpr_private_segment_wavefront_offset 0
		.amdhsa_system_sgpr_workgroup_id_x 1
		.amdhsa_system_sgpr_workgroup_id_y 0
		.amdhsa_system_sgpr_workgroup_id_z 0
		.amdhsa_system_sgpr_workgroup_info 0
		.amdhsa_system_vgpr_workitem_id 0
		.amdhsa_next_free_vgpr 1
		.amdhsa_next_free_sgpr 0
		.amdhsa_accum_offset 4
		.amdhsa_reserve_vcc 0
		.amdhsa_reserve_flat_scratch 0
		.amdhsa_float_round_mode_32 0
		.amdhsa_float_round_mode_16_64 0
		.amdhsa_float_denorm_mode_32 3
		.amdhsa_float_denorm_mode_16_64 3
		.amdhsa_dx10_clamp 1
		.amdhsa_ieee_mode 1
		.amdhsa_fp16_overflow 0
		.amdhsa_tg_split 0
		.amdhsa_exception_fp_ieee_invalid_op 0
		.amdhsa_exception_fp_denorm_src 0
		.amdhsa_exception_fp_ieee_div_zero 0
		.amdhsa_exception_fp_ieee_overflow 0
		.amdhsa_exception_fp_ieee_underflow 0
		.amdhsa_exception_fp_ieee_inexact 0
		.amdhsa_exception_int_div_zero 0
	.end_amdhsa_kernel
	.section	.text._ZN7rocprim17ROCPRIM_400000_NS6detail17trampoline_kernelINS0_14default_configENS1_20scan_config_selectorIjEEZZNS1_9scan_implILNS1_25lookback_scan_determinismE0ELb0ELb0ES3_N6thrust23THRUST_200600_302600_NS6detail15normal_iteratorINS9_10device_ptrIjEEEESE_jNS9_4plusIvEEjEEDaPvRmT3_T4_T5_mT6_P12ihipStream_tbENKUlT_T0_E_clISt17integral_constantIbLb1EEST_IbLb0EEEEDaSP_SQ_EUlSP_E_NS1_11comp_targetILNS1_3genE3ELNS1_11target_archE908ELNS1_3gpuE7ELNS1_3repE0EEENS1_30default_config_static_selectorELNS0_4arch9wavefront6targetE1EEEvT1_,"axG",@progbits,_ZN7rocprim17ROCPRIM_400000_NS6detail17trampoline_kernelINS0_14default_configENS1_20scan_config_selectorIjEEZZNS1_9scan_implILNS1_25lookback_scan_determinismE0ELb0ELb0ES3_N6thrust23THRUST_200600_302600_NS6detail15normal_iteratorINS9_10device_ptrIjEEEESE_jNS9_4plusIvEEjEEDaPvRmT3_T4_T5_mT6_P12ihipStream_tbENKUlT_T0_E_clISt17integral_constantIbLb1EEST_IbLb0EEEEDaSP_SQ_EUlSP_E_NS1_11comp_targetILNS1_3genE3ELNS1_11target_archE908ELNS1_3gpuE7ELNS1_3repE0EEENS1_30default_config_static_selectorELNS0_4arch9wavefront6targetE1EEEvT1_,comdat
.Lfunc_end4613:
	.size	_ZN7rocprim17ROCPRIM_400000_NS6detail17trampoline_kernelINS0_14default_configENS1_20scan_config_selectorIjEEZZNS1_9scan_implILNS1_25lookback_scan_determinismE0ELb0ELb0ES3_N6thrust23THRUST_200600_302600_NS6detail15normal_iteratorINS9_10device_ptrIjEEEESE_jNS9_4plusIvEEjEEDaPvRmT3_T4_T5_mT6_P12ihipStream_tbENKUlT_T0_E_clISt17integral_constantIbLb1EEST_IbLb0EEEEDaSP_SQ_EUlSP_E_NS1_11comp_targetILNS1_3genE3ELNS1_11target_archE908ELNS1_3gpuE7ELNS1_3repE0EEENS1_30default_config_static_selectorELNS0_4arch9wavefront6targetE1EEEvT1_, .Lfunc_end4613-_ZN7rocprim17ROCPRIM_400000_NS6detail17trampoline_kernelINS0_14default_configENS1_20scan_config_selectorIjEEZZNS1_9scan_implILNS1_25lookback_scan_determinismE0ELb0ELb0ES3_N6thrust23THRUST_200600_302600_NS6detail15normal_iteratorINS9_10device_ptrIjEEEESE_jNS9_4plusIvEEjEEDaPvRmT3_T4_T5_mT6_P12ihipStream_tbENKUlT_T0_E_clISt17integral_constantIbLb1EEST_IbLb0EEEEDaSP_SQ_EUlSP_E_NS1_11comp_targetILNS1_3genE3ELNS1_11target_archE908ELNS1_3gpuE7ELNS1_3repE0EEENS1_30default_config_static_selectorELNS0_4arch9wavefront6targetE1EEEvT1_
                                        ; -- End function
	.section	.AMDGPU.csdata,"",@progbits
; Kernel info:
; codeLenInByte = 0
; NumSgprs: 4
; NumVgprs: 0
; NumAgprs: 0
; TotalNumVgprs: 0
; ScratchSize: 0
; MemoryBound: 0
; FloatMode: 240
; IeeeMode: 1
; LDSByteSize: 0 bytes/workgroup (compile time only)
; SGPRBlocks: 0
; VGPRBlocks: 0
; NumSGPRsForWavesPerEU: 4
; NumVGPRsForWavesPerEU: 1
; AccumOffset: 4
; Occupancy: 8
; WaveLimiterHint : 0
; COMPUTE_PGM_RSRC2:SCRATCH_EN: 0
; COMPUTE_PGM_RSRC2:USER_SGPR: 6
; COMPUTE_PGM_RSRC2:TRAP_HANDLER: 0
; COMPUTE_PGM_RSRC2:TGID_X_EN: 1
; COMPUTE_PGM_RSRC2:TGID_Y_EN: 0
; COMPUTE_PGM_RSRC2:TGID_Z_EN: 0
; COMPUTE_PGM_RSRC2:TIDIG_COMP_CNT: 0
; COMPUTE_PGM_RSRC3_GFX90A:ACCUM_OFFSET: 0
; COMPUTE_PGM_RSRC3_GFX90A:TG_SPLIT: 0
	.section	.text._ZN7rocprim17ROCPRIM_400000_NS6detail17trampoline_kernelINS0_14default_configENS1_20scan_config_selectorIjEEZZNS1_9scan_implILNS1_25lookback_scan_determinismE0ELb0ELb0ES3_N6thrust23THRUST_200600_302600_NS6detail15normal_iteratorINS9_10device_ptrIjEEEESE_jNS9_4plusIvEEjEEDaPvRmT3_T4_T5_mT6_P12ihipStream_tbENKUlT_T0_E_clISt17integral_constantIbLb1EEST_IbLb0EEEEDaSP_SQ_EUlSP_E_NS1_11comp_targetILNS1_3genE2ELNS1_11target_archE906ELNS1_3gpuE6ELNS1_3repE0EEENS1_30default_config_static_selectorELNS0_4arch9wavefront6targetE1EEEvT1_,"axG",@progbits,_ZN7rocprim17ROCPRIM_400000_NS6detail17trampoline_kernelINS0_14default_configENS1_20scan_config_selectorIjEEZZNS1_9scan_implILNS1_25lookback_scan_determinismE0ELb0ELb0ES3_N6thrust23THRUST_200600_302600_NS6detail15normal_iteratorINS9_10device_ptrIjEEEESE_jNS9_4plusIvEEjEEDaPvRmT3_T4_T5_mT6_P12ihipStream_tbENKUlT_T0_E_clISt17integral_constantIbLb1EEST_IbLb0EEEEDaSP_SQ_EUlSP_E_NS1_11comp_targetILNS1_3genE2ELNS1_11target_archE906ELNS1_3gpuE6ELNS1_3repE0EEENS1_30default_config_static_selectorELNS0_4arch9wavefront6targetE1EEEvT1_,comdat
	.protected	_ZN7rocprim17ROCPRIM_400000_NS6detail17trampoline_kernelINS0_14default_configENS1_20scan_config_selectorIjEEZZNS1_9scan_implILNS1_25lookback_scan_determinismE0ELb0ELb0ES3_N6thrust23THRUST_200600_302600_NS6detail15normal_iteratorINS9_10device_ptrIjEEEESE_jNS9_4plusIvEEjEEDaPvRmT3_T4_T5_mT6_P12ihipStream_tbENKUlT_T0_E_clISt17integral_constantIbLb1EEST_IbLb0EEEEDaSP_SQ_EUlSP_E_NS1_11comp_targetILNS1_3genE2ELNS1_11target_archE906ELNS1_3gpuE6ELNS1_3repE0EEENS1_30default_config_static_selectorELNS0_4arch9wavefront6targetE1EEEvT1_ ; -- Begin function _ZN7rocprim17ROCPRIM_400000_NS6detail17trampoline_kernelINS0_14default_configENS1_20scan_config_selectorIjEEZZNS1_9scan_implILNS1_25lookback_scan_determinismE0ELb0ELb0ES3_N6thrust23THRUST_200600_302600_NS6detail15normal_iteratorINS9_10device_ptrIjEEEESE_jNS9_4plusIvEEjEEDaPvRmT3_T4_T5_mT6_P12ihipStream_tbENKUlT_T0_E_clISt17integral_constantIbLb1EEST_IbLb0EEEEDaSP_SQ_EUlSP_E_NS1_11comp_targetILNS1_3genE2ELNS1_11target_archE906ELNS1_3gpuE6ELNS1_3repE0EEENS1_30default_config_static_selectorELNS0_4arch9wavefront6targetE1EEEvT1_
	.globl	_ZN7rocprim17ROCPRIM_400000_NS6detail17trampoline_kernelINS0_14default_configENS1_20scan_config_selectorIjEEZZNS1_9scan_implILNS1_25lookback_scan_determinismE0ELb0ELb0ES3_N6thrust23THRUST_200600_302600_NS6detail15normal_iteratorINS9_10device_ptrIjEEEESE_jNS9_4plusIvEEjEEDaPvRmT3_T4_T5_mT6_P12ihipStream_tbENKUlT_T0_E_clISt17integral_constantIbLb1EEST_IbLb0EEEEDaSP_SQ_EUlSP_E_NS1_11comp_targetILNS1_3genE2ELNS1_11target_archE906ELNS1_3gpuE6ELNS1_3repE0EEENS1_30default_config_static_selectorELNS0_4arch9wavefront6targetE1EEEvT1_
	.p2align	8
	.type	_ZN7rocprim17ROCPRIM_400000_NS6detail17trampoline_kernelINS0_14default_configENS1_20scan_config_selectorIjEEZZNS1_9scan_implILNS1_25lookback_scan_determinismE0ELb0ELb0ES3_N6thrust23THRUST_200600_302600_NS6detail15normal_iteratorINS9_10device_ptrIjEEEESE_jNS9_4plusIvEEjEEDaPvRmT3_T4_T5_mT6_P12ihipStream_tbENKUlT_T0_E_clISt17integral_constantIbLb1EEST_IbLb0EEEEDaSP_SQ_EUlSP_E_NS1_11comp_targetILNS1_3genE2ELNS1_11target_archE906ELNS1_3gpuE6ELNS1_3repE0EEENS1_30default_config_static_selectorELNS0_4arch9wavefront6targetE1EEEvT1_,@function
_ZN7rocprim17ROCPRIM_400000_NS6detail17trampoline_kernelINS0_14default_configENS1_20scan_config_selectorIjEEZZNS1_9scan_implILNS1_25lookback_scan_determinismE0ELb0ELb0ES3_N6thrust23THRUST_200600_302600_NS6detail15normal_iteratorINS9_10device_ptrIjEEEESE_jNS9_4plusIvEEjEEDaPvRmT3_T4_T5_mT6_P12ihipStream_tbENKUlT_T0_E_clISt17integral_constantIbLb1EEST_IbLb0EEEEDaSP_SQ_EUlSP_E_NS1_11comp_targetILNS1_3genE2ELNS1_11target_archE906ELNS1_3gpuE6ELNS1_3repE0EEENS1_30default_config_static_selectorELNS0_4arch9wavefront6targetE1EEEvT1_: ; @_ZN7rocprim17ROCPRIM_400000_NS6detail17trampoline_kernelINS0_14default_configENS1_20scan_config_selectorIjEEZZNS1_9scan_implILNS1_25lookback_scan_determinismE0ELb0ELb0ES3_N6thrust23THRUST_200600_302600_NS6detail15normal_iteratorINS9_10device_ptrIjEEEESE_jNS9_4plusIvEEjEEDaPvRmT3_T4_T5_mT6_P12ihipStream_tbENKUlT_T0_E_clISt17integral_constantIbLb1EEST_IbLb0EEEEDaSP_SQ_EUlSP_E_NS1_11comp_targetILNS1_3genE2ELNS1_11target_archE906ELNS1_3gpuE6ELNS1_3repE0EEENS1_30default_config_static_selectorELNS0_4arch9wavefront6targetE1EEEvT1_
; %bb.0:
	.section	.rodata,"a",@progbits
	.p2align	6, 0x0
	.amdhsa_kernel _ZN7rocprim17ROCPRIM_400000_NS6detail17trampoline_kernelINS0_14default_configENS1_20scan_config_selectorIjEEZZNS1_9scan_implILNS1_25lookback_scan_determinismE0ELb0ELb0ES3_N6thrust23THRUST_200600_302600_NS6detail15normal_iteratorINS9_10device_ptrIjEEEESE_jNS9_4plusIvEEjEEDaPvRmT3_T4_T5_mT6_P12ihipStream_tbENKUlT_T0_E_clISt17integral_constantIbLb1EEST_IbLb0EEEEDaSP_SQ_EUlSP_E_NS1_11comp_targetILNS1_3genE2ELNS1_11target_archE906ELNS1_3gpuE6ELNS1_3repE0EEENS1_30default_config_static_selectorELNS0_4arch9wavefront6targetE1EEEvT1_
		.amdhsa_group_segment_fixed_size 0
		.amdhsa_private_segment_fixed_size 0
		.amdhsa_kernarg_size 96
		.amdhsa_user_sgpr_count 6
		.amdhsa_user_sgpr_private_segment_buffer 1
		.amdhsa_user_sgpr_dispatch_ptr 0
		.amdhsa_user_sgpr_queue_ptr 0
		.amdhsa_user_sgpr_kernarg_segment_ptr 1
		.amdhsa_user_sgpr_dispatch_id 0
		.amdhsa_user_sgpr_flat_scratch_init 0
		.amdhsa_user_sgpr_kernarg_preload_length 0
		.amdhsa_user_sgpr_kernarg_preload_offset 0
		.amdhsa_user_sgpr_private_segment_size 0
		.amdhsa_uses_dynamic_stack 0
		.amdhsa_system_sgpr_private_segment_wavefront_offset 0
		.amdhsa_system_sgpr_workgroup_id_x 1
		.amdhsa_system_sgpr_workgroup_id_y 0
		.amdhsa_system_sgpr_workgroup_id_z 0
		.amdhsa_system_sgpr_workgroup_info 0
		.amdhsa_system_vgpr_workitem_id 0
		.amdhsa_next_free_vgpr 1
		.amdhsa_next_free_sgpr 0
		.amdhsa_accum_offset 4
		.amdhsa_reserve_vcc 0
		.amdhsa_reserve_flat_scratch 0
		.amdhsa_float_round_mode_32 0
		.amdhsa_float_round_mode_16_64 0
		.amdhsa_float_denorm_mode_32 3
		.amdhsa_float_denorm_mode_16_64 3
		.amdhsa_dx10_clamp 1
		.amdhsa_ieee_mode 1
		.amdhsa_fp16_overflow 0
		.amdhsa_tg_split 0
		.amdhsa_exception_fp_ieee_invalid_op 0
		.amdhsa_exception_fp_denorm_src 0
		.amdhsa_exception_fp_ieee_div_zero 0
		.amdhsa_exception_fp_ieee_overflow 0
		.amdhsa_exception_fp_ieee_underflow 0
		.amdhsa_exception_fp_ieee_inexact 0
		.amdhsa_exception_int_div_zero 0
	.end_amdhsa_kernel
	.section	.text._ZN7rocprim17ROCPRIM_400000_NS6detail17trampoline_kernelINS0_14default_configENS1_20scan_config_selectorIjEEZZNS1_9scan_implILNS1_25lookback_scan_determinismE0ELb0ELb0ES3_N6thrust23THRUST_200600_302600_NS6detail15normal_iteratorINS9_10device_ptrIjEEEESE_jNS9_4plusIvEEjEEDaPvRmT3_T4_T5_mT6_P12ihipStream_tbENKUlT_T0_E_clISt17integral_constantIbLb1EEST_IbLb0EEEEDaSP_SQ_EUlSP_E_NS1_11comp_targetILNS1_3genE2ELNS1_11target_archE906ELNS1_3gpuE6ELNS1_3repE0EEENS1_30default_config_static_selectorELNS0_4arch9wavefront6targetE1EEEvT1_,"axG",@progbits,_ZN7rocprim17ROCPRIM_400000_NS6detail17trampoline_kernelINS0_14default_configENS1_20scan_config_selectorIjEEZZNS1_9scan_implILNS1_25lookback_scan_determinismE0ELb0ELb0ES3_N6thrust23THRUST_200600_302600_NS6detail15normal_iteratorINS9_10device_ptrIjEEEESE_jNS9_4plusIvEEjEEDaPvRmT3_T4_T5_mT6_P12ihipStream_tbENKUlT_T0_E_clISt17integral_constantIbLb1EEST_IbLb0EEEEDaSP_SQ_EUlSP_E_NS1_11comp_targetILNS1_3genE2ELNS1_11target_archE906ELNS1_3gpuE6ELNS1_3repE0EEENS1_30default_config_static_selectorELNS0_4arch9wavefront6targetE1EEEvT1_,comdat
.Lfunc_end4614:
	.size	_ZN7rocprim17ROCPRIM_400000_NS6detail17trampoline_kernelINS0_14default_configENS1_20scan_config_selectorIjEEZZNS1_9scan_implILNS1_25lookback_scan_determinismE0ELb0ELb0ES3_N6thrust23THRUST_200600_302600_NS6detail15normal_iteratorINS9_10device_ptrIjEEEESE_jNS9_4plusIvEEjEEDaPvRmT3_T4_T5_mT6_P12ihipStream_tbENKUlT_T0_E_clISt17integral_constantIbLb1EEST_IbLb0EEEEDaSP_SQ_EUlSP_E_NS1_11comp_targetILNS1_3genE2ELNS1_11target_archE906ELNS1_3gpuE6ELNS1_3repE0EEENS1_30default_config_static_selectorELNS0_4arch9wavefront6targetE1EEEvT1_, .Lfunc_end4614-_ZN7rocprim17ROCPRIM_400000_NS6detail17trampoline_kernelINS0_14default_configENS1_20scan_config_selectorIjEEZZNS1_9scan_implILNS1_25lookback_scan_determinismE0ELb0ELb0ES3_N6thrust23THRUST_200600_302600_NS6detail15normal_iteratorINS9_10device_ptrIjEEEESE_jNS9_4plusIvEEjEEDaPvRmT3_T4_T5_mT6_P12ihipStream_tbENKUlT_T0_E_clISt17integral_constantIbLb1EEST_IbLb0EEEEDaSP_SQ_EUlSP_E_NS1_11comp_targetILNS1_3genE2ELNS1_11target_archE906ELNS1_3gpuE6ELNS1_3repE0EEENS1_30default_config_static_selectorELNS0_4arch9wavefront6targetE1EEEvT1_
                                        ; -- End function
	.section	.AMDGPU.csdata,"",@progbits
; Kernel info:
; codeLenInByte = 0
; NumSgprs: 4
; NumVgprs: 0
; NumAgprs: 0
; TotalNumVgprs: 0
; ScratchSize: 0
; MemoryBound: 0
; FloatMode: 240
; IeeeMode: 1
; LDSByteSize: 0 bytes/workgroup (compile time only)
; SGPRBlocks: 0
; VGPRBlocks: 0
; NumSGPRsForWavesPerEU: 4
; NumVGPRsForWavesPerEU: 1
; AccumOffset: 4
; Occupancy: 8
; WaveLimiterHint : 0
; COMPUTE_PGM_RSRC2:SCRATCH_EN: 0
; COMPUTE_PGM_RSRC2:USER_SGPR: 6
; COMPUTE_PGM_RSRC2:TRAP_HANDLER: 0
; COMPUTE_PGM_RSRC2:TGID_X_EN: 1
; COMPUTE_PGM_RSRC2:TGID_Y_EN: 0
; COMPUTE_PGM_RSRC2:TGID_Z_EN: 0
; COMPUTE_PGM_RSRC2:TIDIG_COMP_CNT: 0
; COMPUTE_PGM_RSRC3_GFX90A:ACCUM_OFFSET: 0
; COMPUTE_PGM_RSRC3_GFX90A:TG_SPLIT: 0
	.section	.text._ZN7rocprim17ROCPRIM_400000_NS6detail17trampoline_kernelINS0_14default_configENS1_20scan_config_selectorIjEEZZNS1_9scan_implILNS1_25lookback_scan_determinismE0ELb0ELb0ES3_N6thrust23THRUST_200600_302600_NS6detail15normal_iteratorINS9_10device_ptrIjEEEESE_jNS9_4plusIvEEjEEDaPvRmT3_T4_T5_mT6_P12ihipStream_tbENKUlT_T0_E_clISt17integral_constantIbLb1EEST_IbLb0EEEEDaSP_SQ_EUlSP_E_NS1_11comp_targetILNS1_3genE10ELNS1_11target_archE1201ELNS1_3gpuE5ELNS1_3repE0EEENS1_30default_config_static_selectorELNS0_4arch9wavefront6targetE1EEEvT1_,"axG",@progbits,_ZN7rocprim17ROCPRIM_400000_NS6detail17trampoline_kernelINS0_14default_configENS1_20scan_config_selectorIjEEZZNS1_9scan_implILNS1_25lookback_scan_determinismE0ELb0ELb0ES3_N6thrust23THRUST_200600_302600_NS6detail15normal_iteratorINS9_10device_ptrIjEEEESE_jNS9_4plusIvEEjEEDaPvRmT3_T4_T5_mT6_P12ihipStream_tbENKUlT_T0_E_clISt17integral_constantIbLb1EEST_IbLb0EEEEDaSP_SQ_EUlSP_E_NS1_11comp_targetILNS1_3genE10ELNS1_11target_archE1201ELNS1_3gpuE5ELNS1_3repE0EEENS1_30default_config_static_selectorELNS0_4arch9wavefront6targetE1EEEvT1_,comdat
	.protected	_ZN7rocprim17ROCPRIM_400000_NS6detail17trampoline_kernelINS0_14default_configENS1_20scan_config_selectorIjEEZZNS1_9scan_implILNS1_25lookback_scan_determinismE0ELb0ELb0ES3_N6thrust23THRUST_200600_302600_NS6detail15normal_iteratorINS9_10device_ptrIjEEEESE_jNS9_4plusIvEEjEEDaPvRmT3_T4_T5_mT6_P12ihipStream_tbENKUlT_T0_E_clISt17integral_constantIbLb1EEST_IbLb0EEEEDaSP_SQ_EUlSP_E_NS1_11comp_targetILNS1_3genE10ELNS1_11target_archE1201ELNS1_3gpuE5ELNS1_3repE0EEENS1_30default_config_static_selectorELNS0_4arch9wavefront6targetE1EEEvT1_ ; -- Begin function _ZN7rocprim17ROCPRIM_400000_NS6detail17trampoline_kernelINS0_14default_configENS1_20scan_config_selectorIjEEZZNS1_9scan_implILNS1_25lookback_scan_determinismE0ELb0ELb0ES3_N6thrust23THRUST_200600_302600_NS6detail15normal_iteratorINS9_10device_ptrIjEEEESE_jNS9_4plusIvEEjEEDaPvRmT3_T4_T5_mT6_P12ihipStream_tbENKUlT_T0_E_clISt17integral_constantIbLb1EEST_IbLb0EEEEDaSP_SQ_EUlSP_E_NS1_11comp_targetILNS1_3genE10ELNS1_11target_archE1201ELNS1_3gpuE5ELNS1_3repE0EEENS1_30default_config_static_selectorELNS0_4arch9wavefront6targetE1EEEvT1_
	.globl	_ZN7rocprim17ROCPRIM_400000_NS6detail17trampoline_kernelINS0_14default_configENS1_20scan_config_selectorIjEEZZNS1_9scan_implILNS1_25lookback_scan_determinismE0ELb0ELb0ES3_N6thrust23THRUST_200600_302600_NS6detail15normal_iteratorINS9_10device_ptrIjEEEESE_jNS9_4plusIvEEjEEDaPvRmT3_T4_T5_mT6_P12ihipStream_tbENKUlT_T0_E_clISt17integral_constantIbLb1EEST_IbLb0EEEEDaSP_SQ_EUlSP_E_NS1_11comp_targetILNS1_3genE10ELNS1_11target_archE1201ELNS1_3gpuE5ELNS1_3repE0EEENS1_30default_config_static_selectorELNS0_4arch9wavefront6targetE1EEEvT1_
	.p2align	8
	.type	_ZN7rocprim17ROCPRIM_400000_NS6detail17trampoline_kernelINS0_14default_configENS1_20scan_config_selectorIjEEZZNS1_9scan_implILNS1_25lookback_scan_determinismE0ELb0ELb0ES3_N6thrust23THRUST_200600_302600_NS6detail15normal_iteratorINS9_10device_ptrIjEEEESE_jNS9_4plusIvEEjEEDaPvRmT3_T4_T5_mT6_P12ihipStream_tbENKUlT_T0_E_clISt17integral_constantIbLb1EEST_IbLb0EEEEDaSP_SQ_EUlSP_E_NS1_11comp_targetILNS1_3genE10ELNS1_11target_archE1201ELNS1_3gpuE5ELNS1_3repE0EEENS1_30default_config_static_selectorELNS0_4arch9wavefront6targetE1EEEvT1_,@function
_ZN7rocprim17ROCPRIM_400000_NS6detail17trampoline_kernelINS0_14default_configENS1_20scan_config_selectorIjEEZZNS1_9scan_implILNS1_25lookback_scan_determinismE0ELb0ELb0ES3_N6thrust23THRUST_200600_302600_NS6detail15normal_iteratorINS9_10device_ptrIjEEEESE_jNS9_4plusIvEEjEEDaPvRmT3_T4_T5_mT6_P12ihipStream_tbENKUlT_T0_E_clISt17integral_constantIbLb1EEST_IbLb0EEEEDaSP_SQ_EUlSP_E_NS1_11comp_targetILNS1_3genE10ELNS1_11target_archE1201ELNS1_3gpuE5ELNS1_3repE0EEENS1_30default_config_static_selectorELNS0_4arch9wavefront6targetE1EEEvT1_: ; @_ZN7rocprim17ROCPRIM_400000_NS6detail17trampoline_kernelINS0_14default_configENS1_20scan_config_selectorIjEEZZNS1_9scan_implILNS1_25lookback_scan_determinismE0ELb0ELb0ES3_N6thrust23THRUST_200600_302600_NS6detail15normal_iteratorINS9_10device_ptrIjEEEESE_jNS9_4plusIvEEjEEDaPvRmT3_T4_T5_mT6_P12ihipStream_tbENKUlT_T0_E_clISt17integral_constantIbLb1EEST_IbLb0EEEEDaSP_SQ_EUlSP_E_NS1_11comp_targetILNS1_3genE10ELNS1_11target_archE1201ELNS1_3gpuE5ELNS1_3repE0EEENS1_30default_config_static_selectorELNS0_4arch9wavefront6targetE1EEEvT1_
; %bb.0:
	.section	.rodata,"a",@progbits
	.p2align	6, 0x0
	.amdhsa_kernel _ZN7rocprim17ROCPRIM_400000_NS6detail17trampoline_kernelINS0_14default_configENS1_20scan_config_selectorIjEEZZNS1_9scan_implILNS1_25lookback_scan_determinismE0ELb0ELb0ES3_N6thrust23THRUST_200600_302600_NS6detail15normal_iteratorINS9_10device_ptrIjEEEESE_jNS9_4plusIvEEjEEDaPvRmT3_T4_T5_mT6_P12ihipStream_tbENKUlT_T0_E_clISt17integral_constantIbLb1EEST_IbLb0EEEEDaSP_SQ_EUlSP_E_NS1_11comp_targetILNS1_3genE10ELNS1_11target_archE1201ELNS1_3gpuE5ELNS1_3repE0EEENS1_30default_config_static_selectorELNS0_4arch9wavefront6targetE1EEEvT1_
		.amdhsa_group_segment_fixed_size 0
		.amdhsa_private_segment_fixed_size 0
		.amdhsa_kernarg_size 96
		.amdhsa_user_sgpr_count 6
		.amdhsa_user_sgpr_private_segment_buffer 1
		.amdhsa_user_sgpr_dispatch_ptr 0
		.amdhsa_user_sgpr_queue_ptr 0
		.amdhsa_user_sgpr_kernarg_segment_ptr 1
		.amdhsa_user_sgpr_dispatch_id 0
		.amdhsa_user_sgpr_flat_scratch_init 0
		.amdhsa_user_sgpr_kernarg_preload_length 0
		.amdhsa_user_sgpr_kernarg_preload_offset 0
		.amdhsa_user_sgpr_private_segment_size 0
		.amdhsa_uses_dynamic_stack 0
		.amdhsa_system_sgpr_private_segment_wavefront_offset 0
		.amdhsa_system_sgpr_workgroup_id_x 1
		.amdhsa_system_sgpr_workgroup_id_y 0
		.amdhsa_system_sgpr_workgroup_id_z 0
		.amdhsa_system_sgpr_workgroup_info 0
		.amdhsa_system_vgpr_workitem_id 0
		.amdhsa_next_free_vgpr 1
		.amdhsa_next_free_sgpr 0
		.amdhsa_accum_offset 4
		.amdhsa_reserve_vcc 0
		.amdhsa_reserve_flat_scratch 0
		.amdhsa_float_round_mode_32 0
		.amdhsa_float_round_mode_16_64 0
		.amdhsa_float_denorm_mode_32 3
		.amdhsa_float_denorm_mode_16_64 3
		.amdhsa_dx10_clamp 1
		.amdhsa_ieee_mode 1
		.amdhsa_fp16_overflow 0
		.amdhsa_tg_split 0
		.amdhsa_exception_fp_ieee_invalid_op 0
		.amdhsa_exception_fp_denorm_src 0
		.amdhsa_exception_fp_ieee_div_zero 0
		.amdhsa_exception_fp_ieee_overflow 0
		.amdhsa_exception_fp_ieee_underflow 0
		.amdhsa_exception_fp_ieee_inexact 0
		.amdhsa_exception_int_div_zero 0
	.end_amdhsa_kernel
	.section	.text._ZN7rocprim17ROCPRIM_400000_NS6detail17trampoline_kernelINS0_14default_configENS1_20scan_config_selectorIjEEZZNS1_9scan_implILNS1_25lookback_scan_determinismE0ELb0ELb0ES3_N6thrust23THRUST_200600_302600_NS6detail15normal_iteratorINS9_10device_ptrIjEEEESE_jNS9_4plusIvEEjEEDaPvRmT3_T4_T5_mT6_P12ihipStream_tbENKUlT_T0_E_clISt17integral_constantIbLb1EEST_IbLb0EEEEDaSP_SQ_EUlSP_E_NS1_11comp_targetILNS1_3genE10ELNS1_11target_archE1201ELNS1_3gpuE5ELNS1_3repE0EEENS1_30default_config_static_selectorELNS0_4arch9wavefront6targetE1EEEvT1_,"axG",@progbits,_ZN7rocprim17ROCPRIM_400000_NS6detail17trampoline_kernelINS0_14default_configENS1_20scan_config_selectorIjEEZZNS1_9scan_implILNS1_25lookback_scan_determinismE0ELb0ELb0ES3_N6thrust23THRUST_200600_302600_NS6detail15normal_iteratorINS9_10device_ptrIjEEEESE_jNS9_4plusIvEEjEEDaPvRmT3_T4_T5_mT6_P12ihipStream_tbENKUlT_T0_E_clISt17integral_constantIbLb1EEST_IbLb0EEEEDaSP_SQ_EUlSP_E_NS1_11comp_targetILNS1_3genE10ELNS1_11target_archE1201ELNS1_3gpuE5ELNS1_3repE0EEENS1_30default_config_static_selectorELNS0_4arch9wavefront6targetE1EEEvT1_,comdat
.Lfunc_end4615:
	.size	_ZN7rocprim17ROCPRIM_400000_NS6detail17trampoline_kernelINS0_14default_configENS1_20scan_config_selectorIjEEZZNS1_9scan_implILNS1_25lookback_scan_determinismE0ELb0ELb0ES3_N6thrust23THRUST_200600_302600_NS6detail15normal_iteratorINS9_10device_ptrIjEEEESE_jNS9_4plusIvEEjEEDaPvRmT3_T4_T5_mT6_P12ihipStream_tbENKUlT_T0_E_clISt17integral_constantIbLb1EEST_IbLb0EEEEDaSP_SQ_EUlSP_E_NS1_11comp_targetILNS1_3genE10ELNS1_11target_archE1201ELNS1_3gpuE5ELNS1_3repE0EEENS1_30default_config_static_selectorELNS0_4arch9wavefront6targetE1EEEvT1_, .Lfunc_end4615-_ZN7rocprim17ROCPRIM_400000_NS6detail17trampoline_kernelINS0_14default_configENS1_20scan_config_selectorIjEEZZNS1_9scan_implILNS1_25lookback_scan_determinismE0ELb0ELb0ES3_N6thrust23THRUST_200600_302600_NS6detail15normal_iteratorINS9_10device_ptrIjEEEESE_jNS9_4plusIvEEjEEDaPvRmT3_T4_T5_mT6_P12ihipStream_tbENKUlT_T0_E_clISt17integral_constantIbLb1EEST_IbLb0EEEEDaSP_SQ_EUlSP_E_NS1_11comp_targetILNS1_3genE10ELNS1_11target_archE1201ELNS1_3gpuE5ELNS1_3repE0EEENS1_30default_config_static_selectorELNS0_4arch9wavefront6targetE1EEEvT1_
                                        ; -- End function
	.section	.AMDGPU.csdata,"",@progbits
; Kernel info:
; codeLenInByte = 0
; NumSgprs: 4
; NumVgprs: 0
; NumAgprs: 0
; TotalNumVgprs: 0
; ScratchSize: 0
; MemoryBound: 0
; FloatMode: 240
; IeeeMode: 1
; LDSByteSize: 0 bytes/workgroup (compile time only)
; SGPRBlocks: 0
; VGPRBlocks: 0
; NumSGPRsForWavesPerEU: 4
; NumVGPRsForWavesPerEU: 1
; AccumOffset: 4
; Occupancy: 8
; WaveLimiterHint : 0
; COMPUTE_PGM_RSRC2:SCRATCH_EN: 0
; COMPUTE_PGM_RSRC2:USER_SGPR: 6
; COMPUTE_PGM_RSRC2:TRAP_HANDLER: 0
; COMPUTE_PGM_RSRC2:TGID_X_EN: 1
; COMPUTE_PGM_RSRC2:TGID_Y_EN: 0
; COMPUTE_PGM_RSRC2:TGID_Z_EN: 0
; COMPUTE_PGM_RSRC2:TIDIG_COMP_CNT: 0
; COMPUTE_PGM_RSRC3_GFX90A:ACCUM_OFFSET: 0
; COMPUTE_PGM_RSRC3_GFX90A:TG_SPLIT: 0
	.section	.text._ZN7rocprim17ROCPRIM_400000_NS6detail17trampoline_kernelINS0_14default_configENS1_20scan_config_selectorIjEEZZNS1_9scan_implILNS1_25lookback_scan_determinismE0ELb0ELb0ES3_N6thrust23THRUST_200600_302600_NS6detail15normal_iteratorINS9_10device_ptrIjEEEESE_jNS9_4plusIvEEjEEDaPvRmT3_T4_T5_mT6_P12ihipStream_tbENKUlT_T0_E_clISt17integral_constantIbLb1EEST_IbLb0EEEEDaSP_SQ_EUlSP_E_NS1_11comp_targetILNS1_3genE10ELNS1_11target_archE1200ELNS1_3gpuE4ELNS1_3repE0EEENS1_30default_config_static_selectorELNS0_4arch9wavefront6targetE1EEEvT1_,"axG",@progbits,_ZN7rocprim17ROCPRIM_400000_NS6detail17trampoline_kernelINS0_14default_configENS1_20scan_config_selectorIjEEZZNS1_9scan_implILNS1_25lookback_scan_determinismE0ELb0ELb0ES3_N6thrust23THRUST_200600_302600_NS6detail15normal_iteratorINS9_10device_ptrIjEEEESE_jNS9_4plusIvEEjEEDaPvRmT3_T4_T5_mT6_P12ihipStream_tbENKUlT_T0_E_clISt17integral_constantIbLb1EEST_IbLb0EEEEDaSP_SQ_EUlSP_E_NS1_11comp_targetILNS1_3genE10ELNS1_11target_archE1200ELNS1_3gpuE4ELNS1_3repE0EEENS1_30default_config_static_selectorELNS0_4arch9wavefront6targetE1EEEvT1_,comdat
	.protected	_ZN7rocprim17ROCPRIM_400000_NS6detail17trampoline_kernelINS0_14default_configENS1_20scan_config_selectorIjEEZZNS1_9scan_implILNS1_25lookback_scan_determinismE0ELb0ELb0ES3_N6thrust23THRUST_200600_302600_NS6detail15normal_iteratorINS9_10device_ptrIjEEEESE_jNS9_4plusIvEEjEEDaPvRmT3_T4_T5_mT6_P12ihipStream_tbENKUlT_T0_E_clISt17integral_constantIbLb1EEST_IbLb0EEEEDaSP_SQ_EUlSP_E_NS1_11comp_targetILNS1_3genE10ELNS1_11target_archE1200ELNS1_3gpuE4ELNS1_3repE0EEENS1_30default_config_static_selectorELNS0_4arch9wavefront6targetE1EEEvT1_ ; -- Begin function _ZN7rocprim17ROCPRIM_400000_NS6detail17trampoline_kernelINS0_14default_configENS1_20scan_config_selectorIjEEZZNS1_9scan_implILNS1_25lookback_scan_determinismE0ELb0ELb0ES3_N6thrust23THRUST_200600_302600_NS6detail15normal_iteratorINS9_10device_ptrIjEEEESE_jNS9_4plusIvEEjEEDaPvRmT3_T4_T5_mT6_P12ihipStream_tbENKUlT_T0_E_clISt17integral_constantIbLb1EEST_IbLb0EEEEDaSP_SQ_EUlSP_E_NS1_11comp_targetILNS1_3genE10ELNS1_11target_archE1200ELNS1_3gpuE4ELNS1_3repE0EEENS1_30default_config_static_selectorELNS0_4arch9wavefront6targetE1EEEvT1_
	.globl	_ZN7rocprim17ROCPRIM_400000_NS6detail17trampoline_kernelINS0_14default_configENS1_20scan_config_selectorIjEEZZNS1_9scan_implILNS1_25lookback_scan_determinismE0ELb0ELb0ES3_N6thrust23THRUST_200600_302600_NS6detail15normal_iteratorINS9_10device_ptrIjEEEESE_jNS9_4plusIvEEjEEDaPvRmT3_T4_T5_mT6_P12ihipStream_tbENKUlT_T0_E_clISt17integral_constantIbLb1EEST_IbLb0EEEEDaSP_SQ_EUlSP_E_NS1_11comp_targetILNS1_3genE10ELNS1_11target_archE1200ELNS1_3gpuE4ELNS1_3repE0EEENS1_30default_config_static_selectorELNS0_4arch9wavefront6targetE1EEEvT1_
	.p2align	8
	.type	_ZN7rocprim17ROCPRIM_400000_NS6detail17trampoline_kernelINS0_14default_configENS1_20scan_config_selectorIjEEZZNS1_9scan_implILNS1_25lookback_scan_determinismE0ELb0ELb0ES3_N6thrust23THRUST_200600_302600_NS6detail15normal_iteratorINS9_10device_ptrIjEEEESE_jNS9_4plusIvEEjEEDaPvRmT3_T4_T5_mT6_P12ihipStream_tbENKUlT_T0_E_clISt17integral_constantIbLb1EEST_IbLb0EEEEDaSP_SQ_EUlSP_E_NS1_11comp_targetILNS1_3genE10ELNS1_11target_archE1200ELNS1_3gpuE4ELNS1_3repE0EEENS1_30default_config_static_selectorELNS0_4arch9wavefront6targetE1EEEvT1_,@function
_ZN7rocprim17ROCPRIM_400000_NS6detail17trampoline_kernelINS0_14default_configENS1_20scan_config_selectorIjEEZZNS1_9scan_implILNS1_25lookback_scan_determinismE0ELb0ELb0ES3_N6thrust23THRUST_200600_302600_NS6detail15normal_iteratorINS9_10device_ptrIjEEEESE_jNS9_4plusIvEEjEEDaPvRmT3_T4_T5_mT6_P12ihipStream_tbENKUlT_T0_E_clISt17integral_constantIbLb1EEST_IbLb0EEEEDaSP_SQ_EUlSP_E_NS1_11comp_targetILNS1_3genE10ELNS1_11target_archE1200ELNS1_3gpuE4ELNS1_3repE0EEENS1_30default_config_static_selectorELNS0_4arch9wavefront6targetE1EEEvT1_: ; @_ZN7rocprim17ROCPRIM_400000_NS6detail17trampoline_kernelINS0_14default_configENS1_20scan_config_selectorIjEEZZNS1_9scan_implILNS1_25lookback_scan_determinismE0ELb0ELb0ES3_N6thrust23THRUST_200600_302600_NS6detail15normal_iteratorINS9_10device_ptrIjEEEESE_jNS9_4plusIvEEjEEDaPvRmT3_T4_T5_mT6_P12ihipStream_tbENKUlT_T0_E_clISt17integral_constantIbLb1EEST_IbLb0EEEEDaSP_SQ_EUlSP_E_NS1_11comp_targetILNS1_3genE10ELNS1_11target_archE1200ELNS1_3gpuE4ELNS1_3repE0EEENS1_30default_config_static_selectorELNS0_4arch9wavefront6targetE1EEEvT1_
; %bb.0:
	.section	.rodata,"a",@progbits
	.p2align	6, 0x0
	.amdhsa_kernel _ZN7rocprim17ROCPRIM_400000_NS6detail17trampoline_kernelINS0_14default_configENS1_20scan_config_selectorIjEEZZNS1_9scan_implILNS1_25lookback_scan_determinismE0ELb0ELb0ES3_N6thrust23THRUST_200600_302600_NS6detail15normal_iteratorINS9_10device_ptrIjEEEESE_jNS9_4plusIvEEjEEDaPvRmT3_T4_T5_mT6_P12ihipStream_tbENKUlT_T0_E_clISt17integral_constantIbLb1EEST_IbLb0EEEEDaSP_SQ_EUlSP_E_NS1_11comp_targetILNS1_3genE10ELNS1_11target_archE1200ELNS1_3gpuE4ELNS1_3repE0EEENS1_30default_config_static_selectorELNS0_4arch9wavefront6targetE1EEEvT1_
		.amdhsa_group_segment_fixed_size 0
		.amdhsa_private_segment_fixed_size 0
		.amdhsa_kernarg_size 96
		.amdhsa_user_sgpr_count 6
		.amdhsa_user_sgpr_private_segment_buffer 1
		.amdhsa_user_sgpr_dispatch_ptr 0
		.amdhsa_user_sgpr_queue_ptr 0
		.amdhsa_user_sgpr_kernarg_segment_ptr 1
		.amdhsa_user_sgpr_dispatch_id 0
		.amdhsa_user_sgpr_flat_scratch_init 0
		.amdhsa_user_sgpr_kernarg_preload_length 0
		.amdhsa_user_sgpr_kernarg_preload_offset 0
		.amdhsa_user_sgpr_private_segment_size 0
		.amdhsa_uses_dynamic_stack 0
		.amdhsa_system_sgpr_private_segment_wavefront_offset 0
		.amdhsa_system_sgpr_workgroup_id_x 1
		.amdhsa_system_sgpr_workgroup_id_y 0
		.amdhsa_system_sgpr_workgroup_id_z 0
		.amdhsa_system_sgpr_workgroup_info 0
		.amdhsa_system_vgpr_workitem_id 0
		.amdhsa_next_free_vgpr 1
		.amdhsa_next_free_sgpr 0
		.amdhsa_accum_offset 4
		.amdhsa_reserve_vcc 0
		.amdhsa_reserve_flat_scratch 0
		.amdhsa_float_round_mode_32 0
		.amdhsa_float_round_mode_16_64 0
		.amdhsa_float_denorm_mode_32 3
		.amdhsa_float_denorm_mode_16_64 3
		.amdhsa_dx10_clamp 1
		.amdhsa_ieee_mode 1
		.amdhsa_fp16_overflow 0
		.amdhsa_tg_split 0
		.amdhsa_exception_fp_ieee_invalid_op 0
		.amdhsa_exception_fp_denorm_src 0
		.amdhsa_exception_fp_ieee_div_zero 0
		.amdhsa_exception_fp_ieee_overflow 0
		.amdhsa_exception_fp_ieee_underflow 0
		.amdhsa_exception_fp_ieee_inexact 0
		.amdhsa_exception_int_div_zero 0
	.end_amdhsa_kernel
	.section	.text._ZN7rocprim17ROCPRIM_400000_NS6detail17trampoline_kernelINS0_14default_configENS1_20scan_config_selectorIjEEZZNS1_9scan_implILNS1_25lookback_scan_determinismE0ELb0ELb0ES3_N6thrust23THRUST_200600_302600_NS6detail15normal_iteratorINS9_10device_ptrIjEEEESE_jNS9_4plusIvEEjEEDaPvRmT3_T4_T5_mT6_P12ihipStream_tbENKUlT_T0_E_clISt17integral_constantIbLb1EEST_IbLb0EEEEDaSP_SQ_EUlSP_E_NS1_11comp_targetILNS1_3genE10ELNS1_11target_archE1200ELNS1_3gpuE4ELNS1_3repE0EEENS1_30default_config_static_selectorELNS0_4arch9wavefront6targetE1EEEvT1_,"axG",@progbits,_ZN7rocprim17ROCPRIM_400000_NS6detail17trampoline_kernelINS0_14default_configENS1_20scan_config_selectorIjEEZZNS1_9scan_implILNS1_25lookback_scan_determinismE0ELb0ELb0ES3_N6thrust23THRUST_200600_302600_NS6detail15normal_iteratorINS9_10device_ptrIjEEEESE_jNS9_4plusIvEEjEEDaPvRmT3_T4_T5_mT6_P12ihipStream_tbENKUlT_T0_E_clISt17integral_constantIbLb1EEST_IbLb0EEEEDaSP_SQ_EUlSP_E_NS1_11comp_targetILNS1_3genE10ELNS1_11target_archE1200ELNS1_3gpuE4ELNS1_3repE0EEENS1_30default_config_static_selectorELNS0_4arch9wavefront6targetE1EEEvT1_,comdat
.Lfunc_end4616:
	.size	_ZN7rocprim17ROCPRIM_400000_NS6detail17trampoline_kernelINS0_14default_configENS1_20scan_config_selectorIjEEZZNS1_9scan_implILNS1_25lookback_scan_determinismE0ELb0ELb0ES3_N6thrust23THRUST_200600_302600_NS6detail15normal_iteratorINS9_10device_ptrIjEEEESE_jNS9_4plusIvEEjEEDaPvRmT3_T4_T5_mT6_P12ihipStream_tbENKUlT_T0_E_clISt17integral_constantIbLb1EEST_IbLb0EEEEDaSP_SQ_EUlSP_E_NS1_11comp_targetILNS1_3genE10ELNS1_11target_archE1200ELNS1_3gpuE4ELNS1_3repE0EEENS1_30default_config_static_selectorELNS0_4arch9wavefront6targetE1EEEvT1_, .Lfunc_end4616-_ZN7rocprim17ROCPRIM_400000_NS6detail17trampoline_kernelINS0_14default_configENS1_20scan_config_selectorIjEEZZNS1_9scan_implILNS1_25lookback_scan_determinismE0ELb0ELb0ES3_N6thrust23THRUST_200600_302600_NS6detail15normal_iteratorINS9_10device_ptrIjEEEESE_jNS9_4plusIvEEjEEDaPvRmT3_T4_T5_mT6_P12ihipStream_tbENKUlT_T0_E_clISt17integral_constantIbLb1EEST_IbLb0EEEEDaSP_SQ_EUlSP_E_NS1_11comp_targetILNS1_3genE10ELNS1_11target_archE1200ELNS1_3gpuE4ELNS1_3repE0EEENS1_30default_config_static_selectorELNS0_4arch9wavefront6targetE1EEEvT1_
                                        ; -- End function
	.section	.AMDGPU.csdata,"",@progbits
; Kernel info:
; codeLenInByte = 0
; NumSgprs: 4
; NumVgprs: 0
; NumAgprs: 0
; TotalNumVgprs: 0
; ScratchSize: 0
; MemoryBound: 0
; FloatMode: 240
; IeeeMode: 1
; LDSByteSize: 0 bytes/workgroup (compile time only)
; SGPRBlocks: 0
; VGPRBlocks: 0
; NumSGPRsForWavesPerEU: 4
; NumVGPRsForWavesPerEU: 1
; AccumOffset: 4
; Occupancy: 8
; WaveLimiterHint : 0
; COMPUTE_PGM_RSRC2:SCRATCH_EN: 0
; COMPUTE_PGM_RSRC2:USER_SGPR: 6
; COMPUTE_PGM_RSRC2:TRAP_HANDLER: 0
; COMPUTE_PGM_RSRC2:TGID_X_EN: 1
; COMPUTE_PGM_RSRC2:TGID_Y_EN: 0
; COMPUTE_PGM_RSRC2:TGID_Z_EN: 0
; COMPUTE_PGM_RSRC2:TIDIG_COMP_CNT: 0
; COMPUTE_PGM_RSRC3_GFX90A:ACCUM_OFFSET: 0
; COMPUTE_PGM_RSRC3_GFX90A:TG_SPLIT: 0
	.section	.text._ZN7rocprim17ROCPRIM_400000_NS6detail17trampoline_kernelINS0_14default_configENS1_20scan_config_selectorIjEEZZNS1_9scan_implILNS1_25lookback_scan_determinismE0ELb0ELb0ES3_N6thrust23THRUST_200600_302600_NS6detail15normal_iteratorINS9_10device_ptrIjEEEESE_jNS9_4plusIvEEjEEDaPvRmT3_T4_T5_mT6_P12ihipStream_tbENKUlT_T0_E_clISt17integral_constantIbLb1EEST_IbLb0EEEEDaSP_SQ_EUlSP_E_NS1_11comp_targetILNS1_3genE9ELNS1_11target_archE1100ELNS1_3gpuE3ELNS1_3repE0EEENS1_30default_config_static_selectorELNS0_4arch9wavefront6targetE1EEEvT1_,"axG",@progbits,_ZN7rocprim17ROCPRIM_400000_NS6detail17trampoline_kernelINS0_14default_configENS1_20scan_config_selectorIjEEZZNS1_9scan_implILNS1_25lookback_scan_determinismE0ELb0ELb0ES3_N6thrust23THRUST_200600_302600_NS6detail15normal_iteratorINS9_10device_ptrIjEEEESE_jNS9_4plusIvEEjEEDaPvRmT3_T4_T5_mT6_P12ihipStream_tbENKUlT_T0_E_clISt17integral_constantIbLb1EEST_IbLb0EEEEDaSP_SQ_EUlSP_E_NS1_11comp_targetILNS1_3genE9ELNS1_11target_archE1100ELNS1_3gpuE3ELNS1_3repE0EEENS1_30default_config_static_selectorELNS0_4arch9wavefront6targetE1EEEvT1_,comdat
	.protected	_ZN7rocprim17ROCPRIM_400000_NS6detail17trampoline_kernelINS0_14default_configENS1_20scan_config_selectorIjEEZZNS1_9scan_implILNS1_25lookback_scan_determinismE0ELb0ELb0ES3_N6thrust23THRUST_200600_302600_NS6detail15normal_iteratorINS9_10device_ptrIjEEEESE_jNS9_4plusIvEEjEEDaPvRmT3_T4_T5_mT6_P12ihipStream_tbENKUlT_T0_E_clISt17integral_constantIbLb1EEST_IbLb0EEEEDaSP_SQ_EUlSP_E_NS1_11comp_targetILNS1_3genE9ELNS1_11target_archE1100ELNS1_3gpuE3ELNS1_3repE0EEENS1_30default_config_static_selectorELNS0_4arch9wavefront6targetE1EEEvT1_ ; -- Begin function _ZN7rocprim17ROCPRIM_400000_NS6detail17trampoline_kernelINS0_14default_configENS1_20scan_config_selectorIjEEZZNS1_9scan_implILNS1_25lookback_scan_determinismE0ELb0ELb0ES3_N6thrust23THRUST_200600_302600_NS6detail15normal_iteratorINS9_10device_ptrIjEEEESE_jNS9_4plusIvEEjEEDaPvRmT3_T4_T5_mT6_P12ihipStream_tbENKUlT_T0_E_clISt17integral_constantIbLb1EEST_IbLb0EEEEDaSP_SQ_EUlSP_E_NS1_11comp_targetILNS1_3genE9ELNS1_11target_archE1100ELNS1_3gpuE3ELNS1_3repE0EEENS1_30default_config_static_selectorELNS0_4arch9wavefront6targetE1EEEvT1_
	.globl	_ZN7rocprim17ROCPRIM_400000_NS6detail17trampoline_kernelINS0_14default_configENS1_20scan_config_selectorIjEEZZNS1_9scan_implILNS1_25lookback_scan_determinismE0ELb0ELb0ES3_N6thrust23THRUST_200600_302600_NS6detail15normal_iteratorINS9_10device_ptrIjEEEESE_jNS9_4plusIvEEjEEDaPvRmT3_T4_T5_mT6_P12ihipStream_tbENKUlT_T0_E_clISt17integral_constantIbLb1EEST_IbLb0EEEEDaSP_SQ_EUlSP_E_NS1_11comp_targetILNS1_3genE9ELNS1_11target_archE1100ELNS1_3gpuE3ELNS1_3repE0EEENS1_30default_config_static_selectorELNS0_4arch9wavefront6targetE1EEEvT1_
	.p2align	8
	.type	_ZN7rocprim17ROCPRIM_400000_NS6detail17trampoline_kernelINS0_14default_configENS1_20scan_config_selectorIjEEZZNS1_9scan_implILNS1_25lookback_scan_determinismE0ELb0ELb0ES3_N6thrust23THRUST_200600_302600_NS6detail15normal_iteratorINS9_10device_ptrIjEEEESE_jNS9_4plusIvEEjEEDaPvRmT3_T4_T5_mT6_P12ihipStream_tbENKUlT_T0_E_clISt17integral_constantIbLb1EEST_IbLb0EEEEDaSP_SQ_EUlSP_E_NS1_11comp_targetILNS1_3genE9ELNS1_11target_archE1100ELNS1_3gpuE3ELNS1_3repE0EEENS1_30default_config_static_selectorELNS0_4arch9wavefront6targetE1EEEvT1_,@function
_ZN7rocprim17ROCPRIM_400000_NS6detail17trampoline_kernelINS0_14default_configENS1_20scan_config_selectorIjEEZZNS1_9scan_implILNS1_25lookback_scan_determinismE0ELb0ELb0ES3_N6thrust23THRUST_200600_302600_NS6detail15normal_iteratorINS9_10device_ptrIjEEEESE_jNS9_4plusIvEEjEEDaPvRmT3_T4_T5_mT6_P12ihipStream_tbENKUlT_T0_E_clISt17integral_constantIbLb1EEST_IbLb0EEEEDaSP_SQ_EUlSP_E_NS1_11comp_targetILNS1_3genE9ELNS1_11target_archE1100ELNS1_3gpuE3ELNS1_3repE0EEENS1_30default_config_static_selectorELNS0_4arch9wavefront6targetE1EEEvT1_: ; @_ZN7rocprim17ROCPRIM_400000_NS6detail17trampoline_kernelINS0_14default_configENS1_20scan_config_selectorIjEEZZNS1_9scan_implILNS1_25lookback_scan_determinismE0ELb0ELb0ES3_N6thrust23THRUST_200600_302600_NS6detail15normal_iteratorINS9_10device_ptrIjEEEESE_jNS9_4plusIvEEjEEDaPvRmT3_T4_T5_mT6_P12ihipStream_tbENKUlT_T0_E_clISt17integral_constantIbLb1EEST_IbLb0EEEEDaSP_SQ_EUlSP_E_NS1_11comp_targetILNS1_3genE9ELNS1_11target_archE1100ELNS1_3gpuE3ELNS1_3repE0EEENS1_30default_config_static_selectorELNS0_4arch9wavefront6targetE1EEEvT1_
; %bb.0:
	.section	.rodata,"a",@progbits
	.p2align	6, 0x0
	.amdhsa_kernel _ZN7rocprim17ROCPRIM_400000_NS6detail17trampoline_kernelINS0_14default_configENS1_20scan_config_selectorIjEEZZNS1_9scan_implILNS1_25lookback_scan_determinismE0ELb0ELb0ES3_N6thrust23THRUST_200600_302600_NS6detail15normal_iteratorINS9_10device_ptrIjEEEESE_jNS9_4plusIvEEjEEDaPvRmT3_T4_T5_mT6_P12ihipStream_tbENKUlT_T0_E_clISt17integral_constantIbLb1EEST_IbLb0EEEEDaSP_SQ_EUlSP_E_NS1_11comp_targetILNS1_3genE9ELNS1_11target_archE1100ELNS1_3gpuE3ELNS1_3repE0EEENS1_30default_config_static_selectorELNS0_4arch9wavefront6targetE1EEEvT1_
		.amdhsa_group_segment_fixed_size 0
		.amdhsa_private_segment_fixed_size 0
		.amdhsa_kernarg_size 96
		.amdhsa_user_sgpr_count 6
		.amdhsa_user_sgpr_private_segment_buffer 1
		.amdhsa_user_sgpr_dispatch_ptr 0
		.amdhsa_user_sgpr_queue_ptr 0
		.amdhsa_user_sgpr_kernarg_segment_ptr 1
		.amdhsa_user_sgpr_dispatch_id 0
		.amdhsa_user_sgpr_flat_scratch_init 0
		.amdhsa_user_sgpr_kernarg_preload_length 0
		.amdhsa_user_sgpr_kernarg_preload_offset 0
		.amdhsa_user_sgpr_private_segment_size 0
		.amdhsa_uses_dynamic_stack 0
		.amdhsa_system_sgpr_private_segment_wavefront_offset 0
		.amdhsa_system_sgpr_workgroup_id_x 1
		.amdhsa_system_sgpr_workgroup_id_y 0
		.amdhsa_system_sgpr_workgroup_id_z 0
		.amdhsa_system_sgpr_workgroup_info 0
		.amdhsa_system_vgpr_workitem_id 0
		.amdhsa_next_free_vgpr 1
		.amdhsa_next_free_sgpr 0
		.amdhsa_accum_offset 4
		.amdhsa_reserve_vcc 0
		.amdhsa_reserve_flat_scratch 0
		.amdhsa_float_round_mode_32 0
		.amdhsa_float_round_mode_16_64 0
		.amdhsa_float_denorm_mode_32 3
		.amdhsa_float_denorm_mode_16_64 3
		.amdhsa_dx10_clamp 1
		.amdhsa_ieee_mode 1
		.amdhsa_fp16_overflow 0
		.amdhsa_tg_split 0
		.amdhsa_exception_fp_ieee_invalid_op 0
		.amdhsa_exception_fp_denorm_src 0
		.amdhsa_exception_fp_ieee_div_zero 0
		.amdhsa_exception_fp_ieee_overflow 0
		.amdhsa_exception_fp_ieee_underflow 0
		.amdhsa_exception_fp_ieee_inexact 0
		.amdhsa_exception_int_div_zero 0
	.end_amdhsa_kernel
	.section	.text._ZN7rocprim17ROCPRIM_400000_NS6detail17trampoline_kernelINS0_14default_configENS1_20scan_config_selectorIjEEZZNS1_9scan_implILNS1_25lookback_scan_determinismE0ELb0ELb0ES3_N6thrust23THRUST_200600_302600_NS6detail15normal_iteratorINS9_10device_ptrIjEEEESE_jNS9_4plusIvEEjEEDaPvRmT3_T4_T5_mT6_P12ihipStream_tbENKUlT_T0_E_clISt17integral_constantIbLb1EEST_IbLb0EEEEDaSP_SQ_EUlSP_E_NS1_11comp_targetILNS1_3genE9ELNS1_11target_archE1100ELNS1_3gpuE3ELNS1_3repE0EEENS1_30default_config_static_selectorELNS0_4arch9wavefront6targetE1EEEvT1_,"axG",@progbits,_ZN7rocprim17ROCPRIM_400000_NS6detail17trampoline_kernelINS0_14default_configENS1_20scan_config_selectorIjEEZZNS1_9scan_implILNS1_25lookback_scan_determinismE0ELb0ELb0ES3_N6thrust23THRUST_200600_302600_NS6detail15normal_iteratorINS9_10device_ptrIjEEEESE_jNS9_4plusIvEEjEEDaPvRmT3_T4_T5_mT6_P12ihipStream_tbENKUlT_T0_E_clISt17integral_constantIbLb1EEST_IbLb0EEEEDaSP_SQ_EUlSP_E_NS1_11comp_targetILNS1_3genE9ELNS1_11target_archE1100ELNS1_3gpuE3ELNS1_3repE0EEENS1_30default_config_static_selectorELNS0_4arch9wavefront6targetE1EEEvT1_,comdat
.Lfunc_end4617:
	.size	_ZN7rocprim17ROCPRIM_400000_NS6detail17trampoline_kernelINS0_14default_configENS1_20scan_config_selectorIjEEZZNS1_9scan_implILNS1_25lookback_scan_determinismE0ELb0ELb0ES3_N6thrust23THRUST_200600_302600_NS6detail15normal_iteratorINS9_10device_ptrIjEEEESE_jNS9_4plusIvEEjEEDaPvRmT3_T4_T5_mT6_P12ihipStream_tbENKUlT_T0_E_clISt17integral_constantIbLb1EEST_IbLb0EEEEDaSP_SQ_EUlSP_E_NS1_11comp_targetILNS1_3genE9ELNS1_11target_archE1100ELNS1_3gpuE3ELNS1_3repE0EEENS1_30default_config_static_selectorELNS0_4arch9wavefront6targetE1EEEvT1_, .Lfunc_end4617-_ZN7rocprim17ROCPRIM_400000_NS6detail17trampoline_kernelINS0_14default_configENS1_20scan_config_selectorIjEEZZNS1_9scan_implILNS1_25lookback_scan_determinismE0ELb0ELb0ES3_N6thrust23THRUST_200600_302600_NS6detail15normal_iteratorINS9_10device_ptrIjEEEESE_jNS9_4plusIvEEjEEDaPvRmT3_T4_T5_mT6_P12ihipStream_tbENKUlT_T0_E_clISt17integral_constantIbLb1EEST_IbLb0EEEEDaSP_SQ_EUlSP_E_NS1_11comp_targetILNS1_3genE9ELNS1_11target_archE1100ELNS1_3gpuE3ELNS1_3repE0EEENS1_30default_config_static_selectorELNS0_4arch9wavefront6targetE1EEEvT1_
                                        ; -- End function
	.section	.AMDGPU.csdata,"",@progbits
; Kernel info:
; codeLenInByte = 0
; NumSgprs: 4
; NumVgprs: 0
; NumAgprs: 0
; TotalNumVgprs: 0
; ScratchSize: 0
; MemoryBound: 0
; FloatMode: 240
; IeeeMode: 1
; LDSByteSize: 0 bytes/workgroup (compile time only)
; SGPRBlocks: 0
; VGPRBlocks: 0
; NumSGPRsForWavesPerEU: 4
; NumVGPRsForWavesPerEU: 1
; AccumOffset: 4
; Occupancy: 8
; WaveLimiterHint : 0
; COMPUTE_PGM_RSRC2:SCRATCH_EN: 0
; COMPUTE_PGM_RSRC2:USER_SGPR: 6
; COMPUTE_PGM_RSRC2:TRAP_HANDLER: 0
; COMPUTE_PGM_RSRC2:TGID_X_EN: 1
; COMPUTE_PGM_RSRC2:TGID_Y_EN: 0
; COMPUTE_PGM_RSRC2:TGID_Z_EN: 0
; COMPUTE_PGM_RSRC2:TIDIG_COMP_CNT: 0
; COMPUTE_PGM_RSRC3_GFX90A:ACCUM_OFFSET: 0
; COMPUTE_PGM_RSRC3_GFX90A:TG_SPLIT: 0
	.section	.text._ZN7rocprim17ROCPRIM_400000_NS6detail17trampoline_kernelINS0_14default_configENS1_20scan_config_selectorIjEEZZNS1_9scan_implILNS1_25lookback_scan_determinismE0ELb0ELb0ES3_N6thrust23THRUST_200600_302600_NS6detail15normal_iteratorINS9_10device_ptrIjEEEESE_jNS9_4plusIvEEjEEDaPvRmT3_T4_T5_mT6_P12ihipStream_tbENKUlT_T0_E_clISt17integral_constantIbLb1EEST_IbLb0EEEEDaSP_SQ_EUlSP_E_NS1_11comp_targetILNS1_3genE8ELNS1_11target_archE1030ELNS1_3gpuE2ELNS1_3repE0EEENS1_30default_config_static_selectorELNS0_4arch9wavefront6targetE1EEEvT1_,"axG",@progbits,_ZN7rocprim17ROCPRIM_400000_NS6detail17trampoline_kernelINS0_14default_configENS1_20scan_config_selectorIjEEZZNS1_9scan_implILNS1_25lookback_scan_determinismE0ELb0ELb0ES3_N6thrust23THRUST_200600_302600_NS6detail15normal_iteratorINS9_10device_ptrIjEEEESE_jNS9_4plusIvEEjEEDaPvRmT3_T4_T5_mT6_P12ihipStream_tbENKUlT_T0_E_clISt17integral_constantIbLb1EEST_IbLb0EEEEDaSP_SQ_EUlSP_E_NS1_11comp_targetILNS1_3genE8ELNS1_11target_archE1030ELNS1_3gpuE2ELNS1_3repE0EEENS1_30default_config_static_selectorELNS0_4arch9wavefront6targetE1EEEvT1_,comdat
	.protected	_ZN7rocprim17ROCPRIM_400000_NS6detail17trampoline_kernelINS0_14default_configENS1_20scan_config_selectorIjEEZZNS1_9scan_implILNS1_25lookback_scan_determinismE0ELb0ELb0ES3_N6thrust23THRUST_200600_302600_NS6detail15normal_iteratorINS9_10device_ptrIjEEEESE_jNS9_4plusIvEEjEEDaPvRmT3_T4_T5_mT6_P12ihipStream_tbENKUlT_T0_E_clISt17integral_constantIbLb1EEST_IbLb0EEEEDaSP_SQ_EUlSP_E_NS1_11comp_targetILNS1_3genE8ELNS1_11target_archE1030ELNS1_3gpuE2ELNS1_3repE0EEENS1_30default_config_static_selectorELNS0_4arch9wavefront6targetE1EEEvT1_ ; -- Begin function _ZN7rocprim17ROCPRIM_400000_NS6detail17trampoline_kernelINS0_14default_configENS1_20scan_config_selectorIjEEZZNS1_9scan_implILNS1_25lookback_scan_determinismE0ELb0ELb0ES3_N6thrust23THRUST_200600_302600_NS6detail15normal_iteratorINS9_10device_ptrIjEEEESE_jNS9_4plusIvEEjEEDaPvRmT3_T4_T5_mT6_P12ihipStream_tbENKUlT_T0_E_clISt17integral_constantIbLb1EEST_IbLb0EEEEDaSP_SQ_EUlSP_E_NS1_11comp_targetILNS1_3genE8ELNS1_11target_archE1030ELNS1_3gpuE2ELNS1_3repE0EEENS1_30default_config_static_selectorELNS0_4arch9wavefront6targetE1EEEvT1_
	.globl	_ZN7rocprim17ROCPRIM_400000_NS6detail17trampoline_kernelINS0_14default_configENS1_20scan_config_selectorIjEEZZNS1_9scan_implILNS1_25lookback_scan_determinismE0ELb0ELb0ES3_N6thrust23THRUST_200600_302600_NS6detail15normal_iteratorINS9_10device_ptrIjEEEESE_jNS9_4plusIvEEjEEDaPvRmT3_T4_T5_mT6_P12ihipStream_tbENKUlT_T0_E_clISt17integral_constantIbLb1EEST_IbLb0EEEEDaSP_SQ_EUlSP_E_NS1_11comp_targetILNS1_3genE8ELNS1_11target_archE1030ELNS1_3gpuE2ELNS1_3repE0EEENS1_30default_config_static_selectorELNS0_4arch9wavefront6targetE1EEEvT1_
	.p2align	8
	.type	_ZN7rocprim17ROCPRIM_400000_NS6detail17trampoline_kernelINS0_14default_configENS1_20scan_config_selectorIjEEZZNS1_9scan_implILNS1_25lookback_scan_determinismE0ELb0ELb0ES3_N6thrust23THRUST_200600_302600_NS6detail15normal_iteratorINS9_10device_ptrIjEEEESE_jNS9_4plusIvEEjEEDaPvRmT3_T4_T5_mT6_P12ihipStream_tbENKUlT_T0_E_clISt17integral_constantIbLb1EEST_IbLb0EEEEDaSP_SQ_EUlSP_E_NS1_11comp_targetILNS1_3genE8ELNS1_11target_archE1030ELNS1_3gpuE2ELNS1_3repE0EEENS1_30default_config_static_selectorELNS0_4arch9wavefront6targetE1EEEvT1_,@function
_ZN7rocprim17ROCPRIM_400000_NS6detail17trampoline_kernelINS0_14default_configENS1_20scan_config_selectorIjEEZZNS1_9scan_implILNS1_25lookback_scan_determinismE0ELb0ELb0ES3_N6thrust23THRUST_200600_302600_NS6detail15normal_iteratorINS9_10device_ptrIjEEEESE_jNS9_4plusIvEEjEEDaPvRmT3_T4_T5_mT6_P12ihipStream_tbENKUlT_T0_E_clISt17integral_constantIbLb1EEST_IbLb0EEEEDaSP_SQ_EUlSP_E_NS1_11comp_targetILNS1_3genE8ELNS1_11target_archE1030ELNS1_3gpuE2ELNS1_3repE0EEENS1_30default_config_static_selectorELNS0_4arch9wavefront6targetE1EEEvT1_: ; @_ZN7rocprim17ROCPRIM_400000_NS6detail17trampoline_kernelINS0_14default_configENS1_20scan_config_selectorIjEEZZNS1_9scan_implILNS1_25lookback_scan_determinismE0ELb0ELb0ES3_N6thrust23THRUST_200600_302600_NS6detail15normal_iteratorINS9_10device_ptrIjEEEESE_jNS9_4plusIvEEjEEDaPvRmT3_T4_T5_mT6_P12ihipStream_tbENKUlT_T0_E_clISt17integral_constantIbLb1EEST_IbLb0EEEEDaSP_SQ_EUlSP_E_NS1_11comp_targetILNS1_3genE8ELNS1_11target_archE1030ELNS1_3gpuE2ELNS1_3repE0EEENS1_30default_config_static_selectorELNS0_4arch9wavefront6targetE1EEEvT1_
; %bb.0:
	.section	.rodata,"a",@progbits
	.p2align	6, 0x0
	.amdhsa_kernel _ZN7rocprim17ROCPRIM_400000_NS6detail17trampoline_kernelINS0_14default_configENS1_20scan_config_selectorIjEEZZNS1_9scan_implILNS1_25lookback_scan_determinismE0ELb0ELb0ES3_N6thrust23THRUST_200600_302600_NS6detail15normal_iteratorINS9_10device_ptrIjEEEESE_jNS9_4plusIvEEjEEDaPvRmT3_T4_T5_mT6_P12ihipStream_tbENKUlT_T0_E_clISt17integral_constantIbLb1EEST_IbLb0EEEEDaSP_SQ_EUlSP_E_NS1_11comp_targetILNS1_3genE8ELNS1_11target_archE1030ELNS1_3gpuE2ELNS1_3repE0EEENS1_30default_config_static_selectorELNS0_4arch9wavefront6targetE1EEEvT1_
		.amdhsa_group_segment_fixed_size 0
		.amdhsa_private_segment_fixed_size 0
		.amdhsa_kernarg_size 96
		.amdhsa_user_sgpr_count 6
		.amdhsa_user_sgpr_private_segment_buffer 1
		.amdhsa_user_sgpr_dispatch_ptr 0
		.amdhsa_user_sgpr_queue_ptr 0
		.amdhsa_user_sgpr_kernarg_segment_ptr 1
		.amdhsa_user_sgpr_dispatch_id 0
		.amdhsa_user_sgpr_flat_scratch_init 0
		.amdhsa_user_sgpr_kernarg_preload_length 0
		.amdhsa_user_sgpr_kernarg_preload_offset 0
		.amdhsa_user_sgpr_private_segment_size 0
		.amdhsa_uses_dynamic_stack 0
		.amdhsa_system_sgpr_private_segment_wavefront_offset 0
		.amdhsa_system_sgpr_workgroup_id_x 1
		.amdhsa_system_sgpr_workgroup_id_y 0
		.amdhsa_system_sgpr_workgroup_id_z 0
		.amdhsa_system_sgpr_workgroup_info 0
		.amdhsa_system_vgpr_workitem_id 0
		.amdhsa_next_free_vgpr 1
		.amdhsa_next_free_sgpr 0
		.amdhsa_accum_offset 4
		.amdhsa_reserve_vcc 0
		.amdhsa_reserve_flat_scratch 0
		.amdhsa_float_round_mode_32 0
		.amdhsa_float_round_mode_16_64 0
		.amdhsa_float_denorm_mode_32 3
		.amdhsa_float_denorm_mode_16_64 3
		.amdhsa_dx10_clamp 1
		.amdhsa_ieee_mode 1
		.amdhsa_fp16_overflow 0
		.amdhsa_tg_split 0
		.amdhsa_exception_fp_ieee_invalid_op 0
		.amdhsa_exception_fp_denorm_src 0
		.amdhsa_exception_fp_ieee_div_zero 0
		.amdhsa_exception_fp_ieee_overflow 0
		.amdhsa_exception_fp_ieee_underflow 0
		.amdhsa_exception_fp_ieee_inexact 0
		.amdhsa_exception_int_div_zero 0
	.end_amdhsa_kernel
	.section	.text._ZN7rocprim17ROCPRIM_400000_NS6detail17trampoline_kernelINS0_14default_configENS1_20scan_config_selectorIjEEZZNS1_9scan_implILNS1_25lookback_scan_determinismE0ELb0ELb0ES3_N6thrust23THRUST_200600_302600_NS6detail15normal_iteratorINS9_10device_ptrIjEEEESE_jNS9_4plusIvEEjEEDaPvRmT3_T4_T5_mT6_P12ihipStream_tbENKUlT_T0_E_clISt17integral_constantIbLb1EEST_IbLb0EEEEDaSP_SQ_EUlSP_E_NS1_11comp_targetILNS1_3genE8ELNS1_11target_archE1030ELNS1_3gpuE2ELNS1_3repE0EEENS1_30default_config_static_selectorELNS0_4arch9wavefront6targetE1EEEvT1_,"axG",@progbits,_ZN7rocprim17ROCPRIM_400000_NS6detail17trampoline_kernelINS0_14default_configENS1_20scan_config_selectorIjEEZZNS1_9scan_implILNS1_25lookback_scan_determinismE0ELb0ELb0ES3_N6thrust23THRUST_200600_302600_NS6detail15normal_iteratorINS9_10device_ptrIjEEEESE_jNS9_4plusIvEEjEEDaPvRmT3_T4_T5_mT6_P12ihipStream_tbENKUlT_T0_E_clISt17integral_constantIbLb1EEST_IbLb0EEEEDaSP_SQ_EUlSP_E_NS1_11comp_targetILNS1_3genE8ELNS1_11target_archE1030ELNS1_3gpuE2ELNS1_3repE0EEENS1_30default_config_static_selectorELNS0_4arch9wavefront6targetE1EEEvT1_,comdat
.Lfunc_end4618:
	.size	_ZN7rocprim17ROCPRIM_400000_NS6detail17trampoline_kernelINS0_14default_configENS1_20scan_config_selectorIjEEZZNS1_9scan_implILNS1_25lookback_scan_determinismE0ELb0ELb0ES3_N6thrust23THRUST_200600_302600_NS6detail15normal_iteratorINS9_10device_ptrIjEEEESE_jNS9_4plusIvEEjEEDaPvRmT3_T4_T5_mT6_P12ihipStream_tbENKUlT_T0_E_clISt17integral_constantIbLb1EEST_IbLb0EEEEDaSP_SQ_EUlSP_E_NS1_11comp_targetILNS1_3genE8ELNS1_11target_archE1030ELNS1_3gpuE2ELNS1_3repE0EEENS1_30default_config_static_selectorELNS0_4arch9wavefront6targetE1EEEvT1_, .Lfunc_end4618-_ZN7rocprim17ROCPRIM_400000_NS6detail17trampoline_kernelINS0_14default_configENS1_20scan_config_selectorIjEEZZNS1_9scan_implILNS1_25lookback_scan_determinismE0ELb0ELb0ES3_N6thrust23THRUST_200600_302600_NS6detail15normal_iteratorINS9_10device_ptrIjEEEESE_jNS9_4plusIvEEjEEDaPvRmT3_T4_T5_mT6_P12ihipStream_tbENKUlT_T0_E_clISt17integral_constantIbLb1EEST_IbLb0EEEEDaSP_SQ_EUlSP_E_NS1_11comp_targetILNS1_3genE8ELNS1_11target_archE1030ELNS1_3gpuE2ELNS1_3repE0EEENS1_30default_config_static_selectorELNS0_4arch9wavefront6targetE1EEEvT1_
                                        ; -- End function
	.section	.AMDGPU.csdata,"",@progbits
; Kernel info:
; codeLenInByte = 0
; NumSgprs: 4
; NumVgprs: 0
; NumAgprs: 0
; TotalNumVgprs: 0
; ScratchSize: 0
; MemoryBound: 0
; FloatMode: 240
; IeeeMode: 1
; LDSByteSize: 0 bytes/workgroup (compile time only)
; SGPRBlocks: 0
; VGPRBlocks: 0
; NumSGPRsForWavesPerEU: 4
; NumVGPRsForWavesPerEU: 1
; AccumOffset: 4
; Occupancy: 8
; WaveLimiterHint : 0
; COMPUTE_PGM_RSRC2:SCRATCH_EN: 0
; COMPUTE_PGM_RSRC2:USER_SGPR: 6
; COMPUTE_PGM_RSRC2:TRAP_HANDLER: 0
; COMPUTE_PGM_RSRC2:TGID_X_EN: 1
; COMPUTE_PGM_RSRC2:TGID_Y_EN: 0
; COMPUTE_PGM_RSRC2:TGID_Z_EN: 0
; COMPUTE_PGM_RSRC2:TIDIG_COMP_CNT: 0
; COMPUTE_PGM_RSRC3_GFX90A:ACCUM_OFFSET: 0
; COMPUTE_PGM_RSRC3_GFX90A:TG_SPLIT: 0
	.section	.text._ZN7rocprim17ROCPRIM_400000_NS6detail17trampoline_kernelINS0_14default_configENS1_20scan_config_selectorIjEEZZNS1_9scan_implILNS1_25lookback_scan_determinismE0ELb0ELb0ES3_N6thrust23THRUST_200600_302600_NS6detail15normal_iteratorINS9_10device_ptrIjEEEESE_jNS9_4plusIvEEjEEDaPvRmT3_T4_T5_mT6_P12ihipStream_tbENKUlT_T0_E_clISt17integral_constantIbLb1EEST_IbLb0EEEEDaSP_SQ_EUlSP_E0_NS1_11comp_targetILNS1_3genE0ELNS1_11target_archE4294967295ELNS1_3gpuE0ELNS1_3repE0EEENS1_30default_config_static_selectorELNS0_4arch9wavefront6targetE1EEEvT1_,"axG",@progbits,_ZN7rocprim17ROCPRIM_400000_NS6detail17trampoline_kernelINS0_14default_configENS1_20scan_config_selectorIjEEZZNS1_9scan_implILNS1_25lookback_scan_determinismE0ELb0ELb0ES3_N6thrust23THRUST_200600_302600_NS6detail15normal_iteratorINS9_10device_ptrIjEEEESE_jNS9_4plusIvEEjEEDaPvRmT3_T4_T5_mT6_P12ihipStream_tbENKUlT_T0_E_clISt17integral_constantIbLb1EEST_IbLb0EEEEDaSP_SQ_EUlSP_E0_NS1_11comp_targetILNS1_3genE0ELNS1_11target_archE4294967295ELNS1_3gpuE0ELNS1_3repE0EEENS1_30default_config_static_selectorELNS0_4arch9wavefront6targetE1EEEvT1_,comdat
	.protected	_ZN7rocprim17ROCPRIM_400000_NS6detail17trampoline_kernelINS0_14default_configENS1_20scan_config_selectorIjEEZZNS1_9scan_implILNS1_25lookback_scan_determinismE0ELb0ELb0ES3_N6thrust23THRUST_200600_302600_NS6detail15normal_iteratorINS9_10device_ptrIjEEEESE_jNS9_4plusIvEEjEEDaPvRmT3_T4_T5_mT6_P12ihipStream_tbENKUlT_T0_E_clISt17integral_constantIbLb1EEST_IbLb0EEEEDaSP_SQ_EUlSP_E0_NS1_11comp_targetILNS1_3genE0ELNS1_11target_archE4294967295ELNS1_3gpuE0ELNS1_3repE0EEENS1_30default_config_static_selectorELNS0_4arch9wavefront6targetE1EEEvT1_ ; -- Begin function _ZN7rocprim17ROCPRIM_400000_NS6detail17trampoline_kernelINS0_14default_configENS1_20scan_config_selectorIjEEZZNS1_9scan_implILNS1_25lookback_scan_determinismE0ELb0ELb0ES3_N6thrust23THRUST_200600_302600_NS6detail15normal_iteratorINS9_10device_ptrIjEEEESE_jNS9_4plusIvEEjEEDaPvRmT3_T4_T5_mT6_P12ihipStream_tbENKUlT_T0_E_clISt17integral_constantIbLb1EEST_IbLb0EEEEDaSP_SQ_EUlSP_E0_NS1_11comp_targetILNS1_3genE0ELNS1_11target_archE4294967295ELNS1_3gpuE0ELNS1_3repE0EEENS1_30default_config_static_selectorELNS0_4arch9wavefront6targetE1EEEvT1_
	.globl	_ZN7rocprim17ROCPRIM_400000_NS6detail17trampoline_kernelINS0_14default_configENS1_20scan_config_selectorIjEEZZNS1_9scan_implILNS1_25lookback_scan_determinismE0ELb0ELb0ES3_N6thrust23THRUST_200600_302600_NS6detail15normal_iteratorINS9_10device_ptrIjEEEESE_jNS9_4plusIvEEjEEDaPvRmT3_T4_T5_mT6_P12ihipStream_tbENKUlT_T0_E_clISt17integral_constantIbLb1EEST_IbLb0EEEEDaSP_SQ_EUlSP_E0_NS1_11comp_targetILNS1_3genE0ELNS1_11target_archE4294967295ELNS1_3gpuE0ELNS1_3repE0EEENS1_30default_config_static_selectorELNS0_4arch9wavefront6targetE1EEEvT1_
	.p2align	8
	.type	_ZN7rocprim17ROCPRIM_400000_NS6detail17trampoline_kernelINS0_14default_configENS1_20scan_config_selectorIjEEZZNS1_9scan_implILNS1_25lookback_scan_determinismE0ELb0ELb0ES3_N6thrust23THRUST_200600_302600_NS6detail15normal_iteratorINS9_10device_ptrIjEEEESE_jNS9_4plusIvEEjEEDaPvRmT3_T4_T5_mT6_P12ihipStream_tbENKUlT_T0_E_clISt17integral_constantIbLb1EEST_IbLb0EEEEDaSP_SQ_EUlSP_E0_NS1_11comp_targetILNS1_3genE0ELNS1_11target_archE4294967295ELNS1_3gpuE0ELNS1_3repE0EEENS1_30default_config_static_selectorELNS0_4arch9wavefront6targetE1EEEvT1_,@function
_ZN7rocprim17ROCPRIM_400000_NS6detail17trampoline_kernelINS0_14default_configENS1_20scan_config_selectorIjEEZZNS1_9scan_implILNS1_25lookback_scan_determinismE0ELb0ELb0ES3_N6thrust23THRUST_200600_302600_NS6detail15normal_iteratorINS9_10device_ptrIjEEEESE_jNS9_4plusIvEEjEEDaPvRmT3_T4_T5_mT6_P12ihipStream_tbENKUlT_T0_E_clISt17integral_constantIbLb1EEST_IbLb0EEEEDaSP_SQ_EUlSP_E0_NS1_11comp_targetILNS1_3genE0ELNS1_11target_archE4294967295ELNS1_3gpuE0ELNS1_3repE0EEENS1_30default_config_static_selectorELNS0_4arch9wavefront6targetE1EEEvT1_: ; @_ZN7rocprim17ROCPRIM_400000_NS6detail17trampoline_kernelINS0_14default_configENS1_20scan_config_selectorIjEEZZNS1_9scan_implILNS1_25lookback_scan_determinismE0ELb0ELb0ES3_N6thrust23THRUST_200600_302600_NS6detail15normal_iteratorINS9_10device_ptrIjEEEESE_jNS9_4plusIvEEjEEDaPvRmT3_T4_T5_mT6_P12ihipStream_tbENKUlT_T0_E_clISt17integral_constantIbLb1EEST_IbLb0EEEEDaSP_SQ_EUlSP_E0_NS1_11comp_targetILNS1_3genE0ELNS1_11target_archE4294967295ELNS1_3gpuE0ELNS1_3repE0EEENS1_30default_config_static_selectorELNS0_4arch9wavefront6targetE1EEEvT1_
; %bb.0:
	.section	.rodata,"a",@progbits
	.p2align	6, 0x0
	.amdhsa_kernel _ZN7rocprim17ROCPRIM_400000_NS6detail17trampoline_kernelINS0_14default_configENS1_20scan_config_selectorIjEEZZNS1_9scan_implILNS1_25lookback_scan_determinismE0ELb0ELb0ES3_N6thrust23THRUST_200600_302600_NS6detail15normal_iteratorINS9_10device_ptrIjEEEESE_jNS9_4plusIvEEjEEDaPvRmT3_T4_T5_mT6_P12ihipStream_tbENKUlT_T0_E_clISt17integral_constantIbLb1EEST_IbLb0EEEEDaSP_SQ_EUlSP_E0_NS1_11comp_targetILNS1_3genE0ELNS1_11target_archE4294967295ELNS1_3gpuE0ELNS1_3repE0EEENS1_30default_config_static_selectorELNS0_4arch9wavefront6targetE1EEEvT1_
		.amdhsa_group_segment_fixed_size 0
		.amdhsa_private_segment_fixed_size 0
		.amdhsa_kernarg_size 32
		.amdhsa_user_sgpr_count 6
		.amdhsa_user_sgpr_private_segment_buffer 1
		.amdhsa_user_sgpr_dispatch_ptr 0
		.amdhsa_user_sgpr_queue_ptr 0
		.amdhsa_user_sgpr_kernarg_segment_ptr 1
		.amdhsa_user_sgpr_dispatch_id 0
		.amdhsa_user_sgpr_flat_scratch_init 0
		.amdhsa_user_sgpr_kernarg_preload_length 0
		.amdhsa_user_sgpr_kernarg_preload_offset 0
		.amdhsa_user_sgpr_private_segment_size 0
		.amdhsa_uses_dynamic_stack 0
		.amdhsa_system_sgpr_private_segment_wavefront_offset 0
		.amdhsa_system_sgpr_workgroup_id_x 1
		.amdhsa_system_sgpr_workgroup_id_y 0
		.amdhsa_system_sgpr_workgroup_id_z 0
		.amdhsa_system_sgpr_workgroup_info 0
		.amdhsa_system_vgpr_workitem_id 0
		.amdhsa_next_free_vgpr 1
		.amdhsa_next_free_sgpr 0
		.amdhsa_accum_offset 4
		.amdhsa_reserve_vcc 0
		.amdhsa_reserve_flat_scratch 0
		.amdhsa_float_round_mode_32 0
		.amdhsa_float_round_mode_16_64 0
		.amdhsa_float_denorm_mode_32 3
		.amdhsa_float_denorm_mode_16_64 3
		.amdhsa_dx10_clamp 1
		.amdhsa_ieee_mode 1
		.amdhsa_fp16_overflow 0
		.amdhsa_tg_split 0
		.amdhsa_exception_fp_ieee_invalid_op 0
		.amdhsa_exception_fp_denorm_src 0
		.amdhsa_exception_fp_ieee_div_zero 0
		.amdhsa_exception_fp_ieee_overflow 0
		.amdhsa_exception_fp_ieee_underflow 0
		.amdhsa_exception_fp_ieee_inexact 0
		.amdhsa_exception_int_div_zero 0
	.end_amdhsa_kernel
	.section	.text._ZN7rocprim17ROCPRIM_400000_NS6detail17trampoline_kernelINS0_14default_configENS1_20scan_config_selectorIjEEZZNS1_9scan_implILNS1_25lookback_scan_determinismE0ELb0ELb0ES3_N6thrust23THRUST_200600_302600_NS6detail15normal_iteratorINS9_10device_ptrIjEEEESE_jNS9_4plusIvEEjEEDaPvRmT3_T4_T5_mT6_P12ihipStream_tbENKUlT_T0_E_clISt17integral_constantIbLb1EEST_IbLb0EEEEDaSP_SQ_EUlSP_E0_NS1_11comp_targetILNS1_3genE0ELNS1_11target_archE4294967295ELNS1_3gpuE0ELNS1_3repE0EEENS1_30default_config_static_selectorELNS0_4arch9wavefront6targetE1EEEvT1_,"axG",@progbits,_ZN7rocprim17ROCPRIM_400000_NS6detail17trampoline_kernelINS0_14default_configENS1_20scan_config_selectorIjEEZZNS1_9scan_implILNS1_25lookback_scan_determinismE0ELb0ELb0ES3_N6thrust23THRUST_200600_302600_NS6detail15normal_iteratorINS9_10device_ptrIjEEEESE_jNS9_4plusIvEEjEEDaPvRmT3_T4_T5_mT6_P12ihipStream_tbENKUlT_T0_E_clISt17integral_constantIbLb1EEST_IbLb0EEEEDaSP_SQ_EUlSP_E0_NS1_11comp_targetILNS1_3genE0ELNS1_11target_archE4294967295ELNS1_3gpuE0ELNS1_3repE0EEENS1_30default_config_static_selectorELNS0_4arch9wavefront6targetE1EEEvT1_,comdat
.Lfunc_end4619:
	.size	_ZN7rocprim17ROCPRIM_400000_NS6detail17trampoline_kernelINS0_14default_configENS1_20scan_config_selectorIjEEZZNS1_9scan_implILNS1_25lookback_scan_determinismE0ELb0ELb0ES3_N6thrust23THRUST_200600_302600_NS6detail15normal_iteratorINS9_10device_ptrIjEEEESE_jNS9_4plusIvEEjEEDaPvRmT3_T4_T5_mT6_P12ihipStream_tbENKUlT_T0_E_clISt17integral_constantIbLb1EEST_IbLb0EEEEDaSP_SQ_EUlSP_E0_NS1_11comp_targetILNS1_3genE0ELNS1_11target_archE4294967295ELNS1_3gpuE0ELNS1_3repE0EEENS1_30default_config_static_selectorELNS0_4arch9wavefront6targetE1EEEvT1_, .Lfunc_end4619-_ZN7rocprim17ROCPRIM_400000_NS6detail17trampoline_kernelINS0_14default_configENS1_20scan_config_selectorIjEEZZNS1_9scan_implILNS1_25lookback_scan_determinismE0ELb0ELb0ES3_N6thrust23THRUST_200600_302600_NS6detail15normal_iteratorINS9_10device_ptrIjEEEESE_jNS9_4plusIvEEjEEDaPvRmT3_T4_T5_mT6_P12ihipStream_tbENKUlT_T0_E_clISt17integral_constantIbLb1EEST_IbLb0EEEEDaSP_SQ_EUlSP_E0_NS1_11comp_targetILNS1_3genE0ELNS1_11target_archE4294967295ELNS1_3gpuE0ELNS1_3repE0EEENS1_30default_config_static_selectorELNS0_4arch9wavefront6targetE1EEEvT1_
                                        ; -- End function
	.section	.AMDGPU.csdata,"",@progbits
; Kernel info:
; codeLenInByte = 0
; NumSgprs: 4
; NumVgprs: 0
; NumAgprs: 0
; TotalNumVgprs: 0
; ScratchSize: 0
; MemoryBound: 0
; FloatMode: 240
; IeeeMode: 1
; LDSByteSize: 0 bytes/workgroup (compile time only)
; SGPRBlocks: 0
; VGPRBlocks: 0
; NumSGPRsForWavesPerEU: 4
; NumVGPRsForWavesPerEU: 1
; AccumOffset: 4
; Occupancy: 8
; WaveLimiterHint : 0
; COMPUTE_PGM_RSRC2:SCRATCH_EN: 0
; COMPUTE_PGM_RSRC2:USER_SGPR: 6
; COMPUTE_PGM_RSRC2:TRAP_HANDLER: 0
; COMPUTE_PGM_RSRC2:TGID_X_EN: 1
; COMPUTE_PGM_RSRC2:TGID_Y_EN: 0
; COMPUTE_PGM_RSRC2:TGID_Z_EN: 0
; COMPUTE_PGM_RSRC2:TIDIG_COMP_CNT: 0
; COMPUTE_PGM_RSRC3_GFX90A:ACCUM_OFFSET: 0
; COMPUTE_PGM_RSRC3_GFX90A:TG_SPLIT: 0
	.section	.text._ZN7rocprim17ROCPRIM_400000_NS6detail17trampoline_kernelINS0_14default_configENS1_20scan_config_selectorIjEEZZNS1_9scan_implILNS1_25lookback_scan_determinismE0ELb0ELb0ES3_N6thrust23THRUST_200600_302600_NS6detail15normal_iteratorINS9_10device_ptrIjEEEESE_jNS9_4plusIvEEjEEDaPvRmT3_T4_T5_mT6_P12ihipStream_tbENKUlT_T0_E_clISt17integral_constantIbLb1EEST_IbLb0EEEEDaSP_SQ_EUlSP_E0_NS1_11comp_targetILNS1_3genE5ELNS1_11target_archE942ELNS1_3gpuE9ELNS1_3repE0EEENS1_30default_config_static_selectorELNS0_4arch9wavefront6targetE1EEEvT1_,"axG",@progbits,_ZN7rocprim17ROCPRIM_400000_NS6detail17trampoline_kernelINS0_14default_configENS1_20scan_config_selectorIjEEZZNS1_9scan_implILNS1_25lookback_scan_determinismE0ELb0ELb0ES3_N6thrust23THRUST_200600_302600_NS6detail15normal_iteratorINS9_10device_ptrIjEEEESE_jNS9_4plusIvEEjEEDaPvRmT3_T4_T5_mT6_P12ihipStream_tbENKUlT_T0_E_clISt17integral_constantIbLb1EEST_IbLb0EEEEDaSP_SQ_EUlSP_E0_NS1_11comp_targetILNS1_3genE5ELNS1_11target_archE942ELNS1_3gpuE9ELNS1_3repE0EEENS1_30default_config_static_selectorELNS0_4arch9wavefront6targetE1EEEvT1_,comdat
	.protected	_ZN7rocprim17ROCPRIM_400000_NS6detail17trampoline_kernelINS0_14default_configENS1_20scan_config_selectorIjEEZZNS1_9scan_implILNS1_25lookback_scan_determinismE0ELb0ELb0ES3_N6thrust23THRUST_200600_302600_NS6detail15normal_iteratorINS9_10device_ptrIjEEEESE_jNS9_4plusIvEEjEEDaPvRmT3_T4_T5_mT6_P12ihipStream_tbENKUlT_T0_E_clISt17integral_constantIbLb1EEST_IbLb0EEEEDaSP_SQ_EUlSP_E0_NS1_11comp_targetILNS1_3genE5ELNS1_11target_archE942ELNS1_3gpuE9ELNS1_3repE0EEENS1_30default_config_static_selectorELNS0_4arch9wavefront6targetE1EEEvT1_ ; -- Begin function _ZN7rocprim17ROCPRIM_400000_NS6detail17trampoline_kernelINS0_14default_configENS1_20scan_config_selectorIjEEZZNS1_9scan_implILNS1_25lookback_scan_determinismE0ELb0ELb0ES3_N6thrust23THRUST_200600_302600_NS6detail15normal_iteratorINS9_10device_ptrIjEEEESE_jNS9_4plusIvEEjEEDaPvRmT3_T4_T5_mT6_P12ihipStream_tbENKUlT_T0_E_clISt17integral_constantIbLb1EEST_IbLb0EEEEDaSP_SQ_EUlSP_E0_NS1_11comp_targetILNS1_3genE5ELNS1_11target_archE942ELNS1_3gpuE9ELNS1_3repE0EEENS1_30default_config_static_selectorELNS0_4arch9wavefront6targetE1EEEvT1_
	.globl	_ZN7rocprim17ROCPRIM_400000_NS6detail17trampoline_kernelINS0_14default_configENS1_20scan_config_selectorIjEEZZNS1_9scan_implILNS1_25lookback_scan_determinismE0ELb0ELb0ES3_N6thrust23THRUST_200600_302600_NS6detail15normal_iteratorINS9_10device_ptrIjEEEESE_jNS9_4plusIvEEjEEDaPvRmT3_T4_T5_mT6_P12ihipStream_tbENKUlT_T0_E_clISt17integral_constantIbLb1EEST_IbLb0EEEEDaSP_SQ_EUlSP_E0_NS1_11comp_targetILNS1_3genE5ELNS1_11target_archE942ELNS1_3gpuE9ELNS1_3repE0EEENS1_30default_config_static_selectorELNS0_4arch9wavefront6targetE1EEEvT1_
	.p2align	8
	.type	_ZN7rocprim17ROCPRIM_400000_NS6detail17trampoline_kernelINS0_14default_configENS1_20scan_config_selectorIjEEZZNS1_9scan_implILNS1_25lookback_scan_determinismE0ELb0ELb0ES3_N6thrust23THRUST_200600_302600_NS6detail15normal_iteratorINS9_10device_ptrIjEEEESE_jNS9_4plusIvEEjEEDaPvRmT3_T4_T5_mT6_P12ihipStream_tbENKUlT_T0_E_clISt17integral_constantIbLb1EEST_IbLb0EEEEDaSP_SQ_EUlSP_E0_NS1_11comp_targetILNS1_3genE5ELNS1_11target_archE942ELNS1_3gpuE9ELNS1_3repE0EEENS1_30default_config_static_selectorELNS0_4arch9wavefront6targetE1EEEvT1_,@function
_ZN7rocprim17ROCPRIM_400000_NS6detail17trampoline_kernelINS0_14default_configENS1_20scan_config_selectorIjEEZZNS1_9scan_implILNS1_25lookback_scan_determinismE0ELb0ELb0ES3_N6thrust23THRUST_200600_302600_NS6detail15normal_iteratorINS9_10device_ptrIjEEEESE_jNS9_4plusIvEEjEEDaPvRmT3_T4_T5_mT6_P12ihipStream_tbENKUlT_T0_E_clISt17integral_constantIbLb1EEST_IbLb0EEEEDaSP_SQ_EUlSP_E0_NS1_11comp_targetILNS1_3genE5ELNS1_11target_archE942ELNS1_3gpuE9ELNS1_3repE0EEENS1_30default_config_static_selectorELNS0_4arch9wavefront6targetE1EEEvT1_: ; @_ZN7rocprim17ROCPRIM_400000_NS6detail17trampoline_kernelINS0_14default_configENS1_20scan_config_selectorIjEEZZNS1_9scan_implILNS1_25lookback_scan_determinismE0ELb0ELb0ES3_N6thrust23THRUST_200600_302600_NS6detail15normal_iteratorINS9_10device_ptrIjEEEESE_jNS9_4plusIvEEjEEDaPvRmT3_T4_T5_mT6_P12ihipStream_tbENKUlT_T0_E_clISt17integral_constantIbLb1EEST_IbLb0EEEEDaSP_SQ_EUlSP_E0_NS1_11comp_targetILNS1_3genE5ELNS1_11target_archE942ELNS1_3gpuE9ELNS1_3repE0EEENS1_30default_config_static_selectorELNS0_4arch9wavefront6targetE1EEEvT1_
; %bb.0:
	.section	.rodata,"a",@progbits
	.p2align	6, 0x0
	.amdhsa_kernel _ZN7rocprim17ROCPRIM_400000_NS6detail17trampoline_kernelINS0_14default_configENS1_20scan_config_selectorIjEEZZNS1_9scan_implILNS1_25lookback_scan_determinismE0ELb0ELb0ES3_N6thrust23THRUST_200600_302600_NS6detail15normal_iteratorINS9_10device_ptrIjEEEESE_jNS9_4plusIvEEjEEDaPvRmT3_T4_T5_mT6_P12ihipStream_tbENKUlT_T0_E_clISt17integral_constantIbLb1EEST_IbLb0EEEEDaSP_SQ_EUlSP_E0_NS1_11comp_targetILNS1_3genE5ELNS1_11target_archE942ELNS1_3gpuE9ELNS1_3repE0EEENS1_30default_config_static_selectorELNS0_4arch9wavefront6targetE1EEEvT1_
		.amdhsa_group_segment_fixed_size 0
		.amdhsa_private_segment_fixed_size 0
		.amdhsa_kernarg_size 32
		.amdhsa_user_sgpr_count 6
		.amdhsa_user_sgpr_private_segment_buffer 1
		.amdhsa_user_sgpr_dispatch_ptr 0
		.amdhsa_user_sgpr_queue_ptr 0
		.amdhsa_user_sgpr_kernarg_segment_ptr 1
		.amdhsa_user_sgpr_dispatch_id 0
		.amdhsa_user_sgpr_flat_scratch_init 0
		.amdhsa_user_sgpr_kernarg_preload_length 0
		.amdhsa_user_sgpr_kernarg_preload_offset 0
		.amdhsa_user_sgpr_private_segment_size 0
		.amdhsa_uses_dynamic_stack 0
		.amdhsa_system_sgpr_private_segment_wavefront_offset 0
		.amdhsa_system_sgpr_workgroup_id_x 1
		.amdhsa_system_sgpr_workgroup_id_y 0
		.amdhsa_system_sgpr_workgroup_id_z 0
		.amdhsa_system_sgpr_workgroup_info 0
		.amdhsa_system_vgpr_workitem_id 0
		.amdhsa_next_free_vgpr 1
		.amdhsa_next_free_sgpr 0
		.amdhsa_accum_offset 4
		.amdhsa_reserve_vcc 0
		.amdhsa_reserve_flat_scratch 0
		.amdhsa_float_round_mode_32 0
		.amdhsa_float_round_mode_16_64 0
		.amdhsa_float_denorm_mode_32 3
		.amdhsa_float_denorm_mode_16_64 3
		.amdhsa_dx10_clamp 1
		.amdhsa_ieee_mode 1
		.amdhsa_fp16_overflow 0
		.amdhsa_tg_split 0
		.amdhsa_exception_fp_ieee_invalid_op 0
		.amdhsa_exception_fp_denorm_src 0
		.amdhsa_exception_fp_ieee_div_zero 0
		.amdhsa_exception_fp_ieee_overflow 0
		.amdhsa_exception_fp_ieee_underflow 0
		.amdhsa_exception_fp_ieee_inexact 0
		.amdhsa_exception_int_div_zero 0
	.end_amdhsa_kernel
	.section	.text._ZN7rocprim17ROCPRIM_400000_NS6detail17trampoline_kernelINS0_14default_configENS1_20scan_config_selectorIjEEZZNS1_9scan_implILNS1_25lookback_scan_determinismE0ELb0ELb0ES3_N6thrust23THRUST_200600_302600_NS6detail15normal_iteratorINS9_10device_ptrIjEEEESE_jNS9_4plusIvEEjEEDaPvRmT3_T4_T5_mT6_P12ihipStream_tbENKUlT_T0_E_clISt17integral_constantIbLb1EEST_IbLb0EEEEDaSP_SQ_EUlSP_E0_NS1_11comp_targetILNS1_3genE5ELNS1_11target_archE942ELNS1_3gpuE9ELNS1_3repE0EEENS1_30default_config_static_selectorELNS0_4arch9wavefront6targetE1EEEvT1_,"axG",@progbits,_ZN7rocprim17ROCPRIM_400000_NS6detail17trampoline_kernelINS0_14default_configENS1_20scan_config_selectorIjEEZZNS1_9scan_implILNS1_25lookback_scan_determinismE0ELb0ELb0ES3_N6thrust23THRUST_200600_302600_NS6detail15normal_iteratorINS9_10device_ptrIjEEEESE_jNS9_4plusIvEEjEEDaPvRmT3_T4_T5_mT6_P12ihipStream_tbENKUlT_T0_E_clISt17integral_constantIbLb1EEST_IbLb0EEEEDaSP_SQ_EUlSP_E0_NS1_11comp_targetILNS1_3genE5ELNS1_11target_archE942ELNS1_3gpuE9ELNS1_3repE0EEENS1_30default_config_static_selectorELNS0_4arch9wavefront6targetE1EEEvT1_,comdat
.Lfunc_end4620:
	.size	_ZN7rocprim17ROCPRIM_400000_NS6detail17trampoline_kernelINS0_14default_configENS1_20scan_config_selectorIjEEZZNS1_9scan_implILNS1_25lookback_scan_determinismE0ELb0ELb0ES3_N6thrust23THRUST_200600_302600_NS6detail15normal_iteratorINS9_10device_ptrIjEEEESE_jNS9_4plusIvEEjEEDaPvRmT3_T4_T5_mT6_P12ihipStream_tbENKUlT_T0_E_clISt17integral_constantIbLb1EEST_IbLb0EEEEDaSP_SQ_EUlSP_E0_NS1_11comp_targetILNS1_3genE5ELNS1_11target_archE942ELNS1_3gpuE9ELNS1_3repE0EEENS1_30default_config_static_selectorELNS0_4arch9wavefront6targetE1EEEvT1_, .Lfunc_end4620-_ZN7rocprim17ROCPRIM_400000_NS6detail17trampoline_kernelINS0_14default_configENS1_20scan_config_selectorIjEEZZNS1_9scan_implILNS1_25lookback_scan_determinismE0ELb0ELb0ES3_N6thrust23THRUST_200600_302600_NS6detail15normal_iteratorINS9_10device_ptrIjEEEESE_jNS9_4plusIvEEjEEDaPvRmT3_T4_T5_mT6_P12ihipStream_tbENKUlT_T0_E_clISt17integral_constantIbLb1EEST_IbLb0EEEEDaSP_SQ_EUlSP_E0_NS1_11comp_targetILNS1_3genE5ELNS1_11target_archE942ELNS1_3gpuE9ELNS1_3repE0EEENS1_30default_config_static_selectorELNS0_4arch9wavefront6targetE1EEEvT1_
                                        ; -- End function
	.section	.AMDGPU.csdata,"",@progbits
; Kernel info:
; codeLenInByte = 0
; NumSgprs: 4
; NumVgprs: 0
; NumAgprs: 0
; TotalNumVgprs: 0
; ScratchSize: 0
; MemoryBound: 0
; FloatMode: 240
; IeeeMode: 1
; LDSByteSize: 0 bytes/workgroup (compile time only)
; SGPRBlocks: 0
; VGPRBlocks: 0
; NumSGPRsForWavesPerEU: 4
; NumVGPRsForWavesPerEU: 1
; AccumOffset: 4
; Occupancy: 8
; WaveLimiterHint : 0
; COMPUTE_PGM_RSRC2:SCRATCH_EN: 0
; COMPUTE_PGM_RSRC2:USER_SGPR: 6
; COMPUTE_PGM_RSRC2:TRAP_HANDLER: 0
; COMPUTE_PGM_RSRC2:TGID_X_EN: 1
; COMPUTE_PGM_RSRC2:TGID_Y_EN: 0
; COMPUTE_PGM_RSRC2:TGID_Z_EN: 0
; COMPUTE_PGM_RSRC2:TIDIG_COMP_CNT: 0
; COMPUTE_PGM_RSRC3_GFX90A:ACCUM_OFFSET: 0
; COMPUTE_PGM_RSRC3_GFX90A:TG_SPLIT: 0
	.section	.text._ZN7rocprim17ROCPRIM_400000_NS6detail17trampoline_kernelINS0_14default_configENS1_20scan_config_selectorIjEEZZNS1_9scan_implILNS1_25lookback_scan_determinismE0ELb0ELb0ES3_N6thrust23THRUST_200600_302600_NS6detail15normal_iteratorINS9_10device_ptrIjEEEESE_jNS9_4plusIvEEjEEDaPvRmT3_T4_T5_mT6_P12ihipStream_tbENKUlT_T0_E_clISt17integral_constantIbLb1EEST_IbLb0EEEEDaSP_SQ_EUlSP_E0_NS1_11comp_targetILNS1_3genE4ELNS1_11target_archE910ELNS1_3gpuE8ELNS1_3repE0EEENS1_30default_config_static_selectorELNS0_4arch9wavefront6targetE1EEEvT1_,"axG",@progbits,_ZN7rocprim17ROCPRIM_400000_NS6detail17trampoline_kernelINS0_14default_configENS1_20scan_config_selectorIjEEZZNS1_9scan_implILNS1_25lookback_scan_determinismE0ELb0ELb0ES3_N6thrust23THRUST_200600_302600_NS6detail15normal_iteratorINS9_10device_ptrIjEEEESE_jNS9_4plusIvEEjEEDaPvRmT3_T4_T5_mT6_P12ihipStream_tbENKUlT_T0_E_clISt17integral_constantIbLb1EEST_IbLb0EEEEDaSP_SQ_EUlSP_E0_NS1_11comp_targetILNS1_3genE4ELNS1_11target_archE910ELNS1_3gpuE8ELNS1_3repE0EEENS1_30default_config_static_selectorELNS0_4arch9wavefront6targetE1EEEvT1_,comdat
	.protected	_ZN7rocprim17ROCPRIM_400000_NS6detail17trampoline_kernelINS0_14default_configENS1_20scan_config_selectorIjEEZZNS1_9scan_implILNS1_25lookback_scan_determinismE0ELb0ELb0ES3_N6thrust23THRUST_200600_302600_NS6detail15normal_iteratorINS9_10device_ptrIjEEEESE_jNS9_4plusIvEEjEEDaPvRmT3_T4_T5_mT6_P12ihipStream_tbENKUlT_T0_E_clISt17integral_constantIbLb1EEST_IbLb0EEEEDaSP_SQ_EUlSP_E0_NS1_11comp_targetILNS1_3genE4ELNS1_11target_archE910ELNS1_3gpuE8ELNS1_3repE0EEENS1_30default_config_static_selectorELNS0_4arch9wavefront6targetE1EEEvT1_ ; -- Begin function _ZN7rocprim17ROCPRIM_400000_NS6detail17trampoline_kernelINS0_14default_configENS1_20scan_config_selectorIjEEZZNS1_9scan_implILNS1_25lookback_scan_determinismE0ELb0ELb0ES3_N6thrust23THRUST_200600_302600_NS6detail15normal_iteratorINS9_10device_ptrIjEEEESE_jNS9_4plusIvEEjEEDaPvRmT3_T4_T5_mT6_P12ihipStream_tbENKUlT_T0_E_clISt17integral_constantIbLb1EEST_IbLb0EEEEDaSP_SQ_EUlSP_E0_NS1_11comp_targetILNS1_3genE4ELNS1_11target_archE910ELNS1_3gpuE8ELNS1_3repE0EEENS1_30default_config_static_selectorELNS0_4arch9wavefront6targetE1EEEvT1_
	.globl	_ZN7rocprim17ROCPRIM_400000_NS6detail17trampoline_kernelINS0_14default_configENS1_20scan_config_selectorIjEEZZNS1_9scan_implILNS1_25lookback_scan_determinismE0ELb0ELb0ES3_N6thrust23THRUST_200600_302600_NS6detail15normal_iteratorINS9_10device_ptrIjEEEESE_jNS9_4plusIvEEjEEDaPvRmT3_T4_T5_mT6_P12ihipStream_tbENKUlT_T0_E_clISt17integral_constantIbLb1EEST_IbLb0EEEEDaSP_SQ_EUlSP_E0_NS1_11comp_targetILNS1_3genE4ELNS1_11target_archE910ELNS1_3gpuE8ELNS1_3repE0EEENS1_30default_config_static_selectorELNS0_4arch9wavefront6targetE1EEEvT1_
	.p2align	8
	.type	_ZN7rocprim17ROCPRIM_400000_NS6detail17trampoline_kernelINS0_14default_configENS1_20scan_config_selectorIjEEZZNS1_9scan_implILNS1_25lookback_scan_determinismE0ELb0ELb0ES3_N6thrust23THRUST_200600_302600_NS6detail15normal_iteratorINS9_10device_ptrIjEEEESE_jNS9_4plusIvEEjEEDaPvRmT3_T4_T5_mT6_P12ihipStream_tbENKUlT_T0_E_clISt17integral_constantIbLb1EEST_IbLb0EEEEDaSP_SQ_EUlSP_E0_NS1_11comp_targetILNS1_3genE4ELNS1_11target_archE910ELNS1_3gpuE8ELNS1_3repE0EEENS1_30default_config_static_selectorELNS0_4arch9wavefront6targetE1EEEvT1_,@function
_ZN7rocprim17ROCPRIM_400000_NS6detail17trampoline_kernelINS0_14default_configENS1_20scan_config_selectorIjEEZZNS1_9scan_implILNS1_25lookback_scan_determinismE0ELb0ELb0ES3_N6thrust23THRUST_200600_302600_NS6detail15normal_iteratorINS9_10device_ptrIjEEEESE_jNS9_4plusIvEEjEEDaPvRmT3_T4_T5_mT6_P12ihipStream_tbENKUlT_T0_E_clISt17integral_constantIbLb1EEST_IbLb0EEEEDaSP_SQ_EUlSP_E0_NS1_11comp_targetILNS1_3genE4ELNS1_11target_archE910ELNS1_3gpuE8ELNS1_3repE0EEENS1_30default_config_static_selectorELNS0_4arch9wavefront6targetE1EEEvT1_: ; @_ZN7rocprim17ROCPRIM_400000_NS6detail17trampoline_kernelINS0_14default_configENS1_20scan_config_selectorIjEEZZNS1_9scan_implILNS1_25lookback_scan_determinismE0ELb0ELb0ES3_N6thrust23THRUST_200600_302600_NS6detail15normal_iteratorINS9_10device_ptrIjEEEESE_jNS9_4plusIvEEjEEDaPvRmT3_T4_T5_mT6_P12ihipStream_tbENKUlT_T0_E_clISt17integral_constantIbLb1EEST_IbLb0EEEEDaSP_SQ_EUlSP_E0_NS1_11comp_targetILNS1_3genE4ELNS1_11target_archE910ELNS1_3gpuE8ELNS1_3repE0EEENS1_30default_config_static_selectorELNS0_4arch9wavefront6targetE1EEEvT1_
; %bb.0:
	s_load_dwordx4 s[20:23], s[4:5], 0x0
	v_lshlrev_b32_e32 v20, 2, v0
	s_waitcnt lgkmcnt(0)
	s_load_dword s23, s[20:21], 0x0
	v_cmp_gt_u32_e32 vcc, s22, v0
	s_waitcnt lgkmcnt(0)
	v_mov_b32_e32 v1, s23
	s_and_saveexec_b64 s[0:1], vcc
	s_cbranch_execz .LBB4621_2
; %bb.1:
	global_load_dword v1, v20, s[20:21]
.LBB4621_2:
	s_or_b64 exec, exec, s[0:1]
	v_or_b32_e32 v2, 0x80, v0
	v_cmp_gt_u32_e64 s[0:1], s22, v2
	v_mov_b32_e32 v2, s23
	s_and_saveexec_b64 s[2:3], s[0:1]
	s_cbranch_execz .LBB4621_4
; %bb.3:
	global_load_dword v2, v20, s[20:21] offset:512
.LBB4621_4:
	s_or_b64 exec, exec, s[2:3]
	v_or_b32_e32 v3, 0x100, v0
	v_cmp_gt_u32_e64 s[2:3], s22, v3
	v_mov_b32_e32 v3, s23
	s_and_saveexec_b64 s[6:7], s[2:3]
	s_cbranch_execz .LBB4621_6
; %bb.5:
	global_load_dword v3, v20, s[20:21] offset:1024
.LBB4621_6:
	;; [unrolled: 9-line block ×7, first 2 shown]
	s_or_b64 exec, exec, s[14:15]
	v_or_b32_e32 v10, 0x400, v0
	v_cmp_gt_u32_e64 s[14:15], s22, v10
	v_mov_b32_e32 v9, s23
	s_and_saveexec_b64 s[16:17], s[14:15]
	s_cbranch_execz .LBB4621_18
; %bb.17:
	v_lshlrev_b32_e32 v9, 2, v10
	global_load_dword v9, v9, s[20:21]
.LBB4621_18:
	s_or_b64 exec, exec, s[16:17]
	v_or_b32_e32 v11, 0x480, v0
	v_cmp_gt_u32_e64 s[16:17], s22, v11
	v_mov_b32_e32 v10, s23
	s_and_saveexec_b64 s[22:23], s[16:17]
	s_cbranch_execz .LBB4621_20
; %bb.19:
	v_lshlrev_b32_e32 v10, 2, v11
	global_load_dword v10, v10, s[20:21]
.LBB4621_20:
	s_or_b64 exec, exec, s[22:23]
	s_waitcnt vmcnt(0)
	ds_write2st64_b32 v20, v1, v2 offset1:2
	ds_write2st64_b32 v20, v3, v4 offset0:4 offset1:6
	ds_write2st64_b32 v20, v5, v6 offset0:8 offset1:10
	;; [unrolled: 1-line block ×4, first 2 shown]
	v_mad_u32_u24 v1, v0, 36, v20
	s_waitcnt lgkmcnt(0)
	s_barrier
	ds_read2_b64 v[6:9], v1 offset1:1
	ds_read2_b64 v[2:5], v1 offset0:2 offset1:3
	ds_read_b64 v[18:19], v1 offset:32
	v_lshrrev_b32_e32 v21, 3, v0
	v_and_b32_e32 v21, 12, v21
	s_waitcnt lgkmcnt(2)
	v_add_u32_e32 v1, v7, v6
	v_add_u32_e32 v14, v1, v8
	;; [unrolled: 1-line block ×3, first 2 shown]
	s_waitcnt lgkmcnt(1)
	v_add_u32_e32 v10, v15, v2
	v_add_u32_e32 v11, v10, v3
	;; [unrolled: 1-line block ×4, first 2 shown]
	s_waitcnt lgkmcnt(0)
	v_add_u32_e32 v16, v13, v18
	v_add_u32_e32 v17, v16, v19
	;; [unrolled: 1-line block ×3, first 2 shown]
	v_cmp_gt_u32_e64 s[20:21], 64, v0
	s_barrier
	ds_write_b32 v21, v17
	s_waitcnt lgkmcnt(0)
	s_barrier
	s_and_saveexec_b64 s[22:23], s[20:21]
	s_cbranch_execz .LBB4621_22
; %bb.21:
	v_lshlrev_b32_e32 v21, 1, v0
	v_lshrrev_b32_e32 v22, 4, v0
	v_add_lshl_u32 v21, v22, v21, 2
	ds_read2_b32 v[22:23], v21 offset1:1
	v_mbcnt_lo_u32_b32 v24, -1, 0
	v_mbcnt_hi_u32_b32 v24, -1, v24
	v_and_b32_e32 v25, 15, v24
	v_cmp_ne_u32_e64 s[20:21], 0, v25
	s_waitcnt lgkmcnt(0)
	v_add_u32_e32 v23, v23, v22
	; wave barrier
	s_nop 1
	v_mov_b32_dpp v26, v23 row_shr:1 row_mask:0xf bank_mask:0xf
	v_cndmask_b32_e64 v26, 0, v26, s[20:21]
	v_add_u32_e32 v23, v26, v23
	v_cmp_lt_u32_e64 s[20:21], 1, v25
	s_nop 0
	v_mov_b32_dpp v26, v23 row_shr:2 row_mask:0xf bank_mask:0xf
	v_cndmask_b32_e64 v26, 0, v26, s[20:21]
	v_add_u32_e32 v23, v23, v26
	v_cmp_lt_u32_e64 s[20:21], 3, v25
	;; [unrolled: 5-line block ×3, first 2 shown]
	s_nop 0
	v_mov_b32_dpp v26, v23 row_shr:8 row_mask:0xf bank_mask:0xf
	v_cndmask_b32_e64 v25, 0, v26, s[20:21]
	v_add_u32_e32 v23, v23, v25
	v_bfe_i32 v26, v24, 4, 1
	v_cmp_lt_u32_e64 s[20:21], 31, v24
	v_mov_b32_dpp v25, v23 row_bcast:15 row_mask:0xf bank_mask:0xf
	v_and_b32_e32 v25, v26, v25
	v_add_u32_e32 v23, v23, v25
	v_and_b32_e32 v26, 64, v24
	s_nop 0
	v_mov_b32_dpp v25, v23 row_bcast:31 row_mask:0xf bank_mask:0xf
	v_cndmask_b32_e64 v25, 0, v25, s[20:21]
	v_add_u32_e32 v23, v23, v25
	v_add_u32_e32 v25, -1, v24
	v_cmp_lt_i32_e64 s[20:21], v25, v26
	v_cndmask_b32_e64 v24, v25, v24, s[20:21]
	v_lshlrev_b32_e32 v24, 2, v24
	ds_bpermute_b32 v23, v24, v23
	v_cmp_eq_u32_e64 s[20:21], 0, v0
	s_waitcnt lgkmcnt(0)
	v_add_u32_e32 v22, v23, v22
	v_cndmask_b32_e64 v22, v22, v17, s[20:21]
	ds_write_b32 v21, v22
	; wave barrier
	ds_read_b32 v23, v21 offset:4
	s_waitcnt lgkmcnt(0)
	v_add_u32_e32 v22, v23, v22
	ds_write_b32 v21, v22 offset:4
.LBB4621_22:
	s_or_b64 exec, exec, s[22:23]
	s_load_dwordx2 s[20:21], s[4:5], 0x18
	v_cmp_ne_u32_e64 s[4:5], 0, v0
	v_mov_b32_e32 v22, v17
	s_waitcnt lgkmcnt(0)
	s_barrier
	s_and_saveexec_b64 s[22:23], s[4:5]
	s_cbranch_execz .LBB4621_24
; %bb.23:
	v_add_u32_e32 v21, -1, v0
	v_lshrrev_b32_e32 v22, 5, v21
	v_add_lshl_u32 v21, v22, v21, 2
	ds_read_b32 v22, v21
.LBB4621_24:
	s_or_b64 exec, exec, s[22:23]
	v_mul_u32_u24_e32 v21, 36, v0
	v_mov_b32_e32 v0, v6
	s_and_saveexec_b64 s[22:23], s[4:5]
	s_cbranch_execz .LBB4621_26
; %bb.25:
	s_waitcnt lgkmcnt(0)
	v_add_u32_e32 v0, v22, v6
	v_add_u32_e32 v1, v0, v7
	;; [unrolled: 1-line block ×10, first 2 shown]
	;;#ASMSTART
	;;#ASMEND
.LBB4621_26:
	s_or_b64 exec, exec, s[22:23]
	v_add_u32_e32 v2, v20, v21
	s_waitcnt lgkmcnt(0)
	s_barrier
	ds_write2_b64 v2, v[0:1], v[14:15] offset1:1
	ds_write2_b64 v2, v[10:11], v[12:13] offset0:2 offset1:3
	ds_write_b64 v2, v[16:17] offset:32
	s_waitcnt lgkmcnt(0)
	s_barrier
	ds_read2st64_b32 v[8:9], v20 offset0:2 offset1:4
	ds_read2st64_b32 v[6:7], v20 offset0:6 offset1:8
	;; [unrolled: 1-line block ×4, first 2 shown]
	ds_read_b32 v10, v20 offset:4608
	v_mov_b32_e32 v1, s21
	v_add_co_u32_e64 v0, s[4:5], s20, v20
	v_addc_co_u32_e64 v1, s[4:5], 0, v1, s[4:5]
	s_and_saveexec_b64 s[4:5], vcc
	s_cbranch_execnz .LBB4621_37
; %bb.27:
	s_or_b64 exec, exec, s[4:5]
	s_and_saveexec_b64 s[4:5], s[0:1]
	s_cbranch_execnz .LBB4621_38
.LBB4621_28:
	s_or_b64 exec, exec, s[4:5]
	s_and_saveexec_b64 s[0:1], s[2:3]
	s_cbranch_execnz .LBB4621_39
.LBB4621_29:
	s_or_b64 exec, exec, s[0:1]
	s_and_saveexec_b64 s[0:1], s[18:19]
	s_cbranch_execnz .LBB4621_40
.LBB4621_30:
	s_or_b64 exec, exec, s[0:1]
	s_and_saveexec_b64 s[0:1], s[6:7]
	s_cbranch_execnz .LBB4621_41
.LBB4621_31:
	s_or_b64 exec, exec, s[0:1]
	s_and_saveexec_b64 s[0:1], s[8:9]
	s_cbranch_execnz .LBB4621_42
.LBB4621_32:
	s_or_b64 exec, exec, s[0:1]
	s_and_saveexec_b64 s[0:1], s[10:11]
	s_cbranch_execnz .LBB4621_43
.LBB4621_33:
	s_or_b64 exec, exec, s[0:1]
	s_and_saveexec_b64 s[0:1], s[12:13]
	s_cbranch_execnz .LBB4621_44
.LBB4621_34:
	s_or_b64 exec, exec, s[0:1]
	s_and_saveexec_b64 s[0:1], s[14:15]
	s_cbranch_execnz .LBB4621_45
.LBB4621_35:
	s_or_b64 exec, exec, s[0:1]
	s_and_saveexec_b64 s[0:1], s[16:17]
	s_cbranch_execnz .LBB4621_46
.LBB4621_36:
	s_endpgm
.LBB4621_37:
	ds_read_b32 v11, v20
	s_waitcnt lgkmcnt(0)
	global_store_dword v[0:1], v11, off
	s_or_b64 exec, exec, s[4:5]
	s_and_saveexec_b64 s[4:5], s[0:1]
	s_cbranch_execz .LBB4621_28
.LBB4621_38:
	s_waitcnt lgkmcnt(4)
	global_store_dword v[0:1], v8, off offset:512
	s_or_b64 exec, exec, s[4:5]
	s_and_saveexec_b64 s[0:1], s[2:3]
	s_cbranch_execz .LBB4621_29
.LBB4621_39:
	s_waitcnt lgkmcnt(4)
	global_store_dword v[0:1], v9, off offset:1024
	s_or_b64 exec, exec, s[0:1]
	s_and_saveexec_b64 s[0:1], s[18:19]
	s_cbranch_execz .LBB4621_30
.LBB4621_40:
	s_waitcnt lgkmcnt(3)
	global_store_dword v[0:1], v6, off offset:1536
	s_or_b64 exec, exec, s[0:1]
	s_and_saveexec_b64 s[0:1], s[6:7]
	s_cbranch_execz .LBB4621_31
.LBB4621_41:
	s_waitcnt lgkmcnt(3)
	global_store_dword v[0:1], v7, off offset:2048
	s_or_b64 exec, exec, s[0:1]
	s_and_saveexec_b64 s[0:1], s[8:9]
	s_cbranch_execz .LBB4621_32
.LBB4621_42:
	s_waitcnt lgkmcnt(2)
	global_store_dword v[0:1], v4, off offset:2560
	s_or_b64 exec, exec, s[0:1]
	s_and_saveexec_b64 s[0:1], s[10:11]
	s_cbranch_execz .LBB4621_33
.LBB4621_43:
	s_waitcnt lgkmcnt(2)
	global_store_dword v[0:1], v5, off offset:3072
	s_or_b64 exec, exec, s[0:1]
	s_and_saveexec_b64 s[0:1], s[12:13]
	s_cbranch_execz .LBB4621_34
.LBB4621_44:
	s_waitcnt lgkmcnt(1)
	global_store_dword v[0:1], v2, off offset:3584
	s_or_b64 exec, exec, s[0:1]
	s_and_saveexec_b64 s[0:1], s[14:15]
	s_cbranch_execz .LBB4621_35
.LBB4621_45:
	s_waitcnt lgkmcnt(2)
	v_add_co_u32_e32 v4, vcc, 0x1000, v0
	v_addc_co_u32_e32 v5, vcc, 0, v1, vcc
	s_waitcnt lgkmcnt(1)
	global_store_dword v[4:5], v3, off
	s_or_b64 exec, exec, s[0:1]
	s_and_saveexec_b64 s[0:1], s[16:17]
	s_cbranch_execz .LBB4621_36
.LBB4621_46:
	v_add_co_u32_e32 v0, vcc, 0x1000, v0
	v_addc_co_u32_e32 v1, vcc, 0, v1, vcc
	s_waitcnt lgkmcnt(0)
	global_store_dword v[0:1], v10, off offset:512
	s_endpgm
	.section	.rodata,"a",@progbits
	.p2align	6, 0x0
	.amdhsa_kernel _ZN7rocprim17ROCPRIM_400000_NS6detail17trampoline_kernelINS0_14default_configENS1_20scan_config_selectorIjEEZZNS1_9scan_implILNS1_25lookback_scan_determinismE0ELb0ELb0ES3_N6thrust23THRUST_200600_302600_NS6detail15normal_iteratorINS9_10device_ptrIjEEEESE_jNS9_4plusIvEEjEEDaPvRmT3_T4_T5_mT6_P12ihipStream_tbENKUlT_T0_E_clISt17integral_constantIbLb1EEST_IbLb0EEEEDaSP_SQ_EUlSP_E0_NS1_11comp_targetILNS1_3genE4ELNS1_11target_archE910ELNS1_3gpuE8ELNS1_3repE0EEENS1_30default_config_static_selectorELNS0_4arch9wavefront6targetE1EEEvT1_
		.amdhsa_group_segment_fixed_size 5120
		.amdhsa_private_segment_fixed_size 0
		.amdhsa_kernarg_size 32
		.amdhsa_user_sgpr_count 6
		.amdhsa_user_sgpr_private_segment_buffer 1
		.amdhsa_user_sgpr_dispatch_ptr 0
		.amdhsa_user_sgpr_queue_ptr 0
		.amdhsa_user_sgpr_kernarg_segment_ptr 1
		.amdhsa_user_sgpr_dispatch_id 0
		.amdhsa_user_sgpr_flat_scratch_init 0
		.amdhsa_user_sgpr_kernarg_preload_length 0
		.amdhsa_user_sgpr_kernarg_preload_offset 0
		.amdhsa_user_sgpr_private_segment_size 0
		.amdhsa_uses_dynamic_stack 0
		.amdhsa_system_sgpr_private_segment_wavefront_offset 0
		.amdhsa_system_sgpr_workgroup_id_x 1
		.amdhsa_system_sgpr_workgroup_id_y 0
		.amdhsa_system_sgpr_workgroup_id_z 0
		.amdhsa_system_sgpr_workgroup_info 0
		.amdhsa_system_vgpr_workitem_id 0
		.amdhsa_next_free_vgpr 27
		.amdhsa_next_free_sgpr 24
		.amdhsa_accum_offset 28
		.amdhsa_reserve_vcc 1
		.amdhsa_reserve_flat_scratch 0
		.amdhsa_float_round_mode_32 0
		.amdhsa_float_round_mode_16_64 0
		.amdhsa_float_denorm_mode_32 3
		.amdhsa_float_denorm_mode_16_64 3
		.amdhsa_dx10_clamp 1
		.amdhsa_ieee_mode 1
		.amdhsa_fp16_overflow 0
		.amdhsa_tg_split 0
		.amdhsa_exception_fp_ieee_invalid_op 0
		.amdhsa_exception_fp_denorm_src 0
		.amdhsa_exception_fp_ieee_div_zero 0
		.amdhsa_exception_fp_ieee_overflow 0
		.amdhsa_exception_fp_ieee_underflow 0
		.amdhsa_exception_fp_ieee_inexact 0
		.amdhsa_exception_int_div_zero 0
	.end_amdhsa_kernel
	.section	.text._ZN7rocprim17ROCPRIM_400000_NS6detail17trampoline_kernelINS0_14default_configENS1_20scan_config_selectorIjEEZZNS1_9scan_implILNS1_25lookback_scan_determinismE0ELb0ELb0ES3_N6thrust23THRUST_200600_302600_NS6detail15normal_iteratorINS9_10device_ptrIjEEEESE_jNS9_4plusIvEEjEEDaPvRmT3_T4_T5_mT6_P12ihipStream_tbENKUlT_T0_E_clISt17integral_constantIbLb1EEST_IbLb0EEEEDaSP_SQ_EUlSP_E0_NS1_11comp_targetILNS1_3genE4ELNS1_11target_archE910ELNS1_3gpuE8ELNS1_3repE0EEENS1_30default_config_static_selectorELNS0_4arch9wavefront6targetE1EEEvT1_,"axG",@progbits,_ZN7rocprim17ROCPRIM_400000_NS6detail17trampoline_kernelINS0_14default_configENS1_20scan_config_selectorIjEEZZNS1_9scan_implILNS1_25lookback_scan_determinismE0ELb0ELb0ES3_N6thrust23THRUST_200600_302600_NS6detail15normal_iteratorINS9_10device_ptrIjEEEESE_jNS9_4plusIvEEjEEDaPvRmT3_T4_T5_mT6_P12ihipStream_tbENKUlT_T0_E_clISt17integral_constantIbLb1EEST_IbLb0EEEEDaSP_SQ_EUlSP_E0_NS1_11comp_targetILNS1_3genE4ELNS1_11target_archE910ELNS1_3gpuE8ELNS1_3repE0EEENS1_30default_config_static_selectorELNS0_4arch9wavefront6targetE1EEEvT1_,comdat
.Lfunc_end4621:
	.size	_ZN7rocprim17ROCPRIM_400000_NS6detail17trampoline_kernelINS0_14default_configENS1_20scan_config_selectorIjEEZZNS1_9scan_implILNS1_25lookback_scan_determinismE0ELb0ELb0ES3_N6thrust23THRUST_200600_302600_NS6detail15normal_iteratorINS9_10device_ptrIjEEEESE_jNS9_4plusIvEEjEEDaPvRmT3_T4_T5_mT6_P12ihipStream_tbENKUlT_T0_E_clISt17integral_constantIbLb1EEST_IbLb0EEEEDaSP_SQ_EUlSP_E0_NS1_11comp_targetILNS1_3genE4ELNS1_11target_archE910ELNS1_3gpuE8ELNS1_3repE0EEENS1_30default_config_static_selectorELNS0_4arch9wavefront6targetE1EEEvT1_, .Lfunc_end4621-_ZN7rocprim17ROCPRIM_400000_NS6detail17trampoline_kernelINS0_14default_configENS1_20scan_config_selectorIjEEZZNS1_9scan_implILNS1_25lookback_scan_determinismE0ELb0ELb0ES3_N6thrust23THRUST_200600_302600_NS6detail15normal_iteratorINS9_10device_ptrIjEEEESE_jNS9_4plusIvEEjEEDaPvRmT3_T4_T5_mT6_P12ihipStream_tbENKUlT_T0_E_clISt17integral_constantIbLb1EEST_IbLb0EEEEDaSP_SQ_EUlSP_E0_NS1_11comp_targetILNS1_3genE4ELNS1_11target_archE910ELNS1_3gpuE8ELNS1_3repE0EEENS1_30default_config_static_selectorELNS0_4arch9wavefront6targetE1EEEvT1_
                                        ; -- End function
	.section	.AMDGPU.csdata,"",@progbits
; Kernel info:
; codeLenInByte = 1556
; NumSgprs: 28
; NumVgprs: 27
; NumAgprs: 0
; TotalNumVgprs: 27
; ScratchSize: 0
; MemoryBound: 0
; FloatMode: 240
; IeeeMode: 1
; LDSByteSize: 5120 bytes/workgroup (compile time only)
; SGPRBlocks: 3
; VGPRBlocks: 3
; NumSGPRsForWavesPerEU: 28
; NumVGPRsForWavesPerEU: 27
; AccumOffset: 28
; Occupancy: 6
; WaveLimiterHint : 0
; COMPUTE_PGM_RSRC2:SCRATCH_EN: 0
; COMPUTE_PGM_RSRC2:USER_SGPR: 6
; COMPUTE_PGM_RSRC2:TRAP_HANDLER: 0
; COMPUTE_PGM_RSRC2:TGID_X_EN: 1
; COMPUTE_PGM_RSRC2:TGID_Y_EN: 0
; COMPUTE_PGM_RSRC2:TGID_Z_EN: 0
; COMPUTE_PGM_RSRC2:TIDIG_COMP_CNT: 0
; COMPUTE_PGM_RSRC3_GFX90A:ACCUM_OFFSET: 6
; COMPUTE_PGM_RSRC3_GFX90A:TG_SPLIT: 0
	.section	.text._ZN7rocprim17ROCPRIM_400000_NS6detail17trampoline_kernelINS0_14default_configENS1_20scan_config_selectorIjEEZZNS1_9scan_implILNS1_25lookback_scan_determinismE0ELb0ELb0ES3_N6thrust23THRUST_200600_302600_NS6detail15normal_iteratorINS9_10device_ptrIjEEEESE_jNS9_4plusIvEEjEEDaPvRmT3_T4_T5_mT6_P12ihipStream_tbENKUlT_T0_E_clISt17integral_constantIbLb1EEST_IbLb0EEEEDaSP_SQ_EUlSP_E0_NS1_11comp_targetILNS1_3genE3ELNS1_11target_archE908ELNS1_3gpuE7ELNS1_3repE0EEENS1_30default_config_static_selectorELNS0_4arch9wavefront6targetE1EEEvT1_,"axG",@progbits,_ZN7rocprim17ROCPRIM_400000_NS6detail17trampoline_kernelINS0_14default_configENS1_20scan_config_selectorIjEEZZNS1_9scan_implILNS1_25lookback_scan_determinismE0ELb0ELb0ES3_N6thrust23THRUST_200600_302600_NS6detail15normal_iteratorINS9_10device_ptrIjEEEESE_jNS9_4plusIvEEjEEDaPvRmT3_T4_T5_mT6_P12ihipStream_tbENKUlT_T0_E_clISt17integral_constantIbLb1EEST_IbLb0EEEEDaSP_SQ_EUlSP_E0_NS1_11comp_targetILNS1_3genE3ELNS1_11target_archE908ELNS1_3gpuE7ELNS1_3repE0EEENS1_30default_config_static_selectorELNS0_4arch9wavefront6targetE1EEEvT1_,comdat
	.protected	_ZN7rocprim17ROCPRIM_400000_NS6detail17trampoline_kernelINS0_14default_configENS1_20scan_config_selectorIjEEZZNS1_9scan_implILNS1_25lookback_scan_determinismE0ELb0ELb0ES3_N6thrust23THRUST_200600_302600_NS6detail15normal_iteratorINS9_10device_ptrIjEEEESE_jNS9_4plusIvEEjEEDaPvRmT3_T4_T5_mT6_P12ihipStream_tbENKUlT_T0_E_clISt17integral_constantIbLb1EEST_IbLb0EEEEDaSP_SQ_EUlSP_E0_NS1_11comp_targetILNS1_3genE3ELNS1_11target_archE908ELNS1_3gpuE7ELNS1_3repE0EEENS1_30default_config_static_selectorELNS0_4arch9wavefront6targetE1EEEvT1_ ; -- Begin function _ZN7rocprim17ROCPRIM_400000_NS6detail17trampoline_kernelINS0_14default_configENS1_20scan_config_selectorIjEEZZNS1_9scan_implILNS1_25lookback_scan_determinismE0ELb0ELb0ES3_N6thrust23THRUST_200600_302600_NS6detail15normal_iteratorINS9_10device_ptrIjEEEESE_jNS9_4plusIvEEjEEDaPvRmT3_T4_T5_mT6_P12ihipStream_tbENKUlT_T0_E_clISt17integral_constantIbLb1EEST_IbLb0EEEEDaSP_SQ_EUlSP_E0_NS1_11comp_targetILNS1_3genE3ELNS1_11target_archE908ELNS1_3gpuE7ELNS1_3repE0EEENS1_30default_config_static_selectorELNS0_4arch9wavefront6targetE1EEEvT1_
	.globl	_ZN7rocprim17ROCPRIM_400000_NS6detail17trampoline_kernelINS0_14default_configENS1_20scan_config_selectorIjEEZZNS1_9scan_implILNS1_25lookback_scan_determinismE0ELb0ELb0ES3_N6thrust23THRUST_200600_302600_NS6detail15normal_iteratorINS9_10device_ptrIjEEEESE_jNS9_4plusIvEEjEEDaPvRmT3_T4_T5_mT6_P12ihipStream_tbENKUlT_T0_E_clISt17integral_constantIbLb1EEST_IbLb0EEEEDaSP_SQ_EUlSP_E0_NS1_11comp_targetILNS1_3genE3ELNS1_11target_archE908ELNS1_3gpuE7ELNS1_3repE0EEENS1_30default_config_static_selectorELNS0_4arch9wavefront6targetE1EEEvT1_
	.p2align	8
	.type	_ZN7rocprim17ROCPRIM_400000_NS6detail17trampoline_kernelINS0_14default_configENS1_20scan_config_selectorIjEEZZNS1_9scan_implILNS1_25lookback_scan_determinismE0ELb0ELb0ES3_N6thrust23THRUST_200600_302600_NS6detail15normal_iteratorINS9_10device_ptrIjEEEESE_jNS9_4plusIvEEjEEDaPvRmT3_T4_T5_mT6_P12ihipStream_tbENKUlT_T0_E_clISt17integral_constantIbLb1EEST_IbLb0EEEEDaSP_SQ_EUlSP_E0_NS1_11comp_targetILNS1_3genE3ELNS1_11target_archE908ELNS1_3gpuE7ELNS1_3repE0EEENS1_30default_config_static_selectorELNS0_4arch9wavefront6targetE1EEEvT1_,@function
_ZN7rocprim17ROCPRIM_400000_NS6detail17trampoline_kernelINS0_14default_configENS1_20scan_config_selectorIjEEZZNS1_9scan_implILNS1_25lookback_scan_determinismE0ELb0ELb0ES3_N6thrust23THRUST_200600_302600_NS6detail15normal_iteratorINS9_10device_ptrIjEEEESE_jNS9_4plusIvEEjEEDaPvRmT3_T4_T5_mT6_P12ihipStream_tbENKUlT_T0_E_clISt17integral_constantIbLb1EEST_IbLb0EEEEDaSP_SQ_EUlSP_E0_NS1_11comp_targetILNS1_3genE3ELNS1_11target_archE908ELNS1_3gpuE7ELNS1_3repE0EEENS1_30default_config_static_selectorELNS0_4arch9wavefront6targetE1EEEvT1_: ; @_ZN7rocprim17ROCPRIM_400000_NS6detail17trampoline_kernelINS0_14default_configENS1_20scan_config_selectorIjEEZZNS1_9scan_implILNS1_25lookback_scan_determinismE0ELb0ELb0ES3_N6thrust23THRUST_200600_302600_NS6detail15normal_iteratorINS9_10device_ptrIjEEEESE_jNS9_4plusIvEEjEEDaPvRmT3_T4_T5_mT6_P12ihipStream_tbENKUlT_T0_E_clISt17integral_constantIbLb1EEST_IbLb0EEEEDaSP_SQ_EUlSP_E0_NS1_11comp_targetILNS1_3genE3ELNS1_11target_archE908ELNS1_3gpuE7ELNS1_3repE0EEENS1_30default_config_static_selectorELNS0_4arch9wavefront6targetE1EEEvT1_
; %bb.0:
	.section	.rodata,"a",@progbits
	.p2align	6, 0x0
	.amdhsa_kernel _ZN7rocprim17ROCPRIM_400000_NS6detail17trampoline_kernelINS0_14default_configENS1_20scan_config_selectorIjEEZZNS1_9scan_implILNS1_25lookback_scan_determinismE0ELb0ELb0ES3_N6thrust23THRUST_200600_302600_NS6detail15normal_iteratorINS9_10device_ptrIjEEEESE_jNS9_4plusIvEEjEEDaPvRmT3_T4_T5_mT6_P12ihipStream_tbENKUlT_T0_E_clISt17integral_constantIbLb1EEST_IbLb0EEEEDaSP_SQ_EUlSP_E0_NS1_11comp_targetILNS1_3genE3ELNS1_11target_archE908ELNS1_3gpuE7ELNS1_3repE0EEENS1_30default_config_static_selectorELNS0_4arch9wavefront6targetE1EEEvT1_
		.amdhsa_group_segment_fixed_size 0
		.amdhsa_private_segment_fixed_size 0
		.amdhsa_kernarg_size 32
		.amdhsa_user_sgpr_count 6
		.amdhsa_user_sgpr_private_segment_buffer 1
		.amdhsa_user_sgpr_dispatch_ptr 0
		.amdhsa_user_sgpr_queue_ptr 0
		.amdhsa_user_sgpr_kernarg_segment_ptr 1
		.amdhsa_user_sgpr_dispatch_id 0
		.amdhsa_user_sgpr_flat_scratch_init 0
		.amdhsa_user_sgpr_kernarg_preload_length 0
		.amdhsa_user_sgpr_kernarg_preload_offset 0
		.amdhsa_user_sgpr_private_segment_size 0
		.amdhsa_uses_dynamic_stack 0
		.amdhsa_system_sgpr_private_segment_wavefront_offset 0
		.amdhsa_system_sgpr_workgroup_id_x 1
		.amdhsa_system_sgpr_workgroup_id_y 0
		.amdhsa_system_sgpr_workgroup_id_z 0
		.amdhsa_system_sgpr_workgroup_info 0
		.amdhsa_system_vgpr_workitem_id 0
		.amdhsa_next_free_vgpr 1
		.amdhsa_next_free_sgpr 0
		.amdhsa_accum_offset 4
		.amdhsa_reserve_vcc 0
		.amdhsa_reserve_flat_scratch 0
		.amdhsa_float_round_mode_32 0
		.amdhsa_float_round_mode_16_64 0
		.amdhsa_float_denorm_mode_32 3
		.amdhsa_float_denorm_mode_16_64 3
		.amdhsa_dx10_clamp 1
		.amdhsa_ieee_mode 1
		.amdhsa_fp16_overflow 0
		.amdhsa_tg_split 0
		.amdhsa_exception_fp_ieee_invalid_op 0
		.amdhsa_exception_fp_denorm_src 0
		.amdhsa_exception_fp_ieee_div_zero 0
		.amdhsa_exception_fp_ieee_overflow 0
		.amdhsa_exception_fp_ieee_underflow 0
		.amdhsa_exception_fp_ieee_inexact 0
		.amdhsa_exception_int_div_zero 0
	.end_amdhsa_kernel
	.section	.text._ZN7rocprim17ROCPRIM_400000_NS6detail17trampoline_kernelINS0_14default_configENS1_20scan_config_selectorIjEEZZNS1_9scan_implILNS1_25lookback_scan_determinismE0ELb0ELb0ES3_N6thrust23THRUST_200600_302600_NS6detail15normal_iteratorINS9_10device_ptrIjEEEESE_jNS9_4plusIvEEjEEDaPvRmT3_T4_T5_mT6_P12ihipStream_tbENKUlT_T0_E_clISt17integral_constantIbLb1EEST_IbLb0EEEEDaSP_SQ_EUlSP_E0_NS1_11comp_targetILNS1_3genE3ELNS1_11target_archE908ELNS1_3gpuE7ELNS1_3repE0EEENS1_30default_config_static_selectorELNS0_4arch9wavefront6targetE1EEEvT1_,"axG",@progbits,_ZN7rocprim17ROCPRIM_400000_NS6detail17trampoline_kernelINS0_14default_configENS1_20scan_config_selectorIjEEZZNS1_9scan_implILNS1_25lookback_scan_determinismE0ELb0ELb0ES3_N6thrust23THRUST_200600_302600_NS6detail15normal_iteratorINS9_10device_ptrIjEEEESE_jNS9_4plusIvEEjEEDaPvRmT3_T4_T5_mT6_P12ihipStream_tbENKUlT_T0_E_clISt17integral_constantIbLb1EEST_IbLb0EEEEDaSP_SQ_EUlSP_E0_NS1_11comp_targetILNS1_3genE3ELNS1_11target_archE908ELNS1_3gpuE7ELNS1_3repE0EEENS1_30default_config_static_selectorELNS0_4arch9wavefront6targetE1EEEvT1_,comdat
.Lfunc_end4622:
	.size	_ZN7rocprim17ROCPRIM_400000_NS6detail17trampoline_kernelINS0_14default_configENS1_20scan_config_selectorIjEEZZNS1_9scan_implILNS1_25lookback_scan_determinismE0ELb0ELb0ES3_N6thrust23THRUST_200600_302600_NS6detail15normal_iteratorINS9_10device_ptrIjEEEESE_jNS9_4plusIvEEjEEDaPvRmT3_T4_T5_mT6_P12ihipStream_tbENKUlT_T0_E_clISt17integral_constantIbLb1EEST_IbLb0EEEEDaSP_SQ_EUlSP_E0_NS1_11comp_targetILNS1_3genE3ELNS1_11target_archE908ELNS1_3gpuE7ELNS1_3repE0EEENS1_30default_config_static_selectorELNS0_4arch9wavefront6targetE1EEEvT1_, .Lfunc_end4622-_ZN7rocprim17ROCPRIM_400000_NS6detail17trampoline_kernelINS0_14default_configENS1_20scan_config_selectorIjEEZZNS1_9scan_implILNS1_25lookback_scan_determinismE0ELb0ELb0ES3_N6thrust23THRUST_200600_302600_NS6detail15normal_iteratorINS9_10device_ptrIjEEEESE_jNS9_4plusIvEEjEEDaPvRmT3_T4_T5_mT6_P12ihipStream_tbENKUlT_T0_E_clISt17integral_constantIbLb1EEST_IbLb0EEEEDaSP_SQ_EUlSP_E0_NS1_11comp_targetILNS1_3genE3ELNS1_11target_archE908ELNS1_3gpuE7ELNS1_3repE0EEENS1_30default_config_static_selectorELNS0_4arch9wavefront6targetE1EEEvT1_
                                        ; -- End function
	.section	.AMDGPU.csdata,"",@progbits
; Kernel info:
; codeLenInByte = 0
; NumSgprs: 4
; NumVgprs: 0
; NumAgprs: 0
; TotalNumVgprs: 0
; ScratchSize: 0
; MemoryBound: 0
; FloatMode: 240
; IeeeMode: 1
; LDSByteSize: 0 bytes/workgroup (compile time only)
; SGPRBlocks: 0
; VGPRBlocks: 0
; NumSGPRsForWavesPerEU: 4
; NumVGPRsForWavesPerEU: 1
; AccumOffset: 4
; Occupancy: 8
; WaveLimiterHint : 0
; COMPUTE_PGM_RSRC2:SCRATCH_EN: 0
; COMPUTE_PGM_RSRC2:USER_SGPR: 6
; COMPUTE_PGM_RSRC2:TRAP_HANDLER: 0
; COMPUTE_PGM_RSRC2:TGID_X_EN: 1
; COMPUTE_PGM_RSRC2:TGID_Y_EN: 0
; COMPUTE_PGM_RSRC2:TGID_Z_EN: 0
; COMPUTE_PGM_RSRC2:TIDIG_COMP_CNT: 0
; COMPUTE_PGM_RSRC3_GFX90A:ACCUM_OFFSET: 0
; COMPUTE_PGM_RSRC3_GFX90A:TG_SPLIT: 0
	.section	.text._ZN7rocprim17ROCPRIM_400000_NS6detail17trampoline_kernelINS0_14default_configENS1_20scan_config_selectorIjEEZZNS1_9scan_implILNS1_25lookback_scan_determinismE0ELb0ELb0ES3_N6thrust23THRUST_200600_302600_NS6detail15normal_iteratorINS9_10device_ptrIjEEEESE_jNS9_4plusIvEEjEEDaPvRmT3_T4_T5_mT6_P12ihipStream_tbENKUlT_T0_E_clISt17integral_constantIbLb1EEST_IbLb0EEEEDaSP_SQ_EUlSP_E0_NS1_11comp_targetILNS1_3genE2ELNS1_11target_archE906ELNS1_3gpuE6ELNS1_3repE0EEENS1_30default_config_static_selectorELNS0_4arch9wavefront6targetE1EEEvT1_,"axG",@progbits,_ZN7rocprim17ROCPRIM_400000_NS6detail17trampoline_kernelINS0_14default_configENS1_20scan_config_selectorIjEEZZNS1_9scan_implILNS1_25lookback_scan_determinismE0ELb0ELb0ES3_N6thrust23THRUST_200600_302600_NS6detail15normal_iteratorINS9_10device_ptrIjEEEESE_jNS9_4plusIvEEjEEDaPvRmT3_T4_T5_mT6_P12ihipStream_tbENKUlT_T0_E_clISt17integral_constantIbLb1EEST_IbLb0EEEEDaSP_SQ_EUlSP_E0_NS1_11comp_targetILNS1_3genE2ELNS1_11target_archE906ELNS1_3gpuE6ELNS1_3repE0EEENS1_30default_config_static_selectorELNS0_4arch9wavefront6targetE1EEEvT1_,comdat
	.protected	_ZN7rocprim17ROCPRIM_400000_NS6detail17trampoline_kernelINS0_14default_configENS1_20scan_config_selectorIjEEZZNS1_9scan_implILNS1_25lookback_scan_determinismE0ELb0ELb0ES3_N6thrust23THRUST_200600_302600_NS6detail15normal_iteratorINS9_10device_ptrIjEEEESE_jNS9_4plusIvEEjEEDaPvRmT3_T4_T5_mT6_P12ihipStream_tbENKUlT_T0_E_clISt17integral_constantIbLb1EEST_IbLb0EEEEDaSP_SQ_EUlSP_E0_NS1_11comp_targetILNS1_3genE2ELNS1_11target_archE906ELNS1_3gpuE6ELNS1_3repE0EEENS1_30default_config_static_selectorELNS0_4arch9wavefront6targetE1EEEvT1_ ; -- Begin function _ZN7rocprim17ROCPRIM_400000_NS6detail17trampoline_kernelINS0_14default_configENS1_20scan_config_selectorIjEEZZNS1_9scan_implILNS1_25lookback_scan_determinismE0ELb0ELb0ES3_N6thrust23THRUST_200600_302600_NS6detail15normal_iteratorINS9_10device_ptrIjEEEESE_jNS9_4plusIvEEjEEDaPvRmT3_T4_T5_mT6_P12ihipStream_tbENKUlT_T0_E_clISt17integral_constantIbLb1EEST_IbLb0EEEEDaSP_SQ_EUlSP_E0_NS1_11comp_targetILNS1_3genE2ELNS1_11target_archE906ELNS1_3gpuE6ELNS1_3repE0EEENS1_30default_config_static_selectorELNS0_4arch9wavefront6targetE1EEEvT1_
	.globl	_ZN7rocprim17ROCPRIM_400000_NS6detail17trampoline_kernelINS0_14default_configENS1_20scan_config_selectorIjEEZZNS1_9scan_implILNS1_25lookback_scan_determinismE0ELb0ELb0ES3_N6thrust23THRUST_200600_302600_NS6detail15normal_iteratorINS9_10device_ptrIjEEEESE_jNS9_4plusIvEEjEEDaPvRmT3_T4_T5_mT6_P12ihipStream_tbENKUlT_T0_E_clISt17integral_constantIbLb1EEST_IbLb0EEEEDaSP_SQ_EUlSP_E0_NS1_11comp_targetILNS1_3genE2ELNS1_11target_archE906ELNS1_3gpuE6ELNS1_3repE0EEENS1_30default_config_static_selectorELNS0_4arch9wavefront6targetE1EEEvT1_
	.p2align	8
	.type	_ZN7rocprim17ROCPRIM_400000_NS6detail17trampoline_kernelINS0_14default_configENS1_20scan_config_selectorIjEEZZNS1_9scan_implILNS1_25lookback_scan_determinismE0ELb0ELb0ES3_N6thrust23THRUST_200600_302600_NS6detail15normal_iteratorINS9_10device_ptrIjEEEESE_jNS9_4plusIvEEjEEDaPvRmT3_T4_T5_mT6_P12ihipStream_tbENKUlT_T0_E_clISt17integral_constantIbLb1EEST_IbLb0EEEEDaSP_SQ_EUlSP_E0_NS1_11comp_targetILNS1_3genE2ELNS1_11target_archE906ELNS1_3gpuE6ELNS1_3repE0EEENS1_30default_config_static_selectorELNS0_4arch9wavefront6targetE1EEEvT1_,@function
_ZN7rocprim17ROCPRIM_400000_NS6detail17trampoline_kernelINS0_14default_configENS1_20scan_config_selectorIjEEZZNS1_9scan_implILNS1_25lookback_scan_determinismE0ELb0ELb0ES3_N6thrust23THRUST_200600_302600_NS6detail15normal_iteratorINS9_10device_ptrIjEEEESE_jNS9_4plusIvEEjEEDaPvRmT3_T4_T5_mT6_P12ihipStream_tbENKUlT_T0_E_clISt17integral_constantIbLb1EEST_IbLb0EEEEDaSP_SQ_EUlSP_E0_NS1_11comp_targetILNS1_3genE2ELNS1_11target_archE906ELNS1_3gpuE6ELNS1_3repE0EEENS1_30default_config_static_selectorELNS0_4arch9wavefront6targetE1EEEvT1_: ; @_ZN7rocprim17ROCPRIM_400000_NS6detail17trampoline_kernelINS0_14default_configENS1_20scan_config_selectorIjEEZZNS1_9scan_implILNS1_25lookback_scan_determinismE0ELb0ELb0ES3_N6thrust23THRUST_200600_302600_NS6detail15normal_iteratorINS9_10device_ptrIjEEEESE_jNS9_4plusIvEEjEEDaPvRmT3_T4_T5_mT6_P12ihipStream_tbENKUlT_T0_E_clISt17integral_constantIbLb1EEST_IbLb0EEEEDaSP_SQ_EUlSP_E0_NS1_11comp_targetILNS1_3genE2ELNS1_11target_archE906ELNS1_3gpuE6ELNS1_3repE0EEENS1_30default_config_static_selectorELNS0_4arch9wavefront6targetE1EEEvT1_
; %bb.0:
	.section	.rodata,"a",@progbits
	.p2align	6, 0x0
	.amdhsa_kernel _ZN7rocprim17ROCPRIM_400000_NS6detail17trampoline_kernelINS0_14default_configENS1_20scan_config_selectorIjEEZZNS1_9scan_implILNS1_25lookback_scan_determinismE0ELb0ELb0ES3_N6thrust23THRUST_200600_302600_NS6detail15normal_iteratorINS9_10device_ptrIjEEEESE_jNS9_4plusIvEEjEEDaPvRmT3_T4_T5_mT6_P12ihipStream_tbENKUlT_T0_E_clISt17integral_constantIbLb1EEST_IbLb0EEEEDaSP_SQ_EUlSP_E0_NS1_11comp_targetILNS1_3genE2ELNS1_11target_archE906ELNS1_3gpuE6ELNS1_3repE0EEENS1_30default_config_static_selectorELNS0_4arch9wavefront6targetE1EEEvT1_
		.amdhsa_group_segment_fixed_size 0
		.amdhsa_private_segment_fixed_size 0
		.amdhsa_kernarg_size 32
		.amdhsa_user_sgpr_count 6
		.amdhsa_user_sgpr_private_segment_buffer 1
		.amdhsa_user_sgpr_dispatch_ptr 0
		.amdhsa_user_sgpr_queue_ptr 0
		.amdhsa_user_sgpr_kernarg_segment_ptr 1
		.amdhsa_user_sgpr_dispatch_id 0
		.amdhsa_user_sgpr_flat_scratch_init 0
		.amdhsa_user_sgpr_kernarg_preload_length 0
		.amdhsa_user_sgpr_kernarg_preload_offset 0
		.amdhsa_user_sgpr_private_segment_size 0
		.amdhsa_uses_dynamic_stack 0
		.amdhsa_system_sgpr_private_segment_wavefront_offset 0
		.amdhsa_system_sgpr_workgroup_id_x 1
		.amdhsa_system_sgpr_workgroup_id_y 0
		.amdhsa_system_sgpr_workgroup_id_z 0
		.amdhsa_system_sgpr_workgroup_info 0
		.amdhsa_system_vgpr_workitem_id 0
		.amdhsa_next_free_vgpr 1
		.amdhsa_next_free_sgpr 0
		.amdhsa_accum_offset 4
		.amdhsa_reserve_vcc 0
		.amdhsa_reserve_flat_scratch 0
		.amdhsa_float_round_mode_32 0
		.amdhsa_float_round_mode_16_64 0
		.amdhsa_float_denorm_mode_32 3
		.amdhsa_float_denorm_mode_16_64 3
		.amdhsa_dx10_clamp 1
		.amdhsa_ieee_mode 1
		.amdhsa_fp16_overflow 0
		.amdhsa_tg_split 0
		.amdhsa_exception_fp_ieee_invalid_op 0
		.amdhsa_exception_fp_denorm_src 0
		.amdhsa_exception_fp_ieee_div_zero 0
		.amdhsa_exception_fp_ieee_overflow 0
		.amdhsa_exception_fp_ieee_underflow 0
		.amdhsa_exception_fp_ieee_inexact 0
		.amdhsa_exception_int_div_zero 0
	.end_amdhsa_kernel
	.section	.text._ZN7rocprim17ROCPRIM_400000_NS6detail17trampoline_kernelINS0_14default_configENS1_20scan_config_selectorIjEEZZNS1_9scan_implILNS1_25lookback_scan_determinismE0ELb0ELb0ES3_N6thrust23THRUST_200600_302600_NS6detail15normal_iteratorINS9_10device_ptrIjEEEESE_jNS9_4plusIvEEjEEDaPvRmT3_T4_T5_mT6_P12ihipStream_tbENKUlT_T0_E_clISt17integral_constantIbLb1EEST_IbLb0EEEEDaSP_SQ_EUlSP_E0_NS1_11comp_targetILNS1_3genE2ELNS1_11target_archE906ELNS1_3gpuE6ELNS1_3repE0EEENS1_30default_config_static_selectorELNS0_4arch9wavefront6targetE1EEEvT1_,"axG",@progbits,_ZN7rocprim17ROCPRIM_400000_NS6detail17trampoline_kernelINS0_14default_configENS1_20scan_config_selectorIjEEZZNS1_9scan_implILNS1_25lookback_scan_determinismE0ELb0ELb0ES3_N6thrust23THRUST_200600_302600_NS6detail15normal_iteratorINS9_10device_ptrIjEEEESE_jNS9_4plusIvEEjEEDaPvRmT3_T4_T5_mT6_P12ihipStream_tbENKUlT_T0_E_clISt17integral_constantIbLb1EEST_IbLb0EEEEDaSP_SQ_EUlSP_E0_NS1_11comp_targetILNS1_3genE2ELNS1_11target_archE906ELNS1_3gpuE6ELNS1_3repE0EEENS1_30default_config_static_selectorELNS0_4arch9wavefront6targetE1EEEvT1_,comdat
.Lfunc_end4623:
	.size	_ZN7rocprim17ROCPRIM_400000_NS6detail17trampoline_kernelINS0_14default_configENS1_20scan_config_selectorIjEEZZNS1_9scan_implILNS1_25lookback_scan_determinismE0ELb0ELb0ES3_N6thrust23THRUST_200600_302600_NS6detail15normal_iteratorINS9_10device_ptrIjEEEESE_jNS9_4plusIvEEjEEDaPvRmT3_T4_T5_mT6_P12ihipStream_tbENKUlT_T0_E_clISt17integral_constantIbLb1EEST_IbLb0EEEEDaSP_SQ_EUlSP_E0_NS1_11comp_targetILNS1_3genE2ELNS1_11target_archE906ELNS1_3gpuE6ELNS1_3repE0EEENS1_30default_config_static_selectorELNS0_4arch9wavefront6targetE1EEEvT1_, .Lfunc_end4623-_ZN7rocprim17ROCPRIM_400000_NS6detail17trampoline_kernelINS0_14default_configENS1_20scan_config_selectorIjEEZZNS1_9scan_implILNS1_25lookback_scan_determinismE0ELb0ELb0ES3_N6thrust23THRUST_200600_302600_NS6detail15normal_iteratorINS9_10device_ptrIjEEEESE_jNS9_4plusIvEEjEEDaPvRmT3_T4_T5_mT6_P12ihipStream_tbENKUlT_T0_E_clISt17integral_constantIbLb1EEST_IbLb0EEEEDaSP_SQ_EUlSP_E0_NS1_11comp_targetILNS1_3genE2ELNS1_11target_archE906ELNS1_3gpuE6ELNS1_3repE0EEENS1_30default_config_static_selectorELNS0_4arch9wavefront6targetE1EEEvT1_
                                        ; -- End function
	.section	.AMDGPU.csdata,"",@progbits
; Kernel info:
; codeLenInByte = 0
; NumSgprs: 4
; NumVgprs: 0
; NumAgprs: 0
; TotalNumVgprs: 0
; ScratchSize: 0
; MemoryBound: 0
; FloatMode: 240
; IeeeMode: 1
; LDSByteSize: 0 bytes/workgroup (compile time only)
; SGPRBlocks: 0
; VGPRBlocks: 0
; NumSGPRsForWavesPerEU: 4
; NumVGPRsForWavesPerEU: 1
; AccumOffset: 4
; Occupancy: 8
; WaveLimiterHint : 0
; COMPUTE_PGM_RSRC2:SCRATCH_EN: 0
; COMPUTE_PGM_RSRC2:USER_SGPR: 6
; COMPUTE_PGM_RSRC2:TRAP_HANDLER: 0
; COMPUTE_PGM_RSRC2:TGID_X_EN: 1
; COMPUTE_PGM_RSRC2:TGID_Y_EN: 0
; COMPUTE_PGM_RSRC2:TGID_Z_EN: 0
; COMPUTE_PGM_RSRC2:TIDIG_COMP_CNT: 0
; COMPUTE_PGM_RSRC3_GFX90A:ACCUM_OFFSET: 0
; COMPUTE_PGM_RSRC3_GFX90A:TG_SPLIT: 0
	.section	.text._ZN7rocprim17ROCPRIM_400000_NS6detail17trampoline_kernelINS0_14default_configENS1_20scan_config_selectorIjEEZZNS1_9scan_implILNS1_25lookback_scan_determinismE0ELb0ELb0ES3_N6thrust23THRUST_200600_302600_NS6detail15normal_iteratorINS9_10device_ptrIjEEEESE_jNS9_4plusIvEEjEEDaPvRmT3_T4_T5_mT6_P12ihipStream_tbENKUlT_T0_E_clISt17integral_constantIbLb1EEST_IbLb0EEEEDaSP_SQ_EUlSP_E0_NS1_11comp_targetILNS1_3genE10ELNS1_11target_archE1201ELNS1_3gpuE5ELNS1_3repE0EEENS1_30default_config_static_selectorELNS0_4arch9wavefront6targetE1EEEvT1_,"axG",@progbits,_ZN7rocprim17ROCPRIM_400000_NS6detail17trampoline_kernelINS0_14default_configENS1_20scan_config_selectorIjEEZZNS1_9scan_implILNS1_25lookback_scan_determinismE0ELb0ELb0ES3_N6thrust23THRUST_200600_302600_NS6detail15normal_iteratorINS9_10device_ptrIjEEEESE_jNS9_4plusIvEEjEEDaPvRmT3_T4_T5_mT6_P12ihipStream_tbENKUlT_T0_E_clISt17integral_constantIbLb1EEST_IbLb0EEEEDaSP_SQ_EUlSP_E0_NS1_11comp_targetILNS1_3genE10ELNS1_11target_archE1201ELNS1_3gpuE5ELNS1_3repE0EEENS1_30default_config_static_selectorELNS0_4arch9wavefront6targetE1EEEvT1_,comdat
	.protected	_ZN7rocprim17ROCPRIM_400000_NS6detail17trampoline_kernelINS0_14default_configENS1_20scan_config_selectorIjEEZZNS1_9scan_implILNS1_25lookback_scan_determinismE0ELb0ELb0ES3_N6thrust23THRUST_200600_302600_NS6detail15normal_iteratorINS9_10device_ptrIjEEEESE_jNS9_4plusIvEEjEEDaPvRmT3_T4_T5_mT6_P12ihipStream_tbENKUlT_T0_E_clISt17integral_constantIbLb1EEST_IbLb0EEEEDaSP_SQ_EUlSP_E0_NS1_11comp_targetILNS1_3genE10ELNS1_11target_archE1201ELNS1_3gpuE5ELNS1_3repE0EEENS1_30default_config_static_selectorELNS0_4arch9wavefront6targetE1EEEvT1_ ; -- Begin function _ZN7rocprim17ROCPRIM_400000_NS6detail17trampoline_kernelINS0_14default_configENS1_20scan_config_selectorIjEEZZNS1_9scan_implILNS1_25lookback_scan_determinismE0ELb0ELb0ES3_N6thrust23THRUST_200600_302600_NS6detail15normal_iteratorINS9_10device_ptrIjEEEESE_jNS9_4plusIvEEjEEDaPvRmT3_T4_T5_mT6_P12ihipStream_tbENKUlT_T0_E_clISt17integral_constantIbLb1EEST_IbLb0EEEEDaSP_SQ_EUlSP_E0_NS1_11comp_targetILNS1_3genE10ELNS1_11target_archE1201ELNS1_3gpuE5ELNS1_3repE0EEENS1_30default_config_static_selectorELNS0_4arch9wavefront6targetE1EEEvT1_
	.globl	_ZN7rocprim17ROCPRIM_400000_NS6detail17trampoline_kernelINS0_14default_configENS1_20scan_config_selectorIjEEZZNS1_9scan_implILNS1_25lookback_scan_determinismE0ELb0ELb0ES3_N6thrust23THRUST_200600_302600_NS6detail15normal_iteratorINS9_10device_ptrIjEEEESE_jNS9_4plusIvEEjEEDaPvRmT3_T4_T5_mT6_P12ihipStream_tbENKUlT_T0_E_clISt17integral_constantIbLb1EEST_IbLb0EEEEDaSP_SQ_EUlSP_E0_NS1_11comp_targetILNS1_3genE10ELNS1_11target_archE1201ELNS1_3gpuE5ELNS1_3repE0EEENS1_30default_config_static_selectorELNS0_4arch9wavefront6targetE1EEEvT1_
	.p2align	8
	.type	_ZN7rocprim17ROCPRIM_400000_NS6detail17trampoline_kernelINS0_14default_configENS1_20scan_config_selectorIjEEZZNS1_9scan_implILNS1_25lookback_scan_determinismE0ELb0ELb0ES3_N6thrust23THRUST_200600_302600_NS6detail15normal_iteratorINS9_10device_ptrIjEEEESE_jNS9_4plusIvEEjEEDaPvRmT3_T4_T5_mT6_P12ihipStream_tbENKUlT_T0_E_clISt17integral_constantIbLb1EEST_IbLb0EEEEDaSP_SQ_EUlSP_E0_NS1_11comp_targetILNS1_3genE10ELNS1_11target_archE1201ELNS1_3gpuE5ELNS1_3repE0EEENS1_30default_config_static_selectorELNS0_4arch9wavefront6targetE1EEEvT1_,@function
_ZN7rocprim17ROCPRIM_400000_NS6detail17trampoline_kernelINS0_14default_configENS1_20scan_config_selectorIjEEZZNS1_9scan_implILNS1_25lookback_scan_determinismE0ELb0ELb0ES3_N6thrust23THRUST_200600_302600_NS6detail15normal_iteratorINS9_10device_ptrIjEEEESE_jNS9_4plusIvEEjEEDaPvRmT3_T4_T5_mT6_P12ihipStream_tbENKUlT_T0_E_clISt17integral_constantIbLb1EEST_IbLb0EEEEDaSP_SQ_EUlSP_E0_NS1_11comp_targetILNS1_3genE10ELNS1_11target_archE1201ELNS1_3gpuE5ELNS1_3repE0EEENS1_30default_config_static_selectorELNS0_4arch9wavefront6targetE1EEEvT1_: ; @_ZN7rocprim17ROCPRIM_400000_NS6detail17trampoline_kernelINS0_14default_configENS1_20scan_config_selectorIjEEZZNS1_9scan_implILNS1_25lookback_scan_determinismE0ELb0ELb0ES3_N6thrust23THRUST_200600_302600_NS6detail15normal_iteratorINS9_10device_ptrIjEEEESE_jNS9_4plusIvEEjEEDaPvRmT3_T4_T5_mT6_P12ihipStream_tbENKUlT_T0_E_clISt17integral_constantIbLb1EEST_IbLb0EEEEDaSP_SQ_EUlSP_E0_NS1_11comp_targetILNS1_3genE10ELNS1_11target_archE1201ELNS1_3gpuE5ELNS1_3repE0EEENS1_30default_config_static_selectorELNS0_4arch9wavefront6targetE1EEEvT1_
; %bb.0:
	.section	.rodata,"a",@progbits
	.p2align	6, 0x0
	.amdhsa_kernel _ZN7rocprim17ROCPRIM_400000_NS6detail17trampoline_kernelINS0_14default_configENS1_20scan_config_selectorIjEEZZNS1_9scan_implILNS1_25lookback_scan_determinismE0ELb0ELb0ES3_N6thrust23THRUST_200600_302600_NS6detail15normal_iteratorINS9_10device_ptrIjEEEESE_jNS9_4plusIvEEjEEDaPvRmT3_T4_T5_mT6_P12ihipStream_tbENKUlT_T0_E_clISt17integral_constantIbLb1EEST_IbLb0EEEEDaSP_SQ_EUlSP_E0_NS1_11comp_targetILNS1_3genE10ELNS1_11target_archE1201ELNS1_3gpuE5ELNS1_3repE0EEENS1_30default_config_static_selectorELNS0_4arch9wavefront6targetE1EEEvT1_
		.amdhsa_group_segment_fixed_size 0
		.amdhsa_private_segment_fixed_size 0
		.amdhsa_kernarg_size 32
		.amdhsa_user_sgpr_count 6
		.amdhsa_user_sgpr_private_segment_buffer 1
		.amdhsa_user_sgpr_dispatch_ptr 0
		.amdhsa_user_sgpr_queue_ptr 0
		.amdhsa_user_sgpr_kernarg_segment_ptr 1
		.amdhsa_user_sgpr_dispatch_id 0
		.amdhsa_user_sgpr_flat_scratch_init 0
		.amdhsa_user_sgpr_kernarg_preload_length 0
		.amdhsa_user_sgpr_kernarg_preload_offset 0
		.amdhsa_user_sgpr_private_segment_size 0
		.amdhsa_uses_dynamic_stack 0
		.amdhsa_system_sgpr_private_segment_wavefront_offset 0
		.amdhsa_system_sgpr_workgroup_id_x 1
		.amdhsa_system_sgpr_workgroup_id_y 0
		.amdhsa_system_sgpr_workgroup_id_z 0
		.amdhsa_system_sgpr_workgroup_info 0
		.amdhsa_system_vgpr_workitem_id 0
		.amdhsa_next_free_vgpr 1
		.amdhsa_next_free_sgpr 0
		.amdhsa_accum_offset 4
		.amdhsa_reserve_vcc 0
		.amdhsa_reserve_flat_scratch 0
		.amdhsa_float_round_mode_32 0
		.amdhsa_float_round_mode_16_64 0
		.amdhsa_float_denorm_mode_32 3
		.amdhsa_float_denorm_mode_16_64 3
		.amdhsa_dx10_clamp 1
		.amdhsa_ieee_mode 1
		.amdhsa_fp16_overflow 0
		.amdhsa_tg_split 0
		.amdhsa_exception_fp_ieee_invalid_op 0
		.amdhsa_exception_fp_denorm_src 0
		.amdhsa_exception_fp_ieee_div_zero 0
		.amdhsa_exception_fp_ieee_overflow 0
		.amdhsa_exception_fp_ieee_underflow 0
		.amdhsa_exception_fp_ieee_inexact 0
		.amdhsa_exception_int_div_zero 0
	.end_amdhsa_kernel
	.section	.text._ZN7rocprim17ROCPRIM_400000_NS6detail17trampoline_kernelINS0_14default_configENS1_20scan_config_selectorIjEEZZNS1_9scan_implILNS1_25lookback_scan_determinismE0ELb0ELb0ES3_N6thrust23THRUST_200600_302600_NS6detail15normal_iteratorINS9_10device_ptrIjEEEESE_jNS9_4plusIvEEjEEDaPvRmT3_T4_T5_mT6_P12ihipStream_tbENKUlT_T0_E_clISt17integral_constantIbLb1EEST_IbLb0EEEEDaSP_SQ_EUlSP_E0_NS1_11comp_targetILNS1_3genE10ELNS1_11target_archE1201ELNS1_3gpuE5ELNS1_3repE0EEENS1_30default_config_static_selectorELNS0_4arch9wavefront6targetE1EEEvT1_,"axG",@progbits,_ZN7rocprim17ROCPRIM_400000_NS6detail17trampoline_kernelINS0_14default_configENS1_20scan_config_selectorIjEEZZNS1_9scan_implILNS1_25lookback_scan_determinismE0ELb0ELb0ES3_N6thrust23THRUST_200600_302600_NS6detail15normal_iteratorINS9_10device_ptrIjEEEESE_jNS9_4plusIvEEjEEDaPvRmT3_T4_T5_mT6_P12ihipStream_tbENKUlT_T0_E_clISt17integral_constantIbLb1EEST_IbLb0EEEEDaSP_SQ_EUlSP_E0_NS1_11comp_targetILNS1_3genE10ELNS1_11target_archE1201ELNS1_3gpuE5ELNS1_3repE0EEENS1_30default_config_static_selectorELNS0_4arch9wavefront6targetE1EEEvT1_,comdat
.Lfunc_end4624:
	.size	_ZN7rocprim17ROCPRIM_400000_NS6detail17trampoline_kernelINS0_14default_configENS1_20scan_config_selectorIjEEZZNS1_9scan_implILNS1_25lookback_scan_determinismE0ELb0ELb0ES3_N6thrust23THRUST_200600_302600_NS6detail15normal_iteratorINS9_10device_ptrIjEEEESE_jNS9_4plusIvEEjEEDaPvRmT3_T4_T5_mT6_P12ihipStream_tbENKUlT_T0_E_clISt17integral_constantIbLb1EEST_IbLb0EEEEDaSP_SQ_EUlSP_E0_NS1_11comp_targetILNS1_3genE10ELNS1_11target_archE1201ELNS1_3gpuE5ELNS1_3repE0EEENS1_30default_config_static_selectorELNS0_4arch9wavefront6targetE1EEEvT1_, .Lfunc_end4624-_ZN7rocprim17ROCPRIM_400000_NS6detail17trampoline_kernelINS0_14default_configENS1_20scan_config_selectorIjEEZZNS1_9scan_implILNS1_25lookback_scan_determinismE0ELb0ELb0ES3_N6thrust23THRUST_200600_302600_NS6detail15normal_iteratorINS9_10device_ptrIjEEEESE_jNS9_4plusIvEEjEEDaPvRmT3_T4_T5_mT6_P12ihipStream_tbENKUlT_T0_E_clISt17integral_constantIbLb1EEST_IbLb0EEEEDaSP_SQ_EUlSP_E0_NS1_11comp_targetILNS1_3genE10ELNS1_11target_archE1201ELNS1_3gpuE5ELNS1_3repE0EEENS1_30default_config_static_selectorELNS0_4arch9wavefront6targetE1EEEvT1_
                                        ; -- End function
	.section	.AMDGPU.csdata,"",@progbits
; Kernel info:
; codeLenInByte = 0
; NumSgprs: 4
; NumVgprs: 0
; NumAgprs: 0
; TotalNumVgprs: 0
; ScratchSize: 0
; MemoryBound: 0
; FloatMode: 240
; IeeeMode: 1
; LDSByteSize: 0 bytes/workgroup (compile time only)
; SGPRBlocks: 0
; VGPRBlocks: 0
; NumSGPRsForWavesPerEU: 4
; NumVGPRsForWavesPerEU: 1
; AccumOffset: 4
; Occupancy: 8
; WaveLimiterHint : 0
; COMPUTE_PGM_RSRC2:SCRATCH_EN: 0
; COMPUTE_PGM_RSRC2:USER_SGPR: 6
; COMPUTE_PGM_RSRC2:TRAP_HANDLER: 0
; COMPUTE_PGM_RSRC2:TGID_X_EN: 1
; COMPUTE_PGM_RSRC2:TGID_Y_EN: 0
; COMPUTE_PGM_RSRC2:TGID_Z_EN: 0
; COMPUTE_PGM_RSRC2:TIDIG_COMP_CNT: 0
; COMPUTE_PGM_RSRC3_GFX90A:ACCUM_OFFSET: 0
; COMPUTE_PGM_RSRC3_GFX90A:TG_SPLIT: 0
	.section	.text._ZN7rocprim17ROCPRIM_400000_NS6detail17trampoline_kernelINS0_14default_configENS1_20scan_config_selectorIjEEZZNS1_9scan_implILNS1_25lookback_scan_determinismE0ELb0ELb0ES3_N6thrust23THRUST_200600_302600_NS6detail15normal_iteratorINS9_10device_ptrIjEEEESE_jNS9_4plusIvEEjEEDaPvRmT3_T4_T5_mT6_P12ihipStream_tbENKUlT_T0_E_clISt17integral_constantIbLb1EEST_IbLb0EEEEDaSP_SQ_EUlSP_E0_NS1_11comp_targetILNS1_3genE10ELNS1_11target_archE1200ELNS1_3gpuE4ELNS1_3repE0EEENS1_30default_config_static_selectorELNS0_4arch9wavefront6targetE1EEEvT1_,"axG",@progbits,_ZN7rocprim17ROCPRIM_400000_NS6detail17trampoline_kernelINS0_14default_configENS1_20scan_config_selectorIjEEZZNS1_9scan_implILNS1_25lookback_scan_determinismE0ELb0ELb0ES3_N6thrust23THRUST_200600_302600_NS6detail15normal_iteratorINS9_10device_ptrIjEEEESE_jNS9_4plusIvEEjEEDaPvRmT3_T4_T5_mT6_P12ihipStream_tbENKUlT_T0_E_clISt17integral_constantIbLb1EEST_IbLb0EEEEDaSP_SQ_EUlSP_E0_NS1_11comp_targetILNS1_3genE10ELNS1_11target_archE1200ELNS1_3gpuE4ELNS1_3repE0EEENS1_30default_config_static_selectorELNS0_4arch9wavefront6targetE1EEEvT1_,comdat
	.protected	_ZN7rocprim17ROCPRIM_400000_NS6detail17trampoline_kernelINS0_14default_configENS1_20scan_config_selectorIjEEZZNS1_9scan_implILNS1_25lookback_scan_determinismE0ELb0ELb0ES3_N6thrust23THRUST_200600_302600_NS6detail15normal_iteratorINS9_10device_ptrIjEEEESE_jNS9_4plusIvEEjEEDaPvRmT3_T4_T5_mT6_P12ihipStream_tbENKUlT_T0_E_clISt17integral_constantIbLb1EEST_IbLb0EEEEDaSP_SQ_EUlSP_E0_NS1_11comp_targetILNS1_3genE10ELNS1_11target_archE1200ELNS1_3gpuE4ELNS1_3repE0EEENS1_30default_config_static_selectorELNS0_4arch9wavefront6targetE1EEEvT1_ ; -- Begin function _ZN7rocprim17ROCPRIM_400000_NS6detail17trampoline_kernelINS0_14default_configENS1_20scan_config_selectorIjEEZZNS1_9scan_implILNS1_25lookback_scan_determinismE0ELb0ELb0ES3_N6thrust23THRUST_200600_302600_NS6detail15normal_iteratorINS9_10device_ptrIjEEEESE_jNS9_4plusIvEEjEEDaPvRmT3_T4_T5_mT6_P12ihipStream_tbENKUlT_T0_E_clISt17integral_constantIbLb1EEST_IbLb0EEEEDaSP_SQ_EUlSP_E0_NS1_11comp_targetILNS1_3genE10ELNS1_11target_archE1200ELNS1_3gpuE4ELNS1_3repE0EEENS1_30default_config_static_selectorELNS0_4arch9wavefront6targetE1EEEvT1_
	.globl	_ZN7rocprim17ROCPRIM_400000_NS6detail17trampoline_kernelINS0_14default_configENS1_20scan_config_selectorIjEEZZNS1_9scan_implILNS1_25lookback_scan_determinismE0ELb0ELb0ES3_N6thrust23THRUST_200600_302600_NS6detail15normal_iteratorINS9_10device_ptrIjEEEESE_jNS9_4plusIvEEjEEDaPvRmT3_T4_T5_mT6_P12ihipStream_tbENKUlT_T0_E_clISt17integral_constantIbLb1EEST_IbLb0EEEEDaSP_SQ_EUlSP_E0_NS1_11comp_targetILNS1_3genE10ELNS1_11target_archE1200ELNS1_3gpuE4ELNS1_3repE0EEENS1_30default_config_static_selectorELNS0_4arch9wavefront6targetE1EEEvT1_
	.p2align	8
	.type	_ZN7rocprim17ROCPRIM_400000_NS6detail17trampoline_kernelINS0_14default_configENS1_20scan_config_selectorIjEEZZNS1_9scan_implILNS1_25lookback_scan_determinismE0ELb0ELb0ES3_N6thrust23THRUST_200600_302600_NS6detail15normal_iteratorINS9_10device_ptrIjEEEESE_jNS9_4plusIvEEjEEDaPvRmT3_T4_T5_mT6_P12ihipStream_tbENKUlT_T0_E_clISt17integral_constantIbLb1EEST_IbLb0EEEEDaSP_SQ_EUlSP_E0_NS1_11comp_targetILNS1_3genE10ELNS1_11target_archE1200ELNS1_3gpuE4ELNS1_3repE0EEENS1_30default_config_static_selectorELNS0_4arch9wavefront6targetE1EEEvT1_,@function
_ZN7rocprim17ROCPRIM_400000_NS6detail17trampoline_kernelINS0_14default_configENS1_20scan_config_selectorIjEEZZNS1_9scan_implILNS1_25lookback_scan_determinismE0ELb0ELb0ES3_N6thrust23THRUST_200600_302600_NS6detail15normal_iteratorINS9_10device_ptrIjEEEESE_jNS9_4plusIvEEjEEDaPvRmT3_T4_T5_mT6_P12ihipStream_tbENKUlT_T0_E_clISt17integral_constantIbLb1EEST_IbLb0EEEEDaSP_SQ_EUlSP_E0_NS1_11comp_targetILNS1_3genE10ELNS1_11target_archE1200ELNS1_3gpuE4ELNS1_3repE0EEENS1_30default_config_static_selectorELNS0_4arch9wavefront6targetE1EEEvT1_: ; @_ZN7rocprim17ROCPRIM_400000_NS6detail17trampoline_kernelINS0_14default_configENS1_20scan_config_selectorIjEEZZNS1_9scan_implILNS1_25lookback_scan_determinismE0ELb0ELb0ES3_N6thrust23THRUST_200600_302600_NS6detail15normal_iteratorINS9_10device_ptrIjEEEESE_jNS9_4plusIvEEjEEDaPvRmT3_T4_T5_mT6_P12ihipStream_tbENKUlT_T0_E_clISt17integral_constantIbLb1EEST_IbLb0EEEEDaSP_SQ_EUlSP_E0_NS1_11comp_targetILNS1_3genE10ELNS1_11target_archE1200ELNS1_3gpuE4ELNS1_3repE0EEENS1_30default_config_static_selectorELNS0_4arch9wavefront6targetE1EEEvT1_
; %bb.0:
	.section	.rodata,"a",@progbits
	.p2align	6, 0x0
	.amdhsa_kernel _ZN7rocprim17ROCPRIM_400000_NS6detail17trampoline_kernelINS0_14default_configENS1_20scan_config_selectorIjEEZZNS1_9scan_implILNS1_25lookback_scan_determinismE0ELb0ELb0ES3_N6thrust23THRUST_200600_302600_NS6detail15normal_iteratorINS9_10device_ptrIjEEEESE_jNS9_4plusIvEEjEEDaPvRmT3_T4_T5_mT6_P12ihipStream_tbENKUlT_T0_E_clISt17integral_constantIbLb1EEST_IbLb0EEEEDaSP_SQ_EUlSP_E0_NS1_11comp_targetILNS1_3genE10ELNS1_11target_archE1200ELNS1_3gpuE4ELNS1_3repE0EEENS1_30default_config_static_selectorELNS0_4arch9wavefront6targetE1EEEvT1_
		.amdhsa_group_segment_fixed_size 0
		.amdhsa_private_segment_fixed_size 0
		.amdhsa_kernarg_size 32
		.amdhsa_user_sgpr_count 6
		.amdhsa_user_sgpr_private_segment_buffer 1
		.amdhsa_user_sgpr_dispatch_ptr 0
		.amdhsa_user_sgpr_queue_ptr 0
		.amdhsa_user_sgpr_kernarg_segment_ptr 1
		.amdhsa_user_sgpr_dispatch_id 0
		.amdhsa_user_sgpr_flat_scratch_init 0
		.amdhsa_user_sgpr_kernarg_preload_length 0
		.amdhsa_user_sgpr_kernarg_preload_offset 0
		.amdhsa_user_sgpr_private_segment_size 0
		.amdhsa_uses_dynamic_stack 0
		.amdhsa_system_sgpr_private_segment_wavefront_offset 0
		.amdhsa_system_sgpr_workgroup_id_x 1
		.amdhsa_system_sgpr_workgroup_id_y 0
		.amdhsa_system_sgpr_workgroup_id_z 0
		.amdhsa_system_sgpr_workgroup_info 0
		.amdhsa_system_vgpr_workitem_id 0
		.amdhsa_next_free_vgpr 1
		.amdhsa_next_free_sgpr 0
		.amdhsa_accum_offset 4
		.amdhsa_reserve_vcc 0
		.amdhsa_reserve_flat_scratch 0
		.amdhsa_float_round_mode_32 0
		.amdhsa_float_round_mode_16_64 0
		.amdhsa_float_denorm_mode_32 3
		.amdhsa_float_denorm_mode_16_64 3
		.amdhsa_dx10_clamp 1
		.amdhsa_ieee_mode 1
		.amdhsa_fp16_overflow 0
		.amdhsa_tg_split 0
		.amdhsa_exception_fp_ieee_invalid_op 0
		.amdhsa_exception_fp_denorm_src 0
		.amdhsa_exception_fp_ieee_div_zero 0
		.amdhsa_exception_fp_ieee_overflow 0
		.amdhsa_exception_fp_ieee_underflow 0
		.amdhsa_exception_fp_ieee_inexact 0
		.amdhsa_exception_int_div_zero 0
	.end_amdhsa_kernel
	.section	.text._ZN7rocprim17ROCPRIM_400000_NS6detail17trampoline_kernelINS0_14default_configENS1_20scan_config_selectorIjEEZZNS1_9scan_implILNS1_25lookback_scan_determinismE0ELb0ELb0ES3_N6thrust23THRUST_200600_302600_NS6detail15normal_iteratorINS9_10device_ptrIjEEEESE_jNS9_4plusIvEEjEEDaPvRmT3_T4_T5_mT6_P12ihipStream_tbENKUlT_T0_E_clISt17integral_constantIbLb1EEST_IbLb0EEEEDaSP_SQ_EUlSP_E0_NS1_11comp_targetILNS1_3genE10ELNS1_11target_archE1200ELNS1_3gpuE4ELNS1_3repE0EEENS1_30default_config_static_selectorELNS0_4arch9wavefront6targetE1EEEvT1_,"axG",@progbits,_ZN7rocprim17ROCPRIM_400000_NS6detail17trampoline_kernelINS0_14default_configENS1_20scan_config_selectorIjEEZZNS1_9scan_implILNS1_25lookback_scan_determinismE0ELb0ELb0ES3_N6thrust23THRUST_200600_302600_NS6detail15normal_iteratorINS9_10device_ptrIjEEEESE_jNS9_4plusIvEEjEEDaPvRmT3_T4_T5_mT6_P12ihipStream_tbENKUlT_T0_E_clISt17integral_constantIbLb1EEST_IbLb0EEEEDaSP_SQ_EUlSP_E0_NS1_11comp_targetILNS1_3genE10ELNS1_11target_archE1200ELNS1_3gpuE4ELNS1_3repE0EEENS1_30default_config_static_selectorELNS0_4arch9wavefront6targetE1EEEvT1_,comdat
.Lfunc_end4625:
	.size	_ZN7rocprim17ROCPRIM_400000_NS6detail17trampoline_kernelINS0_14default_configENS1_20scan_config_selectorIjEEZZNS1_9scan_implILNS1_25lookback_scan_determinismE0ELb0ELb0ES3_N6thrust23THRUST_200600_302600_NS6detail15normal_iteratorINS9_10device_ptrIjEEEESE_jNS9_4plusIvEEjEEDaPvRmT3_T4_T5_mT6_P12ihipStream_tbENKUlT_T0_E_clISt17integral_constantIbLb1EEST_IbLb0EEEEDaSP_SQ_EUlSP_E0_NS1_11comp_targetILNS1_3genE10ELNS1_11target_archE1200ELNS1_3gpuE4ELNS1_3repE0EEENS1_30default_config_static_selectorELNS0_4arch9wavefront6targetE1EEEvT1_, .Lfunc_end4625-_ZN7rocprim17ROCPRIM_400000_NS6detail17trampoline_kernelINS0_14default_configENS1_20scan_config_selectorIjEEZZNS1_9scan_implILNS1_25lookback_scan_determinismE0ELb0ELb0ES3_N6thrust23THRUST_200600_302600_NS6detail15normal_iteratorINS9_10device_ptrIjEEEESE_jNS9_4plusIvEEjEEDaPvRmT3_T4_T5_mT6_P12ihipStream_tbENKUlT_T0_E_clISt17integral_constantIbLb1EEST_IbLb0EEEEDaSP_SQ_EUlSP_E0_NS1_11comp_targetILNS1_3genE10ELNS1_11target_archE1200ELNS1_3gpuE4ELNS1_3repE0EEENS1_30default_config_static_selectorELNS0_4arch9wavefront6targetE1EEEvT1_
                                        ; -- End function
	.section	.AMDGPU.csdata,"",@progbits
; Kernel info:
; codeLenInByte = 0
; NumSgprs: 4
; NumVgprs: 0
; NumAgprs: 0
; TotalNumVgprs: 0
; ScratchSize: 0
; MemoryBound: 0
; FloatMode: 240
; IeeeMode: 1
; LDSByteSize: 0 bytes/workgroup (compile time only)
; SGPRBlocks: 0
; VGPRBlocks: 0
; NumSGPRsForWavesPerEU: 4
; NumVGPRsForWavesPerEU: 1
; AccumOffset: 4
; Occupancy: 8
; WaveLimiterHint : 0
; COMPUTE_PGM_RSRC2:SCRATCH_EN: 0
; COMPUTE_PGM_RSRC2:USER_SGPR: 6
; COMPUTE_PGM_RSRC2:TRAP_HANDLER: 0
; COMPUTE_PGM_RSRC2:TGID_X_EN: 1
; COMPUTE_PGM_RSRC2:TGID_Y_EN: 0
; COMPUTE_PGM_RSRC2:TGID_Z_EN: 0
; COMPUTE_PGM_RSRC2:TIDIG_COMP_CNT: 0
; COMPUTE_PGM_RSRC3_GFX90A:ACCUM_OFFSET: 0
; COMPUTE_PGM_RSRC3_GFX90A:TG_SPLIT: 0
	.section	.text._ZN7rocprim17ROCPRIM_400000_NS6detail17trampoline_kernelINS0_14default_configENS1_20scan_config_selectorIjEEZZNS1_9scan_implILNS1_25lookback_scan_determinismE0ELb0ELb0ES3_N6thrust23THRUST_200600_302600_NS6detail15normal_iteratorINS9_10device_ptrIjEEEESE_jNS9_4plusIvEEjEEDaPvRmT3_T4_T5_mT6_P12ihipStream_tbENKUlT_T0_E_clISt17integral_constantIbLb1EEST_IbLb0EEEEDaSP_SQ_EUlSP_E0_NS1_11comp_targetILNS1_3genE9ELNS1_11target_archE1100ELNS1_3gpuE3ELNS1_3repE0EEENS1_30default_config_static_selectorELNS0_4arch9wavefront6targetE1EEEvT1_,"axG",@progbits,_ZN7rocprim17ROCPRIM_400000_NS6detail17trampoline_kernelINS0_14default_configENS1_20scan_config_selectorIjEEZZNS1_9scan_implILNS1_25lookback_scan_determinismE0ELb0ELb0ES3_N6thrust23THRUST_200600_302600_NS6detail15normal_iteratorINS9_10device_ptrIjEEEESE_jNS9_4plusIvEEjEEDaPvRmT3_T4_T5_mT6_P12ihipStream_tbENKUlT_T0_E_clISt17integral_constantIbLb1EEST_IbLb0EEEEDaSP_SQ_EUlSP_E0_NS1_11comp_targetILNS1_3genE9ELNS1_11target_archE1100ELNS1_3gpuE3ELNS1_3repE0EEENS1_30default_config_static_selectorELNS0_4arch9wavefront6targetE1EEEvT1_,comdat
	.protected	_ZN7rocprim17ROCPRIM_400000_NS6detail17trampoline_kernelINS0_14default_configENS1_20scan_config_selectorIjEEZZNS1_9scan_implILNS1_25lookback_scan_determinismE0ELb0ELb0ES3_N6thrust23THRUST_200600_302600_NS6detail15normal_iteratorINS9_10device_ptrIjEEEESE_jNS9_4plusIvEEjEEDaPvRmT3_T4_T5_mT6_P12ihipStream_tbENKUlT_T0_E_clISt17integral_constantIbLb1EEST_IbLb0EEEEDaSP_SQ_EUlSP_E0_NS1_11comp_targetILNS1_3genE9ELNS1_11target_archE1100ELNS1_3gpuE3ELNS1_3repE0EEENS1_30default_config_static_selectorELNS0_4arch9wavefront6targetE1EEEvT1_ ; -- Begin function _ZN7rocprim17ROCPRIM_400000_NS6detail17trampoline_kernelINS0_14default_configENS1_20scan_config_selectorIjEEZZNS1_9scan_implILNS1_25lookback_scan_determinismE0ELb0ELb0ES3_N6thrust23THRUST_200600_302600_NS6detail15normal_iteratorINS9_10device_ptrIjEEEESE_jNS9_4plusIvEEjEEDaPvRmT3_T4_T5_mT6_P12ihipStream_tbENKUlT_T0_E_clISt17integral_constantIbLb1EEST_IbLb0EEEEDaSP_SQ_EUlSP_E0_NS1_11comp_targetILNS1_3genE9ELNS1_11target_archE1100ELNS1_3gpuE3ELNS1_3repE0EEENS1_30default_config_static_selectorELNS0_4arch9wavefront6targetE1EEEvT1_
	.globl	_ZN7rocprim17ROCPRIM_400000_NS6detail17trampoline_kernelINS0_14default_configENS1_20scan_config_selectorIjEEZZNS1_9scan_implILNS1_25lookback_scan_determinismE0ELb0ELb0ES3_N6thrust23THRUST_200600_302600_NS6detail15normal_iteratorINS9_10device_ptrIjEEEESE_jNS9_4plusIvEEjEEDaPvRmT3_T4_T5_mT6_P12ihipStream_tbENKUlT_T0_E_clISt17integral_constantIbLb1EEST_IbLb0EEEEDaSP_SQ_EUlSP_E0_NS1_11comp_targetILNS1_3genE9ELNS1_11target_archE1100ELNS1_3gpuE3ELNS1_3repE0EEENS1_30default_config_static_selectorELNS0_4arch9wavefront6targetE1EEEvT1_
	.p2align	8
	.type	_ZN7rocprim17ROCPRIM_400000_NS6detail17trampoline_kernelINS0_14default_configENS1_20scan_config_selectorIjEEZZNS1_9scan_implILNS1_25lookback_scan_determinismE0ELb0ELb0ES3_N6thrust23THRUST_200600_302600_NS6detail15normal_iteratorINS9_10device_ptrIjEEEESE_jNS9_4plusIvEEjEEDaPvRmT3_T4_T5_mT6_P12ihipStream_tbENKUlT_T0_E_clISt17integral_constantIbLb1EEST_IbLb0EEEEDaSP_SQ_EUlSP_E0_NS1_11comp_targetILNS1_3genE9ELNS1_11target_archE1100ELNS1_3gpuE3ELNS1_3repE0EEENS1_30default_config_static_selectorELNS0_4arch9wavefront6targetE1EEEvT1_,@function
_ZN7rocprim17ROCPRIM_400000_NS6detail17trampoline_kernelINS0_14default_configENS1_20scan_config_selectorIjEEZZNS1_9scan_implILNS1_25lookback_scan_determinismE0ELb0ELb0ES3_N6thrust23THRUST_200600_302600_NS6detail15normal_iteratorINS9_10device_ptrIjEEEESE_jNS9_4plusIvEEjEEDaPvRmT3_T4_T5_mT6_P12ihipStream_tbENKUlT_T0_E_clISt17integral_constantIbLb1EEST_IbLb0EEEEDaSP_SQ_EUlSP_E0_NS1_11comp_targetILNS1_3genE9ELNS1_11target_archE1100ELNS1_3gpuE3ELNS1_3repE0EEENS1_30default_config_static_selectorELNS0_4arch9wavefront6targetE1EEEvT1_: ; @_ZN7rocprim17ROCPRIM_400000_NS6detail17trampoline_kernelINS0_14default_configENS1_20scan_config_selectorIjEEZZNS1_9scan_implILNS1_25lookback_scan_determinismE0ELb0ELb0ES3_N6thrust23THRUST_200600_302600_NS6detail15normal_iteratorINS9_10device_ptrIjEEEESE_jNS9_4plusIvEEjEEDaPvRmT3_T4_T5_mT6_P12ihipStream_tbENKUlT_T0_E_clISt17integral_constantIbLb1EEST_IbLb0EEEEDaSP_SQ_EUlSP_E0_NS1_11comp_targetILNS1_3genE9ELNS1_11target_archE1100ELNS1_3gpuE3ELNS1_3repE0EEENS1_30default_config_static_selectorELNS0_4arch9wavefront6targetE1EEEvT1_
; %bb.0:
	.section	.rodata,"a",@progbits
	.p2align	6, 0x0
	.amdhsa_kernel _ZN7rocprim17ROCPRIM_400000_NS6detail17trampoline_kernelINS0_14default_configENS1_20scan_config_selectorIjEEZZNS1_9scan_implILNS1_25lookback_scan_determinismE0ELb0ELb0ES3_N6thrust23THRUST_200600_302600_NS6detail15normal_iteratorINS9_10device_ptrIjEEEESE_jNS9_4plusIvEEjEEDaPvRmT3_T4_T5_mT6_P12ihipStream_tbENKUlT_T0_E_clISt17integral_constantIbLb1EEST_IbLb0EEEEDaSP_SQ_EUlSP_E0_NS1_11comp_targetILNS1_3genE9ELNS1_11target_archE1100ELNS1_3gpuE3ELNS1_3repE0EEENS1_30default_config_static_selectorELNS0_4arch9wavefront6targetE1EEEvT1_
		.amdhsa_group_segment_fixed_size 0
		.amdhsa_private_segment_fixed_size 0
		.amdhsa_kernarg_size 32
		.amdhsa_user_sgpr_count 6
		.amdhsa_user_sgpr_private_segment_buffer 1
		.amdhsa_user_sgpr_dispatch_ptr 0
		.amdhsa_user_sgpr_queue_ptr 0
		.amdhsa_user_sgpr_kernarg_segment_ptr 1
		.amdhsa_user_sgpr_dispatch_id 0
		.amdhsa_user_sgpr_flat_scratch_init 0
		.amdhsa_user_sgpr_kernarg_preload_length 0
		.amdhsa_user_sgpr_kernarg_preload_offset 0
		.amdhsa_user_sgpr_private_segment_size 0
		.amdhsa_uses_dynamic_stack 0
		.amdhsa_system_sgpr_private_segment_wavefront_offset 0
		.amdhsa_system_sgpr_workgroup_id_x 1
		.amdhsa_system_sgpr_workgroup_id_y 0
		.amdhsa_system_sgpr_workgroup_id_z 0
		.amdhsa_system_sgpr_workgroup_info 0
		.amdhsa_system_vgpr_workitem_id 0
		.amdhsa_next_free_vgpr 1
		.amdhsa_next_free_sgpr 0
		.amdhsa_accum_offset 4
		.amdhsa_reserve_vcc 0
		.amdhsa_reserve_flat_scratch 0
		.amdhsa_float_round_mode_32 0
		.amdhsa_float_round_mode_16_64 0
		.amdhsa_float_denorm_mode_32 3
		.amdhsa_float_denorm_mode_16_64 3
		.amdhsa_dx10_clamp 1
		.amdhsa_ieee_mode 1
		.amdhsa_fp16_overflow 0
		.amdhsa_tg_split 0
		.amdhsa_exception_fp_ieee_invalid_op 0
		.amdhsa_exception_fp_denorm_src 0
		.amdhsa_exception_fp_ieee_div_zero 0
		.amdhsa_exception_fp_ieee_overflow 0
		.amdhsa_exception_fp_ieee_underflow 0
		.amdhsa_exception_fp_ieee_inexact 0
		.amdhsa_exception_int_div_zero 0
	.end_amdhsa_kernel
	.section	.text._ZN7rocprim17ROCPRIM_400000_NS6detail17trampoline_kernelINS0_14default_configENS1_20scan_config_selectorIjEEZZNS1_9scan_implILNS1_25lookback_scan_determinismE0ELb0ELb0ES3_N6thrust23THRUST_200600_302600_NS6detail15normal_iteratorINS9_10device_ptrIjEEEESE_jNS9_4plusIvEEjEEDaPvRmT3_T4_T5_mT6_P12ihipStream_tbENKUlT_T0_E_clISt17integral_constantIbLb1EEST_IbLb0EEEEDaSP_SQ_EUlSP_E0_NS1_11comp_targetILNS1_3genE9ELNS1_11target_archE1100ELNS1_3gpuE3ELNS1_3repE0EEENS1_30default_config_static_selectorELNS0_4arch9wavefront6targetE1EEEvT1_,"axG",@progbits,_ZN7rocprim17ROCPRIM_400000_NS6detail17trampoline_kernelINS0_14default_configENS1_20scan_config_selectorIjEEZZNS1_9scan_implILNS1_25lookback_scan_determinismE0ELb0ELb0ES3_N6thrust23THRUST_200600_302600_NS6detail15normal_iteratorINS9_10device_ptrIjEEEESE_jNS9_4plusIvEEjEEDaPvRmT3_T4_T5_mT6_P12ihipStream_tbENKUlT_T0_E_clISt17integral_constantIbLb1EEST_IbLb0EEEEDaSP_SQ_EUlSP_E0_NS1_11comp_targetILNS1_3genE9ELNS1_11target_archE1100ELNS1_3gpuE3ELNS1_3repE0EEENS1_30default_config_static_selectorELNS0_4arch9wavefront6targetE1EEEvT1_,comdat
.Lfunc_end4626:
	.size	_ZN7rocprim17ROCPRIM_400000_NS6detail17trampoline_kernelINS0_14default_configENS1_20scan_config_selectorIjEEZZNS1_9scan_implILNS1_25lookback_scan_determinismE0ELb0ELb0ES3_N6thrust23THRUST_200600_302600_NS6detail15normal_iteratorINS9_10device_ptrIjEEEESE_jNS9_4plusIvEEjEEDaPvRmT3_T4_T5_mT6_P12ihipStream_tbENKUlT_T0_E_clISt17integral_constantIbLb1EEST_IbLb0EEEEDaSP_SQ_EUlSP_E0_NS1_11comp_targetILNS1_3genE9ELNS1_11target_archE1100ELNS1_3gpuE3ELNS1_3repE0EEENS1_30default_config_static_selectorELNS0_4arch9wavefront6targetE1EEEvT1_, .Lfunc_end4626-_ZN7rocprim17ROCPRIM_400000_NS6detail17trampoline_kernelINS0_14default_configENS1_20scan_config_selectorIjEEZZNS1_9scan_implILNS1_25lookback_scan_determinismE0ELb0ELb0ES3_N6thrust23THRUST_200600_302600_NS6detail15normal_iteratorINS9_10device_ptrIjEEEESE_jNS9_4plusIvEEjEEDaPvRmT3_T4_T5_mT6_P12ihipStream_tbENKUlT_T0_E_clISt17integral_constantIbLb1EEST_IbLb0EEEEDaSP_SQ_EUlSP_E0_NS1_11comp_targetILNS1_3genE9ELNS1_11target_archE1100ELNS1_3gpuE3ELNS1_3repE0EEENS1_30default_config_static_selectorELNS0_4arch9wavefront6targetE1EEEvT1_
                                        ; -- End function
	.section	.AMDGPU.csdata,"",@progbits
; Kernel info:
; codeLenInByte = 0
; NumSgprs: 4
; NumVgprs: 0
; NumAgprs: 0
; TotalNumVgprs: 0
; ScratchSize: 0
; MemoryBound: 0
; FloatMode: 240
; IeeeMode: 1
; LDSByteSize: 0 bytes/workgroup (compile time only)
; SGPRBlocks: 0
; VGPRBlocks: 0
; NumSGPRsForWavesPerEU: 4
; NumVGPRsForWavesPerEU: 1
; AccumOffset: 4
; Occupancy: 8
; WaveLimiterHint : 0
; COMPUTE_PGM_RSRC2:SCRATCH_EN: 0
; COMPUTE_PGM_RSRC2:USER_SGPR: 6
; COMPUTE_PGM_RSRC2:TRAP_HANDLER: 0
; COMPUTE_PGM_RSRC2:TGID_X_EN: 1
; COMPUTE_PGM_RSRC2:TGID_Y_EN: 0
; COMPUTE_PGM_RSRC2:TGID_Z_EN: 0
; COMPUTE_PGM_RSRC2:TIDIG_COMP_CNT: 0
; COMPUTE_PGM_RSRC3_GFX90A:ACCUM_OFFSET: 0
; COMPUTE_PGM_RSRC3_GFX90A:TG_SPLIT: 0
	.section	.text._ZN7rocprim17ROCPRIM_400000_NS6detail17trampoline_kernelINS0_14default_configENS1_20scan_config_selectorIjEEZZNS1_9scan_implILNS1_25lookback_scan_determinismE0ELb0ELb0ES3_N6thrust23THRUST_200600_302600_NS6detail15normal_iteratorINS9_10device_ptrIjEEEESE_jNS9_4plusIvEEjEEDaPvRmT3_T4_T5_mT6_P12ihipStream_tbENKUlT_T0_E_clISt17integral_constantIbLb1EEST_IbLb0EEEEDaSP_SQ_EUlSP_E0_NS1_11comp_targetILNS1_3genE8ELNS1_11target_archE1030ELNS1_3gpuE2ELNS1_3repE0EEENS1_30default_config_static_selectorELNS0_4arch9wavefront6targetE1EEEvT1_,"axG",@progbits,_ZN7rocprim17ROCPRIM_400000_NS6detail17trampoline_kernelINS0_14default_configENS1_20scan_config_selectorIjEEZZNS1_9scan_implILNS1_25lookback_scan_determinismE0ELb0ELb0ES3_N6thrust23THRUST_200600_302600_NS6detail15normal_iteratorINS9_10device_ptrIjEEEESE_jNS9_4plusIvEEjEEDaPvRmT3_T4_T5_mT6_P12ihipStream_tbENKUlT_T0_E_clISt17integral_constantIbLb1EEST_IbLb0EEEEDaSP_SQ_EUlSP_E0_NS1_11comp_targetILNS1_3genE8ELNS1_11target_archE1030ELNS1_3gpuE2ELNS1_3repE0EEENS1_30default_config_static_selectorELNS0_4arch9wavefront6targetE1EEEvT1_,comdat
	.protected	_ZN7rocprim17ROCPRIM_400000_NS6detail17trampoline_kernelINS0_14default_configENS1_20scan_config_selectorIjEEZZNS1_9scan_implILNS1_25lookback_scan_determinismE0ELb0ELb0ES3_N6thrust23THRUST_200600_302600_NS6detail15normal_iteratorINS9_10device_ptrIjEEEESE_jNS9_4plusIvEEjEEDaPvRmT3_T4_T5_mT6_P12ihipStream_tbENKUlT_T0_E_clISt17integral_constantIbLb1EEST_IbLb0EEEEDaSP_SQ_EUlSP_E0_NS1_11comp_targetILNS1_3genE8ELNS1_11target_archE1030ELNS1_3gpuE2ELNS1_3repE0EEENS1_30default_config_static_selectorELNS0_4arch9wavefront6targetE1EEEvT1_ ; -- Begin function _ZN7rocprim17ROCPRIM_400000_NS6detail17trampoline_kernelINS0_14default_configENS1_20scan_config_selectorIjEEZZNS1_9scan_implILNS1_25lookback_scan_determinismE0ELb0ELb0ES3_N6thrust23THRUST_200600_302600_NS6detail15normal_iteratorINS9_10device_ptrIjEEEESE_jNS9_4plusIvEEjEEDaPvRmT3_T4_T5_mT6_P12ihipStream_tbENKUlT_T0_E_clISt17integral_constantIbLb1EEST_IbLb0EEEEDaSP_SQ_EUlSP_E0_NS1_11comp_targetILNS1_3genE8ELNS1_11target_archE1030ELNS1_3gpuE2ELNS1_3repE0EEENS1_30default_config_static_selectorELNS0_4arch9wavefront6targetE1EEEvT1_
	.globl	_ZN7rocprim17ROCPRIM_400000_NS6detail17trampoline_kernelINS0_14default_configENS1_20scan_config_selectorIjEEZZNS1_9scan_implILNS1_25lookback_scan_determinismE0ELb0ELb0ES3_N6thrust23THRUST_200600_302600_NS6detail15normal_iteratorINS9_10device_ptrIjEEEESE_jNS9_4plusIvEEjEEDaPvRmT3_T4_T5_mT6_P12ihipStream_tbENKUlT_T0_E_clISt17integral_constantIbLb1EEST_IbLb0EEEEDaSP_SQ_EUlSP_E0_NS1_11comp_targetILNS1_3genE8ELNS1_11target_archE1030ELNS1_3gpuE2ELNS1_3repE0EEENS1_30default_config_static_selectorELNS0_4arch9wavefront6targetE1EEEvT1_
	.p2align	8
	.type	_ZN7rocprim17ROCPRIM_400000_NS6detail17trampoline_kernelINS0_14default_configENS1_20scan_config_selectorIjEEZZNS1_9scan_implILNS1_25lookback_scan_determinismE0ELb0ELb0ES3_N6thrust23THRUST_200600_302600_NS6detail15normal_iteratorINS9_10device_ptrIjEEEESE_jNS9_4plusIvEEjEEDaPvRmT3_T4_T5_mT6_P12ihipStream_tbENKUlT_T0_E_clISt17integral_constantIbLb1EEST_IbLb0EEEEDaSP_SQ_EUlSP_E0_NS1_11comp_targetILNS1_3genE8ELNS1_11target_archE1030ELNS1_3gpuE2ELNS1_3repE0EEENS1_30default_config_static_selectorELNS0_4arch9wavefront6targetE1EEEvT1_,@function
_ZN7rocprim17ROCPRIM_400000_NS6detail17trampoline_kernelINS0_14default_configENS1_20scan_config_selectorIjEEZZNS1_9scan_implILNS1_25lookback_scan_determinismE0ELb0ELb0ES3_N6thrust23THRUST_200600_302600_NS6detail15normal_iteratorINS9_10device_ptrIjEEEESE_jNS9_4plusIvEEjEEDaPvRmT3_T4_T5_mT6_P12ihipStream_tbENKUlT_T0_E_clISt17integral_constantIbLb1EEST_IbLb0EEEEDaSP_SQ_EUlSP_E0_NS1_11comp_targetILNS1_3genE8ELNS1_11target_archE1030ELNS1_3gpuE2ELNS1_3repE0EEENS1_30default_config_static_selectorELNS0_4arch9wavefront6targetE1EEEvT1_: ; @_ZN7rocprim17ROCPRIM_400000_NS6detail17trampoline_kernelINS0_14default_configENS1_20scan_config_selectorIjEEZZNS1_9scan_implILNS1_25lookback_scan_determinismE0ELb0ELb0ES3_N6thrust23THRUST_200600_302600_NS6detail15normal_iteratorINS9_10device_ptrIjEEEESE_jNS9_4plusIvEEjEEDaPvRmT3_T4_T5_mT6_P12ihipStream_tbENKUlT_T0_E_clISt17integral_constantIbLb1EEST_IbLb0EEEEDaSP_SQ_EUlSP_E0_NS1_11comp_targetILNS1_3genE8ELNS1_11target_archE1030ELNS1_3gpuE2ELNS1_3repE0EEENS1_30default_config_static_selectorELNS0_4arch9wavefront6targetE1EEEvT1_
; %bb.0:
	.section	.rodata,"a",@progbits
	.p2align	6, 0x0
	.amdhsa_kernel _ZN7rocprim17ROCPRIM_400000_NS6detail17trampoline_kernelINS0_14default_configENS1_20scan_config_selectorIjEEZZNS1_9scan_implILNS1_25lookback_scan_determinismE0ELb0ELb0ES3_N6thrust23THRUST_200600_302600_NS6detail15normal_iteratorINS9_10device_ptrIjEEEESE_jNS9_4plusIvEEjEEDaPvRmT3_T4_T5_mT6_P12ihipStream_tbENKUlT_T0_E_clISt17integral_constantIbLb1EEST_IbLb0EEEEDaSP_SQ_EUlSP_E0_NS1_11comp_targetILNS1_3genE8ELNS1_11target_archE1030ELNS1_3gpuE2ELNS1_3repE0EEENS1_30default_config_static_selectorELNS0_4arch9wavefront6targetE1EEEvT1_
		.amdhsa_group_segment_fixed_size 0
		.amdhsa_private_segment_fixed_size 0
		.amdhsa_kernarg_size 32
		.amdhsa_user_sgpr_count 6
		.amdhsa_user_sgpr_private_segment_buffer 1
		.amdhsa_user_sgpr_dispatch_ptr 0
		.amdhsa_user_sgpr_queue_ptr 0
		.amdhsa_user_sgpr_kernarg_segment_ptr 1
		.amdhsa_user_sgpr_dispatch_id 0
		.amdhsa_user_sgpr_flat_scratch_init 0
		.amdhsa_user_sgpr_kernarg_preload_length 0
		.amdhsa_user_sgpr_kernarg_preload_offset 0
		.amdhsa_user_sgpr_private_segment_size 0
		.amdhsa_uses_dynamic_stack 0
		.amdhsa_system_sgpr_private_segment_wavefront_offset 0
		.amdhsa_system_sgpr_workgroup_id_x 1
		.amdhsa_system_sgpr_workgroup_id_y 0
		.amdhsa_system_sgpr_workgroup_id_z 0
		.amdhsa_system_sgpr_workgroup_info 0
		.amdhsa_system_vgpr_workitem_id 0
		.amdhsa_next_free_vgpr 1
		.amdhsa_next_free_sgpr 0
		.amdhsa_accum_offset 4
		.amdhsa_reserve_vcc 0
		.amdhsa_reserve_flat_scratch 0
		.amdhsa_float_round_mode_32 0
		.amdhsa_float_round_mode_16_64 0
		.amdhsa_float_denorm_mode_32 3
		.amdhsa_float_denorm_mode_16_64 3
		.amdhsa_dx10_clamp 1
		.amdhsa_ieee_mode 1
		.amdhsa_fp16_overflow 0
		.amdhsa_tg_split 0
		.amdhsa_exception_fp_ieee_invalid_op 0
		.amdhsa_exception_fp_denorm_src 0
		.amdhsa_exception_fp_ieee_div_zero 0
		.amdhsa_exception_fp_ieee_overflow 0
		.amdhsa_exception_fp_ieee_underflow 0
		.amdhsa_exception_fp_ieee_inexact 0
		.amdhsa_exception_int_div_zero 0
	.end_amdhsa_kernel
	.section	.text._ZN7rocprim17ROCPRIM_400000_NS6detail17trampoline_kernelINS0_14default_configENS1_20scan_config_selectorIjEEZZNS1_9scan_implILNS1_25lookback_scan_determinismE0ELb0ELb0ES3_N6thrust23THRUST_200600_302600_NS6detail15normal_iteratorINS9_10device_ptrIjEEEESE_jNS9_4plusIvEEjEEDaPvRmT3_T4_T5_mT6_P12ihipStream_tbENKUlT_T0_E_clISt17integral_constantIbLb1EEST_IbLb0EEEEDaSP_SQ_EUlSP_E0_NS1_11comp_targetILNS1_3genE8ELNS1_11target_archE1030ELNS1_3gpuE2ELNS1_3repE0EEENS1_30default_config_static_selectorELNS0_4arch9wavefront6targetE1EEEvT1_,"axG",@progbits,_ZN7rocprim17ROCPRIM_400000_NS6detail17trampoline_kernelINS0_14default_configENS1_20scan_config_selectorIjEEZZNS1_9scan_implILNS1_25lookback_scan_determinismE0ELb0ELb0ES3_N6thrust23THRUST_200600_302600_NS6detail15normal_iteratorINS9_10device_ptrIjEEEESE_jNS9_4plusIvEEjEEDaPvRmT3_T4_T5_mT6_P12ihipStream_tbENKUlT_T0_E_clISt17integral_constantIbLb1EEST_IbLb0EEEEDaSP_SQ_EUlSP_E0_NS1_11comp_targetILNS1_3genE8ELNS1_11target_archE1030ELNS1_3gpuE2ELNS1_3repE0EEENS1_30default_config_static_selectorELNS0_4arch9wavefront6targetE1EEEvT1_,comdat
.Lfunc_end4627:
	.size	_ZN7rocprim17ROCPRIM_400000_NS6detail17trampoline_kernelINS0_14default_configENS1_20scan_config_selectorIjEEZZNS1_9scan_implILNS1_25lookback_scan_determinismE0ELb0ELb0ES3_N6thrust23THRUST_200600_302600_NS6detail15normal_iteratorINS9_10device_ptrIjEEEESE_jNS9_4plusIvEEjEEDaPvRmT3_T4_T5_mT6_P12ihipStream_tbENKUlT_T0_E_clISt17integral_constantIbLb1EEST_IbLb0EEEEDaSP_SQ_EUlSP_E0_NS1_11comp_targetILNS1_3genE8ELNS1_11target_archE1030ELNS1_3gpuE2ELNS1_3repE0EEENS1_30default_config_static_selectorELNS0_4arch9wavefront6targetE1EEEvT1_, .Lfunc_end4627-_ZN7rocprim17ROCPRIM_400000_NS6detail17trampoline_kernelINS0_14default_configENS1_20scan_config_selectorIjEEZZNS1_9scan_implILNS1_25lookback_scan_determinismE0ELb0ELb0ES3_N6thrust23THRUST_200600_302600_NS6detail15normal_iteratorINS9_10device_ptrIjEEEESE_jNS9_4plusIvEEjEEDaPvRmT3_T4_T5_mT6_P12ihipStream_tbENKUlT_T0_E_clISt17integral_constantIbLb1EEST_IbLb0EEEEDaSP_SQ_EUlSP_E0_NS1_11comp_targetILNS1_3genE8ELNS1_11target_archE1030ELNS1_3gpuE2ELNS1_3repE0EEENS1_30default_config_static_selectorELNS0_4arch9wavefront6targetE1EEEvT1_
                                        ; -- End function
	.section	.AMDGPU.csdata,"",@progbits
; Kernel info:
; codeLenInByte = 0
; NumSgprs: 4
; NumVgprs: 0
; NumAgprs: 0
; TotalNumVgprs: 0
; ScratchSize: 0
; MemoryBound: 0
; FloatMode: 240
; IeeeMode: 1
; LDSByteSize: 0 bytes/workgroup (compile time only)
; SGPRBlocks: 0
; VGPRBlocks: 0
; NumSGPRsForWavesPerEU: 4
; NumVGPRsForWavesPerEU: 1
; AccumOffset: 4
; Occupancy: 8
; WaveLimiterHint : 0
; COMPUTE_PGM_RSRC2:SCRATCH_EN: 0
; COMPUTE_PGM_RSRC2:USER_SGPR: 6
; COMPUTE_PGM_RSRC2:TRAP_HANDLER: 0
; COMPUTE_PGM_RSRC2:TGID_X_EN: 1
; COMPUTE_PGM_RSRC2:TGID_Y_EN: 0
; COMPUTE_PGM_RSRC2:TGID_Z_EN: 0
; COMPUTE_PGM_RSRC2:TIDIG_COMP_CNT: 0
; COMPUTE_PGM_RSRC3_GFX90A:ACCUM_OFFSET: 0
; COMPUTE_PGM_RSRC3_GFX90A:TG_SPLIT: 0
	.section	.text._ZN7rocprim17ROCPRIM_400000_NS6detail17trampoline_kernelINS0_14default_configENS1_20scan_config_selectorIjEEZZNS1_9scan_implILNS1_25lookback_scan_determinismE0ELb0ELb0ES3_N6thrust23THRUST_200600_302600_NS6detail15normal_iteratorINS9_10device_ptrIjEEEESE_jNS9_4plusIvEEjEEDaPvRmT3_T4_T5_mT6_P12ihipStream_tbENKUlT_T0_E_clISt17integral_constantIbLb0EEST_IbLb1EEEEDaSP_SQ_EUlSP_E_NS1_11comp_targetILNS1_3genE0ELNS1_11target_archE4294967295ELNS1_3gpuE0ELNS1_3repE0EEENS1_30default_config_static_selectorELNS0_4arch9wavefront6targetE1EEEvT1_,"axG",@progbits,_ZN7rocprim17ROCPRIM_400000_NS6detail17trampoline_kernelINS0_14default_configENS1_20scan_config_selectorIjEEZZNS1_9scan_implILNS1_25lookback_scan_determinismE0ELb0ELb0ES3_N6thrust23THRUST_200600_302600_NS6detail15normal_iteratorINS9_10device_ptrIjEEEESE_jNS9_4plusIvEEjEEDaPvRmT3_T4_T5_mT6_P12ihipStream_tbENKUlT_T0_E_clISt17integral_constantIbLb0EEST_IbLb1EEEEDaSP_SQ_EUlSP_E_NS1_11comp_targetILNS1_3genE0ELNS1_11target_archE4294967295ELNS1_3gpuE0ELNS1_3repE0EEENS1_30default_config_static_selectorELNS0_4arch9wavefront6targetE1EEEvT1_,comdat
	.protected	_ZN7rocprim17ROCPRIM_400000_NS6detail17trampoline_kernelINS0_14default_configENS1_20scan_config_selectorIjEEZZNS1_9scan_implILNS1_25lookback_scan_determinismE0ELb0ELb0ES3_N6thrust23THRUST_200600_302600_NS6detail15normal_iteratorINS9_10device_ptrIjEEEESE_jNS9_4plusIvEEjEEDaPvRmT3_T4_T5_mT6_P12ihipStream_tbENKUlT_T0_E_clISt17integral_constantIbLb0EEST_IbLb1EEEEDaSP_SQ_EUlSP_E_NS1_11comp_targetILNS1_3genE0ELNS1_11target_archE4294967295ELNS1_3gpuE0ELNS1_3repE0EEENS1_30default_config_static_selectorELNS0_4arch9wavefront6targetE1EEEvT1_ ; -- Begin function _ZN7rocprim17ROCPRIM_400000_NS6detail17trampoline_kernelINS0_14default_configENS1_20scan_config_selectorIjEEZZNS1_9scan_implILNS1_25lookback_scan_determinismE0ELb0ELb0ES3_N6thrust23THRUST_200600_302600_NS6detail15normal_iteratorINS9_10device_ptrIjEEEESE_jNS9_4plusIvEEjEEDaPvRmT3_T4_T5_mT6_P12ihipStream_tbENKUlT_T0_E_clISt17integral_constantIbLb0EEST_IbLb1EEEEDaSP_SQ_EUlSP_E_NS1_11comp_targetILNS1_3genE0ELNS1_11target_archE4294967295ELNS1_3gpuE0ELNS1_3repE0EEENS1_30default_config_static_selectorELNS0_4arch9wavefront6targetE1EEEvT1_
	.globl	_ZN7rocprim17ROCPRIM_400000_NS6detail17trampoline_kernelINS0_14default_configENS1_20scan_config_selectorIjEEZZNS1_9scan_implILNS1_25lookback_scan_determinismE0ELb0ELb0ES3_N6thrust23THRUST_200600_302600_NS6detail15normal_iteratorINS9_10device_ptrIjEEEESE_jNS9_4plusIvEEjEEDaPvRmT3_T4_T5_mT6_P12ihipStream_tbENKUlT_T0_E_clISt17integral_constantIbLb0EEST_IbLb1EEEEDaSP_SQ_EUlSP_E_NS1_11comp_targetILNS1_3genE0ELNS1_11target_archE4294967295ELNS1_3gpuE0ELNS1_3repE0EEENS1_30default_config_static_selectorELNS0_4arch9wavefront6targetE1EEEvT1_
	.p2align	8
	.type	_ZN7rocprim17ROCPRIM_400000_NS6detail17trampoline_kernelINS0_14default_configENS1_20scan_config_selectorIjEEZZNS1_9scan_implILNS1_25lookback_scan_determinismE0ELb0ELb0ES3_N6thrust23THRUST_200600_302600_NS6detail15normal_iteratorINS9_10device_ptrIjEEEESE_jNS9_4plusIvEEjEEDaPvRmT3_T4_T5_mT6_P12ihipStream_tbENKUlT_T0_E_clISt17integral_constantIbLb0EEST_IbLb1EEEEDaSP_SQ_EUlSP_E_NS1_11comp_targetILNS1_3genE0ELNS1_11target_archE4294967295ELNS1_3gpuE0ELNS1_3repE0EEENS1_30default_config_static_selectorELNS0_4arch9wavefront6targetE1EEEvT1_,@function
_ZN7rocprim17ROCPRIM_400000_NS6detail17trampoline_kernelINS0_14default_configENS1_20scan_config_selectorIjEEZZNS1_9scan_implILNS1_25lookback_scan_determinismE0ELb0ELb0ES3_N6thrust23THRUST_200600_302600_NS6detail15normal_iteratorINS9_10device_ptrIjEEEESE_jNS9_4plusIvEEjEEDaPvRmT3_T4_T5_mT6_P12ihipStream_tbENKUlT_T0_E_clISt17integral_constantIbLb0EEST_IbLb1EEEEDaSP_SQ_EUlSP_E_NS1_11comp_targetILNS1_3genE0ELNS1_11target_archE4294967295ELNS1_3gpuE0ELNS1_3repE0EEENS1_30default_config_static_selectorELNS0_4arch9wavefront6targetE1EEEvT1_: ; @_ZN7rocprim17ROCPRIM_400000_NS6detail17trampoline_kernelINS0_14default_configENS1_20scan_config_selectorIjEEZZNS1_9scan_implILNS1_25lookback_scan_determinismE0ELb0ELb0ES3_N6thrust23THRUST_200600_302600_NS6detail15normal_iteratorINS9_10device_ptrIjEEEESE_jNS9_4plusIvEEjEEDaPvRmT3_T4_T5_mT6_P12ihipStream_tbENKUlT_T0_E_clISt17integral_constantIbLb0EEST_IbLb1EEEEDaSP_SQ_EUlSP_E_NS1_11comp_targetILNS1_3genE0ELNS1_11target_archE4294967295ELNS1_3gpuE0ELNS1_3repE0EEENS1_30default_config_static_selectorELNS0_4arch9wavefront6targetE1EEEvT1_
; %bb.0:
	.section	.rodata,"a",@progbits
	.p2align	6, 0x0
	.amdhsa_kernel _ZN7rocprim17ROCPRIM_400000_NS6detail17trampoline_kernelINS0_14default_configENS1_20scan_config_selectorIjEEZZNS1_9scan_implILNS1_25lookback_scan_determinismE0ELb0ELb0ES3_N6thrust23THRUST_200600_302600_NS6detail15normal_iteratorINS9_10device_ptrIjEEEESE_jNS9_4plusIvEEjEEDaPvRmT3_T4_T5_mT6_P12ihipStream_tbENKUlT_T0_E_clISt17integral_constantIbLb0EEST_IbLb1EEEEDaSP_SQ_EUlSP_E_NS1_11comp_targetILNS1_3genE0ELNS1_11target_archE4294967295ELNS1_3gpuE0ELNS1_3repE0EEENS1_30default_config_static_selectorELNS0_4arch9wavefront6targetE1EEEvT1_
		.amdhsa_group_segment_fixed_size 0
		.amdhsa_private_segment_fixed_size 0
		.amdhsa_kernarg_size 96
		.amdhsa_user_sgpr_count 6
		.amdhsa_user_sgpr_private_segment_buffer 1
		.amdhsa_user_sgpr_dispatch_ptr 0
		.amdhsa_user_sgpr_queue_ptr 0
		.amdhsa_user_sgpr_kernarg_segment_ptr 1
		.amdhsa_user_sgpr_dispatch_id 0
		.amdhsa_user_sgpr_flat_scratch_init 0
		.amdhsa_user_sgpr_kernarg_preload_length 0
		.amdhsa_user_sgpr_kernarg_preload_offset 0
		.amdhsa_user_sgpr_private_segment_size 0
		.amdhsa_uses_dynamic_stack 0
		.amdhsa_system_sgpr_private_segment_wavefront_offset 0
		.amdhsa_system_sgpr_workgroup_id_x 1
		.amdhsa_system_sgpr_workgroup_id_y 0
		.amdhsa_system_sgpr_workgroup_id_z 0
		.amdhsa_system_sgpr_workgroup_info 0
		.amdhsa_system_vgpr_workitem_id 0
		.amdhsa_next_free_vgpr 1
		.amdhsa_next_free_sgpr 0
		.amdhsa_accum_offset 4
		.amdhsa_reserve_vcc 0
		.amdhsa_reserve_flat_scratch 0
		.amdhsa_float_round_mode_32 0
		.amdhsa_float_round_mode_16_64 0
		.amdhsa_float_denorm_mode_32 3
		.amdhsa_float_denorm_mode_16_64 3
		.amdhsa_dx10_clamp 1
		.amdhsa_ieee_mode 1
		.amdhsa_fp16_overflow 0
		.amdhsa_tg_split 0
		.amdhsa_exception_fp_ieee_invalid_op 0
		.amdhsa_exception_fp_denorm_src 0
		.amdhsa_exception_fp_ieee_div_zero 0
		.amdhsa_exception_fp_ieee_overflow 0
		.amdhsa_exception_fp_ieee_underflow 0
		.amdhsa_exception_fp_ieee_inexact 0
		.amdhsa_exception_int_div_zero 0
	.end_amdhsa_kernel
	.section	.text._ZN7rocprim17ROCPRIM_400000_NS6detail17trampoline_kernelINS0_14default_configENS1_20scan_config_selectorIjEEZZNS1_9scan_implILNS1_25lookback_scan_determinismE0ELb0ELb0ES3_N6thrust23THRUST_200600_302600_NS6detail15normal_iteratorINS9_10device_ptrIjEEEESE_jNS9_4plusIvEEjEEDaPvRmT3_T4_T5_mT6_P12ihipStream_tbENKUlT_T0_E_clISt17integral_constantIbLb0EEST_IbLb1EEEEDaSP_SQ_EUlSP_E_NS1_11comp_targetILNS1_3genE0ELNS1_11target_archE4294967295ELNS1_3gpuE0ELNS1_3repE0EEENS1_30default_config_static_selectorELNS0_4arch9wavefront6targetE1EEEvT1_,"axG",@progbits,_ZN7rocprim17ROCPRIM_400000_NS6detail17trampoline_kernelINS0_14default_configENS1_20scan_config_selectorIjEEZZNS1_9scan_implILNS1_25lookback_scan_determinismE0ELb0ELb0ES3_N6thrust23THRUST_200600_302600_NS6detail15normal_iteratorINS9_10device_ptrIjEEEESE_jNS9_4plusIvEEjEEDaPvRmT3_T4_T5_mT6_P12ihipStream_tbENKUlT_T0_E_clISt17integral_constantIbLb0EEST_IbLb1EEEEDaSP_SQ_EUlSP_E_NS1_11comp_targetILNS1_3genE0ELNS1_11target_archE4294967295ELNS1_3gpuE0ELNS1_3repE0EEENS1_30default_config_static_selectorELNS0_4arch9wavefront6targetE1EEEvT1_,comdat
.Lfunc_end4628:
	.size	_ZN7rocprim17ROCPRIM_400000_NS6detail17trampoline_kernelINS0_14default_configENS1_20scan_config_selectorIjEEZZNS1_9scan_implILNS1_25lookback_scan_determinismE0ELb0ELb0ES3_N6thrust23THRUST_200600_302600_NS6detail15normal_iteratorINS9_10device_ptrIjEEEESE_jNS9_4plusIvEEjEEDaPvRmT3_T4_T5_mT6_P12ihipStream_tbENKUlT_T0_E_clISt17integral_constantIbLb0EEST_IbLb1EEEEDaSP_SQ_EUlSP_E_NS1_11comp_targetILNS1_3genE0ELNS1_11target_archE4294967295ELNS1_3gpuE0ELNS1_3repE0EEENS1_30default_config_static_selectorELNS0_4arch9wavefront6targetE1EEEvT1_, .Lfunc_end4628-_ZN7rocprim17ROCPRIM_400000_NS6detail17trampoline_kernelINS0_14default_configENS1_20scan_config_selectorIjEEZZNS1_9scan_implILNS1_25lookback_scan_determinismE0ELb0ELb0ES3_N6thrust23THRUST_200600_302600_NS6detail15normal_iteratorINS9_10device_ptrIjEEEESE_jNS9_4plusIvEEjEEDaPvRmT3_T4_T5_mT6_P12ihipStream_tbENKUlT_T0_E_clISt17integral_constantIbLb0EEST_IbLb1EEEEDaSP_SQ_EUlSP_E_NS1_11comp_targetILNS1_3genE0ELNS1_11target_archE4294967295ELNS1_3gpuE0ELNS1_3repE0EEENS1_30default_config_static_selectorELNS0_4arch9wavefront6targetE1EEEvT1_
                                        ; -- End function
	.section	.AMDGPU.csdata,"",@progbits
; Kernel info:
; codeLenInByte = 0
; NumSgprs: 4
; NumVgprs: 0
; NumAgprs: 0
; TotalNumVgprs: 0
; ScratchSize: 0
; MemoryBound: 0
; FloatMode: 240
; IeeeMode: 1
; LDSByteSize: 0 bytes/workgroup (compile time only)
; SGPRBlocks: 0
; VGPRBlocks: 0
; NumSGPRsForWavesPerEU: 4
; NumVGPRsForWavesPerEU: 1
; AccumOffset: 4
; Occupancy: 8
; WaveLimiterHint : 0
; COMPUTE_PGM_RSRC2:SCRATCH_EN: 0
; COMPUTE_PGM_RSRC2:USER_SGPR: 6
; COMPUTE_PGM_RSRC2:TRAP_HANDLER: 0
; COMPUTE_PGM_RSRC2:TGID_X_EN: 1
; COMPUTE_PGM_RSRC2:TGID_Y_EN: 0
; COMPUTE_PGM_RSRC2:TGID_Z_EN: 0
; COMPUTE_PGM_RSRC2:TIDIG_COMP_CNT: 0
; COMPUTE_PGM_RSRC3_GFX90A:ACCUM_OFFSET: 0
; COMPUTE_PGM_RSRC3_GFX90A:TG_SPLIT: 0
	.section	.text._ZN7rocprim17ROCPRIM_400000_NS6detail17trampoline_kernelINS0_14default_configENS1_20scan_config_selectorIjEEZZNS1_9scan_implILNS1_25lookback_scan_determinismE0ELb0ELb0ES3_N6thrust23THRUST_200600_302600_NS6detail15normal_iteratorINS9_10device_ptrIjEEEESE_jNS9_4plusIvEEjEEDaPvRmT3_T4_T5_mT6_P12ihipStream_tbENKUlT_T0_E_clISt17integral_constantIbLb0EEST_IbLb1EEEEDaSP_SQ_EUlSP_E_NS1_11comp_targetILNS1_3genE5ELNS1_11target_archE942ELNS1_3gpuE9ELNS1_3repE0EEENS1_30default_config_static_selectorELNS0_4arch9wavefront6targetE1EEEvT1_,"axG",@progbits,_ZN7rocprim17ROCPRIM_400000_NS6detail17trampoline_kernelINS0_14default_configENS1_20scan_config_selectorIjEEZZNS1_9scan_implILNS1_25lookback_scan_determinismE0ELb0ELb0ES3_N6thrust23THRUST_200600_302600_NS6detail15normal_iteratorINS9_10device_ptrIjEEEESE_jNS9_4plusIvEEjEEDaPvRmT3_T4_T5_mT6_P12ihipStream_tbENKUlT_T0_E_clISt17integral_constantIbLb0EEST_IbLb1EEEEDaSP_SQ_EUlSP_E_NS1_11comp_targetILNS1_3genE5ELNS1_11target_archE942ELNS1_3gpuE9ELNS1_3repE0EEENS1_30default_config_static_selectorELNS0_4arch9wavefront6targetE1EEEvT1_,comdat
	.protected	_ZN7rocprim17ROCPRIM_400000_NS6detail17trampoline_kernelINS0_14default_configENS1_20scan_config_selectorIjEEZZNS1_9scan_implILNS1_25lookback_scan_determinismE0ELb0ELb0ES3_N6thrust23THRUST_200600_302600_NS6detail15normal_iteratorINS9_10device_ptrIjEEEESE_jNS9_4plusIvEEjEEDaPvRmT3_T4_T5_mT6_P12ihipStream_tbENKUlT_T0_E_clISt17integral_constantIbLb0EEST_IbLb1EEEEDaSP_SQ_EUlSP_E_NS1_11comp_targetILNS1_3genE5ELNS1_11target_archE942ELNS1_3gpuE9ELNS1_3repE0EEENS1_30default_config_static_selectorELNS0_4arch9wavefront6targetE1EEEvT1_ ; -- Begin function _ZN7rocprim17ROCPRIM_400000_NS6detail17trampoline_kernelINS0_14default_configENS1_20scan_config_selectorIjEEZZNS1_9scan_implILNS1_25lookback_scan_determinismE0ELb0ELb0ES3_N6thrust23THRUST_200600_302600_NS6detail15normal_iteratorINS9_10device_ptrIjEEEESE_jNS9_4plusIvEEjEEDaPvRmT3_T4_T5_mT6_P12ihipStream_tbENKUlT_T0_E_clISt17integral_constantIbLb0EEST_IbLb1EEEEDaSP_SQ_EUlSP_E_NS1_11comp_targetILNS1_3genE5ELNS1_11target_archE942ELNS1_3gpuE9ELNS1_3repE0EEENS1_30default_config_static_selectorELNS0_4arch9wavefront6targetE1EEEvT1_
	.globl	_ZN7rocprim17ROCPRIM_400000_NS6detail17trampoline_kernelINS0_14default_configENS1_20scan_config_selectorIjEEZZNS1_9scan_implILNS1_25lookback_scan_determinismE0ELb0ELb0ES3_N6thrust23THRUST_200600_302600_NS6detail15normal_iteratorINS9_10device_ptrIjEEEESE_jNS9_4plusIvEEjEEDaPvRmT3_T4_T5_mT6_P12ihipStream_tbENKUlT_T0_E_clISt17integral_constantIbLb0EEST_IbLb1EEEEDaSP_SQ_EUlSP_E_NS1_11comp_targetILNS1_3genE5ELNS1_11target_archE942ELNS1_3gpuE9ELNS1_3repE0EEENS1_30default_config_static_selectorELNS0_4arch9wavefront6targetE1EEEvT1_
	.p2align	8
	.type	_ZN7rocprim17ROCPRIM_400000_NS6detail17trampoline_kernelINS0_14default_configENS1_20scan_config_selectorIjEEZZNS1_9scan_implILNS1_25lookback_scan_determinismE0ELb0ELb0ES3_N6thrust23THRUST_200600_302600_NS6detail15normal_iteratorINS9_10device_ptrIjEEEESE_jNS9_4plusIvEEjEEDaPvRmT3_T4_T5_mT6_P12ihipStream_tbENKUlT_T0_E_clISt17integral_constantIbLb0EEST_IbLb1EEEEDaSP_SQ_EUlSP_E_NS1_11comp_targetILNS1_3genE5ELNS1_11target_archE942ELNS1_3gpuE9ELNS1_3repE0EEENS1_30default_config_static_selectorELNS0_4arch9wavefront6targetE1EEEvT1_,@function
_ZN7rocprim17ROCPRIM_400000_NS6detail17trampoline_kernelINS0_14default_configENS1_20scan_config_selectorIjEEZZNS1_9scan_implILNS1_25lookback_scan_determinismE0ELb0ELb0ES3_N6thrust23THRUST_200600_302600_NS6detail15normal_iteratorINS9_10device_ptrIjEEEESE_jNS9_4plusIvEEjEEDaPvRmT3_T4_T5_mT6_P12ihipStream_tbENKUlT_T0_E_clISt17integral_constantIbLb0EEST_IbLb1EEEEDaSP_SQ_EUlSP_E_NS1_11comp_targetILNS1_3genE5ELNS1_11target_archE942ELNS1_3gpuE9ELNS1_3repE0EEENS1_30default_config_static_selectorELNS0_4arch9wavefront6targetE1EEEvT1_: ; @_ZN7rocprim17ROCPRIM_400000_NS6detail17trampoline_kernelINS0_14default_configENS1_20scan_config_selectorIjEEZZNS1_9scan_implILNS1_25lookback_scan_determinismE0ELb0ELb0ES3_N6thrust23THRUST_200600_302600_NS6detail15normal_iteratorINS9_10device_ptrIjEEEESE_jNS9_4plusIvEEjEEDaPvRmT3_T4_T5_mT6_P12ihipStream_tbENKUlT_T0_E_clISt17integral_constantIbLb0EEST_IbLb1EEEEDaSP_SQ_EUlSP_E_NS1_11comp_targetILNS1_3genE5ELNS1_11target_archE942ELNS1_3gpuE9ELNS1_3repE0EEENS1_30default_config_static_selectorELNS0_4arch9wavefront6targetE1EEEvT1_
; %bb.0:
	.section	.rodata,"a",@progbits
	.p2align	6, 0x0
	.amdhsa_kernel _ZN7rocprim17ROCPRIM_400000_NS6detail17trampoline_kernelINS0_14default_configENS1_20scan_config_selectorIjEEZZNS1_9scan_implILNS1_25lookback_scan_determinismE0ELb0ELb0ES3_N6thrust23THRUST_200600_302600_NS6detail15normal_iteratorINS9_10device_ptrIjEEEESE_jNS9_4plusIvEEjEEDaPvRmT3_T4_T5_mT6_P12ihipStream_tbENKUlT_T0_E_clISt17integral_constantIbLb0EEST_IbLb1EEEEDaSP_SQ_EUlSP_E_NS1_11comp_targetILNS1_3genE5ELNS1_11target_archE942ELNS1_3gpuE9ELNS1_3repE0EEENS1_30default_config_static_selectorELNS0_4arch9wavefront6targetE1EEEvT1_
		.amdhsa_group_segment_fixed_size 0
		.amdhsa_private_segment_fixed_size 0
		.amdhsa_kernarg_size 96
		.amdhsa_user_sgpr_count 6
		.amdhsa_user_sgpr_private_segment_buffer 1
		.amdhsa_user_sgpr_dispatch_ptr 0
		.amdhsa_user_sgpr_queue_ptr 0
		.amdhsa_user_sgpr_kernarg_segment_ptr 1
		.amdhsa_user_sgpr_dispatch_id 0
		.amdhsa_user_sgpr_flat_scratch_init 0
		.amdhsa_user_sgpr_kernarg_preload_length 0
		.amdhsa_user_sgpr_kernarg_preload_offset 0
		.amdhsa_user_sgpr_private_segment_size 0
		.amdhsa_uses_dynamic_stack 0
		.amdhsa_system_sgpr_private_segment_wavefront_offset 0
		.amdhsa_system_sgpr_workgroup_id_x 1
		.amdhsa_system_sgpr_workgroup_id_y 0
		.amdhsa_system_sgpr_workgroup_id_z 0
		.amdhsa_system_sgpr_workgroup_info 0
		.amdhsa_system_vgpr_workitem_id 0
		.amdhsa_next_free_vgpr 1
		.amdhsa_next_free_sgpr 0
		.amdhsa_accum_offset 4
		.amdhsa_reserve_vcc 0
		.amdhsa_reserve_flat_scratch 0
		.amdhsa_float_round_mode_32 0
		.amdhsa_float_round_mode_16_64 0
		.amdhsa_float_denorm_mode_32 3
		.amdhsa_float_denorm_mode_16_64 3
		.amdhsa_dx10_clamp 1
		.amdhsa_ieee_mode 1
		.amdhsa_fp16_overflow 0
		.amdhsa_tg_split 0
		.amdhsa_exception_fp_ieee_invalid_op 0
		.amdhsa_exception_fp_denorm_src 0
		.amdhsa_exception_fp_ieee_div_zero 0
		.amdhsa_exception_fp_ieee_overflow 0
		.amdhsa_exception_fp_ieee_underflow 0
		.amdhsa_exception_fp_ieee_inexact 0
		.amdhsa_exception_int_div_zero 0
	.end_amdhsa_kernel
	.section	.text._ZN7rocprim17ROCPRIM_400000_NS6detail17trampoline_kernelINS0_14default_configENS1_20scan_config_selectorIjEEZZNS1_9scan_implILNS1_25lookback_scan_determinismE0ELb0ELb0ES3_N6thrust23THRUST_200600_302600_NS6detail15normal_iteratorINS9_10device_ptrIjEEEESE_jNS9_4plusIvEEjEEDaPvRmT3_T4_T5_mT6_P12ihipStream_tbENKUlT_T0_E_clISt17integral_constantIbLb0EEST_IbLb1EEEEDaSP_SQ_EUlSP_E_NS1_11comp_targetILNS1_3genE5ELNS1_11target_archE942ELNS1_3gpuE9ELNS1_3repE0EEENS1_30default_config_static_selectorELNS0_4arch9wavefront6targetE1EEEvT1_,"axG",@progbits,_ZN7rocprim17ROCPRIM_400000_NS6detail17trampoline_kernelINS0_14default_configENS1_20scan_config_selectorIjEEZZNS1_9scan_implILNS1_25lookback_scan_determinismE0ELb0ELb0ES3_N6thrust23THRUST_200600_302600_NS6detail15normal_iteratorINS9_10device_ptrIjEEEESE_jNS9_4plusIvEEjEEDaPvRmT3_T4_T5_mT6_P12ihipStream_tbENKUlT_T0_E_clISt17integral_constantIbLb0EEST_IbLb1EEEEDaSP_SQ_EUlSP_E_NS1_11comp_targetILNS1_3genE5ELNS1_11target_archE942ELNS1_3gpuE9ELNS1_3repE0EEENS1_30default_config_static_selectorELNS0_4arch9wavefront6targetE1EEEvT1_,comdat
.Lfunc_end4629:
	.size	_ZN7rocprim17ROCPRIM_400000_NS6detail17trampoline_kernelINS0_14default_configENS1_20scan_config_selectorIjEEZZNS1_9scan_implILNS1_25lookback_scan_determinismE0ELb0ELb0ES3_N6thrust23THRUST_200600_302600_NS6detail15normal_iteratorINS9_10device_ptrIjEEEESE_jNS9_4plusIvEEjEEDaPvRmT3_T4_T5_mT6_P12ihipStream_tbENKUlT_T0_E_clISt17integral_constantIbLb0EEST_IbLb1EEEEDaSP_SQ_EUlSP_E_NS1_11comp_targetILNS1_3genE5ELNS1_11target_archE942ELNS1_3gpuE9ELNS1_3repE0EEENS1_30default_config_static_selectorELNS0_4arch9wavefront6targetE1EEEvT1_, .Lfunc_end4629-_ZN7rocprim17ROCPRIM_400000_NS6detail17trampoline_kernelINS0_14default_configENS1_20scan_config_selectorIjEEZZNS1_9scan_implILNS1_25lookback_scan_determinismE0ELb0ELb0ES3_N6thrust23THRUST_200600_302600_NS6detail15normal_iteratorINS9_10device_ptrIjEEEESE_jNS9_4plusIvEEjEEDaPvRmT3_T4_T5_mT6_P12ihipStream_tbENKUlT_T0_E_clISt17integral_constantIbLb0EEST_IbLb1EEEEDaSP_SQ_EUlSP_E_NS1_11comp_targetILNS1_3genE5ELNS1_11target_archE942ELNS1_3gpuE9ELNS1_3repE0EEENS1_30default_config_static_selectorELNS0_4arch9wavefront6targetE1EEEvT1_
                                        ; -- End function
	.section	.AMDGPU.csdata,"",@progbits
; Kernel info:
; codeLenInByte = 0
; NumSgprs: 4
; NumVgprs: 0
; NumAgprs: 0
; TotalNumVgprs: 0
; ScratchSize: 0
; MemoryBound: 0
; FloatMode: 240
; IeeeMode: 1
; LDSByteSize: 0 bytes/workgroup (compile time only)
; SGPRBlocks: 0
; VGPRBlocks: 0
; NumSGPRsForWavesPerEU: 4
; NumVGPRsForWavesPerEU: 1
; AccumOffset: 4
; Occupancy: 8
; WaveLimiterHint : 0
; COMPUTE_PGM_RSRC2:SCRATCH_EN: 0
; COMPUTE_PGM_RSRC2:USER_SGPR: 6
; COMPUTE_PGM_RSRC2:TRAP_HANDLER: 0
; COMPUTE_PGM_RSRC2:TGID_X_EN: 1
; COMPUTE_PGM_RSRC2:TGID_Y_EN: 0
; COMPUTE_PGM_RSRC2:TGID_Z_EN: 0
; COMPUTE_PGM_RSRC2:TIDIG_COMP_CNT: 0
; COMPUTE_PGM_RSRC3_GFX90A:ACCUM_OFFSET: 0
; COMPUTE_PGM_RSRC3_GFX90A:TG_SPLIT: 0
	.section	.text._ZN7rocprim17ROCPRIM_400000_NS6detail17trampoline_kernelINS0_14default_configENS1_20scan_config_selectorIjEEZZNS1_9scan_implILNS1_25lookback_scan_determinismE0ELb0ELb0ES3_N6thrust23THRUST_200600_302600_NS6detail15normal_iteratorINS9_10device_ptrIjEEEESE_jNS9_4plusIvEEjEEDaPvRmT3_T4_T5_mT6_P12ihipStream_tbENKUlT_T0_E_clISt17integral_constantIbLb0EEST_IbLb1EEEEDaSP_SQ_EUlSP_E_NS1_11comp_targetILNS1_3genE4ELNS1_11target_archE910ELNS1_3gpuE8ELNS1_3repE0EEENS1_30default_config_static_selectorELNS0_4arch9wavefront6targetE1EEEvT1_,"axG",@progbits,_ZN7rocprim17ROCPRIM_400000_NS6detail17trampoline_kernelINS0_14default_configENS1_20scan_config_selectorIjEEZZNS1_9scan_implILNS1_25lookback_scan_determinismE0ELb0ELb0ES3_N6thrust23THRUST_200600_302600_NS6detail15normal_iteratorINS9_10device_ptrIjEEEESE_jNS9_4plusIvEEjEEDaPvRmT3_T4_T5_mT6_P12ihipStream_tbENKUlT_T0_E_clISt17integral_constantIbLb0EEST_IbLb1EEEEDaSP_SQ_EUlSP_E_NS1_11comp_targetILNS1_3genE4ELNS1_11target_archE910ELNS1_3gpuE8ELNS1_3repE0EEENS1_30default_config_static_selectorELNS0_4arch9wavefront6targetE1EEEvT1_,comdat
	.protected	_ZN7rocprim17ROCPRIM_400000_NS6detail17trampoline_kernelINS0_14default_configENS1_20scan_config_selectorIjEEZZNS1_9scan_implILNS1_25lookback_scan_determinismE0ELb0ELb0ES3_N6thrust23THRUST_200600_302600_NS6detail15normal_iteratorINS9_10device_ptrIjEEEESE_jNS9_4plusIvEEjEEDaPvRmT3_T4_T5_mT6_P12ihipStream_tbENKUlT_T0_E_clISt17integral_constantIbLb0EEST_IbLb1EEEEDaSP_SQ_EUlSP_E_NS1_11comp_targetILNS1_3genE4ELNS1_11target_archE910ELNS1_3gpuE8ELNS1_3repE0EEENS1_30default_config_static_selectorELNS0_4arch9wavefront6targetE1EEEvT1_ ; -- Begin function _ZN7rocprim17ROCPRIM_400000_NS6detail17trampoline_kernelINS0_14default_configENS1_20scan_config_selectorIjEEZZNS1_9scan_implILNS1_25lookback_scan_determinismE0ELb0ELb0ES3_N6thrust23THRUST_200600_302600_NS6detail15normal_iteratorINS9_10device_ptrIjEEEESE_jNS9_4plusIvEEjEEDaPvRmT3_T4_T5_mT6_P12ihipStream_tbENKUlT_T0_E_clISt17integral_constantIbLb0EEST_IbLb1EEEEDaSP_SQ_EUlSP_E_NS1_11comp_targetILNS1_3genE4ELNS1_11target_archE910ELNS1_3gpuE8ELNS1_3repE0EEENS1_30default_config_static_selectorELNS0_4arch9wavefront6targetE1EEEvT1_
	.globl	_ZN7rocprim17ROCPRIM_400000_NS6detail17trampoline_kernelINS0_14default_configENS1_20scan_config_selectorIjEEZZNS1_9scan_implILNS1_25lookback_scan_determinismE0ELb0ELb0ES3_N6thrust23THRUST_200600_302600_NS6detail15normal_iteratorINS9_10device_ptrIjEEEESE_jNS9_4plusIvEEjEEDaPvRmT3_T4_T5_mT6_P12ihipStream_tbENKUlT_T0_E_clISt17integral_constantIbLb0EEST_IbLb1EEEEDaSP_SQ_EUlSP_E_NS1_11comp_targetILNS1_3genE4ELNS1_11target_archE910ELNS1_3gpuE8ELNS1_3repE0EEENS1_30default_config_static_selectorELNS0_4arch9wavefront6targetE1EEEvT1_
	.p2align	8
	.type	_ZN7rocprim17ROCPRIM_400000_NS6detail17trampoline_kernelINS0_14default_configENS1_20scan_config_selectorIjEEZZNS1_9scan_implILNS1_25lookback_scan_determinismE0ELb0ELb0ES3_N6thrust23THRUST_200600_302600_NS6detail15normal_iteratorINS9_10device_ptrIjEEEESE_jNS9_4plusIvEEjEEDaPvRmT3_T4_T5_mT6_P12ihipStream_tbENKUlT_T0_E_clISt17integral_constantIbLb0EEST_IbLb1EEEEDaSP_SQ_EUlSP_E_NS1_11comp_targetILNS1_3genE4ELNS1_11target_archE910ELNS1_3gpuE8ELNS1_3repE0EEENS1_30default_config_static_selectorELNS0_4arch9wavefront6targetE1EEEvT1_,@function
_ZN7rocprim17ROCPRIM_400000_NS6detail17trampoline_kernelINS0_14default_configENS1_20scan_config_selectorIjEEZZNS1_9scan_implILNS1_25lookback_scan_determinismE0ELb0ELb0ES3_N6thrust23THRUST_200600_302600_NS6detail15normal_iteratorINS9_10device_ptrIjEEEESE_jNS9_4plusIvEEjEEDaPvRmT3_T4_T5_mT6_P12ihipStream_tbENKUlT_T0_E_clISt17integral_constantIbLb0EEST_IbLb1EEEEDaSP_SQ_EUlSP_E_NS1_11comp_targetILNS1_3genE4ELNS1_11target_archE910ELNS1_3gpuE8ELNS1_3repE0EEENS1_30default_config_static_selectorELNS0_4arch9wavefront6targetE1EEEvT1_: ; @_ZN7rocprim17ROCPRIM_400000_NS6detail17trampoline_kernelINS0_14default_configENS1_20scan_config_selectorIjEEZZNS1_9scan_implILNS1_25lookback_scan_determinismE0ELb0ELb0ES3_N6thrust23THRUST_200600_302600_NS6detail15normal_iteratorINS9_10device_ptrIjEEEESE_jNS9_4plusIvEEjEEDaPvRmT3_T4_T5_mT6_P12ihipStream_tbENKUlT_T0_E_clISt17integral_constantIbLb0EEST_IbLb1EEEEDaSP_SQ_EUlSP_E_NS1_11comp_targetILNS1_3genE4ELNS1_11target_archE910ELNS1_3gpuE8ELNS1_3repE0EEENS1_30default_config_static_selectorELNS0_4arch9wavefront6targetE1EEEvT1_
; %bb.0:
	s_load_dwordx2 s[6:7], s[4:5], 0x28
	v_cmp_ne_u32_e64 s[0:1], 0, v0
	v_cmp_eq_u32_e64 s[2:3], 0, v0
	s_and_saveexec_b64 s[8:9], s[2:3]
	s_cbranch_execz .LBB4630_4
; %bb.1:
	s_mov_b64 s[12:13], exec
	v_mbcnt_lo_u32_b32 v1, s12, 0
	v_mbcnt_hi_u32_b32 v1, s13, v1
	v_cmp_eq_u32_e32 vcc, 0, v1
                                        ; implicit-def: $vgpr2
	s_and_saveexec_b64 s[10:11], vcc
	s_cbranch_execz .LBB4630_3
; %bb.2:
	s_load_dwordx2 s[14:15], s[4:5], 0x58
	s_bcnt1_i32_b64 s12, s[12:13]
	v_mov_b32_e32 v2, 0
	v_mov_b32_e32 v3, s12
	s_waitcnt lgkmcnt(0)
	global_atomic_add v2, v2, v3, s[14:15] glc
.LBB4630_3:
	s_or_b64 exec, exec, s[10:11]
	s_waitcnt vmcnt(0)
	v_readfirstlane_b32 s10, v2
	v_add_u32_e32 v1, s10, v1
	v_mov_b32_e32 v2, 0
	ds_write_b32 v2, v1
.LBB4630_4:
	s_or_b64 exec, exec, s[8:9]
	s_load_dwordx8 s[16:23], s[4:5], 0x0
	s_load_dword s24, s[4:5], 0x30
	s_load_dwordx8 s[8:15], s[4:5], 0x38
	v_mov_b32_e32 v1, 0
	s_waitcnt lgkmcnt(0)
	s_barrier
	ds_read_b32 v1, v1
	s_lshl_b64 s[18:19], s[18:19], 2
	s_add_u32 s25, s16, s18
	s_addc_u32 s26, s17, s19
	s_add_i32 s16, s24, -1
	s_mul_i32 s17, s16, 0x500
	s_sub_u32 s30, s22, s17
	s_waitcnt lgkmcnt(0)
	v_readfirstlane_b32 s33, v1
	s_subb_u32 s31, s23, 0
	s_mul_i32 s4, s33, 0x500
	s_mov_b32 s5, 0
	s_cmp_lg_u32 s33, s16
	s_cselect_b64 s[16:17], -1, 0
	s_lshl_b64 s[22:23], s[4:5], 2
	s_add_u32 s24, s25, s22
	s_addc_u32 s25, s26, s23
	s_mov_b64 s[4:5], -1
	s_and_b64 vcc, exec, s[16:17]
	v_lshlrev_b32_e32 v22, 2, v0
	s_barrier
	s_cbranch_vccz .LBB4630_6
; %bb.5:
	v_mov_b32_e32 v1, s25
	v_add_co_u32_e32 v2, vcc, s24, v22
	v_addc_co_u32_e32 v3, vcc, 0, v1, vcc
	flat_load_dword v1, v[2:3]
	flat_load_dword v4, v[2:3] offset:512
	flat_load_dword v5, v[2:3] offset:1024
	;; [unrolled: 1-line block ×7, first 2 shown]
	v_add_co_u32_e32 v2, vcc, 0x1000, v2
	v_addc_co_u32_e32 v3, vcc, 0, v3, vcc
	flat_load_dword v11, v[2:3]
	flat_load_dword v12, v[2:3] offset:512
	s_mov_b64 s[4:5], 0
	s_waitcnt vmcnt(0) lgkmcnt(0)
	ds_write2st64_b32 v22, v1, v4 offset1:2
	ds_write2st64_b32 v22, v5, v6 offset0:4 offset1:6
	ds_write2st64_b32 v22, v7, v8 offset0:8 offset1:10
	;; [unrolled: 1-line block ×4, first 2 shown]
	s_waitcnt lgkmcnt(0)
	s_barrier
.LBB4630_6:
	s_andn2_b64 vcc, exec, s[4:5]
	v_cmp_gt_u32_e64 s[4:5], s30, v0
	s_cbranch_vccnz .LBB4630_28
; %bb.7:
	v_pk_mov_b32 v[2:3], s[24:25], s[24:25] op_sel:[0,1]
	flat_load_dword v1, v[2:3]
	s_waitcnt vmcnt(0) lgkmcnt(0)
	v_mov_b32_e32 v2, v1
	v_mov_b32_e32 v3, v1
	;; [unrolled: 1-line block ×9, first 2 shown]
	s_and_saveexec_b64 s[26:27], s[4:5]
	s_cbranch_execz .LBB4630_9
; %bb.8:
	v_mov_b32_e32 v11, s25
	v_add_co_u32_e32 v10, vcc, s24, v22
	v_addc_co_u32_e32 v11, vcc, 0, v11, vcc
	flat_load_dword v10, v[10:11]
.LBB4630_9:
	s_or_b64 exec, exec, s[26:27]
	v_or_b32_e32 v11, 0x80, v0
	v_cmp_gt_u32_e32 vcc, s30, v11
	s_and_saveexec_b64 s[4:5], vcc
	s_cbranch_execz .LBB4630_11
; %bb.10:
	v_mov_b32_e32 v1, s25
	v_add_co_u32_e32 v12, vcc, s24, v22
	v_addc_co_u32_e32 v13, vcc, 0, v1, vcc
	flat_load_dword v1, v[12:13] offset:512
.LBB4630_11:
	s_or_b64 exec, exec, s[4:5]
	v_or_b32_e32 v11, 0x100, v0
	v_cmp_gt_u32_e32 vcc, s30, v11
	s_and_saveexec_b64 s[4:5], vcc
	s_cbranch_execz .LBB4630_13
; %bb.12:
	v_mov_b32_e32 v2, s25
	v_add_co_u32_e32 v12, vcc, s24, v22
	v_addc_co_u32_e32 v13, vcc, 0, v2, vcc
	flat_load_dword v2, v[12:13] offset:1024
.LBB4630_13:
	;; [unrolled: 11-line block ×7, first 2 shown]
	s_or_b64 exec, exec, s[4:5]
	v_or_b32_e32 v11, 0x400, v0
	v_cmp_gt_u32_e32 vcc, s30, v11
	s_and_saveexec_b64 s[4:5], vcc
	s_cbranch_execz .LBB4630_25
; %bb.24:
	v_lshlrev_b32_e32 v8, 2, v11
	v_mov_b32_e32 v11, s25
	v_add_co_u32_e32 v12, vcc, s24, v8
	v_addc_co_u32_e32 v13, vcc, 0, v11, vcc
	flat_load_dword v8, v[12:13]
.LBB4630_25:
	s_or_b64 exec, exec, s[4:5]
	v_or_b32_e32 v11, 0x480, v0
	v_cmp_gt_u32_e32 vcc, s30, v11
	s_and_saveexec_b64 s[4:5], vcc
	s_cbranch_execz .LBB4630_27
; %bb.26:
	v_lshlrev_b32_e32 v9, 2, v11
	v_mov_b32_e32 v11, s25
	v_add_co_u32_e32 v12, vcc, s24, v9
	v_addc_co_u32_e32 v13, vcc, 0, v11, vcc
	flat_load_dword v9, v[12:13]
.LBB4630_27:
	s_or_b64 exec, exec, s[4:5]
	s_waitcnt vmcnt(0) lgkmcnt(0)
	ds_write2st64_b32 v22, v10, v1 offset1:2
	ds_write2st64_b32 v22, v2, v3 offset0:4 offset1:6
	ds_write2st64_b32 v22, v4, v5 offset0:8 offset1:10
	;; [unrolled: 1-line block ×4, first 2 shown]
	s_waitcnt lgkmcnt(0)
	s_barrier
.LBB4630_28:
	v_mul_u32_u24_e32 v23, 10, v0
	v_lshlrev_b32_e32 v1, 2, v23
	ds_read2_b64 v[2:5], v1 offset1:1
	ds_read2_b64 v[16:19], v1 offset0:2 offset1:3
	ds_read_b64 v[20:21], v1 offset:32
	s_cmp_lg_u32 s33, 0
	v_lshrrev_b32_e32 v24, 5, v0
	v_cmp_gt_u32_e32 vcc, 64, v0
	s_waitcnt lgkmcnt(0)
	s_barrier
	s_cbranch_scc0 .LBB4630_53
; %bb.29:
	v_add_u32_e32 v6, v3, v2
	v_add3_u32 v6, v6, v4, v5
	v_add3_u32 v6, v6, v16, v17
	;; [unrolled: 1-line block ×4, first 2 shown]
	v_add_lshl_u32 v7, v24, v0, 2
	ds_write_b32 v7, v6
	s_waitcnt lgkmcnt(0)
	s_barrier
	s_and_saveexec_b64 s[24:25], vcc
	s_cbranch_execz .LBB4630_31
; %bb.30:
	v_lshlrev_b32_e32 v7, 1, v0
	v_lshrrev_b32_e32 v8, 4, v0
	v_add_lshl_u32 v7, v8, v7, 2
	ds_read2_b32 v[8:9], v7 offset1:1
	v_mbcnt_lo_u32_b32 v10, -1, 0
	v_mbcnt_hi_u32_b32 v10, -1, v10
	v_and_b32_e32 v11, 15, v10
	v_cmp_ne_u32_e64 s[4:5], 0, v11
	s_waitcnt lgkmcnt(0)
	v_add_u32_e32 v9, v9, v8
	; wave barrier
	s_nop 1
	v_mov_b32_dpp v12, v9 row_shr:1 row_mask:0xf bank_mask:0xf
	v_cndmask_b32_e64 v12, 0, v12, s[4:5]
	v_add_u32_e32 v9, v12, v9
	v_cmp_lt_u32_e64 s[4:5], 1, v11
	s_nop 0
	v_mov_b32_dpp v12, v9 row_shr:2 row_mask:0xf bank_mask:0xf
	v_cndmask_b32_e64 v12, 0, v12, s[4:5]
	v_add_u32_e32 v9, v9, v12
	v_cmp_lt_u32_e64 s[4:5], 3, v11
	;; [unrolled: 5-line block ×3, first 2 shown]
	s_nop 0
	v_mov_b32_dpp v12, v9 row_shr:8 row_mask:0xf bank_mask:0xf
	v_cndmask_b32_e64 v11, 0, v12, s[4:5]
	v_add_u32_e32 v9, v9, v11
	v_bfe_i32 v12, v10, 4, 1
	v_cmp_lt_u32_e64 s[4:5], 31, v10
	v_mov_b32_dpp v11, v9 row_bcast:15 row_mask:0xf bank_mask:0xf
	v_and_b32_e32 v11, v12, v11
	v_add_u32_e32 v9, v9, v11
	v_and_b32_e32 v12, 64, v10
	s_nop 0
	v_mov_b32_dpp v11, v9 row_bcast:31 row_mask:0xf bank_mask:0xf
	v_cndmask_b32_e64 v11, 0, v11, s[4:5]
	v_add_u32_e32 v9, v9, v11
	v_add_u32_e32 v11, -1, v10
	v_cmp_lt_i32_e64 s[4:5], v11, v12
	v_cndmask_b32_e64 v10, v11, v10, s[4:5]
	v_lshlrev_b32_e32 v10, 2, v10
	ds_bpermute_b32 v9, v10, v9
	s_waitcnt lgkmcnt(0)
	v_add_u32_e32 v8, v9, v8
	v_cndmask_b32_e64 v6, v8, v6, s[2:3]
	ds_write_b32 v7, v6
	; wave barrier
	ds_read_b32 v8, v7 offset:4
	s_waitcnt lgkmcnt(0)
	v_add_u32_e32 v6, v8, v6
	ds_write_b32 v7, v6 offset:4
.LBB4630_31:
	s_or_b64 exec, exec, s[24:25]
	v_mov_b32_e32 v25, 0
	s_waitcnt lgkmcnt(0)
	s_barrier
	s_and_saveexec_b64 s[4:5], s[0:1]
	s_cbranch_execz .LBB4630_33
; %bb.32:
	v_add_u32_e32 v6, -1, v0
	v_lshrrev_b32_e32 v7, 5, v6
	v_add_lshl_u32 v6, v7, v6, 2
	ds_read_b32 v25, v6
.LBB4630_33:
	s_or_b64 exec, exec, s[4:5]
	s_and_saveexec_b64 s[24:25], vcc
	s_cbranch_execz .LBB4630_52
; %bb.34:
	v_mov_b32_e32 v13, 0
	ds_read_b32 v6, v13 offset:520
	v_mbcnt_lo_u32_b32 v7, -1, 0
	v_mbcnt_hi_u32_b32 v9, -1, v7
	s_mov_b32 s29, 0
	v_cmp_eq_u32_e64 s[4:5], 0, v9
	s_and_saveexec_b64 s[26:27], s[4:5]
	s_cbranch_execz .LBB4630_36
; %bb.35:
	s_add_i32 s28, s33, 64
	s_lshl_b64 s[28:29], s[28:29], 3
	s_add_u32 s28, s6, s28
	v_mov_b32_e32 v7, 1
	s_addc_u32 s29, s7, s29
	s_waitcnt lgkmcnt(0)
	global_store_dwordx2 v13, v[6:7], s[28:29]
.LBB4630_36:
	s_or_b64 exec, exec, s[26:27]
	v_xad_u32 v8, v9, -1, s33
	v_add_u32_e32 v12, 64, v8
	v_lshlrev_b64 v[10:11], 3, v[12:13]
	v_mov_b32_e32 v7, s7
	v_add_co_u32_e32 v14, vcc, s6, v10
	v_addc_co_u32_e32 v15, vcc, v7, v11, vcc
	global_load_dwordx2 v[10:11], v[14:15], off glc
	s_waitcnt vmcnt(0)
	v_cmp_eq_u16_sdwa s[28:29], v11, v13 src0_sel:BYTE_0 src1_sel:DWORD
	s_and_saveexec_b64 s[26:27], s[28:29]
	s_cbranch_execz .LBB4630_40
; %bb.37:
	s_mov_b64 s[28:29], 0
	v_mov_b32_e32 v7, 0
.LBB4630_38:                            ; =>This Inner Loop Header: Depth=1
	global_load_dwordx2 v[10:11], v[14:15], off glc
	s_waitcnt vmcnt(0)
	v_cmp_ne_u16_sdwa s[34:35], v11, v7 src0_sel:BYTE_0 src1_sel:DWORD
	s_or_b64 s[28:29], s[34:35], s[28:29]
	s_andn2_b64 exec, exec, s[28:29]
	s_cbranch_execnz .LBB4630_38
; %bb.39:
	s_or_b64 exec, exec, s[28:29]
.LBB4630_40:
	s_or_b64 exec, exec, s[26:27]
	v_and_b32_e32 v26, 63, v9
	v_mov_b32_e32 v7, 2
	v_cmp_ne_u32_e32 vcc, 63, v26
	v_cmp_eq_u16_sdwa s[26:27], v11, v7 src0_sel:BYTE_0 src1_sel:DWORD
	v_lshlrev_b64 v[12:13], v9, -1
	v_addc_co_u32_e32 v27, vcc, 0, v9, vcc
	v_and_b32_e32 v14, s27, v13
	v_lshlrev_b32_e32 v27, 2, v27
	v_or_b32_e32 v14, 0x80000000, v14
	ds_bpermute_b32 v28, v27, v10
	v_and_b32_e32 v15, s26, v12
	v_ffbl_b32_e32 v14, v14
	v_add_u32_e32 v14, 32, v14
	v_ffbl_b32_e32 v15, v15
	v_min_u32_e32 v14, v15, v14
	v_cmp_lt_u32_e32 vcc, v26, v14
	s_waitcnt lgkmcnt(0)
	v_cndmask_b32_e32 v15, 0, v28, vcc
	v_cmp_gt_u32_e32 vcc, 62, v26
	v_add_u32_e32 v10, v15, v10
	v_cndmask_b32_e64 v15, 0, 1, vcc
	v_lshlrev_b32_e32 v15, 1, v15
	v_add_lshl_u32 v28, v15, v9, 2
	ds_bpermute_b32 v15, v28, v10
	v_add_u32_e32 v29, 2, v26
	v_cmp_le_u32_e32 vcc, v29, v14
	v_add_u32_e32 v31, 4, v26
	v_add_u32_e32 v33, 8, v26
	s_waitcnt lgkmcnt(0)
	v_cndmask_b32_e32 v15, 0, v15, vcc
	v_cmp_gt_u32_e32 vcc, 60, v26
	v_add_u32_e32 v10, v10, v15
	v_cndmask_b32_e64 v15, 0, 1, vcc
	v_lshlrev_b32_e32 v15, 2, v15
	v_add_lshl_u32 v30, v15, v9, 2
	ds_bpermute_b32 v15, v30, v10
	v_cmp_le_u32_e32 vcc, v31, v14
	v_add_u32_e32 v36, 16, v26
	v_add_u32_e32 v38, 32, v26
	s_waitcnt lgkmcnt(0)
	v_cndmask_b32_e32 v15, 0, v15, vcc
	v_cmp_gt_u32_e32 vcc, 56, v26
	v_add_u32_e32 v10, v10, v15
	v_cndmask_b32_e64 v15, 0, 1, vcc
	v_lshlrev_b32_e32 v15, 3, v15
	v_add_lshl_u32 v32, v15, v9, 2
	ds_bpermute_b32 v15, v32, v10
	v_cmp_le_u32_e32 vcc, v33, v14
	s_waitcnt lgkmcnt(0)
	v_cndmask_b32_e32 v15, 0, v15, vcc
	v_cmp_gt_u32_e32 vcc, 48, v26
	v_add_u32_e32 v10, v10, v15
	v_cndmask_b32_e64 v15, 0, 1, vcc
	v_lshlrev_b32_e32 v15, 4, v15
	v_add_lshl_u32 v35, v15, v9, 2
	ds_bpermute_b32 v15, v35, v10
	v_cmp_le_u32_e32 vcc, v36, v14
	;; [unrolled: 9-line block ×3, first 2 shown]
	s_waitcnt lgkmcnt(0)
	v_cndmask_b32_e32 v9, 0, v9, vcc
	v_add_u32_e32 v10, v10, v9
	v_mov_b32_e32 v9, 0
	s_branch .LBB4630_42
.LBB4630_41:                            ;   in Loop: Header=BB4630_42 Depth=1
	s_or_b64 exec, exec, s[26:27]
	v_cmp_eq_u16_sdwa s[26:27], v11, v7 src0_sel:BYTE_0 src1_sel:DWORD
	v_and_b32_e32 v14, s27, v13
	v_or_b32_e32 v14, 0x80000000, v14
	ds_bpermute_b32 v39, v27, v10
	v_and_b32_e32 v15, s26, v12
	v_ffbl_b32_e32 v14, v14
	v_add_u32_e32 v14, 32, v14
	v_ffbl_b32_e32 v15, v15
	v_min_u32_e32 v14, v15, v14
	v_cmp_lt_u32_e32 vcc, v26, v14
	s_waitcnt lgkmcnt(0)
	v_cndmask_b32_e32 v15, 0, v39, vcc
	v_add_u32_e32 v10, v15, v10
	ds_bpermute_b32 v15, v28, v10
	v_cmp_le_u32_e32 vcc, v29, v14
	v_subrev_u32_e32 v8, 64, v8
	s_waitcnt lgkmcnt(0)
	v_cndmask_b32_e32 v15, 0, v15, vcc
	v_add_u32_e32 v10, v10, v15
	ds_bpermute_b32 v15, v30, v10
	v_cmp_le_u32_e32 vcc, v31, v14
	s_waitcnt lgkmcnt(0)
	v_cndmask_b32_e32 v15, 0, v15, vcc
	v_add_u32_e32 v10, v10, v15
	ds_bpermute_b32 v15, v32, v10
	v_cmp_le_u32_e32 vcc, v33, v14
	;; [unrolled: 5-line block ×4, first 2 shown]
	s_waitcnt lgkmcnt(0)
	v_cndmask_b32_e32 v14, 0, v15, vcc
	v_add3_u32 v10, v14, v34, v10
.LBB4630_42:                            ; =>This Loop Header: Depth=1
                                        ;     Child Loop BB4630_45 Depth 2
	v_cmp_ne_u16_sdwa s[26:27], v11, v7 src0_sel:BYTE_0 src1_sel:DWORD
	v_cndmask_b32_e64 v11, 0, 1, s[26:27]
	;;#ASMSTART
	;;#ASMEND
	v_cmp_ne_u32_e32 vcc, 0, v11
	s_cmp_lg_u64 vcc, exec
	v_mov_b32_e32 v34, v10
	s_cbranch_scc1 .LBB4630_47
; %bb.43:                               ;   in Loop: Header=BB4630_42 Depth=1
	v_lshlrev_b64 v[10:11], 3, v[8:9]
	v_mov_b32_e32 v15, s7
	v_add_co_u32_e32 v14, vcc, s6, v10
	v_addc_co_u32_e32 v15, vcc, v15, v11, vcc
	global_load_dwordx2 v[10:11], v[14:15], off glc
	s_waitcnt vmcnt(0)
	v_cmp_eq_u16_sdwa s[28:29], v11, v9 src0_sel:BYTE_0 src1_sel:DWORD
	s_and_saveexec_b64 s[26:27], s[28:29]
	s_cbranch_execz .LBB4630_41
; %bb.44:                               ;   in Loop: Header=BB4630_42 Depth=1
	s_mov_b64 s[28:29], 0
.LBB4630_45:                            ;   Parent Loop BB4630_42 Depth=1
                                        ; =>  This Inner Loop Header: Depth=2
	global_load_dwordx2 v[10:11], v[14:15], off glc
	s_waitcnt vmcnt(0)
	v_cmp_ne_u16_sdwa s[34:35], v11, v9 src0_sel:BYTE_0 src1_sel:DWORD
	s_or_b64 s[28:29], s[34:35], s[28:29]
	s_andn2_b64 exec, exec, s[28:29]
	s_cbranch_execnz .LBB4630_45
; %bb.46:                               ;   in Loop: Header=BB4630_42 Depth=1
	s_or_b64 exec, exec, s[28:29]
	s_branch .LBB4630_41
.LBB4630_47:                            ;   in Loop: Header=BB4630_42 Depth=1
                                        ; implicit-def: $vgpr10
                                        ; implicit-def: $vgpr11
	s_cbranch_execz .LBB4630_42
; %bb.48:
	s_and_saveexec_b64 s[26:27], s[4:5]
	s_cbranch_execz .LBB4630_50
; %bb.49:
	s_add_i32 s4, s33, 64
	s_mov_b32 s5, 0
	s_lshl_b64 s[4:5], s[4:5], 3
	s_add_u32 s4, s6, s4
	v_add_u32_e32 v6, v34, v6
	v_mov_b32_e32 v7, 2
	s_addc_u32 s5, s7, s5
	v_mov_b32_e32 v8, 0
	global_store_dwordx2 v8, v[6:7], s[4:5]
.LBB4630_50:
	s_or_b64 exec, exec, s[26:27]
	s_and_b64 exec, exec, s[2:3]
	s_cbranch_execz .LBB4630_52
; %bb.51:
	v_mov_b32_e32 v6, 0
	ds_write_b32 v6, v34
.LBB4630_52:
	s_or_b64 exec, exec, s[24:25]
	v_mov_b32_e32 v6, 0
	s_waitcnt lgkmcnt(0)
	s_barrier
	ds_read_b32 v6, v6
	s_waitcnt lgkmcnt(0)
	v_add3_u32 v6, v25, v2, v6
	v_add_u32_e32 v7, v6, v3
	v_add_u32_e32 v8, v7, v4
	;; [unrolled: 1-line block ×9, first 2 shown]
	s_branch .LBB4630_65
.LBB4630_53:
                                        ; implicit-def: $vgpr6_vgpr7_vgpr8_vgpr9_vgpr10_vgpr11_vgpr12_vgpr13_vgpr14_vgpr15
	s_cbranch_execz .LBB4630_65
; %bb.54:
	s_cmp_lg_u64 s[12:13], 0
	s_cselect_b64 s[4:5], -1, 0
	s_and_b64 s[12:13], s[2:3], s[4:5]
	v_mov_b32_e32 v12, v3
	v_mov_b32_e32 v13, v4
	;; [unrolled: 1-line block ×3, first 2 shown]
	s_and_saveexec_b64 s[4:5], s[12:13]
	s_cbranch_execz .LBB4630_56
; %bb.55:
	v_mov_b32_e32 v6, 0
	global_load_dword v6, v6, s[8:9]
	v_mov_b32_e32 v12, v3
	v_mov_b32_e32 v13, v4
	;; [unrolled: 1-line block ×3, first 2 shown]
	s_waitcnt vmcnt(0)
	v_add_u32_e32 v2, v6, v2
.LBB4630_56:
	s_or_b64 exec, exec, s[4:5]
	v_add_u32_e32 v3, v12, v2
	v_add_u32_e32 v4, v3, v13
	;; [unrolled: 1-line block ×9, first 2 shown]
	v_add_lshl_u32 v15, v24, v0, 2
	v_cmp_gt_u32_e32 vcc, 64, v0
	ds_write_b32 v15, v11
	s_waitcnt lgkmcnt(0)
	s_barrier
	s_and_saveexec_b64 s[4:5], vcc
	s_cbranch_execz .LBB4630_58
; %bb.57:
	v_lshlrev_b32_e32 v15, 1, v0
	v_lshrrev_b32_e32 v24, 4, v0
	v_add_lshl_u32 v15, v24, v15, 2
	ds_read2_b32 v[24:25], v15 offset1:1
	v_mbcnt_lo_u32_b32 v26, -1, 0
	v_mbcnt_hi_u32_b32 v26, -1, v26
	v_and_b32_e32 v27, 15, v26
	v_cmp_ne_u32_e32 vcc, 0, v27
	s_waitcnt lgkmcnt(0)
	v_add_u32_e32 v25, v25, v24
	; wave barrier
	s_nop 1
	v_mov_b32_dpp v28, v25 row_shr:1 row_mask:0xf bank_mask:0xf
	v_cndmask_b32_e32 v28, 0, v28, vcc
	v_add_u32_e32 v25, v28, v25
	v_cmp_lt_u32_e32 vcc, 1, v27
	s_nop 0
	v_mov_b32_dpp v28, v25 row_shr:2 row_mask:0xf bank_mask:0xf
	v_cndmask_b32_e32 v28, 0, v28, vcc
	v_add_u32_e32 v25, v25, v28
	v_cmp_lt_u32_e32 vcc, 3, v27
	;; [unrolled: 5-line block ×3, first 2 shown]
	s_nop 0
	v_mov_b32_dpp v28, v25 row_shr:8 row_mask:0xf bank_mask:0xf
	v_cndmask_b32_e32 v27, 0, v28, vcc
	v_add_u32_e32 v25, v25, v27
	v_bfe_i32 v28, v26, 4, 1
	v_cmp_lt_u32_e32 vcc, 31, v26
	v_mov_b32_dpp v27, v25 row_bcast:15 row_mask:0xf bank_mask:0xf
	v_and_b32_e32 v27, v28, v27
	v_add_u32_e32 v25, v25, v27
	v_and_b32_e32 v28, 64, v26
	s_nop 0
	v_mov_b32_dpp v27, v25 row_bcast:31 row_mask:0xf bank_mask:0xf
	v_cndmask_b32_e32 v27, 0, v27, vcc
	v_add_u32_e32 v25, v25, v27
	v_add_u32_e32 v27, -1, v26
	v_cmp_lt_i32_e32 vcc, v27, v28
	v_cndmask_b32_e32 v26, v27, v26, vcc
	v_lshlrev_b32_e32 v26, 2, v26
	ds_bpermute_b32 v25, v26, v25
	s_waitcnt lgkmcnt(0)
	v_add_u32_e32 v24, v25, v24
	v_cndmask_b32_e64 v24, v24, v11, s[2:3]
	ds_write_b32 v15, v24
	; wave barrier
	ds_read_b32 v25, v15 offset:4
	s_waitcnt lgkmcnt(0)
	v_add_u32_e32 v24, v25, v24
	ds_write_b32 v15, v24 offset:4
.LBB4630_58:
	s_or_b64 exec, exec, s[4:5]
	v_mov_b32_e32 v15, v11
	s_waitcnt lgkmcnt(0)
	s_barrier
	s_and_saveexec_b64 s[2:3], s[0:1]
	s_cbranch_execz .LBB4630_60
; %bb.59:
	v_add_u32_e32 v15, -1, v0
	v_lshrrev_b32_e32 v24, 5, v15
	v_add_lshl_u32 v15, v24, v15, 2
	ds_read_b32 v15, v15
.LBB4630_60:
	s_or_b64 exec, exec, s[2:3]
	s_and_saveexec_b64 s[2:3], s[0:1]
	s_cbranch_execz .LBB4630_62
; %bb.61:
	s_waitcnt lgkmcnt(0)
	v_add_u32_e32 v2, v15, v2
	v_add_u32_e32 v3, v2, v12
	v_add_u32_e32 v4, v3, v13
	v_add_u32_e32 v5, v4, v14
	v_add_u32_e32 v6, v5, v16
	v_add_u32_e32 v7, v6, v17
	v_add_u32_e32 v8, v7, v18
	v_add_u32_e32 v9, v8, v19
	v_add_u32_e32 v10, v9, v20
	v_add_u32_e32 v11, v10, v21
	;;#ASMSTART
	;;#ASMEND
.LBB4630_62:
	s_or_b64 exec, exec, s[2:3]
	s_movk_i32 s0, 0x7f
	v_cmp_eq_u32_e32 vcc, s0, v0
	s_and_saveexec_b64 s[0:1], vcc
	s_cbranch_execz .LBB4630_64
; %bb.63:
	v_mov_b32_e32 v14, 0
	v_mov_b32_e32 v13, 2
	;; [unrolled: 1-line block ×3, first 2 shown]
	global_store_dwordx2 v14, v[12:13], s[6:7] offset:512
.LBB4630_64:
	s_or_b64 exec, exec, s[0:1]
	s_waitcnt lgkmcnt(0)
	v_pk_mov_b32 v[14:15], v[10:11], v[10:11] op_sel:[0,1]
	v_pk_mov_b32 v[12:13], v[8:9], v[8:9] op_sel:[0,1]
	;; [unrolled: 1-line block ×5, first 2 shown]
.LBB4630_65:
	s_add_u32 s0, s20, s18
	s_addc_u32 s1, s21, s19
	s_add_u32 s2, s0, s22
	s_addc_u32 s3, s1, s23
	s_mov_b64 s[0:1], -1
	s_and_b64 vcc, exec, s[16:17]
	s_barrier
	s_cbranch_vccz .LBB4630_67
; %bb.66:
	ds_write2_b64 v1, v[6:7], v[8:9] offset1:1
	ds_write2_b64 v1, v[10:11], v[12:13] offset0:2 offset1:3
	ds_write_b64 v1, v[14:15] offset:32
	s_waitcnt lgkmcnt(0)
	s_barrier
	ds_read2st64_b32 v[2:3], v22 offset1:2
	ds_read2st64_b32 v[4:5], v22 offset0:4 offset1:6
	ds_read2st64_b32 v[16:17], v22 offset0:8 offset1:10
	;; [unrolled: 1-line block ×4, first 2 shown]
	v_mov_b32_e32 v25, s3
	v_add_co_u32_e32 v24, vcc, s2, v22
	v_addc_co_u32_e32 v25, vcc, 0, v25, vcc
	s_waitcnt lgkmcnt(4)
	flat_store_dword v[24:25], v2
	flat_store_dword v[24:25], v3 offset:512
	s_waitcnt lgkmcnt(0)
	flat_store_dword v[24:25], v4 offset:1024
	flat_store_dword v[24:25], v5 offset:1536
	;; [unrolled: 1-line block ×6, first 2 shown]
	v_add_co_u32_e32 v2, vcc, 0x1000, v24
	v_addc_co_u32_e32 v3, vcc, 0, v25, vcc
	flat_store_dword v[2:3], v20
	flat_store_dword v[2:3], v21 offset:512
	s_mov_b64 s[0:1], 0
.LBB4630_67:
	s_andn2_b64 vcc, exec, s[0:1]
	s_cbranch_vccnz .LBB4630_123
; %bb.68:
	ds_write2_b64 v1, v[6:7], v[8:9] offset1:1
	ds_write2_b64 v1, v[10:11], v[12:13] offset0:2 offset1:3
	ds_write_b64 v1, v[14:15] offset:32
	s_waitcnt lgkmcnt(0)
	s_barrier
	ds_read2st64_b32 v[2:3], v22 offset1:2
	ds_read2st64_b32 v[6:7], v22 offset0:4 offset1:6
	ds_read2st64_b32 v[4:5], v22 offset0:8 offset1:10
	;; [unrolled: 1-line block ×4, first 2 shown]
	v_mov_b32_e32 v13, s3
	v_add_co_u32_e32 v12, vcc, s2, v22
	v_addc_co_u32_e32 v13, vcc, 0, v13, vcc
	v_mov_b32_e32 v1, 0
	v_cmp_gt_u32_e32 vcc, s30, v0
	s_and_saveexec_b64 s[0:1], vcc
	s_cbranch_execz .LBB4630_70
; %bb.69:
	s_waitcnt lgkmcnt(0)
	flat_store_dword v[12:13], v2
.LBB4630_70:
	s_or_b64 exec, exec, s[0:1]
	v_or_b32_e32 v14, 0x80, v0
	v_cmp_gt_u32_e32 vcc, s30, v14
	s_and_saveexec_b64 s[0:1], vcc
	s_cbranch_execz .LBB4630_72
; %bb.71:
	s_waitcnt lgkmcnt(0)
	flat_store_dword v[12:13], v3 offset:512
.LBB4630_72:
	s_or_b64 exec, exec, s[0:1]
	v_or_b32_e32 v14, 0x100, v0
	v_cmp_gt_u32_e32 vcc, s30, v14
	s_and_saveexec_b64 s[0:1], vcc
	s_cbranch_execz .LBB4630_74
; %bb.73:
	s_waitcnt lgkmcnt(0)
	flat_store_dword v[12:13], v6 offset:1024
.LBB4630_74:
	;; [unrolled: 9-line block ×7, first 2 shown]
	s_or_b64 exec, exec, s[0:1]
	v_or_b32_e32 v14, 0x400, v0
	v_cmp_gt_u32_e32 vcc, s30, v14
	s_and_saveexec_b64 s[0:1], vcc
	s_cbranch_execz .LBB4630_86
; %bb.85:
	v_add_co_u32_e32 v14, vcc, 0x1000, v12
	v_addc_co_u32_e32 v15, vcc, 0, v13, vcc
	s_waitcnt lgkmcnt(0)
	flat_store_dword v[14:15], v10
.LBB4630_86:
	s_or_b64 exec, exec, s[0:1]
	v_or_b32_e32 v14, 0x480, v0
	v_cmp_gt_u32_e32 vcc, s30, v14
	s_and_saveexec_b64 s[0:1], vcc
	s_cbranch_execz .LBB4630_88
; %bb.87:
	v_add_co_u32_e32 v12, vcc, 0x1000, v12
	v_addc_co_u32_e32 v13, vcc, 0, v13, vcc
	s_waitcnt lgkmcnt(0)
	flat_store_dword v[12:13], v11 offset:512
.LBB4630_88:
	s_or_b64 exec, exec, s[0:1]
	v_cmp_lt_u64_e64 s[0:1], s[14:15], 2
	s_and_b64 vcc, exec, s[0:1]
	s_cbranch_vccnz .LBB4630_123
; %bb.89:
	s_add_u32 s0, s30, -1
	s_addc_u32 s1, s31, -1
	s_add_u32 s2, 0, 0x99986000
	s_addc_u32 s3, 0, 0x59
	s_add_i32 s3, s3, 0x19999940
	s_mul_hi_u32 s7, s2, -10
	s_sub_i32 s7, s7, s2
	s_mul_i32 s8, s3, -10
	s_mul_i32 s4, s2, -10
	s_add_i32 s7, s7, s8
	s_mul_hi_u32 s5, s3, s4
	s_mul_i32 s6, s3, s4
	s_mul_i32 s9, s2, s7
	s_mul_hi_u32 s4, s2, s4
	s_mul_hi_u32 s8, s2, s7
	s_add_u32 s4, s4, s9
	s_addc_u32 s8, 0, s8
	s_add_u32 s4, s4, s6
	s_mul_hi_u32 s9, s3, s7
	s_addc_u32 s4, s8, s5
	s_addc_u32 s5, s9, 0
	s_mul_i32 s6, s3, s7
	s_add_u32 s4, s4, s6
	v_mov_b32_e32 v12, s4
	s_addc_u32 s5, 0, s5
	v_add_co_u32_e32 v12, vcc, s2, v12
	s_cmp_lg_u64 vcc, 0
	s_addc_u32 s2, s3, s5
	v_readfirstlane_b32 s5, v12
	s_mul_i32 s4, s0, s2
	s_mul_hi_u32 s6, s0, s5
	s_mul_hi_u32 s3, s0, s2
	s_add_u32 s4, s6, s4
	s_addc_u32 s3, 0, s3
	s_mul_hi_u32 s7, s1, s5
	s_mul_i32 s5, s1, s5
	s_add_u32 s4, s4, s5
	s_mul_hi_u32 s6, s1, s2
	s_addc_u32 s3, s3, s7
	s_addc_u32 s4, s6, 0
	s_mul_i32 s2, s1, s2
	s_add_u32 s2, s3, s2
	s_addc_u32 s3, 0, s4
	s_add_u32 s4, s2, 1
	s_addc_u32 s5, s3, 0
	s_add_u32 s6, s2, 2
	s_mul_i32 s8, s3, 10
	s_mul_hi_u32 s9, s2, 10
	s_addc_u32 s7, s3, 0
	s_add_i32 s9, s9, s8
	s_mul_i32 s8, s2, 10
	v_mov_b32_e32 v12, s8
	v_sub_co_u32_e32 v12, vcc, s0, v12
	s_cmp_lg_u64 vcc, 0
	s_subb_u32 s8, s1, s9
	v_subrev_co_u32_e32 v13, vcc, 10, v12
	s_cmp_lg_u64 vcc, 0
	s_subb_u32 s9, s8, 0
	v_readfirstlane_b32 s12, v13
	s_cmp_gt_u32 s12, 9
	s_cselect_b32 s12, -1, 0
	s_cmp_eq_u32 s9, 0
	s_cselect_b32 s9, s12, -1
	s_cmp_lg_u32 s9, 0
	s_cselect_b32 s4, s6, s4
	v_readfirstlane_b32 s6, v12
	s_cselect_b32 s5, s7, s5
	s_cmp_gt_u32 s6, 9
	s_cselect_b32 s6, -1, 0
	s_cmp_eq_u32 s8, 0
	s_cselect_b32 s6, s6, -1
	s_cmp_lg_u32 s6, 0
	s_cselect_b32 s3, s5, s3
	s_cselect_b32 s2, s4, s2
	v_cmp_eq_u64_e32 vcc, s[2:3], v[0:1]
	s_and_saveexec_b64 s[2:3], vcc
	s_cbranch_execz .LBB4630_123
; %bb.90:
	v_mul_hi_u32_u24_e32 v1, 10, v0
	v_mov_b32_e32 v12, s1
	v_sub_co_u32_e32 v0, vcc, s0, v23
	v_subb_co_u32_e32 v1, vcc, v12, v1, vcc
	v_cmp_lt_i64_e32 vcc, 4, v[0:1]
	s_and_saveexec_b64 s[0:1], vcc
	s_xor_b64 s[0:1], exec, s[0:1]
	s_cbranch_execz .LBB4630_108
; %bb.91:
	v_cmp_lt_i64_e32 vcc, 6, v[0:1]
	s_and_saveexec_b64 s[2:3], vcc
	s_xor_b64 s[2:3], exec, s[2:3]
	s_cbranch_execz .LBB4630_101
; %bb.92:
	v_cmp_lt_i64_e32 vcc, 7, v[0:1]
	s_and_saveexec_b64 s[4:5], vcc
	s_xor_b64 s[4:5], exec, s[4:5]
	s_cbranch_execz .LBB4630_98
; %bb.93:
	v_cmp_lt_i64_e32 vcc, 8, v[0:1]
	s_and_saveexec_b64 s[6:7], vcc
	s_xor_b64 s[6:7], exec, s[6:7]
	s_cbranch_execz .LBB4630_95
; %bb.94:
	v_mov_b32_e32 v0, 0
	s_waitcnt lgkmcnt(0)
	global_store_dword v0, v11, s[10:11]
                                        ; implicit-def: $vgpr10_vgpr11
.LBB4630_95:
	s_andn2_saveexec_b64 s[6:7], s[6:7]
	s_cbranch_execz .LBB4630_97
; %bb.96:
	v_mov_b32_e32 v0, 0
	s_waitcnt lgkmcnt(0)
	global_store_dword v0, v10, s[10:11]
.LBB4630_97:
	s_or_b64 exec, exec, s[6:7]
                                        ; implicit-def: $vgpr8_vgpr9
.LBB4630_98:
	s_andn2_saveexec_b64 s[4:5], s[4:5]
	s_cbranch_execz .LBB4630_100
; %bb.99:
	v_mov_b32_e32 v0, 0
	s_waitcnt lgkmcnt(0)
	global_store_dword v0, v9, s[10:11]
.LBB4630_100:
	s_or_b64 exec, exec, s[4:5]
                                        ; implicit-def: $vgpr4_vgpr5
                                        ; implicit-def: $vgpr0_vgpr1
                                        ; implicit-def: $vgpr8_vgpr9
.LBB4630_101:
	s_andn2_saveexec_b64 s[2:3], s[2:3]
	s_cbranch_execz .LBB4630_107
; %bb.102:
	v_cmp_lt_i64_e32 vcc, 5, v[0:1]
	s_and_saveexec_b64 s[4:5], vcc
	s_xor_b64 s[4:5], exec, s[4:5]
	s_cbranch_execz .LBB4630_104
; %bb.103:
	v_mov_b32_e32 v0, 0
	s_waitcnt lgkmcnt(0)
	global_store_dword v0, v8, s[10:11]
                                        ; implicit-def: $vgpr4_vgpr5
.LBB4630_104:
	s_andn2_saveexec_b64 s[4:5], s[4:5]
	s_cbranch_execz .LBB4630_106
; %bb.105:
	v_mov_b32_e32 v0, 0
	s_waitcnt lgkmcnt(0)
	global_store_dword v0, v5, s[10:11]
.LBB4630_106:
	s_or_b64 exec, exec, s[4:5]
.LBB4630_107:
	s_or_b64 exec, exec, s[2:3]
                                        ; implicit-def: $vgpr0_vgpr1
                                        ; implicit-def: $vgpr6_vgpr7
                                        ; implicit-def: $vgpr2_vgpr3
                                        ; implicit-def: $vgpr4_vgpr5
.LBB4630_108:
	s_andn2_saveexec_b64 s[0:1], s[0:1]
	s_cbranch_execz .LBB4630_123
; %bb.109:
	v_cmp_lt_i64_e32 vcc, 2, v[0:1]
	s_and_saveexec_b64 s[0:1], vcc
	s_xor_b64 s[0:1], exec, s[0:1]
	s_cbranch_execz .LBB4630_115
; %bb.110:
	v_cmp_lt_i64_e32 vcc, 3, v[0:1]
	s_and_saveexec_b64 s[2:3], vcc
	s_xor_b64 s[2:3], exec, s[2:3]
	s_cbranch_execz .LBB4630_112
; %bb.111:
	v_mov_b32_e32 v0, 0
	s_waitcnt lgkmcnt(0)
	global_store_dword v0, v4, s[10:11]
                                        ; implicit-def: $vgpr6_vgpr7
.LBB4630_112:
	s_andn2_saveexec_b64 s[2:3], s[2:3]
	s_cbranch_execz .LBB4630_114
; %bb.113:
	v_mov_b32_e32 v0, 0
	s_waitcnt lgkmcnt(0)
	global_store_dword v0, v7, s[10:11]
.LBB4630_114:
	s_or_b64 exec, exec, s[2:3]
                                        ; implicit-def: $vgpr0_vgpr1
                                        ; implicit-def: $vgpr6_vgpr7
                                        ; implicit-def: $vgpr2_vgpr3
.LBB4630_115:
	s_andn2_saveexec_b64 s[0:1], s[0:1]
	s_cbranch_execz .LBB4630_123
; %bb.116:
	v_cmp_lt_i64_e32 vcc, 1, v[0:1]
	s_and_saveexec_b64 s[0:1], vcc
	s_xor_b64 s[0:1], exec, s[0:1]
	s_cbranch_execz .LBB4630_118
; %bb.117:
	v_mov_b32_e32 v0, 0
	s_waitcnt lgkmcnt(0)
	global_store_dword v0, v6, s[10:11]
                                        ; implicit-def: $vgpr2_vgpr3
                                        ; implicit-def: $vgpr0_vgpr1
.LBB4630_118:
	s_andn2_saveexec_b64 s[0:1], s[0:1]
	s_cbranch_execz .LBB4630_123
; %bb.119:
	v_cmp_ne_u64_e32 vcc, 1, v[0:1]
	s_and_saveexec_b64 s[0:1], vcc
	s_xor_b64 s[0:1], exec, s[0:1]
	s_cbranch_execz .LBB4630_121
; %bb.120:
	v_mov_b32_e32 v0, 0
	s_waitcnt lgkmcnt(0)
	global_store_dword v0, v2, s[10:11]
                                        ; implicit-def: $vgpr2_vgpr3
.LBB4630_121:
	s_andn2_saveexec_b64 s[0:1], s[0:1]
	s_cbranch_execz .LBB4630_123
; %bb.122:
	v_mov_b32_e32 v0, 0
	s_waitcnt lgkmcnt(0)
	global_store_dword v0, v3, s[10:11]
.LBB4630_123:
	s_endpgm
	.section	.rodata,"a",@progbits
	.p2align	6, 0x0
	.amdhsa_kernel _ZN7rocprim17ROCPRIM_400000_NS6detail17trampoline_kernelINS0_14default_configENS1_20scan_config_selectorIjEEZZNS1_9scan_implILNS1_25lookback_scan_determinismE0ELb0ELb0ES3_N6thrust23THRUST_200600_302600_NS6detail15normal_iteratorINS9_10device_ptrIjEEEESE_jNS9_4plusIvEEjEEDaPvRmT3_T4_T5_mT6_P12ihipStream_tbENKUlT_T0_E_clISt17integral_constantIbLb0EEST_IbLb1EEEEDaSP_SQ_EUlSP_E_NS1_11comp_targetILNS1_3genE4ELNS1_11target_archE910ELNS1_3gpuE8ELNS1_3repE0EEENS1_30default_config_static_selectorELNS0_4arch9wavefront6targetE1EEEvT1_
		.amdhsa_group_segment_fixed_size 5120
		.amdhsa_private_segment_fixed_size 0
		.amdhsa_kernarg_size 96
		.amdhsa_user_sgpr_count 6
		.amdhsa_user_sgpr_private_segment_buffer 1
		.amdhsa_user_sgpr_dispatch_ptr 0
		.amdhsa_user_sgpr_queue_ptr 0
		.amdhsa_user_sgpr_kernarg_segment_ptr 1
		.amdhsa_user_sgpr_dispatch_id 0
		.amdhsa_user_sgpr_flat_scratch_init 0
		.amdhsa_user_sgpr_kernarg_preload_length 0
		.amdhsa_user_sgpr_kernarg_preload_offset 0
		.amdhsa_user_sgpr_private_segment_size 0
		.amdhsa_uses_dynamic_stack 0
		.amdhsa_system_sgpr_private_segment_wavefront_offset 0
		.amdhsa_system_sgpr_workgroup_id_x 1
		.amdhsa_system_sgpr_workgroup_id_y 0
		.amdhsa_system_sgpr_workgroup_id_z 0
		.amdhsa_system_sgpr_workgroup_info 0
		.amdhsa_system_vgpr_workitem_id 0
		.amdhsa_next_free_vgpr 40
		.amdhsa_next_free_sgpr 36
		.amdhsa_accum_offset 40
		.amdhsa_reserve_vcc 1
		.amdhsa_reserve_flat_scratch 0
		.amdhsa_float_round_mode_32 0
		.amdhsa_float_round_mode_16_64 0
		.amdhsa_float_denorm_mode_32 3
		.amdhsa_float_denorm_mode_16_64 3
		.amdhsa_dx10_clamp 1
		.amdhsa_ieee_mode 1
		.amdhsa_fp16_overflow 0
		.amdhsa_tg_split 0
		.amdhsa_exception_fp_ieee_invalid_op 0
		.amdhsa_exception_fp_denorm_src 0
		.amdhsa_exception_fp_ieee_div_zero 0
		.amdhsa_exception_fp_ieee_overflow 0
		.amdhsa_exception_fp_ieee_underflow 0
		.amdhsa_exception_fp_ieee_inexact 0
		.amdhsa_exception_int_div_zero 0
	.end_amdhsa_kernel
	.section	.text._ZN7rocprim17ROCPRIM_400000_NS6detail17trampoline_kernelINS0_14default_configENS1_20scan_config_selectorIjEEZZNS1_9scan_implILNS1_25lookback_scan_determinismE0ELb0ELb0ES3_N6thrust23THRUST_200600_302600_NS6detail15normal_iteratorINS9_10device_ptrIjEEEESE_jNS9_4plusIvEEjEEDaPvRmT3_T4_T5_mT6_P12ihipStream_tbENKUlT_T0_E_clISt17integral_constantIbLb0EEST_IbLb1EEEEDaSP_SQ_EUlSP_E_NS1_11comp_targetILNS1_3genE4ELNS1_11target_archE910ELNS1_3gpuE8ELNS1_3repE0EEENS1_30default_config_static_selectorELNS0_4arch9wavefront6targetE1EEEvT1_,"axG",@progbits,_ZN7rocprim17ROCPRIM_400000_NS6detail17trampoline_kernelINS0_14default_configENS1_20scan_config_selectorIjEEZZNS1_9scan_implILNS1_25lookback_scan_determinismE0ELb0ELb0ES3_N6thrust23THRUST_200600_302600_NS6detail15normal_iteratorINS9_10device_ptrIjEEEESE_jNS9_4plusIvEEjEEDaPvRmT3_T4_T5_mT6_P12ihipStream_tbENKUlT_T0_E_clISt17integral_constantIbLb0EEST_IbLb1EEEEDaSP_SQ_EUlSP_E_NS1_11comp_targetILNS1_3genE4ELNS1_11target_archE910ELNS1_3gpuE8ELNS1_3repE0EEENS1_30default_config_static_selectorELNS0_4arch9wavefront6targetE1EEEvT1_,comdat
.Lfunc_end4630:
	.size	_ZN7rocprim17ROCPRIM_400000_NS6detail17trampoline_kernelINS0_14default_configENS1_20scan_config_selectorIjEEZZNS1_9scan_implILNS1_25lookback_scan_determinismE0ELb0ELb0ES3_N6thrust23THRUST_200600_302600_NS6detail15normal_iteratorINS9_10device_ptrIjEEEESE_jNS9_4plusIvEEjEEDaPvRmT3_T4_T5_mT6_P12ihipStream_tbENKUlT_T0_E_clISt17integral_constantIbLb0EEST_IbLb1EEEEDaSP_SQ_EUlSP_E_NS1_11comp_targetILNS1_3genE4ELNS1_11target_archE910ELNS1_3gpuE8ELNS1_3repE0EEENS1_30default_config_static_selectorELNS0_4arch9wavefront6targetE1EEEvT1_, .Lfunc_end4630-_ZN7rocprim17ROCPRIM_400000_NS6detail17trampoline_kernelINS0_14default_configENS1_20scan_config_selectorIjEEZZNS1_9scan_implILNS1_25lookback_scan_determinismE0ELb0ELb0ES3_N6thrust23THRUST_200600_302600_NS6detail15normal_iteratorINS9_10device_ptrIjEEEESE_jNS9_4plusIvEEjEEDaPvRmT3_T4_T5_mT6_P12ihipStream_tbENKUlT_T0_E_clISt17integral_constantIbLb0EEST_IbLb1EEEEDaSP_SQ_EUlSP_E_NS1_11comp_targetILNS1_3genE4ELNS1_11target_archE910ELNS1_3gpuE8ELNS1_3repE0EEENS1_30default_config_static_selectorELNS0_4arch9wavefront6targetE1EEEvT1_
                                        ; -- End function
	.section	.AMDGPU.csdata,"",@progbits
; Kernel info:
; codeLenInByte = 4564
; NumSgprs: 40
; NumVgprs: 40
; NumAgprs: 0
; TotalNumVgprs: 40
; ScratchSize: 0
; MemoryBound: 0
; FloatMode: 240
; IeeeMode: 1
; LDSByteSize: 5120 bytes/workgroup (compile time only)
; SGPRBlocks: 4
; VGPRBlocks: 4
; NumSGPRsForWavesPerEU: 40
; NumVGPRsForWavesPerEU: 40
; AccumOffset: 40
; Occupancy: 6
; WaveLimiterHint : 1
; COMPUTE_PGM_RSRC2:SCRATCH_EN: 0
; COMPUTE_PGM_RSRC2:USER_SGPR: 6
; COMPUTE_PGM_RSRC2:TRAP_HANDLER: 0
; COMPUTE_PGM_RSRC2:TGID_X_EN: 1
; COMPUTE_PGM_RSRC2:TGID_Y_EN: 0
; COMPUTE_PGM_RSRC2:TGID_Z_EN: 0
; COMPUTE_PGM_RSRC2:TIDIG_COMP_CNT: 0
; COMPUTE_PGM_RSRC3_GFX90A:ACCUM_OFFSET: 9
; COMPUTE_PGM_RSRC3_GFX90A:TG_SPLIT: 0
	.section	.text._ZN7rocprim17ROCPRIM_400000_NS6detail17trampoline_kernelINS0_14default_configENS1_20scan_config_selectorIjEEZZNS1_9scan_implILNS1_25lookback_scan_determinismE0ELb0ELb0ES3_N6thrust23THRUST_200600_302600_NS6detail15normal_iteratorINS9_10device_ptrIjEEEESE_jNS9_4plusIvEEjEEDaPvRmT3_T4_T5_mT6_P12ihipStream_tbENKUlT_T0_E_clISt17integral_constantIbLb0EEST_IbLb1EEEEDaSP_SQ_EUlSP_E_NS1_11comp_targetILNS1_3genE3ELNS1_11target_archE908ELNS1_3gpuE7ELNS1_3repE0EEENS1_30default_config_static_selectorELNS0_4arch9wavefront6targetE1EEEvT1_,"axG",@progbits,_ZN7rocprim17ROCPRIM_400000_NS6detail17trampoline_kernelINS0_14default_configENS1_20scan_config_selectorIjEEZZNS1_9scan_implILNS1_25lookback_scan_determinismE0ELb0ELb0ES3_N6thrust23THRUST_200600_302600_NS6detail15normal_iteratorINS9_10device_ptrIjEEEESE_jNS9_4plusIvEEjEEDaPvRmT3_T4_T5_mT6_P12ihipStream_tbENKUlT_T0_E_clISt17integral_constantIbLb0EEST_IbLb1EEEEDaSP_SQ_EUlSP_E_NS1_11comp_targetILNS1_3genE3ELNS1_11target_archE908ELNS1_3gpuE7ELNS1_3repE0EEENS1_30default_config_static_selectorELNS0_4arch9wavefront6targetE1EEEvT1_,comdat
	.protected	_ZN7rocprim17ROCPRIM_400000_NS6detail17trampoline_kernelINS0_14default_configENS1_20scan_config_selectorIjEEZZNS1_9scan_implILNS1_25lookback_scan_determinismE0ELb0ELb0ES3_N6thrust23THRUST_200600_302600_NS6detail15normal_iteratorINS9_10device_ptrIjEEEESE_jNS9_4plusIvEEjEEDaPvRmT3_T4_T5_mT6_P12ihipStream_tbENKUlT_T0_E_clISt17integral_constantIbLb0EEST_IbLb1EEEEDaSP_SQ_EUlSP_E_NS1_11comp_targetILNS1_3genE3ELNS1_11target_archE908ELNS1_3gpuE7ELNS1_3repE0EEENS1_30default_config_static_selectorELNS0_4arch9wavefront6targetE1EEEvT1_ ; -- Begin function _ZN7rocprim17ROCPRIM_400000_NS6detail17trampoline_kernelINS0_14default_configENS1_20scan_config_selectorIjEEZZNS1_9scan_implILNS1_25lookback_scan_determinismE0ELb0ELb0ES3_N6thrust23THRUST_200600_302600_NS6detail15normal_iteratorINS9_10device_ptrIjEEEESE_jNS9_4plusIvEEjEEDaPvRmT3_T4_T5_mT6_P12ihipStream_tbENKUlT_T0_E_clISt17integral_constantIbLb0EEST_IbLb1EEEEDaSP_SQ_EUlSP_E_NS1_11comp_targetILNS1_3genE3ELNS1_11target_archE908ELNS1_3gpuE7ELNS1_3repE0EEENS1_30default_config_static_selectorELNS0_4arch9wavefront6targetE1EEEvT1_
	.globl	_ZN7rocprim17ROCPRIM_400000_NS6detail17trampoline_kernelINS0_14default_configENS1_20scan_config_selectorIjEEZZNS1_9scan_implILNS1_25lookback_scan_determinismE0ELb0ELb0ES3_N6thrust23THRUST_200600_302600_NS6detail15normal_iteratorINS9_10device_ptrIjEEEESE_jNS9_4plusIvEEjEEDaPvRmT3_T4_T5_mT6_P12ihipStream_tbENKUlT_T0_E_clISt17integral_constantIbLb0EEST_IbLb1EEEEDaSP_SQ_EUlSP_E_NS1_11comp_targetILNS1_3genE3ELNS1_11target_archE908ELNS1_3gpuE7ELNS1_3repE0EEENS1_30default_config_static_selectorELNS0_4arch9wavefront6targetE1EEEvT1_
	.p2align	8
	.type	_ZN7rocprim17ROCPRIM_400000_NS6detail17trampoline_kernelINS0_14default_configENS1_20scan_config_selectorIjEEZZNS1_9scan_implILNS1_25lookback_scan_determinismE0ELb0ELb0ES3_N6thrust23THRUST_200600_302600_NS6detail15normal_iteratorINS9_10device_ptrIjEEEESE_jNS9_4plusIvEEjEEDaPvRmT3_T4_T5_mT6_P12ihipStream_tbENKUlT_T0_E_clISt17integral_constantIbLb0EEST_IbLb1EEEEDaSP_SQ_EUlSP_E_NS1_11comp_targetILNS1_3genE3ELNS1_11target_archE908ELNS1_3gpuE7ELNS1_3repE0EEENS1_30default_config_static_selectorELNS0_4arch9wavefront6targetE1EEEvT1_,@function
_ZN7rocprim17ROCPRIM_400000_NS6detail17trampoline_kernelINS0_14default_configENS1_20scan_config_selectorIjEEZZNS1_9scan_implILNS1_25lookback_scan_determinismE0ELb0ELb0ES3_N6thrust23THRUST_200600_302600_NS6detail15normal_iteratorINS9_10device_ptrIjEEEESE_jNS9_4plusIvEEjEEDaPvRmT3_T4_T5_mT6_P12ihipStream_tbENKUlT_T0_E_clISt17integral_constantIbLb0EEST_IbLb1EEEEDaSP_SQ_EUlSP_E_NS1_11comp_targetILNS1_3genE3ELNS1_11target_archE908ELNS1_3gpuE7ELNS1_3repE0EEENS1_30default_config_static_selectorELNS0_4arch9wavefront6targetE1EEEvT1_: ; @_ZN7rocprim17ROCPRIM_400000_NS6detail17trampoline_kernelINS0_14default_configENS1_20scan_config_selectorIjEEZZNS1_9scan_implILNS1_25lookback_scan_determinismE0ELb0ELb0ES3_N6thrust23THRUST_200600_302600_NS6detail15normal_iteratorINS9_10device_ptrIjEEEESE_jNS9_4plusIvEEjEEDaPvRmT3_T4_T5_mT6_P12ihipStream_tbENKUlT_T0_E_clISt17integral_constantIbLb0EEST_IbLb1EEEEDaSP_SQ_EUlSP_E_NS1_11comp_targetILNS1_3genE3ELNS1_11target_archE908ELNS1_3gpuE7ELNS1_3repE0EEENS1_30default_config_static_selectorELNS0_4arch9wavefront6targetE1EEEvT1_
; %bb.0:
	.section	.rodata,"a",@progbits
	.p2align	6, 0x0
	.amdhsa_kernel _ZN7rocprim17ROCPRIM_400000_NS6detail17trampoline_kernelINS0_14default_configENS1_20scan_config_selectorIjEEZZNS1_9scan_implILNS1_25lookback_scan_determinismE0ELb0ELb0ES3_N6thrust23THRUST_200600_302600_NS6detail15normal_iteratorINS9_10device_ptrIjEEEESE_jNS9_4plusIvEEjEEDaPvRmT3_T4_T5_mT6_P12ihipStream_tbENKUlT_T0_E_clISt17integral_constantIbLb0EEST_IbLb1EEEEDaSP_SQ_EUlSP_E_NS1_11comp_targetILNS1_3genE3ELNS1_11target_archE908ELNS1_3gpuE7ELNS1_3repE0EEENS1_30default_config_static_selectorELNS0_4arch9wavefront6targetE1EEEvT1_
		.amdhsa_group_segment_fixed_size 0
		.amdhsa_private_segment_fixed_size 0
		.amdhsa_kernarg_size 96
		.amdhsa_user_sgpr_count 6
		.amdhsa_user_sgpr_private_segment_buffer 1
		.amdhsa_user_sgpr_dispatch_ptr 0
		.amdhsa_user_sgpr_queue_ptr 0
		.amdhsa_user_sgpr_kernarg_segment_ptr 1
		.amdhsa_user_sgpr_dispatch_id 0
		.amdhsa_user_sgpr_flat_scratch_init 0
		.amdhsa_user_sgpr_kernarg_preload_length 0
		.amdhsa_user_sgpr_kernarg_preload_offset 0
		.amdhsa_user_sgpr_private_segment_size 0
		.amdhsa_uses_dynamic_stack 0
		.amdhsa_system_sgpr_private_segment_wavefront_offset 0
		.amdhsa_system_sgpr_workgroup_id_x 1
		.amdhsa_system_sgpr_workgroup_id_y 0
		.amdhsa_system_sgpr_workgroup_id_z 0
		.amdhsa_system_sgpr_workgroup_info 0
		.amdhsa_system_vgpr_workitem_id 0
		.amdhsa_next_free_vgpr 1
		.amdhsa_next_free_sgpr 0
		.amdhsa_accum_offset 4
		.amdhsa_reserve_vcc 0
		.amdhsa_reserve_flat_scratch 0
		.amdhsa_float_round_mode_32 0
		.amdhsa_float_round_mode_16_64 0
		.amdhsa_float_denorm_mode_32 3
		.amdhsa_float_denorm_mode_16_64 3
		.amdhsa_dx10_clamp 1
		.amdhsa_ieee_mode 1
		.amdhsa_fp16_overflow 0
		.amdhsa_tg_split 0
		.amdhsa_exception_fp_ieee_invalid_op 0
		.amdhsa_exception_fp_denorm_src 0
		.amdhsa_exception_fp_ieee_div_zero 0
		.amdhsa_exception_fp_ieee_overflow 0
		.amdhsa_exception_fp_ieee_underflow 0
		.amdhsa_exception_fp_ieee_inexact 0
		.amdhsa_exception_int_div_zero 0
	.end_amdhsa_kernel
	.section	.text._ZN7rocprim17ROCPRIM_400000_NS6detail17trampoline_kernelINS0_14default_configENS1_20scan_config_selectorIjEEZZNS1_9scan_implILNS1_25lookback_scan_determinismE0ELb0ELb0ES3_N6thrust23THRUST_200600_302600_NS6detail15normal_iteratorINS9_10device_ptrIjEEEESE_jNS9_4plusIvEEjEEDaPvRmT3_T4_T5_mT6_P12ihipStream_tbENKUlT_T0_E_clISt17integral_constantIbLb0EEST_IbLb1EEEEDaSP_SQ_EUlSP_E_NS1_11comp_targetILNS1_3genE3ELNS1_11target_archE908ELNS1_3gpuE7ELNS1_3repE0EEENS1_30default_config_static_selectorELNS0_4arch9wavefront6targetE1EEEvT1_,"axG",@progbits,_ZN7rocprim17ROCPRIM_400000_NS6detail17trampoline_kernelINS0_14default_configENS1_20scan_config_selectorIjEEZZNS1_9scan_implILNS1_25lookback_scan_determinismE0ELb0ELb0ES3_N6thrust23THRUST_200600_302600_NS6detail15normal_iteratorINS9_10device_ptrIjEEEESE_jNS9_4plusIvEEjEEDaPvRmT3_T4_T5_mT6_P12ihipStream_tbENKUlT_T0_E_clISt17integral_constantIbLb0EEST_IbLb1EEEEDaSP_SQ_EUlSP_E_NS1_11comp_targetILNS1_3genE3ELNS1_11target_archE908ELNS1_3gpuE7ELNS1_3repE0EEENS1_30default_config_static_selectorELNS0_4arch9wavefront6targetE1EEEvT1_,comdat
.Lfunc_end4631:
	.size	_ZN7rocprim17ROCPRIM_400000_NS6detail17trampoline_kernelINS0_14default_configENS1_20scan_config_selectorIjEEZZNS1_9scan_implILNS1_25lookback_scan_determinismE0ELb0ELb0ES3_N6thrust23THRUST_200600_302600_NS6detail15normal_iteratorINS9_10device_ptrIjEEEESE_jNS9_4plusIvEEjEEDaPvRmT3_T4_T5_mT6_P12ihipStream_tbENKUlT_T0_E_clISt17integral_constantIbLb0EEST_IbLb1EEEEDaSP_SQ_EUlSP_E_NS1_11comp_targetILNS1_3genE3ELNS1_11target_archE908ELNS1_3gpuE7ELNS1_3repE0EEENS1_30default_config_static_selectorELNS0_4arch9wavefront6targetE1EEEvT1_, .Lfunc_end4631-_ZN7rocprim17ROCPRIM_400000_NS6detail17trampoline_kernelINS0_14default_configENS1_20scan_config_selectorIjEEZZNS1_9scan_implILNS1_25lookback_scan_determinismE0ELb0ELb0ES3_N6thrust23THRUST_200600_302600_NS6detail15normal_iteratorINS9_10device_ptrIjEEEESE_jNS9_4plusIvEEjEEDaPvRmT3_T4_T5_mT6_P12ihipStream_tbENKUlT_T0_E_clISt17integral_constantIbLb0EEST_IbLb1EEEEDaSP_SQ_EUlSP_E_NS1_11comp_targetILNS1_3genE3ELNS1_11target_archE908ELNS1_3gpuE7ELNS1_3repE0EEENS1_30default_config_static_selectorELNS0_4arch9wavefront6targetE1EEEvT1_
                                        ; -- End function
	.section	.AMDGPU.csdata,"",@progbits
; Kernel info:
; codeLenInByte = 0
; NumSgprs: 4
; NumVgprs: 0
; NumAgprs: 0
; TotalNumVgprs: 0
; ScratchSize: 0
; MemoryBound: 0
; FloatMode: 240
; IeeeMode: 1
; LDSByteSize: 0 bytes/workgroup (compile time only)
; SGPRBlocks: 0
; VGPRBlocks: 0
; NumSGPRsForWavesPerEU: 4
; NumVGPRsForWavesPerEU: 1
; AccumOffset: 4
; Occupancy: 8
; WaveLimiterHint : 0
; COMPUTE_PGM_RSRC2:SCRATCH_EN: 0
; COMPUTE_PGM_RSRC2:USER_SGPR: 6
; COMPUTE_PGM_RSRC2:TRAP_HANDLER: 0
; COMPUTE_PGM_RSRC2:TGID_X_EN: 1
; COMPUTE_PGM_RSRC2:TGID_Y_EN: 0
; COMPUTE_PGM_RSRC2:TGID_Z_EN: 0
; COMPUTE_PGM_RSRC2:TIDIG_COMP_CNT: 0
; COMPUTE_PGM_RSRC3_GFX90A:ACCUM_OFFSET: 0
; COMPUTE_PGM_RSRC3_GFX90A:TG_SPLIT: 0
	.section	.text._ZN7rocprim17ROCPRIM_400000_NS6detail17trampoline_kernelINS0_14default_configENS1_20scan_config_selectorIjEEZZNS1_9scan_implILNS1_25lookback_scan_determinismE0ELb0ELb0ES3_N6thrust23THRUST_200600_302600_NS6detail15normal_iteratorINS9_10device_ptrIjEEEESE_jNS9_4plusIvEEjEEDaPvRmT3_T4_T5_mT6_P12ihipStream_tbENKUlT_T0_E_clISt17integral_constantIbLb0EEST_IbLb1EEEEDaSP_SQ_EUlSP_E_NS1_11comp_targetILNS1_3genE2ELNS1_11target_archE906ELNS1_3gpuE6ELNS1_3repE0EEENS1_30default_config_static_selectorELNS0_4arch9wavefront6targetE1EEEvT1_,"axG",@progbits,_ZN7rocprim17ROCPRIM_400000_NS6detail17trampoline_kernelINS0_14default_configENS1_20scan_config_selectorIjEEZZNS1_9scan_implILNS1_25lookback_scan_determinismE0ELb0ELb0ES3_N6thrust23THRUST_200600_302600_NS6detail15normal_iteratorINS9_10device_ptrIjEEEESE_jNS9_4plusIvEEjEEDaPvRmT3_T4_T5_mT6_P12ihipStream_tbENKUlT_T0_E_clISt17integral_constantIbLb0EEST_IbLb1EEEEDaSP_SQ_EUlSP_E_NS1_11comp_targetILNS1_3genE2ELNS1_11target_archE906ELNS1_3gpuE6ELNS1_3repE0EEENS1_30default_config_static_selectorELNS0_4arch9wavefront6targetE1EEEvT1_,comdat
	.protected	_ZN7rocprim17ROCPRIM_400000_NS6detail17trampoline_kernelINS0_14default_configENS1_20scan_config_selectorIjEEZZNS1_9scan_implILNS1_25lookback_scan_determinismE0ELb0ELb0ES3_N6thrust23THRUST_200600_302600_NS6detail15normal_iteratorINS9_10device_ptrIjEEEESE_jNS9_4plusIvEEjEEDaPvRmT3_T4_T5_mT6_P12ihipStream_tbENKUlT_T0_E_clISt17integral_constantIbLb0EEST_IbLb1EEEEDaSP_SQ_EUlSP_E_NS1_11comp_targetILNS1_3genE2ELNS1_11target_archE906ELNS1_3gpuE6ELNS1_3repE0EEENS1_30default_config_static_selectorELNS0_4arch9wavefront6targetE1EEEvT1_ ; -- Begin function _ZN7rocprim17ROCPRIM_400000_NS6detail17trampoline_kernelINS0_14default_configENS1_20scan_config_selectorIjEEZZNS1_9scan_implILNS1_25lookback_scan_determinismE0ELb0ELb0ES3_N6thrust23THRUST_200600_302600_NS6detail15normal_iteratorINS9_10device_ptrIjEEEESE_jNS9_4plusIvEEjEEDaPvRmT3_T4_T5_mT6_P12ihipStream_tbENKUlT_T0_E_clISt17integral_constantIbLb0EEST_IbLb1EEEEDaSP_SQ_EUlSP_E_NS1_11comp_targetILNS1_3genE2ELNS1_11target_archE906ELNS1_3gpuE6ELNS1_3repE0EEENS1_30default_config_static_selectorELNS0_4arch9wavefront6targetE1EEEvT1_
	.globl	_ZN7rocprim17ROCPRIM_400000_NS6detail17trampoline_kernelINS0_14default_configENS1_20scan_config_selectorIjEEZZNS1_9scan_implILNS1_25lookback_scan_determinismE0ELb0ELb0ES3_N6thrust23THRUST_200600_302600_NS6detail15normal_iteratorINS9_10device_ptrIjEEEESE_jNS9_4plusIvEEjEEDaPvRmT3_T4_T5_mT6_P12ihipStream_tbENKUlT_T0_E_clISt17integral_constantIbLb0EEST_IbLb1EEEEDaSP_SQ_EUlSP_E_NS1_11comp_targetILNS1_3genE2ELNS1_11target_archE906ELNS1_3gpuE6ELNS1_3repE0EEENS1_30default_config_static_selectorELNS0_4arch9wavefront6targetE1EEEvT1_
	.p2align	8
	.type	_ZN7rocprim17ROCPRIM_400000_NS6detail17trampoline_kernelINS0_14default_configENS1_20scan_config_selectorIjEEZZNS1_9scan_implILNS1_25lookback_scan_determinismE0ELb0ELb0ES3_N6thrust23THRUST_200600_302600_NS6detail15normal_iteratorINS9_10device_ptrIjEEEESE_jNS9_4plusIvEEjEEDaPvRmT3_T4_T5_mT6_P12ihipStream_tbENKUlT_T0_E_clISt17integral_constantIbLb0EEST_IbLb1EEEEDaSP_SQ_EUlSP_E_NS1_11comp_targetILNS1_3genE2ELNS1_11target_archE906ELNS1_3gpuE6ELNS1_3repE0EEENS1_30default_config_static_selectorELNS0_4arch9wavefront6targetE1EEEvT1_,@function
_ZN7rocprim17ROCPRIM_400000_NS6detail17trampoline_kernelINS0_14default_configENS1_20scan_config_selectorIjEEZZNS1_9scan_implILNS1_25lookback_scan_determinismE0ELb0ELb0ES3_N6thrust23THRUST_200600_302600_NS6detail15normal_iteratorINS9_10device_ptrIjEEEESE_jNS9_4plusIvEEjEEDaPvRmT3_T4_T5_mT6_P12ihipStream_tbENKUlT_T0_E_clISt17integral_constantIbLb0EEST_IbLb1EEEEDaSP_SQ_EUlSP_E_NS1_11comp_targetILNS1_3genE2ELNS1_11target_archE906ELNS1_3gpuE6ELNS1_3repE0EEENS1_30default_config_static_selectorELNS0_4arch9wavefront6targetE1EEEvT1_: ; @_ZN7rocprim17ROCPRIM_400000_NS6detail17trampoline_kernelINS0_14default_configENS1_20scan_config_selectorIjEEZZNS1_9scan_implILNS1_25lookback_scan_determinismE0ELb0ELb0ES3_N6thrust23THRUST_200600_302600_NS6detail15normal_iteratorINS9_10device_ptrIjEEEESE_jNS9_4plusIvEEjEEDaPvRmT3_T4_T5_mT6_P12ihipStream_tbENKUlT_T0_E_clISt17integral_constantIbLb0EEST_IbLb1EEEEDaSP_SQ_EUlSP_E_NS1_11comp_targetILNS1_3genE2ELNS1_11target_archE906ELNS1_3gpuE6ELNS1_3repE0EEENS1_30default_config_static_selectorELNS0_4arch9wavefront6targetE1EEEvT1_
; %bb.0:
	.section	.rodata,"a",@progbits
	.p2align	6, 0x0
	.amdhsa_kernel _ZN7rocprim17ROCPRIM_400000_NS6detail17trampoline_kernelINS0_14default_configENS1_20scan_config_selectorIjEEZZNS1_9scan_implILNS1_25lookback_scan_determinismE0ELb0ELb0ES3_N6thrust23THRUST_200600_302600_NS6detail15normal_iteratorINS9_10device_ptrIjEEEESE_jNS9_4plusIvEEjEEDaPvRmT3_T4_T5_mT6_P12ihipStream_tbENKUlT_T0_E_clISt17integral_constantIbLb0EEST_IbLb1EEEEDaSP_SQ_EUlSP_E_NS1_11comp_targetILNS1_3genE2ELNS1_11target_archE906ELNS1_3gpuE6ELNS1_3repE0EEENS1_30default_config_static_selectorELNS0_4arch9wavefront6targetE1EEEvT1_
		.amdhsa_group_segment_fixed_size 0
		.amdhsa_private_segment_fixed_size 0
		.amdhsa_kernarg_size 96
		.amdhsa_user_sgpr_count 6
		.amdhsa_user_sgpr_private_segment_buffer 1
		.amdhsa_user_sgpr_dispatch_ptr 0
		.amdhsa_user_sgpr_queue_ptr 0
		.amdhsa_user_sgpr_kernarg_segment_ptr 1
		.amdhsa_user_sgpr_dispatch_id 0
		.amdhsa_user_sgpr_flat_scratch_init 0
		.amdhsa_user_sgpr_kernarg_preload_length 0
		.amdhsa_user_sgpr_kernarg_preload_offset 0
		.amdhsa_user_sgpr_private_segment_size 0
		.amdhsa_uses_dynamic_stack 0
		.amdhsa_system_sgpr_private_segment_wavefront_offset 0
		.amdhsa_system_sgpr_workgroup_id_x 1
		.amdhsa_system_sgpr_workgroup_id_y 0
		.amdhsa_system_sgpr_workgroup_id_z 0
		.amdhsa_system_sgpr_workgroup_info 0
		.amdhsa_system_vgpr_workitem_id 0
		.amdhsa_next_free_vgpr 1
		.amdhsa_next_free_sgpr 0
		.amdhsa_accum_offset 4
		.amdhsa_reserve_vcc 0
		.amdhsa_reserve_flat_scratch 0
		.amdhsa_float_round_mode_32 0
		.amdhsa_float_round_mode_16_64 0
		.amdhsa_float_denorm_mode_32 3
		.amdhsa_float_denorm_mode_16_64 3
		.amdhsa_dx10_clamp 1
		.amdhsa_ieee_mode 1
		.amdhsa_fp16_overflow 0
		.amdhsa_tg_split 0
		.amdhsa_exception_fp_ieee_invalid_op 0
		.amdhsa_exception_fp_denorm_src 0
		.amdhsa_exception_fp_ieee_div_zero 0
		.amdhsa_exception_fp_ieee_overflow 0
		.amdhsa_exception_fp_ieee_underflow 0
		.amdhsa_exception_fp_ieee_inexact 0
		.amdhsa_exception_int_div_zero 0
	.end_amdhsa_kernel
	.section	.text._ZN7rocprim17ROCPRIM_400000_NS6detail17trampoline_kernelINS0_14default_configENS1_20scan_config_selectorIjEEZZNS1_9scan_implILNS1_25lookback_scan_determinismE0ELb0ELb0ES3_N6thrust23THRUST_200600_302600_NS6detail15normal_iteratorINS9_10device_ptrIjEEEESE_jNS9_4plusIvEEjEEDaPvRmT3_T4_T5_mT6_P12ihipStream_tbENKUlT_T0_E_clISt17integral_constantIbLb0EEST_IbLb1EEEEDaSP_SQ_EUlSP_E_NS1_11comp_targetILNS1_3genE2ELNS1_11target_archE906ELNS1_3gpuE6ELNS1_3repE0EEENS1_30default_config_static_selectorELNS0_4arch9wavefront6targetE1EEEvT1_,"axG",@progbits,_ZN7rocprim17ROCPRIM_400000_NS6detail17trampoline_kernelINS0_14default_configENS1_20scan_config_selectorIjEEZZNS1_9scan_implILNS1_25lookback_scan_determinismE0ELb0ELb0ES3_N6thrust23THRUST_200600_302600_NS6detail15normal_iteratorINS9_10device_ptrIjEEEESE_jNS9_4plusIvEEjEEDaPvRmT3_T4_T5_mT6_P12ihipStream_tbENKUlT_T0_E_clISt17integral_constantIbLb0EEST_IbLb1EEEEDaSP_SQ_EUlSP_E_NS1_11comp_targetILNS1_3genE2ELNS1_11target_archE906ELNS1_3gpuE6ELNS1_3repE0EEENS1_30default_config_static_selectorELNS0_4arch9wavefront6targetE1EEEvT1_,comdat
.Lfunc_end4632:
	.size	_ZN7rocprim17ROCPRIM_400000_NS6detail17trampoline_kernelINS0_14default_configENS1_20scan_config_selectorIjEEZZNS1_9scan_implILNS1_25lookback_scan_determinismE0ELb0ELb0ES3_N6thrust23THRUST_200600_302600_NS6detail15normal_iteratorINS9_10device_ptrIjEEEESE_jNS9_4plusIvEEjEEDaPvRmT3_T4_T5_mT6_P12ihipStream_tbENKUlT_T0_E_clISt17integral_constantIbLb0EEST_IbLb1EEEEDaSP_SQ_EUlSP_E_NS1_11comp_targetILNS1_3genE2ELNS1_11target_archE906ELNS1_3gpuE6ELNS1_3repE0EEENS1_30default_config_static_selectorELNS0_4arch9wavefront6targetE1EEEvT1_, .Lfunc_end4632-_ZN7rocprim17ROCPRIM_400000_NS6detail17trampoline_kernelINS0_14default_configENS1_20scan_config_selectorIjEEZZNS1_9scan_implILNS1_25lookback_scan_determinismE0ELb0ELb0ES3_N6thrust23THRUST_200600_302600_NS6detail15normal_iteratorINS9_10device_ptrIjEEEESE_jNS9_4plusIvEEjEEDaPvRmT3_T4_T5_mT6_P12ihipStream_tbENKUlT_T0_E_clISt17integral_constantIbLb0EEST_IbLb1EEEEDaSP_SQ_EUlSP_E_NS1_11comp_targetILNS1_3genE2ELNS1_11target_archE906ELNS1_3gpuE6ELNS1_3repE0EEENS1_30default_config_static_selectorELNS0_4arch9wavefront6targetE1EEEvT1_
                                        ; -- End function
	.section	.AMDGPU.csdata,"",@progbits
; Kernel info:
; codeLenInByte = 0
; NumSgprs: 4
; NumVgprs: 0
; NumAgprs: 0
; TotalNumVgprs: 0
; ScratchSize: 0
; MemoryBound: 0
; FloatMode: 240
; IeeeMode: 1
; LDSByteSize: 0 bytes/workgroup (compile time only)
; SGPRBlocks: 0
; VGPRBlocks: 0
; NumSGPRsForWavesPerEU: 4
; NumVGPRsForWavesPerEU: 1
; AccumOffset: 4
; Occupancy: 8
; WaveLimiterHint : 0
; COMPUTE_PGM_RSRC2:SCRATCH_EN: 0
; COMPUTE_PGM_RSRC2:USER_SGPR: 6
; COMPUTE_PGM_RSRC2:TRAP_HANDLER: 0
; COMPUTE_PGM_RSRC2:TGID_X_EN: 1
; COMPUTE_PGM_RSRC2:TGID_Y_EN: 0
; COMPUTE_PGM_RSRC2:TGID_Z_EN: 0
; COMPUTE_PGM_RSRC2:TIDIG_COMP_CNT: 0
; COMPUTE_PGM_RSRC3_GFX90A:ACCUM_OFFSET: 0
; COMPUTE_PGM_RSRC3_GFX90A:TG_SPLIT: 0
	.section	.text._ZN7rocprim17ROCPRIM_400000_NS6detail17trampoline_kernelINS0_14default_configENS1_20scan_config_selectorIjEEZZNS1_9scan_implILNS1_25lookback_scan_determinismE0ELb0ELb0ES3_N6thrust23THRUST_200600_302600_NS6detail15normal_iteratorINS9_10device_ptrIjEEEESE_jNS9_4plusIvEEjEEDaPvRmT3_T4_T5_mT6_P12ihipStream_tbENKUlT_T0_E_clISt17integral_constantIbLb0EEST_IbLb1EEEEDaSP_SQ_EUlSP_E_NS1_11comp_targetILNS1_3genE10ELNS1_11target_archE1201ELNS1_3gpuE5ELNS1_3repE0EEENS1_30default_config_static_selectorELNS0_4arch9wavefront6targetE1EEEvT1_,"axG",@progbits,_ZN7rocprim17ROCPRIM_400000_NS6detail17trampoline_kernelINS0_14default_configENS1_20scan_config_selectorIjEEZZNS1_9scan_implILNS1_25lookback_scan_determinismE0ELb0ELb0ES3_N6thrust23THRUST_200600_302600_NS6detail15normal_iteratorINS9_10device_ptrIjEEEESE_jNS9_4plusIvEEjEEDaPvRmT3_T4_T5_mT6_P12ihipStream_tbENKUlT_T0_E_clISt17integral_constantIbLb0EEST_IbLb1EEEEDaSP_SQ_EUlSP_E_NS1_11comp_targetILNS1_3genE10ELNS1_11target_archE1201ELNS1_3gpuE5ELNS1_3repE0EEENS1_30default_config_static_selectorELNS0_4arch9wavefront6targetE1EEEvT1_,comdat
	.protected	_ZN7rocprim17ROCPRIM_400000_NS6detail17trampoline_kernelINS0_14default_configENS1_20scan_config_selectorIjEEZZNS1_9scan_implILNS1_25lookback_scan_determinismE0ELb0ELb0ES3_N6thrust23THRUST_200600_302600_NS6detail15normal_iteratorINS9_10device_ptrIjEEEESE_jNS9_4plusIvEEjEEDaPvRmT3_T4_T5_mT6_P12ihipStream_tbENKUlT_T0_E_clISt17integral_constantIbLb0EEST_IbLb1EEEEDaSP_SQ_EUlSP_E_NS1_11comp_targetILNS1_3genE10ELNS1_11target_archE1201ELNS1_3gpuE5ELNS1_3repE0EEENS1_30default_config_static_selectorELNS0_4arch9wavefront6targetE1EEEvT1_ ; -- Begin function _ZN7rocprim17ROCPRIM_400000_NS6detail17trampoline_kernelINS0_14default_configENS1_20scan_config_selectorIjEEZZNS1_9scan_implILNS1_25lookback_scan_determinismE0ELb0ELb0ES3_N6thrust23THRUST_200600_302600_NS6detail15normal_iteratorINS9_10device_ptrIjEEEESE_jNS9_4plusIvEEjEEDaPvRmT3_T4_T5_mT6_P12ihipStream_tbENKUlT_T0_E_clISt17integral_constantIbLb0EEST_IbLb1EEEEDaSP_SQ_EUlSP_E_NS1_11comp_targetILNS1_3genE10ELNS1_11target_archE1201ELNS1_3gpuE5ELNS1_3repE0EEENS1_30default_config_static_selectorELNS0_4arch9wavefront6targetE1EEEvT1_
	.globl	_ZN7rocprim17ROCPRIM_400000_NS6detail17trampoline_kernelINS0_14default_configENS1_20scan_config_selectorIjEEZZNS1_9scan_implILNS1_25lookback_scan_determinismE0ELb0ELb0ES3_N6thrust23THRUST_200600_302600_NS6detail15normal_iteratorINS9_10device_ptrIjEEEESE_jNS9_4plusIvEEjEEDaPvRmT3_T4_T5_mT6_P12ihipStream_tbENKUlT_T0_E_clISt17integral_constantIbLb0EEST_IbLb1EEEEDaSP_SQ_EUlSP_E_NS1_11comp_targetILNS1_3genE10ELNS1_11target_archE1201ELNS1_3gpuE5ELNS1_3repE0EEENS1_30default_config_static_selectorELNS0_4arch9wavefront6targetE1EEEvT1_
	.p2align	8
	.type	_ZN7rocprim17ROCPRIM_400000_NS6detail17trampoline_kernelINS0_14default_configENS1_20scan_config_selectorIjEEZZNS1_9scan_implILNS1_25lookback_scan_determinismE0ELb0ELb0ES3_N6thrust23THRUST_200600_302600_NS6detail15normal_iteratorINS9_10device_ptrIjEEEESE_jNS9_4plusIvEEjEEDaPvRmT3_T4_T5_mT6_P12ihipStream_tbENKUlT_T0_E_clISt17integral_constantIbLb0EEST_IbLb1EEEEDaSP_SQ_EUlSP_E_NS1_11comp_targetILNS1_3genE10ELNS1_11target_archE1201ELNS1_3gpuE5ELNS1_3repE0EEENS1_30default_config_static_selectorELNS0_4arch9wavefront6targetE1EEEvT1_,@function
_ZN7rocprim17ROCPRIM_400000_NS6detail17trampoline_kernelINS0_14default_configENS1_20scan_config_selectorIjEEZZNS1_9scan_implILNS1_25lookback_scan_determinismE0ELb0ELb0ES3_N6thrust23THRUST_200600_302600_NS6detail15normal_iteratorINS9_10device_ptrIjEEEESE_jNS9_4plusIvEEjEEDaPvRmT3_T4_T5_mT6_P12ihipStream_tbENKUlT_T0_E_clISt17integral_constantIbLb0EEST_IbLb1EEEEDaSP_SQ_EUlSP_E_NS1_11comp_targetILNS1_3genE10ELNS1_11target_archE1201ELNS1_3gpuE5ELNS1_3repE0EEENS1_30default_config_static_selectorELNS0_4arch9wavefront6targetE1EEEvT1_: ; @_ZN7rocprim17ROCPRIM_400000_NS6detail17trampoline_kernelINS0_14default_configENS1_20scan_config_selectorIjEEZZNS1_9scan_implILNS1_25lookback_scan_determinismE0ELb0ELb0ES3_N6thrust23THRUST_200600_302600_NS6detail15normal_iteratorINS9_10device_ptrIjEEEESE_jNS9_4plusIvEEjEEDaPvRmT3_T4_T5_mT6_P12ihipStream_tbENKUlT_T0_E_clISt17integral_constantIbLb0EEST_IbLb1EEEEDaSP_SQ_EUlSP_E_NS1_11comp_targetILNS1_3genE10ELNS1_11target_archE1201ELNS1_3gpuE5ELNS1_3repE0EEENS1_30default_config_static_selectorELNS0_4arch9wavefront6targetE1EEEvT1_
; %bb.0:
	.section	.rodata,"a",@progbits
	.p2align	6, 0x0
	.amdhsa_kernel _ZN7rocprim17ROCPRIM_400000_NS6detail17trampoline_kernelINS0_14default_configENS1_20scan_config_selectorIjEEZZNS1_9scan_implILNS1_25lookback_scan_determinismE0ELb0ELb0ES3_N6thrust23THRUST_200600_302600_NS6detail15normal_iteratorINS9_10device_ptrIjEEEESE_jNS9_4plusIvEEjEEDaPvRmT3_T4_T5_mT6_P12ihipStream_tbENKUlT_T0_E_clISt17integral_constantIbLb0EEST_IbLb1EEEEDaSP_SQ_EUlSP_E_NS1_11comp_targetILNS1_3genE10ELNS1_11target_archE1201ELNS1_3gpuE5ELNS1_3repE0EEENS1_30default_config_static_selectorELNS0_4arch9wavefront6targetE1EEEvT1_
		.amdhsa_group_segment_fixed_size 0
		.amdhsa_private_segment_fixed_size 0
		.amdhsa_kernarg_size 96
		.amdhsa_user_sgpr_count 6
		.amdhsa_user_sgpr_private_segment_buffer 1
		.amdhsa_user_sgpr_dispatch_ptr 0
		.amdhsa_user_sgpr_queue_ptr 0
		.amdhsa_user_sgpr_kernarg_segment_ptr 1
		.amdhsa_user_sgpr_dispatch_id 0
		.amdhsa_user_sgpr_flat_scratch_init 0
		.amdhsa_user_sgpr_kernarg_preload_length 0
		.amdhsa_user_sgpr_kernarg_preload_offset 0
		.amdhsa_user_sgpr_private_segment_size 0
		.amdhsa_uses_dynamic_stack 0
		.amdhsa_system_sgpr_private_segment_wavefront_offset 0
		.amdhsa_system_sgpr_workgroup_id_x 1
		.amdhsa_system_sgpr_workgroup_id_y 0
		.amdhsa_system_sgpr_workgroup_id_z 0
		.amdhsa_system_sgpr_workgroup_info 0
		.amdhsa_system_vgpr_workitem_id 0
		.amdhsa_next_free_vgpr 1
		.amdhsa_next_free_sgpr 0
		.amdhsa_accum_offset 4
		.amdhsa_reserve_vcc 0
		.amdhsa_reserve_flat_scratch 0
		.amdhsa_float_round_mode_32 0
		.amdhsa_float_round_mode_16_64 0
		.amdhsa_float_denorm_mode_32 3
		.amdhsa_float_denorm_mode_16_64 3
		.amdhsa_dx10_clamp 1
		.amdhsa_ieee_mode 1
		.amdhsa_fp16_overflow 0
		.amdhsa_tg_split 0
		.amdhsa_exception_fp_ieee_invalid_op 0
		.amdhsa_exception_fp_denorm_src 0
		.amdhsa_exception_fp_ieee_div_zero 0
		.amdhsa_exception_fp_ieee_overflow 0
		.amdhsa_exception_fp_ieee_underflow 0
		.amdhsa_exception_fp_ieee_inexact 0
		.amdhsa_exception_int_div_zero 0
	.end_amdhsa_kernel
	.section	.text._ZN7rocprim17ROCPRIM_400000_NS6detail17trampoline_kernelINS0_14default_configENS1_20scan_config_selectorIjEEZZNS1_9scan_implILNS1_25lookback_scan_determinismE0ELb0ELb0ES3_N6thrust23THRUST_200600_302600_NS6detail15normal_iteratorINS9_10device_ptrIjEEEESE_jNS9_4plusIvEEjEEDaPvRmT3_T4_T5_mT6_P12ihipStream_tbENKUlT_T0_E_clISt17integral_constantIbLb0EEST_IbLb1EEEEDaSP_SQ_EUlSP_E_NS1_11comp_targetILNS1_3genE10ELNS1_11target_archE1201ELNS1_3gpuE5ELNS1_3repE0EEENS1_30default_config_static_selectorELNS0_4arch9wavefront6targetE1EEEvT1_,"axG",@progbits,_ZN7rocprim17ROCPRIM_400000_NS6detail17trampoline_kernelINS0_14default_configENS1_20scan_config_selectorIjEEZZNS1_9scan_implILNS1_25lookback_scan_determinismE0ELb0ELb0ES3_N6thrust23THRUST_200600_302600_NS6detail15normal_iteratorINS9_10device_ptrIjEEEESE_jNS9_4plusIvEEjEEDaPvRmT3_T4_T5_mT6_P12ihipStream_tbENKUlT_T0_E_clISt17integral_constantIbLb0EEST_IbLb1EEEEDaSP_SQ_EUlSP_E_NS1_11comp_targetILNS1_3genE10ELNS1_11target_archE1201ELNS1_3gpuE5ELNS1_3repE0EEENS1_30default_config_static_selectorELNS0_4arch9wavefront6targetE1EEEvT1_,comdat
.Lfunc_end4633:
	.size	_ZN7rocprim17ROCPRIM_400000_NS6detail17trampoline_kernelINS0_14default_configENS1_20scan_config_selectorIjEEZZNS1_9scan_implILNS1_25lookback_scan_determinismE0ELb0ELb0ES3_N6thrust23THRUST_200600_302600_NS6detail15normal_iteratorINS9_10device_ptrIjEEEESE_jNS9_4plusIvEEjEEDaPvRmT3_T4_T5_mT6_P12ihipStream_tbENKUlT_T0_E_clISt17integral_constantIbLb0EEST_IbLb1EEEEDaSP_SQ_EUlSP_E_NS1_11comp_targetILNS1_3genE10ELNS1_11target_archE1201ELNS1_3gpuE5ELNS1_3repE0EEENS1_30default_config_static_selectorELNS0_4arch9wavefront6targetE1EEEvT1_, .Lfunc_end4633-_ZN7rocprim17ROCPRIM_400000_NS6detail17trampoline_kernelINS0_14default_configENS1_20scan_config_selectorIjEEZZNS1_9scan_implILNS1_25lookback_scan_determinismE0ELb0ELb0ES3_N6thrust23THRUST_200600_302600_NS6detail15normal_iteratorINS9_10device_ptrIjEEEESE_jNS9_4plusIvEEjEEDaPvRmT3_T4_T5_mT6_P12ihipStream_tbENKUlT_T0_E_clISt17integral_constantIbLb0EEST_IbLb1EEEEDaSP_SQ_EUlSP_E_NS1_11comp_targetILNS1_3genE10ELNS1_11target_archE1201ELNS1_3gpuE5ELNS1_3repE0EEENS1_30default_config_static_selectorELNS0_4arch9wavefront6targetE1EEEvT1_
                                        ; -- End function
	.section	.AMDGPU.csdata,"",@progbits
; Kernel info:
; codeLenInByte = 0
; NumSgprs: 4
; NumVgprs: 0
; NumAgprs: 0
; TotalNumVgprs: 0
; ScratchSize: 0
; MemoryBound: 0
; FloatMode: 240
; IeeeMode: 1
; LDSByteSize: 0 bytes/workgroup (compile time only)
; SGPRBlocks: 0
; VGPRBlocks: 0
; NumSGPRsForWavesPerEU: 4
; NumVGPRsForWavesPerEU: 1
; AccumOffset: 4
; Occupancy: 8
; WaveLimiterHint : 0
; COMPUTE_PGM_RSRC2:SCRATCH_EN: 0
; COMPUTE_PGM_RSRC2:USER_SGPR: 6
; COMPUTE_PGM_RSRC2:TRAP_HANDLER: 0
; COMPUTE_PGM_RSRC2:TGID_X_EN: 1
; COMPUTE_PGM_RSRC2:TGID_Y_EN: 0
; COMPUTE_PGM_RSRC2:TGID_Z_EN: 0
; COMPUTE_PGM_RSRC2:TIDIG_COMP_CNT: 0
; COMPUTE_PGM_RSRC3_GFX90A:ACCUM_OFFSET: 0
; COMPUTE_PGM_RSRC3_GFX90A:TG_SPLIT: 0
	.section	.text._ZN7rocprim17ROCPRIM_400000_NS6detail17trampoline_kernelINS0_14default_configENS1_20scan_config_selectorIjEEZZNS1_9scan_implILNS1_25lookback_scan_determinismE0ELb0ELb0ES3_N6thrust23THRUST_200600_302600_NS6detail15normal_iteratorINS9_10device_ptrIjEEEESE_jNS9_4plusIvEEjEEDaPvRmT3_T4_T5_mT6_P12ihipStream_tbENKUlT_T0_E_clISt17integral_constantIbLb0EEST_IbLb1EEEEDaSP_SQ_EUlSP_E_NS1_11comp_targetILNS1_3genE10ELNS1_11target_archE1200ELNS1_3gpuE4ELNS1_3repE0EEENS1_30default_config_static_selectorELNS0_4arch9wavefront6targetE1EEEvT1_,"axG",@progbits,_ZN7rocprim17ROCPRIM_400000_NS6detail17trampoline_kernelINS0_14default_configENS1_20scan_config_selectorIjEEZZNS1_9scan_implILNS1_25lookback_scan_determinismE0ELb0ELb0ES3_N6thrust23THRUST_200600_302600_NS6detail15normal_iteratorINS9_10device_ptrIjEEEESE_jNS9_4plusIvEEjEEDaPvRmT3_T4_T5_mT6_P12ihipStream_tbENKUlT_T0_E_clISt17integral_constantIbLb0EEST_IbLb1EEEEDaSP_SQ_EUlSP_E_NS1_11comp_targetILNS1_3genE10ELNS1_11target_archE1200ELNS1_3gpuE4ELNS1_3repE0EEENS1_30default_config_static_selectorELNS0_4arch9wavefront6targetE1EEEvT1_,comdat
	.protected	_ZN7rocprim17ROCPRIM_400000_NS6detail17trampoline_kernelINS0_14default_configENS1_20scan_config_selectorIjEEZZNS1_9scan_implILNS1_25lookback_scan_determinismE0ELb0ELb0ES3_N6thrust23THRUST_200600_302600_NS6detail15normal_iteratorINS9_10device_ptrIjEEEESE_jNS9_4plusIvEEjEEDaPvRmT3_T4_T5_mT6_P12ihipStream_tbENKUlT_T0_E_clISt17integral_constantIbLb0EEST_IbLb1EEEEDaSP_SQ_EUlSP_E_NS1_11comp_targetILNS1_3genE10ELNS1_11target_archE1200ELNS1_3gpuE4ELNS1_3repE0EEENS1_30default_config_static_selectorELNS0_4arch9wavefront6targetE1EEEvT1_ ; -- Begin function _ZN7rocprim17ROCPRIM_400000_NS6detail17trampoline_kernelINS0_14default_configENS1_20scan_config_selectorIjEEZZNS1_9scan_implILNS1_25lookback_scan_determinismE0ELb0ELb0ES3_N6thrust23THRUST_200600_302600_NS6detail15normal_iteratorINS9_10device_ptrIjEEEESE_jNS9_4plusIvEEjEEDaPvRmT3_T4_T5_mT6_P12ihipStream_tbENKUlT_T0_E_clISt17integral_constantIbLb0EEST_IbLb1EEEEDaSP_SQ_EUlSP_E_NS1_11comp_targetILNS1_3genE10ELNS1_11target_archE1200ELNS1_3gpuE4ELNS1_3repE0EEENS1_30default_config_static_selectorELNS0_4arch9wavefront6targetE1EEEvT1_
	.globl	_ZN7rocprim17ROCPRIM_400000_NS6detail17trampoline_kernelINS0_14default_configENS1_20scan_config_selectorIjEEZZNS1_9scan_implILNS1_25lookback_scan_determinismE0ELb0ELb0ES3_N6thrust23THRUST_200600_302600_NS6detail15normal_iteratorINS9_10device_ptrIjEEEESE_jNS9_4plusIvEEjEEDaPvRmT3_T4_T5_mT6_P12ihipStream_tbENKUlT_T0_E_clISt17integral_constantIbLb0EEST_IbLb1EEEEDaSP_SQ_EUlSP_E_NS1_11comp_targetILNS1_3genE10ELNS1_11target_archE1200ELNS1_3gpuE4ELNS1_3repE0EEENS1_30default_config_static_selectorELNS0_4arch9wavefront6targetE1EEEvT1_
	.p2align	8
	.type	_ZN7rocprim17ROCPRIM_400000_NS6detail17trampoline_kernelINS0_14default_configENS1_20scan_config_selectorIjEEZZNS1_9scan_implILNS1_25lookback_scan_determinismE0ELb0ELb0ES3_N6thrust23THRUST_200600_302600_NS6detail15normal_iteratorINS9_10device_ptrIjEEEESE_jNS9_4plusIvEEjEEDaPvRmT3_T4_T5_mT6_P12ihipStream_tbENKUlT_T0_E_clISt17integral_constantIbLb0EEST_IbLb1EEEEDaSP_SQ_EUlSP_E_NS1_11comp_targetILNS1_3genE10ELNS1_11target_archE1200ELNS1_3gpuE4ELNS1_3repE0EEENS1_30default_config_static_selectorELNS0_4arch9wavefront6targetE1EEEvT1_,@function
_ZN7rocprim17ROCPRIM_400000_NS6detail17trampoline_kernelINS0_14default_configENS1_20scan_config_selectorIjEEZZNS1_9scan_implILNS1_25lookback_scan_determinismE0ELb0ELb0ES3_N6thrust23THRUST_200600_302600_NS6detail15normal_iteratorINS9_10device_ptrIjEEEESE_jNS9_4plusIvEEjEEDaPvRmT3_T4_T5_mT6_P12ihipStream_tbENKUlT_T0_E_clISt17integral_constantIbLb0EEST_IbLb1EEEEDaSP_SQ_EUlSP_E_NS1_11comp_targetILNS1_3genE10ELNS1_11target_archE1200ELNS1_3gpuE4ELNS1_3repE0EEENS1_30default_config_static_selectorELNS0_4arch9wavefront6targetE1EEEvT1_: ; @_ZN7rocprim17ROCPRIM_400000_NS6detail17trampoline_kernelINS0_14default_configENS1_20scan_config_selectorIjEEZZNS1_9scan_implILNS1_25lookback_scan_determinismE0ELb0ELb0ES3_N6thrust23THRUST_200600_302600_NS6detail15normal_iteratorINS9_10device_ptrIjEEEESE_jNS9_4plusIvEEjEEDaPvRmT3_T4_T5_mT6_P12ihipStream_tbENKUlT_T0_E_clISt17integral_constantIbLb0EEST_IbLb1EEEEDaSP_SQ_EUlSP_E_NS1_11comp_targetILNS1_3genE10ELNS1_11target_archE1200ELNS1_3gpuE4ELNS1_3repE0EEENS1_30default_config_static_selectorELNS0_4arch9wavefront6targetE1EEEvT1_
; %bb.0:
	.section	.rodata,"a",@progbits
	.p2align	6, 0x0
	.amdhsa_kernel _ZN7rocprim17ROCPRIM_400000_NS6detail17trampoline_kernelINS0_14default_configENS1_20scan_config_selectorIjEEZZNS1_9scan_implILNS1_25lookback_scan_determinismE0ELb0ELb0ES3_N6thrust23THRUST_200600_302600_NS6detail15normal_iteratorINS9_10device_ptrIjEEEESE_jNS9_4plusIvEEjEEDaPvRmT3_T4_T5_mT6_P12ihipStream_tbENKUlT_T0_E_clISt17integral_constantIbLb0EEST_IbLb1EEEEDaSP_SQ_EUlSP_E_NS1_11comp_targetILNS1_3genE10ELNS1_11target_archE1200ELNS1_3gpuE4ELNS1_3repE0EEENS1_30default_config_static_selectorELNS0_4arch9wavefront6targetE1EEEvT1_
		.amdhsa_group_segment_fixed_size 0
		.amdhsa_private_segment_fixed_size 0
		.amdhsa_kernarg_size 96
		.amdhsa_user_sgpr_count 6
		.amdhsa_user_sgpr_private_segment_buffer 1
		.amdhsa_user_sgpr_dispatch_ptr 0
		.amdhsa_user_sgpr_queue_ptr 0
		.amdhsa_user_sgpr_kernarg_segment_ptr 1
		.amdhsa_user_sgpr_dispatch_id 0
		.amdhsa_user_sgpr_flat_scratch_init 0
		.amdhsa_user_sgpr_kernarg_preload_length 0
		.amdhsa_user_sgpr_kernarg_preload_offset 0
		.amdhsa_user_sgpr_private_segment_size 0
		.amdhsa_uses_dynamic_stack 0
		.amdhsa_system_sgpr_private_segment_wavefront_offset 0
		.amdhsa_system_sgpr_workgroup_id_x 1
		.amdhsa_system_sgpr_workgroup_id_y 0
		.amdhsa_system_sgpr_workgroup_id_z 0
		.amdhsa_system_sgpr_workgroup_info 0
		.amdhsa_system_vgpr_workitem_id 0
		.amdhsa_next_free_vgpr 1
		.amdhsa_next_free_sgpr 0
		.amdhsa_accum_offset 4
		.amdhsa_reserve_vcc 0
		.amdhsa_reserve_flat_scratch 0
		.amdhsa_float_round_mode_32 0
		.amdhsa_float_round_mode_16_64 0
		.amdhsa_float_denorm_mode_32 3
		.amdhsa_float_denorm_mode_16_64 3
		.amdhsa_dx10_clamp 1
		.amdhsa_ieee_mode 1
		.amdhsa_fp16_overflow 0
		.amdhsa_tg_split 0
		.amdhsa_exception_fp_ieee_invalid_op 0
		.amdhsa_exception_fp_denorm_src 0
		.amdhsa_exception_fp_ieee_div_zero 0
		.amdhsa_exception_fp_ieee_overflow 0
		.amdhsa_exception_fp_ieee_underflow 0
		.amdhsa_exception_fp_ieee_inexact 0
		.amdhsa_exception_int_div_zero 0
	.end_amdhsa_kernel
	.section	.text._ZN7rocprim17ROCPRIM_400000_NS6detail17trampoline_kernelINS0_14default_configENS1_20scan_config_selectorIjEEZZNS1_9scan_implILNS1_25lookback_scan_determinismE0ELb0ELb0ES3_N6thrust23THRUST_200600_302600_NS6detail15normal_iteratorINS9_10device_ptrIjEEEESE_jNS9_4plusIvEEjEEDaPvRmT3_T4_T5_mT6_P12ihipStream_tbENKUlT_T0_E_clISt17integral_constantIbLb0EEST_IbLb1EEEEDaSP_SQ_EUlSP_E_NS1_11comp_targetILNS1_3genE10ELNS1_11target_archE1200ELNS1_3gpuE4ELNS1_3repE0EEENS1_30default_config_static_selectorELNS0_4arch9wavefront6targetE1EEEvT1_,"axG",@progbits,_ZN7rocprim17ROCPRIM_400000_NS6detail17trampoline_kernelINS0_14default_configENS1_20scan_config_selectorIjEEZZNS1_9scan_implILNS1_25lookback_scan_determinismE0ELb0ELb0ES3_N6thrust23THRUST_200600_302600_NS6detail15normal_iteratorINS9_10device_ptrIjEEEESE_jNS9_4plusIvEEjEEDaPvRmT3_T4_T5_mT6_P12ihipStream_tbENKUlT_T0_E_clISt17integral_constantIbLb0EEST_IbLb1EEEEDaSP_SQ_EUlSP_E_NS1_11comp_targetILNS1_3genE10ELNS1_11target_archE1200ELNS1_3gpuE4ELNS1_3repE0EEENS1_30default_config_static_selectorELNS0_4arch9wavefront6targetE1EEEvT1_,comdat
.Lfunc_end4634:
	.size	_ZN7rocprim17ROCPRIM_400000_NS6detail17trampoline_kernelINS0_14default_configENS1_20scan_config_selectorIjEEZZNS1_9scan_implILNS1_25lookback_scan_determinismE0ELb0ELb0ES3_N6thrust23THRUST_200600_302600_NS6detail15normal_iteratorINS9_10device_ptrIjEEEESE_jNS9_4plusIvEEjEEDaPvRmT3_T4_T5_mT6_P12ihipStream_tbENKUlT_T0_E_clISt17integral_constantIbLb0EEST_IbLb1EEEEDaSP_SQ_EUlSP_E_NS1_11comp_targetILNS1_3genE10ELNS1_11target_archE1200ELNS1_3gpuE4ELNS1_3repE0EEENS1_30default_config_static_selectorELNS0_4arch9wavefront6targetE1EEEvT1_, .Lfunc_end4634-_ZN7rocprim17ROCPRIM_400000_NS6detail17trampoline_kernelINS0_14default_configENS1_20scan_config_selectorIjEEZZNS1_9scan_implILNS1_25lookback_scan_determinismE0ELb0ELb0ES3_N6thrust23THRUST_200600_302600_NS6detail15normal_iteratorINS9_10device_ptrIjEEEESE_jNS9_4plusIvEEjEEDaPvRmT3_T4_T5_mT6_P12ihipStream_tbENKUlT_T0_E_clISt17integral_constantIbLb0EEST_IbLb1EEEEDaSP_SQ_EUlSP_E_NS1_11comp_targetILNS1_3genE10ELNS1_11target_archE1200ELNS1_3gpuE4ELNS1_3repE0EEENS1_30default_config_static_selectorELNS0_4arch9wavefront6targetE1EEEvT1_
                                        ; -- End function
	.section	.AMDGPU.csdata,"",@progbits
; Kernel info:
; codeLenInByte = 0
; NumSgprs: 4
; NumVgprs: 0
; NumAgprs: 0
; TotalNumVgprs: 0
; ScratchSize: 0
; MemoryBound: 0
; FloatMode: 240
; IeeeMode: 1
; LDSByteSize: 0 bytes/workgroup (compile time only)
; SGPRBlocks: 0
; VGPRBlocks: 0
; NumSGPRsForWavesPerEU: 4
; NumVGPRsForWavesPerEU: 1
; AccumOffset: 4
; Occupancy: 8
; WaveLimiterHint : 0
; COMPUTE_PGM_RSRC2:SCRATCH_EN: 0
; COMPUTE_PGM_RSRC2:USER_SGPR: 6
; COMPUTE_PGM_RSRC2:TRAP_HANDLER: 0
; COMPUTE_PGM_RSRC2:TGID_X_EN: 1
; COMPUTE_PGM_RSRC2:TGID_Y_EN: 0
; COMPUTE_PGM_RSRC2:TGID_Z_EN: 0
; COMPUTE_PGM_RSRC2:TIDIG_COMP_CNT: 0
; COMPUTE_PGM_RSRC3_GFX90A:ACCUM_OFFSET: 0
; COMPUTE_PGM_RSRC3_GFX90A:TG_SPLIT: 0
	.section	.text._ZN7rocprim17ROCPRIM_400000_NS6detail17trampoline_kernelINS0_14default_configENS1_20scan_config_selectorIjEEZZNS1_9scan_implILNS1_25lookback_scan_determinismE0ELb0ELb0ES3_N6thrust23THRUST_200600_302600_NS6detail15normal_iteratorINS9_10device_ptrIjEEEESE_jNS9_4plusIvEEjEEDaPvRmT3_T4_T5_mT6_P12ihipStream_tbENKUlT_T0_E_clISt17integral_constantIbLb0EEST_IbLb1EEEEDaSP_SQ_EUlSP_E_NS1_11comp_targetILNS1_3genE9ELNS1_11target_archE1100ELNS1_3gpuE3ELNS1_3repE0EEENS1_30default_config_static_selectorELNS0_4arch9wavefront6targetE1EEEvT1_,"axG",@progbits,_ZN7rocprim17ROCPRIM_400000_NS6detail17trampoline_kernelINS0_14default_configENS1_20scan_config_selectorIjEEZZNS1_9scan_implILNS1_25lookback_scan_determinismE0ELb0ELb0ES3_N6thrust23THRUST_200600_302600_NS6detail15normal_iteratorINS9_10device_ptrIjEEEESE_jNS9_4plusIvEEjEEDaPvRmT3_T4_T5_mT6_P12ihipStream_tbENKUlT_T0_E_clISt17integral_constantIbLb0EEST_IbLb1EEEEDaSP_SQ_EUlSP_E_NS1_11comp_targetILNS1_3genE9ELNS1_11target_archE1100ELNS1_3gpuE3ELNS1_3repE0EEENS1_30default_config_static_selectorELNS0_4arch9wavefront6targetE1EEEvT1_,comdat
	.protected	_ZN7rocprim17ROCPRIM_400000_NS6detail17trampoline_kernelINS0_14default_configENS1_20scan_config_selectorIjEEZZNS1_9scan_implILNS1_25lookback_scan_determinismE0ELb0ELb0ES3_N6thrust23THRUST_200600_302600_NS6detail15normal_iteratorINS9_10device_ptrIjEEEESE_jNS9_4plusIvEEjEEDaPvRmT3_T4_T5_mT6_P12ihipStream_tbENKUlT_T0_E_clISt17integral_constantIbLb0EEST_IbLb1EEEEDaSP_SQ_EUlSP_E_NS1_11comp_targetILNS1_3genE9ELNS1_11target_archE1100ELNS1_3gpuE3ELNS1_3repE0EEENS1_30default_config_static_selectorELNS0_4arch9wavefront6targetE1EEEvT1_ ; -- Begin function _ZN7rocprim17ROCPRIM_400000_NS6detail17trampoline_kernelINS0_14default_configENS1_20scan_config_selectorIjEEZZNS1_9scan_implILNS1_25lookback_scan_determinismE0ELb0ELb0ES3_N6thrust23THRUST_200600_302600_NS6detail15normal_iteratorINS9_10device_ptrIjEEEESE_jNS9_4plusIvEEjEEDaPvRmT3_T4_T5_mT6_P12ihipStream_tbENKUlT_T0_E_clISt17integral_constantIbLb0EEST_IbLb1EEEEDaSP_SQ_EUlSP_E_NS1_11comp_targetILNS1_3genE9ELNS1_11target_archE1100ELNS1_3gpuE3ELNS1_3repE0EEENS1_30default_config_static_selectorELNS0_4arch9wavefront6targetE1EEEvT1_
	.globl	_ZN7rocprim17ROCPRIM_400000_NS6detail17trampoline_kernelINS0_14default_configENS1_20scan_config_selectorIjEEZZNS1_9scan_implILNS1_25lookback_scan_determinismE0ELb0ELb0ES3_N6thrust23THRUST_200600_302600_NS6detail15normal_iteratorINS9_10device_ptrIjEEEESE_jNS9_4plusIvEEjEEDaPvRmT3_T4_T5_mT6_P12ihipStream_tbENKUlT_T0_E_clISt17integral_constantIbLb0EEST_IbLb1EEEEDaSP_SQ_EUlSP_E_NS1_11comp_targetILNS1_3genE9ELNS1_11target_archE1100ELNS1_3gpuE3ELNS1_3repE0EEENS1_30default_config_static_selectorELNS0_4arch9wavefront6targetE1EEEvT1_
	.p2align	8
	.type	_ZN7rocprim17ROCPRIM_400000_NS6detail17trampoline_kernelINS0_14default_configENS1_20scan_config_selectorIjEEZZNS1_9scan_implILNS1_25lookback_scan_determinismE0ELb0ELb0ES3_N6thrust23THRUST_200600_302600_NS6detail15normal_iteratorINS9_10device_ptrIjEEEESE_jNS9_4plusIvEEjEEDaPvRmT3_T4_T5_mT6_P12ihipStream_tbENKUlT_T0_E_clISt17integral_constantIbLb0EEST_IbLb1EEEEDaSP_SQ_EUlSP_E_NS1_11comp_targetILNS1_3genE9ELNS1_11target_archE1100ELNS1_3gpuE3ELNS1_3repE0EEENS1_30default_config_static_selectorELNS0_4arch9wavefront6targetE1EEEvT1_,@function
_ZN7rocprim17ROCPRIM_400000_NS6detail17trampoline_kernelINS0_14default_configENS1_20scan_config_selectorIjEEZZNS1_9scan_implILNS1_25lookback_scan_determinismE0ELb0ELb0ES3_N6thrust23THRUST_200600_302600_NS6detail15normal_iteratorINS9_10device_ptrIjEEEESE_jNS9_4plusIvEEjEEDaPvRmT3_T4_T5_mT6_P12ihipStream_tbENKUlT_T0_E_clISt17integral_constantIbLb0EEST_IbLb1EEEEDaSP_SQ_EUlSP_E_NS1_11comp_targetILNS1_3genE9ELNS1_11target_archE1100ELNS1_3gpuE3ELNS1_3repE0EEENS1_30default_config_static_selectorELNS0_4arch9wavefront6targetE1EEEvT1_: ; @_ZN7rocprim17ROCPRIM_400000_NS6detail17trampoline_kernelINS0_14default_configENS1_20scan_config_selectorIjEEZZNS1_9scan_implILNS1_25lookback_scan_determinismE0ELb0ELb0ES3_N6thrust23THRUST_200600_302600_NS6detail15normal_iteratorINS9_10device_ptrIjEEEESE_jNS9_4plusIvEEjEEDaPvRmT3_T4_T5_mT6_P12ihipStream_tbENKUlT_T0_E_clISt17integral_constantIbLb0EEST_IbLb1EEEEDaSP_SQ_EUlSP_E_NS1_11comp_targetILNS1_3genE9ELNS1_11target_archE1100ELNS1_3gpuE3ELNS1_3repE0EEENS1_30default_config_static_selectorELNS0_4arch9wavefront6targetE1EEEvT1_
; %bb.0:
	.section	.rodata,"a",@progbits
	.p2align	6, 0x0
	.amdhsa_kernel _ZN7rocprim17ROCPRIM_400000_NS6detail17trampoline_kernelINS0_14default_configENS1_20scan_config_selectorIjEEZZNS1_9scan_implILNS1_25lookback_scan_determinismE0ELb0ELb0ES3_N6thrust23THRUST_200600_302600_NS6detail15normal_iteratorINS9_10device_ptrIjEEEESE_jNS9_4plusIvEEjEEDaPvRmT3_T4_T5_mT6_P12ihipStream_tbENKUlT_T0_E_clISt17integral_constantIbLb0EEST_IbLb1EEEEDaSP_SQ_EUlSP_E_NS1_11comp_targetILNS1_3genE9ELNS1_11target_archE1100ELNS1_3gpuE3ELNS1_3repE0EEENS1_30default_config_static_selectorELNS0_4arch9wavefront6targetE1EEEvT1_
		.amdhsa_group_segment_fixed_size 0
		.amdhsa_private_segment_fixed_size 0
		.amdhsa_kernarg_size 96
		.amdhsa_user_sgpr_count 6
		.amdhsa_user_sgpr_private_segment_buffer 1
		.amdhsa_user_sgpr_dispatch_ptr 0
		.amdhsa_user_sgpr_queue_ptr 0
		.amdhsa_user_sgpr_kernarg_segment_ptr 1
		.amdhsa_user_sgpr_dispatch_id 0
		.amdhsa_user_sgpr_flat_scratch_init 0
		.amdhsa_user_sgpr_kernarg_preload_length 0
		.amdhsa_user_sgpr_kernarg_preload_offset 0
		.amdhsa_user_sgpr_private_segment_size 0
		.amdhsa_uses_dynamic_stack 0
		.amdhsa_system_sgpr_private_segment_wavefront_offset 0
		.amdhsa_system_sgpr_workgroup_id_x 1
		.amdhsa_system_sgpr_workgroup_id_y 0
		.amdhsa_system_sgpr_workgroup_id_z 0
		.amdhsa_system_sgpr_workgroup_info 0
		.amdhsa_system_vgpr_workitem_id 0
		.amdhsa_next_free_vgpr 1
		.amdhsa_next_free_sgpr 0
		.amdhsa_accum_offset 4
		.amdhsa_reserve_vcc 0
		.amdhsa_reserve_flat_scratch 0
		.amdhsa_float_round_mode_32 0
		.amdhsa_float_round_mode_16_64 0
		.amdhsa_float_denorm_mode_32 3
		.amdhsa_float_denorm_mode_16_64 3
		.amdhsa_dx10_clamp 1
		.amdhsa_ieee_mode 1
		.amdhsa_fp16_overflow 0
		.amdhsa_tg_split 0
		.amdhsa_exception_fp_ieee_invalid_op 0
		.amdhsa_exception_fp_denorm_src 0
		.amdhsa_exception_fp_ieee_div_zero 0
		.amdhsa_exception_fp_ieee_overflow 0
		.amdhsa_exception_fp_ieee_underflow 0
		.amdhsa_exception_fp_ieee_inexact 0
		.amdhsa_exception_int_div_zero 0
	.end_amdhsa_kernel
	.section	.text._ZN7rocprim17ROCPRIM_400000_NS6detail17trampoline_kernelINS0_14default_configENS1_20scan_config_selectorIjEEZZNS1_9scan_implILNS1_25lookback_scan_determinismE0ELb0ELb0ES3_N6thrust23THRUST_200600_302600_NS6detail15normal_iteratorINS9_10device_ptrIjEEEESE_jNS9_4plusIvEEjEEDaPvRmT3_T4_T5_mT6_P12ihipStream_tbENKUlT_T0_E_clISt17integral_constantIbLb0EEST_IbLb1EEEEDaSP_SQ_EUlSP_E_NS1_11comp_targetILNS1_3genE9ELNS1_11target_archE1100ELNS1_3gpuE3ELNS1_3repE0EEENS1_30default_config_static_selectorELNS0_4arch9wavefront6targetE1EEEvT1_,"axG",@progbits,_ZN7rocprim17ROCPRIM_400000_NS6detail17trampoline_kernelINS0_14default_configENS1_20scan_config_selectorIjEEZZNS1_9scan_implILNS1_25lookback_scan_determinismE0ELb0ELb0ES3_N6thrust23THRUST_200600_302600_NS6detail15normal_iteratorINS9_10device_ptrIjEEEESE_jNS9_4plusIvEEjEEDaPvRmT3_T4_T5_mT6_P12ihipStream_tbENKUlT_T0_E_clISt17integral_constantIbLb0EEST_IbLb1EEEEDaSP_SQ_EUlSP_E_NS1_11comp_targetILNS1_3genE9ELNS1_11target_archE1100ELNS1_3gpuE3ELNS1_3repE0EEENS1_30default_config_static_selectorELNS0_4arch9wavefront6targetE1EEEvT1_,comdat
.Lfunc_end4635:
	.size	_ZN7rocprim17ROCPRIM_400000_NS6detail17trampoline_kernelINS0_14default_configENS1_20scan_config_selectorIjEEZZNS1_9scan_implILNS1_25lookback_scan_determinismE0ELb0ELb0ES3_N6thrust23THRUST_200600_302600_NS6detail15normal_iteratorINS9_10device_ptrIjEEEESE_jNS9_4plusIvEEjEEDaPvRmT3_T4_T5_mT6_P12ihipStream_tbENKUlT_T0_E_clISt17integral_constantIbLb0EEST_IbLb1EEEEDaSP_SQ_EUlSP_E_NS1_11comp_targetILNS1_3genE9ELNS1_11target_archE1100ELNS1_3gpuE3ELNS1_3repE0EEENS1_30default_config_static_selectorELNS0_4arch9wavefront6targetE1EEEvT1_, .Lfunc_end4635-_ZN7rocprim17ROCPRIM_400000_NS6detail17trampoline_kernelINS0_14default_configENS1_20scan_config_selectorIjEEZZNS1_9scan_implILNS1_25lookback_scan_determinismE0ELb0ELb0ES3_N6thrust23THRUST_200600_302600_NS6detail15normal_iteratorINS9_10device_ptrIjEEEESE_jNS9_4plusIvEEjEEDaPvRmT3_T4_T5_mT6_P12ihipStream_tbENKUlT_T0_E_clISt17integral_constantIbLb0EEST_IbLb1EEEEDaSP_SQ_EUlSP_E_NS1_11comp_targetILNS1_3genE9ELNS1_11target_archE1100ELNS1_3gpuE3ELNS1_3repE0EEENS1_30default_config_static_selectorELNS0_4arch9wavefront6targetE1EEEvT1_
                                        ; -- End function
	.section	.AMDGPU.csdata,"",@progbits
; Kernel info:
; codeLenInByte = 0
; NumSgprs: 4
; NumVgprs: 0
; NumAgprs: 0
; TotalNumVgprs: 0
; ScratchSize: 0
; MemoryBound: 0
; FloatMode: 240
; IeeeMode: 1
; LDSByteSize: 0 bytes/workgroup (compile time only)
; SGPRBlocks: 0
; VGPRBlocks: 0
; NumSGPRsForWavesPerEU: 4
; NumVGPRsForWavesPerEU: 1
; AccumOffset: 4
; Occupancy: 8
; WaveLimiterHint : 0
; COMPUTE_PGM_RSRC2:SCRATCH_EN: 0
; COMPUTE_PGM_RSRC2:USER_SGPR: 6
; COMPUTE_PGM_RSRC2:TRAP_HANDLER: 0
; COMPUTE_PGM_RSRC2:TGID_X_EN: 1
; COMPUTE_PGM_RSRC2:TGID_Y_EN: 0
; COMPUTE_PGM_RSRC2:TGID_Z_EN: 0
; COMPUTE_PGM_RSRC2:TIDIG_COMP_CNT: 0
; COMPUTE_PGM_RSRC3_GFX90A:ACCUM_OFFSET: 0
; COMPUTE_PGM_RSRC3_GFX90A:TG_SPLIT: 0
	.section	.text._ZN7rocprim17ROCPRIM_400000_NS6detail17trampoline_kernelINS0_14default_configENS1_20scan_config_selectorIjEEZZNS1_9scan_implILNS1_25lookback_scan_determinismE0ELb0ELb0ES3_N6thrust23THRUST_200600_302600_NS6detail15normal_iteratorINS9_10device_ptrIjEEEESE_jNS9_4plusIvEEjEEDaPvRmT3_T4_T5_mT6_P12ihipStream_tbENKUlT_T0_E_clISt17integral_constantIbLb0EEST_IbLb1EEEEDaSP_SQ_EUlSP_E_NS1_11comp_targetILNS1_3genE8ELNS1_11target_archE1030ELNS1_3gpuE2ELNS1_3repE0EEENS1_30default_config_static_selectorELNS0_4arch9wavefront6targetE1EEEvT1_,"axG",@progbits,_ZN7rocprim17ROCPRIM_400000_NS6detail17trampoline_kernelINS0_14default_configENS1_20scan_config_selectorIjEEZZNS1_9scan_implILNS1_25lookback_scan_determinismE0ELb0ELb0ES3_N6thrust23THRUST_200600_302600_NS6detail15normal_iteratorINS9_10device_ptrIjEEEESE_jNS9_4plusIvEEjEEDaPvRmT3_T4_T5_mT6_P12ihipStream_tbENKUlT_T0_E_clISt17integral_constantIbLb0EEST_IbLb1EEEEDaSP_SQ_EUlSP_E_NS1_11comp_targetILNS1_3genE8ELNS1_11target_archE1030ELNS1_3gpuE2ELNS1_3repE0EEENS1_30default_config_static_selectorELNS0_4arch9wavefront6targetE1EEEvT1_,comdat
	.protected	_ZN7rocprim17ROCPRIM_400000_NS6detail17trampoline_kernelINS0_14default_configENS1_20scan_config_selectorIjEEZZNS1_9scan_implILNS1_25lookback_scan_determinismE0ELb0ELb0ES3_N6thrust23THRUST_200600_302600_NS6detail15normal_iteratorINS9_10device_ptrIjEEEESE_jNS9_4plusIvEEjEEDaPvRmT3_T4_T5_mT6_P12ihipStream_tbENKUlT_T0_E_clISt17integral_constantIbLb0EEST_IbLb1EEEEDaSP_SQ_EUlSP_E_NS1_11comp_targetILNS1_3genE8ELNS1_11target_archE1030ELNS1_3gpuE2ELNS1_3repE0EEENS1_30default_config_static_selectorELNS0_4arch9wavefront6targetE1EEEvT1_ ; -- Begin function _ZN7rocprim17ROCPRIM_400000_NS6detail17trampoline_kernelINS0_14default_configENS1_20scan_config_selectorIjEEZZNS1_9scan_implILNS1_25lookback_scan_determinismE0ELb0ELb0ES3_N6thrust23THRUST_200600_302600_NS6detail15normal_iteratorINS9_10device_ptrIjEEEESE_jNS9_4plusIvEEjEEDaPvRmT3_T4_T5_mT6_P12ihipStream_tbENKUlT_T0_E_clISt17integral_constantIbLb0EEST_IbLb1EEEEDaSP_SQ_EUlSP_E_NS1_11comp_targetILNS1_3genE8ELNS1_11target_archE1030ELNS1_3gpuE2ELNS1_3repE0EEENS1_30default_config_static_selectorELNS0_4arch9wavefront6targetE1EEEvT1_
	.globl	_ZN7rocprim17ROCPRIM_400000_NS6detail17trampoline_kernelINS0_14default_configENS1_20scan_config_selectorIjEEZZNS1_9scan_implILNS1_25lookback_scan_determinismE0ELb0ELb0ES3_N6thrust23THRUST_200600_302600_NS6detail15normal_iteratorINS9_10device_ptrIjEEEESE_jNS9_4plusIvEEjEEDaPvRmT3_T4_T5_mT6_P12ihipStream_tbENKUlT_T0_E_clISt17integral_constantIbLb0EEST_IbLb1EEEEDaSP_SQ_EUlSP_E_NS1_11comp_targetILNS1_3genE8ELNS1_11target_archE1030ELNS1_3gpuE2ELNS1_3repE0EEENS1_30default_config_static_selectorELNS0_4arch9wavefront6targetE1EEEvT1_
	.p2align	8
	.type	_ZN7rocprim17ROCPRIM_400000_NS6detail17trampoline_kernelINS0_14default_configENS1_20scan_config_selectorIjEEZZNS1_9scan_implILNS1_25lookback_scan_determinismE0ELb0ELb0ES3_N6thrust23THRUST_200600_302600_NS6detail15normal_iteratorINS9_10device_ptrIjEEEESE_jNS9_4plusIvEEjEEDaPvRmT3_T4_T5_mT6_P12ihipStream_tbENKUlT_T0_E_clISt17integral_constantIbLb0EEST_IbLb1EEEEDaSP_SQ_EUlSP_E_NS1_11comp_targetILNS1_3genE8ELNS1_11target_archE1030ELNS1_3gpuE2ELNS1_3repE0EEENS1_30default_config_static_selectorELNS0_4arch9wavefront6targetE1EEEvT1_,@function
_ZN7rocprim17ROCPRIM_400000_NS6detail17trampoline_kernelINS0_14default_configENS1_20scan_config_selectorIjEEZZNS1_9scan_implILNS1_25lookback_scan_determinismE0ELb0ELb0ES3_N6thrust23THRUST_200600_302600_NS6detail15normal_iteratorINS9_10device_ptrIjEEEESE_jNS9_4plusIvEEjEEDaPvRmT3_T4_T5_mT6_P12ihipStream_tbENKUlT_T0_E_clISt17integral_constantIbLb0EEST_IbLb1EEEEDaSP_SQ_EUlSP_E_NS1_11comp_targetILNS1_3genE8ELNS1_11target_archE1030ELNS1_3gpuE2ELNS1_3repE0EEENS1_30default_config_static_selectorELNS0_4arch9wavefront6targetE1EEEvT1_: ; @_ZN7rocprim17ROCPRIM_400000_NS6detail17trampoline_kernelINS0_14default_configENS1_20scan_config_selectorIjEEZZNS1_9scan_implILNS1_25lookback_scan_determinismE0ELb0ELb0ES3_N6thrust23THRUST_200600_302600_NS6detail15normal_iteratorINS9_10device_ptrIjEEEESE_jNS9_4plusIvEEjEEDaPvRmT3_T4_T5_mT6_P12ihipStream_tbENKUlT_T0_E_clISt17integral_constantIbLb0EEST_IbLb1EEEEDaSP_SQ_EUlSP_E_NS1_11comp_targetILNS1_3genE8ELNS1_11target_archE1030ELNS1_3gpuE2ELNS1_3repE0EEENS1_30default_config_static_selectorELNS0_4arch9wavefront6targetE1EEEvT1_
; %bb.0:
	.section	.rodata,"a",@progbits
	.p2align	6, 0x0
	.amdhsa_kernel _ZN7rocprim17ROCPRIM_400000_NS6detail17trampoline_kernelINS0_14default_configENS1_20scan_config_selectorIjEEZZNS1_9scan_implILNS1_25lookback_scan_determinismE0ELb0ELb0ES3_N6thrust23THRUST_200600_302600_NS6detail15normal_iteratorINS9_10device_ptrIjEEEESE_jNS9_4plusIvEEjEEDaPvRmT3_T4_T5_mT6_P12ihipStream_tbENKUlT_T0_E_clISt17integral_constantIbLb0EEST_IbLb1EEEEDaSP_SQ_EUlSP_E_NS1_11comp_targetILNS1_3genE8ELNS1_11target_archE1030ELNS1_3gpuE2ELNS1_3repE0EEENS1_30default_config_static_selectorELNS0_4arch9wavefront6targetE1EEEvT1_
		.amdhsa_group_segment_fixed_size 0
		.amdhsa_private_segment_fixed_size 0
		.amdhsa_kernarg_size 96
		.amdhsa_user_sgpr_count 6
		.amdhsa_user_sgpr_private_segment_buffer 1
		.amdhsa_user_sgpr_dispatch_ptr 0
		.amdhsa_user_sgpr_queue_ptr 0
		.amdhsa_user_sgpr_kernarg_segment_ptr 1
		.amdhsa_user_sgpr_dispatch_id 0
		.amdhsa_user_sgpr_flat_scratch_init 0
		.amdhsa_user_sgpr_kernarg_preload_length 0
		.amdhsa_user_sgpr_kernarg_preload_offset 0
		.amdhsa_user_sgpr_private_segment_size 0
		.amdhsa_uses_dynamic_stack 0
		.amdhsa_system_sgpr_private_segment_wavefront_offset 0
		.amdhsa_system_sgpr_workgroup_id_x 1
		.amdhsa_system_sgpr_workgroup_id_y 0
		.amdhsa_system_sgpr_workgroup_id_z 0
		.amdhsa_system_sgpr_workgroup_info 0
		.amdhsa_system_vgpr_workitem_id 0
		.amdhsa_next_free_vgpr 1
		.amdhsa_next_free_sgpr 0
		.amdhsa_accum_offset 4
		.amdhsa_reserve_vcc 0
		.amdhsa_reserve_flat_scratch 0
		.amdhsa_float_round_mode_32 0
		.amdhsa_float_round_mode_16_64 0
		.amdhsa_float_denorm_mode_32 3
		.amdhsa_float_denorm_mode_16_64 3
		.amdhsa_dx10_clamp 1
		.amdhsa_ieee_mode 1
		.amdhsa_fp16_overflow 0
		.amdhsa_tg_split 0
		.amdhsa_exception_fp_ieee_invalid_op 0
		.amdhsa_exception_fp_denorm_src 0
		.amdhsa_exception_fp_ieee_div_zero 0
		.amdhsa_exception_fp_ieee_overflow 0
		.amdhsa_exception_fp_ieee_underflow 0
		.amdhsa_exception_fp_ieee_inexact 0
		.amdhsa_exception_int_div_zero 0
	.end_amdhsa_kernel
	.section	.text._ZN7rocprim17ROCPRIM_400000_NS6detail17trampoline_kernelINS0_14default_configENS1_20scan_config_selectorIjEEZZNS1_9scan_implILNS1_25lookback_scan_determinismE0ELb0ELb0ES3_N6thrust23THRUST_200600_302600_NS6detail15normal_iteratorINS9_10device_ptrIjEEEESE_jNS9_4plusIvEEjEEDaPvRmT3_T4_T5_mT6_P12ihipStream_tbENKUlT_T0_E_clISt17integral_constantIbLb0EEST_IbLb1EEEEDaSP_SQ_EUlSP_E_NS1_11comp_targetILNS1_3genE8ELNS1_11target_archE1030ELNS1_3gpuE2ELNS1_3repE0EEENS1_30default_config_static_selectorELNS0_4arch9wavefront6targetE1EEEvT1_,"axG",@progbits,_ZN7rocprim17ROCPRIM_400000_NS6detail17trampoline_kernelINS0_14default_configENS1_20scan_config_selectorIjEEZZNS1_9scan_implILNS1_25lookback_scan_determinismE0ELb0ELb0ES3_N6thrust23THRUST_200600_302600_NS6detail15normal_iteratorINS9_10device_ptrIjEEEESE_jNS9_4plusIvEEjEEDaPvRmT3_T4_T5_mT6_P12ihipStream_tbENKUlT_T0_E_clISt17integral_constantIbLb0EEST_IbLb1EEEEDaSP_SQ_EUlSP_E_NS1_11comp_targetILNS1_3genE8ELNS1_11target_archE1030ELNS1_3gpuE2ELNS1_3repE0EEENS1_30default_config_static_selectorELNS0_4arch9wavefront6targetE1EEEvT1_,comdat
.Lfunc_end4636:
	.size	_ZN7rocprim17ROCPRIM_400000_NS6detail17trampoline_kernelINS0_14default_configENS1_20scan_config_selectorIjEEZZNS1_9scan_implILNS1_25lookback_scan_determinismE0ELb0ELb0ES3_N6thrust23THRUST_200600_302600_NS6detail15normal_iteratorINS9_10device_ptrIjEEEESE_jNS9_4plusIvEEjEEDaPvRmT3_T4_T5_mT6_P12ihipStream_tbENKUlT_T0_E_clISt17integral_constantIbLb0EEST_IbLb1EEEEDaSP_SQ_EUlSP_E_NS1_11comp_targetILNS1_3genE8ELNS1_11target_archE1030ELNS1_3gpuE2ELNS1_3repE0EEENS1_30default_config_static_selectorELNS0_4arch9wavefront6targetE1EEEvT1_, .Lfunc_end4636-_ZN7rocprim17ROCPRIM_400000_NS6detail17trampoline_kernelINS0_14default_configENS1_20scan_config_selectorIjEEZZNS1_9scan_implILNS1_25lookback_scan_determinismE0ELb0ELb0ES3_N6thrust23THRUST_200600_302600_NS6detail15normal_iteratorINS9_10device_ptrIjEEEESE_jNS9_4plusIvEEjEEDaPvRmT3_T4_T5_mT6_P12ihipStream_tbENKUlT_T0_E_clISt17integral_constantIbLb0EEST_IbLb1EEEEDaSP_SQ_EUlSP_E_NS1_11comp_targetILNS1_3genE8ELNS1_11target_archE1030ELNS1_3gpuE2ELNS1_3repE0EEENS1_30default_config_static_selectorELNS0_4arch9wavefront6targetE1EEEvT1_
                                        ; -- End function
	.section	.AMDGPU.csdata,"",@progbits
; Kernel info:
; codeLenInByte = 0
; NumSgprs: 4
; NumVgprs: 0
; NumAgprs: 0
; TotalNumVgprs: 0
; ScratchSize: 0
; MemoryBound: 0
; FloatMode: 240
; IeeeMode: 1
; LDSByteSize: 0 bytes/workgroup (compile time only)
; SGPRBlocks: 0
; VGPRBlocks: 0
; NumSGPRsForWavesPerEU: 4
; NumVGPRsForWavesPerEU: 1
; AccumOffset: 4
; Occupancy: 8
; WaveLimiterHint : 0
; COMPUTE_PGM_RSRC2:SCRATCH_EN: 0
; COMPUTE_PGM_RSRC2:USER_SGPR: 6
; COMPUTE_PGM_RSRC2:TRAP_HANDLER: 0
; COMPUTE_PGM_RSRC2:TGID_X_EN: 1
; COMPUTE_PGM_RSRC2:TGID_Y_EN: 0
; COMPUTE_PGM_RSRC2:TGID_Z_EN: 0
; COMPUTE_PGM_RSRC2:TIDIG_COMP_CNT: 0
; COMPUTE_PGM_RSRC3_GFX90A:ACCUM_OFFSET: 0
; COMPUTE_PGM_RSRC3_GFX90A:TG_SPLIT: 0
	.section	.text._ZN7rocprim17ROCPRIM_400000_NS6detail17trampoline_kernelINS0_14default_configENS1_20scan_config_selectorIjEEZZNS1_9scan_implILNS1_25lookback_scan_determinismE0ELb0ELb0ES3_N6thrust23THRUST_200600_302600_NS6detail15normal_iteratorINS9_10device_ptrIjEEEESE_jNS9_4plusIvEEjEEDaPvRmT3_T4_T5_mT6_P12ihipStream_tbENKUlT_T0_E_clISt17integral_constantIbLb0EEST_IbLb1EEEEDaSP_SQ_EUlSP_E0_NS1_11comp_targetILNS1_3genE0ELNS1_11target_archE4294967295ELNS1_3gpuE0ELNS1_3repE0EEENS1_30default_config_static_selectorELNS0_4arch9wavefront6targetE1EEEvT1_,"axG",@progbits,_ZN7rocprim17ROCPRIM_400000_NS6detail17trampoline_kernelINS0_14default_configENS1_20scan_config_selectorIjEEZZNS1_9scan_implILNS1_25lookback_scan_determinismE0ELb0ELb0ES3_N6thrust23THRUST_200600_302600_NS6detail15normal_iteratorINS9_10device_ptrIjEEEESE_jNS9_4plusIvEEjEEDaPvRmT3_T4_T5_mT6_P12ihipStream_tbENKUlT_T0_E_clISt17integral_constantIbLb0EEST_IbLb1EEEEDaSP_SQ_EUlSP_E0_NS1_11comp_targetILNS1_3genE0ELNS1_11target_archE4294967295ELNS1_3gpuE0ELNS1_3repE0EEENS1_30default_config_static_selectorELNS0_4arch9wavefront6targetE1EEEvT1_,comdat
	.protected	_ZN7rocprim17ROCPRIM_400000_NS6detail17trampoline_kernelINS0_14default_configENS1_20scan_config_selectorIjEEZZNS1_9scan_implILNS1_25lookback_scan_determinismE0ELb0ELb0ES3_N6thrust23THRUST_200600_302600_NS6detail15normal_iteratorINS9_10device_ptrIjEEEESE_jNS9_4plusIvEEjEEDaPvRmT3_T4_T5_mT6_P12ihipStream_tbENKUlT_T0_E_clISt17integral_constantIbLb0EEST_IbLb1EEEEDaSP_SQ_EUlSP_E0_NS1_11comp_targetILNS1_3genE0ELNS1_11target_archE4294967295ELNS1_3gpuE0ELNS1_3repE0EEENS1_30default_config_static_selectorELNS0_4arch9wavefront6targetE1EEEvT1_ ; -- Begin function _ZN7rocprim17ROCPRIM_400000_NS6detail17trampoline_kernelINS0_14default_configENS1_20scan_config_selectorIjEEZZNS1_9scan_implILNS1_25lookback_scan_determinismE0ELb0ELb0ES3_N6thrust23THRUST_200600_302600_NS6detail15normal_iteratorINS9_10device_ptrIjEEEESE_jNS9_4plusIvEEjEEDaPvRmT3_T4_T5_mT6_P12ihipStream_tbENKUlT_T0_E_clISt17integral_constantIbLb0EEST_IbLb1EEEEDaSP_SQ_EUlSP_E0_NS1_11comp_targetILNS1_3genE0ELNS1_11target_archE4294967295ELNS1_3gpuE0ELNS1_3repE0EEENS1_30default_config_static_selectorELNS0_4arch9wavefront6targetE1EEEvT1_
	.globl	_ZN7rocprim17ROCPRIM_400000_NS6detail17trampoline_kernelINS0_14default_configENS1_20scan_config_selectorIjEEZZNS1_9scan_implILNS1_25lookback_scan_determinismE0ELb0ELb0ES3_N6thrust23THRUST_200600_302600_NS6detail15normal_iteratorINS9_10device_ptrIjEEEESE_jNS9_4plusIvEEjEEDaPvRmT3_T4_T5_mT6_P12ihipStream_tbENKUlT_T0_E_clISt17integral_constantIbLb0EEST_IbLb1EEEEDaSP_SQ_EUlSP_E0_NS1_11comp_targetILNS1_3genE0ELNS1_11target_archE4294967295ELNS1_3gpuE0ELNS1_3repE0EEENS1_30default_config_static_selectorELNS0_4arch9wavefront6targetE1EEEvT1_
	.p2align	8
	.type	_ZN7rocprim17ROCPRIM_400000_NS6detail17trampoline_kernelINS0_14default_configENS1_20scan_config_selectorIjEEZZNS1_9scan_implILNS1_25lookback_scan_determinismE0ELb0ELb0ES3_N6thrust23THRUST_200600_302600_NS6detail15normal_iteratorINS9_10device_ptrIjEEEESE_jNS9_4plusIvEEjEEDaPvRmT3_T4_T5_mT6_P12ihipStream_tbENKUlT_T0_E_clISt17integral_constantIbLb0EEST_IbLb1EEEEDaSP_SQ_EUlSP_E0_NS1_11comp_targetILNS1_3genE0ELNS1_11target_archE4294967295ELNS1_3gpuE0ELNS1_3repE0EEENS1_30default_config_static_selectorELNS0_4arch9wavefront6targetE1EEEvT1_,@function
_ZN7rocprim17ROCPRIM_400000_NS6detail17trampoline_kernelINS0_14default_configENS1_20scan_config_selectorIjEEZZNS1_9scan_implILNS1_25lookback_scan_determinismE0ELb0ELb0ES3_N6thrust23THRUST_200600_302600_NS6detail15normal_iteratorINS9_10device_ptrIjEEEESE_jNS9_4plusIvEEjEEDaPvRmT3_T4_T5_mT6_P12ihipStream_tbENKUlT_T0_E_clISt17integral_constantIbLb0EEST_IbLb1EEEEDaSP_SQ_EUlSP_E0_NS1_11comp_targetILNS1_3genE0ELNS1_11target_archE4294967295ELNS1_3gpuE0ELNS1_3repE0EEENS1_30default_config_static_selectorELNS0_4arch9wavefront6targetE1EEEvT1_: ; @_ZN7rocprim17ROCPRIM_400000_NS6detail17trampoline_kernelINS0_14default_configENS1_20scan_config_selectorIjEEZZNS1_9scan_implILNS1_25lookback_scan_determinismE0ELb0ELb0ES3_N6thrust23THRUST_200600_302600_NS6detail15normal_iteratorINS9_10device_ptrIjEEEESE_jNS9_4plusIvEEjEEDaPvRmT3_T4_T5_mT6_P12ihipStream_tbENKUlT_T0_E_clISt17integral_constantIbLb0EEST_IbLb1EEEEDaSP_SQ_EUlSP_E0_NS1_11comp_targetILNS1_3genE0ELNS1_11target_archE4294967295ELNS1_3gpuE0ELNS1_3repE0EEENS1_30default_config_static_selectorELNS0_4arch9wavefront6targetE1EEEvT1_
; %bb.0:
	.section	.rodata,"a",@progbits
	.p2align	6, 0x0
	.amdhsa_kernel _ZN7rocprim17ROCPRIM_400000_NS6detail17trampoline_kernelINS0_14default_configENS1_20scan_config_selectorIjEEZZNS1_9scan_implILNS1_25lookback_scan_determinismE0ELb0ELb0ES3_N6thrust23THRUST_200600_302600_NS6detail15normal_iteratorINS9_10device_ptrIjEEEESE_jNS9_4plusIvEEjEEDaPvRmT3_T4_T5_mT6_P12ihipStream_tbENKUlT_T0_E_clISt17integral_constantIbLb0EEST_IbLb1EEEEDaSP_SQ_EUlSP_E0_NS1_11comp_targetILNS1_3genE0ELNS1_11target_archE4294967295ELNS1_3gpuE0ELNS1_3repE0EEENS1_30default_config_static_selectorELNS0_4arch9wavefront6targetE1EEEvT1_
		.amdhsa_group_segment_fixed_size 0
		.amdhsa_private_segment_fixed_size 0
		.amdhsa_kernarg_size 32
		.amdhsa_user_sgpr_count 6
		.amdhsa_user_sgpr_private_segment_buffer 1
		.amdhsa_user_sgpr_dispatch_ptr 0
		.amdhsa_user_sgpr_queue_ptr 0
		.amdhsa_user_sgpr_kernarg_segment_ptr 1
		.amdhsa_user_sgpr_dispatch_id 0
		.amdhsa_user_sgpr_flat_scratch_init 0
		.amdhsa_user_sgpr_kernarg_preload_length 0
		.amdhsa_user_sgpr_kernarg_preload_offset 0
		.amdhsa_user_sgpr_private_segment_size 0
		.amdhsa_uses_dynamic_stack 0
		.amdhsa_system_sgpr_private_segment_wavefront_offset 0
		.amdhsa_system_sgpr_workgroup_id_x 1
		.amdhsa_system_sgpr_workgroup_id_y 0
		.amdhsa_system_sgpr_workgroup_id_z 0
		.amdhsa_system_sgpr_workgroup_info 0
		.amdhsa_system_vgpr_workitem_id 0
		.amdhsa_next_free_vgpr 1
		.amdhsa_next_free_sgpr 0
		.amdhsa_accum_offset 4
		.amdhsa_reserve_vcc 0
		.amdhsa_reserve_flat_scratch 0
		.amdhsa_float_round_mode_32 0
		.amdhsa_float_round_mode_16_64 0
		.amdhsa_float_denorm_mode_32 3
		.amdhsa_float_denorm_mode_16_64 3
		.amdhsa_dx10_clamp 1
		.amdhsa_ieee_mode 1
		.amdhsa_fp16_overflow 0
		.amdhsa_tg_split 0
		.amdhsa_exception_fp_ieee_invalid_op 0
		.amdhsa_exception_fp_denorm_src 0
		.amdhsa_exception_fp_ieee_div_zero 0
		.amdhsa_exception_fp_ieee_overflow 0
		.amdhsa_exception_fp_ieee_underflow 0
		.amdhsa_exception_fp_ieee_inexact 0
		.amdhsa_exception_int_div_zero 0
	.end_amdhsa_kernel
	.section	.text._ZN7rocprim17ROCPRIM_400000_NS6detail17trampoline_kernelINS0_14default_configENS1_20scan_config_selectorIjEEZZNS1_9scan_implILNS1_25lookback_scan_determinismE0ELb0ELb0ES3_N6thrust23THRUST_200600_302600_NS6detail15normal_iteratorINS9_10device_ptrIjEEEESE_jNS9_4plusIvEEjEEDaPvRmT3_T4_T5_mT6_P12ihipStream_tbENKUlT_T0_E_clISt17integral_constantIbLb0EEST_IbLb1EEEEDaSP_SQ_EUlSP_E0_NS1_11comp_targetILNS1_3genE0ELNS1_11target_archE4294967295ELNS1_3gpuE0ELNS1_3repE0EEENS1_30default_config_static_selectorELNS0_4arch9wavefront6targetE1EEEvT1_,"axG",@progbits,_ZN7rocprim17ROCPRIM_400000_NS6detail17trampoline_kernelINS0_14default_configENS1_20scan_config_selectorIjEEZZNS1_9scan_implILNS1_25lookback_scan_determinismE0ELb0ELb0ES3_N6thrust23THRUST_200600_302600_NS6detail15normal_iteratorINS9_10device_ptrIjEEEESE_jNS9_4plusIvEEjEEDaPvRmT3_T4_T5_mT6_P12ihipStream_tbENKUlT_T0_E_clISt17integral_constantIbLb0EEST_IbLb1EEEEDaSP_SQ_EUlSP_E0_NS1_11comp_targetILNS1_3genE0ELNS1_11target_archE4294967295ELNS1_3gpuE0ELNS1_3repE0EEENS1_30default_config_static_selectorELNS0_4arch9wavefront6targetE1EEEvT1_,comdat
.Lfunc_end4637:
	.size	_ZN7rocprim17ROCPRIM_400000_NS6detail17trampoline_kernelINS0_14default_configENS1_20scan_config_selectorIjEEZZNS1_9scan_implILNS1_25lookback_scan_determinismE0ELb0ELb0ES3_N6thrust23THRUST_200600_302600_NS6detail15normal_iteratorINS9_10device_ptrIjEEEESE_jNS9_4plusIvEEjEEDaPvRmT3_T4_T5_mT6_P12ihipStream_tbENKUlT_T0_E_clISt17integral_constantIbLb0EEST_IbLb1EEEEDaSP_SQ_EUlSP_E0_NS1_11comp_targetILNS1_3genE0ELNS1_11target_archE4294967295ELNS1_3gpuE0ELNS1_3repE0EEENS1_30default_config_static_selectorELNS0_4arch9wavefront6targetE1EEEvT1_, .Lfunc_end4637-_ZN7rocprim17ROCPRIM_400000_NS6detail17trampoline_kernelINS0_14default_configENS1_20scan_config_selectorIjEEZZNS1_9scan_implILNS1_25lookback_scan_determinismE0ELb0ELb0ES3_N6thrust23THRUST_200600_302600_NS6detail15normal_iteratorINS9_10device_ptrIjEEEESE_jNS9_4plusIvEEjEEDaPvRmT3_T4_T5_mT6_P12ihipStream_tbENKUlT_T0_E_clISt17integral_constantIbLb0EEST_IbLb1EEEEDaSP_SQ_EUlSP_E0_NS1_11comp_targetILNS1_3genE0ELNS1_11target_archE4294967295ELNS1_3gpuE0ELNS1_3repE0EEENS1_30default_config_static_selectorELNS0_4arch9wavefront6targetE1EEEvT1_
                                        ; -- End function
	.section	.AMDGPU.csdata,"",@progbits
; Kernel info:
; codeLenInByte = 0
; NumSgprs: 4
; NumVgprs: 0
; NumAgprs: 0
; TotalNumVgprs: 0
; ScratchSize: 0
; MemoryBound: 0
; FloatMode: 240
; IeeeMode: 1
; LDSByteSize: 0 bytes/workgroup (compile time only)
; SGPRBlocks: 0
; VGPRBlocks: 0
; NumSGPRsForWavesPerEU: 4
; NumVGPRsForWavesPerEU: 1
; AccumOffset: 4
; Occupancy: 8
; WaveLimiterHint : 0
; COMPUTE_PGM_RSRC2:SCRATCH_EN: 0
; COMPUTE_PGM_RSRC2:USER_SGPR: 6
; COMPUTE_PGM_RSRC2:TRAP_HANDLER: 0
; COMPUTE_PGM_RSRC2:TGID_X_EN: 1
; COMPUTE_PGM_RSRC2:TGID_Y_EN: 0
; COMPUTE_PGM_RSRC2:TGID_Z_EN: 0
; COMPUTE_PGM_RSRC2:TIDIG_COMP_CNT: 0
; COMPUTE_PGM_RSRC3_GFX90A:ACCUM_OFFSET: 0
; COMPUTE_PGM_RSRC3_GFX90A:TG_SPLIT: 0
	.section	.text._ZN7rocprim17ROCPRIM_400000_NS6detail17trampoline_kernelINS0_14default_configENS1_20scan_config_selectorIjEEZZNS1_9scan_implILNS1_25lookback_scan_determinismE0ELb0ELb0ES3_N6thrust23THRUST_200600_302600_NS6detail15normal_iteratorINS9_10device_ptrIjEEEESE_jNS9_4plusIvEEjEEDaPvRmT3_T4_T5_mT6_P12ihipStream_tbENKUlT_T0_E_clISt17integral_constantIbLb0EEST_IbLb1EEEEDaSP_SQ_EUlSP_E0_NS1_11comp_targetILNS1_3genE5ELNS1_11target_archE942ELNS1_3gpuE9ELNS1_3repE0EEENS1_30default_config_static_selectorELNS0_4arch9wavefront6targetE1EEEvT1_,"axG",@progbits,_ZN7rocprim17ROCPRIM_400000_NS6detail17trampoline_kernelINS0_14default_configENS1_20scan_config_selectorIjEEZZNS1_9scan_implILNS1_25lookback_scan_determinismE0ELb0ELb0ES3_N6thrust23THRUST_200600_302600_NS6detail15normal_iteratorINS9_10device_ptrIjEEEESE_jNS9_4plusIvEEjEEDaPvRmT3_T4_T5_mT6_P12ihipStream_tbENKUlT_T0_E_clISt17integral_constantIbLb0EEST_IbLb1EEEEDaSP_SQ_EUlSP_E0_NS1_11comp_targetILNS1_3genE5ELNS1_11target_archE942ELNS1_3gpuE9ELNS1_3repE0EEENS1_30default_config_static_selectorELNS0_4arch9wavefront6targetE1EEEvT1_,comdat
	.protected	_ZN7rocprim17ROCPRIM_400000_NS6detail17trampoline_kernelINS0_14default_configENS1_20scan_config_selectorIjEEZZNS1_9scan_implILNS1_25lookback_scan_determinismE0ELb0ELb0ES3_N6thrust23THRUST_200600_302600_NS6detail15normal_iteratorINS9_10device_ptrIjEEEESE_jNS9_4plusIvEEjEEDaPvRmT3_T4_T5_mT6_P12ihipStream_tbENKUlT_T0_E_clISt17integral_constantIbLb0EEST_IbLb1EEEEDaSP_SQ_EUlSP_E0_NS1_11comp_targetILNS1_3genE5ELNS1_11target_archE942ELNS1_3gpuE9ELNS1_3repE0EEENS1_30default_config_static_selectorELNS0_4arch9wavefront6targetE1EEEvT1_ ; -- Begin function _ZN7rocprim17ROCPRIM_400000_NS6detail17trampoline_kernelINS0_14default_configENS1_20scan_config_selectorIjEEZZNS1_9scan_implILNS1_25lookback_scan_determinismE0ELb0ELb0ES3_N6thrust23THRUST_200600_302600_NS6detail15normal_iteratorINS9_10device_ptrIjEEEESE_jNS9_4plusIvEEjEEDaPvRmT3_T4_T5_mT6_P12ihipStream_tbENKUlT_T0_E_clISt17integral_constantIbLb0EEST_IbLb1EEEEDaSP_SQ_EUlSP_E0_NS1_11comp_targetILNS1_3genE5ELNS1_11target_archE942ELNS1_3gpuE9ELNS1_3repE0EEENS1_30default_config_static_selectorELNS0_4arch9wavefront6targetE1EEEvT1_
	.globl	_ZN7rocprim17ROCPRIM_400000_NS6detail17trampoline_kernelINS0_14default_configENS1_20scan_config_selectorIjEEZZNS1_9scan_implILNS1_25lookback_scan_determinismE0ELb0ELb0ES3_N6thrust23THRUST_200600_302600_NS6detail15normal_iteratorINS9_10device_ptrIjEEEESE_jNS9_4plusIvEEjEEDaPvRmT3_T4_T5_mT6_P12ihipStream_tbENKUlT_T0_E_clISt17integral_constantIbLb0EEST_IbLb1EEEEDaSP_SQ_EUlSP_E0_NS1_11comp_targetILNS1_3genE5ELNS1_11target_archE942ELNS1_3gpuE9ELNS1_3repE0EEENS1_30default_config_static_selectorELNS0_4arch9wavefront6targetE1EEEvT1_
	.p2align	8
	.type	_ZN7rocprim17ROCPRIM_400000_NS6detail17trampoline_kernelINS0_14default_configENS1_20scan_config_selectorIjEEZZNS1_9scan_implILNS1_25lookback_scan_determinismE0ELb0ELb0ES3_N6thrust23THRUST_200600_302600_NS6detail15normal_iteratorINS9_10device_ptrIjEEEESE_jNS9_4plusIvEEjEEDaPvRmT3_T4_T5_mT6_P12ihipStream_tbENKUlT_T0_E_clISt17integral_constantIbLb0EEST_IbLb1EEEEDaSP_SQ_EUlSP_E0_NS1_11comp_targetILNS1_3genE5ELNS1_11target_archE942ELNS1_3gpuE9ELNS1_3repE0EEENS1_30default_config_static_selectorELNS0_4arch9wavefront6targetE1EEEvT1_,@function
_ZN7rocprim17ROCPRIM_400000_NS6detail17trampoline_kernelINS0_14default_configENS1_20scan_config_selectorIjEEZZNS1_9scan_implILNS1_25lookback_scan_determinismE0ELb0ELb0ES3_N6thrust23THRUST_200600_302600_NS6detail15normal_iteratorINS9_10device_ptrIjEEEESE_jNS9_4plusIvEEjEEDaPvRmT3_T4_T5_mT6_P12ihipStream_tbENKUlT_T0_E_clISt17integral_constantIbLb0EEST_IbLb1EEEEDaSP_SQ_EUlSP_E0_NS1_11comp_targetILNS1_3genE5ELNS1_11target_archE942ELNS1_3gpuE9ELNS1_3repE0EEENS1_30default_config_static_selectorELNS0_4arch9wavefront6targetE1EEEvT1_: ; @_ZN7rocprim17ROCPRIM_400000_NS6detail17trampoline_kernelINS0_14default_configENS1_20scan_config_selectorIjEEZZNS1_9scan_implILNS1_25lookback_scan_determinismE0ELb0ELb0ES3_N6thrust23THRUST_200600_302600_NS6detail15normal_iteratorINS9_10device_ptrIjEEEESE_jNS9_4plusIvEEjEEDaPvRmT3_T4_T5_mT6_P12ihipStream_tbENKUlT_T0_E_clISt17integral_constantIbLb0EEST_IbLb1EEEEDaSP_SQ_EUlSP_E0_NS1_11comp_targetILNS1_3genE5ELNS1_11target_archE942ELNS1_3gpuE9ELNS1_3repE0EEENS1_30default_config_static_selectorELNS0_4arch9wavefront6targetE1EEEvT1_
; %bb.0:
	.section	.rodata,"a",@progbits
	.p2align	6, 0x0
	.amdhsa_kernel _ZN7rocprim17ROCPRIM_400000_NS6detail17trampoline_kernelINS0_14default_configENS1_20scan_config_selectorIjEEZZNS1_9scan_implILNS1_25lookback_scan_determinismE0ELb0ELb0ES3_N6thrust23THRUST_200600_302600_NS6detail15normal_iteratorINS9_10device_ptrIjEEEESE_jNS9_4plusIvEEjEEDaPvRmT3_T4_T5_mT6_P12ihipStream_tbENKUlT_T0_E_clISt17integral_constantIbLb0EEST_IbLb1EEEEDaSP_SQ_EUlSP_E0_NS1_11comp_targetILNS1_3genE5ELNS1_11target_archE942ELNS1_3gpuE9ELNS1_3repE0EEENS1_30default_config_static_selectorELNS0_4arch9wavefront6targetE1EEEvT1_
		.amdhsa_group_segment_fixed_size 0
		.amdhsa_private_segment_fixed_size 0
		.amdhsa_kernarg_size 32
		.amdhsa_user_sgpr_count 6
		.amdhsa_user_sgpr_private_segment_buffer 1
		.amdhsa_user_sgpr_dispatch_ptr 0
		.amdhsa_user_sgpr_queue_ptr 0
		.amdhsa_user_sgpr_kernarg_segment_ptr 1
		.amdhsa_user_sgpr_dispatch_id 0
		.amdhsa_user_sgpr_flat_scratch_init 0
		.amdhsa_user_sgpr_kernarg_preload_length 0
		.amdhsa_user_sgpr_kernarg_preload_offset 0
		.amdhsa_user_sgpr_private_segment_size 0
		.amdhsa_uses_dynamic_stack 0
		.amdhsa_system_sgpr_private_segment_wavefront_offset 0
		.amdhsa_system_sgpr_workgroup_id_x 1
		.amdhsa_system_sgpr_workgroup_id_y 0
		.amdhsa_system_sgpr_workgroup_id_z 0
		.amdhsa_system_sgpr_workgroup_info 0
		.amdhsa_system_vgpr_workitem_id 0
		.amdhsa_next_free_vgpr 1
		.amdhsa_next_free_sgpr 0
		.amdhsa_accum_offset 4
		.amdhsa_reserve_vcc 0
		.amdhsa_reserve_flat_scratch 0
		.amdhsa_float_round_mode_32 0
		.amdhsa_float_round_mode_16_64 0
		.amdhsa_float_denorm_mode_32 3
		.amdhsa_float_denorm_mode_16_64 3
		.amdhsa_dx10_clamp 1
		.amdhsa_ieee_mode 1
		.amdhsa_fp16_overflow 0
		.amdhsa_tg_split 0
		.amdhsa_exception_fp_ieee_invalid_op 0
		.amdhsa_exception_fp_denorm_src 0
		.amdhsa_exception_fp_ieee_div_zero 0
		.amdhsa_exception_fp_ieee_overflow 0
		.amdhsa_exception_fp_ieee_underflow 0
		.amdhsa_exception_fp_ieee_inexact 0
		.amdhsa_exception_int_div_zero 0
	.end_amdhsa_kernel
	.section	.text._ZN7rocprim17ROCPRIM_400000_NS6detail17trampoline_kernelINS0_14default_configENS1_20scan_config_selectorIjEEZZNS1_9scan_implILNS1_25lookback_scan_determinismE0ELb0ELb0ES3_N6thrust23THRUST_200600_302600_NS6detail15normal_iteratorINS9_10device_ptrIjEEEESE_jNS9_4plusIvEEjEEDaPvRmT3_T4_T5_mT6_P12ihipStream_tbENKUlT_T0_E_clISt17integral_constantIbLb0EEST_IbLb1EEEEDaSP_SQ_EUlSP_E0_NS1_11comp_targetILNS1_3genE5ELNS1_11target_archE942ELNS1_3gpuE9ELNS1_3repE0EEENS1_30default_config_static_selectorELNS0_4arch9wavefront6targetE1EEEvT1_,"axG",@progbits,_ZN7rocprim17ROCPRIM_400000_NS6detail17trampoline_kernelINS0_14default_configENS1_20scan_config_selectorIjEEZZNS1_9scan_implILNS1_25lookback_scan_determinismE0ELb0ELb0ES3_N6thrust23THRUST_200600_302600_NS6detail15normal_iteratorINS9_10device_ptrIjEEEESE_jNS9_4plusIvEEjEEDaPvRmT3_T4_T5_mT6_P12ihipStream_tbENKUlT_T0_E_clISt17integral_constantIbLb0EEST_IbLb1EEEEDaSP_SQ_EUlSP_E0_NS1_11comp_targetILNS1_3genE5ELNS1_11target_archE942ELNS1_3gpuE9ELNS1_3repE0EEENS1_30default_config_static_selectorELNS0_4arch9wavefront6targetE1EEEvT1_,comdat
.Lfunc_end4638:
	.size	_ZN7rocprim17ROCPRIM_400000_NS6detail17trampoline_kernelINS0_14default_configENS1_20scan_config_selectorIjEEZZNS1_9scan_implILNS1_25lookback_scan_determinismE0ELb0ELb0ES3_N6thrust23THRUST_200600_302600_NS6detail15normal_iteratorINS9_10device_ptrIjEEEESE_jNS9_4plusIvEEjEEDaPvRmT3_T4_T5_mT6_P12ihipStream_tbENKUlT_T0_E_clISt17integral_constantIbLb0EEST_IbLb1EEEEDaSP_SQ_EUlSP_E0_NS1_11comp_targetILNS1_3genE5ELNS1_11target_archE942ELNS1_3gpuE9ELNS1_3repE0EEENS1_30default_config_static_selectorELNS0_4arch9wavefront6targetE1EEEvT1_, .Lfunc_end4638-_ZN7rocprim17ROCPRIM_400000_NS6detail17trampoline_kernelINS0_14default_configENS1_20scan_config_selectorIjEEZZNS1_9scan_implILNS1_25lookback_scan_determinismE0ELb0ELb0ES3_N6thrust23THRUST_200600_302600_NS6detail15normal_iteratorINS9_10device_ptrIjEEEESE_jNS9_4plusIvEEjEEDaPvRmT3_T4_T5_mT6_P12ihipStream_tbENKUlT_T0_E_clISt17integral_constantIbLb0EEST_IbLb1EEEEDaSP_SQ_EUlSP_E0_NS1_11comp_targetILNS1_3genE5ELNS1_11target_archE942ELNS1_3gpuE9ELNS1_3repE0EEENS1_30default_config_static_selectorELNS0_4arch9wavefront6targetE1EEEvT1_
                                        ; -- End function
	.section	.AMDGPU.csdata,"",@progbits
; Kernel info:
; codeLenInByte = 0
; NumSgprs: 4
; NumVgprs: 0
; NumAgprs: 0
; TotalNumVgprs: 0
; ScratchSize: 0
; MemoryBound: 0
; FloatMode: 240
; IeeeMode: 1
; LDSByteSize: 0 bytes/workgroup (compile time only)
; SGPRBlocks: 0
; VGPRBlocks: 0
; NumSGPRsForWavesPerEU: 4
; NumVGPRsForWavesPerEU: 1
; AccumOffset: 4
; Occupancy: 8
; WaveLimiterHint : 0
; COMPUTE_PGM_RSRC2:SCRATCH_EN: 0
; COMPUTE_PGM_RSRC2:USER_SGPR: 6
; COMPUTE_PGM_RSRC2:TRAP_HANDLER: 0
; COMPUTE_PGM_RSRC2:TGID_X_EN: 1
; COMPUTE_PGM_RSRC2:TGID_Y_EN: 0
; COMPUTE_PGM_RSRC2:TGID_Z_EN: 0
; COMPUTE_PGM_RSRC2:TIDIG_COMP_CNT: 0
; COMPUTE_PGM_RSRC3_GFX90A:ACCUM_OFFSET: 0
; COMPUTE_PGM_RSRC3_GFX90A:TG_SPLIT: 0
	.section	.text._ZN7rocprim17ROCPRIM_400000_NS6detail17trampoline_kernelINS0_14default_configENS1_20scan_config_selectorIjEEZZNS1_9scan_implILNS1_25lookback_scan_determinismE0ELb0ELb0ES3_N6thrust23THRUST_200600_302600_NS6detail15normal_iteratorINS9_10device_ptrIjEEEESE_jNS9_4plusIvEEjEEDaPvRmT3_T4_T5_mT6_P12ihipStream_tbENKUlT_T0_E_clISt17integral_constantIbLb0EEST_IbLb1EEEEDaSP_SQ_EUlSP_E0_NS1_11comp_targetILNS1_3genE4ELNS1_11target_archE910ELNS1_3gpuE8ELNS1_3repE0EEENS1_30default_config_static_selectorELNS0_4arch9wavefront6targetE1EEEvT1_,"axG",@progbits,_ZN7rocprim17ROCPRIM_400000_NS6detail17trampoline_kernelINS0_14default_configENS1_20scan_config_selectorIjEEZZNS1_9scan_implILNS1_25lookback_scan_determinismE0ELb0ELb0ES3_N6thrust23THRUST_200600_302600_NS6detail15normal_iteratorINS9_10device_ptrIjEEEESE_jNS9_4plusIvEEjEEDaPvRmT3_T4_T5_mT6_P12ihipStream_tbENKUlT_T0_E_clISt17integral_constantIbLb0EEST_IbLb1EEEEDaSP_SQ_EUlSP_E0_NS1_11comp_targetILNS1_3genE4ELNS1_11target_archE910ELNS1_3gpuE8ELNS1_3repE0EEENS1_30default_config_static_selectorELNS0_4arch9wavefront6targetE1EEEvT1_,comdat
	.protected	_ZN7rocprim17ROCPRIM_400000_NS6detail17trampoline_kernelINS0_14default_configENS1_20scan_config_selectorIjEEZZNS1_9scan_implILNS1_25lookback_scan_determinismE0ELb0ELb0ES3_N6thrust23THRUST_200600_302600_NS6detail15normal_iteratorINS9_10device_ptrIjEEEESE_jNS9_4plusIvEEjEEDaPvRmT3_T4_T5_mT6_P12ihipStream_tbENKUlT_T0_E_clISt17integral_constantIbLb0EEST_IbLb1EEEEDaSP_SQ_EUlSP_E0_NS1_11comp_targetILNS1_3genE4ELNS1_11target_archE910ELNS1_3gpuE8ELNS1_3repE0EEENS1_30default_config_static_selectorELNS0_4arch9wavefront6targetE1EEEvT1_ ; -- Begin function _ZN7rocprim17ROCPRIM_400000_NS6detail17trampoline_kernelINS0_14default_configENS1_20scan_config_selectorIjEEZZNS1_9scan_implILNS1_25lookback_scan_determinismE0ELb0ELb0ES3_N6thrust23THRUST_200600_302600_NS6detail15normal_iteratorINS9_10device_ptrIjEEEESE_jNS9_4plusIvEEjEEDaPvRmT3_T4_T5_mT6_P12ihipStream_tbENKUlT_T0_E_clISt17integral_constantIbLb0EEST_IbLb1EEEEDaSP_SQ_EUlSP_E0_NS1_11comp_targetILNS1_3genE4ELNS1_11target_archE910ELNS1_3gpuE8ELNS1_3repE0EEENS1_30default_config_static_selectorELNS0_4arch9wavefront6targetE1EEEvT1_
	.globl	_ZN7rocprim17ROCPRIM_400000_NS6detail17trampoline_kernelINS0_14default_configENS1_20scan_config_selectorIjEEZZNS1_9scan_implILNS1_25lookback_scan_determinismE0ELb0ELb0ES3_N6thrust23THRUST_200600_302600_NS6detail15normal_iteratorINS9_10device_ptrIjEEEESE_jNS9_4plusIvEEjEEDaPvRmT3_T4_T5_mT6_P12ihipStream_tbENKUlT_T0_E_clISt17integral_constantIbLb0EEST_IbLb1EEEEDaSP_SQ_EUlSP_E0_NS1_11comp_targetILNS1_3genE4ELNS1_11target_archE910ELNS1_3gpuE8ELNS1_3repE0EEENS1_30default_config_static_selectorELNS0_4arch9wavefront6targetE1EEEvT1_
	.p2align	8
	.type	_ZN7rocprim17ROCPRIM_400000_NS6detail17trampoline_kernelINS0_14default_configENS1_20scan_config_selectorIjEEZZNS1_9scan_implILNS1_25lookback_scan_determinismE0ELb0ELb0ES3_N6thrust23THRUST_200600_302600_NS6detail15normal_iteratorINS9_10device_ptrIjEEEESE_jNS9_4plusIvEEjEEDaPvRmT3_T4_T5_mT6_P12ihipStream_tbENKUlT_T0_E_clISt17integral_constantIbLb0EEST_IbLb1EEEEDaSP_SQ_EUlSP_E0_NS1_11comp_targetILNS1_3genE4ELNS1_11target_archE910ELNS1_3gpuE8ELNS1_3repE0EEENS1_30default_config_static_selectorELNS0_4arch9wavefront6targetE1EEEvT1_,@function
_ZN7rocprim17ROCPRIM_400000_NS6detail17trampoline_kernelINS0_14default_configENS1_20scan_config_selectorIjEEZZNS1_9scan_implILNS1_25lookback_scan_determinismE0ELb0ELb0ES3_N6thrust23THRUST_200600_302600_NS6detail15normal_iteratorINS9_10device_ptrIjEEEESE_jNS9_4plusIvEEjEEDaPvRmT3_T4_T5_mT6_P12ihipStream_tbENKUlT_T0_E_clISt17integral_constantIbLb0EEST_IbLb1EEEEDaSP_SQ_EUlSP_E0_NS1_11comp_targetILNS1_3genE4ELNS1_11target_archE910ELNS1_3gpuE8ELNS1_3repE0EEENS1_30default_config_static_selectorELNS0_4arch9wavefront6targetE1EEEvT1_: ; @_ZN7rocprim17ROCPRIM_400000_NS6detail17trampoline_kernelINS0_14default_configENS1_20scan_config_selectorIjEEZZNS1_9scan_implILNS1_25lookback_scan_determinismE0ELb0ELb0ES3_N6thrust23THRUST_200600_302600_NS6detail15normal_iteratorINS9_10device_ptrIjEEEESE_jNS9_4plusIvEEjEEDaPvRmT3_T4_T5_mT6_P12ihipStream_tbENKUlT_T0_E_clISt17integral_constantIbLb0EEST_IbLb1EEEEDaSP_SQ_EUlSP_E0_NS1_11comp_targetILNS1_3genE4ELNS1_11target_archE910ELNS1_3gpuE8ELNS1_3repE0EEENS1_30default_config_static_selectorELNS0_4arch9wavefront6targetE1EEEvT1_
; %bb.0:
	s_load_dwordx4 s[20:23], s[4:5], 0x0
	v_lshlrev_b32_e32 v20, 2, v0
	s_waitcnt lgkmcnt(0)
	s_load_dword s23, s[20:21], 0x0
	v_cmp_gt_u32_e32 vcc, s22, v0
	s_waitcnt lgkmcnt(0)
	v_mov_b32_e32 v1, s23
	s_and_saveexec_b64 s[0:1], vcc
	s_cbranch_execz .LBB4639_2
; %bb.1:
	global_load_dword v1, v20, s[20:21]
.LBB4639_2:
	s_or_b64 exec, exec, s[0:1]
	v_or_b32_e32 v2, 0x80, v0
	v_cmp_gt_u32_e64 s[0:1], s22, v2
	v_mov_b32_e32 v2, s23
	s_and_saveexec_b64 s[2:3], s[0:1]
	s_cbranch_execz .LBB4639_4
; %bb.3:
	global_load_dword v2, v20, s[20:21] offset:512
.LBB4639_4:
	s_or_b64 exec, exec, s[2:3]
	v_or_b32_e32 v3, 0x100, v0
	v_cmp_gt_u32_e64 s[2:3], s22, v3
	v_mov_b32_e32 v3, s23
	s_and_saveexec_b64 s[6:7], s[2:3]
	s_cbranch_execz .LBB4639_6
; %bb.5:
	global_load_dword v3, v20, s[20:21] offset:1024
.LBB4639_6:
	;; [unrolled: 9-line block ×7, first 2 shown]
	s_or_b64 exec, exec, s[14:15]
	v_or_b32_e32 v10, 0x400, v0
	v_cmp_gt_u32_e64 s[14:15], s22, v10
	v_mov_b32_e32 v9, s23
	s_and_saveexec_b64 s[16:17], s[14:15]
	s_cbranch_execz .LBB4639_18
; %bb.17:
	v_lshlrev_b32_e32 v9, 2, v10
	global_load_dword v9, v9, s[20:21]
.LBB4639_18:
	s_or_b64 exec, exec, s[16:17]
	v_or_b32_e32 v11, 0x480, v0
	v_cmp_gt_u32_e64 s[16:17], s22, v11
	v_mov_b32_e32 v10, s23
	s_and_saveexec_b64 s[22:23], s[16:17]
	s_cbranch_execz .LBB4639_20
; %bb.19:
	v_lshlrev_b32_e32 v10, 2, v11
	global_load_dword v10, v10, s[20:21]
.LBB4639_20:
	s_or_b64 exec, exec, s[22:23]
	s_waitcnt vmcnt(0)
	ds_write2st64_b32 v20, v1, v2 offset1:2
	ds_write2st64_b32 v20, v3, v4 offset0:4 offset1:6
	ds_write2st64_b32 v20, v5, v6 offset0:8 offset1:10
	;; [unrolled: 1-line block ×4, first 2 shown]
	v_mad_u32_u24 v1, v0, 36, v20
	s_waitcnt lgkmcnt(0)
	s_barrier
	ds_read2_b64 v[6:9], v1 offset1:1
	ds_read2_b64 v[2:5], v1 offset0:2 offset1:3
	ds_read_b64 v[18:19], v1 offset:32
	v_lshrrev_b32_e32 v21, 3, v0
	v_and_b32_e32 v21, 12, v21
	s_waitcnt lgkmcnt(2)
	v_add_u32_e32 v1, v7, v6
	v_add_u32_e32 v14, v1, v8
	;; [unrolled: 1-line block ×3, first 2 shown]
	s_waitcnt lgkmcnt(1)
	v_add_u32_e32 v10, v15, v2
	v_add_u32_e32 v11, v10, v3
	;; [unrolled: 1-line block ×4, first 2 shown]
	s_waitcnt lgkmcnt(0)
	v_add_u32_e32 v16, v13, v18
	v_add_u32_e32 v17, v16, v19
	;; [unrolled: 1-line block ×3, first 2 shown]
	v_cmp_gt_u32_e64 s[20:21], 64, v0
	s_barrier
	ds_write_b32 v21, v17
	s_waitcnt lgkmcnt(0)
	s_barrier
	s_and_saveexec_b64 s[22:23], s[20:21]
	s_cbranch_execz .LBB4639_22
; %bb.21:
	v_lshlrev_b32_e32 v21, 1, v0
	v_lshrrev_b32_e32 v22, 4, v0
	v_add_lshl_u32 v21, v22, v21, 2
	ds_read2_b32 v[22:23], v21 offset1:1
	v_mbcnt_lo_u32_b32 v24, -1, 0
	v_mbcnt_hi_u32_b32 v24, -1, v24
	v_and_b32_e32 v25, 15, v24
	v_cmp_ne_u32_e64 s[20:21], 0, v25
	s_waitcnt lgkmcnt(0)
	v_add_u32_e32 v23, v23, v22
	; wave barrier
	s_nop 1
	v_mov_b32_dpp v26, v23 row_shr:1 row_mask:0xf bank_mask:0xf
	v_cndmask_b32_e64 v26, 0, v26, s[20:21]
	v_add_u32_e32 v23, v26, v23
	v_cmp_lt_u32_e64 s[20:21], 1, v25
	s_nop 0
	v_mov_b32_dpp v26, v23 row_shr:2 row_mask:0xf bank_mask:0xf
	v_cndmask_b32_e64 v26, 0, v26, s[20:21]
	v_add_u32_e32 v23, v23, v26
	v_cmp_lt_u32_e64 s[20:21], 3, v25
	s_nop 0
	v_mov_b32_dpp v26, v23 row_shr:4 row_mask:0xf bank_mask:0xf
	v_cndmask_b32_e64 v26, 0, v26, s[20:21]
	v_add_u32_e32 v23, v23, v26
	v_cmp_lt_u32_e64 s[20:21], 7, v25
	s_nop 0
	v_mov_b32_dpp v26, v23 row_shr:8 row_mask:0xf bank_mask:0xf
	v_cndmask_b32_e64 v25, 0, v26, s[20:21]
	v_add_u32_e32 v23, v23, v25
	v_bfe_i32 v26, v24, 4, 1
	v_cmp_lt_u32_e64 s[20:21], 31, v24
	v_mov_b32_dpp v25, v23 row_bcast:15 row_mask:0xf bank_mask:0xf
	v_and_b32_e32 v25, v26, v25
	v_add_u32_e32 v23, v23, v25
	v_and_b32_e32 v26, 64, v24
	s_nop 0
	v_mov_b32_dpp v25, v23 row_bcast:31 row_mask:0xf bank_mask:0xf
	v_cndmask_b32_e64 v25, 0, v25, s[20:21]
	v_add_u32_e32 v23, v23, v25
	v_add_u32_e32 v25, -1, v24
	v_cmp_lt_i32_e64 s[20:21], v25, v26
	v_cndmask_b32_e64 v24, v25, v24, s[20:21]
	v_lshlrev_b32_e32 v24, 2, v24
	ds_bpermute_b32 v23, v24, v23
	v_cmp_eq_u32_e64 s[20:21], 0, v0
	s_waitcnt lgkmcnt(0)
	v_add_u32_e32 v22, v23, v22
	v_cndmask_b32_e64 v22, v22, v17, s[20:21]
	ds_write_b32 v21, v22
	; wave barrier
	ds_read_b32 v23, v21 offset:4
	s_waitcnt lgkmcnt(0)
	v_add_u32_e32 v22, v23, v22
	ds_write_b32 v21, v22 offset:4
.LBB4639_22:
	s_or_b64 exec, exec, s[22:23]
	s_load_dwordx2 s[20:21], s[4:5], 0x18
	v_cmp_ne_u32_e64 s[4:5], 0, v0
	v_mov_b32_e32 v22, v17
	s_waitcnt lgkmcnt(0)
	s_barrier
	s_and_saveexec_b64 s[22:23], s[4:5]
	s_cbranch_execz .LBB4639_24
; %bb.23:
	v_add_u32_e32 v21, -1, v0
	v_lshrrev_b32_e32 v22, 5, v21
	v_add_lshl_u32 v21, v22, v21, 2
	ds_read_b32 v22, v21
.LBB4639_24:
	s_or_b64 exec, exec, s[22:23]
	v_mul_u32_u24_e32 v21, 36, v0
	v_mov_b32_e32 v0, v6
	s_and_saveexec_b64 s[22:23], s[4:5]
	s_cbranch_execz .LBB4639_26
; %bb.25:
	s_waitcnt lgkmcnt(0)
	v_add_u32_e32 v0, v22, v6
	v_add_u32_e32 v1, v0, v7
	;; [unrolled: 1-line block ×10, first 2 shown]
	;;#ASMSTART
	;;#ASMEND
.LBB4639_26:
	s_or_b64 exec, exec, s[22:23]
	v_add_u32_e32 v2, v20, v21
	s_waitcnt lgkmcnt(0)
	s_barrier
	ds_write2_b64 v2, v[0:1], v[14:15] offset1:1
	ds_write2_b64 v2, v[10:11], v[12:13] offset0:2 offset1:3
	ds_write_b64 v2, v[16:17] offset:32
	s_waitcnt lgkmcnt(0)
	s_barrier
	ds_read2st64_b32 v[8:9], v20 offset0:2 offset1:4
	ds_read2st64_b32 v[6:7], v20 offset0:6 offset1:8
	;; [unrolled: 1-line block ×4, first 2 shown]
	ds_read_b32 v10, v20 offset:4608
	v_mov_b32_e32 v1, s21
	v_add_co_u32_e64 v0, s[4:5], s20, v20
	v_addc_co_u32_e64 v1, s[4:5], 0, v1, s[4:5]
	s_and_saveexec_b64 s[4:5], vcc
	s_cbranch_execnz .LBB4639_37
; %bb.27:
	s_or_b64 exec, exec, s[4:5]
	s_and_saveexec_b64 s[4:5], s[0:1]
	s_cbranch_execnz .LBB4639_38
.LBB4639_28:
	s_or_b64 exec, exec, s[4:5]
	s_and_saveexec_b64 s[0:1], s[2:3]
	s_cbranch_execnz .LBB4639_39
.LBB4639_29:
	s_or_b64 exec, exec, s[0:1]
	s_and_saveexec_b64 s[0:1], s[18:19]
	s_cbranch_execnz .LBB4639_40
.LBB4639_30:
	s_or_b64 exec, exec, s[0:1]
	s_and_saveexec_b64 s[0:1], s[6:7]
	s_cbranch_execnz .LBB4639_41
.LBB4639_31:
	s_or_b64 exec, exec, s[0:1]
	s_and_saveexec_b64 s[0:1], s[8:9]
	s_cbranch_execnz .LBB4639_42
.LBB4639_32:
	s_or_b64 exec, exec, s[0:1]
	s_and_saveexec_b64 s[0:1], s[10:11]
	s_cbranch_execnz .LBB4639_43
.LBB4639_33:
	s_or_b64 exec, exec, s[0:1]
	s_and_saveexec_b64 s[0:1], s[12:13]
	s_cbranch_execnz .LBB4639_44
.LBB4639_34:
	s_or_b64 exec, exec, s[0:1]
	s_and_saveexec_b64 s[0:1], s[14:15]
	s_cbranch_execnz .LBB4639_45
.LBB4639_35:
	s_or_b64 exec, exec, s[0:1]
	s_and_saveexec_b64 s[0:1], s[16:17]
	s_cbranch_execnz .LBB4639_46
.LBB4639_36:
	s_endpgm
.LBB4639_37:
	ds_read_b32 v11, v20
	s_waitcnt lgkmcnt(0)
	global_store_dword v[0:1], v11, off
	s_or_b64 exec, exec, s[4:5]
	s_and_saveexec_b64 s[4:5], s[0:1]
	s_cbranch_execz .LBB4639_28
.LBB4639_38:
	s_waitcnt lgkmcnt(4)
	global_store_dword v[0:1], v8, off offset:512
	s_or_b64 exec, exec, s[4:5]
	s_and_saveexec_b64 s[0:1], s[2:3]
	s_cbranch_execz .LBB4639_29
.LBB4639_39:
	s_waitcnt lgkmcnt(4)
	global_store_dword v[0:1], v9, off offset:1024
	s_or_b64 exec, exec, s[0:1]
	s_and_saveexec_b64 s[0:1], s[18:19]
	s_cbranch_execz .LBB4639_30
.LBB4639_40:
	s_waitcnt lgkmcnt(3)
	global_store_dword v[0:1], v6, off offset:1536
	s_or_b64 exec, exec, s[0:1]
	s_and_saveexec_b64 s[0:1], s[6:7]
	s_cbranch_execz .LBB4639_31
.LBB4639_41:
	s_waitcnt lgkmcnt(3)
	global_store_dword v[0:1], v7, off offset:2048
	s_or_b64 exec, exec, s[0:1]
	s_and_saveexec_b64 s[0:1], s[8:9]
	s_cbranch_execz .LBB4639_32
.LBB4639_42:
	s_waitcnt lgkmcnt(2)
	global_store_dword v[0:1], v4, off offset:2560
	s_or_b64 exec, exec, s[0:1]
	s_and_saveexec_b64 s[0:1], s[10:11]
	s_cbranch_execz .LBB4639_33
.LBB4639_43:
	s_waitcnt lgkmcnt(2)
	global_store_dword v[0:1], v5, off offset:3072
	s_or_b64 exec, exec, s[0:1]
	s_and_saveexec_b64 s[0:1], s[12:13]
	s_cbranch_execz .LBB4639_34
.LBB4639_44:
	s_waitcnt lgkmcnt(1)
	global_store_dword v[0:1], v2, off offset:3584
	s_or_b64 exec, exec, s[0:1]
	s_and_saveexec_b64 s[0:1], s[14:15]
	s_cbranch_execz .LBB4639_35
.LBB4639_45:
	s_waitcnt lgkmcnt(2)
	v_add_co_u32_e32 v4, vcc, 0x1000, v0
	v_addc_co_u32_e32 v5, vcc, 0, v1, vcc
	s_waitcnt lgkmcnt(1)
	global_store_dword v[4:5], v3, off
	s_or_b64 exec, exec, s[0:1]
	s_and_saveexec_b64 s[0:1], s[16:17]
	s_cbranch_execz .LBB4639_36
.LBB4639_46:
	v_add_co_u32_e32 v0, vcc, 0x1000, v0
	v_addc_co_u32_e32 v1, vcc, 0, v1, vcc
	s_waitcnt lgkmcnt(0)
	global_store_dword v[0:1], v10, off offset:512
	s_endpgm
	.section	.rodata,"a",@progbits
	.p2align	6, 0x0
	.amdhsa_kernel _ZN7rocprim17ROCPRIM_400000_NS6detail17trampoline_kernelINS0_14default_configENS1_20scan_config_selectorIjEEZZNS1_9scan_implILNS1_25lookback_scan_determinismE0ELb0ELb0ES3_N6thrust23THRUST_200600_302600_NS6detail15normal_iteratorINS9_10device_ptrIjEEEESE_jNS9_4plusIvEEjEEDaPvRmT3_T4_T5_mT6_P12ihipStream_tbENKUlT_T0_E_clISt17integral_constantIbLb0EEST_IbLb1EEEEDaSP_SQ_EUlSP_E0_NS1_11comp_targetILNS1_3genE4ELNS1_11target_archE910ELNS1_3gpuE8ELNS1_3repE0EEENS1_30default_config_static_selectorELNS0_4arch9wavefront6targetE1EEEvT1_
		.amdhsa_group_segment_fixed_size 5120
		.amdhsa_private_segment_fixed_size 0
		.amdhsa_kernarg_size 32
		.amdhsa_user_sgpr_count 6
		.amdhsa_user_sgpr_private_segment_buffer 1
		.amdhsa_user_sgpr_dispatch_ptr 0
		.amdhsa_user_sgpr_queue_ptr 0
		.amdhsa_user_sgpr_kernarg_segment_ptr 1
		.amdhsa_user_sgpr_dispatch_id 0
		.amdhsa_user_sgpr_flat_scratch_init 0
		.amdhsa_user_sgpr_kernarg_preload_length 0
		.amdhsa_user_sgpr_kernarg_preload_offset 0
		.amdhsa_user_sgpr_private_segment_size 0
		.amdhsa_uses_dynamic_stack 0
		.amdhsa_system_sgpr_private_segment_wavefront_offset 0
		.amdhsa_system_sgpr_workgroup_id_x 1
		.amdhsa_system_sgpr_workgroup_id_y 0
		.amdhsa_system_sgpr_workgroup_id_z 0
		.amdhsa_system_sgpr_workgroup_info 0
		.amdhsa_system_vgpr_workitem_id 0
		.amdhsa_next_free_vgpr 27
		.amdhsa_next_free_sgpr 24
		.amdhsa_accum_offset 28
		.amdhsa_reserve_vcc 1
		.amdhsa_reserve_flat_scratch 0
		.amdhsa_float_round_mode_32 0
		.amdhsa_float_round_mode_16_64 0
		.amdhsa_float_denorm_mode_32 3
		.amdhsa_float_denorm_mode_16_64 3
		.amdhsa_dx10_clamp 1
		.amdhsa_ieee_mode 1
		.amdhsa_fp16_overflow 0
		.amdhsa_tg_split 0
		.amdhsa_exception_fp_ieee_invalid_op 0
		.amdhsa_exception_fp_denorm_src 0
		.amdhsa_exception_fp_ieee_div_zero 0
		.amdhsa_exception_fp_ieee_overflow 0
		.amdhsa_exception_fp_ieee_underflow 0
		.amdhsa_exception_fp_ieee_inexact 0
		.amdhsa_exception_int_div_zero 0
	.end_amdhsa_kernel
	.section	.text._ZN7rocprim17ROCPRIM_400000_NS6detail17trampoline_kernelINS0_14default_configENS1_20scan_config_selectorIjEEZZNS1_9scan_implILNS1_25lookback_scan_determinismE0ELb0ELb0ES3_N6thrust23THRUST_200600_302600_NS6detail15normal_iteratorINS9_10device_ptrIjEEEESE_jNS9_4plusIvEEjEEDaPvRmT3_T4_T5_mT6_P12ihipStream_tbENKUlT_T0_E_clISt17integral_constantIbLb0EEST_IbLb1EEEEDaSP_SQ_EUlSP_E0_NS1_11comp_targetILNS1_3genE4ELNS1_11target_archE910ELNS1_3gpuE8ELNS1_3repE0EEENS1_30default_config_static_selectorELNS0_4arch9wavefront6targetE1EEEvT1_,"axG",@progbits,_ZN7rocprim17ROCPRIM_400000_NS6detail17trampoline_kernelINS0_14default_configENS1_20scan_config_selectorIjEEZZNS1_9scan_implILNS1_25lookback_scan_determinismE0ELb0ELb0ES3_N6thrust23THRUST_200600_302600_NS6detail15normal_iteratorINS9_10device_ptrIjEEEESE_jNS9_4plusIvEEjEEDaPvRmT3_T4_T5_mT6_P12ihipStream_tbENKUlT_T0_E_clISt17integral_constantIbLb0EEST_IbLb1EEEEDaSP_SQ_EUlSP_E0_NS1_11comp_targetILNS1_3genE4ELNS1_11target_archE910ELNS1_3gpuE8ELNS1_3repE0EEENS1_30default_config_static_selectorELNS0_4arch9wavefront6targetE1EEEvT1_,comdat
.Lfunc_end4639:
	.size	_ZN7rocprim17ROCPRIM_400000_NS6detail17trampoline_kernelINS0_14default_configENS1_20scan_config_selectorIjEEZZNS1_9scan_implILNS1_25lookback_scan_determinismE0ELb0ELb0ES3_N6thrust23THRUST_200600_302600_NS6detail15normal_iteratorINS9_10device_ptrIjEEEESE_jNS9_4plusIvEEjEEDaPvRmT3_T4_T5_mT6_P12ihipStream_tbENKUlT_T0_E_clISt17integral_constantIbLb0EEST_IbLb1EEEEDaSP_SQ_EUlSP_E0_NS1_11comp_targetILNS1_3genE4ELNS1_11target_archE910ELNS1_3gpuE8ELNS1_3repE0EEENS1_30default_config_static_selectorELNS0_4arch9wavefront6targetE1EEEvT1_, .Lfunc_end4639-_ZN7rocprim17ROCPRIM_400000_NS6detail17trampoline_kernelINS0_14default_configENS1_20scan_config_selectorIjEEZZNS1_9scan_implILNS1_25lookback_scan_determinismE0ELb0ELb0ES3_N6thrust23THRUST_200600_302600_NS6detail15normal_iteratorINS9_10device_ptrIjEEEESE_jNS9_4plusIvEEjEEDaPvRmT3_T4_T5_mT6_P12ihipStream_tbENKUlT_T0_E_clISt17integral_constantIbLb0EEST_IbLb1EEEEDaSP_SQ_EUlSP_E0_NS1_11comp_targetILNS1_3genE4ELNS1_11target_archE910ELNS1_3gpuE8ELNS1_3repE0EEENS1_30default_config_static_selectorELNS0_4arch9wavefront6targetE1EEEvT1_
                                        ; -- End function
	.section	.AMDGPU.csdata,"",@progbits
; Kernel info:
; codeLenInByte = 1556
; NumSgprs: 28
; NumVgprs: 27
; NumAgprs: 0
; TotalNumVgprs: 27
; ScratchSize: 0
; MemoryBound: 0
; FloatMode: 240
; IeeeMode: 1
; LDSByteSize: 5120 bytes/workgroup (compile time only)
; SGPRBlocks: 3
; VGPRBlocks: 3
; NumSGPRsForWavesPerEU: 28
; NumVGPRsForWavesPerEU: 27
; AccumOffset: 28
; Occupancy: 6
; WaveLimiterHint : 0
; COMPUTE_PGM_RSRC2:SCRATCH_EN: 0
; COMPUTE_PGM_RSRC2:USER_SGPR: 6
; COMPUTE_PGM_RSRC2:TRAP_HANDLER: 0
; COMPUTE_PGM_RSRC2:TGID_X_EN: 1
; COMPUTE_PGM_RSRC2:TGID_Y_EN: 0
; COMPUTE_PGM_RSRC2:TGID_Z_EN: 0
; COMPUTE_PGM_RSRC2:TIDIG_COMP_CNT: 0
; COMPUTE_PGM_RSRC3_GFX90A:ACCUM_OFFSET: 6
; COMPUTE_PGM_RSRC3_GFX90A:TG_SPLIT: 0
	.section	.text._ZN7rocprim17ROCPRIM_400000_NS6detail17trampoline_kernelINS0_14default_configENS1_20scan_config_selectorIjEEZZNS1_9scan_implILNS1_25lookback_scan_determinismE0ELb0ELb0ES3_N6thrust23THRUST_200600_302600_NS6detail15normal_iteratorINS9_10device_ptrIjEEEESE_jNS9_4plusIvEEjEEDaPvRmT3_T4_T5_mT6_P12ihipStream_tbENKUlT_T0_E_clISt17integral_constantIbLb0EEST_IbLb1EEEEDaSP_SQ_EUlSP_E0_NS1_11comp_targetILNS1_3genE3ELNS1_11target_archE908ELNS1_3gpuE7ELNS1_3repE0EEENS1_30default_config_static_selectorELNS0_4arch9wavefront6targetE1EEEvT1_,"axG",@progbits,_ZN7rocprim17ROCPRIM_400000_NS6detail17trampoline_kernelINS0_14default_configENS1_20scan_config_selectorIjEEZZNS1_9scan_implILNS1_25lookback_scan_determinismE0ELb0ELb0ES3_N6thrust23THRUST_200600_302600_NS6detail15normal_iteratorINS9_10device_ptrIjEEEESE_jNS9_4plusIvEEjEEDaPvRmT3_T4_T5_mT6_P12ihipStream_tbENKUlT_T0_E_clISt17integral_constantIbLb0EEST_IbLb1EEEEDaSP_SQ_EUlSP_E0_NS1_11comp_targetILNS1_3genE3ELNS1_11target_archE908ELNS1_3gpuE7ELNS1_3repE0EEENS1_30default_config_static_selectorELNS0_4arch9wavefront6targetE1EEEvT1_,comdat
	.protected	_ZN7rocprim17ROCPRIM_400000_NS6detail17trampoline_kernelINS0_14default_configENS1_20scan_config_selectorIjEEZZNS1_9scan_implILNS1_25lookback_scan_determinismE0ELb0ELb0ES3_N6thrust23THRUST_200600_302600_NS6detail15normal_iteratorINS9_10device_ptrIjEEEESE_jNS9_4plusIvEEjEEDaPvRmT3_T4_T5_mT6_P12ihipStream_tbENKUlT_T0_E_clISt17integral_constantIbLb0EEST_IbLb1EEEEDaSP_SQ_EUlSP_E0_NS1_11comp_targetILNS1_3genE3ELNS1_11target_archE908ELNS1_3gpuE7ELNS1_3repE0EEENS1_30default_config_static_selectorELNS0_4arch9wavefront6targetE1EEEvT1_ ; -- Begin function _ZN7rocprim17ROCPRIM_400000_NS6detail17trampoline_kernelINS0_14default_configENS1_20scan_config_selectorIjEEZZNS1_9scan_implILNS1_25lookback_scan_determinismE0ELb0ELb0ES3_N6thrust23THRUST_200600_302600_NS6detail15normal_iteratorINS9_10device_ptrIjEEEESE_jNS9_4plusIvEEjEEDaPvRmT3_T4_T5_mT6_P12ihipStream_tbENKUlT_T0_E_clISt17integral_constantIbLb0EEST_IbLb1EEEEDaSP_SQ_EUlSP_E0_NS1_11comp_targetILNS1_3genE3ELNS1_11target_archE908ELNS1_3gpuE7ELNS1_3repE0EEENS1_30default_config_static_selectorELNS0_4arch9wavefront6targetE1EEEvT1_
	.globl	_ZN7rocprim17ROCPRIM_400000_NS6detail17trampoline_kernelINS0_14default_configENS1_20scan_config_selectorIjEEZZNS1_9scan_implILNS1_25lookback_scan_determinismE0ELb0ELb0ES3_N6thrust23THRUST_200600_302600_NS6detail15normal_iteratorINS9_10device_ptrIjEEEESE_jNS9_4plusIvEEjEEDaPvRmT3_T4_T5_mT6_P12ihipStream_tbENKUlT_T0_E_clISt17integral_constantIbLb0EEST_IbLb1EEEEDaSP_SQ_EUlSP_E0_NS1_11comp_targetILNS1_3genE3ELNS1_11target_archE908ELNS1_3gpuE7ELNS1_3repE0EEENS1_30default_config_static_selectorELNS0_4arch9wavefront6targetE1EEEvT1_
	.p2align	8
	.type	_ZN7rocprim17ROCPRIM_400000_NS6detail17trampoline_kernelINS0_14default_configENS1_20scan_config_selectorIjEEZZNS1_9scan_implILNS1_25lookback_scan_determinismE0ELb0ELb0ES3_N6thrust23THRUST_200600_302600_NS6detail15normal_iteratorINS9_10device_ptrIjEEEESE_jNS9_4plusIvEEjEEDaPvRmT3_T4_T5_mT6_P12ihipStream_tbENKUlT_T0_E_clISt17integral_constantIbLb0EEST_IbLb1EEEEDaSP_SQ_EUlSP_E0_NS1_11comp_targetILNS1_3genE3ELNS1_11target_archE908ELNS1_3gpuE7ELNS1_3repE0EEENS1_30default_config_static_selectorELNS0_4arch9wavefront6targetE1EEEvT1_,@function
_ZN7rocprim17ROCPRIM_400000_NS6detail17trampoline_kernelINS0_14default_configENS1_20scan_config_selectorIjEEZZNS1_9scan_implILNS1_25lookback_scan_determinismE0ELb0ELb0ES3_N6thrust23THRUST_200600_302600_NS6detail15normal_iteratorINS9_10device_ptrIjEEEESE_jNS9_4plusIvEEjEEDaPvRmT3_T4_T5_mT6_P12ihipStream_tbENKUlT_T0_E_clISt17integral_constantIbLb0EEST_IbLb1EEEEDaSP_SQ_EUlSP_E0_NS1_11comp_targetILNS1_3genE3ELNS1_11target_archE908ELNS1_3gpuE7ELNS1_3repE0EEENS1_30default_config_static_selectorELNS0_4arch9wavefront6targetE1EEEvT1_: ; @_ZN7rocprim17ROCPRIM_400000_NS6detail17trampoline_kernelINS0_14default_configENS1_20scan_config_selectorIjEEZZNS1_9scan_implILNS1_25lookback_scan_determinismE0ELb0ELb0ES3_N6thrust23THRUST_200600_302600_NS6detail15normal_iteratorINS9_10device_ptrIjEEEESE_jNS9_4plusIvEEjEEDaPvRmT3_T4_T5_mT6_P12ihipStream_tbENKUlT_T0_E_clISt17integral_constantIbLb0EEST_IbLb1EEEEDaSP_SQ_EUlSP_E0_NS1_11comp_targetILNS1_3genE3ELNS1_11target_archE908ELNS1_3gpuE7ELNS1_3repE0EEENS1_30default_config_static_selectorELNS0_4arch9wavefront6targetE1EEEvT1_
; %bb.0:
	.section	.rodata,"a",@progbits
	.p2align	6, 0x0
	.amdhsa_kernel _ZN7rocprim17ROCPRIM_400000_NS6detail17trampoline_kernelINS0_14default_configENS1_20scan_config_selectorIjEEZZNS1_9scan_implILNS1_25lookback_scan_determinismE0ELb0ELb0ES3_N6thrust23THRUST_200600_302600_NS6detail15normal_iteratorINS9_10device_ptrIjEEEESE_jNS9_4plusIvEEjEEDaPvRmT3_T4_T5_mT6_P12ihipStream_tbENKUlT_T0_E_clISt17integral_constantIbLb0EEST_IbLb1EEEEDaSP_SQ_EUlSP_E0_NS1_11comp_targetILNS1_3genE3ELNS1_11target_archE908ELNS1_3gpuE7ELNS1_3repE0EEENS1_30default_config_static_selectorELNS0_4arch9wavefront6targetE1EEEvT1_
		.amdhsa_group_segment_fixed_size 0
		.amdhsa_private_segment_fixed_size 0
		.amdhsa_kernarg_size 32
		.amdhsa_user_sgpr_count 6
		.amdhsa_user_sgpr_private_segment_buffer 1
		.amdhsa_user_sgpr_dispatch_ptr 0
		.amdhsa_user_sgpr_queue_ptr 0
		.amdhsa_user_sgpr_kernarg_segment_ptr 1
		.amdhsa_user_sgpr_dispatch_id 0
		.amdhsa_user_sgpr_flat_scratch_init 0
		.amdhsa_user_sgpr_kernarg_preload_length 0
		.amdhsa_user_sgpr_kernarg_preload_offset 0
		.amdhsa_user_sgpr_private_segment_size 0
		.amdhsa_uses_dynamic_stack 0
		.amdhsa_system_sgpr_private_segment_wavefront_offset 0
		.amdhsa_system_sgpr_workgroup_id_x 1
		.amdhsa_system_sgpr_workgroup_id_y 0
		.amdhsa_system_sgpr_workgroup_id_z 0
		.amdhsa_system_sgpr_workgroup_info 0
		.amdhsa_system_vgpr_workitem_id 0
		.amdhsa_next_free_vgpr 1
		.amdhsa_next_free_sgpr 0
		.amdhsa_accum_offset 4
		.amdhsa_reserve_vcc 0
		.amdhsa_reserve_flat_scratch 0
		.amdhsa_float_round_mode_32 0
		.amdhsa_float_round_mode_16_64 0
		.amdhsa_float_denorm_mode_32 3
		.amdhsa_float_denorm_mode_16_64 3
		.amdhsa_dx10_clamp 1
		.amdhsa_ieee_mode 1
		.amdhsa_fp16_overflow 0
		.amdhsa_tg_split 0
		.amdhsa_exception_fp_ieee_invalid_op 0
		.amdhsa_exception_fp_denorm_src 0
		.amdhsa_exception_fp_ieee_div_zero 0
		.amdhsa_exception_fp_ieee_overflow 0
		.amdhsa_exception_fp_ieee_underflow 0
		.amdhsa_exception_fp_ieee_inexact 0
		.amdhsa_exception_int_div_zero 0
	.end_amdhsa_kernel
	.section	.text._ZN7rocprim17ROCPRIM_400000_NS6detail17trampoline_kernelINS0_14default_configENS1_20scan_config_selectorIjEEZZNS1_9scan_implILNS1_25lookback_scan_determinismE0ELb0ELb0ES3_N6thrust23THRUST_200600_302600_NS6detail15normal_iteratorINS9_10device_ptrIjEEEESE_jNS9_4plusIvEEjEEDaPvRmT3_T4_T5_mT6_P12ihipStream_tbENKUlT_T0_E_clISt17integral_constantIbLb0EEST_IbLb1EEEEDaSP_SQ_EUlSP_E0_NS1_11comp_targetILNS1_3genE3ELNS1_11target_archE908ELNS1_3gpuE7ELNS1_3repE0EEENS1_30default_config_static_selectorELNS0_4arch9wavefront6targetE1EEEvT1_,"axG",@progbits,_ZN7rocprim17ROCPRIM_400000_NS6detail17trampoline_kernelINS0_14default_configENS1_20scan_config_selectorIjEEZZNS1_9scan_implILNS1_25lookback_scan_determinismE0ELb0ELb0ES3_N6thrust23THRUST_200600_302600_NS6detail15normal_iteratorINS9_10device_ptrIjEEEESE_jNS9_4plusIvEEjEEDaPvRmT3_T4_T5_mT6_P12ihipStream_tbENKUlT_T0_E_clISt17integral_constantIbLb0EEST_IbLb1EEEEDaSP_SQ_EUlSP_E0_NS1_11comp_targetILNS1_3genE3ELNS1_11target_archE908ELNS1_3gpuE7ELNS1_3repE0EEENS1_30default_config_static_selectorELNS0_4arch9wavefront6targetE1EEEvT1_,comdat
.Lfunc_end4640:
	.size	_ZN7rocprim17ROCPRIM_400000_NS6detail17trampoline_kernelINS0_14default_configENS1_20scan_config_selectorIjEEZZNS1_9scan_implILNS1_25lookback_scan_determinismE0ELb0ELb0ES3_N6thrust23THRUST_200600_302600_NS6detail15normal_iteratorINS9_10device_ptrIjEEEESE_jNS9_4plusIvEEjEEDaPvRmT3_T4_T5_mT6_P12ihipStream_tbENKUlT_T0_E_clISt17integral_constantIbLb0EEST_IbLb1EEEEDaSP_SQ_EUlSP_E0_NS1_11comp_targetILNS1_3genE3ELNS1_11target_archE908ELNS1_3gpuE7ELNS1_3repE0EEENS1_30default_config_static_selectorELNS0_4arch9wavefront6targetE1EEEvT1_, .Lfunc_end4640-_ZN7rocprim17ROCPRIM_400000_NS6detail17trampoline_kernelINS0_14default_configENS1_20scan_config_selectorIjEEZZNS1_9scan_implILNS1_25lookback_scan_determinismE0ELb0ELb0ES3_N6thrust23THRUST_200600_302600_NS6detail15normal_iteratorINS9_10device_ptrIjEEEESE_jNS9_4plusIvEEjEEDaPvRmT3_T4_T5_mT6_P12ihipStream_tbENKUlT_T0_E_clISt17integral_constantIbLb0EEST_IbLb1EEEEDaSP_SQ_EUlSP_E0_NS1_11comp_targetILNS1_3genE3ELNS1_11target_archE908ELNS1_3gpuE7ELNS1_3repE0EEENS1_30default_config_static_selectorELNS0_4arch9wavefront6targetE1EEEvT1_
                                        ; -- End function
	.section	.AMDGPU.csdata,"",@progbits
; Kernel info:
; codeLenInByte = 0
; NumSgprs: 4
; NumVgprs: 0
; NumAgprs: 0
; TotalNumVgprs: 0
; ScratchSize: 0
; MemoryBound: 0
; FloatMode: 240
; IeeeMode: 1
; LDSByteSize: 0 bytes/workgroup (compile time only)
; SGPRBlocks: 0
; VGPRBlocks: 0
; NumSGPRsForWavesPerEU: 4
; NumVGPRsForWavesPerEU: 1
; AccumOffset: 4
; Occupancy: 8
; WaveLimiterHint : 0
; COMPUTE_PGM_RSRC2:SCRATCH_EN: 0
; COMPUTE_PGM_RSRC2:USER_SGPR: 6
; COMPUTE_PGM_RSRC2:TRAP_HANDLER: 0
; COMPUTE_PGM_RSRC2:TGID_X_EN: 1
; COMPUTE_PGM_RSRC2:TGID_Y_EN: 0
; COMPUTE_PGM_RSRC2:TGID_Z_EN: 0
; COMPUTE_PGM_RSRC2:TIDIG_COMP_CNT: 0
; COMPUTE_PGM_RSRC3_GFX90A:ACCUM_OFFSET: 0
; COMPUTE_PGM_RSRC3_GFX90A:TG_SPLIT: 0
	.section	.text._ZN7rocprim17ROCPRIM_400000_NS6detail17trampoline_kernelINS0_14default_configENS1_20scan_config_selectorIjEEZZNS1_9scan_implILNS1_25lookback_scan_determinismE0ELb0ELb0ES3_N6thrust23THRUST_200600_302600_NS6detail15normal_iteratorINS9_10device_ptrIjEEEESE_jNS9_4plusIvEEjEEDaPvRmT3_T4_T5_mT6_P12ihipStream_tbENKUlT_T0_E_clISt17integral_constantIbLb0EEST_IbLb1EEEEDaSP_SQ_EUlSP_E0_NS1_11comp_targetILNS1_3genE2ELNS1_11target_archE906ELNS1_3gpuE6ELNS1_3repE0EEENS1_30default_config_static_selectorELNS0_4arch9wavefront6targetE1EEEvT1_,"axG",@progbits,_ZN7rocprim17ROCPRIM_400000_NS6detail17trampoline_kernelINS0_14default_configENS1_20scan_config_selectorIjEEZZNS1_9scan_implILNS1_25lookback_scan_determinismE0ELb0ELb0ES3_N6thrust23THRUST_200600_302600_NS6detail15normal_iteratorINS9_10device_ptrIjEEEESE_jNS9_4plusIvEEjEEDaPvRmT3_T4_T5_mT6_P12ihipStream_tbENKUlT_T0_E_clISt17integral_constantIbLb0EEST_IbLb1EEEEDaSP_SQ_EUlSP_E0_NS1_11comp_targetILNS1_3genE2ELNS1_11target_archE906ELNS1_3gpuE6ELNS1_3repE0EEENS1_30default_config_static_selectorELNS0_4arch9wavefront6targetE1EEEvT1_,comdat
	.protected	_ZN7rocprim17ROCPRIM_400000_NS6detail17trampoline_kernelINS0_14default_configENS1_20scan_config_selectorIjEEZZNS1_9scan_implILNS1_25lookback_scan_determinismE0ELb0ELb0ES3_N6thrust23THRUST_200600_302600_NS6detail15normal_iteratorINS9_10device_ptrIjEEEESE_jNS9_4plusIvEEjEEDaPvRmT3_T4_T5_mT6_P12ihipStream_tbENKUlT_T0_E_clISt17integral_constantIbLb0EEST_IbLb1EEEEDaSP_SQ_EUlSP_E0_NS1_11comp_targetILNS1_3genE2ELNS1_11target_archE906ELNS1_3gpuE6ELNS1_3repE0EEENS1_30default_config_static_selectorELNS0_4arch9wavefront6targetE1EEEvT1_ ; -- Begin function _ZN7rocprim17ROCPRIM_400000_NS6detail17trampoline_kernelINS0_14default_configENS1_20scan_config_selectorIjEEZZNS1_9scan_implILNS1_25lookback_scan_determinismE0ELb0ELb0ES3_N6thrust23THRUST_200600_302600_NS6detail15normal_iteratorINS9_10device_ptrIjEEEESE_jNS9_4plusIvEEjEEDaPvRmT3_T4_T5_mT6_P12ihipStream_tbENKUlT_T0_E_clISt17integral_constantIbLb0EEST_IbLb1EEEEDaSP_SQ_EUlSP_E0_NS1_11comp_targetILNS1_3genE2ELNS1_11target_archE906ELNS1_3gpuE6ELNS1_3repE0EEENS1_30default_config_static_selectorELNS0_4arch9wavefront6targetE1EEEvT1_
	.globl	_ZN7rocprim17ROCPRIM_400000_NS6detail17trampoline_kernelINS0_14default_configENS1_20scan_config_selectorIjEEZZNS1_9scan_implILNS1_25lookback_scan_determinismE0ELb0ELb0ES3_N6thrust23THRUST_200600_302600_NS6detail15normal_iteratorINS9_10device_ptrIjEEEESE_jNS9_4plusIvEEjEEDaPvRmT3_T4_T5_mT6_P12ihipStream_tbENKUlT_T0_E_clISt17integral_constantIbLb0EEST_IbLb1EEEEDaSP_SQ_EUlSP_E0_NS1_11comp_targetILNS1_3genE2ELNS1_11target_archE906ELNS1_3gpuE6ELNS1_3repE0EEENS1_30default_config_static_selectorELNS0_4arch9wavefront6targetE1EEEvT1_
	.p2align	8
	.type	_ZN7rocprim17ROCPRIM_400000_NS6detail17trampoline_kernelINS0_14default_configENS1_20scan_config_selectorIjEEZZNS1_9scan_implILNS1_25lookback_scan_determinismE0ELb0ELb0ES3_N6thrust23THRUST_200600_302600_NS6detail15normal_iteratorINS9_10device_ptrIjEEEESE_jNS9_4plusIvEEjEEDaPvRmT3_T4_T5_mT6_P12ihipStream_tbENKUlT_T0_E_clISt17integral_constantIbLb0EEST_IbLb1EEEEDaSP_SQ_EUlSP_E0_NS1_11comp_targetILNS1_3genE2ELNS1_11target_archE906ELNS1_3gpuE6ELNS1_3repE0EEENS1_30default_config_static_selectorELNS0_4arch9wavefront6targetE1EEEvT1_,@function
_ZN7rocprim17ROCPRIM_400000_NS6detail17trampoline_kernelINS0_14default_configENS1_20scan_config_selectorIjEEZZNS1_9scan_implILNS1_25lookback_scan_determinismE0ELb0ELb0ES3_N6thrust23THRUST_200600_302600_NS6detail15normal_iteratorINS9_10device_ptrIjEEEESE_jNS9_4plusIvEEjEEDaPvRmT3_T4_T5_mT6_P12ihipStream_tbENKUlT_T0_E_clISt17integral_constantIbLb0EEST_IbLb1EEEEDaSP_SQ_EUlSP_E0_NS1_11comp_targetILNS1_3genE2ELNS1_11target_archE906ELNS1_3gpuE6ELNS1_3repE0EEENS1_30default_config_static_selectorELNS0_4arch9wavefront6targetE1EEEvT1_: ; @_ZN7rocprim17ROCPRIM_400000_NS6detail17trampoline_kernelINS0_14default_configENS1_20scan_config_selectorIjEEZZNS1_9scan_implILNS1_25lookback_scan_determinismE0ELb0ELb0ES3_N6thrust23THRUST_200600_302600_NS6detail15normal_iteratorINS9_10device_ptrIjEEEESE_jNS9_4plusIvEEjEEDaPvRmT3_T4_T5_mT6_P12ihipStream_tbENKUlT_T0_E_clISt17integral_constantIbLb0EEST_IbLb1EEEEDaSP_SQ_EUlSP_E0_NS1_11comp_targetILNS1_3genE2ELNS1_11target_archE906ELNS1_3gpuE6ELNS1_3repE0EEENS1_30default_config_static_selectorELNS0_4arch9wavefront6targetE1EEEvT1_
; %bb.0:
	.section	.rodata,"a",@progbits
	.p2align	6, 0x0
	.amdhsa_kernel _ZN7rocprim17ROCPRIM_400000_NS6detail17trampoline_kernelINS0_14default_configENS1_20scan_config_selectorIjEEZZNS1_9scan_implILNS1_25lookback_scan_determinismE0ELb0ELb0ES3_N6thrust23THRUST_200600_302600_NS6detail15normal_iteratorINS9_10device_ptrIjEEEESE_jNS9_4plusIvEEjEEDaPvRmT3_T4_T5_mT6_P12ihipStream_tbENKUlT_T0_E_clISt17integral_constantIbLb0EEST_IbLb1EEEEDaSP_SQ_EUlSP_E0_NS1_11comp_targetILNS1_3genE2ELNS1_11target_archE906ELNS1_3gpuE6ELNS1_3repE0EEENS1_30default_config_static_selectorELNS0_4arch9wavefront6targetE1EEEvT1_
		.amdhsa_group_segment_fixed_size 0
		.amdhsa_private_segment_fixed_size 0
		.amdhsa_kernarg_size 32
		.amdhsa_user_sgpr_count 6
		.amdhsa_user_sgpr_private_segment_buffer 1
		.amdhsa_user_sgpr_dispatch_ptr 0
		.amdhsa_user_sgpr_queue_ptr 0
		.amdhsa_user_sgpr_kernarg_segment_ptr 1
		.amdhsa_user_sgpr_dispatch_id 0
		.amdhsa_user_sgpr_flat_scratch_init 0
		.amdhsa_user_sgpr_kernarg_preload_length 0
		.amdhsa_user_sgpr_kernarg_preload_offset 0
		.amdhsa_user_sgpr_private_segment_size 0
		.amdhsa_uses_dynamic_stack 0
		.amdhsa_system_sgpr_private_segment_wavefront_offset 0
		.amdhsa_system_sgpr_workgroup_id_x 1
		.amdhsa_system_sgpr_workgroup_id_y 0
		.amdhsa_system_sgpr_workgroup_id_z 0
		.amdhsa_system_sgpr_workgroup_info 0
		.amdhsa_system_vgpr_workitem_id 0
		.amdhsa_next_free_vgpr 1
		.amdhsa_next_free_sgpr 0
		.amdhsa_accum_offset 4
		.amdhsa_reserve_vcc 0
		.amdhsa_reserve_flat_scratch 0
		.amdhsa_float_round_mode_32 0
		.amdhsa_float_round_mode_16_64 0
		.amdhsa_float_denorm_mode_32 3
		.amdhsa_float_denorm_mode_16_64 3
		.amdhsa_dx10_clamp 1
		.amdhsa_ieee_mode 1
		.amdhsa_fp16_overflow 0
		.amdhsa_tg_split 0
		.amdhsa_exception_fp_ieee_invalid_op 0
		.amdhsa_exception_fp_denorm_src 0
		.amdhsa_exception_fp_ieee_div_zero 0
		.amdhsa_exception_fp_ieee_overflow 0
		.amdhsa_exception_fp_ieee_underflow 0
		.amdhsa_exception_fp_ieee_inexact 0
		.amdhsa_exception_int_div_zero 0
	.end_amdhsa_kernel
	.section	.text._ZN7rocprim17ROCPRIM_400000_NS6detail17trampoline_kernelINS0_14default_configENS1_20scan_config_selectorIjEEZZNS1_9scan_implILNS1_25lookback_scan_determinismE0ELb0ELb0ES3_N6thrust23THRUST_200600_302600_NS6detail15normal_iteratorINS9_10device_ptrIjEEEESE_jNS9_4plusIvEEjEEDaPvRmT3_T4_T5_mT6_P12ihipStream_tbENKUlT_T0_E_clISt17integral_constantIbLb0EEST_IbLb1EEEEDaSP_SQ_EUlSP_E0_NS1_11comp_targetILNS1_3genE2ELNS1_11target_archE906ELNS1_3gpuE6ELNS1_3repE0EEENS1_30default_config_static_selectorELNS0_4arch9wavefront6targetE1EEEvT1_,"axG",@progbits,_ZN7rocprim17ROCPRIM_400000_NS6detail17trampoline_kernelINS0_14default_configENS1_20scan_config_selectorIjEEZZNS1_9scan_implILNS1_25lookback_scan_determinismE0ELb0ELb0ES3_N6thrust23THRUST_200600_302600_NS6detail15normal_iteratorINS9_10device_ptrIjEEEESE_jNS9_4plusIvEEjEEDaPvRmT3_T4_T5_mT6_P12ihipStream_tbENKUlT_T0_E_clISt17integral_constantIbLb0EEST_IbLb1EEEEDaSP_SQ_EUlSP_E0_NS1_11comp_targetILNS1_3genE2ELNS1_11target_archE906ELNS1_3gpuE6ELNS1_3repE0EEENS1_30default_config_static_selectorELNS0_4arch9wavefront6targetE1EEEvT1_,comdat
.Lfunc_end4641:
	.size	_ZN7rocprim17ROCPRIM_400000_NS6detail17trampoline_kernelINS0_14default_configENS1_20scan_config_selectorIjEEZZNS1_9scan_implILNS1_25lookback_scan_determinismE0ELb0ELb0ES3_N6thrust23THRUST_200600_302600_NS6detail15normal_iteratorINS9_10device_ptrIjEEEESE_jNS9_4plusIvEEjEEDaPvRmT3_T4_T5_mT6_P12ihipStream_tbENKUlT_T0_E_clISt17integral_constantIbLb0EEST_IbLb1EEEEDaSP_SQ_EUlSP_E0_NS1_11comp_targetILNS1_3genE2ELNS1_11target_archE906ELNS1_3gpuE6ELNS1_3repE0EEENS1_30default_config_static_selectorELNS0_4arch9wavefront6targetE1EEEvT1_, .Lfunc_end4641-_ZN7rocprim17ROCPRIM_400000_NS6detail17trampoline_kernelINS0_14default_configENS1_20scan_config_selectorIjEEZZNS1_9scan_implILNS1_25lookback_scan_determinismE0ELb0ELb0ES3_N6thrust23THRUST_200600_302600_NS6detail15normal_iteratorINS9_10device_ptrIjEEEESE_jNS9_4plusIvEEjEEDaPvRmT3_T4_T5_mT6_P12ihipStream_tbENKUlT_T0_E_clISt17integral_constantIbLb0EEST_IbLb1EEEEDaSP_SQ_EUlSP_E0_NS1_11comp_targetILNS1_3genE2ELNS1_11target_archE906ELNS1_3gpuE6ELNS1_3repE0EEENS1_30default_config_static_selectorELNS0_4arch9wavefront6targetE1EEEvT1_
                                        ; -- End function
	.section	.AMDGPU.csdata,"",@progbits
; Kernel info:
; codeLenInByte = 0
; NumSgprs: 4
; NumVgprs: 0
; NumAgprs: 0
; TotalNumVgprs: 0
; ScratchSize: 0
; MemoryBound: 0
; FloatMode: 240
; IeeeMode: 1
; LDSByteSize: 0 bytes/workgroup (compile time only)
; SGPRBlocks: 0
; VGPRBlocks: 0
; NumSGPRsForWavesPerEU: 4
; NumVGPRsForWavesPerEU: 1
; AccumOffset: 4
; Occupancy: 8
; WaveLimiterHint : 0
; COMPUTE_PGM_RSRC2:SCRATCH_EN: 0
; COMPUTE_PGM_RSRC2:USER_SGPR: 6
; COMPUTE_PGM_RSRC2:TRAP_HANDLER: 0
; COMPUTE_PGM_RSRC2:TGID_X_EN: 1
; COMPUTE_PGM_RSRC2:TGID_Y_EN: 0
; COMPUTE_PGM_RSRC2:TGID_Z_EN: 0
; COMPUTE_PGM_RSRC2:TIDIG_COMP_CNT: 0
; COMPUTE_PGM_RSRC3_GFX90A:ACCUM_OFFSET: 0
; COMPUTE_PGM_RSRC3_GFX90A:TG_SPLIT: 0
	.section	.text._ZN7rocprim17ROCPRIM_400000_NS6detail17trampoline_kernelINS0_14default_configENS1_20scan_config_selectorIjEEZZNS1_9scan_implILNS1_25lookback_scan_determinismE0ELb0ELb0ES3_N6thrust23THRUST_200600_302600_NS6detail15normal_iteratorINS9_10device_ptrIjEEEESE_jNS9_4plusIvEEjEEDaPvRmT3_T4_T5_mT6_P12ihipStream_tbENKUlT_T0_E_clISt17integral_constantIbLb0EEST_IbLb1EEEEDaSP_SQ_EUlSP_E0_NS1_11comp_targetILNS1_3genE10ELNS1_11target_archE1201ELNS1_3gpuE5ELNS1_3repE0EEENS1_30default_config_static_selectorELNS0_4arch9wavefront6targetE1EEEvT1_,"axG",@progbits,_ZN7rocprim17ROCPRIM_400000_NS6detail17trampoline_kernelINS0_14default_configENS1_20scan_config_selectorIjEEZZNS1_9scan_implILNS1_25lookback_scan_determinismE0ELb0ELb0ES3_N6thrust23THRUST_200600_302600_NS6detail15normal_iteratorINS9_10device_ptrIjEEEESE_jNS9_4plusIvEEjEEDaPvRmT3_T4_T5_mT6_P12ihipStream_tbENKUlT_T0_E_clISt17integral_constantIbLb0EEST_IbLb1EEEEDaSP_SQ_EUlSP_E0_NS1_11comp_targetILNS1_3genE10ELNS1_11target_archE1201ELNS1_3gpuE5ELNS1_3repE0EEENS1_30default_config_static_selectorELNS0_4arch9wavefront6targetE1EEEvT1_,comdat
	.protected	_ZN7rocprim17ROCPRIM_400000_NS6detail17trampoline_kernelINS0_14default_configENS1_20scan_config_selectorIjEEZZNS1_9scan_implILNS1_25lookback_scan_determinismE0ELb0ELb0ES3_N6thrust23THRUST_200600_302600_NS6detail15normal_iteratorINS9_10device_ptrIjEEEESE_jNS9_4plusIvEEjEEDaPvRmT3_T4_T5_mT6_P12ihipStream_tbENKUlT_T0_E_clISt17integral_constantIbLb0EEST_IbLb1EEEEDaSP_SQ_EUlSP_E0_NS1_11comp_targetILNS1_3genE10ELNS1_11target_archE1201ELNS1_3gpuE5ELNS1_3repE0EEENS1_30default_config_static_selectorELNS0_4arch9wavefront6targetE1EEEvT1_ ; -- Begin function _ZN7rocprim17ROCPRIM_400000_NS6detail17trampoline_kernelINS0_14default_configENS1_20scan_config_selectorIjEEZZNS1_9scan_implILNS1_25lookback_scan_determinismE0ELb0ELb0ES3_N6thrust23THRUST_200600_302600_NS6detail15normal_iteratorINS9_10device_ptrIjEEEESE_jNS9_4plusIvEEjEEDaPvRmT3_T4_T5_mT6_P12ihipStream_tbENKUlT_T0_E_clISt17integral_constantIbLb0EEST_IbLb1EEEEDaSP_SQ_EUlSP_E0_NS1_11comp_targetILNS1_3genE10ELNS1_11target_archE1201ELNS1_3gpuE5ELNS1_3repE0EEENS1_30default_config_static_selectorELNS0_4arch9wavefront6targetE1EEEvT1_
	.globl	_ZN7rocprim17ROCPRIM_400000_NS6detail17trampoline_kernelINS0_14default_configENS1_20scan_config_selectorIjEEZZNS1_9scan_implILNS1_25lookback_scan_determinismE0ELb0ELb0ES3_N6thrust23THRUST_200600_302600_NS6detail15normal_iteratorINS9_10device_ptrIjEEEESE_jNS9_4plusIvEEjEEDaPvRmT3_T4_T5_mT6_P12ihipStream_tbENKUlT_T0_E_clISt17integral_constantIbLb0EEST_IbLb1EEEEDaSP_SQ_EUlSP_E0_NS1_11comp_targetILNS1_3genE10ELNS1_11target_archE1201ELNS1_3gpuE5ELNS1_3repE0EEENS1_30default_config_static_selectorELNS0_4arch9wavefront6targetE1EEEvT1_
	.p2align	8
	.type	_ZN7rocprim17ROCPRIM_400000_NS6detail17trampoline_kernelINS0_14default_configENS1_20scan_config_selectorIjEEZZNS1_9scan_implILNS1_25lookback_scan_determinismE0ELb0ELb0ES3_N6thrust23THRUST_200600_302600_NS6detail15normal_iteratorINS9_10device_ptrIjEEEESE_jNS9_4plusIvEEjEEDaPvRmT3_T4_T5_mT6_P12ihipStream_tbENKUlT_T0_E_clISt17integral_constantIbLb0EEST_IbLb1EEEEDaSP_SQ_EUlSP_E0_NS1_11comp_targetILNS1_3genE10ELNS1_11target_archE1201ELNS1_3gpuE5ELNS1_3repE0EEENS1_30default_config_static_selectorELNS0_4arch9wavefront6targetE1EEEvT1_,@function
_ZN7rocprim17ROCPRIM_400000_NS6detail17trampoline_kernelINS0_14default_configENS1_20scan_config_selectorIjEEZZNS1_9scan_implILNS1_25lookback_scan_determinismE0ELb0ELb0ES3_N6thrust23THRUST_200600_302600_NS6detail15normal_iteratorINS9_10device_ptrIjEEEESE_jNS9_4plusIvEEjEEDaPvRmT3_T4_T5_mT6_P12ihipStream_tbENKUlT_T0_E_clISt17integral_constantIbLb0EEST_IbLb1EEEEDaSP_SQ_EUlSP_E0_NS1_11comp_targetILNS1_3genE10ELNS1_11target_archE1201ELNS1_3gpuE5ELNS1_3repE0EEENS1_30default_config_static_selectorELNS0_4arch9wavefront6targetE1EEEvT1_: ; @_ZN7rocprim17ROCPRIM_400000_NS6detail17trampoline_kernelINS0_14default_configENS1_20scan_config_selectorIjEEZZNS1_9scan_implILNS1_25lookback_scan_determinismE0ELb0ELb0ES3_N6thrust23THRUST_200600_302600_NS6detail15normal_iteratorINS9_10device_ptrIjEEEESE_jNS9_4plusIvEEjEEDaPvRmT3_T4_T5_mT6_P12ihipStream_tbENKUlT_T0_E_clISt17integral_constantIbLb0EEST_IbLb1EEEEDaSP_SQ_EUlSP_E0_NS1_11comp_targetILNS1_3genE10ELNS1_11target_archE1201ELNS1_3gpuE5ELNS1_3repE0EEENS1_30default_config_static_selectorELNS0_4arch9wavefront6targetE1EEEvT1_
; %bb.0:
	.section	.rodata,"a",@progbits
	.p2align	6, 0x0
	.amdhsa_kernel _ZN7rocprim17ROCPRIM_400000_NS6detail17trampoline_kernelINS0_14default_configENS1_20scan_config_selectorIjEEZZNS1_9scan_implILNS1_25lookback_scan_determinismE0ELb0ELb0ES3_N6thrust23THRUST_200600_302600_NS6detail15normal_iteratorINS9_10device_ptrIjEEEESE_jNS9_4plusIvEEjEEDaPvRmT3_T4_T5_mT6_P12ihipStream_tbENKUlT_T0_E_clISt17integral_constantIbLb0EEST_IbLb1EEEEDaSP_SQ_EUlSP_E0_NS1_11comp_targetILNS1_3genE10ELNS1_11target_archE1201ELNS1_3gpuE5ELNS1_3repE0EEENS1_30default_config_static_selectorELNS0_4arch9wavefront6targetE1EEEvT1_
		.amdhsa_group_segment_fixed_size 0
		.amdhsa_private_segment_fixed_size 0
		.amdhsa_kernarg_size 32
		.amdhsa_user_sgpr_count 6
		.amdhsa_user_sgpr_private_segment_buffer 1
		.amdhsa_user_sgpr_dispatch_ptr 0
		.amdhsa_user_sgpr_queue_ptr 0
		.amdhsa_user_sgpr_kernarg_segment_ptr 1
		.amdhsa_user_sgpr_dispatch_id 0
		.amdhsa_user_sgpr_flat_scratch_init 0
		.amdhsa_user_sgpr_kernarg_preload_length 0
		.amdhsa_user_sgpr_kernarg_preload_offset 0
		.amdhsa_user_sgpr_private_segment_size 0
		.amdhsa_uses_dynamic_stack 0
		.amdhsa_system_sgpr_private_segment_wavefront_offset 0
		.amdhsa_system_sgpr_workgroup_id_x 1
		.amdhsa_system_sgpr_workgroup_id_y 0
		.amdhsa_system_sgpr_workgroup_id_z 0
		.amdhsa_system_sgpr_workgroup_info 0
		.amdhsa_system_vgpr_workitem_id 0
		.amdhsa_next_free_vgpr 1
		.amdhsa_next_free_sgpr 0
		.amdhsa_accum_offset 4
		.amdhsa_reserve_vcc 0
		.amdhsa_reserve_flat_scratch 0
		.amdhsa_float_round_mode_32 0
		.amdhsa_float_round_mode_16_64 0
		.amdhsa_float_denorm_mode_32 3
		.amdhsa_float_denorm_mode_16_64 3
		.amdhsa_dx10_clamp 1
		.amdhsa_ieee_mode 1
		.amdhsa_fp16_overflow 0
		.amdhsa_tg_split 0
		.amdhsa_exception_fp_ieee_invalid_op 0
		.amdhsa_exception_fp_denorm_src 0
		.amdhsa_exception_fp_ieee_div_zero 0
		.amdhsa_exception_fp_ieee_overflow 0
		.amdhsa_exception_fp_ieee_underflow 0
		.amdhsa_exception_fp_ieee_inexact 0
		.amdhsa_exception_int_div_zero 0
	.end_amdhsa_kernel
	.section	.text._ZN7rocprim17ROCPRIM_400000_NS6detail17trampoline_kernelINS0_14default_configENS1_20scan_config_selectorIjEEZZNS1_9scan_implILNS1_25lookback_scan_determinismE0ELb0ELb0ES3_N6thrust23THRUST_200600_302600_NS6detail15normal_iteratorINS9_10device_ptrIjEEEESE_jNS9_4plusIvEEjEEDaPvRmT3_T4_T5_mT6_P12ihipStream_tbENKUlT_T0_E_clISt17integral_constantIbLb0EEST_IbLb1EEEEDaSP_SQ_EUlSP_E0_NS1_11comp_targetILNS1_3genE10ELNS1_11target_archE1201ELNS1_3gpuE5ELNS1_3repE0EEENS1_30default_config_static_selectorELNS0_4arch9wavefront6targetE1EEEvT1_,"axG",@progbits,_ZN7rocprim17ROCPRIM_400000_NS6detail17trampoline_kernelINS0_14default_configENS1_20scan_config_selectorIjEEZZNS1_9scan_implILNS1_25lookback_scan_determinismE0ELb0ELb0ES3_N6thrust23THRUST_200600_302600_NS6detail15normal_iteratorINS9_10device_ptrIjEEEESE_jNS9_4plusIvEEjEEDaPvRmT3_T4_T5_mT6_P12ihipStream_tbENKUlT_T0_E_clISt17integral_constantIbLb0EEST_IbLb1EEEEDaSP_SQ_EUlSP_E0_NS1_11comp_targetILNS1_3genE10ELNS1_11target_archE1201ELNS1_3gpuE5ELNS1_3repE0EEENS1_30default_config_static_selectorELNS0_4arch9wavefront6targetE1EEEvT1_,comdat
.Lfunc_end4642:
	.size	_ZN7rocprim17ROCPRIM_400000_NS6detail17trampoline_kernelINS0_14default_configENS1_20scan_config_selectorIjEEZZNS1_9scan_implILNS1_25lookback_scan_determinismE0ELb0ELb0ES3_N6thrust23THRUST_200600_302600_NS6detail15normal_iteratorINS9_10device_ptrIjEEEESE_jNS9_4plusIvEEjEEDaPvRmT3_T4_T5_mT6_P12ihipStream_tbENKUlT_T0_E_clISt17integral_constantIbLb0EEST_IbLb1EEEEDaSP_SQ_EUlSP_E0_NS1_11comp_targetILNS1_3genE10ELNS1_11target_archE1201ELNS1_3gpuE5ELNS1_3repE0EEENS1_30default_config_static_selectorELNS0_4arch9wavefront6targetE1EEEvT1_, .Lfunc_end4642-_ZN7rocprim17ROCPRIM_400000_NS6detail17trampoline_kernelINS0_14default_configENS1_20scan_config_selectorIjEEZZNS1_9scan_implILNS1_25lookback_scan_determinismE0ELb0ELb0ES3_N6thrust23THRUST_200600_302600_NS6detail15normal_iteratorINS9_10device_ptrIjEEEESE_jNS9_4plusIvEEjEEDaPvRmT3_T4_T5_mT6_P12ihipStream_tbENKUlT_T0_E_clISt17integral_constantIbLb0EEST_IbLb1EEEEDaSP_SQ_EUlSP_E0_NS1_11comp_targetILNS1_3genE10ELNS1_11target_archE1201ELNS1_3gpuE5ELNS1_3repE0EEENS1_30default_config_static_selectorELNS0_4arch9wavefront6targetE1EEEvT1_
                                        ; -- End function
	.section	.AMDGPU.csdata,"",@progbits
; Kernel info:
; codeLenInByte = 0
; NumSgprs: 4
; NumVgprs: 0
; NumAgprs: 0
; TotalNumVgprs: 0
; ScratchSize: 0
; MemoryBound: 0
; FloatMode: 240
; IeeeMode: 1
; LDSByteSize: 0 bytes/workgroup (compile time only)
; SGPRBlocks: 0
; VGPRBlocks: 0
; NumSGPRsForWavesPerEU: 4
; NumVGPRsForWavesPerEU: 1
; AccumOffset: 4
; Occupancy: 8
; WaveLimiterHint : 0
; COMPUTE_PGM_RSRC2:SCRATCH_EN: 0
; COMPUTE_PGM_RSRC2:USER_SGPR: 6
; COMPUTE_PGM_RSRC2:TRAP_HANDLER: 0
; COMPUTE_PGM_RSRC2:TGID_X_EN: 1
; COMPUTE_PGM_RSRC2:TGID_Y_EN: 0
; COMPUTE_PGM_RSRC2:TGID_Z_EN: 0
; COMPUTE_PGM_RSRC2:TIDIG_COMP_CNT: 0
; COMPUTE_PGM_RSRC3_GFX90A:ACCUM_OFFSET: 0
; COMPUTE_PGM_RSRC3_GFX90A:TG_SPLIT: 0
	.section	.text._ZN7rocprim17ROCPRIM_400000_NS6detail17trampoline_kernelINS0_14default_configENS1_20scan_config_selectorIjEEZZNS1_9scan_implILNS1_25lookback_scan_determinismE0ELb0ELb0ES3_N6thrust23THRUST_200600_302600_NS6detail15normal_iteratorINS9_10device_ptrIjEEEESE_jNS9_4plusIvEEjEEDaPvRmT3_T4_T5_mT6_P12ihipStream_tbENKUlT_T0_E_clISt17integral_constantIbLb0EEST_IbLb1EEEEDaSP_SQ_EUlSP_E0_NS1_11comp_targetILNS1_3genE10ELNS1_11target_archE1200ELNS1_3gpuE4ELNS1_3repE0EEENS1_30default_config_static_selectorELNS0_4arch9wavefront6targetE1EEEvT1_,"axG",@progbits,_ZN7rocprim17ROCPRIM_400000_NS6detail17trampoline_kernelINS0_14default_configENS1_20scan_config_selectorIjEEZZNS1_9scan_implILNS1_25lookback_scan_determinismE0ELb0ELb0ES3_N6thrust23THRUST_200600_302600_NS6detail15normal_iteratorINS9_10device_ptrIjEEEESE_jNS9_4plusIvEEjEEDaPvRmT3_T4_T5_mT6_P12ihipStream_tbENKUlT_T0_E_clISt17integral_constantIbLb0EEST_IbLb1EEEEDaSP_SQ_EUlSP_E0_NS1_11comp_targetILNS1_3genE10ELNS1_11target_archE1200ELNS1_3gpuE4ELNS1_3repE0EEENS1_30default_config_static_selectorELNS0_4arch9wavefront6targetE1EEEvT1_,comdat
	.protected	_ZN7rocprim17ROCPRIM_400000_NS6detail17trampoline_kernelINS0_14default_configENS1_20scan_config_selectorIjEEZZNS1_9scan_implILNS1_25lookback_scan_determinismE0ELb0ELb0ES3_N6thrust23THRUST_200600_302600_NS6detail15normal_iteratorINS9_10device_ptrIjEEEESE_jNS9_4plusIvEEjEEDaPvRmT3_T4_T5_mT6_P12ihipStream_tbENKUlT_T0_E_clISt17integral_constantIbLb0EEST_IbLb1EEEEDaSP_SQ_EUlSP_E0_NS1_11comp_targetILNS1_3genE10ELNS1_11target_archE1200ELNS1_3gpuE4ELNS1_3repE0EEENS1_30default_config_static_selectorELNS0_4arch9wavefront6targetE1EEEvT1_ ; -- Begin function _ZN7rocprim17ROCPRIM_400000_NS6detail17trampoline_kernelINS0_14default_configENS1_20scan_config_selectorIjEEZZNS1_9scan_implILNS1_25lookback_scan_determinismE0ELb0ELb0ES3_N6thrust23THRUST_200600_302600_NS6detail15normal_iteratorINS9_10device_ptrIjEEEESE_jNS9_4plusIvEEjEEDaPvRmT3_T4_T5_mT6_P12ihipStream_tbENKUlT_T0_E_clISt17integral_constantIbLb0EEST_IbLb1EEEEDaSP_SQ_EUlSP_E0_NS1_11comp_targetILNS1_3genE10ELNS1_11target_archE1200ELNS1_3gpuE4ELNS1_3repE0EEENS1_30default_config_static_selectorELNS0_4arch9wavefront6targetE1EEEvT1_
	.globl	_ZN7rocprim17ROCPRIM_400000_NS6detail17trampoline_kernelINS0_14default_configENS1_20scan_config_selectorIjEEZZNS1_9scan_implILNS1_25lookback_scan_determinismE0ELb0ELb0ES3_N6thrust23THRUST_200600_302600_NS6detail15normal_iteratorINS9_10device_ptrIjEEEESE_jNS9_4plusIvEEjEEDaPvRmT3_T4_T5_mT6_P12ihipStream_tbENKUlT_T0_E_clISt17integral_constantIbLb0EEST_IbLb1EEEEDaSP_SQ_EUlSP_E0_NS1_11comp_targetILNS1_3genE10ELNS1_11target_archE1200ELNS1_3gpuE4ELNS1_3repE0EEENS1_30default_config_static_selectorELNS0_4arch9wavefront6targetE1EEEvT1_
	.p2align	8
	.type	_ZN7rocprim17ROCPRIM_400000_NS6detail17trampoline_kernelINS0_14default_configENS1_20scan_config_selectorIjEEZZNS1_9scan_implILNS1_25lookback_scan_determinismE0ELb0ELb0ES3_N6thrust23THRUST_200600_302600_NS6detail15normal_iteratorINS9_10device_ptrIjEEEESE_jNS9_4plusIvEEjEEDaPvRmT3_T4_T5_mT6_P12ihipStream_tbENKUlT_T0_E_clISt17integral_constantIbLb0EEST_IbLb1EEEEDaSP_SQ_EUlSP_E0_NS1_11comp_targetILNS1_3genE10ELNS1_11target_archE1200ELNS1_3gpuE4ELNS1_3repE0EEENS1_30default_config_static_selectorELNS0_4arch9wavefront6targetE1EEEvT1_,@function
_ZN7rocprim17ROCPRIM_400000_NS6detail17trampoline_kernelINS0_14default_configENS1_20scan_config_selectorIjEEZZNS1_9scan_implILNS1_25lookback_scan_determinismE0ELb0ELb0ES3_N6thrust23THRUST_200600_302600_NS6detail15normal_iteratorINS9_10device_ptrIjEEEESE_jNS9_4plusIvEEjEEDaPvRmT3_T4_T5_mT6_P12ihipStream_tbENKUlT_T0_E_clISt17integral_constantIbLb0EEST_IbLb1EEEEDaSP_SQ_EUlSP_E0_NS1_11comp_targetILNS1_3genE10ELNS1_11target_archE1200ELNS1_3gpuE4ELNS1_3repE0EEENS1_30default_config_static_selectorELNS0_4arch9wavefront6targetE1EEEvT1_: ; @_ZN7rocprim17ROCPRIM_400000_NS6detail17trampoline_kernelINS0_14default_configENS1_20scan_config_selectorIjEEZZNS1_9scan_implILNS1_25lookback_scan_determinismE0ELb0ELb0ES3_N6thrust23THRUST_200600_302600_NS6detail15normal_iteratorINS9_10device_ptrIjEEEESE_jNS9_4plusIvEEjEEDaPvRmT3_T4_T5_mT6_P12ihipStream_tbENKUlT_T0_E_clISt17integral_constantIbLb0EEST_IbLb1EEEEDaSP_SQ_EUlSP_E0_NS1_11comp_targetILNS1_3genE10ELNS1_11target_archE1200ELNS1_3gpuE4ELNS1_3repE0EEENS1_30default_config_static_selectorELNS0_4arch9wavefront6targetE1EEEvT1_
; %bb.0:
	.section	.rodata,"a",@progbits
	.p2align	6, 0x0
	.amdhsa_kernel _ZN7rocprim17ROCPRIM_400000_NS6detail17trampoline_kernelINS0_14default_configENS1_20scan_config_selectorIjEEZZNS1_9scan_implILNS1_25lookback_scan_determinismE0ELb0ELb0ES3_N6thrust23THRUST_200600_302600_NS6detail15normal_iteratorINS9_10device_ptrIjEEEESE_jNS9_4plusIvEEjEEDaPvRmT3_T4_T5_mT6_P12ihipStream_tbENKUlT_T0_E_clISt17integral_constantIbLb0EEST_IbLb1EEEEDaSP_SQ_EUlSP_E0_NS1_11comp_targetILNS1_3genE10ELNS1_11target_archE1200ELNS1_3gpuE4ELNS1_3repE0EEENS1_30default_config_static_selectorELNS0_4arch9wavefront6targetE1EEEvT1_
		.amdhsa_group_segment_fixed_size 0
		.amdhsa_private_segment_fixed_size 0
		.amdhsa_kernarg_size 32
		.amdhsa_user_sgpr_count 6
		.amdhsa_user_sgpr_private_segment_buffer 1
		.amdhsa_user_sgpr_dispatch_ptr 0
		.amdhsa_user_sgpr_queue_ptr 0
		.amdhsa_user_sgpr_kernarg_segment_ptr 1
		.amdhsa_user_sgpr_dispatch_id 0
		.amdhsa_user_sgpr_flat_scratch_init 0
		.amdhsa_user_sgpr_kernarg_preload_length 0
		.amdhsa_user_sgpr_kernarg_preload_offset 0
		.amdhsa_user_sgpr_private_segment_size 0
		.amdhsa_uses_dynamic_stack 0
		.amdhsa_system_sgpr_private_segment_wavefront_offset 0
		.amdhsa_system_sgpr_workgroup_id_x 1
		.amdhsa_system_sgpr_workgroup_id_y 0
		.amdhsa_system_sgpr_workgroup_id_z 0
		.amdhsa_system_sgpr_workgroup_info 0
		.amdhsa_system_vgpr_workitem_id 0
		.amdhsa_next_free_vgpr 1
		.amdhsa_next_free_sgpr 0
		.amdhsa_accum_offset 4
		.amdhsa_reserve_vcc 0
		.amdhsa_reserve_flat_scratch 0
		.amdhsa_float_round_mode_32 0
		.amdhsa_float_round_mode_16_64 0
		.amdhsa_float_denorm_mode_32 3
		.amdhsa_float_denorm_mode_16_64 3
		.amdhsa_dx10_clamp 1
		.amdhsa_ieee_mode 1
		.amdhsa_fp16_overflow 0
		.amdhsa_tg_split 0
		.amdhsa_exception_fp_ieee_invalid_op 0
		.amdhsa_exception_fp_denorm_src 0
		.amdhsa_exception_fp_ieee_div_zero 0
		.amdhsa_exception_fp_ieee_overflow 0
		.amdhsa_exception_fp_ieee_underflow 0
		.amdhsa_exception_fp_ieee_inexact 0
		.amdhsa_exception_int_div_zero 0
	.end_amdhsa_kernel
	.section	.text._ZN7rocprim17ROCPRIM_400000_NS6detail17trampoline_kernelINS0_14default_configENS1_20scan_config_selectorIjEEZZNS1_9scan_implILNS1_25lookback_scan_determinismE0ELb0ELb0ES3_N6thrust23THRUST_200600_302600_NS6detail15normal_iteratorINS9_10device_ptrIjEEEESE_jNS9_4plusIvEEjEEDaPvRmT3_T4_T5_mT6_P12ihipStream_tbENKUlT_T0_E_clISt17integral_constantIbLb0EEST_IbLb1EEEEDaSP_SQ_EUlSP_E0_NS1_11comp_targetILNS1_3genE10ELNS1_11target_archE1200ELNS1_3gpuE4ELNS1_3repE0EEENS1_30default_config_static_selectorELNS0_4arch9wavefront6targetE1EEEvT1_,"axG",@progbits,_ZN7rocprim17ROCPRIM_400000_NS6detail17trampoline_kernelINS0_14default_configENS1_20scan_config_selectorIjEEZZNS1_9scan_implILNS1_25lookback_scan_determinismE0ELb0ELb0ES3_N6thrust23THRUST_200600_302600_NS6detail15normal_iteratorINS9_10device_ptrIjEEEESE_jNS9_4plusIvEEjEEDaPvRmT3_T4_T5_mT6_P12ihipStream_tbENKUlT_T0_E_clISt17integral_constantIbLb0EEST_IbLb1EEEEDaSP_SQ_EUlSP_E0_NS1_11comp_targetILNS1_3genE10ELNS1_11target_archE1200ELNS1_3gpuE4ELNS1_3repE0EEENS1_30default_config_static_selectorELNS0_4arch9wavefront6targetE1EEEvT1_,comdat
.Lfunc_end4643:
	.size	_ZN7rocprim17ROCPRIM_400000_NS6detail17trampoline_kernelINS0_14default_configENS1_20scan_config_selectorIjEEZZNS1_9scan_implILNS1_25lookback_scan_determinismE0ELb0ELb0ES3_N6thrust23THRUST_200600_302600_NS6detail15normal_iteratorINS9_10device_ptrIjEEEESE_jNS9_4plusIvEEjEEDaPvRmT3_T4_T5_mT6_P12ihipStream_tbENKUlT_T0_E_clISt17integral_constantIbLb0EEST_IbLb1EEEEDaSP_SQ_EUlSP_E0_NS1_11comp_targetILNS1_3genE10ELNS1_11target_archE1200ELNS1_3gpuE4ELNS1_3repE0EEENS1_30default_config_static_selectorELNS0_4arch9wavefront6targetE1EEEvT1_, .Lfunc_end4643-_ZN7rocprim17ROCPRIM_400000_NS6detail17trampoline_kernelINS0_14default_configENS1_20scan_config_selectorIjEEZZNS1_9scan_implILNS1_25lookback_scan_determinismE0ELb0ELb0ES3_N6thrust23THRUST_200600_302600_NS6detail15normal_iteratorINS9_10device_ptrIjEEEESE_jNS9_4plusIvEEjEEDaPvRmT3_T4_T5_mT6_P12ihipStream_tbENKUlT_T0_E_clISt17integral_constantIbLb0EEST_IbLb1EEEEDaSP_SQ_EUlSP_E0_NS1_11comp_targetILNS1_3genE10ELNS1_11target_archE1200ELNS1_3gpuE4ELNS1_3repE0EEENS1_30default_config_static_selectorELNS0_4arch9wavefront6targetE1EEEvT1_
                                        ; -- End function
	.section	.AMDGPU.csdata,"",@progbits
; Kernel info:
; codeLenInByte = 0
; NumSgprs: 4
; NumVgprs: 0
; NumAgprs: 0
; TotalNumVgprs: 0
; ScratchSize: 0
; MemoryBound: 0
; FloatMode: 240
; IeeeMode: 1
; LDSByteSize: 0 bytes/workgroup (compile time only)
; SGPRBlocks: 0
; VGPRBlocks: 0
; NumSGPRsForWavesPerEU: 4
; NumVGPRsForWavesPerEU: 1
; AccumOffset: 4
; Occupancy: 8
; WaveLimiterHint : 0
; COMPUTE_PGM_RSRC2:SCRATCH_EN: 0
; COMPUTE_PGM_RSRC2:USER_SGPR: 6
; COMPUTE_PGM_RSRC2:TRAP_HANDLER: 0
; COMPUTE_PGM_RSRC2:TGID_X_EN: 1
; COMPUTE_PGM_RSRC2:TGID_Y_EN: 0
; COMPUTE_PGM_RSRC2:TGID_Z_EN: 0
; COMPUTE_PGM_RSRC2:TIDIG_COMP_CNT: 0
; COMPUTE_PGM_RSRC3_GFX90A:ACCUM_OFFSET: 0
; COMPUTE_PGM_RSRC3_GFX90A:TG_SPLIT: 0
	.section	.text._ZN7rocprim17ROCPRIM_400000_NS6detail17trampoline_kernelINS0_14default_configENS1_20scan_config_selectorIjEEZZNS1_9scan_implILNS1_25lookback_scan_determinismE0ELb0ELb0ES3_N6thrust23THRUST_200600_302600_NS6detail15normal_iteratorINS9_10device_ptrIjEEEESE_jNS9_4plusIvEEjEEDaPvRmT3_T4_T5_mT6_P12ihipStream_tbENKUlT_T0_E_clISt17integral_constantIbLb0EEST_IbLb1EEEEDaSP_SQ_EUlSP_E0_NS1_11comp_targetILNS1_3genE9ELNS1_11target_archE1100ELNS1_3gpuE3ELNS1_3repE0EEENS1_30default_config_static_selectorELNS0_4arch9wavefront6targetE1EEEvT1_,"axG",@progbits,_ZN7rocprim17ROCPRIM_400000_NS6detail17trampoline_kernelINS0_14default_configENS1_20scan_config_selectorIjEEZZNS1_9scan_implILNS1_25lookback_scan_determinismE0ELb0ELb0ES3_N6thrust23THRUST_200600_302600_NS6detail15normal_iteratorINS9_10device_ptrIjEEEESE_jNS9_4plusIvEEjEEDaPvRmT3_T4_T5_mT6_P12ihipStream_tbENKUlT_T0_E_clISt17integral_constantIbLb0EEST_IbLb1EEEEDaSP_SQ_EUlSP_E0_NS1_11comp_targetILNS1_3genE9ELNS1_11target_archE1100ELNS1_3gpuE3ELNS1_3repE0EEENS1_30default_config_static_selectorELNS0_4arch9wavefront6targetE1EEEvT1_,comdat
	.protected	_ZN7rocprim17ROCPRIM_400000_NS6detail17trampoline_kernelINS0_14default_configENS1_20scan_config_selectorIjEEZZNS1_9scan_implILNS1_25lookback_scan_determinismE0ELb0ELb0ES3_N6thrust23THRUST_200600_302600_NS6detail15normal_iteratorINS9_10device_ptrIjEEEESE_jNS9_4plusIvEEjEEDaPvRmT3_T4_T5_mT6_P12ihipStream_tbENKUlT_T0_E_clISt17integral_constantIbLb0EEST_IbLb1EEEEDaSP_SQ_EUlSP_E0_NS1_11comp_targetILNS1_3genE9ELNS1_11target_archE1100ELNS1_3gpuE3ELNS1_3repE0EEENS1_30default_config_static_selectorELNS0_4arch9wavefront6targetE1EEEvT1_ ; -- Begin function _ZN7rocprim17ROCPRIM_400000_NS6detail17trampoline_kernelINS0_14default_configENS1_20scan_config_selectorIjEEZZNS1_9scan_implILNS1_25lookback_scan_determinismE0ELb0ELb0ES3_N6thrust23THRUST_200600_302600_NS6detail15normal_iteratorINS9_10device_ptrIjEEEESE_jNS9_4plusIvEEjEEDaPvRmT3_T4_T5_mT6_P12ihipStream_tbENKUlT_T0_E_clISt17integral_constantIbLb0EEST_IbLb1EEEEDaSP_SQ_EUlSP_E0_NS1_11comp_targetILNS1_3genE9ELNS1_11target_archE1100ELNS1_3gpuE3ELNS1_3repE0EEENS1_30default_config_static_selectorELNS0_4arch9wavefront6targetE1EEEvT1_
	.globl	_ZN7rocprim17ROCPRIM_400000_NS6detail17trampoline_kernelINS0_14default_configENS1_20scan_config_selectorIjEEZZNS1_9scan_implILNS1_25lookback_scan_determinismE0ELb0ELb0ES3_N6thrust23THRUST_200600_302600_NS6detail15normal_iteratorINS9_10device_ptrIjEEEESE_jNS9_4plusIvEEjEEDaPvRmT3_T4_T5_mT6_P12ihipStream_tbENKUlT_T0_E_clISt17integral_constantIbLb0EEST_IbLb1EEEEDaSP_SQ_EUlSP_E0_NS1_11comp_targetILNS1_3genE9ELNS1_11target_archE1100ELNS1_3gpuE3ELNS1_3repE0EEENS1_30default_config_static_selectorELNS0_4arch9wavefront6targetE1EEEvT1_
	.p2align	8
	.type	_ZN7rocprim17ROCPRIM_400000_NS6detail17trampoline_kernelINS0_14default_configENS1_20scan_config_selectorIjEEZZNS1_9scan_implILNS1_25lookback_scan_determinismE0ELb0ELb0ES3_N6thrust23THRUST_200600_302600_NS6detail15normal_iteratorINS9_10device_ptrIjEEEESE_jNS9_4plusIvEEjEEDaPvRmT3_T4_T5_mT6_P12ihipStream_tbENKUlT_T0_E_clISt17integral_constantIbLb0EEST_IbLb1EEEEDaSP_SQ_EUlSP_E0_NS1_11comp_targetILNS1_3genE9ELNS1_11target_archE1100ELNS1_3gpuE3ELNS1_3repE0EEENS1_30default_config_static_selectorELNS0_4arch9wavefront6targetE1EEEvT1_,@function
_ZN7rocprim17ROCPRIM_400000_NS6detail17trampoline_kernelINS0_14default_configENS1_20scan_config_selectorIjEEZZNS1_9scan_implILNS1_25lookback_scan_determinismE0ELb0ELb0ES3_N6thrust23THRUST_200600_302600_NS6detail15normal_iteratorINS9_10device_ptrIjEEEESE_jNS9_4plusIvEEjEEDaPvRmT3_T4_T5_mT6_P12ihipStream_tbENKUlT_T0_E_clISt17integral_constantIbLb0EEST_IbLb1EEEEDaSP_SQ_EUlSP_E0_NS1_11comp_targetILNS1_3genE9ELNS1_11target_archE1100ELNS1_3gpuE3ELNS1_3repE0EEENS1_30default_config_static_selectorELNS0_4arch9wavefront6targetE1EEEvT1_: ; @_ZN7rocprim17ROCPRIM_400000_NS6detail17trampoline_kernelINS0_14default_configENS1_20scan_config_selectorIjEEZZNS1_9scan_implILNS1_25lookback_scan_determinismE0ELb0ELb0ES3_N6thrust23THRUST_200600_302600_NS6detail15normal_iteratorINS9_10device_ptrIjEEEESE_jNS9_4plusIvEEjEEDaPvRmT3_T4_T5_mT6_P12ihipStream_tbENKUlT_T0_E_clISt17integral_constantIbLb0EEST_IbLb1EEEEDaSP_SQ_EUlSP_E0_NS1_11comp_targetILNS1_3genE9ELNS1_11target_archE1100ELNS1_3gpuE3ELNS1_3repE0EEENS1_30default_config_static_selectorELNS0_4arch9wavefront6targetE1EEEvT1_
; %bb.0:
	.section	.rodata,"a",@progbits
	.p2align	6, 0x0
	.amdhsa_kernel _ZN7rocprim17ROCPRIM_400000_NS6detail17trampoline_kernelINS0_14default_configENS1_20scan_config_selectorIjEEZZNS1_9scan_implILNS1_25lookback_scan_determinismE0ELb0ELb0ES3_N6thrust23THRUST_200600_302600_NS6detail15normal_iteratorINS9_10device_ptrIjEEEESE_jNS9_4plusIvEEjEEDaPvRmT3_T4_T5_mT6_P12ihipStream_tbENKUlT_T0_E_clISt17integral_constantIbLb0EEST_IbLb1EEEEDaSP_SQ_EUlSP_E0_NS1_11comp_targetILNS1_3genE9ELNS1_11target_archE1100ELNS1_3gpuE3ELNS1_3repE0EEENS1_30default_config_static_selectorELNS0_4arch9wavefront6targetE1EEEvT1_
		.amdhsa_group_segment_fixed_size 0
		.amdhsa_private_segment_fixed_size 0
		.amdhsa_kernarg_size 32
		.amdhsa_user_sgpr_count 6
		.amdhsa_user_sgpr_private_segment_buffer 1
		.amdhsa_user_sgpr_dispatch_ptr 0
		.amdhsa_user_sgpr_queue_ptr 0
		.amdhsa_user_sgpr_kernarg_segment_ptr 1
		.amdhsa_user_sgpr_dispatch_id 0
		.amdhsa_user_sgpr_flat_scratch_init 0
		.amdhsa_user_sgpr_kernarg_preload_length 0
		.amdhsa_user_sgpr_kernarg_preload_offset 0
		.amdhsa_user_sgpr_private_segment_size 0
		.amdhsa_uses_dynamic_stack 0
		.amdhsa_system_sgpr_private_segment_wavefront_offset 0
		.amdhsa_system_sgpr_workgroup_id_x 1
		.amdhsa_system_sgpr_workgroup_id_y 0
		.amdhsa_system_sgpr_workgroup_id_z 0
		.amdhsa_system_sgpr_workgroup_info 0
		.amdhsa_system_vgpr_workitem_id 0
		.amdhsa_next_free_vgpr 1
		.amdhsa_next_free_sgpr 0
		.amdhsa_accum_offset 4
		.amdhsa_reserve_vcc 0
		.amdhsa_reserve_flat_scratch 0
		.amdhsa_float_round_mode_32 0
		.amdhsa_float_round_mode_16_64 0
		.amdhsa_float_denorm_mode_32 3
		.amdhsa_float_denorm_mode_16_64 3
		.amdhsa_dx10_clamp 1
		.amdhsa_ieee_mode 1
		.amdhsa_fp16_overflow 0
		.amdhsa_tg_split 0
		.amdhsa_exception_fp_ieee_invalid_op 0
		.amdhsa_exception_fp_denorm_src 0
		.amdhsa_exception_fp_ieee_div_zero 0
		.amdhsa_exception_fp_ieee_overflow 0
		.amdhsa_exception_fp_ieee_underflow 0
		.amdhsa_exception_fp_ieee_inexact 0
		.amdhsa_exception_int_div_zero 0
	.end_amdhsa_kernel
	.section	.text._ZN7rocprim17ROCPRIM_400000_NS6detail17trampoline_kernelINS0_14default_configENS1_20scan_config_selectorIjEEZZNS1_9scan_implILNS1_25lookback_scan_determinismE0ELb0ELb0ES3_N6thrust23THRUST_200600_302600_NS6detail15normal_iteratorINS9_10device_ptrIjEEEESE_jNS9_4plusIvEEjEEDaPvRmT3_T4_T5_mT6_P12ihipStream_tbENKUlT_T0_E_clISt17integral_constantIbLb0EEST_IbLb1EEEEDaSP_SQ_EUlSP_E0_NS1_11comp_targetILNS1_3genE9ELNS1_11target_archE1100ELNS1_3gpuE3ELNS1_3repE0EEENS1_30default_config_static_selectorELNS0_4arch9wavefront6targetE1EEEvT1_,"axG",@progbits,_ZN7rocprim17ROCPRIM_400000_NS6detail17trampoline_kernelINS0_14default_configENS1_20scan_config_selectorIjEEZZNS1_9scan_implILNS1_25lookback_scan_determinismE0ELb0ELb0ES3_N6thrust23THRUST_200600_302600_NS6detail15normal_iteratorINS9_10device_ptrIjEEEESE_jNS9_4plusIvEEjEEDaPvRmT3_T4_T5_mT6_P12ihipStream_tbENKUlT_T0_E_clISt17integral_constantIbLb0EEST_IbLb1EEEEDaSP_SQ_EUlSP_E0_NS1_11comp_targetILNS1_3genE9ELNS1_11target_archE1100ELNS1_3gpuE3ELNS1_3repE0EEENS1_30default_config_static_selectorELNS0_4arch9wavefront6targetE1EEEvT1_,comdat
.Lfunc_end4644:
	.size	_ZN7rocprim17ROCPRIM_400000_NS6detail17trampoline_kernelINS0_14default_configENS1_20scan_config_selectorIjEEZZNS1_9scan_implILNS1_25lookback_scan_determinismE0ELb0ELb0ES3_N6thrust23THRUST_200600_302600_NS6detail15normal_iteratorINS9_10device_ptrIjEEEESE_jNS9_4plusIvEEjEEDaPvRmT3_T4_T5_mT6_P12ihipStream_tbENKUlT_T0_E_clISt17integral_constantIbLb0EEST_IbLb1EEEEDaSP_SQ_EUlSP_E0_NS1_11comp_targetILNS1_3genE9ELNS1_11target_archE1100ELNS1_3gpuE3ELNS1_3repE0EEENS1_30default_config_static_selectorELNS0_4arch9wavefront6targetE1EEEvT1_, .Lfunc_end4644-_ZN7rocprim17ROCPRIM_400000_NS6detail17trampoline_kernelINS0_14default_configENS1_20scan_config_selectorIjEEZZNS1_9scan_implILNS1_25lookback_scan_determinismE0ELb0ELb0ES3_N6thrust23THRUST_200600_302600_NS6detail15normal_iteratorINS9_10device_ptrIjEEEESE_jNS9_4plusIvEEjEEDaPvRmT3_T4_T5_mT6_P12ihipStream_tbENKUlT_T0_E_clISt17integral_constantIbLb0EEST_IbLb1EEEEDaSP_SQ_EUlSP_E0_NS1_11comp_targetILNS1_3genE9ELNS1_11target_archE1100ELNS1_3gpuE3ELNS1_3repE0EEENS1_30default_config_static_selectorELNS0_4arch9wavefront6targetE1EEEvT1_
                                        ; -- End function
	.section	.AMDGPU.csdata,"",@progbits
; Kernel info:
; codeLenInByte = 0
; NumSgprs: 4
; NumVgprs: 0
; NumAgprs: 0
; TotalNumVgprs: 0
; ScratchSize: 0
; MemoryBound: 0
; FloatMode: 240
; IeeeMode: 1
; LDSByteSize: 0 bytes/workgroup (compile time only)
; SGPRBlocks: 0
; VGPRBlocks: 0
; NumSGPRsForWavesPerEU: 4
; NumVGPRsForWavesPerEU: 1
; AccumOffset: 4
; Occupancy: 8
; WaveLimiterHint : 0
; COMPUTE_PGM_RSRC2:SCRATCH_EN: 0
; COMPUTE_PGM_RSRC2:USER_SGPR: 6
; COMPUTE_PGM_RSRC2:TRAP_HANDLER: 0
; COMPUTE_PGM_RSRC2:TGID_X_EN: 1
; COMPUTE_PGM_RSRC2:TGID_Y_EN: 0
; COMPUTE_PGM_RSRC2:TGID_Z_EN: 0
; COMPUTE_PGM_RSRC2:TIDIG_COMP_CNT: 0
; COMPUTE_PGM_RSRC3_GFX90A:ACCUM_OFFSET: 0
; COMPUTE_PGM_RSRC3_GFX90A:TG_SPLIT: 0
	.section	.text._ZN7rocprim17ROCPRIM_400000_NS6detail17trampoline_kernelINS0_14default_configENS1_20scan_config_selectorIjEEZZNS1_9scan_implILNS1_25lookback_scan_determinismE0ELb0ELb0ES3_N6thrust23THRUST_200600_302600_NS6detail15normal_iteratorINS9_10device_ptrIjEEEESE_jNS9_4plusIvEEjEEDaPvRmT3_T4_T5_mT6_P12ihipStream_tbENKUlT_T0_E_clISt17integral_constantIbLb0EEST_IbLb1EEEEDaSP_SQ_EUlSP_E0_NS1_11comp_targetILNS1_3genE8ELNS1_11target_archE1030ELNS1_3gpuE2ELNS1_3repE0EEENS1_30default_config_static_selectorELNS0_4arch9wavefront6targetE1EEEvT1_,"axG",@progbits,_ZN7rocprim17ROCPRIM_400000_NS6detail17trampoline_kernelINS0_14default_configENS1_20scan_config_selectorIjEEZZNS1_9scan_implILNS1_25lookback_scan_determinismE0ELb0ELb0ES3_N6thrust23THRUST_200600_302600_NS6detail15normal_iteratorINS9_10device_ptrIjEEEESE_jNS9_4plusIvEEjEEDaPvRmT3_T4_T5_mT6_P12ihipStream_tbENKUlT_T0_E_clISt17integral_constantIbLb0EEST_IbLb1EEEEDaSP_SQ_EUlSP_E0_NS1_11comp_targetILNS1_3genE8ELNS1_11target_archE1030ELNS1_3gpuE2ELNS1_3repE0EEENS1_30default_config_static_selectorELNS0_4arch9wavefront6targetE1EEEvT1_,comdat
	.protected	_ZN7rocprim17ROCPRIM_400000_NS6detail17trampoline_kernelINS0_14default_configENS1_20scan_config_selectorIjEEZZNS1_9scan_implILNS1_25lookback_scan_determinismE0ELb0ELb0ES3_N6thrust23THRUST_200600_302600_NS6detail15normal_iteratorINS9_10device_ptrIjEEEESE_jNS9_4plusIvEEjEEDaPvRmT3_T4_T5_mT6_P12ihipStream_tbENKUlT_T0_E_clISt17integral_constantIbLb0EEST_IbLb1EEEEDaSP_SQ_EUlSP_E0_NS1_11comp_targetILNS1_3genE8ELNS1_11target_archE1030ELNS1_3gpuE2ELNS1_3repE0EEENS1_30default_config_static_selectorELNS0_4arch9wavefront6targetE1EEEvT1_ ; -- Begin function _ZN7rocprim17ROCPRIM_400000_NS6detail17trampoline_kernelINS0_14default_configENS1_20scan_config_selectorIjEEZZNS1_9scan_implILNS1_25lookback_scan_determinismE0ELb0ELb0ES3_N6thrust23THRUST_200600_302600_NS6detail15normal_iteratorINS9_10device_ptrIjEEEESE_jNS9_4plusIvEEjEEDaPvRmT3_T4_T5_mT6_P12ihipStream_tbENKUlT_T0_E_clISt17integral_constantIbLb0EEST_IbLb1EEEEDaSP_SQ_EUlSP_E0_NS1_11comp_targetILNS1_3genE8ELNS1_11target_archE1030ELNS1_3gpuE2ELNS1_3repE0EEENS1_30default_config_static_selectorELNS0_4arch9wavefront6targetE1EEEvT1_
	.globl	_ZN7rocprim17ROCPRIM_400000_NS6detail17trampoline_kernelINS0_14default_configENS1_20scan_config_selectorIjEEZZNS1_9scan_implILNS1_25lookback_scan_determinismE0ELb0ELb0ES3_N6thrust23THRUST_200600_302600_NS6detail15normal_iteratorINS9_10device_ptrIjEEEESE_jNS9_4plusIvEEjEEDaPvRmT3_T4_T5_mT6_P12ihipStream_tbENKUlT_T0_E_clISt17integral_constantIbLb0EEST_IbLb1EEEEDaSP_SQ_EUlSP_E0_NS1_11comp_targetILNS1_3genE8ELNS1_11target_archE1030ELNS1_3gpuE2ELNS1_3repE0EEENS1_30default_config_static_selectorELNS0_4arch9wavefront6targetE1EEEvT1_
	.p2align	8
	.type	_ZN7rocprim17ROCPRIM_400000_NS6detail17trampoline_kernelINS0_14default_configENS1_20scan_config_selectorIjEEZZNS1_9scan_implILNS1_25lookback_scan_determinismE0ELb0ELb0ES3_N6thrust23THRUST_200600_302600_NS6detail15normal_iteratorINS9_10device_ptrIjEEEESE_jNS9_4plusIvEEjEEDaPvRmT3_T4_T5_mT6_P12ihipStream_tbENKUlT_T0_E_clISt17integral_constantIbLb0EEST_IbLb1EEEEDaSP_SQ_EUlSP_E0_NS1_11comp_targetILNS1_3genE8ELNS1_11target_archE1030ELNS1_3gpuE2ELNS1_3repE0EEENS1_30default_config_static_selectorELNS0_4arch9wavefront6targetE1EEEvT1_,@function
_ZN7rocprim17ROCPRIM_400000_NS6detail17trampoline_kernelINS0_14default_configENS1_20scan_config_selectorIjEEZZNS1_9scan_implILNS1_25lookback_scan_determinismE0ELb0ELb0ES3_N6thrust23THRUST_200600_302600_NS6detail15normal_iteratorINS9_10device_ptrIjEEEESE_jNS9_4plusIvEEjEEDaPvRmT3_T4_T5_mT6_P12ihipStream_tbENKUlT_T0_E_clISt17integral_constantIbLb0EEST_IbLb1EEEEDaSP_SQ_EUlSP_E0_NS1_11comp_targetILNS1_3genE8ELNS1_11target_archE1030ELNS1_3gpuE2ELNS1_3repE0EEENS1_30default_config_static_selectorELNS0_4arch9wavefront6targetE1EEEvT1_: ; @_ZN7rocprim17ROCPRIM_400000_NS6detail17trampoline_kernelINS0_14default_configENS1_20scan_config_selectorIjEEZZNS1_9scan_implILNS1_25lookback_scan_determinismE0ELb0ELb0ES3_N6thrust23THRUST_200600_302600_NS6detail15normal_iteratorINS9_10device_ptrIjEEEESE_jNS9_4plusIvEEjEEDaPvRmT3_T4_T5_mT6_P12ihipStream_tbENKUlT_T0_E_clISt17integral_constantIbLb0EEST_IbLb1EEEEDaSP_SQ_EUlSP_E0_NS1_11comp_targetILNS1_3genE8ELNS1_11target_archE1030ELNS1_3gpuE2ELNS1_3repE0EEENS1_30default_config_static_selectorELNS0_4arch9wavefront6targetE1EEEvT1_
; %bb.0:
	.section	.rodata,"a",@progbits
	.p2align	6, 0x0
	.amdhsa_kernel _ZN7rocprim17ROCPRIM_400000_NS6detail17trampoline_kernelINS0_14default_configENS1_20scan_config_selectorIjEEZZNS1_9scan_implILNS1_25lookback_scan_determinismE0ELb0ELb0ES3_N6thrust23THRUST_200600_302600_NS6detail15normal_iteratorINS9_10device_ptrIjEEEESE_jNS9_4plusIvEEjEEDaPvRmT3_T4_T5_mT6_P12ihipStream_tbENKUlT_T0_E_clISt17integral_constantIbLb0EEST_IbLb1EEEEDaSP_SQ_EUlSP_E0_NS1_11comp_targetILNS1_3genE8ELNS1_11target_archE1030ELNS1_3gpuE2ELNS1_3repE0EEENS1_30default_config_static_selectorELNS0_4arch9wavefront6targetE1EEEvT1_
		.amdhsa_group_segment_fixed_size 0
		.amdhsa_private_segment_fixed_size 0
		.amdhsa_kernarg_size 32
		.amdhsa_user_sgpr_count 6
		.amdhsa_user_sgpr_private_segment_buffer 1
		.amdhsa_user_sgpr_dispatch_ptr 0
		.amdhsa_user_sgpr_queue_ptr 0
		.amdhsa_user_sgpr_kernarg_segment_ptr 1
		.amdhsa_user_sgpr_dispatch_id 0
		.amdhsa_user_sgpr_flat_scratch_init 0
		.amdhsa_user_sgpr_kernarg_preload_length 0
		.amdhsa_user_sgpr_kernarg_preload_offset 0
		.amdhsa_user_sgpr_private_segment_size 0
		.amdhsa_uses_dynamic_stack 0
		.amdhsa_system_sgpr_private_segment_wavefront_offset 0
		.amdhsa_system_sgpr_workgroup_id_x 1
		.amdhsa_system_sgpr_workgroup_id_y 0
		.amdhsa_system_sgpr_workgroup_id_z 0
		.amdhsa_system_sgpr_workgroup_info 0
		.amdhsa_system_vgpr_workitem_id 0
		.amdhsa_next_free_vgpr 1
		.amdhsa_next_free_sgpr 0
		.amdhsa_accum_offset 4
		.amdhsa_reserve_vcc 0
		.amdhsa_reserve_flat_scratch 0
		.amdhsa_float_round_mode_32 0
		.amdhsa_float_round_mode_16_64 0
		.amdhsa_float_denorm_mode_32 3
		.amdhsa_float_denorm_mode_16_64 3
		.amdhsa_dx10_clamp 1
		.amdhsa_ieee_mode 1
		.amdhsa_fp16_overflow 0
		.amdhsa_tg_split 0
		.amdhsa_exception_fp_ieee_invalid_op 0
		.amdhsa_exception_fp_denorm_src 0
		.amdhsa_exception_fp_ieee_div_zero 0
		.amdhsa_exception_fp_ieee_overflow 0
		.amdhsa_exception_fp_ieee_underflow 0
		.amdhsa_exception_fp_ieee_inexact 0
		.amdhsa_exception_int_div_zero 0
	.end_amdhsa_kernel
	.section	.text._ZN7rocprim17ROCPRIM_400000_NS6detail17trampoline_kernelINS0_14default_configENS1_20scan_config_selectorIjEEZZNS1_9scan_implILNS1_25lookback_scan_determinismE0ELb0ELb0ES3_N6thrust23THRUST_200600_302600_NS6detail15normal_iteratorINS9_10device_ptrIjEEEESE_jNS9_4plusIvEEjEEDaPvRmT3_T4_T5_mT6_P12ihipStream_tbENKUlT_T0_E_clISt17integral_constantIbLb0EEST_IbLb1EEEEDaSP_SQ_EUlSP_E0_NS1_11comp_targetILNS1_3genE8ELNS1_11target_archE1030ELNS1_3gpuE2ELNS1_3repE0EEENS1_30default_config_static_selectorELNS0_4arch9wavefront6targetE1EEEvT1_,"axG",@progbits,_ZN7rocprim17ROCPRIM_400000_NS6detail17trampoline_kernelINS0_14default_configENS1_20scan_config_selectorIjEEZZNS1_9scan_implILNS1_25lookback_scan_determinismE0ELb0ELb0ES3_N6thrust23THRUST_200600_302600_NS6detail15normal_iteratorINS9_10device_ptrIjEEEESE_jNS9_4plusIvEEjEEDaPvRmT3_T4_T5_mT6_P12ihipStream_tbENKUlT_T0_E_clISt17integral_constantIbLb0EEST_IbLb1EEEEDaSP_SQ_EUlSP_E0_NS1_11comp_targetILNS1_3genE8ELNS1_11target_archE1030ELNS1_3gpuE2ELNS1_3repE0EEENS1_30default_config_static_selectorELNS0_4arch9wavefront6targetE1EEEvT1_,comdat
.Lfunc_end4645:
	.size	_ZN7rocprim17ROCPRIM_400000_NS6detail17trampoline_kernelINS0_14default_configENS1_20scan_config_selectorIjEEZZNS1_9scan_implILNS1_25lookback_scan_determinismE0ELb0ELb0ES3_N6thrust23THRUST_200600_302600_NS6detail15normal_iteratorINS9_10device_ptrIjEEEESE_jNS9_4plusIvEEjEEDaPvRmT3_T4_T5_mT6_P12ihipStream_tbENKUlT_T0_E_clISt17integral_constantIbLb0EEST_IbLb1EEEEDaSP_SQ_EUlSP_E0_NS1_11comp_targetILNS1_3genE8ELNS1_11target_archE1030ELNS1_3gpuE2ELNS1_3repE0EEENS1_30default_config_static_selectorELNS0_4arch9wavefront6targetE1EEEvT1_, .Lfunc_end4645-_ZN7rocprim17ROCPRIM_400000_NS6detail17trampoline_kernelINS0_14default_configENS1_20scan_config_selectorIjEEZZNS1_9scan_implILNS1_25lookback_scan_determinismE0ELb0ELb0ES3_N6thrust23THRUST_200600_302600_NS6detail15normal_iteratorINS9_10device_ptrIjEEEESE_jNS9_4plusIvEEjEEDaPvRmT3_T4_T5_mT6_P12ihipStream_tbENKUlT_T0_E_clISt17integral_constantIbLb0EEST_IbLb1EEEEDaSP_SQ_EUlSP_E0_NS1_11comp_targetILNS1_3genE8ELNS1_11target_archE1030ELNS1_3gpuE2ELNS1_3repE0EEENS1_30default_config_static_selectorELNS0_4arch9wavefront6targetE1EEEvT1_
                                        ; -- End function
	.section	.AMDGPU.csdata,"",@progbits
; Kernel info:
; codeLenInByte = 0
; NumSgprs: 4
; NumVgprs: 0
; NumAgprs: 0
; TotalNumVgprs: 0
; ScratchSize: 0
; MemoryBound: 0
; FloatMode: 240
; IeeeMode: 1
; LDSByteSize: 0 bytes/workgroup (compile time only)
; SGPRBlocks: 0
; VGPRBlocks: 0
; NumSGPRsForWavesPerEU: 4
; NumVGPRsForWavesPerEU: 1
; AccumOffset: 4
; Occupancy: 8
; WaveLimiterHint : 0
; COMPUTE_PGM_RSRC2:SCRATCH_EN: 0
; COMPUTE_PGM_RSRC2:USER_SGPR: 6
; COMPUTE_PGM_RSRC2:TRAP_HANDLER: 0
; COMPUTE_PGM_RSRC2:TGID_X_EN: 1
; COMPUTE_PGM_RSRC2:TGID_Y_EN: 0
; COMPUTE_PGM_RSRC2:TGID_Z_EN: 0
; COMPUTE_PGM_RSRC2:TIDIG_COMP_CNT: 0
; COMPUTE_PGM_RSRC3_GFX90A:ACCUM_OFFSET: 0
; COMPUTE_PGM_RSRC3_GFX90A:TG_SPLIT: 0
	.section	.text._ZN7rocprim17ROCPRIM_400000_NS6detail17trampoline_kernelINS0_14default_configENS1_20scan_config_selectorIjEEZZNS1_9scan_implILNS1_25lookback_scan_determinismE0ELb1ELb1ES3_N6thrust23THRUST_200600_302600_NS6detail15normal_iteratorINS9_10device_ptrIjEEEESE_jNS9_4plusIvEEjEEDaPvRmT3_T4_T5_mT6_P12ihipStream_tbENKUlT_T0_E_clISt17integral_constantIbLb0EESU_EEDaSP_SQ_EUlSP_E_NS1_11comp_targetILNS1_3genE0ELNS1_11target_archE4294967295ELNS1_3gpuE0ELNS1_3repE0EEENS1_30default_config_static_selectorELNS0_4arch9wavefront6targetE1EEEvT1_,"axG",@progbits,_ZN7rocprim17ROCPRIM_400000_NS6detail17trampoline_kernelINS0_14default_configENS1_20scan_config_selectorIjEEZZNS1_9scan_implILNS1_25lookback_scan_determinismE0ELb1ELb1ES3_N6thrust23THRUST_200600_302600_NS6detail15normal_iteratorINS9_10device_ptrIjEEEESE_jNS9_4plusIvEEjEEDaPvRmT3_T4_T5_mT6_P12ihipStream_tbENKUlT_T0_E_clISt17integral_constantIbLb0EESU_EEDaSP_SQ_EUlSP_E_NS1_11comp_targetILNS1_3genE0ELNS1_11target_archE4294967295ELNS1_3gpuE0ELNS1_3repE0EEENS1_30default_config_static_selectorELNS0_4arch9wavefront6targetE1EEEvT1_,comdat
	.protected	_ZN7rocprim17ROCPRIM_400000_NS6detail17trampoline_kernelINS0_14default_configENS1_20scan_config_selectorIjEEZZNS1_9scan_implILNS1_25lookback_scan_determinismE0ELb1ELb1ES3_N6thrust23THRUST_200600_302600_NS6detail15normal_iteratorINS9_10device_ptrIjEEEESE_jNS9_4plusIvEEjEEDaPvRmT3_T4_T5_mT6_P12ihipStream_tbENKUlT_T0_E_clISt17integral_constantIbLb0EESU_EEDaSP_SQ_EUlSP_E_NS1_11comp_targetILNS1_3genE0ELNS1_11target_archE4294967295ELNS1_3gpuE0ELNS1_3repE0EEENS1_30default_config_static_selectorELNS0_4arch9wavefront6targetE1EEEvT1_ ; -- Begin function _ZN7rocprim17ROCPRIM_400000_NS6detail17trampoline_kernelINS0_14default_configENS1_20scan_config_selectorIjEEZZNS1_9scan_implILNS1_25lookback_scan_determinismE0ELb1ELb1ES3_N6thrust23THRUST_200600_302600_NS6detail15normal_iteratorINS9_10device_ptrIjEEEESE_jNS9_4plusIvEEjEEDaPvRmT3_T4_T5_mT6_P12ihipStream_tbENKUlT_T0_E_clISt17integral_constantIbLb0EESU_EEDaSP_SQ_EUlSP_E_NS1_11comp_targetILNS1_3genE0ELNS1_11target_archE4294967295ELNS1_3gpuE0ELNS1_3repE0EEENS1_30default_config_static_selectorELNS0_4arch9wavefront6targetE1EEEvT1_
	.globl	_ZN7rocprim17ROCPRIM_400000_NS6detail17trampoline_kernelINS0_14default_configENS1_20scan_config_selectorIjEEZZNS1_9scan_implILNS1_25lookback_scan_determinismE0ELb1ELb1ES3_N6thrust23THRUST_200600_302600_NS6detail15normal_iteratorINS9_10device_ptrIjEEEESE_jNS9_4plusIvEEjEEDaPvRmT3_T4_T5_mT6_P12ihipStream_tbENKUlT_T0_E_clISt17integral_constantIbLb0EESU_EEDaSP_SQ_EUlSP_E_NS1_11comp_targetILNS1_3genE0ELNS1_11target_archE4294967295ELNS1_3gpuE0ELNS1_3repE0EEENS1_30default_config_static_selectorELNS0_4arch9wavefront6targetE1EEEvT1_
	.p2align	8
	.type	_ZN7rocprim17ROCPRIM_400000_NS6detail17trampoline_kernelINS0_14default_configENS1_20scan_config_selectorIjEEZZNS1_9scan_implILNS1_25lookback_scan_determinismE0ELb1ELb1ES3_N6thrust23THRUST_200600_302600_NS6detail15normal_iteratorINS9_10device_ptrIjEEEESE_jNS9_4plusIvEEjEEDaPvRmT3_T4_T5_mT6_P12ihipStream_tbENKUlT_T0_E_clISt17integral_constantIbLb0EESU_EEDaSP_SQ_EUlSP_E_NS1_11comp_targetILNS1_3genE0ELNS1_11target_archE4294967295ELNS1_3gpuE0ELNS1_3repE0EEENS1_30default_config_static_selectorELNS0_4arch9wavefront6targetE1EEEvT1_,@function
_ZN7rocprim17ROCPRIM_400000_NS6detail17trampoline_kernelINS0_14default_configENS1_20scan_config_selectorIjEEZZNS1_9scan_implILNS1_25lookback_scan_determinismE0ELb1ELb1ES3_N6thrust23THRUST_200600_302600_NS6detail15normal_iteratorINS9_10device_ptrIjEEEESE_jNS9_4plusIvEEjEEDaPvRmT3_T4_T5_mT6_P12ihipStream_tbENKUlT_T0_E_clISt17integral_constantIbLb0EESU_EEDaSP_SQ_EUlSP_E_NS1_11comp_targetILNS1_3genE0ELNS1_11target_archE4294967295ELNS1_3gpuE0ELNS1_3repE0EEENS1_30default_config_static_selectorELNS0_4arch9wavefront6targetE1EEEvT1_: ; @_ZN7rocprim17ROCPRIM_400000_NS6detail17trampoline_kernelINS0_14default_configENS1_20scan_config_selectorIjEEZZNS1_9scan_implILNS1_25lookback_scan_determinismE0ELb1ELb1ES3_N6thrust23THRUST_200600_302600_NS6detail15normal_iteratorINS9_10device_ptrIjEEEESE_jNS9_4plusIvEEjEEDaPvRmT3_T4_T5_mT6_P12ihipStream_tbENKUlT_T0_E_clISt17integral_constantIbLb0EESU_EEDaSP_SQ_EUlSP_E_NS1_11comp_targetILNS1_3genE0ELNS1_11target_archE4294967295ELNS1_3gpuE0ELNS1_3repE0EEENS1_30default_config_static_selectorELNS0_4arch9wavefront6targetE1EEEvT1_
; %bb.0:
	.section	.rodata,"a",@progbits
	.p2align	6, 0x0
	.amdhsa_kernel _ZN7rocprim17ROCPRIM_400000_NS6detail17trampoline_kernelINS0_14default_configENS1_20scan_config_selectorIjEEZZNS1_9scan_implILNS1_25lookback_scan_determinismE0ELb1ELb1ES3_N6thrust23THRUST_200600_302600_NS6detail15normal_iteratorINS9_10device_ptrIjEEEESE_jNS9_4plusIvEEjEEDaPvRmT3_T4_T5_mT6_P12ihipStream_tbENKUlT_T0_E_clISt17integral_constantIbLb0EESU_EEDaSP_SQ_EUlSP_E_NS1_11comp_targetILNS1_3genE0ELNS1_11target_archE4294967295ELNS1_3gpuE0ELNS1_3repE0EEENS1_30default_config_static_selectorELNS0_4arch9wavefront6targetE1EEEvT1_
		.amdhsa_group_segment_fixed_size 0
		.amdhsa_private_segment_fixed_size 0
		.amdhsa_kernarg_size 96
		.amdhsa_user_sgpr_count 6
		.amdhsa_user_sgpr_private_segment_buffer 1
		.amdhsa_user_sgpr_dispatch_ptr 0
		.amdhsa_user_sgpr_queue_ptr 0
		.amdhsa_user_sgpr_kernarg_segment_ptr 1
		.amdhsa_user_sgpr_dispatch_id 0
		.amdhsa_user_sgpr_flat_scratch_init 0
		.amdhsa_user_sgpr_kernarg_preload_length 0
		.amdhsa_user_sgpr_kernarg_preload_offset 0
		.amdhsa_user_sgpr_private_segment_size 0
		.amdhsa_uses_dynamic_stack 0
		.amdhsa_system_sgpr_private_segment_wavefront_offset 0
		.amdhsa_system_sgpr_workgroup_id_x 1
		.amdhsa_system_sgpr_workgroup_id_y 0
		.amdhsa_system_sgpr_workgroup_id_z 0
		.amdhsa_system_sgpr_workgroup_info 0
		.amdhsa_system_vgpr_workitem_id 0
		.amdhsa_next_free_vgpr 1
		.amdhsa_next_free_sgpr 0
		.amdhsa_accum_offset 4
		.amdhsa_reserve_vcc 0
		.amdhsa_reserve_flat_scratch 0
		.amdhsa_float_round_mode_32 0
		.amdhsa_float_round_mode_16_64 0
		.amdhsa_float_denorm_mode_32 3
		.amdhsa_float_denorm_mode_16_64 3
		.amdhsa_dx10_clamp 1
		.amdhsa_ieee_mode 1
		.amdhsa_fp16_overflow 0
		.amdhsa_tg_split 0
		.amdhsa_exception_fp_ieee_invalid_op 0
		.amdhsa_exception_fp_denorm_src 0
		.amdhsa_exception_fp_ieee_div_zero 0
		.amdhsa_exception_fp_ieee_overflow 0
		.amdhsa_exception_fp_ieee_underflow 0
		.amdhsa_exception_fp_ieee_inexact 0
		.amdhsa_exception_int_div_zero 0
	.end_amdhsa_kernel
	.section	.text._ZN7rocprim17ROCPRIM_400000_NS6detail17trampoline_kernelINS0_14default_configENS1_20scan_config_selectorIjEEZZNS1_9scan_implILNS1_25lookback_scan_determinismE0ELb1ELb1ES3_N6thrust23THRUST_200600_302600_NS6detail15normal_iteratorINS9_10device_ptrIjEEEESE_jNS9_4plusIvEEjEEDaPvRmT3_T4_T5_mT6_P12ihipStream_tbENKUlT_T0_E_clISt17integral_constantIbLb0EESU_EEDaSP_SQ_EUlSP_E_NS1_11comp_targetILNS1_3genE0ELNS1_11target_archE4294967295ELNS1_3gpuE0ELNS1_3repE0EEENS1_30default_config_static_selectorELNS0_4arch9wavefront6targetE1EEEvT1_,"axG",@progbits,_ZN7rocprim17ROCPRIM_400000_NS6detail17trampoline_kernelINS0_14default_configENS1_20scan_config_selectorIjEEZZNS1_9scan_implILNS1_25lookback_scan_determinismE0ELb1ELb1ES3_N6thrust23THRUST_200600_302600_NS6detail15normal_iteratorINS9_10device_ptrIjEEEESE_jNS9_4plusIvEEjEEDaPvRmT3_T4_T5_mT6_P12ihipStream_tbENKUlT_T0_E_clISt17integral_constantIbLb0EESU_EEDaSP_SQ_EUlSP_E_NS1_11comp_targetILNS1_3genE0ELNS1_11target_archE4294967295ELNS1_3gpuE0ELNS1_3repE0EEENS1_30default_config_static_selectorELNS0_4arch9wavefront6targetE1EEEvT1_,comdat
.Lfunc_end4646:
	.size	_ZN7rocprim17ROCPRIM_400000_NS6detail17trampoline_kernelINS0_14default_configENS1_20scan_config_selectorIjEEZZNS1_9scan_implILNS1_25lookback_scan_determinismE0ELb1ELb1ES3_N6thrust23THRUST_200600_302600_NS6detail15normal_iteratorINS9_10device_ptrIjEEEESE_jNS9_4plusIvEEjEEDaPvRmT3_T4_T5_mT6_P12ihipStream_tbENKUlT_T0_E_clISt17integral_constantIbLb0EESU_EEDaSP_SQ_EUlSP_E_NS1_11comp_targetILNS1_3genE0ELNS1_11target_archE4294967295ELNS1_3gpuE0ELNS1_3repE0EEENS1_30default_config_static_selectorELNS0_4arch9wavefront6targetE1EEEvT1_, .Lfunc_end4646-_ZN7rocprim17ROCPRIM_400000_NS6detail17trampoline_kernelINS0_14default_configENS1_20scan_config_selectorIjEEZZNS1_9scan_implILNS1_25lookback_scan_determinismE0ELb1ELb1ES3_N6thrust23THRUST_200600_302600_NS6detail15normal_iteratorINS9_10device_ptrIjEEEESE_jNS9_4plusIvEEjEEDaPvRmT3_T4_T5_mT6_P12ihipStream_tbENKUlT_T0_E_clISt17integral_constantIbLb0EESU_EEDaSP_SQ_EUlSP_E_NS1_11comp_targetILNS1_3genE0ELNS1_11target_archE4294967295ELNS1_3gpuE0ELNS1_3repE0EEENS1_30default_config_static_selectorELNS0_4arch9wavefront6targetE1EEEvT1_
                                        ; -- End function
	.section	.AMDGPU.csdata,"",@progbits
; Kernel info:
; codeLenInByte = 0
; NumSgprs: 4
; NumVgprs: 0
; NumAgprs: 0
; TotalNumVgprs: 0
; ScratchSize: 0
; MemoryBound: 0
; FloatMode: 240
; IeeeMode: 1
; LDSByteSize: 0 bytes/workgroup (compile time only)
; SGPRBlocks: 0
; VGPRBlocks: 0
; NumSGPRsForWavesPerEU: 4
; NumVGPRsForWavesPerEU: 1
; AccumOffset: 4
; Occupancy: 8
; WaveLimiterHint : 0
; COMPUTE_PGM_RSRC2:SCRATCH_EN: 0
; COMPUTE_PGM_RSRC2:USER_SGPR: 6
; COMPUTE_PGM_RSRC2:TRAP_HANDLER: 0
; COMPUTE_PGM_RSRC2:TGID_X_EN: 1
; COMPUTE_PGM_RSRC2:TGID_Y_EN: 0
; COMPUTE_PGM_RSRC2:TGID_Z_EN: 0
; COMPUTE_PGM_RSRC2:TIDIG_COMP_CNT: 0
; COMPUTE_PGM_RSRC3_GFX90A:ACCUM_OFFSET: 0
; COMPUTE_PGM_RSRC3_GFX90A:TG_SPLIT: 0
	.section	.text._ZN7rocprim17ROCPRIM_400000_NS6detail17trampoline_kernelINS0_14default_configENS1_20scan_config_selectorIjEEZZNS1_9scan_implILNS1_25lookback_scan_determinismE0ELb1ELb1ES3_N6thrust23THRUST_200600_302600_NS6detail15normal_iteratorINS9_10device_ptrIjEEEESE_jNS9_4plusIvEEjEEDaPvRmT3_T4_T5_mT6_P12ihipStream_tbENKUlT_T0_E_clISt17integral_constantIbLb0EESU_EEDaSP_SQ_EUlSP_E_NS1_11comp_targetILNS1_3genE5ELNS1_11target_archE942ELNS1_3gpuE9ELNS1_3repE0EEENS1_30default_config_static_selectorELNS0_4arch9wavefront6targetE1EEEvT1_,"axG",@progbits,_ZN7rocprim17ROCPRIM_400000_NS6detail17trampoline_kernelINS0_14default_configENS1_20scan_config_selectorIjEEZZNS1_9scan_implILNS1_25lookback_scan_determinismE0ELb1ELb1ES3_N6thrust23THRUST_200600_302600_NS6detail15normal_iteratorINS9_10device_ptrIjEEEESE_jNS9_4plusIvEEjEEDaPvRmT3_T4_T5_mT6_P12ihipStream_tbENKUlT_T0_E_clISt17integral_constantIbLb0EESU_EEDaSP_SQ_EUlSP_E_NS1_11comp_targetILNS1_3genE5ELNS1_11target_archE942ELNS1_3gpuE9ELNS1_3repE0EEENS1_30default_config_static_selectorELNS0_4arch9wavefront6targetE1EEEvT1_,comdat
	.protected	_ZN7rocprim17ROCPRIM_400000_NS6detail17trampoline_kernelINS0_14default_configENS1_20scan_config_selectorIjEEZZNS1_9scan_implILNS1_25lookback_scan_determinismE0ELb1ELb1ES3_N6thrust23THRUST_200600_302600_NS6detail15normal_iteratorINS9_10device_ptrIjEEEESE_jNS9_4plusIvEEjEEDaPvRmT3_T4_T5_mT6_P12ihipStream_tbENKUlT_T0_E_clISt17integral_constantIbLb0EESU_EEDaSP_SQ_EUlSP_E_NS1_11comp_targetILNS1_3genE5ELNS1_11target_archE942ELNS1_3gpuE9ELNS1_3repE0EEENS1_30default_config_static_selectorELNS0_4arch9wavefront6targetE1EEEvT1_ ; -- Begin function _ZN7rocprim17ROCPRIM_400000_NS6detail17trampoline_kernelINS0_14default_configENS1_20scan_config_selectorIjEEZZNS1_9scan_implILNS1_25lookback_scan_determinismE0ELb1ELb1ES3_N6thrust23THRUST_200600_302600_NS6detail15normal_iteratorINS9_10device_ptrIjEEEESE_jNS9_4plusIvEEjEEDaPvRmT3_T4_T5_mT6_P12ihipStream_tbENKUlT_T0_E_clISt17integral_constantIbLb0EESU_EEDaSP_SQ_EUlSP_E_NS1_11comp_targetILNS1_3genE5ELNS1_11target_archE942ELNS1_3gpuE9ELNS1_3repE0EEENS1_30default_config_static_selectorELNS0_4arch9wavefront6targetE1EEEvT1_
	.globl	_ZN7rocprim17ROCPRIM_400000_NS6detail17trampoline_kernelINS0_14default_configENS1_20scan_config_selectorIjEEZZNS1_9scan_implILNS1_25lookback_scan_determinismE0ELb1ELb1ES3_N6thrust23THRUST_200600_302600_NS6detail15normal_iteratorINS9_10device_ptrIjEEEESE_jNS9_4plusIvEEjEEDaPvRmT3_T4_T5_mT6_P12ihipStream_tbENKUlT_T0_E_clISt17integral_constantIbLb0EESU_EEDaSP_SQ_EUlSP_E_NS1_11comp_targetILNS1_3genE5ELNS1_11target_archE942ELNS1_3gpuE9ELNS1_3repE0EEENS1_30default_config_static_selectorELNS0_4arch9wavefront6targetE1EEEvT1_
	.p2align	8
	.type	_ZN7rocprim17ROCPRIM_400000_NS6detail17trampoline_kernelINS0_14default_configENS1_20scan_config_selectorIjEEZZNS1_9scan_implILNS1_25lookback_scan_determinismE0ELb1ELb1ES3_N6thrust23THRUST_200600_302600_NS6detail15normal_iteratorINS9_10device_ptrIjEEEESE_jNS9_4plusIvEEjEEDaPvRmT3_T4_T5_mT6_P12ihipStream_tbENKUlT_T0_E_clISt17integral_constantIbLb0EESU_EEDaSP_SQ_EUlSP_E_NS1_11comp_targetILNS1_3genE5ELNS1_11target_archE942ELNS1_3gpuE9ELNS1_3repE0EEENS1_30default_config_static_selectorELNS0_4arch9wavefront6targetE1EEEvT1_,@function
_ZN7rocprim17ROCPRIM_400000_NS6detail17trampoline_kernelINS0_14default_configENS1_20scan_config_selectorIjEEZZNS1_9scan_implILNS1_25lookback_scan_determinismE0ELb1ELb1ES3_N6thrust23THRUST_200600_302600_NS6detail15normal_iteratorINS9_10device_ptrIjEEEESE_jNS9_4plusIvEEjEEDaPvRmT3_T4_T5_mT6_P12ihipStream_tbENKUlT_T0_E_clISt17integral_constantIbLb0EESU_EEDaSP_SQ_EUlSP_E_NS1_11comp_targetILNS1_3genE5ELNS1_11target_archE942ELNS1_3gpuE9ELNS1_3repE0EEENS1_30default_config_static_selectorELNS0_4arch9wavefront6targetE1EEEvT1_: ; @_ZN7rocprim17ROCPRIM_400000_NS6detail17trampoline_kernelINS0_14default_configENS1_20scan_config_selectorIjEEZZNS1_9scan_implILNS1_25lookback_scan_determinismE0ELb1ELb1ES3_N6thrust23THRUST_200600_302600_NS6detail15normal_iteratorINS9_10device_ptrIjEEEESE_jNS9_4plusIvEEjEEDaPvRmT3_T4_T5_mT6_P12ihipStream_tbENKUlT_T0_E_clISt17integral_constantIbLb0EESU_EEDaSP_SQ_EUlSP_E_NS1_11comp_targetILNS1_3genE5ELNS1_11target_archE942ELNS1_3gpuE9ELNS1_3repE0EEENS1_30default_config_static_selectorELNS0_4arch9wavefront6targetE1EEEvT1_
; %bb.0:
	.section	.rodata,"a",@progbits
	.p2align	6, 0x0
	.amdhsa_kernel _ZN7rocprim17ROCPRIM_400000_NS6detail17trampoline_kernelINS0_14default_configENS1_20scan_config_selectorIjEEZZNS1_9scan_implILNS1_25lookback_scan_determinismE0ELb1ELb1ES3_N6thrust23THRUST_200600_302600_NS6detail15normal_iteratorINS9_10device_ptrIjEEEESE_jNS9_4plusIvEEjEEDaPvRmT3_T4_T5_mT6_P12ihipStream_tbENKUlT_T0_E_clISt17integral_constantIbLb0EESU_EEDaSP_SQ_EUlSP_E_NS1_11comp_targetILNS1_3genE5ELNS1_11target_archE942ELNS1_3gpuE9ELNS1_3repE0EEENS1_30default_config_static_selectorELNS0_4arch9wavefront6targetE1EEEvT1_
		.amdhsa_group_segment_fixed_size 0
		.amdhsa_private_segment_fixed_size 0
		.amdhsa_kernarg_size 96
		.amdhsa_user_sgpr_count 6
		.amdhsa_user_sgpr_private_segment_buffer 1
		.amdhsa_user_sgpr_dispatch_ptr 0
		.amdhsa_user_sgpr_queue_ptr 0
		.amdhsa_user_sgpr_kernarg_segment_ptr 1
		.amdhsa_user_sgpr_dispatch_id 0
		.amdhsa_user_sgpr_flat_scratch_init 0
		.amdhsa_user_sgpr_kernarg_preload_length 0
		.amdhsa_user_sgpr_kernarg_preload_offset 0
		.amdhsa_user_sgpr_private_segment_size 0
		.amdhsa_uses_dynamic_stack 0
		.amdhsa_system_sgpr_private_segment_wavefront_offset 0
		.amdhsa_system_sgpr_workgroup_id_x 1
		.amdhsa_system_sgpr_workgroup_id_y 0
		.amdhsa_system_sgpr_workgroup_id_z 0
		.amdhsa_system_sgpr_workgroup_info 0
		.amdhsa_system_vgpr_workitem_id 0
		.amdhsa_next_free_vgpr 1
		.amdhsa_next_free_sgpr 0
		.amdhsa_accum_offset 4
		.amdhsa_reserve_vcc 0
		.amdhsa_reserve_flat_scratch 0
		.amdhsa_float_round_mode_32 0
		.amdhsa_float_round_mode_16_64 0
		.amdhsa_float_denorm_mode_32 3
		.amdhsa_float_denorm_mode_16_64 3
		.amdhsa_dx10_clamp 1
		.amdhsa_ieee_mode 1
		.amdhsa_fp16_overflow 0
		.amdhsa_tg_split 0
		.amdhsa_exception_fp_ieee_invalid_op 0
		.amdhsa_exception_fp_denorm_src 0
		.amdhsa_exception_fp_ieee_div_zero 0
		.amdhsa_exception_fp_ieee_overflow 0
		.amdhsa_exception_fp_ieee_underflow 0
		.amdhsa_exception_fp_ieee_inexact 0
		.amdhsa_exception_int_div_zero 0
	.end_amdhsa_kernel
	.section	.text._ZN7rocprim17ROCPRIM_400000_NS6detail17trampoline_kernelINS0_14default_configENS1_20scan_config_selectorIjEEZZNS1_9scan_implILNS1_25lookback_scan_determinismE0ELb1ELb1ES3_N6thrust23THRUST_200600_302600_NS6detail15normal_iteratorINS9_10device_ptrIjEEEESE_jNS9_4plusIvEEjEEDaPvRmT3_T4_T5_mT6_P12ihipStream_tbENKUlT_T0_E_clISt17integral_constantIbLb0EESU_EEDaSP_SQ_EUlSP_E_NS1_11comp_targetILNS1_3genE5ELNS1_11target_archE942ELNS1_3gpuE9ELNS1_3repE0EEENS1_30default_config_static_selectorELNS0_4arch9wavefront6targetE1EEEvT1_,"axG",@progbits,_ZN7rocprim17ROCPRIM_400000_NS6detail17trampoline_kernelINS0_14default_configENS1_20scan_config_selectorIjEEZZNS1_9scan_implILNS1_25lookback_scan_determinismE0ELb1ELb1ES3_N6thrust23THRUST_200600_302600_NS6detail15normal_iteratorINS9_10device_ptrIjEEEESE_jNS9_4plusIvEEjEEDaPvRmT3_T4_T5_mT6_P12ihipStream_tbENKUlT_T0_E_clISt17integral_constantIbLb0EESU_EEDaSP_SQ_EUlSP_E_NS1_11comp_targetILNS1_3genE5ELNS1_11target_archE942ELNS1_3gpuE9ELNS1_3repE0EEENS1_30default_config_static_selectorELNS0_4arch9wavefront6targetE1EEEvT1_,comdat
.Lfunc_end4647:
	.size	_ZN7rocprim17ROCPRIM_400000_NS6detail17trampoline_kernelINS0_14default_configENS1_20scan_config_selectorIjEEZZNS1_9scan_implILNS1_25lookback_scan_determinismE0ELb1ELb1ES3_N6thrust23THRUST_200600_302600_NS6detail15normal_iteratorINS9_10device_ptrIjEEEESE_jNS9_4plusIvEEjEEDaPvRmT3_T4_T5_mT6_P12ihipStream_tbENKUlT_T0_E_clISt17integral_constantIbLb0EESU_EEDaSP_SQ_EUlSP_E_NS1_11comp_targetILNS1_3genE5ELNS1_11target_archE942ELNS1_3gpuE9ELNS1_3repE0EEENS1_30default_config_static_selectorELNS0_4arch9wavefront6targetE1EEEvT1_, .Lfunc_end4647-_ZN7rocprim17ROCPRIM_400000_NS6detail17trampoline_kernelINS0_14default_configENS1_20scan_config_selectorIjEEZZNS1_9scan_implILNS1_25lookback_scan_determinismE0ELb1ELb1ES3_N6thrust23THRUST_200600_302600_NS6detail15normal_iteratorINS9_10device_ptrIjEEEESE_jNS9_4plusIvEEjEEDaPvRmT3_T4_T5_mT6_P12ihipStream_tbENKUlT_T0_E_clISt17integral_constantIbLb0EESU_EEDaSP_SQ_EUlSP_E_NS1_11comp_targetILNS1_3genE5ELNS1_11target_archE942ELNS1_3gpuE9ELNS1_3repE0EEENS1_30default_config_static_selectorELNS0_4arch9wavefront6targetE1EEEvT1_
                                        ; -- End function
	.section	.AMDGPU.csdata,"",@progbits
; Kernel info:
; codeLenInByte = 0
; NumSgprs: 4
; NumVgprs: 0
; NumAgprs: 0
; TotalNumVgprs: 0
; ScratchSize: 0
; MemoryBound: 0
; FloatMode: 240
; IeeeMode: 1
; LDSByteSize: 0 bytes/workgroup (compile time only)
; SGPRBlocks: 0
; VGPRBlocks: 0
; NumSGPRsForWavesPerEU: 4
; NumVGPRsForWavesPerEU: 1
; AccumOffset: 4
; Occupancy: 8
; WaveLimiterHint : 0
; COMPUTE_PGM_RSRC2:SCRATCH_EN: 0
; COMPUTE_PGM_RSRC2:USER_SGPR: 6
; COMPUTE_PGM_RSRC2:TRAP_HANDLER: 0
; COMPUTE_PGM_RSRC2:TGID_X_EN: 1
; COMPUTE_PGM_RSRC2:TGID_Y_EN: 0
; COMPUTE_PGM_RSRC2:TGID_Z_EN: 0
; COMPUTE_PGM_RSRC2:TIDIG_COMP_CNT: 0
; COMPUTE_PGM_RSRC3_GFX90A:ACCUM_OFFSET: 0
; COMPUTE_PGM_RSRC3_GFX90A:TG_SPLIT: 0
	.section	.text._ZN7rocprim17ROCPRIM_400000_NS6detail17trampoline_kernelINS0_14default_configENS1_20scan_config_selectorIjEEZZNS1_9scan_implILNS1_25lookback_scan_determinismE0ELb1ELb1ES3_N6thrust23THRUST_200600_302600_NS6detail15normal_iteratorINS9_10device_ptrIjEEEESE_jNS9_4plusIvEEjEEDaPvRmT3_T4_T5_mT6_P12ihipStream_tbENKUlT_T0_E_clISt17integral_constantIbLb0EESU_EEDaSP_SQ_EUlSP_E_NS1_11comp_targetILNS1_3genE4ELNS1_11target_archE910ELNS1_3gpuE8ELNS1_3repE0EEENS1_30default_config_static_selectorELNS0_4arch9wavefront6targetE1EEEvT1_,"axG",@progbits,_ZN7rocprim17ROCPRIM_400000_NS6detail17trampoline_kernelINS0_14default_configENS1_20scan_config_selectorIjEEZZNS1_9scan_implILNS1_25lookback_scan_determinismE0ELb1ELb1ES3_N6thrust23THRUST_200600_302600_NS6detail15normal_iteratorINS9_10device_ptrIjEEEESE_jNS9_4plusIvEEjEEDaPvRmT3_T4_T5_mT6_P12ihipStream_tbENKUlT_T0_E_clISt17integral_constantIbLb0EESU_EEDaSP_SQ_EUlSP_E_NS1_11comp_targetILNS1_3genE4ELNS1_11target_archE910ELNS1_3gpuE8ELNS1_3repE0EEENS1_30default_config_static_selectorELNS0_4arch9wavefront6targetE1EEEvT1_,comdat
	.protected	_ZN7rocprim17ROCPRIM_400000_NS6detail17trampoline_kernelINS0_14default_configENS1_20scan_config_selectorIjEEZZNS1_9scan_implILNS1_25lookback_scan_determinismE0ELb1ELb1ES3_N6thrust23THRUST_200600_302600_NS6detail15normal_iteratorINS9_10device_ptrIjEEEESE_jNS9_4plusIvEEjEEDaPvRmT3_T4_T5_mT6_P12ihipStream_tbENKUlT_T0_E_clISt17integral_constantIbLb0EESU_EEDaSP_SQ_EUlSP_E_NS1_11comp_targetILNS1_3genE4ELNS1_11target_archE910ELNS1_3gpuE8ELNS1_3repE0EEENS1_30default_config_static_selectorELNS0_4arch9wavefront6targetE1EEEvT1_ ; -- Begin function _ZN7rocprim17ROCPRIM_400000_NS6detail17trampoline_kernelINS0_14default_configENS1_20scan_config_selectorIjEEZZNS1_9scan_implILNS1_25lookback_scan_determinismE0ELb1ELb1ES3_N6thrust23THRUST_200600_302600_NS6detail15normal_iteratorINS9_10device_ptrIjEEEESE_jNS9_4plusIvEEjEEDaPvRmT3_T4_T5_mT6_P12ihipStream_tbENKUlT_T0_E_clISt17integral_constantIbLb0EESU_EEDaSP_SQ_EUlSP_E_NS1_11comp_targetILNS1_3genE4ELNS1_11target_archE910ELNS1_3gpuE8ELNS1_3repE0EEENS1_30default_config_static_selectorELNS0_4arch9wavefront6targetE1EEEvT1_
	.globl	_ZN7rocprim17ROCPRIM_400000_NS6detail17trampoline_kernelINS0_14default_configENS1_20scan_config_selectorIjEEZZNS1_9scan_implILNS1_25lookback_scan_determinismE0ELb1ELb1ES3_N6thrust23THRUST_200600_302600_NS6detail15normal_iteratorINS9_10device_ptrIjEEEESE_jNS9_4plusIvEEjEEDaPvRmT3_T4_T5_mT6_P12ihipStream_tbENKUlT_T0_E_clISt17integral_constantIbLb0EESU_EEDaSP_SQ_EUlSP_E_NS1_11comp_targetILNS1_3genE4ELNS1_11target_archE910ELNS1_3gpuE8ELNS1_3repE0EEENS1_30default_config_static_selectorELNS0_4arch9wavefront6targetE1EEEvT1_
	.p2align	8
	.type	_ZN7rocprim17ROCPRIM_400000_NS6detail17trampoline_kernelINS0_14default_configENS1_20scan_config_selectorIjEEZZNS1_9scan_implILNS1_25lookback_scan_determinismE0ELb1ELb1ES3_N6thrust23THRUST_200600_302600_NS6detail15normal_iteratorINS9_10device_ptrIjEEEESE_jNS9_4plusIvEEjEEDaPvRmT3_T4_T5_mT6_P12ihipStream_tbENKUlT_T0_E_clISt17integral_constantIbLb0EESU_EEDaSP_SQ_EUlSP_E_NS1_11comp_targetILNS1_3genE4ELNS1_11target_archE910ELNS1_3gpuE8ELNS1_3repE0EEENS1_30default_config_static_selectorELNS0_4arch9wavefront6targetE1EEEvT1_,@function
_ZN7rocprim17ROCPRIM_400000_NS6detail17trampoline_kernelINS0_14default_configENS1_20scan_config_selectorIjEEZZNS1_9scan_implILNS1_25lookback_scan_determinismE0ELb1ELb1ES3_N6thrust23THRUST_200600_302600_NS6detail15normal_iteratorINS9_10device_ptrIjEEEESE_jNS9_4plusIvEEjEEDaPvRmT3_T4_T5_mT6_P12ihipStream_tbENKUlT_T0_E_clISt17integral_constantIbLb0EESU_EEDaSP_SQ_EUlSP_E_NS1_11comp_targetILNS1_3genE4ELNS1_11target_archE910ELNS1_3gpuE8ELNS1_3repE0EEENS1_30default_config_static_selectorELNS0_4arch9wavefront6targetE1EEEvT1_: ; @_ZN7rocprim17ROCPRIM_400000_NS6detail17trampoline_kernelINS0_14default_configENS1_20scan_config_selectorIjEEZZNS1_9scan_implILNS1_25lookback_scan_determinismE0ELb1ELb1ES3_N6thrust23THRUST_200600_302600_NS6detail15normal_iteratorINS9_10device_ptrIjEEEESE_jNS9_4plusIvEEjEEDaPvRmT3_T4_T5_mT6_P12ihipStream_tbENKUlT_T0_E_clISt17integral_constantIbLb0EESU_EEDaSP_SQ_EUlSP_E_NS1_11comp_targetILNS1_3genE4ELNS1_11target_archE910ELNS1_3gpuE8ELNS1_3repE0EEENS1_30default_config_static_selectorELNS0_4arch9wavefront6targetE1EEEvT1_
; %bb.0:
	s_load_dwordx8 s[8:15], s[4:5], 0x0
	s_load_dword s1, s[4:5], 0x30
	s_mul_i32 s0, s6, 0x500
	v_lshlrev_b32_e32 v22, 2, v0
	s_waitcnt lgkmcnt(0)
	s_lshl_b64 s[10:11], s[10:11], 2
	s_add_u32 s27, s8, s10
	s_addc_u32 s28, s9, s11
	s_add_i32 s2, s1, -1
	s_mul_i32 s3, s2, 0x500
	s_sub_u32 s7, s14, s3
	s_subb_u32 s26, s15, 0
	s_mov_b32 s1, 0
	s_cmp_lg_u32 s6, s2
	s_cselect_b64 s[8:9], -1, 0
	s_lshl_b64 s[14:15], s[0:1], 2
	s_add_u32 s2, s27, s14
	s_addc_u32 s3, s28, s15
	s_mov_b64 s[0:1], -1
	s_and_b64 vcc, exec, s[8:9]
	s_cbranch_vccz .LBB4648_2
; %bb.1:
	v_mov_b32_e32 v1, s3
	v_add_co_u32_e32 v2, vcc, s2, v22
	v_addc_co_u32_e32 v3, vcc, 0, v1, vcc
	flat_load_dword v1, v[2:3]
	flat_load_dword v4, v[2:3] offset:512
	flat_load_dword v5, v[2:3] offset:1024
	;; [unrolled: 1-line block ×7, first 2 shown]
	v_add_co_u32_e32 v2, vcc, 0x1000, v2
	v_addc_co_u32_e32 v3, vcc, 0, v3, vcc
	flat_load_dword v11, v[2:3]
	flat_load_dword v12, v[2:3] offset:512
	s_mov_b64 s[0:1], 0
	s_waitcnt vmcnt(0) lgkmcnt(0)
	ds_write2st64_b32 v22, v1, v4 offset1:2
	ds_write2st64_b32 v22, v5, v6 offset0:4 offset1:6
	ds_write2st64_b32 v22, v7, v8 offset0:8 offset1:10
	;; [unrolled: 1-line block ×4, first 2 shown]
	s_waitcnt lgkmcnt(0)
	s_barrier
.LBB4648_2:
	s_load_dwordx2 s[24:25], s[4:5], 0x28
	s_andn2_b64 vcc, exec, s[0:1]
	v_cmp_gt_u32_e64 s[0:1], s7, v0
	s_cbranch_vccnz .LBB4648_24
; %bb.3:
	v_pk_mov_b32 v[2:3], s[2:3], s[2:3] op_sel:[0,1]
	flat_load_dword v1, v[2:3]
	s_waitcnt vmcnt(0) lgkmcnt(0)
	v_mov_b32_e32 v2, v1
	v_mov_b32_e32 v3, v1
	;; [unrolled: 1-line block ×9, first 2 shown]
	s_and_saveexec_b64 s[16:17], s[0:1]
	s_cbranch_execz .LBB4648_5
; %bb.4:
	v_mov_b32_e32 v11, s3
	v_add_co_u32_e32 v10, vcc, s2, v22
	v_addc_co_u32_e32 v11, vcc, 0, v11, vcc
	flat_load_dword v10, v[10:11]
.LBB4648_5:
	s_or_b64 exec, exec, s[16:17]
	v_or_b32_e32 v11, 0x80, v0
	v_cmp_gt_u32_e32 vcc, s7, v11
	s_and_saveexec_b64 s[0:1], vcc
	s_cbranch_execz .LBB4648_7
; %bb.6:
	v_mov_b32_e32 v1, s3
	v_add_co_u32_e32 v12, vcc, s2, v22
	v_addc_co_u32_e32 v13, vcc, 0, v1, vcc
	flat_load_dword v1, v[12:13] offset:512
.LBB4648_7:
	s_or_b64 exec, exec, s[0:1]
	v_or_b32_e32 v11, 0x100, v0
	v_cmp_gt_u32_e32 vcc, s7, v11
	s_and_saveexec_b64 s[0:1], vcc
	s_cbranch_execz .LBB4648_9
; %bb.8:
	v_mov_b32_e32 v2, s3
	v_add_co_u32_e32 v12, vcc, s2, v22
	v_addc_co_u32_e32 v13, vcc, 0, v2, vcc
	flat_load_dword v2, v[12:13] offset:1024
.LBB4648_9:
	;; [unrolled: 11-line block ×7, first 2 shown]
	s_or_b64 exec, exec, s[0:1]
	v_or_b32_e32 v11, 0x400, v0
	v_cmp_gt_u32_e32 vcc, s7, v11
	s_and_saveexec_b64 s[0:1], vcc
	s_cbranch_execz .LBB4648_21
; %bb.20:
	v_lshlrev_b32_e32 v8, 2, v11
	v_mov_b32_e32 v11, s3
	v_add_co_u32_e32 v12, vcc, s2, v8
	v_addc_co_u32_e32 v13, vcc, 0, v11, vcc
	flat_load_dword v8, v[12:13]
.LBB4648_21:
	s_or_b64 exec, exec, s[0:1]
	v_or_b32_e32 v11, 0x480, v0
	v_cmp_gt_u32_e32 vcc, s7, v11
	s_and_saveexec_b64 s[0:1], vcc
	s_cbranch_execz .LBB4648_23
; %bb.22:
	v_lshlrev_b32_e32 v9, 2, v11
	v_mov_b32_e32 v11, s3
	v_add_co_u32_e32 v12, vcc, s2, v9
	v_addc_co_u32_e32 v13, vcc, 0, v11, vcc
	flat_load_dword v9, v[12:13]
.LBB4648_23:
	s_or_b64 exec, exec, s[0:1]
	s_waitcnt vmcnt(0) lgkmcnt(0)
	ds_write2st64_b32 v22, v10, v1 offset1:2
	ds_write2st64_b32 v22, v2, v3 offset0:4 offset1:6
	ds_write2st64_b32 v22, v4, v5 offset0:8 offset1:10
	;; [unrolled: 1-line block ×4, first 2 shown]
	s_waitcnt lgkmcnt(0)
	s_barrier
.LBB4648_24:
	v_mul_u32_u24_e32 v23, 10, v0
	v_lshlrev_b32_e32 v1, 2, v23
	s_waitcnt lgkmcnt(0)
	ds_read2_b64 v[16:19], v1 offset1:1
	ds_read2_b64 v[12:15], v1 offset0:2 offset1:3
	ds_read_b64 v[20:21], v1 offset:32
	s_cmp_lg_u32 s6, 0
	v_lshrrev_b32_e32 v24, 5, v0
	s_waitcnt lgkmcnt(2)
	v_add_u32_e32 v2, v17, v16
	v_add3_u32 v25, v2, v18, v19
	v_cmp_gt_u32_e32 vcc, 64, v0
	s_waitcnt lgkmcnt(0)
	s_barrier
	s_cbranch_scc0 .LBB4648_49
; %bb.25:
	v_add3_u32 v2, v25, v12, v13
	v_add3_u32 v2, v2, v14, v15
	;; [unrolled: 1-line block ×3, first 2 shown]
	v_add_lshl_u32 v3, v24, v0, 2
	ds_write_b32 v3, v2
	s_waitcnt lgkmcnt(0)
	s_barrier
	s_and_saveexec_b64 s[2:3], vcc
	s_cbranch_execz .LBB4648_27
; %bb.26:
	v_lshlrev_b32_e32 v3, 1, v0
	v_lshrrev_b32_e32 v4, 4, v0
	v_add_lshl_u32 v3, v4, v3, 2
	ds_read2_b32 v[4:5], v3 offset1:1
	v_mbcnt_lo_u32_b32 v6, -1, 0
	v_mbcnt_hi_u32_b32 v6, -1, v6
	v_and_b32_e32 v7, 15, v6
	v_cmp_ne_u32_e64 s[0:1], 0, v7
	s_waitcnt lgkmcnt(0)
	v_add_u32_e32 v5, v5, v4
	; wave barrier
	s_nop 1
	v_mov_b32_dpp v8, v5 row_shr:1 row_mask:0xf bank_mask:0xf
	v_cndmask_b32_e64 v8, 0, v8, s[0:1]
	v_add_u32_e32 v5, v8, v5
	v_cmp_lt_u32_e64 s[0:1], 1, v7
	s_nop 0
	v_mov_b32_dpp v8, v5 row_shr:2 row_mask:0xf bank_mask:0xf
	v_cndmask_b32_e64 v8, 0, v8, s[0:1]
	v_add_u32_e32 v5, v5, v8
	v_cmp_lt_u32_e64 s[0:1], 3, v7
	;; [unrolled: 5-line block ×3, first 2 shown]
	s_nop 0
	v_mov_b32_dpp v8, v5 row_shr:8 row_mask:0xf bank_mask:0xf
	v_cndmask_b32_e64 v7, 0, v8, s[0:1]
	v_add_u32_e32 v5, v5, v7
	v_bfe_i32 v8, v6, 4, 1
	v_cmp_lt_u32_e64 s[0:1], 31, v6
	v_mov_b32_dpp v7, v5 row_bcast:15 row_mask:0xf bank_mask:0xf
	v_and_b32_e32 v7, v8, v7
	v_add_u32_e32 v5, v5, v7
	v_and_b32_e32 v8, 64, v6
	s_nop 0
	v_mov_b32_dpp v7, v5 row_bcast:31 row_mask:0xf bank_mask:0xf
	v_cndmask_b32_e64 v7, 0, v7, s[0:1]
	v_add_u32_e32 v5, v5, v7
	v_add_u32_e32 v7, -1, v6
	v_cmp_lt_i32_e64 s[0:1], v7, v8
	v_cndmask_b32_e64 v6, v7, v6, s[0:1]
	v_lshlrev_b32_e32 v6, 2, v6
	ds_bpermute_b32 v5, v6, v5
	v_cmp_eq_u32_e64 s[0:1], 0, v0
	s_waitcnt lgkmcnt(0)
	v_add_u32_e32 v4, v5, v4
	v_cndmask_b32_e64 v2, v4, v2, s[0:1]
	ds_write_b32 v3, v2
	; wave barrier
	ds_read_b32 v4, v3 offset:4
	s_waitcnt lgkmcnt(0)
	v_add_u32_e32 v2, v4, v2
	ds_write_b32 v3, v2 offset:4
.LBB4648_27:
	s_or_b64 exec, exec, s[2:3]
	v_cmp_eq_u32_e64 s[0:1], 0, v0
	v_cmp_ne_u32_e64 s[2:3], 0, v0
	v_mov_b32_e32 v26, 0
	s_waitcnt lgkmcnt(0)
	s_barrier
	s_and_saveexec_b64 s[16:17], s[2:3]
	s_cbranch_execz .LBB4648_29
; %bb.28:
	v_add_u32_e32 v2, -1, v0
	v_lshrrev_b32_e32 v3, 5, v2
	v_add_lshl_u32 v2, v3, v2, 2
	ds_read_b32 v26, v2
.LBB4648_29:
	s_or_b64 exec, exec, s[16:17]
	s_and_saveexec_b64 s[16:17], vcc
	s_cbranch_execz .LBB4648_48
; %bb.30:
	v_mov_b32_e32 v9, 0
	ds_read_b32 v2, v9 offset:520
	v_mbcnt_lo_u32_b32 v3, -1, 0
	v_mbcnt_hi_u32_b32 v5, -1, v3
	s_mov_b32 s21, 0
	v_cmp_eq_u32_e64 s[2:3], 0, v5
	s_and_saveexec_b64 s[18:19], s[2:3]
	s_cbranch_execz .LBB4648_32
; %bb.31:
	s_add_i32 s20, s6, 64
	s_lshl_b64 s[20:21], s[20:21], 3
	s_add_u32 s20, s24, s20
	v_mov_b32_e32 v3, 1
	s_addc_u32 s21, s25, s21
	s_waitcnt lgkmcnt(0)
	global_store_dwordx2 v9, v[2:3], s[20:21]
.LBB4648_32:
	s_or_b64 exec, exec, s[18:19]
	v_xad_u32 v4, v5, -1, s6
	v_add_u32_e32 v8, 64, v4
	v_lshlrev_b64 v[6:7], 3, v[8:9]
	v_mov_b32_e32 v3, s25
	v_add_co_u32_e32 v10, vcc, s24, v6
	v_addc_co_u32_e32 v11, vcc, v3, v7, vcc
	global_load_dwordx2 v[6:7], v[10:11], off glc
	s_waitcnt vmcnt(0)
	v_cmp_eq_u16_sdwa s[20:21], v7, v9 src0_sel:BYTE_0 src1_sel:DWORD
	s_and_saveexec_b64 s[18:19], s[20:21]
	s_cbranch_execz .LBB4648_36
; %bb.33:
	s_mov_b64 s[20:21], 0
	v_mov_b32_e32 v3, 0
.LBB4648_34:                            ; =>This Inner Loop Header: Depth=1
	global_load_dwordx2 v[6:7], v[10:11], off glc
	s_waitcnt vmcnt(0)
	v_cmp_ne_u16_sdwa s[22:23], v7, v3 src0_sel:BYTE_0 src1_sel:DWORD
	s_or_b64 s[20:21], s[22:23], s[20:21]
	s_andn2_b64 exec, exec, s[20:21]
	s_cbranch_execnz .LBB4648_34
; %bb.35:
	s_or_b64 exec, exec, s[20:21]
.LBB4648_36:
	s_or_b64 exec, exec, s[18:19]
	v_and_b32_e32 v27, 63, v5
	v_mov_b32_e32 v3, 2
	v_cmp_ne_u32_e32 vcc, 63, v27
	v_cmp_eq_u16_sdwa s[18:19], v7, v3 src0_sel:BYTE_0 src1_sel:DWORD
	v_lshlrev_b64 v[8:9], v5, -1
	v_addc_co_u32_e32 v28, vcc, 0, v5, vcc
	v_and_b32_e32 v10, s19, v9
	v_lshlrev_b32_e32 v28, 2, v28
	v_or_b32_e32 v10, 0x80000000, v10
	ds_bpermute_b32 v29, v28, v6
	v_and_b32_e32 v11, s18, v8
	v_ffbl_b32_e32 v10, v10
	v_add_u32_e32 v10, 32, v10
	v_ffbl_b32_e32 v11, v11
	v_min_u32_e32 v10, v11, v10
	v_cmp_lt_u32_e32 vcc, v27, v10
	s_waitcnt lgkmcnt(0)
	v_cndmask_b32_e32 v11, 0, v29, vcc
	v_cmp_gt_u32_e32 vcc, 62, v27
	v_add_u32_e32 v6, v11, v6
	v_cndmask_b32_e64 v11, 0, 1, vcc
	v_lshlrev_b32_e32 v11, 1, v11
	v_add_lshl_u32 v29, v11, v5, 2
	ds_bpermute_b32 v11, v29, v6
	v_add_u32_e32 v30, 2, v27
	v_cmp_le_u32_e32 vcc, v30, v10
	v_add_u32_e32 v32, 4, v27
	v_add_u32_e32 v34, 8, v27
	s_waitcnt lgkmcnt(0)
	v_cndmask_b32_e32 v11, 0, v11, vcc
	v_cmp_gt_u32_e32 vcc, 60, v27
	v_add_u32_e32 v6, v6, v11
	v_cndmask_b32_e64 v11, 0, 1, vcc
	v_lshlrev_b32_e32 v11, 2, v11
	v_add_lshl_u32 v31, v11, v5, 2
	ds_bpermute_b32 v11, v31, v6
	v_cmp_le_u32_e32 vcc, v32, v10
	v_add_u32_e32 v37, 16, v27
	v_add_u32_e32 v39, 32, v27
	s_waitcnt lgkmcnt(0)
	v_cndmask_b32_e32 v11, 0, v11, vcc
	v_cmp_gt_u32_e32 vcc, 56, v27
	v_add_u32_e32 v6, v6, v11
	v_cndmask_b32_e64 v11, 0, 1, vcc
	v_lshlrev_b32_e32 v11, 3, v11
	v_add_lshl_u32 v33, v11, v5, 2
	ds_bpermute_b32 v11, v33, v6
	v_cmp_le_u32_e32 vcc, v34, v10
	s_waitcnt lgkmcnt(0)
	v_cndmask_b32_e32 v11, 0, v11, vcc
	v_cmp_gt_u32_e32 vcc, 48, v27
	v_add_u32_e32 v6, v6, v11
	v_cndmask_b32_e64 v11, 0, 1, vcc
	v_lshlrev_b32_e32 v11, 4, v11
	v_add_lshl_u32 v36, v11, v5, 2
	ds_bpermute_b32 v11, v36, v6
	v_cmp_le_u32_e32 vcc, v37, v10
	;; [unrolled: 9-line block ×3, first 2 shown]
	s_waitcnt lgkmcnt(0)
	v_cndmask_b32_e32 v5, 0, v5, vcc
	v_add_u32_e32 v6, v6, v5
	v_mov_b32_e32 v5, 0
	s_branch .LBB4648_38
.LBB4648_37:                            ;   in Loop: Header=BB4648_38 Depth=1
	s_or_b64 exec, exec, s[18:19]
	v_cmp_eq_u16_sdwa s[18:19], v7, v3 src0_sel:BYTE_0 src1_sel:DWORD
	v_and_b32_e32 v10, s19, v9
	v_or_b32_e32 v10, 0x80000000, v10
	ds_bpermute_b32 v40, v28, v6
	v_and_b32_e32 v11, s18, v8
	v_ffbl_b32_e32 v10, v10
	v_add_u32_e32 v10, 32, v10
	v_ffbl_b32_e32 v11, v11
	v_min_u32_e32 v10, v11, v10
	v_cmp_lt_u32_e32 vcc, v27, v10
	s_waitcnt lgkmcnt(0)
	v_cndmask_b32_e32 v11, 0, v40, vcc
	v_add_u32_e32 v6, v11, v6
	ds_bpermute_b32 v11, v29, v6
	v_cmp_le_u32_e32 vcc, v30, v10
	v_subrev_u32_e32 v4, 64, v4
	s_waitcnt lgkmcnt(0)
	v_cndmask_b32_e32 v11, 0, v11, vcc
	v_add_u32_e32 v6, v6, v11
	ds_bpermute_b32 v11, v31, v6
	v_cmp_le_u32_e32 vcc, v32, v10
	s_waitcnt lgkmcnt(0)
	v_cndmask_b32_e32 v11, 0, v11, vcc
	v_add_u32_e32 v6, v6, v11
	ds_bpermute_b32 v11, v33, v6
	v_cmp_le_u32_e32 vcc, v34, v10
	;; [unrolled: 5-line block ×4, first 2 shown]
	s_waitcnt lgkmcnt(0)
	v_cndmask_b32_e32 v10, 0, v11, vcc
	v_add3_u32 v6, v10, v35, v6
.LBB4648_38:                            ; =>This Loop Header: Depth=1
                                        ;     Child Loop BB4648_41 Depth 2
	v_cmp_ne_u16_sdwa s[18:19], v7, v3 src0_sel:BYTE_0 src1_sel:DWORD
	v_cndmask_b32_e64 v7, 0, 1, s[18:19]
	;;#ASMSTART
	;;#ASMEND
	v_cmp_ne_u32_e32 vcc, 0, v7
	s_cmp_lg_u64 vcc, exec
	v_mov_b32_e32 v35, v6
	s_cbranch_scc1 .LBB4648_43
; %bb.39:                               ;   in Loop: Header=BB4648_38 Depth=1
	v_lshlrev_b64 v[6:7], 3, v[4:5]
	v_mov_b32_e32 v11, s25
	v_add_co_u32_e32 v10, vcc, s24, v6
	v_addc_co_u32_e32 v11, vcc, v11, v7, vcc
	global_load_dwordx2 v[6:7], v[10:11], off glc
	s_waitcnt vmcnt(0)
	v_cmp_eq_u16_sdwa s[20:21], v7, v5 src0_sel:BYTE_0 src1_sel:DWORD
	s_and_saveexec_b64 s[18:19], s[20:21]
	s_cbranch_execz .LBB4648_37
; %bb.40:                               ;   in Loop: Header=BB4648_38 Depth=1
	s_mov_b64 s[20:21], 0
.LBB4648_41:                            ;   Parent Loop BB4648_38 Depth=1
                                        ; =>  This Inner Loop Header: Depth=2
	global_load_dwordx2 v[6:7], v[10:11], off glc
	s_waitcnt vmcnt(0)
	v_cmp_ne_u16_sdwa s[22:23], v7, v5 src0_sel:BYTE_0 src1_sel:DWORD
	s_or_b64 s[20:21], s[22:23], s[20:21]
	s_andn2_b64 exec, exec, s[20:21]
	s_cbranch_execnz .LBB4648_41
; %bb.42:                               ;   in Loop: Header=BB4648_38 Depth=1
	s_or_b64 exec, exec, s[20:21]
	s_branch .LBB4648_37
.LBB4648_43:                            ;   in Loop: Header=BB4648_38 Depth=1
                                        ; implicit-def: $vgpr6
                                        ; implicit-def: $vgpr7
	s_cbranch_execz .LBB4648_38
; %bb.44:
	s_and_saveexec_b64 s[18:19], s[2:3]
	s_cbranch_execz .LBB4648_46
; %bb.45:
	s_add_i32 s2, s6, 64
	s_mov_b32 s3, 0
	s_lshl_b64 s[2:3], s[2:3], 3
	s_add_u32 s2, s24, s2
	v_add_u32_e32 v2, v35, v2
	v_mov_b32_e32 v3, 2
	s_addc_u32 s3, s25, s3
	v_mov_b32_e32 v4, 0
	global_store_dwordx2 v4, v[2:3], s[2:3]
.LBB4648_46:
	s_or_b64 exec, exec, s[18:19]
	s_and_b64 exec, exec, s[0:1]
	s_cbranch_execz .LBB4648_48
; %bb.47:
	v_mov_b32_e32 v2, 0
	ds_write_b32 v2, v35
.LBB4648_48:
	s_or_b64 exec, exec, s[16:17]
	v_mov_b32_e32 v2, 0
	s_waitcnt lgkmcnt(0)
	s_barrier
	ds_read_b32 v2, v2
	s_waitcnt lgkmcnt(0)
	v_add_u32_e32 v2, v2, v26
	v_add_u32_e32 v3, v2, v16
	;; [unrolled: 1-line block ×10, first 2 shown]
	s_load_dwordx8 s[16:23], s[4:5], 0x38
	s_branch .LBB4648_59
.LBB4648_49:
                                        ; implicit-def: $vgpr2_vgpr3_vgpr4_vgpr5_vgpr6_vgpr7_vgpr8_vgpr9_vgpr10_vgpr11
	s_load_dwordx8 s[16:23], s[4:5], 0x38
	s_cbranch_execz .LBB4648_59
; %bb.50:
	s_load_dword s0, s[4:5], 0x20
	s_waitcnt lgkmcnt(0)
	s_cmp_eq_u64 s[20:21], 0
	v_mov_b32_e32 v26, s0
	s_cbranch_scc1 .LBB4648_52
; %bb.51:
	v_mov_b32_e32 v3, s28
	v_add_co_u32_e64 v2, vcc, -4, s27
	v_addc_co_u32_e32 v3, vcc, -1, v3, vcc
	v_mov_b32_e32 v4, 0
	flat_load_dword v5, v[2:3]
	global_load_dword v6, v4, s[16:17]
	s_waitcnt vmcnt(0) lgkmcnt(0)
	v_add_u32_e32 v26, v6, v5
.LBB4648_52:
	v_add3_u32 v2, v25, v12, v13
	v_add3_u32 v2, v2, v14, v15
	;; [unrolled: 1-line block ×3, first 2 shown]
	v_add_lshl_u32 v3, v24, v0, 2
	v_cmp_gt_u32_e32 vcc, 64, v0
	ds_write_b32 v3, v2
	s_waitcnt lgkmcnt(0)
	s_barrier
	s_and_saveexec_b64 s[0:1], vcc
	s_cbranch_execz .LBB4648_54
; %bb.53:
	v_lshlrev_b32_e32 v3, 1, v0
	v_lshrrev_b32_e32 v4, 4, v0
	v_add_lshl_u32 v3, v4, v3, 2
	ds_read2_b32 v[4:5], v3 offset1:1
	v_mbcnt_lo_u32_b32 v6, -1, 0
	v_mbcnt_hi_u32_b32 v6, -1, v6
	v_and_b32_e32 v7, 15, v6
	v_cmp_ne_u32_e32 vcc, 0, v7
	s_waitcnt lgkmcnt(0)
	v_add_u32_e32 v5, v5, v4
	; wave barrier
	s_nop 1
	v_mov_b32_dpp v8, v5 row_shr:1 row_mask:0xf bank_mask:0xf
	v_cndmask_b32_e32 v8, 0, v8, vcc
	v_add_u32_e32 v5, v8, v5
	v_cmp_lt_u32_e32 vcc, 1, v7
	s_nop 0
	v_mov_b32_dpp v8, v5 row_shr:2 row_mask:0xf bank_mask:0xf
	v_cndmask_b32_e32 v8, 0, v8, vcc
	v_add_u32_e32 v5, v5, v8
	v_cmp_lt_u32_e32 vcc, 3, v7
	;; [unrolled: 5-line block ×3, first 2 shown]
	s_nop 0
	v_mov_b32_dpp v8, v5 row_shr:8 row_mask:0xf bank_mask:0xf
	v_cndmask_b32_e32 v7, 0, v8, vcc
	v_add_u32_e32 v5, v5, v7
	v_bfe_i32 v8, v6, 4, 1
	v_cmp_lt_u32_e32 vcc, 31, v6
	v_mov_b32_dpp v7, v5 row_bcast:15 row_mask:0xf bank_mask:0xf
	v_and_b32_e32 v7, v8, v7
	v_add_u32_e32 v5, v5, v7
	v_and_b32_e32 v8, 64, v6
	s_nop 0
	v_mov_b32_dpp v7, v5 row_bcast:31 row_mask:0xf bank_mask:0xf
	v_cndmask_b32_e32 v7, 0, v7, vcc
	v_add_u32_e32 v5, v5, v7
	v_add_u32_e32 v7, -1, v6
	v_cmp_lt_i32_e32 vcc, v7, v8
	v_cndmask_b32_e32 v6, v7, v6, vcc
	v_lshlrev_b32_e32 v6, 2, v6
	ds_bpermute_b32 v5, v6, v5
	v_cmp_eq_u32_e32 vcc, 0, v0
	s_waitcnt lgkmcnt(0)
	v_add_u32_e32 v4, v5, v4
	v_cndmask_b32_e32 v2, v4, v2, vcc
	ds_write_b32 v3, v2
	; wave barrier
	ds_read_b32 v4, v3 offset:4
	s_waitcnt lgkmcnt(0)
	v_add_u32_e32 v2, v4, v2
	ds_write_b32 v3, v2 offset:4
.LBB4648_54:
	s_or_b64 exec, exec, s[0:1]
	v_cmp_eq_u32_e32 vcc, 0, v0
	v_cmp_ne_u32_e64 s[0:1], 0, v0
	v_mov_b32_e32 v2, v26
	s_waitcnt lgkmcnt(0)
	s_barrier
	s_and_saveexec_b64 s[2:3], s[0:1]
	s_cbranch_execz .LBB4648_56
; %bb.55:
	v_add_u32_e32 v2, -1, v0
	v_lshrrev_b32_e32 v3, 5, v2
	v_add_lshl_u32 v2, v3, v2, 2
	ds_read_b32 v2, v2
	s_waitcnt lgkmcnt(0)
	v_add_u32_e32 v2, v2, v26
.LBB4648_56:
	s_or_b64 exec, exec, s[2:3]
	v_add_u32_e32 v3, v2, v16
	v_add_u32_e32 v4, v3, v17
	;; [unrolled: 1-line block ×9, first 2 shown]
	s_and_saveexec_b64 s[0:1], vcc
	s_cbranch_execz .LBB4648_58
; %bb.57:
	v_mov_b32_e32 v14, 0
	ds_read_b32 v12, v14 offset:520
	v_mov_b32_e32 v13, 2
	s_waitcnt lgkmcnt(0)
	v_add_u32_e32 v12, v12, v26
	global_store_dwordx2 v14, v[12:13], s[24:25] offset:512
.LBB4648_58:
	s_or_b64 exec, exec, s[0:1]
.LBB4648_59:
	s_add_u32 s0, s12, s10
	s_addc_u32 s1, s13, s11
	s_add_u32 s2, s0, s14
	s_addc_u32 s3, s1, s15
	s_mov_b64 s[0:1], -1
	s_and_b64 vcc, exec, s[8:9]
	s_waitcnt lgkmcnt(0)
	s_barrier
	s_cbranch_vccz .LBB4648_61
; %bb.60:
	ds_write2_b64 v1, v[2:3], v[4:5] offset1:1
	ds_write2_b64 v1, v[6:7], v[8:9] offset0:2 offset1:3
	ds_write_b64 v1, v[10:11] offset:32
	s_waitcnt lgkmcnt(0)
	s_barrier
	ds_read2st64_b32 v[12:13], v22 offset1:2
	ds_read2st64_b32 v[14:15], v22 offset0:4 offset1:6
	ds_read2st64_b32 v[16:17], v22 offset0:8 offset1:10
	;; [unrolled: 1-line block ×4, first 2 shown]
	v_mov_b32_e32 v25, s3
	v_add_co_u32_e32 v24, vcc, s2, v22
	v_addc_co_u32_e32 v25, vcc, 0, v25, vcc
	s_waitcnt lgkmcnt(4)
	flat_store_dword v[24:25], v12
	flat_store_dword v[24:25], v13 offset:512
	s_waitcnt lgkmcnt(0)
	flat_store_dword v[24:25], v14 offset:1024
	flat_store_dword v[24:25], v15 offset:1536
	;; [unrolled: 1-line block ×6, first 2 shown]
	v_add_co_u32_e32 v12, vcc, 0x1000, v24
	v_addc_co_u32_e32 v13, vcc, 0, v25, vcc
	flat_store_dword v[12:13], v20
	flat_store_dword v[12:13], v21 offset:512
	s_mov_b64 s[0:1], 0
.LBB4648_61:
	s_andn2_b64 vcc, exec, s[0:1]
	s_cbranch_vccnz .LBB4648_117
; %bb.62:
	ds_write2_b64 v1, v[2:3], v[4:5] offset1:1
	ds_write2_b64 v1, v[6:7], v[8:9] offset0:2 offset1:3
	ds_write_b64 v1, v[10:11] offset:32
	s_waitcnt lgkmcnt(0)
	s_barrier
	ds_read2st64_b32 v[2:3], v22 offset1:2
	ds_read2st64_b32 v[6:7], v22 offset0:4 offset1:6
	ds_read2st64_b32 v[4:5], v22 offset0:8 offset1:10
	;; [unrolled: 1-line block ×4, first 2 shown]
	v_mov_b32_e32 v13, s3
	v_add_co_u32_e32 v12, vcc, s2, v22
	v_addc_co_u32_e32 v13, vcc, 0, v13, vcc
	v_mov_b32_e32 v1, 0
	v_cmp_gt_u32_e32 vcc, s7, v0
	s_and_saveexec_b64 s[0:1], vcc
	s_cbranch_execz .LBB4648_64
; %bb.63:
	s_waitcnt lgkmcnt(0)
	flat_store_dword v[12:13], v2
.LBB4648_64:
	s_or_b64 exec, exec, s[0:1]
	v_or_b32_e32 v14, 0x80, v0
	v_cmp_gt_u32_e32 vcc, s7, v14
	s_and_saveexec_b64 s[0:1], vcc
	s_cbranch_execz .LBB4648_66
; %bb.65:
	s_waitcnt lgkmcnt(0)
	flat_store_dword v[12:13], v3 offset:512
.LBB4648_66:
	s_or_b64 exec, exec, s[0:1]
	v_or_b32_e32 v14, 0x100, v0
	v_cmp_gt_u32_e32 vcc, s7, v14
	s_and_saveexec_b64 s[0:1], vcc
	s_cbranch_execz .LBB4648_68
; %bb.67:
	s_waitcnt lgkmcnt(0)
	flat_store_dword v[12:13], v6 offset:1024
.LBB4648_68:
	;; [unrolled: 9-line block ×7, first 2 shown]
	s_or_b64 exec, exec, s[0:1]
	v_or_b32_e32 v14, 0x400, v0
	v_cmp_gt_u32_e32 vcc, s7, v14
	s_and_saveexec_b64 s[0:1], vcc
	s_cbranch_execz .LBB4648_80
; %bb.79:
	v_add_co_u32_e32 v14, vcc, 0x1000, v12
	v_addc_co_u32_e32 v15, vcc, 0, v13, vcc
	s_waitcnt lgkmcnt(0)
	flat_store_dword v[14:15], v10
.LBB4648_80:
	s_or_b64 exec, exec, s[0:1]
	v_or_b32_e32 v14, 0x480, v0
	v_cmp_gt_u32_e32 vcc, s7, v14
	s_and_saveexec_b64 s[0:1], vcc
	s_cbranch_execz .LBB4648_82
; %bb.81:
	v_add_co_u32_e32 v12, vcc, 0x1000, v12
	v_addc_co_u32_e32 v13, vcc, 0, v13, vcc
	s_waitcnt lgkmcnt(0)
	flat_store_dword v[12:13], v11 offset:512
.LBB4648_82:
	s_or_b64 exec, exec, s[0:1]
	v_cmp_lt_u64_e64 s[0:1], s[22:23], 2
	s_and_b64 vcc, exec, s[0:1]
	s_cbranch_vccnz .LBB4648_117
; %bb.83:
	s_add_u32 s0, s7, -1
	s_addc_u32 s1, s26, -1
	s_add_u32 s2, 0, 0x99986000
	s_addc_u32 s3, 0, 0x59
	s_add_i32 s3, s3, 0x19999940
	s_mul_hi_u32 s7, s2, -10
	s_sub_i32 s7, s7, s2
	s_mul_i32 s8, s3, -10
	s_mul_i32 s4, s2, -10
	s_add_i32 s7, s7, s8
	s_mul_hi_u32 s5, s3, s4
	s_mul_i32 s6, s3, s4
	s_mul_i32 s9, s2, s7
	s_mul_hi_u32 s4, s2, s4
	s_mul_hi_u32 s8, s2, s7
	s_add_u32 s4, s4, s9
	s_addc_u32 s8, 0, s8
	s_add_u32 s4, s4, s6
	s_mul_hi_u32 s9, s3, s7
	s_addc_u32 s4, s8, s5
	s_addc_u32 s5, s9, 0
	s_mul_i32 s6, s3, s7
	s_add_u32 s4, s4, s6
	v_mov_b32_e32 v12, s4
	s_addc_u32 s5, 0, s5
	v_add_co_u32_e32 v12, vcc, s2, v12
	s_cmp_lg_u64 vcc, 0
	s_addc_u32 s2, s3, s5
	v_readfirstlane_b32 s5, v12
	s_mul_i32 s4, s0, s2
	s_mul_hi_u32 s6, s0, s5
	s_mul_hi_u32 s3, s0, s2
	s_add_u32 s4, s6, s4
	s_addc_u32 s3, 0, s3
	s_mul_hi_u32 s7, s1, s5
	s_mul_i32 s5, s1, s5
	s_add_u32 s4, s4, s5
	s_mul_hi_u32 s6, s1, s2
	s_addc_u32 s3, s3, s7
	s_addc_u32 s4, s6, 0
	s_mul_i32 s2, s1, s2
	s_add_u32 s2, s3, s2
	s_addc_u32 s3, 0, s4
	s_add_u32 s4, s2, 1
	s_addc_u32 s5, s3, 0
	s_add_u32 s6, s2, 2
	s_mul_i32 s8, s3, 10
	s_mul_hi_u32 s9, s2, 10
	s_addc_u32 s7, s3, 0
	s_add_i32 s9, s9, s8
	s_mul_i32 s8, s2, 10
	v_mov_b32_e32 v12, s8
	v_sub_co_u32_e32 v12, vcc, s0, v12
	s_cmp_lg_u64 vcc, 0
	s_subb_u32 s8, s1, s9
	v_subrev_co_u32_e32 v13, vcc, 10, v12
	s_cmp_lg_u64 vcc, 0
	s_subb_u32 s9, s8, 0
	v_readfirstlane_b32 s10, v13
	s_cmp_gt_u32 s10, 9
	s_cselect_b32 s10, -1, 0
	s_cmp_eq_u32 s9, 0
	s_cselect_b32 s9, s10, -1
	s_cmp_lg_u32 s9, 0
	s_cselect_b32 s4, s6, s4
	v_readfirstlane_b32 s6, v12
	s_cselect_b32 s5, s7, s5
	s_cmp_gt_u32 s6, 9
	s_cselect_b32 s6, -1, 0
	s_cmp_eq_u32 s8, 0
	s_cselect_b32 s6, s6, -1
	s_cmp_lg_u32 s6, 0
	s_cselect_b32 s3, s5, s3
	s_cselect_b32 s2, s4, s2
	v_cmp_eq_u64_e32 vcc, s[2:3], v[0:1]
	s_and_saveexec_b64 s[2:3], vcc
	s_cbranch_execz .LBB4648_117
; %bb.84:
	v_mul_hi_u32_u24_e32 v1, 10, v0
	v_mov_b32_e32 v12, s1
	v_sub_co_u32_e32 v0, vcc, s0, v23
	v_subb_co_u32_e32 v1, vcc, v12, v1, vcc
	v_cmp_lt_i64_e32 vcc, 4, v[0:1]
	s_and_saveexec_b64 s[0:1], vcc
	s_xor_b64 s[0:1], exec, s[0:1]
	s_cbranch_execz .LBB4648_102
; %bb.85:
	v_cmp_lt_i64_e32 vcc, 6, v[0:1]
	s_and_saveexec_b64 s[2:3], vcc
	s_xor_b64 s[2:3], exec, s[2:3]
	s_cbranch_execz .LBB4648_95
; %bb.86:
	;; [unrolled: 5-line block ×4, first 2 shown]
	v_mov_b32_e32 v0, 0
	s_waitcnt lgkmcnt(0)
	global_store_dword v0, v11, s[18:19]
                                        ; implicit-def: $vgpr10_vgpr11
.LBB4648_89:
	s_andn2_saveexec_b64 s[6:7], s[6:7]
	s_cbranch_execz .LBB4648_91
; %bb.90:
	v_mov_b32_e32 v0, 0
	s_waitcnt lgkmcnt(0)
	global_store_dword v0, v10, s[18:19]
.LBB4648_91:
	s_or_b64 exec, exec, s[6:7]
                                        ; implicit-def: $vgpr8_vgpr9
.LBB4648_92:
	s_andn2_saveexec_b64 s[4:5], s[4:5]
	s_cbranch_execz .LBB4648_94
; %bb.93:
	v_mov_b32_e32 v0, 0
	s_waitcnt lgkmcnt(0)
	global_store_dword v0, v9, s[18:19]
.LBB4648_94:
	s_or_b64 exec, exec, s[4:5]
                                        ; implicit-def: $vgpr4_vgpr5
                                        ; implicit-def: $vgpr0_vgpr1
                                        ; implicit-def: $vgpr8_vgpr9
.LBB4648_95:
	s_andn2_saveexec_b64 s[2:3], s[2:3]
	s_cbranch_execz .LBB4648_101
; %bb.96:
	v_cmp_lt_i64_e32 vcc, 5, v[0:1]
	s_and_saveexec_b64 s[4:5], vcc
	s_xor_b64 s[4:5], exec, s[4:5]
	s_cbranch_execz .LBB4648_98
; %bb.97:
	v_mov_b32_e32 v0, 0
	s_waitcnt lgkmcnt(0)
	global_store_dword v0, v8, s[18:19]
                                        ; implicit-def: $vgpr4_vgpr5
.LBB4648_98:
	s_andn2_saveexec_b64 s[4:5], s[4:5]
	s_cbranch_execz .LBB4648_100
; %bb.99:
	v_mov_b32_e32 v0, 0
	s_waitcnt lgkmcnt(0)
	global_store_dword v0, v5, s[18:19]
.LBB4648_100:
	s_or_b64 exec, exec, s[4:5]
.LBB4648_101:
	s_or_b64 exec, exec, s[2:3]
                                        ; implicit-def: $vgpr0_vgpr1
                                        ; implicit-def: $vgpr6_vgpr7
                                        ; implicit-def: $vgpr2_vgpr3
                                        ; implicit-def: $vgpr4_vgpr5
.LBB4648_102:
	s_andn2_saveexec_b64 s[0:1], s[0:1]
	s_cbranch_execz .LBB4648_117
; %bb.103:
	v_cmp_lt_i64_e32 vcc, 2, v[0:1]
	s_and_saveexec_b64 s[0:1], vcc
	s_xor_b64 s[0:1], exec, s[0:1]
	s_cbranch_execz .LBB4648_109
; %bb.104:
	v_cmp_lt_i64_e32 vcc, 3, v[0:1]
	s_and_saveexec_b64 s[2:3], vcc
	s_xor_b64 s[2:3], exec, s[2:3]
	s_cbranch_execz .LBB4648_106
; %bb.105:
	v_mov_b32_e32 v0, 0
	s_waitcnt lgkmcnt(0)
	global_store_dword v0, v4, s[18:19]
                                        ; implicit-def: $vgpr6_vgpr7
.LBB4648_106:
	s_andn2_saveexec_b64 s[2:3], s[2:3]
	s_cbranch_execz .LBB4648_108
; %bb.107:
	v_mov_b32_e32 v0, 0
	s_waitcnt lgkmcnt(0)
	global_store_dword v0, v7, s[18:19]
.LBB4648_108:
	s_or_b64 exec, exec, s[2:3]
                                        ; implicit-def: $vgpr0_vgpr1
                                        ; implicit-def: $vgpr6_vgpr7
                                        ; implicit-def: $vgpr2_vgpr3
.LBB4648_109:
	s_andn2_saveexec_b64 s[0:1], s[0:1]
	s_cbranch_execz .LBB4648_117
; %bb.110:
	v_cmp_lt_i64_e32 vcc, 1, v[0:1]
	s_and_saveexec_b64 s[0:1], vcc
	s_xor_b64 s[0:1], exec, s[0:1]
	s_cbranch_execz .LBB4648_112
; %bb.111:
	v_mov_b32_e32 v0, 0
	s_waitcnt lgkmcnt(0)
	global_store_dword v0, v6, s[18:19]
                                        ; implicit-def: $vgpr2_vgpr3
                                        ; implicit-def: $vgpr0_vgpr1
.LBB4648_112:
	s_andn2_saveexec_b64 s[0:1], s[0:1]
	s_cbranch_execz .LBB4648_117
; %bb.113:
	v_cmp_ne_u64_e32 vcc, 1, v[0:1]
	s_and_saveexec_b64 s[0:1], vcc
	s_xor_b64 s[0:1], exec, s[0:1]
	s_cbranch_execz .LBB4648_115
; %bb.114:
	v_mov_b32_e32 v0, 0
	s_waitcnt lgkmcnt(0)
	global_store_dword v0, v2, s[18:19]
                                        ; implicit-def: $vgpr2_vgpr3
.LBB4648_115:
	s_andn2_saveexec_b64 s[0:1], s[0:1]
	s_cbranch_execz .LBB4648_117
; %bb.116:
	v_mov_b32_e32 v0, 0
	s_waitcnt lgkmcnt(0)
	global_store_dword v0, v3, s[18:19]
.LBB4648_117:
	s_endpgm
	.section	.rodata,"a",@progbits
	.p2align	6, 0x0
	.amdhsa_kernel _ZN7rocprim17ROCPRIM_400000_NS6detail17trampoline_kernelINS0_14default_configENS1_20scan_config_selectorIjEEZZNS1_9scan_implILNS1_25lookback_scan_determinismE0ELb1ELb1ES3_N6thrust23THRUST_200600_302600_NS6detail15normal_iteratorINS9_10device_ptrIjEEEESE_jNS9_4plusIvEEjEEDaPvRmT3_T4_T5_mT6_P12ihipStream_tbENKUlT_T0_E_clISt17integral_constantIbLb0EESU_EEDaSP_SQ_EUlSP_E_NS1_11comp_targetILNS1_3genE4ELNS1_11target_archE910ELNS1_3gpuE8ELNS1_3repE0EEENS1_30default_config_static_selectorELNS0_4arch9wavefront6targetE1EEEvT1_
		.amdhsa_group_segment_fixed_size 5120
		.amdhsa_private_segment_fixed_size 0
		.amdhsa_kernarg_size 96
		.amdhsa_user_sgpr_count 6
		.amdhsa_user_sgpr_private_segment_buffer 1
		.amdhsa_user_sgpr_dispatch_ptr 0
		.amdhsa_user_sgpr_queue_ptr 0
		.amdhsa_user_sgpr_kernarg_segment_ptr 1
		.amdhsa_user_sgpr_dispatch_id 0
		.amdhsa_user_sgpr_flat_scratch_init 0
		.amdhsa_user_sgpr_kernarg_preload_length 0
		.amdhsa_user_sgpr_kernarg_preload_offset 0
		.amdhsa_user_sgpr_private_segment_size 0
		.amdhsa_uses_dynamic_stack 0
		.amdhsa_system_sgpr_private_segment_wavefront_offset 0
		.amdhsa_system_sgpr_workgroup_id_x 1
		.amdhsa_system_sgpr_workgroup_id_y 0
		.amdhsa_system_sgpr_workgroup_id_z 0
		.amdhsa_system_sgpr_workgroup_info 0
		.amdhsa_system_vgpr_workitem_id 0
		.amdhsa_next_free_vgpr 41
		.amdhsa_next_free_sgpr 29
		.amdhsa_accum_offset 44
		.amdhsa_reserve_vcc 1
		.amdhsa_reserve_flat_scratch 0
		.amdhsa_float_round_mode_32 0
		.amdhsa_float_round_mode_16_64 0
		.amdhsa_float_denorm_mode_32 3
		.amdhsa_float_denorm_mode_16_64 3
		.amdhsa_dx10_clamp 1
		.amdhsa_ieee_mode 1
		.amdhsa_fp16_overflow 0
		.amdhsa_tg_split 0
		.amdhsa_exception_fp_ieee_invalid_op 0
		.amdhsa_exception_fp_denorm_src 0
		.amdhsa_exception_fp_ieee_div_zero 0
		.amdhsa_exception_fp_ieee_overflow 0
		.amdhsa_exception_fp_ieee_underflow 0
		.amdhsa_exception_fp_ieee_inexact 0
		.amdhsa_exception_int_div_zero 0
	.end_amdhsa_kernel
	.section	.text._ZN7rocprim17ROCPRIM_400000_NS6detail17trampoline_kernelINS0_14default_configENS1_20scan_config_selectorIjEEZZNS1_9scan_implILNS1_25lookback_scan_determinismE0ELb1ELb1ES3_N6thrust23THRUST_200600_302600_NS6detail15normal_iteratorINS9_10device_ptrIjEEEESE_jNS9_4plusIvEEjEEDaPvRmT3_T4_T5_mT6_P12ihipStream_tbENKUlT_T0_E_clISt17integral_constantIbLb0EESU_EEDaSP_SQ_EUlSP_E_NS1_11comp_targetILNS1_3genE4ELNS1_11target_archE910ELNS1_3gpuE8ELNS1_3repE0EEENS1_30default_config_static_selectorELNS0_4arch9wavefront6targetE1EEEvT1_,"axG",@progbits,_ZN7rocprim17ROCPRIM_400000_NS6detail17trampoline_kernelINS0_14default_configENS1_20scan_config_selectorIjEEZZNS1_9scan_implILNS1_25lookback_scan_determinismE0ELb1ELb1ES3_N6thrust23THRUST_200600_302600_NS6detail15normal_iteratorINS9_10device_ptrIjEEEESE_jNS9_4plusIvEEjEEDaPvRmT3_T4_T5_mT6_P12ihipStream_tbENKUlT_T0_E_clISt17integral_constantIbLb0EESU_EEDaSP_SQ_EUlSP_E_NS1_11comp_targetILNS1_3genE4ELNS1_11target_archE910ELNS1_3gpuE8ELNS1_3repE0EEENS1_30default_config_static_selectorELNS0_4arch9wavefront6targetE1EEEvT1_,comdat
.Lfunc_end4648:
	.size	_ZN7rocprim17ROCPRIM_400000_NS6detail17trampoline_kernelINS0_14default_configENS1_20scan_config_selectorIjEEZZNS1_9scan_implILNS1_25lookback_scan_determinismE0ELb1ELb1ES3_N6thrust23THRUST_200600_302600_NS6detail15normal_iteratorINS9_10device_ptrIjEEEESE_jNS9_4plusIvEEjEEDaPvRmT3_T4_T5_mT6_P12ihipStream_tbENKUlT_T0_E_clISt17integral_constantIbLb0EESU_EEDaSP_SQ_EUlSP_E_NS1_11comp_targetILNS1_3genE4ELNS1_11target_archE910ELNS1_3gpuE8ELNS1_3repE0EEENS1_30default_config_static_selectorELNS0_4arch9wavefront6targetE1EEEvT1_, .Lfunc_end4648-_ZN7rocprim17ROCPRIM_400000_NS6detail17trampoline_kernelINS0_14default_configENS1_20scan_config_selectorIjEEZZNS1_9scan_implILNS1_25lookback_scan_determinismE0ELb1ELb1ES3_N6thrust23THRUST_200600_302600_NS6detail15normal_iteratorINS9_10device_ptrIjEEEESE_jNS9_4plusIvEEjEEDaPvRmT3_T4_T5_mT6_P12ihipStream_tbENKUlT_T0_E_clISt17integral_constantIbLb0EESU_EEDaSP_SQ_EUlSP_E_NS1_11comp_targetILNS1_3genE4ELNS1_11target_archE910ELNS1_3gpuE8ELNS1_3repE0EEENS1_30default_config_static_selectorELNS0_4arch9wavefront6targetE1EEEvT1_
                                        ; -- End function
	.section	.AMDGPU.csdata,"",@progbits
; Kernel info:
; codeLenInByte = 4404
; NumSgprs: 33
; NumVgprs: 41
; NumAgprs: 0
; TotalNumVgprs: 41
; ScratchSize: 0
; MemoryBound: 0
; FloatMode: 240
; IeeeMode: 1
; LDSByteSize: 5120 bytes/workgroup (compile time only)
; SGPRBlocks: 4
; VGPRBlocks: 5
; NumSGPRsForWavesPerEU: 33
; NumVGPRsForWavesPerEU: 41
; AccumOffset: 44
; Occupancy: 6
; WaveLimiterHint : 1
; COMPUTE_PGM_RSRC2:SCRATCH_EN: 0
; COMPUTE_PGM_RSRC2:USER_SGPR: 6
; COMPUTE_PGM_RSRC2:TRAP_HANDLER: 0
; COMPUTE_PGM_RSRC2:TGID_X_EN: 1
; COMPUTE_PGM_RSRC2:TGID_Y_EN: 0
; COMPUTE_PGM_RSRC2:TGID_Z_EN: 0
; COMPUTE_PGM_RSRC2:TIDIG_COMP_CNT: 0
; COMPUTE_PGM_RSRC3_GFX90A:ACCUM_OFFSET: 10
; COMPUTE_PGM_RSRC3_GFX90A:TG_SPLIT: 0
	.section	.text._ZN7rocprim17ROCPRIM_400000_NS6detail17trampoline_kernelINS0_14default_configENS1_20scan_config_selectorIjEEZZNS1_9scan_implILNS1_25lookback_scan_determinismE0ELb1ELb1ES3_N6thrust23THRUST_200600_302600_NS6detail15normal_iteratorINS9_10device_ptrIjEEEESE_jNS9_4plusIvEEjEEDaPvRmT3_T4_T5_mT6_P12ihipStream_tbENKUlT_T0_E_clISt17integral_constantIbLb0EESU_EEDaSP_SQ_EUlSP_E_NS1_11comp_targetILNS1_3genE3ELNS1_11target_archE908ELNS1_3gpuE7ELNS1_3repE0EEENS1_30default_config_static_selectorELNS0_4arch9wavefront6targetE1EEEvT1_,"axG",@progbits,_ZN7rocprim17ROCPRIM_400000_NS6detail17trampoline_kernelINS0_14default_configENS1_20scan_config_selectorIjEEZZNS1_9scan_implILNS1_25lookback_scan_determinismE0ELb1ELb1ES3_N6thrust23THRUST_200600_302600_NS6detail15normal_iteratorINS9_10device_ptrIjEEEESE_jNS9_4plusIvEEjEEDaPvRmT3_T4_T5_mT6_P12ihipStream_tbENKUlT_T0_E_clISt17integral_constantIbLb0EESU_EEDaSP_SQ_EUlSP_E_NS1_11comp_targetILNS1_3genE3ELNS1_11target_archE908ELNS1_3gpuE7ELNS1_3repE0EEENS1_30default_config_static_selectorELNS0_4arch9wavefront6targetE1EEEvT1_,comdat
	.protected	_ZN7rocprim17ROCPRIM_400000_NS6detail17trampoline_kernelINS0_14default_configENS1_20scan_config_selectorIjEEZZNS1_9scan_implILNS1_25lookback_scan_determinismE0ELb1ELb1ES3_N6thrust23THRUST_200600_302600_NS6detail15normal_iteratorINS9_10device_ptrIjEEEESE_jNS9_4plusIvEEjEEDaPvRmT3_T4_T5_mT6_P12ihipStream_tbENKUlT_T0_E_clISt17integral_constantIbLb0EESU_EEDaSP_SQ_EUlSP_E_NS1_11comp_targetILNS1_3genE3ELNS1_11target_archE908ELNS1_3gpuE7ELNS1_3repE0EEENS1_30default_config_static_selectorELNS0_4arch9wavefront6targetE1EEEvT1_ ; -- Begin function _ZN7rocprim17ROCPRIM_400000_NS6detail17trampoline_kernelINS0_14default_configENS1_20scan_config_selectorIjEEZZNS1_9scan_implILNS1_25lookback_scan_determinismE0ELb1ELb1ES3_N6thrust23THRUST_200600_302600_NS6detail15normal_iteratorINS9_10device_ptrIjEEEESE_jNS9_4plusIvEEjEEDaPvRmT3_T4_T5_mT6_P12ihipStream_tbENKUlT_T0_E_clISt17integral_constantIbLb0EESU_EEDaSP_SQ_EUlSP_E_NS1_11comp_targetILNS1_3genE3ELNS1_11target_archE908ELNS1_3gpuE7ELNS1_3repE0EEENS1_30default_config_static_selectorELNS0_4arch9wavefront6targetE1EEEvT1_
	.globl	_ZN7rocprim17ROCPRIM_400000_NS6detail17trampoline_kernelINS0_14default_configENS1_20scan_config_selectorIjEEZZNS1_9scan_implILNS1_25lookback_scan_determinismE0ELb1ELb1ES3_N6thrust23THRUST_200600_302600_NS6detail15normal_iteratorINS9_10device_ptrIjEEEESE_jNS9_4plusIvEEjEEDaPvRmT3_T4_T5_mT6_P12ihipStream_tbENKUlT_T0_E_clISt17integral_constantIbLb0EESU_EEDaSP_SQ_EUlSP_E_NS1_11comp_targetILNS1_3genE3ELNS1_11target_archE908ELNS1_3gpuE7ELNS1_3repE0EEENS1_30default_config_static_selectorELNS0_4arch9wavefront6targetE1EEEvT1_
	.p2align	8
	.type	_ZN7rocprim17ROCPRIM_400000_NS6detail17trampoline_kernelINS0_14default_configENS1_20scan_config_selectorIjEEZZNS1_9scan_implILNS1_25lookback_scan_determinismE0ELb1ELb1ES3_N6thrust23THRUST_200600_302600_NS6detail15normal_iteratorINS9_10device_ptrIjEEEESE_jNS9_4plusIvEEjEEDaPvRmT3_T4_T5_mT6_P12ihipStream_tbENKUlT_T0_E_clISt17integral_constantIbLb0EESU_EEDaSP_SQ_EUlSP_E_NS1_11comp_targetILNS1_3genE3ELNS1_11target_archE908ELNS1_3gpuE7ELNS1_3repE0EEENS1_30default_config_static_selectorELNS0_4arch9wavefront6targetE1EEEvT1_,@function
_ZN7rocprim17ROCPRIM_400000_NS6detail17trampoline_kernelINS0_14default_configENS1_20scan_config_selectorIjEEZZNS1_9scan_implILNS1_25lookback_scan_determinismE0ELb1ELb1ES3_N6thrust23THRUST_200600_302600_NS6detail15normal_iteratorINS9_10device_ptrIjEEEESE_jNS9_4plusIvEEjEEDaPvRmT3_T4_T5_mT6_P12ihipStream_tbENKUlT_T0_E_clISt17integral_constantIbLb0EESU_EEDaSP_SQ_EUlSP_E_NS1_11comp_targetILNS1_3genE3ELNS1_11target_archE908ELNS1_3gpuE7ELNS1_3repE0EEENS1_30default_config_static_selectorELNS0_4arch9wavefront6targetE1EEEvT1_: ; @_ZN7rocprim17ROCPRIM_400000_NS6detail17trampoline_kernelINS0_14default_configENS1_20scan_config_selectorIjEEZZNS1_9scan_implILNS1_25lookback_scan_determinismE0ELb1ELb1ES3_N6thrust23THRUST_200600_302600_NS6detail15normal_iteratorINS9_10device_ptrIjEEEESE_jNS9_4plusIvEEjEEDaPvRmT3_T4_T5_mT6_P12ihipStream_tbENKUlT_T0_E_clISt17integral_constantIbLb0EESU_EEDaSP_SQ_EUlSP_E_NS1_11comp_targetILNS1_3genE3ELNS1_11target_archE908ELNS1_3gpuE7ELNS1_3repE0EEENS1_30default_config_static_selectorELNS0_4arch9wavefront6targetE1EEEvT1_
; %bb.0:
	.section	.rodata,"a",@progbits
	.p2align	6, 0x0
	.amdhsa_kernel _ZN7rocprim17ROCPRIM_400000_NS6detail17trampoline_kernelINS0_14default_configENS1_20scan_config_selectorIjEEZZNS1_9scan_implILNS1_25lookback_scan_determinismE0ELb1ELb1ES3_N6thrust23THRUST_200600_302600_NS6detail15normal_iteratorINS9_10device_ptrIjEEEESE_jNS9_4plusIvEEjEEDaPvRmT3_T4_T5_mT6_P12ihipStream_tbENKUlT_T0_E_clISt17integral_constantIbLb0EESU_EEDaSP_SQ_EUlSP_E_NS1_11comp_targetILNS1_3genE3ELNS1_11target_archE908ELNS1_3gpuE7ELNS1_3repE0EEENS1_30default_config_static_selectorELNS0_4arch9wavefront6targetE1EEEvT1_
		.amdhsa_group_segment_fixed_size 0
		.amdhsa_private_segment_fixed_size 0
		.amdhsa_kernarg_size 96
		.amdhsa_user_sgpr_count 6
		.amdhsa_user_sgpr_private_segment_buffer 1
		.amdhsa_user_sgpr_dispatch_ptr 0
		.amdhsa_user_sgpr_queue_ptr 0
		.amdhsa_user_sgpr_kernarg_segment_ptr 1
		.amdhsa_user_sgpr_dispatch_id 0
		.amdhsa_user_sgpr_flat_scratch_init 0
		.amdhsa_user_sgpr_kernarg_preload_length 0
		.amdhsa_user_sgpr_kernarg_preload_offset 0
		.amdhsa_user_sgpr_private_segment_size 0
		.amdhsa_uses_dynamic_stack 0
		.amdhsa_system_sgpr_private_segment_wavefront_offset 0
		.amdhsa_system_sgpr_workgroup_id_x 1
		.amdhsa_system_sgpr_workgroup_id_y 0
		.amdhsa_system_sgpr_workgroup_id_z 0
		.amdhsa_system_sgpr_workgroup_info 0
		.amdhsa_system_vgpr_workitem_id 0
		.amdhsa_next_free_vgpr 1
		.amdhsa_next_free_sgpr 0
		.amdhsa_accum_offset 4
		.amdhsa_reserve_vcc 0
		.amdhsa_reserve_flat_scratch 0
		.amdhsa_float_round_mode_32 0
		.amdhsa_float_round_mode_16_64 0
		.amdhsa_float_denorm_mode_32 3
		.amdhsa_float_denorm_mode_16_64 3
		.amdhsa_dx10_clamp 1
		.amdhsa_ieee_mode 1
		.amdhsa_fp16_overflow 0
		.amdhsa_tg_split 0
		.amdhsa_exception_fp_ieee_invalid_op 0
		.amdhsa_exception_fp_denorm_src 0
		.amdhsa_exception_fp_ieee_div_zero 0
		.amdhsa_exception_fp_ieee_overflow 0
		.amdhsa_exception_fp_ieee_underflow 0
		.amdhsa_exception_fp_ieee_inexact 0
		.amdhsa_exception_int_div_zero 0
	.end_amdhsa_kernel
	.section	.text._ZN7rocprim17ROCPRIM_400000_NS6detail17trampoline_kernelINS0_14default_configENS1_20scan_config_selectorIjEEZZNS1_9scan_implILNS1_25lookback_scan_determinismE0ELb1ELb1ES3_N6thrust23THRUST_200600_302600_NS6detail15normal_iteratorINS9_10device_ptrIjEEEESE_jNS9_4plusIvEEjEEDaPvRmT3_T4_T5_mT6_P12ihipStream_tbENKUlT_T0_E_clISt17integral_constantIbLb0EESU_EEDaSP_SQ_EUlSP_E_NS1_11comp_targetILNS1_3genE3ELNS1_11target_archE908ELNS1_3gpuE7ELNS1_3repE0EEENS1_30default_config_static_selectorELNS0_4arch9wavefront6targetE1EEEvT1_,"axG",@progbits,_ZN7rocprim17ROCPRIM_400000_NS6detail17trampoline_kernelINS0_14default_configENS1_20scan_config_selectorIjEEZZNS1_9scan_implILNS1_25lookback_scan_determinismE0ELb1ELb1ES3_N6thrust23THRUST_200600_302600_NS6detail15normal_iteratorINS9_10device_ptrIjEEEESE_jNS9_4plusIvEEjEEDaPvRmT3_T4_T5_mT6_P12ihipStream_tbENKUlT_T0_E_clISt17integral_constantIbLb0EESU_EEDaSP_SQ_EUlSP_E_NS1_11comp_targetILNS1_3genE3ELNS1_11target_archE908ELNS1_3gpuE7ELNS1_3repE0EEENS1_30default_config_static_selectorELNS0_4arch9wavefront6targetE1EEEvT1_,comdat
.Lfunc_end4649:
	.size	_ZN7rocprim17ROCPRIM_400000_NS6detail17trampoline_kernelINS0_14default_configENS1_20scan_config_selectorIjEEZZNS1_9scan_implILNS1_25lookback_scan_determinismE0ELb1ELb1ES3_N6thrust23THRUST_200600_302600_NS6detail15normal_iteratorINS9_10device_ptrIjEEEESE_jNS9_4plusIvEEjEEDaPvRmT3_T4_T5_mT6_P12ihipStream_tbENKUlT_T0_E_clISt17integral_constantIbLb0EESU_EEDaSP_SQ_EUlSP_E_NS1_11comp_targetILNS1_3genE3ELNS1_11target_archE908ELNS1_3gpuE7ELNS1_3repE0EEENS1_30default_config_static_selectorELNS0_4arch9wavefront6targetE1EEEvT1_, .Lfunc_end4649-_ZN7rocprim17ROCPRIM_400000_NS6detail17trampoline_kernelINS0_14default_configENS1_20scan_config_selectorIjEEZZNS1_9scan_implILNS1_25lookback_scan_determinismE0ELb1ELb1ES3_N6thrust23THRUST_200600_302600_NS6detail15normal_iteratorINS9_10device_ptrIjEEEESE_jNS9_4plusIvEEjEEDaPvRmT3_T4_T5_mT6_P12ihipStream_tbENKUlT_T0_E_clISt17integral_constantIbLb0EESU_EEDaSP_SQ_EUlSP_E_NS1_11comp_targetILNS1_3genE3ELNS1_11target_archE908ELNS1_3gpuE7ELNS1_3repE0EEENS1_30default_config_static_selectorELNS0_4arch9wavefront6targetE1EEEvT1_
                                        ; -- End function
	.section	.AMDGPU.csdata,"",@progbits
; Kernel info:
; codeLenInByte = 0
; NumSgprs: 4
; NumVgprs: 0
; NumAgprs: 0
; TotalNumVgprs: 0
; ScratchSize: 0
; MemoryBound: 0
; FloatMode: 240
; IeeeMode: 1
; LDSByteSize: 0 bytes/workgroup (compile time only)
; SGPRBlocks: 0
; VGPRBlocks: 0
; NumSGPRsForWavesPerEU: 4
; NumVGPRsForWavesPerEU: 1
; AccumOffset: 4
; Occupancy: 8
; WaveLimiterHint : 0
; COMPUTE_PGM_RSRC2:SCRATCH_EN: 0
; COMPUTE_PGM_RSRC2:USER_SGPR: 6
; COMPUTE_PGM_RSRC2:TRAP_HANDLER: 0
; COMPUTE_PGM_RSRC2:TGID_X_EN: 1
; COMPUTE_PGM_RSRC2:TGID_Y_EN: 0
; COMPUTE_PGM_RSRC2:TGID_Z_EN: 0
; COMPUTE_PGM_RSRC2:TIDIG_COMP_CNT: 0
; COMPUTE_PGM_RSRC3_GFX90A:ACCUM_OFFSET: 0
; COMPUTE_PGM_RSRC3_GFX90A:TG_SPLIT: 0
	.section	.text._ZN7rocprim17ROCPRIM_400000_NS6detail17trampoline_kernelINS0_14default_configENS1_20scan_config_selectorIjEEZZNS1_9scan_implILNS1_25lookback_scan_determinismE0ELb1ELb1ES3_N6thrust23THRUST_200600_302600_NS6detail15normal_iteratorINS9_10device_ptrIjEEEESE_jNS9_4plusIvEEjEEDaPvRmT3_T4_T5_mT6_P12ihipStream_tbENKUlT_T0_E_clISt17integral_constantIbLb0EESU_EEDaSP_SQ_EUlSP_E_NS1_11comp_targetILNS1_3genE2ELNS1_11target_archE906ELNS1_3gpuE6ELNS1_3repE0EEENS1_30default_config_static_selectorELNS0_4arch9wavefront6targetE1EEEvT1_,"axG",@progbits,_ZN7rocprim17ROCPRIM_400000_NS6detail17trampoline_kernelINS0_14default_configENS1_20scan_config_selectorIjEEZZNS1_9scan_implILNS1_25lookback_scan_determinismE0ELb1ELb1ES3_N6thrust23THRUST_200600_302600_NS6detail15normal_iteratorINS9_10device_ptrIjEEEESE_jNS9_4plusIvEEjEEDaPvRmT3_T4_T5_mT6_P12ihipStream_tbENKUlT_T0_E_clISt17integral_constantIbLb0EESU_EEDaSP_SQ_EUlSP_E_NS1_11comp_targetILNS1_3genE2ELNS1_11target_archE906ELNS1_3gpuE6ELNS1_3repE0EEENS1_30default_config_static_selectorELNS0_4arch9wavefront6targetE1EEEvT1_,comdat
	.protected	_ZN7rocprim17ROCPRIM_400000_NS6detail17trampoline_kernelINS0_14default_configENS1_20scan_config_selectorIjEEZZNS1_9scan_implILNS1_25lookback_scan_determinismE0ELb1ELb1ES3_N6thrust23THRUST_200600_302600_NS6detail15normal_iteratorINS9_10device_ptrIjEEEESE_jNS9_4plusIvEEjEEDaPvRmT3_T4_T5_mT6_P12ihipStream_tbENKUlT_T0_E_clISt17integral_constantIbLb0EESU_EEDaSP_SQ_EUlSP_E_NS1_11comp_targetILNS1_3genE2ELNS1_11target_archE906ELNS1_3gpuE6ELNS1_3repE0EEENS1_30default_config_static_selectorELNS0_4arch9wavefront6targetE1EEEvT1_ ; -- Begin function _ZN7rocprim17ROCPRIM_400000_NS6detail17trampoline_kernelINS0_14default_configENS1_20scan_config_selectorIjEEZZNS1_9scan_implILNS1_25lookback_scan_determinismE0ELb1ELb1ES3_N6thrust23THRUST_200600_302600_NS6detail15normal_iteratorINS9_10device_ptrIjEEEESE_jNS9_4plusIvEEjEEDaPvRmT3_T4_T5_mT6_P12ihipStream_tbENKUlT_T0_E_clISt17integral_constantIbLb0EESU_EEDaSP_SQ_EUlSP_E_NS1_11comp_targetILNS1_3genE2ELNS1_11target_archE906ELNS1_3gpuE6ELNS1_3repE0EEENS1_30default_config_static_selectorELNS0_4arch9wavefront6targetE1EEEvT1_
	.globl	_ZN7rocprim17ROCPRIM_400000_NS6detail17trampoline_kernelINS0_14default_configENS1_20scan_config_selectorIjEEZZNS1_9scan_implILNS1_25lookback_scan_determinismE0ELb1ELb1ES3_N6thrust23THRUST_200600_302600_NS6detail15normal_iteratorINS9_10device_ptrIjEEEESE_jNS9_4plusIvEEjEEDaPvRmT3_T4_T5_mT6_P12ihipStream_tbENKUlT_T0_E_clISt17integral_constantIbLb0EESU_EEDaSP_SQ_EUlSP_E_NS1_11comp_targetILNS1_3genE2ELNS1_11target_archE906ELNS1_3gpuE6ELNS1_3repE0EEENS1_30default_config_static_selectorELNS0_4arch9wavefront6targetE1EEEvT1_
	.p2align	8
	.type	_ZN7rocprim17ROCPRIM_400000_NS6detail17trampoline_kernelINS0_14default_configENS1_20scan_config_selectorIjEEZZNS1_9scan_implILNS1_25lookback_scan_determinismE0ELb1ELb1ES3_N6thrust23THRUST_200600_302600_NS6detail15normal_iteratorINS9_10device_ptrIjEEEESE_jNS9_4plusIvEEjEEDaPvRmT3_T4_T5_mT6_P12ihipStream_tbENKUlT_T0_E_clISt17integral_constantIbLb0EESU_EEDaSP_SQ_EUlSP_E_NS1_11comp_targetILNS1_3genE2ELNS1_11target_archE906ELNS1_3gpuE6ELNS1_3repE0EEENS1_30default_config_static_selectorELNS0_4arch9wavefront6targetE1EEEvT1_,@function
_ZN7rocprim17ROCPRIM_400000_NS6detail17trampoline_kernelINS0_14default_configENS1_20scan_config_selectorIjEEZZNS1_9scan_implILNS1_25lookback_scan_determinismE0ELb1ELb1ES3_N6thrust23THRUST_200600_302600_NS6detail15normal_iteratorINS9_10device_ptrIjEEEESE_jNS9_4plusIvEEjEEDaPvRmT3_T4_T5_mT6_P12ihipStream_tbENKUlT_T0_E_clISt17integral_constantIbLb0EESU_EEDaSP_SQ_EUlSP_E_NS1_11comp_targetILNS1_3genE2ELNS1_11target_archE906ELNS1_3gpuE6ELNS1_3repE0EEENS1_30default_config_static_selectorELNS0_4arch9wavefront6targetE1EEEvT1_: ; @_ZN7rocprim17ROCPRIM_400000_NS6detail17trampoline_kernelINS0_14default_configENS1_20scan_config_selectorIjEEZZNS1_9scan_implILNS1_25lookback_scan_determinismE0ELb1ELb1ES3_N6thrust23THRUST_200600_302600_NS6detail15normal_iteratorINS9_10device_ptrIjEEEESE_jNS9_4plusIvEEjEEDaPvRmT3_T4_T5_mT6_P12ihipStream_tbENKUlT_T0_E_clISt17integral_constantIbLb0EESU_EEDaSP_SQ_EUlSP_E_NS1_11comp_targetILNS1_3genE2ELNS1_11target_archE906ELNS1_3gpuE6ELNS1_3repE0EEENS1_30default_config_static_selectorELNS0_4arch9wavefront6targetE1EEEvT1_
; %bb.0:
	.section	.rodata,"a",@progbits
	.p2align	6, 0x0
	.amdhsa_kernel _ZN7rocprim17ROCPRIM_400000_NS6detail17trampoline_kernelINS0_14default_configENS1_20scan_config_selectorIjEEZZNS1_9scan_implILNS1_25lookback_scan_determinismE0ELb1ELb1ES3_N6thrust23THRUST_200600_302600_NS6detail15normal_iteratorINS9_10device_ptrIjEEEESE_jNS9_4plusIvEEjEEDaPvRmT3_T4_T5_mT6_P12ihipStream_tbENKUlT_T0_E_clISt17integral_constantIbLb0EESU_EEDaSP_SQ_EUlSP_E_NS1_11comp_targetILNS1_3genE2ELNS1_11target_archE906ELNS1_3gpuE6ELNS1_3repE0EEENS1_30default_config_static_selectorELNS0_4arch9wavefront6targetE1EEEvT1_
		.amdhsa_group_segment_fixed_size 0
		.amdhsa_private_segment_fixed_size 0
		.amdhsa_kernarg_size 96
		.amdhsa_user_sgpr_count 6
		.amdhsa_user_sgpr_private_segment_buffer 1
		.amdhsa_user_sgpr_dispatch_ptr 0
		.amdhsa_user_sgpr_queue_ptr 0
		.amdhsa_user_sgpr_kernarg_segment_ptr 1
		.amdhsa_user_sgpr_dispatch_id 0
		.amdhsa_user_sgpr_flat_scratch_init 0
		.amdhsa_user_sgpr_kernarg_preload_length 0
		.amdhsa_user_sgpr_kernarg_preload_offset 0
		.amdhsa_user_sgpr_private_segment_size 0
		.amdhsa_uses_dynamic_stack 0
		.amdhsa_system_sgpr_private_segment_wavefront_offset 0
		.amdhsa_system_sgpr_workgroup_id_x 1
		.amdhsa_system_sgpr_workgroup_id_y 0
		.amdhsa_system_sgpr_workgroup_id_z 0
		.amdhsa_system_sgpr_workgroup_info 0
		.amdhsa_system_vgpr_workitem_id 0
		.amdhsa_next_free_vgpr 1
		.amdhsa_next_free_sgpr 0
		.amdhsa_accum_offset 4
		.amdhsa_reserve_vcc 0
		.amdhsa_reserve_flat_scratch 0
		.amdhsa_float_round_mode_32 0
		.amdhsa_float_round_mode_16_64 0
		.amdhsa_float_denorm_mode_32 3
		.amdhsa_float_denorm_mode_16_64 3
		.amdhsa_dx10_clamp 1
		.amdhsa_ieee_mode 1
		.amdhsa_fp16_overflow 0
		.amdhsa_tg_split 0
		.amdhsa_exception_fp_ieee_invalid_op 0
		.amdhsa_exception_fp_denorm_src 0
		.amdhsa_exception_fp_ieee_div_zero 0
		.amdhsa_exception_fp_ieee_overflow 0
		.amdhsa_exception_fp_ieee_underflow 0
		.amdhsa_exception_fp_ieee_inexact 0
		.amdhsa_exception_int_div_zero 0
	.end_amdhsa_kernel
	.section	.text._ZN7rocprim17ROCPRIM_400000_NS6detail17trampoline_kernelINS0_14default_configENS1_20scan_config_selectorIjEEZZNS1_9scan_implILNS1_25lookback_scan_determinismE0ELb1ELb1ES3_N6thrust23THRUST_200600_302600_NS6detail15normal_iteratorINS9_10device_ptrIjEEEESE_jNS9_4plusIvEEjEEDaPvRmT3_T4_T5_mT6_P12ihipStream_tbENKUlT_T0_E_clISt17integral_constantIbLb0EESU_EEDaSP_SQ_EUlSP_E_NS1_11comp_targetILNS1_3genE2ELNS1_11target_archE906ELNS1_3gpuE6ELNS1_3repE0EEENS1_30default_config_static_selectorELNS0_4arch9wavefront6targetE1EEEvT1_,"axG",@progbits,_ZN7rocprim17ROCPRIM_400000_NS6detail17trampoline_kernelINS0_14default_configENS1_20scan_config_selectorIjEEZZNS1_9scan_implILNS1_25lookback_scan_determinismE0ELb1ELb1ES3_N6thrust23THRUST_200600_302600_NS6detail15normal_iteratorINS9_10device_ptrIjEEEESE_jNS9_4plusIvEEjEEDaPvRmT3_T4_T5_mT6_P12ihipStream_tbENKUlT_T0_E_clISt17integral_constantIbLb0EESU_EEDaSP_SQ_EUlSP_E_NS1_11comp_targetILNS1_3genE2ELNS1_11target_archE906ELNS1_3gpuE6ELNS1_3repE0EEENS1_30default_config_static_selectorELNS0_4arch9wavefront6targetE1EEEvT1_,comdat
.Lfunc_end4650:
	.size	_ZN7rocprim17ROCPRIM_400000_NS6detail17trampoline_kernelINS0_14default_configENS1_20scan_config_selectorIjEEZZNS1_9scan_implILNS1_25lookback_scan_determinismE0ELb1ELb1ES3_N6thrust23THRUST_200600_302600_NS6detail15normal_iteratorINS9_10device_ptrIjEEEESE_jNS9_4plusIvEEjEEDaPvRmT3_T4_T5_mT6_P12ihipStream_tbENKUlT_T0_E_clISt17integral_constantIbLb0EESU_EEDaSP_SQ_EUlSP_E_NS1_11comp_targetILNS1_3genE2ELNS1_11target_archE906ELNS1_3gpuE6ELNS1_3repE0EEENS1_30default_config_static_selectorELNS0_4arch9wavefront6targetE1EEEvT1_, .Lfunc_end4650-_ZN7rocprim17ROCPRIM_400000_NS6detail17trampoline_kernelINS0_14default_configENS1_20scan_config_selectorIjEEZZNS1_9scan_implILNS1_25lookback_scan_determinismE0ELb1ELb1ES3_N6thrust23THRUST_200600_302600_NS6detail15normal_iteratorINS9_10device_ptrIjEEEESE_jNS9_4plusIvEEjEEDaPvRmT3_T4_T5_mT6_P12ihipStream_tbENKUlT_T0_E_clISt17integral_constantIbLb0EESU_EEDaSP_SQ_EUlSP_E_NS1_11comp_targetILNS1_3genE2ELNS1_11target_archE906ELNS1_3gpuE6ELNS1_3repE0EEENS1_30default_config_static_selectorELNS0_4arch9wavefront6targetE1EEEvT1_
                                        ; -- End function
	.section	.AMDGPU.csdata,"",@progbits
; Kernel info:
; codeLenInByte = 0
; NumSgprs: 4
; NumVgprs: 0
; NumAgprs: 0
; TotalNumVgprs: 0
; ScratchSize: 0
; MemoryBound: 0
; FloatMode: 240
; IeeeMode: 1
; LDSByteSize: 0 bytes/workgroup (compile time only)
; SGPRBlocks: 0
; VGPRBlocks: 0
; NumSGPRsForWavesPerEU: 4
; NumVGPRsForWavesPerEU: 1
; AccumOffset: 4
; Occupancy: 8
; WaveLimiterHint : 0
; COMPUTE_PGM_RSRC2:SCRATCH_EN: 0
; COMPUTE_PGM_RSRC2:USER_SGPR: 6
; COMPUTE_PGM_RSRC2:TRAP_HANDLER: 0
; COMPUTE_PGM_RSRC2:TGID_X_EN: 1
; COMPUTE_PGM_RSRC2:TGID_Y_EN: 0
; COMPUTE_PGM_RSRC2:TGID_Z_EN: 0
; COMPUTE_PGM_RSRC2:TIDIG_COMP_CNT: 0
; COMPUTE_PGM_RSRC3_GFX90A:ACCUM_OFFSET: 0
; COMPUTE_PGM_RSRC3_GFX90A:TG_SPLIT: 0
	.section	.text._ZN7rocprim17ROCPRIM_400000_NS6detail17trampoline_kernelINS0_14default_configENS1_20scan_config_selectorIjEEZZNS1_9scan_implILNS1_25lookback_scan_determinismE0ELb1ELb1ES3_N6thrust23THRUST_200600_302600_NS6detail15normal_iteratorINS9_10device_ptrIjEEEESE_jNS9_4plusIvEEjEEDaPvRmT3_T4_T5_mT6_P12ihipStream_tbENKUlT_T0_E_clISt17integral_constantIbLb0EESU_EEDaSP_SQ_EUlSP_E_NS1_11comp_targetILNS1_3genE10ELNS1_11target_archE1201ELNS1_3gpuE5ELNS1_3repE0EEENS1_30default_config_static_selectorELNS0_4arch9wavefront6targetE1EEEvT1_,"axG",@progbits,_ZN7rocprim17ROCPRIM_400000_NS6detail17trampoline_kernelINS0_14default_configENS1_20scan_config_selectorIjEEZZNS1_9scan_implILNS1_25lookback_scan_determinismE0ELb1ELb1ES3_N6thrust23THRUST_200600_302600_NS6detail15normal_iteratorINS9_10device_ptrIjEEEESE_jNS9_4plusIvEEjEEDaPvRmT3_T4_T5_mT6_P12ihipStream_tbENKUlT_T0_E_clISt17integral_constantIbLb0EESU_EEDaSP_SQ_EUlSP_E_NS1_11comp_targetILNS1_3genE10ELNS1_11target_archE1201ELNS1_3gpuE5ELNS1_3repE0EEENS1_30default_config_static_selectorELNS0_4arch9wavefront6targetE1EEEvT1_,comdat
	.protected	_ZN7rocprim17ROCPRIM_400000_NS6detail17trampoline_kernelINS0_14default_configENS1_20scan_config_selectorIjEEZZNS1_9scan_implILNS1_25lookback_scan_determinismE0ELb1ELb1ES3_N6thrust23THRUST_200600_302600_NS6detail15normal_iteratorINS9_10device_ptrIjEEEESE_jNS9_4plusIvEEjEEDaPvRmT3_T4_T5_mT6_P12ihipStream_tbENKUlT_T0_E_clISt17integral_constantIbLb0EESU_EEDaSP_SQ_EUlSP_E_NS1_11comp_targetILNS1_3genE10ELNS1_11target_archE1201ELNS1_3gpuE5ELNS1_3repE0EEENS1_30default_config_static_selectorELNS0_4arch9wavefront6targetE1EEEvT1_ ; -- Begin function _ZN7rocprim17ROCPRIM_400000_NS6detail17trampoline_kernelINS0_14default_configENS1_20scan_config_selectorIjEEZZNS1_9scan_implILNS1_25lookback_scan_determinismE0ELb1ELb1ES3_N6thrust23THRUST_200600_302600_NS6detail15normal_iteratorINS9_10device_ptrIjEEEESE_jNS9_4plusIvEEjEEDaPvRmT3_T4_T5_mT6_P12ihipStream_tbENKUlT_T0_E_clISt17integral_constantIbLb0EESU_EEDaSP_SQ_EUlSP_E_NS1_11comp_targetILNS1_3genE10ELNS1_11target_archE1201ELNS1_3gpuE5ELNS1_3repE0EEENS1_30default_config_static_selectorELNS0_4arch9wavefront6targetE1EEEvT1_
	.globl	_ZN7rocprim17ROCPRIM_400000_NS6detail17trampoline_kernelINS0_14default_configENS1_20scan_config_selectorIjEEZZNS1_9scan_implILNS1_25lookback_scan_determinismE0ELb1ELb1ES3_N6thrust23THRUST_200600_302600_NS6detail15normal_iteratorINS9_10device_ptrIjEEEESE_jNS9_4plusIvEEjEEDaPvRmT3_T4_T5_mT6_P12ihipStream_tbENKUlT_T0_E_clISt17integral_constantIbLb0EESU_EEDaSP_SQ_EUlSP_E_NS1_11comp_targetILNS1_3genE10ELNS1_11target_archE1201ELNS1_3gpuE5ELNS1_3repE0EEENS1_30default_config_static_selectorELNS0_4arch9wavefront6targetE1EEEvT1_
	.p2align	8
	.type	_ZN7rocprim17ROCPRIM_400000_NS6detail17trampoline_kernelINS0_14default_configENS1_20scan_config_selectorIjEEZZNS1_9scan_implILNS1_25lookback_scan_determinismE0ELb1ELb1ES3_N6thrust23THRUST_200600_302600_NS6detail15normal_iteratorINS9_10device_ptrIjEEEESE_jNS9_4plusIvEEjEEDaPvRmT3_T4_T5_mT6_P12ihipStream_tbENKUlT_T0_E_clISt17integral_constantIbLb0EESU_EEDaSP_SQ_EUlSP_E_NS1_11comp_targetILNS1_3genE10ELNS1_11target_archE1201ELNS1_3gpuE5ELNS1_3repE0EEENS1_30default_config_static_selectorELNS0_4arch9wavefront6targetE1EEEvT1_,@function
_ZN7rocprim17ROCPRIM_400000_NS6detail17trampoline_kernelINS0_14default_configENS1_20scan_config_selectorIjEEZZNS1_9scan_implILNS1_25lookback_scan_determinismE0ELb1ELb1ES3_N6thrust23THRUST_200600_302600_NS6detail15normal_iteratorINS9_10device_ptrIjEEEESE_jNS9_4plusIvEEjEEDaPvRmT3_T4_T5_mT6_P12ihipStream_tbENKUlT_T0_E_clISt17integral_constantIbLb0EESU_EEDaSP_SQ_EUlSP_E_NS1_11comp_targetILNS1_3genE10ELNS1_11target_archE1201ELNS1_3gpuE5ELNS1_3repE0EEENS1_30default_config_static_selectorELNS0_4arch9wavefront6targetE1EEEvT1_: ; @_ZN7rocprim17ROCPRIM_400000_NS6detail17trampoline_kernelINS0_14default_configENS1_20scan_config_selectorIjEEZZNS1_9scan_implILNS1_25lookback_scan_determinismE0ELb1ELb1ES3_N6thrust23THRUST_200600_302600_NS6detail15normal_iteratorINS9_10device_ptrIjEEEESE_jNS9_4plusIvEEjEEDaPvRmT3_T4_T5_mT6_P12ihipStream_tbENKUlT_T0_E_clISt17integral_constantIbLb0EESU_EEDaSP_SQ_EUlSP_E_NS1_11comp_targetILNS1_3genE10ELNS1_11target_archE1201ELNS1_3gpuE5ELNS1_3repE0EEENS1_30default_config_static_selectorELNS0_4arch9wavefront6targetE1EEEvT1_
; %bb.0:
	.section	.rodata,"a",@progbits
	.p2align	6, 0x0
	.amdhsa_kernel _ZN7rocprim17ROCPRIM_400000_NS6detail17trampoline_kernelINS0_14default_configENS1_20scan_config_selectorIjEEZZNS1_9scan_implILNS1_25lookback_scan_determinismE0ELb1ELb1ES3_N6thrust23THRUST_200600_302600_NS6detail15normal_iteratorINS9_10device_ptrIjEEEESE_jNS9_4plusIvEEjEEDaPvRmT3_T4_T5_mT6_P12ihipStream_tbENKUlT_T0_E_clISt17integral_constantIbLb0EESU_EEDaSP_SQ_EUlSP_E_NS1_11comp_targetILNS1_3genE10ELNS1_11target_archE1201ELNS1_3gpuE5ELNS1_3repE0EEENS1_30default_config_static_selectorELNS0_4arch9wavefront6targetE1EEEvT1_
		.amdhsa_group_segment_fixed_size 0
		.amdhsa_private_segment_fixed_size 0
		.amdhsa_kernarg_size 96
		.amdhsa_user_sgpr_count 6
		.amdhsa_user_sgpr_private_segment_buffer 1
		.amdhsa_user_sgpr_dispatch_ptr 0
		.amdhsa_user_sgpr_queue_ptr 0
		.amdhsa_user_sgpr_kernarg_segment_ptr 1
		.amdhsa_user_sgpr_dispatch_id 0
		.amdhsa_user_sgpr_flat_scratch_init 0
		.amdhsa_user_sgpr_kernarg_preload_length 0
		.amdhsa_user_sgpr_kernarg_preload_offset 0
		.amdhsa_user_sgpr_private_segment_size 0
		.amdhsa_uses_dynamic_stack 0
		.amdhsa_system_sgpr_private_segment_wavefront_offset 0
		.amdhsa_system_sgpr_workgroup_id_x 1
		.amdhsa_system_sgpr_workgroup_id_y 0
		.amdhsa_system_sgpr_workgroup_id_z 0
		.amdhsa_system_sgpr_workgroup_info 0
		.amdhsa_system_vgpr_workitem_id 0
		.amdhsa_next_free_vgpr 1
		.amdhsa_next_free_sgpr 0
		.amdhsa_accum_offset 4
		.amdhsa_reserve_vcc 0
		.amdhsa_reserve_flat_scratch 0
		.amdhsa_float_round_mode_32 0
		.amdhsa_float_round_mode_16_64 0
		.amdhsa_float_denorm_mode_32 3
		.amdhsa_float_denorm_mode_16_64 3
		.amdhsa_dx10_clamp 1
		.amdhsa_ieee_mode 1
		.amdhsa_fp16_overflow 0
		.amdhsa_tg_split 0
		.amdhsa_exception_fp_ieee_invalid_op 0
		.amdhsa_exception_fp_denorm_src 0
		.amdhsa_exception_fp_ieee_div_zero 0
		.amdhsa_exception_fp_ieee_overflow 0
		.amdhsa_exception_fp_ieee_underflow 0
		.amdhsa_exception_fp_ieee_inexact 0
		.amdhsa_exception_int_div_zero 0
	.end_amdhsa_kernel
	.section	.text._ZN7rocprim17ROCPRIM_400000_NS6detail17trampoline_kernelINS0_14default_configENS1_20scan_config_selectorIjEEZZNS1_9scan_implILNS1_25lookback_scan_determinismE0ELb1ELb1ES3_N6thrust23THRUST_200600_302600_NS6detail15normal_iteratorINS9_10device_ptrIjEEEESE_jNS9_4plusIvEEjEEDaPvRmT3_T4_T5_mT6_P12ihipStream_tbENKUlT_T0_E_clISt17integral_constantIbLb0EESU_EEDaSP_SQ_EUlSP_E_NS1_11comp_targetILNS1_3genE10ELNS1_11target_archE1201ELNS1_3gpuE5ELNS1_3repE0EEENS1_30default_config_static_selectorELNS0_4arch9wavefront6targetE1EEEvT1_,"axG",@progbits,_ZN7rocprim17ROCPRIM_400000_NS6detail17trampoline_kernelINS0_14default_configENS1_20scan_config_selectorIjEEZZNS1_9scan_implILNS1_25lookback_scan_determinismE0ELb1ELb1ES3_N6thrust23THRUST_200600_302600_NS6detail15normal_iteratorINS9_10device_ptrIjEEEESE_jNS9_4plusIvEEjEEDaPvRmT3_T4_T5_mT6_P12ihipStream_tbENKUlT_T0_E_clISt17integral_constantIbLb0EESU_EEDaSP_SQ_EUlSP_E_NS1_11comp_targetILNS1_3genE10ELNS1_11target_archE1201ELNS1_3gpuE5ELNS1_3repE0EEENS1_30default_config_static_selectorELNS0_4arch9wavefront6targetE1EEEvT1_,comdat
.Lfunc_end4651:
	.size	_ZN7rocprim17ROCPRIM_400000_NS6detail17trampoline_kernelINS0_14default_configENS1_20scan_config_selectorIjEEZZNS1_9scan_implILNS1_25lookback_scan_determinismE0ELb1ELb1ES3_N6thrust23THRUST_200600_302600_NS6detail15normal_iteratorINS9_10device_ptrIjEEEESE_jNS9_4plusIvEEjEEDaPvRmT3_T4_T5_mT6_P12ihipStream_tbENKUlT_T0_E_clISt17integral_constantIbLb0EESU_EEDaSP_SQ_EUlSP_E_NS1_11comp_targetILNS1_3genE10ELNS1_11target_archE1201ELNS1_3gpuE5ELNS1_3repE0EEENS1_30default_config_static_selectorELNS0_4arch9wavefront6targetE1EEEvT1_, .Lfunc_end4651-_ZN7rocprim17ROCPRIM_400000_NS6detail17trampoline_kernelINS0_14default_configENS1_20scan_config_selectorIjEEZZNS1_9scan_implILNS1_25lookback_scan_determinismE0ELb1ELb1ES3_N6thrust23THRUST_200600_302600_NS6detail15normal_iteratorINS9_10device_ptrIjEEEESE_jNS9_4plusIvEEjEEDaPvRmT3_T4_T5_mT6_P12ihipStream_tbENKUlT_T0_E_clISt17integral_constantIbLb0EESU_EEDaSP_SQ_EUlSP_E_NS1_11comp_targetILNS1_3genE10ELNS1_11target_archE1201ELNS1_3gpuE5ELNS1_3repE0EEENS1_30default_config_static_selectorELNS0_4arch9wavefront6targetE1EEEvT1_
                                        ; -- End function
	.section	.AMDGPU.csdata,"",@progbits
; Kernel info:
; codeLenInByte = 0
; NumSgprs: 4
; NumVgprs: 0
; NumAgprs: 0
; TotalNumVgprs: 0
; ScratchSize: 0
; MemoryBound: 0
; FloatMode: 240
; IeeeMode: 1
; LDSByteSize: 0 bytes/workgroup (compile time only)
; SGPRBlocks: 0
; VGPRBlocks: 0
; NumSGPRsForWavesPerEU: 4
; NumVGPRsForWavesPerEU: 1
; AccumOffset: 4
; Occupancy: 8
; WaveLimiterHint : 0
; COMPUTE_PGM_RSRC2:SCRATCH_EN: 0
; COMPUTE_PGM_RSRC2:USER_SGPR: 6
; COMPUTE_PGM_RSRC2:TRAP_HANDLER: 0
; COMPUTE_PGM_RSRC2:TGID_X_EN: 1
; COMPUTE_PGM_RSRC2:TGID_Y_EN: 0
; COMPUTE_PGM_RSRC2:TGID_Z_EN: 0
; COMPUTE_PGM_RSRC2:TIDIG_COMP_CNT: 0
; COMPUTE_PGM_RSRC3_GFX90A:ACCUM_OFFSET: 0
; COMPUTE_PGM_RSRC3_GFX90A:TG_SPLIT: 0
	.section	.text._ZN7rocprim17ROCPRIM_400000_NS6detail17trampoline_kernelINS0_14default_configENS1_20scan_config_selectorIjEEZZNS1_9scan_implILNS1_25lookback_scan_determinismE0ELb1ELb1ES3_N6thrust23THRUST_200600_302600_NS6detail15normal_iteratorINS9_10device_ptrIjEEEESE_jNS9_4plusIvEEjEEDaPvRmT3_T4_T5_mT6_P12ihipStream_tbENKUlT_T0_E_clISt17integral_constantIbLb0EESU_EEDaSP_SQ_EUlSP_E_NS1_11comp_targetILNS1_3genE10ELNS1_11target_archE1200ELNS1_3gpuE4ELNS1_3repE0EEENS1_30default_config_static_selectorELNS0_4arch9wavefront6targetE1EEEvT1_,"axG",@progbits,_ZN7rocprim17ROCPRIM_400000_NS6detail17trampoline_kernelINS0_14default_configENS1_20scan_config_selectorIjEEZZNS1_9scan_implILNS1_25lookback_scan_determinismE0ELb1ELb1ES3_N6thrust23THRUST_200600_302600_NS6detail15normal_iteratorINS9_10device_ptrIjEEEESE_jNS9_4plusIvEEjEEDaPvRmT3_T4_T5_mT6_P12ihipStream_tbENKUlT_T0_E_clISt17integral_constantIbLb0EESU_EEDaSP_SQ_EUlSP_E_NS1_11comp_targetILNS1_3genE10ELNS1_11target_archE1200ELNS1_3gpuE4ELNS1_3repE0EEENS1_30default_config_static_selectorELNS0_4arch9wavefront6targetE1EEEvT1_,comdat
	.protected	_ZN7rocprim17ROCPRIM_400000_NS6detail17trampoline_kernelINS0_14default_configENS1_20scan_config_selectorIjEEZZNS1_9scan_implILNS1_25lookback_scan_determinismE0ELb1ELb1ES3_N6thrust23THRUST_200600_302600_NS6detail15normal_iteratorINS9_10device_ptrIjEEEESE_jNS9_4plusIvEEjEEDaPvRmT3_T4_T5_mT6_P12ihipStream_tbENKUlT_T0_E_clISt17integral_constantIbLb0EESU_EEDaSP_SQ_EUlSP_E_NS1_11comp_targetILNS1_3genE10ELNS1_11target_archE1200ELNS1_3gpuE4ELNS1_3repE0EEENS1_30default_config_static_selectorELNS0_4arch9wavefront6targetE1EEEvT1_ ; -- Begin function _ZN7rocprim17ROCPRIM_400000_NS6detail17trampoline_kernelINS0_14default_configENS1_20scan_config_selectorIjEEZZNS1_9scan_implILNS1_25lookback_scan_determinismE0ELb1ELb1ES3_N6thrust23THRUST_200600_302600_NS6detail15normal_iteratorINS9_10device_ptrIjEEEESE_jNS9_4plusIvEEjEEDaPvRmT3_T4_T5_mT6_P12ihipStream_tbENKUlT_T0_E_clISt17integral_constantIbLb0EESU_EEDaSP_SQ_EUlSP_E_NS1_11comp_targetILNS1_3genE10ELNS1_11target_archE1200ELNS1_3gpuE4ELNS1_3repE0EEENS1_30default_config_static_selectorELNS0_4arch9wavefront6targetE1EEEvT1_
	.globl	_ZN7rocprim17ROCPRIM_400000_NS6detail17trampoline_kernelINS0_14default_configENS1_20scan_config_selectorIjEEZZNS1_9scan_implILNS1_25lookback_scan_determinismE0ELb1ELb1ES3_N6thrust23THRUST_200600_302600_NS6detail15normal_iteratorINS9_10device_ptrIjEEEESE_jNS9_4plusIvEEjEEDaPvRmT3_T4_T5_mT6_P12ihipStream_tbENKUlT_T0_E_clISt17integral_constantIbLb0EESU_EEDaSP_SQ_EUlSP_E_NS1_11comp_targetILNS1_3genE10ELNS1_11target_archE1200ELNS1_3gpuE4ELNS1_3repE0EEENS1_30default_config_static_selectorELNS0_4arch9wavefront6targetE1EEEvT1_
	.p2align	8
	.type	_ZN7rocprim17ROCPRIM_400000_NS6detail17trampoline_kernelINS0_14default_configENS1_20scan_config_selectorIjEEZZNS1_9scan_implILNS1_25lookback_scan_determinismE0ELb1ELb1ES3_N6thrust23THRUST_200600_302600_NS6detail15normal_iteratorINS9_10device_ptrIjEEEESE_jNS9_4plusIvEEjEEDaPvRmT3_T4_T5_mT6_P12ihipStream_tbENKUlT_T0_E_clISt17integral_constantIbLb0EESU_EEDaSP_SQ_EUlSP_E_NS1_11comp_targetILNS1_3genE10ELNS1_11target_archE1200ELNS1_3gpuE4ELNS1_3repE0EEENS1_30default_config_static_selectorELNS0_4arch9wavefront6targetE1EEEvT1_,@function
_ZN7rocprim17ROCPRIM_400000_NS6detail17trampoline_kernelINS0_14default_configENS1_20scan_config_selectorIjEEZZNS1_9scan_implILNS1_25lookback_scan_determinismE0ELb1ELb1ES3_N6thrust23THRUST_200600_302600_NS6detail15normal_iteratorINS9_10device_ptrIjEEEESE_jNS9_4plusIvEEjEEDaPvRmT3_T4_T5_mT6_P12ihipStream_tbENKUlT_T0_E_clISt17integral_constantIbLb0EESU_EEDaSP_SQ_EUlSP_E_NS1_11comp_targetILNS1_3genE10ELNS1_11target_archE1200ELNS1_3gpuE4ELNS1_3repE0EEENS1_30default_config_static_selectorELNS0_4arch9wavefront6targetE1EEEvT1_: ; @_ZN7rocprim17ROCPRIM_400000_NS6detail17trampoline_kernelINS0_14default_configENS1_20scan_config_selectorIjEEZZNS1_9scan_implILNS1_25lookback_scan_determinismE0ELb1ELb1ES3_N6thrust23THRUST_200600_302600_NS6detail15normal_iteratorINS9_10device_ptrIjEEEESE_jNS9_4plusIvEEjEEDaPvRmT3_T4_T5_mT6_P12ihipStream_tbENKUlT_T0_E_clISt17integral_constantIbLb0EESU_EEDaSP_SQ_EUlSP_E_NS1_11comp_targetILNS1_3genE10ELNS1_11target_archE1200ELNS1_3gpuE4ELNS1_3repE0EEENS1_30default_config_static_selectorELNS0_4arch9wavefront6targetE1EEEvT1_
; %bb.0:
	.section	.rodata,"a",@progbits
	.p2align	6, 0x0
	.amdhsa_kernel _ZN7rocprim17ROCPRIM_400000_NS6detail17trampoline_kernelINS0_14default_configENS1_20scan_config_selectorIjEEZZNS1_9scan_implILNS1_25lookback_scan_determinismE0ELb1ELb1ES3_N6thrust23THRUST_200600_302600_NS6detail15normal_iteratorINS9_10device_ptrIjEEEESE_jNS9_4plusIvEEjEEDaPvRmT3_T4_T5_mT6_P12ihipStream_tbENKUlT_T0_E_clISt17integral_constantIbLb0EESU_EEDaSP_SQ_EUlSP_E_NS1_11comp_targetILNS1_3genE10ELNS1_11target_archE1200ELNS1_3gpuE4ELNS1_3repE0EEENS1_30default_config_static_selectorELNS0_4arch9wavefront6targetE1EEEvT1_
		.amdhsa_group_segment_fixed_size 0
		.amdhsa_private_segment_fixed_size 0
		.amdhsa_kernarg_size 96
		.amdhsa_user_sgpr_count 6
		.amdhsa_user_sgpr_private_segment_buffer 1
		.amdhsa_user_sgpr_dispatch_ptr 0
		.amdhsa_user_sgpr_queue_ptr 0
		.amdhsa_user_sgpr_kernarg_segment_ptr 1
		.amdhsa_user_sgpr_dispatch_id 0
		.amdhsa_user_sgpr_flat_scratch_init 0
		.amdhsa_user_sgpr_kernarg_preload_length 0
		.amdhsa_user_sgpr_kernarg_preload_offset 0
		.amdhsa_user_sgpr_private_segment_size 0
		.amdhsa_uses_dynamic_stack 0
		.amdhsa_system_sgpr_private_segment_wavefront_offset 0
		.amdhsa_system_sgpr_workgroup_id_x 1
		.amdhsa_system_sgpr_workgroup_id_y 0
		.amdhsa_system_sgpr_workgroup_id_z 0
		.amdhsa_system_sgpr_workgroup_info 0
		.amdhsa_system_vgpr_workitem_id 0
		.amdhsa_next_free_vgpr 1
		.amdhsa_next_free_sgpr 0
		.amdhsa_accum_offset 4
		.amdhsa_reserve_vcc 0
		.amdhsa_reserve_flat_scratch 0
		.amdhsa_float_round_mode_32 0
		.amdhsa_float_round_mode_16_64 0
		.amdhsa_float_denorm_mode_32 3
		.amdhsa_float_denorm_mode_16_64 3
		.amdhsa_dx10_clamp 1
		.amdhsa_ieee_mode 1
		.amdhsa_fp16_overflow 0
		.amdhsa_tg_split 0
		.amdhsa_exception_fp_ieee_invalid_op 0
		.amdhsa_exception_fp_denorm_src 0
		.amdhsa_exception_fp_ieee_div_zero 0
		.amdhsa_exception_fp_ieee_overflow 0
		.amdhsa_exception_fp_ieee_underflow 0
		.amdhsa_exception_fp_ieee_inexact 0
		.amdhsa_exception_int_div_zero 0
	.end_amdhsa_kernel
	.section	.text._ZN7rocprim17ROCPRIM_400000_NS6detail17trampoline_kernelINS0_14default_configENS1_20scan_config_selectorIjEEZZNS1_9scan_implILNS1_25lookback_scan_determinismE0ELb1ELb1ES3_N6thrust23THRUST_200600_302600_NS6detail15normal_iteratorINS9_10device_ptrIjEEEESE_jNS9_4plusIvEEjEEDaPvRmT3_T4_T5_mT6_P12ihipStream_tbENKUlT_T0_E_clISt17integral_constantIbLb0EESU_EEDaSP_SQ_EUlSP_E_NS1_11comp_targetILNS1_3genE10ELNS1_11target_archE1200ELNS1_3gpuE4ELNS1_3repE0EEENS1_30default_config_static_selectorELNS0_4arch9wavefront6targetE1EEEvT1_,"axG",@progbits,_ZN7rocprim17ROCPRIM_400000_NS6detail17trampoline_kernelINS0_14default_configENS1_20scan_config_selectorIjEEZZNS1_9scan_implILNS1_25lookback_scan_determinismE0ELb1ELb1ES3_N6thrust23THRUST_200600_302600_NS6detail15normal_iteratorINS9_10device_ptrIjEEEESE_jNS9_4plusIvEEjEEDaPvRmT3_T4_T5_mT6_P12ihipStream_tbENKUlT_T0_E_clISt17integral_constantIbLb0EESU_EEDaSP_SQ_EUlSP_E_NS1_11comp_targetILNS1_3genE10ELNS1_11target_archE1200ELNS1_3gpuE4ELNS1_3repE0EEENS1_30default_config_static_selectorELNS0_4arch9wavefront6targetE1EEEvT1_,comdat
.Lfunc_end4652:
	.size	_ZN7rocprim17ROCPRIM_400000_NS6detail17trampoline_kernelINS0_14default_configENS1_20scan_config_selectorIjEEZZNS1_9scan_implILNS1_25lookback_scan_determinismE0ELb1ELb1ES3_N6thrust23THRUST_200600_302600_NS6detail15normal_iteratorINS9_10device_ptrIjEEEESE_jNS9_4plusIvEEjEEDaPvRmT3_T4_T5_mT6_P12ihipStream_tbENKUlT_T0_E_clISt17integral_constantIbLb0EESU_EEDaSP_SQ_EUlSP_E_NS1_11comp_targetILNS1_3genE10ELNS1_11target_archE1200ELNS1_3gpuE4ELNS1_3repE0EEENS1_30default_config_static_selectorELNS0_4arch9wavefront6targetE1EEEvT1_, .Lfunc_end4652-_ZN7rocprim17ROCPRIM_400000_NS6detail17trampoline_kernelINS0_14default_configENS1_20scan_config_selectorIjEEZZNS1_9scan_implILNS1_25lookback_scan_determinismE0ELb1ELb1ES3_N6thrust23THRUST_200600_302600_NS6detail15normal_iteratorINS9_10device_ptrIjEEEESE_jNS9_4plusIvEEjEEDaPvRmT3_T4_T5_mT6_P12ihipStream_tbENKUlT_T0_E_clISt17integral_constantIbLb0EESU_EEDaSP_SQ_EUlSP_E_NS1_11comp_targetILNS1_3genE10ELNS1_11target_archE1200ELNS1_3gpuE4ELNS1_3repE0EEENS1_30default_config_static_selectorELNS0_4arch9wavefront6targetE1EEEvT1_
                                        ; -- End function
	.section	.AMDGPU.csdata,"",@progbits
; Kernel info:
; codeLenInByte = 0
; NumSgprs: 4
; NumVgprs: 0
; NumAgprs: 0
; TotalNumVgprs: 0
; ScratchSize: 0
; MemoryBound: 0
; FloatMode: 240
; IeeeMode: 1
; LDSByteSize: 0 bytes/workgroup (compile time only)
; SGPRBlocks: 0
; VGPRBlocks: 0
; NumSGPRsForWavesPerEU: 4
; NumVGPRsForWavesPerEU: 1
; AccumOffset: 4
; Occupancy: 8
; WaveLimiterHint : 0
; COMPUTE_PGM_RSRC2:SCRATCH_EN: 0
; COMPUTE_PGM_RSRC2:USER_SGPR: 6
; COMPUTE_PGM_RSRC2:TRAP_HANDLER: 0
; COMPUTE_PGM_RSRC2:TGID_X_EN: 1
; COMPUTE_PGM_RSRC2:TGID_Y_EN: 0
; COMPUTE_PGM_RSRC2:TGID_Z_EN: 0
; COMPUTE_PGM_RSRC2:TIDIG_COMP_CNT: 0
; COMPUTE_PGM_RSRC3_GFX90A:ACCUM_OFFSET: 0
; COMPUTE_PGM_RSRC3_GFX90A:TG_SPLIT: 0
	.section	.text._ZN7rocprim17ROCPRIM_400000_NS6detail17trampoline_kernelINS0_14default_configENS1_20scan_config_selectorIjEEZZNS1_9scan_implILNS1_25lookback_scan_determinismE0ELb1ELb1ES3_N6thrust23THRUST_200600_302600_NS6detail15normal_iteratorINS9_10device_ptrIjEEEESE_jNS9_4plusIvEEjEEDaPvRmT3_T4_T5_mT6_P12ihipStream_tbENKUlT_T0_E_clISt17integral_constantIbLb0EESU_EEDaSP_SQ_EUlSP_E_NS1_11comp_targetILNS1_3genE9ELNS1_11target_archE1100ELNS1_3gpuE3ELNS1_3repE0EEENS1_30default_config_static_selectorELNS0_4arch9wavefront6targetE1EEEvT1_,"axG",@progbits,_ZN7rocprim17ROCPRIM_400000_NS6detail17trampoline_kernelINS0_14default_configENS1_20scan_config_selectorIjEEZZNS1_9scan_implILNS1_25lookback_scan_determinismE0ELb1ELb1ES3_N6thrust23THRUST_200600_302600_NS6detail15normal_iteratorINS9_10device_ptrIjEEEESE_jNS9_4plusIvEEjEEDaPvRmT3_T4_T5_mT6_P12ihipStream_tbENKUlT_T0_E_clISt17integral_constantIbLb0EESU_EEDaSP_SQ_EUlSP_E_NS1_11comp_targetILNS1_3genE9ELNS1_11target_archE1100ELNS1_3gpuE3ELNS1_3repE0EEENS1_30default_config_static_selectorELNS0_4arch9wavefront6targetE1EEEvT1_,comdat
	.protected	_ZN7rocprim17ROCPRIM_400000_NS6detail17trampoline_kernelINS0_14default_configENS1_20scan_config_selectorIjEEZZNS1_9scan_implILNS1_25lookback_scan_determinismE0ELb1ELb1ES3_N6thrust23THRUST_200600_302600_NS6detail15normal_iteratorINS9_10device_ptrIjEEEESE_jNS9_4plusIvEEjEEDaPvRmT3_T4_T5_mT6_P12ihipStream_tbENKUlT_T0_E_clISt17integral_constantIbLb0EESU_EEDaSP_SQ_EUlSP_E_NS1_11comp_targetILNS1_3genE9ELNS1_11target_archE1100ELNS1_3gpuE3ELNS1_3repE0EEENS1_30default_config_static_selectorELNS0_4arch9wavefront6targetE1EEEvT1_ ; -- Begin function _ZN7rocprim17ROCPRIM_400000_NS6detail17trampoline_kernelINS0_14default_configENS1_20scan_config_selectorIjEEZZNS1_9scan_implILNS1_25lookback_scan_determinismE0ELb1ELb1ES3_N6thrust23THRUST_200600_302600_NS6detail15normal_iteratorINS9_10device_ptrIjEEEESE_jNS9_4plusIvEEjEEDaPvRmT3_T4_T5_mT6_P12ihipStream_tbENKUlT_T0_E_clISt17integral_constantIbLb0EESU_EEDaSP_SQ_EUlSP_E_NS1_11comp_targetILNS1_3genE9ELNS1_11target_archE1100ELNS1_3gpuE3ELNS1_3repE0EEENS1_30default_config_static_selectorELNS0_4arch9wavefront6targetE1EEEvT1_
	.globl	_ZN7rocprim17ROCPRIM_400000_NS6detail17trampoline_kernelINS0_14default_configENS1_20scan_config_selectorIjEEZZNS1_9scan_implILNS1_25lookback_scan_determinismE0ELb1ELb1ES3_N6thrust23THRUST_200600_302600_NS6detail15normal_iteratorINS9_10device_ptrIjEEEESE_jNS9_4plusIvEEjEEDaPvRmT3_T4_T5_mT6_P12ihipStream_tbENKUlT_T0_E_clISt17integral_constantIbLb0EESU_EEDaSP_SQ_EUlSP_E_NS1_11comp_targetILNS1_3genE9ELNS1_11target_archE1100ELNS1_3gpuE3ELNS1_3repE0EEENS1_30default_config_static_selectorELNS0_4arch9wavefront6targetE1EEEvT1_
	.p2align	8
	.type	_ZN7rocprim17ROCPRIM_400000_NS6detail17trampoline_kernelINS0_14default_configENS1_20scan_config_selectorIjEEZZNS1_9scan_implILNS1_25lookback_scan_determinismE0ELb1ELb1ES3_N6thrust23THRUST_200600_302600_NS6detail15normal_iteratorINS9_10device_ptrIjEEEESE_jNS9_4plusIvEEjEEDaPvRmT3_T4_T5_mT6_P12ihipStream_tbENKUlT_T0_E_clISt17integral_constantIbLb0EESU_EEDaSP_SQ_EUlSP_E_NS1_11comp_targetILNS1_3genE9ELNS1_11target_archE1100ELNS1_3gpuE3ELNS1_3repE0EEENS1_30default_config_static_selectorELNS0_4arch9wavefront6targetE1EEEvT1_,@function
_ZN7rocprim17ROCPRIM_400000_NS6detail17trampoline_kernelINS0_14default_configENS1_20scan_config_selectorIjEEZZNS1_9scan_implILNS1_25lookback_scan_determinismE0ELb1ELb1ES3_N6thrust23THRUST_200600_302600_NS6detail15normal_iteratorINS9_10device_ptrIjEEEESE_jNS9_4plusIvEEjEEDaPvRmT3_T4_T5_mT6_P12ihipStream_tbENKUlT_T0_E_clISt17integral_constantIbLb0EESU_EEDaSP_SQ_EUlSP_E_NS1_11comp_targetILNS1_3genE9ELNS1_11target_archE1100ELNS1_3gpuE3ELNS1_3repE0EEENS1_30default_config_static_selectorELNS0_4arch9wavefront6targetE1EEEvT1_: ; @_ZN7rocprim17ROCPRIM_400000_NS6detail17trampoline_kernelINS0_14default_configENS1_20scan_config_selectorIjEEZZNS1_9scan_implILNS1_25lookback_scan_determinismE0ELb1ELb1ES3_N6thrust23THRUST_200600_302600_NS6detail15normal_iteratorINS9_10device_ptrIjEEEESE_jNS9_4plusIvEEjEEDaPvRmT3_T4_T5_mT6_P12ihipStream_tbENKUlT_T0_E_clISt17integral_constantIbLb0EESU_EEDaSP_SQ_EUlSP_E_NS1_11comp_targetILNS1_3genE9ELNS1_11target_archE1100ELNS1_3gpuE3ELNS1_3repE0EEENS1_30default_config_static_selectorELNS0_4arch9wavefront6targetE1EEEvT1_
; %bb.0:
	.section	.rodata,"a",@progbits
	.p2align	6, 0x0
	.amdhsa_kernel _ZN7rocprim17ROCPRIM_400000_NS6detail17trampoline_kernelINS0_14default_configENS1_20scan_config_selectorIjEEZZNS1_9scan_implILNS1_25lookback_scan_determinismE0ELb1ELb1ES3_N6thrust23THRUST_200600_302600_NS6detail15normal_iteratorINS9_10device_ptrIjEEEESE_jNS9_4plusIvEEjEEDaPvRmT3_T4_T5_mT6_P12ihipStream_tbENKUlT_T0_E_clISt17integral_constantIbLb0EESU_EEDaSP_SQ_EUlSP_E_NS1_11comp_targetILNS1_3genE9ELNS1_11target_archE1100ELNS1_3gpuE3ELNS1_3repE0EEENS1_30default_config_static_selectorELNS0_4arch9wavefront6targetE1EEEvT1_
		.amdhsa_group_segment_fixed_size 0
		.amdhsa_private_segment_fixed_size 0
		.amdhsa_kernarg_size 96
		.amdhsa_user_sgpr_count 6
		.amdhsa_user_sgpr_private_segment_buffer 1
		.amdhsa_user_sgpr_dispatch_ptr 0
		.amdhsa_user_sgpr_queue_ptr 0
		.amdhsa_user_sgpr_kernarg_segment_ptr 1
		.amdhsa_user_sgpr_dispatch_id 0
		.amdhsa_user_sgpr_flat_scratch_init 0
		.amdhsa_user_sgpr_kernarg_preload_length 0
		.amdhsa_user_sgpr_kernarg_preload_offset 0
		.amdhsa_user_sgpr_private_segment_size 0
		.amdhsa_uses_dynamic_stack 0
		.amdhsa_system_sgpr_private_segment_wavefront_offset 0
		.amdhsa_system_sgpr_workgroup_id_x 1
		.amdhsa_system_sgpr_workgroup_id_y 0
		.amdhsa_system_sgpr_workgroup_id_z 0
		.amdhsa_system_sgpr_workgroup_info 0
		.amdhsa_system_vgpr_workitem_id 0
		.amdhsa_next_free_vgpr 1
		.amdhsa_next_free_sgpr 0
		.amdhsa_accum_offset 4
		.amdhsa_reserve_vcc 0
		.amdhsa_reserve_flat_scratch 0
		.amdhsa_float_round_mode_32 0
		.amdhsa_float_round_mode_16_64 0
		.amdhsa_float_denorm_mode_32 3
		.amdhsa_float_denorm_mode_16_64 3
		.amdhsa_dx10_clamp 1
		.amdhsa_ieee_mode 1
		.amdhsa_fp16_overflow 0
		.amdhsa_tg_split 0
		.amdhsa_exception_fp_ieee_invalid_op 0
		.amdhsa_exception_fp_denorm_src 0
		.amdhsa_exception_fp_ieee_div_zero 0
		.amdhsa_exception_fp_ieee_overflow 0
		.amdhsa_exception_fp_ieee_underflow 0
		.amdhsa_exception_fp_ieee_inexact 0
		.amdhsa_exception_int_div_zero 0
	.end_amdhsa_kernel
	.section	.text._ZN7rocprim17ROCPRIM_400000_NS6detail17trampoline_kernelINS0_14default_configENS1_20scan_config_selectorIjEEZZNS1_9scan_implILNS1_25lookback_scan_determinismE0ELb1ELb1ES3_N6thrust23THRUST_200600_302600_NS6detail15normal_iteratorINS9_10device_ptrIjEEEESE_jNS9_4plusIvEEjEEDaPvRmT3_T4_T5_mT6_P12ihipStream_tbENKUlT_T0_E_clISt17integral_constantIbLb0EESU_EEDaSP_SQ_EUlSP_E_NS1_11comp_targetILNS1_3genE9ELNS1_11target_archE1100ELNS1_3gpuE3ELNS1_3repE0EEENS1_30default_config_static_selectorELNS0_4arch9wavefront6targetE1EEEvT1_,"axG",@progbits,_ZN7rocprim17ROCPRIM_400000_NS6detail17trampoline_kernelINS0_14default_configENS1_20scan_config_selectorIjEEZZNS1_9scan_implILNS1_25lookback_scan_determinismE0ELb1ELb1ES3_N6thrust23THRUST_200600_302600_NS6detail15normal_iteratorINS9_10device_ptrIjEEEESE_jNS9_4plusIvEEjEEDaPvRmT3_T4_T5_mT6_P12ihipStream_tbENKUlT_T0_E_clISt17integral_constantIbLb0EESU_EEDaSP_SQ_EUlSP_E_NS1_11comp_targetILNS1_3genE9ELNS1_11target_archE1100ELNS1_3gpuE3ELNS1_3repE0EEENS1_30default_config_static_selectorELNS0_4arch9wavefront6targetE1EEEvT1_,comdat
.Lfunc_end4653:
	.size	_ZN7rocprim17ROCPRIM_400000_NS6detail17trampoline_kernelINS0_14default_configENS1_20scan_config_selectorIjEEZZNS1_9scan_implILNS1_25lookback_scan_determinismE0ELb1ELb1ES3_N6thrust23THRUST_200600_302600_NS6detail15normal_iteratorINS9_10device_ptrIjEEEESE_jNS9_4plusIvEEjEEDaPvRmT3_T4_T5_mT6_P12ihipStream_tbENKUlT_T0_E_clISt17integral_constantIbLb0EESU_EEDaSP_SQ_EUlSP_E_NS1_11comp_targetILNS1_3genE9ELNS1_11target_archE1100ELNS1_3gpuE3ELNS1_3repE0EEENS1_30default_config_static_selectorELNS0_4arch9wavefront6targetE1EEEvT1_, .Lfunc_end4653-_ZN7rocprim17ROCPRIM_400000_NS6detail17trampoline_kernelINS0_14default_configENS1_20scan_config_selectorIjEEZZNS1_9scan_implILNS1_25lookback_scan_determinismE0ELb1ELb1ES3_N6thrust23THRUST_200600_302600_NS6detail15normal_iteratorINS9_10device_ptrIjEEEESE_jNS9_4plusIvEEjEEDaPvRmT3_T4_T5_mT6_P12ihipStream_tbENKUlT_T0_E_clISt17integral_constantIbLb0EESU_EEDaSP_SQ_EUlSP_E_NS1_11comp_targetILNS1_3genE9ELNS1_11target_archE1100ELNS1_3gpuE3ELNS1_3repE0EEENS1_30default_config_static_selectorELNS0_4arch9wavefront6targetE1EEEvT1_
                                        ; -- End function
	.section	.AMDGPU.csdata,"",@progbits
; Kernel info:
; codeLenInByte = 0
; NumSgprs: 4
; NumVgprs: 0
; NumAgprs: 0
; TotalNumVgprs: 0
; ScratchSize: 0
; MemoryBound: 0
; FloatMode: 240
; IeeeMode: 1
; LDSByteSize: 0 bytes/workgroup (compile time only)
; SGPRBlocks: 0
; VGPRBlocks: 0
; NumSGPRsForWavesPerEU: 4
; NumVGPRsForWavesPerEU: 1
; AccumOffset: 4
; Occupancy: 8
; WaveLimiterHint : 0
; COMPUTE_PGM_RSRC2:SCRATCH_EN: 0
; COMPUTE_PGM_RSRC2:USER_SGPR: 6
; COMPUTE_PGM_RSRC2:TRAP_HANDLER: 0
; COMPUTE_PGM_RSRC2:TGID_X_EN: 1
; COMPUTE_PGM_RSRC2:TGID_Y_EN: 0
; COMPUTE_PGM_RSRC2:TGID_Z_EN: 0
; COMPUTE_PGM_RSRC2:TIDIG_COMP_CNT: 0
; COMPUTE_PGM_RSRC3_GFX90A:ACCUM_OFFSET: 0
; COMPUTE_PGM_RSRC3_GFX90A:TG_SPLIT: 0
	.section	.text._ZN7rocprim17ROCPRIM_400000_NS6detail17trampoline_kernelINS0_14default_configENS1_20scan_config_selectorIjEEZZNS1_9scan_implILNS1_25lookback_scan_determinismE0ELb1ELb1ES3_N6thrust23THRUST_200600_302600_NS6detail15normal_iteratorINS9_10device_ptrIjEEEESE_jNS9_4plusIvEEjEEDaPvRmT3_T4_T5_mT6_P12ihipStream_tbENKUlT_T0_E_clISt17integral_constantIbLb0EESU_EEDaSP_SQ_EUlSP_E_NS1_11comp_targetILNS1_3genE8ELNS1_11target_archE1030ELNS1_3gpuE2ELNS1_3repE0EEENS1_30default_config_static_selectorELNS0_4arch9wavefront6targetE1EEEvT1_,"axG",@progbits,_ZN7rocprim17ROCPRIM_400000_NS6detail17trampoline_kernelINS0_14default_configENS1_20scan_config_selectorIjEEZZNS1_9scan_implILNS1_25lookback_scan_determinismE0ELb1ELb1ES3_N6thrust23THRUST_200600_302600_NS6detail15normal_iteratorINS9_10device_ptrIjEEEESE_jNS9_4plusIvEEjEEDaPvRmT3_T4_T5_mT6_P12ihipStream_tbENKUlT_T0_E_clISt17integral_constantIbLb0EESU_EEDaSP_SQ_EUlSP_E_NS1_11comp_targetILNS1_3genE8ELNS1_11target_archE1030ELNS1_3gpuE2ELNS1_3repE0EEENS1_30default_config_static_selectorELNS0_4arch9wavefront6targetE1EEEvT1_,comdat
	.protected	_ZN7rocprim17ROCPRIM_400000_NS6detail17trampoline_kernelINS0_14default_configENS1_20scan_config_selectorIjEEZZNS1_9scan_implILNS1_25lookback_scan_determinismE0ELb1ELb1ES3_N6thrust23THRUST_200600_302600_NS6detail15normal_iteratorINS9_10device_ptrIjEEEESE_jNS9_4plusIvEEjEEDaPvRmT3_T4_T5_mT6_P12ihipStream_tbENKUlT_T0_E_clISt17integral_constantIbLb0EESU_EEDaSP_SQ_EUlSP_E_NS1_11comp_targetILNS1_3genE8ELNS1_11target_archE1030ELNS1_3gpuE2ELNS1_3repE0EEENS1_30default_config_static_selectorELNS0_4arch9wavefront6targetE1EEEvT1_ ; -- Begin function _ZN7rocprim17ROCPRIM_400000_NS6detail17trampoline_kernelINS0_14default_configENS1_20scan_config_selectorIjEEZZNS1_9scan_implILNS1_25lookback_scan_determinismE0ELb1ELb1ES3_N6thrust23THRUST_200600_302600_NS6detail15normal_iteratorINS9_10device_ptrIjEEEESE_jNS9_4plusIvEEjEEDaPvRmT3_T4_T5_mT6_P12ihipStream_tbENKUlT_T0_E_clISt17integral_constantIbLb0EESU_EEDaSP_SQ_EUlSP_E_NS1_11comp_targetILNS1_3genE8ELNS1_11target_archE1030ELNS1_3gpuE2ELNS1_3repE0EEENS1_30default_config_static_selectorELNS0_4arch9wavefront6targetE1EEEvT1_
	.globl	_ZN7rocprim17ROCPRIM_400000_NS6detail17trampoline_kernelINS0_14default_configENS1_20scan_config_selectorIjEEZZNS1_9scan_implILNS1_25lookback_scan_determinismE0ELb1ELb1ES3_N6thrust23THRUST_200600_302600_NS6detail15normal_iteratorINS9_10device_ptrIjEEEESE_jNS9_4plusIvEEjEEDaPvRmT3_T4_T5_mT6_P12ihipStream_tbENKUlT_T0_E_clISt17integral_constantIbLb0EESU_EEDaSP_SQ_EUlSP_E_NS1_11comp_targetILNS1_3genE8ELNS1_11target_archE1030ELNS1_3gpuE2ELNS1_3repE0EEENS1_30default_config_static_selectorELNS0_4arch9wavefront6targetE1EEEvT1_
	.p2align	8
	.type	_ZN7rocprim17ROCPRIM_400000_NS6detail17trampoline_kernelINS0_14default_configENS1_20scan_config_selectorIjEEZZNS1_9scan_implILNS1_25lookback_scan_determinismE0ELb1ELb1ES3_N6thrust23THRUST_200600_302600_NS6detail15normal_iteratorINS9_10device_ptrIjEEEESE_jNS9_4plusIvEEjEEDaPvRmT3_T4_T5_mT6_P12ihipStream_tbENKUlT_T0_E_clISt17integral_constantIbLb0EESU_EEDaSP_SQ_EUlSP_E_NS1_11comp_targetILNS1_3genE8ELNS1_11target_archE1030ELNS1_3gpuE2ELNS1_3repE0EEENS1_30default_config_static_selectorELNS0_4arch9wavefront6targetE1EEEvT1_,@function
_ZN7rocprim17ROCPRIM_400000_NS6detail17trampoline_kernelINS0_14default_configENS1_20scan_config_selectorIjEEZZNS1_9scan_implILNS1_25lookback_scan_determinismE0ELb1ELb1ES3_N6thrust23THRUST_200600_302600_NS6detail15normal_iteratorINS9_10device_ptrIjEEEESE_jNS9_4plusIvEEjEEDaPvRmT3_T4_T5_mT6_P12ihipStream_tbENKUlT_T0_E_clISt17integral_constantIbLb0EESU_EEDaSP_SQ_EUlSP_E_NS1_11comp_targetILNS1_3genE8ELNS1_11target_archE1030ELNS1_3gpuE2ELNS1_3repE0EEENS1_30default_config_static_selectorELNS0_4arch9wavefront6targetE1EEEvT1_: ; @_ZN7rocprim17ROCPRIM_400000_NS6detail17trampoline_kernelINS0_14default_configENS1_20scan_config_selectorIjEEZZNS1_9scan_implILNS1_25lookback_scan_determinismE0ELb1ELb1ES3_N6thrust23THRUST_200600_302600_NS6detail15normal_iteratorINS9_10device_ptrIjEEEESE_jNS9_4plusIvEEjEEDaPvRmT3_T4_T5_mT6_P12ihipStream_tbENKUlT_T0_E_clISt17integral_constantIbLb0EESU_EEDaSP_SQ_EUlSP_E_NS1_11comp_targetILNS1_3genE8ELNS1_11target_archE1030ELNS1_3gpuE2ELNS1_3repE0EEENS1_30default_config_static_selectorELNS0_4arch9wavefront6targetE1EEEvT1_
; %bb.0:
	.section	.rodata,"a",@progbits
	.p2align	6, 0x0
	.amdhsa_kernel _ZN7rocprim17ROCPRIM_400000_NS6detail17trampoline_kernelINS0_14default_configENS1_20scan_config_selectorIjEEZZNS1_9scan_implILNS1_25lookback_scan_determinismE0ELb1ELb1ES3_N6thrust23THRUST_200600_302600_NS6detail15normal_iteratorINS9_10device_ptrIjEEEESE_jNS9_4plusIvEEjEEDaPvRmT3_T4_T5_mT6_P12ihipStream_tbENKUlT_T0_E_clISt17integral_constantIbLb0EESU_EEDaSP_SQ_EUlSP_E_NS1_11comp_targetILNS1_3genE8ELNS1_11target_archE1030ELNS1_3gpuE2ELNS1_3repE0EEENS1_30default_config_static_selectorELNS0_4arch9wavefront6targetE1EEEvT1_
		.amdhsa_group_segment_fixed_size 0
		.amdhsa_private_segment_fixed_size 0
		.amdhsa_kernarg_size 96
		.amdhsa_user_sgpr_count 6
		.amdhsa_user_sgpr_private_segment_buffer 1
		.amdhsa_user_sgpr_dispatch_ptr 0
		.amdhsa_user_sgpr_queue_ptr 0
		.amdhsa_user_sgpr_kernarg_segment_ptr 1
		.amdhsa_user_sgpr_dispatch_id 0
		.amdhsa_user_sgpr_flat_scratch_init 0
		.amdhsa_user_sgpr_kernarg_preload_length 0
		.amdhsa_user_sgpr_kernarg_preload_offset 0
		.amdhsa_user_sgpr_private_segment_size 0
		.amdhsa_uses_dynamic_stack 0
		.amdhsa_system_sgpr_private_segment_wavefront_offset 0
		.amdhsa_system_sgpr_workgroup_id_x 1
		.amdhsa_system_sgpr_workgroup_id_y 0
		.amdhsa_system_sgpr_workgroup_id_z 0
		.amdhsa_system_sgpr_workgroup_info 0
		.amdhsa_system_vgpr_workitem_id 0
		.amdhsa_next_free_vgpr 1
		.amdhsa_next_free_sgpr 0
		.amdhsa_accum_offset 4
		.amdhsa_reserve_vcc 0
		.amdhsa_reserve_flat_scratch 0
		.amdhsa_float_round_mode_32 0
		.amdhsa_float_round_mode_16_64 0
		.amdhsa_float_denorm_mode_32 3
		.amdhsa_float_denorm_mode_16_64 3
		.amdhsa_dx10_clamp 1
		.amdhsa_ieee_mode 1
		.amdhsa_fp16_overflow 0
		.amdhsa_tg_split 0
		.amdhsa_exception_fp_ieee_invalid_op 0
		.amdhsa_exception_fp_denorm_src 0
		.amdhsa_exception_fp_ieee_div_zero 0
		.amdhsa_exception_fp_ieee_overflow 0
		.amdhsa_exception_fp_ieee_underflow 0
		.amdhsa_exception_fp_ieee_inexact 0
		.amdhsa_exception_int_div_zero 0
	.end_amdhsa_kernel
	.section	.text._ZN7rocprim17ROCPRIM_400000_NS6detail17trampoline_kernelINS0_14default_configENS1_20scan_config_selectorIjEEZZNS1_9scan_implILNS1_25lookback_scan_determinismE0ELb1ELb1ES3_N6thrust23THRUST_200600_302600_NS6detail15normal_iteratorINS9_10device_ptrIjEEEESE_jNS9_4plusIvEEjEEDaPvRmT3_T4_T5_mT6_P12ihipStream_tbENKUlT_T0_E_clISt17integral_constantIbLb0EESU_EEDaSP_SQ_EUlSP_E_NS1_11comp_targetILNS1_3genE8ELNS1_11target_archE1030ELNS1_3gpuE2ELNS1_3repE0EEENS1_30default_config_static_selectorELNS0_4arch9wavefront6targetE1EEEvT1_,"axG",@progbits,_ZN7rocprim17ROCPRIM_400000_NS6detail17trampoline_kernelINS0_14default_configENS1_20scan_config_selectorIjEEZZNS1_9scan_implILNS1_25lookback_scan_determinismE0ELb1ELb1ES3_N6thrust23THRUST_200600_302600_NS6detail15normal_iteratorINS9_10device_ptrIjEEEESE_jNS9_4plusIvEEjEEDaPvRmT3_T4_T5_mT6_P12ihipStream_tbENKUlT_T0_E_clISt17integral_constantIbLb0EESU_EEDaSP_SQ_EUlSP_E_NS1_11comp_targetILNS1_3genE8ELNS1_11target_archE1030ELNS1_3gpuE2ELNS1_3repE0EEENS1_30default_config_static_selectorELNS0_4arch9wavefront6targetE1EEEvT1_,comdat
.Lfunc_end4654:
	.size	_ZN7rocprim17ROCPRIM_400000_NS6detail17trampoline_kernelINS0_14default_configENS1_20scan_config_selectorIjEEZZNS1_9scan_implILNS1_25lookback_scan_determinismE0ELb1ELb1ES3_N6thrust23THRUST_200600_302600_NS6detail15normal_iteratorINS9_10device_ptrIjEEEESE_jNS9_4plusIvEEjEEDaPvRmT3_T4_T5_mT6_P12ihipStream_tbENKUlT_T0_E_clISt17integral_constantIbLb0EESU_EEDaSP_SQ_EUlSP_E_NS1_11comp_targetILNS1_3genE8ELNS1_11target_archE1030ELNS1_3gpuE2ELNS1_3repE0EEENS1_30default_config_static_selectorELNS0_4arch9wavefront6targetE1EEEvT1_, .Lfunc_end4654-_ZN7rocprim17ROCPRIM_400000_NS6detail17trampoline_kernelINS0_14default_configENS1_20scan_config_selectorIjEEZZNS1_9scan_implILNS1_25lookback_scan_determinismE0ELb1ELb1ES3_N6thrust23THRUST_200600_302600_NS6detail15normal_iteratorINS9_10device_ptrIjEEEESE_jNS9_4plusIvEEjEEDaPvRmT3_T4_T5_mT6_P12ihipStream_tbENKUlT_T0_E_clISt17integral_constantIbLb0EESU_EEDaSP_SQ_EUlSP_E_NS1_11comp_targetILNS1_3genE8ELNS1_11target_archE1030ELNS1_3gpuE2ELNS1_3repE0EEENS1_30default_config_static_selectorELNS0_4arch9wavefront6targetE1EEEvT1_
                                        ; -- End function
	.section	.AMDGPU.csdata,"",@progbits
; Kernel info:
; codeLenInByte = 0
; NumSgprs: 4
; NumVgprs: 0
; NumAgprs: 0
; TotalNumVgprs: 0
; ScratchSize: 0
; MemoryBound: 0
; FloatMode: 240
; IeeeMode: 1
; LDSByteSize: 0 bytes/workgroup (compile time only)
; SGPRBlocks: 0
; VGPRBlocks: 0
; NumSGPRsForWavesPerEU: 4
; NumVGPRsForWavesPerEU: 1
; AccumOffset: 4
; Occupancy: 8
; WaveLimiterHint : 0
; COMPUTE_PGM_RSRC2:SCRATCH_EN: 0
; COMPUTE_PGM_RSRC2:USER_SGPR: 6
; COMPUTE_PGM_RSRC2:TRAP_HANDLER: 0
; COMPUTE_PGM_RSRC2:TGID_X_EN: 1
; COMPUTE_PGM_RSRC2:TGID_Y_EN: 0
; COMPUTE_PGM_RSRC2:TGID_Z_EN: 0
; COMPUTE_PGM_RSRC2:TIDIG_COMP_CNT: 0
; COMPUTE_PGM_RSRC3_GFX90A:ACCUM_OFFSET: 0
; COMPUTE_PGM_RSRC3_GFX90A:TG_SPLIT: 0
	.section	.text._ZN7rocprim17ROCPRIM_400000_NS6detail17trampoline_kernelINS0_14default_configENS1_20scan_config_selectorIjEEZZNS1_9scan_implILNS1_25lookback_scan_determinismE0ELb1ELb1ES3_N6thrust23THRUST_200600_302600_NS6detail15normal_iteratorINS9_10device_ptrIjEEEESE_jNS9_4plusIvEEjEEDaPvRmT3_T4_T5_mT6_P12ihipStream_tbENKUlT_T0_E_clISt17integral_constantIbLb0EESU_EEDaSP_SQ_EUlSP_E0_NS1_11comp_targetILNS1_3genE0ELNS1_11target_archE4294967295ELNS1_3gpuE0ELNS1_3repE0EEENS1_30default_config_static_selectorELNS0_4arch9wavefront6targetE1EEEvT1_,"axG",@progbits,_ZN7rocprim17ROCPRIM_400000_NS6detail17trampoline_kernelINS0_14default_configENS1_20scan_config_selectorIjEEZZNS1_9scan_implILNS1_25lookback_scan_determinismE0ELb1ELb1ES3_N6thrust23THRUST_200600_302600_NS6detail15normal_iteratorINS9_10device_ptrIjEEEESE_jNS9_4plusIvEEjEEDaPvRmT3_T4_T5_mT6_P12ihipStream_tbENKUlT_T0_E_clISt17integral_constantIbLb0EESU_EEDaSP_SQ_EUlSP_E0_NS1_11comp_targetILNS1_3genE0ELNS1_11target_archE4294967295ELNS1_3gpuE0ELNS1_3repE0EEENS1_30default_config_static_selectorELNS0_4arch9wavefront6targetE1EEEvT1_,comdat
	.protected	_ZN7rocprim17ROCPRIM_400000_NS6detail17trampoline_kernelINS0_14default_configENS1_20scan_config_selectorIjEEZZNS1_9scan_implILNS1_25lookback_scan_determinismE0ELb1ELb1ES3_N6thrust23THRUST_200600_302600_NS6detail15normal_iteratorINS9_10device_ptrIjEEEESE_jNS9_4plusIvEEjEEDaPvRmT3_T4_T5_mT6_P12ihipStream_tbENKUlT_T0_E_clISt17integral_constantIbLb0EESU_EEDaSP_SQ_EUlSP_E0_NS1_11comp_targetILNS1_3genE0ELNS1_11target_archE4294967295ELNS1_3gpuE0ELNS1_3repE0EEENS1_30default_config_static_selectorELNS0_4arch9wavefront6targetE1EEEvT1_ ; -- Begin function _ZN7rocprim17ROCPRIM_400000_NS6detail17trampoline_kernelINS0_14default_configENS1_20scan_config_selectorIjEEZZNS1_9scan_implILNS1_25lookback_scan_determinismE0ELb1ELb1ES3_N6thrust23THRUST_200600_302600_NS6detail15normal_iteratorINS9_10device_ptrIjEEEESE_jNS9_4plusIvEEjEEDaPvRmT3_T4_T5_mT6_P12ihipStream_tbENKUlT_T0_E_clISt17integral_constantIbLb0EESU_EEDaSP_SQ_EUlSP_E0_NS1_11comp_targetILNS1_3genE0ELNS1_11target_archE4294967295ELNS1_3gpuE0ELNS1_3repE0EEENS1_30default_config_static_selectorELNS0_4arch9wavefront6targetE1EEEvT1_
	.globl	_ZN7rocprim17ROCPRIM_400000_NS6detail17trampoline_kernelINS0_14default_configENS1_20scan_config_selectorIjEEZZNS1_9scan_implILNS1_25lookback_scan_determinismE0ELb1ELb1ES3_N6thrust23THRUST_200600_302600_NS6detail15normal_iteratorINS9_10device_ptrIjEEEESE_jNS9_4plusIvEEjEEDaPvRmT3_T4_T5_mT6_P12ihipStream_tbENKUlT_T0_E_clISt17integral_constantIbLb0EESU_EEDaSP_SQ_EUlSP_E0_NS1_11comp_targetILNS1_3genE0ELNS1_11target_archE4294967295ELNS1_3gpuE0ELNS1_3repE0EEENS1_30default_config_static_selectorELNS0_4arch9wavefront6targetE1EEEvT1_
	.p2align	8
	.type	_ZN7rocprim17ROCPRIM_400000_NS6detail17trampoline_kernelINS0_14default_configENS1_20scan_config_selectorIjEEZZNS1_9scan_implILNS1_25lookback_scan_determinismE0ELb1ELb1ES3_N6thrust23THRUST_200600_302600_NS6detail15normal_iteratorINS9_10device_ptrIjEEEESE_jNS9_4plusIvEEjEEDaPvRmT3_T4_T5_mT6_P12ihipStream_tbENKUlT_T0_E_clISt17integral_constantIbLb0EESU_EEDaSP_SQ_EUlSP_E0_NS1_11comp_targetILNS1_3genE0ELNS1_11target_archE4294967295ELNS1_3gpuE0ELNS1_3repE0EEENS1_30default_config_static_selectorELNS0_4arch9wavefront6targetE1EEEvT1_,@function
_ZN7rocprim17ROCPRIM_400000_NS6detail17trampoline_kernelINS0_14default_configENS1_20scan_config_selectorIjEEZZNS1_9scan_implILNS1_25lookback_scan_determinismE0ELb1ELb1ES3_N6thrust23THRUST_200600_302600_NS6detail15normal_iteratorINS9_10device_ptrIjEEEESE_jNS9_4plusIvEEjEEDaPvRmT3_T4_T5_mT6_P12ihipStream_tbENKUlT_T0_E_clISt17integral_constantIbLb0EESU_EEDaSP_SQ_EUlSP_E0_NS1_11comp_targetILNS1_3genE0ELNS1_11target_archE4294967295ELNS1_3gpuE0ELNS1_3repE0EEENS1_30default_config_static_selectorELNS0_4arch9wavefront6targetE1EEEvT1_: ; @_ZN7rocprim17ROCPRIM_400000_NS6detail17trampoline_kernelINS0_14default_configENS1_20scan_config_selectorIjEEZZNS1_9scan_implILNS1_25lookback_scan_determinismE0ELb1ELb1ES3_N6thrust23THRUST_200600_302600_NS6detail15normal_iteratorINS9_10device_ptrIjEEEESE_jNS9_4plusIvEEjEEDaPvRmT3_T4_T5_mT6_P12ihipStream_tbENKUlT_T0_E_clISt17integral_constantIbLb0EESU_EEDaSP_SQ_EUlSP_E0_NS1_11comp_targetILNS1_3genE0ELNS1_11target_archE4294967295ELNS1_3gpuE0ELNS1_3repE0EEENS1_30default_config_static_selectorELNS0_4arch9wavefront6targetE1EEEvT1_
; %bb.0:
	.section	.rodata,"a",@progbits
	.p2align	6, 0x0
	.amdhsa_kernel _ZN7rocprim17ROCPRIM_400000_NS6detail17trampoline_kernelINS0_14default_configENS1_20scan_config_selectorIjEEZZNS1_9scan_implILNS1_25lookback_scan_determinismE0ELb1ELb1ES3_N6thrust23THRUST_200600_302600_NS6detail15normal_iteratorINS9_10device_ptrIjEEEESE_jNS9_4plusIvEEjEEDaPvRmT3_T4_T5_mT6_P12ihipStream_tbENKUlT_T0_E_clISt17integral_constantIbLb0EESU_EEDaSP_SQ_EUlSP_E0_NS1_11comp_targetILNS1_3genE0ELNS1_11target_archE4294967295ELNS1_3gpuE0ELNS1_3repE0EEENS1_30default_config_static_selectorELNS0_4arch9wavefront6targetE1EEEvT1_
		.amdhsa_group_segment_fixed_size 0
		.amdhsa_private_segment_fixed_size 0
		.amdhsa_kernarg_size 32
		.amdhsa_user_sgpr_count 6
		.amdhsa_user_sgpr_private_segment_buffer 1
		.amdhsa_user_sgpr_dispatch_ptr 0
		.amdhsa_user_sgpr_queue_ptr 0
		.amdhsa_user_sgpr_kernarg_segment_ptr 1
		.amdhsa_user_sgpr_dispatch_id 0
		.amdhsa_user_sgpr_flat_scratch_init 0
		.amdhsa_user_sgpr_kernarg_preload_length 0
		.amdhsa_user_sgpr_kernarg_preload_offset 0
		.amdhsa_user_sgpr_private_segment_size 0
		.amdhsa_uses_dynamic_stack 0
		.amdhsa_system_sgpr_private_segment_wavefront_offset 0
		.amdhsa_system_sgpr_workgroup_id_x 1
		.amdhsa_system_sgpr_workgroup_id_y 0
		.amdhsa_system_sgpr_workgroup_id_z 0
		.amdhsa_system_sgpr_workgroup_info 0
		.amdhsa_system_vgpr_workitem_id 0
		.amdhsa_next_free_vgpr 1
		.amdhsa_next_free_sgpr 0
		.amdhsa_accum_offset 4
		.amdhsa_reserve_vcc 0
		.amdhsa_reserve_flat_scratch 0
		.amdhsa_float_round_mode_32 0
		.amdhsa_float_round_mode_16_64 0
		.amdhsa_float_denorm_mode_32 3
		.amdhsa_float_denorm_mode_16_64 3
		.amdhsa_dx10_clamp 1
		.amdhsa_ieee_mode 1
		.amdhsa_fp16_overflow 0
		.amdhsa_tg_split 0
		.amdhsa_exception_fp_ieee_invalid_op 0
		.amdhsa_exception_fp_denorm_src 0
		.amdhsa_exception_fp_ieee_div_zero 0
		.amdhsa_exception_fp_ieee_overflow 0
		.amdhsa_exception_fp_ieee_underflow 0
		.amdhsa_exception_fp_ieee_inexact 0
		.amdhsa_exception_int_div_zero 0
	.end_amdhsa_kernel
	.section	.text._ZN7rocprim17ROCPRIM_400000_NS6detail17trampoline_kernelINS0_14default_configENS1_20scan_config_selectorIjEEZZNS1_9scan_implILNS1_25lookback_scan_determinismE0ELb1ELb1ES3_N6thrust23THRUST_200600_302600_NS6detail15normal_iteratorINS9_10device_ptrIjEEEESE_jNS9_4plusIvEEjEEDaPvRmT3_T4_T5_mT6_P12ihipStream_tbENKUlT_T0_E_clISt17integral_constantIbLb0EESU_EEDaSP_SQ_EUlSP_E0_NS1_11comp_targetILNS1_3genE0ELNS1_11target_archE4294967295ELNS1_3gpuE0ELNS1_3repE0EEENS1_30default_config_static_selectorELNS0_4arch9wavefront6targetE1EEEvT1_,"axG",@progbits,_ZN7rocprim17ROCPRIM_400000_NS6detail17trampoline_kernelINS0_14default_configENS1_20scan_config_selectorIjEEZZNS1_9scan_implILNS1_25lookback_scan_determinismE0ELb1ELb1ES3_N6thrust23THRUST_200600_302600_NS6detail15normal_iteratorINS9_10device_ptrIjEEEESE_jNS9_4plusIvEEjEEDaPvRmT3_T4_T5_mT6_P12ihipStream_tbENKUlT_T0_E_clISt17integral_constantIbLb0EESU_EEDaSP_SQ_EUlSP_E0_NS1_11comp_targetILNS1_3genE0ELNS1_11target_archE4294967295ELNS1_3gpuE0ELNS1_3repE0EEENS1_30default_config_static_selectorELNS0_4arch9wavefront6targetE1EEEvT1_,comdat
.Lfunc_end4655:
	.size	_ZN7rocprim17ROCPRIM_400000_NS6detail17trampoline_kernelINS0_14default_configENS1_20scan_config_selectorIjEEZZNS1_9scan_implILNS1_25lookback_scan_determinismE0ELb1ELb1ES3_N6thrust23THRUST_200600_302600_NS6detail15normal_iteratorINS9_10device_ptrIjEEEESE_jNS9_4plusIvEEjEEDaPvRmT3_T4_T5_mT6_P12ihipStream_tbENKUlT_T0_E_clISt17integral_constantIbLb0EESU_EEDaSP_SQ_EUlSP_E0_NS1_11comp_targetILNS1_3genE0ELNS1_11target_archE4294967295ELNS1_3gpuE0ELNS1_3repE0EEENS1_30default_config_static_selectorELNS0_4arch9wavefront6targetE1EEEvT1_, .Lfunc_end4655-_ZN7rocprim17ROCPRIM_400000_NS6detail17trampoline_kernelINS0_14default_configENS1_20scan_config_selectorIjEEZZNS1_9scan_implILNS1_25lookback_scan_determinismE0ELb1ELb1ES3_N6thrust23THRUST_200600_302600_NS6detail15normal_iteratorINS9_10device_ptrIjEEEESE_jNS9_4plusIvEEjEEDaPvRmT3_T4_T5_mT6_P12ihipStream_tbENKUlT_T0_E_clISt17integral_constantIbLb0EESU_EEDaSP_SQ_EUlSP_E0_NS1_11comp_targetILNS1_3genE0ELNS1_11target_archE4294967295ELNS1_3gpuE0ELNS1_3repE0EEENS1_30default_config_static_selectorELNS0_4arch9wavefront6targetE1EEEvT1_
                                        ; -- End function
	.section	.AMDGPU.csdata,"",@progbits
; Kernel info:
; codeLenInByte = 0
; NumSgprs: 4
; NumVgprs: 0
; NumAgprs: 0
; TotalNumVgprs: 0
; ScratchSize: 0
; MemoryBound: 0
; FloatMode: 240
; IeeeMode: 1
; LDSByteSize: 0 bytes/workgroup (compile time only)
; SGPRBlocks: 0
; VGPRBlocks: 0
; NumSGPRsForWavesPerEU: 4
; NumVGPRsForWavesPerEU: 1
; AccumOffset: 4
; Occupancy: 8
; WaveLimiterHint : 0
; COMPUTE_PGM_RSRC2:SCRATCH_EN: 0
; COMPUTE_PGM_RSRC2:USER_SGPR: 6
; COMPUTE_PGM_RSRC2:TRAP_HANDLER: 0
; COMPUTE_PGM_RSRC2:TGID_X_EN: 1
; COMPUTE_PGM_RSRC2:TGID_Y_EN: 0
; COMPUTE_PGM_RSRC2:TGID_Z_EN: 0
; COMPUTE_PGM_RSRC2:TIDIG_COMP_CNT: 0
; COMPUTE_PGM_RSRC3_GFX90A:ACCUM_OFFSET: 0
; COMPUTE_PGM_RSRC3_GFX90A:TG_SPLIT: 0
	.section	.text._ZN7rocprim17ROCPRIM_400000_NS6detail17trampoline_kernelINS0_14default_configENS1_20scan_config_selectorIjEEZZNS1_9scan_implILNS1_25lookback_scan_determinismE0ELb1ELb1ES3_N6thrust23THRUST_200600_302600_NS6detail15normal_iteratorINS9_10device_ptrIjEEEESE_jNS9_4plusIvEEjEEDaPvRmT3_T4_T5_mT6_P12ihipStream_tbENKUlT_T0_E_clISt17integral_constantIbLb0EESU_EEDaSP_SQ_EUlSP_E0_NS1_11comp_targetILNS1_3genE5ELNS1_11target_archE942ELNS1_3gpuE9ELNS1_3repE0EEENS1_30default_config_static_selectorELNS0_4arch9wavefront6targetE1EEEvT1_,"axG",@progbits,_ZN7rocprim17ROCPRIM_400000_NS6detail17trampoline_kernelINS0_14default_configENS1_20scan_config_selectorIjEEZZNS1_9scan_implILNS1_25lookback_scan_determinismE0ELb1ELb1ES3_N6thrust23THRUST_200600_302600_NS6detail15normal_iteratorINS9_10device_ptrIjEEEESE_jNS9_4plusIvEEjEEDaPvRmT3_T4_T5_mT6_P12ihipStream_tbENKUlT_T0_E_clISt17integral_constantIbLb0EESU_EEDaSP_SQ_EUlSP_E0_NS1_11comp_targetILNS1_3genE5ELNS1_11target_archE942ELNS1_3gpuE9ELNS1_3repE0EEENS1_30default_config_static_selectorELNS0_4arch9wavefront6targetE1EEEvT1_,comdat
	.protected	_ZN7rocprim17ROCPRIM_400000_NS6detail17trampoline_kernelINS0_14default_configENS1_20scan_config_selectorIjEEZZNS1_9scan_implILNS1_25lookback_scan_determinismE0ELb1ELb1ES3_N6thrust23THRUST_200600_302600_NS6detail15normal_iteratorINS9_10device_ptrIjEEEESE_jNS9_4plusIvEEjEEDaPvRmT3_T4_T5_mT6_P12ihipStream_tbENKUlT_T0_E_clISt17integral_constantIbLb0EESU_EEDaSP_SQ_EUlSP_E0_NS1_11comp_targetILNS1_3genE5ELNS1_11target_archE942ELNS1_3gpuE9ELNS1_3repE0EEENS1_30default_config_static_selectorELNS0_4arch9wavefront6targetE1EEEvT1_ ; -- Begin function _ZN7rocprim17ROCPRIM_400000_NS6detail17trampoline_kernelINS0_14default_configENS1_20scan_config_selectorIjEEZZNS1_9scan_implILNS1_25lookback_scan_determinismE0ELb1ELb1ES3_N6thrust23THRUST_200600_302600_NS6detail15normal_iteratorINS9_10device_ptrIjEEEESE_jNS9_4plusIvEEjEEDaPvRmT3_T4_T5_mT6_P12ihipStream_tbENKUlT_T0_E_clISt17integral_constantIbLb0EESU_EEDaSP_SQ_EUlSP_E0_NS1_11comp_targetILNS1_3genE5ELNS1_11target_archE942ELNS1_3gpuE9ELNS1_3repE0EEENS1_30default_config_static_selectorELNS0_4arch9wavefront6targetE1EEEvT1_
	.globl	_ZN7rocprim17ROCPRIM_400000_NS6detail17trampoline_kernelINS0_14default_configENS1_20scan_config_selectorIjEEZZNS1_9scan_implILNS1_25lookback_scan_determinismE0ELb1ELb1ES3_N6thrust23THRUST_200600_302600_NS6detail15normal_iteratorINS9_10device_ptrIjEEEESE_jNS9_4plusIvEEjEEDaPvRmT3_T4_T5_mT6_P12ihipStream_tbENKUlT_T0_E_clISt17integral_constantIbLb0EESU_EEDaSP_SQ_EUlSP_E0_NS1_11comp_targetILNS1_3genE5ELNS1_11target_archE942ELNS1_3gpuE9ELNS1_3repE0EEENS1_30default_config_static_selectorELNS0_4arch9wavefront6targetE1EEEvT1_
	.p2align	8
	.type	_ZN7rocprim17ROCPRIM_400000_NS6detail17trampoline_kernelINS0_14default_configENS1_20scan_config_selectorIjEEZZNS1_9scan_implILNS1_25lookback_scan_determinismE0ELb1ELb1ES3_N6thrust23THRUST_200600_302600_NS6detail15normal_iteratorINS9_10device_ptrIjEEEESE_jNS9_4plusIvEEjEEDaPvRmT3_T4_T5_mT6_P12ihipStream_tbENKUlT_T0_E_clISt17integral_constantIbLb0EESU_EEDaSP_SQ_EUlSP_E0_NS1_11comp_targetILNS1_3genE5ELNS1_11target_archE942ELNS1_3gpuE9ELNS1_3repE0EEENS1_30default_config_static_selectorELNS0_4arch9wavefront6targetE1EEEvT1_,@function
_ZN7rocprim17ROCPRIM_400000_NS6detail17trampoline_kernelINS0_14default_configENS1_20scan_config_selectorIjEEZZNS1_9scan_implILNS1_25lookback_scan_determinismE0ELb1ELb1ES3_N6thrust23THRUST_200600_302600_NS6detail15normal_iteratorINS9_10device_ptrIjEEEESE_jNS9_4plusIvEEjEEDaPvRmT3_T4_T5_mT6_P12ihipStream_tbENKUlT_T0_E_clISt17integral_constantIbLb0EESU_EEDaSP_SQ_EUlSP_E0_NS1_11comp_targetILNS1_3genE5ELNS1_11target_archE942ELNS1_3gpuE9ELNS1_3repE0EEENS1_30default_config_static_selectorELNS0_4arch9wavefront6targetE1EEEvT1_: ; @_ZN7rocprim17ROCPRIM_400000_NS6detail17trampoline_kernelINS0_14default_configENS1_20scan_config_selectorIjEEZZNS1_9scan_implILNS1_25lookback_scan_determinismE0ELb1ELb1ES3_N6thrust23THRUST_200600_302600_NS6detail15normal_iteratorINS9_10device_ptrIjEEEESE_jNS9_4plusIvEEjEEDaPvRmT3_T4_T5_mT6_P12ihipStream_tbENKUlT_T0_E_clISt17integral_constantIbLb0EESU_EEDaSP_SQ_EUlSP_E0_NS1_11comp_targetILNS1_3genE5ELNS1_11target_archE942ELNS1_3gpuE9ELNS1_3repE0EEENS1_30default_config_static_selectorELNS0_4arch9wavefront6targetE1EEEvT1_
; %bb.0:
	.section	.rodata,"a",@progbits
	.p2align	6, 0x0
	.amdhsa_kernel _ZN7rocprim17ROCPRIM_400000_NS6detail17trampoline_kernelINS0_14default_configENS1_20scan_config_selectorIjEEZZNS1_9scan_implILNS1_25lookback_scan_determinismE0ELb1ELb1ES3_N6thrust23THRUST_200600_302600_NS6detail15normal_iteratorINS9_10device_ptrIjEEEESE_jNS9_4plusIvEEjEEDaPvRmT3_T4_T5_mT6_P12ihipStream_tbENKUlT_T0_E_clISt17integral_constantIbLb0EESU_EEDaSP_SQ_EUlSP_E0_NS1_11comp_targetILNS1_3genE5ELNS1_11target_archE942ELNS1_3gpuE9ELNS1_3repE0EEENS1_30default_config_static_selectorELNS0_4arch9wavefront6targetE1EEEvT1_
		.amdhsa_group_segment_fixed_size 0
		.amdhsa_private_segment_fixed_size 0
		.amdhsa_kernarg_size 32
		.amdhsa_user_sgpr_count 6
		.amdhsa_user_sgpr_private_segment_buffer 1
		.amdhsa_user_sgpr_dispatch_ptr 0
		.amdhsa_user_sgpr_queue_ptr 0
		.amdhsa_user_sgpr_kernarg_segment_ptr 1
		.amdhsa_user_sgpr_dispatch_id 0
		.amdhsa_user_sgpr_flat_scratch_init 0
		.amdhsa_user_sgpr_kernarg_preload_length 0
		.amdhsa_user_sgpr_kernarg_preload_offset 0
		.amdhsa_user_sgpr_private_segment_size 0
		.amdhsa_uses_dynamic_stack 0
		.amdhsa_system_sgpr_private_segment_wavefront_offset 0
		.amdhsa_system_sgpr_workgroup_id_x 1
		.amdhsa_system_sgpr_workgroup_id_y 0
		.amdhsa_system_sgpr_workgroup_id_z 0
		.amdhsa_system_sgpr_workgroup_info 0
		.amdhsa_system_vgpr_workitem_id 0
		.amdhsa_next_free_vgpr 1
		.amdhsa_next_free_sgpr 0
		.amdhsa_accum_offset 4
		.amdhsa_reserve_vcc 0
		.amdhsa_reserve_flat_scratch 0
		.amdhsa_float_round_mode_32 0
		.amdhsa_float_round_mode_16_64 0
		.amdhsa_float_denorm_mode_32 3
		.amdhsa_float_denorm_mode_16_64 3
		.amdhsa_dx10_clamp 1
		.amdhsa_ieee_mode 1
		.amdhsa_fp16_overflow 0
		.amdhsa_tg_split 0
		.amdhsa_exception_fp_ieee_invalid_op 0
		.amdhsa_exception_fp_denorm_src 0
		.amdhsa_exception_fp_ieee_div_zero 0
		.amdhsa_exception_fp_ieee_overflow 0
		.amdhsa_exception_fp_ieee_underflow 0
		.amdhsa_exception_fp_ieee_inexact 0
		.amdhsa_exception_int_div_zero 0
	.end_amdhsa_kernel
	.section	.text._ZN7rocprim17ROCPRIM_400000_NS6detail17trampoline_kernelINS0_14default_configENS1_20scan_config_selectorIjEEZZNS1_9scan_implILNS1_25lookback_scan_determinismE0ELb1ELb1ES3_N6thrust23THRUST_200600_302600_NS6detail15normal_iteratorINS9_10device_ptrIjEEEESE_jNS9_4plusIvEEjEEDaPvRmT3_T4_T5_mT6_P12ihipStream_tbENKUlT_T0_E_clISt17integral_constantIbLb0EESU_EEDaSP_SQ_EUlSP_E0_NS1_11comp_targetILNS1_3genE5ELNS1_11target_archE942ELNS1_3gpuE9ELNS1_3repE0EEENS1_30default_config_static_selectorELNS0_4arch9wavefront6targetE1EEEvT1_,"axG",@progbits,_ZN7rocprim17ROCPRIM_400000_NS6detail17trampoline_kernelINS0_14default_configENS1_20scan_config_selectorIjEEZZNS1_9scan_implILNS1_25lookback_scan_determinismE0ELb1ELb1ES3_N6thrust23THRUST_200600_302600_NS6detail15normal_iteratorINS9_10device_ptrIjEEEESE_jNS9_4plusIvEEjEEDaPvRmT3_T4_T5_mT6_P12ihipStream_tbENKUlT_T0_E_clISt17integral_constantIbLb0EESU_EEDaSP_SQ_EUlSP_E0_NS1_11comp_targetILNS1_3genE5ELNS1_11target_archE942ELNS1_3gpuE9ELNS1_3repE0EEENS1_30default_config_static_selectorELNS0_4arch9wavefront6targetE1EEEvT1_,comdat
.Lfunc_end4656:
	.size	_ZN7rocprim17ROCPRIM_400000_NS6detail17trampoline_kernelINS0_14default_configENS1_20scan_config_selectorIjEEZZNS1_9scan_implILNS1_25lookback_scan_determinismE0ELb1ELb1ES3_N6thrust23THRUST_200600_302600_NS6detail15normal_iteratorINS9_10device_ptrIjEEEESE_jNS9_4plusIvEEjEEDaPvRmT3_T4_T5_mT6_P12ihipStream_tbENKUlT_T0_E_clISt17integral_constantIbLb0EESU_EEDaSP_SQ_EUlSP_E0_NS1_11comp_targetILNS1_3genE5ELNS1_11target_archE942ELNS1_3gpuE9ELNS1_3repE0EEENS1_30default_config_static_selectorELNS0_4arch9wavefront6targetE1EEEvT1_, .Lfunc_end4656-_ZN7rocprim17ROCPRIM_400000_NS6detail17trampoline_kernelINS0_14default_configENS1_20scan_config_selectorIjEEZZNS1_9scan_implILNS1_25lookback_scan_determinismE0ELb1ELb1ES3_N6thrust23THRUST_200600_302600_NS6detail15normal_iteratorINS9_10device_ptrIjEEEESE_jNS9_4plusIvEEjEEDaPvRmT3_T4_T5_mT6_P12ihipStream_tbENKUlT_T0_E_clISt17integral_constantIbLb0EESU_EEDaSP_SQ_EUlSP_E0_NS1_11comp_targetILNS1_3genE5ELNS1_11target_archE942ELNS1_3gpuE9ELNS1_3repE0EEENS1_30default_config_static_selectorELNS0_4arch9wavefront6targetE1EEEvT1_
                                        ; -- End function
	.section	.AMDGPU.csdata,"",@progbits
; Kernel info:
; codeLenInByte = 0
; NumSgprs: 4
; NumVgprs: 0
; NumAgprs: 0
; TotalNumVgprs: 0
; ScratchSize: 0
; MemoryBound: 0
; FloatMode: 240
; IeeeMode: 1
; LDSByteSize: 0 bytes/workgroup (compile time only)
; SGPRBlocks: 0
; VGPRBlocks: 0
; NumSGPRsForWavesPerEU: 4
; NumVGPRsForWavesPerEU: 1
; AccumOffset: 4
; Occupancy: 8
; WaveLimiterHint : 0
; COMPUTE_PGM_RSRC2:SCRATCH_EN: 0
; COMPUTE_PGM_RSRC2:USER_SGPR: 6
; COMPUTE_PGM_RSRC2:TRAP_HANDLER: 0
; COMPUTE_PGM_RSRC2:TGID_X_EN: 1
; COMPUTE_PGM_RSRC2:TGID_Y_EN: 0
; COMPUTE_PGM_RSRC2:TGID_Z_EN: 0
; COMPUTE_PGM_RSRC2:TIDIG_COMP_CNT: 0
; COMPUTE_PGM_RSRC3_GFX90A:ACCUM_OFFSET: 0
; COMPUTE_PGM_RSRC3_GFX90A:TG_SPLIT: 0
	.section	.text._ZN7rocprim17ROCPRIM_400000_NS6detail17trampoline_kernelINS0_14default_configENS1_20scan_config_selectorIjEEZZNS1_9scan_implILNS1_25lookback_scan_determinismE0ELb1ELb1ES3_N6thrust23THRUST_200600_302600_NS6detail15normal_iteratorINS9_10device_ptrIjEEEESE_jNS9_4plusIvEEjEEDaPvRmT3_T4_T5_mT6_P12ihipStream_tbENKUlT_T0_E_clISt17integral_constantIbLb0EESU_EEDaSP_SQ_EUlSP_E0_NS1_11comp_targetILNS1_3genE4ELNS1_11target_archE910ELNS1_3gpuE8ELNS1_3repE0EEENS1_30default_config_static_selectorELNS0_4arch9wavefront6targetE1EEEvT1_,"axG",@progbits,_ZN7rocprim17ROCPRIM_400000_NS6detail17trampoline_kernelINS0_14default_configENS1_20scan_config_selectorIjEEZZNS1_9scan_implILNS1_25lookback_scan_determinismE0ELb1ELb1ES3_N6thrust23THRUST_200600_302600_NS6detail15normal_iteratorINS9_10device_ptrIjEEEESE_jNS9_4plusIvEEjEEDaPvRmT3_T4_T5_mT6_P12ihipStream_tbENKUlT_T0_E_clISt17integral_constantIbLb0EESU_EEDaSP_SQ_EUlSP_E0_NS1_11comp_targetILNS1_3genE4ELNS1_11target_archE910ELNS1_3gpuE8ELNS1_3repE0EEENS1_30default_config_static_selectorELNS0_4arch9wavefront6targetE1EEEvT1_,comdat
	.protected	_ZN7rocprim17ROCPRIM_400000_NS6detail17trampoline_kernelINS0_14default_configENS1_20scan_config_selectorIjEEZZNS1_9scan_implILNS1_25lookback_scan_determinismE0ELb1ELb1ES3_N6thrust23THRUST_200600_302600_NS6detail15normal_iteratorINS9_10device_ptrIjEEEESE_jNS9_4plusIvEEjEEDaPvRmT3_T4_T5_mT6_P12ihipStream_tbENKUlT_T0_E_clISt17integral_constantIbLb0EESU_EEDaSP_SQ_EUlSP_E0_NS1_11comp_targetILNS1_3genE4ELNS1_11target_archE910ELNS1_3gpuE8ELNS1_3repE0EEENS1_30default_config_static_selectorELNS0_4arch9wavefront6targetE1EEEvT1_ ; -- Begin function _ZN7rocprim17ROCPRIM_400000_NS6detail17trampoline_kernelINS0_14default_configENS1_20scan_config_selectorIjEEZZNS1_9scan_implILNS1_25lookback_scan_determinismE0ELb1ELb1ES3_N6thrust23THRUST_200600_302600_NS6detail15normal_iteratorINS9_10device_ptrIjEEEESE_jNS9_4plusIvEEjEEDaPvRmT3_T4_T5_mT6_P12ihipStream_tbENKUlT_T0_E_clISt17integral_constantIbLb0EESU_EEDaSP_SQ_EUlSP_E0_NS1_11comp_targetILNS1_3genE4ELNS1_11target_archE910ELNS1_3gpuE8ELNS1_3repE0EEENS1_30default_config_static_selectorELNS0_4arch9wavefront6targetE1EEEvT1_
	.globl	_ZN7rocprim17ROCPRIM_400000_NS6detail17trampoline_kernelINS0_14default_configENS1_20scan_config_selectorIjEEZZNS1_9scan_implILNS1_25lookback_scan_determinismE0ELb1ELb1ES3_N6thrust23THRUST_200600_302600_NS6detail15normal_iteratorINS9_10device_ptrIjEEEESE_jNS9_4plusIvEEjEEDaPvRmT3_T4_T5_mT6_P12ihipStream_tbENKUlT_T0_E_clISt17integral_constantIbLb0EESU_EEDaSP_SQ_EUlSP_E0_NS1_11comp_targetILNS1_3genE4ELNS1_11target_archE910ELNS1_3gpuE8ELNS1_3repE0EEENS1_30default_config_static_selectorELNS0_4arch9wavefront6targetE1EEEvT1_
	.p2align	8
	.type	_ZN7rocprim17ROCPRIM_400000_NS6detail17trampoline_kernelINS0_14default_configENS1_20scan_config_selectorIjEEZZNS1_9scan_implILNS1_25lookback_scan_determinismE0ELb1ELb1ES3_N6thrust23THRUST_200600_302600_NS6detail15normal_iteratorINS9_10device_ptrIjEEEESE_jNS9_4plusIvEEjEEDaPvRmT3_T4_T5_mT6_P12ihipStream_tbENKUlT_T0_E_clISt17integral_constantIbLb0EESU_EEDaSP_SQ_EUlSP_E0_NS1_11comp_targetILNS1_3genE4ELNS1_11target_archE910ELNS1_3gpuE8ELNS1_3repE0EEENS1_30default_config_static_selectorELNS0_4arch9wavefront6targetE1EEEvT1_,@function
_ZN7rocprim17ROCPRIM_400000_NS6detail17trampoline_kernelINS0_14default_configENS1_20scan_config_selectorIjEEZZNS1_9scan_implILNS1_25lookback_scan_determinismE0ELb1ELb1ES3_N6thrust23THRUST_200600_302600_NS6detail15normal_iteratorINS9_10device_ptrIjEEEESE_jNS9_4plusIvEEjEEDaPvRmT3_T4_T5_mT6_P12ihipStream_tbENKUlT_T0_E_clISt17integral_constantIbLb0EESU_EEDaSP_SQ_EUlSP_E0_NS1_11comp_targetILNS1_3genE4ELNS1_11target_archE910ELNS1_3gpuE8ELNS1_3repE0EEENS1_30default_config_static_selectorELNS0_4arch9wavefront6targetE1EEEvT1_: ; @_ZN7rocprim17ROCPRIM_400000_NS6detail17trampoline_kernelINS0_14default_configENS1_20scan_config_selectorIjEEZZNS1_9scan_implILNS1_25lookback_scan_determinismE0ELb1ELb1ES3_N6thrust23THRUST_200600_302600_NS6detail15normal_iteratorINS9_10device_ptrIjEEEESE_jNS9_4plusIvEEjEEDaPvRmT3_T4_T5_mT6_P12ihipStream_tbENKUlT_T0_E_clISt17integral_constantIbLb0EESU_EEDaSP_SQ_EUlSP_E0_NS1_11comp_targetILNS1_3genE4ELNS1_11target_archE910ELNS1_3gpuE8ELNS1_3repE0EEENS1_30default_config_static_selectorELNS0_4arch9wavefront6targetE1EEEvT1_
; %bb.0:
	s_load_dwordx4 s[20:23], s[4:5], 0x0
	v_lshlrev_b32_e32 v14, 2, v0
	s_waitcnt lgkmcnt(0)
	s_load_dword s23, s[20:21], 0x0
	v_cmp_gt_u32_e32 vcc, s22, v0
	s_waitcnt lgkmcnt(0)
	v_mov_b32_e32 v1, s23
	s_and_saveexec_b64 s[0:1], vcc
	s_cbranch_execz .LBB4657_2
; %bb.1:
	global_load_dword v1, v14, s[20:21]
.LBB4657_2:
	s_or_b64 exec, exec, s[0:1]
	v_or_b32_e32 v2, 0x80, v0
	v_cmp_gt_u32_e64 s[0:1], s22, v2
	v_mov_b32_e32 v2, s23
	s_and_saveexec_b64 s[2:3], s[0:1]
	s_cbranch_execz .LBB4657_4
; %bb.3:
	global_load_dword v2, v14, s[20:21] offset:512
.LBB4657_4:
	s_or_b64 exec, exec, s[2:3]
	v_or_b32_e32 v3, 0x100, v0
	v_cmp_gt_u32_e64 s[2:3], s22, v3
	v_mov_b32_e32 v3, s23
	s_and_saveexec_b64 s[6:7], s[2:3]
	s_cbranch_execz .LBB4657_6
; %bb.5:
	global_load_dword v3, v14, s[20:21] offset:1024
.LBB4657_6:
	;; [unrolled: 9-line block ×7, first 2 shown]
	s_or_b64 exec, exec, s[14:15]
	v_or_b32_e32 v10, 0x400, v0
	v_cmp_gt_u32_e64 s[14:15], s22, v10
	v_mov_b32_e32 v9, s23
	s_and_saveexec_b64 s[16:17], s[14:15]
	s_cbranch_execz .LBB4657_18
; %bb.17:
	v_lshlrev_b32_e32 v9, 2, v10
	global_load_dword v9, v9, s[20:21]
.LBB4657_18:
	s_or_b64 exec, exec, s[16:17]
	s_load_dword s24, s[4:5], 0x10
	v_or_b32_e32 v11, 0x480, v0
	v_cmp_gt_u32_e64 s[16:17], s22, v11
	v_mov_b32_e32 v10, s23
	s_and_saveexec_b64 s[22:23], s[16:17]
	s_cbranch_execz .LBB4657_20
; %bb.19:
	v_lshlrev_b32_e32 v10, 2, v11
	global_load_dword v10, v10, s[20:21]
.LBB4657_20:
	s_or_b64 exec, exec, s[22:23]
	s_waitcnt vmcnt(0)
	ds_write2st64_b32 v14, v1, v2 offset1:2
	ds_write2st64_b32 v14, v3, v4 offset0:4 offset1:6
	ds_write2st64_b32 v14, v5, v6 offset0:8 offset1:10
	;; [unrolled: 1-line block ×4, first 2 shown]
	v_mad_u32_u24 v1, v0, 36, v14
	s_waitcnt lgkmcnt(0)
	s_barrier
	ds_read2_b64 v[6:9], v1 offset1:1
	ds_read2_b64 v[2:5], v1 offset0:2 offset1:3
	ds_read_b64 v[10:11], v1 offset:32
	s_load_dwordx2 s[20:21], s[4:5], 0x18
	v_cmp_gt_u32_e64 s[4:5], 64, v0
	s_waitcnt lgkmcnt(0)
	v_add_u32_e32 v1, v7, v6
	v_add3_u32 v1, v1, v8, v9
	v_add3_u32 v1, v1, v2, v3
	;; [unrolled: 1-line block ×4, first 2 shown]
	v_lshrrev_b32_e32 v11, 3, v0
	v_and_b32_e32 v11, 12, v11
	v_add_u32_e32 v11, v14, v11
	s_barrier
	ds_write_b32 v11, v1
	s_waitcnt lgkmcnt(0)
	s_barrier
	s_and_saveexec_b64 s[22:23], s[4:5]
	s_cbranch_execz .LBB4657_22
; %bb.21:
	v_lshlrev_b32_e32 v11, 1, v0
	v_lshrrev_b32_e32 v12, 4, v0
	v_add_lshl_u32 v11, v12, v11, 2
	ds_read2_b32 v[12:13], v11 offset1:1
	v_mbcnt_lo_u32_b32 v15, -1, 0
	v_mbcnt_hi_u32_b32 v15, -1, v15
	v_and_b32_e32 v16, 15, v15
	v_cmp_ne_u32_e64 s[4:5], 0, v16
	s_waitcnt lgkmcnt(0)
	v_add_u32_e32 v13, v13, v12
	; wave barrier
	s_nop 1
	v_mov_b32_dpp v17, v13 row_shr:1 row_mask:0xf bank_mask:0xf
	v_cndmask_b32_e64 v17, 0, v17, s[4:5]
	v_add_u32_e32 v13, v17, v13
	v_cmp_lt_u32_e64 s[4:5], 1, v16
	s_nop 0
	v_mov_b32_dpp v17, v13 row_shr:2 row_mask:0xf bank_mask:0xf
	v_cndmask_b32_e64 v17, 0, v17, s[4:5]
	v_add_u32_e32 v13, v13, v17
	v_cmp_lt_u32_e64 s[4:5], 3, v16
	;; [unrolled: 5-line block ×3, first 2 shown]
	s_nop 0
	v_mov_b32_dpp v17, v13 row_shr:8 row_mask:0xf bank_mask:0xf
	v_cndmask_b32_e64 v16, 0, v17, s[4:5]
	v_add_u32_e32 v13, v13, v16
	v_bfe_i32 v17, v15, 4, 1
	v_cmp_lt_u32_e64 s[4:5], 31, v15
	v_mov_b32_dpp v16, v13 row_bcast:15 row_mask:0xf bank_mask:0xf
	v_and_b32_e32 v16, v17, v16
	v_add_u32_e32 v13, v13, v16
	v_and_b32_e32 v17, 64, v15
	s_nop 0
	v_mov_b32_dpp v16, v13 row_bcast:31 row_mask:0xf bank_mask:0xf
	v_cndmask_b32_e64 v16, 0, v16, s[4:5]
	v_add_u32_e32 v13, v13, v16
	v_add_u32_e32 v16, -1, v15
	v_cmp_lt_i32_e64 s[4:5], v16, v17
	v_cndmask_b32_e64 v15, v16, v15, s[4:5]
	v_lshlrev_b32_e32 v15, 2, v15
	ds_bpermute_b32 v13, v15, v13
	v_cmp_eq_u32_e64 s[4:5], 0, v0
	s_waitcnt lgkmcnt(0)
	v_add_u32_e32 v12, v13, v12
	v_cndmask_b32_e64 v1, v12, v1, s[4:5]
	ds_write_b32 v11, v1
	; wave barrier
	ds_read_b32 v12, v11 offset:4
	s_waitcnt lgkmcnt(0)
	v_add_u32_e32 v1, v12, v1
	ds_write_b32 v11, v1 offset:4
.LBB4657_22:
	s_or_b64 exec, exec, s[22:23]
	v_mul_u32_u24_e32 v1, 36, v0
	v_cmp_ne_u32_e64 s[4:5], 0, v0
	v_mov_b32_e32 v12, s24
	s_waitcnt lgkmcnt(0)
	s_barrier
	s_and_saveexec_b64 s[22:23], s[4:5]
	s_cbranch_execz .LBB4657_24
; %bb.23:
	v_add_u32_e32 v0, -1, v0
	v_lshrrev_b32_e32 v11, 5, v0
	v_add_lshl_u32 v0, v11, v0, 2
	ds_read_b32 v0, v0
	s_waitcnt lgkmcnt(0)
	v_add_u32_e32 v12, s24, v0
.LBB4657_24:
	s_or_b64 exec, exec, s[22:23]
	v_add_u32_e32 v13, v12, v6
	v_add_u32_e32 v6, v13, v7
	;; [unrolled: 1-line block ×10, first 2 shown]
	s_barrier
	ds_write2_b64 v0, v[12:13], v[6:7] offset1:1
	ds_write2_b64 v0, v[8:9], v[2:3] offset0:2 offset1:3
	ds_write_b64 v0, v[4:5] offset:32
	s_waitcnt lgkmcnt(0)
	s_barrier
	ds_read2st64_b32 v[8:9], v14 offset0:2 offset1:4
	ds_read2st64_b32 v[6:7], v14 offset0:6 offset1:8
	ds_read2st64_b32 v[4:5], v14 offset0:10 offset1:12
	ds_read2st64_b32 v[2:3], v14 offset0:14 offset1:16
	ds_read_b32 v10, v14 offset:4608
	v_mov_b32_e32 v1, s21
	v_add_co_u32_e64 v0, s[4:5], s20, v14
	v_addc_co_u32_e64 v1, s[4:5], 0, v1, s[4:5]
	s_and_saveexec_b64 s[4:5], vcc
	s_cbranch_execnz .LBB4657_35
; %bb.25:
	s_or_b64 exec, exec, s[4:5]
	s_and_saveexec_b64 s[4:5], s[0:1]
	s_cbranch_execnz .LBB4657_36
.LBB4657_26:
	s_or_b64 exec, exec, s[4:5]
	s_and_saveexec_b64 s[0:1], s[2:3]
	s_cbranch_execnz .LBB4657_37
.LBB4657_27:
	s_or_b64 exec, exec, s[0:1]
	s_and_saveexec_b64 s[0:1], s[18:19]
	s_cbranch_execnz .LBB4657_38
.LBB4657_28:
	s_or_b64 exec, exec, s[0:1]
	s_and_saveexec_b64 s[0:1], s[6:7]
	s_cbranch_execnz .LBB4657_39
.LBB4657_29:
	s_or_b64 exec, exec, s[0:1]
	s_and_saveexec_b64 s[0:1], s[8:9]
	s_cbranch_execnz .LBB4657_40
.LBB4657_30:
	s_or_b64 exec, exec, s[0:1]
	s_and_saveexec_b64 s[0:1], s[10:11]
	s_cbranch_execnz .LBB4657_41
.LBB4657_31:
	s_or_b64 exec, exec, s[0:1]
	s_and_saveexec_b64 s[0:1], s[12:13]
	s_cbranch_execnz .LBB4657_42
.LBB4657_32:
	s_or_b64 exec, exec, s[0:1]
	s_and_saveexec_b64 s[0:1], s[14:15]
	s_cbranch_execnz .LBB4657_43
.LBB4657_33:
	s_or_b64 exec, exec, s[0:1]
	s_and_saveexec_b64 s[0:1], s[16:17]
	s_cbranch_execnz .LBB4657_44
.LBB4657_34:
	s_endpgm
.LBB4657_35:
	ds_read_b32 v11, v14
	s_waitcnt lgkmcnt(0)
	global_store_dword v[0:1], v11, off
	s_or_b64 exec, exec, s[4:5]
	s_and_saveexec_b64 s[4:5], s[0:1]
	s_cbranch_execz .LBB4657_26
.LBB4657_36:
	s_waitcnt lgkmcnt(4)
	global_store_dword v[0:1], v8, off offset:512
	s_or_b64 exec, exec, s[4:5]
	s_and_saveexec_b64 s[0:1], s[2:3]
	s_cbranch_execz .LBB4657_27
.LBB4657_37:
	s_waitcnt lgkmcnt(4)
	global_store_dword v[0:1], v9, off offset:1024
	s_or_b64 exec, exec, s[0:1]
	s_and_saveexec_b64 s[0:1], s[18:19]
	s_cbranch_execz .LBB4657_28
.LBB4657_38:
	s_waitcnt lgkmcnt(3)
	global_store_dword v[0:1], v6, off offset:1536
	s_or_b64 exec, exec, s[0:1]
	s_and_saveexec_b64 s[0:1], s[6:7]
	s_cbranch_execz .LBB4657_29
.LBB4657_39:
	s_waitcnt lgkmcnt(3)
	global_store_dword v[0:1], v7, off offset:2048
	s_or_b64 exec, exec, s[0:1]
	s_and_saveexec_b64 s[0:1], s[8:9]
	s_cbranch_execz .LBB4657_30
.LBB4657_40:
	s_waitcnt lgkmcnt(2)
	global_store_dword v[0:1], v4, off offset:2560
	s_or_b64 exec, exec, s[0:1]
	s_and_saveexec_b64 s[0:1], s[10:11]
	s_cbranch_execz .LBB4657_31
.LBB4657_41:
	s_waitcnt lgkmcnt(2)
	global_store_dword v[0:1], v5, off offset:3072
	s_or_b64 exec, exec, s[0:1]
	s_and_saveexec_b64 s[0:1], s[12:13]
	s_cbranch_execz .LBB4657_32
.LBB4657_42:
	s_waitcnt lgkmcnt(1)
	global_store_dword v[0:1], v2, off offset:3584
	s_or_b64 exec, exec, s[0:1]
	s_and_saveexec_b64 s[0:1], s[14:15]
	s_cbranch_execz .LBB4657_33
.LBB4657_43:
	s_waitcnt lgkmcnt(2)
	v_add_co_u32_e32 v4, vcc, 0x1000, v0
	v_addc_co_u32_e32 v5, vcc, 0, v1, vcc
	s_waitcnt lgkmcnt(1)
	global_store_dword v[4:5], v3, off
	s_or_b64 exec, exec, s[0:1]
	s_and_saveexec_b64 s[0:1], s[16:17]
	s_cbranch_execz .LBB4657_34
.LBB4657_44:
	v_add_co_u32_e32 v0, vcc, 0x1000, v0
	v_addc_co_u32_e32 v1, vcc, 0, v1, vcc
	s_waitcnt lgkmcnt(0)
	global_store_dword v[0:1], v10, off offset:512
	s_endpgm
	.section	.rodata,"a",@progbits
	.p2align	6, 0x0
	.amdhsa_kernel _ZN7rocprim17ROCPRIM_400000_NS6detail17trampoline_kernelINS0_14default_configENS1_20scan_config_selectorIjEEZZNS1_9scan_implILNS1_25lookback_scan_determinismE0ELb1ELb1ES3_N6thrust23THRUST_200600_302600_NS6detail15normal_iteratorINS9_10device_ptrIjEEEESE_jNS9_4plusIvEEjEEDaPvRmT3_T4_T5_mT6_P12ihipStream_tbENKUlT_T0_E_clISt17integral_constantIbLb0EESU_EEDaSP_SQ_EUlSP_E0_NS1_11comp_targetILNS1_3genE4ELNS1_11target_archE910ELNS1_3gpuE8ELNS1_3repE0EEENS1_30default_config_static_selectorELNS0_4arch9wavefront6targetE1EEEvT1_
		.amdhsa_group_segment_fixed_size 5120
		.amdhsa_private_segment_fixed_size 0
		.amdhsa_kernarg_size 32
		.amdhsa_user_sgpr_count 6
		.amdhsa_user_sgpr_private_segment_buffer 1
		.amdhsa_user_sgpr_dispatch_ptr 0
		.amdhsa_user_sgpr_queue_ptr 0
		.amdhsa_user_sgpr_kernarg_segment_ptr 1
		.amdhsa_user_sgpr_dispatch_id 0
		.amdhsa_user_sgpr_flat_scratch_init 0
		.amdhsa_user_sgpr_kernarg_preload_length 0
		.amdhsa_user_sgpr_kernarg_preload_offset 0
		.amdhsa_user_sgpr_private_segment_size 0
		.amdhsa_uses_dynamic_stack 0
		.amdhsa_system_sgpr_private_segment_wavefront_offset 0
		.amdhsa_system_sgpr_workgroup_id_x 1
		.amdhsa_system_sgpr_workgroup_id_y 0
		.amdhsa_system_sgpr_workgroup_id_z 0
		.amdhsa_system_sgpr_workgroup_info 0
		.amdhsa_system_vgpr_workitem_id 0
		.amdhsa_next_free_vgpr 18
		.amdhsa_next_free_sgpr 25
		.amdhsa_accum_offset 20
		.amdhsa_reserve_vcc 1
		.amdhsa_reserve_flat_scratch 0
		.amdhsa_float_round_mode_32 0
		.amdhsa_float_round_mode_16_64 0
		.amdhsa_float_denorm_mode_32 3
		.amdhsa_float_denorm_mode_16_64 3
		.amdhsa_dx10_clamp 1
		.amdhsa_ieee_mode 1
		.amdhsa_fp16_overflow 0
		.amdhsa_tg_split 0
		.amdhsa_exception_fp_ieee_invalid_op 0
		.amdhsa_exception_fp_denorm_src 0
		.amdhsa_exception_fp_ieee_div_zero 0
		.amdhsa_exception_fp_ieee_overflow 0
		.amdhsa_exception_fp_ieee_underflow 0
		.amdhsa_exception_fp_ieee_inexact 0
		.amdhsa_exception_int_div_zero 0
	.end_amdhsa_kernel
	.section	.text._ZN7rocprim17ROCPRIM_400000_NS6detail17trampoline_kernelINS0_14default_configENS1_20scan_config_selectorIjEEZZNS1_9scan_implILNS1_25lookback_scan_determinismE0ELb1ELb1ES3_N6thrust23THRUST_200600_302600_NS6detail15normal_iteratorINS9_10device_ptrIjEEEESE_jNS9_4plusIvEEjEEDaPvRmT3_T4_T5_mT6_P12ihipStream_tbENKUlT_T0_E_clISt17integral_constantIbLb0EESU_EEDaSP_SQ_EUlSP_E0_NS1_11comp_targetILNS1_3genE4ELNS1_11target_archE910ELNS1_3gpuE8ELNS1_3repE0EEENS1_30default_config_static_selectorELNS0_4arch9wavefront6targetE1EEEvT1_,"axG",@progbits,_ZN7rocprim17ROCPRIM_400000_NS6detail17trampoline_kernelINS0_14default_configENS1_20scan_config_selectorIjEEZZNS1_9scan_implILNS1_25lookback_scan_determinismE0ELb1ELb1ES3_N6thrust23THRUST_200600_302600_NS6detail15normal_iteratorINS9_10device_ptrIjEEEESE_jNS9_4plusIvEEjEEDaPvRmT3_T4_T5_mT6_P12ihipStream_tbENKUlT_T0_E_clISt17integral_constantIbLb0EESU_EEDaSP_SQ_EUlSP_E0_NS1_11comp_targetILNS1_3genE4ELNS1_11target_archE910ELNS1_3gpuE8ELNS1_3repE0EEENS1_30default_config_static_selectorELNS0_4arch9wavefront6targetE1EEEvT1_,comdat
.Lfunc_end4657:
	.size	_ZN7rocprim17ROCPRIM_400000_NS6detail17trampoline_kernelINS0_14default_configENS1_20scan_config_selectorIjEEZZNS1_9scan_implILNS1_25lookback_scan_determinismE0ELb1ELb1ES3_N6thrust23THRUST_200600_302600_NS6detail15normal_iteratorINS9_10device_ptrIjEEEESE_jNS9_4plusIvEEjEEDaPvRmT3_T4_T5_mT6_P12ihipStream_tbENKUlT_T0_E_clISt17integral_constantIbLb0EESU_EEDaSP_SQ_EUlSP_E0_NS1_11comp_targetILNS1_3genE4ELNS1_11target_archE910ELNS1_3gpuE8ELNS1_3repE0EEENS1_30default_config_static_selectorELNS0_4arch9wavefront6targetE1EEEvT1_, .Lfunc_end4657-_ZN7rocprim17ROCPRIM_400000_NS6detail17trampoline_kernelINS0_14default_configENS1_20scan_config_selectorIjEEZZNS1_9scan_implILNS1_25lookback_scan_determinismE0ELb1ELb1ES3_N6thrust23THRUST_200600_302600_NS6detail15normal_iteratorINS9_10device_ptrIjEEEESE_jNS9_4plusIvEEjEEDaPvRmT3_T4_T5_mT6_P12ihipStream_tbENKUlT_T0_E_clISt17integral_constantIbLb0EESU_EEDaSP_SQ_EUlSP_E0_NS1_11comp_targetILNS1_3genE4ELNS1_11target_archE910ELNS1_3gpuE8ELNS1_3repE0EEENS1_30default_config_static_selectorELNS0_4arch9wavefront6targetE1EEEvT1_
                                        ; -- End function
	.section	.AMDGPU.csdata,"",@progbits
; Kernel info:
; codeLenInByte = 1536
; NumSgprs: 29
; NumVgprs: 18
; NumAgprs: 0
; TotalNumVgprs: 18
; ScratchSize: 0
; MemoryBound: 0
; FloatMode: 240
; IeeeMode: 1
; LDSByteSize: 5120 bytes/workgroup (compile time only)
; SGPRBlocks: 3
; VGPRBlocks: 2
; NumSGPRsForWavesPerEU: 29
; NumVGPRsForWavesPerEU: 18
; AccumOffset: 20
; Occupancy: 6
; WaveLimiterHint : 0
; COMPUTE_PGM_RSRC2:SCRATCH_EN: 0
; COMPUTE_PGM_RSRC2:USER_SGPR: 6
; COMPUTE_PGM_RSRC2:TRAP_HANDLER: 0
; COMPUTE_PGM_RSRC2:TGID_X_EN: 1
; COMPUTE_PGM_RSRC2:TGID_Y_EN: 0
; COMPUTE_PGM_RSRC2:TGID_Z_EN: 0
; COMPUTE_PGM_RSRC2:TIDIG_COMP_CNT: 0
; COMPUTE_PGM_RSRC3_GFX90A:ACCUM_OFFSET: 4
; COMPUTE_PGM_RSRC3_GFX90A:TG_SPLIT: 0
	.section	.text._ZN7rocprim17ROCPRIM_400000_NS6detail17trampoline_kernelINS0_14default_configENS1_20scan_config_selectorIjEEZZNS1_9scan_implILNS1_25lookback_scan_determinismE0ELb1ELb1ES3_N6thrust23THRUST_200600_302600_NS6detail15normal_iteratorINS9_10device_ptrIjEEEESE_jNS9_4plusIvEEjEEDaPvRmT3_T4_T5_mT6_P12ihipStream_tbENKUlT_T0_E_clISt17integral_constantIbLb0EESU_EEDaSP_SQ_EUlSP_E0_NS1_11comp_targetILNS1_3genE3ELNS1_11target_archE908ELNS1_3gpuE7ELNS1_3repE0EEENS1_30default_config_static_selectorELNS0_4arch9wavefront6targetE1EEEvT1_,"axG",@progbits,_ZN7rocprim17ROCPRIM_400000_NS6detail17trampoline_kernelINS0_14default_configENS1_20scan_config_selectorIjEEZZNS1_9scan_implILNS1_25lookback_scan_determinismE0ELb1ELb1ES3_N6thrust23THRUST_200600_302600_NS6detail15normal_iteratorINS9_10device_ptrIjEEEESE_jNS9_4plusIvEEjEEDaPvRmT3_T4_T5_mT6_P12ihipStream_tbENKUlT_T0_E_clISt17integral_constantIbLb0EESU_EEDaSP_SQ_EUlSP_E0_NS1_11comp_targetILNS1_3genE3ELNS1_11target_archE908ELNS1_3gpuE7ELNS1_3repE0EEENS1_30default_config_static_selectorELNS0_4arch9wavefront6targetE1EEEvT1_,comdat
	.protected	_ZN7rocprim17ROCPRIM_400000_NS6detail17trampoline_kernelINS0_14default_configENS1_20scan_config_selectorIjEEZZNS1_9scan_implILNS1_25lookback_scan_determinismE0ELb1ELb1ES3_N6thrust23THRUST_200600_302600_NS6detail15normal_iteratorINS9_10device_ptrIjEEEESE_jNS9_4plusIvEEjEEDaPvRmT3_T4_T5_mT6_P12ihipStream_tbENKUlT_T0_E_clISt17integral_constantIbLb0EESU_EEDaSP_SQ_EUlSP_E0_NS1_11comp_targetILNS1_3genE3ELNS1_11target_archE908ELNS1_3gpuE7ELNS1_3repE0EEENS1_30default_config_static_selectorELNS0_4arch9wavefront6targetE1EEEvT1_ ; -- Begin function _ZN7rocprim17ROCPRIM_400000_NS6detail17trampoline_kernelINS0_14default_configENS1_20scan_config_selectorIjEEZZNS1_9scan_implILNS1_25lookback_scan_determinismE0ELb1ELb1ES3_N6thrust23THRUST_200600_302600_NS6detail15normal_iteratorINS9_10device_ptrIjEEEESE_jNS9_4plusIvEEjEEDaPvRmT3_T4_T5_mT6_P12ihipStream_tbENKUlT_T0_E_clISt17integral_constantIbLb0EESU_EEDaSP_SQ_EUlSP_E0_NS1_11comp_targetILNS1_3genE3ELNS1_11target_archE908ELNS1_3gpuE7ELNS1_3repE0EEENS1_30default_config_static_selectorELNS0_4arch9wavefront6targetE1EEEvT1_
	.globl	_ZN7rocprim17ROCPRIM_400000_NS6detail17trampoline_kernelINS0_14default_configENS1_20scan_config_selectorIjEEZZNS1_9scan_implILNS1_25lookback_scan_determinismE0ELb1ELb1ES3_N6thrust23THRUST_200600_302600_NS6detail15normal_iteratorINS9_10device_ptrIjEEEESE_jNS9_4plusIvEEjEEDaPvRmT3_T4_T5_mT6_P12ihipStream_tbENKUlT_T0_E_clISt17integral_constantIbLb0EESU_EEDaSP_SQ_EUlSP_E0_NS1_11comp_targetILNS1_3genE3ELNS1_11target_archE908ELNS1_3gpuE7ELNS1_3repE0EEENS1_30default_config_static_selectorELNS0_4arch9wavefront6targetE1EEEvT1_
	.p2align	8
	.type	_ZN7rocprim17ROCPRIM_400000_NS6detail17trampoline_kernelINS0_14default_configENS1_20scan_config_selectorIjEEZZNS1_9scan_implILNS1_25lookback_scan_determinismE0ELb1ELb1ES3_N6thrust23THRUST_200600_302600_NS6detail15normal_iteratorINS9_10device_ptrIjEEEESE_jNS9_4plusIvEEjEEDaPvRmT3_T4_T5_mT6_P12ihipStream_tbENKUlT_T0_E_clISt17integral_constantIbLb0EESU_EEDaSP_SQ_EUlSP_E0_NS1_11comp_targetILNS1_3genE3ELNS1_11target_archE908ELNS1_3gpuE7ELNS1_3repE0EEENS1_30default_config_static_selectorELNS0_4arch9wavefront6targetE1EEEvT1_,@function
_ZN7rocprim17ROCPRIM_400000_NS6detail17trampoline_kernelINS0_14default_configENS1_20scan_config_selectorIjEEZZNS1_9scan_implILNS1_25lookback_scan_determinismE0ELb1ELb1ES3_N6thrust23THRUST_200600_302600_NS6detail15normal_iteratorINS9_10device_ptrIjEEEESE_jNS9_4plusIvEEjEEDaPvRmT3_T4_T5_mT6_P12ihipStream_tbENKUlT_T0_E_clISt17integral_constantIbLb0EESU_EEDaSP_SQ_EUlSP_E0_NS1_11comp_targetILNS1_3genE3ELNS1_11target_archE908ELNS1_3gpuE7ELNS1_3repE0EEENS1_30default_config_static_selectorELNS0_4arch9wavefront6targetE1EEEvT1_: ; @_ZN7rocprim17ROCPRIM_400000_NS6detail17trampoline_kernelINS0_14default_configENS1_20scan_config_selectorIjEEZZNS1_9scan_implILNS1_25lookback_scan_determinismE0ELb1ELb1ES3_N6thrust23THRUST_200600_302600_NS6detail15normal_iteratorINS9_10device_ptrIjEEEESE_jNS9_4plusIvEEjEEDaPvRmT3_T4_T5_mT6_P12ihipStream_tbENKUlT_T0_E_clISt17integral_constantIbLb0EESU_EEDaSP_SQ_EUlSP_E0_NS1_11comp_targetILNS1_3genE3ELNS1_11target_archE908ELNS1_3gpuE7ELNS1_3repE0EEENS1_30default_config_static_selectorELNS0_4arch9wavefront6targetE1EEEvT1_
; %bb.0:
	.section	.rodata,"a",@progbits
	.p2align	6, 0x0
	.amdhsa_kernel _ZN7rocprim17ROCPRIM_400000_NS6detail17trampoline_kernelINS0_14default_configENS1_20scan_config_selectorIjEEZZNS1_9scan_implILNS1_25lookback_scan_determinismE0ELb1ELb1ES3_N6thrust23THRUST_200600_302600_NS6detail15normal_iteratorINS9_10device_ptrIjEEEESE_jNS9_4plusIvEEjEEDaPvRmT3_T4_T5_mT6_P12ihipStream_tbENKUlT_T0_E_clISt17integral_constantIbLb0EESU_EEDaSP_SQ_EUlSP_E0_NS1_11comp_targetILNS1_3genE3ELNS1_11target_archE908ELNS1_3gpuE7ELNS1_3repE0EEENS1_30default_config_static_selectorELNS0_4arch9wavefront6targetE1EEEvT1_
		.amdhsa_group_segment_fixed_size 0
		.amdhsa_private_segment_fixed_size 0
		.amdhsa_kernarg_size 32
		.amdhsa_user_sgpr_count 6
		.amdhsa_user_sgpr_private_segment_buffer 1
		.amdhsa_user_sgpr_dispatch_ptr 0
		.amdhsa_user_sgpr_queue_ptr 0
		.amdhsa_user_sgpr_kernarg_segment_ptr 1
		.amdhsa_user_sgpr_dispatch_id 0
		.amdhsa_user_sgpr_flat_scratch_init 0
		.amdhsa_user_sgpr_kernarg_preload_length 0
		.amdhsa_user_sgpr_kernarg_preload_offset 0
		.amdhsa_user_sgpr_private_segment_size 0
		.amdhsa_uses_dynamic_stack 0
		.amdhsa_system_sgpr_private_segment_wavefront_offset 0
		.amdhsa_system_sgpr_workgroup_id_x 1
		.amdhsa_system_sgpr_workgroup_id_y 0
		.amdhsa_system_sgpr_workgroup_id_z 0
		.amdhsa_system_sgpr_workgroup_info 0
		.amdhsa_system_vgpr_workitem_id 0
		.amdhsa_next_free_vgpr 1
		.amdhsa_next_free_sgpr 0
		.amdhsa_accum_offset 4
		.amdhsa_reserve_vcc 0
		.amdhsa_reserve_flat_scratch 0
		.amdhsa_float_round_mode_32 0
		.amdhsa_float_round_mode_16_64 0
		.amdhsa_float_denorm_mode_32 3
		.amdhsa_float_denorm_mode_16_64 3
		.amdhsa_dx10_clamp 1
		.amdhsa_ieee_mode 1
		.amdhsa_fp16_overflow 0
		.amdhsa_tg_split 0
		.amdhsa_exception_fp_ieee_invalid_op 0
		.amdhsa_exception_fp_denorm_src 0
		.amdhsa_exception_fp_ieee_div_zero 0
		.amdhsa_exception_fp_ieee_overflow 0
		.amdhsa_exception_fp_ieee_underflow 0
		.amdhsa_exception_fp_ieee_inexact 0
		.amdhsa_exception_int_div_zero 0
	.end_amdhsa_kernel
	.section	.text._ZN7rocprim17ROCPRIM_400000_NS6detail17trampoline_kernelINS0_14default_configENS1_20scan_config_selectorIjEEZZNS1_9scan_implILNS1_25lookback_scan_determinismE0ELb1ELb1ES3_N6thrust23THRUST_200600_302600_NS6detail15normal_iteratorINS9_10device_ptrIjEEEESE_jNS9_4plusIvEEjEEDaPvRmT3_T4_T5_mT6_P12ihipStream_tbENKUlT_T0_E_clISt17integral_constantIbLb0EESU_EEDaSP_SQ_EUlSP_E0_NS1_11comp_targetILNS1_3genE3ELNS1_11target_archE908ELNS1_3gpuE7ELNS1_3repE0EEENS1_30default_config_static_selectorELNS0_4arch9wavefront6targetE1EEEvT1_,"axG",@progbits,_ZN7rocprim17ROCPRIM_400000_NS6detail17trampoline_kernelINS0_14default_configENS1_20scan_config_selectorIjEEZZNS1_9scan_implILNS1_25lookback_scan_determinismE0ELb1ELb1ES3_N6thrust23THRUST_200600_302600_NS6detail15normal_iteratorINS9_10device_ptrIjEEEESE_jNS9_4plusIvEEjEEDaPvRmT3_T4_T5_mT6_P12ihipStream_tbENKUlT_T0_E_clISt17integral_constantIbLb0EESU_EEDaSP_SQ_EUlSP_E0_NS1_11comp_targetILNS1_3genE3ELNS1_11target_archE908ELNS1_3gpuE7ELNS1_3repE0EEENS1_30default_config_static_selectorELNS0_4arch9wavefront6targetE1EEEvT1_,comdat
.Lfunc_end4658:
	.size	_ZN7rocprim17ROCPRIM_400000_NS6detail17trampoline_kernelINS0_14default_configENS1_20scan_config_selectorIjEEZZNS1_9scan_implILNS1_25lookback_scan_determinismE0ELb1ELb1ES3_N6thrust23THRUST_200600_302600_NS6detail15normal_iteratorINS9_10device_ptrIjEEEESE_jNS9_4plusIvEEjEEDaPvRmT3_T4_T5_mT6_P12ihipStream_tbENKUlT_T0_E_clISt17integral_constantIbLb0EESU_EEDaSP_SQ_EUlSP_E0_NS1_11comp_targetILNS1_3genE3ELNS1_11target_archE908ELNS1_3gpuE7ELNS1_3repE0EEENS1_30default_config_static_selectorELNS0_4arch9wavefront6targetE1EEEvT1_, .Lfunc_end4658-_ZN7rocprim17ROCPRIM_400000_NS6detail17trampoline_kernelINS0_14default_configENS1_20scan_config_selectorIjEEZZNS1_9scan_implILNS1_25lookback_scan_determinismE0ELb1ELb1ES3_N6thrust23THRUST_200600_302600_NS6detail15normal_iteratorINS9_10device_ptrIjEEEESE_jNS9_4plusIvEEjEEDaPvRmT3_T4_T5_mT6_P12ihipStream_tbENKUlT_T0_E_clISt17integral_constantIbLb0EESU_EEDaSP_SQ_EUlSP_E0_NS1_11comp_targetILNS1_3genE3ELNS1_11target_archE908ELNS1_3gpuE7ELNS1_3repE0EEENS1_30default_config_static_selectorELNS0_4arch9wavefront6targetE1EEEvT1_
                                        ; -- End function
	.section	.AMDGPU.csdata,"",@progbits
; Kernel info:
; codeLenInByte = 0
; NumSgprs: 4
; NumVgprs: 0
; NumAgprs: 0
; TotalNumVgprs: 0
; ScratchSize: 0
; MemoryBound: 0
; FloatMode: 240
; IeeeMode: 1
; LDSByteSize: 0 bytes/workgroup (compile time only)
; SGPRBlocks: 0
; VGPRBlocks: 0
; NumSGPRsForWavesPerEU: 4
; NumVGPRsForWavesPerEU: 1
; AccumOffset: 4
; Occupancy: 8
; WaveLimiterHint : 0
; COMPUTE_PGM_RSRC2:SCRATCH_EN: 0
; COMPUTE_PGM_RSRC2:USER_SGPR: 6
; COMPUTE_PGM_RSRC2:TRAP_HANDLER: 0
; COMPUTE_PGM_RSRC2:TGID_X_EN: 1
; COMPUTE_PGM_RSRC2:TGID_Y_EN: 0
; COMPUTE_PGM_RSRC2:TGID_Z_EN: 0
; COMPUTE_PGM_RSRC2:TIDIG_COMP_CNT: 0
; COMPUTE_PGM_RSRC3_GFX90A:ACCUM_OFFSET: 0
; COMPUTE_PGM_RSRC3_GFX90A:TG_SPLIT: 0
	.section	.text._ZN7rocprim17ROCPRIM_400000_NS6detail17trampoline_kernelINS0_14default_configENS1_20scan_config_selectorIjEEZZNS1_9scan_implILNS1_25lookback_scan_determinismE0ELb1ELb1ES3_N6thrust23THRUST_200600_302600_NS6detail15normal_iteratorINS9_10device_ptrIjEEEESE_jNS9_4plusIvEEjEEDaPvRmT3_T4_T5_mT6_P12ihipStream_tbENKUlT_T0_E_clISt17integral_constantIbLb0EESU_EEDaSP_SQ_EUlSP_E0_NS1_11comp_targetILNS1_3genE2ELNS1_11target_archE906ELNS1_3gpuE6ELNS1_3repE0EEENS1_30default_config_static_selectorELNS0_4arch9wavefront6targetE1EEEvT1_,"axG",@progbits,_ZN7rocprim17ROCPRIM_400000_NS6detail17trampoline_kernelINS0_14default_configENS1_20scan_config_selectorIjEEZZNS1_9scan_implILNS1_25lookback_scan_determinismE0ELb1ELb1ES3_N6thrust23THRUST_200600_302600_NS6detail15normal_iteratorINS9_10device_ptrIjEEEESE_jNS9_4plusIvEEjEEDaPvRmT3_T4_T5_mT6_P12ihipStream_tbENKUlT_T0_E_clISt17integral_constantIbLb0EESU_EEDaSP_SQ_EUlSP_E0_NS1_11comp_targetILNS1_3genE2ELNS1_11target_archE906ELNS1_3gpuE6ELNS1_3repE0EEENS1_30default_config_static_selectorELNS0_4arch9wavefront6targetE1EEEvT1_,comdat
	.protected	_ZN7rocprim17ROCPRIM_400000_NS6detail17trampoline_kernelINS0_14default_configENS1_20scan_config_selectorIjEEZZNS1_9scan_implILNS1_25lookback_scan_determinismE0ELb1ELb1ES3_N6thrust23THRUST_200600_302600_NS6detail15normal_iteratorINS9_10device_ptrIjEEEESE_jNS9_4plusIvEEjEEDaPvRmT3_T4_T5_mT6_P12ihipStream_tbENKUlT_T0_E_clISt17integral_constantIbLb0EESU_EEDaSP_SQ_EUlSP_E0_NS1_11comp_targetILNS1_3genE2ELNS1_11target_archE906ELNS1_3gpuE6ELNS1_3repE0EEENS1_30default_config_static_selectorELNS0_4arch9wavefront6targetE1EEEvT1_ ; -- Begin function _ZN7rocprim17ROCPRIM_400000_NS6detail17trampoline_kernelINS0_14default_configENS1_20scan_config_selectorIjEEZZNS1_9scan_implILNS1_25lookback_scan_determinismE0ELb1ELb1ES3_N6thrust23THRUST_200600_302600_NS6detail15normal_iteratorINS9_10device_ptrIjEEEESE_jNS9_4plusIvEEjEEDaPvRmT3_T4_T5_mT6_P12ihipStream_tbENKUlT_T0_E_clISt17integral_constantIbLb0EESU_EEDaSP_SQ_EUlSP_E0_NS1_11comp_targetILNS1_3genE2ELNS1_11target_archE906ELNS1_3gpuE6ELNS1_3repE0EEENS1_30default_config_static_selectorELNS0_4arch9wavefront6targetE1EEEvT1_
	.globl	_ZN7rocprim17ROCPRIM_400000_NS6detail17trampoline_kernelINS0_14default_configENS1_20scan_config_selectorIjEEZZNS1_9scan_implILNS1_25lookback_scan_determinismE0ELb1ELb1ES3_N6thrust23THRUST_200600_302600_NS6detail15normal_iteratorINS9_10device_ptrIjEEEESE_jNS9_4plusIvEEjEEDaPvRmT3_T4_T5_mT6_P12ihipStream_tbENKUlT_T0_E_clISt17integral_constantIbLb0EESU_EEDaSP_SQ_EUlSP_E0_NS1_11comp_targetILNS1_3genE2ELNS1_11target_archE906ELNS1_3gpuE6ELNS1_3repE0EEENS1_30default_config_static_selectorELNS0_4arch9wavefront6targetE1EEEvT1_
	.p2align	8
	.type	_ZN7rocprim17ROCPRIM_400000_NS6detail17trampoline_kernelINS0_14default_configENS1_20scan_config_selectorIjEEZZNS1_9scan_implILNS1_25lookback_scan_determinismE0ELb1ELb1ES3_N6thrust23THRUST_200600_302600_NS6detail15normal_iteratorINS9_10device_ptrIjEEEESE_jNS9_4plusIvEEjEEDaPvRmT3_T4_T5_mT6_P12ihipStream_tbENKUlT_T0_E_clISt17integral_constantIbLb0EESU_EEDaSP_SQ_EUlSP_E0_NS1_11comp_targetILNS1_3genE2ELNS1_11target_archE906ELNS1_3gpuE6ELNS1_3repE0EEENS1_30default_config_static_selectorELNS0_4arch9wavefront6targetE1EEEvT1_,@function
_ZN7rocprim17ROCPRIM_400000_NS6detail17trampoline_kernelINS0_14default_configENS1_20scan_config_selectorIjEEZZNS1_9scan_implILNS1_25lookback_scan_determinismE0ELb1ELb1ES3_N6thrust23THRUST_200600_302600_NS6detail15normal_iteratorINS9_10device_ptrIjEEEESE_jNS9_4plusIvEEjEEDaPvRmT3_T4_T5_mT6_P12ihipStream_tbENKUlT_T0_E_clISt17integral_constantIbLb0EESU_EEDaSP_SQ_EUlSP_E0_NS1_11comp_targetILNS1_3genE2ELNS1_11target_archE906ELNS1_3gpuE6ELNS1_3repE0EEENS1_30default_config_static_selectorELNS0_4arch9wavefront6targetE1EEEvT1_: ; @_ZN7rocprim17ROCPRIM_400000_NS6detail17trampoline_kernelINS0_14default_configENS1_20scan_config_selectorIjEEZZNS1_9scan_implILNS1_25lookback_scan_determinismE0ELb1ELb1ES3_N6thrust23THRUST_200600_302600_NS6detail15normal_iteratorINS9_10device_ptrIjEEEESE_jNS9_4plusIvEEjEEDaPvRmT3_T4_T5_mT6_P12ihipStream_tbENKUlT_T0_E_clISt17integral_constantIbLb0EESU_EEDaSP_SQ_EUlSP_E0_NS1_11comp_targetILNS1_3genE2ELNS1_11target_archE906ELNS1_3gpuE6ELNS1_3repE0EEENS1_30default_config_static_selectorELNS0_4arch9wavefront6targetE1EEEvT1_
; %bb.0:
	.section	.rodata,"a",@progbits
	.p2align	6, 0x0
	.amdhsa_kernel _ZN7rocprim17ROCPRIM_400000_NS6detail17trampoline_kernelINS0_14default_configENS1_20scan_config_selectorIjEEZZNS1_9scan_implILNS1_25lookback_scan_determinismE0ELb1ELb1ES3_N6thrust23THRUST_200600_302600_NS6detail15normal_iteratorINS9_10device_ptrIjEEEESE_jNS9_4plusIvEEjEEDaPvRmT3_T4_T5_mT6_P12ihipStream_tbENKUlT_T0_E_clISt17integral_constantIbLb0EESU_EEDaSP_SQ_EUlSP_E0_NS1_11comp_targetILNS1_3genE2ELNS1_11target_archE906ELNS1_3gpuE6ELNS1_3repE0EEENS1_30default_config_static_selectorELNS0_4arch9wavefront6targetE1EEEvT1_
		.amdhsa_group_segment_fixed_size 0
		.amdhsa_private_segment_fixed_size 0
		.amdhsa_kernarg_size 32
		.amdhsa_user_sgpr_count 6
		.amdhsa_user_sgpr_private_segment_buffer 1
		.amdhsa_user_sgpr_dispatch_ptr 0
		.amdhsa_user_sgpr_queue_ptr 0
		.amdhsa_user_sgpr_kernarg_segment_ptr 1
		.amdhsa_user_sgpr_dispatch_id 0
		.amdhsa_user_sgpr_flat_scratch_init 0
		.amdhsa_user_sgpr_kernarg_preload_length 0
		.amdhsa_user_sgpr_kernarg_preload_offset 0
		.amdhsa_user_sgpr_private_segment_size 0
		.amdhsa_uses_dynamic_stack 0
		.amdhsa_system_sgpr_private_segment_wavefront_offset 0
		.amdhsa_system_sgpr_workgroup_id_x 1
		.amdhsa_system_sgpr_workgroup_id_y 0
		.amdhsa_system_sgpr_workgroup_id_z 0
		.amdhsa_system_sgpr_workgroup_info 0
		.amdhsa_system_vgpr_workitem_id 0
		.amdhsa_next_free_vgpr 1
		.amdhsa_next_free_sgpr 0
		.amdhsa_accum_offset 4
		.amdhsa_reserve_vcc 0
		.amdhsa_reserve_flat_scratch 0
		.amdhsa_float_round_mode_32 0
		.amdhsa_float_round_mode_16_64 0
		.amdhsa_float_denorm_mode_32 3
		.amdhsa_float_denorm_mode_16_64 3
		.amdhsa_dx10_clamp 1
		.amdhsa_ieee_mode 1
		.amdhsa_fp16_overflow 0
		.amdhsa_tg_split 0
		.amdhsa_exception_fp_ieee_invalid_op 0
		.amdhsa_exception_fp_denorm_src 0
		.amdhsa_exception_fp_ieee_div_zero 0
		.amdhsa_exception_fp_ieee_overflow 0
		.amdhsa_exception_fp_ieee_underflow 0
		.amdhsa_exception_fp_ieee_inexact 0
		.amdhsa_exception_int_div_zero 0
	.end_amdhsa_kernel
	.section	.text._ZN7rocprim17ROCPRIM_400000_NS6detail17trampoline_kernelINS0_14default_configENS1_20scan_config_selectorIjEEZZNS1_9scan_implILNS1_25lookback_scan_determinismE0ELb1ELb1ES3_N6thrust23THRUST_200600_302600_NS6detail15normal_iteratorINS9_10device_ptrIjEEEESE_jNS9_4plusIvEEjEEDaPvRmT3_T4_T5_mT6_P12ihipStream_tbENKUlT_T0_E_clISt17integral_constantIbLb0EESU_EEDaSP_SQ_EUlSP_E0_NS1_11comp_targetILNS1_3genE2ELNS1_11target_archE906ELNS1_3gpuE6ELNS1_3repE0EEENS1_30default_config_static_selectorELNS0_4arch9wavefront6targetE1EEEvT1_,"axG",@progbits,_ZN7rocprim17ROCPRIM_400000_NS6detail17trampoline_kernelINS0_14default_configENS1_20scan_config_selectorIjEEZZNS1_9scan_implILNS1_25lookback_scan_determinismE0ELb1ELb1ES3_N6thrust23THRUST_200600_302600_NS6detail15normal_iteratorINS9_10device_ptrIjEEEESE_jNS9_4plusIvEEjEEDaPvRmT3_T4_T5_mT6_P12ihipStream_tbENKUlT_T0_E_clISt17integral_constantIbLb0EESU_EEDaSP_SQ_EUlSP_E0_NS1_11comp_targetILNS1_3genE2ELNS1_11target_archE906ELNS1_3gpuE6ELNS1_3repE0EEENS1_30default_config_static_selectorELNS0_4arch9wavefront6targetE1EEEvT1_,comdat
.Lfunc_end4659:
	.size	_ZN7rocprim17ROCPRIM_400000_NS6detail17trampoline_kernelINS0_14default_configENS1_20scan_config_selectorIjEEZZNS1_9scan_implILNS1_25lookback_scan_determinismE0ELb1ELb1ES3_N6thrust23THRUST_200600_302600_NS6detail15normal_iteratorINS9_10device_ptrIjEEEESE_jNS9_4plusIvEEjEEDaPvRmT3_T4_T5_mT6_P12ihipStream_tbENKUlT_T0_E_clISt17integral_constantIbLb0EESU_EEDaSP_SQ_EUlSP_E0_NS1_11comp_targetILNS1_3genE2ELNS1_11target_archE906ELNS1_3gpuE6ELNS1_3repE0EEENS1_30default_config_static_selectorELNS0_4arch9wavefront6targetE1EEEvT1_, .Lfunc_end4659-_ZN7rocprim17ROCPRIM_400000_NS6detail17trampoline_kernelINS0_14default_configENS1_20scan_config_selectorIjEEZZNS1_9scan_implILNS1_25lookback_scan_determinismE0ELb1ELb1ES3_N6thrust23THRUST_200600_302600_NS6detail15normal_iteratorINS9_10device_ptrIjEEEESE_jNS9_4plusIvEEjEEDaPvRmT3_T4_T5_mT6_P12ihipStream_tbENKUlT_T0_E_clISt17integral_constantIbLb0EESU_EEDaSP_SQ_EUlSP_E0_NS1_11comp_targetILNS1_3genE2ELNS1_11target_archE906ELNS1_3gpuE6ELNS1_3repE0EEENS1_30default_config_static_selectorELNS0_4arch9wavefront6targetE1EEEvT1_
                                        ; -- End function
	.section	.AMDGPU.csdata,"",@progbits
; Kernel info:
; codeLenInByte = 0
; NumSgprs: 4
; NumVgprs: 0
; NumAgprs: 0
; TotalNumVgprs: 0
; ScratchSize: 0
; MemoryBound: 0
; FloatMode: 240
; IeeeMode: 1
; LDSByteSize: 0 bytes/workgroup (compile time only)
; SGPRBlocks: 0
; VGPRBlocks: 0
; NumSGPRsForWavesPerEU: 4
; NumVGPRsForWavesPerEU: 1
; AccumOffset: 4
; Occupancy: 8
; WaveLimiterHint : 0
; COMPUTE_PGM_RSRC2:SCRATCH_EN: 0
; COMPUTE_PGM_RSRC2:USER_SGPR: 6
; COMPUTE_PGM_RSRC2:TRAP_HANDLER: 0
; COMPUTE_PGM_RSRC2:TGID_X_EN: 1
; COMPUTE_PGM_RSRC2:TGID_Y_EN: 0
; COMPUTE_PGM_RSRC2:TGID_Z_EN: 0
; COMPUTE_PGM_RSRC2:TIDIG_COMP_CNT: 0
; COMPUTE_PGM_RSRC3_GFX90A:ACCUM_OFFSET: 0
; COMPUTE_PGM_RSRC3_GFX90A:TG_SPLIT: 0
	.section	.text._ZN7rocprim17ROCPRIM_400000_NS6detail17trampoline_kernelINS0_14default_configENS1_20scan_config_selectorIjEEZZNS1_9scan_implILNS1_25lookback_scan_determinismE0ELb1ELb1ES3_N6thrust23THRUST_200600_302600_NS6detail15normal_iteratorINS9_10device_ptrIjEEEESE_jNS9_4plusIvEEjEEDaPvRmT3_T4_T5_mT6_P12ihipStream_tbENKUlT_T0_E_clISt17integral_constantIbLb0EESU_EEDaSP_SQ_EUlSP_E0_NS1_11comp_targetILNS1_3genE10ELNS1_11target_archE1201ELNS1_3gpuE5ELNS1_3repE0EEENS1_30default_config_static_selectorELNS0_4arch9wavefront6targetE1EEEvT1_,"axG",@progbits,_ZN7rocprim17ROCPRIM_400000_NS6detail17trampoline_kernelINS0_14default_configENS1_20scan_config_selectorIjEEZZNS1_9scan_implILNS1_25lookback_scan_determinismE0ELb1ELb1ES3_N6thrust23THRUST_200600_302600_NS6detail15normal_iteratorINS9_10device_ptrIjEEEESE_jNS9_4plusIvEEjEEDaPvRmT3_T4_T5_mT6_P12ihipStream_tbENKUlT_T0_E_clISt17integral_constantIbLb0EESU_EEDaSP_SQ_EUlSP_E0_NS1_11comp_targetILNS1_3genE10ELNS1_11target_archE1201ELNS1_3gpuE5ELNS1_3repE0EEENS1_30default_config_static_selectorELNS0_4arch9wavefront6targetE1EEEvT1_,comdat
	.protected	_ZN7rocprim17ROCPRIM_400000_NS6detail17trampoline_kernelINS0_14default_configENS1_20scan_config_selectorIjEEZZNS1_9scan_implILNS1_25lookback_scan_determinismE0ELb1ELb1ES3_N6thrust23THRUST_200600_302600_NS6detail15normal_iteratorINS9_10device_ptrIjEEEESE_jNS9_4plusIvEEjEEDaPvRmT3_T4_T5_mT6_P12ihipStream_tbENKUlT_T0_E_clISt17integral_constantIbLb0EESU_EEDaSP_SQ_EUlSP_E0_NS1_11comp_targetILNS1_3genE10ELNS1_11target_archE1201ELNS1_3gpuE5ELNS1_3repE0EEENS1_30default_config_static_selectorELNS0_4arch9wavefront6targetE1EEEvT1_ ; -- Begin function _ZN7rocprim17ROCPRIM_400000_NS6detail17trampoline_kernelINS0_14default_configENS1_20scan_config_selectorIjEEZZNS1_9scan_implILNS1_25lookback_scan_determinismE0ELb1ELb1ES3_N6thrust23THRUST_200600_302600_NS6detail15normal_iteratorINS9_10device_ptrIjEEEESE_jNS9_4plusIvEEjEEDaPvRmT3_T4_T5_mT6_P12ihipStream_tbENKUlT_T0_E_clISt17integral_constantIbLb0EESU_EEDaSP_SQ_EUlSP_E0_NS1_11comp_targetILNS1_3genE10ELNS1_11target_archE1201ELNS1_3gpuE5ELNS1_3repE0EEENS1_30default_config_static_selectorELNS0_4arch9wavefront6targetE1EEEvT1_
	.globl	_ZN7rocprim17ROCPRIM_400000_NS6detail17trampoline_kernelINS0_14default_configENS1_20scan_config_selectorIjEEZZNS1_9scan_implILNS1_25lookback_scan_determinismE0ELb1ELb1ES3_N6thrust23THRUST_200600_302600_NS6detail15normal_iteratorINS9_10device_ptrIjEEEESE_jNS9_4plusIvEEjEEDaPvRmT3_T4_T5_mT6_P12ihipStream_tbENKUlT_T0_E_clISt17integral_constantIbLb0EESU_EEDaSP_SQ_EUlSP_E0_NS1_11comp_targetILNS1_3genE10ELNS1_11target_archE1201ELNS1_3gpuE5ELNS1_3repE0EEENS1_30default_config_static_selectorELNS0_4arch9wavefront6targetE1EEEvT1_
	.p2align	8
	.type	_ZN7rocprim17ROCPRIM_400000_NS6detail17trampoline_kernelINS0_14default_configENS1_20scan_config_selectorIjEEZZNS1_9scan_implILNS1_25lookback_scan_determinismE0ELb1ELb1ES3_N6thrust23THRUST_200600_302600_NS6detail15normal_iteratorINS9_10device_ptrIjEEEESE_jNS9_4plusIvEEjEEDaPvRmT3_T4_T5_mT6_P12ihipStream_tbENKUlT_T0_E_clISt17integral_constantIbLb0EESU_EEDaSP_SQ_EUlSP_E0_NS1_11comp_targetILNS1_3genE10ELNS1_11target_archE1201ELNS1_3gpuE5ELNS1_3repE0EEENS1_30default_config_static_selectorELNS0_4arch9wavefront6targetE1EEEvT1_,@function
_ZN7rocprim17ROCPRIM_400000_NS6detail17trampoline_kernelINS0_14default_configENS1_20scan_config_selectorIjEEZZNS1_9scan_implILNS1_25lookback_scan_determinismE0ELb1ELb1ES3_N6thrust23THRUST_200600_302600_NS6detail15normal_iteratorINS9_10device_ptrIjEEEESE_jNS9_4plusIvEEjEEDaPvRmT3_T4_T5_mT6_P12ihipStream_tbENKUlT_T0_E_clISt17integral_constantIbLb0EESU_EEDaSP_SQ_EUlSP_E0_NS1_11comp_targetILNS1_3genE10ELNS1_11target_archE1201ELNS1_3gpuE5ELNS1_3repE0EEENS1_30default_config_static_selectorELNS0_4arch9wavefront6targetE1EEEvT1_: ; @_ZN7rocprim17ROCPRIM_400000_NS6detail17trampoline_kernelINS0_14default_configENS1_20scan_config_selectorIjEEZZNS1_9scan_implILNS1_25lookback_scan_determinismE0ELb1ELb1ES3_N6thrust23THRUST_200600_302600_NS6detail15normal_iteratorINS9_10device_ptrIjEEEESE_jNS9_4plusIvEEjEEDaPvRmT3_T4_T5_mT6_P12ihipStream_tbENKUlT_T0_E_clISt17integral_constantIbLb0EESU_EEDaSP_SQ_EUlSP_E0_NS1_11comp_targetILNS1_3genE10ELNS1_11target_archE1201ELNS1_3gpuE5ELNS1_3repE0EEENS1_30default_config_static_selectorELNS0_4arch9wavefront6targetE1EEEvT1_
; %bb.0:
	.section	.rodata,"a",@progbits
	.p2align	6, 0x0
	.amdhsa_kernel _ZN7rocprim17ROCPRIM_400000_NS6detail17trampoline_kernelINS0_14default_configENS1_20scan_config_selectorIjEEZZNS1_9scan_implILNS1_25lookback_scan_determinismE0ELb1ELb1ES3_N6thrust23THRUST_200600_302600_NS6detail15normal_iteratorINS9_10device_ptrIjEEEESE_jNS9_4plusIvEEjEEDaPvRmT3_T4_T5_mT6_P12ihipStream_tbENKUlT_T0_E_clISt17integral_constantIbLb0EESU_EEDaSP_SQ_EUlSP_E0_NS1_11comp_targetILNS1_3genE10ELNS1_11target_archE1201ELNS1_3gpuE5ELNS1_3repE0EEENS1_30default_config_static_selectorELNS0_4arch9wavefront6targetE1EEEvT1_
		.amdhsa_group_segment_fixed_size 0
		.amdhsa_private_segment_fixed_size 0
		.amdhsa_kernarg_size 32
		.amdhsa_user_sgpr_count 6
		.amdhsa_user_sgpr_private_segment_buffer 1
		.amdhsa_user_sgpr_dispatch_ptr 0
		.amdhsa_user_sgpr_queue_ptr 0
		.amdhsa_user_sgpr_kernarg_segment_ptr 1
		.amdhsa_user_sgpr_dispatch_id 0
		.amdhsa_user_sgpr_flat_scratch_init 0
		.amdhsa_user_sgpr_kernarg_preload_length 0
		.amdhsa_user_sgpr_kernarg_preload_offset 0
		.amdhsa_user_sgpr_private_segment_size 0
		.amdhsa_uses_dynamic_stack 0
		.amdhsa_system_sgpr_private_segment_wavefront_offset 0
		.amdhsa_system_sgpr_workgroup_id_x 1
		.amdhsa_system_sgpr_workgroup_id_y 0
		.amdhsa_system_sgpr_workgroup_id_z 0
		.amdhsa_system_sgpr_workgroup_info 0
		.amdhsa_system_vgpr_workitem_id 0
		.amdhsa_next_free_vgpr 1
		.amdhsa_next_free_sgpr 0
		.amdhsa_accum_offset 4
		.amdhsa_reserve_vcc 0
		.amdhsa_reserve_flat_scratch 0
		.amdhsa_float_round_mode_32 0
		.amdhsa_float_round_mode_16_64 0
		.amdhsa_float_denorm_mode_32 3
		.amdhsa_float_denorm_mode_16_64 3
		.amdhsa_dx10_clamp 1
		.amdhsa_ieee_mode 1
		.amdhsa_fp16_overflow 0
		.amdhsa_tg_split 0
		.amdhsa_exception_fp_ieee_invalid_op 0
		.amdhsa_exception_fp_denorm_src 0
		.amdhsa_exception_fp_ieee_div_zero 0
		.amdhsa_exception_fp_ieee_overflow 0
		.amdhsa_exception_fp_ieee_underflow 0
		.amdhsa_exception_fp_ieee_inexact 0
		.amdhsa_exception_int_div_zero 0
	.end_amdhsa_kernel
	.section	.text._ZN7rocprim17ROCPRIM_400000_NS6detail17trampoline_kernelINS0_14default_configENS1_20scan_config_selectorIjEEZZNS1_9scan_implILNS1_25lookback_scan_determinismE0ELb1ELb1ES3_N6thrust23THRUST_200600_302600_NS6detail15normal_iteratorINS9_10device_ptrIjEEEESE_jNS9_4plusIvEEjEEDaPvRmT3_T4_T5_mT6_P12ihipStream_tbENKUlT_T0_E_clISt17integral_constantIbLb0EESU_EEDaSP_SQ_EUlSP_E0_NS1_11comp_targetILNS1_3genE10ELNS1_11target_archE1201ELNS1_3gpuE5ELNS1_3repE0EEENS1_30default_config_static_selectorELNS0_4arch9wavefront6targetE1EEEvT1_,"axG",@progbits,_ZN7rocprim17ROCPRIM_400000_NS6detail17trampoline_kernelINS0_14default_configENS1_20scan_config_selectorIjEEZZNS1_9scan_implILNS1_25lookback_scan_determinismE0ELb1ELb1ES3_N6thrust23THRUST_200600_302600_NS6detail15normal_iteratorINS9_10device_ptrIjEEEESE_jNS9_4plusIvEEjEEDaPvRmT3_T4_T5_mT6_P12ihipStream_tbENKUlT_T0_E_clISt17integral_constantIbLb0EESU_EEDaSP_SQ_EUlSP_E0_NS1_11comp_targetILNS1_3genE10ELNS1_11target_archE1201ELNS1_3gpuE5ELNS1_3repE0EEENS1_30default_config_static_selectorELNS0_4arch9wavefront6targetE1EEEvT1_,comdat
.Lfunc_end4660:
	.size	_ZN7rocprim17ROCPRIM_400000_NS6detail17trampoline_kernelINS0_14default_configENS1_20scan_config_selectorIjEEZZNS1_9scan_implILNS1_25lookback_scan_determinismE0ELb1ELb1ES3_N6thrust23THRUST_200600_302600_NS6detail15normal_iteratorINS9_10device_ptrIjEEEESE_jNS9_4plusIvEEjEEDaPvRmT3_T4_T5_mT6_P12ihipStream_tbENKUlT_T0_E_clISt17integral_constantIbLb0EESU_EEDaSP_SQ_EUlSP_E0_NS1_11comp_targetILNS1_3genE10ELNS1_11target_archE1201ELNS1_3gpuE5ELNS1_3repE0EEENS1_30default_config_static_selectorELNS0_4arch9wavefront6targetE1EEEvT1_, .Lfunc_end4660-_ZN7rocprim17ROCPRIM_400000_NS6detail17trampoline_kernelINS0_14default_configENS1_20scan_config_selectorIjEEZZNS1_9scan_implILNS1_25lookback_scan_determinismE0ELb1ELb1ES3_N6thrust23THRUST_200600_302600_NS6detail15normal_iteratorINS9_10device_ptrIjEEEESE_jNS9_4plusIvEEjEEDaPvRmT3_T4_T5_mT6_P12ihipStream_tbENKUlT_T0_E_clISt17integral_constantIbLb0EESU_EEDaSP_SQ_EUlSP_E0_NS1_11comp_targetILNS1_3genE10ELNS1_11target_archE1201ELNS1_3gpuE5ELNS1_3repE0EEENS1_30default_config_static_selectorELNS0_4arch9wavefront6targetE1EEEvT1_
                                        ; -- End function
	.section	.AMDGPU.csdata,"",@progbits
; Kernel info:
; codeLenInByte = 0
; NumSgprs: 4
; NumVgprs: 0
; NumAgprs: 0
; TotalNumVgprs: 0
; ScratchSize: 0
; MemoryBound: 0
; FloatMode: 240
; IeeeMode: 1
; LDSByteSize: 0 bytes/workgroup (compile time only)
; SGPRBlocks: 0
; VGPRBlocks: 0
; NumSGPRsForWavesPerEU: 4
; NumVGPRsForWavesPerEU: 1
; AccumOffset: 4
; Occupancy: 8
; WaveLimiterHint : 0
; COMPUTE_PGM_RSRC2:SCRATCH_EN: 0
; COMPUTE_PGM_RSRC2:USER_SGPR: 6
; COMPUTE_PGM_RSRC2:TRAP_HANDLER: 0
; COMPUTE_PGM_RSRC2:TGID_X_EN: 1
; COMPUTE_PGM_RSRC2:TGID_Y_EN: 0
; COMPUTE_PGM_RSRC2:TGID_Z_EN: 0
; COMPUTE_PGM_RSRC2:TIDIG_COMP_CNT: 0
; COMPUTE_PGM_RSRC3_GFX90A:ACCUM_OFFSET: 0
; COMPUTE_PGM_RSRC3_GFX90A:TG_SPLIT: 0
	.section	.text._ZN7rocprim17ROCPRIM_400000_NS6detail17trampoline_kernelINS0_14default_configENS1_20scan_config_selectorIjEEZZNS1_9scan_implILNS1_25lookback_scan_determinismE0ELb1ELb1ES3_N6thrust23THRUST_200600_302600_NS6detail15normal_iteratorINS9_10device_ptrIjEEEESE_jNS9_4plusIvEEjEEDaPvRmT3_T4_T5_mT6_P12ihipStream_tbENKUlT_T0_E_clISt17integral_constantIbLb0EESU_EEDaSP_SQ_EUlSP_E0_NS1_11comp_targetILNS1_3genE10ELNS1_11target_archE1200ELNS1_3gpuE4ELNS1_3repE0EEENS1_30default_config_static_selectorELNS0_4arch9wavefront6targetE1EEEvT1_,"axG",@progbits,_ZN7rocprim17ROCPRIM_400000_NS6detail17trampoline_kernelINS0_14default_configENS1_20scan_config_selectorIjEEZZNS1_9scan_implILNS1_25lookback_scan_determinismE0ELb1ELb1ES3_N6thrust23THRUST_200600_302600_NS6detail15normal_iteratorINS9_10device_ptrIjEEEESE_jNS9_4plusIvEEjEEDaPvRmT3_T4_T5_mT6_P12ihipStream_tbENKUlT_T0_E_clISt17integral_constantIbLb0EESU_EEDaSP_SQ_EUlSP_E0_NS1_11comp_targetILNS1_3genE10ELNS1_11target_archE1200ELNS1_3gpuE4ELNS1_3repE0EEENS1_30default_config_static_selectorELNS0_4arch9wavefront6targetE1EEEvT1_,comdat
	.protected	_ZN7rocprim17ROCPRIM_400000_NS6detail17trampoline_kernelINS0_14default_configENS1_20scan_config_selectorIjEEZZNS1_9scan_implILNS1_25lookback_scan_determinismE0ELb1ELb1ES3_N6thrust23THRUST_200600_302600_NS6detail15normal_iteratorINS9_10device_ptrIjEEEESE_jNS9_4plusIvEEjEEDaPvRmT3_T4_T5_mT6_P12ihipStream_tbENKUlT_T0_E_clISt17integral_constantIbLb0EESU_EEDaSP_SQ_EUlSP_E0_NS1_11comp_targetILNS1_3genE10ELNS1_11target_archE1200ELNS1_3gpuE4ELNS1_3repE0EEENS1_30default_config_static_selectorELNS0_4arch9wavefront6targetE1EEEvT1_ ; -- Begin function _ZN7rocprim17ROCPRIM_400000_NS6detail17trampoline_kernelINS0_14default_configENS1_20scan_config_selectorIjEEZZNS1_9scan_implILNS1_25lookback_scan_determinismE0ELb1ELb1ES3_N6thrust23THRUST_200600_302600_NS6detail15normal_iteratorINS9_10device_ptrIjEEEESE_jNS9_4plusIvEEjEEDaPvRmT3_T4_T5_mT6_P12ihipStream_tbENKUlT_T0_E_clISt17integral_constantIbLb0EESU_EEDaSP_SQ_EUlSP_E0_NS1_11comp_targetILNS1_3genE10ELNS1_11target_archE1200ELNS1_3gpuE4ELNS1_3repE0EEENS1_30default_config_static_selectorELNS0_4arch9wavefront6targetE1EEEvT1_
	.globl	_ZN7rocprim17ROCPRIM_400000_NS6detail17trampoline_kernelINS0_14default_configENS1_20scan_config_selectorIjEEZZNS1_9scan_implILNS1_25lookback_scan_determinismE0ELb1ELb1ES3_N6thrust23THRUST_200600_302600_NS6detail15normal_iteratorINS9_10device_ptrIjEEEESE_jNS9_4plusIvEEjEEDaPvRmT3_T4_T5_mT6_P12ihipStream_tbENKUlT_T0_E_clISt17integral_constantIbLb0EESU_EEDaSP_SQ_EUlSP_E0_NS1_11comp_targetILNS1_3genE10ELNS1_11target_archE1200ELNS1_3gpuE4ELNS1_3repE0EEENS1_30default_config_static_selectorELNS0_4arch9wavefront6targetE1EEEvT1_
	.p2align	8
	.type	_ZN7rocprim17ROCPRIM_400000_NS6detail17trampoline_kernelINS0_14default_configENS1_20scan_config_selectorIjEEZZNS1_9scan_implILNS1_25lookback_scan_determinismE0ELb1ELb1ES3_N6thrust23THRUST_200600_302600_NS6detail15normal_iteratorINS9_10device_ptrIjEEEESE_jNS9_4plusIvEEjEEDaPvRmT3_T4_T5_mT6_P12ihipStream_tbENKUlT_T0_E_clISt17integral_constantIbLb0EESU_EEDaSP_SQ_EUlSP_E0_NS1_11comp_targetILNS1_3genE10ELNS1_11target_archE1200ELNS1_3gpuE4ELNS1_3repE0EEENS1_30default_config_static_selectorELNS0_4arch9wavefront6targetE1EEEvT1_,@function
_ZN7rocprim17ROCPRIM_400000_NS6detail17trampoline_kernelINS0_14default_configENS1_20scan_config_selectorIjEEZZNS1_9scan_implILNS1_25lookback_scan_determinismE0ELb1ELb1ES3_N6thrust23THRUST_200600_302600_NS6detail15normal_iteratorINS9_10device_ptrIjEEEESE_jNS9_4plusIvEEjEEDaPvRmT3_T4_T5_mT6_P12ihipStream_tbENKUlT_T0_E_clISt17integral_constantIbLb0EESU_EEDaSP_SQ_EUlSP_E0_NS1_11comp_targetILNS1_3genE10ELNS1_11target_archE1200ELNS1_3gpuE4ELNS1_3repE0EEENS1_30default_config_static_selectorELNS0_4arch9wavefront6targetE1EEEvT1_: ; @_ZN7rocprim17ROCPRIM_400000_NS6detail17trampoline_kernelINS0_14default_configENS1_20scan_config_selectorIjEEZZNS1_9scan_implILNS1_25lookback_scan_determinismE0ELb1ELb1ES3_N6thrust23THRUST_200600_302600_NS6detail15normal_iteratorINS9_10device_ptrIjEEEESE_jNS9_4plusIvEEjEEDaPvRmT3_T4_T5_mT6_P12ihipStream_tbENKUlT_T0_E_clISt17integral_constantIbLb0EESU_EEDaSP_SQ_EUlSP_E0_NS1_11comp_targetILNS1_3genE10ELNS1_11target_archE1200ELNS1_3gpuE4ELNS1_3repE0EEENS1_30default_config_static_selectorELNS0_4arch9wavefront6targetE1EEEvT1_
; %bb.0:
	.section	.rodata,"a",@progbits
	.p2align	6, 0x0
	.amdhsa_kernel _ZN7rocprim17ROCPRIM_400000_NS6detail17trampoline_kernelINS0_14default_configENS1_20scan_config_selectorIjEEZZNS1_9scan_implILNS1_25lookback_scan_determinismE0ELb1ELb1ES3_N6thrust23THRUST_200600_302600_NS6detail15normal_iteratorINS9_10device_ptrIjEEEESE_jNS9_4plusIvEEjEEDaPvRmT3_T4_T5_mT6_P12ihipStream_tbENKUlT_T0_E_clISt17integral_constantIbLb0EESU_EEDaSP_SQ_EUlSP_E0_NS1_11comp_targetILNS1_3genE10ELNS1_11target_archE1200ELNS1_3gpuE4ELNS1_3repE0EEENS1_30default_config_static_selectorELNS0_4arch9wavefront6targetE1EEEvT1_
		.amdhsa_group_segment_fixed_size 0
		.amdhsa_private_segment_fixed_size 0
		.amdhsa_kernarg_size 32
		.amdhsa_user_sgpr_count 6
		.amdhsa_user_sgpr_private_segment_buffer 1
		.amdhsa_user_sgpr_dispatch_ptr 0
		.amdhsa_user_sgpr_queue_ptr 0
		.amdhsa_user_sgpr_kernarg_segment_ptr 1
		.amdhsa_user_sgpr_dispatch_id 0
		.amdhsa_user_sgpr_flat_scratch_init 0
		.amdhsa_user_sgpr_kernarg_preload_length 0
		.amdhsa_user_sgpr_kernarg_preload_offset 0
		.amdhsa_user_sgpr_private_segment_size 0
		.amdhsa_uses_dynamic_stack 0
		.amdhsa_system_sgpr_private_segment_wavefront_offset 0
		.amdhsa_system_sgpr_workgroup_id_x 1
		.amdhsa_system_sgpr_workgroup_id_y 0
		.amdhsa_system_sgpr_workgroup_id_z 0
		.amdhsa_system_sgpr_workgroup_info 0
		.amdhsa_system_vgpr_workitem_id 0
		.amdhsa_next_free_vgpr 1
		.amdhsa_next_free_sgpr 0
		.amdhsa_accum_offset 4
		.amdhsa_reserve_vcc 0
		.amdhsa_reserve_flat_scratch 0
		.amdhsa_float_round_mode_32 0
		.amdhsa_float_round_mode_16_64 0
		.amdhsa_float_denorm_mode_32 3
		.amdhsa_float_denorm_mode_16_64 3
		.amdhsa_dx10_clamp 1
		.amdhsa_ieee_mode 1
		.amdhsa_fp16_overflow 0
		.amdhsa_tg_split 0
		.amdhsa_exception_fp_ieee_invalid_op 0
		.amdhsa_exception_fp_denorm_src 0
		.amdhsa_exception_fp_ieee_div_zero 0
		.amdhsa_exception_fp_ieee_overflow 0
		.amdhsa_exception_fp_ieee_underflow 0
		.amdhsa_exception_fp_ieee_inexact 0
		.amdhsa_exception_int_div_zero 0
	.end_amdhsa_kernel
	.section	.text._ZN7rocprim17ROCPRIM_400000_NS6detail17trampoline_kernelINS0_14default_configENS1_20scan_config_selectorIjEEZZNS1_9scan_implILNS1_25lookback_scan_determinismE0ELb1ELb1ES3_N6thrust23THRUST_200600_302600_NS6detail15normal_iteratorINS9_10device_ptrIjEEEESE_jNS9_4plusIvEEjEEDaPvRmT3_T4_T5_mT6_P12ihipStream_tbENKUlT_T0_E_clISt17integral_constantIbLb0EESU_EEDaSP_SQ_EUlSP_E0_NS1_11comp_targetILNS1_3genE10ELNS1_11target_archE1200ELNS1_3gpuE4ELNS1_3repE0EEENS1_30default_config_static_selectorELNS0_4arch9wavefront6targetE1EEEvT1_,"axG",@progbits,_ZN7rocprim17ROCPRIM_400000_NS6detail17trampoline_kernelINS0_14default_configENS1_20scan_config_selectorIjEEZZNS1_9scan_implILNS1_25lookback_scan_determinismE0ELb1ELb1ES3_N6thrust23THRUST_200600_302600_NS6detail15normal_iteratorINS9_10device_ptrIjEEEESE_jNS9_4plusIvEEjEEDaPvRmT3_T4_T5_mT6_P12ihipStream_tbENKUlT_T0_E_clISt17integral_constantIbLb0EESU_EEDaSP_SQ_EUlSP_E0_NS1_11comp_targetILNS1_3genE10ELNS1_11target_archE1200ELNS1_3gpuE4ELNS1_3repE0EEENS1_30default_config_static_selectorELNS0_4arch9wavefront6targetE1EEEvT1_,comdat
.Lfunc_end4661:
	.size	_ZN7rocprim17ROCPRIM_400000_NS6detail17trampoline_kernelINS0_14default_configENS1_20scan_config_selectorIjEEZZNS1_9scan_implILNS1_25lookback_scan_determinismE0ELb1ELb1ES3_N6thrust23THRUST_200600_302600_NS6detail15normal_iteratorINS9_10device_ptrIjEEEESE_jNS9_4plusIvEEjEEDaPvRmT3_T4_T5_mT6_P12ihipStream_tbENKUlT_T0_E_clISt17integral_constantIbLb0EESU_EEDaSP_SQ_EUlSP_E0_NS1_11comp_targetILNS1_3genE10ELNS1_11target_archE1200ELNS1_3gpuE4ELNS1_3repE0EEENS1_30default_config_static_selectorELNS0_4arch9wavefront6targetE1EEEvT1_, .Lfunc_end4661-_ZN7rocprim17ROCPRIM_400000_NS6detail17trampoline_kernelINS0_14default_configENS1_20scan_config_selectorIjEEZZNS1_9scan_implILNS1_25lookback_scan_determinismE0ELb1ELb1ES3_N6thrust23THRUST_200600_302600_NS6detail15normal_iteratorINS9_10device_ptrIjEEEESE_jNS9_4plusIvEEjEEDaPvRmT3_T4_T5_mT6_P12ihipStream_tbENKUlT_T0_E_clISt17integral_constantIbLb0EESU_EEDaSP_SQ_EUlSP_E0_NS1_11comp_targetILNS1_3genE10ELNS1_11target_archE1200ELNS1_3gpuE4ELNS1_3repE0EEENS1_30default_config_static_selectorELNS0_4arch9wavefront6targetE1EEEvT1_
                                        ; -- End function
	.section	.AMDGPU.csdata,"",@progbits
; Kernel info:
; codeLenInByte = 0
; NumSgprs: 4
; NumVgprs: 0
; NumAgprs: 0
; TotalNumVgprs: 0
; ScratchSize: 0
; MemoryBound: 0
; FloatMode: 240
; IeeeMode: 1
; LDSByteSize: 0 bytes/workgroup (compile time only)
; SGPRBlocks: 0
; VGPRBlocks: 0
; NumSGPRsForWavesPerEU: 4
; NumVGPRsForWavesPerEU: 1
; AccumOffset: 4
; Occupancy: 8
; WaveLimiterHint : 0
; COMPUTE_PGM_RSRC2:SCRATCH_EN: 0
; COMPUTE_PGM_RSRC2:USER_SGPR: 6
; COMPUTE_PGM_RSRC2:TRAP_HANDLER: 0
; COMPUTE_PGM_RSRC2:TGID_X_EN: 1
; COMPUTE_PGM_RSRC2:TGID_Y_EN: 0
; COMPUTE_PGM_RSRC2:TGID_Z_EN: 0
; COMPUTE_PGM_RSRC2:TIDIG_COMP_CNT: 0
; COMPUTE_PGM_RSRC3_GFX90A:ACCUM_OFFSET: 0
; COMPUTE_PGM_RSRC3_GFX90A:TG_SPLIT: 0
	.section	.text._ZN7rocprim17ROCPRIM_400000_NS6detail17trampoline_kernelINS0_14default_configENS1_20scan_config_selectorIjEEZZNS1_9scan_implILNS1_25lookback_scan_determinismE0ELb1ELb1ES3_N6thrust23THRUST_200600_302600_NS6detail15normal_iteratorINS9_10device_ptrIjEEEESE_jNS9_4plusIvEEjEEDaPvRmT3_T4_T5_mT6_P12ihipStream_tbENKUlT_T0_E_clISt17integral_constantIbLb0EESU_EEDaSP_SQ_EUlSP_E0_NS1_11comp_targetILNS1_3genE9ELNS1_11target_archE1100ELNS1_3gpuE3ELNS1_3repE0EEENS1_30default_config_static_selectorELNS0_4arch9wavefront6targetE1EEEvT1_,"axG",@progbits,_ZN7rocprim17ROCPRIM_400000_NS6detail17trampoline_kernelINS0_14default_configENS1_20scan_config_selectorIjEEZZNS1_9scan_implILNS1_25lookback_scan_determinismE0ELb1ELb1ES3_N6thrust23THRUST_200600_302600_NS6detail15normal_iteratorINS9_10device_ptrIjEEEESE_jNS9_4plusIvEEjEEDaPvRmT3_T4_T5_mT6_P12ihipStream_tbENKUlT_T0_E_clISt17integral_constantIbLb0EESU_EEDaSP_SQ_EUlSP_E0_NS1_11comp_targetILNS1_3genE9ELNS1_11target_archE1100ELNS1_3gpuE3ELNS1_3repE0EEENS1_30default_config_static_selectorELNS0_4arch9wavefront6targetE1EEEvT1_,comdat
	.protected	_ZN7rocprim17ROCPRIM_400000_NS6detail17trampoline_kernelINS0_14default_configENS1_20scan_config_selectorIjEEZZNS1_9scan_implILNS1_25lookback_scan_determinismE0ELb1ELb1ES3_N6thrust23THRUST_200600_302600_NS6detail15normal_iteratorINS9_10device_ptrIjEEEESE_jNS9_4plusIvEEjEEDaPvRmT3_T4_T5_mT6_P12ihipStream_tbENKUlT_T0_E_clISt17integral_constantIbLb0EESU_EEDaSP_SQ_EUlSP_E0_NS1_11comp_targetILNS1_3genE9ELNS1_11target_archE1100ELNS1_3gpuE3ELNS1_3repE0EEENS1_30default_config_static_selectorELNS0_4arch9wavefront6targetE1EEEvT1_ ; -- Begin function _ZN7rocprim17ROCPRIM_400000_NS6detail17trampoline_kernelINS0_14default_configENS1_20scan_config_selectorIjEEZZNS1_9scan_implILNS1_25lookback_scan_determinismE0ELb1ELb1ES3_N6thrust23THRUST_200600_302600_NS6detail15normal_iteratorINS9_10device_ptrIjEEEESE_jNS9_4plusIvEEjEEDaPvRmT3_T4_T5_mT6_P12ihipStream_tbENKUlT_T0_E_clISt17integral_constantIbLb0EESU_EEDaSP_SQ_EUlSP_E0_NS1_11comp_targetILNS1_3genE9ELNS1_11target_archE1100ELNS1_3gpuE3ELNS1_3repE0EEENS1_30default_config_static_selectorELNS0_4arch9wavefront6targetE1EEEvT1_
	.globl	_ZN7rocprim17ROCPRIM_400000_NS6detail17trampoline_kernelINS0_14default_configENS1_20scan_config_selectorIjEEZZNS1_9scan_implILNS1_25lookback_scan_determinismE0ELb1ELb1ES3_N6thrust23THRUST_200600_302600_NS6detail15normal_iteratorINS9_10device_ptrIjEEEESE_jNS9_4plusIvEEjEEDaPvRmT3_T4_T5_mT6_P12ihipStream_tbENKUlT_T0_E_clISt17integral_constantIbLb0EESU_EEDaSP_SQ_EUlSP_E0_NS1_11comp_targetILNS1_3genE9ELNS1_11target_archE1100ELNS1_3gpuE3ELNS1_3repE0EEENS1_30default_config_static_selectorELNS0_4arch9wavefront6targetE1EEEvT1_
	.p2align	8
	.type	_ZN7rocprim17ROCPRIM_400000_NS6detail17trampoline_kernelINS0_14default_configENS1_20scan_config_selectorIjEEZZNS1_9scan_implILNS1_25lookback_scan_determinismE0ELb1ELb1ES3_N6thrust23THRUST_200600_302600_NS6detail15normal_iteratorINS9_10device_ptrIjEEEESE_jNS9_4plusIvEEjEEDaPvRmT3_T4_T5_mT6_P12ihipStream_tbENKUlT_T0_E_clISt17integral_constantIbLb0EESU_EEDaSP_SQ_EUlSP_E0_NS1_11comp_targetILNS1_3genE9ELNS1_11target_archE1100ELNS1_3gpuE3ELNS1_3repE0EEENS1_30default_config_static_selectorELNS0_4arch9wavefront6targetE1EEEvT1_,@function
_ZN7rocprim17ROCPRIM_400000_NS6detail17trampoline_kernelINS0_14default_configENS1_20scan_config_selectorIjEEZZNS1_9scan_implILNS1_25lookback_scan_determinismE0ELb1ELb1ES3_N6thrust23THRUST_200600_302600_NS6detail15normal_iteratorINS9_10device_ptrIjEEEESE_jNS9_4plusIvEEjEEDaPvRmT3_T4_T5_mT6_P12ihipStream_tbENKUlT_T0_E_clISt17integral_constantIbLb0EESU_EEDaSP_SQ_EUlSP_E0_NS1_11comp_targetILNS1_3genE9ELNS1_11target_archE1100ELNS1_3gpuE3ELNS1_3repE0EEENS1_30default_config_static_selectorELNS0_4arch9wavefront6targetE1EEEvT1_: ; @_ZN7rocprim17ROCPRIM_400000_NS6detail17trampoline_kernelINS0_14default_configENS1_20scan_config_selectorIjEEZZNS1_9scan_implILNS1_25lookback_scan_determinismE0ELb1ELb1ES3_N6thrust23THRUST_200600_302600_NS6detail15normal_iteratorINS9_10device_ptrIjEEEESE_jNS9_4plusIvEEjEEDaPvRmT3_T4_T5_mT6_P12ihipStream_tbENKUlT_T0_E_clISt17integral_constantIbLb0EESU_EEDaSP_SQ_EUlSP_E0_NS1_11comp_targetILNS1_3genE9ELNS1_11target_archE1100ELNS1_3gpuE3ELNS1_3repE0EEENS1_30default_config_static_selectorELNS0_4arch9wavefront6targetE1EEEvT1_
; %bb.0:
	.section	.rodata,"a",@progbits
	.p2align	6, 0x0
	.amdhsa_kernel _ZN7rocprim17ROCPRIM_400000_NS6detail17trampoline_kernelINS0_14default_configENS1_20scan_config_selectorIjEEZZNS1_9scan_implILNS1_25lookback_scan_determinismE0ELb1ELb1ES3_N6thrust23THRUST_200600_302600_NS6detail15normal_iteratorINS9_10device_ptrIjEEEESE_jNS9_4plusIvEEjEEDaPvRmT3_T4_T5_mT6_P12ihipStream_tbENKUlT_T0_E_clISt17integral_constantIbLb0EESU_EEDaSP_SQ_EUlSP_E0_NS1_11comp_targetILNS1_3genE9ELNS1_11target_archE1100ELNS1_3gpuE3ELNS1_3repE0EEENS1_30default_config_static_selectorELNS0_4arch9wavefront6targetE1EEEvT1_
		.amdhsa_group_segment_fixed_size 0
		.amdhsa_private_segment_fixed_size 0
		.amdhsa_kernarg_size 32
		.amdhsa_user_sgpr_count 6
		.amdhsa_user_sgpr_private_segment_buffer 1
		.amdhsa_user_sgpr_dispatch_ptr 0
		.amdhsa_user_sgpr_queue_ptr 0
		.amdhsa_user_sgpr_kernarg_segment_ptr 1
		.amdhsa_user_sgpr_dispatch_id 0
		.amdhsa_user_sgpr_flat_scratch_init 0
		.amdhsa_user_sgpr_kernarg_preload_length 0
		.amdhsa_user_sgpr_kernarg_preload_offset 0
		.amdhsa_user_sgpr_private_segment_size 0
		.amdhsa_uses_dynamic_stack 0
		.amdhsa_system_sgpr_private_segment_wavefront_offset 0
		.amdhsa_system_sgpr_workgroup_id_x 1
		.amdhsa_system_sgpr_workgroup_id_y 0
		.amdhsa_system_sgpr_workgroup_id_z 0
		.amdhsa_system_sgpr_workgroup_info 0
		.amdhsa_system_vgpr_workitem_id 0
		.amdhsa_next_free_vgpr 1
		.amdhsa_next_free_sgpr 0
		.amdhsa_accum_offset 4
		.amdhsa_reserve_vcc 0
		.amdhsa_reserve_flat_scratch 0
		.amdhsa_float_round_mode_32 0
		.amdhsa_float_round_mode_16_64 0
		.amdhsa_float_denorm_mode_32 3
		.amdhsa_float_denorm_mode_16_64 3
		.amdhsa_dx10_clamp 1
		.amdhsa_ieee_mode 1
		.amdhsa_fp16_overflow 0
		.amdhsa_tg_split 0
		.amdhsa_exception_fp_ieee_invalid_op 0
		.amdhsa_exception_fp_denorm_src 0
		.amdhsa_exception_fp_ieee_div_zero 0
		.amdhsa_exception_fp_ieee_overflow 0
		.amdhsa_exception_fp_ieee_underflow 0
		.amdhsa_exception_fp_ieee_inexact 0
		.amdhsa_exception_int_div_zero 0
	.end_amdhsa_kernel
	.section	.text._ZN7rocprim17ROCPRIM_400000_NS6detail17trampoline_kernelINS0_14default_configENS1_20scan_config_selectorIjEEZZNS1_9scan_implILNS1_25lookback_scan_determinismE0ELb1ELb1ES3_N6thrust23THRUST_200600_302600_NS6detail15normal_iteratorINS9_10device_ptrIjEEEESE_jNS9_4plusIvEEjEEDaPvRmT3_T4_T5_mT6_P12ihipStream_tbENKUlT_T0_E_clISt17integral_constantIbLb0EESU_EEDaSP_SQ_EUlSP_E0_NS1_11comp_targetILNS1_3genE9ELNS1_11target_archE1100ELNS1_3gpuE3ELNS1_3repE0EEENS1_30default_config_static_selectorELNS0_4arch9wavefront6targetE1EEEvT1_,"axG",@progbits,_ZN7rocprim17ROCPRIM_400000_NS6detail17trampoline_kernelINS0_14default_configENS1_20scan_config_selectorIjEEZZNS1_9scan_implILNS1_25lookback_scan_determinismE0ELb1ELb1ES3_N6thrust23THRUST_200600_302600_NS6detail15normal_iteratorINS9_10device_ptrIjEEEESE_jNS9_4plusIvEEjEEDaPvRmT3_T4_T5_mT6_P12ihipStream_tbENKUlT_T0_E_clISt17integral_constantIbLb0EESU_EEDaSP_SQ_EUlSP_E0_NS1_11comp_targetILNS1_3genE9ELNS1_11target_archE1100ELNS1_3gpuE3ELNS1_3repE0EEENS1_30default_config_static_selectorELNS0_4arch9wavefront6targetE1EEEvT1_,comdat
.Lfunc_end4662:
	.size	_ZN7rocprim17ROCPRIM_400000_NS6detail17trampoline_kernelINS0_14default_configENS1_20scan_config_selectorIjEEZZNS1_9scan_implILNS1_25lookback_scan_determinismE0ELb1ELb1ES3_N6thrust23THRUST_200600_302600_NS6detail15normal_iteratorINS9_10device_ptrIjEEEESE_jNS9_4plusIvEEjEEDaPvRmT3_T4_T5_mT6_P12ihipStream_tbENKUlT_T0_E_clISt17integral_constantIbLb0EESU_EEDaSP_SQ_EUlSP_E0_NS1_11comp_targetILNS1_3genE9ELNS1_11target_archE1100ELNS1_3gpuE3ELNS1_3repE0EEENS1_30default_config_static_selectorELNS0_4arch9wavefront6targetE1EEEvT1_, .Lfunc_end4662-_ZN7rocprim17ROCPRIM_400000_NS6detail17trampoline_kernelINS0_14default_configENS1_20scan_config_selectorIjEEZZNS1_9scan_implILNS1_25lookback_scan_determinismE0ELb1ELb1ES3_N6thrust23THRUST_200600_302600_NS6detail15normal_iteratorINS9_10device_ptrIjEEEESE_jNS9_4plusIvEEjEEDaPvRmT3_T4_T5_mT6_P12ihipStream_tbENKUlT_T0_E_clISt17integral_constantIbLb0EESU_EEDaSP_SQ_EUlSP_E0_NS1_11comp_targetILNS1_3genE9ELNS1_11target_archE1100ELNS1_3gpuE3ELNS1_3repE0EEENS1_30default_config_static_selectorELNS0_4arch9wavefront6targetE1EEEvT1_
                                        ; -- End function
	.section	.AMDGPU.csdata,"",@progbits
; Kernel info:
; codeLenInByte = 0
; NumSgprs: 4
; NumVgprs: 0
; NumAgprs: 0
; TotalNumVgprs: 0
; ScratchSize: 0
; MemoryBound: 0
; FloatMode: 240
; IeeeMode: 1
; LDSByteSize: 0 bytes/workgroup (compile time only)
; SGPRBlocks: 0
; VGPRBlocks: 0
; NumSGPRsForWavesPerEU: 4
; NumVGPRsForWavesPerEU: 1
; AccumOffset: 4
; Occupancy: 8
; WaveLimiterHint : 0
; COMPUTE_PGM_RSRC2:SCRATCH_EN: 0
; COMPUTE_PGM_RSRC2:USER_SGPR: 6
; COMPUTE_PGM_RSRC2:TRAP_HANDLER: 0
; COMPUTE_PGM_RSRC2:TGID_X_EN: 1
; COMPUTE_PGM_RSRC2:TGID_Y_EN: 0
; COMPUTE_PGM_RSRC2:TGID_Z_EN: 0
; COMPUTE_PGM_RSRC2:TIDIG_COMP_CNT: 0
; COMPUTE_PGM_RSRC3_GFX90A:ACCUM_OFFSET: 0
; COMPUTE_PGM_RSRC3_GFX90A:TG_SPLIT: 0
	.section	.text._ZN7rocprim17ROCPRIM_400000_NS6detail17trampoline_kernelINS0_14default_configENS1_20scan_config_selectorIjEEZZNS1_9scan_implILNS1_25lookback_scan_determinismE0ELb1ELb1ES3_N6thrust23THRUST_200600_302600_NS6detail15normal_iteratorINS9_10device_ptrIjEEEESE_jNS9_4plusIvEEjEEDaPvRmT3_T4_T5_mT6_P12ihipStream_tbENKUlT_T0_E_clISt17integral_constantIbLb0EESU_EEDaSP_SQ_EUlSP_E0_NS1_11comp_targetILNS1_3genE8ELNS1_11target_archE1030ELNS1_3gpuE2ELNS1_3repE0EEENS1_30default_config_static_selectorELNS0_4arch9wavefront6targetE1EEEvT1_,"axG",@progbits,_ZN7rocprim17ROCPRIM_400000_NS6detail17trampoline_kernelINS0_14default_configENS1_20scan_config_selectorIjEEZZNS1_9scan_implILNS1_25lookback_scan_determinismE0ELb1ELb1ES3_N6thrust23THRUST_200600_302600_NS6detail15normal_iteratorINS9_10device_ptrIjEEEESE_jNS9_4plusIvEEjEEDaPvRmT3_T4_T5_mT6_P12ihipStream_tbENKUlT_T0_E_clISt17integral_constantIbLb0EESU_EEDaSP_SQ_EUlSP_E0_NS1_11comp_targetILNS1_3genE8ELNS1_11target_archE1030ELNS1_3gpuE2ELNS1_3repE0EEENS1_30default_config_static_selectorELNS0_4arch9wavefront6targetE1EEEvT1_,comdat
	.protected	_ZN7rocprim17ROCPRIM_400000_NS6detail17trampoline_kernelINS0_14default_configENS1_20scan_config_selectorIjEEZZNS1_9scan_implILNS1_25lookback_scan_determinismE0ELb1ELb1ES3_N6thrust23THRUST_200600_302600_NS6detail15normal_iteratorINS9_10device_ptrIjEEEESE_jNS9_4plusIvEEjEEDaPvRmT3_T4_T5_mT6_P12ihipStream_tbENKUlT_T0_E_clISt17integral_constantIbLb0EESU_EEDaSP_SQ_EUlSP_E0_NS1_11comp_targetILNS1_3genE8ELNS1_11target_archE1030ELNS1_3gpuE2ELNS1_3repE0EEENS1_30default_config_static_selectorELNS0_4arch9wavefront6targetE1EEEvT1_ ; -- Begin function _ZN7rocprim17ROCPRIM_400000_NS6detail17trampoline_kernelINS0_14default_configENS1_20scan_config_selectorIjEEZZNS1_9scan_implILNS1_25lookback_scan_determinismE0ELb1ELb1ES3_N6thrust23THRUST_200600_302600_NS6detail15normal_iteratorINS9_10device_ptrIjEEEESE_jNS9_4plusIvEEjEEDaPvRmT3_T4_T5_mT6_P12ihipStream_tbENKUlT_T0_E_clISt17integral_constantIbLb0EESU_EEDaSP_SQ_EUlSP_E0_NS1_11comp_targetILNS1_3genE8ELNS1_11target_archE1030ELNS1_3gpuE2ELNS1_3repE0EEENS1_30default_config_static_selectorELNS0_4arch9wavefront6targetE1EEEvT1_
	.globl	_ZN7rocprim17ROCPRIM_400000_NS6detail17trampoline_kernelINS0_14default_configENS1_20scan_config_selectorIjEEZZNS1_9scan_implILNS1_25lookback_scan_determinismE0ELb1ELb1ES3_N6thrust23THRUST_200600_302600_NS6detail15normal_iteratorINS9_10device_ptrIjEEEESE_jNS9_4plusIvEEjEEDaPvRmT3_T4_T5_mT6_P12ihipStream_tbENKUlT_T0_E_clISt17integral_constantIbLb0EESU_EEDaSP_SQ_EUlSP_E0_NS1_11comp_targetILNS1_3genE8ELNS1_11target_archE1030ELNS1_3gpuE2ELNS1_3repE0EEENS1_30default_config_static_selectorELNS0_4arch9wavefront6targetE1EEEvT1_
	.p2align	8
	.type	_ZN7rocprim17ROCPRIM_400000_NS6detail17trampoline_kernelINS0_14default_configENS1_20scan_config_selectorIjEEZZNS1_9scan_implILNS1_25lookback_scan_determinismE0ELb1ELb1ES3_N6thrust23THRUST_200600_302600_NS6detail15normal_iteratorINS9_10device_ptrIjEEEESE_jNS9_4plusIvEEjEEDaPvRmT3_T4_T5_mT6_P12ihipStream_tbENKUlT_T0_E_clISt17integral_constantIbLb0EESU_EEDaSP_SQ_EUlSP_E0_NS1_11comp_targetILNS1_3genE8ELNS1_11target_archE1030ELNS1_3gpuE2ELNS1_3repE0EEENS1_30default_config_static_selectorELNS0_4arch9wavefront6targetE1EEEvT1_,@function
_ZN7rocprim17ROCPRIM_400000_NS6detail17trampoline_kernelINS0_14default_configENS1_20scan_config_selectorIjEEZZNS1_9scan_implILNS1_25lookback_scan_determinismE0ELb1ELb1ES3_N6thrust23THRUST_200600_302600_NS6detail15normal_iteratorINS9_10device_ptrIjEEEESE_jNS9_4plusIvEEjEEDaPvRmT3_T4_T5_mT6_P12ihipStream_tbENKUlT_T0_E_clISt17integral_constantIbLb0EESU_EEDaSP_SQ_EUlSP_E0_NS1_11comp_targetILNS1_3genE8ELNS1_11target_archE1030ELNS1_3gpuE2ELNS1_3repE0EEENS1_30default_config_static_selectorELNS0_4arch9wavefront6targetE1EEEvT1_: ; @_ZN7rocprim17ROCPRIM_400000_NS6detail17trampoline_kernelINS0_14default_configENS1_20scan_config_selectorIjEEZZNS1_9scan_implILNS1_25lookback_scan_determinismE0ELb1ELb1ES3_N6thrust23THRUST_200600_302600_NS6detail15normal_iteratorINS9_10device_ptrIjEEEESE_jNS9_4plusIvEEjEEDaPvRmT3_T4_T5_mT6_P12ihipStream_tbENKUlT_T0_E_clISt17integral_constantIbLb0EESU_EEDaSP_SQ_EUlSP_E0_NS1_11comp_targetILNS1_3genE8ELNS1_11target_archE1030ELNS1_3gpuE2ELNS1_3repE0EEENS1_30default_config_static_selectorELNS0_4arch9wavefront6targetE1EEEvT1_
; %bb.0:
	.section	.rodata,"a",@progbits
	.p2align	6, 0x0
	.amdhsa_kernel _ZN7rocprim17ROCPRIM_400000_NS6detail17trampoline_kernelINS0_14default_configENS1_20scan_config_selectorIjEEZZNS1_9scan_implILNS1_25lookback_scan_determinismE0ELb1ELb1ES3_N6thrust23THRUST_200600_302600_NS6detail15normal_iteratorINS9_10device_ptrIjEEEESE_jNS9_4plusIvEEjEEDaPvRmT3_T4_T5_mT6_P12ihipStream_tbENKUlT_T0_E_clISt17integral_constantIbLb0EESU_EEDaSP_SQ_EUlSP_E0_NS1_11comp_targetILNS1_3genE8ELNS1_11target_archE1030ELNS1_3gpuE2ELNS1_3repE0EEENS1_30default_config_static_selectorELNS0_4arch9wavefront6targetE1EEEvT1_
		.amdhsa_group_segment_fixed_size 0
		.amdhsa_private_segment_fixed_size 0
		.amdhsa_kernarg_size 32
		.amdhsa_user_sgpr_count 6
		.amdhsa_user_sgpr_private_segment_buffer 1
		.amdhsa_user_sgpr_dispatch_ptr 0
		.amdhsa_user_sgpr_queue_ptr 0
		.amdhsa_user_sgpr_kernarg_segment_ptr 1
		.amdhsa_user_sgpr_dispatch_id 0
		.amdhsa_user_sgpr_flat_scratch_init 0
		.amdhsa_user_sgpr_kernarg_preload_length 0
		.amdhsa_user_sgpr_kernarg_preload_offset 0
		.amdhsa_user_sgpr_private_segment_size 0
		.amdhsa_uses_dynamic_stack 0
		.amdhsa_system_sgpr_private_segment_wavefront_offset 0
		.amdhsa_system_sgpr_workgroup_id_x 1
		.amdhsa_system_sgpr_workgroup_id_y 0
		.amdhsa_system_sgpr_workgroup_id_z 0
		.amdhsa_system_sgpr_workgroup_info 0
		.amdhsa_system_vgpr_workitem_id 0
		.amdhsa_next_free_vgpr 1
		.amdhsa_next_free_sgpr 0
		.amdhsa_accum_offset 4
		.amdhsa_reserve_vcc 0
		.amdhsa_reserve_flat_scratch 0
		.amdhsa_float_round_mode_32 0
		.amdhsa_float_round_mode_16_64 0
		.amdhsa_float_denorm_mode_32 3
		.amdhsa_float_denorm_mode_16_64 3
		.amdhsa_dx10_clamp 1
		.amdhsa_ieee_mode 1
		.amdhsa_fp16_overflow 0
		.amdhsa_tg_split 0
		.amdhsa_exception_fp_ieee_invalid_op 0
		.amdhsa_exception_fp_denorm_src 0
		.amdhsa_exception_fp_ieee_div_zero 0
		.amdhsa_exception_fp_ieee_overflow 0
		.amdhsa_exception_fp_ieee_underflow 0
		.amdhsa_exception_fp_ieee_inexact 0
		.amdhsa_exception_int_div_zero 0
	.end_amdhsa_kernel
	.section	.text._ZN7rocprim17ROCPRIM_400000_NS6detail17trampoline_kernelINS0_14default_configENS1_20scan_config_selectorIjEEZZNS1_9scan_implILNS1_25lookback_scan_determinismE0ELb1ELb1ES3_N6thrust23THRUST_200600_302600_NS6detail15normal_iteratorINS9_10device_ptrIjEEEESE_jNS9_4plusIvEEjEEDaPvRmT3_T4_T5_mT6_P12ihipStream_tbENKUlT_T0_E_clISt17integral_constantIbLb0EESU_EEDaSP_SQ_EUlSP_E0_NS1_11comp_targetILNS1_3genE8ELNS1_11target_archE1030ELNS1_3gpuE2ELNS1_3repE0EEENS1_30default_config_static_selectorELNS0_4arch9wavefront6targetE1EEEvT1_,"axG",@progbits,_ZN7rocprim17ROCPRIM_400000_NS6detail17trampoline_kernelINS0_14default_configENS1_20scan_config_selectorIjEEZZNS1_9scan_implILNS1_25lookback_scan_determinismE0ELb1ELb1ES3_N6thrust23THRUST_200600_302600_NS6detail15normal_iteratorINS9_10device_ptrIjEEEESE_jNS9_4plusIvEEjEEDaPvRmT3_T4_T5_mT6_P12ihipStream_tbENKUlT_T0_E_clISt17integral_constantIbLb0EESU_EEDaSP_SQ_EUlSP_E0_NS1_11comp_targetILNS1_3genE8ELNS1_11target_archE1030ELNS1_3gpuE2ELNS1_3repE0EEENS1_30default_config_static_selectorELNS0_4arch9wavefront6targetE1EEEvT1_,comdat
.Lfunc_end4663:
	.size	_ZN7rocprim17ROCPRIM_400000_NS6detail17trampoline_kernelINS0_14default_configENS1_20scan_config_selectorIjEEZZNS1_9scan_implILNS1_25lookback_scan_determinismE0ELb1ELb1ES3_N6thrust23THRUST_200600_302600_NS6detail15normal_iteratorINS9_10device_ptrIjEEEESE_jNS9_4plusIvEEjEEDaPvRmT3_T4_T5_mT6_P12ihipStream_tbENKUlT_T0_E_clISt17integral_constantIbLb0EESU_EEDaSP_SQ_EUlSP_E0_NS1_11comp_targetILNS1_3genE8ELNS1_11target_archE1030ELNS1_3gpuE2ELNS1_3repE0EEENS1_30default_config_static_selectorELNS0_4arch9wavefront6targetE1EEEvT1_, .Lfunc_end4663-_ZN7rocprim17ROCPRIM_400000_NS6detail17trampoline_kernelINS0_14default_configENS1_20scan_config_selectorIjEEZZNS1_9scan_implILNS1_25lookback_scan_determinismE0ELb1ELb1ES3_N6thrust23THRUST_200600_302600_NS6detail15normal_iteratorINS9_10device_ptrIjEEEESE_jNS9_4plusIvEEjEEDaPvRmT3_T4_T5_mT6_P12ihipStream_tbENKUlT_T0_E_clISt17integral_constantIbLb0EESU_EEDaSP_SQ_EUlSP_E0_NS1_11comp_targetILNS1_3genE8ELNS1_11target_archE1030ELNS1_3gpuE2ELNS1_3repE0EEENS1_30default_config_static_selectorELNS0_4arch9wavefront6targetE1EEEvT1_
                                        ; -- End function
	.section	.AMDGPU.csdata,"",@progbits
; Kernel info:
; codeLenInByte = 0
; NumSgprs: 4
; NumVgprs: 0
; NumAgprs: 0
; TotalNumVgprs: 0
; ScratchSize: 0
; MemoryBound: 0
; FloatMode: 240
; IeeeMode: 1
; LDSByteSize: 0 bytes/workgroup (compile time only)
; SGPRBlocks: 0
; VGPRBlocks: 0
; NumSGPRsForWavesPerEU: 4
; NumVGPRsForWavesPerEU: 1
; AccumOffset: 4
; Occupancy: 8
; WaveLimiterHint : 0
; COMPUTE_PGM_RSRC2:SCRATCH_EN: 0
; COMPUTE_PGM_RSRC2:USER_SGPR: 6
; COMPUTE_PGM_RSRC2:TRAP_HANDLER: 0
; COMPUTE_PGM_RSRC2:TGID_X_EN: 1
; COMPUTE_PGM_RSRC2:TGID_Y_EN: 0
; COMPUTE_PGM_RSRC2:TGID_Z_EN: 0
; COMPUTE_PGM_RSRC2:TIDIG_COMP_CNT: 0
; COMPUTE_PGM_RSRC3_GFX90A:ACCUM_OFFSET: 0
; COMPUTE_PGM_RSRC3_GFX90A:TG_SPLIT: 0
	.section	.text._ZN7rocprim17ROCPRIM_400000_NS6detail17trampoline_kernelINS0_14default_configENS1_20scan_config_selectorIjEEZZNS1_9scan_implILNS1_25lookback_scan_determinismE0ELb1ELb1ES3_N6thrust23THRUST_200600_302600_NS6detail15normal_iteratorINS9_10device_ptrIjEEEESE_jNS9_4plusIvEEjEEDaPvRmT3_T4_T5_mT6_P12ihipStream_tbENKUlT_T0_E_clISt17integral_constantIbLb1EESU_EEDaSP_SQ_EUlSP_E_NS1_11comp_targetILNS1_3genE0ELNS1_11target_archE4294967295ELNS1_3gpuE0ELNS1_3repE0EEENS1_30default_config_static_selectorELNS0_4arch9wavefront6targetE1EEEvT1_,"axG",@progbits,_ZN7rocprim17ROCPRIM_400000_NS6detail17trampoline_kernelINS0_14default_configENS1_20scan_config_selectorIjEEZZNS1_9scan_implILNS1_25lookback_scan_determinismE0ELb1ELb1ES3_N6thrust23THRUST_200600_302600_NS6detail15normal_iteratorINS9_10device_ptrIjEEEESE_jNS9_4plusIvEEjEEDaPvRmT3_T4_T5_mT6_P12ihipStream_tbENKUlT_T0_E_clISt17integral_constantIbLb1EESU_EEDaSP_SQ_EUlSP_E_NS1_11comp_targetILNS1_3genE0ELNS1_11target_archE4294967295ELNS1_3gpuE0ELNS1_3repE0EEENS1_30default_config_static_selectorELNS0_4arch9wavefront6targetE1EEEvT1_,comdat
	.protected	_ZN7rocprim17ROCPRIM_400000_NS6detail17trampoline_kernelINS0_14default_configENS1_20scan_config_selectorIjEEZZNS1_9scan_implILNS1_25lookback_scan_determinismE0ELb1ELb1ES3_N6thrust23THRUST_200600_302600_NS6detail15normal_iteratorINS9_10device_ptrIjEEEESE_jNS9_4plusIvEEjEEDaPvRmT3_T4_T5_mT6_P12ihipStream_tbENKUlT_T0_E_clISt17integral_constantIbLb1EESU_EEDaSP_SQ_EUlSP_E_NS1_11comp_targetILNS1_3genE0ELNS1_11target_archE4294967295ELNS1_3gpuE0ELNS1_3repE0EEENS1_30default_config_static_selectorELNS0_4arch9wavefront6targetE1EEEvT1_ ; -- Begin function _ZN7rocprim17ROCPRIM_400000_NS6detail17trampoline_kernelINS0_14default_configENS1_20scan_config_selectorIjEEZZNS1_9scan_implILNS1_25lookback_scan_determinismE0ELb1ELb1ES3_N6thrust23THRUST_200600_302600_NS6detail15normal_iteratorINS9_10device_ptrIjEEEESE_jNS9_4plusIvEEjEEDaPvRmT3_T4_T5_mT6_P12ihipStream_tbENKUlT_T0_E_clISt17integral_constantIbLb1EESU_EEDaSP_SQ_EUlSP_E_NS1_11comp_targetILNS1_3genE0ELNS1_11target_archE4294967295ELNS1_3gpuE0ELNS1_3repE0EEENS1_30default_config_static_selectorELNS0_4arch9wavefront6targetE1EEEvT1_
	.globl	_ZN7rocprim17ROCPRIM_400000_NS6detail17trampoline_kernelINS0_14default_configENS1_20scan_config_selectorIjEEZZNS1_9scan_implILNS1_25lookback_scan_determinismE0ELb1ELb1ES3_N6thrust23THRUST_200600_302600_NS6detail15normal_iteratorINS9_10device_ptrIjEEEESE_jNS9_4plusIvEEjEEDaPvRmT3_T4_T5_mT6_P12ihipStream_tbENKUlT_T0_E_clISt17integral_constantIbLb1EESU_EEDaSP_SQ_EUlSP_E_NS1_11comp_targetILNS1_3genE0ELNS1_11target_archE4294967295ELNS1_3gpuE0ELNS1_3repE0EEENS1_30default_config_static_selectorELNS0_4arch9wavefront6targetE1EEEvT1_
	.p2align	8
	.type	_ZN7rocprim17ROCPRIM_400000_NS6detail17trampoline_kernelINS0_14default_configENS1_20scan_config_selectorIjEEZZNS1_9scan_implILNS1_25lookback_scan_determinismE0ELb1ELb1ES3_N6thrust23THRUST_200600_302600_NS6detail15normal_iteratorINS9_10device_ptrIjEEEESE_jNS9_4plusIvEEjEEDaPvRmT3_T4_T5_mT6_P12ihipStream_tbENKUlT_T0_E_clISt17integral_constantIbLb1EESU_EEDaSP_SQ_EUlSP_E_NS1_11comp_targetILNS1_3genE0ELNS1_11target_archE4294967295ELNS1_3gpuE0ELNS1_3repE0EEENS1_30default_config_static_selectorELNS0_4arch9wavefront6targetE1EEEvT1_,@function
_ZN7rocprim17ROCPRIM_400000_NS6detail17trampoline_kernelINS0_14default_configENS1_20scan_config_selectorIjEEZZNS1_9scan_implILNS1_25lookback_scan_determinismE0ELb1ELb1ES3_N6thrust23THRUST_200600_302600_NS6detail15normal_iteratorINS9_10device_ptrIjEEEESE_jNS9_4plusIvEEjEEDaPvRmT3_T4_T5_mT6_P12ihipStream_tbENKUlT_T0_E_clISt17integral_constantIbLb1EESU_EEDaSP_SQ_EUlSP_E_NS1_11comp_targetILNS1_3genE0ELNS1_11target_archE4294967295ELNS1_3gpuE0ELNS1_3repE0EEENS1_30default_config_static_selectorELNS0_4arch9wavefront6targetE1EEEvT1_: ; @_ZN7rocprim17ROCPRIM_400000_NS6detail17trampoline_kernelINS0_14default_configENS1_20scan_config_selectorIjEEZZNS1_9scan_implILNS1_25lookback_scan_determinismE0ELb1ELb1ES3_N6thrust23THRUST_200600_302600_NS6detail15normal_iteratorINS9_10device_ptrIjEEEESE_jNS9_4plusIvEEjEEDaPvRmT3_T4_T5_mT6_P12ihipStream_tbENKUlT_T0_E_clISt17integral_constantIbLb1EESU_EEDaSP_SQ_EUlSP_E_NS1_11comp_targetILNS1_3genE0ELNS1_11target_archE4294967295ELNS1_3gpuE0ELNS1_3repE0EEENS1_30default_config_static_selectorELNS0_4arch9wavefront6targetE1EEEvT1_
; %bb.0:
	.section	.rodata,"a",@progbits
	.p2align	6, 0x0
	.amdhsa_kernel _ZN7rocprim17ROCPRIM_400000_NS6detail17trampoline_kernelINS0_14default_configENS1_20scan_config_selectorIjEEZZNS1_9scan_implILNS1_25lookback_scan_determinismE0ELb1ELb1ES3_N6thrust23THRUST_200600_302600_NS6detail15normal_iteratorINS9_10device_ptrIjEEEESE_jNS9_4plusIvEEjEEDaPvRmT3_T4_T5_mT6_P12ihipStream_tbENKUlT_T0_E_clISt17integral_constantIbLb1EESU_EEDaSP_SQ_EUlSP_E_NS1_11comp_targetILNS1_3genE0ELNS1_11target_archE4294967295ELNS1_3gpuE0ELNS1_3repE0EEENS1_30default_config_static_selectorELNS0_4arch9wavefront6targetE1EEEvT1_
		.amdhsa_group_segment_fixed_size 0
		.amdhsa_private_segment_fixed_size 0
		.amdhsa_kernarg_size 96
		.amdhsa_user_sgpr_count 6
		.amdhsa_user_sgpr_private_segment_buffer 1
		.amdhsa_user_sgpr_dispatch_ptr 0
		.amdhsa_user_sgpr_queue_ptr 0
		.amdhsa_user_sgpr_kernarg_segment_ptr 1
		.amdhsa_user_sgpr_dispatch_id 0
		.amdhsa_user_sgpr_flat_scratch_init 0
		.amdhsa_user_sgpr_kernarg_preload_length 0
		.amdhsa_user_sgpr_kernarg_preload_offset 0
		.amdhsa_user_sgpr_private_segment_size 0
		.amdhsa_uses_dynamic_stack 0
		.amdhsa_system_sgpr_private_segment_wavefront_offset 0
		.amdhsa_system_sgpr_workgroup_id_x 1
		.amdhsa_system_sgpr_workgroup_id_y 0
		.amdhsa_system_sgpr_workgroup_id_z 0
		.amdhsa_system_sgpr_workgroup_info 0
		.amdhsa_system_vgpr_workitem_id 0
		.amdhsa_next_free_vgpr 1
		.amdhsa_next_free_sgpr 0
		.amdhsa_accum_offset 4
		.amdhsa_reserve_vcc 0
		.amdhsa_reserve_flat_scratch 0
		.amdhsa_float_round_mode_32 0
		.amdhsa_float_round_mode_16_64 0
		.amdhsa_float_denorm_mode_32 3
		.amdhsa_float_denorm_mode_16_64 3
		.amdhsa_dx10_clamp 1
		.amdhsa_ieee_mode 1
		.amdhsa_fp16_overflow 0
		.amdhsa_tg_split 0
		.amdhsa_exception_fp_ieee_invalid_op 0
		.amdhsa_exception_fp_denorm_src 0
		.amdhsa_exception_fp_ieee_div_zero 0
		.amdhsa_exception_fp_ieee_overflow 0
		.amdhsa_exception_fp_ieee_underflow 0
		.amdhsa_exception_fp_ieee_inexact 0
		.amdhsa_exception_int_div_zero 0
	.end_amdhsa_kernel
	.section	.text._ZN7rocprim17ROCPRIM_400000_NS6detail17trampoline_kernelINS0_14default_configENS1_20scan_config_selectorIjEEZZNS1_9scan_implILNS1_25lookback_scan_determinismE0ELb1ELb1ES3_N6thrust23THRUST_200600_302600_NS6detail15normal_iteratorINS9_10device_ptrIjEEEESE_jNS9_4plusIvEEjEEDaPvRmT3_T4_T5_mT6_P12ihipStream_tbENKUlT_T0_E_clISt17integral_constantIbLb1EESU_EEDaSP_SQ_EUlSP_E_NS1_11comp_targetILNS1_3genE0ELNS1_11target_archE4294967295ELNS1_3gpuE0ELNS1_3repE0EEENS1_30default_config_static_selectorELNS0_4arch9wavefront6targetE1EEEvT1_,"axG",@progbits,_ZN7rocprim17ROCPRIM_400000_NS6detail17trampoline_kernelINS0_14default_configENS1_20scan_config_selectorIjEEZZNS1_9scan_implILNS1_25lookback_scan_determinismE0ELb1ELb1ES3_N6thrust23THRUST_200600_302600_NS6detail15normal_iteratorINS9_10device_ptrIjEEEESE_jNS9_4plusIvEEjEEDaPvRmT3_T4_T5_mT6_P12ihipStream_tbENKUlT_T0_E_clISt17integral_constantIbLb1EESU_EEDaSP_SQ_EUlSP_E_NS1_11comp_targetILNS1_3genE0ELNS1_11target_archE4294967295ELNS1_3gpuE0ELNS1_3repE0EEENS1_30default_config_static_selectorELNS0_4arch9wavefront6targetE1EEEvT1_,comdat
.Lfunc_end4664:
	.size	_ZN7rocprim17ROCPRIM_400000_NS6detail17trampoline_kernelINS0_14default_configENS1_20scan_config_selectorIjEEZZNS1_9scan_implILNS1_25lookback_scan_determinismE0ELb1ELb1ES3_N6thrust23THRUST_200600_302600_NS6detail15normal_iteratorINS9_10device_ptrIjEEEESE_jNS9_4plusIvEEjEEDaPvRmT3_T4_T5_mT6_P12ihipStream_tbENKUlT_T0_E_clISt17integral_constantIbLb1EESU_EEDaSP_SQ_EUlSP_E_NS1_11comp_targetILNS1_3genE0ELNS1_11target_archE4294967295ELNS1_3gpuE0ELNS1_3repE0EEENS1_30default_config_static_selectorELNS0_4arch9wavefront6targetE1EEEvT1_, .Lfunc_end4664-_ZN7rocprim17ROCPRIM_400000_NS6detail17trampoline_kernelINS0_14default_configENS1_20scan_config_selectorIjEEZZNS1_9scan_implILNS1_25lookback_scan_determinismE0ELb1ELb1ES3_N6thrust23THRUST_200600_302600_NS6detail15normal_iteratorINS9_10device_ptrIjEEEESE_jNS9_4plusIvEEjEEDaPvRmT3_T4_T5_mT6_P12ihipStream_tbENKUlT_T0_E_clISt17integral_constantIbLb1EESU_EEDaSP_SQ_EUlSP_E_NS1_11comp_targetILNS1_3genE0ELNS1_11target_archE4294967295ELNS1_3gpuE0ELNS1_3repE0EEENS1_30default_config_static_selectorELNS0_4arch9wavefront6targetE1EEEvT1_
                                        ; -- End function
	.section	.AMDGPU.csdata,"",@progbits
; Kernel info:
; codeLenInByte = 0
; NumSgprs: 4
; NumVgprs: 0
; NumAgprs: 0
; TotalNumVgprs: 0
; ScratchSize: 0
; MemoryBound: 0
; FloatMode: 240
; IeeeMode: 1
; LDSByteSize: 0 bytes/workgroup (compile time only)
; SGPRBlocks: 0
; VGPRBlocks: 0
; NumSGPRsForWavesPerEU: 4
; NumVGPRsForWavesPerEU: 1
; AccumOffset: 4
; Occupancy: 8
; WaveLimiterHint : 0
; COMPUTE_PGM_RSRC2:SCRATCH_EN: 0
; COMPUTE_PGM_RSRC2:USER_SGPR: 6
; COMPUTE_PGM_RSRC2:TRAP_HANDLER: 0
; COMPUTE_PGM_RSRC2:TGID_X_EN: 1
; COMPUTE_PGM_RSRC2:TGID_Y_EN: 0
; COMPUTE_PGM_RSRC2:TGID_Z_EN: 0
; COMPUTE_PGM_RSRC2:TIDIG_COMP_CNT: 0
; COMPUTE_PGM_RSRC3_GFX90A:ACCUM_OFFSET: 0
; COMPUTE_PGM_RSRC3_GFX90A:TG_SPLIT: 0
	.section	.text._ZN7rocprim17ROCPRIM_400000_NS6detail17trampoline_kernelINS0_14default_configENS1_20scan_config_selectorIjEEZZNS1_9scan_implILNS1_25lookback_scan_determinismE0ELb1ELb1ES3_N6thrust23THRUST_200600_302600_NS6detail15normal_iteratorINS9_10device_ptrIjEEEESE_jNS9_4plusIvEEjEEDaPvRmT3_T4_T5_mT6_P12ihipStream_tbENKUlT_T0_E_clISt17integral_constantIbLb1EESU_EEDaSP_SQ_EUlSP_E_NS1_11comp_targetILNS1_3genE5ELNS1_11target_archE942ELNS1_3gpuE9ELNS1_3repE0EEENS1_30default_config_static_selectorELNS0_4arch9wavefront6targetE1EEEvT1_,"axG",@progbits,_ZN7rocprim17ROCPRIM_400000_NS6detail17trampoline_kernelINS0_14default_configENS1_20scan_config_selectorIjEEZZNS1_9scan_implILNS1_25lookback_scan_determinismE0ELb1ELb1ES3_N6thrust23THRUST_200600_302600_NS6detail15normal_iteratorINS9_10device_ptrIjEEEESE_jNS9_4plusIvEEjEEDaPvRmT3_T4_T5_mT6_P12ihipStream_tbENKUlT_T0_E_clISt17integral_constantIbLb1EESU_EEDaSP_SQ_EUlSP_E_NS1_11comp_targetILNS1_3genE5ELNS1_11target_archE942ELNS1_3gpuE9ELNS1_3repE0EEENS1_30default_config_static_selectorELNS0_4arch9wavefront6targetE1EEEvT1_,comdat
	.protected	_ZN7rocprim17ROCPRIM_400000_NS6detail17trampoline_kernelINS0_14default_configENS1_20scan_config_selectorIjEEZZNS1_9scan_implILNS1_25lookback_scan_determinismE0ELb1ELb1ES3_N6thrust23THRUST_200600_302600_NS6detail15normal_iteratorINS9_10device_ptrIjEEEESE_jNS9_4plusIvEEjEEDaPvRmT3_T4_T5_mT6_P12ihipStream_tbENKUlT_T0_E_clISt17integral_constantIbLb1EESU_EEDaSP_SQ_EUlSP_E_NS1_11comp_targetILNS1_3genE5ELNS1_11target_archE942ELNS1_3gpuE9ELNS1_3repE0EEENS1_30default_config_static_selectorELNS0_4arch9wavefront6targetE1EEEvT1_ ; -- Begin function _ZN7rocprim17ROCPRIM_400000_NS6detail17trampoline_kernelINS0_14default_configENS1_20scan_config_selectorIjEEZZNS1_9scan_implILNS1_25lookback_scan_determinismE0ELb1ELb1ES3_N6thrust23THRUST_200600_302600_NS6detail15normal_iteratorINS9_10device_ptrIjEEEESE_jNS9_4plusIvEEjEEDaPvRmT3_T4_T5_mT6_P12ihipStream_tbENKUlT_T0_E_clISt17integral_constantIbLb1EESU_EEDaSP_SQ_EUlSP_E_NS1_11comp_targetILNS1_3genE5ELNS1_11target_archE942ELNS1_3gpuE9ELNS1_3repE0EEENS1_30default_config_static_selectorELNS0_4arch9wavefront6targetE1EEEvT1_
	.globl	_ZN7rocprim17ROCPRIM_400000_NS6detail17trampoline_kernelINS0_14default_configENS1_20scan_config_selectorIjEEZZNS1_9scan_implILNS1_25lookback_scan_determinismE0ELb1ELb1ES3_N6thrust23THRUST_200600_302600_NS6detail15normal_iteratorINS9_10device_ptrIjEEEESE_jNS9_4plusIvEEjEEDaPvRmT3_T4_T5_mT6_P12ihipStream_tbENKUlT_T0_E_clISt17integral_constantIbLb1EESU_EEDaSP_SQ_EUlSP_E_NS1_11comp_targetILNS1_3genE5ELNS1_11target_archE942ELNS1_3gpuE9ELNS1_3repE0EEENS1_30default_config_static_selectorELNS0_4arch9wavefront6targetE1EEEvT1_
	.p2align	8
	.type	_ZN7rocprim17ROCPRIM_400000_NS6detail17trampoline_kernelINS0_14default_configENS1_20scan_config_selectorIjEEZZNS1_9scan_implILNS1_25lookback_scan_determinismE0ELb1ELb1ES3_N6thrust23THRUST_200600_302600_NS6detail15normal_iteratorINS9_10device_ptrIjEEEESE_jNS9_4plusIvEEjEEDaPvRmT3_T4_T5_mT6_P12ihipStream_tbENKUlT_T0_E_clISt17integral_constantIbLb1EESU_EEDaSP_SQ_EUlSP_E_NS1_11comp_targetILNS1_3genE5ELNS1_11target_archE942ELNS1_3gpuE9ELNS1_3repE0EEENS1_30default_config_static_selectorELNS0_4arch9wavefront6targetE1EEEvT1_,@function
_ZN7rocprim17ROCPRIM_400000_NS6detail17trampoline_kernelINS0_14default_configENS1_20scan_config_selectorIjEEZZNS1_9scan_implILNS1_25lookback_scan_determinismE0ELb1ELb1ES3_N6thrust23THRUST_200600_302600_NS6detail15normal_iteratorINS9_10device_ptrIjEEEESE_jNS9_4plusIvEEjEEDaPvRmT3_T4_T5_mT6_P12ihipStream_tbENKUlT_T0_E_clISt17integral_constantIbLb1EESU_EEDaSP_SQ_EUlSP_E_NS1_11comp_targetILNS1_3genE5ELNS1_11target_archE942ELNS1_3gpuE9ELNS1_3repE0EEENS1_30default_config_static_selectorELNS0_4arch9wavefront6targetE1EEEvT1_: ; @_ZN7rocprim17ROCPRIM_400000_NS6detail17trampoline_kernelINS0_14default_configENS1_20scan_config_selectorIjEEZZNS1_9scan_implILNS1_25lookback_scan_determinismE0ELb1ELb1ES3_N6thrust23THRUST_200600_302600_NS6detail15normal_iteratorINS9_10device_ptrIjEEEESE_jNS9_4plusIvEEjEEDaPvRmT3_T4_T5_mT6_P12ihipStream_tbENKUlT_T0_E_clISt17integral_constantIbLb1EESU_EEDaSP_SQ_EUlSP_E_NS1_11comp_targetILNS1_3genE5ELNS1_11target_archE942ELNS1_3gpuE9ELNS1_3repE0EEENS1_30default_config_static_selectorELNS0_4arch9wavefront6targetE1EEEvT1_
; %bb.0:
	.section	.rodata,"a",@progbits
	.p2align	6, 0x0
	.amdhsa_kernel _ZN7rocprim17ROCPRIM_400000_NS6detail17trampoline_kernelINS0_14default_configENS1_20scan_config_selectorIjEEZZNS1_9scan_implILNS1_25lookback_scan_determinismE0ELb1ELb1ES3_N6thrust23THRUST_200600_302600_NS6detail15normal_iteratorINS9_10device_ptrIjEEEESE_jNS9_4plusIvEEjEEDaPvRmT3_T4_T5_mT6_P12ihipStream_tbENKUlT_T0_E_clISt17integral_constantIbLb1EESU_EEDaSP_SQ_EUlSP_E_NS1_11comp_targetILNS1_3genE5ELNS1_11target_archE942ELNS1_3gpuE9ELNS1_3repE0EEENS1_30default_config_static_selectorELNS0_4arch9wavefront6targetE1EEEvT1_
		.amdhsa_group_segment_fixed_size 0
		.amdhsa_private_segment_fixed_size 0
		.amdhsa_kernarg_size 96
		.amdhsa_user_sgpr_count 6
		.amdhsa_user_sgpr_private_segment_buffer 1
		.amdhsa_user_sgpr_dispatch_ptr 0
		.amdhsa_user_sgpr_queue_ptr 0
		.amdhsa_user_sgpr_kernarg_segment_ptr 1
		.amdhsa_user_sgpr_dispatch_id 0
		.amdhsa_user_sgpr_flat_scratch_init 0
		.amdhsa_user_sgpr_kernarg_preload_length 0
		.amdhsa_user_sgpr_kernarg_preload_offset 0
		.amdhsa_user_sgpr_private_segment_size 0
		.amdhsa_uses_dynamic_stack 0
		.amdhsa_system_sgpr_private_segment_wavefront_offset 0
		.amdhsa_system_sgpr_workgroup_id_x 1
		.amdhsa_system_sgpr_workgroup_id_y 0
		.amdhsa_system_sgpr_workgroup_id_z 0
		.amdhsa_system_sgpr_workgroup_info 0
		.amdhsa_system_vgpr_workitem_id 0
		.amdhsa_next_free_vgpr 1
		.amdhsa_next_free_sgpr 0
		.amdhsa_accum_offset 4
		.amdhsa_reserve_vcc 0
		.amdhsa_reserve_flat_scratch 0
		.amdhsa_float_round_mode_32 0
		.amdhsa_float_round_mode_16_64 0
		.amdhsa_float_denorm_mode_32 3
		.amdhsa_float_denorm_mode_16_64 3
		.amdhsa_dx10_clamp 1
		.amdhsa_ieee_mode 1
		.amdhsa_fp16_overflow 0
		.amdhsa_tg_split 0
		.amdhsa_exception_fp_ieee_invalid_op 0
		.amdhsa_exception_fp_denorm_src 0
		.amdhsa_exception_fp_ieee_div_zero 0
		.amdhsa_exception_fp_ieee_overflow 0
		.amdhsa_exception_fp_ieee_underflow 0
		.amdhsa_exception_fp_ieee_inexact 0
		.amdhsa_exception_int_div_zero 0
	.end_amdhsa_kernel
	.section	.text._ZN7rocprim17ROCPRIM_400000_NS6detail17trampoline_kernelINS0_14default_configENS1_20scan_config_selectorIjEEZZNS1_9scan_implILNS1_25lookback_scan_determinismE0ELb1ELb1ES3_N6thrust23THRUST_200600_302600_NS6detail15normal_iteratorINS9_10device_ptrIjEEEESE_jNS9_4plusIvEEjEEDaPvRmT3_T4_T5_mT6_P12ihipStream_tbENKUlT_T0_E_clISt17integral_constantIbLb1EESU_EEDaSP_SQ_EUlSP_E_NS1_11comp_targetILNS1_3genE5ELNS1_11target_archE942ELNS1_3gpuE9ELNS1_3repE0EEENS1_30default_config_static_selectorELNS0_4arch9wavefront6targetE1EEEvT1_,"axG",@progbits,_ZN7rocprim17ROCPRIM_400000_NS6detail17trampoline_kernelINS0_14default_configENS1_20scan_config_selectorIjEEZZNS1_9scan_implILNS1_25lookback_scan_determinismE0ELb1ELb1ES3_N6thrust23THRUST_200600_302600_NS6detail15normal_iteratorINS9_10device_ptrIjEEEESE_jNS9_4plusIvEEjEEDaPvRmT3_T4_T5_mT6_P12ihipStream_tbENKUlT_T0_E_clISt17integral_constantIbLb1EESU_EEDaSP_SQ_EUlSP_E_NS1_11comp_targetILNS1_3genE5ELNS1_11target_archE942ELNS1_3gpuE9ELNS1_3repE0EEENS1_30default_config_static_selectorELNS0_4arch9wavefront6targetE1EEEvT1_,comdat
.Lfunc_end4665:
	.size	_ZN7rocprim17ROCPRIM_400000_NS6detail17trampoline_kernelINS0_14default_configENS1_20scan_config_selectorIjEEZZNS1_9scan_implILNS1_25lookback_scan_determinismE0ELb1ELb1ES3_N6thrust23THRUST_200600_302600_NS6detail15normal_iteratorINS9_10device_ptrIjEEEESE_jNS9_4plusIvEEjEEDaPvRmT3_T4_T5_mT6_P12ihipStream_tbENKUlT_T0_E_clISt17integral_constantIbLb1EESU_EEDaSP_SQ_EUlSP_E_NS1_11comp_targetILNS1_3genE5ELNS1_11target_archE942ELNS1_3gpuE9ELNS1_3repE0EEENS1_30default_config_static_selectorELNS0_4arch9wavefront6targetE1EEEvT1_, .Lfunc_end4665-_ZN7rocprim17ROCPRIM_400000_NS6detail17trampoline_kernelINS0_14default_configENS1_20scan_config_selectorIjEEZZNS1_9scan_implILNS1_25lookback_scan_determinismE0ELb1ELb1ES3_N6thrust23THRUST_200600_302600_NS6detail15normal_iteratorINS9_10device_ptrIjEEEESE_jNS9_4plusIvEEjEEDaPvRmT3_T4_T5_mT6_P12ihipStream_tbENKUlT_T0_E_clISt17integral_constantIbLb1EESU_EEDaSP_SQ_EUlSP_E_NS1_11comp_targetILNS1_3genE5ELNS1_11target_archE942ELNS1_3gpuE9ELNS1_3repE0EEENS1_30default_config_static_selectorELNS0_4arch9wavefront6targetE1EEEvT1_
                                        ; -- End function
	.section	.AMDGPU.csdata,"",@progbits
; Kernel info:
; codeLenInByte = 0
; NumSgprs: 4
; NumVgprs: 0
; NumAgprs: 0
; TotalNumVgprs: 0
; ScratchSize: 0
; MemoryBound: 0
; FloatMode: 240
; IeeeMode: 1
; LDSByteSize: 0 bytes/workgroup (compile time only)
; SGPRBlocks: 0
; VGPRBlocks: 0
; NumSGPRsForWavesPerEU: 4
; NumVGPRsForWavesPerEU: 1
; AccumOffset: 4
; Occupancy: 8
; WaveLimiterHint : 0
; COMPUTE_PGM_RSRC2:SCRATCH_EN: 0
; COMPUTE_PGM_RSRC2:USER_SGPR: 6
; COMPUTE_PGM_RSRC2:TRAP_HANDLER: 0
; COMPUTE_PGM_RSRC2:TGID_X_EN: 1
; COMPUTE_PGM_RSRC2:TGID_Y_EN: 0
; COMPUTE_PGM_RSRC2:TGID_Z_EN: 0
; COMPUTE_PGM_RSRC2:TIDIG_COMP_CNT: 0
; COMPUTE_PGM_RSRC3_GFX90A:ACCUM_OFFSET: 0
; COMPUTE_PGM_RSRC3_GFX90A:TG_SPLIT: 0
	.section	.text._ZN7rocprim17ROCPRIM_400000_NS6detail17trampoline_kernelINS0_14default_configENS1_20scan_config_selectorIjEEZZNS1_9scan_implILNS1_25lookback_scan_determinismE0ELb1ELb1ES3_N6thrust23THRUST_200600_302600_NS6detail15normal_iteratorINS9_10device_ptrIjEEEESE_jNS9_4plusIvEEjEEDaPvRmT3_T4_T5_mT6_P12ihipStream_tbENKUlT_T0_E_clISt17integral_constantIbLb1EESU_EEDaSP_SQ_EUlSP_E_NS1_11comp_targetILNS1_3genE4ELNS1_11target_archE910ELNS1_3gpuE8ELNS1_3repE0EEENS1_30default_config_static_selectorELNS0_4arch9wavefront6targetE1EEEvT1_,"axG",@progbits,_ZN7rocprim17ROCPRIM_400000_NS6detail17trampoline_kernelINS0_14default_configENS1_20scan_config_selectorIjEEZZNS1_9scan_implILNS1_25lookback_scan_determinismE0ELb1ELb1ES3_N6thrust23THRUST_200600_302600_NS6detail15normal_iteratorINS9_10device_ptrIjEEEESE_jNS9_4plusIvEEjEEDaPvRmT3_T4_T5_mT6_P12ihipStream_tbENKUlT_T0_E_clISt17integral_constantIbLb1EESU_EEDaSP_SQ_EUlSP_E_NS1_11comp_targetILNS1_3genE4ELNS1_11target_archE910ELNS1_3gpuE8ELNS1_3repE0EEENS1_30default_config_static_selectorELNS0_4arch9wavefront6targetE1EEEvT1_,comdat
	.protected	_ZN7rocprim17ROCPRIM_400000_NS6detail17trampoline_kernelINS0_14default_configENS1_20scan_config_selectorIjEEZZNS1_9scan_implILNS1_25lookback_scan_determinismE0ELb1ELb1ES3_N6thrust23THRUST_200600_302600_NS6detail15normal_iteratorINS9_10device_ptrIjEEEESE_jNS9_4plusIvEEjEEDaPvRmT3_T4_T5_mT6_P12ihipStream_tbENKUlT_T0_E_clISt17integral_constantIbLb1EESU_EEDaSP_SQ_EUlSP_E_NS1_11comp_targetILNS1_3genE4ELNS1_11target_archE910ELNS1_3gpuE8ELNS1_3repE0EEENS1_30default_config_static_selectorELNS0_4arch9wavefront6targetE1EEEvT1_ ; -- Begin function _ZN7rocprim17ROCPRIM_400000_NS6detail17trampoline_kernelINS0_14default_configENS1_20scan_config_selectorIjEEZZNS1_9scan_implILNS1_25lookback_scan_determinismE0ELb1ELb1ES3_N6thrust23THRUST_200600_302600_NS6detail15normal_iteratorINS9_10device_ptrIjEEEESE_jNS9_4plusIvEEjEEDaPvRmT3_T4_T5_mT6_P12ihipStream_tbENKUlT_T0_E_clISt17integral_constantIbLb1EESU_EEDaSP_SQ_EUlSP_E_NS1_11comp_targetILNS1_3genE4ELNS1_11target_archE910ELNS1_3gpuE8ELNS1_3repE0EEENS1_30default_config_static_selectorELNS0_4arch9wavefront6targetE1EEEvT1_
	.globl	_ZN7rocprim17ROCPRIM_400000_NS6detail17trampoline_kernelINS0_14default_configENS1_20scan_config_selectorIjEEZZNS1_9scan_implILNS1_25lookback_scan_determinismE0ELb1ELb1ES3_N6thrust23THRUST_200600_302600_NS6detail15normal_iteratorINS9_10device_ptrIjEEEESE_jNS9_4plusIvEEjEEDaPvRmT3_T4_T5_mT6_P12ihipStream_tbENKUlT_T0_E_clISt17integral_constantIbLb1EESU_EEDaSP_SQ_EUlSP_E_NS1_11comp_targetILNS1_3genE4ELNS1_11target_archE910ELNS1_3gpuE8ELNS1_3repE0EEENS1_30default_config_static_selectorELNS0_4arch9wavefront6targetE1EEEvT1_
	.p2align	8
	.type	_ZN7rocprim17ROCPRIM_400000_NS6detail17trampoline_kernelINS0_14default_configENS1_20scan_config_selectorIjEEZZNS1_9scan_implILNS1_25lookback_scan_determinismE0ELb1ELb1ES3_N6thrust23THRUST_200600_302600_NS6detail15normal_iteratorINS9_10device_ptrIjEEEESE_jNS9_4plusIvEEjEEDaPvRmT3_T4_T5_mT6_P12ihipStream_tbENKUlT_T0_E_clISt17integral_constantIbLb1EESU_EEDaSP_SQ_EUlSP_E_NS1_11comp_targetILNS1_3genE4ELNS1_11target_archE910ELNS1_3gpuE8ELNS1_3repE0EEENS1_30default_config_static_selectorELNS0_4arch9wavefront6targetE1EEEvT1_,@function
_ZN7rocprim17ROCPRIM_400000_NS6detail17trampoline_kernelINS0_14default_configENS1_20scan_config_selectorIjEEZZNS1_9scan_implILNS1_25lookback_scan_determinismE0ELb1ELb1ES3_N6thrust23THRUST_200600_302600_NS6detail15normal_iteratorINS9_10device_ptrIjEEEESE_jNS9_4plusIvEEjEEDaPvRmT3_T4_T5_mT6_P12ihipStream_tbENKUlT_T0_E_clISt17integral_constantIbLb1EESU_EEDaSP_SQ_EUlSP_E_NS1_11comp_targetILNS1_3genE4ELNS1_11target_archE910ELNS1_3gpuE8ELNS1_3repE0EEENS1_30default_config_static_selectorELNS0_4arch9wavefront6targetE1EEEvT1_: ; @_ZN7rocprim17ROCPRIM_400000_NS6detail17trampoline_kernelINS0_14default_configENS1_20scan_config_selectorIjEEZZNS1_9scan_implILNS1_25lookback_scan_determinismE0ELb1ELb1ES3_N6thrust23THRUST_200600_302600_NS6detail15normal_iteratorINS9_10device_ptrIjEEEESE_jNS9_4plusIvEEjEEDaPvRmT3_T4_T5_mT6_P12ihipStream_tbENKUlT_T0_E_clISt17integral_constantIbLb1EESU_EEDaSP_SQ_EUlSP_E_NS1_11comp_targetILNS1_3genE4ELNS1_11target_archE910ELNS1_3gpuE8ELNS1_3repE0EEENS1_30default_config_static_selectorELNS0_4arch9wavefront6targetE1EEEvT1_
; %bb.0:
	s_load_dword s33, s[4:5], 0x20
	s_load_dwordx2 s[6:7], s[4:5], 0x28
	v_cmp_ne_u32_e64 s[2:3], 0, v0
	v_cmp_eq_u32_e64 s[0:1], 0, v0
	s_and_saveexec_b64 s[8:9], s[0:1]
	s_cbranch_execz .LBB4666_4
; %bb.1:
	s_mov_b64 s[12:13], exec
	v_mbcnt_lo_u32_b32 v1, s12, 0
	v_mbcnt_hi_u32_b32 v1, s13, v1
	v_cmp_eq_u32_e32 vcc, 0, v1
                                        ; implicit-def: $vgpr2
	s_and_saveexec_b64 s[10:11], vcc
	s_cbranch_execz .LBB4666_3
; %bb.2:
	s_load_dwordx2 s[14:15], s[4:5], 0x58
	s_bcnt1_i32_b64 s12, s[12:13]
	v_mov_b32_e32 v2, 0
	v_mov_b32_e32 v3, s12
	s_waitcnt lgkmcnt(0)
	global_atomic_add v2, v2, v3, s[14:15] glc
.LBB4666_3:
	s_or_b64 exec, exec, s[10:11]
	s_waitcnt vmcnt(0)
	v_readfirstlane_b32 s10, v2
	v_add_u32_e32 v1, s10, v1
	v_mov_b32_e32 v2, 0
	ds_write_b32 v2, v1
.LBB4666_4:
	s_or_b64 exec, exec, s[8:9]
	s_load_dwordx8 s[16:23], s[4:5], 0x0
	s_load_dword s24, s[4:5], 0x30
	s_load_dwordx8 s[8:15], s[4:5], 0x38
	v_mov_b32_e32 v1, 0
	s_waitcnt lgkmcnt(0)
	s_barrier
	ds_read_b32 v1, v1
	s_lshl_b64 s[18:19], s[18:19], 2
	s_add_u32 s34, s16, s18
	s_addc_u32 s35, s17, s19
	s_add_i32 s16, s24, -1
	s_mul_i32 s17, s16, 0x500
	s_sub_u32 s30, s22, s17
	s_waitcnt lgkmcnt(0)
	v_readfirstlane_b32 s36, v1
	s_subb_u32 s31, s23, 0
	s_mul_i32 s4, s36, 0x500
	s_mov_b32 s5, 0
	s_cmp_lg_u32 s36, s16
	s_cselect_b64 s[16:17], -1, 0
	s_lshl_b64 s[22:23], s[4:5], 2
	s_add_u32 s24, s34, s22
	s_addc_u32 s25, s35, s23
	s_mov_b64 s[4:5], -1
	s_and_b64 vcc, exec, s[16:17]
	v_lshlrev_b32_e32 v22, 2, v0
	s_barrier
	s_cbranch_vccz .LBB4666_6
; %bb.5:
	v_mov_b32_e32 v1, s25
	v_add_co_u32_e32 v2, vcc, s24, v22
	v_addc_co_u32_e32 v3, vcc, 0, v1, vcc
	flat_load_dword v1, v[2:3]
	flat_load_dword v4, v[2:3] offset:512
	flat_load_dword v5, v[2:3] offset:1024
	;; [unrolled: 1-line block ×7, first 2 shown]
	v_add_co_u32_e32 v2, vcc, 0x1000, v2
	v_addc_co_u32_e32 v3, vcc, 0, v3, vcc
	flat_load_dword v11, v[2:3]
	flat_load_dword v12, v[2:3] offset:512
	s_mov_b64 s[4:5], 0
	s_waitcnt vmcnt(0) lgkmcnt(0)
	ds_write2st64_b32 v22, v1, v4 offset1:2
	ds_write2st64_b32 v22, v5, v6 offset0:4 offset1:6
	ds_write2st64_b32 v22, v7, v8 offset0:8 offset1:10
	;; [unrolled: 1-line block ×4, first 2 shown]
	s_waitcnt lgkmcnt(0)
	s_barrier
.LBB4666_6:
	s_andn2_b64 vcc, exec, s[4:5]
	v_cmp_gt_u32_e64 s[4:5], s30, v0
	s_cbranch_vccnz .LBB4666_28
; %bb.7:
	v_pk_mov_b32 v[2:3], s[24:25], s[24:25] op_sel:[0,1]
	flat_load_dword v1, v[2:3]
	s_waitcnt vmcnt(0) lgkmcnt(0)
	v_mov_b32_e32 v2, v1
	v_mov_b32_e32 v3, v1
	;; [unrolled: 1-line block ×9, first 2 shown]
	s_and_saveexec_b64 s[26:27], s[4:5]
	s_cbranch_execz .LBB4666_9
; %bb.8:
	v_mov_b32_e32 v11, s25
	v_add_co_u32_e32 v10, vcc, s24, v22
	v_addc_co_u32_e32 v11, vcc, 0, v11, vcc
	flat_load_dword v10, v[10:11]
.LBB4666_9:
	s_or_b64 exec, exec, s[26:27]
	v_or_b32_e32 v11, 0x80, v0
	v_cmp_gt_u32_e32 vcc, s30, v11
	s_and_saveexec_b64 s[4:5], vcc
	s_cbranch_execz .LBB4666_11
; %bb.10:
	v_mov_b32_e32 v1, s25
	v_add_co_u32_e32 v12, vcc, s24, v22
	v_addc_co_u32_e32 v13, vcc, 0, v1, vcc
	flat_load_dword v1, v[12:13] offset:512
.LBB4666_11:
	s_or_b64 exec, exec, s[4:5]
	v_or_b32_e32 v11, 0x100, v0
	v_cmp_gt_u32_e32 vcc, s30, v11
	s_and_saveexec_b64 s[4:5], vcc
	s_cbranch_execz .LBB4666_13
; %bb.12:
	v_mov_b32_e32 v2, s25
	v_add_co_u32_e32 v12, vcc, s24, v22
	v_addc_co_u32_e32 v13, vcc, 0, v2, vcc
	flat_load_dword v2, v[12:13] offset:1024
.LBB4666_13:
	;; [unrolled: 11-line block ×7, first 2 shown]
	s_or_b64 exec, exec, s[4:5]
	v_or_b32_e32 v11, 0x400, v0
	v_cmp_gt_u32_e32 vcc, s30, v11
	s_and_saveexec_b64 s[4:5], vcc
	s_cbranch_execz .LBB4666_25
; %bb.24:
	v_lshlrev_b32_e32 v8, 2, v11
	v_mov_b32_e32 v11, s25
	v_add_co_u32_e32 v12, vcc, s24, v8
	v_addc_co_u32_e32 v13, vcc, 0, v11, vcc
	flat_load_dword v8, v[12:13]
.LBB4666_25:
	s_or_b64 exec, exec, s[4:5]
	v_or_b32_e32 v11, 0x480, v0
	v_cmp_gt_u32_e32 vcc, s30, v11
	s_and_saveexec_b64 s[4:5], vcc
	s_cbranch_execz .LBB4666_27
; %bb.26:
	v_lshlrev_b32_e32 v9, 2, v11
	v_mov_b32_e32 v11, s25
	v_add_co_u32_e32 v12, vcc, s24, v9
	v_addc_co_u32_e32 v13, vcc, 0, v11, vcc
	flat_load_dword v9, v[12:13]
.LBB4666_27:
	s_or_b64 exec, exec, s[4:5]
	s_waitcnt vmcnt(0) lgkmcnt(0)
	ds_write2st64_b32 v22, v10, v1 offset1:2
	ds_write2st64_b32 v22, v2, v3 offset0:4 offset1:6
	ds_write2st64_b32 v22, v4, v5 offset0:8 offset1:10
	;; [unrolled: 1-line block ×4, first 2 shown]
	s_waitcnt lgkmcnt(0)
	s_barrier
.LBB4666_28:
	v_mul_u32_u24_e32 v23, 10, v0
	v_lshlrev_b32_e32 v1, 2, v23
	ds_read2_b64 v[16:19], v1 offset1:1
	ds_read2_b64 v[12:15], v1 offset0:2 offset1:3
	ds_read_b64 v[20:21], v1 offset:32
	s_cmp_lg_u32 s36, 0
	v_lshrrev_b32_e32 v24, 5, v0
	s_waitcnt lgkmcnt(2)
	v_add_u32_e32 v2, v17, v16
	v_add3_u32 v25, v2, v18, v19
	v_cmp_gt_u32_e32 vcc, 64, v0
	s_waitcnt lgkmcnt(0)
	s_barrier
	s_cbranch_scc0 .LBB4666_57
; %bb.29:
	v_add3_u32 v2, v25, v12, v13
	v_add3_u32 v2, v2, v14, v15
	;; [unrolled: 1-line block ×3, first 2 shown]
	v_add_lshl_u32 v3, v24, v0, 2
	ds_write_b32 v3, v2
	s_waitcnt lgkmcnt(0)
	s_barrier
	s_and_saveexec_b64 s[24:25], vcc
	s_cbranch_execz .LBB4666_31
; %bb.30:
	v_lshlrev_b32_e32 v3, 1, v0
	v_lshrrev_b32_e32 v4, 4, v0
	v_add_lshl_u32 v3, v4, v3, 2
	ds_read2_b32 v[4:5], v3 offset1:1
	v_mbcnt_lo_u32_b32 v6, -1, 0
	v_mbcnt_hi_u32_b32 v6, -1, v6
	v_and_b32_e32 v7, 15, v6
	v_cmp_ne_u32_e64 s[4:5], 0, v7
	s_waitcnt lgkmcnt(0)
	v_add_u32_e32 v5, v5, v4
	; wave barrier
	s_nop 1
	v_mov_b32_dpp v8, v5 row_shr:1 row_mask:0xf bank_mask:0xf
	v_cndmask_b32_e64 v8, 0, v8, s[4:5]
	v_add_u32_e32 v5, v8, v5
	v_cmp_lt_u32_e64 s[4:5], 1, v7
	s_nop 0
	v_mov_b32_dpp v8, v5 row_shr:2 row_mask:0xf bank_mask:0xf
	v_cndmask_b32_e64 v8, 0, v8, s[4:5]
	v_add_u32_e32 v5, v5, v8
	v_cmp_lt_u32_e64 s[4:5], 3, v7
	;; [unrolled: 5-line block ×3, first 2 shown]
	s_nop 0
	v_mov_b32_dpp v8, v5 row_shr:8 row_mask:0xf bank_mask:0xf
	v_cndmask_b32_e64 v7, 0, v8, s[4:5]
	v_add_u32_e32 v5, v5, v7
	v_bfe_i32 v8, v6, 4, 1
	v_cmp_lt_u32_e64 s[4:5], 31, v6
	v_mov_b32_dpp v7, v5 row_bcast:15 row_mask:0xf bank_mask:0xf
	v_and_b32_e32 v7, v8, v7
	v_add_u32_e32 v5, v5, v7
	v_and_b32_e32 v8, 64, v6
	s_nop 0
	v_mov_b32_dpp v7, v5 row_bcast:31 row_mask:0xf bank_mask:0xf
	v_cndmask_b32_e64 v7, 0, v7, s[4:5]
	v_add_u32_e32 v5, v5, v7
	v_add_u32_e32 v7, -1, v6
	v_cmp_lt_i32_e64 s[4:5], v7, v8
	v_cndmask_b32_e64 v6, v7, v6, s[4:5]
	v_lshlrev_b32_e32 v6, 2, v6
	ds_bpermute_b32 v5, v6, v5
	s_waitcnt lgkmcnt(0)
	v_add_u32_e32 v4, v5, v4
	v_cndmask_b32_e64 v2, v4, v2, s[0:1]
	ds_write_b32 v3, v2
	; wave barrier
	ds_read_b32 v4, v3 offset:4
	s_waitcnt lgkmcnt(0)
	v_add_u32_e32 v2, v4, v2
	ds_write_b32 v3, v2 offset:4
.LBB4666_31:
	s_or_b64 exec, exec, s[24:25]
	v_mov_b32_e32 v26, 0
	s_waitcnt lgkmcnt(0)
	s_barrier
	s_and_saveexec_b64 s[4:5], s[2:3]
	s_cbranch_execz .LBB4666_33
; %bb.32:
	v_add_u32_e32 v2, -1, v0
	v_lshrrev_b32_e32 v3, 5, v2
	v_add_lshl_u32 v2, v3, v2, 2
	ds_read_b32 v26, v2
.LBB4666_33:
	s_or_b64 exec, exec, s[4:5]
	s_and_saveexec_b64 s[24:25], vcc
	s_cbranch_execz .LBB4666_56
; %bb.34:
	v_mov_b32_e32 v11, 0
	ds_read_b32 v2, v11 offset:520
	v_mbcnt_lo_u32_b32 v3, -1, 0
	v_mbcnt_hi_u32_b32 v5, -1, v3
	s_mov_b32 s29, 0
	v_cmp_eq_u32_e64 s[4:5], 0, v5
	s_and_saveexec_b64 s[26:27], s[4:5]
	s_cbranch_execz .LBB4666_36
; %bb.35:
	s_add_i32 s28, s36, 64
	s_lshl_b64 s[28:29], s[28:29], 3
	s_add_u32 s28, s6, s28
	v_mov_b32_e32 v3, 1
	s_addc_u32 s29, s7, s29
	s_waitcnt lgkmcnt(0)
	global_store_dwordx2 v11, v[2:3], s[28:29]
.LBB4666_36:
	s_or_b64 exec, exec, s[26:27]
	v_xad_u32 v4, v5, -1, s36
	v_add_u32_e32 v10, 64, v4
	v_lshlrev_b64 v[6:7], 3, v[10:11]
	v_mov_b32_e32 v3, s7
	v_add_co_u32_e32 v6, vcc, s6, v6
	v_addc_co_u32_e32 v7, vcc, v3, v7, vcc
	global_load_dwordx2 v[8:9], v[6:7], off glc
	s_waitcnt vmcnt(0)
	v_cmp_eq_u16_sdwa s[28:29], v9, v11 src0_sel:BYTE_0 src1_sel:DWORD
	s_and_saveexec_b64 s[26:27], s[28:29]
	s_cbranch_execz .LBB4666_42
; %bb.37:
	s_mov_b32 s37, 1
	s_mov_b64 s[28:29], 0
	v_mov_b32_e32 v3, 0
.LBB4666_38:                            ; =>This Loop Header: Depth=1
                                        ;     Child Loop BB4666_39 Depth 2
	s_max_u32 s38, s37, 1
.LBB4666_39:                            ;   Parent Loop BB4666_38 Depth=1
                                        ; =>  This Inner Loop Header: Depth=2
	s_add_i32 s38, s38, -1
	s_cmp_eq_u32 s38, 0
	s_sleep 1
	s_cbranch_scc0 .LBB4666_39
; %bb.40:                               ;   in Loop: Header=BB4666_38 Depth=1
	global_load_dwordx2 v[8:9], v[6:7], off glc
	s_cmp_lt_u32 s37, 32
	s_cselect_b64 s[38:39], -1, 0
	s_cmp_lg_u64 s[38:39], 0
	s_addc_u32 s37, s37, 0
	s_waitcnt vmcnt(0)
	v_cmp_ne_u16_sdwa s[38:39], v9, v3 src0_sel:BYTE_0 src1_sel:DWORD
	s_or_b64 s[28:29], s[38:39], s[28:29]
	s_andn2_b64 exec, exec, s[28:29]
	s_cbranch_execnz .LBB4666_38
; %bb.41:
	s_or_b64 exec, exec, s[28:29]
.LBB4666_42:
	s_or_b64 exec, exec, s[26:27]
	v_and_b32_e32 v27, 63, v5
	v_mov_b32_e32 v3, 2
	v_cmp_ne_u32_e32 vcc, 63, v27
	v_cmp_eq_u16_sdwa s[26:27], v9, v3 src0_sel:BYTE_0 src1_sel:DWORD
	v_lshlrev_b64 v[6:7], v5, -1
	v_addc_co_u32_e32 v28, vcc, 0, v5, vcc
	v_and_b32_e32 v10, s27, v7
	v_lshlrev_b32_e32 v28, 2, v28
	v_or_b32_e32 v10, 0x80000000, v10
	ds_bpermute_b32 v29, v28, v8
	v_and_b32_e32 v11, s26, v6
	v_ffbl_b32_e32 v10, v10
	v_add_u32_e32 v10, 32, v10
	v_ffbl_b32_e32 v11, v11
	v_min_u32_e32 v10, v11, v10
	v_cmp_lt_u32_e32 vcc, v27, v10
	s_waitcnt lgkmcnt(0)
	v_cndmask_b32_e32 v11, 0, v29, vcc
	v_cmp_gt_u32_e32 vcc, 62, v27
	v_add_u32_e32 v8, v11, v8
	v_cndmask_b32_e64 v11, 0, 1, vcc
	v_lshlrev_b32_e32 v11, 1, v11
	v_add_lshl_u32 v29, v11, v5, 2
	ds_bpermute_b32 v11, v29, v8
	v_add_u32_e32 v30, 2, v27
	v_cmp_le_u32_e32 vcc, v30, v10
	v_add_u32_e32 v32, 4, v27
	v_add_u32_e32 v34, 8, v27
	s_waitcnt lgkmcnt(0)
	v_cndmask_b32_e32 v11, 0, v11, vcc
	v_cmp_gt_u32_e32 vcc, 60, v27
	v_add_u32_e32 v8, v8, v11
	v_cndmask_b32_e64 v11, 0, 1, vcc
	v_lshlrev_b32_e32 v11, 2, v11
	v_add_lshl_u32 v31, v11, v5, 2
	ds_bpermute_b32 v11, v31, v8
	v_cmp_le_u32_e32 vcc, v32, v10
	v_add_u32_e32 v37, 16, v27
	v_add_u32_e32 v39, 32, v27
	s_waitcnt lgkmcnt(0)
	v_cndmask_b32_e32 v11, 0, v11, vcc
	v_cmp_gt_u32_e32 vcc, 56, v27
	v_add_u32_e32 v8, v8, v11
	v_cndmask_b32_e64 v11, 0, 1, vcc
	v_lshlrev_b32_e32 v11, 3, v11
	v_add_lshl_u32 v33, v11, v5, 2
	ds_bpermute_b32 v11, v33, v8
	v_cmp_le_u32_e32 vcc, v34, v10
	s_waitcnt lgkmcnt(0)
	v_cndmask_b32_e32 v11, 0, v11, vcc
	v_cmp_gt_u32_e32 vcc, 48, v27
	v_add_u32_e32 v8, v8, v11
	v_cndmask_b32_e64 v11, 0, 1, vcc
	v_lshlrev_b32_e32 v11, 4, v11
	v_add_lshl_u32 v36, v11, v5, 2
	ds_bpermute_b32 v11, v36, v8
	v_cmp_le_u32_e32 vcc, v37, v10
	;; [unrolled: 9-line block ×3, first 2 shown]
	s_waitcnt lgkmcnt(0)
	v_cndmask_b32_e32 v5, 0, v5, vcc
	v_add_u32_e32 v8, v8, v5
	v_mov_b32_e32 v5, 0
	s_branch .LBB4666_44
.LBB4666_43:                            ;   in Loop: Header=BB4666_44 Depth=1
	s_or_b64 exec, exec, s[26:27]
	v_cmp_eq_u16_sdwa s[26:27], v9, v3 src0_sel:BYTE_0 src1_sel:DWORD
	v_and_b32_e32 v10, s27, v7
	v_or_b32_e32 v10, 0x80000000, v10
	ds_bpermute_b32 v40, v28, v8
	v_and_b32_e32 v11, s26, v6
	v_ffbl_b32_e32 v10, v10
	v_add_u32_e32 v10, 32, v10
	v_ffbl_b32_e32 v11, v11
	v_min_u32_e32 v10, v11, v10
	v_cmp_lt_u32_e32 vcc, v27, v10
	s_waitcnt lgkmcnt(0)
	v_cndmask_b32_e32 v11, 0, v40, vcc
	v_add_u32_e32 v8, v11, v8
	ds_bpermute_b32 v11, v29, v8
	v_cmp_le_u32_e32 vcc, v30, v10
	v_subrev_u32_e32 v4, 64, v4
	s_waitcnt lgkmcnt(0)
	v_cndmask_b32_e32 v11, 0, v11, vcc
	v_add_u32_e32 v8, v8, v11
	ds_bpermute_b32 v11, v31, v8
	v_cmp_le_u32_e32 vcc, v32, v10
	s_waitcnt lgkmcnt(0)
	v_cndmask_b32_e32 v11, 0, v11, vcc
	v_add_u32_e32 v8, v8, v11
	ds_bpermute_b32 v11, v33, v8
	v_cmp_le_u32_e32 vcc, v34, v10
	;; [unrolled: 5-line block ×4, first 2 shown]
	s_waitcnt lgkmcnt(0)
	v_cndmask_b32_e32 v10, 0, v11, vcc
	v_add3_u32 v8, v10, v35, v8
.LBB4666_44:                            ; =>This Loop Header: Depth=1
                                        ;     Child Loop BB4666_47 Depth 2
                                        ;       Child Loop BB4666_48 Depth 3
	v_cmp_ne_u16_sdwa s[26:27], v9, v3 src0_sel:BYTE_0 src1_sel:DWORD
	v_cndmask_b32_e64 v9, 0, 1, s[26:27]
	;;#ASMSTART
	;;#ASMEND
	v_cmp_ne_u32_e32 vcc, 0, v9
	s_cmp_lg_u64 vcc, exec
	v_mov_b32_e32 v35, v8
	s_cbranch_scc1 .LBB4666_51
; %bb.45:                               ;   in Loop: Header=BB4666_44 Depth=1
	v_lshlrev_b64 v[8:9], 3, v[4:5]
	v_mov_b32_e32 v11, s7
	v_add_co_u32_e32 v10, vcc, s6, v8
	v_addc_co_u32_e32 v11, vcc, v11, v9, vcc
	global_load_dwordx2 v[8:9], v[10:11], off glc
	s_waitcnt vmcnt(0)
	v_cmp_eq_u16_sdwa s[28:29], v9, v5 src0_sel:BYTE_0 src1_sel:DWORD
	s_and_saveexec_b64 s[26:27], s[28:29]
	s_cbranch_execz .LBB4666_43
; %bb.46:                               ;   in Loop: Header=BB4666_44 Depth=1
	s_mov_b32 s37, 1
	s_mov_b64 s[28:29], 0
.LBB4666_47:                            ;   Parent Loop BB4666_44 Depth=1
                                        ; =>  This Loop Header: Depth=2
                                        ;       Child Loop BB4666_48 Depth 3
	s_max_u32 s38, s37, 1
.LBB4666_48:                            ;   Parent Loop BB4666_44 Depth=1
                                        ;     Parent Loop BB4666_47 Depth=2
                                        ; =>    This Inner Loop Header: Depth=3
	s_add_i32 s38, s38, -1
	s_cmp_eq_u32 s38, 0
	s_sleep 1
	s_cbranch_scc0 .LBB4666_48
; %bb.49:                               ;   in Loop: Header=BB4666_47 Depth=2
	global_load_dwordx2 v[8:9], v[10:11], off glc
	s_cmp_lt_u32 s37, 32
	s_cselect_b64 s[38:39], -1, 0
	s_cmp_lg_u64 s[38:39], 0
	s_addc_u32 s37, s37, 0
	s_waitcnt vmcnt(0)
	v_cmp_ne_u16_sdwa s[38:39], v9, v5 src0_sel:BYTE_0 src1_sel:DWORD
	s_or_b64 s[28:29], s[38:39], s[28:29]
	s_andn2_b64 exec, exec, s[28:29]
	s_cbranch_execnz .LBB4666_47
; %bb.50:                               ;   in Loop: Header=BB4666_44 Depth=1
	s_or_b64 exec, exec, s[28:29]
	s_branch .LBB4666_43
.LBB4666_51:                            ;   in Loop: Header=BB4666_44 Depth=1
                                        ; implicit-def: $vgpr8
                                        ; implicit-def: $vgpr9
	s_cbranch_execz .LBB4666_44
; %bb.52:
	s_and_saveexec_b64 s[26:27], s[4:5]
	s_cbranch_execz .LBB4666_54
; %bb.53:
	s_add_i32 s4, s36, 64
	s_mov_b32 s5, 0
	s_lshl_b64 s[4:5], s[4:5], 3
	s_add_u32 s4, s6, s4
	v_add_u32_e32 v2, v35, v2
	v_mov_b32_e32 v3, 2
	s_addc_u32 s5, s7, s5
	v_mov_b32_e32 v4, 0
	global_store_dwordx2 v4, v[2:3], s[4:5]
.LBB4666_54:
	s_or_b64 exec, exec, s[26:27]
	s_and_b64 exec, exec, s[0:1]
	s_cbranch_execz .LBB4666_56
; %bb.55:
	v_mov_b32_e32 v2, 0
	ds_write_b32 v2, v35
.LBB4666_56:
	s_or_b64 exec, exec, s[24:25]
	v_mov_b32_e32 v2, 0
	s_waitcnt lgkmcnt(0)
	s_barrier
	ds_read_b32 v2, v2
	s_waitcnt lgkmcnt(0)
	v_add_u32_e32 v2, v2, v26
	v_add_u32_e32 v3, v2, v16
	v_add_u32_e32 v4, v3, v17
	v_add_u32_e32 v5, v4, v18
	v_add_u32_e32 v6, v5, v19
	v_add_u32_e32 v7, v6, v12
	v_add_u32_e32 v8, v7, v13
	v_add_u32_e32 v9, v8, v14
	v_add_u32_e32 v10, v9, v15
	v_add_u32_e32 v11, v10, v20
	s_branch .LBB4666_67
.LBB4666_57:
                                        ; implicit-def: $vgpr2_vgpr3_vgpr4_vgpr5_vgpr6_vgpr7_vgpr8_vgpr9_vgpr10_vgpr11
	s_cbranch_execz .LBB4666_67
; %bb.58:
	s_cmp_eq_u64 s[12:13], 0
	v_mov_b32_e32 v26, s33
	s_cbranch_scc1 .LBB4666_60
; %bb.59:
	v_mov_b32_e32 v3, s35
	v_add_co_u32_e64 v2, vcc, -4, s34
	v_addc_co_u32_e32 v3, vcc, -1, v3, vcc
	v_mov_b32_e32 v4, 0
	flat_load_dword v5, v[2:3]
	global_load_dword v6, v4, s[8:9]
	s_waitcnt vmcnt(0) lgkmcnt(0)
	v_add_u32_e32 v26, v6, v5
.LBB4666_60:
	v_add3_u32 v2, v25, v12, v13
	v_add3_u32 v2, v2, v14, v15
	;; [unrolled: 1-line block ×3, first 2 shown]
	v_add_lshl_u32 v3, v24, v0, 2
	v_cmp_gt_u32_e32 vcc, 64, v0
	ds_write_b32 v3, v2
	s_waitcnt lgkmcnt(0)
	s_barrier
	s_and_saveexec_b64 s[4:5], vcc
	s_cbranch_execz .LBB4666_62
; %bb.61:
	v_lshlrev_b32_e32 v3, 1, v0
	v_lshrrev_b32_e32 v4, 4, v0
	v_add_lshl_u32 v3, v4, v3, 2
	ds_read2_b32 v[4:5], v3 offset1:1
	v_mbcnt_lo_u32_b32 v6, -1, 0
	v_mbcnt_hi_u32_b32 v6, -1, v6
	v_and_b32_e32 v7, 15, v6
	v_cmp_ne_u32_e32 vcc, 0, v7
	s_waitcnt lgkmcnt(0)
	v_add_u32_e32 v5, v5, v4
	; wave barrier
	s_nop 1
	v_mov_b32_dpp v8, v5 row_shr:1 row_mask:0xf bank_mask:0xf
	v_cndmask_b32_e32 v8, 0, v8, vcc
	v_add_u32_e32 v5, v8, v5
	v_cmp_lt_u32_e32 vcc, 1, v7
	s_nop 0
	v_mov_b32_dpp v8, v5 row_shr:2 row_mask:0xf bank_mask:0xf
	v_cndmask_b32_e32 v8, 0, v8, vcc
	v_add_u32_e32 v5, v5, v8
	v_cmp_lt_u32_e32 vcc, 3, v7
	;; [unrolled: 5-line block ×3, first 2 shown]
	s_nop 0
	v_mov_b32_dpp v8, v5 row_shr:8 row_mask:0xf bank_mask:0xf
	v_cndmask_b32_e32 v7, 0, v8, vcc
	v_add_u32_e32 v5, v5, v7
	v_bfe_i32 v8, v6, 4, 1
	v_cmp_lt_u32_e32 vcc, 31, v6
	v_mov_b32_dpp v7, v5 row_bcast:15 row_mask:0xf bank_mask:0xf
	v_and_b32_e32 v7, v8, v7
	v_add_u32_e32 v5, v5, v7
	v_and_b32_e32 v8, 64, v6
	s_nop 0
	v_mov_b32_dpp v7, v5 row_bcast:31 row_mask:0xf bank_mask:0xf
	v_cndmask_b32_e32 v7, 0, v7, vcc
	v_add_u32_e32 v5, v5, v7
	v_add_u32_e32 v7, -1, v6
	v_cmp_lt_i32_e32 vcc, v7, v8
	v_cndmask_b32_e32 v6, v7, v6, vcc
	v_lshlrev_b32_e32 v6, 2, v6
	ds_bpermute_b32 v5, v6, v5
	s_waitcnt lgkmcnt(0)
	v_add_u32_e32 v4, v5, v4
	v_cndmask_b32_e64 v2, v4, v2, s[0:1]
	ds_write_b32 v3, v2
	; wave barrier
	ds_read_b32 v4, v3 offset:4
	s_waitcnt lgkmcnt(0)
	v_add_u32_e32 v2, v4, v2
	ds_write_b32 v3, v2 offset:4
.LBB4666_62:
	s_or_b64 exec, exec, s[4:5]
	v_mov_b32_e32 v2, v26
	s_waitcnt lgkmcnt(0)
	s_barrier
	s_and_saveexec_b64 s[4:5], s[2:3]
	s_cbranch_execz .LBB4666_64
; %bb.63:
	v_add_u32_e32 v2, -1, v0
	v_lshrrev_b32_e32 v3, 5, v2
	v_add_lshl_u32 v2, v3, v2, 2
	ds_read_b32 v2, v2
	s_waitcnt lgkmcnt(0)
	v_add_u32_e32 v2, v2, v26
.LBB4666_64:
	s_or_b64 exec, exec, s[4:5]
	v_add_u32_e32 v3, v2, v16
	v_add_u32_e32 v4, v3, v17
	v_add_u32_e32 v5, v4, v18
	v_add_u32_e32 v6, v5, v19
	v_add_u32_e32 v7, v6, v12
	v_add_u32_e32 v8, v7, v13
	v_add_u32_e32 v9, v8, v14
	v_add_u32_e32 v10, v9, v15
	v_add_u32_e32 v11, v10, v20
	s_and_saveexec_b64 s[2:3], s[0:1]
	s_cbranch_execz .LBB4666_66
; %bb.65:
	v_mov_b32_e32 v14, 0
	ds_read_b32 v12, v14 offset:520
	v_mov_b32_e32 v13, 2
	s_waitcnt lgkmcnt(0)
	v_add_u32_e32 v12, v12, v26
	global_store_dwordx2 v14, v[12:13], s[6:7] offset:512
.LBB4666_66:
	s_or_b64 exec, exec, s[2:3]
.LBB4666_67:
	s_add_u32 s0, s20, s18
	s_addc_u32 s1, s21, s19
	s_add_u32 s2, s0, s22
	s_addc_u32 s3, s1, s23
	s_mov_b64 s[0:1], -1
	s_and_b64 vcc, exec, s[16:17]
	s_barrier
	s_cbranch_vccz .LBB4666_69
; %bb.68:
	ds_write2_b64 v1, v[2:3], v[4:5] offset1:1
	ds_write2_b64 v1, v[6:7], v[8:9] offset0:2 offset1:3
	ds_write_b64 v1, v[10:11] offset:32
	s_waitcnt lgkmcnt(0)
	s_barrier
	ds_read2st64_b32 v[12:13], v22 offset1:2
	ds_read2st64_b32 v[14:15], v22 offset0:4 offset1:6
	ds_read2st64_b32 v[16:17], v22 offset0:8 offset1:10
	;; [unrolled: 1-line block ×4, first 2 shown]
	v_mov_b32_e32 v25, s3
	v_add_co_u32_e32 v24, vcc, s2, v22
	v_addc_co_u32_e32 v25, vcc, 0, v25, vcc
	s_waitcnt lgkmcnt(4)
	flat_store_dword v[24:25], v12
	flat_store_dword v[24:25], v13 offset:512
	s_waitcnt lgkmcnt(0)
	flat_store_dword v[24:25], v14 offset:1024
	flat_store_dword v[24:25], v15 offset:1536
	;; [unrolled: 1-line block ×6, first 2 shown]
	v_add_co_u32_e32 v12, vcc, 0x1000, v24
	v_addc_co_u32_e32 v13, vcc, 0, v25, vcc
	flat_store_dword v[12:13], v20
	flat_store_dword v[12:13], v21 offset:512
	s_mov_b64 s[0:1], 0
.LBB4666_69:
	s_andn2_b64 vcc, exec, s[0:1]
	s_cbranch_vccnz .LBB4666_125
; %bb.70:
	ds_write2_b64 v1, v[2:3], v[4:5] offset1:1
	ds_write2_b64 v1, v[6:7], v[8:9] offset0:2 offset1:3
	ds_write_b64 v1, v[10:11] offset:32
	s_waitcnt lgkmcnt(0)
	s_barrier
	ds_read2st64_b32 v[2:3], v22 offset1:2
	ds_read2st64_b32 v[6:7], v22 offset0:4 offset1:6
	ds_read2st64_b32 v[4:5], v22 offset0:8 offset1:10
	;; [unrolled: 1-line block ×4, first 2 shown]
	v_mov_b32_e32 v13, s3
	v_add_co_u32_e32 v12, vcc, s2, v22
	v_addc_co_u32_e32 v13, vcc, 0, v13, vcc
	v_mov_b32_e32 v1, 0
	v_cmp_gt_u32_e32 vcc, s30, v0
	s_and_saveexec_b64 s[0:1], vcc
	s_cbranch_execz .LBB4666_72
; %bb.71:
	s_waitcnt lgkmcnt(0)
	flat_store_dword v[12:13], v2
.LBB4666_72:
	s_or_b64 exec, exec, s[0:1]
	v_or_b32_e32 v14, 0x80, v0
	v_cmp_gt_u32_e32 vcc, s30, v14
	s_and_saveexec_b64 s[0:1], vcc
	s_cbranch_execz .LBB4666_74
; %bb.73:
	s_waitcnt lgkmcnt(0)
	flat_store_dword v[12:13], v3 offset:512
.LBB4666_74:
	s_or_b64 exec, exec, s[0:1]
	v_or_b32_e32 v14, 0x100, v0
	v_cmp_gt_u32_e32 vcc, s30, v14
	s_and_saveexec_b64 s[0:1], vcc
	s_cbranch_execz .LBB4666_76
; %bb.75:
	s_waitcnt lgkmcnt(0)
	flat_store_dword v[12:13], v6 offset:1024
.LBB4666_76:
	;; [unrolled: 9-line block ×7, first 2 shown]
	s_or_b64 exec, exec, s[0:1]
	v_or_b32_e32 v14, 0x400, v0
	v_cmp_gt_u32_e32 vcc, s30, v14
	s_and_saveexec_b64 s[0:1], vcc
	s_cbranch_execz .LBB4666_88
; %bb.87:
	v_add_co_u32_e32 v14, vcc, 0x1000, v12
	v_addc_co_u32_e32 v15, vcc, 0, v13, vcc
	s_waitcnt lgkmcnt(0)
	flat_store_dword v[14:15], v10
.LBB4666_88:
	s_or_b64 exec, exec, s[0:1]
	v_or_b32_e32 v14, 0x480, v0
	v_cmp_gt_u32_e32 vcc, s30, v14
	s_and_saveexec_b64 s[0:1], vcc
	s_cbranch_execz .LBB4666_90
; %bb.89:
	v_add_co_u32_e32 v12, vcc, 0x1000, v12
	v_addc_co_u32_e32 v13, vcc, 0, v13, vcc
	s_waitcnt lgkmcnt(0)
	flat_store_dword v[12:13], v11 offset:512
.LBB4666_90:
	s_or_b64 exec, exec, s[0:1]
	v_cmp_lt_u64_e64 s[0:1], s[14:15], 2
	s_and_b64 vcc, exec, s[0:1]
	s_cbranch_vccnz .LBB4666_125
; %bb.91:
	s_add_u32 s0, s30, -1
	s_addc_u32 s1, s31, -1
	s_add_u32 s2, 0, 0x99986000
	s_addc_u32 s3, 0, 0x59
	s_add_i32 s3, s3, 0x19999940
	s_mul_hi_u32 s7, s2, -10
	s_sub_i32 s7, s7, s2
	s_mul_i32 s8, s3, -10
	s_mul_i32 s4, s2, -10
	s_add_i32 s7, s7, s8
	s_mul_hi_u32 s5, s3, s4
	s_mul_i32 s6, s3, s4
	s_mul_i32 s9, s2, s7
	s_mul_hi_u32 s4, s2, s4
	s_mul_hi_u32 s8, s2, s7
	s_add_u32 s4, s4, s9
	s_addc_u32 s8, 0, s8
	s_add_u32 s4, s4, s6
	s_mul_hi_u32 s9, s3, s7
	s_addc_u32 s4, s8, s5
	s_addc_u32 s5, s9, 0
	s_mul_i32 s6, s3, s7
	s_add_u32 s4, s4, s6
	v_mov_b32_e32 v12, s4
	s_addc_u32 s5, 0, s5
	v_add_co_u32_e32 v12, vcc, s2, v12
	s_cmp_lg_u64 vcc, 0
	s_addc_u32 s2, s3, s5
	v_readfirstlane_b32 s5, v12
	s_mul_i32 s4, s0, s2
	s_mul_hi_u32 s6, s0, s5
	s_mul_hi_u32 s3, s0, s2
	s_add_u32 s4, s6, s4
	s_addc_u32 s3, 0, s3
	s_mul_hi_u32 s7, s1, s5
	s_mul_i32 s5, s1, s5
	s_add_u32 s4, s4, s5
	s_mul_hi_u32 s6, s1, s2
	s_addc_u32 s3, s3, s7
	s_addc_u32 s4, s6, 0
	s_mul_i32 s2, s1, s2
	s_add_u32 s2, s3, s2
	s_addc_u32 s3, 0, s4
	s_add_u32 s4, s2, 1
	s_addc_u32 s5, s3, 0
	s_add_u32 s6, s2, 2
	s_mul_i32 s8, s3, 10
	s_mul_hi_u32 s9, s2, 10
	s_addc_u32 s7, s3, 0
	s_add_i32 s9, s9, s8
	s_mul_i32 s8, s2, 10
	v_mov_b32_e32 v12, s8
	v_sub_co_u32_e32 v12, vcc, s0, v12
	s_cmp_lg_u64 vcc, 0
	s_subb_u32 s8, s1, s9
	v_subrev_co_u32_e32 v13, vcc, 10, v12
	s_cmp_lg_u64 vcc, 0
	s_subb_u32 s9, s8, 0
	v_readfirstlane_b32 s12, v13
	s_cmp_gt_u32 s12, 9
	s_cselect_b32 s12, -1, 0
	s_cmp_eq_u32 s9, 0
	s_cselect_b32 s9, s12, -1
	s_cmp_lg_u32 s9, 0
	s_cselect_b32 s4, s6, s4
	v_readfirstlane_b32 s6, v12
	s_cselect_b32 s5, s7, s5
	s_cmp_gt_u32 s6, 9
	s_cselect_b32 s6, -1, 0
	s_cmp_eq_u32 s8, 0
	s_cselect_b32 s6, s6, -1
	s_cmp_lg_u32 s6, 0
	s_cselect_b32 s3, s5, s3
	s_cselect_b32 s2, s4, s2
	v_cmp_eq_u64_e32 vcc, s[2:3], v[0:1]
	s_and_saveexec_b64 s[2:3], vcc
	s_cbranch_execz .LBB4666_125
; %bb.92:
	v_mul_hi_u32_u24_e32 v1, 10, v0
	v_mov_b32_e32 v12, s1
	v_sub_co_u32_e32 v0, vcc, s0, v23
	v_subb_co_u32_e32 v1, vcc, v12, v1, vcc
	v_cmp_lt_i64_e32 vcc, 4, v[0:1]
	s_and_saveexec_b64 s[0:1], vcc
	s_xor_b64 s[0:1], exec, s[0:1]
	s_cbranch_execz .LBB4666_110
; %bb.93:
	v_cmp_lt_i64_e32 vcc, 6, v[0:1]
	s_and_saveexec_b64 s[2:3], vcc
	s_xor_b64 s[2:3], exec, s[2:3]
	s_cbranch_execz .LBB4666_103
; %bb.94:
	;; [unrolled: 5-line block ×4, first 2 shown]
	v_mov_b32_e32 v0, 0
	s_waitcnt lgkmcnt(0)
	global_store_dword v0, v11, s[10:11]
                                        ; implicit-def: $vgpr10_vgpr11
.LBB4666_97:
	s_andn2_saveexec_b64 s[6:7], s[6:7]
	s_cbranch_execz .LBB4666_99
; %bb.98:
	v_mov_b32_e32 v0, 0
	s_waitcnt lgkmcnt(0)
	global_store_dword v0, v10, s[10:11]
.LBB4666_99:
	s_or_b64 exec, exec, s[6:7]
                                        ; implicit-def: $vgpr8_vgpr9
.LBB4666_100:
	s_andn2_saveexec_b64 s[4:5], s[4:5]
	s_cbranch_execz .LBB4666_102
; %bb.101:
	v_mov_b32_e32 v0, 0
	s_waitcnt lgkmcnt(0)
	global_store_dword v0, v9, s[10:11]
.LBB4666_102:
	s_or_b64 exec, exec, s[4:5]
                                        ; implicit-def: $vgpr4_vgpr5
                                        ; implicit-def: $vgpr0_vgpr1
                                        ; implicit-def: $vgpr8_vgpr9
.LBB4666_103:
	s_andn2_saveexec_b64 s[2:3], s[2:3]
	s_cbranch_execz .LBB4666_109
; %bb.104:
	v_cmp_lt_i64_e32 vcc, 5, v[0:1]
	s_and_saveexec_b64 s[4:5], vcc
	s_xor_b64 s[4:5], exec, s[4:5]
	s_cbranch_execz .LBB4666_106
; %bb.105:
	v_mov_b32_e32 v0, 0
	s_waitcnt lgkmcnt(0)
	global_store_dword v0, v8, s[10:11]
                                        ; implicit-def: $vgpr4_vgpr5
.LBB4666_106:
	s_andn2_saveexec_b64 s[4:5], s[4:5]
	s_cbranch_execz .LBB4666_108
; %bb.107:
	v_mov_b32_e32 v0, 0
	s_waitcnt lgkmcnt(0)
	global_store_dword v0, v5, s[10:11]
.LBB4666_108:
	s_or_b64 exec, exec, s[4:5]
.LBB4666_109:
	s_or_b64 exec, exec, s[2:3]
                                        ; implicit-def: $vgpr0_vgpr1
                                        ; implicit-def: $vgpr6_vgpr7
                                        ; implicit-def: $vgpr2_vgpr3
                                        ; implicit-def: $vgpr4_vgpr5
.LBB4666_110:
	s_andn2_saveexec_b64 s[0:1], s[0:1]
	s_cbranch_execz .LBB4666_125
; %bb.111:
	v_cmp_lt_i64_e32 vcc, 2, v[0:1]
	s_and_saveexec_b64 s[0:1], vcc
	s_xor_b64 s[0:1], exec, s[0:1]
	s_cbranch_execz .LBB4666_117
; %bb.112:
	v_cmp_lt_i64_e32 vcc, 3, v[0:1]
	s_and_saveexec_b64 s[2:3], vcc
	s_xor_b64 s[2:3], exec, s[2:3]
	s_cbranch_execz .LBB4666_114
; %bb.113:
	v_mov_b32_e32 v0, 0
	s_waitcnt lgkmcnt(0)
	global_store_dword v0, v4, s[10:11]
                                        ; implicit-def: $vgpr6_vgpr7
.LBB4666_114:
	s_andn2_saveexec_b64 s[2:3], s[2:3]
	s_cbranch_execz .LBB4666_116
; %bb.115:
	v_mov_b32_e32 v0, 0
	s_waitcnt lgkmcnt(0)
	global_store_dword v0, v7, s[10:11]
.LBB4666_116:
	s_or_b64 exec, exec, s[2:3]
                                        ; implicit-def: $vgpr0_vgpr1
                                        ; implicit-def: $vgpr6_vgpr7
                                        ; implicit-def: $vgpr2_vgpr3
.LBB4666_117:
	s_andn2_saveexec_b64 s[0:1], s[0:1]
	s_cbranch_execz .LBB4666_125
; %bb.118:
	v_cmp_lt_i64_e32 vcc, 1, v[0:1]
	s_and_saveexec_b64 s[0:1], vcc
	s_xor_b64 s[0:1], exec, s[0:1]
	s_cbranch_execz .LBB4666_120
; %bb.119:
	v_mov_b32_e32 v0, 0
	s_waitcnt lgkmcnt(0)
	global_store_dword v0, v6, s[10:11]
                                        ; implicit-def: $vgpr2_vgpr3
                                        ; implicit-def: $vgpr0_vgpr1
.LBB4666_120:
	s_andn2_saveexec_b64 s[0:1], s[0:1]
	s_cbranch_execz .LBB4666_125
; %bb.121:
	v_cmp_ne_u64_e32 vcc, 1, v[0:1]
	s_and_saveexec_b64 s[0:1], vcc
	s_xor_b64 s[0:1], exec, s[0:1]
	s_cbranch_execz .LBB4666_123
; %bb.122:
	v_mov_b32_e32 v0, 0
	s_waitcnt lgkmcnt(0)
	global_store_dword v0, v2, s[10:11]
                                        ; implicit-def: $vgpr2_vgpr3
.LBB4666_123:
	s_andn2_saveexec_b64 s[0:1], s[0:1]
	s_cbranch_execz .LBB4666_125
; %bb.124:
	v_mov_b32_e32 v0, 0
	s_waitcnt lgkmcnt(0)
	global_store_dword v0, v3, s[10:11]
.LBB4666_125:
	s_endpgm
	.section	.rodata,"a",@progbits
	.p2align	6, 0x0
	.amdhsa_kernel _ZN7rocprim17ROCPRIM_400000_NS6detail17trampoline_kernelINS0_14default_configENS1_20scan_config_selectorIjEEZZNS1_9scan_implILNS1_25lookback_scan_determinismE0ELb1ELb1ES3_N6thrust23THRUST_200600_302600_NS6detail15normal_iteratorINS9_10device_ptrIjEEEESE_jNS9_4plusIvEEjEEDaPvRmT3_T4_T5_mT6_P12ihipStream_tbENKUlT_T0_E_clISt17integral_constantIbLb1EESU_EEDaSP_SQ_EUlSP_E_NS1_11comp_targetILNS1_3genE4ELNS1_11target_archE910ELNS1_3gpuE8ELNS1_3repE0EEENS1_30default_config_static_selectorELNS0_4arch9wavefront6targetE1EEEvT1_
		.amdhsa_group_segment_fixed_size 5120
		.amdhsa_private_segment_fixed_size 0
		.amdhsa_kernarg_size 96
		.amdhsa_user_sgpr_count 6
		.amdhsa_user_sgpr_private_segment_buffer 1
		.amdhsa_user_sgpr_dispatch_ptr 0
		.amdhsa_user_sgpr_queue_ptr 0
		.amdhsa_user_sgpr_kernarg_segment_ptr 1
		.amdhsa_user_sgpr_dispatch_id 0
		.amdhsa_user_sgpr_flat_scratch_init 0
		.amdhsa_user_sgpr_kernarg_preload_length 0
		.amdhsa_user_sgpr_kernarg_preload_offset 0
		.amdhsa_user_sgpr_private_segment_size 0
		.amdhsa_uses_dynamic_stack 0
		.amdhsa_system_sgpr_private_segment_wavefront_offset 0
		.amdhsa_system_sgpr_workgroup_id_x 1
		.amdhsa_system_sgpr_workgroup_id_y 0
		.amdhsa_system_sgpr_workgroup_id_z 0
		.amdhsa_system_sgpr_workgroup_info 0
		.amdhsa_system_vgpr_workitem_id 0
		.amdhsa_next_free_vgpr 41
		.amdhsa_next_free_sgpr 40
		.amdhsa_accum_offset 44
		.amdhsa_reserve_vcc 1
		.amdhsa_reserve_flat_scratch 0
		.amdhsa_float_round_mode_32 0
		.amdhsa_float_round_mode_16_64 0
		.amdhsa_float_denorm_mode_32 3
		.amdhsa_float_denorm_mode_16_64 3
		.amdhsa_dx10_clamp 1
		.amdhsa_ieee_mode 1
		.amdhsa_fp16_overflow 0
		.amdhsa_tg_split 0
		.amdhsa_exception_fp_ieee_invalid_op 0
		.amdhsa_exception_fp_denorm_src 0
		.amdhsa_exception_fp_ieee_div_zero 0
		.amdhsa_exception_fp_ieee_overflow 0
		.amdhsa_exception_fp_ieee_underflow 0
		.amdhsa_exception_fp_ieee_inexact 0
		.amdhsa_exception_int_div_zero 0
	.end_amdhsa_kernel
	.section	.text._ZN7rocprim17ROCPRIM_400000_NS6detail17trampoline_kernelINS0_14default_configENS1_20scan_config_selectorIjEEZZNS1_9scan_implILNS1_25lookback_scan_determinismE0ELb1ELb1ES3_N6thrust23THRUST_200600_302600_NS6detail15normal_iteratorINS9_10device_ptrIjEEEESE_jNS9_4plusIvEEjEEDaPvRmT3_T4_T5_mT6_P12ihipStream_tbENKUlT_T0_E_clISt17integral_constantIbLb1EESU_EEDaSP_SQ_EUlSP_E_NS1_11comp_targetILNS1_3genE4ELNS1_11target_archE910ELNS1_3gpuE8ELNS1_3repE0EEENS1_30default_config_static_selectorELNS0_4arch9wavefront6targetE1EEEvT1_,"axG",@progbits,_ZN7rocprim17ROCPRIM_400000_NS6detail17trampoline_kernelINS0_14default_configENS1_20scan_config_selectorIjEEZZNS1_9scan_implILNS1_25lookback_scan_determinismE0ELb1ELb1ES3_N6thrust23THRUST_200600_302600_NS6detail15normal_iteratorINS9_10device_ptrIjEEEESE_jNS9_4plusIvEEjEEDaPvRmT3_T4_T5_mT6_P12ihipStream_tbENKUlT_T0_E_clISt17integral_constantIbLb1EESU_EEDaSP_SQ_EUlSP_E_NS1_11comp_targetILNS1_3genE4ELNS1_11target_archE910ELNS1_3gpuE8ELNS1_3repE0EEENS1_30default_config_static_selectorELNS0_4arch9wavefront6targetE1EEEvT1_,comdat
.Lfunc_end4666:
	.size	_ZN7rocprim17ROCPRIM_400000_NS6detail17trampoline_kernelINS0_14default_configENS1_20scan_config_selectorIjEEZZNS1_9scan_implILNS1_25lookback_scan_determinismE0ELb1ELb1ES3_N6thrust23THRUST_200600_302600_NS6detail15normal_iteratorINS9_10device_ptrIjEEEESE_jNS9_4plusIvEEjEEDaPvRmT3_T4_T5_mT6_P12ihipStream_tbENKUlT_T0_E_clISt17integral_constantIbLb1EESU_EEDaSP_SQ_EUlSP_E_NS1_11comp_targetILNS1_3genE4ELNS1_11target_archE910ELNS1_3gpuE8ELNS1_3repE0EEENS1_30default_config_static_selectorELNS0_4arch9wavefront6targetE1EEEvT1_, .Lfunc_end4666-_ZN7rocprim17ROCPRIM_400000_NS6detail17trampoline_kernelINS0_14default_configENS1_20scan_config_selectorIjEEZZNS1_9scan_implILNS1_25lookback_scan_determinismE0ELb1ELb1ES3_N6thrust23THRUST_200600_302600_NS6detail15normal_iteratorINS9_10device_ptrIjEEEESE_jNS9_4plusIvEEjEEDaPvRmT3_T4_T5_mT6_P12ihipStream_tbENKUlT_T0_E_clISt17integral_constantIbLb1EESU_EEDaSP_SQ_EUlSP_E_NS1_11comp_targetILNS1_3genE4ELNS1_11target_archE910ELNS1_3gpuE8ELNS1_3repE0EEENS1_30default_config_static_selectorELNS0_4arch9wavefront6targetE1EEEvT1_
                                        ; -- End function
	.section	.AMDGPU.csdata,"",@progbits
; Kernel info:
; codeLenInByte = 4576
; NumSgprs: 44
; NumVgprs: 41
; NumAgprs: 0
; TotalNumVgprs: 41
; ScratchSize: 0
; MemoryBound: 0
; FloatMode: 240
; IeeeMode: 1
; LDSByteSize: 5120 bytes/workgroup (compile time only)
; SGPRBlocks: 5
; VGPRBlocks: 5
; NumSGPRsForWavesPerEU: 44
; NumVGPRsForWavesPerEU: 41
; AccumOffset: 44
; Occupancy: 6
; WaveLimiterHint : 1
; COMPUTE_PGM_RSRC2:SCRATCH_EN: 0
; COMPUTE_PGM_RSRC2:USER_SGPR: 6
; COMPUTE_PGM_RSRC2:TRAP_HANDLER: 0
; COMPUTE_PGM_RSRC2:TGID_X_EN: 1
; COMPUTE_PGM_RSRC2:TGID_Y_EN: 0
; COMPUTE_PGM_RSRC2:TGID_Z_EN: 0
; COMPUTE_PGM_RSRC2:TIDIG_COMP_CNT: 0
; COMPUTE_PGM_RSRC3_GFX90A:ACCUM_OFFSET: 10
; COMPUTE_PGM_RSRC3_GFX90A:TG_SPLIT: 0
	.section	.text._ZN7rocprim17ROCPRIM_400000_NS6detail17trampoline_kernelINS0_14default_configENS1_20scan_config_selectorIjEEZZNS1_9scan_implILNS1_25lookback_scan_determinismE0ELb1ELb1ES3_N6thrust23THRUST_200600_302600_NS6detail15normal_iteratorINS9_10device_ptrIjEEEESE_jNS9_4plusIvEEjEEDaPvRmT3_T4_T5_mT6_P12ihipStream_tbENKUlT_T0_E_clISt17integral_constantIbLb1EESU_EEDaSP_SQ_EUlSP_E_NS1_11comp_targetILNS1_3genE3ELNS1_11target_archE908ELNS1_3gpuE7ELNS1_3repE0EEENS1_30default_config_static_selectorELNS0_4arch9wavefront6targetE1EEEvT1_,"axG",@progbits,_ZN7rocprim17ROCPRIM_400000_NS6detail17trampoline_kernelINS0_14default_configENS1_20scan_config_selectorIjEEZZNS1_9scan_implILNS1_25lookback_scan_determinismE0ELb1ELb1ES3_N6thrust23THRUST_200600_302600_NS6detail15normal_iteratorINS9_10device_ptrIjEEEESE_jNS9_4plusIvEEjEEDaPvRmT3_T4_T5_mT6_P12ihipStream_tbENKUlT_T0_E_clISt17integral_constantIbLb1EESU_EEDaSP_SQ_EUlSP_E_NS1_11comp_targetILNS1_3genE3ELNS1_11target_archE908ELNS1_3gpuE7ELNS1_3repE0EEENS1_30default_config_static_selectorELNS0_4arch9wavefront6targetE1EEEvT1_,comdat
	.protected	_ZN7rocprim17ROCPRIM_400000_NS6detail17trampoline_kernelINS0_14default_configENS1_20scan_config_selectorIjEEZZNS1_9scan_implILNS1_25lookback_scan_determinismE0ELb1ELb1ES3_N6thrust23THRUST_200600_302600_NS6detail15normal_iteratorINS9_10device_ptrIjEEEESE_jNS9_4plusIvEEjEEDaPvRmT3_T4_T5_mT6_P12ihipStream_tbENKUlT_T0_E_clISt17integral_constantIbLb1EESU_EEDaSP_SQ_EUlSP_E_NS1_11comp_targetILNS1_3genE3ELNS1_11target_archE908ELNS1_3gpuE7ELNS1_3repE0EEENS1_30default_config_static_selectorELNS0_4arch9wavefront6targetE1EEEvT1_ ; -- Begin function _ZN7rocprim17ROCPRIM_400000_NS6detail17trampoline_kernelINS0_14default_configENS1_20scan_config_selectorIjEEZZNS1_9scan_implILNS1_25lookback_scan_determinismE0ELb1ELb1ES3_N6thrust23THRUST_200600_302600_NS6detail15normal_iteratorINS9_10device_ptrIjEEEESE_jNS9_4plusIvEEjEEDaPvRmT3_T4_T5_mT6_P12ihipStream_tbENKUlT_T0_E_clISt17integral_constantIbLb1EESU_EEDaSP_SQ_EUlSP_E_NS1_11comp_targetILNS1_3genE3ELNS1_11target_archE908ELNS1_3gpuE7ELNS1_3repE0EEENS1_30default_config_static_selectorELNS0_4arch9wavefront6targetE1EEEvT1_
	.globl	_ZN7rocprim17ROCPRIM_400000_NS6detail17trampoline_kernelINS0_14default_configENS1_20scan_config_selectorIjEEZZNS1_9scan_implILNS1_25lookback_scan_determinismE0ELb1ELb1ES3_N6thrust23THRUST_200600_302600_NS6detail15normal_iteratorINS9_10device_ptrIjEEEESE_jNS9_4plusIvEEjEEDaPvRmT3_T4_T5_mT6_P12ihipStream_tbENKUlT_T0_E_clISt17integral_constantIbLb1EESU_EEDaSP_SQ_EUlSP_E_NS1_11comp_targetILNS1_3genE3ELNS1_11target_archE908ELNS1_3gpuE7ELNS1_3repE0EEENS1_30default_config_static_selectorELNS0_4arch9wavefront6targetE1EEEvT1_
	.p2align	8
	.type	_ZN7rocprim17ROCPRIM_400000_NS6detail17trampoline_kernelINS0_14default_configENS1_20scan_config_selectorIjEEZZNS1_9scan_implILNS1_25lookback_scan_determinismE0ELb1ELb1ES3_N6thrust23THRUST_200600_302600_NS6detail15normal_iteratorINS9_10device_ptrIjEEEESE_jNS9_4plusIvEEjEEDaPvRmT3_T4_T5_mT6_P12ihipStream_tbENKUlT_T0_E_clISt17integral_constantIbLb1EESU_EEDaSP_SQ_EUlSP_E_NS1_11comp_targetILNS1_3genE3ELNS1_11target_archE908ELNS1_3gpuE7ELNS1_3repE0EEENS1_30default_config_static_selectorELNS0_4arch9wavefront6targetE1EEEvT1_,@function
_ZN7rocprim17ROCPRIM_400000_NS6detail17trampoline_kernelINS0_14default_configENS1_20scan_config_selectorIjEEZZNS1_9scan_implILNS1_25lookback_scan_determinismE0ELb1ELb1ES3_N6thrust23THRUST_200600_302600_NS6detail15normal_iteratorINS9_10device_ptrIjEEEESE_jNS9_4plusIvEEjEEDaPvRmT3_T4_T5_mT6_P12ihipStream_tbENKUlT_T0_E_clISt17integral_constantIbLb1EESU_EEDaSP_SQ_EUlSP_E_NS1_11comp_targetILNS1_3genE3ELNS1_11target_archE908ELNS1_3gpuE7ELNS1_3repE0EEENS1_30default_config_static_selectorELNS0_4arch9wavefront6targetE1EEEvT1_: ; @_ZN7rocprim17ROCPRIM_400000_NS6detail17trampoline_kernelINS0_14default_configENS1_20scan_config_selectorIjEEZZNS1_9scan_implILNS1_25lookback_scan_determinismE0ELb1ELb1ES3_N6thrust23THRUST_200600_302600_NS6detail15normal_iteratorINS9_10device_ptrIjEEEESE_jNS9_4plusIvEEjEEDaPvRmT3_T4_T5_mT6_P12ihipStream_tbENKUlT_T0_E_clISt17integral_constantIbLb1EESU_EEDaSP_SQ_EUlSP_E_NS1_11comp_targetILNS1_3genE3ELNS1_11target_archE908ELNS1_3gpuE7ELNS1_3repE0EEENS1_30default_config_static_selectorELNS0_4arch9wavefront6targetE1EEEvT1_
; %bb.0:
	.section	.rodata,"a",@progbits
	.p2align	6, 0x0
	.amdhsa_kernel _ZN7rocprim17ROCPRIM_400000_NS6detail17trampoline_kernelINS0_14default_configENS1_20scan_config_selectorIjEEZZNS1_9scan_implILNS1_25lookback_scan_determinismE0ELb1ELb1ES3_N6thrust23THRUST_200600_302600_NS6detail15normal_iteratorINS9_10device_ptrIjEEEESE_jNS9_4plusIvEEjEEDaPvRmT3_T4_T5_mT6_P12ihipStream_tbENKUlT_T0_E_clISt17integral_constantIbLb1EESU_EEDaSP_SQ_EUlSP_E_NS1_11comp_targetILNS1_3genE3ELNS1_11target_archE908ELNS1_3gpuE7ELNS1_3repE0EEENS1_30default_config_static_selectorELNS0_4arch9wavefront6targetE1EEEvT1_
		.amdhsa_group_segment_fixed_size 0
		.amdhsa_private_segment_fixed_size 0
		.amdhsa_kernarg_size 96
		.amdhsa_user_sgpr_count 6
		.amdhsa_user_sgpr_private_segment_buffer 1
		.amdhsa_user_sgpr_dispatch_ptr 0
		.amdhsa_user_sgpr_queue_ptr 0
		.amdhsa_user_sgpr_kernarg_segment_ptr 1
		.amdhsa_user_sgpr_dispatch_id 0
		.amdhsa_user_sgpr_flat_scratch_init 0
		.amdhsa_user_sgpr_kernarg_preload_length 0
		.amdhsa_user_sgpr_kernarg_preload_offset 0
		.amdhsa_user_sgpr_private_segment_size 0
		.amdhsa_uses_dynamic_stack 0
		.amdhsa_system_sgpr_private_segment_wavefront_offset 0
		.amdhsa_system_sgpr_workgroup_id_x 1
		.amdhsa_system_sgpr_workgroup_id_y 0
		.amdhsa_system_sgpr_workgroup_id_z 0
		.amdhsa_system_sgpr_workgroup_info 0
		.amdhsa_system_vgpr_workitem_id 0
		.amdhsa_next_free_vgpr 1
		.amdhsa_next_free_sgpr 0
		.amdhsa_accum_offset 4
		.amdhsa_reserve_vcc 0
		.amdhsa_reserve_flat_scratch 0
		.amdhsa_float_round_mode_32 0
		.amdhsa_float_round_mode_16_64 0
		.amdhsa_float_denorm_mode_32 3
		.amdhsa_float_denorm_mode_16_64 3
		.amdhsa_dx10_clamp 1
		.amdhsa_ieee_mode 1
		.amdhsa_fp16_overflow 0
		.amdhsa_tg_split 0
		.amdhsa_exception_fp_ieee_invalid_op 0
		.amdhsa_exception_fp_denorm_src 0
		.amdhsa_exception_fp_ieee_div_zero 0
		.amdhsa_exception_fp_ieee_overflow 0
		.amdhsa_exception_fp_ieee_underflow 0
		.amdhsa_exception_fp_ieee_inexact 0
		.amdhsa_exception_int_div_zero 0
	.end_amdhsa_kernel
	.section	.text._ZN7rocprim17ROCPRIM_400000_NS6detail17trampoline_kernelINS0_14default_configENS1_20scan_config_selectorIjEEZZNS1_9scan_implILNS1_25lookback_scan_determinismE0ELb1ELb1ES3_N6thrust23THRUST_200600_302600_NS6detail15normal_iteratorINS9_10device_ptrIjEEEESE_jNS9_4plusIvEEjEEDaPvRmT3_T4_T5_mT6_P12ihipStream_tbENKUlT_T0_E_clISt17integral_constantIbLb1EESU_EEDaSP_SQ_EUlSP_E_NS1_11comp_targetILNS1_3genE3ELNS1_11target_archE908ELNS1_3gpuE7ELNS1_3repE0EEENS1_30default_config_static_selectorELNS0_4arch9wavefront6targetE1EEEvT1_,"axG",@progbits,_ZN7rocprim17ROCPRIM_400000_NS6detail17trampoline_kernelINS0_14default_configENS1_20scan_config_selectorIjEEZZNS1_9scan_implILNS1_25lookback_scan_determinismE0ELb1ELb1ES3_N6thrust23THRUST_200600_302600_NS6detail15normal_iteratorINS9_10device_ptrIjEEEESE_jNS9_4plusIvEEjEEDaPvRmT3_T4_T5_mT6_P12ihipStream_tbENKUlT_T0_E_clISt17integral_constantIbLb1EESU_EEDaSP_SQ_EUlSP_E_NS1_11comp_targetILNS1_3genE3ELNS1_11target_archE908ELNS1_3gpuE7ELNS1_3repE0EEENS1_30default_config_static_selectorELNS0_4arch9wavefront6targetE1EEEvT1_,comdat
.Lfunc_end4667:
	.size	_ZN7rocprim17ROCPRIM_400000_NS6detail17trampoline_kernelINS0_14default_configENS1_20scan_config_selectorIjEEZZNS1_9scan_implILNS1_25lookback_scan_determinismE0ELb1ELb1ES3_N6thrust23THRUST_200600_302600_NS6detail15normal_iteratorINS9_10device_ptrIjEEEESE_jNS9_4plusIvEEjEEDaPvRmT3_T4_T5_mT6_P12ihipStream_tbENKUlT_T0_E_clISt17integral_constantIbLb1EESU_EEDaSP_SQ_EUlSP_E_NS1_11comp_targetILNS1_3genE3ELNS1_11target_archE908ELNS1_3gpuE7ELNS1_3repE0EEENS1_30default_config_static_selectorELNS0_4arch9wavefront6targetE1EEEvT1_, .Lfunc_end4667-_ZN7rocprim17ROCPRIM_400000_NS6detail17trampoline_kernelINS0_14default_configENS1_20scan_config_selectorIjEEZZNS1_9scan_implILNS1_25lookback_scan_determinismE0ELb1ELb1ES3_N6thrust23THRUST_200600_302600_NS6detail15normal_iteratorINS9_10device_ptrIjEEEESE_jNS9_4plusIvEEjEEDaPvRmT3_T4_T5_mT6_P12ihipStream_tbENKUlT_T0_E_clISt17integral_constantIbLb1EESU_EEDaSP_SQ_EUlSP_E_NS1_11comp_targetILNS1_3genE3ELNS1_11target_archE908ELNS1_3gpuE7ELNS1_3repE0EEENS1_30default_config_static_selectorELNS0_4arch9wavefront6targetE1EEEvT1_
                                        ; -- End function
	.section	.AMDGPU.csdata,"",@progbits
; Kernel info:
; codeLenInByte = 0
; NumSgprs: 4
; NumVgprs: 0
; NumAgprs: 0
; TotalNumVgprs: 0
; ScratchSize: 0
; MemoryBound: 0
; FloatMode: 240
; IeeeMode: 1
; LDSByteSize: 0 bytes/workgroup (compile time only)
; SGPRBlocks: 0
; VGPRBlocks: 0
; NumSGPRsForWavesPerEU: 4
; NumVGPRsForWavesPerEU: 1
; AccumOffset: 4
; Occupancy: 8
; WaveLimiterHint : 0
; COMPUTE_PGM_RSRC2:SCRATCH_EN: 0
; COMPUTE_PGM_RSRC2:USER_SGPR: 6
; COMPUTE_PGM_RSRC2:TRAP_HANDLER: 0
; COMPUTE_PGM_RSRC2:TGID_X_EN: 1
; COMPUTE_PGM_RSRC2:TGID_Y_EN: 0
; COMPUTE_PGM_RSRC2:TGID_Z_EN: 0
; COMPUTE_PGM_RSRC2:TIDIG_COMP_CNT: 0
; COMPUTE_PGM_RSRC3_GFX90A:ACCUM_OFFSET: 0
; COMPUTE_PGM_RSRC3_GFX90A:TG_SPLIT: 0
	.section	.text._ZN7rocprim17ROCPRIM_400000_NS6detail17trampoline_kernelINS0_14default_configENS1_20scan_config_selectorIjEEZZNS1_9scan_implILNS1_25lookback_scan_determinismE0ELb1ELb1ES3_N6thrust23THRUST_200600_302600_NS6detail15normal_iteratorINS9_10device_ptrIjEEEESE_jNS9_4plusIvEEjEEDaPvRmT3_T4_T5_mT6_P12ihipStream_tbENKUlT_T0_E_clISt17integral_constantIbLb1EESU_EEDaSP_SQ_EUlSP_E_NS1_11comp_targetILNS1_3genE2ELNS1_11target_archE906ELNS1_3gpuE6ELNS1_3repE0EEENS1_30default_config_static_selectorELNS0_4arch9wavefront6targetE1EEEvT1_,"axG",@progbits,_ZN7rocprim17ROCPRIM_400000_NS6detail17trampoline_kernelINS0_14default_configENS1_20scan_config_selectorIjEEZZNS1_9scan_implILNS1_25lookback_scan_determinismE0ELb1ELb1ES3_N6thrust23THRUST_200600_302600_NS6detail15normal_iteratorINS9_10device_ptrIjEEEESE_jNS9_4plusIvEEjEEDaPvRmT3_T4_T5_mT6_P12ihipStream_tbENKUlT_T0_E_clISt17integral_constantIbLb1EESU_EEDaSP_SQ_EUlSP_E_NS1_11comp_targetILNS1_3genE2ELNS1_11target_archE906ELNS1_3gpuE6ELNS1_3repE0EEENS1_30default_config_static_selectorELNS0_4arch9wavefront6targetE1EEEvT1_,comdat
	.protected	_ZN7rocprim17ROCPRIM_400000_NS6detail17trampoline_kernelINS0_14default_configENS1_20scan_config_selectorIjEEZZNS1_9scan_implILNS1_25lookback_scan_determinismE0ELb1ELb1ES3_N6thrust23THRUST_200600_302600_NS6detail15normal_iteratorINS9_10device_ptrIjEEEESE_jNS9_4plusIvEEjEEDaPvRmT3_T4_T5_mT6_P12ihipStream_tbENKUlT_T0_E_clISt17integral_constantIbLb1EESU_EEDaSP_SQ_EUlSP_E_NS1_11comp_targetILNS1_3genE2ELNS1_11target_archE906ELNS1_3gpuE6ELNS1_3repE0EEENS1_30default_config_static_selectorELNS0_4arch9wavefront6targetE1EEEvT1_ ; -- Begin function _ZN7rocprim17ROCPRIM_400000_NS6detail17trampoline_kernelINS0_14default_configENS1_20scan_config_selectorIjEEZZNS1_9scan_implILNS1_25lookback_scan_determinismE0ELb1ELb1ES3_N6thrust23THRUST_200600_302600_NS6detail15normal_iteratorINS9_10device_ptrIjEEEESE_jNS9_4plusIvEEjEEDaPvRmT3_T4_T5_mT6_P12ihipStream_tbENKUlT_T0_E_clISt17integral_constantIbLb1EESU_EEDaSP_SQ_EUlSP_E_NS1_11comp_targetILNS1_3genE2ELNS1_11target_archE906ELNS1_3gpuE6ELNS1_3repE0EEENS1_30default_config_static_selectorELNS0_4arch9wavefront6targetE1EEEvT1_
	.globl	_ZN7rocprim17ROCPRIM_400000_NS6detail17trampoline_kernelINS0_14default_configENS1_20scan_config_selectorIjEEZZNS1_9scan_implILNS1_25lookback_scan_determinismE0ELb1ELb1ES3_N6thrust23THRUST_200600_302600_NS6detail15normal_iteratorINS9_10device_ptrIjEEEESE_jNS9_4plusIvEEjEEDaPvRmT3_T4_T5_mT6_P12ihipStream_tbENKUlT_T0_E_clISt17integral_constantIbLb1EESU_EEDaSP_SQ_EUlSP_E_NS1_11comp_targetILNS1_3genE2ELNS1_11target_archE906ELNS1_3gpuE6ELNS1_3repE0EEENS1_30default_config_static_selectorELNS0_4arch9wavefront6targetE1EEEvT1_
	.p2align	8
	.type	_ZN7rocprim17ROCPRIM_400000_NS6detail17trampoline_kernelINS0_14default_configENS1_20scan_config_selectorIjEEZZNS1_9scan_implILNS1_25lookback_scan_determinismE0ELb1ELb1ES3_N6thrust23THRUST_200600_302600_NS6detail15normal_iteratorINS9_10device_ptrIjEEEESE_jNS9_4plusIvEEjEEDaPvRmT3_T4_T5_mT6_P12ihipStream_tbENKUlT_T0_E_clISt17integral_constantIbLb1EESU_EEDaSP_SQ_EUlSP_E_NS1_11comp_targetILNS1_3genE2ELNS1_11target_archE906ELNS1_3gpuE6ELNS1_3repE0EEENS1_30default_config_static_selectorELNS0_4arch9wavefront6targetE1EEEvT1_,@function
_ZN7rocprim17ROCPRIM_400000_NS6detail17trampoline_kernelINS0_14default_configENS1_20scan_config_selectorIjEEZZNS1_9scan_implILNS1_25lookback_scan_determinismE0ELb1ELb1ES3_N6thrust23THRUST_200600_302600_NS6detail15normal_iteratorINS9_10device_ptrIjEEEESE_jNS9_4plusIvEEjEEDaPvRmT3_T4_T5_mT6_P12ihipStream_tbENKUlT_T0_E_clISt17integral_constantIbLb1EESU_EEDaSP_SQ_EUlSP_E_NS1_11comp_targetILNS1_3genE2ELNS1_11target_archE906ELNS1_3gpuE6ELNS1_3repE0EEENS1_30default_config_static_selectorELNS0_4arch9wavefront6targetE1EEEvT1_: ; @_ZN7rocprim17ROCPRIM_400000_NS6detail17trampoline_kernelINS0_14default_configENS1_20scan_config_selectorIjEEZZNS1_9scan_implILNS1_25lookback_scan_determinismE0ELb1ELb1ES3_N6thrust23THRUST_200600_302600_NS6detail15normal_iteratorINS9_10device_ptrIjEEEESE_jNS9_4plusIvEEjEEDaPvRmT3_T4_T5_mT6_P12ihipStream_tbENKUlT_T0_E_clISt17integral_constantIbLb1EESU_EEDaSP_SQ_EUlSP_E_NS1_11comp_targetILNS1_3genE2ELNS1_11target_archE906ELNS1_3gpuE6ELNS1_3repE0EEENS1_30default_config_static_selectorELNS0_4arch9wavefront6targetE1EEEvT1_
; %bb.0:
	.section	.rodata,"a",@progbits
	.p2align	6, 0x0
	.amdhsa_kernel _ZN7rocprim17ROCPRIM_400000_NS6detail17trampoline_kernelINS0_14default_configENS1_20scan_config_selectorIjEEZZNS1_9scan_implILNS1_25lookback_scan_determinismE0ELb1ELb1ES3_N6thrust23THRUST_200600_302600_NS6detail15normal_iteratorINS9_10device_ptrIjEEEESE_jNS9_4plusIvEEjEEDaPvRmT3_T4_T5_mT6_P12ihipStream_tbENKUlT_T0_E_clISt17integral_constantIbLb1EESU_EEDaSP_SQ_EUlSP_E_NS1_11comp_targetILNS1_3genE2ELNS1_11target_archE906ELNS1_3gpuE6ELNS1_3repE0EEENS1_30default_config_static_selectorELNS0_4arch9wavefront6targetE1EEEvT1_
		.amdhsa_group_segment_fixed_size 0
		.amdhsa_private_segment_fixed_size 0
		.amdhsa_kernarg_size 96
		.amdhsa_user_sgpr_count 6
		.amdhsa_user_sgpr_private_segment_buffer 1
		.amdhsa_user_sgpr_dispatch_ptr 0
		.amdhsa_user_sgpr_queue_ptr 0
		.amdhsa_user_sgpr_kernarg_segment_ptr 1
		.amdhsa_user_sgpr_dispatch_id 0
		.amdhsa_user_sgpr_flat_scratch_init 0
		.amdhsa_user_sgpr_kernarg_preload_length 0
		.amdhsa_user_sgpr_kernarg_preload_offset 0
		.amdhsa_user_sgpr_private_segment_size 0
		.amdhsa_uses_dynamic_stack 0
		.amdhsa_system_sgpr_private_segment_wavefront_offset 0
		.amdhsa_system_sgpr_workgroup_id_x 1
		.amdhsa_system_sgpr_workgroup_id_y 0
		.amdhsa_system_sgpr_workgroup_id_z 0
		.amdhsa_system_sgpr_workgroup_info 0
		.amdhsa_system_vgpr_workitem_id 0
		.amdhsa_next_free_vgpr 1
		.amdhsa_next_free_sgpr 0
		.amdhsa_accum_offset 4
		.amdhsa_reserve_vcc 0
		.amdhsa_reserve_flat_scratch 0
		.amdhsa_float_round_mode_32 0
		.amdhsa_float_round_mode_16_64 0
		.amdhsa_float_denorm_mode_32 3
		.amdhsa_float_denorm_mode_16_64 3
		.amdhsa_dx10_clamp 1
		.amdhsa_ieee_mode 1
		.amdhsa_fp16_overflow 0
		.amdhsa_tg_split 0
		.amdhsa_exception_fp_ieee_invalid_op 0
		.amdhsa_exception_fp_denorm_src 0
		.amdhsa_exception_fp_ieee_div_zero 0
		.amdhsa_exception_fp_ieee_overflow 0
		.amdhsa_exception_fp_ieee_underflow 0
		.amdhsa_exception_fp_ieee_inexact 0
		.amdhsa_exception_int_div_zero 0
	.end_amdhsa_kernel
	.section	.text._ZN7rocprim17ROCPRIM_400000_NS6detail17trampoline_kernelINS0_14default_configENS1_20scan_config_selectorIjEEZZNS1_9scan_implILNS1_25lookback_scan_determinismE0ELb1ELb1ES3_N6thrust23THRUST_200600_302600_NS6detail15normal_iteratorINS9_10device_ptrIjEEEESE_jNS9_4plusIvEEjEEDaPvRmT3_T4_T5_mT6_P12ihipStream_tbENKUlT_T0_E_clISt17integral_constantIbLb1EESU_EEDaSP_SQ_EUlSP_E_NS1_11comp_targetILNS1_3genE2ELNS1_11target_archE906ELNS1_3gpuE6ELNS1_3repE0EEENS1_30default_config_static_selectorELNS0_4arch9wavefront6targetE1EEEvT1_,"axG",@progbits,_ZN7rocprim17ROCPRIM_400000_NS6detail17trampoline_kernelINS0_14default_configENS1_20scan_config_selectorIjEEZZNS1_9scan_implILNS1_25lookback_scan_determinismE0ELb1ELb1ES3_N6thrust23THRUST_200600_302600_NS6detail15normal_iteratorINS9_10device_ptrIjEEEESE_jNS9_4plusIvEEjEEDaPvRmT3_T4_T5_mT6_P12ihipStream_tbENKUlT_T0_E_clISt17integral_constantIbLb1EESU_EEDaSP_SQ_EUlSP_E_NS1_11comp_targetILNS1_3genE2ELNS1_11target_archE906ELNS1_3gpuE6ELNS1_3repE0EEENS1_30default_config_static_selectorELNS0_4arch9wavefront6targetE1EEEvT1_,comdat
.Lfunc_end4668:
	.size	_ZN7rocprim17ROCPRIM_400000_NS6detail17trampoline_kernelINS0_14default_configENS1_20scan_config_selectorIjEEZZNS1_9scan_implILNS1_25lookback_scan_determinismE0ELb1ELb1ES3_N6thrust23THRUST_200600_302600_NS6detail15normal_iteratorINS9_10device_ptrIjEEEESE_jNS9_4plusIvEEjEEDaPvRmT3_T4_T5_mT6_P12ihipStream_tbENKUlT_T0_E_clISt17integral_constantIbLb1EESU_EEDaSP_SQ_EUlSP_E_NS1_11comp_targetILNS1_3genE2ELNS1_11target_archE906ELNS1_3gpuE6ELNS1_3repE0EEENS1_30default_config_static_selectorELNS0_4arch9wavefront6targetE1EEEvT1_, .Lfunc_end4668-_ZN7rocprim17ROCPRIM_400000_NS6detail17trampoline_kernelINS0_14default_configENS1_20scan_config_selectorIjEEZZNS1_9scan_implILNS1_25lookback_scan_determinismE0ELb1ELb1ES3_N6thrust23THRUST_200600_302600_NS6detail15normal_iteratorINS9_10device_ptrIjEEEESE_jNS9_4plusIvEEjEEDaPvRmT3_T4_T5_mT6_P12ihipStream_tbENKUlT_T0_E_clISt17integral_constantIbLb1EESU_EEDaSP_SQ_EUlSP_E_NS1_11comp_targetILNS1_3genE2ELNS1_11target_archE906ELNS1_3gpuE6ELNS1_3repE0EEENS1_30default_config_static_selectorELNS0_4arch9wavefront6targetE1EEEvT1_
                                        ; -- End function
	.section	.AMDGPU.csdata,"",@progbits
; Kernel info:
; codeLenInByte = 0
; NumSgprs: 4
; NumVgprs: 0
; NumAgprs: 0
; TotalNumVgprs: 0
; ScratchSize: 0
; MemoryBound: 0
; FloatMode: 240
; IeeeMode: 1
; LDSByteSize: 0 bytes/workgroup (compile time only)
; SGPRBlocks: 0
; VGPRBlocks: 0
; NumSGPRsForWavesPerEU: 4
; NumVGPRsForWavesPerEU: 1
; AccumOffset: 4
; Occupancy: 8
; WaveLimiterHint : 0
; COMPUTE_PGM_RSRC2:SCRATCH_EN: 0
; COMPUTE_PGM_RSRC2:USER_SGPR: 6
; COMPUTE_PGM_RSRC2:TRAP_HANDLER: 0
; COMPUTE_PGM_RSRC2:TGID_X_EN: 1
; COMPUTE_PGM_RSRC2:TGID_Y_EN: 0
; COMPUTE_PGM_RSRC2:TGID_Z_EN: 0
; COMPUTE_PGM_RSRC2:TIDIG_COMP_CNT: 0
; COMPUTE_PGM_RSRC3_GFX90A:ACCUM_OFFSET: 0
; COMPUTE_PGM_RSRC3_GFX90A:TG_SPLIT: 0
	.section	.text._ZN7rocprim17ROCPRIM_400000_NS6detail17trampoline_kernelINS0_14default_configENS1_20scan_config_selectorIjEEZZNS1_9scan_implILNS1_25lookback_scan_determinismE0ELb1ELb1ES3_N6thrust23THRUST_200600_302600_NS6detail15normal_iteratorINS9_10device_ptrIjEEEESE_jNS9_4plusIvEEjEEDaPvRmT3_T4_T5_mT6_P12ihipStream_tbENKUlT_T0_E_clISt17integral_constantIbLb1EESU_EEDaSP_SQ_EUlSP_E_NS1_11comp_targetILNS1_3genE10ELNS1_11target_archE1201ELNS1_3gpuE5ELNS1_3repE0EEENS1_30default_config_static_selectorELNS0_4arch9wavefront6targetE1EEEvT1_,"axG",@progbits,_ZN7rocprim17ROCPRIM_400000_NS6detail17trampoline_kernelINS0_14default_configENS1_20scan_config_selectorIjEEZZNS1_9scan_implILNS1_25lookback_scan_determinismE0ELb1ELb1ES3_N6thrust23THRUST_200600_302600_NS6detail15normal_iteratorINS9_10device_ptrIjEEEESE_jNS9_4plusIvEEjEEDaPvRmT3_T4_T5_mT6_P12ihipStream_tbENKUlT_T0_E_clISt17integral_constantIbLb1EESU_EEDaSP_SQ_EUlSP_E_NS1_11comp_targetILNS1_3genE10ELNS1_11target_archE1201ELNS1_3gpuE5ELNS1_3repE0EEENS1_30default_config_static_selectorELNS0_4arch9wavefront6targetE1EEEvT1_,comdat
	.protected	_ZN7rocprim17ROCPRIM_400000_NS6detail17trampoline_kernelINS0_14default_configENS1_20scan_config_selectorIjEEZZNS1_9scan_implILNS1_25lookback_scan_determinismE0ELb1ELb1ES3_N6thrust23THRUST_200600_302600_NS6detail15normal_iteratorINS9_10device_ptrIjEEEESE_jNS9_4plusIvEEjEEDaPvRmT3_T4_T5_mT6_P12ihipStream_tbENKUlT_T0_E_clISt17integral_constantIbLb1EESU_EEDaSP_SQ_EUlSP_E_NS1_11comp_targetILNS1_3genE10ELNS1_11target_archE1201ELNS1_3gpuE5ELNS1_3repE0EEENS1_30default_config_static_selectorELNS0_4arch9wavefront6targetE1EEEvT1_ ; -- Begin function _ZN7rocprim17ROCPRIM_400000_NS6detail17trampoline_kernelINS0_14default_configENS1_20scan_config_selectorIjEEZZNS1_9scan_implILNS1_25lookback_scan_determinismE0ELb1ELb1ES3_N6thrust23THRUST_200600_302600_NS6detail15normal_iteratorINS9_10device_ptrIjEEEESE_jNS9_4plusIvEEjEEDaPvRmT3_T4_T5_mT6_P12ihipStream_tbENKUlT_T0_E_clISt17integral_constantIbLb1EESU_EEDaSP_SQ_EUlSP_E_NS1_11comp_targetILNS1_3genE10ELNS1_11target_archE1201ELNS1_3gpuE5ELNS1_3repE0EEENS1_30default_config_static_selectorELNS0_4arch9wavefront6targetE1EEEvT1_
	.globl	_ZN7rocprim17ROCPRIM_400000_NS6detail17trampoline_kernelINS0_14default_configENS1_20scan_config_selectorIjEEZZNS1_9scan_implILNS1_25lookback_scan_determinismE0ELb1ELb1ES3_N6thrust23THRUST_200600_302600_NS6detail15normal_iteratorINS9_10device_ptrIjEEEESE_jNS9_4plusIvEEjEEDaPvRmT3_T4_T5_mT6_P12ihipStream_tbENKUlT_T0_E_clISt17integral_constantIbLb1EESU_EEDaSP_SQ_EUlSP_E_NS1_11comp_targetILNS1_3genE10ELNS1_11target_archE1201ELNS1_3gpuE5ELNS1_3repE0EEENS1_30default_config_static_selectorELNS0_4arch9wavefront6targetE1EEEvT1_
	.p2align	8
	.type	_ZN7rocprim17ROCPRIM_400000_NS6detail17trampoline_kernelINS0_14default_configENS1_20scan_config_selectorIjEEZZNS1_9scan_implILNS1_25lookback_scan_determinismE0ELb1ELb1ES3_N6thrust23THRUST_200600_302600_NS6detail15normal_iteratorINS9_10device_ptrIjEEEESE_jNS9_4plusIvEEjEEDaPvRmT3_T4_T5_mT6_P12ihipStream_tbENKUlT_T0_E_clISt17integral_constantIbLb1EESU_EEDaSP_SQ_EUlSP_E_NS1_11comp_targetILNS1_3genE10ELNS1_11target_archE1201ELNS1_3gpuE5ELNS1_3repE0EEENS1_30default_config_static_selectorELNS0_4arch9wavefront6targetE1EEEvT1_,@function
_ZN7rocprim17ROCPRIM_400000_NS6detail17trampoline_kernelINS0_14default_configENS1_20scan_config_selectorIjEEZZNS1_9scan_implILNS1_25lookback_scan_determinismE0ELb1ELb1ES3_N6thrust23THRUST_200600_302600_NS6detail15normal_iteratorINS9_10device_ptrIjEEEESE_jNS9_4plusIvEEjEEDaPvRmT3_T4_T5_mT6_P12ihipStream_tbENKUlT_T0_E_clISt17integral_constantIbLb1EESU_EEDaSP_SQ_EUlSP_E_NS1_11comp_targetILNS1_3genE10ELNS1_11target_archE1201ELNS1_3gpuE5ELNS1_3repE0EEENS1_30default_config_static_selectorELNS0_4arch9wavefront6targetE1EEEvT1_: ; @_ZN7rocprim17ROCPRIM_400000_NS6detail17trampoline_kernelINS0_14default_configENS1_20scan_config_selectorIjEEZZNS1_9scan_implILNS1_25lookback_scan_determinismE0ELb1ELb1ES3_N6thrust23THRUST_200600_302600_NS6detail15normal_iteratorINS9_10device_ptrIjEEEESE_jNS9_4plusIvEEjEEDaPvRmT3_T4_T5_mT6_P12ihipStream_tbENKUlT_T0_E_clISt17integral_constantIbLb1EESU_EEDaSP_SQ_EUlSP_E_NS1_11comp_targetILNS1_3genE10ELNS1_11target_archE1201ELNS1_3gpuE5ELNS1_3repE0EEENS1_30default_config_static_selectorELNS0_4arch9wavefront6targetE1EEEvT1_
; %bb.0:
	.section	.rodata,"a",@progbits
	.p2align	6, 0x0
	.amdhsa_kernel _ZN7rocprim17ROCPRIM_400000_NS6detail17trampoline_kernelINS0_14default_configENS1_20scan_config_selectorIjEEZZNS1_9scan_implILNS1_25lookback_scan_determinismE0ELb1ELb1ES3_N6thrust23THRUST_200600_302600_NS6detail15normal_iteratorINS9_10device_ptrIjEEEESE_jNS9_4plusIvEEjEEDaPvRmT3_T4_T5_mT6_P12ihipStream_tbENKUlT_T0_E_clISt17integral_constantIbLb1EESU_EEDaSP_SQ_EUlSP_E_NS1_11comp_targetILNS1_3genE10ELNS1_11target_archE1201ELNS1_3gpuE5ELNS1_3repE0EEENS1_30default_config_static_selectorELNS0_4arch9wavefront6targetE1EEEvT1_
		.amdhsa_group_segment_fixed_size 0
		.amdhsa_private_segment_fixed_size 0
		.amdhsa_kernarg_size 96
		.amdhsa_user_sgpr_count 6
		.amdhsa_user_sgpr_private_segment_buffer 1
		.amdhsa_user_sgpr_dispatch_ptr 0
		.amdhsa_user_sgpr_queue_ptr 0
		.amdhsa_user_sgpr_kernarg_segment_ptr 1
		.amdhsa_user_sgpr_dispatch_id 0
		.amdhsa_user_sgpr_flat_scratch_init 0
		.amdhsa_user_sgpr_kernarg_preload_length 0
		.amdhsa_user_sgpr_kernarg_preload_offset 0
		.amdhsa_user_sgpr_private_segment_size 0
		.amdhsa_uses_dynamic_stack 0
		.amdhsa_system_sgpr_private_segment_wavefront_offset 0
		.amdhsa_system_sgpr_workgroup_id_x 1
		.amdhsa_system_sgpr_workgroup_id_y 0
		.amdhsa_system_sgpr_workgroup_id_z 0
		.amdhsa_system_sgpr_workgroup_info 0
		.amdhsa_system_vgpr_workitem_id 0
		.amdhsa_next_free_vgpr 1
		.amdhsa_next_free_sgpr 0
		.amdhsa_accum_offset 4
		.amdhsa_reserve_vcc 0
		.amdhsa_reserve_flat_scratch 0
		.amdhsa_float_round_mode_32 0
		.amdhsa_float_round_mode_16_64 0
		.amdhsa_float_denorm_mode_32 3
		.amdhsa_float_denorm_mode_16_64 3
		.amdhsa_dx10_clamp 1
		.amdhsa_ieee_mode 1
		.amdhsa_fp16_overflow 0
		.amdhsa_tg_split 0
		.amdhsa_exception_fp_ieee_invalid_op 0
		.amdhsa_exception_fp_denorm_src 0
		.amdhsa_exception_fp_ieee_div_zero 0
		.amdhsa_exception_fp_ieee_overflow 0
		.amdhsa_exception_fp_ieee_underflow 0
		.amdhsa_exception_fp_ieee_inexact 0
		.amdhsa_exception_int_div_zero 0
	.end_amdhsa_kernel
	.section	.text._ZN7rocprim17ROCPRIM_400000_NS6detail17trampoline_kernelINS0_14default_configENS1_20scan_config_selectorIjEEZZNS1_9scan_implILNS1_25lookback_scan_determinismE0ELb1ELb1ES3_N6thrust23THRUST_200600_302600_NS6detail15normal_iteratorINS9_10device_ptrIjEEEESE_jNS9_4plusIvEEjEEDaPvRmT3_T4_T5_mT6_P12ihipStream_tbENKUlT_T0_E_clISt17integral_constantIbLb1EESU_EEDaSP_SQ_EUlSP_E_NS1_11comp_targetILNS1_3genE10ELNS1_11target_archE1201ELNS1_3gpuE5ELNS1_3repE0EEENS1_30default_config_static_selectorELNS0_4arch9wavefront6targetE1EEEvT1_,"axG",@progbits,_ZN7rocprim17ROCPRIM_400000_NS6detail17trampoline_kernelINS0_14default_configENS1_20scan_config_selectorIjEEZZNS1_9scan_implILNS1_25lookback_scan_determinismE0ELb1ELb1ES3_N6thrust23THRUST_200600_302600_NS6detail15normal_iteratorINS9_10device_ptrIjEEEESE_jNS9_4plusIvEEjEEDaPvRmT3_T4_T5_mT6_P12ihipStream_tbENKUlT_T0_E_clISt17integral_constantIbLb1EESU_EEDaSP_SQ_EUlSP_E_NS1_11comp_targetILNS1_3genE10ELNS1_11target_archE1201ELNS1_3gpuE5ELNS1_3repE0EEENS1_30default_config_static_selectorELNS0_4arch9wavefront6targetE1EEEvT1_,comdat
.Lfunc_end4669:
	.size	_ZN7rocprim17ROCPRIM_400000_NS6detail17trampoline_kernelINS0_14default_configENS1_20scan_config_selectorIjEEZZNS1_9scan_implILNS1_25lookback_scan_determinismE0ELb1ELb1ES3_N6thrust23THRUST_200600_302600_NS6detail15normal_iteratorINS9_10device_ptrIjEEEESE_jNS9_4plusIvEEjEEDaPvRmT3_T4_T5_mT6_P12ihipStream_tbENKUlT_T0_E_clISt17integral_constantIbLb1EESU_EEDaSP_SQ_EUlSP_E_NS1_11comp_targetILNS1_3genE10ELNS1_11target_archE1201ELNS1_3gpuE5ELNS1_3repE0EEENS1_30default_config_static_selectorELNS0_4arch9wavefront6targetE1EEEvT1_, .Lfunc_end4669-_ZN7rocprim17ROCPRIM_400000_NS6detail17trampoline_kernelINS0_14default_configENS1_20scan_config_selectorIjEEZZNS1_9scan_implILNS1_25lookback_scan_determinismE0ELb1ELb1ES3_N6thrust23THRUST_200600_302600_NS6detail15normal_iteratorINS9_10device_ptrIjEEEESE_jNS9_4plusIvEEjEEDaPvRmT3_T4_T5_mT6_P12ihipStream_tbENKUlT_T0_E_clISt17integral_constantIbLb1EESU_EEDaSP_SQ_EUlSP_E_NS1_11comp_targetILNS1_3genE10ELNS1_11target_archE1201ELNS1_3gpuE5ELNS1_3repE0EEENS1_30default_config_static_selectorELNS0_4arch9wavefront6targetE1EEEvT1_
                                        ; -- End function
	.section	.AMDGPU.csdata,"",@progbits
; Kernel info:
; codeLenInByte = 0
; NumSgprs: 4
; NumVgprs: 0
; NumAgprs: 0
; TotalNumVgprs: 0
; ScratchSize: 0
; MemoryBound: 0
; FloatMode: 240
; IeeeMode: 1
; LDSByteSize: 0 bytes/workgroup (compile time only)
; SGPRBlocks: 0
; VGPRBlocks: 0
; NumSGPRsForWavesPerEU: 4
; NumVGPRsForWavesPerEU: 1
; AccumOffset: 4
; Occupancy: 8
; WaveLimiterHint : 0
; COMPUTE_PGM_RSRC2:SCRATCH_EN: 0
; COMPUTE_PGM_RSRC2:USER_SGPR: 6
; COMPUTE_PGM_RSRC2:TRAP_HANDLER: 0
; COMPUTE_PGM_RSRC2:TGID_X_EN: 1
; COMPUTE_PGM_RSRC2:TGID_Y_EN: 0
; COMPUTE_PGM_RSRC2:TGID_Z_EN: 0
; COMPUTE_PGM_RSRC2:TIDIG_COMP_CNT: 0
; COMPUTE_PGM_RSRC3_GFX90A:ACCUM_OFFSET: 0
; COMPUTE_PGM_RSRC3_GFX90A:TG_SPLIT: 0
	.section	.text._ZN7rocprim17ROCPRIM_400000_NS6detail17trampoline_kernelINS0_14default_configENS1_20scan_config_selectorIjEEZZNS1_9scan_implILNS1_25lookback_scan_determinismE0ELb1ELb1ES3_N6thrust23THRUST_200600_302600_NS6detail15normal_iteratorINS9_10device_ptrIjEEEESE_jNS9_4plusIvEEjEEDaPvRmT3_T4_T5_mT6_P12ihipStream_tbENKUlT_T0_E_clISt17integral_constantIbLb1EESU_EEDaSP_SQ_EUlSP_E_NS1_11comp_targetILNS1_3genE10ELNS1_11target_archE1200ELNS1_3gpuE4ELNS1_3repE0EEENS1_30default_config_static_selectorELNS0_4arch9wavefront6targetE1EEEvT1_,"axG",@progbits,_ZN7rocprim17ROCPRIM_400000_NS6detail17trampoline_kernelINS0_14default_configENS1_20scan_config_selectorIjEEZZNS1_9scan_implILNS1_25lookback_scan_determinismE0ELb1ELb1ES3_N6thrust23THRUST_200600_302600_NS6detail15normal_iteratorINS9_10device_ptrIjEEEESE_jNS9_4plusIvEEjEEDaPvRmT3_T4_T5_mT6_P12ihipStream_tbENKUlT_T0_E_clISt17integral_constantIbLb1EESU_EEDaSP_SQ_EUlSP_E_NS1_11comp_targetILNS1_3genE10ELNS1_11target_archE1200ELNS1_3gpuE4ELNS1_3repE0EEENS1_30default_config_static_selectorELNS0_4arch9wavefront6targetE1EEEvT1_,comdat
	.protected	_ZN7rocprim17ROCPRIM_400000_NS6detail17trampoline_kernelINS0_14default_configENS1_20scan_config_selectorIjEEZZNS1_9scan_implILNS1_25lookback_scan_determinismE0ELb1ELb1ES3_N6thrust23THRUST_200600_302600_NS6detail15normal_iteratorINS9_10device_ptrIjEEEESE_jNS9_4plusIvEEjEEDaPvRmT3_T4_T5_mT6_P12ihipStream_tbENKUlT_T0_E_clISt17integral_constantIbLb1EESU_EEDaSP_SQ_EUlSP_E_NS1_11comp_targetILNS1_3genE10ELNS1_11target_archE1200ELNS1_3gpuE4ELNS1_3repE0EEENS1_30default_config_static_selectorELNS0_4arch9wavefront6targetE1EEEvT1_ ; -- Begin function _ZN7rocprim17ROCPRIM_400000_NS6detail17trampoline_kernelINS0_14default_configENS1_20scan_config_selectorIjEEZZNS1_9scan_implILNS1_25lookback_scan_determinismE0ELb1ELb1ES3_N6thrust23THRUST_200600_302600_NS6detail15normal_iteratorINS9_10device_ptrIjEEEESE_jNS9_4plusIvEEjEEDaPvRmT3_T4_T5_mT6_P12ihipStream_tbENKUlT_T0_E_clISt17integral_constantIbLb1EESU_EEDaSP_SQ_EUlSP_E_NS1_11comp_targetILNS1_3genE10ELNS1_11target_archE1200ELNS1_3gpuE4ELNS1_3repE0EEENS1_30default_config_static_selectorELNS0_4arch9wavefront6targetE1EEEvT1_
	.globl	_ZN7rocprim17ROCPRIM_400000_NS6detail17trampoline_kernelINS0_14default_configENS1_20scan_config_selectorIjEEZZNS1_9scan_implILNS1_25lookback_scan_determinismE0ELb1ELb1ES3_N6thrust23THRUST_200600_302600_NS6detail15normal_iteratorINS9_10device_ptrIjEEEESE_jNS9_4plusIvEEjEEDaPvRmT3_T4_T5_mT6_P12ihipStream_tbENKUlT_T0_E_clISt17integral_constantIbLb1EESU_EEDaSP_SQ_EUlSP_E_NS1_11comp_targetILNS1_3genE10ELNS1_11target_archE1200ELNS1_3gpuE4ELNS1_3repE0EEENS1_30default_config_static_selectorELNS0_4arch9wavefront6targetE1EEEvT1_
	.p2align	8
	.type	_ZN7rocprim17ROCPRIM_400000_NS6detail17trampoline_kernelINS0_14default_configENS1_20scan_config_selectorIjEEZZNS1_9scan_implILNS1_25lookback_scan_determinismE0ELb1ELb1ES3_N6thrust23THRUST_200600_302600_NS6detail15normal_iteratorINS9_10device_ptrIjEEEESE_jNS9_4plusIvEEjEEDaPvRmT3_T4_T5_mT6_P12ihipStream_tbENKUlT_T0_E_clISt17integral_constantIbLb1EESU_EEDaSP_SQ_EUlSP_E_NS1_11comp_targetILNS1_3genE10ELNS1_11target_archE1200ELNS1_3gpuE4ELNS1_3repE0EEENS1_30default_config_static_selectorELNS0_4arch9wavefront6targetE1EEEvT1_,@function
_ZN7rocprim17ROCPRIM_400000_NS6detail17trampoline_kernelINS0_14default_configENS1_20scan_config_selectorIjEEZZNS1_9scan_implILNS1_25lookback_scan_determinismE0ELb1ELb1ES3_N6thrust23THRUST_200600_302600_NS6detail15normal_iteratorINS9_10device_ptrIjEEEESE_jNS9_4plusIvEEjEEDaPvRmT3_T4_T5_mT6_P12ihipStream_tbENKUlT_T0_E_clISt17integral_constantIbLb1EESU_EEDaSP_SQ_EUlSP_E_NS1_11comp_targetILNS1_3genE10ELNS1_11target_archE1200ELNS1_3gpuE4ELNS1_3repE0EEENS1_30default_config_static_selectorELNS0_4arch9wavefront6targetE1EEEvT1_: ; @_ZN7rocprim17ROCPRIM_400000_NS6detail17trampoline_kernelINS0_14default_configENS1_20scan_config_selectorIjEEZZNS1_9scan_implILNS1_25lookback_scan_determinismE0ELb1ELb1ES3_N6thrust23THRUST_200600_302600_NS6detail15normal_iteratorINS9_10device_ptrIjEEEESE_jNS9_4plusIvEEjEEDaPvRmT3_T4_T5_mT6_P12ihipStream_tbENKUlT_T0_E_clISt17integral_constantIbLb1EESU_EEDaSP_SQ_EUlSP_E_NS1_11comp_targetILNS1_3genE10ELNS1_11target_archE1200ELNS1_3gpuE4ELNS1_3repE0EEENS1_30default_config_static_selectorELNS0_4arch9wavefront6targetE1EEEvT1_
; %bb.0:
	.section	.rodata,"a",@progbits
	.p2align	6, 0x0
	.amdhsa_kernel _ZN7rocprim17ROCPRIM_400000_NS6detail17trampoline_kernelINS0_14default_configENS1_20scan_config_selectorIjEEZZNS1_9scan_implILNS1_25lookback_scan_determinismE0ELb1ELb1ES3_N6thrust23THRUST_200600_302600_NS6detail15normal_iteratorINS9_10device_ptrIjEEEESE_jNS9_4plusIvEEjEEDaPvRmT3_T4_T5_mT6_P12ihipStream_tbENKUlT_T0_E_clISt17integral_constantIbLb1EESU_EEDaSP_SQ_EUlSP_E_NS1_11comp_targetILNS1_3genE10ELNS1_11target_archE1200ELNS1_3gpuE4ELNS1_3repE0EEENS1_30default_config_static_selectorELNS0_4arch9wavefront6targetE1EEEvT1_
		.amdhsa_group_segment_fixed_size 0
		.amdhsa_private_segment_fixed_size 0
		.amdhsa_kernarg_size 96
		.amdhsa_user_sgpr_count 6
		.amdhsa_user_sgpr_private_segment_buffer 1
		.amdhsa_user_sgpr_dispatch_ptr 0
		.amdhsa_user_sgpr_queue_ptr 0
		.amdhsa_user_sgpr_kernarg_segment_ptr 1
		.amdhsa_user_sgpr_dispatch_id 0
		.amdhsa_user_sgpr_flat_scratch_init 0
		.amdhsa_user_sgpr_kernarg_preload_length 0
		.amdhsa_user_sgpr_kernarg_preload_offset 0
		.amdhsa_user_sgpr_private_segment_size 0
		.amdhsa_uses_dynamic_stack 0
		.amdhsa_system_sgpr_private_segment_wavefront_offset 0
		.amdhsa_system_sgpr_workgroup_id_x 1
		.amdhsa_system_sgpr_workgroup_id_y 0
		.amdhsa_system_sgpr_workgroup_id_z 0
		.amdhsa_system_sgpr_workgroup_info 0
		.amdhsa_system_vgpr_workitem_id 0
		.amdhsa_next_free_vgpr 1
		.amdhsa_next_free_sgpr 0
		.amdhsa_accum_offset 4
		.amdhsa_reserve_vcc 0
		.amdhsa_reserve_flat_scratch 0
		.amdhsa_float_round_mode_32 0
		.amdhsa_float_round_mode_16_64 0
		.amdhsa_float_denorm_mode_32 3
		.amdhsa_float_denorm_mode_16_64 3
		.amdhsa_dx10_clamp 1
		.amdhsa_ieee_mode 1
		.amdhsa_fp16_overflow 0
		.amdhsa_tg_split 0
		.amdhsa_exception_fp_ieee_invalid_op 0
		.amdhsa_exception_fp_denorm_src 0
		.amdhsa_exception_fp_ieee_div_zero 0
		.amdhsa_exception_fp_ieee_overflow 0
		.amdhsa_exception_fp_ieee_underflow 0
		.amdhsa_exception_fp_ieee_inexact 0
		.amdhsa_exception_int_div_zero 0
	.end_amdhsa_kernel
	.section	.text._ZN7rocprim17ROCPRIM_400000_NS6detail17trampoline_kernelINS0_14default_configENS1_20scan_config_selectorIjEEZZNS1_9scan_implILNS1_25lookback_scan_determinismE0ELb1ELb1ES3_N6thrust23THRUST_200600_302600_NS6detail15normal_iteratorINS9_10device_ptrIjEEEESE_jNS9_4plusIvEEjEEDaPvRmT3_T4_T5_mT6_P12ihipStream_tbENKUlT_T0_E_clISt17integral_constantIbLb1EESU_EEDaSP_SQ_EUlSP_E_NS1_11comp_targetILNS1_3genE10ELNS1_11target_archE1200ELNS1_3gpuE4ELNS1_3repE0EEENS1_30default_config_static_selectorELNS0_4arch9wavefront6targetE1EEEvT1_,"axG",@progbits,_ZN7rocprim17ROCPRIM_400000_NS6detail17trampoline_kernelINS0_14default_configENS1_20scan_config_selectorIjEEZZNS1_9scan_implILNS1_25lookback_scan_determinismE0ELb1ELb1ES3_N6thrust23THRUST_200600_302600_NS6detail15normal_iteratorINS9_10device_ptrIjEEEESE_jNS9_4plusIvEEjEEDaPvRmT3_T4_T5_mT6_P12ihipStream_tbENKUlT_T0_E_clISt17integral_constantIbLb1EESU_EEDaSP_SQ_EUlSP_E_NS1_11comp_targetILNS1_3genE10ELNS1_11target_archE1200ELNS1_3gpuE4ELNS1_3repE0EEENS1_30default_config_static_selectorELNS0_4arch9wavefront6targetE1EEEvT1_,comdat
.Lfunc_end4670:
	.size	_ZN7rocprim17ROCPRIM_400000_NS6detail17trampoline_kernelINS0_14default_configENS1_20scan_config_selectorIjEEZZNS1_9scan_implILNS1_25lookback_scan_determinismE0ELb1ELb1ES3_N6thrust23THRUST_200600_302600_NS6detail15normal_iteratorINS9_10device_ptrIjEEEESE_jNS9_4plusIvEEjEEDaPvRmT3_T4_T5_mT6_P12ihipStream_tbENKUlT_T0_E_clISt17integral_constantIbLb1EESU_EEDaSP_SQ_EUlSP_E_NS1_11comp_targetILNS1_3genE10ELNS1_11target_archE1200ELNS1_3gpuE4ELNS1_3repE0EEENS1_30default_config_static_selectorELNS0_4arch9wavefront6targetE1EEEvT1_, .Lfunc_end4670-_ZN7rocprim17ROCPRIM_400000_NS6detail17trampoline_kernelINS0_14default_configENS1_20scan_config_selectorIjEEZZNS1_9scan_implILNS1_25lookback_scan_determinismE0ELb1ELb1ES3_N6thrust23THRUST_200600_302600_NS6detail15normal_iteratorINS9_10device_ptrIjEEEESE_jNS9_4plusIvEEjEEDaPvRmT3_T4_T5_mT6_P12ihipStream_tbENKUlT_T0_E_clISt17integral_constantIbLb1EESU_EEDaSP_SQ_EUlSP_E_NS1_11comp_targetILNS1_3genE10ELNS1_11target_archE1200ELNS1_3gpuE4ELNS1_3repE0EEENS1_30default_config_static_selectorELNS0_4arch9wavefront6targetE1EEEvT1_
                                        ; -- End function
	.section	.AMDGPU.csdata,"",@progbits
; Kernel info:
; codeLenInByte = 0
; NumSgprs: 4
; NumVgprs: 0
; NumAgprs: 0
; TotalNumVgprs: 0
; ScratchSize: 0
; MemoryBound: 0
; FloatMode: 240
; IeeeMode: 1
; LDSByteSize: 0 bytes/workgroup (compile time only)
; SGPRBlocks: 0
; VGPRBlocks: 0
; NumSGPRsForWavesPerEU: 4
; NumVGPRsForWavesPerEU: 1
; AccumOffset: 4
; Occupancy: 8
; WaveLimiterHint : 0
; COMPUTE_PGM_RSRC2:SCRATCH_EN: 0
; COMPUTE_PGM_RSRC2:USER_SGPR: 6
; COMPUTE_PGM_RSRC2:TRAP_HANDLER: 0
; COMPUTE_PGM_RSRC2:TGID_X_EN: 1
; COMPUTE_PGM_RSRC2:TGID_Y_EN: 0
; COMPUTE_PGM_RSRC2:TGID_Z_EN: 0
; COMPUTE_PGM_RSRC2:TIDIG_COMP_CNT: 0
; COMPUTE_PGM_RSRC3_GFX90A:ACCUM_OFFSET: 0
; COMPUTE_PGM_RSRC3_GFX90A:TG_SPLIT: 0
	.section	.text._ZN7rocprim17ROCPRIM_400000_NS6detail17trampoline_kernelINS0_14default_configENS1_20scan_config_selectorIjEEZZNS1_9scan_implILNS1_25lookback_scan_determinismE0ELb1ELb1ES3_N6thrust23THRUST_200600_302600_NS6detail15normal_iteratorINS9_10device_ptrIjEEEESE_jNS9_4plusIvEEjEEDaPvRmT3_T4_T5_mT6_P12ihipStream_tbENKUlT_T0_E_clISt17integral_constantIbLb1EESU_EEDaSP_SQ_EUlSP_E_NS1_11comp_targetILNS1_3genE9ELNS1_11target_archE1100ELNS1_3gpuE3ELNS1_3repE0EEENS1_30default_config_static_selectorELNS0_4arch9wavefront6targetE1EEEvT1_,"axG",@progbits,_ZN7rocprim17ROCPRIM_400000_NS6detail17trampoline_kernelINS0_14default_configENS1_20scan_config_selectorIjEEZZNS1_9scan_implILNS1_25lookback_scan_determinismE0ELb1ELb1ES3_N6thrust23THRUST_200600_302600_NS6detail15normal_iteratorINS9_10device_ptrIjEEEESE_jNS9_4plusIvEEjEEDaPvRmT3_T4_T5_mT6_P12ihipStream_tbENKUlT_T0_E_clISt17integral_constantIbLb1EESU_EEDaSP_SQ_EUlSP_E_NS1_11comp_targetILNS1_3genE9ELNS1_11target_archE1100ELNS1_3gpuE3ELNS1_3repE0EEENS1_30default_config_static_selectorELNS0_4arch9wavefront6targetE1EEEvT1_,comdat
	.protected	_ZN7rocprim17ROCPRIM_400000_NS6detail17trampoline_kernelINS0_14default_configENS1_20scan_config_selectorIjEEZZNS1_9scan_implILNS1_25lookback_scan_determinismE0ELb1ELb1ES3_N6thrust23THRUST_200600_302600_NS6detail15normal_iteratorINS9_10device_ptrIjEEEESE_jNS9_4plusIvEEjEEDaPvRmT3_T4_T5_mT6_P12ihipStream_tbENKUlT_T0_E_clISt17integral_constantIbLb1EESU_EEDaSP_SQ_EUlSP_E_NS1_11comp_targetILNS1_3genE9ELNS1_11target_archE1100ELNS1_3gpuE3ELNS1_3repE0EEENS1_30default_config_static_selectorELNS0_4arch9wavefront6targetE1EEEvT1_ ; -- Begin function _ZN7rocprim17ROCPRIM_400000_NS6detail17trampoline_kernelINS0_14default_configENS1_20scan_config_selectorIjEEZZNS1_9scan_implILNS1_25lookback_scan_determinismE0ELb1ELb1ES3_N6thrust23THRUST_200600_302600_NS6detail15normal_iteratorINS9_10device_ptrIjEEEESE_jNS9_4plusIvEEjEEDaPvRmT3_T4_T5_mT6_P12ihipStream_tbENKUlT_T0_E_clISt17integral_constantIbLb1EESU_EEDaSP_SQ_EUlSP_E_NS1_11comp_targetILNS1_3genE9ELNS1_11target_archE1100ELNS1_3gpuE3ELNS1_3repE0EEENS1_30default_config_static_selectorELNS0_4arch9wavefront6targetE1EEEvT1_
	.globl	_ZN7rocprim17ROCPRIM_400000_NS6detail17trampoline_kernelINS0_14default_configENS1_20scan_config_selectorIjEEZZNS1_9scan_implILNS1_25lookback_scan_determinismE0ELb1ELb1ES3_N6thrust23THRUST_200600_302600_NS6detail15normal_iteratorINS9_10device_ptrIjEEEESE_jNS9_4plusIvEEjEEDaPvRmT3_T4_T5_mT6_P12ihipStream_tbENKUlT_T0_E_clISt17integral_constantIbLb1EESU_EEDaSP_SQ_EUlSP_E_NS1_11comp_targetILNS1_3genE9ELNS1_11target_archE1100ELNS1_3gpuE3ELNS1_3repE0EEENS1_30default_config_static_selectorELNS0_4arch9wavefront6targetE1EEEvT1_
	.p2align	8
	.type	_ZN7rocprim17ROCPRIM_400000_NS6detail17trampoline_kernelINS0_14default_configENS1_20scan_config_selectorIjEEZZNS1_9scan_implILNS1_25lookback_scan_determinismE0ELb1ELb1ES3_N6thrust23THRUST_200600_302600_NS6detail15normal_iteratorINS9_10device_ptrIjEEEESE_jNS9_4plusIvEEjEEDaPvRmT3_T4_T5_mT6_P12ihipStream_tbENKUlT_T0_E_clISt17integral_constantIbLb1EESU_EEDaSP_SQ_EUlSP_E_NS1_11comp_targetILNS1_3genE9ELNS1_11target_archE1100ELNS1_3gpuE3ELNS1_3repE0EEENS1_30default_config_static_selectorELNS0_4arch9wavefront6targetE1EEEvT1_,@function
_ZN7rocprim17ROCPRIM_400000_NS6detail17trampoline_kernelINS0_14default_configENS1_20scan_config_selectorIjEEZZNS1_9scan_implILNS1_25lookback_scan_determinismE0ELb1ELb1ES3_N6thrust23THRUST_200600_302600_NS6detail15normal_iteratorINS9_10device_ptrIjEEEESE_jNS9_4plusIvEEjEEDaPvRmT3_T4_T5_mT6_P12ihipStream_tbENKUlT_T0_E_clISt17integral_constantIbLb1EESU_EEDaSP_SQ_EUlSP_E_NS1_11comp_targetILNS1_3genE9ELNS1_11target_archE1100ELNS1_3gpuE3ELNS1_3repE0EEENS1_30default_config_static_selectorELNS0_4arch9wavefront6targetE1EEEvT1_: ; @_ZN7rocprim17ROCPRIM_400000_NS6detail17trampoline_kernelINS0_14default_configENS1_20scan_config_selectorIjEEZZNS1_9scan_implILNS1_25lookback_scan_determinismE0ELb1ELb1ES3_N6thrust23THRUST_200600_302600_NS6detail15normal_iteratorINS9_10device_ptrIjEEEESE_jNS9_4plusIvEEjEEDaPvRmT3_T4_T5_mT6_P12ihipStream_tbENKUlT_T0_E_clISt17integral_constantIbLb1EESU_EEDaSP_SQ_EUlSP_E_NS1_11comp_targetILNS1_3genE9ELNS1_11target_archE1100ELNS1_3gpuE3ELNS1_3repE0EEENS1_30default_config_static_selectorELNS0_4arch9wavefront6targetE1EEEvT1_
; %bb.0:
	.section	.rodata,"a",@progbits
	.p2align	6, 0x0
	.amdhsa_kernel _ZN7rocprim17ROCPRIM_400000_NS6detail17trampoline_kernelINS0_14default_configENS1_20scan_config_selectorIjEEZZNS1_9scan_implILNS1_25lookback_scan_determinismE0ELb1ELb1ES3_N6thrust23THRUST_200600_302600_NS6detail15normal_iteratorINS9_10device_ptrIjEEEESE_jNS9_4plusIvEEjEEDaPvRmT3_T4_T5_mT6_P12ihipStream_tbENKUlT_T0_E_clISt17integral_constantIbLb1EESU_EEDaSP_SQ_EUlSP_E_NS1_11comp_targetILNS1_3genE9ELNS1_11target_archE1100ELNS1_3gpuE3ELNS1_3repE0EEENS1_30default_config_static_selectorELNS0_4arch9wavefront6targetE1EEEvT1_
		.amdhsa_group_segment_fixed_size 0
		.amdhsa_private_segment_fixed_size 0
		.amdhsa_kernarg_size 96
		.amdhsa_user_sgpr_count 6
		.amdhsa_user_sgpr_private_segment_buffer 1
		.amdhsa_user_sgpr_dispatch_ptr 0
		.amdhsa_user_sgpr_queue_ptr 0
		.amdhsa_user_sgpr_kernarg_segment_ptr 1
		.amdhsa_user_sgpr_dispatch_id 0
		.amdhsa_user_sgpr_flat_scratch_init 0
		.amdhsa_user_sgpr_kernarg_preload_length 0
		.amdhsa_user_sgpr_kernarg_preload_offset 0
		.amdhsa_user_sgpr_private_segment_size 0
		.amdhsa_uses_dynamic_stack 0
		.amdhsa_system_sgpr_private_segment_wavefront_offset 0
		.amdhsa_system_sgpr_workgroup_id_x 1
		.amdhsa_system_sgpr_workgroup_id_y 0
		.amdhsa_system_sgpr_workgroup_id_z 0
		.amdhsa_system_sgpr_workgroup_info 0
		.amdhsa_system_vgpr_workitem_id 0
		.amdhsa_next_free_vgpr 1
		.amdhsa_next_free_sgpr 0
		.amdhsa_accum_offset 4
		.amdhsa_reserve_vcc 0
		.amdhsa_reserve_flat_scratch 0
		.amdhsa_float_round_mode_32 0
		.amdhsa_float_round_mode_16_64 0
		.amdhsa_float_denorm_mode_32 3
		.amdhsa_float_denorm_mode_16_64 3
		.amdhsa_dx10_clamp 1
		.amdhsa_ieee_mode 1
		.amdhsa_fp16_overflow 0
		.amdhsa_tg_split 0
		.amdhsa_exception_fp_ieee_invalid_op 0
		.amdhsa_exception_fp_denorm_src 0
		.amdhsa_exception_fp_ieee_div_zero 0
		.amdhsa_exception_fp_ieee_overflow 0
		.amdhsa_exception_fp_ieee_underflow 0
		.amdhsa_exception_fp_ieee_inexact 0
		.amdhsa_exception_int_div_zero 0
	.end_amdhsa_kernel
	.section	.text._ZN7rocprim17ROCPRIM_400000_NS6detail17trampoline_kernelINS0_14default_configENS1_20scan_config_selectorIjEEZZNS1_9scan_implILNS1_25lookback_scan_determinismE0ELb1ELb1ES3_N6thrust23THRUST_200600_302600_NS6detail15normal_iteratorINS9_10device_ptrIjEEEESE_jNS9_4plusIvEEjEEDaPvRmT3_T4_T5_mT6_P12ihipStream_tbENKUlT_T0_E_clISt17integral_constantIbLb1EESU_EEDaSP_SQ_EUlSP_E_NS1_11comp_targetILNS1_3genE9ELNS1_11target_archE1100ELNS1_3gpuE3ELNS1_3repE0EEENS1_30default_config_static_selectorELNS0_4arch9wavefront6targetE1EEEvT1_,"axG",@progbits,_ZN7rocprim17ROCPRIM_400000_NS6detail17trampoline_kernelINS0_14default_configENS1_20scan_config_selectorIjEEZZNS1_9scan_implILNS1_25lookback_scan_determinismE0ELb1ELb1ES3_N6thrust23THRUST_200600_302600_NS6detail15normal_iteratorINS9_10device_ptrIjEEEESE_jNS9_4plusIvEEjEEDaPvRmT3_T4_T5_mT6_P12ihipStream_tbENKUlT_T0_E_clISt17integral_constantIbLb1EESU_EEDaSP_SQ_EUlSP_E_NS1_11comp_targetILNS1_3genE9ELNS1_11target_archE1100ELNS1_3gpuE3ELNS1_3repE0EEENS1_30default_config_static_selectorELNS0_4arch9wavefront6targetE1EEEvT1_,comdat
.Lfunc_end4671:
	.size	_ZN7rocprim17ROCPRIM_400000_NS6detail17trampoline_kernelINS0_14default_configENS1_20scan_config_selectorIjEEZZNS1_9scan_implILNS1_25lookback_scan_determinismE0ELb1ELb1ES3_N6thrust23THRUST_200600_302600_NS6detail15normal_iteratorINS9_10device_ptrIjEEEESE_jNS9_4plusIvEEjEEDaPvRmT3_T4_T5_mT6_P12ihipStream_tbENKUlT_T0_E_clISt17integral_constantIbLb1EESU_EEDaSP_SQ_EUlSP_E_NS1_11comp_targetILNS1_3genE9ELNS1_11target_archE1100ELNS1_3gpuE3ELNS1_3repE0EEENS1_30default_config_static_selectorELNS0_4arch9wavefront6targetE1EEEvT1_, .Lfunc_end4671-_ZN7rocprim17ROCPRIM_400000_NS6detail17trampoline_kernelINS0_14default_configENS1_20scan_config_selectorIjEEZZNS1_9scan_implILNS1_25lookback_scan_determinismE0ELb1ELb1ES3_N6thrust23THRUST_200600_302600_NS6detail15normal_iteratorINS9_10device_ptrIjEEEESE_jNS9_4plusIvEEjEEDaPvRmT3_T4_T5_mT6_P12ihipStream_tbENKUlT_T0_E_clISt17integral_constantIbLb1EESU_EEDaSP_SQ_EUlSP_E_NS1_11comp_targetILNS1_3genE9ELNS1_11target_archE1100ELNS1_3gpuE3ELNS1_3repE0EEENS1_30default_config_static_selectorELNS0_4arch9wavefront6targetE1EEEvT1_
                                        ; -- End function
	.section	.AMDGPU.csdata,"",@progbits
; Kernel info:
; codeLenInByte = 0
; NumSgprs: 4
; NumVgprs: 0
; NumAgprs: 0
; TotalNumVgprs: 0
; ScratchSize: 0
; MemoryBound: 0
; FloatMode: 240
; IeeeMode: 1
; LDSByteSize: 0 bytes/workgroup (compile time only)
; SGPRBlocks: 0
; VGPRBlocks: 0
; NumSGPRsForWavesPerEU: 4
; NumVGPRsForWavesPerEU: 1
; AccumOffset: 4
; Occupancy: 8
; WaveLimiterHint : 0
; COMPUTE_PGM_RSRC2:SCRATCH_EN: 0
; COMPUTE_PGM_RSRC2:USER_SGPR: 6
; COMPUTE_PGM_RSRC2:TRAP_HANDLER: 0
; COMPUTE_PGM_RSRC2:TGID_X_EN: 1
; COMPUTE_PGM_RSRC2:TGID_Y_EN: 0
; COMPUTE_PGM_RSRC2:TGID_Z_EN: 0
; COMPUTE_PGM_RSRC2:TIDIG_COMP_CNT: 0
; COMPUTE_PGM_RSRC3_GFX90A:ACCUM_OFFSET: 0
; COMPUTE_PGM_RSRC3_GFX90A:TG_SPLIT: 0
	.section	.text._ZN7rocprim17ROCPRIM_400000_NS6detail17trampoline_kernelINS0_14default_configENS1_20scan_config_selectorIjEEZZNS1_9scan_implILNS1_25lookback_scan_determinismE0ELb1ELb1ES3_N6thrust23THRUST_200600_302600_NS6detail15normal_iteratorINS9_10device_ptrIjEEEESE_jNS9_4plusIvEEjEEDaPvRmT3_T4_T5_mT6_P12ihipStream_tbENKUlT_T0_E_clISt17integral_constantIbLb1EESU_EEDaSP_SQ_EUlSP_E_NS1_11comp_targetILNS1_3genE8ELNS1_11target_archE1030ELNS1_3gpuE2ELNS1_3repE0EEENS1_30default_config_static_selectorELNS0_4arch9wavefront6targetE1EEEvT1_,"axG",@progbits,_ZN7rocprim17ROCPRIM_400000_NS6detail17trampoline_kernelINS0_14default_configENS1_20scan_config_selectorIjEEZZNS1_9scan_implILNS1_25lookback_scan_determinismE0ELb1ELb1ES3_N6thrust23THRUST_200600_302600_NS6detail15normal_iteratorINS9_10device_ptrIjEEEESE_jNS9_4plusIvEEjEEDaPvRmT3_T4_T5_mT6_P12ihipStream_tbENKUlT_T0_E_clISt17integral_constantIbLb1EESU_EEDaSP_SQ_EUlSP_E_NS1_11comp_targetILNS1_3genE8ELNS1_11target_archE1030ELNS1_3gpuE2ELNS1_3repE0EEENS1_30default_config_static_selectorELNS0_4arch9wavefront6targetE1EEEvT1_,comdat
	.protected	_ZN7rocprim17ROCPRIM_400000_NS6detail17trampoline_kernelINS0_14default_configENS1_20scan_config_selectorIjEEZZNS1_9scan_implILNS1_25lookback_scan_determinismE0ELb1ELb1ES3_N6thrust23THRUST_200600_302600_NS6detail15normal_iteratorINS9_10device_ptrIjEEEESE_jNS9_4plusIvEEjEEDaPvRmT3_T4_T5_mT6_P12ihipStream_tbENKUlT_T0_E_clISt17integral_constantIbLb1EESU_EEDaSP_SQ_EUlSP_E_NS1_11comp_targetILNS1_3genE8ELNS1_11target_archE1030ELNS1_3gpuE2ELNS1_3repE0EEENS1_30default_config_static_selectorELNS0_4arch9wavefront6targetE1EEEvT1_ ; -- Begin function _ZN7rocprim17ROCPRIM_400000_NS6detail17trampoline_kernelINS0_14default_configENS1_20scan_config_selectorIjEEZZNS1_9scan_implILNS1_25lookback_scan_determinismE0ELb1ELb1ES3_N6thrust23THRUST_200600_302600_NS6detail15normal_iteratorINS9_10device_ptrIjEEEESE_jNS9_4plusIvEEjEEDaPvRmT3_T4_T5_mT6_P12ihipStream_tbENKUlT_T0_E_clISt17integral_constantIbLb1EESU_EEDaSP_SQ_EUlSP_E_NS1_11comp_targetILNS1_3genE8ELNS1_11target_archE1030ELNS1_3gpuE2ELNS1_3repE0EEENS1_30default_config_static_selectorELNS0_4arch9wavefront6targetE1EEEvT1_
	.globl	_ZN7rocprim17ROCPRIM_400000_NS6detail17trampoline_kernelINS0_14default_configENS1_20scan_config_selectorIjEEZZNS1_9scan_implILNS1_25lookback_scan_determinismE0ELb1ELb1ES3_N6thrust23THRUST_200600_302600_NS6detail15normal_iteratorINS9_10device_ptrIjEEEESE_jNS9_4plusIvEEjEEDaPvRmT3_T4_T5_mT6_P12ihipStream_tbENKUlT_T0_E_clISt17integral_constantIbLb1EESU_EEDaSP_SQ_EUlSP_E_NS1_11comp_targetILNS1_3genE8ELNS1_11target_archE1030ELNS1_3gpuE2ELNS1_3repE0EEENS1_30default_config_static_selectorELNS0_4arch9wavefront6targetE1EEEvT1_
	.p2align	8
	.type	_ZN7rocprim17ROCPRIM_400000_NS6detail17trampoline_kernelINS0_14default_configENS1_20scan_config_selectorIjEEZZNS1_9scan_implILNS1_25lookback_scan_determinismE0ELb1ELb1ES3_N6thrust23THRUST_200600_302600_NS6detail15normal_iteratorINS9_10device_ptrIjEEEESE_jNS9_4plusIvEEjEEDaPvRmT3_T4_T5_mT6_P12ihipStream_tbENKUlT_T0_E_clISt17integral_constantIbLb1EESU_EEDaSP_SQ_EUlSP_E_NS1_11comp_targetILNS1_3genE8ELNS1_11target_archE1030ELNS1_3gpuE2ELNS1_3repE0EEENS1_30default_config_static_selectorELNS0_4arch9wavefront6targetE1EEEvT1_,@function
_ZN7rocprim17ROCPRIM_400000_NS6detail17trampoline_kernelINS0_14default_configENS1_20scan_config_selectorIjEEZZNS1_9scan_implILNS1_25lookback_scan_determinismE0ELb1ELb1ES3_N6thrust23THRUST_200600_302600_NS6detail15normal_iteratorINS9_10device_ptrIjEEEESE_jNS9_4plusIvEEjEEDaPvRmT3_T4_T5_mT6_P12ihipStream_tbENKUlT_T0_E_clISt17integral_constantIbLb1EESU_EEDaSP_SQ_EUlSP_E_NS1_11comp_targetILNS1_3genE8ELNS1_11target_archE1030ELNS1_3gpuE2ELNS1_3repE0EEENS1_30default_config_static_selectorELNS0_4arch9wavefront6targetE1EEEvT1_: ; @_ZN7rocprim17ROCPRIM_400000_NS6detail17trampoline_kernelINS0_14default_configENS1_20scan_config_selectorIjEEZZNS1_9scan_implILNS1_25lookback_scan_determinismE0ELb1ELb1ES3_N6thrust23THRUST_200600_302600_NS6detail15normal_iteratorINS9_10device_ptrIjEEEESE_jNS9_4plusIvEEjEEDaPvRmT3_T4_T5_mT6_P12ihipStream_tbENKUlT_T0_E_clISt17integral_constantIbLb1EESU_EEDaSP_SQ_EUlSP_E_NS1_11comp_targetILNS1_3genE8ELNS1_11target_archE1030ELNS1_3gpuE2ELNS1_3repE0EEENS1_30default_config_static_selectorELNS0_4arch9wavefront6targetE1EEEvT1_
; %bb.0:
	.section	.rodata,"a",@progbits
	.p2align	6, 0x0
	.amdhsa_kernel _ZN7rocprim17ROCPRIM_400000_NS6detail17trampoline_kernelINS0_14default_configENS1_20scan_config_selectorIjEEZZNS1_9scan_implILNS1_25lookback_scan_determinismE0ELb1ELb1ES3_N6thrust23THRUST_200600_302600_NS6detail15normal_iteratorINS9_10device_ptrIjEEEESE_jNS9_4plusIvEEjEEDaPvRmT3_T4_T5_mT6_P12ihipStream_tbENKUlT_T0_E_clISt17integral_constantIbLb1EESU_EEDaSP_SQ_EUlSP_E_NS1_11comp_targetILNS1_3genE8ELNS1_11target_archE1030ELNS1_3gpuE2ELNS1_3repE0EEENS1_30default_config_static_selectorELNS0_4arch9wavefront6targetE1EEEvT1_
		.amdhsa_group_segment_fixed_size 0
		.amdhsa_private_segment_fixed_size 0
		.amdhsa_kernarg_size 96
		.amdhsa_user_sgpr_count 6
		.amdhsa_user_sgpr_private_segment_buffer 1
		.amdhsa_user_sgpr_dispatch_ptr 0
		.amdhsa_user_sgpr_queue_ptr 0
		.amdhsa_user_sgpr_kernarg_segment_ptr 1
		.amdhsa_user_sgpr_dispatch_id 0
		.amdhsa_user_sgpr_flat_scratch_init 0
		.amdhsa_user_sgpr_kernarg_preload_length 0
		.amdhsa_user_sgpr_kernarg_preload_offset 0
		.amdhsa_user_sgpr_private_segment_size 0
		.amdhsa_uses_dynamic_stack 0
		.amdhsa_system_sgpr_private_segment_wavefront_offset 0
		.amdhsa_system_sgpr_workgroup_id_x 1
		.amdhsa_system_sgpr_workgroup_id_y 0
		.amdhsa_system_sgpr_workgroup_id_z 0
		.amdhsa_system_sgpr_workgroup_info 0
		.amdhsa_system_vgpr_workitem_id 0
		.amdhsa_next_free_vgpr 1
		.amdhsa_next_free_sgpr 0
		.amdhsa_accum_offset 4
		.amdhsa_reserve_vcc 0
		.amdhsa_reserve_flat_scratch 0
		.amdhsa_float_round_mode_32 0
		.amdhsa_float_round_mode_16_64 0
		.amdhsa_float_denorm_mode_32 3
		.amdhsa_float_denorm_mode_16_64 3
		.amdhsa_dx10_clamp 1
		.amdhsa_ieee_mode 1
		.amdhsa_fp16_overflow 0
		.amdhsa_tg_split 0
		.amdhsa_exception_fp_ieee_invalid_op 0
		.amdhsa_exception_fp_denorm_src 0
		.amdhsa_exception_fp_ieee_div_zero 0
		.amdhsa_exception_fp_ieee_overflow 0
		.amdhsa_exception_fp_ieee_underflow 0
		.amdhsa_exception_fp_ieee_inexact 0
		.amdhsa_exception_int_div_zero 0
	.end_amdhsa_kernel
	.section	.text._ZN7rocprim17ROCPRIM_400000_NS6detail17trampoline_kernelINS0_14default_configENS1_20scan_config_selectorIjEEZZNS1_9scan_implILNS1_25lookback_scan_determinismE0ELb1ELb1ES3_N6thrust23THRUST_200600_302600_NS6detail15normal_iteratorINS9_10device_ptrIjEEEESE_jNS9_4plusIvEEjEEDaPvRmT3_T4_T5_mT6_P12ihipStream_tbENKUlT_T0_E_clISt17integral_constantIbLb1EESU_EEDaSP_SQ_EUlSP_E_NS1_11comp_targetILNS1_3genE8ELNS1_11target_archE1030ELNS1_3gpuE2ELNS1_3repE0EEENS1_30default_config_static_selectorELNS0_4arch9wavefront6targetE1EEEvT1_,"axG",@progbits,_ZN7rocprim17ROCPRIM_400000_NS6detail17trampoline_kernelINS0_14default_configENS1_20scan_config_selectorIjEEZZNS1_9scan_implILNS1_25lookback_scan_determinismE0ELb1ELb1ES3_N6thrust23THRUST_200600_302600_NS6detail15normal_iteratorINS9_10device_ptrIjEEEESE_jNS9_4plusIvEEjEEDaPvRmT3_T4_T5_mT6_P12ihipStream_tbENKUlT_T0_E_clISt17integral_constantIbLb1EESU_EEDaSP_SQ_EUlSP_E_NS1_11comp_targetILNS1_3genE8ELNS1_11target_archE1030ELNS1_3gpuE2ELNS1_3repE0EEENS1_30default_config_static_selectorELNS0_4arch9wavefront6targetE1EEEvT1_,comdat
.Lfunc_end4672:
	.size	_ZN7rocprim17ROCPRIM_400000_NS6detail17trampoline_kernelINS0_14default_configENS1_20scan_config_selectorIjEEZZNS1_9scan_implILNS1_25lookback_scan_determinismE0ELb1ELb1ES3_N6thrust23THRUST_200600_302600_NS6detail15normal_iteratorINS9_10device_ptrIjEEEESE_jNS9_4plusIvEEjEEDaPvRmT3_T4_T5_mT6_P12ihipStream_tbENKUlT_T0_E_clISt17integral_constantIbLb1EESU_EEDaSP_SQ_EUlSP_E_NS1_11comp_targetILNS1_3genE8ELNS1_11target_archE1030ELNS1_3gpuE2ELNS1_3repE0EEENS1_30default_config_static_selectorELNS0_4arch9wavefront6targetE1EEEvT1_, .Lfunc_end4672-_ZN7rocprim17ROCPRIM_400000_NS6detail17trampoline_kernelINS0_14default_configENS1_20scan_config_selectorIjEEZZNS1_9scan_implILNS1_25lookback_scan_determinismE0ELb1ELb1ES3_N6thrust23THRUST_200600_302600_NS6detail15normal_iteratorINS9_10device_ptrIjEEEESE_jNS9_4plusIvEEjEEDaPvRmT3_T4_T5_mT6_P12ihipStream_tbENKUlT_T0_E_clISt17integral_constantIbLb1EESU_EEDaSP_SQ_EUlSP_E_NS1_11comp_targetILNS1_3genE8ELNS1_11target_archE1030ELNS1_3gpuE2ELNS1_3repE0EEENS1_30default_config_static_selectorELNS0_4arch9wavefront6targetE1EEEvT1_
                                        ; -- End function
	.section	.AMDGPU.csdata,"",@progbits
; Kernel info:
; codeLenInByte = 0
; NumSgprs: 4
; NumVgprs: 0
; NumAgprs: 0
; TotalNumVgprs: 0
; ScratchSize: 0
; MemoryBound: 0
; FloatMode: 240
; IeeeMode: 1
; LDSByteSize: 0 bytes/workgroup (compile time only)
; SGPRBlocks: 0
; VGPRBlocks: 0
; NumSGPRsForWavesPerEU: 4
; NumVGPRsForWavesPerEU: 1
; AccumOffset: 4
; Occupancy: 8
; WaveLimiterHint : 0
; COMPUTE_PGM_RSRC2:SCRATCH_EN: 0
; COMPUTE_PGM_RSRC2:USER_SGPR: 6
; COMPUTE_PGM_RSRC2:TRAP_HANDLER: 0
; COMPUTE_PGM_RSRC2:TGID_X_EN: 1
; COMPUTE_PGM_RSRC2:TGID_Y_EN: 0
; COMPUTE_PGM_RSRC2:TGID_Z_EN: 0
; COMPUTE_PGM_RSRC2:TIDIG_COMP_CNT: 0
; COMPUTE_PGM_RSRC3_GFX90A:ACCUM_OFFSET: 0
; COMPUTE_PGM_RSRC3_GFX90A:TG_SPLIT: 0
	.section	.text._ZN7rocprim17ROCPRIM_400000_NS6detail17trampoline_kernelINS0_14default_configENS1_20scan_config_selectorIjEEZZNS1_9scan_implILNS1_25lookback_scan_determinismE0ELb1ELb1ES3_N6thrust23THRUST_200600_302600_NS6detail15normal_iteratorINS9_10device_ptrIjEEEESE_jNS9_4plusIvEEjEEDaPvRmT3_T4_T5_mT6_P12ihipStream_tbENKUlT_T0_E_clISt17integral_constantIbLb1EESU_EEDaSP_SQ_EUlSP_E0_NS1_11comp_targetILNS1_3genE0ELNS1_11target_archE4294967295ELNS1_3gpuE0ELNS1_3repE0EEENS1_30default_config_static_selectorELNS0_4arch9wavefront6targetE1EEEvT1_,"axG",@progbits,_ZN7rocprim17ROCPRIM_400000_NS6detail17trampoline_kernelINS0_14default_configENS1_20scan_config_selectorIjEEZZNS1_9scan_implILNS1_25lookback_scan_determinismE0ELb1ELb1ES3_N6thrust23THRUST_200600_302600_NS6detail15normal_iteratorINS9_10device_ptrIjEEEESE_jNS9_4plusIvEEjEEDaPvRmT3_T4_T5_mT6_P12ihipStream_tbENKUlT_T0_E_clISt17integral_constantIbLb1EESU_EEDaSP_SQ_EUlSP_E0_NS1_11comp_targetILNS1_3genE0ELNS1_11target_archE4294967295ELNS1_3gpuE0ELNS1_3repE0EEENS1_30default_config_static_selectorELNS0_4arch9wavefront6targetE1EEEvT1_,comdat
	.protected	_ZN7rocprim17ROCPRIM_400000_NS6detail17trampoline_kernelINS0_14default_configENS1_20scan_config_selectorIjEEZZNS1_9scan_implILNS1_25lookback_scan_determinismE0ELb1ELb1ES3_N6thrust23THRUST_200600_302600_NS6detail15normal_iteratorINS9_10device_ptrIjEEEESE_jNS9_4plusIvEEjEEDaPvRmT3_T4_T5_mT6_P12ihipStream_tbENKUlT_T0_E_clISt17integral_constantIbLb1EESU_EEDaSP_SQ_EUlSP_E0_NS1_11comp_targetILNS1_3genE0ELNS1_11target_archE4294967295ELNS1_3gpuE0ELNS1_3repE0EEENS1_30default_config_static_selectorELNS0_4arch9wavefront6targetE1EEEvT1_ ; -- Begin function _ZN7rocprim17ROCPRIM_400000_NS6detail17trampoline_kernelINS0_14default_configENS1_20scan_config_selectorIjEEZZNS1_9scan_implILNS1_25lookback_scan_determinismE0ELb1ELb1ES3_N6thrust23THRUST_200600_302600_NS6detail15normal_iteratorINS9_10device_ptrIjEEEESE_jNS9_4plusIvEEjEEDaPvRmT3_T4_T5_mT6_P12ihipStream_tbENKUlT_T0_E_clISt17integral_constantIbLb1EESU_EEDaSP_SQ_EUlSP_E0_NS1_11comp_targetILNS1_3genE0ELNS1_11target_archE4294967295ELNS1_3gpuE0ELNS1_3repE0EEENS1_30default_config_static_selectorELNS0_4arch9wavefront6targetE1EEEvT1_
	.globl	_ZN7rocprim17ROCPRIM_400000_NS6detail17trampoline_kernelINS0_14default_configENS1_20scan_config_selectorIjEEZZNS1_9scan_implILNS1_25lookback_scan_determinismE0ELb1ELb1ES3_N6thrust23THRUST_200600_302600_NS6detail15normal_iteratorINS9_10device_ptrIjEEEESE_jNS9_4plusIvEEjEEDaPvRmT3_T4_T5_mT6_P12ihipStream_tbENKUlT_T0_E_clISt17integral_constantIbLb1EESU_EEDaSP_SQ_EUlSP_E0_NS1_11comp_targetILNS1_3genE0ELNS1_11target_archE4294967295ELNS1_3gpuE0ELNS1_3repE0EEENS1_30default_config_static_selectorELNS0_4arch9wavefront6targetE1EEEvT1_
	.p2align	8
	.type	_ZN7rocprim17ROCPRIM_400000_NS6detail17trampoline_kernelINS0_14default_configENS1_20scan_config_selectorIjEEZZNS1_9scan_implILNS1_25lookback_scan_determinismE0ELb1ELb1ES3_N6thrust23THRUST_200600_302600_NS6detail15normal_iteratorINS9_10device_ptrIjEEEESE_jNS9_4plusIvEEjEEDaPvRmT3_T4_T5_mT6_P12ihipStream_tbENKUlT_T0_E_clISt17integral_constantIbLb1EESU_EEDaSP_SQ_EUlSP_E0_NS1_11comp_targetILNS1_3genE0ELNS1_11target_archE4294967295ELNS1_3gpuE0ELNS1_3repE0EEENS1_30default_config_static_selectorELNS0_4arch9wavefront6targetE1EEEvT1_,@function
_ZN7rocprim17ROCPRIM_400000_NS6detail17trampoline_kernelINS0_14default_configENS1_20scan_config_selectorIjEEZZNS1_9scan_implILNS1_25lookback_scan_determinismE0ELb1ELb1ES3_N6thrust23THRUST_200600_302600_NS6detail15normal_iteratorINS9_10device_ptrIjEEEESE_jNS9_4plusIvEEjEEDaPvRmT3_T4_T5_mT6_P12ihipStream_tbENKUlT_T0_E_clISt17integral_constantIbLb1EESU_EEDaSP_SQ_EUlSP_E0_NS1_11comp_targetILNS1_3genE0ELNS1_11target_archE4294967295ELNS1_3gpuE0ELNS1_3repE0EEENS1_30default_config_static_selectorELNS0_4arch9wavefront6targetE1EEEvT1_: ; @_ZN7rocprim17ROCPRIM_400000_NS6detail17trampoline_kernelINS0_14default_configENS1_20scan_config_selectorIjEEZZNS1_9scan_implILNS1_25lookback_scan_determinismE0ELb1ELb1ES3_N6thrust23THRUST_200600_302600_NS6detail15normal_iteratorINS9_10device_ptrIjEEEESE_jNS9_4plusIvEEjEEDaPvRmT3_T4_T5_mT6_P12ihipStream_tbENKUlT_T0_E_clISt17integral_constantIbLb1EESU_EEDaSP_SQ_EUlSP_E0_NS1_11comp_targetILNS1_3genE0ELNS1_11target_archE4294967295ELNS1_3gpuE0ELNS1_3repE0EEENS1_30default_config_static_selectorELNS0_4arch9wavefront6targetE1EEEvT1_
; %bb.0:
	.section	.rodata,"a",@progbits
	.p2align	6, 0x0
	.amdhsa_kernel _ZN7rocprim17ROCPRIM_400000_NS6detail17trampoline_kernelINS0_14default_configENS1_20scan_config_selectorIjEEZZNS1_9scan_implILNS1_25lookback_scan_determinismE0ELb1ELb1ES3_N6thrust23THRUST_200600_302600_NS6detail15normal_iteratorINS9_10device_ptrIjEEEESE_jNS9_4plusIvEEjEEDaPvRmT3_T4_T5_mT6_P12ihipStream_tbENKUlT_T0_E_clISt17integral_constantIbLb1EESU_EEDaSP_SQ_EUlSP_E0_NS1_11comp_targetILNS1_3genE0ELNS1_11target_archE4294967295ELNS1_3gpuE0ELNS1_3repE0EEENS1_30default_config_static_selectorELNS0_4arch9wavefront6targetE1EEEvT1_
		.amdhsa_group_segment_fixed_size 0
		.amdhsa_private_segment_fixed_size 0
		.amdhsa_kernarg_size 32
		.amdhsa_user_sgpr_count 6
		.amdhsa_user_sgpr_private_segment_buffer 1
		.amdhsa_user_sgpr_dispatch_ptr 0
		.amdhsa_user_sgpr_queue_ptr 0
		.amdhsa_user_sgpr_kernarg_segment_ptr 1
		.amdhsa_user_sgpr_dispatch_id 0
		.amdhsa_user_sgpr_flat_scratch_init 0
		.amdhsa_user_sgpr_kernarg_preload_length 0
		.amdhsa_user_sgpr_kernarg_preload_offset 0
		.amdhsa_user_sgpr_private_segment_size 0
		.amdhsa_uses_dynamic_stack 0
		.amdhsa_system_sgpr_private_segment_wavefront_offset 0
		.amdhsa_system_sgpr_workgroup_id_x 1
		.amdhsa_system_sgpr_workgroup_id_y 0
		.amdhsa_system_sgpr_workgroup_id_z 0
		.amdhsa_system_sgpr_workgroup_info 0
		.amdhsa_system_vgpr_workitem_id 0
		.amdhsa_next_free_vgpr 1
		.amdhsa_next_free_sgpr 0
		.amdhsa_accum_offset 4
		.amdhsa_reserve_vcc 0
		.amdhsa_reserve_flat_scratch 0
		.amdhsa_float_round_mode_32 0
		.amdhsa_float_round_mode_16_64 0
		.amdhsa_float_denorm_mode_32 3
		.amdhsa_float_denorm_mode_16_64 3
		.amdhsa_dx10_clamp 1
		.amdhsa_ieee_mode 1
		.amdhsa_fp16_overflow 0
		.amdhsa_tg_split 0
		.amdhsa_exception_fp_ieee_invalid_op 0
		.amdhsa_exception_fp_denorm_src 0
		.amdhsa_exception_fp_ieee_div_zero 0
		.amdhsa_exception_fp_ieee_overflow 0
		.amdhsa_exception_fp_ieee_underflow 0
		.amdhsa_exception_fp_ieee_inexact 0
		.amdhsa_exception_int_div_zero 0
	.end_amdhsa_kernel
	.section	.text._ZN7rocprim17ROCPRIM_400000_NS6detail17trampoline_kernelINS0_14default_configENS1_20scan_config_selectorIjEEZZNS1_9scan_implILNS1_25lookback_scan_determinismE0ELb1ELb1ES3_N6thrust23THRUST_200600_302600_NS6detail15normal_iteratorINS9_10device_ptrIjEEEESE_jNS9_4plusIvEEjEEDaPvRmT3_T4_T5_mT6_P12ihipStream_tbENKUlT_T0_E_clISt17integral_constantIbLb1EESU_EEDaSP_SQ_EUlSP_E0_NS1_11comp_targetILNS1_3genE0ELNS1_11target_archE4294967295ELNS1_3gpuE0ELNS1_3repE0EEENS1_30default_config_static_selectorELNS0_4arch9wavefront6targetE1EEEvT1_,"axG",@progbits,_ZN7rocprim17ROCPRIM_400000_NS6detail17trampoline_kernelINS0_14default_configENS1_20scan_config_selectorIjEEZZNS1_9scan_implILNS1_25lookback_scan_determinismE0ELb1ELb1ES3_N6thrust23THRUST_200600_302600_NS6detail15normal_iteratorINS9_10device_ptrIjEEEESE_jNS9_4plusIvEEjEEDaPvRmT3_T4_T5_mT6_P12ihipStream_tbENKUlT_T0_E_clISt17integral_constantIbLb1EESU_EEDaSP_SQ_EUlSP_E0_NS1_11comp_targetILNS1_3genE0ELNS1_11target_archE4294967295ELNS1_3gpuE0ELNS1_3repE0EEENS1_30default_config_static_selectorELNS0_4arch9wavefront6targetE1EEEvT1_,comdat
.Lfunc_end4673:
	.size	_ZN7rocprim17ROCPRIM_400000_NS6detail17trampoline_kernelINS0_14default_configENS1_20scan_config_selectorIjEEZZNS1_9scan_implILNS1_25lookback_scan_determinismE0ELb1ELb1ES3_N6thrust23THRUST_200600_302600_NS6detail15normal_iteratorINS9_10device_ptrIjEEEESE_jNS9_4plusIvEEjEEDaPvRmT3_T4_T5_mT6_P12ihipStream_tbENKUlT_T0_E_clISt17integral_constantIbLb1EESU_EEDaSP_SQ_EUlSP_E0_NS1_11comp_targetILNS1_3genE0ELNS1_11target_archE4294967295ELNS1_3gpuE0ELNS1_3repE0EEENS1_30default_config_static_selectorELNS0_4arch9wavefront6targetE1EEEvT1_, .Lfunc_end4673-_ZN7rocprim17ROCPRIM_400000_NS6detail17trampoline_kernelINS0_14default_configENS1_20scan_config_selectorIjEEZZNS1_9scan_implILNS1_25lookback_scan_determinismE0ELb1ELb1ES3_N6thrust23THRUST_200600_302600_NS6detail15normal_iteratorINS9_10device_ptrIjEEEESE_jNS9_4plusIvEEjEEDaPvRmT3_T4_T5_mT6_P12ihipStream_tbENKUlT_T0_E_clISt17integral_constantIbLb1EESU_EEDaSP_SQ_EUlSP_E0_NS1_11comp_targetILNS1_3genE0ELNS1_11target_archE4294967295ELNS1_3gpuE0ELNS1_3repE0EEENS1_30default_config_static_selectorELNS0_4arch9wavefront6targetE1EEEvT1_
                                        ; -- End function
	.section	.AMDGPU.csdata,"",@progbits
; Kernel info:
; codeLenInByte = 0
; NumSgprs: 4
; NumVgprs: 0
; NumAgprs: 0
; TotalNumVgprs: 0
; ScratchSize: 0
; MemoryBound: 0
; FloatMode: 240
; IeeeMode: 1
; LDSByteSize: 0 bytes/workgroup (compile time only)
; SGPRBlocks: 0
; VGPRBlocks: 0
; NumSGPRsForWavesPerEU: 4
; NumVGPRsForWavesPerEU: 1
; AccumOffset: 4
; Occupancy: 8
; WaveLimiterHint : 0
; COMPUTE_PGM_RSRC2:SCRATCH_EN: 0
; COMPUTE_PGM_RSRC2:USER_SGPR: 6
; COMPUTE_PGM_RSRC2:TRAP_HANDLER: 0
; COMPUTE_PGM_RSRC2:TGID_X_EN: 1
; COMPUTE_PGM_RSRC2:TGID_Y_EN: 0
; COMPUTE_PGM_RSRC2:TGID_Z_EN: 0
; COMPUTE_PGM_RSRC2:TIDIG_COMP_CNT: 0
; COMPUTE_PGM_RSRC3_GFX90A:ACCUM_OFFSET: 0
; COMPUTE_PGM_RSRC3_GFX90A:TG_SPLIT: 0
	.section	.text._ZN7rocprim17ROCPRIM_400000_NS6detail17trampoline_kernelINS0_14default_configENS1_20scan_config_selectorIjEEZZNS1_9scan_implILNS1_25lookback_scan_determinismE0ELb1ELb1ES3_N6thrust23THRUST_200600_302600_NS6detail15normal_iteratorINS9_10device_ptrIjEEEESE_jNS9_4plusIvEEjEEDaPvRmT3_T4_T5_mT6_P12ihipStream_tbENKUlT_T0_E_clISt17integral_constantIbLb1EESU_EEDaSP_SQ_EUlSP_E0_NS1_11comp_targetILNS1_3genE5ELNS1_11target_archE942ELNS1_3gpuE9ELNS1_3repE0EEENS1_30default_config_static_selectorELNS0_4arch9wavefront6targetE1EEEvT1_,"axG",@progbits,_ZN7rocprim17ROCPRIM_400000_NS6detail17trampoline_kernelINS0_14default_configENS1_20scan_config_selectorIjEEZZNS1_9scan_implILNS1_25lookback_scan_determinismE0ELb1ELb1ES3_N6thrust23THRUST_200600_302600_NS6detail15normal_iteratorINS9_10device_ptrIjEEEESE_jNS9_4plusIvEEjEEDaPvRmT3_T4_T5_mT6_P12ihipStream_tbENKUlT_T0_E_clISt17integral_constantIbLb1EESU_EEDaSP_SQ_EUlSP_E0_NS1_11comp_targetILNS1_3genE5ELNS1_11target_archE942ELNS1_3gpuE9ELNS1_3repE0EEENS1_30default_config_static_selectorELNS0_4arch9wavefront6targetE1EEEvT1_,comdat
	.protected	_ZN7rocprim17ROCPRIM_400000_NS6detail17trampoline_kernelINS0_14default_configENS1_20scan_config_selectorIjEEZZNS1_9scan_implILNS1_25lookback_scan_determinismE0ELb1ELb1ES3_N6thrust23THRUST_200600_302600_NS6detail15normal_iteratorINS9_10device_ptrIjEEEESE_jNS9_4plusIvEEjEEDaPvRmT3_T4_T5_mT6_P12ihipStream_tbENKUlT_T0_E_clISt17integral_constantIbLb1EESU_EEDaSP_SQ_EUlSP_E0_NS1_11comp_targetILNS1_3genE5ELNS1_11target_archE942ELNS1_3gpuE9ELNS1_3repE0EEENS1_30default_config_static_selectorELNS0_4arch9wavefront6targetE1EEEvT1_ ; -- Begin function _ZN7rocprim17ROCPRIM_400000_NS6detail17trampoline_kernelINS0_14default_configENS1_20scan_config_selectorIjEEZZNS1_9scan_implILNS1_25lookback_scan_determinismE0ELb1ELb1ES3_N6thrust23THRUST_200600_302600_NS6detail15normal_iteratorINS9_10device_ptrIjEEEESE_jNS9_4plusIvEEjEEDaPvRmT3_T4_T5_mT6_P12ihipStream_tbENKUlT_T0_E_clISt17integral_constantIbLb1EESU_EEDaSP_SQ_EUlSP_E0_NS1_11comp_targetILNS1_3genE5ELNS1_11target_archE942ELNS1_3gpuE9ELNS1_3repE0EEENS1_30default_config_static_selectorELNS0_4arch9wavefront6targetE1EEEvT1_
	.globl	_ZN7rocprim17ROCPRIM_400000_NS6detail17trampoline_kernelINS0_14default_configENS1_20scan_config_selectorIjEEZZNS1_9scan_implILNS1_25lookback_scan_determinismE0ELb1ELb1ES3_N6thrust23THRUST_200600_302600_NS6detail15normal_iteratorINS9_10device_ptrIjEEEESE_jNS9_4plusIvEEjEEDaPvRmT3_T4_T5_mT6_P12ihipStream_tbENKUlT_T0_E_clISt17integral_constantIbLb1EESU_EEDaSP_SQ_EUlSP_E0_NS1_11comp_targetILNS1_3genE5ELNS1_11target_archE942ELNS1_3gpuE9ELNS1_3repE0EEENS1_30default_config_static_selectorELNS0_4arch9wavefront6targetE1EEEvT1_
	.p2align	8
	.type	_ZN7rocprim17ROCPRIM_400000_NS6detail17trampoline_kernelINS0_14default_configENS1_20scan_config_selectorIjEEZZNS1_9scan_implILNS1_25lookback_scan_determinismE0ELb1ELb1ES3_N6thrust23THRUST_200600_302600_NS6detail15normal_iteratorINS9_10device_ptrIjEEEESE_jNS9_4plusIvEEjEEDaPvRmT3_T4_T5_mT6_P12ihipStream_tbENKUlT_T0_E_clISt17integral_constantIbLb1EESU_EEDaSP_SQ_EUlSP_E0_NS1_11comp_targetILNS1_3genE5ELNS1_11target_archE942ELNS1_3gpuE9ELNS1_3repE0EEENS1_30default_config_static_selectorELNS0_4arch9wavefront6targetE1EEEvT1_,@function
_ZN7rocprim17ROCPRIM_400000_NS6detail17trampoline_kernelINS0_14default_configENS1_20scan_config_selectorIjEEZZNS1_9scan_implILNS1_25lookback_scan_determinismE0ELb1ELb1ES3_N6thrust23THRUST_200600_302600_NS6detail15normal_iteratorINS9_10device_ptrIjEEEESE_jNS9_4plusIvEEjEEDaPvRmT3_T4_T5_mT6_P12ihipStream_tbENKUlT_T0_E_clISt17integral_constantIbLb1EESU_EEDaSP_SQ_EUlSP_E0_NS1_11comp_targetILNS1_3genE5ELNS1_11target_archE942ELNS1_3gpuE9ELNS1_3repE0EEENS1_30default_config_static_selectorELNS0_4arch9wavefront6targetE1EEEvT1_: ; @_ZN7rocprim17ROCPRIM_400000_NS6detail17trampoline_kernelINS0_14default_configENS1_20scan_config_selectorIjEEZZNS1_9scan_implILNS1_25lookback_scan_determinismE0ELb1ELb1ES3_N6thrust23THRUST_200600_302600_NS6detail15normal_iteratorINS9_10device_ptrIjEEEESE_jNS9_4plusIvEEjEEDaPvRmT3_T4_T5_mT6_P12ihipStream_tbENKUlT_T0_E_clISt17integral_constantIbLb1EESU_EEDaSP_SQ_EUlSP_E0_NS1_11comp_targetILNS1_3genE5ELNS1_11target_archE942ELNS1_3gpuE9ELNS1_3repE0EEENS1_30default_config_static_selectorELNS0_4arch9wavefront6targetE1EEEvT1_
; %bb.0:
	.section	.rodata,"a",@progbits
	.p2align	6, 0x0
	.amdhsa_kernel _ZN7rocprim17ROCPRIM_400000_NS6detail17trampoline_kernelINS0_14default_configENS1_20scan_config_selectorIjEEZZNS1_9scan_implILNS1_25lookback_scan_determinismE0ELb1ELb1ES3_N6thrust23THRUST_200600_302600_NS6detail15normal_iteratorINS9_10device_ptrIjEEEESE_jNS9_4plusIvEEjEEDaPvRmT3_T4_T5_mT6_P12ihipStream_tbENKUlT_T0_E_clISt17integral_constantIbLb1EESU_EEDaSP_SQ_EUlSP_E0_NS1_11comp_targetILNS1_3genE5ELNS1_11target_archE942ELNS1_3gpuE9ELNS1_3repE0EEENS1_30default_config_static_selectorELNS0_4arch9wavefront6targetE1EEEvT1_
		.amdhsa_group_segment_fixed_size 0
		.amdhsa_private_segment_fixed_size 0
		.amdhsa_kernarg_size 32
		.amdhsa_user_sgpr_count 6
		.amdhsa_user_sgpr_private_segment_buffer 1
		.amdhsa_user_sgpr_dispatch_ptr 0
		.amdhsa_user_sgpr_queue_ptr 0
		.amdhsa_user_sgpr_kernarg_segment_ptr 1
		.amdhsa_user_sgpr_dispatch_id 0
		.amdhsa_user_sgpr_flat_scratch_init 0
		.amdhsa_user_sgpr_kernarg_preload_length 0
		.amdhsa_user_sgpr_kernarg_preload_offset 0
		.amdhsa_user_sgpr_private_segment_size 0
		.amdhsa_uses_dynamic_stack 0
		.amdhsa_system_sgpr_private_segment_wavefront_offset 0
		.amdhsa_system_sgpr_workgroup_id_x 1
		.amdhsa_system_sgpr_workgroup_id_y 0
		.amdhsa_system_sgpr_workgroup_id_z 0
		.amdhsa_system_sgpr_workgroup_info 0
		.amdhsa_system_vgpr_workitem_id 0
		.amdhsa_next_free_vgpr 1
		.amdhsa_next_free_sgpr 0
		.amdhsa_accum_offset 4
		.amdhsa_reserve_vcc 0
		.amdhsa_reserve_flat_scratch 0
		.amdhsa_float_round_mode_32 0
		.amdhsa_float_round_mode_16_64 0
		.amdhsa_float_denorm_mode_32 3
		.amdhsa_float_denorm_mode_16_64 3
		.amdhsa_dx10_clamp 1
		.amdhsa_ieee_mode 1
		.amdhsa_fp16_overflow 0
		.amdhsa_tg_split 0
		.amdhsa_exception_fp_ieee_invalid_op 0
		.amdhsa_exception_fp_denorm_src 0
		.amdhsa_exception_fp_ieee_div_zero 0
		.amdhsa_exception_fp_ieee_overflow 0
		.amdhsa_exception_fp_ieee_underflow 0
		.amdhsa_exception_fp_ieee_inexact 0
		.amdhsa_exception_int_div_zero 0
	.end_amdhsa_kernel
	.section	.text._ZN7rocprim17ROCPRIM_400000_NS6detail17trampoline_kernelINS0_14default_configENS1_20scan_config_selectorIjEEZZNS1_9scan_implILNS1_25lookback_scan_determinismE0ELb1ELb1ES3_N6thrust23THRUST_200600_302600_NS6detail15normal_iteratorINS9_10device_ptrIjEEEESE_jNS9_4plusIvEEjEEDaPvRmT3_T4_T5_mT6_P12ihipStream_tbENKUlT_T0_E_clISt17integral_constantIbLb1EESU_EEDaSP_SQ_EUlSP_E0_NS1_11comp_targetILNS1_3genE5ELNS1_11target_archE942ELNS1_3gpuE9ELNS1_3repE0EEENS1_30default_config_static_selectorELNS0_4arch9wavefront6targetE1EEEvT1_,"axG",@progbits,_ZN7rocprim17ROCPRIM_400000_NS6detail17trampoline_kernelINS0_14default_configENS1_20scan_config_selectorIjEEZZNS1_9scan_implILNS1_25lookback_scan_determinismE0ELb1ELb1ES3_N6thrust23THRUST_200600_302600_NS6detail15normal_iteratorINS9_10device_ptrIjEEEESE_jNS9_4plusIvEEjEEDaPvRmT3_T4_T5_mT6_P12ihipStream_tbENKUlT_T0_E_clISt17integral_constantIbLb1EESU_EEDaSP_SQ_EUlSP_E0_NS1_11comp_targetILNS1_3genE5ELNS1_11target_archE942ELNS1_3gpuE9ELNS1_3repE0EEENS1_30default_config_static_selectorELNS0_4arch9wavefront6targetE1EEEvT1_,comdat
.Lfunc_end4674:
	.size	_ZN7rocprim17ROCPRIM_400000_NS6detail17trampoline_kernelINS0_14default_configENS1_20scan_config_selectorIjEEZZNS1_9scan_implILNS1_25lookback_scan_determinismE0ELb1ELb1ES3_N6thrust23THRUST_200600_302600_NS6detail15normal_iteratorINS9_10device_ptrIjEEEESE_jNS9_4plusIvEEjEEDaPvRmT3_T4_T5_mT6_P12ihipStream_tbENKUlT_T0_E_clISt17integral_constantIbLb1EESU_EEDaSP_SQ_EUlSP_E0_NS1_11comp_targetILNS1_3genE5ELNS1_11target_archE942ELNS1_3gpuE9ELNS1_3repE0EEENS1_30default_config_static_selectorELNS0_4arch9wavefront6targetE1EEEvT1_, .Lfunc_end4674-_ZN7rocprim17ROCPRIM_400000_NS6detail17trampoline_kernelINS0_14default_configENS1_20scan_config_selectorIjEEZZNS1_9scan_implILNS1_25lookback_scan_determinismE0ELb1ELb1ES3_N6thrust23THRUST_200600_302600_NS6detail15normal_iteratorINS9_10device_ptrIjEEEESE_jNS9_4plusIvEEjEEDaPvRmT3_T4_T5_mT6_P12ihipStream_tbENKUlT_T0_E_clISt17integral_constantIbLb1EESU_EEDaSP_SQ_EUlSP_E0_NS1_11comp_targetILNS1_3genE5ELNS1_11target_archE942ELNS1_3gpuE9ELNS1_3repE0EEENS1_30default_config_static_selectorELNS0_4arch9wavefront6targetE1EEEvT1_
                                        ; -- End function
	.section	.AMDGPU.csdata,"",@progbits
; Kernel info:
; codeLenInByte = 0
; NumSgprs: 4
; NumVgprs: 0
; NumAgprs: 0
; TotalNumVgprs: 0
; ScratchSize: 0
; MemoryBound: 0
; FloatMode: 240
; IeeeMode: 1
; LDSByteSize: 0 bytes/workgroup (compile time only)
; SGPRBlocks: 0
; VGPRBlocks: 0
; NumSGPRsForWavesPerEU: 4
; NumVGPRsForWavesPerEU: 1
; AccumOffset: 4
; Occupancy: 8
; WaveLimiterHint : 0
; COMPUTE_PGM_RSRC2:SCRATCH_EN: 0
; COMPUTE_PGM_RSRC2:USER_SGPR: 6
; COMPUTE_PGM_RSRC2:TRAP_HANDLER: 0
; COMPUTE_PGM_RSRC2:TGID_X_EN: 1
; COMPUTE_PGM_RSRC2:TGID_Y_EN: 0
; COMPUTE_PGM_RSRC2:TGID_Z_EN: 0
; COMPUTE_PGM_RSRC2:TIDIG_COMP_CNT: 0
; COMPUTE_PGM_RSRC3_GFX90A:ACCUM_OFFSET: 0
; COMPUTE_PGM_RSRC3_GFX90A:TG_SPLIT: 0
	.section	.text._ZN7rocprim17ROCPRIM_400000_NS6detail17trampoline_kernelINS0_14default_configENS1_20scan_config_selectorIjEEZZNS1_9scan_implILNS1_25lookback_scan_determinismE0ELb1ELb1ES3_N6thrust23THRUST_200600_302600_NS6detail15normal_iteratorINS9_10device_ptrIjEEEESE_jNS9_4plusIvEEjEEDaPvRmT3_T4_T5_mT6_P12ihipStream_tbENKUlT_T0_E_clISt17integral_constantIbLb1EESU_EEDaSP_SQ_EUlSP_E0_NS1_11comp_targetILNS1_3genE4ELNS1_11target_archE910ELNS1_3gpuE8ELNS1_3repE0EEENS1_30default_config_static_selectorELNS0_4arch9wavefront6targetE1EEEvT1_,"axG",@progbits,_ZN7rocprim17ROCPRIM_400000_NS6detail17trampoline_kernelINS0_14default_configENS1_20scan_config_selectorIjEEZZNS1_9scan_implILNS1_25lookback_scan_determinismE0ELb1ELb1ES3_N6thrust23THRUST_200600_302600_NS6detail15normal_iteratorINS9_10device_ptrIjEEEESE_jNS9_4plusIvEEjEEDaPvRmT3_T4_T5_mT6_P12ihipStream_tbENKUlT_T0_E_clISt17integral_constantIbLb1EESU_EEDaSP_SQ_EUlSP_E0_NS1_11comp_targetILNS1_3genE4ELNS1_11target_archE910ELNS1_3gpuE8ELNS1_3repE0EEENS1_30default_config_static_selectorELNS0_4arch9wavefront6targetE1EEEvT1_,comdat
	.protected	_ZN7rocprim17ROCPRIM_400000_NS6detail17trampoline_kernelINS0_14default_configENS1_20scan_config_selectorIjEEZZNS1_9scan_implILNS1_25lookback_scan_determinismE0ELb1ELb1ES3_N6thrust23THRUST_200600_302600_NS6detail15normal_iteratorINS9_10device_ptrIjEEEESE_jNS9_4plusIvEEjEEDaPvRmT3_T4_T5_mT6_P12ihipStream_tbENKUlT_T0_E_clISt17integral_constantIbLb1EESU_EEDaSP_SQ_EUlSP_E0_NS1_11comp_targetILNS1_3genE4ELNS1_11target_archE910ELNS1_3gpuE8ELNS1_3repE0EEENS1_30default_config_static_selectorELNS0_4arch9wavefront6targetE1EEEvT1_ ; -- Begin function _ZN7rocprim17ROCPRIM_400000_NS6detail17trampoline_kernelINS0_14default_configENS1_20scan_config_selectorIjEEZZNS1_9scan_implILNS1_25lookback_scan_determinismE0ELb1ELb1ES3_N6thrust23THRUST_200600_302600_NS6detail15normal_iteratorINS9_10device_ptrIjEEEESE_jNS9_4plusIvEEjEEDaPvRmT3_T4_T5_mT6_P12ihipStream_tbENKUlT_T0_E_clISt17integral_constantIbLb1EESU_EEDaSP_SQ_EUlSP_E0_NS1_11comp_targetILNS1_3genE4ELNS1_11target_archE910ELNS1_3gpuE8ELNS1_3repE0EEENS1_30default_config_static_selectorELNS0_4arch9wavefront6targetE1EEEvT1_
	.globl	_ZN7rocprim17ROCPRIM_400000_NS6detail17trampoline_kernelINS0_14default_configENS1_20scan_config_selectorIjEEZZNS1_9scan_implILNS1_25lookback_scan_determinismE0ELb1ELb1ES3_N6thrust23THRUST_200600_302600_NS6detail15normal_iteratorINS9_10device_ptrIjEEEESE_jNS9_4plusIvEEjEEDaPvRmT3_T4_T5_mT6_P12ihipStream_tbENKUlT_T0_E_clISt17integral_constantIbLb1EESU_EEDaSP_SQ_EUlSP_E0_NS1_11comp_targetILNS1_3genE4ELNS1_11target_archE910ELNS1_3gpuE8ELNS1_3repE0EEENS1_30default_config_static_selectorELNS0_4arch9wavefront6targetE1EEEvT1_
	.p2align	8
	.type	_ZN7rocprim17ROCPRIM_400000_NS6detail17trampoline_kernelINS0_14default_configENS1_20scan_config_selectorIjEEZZNS1_9scan_implILNS1_25lookback_scan_determinismE0ELb1ELb1ES3_N6thrust23THRUST_200600_302600_NS6detail15normal_iteratorINS9_10device_ptrIjEEEESE_jNS9_4plusIvEEjEEDaPvRmT3_T4_T5_mT6_P12ihipStream_tbENKUlT_T0_E_clISt17integral_constantIbLb1EESU_EEDaSP_SQ_EUlSP_E0_NS1_11comp_targetILNS1_3genE4ELNS1_11target_archE910ELNS1_3gpuE8ELNS1_3repE0EEENS1_30default_config_static_selectorELNS0_4arch9wavefront6targetE1EEEvT1_,@function
_ZN7rocprim17ROCPRIM_400000_NS6detail17trampoline_kernelINS0_14default_configENS1_20scan_config_selectorIjEEZZNS1_9scan_implILNS1_25lookback_scan_determinismE0ELb1ELb1ES3_N6thrust23THRUST_200600_302600_NS6detail15normal_iteratorINS9_10device_ptrIjEEEESE_jNS9_4plusIvEEjEEDaPvRmT3_T4_T5_mT6_P12ihipStream_tbENKUlT_T0_E_clISt17integral_constantIbLb1EESU_EEDaSP_SQ_EUlSP_E0_NS1_11comp_targetILNS1_3genE4ELNS1_11target_archE910ELNS1_3gpuE8ELNS1_3repE0EEENS1_30default_config_static_selectorELNS0_4arch9wavefront6targetE1EEEvT1_: ; @_ZN7rocprim17ROCPRIM_400000_NS6detail17trampoline_kernelINS0_14default_configENS1_20scan_config_selectorIjEEZZNS1_9scan_implILNS1_25lookback_scan_determinismE0ELb1ELb1ES3_N6thrust23THRUST_200600_302600_NS6detail15normal_iteratorINS9_10device_ptrIjEEEESE_jNS9_4plusIvEEjEEDaPvRmT3_T4_T5_mT6_P12ihipStream_tbENKUlT_T0_E_clISt17integral_constantIbLb1EESU_EEDaSP_SQ_EUlSP_E0_NS1_11comp_targetILNS1_3genE4ELNS1_11target_archE910ELNS1_3gpuE8ELNS1_3repE0EEENS1_30default_config_static_selectorELNS0_4arch9wavefront6targetE1EEEvT1_
; %bb.0:
	s_load_dwordx4 s[20:23], s[4:5], 0x0
	v_lshlrev_b32_e32 v14, 2, v0
	s_waitcnt lgkmcnt(0)
	s_load_dword s23, s[20:21], 0x0
	v_cmp_gt_u32_e32 vcc, s22, v0
	s_waitcnt lgkmcnt(0)
	v_mov_b32_e32 v1, s23
	s_and_saveexec_b64 s[0:1], vcc
	s_cbranch_execz .LBB4675_2
; %bb.1:
	global_load_dword v1, v14, s[20:21]
.LBB4675_2:
	s_or_b64 exec, exec, s[0:1]
	v_or_b32_e32 v2, 0x80, v0
	v_cmp_gt_u32_e64 s[0:1], s22, v2
	v_mov_b32_e32 v2, s23
	s_and_saveexec_b64 s[2:3], s[0:1]
	s_cbranch_execz .LBB4675_4
; %bb.3:
	global_load_dword v2, v14, s[20:21] offset:512
.LBB4675_4:
	s_or_b64 exec, exec, s[2:3]
	v_or_b32_e32 v3, 0x100, v0
	v_cmp_gt_u32_e64 s[2:3], s22, v3
	v_mov_b32_e32 v3, s23
	s_and_saveexec_b64 s[6:7], s[2:3]
	s_cbranch_execz .LBB4675_6
; %bb.5:
	global_load_dword v3, v14, s[20:21] offset:1024
.LBB4675_6:
	;; [unrolled: 9-line block ×7, first 2 shown]
	s_or_b64 exec, exec, s[14:15]
	v_or_b32_e32 v10, 0x400, v0
	v_cmp_gt_u32_e64 s[14:15], s22, v10
	v_mov_b32_e32 v9, s23
	s_and_saveexec_b64 s[16:17], s[14:15]
	s_cbranch_execz .LBB4675_18
; %bb.17:
	v_lshlrev_b32_e32 v9, 2, v10
	global_load_dword v9, v9, s[20:21]
.LBB4675_18:
	s_or_b64 exec, exec, s[16:17]
	s_load_dword s24, s[4:5], 0x10
	v_or_b32_e32 v11, 0x480, v0
	v_cmp_gt_u32_e64 s[16:17], s22, v11
	v_mov_b32_e32 v10, s23
	s_and_saveexec_b64 s[22:23], s[16:17]
	s_cbranch_execz .LBB4675_20
; %bb.19:
	v_lshlrev_b32_e32 v10, 2, v11
	global_load_dword v10, v10, s[20:21]
.LBB4675_20:
	s_or_b64 exec, exec, s[22:23]
	s_waitcnt vmcnt(0)
	ds_write2st64_b32 v14, v1, v2 offset1:2
	ds_write2st64_b32 v14, v3, v4 offset0:4 offset1:6
	ds_write2st64_b32 v14, v5, v6 offset0:8 offset1:10
	;; [unrolled: 1-line block ×4, first 2 shown]
	v_mad_u32_u24 v1, v0, 36, v14
	s_waitcnt lgkmcnt(0)
	s_barrier
	ds_read2_b64 v[6:9], v1 offset1:1
	ds_read2_b64 v[2:5], v1 offset0:2 offset1:3
	ds_read_b64 v[10:11], v1 offset:32
	s_load_dwordx2 s[20:21], s[4:5], 0x18
	v_cmp_gt_u32_e64 s[4:5], 64, v0
	s_waitcnt lgkmcnt(0)
	v_add_u32_e32 v1, v7, v6
	v_add3_u32 v1, v1, v8, v9
	v_add3_u32 v1, v1, v2, v3
	;; [unrolled: 1-line block ×4, first 2 shown]
	v_lshrrev_b32_e32 v11, 3, v0
	v_and_b32_e32 v11, 12, v11
	v_add_u32_e32 v11, v14, v11
	s_barrier
	ds_write_b32 v11, v1
	s_waitcnt lgkmcnt(0)
	s_barrier
	s_and_saveexec_b64 s[22:23], s[4:5]
	s_cbranch_execz .LBB4675_22
; %bb.21:
	v_lshlrev_b32_e32 v11, 1, v0
	v_lshrrev_b32_e32 v12, 4, v0
	v_add_lshl_u32 v11, v12, v11, 2
	ds_read2_b32 v[12:13], v11 offset1:1
	v_mbcnt_lo_u32_b32 v15, -1, 0
	v_mbcnt_hi_u32_b32 v15, -1, v15
	v_and_b32_e32 v16, 15, v15
	v_cmp_ne_u32_e64 s[4:5], 0, v16
	s_waitcnt lgkmcnt(0)
	v_add_u32_e32 v13, v13, v12
	; wave barrier
	s_nop 1
	v_mov_b32_dpp v17, v13 row_shr:1 row_mask:0xf bank_mask:0xf
	v_cndmask_b32_e64 v17, 0, v17, s[4:5]
	v_add_u32_e32 v13, v17, v13
	v_cmp_lt_u32_e64 s[4:5], 1, v16
	s_nop 0
	v_mov_b32_dpp v17, v13 row_shr:2 row_mask:0xf bank_mask:0xf
	v_cndmask_b32_e64 v17, 0, v17, s[4:5]
	v_add_u32_e32 v13, v13, v17
	v_cmp_lt_u32_e64 s[4:5], 3, v16
	;; [unrolled: 5-line block ×3, first 2 shown]
	s_nop 0
	v_mov_b32_dpp v17, v13 row_shr:8 row_mask:0xf bank_mask:0xf
	v_cndmask_b32_e64 v16, 0, v17, s[4:5]
	v_add_u32_e32 v13, v13, v16
	v_bfe_i32 v17, v15, 4, 1
	v_cmp_lt_u32_e64 s[4:5], 31, v15
	v_mov_b32_dpp v16, v13 row_bcast:15 row_mask:0xf bank_mask:0xf
	v_and_b32_e32 v16, v17, v16
	v_add_u32_e32 v13, v13, v16
	v_and_b32_e32 v17, 64, v15
	s_nop 0
	v_mov_b32_dpp v16, v13 row_bcast:31 row_mask:0xf bank_mask:0xf
	v_cndmask_b32_e64 v16, 0, v16, s[4:5]
	v_add_u32_e32 v13, v13, v16
	v_add_u32_e32 v16, -1, v15
	v_cmp_lt_i32_e64 s[4:5], v16, v17
	v_cndmask_b32_e64 v15, v16, v15, s[4:5]
	v_lshlrev_b32_e32 v15, 2, v15
	ds_bpermute_b32 v13, v15, v13
	v_cmp_eq_u32_e64 s[4:5], 0, v0
	s_waitcnt lgkmcnt(0)
	v_add_u32_e32 v12, v13, v12
	v_cndmask_b32_e64 v1, v12, v1, s[4:5]
	ds_write_b32 v11, v1
	; wave barrier
	ds_read_b32 v12, v11 offset:4
	s_waitcnt lgkmcnt(0)
	v_add_u32_e32 v1, v12, v1
	ds_write_b32 v11, v1 offset:4
.LBB4675_22:
	s_or_b64 exec, exec, s[22:23]
	v_mul_u32_u24_e32 v1, 36, v0
	v_cmp_ne_u32_e64 s[4:5], 0, v0
	v_mov_b32_e32 v12, s24
	s_waitcnt lgkmcnt(0)
	s_barrier
	s_and_saveexec_b64 s[22:23], s[4:5]
	s_cbranch_execz .LBB4675_24
; %bb.23:
	v_add_u32_e32 v0, -1, v0
	v_lshrrev_b32_e32 v11, 5, v0
	v_add_lshl_u32 v0, v11, v0, 2
	ds_read_b32 v0, v0
	s_waitcnt lgkmcnt(0)
	v_add_u32_e32 v12, s24, v0
.LBB4675_24:
	s_or_b64 exec, exec, s[22:23]
	v_add_u32_e32 v13, v12, v6
	v_add_u32_e32 v6, v13, v7
	;; [unrolled: 1-line block ×10, first 2 shown]
	s_barrier
	ds_write2_b64 v0, v[12:13], v[6:7] offset1:1
	ds_write2_b64 v0, v[8:9], v[2:3] offset0:2 offset1:3
	ds_write_b64 v0, v[4:5] offset:32
	s_waitcnt lgkmcnt(0)
	s_barrier
	ds_read2st64_b32 v[8:9], v14 offset0:2 offset1:4
	ds_read2st64_b32 v[6:7], v14 offset0:6 offset1:8
	;; [unrolled: 1-line block ×4, first 2 shown]
	ds_read_b32 v10, v14 offset:4608
	v_mov_b32_e32 v1, s21
	v_add_co_u32_e64 v0, s[4:5], s20, v14
	v_addc_co_u32_e64 v1, s[4:5], 0, v1, s[4:5]
	s_and_saveexec_b64 s[4:5], vcc
	s_cbranch_execnz .LBB4675_35
; %bb.25:
	s_or_b64 exec, exec, s[4:5]
	s_and_saveexec_b64 s[4:5], s[0:1]
	s_cbranch_execnz .LBB4675_36
.LBB4675_26:
	s_or_b64 exec, exec, s[4:5]
	s_and_saveexec_b64 s[0:1], s[2:3]
	s_cbranch_execnz .LBB4675_37
.LBB4675_27:
	s_or_b64 exec, exec, s[0:1]
	s_and_saveexec_b64 s[0:1], s[18:19]
	s_cbranch_execnz .LBB4675_38
.LBB4675_28:
	s_or_b64 exec, exec, s[0:1]
	s_and_saveexec_b64 s[0:1], s[6:7]
	s_cbranch_execnz .LBB4675_39
.LBB4675_29:
	s_or_b64 exec, exec, s[0:1]
	s_and_saveexec_b64 s[0:1], s[8:9]
	s_cbranch_execnz .LBB4675_40
.LBB4675_30:
	s_or_b64 exec, exec, s[0:1]
	s_and_saveexec_b64 s[0:1], s[10:11]
	s_cbranch_execnz .LBB4675_41
.LBB4675_31:
	s_or_b64 exec, exec, s[0:1]
	s_and_saveexec_b64 s[0:1], s[12:13]
	s_cbranch_execnz .LBB4675_42
.LBB4675_32:
	s_or_b64 exec, exec, s[0:1]
	s_and_saveexec_b64 s[0:1], s[14:15]
	s_cbranch_execnz .LBB4675_43
.LBB4675_33:
	s_or_b64 exec, exec, s[0:1]
	s_and_saveexec_b64 s[0:1], s[16:17]
	s_cbranch_execnz .LBB4675_44
.LBB4675_34:
	s_endpgm
.LBB4675_35:
	ds_read_b32 v11, v14
	s_waitcnt lgkmcnt(0)
	global_store_dword v[0:1], v11, off
	s_or_b64 exec, exec, s[4:5]
	s_and_saveexec_b64 s[4:5], s[0:1]
	s_cbranch_execz .LBB4675_26
.LBB4675_36:
	s_waitcnt lgkmcnt(4)
	global_store_dword v[0:1], v8, off offset:512
	s_or_b64 exec, exec, s[4:5]
	s_and_saveexec_b64 s[0:1], s[2:3]
	s_cbranch_execz .LBB4675_27
.LBB4675_37:
	s_waitcnt lgkmcnt(4)
	global_store_dword v[0:1], v9, off offset:1024
	s_or_b64 exec, exec, s[0:1]
	s_and_saveexec_b64 s[0:1], s[18:19]
	s_cbranch_execz .LBB4675_28
.LBB4675_38:
	s_waitcnt lgkmcnt(3)
	global_store_dword v[0:1], v6, off offset:1536
	s_or_b64 exec, exec, s[0:1]
	s_and_saveexec_b64 s[0:1], s[6:7]
	s_cbranch_execz .LBB4675_29
.LBB4675_39:
	s_waitcnt lgkmcnt(3)
	global_store_dword v[0:1], v7, off offset:2048
	s_or_b64 exec, exec, s[0:1]
	s_and_saveexec_b64 s[0:1], s[8:9]
	s_cbranch_execz .LBB4675_30
.LBB4675_40:
	s_waitcnt lgkmcnt(2)
	global_store_dword v[0:1], v4, off offset:2560
	s_or_b64 exec, exec, s[0:1]
	s_and_saveexec_b64 s[0:1], s[10:11]
	s_cbranch_execz .LBB4675_31
.LBB4675_41:
	s_waitcnt lgkmcnt(2)
	global_store_dword v[0:1], v5, off offset:3072
	s_or_b64 exec, exec, s[0:1]
	s_and_saveexec_b64 s[0:1], s[12:13]
	s_cbranch_execz .LBB4675_32
.LBB4675_42:
	s_waitcnt lgkmcnt(1)
	global_store_dword v[0:1], v2, off offset:3584
	s_or_b64 exec, exec, s[0:1]
	s_and_saveexec_b64 s[0:1], s[14:15]
	s_cbranch_execz .LBB4675_33
.LBB4675_43:
	s_waitcnt lgkmcnt(2)
	v_add_co_u32_e32 v4, vcc, 0x1000, v0
	v_addc_co_u32_e32 v5, vcc, 0, v1, vcc
	s_waitcnt lgkmcnt(1)
	global_store_dword v[4:5], v3, off
	s_or_b64 exec, exec, s[0:1]
	s_and_saveexec_b64 s[0:1], s[16:17]
	s_cbranch_execz .LBB4675_34
.LBB4675_44:
	v_add_co_u32_e32 v0, vcc, 0x1000, v0
	v_addc_co_u32_e32 v1, vcc, 0, v1, vcc
	s_waitcnt lgkmcnt(0)
	global_store_dword v[0:1], v10, off offset:512
	s_endpgm
	.section	.rodata,"a",@progbits
	.p2align	6, 0x0
	.amdhsa_kernel _ZN7rocprim17ROCPRIM_400000_NS6detail17trampoline_kernelINS0_14default_configENS1_20scan_config_selectorIjEEZZNS1_9scan_implILNS1_25lookback_scan_determinismE0ELb1ELb1ES3_N6thrust23THRUST_200600_302600_NS6detail15normal_iteratorINS9_10device_ptrIjEEEESE_jNS9_4plusIvEEjEEDaPvRmT3_T4_T5_mT6_P12ihipStream_tbENKUlT_T0_E_clISt17integral_constantIbLb1EESU_EEDaSP_SQ_EUlSP_E0_NS1_11comp_targetILNS1_3genE4ELNS1_11target_archE910ELNS1_3gpuE8ELNS1_3repE0EEENS1_30default_config_static_selectorELNS0_4arch9wavefront6targetE1EEEvT1_
		.amdhsa_group_segment_fixed_size 5120
		.amdhsa_private_segment_fixed_size 0
		.amdhsa_kernarg_size 32
		.amdhsa_user_sgpr_count 6
		.amdhsa_user_sgpr_private_segment_buffer 1
		.amdhsa_user_sgpr_dispatch_ptr 0
		.amdhsa_user_sgpr_queue_ptr 0
		.amdhsa_user_sgpr_kernarg_segment_ptr 1
		.amdhsa_user_sgpr_dispatch_id 0
		.amdhsa_user_sgpr_flat_scratch_init 0
		.amdhsa_user_sgpr_kernarg_preload_length 0
		.amdhsa_user_sgpr_kernarg_preload_offset 0
		.amdhsa_user_sgpr_private_segment_size 0
		.amdhsa_uses_dynamic_stack 0
		.amdhsa_system_sgpr_private_segment_wavefront_offset 0
		.amdhsa_system_sgpr_workgroup_id_x 1
		.amdhsa_system_sgpr_workgroup_id_y 0
		.amdhsa_system_sgpr_workgroup_id_z 0
		.amdhsa_system_sgpr_workgroup_info 0
		.amdhsa_system_vgpr_workitem_id 0
		.amdhsa_next_free_vgpr 18
		.amdhsa_next_free_sgpr 25
		.amdhsa_accum_offset 20
		.amdhsa_reserve_vcc 1
		.amdhsa_reserve_flat_scratch 0
		.amdhsa_float_round_mode_32 0
		.amdhsa_float_round_mode_16_64 0
		.amdhsa_float_denorm_mode_32 3
		.amdhsa_float_denorm_mode_16_64 3
		.amdhsa_dx10_clamp 1
		.amdhsa_ieee_mode 1
		.amdhsa_fp16_overflow 0
		.amdhsa_tg_split 0
		.amdhsa_exception_fp_ieee_invalid_op 0
		.amdhsa_exception_fp_denorm_src 0
		.amdhsa_exception_fp_ieee_div_zero 0
		.amdhsa_exception_fp_ieee_overflow 0
		.amdhsa_exception_fp_ieee_underflow 0
		.amdhsa_exception_fp_ieee_inexact 0
		.amdhsa_exception_int_div_zero 0
	.end_amdhsa_kernel
	.section	.text._ZN7rocprim17ROCPRIM_400000_NS6detail17trampoline_kernelINS0_14default_configENS1_20scan_config_selectorIjEEZZNS1_9scan_implILNS1_25lookback_scan_determinismE0ELb1ELb1ES3_N6thrust23THRUST_200600_302600_NS6detail15normal_iteratorINS9_10device_ptrIjEEEESE_jNS9_4plusIvEEjEEDaPvRmT3_T4_T5_mT6_P12ihipStream_tbENKUlT_T0_E_clISt17integral_constantIbLb1EESU_EEDaSP_SQ_EUlSP_E0_NS1_11comp_targetILNS1_3genE4ELNS1_11target_archE910ELNS1_3gpuE8ELNS1_3repE0EEENS1_30default_config_static_selectorELNS0_4arch9wavefront6targetE1EEEvT1_,"axG",@progbits,_ZN7rocprim17ROCPRIM_400000_NS6detail17trampoline_kernelINS0_14default_configENS1_20scan_config_selectorIjEEZZNS1_9scan_implILNS1_25lookback_scan_determinismE0ELb1ELb1ES3_N6thrust23THRUST_200600_302600_NS6detail15normal_iteratorINS9_10device_ptrIjEEEESE_jNS9_4plusIvEEjEEDaPvRmT3_T4_T5_mT6_P12ihipStream_tbENKUlT_T0_E_clISt17integral_constantIbLb1EESU_EEDaSP_SQ_EUlSP_E0_NS1_11comp_targetILNS1_3genE4ELNS1_11target_archE910ELNS1_3gpuE8ELNS1_3repE0EEENS1_30default_config_static_selectorELNS0_4arch9wavefront6targetE1EEEvT1_,comdat
.Lfunc_end4675:
	.size	_ZN7rocprim17ROCPRIM_400000_NS6detail17trampoline_kernelINS0_14default_configENS1_20scan_config_selectorIjEEZZNS1_9scan_implILNS1_25lookback_scan_determinismE0ELb1ELb1ES3_N6thrust23THRUST_200600_302600_NS6detail15normal_iteratorINS9_10device_ptrIjEEEESE_jNS9_4plusIvEEjEEDaPvRmT3_T4_T5_mT6_P12ihipStream_tbENKUlT_T0_E_clISt17integral_constantIbLb1EESU_EEDaSP_SQ_EUlSP_E0_NS1_11comp_targetILNS1_3genE4ELNS1_11target_archE910ELNS1_3gpuE8ELNS1_3repE0EEENS1_30default_config_static_selectorELNS0_4arch9wavefront6targetE1EEEvT1_, .Lfunc_end4675-_ZN7rocprim17ROCPRIM_400000_NS6detail17trampoline_kernelINS0_14default_configENS1_20scan_config_selectorIjEEZZNS1_9scan_implILNS1_25lookback_scan_determinismE0ELb1ELb1ES3_N6thrust23THRUST_200600_302600_NS6detail15normal_iteratorINS9_10device_ptrIjEEEESE_jNS9_4plusIvEEjEEDaPvRmT3_T4_T5_mT6_P12ihipStream_tbENKUlT_T0_E_clISt17integral_constantIbLb1EESU_EEDaSP_SQ_EUlSP_E0_NS1_11comp_targetILNS1_3genE4ELNS1_11target_archE910ELNS1_3gpuE8ELNS1_3repE0EEENS1_30default_config_static_selectorELNS0_4arch9wavefront6targetE1EEEvT1_
                                        ; -- End function
	.section	.AMDGPU.csdata,"",@progbits
; Kernel info:
; codeLenInByte = 1536
; NumSgprs: 29
; NumVgprs: 18
; NumAgprs: 0
; TotalNumVgprs: 18
; ScratchSize: 0
; MemoryBound: 0
; FloatMode: 240
; IeeeMode: 1
; LDSByteSize: 5120 bytes/workgroup (compile time only)
; SGPRBlocks: 3
; VGPRBlocks: 2
; NumSGPRsForWavesPerEU: 29
; NumVGPRsForWavesPerEU: 18
; AccumOffset: 20
; Occupancy: 6
; WaveLimiterHint : 0
; COMPUTE_PGM_RSRC2:SCRATCH_EN: 0
; COMPUTE_PGM_RSRC2:USER_SGPR: 6
; COMPUTE_PGM_RSRC2:TRAP_HANDLER: 0
; COMPUTE_PGM_RSRC2:TGID_X_EN: 1
; COMPUTE_PGM_RSRC2:TGID_Y_EN: 0
; COMPUTE_PGM_RSRC2:TGID_Z_EN: 0
; COMPUTE_PGM_RSRC2:TIDIG_COMP_CNT: 0
; COMPUTE_PGM_RSRC3_GFX90A:ACCUM_OFFSET: 4
; COMPUTE_PGM_RSRC3_GFX90A:TG_SPLIT: 0
	.section	.text._ZN7rocprim17ROCPRIM_400000_NS6detail17trampoline_kernelINS0_14default_configENS1_20scan_config_selectorIjEEZZNS1_9scan_implILNS1_25lookback_scan_determinismE0ELb1ELb1ES3_N6thrust23THRUST_200600_302600_NS6detail15normal_iteratorINS9_10device_ptrIjEEEESE_jNS9_4plusIvEEjEEDaPvRmT3_T4_T5_mT6_P12ihipStream_tbENKUlT_T0_E_clISt17integral_constantIbLb1EESU_EEDaSP_SQ_EUlSP_E0_NS1_11comp_targetILNS1_3genE3ELNS1_11target_archE908ELNS1_3gpuE7ELNS1_3repE0EEENS1_30default_config_static_selectorELNS0_4arch9wavefront6targetE1EEEvT1_,"axG",@progbits,_ZN7rocprim17ROCPRIM_400000_NS6detail17trampoline_kernelINS0_14default_configENS1_20scan_config_selectorIjEEZZNS1_9scan_implILNS1_25lookback_scan_determinismE0ELb1ELb1ES3_N6thrust23THRUST_200600_302600_NS6detail15normal_iteratorINS9_10device_ptrIjEEEESE_jNS9_4plusIvEEjEEDaPvRmT3_T4_T5_mT6_P12ihipStream_tbENKUlT_T0_E_clISt17integral_constantIbLb1EESU_EEDaSP_SQ_EUlSP_E0_NS1_11comp_targetILNS1_3genE3ELNS1_11target_archE908ELNS1_3gpuE7ELNS1_3repE0EEENS1_30default_config_static_selectorELNS0_4arch9wavefront6targetE1EEEvT1_,comdat
	.protected	_ZN7rocprim17ROCPRIM_400000_NS6detail17trampoline_kernelINS0_14default_configENS1_20scan_config_selectorIjEEZZNS1_9scan_implILNS1_25lookback_scan_determinismE0ELb1ELb1ES3_N6thrust23THRUST_200600_302600_NS6detail15normal_iteratorINS9_10device_ptrIjEEEESE_jNS9_4plusIvEEjEEDaPvRmT3_T4_T5_mT6_P12ihipStream_tbENKUlT_T0_E_clISt17integral_constantIbLb1EESU_EEDaSP_SQ_EUlSP_E0_NS1_11comp_targetILNS1_3genE3ELNS1_11target_archE908ELNS1_3gpuE7ELNS1_3repE0EEENS1_30default_config_static_selectorELNS0_4arch9wavefront6targetE1EEEvT1_ ; -- Begin function _ZN7rocprim17ROCPRIM_400000_NS6detail17trampoline_kernelINS0_14default_configENS1_20scan_config_selectorIjEEZZNS1_9scan_implILNS1_25lookback_scan_determinismE0ELb1ELb1ES3_N6thrust23THRUST_200600_302600_NS6detail15normal_iteratorINS9_10device_ptrIjEEEESE_jNS9_4plusIvEEjEEDaPvRmT3_T4_T5_mT6_P12ihipStream_tbENKUlT_T0_E_clISt17integral_constantIbLb1EESU_EEDaSP_SQ_EUlSP_E0_NS1_11comp_targetILNS1_3genE3ELNS1_11target_archE908ELNS1_3gpuE7ELNS1_3repE0EEENS1_30default_config_static_selectorELNS0_4arch9wavefront6targetE1EEEvT1_
	.globl	_ZN7rocprim17ROCPRIM_400000_NS6detail17trampoline_kernelINS0_14default_configENS1_20scan_config_selectorIjEEZZNS1_9scan_implILNS1_25lookback_scan_determinismE0ELb1ELb1ES3_N6thrust23THRUST_200600_302600_NS6detail15normal_iteratorINS9_10device_ptrIjEEEESE_jNS9_4plusIvEEjEEDaPvRmT3_T4_T5_mT6_P12ihipStream_tbENKUlT_T0_E_clISt17integral_constantIbLb1EESU_EEDaSP_SQ_EUlSP_E0_NS1_11comp_targetILNS1_3genE3ELNS1_11target_archE908ELNS1_3gpuE7ELNS1_3repE0EEENS1_30default_config_static_selectorELNS0_4arch9wavefront6targetE1EEEvT1_
	.p2align	8
	.type	_ZN7rocprim17ROCPRIM_400000_NS6detail17trampoline_kernelINS0_14default_configENS1_20scan_config_selectorIjEEZZNS1_9scan_implILNS1_25lookback_scan_determinismE0ELb1ELb1ES3_N6thrust23THRUST_200600_302600_NS6detail15normal_iteratorINS9_10device_ptrIjEEEESE_jNS9_4plusIvEEjEEDaPvRmT3_T4_T5_mT6_P12ihipStream_tbENKUlT_T0_E_clISt17integral_constantIbLb1EESU_EEDaSP_SQ_EUlSP_E0_NS1_11comp_targetILNS1_3genE3ELNS1_11target_archE908ELNS1_3gpuE7ELNS1_3repE0EEENS1_30default_config_static_selectorELNS0_4arch9wavefront6targetE1EEEvT1_,@function
_ZN7rocprim17ROCPRIM_400000_NS6detail17trampoline_kernelINS0_14default_configENS1_20scan_config_selectorIjEEZZNS1_9scan_implILNS1_25lookback_scan_determinismE0ELb1ELb1ES3_N6thrust23THRUST_200600_302600_NS6detail15normal_iteratorINS9_10device_ptrIjEEEESE_jNS9_4plusIvEEjEEDaPvRmT3_T4_T5_mT6_P12ihipStream_tbENKUlT_T0_E_clISt17integral_constantIbLb1EESU_EEDaSP_SQ_EUlSP_E0_NS1_11comp_targetILNS1_3genE3ELNS1_11target_archE908ELNS1_3gpuE7ELNS1_3repE0EEENS1_30default_config_static_selectorELNS0_4arch9wavefront6targetE1EEEvT1_: ; @_ZN7rocprim17ROCPRIM_400000_NS6detail17trampoline_kernelINS0_14default_configENS1_20scan_config_selectorIjEEZZNS1_9scan_implILNS1_25lookback_scan_determinismE0ELb1ELb1ES3_N6thrust23THRUST_200600_302600_NS6detail15normal_iteratorINS9_10device_ptrIjEEEESE_jNS9_4plusIvEEjEEDaPvRmT3_T4_T5_mT6_P12ihipStream_tbENKUlT_T0_E_clISt17integral_constantIbLb1EESU_EEDaSP_SQ_EUlSP_E0_NS1_11comp_targetILNS1_3genE3ELNS1_11target_archE908ELNS1_3gpuE7ELNS1_3repE0EEENS1_30default_config_static_selectorELNS0_4arch9wavefront6targetE1EEEvT1_
; %bb.0:
	.section	.rodata,"a",@progbits
	.p2align	6, 0x0
	.amdhsa_kernel _ZN7rocprim17ROCPRIM_400000_NS6detail17trampoline_kernelINS0_14default_configENS1_20scan_config_selectorIjEEZZNS1_9scan_implILNS1_25lookback_scan_determinismE0ELb1ELb1ES3_N6thrust23THRUST_200600_302600_NS6detail15normal_iteratorINS9_10device_ptrIjEEEESE_jNS9_4plusIvEEjEEDaPvRmT3_T4_T5_mT6_P12ihipStream_tbENKUlT_T0_E_clISt17integral_constantIbLb1EESU_EEDaSP_SQ_EUlSP_E0_NS1_11comp_targetILNS1_3genE3ELNS1_11target_archE908ELNS1_3gpuE7ELNS1_3repE0EEENS1_30default_config_static_selectorELNS0_4arch9wavefront6targetE1EEEvT1_
		.amdhsa_group_segment_fixed_size 0
		.amdhsa_private_segment_fixed_size 0
		.amdhsa_kernarg_size 32
		.amdhsa_user_sgpr_count 6
		.amdhsa_user_sgpr_private_segment_buffer 1
		.amdhsa_user_sgpr_dispatch_ptr 0
		.amdhsa_user_sgpr_queue_ptr 0
		.amdhsa_user_sgpr_kernarg_segment_ptr 1
		.amdhsa_user_sgpr_dispatch_id 0
		.amdhsa_user_sgpr_flat_scratch_init 0
		.amdhsa_user_sgpr_kernarg_preload_length 0
		.amdhsa_user_sgpr_kernarg_preload_offset 0
		.amdhsa_user_sgpr_private_segment_size 0
		.amdhsa_uses_dynamic_stack 0
		.amdhsa_system_sgpr_private_segment_wavefront_offset 0
		.amdhsa_system_sgpr_workgroup_id_x 1
		.amdhsa_system_sgpr_workgroup_id_y 0
		.amdhsa_system_sgpr_workgroup_id_z 0
		.amdhsa_system_sgpr_workgroup_info 0
		.amdhsa_system_vgpr_workitem_id 0
		.amdhsa_next_free_vgpr 1
		.amdhsa_next_free_sgpr 0
		.amdhsa_accum_offset 4
		.amdhsa_reserve_vcc 0
		.amdhsa_reserve_flat_scratch 0
		.amdhsa_float_round_mode_32 0
		.amdhsa_float_round_mode_16_64 0
		.amdhsa_float_denorm_mode_32 3
		.amdhsa_float_denorm_mode_16_64 3
		.amdhsa_dx10_clamp 1
		.amdhsa_ieee_mode 1
		.amdhsa_fp16_overflow 0
		.amdhsa_tg_split 0
		.amdhsa_exception_fp_ieee_invalid_op 0
		.amdhsa_exception_fp_denorm_src 0
		.amdhsa_exception_fp_ieee_div_zero 0
		.amdhsa_exception_fp_ieee_overflow 0
		.amdhsa_exception_fp_ieee_underflow 0
		.amdhsa_exception_fp_ieee_inexact 0
		.amdhsa_exception_int_div_zero 0
	.end_amdhsa_kernel
	.section	.text._ZN7rocprim17ROCPRIM_400000_NS6detail17trampoline_kernelINS0_14default_configENS1_20scan_config_selectorIjEEZZNS1_9scan_implILNS1_25lookback_scan_determinismE0ELb1ELb1ES3_N6thrust23THRUST_200600_302600_NS6detail15normal_iteratorINS9_10device_ptrIjEEEESE_jNS9_4plusIvEEjEEDaPvRmT3_T4_T5_mT6_P12ihipStream_tbENKUlT_T0_E_clISt17integral_constantIbLb1EESU_EEDaSP_SQ_EUlSP_E0_NS1_11comp_targetILNS1_3genE3ELNS1_11target_archE908ELNS1_3gpuE7ELNS1_3repE0EEENS1_30default_config_static_selectorELNS0_4arch9wavefront6targetE1EEEvT1_,"axG",@progbits,_ZN7rocprim17ROCPRIM_400000_NS6detail17trampoline_kernelINS0_14default_configENS1_20scan_config_selectorIjEEZZNS1_9scan_implILNS1_25lookback_scan_determinismE0ELb1ELb1ES3_N6thrust23THRUST_200600_302600_NS6detail15normal_iteratorINS9_10device_ptrIjEEEESE_jNS9_4plusIvEEjEEDaPvRmT3_T4_T5_mT6_P12ihipStream_tbENKUlT_T0_E_clISt17integral_constantIbLb1EESU_EEDaSP_SQ_EUlSP_E0_NS1_11comp_targetILNS1_3genE3ELNS1_11target_archE908ELNS1_3gpuE7ELNS1_3repE0EEENS1_30default_config_static_selectorELNS0_4arch9wavefront6targetE1EEEvT1_,comdat
.Lfunc_end4676:
	.size	_ZN7rocprim17ROCPRIM_400000_NS6detail17trampoline_kernelINS0_14default_configENS1_20scan_config_selectorIjEEZZNS1_9scan_implILNS1_25lookback_scan_determinismE0ELb1ELb1ES3_N6thrust23THRUST_200600_302600_NS6detail15normal_iteratorINS9_10device_ptrIjEEEESE_jNS9_4plusIvEEjEEDaPvRmT3_T4_T5_mT6_P12ihipStream_tbENKUlT_T0_E_clISt17integral_constantIbLb1EESU_EEDaSP_SQ_EUlSP_E0_NS1_11comp_targetILNS1_3genE3ELNS1_11target_archE908ELNS1_3gpuE7ELNS1_3repE0EEENS1_30default_config_static_selectorELNS0_4arch9wavefront6targetE1EEEvT1_, .Lfunc_end4676-_ZN7rocprim17ROCPRIM_400000_NS6detail17trampoline_kernelINS0_14default_configENS1_20scan_config_selectorIjEEZZNS1_9scan_implILNS1_25lookback_scan_determinismE0ELb1ELb1ES3_N6thrust23THRUST_200600_302600_NS6detail15normal_iteratorINS9_10device_ptrIjEEEESE_jNS9_4plusIvEEjEEDaPvRmT3_T4_T5_mT6_P12ihipStream_tbENKUlT_T0_E_clISt17integral_constantIbLb1EESU_EEDaSP_SQ_EUlSP_E0_NS1_11comp_targetILNS1_3genE3ELNS1_11target_archE908ELNS1_3gpuE7ELNS1_3repE0EEENS1_30default_config_static_selectorELNS0_4arch9wavefront6targetE1EEEvT1_
                                        ; -- End function
	.section	.AMDGPU.csdata,"",@progbits
; Kernel info:
; codeLenInByte = 0
; NumSgprs: 4
; NumVgprs: 0
; NumAgprs: 0
; TotalNumVgprs: 0
; ScratchSize: 0
; MemoryBound: 0
; FloatMode: 240
; IeeeMode: 1
; LDSByteSize: 0 bytes/workgroup (compile time only)
; SGPRBlocks: 0
; VGPRBlocks: 0
; NumSGPRsForWavesPerEU: 4
; NumVGPRsForWavesPerEU: 1
; AccumOffset: 4
; Occupancy: 8
; WaveLimiterHint : 0
; COMPUTE_PGM_RSRC2:SCRATCH_EN: 0
; COMPUTE_PGM_RSRC2:USER_SGPR: 6
; COMPUTE_PGM_RSRC2:TRAP_HANDLER: 0
; COMPUTE_PGM_RSRC2:TGID_X_EN: 1
; COMPUTE_PGM_RSRC2:TGID_Y_EN: 0
; COMPUTE_PGM_RSRC2:TGID_Z_EN: 0
; COMPUTE_PGM_RSRC2:TIDIG_COMP_CNT: 0
; COMPUTE_PGM_RSRC3_GFX90A:ACCUM_OFFSET: 0
; COMPUTE_PGM_RSRC3_GFX90A:TG_SPLIT: 0
	.section	.text._ZN7rocprim17ROCPRIM_400000_NS6detail17trampoline_kernelINS0_14default_configENS1_20scan_config_selectorIjEEZZNS1_9scan_implILNS1_25lookback_scan_determinismE0ELb1ELb1ES3_N6thrust23THRUST_200600_302600_NS6detail15normal_iteratorINS9_10device_ptrIjEEEESE_jNS9_4plusIvEEjEEDaPvRmT3_T4_T5_mT6_P12ihipStream_tbENKUlT_T0_E_clISt17integral_constantIbLb1EESU_EEDaSP_SQ_EUlSP_E0_NS1_11comp_targetILNS1_3genE2ELNS1_11target_archE906ELNS1_3gpuE6ELNS1_3repE0EEENS1_30default_config_static_selectorELNS0_4arch9wavefront6targetE1EEEvT1_,"axG",@progbits,_ZN7rocprim17ROCPRIM_400000_NS6detail17trampoline_kernelINS0_14default_configENS1_20scan_config_selectorIjEEZZNS1_9scan_implILNS1_25lookback_scan_determinismE0ELb1ELb1ES3_N6thrust23THRUST_200600_302600_NS6detail15normal_iteratorINS9_10device_ptrIjEEEESE_jNS9_4plusIvEEjEEDaPvRmT3_T4_T5_mT6_P12ihipStream_tbENKUlT_T0_E_clISt17integral_constantIbLb1EESU_EEDaSP_SQ_EUlSP_E0_NS1_11comp_targetILNS1_3genE2ELNS1_11target_archE906ELNS1_3gpuE6ELNS1_3repE0EEENS1_30default_config_static_selectorELNS0_4arch9wavefront6targetE1EEEvT1_,comdat
	.protected	_ZN7rocprim17ROCPRIM_400000_NS6detail17trampoline_kernelINS0_14default_configENS1_20scan_config_selectorIjEEZZNS1_9scan_implILNS1_25lookback_scan_determinismE0ELb1ELb1ES3_N6thrust23THRUST_200600_302600_NS6detail15normal_iteratorINS9_10device_ptrIjEEEESE_jNS9_4plusIvEEjEEDaPvRmT3_T4_T5_mT6_P12ihipStream_tbENKUlT_T0_E_clISt17integral_constantIbLb1EESU_EEDaSP_SQ_EUlSP_E0_NS1_11comp_targetILNS1_3genE2ELNS1_11target_archE906ELNS1_3gpuE6ELNS1_3repE0EEENS1_30default_config_static_selectorELNS0_4arch9wavefront6targetE1EEEvT1_ ; -- Begin function _ZN7rocprim17ROCPRIM_400000_NS6detail17trampoline_kernelINS0_14default_configENS1_20scan_config_selectorIjEEZZNS1_9scan_implILNS1_25lookback_scan_determinismE0ELb1ELb1ES3_N6thrust23THRUST_200600_302600_NS6detail15normal_iteratorINS9_10device_ptrIjEEEESE_jNS9_4plusIvEEjEEDaPvRmT3_T4_T5_mT6_P12ihipStream_tbENKUlT_T0_E_clISt17integral_constantIbLb1EESU_EEDaSP_SQ_EUlSP_E0_NS1_11comp_targetILNS1_3genE2ELNS1_11target_archE906ELNS1_3gpuE6ELNS1_3repE0EEENS1_30default_config_static_selectorELNS0_4arch9wavefront6targetE1EEEvT1_
	.globl	_ZN7rocprim17ROCPRIM_400000_NS6detail17trampoline_kernelINS0_14default_configENS1_20scan_config_selectorIjEEZZNS1_9scan_implILNS1_25lookback_scan_determinismE0ELb1ELb1ES3_N6thrust23THRUST_200600_302600_NS6detail15normal_iteratorINS9_10device_ptrIjEEEESE_jNS9_4plusIvEEjEEDaPvRmT3_T4_T5_mT6_P12ihipStream_tbENKUlT_T0_E_clISt17integral_constantIbLb1EESU_EEDaSP_SQ_EUlSP_E0_NS1_11comp_targetILNS1_3genE2ELNS1_11target_archE906ELNS1_3gpuE6ELNS1_3repE0EEENS1_30default_config_static_selectorELNS0_4arch9wavefront6targetE1EEEvT1_
	.p2align	8
	.type	_ZN7rocprim17ROCPRIM_400000_NS6detail17trampoline_kernelINS0_14default_configENS1_20scan_config_selectorIjEEZZNS1_9scan_implILNS1_25lookback_scan_determinismE0ELb1ELb1ES3_N6thrust23THRUST_200600_302600_NS6detail15normal_iteratorINS9_10device_ptrIjEEEESE_jNS9_4plusIvEEjEEDaPvRmT3_T4_T5_mT6_P12ihipStream_tbENKUlT_T0_E_clISt17integral_constantIbLb1EESU_EEDaSP_SQ_EUlSP_E0_NS1_11comp_targetILNS1_3genE2ELNS1_11target_archE906ELNS1_3gpuE6ELNS1_3repE0EEENS1_30default_config_static_selectorELNS0_4arch9wavefront6targetE1EEEvT1_,@function
_ZN7rocprim17ROCPRIM_400000_NS6detail17trampoline_kernelINS0_14default_configENS1_20scan_config_selectorIjEEZZNS1_9scan_implILNS1_25lookback_scan_determinismE0ELb1ELb1ES3_N6thrust23THRUST_200600_302600_NS6detail15normal_iteratorINS9_10device_ptrIjEEEESE_jNS9_4plusIvEEjEEDaPvRmT3_T4_T5_mT6_P12ihipStream_tbENKUlT_T0_E_clISt17integral_constantIbLb1EESU_EEDaSP_SQ_EUlSP_E0_NS1_11comp_targetILNS1_3genE2ELNS1_11target_archE906ELNS1_3gpuE6ELNS1_3repE0EEENS1_30default_config_static_selectorELNS0_4arch9wavefront6targetE1EEEvT1_: ; @_ZN7rocprim17ROCPRIM_400000_NS6detail17trampoline_kernelINS0_14default_configENS1_20scan_config_selectorIjEEZZNS1_9scan_implILNS1_25lookback_scan_determinismE0ELb1ELb1ES3_N6thrust23THRUST_200600_302600_NS6detail15normal_iteratorINS9_10device_ptrIjEEEESE_jNS9_4plusIvEEjEEDaPvRmT3_T4_T5_mT6_P12ihipStream_tbENKUlT_T0_E_clISt17integral_constantIbLb1EESU_EEDaSP_SQ_EUlSP_E0_NS1_11comp_targetILNS1_3genE2ELNS1_11target_archE906ELNS1_3gpuE6ELNS1_3repE0EEENS1_30default_config_static_selectorELNS0_4arch9wavefront6targetE1EEEvT1_
; %bb.0:
	.section	.rodata,"a",@progbits
	.p2align	6, 0x0
	.amdhsa_kernel _ZN7rocprim17ROCPRIM_400000_NS6detail17trampoline_kernelINS0_14default_configENS1_20scan_config_selectorIjEEZZNS1_9scan_implILNS1_25lookback_scan_determinismE0ELb1ELb1ES3_N6thrust23THRUST_200600_302600_NS6detail15normal_iteratorINS9_10device_ptrIjEEEESE_jNS9_4plusIvEEjEEDaPvRmT3_T4_T5_mT6_P12ihipStream_tbENKUlT_T0_E_clISt17integral_constantIbLb1EESU_EEDaSP_SQ_EUlSP_E0_NS1_11comp_targetILNS1_3genE2ELNS1_11target_archE906ELNS1_3gpuE6ELNS1_3repE0EEENS1_30default_config_static_selectorELNS0_4arch9wavefront6targetE1EEEvT1_
		.amdhsa_group_segment_fixed_size 0
		.amdhsa_private_segment_fixed_size 0
		.amdhsa_kernarg_size 32
		.amdhsa_user_sgpr_count 6
		.amdhsa_user_sgpr_private_segment_buffer 1
		.amdhsa_user_sgpr_dispatch_ptr 0
		.amdhsa_user_sgpr_queue_ptr 0
		.amdhsa_user_sgpr_kernarg_segment_ptr 1
		.amdhsa_user_sgpr_dispatch_id 0
		.amdhsa_user_sgpr_flat_scratch_init 0
		.amdhsa_user_sgpr_kernarg_preload_length 0
		.amdhsa_user_sgpr_kernarg_preload_offset 0
		.amdhsa_user_sgpr_private_segment_size 0
		.amdhsa_uses_dynamic_stack 0
		.amdhsa_system_sgpr_private_segment_wavefront_offset 0
		.amdhsa_system_sgpr_workgroup_id_x 1
		.amdhsa_system_sgpr_workgroup_id_y 0
		.amdhsa_system_sgpr_workgroup_id_z 0
		.amdhsa_system_sgpr_workgroup_info 0
		.amdhsa_system_vgpr_workitem_id 0
		.amdhsa_next_free_vgpr 1
		.amdhsa_next_free_sgpr 0
		.amdhsa_accum_offset 4
		.amdhsa_reserve_vcc 0
		.amdhsa_reserve_flat_scratch 0
		.amdhsa_float_round_mode_32 0
		.amdhsa_float_round_mode_16_64 0
		.amdhsa_float_denorm_mode_32 3
		.amdhsa_float_denorm_mode_16_64 3
		.amdhsa_dx10_clamp 1
		.amdhsa_ieee_mode 1
		.amdhsa_fp16_overflow 0
		.amdhsa_tg_split 0
		.amdhsa_exception_fp_ieee_invalid_op 0
		.amdhsa_exception_fp_denorm_src 0
		.amdhsa_exception_fp_ieee_div_zero 0
		.amdhsa_exception_fp_ieee_overflow 0
		.amdhsa_exception_fp_ieee_underflow 0
		.amdhsa_exception_fp_ieee_inexact 0
		.amdhsa_exception_int_div_zero 0
	.end_amdhsa_kernel
	.section	.text._ZN7rocprim17ROCPRIM_400000_NS6detail17trampoline_kernelINS0_14default_configENS1_20scan_config_selectorIjEEZZNS1_9scan_implILNS1_25lookback_scan_determinismE0ELb1ELb1ES3_N6thrust23THRUST_200600_302600_NS6detail15normal_iteratorINS9_10device_ptrIjEEEESE_jNS9_4plusIvEEjEEDaPvRmT3_T4_T5_mT6_P12ihipStream_tbENKUlT_T0_E_clISt17integral_constantIbLb1EESU_EEDaSP_SQ_EUlSP_E0_NS1_11comp_targetILNS1_3genE2ELNS1_11target_archE906ELNS1_3gpuE6ELNS1_3repE0EEENS1_30default_config_static_selectorELNS0_4arch9wavefront6targetE1EEEvT1_,"axG",@progbits,_ZN7rocprim17ROCPRIM_400000_NS6detail17trampoline_kernelINS0_14default_configENS1_20scan_config_selectorIjEEZZNS1_9scan_implILNS1_25lookback_scan_determinismE0ELb1ELb1ES3_N6thrust23THRUST_200600_302600_NS6detail15normal_iteratorINS9_10device_ptrIjEEEESE_jNS9_4plusIvEEjEEDaPvRmT3_T4_T5_mT6_P12ihipStream_tbENKUlT_T0_E_clISt17integral_constantIbLb1EESU_EEDaSP_SQ_EUlSP_E0_NS1_11comp_targetILNS1_3genE2ELNS1_11target_archE906ELNS1_3gpuE6ELNS1_3repE0EEENS1_30default_config_static_selectorELNS0_4arch9wavefront6targetE1EEEvT1_,comdat
.Lfunc_end4677:
	.size	_ZN7rocprim17ROCPRIM_400000_NS6detail17trampoline_kernelINS0_14default_configENS1_20scan_config_selectorIjEEZZNS1_9scan_implILNS1_25lookback_scan_determinismE0ELb1ELb1ES3_N6thrust23THRUST_200600_302600_NS6detail15normal_iteratorINS9_10device_ptrIjEEEESE_jNS9_4plusIvEEjEEDaPvRmT3_T4_T5_mT6_P12ihipStream_tbENKUlT_T0_E_clISt17integral_constantIbLb1EESU_EEDaSP_SQ_EUlSP_E0_NS1_11comp_targetILNS1_3genE2ELNS1_11target_archE906ELNS1_3gpuE6ELNS1_3repE0EEENS1_30default_config_static_selectorELNS0_4arch9wavefront6targetE1EEEvT1_, .Lfunc_end4677-_ZN7rocprim17ROCPRIM_400000_NS6detail17trampoline_kernelINS0_14default_configENS1_20scan_config_selectorIjEEZZNS1_9scan_implILNS1_25lookback_scan_determinismE0ELb1ELb1ES3_N6thrust23THRUST_200600_302600_NS6detail15normal_iteratorINS9_10device_ptrIjEEEESE_jNS9_4plusIvEEjEEDaPvRmT3_T4_T5_mT6_P12ihipStream_tbENKUlT_T0_E_clISt17integral_constantIbLb1EESU_EEDaSP_SQ_EUlSP_E0_NS1_11comp_targetILNS1_3genE2ELNS1_11target_archE906ELNS1_3gpuE6ELNS1_3repE0EEENS1_30default_config_static_selectorELNS0_4arch9wavefront6targetE1EEEvT1_
                                        ; -- End function
	.section	.AMDGPU.csdata,"",@progbits
; Kernel info:
; codeLenInByte = 0
; NumSgprs: 4
; NumVgprs: 0
; NumAgprs: 0
; TotalNumVgprs: 0
; ScratchSize: 0
; MemoryBound: 0
; FloatMode: 240
; IeeeMode: 1
; LDSByteSize: 0 bytes/workgroup (compile time only)
; SGPRBlocks: 0
; VGPRBlocks: 0
; NumSGPRsForWavesPerEU: 4
; NumVGPRsForWavesPerEU: 1
; AccumOffset: 4
; Occupancy: 8
; WaveLimiterHint : 0
; COMPUTE_PGM_RSRC2:SCRATCH_EN: 0
; COMPUTE_PGM_RSRC2:USER_SGPR: 6
; COMPUTE_PGM_RSRC2:TRAP_HANDLER: 0
; COMPUTE_PGM_RSRC2:TGID_X_EN: 1
; COMPUTE_PGM_RSRC2:TGID_Y_EN: 0
; COMPUTE_PGM_RSRC2:TGID_Z_EN: 0
; COMPUTE_PGM_RSRC2:TIDIG_COMP_CNT: 0
; COMPUTE_PGM_RSRC3_GFX90A:ACCUM_OFFSET: 0
; COMPUTE_PGM_RSRC3_GFX90A:TG_SPLIT: 0
	.section	.text._ZN7rocprim17ROCPRIM_400000_NS6detail17trampoline_kernelINS0_14default_configENS1_20scan_config_selectorIjEEZZNS1_9scan_implILNS1_25lookback_scan_determinismE0ELb1ELb1ES3_N6thrust23THRUST_200600_302600_NS6detail15normal_iteratorINS9_10device_ptrIjEEEESE_jNS9_4plusIvEEjEEDaPvRmT3_T4_T5_mT6_P12ihipStream_tbENKUlT_T0_E_clISt17integral_constantIbLb1EESU_EEDaSP_SQ_EUlSP_E0_NS1_11comp_targetILNS1_3genE10ELNS1_11target_archE1201ELNS1_3gpuE5ELNS1_3repE0EEENS1_30default_config_static_selectorELNS0_4arch9wavefront6targetE1EEEvT1_,"axG",@progbits,_ZN7rocprim17ROCPRIM_400000_NS6detail17trampoline_kernelINS0_14default_configENS1_20scan_config_selectorIjEEZZNS1_9scan_implILNS1_25lookback_scan_determinismE0ELb1ELb1ES3_N6thrust23THRUST_200600_302600_NS6detail15normal_iteratorINS9_10device_ptrIjEEEESE_jNS9_4plusIvEEjEEDaPvRmT3_T4_T5_mT6_P12ihipStream_tbENKUlT_T0_E_clISt17integral_constantIbLb1EESU_EEDaSP_SQ_EUlSP_E0_NS1_11comp_targetILNS1_3genE10ELNS1_11target_archE1201ELNS1_3gpuE5ELNS1_3repE0EEENS1_30default_config_static_selectorELNS0_4arch9wavefront6targetE1EEEvT1_,comdat
	.protected	_ZN7rocprim17ROCPRIM_400000_NS6detail17trampoline_kernelINS0_14default_configENS1_20scan_config_selectorIjEEZZNS1_9scan_implILNS1_25lookback_scan_determinismE0ELb1ELb1ES3_N6thrust23THRUST_200600_302600_NS6detail15normal_iteratorINS9_10device_ptrIjEEEESE_jNS9_4plusIvEEjEEDaPvRmT3_T4_T5_mT6_P12ihipStream_tbENKUlT_T0_E_clISt17integral_constantIbLb1EESU_EEDaSP_SQ_EUlSP_E0_NS1_11comp_targetILNS1_3genE10ELNS1_11target_archE1201ELNS1_3gpuE5ELNS1_3repE0EEENS1_30default_config_static_selectorELNS0_4arch9wavefront6targetE1EEEvT1_ ; -- Begin function _ZN7rocprim17ROCPRIM_400000_NS6detail17trampoline_kernelINS0_14default_configENS1_20scan_config_selectorIjEEZZNS1_9scan_implILNS1_25lookback_scan_determinismE0ELb1ELb1ES3_N6thrust23THRUST_200600_302600_NS6detail15normal_iteratorINS9_10device_ptrIjEEEESE_jNS9_4plusIvEEjEEDaPvRmT3_T4_T5_mT6_P12ihipStream_tbENKUlT_T0_E_clISt17integral_constantIbLb1EESU_EEDaSP_SQ_EUlSP_E0_NS1_11comp_targetILNS1_3genE10ELNS1_11target_archE1201ELNS1_3gpuE5ELNS1_3repE0EEENS1_30default_config_static_selectorELNS0_4arch9wavefront6targetE1EEEvT1_
	.globl	_ZN7rocprim17ROCPRIM_400000_NS6detail17trampoline_kernelINS0_14default_configENS1_20scan_config_selectorIjEEZZNS1_9scan_implILNS1_25lookback_scan_determinismE0ELb1ELb1ES3_N6thrust23THRUST_200600_302600_NS6detail15normal_iteratorINS9_10device_ptrIjEEEESE_jNS9_4plusIvEEjEEDaPvRmT3_T4_T5_mT6_P12ihipStream_tbENKUlT_T0_E_clISt17integral_constantIbLb1EESU_EEDaSP_SQ_EUlSP_E0_NS1_11comp_targetILNS1_3genE10ELNS1_11target_archE1201ELNS1_3gpuE5ELNS1_3repE0EEENS1_30default_config_static_selectorELNS0_4arch9wavefront6targetE1EEEvT1_
	.p2align	8
	.type	_ZN7rocprim17ROCPRIM_400000_NS6detail17trampoline_kernelINS0_14default_configENS1_20scan_config_selectorIjEEZZNS1_9scan_implILNS1_25lookback_scan_determinismE0ELb1ELb1ES3_N6thrust23THRUST_200600_302600_NS6detail15normal_iteratorINS9_10device_ptrIjEEEESE_jNS9_4plusIvEEjEEDaPvRmT3_T4_T5_mT6_P12ihipStream_tbENKUlT_T0_E_clISt17integral_constantIbLb1EESU_EEDaSP_SQ_EUlSP_E0_NS1_11comp_targetILNS1_3genE10ELNS1_11target_archE1201ELNS1_3gpuE5ELNS1_3repE0EEENS1_30default_config_static_selectorELNS0_4arch9wavefront6targetE1EEEvT1_,@function
_ZN7rocprim17ROCPRIM_400000_NS6detail17trampoline_kernelINS0_14default_configENS1_20scan_config_selectorIjEEZZNS1_9scan_implILNS1_25lookback_scan_determinismE0ELb1ELb1ES3_N6thrust23THRUST_200600_302600_NS6detail15normal_iteratorINS9_10device_ptrIjEEEESE_jNS9_4plusIvEEjEEDaPvRmT3_T4_T5_mT6_P12ihipStream_tbENKUlT_T0_E_clISt17integral_constantIbLb1EESU_EEDaSP_SQ_EUlSP_E0_NS1_11comp_targetILNS1_3genE10ELNS1_11target_archE1201ELNS1_3gpuE5ELNS1_3repE0EEENS1_30default_config_static_selectorELNS0_4arch9wavefront6targetE1EEEvT1_: ; @_ZN7rocprim17ROCPRIM_400000_NS6detail17trampoline_kernelINS0_14default_configENS1_20scan_config_selectorIjEEZZNS1_9scan_implILNS1_25lookback_scan_determinismE0ELb1ELb1ES3_N6thrust23THRUST_200600_302600_NS6detail15normal_iteratorINS9_10device_ptrIjEEEESE_jNS9_4plusIvEEjEEDaPvRmT3_T4_T5_mT6_P12ihipStream_tbENKUlT_T0_E_clISt17integral_constantIbLb1EESU_EEDaSP_SQ_EUlSP_E0_NS1_11comp_targetILNS1_3genE10ELNS1_11target_archE1201ELNS1_3gpuE5ELNS1_3repE0EEENS1_30default_config_static_selectorELNS0_4arch9wavefront6targetE1EEEvT1_
; %bb.0:
	.section	.rodata,"a",@progbits
	.p2align	6, 0x0
	.amdhsa_kernel _ZN7rocprim17ROCPRIM_400000_NS6detail17trampoline_kernelINS0_14default_configENS1_20scan_config_selectorIjEEZZNS1_9scan_implILNS1_25lookback_scan_determinismE0ELb1ELb1ES3_N6thrust23THRUST_200600_302600_NS6detail15normal_iteratorINS9_10device_ptrIjEEEESE_jNS9_4plusIvEEjEEDaPvRmT3_T4_T5_mT6_P12ihipStream_tbENKUlT_T0_E_clISt17integral_constantIbLb1EESU_EEDaSP_SQ_EUlSP_E0_NS1_11comp_targetILNS1_3genE10ELNS1_11target_archE1201ELNS1_3gpuE5ELNS1_3repE0EEENS1_30default_config_static_selectorELNS0_4arch9wavefront6targetE1EEEvT1_
		.amdhsa_group_segment_fixed_size 0
		.amdhsa_private_segment_fixed_size 0
		.amdhsa_kernarg_size 32
		.amdhsa_user_sgpr_count 6
		.amdhsa_user_sgpr_private_segment_buffer 1
		.amdhsa_user_sgpr_dispatch_ptr 0
		.amdhsa_user_sgpr_queue_ptr 0
		.amdhsa_user_sgpr_kernarg_segment_ptr 1
		.amdhsa_user_sgpr_dispatch_id 0
		.amdhsa_user_sgpr_flat_scratch_init 0
		.amdhsa_user_sgpr_kernarg_preload_length 0
		.amdhsa_user_sgpr_kernarg_preload_offset 0
		.amdhsa_user_sgpr_private_segment_size 0
		.amdhsa_uses_dynamic_stack 0
		.amdhsa_system_sgpr_private_segment_wavefront_offset 0
		.amdhsa_system_sgpr_workgroup_id_x 1
		.amdhsa_system_sgpr_workgroup_id_y 0
		.amdhsa_system_sgpr_workgroup_id_z 0
		.amdhsa_system_sgpr_workgroup_info 0
		.amdhsa_system_vgpr_workitem_id 0
		.amdhsa_next_free_vgpr 1
		.amdhsa_next_free_sgpr 0
		.amdhsa_accum_offset 4
		.amdhsa_reserve_vcc 0
		.amdhsa_reserve_flat_scratch 0
		.amdhsa_float_round_mode_32 0
		.amdhsa_float_round_mode_16_64 0
		.amdhsa_float_denorm_mode_32 3
		.amdhsa_float_denorm_mode_16_64 3
		.amdhsa_dx10_clamp 1
		.amdhsa_ieee_mode 1
		.amdhsa_fp16_overflow 0
		.amdhsa_tg_split 0
		.amdhsa_exception_fp_ieee_invalid_op 0
		.amdhsa_exception_fp_denorm_src 0
		.amdhsa_exception_fp_ieee_div_zero 0
		.amdhsa_exception_fp_ieee_overflow 0
		.amdhsa_exception_fp_ieee_underflow 0
		.amdhsa_exception_fp_ieee_inexact 0
		.amdhsa_exception_int_div_zero 0
	.end_amdhsa_kernel
	.section	.text._ZN7rocprim17ROCPRIM_400000_NS6detail17trampoline_kernelINS0_14default_configENS1_20scan_config_selectorIjEEZZNS1_9scan_implILNS1_25lookback_scan_determinismE0ELb1ELb1ES3_N6thrust23THRUST_200600_302600_NS6detail15normal_iteratorINS9_10device_ptrIjEEEESE_jNS9_4plusIvEEjEEDaPvRmT3_T4_T5_mT6_P12ihipStream_tbENKUlT_T0_E_clISt17integral_constantIbLb1EESU_EEDaSP_SQ_EUlSP_E0_NS1_11comp_targetILNS1_3genE10ELNS1_11target_archE1201ELNS1_3gpuE5ELNS1_3repE0EEENS1_30default_config_static_selectorELNS0_4arch9wavefront6targetE1EEEvT1_,"axG",@progbits,_ZN7rocprim17ROCPRIM_400000_NS6detail17trampoline_kernelINS0_14default_configENS1_20scan_config_selectorIjEEZZNS1_9scan_implILNS1_25lookback_scan_determinismE0ELb1ELb1ES3_N6thrust23THRUST_200600_302600_NS6detail15normal_iteratorINS9_10device_ptrIjEEEESE_jNS9_4plusIvEEjEEDaPvRmT3_T4_T5_mT6_P12ihipStream_tbENKUlT_T0_E_clISt17integral_constantIbLb1EESU_EEDaSP_SQ_EUlSP_E0_NS1_11comp_targetILNS1_3genE10ELNS1_11target_archE1201ELNS1_3gpuE5ELNS1_3repE0EEENS1_30default_config_static_selectorELNS0_4arch9wavefront6targetE1EEEvT1_,comdat
.Lfunc_end4678:
	.size	_ZN7rocprim17ROCPRIM_400000_NS6detail17trampoline_kernelINS0_14default_configENS1_20scan_config_selectorIjEEZZNS1_9scan_implILNS1_25lookback_scan_determinismE0ELb1ELb1ES3_N6thrust23THRUST_200600_302600_NS6detail15normal_iteratorINS9_10device_ptrIjEEEESE_jNS9_4plusIvEEjEEDaPvRmT3_T4_T5_mT6_P12ihipStream_tbENKUlT_T0_E_clISt17integral_constantIbLb1EESU_EEDaSP_SQ_EUlSP_E0_NS1_11comp_targetILNS1_3genE10ELNS1_11target_archE1201ELNS1_3gpuE5ELNS1_3repE0EEENS1_30default_config_static_selectorELNS0_4arch9wavefront6targetE1EEEvT1_, .Lfunc_end4678-_ZN7rocprim17ROCPRIM_400000_NS6detail17trampoline_kernelINS0_14default_configENS1_20scan_config_selectorIjEEZZNS1_9scan_implILNS1_25lookback_scan_determinismE0ELb1ELb1ES3_N6thrust23THRUST_200600_302600_NS6detail15normal_iteratorINS9_10device_ptrIjEEEESE_jNS9_4plusIvEEjEEDaPvRmT3_T4_T5_mT6_P12ihipStream_tbENKUlT_T0_E_clISt17integral_constantIbLb1EESU_EEDaSP_SQ_EUlSP_E0_NS1_11comp_targetILNS1_3genE10ELNS1_11target_archE1201ELNS1_3gpuE5ELNS1_3repE0EEENS1_30default_config_static_selectorELNS0_4arch9wavefront6targetE1EEEvT1_
                                        ; -- End function
	.section	.AMDGPU.csdata,"",@progbits
; Kernel info:
; codeLenInByte = 0
; NumSgprs: 4
; NumVgprs: 0
; NumAgprs: 0
; TotalNumVgprs: 0
; ScratchSize: 0
; MemoryBound: 0
; FloatMode: 240
; IeeeMode: 1
; LDSByteSize: 0 bytes/workgroup (compile time only)
; SGPRBlocks: 0
; VGPRBlocks: 0
; NumSGPRsForWavesPerEU: 4
; NumVGPRsForWavesPerEU: 1
; AccumOffset: 4
; Occupancy: 8
; WaveLimiterHint : 0
; COMPUTE_PGM_RSRC2:SCRATCH_EN: 0
; COMPUTE_PGM_RSRC2:USER_SGPR: 6
; COMPUTE_PGM_RSRC2:TRAP_HANDLER: 0
; COMPUTE_PGM_RSRC2:TGID_X_EN: 1
; COMPUTE_PGM_RSRC2:TGID_Y_EN: 0
; COMPUTE_PGM_RSRC2:TGID_Z_EN: 0
; COMPUTE_PGM_RSRC2:TIDIG_COMP_CNT: 0
; COMPUTE_PGM_RSRC3_GFX90A:ACCUM_OFFSET: 0
; COMPUTE_PGM_RSRC3_GFX90A:TG_SPLIT: 0
	.section	.text._ZN7rocprim17ROCPRIM_400000_NS6detail17trampoline_kernelINS0_14default_configENS1_20scan_config_selectorIjEEZZNS1_9scan_implILNS1_25lookback_scan_determinismE0ELb1ELb1ES3_N6thrust23THRUST_200600_302600_NS6detail15normal_iteratorINS9_10device_ptrIjEEEESE_jNS9_4plusIvEEjEEDaPvRmT3_T4_T5_mT6_P12ihipStream_tbENKUlT_T0_E_clISt17integral_constantIbLb1EESU_EEDaSP_SQ_EUlSP_E0_NS1_11comp_targetILNS1_3genE10ELNS1_11target_archE1200ELNS1_3gpuE4ELNS1_3repE0EEENS1_30default_config_static_selectorELNS0_4arch9wavefront6targetE1EEEvT1_,"axG",@progbits,_ZN7rocprim17ROCPRIM_400000_NS6detail17trampoline_kernelINS0_14default_configENS1_20scan_config_selectorIjEEZZNS1_9scan_implILNS1_25lookback_scan_determinismE0ELb1ELb1ES3_N6thrust23THRUST_200600_302600_NS6detail15normal_iteratorINS9_10device_ptrIjEEEESE_jNS9_4plusIvEEjEEDaPvRmT3_T4_T5_mT6_P12ihipStream_tbENKUlT_T0_E_clISt17integral_constantIbLb1EESU_EEDaSP_SQ_EUlSP_E0_NS1_11comp_targetILNS1_3genE10ELNS1_11target_archE1200ELNS1_3gpuE4ELNS1_3repE0EEENS1_30default_config_static_selectorELNS0_4arch9wavefront6targetE1EEEvT1_,comdat
	.protected	_ZN7rocprim17ROCPRIM_400000_NS6detail17trampoline_kernelINS0_14default_configENS1_20scan_config_selectorIjEEZZNS1_9scan_implILNS1_25lookback_scan_determinismE0ELb1ELb1ES3_N6thrust23THRUST_200600_302600_NS6detail15normal_iteratorINS9_10device_ptrIjEEEESE_jNS9_4plusIvEEjEEDaPvRmT3_T4_T5_mT6_P12ihipStream_tbENKUlT_T0_E_clISt17integral_constantIbLb1EESU_EEDaSP_SQ_EUlSP_E0_NS1_11comp_targetILNS1_3genE10ELNS1_11target_archE1200ELNS1_3gpuE4ELNS1_3repE0EEENS1_30default_config_static_selectorELNS0_4arch9wavefront6targetE1EEEvT1_ ; -- Begin function _ZN7rocprim17ROCPRIM_400000_NS6detail17trampoline_kernelINS0_14default_configENS1_20scan_config_selectorIjEEZZNS1_9scan_implILNS1_25lookback_scan_determinismE0ELb1ELb1ES3_N6thrust23THRUST_200600_302600_NS6detail15normal_iteratorINS9_10device_ptrIjEEEESE_jNS9_4plusIvEEjEEDaPvRmT3_T4_T5_mT6_P12ihipStream_tbENKUlT_T0_E_clISt17integral_constantIbLb1EESU_EEDaSP_SQ_EUlSP_E0_NS1_11comp_targetILNS1_3genE10ELNS1_11target_archE1200ELNS1_3gpuE4ELNS1_3repE0EEENS1_30default_config_static_selectorELNS0_4arch9wavefront6targetE1EEEvT1_
	.globl	_ZN7rocprim17ROCPRIM_400000_NS6detail17trampoline_kernelINS0_14default_configENS1_20scan_config_selectorIjEEZZNS1_9scan_implILNS1_25lookback_scan_determinismE0ELb1ELb1ES3_N6thrust23THRUST_200600_302600_NS6detail15normal_iteratorINS9_10device_ptrIjEEEESE_jNS9_4plusIvEEjEEDaPvRmT3_T4_T5_mT6_P12ihipStream_tbENKUlT_T0_E_clISt17integral_constantIbLb1EESU_EEDaSP_SQ_EUlSP_E0_NS1_11comp_targetILNS1_3genE10ELNS1_11target_archE1200ELNS1_3gpuE4ELNS1_3repE0EEENS1_30default_config_static_selectorELNS0_4arch9wavefront6targetE1EEEvT1_
	.p2align	8
	.type	_ZN7rocprim17ROCPRIM_400000_NS6detail17trampoline_kernelINS0_14default_configENS1_20scan_config_selectorIjEEZZNS1_9scan_implILNS1_25lookback_scan_determinismE0ELb1ELb1ES3_N6thrust23THRUST_200600_302600_NS6detail15normal_iteratorINS9_10device_ptrIjEEEESE_jNS9_4plusIvEEjEEDaPvRmT3_T4_T5_mT6_P12ihipStream_tbENKUlT_T0_E_clISt17integral_constantIbLb1EESU_EEDaSP_SQ_EUlSP_E0_NS1_11comp_targetILNS1_3genE10ELNS1_11target_archE1200ELNS1_3gpuE4ELNS1_3repE0EEENS1_30default_config_static_selectorELNS0_4arch9wavefront6targetE1EEEvT1_,@function
_ZN7rocprim17ROCPRIM_400000_NS6detail17trampoline_kernelINS0_14default_configENS1_20scan_config_selectorIjEEZZNS1_9scan_implILNS1_25lookback_scan_determinismE0ELb1ELb1ES3_N6thrust23THRUST_200600_302600_NS6detail15normal_iteratorINS9_10device_ptrIjEEEESE_jNS9_4plusIvEEjEEDaPvRmT3_T4_T5_mT6_P12ihipStream_tbENKUlT_T0_E_clISt17integral_constantIbLb1EESU_EEDaSP_SQ_EUlSP_E0_NS1_11comp_targetILNS1_3genE10ELNS1_11target_archE1200ELNS1_3gpuE4ELNS1_3repE0EEENS1_30default_config_static_selectorELNS0_4arch9wavefront6targetE1EEEvT1_: ; @_ZN7rocprim17ROCPRIM_400000_NS6detail17trampoline_kernelINS0_14default_configENS1_20scan_config_selectorIjEEZZNS1_9scan_implILNS1_25lookback_scan_determinismE0ELb1ELb1ES3_N6thrust23THRUST_200600_302600_NS6detail15normal_iteratorINS9_10device_ptrIjEEEESE_jNS9_4plusIvEEjEEDaPvRmT3_T4_T5_mT6_P12ihipStream_tbENKUlT_T0_E_clISt17integral_constantIbLb1EESU_EEDaSP_SQ_EUlSP_E0_NS1_11comp_targetILNS1_3genE10ELNS1_11target_archE1200ELNS1_3gpuE4ELNS1_3repE0EEENS1_30default_config_static_selectorELNS0_4arch9wavefront6targetE1EEEvT1_
; %bb.0:
	.section	.rodata,"a",@progbits
	.p2align	6, 0x0
	.amdhsa_kernel _ZN7rocprim17ROCPRIM_400000_NS6detail17trampoline_kernelINS0_14default_configENS1_20scan_config_selectorIjEEZZNS1_9scan_implILNS1_25lookback_scan_determinismE0ELb1ELb1ES3_N6thrust23THRUST_200600_302600_NS6detail15normal_iteratorINS9_10device_ptrIjEEEESE_jNS9_4plusIvEEjEEDaPvRmT3_T4_T5_mT6_P12ihipStream_tbENKUlT_T0_E_clISt17integral_constantIbLb1EESU_EEDaSP_SQ_EUlSP_E0_NS1_11comp_targetILNS1_3genE10ELNS1_11target_archE1200ELNS1_3gpuE4ELNS1_3repE0EEENS1_30default_config_static_selectorELNS0_4arch9wavefront6targetE1EEEvT1_
		.amdhsa_group_segment_fixed_size 0
		.amdhsa_private_segment_fixed_size 0
		.amdhsa_kernarg_size 32
		.amdhsa_user_sgpr_count 6
		.amdhsa_user_sgpr_private_segment_buffer 1
		.amdhsa_user_sgpr_dispatch_ptr 0
		.amdhsa_user_sgpr_queue_ptr 0
		.amdhsa_user_sgpr_kernarg_segment_ptr 1
		.amdhsa_user_sgpr_dispatch_id 0
		.amdhsa_user_sgpr_flat_scratch_init 0
		.amdhsa_user_sgpr_kernarg_preload_length 0
		.amdhsa_user_sgpr_kernarg_preload_offset 0
		.amdhsa_user_sgpr_private_segment_size 0
		.amdhsa_uses_dynamic_stack 0
		.amdhsa_system_sgpr_private_segment_wavefront_offset 0
		.amdhsa_system_sgpr_workgroup_id_x 1
		.amdhsa_system_sgpr_workgroup_id_y 0
		.amdhsa_system_sgpr_workgroup_id_z 0
		.amdhsa_system_sgpr_workgroup_info 0
		.amdhsa_system_vgpr_workitem_id 0
		.amdhsa_next_free_vgpr 1
		.amdhsa_next_free_sgpr 0
		.amdhsa_accum_offset 4
		.amdhsa_reserve_vcc 0
		.amdhsa_reserve_flat_scratch 0
		.amdhsa_float_round_mode_32 0
		.amdhsa_float_round_mode_16_64 0
		.amdhsa_float_denorm_mode_32 3
		.amdhsa_float_denorm_mode_16_64 3
		.amdhsa_dx10_clamp 1
		.amdhsa_ieee_mode 1
		.amdhsa_fp16_overflow 0
		.amdhsa_tg_split 0
		.amdhsa_exception_fp_ieee_invalid_op 0
		.amdhsa_exception_fp_denorm_src 0
		.amdhsa_exception_fp_ieee_div_zero 0
		.amdhsa_exception_fp_ieee_overflow 0
		.amdhsa_exception_fp_ieee_underflow 0
		.amdhsa_exception_fp_ieee_inexact 0
		.amdhsa_exception_int_div_zero 0
	.end_amdhsa_kernel
	.section	.text._ZN7rocprim17ROCPRIM_400000_NS6detail17trampoline_kernelINS0_14default_configENS1_20scan_config_selectorIjEEZZNS1_9scan_implILNS1_25lookback_scan_determinismE0ELb1ELb1ES3_N6thrust23THRUST_200600_302600_NS6detail15normal_iteratorINS9_10device_ptrIjEEEESE_jNS9_4plusIvEEjEEDaPvRmT3_T4_T5_mT6_P12ihipStream_tbENKUlT_T0_E_clISt17integral_constantIbLb1EESU_EEDaSP_SQ_EUlSP_E0_NS1_11comp_targetILNS1_3genE10ELNS1_11target_archE1200ELNS1_3gpuE4ELNS1_3repE0EEENS1_30default_config_static_selectorELNS0_4arch9wavefront6targetE1EEEvT1_,"axG",@progbits,_ZN7rocprim17ROCPRIM_400000_NS6detail17trampoline_kernelINS0_14default_configENS1_20scan_config_selectorIjEEZZNS1_9scan_implILNS1_25lookback_scan_determinismE0ELb1ELb1ES3_N6thrust23THRUST_200600_302600_NS6detail15normal_iteratorINS9_10device_ptrIjEEEESE_jNS9_4plusIvEEjEEDaPvRmT3_T4_T5_mT6_P12ihipStream_tbENKUlT_T0_E_clISt17integral_constantIbLb1EESU_EEDaSP_SQ_EUlSP_E0_NS1_11comp_targetILNS1_3genE10ELNS1_11target_archE1200ELNS1_3gpuE4ELNS1_3repE0EEENS1_30default_config_static_selectorELNS0_4arch9wavefront6targetE1EEEvT1_,comdat
.Lfunc_end4679:
	.size	_ZN7rocprim17ROCPRIM_400000_NS6detail17trampoline_kernelINS0_14default_configENS1_20scan_config_selectorIjEEZZNS1_9scan_implILNS1_25lookback_scan_determinismE0ELb1ELb1ES3_N6thrust23THRUST_200600_302600_NS6detail15normal_iteratorINS9_10device_ptrIjEEEESE_jNS9_4plusIvEEjEEDaPvRmT3_T4_T5_mT6_P12ihipStream_tbENKUlT_T0_E_clISt17integral_constantIbLb1EESU_EEDaSP_SQ_EUlSP_E0_NS1_11comp_targetILNS1_3genE10ELNS1_11target_archE1200ELNS1_3gpuE4ELNS1_3repE0EEENS1_30default_config_static_selectorELNS0_4arch9wavefront6targetE1EEEvT1_, .Lfunc_end4679-_ZN7rocprim17ROCPRIM_400000_NS6detail17trampoline_kernelINS0_14default_configENS1_20scan_config_selectorIjEEZZNS1_9scan_implILNS1_25lookback_scan_determinismE0ELb1ELb1ES3_N6thrust23THRUST_200600_302600_NS6detail15normal_iteratorINS9_10device_ptrIjEEEESE_jNS9_4plusIvEEjEEDaPvRmT3_T4_T5_mT6_P12ihipStream_tbENKUlT_T0_E_clISt17integral_constantIbLb1EESU_EEDaSP_SQ_EUlSP_E0_NS1_11comp_targetILNS1_3genE10ELNS1_11target_archE1200ELNS1_3gpuE4ELNS1_3repE0EEENS1_30default_config_static_selectorELNS0_4arch9wavefront6targetE1EEEvT1_
                                        ; -- End function
	.section	.AMDGPU.csdata,"",@progbits
; Kernel info:
; codeLenInByte = 0
; NumSgprs: 4
; NumVgprs: 0
; NumAgprs: 0
; TotalNumVgprs: 0
; ScratchSize: 0
; MemoryBound: 0
; FloatMode: 240
; IeeeMode: 1
; LDSByteSize: 0 bytes/workgroup (compile time only)
; SGPRBlocks: 0
; VGPRBlocks: 0
; NumSGPRsForWavesPerEU: 4
; NumVGPRsForWavesPerEU: 1
; AccumOffset: 4
; Occupancy: 8
; WaveLimiterHint : 0
; COMPUTE_PGM_RSRC2:SCRATCH_EN: 0
; COMPUTE_PGM_RSRC2:USER_SGPR: 6
; COMPUTE_PGM_RSRC2:TRAP_HANDLER: 0
; COMPUTE_PGM_RSRC2:TGID_X_EN: 1
; COMPUTE_PGM_RSRC2:TGID_Y_EN: 0
; COMPUTE_PGM_RSRC2:TGID_Z_EN: 0
; COMPUTE_PGM_RSRC2:TIDIG_COMP_CNT: 0
; COMPUTE_PGM_RSRC3_GFX90A:ACCUM_OFFSET: 0
; COMPUTE_PGM_RSRC3_GFX90A:TG_SPLIT: 0
	.section	.text._ZN7rocprim17ROCPRIM_400000_NS6detail17trampoline_kernelINS0_14default_configENS1_20scan_config_selectorIjEEZZNS1_9scan_implILNS1_25lookback_scan_determinismE0ELb1ELb1ES3_N6thrust23THRUST_200600_302600_NS6detail15normal_iteratorINS9_10device_ptrIjEEEESE_jNS9_4plusIvEEjEEDaPvRmT3_T4_T5_mT6_P12ihipStream_tbENKUlT_T0_E_clISt17integral_constantIbLb1EESU_EEDaSP_SQ_EUlSP_E0_NS1_11comp_targetILNS1_3genE9ELNS1_11target_archE1100ELNS1_3gpuE3ELNS1_3repE0EEENS1_30default_config_static_selectorELNS0_4arch9wavefront6targetE1EEEvT1_,"axG",@progbits,_ZN7rocprim17ROCPRIM_400000_NS6detail17trampoline_kernelINS0_14default_configENS1_20scan_config_selectorIjEEZZNS1_9scan_implILNS1_25lookback_scan_determinismE0ELb1ELb1ES3_N6thrust23THRUST_200600_302600_NS6detail15normal_iteratorINS9_10device_ptrIjEEEESE_jNS9_4plusIvEEjEEDaPvRmT3_T4_T5_mT6_P12ihipStream_tbENKUlT_T0_E_clISt17integral_constantIbLb1EESU_EEDaSP_SQ_EUlSP_E0_NS1_11comp_targetILNS1_3genE9ELNS1_11target_archE1100ELNS1_3gpuE3ELNS1_3repE0EEENS1_30default_config_static_selectorELNS0_4arch9wavefront6targetE1EEEvT1_,comdat
	.protected	_ZN7rocprim17ROCPRIM_400000_NS6detail17trampoline_kernelINS0_14default_configENS1_20scan_config_selectorIjEEZZNS1_9scan_implILNS1_25lookback_scan_determinismE0ELb1ELb1ES3_N6thrust23THRUST_200600_302600_NS6detail15normal_iteratorINS9_10device_ptrIjEEEESE_jNS9_4plusIvEEjEEDaPvRmT3_T4_T5_mT6_P12ihipStream_tbENKUlT_T0_E_clISt17integral_constantIbLb1EESU_EEDaSP_SQ_EUlSP_E0_NS1_11comp_targetILNS1_3genE9ELNS1_11target_archE1100ELNS1_3gpuE3ELNS1_3repE0EEENS1_30default_config_static_selectorELNS0_4arch9wavefront6targetE1EEEvT1_ ; -- Begin function _ZN7rocprim17ROCPRIM_400000_NS6detail17trampoline_kernelINS0_14default_configENS1_20scan_config_selectorIjEEZZNS1_9scan_implILNS1_25lookback_scan_determinismE0ELb1ELb1ES3_N6thrust23THRUST_200600_302600_NS6detail15normal_iteratorINS9_10device_ptrIjEEEESE_jNS9_4plusIvEEjEEDaPvRmT3_T4_T5_mT6_P12ihipStream_tbENKUlT_T0_E_clISt17integral_constantIbLb1EESU_EEDaSP_SQ_EUlSP_E0_NS1_11comp_targetILNS1_3genE9ELNS1_11target_archE1100ELNS1_3gpuE3ELNS1_3repE0EEENS1_30default_config_static_selectorELNS0_4arch9wavefront6targetE1EEEvT1_
	.globl	_ZN7rocprim17ROCPRIM_400000_NS6detail17trampoline_kernelINS0_14default_configENS1_20scan_config_selectorIjEEZZNS1_9scan_implILNS1_25lookback_scan_determinismE0ELb1ELb1ES3_N6thrust23THRUST_200600_302600_NS6detail15normal_iteratorINS9_10device_ptrIjEEEESE_jNS9_4plusIvEEjEEDaPvRmT3_T4_T5_mT6_P12ihipStream_tbENKUlT_T0_E_clISt17integral_constantIbLb1EESU_EEDaSP_SQ_EUlSP_E0_NS1_11comp_targetILNS1_3genE9ELNS1_11target_archE1100ELNS1_3gpuE3ELNS1_3repE0EEENS1_30default_config_static_selectorELNS0_4arch9wavefront6targetE1EEEvT1_
	.p2align	8
	.type	_ZN7rocprim17ROCPRIM_400000_NS6detail17trampoline_kernelINS0_14default_configENS1_20scan_config_selectorIjEEZZNS1_9scan_implILNS1_25lookback_scan_determinismE0ELb1ELb1ES3_N6thrust23THRUST_200600_302600_NS6detail15normal_iteratorINS9_10device_ptrIjEEEESE_jNS9_4plusIvEEjEEDaPvRmT3_T4_T5_mT6_P12ihipStream_tbENKUlT_T0_E_clISt17integral_constantIbLb1EESU_EEDaSP_SQ_EUlSP_E0_NS1_11comp_targetILNS1_3genE9ELNS1_11target_archE1100ELNS1_3gpuE3ELNS1_3repE0EEENS1_30default_config_static_selectorELNS0_4arch9wavefront6targetE1EEEvT1_,@function
_ZN7rocprim17ROCPRIM_400000_NS6detail17trampoline_kernelINS0_14default_configENS1_20scan_config_selectorIjEEZZNS1_9scan_implILNS1_25lookback_scan_determinismE0ELb1ELb1ES3_N6thrust23THRUST_200600_302600_NS6detail15normal_iteratorINS9_10device_ptrIjEEEESE_jNS9_4plusIvEEjEEDaPvRmT3_T4_T5_mT6_P12ihipStream_tbENKUlT_T0_E_clISt17integral_constantIbLb1EESU_EEDaSP_SQ_EUlSP_E0_NS1_11comp_targetILNS1_3genE9ELNS1_11target_archE1100ELNS1_3gpuE3ELNS1_3repE0EEENS1_30default_config_static_selectorELNS0_4arch9wavefront6targetE1EEEvT1_: ; @_ZN7rocprim17ROCPRIM_400000_NS6detail17trampoline_kernelINS0_14default_configENS1_20scan_config_selectorIjEEZZNS1_9scan_implILNS1_25lookback_scan_determinismE0ELb1ELb1ES3_N6thrust23THRUST_200600_302600_NS6detail15normal_iteratorINS9_10device_ptrIjEEEESE_jNS9_4plusIvEEjEEDaPvRmT3_T4_T5_mT6_P12ihipStream_tbENKUlT_T0_E_clISt17integral_constantIbLb1EESU_EEDaSP_SQ_EUlSP_E0_NS1_11comp_targetILNS1_3genE9ELNS1_11target_archE1100ELNS1_3gpuE3ELNS1_3repE0EEENS1_30default_config_static_selectorELNS0_4arch9wavefront6targetE1EEEvT1_
; %bb.0:
	.section	.rodata,"a",@progbits
	.p2align	6, 0x0
	.amdhsa_kernel _ZN7rocprim17ROCPRIM_400000_NS6detail17trampoline_kernelINS0_14default_configENS1_20scan_config_selectorIjEEZZNS1_9scan_implILNS1_25lookback_scan_determinismE0ELb1ELb1ES3_N6thrust23THRUST_200600_302600_NS6detail15normal_iteratorINS9_10device_ptrIjEEEESE_jNS9_4plusIvEEjEEDaPvRmT3_T4_T5_mT6_P12ihipStream_tbENKUlT_T0_E_clISt17integral_constantIbLb1EESU_EEDaSP_SQ_EUlSP_E0_NS1_11comp_targetILNS1_3genE9ELNS1_11target_archE1100ELNS1_3gpuE3ELNS1_3repE0EEENS1_30default_config_static_selectorELNS0_4arch9wavefront6targetE1EEEvT1_
		.amdhsa_group_segment_fixed_size 0
		.amdhsa_private_segment_fixed_size 0
		.amdhsa_kernarg_size 32
		.amdhsa_user_sgpr_count 6
		.amdhsa_user_sgpr_private_segment_buffer 1
		.amdhsa_user_sgpr_dispatch_ptr 0
		.amdhsa_user_sgpr_queue_ptr 0
		.amdhsa_user_sgpr_kernarg_segment_ptr 1
		.amdhsa_user_sgpr_dispatch_id 0
		.amdhsa_user_sgpr_flat_scratch_init 0
		.amdhsa_user_sgpr_kernarg_preload_length 0
		.amdhsa_user_sgpr_kernarg_preload_offset 0
		.amdhsa_user_sgpr_private_segment_size 0
		.amdhsa_uses_dynamic_stack 0
		.amdhsa_system_sgpr_private_segment_wavefront_offset 0
		.amdhsa_system_sgpr_workgroup_id_x 1
		.amdhsa_system_sgpr_workgroup_id_y 0
		.amdhsa_system_sgpr_workgroup_id_z 0
		.amdhsa_system_sgpr_workgroup_info 0
		.amdhsa_system_vgpr_workitem_id 0
		.amdhsa_next_free_vgpr 1
		.amdhsa_next_free_sgpr 0
		.amdhsa_accum_offset 4
		.amdhsa_reserve_vcc 0
		.amdhsa_reserve_flat_scratch 0
		.amdhsa_float_round_mode_32 0
		.amdhsa_float_round_mode_16_64 0
		.amdhsa_float_denorm_mode_32 3
		.amdhsa_float_denorm_mode_16_64 3
		.amdhsa_dx10_clamp 1
		.amdhsa_ieee_mode 1
		.amdhsa_fp16_overflow 0
		.amdhsa_tg_split 0
		.amdhsa_exception_fp_ieee_invalid_op 0
		.amdhsa_exception_fp_denorm_src 0
		.amdhsa_exception_fp_ieee_div_zero 0
		.amdhsa_exception_fp_ieee_overflow 0
		.amdhsa_exception_fp_ieee_underflow 0
		.amdhsa_exception_fp_ieee_inexact 0
		.amdhsa_exception_int_div_zero 0
	.end_amdhsa_kernel
	.section	.text._ZN7rocprim17ROCPRIM_400000_NS6detail17trampoline_kernelINS0_14default_configENS1_20scan_config_selectorIjEEZZNS1_9scan_implILNS1_25lookback_scan_determinismE0ELb1ELb1ES3_N6thrust23THRUST_200600_302600_NS6detail15normal_iteratorINS9_10device_ptrIjEEEESE_jNS9_4plusIvEEjEEDaPvRmT3_T4_T5_mT6_P12ihipStream_tbENKUlT_T0_E_clISt17integral_constantIbLb1EESU_EEDaSP_SQ_EUlSP_E0_NS1_11comp_targetILNS1_3genE9ELNS1_11target_archE1100ELNS1_3gpuE3ELNS1_3repE0EEENS1_30default_config_static_selectorELNS0_4arch9wavefront6targetE1EEEvT1_,"axG",@progbits,_ZN7rocprim17ROCPRIM_400000_NS6detail17trampoline_kernelINS0_14default_configENS1_20scan_config_selectorIjEEZZNS1_9scan_implILNS1_25lookback_scan_determinismE0ELb1ELb1ES3_N6thrust23THRUST_200600_302600_NS6detail15normal_iteratorINS9_10device_ptrIjEEEESE_jNS9_4plusIvEEjEEDaPvRmT3_T4_T5_mT6_P12ihipStream_tbENKUlT_T0_E_clISt17integral_constantIbLb1EESU_EEDaSP_SQ_EUlSP_E0_NS1_11comp_targetILNS1_3genE9ELNS1_11target_archE1100ELNS1_3gpuE3ELNS1_3repE0EEENS1_30default_config_static_selectorELNS0_4arch9wavefront6targetE1EEEvT1_,comdat
.Lfunc_end4680:
	.size	_ZN7rocprim17ROCPRIM_400000_NS6detail17trampoline_kernelINS0_14default_configENS1_20scan_config_selectorIjEEZZNS1_9scan_implILNS1_25lookback_scan_determinismE0ELb1ELb1ES3_N6thrust23THRUST_200600_302600_NS6detail15normal_iteratorINS9_10device_ptrIjEEEESE_jNS9_4plusIvEEjEEDaPvRmT3_T4_T5_mT6_P12ihipStream_tbENKUlT_T0_E_clISt17integral_constantIbLb1EESU_EEDaSP_SQ_EUlSP_E0_NS1_11comp_targetILNS1_3genE9ELNS1_11target_archE1100ELNS1_3gpuE3ELNS1_3repE0EEENS1_30default_config_static_selectorELNS0_4arch9wavefront6targetE1EEEvT1_, .Lfunc_end4680-_ZN7rocprim17ROCPRIM_400000_NS6detail17trampoline_kernelINS0_14default_configENS1_20scan_config_selectorIjEEZZNS1_9scan_implILNS1_25lookback_scan_determinismE0ELb1ELb1ES3_N6thrust23THRUST_200600_302600_NS6detail15normal_iteratorINS9_10device_ptrIjEEEESE_jNS9_4plusIvEEjEEDaPvRmT3_T4_T5_mT6_P12ihipStream_tbENKUlT_T0_E_clISt17integral_constantIbLb1EESU_EEDaSP_SQ_EUlSP_E0_NS1_11comp_targetILNS1_3genE9ELNS1_11target_archE1100ELNS1_3gpuE3ELNS1_3repE0EEENS1_30default_config_static_selectorELNS0_4arch9wavefront6targetE1EEEvT1_
                                        ; -- End function
	.section	.AMDGPU.csdata,"",@progbits
; Kernel info:
; codeLenInByte = 0
; NumSgprs: 4
; NumVgprs: 0
; NumAgprs: 0
; TotalNumVgprs: 0
; ScratchSize: 0
; MemoryBound: 0
; FloatMode: 240
; IeeeMode: 1
; LDSByteSize: 0 bytes/workgroup (compile time only)
; SGPRBlocks: 0
; VGPRBlocks: 0
; NumSGPRsForWavesPerEU: 4
; NumVGPRsForWavesPerEU: 1
; AccumOffset: 4
; Occupancy: 8
; WaveLimiterHint : 0
; COMPUTE_PGM_RSRC2:SCRATCH_EN: 0
; COMPUTE_PGM_RSRC2:USER_SGPR: 6
; COMPUTE_PGM_RSRC2:TRAP_HANDLER: 0
; COMPUTE_PGM_RSRC2:TGID_X_EN: 1
; COMPUTE_PGM_RSRC2:TGID_Y_EN: 0
; COMPUTE_PGM_RSRC2:TGID_Z_EN: 0
; COMPUTE_PGM_RSRC2:TIDIG_COMP_CNT: 0
; COMPUTE_PGM_RSRC3_GFX90A:ACCUM_OFFSET: 0
; COMPUTE_PGM_RSRC3_GFX90A:TG_SPLIT: 0
	.section	.text._ZN7rocprim17ROCPRIM_400000_NS6detail17trampoline_kernelINS0_14default_configENS1_20scan_config_selectorIjEEZZNS1_9scan_implILNS1_25lookback_scan_determinismE0ELb1ELb1ES3_N6thrust23THRUST_200600_302600_NS6detail15normal_iteratorINS9_10device_ptrIjEEEESE_jNS9_4plusIvEEjEEDaPvRmT3_T4_T5_mT6_P12ihipStream_tbENKUlT_T0_E_clISt17integral_constantIbLb1EESU_EEDaSP_SQ_EUlSP_E0_NS1_11comp_targetILNS1_3genE8ELNS1_11target_archE1030ELNS1_3gpuE2ELNS1_3repE0EEENS1_30default_config_static_selectorELNS0_4arch9wavefront6targetE1EEEvT1_,"axG",@progbits,_ZN7rocprim17ROCPRIM_400000_NS6detail17trampoline_kernelINS0_14default_configENS1_20scan_config_selectorIjEEZZNS1_9scan_implILNS1_25lookback_scan_determinismE0ELb1ELb1ES3_N6thrust23THRUST_200600_302600_NS6detail15normal_iteratorINS9_10device_ptrIjEEEESE_jNS9_4plusIvEEjEEDaPvRmT3_T4_T5_mT6_P12ihipStream_tbENKUlT_T0_E_clISt17integral_constantIbLb1EESU_EEDaSP_SQ_EUlSP_E0_NS1_11comp_targetILNS1_3genE8ELNS1_11target_archE1030ELNS1_3gpuE2ELNS1_3repE0EEENS1_30default_config_static_selectorELNS0_4arch9wavefront6targetE1EEEvT1_,comdat
	.protected	_ZN7rocprim17ROCPRIM_400000_NS6detail17trampoline_kernelINS0_14default_configENS1_20scan_config_selectorIjEEZZNS1_9scan_implILNS1_25lookback_scan_determinismE0ELb1ELb1ES3_N6thrust23THRUST_200600_302600_NS6detail15normal_iteratorINS9_10device_ptrIjEEEESE_jNS9_4plusIvEEjEEDaPvRmT3_T4_T5_mT6_P12ihipStream_tbENKUlT_T0_E_clISt17integral_constantIbLb1EESU_EEDaSP_SQ_EUlSP_E0_NS1_11comp_targetILNS1_3genE8ELNS1_11target_archE1030ELNS1_3gpuE2ELNS1_3repE0EEENS1_30default_config_static_selectorELNS0_4arch9wavefront6targetE1EEEvT1_ ; -- Begin function _ZN7rocprim17ROCPRIM_400000_NS6detail17trampoline_kernelINS0_14default_configENS1_20scan_config_selectorIjEEZZNS1_9scan_implILNS1_25lookback_scan_determinismE0ELb1ELb1ES3_N6thrust23THRUST_200600_302600_NS6detail15normal_iteratorINS9_10device_ptrIjEEEESE_jNS9_4plusIvEEjEEDaPvRmT3_T4_T5_mT6_P12ihipStream_tbENKUlT_T0_E_clISt17integral_constantIbLb1EESU_EEDaSP_SQ_EUlSP_E0_NS1_11comp_targetILNS1_3genE8ELNS1_11target_archE1030ELNS1_3gpuE2ELNS1_3repE0EEENS1_30default_config_static_selectorELNS0_4arch9wavefront6targetE1EEEvT1_
	.globl	_ZN7rocprim17ROCPRIM_400000_NS6detail17trampoline_kernelINS0_14default_configENS1_20scan_config_selectorIjEEZZNS1_9scan_implILNS1_25lookback_scan_determinismE0ELb1ELb1ES3_N6thrust23THRUST_200600_302600_NS6detail15normal_iteratorINS9_10device_ptrIjEEEESE_jNS9_4plusIvEEjEEDaPvRmT3_T4_T5_mT6_P12ihipStream_tbENKUlT_T0_E_clISt17integral_constantIbLb1EESU_EEDaSP_SQ_EUlSP_E0_NS1_11comp_targetILNS1_3genE8ELNS1_11target_archE1030ELNS1_3gpuE2ELNS1_3repE0EEENS1_30default_config_static_selectorELNS0_4arch9wavefront6targetE1EEEvT1_
	.p2align	8
	.type	_ZN7rocprim17ROCPRIM_400000_NS6detail17trampoline_kernelINS0_14default_configENS1_20scan_config_selectorIjEEZZNS1_9scan_implILNS1_25lookback_scan_determinismE0ELb1ELb1ES3_N6thrust23THRUST_200600_302600_NS6detail15normal_iteratorINS9_10device_ptrIjEEEESE_jNS9_4plusIvEEjEEDaPvRmT3_T4_T5_mT6_P12ihipStream_tbENKUlT_T0_E_clISt17integral_constantIbLb1EESU_EEDaSP_SQ_EUlSP_E0_NS1_11comp_targetILNS1_3genE8ELNS1_11target_archE1030ELNS1_3gpuE2ELNS1_3repE0EEENS1_30default_config_static_selectorELNS0_4arch9wavefront6targetE1EEEvT1_,@function
_ZN7rocprim17ROCPRIM_400000_NS6detail17trampoline_kernelINS0_14default_configENS1_20scan_config_selectorIjEEZZNS1_9scan_implILNS1_25lookback_scan_determinismE0ELb1ELb1ES3_N6thrust23THRUST_200600_302600_NS6detail15normal_iteratorINS9_10device_ptrIjEEEESE_jNS9_4plusIvEEjEEDaPvRmT3_T4_T5_mT6_P12ihipStream_tbENKUlT_T0_E_clISt17integral_constantIbLb1EESU_EEDaSP_SQ_EUlSP_E0_NS1_11comp_targetILNS1_3genE8ELNS1_11target_archE1030ELNS1_3gpuE2ELNS1_3repE0EEENS1_30default_config_static_selectorELNS0_4arch9wavefront6targetE1EEEvT1_: ; @_ZN7rocprim17ROCPRIM_400000_NS6detail17trampoline_kernelINS0_14default_configENS1_20scan_config_selectorIjEEZZNS1_9scan_implILNS1_25lookback_scan_determinismE0ELb1ELb1ES3_N6thrust23THRUST_200600_302600_NS6detail15normal_iteratorINS9_10device_ptrIjEEEESE_jNS9_4plusIvEEjEEDaPvRmT3_T4_T5_mT6_P12ihipStream_tbENKUlT_T0_E_clISt17integral_constantIbLb1EESU_EEDaSP_SQ_EUlSP_E0_NS1_11comp_targetILNS1_3genE8ELNS1_11target_archE1030ELNS1_3gpuE2ELNS1_3repE0EEENS1_30default_config_static_selectorELNS0_4arch9wavefront6targetE1EEEvT1_
; %bb.0:
	.section	.rodata,"a",@progbits
	.p2align	6, 0x0
	.amdhsa_kernel _ZN7rocprim17ROCPRIM_400000_NS6detail17trampoline_kernelINS0_14default_configENS1_20scan_config_selectorIjEEZZNS1_9scan_implILNS1_25lookback_scan_determinismE0ELb1ELb1ES3_N6thrust23THRUST_200600_302600_NS6detail15normal_iteratorINS9_10device_ptrIjEEEESE_jNS9_4plusIvEEjEEDaPvRmT3_T4_T5_mT6_P12ihipStream_tbENKUlT_T0_E_clISt17integral_constantIbLb1EESU_EEDaSP_SQ_EUlSP_E0_NS1_11comp_targetILNS1_3genE8ELNS1_11target_archE1030ELNS1_3gpuE2ELNS1_3repE0EEENS1_30default_config_static_selectorELNS0_4arch9wavefront6targetE1EEEvT1_
		.amdhsa_group_segment_fixed_size 0
		.amdhsa_private_segment_fixed_size 0
		.amdhsa_kernarg_size 32
		.amdhsa_user_sgpr_count 6
		.amdhsa_user_sgpr_private_segment_buffer 1
		.amdhsa_user_sgpr_dispatch_ptr 0
		.amdhsa_user_sgpr_queue_ptr 0
		.amdhsa_user_sgpr_kernarg_segment_ptr 1
		.amdhsa_user_sgpr_dispatch_id 0
		.amdhsa_user_sgpr_flat_scratch_init 0
		.amdhsa_user_sgpr_kernarg_preload_length 0
		.amdhsa_user_sgpr_kernarg_preload_offset 0
		.amdhsa_user_sgpr_private_segment_size 0
		.amdhsa_uses_dynamic_stack 0
		.amdhsa_system_sgpr_private_segment_wavefront_offset 0
		.amdhsa_system_sgpr_workgroup_id_x 1
		.amdhsa_system_sgpr_workgroup_id_y 0
		.amdhsa_system_sgpr_workgroup_id_z 0
		.amdhsa_system_sgpr_workgroup_info 0
		.amdhsa_system_vgpr_workitem_id 0
		.amdhsa_next_free_vgpr 1
		.amdhsa_next_free_sgpr 0
		.amdhsa_accum_offset 4
		.amdhsa_reserve_vcc 0
		.amdhsa_reserve_flat_scratch 0
		.amdhsa_float_round_mode_32 0
		.amdhsa_float_round_mode_16_64 0
		.amdhsa_float_denorm_mode_32 3
		.amdhsa_float_denorm_mode_16_64 3
		.amdhsa_dx10_clamp 1
		.amdhsa_ieee_mode 1
		.amdhsa_fp16_overflow 0
		.amdhsa_tg_split 0
		.amdhsa_exception_fp_ieee_invalid_op 0
		.amdhsa_exception_fp_denorm_src 0
		.amdhsa_exception_fp_ieee_div_zero 0
		.amdhsa_exception_fp_ieee_overflow 0
		.amdhsa_exception_fp_ieee_underflow 0
		.amdhsa_exception_fp_ieee_inexact 0
		.amdhsa_exception_int_div_zero 0
	.end_amdhsa_kernel
	.section	.text._ZN7rocprim17ROCPRIM_400000_NS6detail17trampoline_kernelINS0_14default_configENS1_20scan_config_selectorIjEEZZNS1_9scan_implILNS1_25lookback_scan_determinismE0ELb1ELb1ES3_N6thrust23THRUST_200600_302600_NS6detail15normal_iteratorINS9_10device_ptrIjEEEESE_jNS9_4plusIvEEjEEDaPvRmT3_T4_T5_mT6_P12ihipStream_tbENKUlT_T0_E_clISt17integral_constantIbLb1EESU_EEDaSP_SQ_EUlSP_E0_NS1_11comp_targetILNS1_3genE8ELNS1_11target_archE1030ELNS1_3gpuE2ELNS1_3repE0EEENS1_30default_config_static_selectorELNS0_4arch9wavefront6targetE1EEEvT1_,"axG",@progbits,_ZN7rocprim17ROCPRIM_400000_NS6detail17trampoline_kernelINS0_14default_configENS1_20scan_config_selectorIjEEZZNS1_9scan_implILNS1_25lookback_scan_determinismE0ELb1ELb1ES3_N6thrust23THRUST_200600_302600_NS6detail15normal_iteratorINS9_10device_ptrIjEEEESE_jNS9_4plusIvEEjEEDaPvRmT3_T4_T5_mT6_P12ihipStream_tbENKUlT_T0_E_clISt17integral_constantIbLb1EESU_EEDaSP_SQ_EUlSP_E0_NS1_11comp_targetILNS1_3genE8ELNS1_11target_archE1030ELNS1_3gpuE2ELNS1_3repE0EEENS1_30default_config_static_selectorELNS0_4arch9wavefront6targetE1EEEvT1_,comdat
.Lfunc_end4681:
	.size	_ZN7rocprim17ROCPRIM_400000_NS6detail17trampoline_kernelINS0_14default_configENS1_20scan_config_selectorIjEEZZNS1_9scan_implILNS1_25lookback_scan_determinismE0ELb1ELb1ES3_N6thrust23THRUST_200600_302600_NS6detail15normal_iteratorINS9_10device_ptrIjEEEESE_jNS9_4plusIvEEjEEDaPvRmT3_T4_T5_mT6_P12ihipStream_tbENKUlT_T0_E_clISt17integral_constantIbLb1EESU_EEDaSP_SQ_EUlSP_E0_NS1_11comp_targetILNS1_3genE8ELNS1_11target_archE1030ELNS1_3gpuE2ELNS1_3repE0EEENS1_30default_config_static_selectorELNS0_4arch9wavefront6targetE1EEEvT1_, .Lfunc_end4681-_ZN7rocprim17ROCPRIM_400000_NS6detail17trampoline_kernelINS0_14default_configENS1_20scan_config_selectorIjEEZZNS1_9scan_implILNS1_25lookback_scan_determinismE0ELb1ELb1ES3_N6thrust23THRUST_200600_302600_NS6detail15normal_iteratorINS9_10device_ptrIjEEEESE_jNS9_4plusIvEEjEEDaPvRmT3_T4_T5_mT6_P12ihipStream_tbENKUlT_T0_E_clISt17integral_constantIbLb1EESU_EEDaSP_SQ_EUlSP_E0_NS1_11comp_targetILNS1_3genE8ELNS1_11target_archE1030ELNS1_3gpuE2ELNS1_3repE0EEENS1_30default_config_static_selectorELNS0_4arch9wavefront6targetE1EEEvT1_
                                        ; -- End function
	.section	.AMDGPU.csdata,"",@progbits
; Kernel info:
; codeLenInByte = 0
; NumSgprs: 4
; NumVgprs: 0
; NumAgprs: 0
; TotalNumVgprs: 0
; ScratchSize: 0
; MemoryBound: 0
; FloatMode: 240
; IeeeMode: 1
; LDSByteSize: 0 bytes/workgroup (compile time only)
; SGPRBlocks: 0
; VGPRBlocks: 0
; NumSGPRsForWavesPerEU: 4
; NumVGPRsForWavesPerEU: 1
; AccumOffset: 4
; Occupancy: 8
; WaveLimiterHint : 0
; COMPUTE_PGM_RSRC2:SCRATCH_EN: 0
; COMPUTE_PGM_RSRC2:USER_SGPR: 6
; COMPUTE_PGM_RSRC2:TRAP_HANDLER: 0
; COMPUTE_PGM_RSRC2:TGID_X_EN: 1
; COMPUTE_PGM_RSRC2:TGID_Y_EN: 0
; COMPUTE_PGM_RSRC2:TGID_Z_EN: 0
; COMPUTE_PGM_RSRC2:TIDIG_COMP_CNT: 0
; COMPUTE_PGM_RSRC3_GFX90A:ACCUM_OFFSET: 0
; COMPUTE_PGM_RSRC3_GFX90A:TG_SPLIT: 0
	.section	.text._ZN7rocprim17ROCPRIM_400000_NS6detail17trampoline_kernelINS0_14default_configENS1_20scan_config_selectorIjEEZZNS1_9scan_implILNS1_25lookback_scan_determinismE0ELb1ELb1ES3_N6thrust23THRUST_200600_302600_NS6detail15normal_iteratorINS9_10device_ptrIjEEEESE_jNS9_4plusIvEEjEEDaPvRmT3_T4_T5_mT6_P12ihipStream_tbENKUlT_T0_E_clISt17integral_constantIbLb1EEST_IbLb0EEEEDaSP_SQ_EUlSP_E_NS1_11comp_targetILNS1_3genE0ELNS1_11target_archE4294967295ELNS1_3gpuE0ELNS1_3repE0EEENS1_30default_config_static_selectorELNS0_4arch9wavefront6targetE1EEEvT1_,"axG",@progbits,_ZN7rocprim17ROCPRIM_400000_NS6detail17trampoline_kernelINS0_14default_configENS1_20scan_config_selectorIjEEZZNS1_9scan_implILNS1_25lookback_scan_determinismE0ELb1ELb1ES3_N6thrust23THRUST_200600_302600_NS6detail15normal_iteratorINS9_10device_ptrIjEEEESE_jNS9_4plusIvEEjEEDaPvRmT3_T4_T5_mT6_P12ihipStream_tbENKUlT_T0_E_clISt17integral_constantIbLb1EEST_IbLb0EEEEDaSP_SQ_EUlSP_E_NS1_11comp_targetILNS1_3genE0ELNS1_11target_archE4294967295ELNS1_3gpuE0ELNS1_3repE0EEENS1_30default_config_static_selectorELNS0_4arch9wavefront6targetE1EEEvT1_,comdat
	.protected	_ZN7rocprim17ROCPRIM_400000_NS6detail17trampoline_kernelINS0_14default_configENS1_20scan_config_selectorIjEEZZNS1_9scan_implILNS1_25lookback_scan_determinismE0ELb1ELb1ES3_N6thrust23THRUST_200600_302600_NS6detail15normal_iteratorINS9_10device_ptrIjEEEESE_jNS9_4plusIvEEjEEDaPvRmT3_T4_T5_mT6_P12ihipStream_tbENKUlT_T0_E_clISt17integral_constantIbLb1EEST_IbLb0EEEEDaSP_SQ_EUlSP_E_NS1_11comp_targetILNS1_3genE0ELNS1_11target_archE4294967295ELNS1_3gpuE0ELNS1_3repE0EEENS1_30default_config_static_selectorELNS0_4arch9wavefront6targetE1EEEvT1_ ; -- Begin function _ZN7rocprim17ROCPRIM_400000_NS6detail17trampoline_kernelINS0_14default_configENS1_20scan_config_selectorIjEEZZNS1_9scan_implILNS1_25lookback_scan_determinismE0ELb1ELb1ES3_N6thrust23THRUST_200600_302600_NS6detail15normal_iteratorINS9_10device_ptrIjEEEESE_jNS9_4plusIvEEjEEDaPvRmT3_T4_T5_mT6_P12ihipStream_tbENKUlT_T0_E_clISt17integral_constantIbLb1EEST_IbLb0EEEEDaSP_SQ_EUlSP_E_NS1_11comp_targetILNS1_3genE0ELNS1_11target_archE4294967295ELNS1_3gpuE0ELNS1_3repE0EEENS1_30default_config_static_selectorELNS0_4arch9wavefront6targetE1EEEvT1_
	.globl	_ZN7rocprim17ROCPRIM_400000_NS6detail17trampoline_kernelINS0_14default_configENS1_20scan_config_selectorIjEEZZNS1_9scan_implILNS1_25lookback_scan_determinismE0ELb1ELb1ES3_N6thrust23THRUST_200600_302600_NS6detail15normal_iteratorINS9_10device_ptrIjEEEESE_jNS9_4plusIvEEjEEDaPvRmT3_T4_T5_mT6_P12ihipStream_tbENKUlT_T0_E_clISt17integral_constantIbLb1EEST_IbLb0EEEEDaSP_SQ_EUlSP_E_NS1_11comp_targetILNS1_3genE0ELNS1_11target_archE4294967295ELNS1_3gpuE0ELNS1_3repE0EEENS1_30default_config_static_selectorELNS0_4arch9wavefront6targetE1EEEvT1_
	.p2align	8
	.type	_ZN7rocprim17ROCPRIM_400000_NS6detail17trampoline_kernelINS0_14default_configENS1_20scan_config_selectorIjEEZZNS1_9scan_implILNS1_25lookback_scan_determinismE0ELb1ELb1ES3_N6thrust23THRUST_200600_302600_NS6detail15normal_iteratorINS9_10device_ptrIjEEEESE_jNS9_4plusIvEEjEEDaPvRmT3_T4_T5_mT6_P12ihipStream_tbENKUlT_T0_E_clISt17integral_constantIbLb1EEST_IbLb0EEEEDaSP_SQ_EUlSP_E_NS1_11comp_targetILNS1_3genE0ELNS1_11target_archE4294967295ELNS1_3gpuE0ELNS1_3repE0EEENS1_30default_config_static_selectorELNS0_4arch9wavefront6targetE1EEEvT1_,@function
_ZN7rocprim17ROCPRIM_400000_NS6detail17trampoline_kernelINS0_14default_configENS1_20scan_config_selectorIjEEZZNS1_9scan_implILNS1_25lookback_scan_determinismE0ELb1ELb1ES3_N6thrust23THRUST_200600_302600_NS6detail15normal_iteratorINS9_10device_ptrIjEEEESE_jNS9_4plusIvEEjEEDaPvRmT3_T4_T5_mT6_P12ihipStream_tbENKUlT_T0_E_clISt17integral_constantIbLb1EEST_IbLb0EEEEDaSP_SQ_EUlSP_E_NS1_11comp_targetILNS1_3genE0ELNS1_11target_archE4294967295ELNS1_3gpuE0ELNS1_3repE0EEENS1_30default_config_static_selectorELNS0_4arch9wavefront6targetE1EEEvT1_: ; @_ZN7rocprim17ROCPRIM_400000_NS6detail17trampoline_kernelINS0_14default_configENS1_20scan_config_selectorIjEEZZNS1_9scan_implILNS1_25lookback_scan_determinismE0ELb1ELb1ES3_N6thrust23THRUST_200600_302600_NS6detail15normal_iteratorINS9_10device_ptrIjEEEESE_jNS9_4plusIvEEjEEDaPvRmT3_T4_T5_mT6_P12ihipStream_tbENKUlT_T0_E_clISt17integral_constantIbLb1EEST_IbLb0EEEEDaSP_SQ_EUlSP_E_NS1_11comp_targetILNS1_3genE0ELNS1_11target_archE4294967295ELNS1_3gpuE0ELNS1_3repE0EEENS1_30default_config_static_selectorELNS0_4arch9wavefront6targetE1EEEvT1_
; %bb.0:
	.section	.rodata,"a",@progbits
	.p2align	6, 0x0
	.amdhsa_kernel _ZN7rocprim17ROCPRIM_400000_NS6detail17trampoline_kernelINS0_14default_configENS1_20scan_config_selectorIjEEZZNS1_9scan_implILNS1_25lookback_scan_determinismE0ELb1ELb1ES3_N6thrust23THRUST_200600_302600_NS6detail15normal_iteratorINS9_10device_ptrIjEEEESE_jNS9_4plusIvEEjEEDaPvRmT3_T4_T5_mT6_P12ihipStream_tbENKUlT_T0_E_clISt17integral_constantIbLb1EEST_IbLb0EEEEDaSP_SQ_EUlSP_E_NS1_11comp_targetILNS1_3genE0ELNS1_11target_archE4294967295ELNS1_3gpuE0ELNS1_3repE0EEENS1_30default_config_static_selectorELNS0_4arch9wavefront6targetE1EEEvT1_
		.amdhsa_group_segment_fixed_size 0
		.amdhsa_private_segment_fixed_size 0
		.amdhsa_kernarg_size 96
		.amdhsa_user_sgpr_count 6
		.amdhsa_user_sgpr_private_segment_buffer 1
		.amdhsa_user_sgpr_dispatch_ptr 0
		.amdhsa_user_sgpr_queue_ptr 0
		.amdhsa_user_sgpr_kernarg_segment_ptr 1
		.amdhsa_user_sgpr_dispatch_id 0
		.amdhsa_user_sgpr_flat_scratch_init 0
		.amdhsa_user_sgpr_kernarg_preload_length 0
		.amdhsa_user_sgpr_kernarg_preload_offset 0
		.amdhsa_user_sgpr_private_segment_size 0
		.amdhsa_uses_dynamic_stack 0
		.amdhsa_system_sgpr_private_segment_wavefront_offset 0
		.amdhsa_system_sgpr_workgroup_id_x 1
		.amdhsa_system_sgpr_workgroup_id_y 0
		.amdhsa_system_sgpr_workgroup_id_z 0
		.amdhsa_system_sgpr_workgroup_info 0
		.amdhsa_system_vgpr_workitem_id 0
		.amdhsa_next_free_vgpr 1
		.amdhsa_next_free_sgpr 0
		.amdhsa_accum_offset 4
		.amdhsa_reserve_vcc 0
		.amdhsa_reserve_flat_scratch 0
		.amdhsa_float_round_mode_32 0
		.amdhsa_float_round_mode_16_64 0
		.amdhsa_float_denorm_mode_32 3
		.amdhsa_float_denorm_mode_16_64 3
		.amdhsa_dx10_clamp 1
		.amdhsa_ieee_mode 1
		.amdhsa_fp16_overflow 0
		.amdhsa_tg_split 0
		.amdhsa_exception_fp_ieee_invalid_op 0
		.amdhsa_exception_fp_denorm_src 0
		.amdhsa_exception_fp_ieee_div_zero 0
		.amdhsa_exception_fp_ieee_overflow 0
		.amdhsa_exception_fp_ieee_underflow 0
		.amdhsa_exception_fp_ieee_inexact 0
		.amdhsa_exception_int_div_zero 0
	.end_amdhsa_kernel
	.section	.text._ZN7rocprim17ROCPRIM_400000_NS6detail17trampoline_kernelINS0_14default_configENS1_20scan_config_selectorIjEEZZNS1_9scan_implILNS1_25lookback_scan_determinismE0ELb1ELb1ES3_N6thrust23THRUST_200600_302600_NS6detail15normal_iteratorINS9_10device_ptrIjEEEESE_jNS9_4plusIvEEjEEDaPvRmT3_T4_T5_mT6_P12ihipStream_tbENKUlT_T0_E_clISt17integral_constantIbLb1EEST_IbLb0EEEEDaSP_SQ_EUlSP_E_NS1_11comp_targetILNS1_3genE0ELNS1_11target_archE4294967295ELNS1_3gpuE0ELNS1_3repE0EEENS1_30default_config_static_selectorELNS0_4arch9wavefront6targetE1EEEvT1_,"axG",@progbits,_ZN7rocprim17ROCPRIM_400000_NS6detail17trampoline_kernelINS0_14default_configENS1_20scan_config_selectorIjEEZZNS1_9scan_implILNS1_25lookback_scan_determinismE0ELb1ELb1ES3_N6thrust23THRUST_200600_302600_NS6detail15normal_iteratorINS9_10device_ptrIjEEEESE_jNS9_4plusIvEEjEEDaPvRmT3_T4_T5_mT6_P12ihipStream_tbENKUlT_T0_E_clISt17integral_constantIbLb1EEST_IbLb0EEEEDaSP_SQ_EUlSP_E_NS1_11comp_targetILNS1_3genE0ELNS1_11target_archE4294967295ELNS1_3gpuE0ELNS1_3repE0EEENS1_30default_config_static_selectorELNS0_4arch9wavefront6targetE1EEEvT1_,comdat
.Lfunc_end4682:
	.size	_ZN7rocprim17ROCPRIM_400000_NS6detail17trampoline_kernelINS0_14default_configENS1_20scan_config_selectorIjEEZZNS1_9scan_implILNS1_25lookback_scan_determinismE0ELb1ELb1ES3_N6thrust23THRUST_200600_302600_NS6detail15normal_iteratorINS9_10device_ptrIjEEEESE_jNS9_4plusIvEEjEEDaPvRmT3_T4_T5_mT6_P12ihipStream_tbENKUlT_T0_E_clISt17integral_constantIbLb1EEST_IbLb0EEEEDaSP_SQ_EUlSP_E_NS1_11comp_targetILNS1_3genE0ELNS1_11target_archE4294967295ELNS1_3gpuE0ELNS1_3repE0EEENS1_30default_config_static_selectorELNS0_4arch9wavefront6targetE1EEEvT1_, .Lfunc_end4682-_ZN7rocprim17ROCPRIM_400000_NS6detail17trampoline_kernelINS0_14default_configENS1_20scan_config_selectorIjEEZZNS1_9scan_implILNS1_25lookback_scan_determinismE0ELb1ELb1ES3_N6thrust23THRUST_200600_302600_NS6detail15normal_iteratorINS9_10device_ptrIjEEEESE_jNS9_4plusIvEEjEEDaPvRmT3_T4_T5_mT6_P12ihipStream_tbENKUlT_T0_E_clISt17integral_constantIbLb1EEST_IbLb0EEEEDaSP_SQ_EUlSP_E_NS1_11comp_targetILNS1_3genE0ELNS1_11target_archE4294967295ELNS1_3gpuE0ELNS1_3repE0EEENS1_30default_config_static_selectorELNS0_4arch9wavefront6targetE1EEEvT1_
                                        ; -- End function
	.section	.AMDGPU.csdata,"",@progbits
; Kernel info:
; codeLenInByte = 0
; NumSgprs: 4
; NumVgprs: 0
; NumAgprs: 0
; TotalNumVgprs: 0
; ScratchSize: 0
; MemoryBound: 0
; FloatMode: 240
; IeeeMode: 1
; LDSByteSize: 0 bytes/workgroup (compile time only)
; SGPRBlocks: 0
; VGPRBlocks: 0
; NumSGPRsForWavesPerEU: 4
; NumVGPRsForWavesPerEU: 1
; AccumOffset: 4
; Occupancy: 8
; WaveLimiterHint : 0
; COMPUTE_PGM_RSRC2:SCRATCH_EN: 0
; COMPUTE_PGM_RSRC2:USER_SGPR: 6
; COMPUTE_PGM_RSRC2:TRAP_HANDLER: 0
; COMPUTE_PGM_RSRC2:TGID_X_EN: 1
; COMPUTE_PGM_RSRC2:TGID_Y_EN: 0
; COMPUTE_PGM_RSRC2:TGID_Z_EN: 0
; COMPUTE_PGM_RSRC2:TIDIG_COMP_CNT: 0
; COMPUTE_PGM_RSRC3_GFX90A:ACCUM_OFFSET: 0
; COMPUTE_PGM_RSRC3_GFX90A:TG_SPLIT: 0
	.section	.text._ZN7rocprim17ROCPRIM_400000_NS6detail17trampoline_kernelINS0_14default_configENS1_20scan_config_selectorIjEEZZNS1_9scan_implILNS1_25lookback_scan_determinismE0ELb1ELb1ES3_N6thrust23THRUST_200600_302600_NS6detail15normal_iteratorINS9_10device_ptrIjEEEESE_jNS9_4plusIvEEjEEDaPvRmT3_T4_T5_mT6_P12ihipStream_tbENKUlT_T0_E_clISt17integral_constantIbLb1EEST_IbLb0EEEEDaSP_SQ_EUlSP_E_NS1_11comp_targetILNS1_3genE5ELNS1_11target_archE942ELNS1_3gpuE9ELNS1_3repE0EEENS1_30default_config_static_selectorELNS0_4arch9wavefront6targetE1EEEvT1_,"axG",@progbits,_ZN7rocprim17ROCPRIM_400000_NS6detail17trampoline_kernelINS0_14default_configENS1_20scan_config_selectorIjEEZZNS1_9scan_implILNS1_25lookback_scan_determinismE0ELb1ELb1ES3_N6thrust23THRUST_200600_302600_NS6detail15normal_iteratorINS9_10device_ptrIjEEEESE_jNS9_4plusIvEEjEEDaPvRmT3_T4_T5_mT6_P12ihipStream_tbENKUlT_T0_E_clISt17integral_constantIbLb1EEST_IbLb0EEEEDaSP_SQ_EUlSP_E_NS1_11comp_targetILNS1_3genE5ELNS1_11target_archE942ELNS1_3gpuE9ELNS1_3repE0EEENS1_30default_config_static_selectorELNS0_4arch9wavefront6targetE1EEEvT1_,comdat
	.protected	_ZN7rocprim17ROCPRIM_400000_NS6detail17trampoline_kernelINS0_14default_configENS1_20scan_config_selectorIjEEZZNS1_9scan_implILNS1_25lookback_scan_determinismE0ELb1ELb1ES3_N6thrust23THRUST_200600_302600_NS6detail15normal_iteratorINS9_10device_ptrIjEEEESE_jNS9_4plusIvEEjEEDaPvRmT3_T4_T5_mT6_P12ihipStream_tbENKUlT_T0_E_clISt17integral_constantIbLb1EEST_IbLb0EEEEDaSP_SQ_EUlSP_E_NS1_11comp_targetILNS1_3genE5ELNS1_11target_archE942ELNS1_3gpuE9ELNS1_3repE0EEENS1_30default_config_static_selectorELNS0_4arch9wavefront6targetE1EEEvT1_ ; -- Begin function _ZN7rocprim17ROCPRIM_400000_NS6detail17trampoline_kernelINS0_14default_configENS1_20scan_config_selectorIjEEZZNS1_9scan_implILNS1_25lookback_scan_determinismE0ELb1ELb1ES3_N6thrust23THRUST_200600_302600_NS6detail15normal_iteratorINS9_10device_ptrIjEEEESE_jNS9_4plusIvEEjEEDaPvRmT3_T4_T5_mT6_P12ihipStream_tbENKUlT_T0_E_clISt17integral_constantIbLb1EEST_IbLb0EEEEDaSP_SQ_EUlSP_E_NS1_11comp_targetILNS1_3genE5ELNS1_11target_archE942ELNS1_3gpuE9ELNS1_3repE0EEENS1_30default_config_static_selectorELNS0_4arch9wavefront6targetE1EEEvT1_
	.globl	_ZN7rocprim17ROCPRIM_400000_NS6detail17trampoline_kernelINS0_14default_configENS1_20scan_config_selectorIjEEZZNS1_9scan_implILNS1_25lookback_scan_determinismE0ELb1ELb1ES3_N6thrust23THRUST_200600_302600_NS6detail15normal_iteratorINS9_10device_ptrIjEEEESE_jNS9_4plusIvEEjEEDaPvRmT3_T4_T5_mT6_P12ihipStream_tbENKUlT_T0_E_clISt17integral_constantIbLb1EEST_IbLb0EEEEDaSP_SQ_EUlSP_E_NS1_11comp_targetILNS1_3genE5ELNS1_11target_archE942ELNS1_3gpuE9ELNS1_3repE0EEENS1_30default_config_static_selectorELNS0_4arch9wavefront6targetE1EEEvT1_
	.p2align	8
	.type	_ZN7rocprim17ROCPRIM_400000_NS6detail17trampoline_kernelINS0_14default_configENS1_20scan_config_selectorIjEEZZNS1_9scan_implILNS1_25lookback_scan_determinismE0ELb1ELb1ES3_N6thrust23THRUST_200600_302600_NS6detail15normal_iteratorINS9_10device_ptrIjEEEESE_jNS9_4plusIvEEjEEDaPvRmT3_T4_T5_mT6_P12ihipStream_tbENKUlT_T0_E_clISt17integral_constantIbLb1EEST_IbLb0EEEEDaSP_SQ_EUlSP_E_NS1_11comp_targetILNS1_3genE5ELNS1_11target_archE942ELNS1_3gpuE9ELNS1_3repE0EEENS1_30default_config_static_selectorELNS0_4arch9wavefront6targetE1EEEvT1_,@function
_ZN7rocprim17ROCPRIM_400000_NS6detail17trampoline_kernelINS0_14default_configENS1_20scan_config_selectorIjEEZZNS1_9scan_implILNS1_25lookback_scan_determinismE0ELb1ELb1ES3_N6thrust23THRUST_200600_302600_NS6detail15normal_iteratorINS9_10device_ptrIjEEEESE_jNS9_4plusIvEEjEEDaPvRmT3_T4_T5_mT6_P12ihipStream_tbENKUlT_T0_E_clISt17integral_constantIbLb1EEST_IbLb0EEEEDaSP_SQ_EUlSP_E_NS1_11comp_targetILNS1_3genE5ELNS1_11target_archE942ELNS1_3gpuE9ELNS1_3repE0EEENS1_30default_config_static_selectorELNS0_4arch9wavefront6targetE1EEEvT1_: ; @_ZN7rocprim17ROCPRIM_400000_NS6detail17trampoline_kernelINS0_14default_configENS1_20scan_config_selectorIjEEZZNS1_9scan_implILNS1_25lookback_scan_determinismE0ELb1ELb1ES3_N6thrust23THRUST_200600_302600_NS6detail15normal_iteratorINS9_10device_ptrIjEEEESE_jNS9_4plusIvEEjEEDaPvRmT3_T4_T5_mT6_P12ihipStream_tbENKUlT_T0_E_clISt17integral_constantIbLb1EEST_IbLb0EEEEDaSP_SQ_EUlSP_E_NS1_11comp_targetILNS1_3genE5ELNS1_11target_archE942ELNS1_3gpuE9ELNS1_3repE0EEENS1_30default_config_static_selectorELNS0_4arch9wavefront6targetE1EEEvT1_
; %bb.0:
	.section	.rodata,"a",@progbits
	.p2align	6, 0x0
	.amdhsa_kernel _ZN7rocprim17ROCPRIM_400000_NS6detail17trampoline_kernelINS0_14default_configENS1_20scan_config_selectorIjEEZZNS1_9scan_implILNS1_25lookback_scan_determinismE0ELb1ELb1ES3_N6thrust23THRUST_200600_302600_NS6detail15normal_iteratorINS9_10device_ptrIjEEEESE_jNS9_4plusIvEEjEEDaPvRmT3_T4_T5_mT6_P12ihipStream_tbENKUlT_T0_E_clISt17integral_constantIbLb1EEST_IbLb0EEEEDaSP_SQ_EUlSP_E_NS1_11comp_targetILNS1_3genE5ELNS1_11target_archE942ELNS1_3gpuE9ELNS1_3repE0EEENS1_30default_config_static_selectorELNS0_4arch9wavefront6targetE1EEEvT1_
		.amdhsa_group_segment_fixed_size 0
		.amdhsa_private_segment_fixed_size 0
		.amdhsa_kernarg_size 96
		.amdhsa_user_sgpr_count 6
		.amdhsa_user_sgpr_private_segment_buffer 1
		.amdhsa_user_sgpr_dispatch_ptr 0
		.amdhsa_user_sgpr_queue_ptr 0
		.amdhsa_user_sgpr_kernarg_segment_ptr 1
		.amdhsa_user_sgpr_dispatch_id 0
		.amdhsa_user_sgpr_flat_scratch_init 0
		.amdhsa_user_sgpr_kernarg_preload_length 0
		.amdhsa_user_sgpr_kernarg_preload_offset 0
		.amdhsa_user_sgpr_private_segment_size 0
		.amdhsa_uses_dynamic_stack 0
		.amdhsa_system_sgpr_private_segment_wavefront_offset 0
		.amdhsa_system_sgpr_workgroup_id_x 1
		.amdhsa_system_sgpr_workgroup_id_y 0
		.amdhsa_system_sgpr_workgroup_id_z 0
		.amdhsa_system_sgpr_workgroup_info 0
		.amdhsa_system_vgpr_workitem_id 0
		.amdhsa_next_free_vgpr 1
		.amdhsa_next_free_sgpr 0
		.amdhsa_accum_offset 4
		.amdhsa_reserve_vcc 0
		.amdhsa_reserve_flat_scratch 0
		.amdhsa_float_round_mode_32 0
		.amdhsa_float_round_mode_16_64 0
		.amdhsa_float_denorm_mode_32 3
		.amdhsa_float_denorm_mode_16_64 3
		.amdhsa_dx10_clamp 1
		.amdhsa_ieee_mode 1
		.amdhsa_fp16_overflow 0
		.amdhsa_tg_split 0
		.amdhsa_exception_fp_ieee_invalid_op 0
		.amdhsa_exception_fp_denorm_src 0
		.amdhsa_exception_fp_ieee_div_zero 0
		.amdhsa_exception_fp_ieee_overflow 0
		.amdhsa_exception_fp_ieee_underflow 0
		.amdhsa_exception_fp_ieee_inexact 0
		.amdhsa_exception_int_div_zero 0
	.end_amdhsa_kernel
	.section	.text._ZN7rocprim17ROCPRIM_400000_NS6detail17trampoline_kernelINS0_14default_configENS1_20scan_config_selectorIjEEZZNS1_9scan_implILNS1_25lookback_scan_determinismE0ELb1ELb1ES3_N6thrust23THRUST_200600_302600_NS6detail15normal_iteratorINS9_10device_ptrIjEEEESE_jNS9_4plusIvEEjEEDaPvRmT3_T4_T5_mT6_P12ihipStream_tbENKUlT_T0_E_clISt17integral_constantIbLb1EEST_IbLb0EEEEDaSP_SQ_EUlSP_E_NS1_11comp_targetILNS1_3genE5ELNS1_11target_archE942ELNS1_3gpuE9ELNS1_3repE0EEENS1_30default_config_static_selectorELNS0_4arch9wavefront6targetE1EEEvT1_,"axG",@progbits,_ZN7rocprim17ROCPRIM_400000_NS6detail17trampoline_kernelINS0_14default_configENS1_20scan_config_selectorIjEEZZNS1_9scan_implILNS1_25lookback_scan_determinismE0ELb1ELb1ES3_N6thrust23THRUST_200600_302600_NS6detail15normal_iteratorINS9_10device_ptrIjEEEESE_jNS9_4plusIvEEjEEDaPvRmT3_T4_T5_mT6_P12ihipStream_tbENKUlT_T0_E_clISt17integral_constantIbLb1EEST_IbLb0EEEEDaSP_SQ_EUlSP_E_NS1_11comp_targetILNS1_3genE5ELNS1_11target_archE942ELNS1_3gpuE9ELNS1_3repE0EEENS1_30default_config_static_selectorELNS0_4arch9wavefront6targetE1EEEvT1_,comdat
.Lfunc_end4683:
	.size	_ZN7rocprim17ROCPRIM_400000_NS6detail17trampoline_kernelINS0_14default_configENS1_20scan_config_selectorIjEEZZNS1_9scan_implILNS1_25lookback_scan_determinismE0ELb1ELb1ES3_N6thrust23THRUST_200600_302600_NS6detail15normal_iteratorINS9_10device_ptrIjEEEESE_jNS9_4plusIvEEjEEDaPvRmT3_T4_T5_mT6_P12ihipStream_tbENKUlT_T0_E_clISt17integral_constantIbLb1EEST_IbLb0EEEEDaSP_SQ_EUlSP_E_NS1_11comp_targetILNS1_3genE5ELNS1_11target_archE942ELNS1_3gpuE9ELNS1_3repE0EEENS1_30default_config_static_selectorELNS0_4arch9wavefront6targetE1EEEvT1_, .Lfunc_end4683-_ZN7rocprim17ROCPRIM_400000_NS6detail17trampoline_kernelINS0_14default_configENS1_20scan_config_selectorIjEEZZNS1_9scan_implILNS1_25lookback_scan_determinismE0ELb1ELb1ES3_N6thrust23THRUST_200600_302600_NS6detail15normal_iteratorINS9_10device_ptrIjEEEESE_jNS9_4plusIvEEjEEDaPvRmT3_T4_T5_mT6_P12ihipStream_tbENKUlT_T0_E_clISt17integral_constantIbLb1EEST_IbLb0EEEEDaSP_SQ_EUlSP_E_NS1_11comp_targetILNS1_3genE5ELNS1_11target_archE942ELNS1_3gpuE9ELNS1_3repE0EEENS1_30default_config_static_selectorELNS0_4arch9wavefront6targetE1EEEvT1_
                                        ; -- End function
	.section	.AMDGPU.csdata,"",@progbits
; Kernel info:
; codeLenInByte = 0
; NumSgprs: 4
; NumVgprs: 0
; NumAgprs: 0
; TotalNumVgprs: 0
; ScratchSize: 0
; MemoryBound: 0
; FloatMode: 240
; IeeeMode: 1
; LDSByteSize: 0 bytes/workgroup (compile time only)
; SGPRBlocks: 0
; VGPRBlocks: 0
; NumSGPRsForWavesPerEU: 4
; NumVGPRsForWavesPerEU: 1
; AccumOffset: 4
; Occupancy: 8
; WaveLimiterHint : 0
; COMPUTE_PGM_RSRC2:SCRATCH_EN: 0
; COMPUTE_PGM_RSRC2:USER_SGPR: 6
; COMPUTE_PGM_RSRC2:TRAP_HANDLER: 0
; COMPUTE_PGM_RSRC2:TGID_X_EN: 1
; COMPUTE_PGM_RSRC2:TGID_Y_EN: 0
; COMPUTE_PGM_RSRC2:TGID_Z_EN: 0
; COMPUTE_PGM_RSRC2:TIDIG_COMP_CNT: 0
; COMPUTE_PGM_RSRC3_GFX90A:ACCUM_OFFSET: 0
; COMPUTE_PGM_RSRC3_GFX90A:TG_SPLIT: 0
	.section	.text._ZN7rocprim17ROCPRIM_400000_NS6detail17trampoline_kernelINS0_14default_configENS1_20scan_config_selectorIjEEZZNS1_9scan_implILNS1_25lookback_scan_determinismE0ELb1ELb1ES3_N6thrust23THRUST_200600_302600_NS6detail15normal_iteratorINS9_10device_ptrIjEEEESE_jNS9_4plusIvEEjEEDaPvRmT3_T4_T5_mT6_P12ihipStream_tbENKUlT_T0_E_clISt17integral_constantIbLb1EEST_IbLb0EEEEDaSP_SQ_EUlSP_E_NS1_11comp_targetILNS1_3genE4ELNS1_11target_archE910ELNS1_3gpuE8ELNS1_3repE0EEENS1_30default_config_static_selectorELNS0_4arch9wavefront6targetE1EEEvT1_,"axG",@progbits,_ZN7rocprim17ROCPRIM_400000_NS6detail17trampoline_kernelINS0_14default_configENS1_20scan_config_selectorIjEEZZNS1_9scan_implILNS1_25lookback_scan_determinismE0ELb1ELb1ES3_N6thrust23THRUST_200600_302600_NS6detail15normal_iteratorINS9_10device_ptrIjEEEESE_jNS9_4plusIvEEjEEDaPvRmT3_T4_T5_mT6_P12ihipStream_tbENKUlT_T0_E_clISt17integral_constantIbLb1EEST_IbLb0EEEEDaSP_SQ_EUlSP_E_NS1_11comp_targetILNS1_3genE4ELNS1_11target_archE910ELNS1_3gpuE8ELNS1_3repE0EEENS1_30default_config_static_selectorELNS0_4arch9wavefront6targetE1EEEvT1_,comdat
	.protected	_ZN7rocprim17ROCPRIM_400000_NS6detail17trampoline_kernelINS0_14default_configENS1_20scan_config_selectorIjEEZZNS1_9scan_implILNS1_25lookback_scan_determinismE0ELb1ELb1ES3_N6thrust23THRUST_200600_302600_NS6detail15normal_iteratorINS9_10device_ptrIjEEEESE_jNS9_4plusIvEEjEEDaPvRmT3_T4_T5_mT6_P12ihipStream_tbENKUlT_T0_E_clISt17integral_constantIbLb1EEST_IbLb0EEEEDaSP_SQ_EUlSP_E_NS1_11comp_targetILNS1_3genE4ELNS1_11target_archE910ELNS1_3gpuE8ELNS1_3repE0EEENS1_30default_config_static_selectorELNS0_4arch9wavefront6targetE1EEEvT1_ ; -- Begin function _ZN7rocprim17ROCPRIM_400000_NS6detail17trampoline_kernelINS0_14default_configENS1_20scan_config_selectorIjEEZZNS1_9scan_implILNS1_25lookback_scan_determinismE0ELb1ELb1ES3_N6thrust23THRUST_200600_302600_NS6detail15normal_iteratorINS9_10device_ptrIjEEEESE_jNS9_4plusIvEEjEEDaPvRmT3_T4_T5_mT6_P12ihipStream_tbENKUlT_T0_E_clISt17integral_constantIbLb1EEST_IbLb0EEEEDaSP_SQ_EUlSP_E_NS1_11comp_targetILNS1_3genE4ELNS1_11target_archE910ELNS1_3gpuE8ELNS1_3repE0EEENS1_30default_config_static_selectorELNS0_4arch9wavefront6targetE1EEEvT1_
	.globl	_ZN7rocprim17ROCPRIM_400000_NS6detail17trampoline_kernelINS0_14default_configENS1_20scan_config_selectorIjEEZZNS1_9scan_implILNS1_25lookback_scan_determinismE0ELb1ELb1ES3_N6thrust23THRUST_200600_302600_NS6detail15normal_iteratorINS9_10device_ptrIjEEEESE_jNS9_4plusIvEEjEEDaPvRmT3_T4_T5_mT6_P12ihipStream_tbENKUlT_T0_E_clISt17integral_constantIbLb1EEST_IbLb0EEEEDaSP_SQ_EUlSP_E_NS1_11comp_targetILNS1_3genE4ELNS1_11target_archE910ELNS1_3gpuE8ELNS1_3repE0EEENS1_30default_config_static_selectorELNS0_4arch9wavefront6targetE1EEEvT1_
	.p2align	8
	.type	_ZN7rocprim17ROCPRIM_400000_NS6detail17trampoline_kernelINS0_14default_configENS1_20scan_config_selectorIjEEZZNS1_9scan_implILNS1_25lookback_scan_determinismE0ELb1ELb1ES3_N6thrust23THRUST_200600_302600_NS6detail15normal_iteratorINS9_10device_ptrIjEEEESE_jNS9_4plusIvEEjEEDaPvRmT3_T4_T5_mT6_P12ihipStream_tbENKUlT_T0_E_clISt17integral_constantIbLb1EEST_IbLb0EEEEDaSP_SQ_EUlSP_E_NS1_11comp_targetILNS1_3genE4ELNS1_11target_archE910ELNS1_3gpuE8ELNS1_3repE0EEENS1_30default_config_static_selectorELNS0_4arch9wavefront6targetE1EEEvT1_,@function
_ZN7rocprim17ROCPRIM_400000_NS6detail17trampoline_kernelINS0_14default_configENS1_20scan_config_selectorIjEEZZNS1_9scan_implILNS1_25lookback_scan_determinismE0ELb1ELb1ES3_N6thrust23THRUST_200600_302600_NS6detail15normal_iteratorINS9_10device_ptrIjEEEESE_jNS9_4plusIvEEjEEDaPvRmT3_T4_T5_mT6_P12ihipStream_tbENKUlT_T0_E_clISt17integral_constantIbLb1EEST_IbLb0EEEEDaSP_SQ_EUlSP_E_NS1_11comp_targetILNS1_3genE4ELNS1_11target_archE910ELNS1_3gpuE8ELNS1_3repE0EEENS1_30default_config_static_selectorELNS0_4arch9wavefront6targetE1EEEvT1_: ; @_ZN7rocprim17ROCPRIM_400000_NS6detail17trampoline_kernelINS0_14default_configENS1_20scan_config_selectorIjEEZZNS1_9scan_implILNS1_25lookback_scan_determinismE0ELb1ELb1ES3_N6thrust23THRUST_200600_302600_NS6detail15normal_iteratorINS9_10device_ptrIjEEEESE_jNS9_4plusIvEEjEEDaPvRmT3_T4_T5_mT6_P12ihipStream_tbENKUlT_T0_E_clISt17integral_constantIbLb1EEST_IbLb0EEEEDaSP_SQ_EUlSP_E_NS1_11comp_targetILNS1_3genE4ELNS1_11target_archE910ELNS1_3gpuE8ELNS1_3repE0EEENS1_30default_config_static_selectorELNS0_4arch9wavefront6targetE1EEEvT1_
; %bb.0:
	s_load_dwordx8 s[8:15], s[4:5], 0x0
	s_load_dword s1, s[4:5], 0x30
	s_mul_i32 s0, s6, 0x500
	v_lshlrev_b32_e32 v22, 2, v0
	s_waitcnt lgkmcnt(0)
	s_lshl_b64 s[10:11], s[10:11], 2
	s_add_u32 s27, s8, s10
	s_addc_u32 s28, s9, s11
	s_add_i32 s2, s1, -1
	s_mul_i32 s3, s2, 0x500
	s_sub_u32 s7, s14, s3
	s_subb_u32 s26, s15, 0
	s_mov_b32 s1, 0
	s_cmp_lg_u32 s6, s2
	s_cselect_b64 s[8:9], -1, 0
	s_lshl_b64 s[14:15], s[0:1], 2
	s_add_u32 s2, s27, s14
	s_addc_u32 s3, s28, s15
	s_mov_b64 s[0:1], -1
	s_and_b64 vcc, exec, s[8:9]
	s_cbranch_vccz .LBB4684_2
; %bb.1:
	v_mov_b32_e32 v1, s3
	v_add_co_u32_e32 v2, vcc, s2, v22
	v_addc_co_u32_e32 v3, vcc, 0, v1, vcc
	flat_load_dword v1, v[2:3]
	flat_load_dword v4, v[2:3] offset:512
	flat_load_dword v5, v[2:3] offset:1024
	;; [unrolled: 1-line block ×7, first 2 shown]
	v_add_co_u32_e32 v2, vcc, 0x1000, v2
	v_addc_co_u32_e32 v3, vcc, 0, v3, vcc
	flat_load_dword v11, v[2:3]
	flat_load_dword v12, v[2:3] offset:512
	s_mov_b64 s[0:1], 0
	s_waitcnt vmcnt(0) lgkmcnt(0)
	ds_write2st64_b32 v22, v1, v4 offset1:2
	ds_write2st64_b32 v22, v5, v6 offset0:4 offset1:6
	ds_write2st64_b32 v22, v7, v8 offset0:8 offset1:10
	;; [unrolled: 1-line block ×4, first 2 shown]
	s_waitcnt lgkmcnt(0)
	s_barrier
.LBB4684_2:
	s_load_dwordx2 s[24:25], s[4:5], 0x28
	s_andn2_b64 vcc, exec, s[0:1]
	v_cmp_gt_u32_e64 s[0:1], s7, v0
	s_cbranch_vccnz .LBB4684_24
; %bb.3:
	v_pk_mov_b32 v[2:3], s[2:3], s[2:3] op_sel:[0,1]
	flat_load_dword v1, v[2:3]
	s_waitcnt vmcnt(0) lgkmcnt(0)
	v_mov_b32_e32 v2, v1
	v_mov_b32_e32 v3, v1
	;; [unrolled: 1-line block ×9, first 2 shown]
	s_and_saveexec_b64 s[16:17], s[0:1]
	s_cbranch_execz .LBB4684_5
; %bb.4:
	v_mov_b32_e32 v11, s3
	v_add_co_u32_e32 v10, vcc, s2, v22
	v_addc_co_u32_e32 v11, vcc, 0, v11, vcc
	flat_load_dword v10, v[10:11]
.LBB4684_5:
	s_or_b64 exec, exec, s[16:17]
	v_or_b32_e32 v11, 0x80, v0
	v_cmp_gt_u32_e32 vcc, s7, v11
	s_and_saveexec_b64 s[0:1], vcc
	s_cbranch_execz .LBB4684_7
; %bb.6:
	v_mov_b32_e32 v1, s3
	v_add_co_u32_e32 v12, vcc, s2, v22
	v_addc_co_u32_e32 v13, vcc, 0, v1, vcc
	flat_load_dword v1, v[12:13] offset:512
.LBB4684_7:
	s_or_b64 exec, exec, s[0:1]
	v_or_b32_e32 v11, 0x100, v0
	v_cmp_gt_u32_e32 vcc, s7, v11
	s_and_saveexec_b64 s[0:1], vcc
	s_cbranch_execz .LBB4684_9
; %bb.8:
	v_mov_b32_e32 v2, s3
	v_add_co_u32_e32 v12, vcc, s2, v22
	v_addc_co_u32_e32 v13, vcc, 0, v2, vcc
	flat_load_dword v2, v[12:13] offset:1024
.LBB4684_9:
	;; [unrolled: 11-line block ×7, first 2 shown]
	s_or_b64 exec, exec, s[0:1]
	v_or_b32_e32 v11, 0x400, v0
	v_cmp_gt_u32_e32 vcc, s7, v11
	s_and_saveexec_b64 s[0:1], vcc
	s_cbranch_execz .LBB4684_21
; %bb.20:
	v_lshlrev_b32_e32 v8, 2, v11
	v_mov_b32_e32 v11, s3
	v_add_co_u32_e32 v12, vcc, s2, v8
	v_addc_co_u32_e32 v13, vcc, 0, v11, vcc
	flat_load_dword v8, v[12:13]
.LBB4684_21:
	s_or_b64 exec, exec, s[0:1]
	v_or_b32_e32 v11, 0x480, v0
	v_cmp_gt_u32_e32 vcc, s7, v11
	s_and_saveexec_b64 s[0:1], vcc
	s_cbranch_execz .LBB4684_23
; %bb.22:
	v_lshlrev_b32_e32 v9, 2, v11
	v_mov_b32_e32 v11, s3
	v_add_co_u32_e32 v12, vcc, s2, v9
	v_addc_co_u32_e32 v13, vcc, 0, v11, vcc
	flat_load_dword v9, v[12:13]
.LBB4684_23:
	s_or_b64 exec, exec, s[0:1]
	s_waitcnt vmcnt(0) lgkmcnt(0)
	ds_write2st64_b32 v22, v10, v1 offset1:2
	ds_write2st64_b32 v22, v2, v3 offset0:4 offset1:6
	ds_write2st64_b32 v22, v4, v5 offset0:8 offset1:10
	;; [unrolled: 1-line block ×4, first 2 shown]
	s_waitcnt lgkmcnt(0)
	s_barrier
.LBB4684_24:
	v_mul_u32_u24_e32 v23, 10, v0
	v_lshlrev_b32_e32 v1, 2, v23
	s_waitcnt lgkmcnt(0)
	ds_read2_b64 v[16:19], v1 offset1:1
	ds_read2_b64 v[12:15], v1 offset0:2 offset1:3
	ds_read_b64 v[20:21], v1 offset:32
	s_cmp_lg_u32 s6, 0
	v_lshrrev_b32_e32 v24, 5, v0
	s_waitcnt lgkmcnt(2)
	v_add_u32_e32 v2, v17, v16
	v_add3_u32 v25, v2, v18, v19
	v_cmp_gt_u32_e32 vcc, 64, v0
	s_waitcnt lgkmcnt(0)
	s_barrier
	s_cbranch_scc0 .LBB4684_53
; %bb.25:
	v_add3_u32 v2, v25, v12, v13
	v_add3_u32 v2, v2, v14, v15
	v_add3_u32 v2, v2, v20, v21
	v_add_lshl_u32 v3, v24, v0, 2
	ds_write_b32 v3, v2
	s_waitcnt lgkmcnt(0)
	s_barrier
	s_and_saveexec_b64 s[2:3], vcc
	s_cbranch_execz .LBB4684_27
; %bb.26:
	v_lshlrev_b32_e32 v3, 1, v0
	v_lshrrev_b32_e32 v4, 4, v0
	v_add_lshl_u32 v3, v4, v3, 2
	ds_read2_b32 v[4:5], v3 offset1:1
	v_mbcnt_lo_u32_b32 v6, -1, 0
	v_mbcnt_hi_u32_b32 v6, -1, v6
	v_and_b32_e32 v7, 15, v6
	v_cmp_ne_u32_e64 s[0:1], 0, v7
	s_waitcnt lgkmcnt(0)
	v_add_u32_e32 v5, v5, v4
	; wave barrier
	s_nop 1
	v_mov_b32_dpp v8, v5 row_shr:1 row_mask:0xf bank_mask:0xf
	v_cndmask_b32_e64 v8, 0, v8, s[0:1]
	v_add_u32_e32 v5, v8, v5
	v_cmp_lt_u32_e64 s[0:1], 1, v7
	s_nop 0
	v_mov_b32_dpp v8, v5 row_shr:2 row_mask:0xf bank_mask:0xf
	v_cndmask_b32_e64 v8, 0, v8, s[0:1]
	v_add_u32_e32 v5, v5, v8
	v_cmp_lt_u32_e64 s[0:1], 3, v7
	;; [unrolled: 5-line block ×3, first 2 shown]
	s_nop 0
	v_mov_b32_dpp v8, v5 row_shr:8 row_mask:0xf bank_mask:0xf
	v_cndmask_b32_e64 v7, 0, v8, s[0:1]
	v_add_u32_e32 v5, v5, v7
	v_bfe_i32 v8, v6, 4, 1
	v_cmp_lt_u32_e64 s[0:1], 31, v6
	v_mov_b32_dpp v7, v5 row_bcast:15 row_mask:0xf bank_mask:0xf
	v_and_b32_e32 v7, v8, v7
	v_add_u32_e32 v5, v5, v7
	v_and_b32_e32 v8, 64, v6
	s_nop 0
	v_mov_b32_dpp v7, v5 row_bcast:31 row_mask:0xf bank_mask:0xf
	v_cndmask_b32_e64 v7, 0, v7, s[0:1]
	v_add_u32_e32 v5, v5, v7
	v_add_u32_e32 v7, -1, v6
	v_cmp_lt_i32_e64 s[0:1], v7, v8
	v_cndmask_b32_e64 v6, v7, v6, s[0:1]
	v_lshlrev_b32_e32 v6, 2, v6
	ds_bpermute_b32 v5, v6, v5
	v_cmp_eq_u32_e64 s[0:1], 0, v0
	s_waitcnt lgkmcnt(0)
	v_add_u32_e32 v4, v5, v4
	v_cndmask_b32_e64 v2, v4, v2, s[0:1]
	ds_write_b32 v3, v2
	; wave barrier
	ds_read_b32 v4, v3 offset:4
	s_waitcnt lgkmcnt(0)
	v_add_u32_e32 v2, v4, v2
	ds_write_b32 v3, v2 offset:4
.LBB4684_27:
	s_or_b64 exec, exec, s[2:3]
	v_cmp_eq_u32_e64 s[0:1], 0, v0
	v_cmp_ne_u32_e64 s[2:3], 0, v0
	v_mov_b32_e32 v26, 0
	s_waitcnt lgkmcnt(0)
	s_barrier
	s_and_saveexec_b64 s[16:17], s[2:3]
	s_cbranch_execz .LBB4684_29
; %bb.28:
	v_add_u32_e32 v2, -1, v0
	v_lshrrev_b32_e32 v3, 5, v2
	v_add_lshl_u32 v2, v3, v2, 2
	ds_read_b32 v26, v2
.LBB4684_29:
	s_or_b64 exec, exec, s[16:17]
	s_and_saveexec_b64 s[16:17], vcc
	s_cbranch_execz .LBB4684_52
; %bb.30:
	v_mov_b32_e32 v11, 0
	ds_read_b32 v2, v11 offset:520
	v_mbcnt_lo_u32_b32 v3, -1, 0
	v_mbcnt_hi_u32_b32 v5, -1, v3
	s_mov_b32 s21, 0
	v_cmp_eq_u32_e64 s[2:3], 0, v5
	s_and_saveexec_b64 s[18:19], s[2:3]
	s_cbranch_execz .LBB4684_32
; %bb.31:
	s_add_i32 s20, s6, 64
	s_lshl_b64 s[20:21], s[20:21], 3
	s_add_u32 s20, s24, s20
	v_mov_b32_e32 v3, 1
	s_addc_u32 s21, s25, s21
	s_waitcnt lgkmcnt(0)
	global_store_dwordx2 v11, v[2:3], s[20:21]
.LBB4684_32:
	s_or_b64 exec, exec, s[18:19]
	v_xad_u32 v4, v5, -1, s6
	v_add_u32_e32 v10, 64, v4
	v_lshlrev_b64 v[6:7], 3, v[10:11]
	v_mov_b32_e32 v3, s25
	v_add_co_u32_e32 v6, vcc, s24, v6
	v_addc_co_u32_e32 v7, vcc, v3, v7, vcc
	global_load_dwordx2 v[8:9], v[6:7], off glc
	s_waitcnt vmcnt(0)
	v_cmp_eq_u16_sdwa s[20:21], v9, v11 src0_sel:BYTE_0 src1_sel:DWORD
	s_and_saveexec_b64 s[18:19], s[20:21]
	s_cbranch_execz .LBB4684_38
; %bb.33:
	s_mov_b32 s22, 1
	s_mov_b64 s[20:21], 0
	v_mov_b32_e32 v3, 0
.LBB4684_34:                            ; =>This Loop Header: Depth=1
                                        ;     Child Loop BB4684_35 Depth 2
	s_max_u32 s23, s22, 1
.LBB4684_35:                            ;   Parent Loop BB4684_34 Depth=1
                                        ; =>  This Inner Loop Header: Depth=2
	s_add_i32 s23, s23, -1
	s_cmp_eq_u32 s23, 0
	s_sleep 1
	s_cbranch_scc0 .LBB4684_35
; %bb.36:                               ;   in Loop: Header=BB4684_34 Depth=1
	global_load_dwordx2 v[8:9], v[6:7], off glc
	s_cmp_lt_u32 s22, 32
	s_cselect_b64 s[30:31], -1, 0
	s_cmp_lg_u64 s[30:31], 0
	s_addc_u32 s22, s22, 0
	s_waitcnt vmcnt(0)
	v_cmp_ne_u16_sdwa s[30:31], v9, v3 src0_sel:BYTE_0 src1_sel:DWORD
	s_or_b64 s[20:21], s[30:31], s[20:21]
	s_andn2_b64 exec, exec, s[20:21]
	s_cbranch_execnz .LBB4684_34
; %bb.37:
	s_or_b64 exec, exec, s[20:21]
.LBB4684_38:
	s_or_b64 exec, exec, s[18:19]
	v_and_b32_e32 v27, 63, v5
	v_mov_b32_e32 v3, 2
	v_cmp_ne_u32_e32 vcc, 63, v27
	v_cmp_eq_u16_sdwa s[18:19], v9, v3 src0_sel:BYTE_0 src1_sel:DWORD
	v_lshlrev_b64 v[6:7], v5, -1
	v_addc_co_u32_e32 v28, vcc, 0, v5, vcc
	v_and_b32_e32 v10, s19, v7
	v_lshlrev_b32_e32 v28, 2, v28
	v_or_b32_e32 v10, 0x80000000, v10
	ds_bpermute_b32 v29, v28, v8
	v_and_b32_e32 v11, s18, v6
	v_ffbl_b32_e32 v10, v10
	v_add_u32_e32 v10, 32, v10
	v_ffbl_b32_e32 v11, v11
	v_min_u32_e32 v10, v11, v10
	v_cmp_lt_u32_e32 vcc, v27, v10
	s_waitcnt lgkmcnt(0)
	v_cndmask_b32_e32 v11, 0, v29, vcc
	v_cmp_gt_u32_e32 vcc, 62, v27
	v_add_u32_e32 v8, v11, v8
	v_cndmask_b32_e64 v11, 0, 1, vcc
	v_lshlrev_b32_e32 v11, 1, v11
	v_add_lshl_u32 v29, v11, v5, 2
	ds_bpermute_b32 v11, v29, v8
	v_add_u32_e32 v30, 2, v27
	v_cmp_le_u32_e32 vcc, v30, v10
	v_add_u32_e32 v32, 4, v27
	v_add_u32_e32 v34, 8, v27
	s_waitcnt lgkmcnt(0)
	v_cndmask_b32_e32 v11, 0, v11, vcc
	v_cmp_gt_u32_e32 vcc, 60, v27
	v_add_u32_e32 v8, v8, v11
	v_cndmask_b32_e64 v11, 0, 1, vcc
	v_lshlrev_b32_e32 v11, 2, v11
	v_add_lshl_u32 v31, v11, v5, 2
	ds_bpermute_b32 v11, v31, v8
	v_cmp_le_u32_e32 vcc, v32, v10
	v_add_u32_e32 v37, 16, v27
	v_add_u32_e32 v39, 32, v27
	s_waitcnt lgkmcnt(0)
	v_cndmask_b32_e32 v11, 0, v11, vcc
	v_cmp_gt_u32_e32 vcc, 56, v27
	v_add_u32_e32 v8, v8, v11
	v_cndmask_b32_e64 v11, 0, 1, vcc
	v_lshlrev_b32_e32 v11, 3, v11
	v_add_lshl_u32 v33, v11, v5, 2
	ds_bpermute_b32 v11, v33, v8
	v_cmp_le_u32_e32 vcc, v34, v10
	s_waitcnt lgkmcnt(0)
	v_cndmask_b32_e32 v11, 0, v11, vcc
	v_cmp_gt_u32_e32 vcc, 48, v27
	v_add_u32_e32 v8, v8, v11
	v_cndmask_b32_e64 v11, 0, 1, vcc
	v_lshlrev_b32_e32 v11, 4, v11
	v_add_lshl_u32 v36, v11, v5, 2
	ds_bpermute_b32 v11, v36, v8
	v_cmp_le_u32_e32 vcc, v37, v10
	;; [unrolled: 9-line block ×3, first 2 shown]
	s_waitcnt lgkmcnt(0)
	v_cndmask_b32_e32 v5, 0, v5, vcc
	v_add_u32_e32 v8, v8, v5
	v_mov_b32_e32 v5, 0
	s_branch .LBB4684_40
.LBB4684_39:                            ;   in Loop: Header=BB4684_40 Depth=1
	s_or_b64 exec, exec, s[18:19]
	v_cmp_eq_u16_sdwa s[18:19], v9, v3 src0_sel:BYTE_0 src1_sel:DWORD
	v_and_b32_e32 v10, s19, v7
	v_or_b32_e32 v10, 0x80000000, v10
	ds_bpermute_b32 v40, v28, v8
	v_and_b32_e32 v11, s18, v6
	v_ffbl_b32_e32 v10, v10
	v_add_u32_e32 v10, 32, v10
	v_ffbl_b32_e32 v11, v11
	v_min_u32_e32 v10, v11, v10
	v_cmp_lt_u32_e32 vcc, v27, v10
	s_waitcnt lgkmcnt(0)
	v_cndmask_b32_e32 v11, 0, v40, vcc
	v_add_u32_e32 v8, v11, v8
	ds_bpermute_b32 v11, v29, v8
	v_cmp_le_u32_e32 vcc, v30, v10
	v_subrev_u32_e32 v4, 64, v4
	s_waitcnt lgkmcnt(0)
	v_cndmask_b32_e32 v11, 0, v11, vcc
	v_add_u32_e32 v8, v8, v11
	ds_bpermute_b32 v11, v31, v8
	v_cmp_le_u32_e32 vcc, v32, v10
	s_waitcnt lgkmcnt(0)
	v_cndmask_b32_e32 v11, 0, v11, vcc
	v_add_u32_e32 v8, v8, v11
	ds_bpermute_b32 v11, v33, v8
	v_cmp_le_u32_e32 vcc, v34, v10
	;; [unrolled: 5-line block ×4, first 2 shown]
	s_waitcnt lgkmcnt(0)
	v_cndmask_b32_e32 v10, 0, v11, vcc
	v_add3_u32 v8, v10, v35, v8
.LBB4684_40:                            ; =>This Loop Header: Depth=1
                                        ;     Child Loop BB4684_43 Depth 2
                                        ;       Child Loop BB4684_44 Depth 3
	v_cmp_ne_u16_sdwa s[18:19], v9, v3 src0_sel:BYTE_0 src1_sel:DWORD
	v_cndmask_b32_e64 v9, 0, 1, s[18:19]
	;;#ASMSTART
	;;#ASMEND
	v_cmp_ne_u32_e32 vcc, 0, v9
	s_cmp_lg_u64 vcc, exec
	v_mov_b32_e32 v35, v8
	s_cbranch_scc1 .LBB4684_47
; %bb.41:                               ;   in Loop: Header=BB4684_40 Depth=1
	v_lshlrev_b64 v[8:9], 3, v[4:5]
	v_mov_b32_e32 v11, s25
	v_add_co_u32_e32 v10, vcc, s24, v8
	v_addc_co_u32_e32 v11, vcc, v11, v9, vcc
	global_load_dwordx2 v[8:9], v[10:11], off glc
	s_waitcnt vmcnt(0)
	v_cmp_eq_u16_sdwa s[20:21], v9, v5 src0_sel:BYTE_0 src1_sel:DWORD
	s_and_saveexec_b64 s[18:19], s[20:21]
	s_cbranch_execz .LBB4684_39
; %bb.42:                               ;   in Loop: Header=BB4684_40 Depth=1
	s_mov_b32 s22, 1
	s_mov_b64 s[20:21], 0
.LBB4684_43:                            ;   Parent Loop BB4684_40 Depth=1
                                        ; =>  This Loop Header: Depth=2
                                        ;       Child Loop BB4684_44 Depth 3
	s_max_u32 s23, s22, 1
.LBB4684_44:                            ;   Parent Loop BB4684_40 Depth=1
                                        ;     Parent Loop BB4684_43 Depth=2
                                        ; =>    This Inner Loop Header: Depth=3
	s_add_i32 s23, s23, -1
	s_cmp_eq_u32 s23, 0
	s_sleep 1
	s_cbranch_scc0 .LBB4684_44
; %bb.45:                               ;   in Loop: Header=BB4684_43 Depth=2
	global_load_dwordx2 v[8:9], v[10:11], off glc
	s_cmp_lt_u32 s22, 32
	s_cselect_b64 s[30:31], -1, 0
	s_cmp_lg_u64 s[30:31], 0
	s_addc_u32 s22, s22, 0
	s_waitcnt vmcnt(0)
	v_cmp_ne_u16_sdwa s[30:31], v9, v5 src0_sel:BYTE_0 src1_sel:DWORD
	s_or_b64 s[20:21], s[30:31], s[20:21]
	s_andn2_b64 exec, exec, s[20:21]
	s_cbranch_execnz .LBB4684_43
; %bb.46:                               ;   in Loop: Header=BB4684_40 Depth=1
	s_or_b64 exec, exec, s[20:21]
	s_branch .LBB4684_39
.LBB4684_47:                            ;   in Loop: Header=BB4684_40 Depth=1
                                        ; implicit-def: $vgpr8
                                        ; implicit-def: $vgpr9
	s_cbranch_execz .LBB4684_40
; %bb.48:
	s_and_saveexec_b64 s[18:19], s[2:3]
	s_cbranch_execz .LBB4684_50
; %bb.49:
	s_add_i32 s2, s6, 64
	s_mov_b32 s3, 0
	s_lshl_b64 s[2:3], s[2:3], 3
	s_add_u32 s2, s24, s2
	v_add_u32_e32 v2, v35, v2
	v_mov_b32_e32 v3, 2
	s_addc_u32 s3, s25, s3
	v_mov_b32_e32 v4, 0
	global_store_dwordx2 v4, v[2:3], s[2:3]
.LBB4684_50:
	s_or_b64 exec, exec, s[18:19]
	s_and_b64 exec, exec, s[0:1]
	s_cbranch_execz .LBB4684_52
; %bb.51:
	v_mov_b32_e32 v2, 0
	ds_write_b32 v2, v35
.LBB4684_52:
	s_or_b64 exec, exec, s[16:17]
	v_mov_b32_e32 v2, 0
	s_waitcnt lgkmcnt(0)
	s_barrier
	ds_read_b32 v2, v2
	s_waitcnt lgkmcnt(0)
	v_add_u32_e32 v2, v2, v26
	v_add_u32_e32 v3, v2, v16
	v_add_u32_e32 v4, v3, v17
	v_add_u32_e32 v5, v4, v18
	v_add_u32_e32 v6, v5, v19
	v_add_u32_e32 v7, v6, v12
	v_add_u32_e32 v8, v7, v13
	v_add_u32_e32 v9, v8, v14
	v_add_u32_e32 v10, v9, v15
	v_add_u32_e32 v11, v10, v20
	s_load_dwordx8 s[16:23], s[4:5], 0x38
	s_branch .LBB4684_63
.LBB4684_53:
                                        ; implicit-def: $vgpr2_vgpr3_vgpr4_vgpr5_vgpr6_vgpr7_vgpr8_vgpr9_vgpr10_vgpr11
	s_load_dwordx8 s[16:23], s[4:5], 0x38
	s_cbranch_execz .LBB4684_63
; %bb.54:
	s_load_dword s0, s[4:5], 0x20
	s_waitcnt lgkmcnt(0)
	s_cmp_eq_u64 s[20:21], 0
	v_mov_b32_e32 v26, s0
	s_cbranch_scc1 .LBB4684_56
; %bb.55:
	v_mov_b32_e32 v3, s28
	v_add_co_u32_e64 v2, vcc, -4, s27
	v_addc_co_u32_e32 v3, vcc, -1, v3, vcc
	v_mov_b32_e32 v4, 0
	flat_load_dword v5, v[2:3]
	global_load_dword v6, v4, s[16:17]
	s_waitcnt vmcnt(0) lgkmcnt(0)
	v_add_u32_e32 v26, v6, v5
.LBB4684_56:
	v_add3_u32 v2, v25, v12, v13
	v_add3_u32 v2, v2, v14, v15
	;; [unrolled: 1-line block ×3, first 2 shown]
	v_add_lshl_u32 v3, v24, v0, 2
	v_cmp_gt_u32_e32 vcc, 64, v0
	ds_write_b32 v3, v2
	s_waitcnt lgkmcnt(0)
	s_barrier
	s_and_saveexec_b64 s[0:1], vcc
	s_cbranch_execz .LBB4684_58
; %bb.57:
	v_lshlrev_b32_e32 v3, 1, v0
	v_lshrrev_b32_e32 v4, 4, v0
	v_add_lshl_u32 v3, v4, v3, 2
	ds_read2_b32 v[4:5], v3 offset1:1
	v_mbcnt_lo_u32_b32 v6, -1, 0
	v_mbcnt_hi_u32_b32 v6, -1, v6
	v_and_b32_e32 v7, 15, v6
	v_cmp_ne_u32_e32 vcc, 0, v7
	s_waitcnt lgkmcnt(0)
	v_add_u32_e32 v5, v5, v4
	; wave barrier
	s_nop 1
	v_mov_b32_dpp v8, v5 row_shr:1 row_mask:0xf bank_mask:0xf
	v_cndmask_b32_e32 v8, 0, v8, vcc
	v_add_u32_e32 v5, v8, v5
	v_cmp_lt_u32_e32 vcc, 1, v7
	s_nop 0
	v_mov_b32_dpp v8, v5 row_shr:2 row_mask:0xf bank_mask:0xf
	v_cndmask_b32_e32 v8, 0, v8, vcc
	v_add_u32_e32 v5, v5, v8
	v_cmp_lt_u32_e32 vcc, 3, v7
	s_nop 0
	v_mov_b32_dpp v8, v5 row_shr:4 row_mask:0xf bank_mask:0xf
	v_cndmask_b32_e32 v8, 0, v8, vcc
	v_add_u32_e32 v5, v5, v8
	v_cmp_lt_u32_e32 vcc, 7, v7
	s_nop 0
	v_mov_b32_dpp v8, v5 row_shr:8 row_mask:0xf bank_mask:0xf
	v_cndmask_b32_e32 v7, 0, v8, vcc
	v_add_u32_e32 v5, v5, v7
	v_bfe_i32 v8, v6, 4, 1
	v_cmp_lt_u32_e32 vcc, 31, v6
	v_mov_b32_dpp v7, v5 row_bcast:15 row_mask:0xf bank_mask:0xf
	v_and_b32_e32 v7, v8, v7
	v_add_u32_e32 v5, v5, v7
	v_and_b32_e32 v8, 64, v6
	s_nop 0
	v_mov_b32_dpp v7, v5 row_bcast:31 row_mask:0xf bank_mask:0xf
	v_cndmask_b32_e32 v7, 0, v7, vcc
	v_add_u32_e32 v5, v5, v7
	v_add_u32_e32 v7, -1, v6
	v_cmp_lt_i32_e32 vcc, v7, v8
	v_cndmask_b32_e32 v6, v7, v6, vcc
	v_lshlrev_b32_e32 v6, 2, v6
	ds_bpermute_b32 v5, v6, v5
	v_cmp_eq_u32_e32 vcc, 0, v0
	s_waitcnt lgkmcnt(0)
	v_add_u32_e32 v4, v5, v4
	v_cndmask_b32_e32 v2, v4, v2, vcc
	ds_write_b32 v3, v2
	; wave barrier
	ds_read_b32 v4, v3 offset:4
	s_waitcnt lgkmcnt(0)
	v_add_u32_e32 v2, v4, v2
	ds_write_b32 v3, v2 offset:4
.LBB4684_58:
	s_or_b64 exec, exec, s[0:1]
	v_cmp_eq_u32_e32 vcc, 0, v0
	v_cmp_ne_u32_e64 s[0:1], 0, v0
	v_mov_b32_e32 v2, v26
	s_waitcnt lgkmcnt(0)
	s_barrier
	s_and_saveexec_b64 s[2:3], s[0:1]
	s_cbranch_execz .LBB4684_60
; %bb.59:
	v_add_u32_e32 v2, -1, v0
	v_lshrrev_b32_e32 v3, 5, v2
	v_add_lshl_u32 v2, v3, v2, 2
	ds_read_b32 v2, v2
	s_waitcnt lgkmcnt(0)
	v_add_u32_e32 v2, v2, v26
.LBB4684_60:
	s_or_b64 exec, exec, s[2:3]
	v_add_u32_e32 v3, v2, v16
	v_add_u32_e32 v4, v3, v17
	;; [unrolled: 1-line block ×9, first 2 shown]
	s_and_saveexec_b64 s[0:1], vcc
	s_cbranch_execz .LBB4684_62
; %bb.61:
	v_mov_b32_e32 v14, 0
	ds_read_b32 v12, v14 offset:520
	v_mov_b32_e32 v13, 2
	s_waitcnt lgkmcnt(0)
	v_add_u32_e32 v12, v12, v26
	global_store_dwordx2 v14, v[12:13], s[24:25] offset:512
.LBB4684_62:
	s_or_b64 exec, exec, s[0:1]
.LBB4684_63:
	s_add_u32 s0, s12, s10
	s_addc_u32 s1, s13, s11
	s_add_u32 s2, s0, s14
	s_addc_u32 s3, s1, s15
	s_mov_b64 s[0:1], -1
	s_and_b64 vcc, exec, s[8:9]
	s_waitcnt lgkmcnt(0)
	s_barrier
	s_cbranch_vccz .LBB4684_65
; %bb.64:
	ds_write2_b64 v1, v[2:3], v[4:5] offset1:1
	ds_write2_b64 v1, v[6:7], v[8:9] offset0:2 offset1:3
	ds_write_b64 v1, v[10:11] offset:32
	s_waitcnt lgkmcnt(0)
	s_barrier
	ds_read2st64_b32 v[12:13], v22 offset1:2
	ds_read2st64_b32 v[14:15], v22 offset0:4 offset1:6
	ds_read2st64_b32 v[16:17], v22 offset0:8 offset1:10
	;; [unrolled: 1-line block ×4, first 2 shown]
	v_mov_b32_e32 v25, s3
	v_add_co_u32_e32 v24, vcc, s2, v22
	v_addc_co_u32_e32 v25, vcc, 0, v25, vcc
	s_waitcnt lgkmcnt(4)
	flat_store_dword v[24:25], v12
	flat_store_dword v[24:25], v13 offset:512
	s_waitcnt lgkmcnt(0)
	flat_store_dword v[24:25], v14 offset:1024
	flat_store_dword v[24:25], v15 offset:1536
	;; [unrolled: 1-line block ×6, first 2 shown]
	v_add_co_u32_e32 v12, vcc, 0x1000, v24
	v_addc_co_u32_e32 v13, vcc, 0, v25, vcc
	flat_store_dword v[12:13], v20
	flat_store_dword v[12:13], v21 offset:512
	s_mov_b64 s[0:1], 0
.LBB4684_65:
	s_andn2_b64 vcc, exec, s[0:1]
	s_cbranch_vccnz .LBB4684_121
; %bb.66:
	ds_write2_b64 v1, v[2:3], v[4:5] offset1:1
	ds_write2_b64 v1, v[6:7], v[8:9] offset0:2 offset1:3
	ds_write_b64 v1, v[10:11] offset:32
	s_waitcnt lgkmcnt(0)
	s_barrier
	ds_read2st64_b32 v[2:3], v22 offset1:2
	ds_read2st64_b32 v[6:7], v22 offset0:4 offset1:6
	ds_read2st64_b32 v[4:5], v22 offset0:8 offset1:10
	;; [unrolled: 1-line block ×4, first 2 shown]
	v_mov_b32_e32 v13, s3
	v_add_co_u32_e32 v12, vcc, s2, v22
	v_addc_co_u32_e32 v13, vcc, 0, v13, vcc
	v_mov_b32_e32 v1, 0
	v_cmp_gt_u32_e32 vcc, s7, v0
	s_and_saveexec_b64 s[0:1], vcc
	s_cbranch_execz .LBB4684_68
; %bb.67:
	s_waitcnt lgkmcnt(0)
	flat_store_dword v[12:13], v2
.LBB4684_68:
	s_or_b64 exec, exec, s[0:1]
	v_or_b32_e32 v14, 0x80, v0
	v_cmp_gt_u32_e32 vcc, s7, v14
	s_and_saveexec_b64 s[0:1], vcc
	s_cbranch_execz .LBB4684_70
; %bb.69:
	s_waitcnt lgkmcnt(0)
	flat_store_dword v[12:13], v3 offset:512
.LBB4684_70:
	s_or_b64 exec, exec, s[0:1]
	v_or_b32_e32 v14, 0x100, v0
	v_cmp_gt_u32_e32 vcc, s7, v14
	s_and_saveexec_b64 s[0:1], vcc
	s_cbranch_execz .LBB4684_72
; %bb.71:
	s_waitcnt lgkmcnt(0)
	flat_store_dword v[12:13], v6 offset:1024
.LBB4684_72:
	;; [unrolled: 9-line block ×7, first 2 shown]
	s_or_b64 exec, exec, s[0:1]
	v_or_b32_e32 v14, 0x400, v0
	v_cmp_gt_u32_e32 vcc, s7, v14
	s_and_saveexec_b64 s[0:1], vcc
	s_cbranch_execz .LBB4684_84
; %bb.83:
	v_add_co_u32_e32 v14, vcc, 0x1000, v12
	v_addc_co_u32_e32 v15, vcc, 0, v13, vcc
	s_waitcnt lgkmcnt(0)
	flat_store_dword v[14:15], v10
.LBB4684_84:
	s_or_b64 exec, exec, s[0:1]
	v_or_b32_e32 v14, 0x480, v0
	v_cmp_gt_u32_e32 vcc, s7, v14
	s_and_saveexec_b64 s[0:1], vcc
	s_cbranch_execz .LBB4684_86
; %bb.85:
	v_add_co_u32_e32 v12, vcc, 0x1000, v12
	v_addc_co_u32_e32 v13, vcc, 0, v13, vcc
	s_waitcnt lgkmcnt(0)
	flat_store_dword v[12:13], v11 offset:512
.LBB4684_86:
	s_or_b64 exec, exec, s[0:1]
	v_cmp_lt_u64_e64 s[0:1], s[22:23], 2
	s_and_b64 vcc, exec, s[0:1]
	s_cbranch_vccnz .LBB4684_121
; %bb.87:
	s_add_u32 s0, s7, -1
	s_addc_u32 s1, s26, -1
	s_add_u32 s2, 0, 0x99986000
	s_addc_u32 s3, 0, 0x59
	s_add_i32 s3, s3, 0x19999940
	s_mul_hi_u32 s7, s2, -10
	s_sub_i32 s7, s7, s2
	s_mul_i32 s8, s3, -10
	s_mul_i32 s4, s2, -10
	s_add_i32 s7, s7, s8
	s_mul_hi_u32 s5, s3, s4
	s_mul_i32 s6, s3, s4
	s_mul_i32 s9, s2, s7
	s_mul_hi_u32 s4, s2, s4
	s_mul_hi_u32 s8, s2, s7
	s_add_u32 s4, s4, s9
	s_addc_u32 s8, 0, s8
	s_add_u32 s4, s4, s6
	s_mul_hi_u32 s9, s3, s7
	s_addc_u32 s4, s8, s5
	s_addc_u32 s5, s9, 0
	s_mul_i32 s6, s3, s7
	s_add_u32 s4, s4, s6
	v_mov_b32_e32 v12, s4
	s_addc_u32 s5, 0, s5
	v_add_co_u32_e32 v12, vcc, s2, v12
	s_cmp_lg_u64 vcc, 0
	s_addc_u32 s2, s3, s5
	v_readfirstlane_b32 s5, v12
	s_mul_i32 s4, s0, s2
	s_mul_hi_u32 s6, s0, s5
	s_mul_hi_u32 s3, s0, s2
	s_add_u32 s4, s6, s4
	s_addc_u32 s3, 0, s3
	s_mul_hi_u32 s7, s1, s5
	s_mul_i32 s5, s1, s5
	s_add_u32 s4, s4, s5
	s_mul_hi_u32 s6, s1, s2
	s_addc_u32 s3, s3, s7
	s_addc_u32 s4, s6, 0
	s_mul_i32 s2, s1, s2
	s_add_u32 s2, s3, s2
	s_addc_u32 s3, 0, s4
	s_add_u32 s4, s2, 1
	s_addc_u32 s5, s3, 0
	s_add_u32 s6, s2, 2
	s_mul_i32 s8, s3, 10
	s_mul_hi_u32 s9, s2, 10
	s_addc_u32 s7, s3, 0
	s_add_i32 s9, s9, s8
	s_mul_i32 s8, s2, 10
	v_mov_b32_e32 v12, s8
	v_sub_co_u32_e32 v12, vcc, s0, v12
	s_cmp_lg_u64 vcc, 0
	s_subb_u32 s8, s1, s9
	v_subrev_co_u32_e32 v13, vcc, 10, v12
	s_cmp_lg_u64 vcc, 0
	s_subb_u32 s9, s8, 0
	v_readfirstlane_b32 s10, v13
	s_cmp_gt_u32 s10, 9
	s_cselect_b32 s10, -1, 0
	s_cmp_eq_u32 s9, 0
	s_cselect_b32 s9, s10, -1
	s_cmp_lg_u32 s9, 0
	s_cselect_b32 s4, s6, s4
	v_readfirstlane_b32 s6, v12
	s_cselect_b32 s5, s7, s5
	s_cmp_gt_u32 s6, 9
	s_cselect_b32 s6, -1, 0
	s_cmp_eq_u32 s8, 0
	s_cselect_b32 s6, s6, -1
	s_cmp_lg_u32 s6, 0
	s_cselect_b32 s3, s5, s3
	s_cselect_b32 s2, s4, s2
	v_cmp_eq_u64_e32 vcc, s[2:3], v[0:1]
	s_and_saveexec_b64 s[2:3], vcc
	s_cbranch_execz .LBB4684_121
; %bb.88:
	v_mul_hi_u32_u24_e32 v1, 10, v0
	v_mov_b32_e32 v12, s1
	v_sub_co_u32_e32 v0, vcc, s0, v23
	v_subb_co_u32_e32 v1, vcc, v12, v1, vcc
	v_cmp_lt_i64_e32 vcc, 4, v[0:1]
	s_and_saveexec_b64 s[0:1], vcc
	s_xor_b64 s[0:1], exec, s[0:1]
	s_cbranch_execz .LBB4684_106
; %bb.89:
	v_cmp_lt_i64_e32 vcc, 6, v[0:1]
	s_and_saveexec_b64 s[2:3], vcc
	s_xor_b64 s[2:3], exec, s[2:3]
	s_cbranch_execz .LBB4684_99
; %bb.90:
	;; [unrolled: 5-line block ×4, first 2 shown]
	v_mov_b32_e32 v0, 0
	s_waitcnt lgkmcnt(0)
	global_store_dword v0, v11, s[18:19]
                                        ; implicit-def: $vgpr10_vgpr11
.LBB4684_93:
	s_andn2_saveexec_b64 s[6:7], s[6:7]
	s_cbranch_execz .LBB4684_95
; %bb.94:
	v_mov_b32_e32 v0, 0
	s_waitcnt lgkmcnt(0)
	global_store_dword v0, v10, s[18:19]
.LBB4684_95:
	s_or_b64 exec, exec, s[6:7]
                                        ; implicit-def: $vgpr8_vgpr9
.LBB4684_96:
	s_andn2_saveexec_b64 s[4:5], s[4:5]
	s_cbranch_execz .LBB4684_98
; %bb.97:
	v_mov_b32_e32 v0, 0
	s_waitcnt lgkmcnt(0)
	global_store_dword v0, v9, s[18:19]
.LBB4684_98:
	s_or_b64 exec, exec, s[4:5]
                                        ; implicit-def: $vgpr4_vgpr5
                                        ; implicit-def: $vgpr0_vgpr1
                                        ; implicit-def: $vgpr8_vgpr9
.LBB4684_99:
	s_andn2_saveexec_b64 s[2:3], s[2:3]
	s_cbranch_execz .LBB4684_105
; %bb.100:
	v_cmp_lt_i64_e32 vcc, 5, v[0:1]
	s_and_saveexec_b64 s[4:5], vcc
	s_xor_b64 s[4:5], exec, s[4:5]
	s_cbranch_execz .LBB4684_102
; %bb.101:
	v_mov_b32_e32 v0, 0
	s_waitcnt lgkmcnt(0)
	global_store_dword v0, v8, s[18:19]
                                        ; implicit-def: $vgpr4_vgpr5
.LBB4684_102:
	s_andn2_saveexec_b64 s[4:5], s[4:5]
	s_cbranch_execz .LBB4684_104
; %bb.103:
	v_mov_b32_e32 v0, 0
	s_waitcnt lgkmcnt(0)
	global_store_dword v0, v5, s[18:19]
.LBB4684_104:
	s_or_b64 exec, exec, s[4:5]
.LBB4684_105:
	s_or_b64 exec, exec, s[2:3]
                                        ; implicit-def: $vgpr0_vgpr1
                                        ; implicit-def: $vgpr6_vgpr7
                                        ; implicit-def: $vgpr2_vgpr3
                                        ; implicit-def: $vgpr4_vgpr5
.LBB4684_106:
	s_andn2_saveexec_b64 s[0:1], s[0:1]
	s_cbranch_execz .LBB4684_121
; %bb.107:
	v_cmp_lt_i64_e32 vcc, 2, v[0:1]
	s_and_saveexec_b64 s[0:1], vcc
	s_xor_b64 s[0:1], exec, s[0:1]
	s_cbranch_execz .LBB4684_113
; %bb.108:
	v_cmp_lt_i64_e32 vcc, 3, v[0:1]
	s_and_saveexec_b64 s[2:3], vcc
	s_xor_b64 s[2:3], exec, s[2:3]
	s_cbranch_execz .LBB4684_110
; %bb.109:
	v_mov_b32_e32 v0, 0
	s_waitcnt lgkmcnt(0)
	global_store_dword v0, v4, s[18:19]
                                        ; implicit-def: $vgpr6_vgpr7
.LBB4684_110:
	s_andn2_saveexec_b64 s[2:3], s[2:3]
	s_cbranch_execz .LBB4684_112
; %bb.111:
	v_mov_b32_e32 v0, 0
	s_waitcnt lgkmcnt(0)
	global_store_dword v0, v7, s[18:19]
.LBB4684_112:
	s_or_b64 exec, exec, s[2:3]
                                        ; implicit-def: $vgpr0_vgpr1
                                        ; implicit-def: $vgpr6_vgpr7
                                        ; implicit-def: $vgpr2_vgpr3
.LBB4684_113:
	s_andn2_saveexec_b64 s[0:1], s[0:1]
	s_cbranch_execz .LBB4684_121
; %bb.114:
	v_cmp_lt_i64_e32 vcc, 1, v[0:1]
	s_and_saveexec_b64 s[0:1], vcc
	s_xor_b64 s[0:1], exec, s[0:1]
	s_cbranch_execz .LBB4684_116
; %bb.115:
	v_mov_b32_e32 v0, 0
	s_waitcnt lgkmcnt(0)
	global_store_dword v0, v6, s[18:19]
                                        ; implicit-def: $vgpr2_vgpr3
                                        ; implicit-def: $vgpr0_vgpr1
.LBB4684_116:
	s_andn2_saveexec_b64 s[0:1], s[0:1]
	s_cbranch_execz .LBB4684_121
; %bb.117:
	v_cmp_ne_u64_e32 vcc, 1, v[0:1]
	s_and_saveexec_b64 s[0:1], vcc
	s_xor_b64 s[0:1], exec, s[0:1]
	s_cbranch_execz .LBB4684_119
; %bb.118:
	v_mov_b32_e32 v0, 0
	s_waitcnt lgkmcnt(0)
	global_store_dword v0, v2, s[18:19]
                                        ; implicit-def: $vgpr2_vgpr3
.LBB4684_119:
	s_andn2_saveexec_b64 s[0:1], s[0:1]
	s_cbranch_execz .LBB4684_121
; %bb.120:
	v_mov_b32_e32 v0, 0
	s_waitcnt lgkmcnt(0)
	global_store_dword v0, v3, s[18:19]
.LBB4684_121:
	s_endpgm
	.section	.rodata,"a",@progbits
	.p2align	6, 0x0
	.amdhsa_kernel _ZN7rocprim17ROCPRIM_400000_NS6detail17trampoline_kernelINS0_14default_configENS1_20scan_config_selectorIjEEZZNS1_9scan_implILNS1_25lookback_scan_determinismE0ELb1ELb1ES3_N6thrust23THRUST_200600_302600_NS6detail15normal_iteratorINS9_10device_ptrIjEEEESE_jNS9_4plusIvEEjEEDaPvRmT3_T4_T5_mT6_P12ihipStream_tbENKUlT_T0_E_clISt17integral_constantIbLb1EEST_IbLb0EEEEDaSP_SQ_EUlSP_E_NS1_11comp_targetILNS1_3genE4ELNS1_11target_archE910ELNS1_3gpuE8ELNS1_3repE0EEENS1_30default_config_static_selectorELNS0_4arch9wavefront6targetE1EEEvT1_
		.amdhsa_group_segment_fixed_size 5120
		.amdhsa_private_segment_fixed_size 0
		.amdhsa_kernarg_size 96
		.amdhsa_user_sgpr_count 6
		.amdhsa_user_sgpr_private_segment_buffer 1
		.amdhsa_user_sgpr_dispatch_ptr 0
		.amdhsa_user_sgpr_queue_ptr 0
		.amdhsa_user_sgpr_kernarg_segment_ptr 1
		.amdhsa_user_sgpr_dispatch_id 0
		.amdhsa_user_sgpr_flat_scratch_init 0
		.amdhsa_user_sgpr_kernarg_preload_length 0
		.amdhsa_user_sgpr_kernarg_preload_offset 0
		.amdhsa_user_sgpr_private_segment_size 0
		.amdhsa_uses_dynamic_stack 0
		.amdhsa_system_sgpr_private_segment_wavefront_offset 0
		.amdhsa_system_sgpr_workgroup_id_x 1
		.amdhsa_system_sgpr_workgroup_id_y 0
		.amdhsa_system_sgpr_workgroup_id_z 0
		.amdhsa_system_sgpr_workgroup_info 0
		.amdhsa_system_vgpr_workitem_id 0
		.amdhsa_next_free_vgpr 41
		.amdhsa_next_free_sgpr 32
		.amdhsa_accum_offset 44
		.amdhsa_reserve_vcc 1
		.amdhsa_reserve_flat_scratch 0
		.amdhsa_float_round_mode_32 0
		.amdhsa_float_round_mode_16_64 0
		.amdhsa_float_denorm_mode_32 3
		.amdhsa_float_denorm_mode_16_64 3
		.amdhsa_dx10_clamp 1
		.amdhsa_ieee_mode 1
		.amdhsa_fp16_overflow 0
		.amdhsa_tg_split 0
		.amdhsa_exception_fp_ieee_invalid_op 0
		.amdhsa_exception_fp_denorm_src 0
		.amdhsa_exception_fp_ieee_div_zero 0
		.amdhsa_exception_fp_ieee_overflow 0
		.amdhsa_exception_fp_ieee_underflow 0
		.amdhsa_exception_fp_ieee_inexact 0
		.amdhsa_exception_int_div_zero 0
	.end_amdhsa_kernel
	.section	.text._ZN7rocprim17ROCPRIM_400000_NS6detail17trampoline_kernelINS0_14default_configENS1_20scan_config_selectorIjEEZZNS1_9scan_implILNS1_25lookback_scan_determinismE0ELb1ELb1ES3_N6thrust23THRUST_200600_302600_NS6detail15normal_iteratorINS9_10device_ptrIjEEEESE_jNS9_4plusIvEEjEEDaPvRmT3_T4_T5_mT6_P12ihipStream_tbENKUlT_T0_E_clISt17integral_constantIbLb1EEST_IbLb0EEEEDaSP_SQ_EUlSP_E_NS1_11comp_targetILNS1_3genE4ELNS1_11target_archE910ELNS1_3gpuE8ELNS1_3repE0EEENS1_30default_config_static_selectorELNS0_4arch9wavefront6targetE1EEEvT1_,"axG",@progbits,_ZN7rocprim17ROCPRIM_400000_NS6detail17trampoline_kernelINS0_14default_configENS1_20scan_config_selectorIjEEZZNS1_9scan_implILNS1_25lookback_scan_determinismE0ELb1ELb1ES3_N6thrust23THRUST_200600_302600_NS6detail15normal_iteratorINS9_10device_ptrIjEEEESE_jNS9_4plusIvEEjEEDaPvRmT3_T4_T5_mT6_P12ihipStream_tbENKUlT_T0_E_clISt17integral_constantIbLb1EEST_IbLb0EEEEDaSP_SQ_EUlSP_E_NS1_11comp_targetILNS1_3genE4ELNS1_11target_archE910ELNS1_3gpuE8ELNS1_3repE0EEENS1_30default_config_static_selectorELNS0_4arch9wavefront6targetE1EEEvT1_,comdat
.Lfunc_end4684:
	.size	_ZN7rocprim17ROCPRIM_400000_NS6detail17trampoline_kernelINS0_14default_configENS1_20scan_config_selectorIjEEZZNS1_9scan_implILNS1_25lookback_scan_determinismE0ELb1ELb1ES3_N6thrust23THRUST_200600_302600_NS6detail15normal_iteratorINS9_10device_ptrIjEEEESE_jNS9_4plusIvEEjEEDaPvRmT3_T4_T5_mT6_P12ihipStream_tbENKUlT_T0_E_clISt17integral_constantIbLb1EEST_IbLb0EEEEDaSP_SQ_EUlSP_E_NS1_11comp_targetILNS1_3genE4ELNS1_11target_archE910ELNS1_3gpuE8ELNS1_3repE0EEENS1_30default_config_static_selectorELNS0_4arch9wavefront6targetE1EEEvT1_, .Lfunc_end4684-_ZN7rocprim17ROCPRIM_400000_NS6detail17trampoline_kernelINS0_14default_configENS1_20scan_config_selectorIjEEZZNS1_9scan_implILNS1_25lookback_scan_determinismE0ELb1ELb1ES3_N6thrust23THRUST_200600_302600_NS6detail15normal_iteratorINS9_10device_ptrIjEEEESE_jNS9_4plusIvEEjEEDaPvRmT3_T4_T5_mT6_P12ihipStream_tbENKUlT_T0_E_clISt17integral_constantIbLb1EEST_IbLb0EEEEDaSP_SQ_EUlSP_E_NS1_11comp_targetILNS1_3genE4ELNS1_11target_archE910ELNS1_3gpuE8ELNS1_3repE0EEENS1_30default_config_static_selectorELNS0_4arch9wavefront6targetE1EEEvT1_
                                        ; -- End function
	.section	.AMDGPU.csdata,"",@progbits
; Kernel info:
; codeLenInByte = 4484
; NumSgprs: 36
; NumVgprs: 41
; NumAgprs: 0
; TotalNumVgprs: 41
; ScratchSize: 0
; MemoryBound: 0
; FloatMode: 240
; IeeeMode: 1
; LDSByteSize: 5120 bytes/workgroup (compile time only)
; SGPRBlocks: 4
; VGPRBlocks: 5
; NumSGPRsForWavesPerEU: 36
; NumVGPRsForWavesPerEU: 41
; AccumOffset: 44
; Occupancy: 6
; WaveLimiterHint : 1
; COMPUTE_PGM_RSRC2:SCRATCH_EN: 0
; COMPUTE_PGM_RSRC2:USER_SGPR: 6
; COMPUTE_PGM_RSRC2:TRAP_HANDLER: 0
; COMPUTE_PGM_RSRC2:TGID_X_EN: 1
; COMPUTE_PGM_RSRC2:TGID_Y_EN: 0
; COMPUTE_PGM_RSRC2:TGID_Z_EN: 0
; COMPUTE_PGM_RSRC2:TIDIG_COMP_CNT: 0
; COMPUTE_PGM_RSRC3_GFX90A:ACCUM_OFFSET: 10
; COMPUTE_PGM_RSRC3_GFX90A:TG_SPLIT: 0
	.section	.text._ZN7rocprim17ROCPRIM_400000_NS6detail17trampoline_kernelINS0_14default_configENS1_20scan_config_selectorIjEEZZNS1_9scan_implILNS1_25lookback_scan_determinismE0ELb1ELb1ES3_N6thrust23THRUST_200600_302600_NS6detail15normal_iteratorINS9_10device_ptrIjEEEESE_jNS9_4plusIvEEjEEDaPvRmT3_T4_T5_mT6_P12ihipStream_tbENKUlT_T0_E_clISt17integral_constantIbLb1EEST_IbLb0EEEEDaSP_SQ_EUlSP_E_NS1_11comp_targetILNS1_3genE3ELNS1_11target_archE908ELNS1_3gpuE7ELNS1_3repE0EEENS1_30default_config_static_selectorELNS0_4arch9wavefront6targetE1EEEvT1_,"axG",@progbits,_ZN7rocprim17ROCPRIM_400000_NS6detail17trampoline_kernelINS0_14default_configENS1_20scan_config_selectorIjEEZZNS1_9scan_implILNS1_25lookback_scan_determinismE0ELb1ELb1ES3_N6thrust23THRUST_200600_302600_NS6detail15normal_iteratorINS9_10device_ptrIjEEEESE_jNS9_4plusIvEEjEEDaPvRmT3_T4_T5_mT6_P12ihipStream_tbENKUlT_T0_E_clISt17integral_constantIbLb1EEST_IbLb0EEEEDaSP_SQ_EUlSP_E_NS1_11comp_targetILNS1_3genE3ELNS1_11target_archE908ELNS1_3gpuE7ELNS1_3repE0EEENS1_30default_config_static_selectorELNS0_4arch9wavefront6targetE1EEEvT1_,comdat
	.protected	_ZN7rocprim17ROCPRIM_400000_NS6detail17trampoline_kernelINS0_14default_configENS1_20scan_config_selectorIjEEZZNS1_9scan_implILNS1_25lookback_scan_determinismE0ELb1ELb1ES3_N6thrust23THRUST_200600_302600_NS6detail15normal_iteratorINS9_10device_ptrIjEEEESE_jNS9_4plusIvEEjEEDaPvRmT3_T4_T5_mT6_P12ihipStream_tbENKUlT_T0_E_clISt17integral_constantIbLb1EEST_IbLb0EEEEDaSP_SQ_EUlSP_E_NS1_11comp_targetILNS1_3genE3ELNS1_11target_archE908ELNS1_3gpuE7ELNS1_3repE0EEENS1_30default_config_static_selectorELNS0_4arch9wavefront6targetE1EEEvT1_ ; -- Begin function _ZN7rocprim17ROCPRIM_400000_NS6detail17trampoline_kernelINS0_14default_configENS1_20scan_config_selectorIjEEZZNS1_9scan_implILNS1_25lookback_scan_determinismE0ELb1ELb1ES3_N6thrust23THRUST_200600_302600_NS6detail15normal_iteratorINS9_10device_ptrIjEEEESE_jNS9_4plusIvEEjEEDaPvRmT3_T4_T5_mT6_P12ihipStream_tbENKUlT_T0_E_clISt17integral_constantIbLb1EEST_IbLb0EEEEDaSP_SQ_EUlSP_E_NS1_11comp_targetILNS1_3genE3ELNS1_11target_archE908ELNS1_3gpuE7ELNS1_3repE0EEENS1_30default_config_static_selectorELNS0_4arch9wavefront6targetE1EEEvT1_
	.globl	_ZN7rocprim17ROCPRIM_400000_NS6detail17trampoline_kernelINS0_14default_configENS1_20scan_config_selectorIjEEZZNS1_9scan_implILNS1_25lookback_scan_determinismE0ELb1ELb1ES3_N6thrust23THRUST_200600_302600_NS6detail15normal_iteratorINS9_10device_ptrIjEEEESE_jNS9_4plusIvEEjEEDaPvRmT3_T4_T5_mT6_P12ihipStream_tbENKUlT_T0_E_clISt17integral_constantIbLb1EEST_IbLb0EEEEDaSP_SQ_EUlSP_E_NS1_11comp_targetILNS1_3genE3ELNS1_11target_archE908ELNS1_3gpuE7ELNS1_3repE0EEENS1_30default_config_static_selectorELNS0_4arch9wavefront6targetE1EEEvT1_
	.p2align	8
	.type	_ZN7rocprim17ROCPRIM_400000_NS6detail17trampoline_kernelINS0_14default_configENS1_20scan_config_selectorIjEEZZNS1_9scan_implILNS1_25lookback_scan_determinismE0ELb1ELb1ES3_N6thrust23THRUST_200600_302600_NS6detail15normal_iteratorINS9_10device_ptrIjEEEESE_jNS9_4plusIvEEjEEDaPvRmT3_T4_T5_mT6_P12ihipStream_tbENKUlT_T0_E_clISt17integral_constantIbLb1EEST_IbLb0EEEEDaSP_SQ_EUlSP_E_NS1_11comp_targetILNS1_3genE3ELNS1_11target_archE908ELNS1_3gpuE7ELNS1_3repE0EEENS1_30default_config_static_selectorELNS0_4arch9wavefront6targetE1EEEvT1_,@function
_ZN7rocprim17ROCPRIM_400000_NS6detail17trampoline_kernelINS0_14default_configENS1_20scan_config_selectorIjEEZZNS1_9scan_implILNS1_25lookback_scan_determinismE0ELb1ELb1ES3_N6thrust23THRUST_200600_302600_NS6detail15normal_iteratorINS9_10device_ptrIjEEEESE_jNS9_4plusIvEEjEEDaPvRmT3_T4_T5_mT6_P12ihipStream_tbENKUlT_T0_E_clISt17integral_constantIbLb1EEST_IbLb0EEEEDaSP_SQ_EUlSP_E_NS1_11comp_targetILNS1_3genE3ELNS1_11target_archE908ELNS1_3gpuE7ELNS1_3repE0EEENS1_30default_config_static_selectorELNS0_4arch9wavefront6targetE1EEEvT1_: ; @_ZN7rocprim17ROCPRIM_400000_NS6detail17trampoline_kernelINS0_14default_configENS1_20scan_config_selectorIjEEZZNS1_9scan_implILNS1_25lookback_scan_determinismE0ELb1ELb1ES3_N6thrust23THRUST_200600_302600_NS6detail15normal_iteratorINS9_10device_ptrIjEEEESE_jNS9_4plusIvEEjEEDaPvRmT3_T4_T5_mT6_P12ihipStream_tbENKUlT_T0_E_clISt17integral_constantIbLb1EEST_IbLb0EEEEDaSP_SQ_EUlSP_E_NS1_11comp_targetILNS1_3genE3ELNS1_11target_archE908ELNS1_3gpuE7ELNS1_3repE0EEENS1_30default_config_static_selectorELNS0_4arch9wavefront6targetE1EEEvT1_
; %bb.0:
	.section	.rodata,"a",@progbits
	.p2align	6, 0x0
	.amdhsa_kernel _ZN7rocprim17ROCPRIM_400000_NS6detail17trampoline_kernelINS0_14default_configENS1_20scan_config_selectorIjEEZZNS1_9scan_implILNS1_25lookback_scan_determinismE0ELb1ELb1ES3_N6thrust23THRUST_200600_302600_NS6detail15normal_iteratorINS9_10device_ptrIjEEEESE_jNS9_4plusIvEEjEEDaPvRmT3_T4_T5_mT6_P12ihipStream_tbENKUlT_T0_E_clISt17integral_constantIbLb1EEST_IbLb0EEEEDaSP_SQ_EUlSP_E_NS1_11comp_targetILNS1_3genE3ELNS1_11target_archE908ELNS1_3gpuE7ELNS1_3repE0EEENS1_30default_config_static_selectorELNS0_4arch9wavefront6targetE1EEEvT1_
		.amdhsa_group_segment_fixed_size 0
		.amdhsa_private_segment_fixed_size 0
		.amdhsa_kernarg_size 96
		.amdhsa_user_sgpr_count 6
		.amdhsa_user_sgpr_private_segment_buffer 1
		.amdhsa_user_sgpr_dispatch_ptr 0
		.amdhsa_user_sgpr_queue_ptr 0
		.amdhsa_user_sgpr_kernarg_segment_ptr 1
		.amdhsa_user_sgpr_dispatch_id 0
		.amdhsa_user_sgpr_flat_scratch_init 0
		.amdhsa_user_sgpr_kernarg_preload_length 0
		.amdhsa_user_sgpr_kernarg_preload_offset 0
		.amdhsa_user_sgpr_private_segment_size 0
		.amdhsa_uses_dynamic_stack 0
		.amdhsa_system_sgpr_private_segment_wavefront_offset 0
		.amdhsa_system_sgpr_workgroup_id_x 1
		.amdhsa_system_sgpr_workgroup_id_y 0
		.amdhsa_system_sgpr_workgroup_id_z 0
		.amdhsa_system_sgpr_workgroup_info 0
		.amdhsa_system_vgpr_workitem_id 0
		.amdhsa_next_free_vgpr 1
		.amdhsa_next_free_sgpr 0
		.amdhsa_accum_offset 4
		.amdhsa_reserve_vcc 0
		.amdhsa_reserve_flat_scratch 0
		.amdhsa_float_round_mode_32 0
		.amdhsa_float_round_mode_16_64 0
		.amdhsa_float_denorm_mode_32 3
		.amdhsa_float_denorm_mode_16_64 3
		.amdhsa_dx10_clamp 1
		.amdhsa_ieee_mode 1
		.amdhsa_fp16_overflow 0
		.amdhsa_tg_split 0
		.amdhsa_exception_fp_ieee_invalid_op 0
		.amdhsa_exception_fp_denorm_src 0
		.amdhsa_exception_fp_ieee_div_zero 0
		.amdhsa_exception_fp_ieee_overflow 0
		.amdhsa_exception_fp_ieee_underflow 0
		.amdhsa_exception_fp_ieee_inexact 0
		.amdhsa_exception_int_div_zero 0
	.end_amdhsa_kernel
	.section	.text._ZN7rocprim17ROCPRIM_400000_NS6detail17trampoline_kernelINS0_14default_configENS1_20scan_config_selectorIjEEZZNS1_9scan_implILNS1_25lookback_scan_determinismE0ELb1ELb1ES3_N6thrust23THRUST_200600_302600_NS6detail15normal_iteratorINS9_10device_ptrIjEEEESE_jNS9_4plusIvEEjEEDaPvRmT3_T4_T5_mT6_P12ihipStream_tbENKUlT_T0_E_clISt17integral_constantIbLb1EEST_IbLb0EEEEDaSP_SQ_EUlSP_E_NS1_11comp_targetILNS1_3genE3ELNS1_11target_archE908ELNS1_3gpuE7ELNS1_3repE0EEENS1_30default_config_static_selectorELNS0_4arch9wavefront6targetE1EEEvT1_,"axG",@progbits,_ZN7rocprim17ROCPRIM_400000_NS6detail17trampoline_kernelINS0_14default_configENS1_20scan_config_selectorIjEEZZNS1_9scan_implILNS1_25lookback_scan_determinismE0ELb1ELb1ES3_N6thrust23THRUST_200600_302600_NS6detail15normal_iteratorINS9_10device_ptrIjEEEESE_jNS9_4plusIvEEjEEDaPvRmT3_T4_T5_mT6_P12ihipStream_tbENKUlT_T0_E_clISt17integral_constantIbLb1EEST_IbLb0EEEEDaSP_SQ_EUlSP_E_NS1_11comp_targetILNS1_3genE3ELNS1_11target_archE908ELNS1_3gpuE7ELNS1_3repE0EEENS1_30default_config_static_selectorELNS0_4arch9wavefront6targetE1EEEvT1_,comdat
.Lfunc_end4685:
	.size	_ZN7rocprim17ROCPRIM_400000_NS6detail17trampoline_kernelINS0_14default_configENS1_20scan_config_selectorIjEEZZNS1_9scan_implILNS1_25lookback_scan_determinismE0ELb1ELb1ES3_N6thrust23THRUST_200600_302600_NS6detail15normal_iteratorINS9_10device_ptrIjEEEESE_jNS9_4plusIvEEjEEDaPvRmT3_T4_T5_mT6_P12ihipStream_tbENKUlT_T0_E_clISt17integral_constantIbLb1EEST_IbLb0EEEEDaSP_SQ_EUlSP_E_NS1_11comp_targetILNS1_3genE3ELNS1_11target_archE908ELNS1_3gpuE7ELNS1_3repE0EEENS1_30default_config_static_selectorELNS0_4arch9wavefront6targetE1EEEvT1_, .Lfunc_end4685-_ZN7rocprim17ROCPRIM_400000_NS6detail17trampoline_kernelINS0_14default_configENS1_20scan_config_selectorIjEEZZNS1_9scan_implILNS1_25lookback_scan_determinismE0ELb1ELb1ES3_N6thrust23THRUST_200600_302600_NS6detail15normal_iteratorINS9_10device_ptrIjEEEESE_jNS9_4plusIvEEjEEDaPvRmT3_T4_T5_mT6_P12ihipStream_tbENKUlT_T0_E_clISt17integral_constantIbLb1EEST_IbLb0EEEEDaSP_SQ_EUlSP_E_NS1_11comp_targetILNS1_3genE3ELNS1_11target_archE908ELNS1_3gpuE7ELNS1_3repE0EEENS1_30default_config_static_selectorELNS0_4arch9wavefront6targetE1EEEvT1_
                                        ; -- End function
	.section	.AMDGPU.csdata,"",@progbits
; Kernel info:
; codeLenInByte = 0
; NumSgprs: 4
; NumVgprs: 0
; NumAgprs: 0
; TotalNumVgprs: 0
; ScratchSize: 0
; MemoryBound: 0
; FloatMode: 240
; IeeeMode: 1
; LDSByteSize: 0 bytes/workgroup (compile time only)
; SGPRBlocks: 0
; VGPRBlocks: 0
; NumSGPRsForWavesPerEU: 4
; NumVGPRsForWavesPerEU: 1
; AccumOffset: 4
; Occupancy: 8
; WaveLimiterHint : 0
; COMPUTE_PGM_RSRC2:SCRATCH_EN: 0
; COMPUTE_PGM_RSRC2:USER_SGPR: 6
; COMPUTE_PGM_RSRC2:TRAP_HANDLER: 0
; COMPUTE_PGM_RSRC2:TGID_X_EN: 1
; COMPUTE_PGM_RSRC2:TGID_Y_EN: 0
; COMPUTE_PGM_RSRC2:TGID_Z_EN: 0
; COMPUTE_PGM_RSRC2:TIDIG_COMP_CNT: 0
; COMPUTE_PGM_RSRC3_GFX90A:ACCUM_OFFSET: 0
; COMPUTE_PGM_RSRC3_GFX90A:TG_SPLIT: 0
	.section	.text._ZN7rocprim17ROCPRIM_400000_NS6detail17trampoline_kernelINS0_14default_configENS1_20scan_config_selectorIjEEZZNS1_9scan_implILNS1_25lookback_scan_determinismE0ELb1ELb1ES3_N6thrust23THRUST_200600_302600_NS6detail15normal_iteratorINS9_10device_ptrIjEEEESE_jNS9_4plusIvEEjEEDaPvRmT3_T4_T5_mT6_P12ihipStream_tbENKUlT_T0_E_clISt17integral_constantIbLb1EEST_IbLb0EEEEDaSP_SQ_EUlSP_E_NS1_11comp_targetILNS1_3genE2ELNS1_11target_archE906ELNS1_3gpuE6ELNS1_3repE0EEENS1_30default_config_static_selectorELNS0_4arch9wavefront6targetE1EEEvT1_,"axG",@progbits,_ZN7rocprim17ROCPRIM_400000_NS6detail17trampoline_kernelINS0_14default_configENS1_20scan_config_selectorIjEEZZNS1_9scan_implILNS1_25lookback_scan_determinismE0ELb1ELb1ES3_N6thrust23THRUST_200600_302600_NS6detail15normal_iteratorINS9_10device_ptrIjEEEESE_jNS9_4plusIvEEjEEDaPvRmT3_T4_T5_mT6_P12ihipStream_tbENKUlT_T0_E_clISt17integral_constantIbLb1EEST_IbLb0EEEEDaSP_SQ_EUlSP_E_NS1_11comp_targetILNS1_3genE2ELNS1_11target_archE906ELNS1_3gpuE6ELNS1_3repE0EEENS1_30default_config_static_selectorELNS0_4arch9wavefront6targetE1EEEvT1_,comdat
	.protected	_ZN7rocprim17ROCPRIM_400000_NS6detail17trampoline_kernelINS0_14default_configENS1_20scan_config_selectorIjEEZZNS1_9scan_implILNS1_25lookback_scan_determinismE0ELb1ELb1ES3_N6thrust23THRUST_200600_302600_NS6detail15normal_iteratorINS9_10device_ptrIjEEEESE_jNS9_4plusIvEEjEEDaPvRmT3_T4_T5_mT6_P12ihipStream_tbENKUlT_T0_E_clISt17integral_constantIbLb1EEST_IbLb0EEEEDaSP_SQ_EUlSP_E_NS1_11comp_targetILNS1_3genE2ELNS1_11target_archE906ELNS1_3gpuE6ELNS1_3repE0EEENS1_30default_config_static_selectorELNS0_4arch9wavefront6targetE1EEEvT1_ ; -- Begin function _ZN7rocprim17ROCPRIM_400000_NS6detail17trampoline_kernelINS0_14default_configENS1_20scan_config_selectorIjEEZZNS1_9scan_implILNS1_25lookback_scan_determinismE0ELb1ELb1ES3_N6thrust23THRUST_200600_302600_NS6detail15normal_iteratorINS9_10device_ptrIjEEEESE_jNS9_4plusIvEEjEEDaPvRmT3_T4_T5_mT6_P12ihipStream_tbENKUlT_T0_E_clISt17integral_constantIbLb1EEST_IbLb0EEEEDaSP_SQ_EUlSP_E_NS1_11comp_targetILNS1_3genE2ELNS1_11target_archE906ELNS1_3gpuE6ELNS1_3repE0EEENS1_30default_config_static_selectorELNS0_4arch9wavefront6targetE1EEEvT1_
	.globl	_ZN7rocprim17ROCPRIM_400000_NS6detail17trampoline_kernelINS0_14default_configENS1_20scan_config_selectorIjEEZZNS1_9scan_implILNS1_25lookback_scan_determinismE0ELb1ELb1ES3_N6thrust23THRUST_200600_302600_NS6detail15normal_iteratorINS9_10device_ptrIjEEEESE_jNS9_4plusIvEEjEEDaPvRmT3_T4_T5_mT6_P12ihipStream_tbENKUlT_T0_E_clISt17integral_constantIbLb1EEST_IbLb0EEEEDaSP_SQ_EUlSP_E_NS1_11comp_targetILNS1_3genE2ELNS1_11target_archE906ELNS1_3gpuE6ELNS1_3repE0EEENS1_30default_config_static_selectorELNS0_4arch9wavefront6targetE1EEEvT1_
	.p2align	8
	.type	_ZN7rocprim17ROCPRIM_400000_NS6detail17trampoline_kernelINS0_14default_configENS1_20scan_config_selectorIjEEZZNS1_9scan_implILNS1_25lookback_scan_determinismE0ELb1ELb1ES3_N6thrust23THRUST_200600_302600_NS6detail15normal_iteratorINS9_10device_ptrIjEEEESE_jNS9_4plusIvEEjEEDaPvRmT3_T4_T5_mT6_P12ihipStream_tbENKUlT_T0_E_clISt17integral_constantIbLb1EEST_IbLb0EEEEDaSP_SQ_EUlSP_E_NS1_11comp_targetILNS1_3genE2ELNS1_11target_archE906ELNS1_3gpuE6ELNS1_3repE0EEENS1_30default_config_static_selectorELNS0_4arch9wavefront6targetE1EEEvT1_,@function
_ZN7rocprim17ROCPRIM_400000_NS6detail17trampoline_kernelINS0_14default_configENS1_20scan_config_selectorIjEEZZNS1_9scan_implILNS1_25lookback_scan_determinismE0ELb1ELb1ES3_N6thrust23THRUST_200600_302600_NS6detail15normal_iteratorINS9_10device_ptrIjEEEESE_jNS9_4plusIvEEjEEDaPvRmT3_T4_T5_mT6_P12ihipStream_tbENKUlT_T0_E_clISt17integral_constantIbLb1EEST_IbLb0EEEEDaSP_SQ_EUlSP_E_NS1_11comp_targetILNS1_3genE2ELNS1_11target_archE906ELNS1_3gpuE6ELNS1_3repE0EEENS1_30default_config_static_selectorELNS0_4arch9wavefront6targetE1EEEvT1_: ; @_ZN7rocprim17ROCPRIM_400000_NS6detail17trampoline_kernelINS0_14default_configENS1_20scan_config_selectorIjEEZZNS1_9scan_implILNS1_25lookback_scan_determinismE0ELb1ELb1ES3_N6thrust23THRUST_200600_302600_NS6detail15normal_iteratorINS9_10device_ptrIjEEEESE_jNS9_4plusIvEEjEEDaPvRmT3_T4_T5_mT6_P12ihipStream_tbENKUlT_T0_E_clISt17integral_constantIbLb1EEST_IbLb0EEEEDaSP_SQ_EUlSP_E_NS1_11comp_targetILNS1_3genE2ELNS1_11target_archE906ELNS1_3gpuE6ELNS1_3repE0EEENS1_30default_config_static_selectorELNS0_4arch9wavefront6targetE1EEEvT1_
; %bb.0:
	.section	.rodata,"a",@progbits
	.p2align	6, 0x0
	.amdhsa_kernel _ZN7rocprim17ROCPRIM_400000_NS6detail17trampoline_kernelINS0_14default_configENS1_20scan_config_selectorIjEEZZNS1_9scan_implILNS1_25lookback_scan_determinismE0ELb1ELb1ES3_N6thrust23THRUST_200600_302600_NS6detail15normal_iteratorINS9_10device_ptrIjEEEESE_jNS9_4plusIvEEjEEDaPvRmT3_T4_T5_mT6_P12ihipStream_tbENKUlT_T0_E_clISt17integral_constantIbLb1EEST_IbLb0EEEEDaSP_SQ_EUlSP_E_NS1_11comp_targetILNS1_3genE2ELNS1_11target_archE906ELNS1_3gpuE6ELNS1_3repE0EEENS1_30default_config_static_selectorELNS0_4arch9wavefront6targetE1EEEvT1_
		.amdhsa_group_segment_fixed_size 0
		.amdhsa_private_segment_fixed_size 0
		.amdhsa_kernarg_size 96
		.amdhsa_user_sgpr_count 6
		.amdhsa_user_sgpr_private_segment_buffer 1
		.amdhsa_user_sgpr_dispatch_ptr 0
		.amdhsa_user_sgpr_queue_ptr 0
		.amdhsa_user_sgpr_kernarg_segment_ptr 1
		.amdhsa_user_sgpr_dispatch_id 0
		.amdhsa_user_sgpr_flat_scratch_init 0
		.amdhsa_user_sgpr_kernarg_preload_length 0
		.amdhsa_user_sgpr_kernarg_preload_offset 0
		.amdhsa_user_sgpr_private_segment_size 0
		.amdhsa_uses_dynamic_stack 0
		.amdhsa_system_sgpr_private_segment_wavefront_offset 0
		.amdhsa_system_sgpr_workgroup_id_x 1
		.amdhsa_system_sgpr_workgroup_id_y 0
		.amdhsa_system_sgpr_workgroup_id_z 0
		.amdhsa_system_sgpr_workgroup_info 0
		.amdhsa_system_vgpr_workitem_id 0
		.amdhsa_next_free_vgpr 1
		.amdhsa_next_free_sgpr 0
		.amdhsa_accum_offset 4
		.amdhsa_reserve_vcc 0
		.amdhsa_reserve_flat_scratch 0
		.amdhsa_float_round_mode_32 0
		.amdhsa_float_round_mode_16_64 0
		.amdhsa_float_denorm_mode_32 3
		.amdhsa_float_denorm_mode_16_64 3
		.amdhsa_dx10_clamp 1
		.amdhsa_ieee_mode 1
		.amdhsa_fp16_overflow 0
		.amdhsa_tg_split 0
		.amdhsa_exception_fp_ieee_invalid_op 0
		.amdhsa_exception_fp_denorm_src 0
		.amdhsa_exception_fp_ieee_div_zero 0
		.amdhsa_exception_fp_ieee_overflow 0
		.amdhsa_exception_fp_ieee_underflow 0
		.amdhsa_exception_fp_ieee_inexact 0
		.amdhsa_exception_int_div_zero 0
	.end_amdhsa_kernel
	.section	.text._ZN7rocprim17ROCPRIM_400000_NS6detail17trampoline_kernelINS0_14default_configENS1_20scan_config_selectorIjEEZZNS1_9scan_implILNS1_25lookback_scan_determinismE0ELb1ELb1ES3_N6thrust23THRUST_200600_302600_NS6detail15normal_iteratorINS9_10device_ptrIjEEEESE_jNS9_4plusIvEEjEEDaPvRmT3_T4_T5_mT6_P12ihipStream_tbENKUlT_T0_E_clISt17integral_constantIbLb1EEST_IbLb0EEEEDaSP_SQ_EUlSP_E_NS1_11comp_targetILNS1_3genE2ELNS1_11target_archE906ELNS1_3gpuE6ELNS1_3repE0EEENS1_30default_config_static_selectorELNS0_4arch9wavefront6targetE1EEEvT1_,"axG",@progbits,_ZN7rocprim17ROCPRIM_400000_NS6detail17trampoline_kernelINS0_14default_configENS1_20scan_config_selectorIjEEZZNS1_9scan_implILNS1_25lookback_scan_determinismE0ELb1ELb1ES3_N6thrust23THRUST_200600_302600_NS6detail15normal_iteratorINS9_10device_ptrIjEEEESE_jNS9_4plusIvEEjEEDaPvRmT3_T4_T5_mT6_P12ihipStream_tbENKUlT_T0_E_clISt17integral_constantIbLb1EEST_IbLb0EEEEDaSP_SQ_EUlSP_E_NS1_11comp_targetILNS1_3genE2ELNS1_11target_archE906ELNS1_3gpuE6ELNS1_3repE0EEENS1_30default_config_static_selectorELNS0_4arch9wavefront6targetE1EEEvT1_,comdat
.Lfunc_end4686:
	.size	_ZN7rocprim17ROCPRIM_400000_NS6detail17trampoline_kernelINS0_14default_configENS1_20scan_config_selectorIjEEZZNS1_9scan_implILNS1_25lookback_scan_determinismE0ELb1ELb1ES3_N6thrust23THRUST_200600_302600_NS6detail15normal_iteratorINS9_10device_ptrIjEEEESE_jNS9_4plusIvEEjEEDaPvRmT3_T4_T5_mT6_P12ihipStream_tbENKUlT_T0_E_clISt17integral_constantIbLb1EEST_IbLb0EEEEDaSP_SQ_EUlSP_E_NS1_11comp_targetILNS1_3genE2ELNS1_11target_archE906ELNS1_3gpuE6ELNS1_3repE0EEENS1_30default_config_static_selectorELNS0_4arch9wavefront6targetE1EEEvT1_, .Lfunc_end4686-_ZN7rocprim17ROCPRIM_400000_NS6detail17trampoline_kernelINS0_14default_configENS1_20scan_config_selectorIjEEZZNS1_9scan_implILNS1_25lookback_scan_determinismE0ELb1ELb1ES3_N6thrust23THRUST_200600_302600_NS6detail15normal_iteratorINS9_10device_ptrIjEEEESE_jNS9_4plusIvEEjEEDaPvRmT3_T4_T5_mT6_P12ihipStream_tbENKUlT_T0_E_clISt17integral_constantIbLb1EEST_IbLb0EEEEDaSP_SQ_EUlSP_E_NS1_11comp_targetILNS1_3genE2ELNS1_11target_archE906ELNS1_3gpuE6ELNS1_3repE0EEENS1_30default_config_static_selectorELNS0_4arch9wavefront6targetE1EEEvT1_
                                        ; -- End function
	.section	.AMDGPU.csdata,"",@progbits
; Kernel info:
; codeLenInByte = 0
; NumSgprs: 4
; NumVgprs: 0
; NumAgprs: 0
; TotalNumVgprs: 0
; ScratchSize: 0
; MemoryBound: 0
; FloatMode: 240
; IeeeMode: 1
; LDSByteSize: 0 bytes/workgroup (compile time only)
; SGPRBlocks: 0
; VGPRBlocks: 0
; NumSGPRsForWavesPerEU: 4
; NumVGPRsForWavesPerEU: 1
; AccumOffset: 4
; Occupancy: 8
; WaveLimiterHint : 0
; COMPUTE_PGM_RSRC2:SCRATCH_EN: 0
; COMPUTE_PGM_RSRC2:USER_SGPR: 6
; COMPUTE_PGM_RSRC2:TRAP_HANDLER: 0
; COMPUTE_PGM_RSRC2:TGID_X_EN: 1
; COMPUTE_PGM_RSRC2:TGID_Y_EN: 0
; COMPUTE_PGM_RSRC2:TGID_Z_EN: 0
; COMPUTE_PGM_RSRC2:TIDIG_COMP_CNT: 0
; COMPUTE_PGM_RSRC3_GFX90A:ACCUM_OFFSET: 0
; COMPUTE_PGM_RSRC3_GFX90A:TG_SPLIT: 0
	.section	.text._ZN7rocprim17ROCPRIM_400000_NS6detail17trampoline_kernelINS0_14default_configENS1_20scan_config_selectorIjEEZZNS1_9scan_implILNS1_25lookback_scan_determinismE0ELb1ELb1ES3_N6thrust23THRUST_200600_302600_NS6detail15normal_iteratorINS9_10device_ptrIjEEEESE_jNS9_4plusIvEEjEEDaPvRmT3_T4_T5_mT6_P12ihipStream_tbENKUlT_T0_E_clISt17integral_constantIbLb1EEST_IbLb0EEEEDaSP_SQ_EUlSP_E_NS1_11comp_targetILNS1_3genE10ELNS1_11target_archE1201ELNS1_3gpuE5ELNS1_3repE0EEENS1_30default_config_static_selectorELNS0_4arch9wavefront6targetE1EEEvT1_,"axG",@progbits,_ZN7rocprim17ROCPRIM_400000_NS6detail17trampoline_kernelINS0_14default_configENS1_20scan_config_selectorIjEEZZNS1_9scan_implILNS1_25lookback_scan_determinismE0ELb1ELb1ES3_N6thrust23THRUST_200600_302600_NS6detail15normal_iteratorINS9_10device_ptrIjEEEESE_jNS9_4plusIvEEjEEDaPvRmT3_T4_T5_mT6_P12ihipStream_tbENKUlT_T0_E_clISt17integral_constantIbLb1EEST_IbLb0EEEEDaSP_SQ_EUlSP_E_NS1_11comp_targetILNS1_3genE10ELNS1_11target_archE1201ELNS1_3gpuE5ELNS1_3repE0EEENS1_30default_config_static_selectorELNS0_4arch9wavefront6targetE1EEEvT1_,comdat
	.protected	_ZN7rocprim17ROCPRIM_400000_NS6detail17trampoline_kernelINS0_14default_configENS1_20scan_config_selectorIjEEZZNS1_9scan_implILNS1_25lookback_scan_determinismE0ELb1ELb1ES3_N6thrust23THRUST_200600_302600_NS6detail15normal_iteratorINS9_10device_ptrIjEEEESE_jNS9_4plusIvEEjEEDaPvRmT3_T4_T5_mT6_P12ihipStream_tbENKUlT_T0_E_clISt17integral_constantIbLb1EEST_IbLb0EEEEDaSP_SQ_EUlSP_E_NS1_11comp_targetILNS1_3genE10ELNS1_11target_archE1201ELNS1_3gpuE5ELNS1_3repE0EEENS1_30default_config_static_selectorELNS0_4arch9wavefront6targetE1EEEvT1_ ; -- Begin function _ZN7rocprim17ROCPRIM_400000_NS6detail17trampoline_kernelINS0_14default_configENS1_20scan_config_selectorIjEEZZNS1_9scan_implILNS1_25lookback_scan_determinismE0ELb1ELb1ES3_N6thrust23THRUST_200600_302600_NS6detail15normal_iteratorINS9_10device_ptrIjEEEESE_jNS9_4plusIvEEjEEDaPvRmT3_T4_T5_mT6_P12ihipStream_tbENKUlT_T0_E_clISt17integral_constantIbLb1EEST_IbLb0EEEEDaSP_SQ_EUlSP_E_NS1_11comp_targetILNS1_3genE10ELNS1_11target_archE1201ELNS1_3gpuE5ELNS1_3repE0EEENS1_30default_config_static_selectorELNS0_4arch9wavefront6targetE1EEEvT1_
	.globl	_ZN7rocprim17ROCPRIM_400000_NS6detail17trampoline_kernelINS0_14default_configENS1_20scan_config_selectorIjEEZZNS1_9scan_implILNS1_25lookback_scan_determinismE0ELb1ELb1ES3_N6thrust23THRUST_200600_302600_NS6detail15normal_iteratorINS9_10device_ptrIjEEEESE_jNS9_4plusIvEEjEEDaPvRmT3_T4_T5_mT6_P12ihipStream_tbENKUlT_T0_E_clISt17integral_constantIbLb1EEST_IbLb0EEEEDaSP_SQ_EUlSP_E_NS1_11comp_targetILNS1_3genE10ELNS1_11target_archE1201ELNS1_3gpuE5ELNS1_3repE0EEENS1_30default_config_static_selectorELNS0_4arch9wavefront6targetE1EEEvT1_
	.p2align	8
	.type	_ZN7rocprim17ROCPRIM_400000_NS6detail17trampoline_kernelINS0_14default_configENS1_20scan_config_selectorIjEEZZNS1_9scan_implILNS1_25lookback_scan_determinismE0ELb1ELb1ES3_N6thrust23THRUST_200600_302600_NS6detail15normal_iteratorINS9_10device_ptrIjEEEESE_jNS9_4plusIvEEjEEDaPvRmT3_T4_T5_mT6_P12ihipStream_tbENKUlT_T0_E_clISt17integral_constantIbLb1EEST_IbLb0EEEEDaSP_SQ_EUlSP_E_NS1_11comp_targetILNS1_3genE10ELNS1_11target_archE1201ELNS1_3gpuE5ELNS1_3repE0EEENS1_30default_config_static_selectorELNS0_4arch9wavefront6targetE1EEEvT1_,@function
_ZN7rocprim17ROCPRIM_400000_NS6detail17trampoline_kernelINS0_14default_configENS1_20scan_config_selectorIjEEZZNS1_9scan_implILNS1_25lookback_scan_determinismE0ELb1ELb1ES3_N6thrust23THRUST_200600_302600_NS6detail15normal_iteratorINS9_10device_ptrIjEEEESE_jNS9_4plusIvEEjEEDaPvRmT3_T4_T5_mT6_P12ihipStream_tbENKUlT_T0_E_clISt17integral_constantIbLb1EEST_IbLb0EEEEDaSP_SQ_EUlSP_E_NS1_11comp_targetILNS1_3genE10ELNS1_11target_archE1201ELNS1_3gpuE5ELNS1_3repE0EEENS1_30default_config_static_selectorELNS0_4arch9wavefront6targetE1EEEvT1_: ; @_ZN7rocprim17ROCPRIM_400000_NS6detail17trampoline_kernelINS0_14default_configENS1_20scan_config_selectorIjEEZZNS1_9scan_implILNS1_25lookback_scan_determinismE0ELb1ELb1ES3_N6thrust23THRUST_200600_302600_NS6detail15normal_iteratorINS9_10device_ptrIjEEEESE_jNS9_4plusIvEEjEEDaPvRmT3_T4_T5_mT6_P12ihipStream_tbENKUlT_T0_E_clISt17integral_constantIbLb1EEST_IbLb0EEEEDaSP_SQ_EUlSP_E_NS1_11comp_targetILNS1_3genE10ELNS1_11target_archE1201ELNS1_3gpuE5ELNS1_3repE0EEENS1_30default_config_static_selectorELNS0_4arch9wavefront6targetE1EEEvT1_
; %bb.0:
	.section	.rodata,"a",@progbits
	.p2align	6, 0x0
	.amdhsa_kernel _ZN7rocprim17ROCPRIM_400000_NS6detail17trampoline_kernelINS0_14default_configENS1_20scan_config_selectorIjEEZZNS1_9scan_implILNS1_25lookback_scan_determinismE0ELb1ELb1ES3_N6thrust23THRUST_200600_302600_NS6detail15normal_iteratorINS9_10device_ptrIjEEEESE_jNS9_4plusIvEEjEEDaPvRmT3_T4_T5_mT6_P12ihipStream_tbENKUlT_T0_E_clISt17integral_constantIbLb1EEST_IbLb0EEEEDaSP_SQ_EUlSP_E_NS1_11comp_targetILNS1_3genE10ELNS1_11target_archE1201ELNS1_3gpuE5ELNS1_3repE0EEENS1_30default_config_static_selectorELNS0_4arch9wavefront6targetE1EEEvT1_
		.amdhsa_group_segment_fixed_size 0
		.amdhsa_private_segment_fixed_size 0
		.amdhsa_kernarg_size 96
		.amdhsa_user_sgpr_count 6
		.amdhsa_user_sgpr_private_segment_buffer 1
		.amdhsa_user_sgpr_dispatch_ptr 0
		.amdhsa_user_sgpr_queue_ptr 0
		.amdhsa_user_sgpr_kernarg_segment_ptr 1
		.amdhsa_user_sgpr_dispatch_id 0
		.amdhsa_user_sgpr_flat_scratch_init 0
		.amdhsa_user_sgpr_kernarg_preload_length 0
		.amdhsa_user_sgpr_kernarg_preload_offset 0
		.amdhsa_user_sgpr_private_segment_size 0
		.amdhsa_uses_dynamic_stack 0
		.amdhsa_system_sgpr_private_segment_wavefront_offset 0
		.amdhsa_system_sgpr_workgroup_id_x 1
		.amdhsa_system_sgpr_workgroup_id_y 0
		.amdhsa_system_sgpr_workgroup_id_z 0
		.amdhsa_system_sgpr_workgroup_info 0
		.amdhsa_system_vgpr_workitem_id 0
		.amdhsa_next_free_vgpr 1
		.amdhsa_next_free_sgpr 0
		.amdhsa_accum_offset 4
		.amdhsa_reserve_vcc 0
		.amdhsa_reserve_flat_scratch 0
		.amdhsa_float_round_mode_32 0
		.amdhsa_float_round_mode_16_64 0
		.amdhsa_float_denorm_mode_32 3
		.amdhsa_float_denorm_mode_16_64 3
		.amdhsa_dx10_clamp 1
		.amdhsa_ieee_mode 1
		.amdhsa_fp16_overflow 0
		.amdhsa_tg_split 0
		.amdhsa_exception_fp_ieee_invalid_op 0
		.amdhsa_exception_fp_denorm_src 0
		.amdhsa_exception_fp_ieee_div_zero 0
		.amdhsa_exception_fp_ieee_overflow 0
		.amdhsa_exception_fp_ieee_underflow 0
		.amdhsa_exception_fp_ieee_inexact 0
		.amdhsa_exception_int_div_zero 0
	.end_amdhsa_kernel
	.section	.text._ZN7rocprim17ROCPRIM_400000_NS6detail17trampoline_kernelINS0_14default_configENS1_20scan_config_selectorIjEEZZNS1_9scan_implILNS1_25lookback_scan_determinismE0ELb1ELb1ES3_N6thrust23THRUST_200600_302600_NS6detail15normal_iteratorINS9_10device_ptrIjEEEESE_jNS9_4plusIvEEjEEDaPvRmT3_T4_T5_mT6_P12ihipStream_tbENKUlT_T0_E_clISt17integral_constantIbLb1EEST_IbLb0EEEEDaSP_SQ_EUlSP_E_NS1_11comp_targetILNS1_3genE10ELNS1_11target_archE1201ELNS1_3gpuE5ELNS1_3repE0EEENS1_30default_config_static_selectorELNS0_4arch9wavefront6targetE1EEEvT1_,"axG",@progbits,_ZN7rocprim17ROCPRIM_400000_NS6detail17trampoline_kernelINS0_14default_configENS1_20scan_config_selectorIjEEZZNS1_9scan_implILNS1_25lookback_scan_determinismE0ELb1ELb1ES3_N6thrust23THRUST_200600_302600_NS6detail15normal_iteratorINS9_10device_ptrIjEEEESE_jNS9_4plusIvEEjEEDaPvRmT3_T4_T5_mT6_P12ihipStream_tbENKUlT_T0_E_clISt17integral_constantIbLb1EEST_IbLb0EEEEDaSP_SQ_EUlSP_E_NS1_11comp_targetILNS1_3genE10ELNS1_11target_archE1201ELNS1_3gpuE5ELNS1_3repE0EEENS1_30default_config_static_selectorELNS0_4arch9wavefront6targetE1EEEvT1_,comdat
.Lfunc_end4687:
	.size	_ZN7rocprim17ROCPRIM_400000_NS6detail17trampoline_kernelINS0_14default_configENS1_20scan_config_selectorIjEEZZNS1_9scan_implILNS1_25lookback_scan_determinismE0ELb1ELb1ES3_N6thrust23THRUST_200600_302600_NS6detail15normal_iteratorINS9_10device_ptrIjEEEESE_jNS9_4plusIvEEjEEDaPvRmT3_T4_T5_mT6_P12ihipStream_tbENKUlT_T0_E_clISt17integral_constantIbLb1EEST_IbLb0EEEEDaSP_SQ_EUlSP_E_NS1_11comp_targetILNS1_3genE10ELNS1_11target_archE1201ELNS1_3gpuE5ELNS1_3repE0EEENS1_30default_config_static_selectorELNS0_4arch9wavefront6targetE1EEEvT1_, .Lfunc_end4687-_ZN7rocprim17ROCPRIM_400000_NS6detail17trampoline_kernelINS0_14default_configENS1_20scan_config_selectorIjEEZZNS1_9scan_implILNS1_25lookback_scan_determinismE0ELb1ELb1ES3_N6thrust23THRUST_200600_302600_NS6detail15normal_iteratorINS9_10device_ptrIjEEEESE_jNS9_4plusIvEEjEEDaPvRmT3_T4_T5_mT6_P12ihipStream_tbENKUlT_T0_E_clISt17integral_constantIbLb1EEST_IbLb0EEEEDaSP_SQ_EUlSP_E_NS1_11comp_targetILNS1_3genE10ELNS1_11target_archE1201ELNS1_3gpuE5ELNS1_3repE0EEENS1_30default_config_static_selectorELNS0_4arch9wavefront6targetE1EEEvT1_
                                        ; -- End function
	.section	.AMDGPU.csdata,"",@progbits
; Kernel info:
; codeLenInByte = 0
; NumSgprs: 4
; NumVgprs: 0
; NumAgprs: 0
; TotalNumVgprs: 0
; ScratchSize: 0
; MemoryBound: 0
; FloatMode: 240
; IeeeMode: 1
; LDSByteSize: 0 bytes/workgroup (compile time only)
; SGPRBlocks: 0
; VGPRBlocks: 0
; NumSGPRsForWavesPerEU: 4
; NumVGPRsForWavesPerEU: 1
; AccumOffset: 4
; Occupancy: 8
; WaveLimiterHint : 0
; COMPUTE_PGM_RSRC2:SCRATCH_EN: 0
; COMPUTE_PGM_RSRC2:USER_SGPR: 6
; COMPUTE_PGM_RSRC2:TRAP_HANDLER: 0
; COMPUTE_PGM_RSRC2:TGID_X_EN: 1
; COMPUTE_PGM_RSRC2:TGID_Y_EN: 0
; COMPUTE_PGM_RSRC2:TGID_Z_EN: 0
; COMPUTE_PGM_RSRC2:TIDIG_COMP_CNT: 0
; COMPUTE_PGM_RSRC3_GFX90A:ACCUM_OFFSET: 0
; COMPUTE_PGM_RSRC3_GFX90A:TG_SPLIT: 0
	.section	.text._ZN7rocprim17ROCPRIM_400000_NS6detail17trampoline_kernelINS0_14default_configENS1_20scan_config_selectorIjEEZZNS1_9scan_implILNS1_25lookback_scan_determinismE0ELb1ELb1ES3_N6thrust23THRUST_200600_302600_NS6detail15normal_iteratorINS9_10device_ptrIjEEEESE_jNS9_4plusIvEEjEEDaPvRmT3_T4_T5_mT6_P12ihipStream_tbENKUlT_T0_E_clISt17integral_constantIbLb1EEST_IbLb0EEEEDaSP_SQ_EUlSP_E_NS1_11comp_targetILNS1_3genE10ELNS1_11target_archE1200ELNS1_3gpuE4ELNS1_3repE0EEENS1_30default_config_static_selectorELNS0_4arch9wavefront6targetE1EEEvT1_,"axG",@progbits,_ZN7rocprim17ROCPRIM_400000_NS6detail17trampoline_kernelINS0_14default_configENS1_20scan_config_selectorIjEEZZNS1_9scan_implILNS1_25lookback_scan_determinismE0ELb1ELb1ES3_N6thrust23THRUST_200600_302600_NS6detail15normal_iteratorINS9_10device_ptrIjEEEESE_jNS9_4plusIvEEjEEDaPvRmT3_T4_T5_mT6_P12ihipStream_tbENKUlT_T0_E_clISt17integral_constantIbLb1EEST_IbLb0EEEEDaSP_SQ_EUlSP_E_NS1_11comp_targetILNS1_3genE10ELNS1_11target_archE1200ELNS1_3gpuE4ELNS1_3repE0EEENS1_30default_config_static_selectorELNS0_4arch9wavefront6targetE1EEEvT1_,comdat
	.protected	_ZN7rocprim17ROCPRIM_400000_NS6detail17trampoline_kernelINS0_14default_configENS1_20scan_config_selectorIjEEZZNS1_9scan_implILNS1_25lookback_scan_determinismE0ELb1ELb1ES3_N6thrust23THRUST_200600_302600_NS6detail15normal_iteratorINS9_10device_ptrIjEEEESE_jNS9_4plusIvEEjEEDaPvRmT3_T4_T5_mT6_P12ihipStream_tbENKUlT_T0_E_clISt17integral_constantIbLb1EEST_IbLb0EEEEDaSP_SQ_EUlSP_E_NS1_11comp_targetILNS1_3genE10ELNS1_11target_archE1200ELNS1_3gpuE4ELNS1_3repE0EEENS1_30default_config_static_selectorELNS0_4arch9wavefront6targetE1EEEvT1_ ; -- Begin function _ZN7rocprim17ROCPRIM_400000_NS6detail17trampoline_kernelINS0_14default_configENS1_20scan_config_selectorIjEEZZNS1_9scan_implILNS1_25lookback_scan_determinismE0ELb1ELb1ES3_N6thrust23THRUST_200600_302600_NS6detail15normal_iteratorINS9_10device_ptrIjEEEESE_jNS9_4plusIvEEjEEDaPvRmT3_T4_T5_mT6_P12ihipStream_tbENKUlT_T0_E_clISt17integral_constantIbLb1EEST_IbLb0EEEEDaSP_SQ_EUlSP_E_NS1_11comp_targetILNS1_3genE10ELNS1_11target_archE1200ELNS1_3gpuE4ELNS1_3repE0EEENS1_30default_config_static_selectorELNS0_4arch9wavefront6targetE1EEEvT1_
	.globl	_ZN7rocprim17ROCPRIM_400000_NS6detail17trampoline_kernelINS0_14default_configENS1_20scan_config_selectorIjEEZZNS1_9scan_implILNS1_25lookback_scan_determinismE0ELb1ELb1ES3_N6thrust23THRUST_200600_302600_NS6detail15normal_iteratorINS9_10device_ptrIjEEEESE_jNS9_4plusIvEEjEEDaPvRmT3_T4_T5_mT6_P12ihipStream_tbENKUlT_T0_E_clISt17integral_constantIbLb1EEST_IbLb0EEEEDaSP_SQ_EUlSP_E_NS1_11comp_targetILNS1_3genE10ELNS1_11target_archE1200ELNS1_3gpuE4ELNS1_3repE0EEENS1_30default_config_static_selectorELNS0_4arch9wavefront6targetE1EEEvT1_
	.p2align	8
	.type	_ZN7rocprim17ROCPRIM_400000_NS6detail17trampoline_kernelINS0_14default_configENS1_20scan_config_selectorIjEEZZNS1_9scan_implILNS1_25lookback_scan_determinismE0ELb1ELb1ES3_N6thrust23THRUST_200600_302600_NS6detail15normal_iteratorINS9_10device_ptrIjEEEESE_jNS9_4plusIvEEjEEDaPvRmT3_T4_T5_mT6_P12ihipStream_tbENKUlT_T0_E_clISt17integral_constantIbLb1EEST_IbLb0EEEEDaSP_SQ_EUlSP_E_NS1_11comp_targetILNS1_3genE10ELNS1_11target_archE1200ELNS1_3gpuE4ELNS1_3repE0EEENS1_30default_config_static_selectorELNS0_4arch9wavefront6targetE1EEEvT1_,@function
_ZN7rocprim17ROCPRIM_400000_NS6detail17trampoline_kernelINS0_14default_configENS1_20scan_config_selectorIjEEZZNS1_9scan_implILNS1_25lookback_scan_determinismE0ELb1ELb1ES3_N6thrust23THRUST_200600_302600_NS6detail15normal_iteratorINS9_10device_ptrIjEEEESE_jNS9_4plusIvEEjEEDaPvRmT3_T4_T5_mT6_P12ihipStream_tbENKUlT_T0_E_clISt17integral_constantIbLb1EEST_IbLb0EEEEDaSP_SQ_EUlSP_E_NS1_11comp_targetILNS1_3genE10ELNS1_11target_archE1200ELNS1_3gpuE4ELNS1_3repE0EEENS1_30default_config_static_selectorELNS0_4arch9wavefront6targetE1EEEvT1_: ; @_ZN7rocprim17ROCPRIM_400000_NS6detail17trampoline_kernelINS0_14default_configENS1_20scan_config_selectorIjEEZZNS1_9scan_implILNS1_25lookback_scan_determinismE0ELb1ELb1ES3_N6thrust23THRUST_200600_302600_NS6detail15normal_iteratorINS9_10device_ptrIjEEEESE_jNS9_4plusIvEEjEEDaPvRmT3_T4_T5_mT6_P12ihipStream_tbENKUlT_T0_E_clISt17integral_constantIbLb1EEST_IbLb0EEEEDaSP_SQ_EUlSP_E_NS1_11comp_targetILNS1_3genE10ELNS1_11target_archE1200ELNS1_3gpuE4ELNS1_3repE0EEENS1_30default_config_static_selectorELNS0_4arch9wavefront6targetE1EEEvT1_
; %bb.0:
	.section	.rodata,"a",@progbits
	.p2align	6, 0x0
	.amdhsa_kernel _ZN7rocprim17ROCPRIM_400000_NS6detail17trampoline_kernelINS0_14default_configENS1_20scan_config_selectorIjEEZZNS1_9scan_implILNS1_25lookback_scan_determinismE0ELb1ELb1ES3_N6thrust23THRUST_200600_302600_NS6detail15normal_iteratorINS9_10device_ptrIjEEEESE_jNS9_4plusIvEEjEEDaPvRmT3_T4_T5_mT6_P12ihipStream_tbENKUlT_T0_E_clISt17integral_constantIbLb1EEST_IbLb0EEEEDaSP_SQ_EUlSP_E_NS1_11comp_targetILNS1_3genE10ELNS1_11target_archE1200ELNS1_3gpuE4ELNS1_3repE0EEENS1_30default_config_static_selectorELNS0_4arch9wavefront6targetE1EEEvT1_
		.amdhsa_group_segment_fixed_size 0
		.amdhsa_private_segment_fixed_size 0
		.amdhsa_kernarg_size 96
		.amdhsa_user_sgpr_count 6
		.amdhsa_user_sgpr_private_segment_buffer 1
		.amdhsa_user_sgpr_dispatch_ptr 0
		.amdhsa_user_sgpr_queue_ptr 0
		.amdhsa_user_sgpr_kernarg_segment_ptr 1
		.amdhsa_user_sgpr_dispatch_id 0
		.amdhsa_user_sgpr_flat_scratch_init 0
		.amdhsa_user_sgpr_kernarg_preload_length 0
		.amdhsa_user_sgpr_kernarg_preload_offset 0
		.amdhsa_user_sgpr_private_segment_size 0
		.amdhsa_uses_dynamic_stack 0
		.amdhsa_system_sgpr_private_segment_wavefront_offset 0
		.amdhsa_system_sgpr_workgroup_id_x 1
		.amdhsa_system_sgpr_workgroup_id_y 0
		.amdhsa_system_sgpr_workgroup_id_z 0
		.amdhsa_system_sgpr_workgroup_info 0
		.amdhsa_system_vgpr_workitem_id 0
		.amdhsa_next_free_vgpr 1
		.amdhsa_next_free_sgpr 0
		.amdhsa_accum_offset 4
		.amdhsa_reserve_vcc 0
		.amdhsa_reserve_flat_scratch 0
		.amdhsa_float_round_mode_32 0
		.amdhsa_float_round_mode_16_64 0
		.amdhsa_float_denorm_mode_32 3
		.amdhsa_float_denorm_mode_16_64 3
		.amdhsa_dx10_clamp 1
		.amdhsa_ieee_mode 1
		.amdhsa_fp16_overflow 0
		.amdhsa_tg_split 0
		.amdhsa_exception_fp_ieee_invalid_op 0
		.amdhsa_exception_fp_denorm_src 0
		.amdhsa_exception_fp_ieee_div_zero 0
		.amdhsa_exception_fp_ieee_overflow 0
		.amdhsa_exception_fp_ieee_underflow 0
		.amdhsa_exception_fp_ieee_inexact 0
		.amdhsa_exception_int_div_zero 0
	.end_amdhsa_kernel
	.section	.text._ZN7rocprim17ROCPRIM_400000_NS6detail17trampoline_kernelINS0_14default_configENS1_20scan_config_selectorIjEEZZNS1_9scan_implILNS1_25lookback_scan_determinismE0ELb1ELb1ES3_N6thrust23THRUST_200600_302600_NS6detail15normal_iteratorINS9_10device_ptrIjEEEESE_jNS9_4plusIvEEjEEDaPvRmT3_T4_T5_mT6_P12ihipStream_tbENKUlT_T0_E_clISt17integral_constantIbLb1EEST_IbLb0EEEEDaSP_SQ_EUlSP_E_NS1_11comp_targetILNS1_3genE10ELNS1_11target_archE1200ELNS1_3gpuE4ELNS1_3repE0EEENS1_30default_config_static_selectorELNS0_4arch9wavefront6targetE1EEEvT1_,"axG",@progbits,_ZN7rocprim17ROCPRIM_400000_NS6detail17trampoline_kernelINS0_14default_configENS1_20scan_config_selectorIjEEZZNS1_9scan_implILNS1_25lookback_scan_determinismE0ELb1ELb1ES3_N6thrust23THRUST_200600_302600_NS6detail15normal_iteratorINS9_10device_ptrIjEEEESE_jNS9_4plusIvEEjEEDaPvRmT3_T4_T5_mT6_P12ihipStream_tbENKUlT_T0_E_clISt17integral_constantIbLb1EEST_IbLb0EEEEDaSP_SQ_EUlSP_E_NS1_11comp_targetILNS1_3genE10ELNS1_11target_archE1200ELNS1_3gpuE4ELNS1_3repE0EEENS1_30default_config_static_selectorELNS0_4arch9wavefront6targetE1EEEvT1_,comdat
.Lfunc_end4688:
	.size	_ZN7rocprim17ROCPRIM_400000_NS6detail17trampoline_kernelINS0_14default_configENS1_20scan_config_selectorIjEEZZNS1_9scan_implILNS1_25lookback_scan_determinismE0ELb1ELb1ES3_N6thrust23THRUST_200600_302600_NS6detail15normal_iteratorINS9_10device_ptrIjEEEESE_jNS9_4plusIvEEjEEDaPvRmT3_T4_T5_mT6_P12ihipStream_tbENKUlT_T0_E_clISt17integral_constantIbLb1EEST_IbLb0EEEEDaSP_SQ_EUlSP_E_NS1_11comp_targetILNS1_3genE10ELNS1_11target_archE1200ELNS1_3gpuE4ELNS1_3repE0EEENS1_30default_config_static_selectorELNS0_4arch9wavefront6targetE1EEEvT1_, .Lfunc_end4688-_ZN7rocprim17ROCPRIM_400000_NS6detail17trampoline_kernelINS0_14default_configENS1_20scan_config_selectorIjEEZZNS1_9scan_implILNS1_25lookback_scan_determinismE0ELb1ELb1ES3_N6thrust23THRUST_200600_302600_NS6detail15normal_iteratorINS9_10device_ptrIjEEEESE_jNS9_4plusIvEEjEEDaPvRmT3_T4_T5_mT6_P12ihipStream_tbENKUlT_T0_E_clISt17integral_constantIbLb1EEST_IbLb0EEEEDaSP_SQ_EUlSP_E_NS1_11comp_targetILNS1_3genE10ELNS1_11target_archE1200ELNS1_3gpuE4ELNS1_3repE0EEENS1_30default_config_static_selectorELNS0_4arch9wavefront6targetE1EEEvT1_
                                        ; -- End function
	.section	.AMDGPU.csdata,"",@progbits
; Kernel info:
; codeLenInByte = 0
; NumSgprs: 4
; NumVgprs: 0
; NumAgprs: 0
; TotalNumVgprs: 0
; ScratchSize: 0
; MemoryBound: 0
; FloatMode: 240
; IeeeMode: 1
; LDSByteSize: 0 bytes/workgroup (compile time only)
; SGPRBlocks: 0
; VGPRBlocks: 0
; NumSGPRsForWavesPerEU: 4
; NumVGPRsForWavesPerEU: 1
; AccumOffset: 4
; Occupancy: 8
; WaveLimiterHint : 0
; COMPUTE_PGM_RSRC2:SCRATCH_EN: 0
; COMPUTE_PGM_RSRC2:USER_SGPR: 6
; COMPUTE_PGM_RSRC2:TRAP_HANDLER: 0
; COMPUTE_PGM_RSRC2:TGID_X_EN: 1
; COMPUTE_PGM_RSRC2:TGID_Y_EN: 0
; COMPUTE_PGM_RSRC2:TGID_Z_EN: 0
; COMPUTE_PGM_RSRC2:TIDIG_COMP_CNT: 0
; COMPUTE_PGM_RSRC3_GFX90A:ACCUM_OFFSET: 0
; COMPUTE_PGM_RSRC3_GFX90A:TG_SPLIT: 0
	.section	.text._ZN7rocprim17ROCPRIM_400000_NS6detail17trampoline_kernelINS0_14default_configENS1_20scan_config_selectorIjEEZZNS1_9scan_implILNS1_25lookback_scan_determinismE0ELb1ELb1ES3_N6thrust23THRUST_200600_302600_NS6detail15normal_iteratorINS9_10device_ptrIjEEEESE_jNS9_4plusIvEEjEEDaPvRmT3_T4_T5_mT6_P12ihipStream_tbENKUlT_T0_E_clISt17integral_constantIbLb1EEST_IbLb0EEEEDaSP_SQ_EUlSP_E_NS1_11comp_targetILNS1_3genE9ELNS1_11target_archE1100ELNS1_3gpuE3ELNS1_3repE0EEENS1_30default_config_static_selectorELNS0_4arch9wavefront6targetE1EEEvT1_,"axG",@progbits,_ZN7rocprim17ROCPRIM_400000_NS6detail17trampoline_kernelINS0_14default_configENS1_20scan_config_selectorIjEEZZNS1_9scan_implILNS1_25lookback_scan_determinismE0ELb1ELb1ES3_N6thrust23THRUST_200600_302600_NS6detail15normal_iteratorINS9_10device_ptrIjEEEESE_jNS9_4plusIvEEjEEDaPvRmT3_T4_T5_mT6_P12ihipStream_tbENKUlT_T0_E_clISt17integral_constantIbLb1EEST_IbLb0EEEEDaSP_SQ_EUlSP_E_NS1_11comp_targetILNS1_3genE9ELNS1_11target_archE1100ELNS1_3gpuE3ELNS1_3repE0EEENS1_30default_config_static_selectorELNS0_4arch9wavefront6targetE1EEEvT1_,comdat
	.protected	_ZN7rocprim17ROCPRIM_400000_NS6detail17trampoline_kernelINS0_14default_configENS1_20scan_config_selectorIjEEZZNS1_9scan_implILNS1_25lookback_scan_determinismE0ELb1ELb1ES3_N6thrust23THRUST_200600_302600_NS6detail15normal_iteratorINS9_10device_ptrIjEEEESE_jNS9_4plusIvEEjEEDaPvRmT3_T4_T5_mT6_P12ihipStream_tbENKUlT_T0_E_clISt17integral_constantIbLb1EEST_IbLb0EEEEDaSP_SQ_EUlSP_E_NS1_11comp_targetILNS1_3genE9ELNS1_11target_archE1100ELNS1_3gpuE3ELNS1_3repE0EEENS1_30default_config_static_selectorELNS0_4arch9wavefront6targetE1EEEvT1_ ; -- Begin function _ZN7rocprim17ROCPRIM_400000_NS6detail17trampoline_kernelINS0_14default_configENS1_20scan_config_selectorIjEEZZNS1_9scan_implILNS1_25lookback_scan_determinismE0ELb1ELb1ES3_N6thrust23THRUST_200600_302600_NS6detail15normal_iteratorINS9_10device_ptrIjEEEESE_jNS9_4plusIvEEjEEDaPvRmT3_T4_T5_mT6_P12ihipStream_tbENKUlT_T0_E_clISt17integral_constantIbLb1EEST_IbLb0EEEEDaSP_SQ_EUlSP_E_NS1_11comp_targetILNS1_3genE9ELNS1_11target_archE1100ELNS1_3gpuE3ELNS1_3repE0EEENS1_30default_config_static_selectorELNS0_4arch9wavefront6targetE1EEEvT1_
	.globl	_ZN7rocprim17ROCPRIM_400000_NS6detail17trampoline_kernelINS0_14default_configENS1_20scan_config_selectorIjEEZZNS1_9scan_implILNS1_25lookback_scan_determinismE0ELb1ELb1ES3_N6thrust23THRUST_200600_302600_NS6detail15normal_iteratorINS9_10device_ptrIjEEEESE_jNS9_4plusIvEEjEEDaPvRmT3_T4_T5_mT6_P12ihipStream_tbENKUlT_T0_E_clISt17integral_constantIbLb1EEST_IbLb0EEEEDaSP_SQ_EUlSP_E_NS1_11comp_targetILNS1_3genE9ELNS1_11target_archE1100ELNS1_3gpuE3ELNS1_3repE0EEENS1_30default_config_static_selectorELNS0_4arch9wavefront6targetE1EEEvT1_
	.p2align	8
	.type	_ZN7rocprim17ROCPRIM_400000_NS6detail17trampoline_kernelINS0_14default_configENS1_20scan_config_selectorIjEEZZNS1_9scan_implILNS1_25lookback_scan_determinismE0ELb1ELb1ES3_N6thrust23THRUST_200600_302600_NS6detail15normal_iteratorINS9_10device_ptrIjEEEESE_jNS9_4plusIvEEjEEDaPvRmT3_T4_T5_mT6_P12ihipStream_tbENKUlT_T0_E_clISt17integral_constantIbLb1EEST_IbLb0EEEEDaSP_SQ_EUlSP_E_NS1_11comp_targetILNS1_3genE9ELNS1_11target_archE1100ELNS1_3gpuE3ELNS1_3repE0EEENS1_30default_config_static_selectorELNS0_4arch9wavefront6targetE1EEEvT1_,@function
_ZN7rocprim17ROCPRIM_400000_NS6detail17trampoline_kernelINS0_14default_configENS1_20scan_config_selectorIjEEZZNS1_9scan_implILNS1_25lookback_scan_determinismE0ELb1ELb1ES3_N6thrust23THRUST_200600_302600_NS6detail15normal_iteratorINS9_10device_ptrIjEEEESE_jNS9_4plusIvEEjEEDaPvRmT3_T4_T5_mT6_P12ihipStream_tbENKUlT_T0_E_clISt17integral_constantIbLb1EEST_IbLb0EEEEDaSP_SQ_EUlSP_E_NS1_11comp_targetILNS1_3genE9ELNS1_11target_archE1100ELNS1_3gpuE3ELNS1_3repE0EEENS1_30default_config_static_selectorELNS0_4arch9wavefront6targetE1EEEvT1_: ; @_ZN7rocprim17ROCPRIM_400000_NS6detail17trampoline_kernelINS0_14default_configENS1_20scan_config_selectorIjEEZZNS1_9scan_implILNS1_25lookback_scan_determinismE0ELb1ELb1ES3_N6thrust23THRUST_200600_302600_NS6detail15normal_iteratorINS9_10device_ptrIjEEEESE_jNS9_4plusIvEEjEEDaPvRmT3_T4_T5_mT6_P12ihipStream_tbENKUlT_T0_E_clISt17integral_constantIbLb1EEST_IbLb0EEEEDaSP_SQ_EUlSP_E_NS1_11comp_targetILNS1_3genE9ELNS1_11target_archE1100ELNS1_3gpuE3ELNS1_3repE0EEENS1_30default_config_static_selectorELNS0_4arch9wavefront6targetE1EEEvT1_
; %bb.0:
	.section	.rodata,"a",@progbits
	.p2align	6, 0x0
	.amdhsa_kernel _ZN7rocprim17ROCPRIM_400000_NS6detail17trampoline_kernelINS0_14default_configENS1_20scan_config_selectorIjEEZZNS1_9scan_implILNS1_25lookback_scan_determinismE0ELb1ELb1ES3_N6thrust23THRUST_200600_302600_NS6detail15normal_iteratorINS9_10device_ptrIjEEEESE_jNS9_4plusIvEEjEEDaPvRmT3_T4_T5_mT6_P12ihipStream_tbENKUlT_T0_E_clISt17integral_constantIbLb1EEST_IbLb0EEEEDaSP_SQ_EUlSP_E_NS1_11comp_targetILNS1_3genE9ELNS1_11target_archE1100ELNS1_3gpuE3ELNS1_3repE0EEENS1_30default_config_static_selectorELNS0_4arch9wavefront6targetE1EEEvT1_
		.amdhsa_group_segment_fixed_size 0
		.amdhsa_private_segment_fixed_size 0
		.amdhsa_kernarg_size 96
		.amdhsa_user_sgpr_count 6
		.amdhsa_user_sgpr_private_segment_buffer 1
		.amdhsa_user_sgpr_dispatch_ptr 0
		.amdhsa_user_sgpr_queue_ptr 0
		.amdhsa_user_sgpr_kernarg_segment_ptr 1
		.amdhsa_user_sgpr_dispatch_id 0
		.amdhsa_user_sgpr_flat_scratch_init 0
		.amdhsa_user_sgpr_kernarg_preload_length 0
		.amdhsa_user_sgpr_kernarg_preload_offset 0
		.amdhsa_user_sgpr_private_segment_size 0
		.amdhsa_uses_dynamic_stack 0
		.amdhsa_system_sgpr_private_segment_wavefront_offset 0
		.amdhsa_system_sgpr_workgroup_id_x 1
		.amdhsa_system_sgpr_workgroup_id_y 0
		.amdhsa_system_sgpr_workgroup_id_z 0
		.amdhsa_system_sgpr_workgroup_info 0
		.amdhsa_system_vgpr_workitem_id 0
		.amdhsa_next_free_vgpr 1
		.amdhsa_next_free_sgpr 0
		.amdhsa_accum_offset 4
		.amdhsa_reserve_vcc 0
		.amdhsa_reserve_flat_scratch 0
		.amdhsa_float_round_mode_32 0
		.amdhsa_float_round_mode_16_64 0
		.amdhsa_float_denorm_mode_32 3
		.amdhsa_float_denorm_mode_16_64 3
		.amdhsa_dx10_clamp 1
		.amdhsa_ieee_mode 1
		.amdhsa_fp16_overflow 0
		.amdhsa_tg_split 0
		.amdhsa_exception_fp_ieee_invalid_op 0
		.amdhsa_exception_fp_denorm_src 0
		.amdhsa_exception_fp_ieee_div_zero 0
		.amdhsa_exception_fp_ieee_overflow 0
		.amdhsa_exception_fp_ieee_underflow 0
		.amdhsa_exception_fp_ieee_inexact 0
		.amdhsa_exception_int_div_zero 0
	.end_amdhsa_kernel
	.section	.text._ZN7rocprim17ROCPRIM_400000_NS6detail17trampoline_kernelINS0_14default_configENS1_20scan_config_selectorIjEEZZNS1_9scan_implILNS1_25lookback_scan_determinismE0ELb1ELb1ES3_N6thrust23THRUST_200600_302600_NS6detail15normal_iteratorINS9_10device_ptrIjEEEESE_jNS9_4plusIvEEjEEDaPvRmT3_T4_T5_mT6_P12ihipStream_tbENKUlT_T0_E_clISt17integral_constantIbLb1EEST_IbLb0EEEEDaSP_SQ_EUlSP_E_NS1_11comp_targetILNS1_3genE9ELNS1_11target_archE1100ELNS1_3gpuE3ELNS1_3repE0EEENS1_30default_config_static_selectorELNS0_4arch9wavefront6targetE1EEEvT1_,"axG",@progbits,_ZN7rocprim17ROCPRIM_400000_NS6detail17trampoline_kernelINS0_14default_configENS1_20scan_config_selectorIjEEZZNS1_9scan_implILNS1_25lookback_scan_determinismE0ELb1ELb1ES3_N6thrust23THRUST_200600_302600_NS6detail15normal_iteratorINS9_10device_ptrIjEEEESE_jNS9_4plusIvEEjEEDaPvRmT3_T4_T5_mT6_P12ihipStream_tbENKUlT_T0_E_clISt17integral_constantIbLb1EEST_IbLb0EEEEDaSP_SQ_EUlSP_E_NS1_11comp_targetILNS1_3genE9ELNS1_11target_archE1100ELNS1_3gpuE3ELNS1_3repE0EEENS1_30default_config_static_selectorELNS0_4arch9wavefront6targetE1EEEvT1_,comdat
.Lfunc_end4689:
	.size	_ZN7rocprim17ROCPRIM_400000_NS6detail17trampoline_kernelINS0_14default_configENS1_20scan_config_selectorIjEEZZNS1_9scan_implILNS1_25lookback_scan_determinismE0ELb1ELb1ES3_N6thrust23THRUST_200600_302600_NS6detail15normal_iteratorINS9_10device_ptrIjEEEESE_jNS9_4plusIvEEjEEDaPvRmT3_T4_T5_mT6_P12ihipStream_tbENKUlT_T0_E_clISt17integral_constantIbLb1EEST_IbLb0EEEEDaSP_SQ_EUlSP_E_NS1_11comp_targetILNS1_3genE9ELNS1_11target_archE1100ELNS1_3gpuE3ELNS1_3repE0EEENS1_30default_config_static_selectorELNS0_4arch9wavefront6targetE1EEEvT1_, .Lfunc_end4689-_ZN7rocprim17ROCPRIM_400000_NS6detail17trampoline_kernelINS0_14default_configENS1_20scan_config_selectorIjEEZZNS1_9scan_implILNS1_25lookback_scan_determinismE0ELb1ELb1ES3_N6thrust23THRUST_200600_302600_NS6detail15normal_iteratorINS9_10device_ptrIjEEEESE_jNS9_4plusIvEEjEEDaPvRmT3_T4_T5_mT6_P12ihipStream_tbENKUlT_T0_E_clISt17integral_constantIbLb1EEST_IbLb0EEEEDaSP_SQ_EUlSP_E_NS1_11comp_targetILNS1_3genE9ELNS1_11target_archE1100ELNS1_3gpuE3ELNS1_3repE0EEENS1_30default_config_static_selectorELNS0_4arch9wavefront6targetE1EEEvT1_
                                        ; -- End function
	.section	.AMDGPU.csdata,"",@progbits
; Kernel info:
; codeLenInByte = 0
; NumSgprs: 4
; NumVgprs: 0
; NumAgprs: 0
; TotalNumVgprs: 0
; ScratchSize: 0
; MemoryBound: 0
; FloatMode: 240
; IeeeMode: 1
; LDSByteSize: 0 bytes/workgroup (compile time only)
; SGPRBlocks: 0
; VGPRBlocks: 0
; NumSGPRsForWavesPerEU: 4
; NumVGPRsForWavesPerEU: 1
; AccumOffset: 4
; Occupancy: 8
; WaveLimiterHint : 0
; COMPUTE_PGM_RSRC2:SCRATCH_EN: 0
; COMPUTE_PGM_RSRC2:USER_SGPR: 6
; COMPUTE_PGM_RSRC2:TRAP_HANDLER: 0
; COMPUTE_PGM_RSRC2:TGID_X_EN: 1
; COMPUTE_PGM_RSRC2:TGID_Y_EN: 0
; COMPUTE_PGM_RSRC2:TGID_Z_EN: 0
; COMPUTE_PGM_RSRC2:TIDIG_COMP_CNT: 0
; COMPUTE_PGM_RSRC3_GFX90A:ACCUM_OFFSET: 0
; COMPUTE_PGM_RSRC3_GFX90A:TG_SPLIT: 0
	.section	.text._ZN7rocprim17ROCPRIM_400000_NS6detail17trampoline_kernelINS0_14default_configENS1_20scan_config_selectorIjEEZZNS1_9scan_implILNS1_25lookback_scan_determinismE0ELb1ELb1ES3_N6thrust23THRUST_200600_302600_NS6detail15normal_iteratorINS9_10device_ptrIjEEEESE_jNS9_4plusIvEEjEEDaPvRmT3_T4_T5_mT6_P12ihipStream_tbENKUlT_T0_E_clISt17integral_constantIbLb1EEST_IbLb0EEEEDaSP_SQ_EUlSP_E_NS1_11comp_targetILNS1_3genE8ELNS1_11target_archE1030ELNS1_3gpuE2ELNS1_3repE0EEENS1_30default_config_static_selectorELNS0_4arch9wavefront6targetE1EEEvT1_,"axG",@progbits,_ZN7rocprim17ROCPRIM_400000_NS6detail17trampoline_kernelINS0_14default_configENS1_20scan_config_selectorIjEEZZNS1_9scan_implILNS1_25lookback_scan_determinismE0ELb1ELb1ES3_N6thrust23THRUST_200600_302600_NS6detail15normal_iteratorINS9_10device_ptrIjEEEESE_jNS9_4plusIvEEjEEDaPvRmT3_T4_T5_mT6_P12ihipStream_tbENKUlT_T0_E_clISt17integral_constantIbLb1EEST_IbLb0EEEEDaSP_SQ_EUlSP_E_NS1_11comp_targetILNS1_3genE8ELNS1_11target_archE1030ELNS1_3gpuE2ELNS1_3repE0EEENS1_30default_config_static_selectorELNS0_4arch9wavefront6targetE1EEEvT1_,comdat
	.protected	_ZN7rocprim17ROCPRIM_400000_NS6detail17trampoline_kernelINS0_14default_configENS1_20scan_config_selectorIjEEZZNS1_9scan_implILNS1_25lookback_scan_determinismE0ELb1ELb1ES3_N6thrust23THRUST_200600_302600_NS6detail15normal_iteratorINS9_10device_ptrIjEEEESE_jNS9_4plusIvEEjEEDaPvRmT3_T4_T5_mT6_P12ihipStream_tbENKUlT_T0_E_clISt17integral_constantIbLb1EEST_IbLb0EEEEDaSP_SQ_EUlSP_E_NS1_11comp_targetILNS1_3genE8ELNS1_11target_archE1030ELNS1_3gpuE2ELNS1_3repE0EEENS1_30default_config_static_selectorELNS0_4arch9wavefront6targetE1EEEvT1_ ; -- Begin function _ZN7rocprim17ROCPRIM_400000_NS6detail17trampoline_kernelINS0_14default_configENS1_20scan_config_selectorIjEEZZNS1_9scan_implILNS1_25lookback_scan_determinismE0ELb1ELb1ES3_N6thrust23THRUST_200600_302600_NS6detail15normal_iteratorINS9_10device_ptrIjEEEESE_jNS9_4plusIvEEjEEDaPvRmT3_T4_T5_mT6_P12ihipStream_tbENKUlT_T0_E_clISt17integral_constantIbLb1EEST_IbLb0EEEEDaSP_SQ_EUlSP_E_NS1_11comp_targetILNS1_3genE8ELNS1_11target_archE1030ELNS1_3gpuE2ELNS1_3repE0EEENS1_30default_config_static_selectorELNS0_4arch9wavefront6targetE1EEEvT1_
	.globl	_ZN7rocprim17ROCPRIM_400000_NS6detail17trampoline_kernelINS0_14default_configENS1_20scan_config_selectorIjEEZZNS1_9scan_implILNS1_25lookback_scan_determinismE0ELb1ELb1ES3_N6thrust23THRUST_200600_302600_NS6detail15normal_iteratorINS9_10device_ptrIjEEEESE_jNS9_4plusIvEEjEEDaPvRmT3_T4_T5_mT6_P12ihipStream_tbENKUlT_T0_E_clISt17integral_constantIbLb1EEST_IbLb0EEEEDaSP_SQ_EUlSP_E_NS1_11comp_targetILNS1_3genE8ELNS1_11target_archE1030ELNS1_3gpuE2ELNS1_3repE0EEENS1_30default_config_static_selectorELNS0_4arch9wavefront6targetE1EEEvT1_
	.p2align	8
	.type	_ZN7rocprim17ROCPRIM_400000_NS6detail17trampoline_kernelINS0_14default_configENS1_20scan_config_selectorIjEEZZNS1_9scan_implILNS1_25lookback_scan_determinismE0ELb1ELb1ES3_N6thrust23THRUST_200600_302600_NS6detail15normal_iteratorINS9_10device_ptrIjEEEESE_jNS9_4plusIvEEjEEDaPvRmT3_T4_T5_mT6_P12ihipStream_tbENKUlT_T0_E_clISt17integral_constantIbLb1EEST_IbLb0EEEEDaSP_SQ_EUlSP_E_NS1_11comp_targetILNS1_3genE8ELNS1_11target_archE1030ELNS1_3gpuE2ELNS1_3repE0EEENS1_30default_config_static_selectorELNS0_4arch9wavefront6targetE1EEEvT1_,@function
_ZN7rocprim17ROCPRIM_400000_NS6detail17trampoline_kernelINS0_14default_configENS1_20scan_config_selectorIjEEZZNS1_9scan_implILNS1_25lookback_scan_determinismE0ELb1ELb1ES3_N6thrust23THRUST_200600_302600_NS6detail15normal_iteratorINS9_10device_ptrIjEEEESE_jNS9_4plusIvEEjEEDaPvRmT3_T4_T5_mT6_P12ihipStream_tbENKUlT_T0_E_clISt17integral_constantIbLb1EEST_IbLb0EEEEDaSP_SQ_EUlSP_E_NS1_11comp_targetILNS1_3genE8ELNS1_11target_archE1030ELNS1_3gpuE2ELNS1_3repE0EEENS1_30default_config_static_selectorELNS0_4arch9wavefront6targetE1EEEvT1_: ; @_ZN7rocprim17ROCPRIM_400000_NS6detail17trampoline_kernelINS0_14default_configENS1_20scan_config_selectorIjEEZZNS1_9scan_implILNS1_25lookback_scan_determinismE0ELb1ELb1ES3_N6thrust23THRUST_200600_302600_NS6detail15normal_iteratorINS9_10device_ptrIjEEEESE_jNS9_4plusIvEEjEEDaPvRmT3_T4_T5_mT6_P12ihipStream_tbENKUlT_T0_E_clISt17integral_constantIbLb1EEST_IbLb0EEEEDaSP_SQ_EUlSP_E_NS1_11comp_targetILNS1_3genE8ELNS1_11target_archE1030ELNS1_3gpuE2ELNS1_3repE0EEENS1_30default_config_static_selectorELNS0_4arch9wavefront6targetE1EEEvT1_
; %bb.0:
	.section	.rodata,"a",@progbits
	.p2align	6, 0x0
	.amdhsa_kernel _ZN7rocprim17ROCPRIM_400000_NS6detail17trampoline_kernelINS0_14default_configENS1_20scan_config_selectorIjEEZZNS1_9scan_implILNS1_25lookback_scan_determinismE0ELb1ELb1ES3_N6thrust23THRUST_200600_302600_NS6detail15normal_iteratorINS9_10device_ptrIjEEEESE_jNS9_4plusIvEEjEEDaPvRmT3_T4_T5_mT6_P12ihipStream_tbENKUlT_T0_E_clISt17integral_constantIbLb1EEST_IbLb0EEEEDaSP_SQ_EUlSP_E_NS1_11comp_targetILNS1_3genE8ELNS1_11target_archE1030ELNS1_3gpuE2ELNS1_3repE0EEENS1_30default_config_static_selectorELNS0_4arch9wavefront6targetE1EEEvT1_
		.amdhsa_group_segment_fixed_size 0
		.amdhsa_private_segment_fixed_size 0
		.amdhsa_kernarg_size 96
		.amdhsa_user_sgpr_count 6
		.amdhsa_user_sgpr_private_segment_buffer 1
		.amdhsa_user_sgpr_dispatch_ptr 0
		.amdhsa_user_sgpr_queue_ptr 0
		.amdhsa_user_sgpr_kernarg_segment_ptr 1
		.amdhsa_user_sgpr_dispatch_id 0
		.amdhsa_user_sgpr_flat_scratch_init 0
		.amdhsa_user_sgpr_kernarg_preload_length 0
		.amdhsa_user_sgpr_kernarg_preload_offset 0
		.amdhsa_user_sgpr_private_segment_size 0
		.amdhsa_uses_dynamic_stack 0
		.amdhsa_system_sgpr_private_segment_wavefront_offset 0
		.amdhsa_system_sgpr_workgroup_id_x 1
		.amdhsa_system_sgpr_workgroup_id_y 0
		.amdhsa_system_sgpr_workgroup_id_z 0
		.amdhsa_system_sgpr_workgroup_info 0
		.amdhsa_system_vgpr_workitem_id 0
		.amdhsa_next_free_vgpr 1
		.amdhsa_next_free_sgpr 0
		.amdhsa_accum_offset 4
		.amdhsa_reserve_vcc 0
		.amdhsa_reserve_flat_scratch 0
		.amdhsa_float_round_mode_32 0
		.amdhsa_float_round_mode_16_64 0
		.amdhsa_float_denorm_mode_32 3
		.amdhsa_float_denorm_mode_16_64 3
		.amdhsa_dx10_clamp 1
		.amdhsa_ieee_mode 1
		.amdhsa_fp16_overflow 0
		.amdhsa_tg_split 0
		.amdhsa_exception_fp_ieee_invalid_op 0
		.amdhsa_exception_fp_denorm_src 0
		.amdhsa_exception_fp_ieee_div_zero 0
		.amdhsa_exception_fp_ieee_overflow 0
		.amdhsa_exception_fp_ieee_underflow 0
		.amdhsa_exception_fp_ieee_inexact 0
		.amdhsa_exception_int_div_zero 0
	.end_amdhsa_kernel
	.section	.text._ZN7rocprim17ROCPRIM_400000_NS6detail17trampoline_kernelINS0_14default_configENS1_20scan_config_selectorIjEEZZNS1_9scan_implILNS1_25lookback_scan_determinismE0ELb1ELb1ES3_N6thrust23THRUST_200600_302600_NS6detail15normal_iteratorINS9_10device_ptrIjEEEESE_jNS9_4plusIvEEjEEDaPvRmT3_T4_T5_mT6_P12ihipStream_tbENKUlT_T0_E_clISt17integral_constantIbLb1EEST_IbLb0EEEEDaSP_SQ_EUlSP_E_NS1_11comp_targetILNS1_3genE8ELNS1_11target_archE1030ELNS1_3gpuE2ELNS1_3repE0EEENS1_30default_config_static_selectorELNS0_4arch9wavefront6targetE1EEEvT1_,"axG",@progbits,_ZN7rocprim17ROCPRIM_400000_NS6detail17trampoline_kernelINS0_14default_configENS1_20scan_config_selectorIjEEZZNS1_9scan_implILNS1_25lookback_scan_determinismE0ELb1ELb1ES3_N6thrust23THRUST_200600_302600_NS6detail15normal_iteratorINS9_10device_ptrIjEEEESE_jNS9_4plusIvEEjEEDaPvRmT3_T4_T5_mT6_P12ihipStream_tbENKUlT_T0_E_clISt17integral_constantIbLb1EEST_IbLb0EEEEDaSP_SQ_EUlSP_E_NS1_11comp_targetILNS1_3genE8ELNS1_11target_archE1030ELNS1_3gpuE2ELNS1_3repE0EEENS1_30default_config_static_selectorELNS0_4arch9wavefront6targetE1EEEvT1_,comdat
.Lfunc_end4690:
	.size	_ZN7rocprim17ROCPRIM_400000_NS6detail17trampoline_kernelINS0_14default_configENS1_20scan_config_selectorIjEEZZNS1_9scan_implILNS1_25lookback_scan_determinismE0ELb1ELb1ES3_N6thrust23THRUST_200600_302600_NS6detail15normal_iteratorINS9_10device_ptrIjEEEESE_jNS9_4plusIvEEjEEDaPvRmT3_T4_T5_mT6_P12ihipStream_tbENKUlT_T0_E_clISt17integral_constantIbLb1EEST_IbLb0EEEEDaSP_SQ_EUlSP_E_NS1_11comp_targetILNS1_3genE8ELNS1_11target_archE1030ELNS1_3gpuE2ELNS1_3repE0EEENS1_30default_config_static_selectorELNS0_4arch9wavefront6targetE1EEEvT1_, .Lfunc_end4690-_ZN7rocprim17ROCPRIM_400000_NS6detail17trampoline_kernelINS0_14default_configENS1_20scan_config_selectorIjEEZZNS1_9scan_implILNS1_25lookback_scan_determinismE0ELb1ELb1ES3_N6thrust23THRUST_200600_302600_NS6detail15normal_iteratorINS9_10device_ptrIjEEEESE_jNS9_4plusIvEEjEEDaPvRmT3_T4_T5_mT6_P12ihipStream_tbENKUlT_T0_E_clISt17integral_constantIbLb1EEST_IbLb0EEEEDaSP_SQ_EUlSP_E_NS1_11comp_targetILNS1_3genE8ELNS1_11target_archE1030ELNS1_3gpuE2ELNS1_3repE0EEENS1_30default_config_static_selectorELNS0_4arch9wavefront6targetE1EEEvT1_
                                        ; -- End function
	.section	.AMDGPU.csdata,"",@progbits
; Kernel info:
; codeLenInByte = 0
; NumSgprs: 4
; NumVgprs: 0
; NumAgprs: 0
; TotalNumVgprs: 0
; ScratchSize: 0
; MemoryBound: 0
; FloatMode: 240
; IeeeMode: 1
; LDSByteSize: 0 bytes/workgroup (compile time only)
; SGPRBlocks: 0
; VGPRBlocks: 0
; NumSGPRsForWavesPerEU: 4
; NumVGPRsForWavesPerEU: 1
; AccumOffset: 4
; Occupancy: 8
; WaveLimiterHint : 0
; COMPUTE_PGM_RSRC2:SCRATCH_EN: 0
; COMPUTE_PGM_RSRC2:USER_SGPR: 6
; COMPUTE_PGM_RSRC2:TRAP_HANDLER: 0
; COMPUTE_PGM_RSRC2:TGID_X_EN: 1
; COMPUTE_PGM_RSRC2:TGID_Y_EN: 0
; COMPUTE_PGM_RSRC2:TGID_Z_EN: 0
; COMPUTE_PGM_RSRC2:TIDIG_COMP_CNT: 0
; COMPUTE_PGM_RSRC3_GFX90A:ACCUM_OFFSET: 0
; COMPUTE_PGM_RSRC3_GFX90A:TG_SPLIT: 0
	.section	.text._ZN7rocprim17ROCPRIM_400000_NS6detail17trampoline_kernelINS0_14default_configENS1_20scan_config_selectorIjEEZZNS1_9scan_implILNS1_25lookback_scan_determinismE0ELb1ELb1ES3_N6thrust23THRUST_200600_302600_NS6detail15normal_iteratorINS9_10device_ptrIjEEEESE_jNS9_4plusIvEEjEEDaPvRmT3_T4_T5_mT6_P12ihipStream_tbENKUlT_T0_E_clISt17integral_constantIbLb1EEST_IbLb0EEEEDaSP_SQ_EUlSP_E0_NS1_11comp_targetILNS1_3genE0ELNS1_11target_archE4294967295ELNS1_3gpuE0ELNS1_3repE0EEENS1_30default_config_static_selectorELNS0_4arch9wavefront6targetE1EEEvT1_,"axG",@progbits,_ZN7rocprim17ROCPRIM_400000_NS6detail17trampoline_kernelINS0_14default_configENS1_20scan_config_selectorIjEEZZNS1_9scan_implILNS1_25lookback_scan_determinismE0ELb1ELb1ES3_N6thrust23THRUST_200600_302600_NS6detail15normal_iteratorINS9_10device_ptrIjEEEESE_jNS9_4plusIvEEjEEDaPvRmT3_T4_T5_mT6_P12ihipStream_tbENKUlT_T0_E_clISt17integral_constantIbLb1EEST_IbLb0EEEEDaSP_SQ_EUlSP_E0_NS1_11comp_targetILNS1_3genE0ELNS1_11target_archE4294967295ELNS1_3gpuE0ELNS1_3repE0EEENS1_30default_config_static_selectorELNS0_4arch9wavefront6targetE1EEEvT1_,comdat
	.protected	_ZN7rocprim17ROCPRIM_400000_NS6detail17trampoline_kernelINS0_14default_configENS1_20scan_config_selectorIjEEZZNS1_9scan_implILNS1_25lookback_scan_determinismE0ELb1ELb1ES3_N6thrust23THRUST_200600_302600_NS6detail15normal_iteratorINS9_10device_ptrIjEEEESE_jNS9_4plusIvEEjEEDaPvRmT3_T4_T5_mT6_P12ihipStream_tbENKUlT_T0_E_clISt17integral_constantIbLb1EEST_IbLb0EEEEDaSP_SQ_EUlSP_E0_NS1_11comp_targetILNS1_3genE0ELNS1_11target_archE4294967295ELNS1_3gpuE0ELNS1_3repE0EEENS1_30default_config_static_selectorELNS0_4arch9wavefront6targetE1EEEvT1_ ; -- Begin function _ZN7rocprim17ROCPRIM_400000_NS6detail17trampoline_kernelINS0_14default_configENS1_20scan_config_selectorIjEEZZNS1_9scan_implILNS1_25lookback_scan_determinismE0ELb1ELb1ES3_N6thrust23THRUST_200600_302600_NS6detail15normal_iteratorINS9_10device_ptrIjEEEESE_jNS9_4plusIvEEjEEDaPvRmT3_T4_T5_mT6_P12ihipStream_tbENKUlT_T0_E_clISt17integral_constantIbLb1EEST_IbLb0EEEEDaSP_SQ_EUlSP_E0_NS1_11comp_targetILNS1_3genE0ELNS1_11target_archE4294967295ELNS1_3gpuE0ELNS1_3repE0EEENS1_30default_config_static_selectorELNS0_4arch9wavefront6targetE1EEEvT1_
	.globl	_ZN7rocprim17ROCPRIM_400000_NS6detail17trampoline_kernelINS0_14default_configENS1_20scan_config_selectorIjEEZZNS1_9scan_implILNS1_25lookback_scan_determinismE0ELb1ELb1ES3_N6thrust23THRUST_200600_302600_NS6detail15normal_iteratorINS9_10device_ptrIjEEEESE_jNS9_4plusIvEEjEEDaPvRmT3_T4_T5_mT6_P12ihipStream_tbENKUlT_T0_E_clISt17integral_constantIbLb1EEST_IbLb0EEEEDaSP_SQ_EUlSP_E0_NS1_11comp_targetILNS1_3genE0ELNS1_11target_archE4294967295ELNS1_3gpuE0ELNS1_3repE0EEENS1_30default_config_static_selectorELNS0_4arch9wavefront6targetE1EEEvT1_
	.p2align	8
	.type	_ZN7rocprim17ROCPRIM_400000_NS6detail17trampoline_kernelINS0_14default_configENS1_20scan_config_selectorIjEEZZNS1_9scan_implILNS1_25lookback_scan_determinismE0ELb1ELb1ES3_N6thrust23THRUST_200600_302600_NS6detail15normal_iteratorINS9_10device_ptrIjEEEESE_jNS9_4plusIvEEjEEDaPvRmT3_T4_T5_mT6_P12ihipStream_tbENKUlT_T0_E_clISt17integral_constantIbLb1EEST_IbLb0EEEEDaSP_SQ_EUlSP_E0_NS1_11comp_targetILNS1_3genE0ELNS1_11target_archE4294967295ELNS1_3gpuE0ELNS1_3repE0EEENS1_30default_config_static_selectorELNS0_4arch9wavefront6targetE1EEEvT1_,@function
_ZN7rocprim17ROCPRIM_400000_NS6detail17trampoline_kernelINS0_14default_configENS1_20scan_config_selectorIjEEZZNS1_9scan_implILNS1_25lookback_scan_determinismE0ELb1ELb1ES3_N6thrust23THRUST_200600_302600_NS6detail15normal_iteratorINS9_10device_ptrIjEEEESE_jNS9_4plusIvEEjEEDaPvRmT3_T4_T5_mT6_P12ihipStream_tbENKUlT_T0_E_clISt17integral_constantIbLb1EEST_IbLb0EEEEDaSP_SQ_EUlSP_E0_NS1_11comp_targetILNS1_3genE0ELNS1_11target_archE4294967295ELNS1_3gpuE0ELNS1_3repE0EEENS1_30default_config_static_selectorELNS0_4arch9wavefront6targetE1EEEvT1_: ; @_ZN7rocprim17ROCPRIM_400000_NS6detail17trampoline_kernelINS0_14default_configENS1_20scan_config_selectorIjEEZZNS1_9scan_implILNS1_25lookback_scan_determinismE0ELb1ELb1ES3_N6thrust23THRUST_200600_302600_NS6detail15normal_iteratorINS9_10device_ptrIjEEEESE_jNS9_4plusIvEEjEEDaPvRmT3_T4_T5_mT6_P12ihipStream_tbENKUlT_T0_E_clISt17integral_constantIbLb1EEST_IbLb0EEEEDaSP_SQ_EUlSP_E0_NS1_11comp_targetILNS1_3genE0ELNS1_11target_archE4294967295ELNS1_3gpuE0ELNS1_3repE0EEENS1_30default_config_static_selectorELNS0_4arch9wavefront6targetE1EEEvT1_
; %bb.0:
	.section	.rodata,"a",@progbits
	.p2align	6, 0x0
	.amdhsa_kernel _ZN7rocprim17ROCPRIM_400000_NS6detail17trampoline_kernelINS0_14default_configENS1_20scan_config_selectorIjEEZZNS1_9scan_implILNS1_25lookback_scan_determinismE0ELb1ELb1ES3_N6thrust23THRUST_200600_302600_NS6detail15normal_iteratorINS9_10device_ptrIjEEEESE_jNS9_4plusIvEEjEEDaPvRmT3_T4_T5_mT6_P12ihipStream_tbENKUlT_T0_E_clISt17integral_constantIbLb1EEST_IbLb0EEEEDaSP_SQ_EUlSP_E0_NS1_11comp_targetILNS1_3genE0ELNS1_11target_archE4294967295ELNS1_3gpuE0ELNS1_3repE0EEENS1_30default_config_static_selectorELNS0_4arch9wavefront6targetE1EEEvT1_
		.amdhsa_group_segment_fixed_size 0
		.amdhsa_private_segment_fixed_size 0
		.amdhsa_kernarg_size 32
		.amdhsa_user_sgpr_count 6
		.amdhsa_user_sgpr_private_segment_buffer 1
		.amdhsa_user_sgpr_dispatch_ptr 0
		.amdhsa_user_sgpr_queue_ptr 0
		.amdhsa_user_sgpr_kernarg_segment_ptr 1
		.amdhsa_user_sgpr_dispatch_id 0
		.amdhsa_user_sgpr_flat_scratch_init 0
		.amdhsa_user_sgpr_kernarg_preload_length 0
		.amdhsa_user_sgpr_kernarg_preload_offset 0
		.amdhsa_user_sgpr_private_segment_size 0
		.amdhsa_uses_dynamic_stack 0
		.amdhsa_system_sgpr_private_segment_wavefront_offset 0
		.amdhsa_system_sgpr_workgroup_id_x 1
		.amdhsa_system_sgpr_workgroup_id_y 0
		.amdhsa_system_sgpr_workgroup_id_z 0
		.amdhsa_system_sgpr_workgroup_info 0
		.amdhsa_system_vgpr_workitem_id 0
		.amdhsa_next_free_vgpr 1
		.amdhsa_next_free_sgpr 0
		.amdhsa_accum_offset 4
		.amdhsa_reserve_vcc 0
		.amdhsa_reserve_flat_scratch 0
		.amdhsa_float_round_mode_32 0
		.amdhsa_float_round_mode_16_64 0
		.amdhsa_float_denorm_mode_32 3
		.amdhsa_float_denorm_mode_16_64 3
		.amdhsa_dx10_clamp 1
		.amdhsa_ieee_mode 1
		.amdhsa_fp16_overflow 0
		.amdhsa_tg_split 0
		.amdhsa_exception_fp_ieee_invalid_op 0
		.amdhsa_exception_fp_denorm_src 0
		.amdhsa_exception_fp_ieee_div_zero 0
		.amdhsa_exception_fp_ieee_overflow 0
		.amdhsa_exception_fp_ieee_underflow 0
		.amdhsa_exception_fp_ieee_inexact 0
		.amdhsa_exception_int_div_zero 0
	.end_amdhsa_kernel
	.section	.text._ZN7rocprim17ROCPRIM_400000_NS6detail17trampoline_kernelINS0_14default_configENS1_20scan_config_selectorIjEEZZNS1_9scan_implILNS1_25lookback_scan_determinismE0ELb1ELb1ES3_N6thrust23THRUST_200600_302600_NS6detail15normal_iteratorINS9_10device_ptrIjEEEESE_jNS9_4plusIvEEjEEDaPvRmT3_T4_T5_mT6_P12ihipStream_tbENKUlT_T0_E_clISt17integral_constantIbLb1EEST_IbLb0EEEEDaSP_SQ_EUlSP_E0_NS1_11comp_targetILNS1_3genE0ELNS1_11target_archE4294967295ELNS1_3gpuE0ELNS1_3repE0EEENS1_30default_config_static_selectorELNS0_4arch9wavefront6targetE1EEEvT1_,"axG",@progbits,_ZN7rocprim17ROCPRIM_400000_NS6detail17trampoline_kernelINS0_14default_configENS1_20scan_config_selectorIjEEZZNS1_9scan_implILNS1_25lookback_scan_determinismE0ELb1ELb1ES3_N6thrust23THRUST_200600_302600_NS6detail15normal_iteratorINS9_10device_ptrIjEEEESE_jNS9_4plusIvEEjEEDaPvRmT3_T4_T5_mT6_P12ihipStream_tbENKUlT_T0_E_clISt17integral_constantIbLb1EEST_IbLb0EEEEDaSP_SQ_EUlSP_E0_NS1_11comp_targetILNS1_3genE0ELNS1_11target_archE4294967295ELNS1_3gpuE0ELNS1_3repE0EEENS1_30default_config_static_selectorELNS0_4arch9wavefront6targetE1EEEvT1_,comdat
.Lfunc_end4691:
	.size	_ZN7rocprim17ROCPRIM_400000_NS6detail17trampoline_kernelINS0_14default_configENS1_20scan_config_selectorIjEEZZNS1_9scan_implILNS1_25lookback_scan_determinismE0ELb1ELb1ES3_N6thrust23THRUST_200600_302600_NS6detail15normal_iteratorINS9_10device_ptrIjEEEESE_jNS9_4plusIvEEjEEDaPvRmT3_T4_T5_mT6_P12ihipStream_tbENKUlT_T0_E_clISt17integral_constantIbLb1EEST_IbLb0EEEEDaSP_SQ_EUlSP_E0_NS1_11comp_targetILNS1_3genE0ELNS1_11target_archE4294967295ELNS1_3gpuE0ELNS1_3repE0EEENS1_30default_config_static_selectorELNS0_4arch9wavefront6targetE1EEEvT1_, .Lfunc_end4691-_ZN7rocprim17ROCPRIM_400000_NS6detail17trampoline_kernelINS0_14default_configENS1_20scan_config_selectorIjEEZZNS1_9scan_implILNS1_25lookback_scan_determinismE0ELb1ELb1ES3_N6thrust23THRUST_200600_302600_NS6detail15normal_iteratorINS9_10device_ptrIjEEEESE_jNS9_4plusIvEEjEEDaPvRmT3_T4_T5_mT6_P12ihipStream_tbENKUlT_T0_E_clISt17integral_constantIbLb1EEST_IbLb0EEEEDaSP_SQ_EUlSP_E0_NS1_11comp_targetILNS1_3genE0ELNS1_11target_archE4294967295ELNS1_3gpuE0ELNS1_3repE0EEENS1_30default_config_static_selectorELNS0_4arch9wavefront6targetE1EEEvT1_
                                        ; -- End function
	.section	.AMDGPU.csdata,"",@progbits
; Kernel info:
; codeLenInByte = 0
; NumSgprs: 4
; NumVgprs: 0
; NumAgprs: 0
; TotalNumVgprs: 0
; ScratchSize: 0
; MemoryBound: 0
; FloatMode: 240
; IeeeMode: 1
; LDSByteSize: 0 bytes/workgroup (compile time only)
; SGPRBlocks: 0
; VGPRBlocks: 0
; NumSGPRsForWavesPerEU: 4
; NumVGPRsForWavesPerEU: 1
; AccumOffset: 4
; Occupancy: 8
; WaveLimiterHint : 0
; COMPUTE_PGM_RSRC2:SCRATCH_EN: 0
; COMPUTE_PGM_RSRC2:USER_SGPR: 6
; COMPUTE_PGM_RSRC2:TRAP_HANDLER: 0
; COMPUTE_PGM_RSRC2:TGID_X_EN: 1
; COMPUTE_PGM_RSRC2:TGID_Y_EN: 0
; COMPUTE_PGM_RSRC2:TGID_Z_EN: 0
; COMPUTE_PGM_RSRC2:TIDIG_COMP_CNT: 0
; COMPUTE_PGM_RSRC3_GFX90A:ACCUM_OFFSET: 0
; COMPUTE_PGM_RSRC3_GFX90A:TG_SPLIT: 0
	.section	.text._ZN7rocprim17ROCPRIM_400000_NS6detail17trampoline_kernelINS0_14default_configENS1_20scan_config_selectorIjEEZZNS1_9scan_implILNS1_25lookback_scan_determinismE0ELb1ELb1ES3_N6thrust23THRUST_200600_302600_NS6detail15normal_iteratorINS9_10device_ptrIjEEEESE_jNS9_4plusIvEEjEEDaPvRmT3_T4_T5_mT6_P12ihipStream_tbENKUlT_T0_E_clISt17integral_constantIbLb1EEST_IbLb0EEEEDaSP_SQ_EUlSP_E0_NS1_11comp_targetILNS1_3genE5ELNS1_11target_archE942ELNS1_3gpuE9ELNS1_3repE0EEENS1_30default_config_static_selectorELNS0_4arch9wavefront6targetE1EEEvT1_,"axG",@progbits,_ZN7rocprim17ROCPRIM_400000_NS6detail17trampoline_kernelINS0_14default_configENS1_20scan_config_selectorIjEEZZNS1_9scan_implILNS1_25lookback_scan_determinismE0ELb1ELb1ES3_N6thrust23THRUST_200600_302600_NS6detail15normal_iteratorINS9_10device_ptrIjEEEESE_jNS9_4plusIvEEjEEDaPvRmT3_T4_T5_mT6_P12ihipStream_tbENKUlT_T0_E_clISt17integral_constantIbLb1EEST_IbLb0EEEEDaSP_SQ_EUlSP_E0_NS1_11comp_targetILNS1_3genE5ELNS1_11target_archE942ELNS1_3gpuE9ELNS1_3repE0EEENS1_30default_config_static_selectorELNS0_4arch9wavefront6targetE1EEEvT1_,comdat
	.protected	_ZN7rocprim17ROCPRIM_400000_NS6detail17trampoline_kernelINS0_14default_configENS1_20scan_config_selectorIjEEZZNS1_9scan_implILNS1_25lookback_scan_determinismE0ELb1ELb1ES3_N6thrust23THRUST_200600_302600_NS6detail15normal_iteratorINS9_10device_ptrIjEEEESE_jNS9_4plusIvEEjEEDaPvRmT3_T4_T5_mT6_P12ihipStream_tbENKUlT_T0_E_clISt17integral_constantIbLb1EEST_IbLb0EEEEDaSP_SQ_EUlSP_E0_NS1_11comp_targetILNS1_3genE5ELNS1_11target_archE942ELNS1_3gpuE9ELNS1_3repE0EEENS1_30default_config_static_selectorELNS0_4arch9wavefront6targetE1EEEvT1_ ; -- Begin function _ZN7rocprim17ROCPRIM_400000_NS6detail17trampoline_kernelINS0_14default_configENS1_20scan_config_selectorIjEEZZNS1_9scan_implILNS1_25lookback_scan_determinismE0ELb1ELb1ES3_N6thrust23THRUST_200600_302600_NS6detail15normal_iteratorINS9_10device_ptrIjEEEESE_jNS9_4plusIvEEjEEDaPvRmT3_T4_T5_mT6_P12ihipStream_tbENKUlT_T0_E_clISt17integral_constantIbLb1EEST_IbLb0EEEEDaSP_SQ_EUlSP_E0_NS1_11comp_targetILNS1_3genE5ELNS1_11target_archE942ELNS1_3gpuE9ELNS1_3repE0EEENS1_30default_config_static_selectorELNS0_4arch9wavefront6targetE1EEEvT1_
	.globl	_ZN7rocprim17ROCPRIM_400000_NS6detail17trampoline_kernelINS0_14default_configENS1_20scan_config_selectorIjEEZZNS1_9scan_implILNS1_25lookback_scan_determinismE0ELb1ELb1ES3_N6thrust23THRUST_200600_302600_NS6detail15normal_iteratorINS9_10device_ptrIjEEEESE_jNS9_4plusIvEEjEEDaPvRmT3_T4_T5_mT6_P12ihipStream_tbENKUlT_T0_E_clISt17integral_constantIbLb1EEST_IbLb0EEEEDaSP_SQ_EUlSP_E0_NS1_11comp_targetILNS1_3genE5ELNS1_11target_archE942ELNS1_3gpuE9ELNS1_3repE0EEENS1_30default_config_static_selectorELNS0_4arch9wavefront6targetE1EEEvT1_
	.p2align	8
	.type	_ZN7rocprim17ROCPRIM_400000_NS6detail17trampoline_kernelINS0_14default_configENS1_20scan_config_selectorIjEEZZNS1_9scan_implILNS1_25lookback_scan_determinismE0ELb1ELb1ES3_N6thrust23THRUST_200600_302600_NS6detail15normal_iteratorINS9_10device_ptrIjEEEESE_jNS9_4plusIvEEjEEDaPvRmT3_T4_T5_mT6_P12ihipStream_tbENKUlT_T0_E_clISt17integral_constantIbLb1EEST_IbLb0EEEEDaSP_SQ_EUlSP_E0_NS1_11comp_targetILNS1_3genE5ELNS1_11target_archE942ELNS1_3gpuE9ELNS1_3repE0EEENS1_30default_config_static_selectorELNS0_4arch9wavefront6targetE1EEEvT1_,@function
_ZN7rocprim17ROCPRIM_400000_NS6detail17trampoline_kernelINS0_14default_configENS1_20scan_config_selectorIjEEZZNS1_9scan_implILNS1_25lookback_scan_determinismE0ELb1ELb1ES3_N6thrust23THRUST_200600_302600_NS6detail15normal_iteratorINS9_10device_ptrIjEEEESE_jNS9_4plusIvEEjEEDaPvRmT3_T4_T5_mT6_P12ihipStream_tbENKUlT_T0_E_clISt17integral_constantIbLb1EEST_IbLb0EEEEDaSP_SQ_EUlSP_E0_NS1_11comp_targetILNS1_3genE5ELNS1_11target_archE942ELNS1_3gpuE9ELNS1_3repE0EEENS1_30default_config_static_selectorELNS0_4arch9wavefront6targetE1EEEvT1_: ; @_ZN7rocprim17ROCPRIM_400000_NS6detail17trampoline_kernelINS0_14default_configENS1_20scan_config_selectorIjEEZZNS1_9scan_implILNS1_25lookback_scan_determinismE0ELb1ELb1ES3_N6thrust23THRUST_200600_302600_NS6detail15normal_iteratorINS9_10device_ptrIjEEEESE_jNS9_4plusIvEEjEEDaPvRmT3_T4_T5_mT6_P12ihipStream_tbENKUlT_T0_E_clISt17integral_constantIbLb1EEST_IbLb0EEEEDaSP_SQ_EUlSP_E0_NS1_11comp_targetILNS1_3genE5ELNS1_11target_archE942ELNS1_3gpuE9ELNS1_3repE0EEENS1_30default_config_static_selectorELNS0_4arch9wavefront6targetE1EEEvT1_
; %bb.0:
	.section	.rodata,"a",@progbits
	.p2align	6, 0x0
	.amdhsa_kernel _ZN7rocprim17ROCPRIM_400000_NS6detail17trampoline_kernelINS0_14default_configENS1_20scan_config_selectorIjEEZZNS1_9scan_implILNS1_25lookback_scan_determinismE0ELb1ELb1ES3_N6thrust23THRUST_200600_302600_NS6detail15normal_iteratorINS9_10device_ptrIjEEEESE_jNS9_4plusIvEEjEEDaPvRmT3_T4_T5_mT6_P12ihipStream_tbENKUlT_T0_E_clISt17integral_constantIbLb1EEST_IbLb0EEEEDaSP_SQ_EUlSP_E0_NS1_11comp_targetILNS1_3genE5ELNS1_11target_archE942ELNS1_3gpuE9ELNS1_3repE0EEENS1_30default_config_static_selectorELNS0_4arch9wavefront6targetE1EEEvT1_
		.amdhsa_group_segment_fixed_size 0
		.amdhsa_private_segment_fixed_size 0
		.amdhsa_kernarg_size 32
		.amdhsa_user_sgpr_count 6
		.amdhsa_user_sgpr_private_segment_buffer 1
		.amdhsa_user_sgpr_dispatch_ptr 0
		.amdhsa_user_sgpr_queue_ptr 0
		.amdhsa_user_sgpr_kernarg_segment_ptr 1
		.amdhsa_user_sgpr_dispatch_id 0
		.amdhsa_user_sgpr_flat_scratch_init 0
		.amdhsa_user_sgpr_kernarg_preload_length 0
		.amdhsa_user_sgpr_kernarg_preload_offset 0
		.amdhsa_user_sgpr_private_segment_size 0
		.amdhsa_uses_dynamic_stack 0
		.amdhsa_system_sgpr_private_segment_wavefront_offset 0
		.amdhsa_system_sgpr_workgroup_id_x 1
		.amdhsa_system_sgpr_workgroup_id_y 0
		.amdhsa_system_sgpr_workgroup_id_z 0
		.amdhsa_system_sgpr_workgroup_info 0
		.amdhsa_system_vgpr_workitem_id 0
		.amdhsa_next_free_vgpr 1
		.amdhsa_next_free_sgpr 0
		.amdhsa_accum_offset 4
		.amdhsa_reserve_vcc 0
		.amdhsa_reserve_flat_scratch 0
		.amdhsa_float_round_mode_32 0
		.amdhsa_float_round_mode_16_64 0
		.amdhsa_float_denorm_mode_32 3
		.amdhsa_float_denorm_mode_16_64 3
		.amdhsa_dx10_clamp 1
		.amdhsa_ieee_mode 1
		.amdhsa_fp16_overflow 0
		.amdhsa_tg_split 0
		.amdhsa_exception_fp_ieee_invalid_op 0
		.amdhsa_exception_fp_denorm_src 0
		.amdhsa_exception_fp_ieee_div_zero 0
		.amdhsa_exception_fp_ieee_overflow 0
		.amdhsa_exception_fp_ieee_underflow 0
		.amdhsa_exception_fp_ieee_inexact 0
		.amdhsa_exception_int_div_zero 0
	.end_amdhsa_kernel
	.section	.text._ZN7rocprim17ROCPRIM_400000_NS6detail17trampoline_kernelINS0_14default_configENS1_20scan_config_selectorIjEEZZNS1_9scan_implILNS1_25lookback_scan_determinismE0ELb1ELb1ES3_N6thrust23THRUST_200600_302600_NS6detail15normal_iteratorINS9_10device_ptrIjEEEESE_jNS9_4plusIvEEjEEDaPvRmT3_T4_T5_mT6_P12ihipStream_tbENKUlT_T0_E_clISt17integral_constantIbLb1EEST_IbLb0EEEEDaSP_SQ_EUlSP_E0_NS1_11comp_targetILNS1_3genE5ELNS1_11target_archE942ELNS1_3gpuE9ELNS1_3repE0EEENS1_30default_config_static_selectorELNS0_4arch9wavefront6targetE1EEEvT1_,"axG",@progbits,_ZN7rocprim17ROCPRIM_400000_NS6detail17trampoline_kernelINS0_14default_configENS1_20scan_config_selectorIjEEZZNS1_9scan_implILNS1_25lookback_scan_determinismE0ELb1ELb1ES3_N6thrust23THRUST_200600_302600_NS6detail15normal_iteratorINS9_10device_ptrIjEEEESE_jNS9_4plusIvEEjEEDaPvRmT3_T4_T5_mT6_P12ihipStream_tbENKUlT_T0_E_clISt17integral_constantIbLb1EEST_IbLb0EEEEDaSP_SQ_EUlSP_E0_NS1_11comp_targetILNS1_3genE5ELNS1_11target_archE942ELNS1_3gpuE9ELNS1_3repE0EEENS1_30default_config_static_selectorELNS0_4arch9wavefront6targetE1EEEvT1_,comdat
.Lfunc_end4692:
	.size	_ZN7rocprim17ROCPRIM_400000_NS6detail17trampoline_kernelINS0_14default_configENS1_20scan_config_selectorIjEEZZNS1_9scan_implILNS1_25lookback_scan_determinismE0ELb1ELb1ES3_N6thrust23THRUST_200600_302600_NS6detail15normal_iteratorINS9_10device_ptrIjEEEESE_jNS9_4plusIvEEjEEDaPvRmT3_T4_T5_mT6_P12ihipStream_tbENKUlT_T0_E_clISt17integral_constantIbLb1EEST_IbLb0EEEEDaSP_SQ_EUlSP_E0_NS1_11comp_targetILNS1_3genE5ELNS1_11target_archE942ELNS1_3gpuE9ELNS1_3repE0EEENS1_30default_config_static_selectorELNS0_4arch9wavefront6targetE1EEEvT1_, .Lfunc_end4692-_ZN7rocprim17ROCPRIM_400000_NS6detail17trampoline_kernelINS0_14default_configENS1_20scan_config_selectorIjEEZZNS1_9scan_implILNS1_25lookback_scan_determinismE0ELb1ELb1ES3_N6thrust23THRUST_200600_302600_NS6detail15normal_iteratorINS9_10device_ptrIjEEEESE_jNS9_4plusIvEEjEEDaPvRmT3_T4_T5_mT6_P12ihipStream_tbENKUlT_T0_E_clISt17integral_constantIbLb1EEST_IbLb0EEEEDaSP_SQ_EUlSP_E0_NS1_11comp_targetILNS1_3genE5ELNS1_11target_archE942ELNS1_3gpuE9ELNS1_3repE0EEENS1_30default_config_static_selectorELNS0_4arch9wavefront6targetE1EEEvT1_
                                        ; -- End function
	.section	.AMDGPU.csdata,"",@progbits
; Kernel info:
; codeLenInByte = 0
; NumSgprs: 4
; NumVgprs: 0
; NumAgprs: 0
; TotalNumVgprs: 0
; ScratchSize: 0
; MemoryBound: 0
; FloatMode: 240
; IeeeMode: 1
; LDSByteSize: 0 bytes/workgroup (compile time only)
; SGPRBlocks: 0
; VGPRBlocks: 0
; NumSGPRsForWavesPerEU: 4
; NumVGPRsForWavesPerEU: 1
; AccumOffset: 4
; Occupancy: 8
; WaveLimiterHint : 0
; COMPUTE_PGM_RSRC2:SCRATCH_EN: 0
; COMPUTE_PGM_RSRC2:USER_SGPR: 6
; COMPUTE_PGM_RSRC2:TRAP_HANDLER: 0
; COMPUTE_PGM_RSRC2:TGID_X_EN: 1
; COMPUTE_PGM_RSRC2:TGID_Y_EN: 0
; COMPUTE_PGM_RSRC2:TGID_Z_EN: 0
; COMPUTE_PGM_RSRC2:TIDIG_COMP_CNT: 0
; COMPUTE_PGM_RSRC3_GFX90A:ACCUM_OFFSET: 0
; COMPUTE_PGM_RSRC3_GFX90A:TG_SPLIT: 0
	.section	.text._ZN7rocprim17ROCPRIM_400000_NS6detail17trampoline_kernelINS0_14default_configENS1_20scan_config_selectorIjEEZZNS1_9scan_implILNS1_25lookback_scan_determinismE0ELb1ELb1ES3_N6thrust23THRUST_200600_302600_NS6detail15normal_iteratorINS9_10device_ptrIjEEEESE_jNS9_4plusIvEEjEEDaPvRmT3_T4_T5_mT6_P12ihipStream_tbENKUlT_T0_E_clISt17integral_constantIbLb1EEST_IbLb0EEEEDaSP_SQ_EUlSP_E0_NS1_11comp_targetILNS1_3genE4ELNS1_11target_archE910ELNS1_3gpuE8ELNS1_3repE0EEENS1_30default_config_static_selectorELNS0_4arch9wavefront6targetE1EEEvT1_,"axG",@progbits,_ZN7rocprim17ROCPRIM_400000_NS6detail17trampoline_kernelINS0_14default_configENS1_20scan_config_selectorIjEEZZNS1_9scan_implILNS1_25lookback_scan_determinismE0ELb1ELb1ES3_N6thrust23THRUST_200600_302600_NS6detail15normal_iteratorINS9_10device_ptrIjEEEESE_jNS9_4plusIvEEjEEDaPvRmT3_T4_T5_mT6_P12ihipStream_tbENKUlT_T0_E_clISt17integral_constantIbLb1EEST_IbLb0EEEEDaSP_SQ_EUlSP_E0_NS1_11comp_targetILNS1_3genE4ELNS1_11target_archE910ELNS1_3gpuE8ELNS1_3repE0EEENS1_30default_config_static_selectorELNS0_4arch9wavefront6targetE1EEEvT1_,comdat
	.protected	_ZN7rocprim17ROCPRIM_400000_NS6detail17trampoline_kernelINS0_14default_configENS1_20scan_config_selectorIjEEZZNS1_9scan_implILNS1_25lookback_scan_determinismE0ELb1ELb1ES3_N6thrust23THRUST_200600_302600_NS6detail15normal_iteratorINS9_10device_ptrIjEEEESE_jNS9_4plusIvEEjEEDaPvRmT3_T4_T5_mT6_P12ihipStream_tbENKUlT_T0_E_clISt17integral_constantIbLb1EEST_IbLb0EEEEDaSP_SQ_EUlSP_E0_NS1_11comp_targetILNS1_3genE4ELNS1_11target_archE910ELNS1_3gpuE8ELNS1_3repE0EEENS1_30default_config_static_selectorELNS0_4arch9wavefront6targetE1EEEvT1_ ; -- Begin function _ZN7rocprim17ROCPRIM_400000_NS6detail17trampoline_kernelINS0_14default_configENS1_20scan_config_selectorIjEEZZNS1_9scan_implILNS1_25lookback_scan_determinismE0ELb1ELb1ES3_N6thrust23THRUST_200600_302600_NS6detail15normal_iteratorINS9_10device_ptrIjEEEESE_jNS9_4plusIvEEjEEDaPvRmT3_T4_T5_mT6_P12ihipStream_tbENKUlT_T0_E_clISt17integral_constantIbLb1EEST_IbLb0EEEEDaSP_SQ_EUlSP_E0_NS1_11comp_targetILNS1_3genE4ELNS1_11target_archE910ELNS1_3gpuE8ELNS1_3repE0EEENS1_30default_config_static_selectorELNS0_4arch9wavefront6targetE1EEEvT1_
	.globl	_ZN7rocprim17ROCPRIM_400000_NS6detail17trampoline_kernelINS0_14default_configENS1_20scan_config_selectorIjEEZZNS1_9scan_implILNS1_25lookback_scan_determinismE0ELb1ELb1ES3_N6thrust23THRUST_200600_302600_NS6detail15normal_iteratorINS9_10device_ptrIjEEEESE_jNS9_4plusIvEEjEEDaPvRmT3_T4_T5_mT6_P12ihipStream_tbENKUlT_T0_E_clISt17integral_constantIbLb1EEST_IbLb0EEEEDaSP_SQ_EUlSP_E0_NS1_11comp_targetILNS1_3genE4ELNS1_11target_archE910ELNS1_3gpuE8ELNS1_3repE0EEENS1_30default_config_static_selectorELNS0_4arch9wavefront6targetE1EEEvT1_
	.p2align	8
	.type	_ZN7rocprim17ROCPRIM_400000_NS6detail17trampoline_kernelINS0_14default_configENS1_20scan_config_selectorIjEEZZNS1_9scan_implILNS1_25lookback_scan_determinismE0ELb1ELb1ES3_N6thrust23THRUST_200600_302600_NS6detail15normal_iteratorINS9_10device_ptrIjEEEESE_jNS9_4plusIvEEjEEDaPvRmT3_T4_T5_mT6_P12ihipStream_tbENKUlT_T0_E_clISt17integral_constantIbLb1EEST_IbLb0EEEEDaSP_SQ_EUlSP_E0_NS1_11comp_targetILNS1_3genE4ELNS1_11target_archE910ELNS1_3gpuE8ELNS1_3repE0EEENS1_30default_config_static_selectorELNS0_4arch9wavefront6targetE1EEEvT1_,@function
_ZN7rocprim17ROCPRIM_400000_NS6detail17trampoline_kernelINS0_14default_configENS1_20scan_config_selectorIjEEZZNS1_9scan_implILNS1_25lookback_scan_determinismE0ELb1ELb1ES3_N6thrust23THRUST_200600_302600_NS6detail15normal_iteratorINS9_10device_ptrIjEEEESE_jNS9_4plusIvEEjEEDaPvRmT3_T4_T5_mT6_P12ihipStream_tbENKUlT_T0_E_clISt17integral_constantIbLb1EEST_IbLb0EEEEDaSP_SQ_EUlSP_E0_NS1_11comp_targetILNS1_3genE4ELNS1_11target_archE910ELNS1_3gpuE8ELNS1_3repE0EEENS1_30default_config_static_selectorELNS0_4arch9wavefront6targetE1EEEvT1_: ; @_ZN7rocprim17ROCPRIM_400000_NS6detail17trampoline_kernelINS0_14default_configENS1_20scan_config_selectorIjEEZZNS1_9scan_implILNS1_25lookback_scan_determinismE0ELb1ELb1ES3_N6thrust23THRUST_200600_302600_NS6detail15normal_iteratorINS9_10device_ptrIjEEEESE_jNS9_4plusIvEEjEEDaPvRmT3_T4_T5_mT6_P12ihipStream_tbENKUlT_T0_E_clISt17integral_constantIbLb1EEST_IbLb0EEEEDaSP_SQ_EUlSP_E0_NS1_11comp_targetILNS1_3genE4ELNS1_11target_archE910ELNS1_3gpuE8ELNS1_3repE0EEENS1_30default_config_static_selectorELNS0_4arch9wavefront6targetE1EEEvT1_
; %bb.0:
	s_load_dwordx4 s[20:23], s[4:5], 0x0
	v_lshlrev_b32_e32 v14, 2, v0
	s_waitcnt lgkmcnt(0)
	s_load_dword s23, s[20:21], 0x0
	v_cmp_gt_u32_e32 vcc, s22, v0
	s_waitcnt lgkmcnt(0)
	v_mov_b32_e32 v1, s23
	s_and_saveexec_b64 s[0:1], vcc
	s_cbranch_execz .LBB4693_2
; %bb.1:
	global_load_dword v1, v14, s[20:21]
.LBB4693_2:
	s_or_b64 exec, exec, s[0:1]
	v_or_b32_e32 v2, 0x80, v0
	v_cmp_gt_u32_e64 s[0:1], s22, v2
	v_mov_b32_e32 v2, s23
	s_and_saveexec_b64 s[2:3], s[0:1]
	s_cbranch_execz .LBB4693_4
; %bb.3:
	global_load_dword v2, v14, s[20:21] offset:512
.LBB4693_4:
	s_or_b64 exec, exec, s[2:3]
	v_or_b32_e32 v3, 0x100, v0
	v_cmp_gt_u32_e64 s[2:3], s22, v3
	v_mov_b32_e32 v3, s23
	s_and_saveexec_b64 s[6:7], s[2:3]
	s_cbranch_execz .LBB4693_6
; %bb.5:
	global_load_dword v3, v14, s[20:21] offset:1024
.LBB4693_6:
	;; [unrolled: 9-line block ×7, first 2 shown]
	s_or_b64 exec, exec, s[14:15]
	v_or_b32_e32 v10, 0x400, v0
	v_cmp_gt_u32_e64 s[14:15], s22, v10
	v_mov_b32_e32 v9, s23
	s_and_saveexec_b64 s[16:17], s[14:15]
	s_cbranch_execz .LBB4693_18
; %bb.17:
	v_lshlrev_b32_e32 v9, 2, v10
	global_load_dword v9, v9, s[20:21]
.LBB4693_18:
	s_or_b64 exec, exec, s[16:17]
	s_load_dword s24, s[4:5], 0x10
	v_or_b32_e32 v11, 0x480, v0
	v_cmp_gt_u32_e64 s[16:17], s22, v11
	v_mov_b32_e32 v10, s23
	s_and_saveexec_b64 s[22:23], s[16:17]
	s_cbranch_execz .LBB4693_20
; %bb.19:
	v_lshlrev_b32_e32 v10, 2, v11
	global_load_dword v10, v10, s[20:21]
.LBB4693_20:
	s_or_b64 exec, exec, s[22:23]
	s_waitcnt vmcnt(0)
	ds_write2st64_b32 v14, v1, v2 offset1:2
	ds_write2st64_b32 v14, v3, v4 offset0:4 offset1:6
	ds_write2st64_b32 v14, v5, v6 offset0:8 offset1:10
	;; [unrolled: 1-line block ×4, first 2 shown]
	v_mad_u32_u24 v1, v0, 36, v14
	s_waitcnt lgkmcnt(0)
	s_barrier
	ds_read2_b64 v[6:9], v1 offset1:1
	ds_read2_b64 v[2:5], v1 offset0:2 offset1:3
	ds_read_b64 v[10:11], v1 offset:32
	s_load_dwordx2 s[20:21], s[4:5], 0x18
	v_cmp_gt_u32_e64 s[4:5], 64, v0
	s_waitcnt lgkmcnt(0)
	v_add_u32_e32 v1, v7, v6
	v_add3_u32 v1, v1, v8, v9
	v_add3_u32 v1, v1, v2, v3
	;; [unrolled: 1-line block ×4, first 2 shown]
	v_lshrrev_b32_e32 v11, 3, v0
	v_and_b32_e32 v11, 12, v11
	v_add_u32_e32 v11, v14, v11
	s_barrier
	ds_write_b32 v11, v1
	s_waitcnt lgkmcnt(0)
	s_barrier
	s_and_saveexec_b64 s[22:23], s[4:5]
	s_cbranch_execz .LBB4693_22
; %bb.21:
	v_lshlrev_b32_e32 v11, 1, v0
	v_lshrrev_b32_e32 v12, 4, v0
	v_add_lshl_u32 v11, v12, v11, 2
	ds_read2_b32 v[12:13], v11 offset1:1
	v_mbcnt_lo_u32_b32 v15, -1, 0
	v_mbcnt_hi_u32_b32 v15, -1, v15
	v_and_b32_e32 v16, 15, v15
	v_cmp_ne_u32_e64 s[4:5], 0, v16
	s_waitcnt lgkmcnt(0)
	v_add_u32_e32 v13, v13, v12
	; wave barrier
	s_nop 1
	v_mov_b32_dpp v17, v13 row_shr:1 row_mask:0xf bank_mask:0xf
	v_cndmask_b32_e64 v17, 0, v17, s[4:5]
	v_add_u32_e32 v13, v17, v13
	v_cmp_lt_u32_e64 s[4:5], 1, v16
	s_nop 0
	v_mov_b32_dpp v17, v13 row_shr:2 row_mask:0xf bank_mask:0xf
	v_cndmask_b32_e64 v17, 0, v17, s[4:5]
	v_add_u32_e32 v13, v13, v17
	v_cmp_lt_u32_e64 s[4:5], 3, v16
	;; [unrolled: 5-line block ×3, first 2 shown]
	s_nop 0
	v_mov_b32_dpp v17, v13 row_shr:8 row_mask:0xf bank_mask:0xf
	v_cndmask_b32_e64 v16, 0, v17, s[4:5]
	v_add_u32_e32 v13, v13, v16
	v_bfe_i32 v17, v15, 4, 1
	v_cmp_lt_u32_e64 s[4:5], 31, v15
	v_mov_b32_dpp v16, v13 row_bcast:15 row_mask:0xf bank_mask:0xf
	v_and_b32_e32 v16, v17, v16
	v_add_u32_e32 v13, v13, v16
	v_and_b32_e32 v17, 64, v15
	s_nop 0
	v_mov_b32_dpp v16, v13 row_bcast:31 row_mask:0xf bank_mask:0xf
	v_cndmask_b32_e64 v16, 0, v16, s[4:5]
	v_add_u32_e32 v13, v13, v16
	v_add_u32_e32 v16, -1, v15
	v_cmp_lt_i32_e64 s[4:5], v16, v17
	v_cndmask_b32_e64 v15, v16, v15, s[4:5]
	v_lshlrev_b32_e32 v15, 2, v15
	ds_bpermute_b32 v13, v15, v13
	v_cmp_eq_u32_e64 s[4:5], 0, v0
	s_waitcnt lgkmcnt(0)
	v_add_u32_e32 v12, v13, v12
	v_cndmask_b32_e64 v1, v12, v1, s[4:5]
	ds_write_b32 v11, v1
	; wave barrier
	ds_read_b32 v12, v11 offset:4
	s_waitcnt lgkmcnt(0)
	v_add_u32_e32 v1, v12, v1
	ds_write_b32 v11, v1 offset:4
.LBB4693_22:
	s_or_b64 exec, exec, s[22:23]
	v_mul_u32_u24_e32 v1, 36, v0
	v_cmp_ne_u32_e64 s[4:5], 0, v0
	v_mov_b32_e32 v12, s24
	s_waitcnt lgkmcnt(0)
	s_barrier
	s_and_saveexec_b64 s[22:23], s[4:5]
	s_cbranch_execz .LBB4693_24
; %bb.23:
	v_add_u32_e32 v0, -1, v0
	v_lshrrev_b32_e32 v11, 5, v0
	v_add_lshl_u32 v0, v11, v0, 2
	ds_read_b32 v0, v0
	s_waitcnt lgkmcnt(0)
	v_add_u32_e32 v12, s24, v0
.LBB4693_24:
	s_or_b64 exec, exec, s[22:23]
	v_add_u32_e32 v13, v12, v6
	v_add_u32_e32 v6, v13, v7
	;; [unrolled: 1-line block ×10, first 2 shown]
	s_barrier
	ds_write2_b64 v0, v[12:13], v[6:7] offset1:1
	ds_write2_b64 v0, v[8:9], v[2:3] offset0:2 offset1:3
	ds_write_b64 v0, v[4:5] offset:32
	s_waitcnt lgkmcnt(0)
	s_barrier
	ds_read2st64_b32 v[8:9], v14 offset0:2 offset1:4
	ds_read2st64_b32 v[6:7], v14 offset0:6 offset1:8
	;; [unrolled: 1-line block ×4, first 2 shown]
	ds_read_b32 v10, v14 offset:4608
	v_mov_b32_e32 v1, s21
	v_add_co_u32_e64 v0, s[4:5], s20, v14
	v_addc_co_u32_e64 v1, s[4:5], 0, v1, s[4:5]
	s_and_saveexec_b64 s[4:5], vcc
	s_cbranch_execnz .LBB4693_35
; %bb.25:
	s_or_b64 exec, exec, s[4:5]
	s_and_saveexec_b64 s[4:5], s[0:1]
	s_cbranch_execnz .LBB4693_36
.LBB4693_26:
	s_or_b64 exec, exec, s[4:5]
	s_and_saveexec_b64 s[0:1], s[2:3]
	s_cbranch_execnz .LBB4693_37
.LBB4693_27:
	s_or_b64 exec, exec, s[0:1]
	s_and_saveexec_b64 s[0:1], s[18:19]
	s_cbranch_execnz .LBB4693_38
.LBB4693_28:
	s_or_b64 exec, exec, s[0:1]
	s_and_saveexec_b64 s[0:1], s[6:7]
	s_cbranch_execnz .LBB4693_39
.LBB4693_29:
	s_or_b64 exec, exec, s[0:1]
	s_and_saveexec_b64 s[0:1], s[8:9]
	s_cbranch_execnz .LBB4693_40
.LBB4693_30:
	s_or_b64 exec, exec, s[0:1]
	s_and_saveexec_b64 s[0:1], s[10:11]
	s_cbranch_execnz .LBB4693_41
.LBB4693_31:
	s_or_b64 exec, exec, s[0:1]
	s_and_saveexec_b64 s[0:1], s[12:13]
	s_cbranch_execnz .LBB4693_42
.LBB4693_32:
	s_or_b64 exec, exec, s[0:1]
	s_and_saveexec_b64 s[0:1], s[14:15]
	s_cbranch_execnz .LBB4693_43
.LBB4693_33:
	s_or_b64 exec, exec, s[0:1]
	s_and_saveexec_b64 s[0:1], s[16:17]
	s_cbranch_execnz .LBB4693_44
.LBB4693_34:
	s_endpgm
.LBB4693_35:
	ds_read_b32 v11, v14
	s_waitcnt lgkmcnt(0)
	global_store_dword v[0:1], v11, off
	s_or_b64 exec, exec, s[4:5]
	s_and_saveexec_b64 s[4:5], s[0:1]
	s_cbranch_execz .LBB4693_26
.LBB4693_36:
	s_waitcnt lgkmcnt(4)
	global_store_dword v[0:1], v8, off offset:512
	s_or_b64 exec, exec, s[4:5]
	s_and_saveexec_b64 s[0:1], s[2:3]
	s_cbranch_execz .LBB4693_27
.LBB4693_37:
	s_waitcnt lgkmcnt(4)
	global_store_dword v[0:1], v9, off offset:1024
	s_or_b64 exec, exec, s[0:1]
	s_and_saveexec_b64 s[0:1], s[18:19]
	s_cbranch_execz .LBB4693_28
.LBB4693_38:
	s_waitcnt lgkmcnt(3)
	global_store_dword v[0:1], v6, off offset:1536
	s_or_b64 exec, exec, s[0:1]
	s_and_saveexec_b64 s[0:1], s[6:7]
	s_cbranch_execz .LBB4693_29
.LBB4693_39:
	s_waitcnt lgkmcnt(3)
	global_store_dword v[0:1], v7, off offset:2048
	s_or_b64 exec, exec, s[0:1]
	s_and_saveexec_b64 s[0:1], s[8:9]
	s_cbranch_execz .LBB4693_30
.LBB4693_40:
	s_waitcnt lgkmcnt(2)
	global_store_dword v[0:1], v4, off offset:2560
	s_or_b64 exec, exec, s[0:1]
	s_and_saveexec_b64 s[0:1], s[10:11]
	s_cbranch_execz .LBB4693_31
.LBB4693_41:
	s_waitcnt lgkmcnt(2)
	global_store_dword v[0:1], v5, off offset:3072
	s_or_b64 exec, exec, s[0:1]
	s_and_saveexec_b64 s[0:1], s[12:13]
	s_cbranch_execz .LBB4693_32
.LBB4693_42:
	s_waitcnt lgkmcnt(1)
	global_store_dword v[0:1], v2, off offset:3584
	s_or_b64 exec, exec, s[0:1]
	s_and_saveexec_b64 s[0:1], s[14:15]
	s_cbranch_execz .LBB4693_33
.LBB4693_43:
	s_waitcnt lgkmcnt(2)
	v_add_co_u32_e32 v4, vcc, 0x1000, v0
	v_addc_co_u32_e32 v5, vcc, 0, v1, vcc
	s_waitcnt lgkmcnt(1)
	global_store_dword v[4:5], v3, off
	s_or_b64 exec, exec, s[0:1]
	s_and_saveexec_b64 s[0:1], s[16:17]
	s_cbranch_execz .LBB4693_34
.LBB4693_44:
	v_add_co_u32_e32 v0, vcc, 0x1000, v0
	v_addc_co_u32_e32 v1, vcc, 0, v1, vcc
	s_waitcnt lgkmcnt(0)
	global_store_dword v[0:1], v10, off offset:512
	s_endpgm
	.section	.rodata,"a",@progbits
	.p2align	6, 0x0
	.amdhsa_kernel _ZN7rocprim17ROCPRIM_400000_NS6detail17trampoline_kernelINS0_14default_configENS1_20scan_config_selectorIjEEZZNS1_9scan_implILNS1_25lookback_scan_determinismE0ELb1ELb1ES3_N6thrust23THRUST_200600_302600_NS6detail15normal_iteratorINS9_10device_ptrIjEEEESE_jNS9_4plusIvEEjEEDaPvRmT3_T4_T5_mT6_P12ihipStream_tbENKUlT_T0_E_clISt17integral_constantIbLb1EEST_IbLb0EEEEDaSP_SQ_EUlSP_E0_NS1_11comp_targetILNS1_3genE4ELNS1_11target_archE910ELNS1_3gpuE8ELNS1_3repE0EEENS1_30default_config_static_selectorELNS0_4arch9wavefront6targetE1EEEvT1_
		.amdhsa_group_segment_fixed_size 5120
		.amdhsa_private_segment_fixed_size 0
		.amdhsa_kernarg_size 32
		.amdhsa_user_sgpr_count 6
		.amdhsa_user_sgpr_private_segment_buffer 1
		.amdhsa_user_sgpr_dispatch_ptr 0
		.amdhsa_user_sgpr_queue_ptr 0
		.amdhsa_user_sgpr_kernarg_segment_ptr 1
		.amdhsa_user_sgpr_dispatch_id 0
		.amdhsa_user_sgpr_flat_scratch_init 0
		.amdhsa_user_sgpr_kernarg_preload_length 0
		.amdhsa_user_sgpr_kernarg_preload_offset 0
		.amdhsa_user_sgpr_private_segment_size 0
		.amdhsa_uses_dynamic_stack 0
		.amdhsa_system_sgpr_private_segment_wavefront_offset 0
		.amdhsa_system_sgpr_workgroup_id_x 1
		.amdhsa_system_sgpr_workgroup_id_y 0
		.amdhsa_system_sgpr_workgroup_id_z 0
		.amdhsa_system_sgpr_workgroup_info 0
		.amdhsa_system_vgpr_workitem_id 0
		.amdhsa_next_free_vgpr 18
		.amdhsa_next_free_sgpr 25
		.amdhsa_accum_offset 20
		.amdhsa_reserve_vcc 1
		.amdhsa_reserve_flat_scratch 0
		.amdhsa_float_round_mode_32 0
		.amdhsa_float_round_mode_16_64 0
		.amdhsa_float_denorm_mode_32 3
		.amdhsa_float_denorm_mode_16_64 3
		.amdhsa_dx10_clamp 1
		.amdhsa_ieee_mode 1
		.amdhsa_fp16_overflow 0
		.amdhsa_tg_split 0
		.amdhsa_exception_fp_ieee_invalid_op 0
		.amdhsa_exception_fp_denorm_src 0
		.amdhsa_exception_fp_ieee_div_zero 0
		.amdhsa_exception_fp_ieee_overflow 0
		.amdhsa_exception_fp_ieee_underflow 0
		.amdhsa_exception_fp_ieee_inexact 0
		.amdhsa_exception_int_div_zero 0
	.end_amdhsa_kernel
	.section	.text._ZN7rocprim17ROCPRIM_400000_NS6detail17trampoline_kernelINS0_14default_configENS1_20scan_config_selectorIjEEZZNS1_9scan_implILNS1_25lookback_scan_determinismE0ELb1ELb1ES3_N6thrust23THRUST_200600_302600_NS6detail15normal_iteratorINS9_10device_ptrIjEEEESE_jNS9_4plusIvEEjEEDaPvRmT3_T4_T5_mT6_P12ihipStream_tbENKUlT_T0_E_clISt17integral_constantIbLb1EEST_IbLb0EEEEDaSP_SQ_EUlSP_E0_NS1_11comp_targetILNS1_3genE4ELNS1_11target_archE910ELNS1_3gpuE8ELNS1_3repE0EEENS1_30default_config_static_selectorELNS0_4arch9wavefront6targetE1EEEvT1_,"axG",@progbits,_ZN7rocprim17ROCPRIM_400000_NS6detail17trampoline_kernelINS0_14default_configENS1_20scan_config_selectorIjEEZZNS1_9scan_implILNS1_25lookback_scan_determinismE0ELb1ELb1ES3_N6thrust23THRUST_200600_302600_NS6detail15normal_iteratorINS9_10device_ptrIjEEEESE_jNS9_4plusIvEEjEEDaPvRmT3_T4_T5_mT6_P12ihipStream_tbENKUlT_T0_E_clISt17integral_constantIbLb1EEST_IbLb0EEEEDaSP_SQ_EUlSP_E0_NS1_11comp_targetILNS1_3genE4ELNS1_11target_archE910ELNS1_3gpuE8ELNS1_3repE0EEENS1_30default_config_static_selectorELNS0_4arch9wavefront6targetE1EEEvT1_,comdat
.Lfunc_end4693:
	.size	_ZN7rocprim17ROCPRIM_400000_NS6detail17trampoline_kernelINS0_14default_configENS1_20scan_config_selectorIjEEZZNS1_9scan_implILNS1_25lookback_scan_determinismE0ELb1ELb1ES3_N6thrust23THRUST_200600_302600_NS6detail15normal_iteratorINS9_10device_ptrIjEEEESE_jNS9_4plusIvEEjEEDaPvRmT3_T4_T5_mT6_P12ihipStream_tbENKUlT_T0_E_clISt17integral_constantIbLb1EEST_IbLb0EEEEDaSP_SQ_EUlSP_E0_NS1_11comp_targetILNS1_3genE4ELNS1_11target_archE910ELNS1_3gpuE8ELNS1_3repE0EEENS1_30default_config_static_selectorELNS0_4arch9wavefront6targetE1EEEvT1_, .Lfunc_end4693-_ZN7rocprim17ROCPRIM_400000_NS6detail17trampoline_kernelINS0_14default_configENS1_20scan_config_selectorIjEEZZNS1_9scan_implILNS1_25lookback_scan_determinismE0ELb1ELb1ES3_N6thrust23THRUST_200600_302600_NS6detail15normal_iteratorINS9_10device_ptrIjEEEESE_jNS9_4plusIvEEjEEDaPvRmT3_T4_T5_mT6_P12ihipStream_tbENKUlT_T0_E_clISt17integral_constantIbLb1EEST_IbLb0EEEEDaSP_SQ_EUlSP_E0_NS1_11comp_targetILNS1_3genE4ELNS1_11target_archE910ELNS1_3gpuE8ELNS1_3repE0EEENS1_30default_config_static_selectorELNS0_4arch9wavefront6targetE1EEEvT1_
                                        ; -- End function
	.section	.AMDGPU.csdata,"",@progbits
; Kernel info:
; codeLenInByte = 1536
; NumSgprs: 29
; NumVgprs: 18
; NumAgprs: 0
; TotalNumVgprs: 18
; ScratchSize: 0
; MemoryBound: 0
; FloatMode: 240
; IeeeMode: 1
; LDSByteSize: 5120 bytes/workgroup (compile time only)
; SGPRBlocks: 3
; VGPRBlocks: 2
; NumSGPRsForWavesPerEU: 29
; NumVGPRsForWavesPerEU: 18
; AccumOffset: 20
; Occupancy: 6
; WaveLimiterHint : 0
; COMPUTE_PGM_RSRC2:SCRATCH_EN: 0
; COMPUTE_PGM_RSRC2:USER_SGPR: 6
; COMPUTE_PGM_RSRC2:TRAP_HANDLER: 0
; COMPUTE_PGM_RSRC2:TGID_X_EN: 1
; COMPUTE_PGM_RSRC2:TGID_Y_EN: 0
; COMPUTE_PGM_RSRC2:TGID_Z_EN: 0
; COMPUTE_PGM_RSRC2:TIDIG_COMP_CNT: 0
; COMPUTE_PGM_RSRC3_GFX90A:ACCUM_OFFSET: 4
; COMPUTE_PGM_RSRC3_GFX90A:TG_SPLIT: 0
	.section	.text._ZN7rocprim17ROCPRIM_400000_NS6detail17trampoline_kernelINS0_14default_configENS1_20scan_config_selectorIjEEZZNS1_9scan_implILNS1_25lookback_scan_determinismE0ELb1ELb1ES3_N6thrust23THRUST_200600_302600_NS6detail15normal_iteratorINS9_10device_ptrIjEEEESE_jNS9_4plusIvEEjEEDaPvRmT3_T4_T5_mT6_P12ihipStream_tbENKUlT_T0_E_clISt17integral_constantIbLb1EEST_IbLb0EEEEDaSP_SQ_EUlSP_E0_NS1_11comp_targetILNS1_3genE3ELNS1_11target_archE908ELNS1_3gpuE7ELNS1_3repE0EEENS1_30default_config_static_selectorELNS0_4arch9wavefront6targetE1EEEvT1_,"axG",@progbits,_ZN7rocprim17ROCPRIM_400000_NS6detail17trampoline_kernelINS0_14default_configENS1_20scan_config_selectorIjEEZZNS1_9scan_implILNS1_25lookback_scan_determinismE0ELb1ELb1ES3_N6thrust23THRUST_200600_302600_NS6detail15normal_iteratorINS9_10device_ptrIjEEEESE_jNS9_4plusIvEEjEEDaPvRmT3_T4_T5_mT6_P12ihipStream_tbENKUlT_T0_E_clISt17integral_constantIbLb1EEST_IbLb0EEEEDaSP_SQ_EUlSP_E0_NS1_11comp_targetILNS1_3genE3ELNS1_11target_archE908ELNS1_3gpuE7ELNS1_3repE0EEENS1_30default_config_static_selectorELNS0_4arch9wavefront6targetE1EEEvT1_,comdat
	.protected	_ZN7rocprim17ROCPRIM_400000_NS6detail17trampoline_kernelINS0_14default_configENS1_20scan_config_selectorIjEEZZNS1_9scan_implILNS1_25lookback_scan_determinismE0ELb1ELb1ES3_N6thrust23THRUST_200600_302600_NS6detail15normal_iteratorINS9_10device_ptrIjEEEESE_jNS9_4plusIvEEjEEDaPvRmT3_T4_T5_mT6_P12ihipStream_tbENKUlT_T0_E_clISt17integral_constantIbLb1EEST_IbLb0EEEEDaSP_SQ_EUlSP_E0_NS1_11comp_targetILNS1_3genE3ELNS1_11target_archE908ELNS1_3gpuE7ELNS1_3repE0EEENS1_30default_config_static_selectorELNS0_4arch9wavefront6targetE1EEEvT1_ ; -- Begin function _ZN7rocprim17ROCPRIM_400000_NS6detail17trampoline_kernelINS0_14default_configENS1_20scan_config_selectorIjEEZZNS1_9scan_implILNS1_25lookback_scan_determinismE0ELb1ELb1ES3_N6thrust23THRUST_200600_302600_NS6detail15normal_iteratorINS9_10device_ptrIjEEEESE_jNS9_4plusIvEEjEEDaPvRmT3_T4_T5_mT6_P12ihipStream_tbENKUlT_T0_E_clISt17integral_constantIbLb1EEST_IbLb0EEEEDaSP_SQ_EUlSP_E0_NS1_11comp_targetILNS1_3genE3ELNS1_11target_archE908ELNS1_3gpuE7ELNS1_3repE0EEENS1_30default_config_static_selectorELNS0_4arch9wavefront6targetE1EEEvT1_
	.globl	_ZN7rocprim17ROCPRIM_400000_NS6detail17trampoline_kernelINS0_14default_configENS1_20scan_config_selectorIjEEZZNS1_9scan_implILNS1_25lookback_scan_determinismE0ELb1ELb1ES3_N6thrust23THRUST_200600_302600_NS6detail15normal_iteratorINS9_10device_ptrIjEEEESE_jNS9_4plusIvEEjEEDaPvRmT3_T4_T5_mT6_P12ihipStream_tbENKUlT_T0_E_clISt17integral_constantIbLb1EEST_IbLb0EEEEDaSP_SQ_EUlSP_E0_NS1_11comp_targetILNS1_3genE3ELNS1_11target_archE908ELNS1_3gpuE7ELNS1_3repE0EEENS1_30default_config_static_selectorELNS0_4arch9wavefront6targetE1EEEvT1_
	.p2align	8
	.type	_ZN7rocprim17ROCPRIM_400000_NS6detail17trampoline_kernelINS0_14default_configENS1_20scan_config_selectorIjEEZZNS1_9scan_implILNS1_25lookback_scan_determinismE0ELb1ELb1ES3_N6thrust23THRUST_200600_302600_NS6detail15normal_iteratorINS9_10device_ptrIjEEEESE_jNS9_4plusIvEEjEEDaPvRmT3_T4_T5_mT6_P12ihipStream_tbENKUlT_T0_E_clISt17integral_constantIbLb1EEST_IbLb0EEEEDaSP_SQ_EUlSP_E0_NS1_11comp_targetILNS1_3genE3ELNS1_11target_archE908ELNS1_3gpuE7ELNS1_3repE0EEENS1_30default_config_static_selectorELNS0_4arch9wavefront6targetE1EEEvT1_,@function
_ZN7rocprim17ROCPRIM_400000_NS6detail17trampoline_kernelINS0_14default_configENS1_20scan_config_selectorIjEEZZNS1_9scan_implILNS1_25lookback_scan_determinismE0ELb1ELb1ES3_N6thrust23THRUST_200600_302600_NS6detail15normal_iteratorINS9_10device_ptrIjEEEESE_jNS9_4plusIvEEjEEDaPvRmT3_T4_T5_mT6_P12ihipStream_tbENKUlT_T0_E_clISt17integral_constantIbLb1EEST_IbLb0EEEEDaSP_SQ_EUlSP_E0_NS1_11comp_targetILNS1_3genE3ELNS1_11target_archE908ELNS1_3gpuE7ELNS1_3repE0EEENS1_30default_config_static_selectorELNS0_4arch9wavefront6targetE1EEEvT1_: ; @_ZN7rocprim17ROCPRIM_400000_NS6detail17trampoline_kernelINS0_14default_configENS1_20scan_config_selectorIjEEZZNS1_9scan_implILNS1_25lookback_scan_determinismE0ELb1ELb1ES3_N6thrust23THRUST_200600_302600_NS6detail15normal_iteratorINS9_10device_ptrIjEEEESE_jNS9_4plusIvEEjEEDaPvRmT3_T4_T5_mT6_P12ihipStream_tbENKUlT_T0_E_clISt17integral_constantIbLb1EEST_IbLb0EEEEDaSP_SQ_EUlSP_E0_NS1_11comp_targetILNS1_3genE3ELNS1_11target_archE908ELNS1_3gpuE7ELNS1_3repE0EEENS1_30default_config_static_selectorELNS0_4arch9wavefront6targetE1EEEvT1_
; %bb.0:
	.section	.rodata,"a",@progbits
	.p2align	6, 0x0
	.amdhsa_kernel _ZN7rocprim17ROCPRIM_400000_NS6detail17trampoline_kernelINS0_14default_configENS1_20scan_config_selectorIjEEZZNS1_9scan_implILNS1_25lookback_scan_determinismE0ELb1ELb1ES3_N6thrust23THRUST_200600_302600_NS6detail15normal_iteratorINS9_10device_ptrIjEEEESE_jNS9_4plusIvEEjEEDaPvRmT3_T4_T5_mT6_P12ihipStream_tbENKUlT_T0_E_clISt17integral_constantIbLb1EEST_IbLb0EEEEDaSP_SQ_EUlSP_E0_NS1_11comp_targetILNS1_3genE3ELNS1_11target_archE908ELNS1_3gpuE7ELNS1_3repE0EEENS1_30default_config_static_selectorELNS0_4arch9wavefront6targetE1EEEvT1_
		.amdhsa_group_segment_fixed_size 0
		.amdhsa_private_segment_fixed_size 0
		.amdhsa_kernarg_size 32
		.amdhsa_user_sgpr_count 6
		.amdhsa_user_sgpr_private_segment_buffer 1
		.amdhsa_user_sgpr_dispatch_ptr 0
		.amdhsa_user_sgpr_queue_ptr 0
		.amdhsa_user_sgpr_kernarg_segment_ptr 1
		.amdhsa_user_sgpr_dispatch_id 0
		.amdhsa_user_sgpr_flat_scratch_init 0
		.amdhsa_user_sgpr_kernarg_preload_length 0
		.amdhsa_user_sgpr_kernarg_preload_offset 0
		.amdhsa_user_sgpr_private_segment_size 0
		.amdhsa_uses_dynamic_stack 0
		.amdhsa_system_sgpr_private_segment_wavefront_offset 0
		.amdhsa_system_sgpr_workgroup_id_x 1
		.amdhsa_system_sgpr_workgroup_id_y 0
		.amdhsa_system_sgpr_workgroup_id_z 0
		.amdhsa_system_sgpr_workgroup_info 0
		.amdhsa_system_vgpr_workitem_id 0
		.amdhsa_next_free_vgpr 1
		.amdhsa_next_free_sgpr 0
		.amdhsa_accum_offset 4
		.amdhsa_reserve_vcc 0
		.amdhsa_reserve_flat_scratch 0
		.amdhsa_float_round_mode_32 0
		.amdhsa_float_round_mode_16_64 0
		.amdhsa_float_denorm_mode_32 3
		.amdhsa_float_denorm_mode_16_64 3
		.amdhsa_dx10_clamp 1
		.amdhsa_ieee_mode 1
		.amdhsa_fp16_overflow 0
		.amdhsa_tg_split 0
		.amdhsa_exception_fp_ieee_invalid_op 0
		.amdhsa_exception_fp_denorm_src 0
		.amdhsa_exception_fp_ieee_div_zero 0
		.amdhsa_exception_fp_ieee_overflow 0
		.amdhsa_exception_fp_ieee_underflow 0
		.amdhsa_exception_fp_ieee_inexact 0
		.amdhsa_exception_int_div_zero 0
	.end_amdhsa_kernel
	.section	.text._ZN7rocprim17ROCPRIM_400000_NS6detail17trampoline_kernelINS0_14default_configENS1_20scan_config_selectorIjEEZZNS1_9scan_implILNS1_25lookback_scan_determinismE0ELb1ELb1ES3_N6thrust23THRUST_200600_302600_NS6detail15normal_iteratorINS9_10device_ptrIjEEEESE_jNS9_4plusIvEEjEEDaPvRmT3_T4_T5_mT6_P12ihipStream_tbENKUlT_T0_E_clISt17integral_constantIbLb1EEST_IbLb0EEEEDaSP_SQ_EUlSP_E0_NS1_11comp_targetILNS1_3genE3ELNS1_11target_archE908ELNS1_3gpuE7ELNS1_3repE0EEENS1_30default_config_static_selectorELNS0_4arch9wavefront6targetE1EEEvT1_,"axG",@progbits,_ZN7rocprim17ROCPRIM_400000_NS6detail17trampoline_kernelINS0_14default_configENS1_20scan_config_selectorIjEEZZNS1_9scan_implILNS1_25lookback_scan_determinismE0ELb1ELb1ES3_N6thrust23THRUST_200600_302600_NS6detail15normal_iteratorINS9_10device_ptrIjEEEESE_jNS9_4plusIvEEjEEDaPvRmT3_T4_T5_mT6_P12ihipStream_tbENKUlT_T0_E_clISt17integral_constantIbLb1EEST_IbLb0EEEEDaSP_SQ_EUlSP_E0_NS1_11comp_targetILNS1_3genE3ELNS1_11target_archE908ELNS1_3gpuE7ELNS1_3repE0EEENS1_30default_config_static_selectorELNS0_4arch9wavefront6targetE1EEEvT1_,comdat
.Lfunc_end4694:
	.size	_ZN7rocprim17ROCPRIM_400000_NS6detail17trampoline_kernelINS0_14default_configENS1_20scan_config_selectorIjEEZZNS1_9scan_implILNS1_25lookback_scan_determinismE0ELb1ELb1ES3_N6thrust23THRUST_200600_302600_NS6detail15normal_iteratorINS9_10device_ptrIjEEEESE_jNS9_4plusIvEEjEEDaPvRmT3_T4_T5_mT6_P12ihipStream_tbENKUlT_T0_E_clISt17integral_constantIbLb1EEST_IbLb0EEEEDaSP_SQ_EUlSP_E0_NS1_11comp_targetILNS1_3genE3ELNS1_11target_archE908ELNS1_3gpuE7ELNS1_3repE0EEENS1_30default_config_static_selectorELNS0_4arch9wavefront6targetE1EEEvT1_, .Lfunc_end4694-_ZN7rocprim17ROCPRIM_400000_NS6detail17trampoline_kernelINS0_14default_configENS1_20scan_config_selectorIjEEZZNS1_9scan_implILNS1_25lookback_scan_determinismE0ELb1ELb1ES3_N6thrust23THRUST_200600_302600_NS6detail15normal_iteratorINS9_10device_ptrIjEEEESE_jNS9_4plusIvEEjEEDaPvRmT3_T4_T5_mT6_P12ihipStream_tbENKUlT_T0_E_clISt17integral_constantIbLb1EEST_IbLb0EEEEDaSP_SQ_EUlSP_E0_NS1_11comp_targetILNS1_3genE3ELNS1_11target_archE908ELNS1_3gpuE7ELNS1_3repE0EEENS1_30default_config_static_selectorELNS0_4arch9wavefront6targetE1EEEvT1_
                                        ; -- End function
	.section	.AMDGPU.csdata,"",@progbits
; Kernel info:
; codeLenInByte = 0
; NumSgprs: 4
; NumVgprs: 0
; NumAgprs: 0
; TotalNumVgprs: 0
; ScratchSize: 0
; MemoryBound: 0
; FloatMode: 240
; IeeeMode: 1
; LDSByteSize: 0 bytes/workgroup (compile time only)
; SGPRBlocks: 0
; VGPRBlocks: 0
; NumSGPRsForWavesPerEU: 4
; NumVGPRsForWavesPerEU: 1
; AccumOffset: 4
; Occupancy: 8
; WaveLimiterHint : 0
; COMPUTE_PGM_RSRC2:SCRATCH_EN: 0
; COMPUTE_PGM_RSRC2:USER_SGPR: 6
; COMPUTE_PGM_RSRC2:TRAP_HANDLER: 0
; COMPUTE_PGM_RSRC2:TGID_X_EN: 1
; COMPUTE_PGM_RSRC2:TGID_Y_EN: 0
; COMPUTE_PGM_RSRC2:TGID_Z_EN: 0
; COMPUTE_PGM_RSRC2:TIDIG_COMP_CNT: 0
; COMPUTE_PGM_RSRC3_GFX90A:ACCUM_OFFSET: 0
; COMPUTE_PGM_RSRC3_GFX90A:TG_SPLIT: 0
	.section	.text._ZN7rocprim17ROCPRIM_400000_NS6detail17trampoline_kernelINS0_14default_configENS1_20scan_config_selectorIjEEZZNS1_9scan_implILNS1_25lookback_scan_determinismE0ELb1ELb1ES3_N6thrust23THRUST_200600_302600_NS6detail15normal_iteratorINS9_10device_ptrIjEEEESE_jNS9_4plusIvEEjEEDaPvRmT3_T4_T5_mT6_P12ihipStream_tbENKUlT_T0_E_clISt17integral_constantIbLb1EEST_IbLb0EEEEDaSP_SQ_EUlSP_E0_NS1_11comp_targetILNS1_3genE2ELNS1_11target_archE906ELNS1_3gpuE6ELNS1_3repE0EEENS1_30default_config_static_selectorELNS0_4arch9wavefront6targetE1EEEvT1_,"axG",@progbits,_ZN7rocprim17ROCPRIM_400000_NS6detail17trampoline_kernelINS0_14default_configENS1_20scan_config_selectorIjEEZZNS1_9scan_implILNS1_25lookback_scan_determinismE0ELb1ELb1ES3_N6thrust23THRUST_200600_302600_NS6detail15normal_iteratorINS9_10device_ptrIjEEEESE_jNS9_4plusIvEEjEEDaPvRmT3_T4_T5_mT6_P12ihipStream_tbENKUlT_T0_E_clISt17integral_constantIbLb1EEST_IbLb0EEEEDaSP_SQ_EUlSP_E0_NS1_11comp_targetILNS1_3genE2ELNS1_11target_archE906ELNS1_3gpuE6ELNS1_3repE0EEENS1_30default_config_static_selectorELNS0_4arch9wavefront6targetE1EEEvT1_,comdat
	.protected	_ZN7rocprim17ROCPRIM_400000_NS6detail17trampoline_kernelINS0_14default_configENS1_20scan_config_selectorIjEEZZNS1_9scan_implILNS1_25lookback_scan_determinismE0ELb1ELb1ES3_N6thrust23THRUST_200600_302600_NS6detail15normal_iteratorINS9_10device_ptrIjEEEESE_jNS9_4plusIvEEjEEDaPvRmT3_T4_T5_mT6_P12ihipStream_tbENKUlT_T0_E_clISt17integral_constantIbLb1EEST_IbLb0EEEEDaSP_SQ_EUlSP_E0_NS1_11comp_targetILNS1_3genE2ELNS1_11target_archE906ELNS1_3gpuE6ELNS1_3repE0EEENS1_30default_config_static_selectorELNS0_4arch9wavefront6targetE1EEEvT1_ ; -- Begin function _ZN7rocprim17ROCPRIM_400000_NS6detail17trampoline_kernelINS0_14default_configENS1_20scan_config_selectorIjEEZZNS1_9scan_implILNS1_25lookback_scan_determinismE0ELb1ELb1ES3_N6thrust23THRUST_200600_302600_NS6detail15normal_iteratorINS9_10device_ptrIjEEEESE_jNS9_4plusIvEEjEEDaPvRmT3_T4_T5_mT6_P12ihipStream_tbENKUlT_T0_E_clISt17integral_constantIbLb1EEST_IbLb0EEEEDaSP_SQ_EUlSP_E0_NS1_11comp_targetILNS1_3genE2ELNS1_11target_archE906ELNS1_3gpuE6ELNS1_3repE0EEENS1_30default_config_static_selectorELNS0_4arch9wavefront6targetE1EEEvT1_
	.globl	_ZN7rocprim17ROCPRIM_400000_NS6detail17trampoline_kernelINS0_14default_configENS1_20scan_config_selectorIjEEZZNS1_9scan_implILNS1_25lookback_scan_determinismE0ELb1ELb1ES3_N6thrust23THRUST_200600_302600_NS6detail15normal_iteratorINS9_10device_ptrIjEEEESE_jNS9_4plusIvEEjEEDaPvRmT3_T4_T5_mT6_P12ihipStream_tbENKUlT_T0_E_clISt17integral_constantIbLb1EEST_IbLb0EEEEDaSP_SQ_EUlSP_E0_NS1_11comp_targetILNS1_3genE2ELNS1_11target_archE906ELNS1_3gpuE6ELNS1_3repE0EEENS1_30default_config_static_selectorELNS0_4arch9wavefront6targetE1EEEvT1_
	.p2align	8
	.type	_ZN7rocprim17ROCPRIM_400000_NS6detail17trampoline_kernelINS0_14default_configENS1_20scan_config_selectorIjEEZZNS1_9scan_implILNS1_25lookback_scan_determinismE0ELb1ELb1ES3_N6thrust23THRUST_200600_302600_NS6detail15normal_iteratorINS9_10device_ptrIjEEEESE_jNS9_4plusIvEEjEEDaPvRmT3_T4_T5_mT6_P12ihipStream_tbENKUlT_T0_E_clISt17integral_constantIbLb1EEST_IbLb0EEEEDaSP_SQ_EUlSP_E0_NS1_11comp_targetILNS1_3genE2ELNS1_11target_archE906ELNS1_3gpuE6ELNS1_3repE0EEENS1_30default_config_static_selectorELNS0_4arch9wavefront6targetE1EEEvT1_,@function
_ZN7rocprim17ROCPRIM_400000_NS6detail17trampoline_kernelINS0_14default_configENS1_20scan_config_selectorIjEEZZNS1_9scan_implILNS1_25lookback_scan_determinismE0ELb1ELb1ES3_N6thrust23THRUST_200600_302600_NS6detail15normal_iteratorINS9_10device_ptrIjEEEESE_jNS9_4plusIvEEjEEDaPvRmT3_T4_T5_mT6_P12ihipStream_tbENKUlT_T0_E_clISt17integral_constantIbLb1EEST_IbLb0EEEEDaSP_SQ_EUlSP_E0_NS1_11comp_targetILNS1_3genE2ELNS1_11target_archE906ELNS1_3gpuE6ELNS1_3repE0EEENS1_30default_config_static_selectorELNS0_4arch9wavefront6targetE1EEEvT1_: ; @_ZN7rocprim17ROCPRIM_400000_NS6detail17trampoline_kernelINS0_14default_configENS1_20scan_config_selectorIjEEZZNS1_9scan_implILNS1_25lookback_scan_determinismE0ELb1ELb1ES3_N6thrust23THRUST_200600_302600_NS6detail15normal_iteratorINS9_10device_ptrIjEEEESE_jNS9_4plusIvEEjEEDaPvRmT3_T4_T5_mT6_P12ihipStream_tbENKUlT_T0_E_clISt17integral_constantIbLb1EEST_IbLb0EEEEDaSP_SQ_EUlSP_E0_NS1_11comp_targetILNS1_3genE2ELNS1_11target_archE906ELNS1_3gpuE6ELNS1_3repE0EEENS1_30default_config_static_selectorELNS0_4arch9wavefront6targetE1EEEvT1_
; %bb.0:
	.section	.rodata,"a",@progbits
	.p2align	6, 0x0
	.amdhsa_kernel _ZN7rocprim17ROCPRIM_400000_NS6detail17trampoline_kernelINS0_14default_configENS1_20scan_config_selectorIjEEZZNS1_9scan_implILNS1_25lookback_scan_determinismE0ELb1ELb1ES3_N6thrust23THRUST_200600_302600_NS6detail15normal_iteratorINS9_10device_ptrIjEEEESE_jNS9_4plusIvEEjEEDaPvRmT3_T4_T5_mT6_P12ihipStream_tbENKUlT_T0_E_clISt17integral_constantIbLb1EEST_IbLb0EEEEDaSP_SQ_EUlSP_E0_NS1_11comp_targetILNS1_3genE2ELNS1_11target_archE906ELNS1_3gpuE6ELNS1_3repE0EEENS1_30default_config_static_selectorELNS0_4arch9wavefront6targetE1EEEvT1_
		.amdhsa_group_segment_fixed_size 0
		.amdhsa_private_segment_fixed_size 0
		.amdhsa_kernarg_size 32
		.amdhsa_user_sgpr_count 6
		.amdhsa_user_sgpr_private_segment_buffer 1
		.amdhsa_user_sgpr_dispatch_ptr 0
		.amdhsa_user_sgpr_queue_ptr 0
		.amdhsa_user_sgpr_kernarg_segment_ptr 1
		.amdhsa_user_sgpr_dispatch_id 0
		.amdhsa_user_sgpr_flat_scratch_init 0
		.amdhsa_user_sgpr_kernarg_preload_length 0
		.amdhsa_user_sgpr_kernarg_preload_offset 0
		.amdhsa_user_sgpr_private_segment_size 0
		.amdhsa_uses_dynamic_stack 0
		.amdhsa_system_sgpr_private_segment_wavefront_offset 0
		.amdhsa_system_sgpr_workgroup_id_x 1
		.amdhsa_system_sgpr_workgroup_id_y 0
		.amdhsa_system_sgpr_workgroup_id_z 0
		.amdhsa_system_sgpr_workgroup_info 0
		.amdhsa_system_vgpr_workitem_id 0
		.amdhsa_next_free_vgpr 1
		.amdhsa_next_free_sgpr 0
		.amdhsa_accum_offset 4
		.amdhsa_reserve_vcc 0
		.amdhsa_reserve_flat_scratch 0
		.amdhsa_float_round_mode_32 0
		.amdhsa_float_round_mode_16_64 0
		.amdhsa_float_denorm_mode_32 3
		.amdhsa_float_denorm_mode_16_64 3
		.amdhsa_dx10_clamp 1
		.amdhsa_ieee_mode 1
		.amdhsa_fp16_overflow 0
		.amdhsa_tg_split 0
		.amdhsa_exception_fp_ieee_invalid_op 0
		.amdhsa_exception_fp_denorm_src 0
		.amdhsa_exception_fp_ieee_div_zero 0
		.amdhsa_exception_fp_ieee_overflow 0
		.amdhsa_exception_fp_ieee_underflow 0
		.amdhsa_exception_fp_ieee_inexact 0
		.amdhsa_exception_int_div_zero 0
	.end_amdhsa_kernel
	.section	.text._ZN7rocprim17ROCPRIM_400000_NS6detail17trampoline_kernelINS0_14default_configENS1_20scan_config_selectorIjEEZZNS1_9scan_implILNS1_25lookback_scan_determinismE0ELb1ELb1ES3_N6thrust23THRUST_200600_302600_NS6detail15normal_iteratorINS9_10device_ptrIjEEEESE_jNS9_4plusIvEEjEEDaPvRmT3_T4_T5_mT6_P12ihipStream_tbENKUlT_T0_E_clISt17integral_constantIbLb1EEST_IbLb0EEEEDaSP_SQ_EUlSP_E0_NS1_11comp_targetILNS1_3genE2ELNS1_11target_archE906ELNS1_3gpuE6ELNS1_3repE0EEENS1_30default_config_static_selectorELNS0_4arch9wavefront6targetE1EEEvT1_,"axG",@progbits,_ZN7rocprim17ROCPRIM_400000_NS6detail17trampoline_kernelINS0_14default_configENS1_20scan_config_selectorIjEEZZNS1_9scan_implILNS1_25lookback_scan_determinismE0ELb1ELb1ES3_N6thrust23THRUST_200600_302600_NS6detail15normal_iteratorINS9_10device_ptrIjEEEESE_jNS9_4plusIvEEjEEDaPvRmT3_T4_T5_mT6_P12ihipStream_tbENKUlT_T0_E_clISt17integral_constantIbLb1EEST_IbLb0EEEEDaSP_SQ_EUlSP_E0_NS1_11comp_targetILNS1_3genE2ELNS1_11target_archE906ELNS1_3gpuE6ELNS1_3repE0EEENS1_30default_config_static_selectorELNS0_4arch9wavefront6targetE1EEEvT1_,comdat
.Lfunc_end4695:
	.size	_ZN7rocprim17ROCPRIM_400000_NS6detail17trampoline_kernelINS0_14default_configENS1_20scan_config_selectorIjEEZZNS1_9scan_implILNS1_25lookback_scan_determinismE0ELb1ELb1ES3_N6thrust23THRUST_200600_302600_NS6detail15normal_iteratorINS9_10device_ptrIjEEEESE_jNS9_4plusIvEEjEEDaPvRmT3_T4_T5_mT6_P12ihipStream_tbENKUlT_T0_E_clISt17integral_constantIbLb1EEST_IbLb0EEEEDaSP_SQ_EUlSP_E0_NS1_11comp_targetILNS1_3genE2ELNS1_11target_archE906ELNS1_3gpuE6ELNS1_3repE0EEENS1_30default_config_static_selectorELNS0_4arch9wavefront6targetE1EEEvT1_, .Lfunc_end4695-_ZN7rocprim17ROCPRIM_400000_NS6detail17trampoline_kernelINS0_14default_configENS1_20scan_config_selectorIjEEZZNS1_9scan_implILNS1_25lookback_scan_determinismE0ELb1ELb1ES3_N6thrust23THRUST_200600_302600_NS6detail15normal_iteratorINS9_10device_ptrIjEEEESE_jNS9_4plusIvEEjEEDaPvRmT3_T4_T5_mT6_P12ihipStream_tbENKUlT_T0_E_clISt17integral_constantIbLb1EEST_IbLb0EEEEDaSP_SQ_EUlSP_E0_NS1_11comp_targetILNS1_3genE2ELNS1_11target_archE906ELNS1_3gpuE6ELNS1_3repE0EEENS1_30default_config_static_selectorELNS0_4arch9wavefront6targetE1EEEvT1_
                                        ; -- End function
	.section	.AMDGPU.csdata,"",@progbits
; Kernel info:
; codeLenInByte = 0
; NumSgprs: 4
; NumVgprs: 0
; NumAgprs: 0
; TotalNumVgprs: 0
; ScratchSize: 0
; MemoryBound: 0
; FloatMode: 240
; IeeeMode: 1
; LDSByteSize: 0 bytes/workgroup (compile time only)
; SGPRBlocks: 0
; VGPRBlocks: 0
; NumSGPRsForWavesPerEU: 4
; NumVGPRsForWavesPerEU: 1
; AccumOffset: 4
; Occupancy: 8
; WaveLimiterHint : 0
; COMPUTE_PGM_RSRC2:SCRATCH_EN: 0
; COMPUTE_PGM_RSRC2:USER_SGPR: 6
; COMPUTE_PGM_RSRC2:TRAP_HANDLER: 0
; COMPUTE_PGM_RSRC2:TGID_X_EN: 1
; COMPUTE_PGM_RSRC2:TGID_Y_EN: 0
; COMPUTE_PGM_RSRC2:TGID_Z_EN: 0
; COMPUTE_PGM_RSRC2:TIDIG_COMP_CNT: 0
; COMPUTE_PGM_RSRC3_GFX90A:ACCUM_OFFSET: 0
; COMPUTE_PGM_RSRC3_GFX90A:TG_SPLIT: 0
	.section	.text._ZN7rocprim17ROCPRIM_400000_NS6detail17trampoline_kernelINS0_14default_configENS1_20scan_config_selectorIjEEZZNS1_9scan_implILNS1_25lookback_scan_determinismE0ELb1ELb1ES3_N6thrust23THRUST_200600_302600_NS6detail15normal_iteratorINS9_10device_ptrIjEEEESE_jNS9_4plusIvEEjEEDaPvRmT3_T4_T5_mT6_P12ihipStream_tbENKUlT_T0_E_clISt17integral_constantIbLb1EEST_IbLb0EEEEDaSP_SQ_EUlSP_E0_NS1_11comp_targetILNS1_3genE10ELNS1_11target_archE1201ELNS1_3gpuE5ELNS1_3repE0EEENS1_30default_config_static_selectorELNS0_4arch9wavefront6targetE1EEEvT1_,"axG",@progbits,_ZN7rocprim17ROCPRIM_400000_NS6detail17trampoline_kernelINS0_14default_configENS1_20scan_config_selectorIjEEZZNS1_9scan_implILNS1_25lookback_scan_determinismE0ELb1ELb1ES3_N6thrust23THRUST_200600_302600_NS6detail15normal_iteratorINS9_10device_ptrIjEEEESE_jNS9_4plusIvEEjEEDaPvRmT3_T4_T5_mT6_P12ihipStream_tbENKUlT_T0_E_clISt17integral_constantIbLb1EEST_IbLb0EEEEDaSP_SQ_EUlSP_E0_NS1_11comp_targetILNS1_3genE10ELNS1_11target_archE1201ELNS1_3gpuE5ELNS1_3repE0EEENS1_30default_config_static_selectorELNS0_4arch9wavefront6targetE1EEEvT1_,comdat
	.protected	_ZN7rocprim17ROCPRIM_400000_NS6detail17trampoline_kernelINS0_14default_configENS1_20scan_config_selectorIjEEZZNS1_9scan_implILNS1_25lookback_scan_determinismE0ELb1ELb1ES3_N6thrust23THRUST_200600_302600_NS6detail15normal_iteratorINS9_10device_ptrIjEEEESE_jNS9_4plusIvEEjEEDaPvRmT3_T4_T5_mT6_P12ihipStream_tbENKUlT_T0_E_clISt17integral_constantIbLb1EEST_IbLb0EEEEDaSP_SQ_EUlSP_E0_NS1_11comp_targetILNS1_3genE10ELNS1_11target_archE1201ELNS1_3gpuE5ELNS1_3repE0EEENS1_30default_config_static_selectorELNS0_4arch9wavefront6targetE1EEEvT1_ ; -- Begin function _ZN7rocprim17ROCPRIM_400000_NS6detail17trampoline_kernelINS0_14default_configENS1_20scan_config_selectorIjEEZZNS1_9scan_implILNS1_25lookback_scan_determinismE0ELb1ELb1ES3_N6thrust23THRUST_200600_302600_NS6detail15normal_iteratorINS9_10device_ptrIjEEEESE_jNS9_4plusIvEEjEEDaPvRmT3_T4_T5_mT6_P12ihipStream_tbENKUlT_T0_E_clISt17integral_constantIbLb1EEST_IbLb0EEEEDaSP_SQ_EUlSP_E0_NS1_11comp_targetILNS1_3genE10ELNS1_11target_archE1201ELNS1_3gpuE5ELNS1_3repE0EEENS1_30default_config_static_selectorELNS0_4arch9wavefront6targetE1EEEvT1_
	.globl	_ZN7rocprim17ROCPRIM_400000_NS6detail17trampoline_kernelINS0_14default_configENS1_20scan_config_selectorIjEEZZNS1_9scan_implILNS1_25lookback_scan_determinismE0ELb1ELb1ES3_N6thrust23THRUST_200600_302600_NS6detail15normal_iteratorINS9_10device_ptrIjEEEESE_jNS9_4plusIvEEjEEDaPvRmT3_T4_T5_mT6_P12ihipStream_tbENKUlT_T0_E_clISt17integral_constantIbLb1EEST_IbLb0EEEEDaSP_SQ_EUlSP_E0_NS1_11comp_targetILNS1_3genE10ELNS1_11target_archE1201ELNS1_3gpuE5ELNS1_3repE0EEENS1_30default_config_static_selectorELNS0_4arch9wavefront6targetE1EEEvT1_
	.p2align	8
	.type	_ZN7rocprim17ROCPRIM_400000_NS6detail17trampoline_kernelINS0_14default_configENS1_20scan_config_selectorIjEEZZNS1_9scan_implILNS1_25lookback_scan_determinismE0ELb1ELb1ES3_N6thrust23THRUST_200600_302600_NS6detail15normal_iteratorINS9_10device_ptrIjEEEESE_jNS9_4plusIvEEjEEDaPvRmT3_T4_T5_mT6_P12ihipStream_tbENKUlT_T0_E_clISt17integral_constantIbLb1EEST_IbLb0EEEEDaSP_SQ_EUlSP_E0_NS1_11comp_targetILNS1_3genE10ELNS1_11target_archE1201ELNS1_3gpuE5ELNS1_3repE0EEENS1_30default_config_static_selectorELNS0_4arch9wavefront6targetE1EEEvT1_,@function
_ZN7rocprim17ROCPRIM_400000_NS6detail17trampoline_kernelINS0_14default_configENS1_20scan_config_selectorIjEEZZNS1_9scan_implILNS1_25lookback_scan_determinismE0ELb1ELb1ES3_N6thrust23THRUST_200600_302600_NS6detail15normal_iteratorINS9_10device_ptrIjEEEESE_jNS9_4plusIvEEjEEDaPvRmT3_T4_T5_mT6_P12ihipStream_tbENKUlT_T0_E_clISt17integral_constantIbLb1EEST_IbLb0EEEEDaSP_SQ_EUlSP_E0_NS1_11comp_targetILNS1_3genE10ELNS1_11target_archE1201ELNS1_3gpuE5ELNS1_3repE0EEENS1_30default_config_static_selectorELNS0_4arch9wavefront6targetE1EEEvT1_: ; @_ZN7rocprim17ROCPRIM_400000_NS6detail17trampoline_kernelINS0_14default_configENS1_20scan_config_selectorIjEEZZNS1_9scan_implILNS1_25lookback_scan_determinismE0ELb1ELb1ES3_N6thrust23THRUST_200600_302600_NS6detail15normal_iteratorINS9_10device_ptrIjEEEESE_jNS9_4plusIvEEjEEDaPvRmT3_T4_T5_mT6_P12ihipStream_tbENKUlT_T0_E_clISt17integral_constantIbLb1EEST_IbLb0EEEEDaSP_SQ_EUlSP_E0_NS1_11comp_targetILNS1_3genE10ELNS1_11target_archE1201ELNS1_3gpuE5ELNS1_3repE0EEENS1_30default_config_static_selectorELNS0_4arch9wavefront6targetE1EEEvT1_
; %bb.0:
	.section	.rodata,"a",@progbits
	.p2align	6, 0x0
	.amdhsa_kernel _ZN7rocprim17ROCPRIM_400000_NS6detail17trampoline_kernelINS0_14default_configENS1_20scan_config_selectorIjEEZZNS1_9scan_implILNS1_25lookback_scan_determinismE0ELb1ELb1ES3_N6thrust23THRUST_200600_302600_NS6detail15normal_iteratorINS9_10device_ptrIjEEEESE_jNS9_4plusIvEEjEEDaPvRmT3_T4_T5_mT6_P12ihipStream_tbENKUlT_T0_E_clISt17integral_constantIbLb1EEST_IbLb0EEEEDaSP_SQ_EUlSP_E0_NS1_11comp_targetILNS1_3genE10ELNS1_11target_archE1201ELNS1_3gpuE5ELNS1_3repE0EEENS1_30default_config_static_selectorELNS0_4arch9wavefront6targetE1EEEvT1_
		.amdhsa_group_segment_fixed_size 0
		.amdhsa_private_segment_fixed_size 0
		.amdhsa_kernarg_size 32
		.amdhsa_user_sgpr_count 6
		.amdhsa_user_sgpr_private_segment_buffer 1
		.amdhsa_user_sgpr_dispatch_ptr 0
		.amdhsa_user_sgpr_queue_ptr 0
		.amdhsa_user_sgpr_kernarg_segment_ptr 1
		.amdhsa_user_sgpr_dispatch_id 0
		.amdhsa_user_sgpr_flat_scratch_init 0
		.amdhsa_user_sgpr_kernarg_preload_length 0
		.amdhsa_user_sgpr_kernarg_preload_offset 0
		.amdhsa_user_sgpr_private_segment_size 0
		.amdhsa_uses_dynamic_stack 0
		.amdhsa_system_sgpr_private_segment_wavefront_offset 0
		.amdhsa_system_sgpr_workgroup_id_x 1
		.amdhsa_system_sgpr_workgroup_id_y 0
		.amdhsa_system_sgpr_workgroup_id_z 0
		.amdhsa_system_sgpr_workgroup_info 0
		.amdhsa_system_vgpr_workitem_id 0
		.amdhsa_next_free_vgpr 1
		.amdhsa_next_free_sgpr 0
		.amdhsa_accum_offset 4
		.amdhsa_reserve_vcc 0
		.amdhsa_reserve_flat_scratch 0
		.amdhsa_float_round_mode_32 0
		.amdhsa_float_round_mode_16_64 0
		.amdhsa_float_denorm_mode_32 3
		.amdhsa_float_denorm_mode_16_64 3
		.amdhsa_dx10_clamp 1
		.amdhsa_ieee_mode 1
		.amdhsa_fp16_overflow 0
		.amdhsa_tg_split 0
		.amdhsa_exception_fp_ieee_invalid_op 0
		.amdhsa_exception_fp_denorm_src 0
		.amdhsa_exception_fp_ieee_div_zero 0
		.amdhsa_exception_fp_ieee_overflow 0
		.amdhsa_exception_fp_ieee_underflow 0
		.amdhsa_exception_fp_ieee_inexact 0
		.amdhsa_exception_int_div_zero 0
	.end_amdhsa_kernel
	.section	.text._ZN7rocprim17ROCPRIM_400000_NS6detail17trampoline_kernelINS0_14default_configENS1_20scan_config_selectorIjEEZZNS1_9scan_implILNS1_25lookback_scan_determinismE0ELb1ELb1ES3_N6thrust23THRUST_200600_302600_NS6detail15normal_iteratorINS9_10device_ptrIjEEEESE_jNS9_4plusIvEEjEEDaPvRmT3_T4_T5_mT6_P12ihipStream_tbENKUlT_T0_E_clISt17integral_constantIbLb1EEST_IbLb0EEEEDaSP_SQ_EUlSP_E0_NS1_11comp_targetILNS1_3genE10ELNS1_11target_archE1201ELNS1_3gpuE5ELNS1_3repE0EEENS1_30default_config_static_selectorELNS0_4arch9wavefront6targetE1EEEvT1_,"axG",@progbits,_ZN7rocprim17ROCPRIM_400000_NS6detail17trampoline_kernelINS0_14default_configENS1_20scan_config_selectorIjEEZZNS1_9scan_implILNS1_25lookback_scan_determinismE0ELb1ELb1ES3_N6thrust23THRUST_200600_302600_NS6detail15normal_iteratorINS9_10device_ptrIjEEEESE_jNS9_4plusIvEEjEEDaPvRmT3_T4_T5_mT6_P12ihipStream_tbENKUlT_T0_E_clISt17integral_constantIbLb1EEST_IbLb0EEEEDaSP_SQ_EUlSP_E0_NS1_11comp_targetILNS1_3genE10ELNS1_11target_archE1201ELNS1_3gpuE5ELNS1_3repE0EEENS1_30default_config_static_selectorELNS0_4arch9wavefront6targetE1EEEvT1_,comdat
.Lfunc_end4696:
	.size	_ZN7rocprim17ROCPRIM_400000_NS6detail17trampoline_kernelINS0_14default_configENS1_20scan_config_selectorIjEEZZNS1_9scan_implILNS1_25lookback_scan_determinismE0ELb1ELb1ES3_N6thrust23THRUST_200600_302600_NS6detail15normal_iteratorINS9_10device_ptrIjEEEESE_jNS9_4plusIvEEjEEDaPvRmT3_T4_T5_mT6_P12ihipStream_tbENKUlT_T0_E_clISt17integral_constantIbLb1EEST_IbLb0EEEEDaSP_SQ_EUlSP_E0_NS1_11comp_targetILNS1_3genE10ELNS1_11target_archE1201ELNS1_3gpuE5ELNS1_3repE0EEENS1_30default_config_static_selectorELNS0_4arch9wavefront6targetE1EEEvT1_, .Lfunc_end4696-_ZN7rocprim17ROCPRIM_400000_NS6detail17trampoline_kernelINS0_14default_configENS1_20scan_config_selectorIjEEZZNS1_9scan_implILNS1_25lookback_scan_determinismE0ELb1ELb1ES3_N6thrust23THRUST_200600_302600_NS6detail15normal_iteratorINS9_10device_ptrIjEEEESE_jNS9_4plusIvEEjEEDaPvRmT3_T4_T5_mT6_P12ihipStream_tbENKUlT_T0_E_clISt17integral_constantIbLb1EEST_IbLb0EEEEDaSP_SQ_EUlSP_E0_NS1_11comp_targetILNS1_3genE10ELNS1_11target_archE1201ELNS1_3gpuE5ELNS1_3repE0EEENS1_30default_config_static_selectorELNS0_4arch9wavefront6targetE1EEEvT1_
                                        ; -- End function
	.section	.AMDGPU.csdata,"",@progbits
; Kernel info:
; codeLenInByte = 0
; NumSgprs: 4
; NumVgprs: 0
; NumAgprs: 0
; TotalNumVgprs: 0
; ScratchSize: 0
; MemoryBound: 0
; FloatMode: 240
; IeeeMode: 1
; LDSByteSize: 0 bytes/workgroup (compile time only)
; SGPRBlocks: 0
; VGPRBlocks: 0
; NumSGPRsForWavesPerEU: 4
; NumVGPRsForWavesPerEU: 1
; AccumOffset: 4
; Occupancy: 8
; WaveLimiterHint : 0
; COMPUTE_PGM_RSRC2:SCRATCH_EN: 0
; COMPUTE_PGM_RSRC2:USER_SGPR: 6
; COMPUTE_PGM_RSRC2:TRAP_HANDLER: 0
; COMPUTE_PGM_RSRC2:TGID_X_EN: 1
; COMPUTE_PGM_RSRC2:TGID_Y_EN: 0
; COMPUTE_PGM_RSRC2:TGID_Z_EN: 0
; COMPUTE_PGM_RSRC2:TIDIG_COMP_CNT: 0
; COMPUTE_PGM_RSRC3_GFX90A:ACCUM_OFFSET: 0
; COMPUTE_PGM_RSRC3_GFX90A:TG_SPLIT: 0
	.section	.text._ZN7rocprim17ROCPRIM_400000_NS6detail17trampoline_kernelINS0_14default_configENS1_20scan_config_selectorIjEEZZNS1_9scan_implILNS1_25lookback_scan_determinismE0ELb1ELb1ES3_N6thrust23THRUST_200600_302600_NS6detail15normal_iteratorINS9_10device_ptrIjEEEESE_jNS9_4plusIvEEjEEDaPvRmT3_T4_T5_mT6_P12ihipStream_tbENKUlT_T0_E_clISt17integral_constantIbLb1EEST_IbLb0EEEEDaSP_SQ_EUlSP_E0_NS1_11comp_targetILNS1_3genE10ELNS1_11target_archE1200ELNS1_3gpuE4ELNS1_3repE0EEENS1_30default_config_static_selectorELNS0_4arch9wavefront6targetE1EEEvT1_,"axG",@progbits,_ZN7rocprim17ROCPRIM_400000_NS6detail17trampoline_kernelINS0_14default_configENS1_20scan_config_selectorIjEEZZNS1_9scan_implILNS1_25lookback_scan_determinismE0ELb1ELb1ES3_N6thrust23THRUST_200600_302600_NS6detail15normal_iteratorINS9_10device_ptrIjEEEESE_jNS9_4plusIvEEjEEDaPvRmT3_T4_T5_mT6_P12ihipStream_tbENKUlT_T0_E_clISt17integral_constantIbLb1EEST_IbLb0EEEEDaSP_SQ_EUlSP_E0_NS1_11comp_targetILNS1_3genE10ELNS1_11target_archE1200ELNS1_3gpuE4ELNS1_3repE0EEENS1_30default_config_static_selectorELNS0_4arch9wavefront6targetE1EEEvT1_,comdat
	.protected	_ZN7rocprim17ROCPRIM_400000_NS6detail17trampoline_kernelINS0_14default_configENS1_20scan_config_selectorIjEEZZNS1_9scan_implILNS1_25lookback_scan_determinismE0ELb1ELb1ES3_N6thrust23THRUST_200600_302600_NS6detail15normal_iteratorINS9_10device_ptrIjEEEESE_jNS9_4plusIvEEjEEDaPvRmT3_T4_T5_mT6_P12ihipStream_tbENKUlT_T0_E_clISt17integral_constantIbLb1EEST_IbLb0EEEEDaSP_SQ_EUlSP_E0_NS1_11comp_targetILNS1_3genE10ELNS1_11target_archE1200ELNS1_3gpuE4ELNS1_3repE0EEENS1_30default_config_static_selectorELNS0_4arch9wavefront6targetE1EEEvT1_ ; -- Begin function _ZN7rocprim17ROCPRIM_400000_NS6detail17trampoline_kernelINS0_14default_configENS1_20scan_config_selectorIjEEZZNS1_9scan_implILNS1_25lookback_scan_determinismE0ELb1ELb1ES3_N6thrust23THRUST_200600_302600_NS6detail15normal_iteratorINS9_10device_ptrIjEEEESE_jNS9_4plusIvEEjEEDaPvRmT3_T4_T5_mT6_P12ihipStream_tbENKUlT_T0_E_clISt17integral_constantIbLb1EEST_IbLb0EEEEDaSP_SQ_EUlSP_E0_NS1_11comp_targetILNS1_3genE10ELNS1_11target_archE1200ELNS1_3gpuE4ELNS1_3repE0EEENS1_30default_config_static_selectorELNS0_4arch9wavefront6targetE1EEEvT1_
	.globl	_ZN7rocprim17ROCPRIM_400000_NS6detail17trampoline_kernelINS0_14default_configENS1_20scan_config_selectorIjEEZZNS1_9scan_implILNS1_25lookback_scan_determinismE0ELb1ELb1ES3_N6thrust23THRUST_200600_302600_NS6detail15normal_iteratorINS9_10device_ptrIjEEEESE_jNS9_4plusIvEEjEEDaPvRmT3_T4_T5_mT6_P12ihipStream_tbENKUlT_T0_E_clISt17integral_constantIbLb1EEST_IbLb0EEEEDaSP_SQ_EUlSP_E0_NS1_11comp_targetILNS1_3genE10ELNS1_11target_archE1200ELNS1_3gpuE4ELNS1_3repE0EEENS1_30default_config_static_selectorELNS0_4arch9wavefront6targetE1EEEvT1_
	.p2align	8
	.type	_ZN7rocprim17ROCPRIM_400000_NS6detail17trampoline_kernelINS0_14default_configENS1_20scan_config_selectorIjEEZZNS1_9scan_implILNS1_25lookback_scan_determinismE0ELb1ELb1ES3_N6thrust23THRUST_200600_302600_NS6detail15normal_iteratorINS9_10device_ptrIjEEEESE_jNS9_4plusIvEEjEEDaPvRmT3_T4_T5_mT6_P12ihipStream_tbENKUlT_T0_E_clISt17integral_constantIbLb1EEST_IbLb0EEEEDaSP_SQ_EUlSP_E0_NS1_11comp_targetILNS1_3genE10ELNS1_11target_archE1200ELNS1_3gpuE4ELNS1_3repE0EEENS1_30default_config_static_selectorELNS0_4arch9wavefront6targetE1EEEvT1_,@function
_ZN7rocprim17ROCPRIM_400000_NS6detail17trampoline_kernelINS0_14default_configENS1_20scan_config_selectorIjEEZZNS1_9scan_implILNS1_25lookback_scan_determinismE0ELb1ELb1ES3_N6thrust23THRUST_200600_302600_NS6detail15normal_iteratorINS9_10device_ptrIjEEEESE_jNS9_4plusIvEEjEEDaPvRmT3_T4_T5_mT6_P12ihipStream_tbENKUlT_T0_E_clISt17integral_constantIbLb1EEST_IbLb0EEEEDaSP_SQ_EUlSP_E0_NS1_11comp_targetILNS1_3genE10ELNS1_11target_archE1200ELNS1_3gpuE4ELNS1_3repE0EEENS1_30default_config_static_selectorELNS0_4arch9wavefront6targetE1EEEvT1_: ; @_ZN7rocprim17ROCPRIM_400000_NS6detail17trampoline_kernelINS0_14default_configENS1_20scan_config_selectorIjEEZZNS1_9scan_implILNS1_25lookback_scan_determinismE0ELb1ELb1ES3_N6thrust23THRUST_200600_302600_NS6detail15normal_iteratorINS9_10device_ptrIjEEEESE_jNS9_4plusIvEEjEEDaPvRmT3_T4_T5_mT6_P12ihipStream_tbENKUlT_T0_E_clISt17integral_constantIbLb1EEST_IbLb0EEEEDaSP_SQ_EUlSP_E0_NS1_11comp_targetILNS1_3genE10ELNS1_11target_archE1200ELNS1_3gpuE4ELNS1_3repE0EEENS1_30default_config_static_selectorELNS0_4arch9wavefront6targetE1EEEvT1_
; %bb.0:
	.section	.rodata,"a",@progbits
	.p2align	6, 0x0
	.amdhsa_kernel _ZN7rocprim17ROCPRIM_400000_NS6detail17trampoline_kernelINS0_14default_configENS1_20scan_config_selectorIjEEZZNS1_9scan_implILNS1_25lookback_scan_determinismE0ELb1ELb1ES3_N6thrust23THRUST_200600_302600_NS6detail15normal_iteratorINS9_10device_ptrIjEEEESE_jNS9_4plusIvEEjEEDaPvRmT3_T4_T5_mT6_P12ihipStream_tbENKUlT_T0_E_clISt17integral_constantIbLb1EEST_IbLb0EEEEDaSP_SQ_EUlSP_E0_NS1_11comp_targetILNS1_3genE10ELNS1_11target_archE1200ELNS1_3gpuE4ELNS1_3repE0EEENS1_30default_config_static_selectorELNS0_4arch9wavefront6targetE1EEEvT1_
		.amdhsa_group_segment_fixed_size 0
		.amdhsa_private_segment_fixed_size 0
		.amdhsa_kernarg_size 32
		.amdhsa_user_sgpr_count 6
		.amdhsa_user_sgpr_private_segment_buffer 1
		.amdhsa_user_sgpr_dispatch_ptr 0
		.amdhsa_user_sgpr_queue_ptr 0
		.amdhsa_user_sgpr_kernarg_segment_ptr 1
		.amdhsa_user_sgpr_dispatch_id 0
		.amdhsa_user_sgpr_flat_scratch_init 0
		.amdhsa_user_sgpr_kernarg_preload_length 0
		.amdhsa_user_sgpr_kernarg_preload_offset 0
		.amdhsa_user_sgpr_private_segment_size 0
		.amdhsa_uses_dynamic_stack 0
		.amdhsa_system_sgpr_private_segment_wavefront_offset 0
		.amdhsa_system_sgpr_workgroup_id_x 1
		.amdhsa_system_sgpr_workgroup_id_y 0
		.amdhsa_system_sgpr_workgroup_id_z 0
		.amdhsa_system_sgpr_workgroup_info 0
		.amdhsa_system_vgpr_workitem_id 0
		.amdhsa_next_free_vgpr 1
		.amdhsa_next_free_sgpr 0
		.amdhsa_accum_offset 4
		.amdhsa_reserve_vcc 0
		.amdhsa_reserve_flat_scratch 0
		.amdhsa_float_round_mode_32 0
		.amdhsa_float_round_mode_16_64 0
		.amdhsa_float_denorm_mode_32 3
		.amdhsa_float_denorm_mode_16_64 3
		.amdhsa_dx10_clamp 1
		.amdhsa_ieee_mode 1
		.amdhsa_fp16_overflow 0
		.amdhsa_tg_split 0
		.amdhsa_exception_fp_ieee_invalid_op 0
		.amdhsa_exception_fp_denorm_src 0
		.amdhsa_exception_fp_ieee_div_zero 0
		.amdhsa_exception_fp_ieee_overflow 0
		.amdhsa_exception_fp_ieee_underflow 0
		.amdhsa_exception_fp_ieee_inexact 0
		.amdhsa_exception_int_div_zero 0
	.end_amdhsa_kernel
	.section	.text._ZN7rocprim17ROCPRIM_400000_NS6detail17trampoline_kernelINS0_14default_configENS1_20scan_config_selectorIjEEZZNS1_9scan_implILNS1_25lookback_scan_determinismE0ELb1ELb1ES3_N6thrust23THRUST_200600_302600_NS6detail15normal_iteratorINS9_10device_ptrIjEEEESE_jNS9_4plusIvEEjEEDaPvRmT3_T4_T5_mT6_P12ihipStream_tbENKUlT_T0_E_clISt17integral_constantIbLb1EEST_IbLb0EEEEDaSP_SQ_EUlSP_E0_NS1_11comp_targetILNS1_3genE10ELNS1_11target_archE1200ELNS1_3gpuE4ELNS1_3repE0EEENS1_30default_config_static_selectorELNS0_4arch9wavefront6targetE1EEEvT1_,"axG",@progbits,_ZN7rocprim17ROCPRIM_400000_NS6detail17trampoline_kernelINS0_14default_configENS1_20scan_config_selectorIjEEZZNS1_9scan_implILNS1_25lookback_scan_determinismE0ELb1ELb1ES3_N6thrust23THRUST_200600_302600_NS6detail15normal_iteratorINS9_10device_ptrIjEEEESE_jNS9_4plusIvEEjEEDaPvRmT3_T4_T5_mT6_P12ihipStream_tbENKUlT_T0_E_clISt17integral_constantIbLb1EEST_IbLb0EEEEDaSP_SQ_EUlSP_E0_NS1_11comp_targetILNS1_3genE10ELNS1_11target_archE1200ELNS1_3gpuE4ELNS1_3repE0EEENS1_30default_config_static_selectorELNS0_4arch9wavefront6targetE1EEEvT1_,comdat
.Lfunc_end4697:
	.size	_ZN7rocprim17ROCPRIM_400000_NS6detail17trampoline_kernelINS0_14default_configENS1_20scan_config_selectorIjEEZZNS1_9scan_implILNS1_25lookback_scan_determinismE0ELb1ELb1ES3_N6thrust23THRUST_200600_302600_NS6detail15normal_iteratorINS9_10device_ptrIjEEEESE_jNS9_4plusIvEEjEEDaPvRmT3_T4_T5_mT6_P12ihipStream_tbENKUlT_T0_E_clISt17integral_constantIbLb1EEST_IbLb0EEEEDaSP_SQ_EUlSP_E0_NS1_11comp_targetILNS1_3genE10ELNS1_11target_archE1200ELNS1_3gpuE4ELNS1_3repE0EEENS1_30default_config_static_selectorELNS0_4arch9wavefront6targetE1EEEvT1_, .Lfunc_end4697-_ZN7rocprim17ROCPRIM_400000_NS6detail17trampoline_kernelINS0_14default_configENS1_20scan_config_selectorIjEEZZNS1_9scan_implILNS1_25lookback_scan_determinismE0ELb1ELb1ES3_N6thrust23THRUST_200600_302600_NS6detail15normal_iteratorINS9_10device_ptrIjEEEESE_jNS9_4plusIvEEjEEDaPvRmT3_T4_T5_mT6_P12ihipStream_tbENKUlT_T0_E_clISt17integral_constantIbLb1EEST_IbLb0EEEEDaSP_SQ_EUlSP_E0_NS1_11comp_targetILNS1_3genE10ELNS1_11target_archE1200ELNS1_3gpuE4ELNS1_3repE0EEENS1_30default_config_static_selectorELNS0_4arch9wavefront6targetE1EEEvT1_
                                        ; -- End function
	.section	.AMDGPU.csdata,"",@progbits
; Kernel info:
; codeLenInByte = 0
; NumSgprs: 4
; NumVgprs: 0
; NumAgprs: 0
; TotalNumVgprs: 0
; ScratchSize: 0
; MemoryBound: 0
; FloatMode: 240
; IeeeMode: 1
; LDSByteSize: 0 bytes/workgroup (compile time only)
; SGPRBlocks: 0
; VGPRBlocks: 0
; NumSGPRsForWavesPerEU: 4
; NumVGPRsForWavesPerEU: 1
; AccumOffset: 4
; Occupancy: 8
; WaveLimiterHint : 0
; COMPUTE_PGM_RSRC2:SCRATCH_EN: 0
; COMPUTE_PGM_RSRC2:USER_SGPR: 6
; COMPUTE_PGM_RSRC2:TRAP_HANDLER: 0
; COMPUTE_PGM_RSRC2:TGID_X_EN: 1
; COMPUTE_PGM_RSRC2:TGID_Y_EN: 0
; COMPUTE_PGM_RSRC2:TGID_Z_EN: 0
; COMPUTE_PGM_RSRC2:TIDIG_COMP_CNT: 0
; COMPUTE_PGM_RSRC3_GFX90A:ACCUM_OFFSET: 0
; COMPUTE_PGM_RSRC3_GFX90A:TG_SPLIT: 0
	.section	.text._ZN7rocprim17ROCPRIM_400000_NS6detail17trampoline_kernelINS0_14default_configENS1_20scan_config_selectorIjEEZZNS1_9scan_implILNS1_25lookback_scan_determinismE0ELb1ELb1ES3_N6thrust23THRUST_200600_302600_NS6detail15normal_iteratorINS9_10device_ptrIjEEEESE_jNS9_4plusIvEEjEEDaPvRmT3_T4_T5_mT6_P12ihipStream_tbENKUlT_T0_E_clISt17integral_constantIbLb1EEST_IbLb0EEEEDaSP_SQ_EUlSP_E0_NS1_11comp_targetILNS1_3genE9ELNS1_11target_archE1100ELNS1_3gpuE3ELNS1_3repE0EEENS1_30default_config_static_selectorELNS0_4arch9wavefront6targetE1EEEvT1_,"axG",@progbits,_ZN7rocprim17ROCPRIM_400000_NS6detail17trampoline_kernelINS0_14default_configENS1_20scan_config_selectorIjEEZZNS1_9scan_implILNS1_25lookback_scan_determinismE0ELb1ELb1ES3_N6thrust23THRUST_200600_302600_NS6detail15normal_iteratorINS9_10device_ptrIjEEEESE_jNS9_4plusIvEEjEEDaPvRmT3_T4_T5_mT6_P12ihipStream_tbENKUlT_T0_E_clISt17integral_constantIbLb1EEST_IbLb0EEEEDaSP_SQ_EUlSP_E0_NS1_11comp_targetILNS1_3genE9ELNS1_11target_archE1100ELNS1_3gpuE3ELNS1_3repE0EEENS1_30default_config_static_selectorELNS0_4arch9wavefront6targetE1EEEvT1_,comdat
	.protected	_ZN7rocprim17ROCPRIM_400000_NS6detail17trampoline_kernelINS0_14default_configENS1_20scan_config_selectorIjEEZZNS1_9scan_implILNS1_25lookback_scan_determinismE0ELb1ELb1ES3_N6thrust23THRUST_200600_302600_NS6detail15normal_iteratorINS9_10device_ptrIjEEEESE_jNS9_4plusIvEEjEEDaPvRmT3_T4_T5_mT6_P12ihipStream_tbENKUlT_T0_E_clISt17integral_constantIbLb1EEST_IbLb0EEEEDaSP_SQ_EUlSP_E0_NS1_11comp_targetILNS1_3genE9ELNS1_11target_archE1100ELNS1_3gpuE3ELNS1_3repE0EEENS1_30default_config_static_selectorELNS0_4arch9wavefront6targetE1EEEvT1_ ; -- Begin function _ZN7rocprim17ROCPRIM_400000_NS6detail17trampoline_kernelINS0_14default_configENS1_20scan_config_selectorIjEEZZNS1_9scan_implILNS1_25lookback_scan_determinismE0ELb1ELb1ES3_N6thrust23THRUST_200600_302600_NS6detail15normal_iteratorINS9_10device_ptrIjEEEESE_jNS9_4plusIvEEjEEDaPvRmT3_T4_T5_mT6_P12ihipStream_tbENKUlT_T0_E_clISt17integral_constantIbLb1EEST_IbLb0EEEEDaSP_SQ_EUlSP_E0_NS1_11comp_targetILNS1_3genE9ELNS1_11target_archE1100ELNS1_3gpuE3ELNS1_3repE0EEENS1_30default_config_static_selectorELNS0_4arch9wavefront6targetE1EEEvT1_
	.globl	_ZN7rocprim17ROCPRIM_400000_NS6detail17trampoline_kernelINS0_14default_configENS1_20scan_config_selectorIjEEZZNS1_9scan_implILNS1_25lookback_scan_determinismE0ELb1ELb1ES3_N6thrust23THRUST_200600_302600_NS6detail15normal_iteratorINS9_10device_ptrIjEEEESE_jNS9_4plusIvEEjEEDaPvRmT3_T4_T5_mT6_P12ihipStream_tbENKUlT_T0_E_clISt17integral_constantIbLb1EEST_IbLb0EEEEDaSP_SQ_EUlSP_E0_NS1_11comp_targetILNS1_3genE9ELNS1_11target_archE1100ELNS1_3gpuE3ELNS1_3repE0EEENS1_30default_config_static_selectorELNS0_4arch9wavefront6targetE1EEEvT1_
	.p2align	8
	.type	_ZN7rocprim17ROCPRIM_400000_NS6detail17trampoline_kernelINS0_14default_configENS1_20scan_config_selectorIjEEZZNS1_9scan_implILNS1_25lookback_scan_determinismE0ELb1ELb1ES3_N6thrust23THRUST_200600_302600_NS6detail15normal_iteratorINS9_10device_ptrIjEEEESE_jNS9_4plusIvEEjEEDaPvRmT3_T4_T5_mT6_P12ihipStream_tbENKUlT_T0_E_clISt17integral_constantIbLb1EEST_IbLb0EEEEDaSP_SQ_EUlSP_E0_NS1_11comp_targetILNS1_3genE9ELNS1_11target_archE1100ELNS1_3gpuE3ELNS1_3repE0EEENS1_30default_config_static_selectorELNS0_4arch9wavefront6targetE1EEEvT1_,@function
_ZN7rocprim17ROCPRIM_400000_NS6detail17trampoline_kernelINS0_14default_configENS1_20scan_config_selectorIjEEZZNS1_9scan_implILNS1_25lookback_scan_determinismE0ELb1ELb1ES3_N6thrust23THRUST_200600_302600_NS6detail15normal_iteratorINS9_10device_ptrIjEEEESE_jNS9_4plusIvEEjEEDaPvRmT3_T4_T5_mT6_P12ihipStream_tbENKUlT_T0_E_clISt17integral_constantIbLb1EEST_IbLb0EEEEDaSP_SQ_EUlSP_E0_NS1_11comp_targetILNS1_3genE9ELNS1_11target_archE1100ELNS1_3gpuE3ELNS1_3repE0EEENS1_30default_config_static_selectorELNS0_4arch9wavefront6targetE1EEEvT1_: ; @_ZN7rocprim17ROCPRIM_400000_NS6detail17trampoline_kernelINS0_14default_configENS1_20scan_config_selectorIjEEZZNS1_9scan_implILNS1_25lookback_scan_determinismE0ELb1ELb1ES3_N6thrust23THRUST_200600_302600_NS6detail15normal_iteratorINS9_10device_ptrIjEEEESE_jNS9_4plusIvEEjEEDaPvRmT3_T4_T5_mT6_P12ihipStream_tbENKUlT_T0_E_clISt17integral_constantIbLb1EEST_IbLb0EEEEDaSP_SQ_EUlSP_E0_NS1_11comp_targetILNS1_3genE9ELNS1_11target_archE1100ELNS1_3gpuE3ELNS1_3repE0EEENS1_30default_config_static_selectorELNS0_4arch9wavefront6targetE1EEEvT1_
; %bb.0:
	.section	.rodata,"a",@progbits
	.p2align	6, 0x0
	.amdhsa_kernel _ZN7rocprim17ROCPRIM_400000_NS6detail17trampoline_kernelINS0_14default_configENS1_20scan_config_selectorIjEEZZNS1_9scan_implILNS1_25lookback_scan_determinismE0ELb1ELb1ES3_N6thrust23THRUST_200600_302600_NS6detail15normal_iteratorINS9_10device_ptrIjEEEESE_jNS9_4plusIvEEjEEDaPvRmT3_T4_T5_mT6_P12ihipStream_tbENKUlT_T0_E_clISt17integral_constantIbLb1EEST_IbLb0EEEEDaSP_SQ_EUlSP_E0_NS1_11comp_targetILNS1_3genE9ELNS1_11target_archE1100ELNS1_3gpuE3ELNS1_3repE0EEENS1_30default_config_static_selectorELNS0_4arch9wavefront6targetE1EEEvT1_
		.amdhsa_group_segment_fixed_size 0
		.amdhsa_private_segment_fixed_size 0
		.amdhsa_kernarg_size 32
		.amdhsa_user_sgpr_count 6
		.amdhsa_user_sgpr_private_segment_buffer 1
		.amdhsa_user_sgpr_dispatch_ptr 0
		.amdhsa_user_sgpr_queue_ptr 0
		.amdhsa_user_sgpr_kernarg_segment_ptr 1
		.amdhsa_user_sgpr_dispatch_id 0
		.amdhsa_user_sgpr_flat_scratch_init 0
		.amdhsa_user_sgpr_kernarg_preload_length 0
		.amdhsa_user_sgpr_kernarg_preload_offset 0
		.amdhsa_user_sgpr_private_segment_size 0
		.amdhsa_uses_dynamic_stack 0
		.amdhsa_system_sgpr_private_segment_wavefront_offset 0
		.amdhsa_system_sgpr_workgroup_id_x 1
		.amdhsa_system_sgpr_workgroup_id_y 0
		.amdhsa_system_sgpr_workgroup_id_z 0
		.amdhsa_system_sgpr_workgroup_info 0
		.amdhsa_system_vgpr_workitem_id 0
		.amdhsa_next_free_vgpr 1
		.amdhsa_next_free_sgpr 0
		.amdhsa_accum_offset 4
		.amdhsa_reserve_vcc 0
		.amdhsa_reserve_flat_scratch 0
		.amdhsa_float_round_mode_32 0
		.amdhsa_float_round_mode_16_64 0
		.amdhsa_float_denorm_mode_32 3
		.amdhsa_float_denorm_mode_16_64 3
		.amdhsa_dx10_clamp 1
		.amdhsa_ieee_mode 1
		.amdhsa_fp16_overflow 0
		.amdhsa_tg_split 0
		.amdhsa_exception_fp_ieee_invalid_op 0
		.amdhsa_exception_fp_denorm_src 0
		.amdhsa_exception_fp_ieee_div_zero 0
		.amdhsa_exception_fp_ieee_overflow 0
		.amdhsa_exception_fp_ieee_underflow 0
		.amdhsa_exception_fp_ieee_inexact 0
		.amdhsa_exception_int_div_zero 0
	.end_amdhsa_kernel
	.section	.text._ZN7rocprim17ROCPRIM_400000_NS6detail17trampoline_kernelINS0_14default_configENS1_20scan_config_selectorIjEEZZNS1_9scan_implILNS1_25lookback_scan_determinismE0ELb1ELb1ES3_N6thrust23THRUST_200600_302600_NS6detail15normal_iteratorINS9_10device_ptrIjEEEESE_jNS9_4plusIvEEjEEDaPvRmT3_T4_T5_mT6_P12ihipStream_tbENKUlT_T0_E_clISt17integral_constantIbLb1EEST_IbLb0EEEEDaSP_SQ_EUlSP_E0_NS1_11comp_targetILNS1_3genE9ELNS1_11target_archE1100ELNS1_3gpuE3ELNS1_3repE0EEENS1_30default_config_static_selectorELNS0_4arch9wavefront6targetE1EEEvT1_,"axG",@progbits,_ZN7rocprim17ROCPRIM_400000_NS6detail17trampoline_kernelINS0_14default_configENS1_20scan_config_selectorIjEEZZNS1_9scan_implILNS1_25lookback_scan_determinismE0ELb1ELb1ES3_N6thrust23THRUST_200600_302600_NS6detail15normal_iteratorINS9_10device_ptrIjEEEESE_jNS9_4plusIvEEjEEDaPvRmT3_T4_T5_mT6_P12ihipStream_tbENKUlT_T0_E_clISt17integral_constantIbLb1EEST_IbLb0EEEEDaSP_SQ_EUlSP_E0_NS1_11comp_targetILNS1_3genE9ELNS1_11target_archE1100ELNS1_3gpuE3ELNS1_3repE0EEENS1_30default_config_static_selectorELNS0_4arch9wavefront6targetE1EEEvT1_,comdat
.Lfunc_end4698:
	.size	_ZN7rocprim17ROCPRIM_400000_NS6detail17trampoline_kernelINS0_14default_configENS1_20scan_config_selectorIjEEZZNS1_9scan_implILNS1_25lookback_scan_determinismE0ELb1ELb1ES3_N6thrust23THRUST_200600_302600_NS6detail15normal_iteratorINS9_10device_ptrIjEEEESE_jNS9_4plusIvEEjEEDaPvRmT3_T4_T5_mT6_P12ihipStream_tbENKUlT_T0_E_clISt17integral_constantIbLb1EEST_IbLb0EEEEDaSP_SQ_EUlSP_E0_NS1_11comp_targetILNS1_3genE9ELNS1_11target_archE1100ELNS1_3gpuE3ELNS1_3repE0EEENS1_30default_config_static_selectorELNS0_4arch9wavefront6targetE1EEEvT1_, .Lfunc_end4698-_ZN7rocprim17ROCPRIM_400000_NS6detail17trampoline_kernelINS0_14default_configENS1_20scan_config_selectorIjEEZZNS1_9scan_implILNS1_25lookback_scan_determinismE0ELb1ELb1ES3_N6thrust23THRUST_200600_302600_NS6detail15normal_iteratorINS9_10device_ptrIjEEEESE_jNS9_4plusIvEEjEEDaPvRmT3_T4_T5_mT6_P12ihipStream_tbENKUlT_T0_E_clISt17integral_constantIbLb1EEST_IbLb0EEEEDaSP_SQ_EUlSP_E0_NS1_11comp_targetILNS1_3genE9ELNS1_11target_archE1100ELNS1_3gpuE3ELNS1_3repE0EEENS1_30default_config_static_selectorELNS0_4arch9wavefront6targetE1EEEvT1_
                                        ; -- End function
	.section	.AMDGPU.csdata,"",@progbits
; Kernel info:
; codeLenInByte = 0
; NumSgprs: 4
; NumVgprs: 0
; NumAgprs: 0
; TotalNumVgprs: 0
; ScratchSize: 0
; MemoryBound: 0
; FloatMode: 240
; IeeeMode: 1
; LDSByteSize: 0 bytes/workgroup (compile time only)
; SGPRBlocks: 0
; VGPRBlocks: 0
; NumSGPRsForWavesPerEU: 4
; NumVGPRsForWavesPerEU: 1
; AccumOffset: 4
; Occupancy: 8
; WaveLimiterHint : 0
; COMPUTE_PGM_RSRC2:SCRATCH_EN: 0
; COMPUTE_PGM_RSRC2:USER_SGPR: 6
; COMPUTE_PGM_RSRC2:TRAP_HANDLER: 0
; COMPUTE_PGM_RSRC2:TGID_X_EN: 1
; COMPUTE_PGM_RSRC2:TGID_Y_EN: 0
; COMPUTE_PGM_RSRC2:TGID_Z_EN: 0
; COMPUTE_PGM_RSRC2:TIDIG_COMP_CNT: 0
; COMPUTE_PGM_RSRC3_GFX90A:ACCUM_OFFSET: 0
; COMPUTE_PGM_RSRC3_GFX90A:TG_SPLIT: 0
	.section	.text._ZN7rocprim17ROCPRIM_400000_NS6detail17trampoline_kernelINS0_14default_configENS1_20scan_config_selectorIjEEZZNS1_9scan_implILNS1_25lookback_scan_determinismE0ELb1ELb1ES3_N6thrust23THRUST_200600_302600_NS6detail15normal_iteratorINS9_10device_ptrIjEEEESE_jNS9_4plusIvEEjEEDaPvRmT3_T4_T5_mT6_P12ihipStream_tbENKUlT_T0_E_clISt17integral_constantIbLb1EEST_IbLb0EEEEDaSP_SQ_EUlSP_E0_NS1_11comp_targetILNS1_3genE8ELNS1_11target_archE1030ELNS1_3gpuE2ELNS1_3repE0EEENS1_30default_config_static_selectorELNS0_4arch9wavefront6targetE1EEEvT1_,"axG",@progbits,_ZN7rocprim17ROCPRIM_400000_NS6detail17trampoline_kernelINS0_14default_configENS1_20scan_config_selectorIjEEZZNS1_9scan_implILNS1_25lookback_scan_determinismE0ELb1ELb1ES3_N6thrust23THRUST_200600_302600_NS6detail15normal_iteratorINS9_10device_ptrIjEEEESE_jNS9_4plusIvEEjEEDaPvRmT3_T4_T5_mT6_P12ihipStream_tbENKUlT_T0_E_clISt17integral_constantIbLb1EEST_IbLb0EEEEDaSP_SQ_EUlSP_E0_NS1_11comp_targetILNS1_3genE8ELNS1_11target_archE1030ELNS1_3gpuE2ELNS1_3repE0EEENS1_30default_config_static_selectorELNS0_4arch9wavefront6targetE1EEEvT1_,comdat
	.protected	_ZN7rocprim17ROCPRIM_400000_NS6detail17trampoline_kernelINS0_14default_configENS1_20scan_config_selectorIjEEZZNS1_9scan_implILNS1_25lookback_scan_determinismE0ELb1ELb1ES3_N6thrust23THRUST_200600_302600_NS6detail15normal_iteratorINS9_10device_ptrIjEEEESE_jNS9_4plusIvEEjEEDaPvRmT3_T4_T5_mT6_P12ihipStream_tbENKUlT_T0_E_clISt17integral_constantIbLb1EEST_IbLb0EEEEDaSP_SQ_EUlSP_E0_NS1_11comp_targetILNS1_3genE8ELNS1_11target_archE1030ELNS1_3gpuE2ELNS1_3repE0EEENS1_30default_config_static_selectorELNS0_4arch9wavefront6targetE1EEEvT1_ ; -- Begin function _ZN7rocprim17ROCPRIM_400000_NS6detail17trampoline_kernelINS0_14default_configENS1_20scan_config_selectorIjEEZZNS1_9scan_implILNS1_25lookback_scan_determinismE0ELb1ELb1ES3_N6thrust23THRUST_200600_302600_NS6detail15normal_iteratorINS9_10device_ptrIjEEEESE_jNS9_4plusIvEEjEEDaPvRmT3_T4_T5_mT6_P12ihipStream_tbENKUlT_T0_E_clISt17integral_constantIbLb1EEST_IbLb0EEEEDaSP_SQ_EUlSP_E0_NS1_11comp_targetILNS1_3genE8ELNS1_11target_archE1030ELNS1_3gpuE2ELNS1_3repE0EEENS1_30default_config_static_selectorELNS0_4arch9wavefront6targetE1EEEvT1_
	.globl	_ZN7rocprim17ROCPRIM_400000_NS6detail17trampoline_kernelINS0_14default_configENS1_20scan_config_selectorIjEEZZNS1_9scan_implILNS1_25lookback_scan_determinismE0ELb1ELb1ES3_N6thrust23THRUST_200600_302600_NS6detail15normal_iteratorINS9_10device_ptrIjEEEESE_jNS9_4plusIvEEjEEDaPvRmT3_T4_T5_mT6_P12ihipStream_tbENKUlT_T0_E_clISt17integral_constantIbLb1EEST_IbLb0EEEEDaSP_SQ_EUlSP_E0_NS1_11comp_targetILNS1_3genE8ELNS1_11target_archE1030ELNS1_3gpuE2ELNS1_3repE0EEENS1_30default_config_static_selectorELNS0_4arch9wavefront6targetE1EEEvT1_
	.p2align	8
	.type	_ZN7rocprim17ROCPRIM_400000_NS6detail17trampoline_kernelINS0_14default_configENS1_20scan_config_selectorIjEEZZNS1_9scan_implILNS1_25lookback_scan_determinismE0ELb1ELb1ES3_N6thrust23THRUST_200600_302600_NS6detail15normal_iteratorINS9_10device_ptrIjEEEESE_jNS9_4plusIvEEjEEDaPvRmT3_T4_T5_mT6_P12ihipStream_tbENKUlT_T0_E_clISt17integral_constantIbLb1EEST_IbLb0EEEEDaSP_SQ_EUlSP_E0_NS1_11comp_targetILNS1_3genE8ELNS1_11target_archE1030ELNS1_3gpuE2ELNS1_3repE0EEENS1_30default_config_static_selectorELNS0_4arch9wavefront6targetE1EEEvT1_,@function
_ZN7rocprim17ROCPRIM_400000_NS6detail17trampoline_kernelINS0_14default_configENS1_20scan_config_selectorIjEEZZNS1_9scan_implILNS1_25lookback_scan_determinismE0ELb1ELb1ES3_N6thrust23THRUST_200600_302600_NS6detail15normal_iteratorINS9_10device_ptrIjEEEESE_jNS9_4plusIvEEjEEDaPvRmT3_T4_T5_mT6_P12ihipStream_tbENKUlT_T0_E_clISt17integral_constantIbLb1EEST_IbLb0EEEEDaSP_SQ_EUlSP_E0_NS1_11comp_targetILNS1_3genE8ELNS1_11target_archE1030ELNS1_3gpuE2ELNS1_3repE0EEENS1_30default_config_static_selectorELNS0_4arch9wavefront6targetE1EEEvT1_: ; @_ZN7rocprim17ROCPRIM_400000_NS6detail17trampoline_kernelINS0_14default_configENS1_20scan_config_selectorIjEEZZNS1_9scan_implILNS1_25lookback_scan_determinismE0ELb1ELb1ES3_N6thrust23THRUST_200600_302600_NS6detail15normal_iteratorINS9_10device_ptrIjEEEESE_jNS9_4plusIvEEjEEDaPvRmT3_T4_T5_mT6_P12ihipStream_tbENKUlT_T0_E_clISt17integral_constantIbLb1EEST_IbLb0EEEEDaSP_SQ_EUlSP_E0_NS1_11comp_targetILNS1_3genE8ELNS1_11target_archE1030ELNS1_3gpuE2ELNS1_3repE0EEENS1_30default_config_static_selectorELNS0_4arch9wavefront6targetE1EEEvT1_
; %bb.0:
	.section	.rodata,"a",@progbits
	.p2align	6, 0x0
	.amdhsa_kernel _ZN7rocprim17ROCPRIM_400000_NS6detail17trampoline_kernelINS0_14default_configENS1_20scan_config_selectorIjEEZZNS1_9scan_implILNS1_25lookback_scan_determinismE0ELb1ELb1ES3_N6thrust23THRUST_200600_302600_NS6detail15normal_iteratorINS9_10device_ptrIjEEEESE_jNS9_4plusIvEEjEEDaPvRmT3_T4_T5_mT6_P12ihipStream_tbENKUlT_T0_E_clISt17integral_constantIbLb1EEST_IbLb0EEEEDaSP_SQ_EUlSP_E0_NS1_11comp_targetILNS1_3genE8ELNS1_11target_archE1030ELNS1_3gpuE2ELNS1_3repE0EEENS1_30default_config_static_selectorELNS0_4arch9wavefront6targetE1EEEvT1_
		.amdhsa_group_segment_fixed_size 0
		.amdhsa_private_segment_fixed_size 0
		.amdhsa_kernarg_size 32
		.amdhsa_user_sgpr_count 6
		.amdhsa_user_sgpr_private_segment_buffer 1
		.amdhsa_user_sgpr_dispatch_ptr 0
		.amdhsa_user_sgpr_queue_ptr 0
		.amdhsa_user_sgpr_kernarg_segment_ptr 1
		.amdhsa_user_sgpr_dispatch_id 0
		.amdhsa_user_sgpr_flat_scratch_init 0
		.amdhsa_user_sgpr_kernarg_preload_length 0
		.amdhsa_user_sgpr_kernarg_preload_offset 0
		.amdhsa_user_sgpr_private_segment_size 0
		.amdhsa_uses_dynamic_stack 0
		.amdhsa_system_sgpr_private_segment_wavefront_offset 0
		.amdhsa_system_sgpr_workgroup_id_x 1
		.amdhsa_system_sgpr_workgroup_id_y 0
		.amdhsa_system_sgpr_workgroup_id_z 0
		.amdhsa_system_sgpr_workgroup_info 0
		.amdhsa_system_vgpr_workitem_id 0
		.amdhsa_next_free_vgpr 1
		.amdhsa_next_free_sgpr 0
		.amdhsa_accum_offset 4
		.amdhsa_reserve_vcc 0
		.amdhsa_reserve_flat_scratch 0
		.amdhsa_float_round_mode_32 0
		.amdhsa_float_round_mode_16_64 0
		.amdhsa_float_denorm_mode_32 3
		.amdhsa_float_denorm_mode_16_64 3
		.amdhsa_dx10_clamp 1
		.amdhsa_ieee_mode 1
		.amdhsa_fp16_overflow 0
		.amdhsa_tg_split 0
		.amdhsa_exception_fp_ieee_invalid_op 0
		.amdhsa_exception_fp_denorm_src 0
		.amdhsa_exception_fp_ieee_div_zero 0
		.amdhsa_exception_fp_ieee_overflow 0
		.amdhsa_exception_fp_ieee_underflow 0
		.amdhsa_exception_fp_ieee_inexact 0
		.amdhsa_exception_int_div_zero 0
	.end_amdhsa_kernel
	.section	.text._ZN7rocprim17ROCPRIM_400000_NS6detail17trampoline_kernelINS0_14default_configENS1_20scan_config_selectorIjEEZZNS1_9scan_implILNS1_25lookback_scan_determinismE0ELb1ELb1ES3_N6thrust23THRUST_200600_302600_NS6detail15normal_iteratorINS9_10device_ptrIjEEEESE_jNS9_4plusIvEEjEEDaPvRmT3_T4_T5_mT6_P12ihipStream_tbENKUlT_T0_E_clISt17integral_constantIbLb1EEST_IbLb0EEEEDaSP_SQ_EUlSP_E0_NS1_11comp_targetILNS1_3genE8ELNS1_11target_archE1030ELNS1_3gpuE2ELNS1_3repE0EEENS1_30default_config_static_selectorELNS0_4arch9wavefront6targetE1EEEvT1_,"axG",@progbits,_ZN7rocprim17ROCPRIM_400000_NS6detail17trampoline_kernelINS0_14default_configENS1_20scan_config_selectorIjEEZZNS1_9scan_implILNS1_25lookback_scan_determinismE0ELb1ELb1ES3_N6thrust23THRUST_200600_302600_NS6detail15normal_iteratorINS9_10device_ptrIjEEEESE_jNS9_4plusIvEEjEEDaPvRmT3_T4_T5_mT6_P12ihipStream_tbENKUlT_T0_E_clISt17integral_constantIbLb1EEST_IbLb0EEEEDaSP_SQ_EUlSP_E0_NS1_11comp_targetILNS1_3genE8ELNS1_11target_archE1030ELNS1_3gpuE2ELNS1_3repE0EEENS1_30default_config_static_selectorELNS0_4arch9wavefront6targetE1EEEvT1_,comdat
.Lfunc_end4699:
	.size	_ZN7rocprim17ROCPRIM_400000_NS6detail17trampoline_kernelINS0_14default_configENS1_20scan_config_selectorIjEEZZNS1_9scan_implILNS1_25lookback_scan_determinismE0ELb1ELb1ES3_N6thrust23THRUST_200600_302600_NS6detail15normal_iteratorINS9_10device_ptrIjEEEESE_jNS9_4plusIvEEjEEDaPvRmT3_T4_T5_mT6_P12ihipStream_tbENKUlT_T0_E_clISt17integral_constantIbLb1EEST_IbLb0EEEEDaSP_SQ_EUlSP_E0_NS1_11comp_targetILNS1_3genE8ELNS1_11target_archE1030ELNS1_3gpuE2ELNS1_3repE0EEENS1_30default_config_static_selectorELNS0_4arch9wavefront6targetE1EEEvT1_, .Lfunc_end4699-_ZN7rocprim17ROCPRIM_400000_NS6detail17trampoline_kernelINS0_14default_configENS1_20scan_config_selectorIjEEZZNS1_9scan_implILNS1_25lookback_scan_determinismE0ELb1ELb1ES3_N6thrust23THRUST_200600_302600_NS6detail15normal_iteratorINS9_10device_ptrIjEEEESE_jNS9_4plusIvEEjEEDaPvRmT3_T4_T5_mT6_P12ihipStream_tbENKUlT_T0_E_clISt17integral_constantIbLb1EEST_IbLb0EEEEDaSP_SQ_EUlSP_E0_NS1_11comp_targetILNS1_3genE8ELNS1_11target_archE1030ELNS1_3gpuE2ELNS1_3repE0EEENS1_30default_config_static_selectorELNS0_4arch9wavefront6targetE1EEEvT1_
                                        ; -- End function
	.section	.AMDGPU.csdata,"",@progbits
; Kernel info:
; codeLenInByte = 0
; NumSgprs: 4
; NumVgprs: 0
; NumAgprs: 0
; TotalNumVgprs: 0
; ScratchSize: 0
; MemoryBound: 0
; FloatMode: 240
; IeeeMode: 1
; LDSByteSize: 0 bytes/workgroup (compile time only)
; SGPRBlocks: 0
; VGPRBlocks: 0
; NumSGPRsForWavesPerEU: 4
; NumVGPRsForWavesPerEU: 1
; AccumOffset: 4
; Occupancy: 8
; WaveLimiterHint : 0
; COMPUTE_PGM_RSRC2:SCRATCH_EN: 0
; COMPUTE_PGM_RSRC2:USER_SGPR: 6
; COMPUTE_PGM_RSRC2:TRAP_HANDLER: 0
; COMPUTE_PGM_RSRC2:TGID_X_EN: 1
; COMPUTE_PGM_RSRC2:TGID_Y_EN: 0
; COMPUTE_PGM_RSRC2:TGID_Z_EN: 0
; COMPUTE_PGM_RSRC2:TIDIG_COMP_CNT: 0
; COMPUTE_PGM_RSRC3_GFX90A:ACCUM_OFFSET: 0
; COMPUTE_PGM_RSRC3_GFX90A:TG_SPLIT: 0
	.section	.text._ZN7rocprim17ROCPRIM_400000_NS6detail17trampoline_kernelINS0_14default_configENS1_20scan_config_selectorIjEEZZNS1_9scan_implILNS1_25lookback_scan_determinismE0ELb1ELb1ES3_N6thrust23THRUST_200600_302600_NS6detail15normal_iteratorINS9_10device_ptrIjEEEESE_jNS9_4plusIvEEjEEDaPvRmT3_T4_T5_mT6_P12ihipStream_tbENKUlT_T0_E_clISt17integral_constantIbLb0EEST_IbLb1EEEEDaSP_SQ_EUlSP_E_NS1_11comp_targetILNS1_3genE0ELNS1_11target_archE4294967295ELNS1_3gpuE0ELNS1_3repE0EEENS1_30default_config_static_selectorELNS0_4arch9wavefront6targetE1EEEvT1_,"axG",@progbits,_ZN7rocprim17ROCPRIM_400000_NS6detail17trampoline_kernelINS0_14default_configENS1_20scan_config_selectorIjEEZZNS1_9scan_implILNS1_25lookback_scan_determinismE0ELb1ELb1ES3_N6thrust23THRUST_200600_302600_NS6detail15normal_iteratorINS9_10device_ptrIjEEEESE_jNS9_4plusIvEEjEEDaPvRmT3_T4_T5_mT6_P12ihipStream_tbENKUlT_T0_E_clISt17integral_constantIbLb0EEST_IbLb1EEEEDaSP_SQ_EUlSP_E_NS1_11comp_targetILNS1_3genE0ELNS1_11target_archE4294967295ELNS1_3gpuE0ELNS1_3repE0EEENS1_30default_config_static_selectorELNS0_4arch9wavefront6targetE1EEEvT1_,comdat
	.protected	_ZN7rocprim17ROCPRIM_400000_NS6detail17trampoline_kernelINS0_14default_configENS1_20scan_config_selectorIjEEZZNS1_9scan_implILNS1_25lookback_scan_determinismE0ELb1ELb1ES3_N6thrust23THRUST_200600_302600_NS6detail15normal_iteratorINS9_10device_ptrIjEEEESE_jNS9_4plusIvEEjEEDaPvRmT3_T4_T5_mT6_P12ihipStream_tbENKUlT_T0_E_clISt17integral_constantIbLb0EEST_IbLb1EEEEDaSP_SQ_EUlSP_E_NS1_11comp_targetILNS1_3genE0ELNS1_11target_archE4294967295ELNS1_3gpuE0ELNS1_3repE0EEENS1_30default_config_static_selectorELNS0_4arch9wavefront6targetE1EEEvT1_ ; -- Begin function _ZN7rocprim17ROCPRIM_400000_NS6detail17trampoline_kernelINS0_14default_configENS1_20scan_config_selectorIjEEZZNS1_9scan_implILNS1_25lookback_scan_determinismE0ELb1ELb1ES3_N6thrust23THRUST_200600_302600_NS6detail15normal_iteratorINS9_10device_ptrIjEEEESE_jNS9_4plusIvEEjEEDaPvRmT3_T4_T5_mT6_P12ihipStream_tbENKUlT_T0_E_clISt17integral_constantIbLb0EEST_IbLb1EEEEDaSP_SQ_EUlSP_E_NS1_11comp_targetILNS1_3genE0ELNS1_11target_archE4294967295ELNS1_3gpuE0ELNS1_3repE0EEENS1_30default_config_static_selectorELNS0_4arch9wavefront6targetE1EEEvT1_
	.globl	_ZN7rocprim17ROCPRIM_400000_NS6detail17trampoline_kernelINS0_14default_configENS1_20scan_config_selectorIjEEZZNS1_9scan_implILNS1_25lookback_scan_determinismE0ELb1ELb1ES3_N6thrust23THRUST_200600_302600_NS6detail15normal_iteratorINS9_10device_ptrIjEEEESE_jNS9_4plusIvEEjEEDaPvRmT3_T4_T5_mT6_P12ihipStream_tbENKUlT_T0_E_clISt17integral_constantIbLb0EEST_IbLb1EEEEDaSP_SQ_EUlSP_E_NS1_11comp_targetILNS1_3genE0ELNS1_11target_archE4294967295ELNS1_3gpuE0ELNS1_3repE0EEENS1_30default_config_static_selectorELNS0_4arch9wavefront6targetE1EEEvT1_
	.p2align	8
	.type	_ZN7rocprim17ROCPRIM_400000_NS6detail17trampoline_kernelINS0_14default_configENS1_20scan_config_selectorIjEEZZNS1_9scan_implILNS1_25lookback_scan_determinismE0ELb1ELb1ES3_N6thrust23THRUST_200600_302600_NS6detail15normal_iteratorINS9_10device_ptrIjEEEESE_jNS9_4plusIvEEjEEDaPvRmT3_T4_T5_mT6_P12ihipStream_tbENKUlT_T0_E_clISt17integral_constantIbLb0EEST_IbLb1EEEEDaSP_SQ_EUlSP_E_NS1_11comp_targetILNS1_3genE0ELNS1_11target_archE4294967295ELNS1_3gpuE0ELNS1_3repE0EEENS1_30default_config_static_selectorELNS0_4arch9wavefront6targetE1EEEvT1_,@function
_ZN7rocprim17ROCPRIM_400000_NS6detail17trampoline_kernelINS0_14default_configENS1_20scan_config_selectorIjEEZZNS1_9scan_implILNS1_25lookback_scan_determinismE0ELb1ELb1ES3_N6thrust23THRUST_200600_302600_NS6detail15normal_iteratorINS9_10device_ptrIjEEEESE_jNS9_4plusIvEEjEEDaPvRmT3_T4_T5_mT6_P12ihipStream_tbENKUlT_T0_E_clISt17integral_constantIbLb0EEST_IbLb1EEEEDaSP_SQ_EUlSP_E_NS1_11comp_targetILNS1_3genE0ELNS1_11target_archE4294967295ELNS1_3gpuE0ELNS1_3repE0EEENS1_30default_config_static_selectorELNS0_4arch9wavefront6targetE1EEEvT1_: ; @_ZN7rocprim17ROCPRIM_400000_NS6detail17trampoline_kernelINS0_14default_configENS1_20scan_config_selectorIjEEZZNS1_9scan_implILNS1_25lookback_scan_determinismE0ELb1ELb1ES3_N6thrust23THRUST_200600_302600_NS6detail15normal_iteratorINS9_10device_ptrIjEEEESE_jNS9_4plusIvEEjEEDaPvRmT3_T4_T5_mT6_P12ihipStream_tbENKUlT_T0_E_clISt17integral_constantIbLb0EEST_IbLb1EEEEDaSP_SQ_EUlSP_E_NS1_11comp_targetILNS1_3genE0ELNS1_11target_archE4294967295ELNS1_3gpuE0ELNS1_3repE0EEENS1_30default_config_static_selectorELNS0_4arch9wavefront6targetE1EEEvT1_
; %bb.0:
	.section	.rodata,"a",@progbits
	.p2align	6, 0x0
	.amdhsa_kernel _ZN7rocprim17ROCPRIM_400000_NS6detail17trampoline_kernelINS0_14default_configENS1_20scan_config_selectorIjEEZZNS1_9scan_implILNS1_25lookback_scan_determinismE0ELb1ELb1ES3_N6thrust23THRUST_200600_302600_NS6detail15normal_iteratorINS9_10device_ptrIjEEEESE_jNS9_4plusIvEEjEEDaPvRmT3_T4_T5_mT6_P12ihipStream_tbENKUlT_T0_E_clISt17integral_constantIbLb0EEST_IbLb1EEEEDaSP_SQ_EUlSP_E_NS1_11comp_targetILNS1_3genE0ELNS1_11target_archE4294967295ELNS1_3gpuE0ELNS1_3repE0EEENS1_30default_config_static_selectorELNS0_4arch9wavefront6targetE1EEEvT1_
		.amdhsa_group_segment_fixed_size 0
		.amdhsa_private_segment_fixed_size 0
		.amdhsa_kernarg_size 96
		.amdhsa_user_sgpr_count 6
		.amdhsa_user_sgpr_private_segment_buffer 1
		.amdhsa_user_sgpr_dispatch_ptr 0
		.amdhsa_user_sgpr_queue_ptr 0
		.amdhsa_user_sgpr_kernarg_segment_ptr 1
		.amdhsa_user_sgpr_dispatch_id 0
		.amdhsa_user_sgpr_flat_scratch_init 0
		.amdhsa_user_sgpr_kernarg_preload_length 0
		.amdhsa_user_sgpr_kernarg_preload_offset 0
		.amdhsa_user_sgpr_private_segment_size 0
		.amdhsa_uses_dynamic_stack 0
		.amdhsa_system_sgpr_private_segment_wavefront_offset 0
		.amdhsa_system_sgpr_workgroup_id_x 1
		.amdhsa_system_sgpr_workgroup_id_y 0
		.amdhsa_system_sgpr_workgroup_id_z 0
		.amdhsa_system_sgpr_workgroup_info 0
		.amdhsa_system_vgpr_workitem_id 0
		.amdhsa_next_free_vgpr 1
		.amdhsa_next_free_sgpr 0
		.amdhsa_accum_offset 4
		.amdhsa_reserve_vcc 0
		.amdhsa_reserve_flat_scratch 0
		.amdhsa_float_round_mode_32 0
		.amdhsa_float_round_mode_16_64 0
		.amdhsa_float_denorm_mode_32 3
		.amdhsa_float_denorm_mode_16_64 3
		.amdhsa_dx10_clamp 1
		.amdhsa_ieee_mode 1
		.amdhsa_fp16_overflow 0
		.amdhsa_tg_split 0
		.amdhsa_exception_fp_ieee_invalid_op 0
		.amdhsa_exception_fp_denorm_src 0
		.amdhsa_exception_fp_ieee_div_zero 0
		.amdhsa_exception_fp_ieee_overflow 0
		.amdhsa_exception_fp_ieee_underflow 0
		.amdhsa_exception_fp_ieee_inexact 0
		.amdhsa_exception_int_div_zero 0
	.end_amdhsa_kernel
	.section	.text._ZN7rocprim17ROCPRIM_400000_NS6detail17trampoline_kernelINS0_14default_configENS1_20scan_config_selectorIjEEZZNS1_9scan_implILNS1_25lookback_scan_determinismE0ELb1ELb1ES3_N6thrust23THRUST_200600_302600_NS6detail15normal_iteratorINS9_10device_ptrIjEEEESE_jNS9_4plusIvEEjEEDaPvRmT3_T4_T5_mT6_P12ihipStream_tbENKUlT_T0_E_clISt17integral_constantIbLb0EEST_IbLb1EEEEDaSP_SQ_EUlSP_E_NS1_11comp_targetILNS1_3genE0ELNS1_11target_archE4294967295ELNS1_3gpuE0ELNS1_3repE0EEENS1_30default_config_static_selectorELNS0_4arch9wavefront6targetE1EEEvT1_,"axG",@progbits,_ZN7rocprim17ROCPRIM_400000_NS6detail17trampoline_kernelINS0_14default_configENS1_20scan_config_selectorIjEEZZNS1_9scan_implILNS1_25lookback_scan_determinismE0ELb1ELb1ES3_N6thrust23THRUST_200600_302600_NS6detail15normal_iteratorINS9_10device_ptrIjEEEESE_jNS9_4plusIvEEjEEDaPvRmT3_T4_T5_mT6_P12ihipStream_tbENKUlT_T0_E_clISt17integral_constantIbLb0EEST_IbLb1EEEEDaSP_SQ_EUlSP_E_NS1_11comp_targetILNS1_3genE0ELNS1_11target_archE4294967295ELNS1_3gpuE0ELNS1_3repE0EEENS1_30default_config_static_selectorELNS0_4arch9wavefront6targetE1EEEvT1_,comdat
.Lfunc_end4700:
	.size	_ZN7rocprim17ROCPRIM_400000_NS6detail17trampoline_kernelINS0_14default_configENS1_20scan_config_selectorIjEEZZNS1_9scan_implILNS1_25lookback_scan_determinismE0ELb1ELb1ES3_N6thrust23THRUST_200600_302600_NS6detail15normal_iteratorINS9_10device_ptrIjEEEESE_jNS9_4plusIvEEjEEDaPvRmT3_T4_T5_mT6_P12ihipStream_tbENKUlT_T0_E_clISt17integral_constantIbLb0EEST_IbLb1EEEEDaSP_SQ_EUlSP_E_NS1_11comp_targetILNS1_3genE0ELNS1_11target_archE4294967295ELNS1_3gpuE0ELNS1_3repE0EEENS1_30default_config_static_selectorELNS0_4arch9wavefront6targetE1EEEvT1_, .Lfunc_end4700-_ZN7rocprim17ROCPRIM_400000_NS6detail17trampoline_kernelINS0_14default_configENS1_20scan_config_selectorIjEEZZNS1_9scan_implILNS1_25lookback_scan_determinismE0ELb1ELb1ES3_N6thrust23THRUST_200600_302600_NS6detail15normal_iteratorINS9_10device_ptrIjEEEESE_jNS9_4plusIvEEjEEDaPvRmT3_T4_T5_mT6_P12ihipStream_tbENKUlT_T0_E_clISt17integral_constantIbLb0EEST_IbLb1EEEEDaSP_SQ_EUlSP_E_NS1_11comp_targetILNS1_3genE0ELNS1_11target_archE4294967295ELNS1_3gpuE0ELNS1_3repE0EEENS1_30default_config_static_selectorELNS0_4arch9wavefront6targetE1EEEvT1_
                                        ; -- End function
	.section	.AMDGPU.csdata,"",@progbits
; Kernel info:
; codeLenInByte = 0
; NumSgprs: 4
; NumVgprs: 0
; NumAgprs: 0
; TotalNumVgprs: 0
; ScratchSize: 0
; MemoryBound: 0
; FloatMode: 240
; IeeeMode: 1
; LDSByteSize: 0 bytes/workgroup (compile time only)
; SGPRBlocks: 0
; VGPRBlocks: 0
; NumSGPRsForWavesPerEU: 4
; NumVGPRsForWavesPerEU: 1
; AccumOffset: 4
; Occupancy: 8
; WaveLimiterHint : 0
; COMPUTE_PGM_RSRC2:SCRATCH_EN: 0
; COMPUTE_PGM_RSRC2:USER_SGPR: 6
; COMPUTE_PGM_RSRC2:TRAP_HANDLER: 0
; COMPUTE_PGM_RSRC2:TGID_X_EN: 1
; COMPUTE_PGM_RSRC2:TGID_Y_EN: 0
; COMPUTE_PGM_RSRC2:TGID_Z_EN: 0
; COMPUTE_PGM_RSRC2:TIDIG_COMP_CNT: 0
; COMPUTE_PGM_RSRC3_GFX90A:ACCUM_OFFSET: 0
; COMPUTE_PGM_RSRC3_GFX90A:TG_SPLIT: 0
	.section	.text._ZN7rocprim17ROCPRIM_400000_NS6detail17trampoline_kernelINS0_14default_configENS1_20scan_config_selectorIjEEZZNS1_9scan_implILNS1_25lookback_scan_determinismE0ELb1ELb1ES3_N6thrust23THRUST_200600_302600_NS6detail15normal_iteratorINS9_10device_ptrIjEEEESE_jNS9_4plusIvEEjEEDaPvRmT3_T4_T5_mT6_P12ihipStream_tbENKUlT_T0_E_clISt17integral_constantIbLb0EEST_IbLb1EEEEDaSP_SQ_EUlSP_E_NS1_11comp_targetILNS1_3genE5ELNS1_11target_archE942ELNS1_3gpuE9ELNS1_3repE0EEENS1_30default_config_static_selectorELNS0_4arch9wavefront6targetE1EEEvT1_,"axG",@progbits,_ZN7rocprim17ROCPRIM_400000_NS6detail17trampoline_kernelINS0_14default_configENS1_20scan_config_selectorIjEEZZNS1_9scan_implILNS1_25lookback_scan_determinismE0ELb1ELb1ES3_N6thrust23THRUST_200600_302600_NS6detail15normal_iteratorINS9_10device_ptrIjEEEESE_jNS9_4plusIvEEjEEDaPvRmT3_T4_T5_mT6_P12ihipStream_tbENKUlT_T0_E_clISt17integral_constantIbLb0EEST_IbLb1EEEEDaSP_SQ_EUlSP_E_NS1_11comp_targetILNS1_3genE5ELNS1_11target_archE942ELNS1_3gpuE9ELNS1_3repE0EEENS1_30default_config_static_selectorELNS0_4arch9wavefront6targetE1EEEvT1_,comdat
	.protected	_ZN7rocprim17ROCPRIM_400000_NS6detail17trampoline_kernelINS0_14default_configENS1_20scan_config_selectorIjEEZZNS1_9scan_implILNS1_25lookback_scan_determinismE0ELb1ELb1ES3_N6thrust23THRUST_200600_302600_NS6detail15normal_iteratorINS9_10device_ptrIjEEEESE_jNS9_4plusIvEEjEEDaPvRmT3_T4_T5_mT6_P12ihipStream_tbENKUlT_T0_E_clISt17integral_constantIbLb0EEST_IbLb1EEEEDaSP_SQ_EUlSP_E_NS1_11comp_targetILNS1_3genE5ELNS1_11target_archE942ELNS1_3gpuE9ELNS1_3repE0EEENS1_30default_config_static_selectorELNS0_4arch9wavefront6targetE1EEEvT1_ ; -- Begin function _ZN7rocprim17ROCPRIM_400000_NS6detail17trampoline_kernelINS0_14default_configENS1_20scan_config_selectorIjEEZZNS1_9scan_implILNS1_25lookback_scan_determinismE0ELb1ELb1ES3_N6thrust23THRUST_200600_302600_NS6detail15normal_iteratorINS9_10device_ptrIjEEEESE_jNS9_4plusIvEEjEEDaPvRmT3_T4_T5_mT6_P12ihipStream_tbENKUlT_T0_E_clISt17integral_constantIbLb0EEST_IbLb1EEEEDaSP_SQ_EUlSP_E_NS1_11comp_targetILNS1_3genE5ELNS1_11target_archE942ELNS1_3gpuE9ELNS1_3repE0EEENS1_30default_config_static_selectorELNS0_4arch9wavefront6targetE1EEEvT1_
	.globl	_ZN7rocprim17ROCPRIM_400000_NS6detail17trampoline_kernelINS0_14default_configENS1_20scan_config_selectorIjEEZZNS1_9scan_implILNS1_25lookback_scan_determinismE0ELb1ELb1ES3_N6thrust23THRUST_200600_302600_NS6detail15normal_iteratorINS9_10device_ptrIjEEEESE_jNS9_4plusIvEEjEEDaPvRmT3_T4_T5_mT6_P12ihipStream_tbENKUlT_T0_E_clISt17integral_constantIbLb0EEST_IbLb1EEEEDaSP_SQ_EUlSP_E_NS1_11comp_targetILNS1_3genE5ELNS1_11target_archE942ELNS1_3gpuE9ELNS1_3repE0EEENS1_30default_config_static_selectorELNS0_4arch9wavefront6targetE1EEEvT1_
	.p2align	8
	.type	_ZN7rocprim17ROCPRIM_400000_NS6detail17trampoline_kernelINS0_14default_configENS1_20scan_config_selectorIjEEZZNS1_9scan_implILNS1_25lookback_scan_determinismE0ELb1ELb1ES3_N6thrust23THRUST_200600_302600_NS6detail15normal_iteratorINS9_10device_ptrIjEEEESE_jNS9_4plusIvEEjEEDaPvRmT3_T4_T5_mT6_P12ihipStream_tbENKUlT_T0_E_clISt17integral_constantIbLb0EEST_IbLb1EEEEDaSP_SQ_EUlSP_E_NS1_11comp_targetILNS1_3genE5ELNS1_11target_archE942ELNS1_3gpuE9ELNS1_3repE0EEENS1_30default_config_static_selectorELNS0_4arch9wavefront6targetE1EEEvT1_,@function
_ZN7rocprim17ROCPRIM_400000_NS6detail17trampoline_kernelINS0_14default_configENS1_20scan_config_selectorIjEEZZNS1_9scan_implILNS1_25lookback_scan_determinismE0ELb1ELb1ES3_N6thrust23THRUST_200600_302600_NS6detail15normal_iteratorINS9_10device_ptrIjEEEESE_jNS9_4plusIvEEjEEDaPvRmT3_T4_T5_mT6_P12ihipStream_tbENKUlT_T0_E_clISt17integral_constantIbLb0EEST_IbLb1EEEEDaSP_SQ_EUlSP_E_NS1_11comp_targetILNS1_3genE5ELNS1_11target_archE942ELNS1_3gpuE9ELNS1_3repE0EEENS1_30default_config_static_selectorELNS0_4arch9wavefront6targetE1EEEvT1_: ; @_ZN7rocprim17ROCPRIM_400000_NS6detail17trampoline_kernelINS0_14default_configENS1_20scan_config_selectorIjEEZZNS1_9scan_implILNS1_25lookback_scan_determinismE0ELb1ELb1ES3_N6thrust23THRUST_200600_302600_NS6detail15normal_iteratorINS9_10device_ptrIjEEEESE_jNS9_4plusIvEEjEEDaPvRmT3_T4_T5_mT6_P12ihipStream_tbENKUlT_T0_E_clISt17integral_constantIbLb0EEST_IbLb1EEEEDaSP_SQ_EUlSP_E_NS1_11comp_targetILNS1_3genE5ELNS1_11target_archE942ELNS1_3gpuE9ELNS1_3repE0EEENS1_30default_config_static_selectorELNS0_4arch9wavefront6targetE1EEEvT1_
; %bb.0:
	.section	.rodata,"a",@progbits
	.p2align	6, 0x0
	.amdhsa_kernel _ZN7rocprim17ROCPRIM_400000_NS6detail17trampoline_kernelINS0_14default_configENS1_20scan_config_selectorIjEEZZNS1_9scan_implILNS1_25lookback_scan_determinismE0ELb1ELb1ES3_N6thrust23THRUST_200600_302600_NS6detail15normal_iteratorINS9_10device_ptrIjEEEESE_jNS9_4plusIvEEjEEDaPvRmT3_T4_T5_mT6_P12ihipStream_tbENKUlT_T0_E_clISt17integral_constantIbLb0EEST_IbLb1EEEEDaSP_SQ_EUlSP_E_NS1_11comp_targetILNS1_3genE5ELNS1_11target_archE942ELNS1_3gpuE9ELNS1_3repE0EEENS1_30default_config_static_selectorELNS0_4arch9wavefront6targetE1EEEvT1_
		.amdhsa_group_segment_fixed_size 0
		.amdhsa_private_segment_fixed_size 0
		.amdhsa_kernarg_size 96
		.amdhsa_user_sgpr_count 6
		.amdhsa_user_sgpr_private_segment_buffer 1
		.amdhsa_user_sgpr_dispatch_ptr 0
		.amdhsa_user_sgpr_queue_ptr 0
		.amdhsa_user_sgpr_kernarg_segment_ptr 1
		.amdhsa_user_sgpr_dispatch_id 0
		.amdhsa_user_sgpr_flat_scratch_init 0
		.amdhsa_user_sgpr_kernarg_preload_length 0
		.amdhsa_user_sgpr_kernarg_preload_offset 0
		.amdhsa_user_sgpr_private_segment_size 0
		.amdhsa_uses_dynamic_stack 0
		.amdhsa_system_sgpr_private_segment_wavefront_offset 0
		.amdhsa_system_sgpr_workgroup_id_x 1
		.amdhsa_system_sgpr_workgroup_id_y 0
		.amdhsa_system_sgpr_workgroup_id_z 0
		.amdhsa_system_sgpr_workgroup_info 0
		.amdhsa_system_vgpr_workitem_id 0
		.amdhsa_next_free_vgpr 1
		.amdhsa_next_free_sgpr 0
		.amdhsa_accum_offset 4
		.amdhsa_reserve_vcc 0
		.amdhsa_reserve_flat_scratch 0
		.amdhsa_float_round_mode_32 0
		.amdhsa_float_round_mode_16_64 0
		.amdhsa_float_denorm_mode_32 3
		.amdhsa_float_denorm_mode_16_64 3
		.amdhsa_dx10_clamp 1
		.amdhsa_ieee_mode 1
		.amdhsa_fp16_overflow 0
		.amdhsa_tg_split 0
		.amdhsa_exception_fp_ieee_invalid_op 0
		.amdhsa_exception_fp_denorm_src 0
		.amdhsa_exception_fp_ieee_div_zero 0
		.amdhsa_exception_fp_ieee_overflow 0
		.amdhsa_exception_fp_ieee_underflow 0
		.amdhsa_exception_fp_ieee_inexact 0
		.amdhsa_exception_int_div_zero 0
	.end_amdhsa_kernel
	.section	.text._ZN7rocprim17ROCPRIM_400000_NS6detail17trampoline_kernelINS0_14default_configENS1_20scan_config_selectorIjEEZZNS1_9scan_implILNS1_25lookback_scan_determinismE0ELb1ELb1ES3_N6thrust23THRUST_200600_302600_NS6detail15normal_iteratorINS9_10device_ptrIjEEEESE_jNS9_4plusIvEEjEEDaPvRmT3_T4_T5_mT6_P12ihipStream_tbENKUlT_T0_E_clISt17integral_constantIbLb0EEST_IbLb1EEEEDaSP_SQ_EUlSP_E_NS1_11comp_targetILNS1_3genE5ELNS1_11target_archE942ELNS1_3gpuE9ELNS1_3repE0EEENS1_30default_config_static_selectorELNS0_4arch9wavefront6targetE1EEEvT1_,"axG",@progbits,_ZN7rocprim17ROCPRIM_400000_NS6detail17trampoline_kernelINS0_14default_configENS1_20scan_config_selectorIjEEZZNS1_9scan_implILNS1_25lookback_scan_determinismE0ELb1ELb1ES3_N6thrust23THRUST_200600_302600_NS6detail15normal_iteratorINS9_10device_ptrIjEEEESE_jNS9_4plusIvEEjEEDaPvRmT3_T4_T5_mT6_P12ihipStream_tbENKUlT_T0_E_clISt17integral_constantIbLb0EEST_IbLb1EEEEDaSP_SQ_EUlSP_E_NS1_11comp_targetILNS1_3genE5ELNS1_11target_archE942ELNS1_3gpuE9ELNS1_3repE0EEENS1_30default_config_static_selectorELNS0_4arch9wavefront6targetE1EEEvT1_,comdat
.Lfunc_end4701:
	.size	_ZN7rocprim17ROCPRIM_400000_NS6detail17trampoline_kernelINS0_14default_configENS1_20scan_config_selectorIjEEZZNS1_9scan_implILNS1_25lookback_scan_determinismE0ELb1ELb1ES3_N6thrust23THRUST_200600_302600_NS6detail15normal_iteratorINS9_10device_ptrIjEEEESE_jNS9_4plusIvEEjEEDaPvRmT3_T4_T5_mT6_P12ihipStream_tbENKUlT_T0_E_clISt17integral_constantIbLb0EEST_IbLb1EEEEDaSP_SQ_EUlSP_E_NS1_11comp_targetILNS1_3genE5ELNS1_11target_archE942ELNS1_3gpuE9ELNS1_3repE0EEENS1_30default_config_static_selectorELNS0_4arch9wavefront6targetE1EEEvT1_, .Lfunc_end4701-_ZN7rocprim17ROCPRIM_400000_NS6detail17trampoline_kernelINS0_14default_configENS1_20scan_config_selectorIjEEZZNS1_9scan_implILNS1_25lookback_scan_determinismE0ELb1ELb1ES3_N6thrust23THRUST_200600_302600_NS6detail15normal_iteratorINS9_10device_ptrIjEEEESE_jNS9_4plusIvEEjEEDaPvRmT3_T4_T5_mT6_P12ihipStream_tbENKUlT_T0_E_clISt17integral_constantIbLb0EEST_IbLb1EEEEDaSP_SQ_EUlSP_E_NS1_11comp_targetILNS1_3genE5ELNS1_11target_archE942ELNS1_3gpuE9ELNS1_3repE0EEENS1_30default_config_static_selectorELNS0_4arch9wavefront6targetE1EEEvT1_
                                        ; -- End function
	.section	.AMDGPU.csdata,"",@progbits
; Kernel info:
; codeLenInByte = 0
; NumSgprs: 4
; NumVgprs: 0
; NumAgprs: 0
; TotalNumVgprs: 0
; ScratchSize: 0
; MemoryBound: 0
; FloatMode: 240
; IeeeMode: 1
; LDSByteSize: 0 bytes/workgroup (compile time only)
; SGPRBlocks: 0
; VGPRBlocks: 0
; NumSGPRsForWavesPerEU: 4
; NumVGPRsForWavesPerEU: 1
; AccumOffset: 4
; Occupancy: 8
; WaveLimiterHint : 0
; COMPUTE_PGM_RSRC2:SCRATCH_EN: 0
; COMPUTE_PGM_RSRC2:USER_SGPR: 6
; COMPUTE_PGM_RSRC2:TRAP_HANDLER: 0
; COMPUTE_PGM_RSRC2:TGID_X_EN: 1
; COMPUTE_PGM_RSRC2:TGID_Y_EN: 0
; COMPUTE_PGM_RSRC2:TGID_Z_EN: 0
; COMPUTE_PGM_RSRC2:TIDIG_COMP_CNT: 0
; COMPUTE_PGM_RSRC3_GFX90A:ACCUM_OFFSET: 0
; COMPUTE_PGM_RSRC3_GFX90A:TG_SPLIT: 0
	.section	.text._ZN7rocprim17ROCPRIM_400000_NS6detail17trampoline_kernelINS0_14default_configENS1_20scan_config_selectorIjEEZZNS1_9scan_implILNS1_25lookback_scan_determinismE0ELb1ELb1ES3_N6thrust23THRUST_200600_302600_NS6detail15normal_iteratorINS9_10device_ptrIjEEEESE_jNS9_4plusIvEEjEEDaPvRmT3_T4_T5_mT6_P12ihipStream_tbENKUlT_T0_E_clISt17integral_constantIbLb0EEST_IbLb1EEEEDaSP_SQ_EUlSP_E_NS1_11comp_targetILNS1_3genE4ELNS1_11target_archE910ELNS1_3gpuE8ELNS1_3repE0EEENS1_30default_config_static_selectorELNS0_4arch9wavefront6targetE1EEEvT1_,"axG",@progbits,_ZN7rocprim17ROCPRIM_400000_NS6detail17trampoline_kernelINS0_14default_configENS1_20scan_config_selectorIjEEZZNS1_9scan_implILNS1_25lookback_scan_determinismE0ELb1ELb1ES3_N6thrust23THRUST_200600_302600_NS6detail15normal_iteratorINS9_10device_ptrIjEEEESE_jNS9_4plusIvEEjEEDaPvRmT3_T4_T5_mT6_P12ihipStream_tbENKUlT_T0_E_clISt17integral_constantIbLb0EEST_IbLb1EEEEDaSP_SQ_EUlSP_E_NS1_11comp_targetILNS1_3genE4ELNS1_11target_archE910ELNS1_3gpuE8ELNS1_3repE0EEENS1_30default_config_static_selectorELNS0_4arch9wavefront6targetE1EEEvT1_,comdat
	.protected	_ZN7rocprim17ROCPRIM_400000_NS6detail17trampoline_kernelINS0_14default_configENS1_20scan_config_selectorIjEEZZNS1_9scan_implILNS1_25lookback_scan_determinismE0ELb1ELb1ES3_N6thrust23THRUST_200600_302600_NS6detail15normal_iteratorINS9_10device_ptrIjEEEESE_jNS9_4plusIvEEjEEDaPvRmT3_T4_T5_mT6_P12ihipStream_tbENKUlT_T0_E_clISt17integral_constantIbLb0EEST_IbLb1EEEEDaSP_SQ_EUlSP_E_NS1_11comp_targetILNS1_3genE4ELNS1_11target_archE910ELNS1_3gpuE8ELNS1_3repE0EEENS1_30default_config_static_selectorELNS0_4arch9wavefront6targetE1EEEvT1_ ; -- Begin function _ZN7rocprim17ROCPRIM_400000_NS6detail17trampoline_kernelINS0_14default_configENS1_20scan_config_selectorIjEEZZNS1_9scan_implILNS1_25lookback_scan_determinismE0ELb1ELb1ES3_N6thrust23THRUST_200600_302600_NS6detail15normal_iteratorINS9_10device_ptrIjEEEESE_jNS9_4plusIvEEjEEDaPvRmT3_T4_T5_mT6_P12ihipStream_tbENKUlT_T0_E_clISt17integral_constantIbLb0EEST_IbLb1EEEEDaSP_SQ_EUlSP_E_NS1_11comp_targetILNS1_3genE4ELNS1_11target_archE910ELNS1_3gpuE8ELNS1_3repE0EEENS1_30default_config_static_selectorELNS0_4arch9wavefront6targetE1EEEvT1_
	.globl	_ZN7rocprim17ROCPRIM_400000_NS6detail17trampoline_kernelINS0_14default_configENS1_20scan_config_selectorIjEEZZNS1_9scan_implILNS1_25lookback_scan_determinismE0ELb1ELb1ES3_N6thrust23THRUST_200600_302600_NS6detail15normal_iteratorINS9_10device_ptrIjEEEESE_jNS9_4plusIvEEjEEDaPvRmT3_T4_T5_mT6_P12ihipStream_tbENKUlT_T0_E_clISt17integral_constantIbLb0EEST_IbLb1EEEEDaSP_SQ_EUlSP_E_NS1_11comp_targetILNS1_3genE4ELNS1_11target_archE910ELNS1_3gpuE8ELNS1_3repE0EEENS1_30default_config_static_selectorELNS0_4arch9wavefront6targetE1EEEvT1_
	.p2align	8
	.type	_ZN7rocprim17ROCPRIM_400000_NS6detail17trampoline_kernelINS0_14default_configENS1_20scan_config_selectorIjEEZZNS1_9scan_implILNS1_25lookback_scan_determinismE0ELb1ELb1ES3_N6thrust23THRUST_200600_302600_NS6detail15normal_iteratorINS9_10device_ptrIjEEEESE_jNS9_4plusIvEEjEEDaPvRmT3_T4_T5_mT6_P12ihipStream_tbENKUlT_T0_E_clISt17integral_constantIbLb0EEST_IbLb1EEEEDaSP_SQ_EUlSP_E_NS1_11comp_targetILNS1_3genE4ELNS1_11target_archE910ELNS1_3gpuE8ELNS1_3repE0EEENS1_30default_config_static_selectorELNS0_4arch9wavefront6targetE1EEEvT1_,@function
_ZN7rocprim17ROCPRIM_400000_NS6detail17trampoline_kernelINS0_14default_configENS1_20scan_config_selectorIjEEZZNS1_9scan_implILNS1_25lookback_scan_determinismE0ELb1ELb1ES3_N6thrust23THRUST_200600_302600_NS6detail15normal_iteratorINS9_10device_ptrIjEEEESE_jNS9_4plusIvEEjEEDaPvRmT3_T4_T5_mT6_P12ihipStream_tbENKUlT_T0_E_clISt17integral_constantIbLb0EEST_IbLb1EEEEDaSP_SQ_EUlSP_E_NS1_11comp_targetILNS1_3genE4ELNS1_11target_archE910ELNS1_3gpuE8ELNS1_3repE0EEENS1_30default_config_static_selectorELNS0_4arch9wavefront6targetE1EEEvT1_: ; @_ZN7rocprim17ROCPRIM_400000_NS6detail17trampoline_kernelINS0_14default_configENS1_20scan_config_selectorIjEEZZNS1_9scan_implILNS1_25lookback_scan_determinismE0ELb1ELb1ES3_N6thrust23THRUST_200600_302600_NS6detail15normal_iteratorINS9_10device_ptrIjEEEESE_jNS9_4plusIvEEjEEDaPvRmT3_T4_T5_mT6_P12ihipStream_tbENKUlT_T0_E_clISt17integral_constantIbLb0EEST_IbLb1EEEEDaSP_SQ_EUlSP_E_NS1_11comp_targetILNS1_3genE4ELNS1_11target_archE910ELNS1_3gpuE8ELNS1_3repE0EEENS1_30default_config_static_selectorELNS0_4arch9wavefront6targetE1EEEvT1_
; %bb.0:
	s_load_dword s33, s[4:5], 0x20
	s_load_dwordx2 s[6:7], s[4:5], 0x28
	v_cmp_ne_u32_e64 s[2:3], 0, v0
	v_cmp_eq_u32_e64 s[0:1], 0, v0
	s_and_saveexec_b64 s[8:9], s[0:1]
	s_cbranch_execz .LBB4702_4
; %bb.1:
	s_mov_b64 s[12:13], exec
	v_mbcnt_lo_u32_b32 v1, s12, 0
	v_mbcnt_hi_u32_b32 v1, s13, v1
	v_cmp_eq_u32_e32 vcc, 0, v1
                                        ; implicit-def: $vgpr2
	s_and_saveexec_b64 s[10:11], vcc
	s_cbranch_execz .LBB4702_3
; %bb.2:
	s_load_dwordx2 s[14:15], s[4:5], 0x58
	s_bcnt1_i32_b64 s12, s[12:13]
	v_mov_b32_e32 v2, 0
	v_mov_b32_e32 v3, s12
	s_waitcnt lgkmcnt(0)
	global_atomic_add v2, v2, v3, s[14:15] glc
.LBB4702_3:
	s_or_b64 exec, exec, s[10:11]
	s_waitcnt vmcnt(0)
	v_readfirstlane_b32 s10, v2
	v_add_u32_e32 v1, s10, v1
	v_mov_b32_e32 v2, 0
	ds_write_b32 v2, v1
.LBB4702_4:
	s_or_b64 exec, exec, s[8:9]
	s_load_dwordx8 s[16:23], s[4:5], 0x0
	s_load_dword s24, s[4:5], 0x30
	s_load_dwordx8 s[8:15], s[4:5], 0x38
	v_mov_b32_e32 v1, 0
	s_waitcnt lgkmcnt(0)
	s_barrier
	ds_read_b32 v1, v1
	s_lshl_b64 s[18:19], s[18:19], 2
	s_add_u32 s34, s16, s18
	s_addc_u32 s35, s17, s19
	s_add_i32 s16, s24, -1
	s_mul_i32 s17, s16, 0x500
	s_sub_u32 s30, s22, s17
	s_waitcnt lgkmcnt(0)
	v_readfirstlane_b32 s36, v1
	s_subb_u32 s31, s23, 0
	s_mul_i32 s4, s36, 0x500
	s_mov_b32 s5, 0
	s_cmp_lg_u32 s36, s16
	s_cselect_b64 s[16:17], -1, 0
	s_lshl_b64 s[22:23], s[4:5], 2
	s_add_u32 s24, s34, s22
	s_addc_u32 s25, s35, s23
	s_mov_b64 s[4:5], -1
	s_and_b64 vcc, exec, s[16:17]
	v_lshlrev_b32_e32 v22, 2, v0
	s_barrier
	s_cbranch_vccz .LBB4702_6
; %bb.5:
	v_mov_b32_e32 v1, s25
	v_add_co_u32_e32 v2, vcc, s24, v22
	v_addc_co_u32_e32 v3, vcc, 0, v1, vcc
	flat_load_dword v1, v[2:3]
	flat_load_dword v4, v[2:3] offset:512
	flat_load_dword v5, v[2:3] offset:1024
	;; [unrolled: 1-line block ×7, first 2 shown]
	v_add_co_u32_e32 v2, vcc, 0x1000, v2
	v_addc_co_u32_e32 v3, vcc, 0, v3, vcc
	flat_load_dword v11, v[2:3]
	flat_load_dword v12, v[2:3] offset:512
	s_mov_b64 s[4:5], 0
	s_waitcnt vmcnt(0) lgkmcnt(0)
	ds_write2st64_b32 v22, v1, v4 offset1:2
	ds_write2st64_b32 v22, v5, v6 offset0:4 offset1:6
	ds_write2st64_b32 v22, v7, v8 offset0:8 offset1:10
	;; [unrolled: 1-line block ×4, first 2 shown]
	s_waitcnt lgkmcnt(0)
	s_barrier
.LBB4702_6:
	s_andn2_b64 vcc, exec, s[4:5]
	v_cmp_gt_u32_e64 s[4:5], s30, v0
	s_cbranch_vccnz .LBB4702_28
; %bb.7:
	v_pk_mov_b32 v[2:3], s[24:25], s[24:25] op_sel:[0,1]
	flat_load_dword v1, v[2:3]
	s_waitcnt vmcnt(0) lgkmcnt(0)
	v_mov_b32_e32 v2, v1
	v_mov_b32_e32 v3, v1
	;; [unrolled: 1-line block ×9, first 2 shown]
	s_and_saveexec_b64 s[26:27], s[4:5]
	s_cbranch_execz .LBB4702_9
; %bb.8:
	v_mov_b32_e32 v11, s25
	v_add_co_u32_e32 v10, vcc, s24, v22
	v_addc_co_u32_e32 v11, vcc, 0, v11, vcc
	flat_load_dword v10, v[10:11]
.LBB4702_9:
	s_or_b64 exec, exec, s[26:27]
	v_or_b32_e32 v11, 0x80, v0
	v_cmp_gt_u32_e32 vcc, s30, v11
	s_and_saveexec_b64 s[4:5], vcc
	s_cbranch_execz .LBB4702_11
; %bb.10:
	v_mov_b32_e32 v1, s25
	v_add_co_u32_e32 v12, vcc, s24, v22
	v_addc_co_u32_e32 v13, vcc, 0, v1, vcc
	flat_load_dword v1, v[12:13] offset:512
.LBB4702_11:
	s_or_b64 exec, exec, s[4:5]
	v_or_b32_e32 v11, 0x100, v0
	v_cmp_gt_u32_e32 vcc, s30, v11
	s_and_saveexec_b64 s[4:5], vcc
	s_cbranch_execz .LBB4702_13
; %bb.12:
	v_mov_b32_e32 v2, s25
	v_add_co_u32_e32 v12, vcc, s24, v22
	v_addc_co_u32_e32 v13, vcc, 0, v2, vcc
	flat_load_dword v2, v[12:13] offset:1024
.LBB4702_13:
	;; [unrolled: 11-line block ×7, first 2 shown]
	s_or_b64 exec, exec, s[4:5]
	v_or_b32_e32 v11, 0x400, v0
	v_cmp_gt_u32_e32 vcc, s30, v11
	s_and_saveexec_b64 s[4:5], vcc
	s_cbranch_execz .LBB4702_25
; %bb.24:
	v_lshlrev_b32_e32 v8, 2, v11
	v_mov_b32_e32 v11, s25
	v_add_co_u32_e32 v12, vcc, s24, v8
	v_addc_co_u32_e32 v13, vcc, 0, v11, vcc
	flat_load_dword v8, v[12:13]
.LBB4702_25:
	s_or_b64 exec, exec, s[4:5]
	v_or_b32_e32 v11, 0x480, v0
	v_cmp_gt_u32_e32 vcc, s30, v11
	s_and_saveexec_b64 s[4:5], vcc
	s_cbranch_execz .LBB4702_27
; %bb.26:
	v_lshlrev_b32_e32 v9, 2, v11
	v_mov_b32_e32 v11, s25
	v_add_co_u32_e32 v12, vcc, s24, v9
	v_addc_co_u32_e32 v13, vcc, 0, v11, vcc
	flat_load_dword v9, v[12:13]
.LBB4702_27:
	s_or_b64 exec, exec, s[4:5]
	s_waitcnt vmcnt(0) lgkmcnt(0)
	ds_write2st64_b32 v22, v10, v1 offset1:2
	ds_write2st64_b32 v22, v2, v3 offset0:4 offset1:6
	ds_write2st64_b32 v22, v4, v5 offset0:8 offset1:10
	;; [unrolled: 1-line block ×4, first 2 shown]
	s_waitcnt lgkmcnt(0)
	s_barrier
.LBB4702_28:
	v_mul_u32_u24_e32 v23, 10, v0
	v_lshlrev_b32_e32 v1, 2, v23
	ds_read2_b64 v[16:19], v1 offset1:1
	ds_read2_b64 v[12:15], v1 offset0:2 offset1:3
	ds_read_b64 v[20:21], v1 offset:32
	s_cmp_lg_u32 s36, 0
	v_lshrrev_b32_e32 v24, 5, v0
	s_waitcnt lgkmcnt(2)
	v_add_u32_e32 v2, v17, v16
	v_add3_u32 v25, v2, v18, v19
	v_cmp_gt_u32_e32 vcc, 64, v0
	s_waitcnt lgkmcnt(0)
	s_barrier
	s_cbranch_scc0 .LBB4702_53
; %bb.29:
	v_add3_u32 v2, v25, v12, v13
	v_add3_u32 v2, v2, v14, v15
	;; [unrolled: 1-line block ×3, first 2 shown]
	v_add_lshl_u32 v3, v24, v0, 2
	ds_write_b32 v3, v2
	s_waitcnt lgkmcnt(0)
	s_barrier
	s_and_saveexec_b64 s[24:25], vcc
	s_cbranch_execz .LBB4702_31
; %bb.30:
	v_lshlrev_b32_e32 v3, 1, v0
	v_lshrrev_b32_e32 v4, 4, v0
	v_add_lshl_u32 v3, v4, v3, 2
	ds_read2_b32 v[4:5], v3 offset1:1
	v_mbcnt_lo_u32_b32 v6, -1, 0
	v_mbcnt_hi_u32_b32 v6, -1, v6
	v_and_b32_e32 v7, 15, v6
	v_cmp_ne_u32_e64 s[4:5], 0, v7
	s_waitcnt lgkmcnt(0)
	v_add_u32_e32 v5, v5, v4
	; wave barrier
	s_nop 1
	v_mov_b32_dpp v8, v5 row_shr:1 row_mask:0xf bank_mask:0xf
	v_cndmask_b32_e64 v8, 0, v8, s[4:5]
	v_add_u32_e32 v5, v8, v5
	v_cmp_lt_u32_e64 s[4:5], 1, v7
	s_nop 0
	v_mov_b32_dpp v8, v5 row_shr:2 row_mask:0xf bank_mask:0xf
	v_cndmask_b32_e64 v8, 0, v8, s[4:5]
	v_add_u32_e32 v5, v5, v8
	v_cmp_lt_u32_e64 s[4:5], 3, v7
	;; [unrolled: 5-line block ×3, first 2 shown]
	s_nop 0
	v_mov_b32_dpp v8, v5 row_shr:8 row_mask:0xf bank_mask:0xf
	v_cndmask_b32_e64 v7, 0, v8, s[4:5]
	v_add_u32_e32 v5, v5, v7
	v_bfe_i32 v8, v6, 4, 1
	v_cmp_lt_u32_e64 s[4:5], 31, v6
	v_mov_b32_dpp v7, v5 row_bcast:15 row_mask:0xf bank_mask:0xf
	v_and_b32_e32 v7, v8, v7
	v_add_u32_e32 v5, v5, v7
	v_and_b32_e32 v8, 64, v6
	s_nop 0
	v_mov_b32_dpp v7, v5 row_bcast:31 row_mask:0xf bank_mask:0xf
	v_cndmask_b32_e64 v7, 0, v7, s[4:5]
	v_add_u32_e32 v5, v5, v7
	v_add_u32_e32 v7, -1, v6
	v_cmp_lt_i32_e64 s[4:5], v7, v8
	v_cndmask_b32_e64 v6, v7, v6, s[4:5]
	v_lshlrev_b32_e32 v6, 2, v6
	ds_bpermute_b32 v5, v6, v5
	s_waitcnt lgkmcnt(0)
	v_add_u32_e32 v4, v5, v4
	v_cndmask_b32_e64 v2, v4, v2, s[0:1]
	ds_write_b32 v3, v2
	; wave barrier
	ds_read_b32 v4, v3 offset:4
	s_waitcnt lgkmcnt(0)
	v_add_u32_e32 v2, v4, v2
	ds_write_b32 v3, v2 offset:4
.LBB4702_31:
	s_or_b64 exec, exec, s[24:25]
	v_mov_b32_e32 v26, 0
	s_waitcnt lgkmcnt(0)
	s_barrier
	s_and_saveexec_b64 s[4:5], s[2:3]
	s_cbranch_execz .LBB4702_33
; %bb.32:
	v_add_u32_e32 v2, -1, v0
	v_lshrrev_b32_e32 v3, 5, v2
	v_add_lshl_u32 v2, v3, v2, 2
	ds_read_b32 v26, v2
.LBB4702_33:
	s_or_b64 exec, exec, s[4:5]
	s_and_saveexec_b64 s[24:25], vcc
	s_cbranch_execz .LBB4702_52
; %bb.34:
	v_mov_b32_e32 v9, 0
	ds_read_b32 v2, v9 offset:520
	v_mbcnt_lo_u32_b32 v3, -1, 0
	v_mbcnt_hi_u32_b32 v5, -1, v3
	s_mov_b32 s29, 0
	v_cmp_eq_u32_e64 s[4:5], 0, v5
	s_and_saveexec_b64 s[26:27], s[4:5]
	s_cbranch_execz .LBB4702_36
; %bb.35:
	s_add_i32 s28, s36, 64
	s_lshl_b64 s[28:29], s[28:29], 3
	s_add_u32 s28, s6, s28
	v_mov_b32_e32 v3, 1
	s_addc_u32 s29, s7, s29
	s_waitcnt lgkmcnt(0)
	global_store_dwordx2 v9, v[2:3], s[28:29]
.LBB4702_36:
	s_or_b64 exec, exec, s[26:27]
	v_xad_u32 v4, v5, -1, s36
	v_add_u32_e32 v8, 64, v4
	v_lshlrev_b64 v[6:7], 3, v[8:9]
	v_mov_b32_e32 v3, s7
	v_add_co_u32_e32 v10, vcc, s6, v6
	v_addc_co_u32_e32 v11, vcc, v3, v7, vcc
	global_load_dwordx2 v[6:7], v[10:11], off glc
	s_waitcnt vmcnt(0)
	v_cmp_eq_u16_sdwa s[28:29], v7, v9 src0_sel:BYTE_0 src1_sel:DWORD
	s_and_saveexec_b64 s[26:27], s[28:29]
	s_cbranch_execz .LBB4702_40
; %bb.37:
	s_mov_b64 s[28:29], 0
	v_mov_b32_e32 v3, 0
.LBB4702_38:                            ; =>This Inner Loop Header: Depth=1
	global_load_dwordx2 v[6:7], v[10:11], off glc
	s_waitcnt vmcnt(0)
	v_cmp_ne_u16_sdwa s[38:39], v7, v3 src0_sel:BYTE_0 src1_sel:DWORD
	s_or_b64 s[28:29], s[38:39], s[28:29]
	s_andn2_b64 exec, exec, s[28:29]
	s_cbranch_execnz .LBB4702_38
; %bb.39:
	s_or_b64 exec, exec, s[28:29]
.LBB4702_40:
	s_or_b64 exec, exec, s[26:27]
	v_and_b32_e32 v27, 63, v5
	v_mov_b32_e32 v3, 2
	v_cmp_ne_u32_e32 vcc, 63, v27
	v_cmp_eq_u16_sdwa s[26:27], v7, v3 src0_sel:BYTE_0 src1_sel:DWORD
	v_lshlrev_b64 v[8:9], v5, -1
	v_addc_co_u32_e32 v28, vcc, 0, v5, vcc
	v_and_b32_e32 v10, s27, v9
	v_lshlrev_b32_e32 v28, 2, v28
	v_or_b32_e32 v10, 0x80000000, v10
	ds_bpermute_b32 v29, v28, v6
	v_and_b32_e32 v11, s26, v8
	v_ffbl_b32_e32 v10, v10
	v_add_u32_e32 v10, 32, v10
	v_ffbl_b32_e32 v11, v11
	v_min_u32_e32 v10, v11, v10
	v_cmp_lt_u32_e32 vcc, v27, v10
	s_waitcnt lgkmcnt(0)
	v_cndmask_b32_e32 v11, 0, v29, vcc
	v_cmp_gt_u32_e32 vcc, 62, v27
	v_add_u32_e32 v6, v11, v6
	v_cndmask_b32_e64 v11, 0, 1, vcc
	v_lshlrev_b32_e32 v11, 1, v11
	v_add_lshl_u32 v29, v11, v5, 2
	ds_bpermute_b32 v11, v29, v6
	v_add_u32_e32 v30, 2, v27
	v_cmp_le_u32_e32 vcc, v30, v10
	v_add_u32_e32 v32, 4, v27
	v_add_u32_e32 v34, 8, v27
	s_waitcnt lgkmcnt(0)
	v_cndmask_b32_e32 v11, 0, v11, vcc
	v_cmp_gt_u32_e32 vcc, 60, v27
	v_add_u32_e32 v6, v6, v11
	v_cndmask_b32_e64 v11, 0, 1, vcc
	v_lshlrev_b32_e32 v11, 2, v11
	v_add_lshl_u32 v31, v11, v5, 2
	ds_bpermute_b32 v11, v31, v6
	v_cmp_le_u32_e32 vcc, v32, v10
	v_add_u32_e32 v37, 16, v27
	v_add_u32_e32 v39, 32, v27
	s_waitcnt lgkmcnt(0)
	v_cndmask_b32_e32 v11, 0, v11, vcc
	v_cmp_gt_u32_e32 vcc, 56, v27
	v_add_u32_e32 v6, v6, v11
	v_cndmask_b32_e64 v11, 0, 1, vcc
	v_lshlrev_b32_e32 v11, 3, v11
	v_add_lshl_u32 v33, v11, v5, 2
	ds_bpermute_b32 v11, v33, v6
	v_cmp_le_u32_e32 vcc, v34, v10
	s_waitcnt lgkmcnt(0)
	v_cndmask_b32_e32 v11, 0, v11, vcc
	v_cmp_gt_u32_e32 vcc, 48, v27
	v_add_u32_e32 v6, v6, v11
	v_cndmask_b32_e64 v11, 0, 1, vcc
	v_lshlrev_b32_e32 v11, 4, v11
	v_add_lshl_u32 v36, v11, v5, 2
	ds_bpermute_b32 v11, v36, v6
	v_cmp_le_u32_e32 vcc, v37, v10
	;; [unrolled: 9-line block ×3, first 2 shown]
	s_waitcnt lgkmcnt(0)
	v_cndmask_b32_e32 v5, 0, v5, vcc
	v_add_u32_e32 v6, v6, v5
	v_mov_b32_e32 v5, 0
	s_branch .LBB4702_42
.LBB4702_41:                            ;   in Loop: Header=BB4702_42 Depth=1
	s_or_b64 exec, exec, s[26:27]
	v_cmp_eq_u16_sdwa s[26:27], v7, v3 src0_sel:BYTE_0 src1_sel:DWORD
	v_and_b32_e32 v10, s27, v9
	v_or_b32_e32 v10, 0x80000000, v10
	ds_bpermute_b32 v40, v28, v6
	v_and_b32_e32 v11, s26, v8
	v_ffbl_b32_e32 v10, v10
	v_add_u32_e32 v10, 32, v10
	v_ffbl_b32_e32 v11, v11
	v_min_u32_e32 v10, v11, v10
	v_cmp_lt_u32_e32 vcc, v27, v10
	s_waitcnt lgkmcnt(0)
	v_cndmask_b32_e32 v11, 0, v40, vcc
	v_add_u32_e32 v6, v11, v6
	ds_bpermute_b32 v11, v29, v6
	v_cmp_le_u32_e32 vcc, v30, v10
	v_subrev_u32_e32 v4, 64, v4
	s_waitcnt lgkmcnt(0)
	v_cndmask_b32_e32 v11, 0, v11, vcc
	v_add_u32_e32 v6, v6, v11
	ds_bpermute_b32 v11, v31, v6
	v_cmp_le_u32_e32 vcc, v32, v10
	s_waitcnt lgkmcnt(0)
	v_cndmask_b32_e32 v11, 0, v11, vcc
	v_add_u32_e32 v6, v6, v11
	ds_bpermute_b32 v11, v33, v6
	v_cmp_le_u32_e32 vcc, v34, v10
	;; [unrolled: 5-line block ×4, first 2 shown]
	s_waitcnt lgkmcnt(0)
	v_cndmask_b32_e32 v10, 0, v11, vcc
	v_add3_u32 v6, v10, v35, v6
.LBB4702_42:                            ; =>This Loop Header: Depth=1
                                        ;     Child Loop BB4702_45 Depth 2
	v_cmp_ne_u16_sdwa s[26:27], v7, v3 src0_sel:BYTE_0 src1_sel:DWORD
	v_cndmask_b32_e64 v7, 0, 1, s[26:27]
	;;#ASMSTART
	;;#ASMEND
	v_cmp_ne_u32_e32 vcc, 0, v7
	s_cmp_lg_u64 vcc, exec
	v_mov_b32_e32 v35, v6
	s_cbranch_scc1 .LBB4702_47
; %bb.43:                               ;   in Loop: Header=BB4702_42 Depth=1
	v_lshlrev_b64 v[6:7], 3, v[4:5]
	v_mov_b32_e32 v11, s7
	v_add_co_u32_e32 v10, vcc, s6, v6
	v_addc_co_u32_e32 v11, vcc, v11, v7, vcc
	global_load_dwordx2 v[6:7], v[10:11], off glc
	s_waitcnt vmcnt(0)
	v_cmp_eq_u16_sdwa s[28:29], v7, v5 src0_sel:BYTE_0 src1_sel:DWORD
	s_and_saveexec_b64 s[26:27], s[28:29]
	s_cbranch_execz .LBB4702_41
; %bb.44:                               ;   in Loop: Header=BB4702_42 Depth=1
	s_mov_b64 s[28:29], 0
.LBB4702_45:                            ;   Parent Loop BB4702_42 Depth=1
                                        ; =>  This Inner Loop Header: Depth=2
	global_load_dwordx2 v[6:7], v[10:11], off glc
	s_waitcnt vmcnt(0)
	v_cmp_ne_u16_sdwa s[38:39], v7, v5 src0_sel:BYTE_0 src1_sel:DWORD
	s_or_b64 s[28:29], s[38:39], s[28:29]
	s_andn2_b64 exec, exec, s[28:29]
	s_cbranch_execnz .LBB4702_45
; %bb.46:                               ;   in Loop: Header=BB4702_42 Depth=1
	s_or_b64 exec, exec, s[28:29]
	s_branch .LBB4702_41
.LBB4702_47:                            ;   in Loop: Header=BB4702_42 Depth=1
                                        ; implicit-def: $vgpr6
                                        ; implicit-def: $vgpr7
	s_cbranch_execz .LBB4702_42
; %bb.48:
	s_and_saveexec_b64 s[26:27], s[4:5]
	s_cbranch_execz .LBB4702_50
; %bb.49:
	s_add_i32 s4, s36, 64
	s_mov_b32 s5, 0
	s_lshl_b64 s[4:5], s[4:5], 3
	s_add_u32 s4, s6, s4
	v_add_u32_e32 v2, v35, v2
	v_mov_b32_e32 v3, 2
	s_addc_u32 s5, s7, s5
	v_mov_b32_e32 v4, 0
	global_store_dwordx2 v4, v[2:3], s[4:5]
.LBB4702_50:
	s_or_b64 exec, exec, s[26:27]
	s_and_b64 exec, exec, s[0:1]
	s_cbranch_execz .LBB4702_52
; %bb.51:
	v_mov_b32_e32 v2, 0
	ds_write_b32 v2, v35
.LBB4702_52:
	s_or_b64 exec, exec, s[24:25]
	v_mov_b32_e32 v2, 0
	s_waitcnt lgkmcnt(0)
	s_barrier
	ds_read_b32 v2, v2
	s_waitcnt lgkmcnt(0)
	v_add_u32_e32 v2, v2, v26
	v_add_u32_e32 v3, v2, v16
	;; [unrolled: 1-line block ×10, first 2 shown]
	s_branch .LBB4702_63
.LBB4702_53:
                                        ; implicit-def: $vgpr2_vgpr3_vgpr4_vgpr5_vgpr6_vgpr7_vgpr8_vgpr9_vgpr10_vgpr11
	s_cbranch_execz .LBB4702_63
; %bb.54:
	s_cmp_eq_u64 s[12:13], 0
	v_mov_b32_e32 v26, s33
	s_cbranch_scc1 .LBB4702_56
; %bb.55:
	v_mov_b32_e32 v3, s35
	v_add_co_u32_e64 v2, vcc, -4, s34
	v_addc_co_u32_e32 v3, vcc, -1, v3, vcc
	v_mov_b32_e32 v4, 0
	flat_load_dword v5, v[2:3]
	global_load_dword v6, v4, s[8:9]
	s_waitcnt vmcnt(0) lgkmcnt(0)
	v_add_u32_e32 v26, v6, v5
.LBB4702_56:
	v_add3_u32 v2, v25, v12, v13
	v_add3_u32 v2, v2, v14, v15
	;; [unrolled: 1-line block ×3, first 2 shown]
	v_add_lshl_u32 v3, v24, v0, 2
	v_cmp_gt_u32_e32 vcc, 64, v0
	ds_write_b32 v3, v2
	s_waitcnt lgkmcnt(0)
	s_barrier
	s_and_saveexec_b64 s[4:5], vcc
	s_cbranch_execz .LBB4702_58
; %bb.57:
	v_lshlrev_b32_e32 v3, 1, v0
	v_lshrrev_b32_e32 v4, 4, v0
	v_add_lshl_u32 v3, v4, v3, 2
	ds_read2_b32 v[4:5], v3 offset1:1
	v_mbcnt_lo_u32_b32 v6, -1, 0
	v_mbcnt_hi_u32_b32 v6, -1, v6
	v_and_b32_e32 v7, 15, v6
	v_cmp_ne_u32_e32 vcc, 0, v7
	s_waitcnt lgkmcnt(0)
	v_add_u32_e32 v5, v5, v4
	; wave barrier
	s_nop 1
	v_mov_b32_dpp v8, v5 row_shr:1 row_mask:0xf bank_mask:0xf
	v_cndmask_b32_e32 v8, 0, v8, vcc
	v_add_u32_e32 v5, v8, v5
	v_cmp_lt_u32_e32 vcc, 1, v7
	s_nop 0
	v_mov_b32_dpp v8, v5 row_shr:2 row_mask:0xf bank_mask:0xf
	v_cndmask_b32_e32 v8, 0, v8, vcc
	v_add_u32_e32 v5, v5, v8
	v_cmp_lt_u32_e32 vcc, 3, v7
	;; [unrolled: 5-line block ×3, first 2 shown]
	s_nop 0
	v_mov_b32_dpp v8, v5 row_shr:8 row_mask:0xf bank_mask:0xf
	v_cndmask_b32_e32 v7, 0, v8, vcc
	v_add_u32_e32 v5, v5, v7
	v_bfe_i32 v8, v6, 4, 1
	v_cmp_lt_u32_e32 vcc, 31, v6
	v_mov_b32_dpp v7, v5 row_bcast:15 row_mask:0xf bank_mask:0xf
	v_and_b32_e32 v7, v8, v7
	v_add_u32_e32 v5, v5, v7
	v_and_b32_e32 v8, 64, v6
	s_nop 0
	v_mov_b32_dpp v7, v5 row_bcast:31 row_mask:0xf bank_mask:0xf
	v_cndmask_b32_e32 v7, 0, v7, vcc
	v_add_u32_e32 v5, v5, v7
	v_add_u32_e32 v7, -1, v6
	v_cmp_lt_i32_e32 vcc, v7, v8
	v_cndmask_b32_e32 v6, v7, v6, vcc
	v_lshlrev_b32_e32 v6, 2, v6
	ds_bpermute_b32 v5, v6, v5
	s_waitcnt lgkmcnt(0)
	v_add_u32_e32 v4, v5, v4
	v_cndmask_b32_e64 v2, v4, v2, s[0:1]
	ds_write_b32 v3, v2
	; wave barrier
	ds_read_b32 v4, v3 offset:4
	s_waitcnt lgkmcnt(0)
	v_add_u32_e32 v2, v4, v2
	ds_write_b32 v3, v2 offset:4
.LBB4702_58:
	s_or_b64 exec, exec, s[4:5]
	v_mov_b32_e32 v2, v26
	s_waitcnt lgkmcnt(0)
	s_barrier
	s_and_saveexec_b64 s[4:5], s[2:3]
	s_cbranch_execz .LBB4702_60
; %bb.59:
	v_add_u32_e32 v2, -1, v0
	v_lshrrev_b32_e32 v3, 5, v2
	v_add_lshl_u32 v2, v3, v2, 2
	ds_read_b32 v2, v2
	s_waitcnt lgkmcnt(0)
	v_add_u32_e32 v2, v2, v26
.LBB4702_60:
	s_or_b64 exec, exec, s[4:5]
	v_add_u32_e32 v3, v2, v16
	v_add_u32_e32 v4, v3, v17
	;; [unrolled: 1-line block ×9, first 2 shown]
	s_and_saveexec_b64 s[2:3], s[0:1]
	s_cbranch_execz .LBB4702_62
; %bb.61:
	v_mov_b32_e32 v14, 0
	ds_read_b32 v12, v14 offset:520
	v_mov_b32_e32 v13, 2
	s_waitcnt lgkmcnt(0)
	v_add_u32_e32 v12, v12, v26
	global_store_dwordx2 v14, v[12:13], s[6:7] offset:512
.LBB4702_62:
	s_or_b64 exec, exec, s[2:3]
.LBB4702_63:
	s_add_u32 s0, s20, s18
	s_addc_u32 s1, s21, s19
	s_add_u32 s2, s0, s22
	s_addc_u32 s3, s1, s23
	s_mov_b64 s[0:1], -1
	s_and_b64 vcc, exec, s[16:17]
	s_barrier
	s_cbranch_vccz .LBB4702_65
; %bb.64:
	ds_write2_b64 v1, v[2:3], v[4:5] offset1:1
	ds_write2_b64 v1, v[6:7], v[8:9] offset0:2 offset1:3
	ds_write_b64 v1, v[10:11] offset:32
	s_waitcnt lgkmcnt(0)
	s_barrier
	ds_read2st64_b32 v[12:13], v22 offset1:2
	ds_read2st64_b32 v[14:15], v22 offset0:4 offset1:6
	ds_read2st64_b32 v[16:17], v22 offset0:8 offset1:10
	;; [unrolled: 1-line block ×4, first 2 shown]
	v_mov_b32_e32 v25, s3
	v_add_co_u32_e32 v24, vcc, s2, v22
	v_addc_co_u32_e32 v25, vcc, 0, v25, vcc
	s_waitcnt lgkmcnt(4)
	flat_store_dword v[24:25], v12
	flat_store_dword v[24:25], v13 offset:512
	s_waitcnt lgkmcnt(0)
	flat_store_dword v[24:25], v14 offset:1024
	flat_store_dword v[24:25], v15 offset:1536
	;; [unrolled: 1-line block ×6, first 2 shown]
	v_add_co_u32_e32 v12, vcc, 0x1000, v24
	v_addc_co_u32_e32 v13, vcc, 0, v25, vcc
	flat_store_dword v[12:13], v20
	flat_store_dword v[12:13], v21 offset:512
	s_mov_b64 s[0:1], 0
.LBB4702_65:
	s_andn2_b64 vcc, exec, s[0:1]
	s_cbranch_vccnz .LBB4702_121
; %bb.66:
	ds_write2_b64 v1, v[2:3], v[4:5] offset1:1
	ds_write2_b64 v1, v[6:7], v[8:9] offset0:2 offset1:3
	ds_write_b64 v1, v[10:11] offset:32
	s_waitcnt lgkmcnt(0)
	s_barrier
	ds_read2st64_b32 v[2:3], v22 offset1:2
	ds_read2st64_b32 v[6:7], v22 offset0:4 offset1:6
	ds_read2st64_b32 v[4:5], v22 offset0:8 offset1:10
	;; [unrolled: 1-line block ×4, first 2 shown]
	v_mov_b32_e32 v13, s3
	v_add_co_u32_e32 v12, vcc, s2, v22
	v_addc_co_u32_e32 v13, vcc, 0, v13, vcc
	v_mov_b32_e32 v1, 0
	v_cmp_gt_u32_e32 vcc, s30, v0
	s_and_saveexec_b64 s[0:1], vcc
	s_cbranch_execz .LBB4702_68
; %bb.67:
	s_waitcnt lgkmcnt(0)
	flat_store_dword v[12:13], v2
.LBB4702_68:
	s_or_b64 exec, exec, s[0:1]
	v_or_b32_e32 v14, 0x80, v0
	v_cmp_gt_u32_e32 vcc, s30, v14
	s_and_saveexec_b64 s[0:1], vcc
	s_cbranch_execz .LBB4702_70
; %bb.69:
	s_waitcnt lgkmcnt(0)
	flat_store_dword v[12:13], v3 offset:512
.LBB4702_70:
	s_or_b64 exec, exec, s[0:1]
	v_or_b32_e32 v14, 0x100, v0
	v_cmp_gt_u32_e32 vcc, s30, v14
	s_and_saveexec_b64 s[0:1], vcc
	s_cbranch_execz .LBB4702_72
; %bb.71:
	s_waitcnt lgkmcnt(0)
	flat_store_dword v[12:13], v6 offset:1024
.LBB4702_72:
	;; [unrolled: 9-line block ×7, first 2 shown]
	s_or_b64 exec, exec, s[0:1]
	v_or_b32_e32 v14, 0x400, v0
	v_cmp_gt_u32_e32 vcc, s30, v14
	s_and_saveexec_b64 s[0:1], vcc
	s_cbranch_execz .LBB4702_84
; %bb.83:
	v_add_co_u32_e32 v14, vcc, 0x1000, v12
	v_addc_co_u32_e32 v15, vcc, 0, v13, vcc
	s_waitcnt lgkmcnt(0)
	flat_store_dword v[14:15], v10
.LBB4702_84:
	s_or_b64 exec, exec, s[0:1]
	v_or_b32_e32 v14, 0x480, v0
	v_cmp_gt_u32_e32 vcc, s30, v14
	s_and_saveexec_b64 s[0:1], vcc
	s_cbranch_execz .LBB4702_86
; %bb.85:
	v_add_co_u32_e32 v12, vcc, 0x1000, v12
	v_addc_co_u32_e32 v13, vcc, 0, v13, vcc
	s_waitcnt lgkmcnt(0)
	flat_store_dword v[12:13], v11 offset:512
.LBB4702_86:
	s_or_b64 exec, exec, s[0:1]
	v_cmp_lt_u64_e64 s[0:1], s[14:15], 2
	s_and_b64 vcc, exec, s[0:1]
	s_cbranch_vccnz .LBB4702_121
; %bb.87:
	s_add_u32 s0, s30, -1
	s_addc_u32 s1, s31, -1
	s_add_u32 s2, 0, 0x99986000
	s_addc_u32 s3, 0, 0x59
	s_add_i32 s3, s3, 0x19999940
	s_mul_hi_u32 s7, s2, -10
	s_sub_i32 s7, s7, s2
	s_mul_i32 s8, s3, -10
	s_mul_i32 s4, s2, -10
	s_add_i32 s7, s7, s8
	s_mul_hi_u32 s5, s3, s4
	s_mul_i32 s6, s3, s4
	s_mul_i32 s9, s2, s7
	s_mul_hi_u32 s4, s2, s4
	s_mul_hi_u32 s8, s2, s7
	s_add_u32 s4, s4, s9
	s_addc_u32 s8, 0, s8
	s_add_u32 s4, s4, s6
	s_mul_hi_u32 s9, s3, s7
	s_addc_u32 s4, s8, s5
	s_addc_u32 s5, s9, 0
	s_mul_i32 s6, s3, s7
	s_add_u32 s4, s4, s6
	v_mov_b32_e32 v12, s4
	s_addc_u32 s5, 0, s5
	v_add_co_u32_e32 v12, vcc, s2, v12
	s_cmp_lg_u64 vcc, 0
	s_addc_u32 s2, s3, s5
	v_readfirstlane_b32 s5, v12
	s_mul_i32 s4, s0, s2
	s_mul_hi_u32 s6, s0, s5
	s_mul_hi_u32 s3, s0, s2
	s_add_u32 s4, s6, s4
	s_addc_u32 s3, 0, s3
	s_mul_hi_u32 s7, s1, s5
	s_mul_i32 s5, s1, s5
	s_add_u32 s4, s4, s5
	s_mul_hi_u32 s6, s1, s2
	s_addc_u32 s3, s3, s7
	s_addc_u32 s4, s6, 0
	s_mul_i32 s2, s1, s2
	s_add_u32 s2, s3, s2
	s_addc_u32 s3, 0, s4
	s_add_u32 s4, s2, 1
	s_addc_u32 s5, s3, 0
	s_add_u32 s6, s2, 2
	s_mul_i32 s8, s3, 10
	s_mul_hi_u32 s9, s2, 10
	s_addc_u32 s7, s3, 0
	s_add_i32 s9, s9, s8
	s_mul_i32 s8, s2, 10
	v_mov_b32_e32 v12, s8
	v_sub_co_u32_e32 v12, vcc, s0, v12
	s_cmp_lg_u64 vcc, 0
	s_subb_u32 s8, s1, s9
	v_subrev_co_u32_e32 v13, vcc, 10, v12
	s_cmp_lg_u64 vcc, 0
	s_subb_u32 s9, s8, 0
	v_readfirstlane_b32 s12, v13
	s_cmp_gt_u32 s12, 9
	s_cselect_b32 s12, -1, 0
	s_cmp_eq_u32 s9, 0
	s_cselect_b32 s9, s12, -1
	s_cmp_lg_u32 s9, 0
	s_cselect_b32 s4, s6, s4
	v_readfirstlane_b32 s6, v12
	s_cselect_b32 s5, s7, s5
	s_cmp_gt_u32 s6, 9
	s_cselect_b32 s6, -1, 0
	s_cmp_eq_u32 s8, 0
	s_cselect_b32 s6, s6, -1
	s_cmp_lg_u32 s6, 0
	s_cselect_b32 s3, s5, s3
	s_cselect_b32 s2, s4, s2
	v_cmp_eq_u64_e32 vcc, s[2:3], v[0:1]
	s_and_saveexec_b64 s[2:3], vcc
	s_cbranch_execz .LBB4702_121
; %bb.88:
	v_mul_hi_u32_u24_e32 v1, 10, v0
	v_mov_b32_e32 v12, s1
	v_sub_co_u32_e32 v0, vcc, s0, v23
	v_subb_co_u32_e32 v1, vcc, v12, v1, vcc
	v_cmp_lt_i64_e32 vcc, 4, v[0:1]
	s_and_saveexec_b64 s[0:1], vcc
	s_xor_b64 s[0:1], exec, s[0:1]
	s_cbranch_execz .LBB4702_106
; %bb.89:
	v_cmp_lt_i64_e32 vcc, 6, v[0:1]
	s_and_saveexec_b64 s[2:3], vcc
	s_xor_b64 s[2:3], exec, s[2:3]
	s_cbranch_execz .LBB4702_99
; %bb.90:
	;; [unrolled: 5-line block ×4, first 2 shown]
	v_mov_b32_e32 v0, 0
	s_waitcnt lgkmcnt(0)
	global_store_dword v0, v11, s[10:11]
                                        ; implicit-def: $vgpr10_vgpr11
.LBB4702_93:
	s_andn2_saveexec_b64 s[6:7], s[6:7]
	s_cbranch_execz .LBB4702_95
; %bb.94:
	v_mov_b32_e32 v0, 0
	s_waitcnt lgkmcnt(0)
	global_store_dword v0, v10, s[10:11]
.LBB4702_95:
	s_or_b64 exec, exec, s[6:7]
                                        ; implicit-def: $vgpr8_vgpr9
.LBB4702_96:
	s_andn2_saveexec_b64 s[4:5], s[4:5]
	s_cbranch_execz .LBB4702_98
; %bb.97:
	v_mov_b32_e32 v0, 0
	s_waitcnt lgkmcnt(0)
	global_store_dword v0, v9, s[10:11]
.LBB4702_98:
	s_or_b64 exec, exec, s[4:5]
                                        ; implicit-def: $vgpr4_vgpr5
                                        ; implicit-def: $vgpr0_vgpr1
                                        ; implicit-def: $vgpr8_vgpr9
.LBB4702_99:
	s_andn2_saveexec_b64 s[2:3], s[2:3]
	s_cbranch_execz .LBB4702_105
; %bb.100:
	v_cmp_lt_i64_e32 vcc, 5, v[0:1]
	s_and_saveexec_b64 s[4:5], vcc
	s_xor_b64 s[4:5], exec, s[4:5]
	s_cbranch_execz .LBB4702_102
; %bb.101:
	v_mov_b32_e32 v0, 0
	s_waitcnt lgkmcnt(0)
	global_store_dword v0, v8, s[10:11]
                                        ; implicit-def: $vgpr4_vgpr5
.LBB4702_102:
	s_andn2_saveexec_b64 s[4:5], s[4:5]
	s_cbranch_execz .LBB4702_104
; %bb.103:
	v_mov_b32_e32 v0, 0
	s_waitcnt lgkmcnt(0)
	global_store_dword v0, v5, s[10:11]
.LBB4702_104:
	s_or_b64 exec, exec, s[4:5]
.LBB4702_105:
	s_or_b64 exec, exec, s[2:3]
                                        ; implicit-def: $vgpr0_vgpr1
                                        ; implicit-def: $vgpr6_vgpr7
                                        ; implicit-def: $vgpr2_vgpr3
                                        ; implicit-def: $vgpr4_vgpr5
.LBB4702_106:
	s_andn2_saveexec_b64 s[0:1], s[0:1]
	s_cbranch_execz .LBB4702_121
; %bb.107:
	v_cmp_lt_i64_e32 vcc, 2, v[0:1]
	s_and_saveexec_b64 s[0:1], vcc
	s_xor_b64 s[0:1], exec, s[0:1]
	s_cbranch_execz .LBB4702_113
; %bb.108:
	v_cmp_lt_i64_e32 vcc, 3, v[0:1]
	s_and_saveexec_b64 s[2:3], vcc
	s_xor_b64 s[2:3], exec, s[2:3]
	s_cbranch_execz .LBB4702_110
; %bb.109:
	v_mov_b32_e32 v0, 0
	s_waitcnt lgkmcnt(0)
	global_store_dword v0, v4, s[10:11]
                                        ; implicit-def: $vgpr6_vgpr7
.LBB4702_110:
	s_andn2_saveexec_b64 s[2:3], s[2:3]
	s_cbranch_execz .LBB4702_112
; %bb.111:
	v_mov_b32_e32 v0, 0
	s_waitcnt lgkmcnt(0)
	global_store_dword v0, v7, s[10:11]
.LBB4702_112:
	s_or_b64 exec, exec, s[2:3]
                                        ; implicit-def: $vgpr0_vgpr1
                                        ; implicit-def: $vgpr6_vgpr7
                                        ; implicit-def: $vgpr2_vgpr3
.LBB4702_113:
	s_andn2_saveexec_b64 s[0:1], s[0:1]
	s_cbranch_execz .LBB4702_121
; %bb.114:
	v_cmp_lt_i64_e32 vcc, 1, v[0:1]
	s_and_saveexec_b64 s[0:1], vcc
	s_xor_b64 s[0:1], exec, s[0:1]
	s_cbranch_execz .LBB4702_116
; %bb.115:
	v_mov_b32_e32 v0, 0
	s_waitcnt lgkmcnt(0)
	global_store_dword v0, v6, s[10:11]
                                        ; implicit-def: $vgpr2_vgpr3
                                        ; implicit-def: $vgpr0_vgpr1
.LBB4702_116:
	s_andn2_saveexec_b64 s[0:1], s[0:1]
	s_cbranch_execz .LBB4702_121
; %bb.117:
	v_cmp_ne_u64_e32 vcc, 1, v[0:1]
	s_and_saveexec_b64 s[0:1], vcc
	s_xor_b64 s[0:1], exec, s[0:1]
	s_cbranch_execz .LBB4702_119
; %bb.118:
	v_mov_b32_e32 v0, 0
	s_waitcnt lgkmcnt(0)
	global_store_dword v0, v2, s[10:11]
                                        ; implicit-def: $vgpr2_vgpr3
.LBB4702_119:
	s_andn2_saveexec_b64 s[0:1], s[0:1]
	s_cbranch_execz .LBB4702_121
; %bb.120:
	v_mov_b32_e32 v0, 0
	s_waitcnt lgkmcnt(0)
	global_store_dword v0, v3, s[10:11]
.LBB4702_121:
	s_endpgm
	.section	.rodata,"a",@progbits
	.p2align	6, 0x0
	.amdhsa_kernel _ZN7rocprim17ROCPRIM_400000_NS6detail17trampoline_kernelINS0_14default_configENS1_20scan_config_selectorIjEEZZNS1_9scan_implILNS1_25lookback_scan_determinismE0ELb1ELb1ES3_N6thrust23THRUST_200600_302600_NS6detail15normal_iteratorINS9_10device_ptrIjEEEESE_jNS9_4plusIvEEjEEDaPvRmT3_T4_T5_mT6_P12ihipStream_tbENKUlT_T0_E_clISt17integral_constantIbLb0EEST_IbLb1EEEEDaSP_SQ_EUlSP_E_NS1_11comp_targetILNS1_3genE4ELNS1_11target_archE910ELNS1_3gpuE8ELNS1_3repE0EEENS1_30default_config_static_selectorELNS0_4arch9wavefront6targetE1EEEvT1_
		.amdhsa_group_segment_fixed_size 5120
		.amdhsa_private_segment_fixed_size 0
		.amdhsa_kernarg_size 96
		.amdhsa_user_sgpr_count 6
		.amdhsa_user_sgpr_private_segment_buffer 1
		.amdhsa_user_sgpr_dispatch_ptr 0
		.amdhsa_user_sgpr_queue_ptr 0
		.amdhsa_user_sgpr_kernarg_segment_ptr 1
		.amdhsa_user_sgpr_dispatch_id 0
		.amdhsa_user_sgpr_flat_scratch_init 0
		.amdhsa_user_sgpr_kernarg_preload_length 0
		.amdhsa_user_sgpr_kernarg_preload_offset 0
		.amdhsa_user_sgpr_private_segment_size 0
		.amdhsa_uses_dynamic_stack 0
		.amdhsa_system_sgpr_private_segment_wavefront_offset 0
		.amdhsa_system_sgpr_workgroup_id_x 1
		.amdhsa_system_sgpr_workgroup_id_y 0
		.amdhsa_system_sgpr_workgroup_id_z 0
		.amdhsa_system_sgpr_workgroup_info 0
		.amdhsa_system_vgpr_workitem_id 0
		.amdhsa_next_free_vgpr 41
		.amdhsa_next_free_sgpr 40
		.amdhsa_accum_offset 44
		.amdhsa_reserve_vcc 1
		.amdhsa_reserve_flat_scratch 0
		.amdhsa_float_round_mode_32 0
		.amdhsa_float_round_mode_16_64 0
		.amdhsa_float_denorm_mode_32 3
		.amdhsa_float_denorm_mode_16_64 3
		.amdhsa_dx10_clamp 1
		.amdhsa_ieee_mode 1
		.amdhsa_fp16_overflow 0
		.amdhsa_tg_split 0
		.amdhsa_exception_fp_ieee_invalid_op 0
		.amdhsa_exception_fp_denorm_src 0
		.amdhsa_exception_fp_ieee_div_zero 0
		.amdhsa_exception_fp_ieee_overflow 0
		.amdhsa_exception_fp_ieee_underflow 0
		.amdhsa_exception_fp_ieee_inexact 0
		.amdhsa_exception_int_div_zero 0
	.end_amdhsa_kernel
	.section	.text._ZN7rocprim17ROCPRIM_400000_NS6detail17trampoline_kernelINS0_14default_configENS1_20scan_config_selectorIjEEZZNS1_9scan_implILNS1_25lookback_scan_determinismE0ELb1ELb1ES3_N6thrust23THRUST_200600_302600_NS6detail15normal_iteratorINS9_10device_ptrIjEEEESE_jNS9_4plusIvEEjEEDaPvRmT3_T4_T5_mT6_P12ihipStream_tbENKUlT_T0_E_clISt17integral_constantIbLb0EEST_IbLb1EEEEDaSP_SQ_EUlSP_E_NS1_11comp_targetILNS1_3genE4ELNS1_11target_archE910ELNS1_3gpuE8ELNS1_3repE0EEENS1_30default_config_static_selectorELNS0_4arch9wavefront6targetE1EEEvT1_,"axG",@progbits,_ZN7rocprim17ROCPRIM_400000_NS6detail17trampoline_kernelINS0_14default_configENS1_20scan_config_selectorIjEEZZNS1_9scan_implILNS1_25lookback_scan_determinismE0ELb1ELb1ES3_N6thrust23THRUST_200600_302600_NS6detail15normal_iteratorINS9_10device_ptrIjEEEESE_jNS9_4plusIvEEjEEDaPvRmT3_T4_T5_mT6_P12ihipStream_tbENKUlT_T0_E_clISt17integral_constantIbLb0EEST_IbLb1EEEEDaSP_SQ_EUlSP_E_NS1_11comp_targetILNS1_3genE4ELNS1_11target_archE910ELNS1_3gpuE8ELNS1_3repE0EEENS1_30default_config_static_selectorELNS0_4arch9wavefront6targetE1EEEvT1_,comdat
.Lfunc_end4702:
	.size	_ZN7rocprim17ROCPRIM_400000_NS6detail17trampoline_kernelINS0_14default_configENS1_20scan_config_selectorIjEEZZNS1_9scan_implILNS1_25lookback_scan_determinismE0ELb1ELb1ES3_N6thrust23THRUST_200600_302600_NS6detail15normal_iteratorINS9_10device_ptrIjEEEESE_jNS9_4plusIvEEjEEDaPvRmT3_T4_T5_mT6_P12ihipStream_tbENKUlT_T0_E_clISt17integral_constantIbLb0EEST_IbLb1EEEEDaSP_SQ_EUlSP_E_NS1_11comp_targetILNS1_3genE4ELNS1_11target_archE910ELNS1_3gpuE8ELNS1_3repE0EEENS1_30default_config_static_selectorELNS0_4arch9wavefront6targetE1EEEvT1_, .Lfunc_end4702-_ZN7rocprim17ROCPRIM_400000_NS6detail17trampoline_kernelINS0_14default_configENS1_20scan_config_selectorIjEEZZNS1_9scan_implILNS1_25lookback_scan_determinismE0ELb1ELb1ES3_N6thrust23THRUST_200600_302600_NS6detail15normal_iteratorINS9_10device_ptrIjEEEESE_jNS9_4plusIvEEjEEDaPvRmT3_T4_T5_mT6_P12ihipStream_tbENKUlT_T0_E_clISt17integral_constantIbLb0EEST_IbLb1EEEEDaSP_SQ_EUlSP_E_NS1_11comp_targetILNS1_3genE4ELNS1_11target_archE910ELNS1_3gpuE8ELNS1_3repE0EEENS1_30default_config_static_selectorELNS0_4arch9wavefront6targetE1EEEvT1_
                                        ; -- End function
	.section	.AMDGPU.csdata,"",@progbits
; Kernel info:
; codeLenInByte = 4496
; NumSgprs: 44
; NumVgprs: 41
; NumAgprs: 0
; TotalNumVgprs: 41
; ScratchSize: 0
; MemoryBound: 0
; FloatMode: 240
; IeeeMode: 1
; LDSByteSize: 5120 bytes/workgroup (compile time only)
; SGPRBlocks: 5
; VGPRBlocks: 5
; NumSGPRsForWavesPerEU: 44
; NumVGPRsForWavesPerEU: 41
; AccumOffset: 44
; Occupancy: 6
; WaveLimiterHint : 1
; COMPUTE_PGM_RSRC2:SCRATCH_EN: 0
; COMPUTE_PGM_RSRC2:USER_SGPR: 6
; COMPUTE_PGM_RSRC2:TRAP_HANDLER: 0
; COMPUTE_PGM_RSRC2:TGID_X_EN: 1
; COMPUTE_PGM_RSRC2:TGID_Y_EN: 0
; COMPUTE_PGM_RSRC2:TGID_Z_EN: 0
; COMPUTE_PGM_RSRC2:TIDIG_COMP_CNT: 0
; COMPUTE_PGM_RSRC3_GFX90A:ACCUM_OFFSET: 10
; COMPUTE_PGM_RSRC3_GFX90A:TG_SPLIT: 0
	.section	.text._ZN7rocprim17ROCPRIM_400000_NS6detail17trampoline_kernelINS0_14default_configENS1_20scan_config_selectorIjEEZZNS1_9scan_implILNS1_25lookback_scan_determinismE0ELb1ELb1ES3_N6thrust23THRUST_200600_302600_NS6detail15normal_iteratorINS9_10device_ptrIjEEEESE_jNS9_4plusIvEEjEEDaPvRmT3_T4_T5_mT6_P12ihipStream_tbENKUlT_T0_E_clISt17integral_constantIbLb0EEST_IbLb1EEEEDaSP_SQ_EUlSP_E_NS1_11comp_targetILNS1_3genE3ELNS1_11target_archE908ELNS1_3gpuE7ELNS1_3repE0EEENS1_30default_config_static_selectorELNS0_4arch9wavefront6targetE1EEEvT1_,"axG",@progbits,_ZN7rocprim17ROCPRIM_400000_NS6detail17trampoline_kernelINS0_14default_configENS1_20scan_config_selectorIjEEZZNS1_9scan_implILNS1_25lookback_scan_determinismE0ELb1ELb1ES3_N6thrust23THRUST_200600_302600_NS6detail15normal_iteratorINS9_10device_ptrIjEEEESE_jNS9_4plusIvEEjEEDaPvRmT3_T4_T5_mT6_P12ihipStream_tbENKUlT_T0_E_clISt17integral_constantIbLb0EEST_IbLb1EEEEDaSP_SQ_EUlSP_E_NS1_11comp_targetILNS1_3genE3ELNS1_11target_archE908ELNS1_3gpuE7ELNS1_3repE0EEENS1_30default_config_static_selectorELNS0_4arch9wavefront6targetE1EEEvT1_,comdat
	.protected	_ZN7rocprim17ROCPRIM_400000_NS6detail17trampoline_kernelINS0_14default_configENS1_20scan_config_selectorIjEEZZNS1_9scan_implILNS1_25lookback_scan_determinismE0ELb1ELb1ES3_N6thrust23THRUST_200600_302600_NS6detail15normal_iteratorINS9_10device_ptrIjEEEESE_jNS9_4plusIvEEjEEDaPvRmT3_T4_T5_mT6_P12ihipStream_tbENKUlT_T0_E_clISt17integral_constantIbLb0EEST_IbLb1EEEEDaSP_SQ_EUlSP_E_NS1_11comp_targetILNS1_3genE3ELNS1_11target_archE908ELNS1_3gpuE7ELNS1_3repE0EEENS1_30default_config_static_selectorELNS0_4arch9wavefront6targetE1EEEvT1_ ; -- Begin function _ZN7rocprim17ROCPRIM_400000_NS6detail17trampoline_kernelINS0_14default_configENS1_20scan_config_selectorIjEEZZNS1_9scan_implILNS1_25lookback_scan_determinismE0ELb1ELb1ES3_N6thrust23THRUST_200600_302600_NS6detail15normal_iteratorINS9_10device_ptrIjEEEESE_jNS9_4plusIvEEjEEDaPvRmT3_T4_T5_mT6_P12ihipStream_tbENKUlT_T0_E_clISt17integral_constantIbLb0EEST_IbLb1EEEEDaSP_SQ_EUlSP_E_NS1_11comp_targetILNS1_3genE3ELNS1_11target_archE908ELNS1_3gpuE7ELNS1_3repE0EEENS1_30default_config_static_selectorELNS0_4arch9wavefront6targetE1EEEvT1_
	.globl	_ZN7rocprim17ROCPRIM_400000_NS6detail17trampoline_kernelINS0_14default_configENS1_20scan_config_selectorIjEEZZNS1_9scan_implILNS1_25lookback_scan_determinismE0ELb1ELb1ES3_N6thrust23THRUST_200600_302600_NS6detail15normal_iteratorINS9_10device_ptrIjEEEESE_jNS9_4plusIvEEjEEDaPvRmT3_T4_T5_mT6_P12ihipStream_tbENKUlT_T0_E_clISt17integral_constantIbLb0EEST_IbLb1EEEEDaSP_SQ_EUlSP_E_NS1_11comp_targetILNS1_3genE3ELNS1_11target_archE908ELNS1_3gpuE7ELNS1_3repE0EEENS1_30default_config_static_selectorELNS0_4arch9wavefront6targetE1EEEvT1_
	.p2align	8
	.type	_ZN7rocprim17ROCPRIM_400000_NS6detail17trampoline_kernelINS0_14default_configENS1_20scan_config_selectorIjEEZZNS1_9scan_implILNS1_25lookback_scan_determinismE0ELb1ELb1ES3_N6thrust23THRUST_200600_302600_NS6detail15normal_iteratorINS9_10device_ptrIjEEEESE_jNS9_4plusIvEEjEEDaPvRmT3_T4_T5_mT6_P12ihipStream_tbENKUlT_T0_E_clISt17integral_constantIbLb0EEST_IbLb1EEEEDaSP_SQ_EUlSP_E_NS1_11comp_targetILNS1_3genE3ELNS1_11target_archE908ELNS1_3gpuE7ELNS1_3repE0EEENS1_30default_config_static_selectorELNS0_4arch9wavefront6targetE1EEEvT1_,@function
_ZN7rocprim17ROCPRIM_400000_NS6detail17trampoline_kernelINS0_14default_configENS1_20scan_config_selectorIjEEZZNS1_9scan_implILNS1_25lookback_scan_determinismE0ELb1ELb1ES3_N6thrust23THRUST_200600_302600_NS6detail15normal_iteratorINS9_10device_ptrIjEEEESE_jNS9_4plusIvEEjEEDaPvRmT3_T4_T5_mT6_P12ihipStream_tbENKUlT_T0_E_clISt17integral_constantIbLb0EEST_IbLb1EEEEDaSP_SQ_EUlSP_E_NS1_11comp_targetILNS1_3genE3ELNS1_11target_archE908ELNS1_3gpuE7ELNS1_3repE0EEENS1_30default_config_static_selectorELNS0_4arch9wavefront6targetE1EEEvT1_: ; @_ZN7rocprim17ROCPRIM_400000_NS6detail17trampoline_kernelINS0_14default_configENS1_20scan_config_selectorIjEEZZNS1_9scan_implILNS1_25lookback_scan_determinismE0ELb1ELb1ES3_N6thrust23THRUST_200600_302600_NS6detail15normal_iteratorINS9_10device_ptrIjEEEESE_jNS9_4plusIvEEjEEDaPvRmT3_T4_T5_mT6_P12ihipStream_tbENKUlT_T0_E_clISt17integral_constantIbLb0EEST_IbLb1EEEEDaSP_SQ_EUlSP_E_NS1_11comp_targetILNS1_3genE3ELNS1_11target_archE908ELNS1_3gpuE7ELNS1_3repE0EEENS1_30default_config_static_selectorELNS0_4arch9wavefront6targetE1EEEvT1_
; %bb.0:
	.section	.rodata,"a",@progbits
	.p2align	6, 0x0
	.amdhsa_kernel _ZN7rocprim17ROCPRIM_400000_NS6detail17trampoline_kernelINS0_14default_configENS1_20scan_config_selectorIjEEZZNS1_9scan_implILNS1_25lookback_scan_determinismE0ELb1ELb1ES3_N6thrust23THRUST_200600_302600_NS6detail15normal_iteratorINS9_10device_ptrIjEEEESE_jNS9_4plusIvEEjEEDaPvRmT3_T4_T5_mT6_P12ihipStream_tbENKUlT_T0_E_clISt17integral_constantIbLb0EEST_IbLb1EEEEDaSP_SQ_EUlSP_E_NS1_11comp_targetILNS1_3genE3ELNS1_11target_archE908ELNS1_3gpuE7ELNS1_3repE0EEENS1_30default_config_static_selectorELNS0_4arch9wavefront6targetE1EEEvT1_
		.amdhsa_group_segment_fixed_size 0
		.amdhsa_private_segment_fixed_size 0
		.amdhsa_kernarg_size 96
		.amdhsa_user_sgpr_count 6
		.amdhsa_user_sgpr_private_segment_buffer 1
		.amdhsa_user_sgpr_dispatch_ptr 0
		.amdhsa_user_sgpr_queue_ptr 0
		.amdhsa_user_sgpr_kernarg_segment_ptr 1
		.amdhsa_user_sgpr_dispatch_id 0
		.amdhsa_user_sgpr_flat_scratch_init 0
		.amdhsa_user_sgpr_kernarg_preload_length 0
		.amdhsa_user_sgpr_kernarg_preload_offset 0
		.amdhsa_user_sgpr_private_segment_size 0
		.amdhsa_uses_dynamic_stack 0
		.amdhsa_system_sgpr_private_segment_wavefront_offset 0
		.amdhsa_system_sgpr_workgroup_id_x 1
		.amdhsa_system_sgpr_workgroup_id_y 0
		.amdhsa_system_sgpr_workgroup_id_z 0
		.amdhsa_system_sgpr_workgroup_info 0
		.amdhsa_system_vgpr_workitem_id 0
		.amdhsa_next_free_vgpr 1
		.amdhsa_next_free_sgpr 0
		.amdhsa_accum_offset 4
		.amdhsa_reserve_vcc 0
		.amdhsa_reserve_flat_scratch 0
		.amdhsa_float_round_mode_32 0
		.amdhsa_float_round_mode_16_64 0
		.amdhsa_float_denorm_mode_32 3
		.amdhsa_float_denorm_mode_16_64 3
		.amdhsa_dx10_clamp 1
		.amdhsa_ieee_mode 1
		.amdhsa_fp16_overflow 0
		.amdhsa_tg_split 0
		.amdhsa_exception_fp_ieee_invalid_op 0
		.amdhsa_exception_fp_denorm_src 0
		.amdhsa_exception_fp_ieee_div_zero 0
		.amdhsa_exception_fp_ieee_overflow 0
		.amdhsa_exception_fp_ieee_underflow 0
		.amdhsa_exception_fp_ieee_inexact 0
		.amdhsa_exception_int_div_zero 0
	.end_amdhsa_kernel
	.section	.text._ZN7rocprim17ROCPRIM_400000_NS6detail17trampoline_kernelINS0_14default_configENS1_20scan_config_selectorIjEEZZNS1_9scan_implILNS1_25lookback_scan_determinismE0ELb1ELb1ES3_N6thrust23THRUST_200600_302600_NS6detail15normal_iteratorINS9_10device_ptrIjEEEESE_jNS9_4plusIvEEjEEDaPvRmT3_T4_T5_mT6_P12ihipStream_tbENKUlT_T0_E_clISt17integral_constantIbLb0EEST_IbLb1EEEEDaSP_SQ_EUlSP_E_NS1_11comp_targetILNS1_3genE3ELNS1_11target_archE908ELNS1_3gpuE7ELNS1_3repE0EEENS1_30default_config_static_selectorELNS0_4arch9wavefront6targetE1EEEvT1_,"axG",@progbits,_ZN7rocprim17ROCPRIM_400000_NS6detail17trampoline_kernelINS0_14default_configENS1_20scan_config_selectorIjEEZZNS1_9scan_implILNS1_25lookback_scan_determinismE0ELb1ELb1ES3_N6thrust23THRUST_200600_302600_NS6detail15normal_iteratorINS9_10device_ptrIjEEEESE_jNS9_4plusIvEEjEEDaPvRmT3_T4_T5_mT6_P12ihipStream_tbENKUlT_T0_E_clISt17integral_constantIbLb0EEST_IbLb1EEEEDaSP_SQ_EUlSP_E_NS1_11comp_targetILNS1_3genE3ELNS1_11target_archE908ELNS1_3gpuE7ELNS1_3repE0EEENS1_30default_config_static_selectorELNS0_4arch9wavefront6targetE1EEEvT1_,comdat
.Lfunc_end4703:
	.size	_ZN7rocprim17ROCPRIM_400000_NS6detail17trampoline_kernelINS0_14default_configENS1_20scan_config_selectorIjEEZZNS1_9scan_implILNS1_25lookback_scan_determinismE0ELb1ELb1ES3_N6thrust23THRUST_200600_302600_NS6detail15normal_iteratorINS9_10device_ptrIjEEEESE_jNS9_4plusIvEEjEEDaPvRmT3_T4_T5_mT6_P12ihipStream_tbENKUlT_T0_E_clISt17integral_constantIbLb0EEST_IbLb1EEEEDaSP_SQ_EUlSP_E_NS1_11comp_targetILNS1_3genE3ELNS1_11target_archE908ELNS1_3gpuE7ELNS1_3repE0EEENS1_30default_config_static_selectorELNS0_4arch9wavefront6targetE1EEEvT1_, .Lfunc_end4703-_ZN7rocprim17ROCPRIM_400000_NS6detail17trampoline_kernelINS0_14default_configENS1_20scan_config_selectorIjEEZZNS1_9scan_implILNS1_25lookback_scan_determinismE0ELb1ELb1ES3_N6thrust23THRUST_200600_302600_NS6detail15normal_iteratorINS9_10device_ptrIjEEEESE_jNS9_4plusIvEEjEEDaPvRmT3_T4_T5_mT6_P12ihipStream_tbENKUlT_T0_E_clISt17integral_constantIbLb0EEST_IbLb1EEEEDaSP_SQ_EUlSP_E_NS1_11comp_targetILNS1_3genE3ELNS1_11target_archE908ELNS1_3gpuE7ELNS1_3repE0EEENS1_30default_config_static_selectorELNS0_4arch9wavefront6targetE1EEEvT1_
                                        ; -- End function
	.section	.AMDGPU.csdata,"",@progbits
; Kernel info:
; codeLenInByte = 0
; NumSgprs: 4
; NumVgprs: 0
; NumAgprs: 0
; TotalNumVgprs: 0
; ScratchSize: 0
; MemoryBound: 0
; FloatMode: 240
; IeeeMode: 1
; LDSByteSize: 0 bytes/workgroup (compile time only)
; SGPRBlocks: 0
; VGPRBlocks: 0
; NumSGPRsForWavesPerEU: 4
; NumVGPRsForWavesPerEU: 1
; AccumOffset: 4
; Occupancy: 8
; WaveLimiterHint : 0
; COMPUTE_PGM_RSRC2:SCRATCH_EN: 0
; COMPUTE_PGM_RSRC2:USER_SGPR: 6
; COMPUTE_PGM_RSRC2:TRAP_HANDLER: 0
; COMPUTE_PGM_RSRC2:TGID_X_EN: 1
; COMPUTE_PGM_RSRC2:TGID_Y_EN: 0
; COMPUTE_PGM_RSRC2:TGID_Z_EN: 0
; COMPUTE_PGM_RSRC2:TIDIG_COMP_CNT: 0
; COMPUTE_PGM_RSRC3_GFX90A:ACCUM_OFFSET: 0
; COMPUTE_PGM_RSRC3_GFX90A:TG_SPLIT: 0
	.section	.text._ZN7rocprim17ROCPRIM_400000_NS6detail17trampoline_kernelINS0_14default_configENS1_20scan_config_selectorIjEEZZNS1_9scan_implILNS1_25lookback_scan_determinismE0ELb1ELb1ES3_N6thrust23THRUST_200600_302600_NS6detail15normal_iteratorINS9_10device_ptrIjEEEESE_jNS9_4plusIvEEjEEDaPvRmT3_T4_T5_mT6_P12ihipStream_tbENKUlT_T0_E_clISt17integral_constantIbLb0EEST_IbLb1EEEEDaSP_SQ_EUlSP_E_NS1_11comp_targetILNS1_3genE2ELNS1_11target_archE906ELNS1_3gpuE6ELNS1_3repE0EEENS1_30default_config_static_selectorELNS0_4arch9wavefront6targetE1EEEvT1_,"axG",@progbits,_ZN7rocprim17ROCPRIM_400000_NS6detail17trampoline_kernelINS0_14default_configENS1_20scan_config_selectorIjEEZZNS1_9scan_implILNS1_25lookback_scan_determinismE0ELb1ELb1ES3_N6thrust23THRUST_200600_302600_NS6detail15normal_iteratorINS9_10device_ptrIjEEEESE_jNS9_4plusIvEEjEEDaPvRmT3_T4_T5_mT6_P12ihipStream_tbENKUlT_T0_E_clISt17integral_constantIbLb0EEST_IbLb1EEEEDaSP_SQ_EUlSP_E_NS1_11comp_targetILNS1_3genE2ELNS1_11target_archE906ELNS1_3gpuE6ELNS1_3repE0EEENS1_30default_config_static_selectorELNS0_4arch9wavefront6targetE1EEEvT1_,comdat
	.protected	_ZN7rocprim17ROCPRIM_400000_NS6detail17trampoline_kernelINS0_14default_configENS1_20scan_config_selectorIjEEZZNS1_9scan_implILNS1_25lookback_scan_determinismE0ELb1ELb1ES3_N6thrust23THRUST_200600_302600_NS6detail15normal_iteratorINS9_10device_ptrIjEEEESE_jNS9_4plusIvEEjEEDaPvRmT3_T4_T5_mT6_P12ihipStream_tbENKUlT_T0_E_clISt17integral_constantIbLb0EEST_IbLb1EEEEDaSP_SQ_EUlSP_E_NS1_11comp_targetILNS1_3genE2ELNS1_11target_archE906ELNS1_3gpuE6ELNS1_3repE0EEENS1_30default_config_static_selectorELNS0_4arch9wavefront6targetE1EEEvT1_ ; -- Begin function _ZN7rocprim17ROCPRIM_400000_NS6detail17trampoline_kernelINS0_14default_configENS1_20scan_config_selectorIjEEZZNS1_9scan_implILNS1_25lookback_scan_determinismE0ELb1ELb1ES3_N6thrust23THRUST_200600_302600_NS6detail15normal_iteratorINS9_10device_ptrIjEEEESE_jNS9_4plusIvEEjEEDaPvRmT3_T4_T5_mT6_P12ihipStream_tbENKUlT_T0_E_clISt17integral_constantIbLb0EEST_IbLb1EEEEDaSP_SQ_EUlSP_E_NS1_11comp_targetILNS1_3genE2ELNS1_11target_archE906ELNS1_3gpuE6ELNS1_3repE0EEENS1_30default_config_static_selectorELNS0_4arch9wavefront6targetE1EEEvT1_
	.globl	_ZN7rocprim17ROCPRIM_400000_NS6detail17trampoline_kernelINS0_14default_configENS1_20scan_config_selectorIjEEZZNS1_9scan_implILNS1_25lookback_scan_determinismE0ELb1ELb1ES3_N6thrust23THRUST_200600_302600_NS6detail15normal_iteratorINS9_10device_ptrIjEEEESE_jNS9_4plusIvEEjEEDaPvRmT3_T4_T5_mT6_P12ihipStream_tbENKUlT_T0_E_clISt17integral_constantIbLb0EEST_IbLb1EEEEDaSP_SQ_EUlSP_E_NS1_11comp_targetILNS1_3genE2ELNS1_11target_archE906ELNS1_3gpuE6ELNS1_3repE0EEENS1_30default_config_static_selectorELNS0_4arch9wavefront6targetE1EEEvT1_
	.p2align	8
	.type	_ZN7rocprim17ROCPRIM_400000_NS6detail17trampoline_kernelINS0_14default_configENS1_20scan_config_selectorIjEEZZNS1_9scan_implILNS1_25lookback_scan_determinismE0ELb1ELb1ES3_N6thrust23THRUST_200600_302600_NS6detail15normal_iteratorINS9_10device_ptrIjEEEESE_jNS9_4plusIvEEjEEDaPvRmT3_T4_T5_mT6_P12ihipStream_tbENKUlT_T0_E_clISt17integral_constantIbLb0EEST_IbLb1EEEEDaSP_SQ_EUlSP_E_NS1_11comp_targetILNS1_3genE2ELNS1_11target_archE906ELNS1_3gpuE6ELNS1_3repE0EEENS1_30default_config_static_selectorELNS0_4arch9wavefront6targetE1EEEvT1_,@function
_ZN7rocprim17ROCPRIM_400000_NS6detail17trampoline_kernelINS0_14default_configENS1_20scan_config_selectorIjEEZZNS1_9scan_implILNS1_25lookback_scan_determinismE0ELb1ELb1ES3_N6thrust23THRUST_200600_302600_NS6detail15normal_iteratorINS9_10device_ptrIjEEEESE_jNS9_4plusIvEEjEEDaPvRmT3_T4_T5_mT6_P12ihipStream_tbENKUlT_T0_E_clISt17integral_constantIbLb0EEST_IbLb1EEEEDaSP_SQ_EUlSP_E_NS1_11comp_targetILNS1_3genE2ELNS1_11target_archE906ELNS1_3gpuE6ELNS1_3repE0EEENS1_30default_config_static_selectorELNS0_4arch9wavefront6targetE1EEEvT1_: ; @_ZN7rocprim17ROCPRIM_400000_NS6detail17trampoline_kernelINS0_14default_configENS1_20scan_config_selectorIjEEZZNS1_9scan_implILNS1_25lookback_scan_determinismE0ELb1ELb1ES3_N6thrust23THRUST_200600_302600_NS6detail15normal_iteratorINS9_10device_ptrIjEEEESE_jNS9_4plusIvEEjEEDaPvRmT3_T4_T5_mT6_P12ihipStream_tbENKUlT_T0_E_clISt17integral_constantIbLb0EEST_IbLb1EEEEDaSP_SQ_EUlSP_E_NS1_11comp_targetILNS1_3genE2ELNS1_11target_archE906ELNS1_3gpuE6ELNS1_3repE0EEENS1_30default_config_static_selectorELNS0_4arch9wavefront6targetE1EEEvT1_
; %bb.0:
	.section	.rodata,"a",@progbits
	.p2align	6, 0x0
	.amdhsa_kernel _ZN7rocprim17ROCPRIM_400000_NS6detail17trampoline_kernelINS0_14default_configENS1_20scan_config_selectorIjEEZZNS1_9scan_implILNS1_25lookback_scan_determinismE0ELb1ELb1ES3_N6thrust23THRUST_200600_302600_NS6detail15normal_iteratorINS9_10device_ptrIjEEEESE_jNS9_4plusIvEEjEEDaPvRmT3_T4_T5_mT6_P12ihipStream_tbENKUlT_T0_E_clISt17integral_constantIbLb0EEST_IbLb1EEEEDaSP_SQ_EUlSP_E_NS1_11comp_targetILNS1_3genE2ELNS1_11target_archE906ELNS1_3gpuE6ELNS1_3repE0EEENS1_30default_config_static_selectorELNS0_4arch9wavefront6targetE1EEEvT1_
		.amdhsa_group_segment_fixed_size 0
		.amdhsa_private_segment_fixed_size 0
		.amdhsa_kernarg_size 96
		.amdhsa_user_sgpr_count 6
		.amdhsa_user_sgpr_private_segment_buffer 1
		.amdhsa_user_sgpr_dispatch_ptr 0
		.amdhsa_user_sgpr_queue_ptr 0
		.amdhsa_user_sgpr_kernarg_segment_ptr 1
		.amdhsa_user_sgpr_dispatch_id 0
		.amdhsa_user_sgpr_flat_scratch_init 0
		.amdhsa_user_sgpr_kernarg_preload_length 0
		.amdhsa_user_sgpr_kernarg_preload_offset 0
		.amdhsa_user_sgpr_private_segment_size 0
		.amdhsa_uses_dynamic_stack 0
		.amdhsa_system_sgpr_private_segment_wavefront_offset 0
		.amdhsa_system_sgpr_workgroup_id_x 1
		.amdhsa_system_sgpr_workgroup_id_y 0
		.amdhsa_system_sgpr_workgroup_id_z 0
		.amdhsa_system_sgpr_workgroup_info 0
		.amdhsa_system_vgpr_workitem_id 0
		.amdhsa_next_free_vgpr 1
		.amdhsa_next_free_sgpr 0
		.amdhsa_accum_offset 4
		.amdhsa_reserve_vcc 0
		.amdhsa_reserve_flat_scratch 0
		.amdhsa_float_round_mode_32 0
		.amdhsa_float_round_mode_16_64 0
		.amdhsa_float_denorm_mode_32 3
		.amdhsa_float_denorm_mode_16_64 3
		.amdhsa_dx10_clamp 1
		.amdhsa_ieee_mode 1
		.amdhsa_fp16_overflow 0
		.amdhsa_tg_split 0
		.amdhsa_exception_fp_ieee_invalid_op 0
		.amdhsa_exception_fp_denorm_src 0
		.amdhsa_exception_fp_ieee_div_zero 0
		.amdhsa_exception_fp_ieee_overflow 0
		.amdhsa_exception_fp_ieee_underflow 0
		.amdhsa_exception_fp_ieee_inexact 0
		.amdhsa_exception_int_div_zero 0
	.end_amdhsa_kernel
	.section	.text._ZN7rocprim17ROCPRIM_400000_NS6detail17trampoline_kernelINS0_14default_configENS1_20scan_config_selectorIjEEZZNS1_9scan_implILNS1_25lookback_scan_determinismE0ELb1ELb1ES3_N6thrust23THRUST_200600_302600_NS6detail15normal_iteratorINS9_10device_ptrIjEEEESE_jNS9_4plusIvEEjEEDaPvRmT3_T4_T5_mT6_P12ihipStream_tbENKUlT_T0_E_clISt17integral_constantIbLb0EEST_IbLb1EEEEDaSP_SQ_EUlSP_E_NS1_11comp_targetILNS1_3genE2ELNS1_11target_archE906ELNS1_3gpuE6ELNS1_3repE0EEENS1_30default_config_static_selectorELNS0_4arch9wavefront6targetE1EEEvT1_,"axG",@progbits,_ZN7rocprim17ROCPRIM_400000_NS6detail17trampoline_kernelINS0_14default_configENS1_20scan_config_selectorIjEEZZNS1_9scan_implILNS1_25lookback_scan_determinismE0ELb1ELb1ES3_N6thrust23THRUST_200600_302600_NS6detail15normal_iteratorINS9_10device_ptrIjEEEESE_jNS9_4plusIvEEjEEDaPvRmT3_T4_T5_mT6_P12ihipStream_tbENKUlT_T0_E_clISt17integral_constantIbLb0EEST_IbLb1EEEEDaSP_SQ_EUlSP_E_NS1_11comp_targetILNS1_3genE2ELNS1_11target_archE906ELNS1_3gpuE6ELNS1_3repE0EEENS1_30default_config_static_selectorELNS0_4arch9wavefront6targetE1EEEvT1_,comdat
.Lfunc_end4704:
	.size	_ZN7rocprim17ROCPRIM_400000_NS6detail17trampoline_kernelINS0_14default_configENS1_20scan_config_selectorIjEEZZNS1_9scan_implILNS1_25lookback_scan_determinismE0ELb1ELb1ES3_N6thrust23THRUST_200600_302600_NS6detail15normal_iteratorINS9_10device_ptrIjEEEESE_jNS9_4plusIvEEjEEDaPvRmT3_T4_T5_mT6_P12ihipStream_tbENKUlT_T0_E_clISt17integral_constantIbLb0EEST_IbLb1EEEEDaSP_SQ_EUlSP_E_NS1_11comp_targetILNS1_3genE2ELNS1_11target_archE906ELNS1_3gpuE6ELNS1_3repE0EEENS1_30default_config_static_selectorELNS0_4arch9wavefront6targetE1EEEvT1_, .Lfunc_end4704-_ZN7rocprim17ROCPRIM_400000_NS6detail17trampoline_kernelINS0_14default_configENS1_20scan_config_selectorIjEEZZNS1_9scan_implILNS1_25lookback_scan_determinismE0ELb1ELb1ES3_N6thrust23THRUST_200600_302600_NS6detail15normal_iteratorINS9_10device_ptrIjEEEESE_jNS9_4plusIvEEjEEDaPvRmT3_T4_T5_mT6_P12ihipStream_tbENKUlT_T0_E_clISt17integral_constantIbLb0EEST_IbLb1EEEEDaSP_SQ_EUlSP_E_NS1_11comp_targetILNS1_3genE2ELNS1_11target_archE906ELNS1_3gpuE6ELNS1_3repE0EEENS1_30default_config_static_selectorELNS0_4arch9wavefront6targetE1EEEvT1_
                                        ; -- End function
	.section	.AMDGPU.csdata,"",@progbits
; Kernel info:
; codeLenInByte = 0
; NumSgprs: 4
; NumVgprs: 0
; NumAgprs: 0
; TotalNumVgprs: 0
; ScratchSize: 0
; MemoryBound: 0
; FloatMode: 240
; IeeeMode: 1
; LDSByteSize: 0 bytes/workgroup (compile time only)
; SGPRBlocks: 0
; VGPRBlocks: 0
; NumSGPRsForWavesPerEU: 4
; NumVGPRsForWavesPerEU: 1
; AccumOffset: 4
; Occupancy: 8
; WaveLimiterHint : 0
; COMPUTE_PGM_RSRC2:SCRATCH_EN: 0
; COMPUTE_PGM_RSRC2:USER_SGPR: 6
; COMPUTE_PGM_RSRC2:TRAP_HANDLER: 0
; COMPUTE_PGM_RSRC2:TGID_X_EN: 1
; COMPUTE_PGM_RSRC2:TGID_Y_EN: 0
; COMPUTE_PGM_RSRC2:TGID_Z_EN: 0
; COMPUTE_PGM_RSRC2:TIDIG_COMP_CNT: 0
; COMPUTE_PGM_RSRC3_GFX90A:ACCUM_OFFSET: 0
; COMPUTE_PGM_RSRC3_GFX90A:TG_SPLIT: 0
	.section	.text._ZN7rocprim17ROCPRIM_400000_NS6detail17trampoline_kernelINS0_14default_configENS1_20scan_config_selectorIjEEZZNS1_9scan_implILNS1_25lookback_scan_determinismE0ELb1ELb1ES3_N6thrust23THRUST_200600_302600_NS6detail15normal_iteratorINS9_10device_ptrIjEEEESE_jNS9_4plusIvEEjEEDaPvRmT3_T4_T5_mT6_P12ihipStream_tbENKUlT_T0_E_clISt17integral_constantIbLb0EEST_IbLb1EEEEDaSP_SQ_EUlSP_E_NS1_11comp_targetILNS1_3genE10ELNS1_11target_archE1201ELNS1_3gpuE5ELNS1_3repE0EEENS1_30default_config_static_selectorELNS0_4arch9wavefront6targetE1EEEvT1_,"axG",@progbits,_ZN7rocprim17ROCPRIM_400000_NS6detail17trampoline_kernelINS0_14default_configENS1_20scan_config_selectorIjEEZZNS1_9scan_implILNS1_25lookback_scan_determinismE0ELb1ELb1ES3_N6thrust23THRUST_200600_302600_NS6detail15normal_iteratorINS9_10device_ptrIjEEEESE_jNS9_4plusIvEEjEEDaPvRmT3_T4_T5_mT6_P12ihipStream_tbENKUlT_T0_E_clISt17integral_constantIbLb0EEST_IbLb1EEEEDaSP_SQ_EUlSP_E_NS1_11comp_targetILNS1_3genE10ELNS1_11target_archE1201ELNS1_3gpuE5ELNS1_3repE0EEENS1_30default_config_static_selectorELNS0_4arch9wavefront6targetE1EEEvT1_,comdat
	.protected	_ZN7rocprim17ROCPRIM_400000_NS6detail17trampoline_kernelINS0_14default_configENS1_20scan_config_selectorIjEEZZNS1_9scan_implILNS1_25lookback_scan_determinismE0ELb1ELb1ES3_N6thrust23THRUST_200600_302600_NS6detail15normal_iteratorINS9_10device_ptrIjEEEESE_jNS9_4plusIvEEjEEDaPvRmT3_T4_T5_mT6_P12ihipStream_tbENKUlT_T0_E_clISt17integral_constantIbLb0EEST_IbLb1EEEEDaSP_SQ_EUlSP_E_NS1_11comp_targetILNS1_3genE10ELNS1_11target_archE1201ELNS1_3gpuE5ELNS1_3repE0EEENS1_30default_config_static_selectorELNS0_4arch9wavefront6targetE1EEEvT1_ ; -- Begin function _ZN7rocprim17ROCPRIM_400000_NS6detail17trampoline_kernelINS0_14default_configENS1_20scan_config_selectorIjEEZZNS1_9scan_implILNS1_25lookback_scan_determinismE0ELb1ELb1ES3_N6thrust23THRUST_200600_302600_NS6detail15normal_iteratorINS9_10device_ptrIjEEEESE_jNS9_4plusIvEEjEEDaPvRmT3_T4_T5_mT6_P12ihipStream_tbENKUlT_T0_E_clISt17integral_constantIbLb0EEST_IbLb1EEEEDaSP_SQ_EUlSP_E_NS1_11comp_targetILNS1_3genE10ELNS1_11target_archE1201ELNS1_3gpuE5ELNS1_3repE0EEENS1_30default_config_static_selectorELNS0_4arch9wavefront6targetE1EEEvT1_
	.globl	_ZN7rocprim17ROCPRIM_400000_NS6detail17trampoline_kernelINS0_14default_configENS1_20scan_config_selectorIjEEZZNS1_9scan_implILNS1_25lookback_scan_determinismE0ELb1ELb1ES3_N6thrust23THRUST_200600_302600_NS6detail15normal_iteratorINS9_10device_ptrIjEEEESE_jNS9_4plusIvEEjEEDaPvRmT3_T4_T5_mT6_P12ihipStream_tbENKUlT_T0_E_clISt17integral_constantIbLb0EEST_IbLb1EEEEDaSP_SQ_EUlSP_E_NS1_11comp_targetILNS1_3genE10ELNS1_11target_archE1201ELNS1_3gpuE5ELNS1_3repE0EEENS1_30default_config_static_selectorELNS0_4arch9wavefront6targetE1EEEvT1_
	.p2align	8
	.type	_ZN7rocprim17ROCPRIM_400000_NS6detail17trampoline_kernelINS0_14default_configENS1_20scan_config_selectorIjEEZZNS1_9scan_implILNS1_25lookback_scan_determinismE0ELb1ELb1ES3_N6thrust23THRUST_200600_302600_NS6detail15normal_iteratorINS9_10device_ptrIjEEEESE_jNS9_4plusIvEEjEEDaPvRmT3_T4_T5_mT6_P12ihipStream_tbENKUlT_T0_E_clISt17integral_constantIbLb0EEST_IbLb1EEEEDaSP_SQ_EUlSP_E_NS1_11comp_targetILNS1_3genE10ELNS1_11target_archE1201ELNS1_3gpuE5ELNS1_3repE0EEENS1_30default_config_static_selectorELNS0_4arch9wavefront6targetE1EEEvT1_,@function
_ZN7rocprim17ROCPRIM_400000_NS6detail17trampoline_kernelINS0_14default_configENS1_20scan_config_selectorIjEEZZNS1_9scan_implILNS1_25lookback_scan_determinismE0ELb1ELb1ES3_N6thrust23THRUST_200600_302600_NS6detail15normal_iteratorINS9_10device_ptrIjEEEESE_jNS9_4plusIvEEjEEDaPvRmT3_T4_T5_mT6_P12ihipStream_tbENKUlT_T0_E_clISt17integral_constantIbLb0EEST_IbLb1EEEEDaSP_SQ_EUlSP_E_NS1_11comp_targetILNS1_3genE10ELNS1_11target_archE1201ELNS1_3gpuE5ELNS1_3repE0EEENS1_30default_config_static_selectorELNS0_4arch9wavefront6targetE1EEEvT1_: ; @_ZN7rocprim17ROCPRIM_400000_NS6detail17trampoline_kernelINS0_14default_configENS1_20scan_config_selectorIjEEZZNS1_9scan_implILNS1_25lookback_scan_determinismE0ELb1ELb1ES3_N6thrust23THRUST_200600_302600_NS6detail15normal_iteratorINS9_10device_ptrIjEEEESE_jNS9_4plusIvEEjEEDaPvRmT3_T4_T5_mT6_P12ihipStream_tbENKUlT_T0_E_clISt17integral_constantIbLb0EEST_IbLb1EEEEDaSP_SQ_EUlSP_E_NS1_11comp_targetILNS1_3genE10ELNS1_11target_archE1201ELNS1_3gpuE5ELNS1_3repE0EEENS1_30default_config_static_selectorELNS0_4arch9wavefront6targetE1EEEvT1_
; %bb.0:
	.section	.rodata,"a",@progbits
	.p2align	6, 0x0
	.amdhsa_kernel _ZN7rocprim17ROCPRIM_400000_NS6detail17trampoline_kernelINS0_14default_configENS1_20scan_config_selectorIjEEZZNS1_9scan_implILNS1_25lookback_scan_determinismE0ELb1ELb1ES3_N6thrust23THRUST_200600_302600_NS6detail15normal_iteratorINS9_10device_ptrIjEEEESE_jNS9_4plusIvEEjEEDaPvRmT3_T4_T5_mT6_P12ihipStream_tbENKUlT_T0_E_clISt17integral_constantIbLb0EEST_IbLb1EEEEDaSP_SQ_EUlSP_E_NS1_11comp_targetILNS1_3genE10ELNS1_11target_archE1201ELNS1_3gpuE5ELNS1_3repE0EEENS1_30default_config_static_selectorELNS0_4arch9wavefront6targetE1EEEvT1_
		.amdhsa_group_segment_fixed_size 0
		.amdhsa_private_segment_fixed_size 0
		.amdhsa_kernarg_size 96
		.amdhsa_user_sgpr_count 6
		.amdhsa_user_sgpr_private_segment_buffer 1
		.amdhsa_user_sgpr_dispatch_ptr 0
		.amdhsa_user_sgpr_queue_ptr 0
		.amdhsa_user_sgpr_kernarg_segment_ptr 1
		.amdhsa_user_sgpr_dispatch_id 0
		.amdhsa_user_sgpr_flat_scratch_init 0
		.amdhsa_user_sgpr_kernarg_preload_length 0
		.amdhsa_user_sgpr_kernarg_preload_offset 0
		.amdhsa_user_sgpr_private_segment_size 0
		.amdhsa_uses_dynamic_stack 0
		.amdhsa_system_sgpr_private_segment_wavefront_offset 0
		.amdhsa_system_sgpr_workgroup_id_x 1
		.amdhsa_system_sgpr_workgroup_id_y 0
		.amdhsa_system_sgpr_workgroup_id_z 0
		.amdhsa_system_sgpr_workgroup_info 0
		.amdhsa_system_vgpr_workitem_id 0
		.amdhsa_next_free_vgpr 1
		.amdhsa_next_free_sgpr 0
		.amdhsa_accum_offset 4
		.amdhsa_reserve_vcc 0
		.amdhsa_reserve_flat_scratch 0
		.amdhsa_float_round_mode_32 0
		.amdhsa_float_round_mode_16_64 0
		.amdhsa_float_denorm_mode_32 3
		.amdhsa_float_denorm_mode_16_64 3
		.amdhsa_dx10_clamp 1
		.amdhsa_ieee_mode 1
		.amdhsa_fp16_overflow 0
		.amdhsa_tg_split 0
		.amdhsa_exception_fp_ieee_invalid_op 0
		.amdhsa_exception_fp_denorm_src 0
		.amdhsa_exception_fp_ieee_div_zero 0
		.amdhsa_exception_fp_ieee_overflow 0
		.amdhsa_exception_fp_ieee_underflow 0
		.amdhsa_exception_fp_ieee_inexact 0
		.amdhsa_exception_int_div_zero 0
	.end_amdhsa_kernel
	.section	.text._ZN7rocprim17ROCPRIM_400000_NS6detail17trampoline_kernelINS0_14default_configENS1_20scan_config_selectorIjEEZZNS1_9scan_implILNS1_25lookback_scan_determinismE0ELb1ELb1ES3_N6thrust23THRUST_200600_302600_NS6detail15normal_iteratorINS9_10device_ptrIjEEEESE_jNS9_4plusIvEEjEEDaPvRmT3_T4_T5_mT6_P12ihipStream_tbENKUlT_T0_E_clISt17integral_constantIbLb0EEST_IbLb1EEEEDaSP_SQ_EUlSP_E_NS1_11comp_targetILNS1_3genE10ELNS1_11target_archE1201ELNS1_3gpuE5ELNS1_3repE0EEENS1_30default_config_static_selectorELNS0_4arch9wavefront6targetE1EEEvT1_,"axG",@progbits,_ZN7rocprim17ROCPRIM_400000_NS6detail17trampoline_kernelINS0_14default_configENS1_20scan_config_selectorIjEEZZNS1_9scan_implILNS1_25lookback_scan_determinismE0ELb1ELb1ES3_N6thrust23THRUST_200600_302600_NS6detail15normal_iteratorINS9_10device_ptrIjEEEESE_jNS9_4plusIvEEjEEDaPvRmT3_T4_T5_mT6_P12ihipStream_tbENKUlT_T0_E_clISt17integral_constantIbLb0EEST_IbLb1EEEEDaSP_SQ_EUlSP_E_NS1_11comp_targetILNS1_3genE10ELNS1_11target_archE1201ELNS1_3gpuE5ELNS1_3repE0EEENS1_30default_config_static_selectorELNS0_4arch9wavefront6targetE1EEEvT1_,comdat
.Lfunc_end4705:
	.size	_ZN7rocprim17ROCPRIM_400000_NS6detail17trampoline_kernelINS0_14default_configENS1_20scan_config_selectorIjEEZZNS1_9scan_implILNS1_25lookback_scan_determinismE0ELb1ELb1ES3_N6thrust23THRUST_200600_302600_NS6detail15normal_iteratorINS9_10device_ptrIjEEEESE_jNS9_4plusIvEEjEEDaPvRmT3_T4_T5_mT6_P12ihipStream_tbENKUlT_T0_E_clISt17integral_constantIbLb0EEST_IbLb1EEEEDaSP_SQ_EUlSP_E_NS1_11comp_targetILNS1_3genE10ELNS1_11target_archE1201ELNS1_3gpuE5ELNS1_3repE0EEENS1_30default_config_static_selectorELNS0_4arch9wavefront6targetE1EEEvT1_, .Lfunc_end4705-_ZN7rocprim17ROCPRIM_400000_NS6detail17trampoline_kernelINS0_14default_configENS1_20scan_config_selectorIjEEZZNS1_9scan_implILNS1_25lookback_scan_determinismE0ELb1ELb1ES3_N6thrust23THRUST_200600_302600_NS6detail15normal_iteratorINS9_10device_ptrIjEEEESE_jNS9_4plusIvEEjEEDaPvRmT3_T4_T5_mT6_P12ihipStream_tbENKUlT_T0_E_clISt17integral_constantIbLb0EEST_IbLb1EEEEDaSP_SQ_EUlSP_E_NS1_11comp_targetILNS1_3genE10ELNS1_11target_archE1201ELNS1_3gpuE5ELNS1_3repE0EEENS1_30default_config_static_selectorELNS0_4arch9wavefront6targetE1EEEvT1_
                                        ; -- End function
	.section	.AMDGPU.csdata,"",@progbits
; Kernel info:
; codeLenInByte = 0
; NumSgprs: 4
; NumVgprs: 0
; NumAgprs: 0
; TotalNumVgprs: 0
; ScratchSize: 0
; MemoryBound: 0
; FloatMode: 240
; IeeeMode: 1
; LDSByteSize: 0 bytes/workgroup (compile time only)
; SGPRBlocks: 0
; VGPRBlocks: 0
; NumSGPRsForWavesPerEU: 4
; NumVGPRsForWavesPerEU: 1
; AccumOffset: 4
; Occupancy: 8
; WaveLimiterHint : 0
; COMPUTE_PGM_RSRC2:SCRATCH_EN: 0
; COMPUTE_PGM_RSRC2:USER_SGPR: 6
; COMPUTE_PGM_RSRC2:TRAP_HANDLER: 0
; COMPUTE_PGM_RSRC2:TGID_X_EN: 1
; COMPUTE_PGM_RSRC2:TGID_Y_EN: 0
; COMPUTE_PGM_RSRC2:TGID_Z_EN: 0
; COMPUTE_PGM_RSRC2:TIDIG_COMP_CNT: 0
; COMPUTE_PGM_RSRC3_GFX90A:ACCUM_OFFSET: 0
; COMPUTE_PGM_RSRC3_GFX90A:TG_SPLIT: 0
	.section	.text._ZN7rocprim17ROCPRIM_400000_NS6detail17trampoline_kernelINS0_14default_configENS1_20scan_config_selectorIjEEZZNS1_9scan_implILNS1_25lookback_scan_determinismE0ELb1ELb1ES3_N6thrust23THRUST_200600_302600_NS6detail15normal_iteratorINS9_10device_ptrIjEEEESE_jNS9_4plusIvEEjEEDaPvRmT3_T4_T5_mT6_P12ihipStream_tbENKUlT_T0_E_clISt17integral_constantIbLb0EEST_IbLb1EEEEDaSP_SQ_EUlSP_E_NS1_11comp_targetILNS1_3genE10ELNS1_11target_archE1200ELNS1_3gpuE4ELNS1_3repE0EEENS1_30default_config_static_selectorELNS0_4arch9wavefront6targetE1EEEvT1_,"axG",@progbits,_ZN7rocprim17ROCPRIM_400000_NS6detail17trampoline_kernelINS0_14default_configENS1_20scan_config_selectorIjEEZZNS1_9scan_implILNS1_25lookback_scan_determinismE0ELb1ELb1ES3_N6thrust23THRUST_200600_302600_NS6detail15normal_iteratorINS9_10device_ptrIjEEEESE_jNS9_4plusIvEEjEEDaPvRmT3_T4_T5_mT6_P12ihipStream_tbENKUlT_T0_E_clISt17integral_constantIbLb0EEST_IbLb1EEEEDaSP_SQ_EUlSP_E_NS1_11comp_targetILNS1_3genE10ELNS1_11target_archE1200ELNS1_3gpuE4ELNS1_3repE0EEENS1_30default_config_static_selectorELNS0_4arch9wavefront6targetE1EEEvT1_,comdat
	.protected	_ZN7rocprim17ROCPRIM_400000_NS6detail17trampoline_kernelINS0_14default_configENS1_20scan_config_selectorIjEEZZNS1_9scan_implILNS1_25lookback_scan_determinismE0ELb1ELb1ES3_N6thrust23THRUST_200600_302600_NS6detail15normal_iteratorINS9_10device_ptrIjEEEESE_jNS9_4plusIvEEjEEDaPvRmT3_T4_T5_mT6_P12ihipStream_tbENKUlT_T0_E_clISt17integral_constantIbLb0EEST_IbLb1EEEEDaSP_SQ_EUlSP_E_NS1_11comp_targetILNS1_3genE10ELNS1_11target_archE1200ELNS1_3gpuE4ELNS1_3repE0EEENS1_30default_config_static_selectorELNS0_4arch9wavefront6targetE1EEEvT1_ ; -- Begin function _ZN7rocprim17ROCPRIM_400000_NS6detail17trampoline_kernelINS0_14default_configENS1_20scan_config_selectorIjEEZZNS1_9scan_implILNS1_25lookback_scan_determinismE0ELb1ELb1ES3_N6thrust23THRUST_200600_302600_NS6detail15normal_iteratorINS9_10device_ptrIjEEEESE_jNS9_4plusIvEEjEEDaPvRmT3_T4_T5_mT6_P12ihipStream_tbENKUlT_T0_E_clISt17integral_constantIbLb0EEST_IbLb1EEEEDaSP_SQ_EUlSP_E_NS1_11comp_targetILNS1_3genE10ELNS1_11target_archE1200ELNS1_3gpuE4ELNS1_3repE0EEENS1_30default_config_static_selectorELNS0_4arch9wavefront6targetE1EEEvT1_
	.globl	_ZN7rocprim17ROCPRIM_400000_NS6detail17trampoline_kernelINS0_14default_configENS1_20scan_config_selectorIjEEZZNS1_9scan_implILNS1_25lookback_scan_determinismE0ELb1ELb1ES3_N6thrust23THRUST_200600_302600_NS6detail15normal_iteratorINS9_10device_ptrIjEEEESE_jNS9_4plusIvEEjEEDaPvRmT3_T4_T5_mT6_P12ihipStream_tbENKUlT_T0_E_clISt17integral_constantIbLb0EEST_IbLb1EEEEDaSP_SQ_EUlSP_E_NS1_11comp_targetILNS1_3genE10ELNS1_11target_archE1200ELNS1_3gpuE4ELNS1_3repE0EEENS1_30default_config_static_selectorELNS0_4arch9wavefront6targetE1EEEvT1_
	.p2align	8
	.type	_ZN7rocprim17ROCPRIM_400000_NS6detail17trampoline_kernelINS0_14default_configENS1_20scan_config_selectorIjEEZZNS1_9scan_implILNS1_25lookback_scan_determinismE0ELb1ELb1ES3_N6thrust23THRUST_200600_302600_NS6detail15normal_iteratorINS9_10device_ptrIjEEEESE_jNS9_4plusIvEEjEEDaPvRmT3_T4_T5_mT6_P12ihipStream_tbENKUlT_T0_E_clISt17integral_constantIbLb0EEST_IbLb1EEEEDaSP_SQ_EUlSP_E_NS1_11comp_targetILNS1_3genE10ELNS1_11target_archE1200ELNS1_3gpuE4ELNS1_3repE0EEENS1_30default_config_static_selectorELNS0_4arch9wavefront6targetE1EEEvT1_,@function
_ZN7rocprim17ROCPRIM_400000_NS6detail17trampoline_kernelINS0_14default_configENS1_20scan_config_selectorIjEEZZNS1_9scan_implILNS1_25lookback_scan_determinismE0ELb1ELb1ES3_N6thrust23THRUST_200600_302600_NS6detail15normal_iteratorINS9_10device_ptrIjEEEESE_jNS9_4plusIvEEjEEDaPvRmT3_T4_T5_mT6_P12ihipStream_tbENKUlT_T0_E_clISt17integral_constantIbLb0EEST_IbLb1EEEEDaSP_SQ_EUlSP_E_NS1_11comp_targetILNS1_3genE10ELNS1_11target_archE1200ELNS1_3gpuE4ELNS1_3repE0EEENS1_30default_config_static_selectorELNS0_4arch9wavefront6targetE1EEEvT1_: ; @_ZN7rocprim17ROCPRIM_400000_NS6detail17trampoline_kernelINS0_14default_configENS1_20scan_config_selectorIjEEZZNS1_9scan_implILNS1_25lookback_scan_determinismE0ELb1ELb1ES3_N6thrust23THRUST_200600_302600_NS6detail15normal_iteratorINS9_10device_ptrIjEEEESE_jNS9_4plusIvEEjEEDaPvRmT3_T4_T5_mT6_P12ihipStream_tbENKUlT_T0_E_clISt17integral_constantIbLb0EEST_IbLb1EEEEDaSP_SQ_EUlSP_E_NS1_11comp_targetILNS1_3genE10ELNS1_11target_archE1200ELNS1_3gpuE4ELNS1_3repE0EEENS1_30default_config_static_selectorELNS0_4arch9wavefront6targetE1EEEvT1_
; %bb.0:
	.section	.rodata,"a",@progbits
	.p2align	6, 0x0
	.amdhsa_kernel _ZN7rocprim17ROCPRIM_400000_NS6detail17trampoline_kernelINS0_14default_configENS1_20scan_config_selectorIjEEZZNS1_9scan_implILNS1_25lookback_scan_determinismE0ELb1ELb1ES3_N6thrust23THRUST_200600_302600_NS6detail15normal_iteratorINS9_10device_ptrIjEEEESE_jNS9_4plusIvEEjEEDaPvRmT3_T4_T5_mT6_P12ihipStream_tbENKUlT_T0_E_clISt17integral_constantIbLb0EEST_IbLb1EEEEDaSP_SQ_EUlSP_E_NS1_11comp_targetILNS1_3genE10ELNS1_11target_archE1200ELNS1_3gpuE4ELNS1_3repE0EEENS1_30default_config_static_selectorELNS0_4arch9wavefront6targetE1EEEvT1_
		.amdhsa_group_segment_fixed_size 0
		.amdhsa_private_segment_fixed_size 0
		.amdhsa_kernarg_size 96
		.amdhsa_user_sgpr_count 6
		.amdhsa_user_sgpr_private_segment_buffer 1
		.amdhsa_user_sgpr_dispatch_ptr 0
		.amdhsa_user_sgpr_queue_ptr 0
		.amdhsa_user_sgpr_kernarg_segment_ptr 1
		.amdhsa_user_sgpr_dispatch_id 0
		.amdhsa_user_sgpr_flat_scratch_init 0
		.amdhsa_user_sgpr_kernarg_preload_length 0
		.amdhsa_user_sgpr_kernarg_preload_offset 0
		.amdhsa_user_sgpr_private_segment_size 0
		.amdhsa_uses_dynamic_stack 0
		.amdhsa_system_sgpr_private_segment_wavefront_offset 0
		.amdhsa_system_sgpr_workgroup_id_x 1
		.amdhsa_system_sgpr_workgroup_id_y 0
		.amdhsa_system_sgpr_workgroup_id_z 0
		.amdhsa_system_sgpr_workgroup_info 0
		.amdhsa_system_vgpr_workitem_id 0
		.amdhsa_next_free_vgpr 1
		.amdhsa_next_free_sgpr 0
		.amdhsa_accum_offset 4
		.amdhsa_reserve_vcc 0
		.amdhsa_reserve_flat_scratch 0
		.amdhsa_float_round_mode_32 0
		.amdhsa_float_round_mode_16_64 0
		.amdhsa_float_denorm_mode_32 3
		.amdhsa_float_denorm_mode_16_64 3
		.amdhsa_dx10_clamp 1
		.amdhsa_ieee_mode 1
		.amdhsa_fp16_overflow 0
		.amdhsa_tg_split 0
		.amdhsa_exception_fp_ieee_invalid_op 0
		.amdhsa_exception_fp_denorm_src 0
		.amdhsa_exception_fp_ieee_div_zero 0
		.amdhsa_exception_fp_ieee_overflow 0
		.amdhsa_exception_fp_ieee_underflow 0
		.amdhsa_exception_fp_ieee_inexact 0
		.amdhsa_exception_int_div_zero 0
	.end_amdhsa_kernel
	.section	.text._ZN7rocprim17ROCPRIM_400000_NS6detail17trampoline_kernelINS0_14default_configENS1_20scan_config_selectorIjEEZZNS1_9scan_implILNS1_25lookback_scan_determinismE0ELb1ELb1ES3_N6thrust23THRUST_200600_302600_NS6detail15normal_iteratorINS9_10device_ptrIjEEEESE_jNS9_4plusIvEEjEEDaPvRmT3_T4_T5_mT6_P12ihipStream_tbENKUlT_T0_E_clISt17integral_constantIbLb0EEST_IbLb1EEEEDaSP_SQ_EUlSP_E_NS1_11comp_targetILNS1_3genE10ELNS1_11target_archE1200ELNS1_3gpuE4ELNS1_3repE0EEENS1_30default_config_static_selectorELNS0_4arch9wavefront6targetE1EEEvT1_,"axG",@progbits,_ZN7rocprim17ROCPRIM_400000_NS6detail17trampoline_kernelINS0_14default_configENS1_20scan_config_selectorIjEEZZNS1_9scan_implILNS1_25lookback_scan_determinismE0ELb1ELb1ES3_N6thrust23THRUST_200600_302600_NS6detail15normal_iteratorINS9_10device_ptrIjEEEESE_jNS9_4plusIvEEjEEDaPvRmT3_T4_T5_mT6_P12ihipStream_tbENKUlT_T0_E_clISt17integral_constantIbLb0EEST_IbLb1EEEEDaSP_SQ_EUlSP_E_NS1_11comp_targetILNS1_3genE10ELNS1_11target_archE1200ELNS1_3gpuE4ELNS1_3repE0EEENS1_30default_config_static_selectorELNS0_4arch9wavefront6targetE1EEEvT1_,comdat
.Lfunc_end4706:
	.size	_ZN7rocprim17ROCPRIM_400000_NS6detail17trampoline_kernelINS0_14default_configENS1_20scan_config_selectorIjEEZZNS1_9scan_implILNS1_25lookback_scan_determinismE0ELb1ELb1ES3_N6thrust23THRUST_200600_302600_NS6detail15normal_iteratorINS9_10device_ptrIjEEEESE_jNS9_4plusIvEEjEEDaPvRmT3_T4_T5_mT6_P12ihipStream_tbENKUlT_T0_E_clISt17integral_constantIbLb0EEST_IbLb1EEEEDaSP_SQ_EUlSP_E_NS1_11comp_targetILNS1_3genE10ELNS1_11target_archE1200ELNS1_3gpuE4ELNS1_3repE0EEENS1_30default_config_static_selectorELNS0_4arch9wavefront6targetE1EEEvT1_, .Lfunc_end4706-_ZN7rocprim17ROCPRIM_400000_NS6detail17trampoline_kernelINS0_14default_configENS1_20scan_config_selectorIjEEZZNS1_9scan_implILNS1_25lookback_scan_determinismE0ELb1ELb1ES3_N6thrust23THRUST_200600_302600_NS6detail15normal_iteratorINS9_10device_ptrIjEEEESE_jNS9_4plusIvEEjEEDaPvRmT3_T4_T5_mT6_P12ihipStream_tbENKUlT_T0_E_clISt17integral_constantIbLb0EEST_IbLb1EEEEDaSP_SQ_EUlSP_E_NS1_11comp_targetILNS1_3genE10ELNS1_11target_archE1200ELNS1_3gpuE4ELNS1_3repE0EEENS1_30default_config_static_selectorELNS0_4arch9wavefront6targetE1EEEvT1_
                                        ; -- End function
	.section	.AMDGPU.csdata,"",@progbits
; Kernel info:
; codeLenInByte = 0
; NumSgprs: 4
; NumVgprs: 0
; NumAgprs: 0
; TotalNumVgprs: 0
; ScratchSize: 0
; MemoryBound: 0
; FloatMode: 240
; IeeeMode: 1
; LDSByteSize: 0 bytes/workgroup (compile time only)
; SGPRBlocks: 0
; VGPRBlocks: 0
; NumSGPRsForWavesPerEU: 4
; NumVGPRsForWavesPerEU: 1
; AccumOffset: 4
; Occupancy: 8
; WaveLimiterHint : 0
; COMPUTE_PGM_RSRC2:SCRATCH_EN: 0
; COMPUTE_PGM_RSRC2:USER_SGPR: 6
; COMPUTE_PGM_RSRC2:TRAP_HANDLER: 0
; COMPUTE_PGM_RSRC2:TGID_X_EN: 1
; COMPUTE_PGM_RSRC2:TGID_Y_EN: 0
; COMPUTE_PGM_RSRC2:TGID_Z_EN: 0
; COMPUTE_PGM_RSRC2:TIDIG_COMP_CNT: 0
; COMPUTE_PGM_RSRC3_GFX90A:ACCUM_OFFSET: 0
; COMPUTE_PGM_RSRC3_GFX90A:TG_SPLIT: 0
	.section	.text._ZN7rocprim17ROCPRIM_400000_NS6detail17trampoline_kernelINS0_14default_configENS1_20scan_config_selectorIjEEZZNS1_9scan_implILNS1_25lookback_scan_determinismE0ELb1ELb1ES3_N6thrust23THRUST_200600_302600_NS6detail15normal_iteratorINS9_10device_ptrIjEEEESE_jNS9_4plusIvEEjEEDaPvRmT3_T4_T5_mT6_P12ihipStream_tbENKUlT_T0_E_clISt17integral_constantIbLb0EEST_IbLb1EEEEDaSP_SQ_EUlSP_E_NS1_11comp_targetILNS1_3genE9ELNS1_11target_archE1100ELNS1_3gpuE3ELNS1_3repE0EEENS1_30default_config_static_selectorELNS0_4arch9wavefront6targetE1EEEvT1_,"axG",@progbits,_ZN7rocprim17ROCPRIM_400000_NS6detail17trampoline_kernelINS0_14default_configENS1_20scan_config_selectorIjEEZZNS1_9scan_implILNS1_25lookback_scan_determinismE0ELb1ELb1ES3_N6thrust23THRUST_200600_302600_NS6detail15normal_iteratorINS9_10device_ptrIjEEEESE_jNS9_4plusIvEEjEEDaPvRmT3_T4_T5_mT6_P12ihipStream_tbENKUlT_T0_E_clISt17integral_constantIbLb0EEST_IbLb1EEEEDaSP_SQ_EUlSP_E_NS1_11comp_targetILNS1_3genE9ELNS1_11target_archE1100ELNS1_3gpuE3ELNS1_3repE0EEENS1_30default_config_static_selectorELNS0_4arch9wavefront6targetE1EEEvT1_,comdat
	.protected	_ZN7rocprim17ROCPRIM_400000_NS6detail17trampoline_kernelINS0_14default_configENS1_20scan_config_selectorIjEEZZNS1_9scan_implILNS1_25lookback_scan_determinismE0ELb1ELb1ES3_N6thrust23THRUST_200600_302600_NS6detail15normal_iteratorINS9_10device_ptrIjEEEESE_jNS9_4plusIvEEjEEDaPvRmT3_T4_T5_mT6_P12ihipStream_tbENKUlT_T0_E_clISt17integral_constantIbLb0EEST_IbLb1EEEEDaSP_SQ_EUlSP_E_NS1_11comp_targetILNS1_3genE9ELNS1_11target_archE1100ELNS1_3gpuE3ELNS1_3repE0EEENS1_30default_config_static_selectorELNS0_4arch9wavefront6targetE1EEEvT1_ ; -- Begin function _ZN7rocprim17ROCPRIM_400000_NS6detail17trampoline_kernelINS0_14default_configENS1_20scan_config_selectorIjEEZZNS1_9scan_implILNS1_25lookback_scan_determinismE0ELb1ELb1ES3_N6thrust23THRUST_200600_302600_NS6detail15normal_iteratorINS9_10device_ptrIjEEEESE_jNS9_4plusIvEEjEEDaPvRmT3_T4_T5_mT6_P12ihipStream_tbENKUlT_T0_E_clISt17integral_constantIbLb0EEST_IbLb1EEEEDaSP_SQ_EUlSP_E_NS1_11comp_targetILNS1_3genE9ELNS1_11target_archE1100ELNS1_3gpuE3ELNS1_3repE0EEENS1_30default_config_static_selectorELNS0_4arch9wavefront6targetE1EEEvT1_
	.globl	_ZN7rocprim17ROCPRIM_400000_NS6detail17trampoline_kernelINS0_14default_configENS1_20scan_config_selectorIjEEZZNS1_9scan_implILNS1_25lookback_scan_determinismE0ELb1ELb1ES3_N6thrust23THRUST_200600_302600_NS6detail15normal_iteratorINS9_10device_ptrIjEEEESE_jNS9_4plusIvEEjEEDaPvRmT3_T4_T5_mT6_P12ihipStream_tbENKUlT_T0_E_clISt17integral_constantIbLb0EEST_IbLb1EEEEDaSP_SQ_EUlSP_E_NS1_11comp_targetILNS1_3genE9ELNS1_11target_archE1100ELNS1_3gpuE3ELNS1_3repE0EEENS1_30default_config_static_selectorELNS0_4arch9wavefront6targetE1EEEvT1_
	.p2align	8
	.type	_ZN7rocprim17ROCPRIM_400000_NS6detail17trampoline_kernelINS0_14default_configENS1_20scan_config_selectorIjEEZZNS1_9scan_implILNS1_25lookback_scan_determinismE0ELb1ELb1ES3_N6thrust23THRUST_200600_302600_NS6detail15normal_iteratorINS9_10device_ptrIjEEEESE_jNS9_4plusIvEEjEEDaPvRmT3_T4_T5_mT6_P12ihipStream_tbENKUlT_T0_E_clISt17integral_constantIbLb0EEST_IbLb1EEEEDaSP_SQ_EUlSP_E_NS1_11comp_targetILNS1_3genE9ELNS1_11target_archE1100ELNS1_3gpuE3ELNS1_3repE0EEENS1_30default_config_static_selectorELNS0_4arch9wavefront6targetE1EEEvT1_,@function
_ZN7rocprim17ROCPRIM_400000_NS6detail17trampoline_kernelINS0_14default_configENS1_20scan_config_selectorIjEEZZNS1_9scan_implILNS1_25lookback_scan_determinismE0ELb1ELb1ES3_N6thrust23THRUST_200600_302600_NS6detail15normal_iteratorINS9_10device_ptrIjEEEESE_jNS9_4plusIvEEjEEDaPvRmT3_T4_T5_mT6_P12ihipStream_tbENKUlT_T0_E_clISt17integral_constantIbLb0EEST_IbLb1EEEEDaSP_SQ_EUlSP_E_NS1_11comp_targetILNS1_3genE9ELNS1_11target_archE1100ELNS1_3gpuE3ELNS1_3repE0EEENS1_30default_config_static_selectorELNS0_4arch9wavefront6targetE1EEEvT1_: ; @_ZN7rocprim17ROCPRIM_400000_NS6detail17trampoline_kernelINS0_14default_configENS1_20scan_config_selectorIjEEZZNS1_9scan_implILNS1_25lookback_scan_determinismE0ELb1ELb1ES3_N6thrust23THRUST_200600_302600_NS6detail15normal_iteratorINS9_10device_ptrIjEEEESE_jNS9_4plusIvEEjEEDaPvRmT3_T4_T5_mT6_P12ihipStream_tbENKUlT_T0_E_clISt17integral_constantIbLb0EEST_IbLb1EEEEDaSP_SQ_EUlSP_E_NS1_11comp_targetILNS1_3genE9ELNS1_11target_archE1100ELNS1_3gpuE3ELNS1_3repE0EEENS1_30default_config_static_selectorELNS0_4arch9wavefront6targetE1EEEvT1_
; %bb.0:
	.section	.rodata,"a",@progbits
	.p2align	6, 0x0
	.amdhsa_kernel _ZN7rocprim17ROCPRIM_400000_NS6detail17trampoline_kernelINS0_14default_configENS1_20scan_config_selectorIjEEZZNS1_9scan_implILNS1_25lookback_scan_determinismE0ELb1ELb1ES3_N6thrust23THRUST_200600_302600_NS6detail15normal_iteratorINS9_10device_ptrIjEEEESE_jNS9_4plusIvEEjEEDaPvRmT3_T4_T5_mT6_P12ihipStream_tbENKUlT_T0_E_clISt17integral_constantIbLb0EEST_IbLb1EEEEDaSP_SQ_EUlSP_E_NS1_11comp_targetILNS1_3genE9ELNS1_11target_archE1100ELNS1_3gpuE3ELNS1_3repE0EEENS1_30default_config_static_selectorELNS0_4arch9wavefront6targetE1EEEvT1_
		.amdhsa_group_segment_fixed_size 0
		.amdhsa_private_segment_fixed_size 0
		.amdhsa_kernarg_size 96
		.amdhsa_user_sgpr_count 6
		.amdhsa_user_sgpr_private_segment_buffer 1
		.amdhsa_user_sgpr_dispatch_ptr 0
		.amdhsa_user_sgpr_queue_ptr 0
		.amdhsa_user_sgpr_kernarg_segment_ptr 1
		.amdhsa_user_sgpr_dispatch_id 0
		.amdhsa_user_sgpr_flat_scratch_init 0
		.amdhsa_user_sgpr_kernarg_preload_length 0
		.amdhsa_user_sgpr_kernarg_preload_offset 0
		.amdhsa_user_sgpr_private_segment_size 0
		.amdhsa_uses_dynamic_stack 0
		.amdhsa_system_sgpr_private_segment_wavefront_offset 0
		.amdhsa_system_sgpr_workgroup_id_x 1
		.amdhsa_system_sgpr_workgroup_id_y 0
		.amdhsa_system_sgpr_workgroup_id_z 0
		.amdhsa_system_sgpr_workgroup_info 0
		.amdhsa_system_vgpr_workitem_id 0
		.amdhsa_next_free_vgpr 1
		.amdhsa_next_free_sgpr 0
		.amdhsa_accum_offset 4
		.amdhsa_reserve_vcc 0
		.amdhsa_reserve_flat_scratch 0
		.amdhsa_float_round_mode_32 0
		.amdhsa_float_round_mode_16_64 0
		.amdhsa_float_denorm_mode_32 3
		.amdhsa_float_denorm_mode_16_64 3
		.amdhsa_dx10_clamp 1
		.amdhsa_ieee_mode 1
		.amdhsa_fp16_overflow 0
		.amdhsa_tg_split 0
		.amdhsa_exception_fp_ieee_invalid_op 0
		.amdhsa_exception_fp_denorm_src 0
		.amdhsa_exception_fp_ieee_div_zero 0
		.amdhsa_exception_fp_ieee_overflow 0
		.amdhsa_exception_fp_ieee_underflow 0
		.amdhsa_exception_fp_ieee_inexact 0
		.amdhsa_exception_int_div_zero 0
	.end_amdhsa_kernel
	.section	.text._ZN7rocprim17ROCPRIM_400000_NS6detail17trampoline_kernelINS0_14default_configENS1_20scan_config_selectorIjEEZZNS1_9scan_implILNS1_25lookback_scan_determinismE0ELb1ELb1ES3_N6thrust23THRUST_200600_302600_NS6detail15normal_iteratorINS9_10device_ptrIjEEEESE_jNS9_4plusIvEEjEEDaPvRmT3_T4_T5_mT6_P12ihipStream_tbENKUlT_T0_E_clISt17integral_constantIbLb0EEST_IbLb1EEEEDaSP_SQ_EUlSP_E_NS1_11comp_targetILNS1_3genE9ELNS1_11target_archE1100ELNS1_3gpuE3ELNS1_3repE0EEENS1_30default_config_static_selectorELNS0_4arch9wavefront6targetE1EEEvT1_,"axG",@progbits,_ZN7rocprim17ROCPRIM_400000_NS6detail17trampoline_kernelINS0_14default_configENS1_20scan_config_selectorIjEEZZNS1_9scan_implILNS1_25lookback_scan_determinismE0ELb1ELb1ES3_N6thrust23THRUST_200600_302600_NS6detail15normal_iteratorINS9_10device_ptrIjEEEESE_jNS9_4plusIvEEjEEDaPvRmT3_T4_T5_mT6_P12ihipStream_tbENKUlT_T0_E_clISt17integral_constantIbLb0EEST_IbLb1EEEEDaSP_SQ_EUlSP_E_NS1_11comp_targetILNS1_3genE9ELNS1_11target_archE1100ELNS1_3gpuE3ELNS1_3repE0EEENS1_30default_config_static_selectorELNS0_4arch9wavefront6targetE1EEEvT1_,comdat
.Lfunc_end4707:
	.size	_ZN7rocprim17ROCPRIM_400000_NS6detail17trampoline_kernelINS0_14default_configENS1_20scan_config_selectorIjEEZZNS1_9scan_implILNS1_25lookback_scan_determinismE0ELb1ELb1ES3_N6thrust23THRUST_200600_302600_NS6detail15normal_iteratorINS9_10device_ptrIjEEEESE_jNS9_4plusIvEEjEEDaPvRmT3_T4_T5_mT6_P12ihipStream_tbENKUlT_T0_E_clISt17integral_constantIbLb0EEST_IbLb1EEEEDaSP_SQ_EUlSP_E_NS1_11comp_targetILNS1_3genE9ELNS1_11target_archE1100ELNS1_3gpuE3ELNS1_3repE0EEENS1_30default_config_static_selectorELNS0_4arch9wavefront6targetE1EEEvT1_, .Lfunc_end4707-_ZN7rocprim17ROCPRIM_400000_NS6detail17trampoline_kernelINS0_14default_configENS1_20scan_config_selectorIjEEZZNS1_9scan_implILNS1_25lookback_scan_determinismE0ELb1ELb1ES3_N6thrust23THRUST_200600_302600_NS6detail15normal_iteratorINS9_10device_ptrIjEEEESE_jNS9_4plusIvEEjEEDaPvRmT3_T4_T5_mT6_P12ihipStream_tbENKUlT_T0_E_clISt17integral_constantIbLb0EEST_IbLb1EEEEDaSP_SQ_EUlSP_E_NS1_11comp_targetILNS1_3genE9ELNS1_11target_archE1100ELNS1_3gpuE3ELNS1_3repE0EEENS1_30default_config_static_selectorELNS0_4arch9wavefront6targetE1EEEvT1_
                                        ; -- End function
	.section	.AMDGPU.csdata,"",@progbits
; Kernel info:
; codeLenInByte = 0
; NumSgprs: 4
; NumVgprs: 0
; NumAgprs: 0
; TotalNumVgprs: 0
; ScratchSize: 0
; MemoryBound: 0
; FloatMode: 240
; IeeeMode: 1
; LDSByteSize: 0 bytes/workgroup (compile time only)
; SGPRBlocks: 0
; VGPRBlocks: 0
; NumSGPRsForWavesPerEU: 4
; NumVGPRsForWavesPerEU: 1
; AccumOffset: 4
; Occupancy: 8
; WaveLimiterHint : 0
; COMPUTE_PGM_RSRC2:SCRATCH_EN: 0
; COMPUTE_PGM_RSRC2:USER_SGPR: 6
; COMPUTE_PGM_RSRC2:TRAP_HANDLER: 0
; COMPUTE_PGM_RSRC2:TGID_X_EN: 1
; COMPUTE_PGM_RSRC2:TGID_Y_EN: 0
; COMPUTE_PGM_RSRC2:TGID_Z_EN: 0
; COMPUTE_PGM_RSRC2:TIDIG_COMP_CNT: 0
; COMPUTE_PGM_RSRC3_GFX90A:ACCUM_OFFSET: 0
; COMPUTE_PGM_RSRC3_GFX90A:TG_SPLIT: 0
	.section	.text._ZN7rocprim17ROCPRIM_400000_NS6detail17trampoline_kernelINS0_14default_configENS1_20scan_config_selectorIjEEZZNS1_9scan_implILNS1_25lookback_scan_determinismE0ELb1ELb1ES3_N6thrust23THRUST_200600_302600_NS6detail15normal_iteratorINS9_10device_ptrIjEEEESE_jNS9_4plusIvEEjEEDaPvRmT3_T4_T5_mT6_P12ihipStream_tbENKUlT_T0_E_clISt17integral_constantIbLb0EEST_IbLb1EEEEDaSP_SQ_EUlSP_E_NS1_11comp_targetILNS1_3genE8ELNS1_11target_archE1030ELNS1_3gpuE2ELNS1_3repE0EEENS1_30default_config_static_selectorELNS0_4arch9wavefront6targetE1EEEvT1_,"axG",@progbits,_ZN7rocprim17ROCPRIM_400000_NS6detail17trampoline_kernelINS0_14default_configENS1_20scan_config_selectorIjEEZZNS1_9scan_implILNS1_25lookback_scan_determinismE0ELb1ELb1ES3_N6thrust23THRUST_200600_302600_NS6detail15normal_iteratorINS9_10device_ptrIjEEEESE_jNS9_4plusIvEEjEEDaPvRmT3_T4_T5_mT6_P12ihipStream_tbENKUlT_T0_E_clISt17integral_constantIbLb0EEST_IbLb1EEEEDaSP_SQ_EUlSP_E_NS1_11comp_targetILNS1_3genE8ELNS1_11target_archE1030ELNS1_3gpuE2ELNS1_3repE0EEENS1_30default_config_static_selectorELNS0_4arch9wavefront6targetE1EEEvT1_,comdat
	.protected	_ZN7rocprim17ROCPRIM_400000_NS6detail17trampoline_kernelINS0_14default_configENS1_20scan_config_selectorIjEEZZNS1_9scan_implILNS1_25lookback_scan_determinismE0ELb1ELb1ES3_N6thrust23THRUST_200600_302600_NS6detail15normal_iteratorINS9_10device_ptrIjEEEESE_jNS9_4plusIvEEjEEDaPvRmT3_T4_T5_mT6_P12ihipStream_tbENKUlT_T0_E_clISt17integral_constantIbLb0EEST_IbLb1EEEEDaSP_SQ_EUlSP_E_NS1_11comp_targetILNS1_3genE8ELNS1_11target_archE1030ELNS1_3gpuE2ELNS1_3repE0EEENS1_30default_config_static_selectorELNS0_4arch9wavefront6targetE1EEEvT1_ ; -- Begin function _ZN7rocprim17ROCPRIM_400000_NS6detail17trampoline_kernelINS0_14default_configENS1_20scan_config_selectorIjEEZZNS1_9scan_implILNS1_25lookback_scan_determinismE0ELb1ELb1ES3_N6thrust23THRUST_200600_302600_NS6detail15normal_iteratorINS9_10device_ptrIjEEEESE_jNS9_4plusIvEEjEEDaPvRmT3_T4_T5_mT6_P12ihipStream_tbENKUlT_T0_E_clISt17integral_constantIbLb0EEST_IbLb1EEEEDaSP_SQ_EUlSP_E_NS1_11comp_targetILNS1_3genE8ELNS1_11target_archE1030ELNS1_3gpuE2ELNS1_3repE0EEENS1_30default_config_static_selectorELNS0_4arch9wavefront6targetE1EEEvT1_
	.globl	_ZN7rocprim17ROCPRIM_400000_NS6detail17trampoline_kernelINS0_14default_configENS1_20scan_config_selectorIjEEZZNS1_9scan_implILNS1_25lookback_scan_determinismE0ELb1ELb1ES3_N6thrust23THRUST_200600_302600_NS6detail15normal_iteratorINS9_10device_ptrIjEEEESE_jNS9_4plusIvEEjEEDaPvRmT3_T4_T5_mT6_P12ihipStream_tbENKUlT_T0_E_clISt17integral_constantIbLb0EEST_IbLb1EEEEDaSP_SQ_EUlSP_E_NS1_11comp_targetILNS1_3genE8ELNS1_11target_archE1030ELNS1_3gpuE2ELNS1_3repE0EEENS1_30default_config_static_selectorELNS0_4arch9wavefront6targetE1EEEvT1_
	.p2align	8
	.type	_ZN7rocprim17ROCPRIM_400000_NS6detail17trampoline_kernelINS0_14default_configENS1_20scan_config_selectorIjEEZZNS1_9scan_implILNS1_25lookback_scan_determinismE0ELb1ELb1ES3_N6thrust23THRUST_200600_302600_NS6detail15normal_iteratorINS9_10device_ptrIjEEEESE_jNS9_4plusIvEEjEEDaPvRmT3_T4_T5_mT6_P12ihipStream_tbENKUlT_T0_E_clISt17integral_constantIbLb0EEST_IbLb1EEEEDaSP_SQ_EUlSP_E_NS1_11comp_targetILNS1_3genE8ELNS1_11target_archE1030ELNS1_3gpuE2ELNS1_3repE0EEENS1_30default_config_static_selectorELNS0_4arch9wavefront6targetE1EEEvT1_,@function
_ZN7rocprim17ROCPRIM_400000_NS6detail17trampoline_kernelINS0_14default_configENS1_20scan_config_selectorIjEEZZNS1_9scan_implILNS1_25lookback_scan_determinismE0ELb1ELb1ES3_N6thrust23THRUST_200600_302600_NS6detail15normal_iteratorINS9_10device_ptrIjEEEESE_jNS9_4plusIvEEjEEDaPvRmT3_T4_T5_mT6_P12ihipStream_tbENKUlT_T0_E_clISt17integral_constantIbLb0EEST_IbLb1EEEEDaSP_SQ_EUlSP_E_NS1_11comp_targetILNS1_3genE8ELNS1_11target_archE1030ELNS1_3gpuE2ELNS1_3repE0EEENS1_30default_config_static_selectorELNS0_4arch9wavefront6targetE1EEEvT1_: ; @_ZN7rocprim17ROCPRIM_400000_NS6detail17trampoline_kernelINS0_14default_configENS1_20scan_config_selectorIjEEZZNS1_9scan_implILNS1_25lookback_scan_determinismE0ELb1ELb1ES3_N6thrust23THRUST_200600_302600_NS6detail15normal_iteratorINS9_10device_ptrIjEEEESE_jNS9_4plusIvEEjEEDaPvRmT3_T4_T5_mT6_P12ihipStream_tbENKUlT_T0_E_clISt17integral_constantIbLb0EEST_IbLb1EEEEDaSP_SQ_EUlSP_E_NS1_11comp_targetILNS1_3genE8ELNS1_11target_archE1030ELNS1_3gpuE2ELNS1_3repE0EEENS1_30default_config_static_selectorELNS0_4arch9wavefront6targetE1EEEvT1_
; %bb.0:
	.section	.rodata,"a",@progbits
	.p2align	6, 0x0
	.amdhsa_kernel _ZN7rocprim17ROCPRIM_400000_NS6detail17trampoline_kernelINS0_14default_configENS1_20scan_config_selectorIjEEZZNS1_9scan_implILNS1_25lookback_scan_determinismE0ELb1ELb1ES3_N6thrust23THRUST_200600_302600_NS6detail15normal_iteratorINS9_10device_ptrIjEEEESE_jNS9_4plusIvEEjEEDaPvRmT3_T4_T5_mT6_P12ihipStream_tbENKUlT_T0_E_clISt17integral_constantIbLb0EEST_IbLb1EEEEDaSP_SQ_EUlSP_E_NS1_11comp_targetILNS1_3genE8ELNS1_11target_archE1030ELNS1_3gpuE2ELNS1_3repE0EEENS1_30default_config_static_selectorELNS0_4arch9wavefront6targetE1EEEvT1_
		.amdhsa_group_segment_fixed_size 0
		.amdhsa_private_segment_fixed_size 0
		.amdhsa_kernarg_size 96
		.amdhsa_user_sgpr_count 6
		.amdhsa_user_sgpr_private_segment_buffer 1
		.amdhsa_user_sgpr_dispatch_ptr 0
		.amdhsa_user_sgpr_queue_ptr 0
		.amdhsa_user_sgpr_kernarg_segment_ptr 1
		.amdhsa_user_sgpr_dispatch_id 0
		.amdhsa_user_sgpr_flat_scratch_init 0
		.amdhsa_user_sgpr_kernarg_preload_length 0
		.amdhsa_user_sgpr_kernarg_preload_offset 0
		.amdhsa_user_sgpr_private_segment_size 0
		.amdhsa_uses_dynamic_stack 0
		.amdhsa_system_sgpr_private_segment_wavefront_offset 0
		.amdhsa_system_sgpr_workgroup_id_x 1
		.amdhsa_system_sgpr_workgroup_id_y 0
		.amdhsa_system_sgpr_workgroup_id_z 0
		.amdhsa_system_sgpr_workgroup_info 0
		.amdhsa_system_vgpr_workitem_id 0
		.amdhsa_next_free_vgpr 1
		.amdhsa_next_free_sgpr 0
		.amdhsa_accum_offset 4
		.amdhsa_reserve_vcc 0
		.amdhsa_reserve_flat_scratch 0
		.amdhsa_float_round_mode_32 0
		.amdhsa_float_round_mode_16_64 0
		.amdhsa_float_denorm_mode_32 3
		.amdhsa_float_denorm_mode_16_64 3
		.amdhsa_dx10_clamp 1
		.amdhsa_ieee_mode 1
		.amdhsa_fp16_overflow 0
		.amdhsa_tg_split 0
		.amdhsa_exception_fp_ieee_invalid_op 0
		.amdhsa_exception_fp_denorm_src 0
		.amdhsa_exception_fp_ieee_div_zero 0
		.amdhsa_exception_fp_ieee_overflow 0
		.amdhsa_exception_fp_ieee_underflow 0
		.amdhsa_exception_fp_ieee_inexact 0
		.amdhsa_exception_int_div_zero 0
	.end_amdhsa_kernel
	.section	.text._ZN7rocprim17ROCPRIM_400000_NS6detail17trampoline_kernelINS0_14default_configENS1_20scan_config_selectorIjEEZZNS1_9scan_implILNS1_25lookback_scan_determinismE0ELb1ELb1ES3_N6thrust23THRUST_200600_302600_NS6detail15normal_iteratorINS9_10device_ptrIjEEEESE_jNS9_4plusIvEEjEEDaPvRmT3_T4_T5_mT6_P12ihipStream_tbENKUlT_T0_E_clISt17integral_constantIbLb0EEST_IbLb1EEEEDaSP_SQ_EUlSP_E_NS1_11comp_targetILNS1_3genE8ELNS1_11target_archE1030ELNS1_3gpuE2ELNS1_3repE0EEENS1_30default_config_static_selectorELNS0_4arch9wavefront6targetE1EEEvT1_,"axG",@progbits,_ZN7rocprim17ROCPRIM_400000_NS6detail17trampoline_kernelINS0_14default_configENS1_20scan_config_selectorIjEEZZNS1_9scan_implILNS1_25lookback_scan_determinismE0ELb1ELb1ES3_N6thrust23THRUST_200600_302600_NS6detail15normal_iteratorINS9_10device_ptrIjEEEESE_jNS9_4plusIvEEjEEDaPvRmT3_T4_T5_mT6_P12ihipStream_tbENKUlT_T0_E_clISt17integral_constantIbLb0EEST_IbLb1EEEEDaSP_SQ_EUlSP_E_NS1_11comp_targetILNS1_3genE8ELNS1_11target_archE1030ELNS1_3gpuE2ELNS1_3repE0EEENS1_30default_config_static_selectorELNS0_4arch9wavefront6targetE1EEEvT1_,comdat
.Lfunc_end4708:
	.size	_ZN7rocprim17ROCPRIM_400000_NS6detail17trampoline_kernelINS0_14default_configENS1_20scan_config_selectorIjEEZZNS1_9scan_implILNS1_25lookback_scan_determinismE0ELb1ELb1ES3_N6thrust23THRUST_200600_302600_NS6detail15normal_iteratorINS9_10device_ptrIjEEEESE_jNS9_4plusIvEEjEEDaPvRmT3_T4_T5_mT6_P12ihipStream_tbENKUlT_T0_E_clISt17integral_constantIbLb0EEST_IbLb1EEEEDaSP_SQ_EUlSP_E_NS1_11comp_targetILNS1_3genE8ELNS1_11target_archE1030ELNS1_3gpuE2ELNS1_3repE0EEENS1_30default_config_static_selectorELNS0_4arch9wavefront6targetE1EEEvT1_, .Lfunc_end4708-_ZN7rocprim17ROCPRIM_400000_NS6detail17trampoline_kernelINS0_14default_configENS1_20scan_config_selectorIjEEZZNS1_9scan_implILNS1_25lookback_scan_determinismE0ELb1ELb1ES3_N6thrust23THRUST_200600_302600_NS6detail15normal_iteratorINS9_10device_ptrIjEEEESE_jNS9_4plusIvEEjEEDaPvRmT3_T4_T5_mT6_P12ihipStream_tbENKUlT_T0_E_clISt17integral_constantIbLb0EEST_IbLb1EEEEDaSP_SQ_EUlSP_E_NS1_11comp_targetILNS1_3genE8ELNS1_11target_archE1030ELNS1_3gpuE2ELNS1_3repE0EEENS1_30default_config_static_selectorELNS0_4arch9wavefront6targetE1EEEvT1_
                                        ; -- End function
	.section	.AMDGPU.csdata,"",@progbits
; Kernel info:
; codeLenInByte = 0
; NumSgprs: 4
; NumVgprs: 0
; NumAgprs: 0
; TotalNumVgprs: 0
; ScratchSize: 0
; MemoryBound: 0
; FloatMode: 240
; IeeeMode: 1
; LDSByteSize: 0 bytes/workgroup (compile time only)
; SGPRBlocks: 0
; VGPRBlocks: 0
; NumSGPRsForWavesPerEU: 4
; NumVGPRsForWavesPerEU: 1
; AccumOffset: 4
; Occupancy: 8
; WaveLimiterHint : 0
; COMPUTE_PGM_RSRC2:SCRATCH_EN: 0
; COMPUTE_PGM_RSRC2:USER_SGPR: 6
; COMPUTE_PGM_RSRC2:TRAP_HANDLER: 0
; COMPUTE_PGM_RSRC2:TGID_X_EN: 1
; COMPUTE_PGM_RSRC2:TGID_Y_EN: 0
; COMPUTE_PGM_RSRC2:TGID_Z_EN: 0
; COMPUTE_PGM_RSRC2:TIDIG_COMP_CNT: 0
; COMPUTE_PGM_RSRC3_GFX90A:ACCUM_OFFSET: 0
; COMPUTE_PGM_RSRC3_GFX90A:TG_SPLIT: 0
	.section	.text._ZN7rocprim17ROCPRIM_400000_NS6detail17trampoline_kernelINS0_14default_configENS1_20scan_config_selectorIjEEZZNS1_9scan_implILNS1_25lookback_scan_determinismE0ELb1ELb1ES3_N6thrust23THRUST_200600_302600_NS6detail15normal_iteratorINS9_10device_ptrIjEEEESE_jNS9_4plusIvEEjEEDaPvRmT3_T4_T5_mT6_P12ihipStream_tbENKUlT_T0_E_clISt17integral_constantIbLb0EEST_IbLb1EEEEDaSP_SQ_EUlSP_E0_NS1_11comp_targetILNS1_3genE0ELNS1_11target_archE4294967295ELNS1_3gpuE0ELNS1_3repE0EEENS1_30default_config_static_selectorELNS0_4arch9wavefront6targetE1EEEvT1_,"axG",@progbits,_ZN7rocprim17ROCPRIM_400000_NS6detail17trampoline_kernelINS0_14default_configENS1_20scan_config_selectorIjEEZZNS1_9scan_implILNS1_25lookback_scan_determinismE0ELb1ELb1ES3_N6thrust23THRUST_200600_302600_NS6detail15normal_iteratorINS9_10device_ptrIjEEEESE_jNS9_4plusIvEEjEEDaPvRmT3_T4_T5_mT6_P12ihipStream_tbENKUlT_T0_E_clISt17integral_constantIbLb0EEST_IbLb1EEEEDaSP_SQ_EUlSP_E0_NS1_11comp_targetILNS1_3genE0ELNS1_11target_archE4294967295ELNS1_3gpuE0ELNS1_3repE0EEENS1_30default_config_static_selectorELNS0_4arch9wavefront6targetE1EEEvT1_,comdat
	.protected	_ZN7rocprim17ROCPRIM_400000_NS6detail17trampoline_kernelINS0_14default_configENS1_20scan_config_selectorIjEEZZNS1_9scan_implILNS1_25lookback_scan_determinismE0ELb1ELb1ES3_N6thrust23THRUST_200600_302600_NS6detail15normal_iteratorINS9_10device_ptrIjEEEESE_jNS9_4plusIvEEjEEDaPvRmT3_T4_T5_mT6_P12ihipStream_tbENKUlT_T0_E_clISt17integral_constantIbLb0EEST_IbLb1EEEEDaSP_SQ_EUlSP_E0_NS1_11comp_targetILNS1_3genE0ELNS1_11target_archE4294967295ELNS1_3gpuE0ELNS1_3repE0EEENS1_30default_config_static_selectorELNS0_4arch9wavefront6targetE1EEEvT1_ ; -- Begin function _ZN7rocprim17ROCPRIM_400000_NS6detail17trampoline_kernelINS0_14default_configENS1_20scan_config_selectorIjEEZZNS1_9scan_implILNS1_25lookback_scan_determinismE0ELb1ELb1ES3_N6thrust23THRUST_200600_302600_NS6detail15normal_iteratorINS9_10device_ptrIjEEEESE_jNS9_4plusIvEEjEEDaPvRmT3_T4_T5_mT6_P12ihipStream_tbENKUlT_T0_E_clISt17integral_constantIbLb0EEST_IbLb1EEEEDaSP_SQ_EUlSP_E0_NS1_11comp_targetILNS1_3genE0ELNS1_11target_archE4294967295ELNS1_3gpuE0ELNS1_3repE0EEENS1_30default_config_static_selectorELNS0_4arch9wavefront6targetE1EEEvT1_
	.globl	_ZN7rocprim17ROCPRIM_400000_NS6detail17trampoline_kernelINS0_14default_configENS1_20scan_config_selectorIjEEZZNS1_9scan_implILNS1_25lookback_scan_determinismE0ELb1ELb1ES3_N6thrust23THRUST_200600_302600_NS6detail15normal_iteratorINS9_10device_ptrIjEEEESE_jNS9_4plusIvEEjEEDaPvRmT3_T4_T5_mT6_P12ihipStream_tbENKUlT_T0_E_clISt17integral_constantIbLb0EEST_IbLb1EEEEDaSP_SQ_EUlSP_E0_NS1_11comp_targetILNS1_3genE0ELNS1_11target_archE4294967295ELNS1_3gpuE0ELNS1_3repE0EEENS1_30default_config_static_selectorELNS0_4arch9wavefront6targetE1EEEvT1_
	.p2align	8
	.type	_ZN7rocprim17ROCPRIM_400000_NS6detail17trampoline_kernelINS0_14default_configENS1_20scan_config_selectorIjEEZZNS1_9scan_implILNS1_25lookback_scan_determinismE0ELb1ELb1ES3_N6thrust23THRUST_200600_302600_NS6detail15normal_iteratorINS9_10device_ptrIjEEEESE_jNS9_4plusIvEEjEEDaPvRmT3_T4_T5_mT6_P12ihipStream_tbENKUlT_T0_E_clISt17integral_constantIbLb0EEST_IbLb1EEEEDaSP_SQ_EUlSP_E0_NS1_11comp_targetILNS1_3genE0ELNS1_11target_archE4294967295ELNS1_3gpuE0ELNS1_3repE0EEENS1_30default_config_static_selectorELNS0_4arch9wavefront6targetE1EEEvT1_,@function
_ZN7rocprim17ROCPRIM_400000_NS6detail17trampoline_kernelINS0_14default_configENS1_20scan_config_selectorIjEEZZNS1_9scan_implILNS1_25lookback_scan_determinismE0ELb1ELb1ES3_N6thrust23THRUST_200600_302600_NS6detail15normal_iteratorINS9_10device_ptrIjEEEESE_jNS9_4plusIvEEjEEDaPvRmT3_T4_T5_mT6_P12ihipStream_tbENKUlT_T0_E_clISt17integral_constantIbLb0EEST_IbLb1EEEEDaSP_SQ_EUlSP_E0_NS1_11comp_targetILNS1_3genE0ELNS1_11target_archE4294967295ELNS1_3gpuE0ELNS1_3repE0EEENS1_30default_config_static_selectorELNS0_4arch9wavefront6targetE1EEEvT1_: ; @_ZN7rocprim17ROCPRIM_400000_NS6detail17trampoline_kernelINS0_14default_configENS1_20scan_config_selectorIjEEZZNS1_9scan_implILNS1_25lookback_scan_determinismE0ELb1ELb1ES3_N6thrust23THRUST_200600_302600_NS6detail15normal_iteratorINS9_10device_ptrIjEEEESE_jNS9_4plusIvEEjEEDaPvRmT3_T4_T5_mT6_P12ihipStream_tbENKUlT_T0_E_clISt17integral_constantIbLb0EEST_IbLb1EEEEDaSP_SQ_EUlSP_E0_NS1_11comp_targetILNS1_3genE0ELNS1_11target_archE4294967295ELNS1_3gpuE0ELNS1_3repE0EEENS1_30default_config_static_selectorELNS0_4arch9wavefront6targetE1EEEvT1_
; %bb.0:
	.section	.rodata,"a",@progbits
	.p2align	6, 0x0
	.amdhsa_kernel _ZN7rocprim17ROCPRIM_400000_NS6detail17trampoline_kernelINS0_14default_configENS1_20scan_config_selectorIjEEZZNS1_9scan_implILNS1_25lookback_scan_determinismE0ELb1ELb1ES3_N6thrust23THRUST_200600_302600_NS6detail15normal_iteratorINS9_10device_ptrIjEEEESE_jNS9_4plusIvEEjEEDaPvRmT3_T4_T5_mT6_P12ihipStream_tbENKUlT_T0_E_clISt17integral_constantIbLb0EEST_IbLb1EEEEDaSP_SQ_EUlSP_E0_NS1_11comp_targetILNS1_3genE0ELNS1_11target_archE4294967295ELNS1_3gpuE0ELNS1_3repE0EEENS1_30default_config_static_selectorELNS0_4arch9wavefront6targetE1EEEvT1_
		.amdhsa_group_segment_fixed_size 0
		.amdhsa_private_segment_fixed_size 0
		.amdhsa_kernarg_size 32
		.amdhsa_user_sgpr_count 6
		.amdhsa_user_sgpr_private_segment_buffer 1
		.amdhsa_user_sgpr_dispatch_ptr 0
		.amdhsa_user_sgpr_queue_ptr 0
		.amdhsa_user_sgpr_kernarg_segment_ptr 1
		.amdhsa_user_sgpr_dispatch_id 0
		.amdhsa_user_sgpr_flat_scratch_init 0
		.amdhsa_user_sgpr_kernarg_preload_length 0
		.amdhsa_user_sgpr_kernarg_preload_offset 0
		.amdhsa_user_sgpr_private_segment_size 0
		.amdhsa_uses_dynamic_stack 0
		.amdhsa_system_sgpr_private_segment_wavefront_offset 0
		.amdhsa_system_sgpr_workgroup_id_x 1
		.amdhsa_system_sgpr_workgroup_id_y 0
		.amdhsa_system_sgpr_workgroup_id_z 0
		.amdhsa_system_sgpr_workgroup_info 0
		.amdhsa_system_vgpr_workitem_id 0
		.amdhsa_next_free_vgpr 1
		.amdhsa_next_free_sgpr 0
		.amdhsa_accum_offset 4
		.amdhsa_reserve_vcc 0
		.amdhsa_reserve_flat_scratch 0
		.amdhsa_float_round_mode_32 0
		.amdhsa_float_round_mode_16_64 0
		.amdhsa_float_denorm_mode_32 3
		.amdhsa_float_denorm_mode_16_64 3
		.amdhsa_dx10_clamp 1
		.amdhsa_ieee_mode 1
		.amdhsa_fp16_overflow 0
		.amdhsa_tg_split 0
		.amdhsa_exception_fp_ieee_invalid_op 0
		.amdhsa_exception_fp_denorm_src 0
		.amdhsa_exception_fp_ieee_div_zero 0
		.amdhsa_exception_fp_ieee_overflow 0
		.amdhsa_exception_fp_ieee_underflow 0
		.amdhsa_exception_fp_ieee_inexact 0
		.amdhsa_exception_int_div_zero 0
	.end_amdhsa_kernel
	.section	.text._ZN7rocprim17ROCPRIM_400000_NS6detail17trampoline_kernelINS0_14default_configENS1_20scan_config_selectorIjEEZZNS1_9scan_implILNS1_25lookback_scan_determinismE0ELb1ELb1ES3_N6thrust23THRUST_200600_302600_NS6detail15normal_iteratorINS9_10device_ptrIjEEEESE_jNS9_4plusIvEEjEEDaPvRmT3_T4_T5_mT6_P12ihipStream_tbENKUlT_T0_E_clISt17integral_constantIbLb0EEST_IbLb1EEEEDaSP_SQ_EUlSP_E0_NS1_11comp_targetILNS1_3genE0ELNS1_11target_archE4294967295ELNS1_3gpuE0ELNS1_3repE0EEENS1_30default_config_static_selectorELNS0_4arch9wavefront6targetE1EEEvT1_,"axG",@progbits,_ZN7rocprim17ROCPRIM_400000_NS6detail17trampoline_kernelINS0_14default_configENS1_20scan_config_selectorIjEEZZNS1_9scan_implILNS1_25lookback_scan_determinismE0ELb1ELb1ES3_N6thrust23THRUST_200600_302600_NS6detail15normal_iteratorINS9_10device_ptrIjEEEESE_jNS9_4plusIvEEjEEDaPvRmT3_T4_T5_mT6_P12ihipStream_tbENKUlT_T0_E_clISt17integral_constantIbLb0EEST_IbLb1EEEEDaSP_SQ_EUlSP_E0_NS1_11comp_targetILNS1_3genE0ELNS1_11target_archE4294967295ELNS1_3gpuE0ELNS1_3repE0EEENS1_30default_config_static_selectorELNS0_4arch9wavefront6targetE1EEEvT1_,comdat
.Lfunc_end4709:
	.size	_ZN7rocprim17ROCPRIM_400000_NS6detail17trampoline_kernelINS0_14default_configENS1_20scan_config_selectorIjEEZZNS1_9scan_implILNS1_25lookback_scan_determinismE0ELb1ELb1ES3_N6thrust23THRUST_200600_302600_NS6detail15normal_iteratorINS9_10device_ptrIjEEEESE_jNS9_4plusIvEEjEEDaPvRmT3_T4_T5_mT6_P12ihipStream_tbENKUlT_T0_E_clISt17integral_constantIbLb0EEST_IbLb1EEEEDaSP_SQ_EUlSP_E0_NS1_11comp_targetILNS1_3genE0ELNS1_11target_archE4294967295ELNS1_3gpuE0ELNS1_3repE0EEENS1_30default_config_static_selectorELNS0_4arch9wavefront6targetE1EEEvT1_, .Lfunc_end4709-_ZN7rocprim17ROCPRIM_400000_NS6detail17trampoline_kernelINS0_14default_configENS1_20scan_config_selectorIjEEZZNS1_9scan_implILNS1_25lookback_scan_determinismE0ELb1ELb1ES3_N6thrust23THRUST_200600_302600_NS6detail15normal_iteratorINS9_10device_ptrIjEEEESE_jNS9_4plusIvEEjEEDaPvRmT3_T4_T5_mT6_P12ihipStream_tbENKUlT_T0_E_clISt17integral_constantIbLb0EEST_IbLb1EEEEDaSP_SQ_EUlSP_E0_NS1_11comp_targetILNS1_3genE0ELNS1_11target_archE4294967295ELNS1_3gpuE0ELNS1_3repE0EEENS1_30default_config_static_selectorELNS0_4arch9wavefront6targetE1EEEvT1_
                                        ; -- End function
	.section	.AMDGPU.csdata,"",@progbits
; Kernel info:
; codeLenInByte = 0
; NumSgprs: 4
; NumVgprs: 0
; NumAgprs: 0
; TotalNumVgprs: 0
; ScratchSize: 0
; MemoryBound: 0
; FloatMode: 240
; IeeeMode: 1
; LDSByteSize: 0 bytes/workgroup (compile time only)
; SGPRBlocks: 0
; VGPRBlocks: 0
; NumSGPRsForWavesPerEU: 4
; NumVGPRsForWavesPerEU: 1
; AccumOffset: 4
; Occupancy: 8
; WaveLimiterHint : 0
; COMPUTE_PGM_RSRC2:SCRATCH_EN: 0
; COMPUTE_PGM_RSRC2:USER_SGPR: 6
; COMPUTE_PGM_RSRC2:TRAP_HANDLER: 0
; COMPUTE_PGM_RSRC2:TGID_X_EN: 1
; COMPUTE_PGM_RSRC2:TGID_Y_EN: 0
; COMPUTE_PGM_RSRC2:TGID_Z_EN: 0
; COMPUTE_PGM_RSRC2:TIDIG_COMP_CNT: 0
; COMPUTE_PGM_RSRC3_GFX90A:ACCUM_OFFSET: 0
; COMPUTE_PGM_RSRC3_GFX90A:TG_SPLIT: 0
	.section	.text._ZN7rocprim17ROCPRIM_400000_NS6detail17trampoline_kernelINS0_14default_configENS1_20scan_config_selectorIjEEZZNS1_9scan_implILNS1_25lookback_scan_determinismE0ELb1ELb1ES3_N6thrust23THRUST_200600_302600_NS6detail15normal_iteratorINS9_10device_ptrIjEEEESE_jNS9_4plusIvEEjEEDaPvRmT3_T4_T5_mT6_P12ihipStream_tbENKUlT_T0_E_clISt17integral_constantIbLb0EEST_IbLb1EEEEDaSP_SQ_EUlSP_E0_NS1_11comp_targetILNS1_3genE5ELNS1_11target_archE942ELNS1_3gpuE9ELNS1_3repE0EEENS1_30default_config_static_selectorELNS0_4arch9wavefront6targetE1EEEvT1_,"axG",@progbits,_ZN7rocprim17ROCPRIM_400000_NS6detail17trampoline_kernelINS0_14default_configENS1_20scan_config_selectorIjEEZZNS1_9scan_implILNS1_25lookback_scan_determinismE0ELb1ELb1ES3_N6thrust23THRUST_200600_302600_NS6detail15normal_iteratorINS9_10device_ptrIjEEEESE_jNS9_4plusIvEEjEEDaPvRmT3_T4_T5_mT6_P12ihipStream_tbENKUlT_T0_E_clISt17integral_constantIbLb0EEST_IbLb1EEEEDaSP_SQ_EUlSP_E0_NS1_11comp_targetILNS1_3genE5ELNS1_11target_archE942ELNS1_3gpuE9ELNS1_3repE0EEENS1_30default_config_static_selectorELNS0_4arch9wavefront6targetE1EEEvT1_,comdat
	.protected	_ZN7rocprim17ROCPRIM_400000_NS6detail17trampoline_kernelINS0_14default_configENS1_20scan_config_selectorIjEEZZNS1_9scan_implILNS1_25lookback_scan_determinismE0ELb1ELb1ES3_N6thrust23THRUST_200600_302600_NS6detail15normal_iteratorINS9_10device_ptrIjEEEESE_jNS9_4plusIvEEjEEDaPvRmT3_T4_T5_mT6_P12ihipStream_tbENKUlT_T0_E_clISt17integral_constantIbLb0EEST_IbLb1EEEEDaSP_SQ_EUlSP_E0_NS1_11comp_targetILNS1_3genE5ELNS1_11target_archE942ELNS1_3gpuE9ELNS1_3repE0EEENS1_30default_config_static_selectorELNS0_4arch9wavefront6targetE1EEEvT1_ ; -- Begin function _ZN7rocprim17ROCPRIM_400000_NS6detail17trampoline_kernelINS0_14default_configENS1_20scan_config_selectorIjEEZZNS1_9scan_implILNS1_25lookback_scan_determinismE0ELb1ELb1ES3_N6thrust23THRUST_200600_302600_NS6detail15normal_iteratorINS9_10device_ptrIjEEEESE_jNS9_4plusIvEEjEEDaPvRmT3_T4_T5_mT6_P12ihipStream_tbENKUlT_T0_E_clISt17integral_constantIbLb0EEST_IbLb1EEEEDaSP_SQ_EUlSP_E0_NS1_11comp_targetILNS1_3genE5ELNS1_11target_archE942ELNS1_3gpuE9ELNS1_3repE0EEENS1_30default_config_static_selectorELNS0_4arch9wavefront6targetE1EEEvT1_
	.globl	_ZN7rocprim17ROCPRIM_400000_NS6detail17trampoline_kernelINS0_14default_configENS1_20scan_config_selectorIjEEZZNS1_9scan_implILNS1_25lookback_scan_determinismE0ELb1ELb1ES3_N6thrust23THRUST_200600_302600_NS6detail15normal_iteratorINS9_10device_ptrIjEEEESE_jNS9_4plusIvEEjEEDaPvRmT3_T4_T5_mT6_P12ihipStream_tbENKUlT_T0_E_clISt17integral_constantIbLb0EEST_IbLb1EEEEDaSP_SQ_EUlSP_E0_NS1_11comp_targetILNS1_3genE5ELNS1_11target_archE942ELNS1_3gpuE9ELNS1_3repE0EEENS1_30default_config_static_selectorELNS0_4arch9wavefront6targetE1EEEvT1_
	.p2align	8
	.type	_ZN7rocprim17ROCPRIM_400000_NS6detail17trampoline_kernelINS0_14default_configENS1_20scan_config_selectorIjEEZZNS1_9scan_implILNS1_25lookback_scan_determinismE0ELb1ELb1ES3_N6thrust23THRUST_200600_302600_NS6detail15normal_iteratorINS9_10device_ptrIjEEEESE_jNS9_4plusIvEEjEEDaPvRmT3_T4_T5_mT6_P12ihipStream_tbENKUlT_T0_E_clISt17integral_constantIbLb0EEST_IbLb1EEEEDaSP_SQ_EUlSP_E0_NS1_11comp_targetILNS1_3genE5ELNS1_11target_archE942ELNS1_3gpuE9ELNS1_3repE0EEENS1_30default_config_static_selectorELNS0_4arch9wavefront6targetE1EEEvT1_,@function
_ZN7rocprim17ROCPRIM_400000_NS6detail17trampoline_kernelINS0_14default_configENS1_20scan_config_selectorIjEEZZNS1_9scan_implILNS1_25lookback_scan_determinismE0ELb1ELb1ES3_N6thrust23THRUST_200600_302600_NS6detail15normal_iteratorINS9_10device_ptrIjEEEESE_jNS9_4plusIvEEjEEDaPvRmT3_T4_T5_mT6_P12ihipStream_tbENKUlT_T0_E_clISt17integral_constantIbLb0EEST_IbLb1EEEEDaSP_SQ_EUlSP_E0_NS1_11comp_targetILNS1_3genE5ELNS1_11target_archE942ELNS1_3gpuE9ELNS1_3repE0EEENS1_30default_config_static_selectorELNS0_4arch9wavefront6targetE1EEEvT1_: ; @_ZN7rocprim17ROCPRIM_400000_NS6detail17trampoline_kernelINS0_14default_configENS1_20scan_config_selectorIjEEZZNS1_9scan_implILNS1_25lookback_scan_determinismE0ELb1ELb1ES3_N6thrust23THRUST_200600_302600_NS6detail15normal_iteratorINS9_10device_ptrIjEEEESE_jNS9_4plusIvEEjEEDaPvRmT3_T4_T5_mT6_P12ihipStream_tbENKUlT_T0_E_clISt17integral_constantIbLb0EEST_IbLb1EEEEDaSP_SQ_EUlSP_E0_NS1_11comp_targetILNS1_3genE5ELNS1_11target_archE942ELNS1_3gpuE9ELNS1_3repE0EEENS1_30default_config_static_selectorELNS0_4arch9wavefront6targetE1EEEvT1_
; %bb.0:
	.section	.rodata,"a",@progbits
	.p2align	6, 0x0
	.amdhsa_kernel _ZN7rocprim17ROCPRIM_400000_NS6detail17trampoline_kernelINS0_14default_configENS1_20scan_config_selectorIjEEZZNS1_9scan_implILNS1_25lookback_scan_determinismE0ELb1ELb1ES3_N6thrust23THRUST_200600_302600_NS6detail15normal_iteratorINS9_10device_ptrIjEEEESE_jNS9_4plusIvEEjEEDaPvRmT3_T4_T5_mT6_P12ihipStream_tbENKUlT_T0_E_clISt17integral_constantIbLb0EEST_IbLb1EEEEDaSP_SQ_EUlSP_E0_NS1_11comp_targetILNS1_3genE5ELNS1_11target_archE942ELNS1_3gpuE9ELNS1_3repE0EEENS1_30default_config_static_selectorELNS0_4arch9wavefront6targetE1EEEvT1_
		.amdhsa_group_segment_fixed_size 0
		.amdhsa_private_segment_fixed_size 0
		.amdhsa_kernarg_size 32
		.amdhsa_user_sgpr_count 6
		.amdhsa_user_sgpr_private_segment_buffer 1
		.amdhsa_user_sgpr_dispatch_ptr 0
		.amdhsa_user_sgpr_queue_ptr 0
		.amdhsa_user_sgpr_kernarg_segment_ptr 1
		.amdhsa_user_sgpr_dispatch_id 0
		.amdhsa_user_sgpr_flat_scratch_init 0
		.amdhsa_user_sgpr_kernarg_preload_length 0
		.amdhsa_user_sgpr_kernarg_preload_offset 0
		.amdhsa_user_sgpr_private_segment_size 0
		.amdhsa_uses_dynamic_stack 0
		.amdhsa_system_sgpr_private_segment_wavefront_offset 0
		.amdhsa_system_sgpr_workgroup_id_x 1
		.amdhsa_system_sgpr_workgroup_id_y 0
		.amdhsa_system_sgpr_workgroup_id_z 0
		.amdhsa_system_sgpr_workgroup_info 0
		.amdhsa_system_vgpr_workitem_id 0
		.amdhsa_next_free_vgpr 1
		.amdhsa_next_free_sgpr 0
		.amdhsa_accum_offset 4
		.amdhsa_reserve_vcc 0
		.amdhsa_reserve_flat_scratch 0
		.amdhsa_float_round_mode_32 0
		.amdhsa_float_round_mode_16_64 0
		.amdhsa_float_denorm_mode_32 3
		.amdhsa_float_denorm_mode_16_64 3
		.amdhsa_dx10_clamp 1
		.amdhsa_ieee_mode 1
		.amdhsa_fp16_overflow 0
		.amdhsa_tg_split 0
		.amdhsa_exception_fp_ieee_invalid_op 0
		.amdhsa_exception_fp_denorm_src 0
		.amdhsa_exception_fp_ieee_div_zero 0
		.amdhsa_exception_fp_ieee_overflow 0
		.amdhsa_exception_fp_ieee_underflow 0
		.amdhsa_exception_fp_ieee_inexact 0
		.amdhsa_exception_int_div_zero 0
	.end_amdhsa_kernel
	.section	.text._ZN7rocprim17ROCPRIM_400000_NS6detail17trampoline_kernelINS0_14default_configENS1_20scan_config_selectorIjEEZZNS1_9scan_implILNS1_25lookback_scan_determinismE0ELb1ELb1ES3_N6thrust23THRUST_200600_302600_NS6detail15normal_iteratorINS9_10device_ptrIjEEEESE_jNS9_4plusIvEEjEEDaPvRmT3_T4_T5_mT6_P12ihipStream_tbENKUlT_T0_E_clISt17integral_constantIbLb0EEST_IbLb1EEEEDaSP_SQ_EUlSP_E0_NS1_11comp_targetILNS1_3genE5ELNS1_11target_archE942ELNS1_3gpuE9ELNS1_3repE0EEENS1_30default_config_static_selectorELNS0_4arch9wavefront6targetE1EEEvT1_,"axG",@progbits,_ZN7rocprim17ROCPRIM_400000_NS6detail17trampoline_kernelINS0_14default_configENS1_20scan_config_selectorIjEEZZNS1_9scan_implILNS1_25lookback_scan_determinismE0ELb1ELb1ES3_N6thrust23THRUST_200600_302600_NS6detail15normal_iteratorINS9_10device_ptrIjEEEESE_jNS9_4plusIvEEjEEDaPvRmT3_T4_T5_mT6_P12ihipStream_tbENKUlT_T0_E_clISt17integral_constantIbLb0EEST_IbLb1EEEEDaSP_SQ_EUlSP_E0_NS1_11comp_targetILNS1_3genE5ELNS1_11target_archE942ELNS1_3gpuE9ELNS1_3repE0EEENS1_30default_config_static_selectorELNS0_4arch9wavefront6targetE1EEEvT1_,comdat
.Lfunc_end4710:
	.size	_ZN7rocprim17ROCPRIM_400000_NS6detail17trampoline_kernelINS0_14default_configENS1_20scan_config_selectorIjEEZZNS1_9scan_implILNS1_25lookback_scan_determinismE0ELb1ELb1ES3_N6thrust23THRUST_200600_302600_NS6detail15normal_iteratorINS9_10device_ptrIjEEEESE_jNS9_4plusIvEEjEEDaPvRmT3_T4_T5_mT6_P12ihipStream_tbENKUlT_T0_E_clISt17integral_constantIbLb0EEST_IbLb1EEEEDaSP_SQ_EUlSP_E0_NS1_11comp_targetILNS1_3genE5ELNS1_11target_archE942ELNS1_3gpuE9ELNS1_3repE0EEENS1_30default_config_static_selectorELNS0_4arch9wavefront6targetE1EEEvT1_, .Lfunc_end4710-_ZN7rocprim17ROCPRIM_400000_NS6detail17trampoline_kernelINS0_14default_configENS1_20scan_config_selectorIjEEZZNS1_9scan_implILNS1_25lookback_scan_determinismE0ELb1ELb1ES3_N6thrust23THRUST_200600_302600_NS6detail15normal_iteratorINS9_10device_ptrIjEEEESE_jNS9_4plusIvEEjEEDaPvRmT3_T4_T5_mT6_P12ihipStream_tbENKUlT_T0_E_clISt17integral_constantIbLb0EEST_IbLb1EEEEDaSP_SQ_EUlSP_E0_NS1_11comp_targetILNS1_3genE5ELNS1_11target_archE942ELNS1_3gpuE9ELNS1_3repE0EEENS1_30default_config_static_selectorELNS0_4arch9wavefront6targetE1EEEvT1_
                                        ; -- End function
	.section	.AMDGPU.csdata,"",@progbits
; Kernel info:
; codeLenInByte = 0
; NumSgprs: 4
; NumVgprs: 0
; NumAgprs: 0
; TotalNumVgprs: 0
; ScratchSize: 0
; MemoryBound: 0
; FloatMode: 240
; IeeeMode: 1
; LDSByteSize: 0 bytes/workgroup (compile time only)
; SGPRBlocks: 0
; VGPRBlocks: 0
; NumSGPRsForWavesPerEU: 4
; NumVGPRsForWavesPerEU: 1
; AccumOffset: 4
; Occupancy: 8
; WaveLimiterHint : 0
; COMPUTE_PGM_RSRC2:SCRATCH_EN: 0
; COMPUTE_PGM_RSRC2:USER_SGPR: 6
; COMPUTE_PGM_RSRC2:TRAP_HANDLER: 0
; COMPUTE_PGM_RSRC2:TGID_X_EN: 1
; COMPUTE_PGM_RSRC2:TGID_Y_EN: 0
; COMPUTE_PGM_RSRC2:TGID_Z_EN: 0
; COMPUTE_PGM_RSRC2:TIDIG_COMP_CNT: 0
; COMPUTE_PGM_RSRC3_GFX90A:ACCUM_OFFSET: 0
; COMPUTE_PGM_RSRC3_GFX90A:TG_SPLIT: 0
	.section	.text._ZN7rocprim17ROCPRIM_400000_NS6detail17trampoline_kernelINS0_14default_configENS1_20scan_config_selectorIjEEZZNS1_9scan_implILNS1_25lookback_scan_determinismE0ELb1ELb1ES3_N6thrust23THRUST_200600_302600_NS6detail15normal_iteratorINS9_10device_ptrIjEEEESE_jNS9_4plusIvEEjEEDaPvRmT3_T4_T5_mT6_P12ihipStream_tbENKUlT_T0_E_clISt17integral_constantIbLb0EEST_IbLb1EEEEDaSP_SQ_EUlSP_E0_NS1_11comp_targetILNS1_3genE4ELNS1_11target_archE910ELNS1_3gpuE8ELNS1_3repE0EEENS1_30default_config_static_selectorELNS0_4arch9wavefront6targetE1EEEvT1_,"axG",@progbits,_ZN7rocprim17ROCPRIM_400000_NS6detail17trampoline_kernelINS0_14default_configENS1_20scan_config_selectorIjEEZZNS1_9scan_implILNS1_25lookback_scan_determinismE0ELb1ELb1ES3_N6thrust23THRUST_200600_302600_NS6detail15normal_iteratorINS9_10device_ptrIjEEEESE_jNS9_4plusIvEEjEEDaPvRmT3_T4_T5_mT6_P12ihipStream_tbENKUlT_T0_E_clISt17integral_constantIbLb0EEST_IbLb1EEEEDaSP_SQ_EUlSP_E0_NS1_11comp_targetILNS1_3genE4ELNS1_11target_archE910ELNS1_3gpuE8ELNS1_3repE0EEENS1_30default_config_static_selectorELNS0_4arch9wavefront6targetE1EEEvT1_,comdat
	.protected	_ZN7rocprim17ROCPRIM_400000_NS6detail17trampoline_kernelINS0_14default_configENS1_20scan_config_selectorIjEEZZNS1_9scan_implILNS1_25lookback_scan_determinismE0ELb1ELb1ES3_N6thrust23THRUST_200600_302600_NS6detail15normal_iteratorINS9_10device_ptrIjEEEESE_jNS9_4plusIvEEjEEDaPvRmT3_T4_T5_mT6_P12ihipStream_tbENKUlT_T0_E_clISt17integral_constantIbLb0EEST_IbLb1EEEEDaSP_SQ_EUlSP_E0_NS1_11comp_targetILNS1_3genE4ELNS1_11target_archE910ELNS1_3gpuE8ELNS1_3repE0EEENS1_30default_config_static_selectorELNS0_4arch9wavefront6targetE1EEEvT1_ ; -- Begin function _ZN7rocprim17ROCPRIM_400000_NS6detail17trampoline_kernelINS0_14default_configENS1_20scan_config_selectorIjEEZZNS1_9scan_implILNS1_25lookback_scan_determinismE0ELb1ELb1ES3_N6thrust23THRUST_200600_302600_NS6detail15normal_iteratorINS9_10device_ptrIjEEEESE_jNS9_4plusIvEEjEEDaPvRmT3_T4_T5_mT6_P12ihipStream_tbENKUlT_T0_E_clISt17integral_constantIbLb0EEST_IbLb1EEEEDaSP_SQ_EUlSP_E0_NS1_11comp_targetILNS1_3genE4ELNS1_11target_archE910ELNS1_3gpuE8ELNS1_3repE0EEENS1_30default_config_static_selectorELNS0_4arch9wavefront6targetE1EEEvT1_
	.globl	_ZN7rocprim17ROCPRIM_400000_NS6detail17trampoline_kernelINS0_14default_configENS1_20scan_config_selectorIjEEZZNS1_9scan_implILNS1_25lookback_scan_determinismE0ELb1ELb1ES3_N6thrust23THRUST_200600_302600_NS6detail15normal_iteratorINS9_10device_ptrIjEEEESE_jNS9_4plusIvEEjEEDaPvRmT3_T4_T5_mT6_P12ihipStream_tbENKUlT_T0_E_clISt17integral_constantIbLb0EEST_IbLb1EEEEDaSP_SQ_EUlSP_E0_NS1_11comp_targetILNS1_3genE4ELNS1_11target_archE910ELNS1_3gpuE8ELNS1_3repE0EEENS1_30default_config_static_selectorELNS0_4arch9wavefront6targetE1EEEvT1_
	.p2align	8
	.type	_ZN7rocprim17ROCPRIM_400000_NS6detail17trampoline_kernelINS0_14default_configENS1_20scan_config_selectorIjEEZZNS1_9scan_implILNS1_25lookback_scan_determinismE0ELb1ELb1ES3_N6thrust23THRUST_200600_302600_NS6detail15normal_iteratorINS9_10device_ptrIjEEEESE_jNS9_4plusIvEEjEEDaPvRmT3_T4_T5_mT6_P12ihipStream_tbENKUlT_T0_E_clISt17integral_constantIbLb0EEST_IbLb1EEEEDaSP_SQ_EUlSP_E0_NS1_11comp_targetILNS1_3genE4ELNS1_11target_archE910ELNS1_3gpuE8ELNS1_3repE0EEENS1_30default_config_static_selectorELNS0_4arch9wavefront6targetE1EEEvT1_,@function
_ZN7rocprim17ROCPRIM_400000_NS6detail17trampoline_kernelINS0_14default_configENS1_20scan_config_selectorIjEEZZNS1_9scan_implILNS1_25lookback_scan_determinismE0ELb1ELb1ES3_N6thrust23THRUST_200600_302600_NS6detail15normal_iteratorINS9_10device_ptrIjEEEESE_jNS9_4plusIvEEjEEDaPvRmT3_T4_T5_mT6_P12ihipStream_tbENKUlT_T0_E_clISt17integral_constantIbLb0EEST_IbLb1EEEEDaSP_SQ_EUlSP_E0_NS1_11comp_targetILNS1_3genE4ELNS1_11target_archE910ELNS1_3gpuE8ELNS1_3repE0EEENS1_30default_config_static_selectorELNS0_4arch9wavefront6targetE1EEEvT1_: ; @_ZN7rocprim17ROCPRIM_400000_NS6detail17trampoline_kernelINS0_14default_configENS1_20scan_config_selectorIjEEZZNS1_9scan_implILNS1_25lookback_scan_determinismE0ELb1ELb1ES3_N6thrust23THRUST_200600_302600_NS6detail15normal_iteratorINS9_10device_ptrIjEEEESE_jNS9_4plusIvEEjEEDaPvRmT3_T4_T5_mT6_P12ihipStream_tbENKUlT_T0_E_clISt17integral_constantIbLb0EEST_IbLb1EEEEDaSP_SQ_EUlSP_E0_NS1_11comp_targetILNS1_3genE4ELNS1_11target_archE910ELNS1_3gpuE8ELNS1_3repE0EEENS1_30default_config_static_selectorELNS0_4arch9wavefront6targetE1EEEvT1_
; %bb.0:
	s_load_dwordx4 s[20:23], s[4:5], 0x0
	v_lshlrev_b32_e32 v14, 2, v0
	s_waitcnt lgkmcnt(0)
	s_load_dword s23, s[20:21], 0x0
	v_cmp_gt_u32_e32 vcc, s22, v0
	s_waitcnt lgkmcnt(0)
	v_mov_b32_e32 v1, s23
	s_and_saveexec_b64 s[0:1], vcc
	s_cbranch_execz .LBB4711_2
; %bb.1:
	global_load_dword v1, v14, s[20:21]
.LBB4711_2:
	s_or_b64 exec, exec, s[0:1]
	v_or_b32_e32 v2, 0x80, v0
	v_cmp_gt_u32_e64 s[0:1], s22, v2
	v_mov_b32_e32 v2, s23
	s_and_saveexec_b64 s[2:3], s[0:1]
	s_cbranch_execz .LBB4711_4
; %bb.3:
	global_load_dword v2, v14, s[20:21] offset:512
.LBB4711_4:
	s_or_b64 exec, exec, s[2:3]
	v_or_b32_e32 v3, 0x100, v0
	v_cmp_gt_u32_e64 s[2:3], s22, v3
	v_mov_b32_e32 v3, s23
	s_and_saveexec_b64 s[6:7], s[2:3]
	s_cbranch_execz .LBB4711_6
; %bb.5:
	global_load_dword v3, v14, s[20:21] offset:1024
.LBB4711_6:
	;; [unrolled: 9-line block ×7, first 2 shown]
	s_or_b64 exec, exec, s[14:15]
	v_or_b32_e32 v10, 0x400, v0
	v_cmp_gt_u32_e64 s[14:15], s22, v10
	v_mov_b32_e32 v9, s23
	s_and_saveexec_b64 s[16:17], s[14:15]
	s_cbranch_execz .LBB4711_18
; %bb.17:
	v_lshlrev_b32_e32 v9, 2, v10
	global_load_dword v9, v9, s[20:21]
.LBB4711_18:
	s_or_b64 exec, exec, s[16:17]
	s_load_dword s24, s[4:5], 0x10
	v_or_b32_e32 v11, 0x480, v0
	v_cmp_gt_u32_e64 s[16:17], s22, v11
	v_mov_b32_e32 v10, s23
	s_and_saveexec_b64 s[22:23], s[16:17]
	s_cbranch_execz .LBB4711_20
; %bb.19:
	v_lshlrev_b32_e32 v10, 2, v11
	global_load_dword v10, v10, s[20:21]
.LBB4711_20:
	s_or_b64 exec, exec, s[22:23]
	s_waitcnt vmcnt(0)
	ds_write2st64_b32 v14, v1, v2 offset1:2
	ds_write2st64_b32 v14, v3, v4 offset0:4 offset1:6
	ds_write2st64_b32 v14, v5, v6 offset0:8 offset1:10
	;; [unrolled: 1-line block ×4, first 2 shown]
	v_mad_u32_u24 v1, v0, 36, v14
	s_waitcnt lgkmcnt(0)
	s_barrier
	ds_read2_b64 v[6:9], v1 offset1:1
	ds_read2_b64 v[2:5], v1 offset0:2 offset1:3
	ds_read_b64 v[10:11], v1 offset:32
	s_load_dwordx2 s[20:21], s[4:5], 0x18
	v_cmp_gt_u32_e64 s[4:5], 64, v0
	s_waitcnt lgkmcnt(0)
	v_add_u32_e32 v1, v7, v6
	v_add3_u32 v1, v1, v8, v9
	v_add3_u32 v1, v1, v2, v3
	v_add3_u32 v1, v1, v4, v5
	v_add3_u32 v1, v1, v10, v11
	v_lshrrev_b32_e32 v11, 3, v0
	v_and_b32_e32 v11, 12, v11
	v_add_u32_e32 v11, v14, v11
	s_barrier
	ds_write_b32 v11, v1
	s_waitcnt lgkmcnt(0)
	s_barrier
	s_and_saveexec_b64 s[22:23], s[4:5]
	s_cbranch_execz .LBB4711_22
; %bb.21:
	v_lshlrev_b32_e32 v11, 1, v0
	v_lshrrev_b32_e32 v12, 4, v0
	v_add_lshl_u32 v11, v12, v11, 2
	ds_read2_b32 v[12:13], v11 offset1:1
	v_mbcnt_lo_u32_b32 v15, -1, 0
	v_mbcnt_hi_u32_b32 v15, -1, v15
	v_and_b32_e32 v16, 15, v15
	v_cmp_ne_u32_e64 s[4:5], 0, v16
	s_waitcnt lgkmcnt(0)
	v_add_u32_e32 v13, v13, v12
	; wave barrier
	s_nop 1
	v_mov_b32_dpp v17, v13 row_shr:1 row_mask:0xf bank_mask:0xf
	v_cndmask_b32_e64 v17, 0, v17, s[4:5]
	v_add_u32_e32 v13, v17, v13
	v_cmp_lt_u32_e64 s[4:5], 1, v16
	s_nop 0
	v_mov_b32_dpp v17, v13 row_shr:2 row_mask:0xf bank_mask:0xf
	v_cndmask_b32_e64 v17, 0, v17, s[4:5]
	v_add_u32_e32 v13, v13, v17
	v_cmp_lt_u32_e64 s[4:5], 3, v16
	;; [unrolled: 5-line block ×3, first 2 shown]
	s_nop 0
	v_mov_b32_dpp v17, v13 row_shr:8 row_mask:0xf bank_mask:0xf
	v_cndmask_b32_e64 v16, 0, v17, s[4:5]
	v_add_u32_e32 v13, v13, v16
	v_bfe_i32 v17, v15, 4, 1
	v_cmp_lt_u32_e64 s[4:5], 31, v15
	v_mov_b32_dpp v16, v13 row_bcast:15 row_mask:0xf bank_mask:0xf
	v_and_b32_e32 v16, v17, v16
	v_add_u32_e32 v13, v13, v16
	v_and_b32_e32 v17, 64, v15
	s_nop 0
	v_mov_b32_dpp v16, v13 row_bcast:31 row_mask:0xf bank_mask:0xf
	v_cndmask_b32_e64 v16, 0, v16, s[4:5]
	v_add_u32_e32 v13, v13, v16
	v_add_u32_e32 v16, -1, v15
	v_cmp_lt_i32_e64 s[4:5], v16, v17
	v_cndmask_b32_e64 v15, v16, v15, s[4:5]
	v_lshlrev_b32_e32 v15, 2, v15
	ds_bpermute_b32 v13, v15, v13
	v_cmp_eq_u32_e64 s[4:5], 0, v0
	s_waitcnt lgkmcnt(0)
	v_add_u32_e32 v12, v13, v12
	v_cndmask_b32_e64 v1, v12, v1, s[4:5]
	ds_write_b32 v11, v1
	; wave barrier
	ds_read_b32 v12, v11 offset:4
	s_waitcnt lgkmcnt(0)
	v_add_u32_e32 v1, v12, v1
	ds_write_b32 v11, v1 offset:4
.LBB4711_22:
	s_or_b64 exec, exec, s[22:23]
	v_mul_u32_u24_e32 v1, 36, v0
	v_cmp_ne_u32_e64 s[4:5], 0, v0
	v_mov_b32_e32 v12, s24
	s_waitcnt lgkmcnt(0)
	s_barrier
	s_and_saveexec_b64 s[22:23], s[4:5]
	s_cbranch_execz .LBB4711_24
; %bb.23:
	v_add_u32_e32 v0, -1, v0
	v_lshrrev_b32_e32 v11, 5, v0
	v_add_lshl_u32 v0, v11, v0, 2
	ds_read_b32 v0, v0
	s_waitcnt lgkmcnt(0)
	v_add_u32_e32 v12, s24, v0
.LBB4711_24:
	s_or_b64 exec, exec, s[22:23]
	v_add_u32_e32 v13, v12, v6
	v_add_u32_e32 v6, v13, v7
	;; [unrolled: 1-line block ×10, first 2 shown]
	s_barrier
	ds_write2_b64 v0, v[12:13], v[6:7] offset1:1
	ds_write2_b64 v0, v[8:9], v[2:3] offset0:2 offset1:3
	ds_write_b64 v0, v[4:5] offset:32
	s_waitcnt lgkmcnt(0)
	s_barrier
	ds_read2st64_b32 v[8:9], v14 offset0:2 offset1:4
	ds_read2st64_b32 v[6:7], v14 offset0:6 offset1:8
	;; [unrolled: 1-line block ×4, first 2 shown]
	ds_read_b32 v10, v14 offset:4608
	v_mov_b32_e32 v1, s21
	v_add_co_u32_e64 v0, s[4:5], s20, v14
	v_addc_co_u32_e64 v1, s[4:5], 0, v1, s[4:5]
	s_and_saveexec_b64 s[4:5], vcc
	s_cbranch_execnz .LBB4711_35
; %bb.25:
	s_or_b64 exec, exec, s[4:5]
	s_and_saveexec_b64 s[4:5], s[0:1]
	s_cbranch_execnz .LBB4711_36
.LBB4711_26:
	s_or_b64 exec, exec, s[4:5]
	s_and_saveexec_b64 s[0:1], s[2:3]
	s_cbranch_execnz .LBB4711_37
.LBB4711_27:
	s_or_b64 exec, exec, s[0:1]
	s_and_saveexec_b64 s[0:1], s[18:19]
	s_cbranch_execnz .LBB4711_38
.LBB4711_28:
	s_or_b64 exec, exec, s[0:1]
	s_and_saveexec_b64 s[0:1], s[6:7]
	s_cbranch_execnz .LBB4711_39
.LBB4711_29:
	s_or_b64 exec, exec, s[0:1]
	s_and_saveexec_b64 s[0:1], s[8:9]
	s_cbranch_execnz .LBB4711_40
.LBB4711_30:
	s_or_b64 exec, exec, s[0:1]
	s_and_saveexec_b64 s[0:1], s[10:11]
	s_cbranch_execnz .LBB4711_41
.LBB4711_31:
	s_or_b64 exec, exec, s[0:1]
	s_and_saveexec_b64 s[0:1], s[12:13]
	s_cbranch_execnz .LBB4711_42
.LBB4711_32:
	s_or_b64 exec, exec, s[0:1]
	s_and_saveexec_b64 s[0:1], s[14:15]
	s_cbranch_execnz .LBB4711_43
.LBB4711_33:
	s_or_b64 exec, exec, s[0:1]
	s_and_saveexec_b64 s[0:1], s[16:17]
	s_cbranch_execnz .LBB4711_44
.LBB4711_34:
	s_endpgm
.LBB4711_35:
	ds_read_b32 v11, v14
	s_waitcnt lgkmcnt(0)
	global_store_dword v[0:1], v11, off
	s_or_b64 exec, exec, s[4:5]
	s_and_saveexec_b64 s[4:5], s[0:1]
	s_cbranch_execz .LBB4711_26
.LBB4711_36:
	s_waitcnt lgkmcnt(4)
	global_store_dword v[0:1], v8, off offset:512
	s_or_b64 exec, exec, s[4:5]
	s_and_saveexec_b64 s[0:1], s[2:3]
	s_cbranch_execz .LBB4711_27
.LBB4711_37:
	s_waitcnt lgkmcnt(4)
	global_store_dword v[0:1], v9, off offset:1024
	s_or_b64 exec, exec, s[0:1]
	s_and_saveexec_b64 s[0:1], s[18:19]
	s_cbranch_execz .LBB4711_28
.LBB4711_38:
	s_waitcnt lgkmcnt(3)
	global_store_dword v[0:1], v6, off offset:1536
	s_or_b64 exec, exec, s[0:1]
	s_and_saveexec_b64 s[0:1], s[6:7]
	s_cbranch_execz .LBB4711_29
.LBB4711_39:
	s_waitcnt lgkmcnt(3)
	global_store_dword v[0:1], v7, off offset:2048
	s_or_b64 exec, exec, s[0:1]
	s_and_saveexec_b64 s[0:1], s[8:9]
	s_cbranch_execz .LBB4711_30
.LBB4711_40:
	s_waitcnt lgkmcnt(2)
	global_store_dword v[0:1], v4, off offset:2560
	s_or_b64 exec, exec, s[0:1]
	s_and_saveexec_b64 s[0:1], s[10:11]
	s_cbranch_execz .LBB4711_31
.LBB4711_41:
	s_waitcnt lgkmcnt(2)
	global_store_dword v[0:1], v5, off offset:3072
	s_or_b64 exec, exec, s[0:1]
	s_and_saveexec_b64 s[0:1], s[12:13]
	s_cbranch_execz .LBB4711_32
.LBB4711_42:
	s_waitcnt lgkmcnt(1)
	global_store_dword v[0:1], v2, off offset:3584
	s_or_b64 exec, exec, s[0:1]
	s_and_saveexec_b64 s[0:1], s[14:15]
	s_cbranch_execz .LBB4711_33
.LBB4711_43:
	s_waitcnt lgkmcnt(2)
	v_add_co_u32_e32 v4, vcc, 0x1000, v0
	v_addc_co_u32_e32 v5, vcc, 0, v1, vcc
	s_waitcnt lgkmcnt(1)
	global_store_dword v[4:5], v3, off
	s_or_b64 exec, exec, s[0:1]
	s_and_saveexec_b64 s[0:1], s[16:17]
	s_cbranch_execz .LBB4711_34
.LBB4711_44:
	v_add_co_u32_e32 v0, vcc, 0x1000, v0
	v_addc_co_u32_e32 v1, vcc, 0, v1, vcc
	s_waitcnt lgkmcnt(0)
	global_store_dword v[0:1], v10, off offset:512
	s_endpgm
	.section	.rodata,"a",@progbits
	.p2align	6, 0x0
	.amdhsa_kernel _ZN7rocprim17ROCPRIM_400000_NS6detail17trampoline_kernelINS0_14default_configENS1_20scan_config_selectorIjEEZZNS1_9scan_implILNS1_25lookback_scan_determinismE0ELb1ELb1ES3_N6thrust23THRUST_200600_302600_NS6detail15normal_iteratorINS9_10device_ptrIjEEEESE_jNS9_4plusIvEEjEEDaPvRmT3_T4_T5_mT6_P12ihipStream_tbENKUlT_T0_E_clISt17integral_constantIbLb0EEST_IbLb1EEEEDaSP_SQ_EUlSP_E0_NS1_11comp_targetILNS1_3genE4ELNS1_11target_archE910ELNS1_3gpuE8ELNS1_3repE0EEENS1_30default_config_static_selectorELNS0_4arch9wavefront6targetE1EEEvT1_
		.amdhsa_group_segment_fixed_size 5120
		.amdhsa_private_segment_fixed_size 0
		.amdhsa_kernarg_size 32
		.amdhsa_user_sgpr_count 6
		.amdhsa_user_sgpr_private_segment_buffer 1
		.amdhsa_user_sgpr_dispatch_ptr 0
		.amdhsa_user_sgpr_queue_ptr 0
		.amdhsa_user_sgpr_kernarg_segment_ptr 1
		.amdhsa_user_sgpr_dispatch_id 0
		.amdhsa_user_sgpr_flat_scratch_init 0
		.amdhsa_user_sgpr_kernarg_preload_length 0
		.amdhsa_user_sgpr_kernarg_preload_offset 0
		.amdhsa_user_sgpr_private_segment_size 0
		.amdhsa_uses_dynamic_stack 0
		.amdhsa_system_sgpr_private_segment_wavefront_offset 0
		.amdhsa_system_sgpr_workgroup_id_x 1
		.amdhsa_system_sgpr_workgroup_id_y 0
		.amdhsa_system_sgpr_workgroup_id_z 0
		.amdhsa_system_sgpr_workgroup_info 0
		.amdhsa_system_vgpr_workitem_id 0
		.amdhsa_next_free_vgpr 18
		.amdhsa_next_free_sgpr 25
		.amdhsa_accum_offset 20
		.amdhsa_reserve_vcc 1
		.amdhsa_reserve_flat_scratch 0
		.amdhsa_float_round_mode_32 0
		.amdhsa_float_round_mode_16_64 0
		.amdhsa_float_denorm_mode_32 3
		.amdhsa_float_denorm_mode_16_64 3
		.amdhsa_dx10_clamp 1
		.amdhsa_ieee_mode 1
		.amdhsa_fp16_overflow 0
		.amdhsa_tg_split 0
		.amdhsa_exception_fp_ieee_invalid_op 0
		.amdhsa_exception_fp_denorm_src 0
		.amdhsa_exception_fp_ieee_div_zero 0
		.amdhsa_exception_fp_ieee_overflow 0
		.amdhsa_exception_fp_ieee_underflow 0
		.amdhsa_exception_fp_ieee_inexact 0
		.amdhsa_exception_int_div_zero 0
	.end_amdhsa_kernel
	.section	.text._ZN7rocprim17ROCPRIM_400000_NS6detail17trampoline_kernelINS0_14default_configENS1_20scan_config_selectorIjEEZZNS1_9scan_implILNS1_25lookback_scan_determinismE0ELb1ELb1ES3_N6thrust23THRUST_200600_302600_NS6detail15normal_iteratorINS9_10device_ptrIjEEEESE_jNS9_4plusIvEEjEEDaPvRmT3_T4_T5_mT6_P12ihipStream_tbENKUlT_T0_E_clISt17integral_constantIbLb0EEST_IbLb1EEEEDaSP_SQ_EUlSP_E0_NS1_11comp_targetILNS1_3genE4ELNS1_11target_archE910ELNS1_3gpuE8ELNS1_3repE0EEENS1_30default_config_static_selectorELNS0_4arch9wavefront6targetE1EEEvT1_,"axG",@progbits,_ZN7rocprim17ROCPRIM_400000_NS6detail17trampoline_kernelINS0_14default_configENS1_20scan_config_selectorIjEEZZNS1_9scan_implILNS1_25lookback_scan_determinismE0ELb1ELb1ES3_N6thrust23THRUST_200600_302600_NS6detail15normal_iteratorINS9_10device_ptrIjEEEESE_jNS9_4plusIvEEjEEDaPvRmT3_T4_T5_mT6_P12ihipStream_tbENKUlT_T0_E_clISt17integral_constantIbLb0EEST_IbLb1EEEEDaSP_SQ_EUlSP_E0_NS1_11comp_targetILNS1_3genE4ELNS1_11target_archE910ELNS1_3gpuE8ELNS1_3repE0EEENS1_30default_config_static_selectorELNS0_4arch9wavefront6targetE1EEEvT1_,comdat
.Lfunc_end4711:
	.size	_ZN7rocprim17ROCPRIM_400000_NS6detail17trampoline_kernelINS0_14default_configENS1_20scan_config_selectorIjEEZZNS1_9scan_implILNS1_25lookback_scan_determinismE0ELb1ELb1ES3_N6thrust23THRUST_200600_302600_NS6detail15normal_iteratorINS9_10device_ptrIjEEEESE_jNS9_4plusIvEEjEEDaPvRmT3_T4_T5_mT6_P12ihipStream_tbENKUlT_T0_E_clISt17integral_constantIbLb0EEST_IbLb1EEEEDaSP_SQ_EUlSP_E0_NS1_11comp_targetILNS1_3genE4ELNS1_11target_archE910ELNS1_3gpuE8ELNS1_3repE0EEENS1_30default_config_static_selectorELNS0_4arch9wavefront6targetE1EEEvT1_, .Lfunc_end4711-_ZN7rocprim17ROCPRIM_400000_NS6detail17trampoline_kernelINS0_14default_configENS1_20scan_config_selectorIjEEZZNS1_9scan_implILNS1_25lookback_scan_determinismE0ELb1ELb1ES3_N6thrust23THRUST_200600_302600_NS6detail15normal_iteratorINS9_10device_ptrIjEEEESE_jNS9_4plusIvEEjEEDaPvRmT3_T4_T5_mT6_P12ihipStream_tbENKUlT_T0_E_clISt17integral_constantIbLb0EEST_IbLb1EEEEDaSP_SQ_EUlSP_E0_NS1_11comp_targetILNS1_3genE4ELNS1_11target_archE910ELNS1_3gpuE8ELNS1_3repE0EEENS1_30default_config_static_selectorELNS0_4arch9wavefront6targetE1EEEvT1_
                                        ; -- End function
	.section	.AMDGPU.csdata,"",@progbits
; Kernel info:
; codeLenInByte = 1536
; NumSgprs: 29
; NumVgprs: 18
; NumAgprs: 0
; TotalNumVgprs: 18
; ScratchSize: 0
; MemoryBound: 0
; FloatMode: 240
; IeeeMode: 1
; LDSByteSize: 5120 bytes/workgroup (compile time only)
; SGPRBlocks: 3
; VGPRBlocks: 2
; NumSGPRsForWavesPerEU: 29
; NumVGPRsForWavesPerEU: 18
; AccumOffset: 20
; Occupancy: 6
; WaveLimiterHint : 0
; COMPUTE_PGM_RSRC2:SCRATCH_EN: 0
; COMPUTE_PGM_RSRC2:USER_SGPR: 6
; COMPUTE_PGM_RSRC2:TRAP_HANDLER: 0
; COMPUTE_PGM_RSRC2:TGID_X_EN: 1
; COMPUTE_PGM_RSRC2:TGID_Y_EN: 0
; COMPUTE_PGM_RSRC2:TGID_Z_EN: 0
; COMPUTE_PGM_RSRC2:TIDIG_COMP_CNT: 0
; COMPUTE_PGM_RSRC3_GFX90A:ACCUM_OFFSET: 4
; COMPUTE_PGM_RSRC3_GFX90A:TG_SPLIT: 0
	.section	.text._ZN7rocprim17ROCPRIM_400000_NS6detail17trampoline_kernelINS0_14default_configENS1_20scan_config_selectorIjEEZZNS1_9scan_implILNS1_25lookback_scan_determinismE0ELb1ELb1ES3_N6thrust23THRUST_200600_302600_NS6detail15normal_iteratorINS9_10device_ptrIjEEEESE_jNS9_4plusIvEEjEEDaPvRmT3_T4_T5_mT6_P12ihipStream_tbENKUlT_T0_E_clISt17integral_constantIbLb0EEST_IbLb1EEEEDaSP_SQ_EUlSP_E0_NS1_11comp_targetILNS1_3genE3ELNS1_11target_archE908ELNS1_3gpuE7ELNS1_3repE0EEENS1_30default_config_static_selectorELNS0_4arch9wavefront6targetE1EEEvT1_,"axG",@progbits,_ZN7rocprim17ROCPRIM_400000_NS6detail17trampoline_kernelINS0_14default_configENS1_20scan_config_selectorIjEEZZNS1_9scan_implILNS1_25lookback_scan_determinismE0ELb1ELb1ES3_N6thrust23THRUST_200600_302600_NS6detail15normal_iteratorINS9_10device_ptrIjEEEESE_jNS9_4plusIvEEjEEDaPvRmT3_T4_T5_mT6_P12ihipStream_tbENKUlT_T0_E_clISt17integral_constantIbLb0EEST_IbLb1EEEEDaSP_SQ_EUlSP_E0_NS1_11comp_targetILNS1_3genE3ELNS1_11target_archE908ELNS1_3gpuE7ELNS1_3repE0EEENS1_30default_config_static_selectorELNS0_4arch9wavefront6targetE1EEEvT1_,comdat
	.protected	_ZN7rocprim17ROCPRIM_400000_NS6detail17trampoline_kernelINS0_14default_configENS1_20scan_config_selectorIjEEZZNS1_9scan_implILNS1_25lookback_scan_determinismE0ELb1ELb1ES3_N6thrust23THRUST_200600_302600_NS6detail15normal_iteratorINS9_10device_ptrIjEEEESE_jNS9_4plusIvEEjEEDaPvRmT3_T4_T5_mT6_P12ihipStream_tbENKUlT_T0_E_clISt17integral_constantIbLb0EEST_IbLb1EEEEDaSP_SQ_EUlSP_E0_NS1_11comp_targetILNS1_3genE3ELNS1_11target_archE908ELNS1_3gpuE7ELNS1_3repE0EEENS1_30default_config_static_selectorELNS0_4arch9wavefront6targetE1EEEvT1_ ; -- Begin function _ZN7rocprim17ROCPRIM_400000_NS6detail17trampoline_kernelINS0_14default_configENS1_20scan_config_selectorIjEEZZNS1_9scan_implILNS1_25lookback_scan_determinismE0ELb1ELb1ES3_N6thrust23THRUST_200600_302600_NS6detail15normal_iteratorINS9_10device_ptrIjEEEESE_jNS9_4plusIvEEjEEDaPvRmT3_T4_T5_mT6_P12ihipStream_tbENKUlT_T0_E_clISt17integral_constantIbLb0EEST_IbLb1EEEEDaSP_SQ_EUlSP_E0_NS1_11comp_targetILNS1_3genE3ELNS1_11target_archE908ELNS1_3gpuE7ELNS1_3repE0EEENS1_30default_config_static_selectorELNS0_4arch9wavefront6targetE1EEEvT1_
	.globl	_ZN7rocprim17ROCPRIM_400000_NS6detail17trampoline_kernelINS0_14default_configENS1_20scan_config_selectorIjEEZZNS1_9scan_implILNS1_25lookback_scan_determinismE0ELb1ELb1ES3_N6thrust23THRUST_200600_302600_NS6detail15normal_iteratorINS9_10device_ptrIjEEEESE_jNS9_4plusIvEEjEEDaPvRmT3_T4_T5_mT6_P12ihipStream_tbENKUlT_T0_E_clISt17integral_constantIbLb0EEST_IbLb1EEEEDaSP_SQ_EUlSP_E0_NS1_11comp_targetILNS1_3genE3ELNS1_11target_archE908ELNS1_3gpuE7ELNS1_3repE0EEENS1_30default_config_static_selectorELNS0_4arch9wavefront6targetE1EEEvT1_
	.p2align	8
	.type	_ZN7rocprim17ROCPRIM_400000_NS6detail17trampoline_kernelINS0_14default_configENS1_20scan_config_selectorIjEEZZNS1_9scan_implILNS1_25lookback_scan_determinismE0ELb1ELb1ES3_N6thrust23THRUST_200600_302600_NS6detail15normal_iteratorINS9_10device_ptrIjEEEESE_jNS9_4plusIvEEjEEDaPvRmT3_T4_T5_mT6_P12ihipStream_tbENKUlT_T0_E_clISt17integral_constantIbLb0EEST_IbLb1EEEEDaSP_SQ_EUlSP_E0_NS1_11comp_targetILNS1_3genE3ELNS1_11target_archE908ELNS1_3gpuE7ELNS1_3repE0EEENS1_30default_config_static_selectorELNS0_4arch9wavefront6targetE1EEEvT1_,@function
_ZN7rocprim17ROCPRIM_400000_NS6detail17trampoline_kernelINS0_14default_configENS1_20scan_config_selectorIjEEZZNS1_9scan_implILNS1_25lookback_scan_determinismE0ELb1ELb1ES3_N6thrust23THRUST_200600_302600_NS6detail15normal_iteratorINS9_10device_ptrIjEEEESE_jNS9_4plusIvEEjEEDaPvRmT3_T4_T5_mT6_P12ihipStream_tbENKUlT_T0_E_clISt17integral_constantIbLb0EEST_IbLb1EEEEDaSP_SQ_EUlSP_E0_NS1_11comp_targetILNS1_3genE3ELNS1_11target_archE908ELNS1_3gpuE7ELNS1_3repE0EEENS1_30default_config_static_selectorELNS0_4arch9wavefront6targetE1EEEvT1_: ; @_ZN7rocprim17ROCPRIM_400000_NS6detail17trampoline_kernelINS0_14default_configENS1_20scan_config_selectorIjEEZZNS1_9scan_implILNS1_25lookback_scan_determinismE0ELb1ELb1ES3_N6thrust23THRUST_200600_302600_NS6detail15normal_iteratorINS9_10device_ptrIjEEEESE_jNS9_4plusIvEEjEEDaPvRmT3_T4_T5_mT6_P12ihipStream_tbENKUlT_T0_E_clISt17integral_constantIbLb0EEST_IbLb1EEEEDaSP_SQ_EUlSP_E0_NS1_11comp_targetILNS1_3genE3ELNS1_11target_archE908ELNS1_3gpuE7ELNS1_3repE0EEENS1_30default_config_static_selectorELNS0_4arch9wavefront6targetE1EEEvT1_
; %bb.0:
	.section	.rodata,"a",@progbits
	.p2align	6, 0x0
	.amdhsa_kernel _ZN7rocprim17ROCPRIM_400000_NS6detail17trampoline_kernelINS0_14default_configENS1_20scan_config_selectorIjEEZZNS1_9scan_implILNS1_25lookback_scan_determinismE0ELb1ELb1ES3_N6thrust23THRUST_200600_302600_NS6detail15normal_iteratorINS9_10device_ptrIjEEEESE_jNS9_4plusIvEEjEEDaPvRmT3_T4_T5_mT6_P12ihipStream_tbENKUlT_T0_E_clISt17integral_constantIbLb0EEST_IbLb1EEEEDaSP_SQ_EUlSP_E0_NS1_11comp_targetILNS1_3genE3ELNS1_11target_archE908ELNS1_3gpuE7ELNS1_3repE0EEENS1_30default_config_static_selectorELNS0_4arch9wavefront6targetE1EEEvT1_
		.amdhsa_group_segment_fixed_size 0
		.amdhsa_private_segment_fixed_size 0
		.amdhsa_kernarg_size 32
		.amdhsa_user_sgpr_count 6
		.amdhsa_user_sgpr_private_segment_buffer 1
		.amdhsa_user_sgpr_dispatch_ptr 0
		.amdhsa_user_sgpr_queue_ptr 0
		.amdhsa_user_sgpr_kernarg_segment_ptr 1
		.amdhsa_user_sgpr_dispatch_id 0
		.amdhsa_user_sgpr_flat_scratch_init 0
		.amdhsa_user_sgpr_kernarg_preload_length 0
		.amdhsa_user_sgpr_kernarg_preload_offset 0
		.amdhsa_user_sgpr_private_segment_size 0
		.amdhsa_uses_dynamic_stack 0
		.amdhsa_system_sgpr_private_segment_wavefront_offset 0
		.amdhsa_system_sgpr_workgroup_id_x 1
		.amdhsa_system_sgpr_workgroup_id_y 0
		.amdhsa_system_sgpr_workgroup_id_z 0
		.amdhsa_system_sgpr_workgroup_info 0
		.amdhsa_system_vgpr_workitem_id 0
		.amdhsa_next_free_vgpr 1
		.amdhsa_next_free_sgpr 0
		.amdhsa_accum_offset 4
		.amdhsa_reserve_vcc 0
		.amdhsa_reserve_flat_scratch 0
		.amdhsa_float_round_mode_32 0
		.amdhsa_float_round_mode_16_64 0
		.amdhsa_float_denorm_mode_32 3
		.amdhsa_float_denorm_mode_16_64 3
		.amdhsa_dx10_clamp 1
		.amdhsa_ieee_mode 1
		.amdhsa_fp16_overflow 0
		.amdhsa_tg_split 0
		.amdhsa_exception_fp_ieee_invalid_op 0
		.amdhsa_exception_fp_denorm_src 0
		.amdhsa_exception_fp_ieee_div_zero 0
		.amdhsa_exception_fp_ieee_overflow 0
		.amdhsa_exception_fp_ieee_underflow 0
		.amdhsa_exception_fp_ieee_inexact 0
		.amdhsa_exception_int_div_zero 0
	.end_amdhsa_kernel
	.section	.text._ZN7rocprim17ROCPRIM_400000_NS6detail17trampoline_kernelINS0_14default_configENS1_20scan_config_selectorIjEEZZNS1_9scan_implILNS1_25lookback_scan_determinismE0ELb1ELb1ES3_N6thrust23THRUST_200600_302600_NS6detail15normal_iteratorINS9_10device_ptrIjEEEESE_jNS9_4plusIvEEjEEDaPvRmT3_T4_T5_mT6_P12ihipStream_tbENKUlT_T0_E_clISt17integral_constantIbLb0EEST_IbLb1EEEEDaSP_SQ_EUlSP_E0_NS1_11comp_targetILNS1_3genE3ELNS1_11target_archE908ELNS1_3gpuE7ELNS1_3repE0EEENS1_30default_config_static_selectorELNS0_4arch9wavefront6targetE1EEEvT1_,"axG",@progbits,_ZN7rocprim17ROCPRIM_400000_NS6detail17trampoline_kernelINS0_14default_configENS1_20scan_config_selectorIjEEZZNS1_9scan_implILNS1_25lookback_scan_determinismE0ELb1ELb1ES3_N6thrust23THRUST_200600_302600_NS6detail15normal_iteratorINS9_10device_ptrIjEEEESE_jNS9_4plusIvEEjEEDaPvRmT3_T4_T5_mT6_P12ihipStream_tbENKUlT_T0_E_clISt17integral_constantIbLb0EEST_IbLb1EEEEDaSP_SQ_EUlSP_E0_NS1_11comp_targetILNS1_3genE3ELNS1_11target_archE908ELNS1_3gpuE7ELNS1_3repE0EEENS1_30default_config_static_selectorELNS0_4arch9wavefront6targetE1EEEvT1_,comdat
.Lfunc_end4712:
	.size	_ZN7rocprim17ROCPRIM_400000_NS6detail17trampoline_kernelINS0_14default_configENS1_20scan_config_selectorIjEEZZNS1_9scan_implILNS1_25lookback_scan_determinismE0ELb1ELb1ES3_N6thrust23THRUST_200600_302600_NS6detail15normal_iteratorINS9_10device_ptrIjEEEESE_jNS9_4plusIvEEjEEDaPvRmT3_T4_T5_mT6_P12ihipStream_tbENKUlT_T0_E_clISt17integral_constantIbLb0EEST_IbLb1EEEEDaSP_SQ_EUlSP_E0_NS1_11comp_targetILNS1_3genE3ELNS1_11target_archE908ELNS1_3gpuE7ELNS1_3repE0EEENS1_30default_config_static_selectorELNS0_4arch9wavefront6targetE1EEEvT1_, .Lfunc_end4712-_ZN7rocprim17ROCPRIM_400000_NS6detail17trampoline_kernelINS0_14default_configENS1_20scan_config_selectorIjEEZZNS1_9scan_implILNS1_25lookback_scan_determinismE0ELb1ELb1ES3_N6thrust23THRUST_200600_302600_NS6detail15normal_iteratorINS9_10device_ptrIjEEEESE_jNS9_4plusIvEEjEEDaPvRmT3_T4_T5_mT6_P12ihipStream_tbENKUlT_T0_E_clISt17integral_constantIbLb0EEST_IbLb1EEEEDaSP_SQ_EUlSP_E0_NS1_11comp_targetILNS1_3genE3ELNS1_11target_archE908ELNS1_3gpuE7ELNS1_3repE0EEENS1_30default_config_static_selectorELNS0_4arch9wavefront6targetE1EEEvT1_
                                        ; -- End function
	.section	.AMDGPU.csdata,"",@progbits
; Kernel info:
; codeLenInByte = 0
; NumSgprs: 4
; NumVgprs: 0
; NumAgprs: 0
; TotalNumVgprs: 0
; ScratchSize: 0
; MemoryBound: 0
; FloatMode: 240
; IeeeMode: 1
; LDSByteSize: 0 bytes/workgroup (compile time only)
; SGPRBlocks: 0
; VGPRBlocks: 0
; NumSGPRsForWavesPerEU: 4
; NumVGPRsForWavesPerEU: 1
; AccumOffset: 4
; Occupancy: 8
; WaveLimiterHint : 0
; COMPUTE_PGM_RSRC2:SCRATCH_EN: 0
; COMPUTE_PGM_RSRC2:USER_SGPR: 6
; COMPUTE_PGM_RSRC2:TRAP_HANDLER: 0
; COMPUTE_PGM_RSRC2:TGID_X_EN: 1
; COMPUTE_PGM_RSRC2:TGID_Y_EN: 0
; COMPUTE_PGM_RSRC2:TGID_Z_EN: 0
; COMPUTE_PGM_RSRC2:TIDIG_COMP_CNT: 0
; COMPUTE_PGM_RSRC3_GFX90A:ACCUM_OFFSET: 0
; COMPUTE_PGM_RSRC3_GFX90A:TG_SPLIT: 0
	.section	.text._ZN7rocprim17ROCPRIM_400000_NS6detail17trampoline_kernelINS0_14default_configENS1_20scan_config_selectorIjEEZZNS1_9scan_implILNS1_25lookback_scan_determinismE0ELb1ELb1ES3_N6thrust23THRUST_200600_302600_NS6detail15normal_iteratorINS9_10device_ptrIjEEEESE_jNS9_4plusIvEEjEEDaPvRmT3_T4_T5_mT6_P12ihipStream_tbENKUlT_T0_E_clISt17integral_constantIbLb0EEST_IbLb1EEEEDaSP_SQ_EUlSP_E0_NS1_11comp_targetILNS1_3genE2ELNS1_11target_archE906ELNS1_3gpuE6ELNS1_3repE0EEENS1_30default_config_static_selectorELNS0_4arch9wavefront6targetE1EEEvT1_,"axG",@progbits,_ZN7rocprim17ROCPRIM_400000_NS6detail17trampoline_kernelINS0_14default_configENS1_20scan_config_selectorIjEEZZNS1_9scan_implILNS1_25lookback_scan_determinismE0ELb1ELb1ES3_N6thrust23THRUST_200600_302600_NS6detail15normal_iteratorINS9_10device_ptrIjEEEESE_jNS9_4plusIvEEjEEDaPvRmT3_T4_T5_mT6_P12ihipStream_tbENKUlT_T0_E_clISt17integral_constantIbLb0EEST_IbLb1EEEEDaSP_SQ_EUlSP_E0_NS1_11comp_targetILNS1_3genE2ELNS1_11target_archE906ELNS1_3gpuE6ELNS1_3repE0EEENS1_30default_config_static_selectorELNS0_4arch9wavefront6targetE1EEEvT1_,comdat
	.protected	_ZN7rocprim17ROCPRIM_400000_NS6detail17trampoline_kernelINS0_14default_configENS1_20scan_config_selectorIjEEZZNS1_9scan_implILNS1_25lookback_scan_determinismE0ELb1ELb1ES3_N6thrust23THRUST_200600_302600_NS6detail15normal_iteratorINS9_10device_ptrIjEEEESE_jNS9_4plusIvEEjEEDaPvRmT3_T4_T5_mT6_P12ihipStream_tbENKUlT_T0_E_clISt17integral_constantIbLb0EEST_IbLb1EEEEDaSP_SQ_EUlSP_E0_NS1_11comp_targetILNS1_3genE2ELNS1_11target_archE906ELNS1_3gpuE6ELNS1_3repE0EEENS1_30default_config_static_selectorELNS0_4arch9wavefront6targetE1EEEvT1_ ; -- Begin function _ZN7rocprim17ROCPRIM_400000_NS6detail17trampoline_kernelINS0_14default_configENS1_20scan_config_selectorIjEEZZNS1_9scan_implILNS1_25lookback_scan_determinismE0ELb1ELb1ES3_N6thrust23THRUST_200600_302600_NS6detail15normal_iteratorINS9_10device_ptrIjEEEESE_jNS9_4plusIvEEjEEDaPvRmT3_T4_T5_mT6_P12ihipStream_tbENKUlT_T0_E_clISt17integral_constantIbLb0EEST_IbLb1EEEEDaSP_SQ_EUlSP_E0_NS1_11comp_targetILNS1_3genE2ELNS1_11target_archE906ELNS1_3gpuE6ELNS1_3repE0EEENS1_30default_config_static_selectorELNS0_4arch9wavefront6targetE1EEEvT1_
	.globl	_ZN7rocprim17ROCPRIM_400000_NS6detail17trampoline_kernelINS0_14default_configENS1_20scan_config_selectorIjEEZZNS1_9scan_implILNS1_25lookback_scan_determinismE0ELb1ELb1ES3_N6thrust23THRUST_200600_302600_NS6detail15normal_iteratorINS9_10device_ptrIjEEEESE_jNS9_4plusIvEEjEEDaPvRmT3_T4_T5_mT6_P12ihipStream_tbENKUlT_T0_E_clISt17integral_constantIbLb0EEST_IbLb1EEEEDaSP_SQ_EUlSP_E0_NS1_11comp_targetILNS1_3genE2ELNS1_11target_archE906ELNS1_3gpuE6ELNS1_3repE0EEENS1_30default_config_static_selectorELNS0_4arch9wavefront6targetE1EEEvT1_
	.p2align	8
	.type	_ZN7rocprim17ROCPRIM_400000_NS6detail17trampoline_kernelINS0_14default_configENS1_20scan_config_selectorIjEEZZNS1_9scan_implILNS1_25lookback_scan_determinismE0ELb1ELb1ES3_N6thrust23THRUST_200600_302600_NS6detail15normal_iteratorINS9_10device_ptrIjEEEESE_jNS9_4plusIvEEjEEDaPvRmT3_T4_T5_mT6_P12ihipStream_tbENKUlT_T0_E_clISt17integral_constantIbLb0EEST_IbLb1EEEEDaSP_SQ_EUlSP_E0_NS1_11comp_targetILNS1_3genE2ELNS1_11target_archE906ELNS1_3gpuE6ELNS1_3repE0EEENS1_30default_config_static_selectorELNS0_4arch9wavefront6targetE1EEEvT1_,@function
_ZN7rocprim17ROCPRIM_400000_NS6detail17trampoline_kernelINS0_14default_configENS1_20scan_config_selectorIjEEZZNS1_9scan_implILNS1_25lookback_scan_determinismE0ELb1ELb1ES3_N6thrust23THRUST_200600_302600_NS6detail15normal_iteratorINS9_10device_ptrIjEEEESE_jNS9_4plusIvEEjEEDaPvRmT3_T4_T5_mT6_P12ihipStream_tbENKUlT_T0_E_clISt17integral_constantIbLb0EEST_IbLb1EEEEDaSP_SQ_EUlSP_E0_NS1_11comp_targetILNS1_3genE2ELNS1_11target_archE906ELNS1_3gpuE6ELNS1_3repE0EEENS1_30default_config_static_selectorELNS0_4arch9wavefront6targetE1EEEvT1_: ; @_ZN7rocprim17ROCPRIM_400000_NS6detail17trampoline_kernelINS0_14default_configENS1_20scan_config_selectorIjEEZZNS1_9scan_implILNS1_25lookback_scan_determinismE0ELb1ELb1ES3_N6thrust23THRUST_200600_302600_NS6detail15normal_iteratorINS9_10device_ptrIjEEEESE_jNS9_4plusIvEEjEEDaPvRmT3_T4_T5_mT6_P12ihipStream_tbENKUlT_T0_E_clISt17integral_constantIbLb0EEST_IbLb1EEEEDaSP_SQ_EUlSP_E0_NS1_11comp_targetILNS1_3genE2ELNS1_11target_archE906ELNS1_3gpuE6ELNS1_3repE0EEENS1_30default_config_static_selectorELNS0_4arch9wavefront6targetE1EEEvT1_
; %bb.0:
	.section	.rodata,"a",@progbits
	.p2align	6, 0x0
	.amdhsa_kernel _ZN7rocprim17ROCPRIM_400000_NS6detail17trampoline_kernelINS0_14default_configENS1_20scan_config_selectorIjEEZZNS1_9scan_implILNS1_25lookback_scan_determinismE0ELb1ELb1ES3_N6thrust23THRUST_200600_302600_NS6detail15normal_iteratorINS9_10device_ptrIjEEEESE_jNS9_4plusIvEEjEEDaPvRmT3_T4_T5_mT6_P12ihipStream_tbENKUlT_T0_E_clISt17integral_constantIbLb0EEST_IbLb1EEEEDaSP_SQ_EUlSP_E0_NS1_11comp_targetILNS1_3genE2ELNS1_11target_archE906ELNS1_3gpuE6ELNS1_3repE0EEENS1_30default_config_static_selectorELNS0_4arch9wavefront6targetE1EEEvT1_
		.amdhsa_group_segment_fixed_size 0
		.amdhsa_private_segment_fixed_size 0
		.amdhsa_kernarg_size 32
		.amdhsa_user_sgpr_count 6
		.amdhsa_user_sgpr_private_segment_buffer 1
		.amdhsa_user_sgpr_dispatch_ptr 0
		.amdhsa_user_sgpr_queue_ptr 0
		.amdhsa_user_sgpr_kernarg_segment_ptr 1
		.amdhsa_user_sgpr_dispatch_id 0
		.amdhsa_user_sgpr_flat_scratch_init 0
		.amdhsa_user_sgpr_kernarg_preload_length 0
		.amdhsa_user_sgpr_kernarg_preload_offset 0
		.amdhsa_user_sgpr_private_segment_size 0
		.amdhsa_uses_dynamic_stack 0
		.amdhsa_system_sgpr_private_segment_wavefront_offset 0
		.amdhsa_system_sgpr_workgroup_id_x 1
		.amdhsa_system_sgpr_workgroup_id_y 0
		.amdhsa_system_sgpr_workgroup_id_z 0
		.amdhsa_system_sgpr_workgroup_info 0
		.amdhsa_system_vgpr_workitem_id 0
		.amdhsa_next_free_vgpr 1
		.amdhsa_next_free_sgpr 0
		.amdhsa_accum_offset 4
		.amdhsa_reserve_vcc 0
		.amdhsa_reserve_flat_scratch 0
		.amdhsa_float_round_mode_32 0
		.amdhsa_float_round_mode_16_64 0
		.amdhsa_float_denorm_mode_32 3
		.amdhsa_float_denorm_mode_16_64 3
		.amdhsa_dx10_clamp 1
		.amdhsa_ieee_mode 1
		.amdhsa_fp16_overflow 0
		.amdhsa_tg_split 0
		.amdhsa_exception_fp_ieee_invalid_op 0
		.amdhsa_exception_fp_denorm_src 0
		.amdhsa_exception_fp_ieee_div_zero 0
		.amdhsa_exception_fp_ieee_overflow 0
		.amdhsa_exception_fp_ieee_underflow 0
		.amdhsa_exception_fp_ieee_inexact 0
		.amdhsa_exception_int_div_zero 0
	.end_amdhsa_kernel
	.section	.text._ZN7rocprim17ROCPRIM_400000_NS6detail17trampoline_kernelINS0_14default_configENS1_20scan_config_selectorIjEEZZNS1_9scan_implILNS1_25lookback_scan_determinismE0ELb1ELb1ES3_N6thrust23THRUST_200600_302600_NS6detail15normal_iteratorINS9_10device_ptrIjEEEESE_jNS9_4plusIvEEjEEDaPvRmT3_T4_T5_mT6_P12ihipStream_tbENKUlT_T0_E_clISt17integral_constantIbLb0EEST_IbLb1EEEEDaSP_SQ_EUlSP_E0_NS1_11comp_targetILNS1_3genE2ELNS1_11target_archE906ELNS1_3gpuE6ELNS1_3repE0EEENS1_30default_config_static_selectorELNS0_4arch9wavefront6targetE1EEEvT1_,"axG",@progbits,_ZN7rocprim17ROCPRIM_400000_NS6detail17trampoline_kernelINS0_14default_configENS1_20scan_config_selectorIjEEZZNS1_9scan_implILNS1_25lookback_scan_determinismE0ELb1ELb1ES3_N6thrust23THRUST_200600_302600_NS6detail15normal_iteratorINS9_10device_ptrIjEEEESE_jNS9_4plusIvEEjEEDaPvRmT3_T4_T5_mT6_P12ihipStream_tbENKUlT_T0_E_clISt17integral_constantIbLb0EEST_IbLb1EEEEDaSP_SQ_EUlSP_E0_NS1_11comp_targetILNS1_3genE2ELNS1_11target_archE906ELNS1_3gpuE6ELNS1_3repE0EEENS1_30default_config_static_selectorELNS0_4arch9wavefront6targetE1EEEvT1_,comdat
.Lfunc_end4713:
	.size	_ZN7rocprim17ROCPRIM_400000_NS6detail17trampoline_kernelINS0_14default_configENS1_20scan_config_selectorIjEEZZNS1_9scan_implILNS1_25lookback_scan_determinismE0ELb1ELb1ES3_N6thrust23THRUST_200600_302600_NS6detail15normal_iteratorINS9_10device_ptrIjEEEESE_jNS9_4plusIvEEjEEDaPvRmT3_T4_T5_mT6_P12ihipStream_tbENKUlT_T0_E_clISt17integral_constantIbLb0EEST_IbLb1EEEEDaSP_SQ_EUlSP_E0_NS1_11comp_targetILNS1_3genE2ELNS1_11target_archE906ELNS1_3gpuE6ELNS1_3repE0EEENS1_30default_config_static_selectorELNS0_4arch9wavefront6targetE1EEEvT1_, .Lfunc_end4713-_ZN7rocprim17ROCPRIM_400000_NS6detail17trampoline_kernelINS0_14default_configENS1_20scan_config_selectorIjEEZZNS1_9scan_implILNS1_25lookback_scan_determinismE0ELb1ELb1ES3_N6thrust23THRUST_200600_302600_NS6detail15normal_iteratorINS9_10device_ptrIjEEEESE_jNS9_4plusIvEEjEEDaPvRmT3_T4_T5_mT6_P12ihipStream_tbENKUlT_T0_E_clISt17integral_constantIbLb0EEST_IbLb1EEEEDaSP_SQ_EUlSP_E0_NS1_11comp_targetILNS1_3genE2ELNS1_11target_archE906ELNS1_3gpuE6ELNS1_3repE0EEENS1_30default_config_static_selectorELNS0_4arch9wavefront6targetE1EEEvT1_
                                        ; -- End function
	.section	.AMDGPU.csdata,"",@progbits
; Kernel info:
; codeLenInByte = 0
; NumSgprs: 4
; NumVgprs: 0
; NumAgprs: 0
; TotalNumVgprs: 0
; ScratchSize: 0
; MemoryBound: 0
; FloatMode: 240
; IeeeMode: 1
; LDSByteSize: 0 bytes/workgroup (compile time only)
; SGPRBlocks: 0
; VGPRBlocks: 0
; NumSGPRsForWavesPerEU: 4
; NumVGPRsForWavesPerEU: 1
; AccumOffset: 4
; Occupancy: 8
; WaveLimiterHint : 0
; COMPUTE_PGM_RSRC2:SCRATCH_EN: 0
; COMPUTE_PGM_RSRC2:USER_SGPR: 6
; COMPUTE_PGM_RSRC2:TRAP_HANDLER: 0
; COMPUTE_PGM_RSRC2:TGID_X_EN: 1
; COMPUTE_PGM_RSRC2:TGID_Y_EN: 0
; COMPUTE_PGM_RSRC2:TGID_Z_EN: 0
; COMPUTE_PGM_RSRC2:TIDIG_COMP_CNT: 0
; COMPUTE_PGM_RSRC3_GFX90A:ACCUM_OFFSET: 0
; COMPUTE_PGM_RSRC3_GFX90A:TG_SPLIT: 0
	.section	.text._ZN7rocprim17ROCPRIM_400000_NS6detail17trampoline_kernelINS0_14default_configENS1_20scan_config_selectorIjEEZZNS1_9scan_implILNS1_25lookback_scan_determinismE0ELb1ELb1ES3_N6thrust23THRUST_200600_302600_NS6detail15normal_iteratorINS9_10device_ptrIjEEEESE_jNS9_4plusIvEEjEEDaPvRmT3_T4_T5_mT6_P12ihipStream_tbENKUlT_T0_E_clISt17integral_constantIbLb0EEST_IbLb1EEEEDaSP_SQ_EUlSP_E0_NS1_11comp_targetILNS1_3genE10ELNS1_11target_archE1201ELNS1_3gpuE5ELNS1_3repE0EEENS1_30default_config_static_selectorELNS0_4arch9wavefront6targetE1EEEvT1_,"axG",@progbits,_ZN7rocprim17ROCPRIM_400000_NS6detail17trampoline_kernelINS0_14default_configENS1_20scan_config_selectorIjEEZZNS1_9scan_implILNS1_25lookback_scan_determinismE0ELb1ELb1ES3_N6thrust23THRUST_200600_302600_NS6detail15normal_iteratorINS9_10device_ptrIjEEEESE_jNS9_4plusIvEEjEEDaPvRmT3_T4_T5_mT6_P12ihipStream_tbENKUlT_T0_E_clISt17integral_constantIbLb0EEST_IbLb1EEEEDaSP_SQ_EUlSP_E0_NS1_11comp_targetILNS1_3genE10ELNS1_11target_archE1201ELNS1_3gpuE5ELNS1_3repE0EEENS1_30default_config_static_selectorELNS0_4arch9wavefront6targetE1EEEvT1_,comdat
	.protected	_ZN7rocprim17ROCPRIM_400000_NS6detail17trampoline_kernelINS0_14default_configENS1_20scan_config_selectorIjEEZZNS1_9scan_implILNS1_25lookback_scan_determinismE0ELb1ELb1ES3_N6thrust23THRUST_200600_302600_NS6detail15normal_iteratorINS9_10device_ptrIjEEEESE_jNS9_4plusIvEEjEEDaPvRmT3_T4_T5_mT6_P12ihipStream_tbENKUlT_T0_E_clISt17integral_constantIbLb0EEST_IbLb1EEEEDaSP_SQ_EUlSP_E0_NS1_11comp_targetILNS1_3genE10ELNS1_11target_archE1201ELNS1_3gpuE5ELNS1_3repE0EEENS1_30default_config_static_selectorELNS0_4arch9wavefront6targetE1EEEvT1_ ; -- Begin function _ZN7rocprim17ROCPRIM_400000_NS6detail17trampoline_kernelINS0_14default_configENS1_20scan_config_selectorIjEEZZNS1_9scan_implILNS1_25lookback_scan_determinismE0ELb1ELb1ES3_N6thrust23THRUST_200600_302600_NS6detail15normal_iteratorINS9_10device_ptrIjEEEESE_jNS9_4plusIvEEjEEDaPvRmT3_T4_T5_mT6_P12ihipStream_tbENKUlT_T0_E_clISt17integral_constantIbLb0EEST_IbLb1EEEEDaSP_SQ_EUlSP_E0_NS1_11comp_targetILNS1_3genE10ELNS1_11target_archE1201ELNS1_3gpuE5ELNS1_3repE0EEENS1_30default_config_static_selectorELNS0_4arch9wavefront6targetE1EEEvT1_
	.globl	_ZN7rocprim17ROCPRIM_400000_NS6detail17trampoline_kernelINS0_14default_configENS1_20scan_config_selectorIjEEZZNS1_9scan_implILNS1_25lookback_scan_determinismE0ELb1ELb1ES3_N6thrust23THRUST_200600_302600_NS6detail15normal_iteratorINS9_10device_ptrIjEEEESE_jNS9_4plusIvEEjEEDaPvRmT3_T4_T5_mT6_P12ihipStream_tbENKUlT_T0_E_clISt17integral_constantIbLb0EEST_IbLb1EEEEDaSP_SQ_EUlSP_E0_NS1_11comp_targetILNS1_3genE10ELNS1_11target_archE1201ELNS1_3gpuE5ELNS1_3repE0EEENS1_30default_config_static_selectorELNS0_4arch9wavefront6targetE1EEEvT1_
	.p2align	8
	.type	_ZN7rocprim17ROCPRIM_400000_NS6detail17trampoline_kernelINS0_14default_configENS1_20scan_config_selectorIjEEZZNS1_9scan_implILNS1_25lookback_scan_determinismE0ELb1ELb1ES3_N6thrust23THRUST_200600_302600_NS6detail15normal_iteratorINS9_10device_ptrIjEEEESE_jNS9_4plusIvEEjEEDaPvRmT3_T4_T5_mT6_P12ihipStream_tbENKUlT_T0_E_clISt17integral_constantIbLb0EEST_IbLb1EEEEDaSP_SQ_EUlSP_E0_NS1_11comp_targetILNS1_3genE10ELNS1_11target_archE1201ELNS1_3gpuE5ELNS1_3repE0EEENS1_30default_config_static_selectorELNS0_4arch9wavefront6targetE1EEEvT1_,@function
_ZN7rocprim17ROCPRIM_400000_NS6detail17trampoline_kernelINS0_14default_configENS1_20scan_config_selectorIjEEZZNS1_9scan_implILNS1_25lookback_scan_determinismE0ELb1ELb1ES3_N6thrust23THRUST_200600_302600_NS6detail15normal_iteratorINS9_10device_ptrIjEEEESE_jNS9_4plusIvEEjEEDaPvRmT3_T4_T5_mT6_P12ihipStream_tbENKUlT_T0_E_clISt17integral_constantIbLb0EEST_IbLb1EEEEDaSP_SQ_EUlSP_E0_NS1_11comp_targetILNS1_3genE10ELNS1_11target_archE1201ELNS1_3gpuE5ELNS1_3repE0EEENS1_30default_config_static_selectorELNS0_4arch9wavefront6targetE1EEEvT1_: ; @_ZN7rocprim17ROCPRIM_400000_NS6detail17trampoline_kernelINS0_14default_configENS1_20scan_config_selectorIjEEZZNS1_9scan_implILNS1_25lookback_scan_determinismE0ELb1ELb1ES3_N6thrust23THRUST_200600_302600_NS6detail15normal_iteratorINS9_10device_ptrIjEEEESE_jNS9_4plusIvEEjEEDaPvRmT3_T4_T5_mT6_P12ihipStream_tbENKUlT_T0_E_clISt17integral_constantIbLb0EEST_IbLb1EEEEDaSP_SQ_EUlSP_E0_NS1_11comp_targetILNS1_3genE10ELNS1_11target_archE1201ELNS1_3gpuE5ELNS1_3repE0EEENS1_30default_config_static_selectorELNS0_4arch9wavefront6targetE1EEEvT1_
; %bb.0:
	.section	.rodata,"a",@progbits
	.p2align	6, 0x0
	.amdhsa_kernel _ZN7rocprim17ROCPRIM_400000_NS6detail17trampoline_kernelINS0_14default_configENS1_20scan_config_selectorIjEEZZNS1_9scan_implILNS1_25lookback_scan_determinismE0ELb1ELb1ES3_N6thrust23THRUST_200600_302600_NS6detail15normal_iteratorINS9_10device_ptrIjEEEESE_jNS9_4plusIvEEjEEDaPvRmT3_T4_T5_mT6_P12ihipStream_tbENKUlT_T0_E_clISt17integral_constantIbLb0EEST_IbLb1EEEEDaSP_SQ_EUlSP_E0_NS1_11comp_targetILNS1_3genE10ELNS1_11target_archE1201ELNS1_3gpuE5ELNS1_3repE0EEENS1_30default_config_static_selectorELNS0_4arch9wavefront6targetE1EEEvT1_
		.amdhsa_group_segment_fixed_size 0
		.amdhsa_private_segment_fixed_size 0
		.amdhsa_kernarg_size 32
		.amdhsa_user_sgpr_count 6
		.amdhsa_user_sgpr_private_segment_buffer 1
		.amdhsa_user_sgpr_dispatch_ptr 0
		.amdhsa_user_sgpr_queue_ptr 0
		.amdhsa_user_sgpr_kernarg_segment_ptr 1
		.amdhsa_user_sgpr_dispatch_id 0
		.amdhsa_user_sgpr_flat_scratch_init 0
		.amdhsa_user_sgpr_kernarg_preload_length 0
		.amdhsa_user_sgpr_kernarg_preload_offset 0
		.amdhsa_user_sgpr_private_segment_size 0
		.amdhsa_uses_dynamic_stack 0
		.amdhsa_system_sgpr_private_segment_wavefront_offset 0
		.amdhsa_system_sgpr_workgroup_id_x 1
		.amdhsa_system_sgpr_workgroup_id_y 0
		.amdhsa_system_sgpr_workgroup_id_z 0
		.amdhsa_system_sgpr_workgroup_info 0
		.amdhsa_system_vgpr_workitem_id 0
		.amdhsa_next_free_vgpr 1
		.amdhsa_next_free_sgpr 0
		.amdhsa_accum_offset 4
		.amdhsa_reserve_vcc 0
		.amdhsa_reserve_flat_scratch 0
		.amdhsa_float_round_mode_32 0
		.amdhsa_float_round_mode_16_64 0
		.amdhsa_float_denorm_mode_32 3
		.amdhsa_float_denorm_mode_16_64 3
		.amdhsa_dx10_clamp 1
		.amdhsa_ieee_mode 1
		.amdhsa_fp16_overflow 0
		.amdhsa_tg_split 0
		.amdhsa_exception_fp_ieee_invalid_op 0
		.amdhsa_exception_fp_denorm_src 0
		.amdhsa_exception_fp_ieee_div_zero 0
		.amdhsa_exception_fp_ieee_overflow 0
		.amdhsa_exception_fp_ieee_underflow 0
		.amdhsa_exception_fp_ieee_inexact 0
		.amdhsa_exception_int_div_zero 0
	.end_amdhsa_kernel
	.section	.text._ZN7rocprim17ROCPRIM_400000_NS6detail17trampoline_kernelINS0_14default_configENS1_20scan_config_selectorIjEEZZNS1_9scan_implILNS1_25lookback_scan_determinismE0ELb1ELb1ES3_N6thrust23THRUST_200600_302600_NS6detail15normal_iteratorINS9_10device_ptrIjEEEESE_jNS9_4plusIvEEjEEDaPvRmT3_T4_T5_mT6_P12ihipStream_tbENKUlT_T0_E_clISt17integral_constantIbLb0EEST_IbLb1EEEEDaSP_SQ_EUlSP_E0_NS1_11comp_targetILNS1_3genE10ELNS1_11target_archE1201ELNS1_3gpuE5ELNS1_3repE0EEENS1_30default_config_static_selectorELNS0_4arch9wavefront6targetE1EEEvT1_,"axG",@progbits,_ZN7rocprim17ROCPRIM_400000_NS6detail17trampoline_kernelINS0_14default_configENS1_20scan_config_selectorIjEEZZNS1_9scan_implILNS1_25lookback_scan_determinismE0ELb1ELb1ES3_N6thrust23THRUST_200600_302600_NS6detail15normal_iteratorINS9_10device_ptrIjEEEESE_jNS9_4plusIvEEjEEDaPvRmT3_T4_T5_mT6_P12ihipStream_tbENKUlT_T0_E_clISt17integral_constantIbLb0EEST_IbLb1EEEEDaSP_SQ_EUlSP_E0_NS1_11comp_targetILNS1_3genE10ELNS1_11target_archE1201ELNS1_3gpuE5ELNS1_3repE0EEENS1_30default_config_static_selectorELNS0_4arch9wavefront6targetE1EEEvT1_,comdat
.Lfunc_end4714:
	.size	_ZN7rocprim17ROCPRIM_400000_NS6detail17trampoline_kernelINS0_14default_configENS1_20scan_config_selectorIjEEZZNS1_9scan_implILNS1_25lookback_scan_determinismE0ELb1ELb1ES3_N6thrust23THRUST_200600_302600_NS6detail15normal_iteratorINS9_10device_ptrIjEEEESE_jNS9_4plusIvEEjEEDaPvRmT3_T4_T5_mT6_P12ihipStream_tbENKUlT_T0_E_clISt17integral_constantIbLb0EEST_IbLb1EEEEDaSP_SQ_EUlSP_E0_NS1_11comp_targetILNS1_3genE10ELNS1_11target_archE1201ELNS1_3gpuE5ELNS1_3repE0EEENS1_30default_config_static_selectorELNS0_4arch9wavefront6targetE1EEEvT1_, .Lfunc_end4714-_ZN7rocprim17ROCPRIM_400000_NS6detail17trampoline_kernelINS0_14default_configENS1_20scan_config_selectorIjEEZZNS1_9scan_implILNS1_25lookback_scan_determinismE0ELb1ELb1ES3_N6thrust23THRUST_200600_302600_NS6detail15normal_iteratorINS9_10device_ptrIjEEEESE_jNS9_4plusIvEEjEEDaPvRmT3_T4_T5_mT6_P12ihipStream_tbENKUlT_T0_E_clISt17integral_constantIbLb0EEST_IbLb1EEEEDaSP_SQ_EUlSP_E0_NS1_11comp_targetILNS1_3genE10ELNS1_11target_archE1201ELNS1_3gpuE5ELNS1_3repE0EEENS1_30default_config_static_selectorELNS0_4arch9wavefront6targetE1EEEvT1_
                                        ; -- End function
	.section	.AMDGPU.csdata,"",@progbits
; Kernel info:
; codeLenInByte = 0
; NumSgprs: 4
; NumVgprs: 0
; NumAgprs: 0
; TotalNumVgprs: 0
; ScratchSize: 0
; MemoryBound: 0
; FloatMode: 240
; IeeeMode: 1
; LDSByteSize: 0 bytes/workgroup (compile time only)
; SGPRBlocks: 0
; VGPRBlocks: 0
; NumSGPRsForWavesPerEU: 4
; NumVGPRsForWavesPerEU: 1
; AccumOffset: 4
; Occupancy: 8
; WaveLimiterHint : 0
; COMPUTE_PGM_RSRC2:SCRATCH_EN: 0
; COMPUTE_PGM_RSRC2:USER_SGPR: 6
; COMPUTE_PGM_RSRC2:TRAP_HANDLER: 0
; COMPUTE_PGM_RSRC2:TGID_X_EN: 1
; COMPUTE_PGM_RSRC2:TGID_Y_EN: 0
; COMPUTE_PGM_RSRC2:TGID_Z_EN: 0
; COMPUTE_PGM_RSRC2:TIDIG_COMP_CNT: 0
; COMPUTE_PGM_RSRC3_GFX90A:ACCUM_OFFSET: 0
; COMPUTE_PGM_RSRC3_GFX90A:TG_SPLIT: 0
	.section	.text._ZN7rocprim17ROCPRIM_400000_NS6detail17trampoline_kernelINS0_14default_configENS1_20scan_config_selectorIjEEZZNS1_9scan_implILNS1_25lookback_scan_determinismE0ELb1ELb1ES3_N6thrust23THRUST_200600_302600_NS6detail15normal_iteratorINS9_10device_ptrIjEEEESE_jNS9_4plusIvEEjEEDaPvRmT3_T4_T5_mT6_P12ihipStream_tbENKUlT_T0_E_clISt17integral_constantIbLb0EEST_IbLb1EEEEDaSP_SQ_EUlSP_E0_NS1_11comp_targetILNS1_3genE10ELNS1_11target_archE1200ELNS1_3gpuE4ELNS1_3repE0EEENS1_30default_config_static_selectorELNS0_4arch9wavefront6targetE1EEEvT1_,"axG",@progbits,_ZN7rocprim17ROCPRIM_400000_NS6detail17trampoline_kernelINS0_14default_configENS1_20scan_config_selectorIjEEZZNS1_9scan_implILNS1_25lookback_scan_determinismE0ELb1ELb1ES3_N6thrust23THRUST_200600_302600_NS6detail15normal_iteratorINS9_10device_ptrIjEEEESE_jNS9_4plusIvEEjEEDaPvRmT3_T4_T5_mT6_P12ihipStream_tbENKUlT_T0_E_clISt17integral_constantIbLb0EEST_IbLb1EEEEDaSP_SQ_EUlSP_E0_NS1_11comp_targetILNS1_3genE10ELNS1_11target_archE1200ELNS1_3gpuE4ELNS1_3repE0EEENS1_30default_config_static_selectorELNS0_4arch9wavefront6targetE1EEEvT1_,comdat
	.protected	_ZN7rocprim17ROCPRIM_400000_NS6detail17trampoline_kernelINS0_14default_configENS1_20scan_config_selectorIjEEZZNS1_9scan_implILNS1_25lookback_scan_determinismE0ELb1ELb1ES3_N6thrust23THRUST_200600_302600_NS6detail15normal_iteratorINS9_10device_ptrIjEEEESE_jNS9_4plusIvEEjEEDaPvRmT3_T4_T5_mT6_P12ihipStream_tbENKUlT_T0_E_clISt17integral_constantIbLb0EEST_IbLb1EEEEDaSP_SQ_EUlSP_E0_NS1_11comp_targetILNS1_3genE10ELNS1_11target_archE1200ELNS1_3gpuE4ELNS1_3repE0EEENS1_30default_config_static_selectorELNS0_4arch9wavefront6targetE1EEEvT1_ ; -- Begin function _ZN7rocprim17ROCPRIM_400000_NS6detail17trampoline_kernelINS0_14default_configENS1_20scan_config_selectorIjEEZZNS1_9scan_implILNS1_25lookback_scan_determinismE0ELb1ELb1ES3_N6thrust23THRUST_200600_302600_NS6detail15normal_iteratorINS9_10device_ptrIjEEEESE_jNS9_4plusIvEEjEEDaPvRmT3_T4_T5_mT6_P12ihipStream_tbENKUlT_T0_E_clISt17integral_constantIbLb0EEST_IbLb1EEEEDaSP_SQ_EUlSP_E0_NS1_11comp_targetILNS1_3genE10ELNS1_11target_archE1200ELNS1_3gpuE4ELNS1_3repE0EEENS1_30default_config_static_selectorELNS0_4arch9wavefront6targetE1EEEvT1_
	.globl	_ZN7rocprim17ROCPRIM_400000_NS6detail17trampoline_kernelINS0_14default_configENS1_20scan_config_selectorIjEEZZNS1_9scan_implILNS1_25lookback_scan_determinismE0ELb1ELb1ES3_N6thrust23THRUST_200600_302600_NS6detail15normal_iteratorINS9_10device_ptrIjEEEESE_jNS9_4plusIvEEjEEDaPvRmT3_T4_T5_mT6_P12ihipStream_tbENKUlT_T0_E_clISt17integral_constantIbLb0EEST_IbLb1EEEEDaSP_SQ_EUlSP_E0_NS1_11comp_targetILNS1_3genE10ELNS1_11target_archE1200ELNS1_3gpuE4ELNS1_3repE0EEENS1_30default_config_static_selectorELNS0_4arch9wavefront6targetE1EEEvT1_
	.p2align	8
	.type	_ZN7rocprim17ROCPRIM_400000_NS6detail17trampoline_kernelINS0_14default_configENS1_20scan_config_selectorIjEEZZNS1_9scan_implILNS1_25lookback_scan_determinismE0ELb1ELb1ES3_N6thrust23THRUST_200600_302600_NS6detail15normal_iteratorINS9_10device_ptrIjEEEESE_jNS9_4plusIvEEjEEDaPvRmT3_T4_T5_mT6_P12ihipStream_tbENKUlT_T0_E_clISt17integral_constantIbLb0EEST_IbLb1EEEEDaSP_SQ_EUlSP_E0_NS1_11comp_targetILNS1_3genE10ELNS1_11target_archE1200ELNS1_3gpuE4ELNS1_3repE0EEENS1_30default_config_static_selectorELNS0_4arch9wavefront6targetE1EEEvT1_,@function
_ZN7rocprim17ROCPRIM_400000_NS6detail17trampoline_kernelINS0_14default_configENS1_20scan_config_selectorIjEEZZNS1_9scan_implILNS1_25lookback_scan_determinismE0ELb1ELb1ES3_N6thrust23THRUST_200600_302600_NS6detail15normal_iteratorINS9_10device_ptrIjEEEESE_jNS9_4plusIvEEjEEDaPvRmT3_T4_T5_mT6_P12ihipStream_tbENKUlT_T0_E_clISt17integral_constantIbLb0EEST_IbLb1EEEEDaSP_SQ_EUlSP_E0_NS1_11comp_targetILNS1_3genE10ELNS1_11target_archE1200ELNS1_3gpuE4ELNS1_3repE0EEENS1_30default_config_static_selectorELNS0_4arch9wavefront6targetE1EEEvT1_: ; @_ZN7rocprim17ROCPRIM_400000_NS6detail17trampoline_kernelINS0_14default_configENS1_20scan_config_selectorIjEEZZNS1_9scan_implILNS1_25lookback_scan_determinismE0ELb1ELb1ES3_N6thrust23THRUST_200600_302600_NS6detail15normal_iteratorINS9_10device_ptrIjEEEESE_jNS9_4plusIvEEjEEDaPvRmT3_T4_T5_mT6_P12ihipStream_tbENKUlT_T0_E_clISt17integral_constantIbLb0EEST_IbLb1EEEEDaSP_SQ_EUlSP_E0_NS1_11comp_targetILNS1_3genE10ELNS1_11target_archE1200ELNS1_3gpuE4ELNS1_3repE0EEENS1_30default_config_static_selectorELNS0_4arch9wavefront6targetE1EEEvT1_
; %bb.0:
	.section	.rodata,"a",@progbits
	.p2align	6, 0x0
	.amdhsa_kernel _ZN7rocprim17ROCPRIM_400000_NS6detail17trampoline_kernelINS0_14default_configENS1_20scan_config_selectorIjEEZZNS1_9scan_implILNS1_25lookback_scan_determinismE0ELb1ELb1ES3_N6thrust23THRUST_200600_302600_NS6detail15normal_iteratorINS9_10device_ptrIjEEEESE_jNS9_4plusIvEEjEEDaPvRmT3_T4_T5_mT6_P12ihipStream_tbENKUlT_T0_E_clISt17integral_constantIbLb0EEST_IbLb1EEEEDaSP_SQ_EUlSP_E0_NS1_11comp_targetILNS1_3genE10ELNS1_11target_archE1200ELNS1_3gpuE4ELNS1_3repE0EEENS1_30default_config_static_selectorELNS0_4arch9wavefront6targetE1EEEvT1_
		.amdhsa_group_segment_fixed_size 0
		.amdhsa_private_segment_fixed_size 0
		.amdhsa_kernarg_size 32
		.amdhsa_user_sgpr_count 6
		.amdhsa_user_sgpr_private_segment_buffer 1
		.amdhsa_user_sgpr_dispatch_ptr 0
		.amdhsa_user_sgpr_queue_ptr 0
		.amdhsa_user_sgpr_kernarg_segment_ptr 1
		.amdhsa_user_sgpr_dispatch_id 0
		.amdhsa_user_sgpr_flat_scratch_init 0
		.amdhsa_user_sgpr_kernarg_preload_length 0
		.amdhsa_user_sgpr_kernarg_preload_offset 0
		.amdhsa_user_sgpr_private_segment_size 0
		.amdhsa_uses_dynamic_stack 0
		.amdhsa_system_sgpr_private_segment_wavefront_offset 0
		.amdhsa_system_sgpr_workgroup_id_x 1
		.amdhsa_system_sgpr_workgroup_id_y 0
		.amdhsa_system_sgpr_workgroup_id_z 0
		.amdhsa_system_sgpr_workgroup_info 0
		.amdhsa_system_vgpr_workitem_id 0
		.amdhsa_next_free_vgpr 1
		.amdhsa_next_free_sgpr 0
		.amdhsa_accum_offset 4
		.amdhsa_reserve_vcc 0
		.amdhsa_reserve_flat_scratch 0
		.amdhsa_float_round_mode_32 0
		.amdhsa_float_round_mode_16_64 0
		.amdhsa_float_denorm_mode_32 3
		.amdhsa_float_denorm_mode_16_64 3
		.amdhsa_dx10_clamp 1
		.amdhsa_ieee_mode 1
		.amdhsa_fp16_overflow 0
		.amdhsa_tg_split 0
		.amdhsa_exception_fp_ieee_invalid_op 0
		.amdhsa_exception_fp_denorm_src 0
		.amdhsa_exception_fp_ieee_div_zero 0
		.amdhsa_exception_fp_ieee_overflow 0
		.amdhsa_exception_fp_ieee_underflow 0
		.amdhsa_exception_fp_ieee_inexact 0
		.amdhsa_exception_int_div_zero 0
	.end_amdhsa_kernel
	.section	.text._ZN7rocprim17ROCPRIM_400000_NS6detail17trampoline_kernelINS0_14default_configENS1_20scan_config_selectorIjEEZZNS1_9scan_implILNS1_25lookback_scan_determinismE0ELb1ELb1ES3_N6thrust23THRUST_200600_302600_NS6detail15normal_iteratorINS9_10device_ptrIjEEEESE_jNS9_4plusIvEEjEEDaPvRmT3_T4_T5_mT6_P12ihipStream_tbENKUlT_T0_E_clISt17integral_constantIbLb0EEST_IbLb1EEEEDaSP_SQ_EUlSP_E0_NS1_11comp_targetILNS1_3genE10ELNS1_11target_archE1200ELNS1_3gpuE4ELNS1_3repE0EEENS1_30default_config_static_selectorELNS0_4arch9wavefront6targetE1EEEvT1_,"axG",@progbits,_ZN7rocprim17ROCPRIM_400000_NS6detail17trampoline_kernelINS0_14default_configENS1_20scan_config_selectorIjEEZZNS1_9scan_implILNS1_25lookback_scan_determinismE0ELb1ELb1ES3_N6thrust23THRUST_200600_302600_NS6detail15normal_iteratorINS9_10device_ptrIjEEEESE_jNS9_4plusIvEEjEEDaPvRmT3_T4_T5_mT6_P12ihipStream_tbENKUlT_T0_E_clISt17integral_constantIbLb0EEST_IbLb1EEEEDaSP_SQ_EUlSP_E0_NS1_11comp_targetILNS1_3genE10ELNS1_11target_archE1200ELNS1_3gpuE4ELNS1_3repE0EEENS1_30default_config_static_selectorELNS0_4arch9wavefront6targetE1EEEvT1_,comdat
.Lfunc_end4715:
	.size	_ZN7rocprim17ROCPRIM_400000_NS6detail17trampoline_kernelINS0_14default_configENS1_20scan_config_selectorIjEEZZNS1_9scan_implILNS1_25lookback_scan_determinismE0ELb1ELb1ES3_N6thrust23THRUST_200600_302600_NS6detail15normal_iteratorINS9_10device_ptrIjEEEESE_jNS9_4plusIvEEjEEDaPvRmT3_T4_T5_mT6_P12ihipStream_tbENKUlT_T0_E_clISt17integral_constantIbLb0EEST_IbLb1EEEEDaSP_SQ_EUlSP_E0_NS1_11comp_targetILNS1_3genE10ELNS1_11target_archE1200ELNS1_3gpuE4ELNS1_3repE0EEENS1_30default_config_static_selectorELNS0_4arch9wavefront6targetE1EEEvT1_, .Lfunc_end4715-_ZN7rocprim17ROCPRIM_400000_NS6detail17trampoline_kernelINS0_14default_configENS1_20scan_config_selectorIjEEZZNS1_9scan_implILNS1_25lookback_scan_determinismE0ELb1ELb1ES3_N6thrust23THRUST_200600_302600_NS6detail15normal_iteratorINS9_10device_ptrIjEEEESE_jNS9_4plusIvEEjEEDaPvRmT3_T4_T5_mT6_P12ihipStream_tbENKUlT_T0_E_clISt17integral_constantIbLb0EEST_IbLb1EEEEDaSP_SQ_EUlSP_E0_NS1_11comp_targetILNS1_3genE10ELNS1_11target_archE1200ELNS1_3gpuE4ELNS1_3repE0EEENS1_30default_config_static_selectorELNS0_4arch9wavefront6targetE1EEEvT1_
                                        ; -- End function
	.section	.AMDGPU.csdata,"",@progbits
; Kernel info:
; codeLenInByte = 0
; NumSgprs: 4
; NumVgprs: 0
; NumAgprs: 0
; TotalNumVgprs: 0
; ScratchSize: 0
; MemoryBound: 0
; FloatMode: 240
; IeeeMode: 1
; LDSByteSize: 0 bytes/workgroup (compile time only)
; SGPRBlocks: 0
; VGPRBlocks: 0
; NumSGPRsForWavesPerEU: 4
; NumVGPRsForWavesPerEU: 1
; AccumOffset: 4
; Occupancy: 8
; WaveLimiterHint : 0
; COMPUTE_PGM_RSRC2:SCRATCH_EN: 0
; COMPUTE_PGM_RSRC2:USER_SGPR: 6
; COMPUTE_PGM_RSRC2:TRAP_HANDLER: 0
; COMPUTE_PGM_RSRC2:TGID_X_EN: 1
; COMPUTE_PGM_RSRC2:TGID_Y_EN: 0
; COMPUTE_PGM_RSRC2:TGID_Z_EN: 0
; COMPUTE_PGM_RSRC2:TIDIG_COMP_CNT: 0
; COMPUTE_PGM_RSRC3_GFX90A:ACCUM_OFFSET: 0
; COMPUTE_PGM_RSRC3_GFX90A:TG_SPLIT: 0
	.section	.text._ZN7rocprim17ROCPRIM_400000_NS6detail17trampoline_kernelINS0_14default_configENS1_20scan_config_selectorIjEEZZNS1_9scan_implILNS1_25lookback_scan_determinismE0ELb1ELb1ES3_N6thrust23THRUST_200600_302600_NS6detail15normal_iteratorINS9_10device_ptrIjEEEESE_jNS9_4plusIvEEjEEDaPvRmT3_T4_T5_mT6_P12ihipStream_tbENKUlT_T0_E_clISt17integral_constantIbLb0EEST_IbLb1EEEEDaSP_SQ_EUlSP_E0_NS1_11comp_targetILNS1_3genE9ELNS1_11target_archE1100ELNS1_3gpuE3ELNS1_3repE0EEENS1_30default_config_static_selectorELNS0_4arch9wavefront6targetE1EEEvT1_,"axG",@progbits,_ZN7rocprim17ROCPRIM_400000_NS6detail17trampoline_kernelINS0_14default_configENS1_20scan_config_selectorIjEEZZNS1_9scan_implILNS1_25lookback_scan_determinismE0ELb1ELb1ES3_N6thrust23THRUST_200600_302600_NS6detail15normal_iteratorINS9_10device_ptrIjEEEESE_jNS9_4plusIvEEjEEDaPvRmT3_T4_T5_mT6_P12ihipStream_tbENKUlT_T0_E_clISt17integral_constantIbLb0EEST_IbLb1EEEEDaSP_SQ_EUlSP_E0_NS1_11comp_targetILNS1_3genE9ELNS1_11target_archE1100ELNS1_3gpuE3ELNS1_3repE0EEENS1_30default_config_static_selectorELNS0_4arch9wavefront6targetE1EEEvT1_,comdat
	.protected	_ZN7rocprim17ROCPRIM_400000_NS6detail17trampoline_kernelINS0_14default_configENS1_20scan_config_selectorIjEEZZNS1_9scan_implILNS1_25lookback_scan_determinismE0ELb1ELb1ES3_N6thrust23THRUST_200600_302600_NS6detail15normal_iteratorINS9_10device_ptrIjEEEESE_jNS9_4plusIvEEjEEDaPvRmT3_T4_T5_mT6_P12ihipStream_tbENKUlT_T0_E_clISt17integral_constantIbLb0EEST_IbLb1EEEEDaSP_SQ_EUlSP_E0_NS1_11comp_targetILNS1_3genE9ELNS1_11target_archE1100ELNS1_3gpuE3ELNS1_3repE0EEENS1_30default_config_static_selectorELNS0_4arch9wavefront6targetE1EEEvT1_ ; -- Begin function _ZN7rocprim17ROCPRIM_400000_NS6detail17trampoline_kernelINS0_14default_configENS1_20scan_config_selectorIjEEZZNS1_9scan_implILNS1_25lookback_scan_determinismE0ELb1ELb1ES3_N6thrust23THRUST_200600_302600_NS6detail15normal_iteratorINS9_10device_ptrIjEEEESE_jNS9_4plusIvEEjEEDaPvRmT3_T4_T5_mT6_P12ihipStream_tbENKUlT_T0_E_clISt17integral_constantIbLb0EEST_IbLb1EEEEDaSP_SQ_EUlSP_E0_NS1_11comp_targetILNS1_3genE9ELNS1_11target_archE1100ELNS1_3gpuE3ELNS1_3repE0EEENS1_30default_config_static_selectorELNS0_4arch9wavefront6targetE1EEEvT1_
	.globl	_ZN7rocprim17ROCPRIM_400000_NS6detail17trampoline_kernelINS0_14default_configENS1_20scan_config_selectorIjEEZZNS1_9scan_implILNS1_25lookback_scan_determinismE0ELb1ELb1ES3_N6thrust23THRUST_200600_302600_NS6detail15normal_iteratorINS9_10device_ptrIjEEEESE_jNS9_4plusIvEEjEEDaPvRmT3_T4_T5_mT6_P12ihipStream_tbENKUlT_T0_E_clISt17integral_constantIbLb0EEST_IbLb1EEEEDaSP_SQ_EUlSP_E0_NS1_11comp_targetILNS1_3genE9ELNS1_11target_archE1100ELNS1_3gpuE3ELNS1_3repE0EEENS1_30default_config_static_selectorELNS0_4arch9wavefront6targetE1EEEvT1_
	.p2align	8
	.type	_ZN7rocprim17ROCPRIM_400000_NS6detail17trampoline_kernelINS0_14default_configENS1_20scan_config_selectorIjEEZZNS1_9scan_implILNS1_25lookback_scan_determinismE0ELb1ELb1ES3_N6thrust23THRUST_200600_302600_NS6detail15normal_iteratorINS9_10device_ptrIjEEEESE_jNS9_4plusIvEEjEEDaPvRmT3_T4_T5_mT6_P12ihipStream_tbENKUlT_T0_E_clISt17integral_constantIbLb0EEST_IbLb1EEEEDaSP_SQ_EUlSP_E0_NS1_11comp_targetILNS1_3genE9ELNS1_11target_archE1100ELNS1_3gpuE3ELNS1_3repE0EEENS1_30default_config_static_selectorELNS0_4arch9wavefront6targetE1EEEvT1_,@function
_ZN7rocprim17ROCPRIM_400000_NS6detail17trampoline_kernelINS0_14default_configENS1_20scan_config_selectorIjEEZZNS1_9scan_implILNS1_25lookback_scan_determinismE0ELb1ELb1ES3_N6thrust23THRUST_200600_302600_NS6detail15normal_iteratorINS9_10device_ptrIjEEEESE_jNS9_4plusIvEEjEEDaPvRmT3_T4_T5_mT6_P12ihipStream_tbENKUlT_T0_E_clISt17integral_constantIbLb0EEST_IbLb1EEEEDaSP_SQ_EUlSP_E0_NS1_11comp_targetILNS1_3genE9ELNS1_11target_archE1100ELNS1_3gpuE3ELNS1_3repE0EEENS1_30default_config_static_selectorELNS0_4arch9wavefront6targetE1EEEvT1_: ; @_ZN7rocprim17ROCPRIM_400000_NS6detail17trampoline_kernelINS0_14default_configENS1_20scan_config_selectorIjEEZZNS1_9scan_implILNS1_25lookback_scan_determinismE0ELb1ELb1ES3_N6thrust23THRUST_200600_302600_NS6detail15normal_iteratorINS9_10device_ptrIjEEEESE_jNS9_4plusIvEEjEEDaPvRmT3_T4_T5_mT6_P12ihipStream_tbENKUlT_T0_E_clISt17integral_constantIbLb0EEST_IbLb1EEEEDaSP_SQ_EUlSP_E0_NS1_11comp_targetILNS1_3genE9ELNS1_11target_archE1100ELNS1_3gpuE3ELNS1_3repE0EEENS1_30default_config_static_selectorELNS0_4arch9wavefront6targetE1EEEvT1_
; %bb.0:
	.section	.rodata,"a",@progbits
	.p2align	6, 0x0
	.amdhsa_kernel _ZN7rocprim17ROCPRIM_400000_NS6detail17trampoline_kernelINS0_14default_configENS1_20scan_config_selectorIjEEZZNS1_9scan_implILNS1_25lookback_scan_determinismE0ELb1ELb1ES3_N6thrust23THRUST_200600_302600_NS6detail15normal_iteratorINS9_10device_ptrIjEEEESE_jNS9_4plusIvEEjEEDaPvRmT3_T4_T5_mT6_P12ihipStream_tbENKUlT_T0_E_clISt17integral_constantIbLb0EEST_IbLb1EEEEDaSP_SQ_EUlSP_E0_NS1_11comp_targetILNS1_3genE9ELNS1_11target_archE1100ELNS1_3gpuE3ELNS1_3repE0EEENS1_30default_config_static_selectorELNS0_4arch9wavefront6targetE1EEEvT1_
		.amdhsa_group_segment_fixed_size 0
		.amdhsa_private_segment_fixed_size 0
		.amdhsa_kernarg_size 32
		.amdhsa_user_sgpr_count 6
		.amdhsa_user_sgpr_private_segment_buffer 1
		.amdhsa_user_sgpr_dispatch_ptr 0
		.amdhsa_user_sgpr_queue_ptr 0
		.amdhsa_user_sgpr_kernarg_segment_ptr 1
		.amdhsa_user_sgpr_dispatch_id 0
		.amdhsa_user_sgpr_flat_scratch_init 0
		.amdhsa_user_sgpr_kernarg_preload_length 0
		.amdhsa_user_sgpr_kernarg_preload_offset 0
		.amdhsa_user_sgpr_private_segment_size 0
		.amdhsa_uses_dynamic_stack 0
		.amdhsa_system_sgpr_private_segment_wavefront_offset 0
		.amdhsa_system_sgpr_workgroup_id_x 1
		.amdhsa_system_sgpr_workgroup_id_y 0
		.amdhsa_system_sgpr_workgroup_id_z 0
		.amdhsa_system_sgpr_workgroup_info 0
		.amdhsa_system_vgpr_workitem_id 0
		.amdhsa_next_free_vgpr 1
		.amdhsa_next_free_sgpr 0
		.amdhsa_accum_offset 4
		.amdhsa_reserve_vcc 0
		.amdhsa_reserve_flat_scratch 0
		.amdhsa_float_round_mode_32 0
		.amdhsa_float_round_mode_16_64 0
		.amdhsa_float_denorm_mode_32 3
		.amdhsa_float_denorm_mode_16_64 3
		.amdhsa_dx10_clamp 1
		.amdhsa_ieee_mode 1
		.amdhsa_fp16_overflow 0
		.amdhsa_tg_split 0
		.amdhsa_exception_fp_ieee_invalid_op 0
		.amdhsa_exception_fp_denorm_src 0
		.amdhsa_exception_fp_ieee_div_zero 0
		.amdhsa_exception_fp_ieee_overflow 0
		.amdhsa_exception_fp_ieee_underflow 0
		.amdhsa_exception_fp_ieee_inexact 0
		.amdhsa_exception_int_div_zero 0
	.end_amdhsa_kernel
	.section	.text._ZN7rocprim17ROCPRIM_400000_NS6detail17trampoline_kernelINS0_14default_configENS1_20scan_config_selectorIjEEZZNS1_9scan_implILNS1_25lookback_scan_determinismE0ELb1ELb1ES3_N6thrust23THRUST_200600_302600_NS6detail15normal_iteratorINS9_10device_ptrIjEEEESE_jNS9_4plusIvEEjEEDaPvRmT3_T4_T5_mT6_P12ihipStream_tbENKUlT_T0_E_clISt17integral_constantIbLb0EEST_IbLb1EEEEDaSP_SQ_EUlSP_E0_NS1_11comp_targetILNS1_3genE9ELNS1_11target_archE1100ELNS1_3gpuE3ELNS1_3repE0EEENS1_30default_config_static_selectorELNS0_4arch9wavefront6targetE1EEEvT1_,"axG",@progbits,_ZN7rocprim17ROCPRIM_400000_NS6detail17trampoline_kernelINS0_14default_configENS1_20scan_config_selectorIjEEZZNS1_9scan_implILNS1_25lookback_scan_determinismE0ELb1ELb1ES3_N6thrust23THRUST_200600_302600_NS6detail15normal_iteratorINS9_10device_ptrIjEEEESE_jNS9_4plusIvEEjEEDaPvRmT3_T4_T5_mT6_P12ihipStream_tbENKUlT_T0_E_clISt17integral_constantIbLb0EEST_IbLb1EEEEDaSP_SQ_EUlSP_E0_NS1_11comp_targetILNS1_3genE9ELNS1_11target_archE1100ELNS1_3gpuE3ELNS1_3repE0EEENS1_30default_config_static_selectorELNS0_4arch9wavefront6targetE1EEEvT1_,comdat
.Lfunc_end4716:
	.size	_ZN7rocprim17ROCPRIM_400000_NS6detail17trampoline_kernelINS0_14default_configENS1_20scan_config_selectorIjEEZZNS1_9scan_implILNS1_25lookback_scan_determinismE0ELb1ELb1ES3_N6thrust23THRUST_200600_302600_NS6detail15normal_iteratorINS9_10device_ptrIjEEEESE_jNS9_4plusIvEEjEEDaPvRmT3_T4_T5_mT6_P12ihipStream_tbENKUlT_T0_E_clISt17integral_constantIbLb0EEST_IbLb1EEEEDaSP_SQ_EUlSP_E0_NS1_11comp_targetILNS1_3genE9ELNS1_11target_archE1100ELNS1_3gpuE3ELNS1_3repE0EEENS1_30default_config_static_selectorELNS0_4arch9wavefront6targetE1EEEvT1_, .Lfunc_end4716-_ZN7rocprim17ROCPRIM_400000_NS6detail17trampoline_kernelINS0_14default_configENS1_20scan_config_selectorIjEEZZNS1_9scan_implILNS1_25lookback_scan_determinismE0ELb1ELb1ES3_N6thrust23THRUST_200600_302600_NS6detail15normal_iteratorINS9_10device_ptrIjEEEESE_jNS9_4plusIvEEjEEDaPvRmT3_T4_T5_mT6_P12ihipStream_tbENKUlT_T0_E_clISt17integral_constantIbLb0EEST_IbLb1EEEEDaSP_SQ_EUlSP_E0_NS1_11comp_targetILNS1_3genE9ELNS1_11target_archE1100ELNS1_3gpuE3ELNS1_3repE0EEENS1_30default_config_static_selectorELNS0_4arch9wavefront6targetE1EEEvT1_
                                        ; -- End function
	.section	.AMDGPU.csdata,"",@progbits
; Kernel info:
; codeLenInByte = 0
; NumSgprs: 4
; NumVgprs: 0
; NumAgprs: 0
; TotalNumVgprs: 0
; ScratchSize: 0
; MemoryBound: 0
; FloatMode: 240
; IeeeMode: 1
; LDSByteSize: 0 bytes/workgroup (compile time only)
; SGPRBlocks: 0
; VGPRBlocks: 0
; NumSGPRsForWavesPerEU: 4
; NumVGPRsForWavesPerEU: 1
; AccumOffset: 4
; Occupancy: 8
; WaveLimiterHint : 0
; COMPUTE_PGM_RSRC2:SCRATCH_EN: 0
; COMPUTE_PGM_RSRC2:USER_SGPR: 6
; COMPUTE_PGM_RSRC2:TRAP_HANDLER: 0
; COMPUTE_PGM_RSRC2:TGID_X_EN: 1
; COMPUTE_PGM_RSRC2:TGID_Y_EN: 0
; COMPUTE_PGM_RSRC2:TGID_Z_EN: 0
; COMPUTE_PGM_RSRC2:TIDIG_COMP_CNT: 0
; COMPUTE_PGM_RSRC3_GFX90A:ACCUM_OFFSET: 0
; COMPUTE_PGM_RSRC3_GFX90A:TG_SPLIT: 0
	.section	.text._ZN7rocprim17ROCPRIM_400000_NS6detail17trampoline_kernelINS0_14default_configENS1_20scan_config_selectorIjEEZZNS1_9scan_implILNS1_25lookback_scan_determinismE0ELb1ELb1ES3_N6thrust23THRUST_200600_302600_NS6detail15normal_iteratorINS9_10device_ptrIjEEEESE_jNS9_4plusIvEEjEEDaPvRmT3_T4_T5_mT6_P12ihipStream_tbENKUlT_T0_E_clISt17integral_constantIbLb0EEST_IbLb1EEEEDaSP_SQ_EUlSP_E0_NS1_11comp_targetILNS1_3genE8ELNS1_11target_archE1030ELNS1_3gpuE2ELNS1_3repE0EEENS1_30default_config_static_selectorELNS0_4arch9wavefront6targetE1EEEvT1_,"axG",@progbits,_ZN7rocprim17ROCPRIM_400000_NS6detail17trampoline_kernelINS0_14default_configENS1_20scan_config_selectorIjEEZZNS1_9scan_implILNS1_25lookback_scan_determinismE0ELb1ELb1ES3_N6thrust23THRUST_200600_302600_NS6detail15normal_iteratorINS9_10device_ptrIjEEEESE_jNS9_4plusIvEEjEEDaPvRmT3_T4_T5_mT6_P12ihipStream_tbENKUlT_T0_E_clISt17integral_constantIbLb0EEST_IbLb1EEEEDaSP_SQ_EUlSP_E0_NS1_11comp_targetILNS1_3genE8ELNS1_11target_archE1030ELNS1_3gpuE2ELNS1_3repE0EEENS1_30default_config_static_selectorELNS0_4arch9wavefront6targetE1EEEvT1_,comdat
	.protected	_ZN7rocprim17ROCPRIM_400000_NS6detail17trampoline_kernelINS0_14default_configENS1_20scan_config_selectorIjEEZZNS1_9scan_implILNS1_25lookback_scan_determinismE0ELb1ELb1ES3_N6thrust23THRUST_200600_302600_NS6detail15normal_iteratorINS9_10device_ptrIjEEEESE_jNS9_4plusIvEEjEEDaPvRmT3_T4_T5_mT6_P12ihipStream_tbENKUlT_T0_E_clISt17integral_constantIbLb0EEST_IbLb1EEEEDaSP_SQ_EUlSP_E0_NS1_11comp_targetILNS1_3genE8ELNS1_11target_archE1030ELNS1_3gpuE2ELNS1_3repE0EEENS1_30default_config_static_selectorELNS0_4arch9wavefront6targetE1EEEvT1_ ; -- Begin function _ZN7rocprim17ROCPRIM_400000_NS6detail17trampoline_kernelINS0_14default_configENS1_20scan_config_selectorIjEEZZNS1_9scan_implILNS1_25lookback_scan_determinismE0ELb1ELb1ES3_N6thrust23THRUST_200600_302600_NS6detail15normal_iteratorINS9_10device_ptrIjEEEESE_jNS9_4plusIvEEjEEDaPvRmT3_T4_T5_mT6_P12ihipStream_tbENKUlT_T0_E_clISt17integral_constantIbLb0EEST_IbLb1EEEEDaSP_SQ_EUlSP_E0_NS1_11comp_targetILNS1_3genE8ELNS1_11target_archE1030ELNS1_3gpuE2ELNS1_3repE0EEENS1_30default_config_static_selectorELNS0_4arch9wavefront6targetE1EEEvT1_
	.globl	_ZN7rocprim17ROCPRIM_400000_NS6detail17trampoline_kernelINS0_14default_configENS1_20scan_config_selectorIjEEZZNS1_9scan_implILNS1_25lookback_scan_determinismE0ELb1ELb1ES3_N6thrust23THRUST_200600_302600_NS6detail15normal_iteratorINS9_10device_ptrIjEEEESE_jNS9_4plusIvEEjEEDaPvRmT3_T4_T5_mT6_P12ihipStream_tbENKUlT_T0_E_clISt17integral_constantIbLb0EEST_IbLb1EEEEDaSP_SQ_EUlSP_E0_NS1_11comp_targetILNS1_3genE8ELNS1_11target_archE1030ELNS1_3gpuE2ELNS1_3repE0EEENS1_30default_config_static_selectorELNS0_4arch9wavefront6targetE1EEEvT1_
	.p2align	8
	.type	_ZN7rocprim17ROCPRIM_400000_NS6detail17trampoline_kernelINS0_14default_configENS1_20scan_config_selectorIjEEZZNS1_9scan_implILNS1_25lookback_scan_determinismE0ELb1ELb1ES3_N6thrust23THRUST_200600_302600_NS6detail15normal_iteratorINS9_10device_ptrIjEEEESE_jNS9_4plusIvEEjEEDaPvRmT3_T4_T5_mT6_P12ihipStream_tbENKUlT_T0_E_clISt17integral_constantIbLb0EEST_IbLb1EEEEDaSP_SQ_EUlSP_E0_NS1_11comp_targetILNS1_3genE8ELNS1_11target_archE1030ELNS1_3gpuE2ELNS1_3repE0EEENS1_30default_config_static_selectorELNS0_4arch9wavefront6targetE1EEEvT1_,@function
_ZN7rocprim17ROCPRIM_400000_NS6detail17trampoline_kernelINS0_14default_configENS1_20scan_config_selectorIjEEZZNS1_9scan_implILNS1_25lookback_scan_determinismE0ELb1ELb1ES3_N6thrust23THRUST_200600_302600_NS6detail15normal_iteratorINS9_10device_ptrIjEEEESE_jNS9_4plusIvEEjEEDaPvRmT3_T4_T5_mT6_P12ihipStream_tbENKUlT_T0_E_clISt17integral_constantIbLb0EEST_IbLb1EEEEDaSP_SQ_EUlSP_E0_NS1_11comp_targetILNS1_3genE8ELNS1_11target_archE1030ELNS1_3gpuE2ELNS1_3repE0EEENS1_30default_config_static_selectorELNS0_4arch9wavefront6targetE1EEEvT1_: ; @_ZN7rocprim17ROCPRIM_400000_NS6detail17trampoline_kernelINS0_14default_configENS1_20scan_config_selectorIjEEZZNS1_9scan_implILNS1_25lookback_scan_determinismE0ELb1ELb1ES3_N6thrust23THRUST_200600_302600_NS6detail15normal_iteratorINS9_10device_ptrIjEEEESE_jNS9_4plusIvEEjEEDaPvRmT3_T4_T5_mT6_P12ihipStream_tbENKUlT_T0_E_clISt17integral_constantIbLb0EEST_IbLb1EEEEDaSP_SQ_EUlSP_E0_NS1_11comp_targetILNS1_3genE8ELNS1_11target_archE1030ELNS1_3gpuE2ELNS1_3repE0EEENS1_30default_config_static_selectorELNS0_4arch9wavefront6targetE1EEEvT1_
; %bb.0:
	.section	.rodata,"a",@progbits
	.p2align	6, 0x0
	.amdhsa_kernel _ZN7rocprim17ROCPRIM_400000_NS6detail17trampoline_kernelINS0_14default_configENS1_20scan_config_selectorIjEEZZNS1_9scan_implILNS1_25lookback_scan_determinismE0ELb1ELb1ES3_N6thrust23THRUST_200600_302600_NS6detail15normal_iteratorINS9_10device_ptrIjEEEESE_jNS9_4plusIvEEjEEDaPvRmT3_T4_T5_mT6_P12ihipStream_tbENKUlT_T0_E_clISt17integral_constantIbLb0EEST_IbLb1EEEEDaSP_SQ_EUlSP_E0_NS1_11comp_targetILNS1_3genE8ELNS1_11target_archE1030ELNS1_3gpuE2ELNS1_3repE0EEENS1_30default_config_static_selectorELNS0_4arch9wavefront6targetE1EEEvT1_
		.amdhsa_group_segment_fixed_size 0
		.amdhsa_private_segment_fixed_size 0
		.amdhsa_kernarg_size 32
		.amdhsa_user_sgpr_count 6
		.amdhsa_user_sgpr_private_segment_buffer 1
		.amdhsa_user_sgpr_dispatch_ptr 0
		.amdhsa_user_sgpr_queue_ptr 0
		.amdhsa_user_sgpr_kernarg_segment_ptr 1
		.amdhsa_user_sgpr_dispatch_id 0
		.amdhsa_user_sgpr_flat_scratch_init 0
		.amdhsa_user_sgpr_kernarg_preload_length 0
		.amdhsa_user_sgpr_kernarg_preload_offset 0
		.amdhsa_user_sgpr_private_segment_size 0
		.amdhsa_uses_dynamic_stack 0
		.amdhsa_system_sgpr_private_segment_wavefront_offset 0
		.amdhsa_system_sgpr_workgroup_id_x 1
		.amdhsa_system_sgpr_workgroup_id_y 0
		.amdhsa_system_sgpr_workgroup_id_z 0
		.amdhsa_system_sgpr_workgroup_info 0
		.amdhsa_system_vgpr_workitem_id 0
		.amdhsa_next_free_vgpr 1
		.amdhsa_next_free_sgpr 0
		.amdhsa_accum_offset 4
		.amdhsa_reserve_vcc 0
		.amdhsa_reserve_flat_scratch 0
		.amdhsa_float_round_mode_32 0
		.amdhsa_float_round_mode_16_64 0
		.amdhsa_float_denorm_mode_32 3
		.amdhsa_float_denorm_mode_16_64 3
		.amdhsa_dx10_clamp 1
		.amdhsa_ieee_mode 1
		.amdhsa_fp16_overflow 0
		.amdhsa_tg_split 0
		.amdhsa_exception_fp_ieee_invalid_op 0
		.amdhsa_exception_fp_denorm_src 0
		.amdhsa_exception_fp_ieee_div_zero 0
		.amdhsa_exception_fp_ieee_overflow 0
		.amdhsa_exception_fp_ieee_underflow 0
		.amdhsa_exception_fp_ieee_inexact 0
		.amdhsa_exception_int_div_zero 0
	.end_amdhsa_kernel
	.section	.text._ZN7rocprim17ROCPRIM_400000_NS6detail17trampoline_kernelINS0_14default_configENS1_20scan_config_selectorIjEEZZNS1_9scan_implILNS1_25lookback_scan_determinismE0ELb1ELb1ES3_N6thrust23THRUST_200600_302600_NS6detail15normal_iteratorINS9_10device_ptrIjEEEESE_jNS9_4plusIvEEjEEDaPvRmT3_T4_T5_mT6_P12ihipStream_tbENKUlT_T0_E_clISt17integral_constantIbLb0EEST_IbLb1EEEEDaSP_SQ_EUlSP_E0_NS1_11comp_targetILNS1_3genE8ELNS1_11target_archE1030ELNS1_3gpuE2ELNS1_3repE0EEENS1_30default_config_static_selectorELNS0_4arch9wavefront6targetE1EEEvT1_,"axG",@progbits,_ZN7rocprim17ROCPRIM_400000_NS6detail17trampoline_kernelINS0_14default_configENS1_20scan_config_selectorIjEEZZNS1_9scan_implILNS1_25lookback_scan_determinismE0ELb1ELb1ES3_N6thrust23THRUST_200600_302600_NS6detail15normal_iteratorINS9_10device_ptrIjEEEESE_jNS9_4plusIvEEjEEDaPvRmT3_T4_T5_mT6_P12ihipStream_tbENKUlT_T0_E_clISt17integral_constantIbLb0EEST_IbLb1EEEEDaSP_SQ_EUlSP_E0_NS1_11comp_targetILNS1_3genE8ELNS1_11target_archE1030ELNS1_3gpuE2ELNS1_3repE0EEENS1_30default_config_static_selectorELNS0_4arch9wavefront6targetE1EEEvT1_,comdat
.Lfunc_end4717:
	.size	_ZN7rocprim17ROCPRIM_400000_NS6detail17trampoline_kernelINS0_14default_configENS1_20scan_config_selectorIjEEZZNS1_9scan_implILNS1_25lookback_scan_determinismE0ELb1ELb1ES3_N6thrust23THRUST_200600_302600_NS6detail15normal_iteratorINS9_10device_ptrIjEEEESE_jNS9_4plusIvEEjEEDaPvRmT3_T4_T5_mT6_P12ihipStream_tbENKUlT_T0_E_clISt17integral_constantIbLb0EEST_IbLb1EEEEDaSP_SQ_EUlSP_E0_NS1_11comp_targetILNS1_3genE8ELNS1_11target_archE1030ELNS1_3gpuE2ELNS1_3repE0EEENS1_30default_config_static_selectorELNS0_4arch9wavefront6targetE1EEEvT1_, .Lfunc_end4717-_ZN7rocprim17ROCPRIM_400000_NS6detail17trampoline_kernelINS0_14default_configENS1_20scan_config_selectorIjEEZZNS1_9scan_implILNS1_25lookback_scan_determinismE0ELb1ELb1ES3_N6thrust23THRUST_200600_302600_NS6detail15normal_iteratorINS9_10device_ptrIjEEEESE_jNS9_4plusIvEEjEEDaPvRmT3_T4_T5_mT6_P12ihipStream_tbENKUlT_T0_E_clISt17integral_constantIbLb0EEST_IbLb1EEEEDaSP_SQ_EUlSP_E0_NS1_11comp_targetILNS1_3genE8ELNS1_11target_archE1030ELNS1_3gpuE2ELNS1_3repE0EEENS1_30default_config_static_selectorELNS0_4arch9wavefront6targetE1EEEvT1_
                                        ; -- End function
	.section	.AMDGPU.csdata,"",@progbits
; Kernel info:
; codeLenInByte = 0
; NumSgprs: 4
; NumVgprs: 0
; NumAgprs: 0
; TotalNumVgprs: 0
; ScratchSize: 0
; MemoryBound: 0
; FloatMode: 240
; IeeeMode: 1
; LDSByteSize: 0 bytes/workgroup (compile time only)
; SGPRBlocks: 0
; VGPRBlocks: 0
; NumSGPRsForWavesPerEU: 4
; NumVGPRsForWavesPerEU: 1
; AccumOffset: 4
; Occupancy: 8
; WaveLimiterHint : 0
; COMPUTE_PGM_RSRC2:SCRATCH_EN: 0
; COMPUTE_PGM_RSRC2:USER_SGPR: 6
; COMPUTE_PGM_RSRC2:TRAP_HANDLER: 0
; COMPUTE_PGM_RSRC2:TGID_X_EN: 1
; COMPUTE_PGM_RSRC2:TGID_Y_EN: 0
; COMPUTE_PGM_RSRC2:TGID_Z_EN: 0
; COMPUTE_PGM_RSRC2:TIDIG_COMP_CNT: 0
; COMPUTE_PGM_RSRC3_GFX90A:ACCUM_OFFSET: 0
; COMPUTE_PGM_RSRC3_GFX90A:TG_SPLIT: 0
	.section	.text._ZN7rocprim17ROCPRIM_400000_NS6detail17trampoline_kernelINS0_14default_configENS1_20scan_config_selectorItEEZZNS1_9scan_implILNS1_25lookback_scan_determinismE0ELb0ELb0ES3_N6thrust23THRUST_200600_302600_NS6detail15normal_iteratorINS9_10device_ptrItEEEESE_tNS9_4plusIvEEtEEDaPvRmT3_T4_T5_mT6_P12ihipStream_tbENKUlT_T0_E_clISt17integral_constantIbLb0EESU_EEDaSP_SQ_EUlSP_E_NS1_11comp_targetILNS1_3genE0ELNS1_11target_archE4294967295ELNS1_3gpuE0ELNS1_3repE0EEENS1_30default_config_static_selectorELNS0_4arch9wavefront6targetE1EEEvT1_,"axG",@progbits,_ZN7rocprim17ROCPRIM_400000_NS6detail17trampoline_kernelINS0_14default_configENS1_20scan_config_selectorItEEZZNS1_9scan_implILNS1_25lookback_scan_determinismE0ELb0ELb0ES3_N6thrust23THRUST_200600_302600_NS6detail15normal_iteratorINS9_10device_ptrItEEEESE_tNS9_4plusIvEEtEEDaPvRmT3_T4_T5_mT6_P12ihipStream_tbENKUlT_T0_E_clISt17integral_constantIbLb0EESU_EEDaSP_SQ_EUlSP_E_NS1_11comp_targetILNS1_3genE0ELNS1_11target_archE4294967295ELNS1_3gpuE0ELNS1_3repE0EEENS1_30default_config_static_selectorELNS0_4arch9wavefront6targetE1EEEvT1_,comdat
	.protected	_ZN7rocprim17ROCPRIM_400000_NS6detail17trampoline_kernelINS0_14default_configENS1_20scan_config_selectorItEEZZNS1_9scan_implILNS1_25lookback_scan_determinismE0ELb0ELb0ES3_N6thrust23THRUST_200600_302600_NS6detail15normal_iteratorINS9_10device_ptrItEEEESE_tNS9_4plusIvEEtEEDaPvRmT3_T4_T5_mT6_P12ihipStream_tbENKUlT_T0_E_clISt17integral_constantIbLb0EESU_EEDaSP_SQ_EUlSP_E_NS1_11comp_targetILNS1_3genE0ELNS1_11target_archE4294967295ELNS1_3gpuE0ELNS1_3repE0EEENS1_30default_config_static_selectorELNS0_4arch9wavefront6targetE1EEEvT1_ ; -- Begin function _ZN7rocprim17ROCPRIM_400000_NS6detail17trampoline_kernelINS0_14default_configENS1_20scan_config_selectorItEEZZNS1_9scan_implILNS1_25lookback_scan_determinismE0ELb0ELb0ES3_N6thrust23THRUST_200600_302600_NS6detail15normal_iteratorINS9_10device_ptrItEEEESE_tNS9_4plusIvEEtEEDaPvRmT3_T4_T5_mT6_P12ihipStream_tbENKUlT_T0_E_clISt17integral_constantIbLb0EESU_EEDaSP_SQ_EUlSP_E_NS1_11comp_targetILNS1_3genE0ELNS1_11target_archE4294967295ELNS1_3gpuE0ELNS1_3repE0EEENS1_30default_config_static_selectorELNS0_4arch9wavefront6targetE1EEEvT1_
	.globl	_ZN7rocprim17ROCPRIM_400000_NS6detail17trampoline_kernelINS0_14default_configENS1_20scan_config_selectorItEEZZNS1_9scan_implILNS1_25lookback_scan_determinismE0ELb0ELb0ES3_N6thrust23THRUST_200600_302600_NS6detail15normal_iteratorINS9_10device_ptrItEEEESE_tNS9_4plusIvEEtEEDaPvRmT3_T4_T5_mT6_P12ihipStream_tbENKUlT_T0_E_clISt17integral_constantIbLb0EESU_EEDaSP_SQ_EUlSP_E_NS1_11comp_targetILNS1_3genE0ELNS1_11target_archE4294967295ELNS1_3gpuE0ELNS1_3repE0EEENS1_30default_config_static_selectorELNS0_4arch9wavefront6targetE1EEEvT1_
	.p2align	8
	.type	_ZN7rocprim17ROCPRIM_400000_NS6detail17trampoline_kernelINS0_14default_configENS1_20scan_config_selectorItEEZZNS1_9scan_implILNS1_25lookback_scan_determinismE0ELb0ELb0ES3_N6thrust23THRUST_200600_302600_NS6detail15normal_iteratorINS9_10device_ptrItEEEESE_tNS9_4plusIvEEtEEDaPvRmT3_T4_T5_mT6_P12ihipStream_tbENKUlT_T0_E_clISt17integral_constantIbLb0EESU_EEDaSP_SQ_EUlSP_E_NS1_11comp_targetILNS1_3genE0ELNS1_11target_archE4294967295ELNS1_3gpuE0ELNS1_3repE0EEENS1_30default_config_static_selectorELNS0_4arch9wavefront6targetE1EEEvT1_,@function
_ZN7rocprim17ROCPRIM_400000_NS6detail17trampoline_kernelINS0_14default_configENS1_20scan_config_selectorItEEZZNS1_9scan_implILNS1_25lookback_scan_determinismE0ELb0ELb0ES3_N6thrust23THRUST_200600_302600_NS6detail15normal_iteratorINS9_10device_ptrItEEEESE_tNS9_4plusIvEEtEEDaPvRmT3_T4_T5_mT6_P12ihipStream_tbENKUlT_T0_E_clISt17integral_constantIbLb0EESU_EEDaSP_SQ_EUlSP_E_NS1_11comp_targetILNS1_3genE0ELNS1_11target_archE4294967295ELNS1_3gpuE0ELNS1_3repE0EEENS1_30default_config_static_selectorELNS0_4arch9wavefront6targetE1EEEvT1_: ; @_ZN7rocprim17ROCPRIM_400000_NS6detail17trampoline_kernelINS0_14default_configENS1_20scan_config_selectorItEEZZNS1_9scan_implILNS1_25lookback_scan_determinismE0ELb0ELb0ES3_N6thrust23THRUST_200600_302600_NS6detail15normal_iteratorINS9_10device_ptrItEEEESE_tNS9_4plusIvEEtEEDaPvRmT3_T4_T5_mT6_P12ihipStream_tbENKUlT_T0_E_clISt17integral_constantIbLb0EESU_EEDaSP_SQ_EUlSP_E_NS1_11comp_targetILNS1_3genE0ELNS1_11target_archE4294967295ELNS1_3gpuE0ELNS1_3repE0EEENS1_30default_config_static_selectorELNS0_4arch9wavefront6targetE1EEEvT1_
; %bb.0:
	.section	.rodata,"a",@progbits
	.p2align	6, 0x0
	.amdhsa_kernel _ZN7rocprim17ROCPRIM_400000_NS6detail17trampoline_kernelINS0_14default_configENS1_20scan_config_selectorItEEZZNS1_9scan_implILNS1_25lookback_scan_determinismE0ELb0ELb0ES3_N6thrust23THRUST_200600_302600_NS6detail15normal_iteratorINS9_10device_ptrItEEEESE_tNS9_4plusIvEEtEEDaPvRmT3_T4_T5_mT6_P12ihipStream_tbENKUlT_T0_E_clISt17integral_constantIbLb0EESU_EEDaSP_SQ_EUlSP_E_NS1_11comp_targetILNS1_3genE0ELNS1_11target_archE4294967295ELNS1_3gpuE0ELNS1_3repE0EEENS1_30default_config_static_selectorELNS0_4arch9wavefront6targetE1EEEvT1_
		.amdhsa_group_segment_fixed_size 0
		.amdhsa_private_segment_fixed_size 0
		.amdhsa_kernarg_size 96
		.amdhsa_user_sgpr_count 6
		.amdhsa_user_sgpr_private_segment_buffer 1
		.amdhsa_user_sgpr_dispatch_ptr 0
		.amdhsa_user_sgpr_queue_ptr 0
		.amdhsa_user_sgpr_kernarg_segment_ptr 1
		.amdhsa_user_sgpr_dispatch_id 0
		.amdhsa_user_sgpr_flat_scratch_init 0
		.amdhsa_user_sgpr_kernarg_preload_length 0
		.amdhsa_user_sgpr_kernarg_preload_offset 0
		.amdhsa_user_sgpr_private_segment_size 0
		.amdhsa_uses_dynamic_stack 0
		.amdhsa_system_sgpr_private_segment_wavefront_offset 0
		.amdhsa_system_sgpr_workgroup_id_x 1
		.amdhsa_system_sgpr_workgroup_id_y 0
		.amdhsa_system_sgpr_workgroup_id_z 0
		.amdhsa_system_sgpr_workgroup_info 0
		.amdhsa_system_vgpr_workitem_id 0
		.amdhsa_next_free_vgpr 1
		.amdhsa_next_free_sgpr 0
		.amdhsa_accum_offset 4
		.amdhsa_reserve_vcc 0
		.amdhsa_reserve_flat_scratch 0
		.amdhsa_float_round_mode_32 0
		.amdhsa_float_round_mode_16_64 0
		.amdhsa_float_denorm_mode_32 3
		.amdhsa_float_denorm_mode_16_64 3
		.amdhsa_dx10_clamp 1
		.amdhsa_ieee_mode 1
		.amdhsa_fp16_overflow 0
		.amdhsa_tg_split 0
		.amdhsa_exception_fp_ieee_invalid_op 0
		.amdhsa_exception_fp_denorm_src 0
		.amdhsa_exception_fp_ieee_div_zero 0
		.amdhsa_exception_fp_ieee_overflow 0
		.amdhsa_exception_fp_ieee_underflow 0
		.amdhsa_exception_fp_ieee_inexact 0
		.amdhsa_exception_int_div_zero 0
	.end_amdhsa_kernel
	.section	.text._ZN7rocprim17ROCPRIM_400000_NS6detail17trampoline_kernelINS0_14default_configENS1_20scan_config_selectorItEEZZNS1_9scan_implILNS1_25lookback_scan_determinismE0ELb0ELb0ES3_N6thrust23THRUST_200600_302600_NS6detail15normal_iteratorINS9_10device_ptrItEEEESE_tNS9_4plusIvEEtEEDaPvRmT3_T4_T5_mT6_P12ihipStream_tbENKUlT_T0_E_clISt17integral_constantIbLb0EESU_EEDaSP_SQ_EUlSP_E_NS1_11comp_targetILNS1_3genE0ELNS1_11target_archE4294967295ELNS1_3gpuE0ELNS1_3repE0EEENS1_30default_config_static_selectorELNS0_4arch9wavefront6targetE1EEEvT1_,"axG",@progbits,_ZN7rocprim17ROCPRIM_400000_NS6detail17trampoline_kernelINS0_14default_configENS1_20scan_config_selectorItEEZZNS1_9scan_implILNS1_25lookback_scan_determinismE0ELb0ELb0ES3_N6thrust23THRUST_200600_302600_NS6detail15normal_iteratorINS9_10device_ptrItEEEESE_tNS9_4plusIvEEtEEDaPvRmT3_T4_T5_mT6_P12ihipStream_tbENKUlT_T0_E_clISt17integral_constantIbLb0EESU_EEDaSP_SQ_EUlSP_E_NS1_11comp_targetILNS1_3genE0ELNS1_11target_archE4294967295ELNS1_3gpuE0ELNS1_3repE0EEENS1_30default_config_static_selectorELNS0_4arch9wavefront6targetE1EEEvT1_,comdat
.Lfunc_end4718:
	.size	_ZN7rocprim17ROCPRIM_400000_NS6detail17trampoline_kernelINS0_14default_configENS1_20scan_config_selectorItEEZZNS1_9scan_implILNS1_25lookback_scan_determinismE0ELb0ELb0ES3_N6thrust23THRUST_200600_302600_NS6detail15normal_iteratorINS9_10device_ptrItEEEESE_tNS9_4plusIvEEtEEDaPvRmT3_T4_T5_mT6_P12ihipStream_tbENKUlT_T0_E_clISt17integral_constantIbLb0EESU_EEDaSP_SQ_EUlSP_E_NS1_11comp_targetILNS1_3genE0ELNS1_11target_archE4294967295ELNS1_3gpuE0ELNS1_3repE0EEENS1_30default_config_static_selectorELNS0_4arch9wavefront6targetE1EEEvT1_, .Lfunc_end4718-_ZN7rocprim17ROCPRIM_400000_NS6detail17trampoline_kernelINS0_14default_configENS1_20scan_config_selectorItEEZZNS1_9scan_implILNS1_25lookback_scan_determinismE0ELb0ELb0ES3_N6thrust23THRUST_200600_302600_NS6detail15normal_iteratorINS9_10device_ptrItEEEESE_tNS9_4plusIvEEtEEDaPvRmT3_T4_T5_mT6_P12ihipStream_tbENKUlT_T0_E_clISt17integral_constantIbLb0EESU_EEDaSP_SQ_EUlSP_E_NS1_11comp_targetILNS1_3genE0ELNS1_11target_archE4294967295ELNS1_3gpuE0ELNS1_3repE0EEENS1_30default_config_static_selectorELNS0_4arch9wavefront6targetE1EEEvT1_
                                        ; -- End function
	.section	.AMDGPU.csdata,"",@progbits
; Kernel info:
; codeLenInByte = 0
; NumSgprs: 4
; NumVgprs: 0
; NumAgprs: 0
; TotalNumVgprs: 0
; ScratchSize: 0
; MemoryBound: 0
; FloatMode: 240
; IeeeMode: 1
; LDSByteSize: 0 bytes/workgroup (compile time only)
; SGPRBlocks: 0
; VGPRBlocks: 0
; NumSGPRsForWavesPerEU: 4
; NumVGPRsForWavesPerEU: 1
; AccumOffset: 4
; Occupancy: 8
; WaveLimiterHint : 0
; COMPUTE_PGM_RSRC2:SCRATCH_EN: 0
; COMPUTE_PGM_RSRC2:USER_SGPR: 6
; COMPUTE_PGM_RSRC2:TRAP_HANDLER: 0
; COMPUTE_PGM_RSRC2:TGID_X_EN: 1
; COMPUTE_PGM_RSRC2:TGID_Y_EN: 0
; COMPUTE_PGM_RSRC2:TGID_Z_EN: 0
; COMPUTE_PGM_RSRC2:TIDIG_COMP_CNT: 0
; COMPUTE_PGM_RSRC3_GFX90A:ACCUM_OFFSET: 0
; COMPUTE_PGM_RSRC3_GFX90A:TG_SPLIT: 0
	.section	.text._ZN7rocprim17ROCPRIM_400000_NS6detail17trampoline_kernelINS0_14default_configENS1_20scan_config_selectorItEEZZNS1_9scan_implILNS1_25lookback_scan_determinismE0ELb0ELb0ES3_N6thrust23THRUST_200600_302600_NS6detail15normal_iteratorINS9_10device_ptrItEEEESE_tNS9_4plusIvEEtEEDaPvRmT3_T4_T5_mT6_P12ihipStream_tbENKUlT_T0_E_clISt17integral_constantIbLb0EESU_EEDaSP_SQ_EUlSP_E_NS1_11comp_targetILNS1_3genE5ELNS1_11target_archE942ELNS1_3gpuE9ELNS1_3repE0EEENS1_30default_config_static_selectorELNS0_4arch9wavefront6targetE1EEEvT1_,"axG",@progbits,_ZN7rocprim17ROCPRIM_400000_NS6detail17trampoline_kernelINS0_14default_configENS1_20scan_config_selectorItEEZZNS1_9scan_implILNS1_25lookback_scan_determinismE0ELb0ELb0ES3_N6thrust23THRUST_200600_302600_NS6detail15normal_iteratorINS9_10device_ptrItEEEESE_tNS9_4plusIvEEtEEDaPvRmT3_T4_T5_mT6_P12ihipStream_tbENKUlT_T0_E_clISt17integral_constantIbLb0EESU_EEDaSP_SQ_EUlSP_E_NS1_11comp_targetILNS1_3genE5ELNS1_11target_archE942ELNS1_3gpuE9ELNS1_3repE0EEENS1_30default_config_static_selectorELNS0_4arch9wavefront6targetE1EEEvT1_,comdat
	.protected	_ZN7rocprim17ROCPRIM_400000_NS6detail17trampoline_kernelINS0_14default_configENS1_20scan_config_selectorItEEZZNS1_9scan_implILNS1_25lookback_scan_determinismE0ELb0ELb0ES3_N6thrust23THRUST_200600_302600_NS6detail15normal_iteratorINS9_10device_ptrItEEEESE_tNS9_4plusIvEEtEEDaPvRmT3_T4_T5_mT6_P12ihipStream_tbENKUlT_T0_E_clISt17integral_constantIbLb0EESU_EEDaSP_SQ_EUlSP_E_NS1_11comp_targetILNS1_3genE5ELNS1_11target_archE942ELNS1_3gpuE9ELNS1_3repE0EEENS1_30default_config_static_selectorELNS0_4arch9wavefront6targetE1EEEvT1_ ; -- Begin function _ZN7rocprim17ROCPRIM_400000_NS6detail17trampoline_kernelINS0_14default_configENS1_20scan_config_selectorItEEZZNS1_9scan_implILNS1_25lookback_scan_determinismE0ELb0ELb0ES3_N6thrust23THRUST_200600_302600_NS6detail15normal_iteratorINS9_10device_ptrItEEEESE_tNS9_4plusIvEEtEEDaPvRmT3_T4_T5_mT6_P12ihipStream_tbENKUlT_T0_E_clISt17integral_constantIbLb0EESU_EEDaSP_SQ_EUlSP_E_NS1_11comp_targetILNS1_3genE5ELNS1_11target_archE942ELNS1_3gpuE9ELNS1_3repE0EEENS1_30default_config_static_selectorELNS0_4arch9wavefront6targetE1EEEvT1_
	.globl	_ZN7rocprim17ROCPRIM_400000_NS6detail17trampoline_kernelINS0_14default_configENS1_20scan_config_selectorItEEZZNS1_9scan_implILNS1_25lookback_scan_determinismE0ELb0ELb0ES3_N6thrust23THRUST_200600_302600_NS6detail15normal_iteratorINS9_10device_ptrItEEEESE_tNS9_4plusIvEEtEEDaPvRmT3_T4_T5_mT6_P12ihipStream_tbENKUlT_T0_E_clISt17integral_constantIbLb0EESU_EEDaSP_SQ_EUlSP_E_NS1_11comp_targetILNS1_3genE5ELNS1_11target_archE942ELNS1_3gpuE9ELNS1_3repE0EEENS1_30default_config_static_selectorELNS0_4arch9wavefront6targetE1EEEvT1_
	.p2align	8
	.type	_ZN7rocprim17ROCPRIM_400000_NS6detail17trampoline_kernelINS0_14default_configENS1_20scan_config_selectorItEEZZNS1_9scan_implILNS1_25lookback_scan_determinismE0ELb0ELb0ES3_N6thrust23THRUST_200600_302600_NS6detail15normal_iteratorINS9_10device_ptrItEEEESE_tNS9_4plusIvEEtEEDaPvRmT3_T4_T5_mT6_P12ihipStream_tbENKUlT_T0_E_clISt17integral_constantIbLb0EESU_EEDaSP_SQ_EUlSP_E_NS1_11comp_targetILNS1_3genE5ELNS1_11target_archE942ELNS1_3gpuE9ELNS1_3repE0EEENS1_30default_config_static_selectorELNS0_4arch9wavefront6targetE1EEEvT1_,@function
_ZN7rocprim17ROCPRIM_400000_NS6detail17trampoline_kernelINS0_14default_configENS1_20scan_config_selectorItEEZZNS1_9scan_implILNS1_25lookback_scan_determinismE0ELb0ELb0ES3_N6thrust23THRUST_200600_302600_NS6detail15normal_iteratorINS9_10device_ptrItEEEESE_tNS9_4plusIvEEtEEDaPvRmT3_T4_T5_mT6_P12ihipStream_tbENKUlT_T0_E_clISt17integral_constantIbLb0EESU_EEDaSP_SQ_EUlSP_E_NS1_11comp_targetILNS1_3genE5ELNS1_11target_archE942ELNS1_3gpuE9ELNS1_3repE0EEENS1_30default_config_static_selectorELNS0_4arch9wavefront6targetE1EEEvT1_: ; @_ZN7rocprim17ROCPRIM_400000_NS6detail17trampoline_kernelINS0_14default_configENS1_20scan_config_selectorItEEZZNS1_9scan_implILNS1_25lookback_scan_determinismE0ELb0ELb0ES3_N6thrust23THRUST_200600_302600_NS6detail15normal_iteratorINS9_10device_ptrItEEEESE_tNS9_4plusIvEEtEEDaPvRmT3_T4_T5_mT6_P12ihipStream_tbENKUlT_T0_E_clISt17integral_constantIbLb0EESU_EEDaSP_SQ_EUlSP_E_NS1_11comp_targetILNS1_3genE5ELNS1_11target_archE942ELNS1_3gpuE9ELNS1_3repE0EEENS1_30default_config_static_selectorELNS0_4arch9wavefront6targetE1EEEvT1_
; %bb.0:
	.section	.rodata,"a",@progbits
	.p2align	6, 0x0
	.amdhsa_kernel _ZN7rocprim17ROCPRIM_400000_NS6detail17trampoline_kernelINS0_14default_configENS1_20scan_config_selectorItEEZZNS1_9scan_implILNS1_25lookback_scan_determinismE0ELb0ELb0ES3_N6thrust23THRUST_200600_302600_NS6detail15normal_iteratorINS9_10device_ptrItEEEESE_tNS9_4plusIvEEtEEDaPvRmT3_T4_T5_mT6_P12ihipStream_tbENKUlT_T0_E_clISt17integral_constantIbLb0EESU_EEDaSP_SQ_EUlSP_E_NS1_11comp_targetILNS1_3genE5ELNS1_11target_archE942ELNS1_3gpuE9ELNS1_3repE0EEENS1_30default_config_static_selectorELNS0_4arch9wavefront6targetE1EEEvT1_
		.amdhsa_group_segment_fixed_size 0
		.amdhsa_private_segment_fixed_size 0
		.amdhsa_kernarg_size 96
		.amdhsa_user_sgpr_count 6
		.amdhsa_user_sgpr_private_segment_buffer 1
		.amdhsa_user_sgpr_dispatch_ptr 0
		.amdhsa_user_sgpr_queue_ptr 0
		.amdhsa_user_sgpr_kernarg_segment_ptr 1
		.amdhsa_user_sgpr_dispatch_id 0
		.amdhsa_user_sgpr_flat_scratch_init 0
		.amdhsa_user_sgpr_kernarg_preload_length 0
		.amdhsa_user_sgpr_kernarg_preload_offset 0
		.amdhsa_user_sgpr_private_segment_size 0
		.amdhsa_uses_dynamic_stack 0
		.amdhsa_system_sgpr_private_segment_wavefront_offset 0
		.amdhsa_system_sgpr_workgroup_id_x 1
		.amdhsa_system_sgpr_workgroup_id_y 0
		.amdhsa_system_sgpr_workgroup_id_z 0
		.amdhsa_system_sgpr_workgroup_info 0
		.amdhsa_system_vgpr_workitem_id 0
		.amdhsa_next_free_vgpr 1
		.amdhsa_next_free_sgpr 0
		.amdhsa_accum_offset 4
		.amdhsa_reserve_vcc 0
		.amdhsa_reserve_flat_scratch 0
		.amdhsa_float_round_mode_32 0
		.amdhsa_float_round_mode_16_64 0
		.amdhsa_float_denorm_mode_32 3
		.amdhsa_float_denorm_mode_16_64 3
		.amdhsa_dx10_clamp 1
		.amdhsa_ieee_mode 1
		.amdhsa_fp16_overflow 0
		.amdhsa_tg_split 0
		.amdhsa_exception_fp_ieee_invalid_op 0
		.amdhsa_exception_fp_denorm_src 0
		.amdhsa_exception_fp_ieee_div_zero 0
		.amdhsa_exception_fp_ieee_overflow 0
		.amdhsa_exception_fp_ieee_underflow 0
		.amdhsa_exception_fp_ieee_inexact 0
		.amdhsa_exception_int_div_zero 0
	.end_amdhsa_kernel
	.section	.text._ZN7rocprim17ROCPRIM_400000_NS6detail17trampoline_kernelINS0_14default_configENS1_20scan_config_selectorItEEZZNS1_9scan_implILNS1_25lookback_scan_determinismE0ELb0ELb0ES3_N6thrust23THRUST_200600_302600_NS6detail15normal_iteratorINS9_10device_ptrItEEEESE_tNS9_4plusIvEEtEEDaPvRmT3_T4_T5_mT6_P12ihipStream_tbENKUlT_T0_E_clISt17integral_constantIbLb0EESU_EEDaSP_SQ_EUlSP_E_NS1_11comp_targetILNS1_3genE5ELNS1_11target_archE942ELNS1_3gpuE9ELNS1_3repE0EEENS1_30default_config_static_selectorELNS0_4arch9wavefront6targetE1EEEvT1_,"axG",@progbits,_ZN7rocprim17ROCPRIM_400000_NS6detail17trampoline_kernelINS0_14default_configENS1_20scan_config_selectorItEEZZNS1_9scan_implILNS1_25lookback_scan_determinismE0ELb0ELb0ES3_N6thrust23THRUST_200600_302600_NS6detail15normal_iteratorINS9_10device_ptrItEEEESE_tNS9_4plusIvEEtEEDaPvRmT3_T4_T5_mT6_P12ihipStream_tbENKUlT_T0_E_clISt17integral_constantIbLb0EESU_EEDaSP_SQ_EUlSP_E_NS1_11comp_targetILNS1_3genE5ELNS1_11target_archE942ELNS1_3gpuE9ELNS1_3repE0EEENS1_30default_config_static_selectorELNS0_4arch9wavefront6targetE1EEEvT1_,comdat
.Lfunc_end4719:
	.size	_ZN7rocprim17ROCPRIM_400000_NS6detail17trampoline_kernelINS0_14default_configENS1_20scan_config_selectorItEEZZNS1_9scan_implILNS1_25lookback_scan_determinismE0ELb0ELb0ES3_N6thrust23THRUST_200600_302600_NS6detail15normal_iteratorINS9_10device_ptrItEEEESE_tNS9_4plusIvEEtEEDaPvRmT3_T4_T5_mT6_P12ihipStream_tbENKUlT_T0_E_clISt17integral_constantIbLb0EESU_EEDaSP_SQ_EUlSP_E_NS1_11comp_targetILNS1_3genE5ELNS1_11target_archE942ELNS1_3gpuE9ELNS1_3repE0EEENS1_30default_config_static_selectorELNS0_4arch9wavefront6targetE1EEEvT1_, .Lfunc_end4719-_ZN7rocprim17ROCPRIM_400000_NS6detail17trampoline_kernelINS0_14default_configENS1_20scan_config_selectorItEEZZNS1_9scan_implILNS1_25lookback_scan_determinismE0ELb0ELb0ES3_N6thrust23THRUST_200600_302600_NS6detail15normal_iteratorINS9_10device_ptrItEEEESE_tNS9_4plusIvEEtEEDaPvRmT3_T4_T5_mT6_P12ihipStream_tbENKUlT_T0_E_clISt17integral_constantIbLb0EESU_EEDaSP_SQ_EUlSP_E_NS1_11comp_targetILNS1_3genE5ELNS1_11target_archE942ELNS1_3gpuE9ELNS1_3repE0EEENS1_30default_config_static_selectorELNS0_4arch9wavefront6targetE1EEEvT1_
                                        ; -- End function
	.section	.AMDGPU.csdata,"",@progbits
; Kernel info:
; codeLenInByte = 0
; NumSgprs: 4
; NumVgprs: 0
; NumAgprs: 0
; TotalNumVgprs: 0
; ScratchSize: 0
; MemoryBound: 0
; FloatMode: 240
; IeeeMode: 1
; LDSByteSize: 0 bytes/workgroup (compile time only)
; SGPRBlocks: 0
; VGPRBlocks: 0
; NumSGPRsForWavesPerEU: 4
; NumVGPRsForWavesPerEU: 1
; AccumOffset: 4
; Occupancy: 8
; WaveLimiterHint : 0
; COMPUTE_PGM_RSRC2:SCRATCH_EN: 0
; COMPUTE_PGM_RSRC2:USER_SGPR: 6
; COMPUTE_PGM_RSRC2:TRAP_HANDLER: 0
; COMPUTE_PGM_RSRC2:TGID_X_EN: 1
; COMPUTE_PGM_RSRC2:TGID_Y_EN: 0
; COMPUTE_PGM_RSRC2:TGID_Z_EN: 0
; COMPUTE_PGM_RSRC2:TIDIG_COMP_CNT: 0
; COMPUTE_PGM_RSRC3_GFX90A:ACCUM_OFFSET: 0
; COMPUTE_PGM_RSRC3_GFX90A:TG_SPLIT: 0
	.section	.text._ZN7rocprim17ROCPRIM_400000_NS6detail17trampoline_kernelINS0_14default_configENS1_20scan_config_selectorItEEZZNS1_9scan_implILNS1_25lookback_scan_determinismE0ELb0ELb0ES3_N6thrust23THRUST_200600_302600_NS6detail15normal_iteratorINS9_10device_ptrItEEEESE_tNS9_4plusIvEEtEEDaPvRmT3_T4_T5_mT6_P12ihipStream_tbENKUlT_T0_E_clISt17integral_constantIbLb0EESU_EEDaSP_SQ_EUlSP_E_NS1_11comp_targetILNS1_3genE4ELNS1_11target_archE910ELNS1_3gpuE8ELNS1_3repE0EEENS1_30default_config_static_selectorELNS0_4arch9wavefront6targetE1EEEvT1_,"axG",@progbits,_ZN7rocprim17ROCPRIM_400000_NS6detail17trampoline_kernelINS0_14default_configENS1_20scan_config_selectorItEEZZNS1_9scan_implILNS1_25lookback_scan_determinismE0ELb0ELb0ES3_N6thrust23THRUST_200600_302600_NS6detail15normal_iteratorINS9_10device_ptrItEEEESE_tNS9_4plusIvEEtEEDaPvRmT3_T4_T5_mT6_P12ihipStream_tbENKUlT_T0_E_clISt17integral_constantIbLb0EESU_EEDaSP_SQ_EUlSP_E_NS1_11comp_targetILNS1_3genE4ELNS1_11target_archE910ELNS1_3gpuE8ELNS1_3repE0EEENS1_30default_config_static_selectorELNS0_4arch9wavefront6targetE1EEEvT1_,comdat
	.protected	_ZN7rocprim17ROCPRIM_400000_NS6detail17trampoline_kernelINS0_14default_configENS1_20scan_config_selectorItEEZZNS1_9scan_implILNS1_25lookback_scan_determinismE0ELb0ELb0ES3_N6thrust23THRUST_200600_302600_NS6detail15normal_iteratorINS9_10device_ptrItEEEESE_tNS9_4plusIvEEtEEDaPvRmT3_T4_T5_mT6_P12ihipStream_tbENKUlT_T0_E_clISt17integral_constantIbLb0EESU_EEDaSP_SQ_EUlSP_E_NS1_11comp_targetILNS1_3genE4ELNS1_11target_archE910ELNS1_3gpuE8ELNS1_3repE0EEENS1_30default_config_static_selectorELNS0_4arch9wavefront6targetE1EEEvT1_ ; -- Begin function _ZN7rocprim17ROCPRIM_400000_NS6detail17trampoline_kernelINS0_14default_configENS1_20scan_config_selectorItEEZZNS1_9scan_implILNS1_25lookback_scan_determinismE0ELb0ELb0ES3_N6thrust23THRUST_200600_302600_NS6detail15normal_iteratorINS9_10device_ptrItEEEESE_tNS9_4plusIvEEtEEDaPvRmT3_T4_T5_mT6_P12ihipStream_tbENKUlT_T0_E_clISt17integral_constantIbLb0EESU_EEDaSP_SQ_EUlSP_E_NS1_11comp_targetILNS1_3genE4ELNS1_11target_archE910ELNS1_3gpuE8ELNS1_3repE0EEENS1_30default_config_static_selectorELNS0_4arch9wavefront6targetE1EEEvT1_
	.globl	_ZN7rocprim17ROCPRIM_400000_NS6detail17trampoline_kernelINS0_14default_configENS1_20scan_config_selectorItEEZZNS1_9scan_implILNS1_25lookback_scan_determinismE0ELb0ELb0ES3_N6thrust23THRUST_200600_302600_NS6detail15normal_iteratorINS9_10device_ptrItEEEESE_tNS9_4plusIvEEtEEDaPvRmT3_T4_T5_mT6_P12ihipStream_tbENKUlT_T0_E_clISt17integral_constantIbLb0EESU_EEDaSP_SQ_EUlSP_E_NS1_11comp_targetILNS1_3genE4ELNS1_11target_archE910ELNS1_3gpuE8ELNS1_3repE0EEENS1_30default_config_static_selectorELNS0_4arch9wavefront6targetE1EEEvT1_
	.p2align	8
	.type	_ZN7rocprim17ROCPRIM_400000_NS6detail17trampoline_kernelINS0_14default_configENS1_20scan_config_selectorItEEZZNS1_9scan_implILNS1_25lookback_scan_determinismE0ELb0ELb0ES3_N6thrust23THRUST_200600_302600_NS6detail15normal_iteratorINS9_10device_ptrItEEEESE_tNS9_4plusIvEEtEEDaPvRmT3_T4_T5_mT6_P12ihipStream_tbENKUlT_T0_E_clISt17integral_constantIbLb0EESU_EEDaSP_SQ_EUlSP_E_NS1_11comp_targetILNS1_3genE4ELNS1_11target_archE910ELNS1_3gpuE8ELNS1_3repE0EEENS1_30default_config_static_selectorELNS0_4arch9wavefront6targetE1EEEvT1_,@function
_ZN7rocprim17ROCPRIM_400000_NS6detail17trampoline_kernelINS0_14default_configENS1_20scan_config_selectorItEEZZNS1_9scan_implILNS1_25lookback_scan_determinismE0ELb0ELb0ES3_N6thrust23THRUST_200600_302600_NS6detail15normal_iteratorINS9_10device_ptrItEEEESE_tNS9_4plusIvEEtEEDaPvRmT3_T4_T5_mT6_P12ihipStream_tbENKUlT_T0_E_clISt17integral_constantIbLb0EESU_EEDaSP_SQ_EUlSP_E_NS1_11comp_targetILNS1_3genE4ELNS1_11target_archE910ELNS1_3gpuE8ELNS1_3repE0EEENS1_30default_config_static_selectorELNS0_4arch9wavefront6targetE1EEEvT1_: ; @_ZN7rocprim17ROCPRIM_400000_NS6detail17trampoline_kernelINS0_14default_configENS1_20scan_config_selectorItEEZZNS1_9scan_implILNS1_25lookback_scan_determinismE0ELb0ELb0ES3_N6thrust23THRUST_200600_302600_NS6detail15normal_iteratorINS9_10device_ptrItEEEESE_tNS9_4plusIvEEtEEDaPvRmT3_T4_T5_mT6_P12ihipStream_tbENKUlT_T0_E_clISt17integral_constantIbLb0EESU_EEDaSP_SQ_EUlSP_E_NS1_11comp_targetILNS1_3genE4ELNS1_11target_archE910ELNS1_3gpuE8ELNS1_3repE0EEENS1_30default_config_static_selectorELNS0_4arch9wavefront6targetE1EEEvT1_
; %bb.0:
	s_load_dwordx8 s[8:15], s[4:5], 0x0
	s_load_dword s1, s[4:5], 0x30
	s_mul_i32 s0, s6, 0x600
	v_lshlrev_b32_e32 v20, 1, v0
	s_waitcnt lgkmcnt(0)
	s_lshl_b64 s[16:17], s[10:11], 1
	s_add_u32 s2, s8, s16
	s_addc_u32 s3, s9, s17
	s_add_i32 s7, s1, -1
	s_mul_i32 s8, s7, 0x600
	s_sub_u32 s22, s14, s8
	s_subb_u32 s23, s15, 0
	s_mov_b32 s1, 0
	s_cmp_lg_u32 s6, s7
	s_cselect_b64 s[14:15], -1, 0
	s_lshl_b64 s[18:19], s[0:1], 1
	s_add_u32 s2, s2, s18
	s_addc_u32 s3, s3, s19
	s_mov_b64 s[0:1], -1
	s_and_b64 vcc, exec, s[14:15]
	s_cbranch_vccz .LBB4720_2
; %bb.1:
	v_mov_b32_e32 v1, s3
	v_add_co_u32_e32 v2, vcc, s2, v20
	v_addc_co_u32_e32 v3, vcc, 0, v1, vcc
	flat_load_ushort v1, v[2:3]
	flat_load_ushort v4, v[2:3] offset:128
	flat_load_ushort v5, v[2:3] offset:256
	;; [unrolled: 1-line block ×23, first 2 shown]
	s_mov_b64 s[0:1], 0
	s_waitcnt vmcnt(0) lgkmcnt(0)
	ds_write_b16 v20, v1
	ds_write_b16 v20, v4 offset:128
	ds_write_b16 v20, v5 offset:256
	ds_write_b16 v20, v6 offset:384
	ds_write_b16 v20, v7 offset:512
	ds_write_b16 v20, v8 offset:640
	ds_write_b16 v20, v9 offset:768
	ds_write_b16 v20, v10 offset:896
	ds_write_b16 v20, v11 offset:1024
	ds_write_b16 v20, v12 offset:1152
	ds_write_b16 v20, v13 offset:1280
	ds_write_b16 v20, v14 offset:1408
	ds_write_b16 v20, v15 offset:1536
	ds_write_b16 v20, v16 offset:1664
	ds_write_b16 v20, v17 offset:1792
	ds_write_b16 v20, v18 offset:1920
	ds_write_b16 v20, v19 offset:2048
	ds_write_b16 v20, v21 offset:2176
	ds_write_b16 v20, v22 offset:2304
	ds_write_b16 v20, v23 offset:2432
	ds_write_b16 v20, v24 offset:2560
	ds_write_b16 v20, v25 offset:2688
	ds_write_b16 v20, v26 offset:2816
	ds_write_b16 v20, v27 offset:2944
	s_waitcnt lgkmcnt(0)
	; wave barrier
.LBB4720_2:
	s_load_dwordx2 s[20:21], s[4:5], 0x28
	s_andn2_b64 vcc, exec, s[0:1]
	v_cmp_gt_u32_e64 s[0:1], s22, v0
	s_cbranch_vccnz .LBB4720_52
; %bb.3:
	v_pk_mov_b32 v[2:3], s[2:3], s[2:3] op_sel:[0,1]
	flat_load_ushort v1, v[2:3]
	s_waitcnt vmcnt(0) lgkmcnt(0)
	v_mov_b32_e32 v2, v1
	s_and_saveexec_b64 s[8:9], s[0:1]
	s_cbranch_execz .LBB4720_5
; %bb.4:
	v_mov_b32_e32 v3, s3
	v_add_co_u32_e32 v2, vcc, s2, v20
	v_addc_co_u32_e32 v3, vcc, 0, v3, vcc
	flat_load_ushort v2, v[2:3]
.LBB4720_5:
	s_or_b64 exec, exec, s[8:9]
	v_or_b32_e32 v3, 64, v0
	v_cmp_gt_u32_e32 vcc, s22, v3
	v_mov_b32_e32 v3, v1
	s_and_saveexec_b64 s[0:1], vcc
	s_cbranch_execz .LBB4720_7
; %bb.6:
	v_mov_b32_e32 v3, s3
	v_add_co_u32_e32 v4, vcc, s2, v20
	v_addc_co_u32_e32 v5, vcc, 0, v3, vcc
	flat_load_ushort v3, v[4:5] offset:128
.LBB4720_7:
	s_or_b64 exec, exec, s[0:1]
	v_or_b32_e32 v4, 0x80, v0
	v_cmp_gt_u32_e32 vcc, s22, v4
	v_mov_b32_e32 v4, v1
	s_and_saveexec_b64 s[0:1], vcc
	s_cbranch_execz .LBB4720_9
; %bb.8:
	v_mov_b32_e32 v5, s3
	v_add_co_u32_e32 v4, vcc, s2, v20
	v_addc_co_u32_e32 v5, vcc, 0, v5, vcc
	flat_load_ushort v4, v[4:5] offset:256
.LBB4720_9:
	;; [unrolled: 12-line block ×22, first 2 shown]
	s_or_b64 exec, exec, s[0:1]
	v_or_b32_e32 v26, 0x5c0, v0
	v_cmp_gt_u32_e32 vcc, s22, v26
	s_and_saveexec_b64 s[0:1], vcc
	s_cbranch_execz .LBB4720_51
; %bb.50:
	v_mov_b32_e32 v1, s3
	v_add_co_u32_e32 v26, vcc, s2, v20
	v_addc_co_u32_e32 v27, vcc, 0, v1, vcc
	flat_load_ushort v1, v[26:27] offset:2944
.LBB4720_51:
	s_or_b64 exec, exec, s[0:1]
	s_waitcnt vmcnt(0) lgkmcnt(0)
	ds_write_b16 v20, v2
	ds_write_b16 v20, v3 offset:128
	ds_write_b16 v20, v4 offset:256
	;; [unrolled: 1-line block ×23, first 2 shown]
	s_waitcnt lgkmcnt(0)
	; wave barrier
.LBB4720_52:
	v_mul_u32_u24_e32 v21, 24, v0
	v_lshlrev_b32_e32 v1, 1, v21
	s_waitcnt lgkmcnt(0)
	ds_read_b128 v[10:13], v1
	ds_read_b128 v[6:9], v1 offset:16
	ds_read_b128 v[2:5], v1 offset:32
	s_cmp_lg_u32 s6, 0
	v_mbcnt_lo_u32_b32 v22, -1, 0
	v_cmp_eq_u32_e32 vcc, 63, v0
	s_waitcnt lgkmcnt(0)
	; wave barrier
	s_waitcnt lgkmcnt(0)
	s_cbranch_scc0 .LBB4720_75
; %bb.53:
	v_add_u16_sdwa v14, v10, v10 dst_sel:DWORD dst_unused:UNUSED_PAD src0_sel:WORD_1 src1_sel:DWORD
	v_add_u16_e32 v14, v14, v11
	v_add_u16_sdwa v14, v14, v11 dst_sel:DWORD dst_unused:UNUSED_PAD src0_sel:DWORD src1_sel:WORD_1
	v_add_u16_e32 v14, v14, v12
	v_add_u16_sdwa v14, v14, v12 dst_sel:DWORD dst_unused:UNUSED_PAD src0_sel:DWORD src1_sel:WORD_1
	;; [unrolled: 2-line block ×10, first 2 shown]
	v_add_u16_e32 v14, v14, v5
	v_mbcnt_hi_u32_b32 v15, -1, v22
	v_add_u16_sdwa v14, v14, v5 dst_sel:DWORD dst_unused:UNUSED_PAD src0_sel:DWORD src1_sel:WORD_1
	v_and_b32_e32 v16, 15, v15
	v_cmp_ne_u32_e64 s[0:1], 0, v16
	v_mov_b32_dpp v17, v14 row_shr:1 row_mask:0xf bank_mask:0xf
	v_cndmask_b32_e64 v17, 0, v17, s[0:1]
	v_add_u16_e32 v14, v17, v14
	v_cmp_lt_u32_e64 s[0:1], 1, v16
	s_nop 0
	v_mov_b32_dpp v17, v14 row_shr:2 row_mask:0xf bank_mask:0xf
	v_cndmask_b32_e64 v17, 0, v17, s[0:1]
	v_add_u16_e32 v14, v14, v17
	v_cmp_lt_u32_e64 s[0:1], 3, v16
	s_nop 0
	;; [unrolled: 5-line block ×3, first 2 shown]
	v_mov_b32_dpp v17, v14 row_shr:8 row_mask:0xf bank_mask:0xf
	v_cndmask_b32_e64 v16, 0, v17, s[0:1]
	v_add_u16_e32 v14, v14, v16
	v_and_b32_e32 v17, 16, v15
	v_cmp_ne_u32_e64 s[0:1], 0, v17
	v_mov_b32_dpp v16, v14 row_bcast:15 row_mask:0xf bank_mask:0xf
	v_cndmask_b32_e64 v16, 0, v16, s[0:1]
	v_add_u16_e32 v14, v14, v16
	v_cmp_lt_u32_e64 s[0:1], 31, v15
	s_nop 0
	v_mov_b32_dpp v16, v14 row_bcast:31 row_mask:0xf bank_mask:0xf
	v_cndmask_b32_e64 v16, 0, v16, s[0:1]
	v_add_u16_e32 v14, v14, v16
	s_and_saveexec_b64 s[0:1], vcc
	s_cbranch_execz .LBB4720_55
; %bb.54:
	v_mov_b32_e32 v16, 0
	ds_write_b16 v16, v14
.LBB4720_55:
	s_or_b64 exec, exec, s[0:1]
	v_add_u32_e32 v16, -1, v15
	v_and_b32_e32 v17, 64, v15
	v_cmp_lt_i32_e32 vcc, v16, v17
	v_cndmask_b32_e32 v16, v16, v15, vcc
	v_lshlrev_b32_e32 v16, 2, v16
	ds_bpermute_b32 v23, v16, v14
	v_cmp_gt_u32_e32 vcc, 64, v0
	s_waitcnt lgkmcnt(0)
	; wave barrier
	s_waitcnt lgkmcnt(0)
	s_and_saveexec_b64 s[10:11], vcc
	s_cbranch_execz .LBB4720_74
; %bb.56:
	v_mov_b32_e32 v17, 0
	ds_read_u16 v24, v17
	s_mov_b32 s9, 0
	v_cmp_eq_u32_e64 s[0:1], 0, v15
	s_and_saveexec_b64 s[2:3], s[0:1]
	s_cbranch_execz .LBB4720_58
; %bb.57:
	s_add_i32 s8, s6, 64
	s_lshl_b64 s[8:9], s[8:9], 2
	s_add_u32 s8, s20, s8
	s_waitcnt lgkmcnt(0)
	v_or_b32_e32 v14, 0x10000, v24
	s_addc_u32 s9, s21, s9
	global_store_dword v17, v14, s[8:9]
.LBB4720_58:
	s_or_b64 exec, exec, s[2:3]
	v_xad_u32 v14, v15, -1, s6
	v_add_u32_e32 v16, 64, v14
	v_lshlrev_b64 v[18:19], 2, v[16:17]
	v_mov_b32_e32 v16, s21
	v_add_co_u32_e32 v18, vcc, s20, v18
	v_addc_co_u32_e32 v19, vcc, v16, v19, vcc
	global_load_dword v37, v[18:19], off glc
	s_waitcnt vmcnt(0)
	v_lshrrev_b32_e32 v26, 16, v37
	v_cmp_eq_u16_sdwa s[8:9], v26, v17 src0_sel:BYTE_0 src1_sel:DWORD
	s_and_saveexec_b64 s[2:3], s[8:9]
	s_cbranch_execz .LBB4720_62
; %bb.59:
	s_mov_b64 s[8:9], 0
	v_mov_b32_e32 v16, 0
.LBB4720_60:                            ; =>This Inner Loop Header: Depth=1
	global_load_dword v37, v[18:19], off glc
	s_waitcnt vmcnt(0)
	v_lshrrev_b32_e32 v26, 16, v37
	v_cmp_ne_u16_sdwa s[24:25], v26, v16 src0_sel:BYTE_0 src1_sel:DWORD
	s_or_b64 s[8:9], s[24:25], s[8:9]
	s_andn2_b64 exec, exec, s[8:9]
	s_cbranch_execnz .LBB4720_60
; %bb.61:
	s_or_b64 exec, exec, s[8:9]
.LBB4720_62:
	s_or_b64 exec, exec, s[2:3]
	v_and_b32_e32 v27, 63, v15
	v_cmp_ne_u32_e32 vcc, 63, v27
	v_mov_b32_e32 v25, 2
	v_addc_co_u32_e32 v28, vcc, 0, v15, vcc
	v_cmp_eq_u16_sdwa s[2:3], v26, v25 src0_sel:BYTE_0 src1_sel:DWORD
	v_lshlrev_b64 v[16:17], v15, -1
	v_and_b32_e32 v29, 0xffff, v37
	v_lshlrev_b32_e32 v28, 2, v28
	v_and_b32_e32 v18, s3, v17
	ds_bpermute_b32 v30, v28, v29
	v_or_b32_e32 v18, 0x80000000, v18
	v_and_b32_e32 v19, s2, v16
	v_ffbl_b32_e32 v18, v18
	v_add_u32_e32 v18, 32, v18
	v_ffbl_b32_e32 v19, v19
	v_min_u32_e32 v18, v19, v18
	s_waitcnt lgkmcnt(0)
	v_add_u16_e32 v19, v30, v37
	v_cmp_lt_u32_e32 vcc, v27, v18
	v_cmp_gt_u32_e64 s[2:3], 62, v27
	v_cndmask_b32_e32 v31, v29, v19, vcc
	v_cndmask_b32_e64 v29, 0, 1, s[2:3]
	v_lshlrev_b32_e32 v29, 1, v29
	v_add_lshl_u32 v29, v29, v15, 2
	ds_bpermute_b32 v32, v29, v31
	v_cndmask_b32_e32 v19, v37, v19, vcc
	v_add_u32_e32 v30, 2, v27
	v_cmp_gt_u32_e64 s[2:3], v30, v18
	v_cmp_gt_u32_e64 s[8:9], 60, v27
	s_waitcnt lgkmcnt(0)
	v_add_u16_e32 v32, v19, v32
	v_cndmask_b32_e64 v33, v32, v31, s[2:3]
	v_cndmask_b32_e64 v31, 0, 1, s[8:9]
	v_lshlrev_b32_e32 v31, 2, v31
	v_add_lshl_u32 v31, v31, v15, 2
	ds_bpermute_b32 v34, v31, v33
	v_cndmask_b32_e64 v19, v32, v19, s[2:3]
	v_add_u32_e32 v32, 4, v27
	v_cmp_gt_u32_e64 s[2:3], v32, v18
	v_cmp_gt_u32_e64 s[8:9], 56, v27
	s_waitcnt lgkmcnt(0)
	v_add_u16_e32 v34, v19, v34
	v_cndmask_b32_e64 v35, v34, v33, s[2:3]
	v_cndmask_b32_e64 v33, 0, 1, s[8:9]
	v_lshlrev_b32_e32 v33, 3, v33
	v_add_lshl_u32 v33, v33, v15, 2
	ds_bpermute_b32 v36, v33, v35
	v_cndmask_b32_e64 v19, v34, v19, s[2:3]
	;; [unrolled: 11-line block ×3, first 2 shown]
	v_add_u32_e32 v36, 16, v27
	v_cmp_gt_u32_e64 s[2:3], v36, v18
	v_cmp_gt_u32_e64 s[8:9], 32, v27
	s_waitcnt lgkmcnt(0)
	v_add_u16_e32 v40, v19, v39
	v_cndmask_b32_e64 v39, v40, v38, s[2:3]
	v_cndmask_b32_e64 v38, 0, 1, s[8:9]
	v_lshlrev_b32_e32 v38, 5, v38
	v_add_lshl_u32 v38, v38, v15, 2
	ds_bpermute_b32 v15, v38, v39
	v_add_u32_e32 v39, 32, v27
	v_cndmask_b32_e64 v19, v40, v19, s[2:3]
	v_cmp_le_u32_e64 s[2:3], v39, v18
	s_waitcnt lgkmcnt(0)
	v_cndmask_b32_e64 v15, 0, v15, s[2:3]
	v_add_u16_e32 v15, v19, v15
	v_cndmask_b32_e32 v18, v37, v15, vcc
	v_mov_b32_e32 v15, 0
	s_branch .LBB4720_64
.LBB4720_63:                            ;   in Loop: Header=BB4720_64 Depth=1
	s_or_b64 exec, exec, s[2:3]
	v_cmp_eq_u16_sdwa s[2:3], v26, v25 src0_sel:BYTE_0 src1_sel:DWORD
	v_and_b32_e32 v41, 0xffff, v40
	v_and_b32_e32 v18, s3, v17
	ds_bpermute_b32 v42, v28, v41
	v_or_b32_e32 v18, 0x80000000, v18
	v_and_b32_e32 v19, s2, v16
	v_ffbl_b32_e32 v18, v18
	v_add_u32_e32 v18, 32, v18
	v_ffbl_b32_e32 v19, v19
	v_min_u32_e32 v18, v19, v18
	s_waitcnt lgkmcnt(0)
	v_add_u16_e32 v19, v42, v40
	v_cmp_lt_u32_e32 vcc, v27, v18
	v_cndmask_b32_e32 v41, v41, v19, vcc
	ds_bpermute_b32 v42, v29, v41
	v_cndmask_b32_e32 v19, v40, v19, vcc
	v_cmp_gt_u32_e64 s[2:3], v30, v18
	v_subrev_u32_e32 v14, 64, v14
	s_waitcnt lgkmcnt(0)
	v_add_u16_e32 v42, v19, v42
	v_cndmask_b32_e64 v41, v42, v41, s[2:3]
	ds_bpermute_b32 v43, v31, v41
	v_cndmask_b32_e64 v19, v42, v19, s[2:3]
	v_cmp_gt_u32_e64 s[2:3], v32, v18
	s_waitcnt lgkmcnt(0)
	v_add_u16_e32 v42, v19, v43
	v_cndmask_b32_e64 v41, v42, v41, s[2:3]
	ds_bpermute_b32 v43, v33, v41
	v_cndmask_b32_e64 v19, v42, v19, s[2:3]
	v_cmp_gt_u32_e64 s[2:3], v34, v18
	;; [unrolled: 6-line block ×3, first 2 shown]
	s_waitcnt lgkmcnt(0)
	v_add_u16_e32 v42, v19, v43
	v_cndmask_b32_e64 v41, v42, v41, s[2:3]
	ds_bpermute_b32 v41, v38, v41
	v_cndmask_b32_e64 v19, v42, v19, s[2:3]
	v_cmp_le_u32_e64 s[2:3], v39, v18
	s_waitcnt lgkmcnt(0)
	v_cndmask_b32_e64 v18, 0, v41, s[2:3]
	v_add_u16_e32 v18, v19, v18
	v_cndmask_b32_e32 v18, v40, v18, vcc
	v_add_u16_e32 v18, v18, v37
.LBB4720_64:                            ; =>This Loop Header: Depth=1
                                        ;     Child Loop BB4720_67 Depth 2
	v_cmp_ne_u16_sdwa s[2:3], v26, v25 src0_sel:BYTE_0 src1_sel:DWORD
	v_cndmask_b32_e64 v19, 0, 1, s[2:3]
	;;#ASMSTART
	;;#ASMEND
	v_cmp_ne_u32_e32 vcc, 0, v19
	s_cmp_lg_u64 vcc, exec
	v_mov_b32_e32 v37, v18
	s_cbranch_scc1 .LBB4720_69
; %bb.65:                               ;   in Loop: Header=BB4720_64 Depth=1
	v_lshlrev_b64 v[18:19], 2, v[14:15]
	v_mov_b32_e32 v26, s21
	v_add_co_u32_e32 v18, vcc, s20, v18
	v_addc_co_u32_e32 v19, vcc, v26, v19, vcc
	global_load_dword v40, v[18:19], off glc
	s_waitcnt vmcnt(0)
	v_lshrrev_b32_e32 v26, 16, v40
	v_cmp_eq_u16_sdwa s[8:9], v26, v15 src0_sel:BYTE_0 src1_sel:DWORD
	s_and_saveexec_b64 s[2:3], s[8:9]
	s_cbranch_execz .LBB4720_63
; %bb.66:                               ;   in Loop: Header=BB4720_64 Depth=1
	s_mov_b64 s[8:9], 0
.LBB4720_67:                            ;   Parent Loop BB4720_64 Depth=1
                                        ; =>  This Inner Loop Header: Depth=2
	global_load_dword v40, v[18:19], off glc
	s_waitcnt vmcnt(0)
	v_lshrrev_b32_e32 v26, 16, v40
	v_cmp_ne_u16_sdwa s[24:25], v26, v15 src0_sel:BYTE_0 src1_sel:DWORD
	s_or_b64 s[8:9], s[24:25], s[8:9]
	s_andn2_b64 exec, exec, s[8:9]
	s_cbranch_execnz .LBB4720_67
; %bb.68:                               ;   in Loop: Header=BB4720_64 Depth=1
	s_or_b64 exec, exec, s[8:9]
	s_branch .LBB4720_63
.LBB4720_69:                            ;   in Loop: Header=BB4720_64 Depth=1
                                        ; implicit-def: $vgpr18
                                        ; implicit-def: $vgpr26
	s_cbranch_execz .LBB4720_64
; %bb.70:
	s_and_saveexec_b64 s[2:3], s[0:1]
	s_cbranch_execz .LBB4720_72
; %bb.71:
	s_add_i32 s0, s6, 64
	s_mov_b32 s1, 0
	s_lshl_b64 s[0:1], s[0:1], 2
	v_add_u16_e32 v14, v37, v24
	s_add_u32 s0, s20, s0
	v_or_b32_e32 v14, 0x20000, v14
	s_addc_u32 s1, s21, s1
	v_mov_b32_e32 v15, 0
	global_store_dword v15, v14, s[0:1]
.LBB4720_72:
	s_or_b64 exec, exec, s[2:3]
	v_cmp_eq_u32_e32 vcc, 0, v0
	s_and_b64 exec, exec, vcc
	s_cbranch_execz .LBB4720_74
; %bb.73:
	v_mov_b32_e32 v14, 0
	ds_write_b16 v14, v37
.LBB4720_74:
	s_or_b64 exec, exec, s[10:11]
	v_mov_b32_e32 v14, 0
	s_waitcnt lgkmcnt(0)
	; wave barrier
	s_waitcnt lgkmcnt(0)
	ds_read_u16 v14, v14
	v_cmp_ne_u32_e32 vcc, 0, v0
	v_cndmask_b32_e32 v15, 0, v23, vcc
	v_add_u16_e32 v15, v15, v10
	s_waitcnt lgkmcnt(0)
	v_add_u16_e32 v14, v15, v14
	v_add_u16_sdwa v15, v14, v10 dst_sel:DWORD dst_unused:UNUSED_PAD src0_sel:DWORD src1_sel:WORD_1
	v_add_u16_e32 v16, v15, v11
	v_add_u16_sdwa v17, v16, v11 dst_sel:DWORD dst_unused:UNUSED_PAD src0_sel:DWORD src1_sel:WORD_1
	;; [unrolled: 2-line block ×12, first 2 shown]
	s_load_dwordx8 s[4:11], s[4:5], 0x38
	s_branch .LBB4720_85
.LBB4720_75:
                                        ; implicit-def: $vgpr14
                                        ; implicit-def: $vgpr15
                                        ; implicit-def: $vgpr16
                                        ; implicit-def: $vgpr17
                                        ; implicit-def: $vgpr18
                                        ; implicit-def: $vgpr19
                                        ; implicit-def: $vgpr24
                                        ; implicit-def: $vgpr26
                                        ; implicit-def: $vgpr23
                                        ; implicit-def: $vgpr25
                                        ; implicit-def: $vgpr27
                                        ; implicit-def: $vgpr28
                                        ; implicit-def: $vgpr29
                                        ; implicit-def: $vgpr30
                                        ; implicit-def: $vgpr32
                                        ; implicit-def: $vgpr34
                                        ; implicit-def: $vgpr31
                                        ; implicit-def: $vgpr33
                                        ; implicit-def: $vgpr35
                                        ; implicit-def: $vgpr36
                                        ; implicit-def: $vgpr37
                                        ; implicit-def: $vgpr38
                                        ; implicit-def: $vgpr39
                                        ; implicit-def: $vgpr40
	s_load_dwordx8 s[4:11], s[4:5], 0x38
	s_cbranch_execz .LBB4720_85
; %bb.76:
	s_waitcnt lgkmcnt(0)
	s_cmp_lg_u64 s[8:9], 0
	s_cselect_b64 s[2:3], -1, 0
	v_cmp_eq_u32_e32 vcc, 0, v0
	v_cmp_ne_u32_e64 s[0:1], 0, v0
	s_and_b64 s[8:9], vcc, s[2:3]
	v_mov_b32_e32 v14, v10
	s_and_saveexec_b64 s[2:3], s[8:9]
	s_cbranch_execz .LBB4720_78
; %bb.77:
	v_mov_b32_e32 v14, 0
	global_load_ushort v14, v14, s[4:5]
	s_waitcnt vmcnt(0)
	v_add_u16_e32 v14, v14, v10
.LBB4720_78:
	s_or_b64 exec, exec, s[2:3]
	v_add_u16_sdwa v15, v14, v10 dst_sel:DWORD dst_unused:UNUSED_PAD src0_sel:DWORD src1_sel:WORD_1
	v_add_u16_e32 v16, v15, v11
	v_add_u16_sdwa v17, v16, v11 dst_sel:DWORD dst_unused:UNUSED_PAD src0_sel:DWORD src1_sel:WORD_1
	v_add_u16_e32 v18, v17, v12
	;; [unrolled: 2-line block ×11, first 2 shown]
	v_mbcnt_hi_u32_b32 v22, -1, v22
	v_add_u16_sdwa v40, v39, v5 dst_sel:DWORD dst_unused:UNUSED_PAD src0_sel:DWORD src1_sel:WORD_1
	v_and_b32_e32 v41, 15, v22
	v_cmp_ne_u32_e32 vcc, 0, v41
	v_mov_b32_dpp v42, v40 row_shr:1 row_mask:0xf bank_mask:0xf
	v_cndmask_b32_e32 v42, 0, v42, vcc
	v_add_u16_e32 v42, v40, v42
	v_cmp_lt_u32_e32 vcc, 1, v41
	s_nop 0
	v_mov_b32_dpp v43, v42 row_shr:2 row_mask:0xf bank_mask:0xf
	v_cndmask_b32_e32 v43, 0, v43, vcc
	v_add_u16_e32 v42, v42, v43
	v_cmp_lt_u32_e32 vcc, 3, v41
	s_nop 0
	;; [unrolled: 5-line block ×3, first 2 shown]
	v_mov_b32_dpp v43, v42 row_shr:8 row_mask:0xf bank_mask:0xf
	v_cndmask_b32_e32 v41, 0, v43, vcc
	v_add_u16_e32 v41, v42, v41
	v_and_b32_e32 v43, 16, v22
	v_cmp_ne_u32_e32 vcc, 0, v43
	v_mov_b32_dpp v42, v41 row_bcast:15 row_mask:0xf bank_mask:0xf
	v_cndmask_b32_e32 v42, 0, v42, vcc
	v_add_u16_e32 v41, v41, v42
	v_cmp_lt_u32_e32 vcc, 31, v22
	s_nop 0
	v_mov_b32_dpp v42, v41 row_bcast:31 row_mask:0xf bank_mask:0xf
	v_cndmask_b32_e32 v42, 0, v42, vcc
	v_add_u16_e32 v41, v41, v42
	v_cmp_eq_u32_e32 vcc, 63, v0
	s_and_saveexec_b64 s[2:3], vcc
	s_cbranch_execz .LBB4720_80
; %bb.79:
	v_mov_b32_e32 v42, 0
	ds_write_b16 v42, v41
.LBB4720_80:
	s_or_b64 exec, exec, s[2:3]
	v_add_u32_e32 v42, -1, v22
	v_and_b32_e32 v43, 64, v22
	v_cmp_lt_i32_e64 s[2:3], v42, v43
	v_cndmask_b32_e64 v22, v42, v22, s[2:3]
	v_lshlrev_b32_e32 v22, 2, v22
	ds_bpermute_b32 v22, v22, v41
	s_waitcnt lgkmcnt(0)
	; wave barrier
	s_waitcnt lgkmcnt(0)
	s_and_saveexec_b64 s[2:3], s[0:1]
	s_cbranch_execz .LBB4720_82
; %bb.81:
	v_add_u16_e32 v14, v14, v22
	v_add_u16_sdwa v15, v14, v10 dst_sel:DWORD dst_unused:UNUSED_PAD src0_sel:DWORD src1_sel:WORD_1
	v_add_u16_e32 v16, v15, v11
	v_add_u16_sdwa v17, v16, v11 dst_sel:DWORD dst_unused:UNUSED_PAD src0_sel:DWORD src1_sel:WORD_1
	v_add_u16_e32 v18, v17, v12
	v_add_u16_sdwa v19, v18, v12 dst_sel:DWORD dst_unused:UNUSED_PAD src0_sel:DWORD src1_sel:WORD_1
	v_add_u16_e32 v24, v19, v13
	v_add_u16_sdwa v26, v24, v13 dst_sel:DWORD dst_unused:UNUSED_PAD src0_sel:DWORD src1_sel:WORD_1
	v_add_u16_e32 v23, v26, v6
	v_add_u16_sdwa v25, v23, v6 dst_sel:DWORD dst_unused:UNUSED_PAD src0_sel:DWORD src1_sel:WORD_1
	v_add_u16_e32 v27, v25, v7
	v_add_u16_sdwa v28, v27, v7 dst_sel:DWORD dst_unused:UNUSED_PAD src0_sel:DWORD src1_sel:WORD_1
	v_add_u16_e32 v29, v28, v8
	v_add_u16_sdwa v30, v29, v8 dst_sel:DWORD dst_unused:UNUSED_PAD src0_sel:DWORD src1_sel:WORD_1
	v_add_u16_e32 v32, v30, v9
	v_add_u16_sdwa v34, v32, v9 dst_sel:DWORD dst_unused:UNUSED_PAD src0_sel:DWORD src1_sel:WORD_1
	v_add_u16_e32 v31, v34, v2
	v_add_u16_sdwa v33, v31, v2 dst_sel:DWORD dst_unused:UNUSED_PAD src0_sel:DWORD src1_sel:WORD_1
	v_add_u16_e32 v35, v33, v3
	v_add_u16_sdwa v36, v35, v3 dst_sel:DWORD dst_unused:UNUSED_PAD src0_sel:DWORD src1_sel:WORD_1
	v_add_u16_e32 v37, v36, v4
	v_add_u16_sdwa v38, v37, v4 dst_sel:DWORD dst_unused:UNUSED_PAD src0_sel:DWORD src1_sel:WORD_1
	v_add_u16_e32 v39, v38, v5
	v_add_u16_sdwa v40, v39, v5 dst_sel:DWORD dst_unused:UNUSED_PAD src0_sel:DWORD src1_sel:WORD_1
	;;#ASMSTART
	;;#ASMEND
.LBB4720_82:
	s_or_b64 exec, exec, s[2:3]
	s_and_saveexec_b64 s[0:1], vcc
	s_cbranch_execz .LBB4720_84
; %bb.83:
	s_mov_b32 s2, 0x20000
	v_mov_b32_e32 v2, 0
	v_or_b32_sdwa v3, v40, s2 dst_sel:DWORD dst_unused:UNUSED_PAD src0_sel:WORD_0 src1_sel:DWORD
	global_store_dword v2, v3, s[20:21] offset:256
.LBB4720_84:
	s_or_b64 exec, exec, s[0:1]
.LBB4720_85:
	s_add_u32 s0, s12, s16
	s_addc_u32 s1, s13, s17
	s_add_u32 s2, s0, s18
	s_addc_u32 s3, s1, s19
	s_mov_b64 s[0:1], -1
	s_and_b64 vcc, exec, s[14:15]
	s_waitcnt lgkmcnt(0)
	; wave barrier
	s_waitcnt lgkmcnt(0)
	s_cbranch_vccz .LBB4720_87
; %bb.86:
	s_mov_b32 s0, 0x5040100
	v_perm_b32 v5, v26, v24, s0
	v_perm_b32 v4, v19, v18, s0
	;; [unrolled: 1-line block ×4, first 2 shown]
	ds_write_b128 v1, v[2:5]
	v_perm_b32 v5, v34, v32, s0
	v_perm_b32 v4, v30, v29, s0
	;; [unrolled: 1-line block ×4, first 2 shown]
	ds_write_b128 v1, v[2:5] offset:16
	v_perm_b32 v5, v40, v39, s0
	v_perm_b32 v4, v38, v37, s0
	;; [unrolled: 1-line block ×4, first 2 shown]
	ds_write_b128 v1, v[2:5] offset:32
	s_waitcnt lgkmcnt(0)
	; wave barrier
	s_waitcnt lgkmcnt(0)
	ds_read_u16 v4, v20
	ds_read_u16 v5, v20 offset:128
	ds_read_u16 v6, v20 offset:256
	;; [unrolled: 1-line block ×23, first 2 shown]
	v_mov_b32_e32 v3, s3
	v_add_co_u32_e32 v2, vcc, s2, v20
	v_addc_co_u32_e32 v3, vcc, 0, v3, vcc
	s_waitcnt lgkmcnt(14)
	flat_store_short v[2:3], v4
	flat_store_short v[2:3], v5 offset:128
	flat_store_short v[2:3], v6 offset:256
	;; [unrolled: 1-line block ×9, first 2 shown]
	s_waitcnt lgkmcnt(0)
	flat_store_short v[2:3], v22 offset:1280
	flat_store_short v[2:3], v41 offset:1408
	;; [unrolled: 1-line block ×14, first 2 shown]
	s_mov_b64 s[0:1], 0
.LBB4720_87:
	s_andn2_b64 vcc, exec, s[0:1]
	s_cbranch_vccnz .LBB4720_144
; %bb.88:
	s_mov_b32 s0, 0x5040100
	v_perm_b32 v5, v26, v24, s0
	v_perm_b32 v4, v19, v18, s0
	;; [unrolled: 1-line block ×4, first 2 shown]
	ds_write_b128 v1, v[2:5]
	v_perm_b32 v5, v34, v32, s0
	v_perm_b32 v4, v30, v29, s0
	;; [unrolled: 1-line block ×4, first 2 shown]
	ds_write_b128 v1, v[2:5] offset:16
	v_perm_b32 v5, v40, v39, s0
	v_perm_b32 v4, v38, v37, s0
	;; [unrolled: 1-line block ×4, first 2 shown]
	ds_write_b128 v1, v[2:5] offset:32
	s_waitcnt lgkmcnt(0)
	; wave barrier
	s_waitcnt lgkmcnt(0)
	ds_read_u16 v5, v20
	ds_read_u16 v4, v20 offset:128
	ds_read_u16 v7, v20 offset:256
	;; [unrolled: 1-line block ×23, first 2 shown]
	v_mov_b32_e32 v3, s3
	v_add_co_u32_e32 v2, vcc, s2, v20
	v_addc_co_u32_e32 v3, vcc, 0, v3, vcc
	v_mov_b32_e32 v1, 0
	v_cmp_gt_u32_e32 vcc, s22, v0
	s_and_saveexec_b64 s[0:1], vcc
	s_cbranch_execz .LBB4720_90
; %bb.89:
	s_waitcnt lgkmcnt(0)
	flat_store_short v[2:3], v5
.LBB4720_90:
	s_or_b64 exec, exec, s[0:1]
	v_or_b32_e32 v20, 64, v0
	v_cmp_gt_u32_e32 vcc, s22, v20
	s_and_saveexec_b64 s[0:1], vcc
	s_cbranch_execz .LBB4720_92
; %bb.91:
	s_waitcnt lgkmcnt(0)
	flat_store_short v[2:3], v4 offset:128
.LBB4720_92:
	s_or_b64 exec, exec, s[0:1]
	v_or_b32_e32 v20, 0x80, v0
	v_cmp_gt_u32_e32 vcc, s22, v20
	s_and_saveexec_b64 s[0:1], vcc
	s_cbranch_execz .LBB4720_94
; %bb.93:
	s_waitcnt lgkmcnt(0)
	flat_store_short v[2:3], v7 offset:256
.LBB4720_94:
	;; [unrolled: 9-line block ×23, first 2 shown]
	s_or_b64 exec, exec, s[0:1]
	v_cmp_lt_u64_e64 s[0:1], s[10:11], 2
	s_and_b64 vcc, exec, s[0:1]
	s_cbranch_vccnz .LBB4720_144
; %bb.137:
	s_add_u32 s0, s22, -1
	s_addc_u32 s1, s23, -1
	s_add_u32 s2, 0, 0xaaaa0000
	s_addc_u32 s3, 0, 42
	s_add_i32 s3, s3, 0xaaaaa80
	s_mul_hi_u32 s9, s2, 0xffffffe8
	s_sub_i32 s9, s9, s2
	s_mul_i32 s10, s3, 0xffffffe8
	s_mul_i32 s4, s2, 0xffffffe8
	s_add_i32 s9, s9, s10
	s_mul_hi_u32 s5, s3, s4
	s_mul_i32 s8, s3, s4
	s_mul_i32 s11, s2, s9
	s_mul_hi_u32 s4, s2, s4
	s_mul_hi_u32 s10, s2, s9
	s_add_u32 s4, s4, s11
	s_addc_u32 s10, 0, s10
	s_add_u32 s4, s4, s8
	s_mul_hi_u32 s11, s3, s9
	s_addc_u32 s4, s10, s5
	s_addc_u32 s5, s11, 0
	s_mul_i32 s8, s3, s9
	s_add_u32 s4, s4, s8
	v_mov_b32_e32 v2, s4
	s_addc_u32 s5, 0, s5
	v_add_co_u32_e32 v2, vcc, s2, v2
	s_cmp_lg_u64 vcc, 0
	s_addc_u32 s2, s3, s5
	v_readfirstlane_b32 s5, v2
	s_mul_i32 s4, s0, s2
	s_mul_hi_u32 s8, s0, s5
	s_mul_hi_u32 s3, s0, s2
	s_add_u32 s4, s8, s4
	s_addc_u32 s3, 0, s3
	s_mul_hi_u32 s9, s1, s5
	s_mul_i32 s5, s1, s5
	s_add_u32 s4, s4, s5
	s_mul_hi_u32 s8, s1, s2
	s_addc_u32 s3, s3, s9
	s_addc_u32 s4, s8, 0
	s_mul_i32 s2, s1, s2
	s_add_u32 s2, s3, s2
	s_addc_u32 s3, 0, s4
	s_add_u32 s4, s2, 1
	s_addc_u32 s5, s3, 0
	s_add_u32 s8, s2, 2
	s_mul_i32 s10, s3, 24
	s_mul_hi_u32 s11, s2, 24
	s_addc_u32 s9, s3, 0
	s_add_i32 s11, s11, s10
	s_mul_i32 s10, s2, 24
	v_mov_b32_e32 v2, s10
	v_sub_co_u32_e32 v2, vcc, s0, v2
	s_cmp_lg_u64 vcc, 0
	s_subb_u32 s10, s1, s11
	v_subrev_co_u32_e32 v3, vcc, 24, v2
	s_cmp_lg_u64 vcc, 0
	s_subb_u32 s11, s10, 0
	v_readfirstlane_b32 s12, v3
	s_cmp_gt_u32 s12, 23
	s_cselect_b32 s12, -1, 0
	s_cmp_eq_u32 s11, 0
	s_cselect_b32 s11, s12, -1
	s_cmp_lg_u32 s11, 0
	s_cselect_b32 s4, s8, s4
	v_readfirstlane_b32 s8, v2
	s_cselect_b32 s5, s9, s5
	s_cmp_gt_u32 s8, 23
	s_cselect_b32 s8, -1, 0
	s_cmp_eq_u32 s10, 0
	s_cselect_b32 s8, s8, -1
	s_cmp_lg_u32 s8, 0
	s_cselect_b32 s3, s5, s3
	s_cselect_b32 s2, s4, s2
	v_cmp_eq_u64_e32 vcc, s[2:3], v[0:1]
	s_and_saveexec_b64 s[2:3], vcc
	s_cbranch_execz .LBB4720_144
; %bb.138:
	v_mul_hi_u32_u24_e32 v1, 24, v0
	v_mov_b32_e32 v2, s1
	v_sub_co_u32_e32 v0, vcc, s0, v21
	v_subb_co_u32_e32 v1, vcc, v2, v1, vcc
	v_cmp_lt_i64_e32 vcc, 11, v[0:1]
	s_mov_b64 s[0:1], 0
	s_mov_b64 s[10:11], 0
	;; [unrolled: 1-line block ×4, first 2 shown]
	s_and_saveexec_b64 s[2:3], vcc
	s_xor_b64 s[2:3], exec, s[2:3]
	s_cbranch_execnz .LBB4720_145
; %bb.139:
	s_andn2_saveexec_b64 s[2:3], s[2:3]
	s_cbranch_execnz .LBB4720_190
.LBB4720_140:
	s_or_b64 exec, exec, s[2:3]
	s_and_saveexec_b64 s[2:3], s[10:11]
	s_cbranch_execnz .LBB4720_207
.LBB4720_141:
	s_or_b64 exec, exec, s[2:3]
	s_and_saveexec_b64 s[2:3], s[8:9]
	s_cbranch_execnz .LBB4720_208
.LBB4720_142:
	s_or_b64 exec, exec, s[2:3]
	s_and_saveexec_b64 s[2:3], s[4:5]
	s_xor_b64 s[2:3], exec, s[2:3]
	s_cbranch_execnz .LBB4720_209
.LBB4720_143:
	s_or_b64 exec, exec, s[2:3]
	s_and_b64 exec, exec, s[0:1]
	s_cbranch_execnz .LBB4720_210
.LBB4720_144:
	s_endpgm
.LBB4720_145:
	v_cmp_lt_i64_e32 vcc, 17, v[0:1]
	s_and_saveexec_b64 s[12:13], vcc
	s_xor_b64 s[12:13], exec, s[12:13]
	s_cbranch_execz .LBB4720_167
; %bb.146:
	v_cmp_lt_i64_e32 vcc, 20, v[0:1]
                                        ; implicit-def: $vgpr10
	s_and_saveexec_b64 s[14:15], vcc
	s_xor_b64 s[14:15], exec, s[14:15]
	s_cbranch_execz .LBB4720_156
; %bb.147:
	v_cmp_lt_i64_e32 vcc, 21, v[0:1]
	s_mov_b64 s[16:17], 0
                                        ; implicit-def: $vgpr10
	s_and_saveexec_b64 s[4:5], vcc
	s_xor_b64 s[4:5], exec, s[4:5]
	s_cbranch_execz .LBB4720_153
; %bb.148:
	v_cmp_lt_i64_e32 vcc, 22, v[0:1]
	s_and_saveexec_b64 s[16:17], vcc
	s_xor_b64 s[16:17], exec, s[16:17]
	s_cbranch_execz .LBB4720_150
; %bb.149:
	v_mov_b32_e32 v2, 0
	s_waitcnt lgkmcnt(0)
	global_store_short v2, v29, s[6:7]
                                        ; implicit-def: $vgpr28
.LBB4720_150:
	s_or_saveexec_b64 s[16:17], s[16:17]
	s_mov_b64 s[18:19], 0
	s_xor_b64 exec, exec, s[16:17]
; %bb.151:
	s_mov_b64 s[18:19], exec
; %bb.152:
	s_or_b64 exec, exec, s[16:17]
	s_and_b64 s[16:17], s[18:19], exec
	s_waitcnt lgkmcnt(0)
	v_mov_b32_e32 v10, v28
                                        ; implicit-def: $vgpr11
.LBB4720_153:
	s_andn2_saveexec_b64 s[4:5], s[4:5]
; %bb.154:
	s_mov_b64 s[8:9], exec
                                        ; implicit-def: $vgpr10
; %bb.155:
	s_or_b64 exec, exec, s[4:5]
	s_and_b64 s[4:5], s[16:17], exec
	s_and_b64 s[8:9], s[8:9], exec
                                        ; implicit-def: $vgpr26
                                        ; implicit-def: $vgpr12
                                        ; implicit-def: $vgpr23
.LBB4720_156:
	s_andn2_saveexec_b64 s[14:15], s[14:15]
	s_cbranch_execz .LBB4720_166
; %bb.157:
	v_cmp_lt_i64_e32 vcc, 18, v[0:1]
	s_mov_b64 s[16:17], 0
	s_and_saveexec_b64 s[10:11], vcc
	s_xor_b64 s[10:11], exec, s[10:11]
	s_cbranch_execz .LBB4720_163
; %bb.158:
	v_cmp_lt_i64_e32 vcc, 19, v[0:1]
	s_and_saveexec_b64 s[18:19], vcc
	s_xor_b64 s[18:19], exec, s[18:19]
; %bb.159:
	s_mov_b64 s[16:17], exec
                                        ; implicit-def: $vgpr23
; %bb.160:
	s_andn2_saveexec_b64 s[18:19], s[18:19]
	s_cbranch_execz .LBB4720_162
; %bb.161:
	v_mov_b32_e32 v2, 0
	s_waitcnt lgkmcnt(0)
	global_store_short v2, v23, s[6:7]
                                        ; implicit-def: $vgpr12
.LBB4720_162:
	s_or_b64 exec, exec, s[18:19]
	s_and_b64 s[16:17], s[16:17], exec
                                        ; implicit-def: $vgpr26
.LBB4720_163:
	s_andn2_saveexec_b64 s[10:11], s[10:11]
	s_cbranch_execz .LBB4720_165
; %bb.164:
	v_mov_b32_e32 v2, 0
	s_waitcnt lgkmcnt(0)
	global_store_short v2, v26, s[6:7]
                                        ; implicit-def: $vgpr12
.LBB4720_165:
	s_or_b64 exec, exec, s[10:11]
	s_and_b64 s[10:11], s[16:17], exec
                                        ; implicit-def: $vgpr10
                                        ; implicit-def: $vgpr11
.LBB4720_166:
	s_or_b64 exec, exec, s[14:15]
	s_and_b64 s[4:5], s[4:5], exec
	s_and_b64 s[8:9], s[8:9], exec
	;; [unrolled: 1-line block ×3, first 2 shown]
                                        ; implicit-def: $vgpr18
                                        ; implicit-def: $vgpr13
                                        ; implicit-def: $vgpr14
                                        ; implicit-def: $vgpr24
                                        ; implicit-def: $vgpr27
.LBB4720_167:
	s_andn2_saveexec_b64 s[12:13], s[12:13]
	s_cbranch_execz .LBB4720_189
; %bb.168:
	v_cmp_lt_i64_e32 vcc, 14, v[0:1]
	s_mov_b64 s[14:15], s[4:5]
	s_and_saveexec_b64 s[16:17], vcc
	s_xor_b64 s[16:17], exec, s[16:17]
	s_cbranch_execz .LBB4720_178
; %bb.169:
	v_cmp_lt_i64_e32 vcc, 15, v[0:1]
	s_and_saveexec_b64 s[14:15], vcc
	s_xor_b64 s[14:15], exec, s[14:15]
	s_cbranch_execz .LBB4720_175
; %bb.170:
	v_cmp_lt_i64_e32 vcc, 16, v[0:1]
	s_and_saveexec_b64 s[18:19], vcc
	s_xor_b64 s[18:19], exec, s[18:19]
	s_cbranch_execz .LBB4720_172
; %bb.171:
	v_mov_b32_e32 v2, 0
	s_waitcnt lgkmcnt(0)
	global_store_short v2, v27, s[6:7]
                                        ; implicit-def: $vgpr24
.LBB4720_172:
	s_andn2_saveexec_b64 s[18:19], s[18:19]
	s_cbranch_execz .LBB4720_174
; %bb.173:
	v_mov_b32_e32 v2, 0
	s_waitcnt lgkmcnt(0)
	global_store_short v2, v24, s[6:7]
.LBB4720_174:
	s_or_b64 exec, exec, s[18:19]
                                        ; implicit-def: $vgpr10
.LBB4720_175:
	s_or_saveexec_b64 s[14:15], s[14:15]
	s_mov_b64 s[18:19], s[4:5]
	s_xor_b64 exec, exec, s[14:15]
; %bb.176:
	s_or_b64 s[18:19], s[4:5], exec
; %bb.177:
	s_or_b64 exec, exec, s[14:15]
	s_andn2_b64 s[14:15], s[4:5], exec
	s_and_b64 s[18:19], s[18:19], exec
	s_or_b64 s[14:15], s[14:15], s[18:19]
                                        ; implicit-def: $vgpr18
                                        ; implicit-def: $vgpr13
                                        ; implicit-def: $vgpr14
.LBB4720_178:
	s_or_saveexec_b64 s[16:17], s[16:17]
	s_mov_b64 s[18:19], s[8:9]
                                        ; implicit-def: $vgpr11
	s_xor_b64 exec, exec, s[16:17]
	s_cbranch_execz .LBB4720_188
; %bb.179:
	v_cmp_lt_i64_e32 vcc, 12, v[0:1]
	s_mov_b64 s[20:21], s[8:9]
	s_mov_b64 s[22:23], s[14:15]
                                        ; implicit-def: $vgpr10
                                        ; implicit-def: $vgpr11
	s_and_saveexec_b64 s[18:19], vcc
	s_xor_b64 s[18:19], exec, s[18:19]
	s_cbranch_execz .LBB4720_185
; %bb.180:
	v_cmp_lt_i64_e32 vcc, 13, v[0:1]
	s_mov_b64 s[20:21], s[14:15]
	s_and_saveexec_b64 s[22:23], vcc
	s_xor_b64 s[22:23], exec, s[22:23]
; %bb.181:
	s_or_b64 s[20:21], s[14:15], exec
                                        ; implicit-def: $vgpr13
; %bb.182:
	s_or_saveexec_b64 s[22:23], s[22:23]
	s_mov_b64 s[24:25], s[8:9]
	s_xor_b64 exec, exec, s[22:23]
; %bb.183:
	s_or_b64 s[24:25], s[8:9], exec
                                        ; implicit-def: $vgpr14
; %bb.184:
	s_or_b64 exec, exec, s[22:23]
	s_andn2_b64 s[22:23], s[14:15], exec
	s_and_b64 s[20:21], s[20:21], exec
	s_or_b64 s[22:23], s[22:23], s[20:21]
	s_andn2_b64 s[20:21], s[8:9], exec
	s_and_b64 s[24:25], s[24:25], exec
	s_or_b64 s[20:21], s[20:21], s[24:25]
	s_waitcnt lgkmcnt(0)
	v_mov_b32_e32 v10, v14
	v_mov_b32_e32 v11, v13
                                        ; implicit-def: $vgpr18
.LBB4720_185:
	s_andn2_saveexec_b64 s[18:19], s[18:19]
	s_cbranch_execz .LBB4720_187
; %bb.186:
	s_or_b64 s[20:21], s[20:21], exec
                                        ; implicit-def: $vgpr10
	s_waitcnt lgkmcnt(0)
	v_mov_b32_e32 v11, v18
.LBB4720_187:
	s_or_b64 exec, exec, s[18:19]
	s_andn2_b64 s[14:15], s[14:15], exec
	s_and_b64 s[18:19], s[22:23], exec
	s_or_b64 s[14:15], s[14:15], s[18:19]
	s_andn2_b64 s[18:19], s[8:9], exec
	s_and_b64 s[20:21], s[20:21], exec
	s_or_b64 s[18:19], s[18:19], s[20:21]
.LBB4720_188:
	s_or_b64 exec, exec, s[16:17]
	s_andn2_b64 s[4:5], s[4:5], exec
	s_and_b64 s[14:15], s[14:15], exec
	s_or_b64 s[4:5], s[4:5], s[14:15]
	s_andn2_b64 s[8:9], s[8:9], exec
	s_and_b64 s[14:15], s[18:19], exec
	s_or_b64 s[8:9], s[8:9], s[14:15]
                                        ; implicit-def: $vgpr12
.LBB4720_189:
	s_or_b64 exec, exec, s[12:13]
	s_and_b64 s[4:5], s[4:5], exec
	s_and_b64 s[8:9], s[8:9], exec
	;; [unrolled: 1-line block ×3, first 2 shown]
                                        ; implicit-def: $vgpr17
                                        ; implicit-def: $vgpr15
                                        ; implicit-def: $vgpr16
                                        ; implicit-def: $vgpr25
                                        ; implicit-def: $vgpr22
                                        ; implicit-def: $vgpr19
	s_andn2_saveexec_b64 s[2:3], s[2:3]
	s_cbranch_execz .LBB4720_140
.LBB4720_190:
	v_cmp_lt_i64_e32 vcc, 5, v[0:1]
	s_mov_b64 s[14:15], -1
	s_mov_b64 s[12:13], s[10:11]
	s_mov_b64 s[16:17], s[8:9]
	;; [unrolled: 1-line block ×3, first 2 shown]
                                        ; implicit-def: $vgpr10
                                        ; implicit-def: $vgpr11
                                        ; implicit-def: $vgpr12
	s_and_saveexec_b64 s[0:1], vcc
	s_cbranch_execz .LBB4720_206
; %bb.191:
	v_cmp_lt_i64_e32 vcc, 8, v[0:1]
	s_mov_b64 s[12:13], s[10:11]
                                        ; implicit-def: $vgpr12
	s_and_saveexec_b64 s[14:15], vcc
	s_xor_b64 s[14:15], exec, s[14:15]
	s_cbranch_execz .LBB4720_201
; %bb.192:
	v_cmp_lt_i64_e32 vcc, 9, v[0:1]
	s_and_saveexec_b64 s[12:13], vcc
	s_xor_b64 s[12:13], exec, s[12:13]
	s_cbranch_execz .LBB4720_198
; %bb.193:
	v_cmp_lt_i64_e32 vcc, 10, v[0:1]
	s_and_saveexec_b64 s[16:17], vcc
	s_xor_b64 s[16:17], exec, s[16:17]
; %bb.194:
                                        ; implicit-def: $vgpr22
; %bb.195:
	s_andn2_saveexec_b64 s[16:17], s[16:17]
	s_cbranch_execz .LBB4720_197
; %bb.196:
	s_waitcnt lgkmcnt(0)
	v_mov_b32_e32 v19, v22
.LBB4720_197:
	s_or_b64 exec, exec, s[16:17]
                                        ; implicit-def: $vgpr25
.LBB4720_198:
	s_andn2_saveexec_b64 s[12:13], s[12:13]
	s_cbranch_execz .LBB4720_200
; %bb.199:
	s_waitcnt lgkmcnt(0)
	v_mov_b32_e32 v19, v25
.LBB4720_200:
	s_or_b64 exec, exec, s[12:13]
	s_or_b64 s[12:13], s[10:11], exec
	s_waitcnt lgkmcnt(0)
	v_mov_b32_e32 v12, v19
                                        ; implicit-def: $vgpr17
                                        ; implicit-def: $vgpr15
                                        ; implicit-def: $vgpr16
.LBB4720_201:
	s_or_saveexec_b64 s[14:15], s[14:15]
	s_mov_b64 s[16:17], s[8:9]
	s_mov_b64 s[20:21], s[4:5]
                                        ; implicit-def: $vgpr10
                                        ; implicit-def: $vgpr11
	s_xor_b64 exec, exec, s[14:15]
	s_cbranch_execz .LBB4720_205
; %bb.202:
	v_cmp_lt_i64_e32 vcc, 6, v[0:1]
	s_mov_b64 s[20:21], -1
	s_mov_b64 s[18:19], s[12:13]
	s_mov_b64 s[16:17], s[8:9]
	s_and_saveexec_b64 s[22:23], vcc
; %bb.203:
	v_cmp_lt_i64_e32 vcc, 7, v[0:1]
	s_andn2_b64 s[18:19], s[12:13], exec
	s_and_b64 s[24:25], vcc, exec
	s_xor_b64 s[20:21], exec, -1
	s_or_b64 s[16:17], s[8:9], exec
	s_or_b64 s[18:19], s[18:19], s[24:25]
                                        ; implicit-def: $vgpr17
; %bb.204:
	s_or_b64 exec, exec, s[22:23]
	s_andn2_b64 s[22:23], s[4:5], exec
	s_and_b64 s[20:21], s[20:21], exec
	s_or_b64 s[20:21], s[22:23], s[20:21]
	s_andn2_b64 s[22:23], s[8:9], exec
	s_and_b64 s[16:17], s[16:17], exec
	s_andn2_b64 s[12:13], s[12:13], exec
	s_and_b64 s[18:19], s[18:19], exec
	s_or_b64 s[16:17], s[22:23], s[16:17]
	s_or_b64 s[12:13], s[12:13], s[18:19]
	s_waitcnt lgkmcnt(0)
	v_mov_b32_e32 v10, v17
	v_mov_b32_e32 v11, v15
	v_mov_b32_e32 v12, v16
.LBB4720_205:
	s_or_b64 exec, exec, s[14:15]
	s_andn2_b64 s[18:19], s[4:5], exec
	s_and_b64 s[20:21], s[20:21], exec
	s_or_b64 s[18:19], s[18:19], s[20:21]
	s_andn2_b64 s[20:21], s[8:9], exec
	s_and_b64 s[16:17], s[16:17], exec
	s_or_b64 s[16:17], s[20:21], s[16:17]
	s_andn2_b64 s[20:21], s[10:11], exec
	s_and_b64 s[12:13], s[12:13], exec
	s_xor_b64 s[14:15], exec, -1
	s_or_b64 s[12:13], s[20:21], s[12:13]
.LBB4720_206:
	s_or_b64 exec, exec, s[0:1]
	s_and_b64 s[0:1], s[14:15], exec
	s_andn2_b64 s[4:5], s[4:5], exec
	s_and_b64 s[14:15], s[18:19], exec
	s_or_b64 s[4:5], s[4:5], s[14:15]
	s_andn2_b64 s[8:9], s[8:9], exec
	s_and_b64 s[14:15], s[16:17], exec
	s_andn2_b64 s[10:11], s[10:11], exec
	s_and_b64 s[12:13], s[12:13], exec
	s_or_b64 s[8:9], s[8:9], s[14:15]
	s_or_b64 s[10:11], s[10:11], s[12:13]
	s_or_b64 exec, exec, s[2:3]
	s_and_saveexec_b64 s[2:3], s[10:11]
	s_cbranch_execz .LBB4720_141
.LBB4720_207:
	v_mov_b32_e32 v2, 0
	s_andn2_b64 s[8:9], s[8:9], exec
	s_waitcnt lgkmcnt(0)
	global_store_short v2, v12, s[6:7]
                                        ; implicit-def: $vgpr10
                                        ; implicit-def: $vgpr11
	s_or_b64 exec, exec, s[2:3]
	s_and_saveexec_b64 s[2:3], s[8:9]
	s_cbranch_execz .LBB4720_142
.LBB4720_208:
	v_mov_b32_e32 v2, 0
	s_waitcnt lgkmcnt(0)
	global_store_short v2, v11, s[6:7]
                                        ; implicit-def: $vgpr10
	s_or_b64 exec, exec, s[2:3]
	s_and_saveexec_b64 s[2:3], s[4:5]
	s_xor_b64 s[2:3], exec, s[2:3]
	s_cbranch_execz .LBB4720_143
.LBB4720_209:
	v_mov_b32_e32 v2, 0
	s_waitcnt lgkmcnt(0)
	global_store_short v2, v10, s[6:7]
	s_or_b64 exec, exec, s[2:3]
	s_and_b64 exec, exec, s[0:1]
	s_cbranch_execz .LBB4720_144
.LBB4720_210:
	v_cmp_lt_i64_e32 vcc, 2, v[0:1]
	s_and_saveexec_b64 s[0:1], vcc
	s_xor_b64 s[0:1], exec, s[0:1]
	s_cbranch_execz .LBB4720_220
; %bb.211:
	v_cmp_lt_i64_e32 vcc, 3, v[0:1]
	s_and_saveexec_b64 s[2:3], vcc
	s_xor_b64 s[2:3], exec, s[2:3]
	s_cbranch_execz .LBB4720_217
; %bb.212:
	;; [unrolled: 5-line block ×3, first 2 shown]
	v_mov_b32_e32 v0, 0
	s_waitcnt lgkmcnt(0)
	global_store_short v0, v9, s[6:7]
                                        ; implicit-def: $vgpr6
.LBB4720_214:
	s_andn2_saveexec_b64 s[4:5], s[4:5]
	s_cbranch_execz .LBB4720_216
; %bb.215:
	v_mov_b32_e32 v0, 0
	s_waitcnt lgkmcnt(0)
	global_store_short v0, v6, s[6:7]
.LBB4720_216:
	s_or_b64 exec, exec, s[4:5]
                                        ; implicit-def: $vgpr8
.LBB4720_217:
	s_andn2_saveexec_b64 s[2:3], s[2:3]
	s_cbranch_execz .LBB4720_219
; %bb.218:
	v_mov_b32_e32 v0, 0
	s_waitcnt lgkmcnt(0)
	global_store_short v0, v8, s[6:7]
.LBB4720_219:
	s_or_b64 exec, exec, s[2:3]
                                        ; implicit-def: $vgpr0_vgpr1
                                        ; implicit-def: $vgpr7
                                        ; implicit-def: $vgpr4
                                        ; implicit-def: $vgpr5
.LBB4720_220:
	s_andn2_saveexec_b64 s[0:1], s[0:1]
	s_cbranch_execz .LBB4720_144
; %bb.221:
	v_cmp_lt_i64_e32 vcc, 1, v[0:1]
	s_and_saveexec_b64 s[0:1], vcc
	s_xor_b64 s[0:1], exec, s[0:1]
	s_cbranch_execz .LBB4720_223
; %bb.222:
	v_mov_b32_e32 v0, 0
	s_waitcnt lgkmcnt(0)
	global_store_short v0, v7, s[6:7]
                                        ; implicit-def: $vgpr4
                                        ; implicit-def: $vgpr0_vgpr1
                                        ; implicit-def: $vgpr5
.LBB4720_223:
	s_andn2_saveexec_b64 s[0:1], s[0:1]
	s_cbranch_execz .LBB4720_144
; %bb.224:
	v_cmp_ne_u64_e32 vcc, 1, v[0:1]
	s_and_saveexec_b64 s[0:1], vcc
	s_xor_b64 s[0:1], exec, s[0:1]
	s_cbranch_execz .LBB4720_226
; %bb.225:
	v_mov_b32_e32 v0, 0
	s_waitcnt lgkmcnt(0)
	global_store_short v0, v5, s[6:7]
                                        ; implicit-def: $vgpr4
.LBB4720_226:
	s_andn2_saveexec_b64 s[0:1], s[0:1]
	s_cbranch_execz .LBB4720_144
; %bb.227:
	v_mov_b32_e32 v0, 0
	s_waitcnt lgkmcnt(0)
	global_store_short v0, v4, s[6:7]
	s_endpgm
	.section	.rodata,"a",@progbits
	.p2align	6, 0x0
	.amdhsa_kernel _ZN7rocprim17ROCPRIM_400000_NS6detail17trampoline_kernelINS0_14default_configENS1_20scan_config_selectorItEEZZNS1_9scan_implILNS1_25lookback_scan_determinismE0ELb0ELb0ES3_N6thrust23THRUST_200600_302600_NS6detail15normal_iteratorINS9_10device_ptrItEEEESE_tNS9_4plusIvEEtEEDaPvRmT3_T4_T5_mT6_P12ihipStream_tbENKUlT_T0_E_clISt17integral_constantIbLb0EESU_EEDaSP_SQ_EUlSP_E_NS1_11comp_targetILNS1_3genE4ELNS1_11target_archE910ELNS1_3gpuE8ELNS1_3repE0EEENS1_30default_config_static_selectorELNS0_4arch9wavefront6targetE1EEEvT1_
		.amdhsa_group_segment_fixed_size 3072
		.amdhsa_private_segment_fixed_size 0
		.amdhsa_kernarg_size 96
		.amdhsa_user_sgpr_count 6
		.amdhsa_user_sgpr_private_segment_buffer 1
		.amdhsa_user_sgpr_dispatch_ptr 0
		.amdhsa_user_sgpr_queue_ptr 0
		.amdhsa_user_sgpr_kernarg_segment_ptr 1
		.amdhsa_user_sgpr_dispatch_id 0
		.amdhsa_user_sgpr_flat_scratch_init 0
		.amdhsa_user_sgpr_kernarg_preload_length 0
		.amdhsa_user_sgpr_kernarg_preload_offset 0
		.amdhsa_user_sgpr_private_segment_size 0
		.amdhsa_uses_dynamic_stack 0
		.amdhsa_system_sgpr_private_segment_wavefront_offset 0
		.amdhsa_system_sgpr_workgroup_id_x 1
		.amdhsa_system_sgpr_workgroup_id_y 0
		.amdhsa_system_sgpr_workgroup_id_z 0
		.amdhsa_system_sgpr_workgroup_info 0
		.amdhsa_system_vgpr_workitem_id 0
		.amdhsa_next_free_vgpr 54
		.amdhsa_next_free_sgpr 26
		.amdhsa_accum_offset 56
		.amdhsa_reserve_vcc 1
		.amdhsa_reserve_flat_scratch 0
		.amdhsa_float_round_mode_32 0
		.amdhsa_float_round_mode_16_64 0
		.amdhsa_float_denorm_mode_32 3
		.amdhsa_float_denorm_mode_16_64 3
		.amdhsa_dx10_clamp 1
		.amdhsa_ieee_mode 1
		.amdhsa_fp16_overflow 0
		.amdhsa_tg_split 0
		.amdhsa_exception_fp_ieee_invalid_op 0
		.amdhsa_exception_fp_denorm_src 0
		.amdhsa_exception_fp_ieee_div_zero 0
		.amdhsa_exception_fp_ieee_overflow 0
		.amdhsa_exception_fp_ieee_underflow 0
		.amdhsa_exception_fp_ieee_inexact 0
		.amdhsa_exception_int_div_zero 0
	.end_amdhsa_kernel
	.section	.text._ZN7rocprim17ROCPRIM_400000_NS6detail17trampoline_kernelINS0_14default_configENS1_20scan_config_selectorItEEZZNS1_9scan_implILNS1_25lookback_scan_determinismE0ELb0ELb0ES3_N6thrust23THRUST_200600_302600_NS6detail15normal_iteratorINS9_10device_ptrItEEEESE_tNS9_4plusIvEEtEEDaPvRmT3_T4_T5_mT6_P12ihipStream_tbENKUlT_T0_E_clISt17integral_constantIbLb0EESU_EEDaSP_SQ_EUlSP_E_NS1_11comp_targetILNS1_3genE4ELNS1_11target_archE910ELNS1_3gpuE8ELNS1_3repE0EEENS1_30default_config_static_selectorELNS0_4arch9wavefront6targetE1EEEvT1_,"axG",@progbits,_ZN7rocprim17ROCPRIM_400000_NS6detail17trampoline_kernelINS0_14default_configENS1_20scan_config_selectorItEEZZNS1_9scan_implILNS1_25lookback_scan_determinismE0ELb0ELb0ES3_N6thrust23THRUST_200600_302600_NS6detail15normal_iteratorINS9_10device_ptrItEEEESE_tNS9_4plusIvEEtEEDaPvRmT3_T4_T5_mT6_P12ihipStream_tbENKUlT_T0_E_clISt17integral_constantIbLb0EESU_EEDaSP_SQ_EUlSP_E_NS1_11comp_targetILNS1_3genE4ELNS1_11target_archE910ELNS1_3gpuE8ELNS1_3repE0EEENS1_30default_config_static_selectorELNS0_4arch9wavefront6targetE1EEEvT1_,comdat
.Lfunc_end4720:
	.size	_ZN7rocprim17ROCPRIM_400000_NS6detail17trampoline_kernelINS0_14default_configENS1_20scan_config_selectorItEEZZNS1_9scan_implILNS1_25lookback_scan_determinismE0ELb0ELb0ES3_N6thrust23THRUST_200600_302600_NS6detail15normal_iteratorINS9_10device_ptrItEEEESE_tNS9_4plusIvEEtEEDaPvRmT3_T4_T5_mT6_P12ihipStream_tbENKUlT_T0_E_clISt17integral_constantIbLb0EESU_EEDaSP_SQ_EUlSP_E_NS1_11comp_targetILNS1_3genE4ELNS1_11target_archE910ELNS1_3gpuE8ELNS1_3repE0EEENS1_30default_config_static_selectorELNS0_4arch9wavefront6targetE1EEEvT1_, .Lfunc_end4720-_ZN7rocprim17ROCPRIM_400000_NS6detail17trampoline_kernelINS0_14default_configENS1_20scan_config_selectorItEEZZNS1_9scan_implILNS1_25lookback_scan_determinismE0ELb0ELb0ES3_N6thrust23THRUST_200600_302600_NS6detail15normal_iteratorINS9_10device_ptrItEEEESE_tNS9_4plusIvEEtEEDaPvRmT3_T4_T5_mT6_P12ihipStream_tbENKUlT_T0_E_clISt17integral_constantIbLb0EESU_EEDaSP_SQ_EUlSP_E_NS1_11comp_targetILNS1_3genE4ELNS1_11target_archE910ELNS1_3gpuE8ELNS1_3repE0EEENS1_30default_config_static_selectorELNS0_4arch9wavefront6targetE1EEEvT1_
                                        ; -- End function
	.section	.AMDGPU.csdata,"",@progbits
; Kernel info:
; codeLenInByte = 7868
; NumSgprs: 30
; NumVgprs: 54
; NumAgprs: 0
; TotalNumVgprs: 54
; ScratchSize: 0
; MemoryBound: 0
; FloatMode: 240
; IeeeMode: 1
; LDSByteSize: 3072 bytes/workgroup (compile time only)
; SGPRBlocks: 3
; VGPRBlocks: 6
; NumSGPRsForWavesPerEU: 30
; NumVGPRsForWavesPerEU: 54
; AccumOffset: 56
; Occupancy: 6
; WaveLimiterHint : 1
; COMPUTE_PGM_RSRC2:SCRATCH_EN: 0
; COMPUTE_PGM_RSRC2:USER_SGPR: 6
; COMPUTE_PGM_RSRC2:TRAP_HANDLER: 0
; COMPUTE_PGM_RSRC2:TGID_X_EN: 1
; COMPUTE_PGM_RSRC2:TGID_Y_EN: 0
; COMPUTE_PGM_RSRC2:TGID_Z_EN: 0
; COMPUTE_PGM_RSRC2:TIDIG_COMP_CNT: 0
; COMPUTE_PGM_RSRC3_GFX90A:ACCUM_OFFSET: 13
; COMPUTE_PGM_RSRC3_GFX90A:TG_SPLIT: 0
	.section	.text._ZN7rocprim17ROCPRIM_400000_NS6detail17trampoline_kernelINS0_14default_configENS1_20scan_config_selectorItEEZZNS1_9scan_implILNS1_25lookback_scan_determinismE0ELb0ELb0ES3_N6thrust23THRUST_200600_302600_NS6detail15normal_iteratorINS9_10device_ptrItEEEESE_tNS9_4plusIvEEtEEDaPvRmT3_T4_T5_mT6_P12ihipStream_tbENKUlT_T0_E_clISt17integral_constantIbLb0EESU_EEDaSP_SQ_EUlSP_E_NS1_11comp_targetILNS1_3genE3ELNS1_11target_archE908ELNS1_3gpuE7ELNS1_3repE0EEENS1_30default_config_static_selectorELNS0_4arch9wavefront6targetE1EEEvT1_,"axG",@progbits,_ZN7rocprim17ROCPRIM_400000_NS6detail17trampoline_kernelINS0_14default_configENS1_20scan_config_selectorItEEZZNS1_9scan_implILNS1_25lookback_scan_determinismE0ELb0ELb0ES3_N6thrust23THRUST_200600_302600_NS6detail15normal_iteratorINS9_10device_ptrItEEEESE_tNS9_4plusIvEEtEEDaPvRmT3_T4_T5_mT6_P12ihipStream_tbENKUlT_T0_E_clISt17integral_constantIbLb0EESU_EEDaSP_SQ_EUlSP_E_NS1_11comp_targetILNS1_3genE3ELNS1_11target_archE908ELNS1_3gpuE7ELNS1_3repE0EEENS1_30default_config_static_selectorELNS0_4arch9wavefront6targetE1EEEvT1_,comdat
	.protected	_ZN7rocprim17ROCPRIM_400000_NS6detail17trampoline_kernelINS0_14default_configENS1_20scan_config_selectorItEEZZNS1_9scan_implILNS1_25lookback_scan_determinismE0ELb0ELb0ES3_N6thrust23THRUST_200600_302600_NS6detail15normal_iteratorINS9_10device_ptrItEEEESE_tNS9_4plusIvEEtEEDaPvRmT3_T4_T5_mT6_P12ihipStream_tbENKUlT_T0_E_clISt17integral_constantIbLb0EESU_EEDaSP_SQ_EUlSP_E_NS1_11comp_targetILNS1_3genE3ELNS1_11target_archE908ELNS1_3gpuE7ELNS1_3repE0EEENS1_30default_config_static_selectorELNS0_4arch9wavefront6targetE1EEEvT1_ ; -- Begin function _ZN7rocprim17ROCPRIM_400000_NS6detail17trampoline_kernelINS0_14default_configENS1_20scan_config_selectorItEEZZNS1_9scan_implILNS1_25lookback_scan_determinismE0ELb0ELb0ES3_N6thrust23THRUST_200600_302600_NS6detail15normal_iteratorINS9_10device_ptrItEEEESE_tNS9_4plusIvEEtEEDaPvRmT3_T4_T5_mT6_P12ihipStream_tbENKUlT_T0_E_clISt17integral_constantIbLb0EESU_EEDaSP_SQ_EUlSP_E_NS1_11comp_targetILNS1_3genE3ELNS1_11target_archE908ELNS1_3gpuE7ELNS1_3repE0EEENS1_30default_config_static_selectorELNS0_4arch9wavefront6targetE1EEEvT1_
	.globl	_ZN7rocprim17ROCPRIM_400000_NS6detail17trampoline_kernelINS0_14default_configENS1_20scan_config_selectorItEEZZNS1_9scan_implILNS1_25lookback_scan_determinismE0ELb0ELb0ES3_N6thrust23THRUST_200600_302600_NS6detail15normal_iteratorINS9_10device_ptrItEEEESE_tNS9_4plusIvEEtEEDaPvRmT3_T4_T5_mT6_P12ihipStream_tbENKUlT_T0_E_clISt17integral_constantIbLb0EESU_EEDaSP_SQ_EUlSP_E_NS1_11comp_targetILNS1_3genE3ELNS1_11target_archE908ELNS1_3gpuE7ELNS1_3repE0EEENS1_30default_config_static_selectorELNS0_4arch9wavefront6targetE1EEEvT1_
	.p2align	8
	.type	_ZN7rocprim17ROCPRIM_400000_NS6detail17trampoline_kernelINS0_14default_configENS1_20scan_config_selectorItEEZZNS1_9scan_implILNS1_25lookback_scan_determinismE0ELb0ELb0ES3_N6thrust23THRUST_200600_302600_NS6detail15normal_iteratorINS9_10device_ptrItEEEESE_tNS9_4plusIvEEtEEDaPvRmT3_T4_T5_mT6_P12ihipStream_tbENKUlT_T0_E_clISt17integral_constantIbLb0EESU_EEDaSP_SQ_EUlSP_E_NS1_11comp_targetILNS1_3genE3ELNS1_11target_archE908ELNS1_3gpuE7ELNS1_3repE0EEENS1_30default_config_static_selectorELNS0_4arch9wavefront6targetE1EEEvT1_,@function
_ZN7rocprim17ROCPRIM_400000_NS6detail17trampoline_kernelINS0_14default_configENS1_20scan_config_selectorItEEZZNS1_9scan_implILNS1_25lookback_scan_determinismE0ELb0ELb0ES3_N6thrust23THRUST_200600_302600_NS6detail15normal_iteratorINS9_10device_ptrItEEEESE_tNS9_4plusIvEEtEEDaPvRmT3_T4_T5_mT6_P12ihipStream_tbENKUlT_T0_E_clISt17integral_constantIbLb0EESU_EEDaSP_SQ_EUlSP_E_NS1_11comp_targetILNS1_3genE3ELNS1_11target_archE908ELNS1_3gpuE7ELNS1_3repE0EEENS1_30default_config_static_selectorELNS0_4arch9wavefront6targetE1EEEvT1_: ; @_ZN7rocprim17ROCPRIM_400000_NS6detail17trampoline_kernelINS0_14default_configENS1_20scan_config_selectorItEEZZNS1_9scan_implILNS1_25lookback_scan_determinismE0ELb0ELb0ES3_N6thrust23THRUST_200600_302600_NS6detail15normal_iteratorINS9_10device_ptrItEEEESE_tNS9_4plusIvEEtEEDaPvRmT3_T4_T5_mT6_P12ihipStream_tbENKUlT_T0_E_clISt17integral_constantIbLb0EESU_EEDaSP_SQ_EUlSP_E_NS1_11comp_targetILNS1_3genE3ELNS1_11target_archE908ELNS1_3gpuE7ELNS1_3repE0EEENS1_30default_config_static_selectorELNS0_4arch9wavefront6targetE1EEEvT1_
; %bb.0:
	.section	.rodata,"a",@progbits
	.p2align	6, 0x0
	.amdhsa_kernel _ZN7rocprim17ROCPRIM_400000_NS6detail17trampoline_kernelINS0_14default_configENS1_20scan_config_selectorItEEZZNS1_9scan_implILNS1_25lookback_scan_determinismE0ELb0ELb0ES3_N6thrust23THRUST_200600_302600_NS6detail15normal_iteratorINS9_10device_ptrItEEEESE_tNS9_4plusIvEEtEEDaPvRmT3_T4_T5_mT6_P12ihipStream_tbENKUlT_T0_E_clISt17integral_constantIbLb0EESU_EEDaSP_SQ_EUlSP_E_NS1_11comp_targetILNS1_3genE3ELNS1_11target_archE908ELNS1_3gpuE7ELNS1_3repE0EEENS1_30default_config_static_selectorELNS0_4arch9wavefront6targetE1EEEvT1_
		.amdhsa_group_segment_fixed_size 0
		.amdhsa_private_segment_fixed_size 0
		.amdhsa_kernarg_size 96
		.amdhsa_user_sgpr_count 6
		.amdhsa_user_sgpr_private_segment_buffer 1
		.amdhsa_user_sgpr_dispatch_ptr 0
		.amdhsa_user_sgpr_queue_ptr 0
		.amdhsa_user_sgpr_kernarg_segment_ptr 1
		.amdhsa_user_sgpr_dispatch_id 0
		.amdhsa_user_sgpr_flat_scratch_init 0
		.amdhsa_user_sgpr_kernarg_preload_length 0
		.amdhsa_user_sgpr_kernarg_preload_offset 0
		.amdhsa_user_sgpr_private_segment_size 0
		.amdhsa_uses_dynamic_stack 0
		.amdhsa_system_sgpr_private_segment_wavefront_offset 0
		.amdhsa_system_sgpr_workgroup_id_x 1
		.amdhsa_system_sgpr_workgroup_id_y 0
		.amdhsa_system_sgpr_workgroup_id_z 0
		.amdhsa_system_sgpr_workgroup_info 0
		.amdhsa_system_vgpr_workitem_id 0
		.amdhsa_next_free_vgpr 1
		.amdhsa_next_free_sgpr 0
		.amdhsa_accum_offset 4
		.amdhsa_reserve_vcc 0
		.amdhsa_reserve_flat_scratch 0
		.amdhsa_float_round_mode_32 0
		.amdhsa_float_round_mode_16_64 0
		.amdhsa_float_denorm_mode_32 3
		.amdhsa_float_denorm_mode_16_64 3
		.amdhsa_dx10_clamp 1
		.amdhsa_ieee_mode 1
		.amdhsa_fp16_overflow 0
		.amdhsa_tg_split 0
		.amdhsa_exception_fp_ieee_invalid_op 0
		.amdhsa_exception_fp_denorm_src 0
		.amdhsa_exception_fp_ieee_div_zero 0
		.amdhsa_exception_fp_ieee_overflow 0
		.amdhsa_exception_fp_ieee_underflow 0
		.amdhsa_exception_fp_ieee_inexact 0
		.amdhsa_exception_int_div_zero 0
	.end_amdhsa_kernel
	.section	.text._ZN7rocprim17ROCPRIM_400000_NS6detail17trampoline_kernelINS0_14default_configENS1_20scan_config_selectorItEEZZNS1_9scan_implILNS1_25lookback_scan_determinismE0ELb0ELb0ES3_N6thrust23THRUST_200600_302600_NS6detail15normal_iteratorINS9_10device_ptrItEEEESE_tNS9_4plusIvEEtEEDaPvRmT3_T4_T5_mT6_P12ihipStream_tbENKUlT_T0_E_clISt17integral_constantIbLb0EESU_EEDaSP_SQ_EUlSP_E_NS1_11comp_targetILNS1_3genE3ELNS1_11target_archE908ELNS1_3gpuE7ELNS1_3repE0EEENS1_30default_config_static_selectorELNS0_4arch9wavefront6targetE1EEEvT1_,"axG",@progbits,_ZN7rocprim17ROCPRIM_400000_NS6detail17trampoline_kernelINS0_14default_configENS1_20scan_config_selectorItEEZZNS1_9scan_implILNS1_25lookback_scan_determinismE0ELb0ELb0ES3_N6thrust23THRUST_200600_302600_NS6detail15normal_iteratorINS9_10device_ptrItEEEESE_tNS9_4plusIvEEtEEDaPvRmT3_T4_T5_mT6_P12ihipStream_tbENKUlT_T0_E_clISt17integral_constantIbLb0EESU_EEDaSP_SQ_EUlSP_E_NS1_11comp_targetILNS1_3genE3ELNS1_11target_archE908ELNS1_3gpuE7ELNS1_3repE0EEENS1_30default_config_static_selectorELNS0_4arch9wavefront6targetE1EEEvT1_,comdat
.Lfunc_end4721:
	.size	_ZN7rocprim17ROCPRIM_400000_NS6detail17trampoline_kernelINS0_14default_configENS1_20scan_config_selectorItEEZZNS1_9scan_implILNS1_25lookback_scan_determinismE0ELb0ELb0ES3_N6thrust23THRUST_200600_302600_NS6detail15normal_iteratorINS9_10device_ptrItEEEESE_tNS9_4plusIvEEtEEDaPvRmT3_T4_T5_mT6_P12ihipStream_tbENKUlT_T0_E_clISt17integral_constantIbLb0EESU_EEDaSP_SQ_EUlSP_E_NS1_11comp_targetILNS1_3genE3ELNS1_11target_archE908ELNS1_3gpuE7ELNS1_3repE0EEENS1_30default_config_static_selectorELNS0_4arch9wavefront6targetE1EEEvT1_, .Lfunc_end4721-_ZN7rocprim17ROCPRIM_400000_NS6detail17trampoline_kernelINS0_14default_configENS1_20scan_config_selectorItEEZZNS1_9scan_implILNS1_25lookback_scan_determinismE0ELb0ELb0ES3_N6thrust23THRUST_200600_302600_NS6detail15normal_iteratorINS9_10device_ptrItEEEESE_tNS9_4plusIvEEtEEDaPvRmT3_T4_T5_mT6_P12ihipStream_tbENKUlT_T0_E_clISt17integral_constantIbLb0EESU_EEDaSP_SQ_EUlSP_E_NS1_11comp_targetILNS1_3genE3ELNS1_11target_archE908ELNS1_3gpuE7ELNS1_3repE0EEENS1_30default_config_static_selectorELNS0_4arch9wavefront6targetE1EEEvT1_
                                        ; -- End function
	.section	.AMDGPU.csdata,"",@progbits
; Kernel info:
; codeLenInByte = 0
; NumSgprs: 4
; NumVgprs: 0
; NumAgprs: 0
; TotalNumVgprs: 0
; ScratchSize: 0
; MemoryBound: 0
; FloatMode: 240
; IeeeMode: 1
; LDSByteSize: 0 bytes/workgroup (compile time only)
; SGPRBlocks: 0
; VGPRBlocks: 0
; NumSGPRsForWavesPerEU: 4
; NumVGPRsForWavesPerEU: 1
; AccumOffset: 4
; Occupancy: 8
; WaveLimiterHint : 0
; COMPUTE_PGM_RSRC2:SCRATCH_EN: 0
; COMPUTE_PGM_RSRC2:USER_SGPR: 6
; COMPUTE_PGM_RSRC2:TRAP_HANDLER: 0
; COMPUTE_PGM_RSRC2:TGID_X_EN: 1
; COMPUTE_PGM_RSRC2:TGID_Y_EN: 0
; COMPUTE_PGM_RSRC2:TGID_Z_EN: 0
; COMPUTE_PGM_RSRC2:TIDIG_COMP_CNT: 0
; COMPUTE_PGM_RSRC3_GFX90A:ACCUM_OFFSET: 0
; COMPUTE_PGM_RSRC3_GFX90A:TG_SPLIT: 0
	.section	.text._ZN7rocprim17ROCPRIM_400000_NS6detail17trampoline_kernelINS0_14default_configENS1_20scan_config_selectorItEEZZNS1_9scan_implILNS1_25lookback_scan_determinismE0ELb0ELb0ES3_N6thrust23THRUST_200600_302600_NS6detail15normal_iteratorINS9_10device_ptrItEEEESE_tNS9_4plusIvEEtEEDaPvRmT3_T4_T5_mT6_P12ihipStream_tbENKUlT_T0_E_clISt17integral_constantIbLb0EESU_EEDaSP_SQ_EUlSP_E_NS1_11comp_targetILNS1_3genE2ELNS1_11target_archE906ELNS1_3gpuE6ELNS1_3repE0EEENS1_30default_config_static_selectorELNS0_4arch9wavefront6targetE1EEEvT1_,"axG",@progbits,_ZN7rocprim17ROCPRIM_400000_NS6detail17trampoline_kernelINS0_14default_configENS1_20scan_config_selectorItEEZZNS1_9scan_implILNS1_25lookback_scan_determinismE0ELb0ELb0ES3_N6thrust23THRUST_200600_302600_NS6detail15normal_iteratorINS9_10device_ptrItEEEESE_tNS9_4plusIvEEtEEDaPvRmT3_T4_T5_mT6_P12ihipStream_tbENKUlT_T0_E_clISt17integral_constantIbLb0EESU_EEDaSP_SQ_EUlSP_E_NS1_11comp_targetILNS1_3genE2ELNS1_11target_archE906ELNS1_3gpuE6ELNS1_3repE0EEENS1_30default_config_static_selectorELNS0_4arch9wavefront6targetE1EEEvT1_,comdat
	.protected	_ZN7rocprim17ROCPRIM_400000_NS6detail17trampoline_kernelINS0_14default_configENS1_20scan_config_selectorItEEZZNS1_9scan_implILNS1_25lookback_scan_determinismE0ELb0ELb0ES3_N6thrust23THRUST_200600_302600_NS6detail15normal_iteratorINS9_10device_ptrItEEEESE_tNS9_4plusIvEEtEEDaPvRmT3_T4_T5_mT6_P12ihipStream_tbENKUlT_T0_E_clISt17integral_constantIbLb0EESU_EEDaSP_SQ_EUlSP_E_NS1_11comp_targetILNS1_3genE2ELNS1_11target_archE906ELNS1_3gpuE6ELNS1_3repE0EEENS1_30default_config_static_selectorELNS0_4arch9wavefront6targetE1EEEvT1_ ; -- Begin function _ZN7rocprim17ROCPRIM_400000_NS6detail17trampoline_kernelINS0_14default_configENS1_20scan_config_selectorItEEZZNS1_9scan_implILNS1_25lookback_scan_determinismE0ELb0ELb0ES3_N6thrust23THRUST_200600_302600_NS6detail15normal_iteratorINS9_10device_ptrItEEEESE_tNS9_4plusIvEEtEEDaPvRmT3_T4_T5_mT6_P12ihipStream_tbENKUlT_T0_E_clISt17integral_constantIbLb0EESU_EEDaSP_SQ_EUlSP_E_NS1_11comp_targetILNS1_3genE2ELNS1_11target_archE906ELNS1_3gpuE6ELNS1_3repE0EEENS1_30default_config_static_selectorELNS0_4arch9wavefront6targetE1EEEvT1_
	.globl	_ZN7rocprim17ROCPRIM_400000_NS6detail17trampoline_kernelINS0_14default_configENS1_20scan_config_selectorItEEZZNS1_9scan_implILNS1_25lookback_scan_determinismE0ELb0ELb0ES3_N6thrust23THRUST_200600_302600_NS6detail15normal_iteratorINS9_10device_ptrItEEEESE_tNS9_4plusIvEEtEEDaPvRmT3_T4_T5_mT6_P12ihipStream_tbENKUlT_T0_E_clISt17integral_constantIbLb0EESU_EEDaSP_SQ_EUlSP_E_NS1_11comp_targetILNS1_3genE2ELNS1_11target_archE906ELNS1_3gpuE6ELNS1_3repE0EEENS1_30default_config_static_selectorELNS0_4arch9wavefront6targetE1EEEvT1_
	.p2align	8
	.type	_ZN7rocprim17ROCPRIM_400000_NS6detail17trampoline_kernelINS0_14default_configENS1_20scan_config_selectorItEEZZNS1_9scan_implILNS1_25lookback_scan_determinismE0ELb0ELb0ES3_N6thrust23THRUST_200600_302600_NS6detail15normal_iteratorINS9_10device_ptrItEEEESE_tNS9_4plusIvEEtEEDaPvRmT3_T4_T5_mT6_P12ihipStream_tbENKUlT_T0_E_clISt17integral_constantIbLb0EESU_EEDaSP_SQ_EUlSP_E_NS1_11comp_targetILNS1_3genE2ELNS1_11target_archE906ELNS1_3gpuE6ELNS1_3repE0EEENS1_30default_config_static_selectorELNS0_4arch9wavefront6targetE1EEEvT1_,@function
_ZN7rocprim17ROCPRIM_400000_NS6detail17trampoline_kernelINS0_14default_configENS1_20scan_config_selectorItEEZZNS1_9scan_implILNS1_25lookback_scan_determinismE0ELb0ELb0ES3_N6thrust23THRUST_200600_302600_NS6detail15normal_iteratorINS9_10device_ptrItEEEESE_tNS9_4plusIvEEtEEDaPvRmT3_T4_T5_mT6_P12ihipStream_tbENKUlT_T0_E_clISt17integral_constantIbLb0EESU_EEDaSP_SQ_EUlSP_E_NS1_11comp_targetILNS1_3genE2ELNS1_11target_archE906ELNS1_3gpuE6ELNS1_3repE0EEENS1_30default_config_static_selectorELNS0_4arch9wavefront6targetE1EEEvT1_: ; @_ZN7rocprim17ROCPRIM_400000_NS6detail17trampoline_kernelINS0_14default_configENS1_20scan_config_selectorItEEZZNS1_9scan_implILNS1_25lookback_scan_determinismE0ELb0ELb0ES3_N6thrust23THRUST_200600_302600_NS6detail15normal_iteratorINS9_10device_ptrItEEEESE_tNS9_4plusIvEEtEEDaPvRmT3_T4_T5_mT6_P12ihipStream_tbENKUlT_T0_E_clISt17integral_constantIbLb0EESU_EEDaSP_SQ_EUlSP_E_NS1_11comp_targetILNS1_3genE2ELNS1_11target_archE906ELNS1_3gpuE6ELNS1_3repE0EEENS1_30default_config_static_selectorELNS0_4arch9wavefront6targetE1EEEvT1_
; %bb.0:
	.section	.rodata,"a",@progbits
	.p2align	6, 0x0
	.amdhsa_kernel _ZN7rocprim17ROCPRIM_400000_NS6detail17trampoline_kernelINS0_14default_configENS1_20scan_config_selectorItEEZZNS1_9scan_implILNS1_25lookback_scan_determinismE0ELb0ELb0ES3_N6thrust23THRUST_200600_302600_NS6detail15normal_iteratorINS9_10device_ptrItEEEESE_tNS9_4plusIvEEtEEDaPvRmT3_T4_T5_mT6_P12ihipStream_tbENKUlT_T0_E_clISt17integral_constantIbLb0EESU_EEDaSP_SQ_EUlSP_E_NS1_11comp_targetILNS1_3genE2ELNS1_11target_archE906ELNS1_3gpuE6ELNS1_3repE0EEENS1_30default_config_static_selectorELNS0_4arch9wavefront6targetE1EEEvT1_
		.amdhsa_group_segment_fixed_size 0
		.amdhsa_private_segment_fixed_size 0
		.amdhsa_kernarg_size 96
		.amdhsa_user_sgpr_count 6
		.amdhsa_user_sgpr_private_segment_buffer 1
		.amdhsa_user_sgpr_dispatch_ptr 0
		.amdhsa_user_sgpr_queue_ptr 0
		.amdhsa_user_sgpr_kernarg_segment_ptr 1
		.amdhsa_user_sgpr_dispatch_id 0
		.amdhsa_user_sgpr_flat_scratch_init 0
		.amdhsa_user_sgpr_kernarg_preload_length 0
		.amdhsa_user_sgpr_kernarg_preload_offset 0
		.amdhsa_user_sgpr_private_segment_size 0
		.amdhsa_uses_dynamic_stack 0
		.amdhsa_system_sgpr_private_segment_wavefront_offset 0
		.amdhsa_system_sgpr_workgroup_id_x 1
		.amdhsa_system_sgpr_workgroup_id_y 0
		.amdhsa_system_sgpr_workgroup_id_z 0
		.amdhsa_system_sgpr_workgroup_info 0
		.amdhsa_system_vgpr_workitem_id 0
		.amdhsa_next_free_vgpr 1
		.amdhsa_next_free_sgpr 0
		.amdhsa_accum_offset 4
		.amdhsa_reserve_vcc 0
		.amdhsa_reserve_flat_scratch 0
		.amdhsa_float_round_mode_32 0
		.amdhsa_float_round_mode_16_64 0
		.amdhsa_float_denorm_mode_32 3
		.amdhsa_float_denorm_mode_16_64 3
		.amdhsa_dx10_clamp 1
		.amdhsa_ieee_mode 1
		.amdhsa_fp16_overflow 0
		.amdhsa_tg_split 0
		.amdhsa_exception_fp_ieee_invalid_op 0
		.amdhsa_exception_fp_denorm_src 0
		.amdhsa_exception_fp_ieee_div_zero 0
		.amdhsa_exception_fp_ieee_overflow 0
		.amdhsa_exception_fp_ieee_underflow 0
		.amdhsa_exception_fp_ieee_inexact 0
		.amdhsa_exception_int_div_zero 0
	.end_amdhsa_kernel
	.section	.text._ZN7rocprim17ROCPRIM_400000_NS6detail17trampoline_kernelINS0_14default_configENS1_20scan_config_selectorItEEZZNS1_9scan_implILNS1_25lookback_scan_determinismE0ELb0ELb0ES3_N6thrust23THRUST_200600_302600_NS6detail15normal_iteratorINS9_10device_ptrItEEEESE_tNS9_4plusIvEEtEEDaPvRmT3_T4_T5_mT6_P12ihipStream_tbENKUlT_T0_E_clISt17integral_constantIbLb0EESU_EEDaSP_SQ_EUlSP_E_NS1_11comp_targetILNS1_3genE2ELNS1_11target_archE906ELNS1_3gpuE6ELNS1_3repE0EEENS1_30default_config_static_selectorELNS0_4arch9wavefront6targetE1EEEvT1_,"axG",@progbits,_ZN7rocprim17ROCPRIM_400000_NS6detail17trampoline_kernelINS0_14default_configENS1_20scan_config_selectorItEEZZNS1_9scan_implILNS1_25lookback_scan_determinismE0ELb0ELb0ES3_N6thrust23THRUST_200600_302600_NS6detail15normal_iteratorINS9_10device_ptrItEEEESE_tNS9_4plusIvEEtEEDaPvRmT3_T4_T5_mT6_P12ihipStream_tbENKUlT_T0_E_clISt17integral_constantIbLb0EESU_EEDaSP_SQ_EUlSP_E_NS1_11comp_targetILNS1_3genE2ELNS1_11target_archE906ELNS1_3gpuE6ELNS1_3repE0EEENS1_30default_config_static_selectorELNS0_4arch9wavefront6targetE1EEEvT1_,comdat
.Lfunc_end4722:
	.size	_ZN7rocprim17ROCPRIM_400000_NS6detail17trampoline_kernelINS0_14default_configENS1_20scan_config_selectorItEEZZNS1_9scan_implILNS1_25lookback_scan_determinismE0ELb0ELb0ES3_N6thrust23THRUST_200600_302600_NS6detail15normal_iteratorINS9_10device_ptrItEEEESE_tNS9_4plusIvEEtEEDaPvRmT3_T4_T5_mT6_P12ihipStream_tbENKUlT_T0_E_clISt17integral_constantIbLb0EESU_EEDaSP_SQ_EUlSP_E_NS1_11comp_targetILNS1_3genE2ELNS1_11target_archE906ELNS1_3gpuE6ELNS1_3repE0EEENS1_30default_config_static_selectorELNS0_4arch9wavefront6targetE1EEEvT1_, .Lfunc_end4722-_ZN7rocprim17ROCPRIM_400000_NS6detail17trampoline_kernelINS0_14default_configENS1_20scan_config_selectorItEEZZNS1_9scan_implILNS1_25lookback_scan_determinismE0ELb0ELb0ES3_N6thrust23THRUST_200600_302600_NS6detail15normal_iteratorINS9_10device_ptrItEEEESE_tNS9_4plusIvEEtEEDaPvRmT3_T4_T5_mT6_P12ihipStream_tbENKUlT_T0_E_clISt17integral_constantIbLb0EESU_EEDaSP_SQ_EUlSP_E_NS1_11comp_targetILNS1_3genE2ELNS1_11target_archE906ELNS1_3gpuE6ELNS1_3repE0EEENS1_30default_config_static_selectorELNS0_4arch9wavefront6targetE1EEEvT1_
                                        ; -- End function
	.section	.AMDGPU.csdata,"",@progbits
; Kernel info:
; codeLenInByte = 0
; NumSgprs: 4
; NumVgprs: 0
; NumAgprs: 0
; TotalNumVgprs: 0
; ScratchSize: 0
; MemoryBound: 0
; FloatMode: 240
; IeeeMode: 1
; LDSByteSize: 0 bytes/workgroup (compile time only)
; SGPRBlocks: 0
; VGPRBlocks: 0
; NumSGPRsForWavesPerEU: 4
; NumVGPRsForWavesPerEU: 1
; AccumOffset: 4
; Occupancy: 8
; WaveLimiterHint : 0
; COMPUTE_PGM_RSRC2:SCRATCH_EN: 0
; COMPUTE_PGM_RSRC2:USER_SGPR: 6
; COMPUTE_PGM_RSRC2:TRAP_HANDLER: 0
; COMPUTE_PGM_RSRC2:TGID_X_EN: 1
; COMPUTE_PGM_RSRC2:TGID_Y_EN: 0
; COMPUTE_PGM_RSRC2:TGID_Z_EN: 0
; COMPUTE_PGM_RSRC2:TIDIG_COMP_CNT: 0
; COMPUTE_PGM_RSRC3_GFX90A:ACCUM_OFFSET: 0
; COMPUTE_PGM_RSRC3_GFX90A:TG_SPLIT: 0
	.section	.text._ZN7rocprim17ROCPRIM_400000_NS6detail17trampoline_kernelINS0_14default_configENS1_20scan_config_selectorItEEZZNS1_9scan_implILNS1_25lookback_scan_determinismE0ELb0ELb0ES3_N6thrust23THRUST_200600_302600_NS6detail15normal_iteratorINS9_10device_ptrItEEEESE_tNS9_4plusIvEEtEEDaPvRmT3_T4_T5_mT6_P12ihipStream_tbENKUlT_T0_E_clISt17integral_constantIbLb0EESU_EEDaSP_SQ_EUlSP_E_NS1_11comp_targetILNS1_3genE10ELNS1_11target_archE1201ELNS1_3gpuE5ELNS1_3repE0EEENS1_30default_config_static_selectorELNS0_4arch9wavefront6targetE1EEEvT1_,"axG",@progbits,_ZN7rocprim17ROCPRIM_400000_NS6detail17trampoline_kernelINS0_14default_configENS1_20scan_config_selectorItEEZZNS1_9scan_implILNS1_25lookback_scan_determinismE0ELb0ELb0ES3_N6thrust23THRUST_200600_302600_NS6detail15normal_iteratorINS9_10device_ptrItEEEESE_tNS9_4plusIvEEtEEDaPvRmT3_T4_T5_mT6_P12ihipStream_tbENKUlT_T0_E_clISt17integral_constantIbLb0EESU_EEDaSP_SQ_EUlSP_E_NS1_11comp_targetILNS1_3genE10ELNS1_11target_archE1201ELNS1_3gpuE5ELNS1_3repE0EEENS1_30default_config_static_selectorELNS0_4arch9wavefront6targetE1EEEvT1_,comdat
	.protected	_ZN7rocprim17ROCPRIM_400000_NS6detail17trampoline_kernelINS0_14default_configENS1_20scan_config_selectorItEEZZNS1_9scan_implILNS1_25lookback_scan_determinismE0ELb0ELb0ES3_N6thrust23THRUST_200600_302600_NS6detail15normal_iteratorINS9_10device_ptrItEEEESE_tNS9_4plusIvEEtEEDaPvRmT3_T4_T5_mT6_P12ihipStream_tbENKUlT_T0_E_clISt17integral_constantIbLb0EESU_EEDaSP_SQ_EUlSP_E_NS1_11comp_targetILNS1_3genE10ELNS1_11target_archE1201ELNS1_3gpuE5ELNS1_3repE0EEENS1_30default_config_static_selectorELNS0_4arch9wavefront6targetE1EEEvT1_ ; -- Begin function _ZN7rocprim17ROCPRIM_400000_NS6detail17trampoline_kernelINS0_14default_configENS1_20scan_config_selectorItEEZZNS1_9scan_implILNS1_25lookback_scan_determinismE0ELb0ELb0ES3_N6thrust23THRUST_200600_302600_NS6detail15normal_iteratorINS9_10device_ptrItEEEESE_tNS9_4plusIvEEtEEDaPvRmT3_T4_T5_mT6_P12ihipStream_tbENKUlT_T0_E_clISt17integral_constantIbLb0EESU_EEDaSP_SQ_EUlSP_E_NS1_11comp_targetILNS1_3genE10ELNS1_11target_archE1201ELNS1_3gpuE5ELNS1_3repE0EEENS1_30default_config_static_selectorELNS0_4arch9wavefront6targetE1EEEvT1_
	.globl	_ZN7rocprim17ROCPRIM_400000_NS6detail17trampoline_kernelINS0_14default_configENS1_20scan_config_selectorItEEZZNS1_9scan_implILNS1_25lookback_scan_determinismE0ELb0ELb0ES3_N6thrust23THRUST_200600_302600_NS6detail15normal_iteratorINS9_10device_ptrItEEEESE_tNS9_4plusIvEEtEEDaPvRmT3_T4_T5_mT6_P12ihipStream_tbENKUlT_T0_E_clISt17integral_constantIbLb0EESU_EEDaSP_SQ_EUlSP_E_NS1_11comp_targetILNS1_3genE10ELNS1_11target_archE1201ELNS1_3gpuE5ELNS1_3repE0EEENS1_30default_config_static_selectorELNS0_4arch9wavefront6targetE1EEEvT1_
	.p2align	8
	.type	_ZN7rocprim17ROCPRIM_400000_NS6detail17trampoline_kernelINS0_14default_configENS1_20scan_config_selectorItEEZZNS1_9scan_implILNS1_25lookback_scan_determinismE0ELb0ELb0ES3_N6thrust23THRUST_200600_302600_NS6detail15normal_iteratorINS9_10device_ptrItEEEESE_tNS9_4plusIvEEtEEDaPvRmT3_T4_T5_mT6_P12ihipStream_tbENKUlT_T0_E_clISt17integral_constantIbLb0EESU_EEDaSP_SQ_EUlSP_E_NS1_11comp_targetILNS1_3genE10ELNS1_11target_archE1201ELNS1_3gpuE5ELNS1_3repE0EEENS1_30default_config_static_selectorELNS0_4arch9wavefront6targetE1EEEvT1_,@function
_ZN7rocprim17ROCPRIM_400000_NS6detail17trampoline_kernelINS0_14default_configENS1_20scan_config_selectorItEEZZNS1_9scan_implILNS1_25lookback_scan_determinismE0ELb0ELb0ES3_N6thrust23THRUST_200600_302600_NS6detail15normal_iteratorINS9_10device_ptrItEEEESE_tNS9_4plusIvEEtEEDaPvRmT3_T4_T5_mT6_P12ihipStream_tbENKUlT_T0_E_clISt17integral_constantIbLb0EESU_EEDaSP_SQ_EUlSP_E_NS1_11comp_targetILNS1_3genE10ELNS1_11target_archE1201ELNS1_3gpuE5ELNS1_3repE0EEENS1_30default_config_static_selectorELNS0_4arch9wavefront6targetE1EEEvT1_: ; @_ZN7rocprim17ROCPRIM_400000_NS6detail17trampoline_kernelINS0_14default_configENS1_20scan_config_selectorItEEZZNS1_9scan_implILNS1_25lookback_scan_determinismE0ELb0ELb0ES3_N6thrust23THRUST_200600_302600_NS6detail15normal_iteratorINS9_10device_ptrItEEEESE_tNS9_4plusIvEEtEEDaPvRmT3_T4_T5_mT6_P12ihipStream_tbENKUlT_T0_E_clISt17integral_constantIbLb0EESU_EEDaSP_SQ_EUlSP_E_NS1_11comp_targetILNS1_3genE10ELNS1_11target_archE1201ELNS1_3gpuE5ELNS1_3repE0EEENS1_30default_config_static_selectorELNS0_4arch9wavefront6targetE1EEEvT1_
; %bb.0:
	.section	.rodata,"a",@progbits
	.p2align	6, 0x0
	.amdhsa_kernel _ZN7rocprim17ROCPRIM_400000_NS6detail17trampoline_kernelINS0_14default_configENS1_20scan_config_selectorItEEZZNS1_9scan_implILNS1_25lookback_scan_determinismE0ELb0ELb0ES3_N6thrust23THRUST_200600_302600_NS6detail15normal_iteratorINS9_10device_ptrItEEEESE_tNS9_4plusIvEEtEEDaPvRmT3_T4_T5_mT6_P12ihipStream_tbENKUlT_T0_E_clISt17integral_constantIbLb0EESU_EEDaSP_SQ_EUlSP_E_NS1_11comp_targetILNS1_3genE10ELNS1_11target_archE1201ELNS1_3gpuE5ELNS1_3repE0EEENS1_30default_config_static_selectorELNS0_4arch9wavefront6targetE1EEEvT1_
		.amdhsa_group_segment_fixed_size 0
		.amdhsa_private_segment_fixed_size 0
		.amdhsa_kernarg_size 96
		.amdhsa_user_sgpr_count 6
		.amdhsa_user_sgpr_private_segment_buffer 1
		.amdhsa_user_sgpr_dispatch_ptr 0
		.amdhsa_user_sgpr_queue_ptr 0
		.amdhsa_user_sgpr_kernarg_segment_ptr 1
		.amdhsa_user_sgpr_dispatch_id 0
		.amdhsa_user_sgpr_flat_scratch_init 0
		.amdhsa_user_sgpr_kernarg_preload_length 0
		.amdhsa_user_sgpr_kernarg_preload_offset 0
		.amdhsa_user_sgpr_private_segment_size 0
		.amdhsa_uses_dynamic_stack 0
		.amdhsa_system_sgpr_private_segment_wavefront_offset 0
		.amdhsa_system_sgpr_workgroup_id_x 1
		.amdhsa_system_sgpr_workgroup_id_y 0
		.amdhsa_system_sgpr_workgroup_id_z 0
		.amdhsa_system_sgpr_workgroup_info 0
		.amdhsa_system_vgpr_workitem_id 0
		.amdhsa_next_free_vgpr 1
		.amdhsa_next_free_sgpr 0
		.amdhsa_accum_offset 4
		.amdhsa_reserve_vcc 0
		.amdhsa_reserve_flat_scratch 0
		.amdhsa_float_round_mode_32 0
		.amdhsa_float_round_mode_16_64 0
		.amdhsa_float_denorm_mode_32 3
		.amdhsa_float_denorm_mode_16_64 3
		.amdhsa_dx10_clamp 1
		.amdhsa_ieee_mode 1
		.amdhsa_fp16_overflow 0
		.amdhsa_tg_split 0
		.amdhsa_exception_fp_ieee_invalid_op 0
		.amdhsa_exception_fp_denorm_src 0
		.amdhsa_exception_fp_ieee_div_zero 0
		.amdhsa_exception_fp_ieee_overflow 0
		.amdhsa_exception_fp_ieee_underflow 0
		.amdhsa_exception_fp_ieee_inexact 0
		.amdhsa_exception_int_div_zero 0
	.end_amdhsa_kernel
	.section	.text._ZN7rocprim17ROCPRIM_400000_NS6detail17trampoline_kernelINS0_14default_configENS1_20scan_config_selectorItEEZZNS1_9scan_implILNS1_25lookback_scan_determinismE0ELb0ELb0ES3_N6thrust23THRUST_200600_302600_NS6detail15normal_iteratorINS9_10device_ptrItEEEESE_tNS9_4plusIvEEtEEDaPvRmT3_T4_T5_mT6_P12ihipStream_tbENKUlT_T0_E_clISt17integral_constantIbLb0EESU_EEDaSP_SQ_EUlSP_E_NS1_11comp_targetILNS1_3genE10ELNS1_11target_archE1201ELNS1_3gpuE5ELNS1_3repE0EEENS1_30default_config_static_selectorELNS0_4arch9wavefront6targetE1EEEvT1_,"axG",@progbits,_ZN7rocprim17ROCPRIM_400000_NS6detail17trampoline_kernelINS0_14default_configENS1_20scan_config_selectorItEEZZNS1_9scan_implILNS1_25lookback_scan_determinismE0ELb0ELb0ES3_N6thrust23THRUST_200600_302600_NS6detail15normal_iteratorINS9_10device_ptrItEEEESE_tNS9_4plusIvEEtEEDaPvRmT3_T4_T5_mT6_P12ihipStream_tbENKUlT_T0_E_clISt17integral_constantIbLb0EESU_EEDaSP_SQ_EUlSP_E_NS1_11comp_targetILNS1_3genE10ELNS1_11target_archE1201ELNS1_3gpuE5ELNS1_3repE0EEENS1_30default_config_static_selectorELNS0_4arch9wavefront6targetE1EEEvT1_,comdat
.Lfunc_end4723:
	.size	_ZN7rocprim17ROCPRIM_400000_NS6detail17trampoline_kernelINS0_14default_configENS1_20scan_config_selectorItEEZZNS1_9scan_implILNS1_25lookback_scan_determinismE0ELb0ELb0ES3_N6thrust23THRUST_200600_302600_NS6detail15normal_iteratorINS9_10device_ptrItEEEESE_tNS9_4plusIvEEtEEDaPvRmT3_T4_T5_mT6_P12ihipStream_tbENKUlT_T0_E_clISt17integral_constantIbLb0EESU_EEDaSP_SQ_EUlSP_E_NS1_11comp_targetILNS1_3genE10ELNS1_11target_archE1201ELNS1_3gpuE5ELNS1_3repE0EEENS1_30default_config_static_selectorELNS0_4arch9wavefront6targetE1EEEvT1_, .Lfunc_end4723-_ZN7rocprim17ROCPRIM_400000_NS6detail17trampoline_kernelINS0_14default_configENS1_20scan_config_selectorItEEZZNS1_9scan_implILNS1_25lookback_scan_determinismE0ELb0ELb0ES3_N6thrust23THRUST_200600_302600_NS6detail15normal_iteratorINS9_10device_ptrItEEEESE_tNS9_4plusIvEEtEEDaPvRmT3_T4_T5_mT6_P12ihipStream_tbENKUlT_T0_E_clISt17integral_constantIbLb0EESU_EEDaSP_SQ_EUlSP_E_NS1_11comp_targetILNS1_3genE10ELNS1_11target_archE1201ELNS1_3gpuE5ELNS1_3repE0EEENS1_30default_config_static_selectorELNS0_4arch9wavefront6targetE1EEEvT1_
                                        ; -- End function
	.section	.AMDGPU.csdata,"",@progbits
; Kernel info:
; codeLenInByte = 0
; NumSgprs: 4
; NumVgprs: 0
; NumAgprs: 0
; TotalNumVgprs: 0
; ScratchSize: 0
; MemoryBound: 0
; FloatMode: 240
; IeeeMode: 1
; LDSByteSize: 0 bytes/workgroup (compile time only)
; SGPRBlocks: 0
; VGPRBlocks: 0
; NumSGPRsForWavesPerEU: 4
; NumVGPRsForWavesPerEU: 1
; AccumOffset: 4
; Occupancy: 8
; WaveLimiterHint : 0
; COMPUTE_PGM_RSRC2:SCRATCH_EN: 0
; COMPUTE_PGM_RSRC2:USER_SGPR: 6
; COMPUTE_PGM_RSRC2:TRAP_HANDLER: 0
; COMPUTE_PGM_RSRC2:TGID_X_EN: 1
; COMPUTE_PGM_RSRC2:TGID_Y_EN: 0
; COMPUTE_PGM_RSRC2:TGID_Z_EN: 0
; COMPUTE_PGM_RSRC2:TIDIG_COMP_CNT: 0
; COMPUTE_PGM_RSRC3_GFX90A:ACCUM_OFFSET: 0
; COMPUTE_PGM_RSRC3_GFX90A:TG_SPLIT: 0
	.section	.text._ZN7rocprim17ROCPRIM_400000_NS6detail17trampoline_kernelINS0_14default_configENS1_20scan_config_selectorItEEZZNS1_9scan_implILNS1_25lookback_scan_determinismE0ELb0ELb0ES3_N6thrust23THRUST_200600_302600_NS6detail15normal_iteratorINS9_10device_ptrItEEEESE_tNS9_4plusIvEEtEEDaPvRmT3_T4_T5_mT6_P12ihipStream_tbENKUlT_T0_E_clISt17integral_constantIbLb0EESU_EEDaSP_SQ_EUlSP_E_NS1_11comp_targetILNS1_3genE10ELNS1_11target_archE1200ELNS1_3gpuE4ELNS1_3repE0EEENS1_30default_config_static_selectorELNS0_4arch9wavefront6targetE1EEEvT1_,"axG",@progbits,_ZN7rocprim17ROCPRIM_400000_NS6detail17trampoline_kernelINS0_14default_configENS1_20scan_config_selectorItEEZZNS1_9scan_implILNS1_25lookback_scan_determinismE0ELb0ELb0ES3_N6thrust23THRUST_200600_302600_NS6detail15normal_iteratorINS9_10device_ptrItEEEESE_tNS9_4plusIvEEtEEDaPvRmT3_T4_T5_mT6_P12ihipStream_tbENKUlT_T0_E_clISt17integral_constantIbLb0EESU_EEDaSP_SQ_EUlSP_E_NS1_11comp_targetILNS1_3genE10ELNS1_11target_archE1200ELNS1_3gpuE4ELNS1_3repE0EEENS1_30default_config_static_selectorELNS0_4arch9wavefront6targetE1EEEvT1_,comdat
	.protected	_ZN7rocprim17ROCPRIM_400000_NS6detail17trampoline_kernelINS0_14default_configENS1_20scan_config_selectorItEEZZNS1_9scan_implILNS1_25lookback_scan_determinismE0ELb0ELb0ES3_N6thrust23THRUST_200600_302600_NS6detail15normal_iteratorINS9_10device_ptrItEEEESE_tNS9_4plusIvEEtEEDaPvRmT3_T4_T5_mT6_P12ihipStream_tbENKUlT_T0_E_clISt17integral_constantIbLb0EESU_EEDaSP_SQ_EUlSP_E_NS1_11comp_targetILNS1_3genE10ELNS1_11target_archE1200ELNS1_3gpuE4ELNS1_3repE0EEENS1_30default_config_static_selectorELNS0_4arch9wavefront6targetE1EEEvT1_ ; -- Begin function _ZN7rocprim17ROCPRIM_400000_NS6detail17trampoline_kernelINS0_14default_configENS1_20scan_config_selectorItEEZZNS1_9scan_implILNS1_25lookback_scan_determinismE0ELb0ELb0ES3_N6thrust23THRUST_200600_302600_NS6detail15normal_iteratorINS9_10device_ptrItEEEESE_tNS9_4plusIvEEtEEDaPvRmT3_T4_T5_mT6_P12ihipStream_tbENKUlT_T0_E_clISt17integral_constantIbLb0EESU_EEDaSP_SQ_EUlSP_E_NS1_11comp_targetILNS1_3genE10ELNS1_11target_archE1200ELNS1_3gpuE4ELNS1_3repE0EEENS1_30default_config_static_selectorELNS0_4arch9wavefront6targetE1EEEvT1_
	.globl	_ZN7rocprim17ROCPRIM_400000_NS6detail17trampoline_kernelINS0_14default_configENS1_20scan_config_selectorItEEZZNS1_9scan_implILNS1_25lookback_scan_determinismE0ELb0ELb0ES3_N6thrust23THRUST_200600_302600_NS6detail15normal_iteratorINS9_10device_ptrItEEEESE_tNS9_4plusIvEEtEEDaPvRmT3_T4_T5_mT6_P12ihipStream_tbENKUlT_T0_E_clISt17integral_constantIbLb0EESU_EEDaSP_SQ_EUlSP_E_NS1_11comp_targetILNS1_3genE10ELNS1_11target_archE1200ELNS1_3gpuE4ELNS1_3repE0EEENS1_30default_config_static_selectorELNS0_4arch9wavefront6targetE1EEEvT1_
	.p2align	8
	.type	_ZN7rocprim17ROCPRIM_400000_NS6detail17trampoline_kernelINS0_14default_configENS1_20scan_config_selectorItEEZZNS1_9scan_implILNS1_25lookback_scan_determinismE0ELb0ELb0ES3_N6thrust23THRUST_200600_302600_NS6detail15normal_iteratorINS9_10device_ptrItEEEESE_tNS9_4plusIvEEtEEDaPvRmT3_T4_T5_mT6_P12ihipStream_tbENKUlT_T0_E_clISt17integral_constantIbLb0EESU_EEDaSP_SQ_EUlSP_E_NS1_11comp_targetILNS1_3genE10ELNS1_11target_archE1200ELNS1_3gpuE4ELNS1_3repE0EEENS1_30default_config_static_selectorELNS0_4arch9wavefront6targetE1EEEvT1_,@function
_ZN7rocprim17ROCPRIM_400000_NS6detail17trampoline_kernelINS0_14default_configENS1_20scan_config_selectorItEEZZNS1_9scan_implILNS1_25lookback_scan_determinismE0ELb0ELb0ES3_N6thrust23THRUST_200600_302600_NS6detail15normal_iteratorINS9_10device_ptrItEEEESE_tNS9_4plusIvEEtEEDaPvRmT3_T4_T5_mT6_P12ihipStream_tbENKUlT_T0_E_clISt17integral_constantIbLb0EESU_EEDaSP_SQ_EUlSP_E_NS1_11comp_targetILNS1_3genE10ELNS1_11target_archE1200ELNS1_3gpuE4ELNS1_3repE0EEENS1_30default_config_static_selectorELNS0_4arch9wavefront6targetE1EEEvT1_: ; @_ZN7rocprim17ROCPRIM_400000_NS6detail17trampoline_kernelINS0_14default_configENS1_20scan_config_selectorItEEZZNS1_9scan_implILNS1_25lookback_scan_determinismE0ELb0ELb0ES3_N6thrust23THRUST_200600_302600_NS6detail15normal_iteratorINS9_10device_ptrItEEEESE_tNS9_4plusIvEEtEEDaPvRmT3_T4_T5_mT6_P12ihipStream_tbENKUlT_T0_E_clISt17integral_constantIbLb0EESU_EEDaSP_SQ_EUlSP_E_NS1_11comp_targetILNS1_3genE10ELNS1_11target_archE1200ELNS1_3gpuE4ELNS1_3repE0EEENS1_30default_config_static_selectorELNS0_4arch9wavefront6targetE1EEEvT1_
; %bb.0:
	.section	.rodata,"a",@progbits
	.p2align	6, 0x0
	.amdhsa_kernel _ZN7rocprim17ROCPRIM_400000_NS6detail17trampoline_kernelINS0_14default_configENS1_20scan_config_selectorItEEZZNS1_9scan_implILNS1_25lookback_scan_determinismE0ELb0ELb0ES3_N6thrust23THRUST_200600_302600_NS6detail15normal_iteratorINS9_10device_ptrItEEEESE_tNS9_4plusIvEEtEEDaPvRmT3_T4_T5_mT6_P12ihipStream_tbENKUlT_T0_E_clISt17integral_constantIbLb0EESU_EEDaSP_SQ_EUlSP_E_NS1_11comp_targetILNS1_3genE10ELNS1_11target_archE1200ELNS1_3gpuE4ELNS1_3repE0EEENS1_30default_config_static_selectorELNS0_4arch9wavefront6targetE1EEEvT1_
		.amdhsa_group_segment_fixed_size 0
		.amdhsa_private_segment_fixed_size 0
		.amdhsa_kernarg_size 96
		.amdhsa_user_sgpr_count 6
		.amdhsa_user_sgpr_private_segment_buffer 1
		.amdhsa_user_sgpr_dispatch_ptr 0
		.amdhsa_user_sgpr_queue_ptr 0
		.amdhsa_user_sgpr_kernarg_segment_ptr 1
		.amdhsa_user_sgpr_dispatch_id 0
		.amdhsa_user_sgpr_flat_scratch_init 0
		.amdhsa_user_sgpr_kernarg_preload_length 0
		.amdhsa_user_sgpr_kernarg_preload_offset 0
		.amdhsa_user_sgpr_private_segment_size 0
		.amdhsa_uses_dynamic_stack 0
		.amdhsa_system_sgpr_private_segment_wavefront_offset 0
		.amdhsa_system_sgpr_workgroup_id_x 1
		.amdhsa_system_sgpr_workgroup_id_y 0
		.amdhsa_system_sgpr_workgroup_id_z 0
		.amdhsa_system_sgpr_workgroup_info 0
		.amdhsa_system_vgpr_workitem_id 0
		.amdhsa_next_free_vgpr 1
		.amdhsa_next_free_sgpr 0
		.amdhsa_accum_offset 4
		.amdhsa_reserve_vcc 0
		.amdhsa_reserve_flat_scratch 0
		.amdhsa_float_round_mode_32 0
		.amdhsa_float_round_mode_16_64 0
		.amdhsa_float_denorm_mode_32 3
		.amdhsa_float_denorm_mode_16_64 3
		.amdhsa_dx10_clamp 1
		.amdhsa_ieee_mode 1
		.amdhsa_fp16_overflow 0
		.amdhsa_tg_split 0
		.amdhsa_exception_fp_ieee_invalid_op 0
		.amdhsa_exception_fp_denorm_src 0
		.amdhsa_exception_fp_ieee_div_zero 0
		.amdhsa_exception_fp_ieee_overflow 0
		.amdhsa_exception_fp_ieee_underflow 0
		.amdhsa_exception_fp_ieee_inexact 0
		.amdhsa_exception_int_div_zero 0
	.end_amdhsa_kernel
	.section	.text._ZN7rocprim17ROCPRIM_400000_NS6detail17trampoline_kernelINS0_14default_configENS1_20scan_config_selectorItEEZZNS1_9scan_implILNS1_25lookback_scan_determinismE0ELb0ELb0ES3_N6thrust23THRUST_200600_302600_NS6detail15normal_iteratorINS9_10device_ptrItEEEESE_tNS9_4plusIvEEtEEDaPvRmT3_T4_T5_mT6_P12ihipStream_tbENKUlT_T0_E_clISt17integral_constantIbLb0EESU_EEDaSP_SQ_EUlSP_E_NS1_11comp_targetILNS1_3genE10ELNS1_11target_archE1200ELNS1_3gpuE4ELNS1_3repE0EEENS1_30default_config_static_selectorELNS0_4arch9wavefront6targetE1EEEvT1_,"axG",@progbits,_ZN7rocprim17ROCPRIM_400000_NS6detail17trampoline_kernelINS0_14default_configENS1_20scan_config_selectorItEEZZNS1_9scan_implILNS1_25lookback_scan_determinismE0ELb0ELb0ES3_N6thrust23THRUST_200600_302600_NS6detail15normal_iteratorINS9_10device_ptrItEEEESE_tNS9_4plusIvEEtEEDaPvRmT3_T4_T5_mT6_P12ihipStream_tbENKUlT_T0_E_clISt17integral_constantIbLb0EESU_EEDaSP_SQ_EUlSP_E_NS1_11comp_targetILNS1_3genE10ELNS1_11target_archE1200ELNS1_3gpuE4ELNS1_3repE0EEENS1_30default_config_static_selectorELNS0_4arch9wavefront6targetE1EEEvT1_,comdat
.Lfunc_end4724:
	.size	_ZN7rocprim17ROCPRIM_400000_NS6detail17trampoline_kernelINS0_14default_configENS1_20scan_config_selectorItEEZZNS1_9scan_implILNS1_25lookback_scan_determinismE0ELb0ELb0ES3_N6thrust23THRUST_200600_302600_NS6detail15normal_iteratorINS9_10device_ptrItEEEESE_tNS9_4plusIvEEtEEDaPvRmT3_T4_T5_mT6_P12ihipStream_tbENKUlT_T0_E_clISt17integral_constantIbLb0EESU_EEDaSP_SQ_EUlSP_E_NS1_11comp_targetILNS1_3genE10ELNS1_11target_archE1200ELNS1_3gpuE4ELNS1_3repE0EEENS1_30default_config_static_selectorELNS0_4arch9wavefront6targetE1EEEvT1_, .Lfunc_end4724-_ZN7rocprim17ROCPRIM_400000_NS6detail17trampoline_kernelINS0_14default_configENS1_20scan_config_selectorItEEZZNS1_9scan_implILNS1_25lookback_scan_determinismE0ELb0ELb0ES3_N6thrust23THRUST_200600_302600_NS6detail15normal_iteratorINS9_10device_ptrItEEEESE_tNS9_4plusIvEEtEEDaPvRmT3_T4_T5_mT6_P12ihipStream_tbENKUlT_T0_E_clISt17integral_constantIbLb0EESU_EEDaSP_SQ_EUlSP_E_NS1_11comp_targetILNS1_3genE10ELNS1_11target_archE1200ELNS1_3gpuE4ELNS1_3repE0EEENS1_30default_config_static_selectorELNS0_4arch9wavefront6targetE1EEEvT1_
                                        ; -- End function
	.section	.AMDGPU.csdata,"",@progbits
; Kernel info:
; codeLenInByte = 0
; NumSgprs: 4
; NumVgprs: 0
; NumAgprs: 0
; TotalNumVgprs: 0
; ScratchSize: 0
; MemoryBound: 0
; FloatMode: 240
; IeeeMode: 1
; LDSByteSize: 0 bytes/workgroup (compile time only)
; SGPRBlocks: 0
; VGPRBlocks: 0
; NumSGPRsForWavesPerEU: 4
; NumVGPRsForWavesPerEU: 1
; AccumOffset: 4
; Occupancy: 8
; WaveLimiterHint : 0
; COMPUTE_PGM_RSRC2:SCRATCH_EN: 0
; COMPUTE_PGM_RSRC2:USER_SGPR: 6
; COMPUTE_PGM_RSRC2:TRAP_HANDLER: 0
; COMPUTE_PGM_RSRC2:TGID_X_EN: 1
; COMPUTE_PGM_RSRC2:TGID_Y_EN: 0
; COMPUTE_PGM_RSRC2:TGID_Z_EN: 0
; COMPUTE_PGM_RSRC2:TIDIG_COMP_CNT: 0
; COMPUTE_PGM_RSRC3_GFX90A:ACCUM_OFFSET: 0
; COMPUTE_PGM_RSRC3_GFX90A:TG_SPLIT: 0
	.section	.text._ZN7rocprim17ROCPRIM_400000_NS6detail17trampoline_kernelINS0_14default_configENS1_20scan_config_selectorItEEZZNS1_9scan_implILNS1_25lookback_scan_determinismE0ELb0ELb0ES3_N6thrust23THRUST_200600_302600_NS6detail15normal_iteratorINS9_10device_ptrItEEEESE_tNS9_4plusIvEEtEEDaPvRmT3_T4_T5_mT6_P12ihipStream_tbENKUlT_T0_E_clISt17integral_constantIbLb0EESU_EEDaSP_SQ_EUlSP_E_NS1_11comp_targetILNS1_3genE9ELNS1_11target_archE1100ELNS1_3gpuE3ELNS1_3repE0EEENS1_30default_config_static_selectorELNS0_4arch9wavefront6targetE1EEEvT1_,"axG",@progbits,_ZN7rocprim17ROCPRIM_400000_NS6detail17trampoline_kernelINS0_14default_configENS1_20scan_config_selectorItEEZZNS1_9scan_implILNS1_25lookback_scan_determinismE0ELb0ELb0ES3_N6thrust23THRUST_200600_302600_NS6detail15normal_iteratorINS9_10device_ptrItEEEESE_tNS9_4plusIvEEtEEDaPvRmT3_T4_T5_mT6_P12ihipStream_tbENKUlT_T0_E_clISt17integral_constantIbLb0EESU_EEDaSP_SQ_EUlSP_E_NS1_11comp_targetILNS1_3genE9ELNS1_11target_archE1100ELNS1_3gpuE3ELNS1_3repE0EEENS1_30default_config_static_selectorELNS0_4arch9wavefront6targetE1EEEvT1_,comdat
	.protected	_ZN7rocprim17ROCPRIM_400000_NS6detail17trampoline_kernelINS0_14default_configENS1_20scan_config_selectorItEEZZNS1_9scan_implILNS1_25lookback_scan_determinismE0ELb0ELb0ES3_N6thrust23THRUST_200600_302600_NS6detail15normal_iteratorINS9_10device_ptrItEEEESE_tNS9_4plusIvEEtEEDaPvRmT3_T4_T5_mT6_P12ihipStream_tbENKUlT_T0_E_clISt17integral_constantIbLb0EESU_EEDaSP_SQ_EUlSP_E_NS1_11comp_targetILNS1_3genE9ELNS1_11target_archE1100ELNS1_3gpuE3ELNS1_3repE0EEENS1_30default_config_static_selectorELNS0_4arch9wavefront6targetE1EEEvT1_ ; -- Begin function _ZN7rocprim17ROCPRIM_400000_NS6detail17trampoline_kernelINS0_14default_configENS1_20scan_config_selectorItEEZZNS1_9scan_implILNS1_25lookback_scan_determinismE0ELb0ELb0ES3_N6thrust23THRUST_200600_302600_NS6detail15normal_iteratorINS9_10device_ptrItEEEESE_tNS9_4plusIvEEtEEDaPvRmT3_T4_T5_mT6_P12ihipStream_tbENKUlT_T0_E_clISt17integral_constantIbLb0EESU_EEDaSP_SQ_EUlSP_E_NS1_11comp_targetILNS1_3genE9ELNS1_11target_archE1100ELNS1_3gpuE3ELNS1_3repE0EEENS1_30default_config_static_selectorELNS0_4arch9wavefront6targetE1EEEvT1_
	.globl	_ZN7rocprim17ROCPRIM_400000_NS6detail17trampoline_kernelINS0_14default_configENS1_20scan_config_selectorItEEZZNS1_9scan_implILNS1_25lookback_scan_determinismE0ELb0ELb0ES3_N6thrust23THRUST_200600_302600_NS6detail15normal_iteratorINS9_10device_ptrItEEEESE_tNS9_4plusIvEEtEEDaPvRmT3_T4_T5_mT6_P12ihipStream_tbENKUlT_T0_E_clISt17integral_constantIbLb0EESU_EEDaSP_SQ_EUlSP_E_NS1_11comp_targetILNS1_3genE9ELNS1_11target_archE1100ELNS1_3gpuE3ELNS1_3repE0EEENS1_30default_config_static_selectorELNS0_4arch9wavefront6targetE1EEEvT1_
	.p2align	8
	.type	_ZN7rocprim17ROCPRIM_400000_NS6detail17trampoline_kernelINS0_14default_configENS1_20scan_config_selectorItEEZZNS1_9scan_implILNS1_25lookback_scan_determinismE0ELb0ELb0ES3_N6thrust23THRUST_200600_302600_NS6detail15normal_iteratorINS9_10device_ptrItEEEESE_tNS9_4plusIvEEtEEDaPvRmT3_T4_T5_mT6_P12ihipStream_tbENKUlT_T0_E_clISt17integral_constantIbLb0EESU_EEDaSP_SQ_EUlSP_E_NS1_11comp_targetILNS1_3genE9ELNS1_11target_archE1100ELNS1_3gpuE3ELNS1_3repE0EEENS1_30default_config_static_selectorELNS0_4arch9wavefront6targetE1EEEvT1_,@function
_ZN7rocprim17ROCPRIM_400000_NS6detail17trampoline_kernelINS0_14default_configENS1_20scan_config_selectorItEEZZNS1_9scan_implILNS1_25lookback_scan_determinismE0ELb0ELb0ES3_N6thrust23THRUST_200600_302600_NS6detail15normal_iteratorINS9_10device_ptrItEEEESE_tNS9_4plusIvEEtEEDaPvRmT3_T4_T5_mT6_P12ihipStream_tbENKUlT_T0_E_clISt17integral_constantIbLb0EESU_EEDaSP_SQ_EUlSP_E_NS1_11comp_targetILNS1_3genE9ELNS1_11target_archE1100ELNS1_3gpuE3ELNS1_3repE0EEENS1_30default_config_static_selectorELNS0_4arch9wavefront6targetE1EEEvT1_: ; @_ZN7rocprim17ROCPRIM_400000_NS6detail17trampoline_kernelINS0_14default_configENS1_20scan_config_selectorItEEZZNS1_9scan_implILNS1_25lookback_scan_determinismE0ELb0ELb0ES3_N6thrust23THRUST_200600_302600_NS6detail15normal_iteratorINS9_10device_ptrItEEEESE_tNS9_4plusIvEEtEEDaPvRmT3_T4_T5_mT6_P12ihipStream_tbENKUlT_T0_E_clISt17integral_constantIbLb0EESU_EEDaSP_SQ_EUlSP_E_NS1_11comp_targetILNS1_3genE9ELNS1_11target_archE1100ELNS1_3gpuE3ELNS1_3repE0EEENS1_30default_config_static_selectorELNS0_4arch9wavefront6targetE1EEEvT1_
; %bb.0:
	.section	.rodata,"a",@progbits
	.p2align	6, 0x0
	.amdhsa_kernel _ZN7rocprim17ROCPRIM_400000_NS6detail17trampoline_kernelINS0_14default_configENS1_20scan_config_selectorItEEZZNS1_9scan_implILNS1_25lookback_scan_determinismE0ELb0ELb0ES3_N6thrust23THRUST_200600_302600_NS6detail15normal_iteratorINS9_10device_ptrItEEEESE_tNS9_4plusIvEEtEEDaPvRmT3_T4_T5_mT6_P12ihipStream_tbENKUlT_T0_E_clISt17integral_constantIbLb0EESU_EEDaSP_SQ_EUlSP_E_NS1_11comp_targetILNS1_3genE9ELNS1_11target_archE1100ELNS1_3gpuE3ELNS1_3repE0EEENS1_30default_config_static_selectorELNS0_4arch9wavefront6targetE1EEEvT1_
		.amdhsa_group_segment_fixed_size 0
		.amdhsa_private_segment_fixed_size 0
		.amdhsa_kernarg_size 96
		.amdhsa_user_sgpr_count 6
		.amdhsa_user_sgpr_private_segment_buffer 1
		.amdhsa_user_sgpr_dispatch_ptr 0
		.amdhsa_user_sgpr_queue_ptr 0
		.amdhsa_user_sgpr_kernarg_segment_ptr 1
		.amdhsa_user_sgpr_dispatch_id 0
		.amdhsa_user_sgpr_flat_scratch_init 0
		.amdhsa_user_sgpr_kernarg_preload_length 0
		.amdhsa_user_sgpr_kernarg_preload_offset 0
		.amdhsa_user_sgpr_private_segment_size 0
		.amdhsa_uses_dynamic_stack 0
		.amdhsa_system_sgpr_private_segment_wavefront_offset 0
		.amdhsa_system_sgpr_workgroup_id_x 1
		.amdhsa_system_sgpr_workgroup_id_y 0
		.amdhsa_system_sgpr_workgroup_id_z 0
		.amdhsa_system_sgpr_workgroup_info 0
		.amdhsa_system_vgpr_workitem_id 0
		.amdhsa_next_free_vgpr 1
		.amdhsa_next_free_sgpr 0
		.amdhsa_accum_offset 4
		.amdhsa_reserve_vcc 0
		.amdhsa_reserve_flat_scratch 0
		.amdhsa_float_round_mode_32 0
		.amdhsa_float_round_mode_16_64 0
		.amdhsa_float_denorm_mode_32 3
		.amdhsa_float_denorm_mode_16_64 3
		.amdhsa_dx10_clamp 1
		.amdhsa_ieee_mode 1
		.amdhsa_fp16_overflow 0
		.amdhsa_tg_split 0
		.amdhsa_exception_fp_ieee_invalid_op 0
		.amdhsa_exception_fp_denorm_src 0
		.amdhsa_exception_fp_ieee_div_zero 0
		.amdhsa_exception_fp_ieee_overflow 0
		.amdhsa_exception_fp_ieee_underflow 0
		.amdhsa_exception_fp_ieee_inexact 0
		.amdhsa_exception_int_div_zero 0
	.end_amdhsa_kernel
	.section	.text._ZN7rocprim17ROCPRIM_400000_NS6detail17trampoline_kernelINS0_14default_configENS1_20scan_config_selectorItEEZZNS1_9scan_implILNS1_25lookback_scan_determinismE0ELb0ELb0ES3_N6thrust23THRUST_200600_302600_NS6detail15normal_iteratorINS9_10device_ptrItEEEESE_tNS9_4plusIvEEtEEDaPvRmT3_T4_T5_mT6_P12ihipStream_tbENKUlT_T0_E_clISt17integral_constantIbLb0EESU_EEDaSP_SQ_EUlSP_E_NS1_11comp_targetILNS1_3genE9ELNS1_11target_archE1100ELNS1_3gpuE3ELNS1_3repE0EEENS1_30default_config_static_selectorELNS0_4arch9wavefront6targetE1EEEvT1_,"axG",@progbits,_ZN7rocprim17ROCPRIM_400000_NS6detail17trampoline_kernelINS0_14default_configENS1_20scan_config_selectorItEEZZNS1_9scan_implILNS1_25lookback_scan_determinismE0ELb0ELb0ES3_N6thrust23THRUST_200600_302600_NS6detail15normal_iteratorINS9_10device_ptrItEEEESE_tNS9_4plusIvEEtEEDaPvRmT3_T4_T5_mT6_P12ihipStream_tbENKUlT_T0_E_clISt17integral_constantIbLb0EESU_EEDaSP_SQ_EUlSP_E_NS1_11comp_targetILNS1_3genE9ELNS1_11target_archE1100ELNS1_3gpuE3ELNS1_3repE0EEENS1_30default_config_static_selectorELNS0_4arch9wavefront6targetE1EEEvT1_,comdat
.Lfunc_end4725:
	.size	_ZN7rocprim17ROCPRIM_400000_NS6detail17trampoline_kernelINS0_14default_configENS1_20scan_config_selectorItEEZZNS1_9scan_implILNS1_25lookback_scan_determinismE0ELb0ELb0ES3_N6thrust23THRUST_200600_302600_NS6detail15normal_iteratorINS9_10device_ptrItEEEESE_tNS9_4plusIvEEtEEDaPvRmT3_T4_T5_mT6_P12ihipStream_tbENKUlT_T0_E_clISt17integral_constantIbLb0EESU_EEDaSP_SQ_EUlSP_E_NS1_11comp_targetILNS1_3genE9ELNS1_11target_archE1100ELNS1_3gpuE3ELNS1_3repE0EEENS1_30default_config_static_selectorELNS0_4arch9wavefront6targetE1EEEvT1_, .Lfunc_end4725-_ZN7rocprim17ROCPRIM_400000_NS6detail17trampoline_kernelINS0_14default_configENS1_20scan_config_selectorItEEZZNS1_9scan_implILNS1_25lookback_scan_determinismE0ELb0ELb0ES3_N6thrust23THRUST_200600_302600_NS6detail15normal_iteratorINS9_10device_ptrItEEEESE_tNS9_4plusIvEEtEEDaPvRmT3_T4_T5_mT6_P12ihipStream_tbENKUlT_T0_E_clISt17integral_constantIbLb0EESU_EEDaSP_SQ_EUlSP_E_NS1_11comp_targetILNS1_3genE9ELNS1_11target_archE1100ELNS1_3gpuE3ELNS1_3repE0EEENS1_30default_config_static_selectorELNS0_4arch9wavefront6targetE1EEEvT1_
                                        ; -- End function
	.section	.AMDGPU.csdata,"",@progbits
; Kernel info:
; codeLenInByte = 0
; NumSgprs: 4
; NumVgprs: 0
; NumAgprs: 0
; TotalNumVgprs: 0
; ScratchSize: 0
; MemoryBound: 0
; FloatMode: 240
; IeeeMode: 1
; LDSByteSize: 0 bytes/workgroup (compile time only)
; SGPRBlocks: 0
; VGPRBlocks: 0
; NumSGPRsForWavesPerEU: 4
; NumVGPRsForWavesPerEU: 1
; AccumOffset: 4
; Occupancy: 8
; WaveLimiterHint : 0
; COMPUTE_PGM_RSRC2:SCRATCH_EN: 0
; COMPUTE_PGM_RSRC2:USER_SGPR: 6
; COMPUTE_PGM_RSRC2:TRAP_HANDLER: 0
; COMPUTE_PGM_RSRC2:TGID_X_EN: 1
; COMPUTE_PGM_RSRC2:TGID_Y_EN: 0
; COMPUTE_PGM_RSRC2:TGID_Z_EN: 0
; COMPUTE_PGM_RSRC2:TIDIG_COMP_CNT: 0
; COMPUTE_PGM_RSRC3_GFX90A:ACCUM_OFFSET: 0
; COMPUTE_PGM_RSRC3_GFX90A:TG_SPLIT: 0
	.section	.text._ZN7rocprim17ROCPRIM_400000_NS6detail17trampoline_kernelINS0_14default_configENS1_20scan_config_selectorItEEZZNS1_9scan_implILNS1_25lookback_scan_determinismE0ELb0ELb0ES3_N6thrust23THRUST_200600_302600_NS6detail15normal_iteratorINS9_10device_ptrItEEEESE_tNS9_4plusIvEEtEEDaPvRmT3_T4_T5_mT6_P12ihipStream_tbENKUlT_T0_E_clISt17integral_constantIbLb0EESU_EEDaSP_SQ_EUlSP_E_NS1_11comp_targetILNS1_3genE8ELNS1_11target_archE1030ELNS1_3gpuE2ELNS1_3repE0EEENS1_30default_config_static_selectorELNS0_4arch9wavefront6targetE1EEEvT1_,"axG",@progbits,_ZN7rocprim17ROCPRIM_400000_NS6detail17trampoline_kernelINS0_14default_configENS1_20scan_config_selectorItEEZZNS1_9scan_implILNS1_25lookback_scan_determinismE0ELb0ELb0ES3_N6thrust23THRUST_200600_302600_NS6detail15normal_iteratorINS9_10device_ptrItEEEESE_tNS9_4plusIvEEtEEDaPvRmT3_T4_T5_mT6_P12ihipStream_tbENKUlT_T0_E_clISt17integral_constantIbLb0EESU_EEDaSP_SQ_EUlSP_E_NS1_11comp_targetILNS1_3genE8ELNS1_11target_archE1030ELNS1_3gpuE2ELNS1_3repE0EEENS1_30default_config_static_selectorELNS0_4arch9wavefront6targetE1EEEvT1_,comdat
	.protected	_ZN7rocprim17ROCPRIM_400000_NS6detail17trampoline_kernelINS0_14default_configENS1_20scan_config_selectorItEEZZNS1_9scan_implILNS1_25lookback_scan_determinismE0ELb0ELb0ES3_N6thrust23THRUST_200600_302600_NS6detail15normal_iteratorINS9_10device_ptrItEEEESE_tNS9_4plusIvEEtEEDaPvRmT3_T4_T5_mT6_P12ihipStream_tbENKUlT_T0_E_clISt17integral_constantIbLb0EESU_EEDaSP_SQ_EUlSP_E_NS1_11comp_targetILNS1_3genE8ELNS1_11target_archE1030ELNS1_3gpuE2ELNS1_3repE0EEENS1_30default_config_static_selectorELNS0_4arch9wavefront6targetE1EEEvT1_ ; -- Begin function _ZN7rocprim17ROCPRIM_400000_NS6detail17trampoline_kernelINS0_14default_configENS1_20scan_config_selectorItEEZZNS1_9scan_implILNS1_25lookback_scan_determinismE0ELb0ELb0ES3_N6thrust23THRUST_200600_302600_NS6detail15normal_iteratorINS9_10device_ptrItEEEESE_tNS9_4plusIvEEtEEDaPvRmT3_T4_T5_mT6_P12ihipStream_tbENKUlT_T0_E_clISt17integral_constantIbLb0EESU_EEDaSP_SQ_EUlSP_E_NS1_11comp_targetILNS1_3genE8ELNS1_11target_archE1030ELNS1_3gpuE2ELNS1_3repE0EEENS1_30default_config_static_selectorELNS0_4arch9wavefront6targetE1EEEvT1_
	.globl	_ZN7rocprim17ROCPRIM_400000_NS6detail17trampoline_kernelINS0_14default_configENS1_20scan_config_selectorItEEZZNS1_9scan_implILNS1_25lookback_scan_determinismE0ELb0ELb0ES3_N6thrust23THRUST_200600_302600_NS6detail15normal_iteratorINS9_10device_ptrItEEEESE_tNS9_4plusIvEEtEEDaPvRmT3_T4_T5_mT6_P12ihipStream_tbENKUlT_T0_E_clISt17integral_constantIbLb0EESU_EEDaSP_SQ_EUlSP_E_NS1_11comp_targetILNS1_3genE8ELNS1_11target_archE1030ELNS1_3gpuE2ELNS1_3repE0EEENS1_30default_config_static_selectorELNS0_4arch9wavefront6targetE1EEEvT1_
	.p2align	8
	.type	_ZN7rocprim17ROCPRIM_400000_NS6detail17trampoline_kernelINS0_14default_configENS1_20scan_config_selectorItEEZZNS1_9scan_implILNS1_25lookback_scan_determinismE0ELb0ELb0ES3_N6thrust23THRUST_200600_302600_NS6detail15normal_iteratorINS9_10device_ptrItEEEESE_tNS9_4plusIvEEtEEDaPvRmT3_T4_T5_mT6_P12ihipStream_tbENKUlT_T0_E_clISt17integral_constantIbLb0EESU_EEDaSP_SQ_EUlSP_E_NS1_11comp_targetILNS1_3genE8ELNS1_11target_archE1030ELNS1_3gpuE2ELNS1_3repE0EEENS1_30default_config_static_selectorELNS0_4arch9wavefront6targetE1EEEvT1_,@function
_ZN7rocprim17ROCPRIM_400000_NS6detail17trampoline_kernelINS0_14default_configENS1_20scan_config_selectorItEEZZNS1_9scan_implILNS1_25lookback_scan_determinismE0ELb0ELb0ES3_N6thrust23THRUST_200600_302600_NS6detail15normal_iteratorINS9_10device_ptrItEEEESE_tNS9_4plusIvEEtEEDaPvRmT3_T4_T5_mT6_P12ihipStream_tbENKUlT_T0_E_clISt17integral_constantIbLb0EESU_EEDaSP_SQ_EUlSP_E_NS1_11comp_targetILNS1_3genE8ELNS1_11target_archE1030ELNS1_3gpuE2ELNS1_3repE0EEENS1_30default_config_static_selectorELNS0_4arch9wavefront6targetE1EEEvT1_: ; @_ZN7rocprim17ROCPRIM_400000_NS6detail17trampoline_kernelINS0_14default_configENS1_20scan_config_selectorItEEZZNS1_9scan_implILNS1_25lookback_scan_determinismE0ELb0ELb0ES3_N6thrust23THRUST_200600_302600_NS6detail15normal_iteratorINS9_10device_ptrItEEEESE_tNS9_4plusIvEEtEEDaPvRmT3_T4_T5_mT6_P12ihipStream_tbENKUlT_T0_E_clISt17integral_constantIbLb0EESU_EEDaSP_SQ_EUlSP_E_NS1_11comp_targetILNS1_3genE8ELNS1_11target_archE1030ELNS1_3gpuE2ELNS1_3repE0EEENS1_30default_config_static_selectorELNS0_4arch9wavefront6targetE1EEEvT1_
; %bb.0:
	.section	.rodata,"a",@progbits
	.p2align	6, 0x0
	.amdhsa_kernel _ZN7rocprim17ROCPRIM_400000_NS6detail17trampoline_kernelINS0_14default_configENS1_20scan_config_selectorItEEZZNS1_9scan_implILNS1_25lookback_scan_determinismE0ELb0ELb0ES3_N6thrust23THRUST_200600_302600_NS6detail15normal_iteratorINS9_10device_ptrItEEEESE_tNS9_4plusIvEEtEEDaPvRmT3_T4_T5_mT6_P12ihipStream_tbENKUlT_T0_E_clISt17integral_constantIbLb0EESU_EEDaSP_SQ_EUlSP_E_NS1_11comp_targetILNS1_3genE8ELNS1_11target_archE1030ELNS1_3gpuE2ELNS1_3repE0EEENS1_30default_config_static_selectorELNS0_4arch9wavefront6targetE1EEEvT1_
		.amdhsa_group_segment_fixed_size 0
		.amdhsa_private_segment_fixed_size 0
		.amdhsa_kernarg_size 96
		.amdhsa_user_sgpr_count 6
		.amdhsa_user_sgpr_private_segment_buffer 1
		.amdhsa_user_sgpr_dispatch_ptr 0
		.amdhsa_user_sgpr_queue_ptr 0
		.amdhsa_user_sgpr_kernarg_segment_ptr 1
		.amdhsa_user_sgpr_dispatch_id 0
		.amdhsa_user_sgpr_flat_scratch_init 0
		.amdhsa_user_sgpr_kernarg_preload_length 0
		.amdhsa_user_sgpr_kernarg_preload_offset 0
		.amdhsa_user_sgpr_private_segment_size 0
		.amdhsa_uses_dynamic_stack 0
		.amdhsa_system_sgpr_private_segment_wavefront_offset 0
		.amdhsa_system_sgpr_workgroup_id_x 1
		.amdhsa_system_sgpr_workgroup_id_y 0
		.amdhsa_system_sgpr_workgroup_id_z 0
		.amdhsa_system_sgpr_workgroup_info 0
		.amdhsa_system_vgpr_workitem_id 0
		.amdhsa_next_free_vgpr 1
		.amdhsa_next_free_sgpr 0
		.amdhsa_accum_offset 4
		.amdhsa_reserve_vcc 0
		.amdhsa_reserve_flat_scratch 0
		.amdhsa_float_round_mode_32 0
		.amdhsa_float_round_mode_16_64 0
		.amdhsa_float_denorm_mode_32 3
		.amdhsa_float_denorm_mode_16_64 3
		.amdhsa_dx10_clamp 1
		.amdhsa_ieee_mode 1
		.amdhsa_fp16_overflow 0
		.amdhsa_tg_split 0
		.amdhsa_exception_fp_ieee_invalid_op 0
		.amdhsa_exception_fp_denorm_src 0
		.amdhsa_exception_fp_ieee_div_zero 0
		.amdhsa_exception_fp_ieee_overflow 0
		.amdhsa_exception_fp_ieee_underflow 0
		.amdhsa_exception_fp_ieee_inexact 0
		.amdhsa_exception_int_div_zero 0
	.end_amdhsa_kernel
	.section	.text._ZN7rocprim17ROCPRIM_400000_NS6detail17trampoline_kernelINS0_14default_configENS1_20scan_config_selectorItEEZZNS1_9scan_implILNS1_25lookback_scan_determinismE0ELb0ELb0ES3_N6thrust23THRUST_200600_302600_NS6detail15normal_iteratorINS9_10device_ptrItEEEESE_tNS9_4plusIvEEtEEDaPvRmT3_T4_T5_mT6_P12ihipStream_tbENKUlT_T0_E_clISt17integral_constantIbLb0EESU_EEDaSP_SQ_EUlSP_E_NS1_11comp_targetILNS1_3genE8ELNS1_11target_archE1030ELNS1_3gpuE2ELNS1_3repE0EEENS1_30default_config_static_selectorELNS0_4arch9wavefront6targetE1EEEvT1_,"axG",@progbits,_ZN7rocprim17ROCPRIM_400000_NS6detail17trampoline_kernelINS0_14default_configENS1_20scan_config_selectorItEEZZNS1_9scan_implILNS1_25lookback_scan_determinismE0ELb0ELb0ES3_N6thrust23THRUST_200600_302600_NS6detail15normal_iteratorINS9_10device_ptrItEEEESE_tNS9_4plusIvEEtEEDaPvRmT3_T4_T5_mT6_P12ihipStream_tbENKUlT_T0_E_clISt17integral_constantIbLb0EESU_EEDaSP_SQ_EUlSP_E_NS1_11comp_targetILNS1_3genE8ELNS1_11target_archE1030ELNS1_3gpuE2ELNS1_3repE0EEENS1_30default_config_static_selectorELNS0_4arch9wavefront6targetE1EEEvT1_,comdat
.Lfunc_end4726:
	.size	_ZN7rocprim17ROCPRIM_400000_NS6detail17trampoline_kernelINS0_14default_configENS1_20scan_config_selectorItEEZZNS1_9scan_implILNS1_25lookback_scan_determinismE0ELb0ELb0ES3_N6thrust23THRUST_200600_302600_NS6detail15normal_iteratorINS9_10device_ptrItEEEESE_tNS9_4plusIvEEtEEDaPvRmT3_T4_T5_mT6_P12ihipStream_tbENKUlT_T0_E_clISt17integral_constantIbLb0EESU_EEDaSP_SQ_EUlSP_E_NS1_11comp_targetILNS1_3genE8ELNS1_11target_archE1030ELNS1_3gpuE2ELNS1_3repE0EEENS1_30default_config_static_selectorELNS0_4arch9wavefront6targetE1EEEvT1_, .Lfunc_end4726-_ZN7rocprim17ROCPRIM_400000_NS6detail17trampoline_kernelINS0_14default_configENS1_20scan_config_selectorItEEZZNS1_9scan_implILNS1_25lookback_scan_determinismE0ELb0ELb0ES3_N6thrust23THRUST_200600_302600_NS6detail15normal_iteratorINS9_10device_ptrItEEEESE_tNS9_4plusIvEEtEEDaPvRmT3_T4_T5_mT6_P12ihipStream_tbENKUlT_T0_E_clISt17integral_constantIbLb0EESU_EEDaSP_SQ_EUlSP_E_NS1_11comp_targetILNS1_3genE8ELNS1_11target_archE1030ELNS1_3gpuE2ELNS1_3repE0EEENS1_30default_config_static_selectorELNS0_4arch9wavefront6targetE1EEEvT1_
                                        ; -- End function
	.section	.AMDGPU.csdata,"",@progbits
; Kernel info:
; codeLenInByte = 0
; NumSgprs: 4
; NumVgprs: 0
; NumAgprs: 0
; TotalNumVgprs: 0
; ScratchSize: 0
; MemoryBound: 0
; FloatMode: 240
; IeeeMode: 1
; LDSByteSize: 0 bytes/workgroup (compile time only)
; SGPRBlocks: 0
; VGPRBlocks: 0
; NumSGPRsForWavesPerEU: 4
; NumVGPRsForWavesPerEU: 1
; AccumOffset: 4
; Occupancy: 8
; WaveLimiterHint : 0
; COMPUTE_PGM_RSRC2:SCRATCH_EN: 0
; COMPUTE_PGM_RSRC2:USER_SGPR: 6
; COMPUTE_PGM_RSRC2:TRAP_HANDLER: 0
; COMPUTE_PGM_RSRC2:TGID_X_EN: 1
; COMPUTE_PGM_RSRC2:TGID_Y_EN: 0
; COMPUTE_PGM_RSRC2:TGID_Z_EN: 0
; COMPUTE_PGM_RSRC2:TIDIG_COMP_CNT: 0
; COMPUTE_PGM_RSRC3_GFX90A:ACCUM_OFFSET: 0
; COMPUTE_PGM_RSRC3_GFX90A:TG_SPLIT: 0
	.section	.text._ZN7rocprim17ROCPRIM_400000_NS6detail17trampoline_kernelINS0_14default_configENS1_20scan_config_selectorItEEZZNS1_9scan_implILNS1_25lookback_scan_determinismE0ELb0ELb0ES3_N6thrust23THRUST_200600_302600_NS6detail15normal_iteratorINS9_10device_ptrItEEEESE_tNS9_4plusIvEEtEEDaPvRmT3_T4_T5_mT6_P12ihipStream_tbENKUlT_T0_E_clISt17integral_constantIbLb0EESU_EEDaSP_SQ_EUlSP_E0_NS1_11comp_targetILNS1_3genE0ELNS1_11target_archE4294967295ELNS1_3gpuE0ELNS1_3repE0EEENS1_30default_config_static_selectorELNS0_4arch9wavefront6targetE1EEEvT1_,"axG",@progbits,_ZN7rocprim17ROCPRIM_400000_NS6detail17trampoline_kernelINS0_14default_configENS1_20scan_config_selectorItEEZZNS1_9scan_implILNS1_25lookback_scan_determinismE0ELb0ELb0ES3_N6thrust23THRUST_200600_302600_NS6detail15normal_iteratorINS9_10device_ptrItEEEESE_tNS9_4plusIvEEtEEDaPvRmT3_T4_T5_mT6_P12ihipStream_tbENKUlT_T0_E_clISt17integral_constantIbLb0EESU_EEDaSP_SQ_EUlSP_E0_NS1_11comp_targetILNS1_3genE0ELNS1_11target_archE4294967295ELNS1_3gpuE0ELNS1_3repE0EEENS1_30default_config_static_selectorELNS0_4arch9wavefront6targetE1EEEvT1_,comdat
	.protected	_ZN7rocprim17ROCPRIM_400000_NS6detail17trampoline_kernelINS0_14default_configENS1_20scan_config_selectorItEEZZNS1_9scan_implILNS1_25lookback_scan_determinismE0ELb0ELb0ES3_N6thrust23THRUST_200600_302600_NS6detail15normal_iteratorINS9_10device_ptrItEEEESE_tNS9_4plusIvEEtEEDaPvRmT3_T4_T5_mT6_P12ihipStream_tbENKUlT_T0_E_clISt17integral_constantIbLb0EESU_EEDaSP_SQ_EUlSP_E0_NS1_11comp_targetILNS1_3genE0ELNS1_11target_archE4294967295ELNS1_3gpuE0ELNS1_3repE0EEENS1_30default_config_static_selectorELNS0_4arch9wavefront6targetE1EEEvT1_ ; -- Begin function _ZN7rocprim17ROCPRIM_400000_NS6detail17trampoline_kernelINS0_14default_configENS1_20scan_config_selectorItEEZZNS1_9scan_implILNS1_25lookback_scan_determinismE0ELb0ELb0ES3_N6thrust23THRUST_200600_302600_NS6detail15normal_iteratorINS9_10device_ptrItEEEESE_tNS9_4plusIvEEtEEDaPvRmT3_T4_T5_mT6_P12ihipStream_tbENKUlT_T0_E_clISt17integral_constantIbLb0EESU_EEDaSP_SQ_EUlSP_E0_NS1_11comp_targetILNS1_3genE0ELNS1_11target_archE4294967295ELNS1_3gpuE0ELNS1_3repE0EEENS1_30default_config_static_selectorELNS0_4arch9wavefront6targetE1EEEvT1_
	.globl	_ZN7rocprim17ROCPRIM_400000_NS6detail17trampoline_kernelINS0_14default_configENS1_20scan_config_selectorItEEZZNS1_9scan_implILNS1_25lookback_scan_determinismE0ELb0ELb0ES3_N6thrust23THRUST_200600_302600_NS6detail15normal_iteratorINS9_10device_ptrItEEEESE_tNS9_4plusIvEEtEEDaPvRmT3_T4_T5_mT6_P12ihipStream_tbENKUlT_T0_E_clISt17integral_constantIbLb0EESU_EEDaSP_SQ_EUlSP_E0_NS1_11comp_targetILNS1_3genE0ELNS1_11target_archE4294967295ELNS1_3gpuE0ELNS1_3repE0EEENS1_30default_config_static_selectorELNS0_4arch9wavefront6targetE1EEEvT1_
	.p2align	8
	.type	_ZN7rocprim17ROCPRIM_400000_NS6detail17trampoline_kernelINS0_14default_configENS1_20scan_config_selectorItEEZZNS1_9scan_implILNS1_25lookback_scan_determinismE0ELb0ELb0ES3_N6thrust23THRUST_200600_302600_NS6detail15normal_iteratorINS9_10device_ptrItEEEESE_tNS9_4plusIvEEtEEDaPvRmT3_T4_T5_mT6_P12ihipStream_tbENKUlT_T0_E_clISt17integral_constantIbLb0EESU_EEDaSP_SQ_EUlSP_E0_NS1_11comp_targetILNS1_3genE0ELNS1_11target_archE4294967295ELNS1_3gpuE0ELNS1_3repE0EEENS1_30default_config_static_selectorELNS0_4arch9wavefront6targetE1EEEvT1_,@function
_ZN7rocprim17ROCPRIM_400000_NS6detail17trampoline_kernelINS0_14default_configENS1_20scan_config_selectorItEEZZNS1_9scan_implILNS1_25lookback_scan_determinismE0ELb0ELb0ES3_N6thrust23THRUST_200600_302600_NS6detail15normal_iteratorINS9_10device_ptrItEEEESE_tNS9_4plusIvEEtEEDaPvRmT3_T4_T5_mT6_P12ihipStream_tbENKUlT_T0_E_clISt17integral_constantIbLb0EESU_EEDaSP_SQ_EUlSP_E0_NS1_11comp_targetILNS1_3genE0ELNS1_11target_archE4294967295ELNS1_3gpuE0ELNS1_3repE0EEENS1_30default_config_static_selectorELNS0_4arch9wavefront6targetE1EEEvT1_: ; @_ZN7rocprim17ROCPRIM_400000_NS6detail17trampoline_kernelINS0_14default_configENS1_20scan_config_selectorItEEZZNS1_9scan_implILNS1_25lookback_scan_determinismE0ELb0ELb0ES3_N6thrust23THRUST_200600_302600_NS6detail15normal_iteratorINS9_10device_ptrItEEEESE_tNS9_4plusIvEEtEEDaPvRmT3_T4_T5_mT6_P12ihipStream_tbENKUlT_T0_E_clISt17integral_constantIbLb0EESU_EEDaSP_SQ_EUlSP_E0_NS1_11comp_targetILNS1_3genE0ELNS1_11target_archE4294967295ELNS1_3gpuE0ELNS1_3repE0EEENS1_30default_config_static_selectorELNS0_4arch9wavefront6targetE1EEEvT1_
; %bb.0:
	.section	.rodata,"a",@progbits
	.p2align	6, 0x0
	.amdhsa_kernel _ZN7rocprim17ROCPRIM_400000_NS6detail17trampoline_kernelINS0_14default_configENS1_20scan_config_selectorItEEZZNS1_9scan_implILNS1_25lookback_scan_determinismE0ELb0ELb0ES3_N6thrust23THRUST_200600_302600_NS6detail15normal_iteratorINS9_10device_ptrItEEEESE_tNS9_4plusIvEEtEEDaPvRmT3_T4_T5_mT6_P12ihipStream_tbENKUlT_T0_E_clISt17integral_constantIbLb0EESU_EEDaSP_SQ_EUlSP_E0_NS1_11comp_targetILNS1_3genE0ELNS1_11target_archE4294967295ELNS1_3gpuE0ELNS1_3repE0EEENS1_30default_config_static_selectorELNS0_4arch9wavefront6targetE1EEEvT1_
		.amdhsa_group_segment_fixed_size 0
		.amdhsa_private_segment_fixed_size 0
		.amdhsa_kernarg_size 32
		.amdhsa_user_sgpr_count 6
		.amdhsa_user_sgpr_private_segment_buffer 1
		.amdhsa_user_sgpr_dispatch_ptr 0
		.amdhsa_user_sgpr_queue_ptr 0
		.amdhsa_user_sgpr_kernarg_segment_ptr 1
		.amdhsa_user_sgpr_dispatch_id 0
		.amdhsa_user_sgpr_flat_scratch_init 0
		.amdhsa_user_sgpr_kernarg_preload_length 0
		.amdhsa_user_sgpr_kernarg_preload_offset 0
		.amdhsa_user_sgpr_private_segment_size 0
		.amdhsa_uses_dynamic_stack 0
		.amdhsa_system_sgpr_private_segment_wavefront_offset 0
		.amdhsa_system_sgpr_workgroup_id_x 1
		.amdhsa_system_sgpr_workgroup_id_y 0
		.amdhsa_system_sgpr_workgroup_id_z 0
		.amdhsa_system_sgpr_workgroup_info 0
		.amdhsa_system_vgpr_workitem_id 0
		.amdhsa_next_free_vgpr 1
		.amdhsa_next_free_sgpr 0
		.amdhsa_accum_offset 4
		.amdhsa_reserve_vcc 0
		.amdhsa_reserve_flat_scratch 0
		.amdhsa_float_round_mode_32 0
		.amdhsa_float_round_mode_16_64 0
		.amdhsa_float_denorm_mode_32 3
		.amdhsa_float_denorm_mode_16_64 3
		.amdhsa_dx10_clamp 1
		.amdhsa_ieee_mode 1
		.amdhsa_fp16_overflow 0
		.amdhsa_tg_split 0
		.amdhsa_exception_fp_ieee_invalid_op 0
		.amdhsa_exception_fp_denorm_src 0
		.amdhsa_exception_fp_ieee_div_zero 0
		.amdhsa_exception_fp_ieee_overflow 0
		.amdhsa_exception_fp_ieee_underflow 0
		.amdhsa_exception_fp_ieee_inexact 0
		.amdhsa_exception_int_div_zero 0
	.end_amdhsa_kernel
	.section	.text._ZN7rocprim17ROCPRIM_400000_NS6detail17trampoline_kernelINS0_14default_configENS1_20scan_config_selectorItEEZZNS1_9scan_implILNS1_25lookback_scan_determinismE0ELb0ELb0ES3_N6thrust23THRUST_200600_302600_NS6detail15normal_iteratorINS9_10device_ptrItEEEESE_tNS9_4plusIvEEtEEDaPvRmT3_T4_T5_mT6_P12ihipStream_tbENKUlT_T0_E_clISt17integral_constantIbLb0EESU_EEDaSP_SQ_EUlSP_E0_NS1_11comp_targetILNS1_3genE0ELNS1_11target_archE4294967295ELNS1_3gpuE0ELNS1_3repE0EEENS1_30default_config_static_selectorELNS0_4arch9wavefront6targetE1EEEvT1_,"axG",@progbits,_ZN7rocprim17ROCPRIM_400000_NS6detail17trampoline_kernelINS0_14default_configENS1_20scan_config_selectorItEEZZNS1_9scan_implILNS1_25lookback_scan_determinismE0ELb0ELb0ES3_N6thrust23THRUST_200600_302600_NS6detail15normal_iteratorINS9_10device_ptrItEEEESE_tNS9_4plusIvEEtEEDaPvRmT3_T4_T5_mT6_P12ihipStream_tbENKUlT_T0_E_clISt17integral_constantIbLb0EESU_EEDaSP_SQ_EUlSP_E0_NS1_11comp_targetILNS1_3genE0ELNS1_11target_archE4294967295ELNS1_3gpuE0ELNS1_3repE0EEENS1_30default_config_static_selectorELNS0_4arch9wavefront6targetE1EEEvT1_,comdat
.Lfunc_end4727:
	.size	_ZN7rocprim17ROCPRIM_400000_NS6detail17trampoline_kernelINS0_14default_configENS1_20scan_config_selectorItEEZZNS1_9scan_implILNS1_25lookback_scan_determinismE0ELb0ELb0ES3_N6thrust23THRUST_200600_302600_NS6detail15normal_iteratorINS9_10device_ptrItEEEESE_tNS9_4plusIvEEtEEDaPvRmT3_T4_T5_mT6_P12ihipStream_tbENKUlT_T0_E_clISt17integral_constantIbLb0EESU_EEDaSP_SQ_EUlSP_E0_NS1_11comp_targetILNS1_3genE0ELNS1_11target_archE4294967295ELNS1_3gpuE0ELNS1_3repE0EEENS1_30default_config_static_selectorELNS0_4arch9wavefront6targetE1EEEvT1_, .Lfunc_end4727-_ZN7rocprim17ROCPRIM_400000_NS6detail17trampoline_kernelINS0_14default_configENS1_20scan_config_selectorItEEZZNS1_9scan_implILNS1_25lookback_scan_determinismE0ELb0ELb0ES3_N6thrust23THRUST_200600_302600_NS6detail15normal_iteratorINS9_10device_ptrItEEEESE_tNS9_4plusIvEEtEEDaPvRmT3_T4_T5_mT6_P12ihipStream_tbENKUlT_T0_E_clISt17integral_constantIbLb0EESU_EEDaSP_SQ_EUlSP_E0_NS1_11comp_targetILNS1_3genE0ELNS1_11target_archE4294967295ELNS1_3gpuE0ELNS1_3repE0EEENS1_30default_config_static_selectorELNS0_4arch9wavefront6targetE1EEEvT1_
                                        ; -- End function
	.section	.AMDGPU.csdata,"",@progbits
; Kernel info:
; codeLenInByte = 0
; NumSgprs: 4
; NumVgprs: 0
; NumAgprs: 0
; TotalNumVgprs: 0
; ScratchSize: 0
; MemoryBound: 0
; FloatMode: 240
; IeeeMode: 1
; LDSByteSize: 0 bytes/workgroup (compile time only)
; SGPRBlocks: 0
; VGPRBlocks: 0
; NumSGPRsForWavesPerEU: 4
; NumVGPRsForWavesPerEU: 1
; AccumOffset: 4
; Occupancy: 8
; WaveLimiterHint : 0
; COMPUTE_PGM_RSRC2:SCRATCH_EN: 0
; COMPUTE_PGM_RSRC2:USER_SGPR: 6
; COMPUTE_PGM_RSRC2:TRAP_HANDLER: 0
; COMPUTE_PGM_RSRC2:TGID_X_EN: 1
; COMPUTE_PGM_RSRC2:TGID_Y_EN: 0
; COMPUTE_PGM_RSRC2:TGID_Z_EN: 0
; COMPUTE_PGM_RSRC2:TIDIG_COMP_CNT: 0
; COMPUTE_PGM_RSRC3_GFX90A:ACCUM_OFFSET: 0
; COMPUTE_PGM_RSRC3_GFX90A:TG_SPLIT: 0
	.section	.text._ZN7rocprim17ROCPRIM_400000_NS6detail17trampoline_kernelINS0_14default_configENS1_20scan_config_selectorItEEZZNS1_9scan_implILNS1_25lookback_scan_determinismE0ELb0ELb0ES3_N6thrust23THRUST_200600_302600_NS6detail15normal_iteratorINS9_10device_ptrItEEEESE_tNS9_4plusIvEEtEEDaPvRmT3_T4_T5_mT6_P12ihipStream_tbENKUlT_T0_E_clISt17integral_constantIbLb0EESU_EEDaSP_SQ_EUlSP_E0_NS1_11comp_targetILNS1_3genE5ELNS1_11target_archE942ELNS1_3gpuE9ELNS1_3repE0EEENS1_30default_config_static_selectorELNS0_4arch9wavefront6targetE1EEEvT1_,"axG",@progbits,_ZN7rocprim17ROCPRIM_400000_NS6detail17trampoline_kernelINS0_14default_configENS1_20scan_config_selectorItEEZZNS1_9scan_implILNS1_25lookback_scan_determinismE0ELb0ELb0ES3_N6thrust23THRUST_200600_302600_NS6detail15normal_iteratorINS9_10device_ptrItEEEESE_tNS9_4plusIvEEtEEDaPvRmT3_T4_T5_mT6_P12ihipStream_tbENKUlT_T0_E_clISt17integral_constantIbLb0EESU_EEDaSP_SQ_EUlSP_E0_NS1_11comp_targetILNS1_3genE5ELNS1_11target_archE942ELNS1_3gpuE9ELNS1_3repE0EEENS1_30default_config_static_selectorELNS0_4arch9wavefront6targetE1EEEvT1_,comdat
	.protected	_ZN7rocprim17ROCPRIM_400000_NS6detail17trampoline_kernelINS0_14default_configENS1_20scan_config_selectorItEEZZNS1_9scan_implILNS1_25lookback_scan_determinismE0ELb0ELb0ES3_N6thrust23THRUST_200600_302600_NS6detail15normal_iteratorINS9_10device_ptrItEEEESE_tNS9_4plusIvEEtEEDaPvRmT3_T4_T5_mT6_P12ihipStream_tbENKUlT_T0_E_clISt17integral_constantIbLb0EESU_EEDaSP_SQ_EUlSP_E0_NS1_11comp_targetILNS1_3genE5ELNS1_11target_archE942ELNS1_3gpuE9ELNS1_3repE0EEENS1_30default_config_static_selectorELNS0_4arch9wavefront6targetE1EEEvT1_ ; -- Begin function _ZN7rocprim17ROCPRIM_400000_NS6detail17trampoline_kernelINS0_14default_configENS1_20scan_config_selectorItEEZZNS1_9scan_implILNS1_25lookback_scan_determinismE0ELb0ELb0ES3_N6thrust23THRUST_200600_302600_NS6detail15normal_iteratorINS9_10device_ptrItEEEESE_tNS9_4plusIvEEtEEDaPvRmT3_T4_T5_mT6_P12ihipStream_tbENKUlT_T0_E_clISt17integral_constantIbLb0EESU_EEDaSP_SQ_EUlSP_E0_NS1_11comp_targetILNS1_3genE5ELNS1_11target_archE942ELNS1_3gpuE9ELNS1_3repE0EEENS1_30default_config_static_selectorELNS0_4arch9wavefront6targetE1EEEvT1_
	.globl	_ZN7rocprim17ROCPRIM_400000_NS6detail17trampoline_kernelINS0_14default_configENS1_20scan_config_selectorItEEZZNS1_9scan_implILNS1_25lookback_scan_determinismE0ELb0ELb0ES3_N6thrust23THRUST_200600_302600_NS6detail15normal_iteratorINS9_10device_ptrItEEEESE_tNS9_4plusIvEEtEEDaPvRmT3_T4_T5_mT6_P12ihipStream_tbENKUlT_T0_E_clISt17integral_constantIbLb0EESU_EEDaSP_SQ_EUlSP_E0_NS1_11comp_targetILNS1_3genE5ELNS1_11target_archE942ELNS1_3gpuE9ELNS1_3repE0EEENS1_30default_config_static_selectorELNS0_4arch9wavefront6targetE1EEEvT1_
	.p2align	8
	.type	_ZN7rocprim17ROCPRIM_400000_NS6detail17trampoline_kernelINS0_14default_configENS1_20scan_config_selectorItEEZZNS1_9scan_implILNS1_25lookback_scan_determinismE0ELb0ELb0ES3_N6thrust23THRUST_200600_302600_NS6detail15normal_iteratorINS9_10device_ptrItEEEESE_tNS9_4plusIvEEtEEDaPvRmT3_T4_T5_mT6_P12ihipStream_tbENKUlT_T0_E_clISt17integral_constantIbLb0EESU_EEDaSP_SQ_EUlSP_E0_NS1_11comp_targetILNS1_3genE5ELNS1_11target_archE942ELNS1_3gpuE9ELNS1_3repE0EEENS1_30default_config_static_selectorELNS0_4arch9wavefront6targetE1EEEvT1_,@function
_ZN7rocprim17ROCPRIM_400000_NS6detail17trampoline_kernelINS0_14default_configENS1_20scan_config_selectorItEEZZNS1_9scan_implILNS1_25lookback_scan_determinismE0ELb0ELb0ES3_N6thrust23THRUST_200600_302600_NS6detail15normal_iteratorINS9_10device_ptrItEEEESE_tNS9_4plusIvEEtEEDaPvRmT3_T4_T5_mT6_P12ihipStream_tbENKUlT_T0_E_clISt17integral_constantIbLb0EESU_EEDaSP_SQ_EUlSP_E0_NS1_11comp_targetILNS1_3genE5ELNS1_11target_archE942ELNS1_3gpuE9ELNS1_3repE0EEENS1_30default_config_static_selectorELNS0_4arch9wavefront6targetE1EEEvT1_: ; @_ZN7rocprim17ROCPRIM_400000_NS6detail17trampoline_kernelINS0_14default_configENS1_20scan_config_selectorItEEZZNS1_9scan_implILNS1_25lookback_scan_determinismE0ELb0ELb0ES3_N6thrust23THRUST_200600_302600_NS6detail15normal_iteratorINS9_10device_ptrItEEEESE_tNS9_4plusIvEEtEEDaPvRmT3_T4_T5_mT6_P12ihipStream_tbENKUlT_T0_E_clISt17integral_constantIbLb0EESU_EEDaSP_SQ_EUlSP_E0_NS1_11comp_targetILNS1_3genE5ELNS1_11target_archE942ELNS1_3gpuE9ELNS1_3repE0EEENS1_30default_config_static_selectorELNS0_4arch9wavefront6targetE1EEEvT1_
; %bb.0:
	.section	.rodata,"a",@progbits
	.p2align	6, 0x0
	.amdhsa_kernel _ZN7rocprim17ROCPRIM_400000_NS6detail17trampoline_kernelINS0_14default_configENS1_20scan_config_selectorItEEZZNS1_9scan_implILNS1_25lookback_scan_determinismE0ELb0ELb0ES3_N6thrust23THRUST_200600_302600_NS6detail15normal_iteratorINS9_10device_ptrItEEEESE_tNS9_4plusIvEEtEEDaPvRmT3_T4_T5_mT6_P12ihipStream_tbENKUlT_T0_E_clISt17integral_constantIbLb0EESU_EEDaSP_SQ_EUlSP_E0_NS1_11comp_targetILNS1_3genE5ELNS1_11target_archE942ELNS1_3gpuE9ELNS1_3repE0EEENS1_30default_config_static_selectorELNS0_4arch9wavefront6targetE1EEEvT1_
		.amdhsa_group_segment_fixed_size 0
		.amdhsa_private_segment_fixed_size 0
		.amdhsa_kernarg_size 32
		.amdhsa_user_sgpr_count 6
		.amdhsa_user_sgpr_private_segment_buffer 1
		.amdhsa_user_sgpr_dispatch_ptr 0
		.amdhsa_user_sgpr_queue_ptr 0
		.amdhsa_user_sgpr_kernarg_segment_ptr 1
		.amdhsa_user_sgpr_dispatch_id 0
		.amdhsa_user_sgpr_flat_scratch_init 0
		.amdhsa_user_sgpr_kernarg_preload_length 0
		.amdhsa_user_sgpr_kernarg_preload_offset 0
		.amdhsa_user_sgpr_private_segment_size 0
		.amdhsa_uses_dynamic_stack 0
		.amdhsa_system_sgpr_private_segment_wavefront_offset 0
		.amdhsa_system_sgpr_workgroup_id_x 1
		.amdhsa_system_sgpr_workgroup_id_y 0
		.amdhsa_system_sgpr_workgroup_id_z 0
		.amdhsa_system_sgpr_workgroup_info 0
		.amdhsa_system_vgpr_workitem_id 0
		.amdhsa_next_free_vgpr 1
		.amdhsa_next_free_sgpr 0
		.amdhsa_accum_offset 4
		.amdhsa_reserve_vcc 0
		.amdhsa_reserve_flat_scratch 0
		.amdhsa_float_round_mode_32 0
		.amdhsa_float_round_mode_16_64 0
		.amdhsa_float_denorm_mode_32 3
		.amdhsa_float_denorm_mode_16_64 3
		.amdhsa_dx10_clamp 1
		.amdhsa_ieee_mode 1
		.amdhsa_fp16_overflow 0
		.amdhsa_tg_split 0
		.amdhsa_exception_fp_ieee_invalid_op 0
		.amdhsa_exception_fp_denorm_src 0
		.amdhsa_exception_fp_ieee_div_zero 0
		.amdhsa_exception_fp_ieee_overflow 0
		.amdhsa_exception_fp_ieee_underflow 0
		.amdhsa_exception_fp_ieee_inexact 0
		.amdhsa_exception_int_div_zero 0
	.end_amdhsa_kernel
	.section	.text._ZN7rocprim17ROCPRIM_400000_NS6detail17trampoline_kernelINS0_14default_configENS1_20scan_config_selectorItEEZZNS1_9scan_implILNS1_25lookback_scan_determinismE0ELb0ELb0ES3_N6thrust23THRUST_200600_302600_NS6detail15normal_iteratorINS9_10device_ptrItEEEESE_tNS9_4plusIvEEtEEDaPvRmT3_T4_T5_mT6_P12ihipStream_tbENKUlT_T0_E_clISt17integral_constantIbLb0EESU_EEDaSP_SQ_EUlSP_E0_NS1_11comp_targetILNS1_3genE5ELNS1_11target_archE942ELNS1_3gpuE9ELNS1_3repE0EEENS1_30default_config_static_selectorELNS0_4arch9wavefront6targetE1EEEvT1_,"axG",@progbits,_ZN7rocprim17ROCPRIM_400000_NS6detail17trampoline_kernelINS0_14default_configENS1_20scan_config_selectorItEEZZNS1_9scan_implILNS1_25lookback_scan_determinismE0ELb0ELb0ES3_N6thrust23THRUST_200600_302600_NS6detail15normal_iteratorINS9_10device_ptrItEEEESE_tNS9_4plusIvEEtEEDaPvRmT3_T4_T5_mT6_P12ihipStream_tbENKUlT_T0_E_clISt17integral_constantIbLb0EESU_EEDaSP_SQ_EUlSP_E0_NS1_11comp_targetILNS1_3genE5ELNS1_11target_archE942ELNS1_3gpuE9ELNS1_3repE0EEENS1_30default_config_static_selectorELNS0_4arch9wavefront6targetE1EEEvT1_,comdat
.Lfunc_end4728:
	.size	_ZN7rocprim17ROCPRIM_400000_NS6detail17trampoline_kernelINS0_14default_configENS1_20scan_config_selectorItEEZZNS1_9scan_implILNS1_25lookback_scan_determinismE0ELb0ELb0ES3_N6thrust23THRUST_200600_302600_NS6detail15normal_iteratorINS9_10device_ptrItEEEESE_tNS9_4plusIvEEtEEDaPvRmT3_T4_T5_mT6_P12ihipStream_tbENKUlT_T0_E_clISt17integral_constantIbLb0EESU_EEDaSP_SQ_EUlSP_E0_NS1_11comp_targetILNS1_3genE5ELNS1_11target_archE942ELNS1_3gpuE9ELNS1_3repE0EEENS1_30default_config_static_selectorELNS0_4arch9wavefront6targetE1EEEvT1_, .Lfunc_end4728-_ZN7rocprim17ROCPRIM_400000_NS6detail17trampoline_kernelINS0_14default_configENS1_20scan_config_selectorItEEZZNS1_9scan_implILNS1_25lookback_scan_determinismE0ELb0ELb0ES3_N6thrust23THRUST_200600_302600_NS6detail15normal_iteratorINS9_10device_ptrItEEEESE_tNS9_4plusIvEEtEEDaPvRmT3_T4_T5_mT6_P12ihipStream_tbENKUlT_T0_E_clISt17integral_constantIbLb0EESU_EEDaSP_SQ_EUlSP_E0_NS1_11comp_targetILNS1_3genE5ELNS1_11target_archE942ELNS1_3gpuE9ELNS1_3repE0EEENS1_30default_config_static_selectorELNS0_4arch9wavefront6targetE1EEEvT1_
                                        ; -- End function
	.section	.AMDGPU.csdata,"",@progbits
; Kernel info:
; codeLenInByte = 0
; NumSgprs: 4
; NumVgprs: 0
; NumAgprs: 0
; TotalNumVgprs: 0
; ScratchSize: 0
; MemoryBound: 0
; FloatMode: 240
; IeeeMode: 1
; LDSByteSize: 0 bytes/workgroup (compile time only)
; SGPRBlocks: 0
; VGPRBlocks: 0
; NumSGPRsForWavesPerEU: 4
; NumVGPRsForWavesPerEU: 1
; AccumOffset: 4
; Occupancy: 8
; WaveLimiterHint : 0
; COMPUTE_PGM_RSRC2:SCRATCH_EN: 0
; COMPUTE_PGM_RSRC2:USER_SGPR: 6
; COMPUTE_PGM_RSRC2:TRAP_HANDLER: 0
; COMPUTE_PGM_RSRC2:TGID_X_EN: 1
; COMPUTE_PGM_RSRC2:TGID_Y_EN: 0
; COMPUTE_PGM_RSRC2:TGID_Z_EN: 0
; COMPUTE_PGM_RSRC2:TIDIG_COMP_CNT: 0
; COMPUTE_PGM_RSRC3_GFX90A:ACCUM_OFFSET: 0
; COMPUTE_PGM_RSRC3_GFX90A:TG_SPLIT: 0
	.section	.text._ZN7rocprim17ROCPRIM_400000_NS6detail17trampoline_kernelINS0_14default_configENS1_20scan_config_selectorItEEZZNS1_9scan_implILNS1_25lookback_scan_determinismE0ELb0ELb0ES3_N6thrust23THRUST_200600_302600_NS6detail15normal_iteratorINS9_10device_ptrItEEEESE_tNS9_4plusIvEEtEEDaPvRmT3_T4_T5_mT6_P12ihipStream_tbENKUlT_T0_E_clISt17integral_constantIbLb0EESU_EEDaSP_SQ_EUlSP_E0_NS1_11comp_targetILNS1_3genE4ELNS1_11target_archE910ELNS1_3gpuE8ELNS1_3repE0EEENS1_30default_config_static_selectorELNS0_4arch9wavefront6targetE1EEEvT1_,"axG",@progbits,_ZN7rocprim17ROCPRIM_400000_NS6detail17trampoline_kernelINS0_14default_configENS1_20scan_config_selectorItEEZZNS1_9scan_implILNS1_25lookback_scan_determinismE0ELb0ELb0ES3_N6thrust23THRUST_200600_302600_NS6detail15normal_iteratorINS9_10device_ptrItEEEESE_tNS9_4plusIvEEtEEDaPvRmT3_T4_T5_mT6_P12ihipStream_tbENKUlT_T0_E_clISt17integral_constantIbLb0EESU_EEDaSP_SQ_EUlSP_E0_NS1_11comp_targetILNS1_3genE4ELNS1_11target_archE910ELNS1_3gpuE8ELNS1_3repE0EEENS1_30default_config_static_selectorELNS0_4arch9wavefront6targetE1EEEvT1_,comdat
	.protected	_ZN7rocprim17ROCPRIM_400000_NS6detail17trampoline_kernelINS0_14default_configENS1_20scan_config_selectorItEEZZNS1_9scan_implILNS1_25lookback_scan_determinismE0ELb0ELb0ES3_N6thrust23THRUST_200600_302600_NS6detail15normal_iteratorINS9_10device_ptrItEEEESE_tNS9_4plusIvEEtEEDaPvRmT3_T4_T5_mT6_P12ihipStream_tbENKUlT_T0_E_clISt17integral_constantIbLb0EESU_EEDaSP_SQ_EUlSP_E0_NS1_11comp_targetILNS1_3genE4ELNS1_11target_archE910ELNS1_3gpuE8ELNS1_3repE0EEENS1_30default_config_static_selectorELNS0_4arch9wavefront6targetE1EEEvT1_ ; -- Begin function _ZN7rocprim17ROCPRIM_400000_NS6detail17trampoline_kernelINS0_14default_configENS1_20scan_config_selectorItEEZZNS1_9scan_implILNS1_25lookback_scan_determinismE0ELb0ELb0ES3_N6thrust23THRUST_200600_302600_NS6detail15normal_iteratorINS9_10device_ptrItEEEESE_tNS9_4plusIvEEtEEDaPvRmT3_T4_T5_mT6_P12ihipStream_tbENKUlT_T0_E_clISt17integral_constantIbLb0EESU_EEDaSP_SQ_EUlSP_E0_NS1_11comp_targetILNS1_3genE4ELNS1_11target_archE910ELNS1_3gpuE8ELNS1_3repE0EEENS1_30default_config_static_selectorELNS0_4arch9wavefront6targetE1EEEvT1_
	.globl	_ZN7rocprim17ROCPRIM_400000_NS6detail17trampoline_kernelINS0_14default_configENS1_20scan_config_selectorItEEZZNS1_9scan_implILNS1_25lookback_scan_determinismE0ELb0ELb0ES3_N6thrust23THRUST_200600_302600_NS6detail15normal_iteratorINS9_10device_ptrItEEEESE_tNS9_4plusIvEEtEEDaPvRmT3_T4_T5_mT6_P12ihipStream_tbENKUlT_T0_E_clISt17integral_constantIbLb0EESU_EEDaSP_SQ_EUlSP_E0_NS1_11comp_targetILNS1_3genE4ELNS1_11target_archE910ELNS1_3gpuE8ELNS1_3repE0EEENS1_30default_config_static_selectorELNS0_4arch9wavefront6targetE1EEEvT1_
	.p2align	8
	.type	_ZN7rocprim17ROCPRIM_400000_NS6detail17trampoline_kernelINS0_14default_configENS1_20scan_config_selectorItEEZZNS1_9scan_implILNS1_25lookback_scan_determinismE0ELb0ELb0ES3_N6thrust23THRUST_200600_302600_NS6detail15normal_iteratorINS9_10device_ptrItEEEESE_tNS9_4plusIvEEtEEDaPvRmT3_T4_T5_mT6_P12ihipStream_tbENKUlT_T0_E_clISt17integral_constantIbLb0EESU_EEDaSP_SQ_EUlSP_E0_NS1_11comp_targetILNS1_3genE4ELNS1_11target_archE910ELNS1_3gpuE8ELNS1_3repE0EEENS1_30default_config_static_selectorELNS0_4arch9wavefront6targetE1EEEvT1_,@function
_ZN7rocprim17ROCPRIM_400000_NS6detail17trampoline_kernelINS0_14default_configENS1_20scan_config_selectorItEEZZNS1_9scan_implILNS1_25lookback_scan_determinismE0ELb0ELb0ES3_N6thrust23THRUST_200600_302600_NS6detail15normal_iteratorINS9_10device_ptrItEEEESE_tNS9_4plusIvEEtEEDaPvRmT3_T4_T5_mT6_P12ihipStream_tbENKUlT_T0_E_clISt17integral_constantIbLb0EESU_EEDaSP_SQ_EUlSP_E0_NS1_11comp_targetILNS1_3genE4ELNS1_11target_archE910ELNS1_3gpuE8ELNS1_3repE0EEENS1_30default_config_static_selectorELNS0_4arch9wavefront6targetE1EEEvT1_: ; @_ZN7rocprim17ROCPRIM_400000_NS6detail17trampoline_kernelINS0_14default_configENS1_20scan_config_selectorItEEZZNS1_9scan_implILNS1_25lookback_scan_determinismE0ELb0ELb0ES3_N6thrust23THRUST_200600_302600_NS6detail15normal_iteratorINS9_10device_ptrItEEEESE_tNS9_4plusIvEEtEEDaPvRmT3_T4_T5_mT6_P12ihipStream_tbENKUlT_T0_E_clISt17integral_constantIbLb0EESU_EEDaSP_SQ_EUlSP_E0_NS1_11comp_targetILNS1_3genE4ELNS1_11target_archE910ELNS1_3gpuE8ELNS1_3repE0EEENS1_30default_config_static_selectorELNS0_4arch9wavefront6targetE1EEEvT1_
; %bb.0:
	s_load_dwordx4 s[52:55], s[4:5], 0x0
	v_mov_b32_e32 v1, 0
	v_lshlrev_b32_e32 v14, 1, v0
	s_waitcnt lgkmcnt(0)
	global_load_ushort v2, v1, s[52:53]
	v_cmp_gt_u32_e32 vcc, s54, v0
	s_waitcnt vmcnt(0)
	v_mov_b32_e32 v3, v2
	s_and_saveexec_b64 s[0:1], vcc
	s_cbranch_execz .LBB4729_2
; %bb.1:
	global_load_ushort v3, v14, s[52:53]
.LBB4729_2:
	s_or_b64 exec, exec, s[0:1]
	v_or_b32_e32 v1, 64, v0
	v_cmp_gt_u32_e64 s[0:1], s54, v1
	v_mov_b32_e32 v4, v2
	s_and_saveexec_b64 s[2:3], s[0:1]
	s_cbranch_execz .LBB4729_4
; %bb.3:
	global_load_ushort v4, v14, s[52:53] offset:128
.LBB4729_4:
	s_or_b64 exec, exec, s[2:3]
	v_or_b32_e32 v1, 0x80, v0
	v_cmp_gt_u32_e64 s[2:3], s54, v1
	v_mov_b32_e32 v5, v2
	s_and_saveexec_b64 s[6:7], s[2:3]
	s_cbranch_execz .LBB4729_6
; %bb.5:
	global_load_ushort v5, v14, s[52:53] offset:256
.LBB4729_6:
	;; [unrolled: 9-line block ×22, first 2 shown]
	s_or_b64 exec, exec, s[46:47]
	v_or_b32_e32 v1, 0x5c0, v0
	v_cmp_gt_u32_e64 s[46:47], s54, v1
	v_cmp_le_u32_e64 s[50:51], s54, v1
	s_and_saveexec_b64 s[54:55], s[50:51]
	s_xor_b64 s[50:51], exec, s[54:55]
; %bb.47:
	v_mov_b32_e32 v1, 0
; %bb.48:
	s_andn2_saveexec_b64 s[50:51], s[50:51]
	s_cbranch_execz .LBB4729_50
; %bb.49:
	global_load_ushort v2, v14, s[52:53] offset:2944
	v_mov_b32_e32 v1, 0
.LBB4729_50:
	s_or_b64 exec, exec, s[50:51]
	s_waitcnt vmcnt(0)
	ds_write_b16 v14, v3
	ds_write_b16 v14, v4 offset:128
	ds_write_b16 v14, v5 offset:256
	;; [unrolled: 1-line block ×23, first 2 shown]
	v_mad_u32_u24 v6, v0, 46, v14
	s_waitcnt lgkmcnt(0)
	; wave barrier
	s_waitcnt lgkmcnt(0)
	ds_read_b128 v[2:5], v6
	ds_read_b128 v[10:13], v6 offset:16
	ds_read_b128 v[6:9], v6 offset:32
	v_mbcnt_lo_u32_b32 v38, -1, 0
	v_mbcnt_hi_u32_b32 v38, -1, v38
	s_waitcnt lgkmcnt(2)
	v_add_u16_sdwa v15, v2, v2 dst_sel:DWORD dst_unused:UNUSED_PAD src0_sel:WORD_1 src1_sel:DWORD
	v_add_u16_e32 v16, v15, v3
	v_add_u16_sdwa v18, v16, v3 dst_sel:DWORD dst_unused:UNUSED_PAD src0_sel:DWORD src1_sel:WORD_1
	v_add_u16_e32 v20, v18, v4
	v_add_u16_sdwa v22, v20, v4 dst_sel:DWORD dst_unused:UNUSED_PAD src0_sel:DWORD src1_sel:WORD_1
	;; [unrolled: 2-line block ×3, first 2 shown]
	s_waitcnt lgkmcnt(1)
	v_add_u16_e32 v17, v28, v10
	v_add_u16_sdwa v19, v17, v10 dst_sel:DWORD dst_unused:UNUSED_PAD src0_sel:DWORD src1_sel:WORD_1
	v_add_u16_e32 v21, v19, v11
	v_add_u16_sdwa v24, v21, v11 dst_sel:DWORD dst_unused:UNUSED_PAD src0_sel:DWORD src1_sel:WORD_1
	;; [unrolled: 2-line block ×4, first 2 shown]
	s_waitcnt lgkmcnt(0)
	v_add_u16_e32 v23, v34, v6
	v_add_u16_sdwa v26, v23, v6 dst_sel:DWORD dst_unused:UNUSED_PAD src0_sel:DWORD src1_sel:WORD_1
	v_add_u16_e32 v29, v26, v7
	v_add_u16_sdwa v31, v29, v7 dst_sel:DWORD dst_unused:UNUSED_PAD src0_sel:DWORD src1_sel:WORD_1
	;; [unrolled: 2-line block ×4, first 2 shown]
	v_and_b32_e32 v39, 15, v38
	s_load_dwordx2 s[50:51], s[4:5], 0x18
	v_mov_b32_dpp v40, v37 row_shr:1 row_mask:0xf bank_mask:0xf
	v_cmp_ne_u32_e64 s[4:5], 0, v39
	v_cndmask_b32_e64 v40, 0, v40, s[4:5]
	v_add_u16_e32 v40, v40, v37
	v_cmp_lt_u32_e64 s[4:5], 1, v39
	s_waitcnt lgkmcnt(0)
	v_mov_b32_dpp v41, v40 row_shr:2 row_mask:0xf bank_mask:0xf
	v_cndmask_b32_e64 v41, 0, v41, s[4:5]
	v_add_u16_e32 v40, v40, v41
	v_cmp_lt_u32_e64 s[4:5], 3, v39
	; wave barrier
	s_nop 0
	v_mov_b32_dpp v41, v40 row_shr:4 row_mask:0xf bank_mask:0xf
	v_cndmask_b32_e64 v41, 0, v41, s[4:5]
	v_add_u16_e32 v40, v40, v41
	v_cmp_lt_u32_e64 s[4:5], 7, v39
	s_nop 0
	v_mov_b32_dpp v41, v40 row_shr:8 row_mask:0xf bank_mask:0xf
	v_cndmask_b32_e64 v39, 0, v41, s[4:5]
	v_add_u16_e32 v39, v40, v39
	v_and_b32_e32 v41, 16, v38
	v_cmp_ne_u32_e64 s[4:5], 0, v41
	v_mov_b32_dpp v40, v39 row_bcast:15 row_mask:0xf bank_mask:0xf
	v_cndmask_b32_e64 v40, 0, v40, s[4:5]
	v_add_u16_e32 v39, v39, v40
	v_cmp_lt_u32_e64 s[4:5], 31, v38
	s_nop 0
	v_mov_b32_dpp v40, v39 row_bcast:31 row_mask:0xf bank_mask:0xf
	v_cndmask_b32_e64 v40, 0, v40, s[4:5]
	v_add_u16_e32 v39, v39, v40
	v_cmp_eq_u32_e64 s[4:5], 63, v0
	s_and_saveexec_b64 s[52:53], s[4:5]
	s_cbranch_execz .LBB4729_52
; %bb.51:
	v_mov_b32_e32 v40, 0
	ds_write_b16 v40, v39
.LBB4729_52:
	s_or_b64 exec, exec, s[52:53]
	v_add_u32_e32 v40, -1, v38
	v_and_b32_e32 v41, 64, v38
	v_cmp_lt_i32_e64 s[4:5], v40, v41
	v_cndmask_b32_e64 v38, v40, v38, s[4:5]
	v_lshlrev_b32_e32 v38, 2, v38
	ds_bpermute_b32 v39, v38, v39
	v_mul_u32_u24_e32 v38, 46, v0
	v_cmp_ne_u32_e64 s[4:5], 0, v0
	s_waitcnt lgkmcnt(0)
	; wave barrier
	s_waitcnt lgkmcnt(0)
	s_and_saveexec_b64 s[52:53], s[4:5]
	s_cbranch_execz .LBB4729_54
; %bb.53:
	v_add_u16_e32 v39, v2, v39
	v_add_u16_sdwa v15, v39, v2 dst_sel:DWORD dst_unused:UNUSED_PAD src0_sel:DWORD src1_sel:WORD_1
	v_add_u16_e32 v16, v15, v3
	v_add_u16_sdwa v18, v16, v3 dst_sel:DWORD dst_unused:UNUSED_PAD src0_sel:DWORD src1_sel:WORD_1
	;; [unrolled: 2-line block ×12, first 2 shown]
	v_mov_b32_e32 v2, v39
	;;#ASMSTART
	;;#ASMEND
.LBB4729_54:
	s_or_b64 exec, exec, s[52:53]
	s_mov_b32 s4, 0x5040100
	v_add_u32_e32 v6, v14, v38
	v_perm_b32 v5, v28, v25, s4
	v_perm_b32 v4, v22, v20, s4
	;; [unrolled: 1-line block ×4, first 2 shown]
	s_waitcnt lgkmcnt(0)
	; wave barrier
	ds_write_b128 v6, v[2:5]
	v_perm_b32 v5, v34, v32, s4
	v_perm_b32 v4, v30, v27, s4
	;; [unrolled: 1-line block ×4, first 2 shown]
	ds_write_b128 v6, v[2:5] offset:16
	v_perm_b32 v5, v37, v36, s4
	v_perm_b32 v4, v35, v33, s4
	v_perm_b32 v3, v31, v29, s4
	v_perm_b32 v2, v26, v23, s4
	ds_write_b128 v6, v[2:5] offset:32
	s_waitcnt lgkmcnt(0)
	; wave barrier
	s_waitcnt lgkmcnt(0)
	ds_read_u16 v25, v14 offset:128
	ds_read_u16 v24, v14 offset:256
	;; [unrolled: 1-line block ×23, first 2 shown]
	v_lshlrev_b64 v[0:1], 1, v[0:1]
	v_mov_b32_e32 v26, s51
	v_add_co_u32_e64 v0, s[4:5], s50, v0
	v_addc_co_u32_e64 v1, s[4:5], v26, v1, s[4:5]
	s_and_saveexec_b64 s[4:5], vcc
	s_cbranch_execnz .LBB4729_79
; %bb.55:
	s_or_b64 exec, exec, s[4:5]
	s_and_saveexec_b64 s[4:5], s[0:1]
	s_cbranch_execnz .LBB4729_80
.LBB4729_56:
	s_or_b64 exec, exec, s[4:5]
	s_and_saveexec_b64 s[0:1], s[2:3]
	s_cbranch_execnz .LBB4729_81
.LBB4729_57:
	s_or_b64 exec, exec, s[0:1]
	s_and_saveexec_b64 s[0:1], s[48:49]
	s_cbranch_execnz .LBB4729_82
.LBB4729_58:
	s_or_b64 exec, exec, s[0:1]
	s_and_saveexec_b64 s[0:1], s[6:7]
	s_cbranch_execnz .LBB4729_83
.LBB4729_59:
	s_or_b64 exec, exec, s[0:1]
	s_and_saveexec_b64 s[0:1], s[8:9]
	s_cbranch_execnz .LBB4729_84
.LBB4729_60:
	s_or_b64 exec, exec, s[0:1]
	s_and_saveexec_b64 s[0:1], s[10:11]
	s_cbranch_execnz .LBB4729_85
.LBB4729_61:
	s_or_b64 exec, exec, s[0:1]
	s_and_saveexec_b64 s[0:1], s[12:13]
	s_cbranch_execnz .LBB4729_86
.LBB4729_62:
	s_or_b64 exec, exec, s[0:1]
	s_and_saveexec_b64 s[0:1], s[14:15]
	s_cbranch_execnz .LBB4729_87
.LBB4729_63:
	s_or_b64 exec, exec, s[0:1]
	s_and_saveexec_b64 s[0:1], s[16:17]
	s_cbranch_execnz .LBB4729_88
.LBB4729_64:
	s_or_b64 exec, exec, s[0:1]
	s_and_saveexec_b64 s[0:1], s[18:19]
	s_cbranch_execnz .LBB4729_89
.LBB4729_65:
	s_or_b64 exec, exec, s[0:1]
	s_and_saveexec_b64 s[0:1], s[20:21]
	s_cbranch_execnz .LBB4729_90
.LBB4729_66:
	s_or_b64 exec, exec, s[0:1]
	s_and_saveexec_b64 s[0:1], s[22:23]
	s_cbranch_execnz .LBB4729_91
.LBB4729_67:
	s_or_b64 exec, exec, s[0:1]
	s_and_saveexec_b64 s[0:1], s[24:25]
	s_cbranch_execnz .LBB4729_92
.LBB4729_68:
	s_or_b64 exec, exec, s[0:1]
	s_and_saveexec_b64 s[0:1], s[26:27]
	s_cbranch_execnz .LBB4729_93
.LBB4729_69:
	s_or_b64 exec, exec, s[0:1]
	s_and_saveexec_b64 s[0:1], s[28:29]
	s_cbranch_execnz .LBB4729_94
.LBB4729_70:
	s_or_b64 exec, exec, s[0:1]
	s_and_saveexec_b64 s[0:1], s[30:31]
	s_cbranch_execnz .LBB4729_95
.LBB4729_71:
	s_or_b64 exec, exec, s[0:1]
	s_and_saveexec_b64 s[0:1], s[34:35]
	s_cbranch_execnz .LBB4729_96
.LBB4729_72:
	s_or_b64 exec, exec, s[0:1]
	s_and_saveexec_b64 s[0:1], s[36:37]
	s_cbranch_execnz .LBB4729_97
.LBB4729_73:
	s_or_b64 exec, exec, s[0:1]
	s_and_saveexec_b64 s[0:1], s[38:39]
	s_cbranch_execnz .LBB4729_98
.LBB4729_74:
	s_or_b64 exec, exec, s[0:1]
	s_and_saveexec_b64 s[0:1], s[40:41]
	s_cbranch_execnz .LBB4729_99
.LBB4729_75:
	s_or_b64 exec, exec, s[0:1]
	s_and_saveexec_b64 s[0:1], s[42:43]
	s_cbranch_execnz .LBB4729_100
.LBB4729_76:
	s_or_b64 exec, exec, s[0:1]
	s_and_saveexec_b64 s[0:1], s[44:45]
	s_cbranch_execnz .LBB4729_101
.LBB4729_77:
	s_or_b64 exec, exec, s[0:1]
	s_and_saveexec_b64 s[0:1], s[46:47]
	s_cbranch_execnz .LBB4729_102
.LBB4729_78:
	s_endpgm
.LBB4729_79:
	ds_read_u16 v14, v14
	s_waitcnt lgkmcnt(0)
	global_store_short v[0:1], v14, off
	s_or_b64 exec, exec, s[4:5]
	s_and_saveexec_b64 s[4:5], s[0:1]
	s_cbranch_execz .LBB4729_56
.LBB4729_80:
	s_waitcnt lgkmcnt(14)
	global_store_short v[0:1], v25, off offset:128
	s_or_b64 exec, exec, s[4:5]
	s_and_saveexec_b64 s[0:1], s[2:3]
	s_cbranch_execz .LBB4729_57
.LBB4729_81:
	s_waitcnt lgkmcnt(14)
	global_store_short v[0:1], v24, off offset:256
	s_or_b64 exec, exec, s[0:1]
	s_and_saveexec_b64 s[0:1], s[48:49]
	s_cbranch_execz .LBB4729_58
.LBB4729_82:
	s_waitcnt lgkmcnt(14)
	global_store_short v[0:1], v23, off offset:384
	s_or_b64 exec, exec, s[0:1]
	s_and_saveexec_b64 s[0:1], s[6:7]
	s_cbranch_execz .LBB4729_59
.LBB4729_83:
	s_waitcnt lgkmcnt(14)
	global_store_short v[0:1], v22, off offset:512
	s_or_b64 exec, exec, s[0:1]
	s_and_saveexec_b64 s[0:1], s[8:9]
	s_cbranch_execz .LBB4729_60
.LBB4729_84:
	s_waitcnt lgkmcnt(14)
	global_store_short v[0:1], v21, off offset:640
	s_or_b64 exec, exec, s[0:1]
	s_and_saveexec_b64 s[0:1], s[10:11]
	s_cbranch_execz .LBB4729_61
.LBB4729_85:
	s_waitcnt lgkmcnt(14)
	global_store_short v[0:1], v20, off offset:768
	s_or_b64 exec, exec, s[0:1]
	s_and_saveexec_b64 s[0:1], s[12:13]
	s_cbranch_execz .LBB4729_62
.LBB4729_86:
	s_waitcnt lgkmcnt(14)
	global_store_short v[0:1], v19, off offset:896
	s_or_b64 exec, exec, s[0:1]
	s_and_saveexec_b64 s[0:1], s[14:15]
	s_cbranch_execz .LBB4729_63
.LBB4729_87:
	s_waitcnt lgkmcnt(14)
	global_store_short v[0:1], v18, off offset:1024
	s_or_b64 exec, exec, s[0:1]
	s_and_saveexec_b64 s[0:1], s[16:17]
	s_cbranch_execz .LBB4729_64
.LBB4729_88:
	s_waitcnt lgkmcnt(14)
	global_store_short v[0:1], v17, off offset:1152
	s_or_b64 exec, exec, s[0:1]
	s_and_saveexec_b64 s[0:1], s[18:19]
	s_cbranch_execz .LBB4729_65
.LBB4729_89:
	s_waitcnt lgkmcnt(13)
	global_store_short v[0:1], v16, off offset:1280
	s_or_b64 exec, exec, s[0:1]
	s_and_saveexec_b64 s[0:1], s[20:21]
	s_cbranch_execz .LBB4729_66
.LBB4729_90:
	s_waitcnt lgkmcnt(12)
	global_store_short v[0:1], v15, off offset:1408
	s_or_b64 exec, exec, s[0:1]
	s_and_saveexec_b64 s[0:1], s[22:23]
	s_cbranch_execz .LBB4729_67
.LBB4729_91:
	s_waitcnt lgkmcnt(11)
	global_store_short v[0:1], v13, off offset:1536
	s_or_b64 exec, exec, s[0:1]
	s_and_saveexec_b64 s[0:1], s[24:25]
	s_cbranch_execz .LBB4729_68
.LBB4729_92:
	s_waitcnt lgkmcnt(10)
	global_store_short v[0:1], v12, off offset:1664
	s_or_b64 exec, exec, s[0:1]
	s_and_saveexec_b64 s[0:1], s[26:27]
	s_cbranch_execz .LBB4729_69
.LBB4729_93:
	s_waitcnt lgkmcnt(9)
	global_store_short v[0:1], v11, off offset:1792
	s_or_b64 exec, exec, s[0:1]
	s_and_saveexec_b64 s[0:1], s[28:29]
	s_cbranch_execz .LBB4729_70
.LBB4729_94:
	s_waitcnt lgkmcnt(8)
	global_store_short v[0:1], v10, off offset:1920
	s_or_b64 exec, exec, s[0:1]
	s_and_saveexec_b64 s[0:1], s[30:31]
	s_cbranch_execz .LBB4729_71
.LBB4729_95:
	s_waitcnt lgkmcnt(7)
	global_store_short v[0:1], v9, off offset:2048
	s_or_b64 exec, exec, s[0:1]
	s_and_saveexec_b64 s[0:1], s[34:35]
	s_cbranch_execz .LBB4729_72
.LBB4729_96:
	s_waitcnt lgkmcnt(6)
	global_store_short v[0:1], v8, off offset:2176
	s_or_b64 exec, exec, s[0:1]
	s_and_saveexec_b64 s[0:1], s[36:37]
	s_cbranch_execz .LBB4729_73
.LBB4729_97:
	s_waitcnt lgkmcnt(5)
	global_store_short v[0:1], v7, off offset:2304
	s_or_b64 exec, exec, s[0:1]
	s_and_saveexec_b64 s[0:1], s[38:39]
	s_cbranch_execz .LBB4729_74
.LBB4729_98:
	s_waitcnt lgkmcnt(4)
	global_store_short v[0:1], v6, off offset:2432
	s_or_b64 exec, exec, s[0:1]
	s_and_saveexec_b64 s[0:1], s[40:41]
	s_cbranch_execz .LBB4729_75
.LBB4729_99:
	s_waitcnt lgkmcnt(3)
	global_store_short v[0:1], v5, off offset:2560
	s_or_b64 exec, exec, s[0:1]
	s_and_saveexec_b64 s[0:1], s[42:43]
	s_cbranch_execz .LBB4729_76
.LBB4729_100:
	s_waitcnt lgkmcnt(2)
	global_store_short v[0:1], v4, off offset:2688
	s_or_b64 exec, exec, s[0:1]
	s_and_saveexec_b64 s[0:1], s[44:45]
	s_cbranch_execz .LBB4729_77
.LBB4729_101:
	s_waitcnt lgkmcnt(1)
	global_store_short v[0:1], v3, off offset:2816
	s_or_b64 exec, exec, s[0:1]
	s_and_saveexec_b64 s[0:1], s[46:47]
	s_cbranch_execz .LBB4729_78
.LBB4729_102:
	s_waitcnt lgkmcnt(0)
	global_store_short v[0:1], v2, off offset:2944
	s_endpgm
	.section	.rodata,"a",@progbits
	.p2align	6, 0x0
	.amdhsa_kernel _ZN7rocprim17ROCPRIM_400000_NS6detail17trampoline_kernelINS0_14default_configENS1_20scan_config_selectorItEEZZNS1_9scan_implILNS1_25lookback_scan_determinismE0ELb0ELb0ES3_N6thrust23THRUST_200600_302600_NS6detail15normal_iteratorINS9_10device_ptrItEEEESE_tNS9_4plusIvEEtEEDaPvRmT3_T4_T5_mT6_P12ihipStream_tbENKUlT_T0_E_clISt17integral_constantIbLb0EESU_EEDaSP_SQ_EUlSP_E0_NS1_11comp_targetILNS1_3genE4ELNS1_11target_archE910ELNS1_3gpuE8ELNS1_3repE0EEENS1_30default_config_static_selectorELNS0_4arch9wavefront6targetE1EEEvT1_
		.amdhsa_group_segment_fixed_size 3072
		.amdhsa_private_segment_fixed_size 0
		.amdhsa_kernarg_size 32
		.amdhsa_user_sgpr_count 6
		.amdhsa_user_sgpr_private_segment_buffer 1
		.amdhsa_user_sgpr_dispatch_ptr 0
		.amdhsa_user_sgpr_queue_ptr 0
		.amdhsa_user_sgpr_kernarg_segment_ptr 1
		.amdhsa_user_sgpr_dispatch_id 0
		.amdhsa_user_sgpr_flat_scratch_init 0
		.amdhsa_user_sgpr_kernarg_preload_length 0
		.amdhsa_user_sgpr_kernarg_preload_offset 0
		.amdhsa_user_sgpr_private_segment_size 0
		.amdhsa_uses_dynamic_stack 0
		.amdhsa_system_sgpr_private_segment_wavefront_offset 0
		.amdhsa_system_sgpr_workgroup_id_x 1
		.amdhsa_system_sgpr_workgroup_id_y 0
		.amdhsa_system_sgpr_workgroup_id_z 0
		.amdhsa_system_sgpr_workgroup_info 0
		.amdhsa_system_vgpr_workitem_id 0
		.amdhsa_next_free_vgpr 42
		.amdhsa_next_free_sgpr 56
		.amdhsa_accum_offset 44
		.amdhsa_reserve_vcc 1
		.amdhsa_reserve_flat_scratch 0
		.amdhsa_float_round_mode_32 0
		.amdhsa_float_round_mode_16_64 0
		.amdhsa_float_denorm_mode_32 3
		.amdhsa_float_denorm_mode_16_64 3
		.amdhsa_dx10_clamp 1
		.amdhsa_ieee_mode 1
		.amdhsa_fp16_overflow 0
		.amdhsa_tg_split 0
		.amdhsa_exception_fp_ieee_invalid_op 0
		.amdhsa_exception_fp_denorm_src 0
		.amdhsa_exception_fp_ieee_div_zero 0
		.amdhsa_exception_fp_ieee_overflow 0
		.amdhsa_exception_fp_ieee_underflow 0
		.amdhsa_exception_fp_ieee_inexact 0
		.amdhsa_exception_int_div_zero 0
	.end_amdhsa_kernel
	.section	.text._ZN7rocprim17ROCPRIM_400000_NS6detail17trampoline_kernelINS0_14default_configENS1_20scan_config_selectorItEEZZNS1_9scan_implILNS1_25lookback_scan_determinismE0ELb0ELb0ES3_N6thrust23THRUST_200600_302600_NS6detail15normal_iteratorINS9_10device_ptrItEEEESE_tNS9_4plusIvEEtEEDaPvRmT3_T4_T5_mT6_P12ihipStream_tbENKUlT_T0_E_clISt17integral_constantIbLb0EESU_EEDaSP_SQ_EUlSP_E0_NS1_11comp_targetILNS1_3genE4ELNS1_11target_archE910ELNS1_3gpuE8ELNS1_3repE0EEENS1_30default_config_static_selectorELNS0_4arch9wavefront6targetE1EEEvT1_,"axG",@progbits,_ZN7rocprim17ROCPRIM_400000_NS6detail17trampoline_kernelINS0_14default_configENS1_20scan_config_selectorItEEZZNS1_9scan_implILNS1_25lookback_scan_determinismE0ELb0ELb0ES3_N6thrust23THRUST_200600_302600_NS6detail15normal_iteratorINS9_10device_ptrItEEEESE_tNS9_4plusIvEEtEEDaPvRmT3_T4_T5_mT6_P12ihipStream_tbENKUlT_T0_E_clISt17integral_constantIbLb0EESU_EEDaSP_SQ_EUlSP_E0_NS1_11comp_targetILNS1_3genE4ELNS1_11target_archE910ELNS1_3gpuE8ELNS1_3repE0EEENS1_30default_config_static_selectorELNS0_4arch9wavefront6targetE1EEEvT1_,comdat
.Lfunc_end4729:
	.size	_ZN7rocprim17ROCPRIM_400000_NS6detail17trampoline_kernelINS0_14default_configENS1_20scan_config_selectorItEEZZNS1_9scan_implILNS1_25lookback_scan_determinismE0ELb0ELb0ES3_N6thrust23THRUST_200600_302600_NS6detail15normal_iteratorINS9_10device_ptrItEEEESE_tNS9_4plusIvEEtEEDaPvRmT3_T4_T5_mT6_P12ihipStream_tbENKUlT_T0_E_clISt17integral_constantIbLb0EESU_EEDaSP_SQ_EUlSP_E0_NS1_11comp_targetILNS1_3genE4ELNS1_11target_archE910ELNS1_3gpuE8ELNS1_3repE0EEENS1_30default_config_static_selectorELNS0_4arch9wavefront6targetE1EEEvT1_, .Lfunc_end4729-_ZN7rocprim17ROCPRIM_400000_NS6detail17trampoline_kernelINS0_14default_configENS1_20scan_config_selectorItEEZZNS1_9scan_implILNS1_25lookback_scan_determinismE0ELb0ELb0ES3_N6thrust23THRUST_200600_302600_NS6detail15normal_iteratorINS9_10device_ptrItEEEESE_tNS9_4plusIvEEtEEDaPvRmT3_T4_T5_mT6_P12ihipStream_tbENKUlT_T0_E_clISt17integral_constantIbLb0EESU_EEDaSP_SQ_EUlSP_E0_NS1_11comp_targetILNS1_3genE4ELNS1_11target_archE910ELNS1_3gpuE8ELNS1_3repE0EEENS1_30default_config_static_selectorELNS0_4arch9wavefront6targetE1EEEvT1_
                                        ; -- End function
	.section	.AMDGPU.csdata,"",@progbits
; Kernel info:
; codeLenInByte = 3068
; NumSgprs: 60
; NumVgprs: 42
; NumAgprs: 0
; TotalNumVgprs: 42
; ScratchSize: 0
; MemoryBound: 0
; FloatMode: 240
; IeeeMode: 1
; LDSByteSize: 3072 bytes/workgroup (compile time only)
; SGPRBlocks: 7
; VGPRBlocks: 5
; NumSGPRsForWavesPerEU: 60
; NumVGPRsForWavesPerEU: 42
; AccumOffset: 44
; Occupancy: 6
; WaveLimiterHint : 0
; COMPUTE_PGM_RSRC2:SCRATCH_EN: 0
; COMPUTE_PGM_RSRC2:USER_SGPR: 6
; COMPUTE_PGM_RSRC2:TRAP_HANDLER: 0
; COMPUTE_PGM_RSRC2:TGID_X_EN: 1
; COMPUTE_PGM_RSRC2:TGID_Y_EN: 0
; COMPUTE_PGM_RSRC2:TGID_Z_EN: 0
; COMPUTE_PGM_RSRC2:TIDIG_COMP_CNT: 0
; COMPUTE_PGM_RSRC3_GFX90A:ACCUM_OFFSET: 10
; COMPUTE_PGM_RSRC3_GFX90A:TG_SPLIT: 0
	.section	.text._ZN7rocprim17ROCPRIM_400000_NS6detail17trampoline_kernelINS0_14default_configENS1_20scan_config_selectorItEEZZNS1_9scan_implILNS1_25lookback_scan_determinismE0ELb0ELb0ES3_N6thrust23THRUST_200600_302600_NS6detail15normal_iteratorINS9_10device_ptrItEEEESE_tNS9_4plusIvEEtEEDaPvRmT3_T4_T5_mT6_P12ihipStream_tbENKUlT_T0_E_clISt17integral_constantIbLb0EESU_EEDaSP_SQ_EUlSP_E0_NS1_11comp_targetILNS1_3genE3ELNS1_11target_archE908ELNS1_3gpuE7ELNS1_3repE0EEENS1_30default_config_static_selectorELNS0_4arch9wavefront6targetE1EEEvT1_,"axG",@progbits,_ZN7rocprim17ROCPRIM_400000_NS6detail17trampoline_kernelINS0_14default_configENS1_20scan_config_selectorItEEZZNS1_9scan_implILNS1_25lookback_scan_determinismE0ELb0ELb0ES3_N6thrust23THRUST_200600_302600_NS6detail15normal_iteratorINS9_10device_ptrItEEEESE_tNS9_4plusIvEEtEEDaPvRmT3_T4_T5_mT6_P12ihipStream_tbENKUlT_T0_E_clISt17integral_constantIbLb0EESU_EEDaSP_SQ_EUlSP_E0_NS1_11comp_targetILNS1_3genE3ELNS1_11target_archE908ELNS1_3gpuE7ELNS1_3repE0EEENS1_30default_config_static_selectorELNS0_4arch9wavefront6targetE1EEEvT1_,comdat
	.protected	_ZN7rocprim17ROCPRIM_400000_NS6detail17trampoline_kernelINS0_14default_configENS1_20scan_config_selectorItEEZZNS1_9scan_implILNS1_25lookback_scan_determinismE0ELb0ELb0ES3_N6thrust23THRUST_200600_302600_NS6detail15normal_iteratorINS9_10device_ptrItEEEESE_tNS9_4plusIvEEtEEDaPvRmT3_T4_T5_mT6_P12ihipStream_tbENKUlT_T0_E_clISt17integral_constantIbLb0EESU_EEDaSP_SQ_EUlSP_E0_NS1_11comp_targetILNS1_3genE3ELNS1_11target_archE908ELNS1_3gpuE7ELNS1_3repE0EEENS1_30default_config_static_selectorELNS0_4arch9wavefront6targetE1EEEvT1_ ; -- Begin function _ZN7rocprim17ROCPRIM_400000_NS6detail17trampoline_kernelINS0_14default_configENS1_20scan_config_selectorItEEZZNS1_9scan_implILNS1_25lookback_scan_determinismE0ELb0ELb0ES3_N6thrust23THRUST_200600_302600_NS6detail15normal_iteratorINS9_10device_ptrItEEEESE_tNS9_4plusIvEEtEEDaPvRmT3_T4_T5_mT6_P12ihipStream_tbENKUlT_T0_E_clISt17integral_constantIbLb0EESU_EEDaSP_SQ_EUlSP_E0_NS1_11comp_targetILNS1_3genE3ELNS1_11target_archE908ELNS1_3gpuE7ELNS1_3repE0EEENS1_30default_config_static_selectorELNS0_4arch9wavefront6targetE1EEEvT1_
	.globl	_ZN7rocprim17ROCPRIM_400000_NS6detail17trampoline_kernelINS0_14default_configENS1_20scan_config_selectorItEEZZNS1_9scan_implILNS1_25lookback_scan_determinismE0ELb0ELb0ES3_N6thrust23THRUST_200600_302600_NS6detail15normal_iteratorINS9_10device_ptrItEEEESE_tNS9_4plusIvEEtEEDaPvRmT3_T4_T5_mT6_P12ihipStream_tbENKUlT_T0_E_clISt17integral_constantIbLb0EESU_EEDaSP_SQ_EUlSP_E0_NS1_11comp_targetILNS1_3genE3ELNS1_11target_archE908ELNS1_3gpuE7ELNS1_3repE0EEENS1_30default_config_static_selectorELNS0_4arch9wavefront6targetE1EEEvT1_
	.p2align	8
	.type	_ZN7rocprim17ROCPRIM_400000_NS6detail17trampoline_kernelINS0_14default_configENS1_20scan_config_selectorItEEZZNS1_9scan_implILNS1_25lookback_scan_determinismE0ELb0ELb0ES3_N6thrust23THRUST_200600_302600_NS6detail15normal_iteratorINS9_10device_ptrItEEEESE_tNS9_4plusIvEEtEEDaPvRmT3_T4_T5_mT6_P12ihipStream_tbENKUlT_T0_E_clISt17integral_constantIbLb0EESU_EEDaSP_SQ_EUlSP_E0_NS1_11comp_targetILNS1_3genE3ELNS1_11target_archE908ELNS1_3gpuE7ELNS1_3repE0EEENS1_30default_config_static_selectorELNS0_4arch9wavefront6targetE1EEEvT1_,@function
_ZN7rocprim17ROCPRIM_400000_NS6detail17trampoline_kernelINS0_14default_configENS1_20scan_config_selectorItEEZZNS1_9scan_implILNS1_25lookback_scan_determinismE0ELb0ELb0ES3_N6thrust23THRUST_200600_302600_NS6detail15normal_iteratorINS9_10device_ptrItEEEESE_tNS9_4plusIvEEtEEDaPvRmT3_T4_T5_mT6_P12ihipStream_tbENKUlT_T0_E_clISt17integral_constantIbLb0EESU_EEDaSP_SQ_EUlSP_E0_NS1_11comp_targetILNS1_3genE3ELNS1_11target_archE908ELNS1_3gpuE7ELNS1_3repE0EEENS1_30default_config_static_selectorELNS0_4arch9wavefront6targetE1EEEvT1_: ; @_ZN7rocprim17ROCPRIM_400000_NS6detail17trampoline_kernelINS0_14default_configENS1_20scan_config_selectorItEEZZNS1_9scan_implILNS1_25lookback_scan_determinismE0ELb0ELb0ES3_N6thrust23THRUST_200600_302600_NS6detail15normal_iteratorINS9_10device_ptrItEEEESE_tNS9_4plusIvEEtEEDaPvRmT3_T4_T5_mT6_P12ihipStream_tbENKUlT_T0_E_clISt17integral_constantIbLb0EESU_EEDaSP_SQ_EUlSP_E0_NS1_11comp_targetILNS1_3genE3ELNS1_11target_archE908ELNS1_3gpuE7ELNS1_3repE0EEENS1_30default_config_static_selectorELNS0_4arch9wavefront6targetE1EEEvT1_
; %bb.0:
	.section	.rodata,"a",@progbits
	.p2align	6, 0x0
	.amdhsa_kernel _ZN7rocprim17ROCPRIM_400000_NS6detail17trampoline_kernelINS0_14default_configENS1_20scan_config_selectorItEEZZNS1_9scan_implILNS1_25lookback_scan_determinismE0ELb0ELb0ES3_N6thrust23THRUST_200600_302600_NS6detail15normal_iteratorINS9_10device_ptrItEEEESE_tNS9_4plusIvEEtEEDaPvRmT3_T4_T5_mT6_P12ihipStream_tbENKUlT_T0_E_clISt17integral_constantIbLb0EESU_EEDaSP_SQ_EUlSP_E0_NS1_11comp_targetILNS1_3genE3ELNS1_11target_archE908ELNS1_3gpuE7ELNS1_3repE0EEENS1_30default_config_static_selectorELNS0_4arch9wavefront6targetE1EEEvT1_
		.amdhsa_group_segment_fixed_size 0
		.amdhsa_private_segment_fixed_size 0
		.amdhsa_kernarg_size 32
		.amdhsa_user_sgpr_count 6
		.amdhsa_user_sgpr_private_segment_buffer 1
		.amdhsa_user_sgpr_dispatch_ptr 0
		.amdhsa_user_sgpr_queue_ptr 0
		.amdhsa_user_sgpr_kernarg_segment_ptr 1
		.amdhsa_user_sgpr_dispatch_id 0
		.amdhsa_user_sgpr_flat_scratch_init 0
		.amdhsa_user_sgpr_kernarg_preload_length 0
		.amdhsa_user_sgpr_kernarg_preload_offset 0
		.amdhsa_user_sgpr_private_segment_size 0
		.amdhsa_uses_dynamic_stack 0
		.amdhsa_system_sgpr_private_segment_wavefront_offset 0
		.amdhsa_system_sgpr_workgroup_id_x 1
		.amdhsa_system_sgpr_workgroup_id_y 0
		.amdhsa_system_sgpr_workgroup_id_z 0
		.amdhsa_system_sgpr_workgroup_info 0
		.amdhsa_system_vgpr_workitem_id 0
		.amdhsa_next_free_vgpr 1
		.amdhsa_next_free_sgpr 0
		.amdhsa_accum_offset 4
		.amdhsa_reserve_vcc 0
		.amdhsa_reserve_flat_scratch 0
		.amdhsa_float_round_mode_32 0
		.amdhsa_float_round_mode_16_64 0
		.amdhsa_float_denorm_mode_32 3
		.amdhsa_float_denorm_mode_16_64 3
		.amdhsa_dx10_clamp 1
		.amdhsa_ieee_mode 1
		.amdhsa_fp16_overflow 0
		.amdhsa_tg_split 0
		.amdhsa_exception_fp_ieee_invalid_op 0
		.amdhsa_exception_fp_denorm_src 0
		.amdhsa_exception_fp_ieee_div_zero 0
		.amdhsa_exception_fp_ieee_overflow 0
		.amdhsa_exception_fp_ieee_underflow 0
		.amdhsa_exception_fp_ieee_inexact 0
		.amdhsa_exception_int_div_zero 0
	.end_amdhsa_kernel
	.section	.text._ZN7rocprim17ROCPRIM_400000_NS6detail17trampoline_kernelINS0_14default_configENS1_20scan_config_selectorItEEZZNS1_9scan_implILNS1_25lookback_scan_determinismE0ELb0ELb0ES3_N6thrust23THRUST_200600_302600_NS6detail15normal_iteratorINS9_10device_ptrItEEEESE_tNS9_4plusIvEEtEEDaPvRmT3_T4_T5_mT6_P12ihipStream_tbENKUlT_T0_E_clISt17integral_constantIbLb0EESU_EEDaSP_SQ_EUlSP_E0_NS1_11comp_targetILNS1_3genE3ELNS1_11target_archE908ELNS1_3gpuE7ELNS1_3repE0EEENS1_30default_config_static_selectorELNS0_4arch9wavefront6targetE1EEEvT1_,"axG",@progbits,_ZN7rocprim17ROCPRIM_400000_NS6detail17trampoline_kernelINS0_14default_configENS1_20scan_config_selectorItEEZZNS1_9scan_implILNS1_25lookback_scan_determinismE0ELb0ELb0ES3_N6thrust23THRUST_200600_302600_NS6detail15normal_iteratorINS9_10device_ptrItEEEESE_tNS9_4plusIvEEtEEDaPvRmT3_T4_T5_mT6_P12ihipStream_tbENKUlT_T0_E_clISt17integral_constantIbLb0EESU_EEDaSP_SQ_EUlSP_E0_NS1_11comp_targetILNS1_3genE3ELNS1_11target_archE908ELNS1_3gpuE7ELNS1_3repE0EEENS1_30default_config_static_selectorELNS0_4arch9wavefront6targetE1EEEvT1_,comdat
.Lfunc_end4730:
	.size	_ZN7rocprim17ROCPRIM_400000_NS6detail17trampoline_kernelINS0_14default_configENS1_20scan_config_selectorItEEZZNS1_9scan_implILNS1_25lookback_scan_determinismE0ELb0ELb0ES3_N6thrust23THRUST_200600_302600_NS6detail15normal_iteratorINS9_10device_ptrItEEEESE_tNS9_4plusIvEEtEEDaPvRmT3_T4_T5_mT6_P12ihipStream_tbENKUlT_T0_E_clISt17integral_constantIbLb0EESU_EEDaSP_SQ_EUlSP_E0_NS1_11comp_targetILNS1_3genE3ELNS1_11target_archE908ELNS1_3gpuE7ELNS1_3repE0EEENS1_30default_config_static_selectorELNS0_4arch9wavefront6targetE1EEEvT1_, .Lfunc_end4730-_ZN7rocprim17ROCPRIM_400000_NS6detail17trampoline_kernelINS0_14default_configENS1_20scan_config_selectorItEEZZNS1_9scan_implILNS1_25lookback_scan_determinismE0ELb0ELb0ES3_N6thrust23THRUST_200600_302600_NS6detail15normal_iteratorINS9_10device_ptrItEEEESE_tNS9_4plusIvEEtEEDaPvRmT3_T4_T5_mT6_P12ihipStream_tbENKUlT_T0_E_clISt17integral_constantIbLb0EESU_EEDaSP_SQ_EUlSP_E0_NS1_11comp_targetILNS1_3genE3ELNS1_11target_archE908ELNS1_3gpuE7ELNS1_3repE0EEENS1_30default_config_static_selectorELNS0_4arch9wavefront6targetE1EEEvT1_
                                        ; -- End function
	.section	.AMDGPU.csdata,"",@progbits
; Kernel info:
; codeLenInByte = 0
; NumSgprs: 4
; NumVgprs: 0
; NumAgprs: 0
; TotalNumVgprs: 0
; ScratchSize: 0
; MemoryBound: 0
; FloatMode: 240
; IeeeMode: 1
; LDSByteSize: 0 bytes/workgroup (compile time only)
; SGPRBlocks: 0
; VGPRBlocks: 0
; NumSGPRsForWavesPerEU: 4
; NumVGPRsForWavesPerEU: 1
; AccumOffset: 4
; Occupancy: 8
; WaveLimiterHint : 0
; COMPUTE_PGM_RSRC2:SCRATCH_EN: 0
; COMPUTE_PGM_RSRC2:USER_SGPR: 6
; COMPUTE_PGM_RSRC2:TRAP_HANDLER: 0
; COMPUTE_PGM_RSRC2:TGID_X_EN: 1
; COMPUTE_PGM_RSRC2:TGID_Y_EN: 0
; COMPUTE_PGM_RSRC2:TGID_Z_EN: 0
; COMPUTE_PGM_RSRC2:TIDIG_COMP_CNT: 0
; COMPUTE_PGM_RSRC3_GFX90A:ACCUM_OFFSET: 0
; COMPUTE_PGM_RSRC3_GFX90A:TG_SPLIT: 0
	.section	.text._ZN7rocprim17ROCPRIM_400000_NS6detail17trampoline_kernelINS0_14default_configENS1_20scan_config_selectorItEEZZNS1_9scan_implILNS1_25lookback_scan_determinismE0ELb0ELb0ES3_N6thrust23THRUST_200600_302600_NS6detail15normal_iteratorINS9_10device_ptrItEEEESE_tNS9_4plusIvEEtEEDaPvRmT3_T4_T5_mT6_P12ihipStream_tbENKUlT_T0_E_clISt17integral_constantIbLb0EESU_EEDaSP_SQ_EUlSP_E0_NS1_11comp_targetILNS1_3genE2ELNS1_11target_archE906ELNS1_3gpuE6ELNS1_3repE0EEENS1_30default_config_static_selectorELNS0_4arch9wavefront6targetE1EEEvT1_,"axG",@progbits,_ZN7rocprim17ROCPRIM_400000_NS6detail17trampoline_kernelINS0_14default_configENS1_20scan_config_selectorItEEZZNS1_9scan_implILNS1_25lookback_scan_determinismE0ELb0ELb0ES3_N6thrust23THRUST_200600_302600_NS6detail15normal_iteratorINS9_10device_ptrItEEEESE_tNS9_4plusIvEEtEEDaPvRmT3_T4_T5_mT6_P12ihipStream_tbENKUlT_T0_E_clISt17integral_constantIbLb0EESU_EEDaSP_SQ_EUlSP_E0_NS1_11comp_targetILNS1_3genE2ELNS1_11target_archE906ELNS1_3gpuE6ELNS1_3repE0EEENS1_30default_config_static_selectorELNS0_4arch9wavefront6targetE1EEEvT1_,comdat
	.protected	_ZN7rocprim17ROCPRIM_400000_NS6detail17trampoline_kernelINS0_14default_configENS1_20scan_config_selectorItEEZZNS1_9scan_implILNS1_25lookback_scan_determinismE0ELb0ELb0ES3_N6thrust23THRUST_200600_302600_NS6detail15normal_iteratorINS9_10device_ptrItEEEESE_tNS9_4plusIvEEtEEDaPvRmT3_T4_T5_mT6_P12ihipStream_tbENKUlT_T0_E_clISt17integral_constantIbLb0EESU_EEDaSP_SQ_EUlSP_E0_NS1_11comp_targetILNS1_3genE2ELNS1_11target_archE906ELNS1_3gpuE6ELNS1_3repE0EEENS1_30default_config_static_selectorELNS0_4arch9wavefront6targetE1EEEvT1_ ; -- Begin function _ZN7rocprim17ROCPRIM_400000_NS6detail17trampoline_kernelINS0_14default_configENS1_20scan_config_selectorItEEZZNS1_9scan_implILNS1_25lookback_scan_determinismE0ELb0ELb0ES3_N6thrust23THRUST_200600_302600_NS6detail15normal_iteratorINS9_10device_ptrItEEEESE_tNS9_4plusIvEEtEEDaPvRmT3_T4_T5_mT6_P12ihipStream_tbENKUlT_T0_E_clISt17integral_constantIbLb0EESU_EEDaSP_SQ_EUlSP_E0_NS1_11comp_targetILNS1_3genE2ELNS1_11target_archE906ELNS1_3gpuE6ELNS1_3repE0EEENS1_30default_config_static_selectorELNS0_4arch9wavefront6targetE1EEEvT1_
	.globl	_ZN7rocprim17ROCPRIM_400000_NS6detail17trampoline_kernelINS0_14default_configENS1_20scan_config_selectorItEEZZNS1_9scan_implILNS1_25lookback_scan_determinismE0ELb0ELb0ES3_N6thrust23THRUST_200600_302600_NS6detail15normal_iteratorINS9_10device_ptrItEEEESE_tNS9_4plusIvEEtEEDaPvRmT3_T4_T5_mT6_P12ihipStream_tbENKUlT_T0_E_clISt17integral_constantIbLb0EESU_EEDaSP_SQ_EUlSP_E0_NS1_11comp_targetILNS1_3genE2ELNS1_11target_archE906ELNS1_3gpuE6ELNS1_3repE0EEENS1_30default_config_static_selectorELNS0_4arch9wavefront6targetE1EEEvT1_
	.p2align	8
	.type	_ZN7rocprim17ROCPRIM_400000_NS6detail17trampoline_kernelINS0_14default_configENS1_20scan_config_selectorItEEZZNS1_9scan_implILNS1_25lookback_scan_determinismE0ELb0ELb0ES3_N6thrust23THRUST_200600_302600_NS6detail15normal_iteratorINS9_10device_ptrItEEEESE_tNS9_4plusIvEEtEEDaPvRmT3_T4_T5_mT6_P12ihipStream_tbENKUlT_T0_E_clISt17integral_constantIbLb0EESU_EEDaSP_SQ_EUlSP_E0_NS1_11comp_targetILNS1_3genE2ELNS1_11target_archE906ELNS1_3gpuE6ELNS1_3repE0EEENS1_30default_config_static_selectorELNS0_4arch9wavefront6targetE1EEEvT1_,@function
_ZN7rocprim17ROCPRIM_400000_NS6detail17trampoline_kernelINS0_14default_configENS1_20scan_config_selectorItEEZZNS1_9scan_implILNS1_25lookback_scan_determinismE0ELb0ELb0ES3_N6thrust23THRUST_200600_302600_NS6detail15normal_iteratorINS9_10device_ptrItEEEESE_tNS9_4plusIvEEtEEDaPvRmT3_T4_T5_mT6_P12ihipStream_tbENKUlT_T0_E_clISt17integral_constantIbLb0EESU_EEDaSP_SQ_EUlSP_E0_NS1_11comp_targetILNS1_3genE2ELNS1_11target_archE906ELNS1_3gpuE6ELNS1_3repE0EEENS1_30default_config_static_selectorELNS0_4arch9wavefront6targetE1EEEvT1_: ; @_ZN7rocprim17ROCPRIM_400000_NS6detail17trampoline_kernelINS0_14default_configENS1_20scan_config_selectorItEEZZNS1_9scan_implILNS1_25lookback_scan_determinismE0ELb0ELb0ES3_N6thrust23THRUST_200600_302600_NS6detail15normal_iteratorINS9_10device_ptrItEEEESE_tNS9_4plusIvEEtEEDaPvRmT3_T4_T5_mT6_P12ihipStream_tbENKUlT_T0_E_clISt17integral_constantIbLb0EESU_EEDaSP_SQ_EUlSP_E0_NS1_11comp_targetILNS1_3genE2ELNS1_11target_archE906ELNS1_3gpuE6ELNS1_3repE0EEENS1_30default_config_static_selectorELNS0_4arch9wavefront6targetE1EEEvT1_
; %bb.0:
	.section	.rodata,"a",@progbits
	.p2align	6, 0x0
	.amdhsa_kernel _ZN7rocprim17ROCPRIM_400000_NS6detail17trampoline_kernelINS0_14default_configENS1_20scan_config_selectorItEEZZNS1_9scan_implILNS1_25lookback_scan_determinismE0ELb0ELb0ES3_N6thrust23THRUST_200600_302600_NS6detail15normal_iteratorINS9_10device_ptrItEEEESE_tNS9_4plusIvEEtEEDaPvRmT3_T4_T5_mT6_P12ihipStream_tbENKUlT_T0_E_clISt17integral_constantIbLb0EESU_EEDaSP_SQ_EUlSP_E0_NS1_11comp_targetILNS1_3genE2ELNS1_11target_archE906ELNS1_3gpuE6ELNS1_3repE0EEENS1_30default_config_static_selectorELNS0_4arch9wavefront6targetE1EEEvT1_
		.amdhsa_group_segment_fixed_size 0
		.amdhsa_private_segment_fixed_size 0
		.amdhsa_kernarg_size 32
		.amdhsa_user_sgpr_count 6
		.amdhsa_user_sgpr_private_segment_buffer 1
		.amdhsa_user_sgpr_dispatch_ptr 0
		.amdhsa_user_sgpr_queue_ptr 0
		.amdhsa_user_sgpr_kernarg_segment_ptr 1
		.amdhsa_user_sgpr_dispatch_id 0
		.amdhsa_user_sgpr_flat_scratch_init 0
		.amdhsa_user_sgpr_kernarg_preload_length 0
		.amdhsa_user_sgpr_kernarg_preload_offset 0
		.amdhsa_user_sgpr_private_segment_size 0
		.amdhsa_uses_dynamic_stack 0
		.amdhsa_system_sgpr_private_segment_wavefront_offset 0
		.amdhsa_system_sgpr_workgroup_id_x 1
		.amdhsa_system_sgpr_workgroup_id_y 0
		.amdhsa_system_sgpr_workgroup_id_z 0
		.amdhsa_system_sgpr_workgroup_info 0
		.amdhsa_system_vgpr_workitem_id 0
		.amdhsa_next_free_vgpr 1
		.amdhsa_next_free_sgpr 0
		.amdhsa_accum_offset 4
		.amdhsa_reserve_vcc 0
		.amdhsa_reserve_flat_scratch 0
		.amdhsa_float_round_mode_32 0
		.amdhsa_float_round_mode_16_64 0
		.amdhsa_float_denorm_mode_32 3
		.amdhsa_float_denorm_mode_16_64 3
		.amdhsa_dx10_clamp 1
		.amdhsa_ieee_mode 1
		.amdhsa_fp16_overflow 0
		.amdhsa_tg_split 0
		.amdhsa_exception_fp_ieee_invalid_op 0
		.amdhsa_exception_fp_denorm_src 0
		.amdhsa_exception_fp_ieee_div_zero 0
		.amdhsa_exception_fp_ieee_overflow 0
		.amdhsa_exception_fp_ieee_underflow 0
		.amdhsa_exception_fp_ieee_inexact 0
		.amdhsa_exception_int_div_zero 0
	.end_amdhsa_kernel
	.section	.text._ZN7rocprim17ROCPRIM_400000_NS6detail17trampoline_kernelINS0_14default_configENS1_20scan_config_selectorItEEZZNS1_9scan_implILNS1_25lookback_scan_determinismE0ELb0ELb0ES3_N6thrust23THRUST_200600_302600_NS6detail15normal_iteratorINS9_10device_ptrItEEEESE_tNS9_4plusIvEEtEEDaPvRmT3_T4_T5_mT6_P12ihipStream_tbENKUlT_T0_E_clISt17integral_constantIbLb0EESU_EEDaSP_SQ_EUlSP_E0_NS1_11comp_targetILNS1_3genE2ELNS1_11target_archE906ELNS1_3gpuE6ELNS1_3repE0EEENS1_30default_config_static_selectorELNS0_4arch9wavefront6targetE1EEEvT1_,"axG",@progbits,_ZN7rocprim17ROCPRIM_400000_NS6detail17trampoline_kernelINS0_14default_configENS1_20scan_config_selectorItEEZZNS1_9scan_implILNS1_25lookback_scan_determinismE0ELb0ELb0ES3_N6thrust23THRUST_200600_302600_NS6detail15normal_iteratorINS9_10device_ptrItEEEESE_tNS9_4plusIvEEtEEDaPvRmT3_T4_T5_mT6_P12ihipStream_tbENKUlT_T0_E_clISt17integral_constantIbLb0EESU_EEDaSP_SQ_EUlSP_E0_NS1_11comp_targetILNS1_3genE2ELNS1_11target_archE906ELNS1_3gpuE6ELNS1_3repE0EEENS1_30default_config_static_selectorELNS0_4arch9wavefront6targetE1EEEvT1_,comdat
.Lfunc_end4731:
	.size	_ZN7rocprim17ROCPRIM_400000_NS6detail17trampoline_kernelINS0_14default_configENS1_20scan_config_selectorItEEZZNS1_9scan_implILNS1_25lookback_scan_determinismE0ELb0ELb0ES3_N6thrust23THRUST_200600_302600_NS6detail15normal_iteratorINS9_10device_ptrItEEEESE_tNS9_4plusIvEEtEEDaPvRmT3_T4_T5_mT6_P12ihipStream_tbENKUlT_T0_E_clISt17integral_constantIbLb0EESU_EEDaSP_SQ_EUlSP_E0_NS1_11comp_targetILNS1_3genE2ELNS1_11target_archE906ELNS1_3gpuE6ELNS1_3repE0EEENS1_30default_config_static_selectorELNS0_4arch9wavefront6targetE1EEEvT1_, .Lfunc_end4731-_ZN7rocprim17ROCPRIM_400000_NS6detail17trampoline_kernelINS0_14default_configENS1_20scan_config_selectorItEEZZNS1_9scan_implILNS1_25lookback_scan_determinismE0ELb0ELb0ES3_N6thrust23THRUST_200600_302600_NS6detail15normal_iteratorINS9_10device_ptrItEEEESE_tNS9_4plusIvEEtEEDaPvRmT3_T4_T5_mT6_P12ihipStream_tbENKUlT_T0_E_clISt17integral_constantIbLb0EESU_EEDaSP_SQ_EUlSP_E0_NS1_11comp_targetILNS1_3genE2ELNS1_11target_archE906ELNS1_3gpuE6ELNS1_3repE0EEENS1_30default_config_static_selectorELNS0_4arch9wavefront6targetE1EEEvT1_
                                        ; -- End function
	.section	.AMDGPU.csdata,"",@progbits
; Kernel info:
; codeLenInByte = 0
; NumSgprs: 4
; NumVgprs: 0
; NumAgprs: 0
; TotalNumVgprs: 0
; ScratchSize: 0
; MemoryBound: 0
; FloatMode: 240
; IeeeMode: 1
; LDSByteSize: 0 bytes/workgroup (compile time only)
; SGPRBlocks: 0
; VGPRBlocks: 0
; NumSGPRsForWavesPerEU: 4
; NumVGPRsForWavesPerEU: 1
; AccumOffset: 4
; Occupancy: 8
; WaveLimiterHint : 0
; COMPUTE_PGM_RSRC2:SCRATCH_EN: 0
; COMPUTE_PGM_RSRC2:USER_SGPR: 6
; COMPUTE_PGM_RSRC2:TRAP_HANDLER: 0
; COMPUTE_PGM_RSRC2:TGID_X_EN: 1
; COMPUTE_PGM_RSRC2:TGID_Y_EN: 0
; COMPUTE_PGM_RSRC2:TGID_Z_EN: 0
; COMPUTE_PGM_RSRC2:TIDIG_COMP_CNT: 0
; COMPUTE_PGM_RSRC3_GFX90A:ACCUM_OFFSET: 0
; COMPUTE_PGM_RSRC3_GFX90A:TG_SPLIT: 0
	.section	.text._ZN7rocprim17ROCPRIM_400000_NS6detail17trampoline_kernelINS0_14default_configENS1_20scan_config_selectorItEEZZNS1_9scan_implILNS1_25lookback_scan_determinismE0ELb0ELb0ES3_N6thrust23THRUST_200600_302600_NS6detail15normal_iteratorINS9_10device_ptrItEEEESE_tNS9_4plusIvEEtEEDaPvRmT3_T4_T5_mT6_P12ihipStream_tbENKUlT_T0_E_clISt17integral_constantIbLb0EESU_EEDaSP_SQ_EUlSP_E0_NS1_11comp_targetILNS1_3genE10ELNS1_11target_archE1201ELNS1_3gpuE5ELNS1_3repE0EEENS1_30default_config_static_selectorELNS0_4arch9wavefront6targetE1EEEvT1_,"axG",@progbits,_ZN7rocprim17ROCPRIM_400000_NS6detail17trampoline_kernelINS0_14default_configENS1_20scan_config_selectorItEEZZNS1_9scan_implILNS1_25lookback_scan_determinismE0ELb0ELb0ES3_N6thrust23THRUST_200600_302600_NS6detail15normal_iteratorINS9_10device_ptrItEEEESE_tNS9_4plusIvEEtEEDaPvRmT3_T4_T5_mT6_P12ihipStream_tbENKUlT_T0_E_clISt17integral_constantIbLb0EESU_EEDaSP_SQ_EUlSP_E0_NS1_11comp_targetILNS1_3genE10ELNS1_11target_archE1201ELNS1_3gpuE5ELNS1_3repE0EEENS1_30default_config_static_selectorELNS0_4arch9wavefront6targetE1EEEvT1_,comdat
	.protected	_ZN7rocprim17ROCPRIM_400000_NS6detail17trampoline_kernelINS0_14default_configENS1_20scan_config_selectorItEEZZNS1_9scan_implILNS1_25lookback_scan_determinismE0ELb0ELb0ES3_N6thrust23THRUST_200600_302600_NS6detail15normal_iteratorINS9_10device_ptrItEEEESE_tNS9_4plusIvEEtEEDaPvRmT3_T4_T5_mT6_P12ihipStream_tbENKUlT_T0_E_clISt17integral_constantIbLb0EESU_EEDaSP_SQ_EUlSP_E0_NS1_11comp_targetILNS1_3genE10ELNS1_11target_archE1201ELNS1_3gpuE5ELNS1_3repE0EEENS1_30default_config_static_selectorELNS0_4arch9wavefront6targetE1EEEvT1_ ; -- Begin function _ZN7rocprim17ROCPRIM_400000_NS6detail17trampoline_kernelINS0_14default_configENS1_20scan_config_selectorItEEZZNS1_9scan_implILNS1_25lookback_scan_determinismE0ELb0ELb0ES3_N6thrust23THRUST_200600_302600_NS6detail15normal_iteratorINS9_10device_ptrItEEEESE_tNS9_4plusIvEEtEEDaPvRmT3_T4_T5_mT6_P12ihipStream_tbENKUlT_T0_E_clISt17integral_constantIbLb0EESU_EEDaSP_SQ_EUlSP_E0_NS1_11comp_targetILNS1_3genE10ELNS1_11target_archE1201ELNS1_3gpuE5ELNS1_3repE0EEENS1_30default_config_static_selectorELNS0_4arch9wavefront6targetE1EEEvT1_
	.globl	_ZN7rocprim17ROCPRIM_400000_NS6detail17trampoline_kernelINS0_14default_configENS1_20scan_config_selectorItEEZZNS1_9scan_implILNS1_25lookback_scan_determinismE0ELb0ELb0ES3_N6thrust23THRUST_200600_302600_NS6detail15normal_iteratorINS9_10device_ptrItEEEESE_tNS9_4plusIvEEtEEDaPvRmT3_T4_T5_mT6_P12ihipStream_tbENKUlT_T0_E_clISt17integral_constantIbLb0EESU_EEDaSP_SQ_EUlSP_E0_NS1_11comp_targetILNS1_3genE10ELNS1_11target_archE1201ELNS1_3gpuE5ELNS1_3repE0EEENS1_30default_config_static_selectorELNS0_4arch9wavefront6targetE1EEEvT1_
	.p2align	8
	.type	_ZN7rocprim17ROCPRIM_400000_NS6detail17trampoline_kernelINS0_14default_configENS1_20scan_config_selectorItEEZZNS1_9scan_implILNS1_25lookback_scan_determinismE0ELb0ELb0ES3_N6thrust23THRUST_200600_302600_NS6detail15normal_iteratorINS9_10device_ptrItEEEESE_tNS9_4plusIvEEtEEDaPvRmT3_T4_T5_mT6_P12ihipStream_tbENKUlT_T0_E_clISt17integral_constantIbLb0EESU_EEDaSP_SQ_EUlSP_E0_NS1_11comp_targetILNS1_3genE10ELNS1_11target_archE1201ELNS1_3gpuE5ELNS1_3repE0EEENS1_30default_config_static_selectorELNS0_4arch9wavefront6targetE1EEEvT1_,@function
_ZN7rocprim17ROCPRIM_400000_NS6detail17trampoline_kernelINS0_14default_configENS1_20scan_config_selectorItEEZZNS1_9scan_implILNS1_25lookback_scan_determinismE0ELb0ELb0ES3_N6thrust23THRUST_200600_302600_NS6detail15normal_iteratorINS9_10device_ptrItEEEESE_tNS9_4plusIvEEtEEDaPvRmT3_T4_T5_mT6_P12ihipStream_tbENKUlT_T0_E_clISt17integral_constantIbLb0EESU_EEDaSP_SQ_EUlSP_E0_NS1_11comp_targetILNS1_3genE10ELNS1_11target_archE1201ELNS1_3gpuE5ELNS1_3repE0EEENS1_30default_config_static_selectorELNS0_4arch9wavefront6targetE1EEEvT1_: ; @_ZN7rocprim17ROCPRIM_400000_NS6detail17trampoline_kernelINS0_14default_configENS1_20scan_config_selectorItEEZZNS1_9scan_implILNS1_25lookback_scan_determinismE0ELb0ELb0ES3_N6thrust23THRUST_200600_302600_NS6detail15normal_iteratorINS9_10device_ptrItEEEESE_tNS9_4plusIvEEtEEDaPvRmT3_T4_T5_mT6_P12ihipStream_tbENKUlT_T0_E_clISt17integral_constantIbLb0EESU_EEDaSP_SQ_EUlSP_E0_NS1_11comp_targetILNS1_3genE10ELNS1_11target_archE1201ELNS1_3gpuE5ELNS1_3repE0EEENS1_30default_config_static_selectorELNS0_4arch9wavefront6targetE1EEEvT1_
; %bb.0:
	.section	.rodata,"a",@progbits
	.p2align	6, 0x0
	.amdhsa_kernel _ZN7rocprim17ROCPRIM_400000_NS6detail17trampoline_kernelINS0_14default_configENS1_20scan_config_selectorItEEZZNS1_9scan_implILNS1_25lookback_scan_determinismE0ELb0ELb0ES3_N6thrust23THRUST_200600_302600_NS6detail15normal_iteratorINS9_10device_ptrItEEEESE_tNS9_4plusIvEEtEEDaPvRmT3_T4_T5_mT6_P12ihipStream_tbENKUlT_T0_E_clISt17integral_constantIbLb0EESU_EEDaSP_SQ_EUlSP_E0_NS1_11comp_targetILNS1_3genE10ELNS1_11target_archE1201ELNS1_3gpuE5ELNS1_3repE0EEENS1_30default_config_static_selectorELNS0_4arch9wavefront6targetE1EEEvT1_
		.amdhsa_group_segment_fixed_size 0
		.amdhsa_private_segment_fixed_size 0
		.amdhsa_kernarg_size 32
		.amdhsa_user_sgpr_count 6
		.amdhsa_user_sgpr_private_segment_buffer 1
		.amdhsa_user_sgpr_dispatch_ptr 0
		.amdhsa_user_sgpr_queue_ptr 0
		.amdhsa_user_sgpr_kernarg_segment_ptr 1
		.amdhsa_user_sgpr_dispatch_id 0
		.amdhsa_user_sgpr_flat_scratch_init 0
		.amdhsa_user_sgpr_kernarg_preload_length 0
		.amdhsa_user_sgpr_kernarg_preload_offset 0
		.amdhsa_user_sgpr_private_segment_size 0
		.amdhsa_uses_dynamic_stack 0
		.amdhsa_system_sgpr_private_segment_wavefront_offset 0
		.amdhsa_system_sgpr_workgroup_id_x 1
		.amdhsa_system_sgpr_workgroup_id_y 0
		.amdhsa_system_sgpr_workgroup_id_z 0
		.amdhsa_system_sgpr_workgroup_info 0
		.amdhsa_system_vgpr_workitem_id 0
		.amdhsa_next_free_vgpr 1
		.amdhsa_next_free_sgpr 0
		.amdhsa_accum_offset 4
		.amdhsa_reserve_vcc 0
		.amdhsa_reserve_flat_scratch 0
		.amdhsa_float_round_mode_32 0
		.amdhsa_float_round_mode_16_64 0
		.amdhsa_float_denorm_mode_32 3
		.amdhsa_float_denorm_mode_16_64 3
		.amdhsa_dx10_clamp 1
		.amdhsa_ieee_mode 1
		.amdhsa_fp16_overflow 0
		.amdhsa_tg_split 0
		.amdhsa_exception_fp_ieee_invalid_op 0
		.amdhsa_exception_fp_denorm_src 0
		.amdhsa_exception_fp_ieee_div_zero 0
		.amdhsa_exception_fp_ieee_overflow 0
		.amdhsa_exception_fp_ieee_underflow 0
		.amdhsa_exception_fp_ieee_inexact 0
		.amdhsa_exception_int_div_zero 0
	.end_amdhsa_kernel
	.section	.text._ZN7rocprim17ROCPRIM_400000_NS6detail17trampoline_kernelINS0_14default_configENS1_20scan_config_selectorItEEZZNS1_9scan_implILNS1_25lookback_scan_determinismE0ELb0ELb0ES3_N6thrust23THRUST_200600_302600_NS6detail15normal_iteratorINS9_10device_ptrItEEEESE_tNS9_4plusIvEEtEEDaPvRmT3_T4_T5_mT6_P12ihipStream_tbENKUlT_T0_E_clISt17integral_constantIbLb0EESU_EEDaSP_SQ_EUlSP_E0_NS1_11comp_targetILNS1_3genE10ELNS1_11target_archE1201ELNS1_3gpuE5ELNS1_3repE0EEENS1_30default_config_static_selectorELNS0_4arch9wavefront6targetE1EEEvT1_,"axG",@progbits,_ZN7rocprim17ROCPRIM_400000_NS6detail17trampoline_kernelINS0_14default_configENS1_20scan_config_selectorItEEZZNS1_9scan_implILNS1_25lookback_scan_determinismE0ELb0ELb0ES3_N6thrust23THRUST_200600_302600_NS6detail15normal_iteratorINS9_10device_ptrItEEEESE_tNS9_4plusIvEEtEEDaPvRmT3_T4_T5_mT6_P12ihipStream_tbENKUlT_T0_E_clISt17integral_constantIbLb0EESU_EEDaSP_SQ_EUlSP_E0_NS1_11comp_targetILNS1_3genE10ELNS1_11target_archE1201ELNS1_3gpuE5ELNS1_3repE0EEENS1_30default_config_static_selectorELNS0_4arch9wavefront6targetE1EEEvT1_,comdat
.Lfunc_end4732:
	.size	_ZN7rocprim17ROCPRIM_400000_NS6detail17trampoline_kernelINS0_14default_configENS1_20scan_config_selectorItEEZZNS1_9scan_implILNS1_25lookback_scan_determinismE0ELb0ELb0ES3_N6thrust23THRUST_200600_302600_NS6detail15normal_iteratorINS9_10device_ptrItEEEESE_tNS9_4plusIvEEtEEDaPvRmT3_T4_T5_mT6_P12ihipStream_tbENKUlT_T0_E_clISt17integral_constantIbLb0EESU_EEDaSP_SQ_EUlSP_E0_NS1_11comp_targetILNS1_3genE10ELNS1_11target_archE1201ELNS1_3gpuE5ELNS1_3repE0EEENS1_30default_config_static_selectorELNS0_4arch9wavefront6targetE1EEEvT1_, .Lfunc_end4732-_ZN7rocprim17ROCPRIM_400000_NS6detail17trampoline_kernelINS0_14default_configENS1_20scan_config_selectorItEEZZNS1_9scan_implILNS1_25lookback_scan_determinismE0ELb0ELb0ES3_N6thrust23THRUST_200600_302600_NS6detail15normal_iteratorINS9_10device_ptrItEEEESE_tNS9_4plusIvEEtEEDaPvRmT3_T4_T5_mT6_P12ihipStream_tbENKUlT_T0_E_clISt17integral_constantIbLb0EESU_EEDaSP_SQ_EUlSP_E0_NS1_11comp_targetILNS1_3genE10ELNS1_11target_archE1201ELNS1_3gpuE5ELNS1_3repE0EEENS1_30default_config_static_selectorELNS0_4arch9wavefront6targetE1EEEvT1_
                                        ; -- End function
	.section	.AMDGPU.csdata,"",@progbits
; Kernel info:
; codeLenInByte = 0
; NumSgprs: 4
; NumVgprs: 0
; NumAgprs: 0
; TotalNumVgprs: 0
; ScratchSize: 0
; MemoryBound: 0
; FloatMode: 240
; IeeeMode: 1
; LDSByteSize: 0 bytes/workgroup (compile time only)
; SGPRBlocks: 0
; VGPRBlocks: 0
; NumSGPRsForWavesPerEU: 4
; NumVGPRsForWavesPerEU: 1
; AccumOffset: 4
; Occupancy: 8
; WaveLimiterHint : 0
; COMPUTE_PGM_RSRC2:SCRATCH_EN: 0
; COMPUTE_PGM_RSRC2:USER_SGPR: 6
; COMPUTE_PGM_RSRC2:TRAP_HANDLER: 0
; COMPUTE_PGM_RSRC2:TGID_X_EN: 1
; COMPUTE_PGM_RSRC2:TGID_Y_EN: 0
; COMPUTE_PGM_RSRC2:TGID_Z_EN: 0
; COMPUTE_PGM_RSRC2:TIDIG_COMP_CNT: 0
; COMPUTE_PGM_RSRC3_GFX90A:ACCUM_OFFSET: 0
; COMPUTE_PGM_RSRC3_GFX90A:TG_SPLIT: 0
	.section	.text._ZN7rocprim17ROCPRIM_400000_NS6detail17trampoline_kernelINS0_14default_configENS1_20scan_config_selectorItEEZZNS1_9scan_implILNS1_25lookback_scan_determinismE0ELb0ELb0ES3_N6thrust23THRUST_200600_302600_NS6detail15normal_iteratorINS9_10device_ptrItEEEESE_tNS9_4plusIvEEtEEDaPvRmT3_T4_T5_mT6_P12ihipStream_tbENKUlT_T0_E_clISt17integral_constantIbLb0EESU_EEDaSP_SQ_EUlSP_E0_NS1_11comp_targetILNS1_3genE10ELNS1_11target_archE1200ELNS1_3gpuE4ELNS1_3repE0EEENS1_30default_config_static_selectorELNS0_4arch9wavefront6targetE1EEEvT1_,"axG",@progbits,_ZN7rocprim17ROCPRIM_400000_NS6detail17trampoline_kernelINS0_14default_configENS1_20scan_config_selectorItEEZZNS1_9scan_implILNS1_25lookback_scan_determinismE0ELb0ELb0ES3_N6thrust23THRUST_200600_302600_NS6detail15normal_iteratorINS9_10device_ptrItEEEESE_tNS9_4plusIvEEtEEDaPvRmT3_T4_T5_mT6_P12ihipStream_tbENKUlT_T0_E_clISt17integral_constantIbLb0EESU_EEDaSP_SQ_EUlSP_E0_NS1_11comp_targetILNS1_3genE10ELNS1_11target_archE1200ELNS1_3gpuE4ELNS1_3repE0EEENS1_30default_config_static_selectorELNS0_4arch9wavefront6targetE1EEEvT1_,comdat
	.protected	_ZN7rocprim17ROCPRIM_400000_NS6detail17trampoline_kernelINS0_14default_configENS1_20scan_config_selectorItEEZZNS1_9scan_implILNS1_25lookback_scan_determinismE0ELb0ELb0ES3_N6thrust23THRUST_200600_302600_NS6detail15normal_iteratorINS9_10device_ptrItEEEESE_tNS9_4plusIvEEtEEDaPvRmT3_T4_T5_mT6_P12ihipStream_tbENKUlT_T0_E_clISt17integral_constantIbLb0EESU_EEDaSP_SQ_EUlSP_E0_NS1_11comp_targetILNS1_3genE10ELNS1_11target_archE1200ELNS1_3gpuE4ELNS1_3repE0EEENS1_30default_config_static_selectorELNS0_4arch9wavefront6targetE1EEEvT1_ ; -- Begin function _ZN7rocprim17ROCPRIM_400000_NS6detail17trampoline_kernelINS0_14default_configENS1_20scan_config_selectorItEEZZNS1_9scan_implILNS1_25lookback_scan_determinismE0ELb0ELb0ES3_N6thrust23THRUST_200600_302600_NS6detail15normal_iteratorINS9_10device_ptrItEEEESE_tNS9_4plusIvEEtEEDaPvRmT3_T4_T5_mT6_P12ihipStream_tbENKUlT_T0_E_clISt17integral_constantIbLb0EESU_EEDaSP_SQ_EUlSP_E0_NS1_11comp_targetILNS1_3genE10ELNS1_11target_archE1200ELNS1_3gpuE4ELNS1_3repE0EEENS1_30default_config_static_selectorELNS0_4arch9wavefront6targetE1EEEvT1_
	.globl	_ZN7rocprim17ROCPRIM_400000_NS6detail17trampoline_kernelINS0_14default_configENS1_20scan_config_selectorItEEZZNS1_9scan_implILNS1_25lookback_scan_determinismE0ELb0ELb0ES3_N6thrust23THRUST_200600_302600_NS6detail15normal_iteratorINS9_10device_ptrItEEEESE_tNS9_4plusIvEEtEEDaPvRmT3_T4_T5_mT6_P12ihipStream_tbENKUlT_T0_E_clISt17integral_constantIbLb0EESU_EEDaSP_SQ_EUlSP_E0_NS1_11comp_targetILNS1_3genE10ELNS1_11target_archE1200ELNS1_3gpuE4ELNS1_3repE0EEENS1_30default_config_static_selectorELNS0_4arch9wavefront6targetE1EEEvT1_
	.p2align	8
	.type	_ZN7rocprim17ROCPRIM_400000_NS6detail17trampoline_kernelINS0_14default_configENS1_20scan_config_selectorItEEZZNS1_9scan_implILNS1_25lookback_scan_determinismE0ELb0ELb0ES3_N6thrust23THRUST_200600_302600_NS6detail15normal_iteratorINS9_10device_ptrItEEEESE_tNS9_4plusIvEEtEEDaPvRmT3_T4_T5_mT6_P12ihipStream_tbENKUlT_T0_E_clISt17integral_constantIbLb0EESU_EEDaSP_SQ_EUlSP_E0_NS1_11comp_targetILNS1_3genE10ELNS1_11target_archE1200ELNS1_3gpuE4ELNS1_3repE0EEENS1_30default_config_static_selectorELNS0_4arch9wavefront6targetE1EEEvT1_,@function
_ZN7rocprim17ROCPRIM_400000_NS6detail17trampoline_kernelINS0_14default_configENS1_20scan_config_selectorItEEZZNS1_9scan_implILNS1_25lookback_scan_determinismE0ELb0ELb0ES3_N6thrust23THRUST_200600_302600_NS6detail15normal_iteratorINS9_10device_ptrItEEEESE_tNS9_4plusIvEEtEEDaPvRmT3_T4_T5_mT6_P12ihipStream_tbENKUlT_T0_E_clISt17integral_constantIbLb0EESU_EEDaSP_SQ_EUlSP_E0_NS1_11comp_targetILNS1_3genE10ELNS1_11target_archE1200ELNS1_3gpuE4ELNS1_3repE0EEENS1_30default_config_static_selectorELNS0_4arch9wavefront6targetE1EEEvT1_: ; @_ZN7rocprim17ROCPRIM_400000_NS6detail17trampoline_kernelINS0_14default_configENS1_20scan_config_selectorItEEZZNS1_9scan_implILNS1_25lookback_scan_determinismE0ELb0ELb0ES3_N6thrust23THRUST_200600_302600_NS6detail15normal_iteratorINS9_10device_ptrItEEEESE_tNS9_4plusIvEEtEEDaPvRmT3_T4_T5_mT6_P12ihipStream_tbENKUlT_T0_E_clISt17integral_constantIbLb0EESU_EEDaSP_SQ_EUlSP_E0_NS1_11comp_targetILNS1_3genE10ELNS1_11target_archE1200ELNS1_3gpuE4ELNS1_3repE0EEENS1_30default_config_static_selectorELNS0_4arch9wavefront6targetE1EEEvT1_
; %bb.0:
	.section	.rodata,"a",@progbits
	.p2align	6, 0x0
	.amdhsa_kernel _ZN7rocprim17ROCPRIM_400000_NS6detail17trampoline_kernelINS0_14default_configENS1_20scan_config_selectorItEEZZNS1_9scan_implILNS1_25lookback_scan_determinismE0ELb0ELb0ES3_N6thrust23THRUST_200600_302600_NS6detail15normal_iteratorINS9_10device_ptrItEEEESE_tNS9_4plusIvEEtEEDaPvRmT3_T4_T5_mT6_P12ihipStream_tbENKUlT_T0_E_clISt17integral_constantIbLb0EESU_EEDaSP_SQ_EUlSP_E0_NS1_11comp_targetILNS1_3genE10ELNS1_11target_archE1200ELNS1_3gpuE4ELNS1_3repE0EEENS1_30default_config_static_selectorELNS0_4arch9wavefront6targetE1EEEvT1_
		.amdhsa_group_segment_fixed_size 0
		.amdhsa_private_segment_fixed_size 0
		.amdhsa_kernarg_size 32
		.amdhsa_user_sgpr_count 6
		.amdhsa_user_sgpr_private_segment_buffer 1
		.amdhsa_user_sgpr_dispatch_ptr 0
		.amdhsa_user_sgpr_queue_ptr 0
		.amdhsa_user_sgpr_kernarg_segment_ptr 1
		.amdhsa_user_sgpr_dispatch_id 0
		.amdhsa_user_sgpr_flat_scratch_init 0
		.amdhsa_user_sgpr_kernarg_preload_length 0
		.amdhsa_user_sgpr_kernarg_preload_offset 0
		.amdhsa_user_sgpr_private_segment_size 0
		.amdhsa_uses_dynamic_stack 0
		.amdhsa_system_sgpr_private_segment_wavefront_offset 0
		.amdhsa_system_sgpr_workgroup_id_x 1
		.amdhsa_system_sgpr_workgroup_id_y 0
		.amdhsa_system_sgpr_workgroup_id_z 0
		.amdhsa_system_sgpr_workgroup_info 0
		.amdhsa_system_vgpr_workitem_id 0
		.amdhsa_next_free_vgpr 1
		.amdhsa_next_free_sgpr 0
		.amdhsa_accum_offset 4
		.amdhsa_reserve_vcc 0
		.amdhsa_reserve_flat_scratch 0
		.amdhsa_float_round_mode_32 0
		.amdhsa_float_round_mode_16_64 0
		.amdhsa_float_denorm_mode_32 3
		.amdhsa_float_denorm_mode_16_64 3
		.amdhsa_dx10_clamp 1
		.amdhsa_ieee_mode 1
		.amdhsa_fp16_overflow 0
		.amdhsa_tg_split 0
		.amdhsa_exception_fp_ieee_invalid_op 0
		.amdhsa_exception_fp_denorm_src 0
		.amdhsa_exception_fp_ieee_div_zero 0
		.amdhsa_exception_fp_ieee_overflow 0
		.amdhsa_exception_fp_ieee_underflow 0
		.amdhsa_exception_fp_ieee_inexact 0
		.amdhsa_exception_int_div_zero 0
	.end_amdhsa_kernel
	.section	.text._ZN7rocprim17ROCPRIM_400000_NS6detail17trampoline_kernelINS0_14default_configENS1_20scan_config_selectorItEEZZNS1_9scan_implILNS1_25lookback_scan_determinismE0ELb0ELb0ES3_N6thrust23THRUST_200600_302600_NS6detail15normal_iteratorINS9_10device_ptrItEEEESE_tNS9_4plusIvEEtEEDaPvRmT3_T4_T5_mT6_P12ihipStream_tbENKUlT_T0_E_clISt17integral_constantIbLb0EESU_EEDaSP_SQ_EUlSP_E0_NS1_11comp_targetILNS1_3genE10ELNS1_11target_archE1200ELNS1_3gpuE4ELNS1_3repE0EEENS1_30default_config_static_selectorELNS0_4arch9wavefront6targetE1EEEvT1_,"axG",@progbits,_ZN7rocprim17ROCPRIM_400000_NS6detail17trampoline_kernelINS0_14default_configENS1_20scan_config_selectorItEEZZNS1_9scan_implILNS1_25lookback_scan_determinismE0ELb0ELb0ES3_N6thrust23THRUST_200600_302600_NS6detail15normal_iteratorINS9_10device_ptrItEEEESE_tNS9_4plusIvEEtEEDaPvRmT3_T4_T5_mT6_P12ihipStream_tbENKUlT_T0_E_clISt17integral_constantIbLb0EESU_EEDaSP_SQ_EUlSP_E0_NS1_11comp_targetILNS1_3genE10ELNS1_11target_archE1200ELNS1_3gpuE4ELNS1_3repE0EEENS1_30default_config_static_selectorELNS0_4arch9wavefront6targetE1EEEvT1_,comdat
.Lfunc_end4733:
	.size	_ZN7rocprim17ROCPRIM_400000_NS6detail17trampoline_kernelINS0_14default_configENS1_20scan_config_selectorItEEZZNS1_9scan_implILNS1_25lookback_scan_determinismE0ELb0ELb0ES3_N6thrust23THRUST_200600_302600_NS6detail15normal_iteratorINS9_10device_ptrItEEEESE_tNS9_4plusIvEEtEEDaPvRmT3_T4_T5_mT6_P12ihipStream_tbENKUlT_T0_E_clISt17integral_constantIbLb0EESU_EEDaSP_SQ_EUlSP_E0_NS1_11comp_targetILNS1_3genE10ELNS1_11target_archE1200ELNS1_3gpuE4ELNS1_3repE0EEENS1_30default_config_static_selectorELNS0_4arch9wavefront6targetE1EEEvT1_, .Lfunc_end4733-_ZN7rocprim17ROCPRIM_400000_NS6detail17trampoline_kernelINS0_14default_configENS1_20scan_config_selectorItEEZZNS1_9scan_implILNS1_25lookback_scan_determinismE0ELb0ELb0ES3_N6thrust23THRUST_200600_302600_NS6detail15normal_iteratorINS9_10device_ptrItEEEESE_tNS9_4plusIvEEtEEDaPvRmT3_T4_T5_mT6_P12ihipStream_tbENKUlT_T0_E_clISt17integral_constantIbLb0EESU_EEDaSP_SQ_EUlSP_E0_NS1_11comp_targetILNS1_3genE10ELNS1_11target_archE1200ELNS1_3gpuE4ELNS1_3repE0EEENS1_30default_config_static_selectorELNS0_4arch9wavefront6targetE1EEEvT1_
                                        ; -- End function
	.section	.AMDGPU.csdata,"",@progbits
; Kernel info:
; codeLenInByte = 0
; NumSgprs: 4
; NumVgprs: 0
; NumAgprs: 0
; TotalNumVgprs: 0
; ScratchSize: 0
; MemoryBound: 0
; FloatMode: 240
; IeeeMode: 1
; LDSByteSize: 0 bytes/workgroup (compile time only)
; SGPRBlocks: 0
; VGPRBlocks: 0
; NumSGPRsForWavesPerEU: 4
; NumVGPRsForWavesPerEU: 1
; AccumOffset: 4
; Occupancy: 8
; WaveLimiterHint : 0
; COMPUTE_PGM_RSRC2:SCRATCH_EN: 0
; COMPUTE_PGM_RSRC2:USER_SGPR: 6
; COMPUTE_PGM_RSRC2:TRAP_HANDLER: 0
; COMPUTE_PGM_RSRC2:TGID_X_EN: 1
; COMPUTE_PGM_RSRC2:TGID_Y_EN: 0
; COMPUTE_PGM_RSRC2:TGID_Z_EN: 0
; COMPUTE_PGM_RSRC2:TIDIG_COMP_CNT: 0
; COMPUTE_PGM_RSRC3_GFX90A:ACCUM_OFFSET: 0
; COMPUTE_PGM_RSRC3_GFX90A:TG_SPLIT: 0
	.section	.text._ZN7rocprim17ROCPRIM_400000_NS6detail17trampoline_kernelINS0_14default_configENS1_20scan_config_selectorItEEZZNS1_9scan_implILNS1_25lookback_scan_determinismE0ELb0ELb0ES3_N6thrust23THRUST_200600_302600_NS6detail15normal_iteratorINS9_10device_ptrItEEEESE_tNS9_4plusIvEEtEEDaPvRmT3_T4_T5_mT6_P12ihipStream_tbENKUlT_T0_E_clISt17integral_constantIbLb0EESU_EEDaSP_SQ_EUlSP_E0_NS1_11comp_targetILNS1_3genE9ELNS1_11target_archE1100ELNS1_3gpuE3ELNS1_3repE0EEENS1_30default_config_static_selectorELNS0_4arch9wavefront6targetE1EEEvT1_,"axG",@progbits,_ZN7rocprim17ROCPRIM_400000_NS6detail17trampoline_kernelINS0_14default_configENS1_20scan_config_selectorItEEZZNS1_9scan_implILNS1_25lookback_scan_determinismE0ELb0ELb0ES3_N6thrust23THRUST_200600_302600_NS6detail15normal_iteratorINS9_10device_ptrItEEEESE_tNS9_4plusIvEEtEEDaPvRmT3_T4_T5_mT6_P12ihipStream_tbENKUlT_T0_E_clISt17integral_constantIbLb0EESU_EEDaSP_SQ_EUlSP_E0_NS1_11comp_targetILNS1_3genE9ELNS1_11target_archE1100ELNS1_3gpuE3ELNS1_3repE0EEENS1_30default_config_static_selectorELNS0_4arch9wavefront6targetE1EEEvT1_,comdat
	.protected	_ZN7rocprim17ROCPRIM_400000_NS6detail17trampoline_kernelINS0_14default_configENS1_20scan_config_selectorItEEZZNS1_9scan_implILNS1_25lookback_scan_determinismE0ELb0ELb0ES3_N6thrust23THRUST_200600_302600_NS6detail15normal_iteratorINS9_10device_ptrItEEEESE_tNS9_4plusIvEEtEEDaPvRmT3_T4_T5_mT6_P12ihipStream_tbENKUlT_T0_E_clISt17integral_constantIbLb0EESU_EEDaSP_SQ_EUlSP_E0_NS1_11comp_targetILNS1_3genE9ELNS1_11target_archE1100ELNS1_3gpuE3ELNS1_3repE0EEENS1_30default_config_static_selectorELNS0_4arch9wavefront6targetE1EEEvT1_ ; -- Begin function _ZN7rocprim17ROCPRIM_400000_NS6detail17trampoline_kernelINS0_14default_configENS1_20scan_config_selectorItEEZZNS1_9scan_implILNS1_25lookback_scan_determinismE0ELb0ELb0ES3_N6thrust23THRUST_200600_302600_NS6detail15normal_iteratorINS9_10device_ptrItEEEESE_tNS9_4plusIvEEtEEDaPvRmT3_T4_T5_mT6_P12ihipStream_tbENKUlT_T0_E_clISt17integral_constantIbLb0EESU_EEDaSP_SQ_EUlSP_E0_NS1_11comp_targetILNS1_3genE9ELNS1_11target_archE1100ELNS1_3gpuE3ELNS1_3repE0EEENS1_30default_config_static_selectorELNS0_4arch9wavefront6targetE1EEEvT1_
	.globl	_ZN7rocprim17ROCPRIM_400000_NS6detail17trampoline_kernelINS0_14default_configENS1_20scan_config_selectorItEEZZNS1_9scan_implILNS1_25lookback_scan_determinismE0ELb0ELb0ES3_N6thrust23THRUST_200600_302600_NS6detail15normal_iteratorINS9_10device_ptrItEEEESE_tNS9_4plusIvEEtEEDaPvRmT3_T4_T5_mT6_P12ihipStream_tbENKUlT_T0_E_clISt17integral_constantIbLb0EESU_EEDaSP_SQ_EUlSP_E0_NS1_11comp_targetILNS1_3genE9ELNS1_11target_archE1100ELNS1_3gpuE3ELNS1_3repE0EEENS1_30default_config_static_selectorELNS0_4arch9wavefront6targetE1EEEvT1_
	.p2align	8
	.type	_ZN7rocprim17ROCPRIM_400000_NS6detail17trampoline_kernelINS0_14default_configENS1_20scan_config_selectorItEEZZNS1_9scan_implILNS1_25lookback_scan_determinismE0ELb0ELb0ES3_N6thrust23THRUST_200600_302600_NS6detail15normal_iteratorINS9_10device_ptrItEEEESE_tNS9_4plusIvEEtEEDaPvRmT3_T4_T5_mT6_P12ihipStream_tbENKUlT_T0_E_clISt17integral_constantIbLb0EESU_EEDaSP_SQ_EUlSP_E0_NS1_11comp_targetILNS1_3genE9ELNS1_11target_archE1100ELNS1_3gpuE3ELNS1_3repE0EEENS1_30default_config_static_selectorELNS0_4arch9wavefront6targetE1EEEvT1_,@function
_ZN7rocprim17ROCPRIM_400000_NS6detail17trampoline_kernelINS0_14default_configENS1_20scan_config_selectorItEEZZNS1_9scan_implILNS1_25lookback_scan_determinismE0ELb0ELb0ES3_N6thrust23THRUST_200600_302600_NS6detail15normal_iteratorINS9_10device_ptrItEEEESE_tNS9_4plusIvEEtEEDaPvRmT3_T4_T5_mT6_P12ihipStream_tbENKUlT_T0_E_clISt17integral_constantIbLb0EESU_EEDaSP_SQ_EUlSP_E0_NS1_11comp_targetILNS1_3genE9ELNS1_11target_archE1100ELNS1_3gpuE3ELNS1_3repE0EEENS1_30default_config_static_selectorELNS0_4arch9wavefront6targetE1EEEvT1_: ; @_ZN7rocprim17ROCPRIM_400000_NS6detail17trampoline_kernelINS0_14default_configENS1_20scan_config_selectorItEEZZNS1_9scan_implILNS1_25lookback_scan_determinismE0ELb0ELb0ES3_N6thrust23THRUST_200600_302600_NS6detail15normal_iteratorINS9_10device_ptrItEEEESE_tNS9_4plusIvEEtEEDaPvRmT3_T4_T5_mT6_P12ihipStream_tbENKUlT_T0_E_clISt17integral_constantIbLb0EESU_EEDaSP_SQ_EUlSP_E0_NS1_11comp_targetILNS1_3genE9ELNS1_11target_archE1100ELNS1_3gpuE3ELNS1_3repE0EEENS1_30default_config_static_selectorELNS0_4arch9wavefront6targetE1EEEvT1_
; %bb.0:
	.section	.rodata,"a",@progbits
	.p2align	6, 0x0
	.amdhsa_kernel _ZN7rocprim17ROCPRIM_400000_NS6detail17trampoline_kernelINS0_14default_configENS1_20scan_config_selectorItEEZZNS1_9scan_implILNS1_25lookback_scan_determinismE0ELb0ELb0ES3_N6thrust23THRUST_200600_302600_NS6detail15normal_iteratorINS9_10device_ptrItEEEESE_tNS9_4plusIvEEtEEDaPvRmT3_T4_T5_mT6_P12ihipStream_tbENKUlT_T0_E_clISt17integral_constantIbLb0EESU_EEDaSP_SQ_EUlSP_E0_NS1_11comp_targetILNS1_3genE9ELNS1_11target_archE1100ELNS1_3gpuE3ELNS1_3repE0EEENS1_30default_config_static_selectorELNS0_4arch9wavefront6targetE1EEEvT1_
		.amdhsa_group_segment_fixed_size 0
		.amdhsa_private_segment_fixed_size 0
		.amdhsa_kernarg_size 32
		.amdhsa_user_sgpr_count 6
		.amdhsa_user_sgpr_private_segment_buffer 1
		.amdhsa_user_sgpr_dispatch_ptr 0
		.amdhsa_user_sgpr_queue_ptr 0
		.amdhsa_user_sgpr_kernarg_segment_ptr 1
		.amdhsa_user_sgpr_dispatch_id 0
		.amdhsa_user_sgpr_flat_scratch_init 0
		.amdhsa_user_sgpr_kernarg_preload_length 0
		.amdhsa_user_sgpr_kernarg_preload_offset 0
		.amdhsa_user_sgpr_private_segment_size 0
		.amdhsa_uses_dynamic_stack 0
		.amdhsa_system_sgpr_private_segment_wavefront_offset 0
		.amdhsa_system_sgpr_workgroup_id_x 1
		.amdhsa_system_sgpr_workgroup_id_y 0
		.amdhsa_system_sgpr_workgroup_id_z 0
		.amdhsa_system_sgpr_workgroup_info 0
		.amdhsa_system_vgpr_workitem_id 0
		.amdhsa_next_free_vgpr 1
		.amdhsa_next_free_sgpr 0
		.amdhsa_accum_offset 4
		.amdhsa_reserve_vcc 0
		.amdhsa_reserve_flat_scratch 0
		.amdhsa_float_round_mode_32 0
		.amdhsa_float_round_mode_16_64 0
		.amdhsa_float_denorm_mode_32 3
		.amdhsa_float_denorm_mode_16_64 3
		.amdhsa_dx10_clamp 1
		.amdhsa_ieee_mode 1
		.amdhsa_fp16_overflow 0
		.amdhsa_tg_split 0
		.amdhsa_exception_fp_ieee_invalid_op 0
		.amdhsa_exception_fp_denorm_src 0
		.amdhsa_exception_fp_ieee_div_zero 0
		.amdhsa_exception_fp_ieee_overflow 0
		.amdhsa_exception_fp_ieee_underflow 0
		.amdhsa_exception_fp_ieee_inexact 0
		.amdhsa_exception_int_div_zero 0
	.end_amdhsa_kernel
	.section	.text._ZN7rocprim17ROCPRIM_400000_NS6detail17trampoline_kernelINS0_14default_configENS1_20scan_config_selectorItEEZZNS1_9scan_implILNS1_25lookback_scan_determinismE0ELb0ELb0ES3_N6thrust23THRUST_200600_302600_NS6detail15normal_iteratorINS9_10device_ptrItEEEESE_tNS9_4plusIvEEtEEDaPvRmT3_T4_T5_mT6_P12ihipStream_tbENKUlT_T0_E_clISt17integral_constantIbLb0EESU_EEDaSP_SQ_EUlSP_E0_NS1_11comp_targetILNS1_3genE9ELNS1_11target_archE1100ELNS1_3gpuE3ELNS1_3repE0EEENS1_30default_config_static_selectorELNS0_4arch9wavefront6targetE1EEEvT1_,"axG",@progbits,_ZN7rocprim17ROCPRIM_400000_NS6detail17trampoline_kernelINS0_14default_configENS1_20scan_config_selectorItEEZZNS1_9scan_implILNS1_25lookback_scan_determinismE0ELb0ELb0ES3_N6thrust23THRUST_200600_302600_NS6detail15normal_iteratorINS9_10device_ptrItEEEESE_tNS9_4plusIvEEtEEDaPvRmT3_T4_T5_mT6_P12ihipStream_tbENKUlT_T0_E_clISt17integral_constantIbLb0EESU_EEDaSP_SQ_EUlSP_E0_NS1_11comp_targetILNS1_3genE9ELNS1_11target_archE1100ELNS1_3gpuE3ELNS1_3repE0EEENS1_30default_config_static_selectorELNS0_4arch9wavefront6targetE1EEEvT1_,comdat
.Lfunc_end4734:
	.size	_ZN7rocprim17ROCPRIM_400000_NS6detail17trampoline_kernelINS0_14default_configENS1_20scan_config_selectorItEEZZNS1_9scan_implILNS1_25lookback_scan_determinismE0ELb0ELb0ES3_N6thrust23THRUST_200600_302600_NS6detail15normal_iteratorINS9_10device_ptrItEEEESE_tNS9_4plusIvEEtEEDaPvRmT3_T4_T5_mT6_P12ihipStream_tbENKUlT_T0_E_clISt17integral_constantIbLb0EESU_EEDaSP_SQ_EUlSP_E0_NS1_11comp_targetILNS1_3genE9ELNS1_11target_archE1100ELNS1_3gpuE3ELNS1_3repE0EEENS1_30default_config_static_selectorELNS0_4arch9wavefront6targetE1EEEvT1_, .Lfunc_end4734-_ZN7rocprim17ROCPRIM_400000_NS6detail17trampoline_kernelINS0_14default_configENS1_20scan_config_selectorItEEZZNS1_9scan_implILNS1_25lookback_scan_determinismE0ELb0ELb0ES3_N6thrust23THRUST_200600_302600_NS6detail15normal_iteratorINS9_10device_ptrItEEEESE_tNS9_4plusIvEEtEEDaPvRmT3_T4_T5_mT6_P12ihipStream_tbENKUlT_T0_E_clISt17integral_constantIbLb0EESU_EEDaSP_SQ_EUlSP_E0_NS1_11comp_targetILNS1_3genE9ELNS1_11target_archE1100ELNS1_3gpuE3ELNS1_3repE0EEENS1_30default_config_static_selectorELNS0_4arch9wavefront6targetE1EEEvT1_
                                        ; -- End function
	.section	.AMDGPU.csdata,"",@progbits
; Kernel info:
; codeLenInByte = 0
; NumSgprs: 4
; NumVgprs: 0
; NumAgprs: 0
; TotalNumVgprs: 0
; ScratchSize: 0
; MemoryBound: 0
; FloatMode: 240
; IeeeMode: 1
; LDSByteSize: 0 bytes/workgroup (compile time only)
; SGPRBlocks: 0
; VGPRBlocks: 0
; NumSGPRsForWavesPerEU: 4
; NumVGPRsForWavesPerEU: 1
; AccumOffset: 4
; Occupancy: 8
; WaveLimiterHint : 0
; COMPUTE_PGM_RSRC2:SCRATCH_EN: 0
; COMPUTE_PGM_RSRC2:USER_SGPR: 6
; COMPUTE_PGM_RSRC2:TRAP_HANDLER: 0
; COMPUTE_PGM_RSRC2:TGID_X_EN: 1
; COMPUTE_PGM_RSRC2:TGID_Y_EN: 0
; COMPUTE_PGM_RSRC2:TGID_Z_EN: 0
; COMPUTE_PGM_RSRC2:TIDIG_COMP_CNT: 0
; COMPUTE_PGM_RSRC3_GFX90A:ACCUM_OFFSET: 0
; COMPUTE_PGM_RSRC3_GFX90A:TG_SPLIT: 0
	.section	.text._ZN7rocprim17ROCPRIM_400000_NS6detail17trampoline_kernelINS0_14default_configENS1_20scan_config_selectorItEEZZNS1_9scan_implILNS1_25lookback_scan_determinismE0ELb0ELb0ES3_N6thrust23THRUST_200600_302600_NS6detail15normal_iteratorINS9_10device_ptrItEEEESE_tNS9_4plusIvEEtEEDaPvRmT3_T4_T5_mT6_P12ihipStream_tbENKUlT_T0_E_clISt17integral_constantIbLb0EESU_EEDaSP_SQ_EUlSP_E0_NS1_11comp_targetILNS1_3genE8ELNS1_11target_archE1030ELNS1_3gpuE2ELNS1_3repE0EEENS1_30default_config_static_selectorELNS0_4arch9wavefront6targetE1EEEvT1_,"axG",@progbits,_ZN7rocprim17ROCPRIM_400000_NS6detail17trampoline_kernelINS0_14default_configENS1_20scan_config_selectorItEEZZNS1_9scan_implILNS1_25lookback_scan_determinismE0ELb0ELb0ES3_N6thrust23THRUST_200600_302600_NS6detail15normal_iteratorINS9_10device_ptrItEEEESE_tNS9_4plusIvEEtEEDaPvRmT3_T4_T5_mT6_P12ihipStream_tbENKUlT_T0_E_clISt17integral_constantIbLb0EESU_EEDaSP_SQ_EUlSP_E0_NS1_11comp_targetILNS1_3genE8ELNS1_11target_archE1030ELNS1_3gpuE2ELNS1_3repE0EEENS1_30default_config_static_selectorELNS0_4arch9wavefront6targetE1EEEvT1_,comdat
	.protected	_ZN7rocprim17ROCPRIM_400000_NS6detail17trampoline_kernelINS0_14default_configENS1_20scan_config_selectorItEEZZNS1_9scan_implILNS1_25lookback_scan_determinismE0ELb0ELb0ES3_N6thrust23THRUST_200600_302600_NS6detail15normal_iteratorINS9_10device_ptrItEEEESE_tNS9_4plusIvEEtEEDaPvRmT3_T4_T5_mT6_P12ihipStream_tbENKUlT_T0_E_clISt17integral_constantIbLb0EESU_EEDaSP_SQ_EUlSP_E0_NS1_11comp_targetILNS1_3genE8ELNS1_11target_archE1030ELNS1_3gpuE2ELNS1_3repE0EEENS1_30default_config_static_selectorELNS0_4arch9wavefront6targetE1EEEvT1_ ; -- Begin function _ZN7rocprim17ROCPRIM_400000_NS6detail17trampoline_kernelINS0_14default_configENS1_20scan_config_selectorItEEZZNS1_9scan_implILNS1_25lookback_scan_determinismE0ELb0ELb0ES3_N6thrust23THRUST_200600_302600_NS6detail15normal_iteratorINS9_10device_ptrItEEEESE_tNS9_4plusIvEEtEEDaPvRmT3_T4_T5_mT6_P12ihipStream_tbENKUlT_T0_E_clISt17integral_constantIbLb0EESU_EEDaSP_SQ_EUlSP_E0_NS1_11comp_targetILNS1_3genE8ELNS1_11target_archE1030ELNS1_3gpuE2ELNS1_3repE0EEENS1_30default_config_static_selectorELNS0_4arch9wavefront6targetE1EEEvT1_
	.globl	_ZN7rocprim17ROCPRIM_400000_NS6detail17trampoline_kernelINS0_14default_configENS1_20scan_config_selectorItEEZZNS1_9scan_implILNS1_25lookback_scan_determinismE0ELb0ELb0ES3_N6thrust23THRUST_200600_302600_NS6detail15normal_iteratorINS9_10device_ptrItEEEESE_tNS9_4plusIvEEtEEDaPvRmT3_T4_T5_mT6_P12ihipStream_tbENKUlT_T0_E_clISt17integral_constantIbLb0EESU_EEDaSP_SQ_EUlSP_E0_NS1_11comp_targetILNS1_3genE8ELNS1_11target_archE1030ELNS1_3gpuE2ELNS1_3repE0EEENS1_30default_config_static_selectorELNS0_4arch9wavefront6targetE1EEEvT1_
	.p2align	8
	.type	_ZN7rocprim17ROCPRIM_400000_NS6detail17trampoline_kernelINS0_14default_configENS1_20scan_config_selectorItEEZZNS1_9scan_implILNS1_25lookback_scan_determinismE0ELb0ELb0ES3_N6thrust23THRUST_200600_302600_NS6detail15normal_iteratorINS9_10device_ptrItEEEESE_tNS9_4plusIvEEtEEDaPvRmT3_T4_T5_mT6_P12ihipStream_tbENKUlT_T0_E_clISt17integral_constantIbLb0EESU_EEDaSP_SQ_EUlSP_E0_NS1_11comp_targetILNS1_3genE8ELNS1_11target_archE1030ELNS1_3gpuE2ELNS1_3repE0EEENS1_30default_config_static_selectorELNS0_4arch9wavefront6targetE1EEEvT1_,@function
_ZN7rocprim17ROCPRIM_400000_NS6detail17trampoline_kernelINS0_14default_configENS1_20scan_config_selectorItEEZZNS1_9scan_implILNS1_25lookback_scan_determinismE0ELb0ELb0ES3_N6thrust23THRUST_200600_302600_NS6detail15normal_iteratorINS9_10device_ptrItEEEESE_tNS9_4plusIvEEtEEDaPvRmT3_T4_T5_mT6_P12ihipStream_tbENKUlT_T0_E_clISt17integral_constantIbLb0EESU_EEDaSP_SQ_EUlSP_E0_NS1_11comp_targetILNS1_3genE8ELNS1_11target_archE1030ELNS1_3gpuE2ELNS1_3repE0EEENS1_30default_config_static_selectorELNS0_4arch9wavefront6targetE1EEEvT1_: ; @_ZN7rocprim17ROCPRIM_400000_NS6detail17trampoline_kernelINS0_14default_configENS1_20scan_config_selectorItEEZZNS1_9scan_implILNS1_25lookback_scan_determinismE0ELb0ELb0ES3_N6thrust23THRUST_200600_302600_NS6detail15normal_iteratorINS9_10device_ptrItEEEESE_tNS9_4plusIvEEtEEDaPvRmT3_T4_T5_mT6_P12ihipStream_tbENKUlT_T0_E_clISt17integral_constantIbLb0EESU_EEDaSP_SQ_EUlSP_E0_NS1_11comp_targetILNS1_3genE8ELNS1_11target_archE1030ELNS1_3gpuE2ELNS1_3repE0EEENS1_30default_config_static_selectorELNS0_4arch9wavefront6targetE1EEEvT1_
; %bb.0:
	.section	.rodata,"a",@progbits
	.p2align	6, 0x0
	.amdhsa_kernel _ZN7rocprim17ROCPRIM_400000_NS6detail17trampoline_kernelINS0_14default_configENS1_20scan_config_selectorItEEZZNS1_9scan_implILNS1_25lookback_scan_determinismE0ELb0ELb0ES3_N6thrust23THRUST_200600_302600_NS6detail15normal_iteratorINS9_10device_ptrItEEEESE_tNS9_4plusIvEEtEEDaPvRmT3_T4_T5_mT6_P12ihipStream_tbENKUlT_T0_E_clISt17integral_constantIbLb0EESU_EEDaSP_SQ_EUlSP_E0_NS1_11comp_targetILNS1_3genE8ELNS1_11target_archE1030ELNS1_3gpuE2ELNS1_3repE0EEENS1_30default_config_static_selectorELNS0_4arch9wavefront6targetE1EEEvT1_
		.amdhsa_group_segment_fixed_size 0
		.amdhsa_private_segment_fixed_size 0
		.amdhsa_kernarg_size 32
		.amdhsa_user_sgpr_count 6
		.amdhsa_user_sgpr_private_segment_buffer 1
		.amdhsa_user_sgpr_dispatch_ptr 0
		.amdhsa_user_sgpr_queue_ptr 0
		.amdhsa_user_sgpr_kernarg_segment_ptr 1
		.amdhsa_user_sgpr_dispatch_id 0
		.amdhsa_user_sgpr_flat_scratch_init 0
		.amdhsa_user_sgpr_kernarg_preload_length 0
		.amdhsa_user_sgpr_kernarg_preload_offset 0
		.amdhsa_user_sgpr_private_segment_size 0
		.amdhsa_uses_dynamic_stack 0
		.amdhsa_system_sgpr_private_segment_wavefront_offset 0
		.amdhsa_system_sgpr_workgroup_id_x 1
		.amdhsa_system_sgpr_workgroup_id_y 0
		.amdhsa_system_sgpr_workgroup_id_z 0
		.amdhsa_system_sgpr_workgroup_info 0
		.amdhsa_system_vgpr_workitem_id 0
		.amdhsa_next_free_vgpr 1
		.amdhsa_next_free_sgpr 0
		.amdhsa_accum_offset 4
		.amdhsa_reserve_vcc 0
		.amdhsa_reserve_flat_scratch 0
		.amdhsa_float_round_mode_32 0
		.amdhsa_float_round_mode_16_64 0
		.amdhsa_float_denorm_mode_32 3
		.amdhsa_float_denorm_mode_16_64 3
		.amdhsa_dx10_clamp 1
		.amdhsa_ieee_mode 1
		.amdhsa_fp16_overflow 0
		.amdhsa_tg_split 0
		.amdhsa_exception_fp_ieee_invalid_op 0
		.amdhsa_exception_fp_denorm_src 0
		.amdhsa_exception_fp_ieee_div_zero 0
		.amdhsa_exception_fp_ieee_overflow 0
		.amdhsa_exception_fp_ieee_underflow 0
		.amdhsa_exception_fp_ieee_inexact 0
		.amdhsa_exception_int_div_zero 0
	.end_amdhsa_kernel
	.section	.text._ZN7rocprim17ROCPRIM_400000_NS6detail17trampoline_kernelINS0_14default_configENS1_20scan_config_selectorItEEZZNS1_9scan_implILNS1_25lookback_scan_determinismE0ELb0ELb0ES3_N6thrust23THRUST_200600_302600_NS6detail15normal_iteratorINS9_10device_ptrItEEEESE_tNS9_4plusIvEEtEEDaPvRmT3_T4_T5_mT6_P12ihipStream_tbENKUlT_T0_E_clISt17integral_constantIbLb0EESU_EEDaSP_SQ_EUlSP_E0_NS1_11comp_targetILNS1_3genE8ELNS1_11target_archE1030ELNS1_3gpuE2ELNS1_3repE0EEENS1_30default_config_static_selectorELNS0_4arch9wavefront6targetE1EEEvT1_,"axG",@progbits,_ZN7rocprim17ROCPRIM_400000_NS6detail17trampoline_kernelINS0_14default_configENS1_20scan_config_selectorItEEZZNS1_9scan_implILNS1_25lookback_scan_determinismE0ELb0ELb0ES3_N6thrust23THRUST_200600_302600_NS6detail15normal_iteratorINS9_10device_ptrItEEEESE_tNS9_4plusIvEEtEEDaPvRmT3_T4_T5_mT6_P12ihipStream_tbENKUlT_T0_E_clISt17integral_constantIbLb0EESU_EEDaSP_SQ_EUlSP_E0_NS1_11comp_targetILNS1_3genE8ELNS1_11target_archE1030ELNS1_3gpuE2ELNS1_3repE0EEENS1_30default_config_static_selectorELNS0_4arch9wavefront6targetE1EEEvT1_,comdat
.Lfunc_end4735:
	.size	_ZN7rocprim17ROCPRIM_400000_NS6detail17trampoline_kernelINS0_14default_configENS1_20scan_config_selectorItEEZZNS1_9scan_implILNS1_25lookback_scan_determinismE0ELb0ELb0ES3_N6thrust23THRUST_200600_302600_NS6detail15normal_iteratorINS9_10device_ptrItEEEESE_tNS9_4plusIvEEtEEDaPvRmT3_T4_T5_mT6_P12ihipStream_tbENKUlT_T0_E_clISt17integral_constantIbLb0EESU_EEDaSP_SQ_EUlSP_E0_NS1_11comp_targetILNS1_3genE8ELNS1_11target_archE1030ELNS1_3gpuE2ELNS1_3repE0EEENS1_30default_config_static_selectorELNS0_4arch9wavefront6targetE1EEEvT1_, .Lfunc_end4735-_ZN7rocprim17ROCPRIM_400000_NS6detail17trampoline_kernelINS0_14default_configENS1_20scan_config_selectorItEEZZNS1_9scan_implILNS1_25lookback_scan_determinismE0ELb0ELb0ES3_N6thrust23THRUST_200600_302600_NS6detail15normal_iteratorINS9_10device_ptrItEEEESE_tNS9_4plusIvEEtEEDaPvRmT3_T4_T5_mT6_P12ihipStream_tbENKUlT_T0_E_clISt17integral_constantIbLb0EESU_EEDaSP_SQ_EUlSP_E0_NS1_11comp_targetILNS1_3genE8ELNS1_11target_archE1030ELNS1_3gpuE2ELNS1_3repE0EEENS1_30default_config_static_selectorELNS0_4arch9wavefront6targetE1EEEvT1_
                                        ; -- End function
	.section	.AMDGPU.csdata,"",@progbits
; Kernel info:
; codeLenInByte = 0
; NumSgprs: 4
; NumVgprs: 0
; NumAgprs: 0
; TotalNumVgprs: 0
; ScratchSize: 0
; MemoryBound: 0
; FloatMode: 240
; IeeeMode: 1
; LDSByteSize: 0 bytes/workgroup (compile time only)
; SGPRBlocks: 0
; VGPRBlocks: 0
; NumSGPRsForWavesPerEU: 4
; NumVGPRsForWavesPerEU: 1
; AccumOffset: 4
; Occupancy: 8
; WaveLimiterHint : 0
; COMPUTE_PGM_RSRC2:SCRATCH_EN: 0
; COMPUTE_PGM_RSRC2:USER_SGPR: 6
; COMPUTE_PGM_RSRC2:TRAP_HANDLER: 0
; COMPUTE_PGM_RSRC2:TGID_X_EN: 1
; COMPUTE_PGM_RSRC2:TGID_Y_EN: 0
; COMPUTE_PGM_RSRC2:TGID_Z_EN: 0
; COMPUTE_PGM_RSRC2:TIDIG_COMP_CNT: 0
; COMPUTE_PGM_RSRC3_GFX90A:ACCUM_OFFSET: 0
; COMPUTE_PGM_RSRC3_GFX90A:TG_SPLIT: 0
	.section	.text._ZN7rocprim17ROCPRIM_400000_NS6detail17trampoline_kernelINS0_14default_configENS1_20scan_config_selectorItEEZZNS1_9scan_implILNS1_25lookback_scan_determinismE0ELb0ELb0ES3_N6thrust23THRUST_200600_302600_NS6detail15normal_iteratorINS9_10device_ptrItEEEESE_tNS9_4plusIvEEtEEDaPvRmT3_T4_T5_mT6_P12ihipStream_tbENKUlT_T0_E_clISt17integral_constantIbLb1EESU_EEDaSP_SQ_EUlSP_E_NS1_11comp_targetILNS1_3genE0ELNS1_11target_archE4294967295ELNS1_3gpuE0ELNS1_3repE0EEENS1_30default_config_static_selectorELNS0_4arch9wavefront6targetE1EEEvT1_,"axG",@progbits,_ZN7rocprim17ROCPRIM_400000_NS6detail17trampoline_kernelINS0_14default_configENS1_20scan_config_selectorItEEZZNS1_9scan_implILNS1_25lookback_scan_determinismE0ELb0ELb0ES3_N6thrust23THRUST_200600_302600_NS6detail15normal_iteratorINS9_10device_ptrItEEEESE_tNS9_4plusIvEEtEEDaPvRmT3_T4_T5_mT6_P12ihipStream_tbENKUlT_T0_E_clISt17integral_constantIbLb1EESU_EEDaSP_SQ_EUlSP_E_NS1_11comp_targetILNS1_3genE0ELNS1_11target_archE4294967295ELNS1_3gpuE0ELNS1_3repE0EEENS1_30default_config_static_selectorELNS0_4arch9wavefront6targetE1EEEvT1_,comdat
	.protected	_ZN7rocprim17ROCPRIM_400000_NS6detail17trampoline_kernelINS0_14default_configENS1_20scan_config_selectorItEEZZNS1_9scan_implILNS1_25lookback_scan_determinismE0ELb0ELb0ES3_N6thrust23THRUST_200600_302600_NS6detail15normal_iteratorINS9_10device_ptrItEEEESE_tNS9_4plusIvEEtEEDaPvRmT3_T4_T5_mT6_P12ihipStream_tbENKUlT_T0_E_clISt17integral_constantIbLb1EESU_EEDaSP_SQ_EUlSP_E_NS1_11comp_targetILNS1_3genE0ELNS1_11target_archE4294967295ELNS1_3gpuE0ELNS1_3repE0EEENS1_30default_config_static_selectorELNS0_4arch9wavefront6targetE1EEEvT1_ ; -- Begin function _ZN7rocprim17ROCPRIM_400000_NS6detail17trampoline_kernelINS0_14default_configENS1_20scan_config_selectorItEEZZNS1_9scan_implILNS1_25lookback_scan_determinismE0ELb0ELb0ES3_N6thrust23THRUST_200600_302600_NS6detail15normal_iteratorINS9_10device_ptrItEEEESE_tNS9_4plusIvEEtEEDaPvRmT3_T4_T5_mT6_P12ihipStream_tbENKUlT_T0_E_clISt17integral_constantIbLb1EESU_EEDaSP_SQ_EUlSP_E_NS1_11comp_targetILNS1_3genE0ELNS1_11target_archE4294967295ELNS1_3gpuE0ELNS1_3repE0EEENS1_30default_config_static_selectorELNS0_4arch9wavefront6targetE1EEEvT1_
	.globl	_ZN7rocprim17ROCPRIM_400000_NS6detail17trampoline_kernelINS0_14default_configENS1_20scan_config_selectorItEEZZNS1_9scan_implILNS1_25lookback_scan_determinismE0ELb0ELb0ES3_N6thrust23THRUST_200600_302600_NS6detail15normal_iteratorINS9_10device_ptrItEEEESE_tNS9_4plusIvEEtEEDaPvRmT3_T4_T5_mT6_P12ihipStream_tbENKUlT_T0_E_clISt17integral_constantIbLb1EESU_EEDaSP_SQ_EUlSP_E_NS1_11comp_targetILNS1_3genE0ELNS1_11target_archE4294967295ELNS1_3gpuE0ELNS1_3repE0EEENS1_30default_config_static_selectorELNS0_4arch9wavefront6targetE1EEEvT1_
	.p2align	8
	.type	_ZN7rocprim17ROCPRIM_400000_NS6detail17trampoline_kernelINS0_14default_configENS1_20scan_config_selectorItEEZZNS1_9scan_implILNS1_25lookback_scan_determinismE0ELb0ELb0ES3_N6thrust23THRUST_200600_302600_NS6detail15normal_iteratorINS9_10device_ptrItEEEESE_tNS9_4plusIvEEtEEDaPvRmT3_T4_T5_mT6_P12ihipStream_tbENKUlT_T0_E_clISt17integral_constantIbLb1EESU_EEDaSP_SQ_EUlSP_E_NS1_11comp_targetILNS1_3genE0ELNS1_11target_archE4294967295ELNS1_3gpuE0ELNS1_3repE0EEENS1_30default_config_static_selectorELNS0_4arch9wavefront6targetE1EEEvT1_,@function
_ZN7rocprim17ROCPRIM_400000_NS6detail17trampoline_kernelINS0_14default_configENS1_20scan_config_selectorItEEZZNS1_9scan_implILNS1_25lookback_scan_determinismE0ELb0ELb0ES3_N6thrust23THRUST_200600_302600_NS6detail15normal_iteratorINS9_10device_ptrItEEEESE_tNS9_4plusIvEEtEEDaPvRmT3_T4_T5_mT6_P12ihipStream_tbENKUlT_T0_E_clISt17integral_constantIbLb1EESU_EEDaSP_SQ_EUlSP_E_NS1_11comp_targetILNS1_3genE0ELNS1_11target_archE4294967295ELNS1_3gpuE0ELNS1_3repE0EEENS1_30default_config_static_selectorELNS0_4arch9wavefront6targetE1EEEvT1_: ; @_ZN7rocprim17ROCPRIM_400000_NS6detail17trampoline_kernelINS0_14default_configENS1_20scan_config_selectorItEEZZNS1_9scan_implILNS1_25lookback_scan_determinismE0ELb0ELb0ES3_N6thrust23THRUST_200600_302600_NS6detail15normal_iteratorINS9_10device_ptrItEEEESE_tNS9_4plusIvEEtEEDaPvRmT3_T4_T5_mT6_P12ihipStream_tbENKUlT_T0_E_clISt17integral_constantIbLb1EESU_EEDaSP_SQ_EUlSP_E_NS1_11comp_targetILNS1_3genE0ELNS1_11target_archE4294967295ELNS1_3gpuE0ELNS1_3repE0EEENS1_30default_config_static_selectorELNS0_4arch9wavefront6targetE1EEEvT1_
; %bb.0:
	.section	.rodata,"a",@progbits
	.p2align	6, 0x0
	.amdhsa_kernel _ZN7rocprim17ROCPRIM_400000_NS6detail17trampoline_kernelINS0_14default_configENS1_20scan_config_selectorItEEZZNS1_9scan_implILNS1_25lookback_scan_determinismE0ELb0ELb0ES3_N6thrust23THRUST_200600_302600_NS6detail15normal_iteratorINS9_10device_ptrItEEEESE_tNS9_4plusIvEEtEEDaPvRmT3_T4_T5_mT6_P12ihipStream_tbENKUlT_T0_E_clISt17integral_constantIbLb1EESU_EEDaSP_SQ_EUlSP_E_NS1_11comp_targetILNS1_3genE0ELNS1_11target_archE4294967295ELNS1_3gpuE0ELNS1_3repE0EEENS1_30default_config_static_selectorELNS0_4arch9wavefront6targetE1EEEvT1_
		.amdhsa_group_segment_fixed_size 0
		.amdhsa_private_segment_fixed_size 0
		.amdhsa_kernarg_size 96
		.amdhsa_user_sgpr_count 6
		.amdhsa_user_sgpr_private_segment_buffer 1
		.amdhsa_user_sgpr_dispatch_ptr 0
		.amdhsa_user_sgpr_queue_ptr 0
		.amdhsa_user_sgpr_kernarg_segment_ptr 1
		.amdhsa_user_sgpr_dispatch_id 0
		.amdhsa_user_sgpr_flat_scratch_init 0
		.amdhsa_user_sgpr_kernarg_preload_length 0
		.amdhsa_user_sgpr_kernarg_preload_offset 0
		.amdhsa_user_sgpr_private_segment_size 0
		.amdhsa_uses_dynamic_stack 0
		.amdhsa_system_sgpr_private_segment_wavefront_offset 0
		.amdhsa_system_sgpr_workgroup_id_x 1
		.amdhsa_system_sgpr_workgroup_id_y 0
		.amdhsa_system_sgpr_workgroup_id_z 0
		.amdhsa_system_sgpr_workgroup_info 0
		.amdhsa_system_vgpr_workitem_id 0
		.amdhsa_next_free_vgpr 1
		.amdhsa_next_free_sgpr 0
		.amdhsa_accum_offset 4
		.amdhsa_reserve_vcc 0
		.amdhsa_reserve_flat_scratch 0
		.amdhsa_float_round_mode_32 0
		.amdhsa_float_round_mode_16_64 0
		.amdhsa_float_denorm_mode_32 3
		.amdhsa_float_denorm_mode_16_64 3
		.amdhsa_dx10_clamp 1
		.amdhsa_ieee_mode 1
		.amdhsa_fp16_overflow 0
		.amdhsa_tg_split 0
		.amdhsa_exception_fp_ieee_invalid_op 0
		.amdhsa_exception_fp_denorm_src 0
		.amdhsa_exception_fp_ieee_div_zero 0
		.amdhsa_exception_fp_ieee_overflow 0
		.amdhsa_exception_fp_ieee_underflow 0
		.amdhsa_exception_fp_ieee_inexact 0
		.amdhsa_exception_int_div_zero 0
	.end_amdhsa_kernel
	.section	.text._ZN7rocprim17ROCPRIM_400000_NS6detail17trampoline_kernelINS0_14default_configENS1_20scan_config_selectorItEEZZNS1_9scan_implILNS1_25lookback_scan_determinismE0ELb0ELb0ES3_N6thrust23THRUST_200600_302600_NS6detail15normal_iteratorINS9_10device_ptrItEEEESE_tNS9_4plusIvEEtEEDaPvRmT3_T4_T5_mT6_P12ihipStream_tbENKUlT_T0_E_clISt17integral_constantIbLb1EESU_EEDaSP_SQ_EUlSP_E_NS1_11comp_targetILNS1_3genE0ELNS1_11target_archE4294967295ELNS1_3gpuE0ELNS1_3repE0EEENS1_30default_config_static_selectorELNS0_4arch9wavefront6targetE1EEEvT1_,"axG",@progbits,_ZN7rocprim17ROCPRIM_400000_NS6detail17trampoline_kernelINS0_14default_configENS1_20scan_config_selectorItEEZZNS1_9scan_implILNS1_25lookback_scan_determinismE0ELb0ELb0ES3_N6thrust23THRUST_200600_302600_NS6detail15normal_iteratorINS9_10device_ptrItEEEESE_tNS9_4plusIvEEtEEDaPvRmT3_T4_T5_mT6_P12ihipStream_tbENKUlT_T0_E_clISt17integral_constantIbLb1EESU_EEDaSP_SQ_EUlSP_E_NS1_11comp_targetILNS1_3genE0ELNS1_11target_archE4294967295ELNS1_3gpuE0ELNS1_3repE0EEENS1_30default_config_static_selectorELNS0_4arch9wavefront6targetE1EEEvT1_,comdat
.Lfunc_end4736:
	.size	_ZN7rocprim17ROCPRIM_400000_NS6detail17trampoline_kernelINS0_14default_configENS1_20scan_config_selectorItEEZZNS1_9scan_implILNS1_25lookback_scan_determinismE0ELb0ELb0ES3_N6thrust23THRUST_200600_302600_NS6detail15normal_iteratorINS9_10device_ptrItEEEESE_tNS9_4plusIvEEtEEDaPvRmT3_T4_T5_mT6_P12ihipStream_tbENKUlT_T0_E_clISt17integral_constantIbLb1EESU_EEDaSP_SQ_EUlSP_E_NS1_11comp_targetILNS1_3genE0ELNS1_11target_archE4294967295ELNS1_3gpuE0ELNS1_3repE0EEENS1_30default_config_static_selectorELNS0_4arch9wavefront6targetE1EEEvT1_, .Lfunc_end4736-_ZN7rocprim17ROCPRIM_400000_NS6detail17trampoline_kernelINS0_14default_configENS1_20scan_config_selectorItEEZZNS1_9scan_implILNS1_25lookback_scan_determinismE0ELb0ELb0ES3_N6thrust23THRUST_200600_302600_NS6detail15normal_iteratorINS9_10device_ptrItEEEESE_tNS9_4plusIvEEtEEDaPvRmT3_T4_T5_mT6_P12ihipStream_tbENKUlT_T0_E_clISt17integral_constantIbLb1EESU_EEDaSP_SQ_EUlSP_E_NS1_11comp_targetILNS1_3genE0ELNS1_11target_archE4294967295ELNS1_3gpuE0ELNS1_3repE0EEENS1_30default_config_static_selectorELNS0_4arch9wavefront6targetE1EEEvT1_
                                        ; -- End function
	.section	.AMDGPU.csdata,"",@progbits
; Kernel info:
; codeLenInByte = 0
; NumSgprs: 4
; NumVgprs: 0
; NumAgprs: 0
; TotalNumVgprs: 0
; ScratchSize: 0
; MemoryBound: 0
; FloatMode: 240
; IeeeMode: 1
; LDSByteSize: 0 bytes/workgroup (compile time only)
; SGPRBlocks: 0
; VGPRBlocks: 0
; NumSGPRsForWavesPerEU: 4
; NumVGPRsForWavesPerEU: 1
; AccumOffset: 4
; Occupancy: 8
; WaveLimiterHint : 0
; COMPUTE_PGM_RSRC2:SCRATCH_EN: 0
; COMPUTE_PGM_RSRC2:USER_SGPR: 6
; COMPUTE_PGM_RSRC2:TRAP_HANDLER: 0
; COMPUTE_PGM_RSRC2:TGID_X_EN: 1
; COMPUTE_PGM_RSRC2:TGID_Y_EN: 0
; COMPUTE_PGM_RSRC2:TGID_Z_EN: 0
; COMPUTE_PGM_RSRC2:TIDIG_COMP_CNT: 0
; COMPUTE_PGM_RSRC3_GFX90A:ACCUM_OFFSET: 0
; COMPUTE_PGM_RSRC3_GFX90A:TG_SPLIT: 0
	.section	.text._ZN7rocprim17ROCPRIM_400000_NS6detail17trampoline_kernelINS0_14default_configENS1_20scan_config_selectorItEEZZNS1_9scan_implILNS1_25lookback_scan_determinismE0ELb0ELb0ES3_N6thrust23THRUST_200600_302600_NS6detail15normal_iteratorINS9_10device_ptrItEEEESE_tNS9_4plusIvEEtEEDaPvRmT3_T4_T5_mT6_P12ihipStream_tbENKUlT_T0_E_clISt17integral_constantIbLb1EESU_EEDaSP_SQ_EUlSP_E_NS1_11comp_targetILNS1_3genE5ELNS1_11target_archE942ELNS1_3gpuE9ELNS1_3repE0EEENS1_30default_config_static_selectorELNS0_4arch9wavefront6targetE1EEEvT1_,"axG",@progbits,_ZN7rocprim17ROCPRIM_400000_NS6detail17trampoline_kernelINS0_14default_configENS1_20scan_config_selectorItEEZZNS1_9scan_implILNS1_25lookback_scan_determinismE0ELb0ELb0ES3_N6thrust23THRUST_200600_302600_NS6detail15normal_iteratorINS9_10device_ptrItEEEESE_tNS9_4plusIvEEtEEDaPvRmT3_T4_T5_mT6_P12ihipStream_tbENKUlT_T0_E_clISt17integral_constantIbLb1EESU_EEDaSP_SQ_EUlSP_E_NS1_11comp_targetILNS1_3genE5ELNS1_11target_archE942ELNS1_3gpuE9ELNS1_3repE0EEENS1_30default_config_static_selectorELNS0_4arch9wavefront6targetE1EEEvT1_,comdat
	.protected	_ZN7rocprim17ROCPRIM_400000_NS6detail17trampoline_kernelINS0_14default_configENS1_20scan_config_selectorItEEZZNS1_9scan_implILNS1_25lookback_scan_determinismE0ELb0ELb0ES3_N6thrust23THRUST_200600_302600_NS6detail15normal_iteratorINS9_10device_ptrItEEEESE_tNS9_4plusIvEEtEEDaPvRmT3_T4_T5_mT6_P12ihipStream_tbENKUlT_T0_E_clISt17integral_constantIbLb1EESU_EEDaSP_SQ_EUlSP_E_NS1_11comp_targetILNS1_3genE5ELNS1_11target_archE942ELNS1_3gpuE9ELNS1_3repE0EEENS1_30default_config_static_selectorELNS0_4arch9wavefront6targetE1EEEvT1_ ; -- Begin function _ZN7rocprim17ROCPRIM_400000_NS6detail17trampoline_kernelINS0_14default_configENS1_20scan_config_selectorItEEZZNS1_9scan_implILNS1_25lookback_scan_determinismE0ELb0ELb0ES3_N6thrust23THRUST_200600_302600_NS6detail15normal_iteratorINS9_10device_ptrItEEEESE_tNS9_4plusIvEEtEEDaPvRmT3_T4_T5_mT6_P12ihipStream_tbENKUlT_T0_E_clISt17integral_constantIbLb1EESU_EEDaSP_SQ_EUlSP_E_NS1_11comp_targetILNS1_3genE5ELNS1_11target_archE942ELNS1_3gpuE9ELNS1_3repE0EEENS1_30default_config_static_selectorELNS0_4arch9wavefront6targetE1EEEvT1_
	.globl	_ZN7rocprim17ROCPRIM_400000_NS6detail17trampoline_kernelINS0_14default_configENS1_20scan_config_selectorItEEZZNS1_9scan_implILNS1_25lookback_scan_determinismE0ELb0ELb0ES3_N6thrust23THRUST_200600_302600_NS6detail15normal_iteratorINS9_10device_ptrItEEEESE_tNS9_4plusIvEEtEEDaPvRmT3_T4_T5_mT6_P12ihipStream_tbENKUlT_T0_E_clISt17integral_constantIbLb1EESU_EEDaSP_SQ_EUlSP_E_NS1_11comp_targetILNS1_3genE5ELNS1_11target_archE942ELNS1_3gpuE9ELNS1_3repE0EEENS1_30default_config_static_selectorELNS0_4arch9wavefront6targetE1EEEvT1_
	.p2align	8
	.type	_ZN7rocprim17ROCPRIM_400000_NS6detail17trampoline_kernelINS0_14default_configENS1_20scan_config_selectorItEEZZNS1_9scan_implILNS1_25lookback_scan_determinismE0ELb0ELb0ES3_N6thrust23THRUST_200600_302600_NS6detail15normal_iteratorINS9_10device_ptrItEEEESE_tNS9_4plusIvEEtEEDaPvRmT3_T4_T5_mT6_P12ihipStream_tbENKUlT_T0_E_clISt17integral_constantIbLb1EESU_EEDaSP_SQ_EUlSP_E_NS1_11comp_targetILNS1_3genE5ELNS1_11target_archE942ELNS1_3gpuE9ELNS1_3repE0EEENS1_30default_config_static_selectorELNS0_4arch9wavefront6targetE1EEEvT1_,@function
_ZN7rocprim17ROCPRIM_400000_NS6detail17trampoline_kernelINS0_14default_configENS1_20scan_config_selectorItEEZZNS1_9scan_implILNS1_25lookback_scan_determinismE0ELb0ELb0ES3_N6thrust23THRUST_200600_302600_NS6detail15normal_iteratorINS9_10device_ptrItEEEESE_tNS9_4plusIvEEtEEDaPvRmT3_T4_T5_mT6_P12ihipStream_tbENKUlT_T0_E_clISt17integral_constantIbLb1EESU_EEDaSP_SQ_EUlSP_E_NS1_11comp_targetILNS1_3genE5ELNS1_11target_archE942ELNS1_3gpuE9ELNS1_3repE0EEENS1_30default_config_static_selectorELNS0_4arch9wavefront6targetE1EEEvT1_: ; @_ZN7rocprim17ROCPRIM_400000_NS6detail17trampoline_kernelINS0_14default_configENS1_20scan_config_selectorItEEZZNS1_9scan_implILNS1_25lookback_scan_determinismE0ELb0ELb0ES3_N6thrust23THRUST_200600_302600_NS6detail15normal_iteratorINS9_10device_ptrItEEEESE_tNS9_4plusIvEEtEEDaPvRmT3_T4_T5_mT6_P12ihipStream_tbENKUlT_T0_E_clISt17integral_constantIbLb1EESU_EEDaSP_SQ_EUlSP_E_NS1_11comp_targetILNS1_3genE5ELNS1_11target_archE942ELNS1_3gpuE9ELNS1_3repE0EEENS1_30default_config_static_selectorELNS0_4arch9wavefront6targetE1EEEvT1_
; %bb.0:
	.section	.rodata,"a",@progbits
	.p2align	6, 0x0
	.amdhsa_kernel _ZN7rocprim17ROCPRIM_400000_NS6detail17trampoline_kernelINS0_14default_configENS1_20scan_config_selectorItEEZZNS1_9scan_implILNS1_25lookback_scan_determinismE0ELb0ELb0ES3_N6thrust23THRUST_200600_302600_NS6detail15normal_iteratorINS9_10device_ptrItEEEESE_tNS9_4plusIvEEtEEDaPvRmT3_T4_T5_mT6_P12ihipStream_tbENKUlT_T0_E_clISt17integral_constantIbLb1EESU_EEDaSP_SQ_EUlSP_E_NS1_11comp_targetILNS1_3genE5ELNS1_11target_archE942ELNS1_3gpuE9ELNS1_3repE0EEENS1_30default_config_static_selectorELNS0_4arch9wavefront6targetE1EEEvT1_
		.amdhsa_group_segment_fixed_size 0
		.amdhsa_private_segment_fixed_size 0
		.amdhsa_kernarg_size 96
		.amdhsa_user_sgpr_count 6
		.amdhsa_user_sgpr_private_segment_buffer 1
		.amdhsa_user_sgpr_dispatch_ptr 0
		.amdhsa_user_sgpr_queue_ptr 0
		.amdhsa_user_sgpr_kernarg_segment_ptr 1
		.amdhsa_user_sgpr_dispatch_id 0
		.amdhsa_user_sgpr_flat_scratch_init 0
		.amdhsa_user_sgpr_kernarg_preload_length 0
		.amdhsa_user_sgpr_kernarg_preload_offset 0
		.amdhsa_user_sgpr_private_segment_size 0
		.amdhsa_uses_dynamic_stack 0
		.amdhsa_system_sgpr_private_segment_wavefront_offset 0
		.amdhsa_system_sgpr_workgroup_id_x 1
		.amdhsa_system_sgpr_workgroup_id_y 0
		.amdhsa_system_sgpr_workgroup_id_z 0
		.amdhsa_system_sgpr_workgroup_info 0
		.amdhsa_system_vgpr_workitem_id 0
		.amdhsa_next_free_vgpr 1
		.amdhsa_next_free_sgpr 0
		.amdhsa_accum_offset 4
		.amdhsa_reserve_vcc 0
		.amdhsa_reserve_flat_scratch 0
		.amdhsa_float_round_mode_32 0
		.amdhsa_float_round_mode_16_64 0
		.amdhsa_float_denorm_mode_32 3
		.amdhsa_float_denorm_mode_16_64 3
		.amdhsa_dx10_clamp 1
		.amdhsa_ieee_mode 1
		.amdhsa_fp16_overflow 0
		.amdhsa_tg_split 0
		.amdhsa_exception_fp_ieee_invalid_op 0
		.amdhsa_exception_fp_denorm_src 0
		.amdhsa_exception_fp_ieee_div_zero 0
		.amdhsa_exception_fp_ieee_overflow 0
		.amdhsa_exception_fp_ieee_underflow 0
		.amdhsa_exception_fp_ieee_inexact 0
		.amdhsa_exception_int_div_zero 0
	.end_amdhsa_kernel
	.section	.text._ZN7rocprim17ROCPRIM_400000_NS6detail17trampoline_kernelINS0_14default_configENS1_20scan_config_selectorItEEZZNS1_9scan_implILNS1_25lookback_scan_determinismE0ELb0ELb0ES3_N6thrust23THRUST_200600_302600_NS6detail15normal_iteratorINS9_10device_ptrItEEEESE_tNS9_4plusIvEEtEEDaPvRmT3_T4_T5_mT6_P12ihipStream_tbENKUlT_T0_E_clISt17integral_constantIbLb1EESU_EEDaSP_SQ_EUlSP_E_NS1_11comp_targetILNS1_3genE5ELNS1_11target_archE942ELNS1_3gpuE9ELNS1_3repE0EEENS1_30default_config_static_selectorELNS0_4arch9wavefront6targetE1EEEvT1_,"axG",@progbits,_ZN7rocprim17ROCPRIM_400000_NS6detail17trampoline_kernelINS0_14default_configENS1_20scan_config_selectorItEEZZNS1_9scan_implILNS1_25lookback_scan_determinismE0ELb0ELb0ES3_N6thrust23THRUST_200600_302600_NS6detail15normal_iteratorINS9_10device_ptrItEEEESE_tNS9_4plusIvEEtEEDaPvRmT3_T4_T5_mT6_P12ihipStream_tbENKUlT_T0_E_clISt17integral_constantIbLb1EESU_EEDaSP_SQ_EUlSP_E_NS1_11comp_targetILNS1_3genE5ELNS1_11target_archE942ELNS1_3gpuE9ELNS1_3repE0EEENS1_30default_config_static_selectorELNS0_4arch9wavefront6targetE1EEEvT1_,comdat
.Lfunc_end4737:
	.size	_ZN7rocprim17ROCPRIM_400000_NS6detail17trampoline_kernelINS0_14default_configENS1_20scan_config_selectorItEEZZNS1_9scan_implILNS1_25lookback_scan_determinismE0ELb0ELb0ES3_N6thrust23THRUST_200600_302600_NS6detail15normal_iteratorINS9_10device_ptrItEEEESE_tNS9_4plusIvEEtEEDaPvRmT3_T4_T5_mT6_P12ihipStream_tbENKUlT_T0_E_clISt17integral_constantIbLb1EESU_EEDaSP_SQ_EUlSP_E_NS1_11comp_targetILNS1_3genE5ELNS1_11target_archE942ELNS1_3gpuE9ELNS1_3repE0EEENS1_30default_config_static_selectorELNS0_4arch9wavefront6targetE1EEEvT1_, .Lfunc_end4737-_ZN7rocprim17ROCPRIM_400000_NS6detail17trampoline_kernelINS0_14default_configENS1_20scan_config_selectorItEEZZNS1_9scan_implILNS1_25lookback_scan_determinismE0ELb0ELb0ES3_N6thrust23THRUST_200600_302600_NS6detail15normal_iteratorINS9_10device_ptrItEEEESE_tNS9_4plusIvEEtEEDaPvRmT3_T4_T5_mT6_P12ihipStream_tbENKUlT_T0_E_clISt17integral_constantIbLb1EESU_EEDaSP_SQ_EUlSP_E_NS1_11comp_targetILNS1_3genE5ELNS1_11target_archE942ELNS1_3gpuE9ELNS1_3repE0EEENS1_30default_config_static_selectorELNS0_4arch9wavefront6targetE1EEEvT1_
                                        ; -- End function
	.section	.AMDGPU.csdata,"",@progbits
; Kernel info:
; codeLenInByte = 0
; NumSgprs: 4
; NumVgprs: 0
; NumAgprs: 0
; TotalNumVgprs: 0
; ScratchSize: 0
; MemoryBound: 0
; FloatMode: 240
; IeeeMode: 1
; LDSByteSize: 0 bytes/workgroup (compile time only)
; SGPRBlocks: 0
; VGPRBlocks: 0
; NumSGPRsForWavesPerEU: 4
; NumVGPRsForWavesPerEU: 1
; AccumOffset: 4
; Occupancy: 8
; WaveLimiterHint : 0
; COMPUTE_PGM_RSRC2:SCRATCH_EN: 0
; COMPUTE_PGM_RSRC2:USER_SGPR: 6
; COMPUTE_PGM_RSRC2:TRAP_HANDLER: 0
; COMPUTE_PGM_RSRC2:TGID_X_EN: 1
; COMPUTE_PGM_RSRC2:TGID_Y_EN: 0
; COMPUTE_PGM_RSRC2:TGID_Z_EN: 0
; COMPUTE_PGM_RSRC2:TIDIG_COMP_CNT: 0
; COMPUTE_PGM_RSRC3_GFX90A:ACCUM_OFFSET: 0
; COMPUTE_PGM_RSRC3_GFX90A:TG_SPLIT: 0
	.section	.text._ZN7rocprim17ROCPRIM_400000_NS6detail17trampoline_kernelINS0_14default_configENS1_20scan_config_selectorItEEZZNS1_9scan_implILNS1_25lookback_scan_determinismE0ELb0ELb0ES3_N6thrust23THRUST_200600_302600_NS6detail15normal_iteratorINS9_10device_ptrItEEEESE_tNS9_4plusIvEEtEEDaPvRmT3_T4_T5_mT6_P12ihipStream_tbENKUlT_T0_E_clISt17integral_constantIbLb1EESU_EEDaSP_SQ_EUlSP_E_NS1_11comp_targetILNS1_3genE4ELNS1_11target_archE910ELNS1_3gpuE8ELNS1_3repE0EEENS1_30default_config_static_selectorELNS0_4arch9wavefront6targetE1EEEvT1_,"axG",@progbits,_ZN7rocprim17ROCPRIM_400000_NS6detail17trampoline_kernelINS0_14default_configENS1_20scan_config_selectorItEEZZNS1_9scan_implILNS1_25lookback_scan_determinismE0ELb0ELb0ES3_N6thrust23THRUST_200600_302600_NS6detail15normal_iteratorINS9_10device_ptrItEEEESE_tNS9_4plusIvEEtEEDaPvRmT3_T4_T5_mT6_P12ihipStream_tbENKUlT_T0_E_clISt17integral_constantIbLb1EESU_EEDaSP_SQ_EUlSP_E_NS1_11comp_targetILNS1_3genE4ELNS1_11target_archE910ELNS1_3gpuE8ELNS1_3repE0EEENS1_30default_config_static_selectorELNS0_4arch9wavefront6targetE1EEEvT1_,comdat
	.protected	_ZN7rocprim17ROCPRIM_400000_NS6detail17trampoline_kernelINS0_14default_configENS1_20scan_config_selectorItEEZZNS1_9scan_implILNS1_25lookback_scan_determinismE0ELb0ELb0ES3_N6thrust23THRUST_200600_302600_NS6detail15normal_iteratorINS9_10device_ptrItEEEESE_tNS9_4plusIvEEtEEDaPvRmT3_T4_T5_mT6_P12ihipStream_tbENKUlT_T0_E_clISt17integral_constantIbLb1EESU_EEDaSP_SQ_EUlSP_E_NS1_11comp_targetILNS1_3genE4ELNS1_11target_archE910ELNS1_3gpuE8ELNS1_3repE0EEENS1_30default_config_static_selectorELNS0_4arch9wavefront6targetE1EEEvT1_ ; -- Begin function _ZN7rocprim17ROCPRIM_400000_NS6detail17trampoline_kernelINS0_14default_configENS1_20scan_config_selectorItEEZZNS1_9scan_implILNS1_25lookback_scan_determinismE0ELb0ELb0ES3_N6thrust23THRUST_200600_302600_NS6detail15normal_iteratorINS9_10device_ptrItEEEESE_tNS9_4plusIvEEtEEDaPvRmT3_T4_T5_mT6_P12ihipStream_tbENKUlT_T0_E_clISt17integral_constantIbLb1EESU_EEDaSP_SQ_EUlSP_E_NS1_11comp_targetILNS1_3genE4ELNS1_11target_archE910ELNS1_3gpuE8ELNS1_3repE0EEENS1_30default_config_static_selectorELNS0_4arch9wavefront6targetE1EEEvT1_
	.globl	_ZN7rocprim17ROCPRIM_400000_NS6detail17trampoline_kernelINS0_14default_configENS1_20scan_config_selectorItEEZZNS1_9scan_implILNS1_25lookback_scan_determinismE0ELb0ELb0ES3_N6thrust23THRUST_200600_302600_NS6detail15normal_iteratorINS9_10device_ptrItEEEESE_tNS9_4plusIvEEtEEDaPvRmT3_T4_T5_mT6_P12ihipStream_tbENKUlT_T0_E_clISt17integral_constantIbLb1EESU_EEDaSP_SQ_EUlSP_E_NS1_11comp_targetILNS1_3genE4ELNS1_11target_archE910ELNS1_3gpuE8ELNS1_3repE0EEENS1_30default_config_static_selectorELNS0_4arch9wavefront6targetE1EEEvT1_
	.p2align	8
	.type	_ZN7rocprim17ROCPRIM_400000_NS6detail17trampoline_kernelINS0_14default_configENS1_20scan_config_selectorItEEZZNS1_9scan_implILNS1_25lookback_scan_determinismE0ELb0ELb0ES3_N6thrust23THRUST_200600_302600_NS6detail15normal_iteratorINS9_10device_ptrItEEEESE_tNS9_4plusIvEEtEEDaPvRmT3_T4_T5_mT6_P12ihipStream_tbENKUlT_T0_E_clISt17integral_constantIbLb1EESU_EEDaSP_SQ_EUlSP_E_NS1_11comp_targetILNS1_3genE4ELNS1_11target_archE910ELNS1_3gpuE8ELNS1_3repE0EEENS1_30default_config_static_selectorELNS0_4arch9wavefront6targetE1EEEvT1_,@function
_ZN7rocprim17ROCPRIM_400000_NS6detail17trampoline_kernelINS0_14default_configENS1_20scan_config_selectorItEEZZNS1_9scan_implILNS1_25lookback_scan_determinismE0ELb0ELb0ES3_N6thrust23THRUST_200600_302600_NS6detail15normal_iteratorINS9_10device_ptrItEEEESE_tNS9_4plusIvEEtEEDaPvRmT3_T4_T5_mT6_P12ihipStream_tbENKUlT_T0_E_clISt17integral_constantIbLb1EESU_EEDaSP_SQ_EUlSP_E_NS1_11comp_targetILNS1_3genE4ELNS1_11target_archE910ELNS1_3gpuE8ELNS1_3repE0EEENS1_30default_config_static_selectorELNS0_4arch9wavefront6targetE1EEEvT1_: ; @_ZN7rocprim17ROCPRIM_400000_NS6detail17trampoline_kernelINS0_14default_configENS1_20scan_config_selectorItEEZZNS1_9scan_implILNS1_25lookback_scan_determinismE0ELb0ELb0ES3_N6thrust23THRUST_200600_302600_NS6detail15normal_iteratorINS9_10device_ptrItEEEESE_tNS9_4plusIvEEtEEDaPvRmT3_T4_T5_mT6_P12ihipStream_tbENKUlT_T0_E_clISt17integral_constantIbLb1EESU_EEDaSP_SQ_EUlSP_E_NS1_11comp_targetILNS1_3genE4ELNS1_11target_archE910ELNS1_3gpuE8ELNS1_3repE0EEENS1_30default_config_static_selectorELNS0_4arch9wavefront6targetE1EEEvT1_
; %bb.0:
	s_load_dwordx2 s[28:29], s[4:5], 0x28
	v_cmp_ne_u32_e64 s[0:1], 0, v0
	v_cmp_eq_u32_e64 s[2:3], 0, v0
	s_and_saveexec_b64 s[6:7], s[2:3]
	s_cbranch_execz .LBB4738_4
; %bb.1:
	s_mov_b64 s[10:11], exec
	v_mbcnt_lo_u32_b32 v1, s10, 0
	v_mbcnt_hi_u32_b32 v1, s11, v1
	v_cmp_eq_u32_e32 vcc, 0, v1
                                        ; implicit-def: $vgpr2
	s_and_saveexec_b64 s[8:9], vcc
	s_cbranch_execz .LBB4738_3
; %bb.2:
	s_load_dwordx2 s[12:13], s[4:5], 0x58
	s_bcnt1_i32_b64 s10, s[10:11]
	v_mov_b32_e32 v2, 0
	v_mov_b32_e32 v3, s10
	s_waitcnt lgkmcnt(0)
	global_atomic_add v2, v2, v3, s[12:13] glc
.LBB4738_3:
	s_or_b64 exec, exec, s[8:9]
	s_waitcnt vmcnt(0)
	v_readfirstlane_b32 s8, v2
	v_add_u32_e32 v1, s8, v1
	v_mov_b32_e32 v2, 0
	ds_write_b32 v2, v1
.LBB4738_4:
	s_or_b64 exec, exec, s[6:7]
	s_load_dwordx8 s[20:27], s[4:5], 0x0
	s_load_dword s6, s[4:5], 0x30
	s_load_dwordx8 s[12:19], s[4:5], 0x38
	v_mov_b32_e32 v1, 0
	s_waitcnt lgkmcnt(0)
	; wave barrier
	s_waitcnt lgkmcnt(0)
	ds_read_b32 v1, v1
	s_lshl_b64 s[10:11], s[22:23], 1
	s_add_u32 s7, s20, s10
	s_addc_u32 s8, s21, s11
	s_add_i32 s6, s6, -1
	s_mul_i32 s9, s6, 0x600
	s_sub_u32 s30, s26, s9
	s_waitcnt lgkmcnt(0)
	v_readfirstlane_b32 s33, v1
	s_subb_u32 s31, s27, 0
	s_mul_i32 s4, s33, 0x600
	s_mov_b32 s5, 0
	s_cmp_lg_u32 s33, s6
	s_cselect_b64 s[20:21], -1, 0
	s_lshl_b64 s[22:23], s[4:5], 1
	s_add_u32 s6, s7, s22
	s_addc_u32 s7, s8, s23
	s_mov_b64 s[4:5], -1
	s_and_b64 vcc, exec, s[20:21]
	v_lshlrev_b32_e32 v20, 1, v0
	s_waitcnt lgkmcnt(0)
	; wave barrier
	s_cbranch_vccz .LBB4738_6
; %bb.5:
	v_mov_b32_e32 v1, s7
	v_add_co_u32_e32 v2, vcc, s6, v20
	v_addc_co_u32_e32 v3, vcc, 0, v1, vcc
	flat_load_ushort v1, v[2:3]
	flat_load_ushort v4, v[2:3] offset:128
	flat_load_ushort v5, v[2:3] offset:256
	;; [unrolled: 1-line block ×23, first 2 shown]
	s_mov_b64 s[4:5], 0
	s_waitcnt vmcnt(0) lgkmcnt(0)
	ds_write_b16 v20, v1
	ds_write_b16 v20, v4 offset:128
	ds_write_b16 v20, v5 offset:256
	;; [unrolled: 1-line block ×23, first 2 shown]
	s_waitcnt lgkmcnt(0)
	; wave barrier
.LBB4738_6:
	s_andn2_b64 vcc, exec, s[4:5]
	v_cmp_gt_u32_e64 s[4:5], s30, v0
	s_cbranch_vccnz .LBB4738_56
; %bb.7:
	v_pk_mov_b32 v[2:3], s[6:7], s[6:7] op_sel:[0,1]
	flat_load_ushort v1, v[2:3]
	s_waitcnt vmcnt(0) lgkmcnt(0)
	v_mov_b32_e32 v2, v1
	s_and_saveexec_b64 s[8:9], s[4:5]
	s_cbranch_execz .LBB4738_9
; %bb.8:
	v_mov_b32_e32 v3, s7
	v_add_co_u32_e32 v2, vcc, s6, v20
	v_addc_co_u32_e32 v3, vcc, 0, v3, vcc
	flat_load_ushort v2, v[2:3]
.LBB4738_9:
	s_or_b64 exec, exec, s[8:9]
	v_or_b32_e32 v3, 64, v0
	v_cmp_gt_u32_e32 vcc, s30, v3
	v_mov_b32_e32 v3, v1
	s_and_saveexec_b64 s[4:5], vcc
	s_cbranch_execz .LBB4738_11
; %bb.10:
	v_mov_b32_e32 v3, s7
	v_add_co_u32_e32 v4, vcc, s6, v20
	v_addc_co_u32_e32 v5, vcc, 0, v3, vcc
	flat_load_ushort v3, v[4:5] offset:128
.LBB4738_11:
	s_or_b64 exec, exec, s[4:5]
	v_or_b32_e32 v4, 0x80, v0
	v_cmp_gt_u32_e32 vcc, s30, v4
	v_mov_b32_e32 v4, v1
	s_and_saveexec_b64 s[4:5], vcc
	s_cbranch_execz .LBB4738_13
; %bb.12:
	v_mov_b32_e32 v5, s7
	v_add_co_u32_e32 v4, vcc, s6, v20
	v_addc_co_u32_e32 v5, vcc, 0, v5, vcc
	flat_load_ushort v4, v[4:5] offset:256
.LBB4738_13:
	;; [unrolled: 12-line block ×22, first 2 shown]
	s_or_b64 exec, exec, s[4:5]
	v_or_b32_e32 v26, 0x5c0, v0
	v_cmp_gt_u32_e32 vcc, s30, v26
	s_and_saveexec_b64 s[4:5], vcc
	s_cbranch_execz .LBB4738_55
; %bb.54:
	v_mov_b32_e32 v1, s7
	v_add_co_u32_e32 v26, vcc, s6, v20
	v_addc_co_u32_e32 v27, vcc, 0, v1, vcc
	flat_load_ushort v1, v[26:27] offset:2944
.LBB4738_55:
	s_or_b64 exec, exec, s[4:5]
	s_waitcnt vmcnt(0) lgkmcnt(0)
	ds_write_b16 v20, v2
	ds_write_b16 v20, v3 offset:128
	ds_write_b16 v20, v4 offset:256
	;; [unrolled: 1-line block ×23, first 2 shown]
	s_waitcnt lgkmcnt(0)
	; wave barrier
.LBB4738_56:
	v_mul_u32_u24_e32 v21, 24, v0
	v_lshlrev_b32_e32 v1, 1, v21
	s_waitcnt lgkmcnt(0)
	ds_read_b128 v[10:13], v1
	ds_read_b128 v[6:9], v1 offset:16
	ds_read_b128 v[2:5], v1 offset:32
	s_cmp_lg_u32 s33, 0
	v_mbcnt_lo_u32_b32 v22, -1, 0
	v_cmp_eq_u32_e32 vcc, 63, v0
	s_waitcnt lgkmcnt(0)
	; wave barrier
	s_waitcnt lgkmcnt(0)
	s_cbranch_scc0 .LBB4738_83
; %bb.57:
	v_add_u16_sdwa v14, v10, v10 dst_sel:DWORD dst_unused:UNUSED_PAD src0_sel:WORD_1 src1_sel:DWORD
	v_add_u16_e32 v14, v14, v11
	v_add_u16_sdwa v14, v14, v11 dst_sel:DWORD dst_unused:UNUSED_PAD src0_sel:DWORD src1_sel:WORD_1
	v_add_u16_e32 v14, v14, v12
	v_add_u16_sdwa v14, v14, v12 dst_sel:DWORD dst_unused:UNUSED_PAD src0_sel:DWORD src1_sel:WORD_1
	;; [unrolled: 2-line block ×10, first 2 shown]
	v_add_u16_e32 v14, v14, v5
	v_mbcnt_hi_u32_b32 v15, -1, v22
	v_add_u16_sdwa v14, v14, v5 dst_sel:DWORD dst_unused:UNUSED_PAD src0_sel:DWORD src1_sel:WORD_1
	v_and_b32_e32 v16, 15, v15
	v_cmp_ne_u32_e64 s[4:5], 0, v16
	v_mov_b32_dpp v17, v14 row_shr:1 row_mask:0xf bank_mask:0xf
	v_cndmask_b32_e64 v17, 0, v17, s[4:5]
	v_add_u16_e32 v14, v17, v14
	v_cmp_lt_u32_e64 s[4:5], 1, v16
	s_nop 0
	v_mov_b32_dpp v17, v14 row_shr:2 row_mask:0xf bank_mask:0xf
	v_cndmask_b32_e64 v17, 0, v17, s[4:5]
	v_add_u16_e32 v14, v14, v17
	v_cmp_lt_u32_e64 s[4:5], 3, v16
	s_nop 0
	v_mov_b32_dpp v17, v14 row_shr:4 row_mask:0xf bank_mask:0xf
	v_cndmask_b32_e64 v17, 0, v17, s[4:5]
	v_add_u16_e32 v14, v14, v17
	v_cmp_lt_u32_e64 s[4:5], 7, v16
	s_nop 0
	v_mov_b32_dpp v17, v14 row_shr:8 row_mask:0xf bank_mask:0xf
	v_cndmask_b32_e64 v16, 0, v17, s[4:5]
	v_add_u16_e32 v14, v14, v16
	v_and_b32_e32 v17, 16, v15
	v_cmp_ne_u32_e64 s[4:5], 0, v17
	v_mov_b32_dpp v16, v14 row_bcast:15 row_mask:0xf bank_mask:0xf
	v_cndmask_b32_e64 v16, 0, v16, s[4:5]
	v_add_u16_e32 v14, v14, v16
	v_cmp_lt_u32_e64 s[4:5], 31, v15
	s_nop 0
	v_mov_b32_dpp v16, v14 row_bcast:31 row_mask:0xf bank_mask:0xf
	v_cndmask_b32_e64 v16, 0, v16, s[4:5]
	v_add_u16_e32 v14, v14, v16
	s_and_saveexec_b64 s[4:5], vcc
	s_cbranch_execz .LBB4738_59
; %bb.58:
	v_mov_b32_e32 v16, 0
	ds_write_b16 v16, v14
.LBB4738_59:
	s_or_b64 exec, exec, s[4:5]
	v_add_u32_e32 v16, -1, v15
	v_and_b32_e32 v17, 64, v15
	v_cmp_lt_i32_e32 vcc, v16, v17
	v_cndmask_b32_e32 v16, v16, v15, vcc
	v_lshlrev_b32_e32 v16, 2, v16
	ds_bpermute_b32 v23, v16, v14
	v_cmp_gt_u32_e32 vcc, 64, v0
	s_waitcnt lgkmcnt(0)
	; wave barrier
	s_waitcnt lgkmcnt(0)
	s_and_saveexec_b64 s[26:27], vcc
	s_cbranch_execz .LBB4738_82
; %bb.60:
	v_mov_b32_e32 v19, 0
	ds_read_u16 v24, v19
	s_mov_b32 s9, 0
	v_cmp_eq_u32_e64 s[4:5], 0, v15
	s_and_saveexec_b64 s[6:7], s[4:5]
	s_cbranch_execz .LBB4738_62
; %bb.61:
	s_add_i32 s8, s33, 64
	s_lshl_b64 s[8:9], s[8:9], 2
	s_add_u32 s8, s28, s8
	s_waitcnt lgkmcnt(0)
	v_or_b32_e32 v14, 0x10000, v24
	s_addc_u32 s9, s29, s9
	global_store_dword v19, v14, s[8:9]
.LBB4738_62:
	s_or_b64 exec, exec, s[6:7]
	v_xad_u32 v14, v15, -1, s33
	v_add_u32_e32 v18, 64, v14
	v_lshlrev_b64 v[16:17], 2, v[18:19]
	v_mov_b32_e32 v18, s29
	v_add_co_u32_e32 v16, vcc, s28, v16
	v_addc_co_u32_e32 v17, vcc, v18, v17, vcc
	global_load_dword v18, v[16:17], off glc
	s_waitcnt vmcnt(0)
	v_lshrrev_b32_e32 v28, 16, v18
	v_cmp_eq_u16_sdwa s[8:9], v28, v19 src0_sel:BYTE_0 src1_sel:DWORD
	s_and_saveexec_b64 s[6:7], s[8:9]
	s_cbranch_execz .LBB4738_68
; %bb.63:
	s_mov_b32 s34, 1
	s_mov_b64 s[8:9], 0
	v_mov_b32_e32 v19, 0
.LBB4738_64:                            ; =>This Loop Header: Depth=1
                                        ;     Child Loop BB4738_65 Depth 2
	s_max_u32 s35, s34, 1
.LBB4738_65:                            ;   Parent Loop BB4738_64 Depth=1
                                        ; =>  This Inner Loop Header: Depth=2
	s_add_i32 s35, s35, -1
	s_cmp_eq_u32 s35, 0
	s_sleep 1
	s_cbranch_scc0 .LBB4738_65
; %bb.66:                               ;   in Loop: Header=BB4738_64 Depth=1
	global_load_dword v18, v[16:17], off glc
	s_cmp_lt_u32 s34, 32
	s_cselect_b64 s[36:37], -1, 0
	s_cmp_lg_u64 s[36:37], 0
	s_addc_u32 s34, s34, 0
	s_waitcnt vmcnt(0)
	v_lshrrev_b32_e32 v28, 16, v18
	v_cmp_ne_u16_sdwa s[36:37], v28, v19 src0_sel:BYTE_0 src1_sel:DWORD
	s_or_b64 s[8:9], s[36:37], s[8:9]
	s_andn2_b64 exec, exec, s[8:9]
	s_cbranch_execnz .LBB4738_64
; %bb.67:
	s_or_b64 exec, exec, s[8:9]
.LBB4738_68:
	s_or_b64 exec, exec, s[6:7]
	v_and_b32_e32 v26, 63, v15
	v_cmp_ne_u32_e32 vcc, 63, v26
	v_mov_b32_e32 v25, 2
	v_addc_co_u32_e32 v27, vcc, 0, v15, vcc
	v_cmp_eq_u16_sdwa s[6:7], v28, v25 src0_sel:BYTE_0 src1_sel:DWORD
	v_lshlrev_b64 v[16:17], v15, -1
	v_and_b32_e32 v30, 0xffff, v18
	v_lshlrev_b32_e32 v27, 2, v27
	v_and_b32_e32 v19, s7, v17
	ds_bpermute_b32 v31, v27, v30
	v_or_b32_e32 v19, 0x80000000, v19
	v_and_b32_e32 v29, s6, v16
	v_ffbl_b32_e32 v19, v19
	v_add_u32_e32 v19, 32, v19
	v_ffbl_b32_e32 v29, v29
	v_cmp_gt_u32_e64 s[6:7], 62, v26
	v_min_u32_e32 v19, v29, v19
	v_cndmask_b32_e64 v29, 0, 1, s[6:7]
	s_waitcnt lgkmcnt(0)
	v_add_u16_e32 v31, v31, v18
	v_cmp_lt_u32_e32 vcc, v26, v19
	v_lshlrev_b32_e32 v29, 1, v29
	v_cndmask_b32_e32 v32, v30, v31, vcc
	v_add_lshl_u32 v29, v29, v15, 2
	ds_bpermute_b32 v33, v29, v32
	v_cmp_gt_u32_e64 s[8:9], 60, v26
	v_cndmask_b32_e32 v34, v18, v31, vcc
	v_add_u32_e32 v30, 2, v26
	v_cndmask_b32_e64 v31, 0, 1, s[8:9]
	s_waitcnt lgkmcnt(0)
	v_add_u16_e32 v33, v34, v33
	v_cmp_gt_u32_e64 s[6:7], v30, v19
	v_lshlrev_b32_e32 v31, 2, v31
	v_cndmask_b32_e64 v35, v33, v32, s[6:7]
	v_add_lshl_u32 v31, v31, v15, 2
	ds_bpermute_b32 v36, v31, v35
	v_cmp_gt_u32_e64 s[8:9], 56, v26
	v_cndmask_b32_e64 v34, v33, v34, s[6:7]
	v_add_u32_e32 v32, 4, v26
	v_cndmask_b32_e64 v33, 0, 1, s[8:9]
	s_waitcnt lgkmcnt(0)
	v_add_u16_e32 v36, v34, v36
	v_cmp_gt_u32_e64 s[6:7], v32, v19
	v_lshlrev_b32_e32 v33, 3, v33
	v_cndmask_b32_e64 v35, v36, v35, s[6:7]
	v_add_lshl_u32 v33, v33, v15, 2
	ds_bpermute_b32 v37, v33, v35
	v_cndmask_b32_e64 v36, v36, v34, s[6:7]
	v_add_u32_e32 v34, 8, v26
	v_cmp_gt_u32_e64 s[6:7], v34, v19
	v_cmp_gt_u32_e64 s[8:9], 48, v26
	s_waitcnt lgkmcnt(0)
	v_add_u16_e32 v37, v36, v37
	v_cndmask_b32_e64 v38, v37, v35, s[6:7]
	v_cndmask_b32_e64 v35, 0, 1, s[8:9]
	v_lshlrev_b32_e32 v35, 4, v35
	v_add_lshl_u32 v35, v35, v15, 2
	ds_bpermute_b32 v39, v35, v38
	v_cndmask_b32_e64 v37, v37, v36, s[6:7]
	v_add_u32_e32 v36, 16, v26
	v_cmp_gt_u32_e64 s[6:7], v36, v19
	v_cmp_gt_u32_e64 s[8:9], 32, v26
	s_waitcnt lgkmcnt(0)
	v_add_u16_e32 v40, v37, v39
	v_cndmask_b32_e64 v39, v40, v38, s[6:7]
	v_cndmask_b32_e64 v38, 0, 1, s[8:9]
	v_lshlrev_b32_e32 v38, 5, v38
	v_add_lshl_u32 v38, v38, v15, 2
	ds_bpermute_b32 v15, v38, v39
	v_add_u32_e32 v39, 32, v26
	v_cndmask_b32_e64 v37, v40, v37, s[6:7]
	v_cmp_le_u32_e64 s[6:7], v39, v19
	s_waitcnt lgkmcnt(0)
	v_cndmask_b32_e64 v15, 0, v15, s[6:7]
	v_add_u16_e32 v15, v37, v15
	v_cndmask_b32_e32 v18, v18, v15, vcc
	v_mov_b32_e32 v15, 0
	s_branch .LBB4738_70
.LBB4738_69:                            ;   in Loop: Header=BB4738_70 Depth=1
	s_or_b64 exec, exec, s[6:7]
	v_cmp_eq_u16_sdwa s[6:7], v28, v25 src0_sel:BYTE_0 src1_sel:DWORD
	v_and_b32_e32 v41, 0xffff, v40
	v_and_b32_e32 v18, s7, v17
	ds_bpermute_b32 v42, v27, v41
	v_or_b32_e32 v18, 0x80000000, v18
	v_and_b32_e32 v19, s6, v16
	v_ffbl_b32_e32 v18, v18
	v_add_u32_e32 v18, 32, v18
	v_ffbl_b32_e32 v19, v19
	v_min_u32_e32 v18, v19, v18
	s_waitcnt lgkmcnt(0)
	v_add_u16_e32 v19, v42, v40
	v_cmp_lt_u32_e32 vcc, v26, v18
	v_cndmask_b32_e32 v41, v41, v19, vcc
	ds_bpermute_b32 v42, v29, v41
	v_cndmask_b32_e32 v19, v40, v19, vcc
	v_cmp_gt_u32_e64 s[6:7], v30, v18
	v_subrev_u32_e32 v14, 64, v14
	s_waitcnt lgkmcnt(0)
	v_add_u16_e32 v42, v19, v42
	v_cndmask_b32_e64 v41, v42, v41, s[6:7]
	ds_bpermute_b32 v43, v31, v41
	v_cndmask_b32_e64 v19, v42, v19, s[6:7]
	v_cmp_gt_u32_e64 s[6:7], v32, v18
	s_waitcnt lgkmcnt(0)
	v_add_u16_e32 v42, v19, v43
	v_cndmask_b32_e64 v41, v42, v41, s[6:7]
	ds_bpermute_b32 v43, v33, v41
	v_cndmask_b32_e64 v19, v42, v19, s[6:7]
	v_cmp_gt_u32_e64 s[6:7], v34, v18
	;; [unrolled: 6-line block ×3, first 2 shown]
	s_waitcnt lgkmcnt(0)
	v_add_u16_e32 v42, v19, v43
	v_cndmask_b32_e64 v41, v42, v41, s[6:7]
	ds_bpermute_b32 v41, v38, v41
	v_cndmask_b32_e64 v19, v42, v19, s[6:7]
	v_cmp_le_u32_e64 s[6:7], v39, v18
	s_waitcnt lgkmcnt(0)
	v_cndmask_b32_e64 v18, 0, v41, s[6:7]
	v_add_u16_e32 v18, v19, v18
	v_cndmask_b32_e32 v18, v40, v18, vcc
	v_add_u16_e32 v18, v18, v37
.LBB4738_70:                            ; =>This Loop Header: Depth=1
                                        ;     Child Loop BB4738_73 Depth 2
                                        ;       Child Loop BB4738_74 Depth 3
	v_cmp_ne_u16_sdwa s[6:7], v28, v25 src0_sel:BYTE_0 src1_sel:DWORD
	v_cndmask_b32_e64 v19, 0, 1, s[6:7]
	;;#ASMSTART
	;;#ASMEND
	v_cmp_ne_u32_e32 vcc, 0, v19
	s_cmp_lg_u64 vcc, exec
	v_mov_b32_e32 v37, v18
	s_cbranch_scc1 .LBB4738_77
; %bb.71:                               ;   in Loop: Header=BB4738_70 Depth=1
	v_lshlrev_b64 v[18:19], 2, v[14:15]
	v_mov_b32_e32 v28, s29
	v_add_co_u32_e32 v18, vcc, s28, v18
	v_addc_co_u32_e32 v19, vcc, v28, v19, vcc
	global_load_dword v40, v[18:19], off glc
	s_waitcnt vmcnt(0)
	v_lshrrev_b32_e32 v28, 16, v40
	v_cmp_eq_u16_sdwa s[8:9], v28, v15 src0_sel:BYTE_0 src1_sel:DWORD
	s_and_saveexec_b64 s[6:7], s[8:9]
	s_cbranch_execz .LBB4738_69
; %bb.72:                               ;   in Loop: Header=BB4738_70 Depth=1
	s_mov_b32 s34, 1
	s_mov_b64 s[8:9], 0
.LBB4738_73:                            ;   Parent Loop BB4738_70 Depth=1
                                        ; =>  This Loop Header: Depth=2
                                        ;       Child Loop BB4738_74 Depth 3
	s_max_u32 s35, s34, 1
.LBB4738_74:                            ;   Parent Loop BB4738_70 Depth=1
                                        ;     Parent Loop BB4738_73 Depth=2
                                        ; =>    This Inner Loop Header: Depth=3
	s_add_i32 s35, s35, -1
	s_cmp_eq_u32 s35, 0
	s_sleep 1
	s_cbranch_scc0 .LBB4738_74
; %bb.75:                               ;   in Loop: Header=BB4738_73 Depth=2
	global_load_dword v40, v[18:19], off glc
	s_cmp_lt_u32 s34, 32
	s_cselect_b64 s[36:37], -1, 0
	s_cmp_lg_u64 s[36:37], 0
	s_addc_u32 s34, s34, 0
	s_waitcnt vmcnt(0)
	v_lshrrev_b32_e32 v28, 16, v40
	v_cmp_ne_u16_sdwa s[36:37], v28, v15 src0_sel:BYTE_0 src1_sel:DWORD
	s_or_b64 s[8:9], s[36:37], s[8:9]
	s_andn2_b64 exec, exec, s[8:9]
	s_cbranch_execnz .LBB4738_73
; %bb.76:                               ;   in Loop: Header=BB4738_70 Depth=1
	s_or_b64 exec, exec, s[8:9]
	s_branch .LBB4738_69
.LBB4738_77:                            ;   in Loop: Header=BB4738_70 Depth=1
                                        ; implicit-def: $vgpr18
                                        ; implicit-def: $vgpr28
	s_cbranch_execz .LBB4738_70
; %bb.78:
	s_and_saveexec_b64 s[6:7], s[4:5]
	s_cbranch_execz .LBB4738_80
; %bb.79:
	s_add_i32 s4, s33, 64
	s_mov_b32 s5, 0
	s_lshl_b64 s[4:5], s[4:5], 2
	v_add_u16_e32 v14, v37, v24
	s_add_u32 s4, s28, s4
	v_or_b32_e32 v14, 0x20000, v14
	s_addc_u32 s5, s29, s5
	v_mov_b32_e32 v15, 0
	global_store_dword v15, v14, s[4:5]
.LBB4738_80:
	s_or_b64 exec, exec, s[6:7]
	s_and_b64 exec, exec, s[2:3]
	s_cbranch_execz .LBB4738_82
; %bb.81:
	v_mov_b32_e32 v14, 0
	ds_write_b16 v14, v37
.LBB4738_82:
	s_or_b64 exec, exec, s[26:27]
	v_mov_b32_e32 v14, 0
	s_waitcnt lgkmcnt(0)
	; wave barrier
	s_waitcnt lgkmcnt(0)
	ds_read_u16 v14, v14
	v_cndmask_b32_e64 v15, v23, 0, s[2:3]
	v_add_u16_e32 v15, v15, v10
	s_waitcnt lgkmcnt(0)
	v_add_u16_e32 v14, v15, v14
	v_add_u16_sdwa v15, v14, v10 dst_sel:DWORD dst_unused:UNUSED_PAD src0_sel:DWORD src1_sel:WORD_1
	v_add_u16_e32 v16, v15, v11
	v_add_u16_sdwa v17, v16, v11 dst_sel:DWORD dst_unused:UNUSED_PAD src0_sel:DWORD src1_sel:WORD_1
	;; [unrolled: 2-line block ×12, first 2 shown]
	s_branch .LBB4738_93
.LBB4738_83:
                                        ; implicit-def: $vgpr14
                                        ; implicit-def: $vgpr15
                                        ; implicit-def: $vgpr16
                                        ; implicit-def: $vgpr17
                                        ; implicit-def: $vgpr18
                                        ; implicit-def: $vgpr19
                                        ; implicit-def: $vgpr24
                                        ; implicit-def: $vgpr26
                                        ; implicit-def: $vgpr23
                                        ; implicit-def: $vgpr25
                                        ; implicit-def: $vgpr27
                                        ; implicit-def: $vgpr28
                                        ; implicit-def: $vgpr29
                                        ; implicit-def: $vgpr30
                                        ; implicit-def: $vgpr32
                                        ; implicit-def: $vgpr34
                                        ; implicit-def: $vgpr31
                                        ; implicit-def: $vgpr33
                                        ; implicit-def: $vgpr35
                                        ; implicit-def: $vgpr36
                                        ; implicit-def: $vgpr37
                                        ; implicit-def: $vgpr38
                                        ; implicit-def: $vgpr39
                                        ; implicit-def: $vgpr40
	s_cbranch_execz .LBB4738_93
; %bb.84:
	s_cmp_lg_u64 s[16:17], 0
	s_cselect_b64 s[4:5], -1, 0
	s_and_b64 s[4:5], s[2:3], s[4:5]
	v_mov_b32_e32 v14, v10
	s_and_saveexec_b64 s[2:3], s[4:5]
	s_cbranch_execz .LBB4738_86
; %bb.85:
	v_mov_b32_e32 v14, 0
	global_load_ushort v14, v14, s[12:13]
	s_waitcnt vmcnt(0)
	v_add_u16_e32 v14, v14, v10
.LBB4738_86:
	s_or_b64 exec, exec, s[2:3]
	v_add_u16_sdwa v15, v14, v10 dst_sel:DWORD dst_unused:UNUSED_PAD src0_sel:DWORD src1_sel:WORD_1
	v_add_u16_e32 v16, v15, v11
	v_add_u16_sdwa v17, v16, v11 dst_sel:DWORD dst_unused:UNUSED_PAD src0_sel:DWORD src1_sel:WORD_1
	v_add_u16_e32 v18, v17, v12
	;; [unrolled: 2-line block ×11, first 2 shown]
	v_mbcnt_hi_u32_b32 v22, -1, v22
	v_add_u16_sdwa v40, v39, v5 dst_sel:DWORD dst_unused:UNUSED_PAD src0_sel:DWORD src1_sel:WORD_1
	v_and_b32_e32 v41, 15, v22
	v_cmp_ne_u32_e32 vcc, 0, v41
	v_mov_b32_dpp v42, v40 row_shr:1 row_mask:0xf bank_mask:0xf
	v_cndmask_b32_e32 v42, 0, v42, vcc
	v_add_u16_e32 v42, v40, v42
	v_cmp_lt_u32_e32 vcc, 1, v41
	s_nop 0
	v_mov_b32_dpp v43, v42 row_shr:2 row_mask:0xf bank_mask:0xf
	v_cndmask_b32_e32 v43, 0, v43, vcc
	v_add_u16_e32 v42, v42, v43
	v_cmp_lt_u32_e32 vcc, 3, v41
	s_nop 0
	;; [unrolled: 5-line block ×3, first 2 shown]
	v_mov_b32_dpp v43, v42 row_shr:8 row_mask:0xf bank_mask:0xf
	v_cndmask_b32_e32 v41, 0, v43, vcc
	v_add_u16_e32 v41, v42, v41
	v_and_b32_e32 v43, 16, v22
	v_cmp_ne_u32_e32 vcc, 0, v43
	v_mov_b32_dpp v42, v41 row_bcast:15 row_mask:0xf bank_mask:0xf
	v_cndmask_b32_e32 v42, 0, v42, vcc
	v_add_u16_e32 v41, v41, v42
	v_cmp_lt_u32_e32 vcc, 31, v22
	s_nop 0
	v_mov_b32_dpp v42, v41 row_bcast:31 row_mask:0xf bank_mask:0xf
	v_cndmask_b32_e32 v42, 0, v42, vcc
	v_add_u16_e32 v41, v41, v42
	v_cmp_eq_u32_e32 vcc, 63, v0
	s_and_saveexec_b64 s[2:3], vcc
	s_cbranch_execz .LBB4738_88
; %bb.87:
	v_mov_b32_e32 v42, 0
	ds_write_b16 v42, v41
.LBB4738_88:
	s_or_b64 exec, exec, s[2:3]
	v_add_u32_e32 v42, -1, v22
	v_and_b32_e32 v43, 64, v22
	v_cmp_lt_i32_e64 s[2:3], v42, v43
	v_cndmask_b32_e64 v22, v42, v22, s[2:3]
	v_lshlrev_b32_e32 v22, 2, v22
	ds_bpermute_b32 v22, v22, v41
	s_waitcnt lgkmcnt(0)
	; wave barrier
	s_waitcnt lgkmcnt(0)
	s_and_saveexec_b64 s[2:3], s[0:1]
	s_cbranch_execz .LBB4738_90
; %bb.89:
	v_add_u16_e32 v14, v14, v22
	v_add_u16_sdwa v15, v14, v10 dst_sel:DWORD dst_unused:UNUSED_PAD src0_sel:DWORD src1_sel:WORD_1
	v_add_u16_e32 v16, v15, v11
	v_add_u16_sdwa v17, v16, v11 dst_sel:DWORD dst_unused:UNUSED_PAD src0_sel:DWORD src1_sel:WORD_1
	;; [unrolled: 2-line block ×12, first 2 shown]
	;;#ASMSTART
	;;#ASMEND
.LBB4738_90:
	s_or_b64 exec, exec, s[2:3]
	s_and_saveexec_b64 s[0:1], vcc
	s_cbranch_execz .LBB4738_92
; %bb.91:
	s_mov_b32 s2, 0x20000
	v_mov_b32_e32 v2, 0
	v_or_b32_sdwa v3, v40, s2 dst_sel:DWORD dst_unused:UNUSED_PAD src0_sel:WORD_0 src1_sel:DWORD
	global_store_dword v2, v3, s[28:29] offset:256
.LBB4738_92:
	s_or_b64 exec, exec, s[0:1]
.LBB4738_93:
	s_add_u32 s0, s24, s10
	s_addc_u32 s1, s25, s11
	s_add_u32 s2, s0, s22
	s_addc_u32 s3, s1, s23
	s_mov_b64 s[0:1], -1
	s_and_b64 vcc, exec, s[20:21]
	s_waitcnt lgkmcnt(0)
	; wave barrier
	s_cbranch_vccz .LBB4738_95
; %bb.94:
	s_mov_b32 s0, 0x5040100
	v_perm_b32 v5, v26, v24, s0
	v_perm_b32 v4, v19, v18, s0
	;; [unrolled: 1-line block ×4, first 2 shown]
	ds_write_b128 v1, v[2:5]
	v_perm_b32 v5, v34, v32, s0
	v_perm_b32 v4, v30, v29, s0
	v_perm_b32 v3, v28, v27, s0
	v_perm_b32 v2, v25, v23, s0
	ds_write_b128 v1, v[2:5] offset:16
	v_perm_b32 v5, v40, v39, s0
	v_perm_b32 v4, v38, v37, s0
	;; [unrolled: 1-line block ×4, first 2 shown]
	ds_write_b128 v1, v[2:5] offset:32
	s_waitcnt lgkmcnt(0)
	; wave barrier
	s_waitcnt lgkmcnt(0)
	ds_read_u16 v4, v20
	ds_read_u16 v5, v20 offset:128
	ds_read_u16 v6, v20 offset:256
	;; [unrolled: 1-line block ×23, first 2 shown]
	v_mov_b32_e32 v3, s3
	v_add_co_u32_e32 v2, vcc, s2, v20
	v_addc_co_u32_e32 v3, vcc, 0, v3, vcc
	s_waitcnt lgkmcnt(14)
	flat_store_short v[2:3], v4
	flat_store_short v[2:3], v5 offset:128
	flat_store_short v[2:3], v6 offset:256
	;; [unrolled: 1-line block ×9, first 2 shown]
	s_waitcnt lgkmcnt(0)
	flat_store_short v[2:3], v22 offset:1280
	flat_store_short v[2:3], v41 offset:1408
	;; [unrolled: 1-line block ×14, first 2 shown]
	s_mov_b64 s[0:1], 0
.LBB4738_95:
	s_andn2_b64 vcc, exec, s[0:1]
	s_cbranch_vccnz .LBB4738_152
; %bb.96:
	s_mov_b32 s0, 0x5040100
	v_perm_b32 v5, v26, v24, s0
	v_perm_b32 v4, v19, v18, s0
	;; [unrolled: 1-line block ×4, first 2 shown]
	ds_write_b128 v1, v[2:5]
	v_perm_b32 v5, v34, v32, s0
	v_perm_b32 v4, v30, v29, s0
	;; [unrolled: 1-line block ×4, first 2 shown]
	ds_write_b128 v1, v[2:5] offset:16
	v_perm_b32 v5, v40, v39, s0
	v_perm_b32 v4, v38, v37, s0
	;; [unrolled: 1-line block ×4, first 2 shown]
	ds_write_b128 v1, v[2:5] offset:32
	s_waitcnt lgkmcnt(0)
	; wave barrier
	s_waitcnt lgkmcnt(0)
	ds_read_u16 v5, v20
	ds_read_u16 v4, v20 offset:128
	ds_read_u16 v7, v20 offset:256
	;; [unrolled: 1-line block ×23, first 2 shown]
	v_mov_b32_e32 v3, s3
	v_add_co_u32_e32 v2, vcc, s2, v20
	v_addc_co_u32_e32 v3, vcc, 0, v3, vcc
	v_mov_b32_e32 v1, 0
	v_cmp_gt_u32_e32 vcc, s30, v0
	s_and_saveexec_b64 s[0:1], vcc
	s_cbranch_execz .LBB4738_98
; %bb.97:
	s_waitcnt lgkmcnt(0)
	flat_store_short v[2:3], v5
.LBB4738_98:
	s_or_b64 exec, exec, s[0:1]
	v_or_b32_e32 v20, 64, v0
	v_cmp_gt_u32_e32 vcc, s30, v20
	s_and_saveexec_b64 s[0:1], vcc
	s_cbranch_execz .LBB4738_100
; %bb.99:
	s_waitcnt lgkmcnt(0)
	flat_store_short v[2:3], v4 offset:128
.LBB4738_100:
	s_or_b64 exec, exec, s[0:1]
	v_or_b32_e32 v20, 0x80, v0
	v_cmp_gt_u32_e32 vcc, s30, v20
	s_and_saveexec_b64 s[0:1], vcc
	s_cbranch_execz .LBB4738_102
; %bb.101:
	s_waitcnt lgkmcnt(0)
	flat_store_short v[2:3], v7 offset:256
.LBB4738_102:
	;; [unrolled: 9-line block ×23, first 2 shown]
	s_or_b64 exec, exec, s[0:1]
	v_cmp_lt_u64_e64 s[0:1], s[18:19], 2
	s_and_b64 vcc, exec, s[0:1]
	s_cbranch_vccnz .LBB4738_152
; %bb.145:
	s_add_u32 s0, s30, -1
	s_addc_u32 s1, s31, -1
	s_add_u32 s2, 0, 0xaaaa0000
	s_addc_u32 s3, 0, 42
	s_add_i32 s3, s3, 0xaaaaa80
	s_mul_hi_u32 s7, s2, 0xffffffe8
	s_sub_i32 s7, s7, s2
	s_mul_i32 s8, s3, 0xffffffe8
	s_mul_i32 s4, s2, 0xffffffe8
	s_add_i32 s7, s7, s8
	s_mul_hi_u32 s5, s3, s4
	s_mul_i32 s6, s3, s4
	s_mul_i32 s9, s2, s7
	s_mul_hi_u32 s4, s2, s4
	s_mul_hi_u32 s8, s2, s7
	s_add_u32 s4, s4, s9
	s_addc_u32 s8, 0, s8
	s_add_u32 s4, s4, s6
	s_mul_hi_u32 s9, s3, s7
	s_addc_u32 s4, s8, s5
	s_addc_u32 s5, s9, 0
	s_mul_i32 s6, s3, s7
	s_add_u32 s4, s4, s6
	v_mov_b32_e32 v2, s4
	s_addc_u32 s5, 0, s5
	v_add_co_u32_e32 v2, vcc, s2, v2
	s_cmp_lg_u64 vcc, 0
	s_addc_u32 s2, s3, s5
	v_readfirstlane_b32 s5, v2
	s_mul_i32 s4, s0, s2
	s_mul_hi_u32 s6, s0, s5
	s_mul_hi_u32 s3, s0, s2
	s_add_u32 s4, s6, s4
	s_addc_u32 s3, 0, s3
	s_mul_hi_u32 s7, s1, s5
	s_mul_i32 s5, s1, s5
	s_add_u32 s4, s4, s5
	s_mul_hi_u32 s6, s1, s2
	s_addc_u32 s3, s3, s7
	s_addc_u32 s4, s6, 0
	s_mul_i32 s2, s1, s2
	s_add_u32 s2, s3, s2
	s_addc_u32 s3, 0, s4
	s_add_u32 s4, s2, 1
	s_addc_u32 s5, s3, 0
	s_add_u32 s6, s2, 2
	s_mul_i32 s8, s3, 24
	s_mul_hi_u32 s9, s2, 24
	s_addc_u32 s7, s3, 0
	s_add_i32 s9, s9, s8
	s_mul_i32 s8, s2, 24
	v_mov_b32_e32 v2, s8
	v_sub_co_u32_e32 v2, vcc, s0, v2
	s_cmp_lg_u64 vcc, 0
	s_subb_u32 s8, s1, s9
	v_subrev_co_u32_e32 v3, vcc, 24, v2
	s_cmp_lg_u64 vcc, 0
	s_subb_u32 s9, s8, 0
	v_readfirstlane_b32 s10, v3
	s_cmp_gt_u32 s10, 23
	s_cselect_b32 s10, -1, 0
	s_cmp_eq_u32 s9, 0
	s_cselect_b32 s9, s10, -1
	s_cmp_lg_u32 s9, 0
	s_cselect_b32 s4, s6, s4
	v_readfirstlane_b32 s6, v2
	s_cselect_b32 s5, s7, s5
	s_cmp_gt_u32 s6, 23
	s_cselect_b32 s6, -1, 0
	s_cmp_eq_u32 s8, 0
	s_cselect_b32 s6, s6, -1
	s_cmp_lg_u32 s6, 0
	s_cselect_b32 s3, s5, s3
	s_cselect_b32 s2, s4, s2
	v_cmp_eq_u64_e32 vcc, s[2:3], v[0:1]
	s_and_saveexec_b64 s[2:3], vcc
	s_cbranch_execz .LBB4738_152
; %bb.146:
	v_mul_hi_u32_u24_e32 v1, 24, v0
	v_mov_b32_e32 v2, s1
	v_sub_co_u32_e32 v0, vcc, s0, v21
	v_subb_co_u32_e32 v1, vcc, v2, v1, vcc
	v_cmp_lt_i64_e32 vcc, 11, v[0:1]
	s_mov_b64 s[0:1], 0
	s_mov_b64 s[8:9], 0
	;; [unrolled: 1-line block ×4, first 2 shown]
	s_and_saveexec_b64 s[2:3], vcc
	s_xor_b64 s[2:3], exec, s[2:3]
	s_cbranch_execnz .LBB4738_153
; %bb.147:
	s_andn2_saveexec_b64 s[2:3], s[2:3]
	s_cbranch_execnz .LBB4738_198
.LBB4738_148:
	s_or_b64 exec, exec, s[2:3]
	s_and_saveexec_b64 s[2:3], s[8:9]
	s_cbranch_execnz .LBB4738_215
.LBB4738_149:
	s_or_b64 exec, exec, s[2:3]
	s_and_saveexec_b64 s[2:3], s[6:7]
	s_cbranch_execnz .LBB4738_216
.LBB4738_150:
	s_or_b64 exec, exec, s[2:3]
	s_and_saveexec_b64 s[2:3], s[4:5]
	s_xor_b64 s[2:3], exec, s[2:3]
	s_cbranch_execnz .LBB4738_217
.LBB4738_151:
	s_or_b64 exec, exec, s[2:3]
	s_and_b64 exec, exec, s[0:1]
	s_cbranch_execnz .LBB4738_218
.LBB4738_152:
	s_endpgm
.LBB4738_153:
	v_cmp_lt_i64_e32 vcc, 17, v[0:1]
	s_and_saveexec_b64 s[10:11], vcc
	s_xor_b64 s[10:11], exec, s[10:11]
	s_cbranch_execz .LBB4738_175
; %bb.154:
	v_cmp_lt_i64_e32 vcc, 20, v[0:1]
                                        ; implicit-def: $vgpr10
	s_and_saveexec_b64 s[12:13], vcc
	s_xor_b64 s[12:13], exec, s[12:13]
	s_cbranch_execz .LBB4738_164
; %bb.155:
	v_cmp_lt_i64_e32 vcc, 21, v[0:1]
	s_mov_b64 s[16:17], 0
                                        ; implicit-def: $vgpr10
	s_and_saveexec_b64 s[4:5], vcc
	s_xor_b64 s[4:5], exec, s[4:5]
	s_cbranch_execz .LBB4738_161
; %bb.156:
	v_cmp_lt_i64_e32 vcc, 22, v[0:1]
	s_and_saveexec_b64 s[16:17], vcc
	s_xor_b64 s[16:17], exec, s[16:17]
	s_cbranch_execz .LBB4738_158
; %bb.157:
	v_mov_b32_e32 v2, 0
	s_waitcnt lgkmcnt(0)
	global_store_short v2, v29, s[14:15]
                                        ; implicit-def: $vgpr28
.LBB4738_158:
	s_or_saveexec_b64 s[16:17], s[16:17]
	s_mov_b64 s[18:19], 0
	s_xor_b64 exec, exec, s[16:17]
; %bb.159:
	s_mov_b64 s[18:19], exec
; %bb.160:
	s_or_b64 exec, exec, s[16:17]
	s_and_b64 s[16:17], s[18:19], exec
	s_waitcnt lgkmcnt(0)
	v_mov_b32_e32 v10, v28
                                        ; implicit-def: $vgpr11
.LBB4738_161:
	s_andn2_saveexec_b64 s[4:5], s[4:5]
; %bb.162:
	s_mov_b64 s[6:7], exec
                                        ; implicit-def: $vgpr10
; %bb.163:
	s_or_b64 exec, exec, s[4:5]
	s_and_b64 s[4:5], s[16:17], exec
	s_and_b64 s[6:7], s[6:7], exec
                                        ; implicit-def: $vgpr26
                                        ; implicit-def: $vgpr12
                                        ; implicit-def: $vgpr23
.LBB4738_164:
	s_andn2_saveexec_b64 s[12:13], s[12:13]
	s_cbranch_execz .LBB4738_174
; %bb.165:
	v_cmp_lt_i64_e32 vcc, 18, v[0:1]
	s_mov_b64 s[16:17], 0
	s_and_saveexec_b64 s[8:9], vcc
	s_xor_b64 s[8:9], exec, s[8:9]
	s_cbranch_execz .LBB4738_171
; %bb.166:
	v_cmp_lt_i64_e32 vcc, 19, v[0:1]
	s_and_saveexec_b64 s[18:19], vcc
	s_xor_b64 s[18:19], exec, s[18:19]
; %bb.167:
	s_mov_b64 s[16:17], exec
                                        ; implicit-def: $vgpr23
; %bb.168:
	s_andn2_saveexec_b64 s[18:19], s[18:19]
	s_cbranch_execz .LBB4738_170
; %bb.169:
	v_mov_b32_e32 v2, 0
	s_waitcnt lgkmcnt(0)
	global_store_short v2, v23, s[14:15]
                                        ; implicit-def: $vgpr12
.LBB4738_170:
	s_or_b64 exec, exec, s[18:19]
	s_and_b64 s[16:17], s[16:17], exec
                                        ; implicit-def: $vgpr26
.LBB4738_171:
	s_andn2_saveexec_b64 s[8:9], s[8:9]
	s_cbranch_execz .LBB4738_173
; %bb.172:
	v_mov_b32_e32 v2, 0
	s_waitcnt lgkmcnt(0)
	global_store_short v2, v26, s[14:15]
                                        ; implicit-def: $vgpr12
.LBB4738_173:
	s_or_b64 exec, exec, s[8:9]
	s_and_b64 s[8:9], s[16:17], exec
                                        ; implicit-def: $vgpr10
                                        ; implicit-def: $vgpr11
.LBB4738_174:
	s_or_b64 exec, exec, s[12:13]
	s_and_b64 s[4:5], s[4:5], exec
	s_and_b64 s[6:7], s[6:7], exec
	;; [unrolled: 1-line block ×3, first 2 shown]
                                        ; implicit-def: $vgpr18
                                        ; implicit-def: $vgpr13
                                        ; implicit-def: $vgpr14
                                        ; implicit-def: $vgpr24
                                        ; implicit-def: $vgpr27
.LBB4738_175:
	s_andn2_saveexec_b64 s[10:11], s[10:11]
	s_cbranch_execz .LBB4738_197
; %bb.176:
	v_cmp_lt_i64_e32 vcc, 14, v[0:1]
	s_mov_b64 s[12:13], s[4:5]
	s_and_saveexec_b64 s[16:17], vcc
	s_xor_b64 s[16:17], exec, s[16:17]
	s_cbranch_execz .LBB4738_186
; %bb.177:
	v_cmp_lt_i64_e32 vcc, 15, v[0:1]
	s_and_saveexec_b64 s[12:13], vcc
	s_xor_b64 s[12:13], exec, s[12:13]
	s_cbranch_execz .LBB4738_183
; %bb.178:
	v_cmp_lt_i64_e32 vcc, 16, v[0:1]
	s_and_saveexec_b64 s[18:19], vcc
	s_xor_b64 s[18:19], exec, s[18:19]
	s_cbranch_execz .LBB4738_180
; %bb.179:
	v_mov_b32_e32 v2, 0
	s_waitcnt lgkmcnt(0)
	global_store_short v2, v27, s[14:15]
                                        ; implicit-def: $vgpr24
.LBB4738_180:
	s_andn2_saveexec_b64 s[18:19], s[18:19]
	s_cbranch_execz .LBB4738_182
; %bb.181:
	v_mov_b32_e32 v2, 0
	s_waitcnt lgkmcnt(0)
	global_store_short v2, v24, s[14:15]
.LBB4738_182:
	s_or_b64 exec, exec, s[18:19]
                                        ; implicit-def: $vgpr10
.LBB4738_183:
	s_or_saveexec_b64 s[12:13], s[12:13]
	s_mov_b64 s[18:19], s[4:5]
	s_xor_b64 exec, exec, s[12:13]
; %bb.184:
	s_or_b64 s[18:19], s[4:5], exec
; %bb.185:
	s_or_b64 exec, exec, s[12:13]
	s_andn2_b64 s[12:13], s[4:5], exec
	s_and_b64 s[18:19], s[18:19], exec
	s_or_b64 s[12:13], s[12:13], s[18:19]
                                        ; implicit-def: $vgpr18
                                        ; implicit-def: $vgpr13
                                        ; implicit-def: $vgpr14
.LBB4738_186:
	s_or_saveexec_b64 s[16:17], s[16:17]
	s_mov_b64 s[18:19], s[6:7]
                                        ; implicit-def: $vgpr11
	s_xor_b64 exec, exec, s[16:17]
	s_cbranch_execz .LBB4738_196
; %bb.187:
	v_cmp_lt_i64_e32 vcc, 12, v[0:1]
	s_mov_b64 s[20:21], s[6:7]
	s_mov_b64 s[22:23], s[12:13]
                                        ; implicit-def: $vgpr10
                                        ; implicit-def: $vgpr11
	s_and_saveexec_b64 s[18:19], vcc
	s_xor_b64 s[18:19], exec, s[18:19]
	s_cbranch_execz .LBB4738_193
; %bb.188:
	v_cmp_lt_i64_e32 vcc, 13, v[0:1]
	s_mov_b64 s[20:21], s[12:13]
	s_and_saveexec_b64 s[22:23], vcc
	s_xor_b64 s[22:23], exec, s[22:23]
; %bb.189:
	s_or_b64 s[20:21], s[12:13], exec
                                        ; implicit-def: $vgpr13
; %bb.190:
	s_or_saveexec_b64 s[22:23], s[22:23]
	s_mov_b64 s[24:25], s[6:7]
	s_xor_b64 exec, exec, s[22:23]
; %bb.191:
	s_or_b64 s[24:25], s[6:7], exec
                                        ; implicit-def: $vgpr14
; %bb.192:
	s_or_b64 exec, exec, s[22:23]
	s_andn2_b64 s[22:23], s[12:13], exec
	s_and_b64 s[20:21], s[20:21], exec
	s_or_b64 s[22:23], s[22:23], s[20:21]
	s_andn2_b64 s[20:21], s[6:7], exec
	s_and_b64 s[24:25], s[24:25], exec
	s_or_b64 s[20:21], s[20:21], s[24:25]
	s_waitcnt lgkmcnt(0)
	v_mov_b32_e32 v10, v14
	v_mov_b32_e32 v11, v13
                                        ; implicit-def: $vgpr18
.LBB4738_193:
	s_andn2_saveexec_b64 s[18:19], s[18:19]
	s_cbranch_execz .LBB4738_195
; %bb.194:
	s_or_b64 s[20:21], s[20:21], exec
                                        ; implicit-def: $vgpr10
	s_waitcnt lgkmcnt(0)
	v_mov_b32_e32 v11, v18
.LBB4738_195:
	s_or_b64 exec, exec, s[18:19]
	s_andn2_b64 s[12:13], s[12:13], exec
	s_and_b64 s[18:19], s[22:23], exec
	s_or_b64 s[12:13], s[12:13], s[18:19]
	s_andn2_b64 s[18:19], s[6:7], exec
	s_and_b64 s[20:21], s[20:21], exec
	s_or_b64 s[18:19], s[18:19], s[20:21]
.LBB4738_196:
	s_or_b64 exec, exec, s[16:17]
	s_andn2_b64 s[4:5], s[4:5], exec
	s_and_b64 s[12:13], s[12:13], exec
	s_or_b64 s[4:5], s[4:5], s[12:13]
	s_andn2_b64 s[6:7], s[6:7], exec
	s_and_b64 s[12:13], s[18:19], exec
	s_or_b64 s[6:7], s[6:7], s[12:13]
                                        ; implicit-def: $vgpr12
.LBB4738_197:
	s_or_b64 exec, exec, s[10:11]
	s_and_b64 s[4:5], s[4:5], exec
	s_and_b64 s[6:7], s[6:7], exec
	;; [unrolled: 1-line block ×3, first 2 shown]
                                        ; implicit-def: $vgpr17
                                        ; implicit-def: $vgpr15
                                        ; implicit-def: $vgpr16
                                        ; implicit-def: $vgpr25
                                        ; implicit-def: $vgpr22
                                        ; implicit-def: $vgpr19
	s_andn2_saveexec_b64 s[2:3], s[2:3]
	s_cbranch_execz .LBB4738_148
.LBB4738_198:
	v_cmp_lt_i64_e32 vcc, 5, v[0:1]
	s_mov_b64 s[12:13], -1
	s_mov_b64 s[10:11], s[8:9]
	s_mov_b64 s[16:17], s[6:7]
	;; [unrolled: 1-line block ×3, first 2 shown]
                                        ; implicit-def: $vgpr10
                                        ; implicit-def: $vgpr11
                                        ; implicit-def: $vgpr12
	s_and_saveexec_b64 s[0:1], vcc
	s_cbranch_execz .LBB4738_214
; %bb.199:
	v_cmp_lt_i64_e32 vcc, 8, v[0:1]
	s_mov_b64 s[10:11], s[8:9]
                                        ; implicit-def: $vgpr12
	s_and_saveexec_b64 s[12:13], vcc
	s_xor_b64 s[12:13], exec, s[12:13]
	s_cbranch_execz .LBB4738_209
; %bb.200:
	v_cmp_lt_i64_e32 vcc, 9, v[0:1]
	s_and_saveexec_b64 s[10:11], vcc
	s_xor_b64 s[10:11], exec, s[10:11]
	s_cbranch_execz .LBB4738_206
; %bb.201:
	v_cmp_lt_i64_e32 vcc, 10, v[0:1]
	s_and_saveexec_b64 s[16:17], vcc
	s_xor_b64 s[16:17], exec, s[16:17]
; %bb.202:
                                        ; implicit-def: $vgpr22
; %bb.203:
	s_andn2_saveexec_b64 s[16:17], s[16:17]
	s_cbranch_execz .LBB4738_205
; %bb.204:
	s_waitcnt lgkmcnt(0)
	v_mov_b32_e32 v19, v22
.LBB4738_205:
	s_or_b64 exec, exec, s[16:17]
                                        ; implicit-def: $vgpr25
.LBB4738_206:
	s_andn2_saveexec_b64 s[10:11], s[10:11]
	s_cbranch_execz .LBB4738_208
; %bb.207:
	s_waitcnt lgkmcnt(0)
	v_mov_b32_e32 v19, v25
.LBB4738_208:
	s_or_b64 exec, exec, s[10:11]
	s_or_b64 s[10:11], s[8:9], exec
	s_waitcnt lgkmcnt(0)
	v_mov_b32_e32 v12, v19
                                        ; implicit-def: $vgpr17
                                        ; implicit-def: $vgpr15
                                        ; implicit-def: $vgpr16
.LBB4738_209:
	s_or_saveexec_b64 s[12:13], s[12:13]
	s_mov_b64 s[16:17], s[6:7]
	s_mov_b64 s[20:21], s[4:5]
                                        ; implicit-def: $vgpr10
                                        ; implicit-def: $vgpr11
	s_xor_b64 exec, exec, s[12:13]
	s_cbranch_execz .LBB4738_213
; %bb.210:
	v_cmp_lt_i64_e32 vcc, 6, v[0:1]
	s_mov_b64 s[20:21], -1
	s_mov_b64 s[18:19], s[10:11]
	s_mov_b64 s[16:17], s[6:7]
	s_and_saveexec_b64 s[22:23], vcc
; %bb.211:
	v_cmp_lt_i64_e32 vcc, 7, v[0:1]
	s_andn2_b64 s[18:19], s[10:11], exec
	s_and_b64 s[24:25], vcc, exec
	s_xor_b64 s[20:21], exec, -1
	s_or_b64 s[16:17], s[6:7], exec
	s_or_b64 s[18:19], s[18:19], s[24:25]
                                        ; implicit-def: $vgpr17
; %bb.212:
	s_or_b64 exec, exec, s[22:23]
	s_andn2_b64 s[22:23], s[4:5], exec
	s_and_b64 s[20:21], s[20:21], exec
	s_or_b64 s[20:21], s[22:23], s[20:21]
	s_andn2_b64 s[22:23], s[6:7], exec
	s_and_b64 s[16:17], s[16:17], exec
	s_andn2_b64 s[10:11], s[10:11], exec
	s_and_b64 s[18:19], s[18:19], exec
	s_or_b64 s[16:17], s[22:23], s[16:17]
	s_or_b64 s[10:11], s[10:11], s[18:19]
	s_waitcnt lgkmcnt(0)
	v_mov_b32_e32 v10, v17
	v_mov_b32_e32 v11, v15
	;; [unrolled: 1-line block ×3, first 2 shown]
.LBB4738_213:
	s_or_b64 exec, exec, s[12:13]
	s_andn2_b64 s[18:19], s[4:5], exec
	s_and_b64 s[20:21], s[20:21], exec
	s_or_b64 s[18:19], s[18:19], s[20:21]
	s_andn2_b64 s[20:21], s[6:7], exec
	s_and_b64 s[16:17], s[16:17], exec
	s_or_b64 s[16:17], s[20:21], s[16:17]
	s_andn2_b64 s[20:21], s[8:9], exec
	s_and_b64 s[10:11], s[10:11], exec
	s_xor_b64 s[12:13], exec, -1
	s_or_b64 s[10:11], s[20:21], s[10:11]
.LBB4738_214:
	s_or_b64 exec, exec, s[0:1]
	s_and_b64 s[0:1], s[12:13], exec
	s_andn2_b64 s[4:5], s[4:5], exec
	s_and_b64 s[12:13], s[18:19], exec
	s_or_b64 s[4:5], s[4:5], s[12:13]
	s_andn2_b64 s[6:7], s[6:7], exec
	s_and_b64 s[12:13], s[16:17], exec
	s_andn2_b64 s[8:9], s[8:9], exec
	s_and_b64 s[10:11], s[10:11], exec
	s_or_b64 s[6:7], s[6:7], s[12:13]
	s_or_b64 s[8:9], s[8:9], s[10:11]
	s_or_b64 exec, exec, s[2:3]
	s_and_saveexec_b64 s[2:3], s[8:9]
	s_cbranch_execz .LBB4738_149
.LBB4738_215:
	v_mov_b32_e32 v2, 0
	s_andn2_b64 s[6:7], s[6:7], exec
	s_waitcnt lgkmcnt(0)
	global_store_short v2, v12, s[14:15]
                                        ; implicit-def: $vgpr10
                                        ; implicit-def: $vgpr11
	s_or_b64 exec, exec, s[2:3]
	s_and_saveexec_b64 s[2:3], s[6:7]
	s_cbranch_execz .LBB4738_150
.LBB4738_216:
	v_mov_b32_e32 v2, 0
	s_waitcnt lgkmcnt(0)
	global_store_short v2, v11, s[14:15]
                                        ; implicit-def: $vgpr10
	s_or_b64 exec, exec, s[2:3]
	s_and_saveexec_b64 s[2:3], s[4:5]
	s_xor_b64 s[2:3], exec, s[2:3]
	s_cbranch_execz .LBB4738_151
.LBB4738_217:
	v_mov_b32_e32 v2, 0
	s_waitcnt lgkmcnt(0)
	global_store_short v2, v10, s[14:15]
	s_or_b64 exec, exec, s[2:3]
	s_and_b64 exec, exec, s[0:1]
	s_cbranch_execz .LBB4738_152
.LBB4738_218:
	v_cmp_lt_i64_e32 vcc, 2, v[0:1]
	s_and_saveexec_b64 s[0:1], vcc
	s_xor_b64 s[0:1], exec, s[0:1]
	s_cbranch_execz .LBB4738_228
; %bb.219:
	v_cmp_lt_i64_e32 vcc, 3, v[0:1]
	s_and_saveexec_b64 s[2:3], vcc
	s_xor_b64 s[2:3], exec, s[2:3]
	s_cbranch_execz .LBB4738_225
; %bb.220:
	;; [unrolled: 5-line block ×3, first 2 shown]
	v_mov_b32_e32 v0, 0
	s_waitcnt lgkmcnt(0)
	global_store_short v0, v9, s[14:15]
                                        ; implicit-def: $vgpr6
.LBB4738_222:
	s_andn2_saveexec_b64 s[4:5], s[4:5]
	s_cbranch_execz .LBB4738_224
; %bb.223:
	v_mov_b32_e32 v0, 0
	s_waitcnt lgkmcnt(0)
	global_store_short v0, v6, s[14:15]
.LBB4738_224:
	s_or_b64 exec, exec, s[4:5]
                                        ; implicit-def: $vgpr8
.LBB4738_225:
	s_andn2_saveexec_b64 s[2:3], s[2:3]
	s_cbranch_execz .LBB4738_227
; %bb.226:
	v_mov_b32_e32 v0, 0
	s_waitcnt lgkmcnt(0)
	global_store_short v0, v8, s[14:15]
.LBB4738_227:
	s_or_b64 exec, exec, s[2:3]
                                        ; implicit-def: $vgpr0_vgpr1
                                        ; implicit-def: $vgpr7
                                        ; implicit-def: $vgpr4
                                        ; implicit-def: $vgpr5
.LBB4738_228:
	s_andn2_saveexec_b64 s[0:1], s[0:1]
	s_cbranch_execz .LBB4738_152
; %bb.229:
	v_cmp_lt_i64_e32 vcc, 1, v[0:1]
	s_and_saveexec_b64 s[0:1], vcc
	s_xor_b64 s[0:1], exec, s[0:1]
	s_cbranch_execz .LBB4738_231
; %bb.230:
	v_mov_b32_e32 v0, 0
	s_waitcnt lgkmcnt(0)
	global_store_short v0, v7, s[14:15]
                                        ; implicit-def: $vgpr4
                                        ; implicit-def: $vgpr0_vgpr1
                                        ; implicit-def: $vgpr5
.LBB4738_231:
	s_andn2_saveexec_b64 s[0:1], s[0:1]
	s_cbranch_execz .LBB4738_152
; %bb.232:
	v_cmp_ne_u64_e32 vcc, 1, v[0:1]
	s_and_saveexec_b64 s[0:1], vcc
	s_xor_b64 s[0:1], exec, s[0:1]
	s_cbranch_execz .LBB4738_234
; %bb.233:
	v_mov_b32_e32 v0, 0
	s_waitcnt lgkmcnt(0)
	global_store_short v0, v5, s[14:15]
                                        ; implicit-def: $vgpr4
.LBB4738_234:
	s_andn2_saveexec_b64 s[0:1], s[0:1]
	s_cbranch_execz .LBB4738_152
; %bb.235:
	v_mov_b32_e32 v0, 0
	s_waitcnt lgkmcnt(0)
	global_store_short v0, v4, s[14:15]
	s_endpgm
	.section	.rodata,"a",@progbits
	.p2align	6, 0x0
	.amdhsa_kernel _ZN7rocprim17ROCPRIM_400000_NS6detail17trampoline_kernelINS0_14default_configENS1_20scan_config_selectorItEEZZNS1_9scan_implILNS1_25lookback_scan_determinismE0ELb0ELb0ES3_N6thrust23THRUST_200600_302600_NS6detail15normal_iteratorINS9_10device_ptrItEEEESE_tNS9_4plusIvEEtEEDaPvRmT3_T4_T5_mT6_P12ihipStream_tbENKUlT_T0_E_clISt17integral_constantIbLb1EESU_EEDaSP_SQ_EUlSP_E_NS1_11comp_targetILNS1_3genE4ELNS1_11target_archE910ELNS1_3gpuE8ELNS1_3repE0EEENS1_30default_config_static_selectorELNS0_4arch9wavefront6targetE1EEEvT1_
		.amdhsa_group_segment_fixed_size 3072
		.amdhsa_private_segment_fixed_size 0
		.amdhsa_kernarg_size 96
		.amdhsa_user_sgpr_count 6
		.amdhsa_user_sgpr_private_segment_buffer 1
		.amdhsa_user_sgpr_dispatch_ptr 0
		.amdhsa_user_sgpr_queue_ptr 0
		.amdhsa_user_sgpr_kernarg_segment_ptr 1
		.amdhsa_user_sgpr_dispatch_id 0
		.amdhsa_user_sgpr_flat_scratch_init 0
		.amdhsa_user_sgpr_kernarg_preload_length 0
		.amdhsa_user_sgpr_kernarg_preload_offset 0
		.amdhsa_user_sgpr_private_segment_size 0
		.amdhsa_uses_dynamic_stack 0
		.amdhsa_system_sgpr_private_segment_wavefront_offset 0
		.amdhsa_system_sgpr_workgroup_id_x 1
		.amdhsa_system_sgpr_workgroup_id_y 0
		.amdhsa_system_sgpr_workgroup_id_z 0
		.amdhsa_system_sgpr_workgroup_info 0
		.amdhsa_system_vgpr_workitem_id 0
		.amdhsa_next_free_vgpr 54
		.amdhsa_next_free_sgpr 38
		.amdhsa_accum_offset 56
		.amdhsa_reserve_vcc 1
		.amdhsa_reserve_flat_scratch 0
		.amdhsa_float_round_mode_32 0
		.amdhsa_float_round_mode_16_64 0
		.amdhsa_float_denorm_mode_32 3
		.amdhsa_float_denorm_mode_16_64 3
		.amdhsa_dx10_clamp 1
		.amdhsa_ieee_mode 1
		.amdhsa_fp16_overflow 0
		.amdhsa_tg_split 0
		.amdhsa_exception_fp_ieee_invalid_op 0
		.amdhsa_exception_fp_denorm_src 0
		.amdhsa_exception_fp_ieee_div_zero 0
		.amdhsa_exception_fp_ieee_overflow 0
		.amdhsa_exception_fp_ieee_underflow 0
		.amdhsa_exception_fp_ieee_inexact 0
		.amdhsa_exception_int_div_zero 0
	.end_amdhsa_kernel
	.section	.text._ZN7rocprim17ROCPRIM_400000_NS6detail17trampoline_kernelINS0_14default_configENS1_20scan_config_selectorItEEZZNS1_9scan_implILNS1_25lookback_scan_determinismE0ELb0ELb0ES3_N6thrust23THRUST_200600_302600_NS6detail15normal_iteratorINS9_10device_ptrItEEEESE_tNS9_4plusIvEEtEEDaPvRmT3_T4_T5_mT6_P12ihipStream_tbENKUlT_T0_E_clISt17integral_constantIbLb1EESU_EEDaSP_SQ_EUlSP_E_NS1_11comp_targetILNS1_3genE4ELNS1_11target_archE910ELNS1_3gpuE8ELNS1_3repE0EEENS1_30default_config_static_selectorELNS0_4arch9wavefront6targetE1EEEvT1_,"axG",@progbits,_ZN7rocprim17ROCPRIM_400000_NS6detail17trampoline_kernelINS0_14default_configENS1_20scan_config_selectorItEEZZNS1_9scan_implILNS1_25lookback_scan_determinismE0ELb0ELb0ES3_N6thrust23THRUST_200600_302600_NS6detail15normal_iteratorINS9_10device_ptrItEEEESE_tNS9_4plusIvEEtEEDaPvRmT3_T4_T5_mT6_P12ihipStream_tbENKUlT_T0_E_clISt17integral_constantIbLb1EESU_EEDaSP_SQ_EUlSP_E_NS1_11comp_targetILNS1_3genE4ELNS1_11target_archE910ELNS1_3gpuE8ELNS1_3repE0EEENS1_30default_config_static_selectorELNS0_4arch9wavefront6targetE1EEEvT1_,comdat
.Lfunc_end4738:
	.size	_ZN7rocprim17ROCPRIM_400000_NS6detail17trampoline_kernelINS0_14default_configENS1_20scan_config_selectorItEEZZNS1_9scan_implILNS1_25lookback_scan_determinismE0ELb0ELb0ES3_N6thrust23THRUST_200600_302600_NS6detail15normal_iteratorINS9_10device_ptrItEEEESE_tNS9_4plusIvEEtEEDaPvRmT3_T4_T5_mT6_P12ihipStream_tbENKUlT_T0_E_clISt17integral_constantIbLb1EESU_EEDaSP_SQ_EUlSP_E_NS1_11comp_targetILNS1_3genE4ELNS1_11target_archE910ELNS1_3gpuE8ELNS1_3repE0EEENS1_30default_config_static_selectorELNS0_4arch9wavefront6targetE1EEEvT1_, .Lfunc_end4738-_ZN7rocprim17ROCPRIM_400000_NS6detail17trampoline_kernelINS0_14default_configENS1_20scan_config_selectorItEEZZNS1_9scan_implILNS1_25lookback_scan_determinismE0ELb0ELb0ES3_N6thrust23THRUST_200600_302600_NS6detail15normal_iteratorINS9_10device_ptrItEEEESE_tNS9_4plusIvEEtEEDaPvRmT3_T4_T5_mT6_P12ihipStream_tbENKUlT_T0_E_clISt17integral_constantIbLb1EESU_EEDaSP_SQ_EUlSP_E_NS1_11comp_targetILNS1_3genE4ELNS1_11target_archE910ELNS1_3gpuE8ELNS1_3repE0EEENS1_30default_config_static_selectorELNS0_4arch9wavefront6targetE1EEEvT1_
                                        ; -- End function
	.section	.AMDGPU.csdata,"",@progbits
; Kernel info:
; codeLenInByte = 8064
; NumSgprs: 42
; NumVgprs: 54
; NumAgprs: 0
; TotalNumVgprs: 54
; ScratchSize: 0
; MemoryBound: 0
; FloatMode: 240
; IeeeMode: 1
; LDSByteSize: 3072 bytes/workgroup (compile time only)
; SGPRBlocks: 5
; VGPRBlocks: 6
; NumSGPRsForWavesPerEU: 42
; NumVGPRsForWavesPerEU: 54
; AccumOffset: 56
; Occupancy: 6
; WaveLimiterHint : 1
; COMPUTE_PGM_RSRC2:SCRATCH_EN: 0
; COMPUTE_PGM_RSRC2:USER_SGPR: 6
; COMPUTE_PGM_RSRC2:TRAP_HANDLER: 0
; COMPUTE_PGM_RSRC2:TGID_X_EN: 1
; COMPUTE_PGM_RSRC2:TGID_Y_EN: 0
; COMPUTE_PGM_RSRC2:TGID_Z_EN: 0
; COMPUTE_PGM_RSRC2:TIDIG_COMP_CNT: 0
; COMPUTE_PGM_RSRC3_GFX90A:ACCUM_OFFSET: 13
; COMPUTE_PGM_RSRC3_GFX90A:TG_SPLIT: 0
	.section	.text._ZN7rocprim17ROCPRIM_400000_NS6detail17trampoline_kernelINS0_14default_configENS1_20scan_config_selectorItEEZZNS1_9scan_implILNS1_25lookback_scan_determinismE0ELb0ELb0ES3_N6thrust23THRUST_200600_302600_NS6detail15normal_iteratorINS9_10device_ptrItEEEESE_tNS9_4plusIvEEtEEDaPvRmT3_T4_T5_mT6_P12ihipStream_tbENKUlT_T0_E_clISt17integral_constantIbLb1EESU_EEDaSP_SQ_EUlSP_E_NS1_11comp_targetILNS1_3genE3ELNS1_11target_archE908ELNS1_3gpuE7ELNS1_3repE0EEENS1_30default_config_static_selectorELNS0_4arch9wavefront6targetE1EEEvT1_,"axG",@progbits,_ZN7rocprim17ROCPRIM_400000_NS6detail17trampoline_kernelINS0_14default_configENS1_20scan_config_selectorItEEZZNS1_9scan_implILNS1_25lookback_scan_determinismE0ELb0ELb0ES3_N6thrust23THRUST_200600_302600_NS6detail15normal_iteratorINS9_10device_ptrItEEEESE_tNS9_4plusIvEEtEEDaPvRmT3_T4_T5_mT6_P12ihipStream_tbENKUlT_T0_E_clISt17integral_constantIbLb1EESU_EEDaSP_SQ_EUlSP_E_NS1_11comp_targetILNS1_3genE3ELNS1_11target_archE908ELNS1_3gpuE7ELNS1_3repE0EEENS1_30default_config_static_selectorELNS0_4arch9wavefront6targetE1EEEvT1_,comdat
	.protected	_ZN7rocprim17ROCPRIM_400000_NS6detail17trampoline_kernelINS0_14default_configENS1_20scan_config_selectorItEEZZNS1_9scan_implILNS1_25lookback_scan_determinismE0ELb0ELb0ES3_N6thrust23THRUST_200600_302600_NS6detail15normal_iteratorINS9_10device_ptrItEEEESE_tNS9_4plusIvEEtEEDaPvRmT3_T4_T5_mT6_P12ihipStream_tbENKUlT_T0_E_clISt17integral_constantIbLb1EESU_EEDaSP_SQ_EUlSP_E_NS1_11comp_targetILNS1_3genE3ELNS1_11target_archE908ELNS1_3gpuE7ELNS1_3repE0EEENS1_30default_config_static_selectorELNS0_4arch9wavefront6targetE1EEEvT1_ ; -- Begin function _ZN7rocprim17ROCPRIM_400000_NS6detail17trampoline_kernelINS0_14default_configENS1_20scan_config_selectorItEEZZNS1_9scan_implILNS1_25lookback_scan_determinismE0ELb0ELb0ES3_N6thrust23THRUST_200600_302600_NS6detail15normal_iteratorINS9_10device_ptrItEEEESE_tNS9_4plusIvEEtEEDaPvRmT3_T4_T5_mT6_P12ihipStream_tbENKUlT_T0_E_clISt17integral_constantIbLb1EESU_EEDaSP_SQ_EUlSP_E_NS1_11comp_targetILNS1_3genE3ELNS1_11target_archE908ELNS1_3gpuE7ELNS1_3repE0EEENS1_30default_config_static_selectorELNS0_4arch9wavefront6targetE1EEEvT1_
	.globl	_ZN7rocprim17ROCPRIM_400000_NS6detail17trampoline_kernelINS0_14default_configENS1_20scan_config_selectorItEEZZNS1_9scan_implILNS1_25lookback_scan_determinismE0ELb0ELb0ES3_N6thrust23THRUST_200600_302600_NS6detail15normal_iteratorINS9_10device_ptrItEEEESE_tNS9_4plusIvEEtEEDaPvRmT3_T4_T5_mT6_P12ihipStream_tbENKUlT_T0_E_clISt17integral_constantIbLb1EESU_EEDaSP_SQ_EUlSP_E_NS1_11comp_targetILNS1_3genE3ELNS1_11target_archE908ELNS1_3gpuE7ELNS1_3repE0EEENS1_30default_config_static_selectorELNS0_4arch9wavefront6targetE1EEEvT1_
	.p2align	8
	.type	_ZN7rocprim17ROCPRIM_400000_NS6detail17trampoline_kernelINS0_14default_configENS1_20scan_config_selectorItEEZZNS1_9scan_implILNS1_25lookback_scan_determinismE0ELb0ELb0ES3_N6thrust23THRUST_200600_302600_NS6detail15normal_iteratorINS9_10device_ptrItEEEESE_tNS9_4plusIvEEtEEDaPvRmT3_T4_T5_mT6_P12ihipStream_tbENKUlT_T0_E_clISt17integral_constantIbLb1EESU_EEDaSP_SQ_EUlSP_E_NS1_11comp_targetILNS1_3genE3ELNS1_11target_archE908ELNS1_3gpuE7ELNS1_3repE0EEENS1_30default_config_static_selectorELNS0_4arch9wavefront6targetE1EEEvT1_,@function
_ZN7rocprim17ROCPRIM_400000_NS6detail17trampoline_kernelINS0_14default_configENS1_20scan_config_selectorItEEZZNS1_9scan_implILNS1_25lookback_scan_determinismE0ELb0ELb0ES3_N6thrust23THRUST_200600_302600_NS6detail15normal_iteratorINS9_10device_ptrItEEEESE_tNS9_4plusIvEEtEEDaPvRmT3_T4_T5_mT6_P12ihipStream_tbENKUlT_T0_E_clISt17integral_constantIbLb1EESU_EEDaSP_SQ_EUlSP_E_NS1_11comp_targetILNS1_3genE3ELNS1_11target_archE908ELNS1_3gpuE7ELNS1_3repE0EEENS1_30default_config_static_selectorELNS0_4arch9wavefront6targetE1EEEvT1_: ; @_ZN7rocprim17ROCPRIM_400000_NS6detail17trampoline_kernelINS0_14default_configENS1_20scan_config_selectorItEEZZNS1_9scan_implILNS1_25lookback_scan_determinismE0ELb0ELb0ES3_N6thrust23THRUST_200600_302600_NS6detail15normal_iteratorINS9_10device_ptrItEEEESE_tNS9_4plusIvEEtEEDaPvRmT3_T4_T5_mT6_P12ihipStream_tbENKUlT_T0_E_clISt17integral_constantIbLb1EESU_EEDaSP_SQ_EUlSP_E_NS1_11comp_targetILNS1_3genE3ELNS1_11target_archE908ELNS1_3gpuE7ELNS1_3repE0EEENS1_30default_config_static_selectorELNS0_4arch9wavefront6targetE1EEEvT1_
; %bb.0:
	.section	.rodata,"a",@progbits
	.p2align	6, 0x0
	.amdhsa_kernel _ZN7rocprim17ROCPRIM_400000_NS6detail17trampoline_kernelINS0_14default_configENS1_20scan_config_selectorItEEZZNS1_9scan_implILNS1_25lookback_scan_determinismE0ELb0ELb0ES3_N6thrust23THRUST_200600_302600_NS6detail15normal_iteratorINS9_10device_ptrItEEEESE_tNS9_4plusIvEEtEEDaPvRmT3_T4_T5_mT6_P12ihipStream_tbENKUlT_T0_E_clISt17integral_constantIbLb1EESU_EEDaSP_SQ_EUlSP_E_NS1_11comp_targetILNS1_3genE3ELNS1_11target_archE908ELNS1_3gpuE7ELNS1_3repE0EEENS1_30default_config_static_selectorELNS0_4arch9wavefront6targetE1EEEvT1_
		.amdhsa_group_segment_fixed_size 0
		.amdhsa_private_segment_fixed_size 0
		.amdhsa_kernarg_size 96
		.amdhsa_user_sgpr_count 6
		.amdhsa_user_sgpr_private_segment_buffer 1
		.amdhsa_user_sgpr_dispatch_ptr 0
		.amdhsa_user_sgpr_queue_ptr 0
		.amdhsa_user_sgpr_kernarg_segment_ptr 1
		.amdhsa_user_sgpr_dispatch_id 0
		.amdhsa_user_sgpr_flat_scratch_init 0
		.amdhsa_user_sgpr_kernarg_preload_length 0
		.amdhsa_user_sgpr_kernarg_preload_offset 0
		.amdhsa_user_sgpr_private_segment_size 0
		.amdhsa_uses_dynamic_stack 0
		.amdhsa_system_sgpr_private_segment_wavefront_offset 0
		.amdhsa_system_sgpr_workgroup_id_x 1
		.amdhsa_system_sgpr_workgroup_id_y 0
		.amdhsa_system_sgpr_workgroup_id_z 0
		.amdhsa_system_sgpr_workgroup_info 0
		.amdhsa_system_vgpr_workitem_id 0
		.amdhsa_next_free_vgpr 1
		.amdhsa_next_free_sgpr 0
		.amdhsa_accum_offset 4
		.amdhsa_reserve_vcc 0
		.amdhsa_reserve_flat_scratch 0
		.amdhsa_float_round_mode_32 0
		.amdhsa_float_round_mode_16_64 0
		.amdhsa_float_denorm_mode_32 3
		.amdhsa_float_denorm_mode_16_64 3
		.amdhsa_dx10_clamp 1
		.amdhsa_ieee_mode 1
		.amdhsa_fp16_overflow 0
		.amdhsa_tg_split 0
		.amdhsa_exception_fp_ieee_invalid_op 0
		.amdhsa_exception_fp_denorm_src 0
		.amdhsa_exception_fp_ieee_div_zero 0
		.amdhsa_exception_fp_ieee_overflow 0
		.amdhsa_exception_fp_ieee_underflow 0
		.amdhsa_exception_fp_ieee_inexact 0
		.amdhsa_exception_int_div_zero 0
	.end_amdhsa_kernel
	.section	.text._ZN7rocprim17ROCPRIM_400000_NS6detail17trampoline_kernelINS0_14default_configENS1_20scan_config_selectorItEEZZNS1_9scan_implILNS1_25lookback_scan_determinismE0ELb0ELb0ES3_N6thrust23THRUST_200600_302600_NS6detail15normal_iteratorINS9_10device_ptrItEEEESE_tNS9_4plusIvEEtEEDaPvRmT3_T4_T5_mT6_P12ihipStream_tbENKUlT_T0_E_clISt17integral_constantIbLb1EESU_EEDaSP_SQ_EUlSP_E_NS1_11comp_targetILNS1_3genE3ELNS1_11target_archE908ELNS1_3gpuE7ELNS1_3repE0EEENS1_30default_config_static_selectorELNS0_4arch9wavefront6targetE1EEEvT1_,"axG",@progbits,_ZN7rocprim17ROCPRIM_400000_NS6detail17trampoline_kernelINS0_14default_configENS1_20scan_config_selectorItEEZZNS1_9scan_implILNS1_25lookback_scan_determinismE0ELb0ELb0ES3_N6thrust23THRUST_200600_302600_NS6detail15normal_iteratorINS9_10device_ptrItEEEESE_tNS9_4plusIvEEtEEDaPvRmT3_T4_T5_mT6_P12ihipStream_tbENKUlT_T0_E_clISt17integral_constantIbLb1EESU_EEDaSP_SQ_EUlSP_E_NS1_11comp_targetILNS1_3genE3ELNS1_11target_archE908ELNS1_3gpuE7ELNS1_3repE0EEENS1_30default_config_static_selectorELNS0_4arch9wavefront6targetE1EEEvT1_,comdat
.Lfunc_end4739:
	.size	_ZN7rocprim17ROCPRIM_400000_NS6detail17trampoline_kernelINS0_14default_configENS1_20scan_config_selectorItEEZZNS1_9scan_implILNS1_25lookback_scan_determinismE0ELb0ELb0ES3_N6thrust23THRUST_200600_302600_NS6detail15normal_iteratorINS9_10device_ptrItEEEESE_tNS9_4plusIvEEtEEDaPvRmT3_T4_T5_mT6_P12ihipStream_tbENKUlT_T0_E_clISt17integral_constantIbLb1EESU_EEDaSP_SQ_EUlSP_E_NS1_11comp_targetILNS1_3genE3ELNS1_11target_archE908ELNS1_3gpuE7ELNS1_3repE0EEENS1_30default_config_static_selectorELNS0_4arch9wavefront6targetE1EEEvT1_, .Lfunc_end4739-_ZN7rocprim17ROCPRIM_400000_NS6detail17trampoline_kernelINS0_14default_configENS1_20scan_config_selectorItEEZZNS1_9scan_implILNS1_25lookback_scan_determinismE0ELb0ELb0ES3_N6thrust23THRUST_200600_302600_NS6detail15normal_iteratorINS9_10device_ptrItEEEESE_tNS9_4plusIvEEtEEDaPvRmT3_T4_T5_mT6_P12ihipStream_tbENKUlT_T0_E_clISt17integral_constantIbLb1EESU_EEDaSP_SQ_EUlSP_E_NS1_11comp_targetILNS1_3genE3ELNS1_11target_archE908ELNS1_3gpuE7ELNS1_3repE0EEENS1_30default_config_static_selectorELNS0_4arch9wavefront6targetE1EEEvT1_
                                        ; -- End function
	.section	.AMDGPU.csdata,"",@progbits
; Kernel info:
; codeLenInByte = 0
; NumSgprs: 4
; NumVgprs: 0
; NumAgprs: 0
; TotalNumVgprs: 0
; ScratchSize: 0
; MemoryBound: 0
; FloatMode: 240
; IeeeMode: 1
; LDSByteSize: 0 bytes/workgroup (compile time only)
; SGPRBlocks: 0
; VGPRBlocks: 0
; NumSGPRsForWavesPerEU: 4
; NumVGPRsForWavesPerEU: 1
; AccumOffset: 4
; Occupancy: 8
; WaveLimiterHint : 0
; COMPUTE_PGM_RSRC2:SCRATCH_EN: 0
; COMPUTE_PGM_RSRC2:USER_SGPR: 6
; COMPUTE_PGM_RSRC2:TRAP_HANDLER: 0
; COMPUTE_PGM_RSRC2:TGID_X_EN: 1
; COMPUTE_PGM_RSRC2:TGID_Y_EN: 0
; COMPUTE_PGM_RSRC2:TGID_Z_EN: 0
; COMPUTE_PGM_RSRC2:TIDIG_COMP_CNT: 0
; COMPUTE_PGM_RSRC3_GFX90A:ACCUM_OFFSET: 0
; COMPUTE_PGM_RSRC3_GFX90A:TG_SPLIT: 0
	.section	.text._ZN7rocprim17ROCPRIM_400000_NS6detail17trampoline_kernelINS0_14default_configENS1_20scan_config_selectorItEEZZNS1_9scan_implILNS1_25lookback_scan_determinismE0ELb0ELb0ES3_N6thrust23THRUST_200600_302600_NS6detail15normal_iteratorINS9_10device_ptrItEEEESE_tNS9_4plusIvEEtEEDaPvRmT3_T4_T5_mT6_P12ihipStream_tbENKUlT_T0_E_clISt17integral_constantIbLb1EESU_EEDaSP_SQ_EUlSP_E_NS1_11comp_targetILNS1_3genE2ELNS1_11target_archE906ELNS1_3gpuE6ELNS1_3repE0EEENS1_30default_config_static_selectorELNS0_4arch9wavefront6targetE1EEEvT1_,"axG",@progbits,_ZN7rocprim17ROCPRIM_400000_NS6detail17trampoline_kernelINS0_14default_configENS1_20scan_config_selectorItEEZZNS1_9scan_implILNS1_25lookback_scan_determinismE0ELb0ELb0ES3_N6thrust23THRUST_200600_302600_NS6detail15normal_iteratorINS9_10device_ptrItEEEESE_tNS9_4plusIvEEtEEDaPvRmT3_T4_T5_mT6_P12ihipStream_tbENKUlT_T0_E_clISt17integral_constantIbLb1EESU_EEDaSP_SQ_EUlSP_E_NS1_11comp_targetILNS1_3genE2ELNS1_11target_archE906ELNS1_3gpuE6ELNS1_3repE0EEENS1_30default_config_static_selectorELNS0_4arch9wavefront6targetE1EEEvT1_,comdat
	.protected	_ZN7rocprim17ROCPRIM_400000_NS6detail17trampoline_kernelINS0_14default_configENS1_20scan_config_selectorItEEZZNS1_9scan_implILNS1_25lookback_scan_determinismE0ELb0ELb0ES3_N6thrust23THRUST_200600_302600_NS6detail15normal_iteratorINS9_10device_ptrItEEEESE_tNS9_4plusIvEEtEEDaPvRmT3_T4_T5_mT6_P12ihipStream_tbENKUlT_T0_E_clISt17integral_constantIbLb1EESU_EEDaSP_SQ_EUlSP_E_NS1_11comp_targetILNS1_3genE2ELNS1_11target_archE906ELNS1_3gpuE6ELNS1_3repE0EEENS1_30default_config_static_selectorELNS0_4arch9wavefront6targetE1EEEvT1_ ; -- Begin function _ZN7rocprim17ROCPRIM_400000_NS6detail17trampoline_kernelINS0_14default_configENS1_20scan_config_selectorItEEZZNS1_9scan_implILNS1_25lookback_scan_determinismE0ELb0ELb0ES3_N6thrust23THRUST_200600_302600_NS6detail15normal_iteratorINS9_10device_ptrItEEEESE_tNS9_4plusIvEEtEEDaPvRmT3_T4_T5_mT6_P12ihipStream_tbENKUlT_T0_E_clISt17integral_constantIbLb1EESU_EEDaSP_SQ_EUlSP_E_NS1_11comp_targetILNS1_3genE2ELNS1_11target_archE906ELNS1_3gpuE6ELNS1_3repE0EEENS1_30default_config_static_selectorELNS0_4arch9wavefront6targetE1EEEvT1_
	.globl	_ZN7rocprim17ROCPRIM_400000_NS6detail17trampoline_kernelINS0_14default_configENS1_20scan_config_selectorItEEZZNS1_9scan_implILNS1_25lookback_scan_determinismE0ELb0ELb0ES3_N6thrust23THRUST_200600_302600_NS6detail15normal_iteratorINS9_10device_ptrItEEEESE_tNS9_4plusIvEEtEEDaPvRmT3_T4_T5_mT6_P12ihipStream_tbENKUlT_T0_E_clISt17integral_constantIbLb1EESU_EEDaSP_SQ_EUlSP_E_NS1_11comp_targetILNS1_3genE2ELNS1_11target_archE906ELNS1_3gpuE6ELNS1_3repE0EEENS1_30default_config_static_selectorELNS0_4arch9wavefront6targetE1EEEvT1_
	.p2align	8
	.type	_ZN7rocprim17ROCPRIM_400000_NS6detail17trampoline_kernelINS0_14default_configENS1_20scan_config_selectorItEEZZNS1_9scan_implILNS1_25lookback_scan_determinismE0ELb0ELb0ES3_N6thrust23THRUST_200600_302600_NS6detail15normal_iteratorINS9_10device_ptrItEEEESE_tNS9_4plusIvEEtEEDaPvRmT3_T4_T5_mT6_P12ihipStream_tbENKUlT_T0_E_clISt17integral_constantIbLb1EESU_EEDaSP_SQ_EUlSP_E_NS1_11comp_targetILNS1_3genE2ELNS1_11target_archE906ELNS1_3gpuE6ELNS1_3repE0EEENS1_30default_config_static_selectorELNS0_4arch9wavefront6targetE1EEEvT1_,@function
_ZN7rocprim17ROCPRIM_400000_NS6detail17trampoline_kernelINS0_14default_configENS1_20scan_config_selectorItEEZZNS1_9scan_implILNS1_25lookback_scan_determinismE0ELb0ELb0ES3_N6thrust23THRUST_200600_302600_NS6detail15normal_iteratorINS9_10device_ptrItEEEESE_tNS9_4plusIvEEtEEDaPvRmT3_T4_T5_mT6_P12ihipStream_tbENKUlT_T0_E_clISt17integral_constantIbLb1EESU_EEDaSP_SQ_EUlSP_E_NS1_11comp_targetILNS1_3genE2ELNS1_11target_archE906ELNS1_3gpuE6ELNS1_3repE0EEENS1_30default_config_static_selectorELNS0_4arch9wavefront6targetE1EEEvT1_: ; @_ZN7rocprim17ROCPRIM_400000_NS6detail17trampoline_kernelINS0_14default_configENS1_20scan_config_selectorItEEZZNS1_9scan_implILNS1_25lookback_scan_determinismE0ELb0ELb0ES3_N6thrust23THRUST_200600_302600_NS6detail15normal_iteratorINS9_10device_ptrItEEEESE_tNS9_4plusIvEEtEEDaPvRmT3_T4_T5_mT6_P12ihipStream_tbENKUlT_T0_E_clISt17integral_constantIbLb1EESU_EEDaSP_SQ_EUlSP_E_NS1_11comp_targetILNS1_3genE2ELNS1_11target_archE906ELNS1_3gpuE6ELNS1_3repE0EEENS1_30default_config_static_selectorELNS0_4arch9wavefront6targetE1EEEvT1_
; %bb.0:
	.section	.rodata,"a",@progbits
	.p2align	6, 0x0
	.amdhsa_kernel _ZN7rocprim17ROCPRIM_400000_NS6detail17trampoline_kernelINS0_14default_configENS1_20scan_config_selectorItEEZZNS1_9scan_implILNS1_25lookback_scan_determinismE0ELb0ELb0ES3_N6thrust23THRUST_200600_302600_NS6detail15normal_iteratorINS9_10device_ptrItEEEESE_tNS9_4plusIvEEtEEDaPvRmT3_T4_T5_mT6_P12ihipStream_tbENKUlT_T0_E_clISt17integral_constantIbLb1EESU_EEDaSP_SQ_EUlSP_E_NS1_11comp_targetILNS1_3genE2ELNS1_11target_archE906ELNS1_3gpuE6ELNS1_3repE0EEENS1_30default_config_static_selectorELNS0_4arch9wavefront6targetE1EEEvT1_
		.amdhsa_group_segment_fixed_size 0
		.amdhsa_private_segment_fixed_size 0
		.amdhsa_kernarg_size 96
		.amdhsa_user_sgpr_count 6
		.amdhsa_user_sgpr_private_segment_buffer 1
		.amdhsa_user_sgpr_dispatch_ptr 0
		.amdhsa_user_sgpr_queue_ptr 0
		.amdhsa_user_sgpr_kernarg_segment_ptr 1
		.amdhsa_user_sgpr_dispatch_id 0
		.amdhsa_user_sgpr_flat_scratch_init 0
		.amdhsa_user_sgpr_kernarg_preload_length 0
		.amdhsa_user_sgpr_kernarg_preload_offset 0
		.amdhsa_user_sgpr_private_segment_size 0
		.amdhsa_uses_dynamic_stack 0
		.amdhsa_system_sgpr_private_segment_wavefront_offset 0
		.amdhsa_system_sgpr_workgroup_id_x 1
		.amdhsa_system_sgpr_workgroup_id_y 0
		.amdhsa_system_sgpr_workgroup_id_z 0
		.amdhsa_system_sgpr_workgroup_info 0
		.amdhsa_system_vgpr_workitem_id 0
		.amdhsa_next_free_vgpr 1
		.amdhsa_next_free_sgpr 0
		.amdhsa_accum_offset 4
		.amdhsa_reserve_vcc 0
		.amdhsa_reserve_flat_scratch 0
		.amdhsa_float_round_mode_32 0
		.amdhsa_float_round_mode_16_64 0
		.amdhsa_float_denorm_mode_32 3
		.amdhsa_float_denorm_mode_16_64 3
		.amdhsa_dx10_clamp 1
		.amdhsa_ieee_mode 1
		.amdhsa_fp16_overflow 0
		.amdhsa_tg_split 0
		.amdhsa_exception_fp_ieee_invalid_op 0
		.amdhsa_exception_fp_denorm_src 0
		.amdhsa_exception_fp_ieee_div_zero 0
		.amdhsa_exception_fp_ieee_overflow 0
		.amdhsa_exception_fp_ieee_underflow 0
		.amdhsa_exception_fp_ieee_inexact 0
		.amdhsa_exception_int_div_zero 0
	.end_amdhsa_kernel
	.section	.text._ZN7rocprim17ROCPRIM_400000_NS6detail17trampoline_kernelINS0_14default_configENS1_20scan_config_selectorItEEZZNS1_9scan_implILNS1_25lookback_scan_determinismE0ELb0ELb0ES3_N6thrust23THRUST_200600_302600_NS6detail15normal_iteratorINS9_10device_ptrItEEEESE_tNS9_4plusIvEEtEEDaPvRmT3_T4_T5_mT6_P12ihipStream_tbENKUlT_T0_E_clISt17integral_constantIbLb1EESU_EEDaSP_SQ_EUlSP_E_NS1_11comp_targetILNS1_3genE2ELNS1_11target_archE906ELNS1_3gpuE6ELNS1_3repE0EEENS1_30default_config_static_selectorELNS0_4arch9wavefront6targetE1EEEvT1_,"axG",@progbits,_ZN7rocprim17ROCPRIM_400000_NS6detail17trampoline_kernelINS0_14default_configENS1_20scan_config_selectorItEEZZNS1_9scan_implILNS1_25lookback_scan_determinismE0ELb0ELb0ES3_N6thrust23THRUST_200600_302600_NS6detail15normal_iteratorINS9_10device_ptrItEEEESE_tNS9_4plusIvEEtEEDaPvRmT3_T4_T5_mT6_P12ihipStream_tbENKUlT_T0_E_clISt17integral_constantIbLb1EESU_EEDaSP_SQ_EUlSP_E_NS1_11comp_targetILNS1_3genE2ELNS1_11target_archE906ELNS1_3gpuE6ELNS1_3repE0EEENS1_30default_config_static_selectorELNS0_4arch9wavefront6targetE1EEEvT1_,comdat
.Lfunc_end4740:
	.size	_ZN7rocprim17ROCPRIM_400000_NS6detail17trampoline_kernelINS0_14default_configENS1_20scan_config_selectorItEEZZNS1_9scan_implILNS1_25lookback_scan_determinismE0ELb0ELb0ES3_N6thrust23THRUST_200600_302600_NS6detail15normal_iteratorINS9_10device_ptrItEEEESE_tNS9_4plusIvEEtEEDaPvRmT3_T4_T5_mT6_P12ihipStream_tbENKUlT_T0_E_clISt17integral_constantIbLb1EESU_EEDaSP_SQ_EUlSP_E_NS1_11comp_targetILNS1_3genE2ELNS1_11target_archE906ELNS1_3gpuE6ELNS1_3repE0EEENS1_30default_config_static_selectorELNS0_4arch9wavefront6targetE1EEEvT1_, .Lfunc_end4740-_ZN7rocprim17ROCPRIM_400000_NS6detail17trampoline_kernelINS0_14default_configENS1_20scan_config_selectorItEEZZNS1_9scan_implILNS1_25lookback_scan_determinismE0ELb0ELb0ES3_N6thrust23THRUST_200600_302600_NS6detail15normal_iteratorINS9_10device_ptrItEEEESE_tNS9_4plusIvEEtEEDaPvRmT3_T4_T5_mT6_P12ihipStream_tbENKUlT_T0_E_clISt17integral_constantIbLb1EESU_EEDaSP_SQ_EUlSP_E_NS1_11comp_targetILNS1_3genE2ELNS1_11target_archE906ELNS1_3gpuE6ELNS1_3repE0EEENS1_30default_config_static_selectorELNS0_4arch9wavefront6targetE1EEEvT1_
                                        ; -- End function
	.section	.AMDGPU.csdata,"",@progbits
; Kernel info:
; codeLenInByte = 0
; NumSgprs: 4
; NumVgprs: 0
; NumAgprs: 0
; TotalNumVgprs: 0
; ScratchSize: 0
; MemoryBound: 0
; FloatMode: 240
; IeeeMode: 1
; LDSByteSize: 0 bytes/workgroup (compile time only)
; SGPRBlocks: 0
; VGPRBlocks: 0
; NumSGPRsForWavesPerEU: 4
; NumVGPRsForWavesPerEU: 1
; AccumOffset: 4
; Occupancy: 8
; WaveLimiterHint : 0
; COMPUTE_PGM_RSRC2:SCRATCH_EN: 0
; COMPUTE_PGM_RSRC2:USER_SGPR: 6
; COMPUTE_PGM_RSRC2:TRAP_HANDLER: 0
; COMPUTE_PGM_RSRC2:TGID_X_EN: 1
; COMPUTE_PGM_RSRC2:TGID_Y_EN: 0
; COMPUTE_PGM_RSRC2:TGID_Z_EN: 0
; COMPUTE_PGM_RSRC2:TIDIG_COMP_CNT: 0
; COMPUTE_PGM_RSRC3_GFX90A:ACCUM_OFFSET: 0
; COMPUTE_PGM_RSRC3_GFX90A:TG_SPLIT: 0
	.section	.text._ZN7rocprim17ROCPRIM_400000_NS6detail17trampoline_kernelINS0_14default_configENS1_20scan_config_selectorItEEZZNS1_9scan_implILNS1_25lookback_scan_determinismE0ELb0ELb0ES3_N6thrust23THRUST_200600_302600_NS6detail15normal_iteratorINS9_10device_ptrItEEEESE_tNS9_4plusIvEEtEEDaPvRmT3_T4_T5_mT6_P12ihipStream_tbENKUlT_T0_E_clISt17integral_constantIbLb1EESU_EEDaSP_SQ_EUlSP_E_NS1_11comp_targetILNS1_3genE10ELNS1_11target_archE1201ELNS1_3gpuE5ELNS1_3repE0EEENS1_30default_config_static_selectorELNS0_4arch9wavefront6targetE1EEEvT1_,"axG",@progbits,_ZN7rocprim17ROCPRIM_400000_NS6detail17trampoline_kernelINS0_14default_configENS1_20scan_config_selectorItEEZZNS1_9scan_implILNS1_25lookback_scan_determinismE0ELb0ELb0ES3_N6thrust23THRUST_200600_302600_NS6detail15normal_iteratorINS9_10device_ptrItEEEESE_tNS9_4plusIvEEtEEDaPvRmT3_T4_T5_mT6_P12ihipStream_tbENKUlT_T0_E_clISt17integral_constantIbLb1EESU_EEDaSP_SQ_EUlSP_E_NS1_11comp_targetILNS1_3genE10ELNS1_11target_archE1201ELNS1_3gpuE5ELNS1_3repE0EEENS1_30default_config_static_selectorELNS0_4arch9wavefront6targetE1EEEvT1_,comdat
	.protected	_ZN7rocprim17ROCPRIM_400000_NS6detail17trampoline_kernelINS0_14default_configENS1_20scan_config_selectorItEEZZNS1_9scan_implILNS1_25lookback_scan_determinismE0ELb0ELb0ES3_N6thrust23THRUST_200600_302600_NS6detail15normal_iteratorINS9_10device_ptrItEEEESE_tNS9_4plusIvEEtEEDaPvRmT3_T4_T5_mT6_P12ihipStream_tbENKUlT_T0_E_clISt17integral_constantIbLb1EESU_EEDaSP_SQ_EUlSP_E_NS1_11comp_targetILNS1_3genE10ELNS1_11target_archE1201ELNS1_3gpuE5ELNS1_3repE0EEENS1_30default_config_static_selectorELNS0_4arch9wavefront6targetE1EEEvT1_ ; -- Begin function _ZN7rocprim17ROCPRIM_400000_NS6detail17trampoline_kernelINS0_14default_configENS1_20scan_config_selectorItEEZZNS1_9scan_implILNS1_25lookback_scan_determinismE0ELb0ELb0ES3_N6thrust23THRUST_200600_302600_NS6detail15normal_iteratorINS9_10device_ptrItEEEESE_tNS9_4plusIvEEtEEDaPvRmT3_T4_T5_mT6_P12ihipStream_tbENKUlT_T0_E_clISt17integral_constantIbLb1EESU_EEDaSP_SQ_EUlSP_E_NS1_11comp_targetILNS1_3genE10ELNS1_11target_archE1201ELNS1_3gpuE5ELNS1_3repE0EEENS1_30default_config_static_selectorELNS0_4arch9wavefront6targetE1EEEvT1_
	.globl	_ZN7rocprim17ROCPRIM_400000_NS6detail17trampoline_kernelINS0_14default_configENS1_20scan_config_selectorItEEZZNS1_9scan_implILNS1_25lookback_scan_determinismE0ELb0ELb0ES3_N6thrust23THRUST_200600_302600_NS6detail15normal_iteratorINS9_10device_ptrItEEEESE_tNS9_4plusIvEEtEEDaPvRmT3_T4_T5_mT6_P12ihipStream_tbENKUlT_T0_E_clISt17integral_constantIbLb1EESU_EEDaSP_SQ_EUlSP_E_NS1_11comp_targetILNS1_3genE10ELNS1_11target_archE1201ELNS1_3gpuE5ELNS1_3repE0EEENS1_30default_config_static_selectorELNS0_4arch9wavefront6targetE1EEEvT1_
	.p2align	8
	.type	_ZN7rocprim17ROCPRIM_400000_NS6detail17trampoline_kernelINS0_14default_configENS1_20scan_config_selectorItEEZZNS1_9scan_implILNS1_25lookback_scan_determinismE0ELb0ELb0ES3_N6thrust23THRUST_200600_302600_NS6detail15normal_iteratorINS9_10device_ptrItEEEESE_tNS9_4plusIvEEtEEDaPvRmT3_T4_T5_mT6_P12ihipStream_tbENKUlT_T0_E_clISt17integral_constantIbLb1EESU_EEDaSP_SQ_EUlSP_E_NS1_11comp_targetILNS1_3genE10ELNS1_11target_archE1201ELNS1_3gpuE5ELNS1_3repE0EEENS1_30default_config_static_selectorELNS0_4arch9wavefront6targetE1EEEvT1_,@function
_ZN7rocprim17ROCPRIM_400000_NS6detail17trampoline_kernelINS0_14default_configENS1_20scan_config_selectorItEEZZNS1_9scan_implILNS1_25lookback_scan_determinismE0ELb0ELb0ES3_N6thrust23THRUST_200600_302600_NS6detail15normal_iteratorINS9_10device_ptrItEEEESE_tNS9_4plusIvEEtEEDaPvRmT3_T4_T5_mT6_P12ihipStream_tbENKUlT_T0_E_clISt17integral_constantIbLb1EESU_EEDaSP_SQ_EUlSP_E_NS1_11comp_targetILNS1_3genE10ELNS1_11target_archE1201ELNS1_3gpuE5ELNS1_3repE0EEENS1_30default_config_static_selectorELNS0_4arch9wavefront6targetE1EEEvT1_: ; @_ZN7rocprim17ROCPRIM_400000_NS6detail17trampoline_kernelINS0_14default_configENS1_20scan_config_selectorItEEZZNS1_9scan_implILNS1_25lookback_scan_determinismE0ELb0ELb0ES3_N6thrust23THRUST_200600_302600_NS6detail15normal_iteratorINS9_10device_ptrItEEEESE_tNS9_4plusIvEEtEEDaPvRmT3_T4_T5_mT6_P12ihipStream_tbENKUlT_T0_E_clISt17integral_constantIbLb1EESU_EEDaSP_SQ_EUlSP_E_NS1_11comp_targetILNS1_3genE10ELNS1_11target_archE1201ELNS1_3gpuE5ELNS1_3repE0EEENS1_30default_config_static_selectorELNS0_4arch9wavefront6targetE1EEEvT1_
; %bb.0:
	.section	.rodata,"a",@progbits
	.p2align	6, 0x0
	.amdhsa_kernel _ZN7rocprim17ROCPRIM_400000_NS6detail17trampoline_kernelINS0_14default_configENS1_20scan_config_selectorItEEZZNS1_9scan_implILNS1_25lookback_scan_determinismE0ELb0ELb0ES3_N6thrust23THRUST_200600_302600_NS6detail15normal_iteratorINS9_10device_ptrItEEEESE_tNS9_4plusIvEEtEEDaPvRmT3_T4_T5_mT6_P12ihipStream_tbENKUlT_T0_E_clISt17integral_constantIbLb1EESU_EEDaSP_SQ_EUlSP_E_NS1_11comp_targetILNS1_3genE10ELNS1_11target_archE1201ELNS1_3gpuE5ELNS1_3repE0EEENS1_30default_config_static_selectorELNS0_4arch9wavefront6targetE1EEEvT1_
		.amdhsa_group_segment_fixed_size 0
		.amdhsa_private_segment_fixed_size 0
		.amdhsa_kernarg_size 96
		.amdhsa_user_sgpr_count 6
		.amdhsa_user_sgpr_private_segment_buffer 1
		.amdhsa_user_sgpr_dispatch_ptr 0
		.amdhsa_user_sgpr_queue_ptr 0
		.amdhsa_user_sgpr_kernarg_segment_ptr 1
		.amdhsa_user_sgpr_dispatch_id 0
		.amdhsa_user_sgpr_flat_scratch_init 0
		.amdhsa_user_sgpr_kernarg_preload_length 0
		.amdhsa_user_sgpr_kernarg_preload_offset 0
		.amdhsa_user_sgpr_private_segment_size 0
		.amdhsa_uses_dynamic_stack 0
		.amdhsa_system_sgpr_private_segment_wavefront_offset 0
		.amdhsa_system_sgpr_workgroup_id_x 1
		.amdhsa_system_sgpr_workgroup_id_y 0
		.amdhsa_system_sgpr_workgroup_id_z 0
		.amdhsa_system_sgpr_workgroup_info 0
		.amdhsa_system_vgpr_workitem_id 0
		.amdhsa_next_free_vgpr 1
		.amdhsa_next_free_sgpr 0
		.amdhsa_accum_offset 4
		.amdhsa_reserve_vcc 0
		.amdhsa_reserve_flat_scratch 0
		.amdhsa_float_round_mode_32 0
		.amdhsa_float_round_mode_16_64 0
		.amdhsa_float_denorm_mode_32 3
		.amdhsa_float_denorm_mode_16_64 3
		.amdhsa_dx10_clamp 1
		.amdhsa_ieee_mode 1
		.amdhsa_fp16_overflow 0
		.amdhsa_tg_split 0
		.amdhsa_exception_fp_ieee_invalid_op 0
		.amdhsa_exception_fp_denorm_src 0
		.amdhsa_exception_fp_ieee_div_zero 0
		.amdhsa_exception_fp_ieee_overflow 0
		.amdhsa_exception_fp_ieee_underflow 0
		.amdhsa_exception_fp_ieee_inexact 0
		.amdhsa_exception_int_div_zero 0
	.end_amdhsa_kernel
	.section	.text._ZN7rocprim17ROCPRIM_400000_NS6detail17trampoline_kernelINS0_14default_configENS1_20scan_config_selectorItEEZZNS1_9scan_implILNS1_25lookback_scan_determinismE0ELb0ELb0ES3_N6thrust23THRUST_200600_302600_NS6detail15normal_iteratorINS9_10device_ptrItEEEESE_tNS9_4plusIvEEtEEDaPvRmT3_T4_T5_mT6_P12ihipStream_tbENKUlT_T0_E_clISt17integral_constantIbLb1EESU_EEDaSP_SQ_EUlSP_E_NS1_11comp_targetILNS1_3genE10ELNS1_11target_archE1201ELNS1_3gpuE5ELNS1_3repE0EEENS1_30default_config_static_selectorELNS0_4arch9wavefront6targetE1EEEvT1_,"axG",@progbits,_ZN7rocprim17ROCPRIM_400000_NS6detail17trampoline_kernelINS0_14default_configENS1_20scan_config_selectorItEEZZNS1_9scan_implILNS1_25lookback_scan_determinismE0ELb0ELb0ES3_N6thrust23THRUST_200600_302600_NS6detail15normal_iteratorINS9_10device_ptrItEEEESE_tNS9_4plusIvEEtEEDaPvRmT3_T4_T5_mT6_P12ihipStream_tbENKUlT_T0_E_clISt17integral_constantIbLb1EESU_EEDaSP_SQ_EUlSP_E_NS1_11comp_targetILNS1_3genE10ELNS1_11target_archE1201ELNS1_3gpuE5ELNS1_3repE0EEENS1_30default_config_static_selectorELNS0_4arch9wavefront6targetE1EEEvT1_,comdat
.Lfunc_end4741:
	.size	_ZN7rocprim17ROCPRIM_400000_NS6detail17trampoline_kernelINS0_14default_configENS1_20scan_config_selectorItEEZZNS1_9scan_implILNS1_25lookback_scan_determinismE0ELb0ELb0ES3_N6thrust23THRUST_200600_302600_NS6detail15normal_iteratorINS9_10device_ptrItEEEESE_tNS9_4plusIvEEtEEDaPvRmT3_T4_T5_mT6_P12ihipStream_tbENKUlT_T0_E_clISt17integral_constantIbLb1EESU_EEDaSP_SQ_EUlSP_E_NS1_11comp_targetILNS1_3genE10ELNS1_11target_archE1201ELNS1_3gpuE5ELNS1_3repE0EEENS1_30default_config_static_selectorELNS0_4arch9wavefront6targetE1EEEvT1_, .Lfunc_end4741-_ZN7rocprim17ROCPRIM_400000_NS6detail17trampoline_kernelINS0_14default_configENS1_20scan_config_selectorItEEZZNS1_9scan_implILNS1_25lookback_scan_determinismE0ELb0ELb0ES3_N6thrust23THRUST_200600_302600_NS6detail15normal_iteratorINS9_10device_ptrItEEEESE_tNS9_4plusIvEEtEEDaPvRmT3_T4_T5_mT6_P12ihipStream_tbENKUlT_T0_E_clISt17integral_constantIbLb1EESU_EEDaSP_SQ_EUlSP_E_NS1_11comp_targetILNS1_3genE10ELNS1_11target_archE1201ELNS1_3gpuE5ELNS1_3repE0EEENS1_30default_config_static_selectorELNS0_4arch9wavefront6targetE1EEEvT1_
                                        ; -- End function
	.section	.AMDGPU.csdata,"",@progbits
; Kernel info:
; codeLenInByte = 0
; NumSgprs: 4
; NumVgprs: 0
; NumAgprs: 0
; TotalNumVgprs: 0
; ScratchSize: 0
; MemoryBound: 0
; FloatMode: 240
; IeeeMode: 1
; LDSByteSize: 0 bytes/workgroup (compile time only)
; SGPRBlocks: 0
; VGPRBlocks: 0
; NumSGPRsForWavesPerEU: 4
; NumVGPRsForWavesPerEU: 1
; AccumOffset: 4
; Occupancy: 8
; WaveLimiterHint : 0
; COMPUTE_PGM_RSRC2:SCRATCH_EN: 0
; COMPUTE_PGM_RSRC2:USER_SGPR: 6
; COMPUTE_PGM_RSRC2:TRAP_HANDLER: 0
; COMPUTE_PGM_RSRC2:TGID_X_EN: 1
; COMPUTE_PGM_RSRC2:TGID_Y_EN: 0
; COMPUTE_PGM_RSRC2:TGID_Z_EN: 0
; COMPUTE_PGM_RSRC2:TIDIG_COMP_CNT: 0
; COMPUTE_PGM_RSRC3_GFX90A:ACCUM_OFFSET: 0
; COMPUTE_PGM_RSRC3_GFX90A:TG_SPLIT: 0
	.section	.text._ZN7rocprim17ROCPRIM_400000_NS6detail17trampoline_kernelINS0_14default_configENS1_20scan_config_selectorItEEZZNS1_9scan_implILNS1_25lookback_scan_determinismE0ELb0ELb0ES3_N6thrust23THRUST_200600_302600_NS6detail15normal_iteratorINS9_10device_ptrItEEEESE_tNS9_4plusIvEEtEEDaPvRmT3_T4_T5_mT6_P12ihipStream_tbENKUlT_T0_E_clISt17integral_constantIbLb1EESU_EEDaSP_SQ_EUlSP_E_NS1_11comp_targetILNS1_3genE10ELNS1_11target_archE1200ELNS1_3gpuE4ELNS1_3repE0EEENS1_30default_config_static_selectorELNS0_4arch9wavefront6targetE1EEEvT1_,"axG",@progbits,_ZN7rocprim17ROCPRIM_400000_NS6detail17trampoline_kernelINS0_14default_configENS1_20scan_config_selectorItEEZZNS1_9scan_implILNS1_25lookback_scan_determinismE0ELb0ELb0ES3_N6thrust23THRUST_200600_302600_NS6detail15normal_iteratorINS9_10device_ptrItEEEESE_tNS9_4plusIvEEtEEDaPvRmT3_T4_T5_mT6_P12ihipStream_tbENKUlT_T0_E_clISt17integral_constantIbLb1EESU_EEDaSP_SQ_EUlSP_E_NS1_11comp_targetILNS1_3genE10ELNS1_11target_archE1200ELNS1_3gpuE4ELNS1_3repE0EEENS1_30default_config_static_selectorELNS0_4arch9wavefront6targetE1EEEvT1_,comdat
	.protected	_ZN7rocprim17ROCPRIM_400000_NS6detail17trampoline_kernelINS0_14default_configENS1_20scan_config_selectorItEEZZNS1_9scan_implILNS1_25lookback_scan_determinismE0ELb0ELb0ES3_N6thrust23THRUST_200600_302600_NS6detail15normal_iteratorINS9_10device_ptrItEEEESE_tNS9_4plusIvEEtEEDaPvRmT3_T4_T5_mT6_P12ihipStream_tbENKUlT_T0_E_clISt17integral_constantIbLb1EESU_EEDaSP_SQ_EUlSP_E_NS1_11comp_targetILNS1_3genE10ELNS1_11target_archE1200ELNS1_3gpuE4ELNS1_3repE0EEENS1_30default_config_static_selectorELNS0_4arch9wavefront6targetE1EEEvT1_ ; -- Begin function _ZN7rocprim17ROCPRIM_400000_NS6detail17trampoline_kernelINS0_14default_configENS1_20scan_config_selectorItEEZZNS1_9scan_implILNS1_25lookback_scan_determinismE0ELb0ELb0ES3_N6thrust23THRUST_200600_302600_NS6detail15normal_iteratorINS9_10device_ptrItEEEESE_tNS9_4plusIvEEtEEDaPvRmT3_T4_T5_mT6_P12ihipStream_tbENKUlT_T0_E_clISt17integral_constantIbLb1EESU_EEDaSP_SQ_EUlSP_E_NS1_11comp_targetILNS1_3genE10ELNS1_11target_archE1200ELNS1_3gpuE4ELNS1_3repE0EEENS1_30default_config_static_selectorELNS0_4arch9wavefront6targetE1EEEvT1_
	.globl	_ZN7rocprim17ROCPRIM_400000_NS6detail17trampoline_kernelINS0_14default_configENS1_20scan_config_selectorItEEZZNS1_9scan_implILNS1_25lookback_scan_determinismE0ELb0ELb0ES3_N6thrust23THRUST_200600_302600_NS6detail15normal_iteratorINS9_10device_ptrItEEEESE_tNS9_4plusIvEEtEEDaPvRmT3_T4_T5_mT6_P12ihipStream_tbENKUlT_T0_E_clISt17integral_constantIbLb1EESU_EEDaSP_SQ_EUlSP_E_NS1_11comp_targetILNS1_3genE10ELNS1_11target_archE1200ELNS1_3gpuE4ELNS1_3repE0EEENS1_30default_config_static_selectorELNS0_4arch9wavefront6targetE1EEEvT1_
	.p2align	8
	.type	_ZN7rocprim17ROCPRIM_400000_NS6detail17trampoline_kernelINS0_14default_configENS1_20scan_config_selectorItEEZZNS1_9scan_implILNS1_25lookback_scan_determinismE0ELb0ELb0ES3_N6thrust23THRUST_200600_302600_NS6detail15normal_iteratorINS9_10device_ptrItEEEESE_tNS9_4plusIvEEtEEDaPvRmT3_T4_T5_mT6_P12ihipStream_tbENKUlT_T0_E_clISt17integral_constantIbLb1EESU_EEDaSP_SQ_EUlSP_E_NS1_11comp_targetILNS1_3genE10ELNS1_11target_archE1200ELNS1_3gpuE4ELNS1_3repE0EEENS1_30default_config_static_selectorELNS0_4arch9wavefront6targetE1EEEvT1_,@function
_ZN7rocprim17ROCPRIM_400000_NS6detail17trampoline_kernelINS0_14default_configENS1_20scan_config_selectorItEEZZNS1_9scan_implILNS1_25lookback_scan_determinismE0ELb0ELb0ES3_N6thrust23THRUST_200600_302600_NS6detail15normal_iteratorINS9_10device_ptrItEEEESE_tNS9_4plusIvEEtEEDaPvRmT3_T4_T5_mT6_P12ihipStream_tbENKUlT_T0_E_clISt17integral_constantIbLb1EESU_EEDaSP_SQ_EUlSP_E_NS1_11comp_targetILNS1_3genE10ELNS1_11target_archE1200ELNS1_3gpuE4ELNS1_3repE0EEENS1_30default_config_static_selectorELNS0_4arch9wavefront6targetE1EEEvT1_: ; @_ZN7rocprim17ROCPRIM_400000_NS6detail17trampoline_kernelINS0_14default_configENS1_20scan_config_selectorItEEZZNS1_9scan_implILNS1_25lookback_scan_determinismE0ELb0ELb0ES3_N6thrust23THRUST_200600_302600_NS6detail15normal_iteratorINS9_10device_ptrItEEEESE_tNS9_4plusIvEEtEEDaPvRmT3_T4_T5_mT6_P12ihipStream_tbENKUlT_T0_E_clISt17integral_constantIbLb1EESU_EEDaSP_SQ_EUlSP_E_NS1_11comp_targetILNS1_3genE10ELNS1_11target_archE1200ELNS1_3gpuE4ELNS1_3repE0EEENS1_30default_config_static_selectorELNS0_4arch9wavefront6targetE1EEEvT1_
; %bb.0:
	.section	.rodata,"a",@progbits
	.p2align	6, 0x0
	.amdhsa_kernel _ZN7rocprim17ROCPRIM_400000_NS6detail17trampoline_kernelINS0_14default_configENS1_20scan_config_selectorItEEZZNS1_9scan_implILNS1_25lookback_scan_determinismE0ELb0ELb0ES3_N6thrust23THRUST_200600_302600_NS6detail15normal_iteratorINS9_10device_ptrItEEEESE_tNS9_4plusIvEEtEEDaPvRmT3_T4_T5_mT6_P12ihipStream_tbENKUlT_T0_E_clISt17integral_constantIbLb1EESU_EEDaSP_SQ_EUlSP_E_NS1_11comp_targetILNS1_3genE10ELNS1_11target_archE1200ELNS1_3gpuE4ELNS1_3repE0EEENS1_30default_config_static_selectorELNS0_4arch9wavefront6targetE1EEEvT1_
		.amdhsa_group_segment_fixed_size 0
		.amdhsa_private_segment_fixed_size 0
		.amdhsa_kernarg_size 96
		.amdhsa_user_sgpr_count 6
		.amdhsa_user_sgpr_private_segment_buffer 1
		.amdhsa_user_sgpr_dispatch_ptr 0
		.amdhsa_user_sgpr_queue_ptr 0
		.amdhsa_user_sgpr_kernarg_segment_ptr 1
		.amdhsa_user_sgpr_dispatch_id 0
		.amdhsa_user_sgpr_flat_scratch_init 0
		.amdhsa_user_sgpr_kernarg_preload_length 0
		.amdhsa_user_sgpr_kernarg_preload_offset 0
		.amdhsa_user_sgpr_private_segment_size 0
		.amdhsa_uses_dynamic_stack 0
		.amdhsa_system_sgpr_private_segment_wavefront_offset 0
		.amdhsa_system_sgpr_workgroup_id_x 1
		.amdhsa_system_sgpr_workgroup_id_y 0
		.amdhsa_system_sgpr_workgroup_id_z 0
		.amdhsa_system_sgpr_workgroup_info 0
		.amdhsa_system_vgpr_workitem_id 0
		.amdhsa_next_free_vgpr 1
		.amdhsa_next_free_sgpr 0
		.amdhsa_accum_offset 4
		.amdhsa_reserve_vcc 0
		.amdhsa_reserve_flat_scratch 0
		.amdhsa_float_round_mode_32 0
		.amdhsa_float_round_mode_16_64 0
		.amdhsa_float_denorm_mode_32 3
		.amdhsa_float_denorm_mode_16_64 3
		.amdhsa_dx10_clamp 1
		.amdhsa_ieee_mode 1
		.amdhsa_fp16_overflow 0
		.amdhsa_tg_split 0
		.amdhsa_exception_fp_ieee_invalid_op 0
		.amdhsa_exception_fp_denorm_src 0
		.amdhsa_exception_fp_ieee_div_zero 0
		.amdhsa_exception_fp_ieee_overflow 0
		.amdhsa_exception_fp_ieee_underflow 0
		.amdhsa_exception_fp_ieee_inexact 0
		.amdhsa_exception_int_div_zero 0
	.end_amdhsa_kernel
	.section	.text._ZN7rocprim17ROCPRIM_400000_NS6detail17trampoline_kernelINS0_14default_configENS1_20scan_config_selectorItEEZZNS1_9scan_implILNS1_25lookback_scan_determinismE0ELb0ELb0ES3_N6thrust23THRUST_200600_302600_NS6detail15normal_iteratorINS9_10device_ptrItEEEESE_tNS9_4plusIvEEtEEDaPvRmT3_T4_T5_mT6_P12ihipStream_tbENKUlT_T0_E_clISt17integral_constantIbLb1EESU_EEDaSP_SQ_EUlSP_E_NS1_11comp_targetILNS1_3genE10ELNS1_11target_archE1200ELNS1_3gpuE4ELNS1_3repE0EEENS1_30default_config_static_selectorELNS0_4arch9wavefront6targetE1EEEvT1_,"axG",@progbits,_ZN7rocprim17ROCPRIM_400000_NS6detail17trampoline_kernelINS0_14default_configENS1_20scan_config_selectorItEEZZNS1_9scan_implILNS1_25lookback_scan_determinismE0ELb0ELb0ES3_N6thrust23THRUST_200600_302600_NS6detail15normal_iteratorINS9_10device_ptrItEEEESE_tNS9_4plusIvEEtEEDaPvRmT3_T4_T5_mT6_P12ihipStream_tbENKUlT_T0_E_clISt17integral_constantIbLb1EESU_EEDaSP_SQ_EUlSP_E_NS1_11comp_targetILNS1_3genE10ELNS1_11target_archE1200ELNS1_3gpuE4ELNS1_3repE0EEENS1_30default_config_static_selectorELNS0_4arch9wavefront6targetE1EEEvT1_,comdat
.Lfunc_end4742:
	.size	_ZN7rocprim17ROCPRIM_400000_NS6detail17trampoline_kernelINS0_14default_configENS1_20scan_config_selectorItEEZZNS1_9scan_implILNS1_25lookback_scan_determinismE0ELb0ELb0ES3_N6thrust23THRUST_200600_302600_NS6detail15normal_iteratorINS9_10device_ptrItEEEESE_tNS9_4plusIvEEtEEDaPvRmT3_T4_T5_mT6_P12ihipStream_tbENKUlT_T0_E_clISt17integral_constantIbLb1EESU_EEDaSP_SQ_EUlSP_E_NS1_11comp_targetILNS1_3genE10ELNS1_11target_archE1200ELNS1_3gpuE4ELNS1_3repE0EEENS1_30default_config_static_selectorELNS0_4arch9wavefront6targetE1EEEvT1_, .Lfunc_end4742-_ZN7rocprim17ROCPRIM_400000_NS6detail17trampoline_kernelINS0_14default_configENS1_20scan_config_selectorItEEZZNS1_9scan_implILNS1_25lookback_scan_determinismE0ELb0ELb0ES3_N6thrust23THRUST_200600_302600_NS6detail15normal_iteratorINS9_10device_ptrItEEEESE_tNS9_4plusIvEEtEEDaPvRmT3_T4_T5_mT6_P12ihipStream_tbENKUlT_T0_E_clISt17integral_constantIbLb1EESU_EEDaSP_SQ_EUlSP_E_NS1_11comp_targetILNS1_3genE10ELNS1_11target_archE1200ELNS1_3gpuE4ELNS1_3repE0EEENS1_30default_config_static_selectorELNS0_4arch9wavefront6targetE1EEEvT1_
                                        ; -- End function
	.section	.AMDGPU.csdata,"",@progbits
; Kernel info:
; codeLenInByte = 0
; NumSgprs: 4
; NumVgprs: 0
; NumAgprs: 0
; TotalNumVgprs: 0
; ScratchSize: 0
; MemoryBound: 0
; FloatMode: 240
; IeeeMode: 1
; LDSByteSize: 0 bytes/workgroup (compile time only)
; SGPRBlocks: 0
; VGPRBlocks: 0
; NumSGPRsForWavesPerEU: 4
; NumVGPRsForWavesPerEU: 1
; AccumOffset: 4
; Occupancy: 8
; WaveLimiterHint : 0
; COMPUTE_PGM_RSRC2:SCRATCH_EN: 0
; COMPUTE_PGM_RSRC2:USER_SGPR: 6
; COMPUTE_PGM_RSRC2:TRAP_HANDLER: 0
; COMPUTE_PGM_RSRC2:TGID_X_EN: 1
; COMPUTE_PGM_RSRC2:TGID_Y_EN: 0
; COMPUTE_PGM_RSRC2:TGID_Z_EN: 0
; COMPUTE_PGM_RSRC2:TIDIG_COMP_CNT: 0
; COMPUTE_PGM_RSRC3_GFX90A:ACCUM_OFFSET: 0
; COMPUTE_PGM_RSRC3_GFX90A:TG_SPLIT: 0
	.section	.text._ZN7rocprim17ROCPRIM_400000_NS6detail17trampoline_kernelINS0_14default_configENS1_20scan_config_selectorItEEZZNS1_9scan_implILNS1_25lookback_scan_determinismE0ELb0ELb0ES3_N6thrust23THRUST_200600_302600_NS6detail15normal_iteratorINS9_10device_ptrItEEEESE_tNS9_4plusIvEEtEEDaPvRmT3_T4_T5_mT6_P12ihipStream_tbENKUlT_T0_E_clISt17integral_constantIbLb1EESU_EEDaSP_SQ_EUlSP_E_NS1_11comp_targetILNS1_3genE9ELNS1_11target_archE1100ELNS1_3gpuE3ELNS1_3repE0EEENS1_30default_config_static_selectorELNS0_4arch9wavefront6targetE1EEEvT1_,"axG",@progbits,_ZN7rocprim17ROCPRIM_400000_NS6detail17trampoline_kernelINS0_14default_configENS1_20scan_config_selectorItEEZZNS1_9scan_implILNS1_25lookback_scan_determinismE0ELb0ELb0ES3_N6thrust23THRUST_200600_302600_NS6detail15normal_iteratorINS9_10device_ptrItEEEESE_tNS9_4plusIvEEtEEDaPvRmT3_T4_T5_mT6_P12ihipStream_tbENKUlT_T0_E_clISt17integral_constantIbLb1EESU_EEDaSP_SQ_EUlSP_E_NS1_11comp_targetILNS1_3genE9ELNS1_11target_archE1100ELNS1_3gpuE3ELNS1_3repE0EEENS1_30default_config_static_selectorELNS0_4arch9wavefront6targetE1EEEvT1_,comdat
	.protected	_ZN7rocprim17ROCPRIM_400000_NS6detail17trampoline_kernelINS0_14default_configENS1_20scan_config_selectorItEEZZNS1_9scan_implILNS1_25lookback_scan_determinismE0ELb0ELb0ES3_N6thrust23THRUST_200600_302600_NS6detail15normal_iteratorINS9_10device_ptrItEEEESE_tNS9_4plusIvEEtEEDaPvRmT3_T4_T5_mT6_P12ihipStream_tbENKUlT_T0_E_clISt17integral_constantIbLb1EESU_EEDaSP_SQ_EUlSP_E_NS1_11comp_targetILNS1_3genE9ELNS1_11target_archE1100ELNS1_3gpuE3ELNS1_3repE0EEENS1_30default_config_static_selectorELNS0_4arch9wavefront6targetE1EEEvT1_ ; -- Begin function _ZN7rocprim17ROCPRIM_400000_NS6detail17trampoline_kernelINS0_14default_configENS1_20scan_config_selectorItEEZZNS1_9scan_implILNS1_25lookback_scan_determinismE0ELb0ELb0ES3_N6thrust23THRUST_200600_302600_NS6detail15normal_iteratorINS9_10device_ptrItEEEESE_tNS9_4plusIvEEtEEDaPvRmT3_T4_T5_mT6_P12ihipStream_tbENKUlT_T0_E_clISt17integral_constantIbLb1EESU_EEDaSP_SQ_EUlSP_E_NS1_11comp_targetILNS1_3genE9ELNS1_11target_archE1100ELNS1_3gpuE3ELNS1_3repE0EEENS1_30default_config_static_selectorELNS0_4arch9wavefront6targetE1EEEvT1_
	.globl	_ZN7rocprim17ROCPRIM_400000_NS6detail17trampoline_kernelINS0_14default_configENS1_20scan_config_selectorItEEZZNS1_9scan_implILNS1_25lookback_scan_determinismE0ELb0ELb0ES3_N6thrust23THRUST_200600_302600_NS6detail15normal_iteratorINS9_10device_ptrItEEEESE_tNS9_4plusIvEEtEEDaPvRmT3_T4_T5_mT6_P12ihipStream_tbENKUlT_T0_E_clISt17integral_constantIbLb1EESU_EEDaSP_SQ_EUlSP_E_NS1_11comp_targetILNS1_3genE9ELNS1_11target_archE1100ELNS1_3gpuE3ELNS1_3repE0EEENS1_30default_config_static_selectorELNS0_4arch9wavefront6targetE1EEEvT1_
	.p2align	8
	.type	_ZN7rocprim17ROCPRIM_400000_NS6detail17trampoline_kernelINS0_14default_configENS1_20scan_config_selectorItEEZZNS1_9scan_implILNS1_25lookback_scan_determinismE0ELb0ELb0ES3_N6thrust23THRUST_200600_302600_NS6detail15normal_iteratorINS9_10device_ptrItEEEESE_tNS9_4plusIvEEtEEDaPvRmT3_T4_T5_mT6_P12ihipStream_tbENKUlT_T0_E_clISt17integral_constantIbLb1EESU_EEDaSP_SQ_EUlSP_E_NS1_11comp_targetILNS1_3genE9ELNS1_11target_archE1100ELNS1_3gpuE3ELNS1_3repE0EEENS1_30default_config_static_selectorELNS0_4arch9wavefront6targetE1EEEvT1_,@function
_ZN7rocprim17ROCPRIM_400000_NS6detail17trampoline_kernelINS0_14default_configENS1_20scan_config_selectorItEEZZNS1_9scan_implILNS1_25lookback_scan_determinismE0ELb0ELb0ES3_N6thrust23THRUST_200600_302600_NS6detail15normal_iteratorINS9_10device_ptrItEEEESE_tNS9_4plusIvEEtEEDaPvRmT3_T4_T5_mT6_P12ihipStream_tbENKUlT_T0_E_clISt17integral_constantIbLb1EESU_EEDaSP_SQ_EUlSP_E_NS1_11comp_targetILNS1_3genE9ELNS1_11target_archE1100ELNS1_3gpuE3ELNS1_3repE0EEENS1_30default_config_static_selectorELNS0_4arch9wavefront6targetE1EEEvT1_: ; @_ZN7rocprim17ROCPRIM_400000_NS6detail17trampoline_kernelINS0_14default_configENS1_20scan_config_selectorItEEZZNS1_9scan_implILNS1_25lookback_scan_determinismE0ELb0ELb0ES3_N6thrust23THRUST_200600_302600_NS6detail15normal_iteratorINS9_10device_ptrItEEEESE_tNS9_4plusIvEEtEEDaPvRmT3_T4_T5_mT6_P12ihipStream_tbENKUlT_T0_E_clISt17integral_constantIbLb1EESU_EEDaSP_SQ_EUlSP_E_NS1_11comp_targetILNS1_3genE9ELNS1_11target_archE1100ELNS1_3gpuE3ELNS1_3repE0EEENS1_30default_config_static_selectorELNS0_4arch9wavefront6targetE1EEEvT1_
; %bb.0:
	.section	.rodata,"a",@progbits
	.p2align	6, 0x0
	.amdhsa_kernel _ZN7rocprim17ROCPRIM_400000_NS6detail17trampoline_kernelINS0_14default_configENS1_20scan_config_selectorItEEZZNS1_9scan_implILNS1_25lookback_scan_determinismE0ELb0ELb0ES3_N6thrust23THRUST_200600_302600_NS6detail15normal_iteratorINS9_10device_ptrItEEEESE_tNS9_4plusIvEEtEEDaPvRmT3_T4_T5_mT6_P12ihipStream_tbENKUlT_T0_E_clISt17integral_constantIbLb1EESU_EEDaSP_SQ_EUlSP_E_NS1_11comp_targetILNS1_3genE9ELNS1_11target_archE1100ELNS1_3gpuE3ELNS1_3repE0EEENS1_30default_config_static_selectorELNS0_4arch9wavefront6targetE1EEEvT1_
		.amdhsa_group_segment_fixed_size 0
		.amdhsa_private_segment_fixed_size 0
		.amdhsa_kernarg_size 96
		.amdhsa_user_sgpr_count 6
		.amdhsa_user_sgpr_private_segment_buffer 1
		.amdhsa_user_sgpr_dispatch_ptr 0
		.amdhsa_user_sgpr_queue_ptr 0
		.amdhsa_user_sgpr_kernarg_segment_ptr 1
		.amdhsa_user_sgpr_dispatch_id 0
		.amdhsa_user_sgpr_flat_scratch_init 0
		.amdhsa_user_sgpr_kernarg_preload_length 0
		.amdhsa_user_sgpr_kernarg_preload_offset 0
		.amdhsa_user_sgpr_private_segment_size 0
		.amdhsa_uses_dynamic_stack 0
		.amdhsa_system_sgpr_private_segment_wavefront_offset 0
		.amdhsa_system_sgpr_workgroup_id_x 1
		.amdhsa_system_sgpr_workgroup_id_y 0
		.amdhsa_system_sgpr_workgroup_id_z 0
		.amdhsa_system_sgpr_workgroup_info 0
		.amdhsa_system_vgpr_workitem_id 0
		.amdhsa_next_free_vgpr 1
		.amdhsa_next_free_sgpr 0
		.amdhsa_accum_offset 4
		.amdhsa_reserve_vcc 0
		.amdhsa_reserve_flat_scratch 0
		.amdhsa_float_round_mode_32 0
		.amdhsa_float_round_mode_16_64 0
		.amdhsa_float_denorm_mode_32 3
		.amdhsa_float_denorm_mode_16_64 3
		.amdhsa_dx10_clamp 1
		.amdhsa_ieee_mode 1
		.amdhsa_fp16_overflow 0
		.amdhsa_tg_split 0
		.amdhsa_exception_fp_ieee_invalid_op 0
		.amdhsa_exception_fp_denorm_src 0
		.amdhsa_exception_fp_ieee_div_zero 0
		.amdhsa_exception_fp_ieee_overflow 0
		.amdhsa_exception_fp_ieee_underflow 0
		.amdhsa_exception_fp_ieee_inexact 0
		.amdhsa_exception_int_div_zero 0
	.end_amdhsa_kernel
	.section	.text._ZN7rocprim17ROCPRIM_400000_NS6detail17trampoline_kernelINS0_14default_configENS1_20scan_config_selectorItEEZZNS1_9scan_implILNS1_25lookback_scan_determinismE0ELb0ELb0ES3_N6thrust23THRUST_200600_302600_NS6detail15normal_iteratorINS9_10device_ptrItEEEESE_tNS9_4plusIvEEtEEDaPvRmT3_T4_T5_mT6_P12ihipStream_tbENKUlT_T0_E_clISt17integral_constantIbLb1EESU_EEDaSP_SQ_EUlSP_E_NS1_11comp_targetILNS1_3genE9ELNS1_11target_archE1100ELNS1_3gpuE3ELNS1_3repE0EEENS1_30default_config_static_selectorELNS0_4arch9wavefront6targetE1EEEvT1_,"axG",@progbits,_ZN7rocprim17ROCPRIM_400000_NS6detail17trampoline_kernelINS0_14default_configENS1_20scan_config_selectorItEEZZNS1_9scan_implILNS1_25lookback_scan_determinismE0ELb0ELb0ES3_N6thrust23THRUST_200600_302600_NS6detail15normal_iteratorINS9_10device_ptrItEEEESE_tNS9_4plusIvEEtEEDaPvRmT3_T4_T5_mT6_P12ihipStream_tbENKUlT_T0_E_clISt17integral_constantIbLb1EESU_EEDaSP_SQ_EUlSP_E_NS1_11comp_targetILNS1_3genE9ELNS1_11target_archE1100ELNS1_3gpuE3ELNS1_3repE0EEENS1_30default_config_static_selectorELNS0_4arch9wavefront6targetE1EEEvT1_,comdat
.Lfunc_end4743:
	.size	_ZN7rocprim17ROCPRIM_400000_NS6detail17trampoline_kernelINS0_14default_configENS1_20scan_config_selectorItEEZZNS1_9scan_implILNS1_25lookback_scan_determinismE0ELb0ELb0ES3_N6thrust23THRUST_200600_302600_NS6detail15normal_iteratorINS9_10device_ptrItEEEESE_tNS9_4plusIvEEtEEDaPvRmT3_T4_T5_mT6_P12ihipStream_tbENKUlT_T0_E_clISt17integral_constantIbLb1EESU_EEDaSP_SQ_EUlSP_E_NS1_11comp_targetILNS1_3genE9ELNS1_11target_archE1100ELNS1_3gpuE3ELNS1_3repE0EEENS1_30default_config_static_selectorELNS0_4arch9wavefront6targetE1EEEvT1_, .Lfunc_end4743-_ZN7rocprim17ROCPRIM_400000_NS6detail17trampoline_kernelINS0_14default_configENS1_20scan_config_selectorItEEZZNS1_9scan_implILNS1_25lookback_scan_determinismE0ELb0ELb0ES3_N6thrust23THRUST_200600_302600_NS6detail15normal_iteratorINS9_10device_ptrItEEEESE_tNS9_4plusIvEEtEEDaPvRmT3_T4_T5_mT6_P12ihipStream_tbENKUlT_T0_E_clISt17integral_constantIbLb1EESU_EEDaSP_SQ_EUlSP_E_NS1_11comp_targetILNS1_3genE9ELNS1_11target_archE1100ELNS1_3gpuE3ELNS1_3repE0EEENS1_30default_config_static_selectorELNS0_4arch9wavefront6targetE1EEEvT1_
                                        ; -- End function
	.section	.AMDGPU.csdata,"",@progbits
; Kernel info:
; codeLenInByte = 0
; NumSgprs: 4
; NumVgprs: 0
; NumAgprs: 0
; TotalNumVgprs: 0
; ScratchSize: 0
; MemoryBound: 0
; FloatMode: 240
; IeeeMode: 1
; LDSByteSize: 0 bytes/workgroup (compile time only)
; SGPRBlocks: 0
; VGPRBlocks: 0
; NumSGPRsForWavesPerEU: 4
; NumVGPRsForWavesPerEU: 1
; AccumOffset: 4
; Occupancy: 8
; WaveLimiterHint : 0
; COMPUTE_PGM_RSRC2:SCRATCH_EN: 0
; COMPUTE_PGM_RSRC2:USER_SGPR: 6
; COMPUTE_PGM_RSRC2:TRAP_HANDLER: 0
; COMPUTE_PGM_RSRC2:TGID_X_EN: 1
; COMPUTE_PGM_RSRC2:TGID_Y_EN: 0
; COMPUTE_PGM_RSRC2:TGID_Z_EN: 0
; COMPUTE_PGM_RSRC2:TIDIG_COMP_CNT: 0
; COMPUTE_PGM_RSRC3_GFX90A:ACCUM_OFFSET: 0
; COMPUTE_PGM_RSRC3_GFX90A:TG_SPLIT: 0
	.section	.text._ZN7rocprim17ROCPRIM_400000_NS6detail17trampoline_kernelINS0_14default_configENS1_20scan_config_selectorItEEZZNS1_9scan_implILNS1_25lookback_scan_determinismE0ELb0ELb0ES3_N6thrust23THRUST_200600_302600_NS6detail15normal_iteratorINS9_10device_ptrItEEEESE_tNS9_4plusIvEEtEEDaPvRmT3_T4_T5_mT6_P12ihipStream_tbENKUlT_T0_E_clISt17integral_constantIbLb1EESU_EEDaSP_SQ_EUlSP_E_NS1_11comp_targetILNS1_3genE8ELNS1_11target_archE1030ELNS1_3gpuE2ELNS1_3repE0EEENS1_30default_config_static_selectorELNS0_4arch9wavefront6targetE1EEEvT1_,"axG",@progbits,_ZN7rocprim17ROCPRIM_400000_NS6detail17trampoline_kernelINS0_14default_configENS1_20scan_config_selectorItEEZZNS1_9scan_implILNS1_25lookback_scan_determinismE0ELb0ELb0ES3_N6thrust23THRUST_200600_302600_NS6detail15normal_iteratorINS9_10device_ptrItEEEESE_tNS9_4plusIvEEtEEDaPvRmT3_T4_T5_mT6_P12ihipStream_tbENKUlT_T0_E_clISt17integral_constantIbLb1EESU_EEDaSP_SQ_EUlSP_E_NS1_11comp_targetILNS1_3genE8ELNS1_11target_archE1030ELNS1_3gpuE2ELNS1_3repE0EEENS1_30default_config_static_selectorELNS0_4arch9wavefront6targetE1EEEvT1_,comdat
	.protected	_ZN7rocprim17ROCPRIM_400000_NS6detail17trampoline_kernelINS0_14default_configENS1_20scan_config_selectorItEEZZNS1_9scan_implILNS1_25lookback_scan_determinismE0ELb0ELb0ES3_N6thrust23THRUST_200600_302600_NS6detail15normal_iteratorINS9_10device_ptrItEEEESE_tNS9_4plusIvEEtEEDaPvRmT3_T4_T5_mT6_P12ihipStream_tbENKUlT_T0_E_clISt17integral_constantIbLb1EESU_EEDaSP_SQ_EUlSP_E_NS1_11comp_targetILNS1_3genE8ELNS1_11target_archE1030ELNS1_3gpuE2ELNS1_3repE0EEENS1_30default_config_static_selectorELNS0_4arch9wavefront6targetE1EEEvT1_ ; -- Begin function _ZN7rocprim17ROCPRIM_400000_NS6detail17trampoline_kernelINS0_14default_configENS1_20scan_config_selectorItEEZZNS1_9scan_implILNS1_25lookback_scan_determinismE0ELb0ELb0ES3_N6thrust23THRUST_200600_302600_NS6detail15normal_iteratorINS9_10device_ptrItEEEESE_tNS9_4plusIvEEtEEDaPvRmT3_T4_T5_mT6_P12ihipStream_tbENKUlT_T0_E_clISt17integral_constantIbLb1EESU_EEDaSP_SQ_EUlSP_E_NS1_11comp_targetILNS1_3genE8ELNS1_11target_archE1030ELNS1_3gpuE2ELNS1_3repE0EEENS1_30default_config_static_selectorELNS0_4arch9wavefront6targetE1EEEvT1_
	.globl	_ZN7rocprim17ROCPRIM_400000_NS6detail17trampoline_kernelINS0_14default_configENS1_20scan_config_selectorItEEZZNS1_9scan_implILNS1_25lookback_scan_determinismE0ELb0ELb0ES3_N6thrust23THRUST_200600_302600_NS6detail15normal_iteratorINS9_10device_ptrItEEEESE_tNS9_4plusIvEEtEEDaPvRmT3_T4_T5_mT6_P12ihipStream_tbENKUlT_T0_E_clISt17integral_constantIbLb1EESU_EEDaSP_SQ_EUlSP_E_NS1_11comp_targetILNS1_3genE8ELNS1_11target_archE1030ELNS1_3gpuE2ELNS1_3repE0EEENS1_30default_config_static_selectorELNS0_4arch9wavefront6targetE1EEEvT1_
	.p2align	8
	.type	_ZN7rocprim17ROCPRIM_400000_NS6detail17trampoline_kernelINS0_14default_configENS1_20scan_config_selectorItEEZZNS1_9scan_implILNS1_25lookback_scan_determinismE0ELb0ELb0ES3_N6thrust23THRUST_200600_302600_NS6detail15normal_iteratorINS9_10device_ptrItEEEESE_tNS9_4plusIvEEtEEDaPvRmT3_T4_T5_mT6_P12ihipStream_tbENKUlT_T0_E_clISt17integral_constantIbLb1EESU_EEDaSP_SQ_EUlSP_E_NS1_11comp_targetILNS1_3genE8ELNS1_11target_archE1030ELNS1_3gpuE2ELNS1_3repE0EEENS1_30default_config_static_selectorELNS0_4arch9wavefront6targetE1EEEvT1_,@function
_ZN7rocprim17ROCPRIM_400000_NS6detail17trampoline_kernelINS0_14default_configENS1_20scan_config_selectorItEEZZNS1_9scan_implILNS1_25lookback_scan_determinismE0ELb0ELb0ES3_N6thrust23THRUST_200600_302600_NS6detail15normal_iteratorINS9_10device_ptrItEEEESE_tNS9_4plusIvEEtEEDaPvRmT3_T4_T5_mT6_P12ihipStream_tbENKUlT_T0_E_clISt17integral_constantIbLb1EESU_EEDaSP_SQ_EUlSP_E_NS1_11comp_targetILNS1_3genE8ELNS1_11target_archE1030ELNS1_3gpuE2ELNS1_3repE0EEENS1_30default_config_static_selectorELNS0_4arch9wavefront6targetE1EEEvT1_: ; @_ZN7rocprim17ROCPRIM_400000_NS6detail17trampoline_kernelINS0_14default_configENS1_20scan_config_selectorItEEZZNS1_9scan_implILNS1_25lookback_scan_determinismE0ELb0ELb0ES3_N6thrust23THRUST_200600_302600_NS6detail15normal_iteratorINS9_10device_ptrItEEEESE_tNS9_4plusIvEEtEEDaPvRmT3_T4_T5_mT6_P12ihipStream_tbENKUlT_T0_E_clISt17integral_constantIbLb1EESU_EEDaSP_SQ_EUlSP_E_NS1_11comp_targetILNS1_3genE8ELNS1_11target_archE1030ELNS1_3gpuE2ELNS1_3repE0EEENS1_30default_config_static_selectorELNS0_4arch9wavefront6targetE1EEEvT1_
; %bb.0:
	.section	.rodata,"a",@progbits
	.p2align	6, 0x0
	.amdhsa_kernel _ZN7rocprim17ROCPRIM_400000_NS6detail17trampoline_kernelINS0_14default_configENS1_20scan_config_selectorItEEZZNS1_9scan_implILNS1_25lookback_scan_determinismE0ELb0ELb0ES3_N6thrust23THRUST_200600_302600_NS6detail15normal_iteratorINS9_10device_ptrItEEEESE_tNS9_4plusIvEEtEEDaPvRmT3_T4_T5_mT6_P12ihipStream_tbENKUlT_T0_E_clISt17integral_constantIbLb1EESU_EEDaSP_SQ_EUlSP_E_NS1_11comp_targetILNS1_3genE8ELNS1_11target_archE1030ELNS1_3gpuE2ELNS1_3repE0EEENS1_30default_config_static_selectorELNS0_4arch9wavefront6targetE1EEEvT1_
		.amdhsa_group_segment_fixed_size 0
		.amdhsa_private_segment_fixed_size 0
		.amdhsa_kernarg_size 96
		.amdhsa_user_sgpr_count 6
		.amdhsa_user_sgpr_private_segment_buffer 1
		.amdhsa_user_sgpr_dispatch_ptr 0
		.amdhsa_user_sgpr_queue_ptr 0
		.amdhsa_user_sgpr_kernarg_segment_ptr 1
		.amdhsa_user_sgpr_dispatch_id 0
		.amdhsa_user_sgpr_flat_scratch_init 0
		.amdhsa_user_sgpr_kernarg_preload_length 0
		.amdhsa_user_sgpr_kernarg_preload_offset 0
		.amdhsa_user_sgpr_private_segment_size 0
		.amdhsa_uses_dynamic_stack 0
		.amdhsa_system_sgpr_private_segment_wavefront_offset 0
		.amdhsa_system_sgpr_workgroup_id_x 1
		.amdhsa_system_sgpr_workgroup_id_y 0
		.amdhsa_system_sgpr_workgroup_id_z 0
		.amdhsa_system_sgpr_workgroup_info 0
		.amdhsa_system_vgpr_workitem_id 0
		.amdhsa_next_free_vgpr 1
		.amdhsa_next_free_sgpr 0
		.amdhsa_accum_offset 4
		.amdhsa_reserve_vcc 0
		.amdhsa_reserve_flat_scratch 0
		.amdhsa_float_round_mode_32 0
		.amdhsa_float_round_mode_16_64 0
		.amdhsa_float_denorm_mode_32 3
		.amdhsa_float_denorm_mode_16_64 3
		.amdhsa_dx10_clamp 1
		.amdhsa_ieee_mode 1
		.amdhsa_fp16_overflow 0
		.amdhsa_tg_split 0
		.amdhsa_exception_fp_ieee_invalid_op 0
		.amdhsa_exception_fp_denorm_src 0
		.amdhsa_exception_fp_ieee_div_zero 0
		.amdhsa_exception_fp_ieee_overflow 0
		.amdhsa_exception_fp_ieee_underflow 0
		.amdhsa_exception_fp_ieee_inexact 0
		.amdhsa_exception_int_div_zero 0
	.end_amdhsa_kernel
	.section	.text._ZN7rocprim17ROCPRIM_400000_NS6detail17trampoline_kernelINS0_14default_configENS1_20scan_config_selectorItEEZZNS1_9scan_implILNS1_25lookback_scan_determinismE0ELb0ELb0ES3_N6thrust23THRUST_200600_302600_NS6detail15normal_iteratorINS9_10device_ptrItEEEESE_tNS9_4plusIvEEtEEDaPvRmT3_T4_T5_mT6_P12ihipStream_tbENKUlT_T0_E_clISt17integral_constantIbLb1EESU_EEDaSP_SQ_EUlSP_E_NS1_11comp_targetILNS1_3genE8ELNS1_11target_archE1030ELNS1_3gpuE2ELNS1_3repE0EEENS1_30default_config_static_selectorELNS0_4arch9wavefront6targetE1EEEvT1_,"axG",@progbits,_ZN7rocprim17ROCPRIM_400000_NS6detail17trampoline_kernelINS0_14default_configENS1_20scan_config_selectorItEEZZNS1_9scan_implILNS1_25lookback_scan_determinismE0ELb0ELb0ES3_N6thrust23THRUST_200600_302600_NS6detail15normal_iteratorINS9_10device_ptrItEEEESE_tNS9_4plusIvEEtEEDaPvRmT3_T4_T5_mT6_P12ihipStream_tbENKUlT_T0_E_clISt17integral_constantIbLb1EESU_EEDaSP_SQ_EUlSP_E_NS1_11comp_targetILNS1_3genE8ELNS1_11target_archE1030ELNS1_3gpuE2ELNS1_3repE0EEENS1_30default_config_static_selectorELNS0_4arch9wavefront6targetE1EEEvT1_,comdat
.Lfunc_end4744:
	.size	_ZN7rocprim17ROCPRIM_400000_NS6detail17trampoline_kernelINS0_14default_configENS1_20scan_config_selectorItEEZZNS1_9scan_implILNS1_25lookback_scan_determinismE0ELb0ELb0ES3_N6thrust23THRUST_200600_302600_NS6detail15normal_iteratorINS9_10device_ptrItEEEESE_tNS9_4plusIvEEtEEDaPvRmT3_T4_T5_mT6_P12ihipStream_tbENKUlT_T0_E_clISt17integral_constantIbLb1EESU_EEDaSP_SQ_EUlSP_E_NS1_11comp_targetILNS1_3genE8ELNS1_11target_archE1030ELNS1_3gpuE2ELNS1_3repE0EEENS1_30default_config_static_selectorELNS0_4arch9wavefront6targetE1EEEvT1_, .Lfunc_end4744-_ZN7rocprim17ROCPRIM_400000_NS6detail17trampoline_kernelINS0_14default_configENS1_20scan_config_selectorItEEZZNS1_9scan_implILNS1_25lookback_scan_determinismE0ELb0ELb0ES3_N6thrust23THRUST_200600_302600_NS6detail15normal_iteratorINS9_10device_ptrItEEEESE_tNS9_4plusIvEEtEEDaPvRmT3_T4_T5_mT6_P12ihipStream_tbENKUlT_T0_E_clISt17integral_constantIbLb1EESU_EEDaSP_SQ_EUlSP_E_NS1_11comp_targetILNS1_3genE8ELNS1_11target_archE1030ELNS1_3gpuE2ELNS1_3repE0EEENS1_30default_config_static_selectorELNS0_4arch9wavefront6targetE1EEEvT1_
                                        ; -- End function
	.section	.AMDGPU.csdata,"",@progbits
; Kernel info:
; codeLenInByte = 0
; NumSgprs: 4
; NumVgprs: 0
; NumAgprs: 0
; TotalNumVgprs: 0
; ScratchSize: 0
; MemoryBound: 0
; FloatMode: 240
; IeeeMode: 1
; LDSByteSize: 0 bytes/workgroup (compile time only)
; SGPRBlocks: 0
; VGPRBlocks: 0
; NumSGPRsForWavesPerEU: 4
; NumVGPRsForWavesPerEU: 1
; AccumOffset: 4
; Occupancy: 8
; WaveLimiterHint : 0
; COMPUTE_PGM_RSRC2:SCRATCH_EN: 0
; COMPUTE_PGM_RSRC2:USER_SGPR: 6
; COMPUTE_PGM_RSRC2:TRAP_HANDLER: 0
; COMPUTE_PGM_RSRC2:TGID_X_EN: 1
; COMPUTE_PGM_RSRC2:TGID_Y_EN: 0
; COMPUTE_PGM_RSRC2:TGID_Z_EN: 0
; COMPUTE_PGM_RSRC2:TIDIG_COMP_CNT: 0
; COMPUTE_PGM_RSRC3_GFX90A:ACCUM_OFFSET: 0
; COMPUTE_PGM_RSRC3_GFX90A:TG_SPLIT: 0
	.section	.text._ZN7rocprim17ROCPRIM_400000_NS6detail17trampoline_kernelINS0_14default_configENS1_20scan_config_selectorItEEZZNS1_9scan_implILNS1_25lookback_scan_determinismE0ELb0ELb0ES3_N6thrust23THRUST_200600_302600_NS6detail15normal_iteratorINS9_10device_ptrItEEEESE_tNS9_4plusIvEEtEEDaPvRmT3_T4_T5_mT6_P12ihipStream_tbENKUlT_T0_E_clISt17integral_constantIbLb1EESU_EEDaSP_SQ_EUlSP_E0_NS1_11comp_targetILNS1_3genE0ELNS1_11target_archE4294967295ELNS1_3gpuE0ELNS1_3repE0EEENS1_30default_config_static_selectorELNS0_4arch9wavefront6targetE1EEEvT1_,"axG",@progbits,_ZN7rocprim17ROCPRIM_400000_NS6detail17trampoline_kernelINS0_14default_configENS1_20scan_config_selectorItEEZZNS1_9scan_implILNS1_25lookback_scan_determinismE0ELb0ELb0ES3_N6thrust23THRUST_200600_302600_NS6detail15normal_iteratorINS9_10device_ptrItEEEESE_tNS9_4plusIvEEtEEDaPvRmT3_T4_T5_mT6_P12ihipStream_tbENKUlT_T0_E_clISt17integral_constantIbLb1EESU_EEDaSP_SQ_EUlSP_E0_NS1_11comp_targetILNS1_3genE0ELNS1_11target_archE4294967295ELNS1_3gpuE0ELNS1_3repE0EEENS1_30default_config_static_selectorELNS0_4arch9wavefront6targetE1EEEvT1_,comdat
	.protected	_ZN7rocprim17ROCPRIM_400000_NS6detail17trampoline_kernelINS0_14default_configENS1_20scan_config_selectorItEEZZNS1_9scan_implILNS1_25lookback_scan_determinismE0ELb0ELb0ES3_N6thrust23THRUST_200600_302600_NS6detail15normal_iteratorINS9_10device_ptrItEEEESE_tNS9_4plusIvEEtEEDaPvRmT3_T4_T5_mT6_P12ihipStream_tbENKUlT_T0_E_clISt17integral_constantIbLb1EESU_EEDaSP_SQ_EUlSP_E0_NS1_11comp_targetILNS1_3genE0ELNS1_11target_archE4294967295ELNS1_3gpuE0ELNS1_3repE0EEENS1_30default_config_static_selectorELNS0_4arch9wavefront6targetE1EEEvT1_ ; -- Begin function _ZN7rocprim17ROCPRIM_400000_NS6detail17trampoline_kernelINS0_14default_configENS1_20scan_config_selectorItEEZZNS1_9scan_implILNS1_25lookback_scan_determinismE0ELb0ELb0ES3_N6thrust23THRUST_200600_302600_NS6detail15normal_iteratorINS9_10device_ptrItEEEESE_tNS9_4plusIvEEtEEDaPvRmT3_T4_T5_mT6_P12ihipStream_tbENKUlT_T0_E_clISt17integral_constantIbLb1EESU_EEDaSP_SQ_EUlSP_E0_NS1_11comp_targetILNS1_3genE0ELNS1_11target_archE4294967295ELNS1_3gpuE0ELNS1_3repE0EEENS1_30default_config_static_selectorELNS0_4arch9wavefront6targetE1EEEvT1_
	.globl	_ZN7rocprim17ROCPRIM_400000_NS6detail17trampoline_kernelINS0_14default_configENS1_20scan_config_selectorItEEZZNS1_9scan_implILNS1_25lookback_scan_determinismE0ELb0ELb0ES3_N6thrust23THRUST_200600_302600_NS6detail15normal_iteratorINS9_10device_ptrItEEEESE_tNS9_4plusIvEEtEEDaPvRmT3_T4_T5_mT6_P12ihipStream_tbENKUlT_T0_E_clISt17integral_constantIbLb1EESU_EEDaSP_SQ_EUlSP_E0_NS1_11comp_targetILNS1_3genE0ELNS1_11target_archE4294967295ELNS1_3gpuE0ELNS1_3repE0EEENS1_30default_config_static_selectorELNS0_4arch9wavefront6targetE1EEEvT1_
	.p2align	8
	.type	_ZN7rocprim17ROCPRIM_400000_NS6detail17trampoline_kernelINS0_14default_configENS1_20scan_config_selectorItEEZZNS1_9scan_implILNS1_25lookback_scan_determinismE0ELb0ELb0ES3_N6thrust23THRUST_200600_302600_NS6detail15normal_iteratorINS9_10device_ptrItEEEESE_tNS9_4plusIvEEtEEDaPvRmT3_T4_T5_mT6_P12ihipStream_tbENKUlT_T0_E_clISt17integral_constantIbLb1EESU_EEDaSP_SQ_EUlSP_E0_NS1_11comp_targetILNS1_3genE0ELNS1_11target_archE4294967295ELNS1_3gpuE0ELNS1_3repE0EEENS1_30default_config_static_selectorELNS0_4arch9wavefront6targetE1EEEvT1_,@function
_ZN7rocprim17ROCPRIM_400000_NS6detail17trampoline_kernelINS0_14default_configENS1_20scan_config_selectorItEEZZNS1_9scan_implILNS1_25lookback_scan_determinismE0ELb0ELb0ES3_N6thrust23THRUST_200600_302600_NS6detail15normal_iteratorINS9_10device_ptrItEEEESE_tNS9_4plusIvEEtEEDaPvRmT3_T4_T5_mT6_P12ihipStream_tbENKUlT_T0_E_clISt17integral_constantIbLb1EESU_EEDaSP_SQ_EUlSP_E0_NS1_11comp_targetILNS1_3genE0ELNS1_11target_archE4294967295ELNS1_3gpuE0ELNS1_3repE0EEENS1_30default_config_static_selectorELNS0_4arch9wavefront6targetE1EEEvT1_: ; @_ZN7rocprim17ROCPRIM_400000_NS6detail17trampoline_kernelINS0_14default_configENS1_20scan_config_selectorItEEZZNS1_9scan_implILNS1_25lookback_scan_determinismE0ELb0ELb0ES3_N6thrust23THRUST_200600_302600_NS6detail15normal_iteratorINS9_10device_ptrItEEEESE_tNS9_4plusIvEEtEEDaPvRmT3_T4_T5_mT6_P12ihipStream_tbENKUlT_T0_E_clISt17integral_constantIbLb1EESU_EEDaSP_SQ_EUlSP_E0_NS1_11comp_targetILNS1_3genE0ELNS1_11target_archE4294967295ELNS1_3gpuE0ELNS1_3repE0EEENS1_30default_config_static_selectorELNS0_4arch9wavefront6targetE1EEEvT1_
; %bb.0:
	.section	.rodata,"a",@progbits
	.p2align	6, 0x0
	.amdhsa_kernel _ZN7rocprim17ROCPRIM_400000_NS6detail17trampoline_kernelINS0_14default_configENS1_20scan_config_selectorItEEZZNS1_9scan_implILNS1_25lookback_scan_determinismE0ELb0ELb0ES3_N6thrust23THRUST_200600_302600_NS6detail15normal_iteratorINS9_10device_ptrItEEEESE_tNS9_4plusIvEEtEEDaPvRmT3_T4_T5_mT6_P12ihipStream_tbENKUlT_T0_E_clISt17integral_constantIbLb1EESU_EEDaSP_SQ_EUlSP_E0_NS1_11comp_targetILNS1_3genE0ELNS1_11target_archE4294967295ELNS1_3gpuE0ELNS1_3repE0EEENS1_30default_config_static_selectorELNS0_4arch9wavefront6targetE1EEEvT1_
		.amdhsa_group_segment_fixed_size 0
		.amdhsa_private_segment_fixed_size 0
		.amdhsa_kernarg_size 32
		.amdhsa_user_sgpr_count 6
		.amdhsa_user_sgpr_private_segment_buffer 1
		.amdhsa_user_sgpr_dispatch_ptr 0
		.amdhsa_user_sgpr_queue_ptr 0
		.amdhsa_user_sgpr_kernarg_segment_ptr 1
		.amdhsa_user_sgpr_dispatch_id 0
		.amdhsa_user_sgpr_flat_scratch_init 0
		.amdhsa_user_sgpr_kernarg_preload_length 0
		.amdhsa_user_sgpr_kernarg_preload_offset 0
		.amdhsa_user_sgpr_private_segment_size 0
		.amdhsa_uses_dynamic_stack 0
		.amdhsa_system_sgpr_private_segment_wavefront_offset 0
		.amdhsa_system_sgpr_workgroup_id_x 1
		.amdhsa_system_sgpr_workgroup_id_y 0
		.amdhsa_system_sgpr_workgroup_id_z 0
		.amdhsa_system_sgpr_workgroup_info 0
		.amdhsa_system_vgpr_workitem_id 0
		.amdhsa_next_free_vgpr 1
		.amdhsa_next_free_sgpr 0
		.amdhsa_accum_offset 4
		.amdhsa_reserve_vcc 0
		.amdhsa_reserve_flat_scratch 0
		.amdhsa_float_round_mode_32 0
		.amdhsa_float_round_mode_16_64 0
		.amdhsa_float_denorm_mode_32 3
		.amdhsa_float_denorm_mode_16_64 3
		.amdhsa_dx10_clamp 1
		.amdhsa_ieee_mode 1
		.amdhsa_fp16_overflow 0
		.amdhsa_tg_split 0
		.amdhsa_exception_fp_ieee_invalid_op 0
		.amdhsa_exception_fp_denorm_src 0
		.amdhsa_exception_fp_ieee_div_zero 0
		.amdhsa_exception_fp_ieee_overflow 0
		.amdhsa_exception_fp_ieee_underflow 0
		.amdhsa_exception_fp_ieee_inexact 0
		.amdhsa_exception_int_div_zero 0
	.end_amdhsa_kernel
	.section	.text._ZN7rocprim17ROCPRIM_400000_NS6detail17trampoline_kernelINS0_14default_configENS1_20scan_config_selectorItEEZZNS1_9scan_implILNS1_25lookback_scan_determinismE0ELb0ELb0ES3_N6thrust23THRUST_200600_302600_NS6detail15normal_iteratorINS9_10device_ptrItEEEESE_tNS9_4plusIvEEtEEDaPvRmT3_T4_T5_mT6_P12ihipStream_tbENKUlT_T0_E_clISt17integral_constantIbLb1EESU_EEDaSP_SQ_EUlSP_E0_NS1_11comp_targetILNS1_3genE0ELNS1_11target_archE4294967295ELNS1_3gpuE0ELNS1_3repE0EEENS1_30default_config_static_selectorELNS0_4arch9wavefront6targetE1EEEvT1_,"axG",@progbits,_ZN7rocprim17ROCPRIM_400000_NS6detail17trampoline_kernelINS0_14default_configENS1_20scan_config_selectorItEEZZNS1_9scan_implILNS1_25lookback_scan_determinismE0ELb0ELb0ES3_N6thrust23THRUST_200600_302600_NS6detail15normal_iteratorINS9_10device_ptrItEEEESE_tNS9_4plusIvEEtEEDaPvRmT3_T4_T5_mT6_P12ihipStream_tbENKUlT_T0_E_clISt17integral_constantIbLb1EESU_EEDaSP_SQ_EUlSP_E0_NS1_11comp_targetILNS1_3genE0ELNS1_11target_archE4294967295ELNS1_3gpuE0ELNS1_3repE0EEENS1_30default_config_static_selectorELNS0_4arch9wavefront6targetE1EEEvT1_,comdat
.Lfunc_end4745:
	.size	_ZN7rocprim17ROCPRIM_400000_NS6detail17trampoline_kernelINS0_14default_configENS1_20scan_config_selectorItEEZZNS1_9scan_implILNS1_25lookback_scan_determinismE0ELb0ELb0ES3_N6thrust23THRUST_200600_302600_NS6detail15normal_iteratorINS9_10device_ptrItEEEESE_tNS9_4plusIvEEtEEDaPvRmT3_T4_T5_mT6_P12ihipStream_tbENKUlT_T0_E_clISt17integral_constantIbLb1EESU_EEDaSP_SQ_EUlSP_E0_NS1_11comp_targetILNS1_3genE0ELNS1_11target_archE4294967295ELNS1_3gpuE0ELNS1_3repE0EEENS1_30default_config_static_selectorELNS0_4arch9wavefront6targetE1EEEvT1_, .Lfunc_end4745-_ZN7rocprim17ROCPRIM_400000_NS6detail17trampoline_kernelINS0_14default_configENS1_20scan_config_selectorItEEZZNS1_9scan_implILNS1_25lookback_scan_determinismE0ELb0ELb0ES3_N6thrust23THRUST_200600_302600_NS6detail15normal_iteratorINS9_10device_ptrItEEEESE_tNS9_4plusIvEEtEEDaPvRmT3_T4_T5_mT6_P12ihipStream_tbENKUlT_T0_E_clISt17integral_constantIbLb1EESU_EEDaSP_SQ_EUlSP_E0_NS1_11comp_targetILNS1_3genE0ELNS1_11target_archE4294967295ELNS1_3gpuE0ELNS1_3repE0EEENS1_30default_config_static_selectorELNS0_4arch9wavefront6targetE1EEEvT1_
                                        ; -- End function
	.section	.AMDGPU.csdata,"",@progbits
; Kernel info:
; codeLenInByte = 0
; NumSgprs: 4
; NumVgprs: 0
; NumAgprs: 0
; TotalNumVgprs: 0
; ScratchSize: 0
; MemoryBound: 0
; FloatMode: 240
; IeeeMode: 1
; LDSByteSize: 0 bytes/workgroup (compile time only)
; SGPRBlocks: 0
; VGPRBlocks: 0
; NumSGPRsForWavesPerEU: 4
; NumVGPRsForWavesPerEU: 1
; AccumOffset: 4
; Occupancy: 8
; WaveLimiterHint : 0
; COMPUTE_PGM_RSRC2:SCRATCH_EN: 0
; COMPUTE_PGM_RSRC2:USER_SGPR: 6
; COMPUTE_PGM_RSRC2:TRAP_HANDLER: 0
; COMPUTE_PGM_RSRC2:TGID_X_EN: 1
; COMPUTE_PGM_RSRC2:TGID_Y_EN: 0
; COMPUTE_PGM_RSRC2:TGID_Z_EN: 0
; COMPUTE_PGM_RSRC2:TIDIG_COMP_CNT: 0
; COMPUTE_PGM_RSRC3_GFX90A:ACCUM_OFFSET: 0
; COMPUTE_PGM_RSRC3_GFX90A:TG_SPLIT: 0
	.section	.text._ZN7rocprim17ROCPRIM_400000_NS6detail17trampoline_kernelINS0_14default_configENS1_20scan_config_selectorItEEZZNS1_9scan_implILNS1_25lookback_scan_determinismE0ELb0ELb0ES3_N6thrust23THRUST_200600_302600_NS6detail15normal_iteratorINS9_10device_ptrItEEEESE_tNS9_4plusIvEEtEEDaPvRmT3_T4_T5_mT6_P12ihipStream_tbENKUlT_T0_E_clISt17integral_constantIbLb1EESU_EEDaSP_SQ_EUlSP_E0_NS1_11comp_targetILNS1_3genE5ELNS1_11target_archE942ELNS1_3gpuE9ELNS1_3repE0EEENS1_30default_config_static_selectorELNS0_4arch9wavefront6targetE1EEEvT1_,"axG",@progbits,_ZN7rocprim17ROCPRIM_400000_NS6detail17trampoline_kernelINS0_14default_configENS1_20scan_config_selectorItEEZZNS1_9scan_implILNS1_25lookback_scan_determinismE0ELb0ELb0ES3_N6thrust23THRUST_200600_302600_NS6detail15normal_iteratorINS9_10device_ptrItEEEESE_tNS9_4plusIvEEtEEDaPvRmT3_T4_T5_mT6_P12ihipStream_tbENKUlT_T0_E_clISt17integral_constantIbLb1EESU_EEDaSP_SQ_EUlSP_E0_NS1_11comp_targetILNS1_3genE5ELNS1_11target_archE942ELNS1_3gpuE9ELNS1_3repE0EEENS1_30default_config_static_selectorELNS0_4arch9wavefront6targetE1EEEvT1_,comdat
	.protected	_ZN7rocprim17ROCPRIM_400000_NS6detail17trampoline_kernelINS0_14default_configENS1_20scan_config_selectorItEEZZNS1_9scan_implILNS1_25lookback_scan_determinismE0ELb0ELb0ES3_N6thrust23THRUST_200600_302600_NS6detail15normal_iteratorINS9_10device_ptrItEEEESE_tNS9_4plusIvEEtEEDaPvRmT3_T4_T5_mT6_P12ihipStream_tbENKUlT_T0_E_clISt17integral_constantIbLb1EESU_EEDaSP_SQ_EUlSP_E0_NS1_11comp_targetILNS1_3genE5ELNS1_11target_archE942ELNS1_3gpuE9ELNS1_3repE0EEENS1_30default_config_static_selectorELNS0_4arch9wavefront6targetE1EEEvT1_ ; -- Begin function _ZN7rocprim17ROCPRIM_400000_NS6detail17trampoline_kernelINS0_14default_configENS1_20scan_config_selectorItEEZZNS1_9scan_implILNS1_25lookback_scan_determinismE0ELb0ELb0ES3_N6thrust23THRUST_200600_302600_NS6detail15normal_iteratorINS9_10device_ptrItEEEESE_tNS9_4plusIvEEtEEDaPvRmT3_T4_T5_mT6_P12ihipStream_tbENKUlT_T0_E_clISt17integral_constantIbLb1EESU_EEDaSP_SQ_EUlSP_E0_NS1_11comp_targetILNS1_3genE5ELNS1_11target_archE942ELNS1_3gpuE9ELNS1_3repE0EEENS1_30default_config_static_selectorELNS0_4arch9wavefront6targetE1EEEvT1_
	.globl	_ZN7rocprim17ROCPRIM_400000_NS6detail17trampoline_kernelINS0_14default_configENS1_20scan_config_selectorItEEZZNS1_9scan_implILNS1_25lookback_scan_determinismE0ELb0ELb0ES3_N6thrust23THRUST_200600_302600_NS6detail15normal_iteratorINS9_10device_ptrItEEEESE_tNS9_4plusIvEEtEEDaPvRmT3_T4_T5_mT6_P12ihipStream_tbENKUlT_T0_E_clISt17integral_constantIbLb1EESU_EEDaSP_SQ_EUlSP_E0_NS1_11comp_targetILNS1_3genE5ELNS1_11target_archE942ELNS1_3gpuE9ELNS1_3repE0EEENS1_30default_config_static_selectorELNS0_4arch9wavefront6targetE1EEEvT1_
	.p2align	8
	.type	_ZN7rocprim17ROCPRIM_400000_NS6detail17trampoline_kernelINS0_14default_configENS1_20scan_config_selectorItEEZZNS1_9scan_implILNS1_25lookback_scan_determinismE0ELb0ELb0ES3_N6thrust23THRUST_200600_302600_NS6detail15normal_iteratorINS9_10device_ptrItEEEESE_tNS9_4plusIvEEtEEDaPvRmT3_T4_T5_mT6_P12ihipStream_tbENKUlT_T0_E_clISt17integral_constantIbLb1EESU_EEDaSP_SQ_EUlSP_E0_NS1_11comp_targetILNS1_3genE5ELNS1_11target_archE942ELNS1_3gpuE9ELNS1_3repE0EEENS1_30default_config_static_selectorELNS0_4arch9wavefront6targetE1EEEvT1_,@function
_ZN7rocprim17ROCPRIM_400000_NS6detail17trampoline_kernelINS0_14default_configENS1_20scan_config_selectorItEEZZNS1_9scan_implILNS1_25lookback_scan_determinismE0ELb0ELb0ES3_N6thrust23THRUST_200600_302600_NS6detail15normal_iteratorINS9_10device_ptrItEEEESE_tNS9_4plusIvEEtEEDaPvRmT3_T4_T5_mT6_P12ihipStream_tbENKUlT_T0_E_clISt17integral_constantIbLb1EESU_EEDaSP_SQ_EUlSP_E0_NS1_11comp_targetILNS1_3genE5ELNS1_11target_archE942ELNS1_3gpuE9ELNS1_3repE0EEENS1_30default_config_static_selectorELNS0_4arch9wavefront6targetE1EEEvT1_: ; @_ZN7rocprim17ROCPRIM_400000_NS6detail17trampoline_kernelINS0_14default_configENS1_20scan_config_selectorItEEZZNS1_9scan_implILNS1_25lookback_scan_determinismE0ELb0ELb0ES3_N6thrust23THRUST_200600_302600_NS6detail15normal_iteratorINS9_10device_ptrItEEEESE_tNS9_4plusIvEEtEEDaPvRmT3_T4_T5_mT6_P12ihipStream_tbENKUlT_T0_E_clISt17integral_constantIbLb1EESU_EEDaSP_SQ_EUlSP_E0_NS1_11comp_targetILNS1_3genE5ELNS1_11target_archE942ELNS1_3gpuE9ELNS1_3repE0EEENS1_30default_config_static_selectorELNS0_4arch9wavefront6targetE1EEEvT1_
; %bb.0:
	.section	.rodata,"a",@progbits
	.p2align	6, 0x0
	.amdhsa_kernel _ZN7rocprim17ROCPRIM_400000_NS6detail17trampoline_kernelINS0_14default_configENS1_20scan_config_selectorItEEZZNS1_9scan_implILNS1_25lookback_scan_determinismE0ELb0ELb0ES3_N6thrust23THRUST_200600_302600_NS6detail15normal_iteratorINS9_10device_ptrItEEEESE_tNS9_4plusIvEEtEEDaPvRmT3_T4_T5_mT6_P12ihipStream_tbENKUlT_T0_E_clISt17integral_constantIbLb1EESU_EEDaSP_SQ_EUlSP_E0_NS1_11comp_targetILNS1_3genE5ELNS1_11target_archE942ELNS1_3gpuE9ELNS1_3repE0EEENS1_30default_config_static_selectorELNS0_4arch9wavefront6targetE1EEEvT1_
		.amdhsa_group_segment_fixed_size 0
		.amdhsa_private_segment_fixed_size 0
		.amdhsa_kernarg_size 32
		.amdhsa_user_sgpr_count 6
		.amdhsa_user_sgpr_private_segment_buffer 1
		.amdhsa_user_sgpr_dispatch_ptr 0
		.amdhsa_user_sgpr_queue_ptr 0
		.amdhsa_user_sgpr_kernarg_segment_ptr 1
		.amdhsa_user_sgpr_dispatch_id 0
		.amdhsa_user_sgpr_flat_scratch_init 0
		.amdhsa_user_sgpr_kernarg_preload_length 0
		.amdhsa_user_sgpr_kernarg_preload_offset 0
		.amdhsa_user_sgpr_private_segment_size 0
		.amdhsa_uses_dynamic_stack 0
		.amdhsa_system_sgpr_private_segment_wavefront_offset 0
		.amdhsa_system_sgpr_workgroup_id_x 1
		.amdhsa_system_sgpr_workgroup_id_y 0
		.amdhsa_system_sgpr_workgroup_id_z 0
		.amdhsa_system_sgpr_workgroup_info 0
		.amdhsa_system_vgpr_workitem_id 0
		.amdhsa_next_free_vgpr 1
		.amdhsa_next_free_sgpr 0
		.amdhsa_accum_offset 4
		.amdhsa_reserve_vcc 0
		.amdhsa_reserve_flat_scratch 0
		.amdhsa_float_round_mode_32 0
		.amdhsa_float_round_mode_16_64 0
		.amdhsa_float_denorm_mode_32 3
		.amdhsa_float_denorm_mode_16_64 3
		.amdhsa_dx10_clamp 1
		.amdhsa_ieee_mode 1
		.amdhsa_fp16_overflow 0
		.amdhsa_tg_split 0
		.amdhsa_exception_fp_ieee_invalid_op 0
		.amdhsa_exception_fp_denorm_src 0
		.amdhsa_exception_fp_ieee_div_zero 0
		.amdhsa_exception_fp_ieee_overflow 0
		.amdhsa_exception_fp_ieee_underflow 0
		.amdhsa_exception_fp_ieee_inexact 0
		.amdhsa_exception_int_div_zero 0
	.end_amdhsa_kernel
	.section	.text._ZN7rocprim17ROCPRIM_400000_NS6detail17trampoline_kernelINS0_14default_configENS1_20scan_config_selectorItEEZZNS1_9scan_implILNS1_25lookback_scan_determinismE0ELb0ELb0ES3_N6thrust23THRUST_200600_302600_NS6detail15normal_iteratorINS9_10device_ptrItEEEESE_tNS9_4plusIvEEtEEDaPvRmT3_T4_T5_mT6_P12ihipStream_tbENKUlT_T0_E_clISt17integral_constantIbLb1EESU_EEDaSP_SQ_EUlSP_E0_NS1_11comp_targetILNS1_3genE5ELNS1_11target_archE942ELNS1_3gpuE9ELNS1_3repE0EEENS1_30default_config_static_selectorELNS0_4arch9wavefront6targetE1EEEvT1_,"axG",@progbits,_ZN7rocprim17ROCPRIM_400000_NS6detail17trampoline_kernelINS0_14default_configENS1_20scan_config_selectorItEEZZNS1_9scan_implILNS1_25lookback_scan_determinismE0ELb0ELb0ES3_N6thrust23THRUST_200600_302600_NS6detail15normal_iteratorINS9_10device_ptrItEEEESE_tNS9_4plusIvEEtEEDaPvRmT3_T4_T5_mT6_P12ihipStream_tbENKUlT_T0_E_clISt17integral_constantIbLb1EESU_EEDaSP_SQ_EUlSP_E0_NS1_11comp_targetILNS1_3genE5ELNS1_11target_archE942ELNS1_3gpuE9ELNS1_3repE0EEENS1_30default_config_static_selectorELNS0_4arch9wavefront6targetE1EEEvT1_,comdat
.Lfunc_end4746:
	.size	_ZN7rocprim17ROCPRIM_400000_NS6detail17trampoline_kernelINS0_14default_configENS1_20scan_config_selectorItEEZZNS1_9scan_implILNS1_25lookback_scan_determinismE0ELb0ELb0ES3_N6thrust23THRUST_200600_302600_NS6detail15normal_iteratorINS9_10device_ptrItEEEESE_tNS9_4plusIvEEtEEDaPvRmT3_T4_T5_mT6_P12ihipStream_tbENKUlT_T0_E_clISt17integral_constantIbLb1EESU_EEDaSP_SQ_EUlSP_E0_NS1_11comp_targetILNS1_3genE5ELNS1_11target_archE942ELNS1_3gpuE9ELNS1_3repE0EEENS1_30default_config_static_selectorELNS0_4arch9wavefront6targetE1EEEvT1_, .Lfunc_end4746-_ZN7rocprim17ROCPRIM_400000_NS6detail17trampoline_kernelINS0_14default_configENS1_20scan_config_selectorItEEZZNS1_9scan_implILNS1_25lookback_scan_determinismE0ELb0ELb0ES3_N6thrust23THRUST_200600_302600_NS6detail15normal_iteratorINS9_10device_ptrItEEEESE_tNS9_4plusIvEEtEEDaPvRmT3_T4_T5_mT6_P12ihipStream_tbENKUlT_T0_E_clISt17integral_constantIbLb1EESU_EEDaSP_SQ_EUlSP_E0_NS1_11comp_targetILNS1_3genE5ELNS1_11target_archE942ELNS1_3gpuE9ELNS1_3repE0EEENS1_30default_config_static_selectorELNS0_4arch9wavefront6targetE1EEEvT1_
                                        ; -- End function
	.section	.AMDGPU.csdata,"",@progbits
; Kernel info:
; codeLenInByte = 0
; NumSgprs: 4
; NumVgprs: 0
; NumAgprs: 0
; TotalNumVgprs: 0
; ScratchSize: 0
; MemoryBound: 0
; FloatMode: 240
; IeeeMode: 1
; LDSByteSize: 0 bytes/workgroup (compile time only)
; SGPRBlocks: 0
; VGPRBlocks: 0
; NumSGPRsForWavesPerEU: 4
; NumVGPRsForWavesPerEU: 1
; AccumOffset: 4
; Occupancy: 8
; WaveLimiterHint : 0
; COMPUTE_PGM_RSRC2:SCRATCH_EN: 0
; COMPUTE_PGM_RSRC2:USER_SGPR: 6
; COMPUTE_PGM_RSRC2:TRAP_HANDLER: 0
; COMPUTE_PGM_RSRC2:TGID_X_EN: 1
; COMPUTE_PGM_RSRC2:TGID_Y_EN: 0
; COMPUTE_PGM_RSRC2:TGID_Z_EN: 0
; COMPUTE_PGM_RSRC2:TIDIG_COMP_CNT: 0
; COMPUTE_PGM_RSRC3_GFX90A:ACCUM_OFFSET: 0
; COMPUTE_PGM_RSRC3_GFX90A:TG_SPLIT: 0
	.section	.text._ZN7rocprim17ROCPRIM_400000_NS6detail17trampoline_kernelINS0_14default_configENS1_20scan_config_selectorItEEZZNS1_9scan_implILNS1_25lookback_scan_determinismE0ELb0ELb0ES3_N6thrust23THRUST_200600_302600_NS6detail15normal_iteratorINS9_10device_ptrItEEEESE_tNS9_4plusIvEEtEEDaPvRmT3_T4_T5_mT6_P12ihipStream_tbENKUlT_T0_E_clISt17integral_constantIbLb1EESU_EEDaSP_SQ_EUlSP_E0_NS1_11comp_targetILNS1_3genE4ELNS1_11target_archE910ELNS1_3gpuE8ELNS1_3repE0EEENS1_30default_config_static_selectorELNS0_4arch9wavefront6targetE1EEEvT1_,"axG",@progbits,_ZN7rocprim17ROCPRIM_400000_NS6detail17trampoline_kernelINS0_14default_configENS1_20scan_config_selectorItEEZZNS1_9scan_implILNS1_25lookback_scan_determinismE0ELb0ELb0ES3_N6thrust23THRUST_200600_302600_NS6detail15normal_iteratorINS9_10device_ptrItEEEESE_tNS9_4plusIvEEtEEDaPvRmT3_T4_T5_mT6_P12ihipStream_tbENKUlT_T0_E_clISt17integral_constantIbLb1EESU_EEDaSP_SQ_EUlSP_E0_NS1_11comp_targetILNS1_3genE4ELNS1_11target_archE910ELNS1_3gpuE8ELNS1_3repE0EEENS1_30default_config_static_selectorELNS0_4arch9wavefront6targetE1EEEvT1_,comdat
	.protected	_ZN7rocprim17ROCPRIM_400000_NS6detail17trampoline_kernelINS0_14default_configENS1_20scan_config_selectorItEEZZNS1_9scan_implILNS1_25lookback_scan_determinismE0ELb0ELb0ES3_N6thrust23THRUST_200600_302600_NS6detail15normal_iteratorINS9_10device_ptrItEEEESE_tNS9_4plusIvEEtEEDaPvRmT3_T4_T5_mT6_P12ihipStream_tbENKUlT_T0_E_clISt17integral_constantIbLb1EESU_EEDaSP_SQ_EUlSP_E0_NS1_11comp_targetILNS1_3genE4ELNS1_11target_archE910ELNS1_3gpuE8ELNS1_3repE0EEENS1_30default_config_static_selectorELNS0_4arch9wavefront6targetE1EEEvT1_ ; -- Begin function _ZN7rocprim17ROCPRIM_400000_NS6detail17trampoline_kernelINS0_14default_configENS1_20scan_config_selectorItEEZZNS1_9scan_implILNS1_25lookback_scan_determinismE0ELb0ELb0ES3_N6thrust23THRUST_200600_302600_NS6detail15normal_iteratorINS9_10device_ptrItEEEESE_tNS9_4plusIvEEtEEDaPvRmT3_T4_T5_mT6_P12ihipStream_tbENKUlT_T0_E_clISt17integral_constantIbLb1EESU_EEDaSP_SQ_EUlSP_E0_NS1_11comp_targetILNS1_3genE4ELNS1_11target_archE910ELNS1_3gpuE8ELNS1_3repE0EEENS1_30default_config_static_selectorELNS0_4arch9wavefront6targetE1EEEvT1_
	.globl	_ZN7rocprim17ROCPRIM_400000_NS6detail17trampoline_kernelINS0_14default_configENS1_20scan_config_selectorItEEZZNS1_9scan_implILNS1_25lookback_scan_determinismE0ELb0ELb0ES3_N6thrust23THRUST_200600_302600_NS6detail15normal_iteratorINS9_10device_ptrItEEEESE_tNS9_4plusIvEEtEEDaPvRmT3_T4_T5_mT6_P12ihipStream_tbENKUlT_T0_E_clISt17integral_constantIbLb1EESU_EEDaSP_SQ_EUlSP_E0_NS1_11comp_targetILNS1_3genE4ELNS1_11target_archE910ELNS1_3gpuE8ELNS1_3repE0EEENS1_30default_config_static_selectorELNS0_4arch9wavefront6targetE1EEEvT1_
	.p2align	8
	.type	_ZN7rocprim17ROCPRIM_400000_NS6detail17trampoline_kernelINS0_14default_configENS1_20scan_config_selectorItEEZZNS1_9scan_implILNS1_25lookback_scan_determinismE0ELb0ELb0ES3_N6thrust23THRUST_200600_302600_NS6detail15normal_iteratorINS9_10device_ptrItEEEESE_tNS9_4plusIvEEtEEDaPvRmT3_T4_T5_mT6_P12ihipStream_tbENKUlT_T0_E_clISt17integral_constantIbLb1EESU_EEDaSP_SQ_EUlSP_E0_NS1_11comp_targetILNS1_3genE4ELNS1_11target_archE910ELNS1_3gpuE8ELNS1_3repE0EEENS1_30default_config_static_selectorELNS0_4arch9wavefront6targetE1EEEvT1_,@function
_ZN7rocprim17ROCPRIM_400000_NS6detail17trampoline_kernelINS0_14default_configENS1_20scan_config_selectorItEEZZNS1_9scan_implILNS1_25lookback_scan_determinismE0ELb0ELb0ES3_N6thrust23THRUST_200600_302600_NS6detail15normal_iteratorINS9_10device_ptrItEEEESE_tNS9_4plusIvEEtEEDaPvRmT3_T4_T5_mT6_P12ihipStream_tbENKUlT_T0_E_clISt17integral_constantIbLb1EESU_EEDaSP_SQ_EUlSP_E0_NS1_11comp_targetILNS1_3genE4ELNS1_11target_archE910ELNS1_3gpuE8ELNS1_3repE0EEENS1_30default_config_static_selectorELNS0_4arch9wavefront6targetE1EEEvT1_: ; @_ZN7rocprim17ROCPRIM_400000_NS6detail17trampoline_kernelINS0_14default_configENS1_20scan_config_selectorItEEZZNS1_9scan_implILNS1_25lookback_scan_determinismE0ELb0ELb0ES3_N6thrust23THRUST_200600_302600_NS6detail15normal_iteratorINS9_10device_ptrItEEEESE_tNS9_4plusIvEEtEEDaPvRmT3_T4_T5_mT6_P12ihipStream_tbENKUlT_T0_E_clISt17integral_constantIbLb1EESU_EEDaSP_SQ_EUlSP_E0_NS1_11comp_targetILNS1_3genE4ELNS1_11target_archE910ELNS1_3gpuE8ELNS1_3repE0EEENS1_30default_config_static_selectorELNS0_4arch9wavefront6targetE1EEEvT1_
; %bb.0:
	s_load_dwordx4 s[52:55], s[4:5], 0x0
	v_mov_b32_e32 v1, 0
	v_lshlrev_b32_e32 v14, 1, v0
	s_waitcnt lgkmcnt(0)
	global_load_ushort v2, v1, s[52:53]
	v_cmp_gt_u32_e32 vcc, s54, v0
	s_waitcnt vmcnt(0)
	v_mov_b32_e32 v3, v2
	s_and_saveexec_b64 s[0:1], vcc
	s_cbranch_execz .LBB4747_2
; %bb.1:
	global_load_ushort v3, v14, s[52:53]
.LBB4747_2:
	s_or_b64 exec, exec, s[0:1]
	v_or_b32_e32 v1, 64, v0
	v_cmp_gt_u32_e64 s[0:1], s54, v1
	v_mov_b32_e32 v4, v2
	s_and_saveexec_b64 s[2:3], s[0:1]
	s_cbranch_execz .LBB4747_4
; %bb.3:
	global_load_ushort v4, v14, s[52:53] offset:128
.LBB4747_4:
	s_or_b64 exec, exec, s[2:3]
	v_or_b32_e32 v1, 0x80, v0
	v_cmp_gt_u32_e64 s[2:3], s54, v1
	v_mov_b32_e32 v5, v2
	s_and_saveexec_b64 s[6:7], s[2:3]
	s_cbranch_execz .LBB4747_6
; %bb.5:
	global_load_ushort v5, v14, s[52:53] offset:256
.LBB4747_6:
	;; [unrolled: 9-line block ×22, first 2 shown]
	s_or_b64 exec, exec, s[46:47]
	v_or_b32_e32 v1, 0x5c0, v0
	v_cmp_gt_u32_e64 s[46:47], s54, v1
	v_cmp_le_u32_e64 s[50:51], s54, v1
	s_and_saveexec_b64 s[54:55], s[50:51]
	s_xor_b64 s[50:51], exec, s[54:55]
; %bb.47:
	v_mov_b32_e32 v1, 0
; %bb.48:
	s_andn2_saveexec_b64 s[50:51], s[50:51]
	s_cbranch_execz .LBB4747_50
; %bb.49:
	global_load_ushort v2, v14, s[52:53] offset:2944
	v_mov_b32_e32 v1, 0
.LBB4747_50:
	s_or_b64 exec, exec, s[50:51]
	s_waitcnt vmcnt(0)
	ds_write_b16 v14, v3
	ds_write_b16 v14, v4 offset:128
	ds_write_b16 v14, v5 offset:256
	;; [unrolled: 1-line block ×23, first 2 shown]
	v_mad_u32_u24 v6, v0, 46, v14
	s_waitcnt lgkmcnt(0)
	; wave barrier
	s_waitcnt lgkmcnt(0)
	ds_read_b128 v[2:5], v6
	ds_read_b128 v[10:13], v6 offset:16
	ds_read_b128 v[6:9], v6 offset:32
	v_mbcnt_lo_u32_b32 v38, -1, 0
	v_mbcnt_hi_u32_b32 v38, -1, v38
	s_waitcnt lgkmcnt(2)
	v_add_u16_sdwa v15, v2, v2 dst_sel:DWORD dst_unused:UNUSED_PAD src0_sel:WORD_1 src1_sel:DWORD
	v_add_u16_e32 v16, v15, v3
	v_add_u16_sdwa v18, v16, v3 dst_sel:DWORD dst_unused:UNUSED_PAD src0_sel:DWORD src1_sel:WORD_1
	v_add_u16_e32 v20, v18, v4
	v_add_u16_sdwa v22, v20, v4 dst_sel:DWORD dst_unused:UNUSED_PAD src0_sel:DWORD src1_sel:WORD_1
	;; [unrolled: 2-line block ×3, first 2 shown]
	s_waitcnt lgkmcnt(1)
	v_add_u16_e32 v17, v28, v10
	v_add_u16_sdwa v19, v17, v10 dst_sel:DWORD dst_unused:UNUSED_PAD src0_sel:DWORD src1_sel:WORD_1
	v_add_u16_e32 v21, v19, v11
	v_add_u16_sdwa v24, v21, v11 dst_sel:DWORD dst_unused:UNUSED_PAD src0_sel:DWORD src1_sel:WORD_1
	;; [unrolled: 2-line block ×4, first 2 shown]
	s_waitcnt lgkmcnt(0)
	v_add_u16_e32 v23, v34, v6
	v_add_u16_sdwa v26, v23, v6 dst_sel:DWORD dst_unused:UNUSED_PAD src0_sel:DWORD src1_sel:WORD_1
	v_add_u16_e32 v29, v26, v7
	v_add_u16_sdwa v31, v29, v7 dst_sel:DWORD dst_unused:UNUSED_PAD src0_sel:DWORD src1_sel:WORD_1
	;; [unrolled: 2-line block ×4, first 2 shown]
	v_and_b32_e32 v39, 15, v38
	s_load_dwordx2 s[50:51], s[4:5], 0x18
	v_mov_b32_dpp v40, v37 row_shr:1 row_mask:0xf bank_mask:0xf
	v_cmp_ne_u32_e64 s[4:5], 0, v39
	v_cndmask_b32_e64 v40, 0, v40, s[4:5]
	v_add_u16_e32 v40, v40, v37
	v_cmp_lt_u32_e64 s[4:5], 1, v39
	s_waitcnt lgkmcnt(0)
	v_mov_b32_dpp v41, v40 row_shr:2 row_mask:0xf bank_mask:0xf
	v_cndmask_b32_e64 v41, 0, v41, s[4:5]
	v_add_u16_e32 v40, v40, v41
	v_cmp_lt_u32_e64 s[4:5], 3, v39
	; wave barrier
	s_nop 0
	v_mov_b32_dpp v41, v40 row_shr:4 row_mask:0xf bank_mask:0xf
	v_cndmask_b32_e64 v41, 0, v41, s[4:5]
	v_add_u16_e32 v40, v40, v41
	v_cmp_lt_u32_e64 s[4:5], 7, v39
	s_nop 0
	v_mov_b32_dpp v41, v40 row_shr:8 row_mask:0xf bank_mask:0xf
	v_cndmask_b32_e64 v39, 0, v41, s[4:5]
	v_add_u16_e32 v39, v40, v39
	v_and_b32_e32 v41, 16, v38
	v_cmp_ne_u32_e64 s[4:5], 0, v41
	v_mov_b32_dpp v40, v39 row_bcast:15 row_mask:0xf bank_mask:0xf
	v_cndmask_b32_e64 v40, 0, v40, s[4:5]
	v_add_u16_e32 v39, v39, v40
	v_cmp_lt_u32_e64 s[4:5], 31, v38
	s_nop 0
	v_mov_b32_dpp v40, v39 row_bcast:31 row_mask:0xf bank_mask:0xf
	v_cndmask_b32_e64 v40, 0, v40, s[4:5]
	v_add_u16_e32 v39, v39, v40
	v_cmp_eq_u32_e64 s[4:5], 63, v0
	s_and_saveexec_b64 s[52:53], s[4:5]
	s_cbranch_execz .LBB4747_52
; %bb.51:
	v_mov_b32_e32 v40, 0
	ds_write_b16 v40, v39
.LBB4747_52:
	s_or_b64 exec, exec, s[52:53]
	v_add_u32_e32 v40, -1, v38
	v_and_b32_e32 v41, 64, v38
	v_cmp_lt_i32_e64 s[4:5], v40, v41
	v_cndmask_b32_e64 v38, v40, v38, s[4:5]
	v_lshlrev_b32_e32 v38, 2, v38
	ds_bpermute_b32 v39, v38, v39
	v_mul_u32_u24_e32 v38, 46, v0
	v_cmp_ne_u32_e64 s[4:5], 0, v0
	s_waitcnt lgkmcnt(0)
	; wave barrier
	s_waitcnt lgkmcnt(0)
	s_and_saveexec_b64 s[52:53], s[4:5]
	s_cbranch_execz .LBB4747_54
; %bb.53:
	v_add_u16_e32 v39, v2, v39
	v_add_u16_sdwa v15, v39, v2 dst_sel:DWORD dst_unused:UNUSED_PAD src0_sel:DWORD src1_sel:WORD_1
	v_add_u16_e32 v16, v15, v3
	v_add_u16_sdwa v18, v16, v3 dst_sel:DWORD dst_unused:UNUSED_PAD src0_sel:DWORD src1_sel:WORD_1
	;; [unrolled: 2-line block ×12, first 2 shown]
	v_mov_b32_e32 v2, v39
	;;#ASMSTART
	;;#ASMEND
.LBB4747_54:
	s_or_b64 exec, exec, s[52:53]
	s_mov_b32 s4, 0x5040100
	v_add_u32_e32 v6, v14, v38
	v_perm_b32 v5, v28, v25, s4
	v_perm_b32 v4, v22, v20, s4
	v_perm_b32 v3, v18, v16, s4
	v_perm_b32 v2, v15, v2, s4
	s_waitcnt lgkmcnt(0)
	; wave barrier
	ds_write_b128 v6, v[2:5]
	v_perm_b32 v5, v34, v32, s4
	v_perm_b32 v4, v30, v27, s4
	;; [unrolled: 1-line block ×4, first 2 shown]
	ds_write_b128 v6, v[2:5] offset:16
	v_perm_b32 v5, v37, v36, s4
	v_perm_b32 v4, v35, v33, s4
	;; [unrolled: 1-line block ×4, first 2 shown]
	ds_write_b128 v6, v[2:5] offset:32
	s_waitcnt lgkmcnt(0)
	; wave barrier
	s_waitcnt lgkmcnt(0)
	ds_read_u16 v25, v14 offset:128
	ds_read_u16 v24, v14 offset:256
	;; [unrolled: 1-line block ×23, first 2 shown]
	v_lshlrev_b64 v[0:1], 1, v[0:1]
	v_mov_b32_e32 v26, s51
	v_add_co_u32_e64 v0, s[4:5], s50, v0
	v_addc_co_u32_e64 v1, s[4:5], v26, v1, s[4:5]
	s_and_saveexec_b64 s[4:5], vcc
	s_cbranch_execnz .LBB4747_79
; %bb.55:
	s_or_b64 exec, exec, s[4:5]
	s_and_saveexec_b64 s[4:5], s[0:1]
	s_cbranch_execnz .LBB4747_80
.LBB4747_56:
	s_or_b64 exec, exec, s[4:5]
	s_and_saveexec_b64 s[0:1], s[2:3]
	s_cbranch_execnz .LBB4747_81
.LBB4747_57:
	s_or_b64 exec, exec, s[0:1]
	s_and_saveexec_b64 s[0:1], s[48:49]
	s_cbranch_execnz .LBB4747_82
.LBB4747_58:
	s_or_b64 exec, exec, s[0:1]
	s_and_saveexec_b64 s[0:1], s[6:7]
	s_cbranch_execnz .LBB4747_83
.LBB4747_59:
	s_or_b64 exec, exec, s[0:1]
	s_and_saveexec_b64 s[0:1], s[8:9]
	s_cbranch_execnz .LBB4747_84
.LBB4747_60:
	s_or_b64 exec, exec, s[0:1]
	s_and_saveexec_b64 s[0:1], s[10:11]
	s_cbranch_execnz .LBB4747_85
.LBB4747_61:
	s_or_b64 exec, exec, s[0:1]
	s_and_saveexec_b64 s[0:1], s[12:13]
	s_cbranch_execnz .LBB4747_86
.LBB4747_62:
	s_or_b64 exec, exec, s[0:1]
	s_and_saveexec_b64 s[0:1], s[14:15]
	s_cbranch_execnz .LBB4747_87
.LBB4747_63:
	s_or_b64 exec, exec, s[0:1]
	s_and_saveexec_b64 s[0:1], s[16:17]
	s_cbranch_execnz .LBB4747_88
.LBB4747_64:
	s_or_b64 exec, exec, s[0:1]
	s_and_saveexec_b64 s[0:1], s[18:19]
	s_cbranch_execnz .LBB4747_89
.LBB4747_65:
	s_or_b64 exec, exec, s[0:1]
	s_and_saveexec_b64 s[0:1], s[20:21]
	s_cbranch_execnz .LBB4747_90
.LBB4747_66:
	s_or_b64 exec, exec, s[0:1]
	s_and_saveexec_b64 s[0:1], s[22:23]
	s_cbranch_execnz .LBB4747_91
.LBB4747_67:
	s_or_b64 exec, exec, s[0:1]
	s_and_saveexec_b64 s[0:1], s[24:25]
	s_cbranch_execnz .LBB4747_92
.LBB4747_68:
	s_or_b64 exec, exec, s[0:1]
	s_and_saveexec_b64 s[0:1], s[26:27]
	s_cbranch_execnz .LBB4747_93
.LBB4747_69:
	s_or_b64 exec, exec, s[0:1]
	s_and_saveexec_b64 s[0:1], s[28:29]
	s_cbranch_execnz .LBB4747_94
.LBB4747_70:
	s_or_b64 exec, exec, s[0:1]
	s_and_saveexec_b64 s[0:1], s[30:31]
	s_cbranch_execnz .LBB4747_95
.LBB4747_71:
	s_or_b64 exec, exec, s[0:1]
	s_and_saveexec_b64 s[0:1], s[34:35]
	s_cbranch_execnz .LBB4747_96
.LBB4747_72:
	s_or_b64 exec, exec, s[0:1]
	s_and_saveexec_b64 s[0:1], s[36:37]
	s_cbranch_execnz .LBB4747_97
.LBB4747_73:
	s_or_b64 exec, exec, s[0:1]
	s_and_saveexec_b64 s[0:1], s[38:39]
	s_cbranch_execnz .LBB4747_98
.LBB4747_74:
	s_or_b64 exec, exec, s[0:1]
	s_and_saveexec_b64 s[0:1], s[40:41]
	s_cbranch_execnz .LBB4747_99
.LBB4747_75:
	s_or_b64 exec, exec, s[0:1]
	s_and_saveexec_b64 s[0:1], s[42:43]
	s_cbranch_execnz .LBB4747_100
.LBB4747_76:
	s_or_b64 exec, exec, s[0:1]
	s_and_saveexec_b64 s[0:1], s[44:45]
	s_cbranch_execnz .LBB4747_101
.LBB4747_77:
	s_or_b64 exec, exec, s[0:1]
	s_and_saveexec_b64 s[0:1], s[46:47]
	s_cbranch_execnz .LBB4747_102
.LBB4747_78:
	s_endpgm
.LBB4747_79:
	ds_read_u16 v14, v14
	s_waitcnt lgkmcnt(0)
	global_store_short v[0:1], v14, off
	s_or_b64 exec, exec, s[4:5]
	s_and_saveexec_b64 s[4:5], s[0:1]
	s_cbranch_execz .LBB4747_56
.LBB4747_80:
	s_waitcnt lgkmcnt(14)
	global_store_short v[0:1], v25, off offset:128
	s_or_b64 exec, exec, s[4:5]
	s_and_saveexec_b64 s[0:1], s[2:3]
	s_cbranch_execz .LBB4747_57
.LBB4747_81:
	s_waitcnt lgkmcnt(14)
	global_store_short v[0:1], v24, off offset:256
	s_or_b64 exec, exec, s[0:1]
	s_and_saveexec_b64 s[0:1], s[48:49]
	s_cbranch_execz .LBB4747_58
.LBB4747_82:
	s_waitcnt lgkmcnt(14)
	global_store_short v[0:1], v23, off offset:384
	s_or_b64 exec, exec, s[0:1]
	s_and_saveexec_b64 s[0:1], s[6:7]
	s_cbranch_execz .LBB4747_59
.LBB4747_83:
	s_waitcnt lgkmcnt(14)
	global_store_short v[0:1], v22, off offset:512
	s_or_b64 exec, exec, s[0:1]
	s_and_saveexec_b64 s[0:1], s[8:9]
	s_cbranch_execz .LBB4747_60
.LBB4747_84:
	s_waitcnt lgkmcnt(14)
	global_store_short v[0:1], v21, off offset:640
	s_or_b64 exec, exec, s[0:1]
	s_and_saveexec_b64 s[0:1], s[10:11]
	s_cbranch_execz .LBB4747_61
.LBB4747_85:
	s_waitcnt lgkmcnt(14)
	global_store_short v[0:1], v20, off offset:768
	s_or_b64 exec, exec, s[0:1]
	s_and_saveexec_b64 s[0:1], s[12:13]
	s_cbranch_execz .LBB4747_62
.LBB4747_86:
	s_waitcnt lgkmcnt(14)
	global_store_short v[0:1], v19, off offset:896
	s_or_b64 exec, exec, s[0:1]
	s_and_saveexec_b64 s[0:1], s[14:15]
	s_cbranch_execz .LBB4747_63
.LBB4747_87:
	s_waitcnt lgkmcnt(14)
	global_store_short v[0:1], v18, off offset:1024
	s_or_b64 exec, exec, s[0:1]
	s_and_saveexec_b64 s[0:1], s[16:17]
	s_cbranch_execz .LBB4747_64
.LBB4747_88:
	s_waitcnt lgkmcnt(14)
	global_store_short v[0:1], v17, off offset:1152
	s_or_b64 exec, exec, s[0:1]
	s_and_saveexec_b64 s[0:1], s[18:19]
	s_cbranch_execz .LBB4747_65
.LBB4747_89:
	s_waitcnt lgkmcnt(13)
	global_store_short v[0:1], v16, off offset:1280
	s_or_b64 exec, exec, s[0:1]
	s_and_saveexec_b64 s[0:1], s[20:21]
	s_cbranch_execz .LBB4747_66
.LBB4747_90:
	s_waitcnt lgkmcnt(12)
	global_store_short v[0:1], v15, off offset:1408
	s_or_b64 exec, exec, s[0:1]
	s_and_saveexec_b64 s[0:1], s[22:23]
	s_cbranch_execz .LBB4747_67
.LBB4747_91:
	s_waitcnt lgkmcnt(11)
	global_store_short v[0:1], v13, off offset:1536
	s_or_b64 exec, exec, s[0:1]
	s_and_saveexec_b64 s[0:1], s[24:25]
	s_cbranch_execz .LBB4747_68
.LBB4747_92:
	s_waitcnt lgkmcnt(10)
	global_store_short v[0:1], v12, off offset:1664
	s_or_b64 exec, exec, s[0:1]
	s_and_saveexec_b64 s[0:1], s[26:27]
	s_cbranch_execz .LBB4747_69
.LBB4747_93:
	s_waitcnt lgkmcnt(9)
	global_store_short v[0:1], v11, off offset:1792
	s_or_b64 exec, exec, s[0:1]
	s_and_saveexec_b64 s[0:1], s[28:29]
	s_cbranch_execz .LBB4747_70
.LBB4747_94:
	s_waitcnt lgkmcnt(8)
	global_store_short v[0:1], v10, off offset:1920
	s_or_b64 exec, exec, s[0:1]
	s_and_saveexec_b64 s[0:1], s[30:31]
	s_cbranch_execz .LBB4747_71
.LBB4747_95:
	s_waitcnt lgkmcnt(7)
	global_store_short v[0:1], v9, off offset:2048
	s_or_b64 exec, exec, s[0:1]
	s_and_saveexec_b64 s[0:1], s[34:35]
	s_cbranch_execz .LBB4747_72
.LBB4747_96:
	s_waitcnt lgkmcnt(6)
	global_store_short v[0:1], v8, off offset:2176
	s_or_b64 exec, exec, s[0:1]
	s_and_saveexec_b64 s[0:1], s[36:37]
	s_cbranch_execz .LBB4747_73
.LBB4747_97:
	s_waitcnt lgkmcnt(5)
	global_store_short v[0:1], v7, off offset:2304
	s_or_b64 exec, exec, s[0:1]
	s_and_saveexec_b64 s[0:1], s[38:39]
	s_cbranch_execz .LBB4747_74
.LBB4747_98:
	s_waitcnt lgkmcnt(4)
	global_store_short v[0:1], v6, off offset:2432
	s_or_b64 exec, exec, s[0:1]
	s_and_saveexec_b64 s[0:1], s[40:41]
	s_cbranch_execz .LBB4747_75
.LBB4747_99:
	s_waitcnt lgkmcnt(3)
	global_store_short v[0:1], v5, off offset:2560
	s_or_b64 exec, exec, s[0:1]
	s_and_saveexec_b64 s[0:1], s[42:43]
	s_cbranch_execz .LBB4747_76
.LBB4747_100:
	s_waitcnt lgkmcnt(2)
	global_store_short v[0:1], v4, off offset:2688
	s_or_b64 exec, exec, s[0:1]
	s_and_saveexec_b64 s[0:1], s[44:45]
	s_cbranch_execz .LBB4747_77
.LBB4747_101:
	s_waitcnt lgkmcnt(1)
	global_store_short v[0:1], v3, off offset:2816
	s_or_b64 exec, exec, s[0:1]
	s_and_saveexec_b64 s[0:1], s[46:47]
	s_cbranch_execz .LBB4747_78
.LBB4747_102:
	s_waitcnt lgkmcnt(0)
	global_store_short v[0:1], v2, off offset:2944
	s_endpgm
	.section	.rodata,"a",@progbits
	.p2align	6, 0x0
	.amdhsa_kernel _ZN7rocprim17ROCPRIM_400000_NS6detail17trampoline_kernelINS0_14default_configENS1_20scan_config_selectorItEEZZNS1_9scan_implILNS1_25lookback_scan_determinismE0ELb0ELb0ES3_N6thrust23THRUST_200600_302600_NS6detail15normal_iteratorINS9_10device_ptrItEEEESE_tNS9_4plusIvEEtEEDaPvRmT3_T4_T5_mT6_P12ihipStream_tbENKUlT_T0_E_clISt17integral_constantIbLb1EESU_EEDaSP_SQ_EUlSP_E0_NS1_11comp_targetILNS1_3genE4ELNS1_11target_archE910ELNS1_3gpuE8ELNS1_3repE0EEENS1_30default_config_static_selectorELNS0_4arch9wavefront6targetE1EEEvT1_
		.amdhsa_group_segment_fixed_size 3072
		.amdhsa_private_segment_fixed_size 0
		.amdhsa_kernarg_size 32
		.amdhsa_user_sgpr_count 6
		.amdhsa_user_sgpr_private_segment_buffer 1
		.amdhsa_user_sgpr_dispatch_ptr 0
		.amdhsa_user_sgpr_queue_ptr 0
		.amdhsa_user_sgpr_kernarg_segment_ptr 1
		.amdhsa_user_sgpr_dispatch_id 0
		.amdhsa_user_sgpr_flat_scratch_init 0
		.amdhsa_user_sgpr_kernarg_preload_length 0
		.amdhsa_user_sgpr_kernarg_preload_offset 0
		.amdhsa_user_sgpr_private_segment_size 0
		.amdhsa_uses_dynamic_stack 0
		.amdhsa_system_sgpr_private_segment_wavefront_offset 0
		.amdhsa_system_sgpr_workgroup_id_x 1
		.amdhsa_system_sgpr_workgroup_id_y 0
		.amdhsa_system_sgpr_workgroup_id_z 0
		.amdhsa_system_sgpr_workgroup_info 0
		.amdhsa_system_vgpr_workitem_id 0
		.amdhsa_next_free_vgpr 42
		.amdhsa_next_free_sgpr 56
		.amdhsa_accum_offset 44
		.amdhsa_reserve_vcc 1
		.amdhsa_reserve_flat_scratch 0
		.amdhsa_float_round_mode_32 0
		.amdhsa_float_round_mode_16_64 0
		.amdhsa_float_denorm_mode_32 3
		.amdhsa_float_denorm_mode_16_64 3
		.amdhsa_dx10_clamp 1
		.amdhsa_ieee_mode 1
		.amdhsa_fp16_overflow 0
		.amdhsa_tg_split 0
		.amdhsa_exception_fp_ieee_invalid_op 0
		.amdhsa_exception_fp_denorm_src 0
		.amdhsa_exception_fp_ieee_div_zero 0
		.amdhsa_exception_fp_ieee_overflow 0
		.amdhsa_exception_fp_ieee_underflow 0
		.amdhsa_exception_fp_ieee_inexact 0
		.amdhsa_exception_int_div_zero 0
	.end_amdhsa_kernel
	.section	.text._ZN7rocprim17ROCPRIM_400000_NS6detail17trampoline_kernelINS0_14default_configENS1_20scan_config_selectorItEEZZNS1_9scan_implILNS1_25lookback_scan_determinismE0ELb0ELb0ES3_N6thrust23THRUST_200600_302600_NS6detail15normal_iteratorINS9_10device_ptrItEEEESE_tNS9_4plusIvEEtEEDaPvRmT3_T4_T5_mT6_P12ihipStream_tbENKUlT_T0_E_clISt17integral_constantIbLb1EESU_EEDaSP_SQ_EUlSP_E0_NS1_11comp_targetILNS1_3genE4ELNS1_11target_archE910ELNS1_3gpuE8ELNS1_3repE0EEENS1_30default_config_static_selectorELNS0_4arch9wavefront6targetE1EEEvT1_,"axG",@progbits,_ZN7rocprim17ROCPRIM_400000_NS6detail17trampoline_kernelINS0_14default_configENS1_20scan_config_selectorItEEZZNS1_9scan_implILNS1_25lookback_scan_determinismE0ELb0ELb0ES3_N6thrust23THRUST_200600_302600_NS6detail15normal_iteratorINS9_10device_ptrItEEEESE_tNS9_4plusIvEEtEEDaPvRmT3_T4_T5_mT6_P12ihipStream_tbENKUlT_T0_E_clISt17integral_constantIbLb1EESU_EEDaSP_SQ_EUlSP_E0_NS1_11comp_targetILNS1_3genE4ELNS1_11target_archE910ELNS1_3gpuE8ELNS1_3repE0EEENS1_30default_config_static_selectorELNS0_4arch9wavefront6targetE1EEEvT1_,comdat
.Lfunc_end4747:
	.size	_ZN7rocprim17ROCPRIM_400000_NS6detail17trampoline_kernelINS0_14default_configENS1_20scan_config_selectorItEEZZNS1_9scan_implILNS1_25lookback_scan_determinismE0ELb0ELb0ES3_N6thrust23THRUST_200600_302600_NS6detail15normal_iteratorINS9_10device_ptrItEEEESE_tNS9_4plusIvEEtEEDaPvRmT3_T4_T5_mT6_P12ihipStream_tbENKUlT_T0_E_clISt17integral_constantIbLb1EESU_EEDaSP_SQ_EUlSP_E0_NS1_11comp_targetILNS1_3genE4ELNS1_11target_archE910ELNS1_3gpuE8ELNS1_3repE0EEENS1_30default_config_static_selectorELNS0_4arch9wavefront6targetE1EEEvT1_, .Lfunc_end4747-_ZN7rocprim17ROCPRIM_400000_NS6detail17trampoline_kernelINS0_14default_configENS1_20scan_config_selectorItEEZZNS1_9scan_implILNS1_25lookback_scan_determinismE0ELb0ELb0ES3_N6thrust23THRUST_200600_302600_NS6detail15normal_iteratorINS9_10device_ptrItEEEESE_tNS9_4plusIvEEtEEDaPvRmT3_T4_T5_mT6_P12ihipStream_tbENKUlT_T0_E_clISt17integral_constantIbLb1EESU_EEDaSP_SQ_EUlSP_E0_NS1_11comp_targetILNS1_3genE4ELNS1_11target_archE910ELNS1_3gpuE8ELNS1_3repE0EEENS1_30default_config_static_selectorELNS0_4arch9wavefront6targetE1EEEvT1_
                                        ; -- End function
	.section	.AMDGPU.csdata,"",@progbits
; Kernel info:
; codeLenInByte = 3068
; NumSgprs: 60
; NumVgprs: 42
; NumAgprs: 0
; TotalNumVgprs: 42
; ScratchSize: 0
; MemoryBound: 0
; FloatMode: 240
; IeeeMode: 1
; LDSByteSize: 3072 bytes/workgroup (compile time only)
; SGPRBlocks: 7
; VGPRBlocks: 5
; NumSGPRsForWavesPerEU: 60
; NumVGPRsForWavesPerEU: 42
; AccumOffset: 44
; Occupancy: 6
; WaveLimiterHint : 0
; COMPUTE_PGM_RSRC2:SCRATCH_EN: 0
; COMPUTE_PGM_RSRC2:USER_SGPR: 6
; COMPUTE_PGM_RSRC2:TRAP_HANDLER: 0
; COMPUTE_PGM_RSRC2:TGID_X_EN: 1
; COMPUTE_PGM_RSRC2:TGID_Y_EN: 0
; COMPUTE_PGM_RSRC2:TGID_Z_EN: 0
; COMPUTE_PGM_RSRC2:TIDIG_COMP_CNT: 0
; COMPUTE_PGM_RSRC3_GFX90A:ACCUM_OFFSET: 10
; COMPUTE_PGM_RSRC3_GFX90A:TG_SPLIT: 0
	.section	.text._ZN7rocprim17ROCPRIM_400000_NS6detail17trampoline_kernelINS0_14default_configENS1_20scan_config_selectorItEEZZNS1_9scan_implILNS1_25lookback_scan_determinismE0ELb0ELb0ES3_N6thrust23THRUST_200600_302600_NS6detail15normal_iteratorINS9_10device_ptrItEEEESE_tNS9_4plusIvEEtEEDaPvRmT3_T4_T5_mT6_P12ihipStream_tbENKUlT_T0_E_clISt17integral_constantIbLb1EESU_EEDaSP_SQ_EUlSP_E0_NS1_11comp_targetILNS1_3genE3ELNS1_11target_archE908ELNS1_3gpuE7ELNS1_3repE0EEENS1_30default_config_static_selectorELNS0_4arch9wavefront6targetE1EEEvT1_,"axG",@progbits,_ZN7rocprim17ROCPRIM_400000_NS6detail17trampoline_kernelINS0_14default_configENS1_20scan_config_selectorItEEZZNS1_9scan_implILNS1_25lookback_scan_determinismE0ELb0ELb0ES3_N6thrust23THRUST_200600_302600_NS6detail15normal_iteratorINS9_10device_ptrItEEEESE_tNS9_4plusIvEEtEEDaPvRmT3_T4_T5_mT6_P12ihipStream_tbENKUlT_T0_E_clISt17integral_constantIbLb1EESU_EEDaSP_SQ_EUlSP_E0_NS1_11comp_targetILNS1_3genE3ELNS1_11target_archE908ELNS1_3gpuE7ELNS1_3repE0EEENS1_30default_config_static_selectorELNS0_4arch9wavefront6targetE1EEEvT1_,comdat
	.protected	_ZN7rocprim17ROCPRIM_400000_NS6detail17trampoline_kernelINS0_14default_configENS1_20scan_config_selectorItEEZZNS1_9scan_implILNS1_25lookback_scan_determinismE0ELb0ELb0ES3_N6thrust23THRUST_200600_302600_NS6detail15normal_iteratorINS9_10device_ptrItEEEESE_tNS9_4plusIvEEtEEDaPvRmT3_T4_T5_mT6_P12ihipStream_tbENKUlT_T0_E_clISt17integral_constantIbLb1EESU_EEDaSP_SQ_EUlSP_E0_NS1_11comp_targetILNS1_3genE3ELNS1_11target_archE908ELNS1_3gpuE7ELNS1_3repE0EEENS1_30default_config_static_selectorELNS0_4arch9wavefront6targetE1EEEvT1_ ; -- Begin function _ZN7rocprim17ROCPRIM_400000_NS6detail17trampoline_kernelINS0_14default_configENS1_20scan_config_selectorItEEZZNS1_9scan_implILNS1_25lookback_scan_determinismE0ELb0ELb0ES3_N6thrust23THRUST_200600_302600_NS6detail15normal_iteratorINS9_10device_ptrItEEEESE_tNS9_4plusIvEEtEEDaPvRmT3_T4_T5_mT6_P12ihipStream_tbENKUlT_T0_E_clISt17integral_constantIbLb1EESU_EEDaSP_SQ_EUlSP_E0_NS1_11comp_targetILNS1_3genE3ELNS1_11target_archE908ELNS1_3gpuE7ELNS1_3repE0EEENS1_30default_config_static_selectorELNS0_4arch9wavefront6targetE1EEEvT1_
	.globl	_ZN7rocprim17ROCPRIM_400000_NS6detail17trampoline_kernelINS0_14default_configENS1_20scan_config_selectorItEEZZNS1_9scan_implILNS1_25lookback_scan_determinismE0ELb0ELb0ES3_N6thrust23THRUST_200600_302600_NS6detail15normal_iteratorINS9_10device_ptrItEEEESE_tNS9_4plusIvEEtEEDaPvRmT3_T4_T5_mT6_P12ihipStream_tbENKUlT_T0_E_clISt17integral_constantIbLb1EESU_EEDaSP_SQ_EUlSP_E0_NS1_11comp_targetILNS1_3genE3ELNS1_11target_archE908ELNS1_3gpuE7ELNS1_3repE0EEENS1_30default_config_static_selectorELNS0_4arch9wavefront6targetE1EEEvT1_
	.p2align	8
	.type	_ZN7rocprim17ROCPRIM_400000_NS6detail17trampoline_kernelINS0_14default_configENS1_20scan_config_selectorItEEZZNS1_9scan_implILNS1_25lookback_scan_determinismE0ELb0ELb0ES3_N6thrust23THRUST_200600_302600_NS6detail15normal_iteratorINS9_10device_ptrItEEEESE_tNS9_4plusIvEEtEEDaPvRmT3_T4_T5_mT6_P12ihipStream_tbENKUlT_T0_E_clISt17integral_constantIbLb1EESU_EEDaSP_SQ_EUlSP_E0_NS1_11comp_targetILNS1_3genE3ELNS1_11target_archE908ELNS1_3gpuE7ELNS1_3repE0EEENS1_30default_config_static_selectorELNS0_4arch9wavefront6targetE1EEEvT1_,@function
_ZN7rocprim17ROCPRIM_400000_NS6detail17trampoline_kernelINS0_14default_configENS1_20scan_config_selectorItEEZZNS1_9scan_implILNS1_25lookback_scan_determinismE0ELb0ELb0ES3_N6thrust23THRUST_200600_302600_NS6detail15normal_iteratorINS9_10device_ptrItEEEESE_tNS9_4plusIvEEtEEDaPvRmT3_T4_T5_mT6_P12ihipStream_tbENKUlT_T0_E_clISt17integral_constantIbLb1EESU_EEDaSP_SQ_EUlSP_E0_NS1_11comp_targetILNS1_3genE3ELNS1_11target_archE908ELNS1_3gpuE7ELNS1_3repE0EEENS1_30default_config_static_selectorELNS0_4arch9wavefront6targetE1EEEvT1_: ; @_ZN7rocprim17ROCPRIM_400000_NS6detail17trampoline_kernelINS0_14default_configENS1_20scan_config_selectorItEEZZNS1_9scan_implILNS1_25lookback_scan_determinismE0ELb0ELb0ES3_N6thrust23THRUST_200600_302600_NS6detail15normal_iteratorINS9_10device_ptrItEEEESE_tNS9_4plusIvEEtEEDaPvRmT3_T4_T5_mT6_P12ihipStream_tbENKUlT_T0_E_clISt17integral_constantIbLb1EESU_EEDaSP_SQ_EUlSP_E0_NS1_11comp_targetILNS1_3genE3ELNS1_11target_archE908ELNS1_3gpuE7ELNS1_3repE0EEENS1_30default_config_static_selectorELNS0_4arch9wavefront6targetE1EEEvT1_
; %bb.0:
	.section	.rodata,"a",@progbits
	.p2align	6, 0x0
	.amdhsa_kernel _ZN7rocprim17ROCPRIM_400000_NS6detail17trampoline_kernelINS0_14default_configENS1_20scan_config_selectorItEEZZNS1_9scan_implILNS1_25lookback_scan_determinismE0ELb0ELb0ES3_N6thrust23THRUST_200600_302600_NS6detail15normal_iteratorINS9_10device_ptrItEEEESE_tNS9_4plusIvEEtEEDaPvRmT3_T4_T5_mT6_P12ihipStream_tbENKUlT_T0_E_clISt17integral_constantIbLb1EESU_EEDaSP_SQ_EUlSP_E0_NS1_11comp_targetILNS1_3genE3ELNS1_11target_archE908ELNS1_3gpuE7ELNS1_3repE0EEENS1_30default_config_static_selectorELNS0_4arch9wavefront6targetE1EEEvT1_
		.amdhsa_group_segment_fixed_size 0
		.amdhsa_private_segment_fixed_size 0
		.amdhsa_kernarg_size 32
		.amdhsa_user_sgpr_count 6
		.amdhsa_user_sgpr_private_segment_buffer 1
		.amdhsa_user_sgpr_dispatch_ptr 0
		.amdhsa_user_sgpr_queue_ptr 0
		.amdhsa_user_sgpr_kernarg_segment_ptr 1
		.amdhsa_user_sgpr_dispatch_id 0
		.amdhsa_user_sgpr_flat_scratch_init 0
		.amdhsa_user_sgpr_kernarg_preload_length 0
		.amdhsa_user_sgpr_kernarg_preload_offset 0
		.amdhsa_user_sgpr_private_segment_size 0
		.amdhsa_uses_dynamic_stack 0
		.amdhsa_system_sgpr_private_segment_wavefront_offset 0
		.amdhsa_system_sgpr_workgroup_id_x 1
		.amdhsa_system_sgpr_workgroup_id_y 0
		.amdhsa_system_sgpr_workgroup_id_z 0
		.amdhsa_system_sgpr_workgroup_info 0
		.amdhsa_system_vgpr_workitem_id 0
		.amdhsa_next_free_vgpr 1
		.amdhsa_next_free_sgpr 0
		.amdhsa_accum_offset 4
		.amdhsa_reserve_vcc 0
		.amdhsa_reserve_flat_scratch 0
		.amdhsa_float_round_mode_32 0
		.amdhsa_float_round_mode_16_64 0
		.amdhsa_float_denorm_mode_32 3
		.amdhsa_float_denorm_mode_16_64 3
		.amdhsa_dx10_clamp 1
		.amdhsa_ieee_mode 1
		.amdhsa_fp16_overflow 0
		.amdhsa_tg_split 0
		.amdhsa_exception_fp_ieee_invalid_op 0
		.amdhsa_exception_fp_denorm_src 0
		.amdhsa_exception_fp_ieee_div_zero 0
		.amdhsa_exception_fp_ieee_overflow 0
		.amdhsa_exception_fp_ieee_underflow 0
		.amdhsa_exception_fp_ieee_inexact 0
		.amdhsa_exception_int_div_zero 0
	.end_amdhsa_kernel
	.section	.text._ZN7rocprim17ROCPRIM_400000_NS6detail17trampoline_kernelINS0_14default_configENS1_20scan_config_selectorItEEZZNS1_9scan_implILNS1_25lookback_scan_determinismE0ELb0ELb0ES3_N6thrust23THRUST_200600_302600_NS6detail15normal_iteratorINS9_10device_ptrItEEEESE_tNS9_4plusIvEEtEEDaPvRmT3_T4_T5_mT6_P12ihipStream_tbENKUlT_T0_E_clISt17integral_constantIbLb1EESU_EEDaSP_SQ_EUlSP_E0_NS1_11comp_targetILNS1_3genE3ELNS1_11target_archE908ELNS1_3gpuE7ELNS1_3repE0EEENS1_30default_config_static_selectorELNS0_4arch9wavefront6targetE1EEEvT1_,"axG",@progbits,_ZN7rocprim17ROCPRIM_400000_NS6detail17trampoline_kernelINS0_14default_configENS1_20scan_config_selectorItEEZZNS1_9scan_implILNS1_25lookback_scan_determinismE0ELb0ELb0ES3_N6thrust23THRUST_200600_302600_NS6detail15normal_iteratorINS9_10device_ptrItEEEESE_tNS9_4plusIvEEtEEDaPvRmT3_T4_T5_mT6_P12ihipStream_tbENKUlT_T0_E_clISt17integral_constantIbLb1EESU_EEDaSP_SQ_EUlSP_E0_NS1_11comp_targetILNS1_3genE3ELNS1_11target_archE908ELNS1_3gpuE7ELNS1_3repE0EEENS1_30default_config_static_selectorELNS0_4arch9wavefront6targetE1EEEvT1_,comdat
.Lfunc_end4748:
	.size	_ZN7rocprim17ROCPRIM_400000_NS6detail17trampoline_kernelINS0_14default_configENS1_20scan_config_selectorItEEZZNS1_9scan_implILNS1_25lookback_scan_determinismE0ELb0ELb0ES3_N6thrust23THRUST_200600_302600_NS6detail15normal_iteratorINS9_10device_ptrItEEEESE_tNS9_4plusIvEEtEEDaPvRmT3_T4_T5_mT6_P12ihipStream_tbENKUlT_T0_E_clISt17integral_constantIbLb1EESU_EEDaSP_SQ_EUlSP_E0_NS1_11comp_targetILNS1_3genE3ELNS1_11target_archE908ELNS1_3gpuE7ELNS1_3repE0EEENS1_30default_config_static_selectorELNS0_4arch9wavefront6targetE1EEEvT1_, .Lfunc_end4748-_ZN7rocprim17ROCPRIM_400000_NS6detail17trampoline_kernelINS0_14default_configENS1_20scan_config_selectorItEEZZNS1_9scan_implILNS1_25lookback_scan_determinismE0ELb0ELb0ES3_N6thrust23THRUST_200600_302600_NS6detail15normal_iteratorINS9_10device_ptrItEEEESE_tNS9_4plusIvEEtEEDaPvRmT3_T4_T5_mT6_P12ihipStream_tbENKUlT_T0_E_clISt17integral_constantIbLb1EESU_EEDaSP_SQ_EUlSP_E0_NS1_11comp_targetILNS1_3genE3ELNS1_11target_archE908ELNS1_3gpuE7ELNS1_3repE0EEENS1_30default_config_static_selectorELNS0_4arch9wavefront6targetE1EEEvT1_
                                        ; -- End function
	.section	.AMDGPU.csdata,"",@progbits
; Kernel info:
; codeLenInByte = 0
; NumSgprs: 4
; NumVgprs: 0
; NumAgprs: 0
; TotalNumVgprs: 0
; ScratchSize: 0
; MemoryBound: 0
; FloatMode: 240
; IeeeMode: 1
; LDSByteSize: 0 bytes/workgroup (compile time only)
; SGPRBlocks: 0
; VGPRBlocks: 0
; NumSGPRsForWavesPerEU: 4
; NumVGPRsForWavesPerEU: 1
; AccumOffset: 4
; Occupancy: 8
; WaveLimiterHint : 0
; COMPUTE_PGM_RSRC2:SCRATCH_EN: 0
; COMPUTE_PGM_RSRC2:USER_SGPR: 6
; COMPUTE_PGM_RSRC2:TRAP_HANDLER: 0
; COMPUTE_PGM_RSRC2:TGID_X_EN: 1
; COMPUTE_PGM_RSRC2:TGID_Y_EN: 0
; COMPUTE_PGM_RSRC2:TGID_Z_EN: 0
; COMPUTE_PGM_RSRC2:TIDIG_COMP_CNT: 0
; COMPUTE_PGM_RSRC3_GFX90A:ACCUM_OFFSET: 0
; COMPUTE_PGM_RSRC3_GFX90A:TG_SPLIT: 0
	.section	.text._ZN7rocprim17ROCPRIM_400000_NS6detail17trampoline_kernelINS0_14default_configENS1_20scan_config_selectorItEEZZNS1_9scan_implILNS1_25lookback_scan_determinismE0ELb0ELb0ES3_N6thrust23THRUST_200600_302600_NS6detail15normal_iteratorINS9_10device_ptrItEEEESE_tNS9_4plusIvEEtEEDaPvRmT3_T4_T5_mT6_P12ihipStream_tbENKUlT_T0_E_clISt17integral_constantIbLb1EESU_EEDaSP_SQ_EUlSP_E0_NS1_11comp_targetILNS1_3genE2ELNS1_11target_archE906ELNS1_3gpuE6ELNS1_3repE0EEENS1_30default_config_static_selectorELNS0_4arch9wavefront6targetE1EEEvT1_,"axG",@progbits,_ZN7rocprim17ROCPRIM_400000_NS6detail17trampoline_kernelINS0_14default_configENS1_20scan_config_selectorItEEZZNS1_9scan_implILNS1_25lookback_scan_determinismE0ELb0ELb0ES3_N6thrust23THRUST_200600_302600_NS6detail15normal_iteratorINS9_10device_ptrItEEEESE_tNS9_4plusIvEEtEEDaPvRmT3_T4_T5_mT6_P12ihipStream_tbENKUlT_T0_E_clISt17integral_constantIbLb1EESU_EEDaSP_SQ_EUlSP_E0_NS1_11comp_targetILNS1_3genE2ELNS1_11target_archE906ELNS1_3gpuE6ELNS1_3repE0EEENS1_30default_config_static_selectorELNS0_4arch9wavefront6targetE1EEEvT1_,comdat
	.protected	_ZN7rocprim17ROCPRIM_400000_NS6detail17trampoline_kernelINS0_14default_configENS1_20scan_config_selectorItEEZZNS1_9scan_implILNS1_25lookback_scan_determinismE0ELb0ELb0ES3_N6thrust23THRUST_200600_302600_NS6detail15normal_iteratorINS9_10device_ptrItEEEESE_tNS9_4plusIvEEtEEDaPvRmT3_T4_T5_mT6_P12ihipStream_tbENKUlT_T0_E_clISt17integral_constantIbLb1EESU_EEDaSP_SQ_EUlSP_E0_NS1_11comp_targetILNS1_3genE2ELNS1_11target_archE906ELNS1_3gpuE6ELNS1_3repE0EEENS1_30default_config_static_selectorELNS0_4arch9wavefront6targetE1EEEvT1_ ; -- Begin function _ZN7rocprim17ROCPRIM_400000_NS6detail17trampoline_kernelINS0_14default_configENS1_20scan_config_selectorItEEZZNS1_9scan_implILNS1_25lookback_scan_determinismE0ELb0ELb0ES3_N6thrust23THRUST_200600_302600_NS6detail15normal_iteratorINS9_10device_ptrItEEEESE_tNS9_4plusIvEEtEEDaPvRmT3_T4_T5_mT6_P12ihipStream_tbENKUlT_T0_E_clISt17integral_constantIbLb1EESU_EEDaSP_SQ_EUlSP_E0_NS1_11comp_targetILNS1_3genE2ELNS1_11target_archE906ELNS1_3gpuE6ELNS1_3repE0EEENS1_30default_config_static_selectorELNS0_4arch9wavefront6targetE1EEEvT1_
	.globl	_ZN7rocprim17ROCPRIM_400000_NS6detail17trampoline_kernelINS0_14default_configENS1_20scan_config_selectorItEEZZNS1_9scan_implILNS1_25lookback_scan_determinismE0ELb0ELb0ES3_N6thrust23THRUST_200600_302600_NS6detail15normal_iteratorINS9_10device_ptrItEEEESE_tNS9_4plusIvEEtEEDaPvRmT3_T4_T5_mT6_P12ihipStream_tbENKUlT_T0_E_clISt17integral_constantIbLb1EESU_EEDaSP_SQ_EUlSP_E0_NS1_11comp_targetILNS1_3genE2ELNS1_11target_archE906ELNS1_3gpuE6ELNS1_3repE0EEENS1_30default_config_static_selectorELNS0_4arch9wavefront6targetE1EEEvT1_
	.p2align	8
	.type	_ZN7rocprim17ROCPRIM_400000_NS6detail17trampoline_kernelINS0_14default_configENS1_20scan_config_selectorItEEZZNS1_9scan_implILNS1_25lookback_scan_determinismE0ELb0ELb0ES3_N6thrust23THRUST_200600_302600_NS6detail15normal_iteratorINS9_10device_ptrItEEEESE_tNS9_4plusIvEEtEEDaPvRmT3_T4_T5_mT6_P12ihipStream_tbENKUlT_T0_E_clISt17integral_constantIbLb1EESU_EEDaSP_SQ_EUlSP_E0_NS1_11comp_targetILNS1_3genE2ELNS1_11target_archE906ELNS1_3gpuE6ELNS1_3repE0EEENS1_30default_config_static_selectorELNS0_4arch9wavefront6targetE1EEEvT1_,@function
_ZN7rocprim17ROCPRIM_400000_NS6detail17trampoline_kernelINS0_14default_configENS1_20scan_config_selectorItEEZZNS1_9scan_implILNS1_25lookback_scan_determinismE0ELb0ELb0ES3_N6thrust23THRUST_200600_302600_NS6detail15normal_iteratorINS9_10device_ptrItEEEESE_tNS9_4plusIvEEtEEDaPvRmT3_T4_T5_mT6_P12ihipStream_tbENKUlT_T0_E_clISt17integral_constantIbLb1EESU_EEDaSP_SQ_EUlSP_E0_NS1_11comp_targetILNS1_3genE2ELNS1_11target_archE906ELNS1_3gpuE6ELNS1_3repE0EEENS1_30default_config_static_selectorELNS0_4arch9wavefront6targetE1EEEvT1_: ; @_ZN7rocprim17ROCPRIM_400000_NS6detail17trampoline_kernelINS0_14default_configENS1_20scan_config_selectorItEEZZNS1_9scan_implILNS1_25lookback_scan_determinismE0ELb0ELb0ES3_N6thrust23THRUST_200600_302600_NS6detail15normal_iteratorINS9_10device_ptrItEEEESE_tNS9_4plusIvEEtEEDaPvRmT3_T4_T5_mT6_P12ihipStream_tbENKUlT_T0_E_clISt17integral_constantIbLb1EESU_EEDaSP_SQ_EUlSP_E0_NS1_11comp_targetILNS1_3genE2ELNS1_11target_archE906ELNS1_3gpuE6ELNS1_3repE0EEENS1_30default_config_static_selectorELNS0_4arch9wavefront6targetE1EEEvT1_
; %bb.0:
	.section	.rodata,"a",@progbits
	.p2align	6, 0x0
	.amdhsa_kernel _ZN7rocprim17ROCPRIM_400000_NS6detail17trampoline_kernelINS0_14default_configENS1_20scan_config_selectorItEEZZNS1_9scan_implILNS1_25lookback_scan_determinismE0ELb0ELb0ES3_N6thrust23THRUST_200600_302600_NS6detail15normal_iteratorINS9_10device_ptrItEEEESE_tNS9_4plusIvEEtEEDaPvRmT3_T4_T5_mT6_P12ihipStream_tbENKUlT_T0_E_clISt17integral_constantIbLb1EESU_EEDaSP_SQ_EUlSP_E0_NS1_11comp_targetILNS1_3genE2ELNS1_11target_archE906ELNS1_3gpuE6ELNS1_3repE0EEENS1_30default_config_static_selectorELNS0_4arch9wavefront6targetE1EEEvT1_
		.amdhsa_group_segment_fixed_size 0
		.amdhsa_private_segment_fixed_size 0
		.amdhsa_kernarg_size 32
		.amdhsa_user_sgpr_count 6
		.amdhsa_user_sgpr_private_segment_buffer 1
		.amdhsa_user_sgpr_dispatch_ptr 0
		.amdhsa_user_sgpr_queue_ptr 0
		.amdhsa_user_sgpr_kernarg_segment_ptr 1
		.amdhsa_user_sgpr_dispatch_id 0
		.amdhsa_user_sgpr_flat_scratch_init 0
		.amdhsa_user_sgpr_kernarg_preload_length 0
		.amdhsa_user_sgpr_kernarg_preload_offset 0
		.amdhsa_user_sgpr_private_segment_size 0
		.amdhsa_uses_dynamic_stack 0
		.amdhsa_system_sgpr_private_segment_wavefront_offset 0
		.amdhsa_system_sgpr_workgroup_id_x 1
		.amdhsa_system_sgpr_workgroup_id_y 0
		.amdhsa_system_sgpr_workgroup_id_z 0
		.amdhsa_system_sgpr_workgroup_info 0
		.amdhsa_system_vgpr_workitem_id 0
		.amdhsa_next_free_vgpr 1
		.amdhsa_next_free_sgpr 0
		.amdhsa_accum_offset 4
		.amdhsa_reserve_vcc 0
		.amdhsa_reserve_flat_scratch 0
		.amdhsa_float_round_mode_32 0
		.amdhsa_float_round_mode_16_64 0
		.amdhsa_float_denorm_mode_32 3
		.amdhsa_float_denorm_mode_16_64 3
		.amdhsa_dx10_clamp 1
		.amdhsa_ieee_mode 1
		.amdhsa_fp16_overflow 0
		.amdhsa_tg_split 0
		.amdhsa_exception_fp_ieee_invalid_op 0
		.amdhsa_exception_fp_denorm_src 0
		.amdhsa_exception_fp_ieee_div_zero 0
		.amdhsa_exception_fp_ieee_overflow 0
		.amdhsa_exception_fp_ieee_underflow 0
		.amdhsa_exception_fp_ieee_inexact 0
		.amdhsa_exception_int_div_zero 0
	.end_amdhsa_kernel
	.section	.text._ZN7rocprim17ROCPRIM_400000_NS6detail17trampoline_kernelINS0_14default_configENS1_20scan_config_selectorItEEZZNS1_9scan_implILNS1_25lookback_scan_determinismE0ELb0ELb0ES3_N6thrust23THRUST_200600_302600_NS6detail15normal_iteratorINS9_10device_ptrItEEEESE_tNS9_4plusIvEEtEEDaPvRmT3_T4_T5_mT6_P12ihipStream_tbENKUlT_T0_E_clISt17integral_constantIbLb1EESU_EEDaSP_SQ_EUlSP_E0_NS1_11comp_targetILNS1_3genE2ELNS1_11target_archE906ELNS1_3gpuE6ELNS1_3repE0EEENS1_30default_config_static_selectorELNS0_4arch9wavefront6targetE1EEEvT1_,"axG",@progbits,_ZN7rocprim17ROCPRIM_400000_NS6detail17trampoline_kernelINS0_14default_configENS1_20scan_config_selectorItEEZZNS1_9scan_implILNS1_25lookback_scan_determinismE0ELb0ELb0ES3_N6thrust23THRUST_200600_302600_NS6detail15normal_iteratorINS9_10device_ptrItEEEESE_tNS9_4plusIvEEtEEDaPvRmT3_T4_T5_mT6_P12ihipStream_tbENKUlT_T0_E_clISt17integral_constantIbLb1EESU_EEDaSP_SQ_EUlSP_E0_NS1_11comp_targetILNS1_3genE2ELNS1_11target_archE906ELNS1_3gpuE6ELNS1_3repE0EEENS1_30default_config_static_selectorELNS0_4arch9wavefront6targetE1EEEvT1_,comdat
.Lfunc_end4749:
	.size	_ZN7rocprim17ROCPRIM_400000_NS6detail17trampoline_kernelINS0_14default_configENS1_20scan_config_selectorItEEZZNS1_9scan_implILNS1_25lookback_scan_determinismE0ELb0ELb0ES3_N6thrust23THRUST_200600_302600_NS6detail15normal_iteratorINS9_10device_ptrItEEEESE_tNS9_4plusIvEEtEEDaPvRmT3_T4_T5_mT6_P12ihipStream_tbENKUlT_T0_E_clISt17integral_constantIbLb1EESU_EEDaSP_SQ_EUlSP_E0_NS1_11comp_targetILNS1_3genE2ELNS1_11target_archE906ELNS1_3gpuE6ELNS1_3repE0EEENS1_30default_config_static_selectorELNS0_4arch9wavefront6targetE1EEEvT1_, .Lfunc_end4749-_ZN7rocprim17ROCPRIM_400000_NS6detail17trampoline_kernelINS0_14default_configENS1_20scan_config_selectorItEEZZNS1_9scan_implILNS1_25lookback_scan_determinismE0ELb0ELb0ES3_N6thrust23THRUST_200600_302600_NS6detail15normal_iteratorINS9_10device_ptrItEEEESE_tNS9_4plusIvEEtEEDaPvRmT3_T4_T5_mT6_P12ihipStream_tbENKUlT_T0_E_clISt17integral_constantIbLb1EESU_EEDaSP_SQ_EUlSP_E0_NS1_11comp_targetILNS1_3genE2ELNS1_11target_archE906ELNS1_3gpuE6ELNS1_3repE0EEENS1_30default_config_static_selectorELNS0_4arch9wavefront6targetE1EEEvT1_
                                        ; -- End function
	.section	.AMDGPU.csdata,"",@progbits
; Kernel info:
; codeLenInByte = 0
; NumSgprs: 4
; NumVgprs: 0
; NumAgprs: 0
; TotalNumVgprs: 0
; ScratchSize: 0
; MemoryBound: 0
; FloatMode: 240
; IeeeMode: 1
; LDSByteSize: 0 bytes/workgroup (compile time only)
; SGPRBlocks: 0
; VGPRBlocks: 0
; NumSGPRsForWavesPerEU: 4
; NumVGPRsForWavesPerEU: 1
; AccumOffset: 4
; Occupancy: 8
; WaveLimiterHint : 0
; COMPUTE_PGM_RSRC2:SCRATCH_EN: 0
; COMPUTE_PGM_RSRC2:USER_SGPR: 6
; COMPUTE_PGM_RSRC2:TRAP_HANDLER: 0
; COMPUTE_PGM_RSRC2:TGID_X_EN: 1
; COMPUTE_PGM_RSRC2:TGID_Y_EN: 0
; COMPUTE_PGM_RSRC2:TGID_Z_EN: 0
; COMPUTE_PGM_RSRC2:TIDIG_COMP_CNT: 0
; COMPUTE_PGM_RSRC3_GFX90A:ACCUM_OFFSET: 0
; COMPUTE_PGM_RSRC3_GFX90A:TG_SPLIT: 0
	.section	.text._ZN7rocprim17ROCPRIM_400000_NS6detail17trampoline_kernelINS0_14default_configENS1_20scan_config_selectorItEEZZNS1_9scan_implILNS1_25lookback_scan_determinismE0ELb0ELb0ES3_N6thrust23THRUST_200600_302600_NS6detail15normal_iteratorINS9_10device_ptrItEEEESE_tNS9_4plusIvEEtEEDaPvRmT3_T4_T5_mT6_P12ihipStream_tbENKUlT_T0_E_clISt17integral_constantIbLb1EESU_EEDaSP_SQ_EUlSP_E0_NS1_11comp_targetILNS1_3genE10ELNS1_11target_archE1201ELNS1_3gpuE5ELNS1_3repE0EEENS1_30default_config_static_selectorELNS0_4arch9wavefront6targetE1EEEvT1_,"axG",@progbits,_ZN7rocprim17ROCPRIM_400000_NS6detail17trampoline_kernelINS0_14default_configENS1_20scan_config_selectorItEEZZNS1_9scan_implILNS1_25lookback_scan_determinismE0ELb0ELb0ES3_N6thrust23THRUST_200600_302600_NS6detail15normal_iteratorINS9_10device_ptrItEEEESE_tNS9_4plusIvEEtEEDaPvRmT3_T4_T5_mT6_P12ihipStream_tbENKUlT_T0_E_clISt17integral_constantIbLb1EESU_EEDaSP_SQ_EUlSP_E0_NS1_11comp_targetILNS1_3genE10ELNS1_11target_archE1201ELNS1_3gpuE5ELNS1_3repE0EEENS1_30default_config_static_selectorELNS0_4arch9wavefront6targetE1EEEvT1_,comdat
	.protected	_ZN7rocprim17ROCPRIM_400000_NS6detail17trampoline_kernelINS0_14default_configENS1_20scan_config_selectorItEEZZNS1_9scan_implILNS1_25lookback_scan_determinismE0ELb0ELb0ES3_N6thrust23THRUST_200600_302600_NS6detail15normal_iteratorINS9_10device_ptrItEEEESE_tNS9_4plusIvEEtEEDaPvRmT3_T4_T5_mT6_P12ihipStream_tbENKUlT_T0_E_clISt17integral_constantIbLb1EESU_EEDaSP_SQ_EUlSP_E0_NS1_11comp_targetILNS1_3genE10ELNS1_11target_archE1201ELNS1_3gpuE5ELNS1_3repE0EEENS1_30default_config_static_selectorELNS0_4arch9wavefront6targetE1EEEvT1_ ; -- Begin function _ZN7rocprim17ROCPRIM_400000_NS6detail17trampoline_kernelINS0_14default_configENS1_20scan_config_selectorItEEZZNS1_9scan_implILNS1_25lookback_scan_determinismE0ELb0ELb0ES3_N6thrust23THRUST_200600_302600_NS6detail15normal_iteratorINS9_10device_ptrItEEEESE_tNS9_4plusIvEEtEEDaPvRmT3_T4_T5_mT6_P12ihipStream_tbENKUlT_T0_E_clISt17integral_constantIbLb1EESU_EEDaSP_SQ_EUlSP_E0_NS1_11comp_targetILNS1_3genE10ELNS1_11target_archE1201ELNS1_3gpuE5ELNS1_3repE0EEENS1_30default_config_static_selectorELNS0_4arch9wavefront6targetE1EEEvT1_
	.globl	_ZN7rocprim17ROCPRIM_400000_NS6detail17trampoline_kernelINS0_14default_configENS1_20scan_config_selectorItEEZZNS1_9scan_implILNS1_25lookback_scan_determinismE0ELb0ELb0ES3_N6thrust23THRUST_200600_302600_NS6detail15normal_iteratorINS9_10device_ptrItEEEESE_tNS9_4plusIvEEtEEDaPvRmT3_T4_T5_mT6_P12ihipStream_tbENKUlT_T0_E_clISt17integral_constantIbLb1EESU_EEDaSP_SQ_EUlSP_E0_NS1_11comp_targetILNS1_3genE10ELNS1_11target_archE1201ELNS1_3gpuE5ELNS1_3repE0EEENS1_30default_config_static_selectorELNS0_4arch9wavefront6targetE1EEEvT1_
	.p2align	8
	.type	_ZN7rocprim17ROCPRIM_400000_NS6detail17trampoline_kernelINS0_14default_configENS1_20scan_config_selectorItEEZZNS1_9scan_implILNS1_25lookback_scan_determinismE0ELb0ELb0ES3_N6thrust23THRUST_200600_302600_NS6detail15normal_iteratorINS9_10device_ptrItEEEESE_tNS9_4plusIvEEtEEDaPvRmT3_T4_T5_mT6_P12ihipStream_tbENKUlT_T0_E_clISt17integral_constantIbLb1EESU_EEDaSP_SQ_EUlSP_E0_NS1_11comp_targetILNS1_3genE10ELNS1_11target_archE1201ELNS1_3gpuE5ELNS1_3repE0EEENS1_30default_config_static_selectorELNS0_4arch9wavefront6targetE1EEEvT1_,@function
_ZN7rocprim17ROCPRIM_400000_NS6detail17trampoline_kernelINS0_14default_configENS1_20scan_config_selectorItEEZZNS1_9scan_implILNS1_25lookback_scan_determinismE0ELb0ELb0ES3_N6thrust23THRUST_200600_302600_NS6detail15normal_iteratorINS9_10device_ptrItEEEESE_tNS9_4plusIvEEtEEDaPvRmT3_T4_T5_mT6_P12ihipStream_tbENKUlT_T0_E_clISt17integral_constantIbLb1EESU_EEDaSP_SQ_EUlSP_E0_NS1_11comp_targetILNS1_3genE10ELNS1_11target_archE1201ELNS1_3gpuE5ELNS1_3repE0EEENS1_30default_config_static_selectorELNS0_4arch9wavefront6targetE1EEEvT1_: ; @_ZN7rocprim17ROCPRIM_400000_NS6detail17trampoline_kernelINS0_14default_configENS1_20scan_config_selectorItEEZZNS1_9scan_implILNS1_25lookback_scan_determinismE0ELb0ELb0ES3_N6thrust23THRUST_200600_302600_NS6detail15normal_iteratorINS9_10device_ptrItEEEESE_tNS9_4plusIvEEtEEDaPvRmT3_T4_T5_mT6_P12ihipStream_tbENKUlT_T0_E_clISt17integral_constantIbLb1EESU_EEDaSP_SQ_EUlSP_E0_NS1_11comp_targetILNS1_3genE10ELNS1_11target_archE1201ELNS1_3gpuE5ELNS1_3repE0EEENS1_30default_config_static_selectorELNS0_4arch9wavefront6targetE1EEEvT1_
; %bb.0:
	.section	.rodata,"a",@progbits
	.p2align	6, 0x0
	.amdhsa_kernel _ZN7rocprim17ROCPRIM_400000_NS6detail17trampoline_kernelINS0_14default_configENS1_20scan_config_selectorItEEZZNS1_9scan_implILNS1_25lookback_scan_determinismE0ELb0ELb0ES3_N6thrust23THRUST_200600_302600_NS6detail15normal_iteratorINS9_10device_ptrItEEEESE_tNS9_4plusIvEEtEEDaPvRmT3_T4_T5_mT6_P12ihipStream_tbENKUlT_T0_E_clISt17integral_constantIbLb1EESU_EEDaSP_SQ_EUlSP_E0_NS1_11comp_targetILNS1_3genE10ELNS1_11target_archE1201ELNS1_3gpuE5ELNS1_3repE0EEENS1_30default_config_static_selectorELNS0_4arch9wavefront6targetE1EEEvT1_
		.amdhsa_group_segment_fixed_size 0
		.amdhsa_private_segment_fixed_size 0
		.amdhsa_kernarg_size 32
		.amdhsa_user_sgpr_count 6
		.amdhsa_user_sgpr_private_segment_buffer 1
		.amdhsa_user_sgpr_dispatch_ptr 0
		.amdhsa_user_sgpr_queue_ptr 0
		.amdhsa_user_sgpr_kernarg_segment_ptr 1
		.amdhsa_user_sgpr_dispatch_id 0
		.amdhsa_user_sgpr_flat_scratch_init 0
		.amdhsa_user_sgpr_kernarg_preload_length 0
		.amdhsa_user_sgpr_kernarg_preload_offset 0
		.amdhsa_user_sgpr_private_segment_size 0
		.amdhsa_uses_dynamic_stack 0
		.amdhsa_system_sgpr_private_segment_wavefront_offset 0
		.amdhsa_system_sgpr_workgroup_id_x 1
		.amdhsa_system_sgpr_workgroup_id_y 0
		.amdhsa_system_sgpr_workgroup_id_z 0
		.amdhsa_system_sgpr_workgroup_info 0
		.amdhsa_system_vgpr_workitem_id 0
		.amdhsa_next_free_vgpr 1
		.amdhsa_next_free_sgpr 0
		.amdhsa_accum_offset 4
		.amdhsa_reserve_vcc 0
		.amdhsa_reserve_flat_scratch 0
		.amdhsa_float_round_mode_32 0
		.amdhsa_float_round_mode_16_64 0
		.amdhsa_float_denorm_mode_32 3
		.amdhsa_float_denorm_mode_16_64 3
		.amdhsa_dx10_clamp 1
		.amdhsa_ieee_mode 1
		.amdhsa_fp16_overflow 0
		.amdhsa_tg_split 0
		.amdhsa_exception_fp_ieee_invalid_op 0
		.amdhsa_exception_fp_denorm_src 0
		.amdhsa_exception_fp_ieee_div_zero 0
		.amdhsa_exception_fp_ieee_overflow 0
		.amdhsa_exception_fp_ieee_underflow 0
		.amdhsa_exception_fp_ieee_inexact 0
		.amdhsa_exception_int_div_zero 0
	.end_amdhsa_kernel
	.section	.text._ZN7rocprim17ROCPRIM_400000_NS6detail17trampoline_kernelINS0_14default_configENS1_20scan_config_selectorItEEZZNS1_9scan_implILNS1_25lookback_scan_determinismE0ELb0ELb0ES3_N6thrust23THRUST_200600_302600_NS6detail15normal_iteratorINS9_10device_ptrItEEEESE_tNS9_4plusIvEEtEEDaPvRmT3_T4_T5_mT6_P12ihipStream_tbENKUlT_T0_E_clISt17integral_constantIbLb1EESU_EEDaSP_SQ_EUlSP_E0_NS1_11comp_targetILNS1_3genE10ELNS1_11target_archE1201ELNS1_3gpuE5ELNS1_3repE0EEENS1_30default_config_static_selectorELNS0_4arch9wavefront6targetE1EEEvT1_,"axG",@progbits,_ZN7rocprim17ROCPRIM_400000_NS6detail17trampoline_kernelINS0_14default_configENS1_20scan_config_selectorItEEZZNS1_9scan_implILNS1_25lookback_scan_determinismE0ELb0ELb0ES3_N6thrust23THRUST_200600_302600_NS6detail15normal_iteratorINS9_10device_ptrItEEEESE_tNS9_4plusIvEEtEEDaPvRmT3_T4_T5_mT6_P12ihipStream_tbENKUlT_T0_E_clISt17integral_constantIbLb1EESU_EEDaSP_SQ_EUlSP_E0_NS1_11comp_targetILNS1_3genE10ELNS1_11target_archE1201ELNS1_3gpuE5ELNS1_3repE0EEENS1_30default_config_static_selectorELNS0_4arch9wavefront6targetE1EEEvT1_,comdat
.Lfunc_end4750:
	.size	_ZN7rocprim17ROCPRIM_400000_NS6detail17trampoline_kernelINS0_14default_configENS1_20scan_config_selectorItEEZZNS1_9scan_implILNS1_25lookback_scan_determinismE0ELb0ELb0ES3_N6thrust23THRUST_200600_302600_NS6detail15normal_iteratorINS9_10device_ptrItEEEESE_tNS9_4plusIvEEtEEDaPvRmT3_T4_T5_mT6_P12ihipStream_tbENKUlT_T0_E_clISt17integral_constantIbLb1EESU_EEDaSP_SQ_EUlSP_E0_NS1_11comp_targetILNS1_3genE10ELNS1_11target_archE1201ELNS1_3gpuE5ELNS1_3repE0EEENS1_30default_config_static_selectorELNS0_4arch9wavefront6targetE1EEEvT1_, .Lfunc_end4750-_ZN7rocprim17ROCPRIM_400000_NS6detail17trampoline_kernelINS0_14default_configENS1_20scan_config_selectorItEEZZNS1_9scan_implILNS1_25lookback_scan_determinismE0ELb0ELb0ES3_N6thrust23THRUST_200600_302600_NS6detail15normal_iteratorINS9_10device_ptrItEEEESE_tNS9_4plusIvEEtEEDaPvRmT3_T4_T5_mT6_P12ihipStream_tbENKUlT_T0_E_clISt17integral_constantIbLb1EESU_EEDaSP_SQ_EUlSP_E0_NS1_11comp_targetILNS1_3genE10ELNS1_11target_archE1201ELNS1_3gpuE5ELNS1_3repE0EEENS1_30default_config_static_selectorELNS0_4arch9wavefront6targetE1EEEvT1_
                                        ; -- End function
	.section	.AMDGPU.csdata,"",@progbits
; Kernel info:
; codeLenInByte = 0
; NumSgprs: 4
; NumVgprs: 0
; NumAgprs: 0
; TotalNumVgprs: 0
; ScratchSize: 0
; MemoryBound: 0
; FloatMode: 240
; IeeeMode: 1
; LDSByteSize: 0 bytes/workgroup (compile time only)
; SGPRBlocks: 0
; VGPRBlocks: 0
; NumSGPRsForWavesPerEU: 4
; NumVGPRsForWavesPerEU: 1
; AccumOffset: 4
; Occupancy: 8
; WaveLimiterHint : 0
; COMPUTE_PGM_RSRC2:SCRATCH_EN: 0
; COMPUTE_PGM_RSRC2:USER_SGPR: 6
; COMPUTE_PGM_RSRC2:TRAP_HANDLER: 0
; COMPUTE_PGM_RSRC2:TGID_X_EN: 1
; COMPUTE_PGM_RSRC2:TGID_Y_EN: 0
; COMPUTE_PGM_RSRC2:TGID_Z_EN: 0
; COMPUTE_PGM_RSRC2:TIDIG_COMP_CNT: 0
; COMPUTE_PGM_RSRC3_GFX90A:ACCUM_OFFSET: 0
; COMPUTE_PGM_RSRC3_GFX90A:TG_SPLIT: 0
	.section	.text._ZN7rocprim17ROCPRIM_400000_NS6detail17trampoline_kernelINS0_14default_configENS1_20scan_config_selectorItEEZZNS1_9scan_implILNS1_25lookback_scan_determinismE0ELb0ELb0ES3_N6thrust23THRUST_200600_302600_NS6detail15normal_iteratorINS9_10device_ptrItEEEESE_tNS9_4plusIvEEtEEDaPvRmT3_T4_T5_mT6_P12ihipStream_tbENKUlT_T0_E_clISt17integral_constantIbLb1EESU_EEDaSP_SQ_EUlSP_E0_NS1_11comp_targetILNS1_3genE10ELNS1_11target_archE1200ELNS1_3gpuE4ELNS1_3repE0EEENS1_30default_config_static_selectorELNS0_4arch9wavefront6targetE1EEEvT1_,"axG",@progbits,_ZN7rocprim17ROCPRIM_400000_NS6detail17trampoline_kernelINS0_14default_configENS1_20scan_config_selectorItEEZZNS1_9scan_implILNS1_25lookback_scan_determinismE0ELb0ELb0ES3_N6thrust23THRUST_200600_302600_NS6detail15normal_iteratorINS9_10device_ptrItEEEESE_tNS9_4plusIvEEtEEDaPvRmT3_T4_T5_mT6_P12ihipStream_tbENKUlT_T0_E_clISt17integral_constantIbLb1EESU_EEDaSP_SQ_EUlSP_E0_NS1_11comp_targetILNS1_3genE10ELNS1_11target_archE1200ELNS1_3gpuE4ELNS1_3repE0EEENS1_30default_config_static_selectorELNS0_4arch9wavefront6targetE1EEEvT1_,comdat
	.protected	_ZN7rocprim17ROCPRIM_400000_NS6detail17trampoline_kernelINS0_14default_configENS1_20scan_config_selectorItEEZZNS1_9scan_implILNS1_25lookback_scan_determinismE0ELb0ELb0ES3_N6thrust23THRUST_200600_302600_NS6detail15normal_iteratorINS9_10device_ptrItEEEESE_tNS9_4plusIvEEtEEDaPvRmT3_T4_T5_mT6_P12ihipStream_tbENKUlT_T0_E_clISt17integral_constantIbLb1EESU_EEDaSP_SQ_EUlSP_E0_NS1_11comp_targetILNS1_3genE10ELNS1_11target_archE1200ELNS1_3gpuE4ELNS1_3repE0EEENS1_30default_config_static_selectorELNS0_4arch9wavefront6targetE1EEEvT1_ ; -- Begin function _ZN7rocprim17ROCPRIM_400000_NS6detail17trampoline_kernelINS0_14default_configENS1_20scan_config_selectorItEEZZNS1_9scan_implILNS1_25lookback_scan_determinismE0ELb0ELb0ES3_N6thrust23THRUST_200600_302600_NS6detail15normal_iteratorINS9_10device_ptrItEEEESE_tNS9_4plusIvEEtEEDaPvRmT3_T4_T5_mT6_P12ihipStream_tbENKUlT_T0_E_clISt17integral_constantIbLb1EESU_EEDaSP_SQ_EUlSP_E0_NS1_11comp_targetILNS1_3genE10ELNS1_11target_archE1200ELNS1_3gpuE4ELNS1_3repE0EEENS1_30default_config_static_selectorELNS0_4arch9wavefront6targetE1EEEvT1_
	.globl	_ZN7rocprim17ROCPRIM_400000_NS6detail17trampoline_kernelINS0_14default_configENS1_20scan_config_selectorItEEZZNS1_9scan_implILNS1_25lookback_scan_determinismE0ELb0ELb0ES3_N6thrust23THRUST_200600_302600_NS6detail15normal_iteratorINS9_10device_ptrItEEEESE_tNS9_4plusIvEEtEEDaPvRmT3_T4_T5_mT6_P12ihipStream_tbENKUlT_T0_E_clISt17integral_constantIbLb1EESU_EEDaSP_SQ_EUlSP_E0_NS1_11comp_targetILNS1_3genE10ELNS1_11target_archE1200ELNS1_3gpuE4ELNS1_3repE0EEENS1_30default_config_static_selectorELNS0_4arch9wavefront6targetE1EEEvT1_
	.p2align	8
	.type	_ZN7rocprim17ROCPRIM_400000_NS6detail17trampoline_kernelINS0_14default_configENS1_20scan_config_selectorItEEZZNS1_9scan_implILNS1_25lookback_scan_determinismE0ELb0ELb0ES3_N6thrust23THRUST_200600_302600_NS6detail15normal_iteratorINS9_10device_ptrItEEEESE_tNS9_4plusIvEEtEEDaPvRmT3_T4_T5_mT6_P12ihipStream_tbENKUlT_T0_E_clISt17integral_constantIbLb1EESU_EEDaSP_SQ_EUlSP_E0_NS1_11comp_targetILNS1_3genE10ELNS1_11target_archE1200ELNS1_3gpuE4ELNS1_3repE0EEENS1_30default_config_static_selectorELNS0_4arch9wavefront6targetE1EEEvT1_,@function
_ZN7rocprim17ROCPRIM_400000_NS6detail17trampoline_kernelINS0_14default_configENS1_20scan_config_selectorItEEZZNS1_9scan_implILNS1_25lookback_scan_determinismE0ELb0ELb0ES3_N6thrust23THRUST_200600_302600_NS6detail15normal_iteratorINS9_10device_ptrItEEEESE_tNS9_4plusIvEEtEEDaPvRmT3_T4_T5_mT6_P12ihipStream_tbENKUlT_T0_E_clISt17integral_constantIbLb1EESU_EEDaSP_SQ_EUlSP_E0_NS1_11comp_targetILNS1_3genE10ELNS1_11target_archE1200ELNS1_3gpuE4ELNS1_3repE0EEENS1_30default_config_static_selectorELNS0_4arch9wavefront6targetE1EEEvT1_: ; @_ZN7rocprim17ROCPRIM_400000_NS6detail17trampoline_kernelINS0_14default_configENS1_20scan_config_selectorItEEZZNS1_9scan_implILNS1_25lookback_scan_determinismE0ELb0ELb0ES3_N6thrust23THRUST_200600_302600_NS6detail15normal_iteratorINS9_10device_ptrItEEEESE_tNS9_4plusIvEEtEEDaPvRmT3_T4_T5_mT6_P12ihipStream_tbENKUlT_T0_E_clISt17integral_constantIbLb1EESU_EEDaSP_SQ_EUlSP_E0_NS1_11comp_targetILNS1_3genE10ELNS1_11target_archE1200ELNS1_3gpuE4ELNS1_3repE0EEENS1_30default_config_static_selectorELNS0_4arch9wavefront6targetE1EEEvT1_
; %bb.0:
	.section	.rodata,"a",@progbits
	.p2align	6, 0x0
	.amdhsa_kernel _ZN7rocprim17ROCPRIM_400000_NS6detail17trampoline_kernelINS0_14default_configENS1_20scan_config_selectorItEEZZNS1_9scan_implILNS1_25lookback_scan_determinismE0ELb0ELb0ES3_N6thrust23THRUST_200600_302600_NS6detail15normal_iteratorINS9_10device_ptrItEEEESE_tNS9_4plusIvEEtEEDaPvRmT3_T4_T5_mT6_P12ihipStream_tbENKUlT_T0_E_clISt17integral_constantIbLb1EESU_EEDaSP_SQ_EUlSP_E0_NS1_11comp_targetILNS1_3genE10ELNS1_11target_archE1200ELNS1_3gpuE4ELNS1_3repE0EEENS1_30default_config_static_selectorELNS0_4arch9wavefront6targetE1EEEvT1_
		.amdhsa_group_segment_fixed_size 0
		.amdhsa_private_segment_fixed_size 0
		.amdhsa_kernarg_size 32
		.amdhsa_user_sgpr_count 6
		.amdhsa_user_sgpr_private_segment_buffer 1
		.amdhsa_user_sgpr_dispatch_ptr 0
		.amdhsa_user_sgpr_queue_ptr 0
		.amdhsa_user_sgpr_kernarg_segment_ptr 1
		.amdhsa_user_sgpr_dispatch_id 0
		.amdhsa_user_sgpr_flat_scratch_init 0
		.amdhsa_user_sgpr_kernarg_preload_length 0
		.amdhsa_user_sgpr_kernarg_preload_offset 0
		.amdhsa_user_sgpr_private_segment_size 0
		.amdhsa_uses_dynamic_stack 0
		.amdhsa_system_sgpr_private_segment_wavefront_offset 0
		.amdhsa_system_sgpr_workgroup_id_x 1
		.amdhsa_system_sgpr_workgroup_id_y 0
		.amdhsa_system_sgpr_workgroup_id_z 0
		.amdhsa_system_sgpr_workgroup_info 0
		.amdhsa_system_vgpr_workitem_id 0
		.amdhsa_next_free_vgpr 1
		.amdhsa_next_free_sgpr 0
		.amdhsa_accum_offset 4
		.amdhsa_reserve_vcc 0
		.amdhsa_reserve_flat_scratch 0
		.amdhsa_float_round_mode_32 0
		.amdhsa_float_round_mode_16_64 0
		.amdhsa_float_denorm_mode_32 3
		.amdhsa_float_denorm_mode_16_64 3
		.amdhsa_dx10_clamp 1
		.amdhsa_ieee_mode 1
		.amdhsa_fp16_overflow 0
		.amdhsa_tg_split 0
		.amdhsa_exception_fp_ieee_invalid_op 0
		.amdhsa_exception_fp_denorm_src 0
		.amdhsa_exception_fp_ieee_div_zero 0
		.amdhsa_exception_fp_ieee_overflow 0
		.amdhsa_exception_fp_ieee_underflow 0
		.amdhsa_exception_fp_ieee_inexact 0
		.amdhsa_exception_int_div_zero 0
	.end_amdhsa_kernel
	.section	.text._ZN7rocprim17ROCPRIM_400000_NS6detail17trampoline_kernelINS0_14default_configENS1_20scan_config_selectorItEEZZNS1_9scan_implILNS1_25lookback_scan_determinismE0ELb0ELb0ES3_N6thrust23THRUST_200600_302600_NS6detail15normal_iteratorINS9_10device_ptrItEEEESE_tNS9_4plusIvEEtEEDaPvRmT3_T4_T5_mT6_P12ihipStream_tbENKUlT_T0_E_clISt17integral_constantIbLb1EESU_EEDaSP_SQ_EUlSP_E0_NS1_11comp_targetILNS1_3genE10ELNS1_11target_archE1200ELNS1_3gpuE4ELNS1_3repE0EEENS1_30default_config_static_selectorELNS0_4arch9wavefront6targetE1EEEvT1_,"axG",@progbits,_ZN7rocprim17ROCPRIM_400000_NS6detail17trampoline_kernelINS0_14default_configENS1_20scan_config_selectorItEEZZNS1_9scan_implILNS1_25lookback_scan_determinismE0ELb0ELb0ES3_N6thrust23THRUST_200600_302600_NS6detail15normal_iteratorINS9_10device_ptrItEEEESE_tNS9_4plusIvEEtEEDaPvRmT3_T4_T5_mT6_P12ihipStream_tbENKUlT_T0_E_clISt17integral_constantIbLb1EESU_EEDaSP_SQ_EUlSP_E0_NS1_11comp_targetILNS1_3genE10ELNS1_11target_archE1200ELNS1_3gpuE4ELNS1_3repE0EEENS1_30default_config_static_selectorELNS0_4arch9wavefront6targetE1EEEvT1_,comdat
.Lfunc_end4751:
	.size	_ZN7rocprim17ROCPRIM_400000_NS6detail17trampoline_kernelINS0_14default_configENS1_20scan_config_selectorItEEZZNS1_9scan_implILNS1_25lookback_scan_determinismE0ELb0ELb0ES3_N6thrust23THRUST_200600_302600_NS6detail15normal_iteratorINS9_10device_ptrItEEEESE_tNS9_4plusIvEEtEEDaPvRmT3_T4_T5_mT6_P12ihipStream_tbENKUlT_T0_E_clISt17integral_constantIbLb1EESU_EEDaSP_SQ_EUlSP_E0_NS1_11comp_targetILNS1_3genE10ELNS1_11target_archE1200ELNS1_3gpuE4ELNS1_3repE0EEENS1_30default_config_static_selectorELNS0_4arch9wavefront6targetE1EEEvT1_, .Lfunc_end4751-_ZN7rocprim17ROCPRIM_400000_NS6detail17trampoline_kernelINS0_14default_configENS1_20scan_config_selectorItEEZZNS1_9scan_implILNS1_25lookback_scan_determinismE0ELb0ELb0ES3_N6thrust23THRUST_200600_302600_NS6detail15normal_iteratorINS9_10device_ptrItEEEESE_tNS9_4plusIvEEtEEDaPvRmT3_T4_T5_mT6_P12ihipStream_tbENKUlT_T0_E_clISt17integral_constantIbLb1EESU_EEDaSP_SQ_EUlSP_E0_NS1_11comp_targetILNS1_3genE10ELNS1_11target_archE1200ELNS1_3gpuE4ELNS1_3repE0EEENS1_30default_config_static_selectorELNS0_4arch9wavefront6targetE1EEEvT1_
                                        ; -- End function
	.section	.AMDGPU.csdata,"",@progbits
; Kernel info:
; codeLenInByte = 0
; NumSgprs: 4
; NumVgprs: 0
; NumAgprs: 0
; TotalNumVgprs: 0
; ScratchSize: 0
; MemoryBound: 0
; FloatMode: 240
; IeeeMode: 1
; LDSByteSize: 0 bytes/workgroup (compile time only)
; SGPRBlocks: 0
; VGPRBlocks: 0
; NumSGPRsForWavesPerEU: 4
; NumVGPRsForWavesPerEU: 1
; AccumOffset: 4
; Occupancy: 8
; WaveLimiterHint : 0
; COMPUTE_PGM_RSRC2:SCRATCH_EN: 0
; COMPUTE_PGM_RSRC2:USER_SGPR: 6
; COMPUTE_PGM_RSRC2:TRAP_HANDLER: 0
; COMPUTE_PGM_RSRC2:TGID_X_EN: 1
; COMPUTE_PGM_RSRC2:TGID_Y_EN: 0
; COMPUTE_PGM_RSRC2:TGID_Z_EN: 0
; COMPUTE_PGM_RSRC2:TIDIG_COMP_CNT: 0
; COMPUTE_PGM_RSRC3_GFX90A:ACCUM_OFFSET: 0
; COMPUTE_PGM_RSRC3_GFX90A:TG_SPLIT: 0
	.section	.text._ZN7rocprim17ROCPRIM_400000_NS6detail17trampoline_kernelINS0_14default_configENS1_20scan_config_selectorItEEZZNS1_9scan_implILNS1_25lookback_scan_determinismE0ELb0ELb0ES3_N6thrust23THRUST_200600_302600_NS6detail15normal_iteratorINS9_10device_ptrItEEEESE_tNS9_4plusIvEEtEEDaPvRmT3_T4_T5_mT6_P12ihipStream_tbENKUlT_T0_E_clISt17integral_constantIbLb1EESU_EEDaSP_SQ_EUlSP_E0_NS1_11comp_targetILNS1_3genE9ELNS1_11target_archE1100ELNS1_3gpuE3ELNS1_3repE0EEENS1_30default_config_static_selectorELNS0_4arch9wavefront6targetE1EEEvT1_,"axG",@progbits,_ZN7rocprim17ROCPRIM_400000_NS6detail17trampoline_kernelINS0_14default_configENS1_20scan_config_selectorItEEZZNS1_9scan_implILNS1_25lookback_scan_determinismE0ELb0ELb0ES3_N6thrust23THRUST_200600_302600_NS6detail15normal_iteratorINS9_10device_ptrItEEEESE_tNS9_4plusIvEEtEEDaPvRmT3_T4_T5_mT6_P12ihipStream_tbENKUlT_T0_E_clISt17integral_constantIbLb1EESU_EEDaSP_SQ_EUlSP_E0_NS1_11comp_targetILNS1_3genE9ELNS1_11target_archE1100ELNS1_3gpuE3ELNS1_3repE0EEENS1_30default_config_static_selectorELNS0_4arch9wavefront6targetE1EEEvT1_,comdat
	.protected	_ZN7rocprim17ROCPRIM_400000_NS6detail17trampoline_kernelINS0_14default_configENS1_20scan_config_selectorItEEZZNS1_9scan_implILNS1_25lookback_scan_determinismE0ELb0ELb0ES3_N6thrust23THRUST_200600_302600_NS6detail15normal_iteratorINS9_10device_ptrItEEEESE_tNS9_4plusIvEEtEEDaPvRmT3_T4_T5_mT6_P12ihipStream_tbENKUlT_T0_E_clISt17integral_constantIbLb1EESU_EEDaSP_SQ_EUlSP_E0_NS1_11comp_targetILNS1_3genE9ELNS1_11target_archE1100ELNS1_3gpuE3ELNS1_3repE0EEENS1_30default_config_static_selectorELNS0_4arch9wavefront6targetE1EEEvT1_ ; -- Begin function _ZN7rocprim17ROCPRIM_400000_NS6detail17trampoline_kernelINS0_14default_configENS1_20scan_config_selectorItEEZZNS1_9scan_implILNS1_25lookback_scan_determinismE0ELb0ELb0ES3_N6thrust23THRUST_200600_302600_NS6detail15normal_iteratorINS9_10device_ptrItEEEESE_tNS9_4plusIvEEtEEDaPvRmT3_T4_T5_mT6_P12ihipStream_tbENKUlT_T0_E_clISt17integral_constantIbLb1EESU_EEDaSP_SQ_EUlSP_E0_NS1_11comp_targetILNS1_3genE9ELNS1_11target_archE1100ELNS1_3gpuE3ELNS1_3repE0EEENS1_30default_config_static_selectorELNS0_4arch9wavefront6targetE1EEEvT1_
	.globl	_ZN7rocprim17ROCPRIM_400000_NS6detail17trampoline_kernelINS0_14default_configENS1_20scan_config_selectorItEEZZNS1_9scan_implILNS1_25lookback_scan_determinismE0ELb0ELb0ES3_N6thrust23THRUST_200600_302600_NS6detail15normal_iteratorINS9_10device_ptrItEEEESE_tNS9_4plusIvEEtEEDaPvRmT3_T4_T5_mT6_P12ihipStream_tbENKUlT_T0_E_clISt17integral_constantIbLb1EESU_EEDaSP_SQ_EUlSP_E0_NS1_11comp_targetILNS1_3genE9ELNS1_11target_archE1100ELNS1_3gpuE3ELNS1_3repE0EEENS1_30default_config_static_selectorELNS0_4arch9wavefront6targetE1EEEvT1_
	.p2align	8
	.type	_ZN7rocprim17ROCPRIM_400000_NS6detail17trampoline_kernelINS0_14default_configENS1_20scan_config_selectorItEEZZNS1_9scan_implILNS1_25lookback_scan_determinismE0ELb0ELb0ES3_N6thrust23THRUST_200600_302600_NS6detail15normal_iteratorINS9_10device_ptrItEEEESE_tNS9_4plusIvEEtEEDaPvRmT3_T4_T5_mT6_P12ihipStream_tbENKUlT_T0_E_clISt17integral_constantIbLb1EESU_EEDaSP_SQ_EUlSP_E0_NS1_11comp_targetILNS1_3genE9ELNS1_11target_archE1100ELNS1_3gpuE3ELNS1_3repE0EEENS1_30default_config_static_selectorELNS0_4arch9wavefront6targetE1EEEvT1_,@function
_ZN7rocprim17ROCPRIM_400000_NS6detail17trampoline_kernelINS0_14default_configENS1_20scan_config_selectorItEEZZNS1_9scan_implILNS1_25lookback_scan_determinismE0ELb0ELb0ES3_N6thrust23THRUST_200600_302600_NS6detail15normal_iteratorINS9_10device_ptrItEEEESE_tNS9_4plusIvEEtEEDaPvRmT3_T4_T5_mT6_P12ihipStream_tbENKUlT_T0_E_clISt17integral_constantIbLb1EESU_EEDaSP_SQ_EUlSP_E0_NS1_11comp_targetILNS1_3genE9ELNS1_11target_archE1100ELNS1_3gpuE3ELNS1_3repE0EEENS1_30default_config_static_selectorELNS0_4arch9wavefront6targetE1EEEvT1_: ; @_ZN7rocprim17ROCPRIM_400000_NS6detail17trampoline_kernelINS0_14default_configENS1_20scan_config_selectorItEEZZNS1_9scan_implILNS1_25lookback_scan_determinismE0ELb0ELb0ES3_N6thrust23THRUST_200600_302600_NS6detail15normal_iteratorINS9_10device_ptrItEEEESE_tNS9_4plusIvEEtEEDaPvRmT3_T4_T5_mT6_P12ihipStream_tbENKUlT_T0_E_clISt17integral_constantIbLb1EESU_EEDaSP_SQ_EUlSP_E0_NS1_11comp_targetILNS1_3genE9ELNS1_11target_archE1100ELNS1_3gpuE3ELNS1_3repE0EEENS1_30default_config_static_selectorELNS0_4arch9wavefront6targetE1EEEvT1_
; %bb.0:
	.section	.rodata,"a",@progbits
	.p2align	6, 0x0
	.amdhsa_kernel _ZN7rocprim17ROCPRIM_400000_NS6detail17trampoline_kernelINS0_14default_configENS1_20scan_config_selectorItEEZZNS1_9scan_implILNS1_25lookback_scan_determinismE0ELb0ELb0ES3_N6thrust23THRUST_200600_302600_NS6detail15normal_iteratorINS9_10device_ptrItEEEESE_tNS9_4plusIvEEtEEDaPvRmT3_T4_T5_mT6_P12ihipStream_tbENKUlT_T0_E_clISt17integral_constantIbLb1EESU_EEDaSP_SQ_EUlSP_E0_NS1_11comp_targetILNS1_3genE9ELNS1_11target_archE1100ELNS1_3gpuE3ELNS1_3repE0EEENS1_30default_config_static_selectorELNS0_4arch9wavefront6targetE1EEEvT1_
		.amdhsa_group_segment_fixed_size 0
		.amdhsa_private_segment_fixed_size 0
		.amdhsa_kernarg_size 32
		.amdhsa_user_sgpr_count 6
		.amdhsa_user_sgpr_private_segment_buffer 1
		.amdhsa_user_sgpr_dispatch_ptr 0
		.amdhsa_user_sgpr_queue_ptr 0
		.amdhsa_user_sgpr_kernarg_segment_ptr 1
		.amdhsa_user_sgpr_dispatch_id 0
		.amdhsa_user_sgpr_flat_scratch_init 0
		.amdhsa_user_sgpr_kernarg_preload_length 0
		.amdhsa_user_sgpr_kernarg_preload_offset 0
		.amdhsa_user_sgpr_private_segment_size 0
		.amdhsa_uses_dynamic_stack 0
		.amdhsa_system_sgpr_private_segment_wavefront_offset 0
		.amdhsa_system_sgpr_workgroup_id_x 1
		.amdhsa_system_sgpr_workgroup_id_y 0
		.amdhsa_system_sgpr_workgroup_id_z 0
		.amdhsa_system_sgpr_workgroup_info 0
		.amdhsa_system_vgpr_workitem_id 0
		.amdhsa_next_free_vgpr 1
		.amdhsa_next_free_sgpr 0
		.amdhsa_accum_offset 4
		.amdhsa_reserve_vcc 0
		.amdhsa_reserve_flat_scratch 0
		.amdhsa_float_round_mode_32 0
		.amdhsa_float_round_mode_16_64 0
		.amdhsa_float_denorm_mode_32 3
		.amdhsa_float_denorm_mode_16_64 3
		.amdhsa_dx10_clamp 1
		.amdhsa_ieee_mode 1
		.amdhsa_fp16_overflow 0
		.amdhsa_tg_split 0
		.amdhsa_exception_fp_ieee_invalid_op 0
		.amdhsa_exception_fp_denorm_src 0
		.amdhsa_exception_fp_ieee_div_zero 0
		.amdhsa_exception_fp_ieee_overflow 0
		.amdhsa_exception_fp_ieee_underflow 0
		.amdhsa_exception_fp_ieee_inexact 0
		.amdhsa_exception_int_div_zero 0
	.end_amdhsa_kernel
	.section	.text._ZN7rocprim17ROCPRIM_400000_NS6detail17trampoline_kernelINS0_14default_configENS1_20scan_config_selectorItEEZZNS1_9scan_implILNS1_25lookback_scan_determinismE0ELb0ELb0ES3_N6thrust23THRUST_200600_302600_NS6detail15normal_iteratorINS9_10device_ptrItEEEESE_tNS9_4plusIvEEtEEDaPvRmT3_T4_T5_mT6_P12ihipStream_tbENKUlT_T0_E_clISt17integral_constantIbLb1EESU_EEDaSP_SQ_EUlSP_E0_NS1_11comp_targetILNS1_3genE9ELNS1_11target_archE1100ELNS1_3gpuE3ELNS1_3repE0EEENS1_30default_config_static_selectorELNS0_4arch9wavefront6targetE1EEEvT1_,"axG",@progbits,_ZN7rocprim17ROCPRIM_400000_NS6detail17trampoline_kernelINS0_14default_configENS1_20scan_config_selectorItEEZZNS1_9scan_implILNS1_25lookback_scan_determinismE0ELb0ELb0ES3_N6thrust23THRUST_200600_302600_NS6detail15normal_iteratorINS9_10device_ptrItEEEESE_tNS9_4plusIvEEtEEDaPvRmT3_T4_T5_mT6_P12ihipStream_tbENKUlT_T0_E_clISt17integral_constantIbLb1EESU_EEDaSP_SQ_EUlSP_E0_NS1_11comp_targetILNS1_3genE9ELNS1_11target_archE1100ELNS1_3gpuE3ELNS1_3repE0EEENS1_30default_config_static_selectorELNS0_4arch9wavefront6targetE1EEEvT1_,comdat
.Lfunc_end4752:
	.size	_ZN7rocprim17ROCPRIM_400000_NS6detail17trampoline_kernelINS0_14default_configENS1_20scan_config_selectorItEEZZNS1_9scan_implILNS1_25lookback_scan_determinismE0ELb0ELb0ES3_N6thrust23THRUST_200600_302600_NS6detail15normal_iteratorINS9_10device_ptrItEEEESE_tNS9_4plusIvEEtEEDaPvRmT3_T4_T5_mT6_P12ihipStream_tbENKUlT_T0_E_clISt17integral_constantIbLb1EESU_EEDaSP_SQ_EUlSP_E0_NS1_11comp_targetILNS1_3genE9ELNS1_11target_archE1100ELNS1_3gpuE3ELNS1_3repE0EEENS1_30default_config_static_selectorELNS0_4arch9wavefront6targetE1EEEvT1_, .Lfunc_end4752-_ZN7rocprim17ROCPRIM_400000_NS6detail17trampoline_kernelINS0_14default_configENS1_20scan_config_selectorItEEZZNS1_9scan_implILNS1_25lookback_scan_determinismE0ELb0ELb0ES3_N6thrust23THRUST_200600_302600_NS6detail15normal_iteratorINS9_10device_ptrItEEEESE_tNS9_4plusIvEEtEEDaPvRmT3_T4_T5_mT6_P12ihipStream_tbENKUlT_T0_E_clISt17integral_constantIbLb1EESU_EEDaSP_SQ_EUlSP_E0_NS1_11comp_targetILNS1_3genE9ELNS1_11target_archE1100ELNS1_3gpuE3ELNS1_3repE0EEENS1_30default_config_static_selectorELNS0_4arch9wavefront6targetE1EEEvT1_
                                        ; -- End function
	.section	.AMDGPU.csdata,"",@progbits
; Kernel info:
; codeLenInByte = 0
; NumSgprs: 4
; NumVgprs: 0
; NumAgprs: 0
; TotalNumVgprs: 0
; ScratchSize: 0
; MemoryBound: 0
; FloatMode: 240
; IeeeMode: 1
; LDSByteSize: 0 bytes/workgroup (compile time only)
; SGPRBlocks: 0
; VGPRBlocks: 0
; NumSGPRsForWavesPerEU: 4
; NumVGPRsForWavesPerEU: 1
; AccumOffset: 4
; Occupancy: 8
; WaveLimiterHint : 0
; COMPUTE_PGM_RSRC2:SCRATCH_EN: 0
; COMPUTE_PGM_RSRC2:USER_SGPR: 6
; COMPUTE_PGM_RSRC2:TRAP_HANDLER: 0
; COMPUTE_PGM_RSRC2:TGID_X_EN: 1
; COMPUTE_PGM_RSRC2:TGID_Y_EN: 0
; COMPUTE_PGM_RSRC2:TGID_Z_EN: 0
; COMPUTE_PGM_RSRC2:TIDIG_COMP_CNT: 0
; COMPUTE_PGM_RSRC3_GFX90A:ACCUM_OFFSET: 0
; COMPUTE_PGM_RSRC3_GFX90A:TG_SPLIT: 0
	.section	.text._ZN7rocprim17ROCPRIM_400000_NS6detail17trampoline_kernelINS0_14default_configENS1_20scan_config_selectorItEEZZNS1_9scan_implILNS1_25lookback_scan_determinismE0ELb0ELb0ES3_N6thrust23THRUST_200600_302600_NS6detail15normal_iteratorINS9_10device_ptrItEEEESE_tNS9_4plusIvEEtEEDaPvRmT3_T4_T5_mT6_P12ihipStream_tbENKUlT_T0_E_clISt17integral_constantIbLb1EESU_EEDaSP_SQ_EUlSP_E0_NS1_11comp_targetILNS1_3genE8ELNS1_11target_archE1030ELNS1_3gpuE2ELNS1_3repE0EEENS1_30default_config_static_selectorELNS0_4arch9wavefront6targetE1EEEvT1_,"axG",@progbits,_ZN7rocprim17ROCPRIM_400000_NS6detail17trampoline_kernelINS0_14default_configENS1_20scan_config_selectorItEEZZNS1_9scan_implILNS1_25lookback_scan_determinismE0ELb0ELb0ES3_N6thrust23THRUST_200600_302600_NS6detail15normal_iteratorINS9_10device_ptrItEEEESE_tNS9_4plusIvEEtEEDaPvRmT3_T4_T5_mT6_P12ihipStream_tbENKUlT_T0_E_clISt17integral_constantIbLb1EESU_EEDaSP_SQ_EUlSP_E0_NS1_11comp_targetILNS1_3genE8ELNS1_11target_archE1030ELNS1_3gpuE2ELNS1_3repE0EEENS1_30default_config_static_selectorELNS0_4arch9wavefront6targetE1EEEvT1_,comdat
	.protected	_ZN7rocprim17ROCPRIM_400000_NS6detail17trampoline_kernelINS0_14default_configENS1_20scan_config_selectorItEEZZNS1_9scan_implILNS1_25lookback_scan_determinismE0ELb0ELb0ES3_N6thrust23THRUST_200600_302600_NS6detail15normal_iteratorINS9_10device_ptrItEEEESE_tNS9_4plusIvEEtEEDaPvRmT3_T4_T5_mT6_P12ihipStream_tbENKUlT_T0_E_clISt17integral_constantIbLb1EESU_EEDaSP_SQ_EUlSP_E0_NS1_11comp_targetILNS1_3genE8ELNS1_11target_archE1030ELNS1_3gpuE2ELNS1_3repE0EEENS1_30default_config_static_selectorELNS0_4arch9wavefront6targetE1EEEvT1_ ; -- Begin function _ZN7rocprim17ROCPRIM_400000_NS6detail17trampoline_kernelINS0_14default_configENS1_20scan_config_selectorItEEZZNS1_9scan_implILNS1_25lookback_scan_determinismE0ELb0ELb0ES3_N6thrust23THRUST_200600_302600_NS6detail15normal_iteratorINS9_10device_ptrItEEEESE_tNS9_4plusIvEEtEEDaPvRmT3_T4_T5_mT6_P12ihipStream_tbENKUlT_T0_E_clISt17integral_constantIbLb1EESU_EEDaSP_SQ_EUlSP_E0_NS1_11comp_targetILNS1_3genE8ELNS1_11target_archE1030ELNS1_3gpuE2ELNS1_3repE0EEENS1_30default_config_static_selectorELNS0_4arch9wavefront6targetE1EEEvT1_
	.globl	_ZN7rocprim17ROCPRIM_400000_NS6detail17trampoline_kernelINS0_14default_configENS1_20scan_config_selectorItEEZZNS1_9scan_implILNS1_25lookback_scan_determinismE0ELb0ELb0ES3_N6thrust23THRUST_200600_302600_NS6detail15normal_iteratorINS9_10device_ptrItEEEESE_tNS9_4plusIvEEtEEDaPvRmT3_T4_T5_mT6_P12ihipStream_tbENKUlT_T0_E_clISt17integral_constantIbLb1EESU_EEDaSP_SQ_EUlSP_E0_NS1_11comp_targetILNS1_3genE8ELNS1_11target_archE1030ELNS1_3gpuE2ELNS1_3repE0EEENS1_30default_config_static_selectorELNS0_4arch9wavefront6targetE1EEEvT1_
	.p2align	8
	.type	_ZN7rocprim17ROCPRIM_400000_NS6detail17trampoline_kernelINS0_14default_configENS1_20scan_config_selectorItEEZZNS1_9scan_implILNS1_25lookback_scan_determinismE0ELb0ELb0ES3_N6thrust23THRUST_200600_302600_NS6detail15normal_iteratorINS9_10device_ptrItEEEESE_tNS9_4plusIvEEtEEDaPvRmT3_T4_T5_mT6_P12ihipStream_tbENKUlT_T0_E_clISt17integral_constantIbLb1EESU_EEDaSP_SQ_EUlSP_E0_NS1_11comp_targetILNS1_3genE8ELNS1_11target_archE1030ELNS1_3gpuE2ELNS1_3repE0EEENS1_30default_config_static_selectorELNS0_4arch9wavefront6targetE1EEEvT1_,@function
_ZN7rocprim17ROCPRIM_400000_NS6detail17trampoline_kernelINS0_14default_configENS1_20scan_config_selectorItEEZZNS1_9scan_implILNS1_25lookback_scan_determinismE0ELb0ELb0ES3_N6thrust23THRUST_200600_302600_NS6detail15normal_iteratorINS9_10device_ptrItEEEESE_tNS9_4plusIvEEtEEDaPvRmT3_T4_T5_mT6_P12ihipStream_tbENKUlT_T0_E_clISt17integral_constantIbLb1EESU_EEDaSP_SQ_EUlSP_E0_NS1_11comp_targetILNS1_3genE8ELNS1_11target_archE1030ELNS1_3gpuE2ELNS1_3repE0EEENS1_30default_config_static_selectorELNS0_4arch9wavefront6targetE1EEEvT1_: ; @_ZN7rocprim17ROCPRIM_400000_NS6detail17trampoline_kernelINS0_14default_configENS1_20scan_config_selectorItEEZZNS1_9scan_implILNS1_25lookback_scan_determinismE0ELb0ELb0ES3_N6thrust23THRUST_200600_302600_NS6detail15normal_iteratorINS9_10device_ptrItEEEESE_tNS9_4plusIvEEtEEDaPvRmT3_T4_T5_mT6_P12ihipStream_tbENKUlT_T0_E_clISt17integral_constantIbLb1EESU_EEDaSP_SQ_EUlSP_E0_NS1_11comp_targetILNS1_3genE8ELNS1_11target_archE1030ELNS1_3gpuE2ELNS1_3repE0EEENS1_30default_config_static_selectorELNS0_4arch9wavefront6targetE1EEEvT1_
; %bb.0:
	.section	.rodata,"a",@progbits
	.p2align	6, 0x0
	.amdhsa_kernel _ZN7rocprim17ROCPRIM_400000_NS6detail17trampoline_kernelINS0_14default_configENS1_20scan_config_selectorItEEZZNS1_9scan_implILNS1_25lookback_scan_determinismE0ELb0ELb0ES3_N6thrust23THRUST_200600_302600_NS6detail15normal_iteratorINS9_10device_ptrItEEEESE_tNS9_4plusIvEEtEEDaPvRmT3_T4_T5_mT6_P12ihipStream_tbENKUlT_T0_E_clISt17integral_constantIbLb1EESU_EEDaSP_SQ_EUlSP_E0_NS1_11comp_targetILNS1_3genE8ELNS1_11target_archE1030ELNS1_3gpuE2ELNS1_3repE0EEENS1_30default_config_static_selectorELNS0_4arch9wavefront6targetE1EEEvT1_
		.amdhsa_group_segment_fixed_size 0
		.amdhsa_private_segment_fixed_size 0
		.amdhsa_kernarg_size 32
		.amdhsa_user_sgpr_count 6
		.amdhsa_user_sgpr_private_segment_buffer 1
		.amdhsa_user_sgpr_dispatch_ptr 0
		.amdhsa_user_sgpr_queue_ptr 0
		.amdhsa_user_sgpr_kernarg_segment_ptr 1
		.amdhsa_user_sgpr_dispatch_id 0
		.amdhsa_user_sgpr_flat_scratch_init 0
		.amdhsa_user_sgpr_kernarg_preload_length 0
		.amdhsa_user_sgpr_kernarg_preload_offset 0
		.amdhsa_user_sgpr_private_segment_size 0
		.amdhsa_uses_dynamic_stack 0
		.amdhsa_system_sgpr_private_segment_wavefront_offset 0
		.amdhsa_system_sgpr_workgroup_id_x 1
		.amdhsa_system_sgpr_workgroup_id_y 0
		.amdhsa_system_sgpr_workgroup_id_z 0
		.amdhsa_system_sgpr_workgroup_info 0
		.amdhsa_system_vgpr_workitem_id 0
		.amdhsa_next_free_vgpr 1
		.amdhsa_next_free_sgpr 0
		.amdhsa_accum_offset 4
		.amdhsa_reserve_vcc 0
		.amdhsa_reserve_flat_scratch 0
		.amdhsa_float_round_mode_32 0
		.amdhsa_float_round_mode_16_64 0
		.amdhsa_float_denorm_mode_32 3
		.amdhsa_float_denorm_mode_16_64 3
		.amdhsa_dx10_clamp 1
		.amdhsa_ieee_mode 1
		.amdhsa_fp16_overflow 0
		.amdhsa_tg_split 0
		.amdhsa_exception_fp_ieee_invalid_op 0
		.amdhsa_exception_fp_denorm_src 0
		.amdhsa_exception_fp_ieee_div_zero 0
		.amdhsa_exception_fp_ieee_overflow 0
		.amdhsa_exception_fp_ieee_underflow 0
		.amdhsa_exception_fp_ieee_inexact 0
		.amdhsa_exception_int_div_zero 0
	.end_amdhsa_kernel
	.section	.text._ZN7rocprim17ROCPRIM_400000_NS6detail17trampoline_kernelINS0_14default_configENS1_20scan_config_selectorItEEZZNS1_9scan_implILNS1_25lookback_scan_determinismE0ELb0ELb0ES3_N6thrust23THRUST_200600_302600_NS6detail15normal_iteratorINS9_10device_ptrItEEEESE_tNS9_4plusIvEEtEEDaPvRmT3_T4_T5_mT6_P12ihipStream_tbENKUlT_T0_E_clISt17integral_constantIbLb1EESU_EEDaSP_SQ_EUlSP_E0_NS1_11comp_targetILNS1_3genE8ELNS1_11target_archE1030ELNS1_3gpuE2ELNS1_3repE0EEENS1_30default_config_static_selectorELNS0_4arch9wavefront6targetE1EEEvT1_,"axG",@progbits,_ZN7rocprim17ROCPRIM_400000_NS6detail17trampoline_kernelINS0_14default_configENS1_20scan_config_selectorItEEZZNS1_9scan_implILNS1_25lookback_scan_determinismE0ELb0ELb0ES3_N6thrust23THRUST_200600_302600_NS6detail15normal_iteratorINS9_10device_ptrItEEEESE_tNS9_4plusIvEEtEEDaPvRmT3_T4_T5_mT6_P12ihipStream_tbENKUlT_T0_E_clISt17integral_constantIbLb1EESU_EEDaSP_SQ_EUlSP_E0_NS1_11comp_targetILNS1_3genE8ELNS1_11target_archE1030ELNS1_3gpuE2ELNS1_3repE0EEENS1_30default_config_static_selectorELNS0_4arch9wavefront6targetE1EEEvT1_,comdat
.Lfunc_end4753:
	.size	_ZN7rocprim17ROCPRIM_400000_NS6detail17trampoline_kernelINS0_14default_configENS1_20scan_config_selectorItEEZZNS1_9scan_implILNS1_25lookback_scan_determinismE0ELb0ELb0ES3_N6thrust23THRUST_200600_302600_NS6detail15normal_iteratorINS9_10device_ptrItEEEESE_tNS9_4plusIvEEtEEDaPvRmT3_T4_T5_mT6_P12ihipStream_tbENKUlT_T0_E_clISt17integral_constantIbLb1EESU_EEDaSP_SQ_EUlSP_E0_NS1_11comp_targetILNS1_3genE8ELNS1_11target_archE1030ELNS1_3gpuE2ELNS1_3repE0EEENS1_30default_config_static_selectorELNS0_4arch9wavefront6targetE1EEEvT1_, .Lfunc_end4753-_ZN7rocprim17ROCPRIM_400000_NS6detail17trampoline_kernelINS0_14default_configENS1_20scan_config_selectorItEEZZNS1_9scan_implILNS1_25lookback_scan_determinismE0ELb0ELb0ES3_N6thrust23THRUST_200600_302600_NS6detail15normal_iteratorINS9_10device_ptrItEEEESE_tNS9_4plusIvEEtEEDaPvRmT3_T4_T5_mT6_P12ihipStream_tbENKUlT_T0_E_clISt17integral_constantIbLb1EESU_EEDaSP_SQ_EUlSP_E0_NS1_11comp_targetILNS1_3genE8ELNS1_11target_archE1030ELNS1_3gpuE2ELNS1_3repE0EEENS1_30default_config_static_selectorELNS0_4arch9wavefront6targetE1EEEvT1_
                                        ; -- End function
	.section	.AMDGPU.csdata,"",@progbits
; Kernel info:
; codeLenInByte = 0
; NumSgprs: 4
; NumVgprs: 0
; NumAgprs: 0
; TotalNumVgprs: 0
; ScratchSize: 0
; MemoryBound: 0
; FloatMode: 240
; IeeeMode: 1
; LDSByteSize: 0 bytes/workgroup (compile time only)
; SGPRBlocks: 0
; VGPRBlocks: 0
; NumSGPRsForWavesPerEU: 4
; NumVGPRsForWavesPerEU: 1
; AccumOffset: 4
; Occupancy: 8
; WaveLimiterHint : 0
; COMPUTE_PGM_RSRC2:SCRATCH_EN: 0
; COMPUTE_PGM_RSRC2:USER_SGPR: 6
; COMPUTE_PGM_RSRC2:TRAP_HANDLER: 0
; COMPUTE_PGM_RSRC2:TGID_X_EN: 1
; COMPUTE_PGM_RSRC2:TGID_Y_EN: 0
; COMPUTE_PGM_RSRC2:TGID_Z_EN: 0
; COMPUTE_PGM_RSRC2:TIDIG_COMP_CNT: 0
; COMPUTE_PGM_RSRC3_GFX90A:ACCUM_OFFSET: 0
; COMPUTE_PGM_RSRC3_GFX90A:TG_SPLIT: 0
	.section	.text._ZN7rocprim17ROCPRIM_400000_NS6detail17trampoline_kernelINS0_14default_configENS1_20scan_config_selectorItEEZZNS1_9scan_implILNS1_25lookback_scan_determinismE0ELb0ELb0ES3_N6thrust23THRUST_200600_302600_NS6detail15normal_iteratorINS9_10device_ptrItEEEESE_tNS9_4plusIvEEtEEDaPvRmT3_T4_T5_mT6_P12ihipStream_tbENKUlT_T0_E_clISt17integral_constantIbLb1EEST_IbLb0EEEEDaSP_SQ_EUlSP_E_NS1_11comp_targetILNS1_3genE0ELNS1_11target_archE4294967295ELNS1_3gpuE0ELNS1_3repE0EEENS1_30default_config_static_selectorELNS0_4arch9wavefront6targetE1EEEvT1_,"axG",@progbits,_ZN7rocprim17ROCPRIM_400000_NS6detail17trampoline_kernelINS0_14default_configENS1_20scan_config_selectorItEEZZNS1_9scan_implILNS1_25lookback_scan_determinismE0ELb0ELb0ES3_N6thrust23THRUST_200600_302600_NS6detail15normal_iteratorINS9_10device_ptrItEEEESE_tNS9_4plusIvEEtEEDaPvRmT3_T4_T5_mT6_P12ihipStream_tbENKUlT_T0_E_clISt17integral_constantIbLb1EEST_IbLb0EEEEDaSP_SQ_EUlSP_E_NS1_11comp_targetILNS1_3genE0ELNS1_11target_archE4294967295ELNS1_3gpuE0ELNS1_3repE0EEENS1_30default_config_static_selectorELNS0_4arch9wavefront6targetE1EEEvT1_,comdat
	.protected	_ZN7rocprim17ROCPRIM_400000_NS6detail17trampoline_kernelINS0_14default_configENS1_20scan_config_selectorItEEZZNS1_9scan_implILNS1_25lookback_scan_determinismE0ELb0ELb0ES3_N6thrust23THRUST_200600_302600_NS6detail15normal_iteratorINS9_10device_ptrItEEEESE_tNS9_4plusIvEEtEEDaPvRmT3_T4_T5_mT6_P12ihipStream_tbENKUlT_T0_E_clISt17integral_constantIbLb1EEST_IbLb0EEEEDaSP_SQ_EUlSP_E_NS1_11comp_targetILNS1_3genE0ELNS1_11target_archE4294967295ELNS1_3gpuE0ELNS1_3repE0EEENS1_30default_config_static_selectorELNS0_4arch9wavefront6targetE1EEEvT1_ ; -- Begin function _ZN7rocprim17ROCPRIM_400000_NS6detail17trampoline_kernelINS0_14default_configENS1_20scan_config_selectorItEEZZNS1_9scan_implILNS1_25lookback_scan_determinismE0ELb0ELb0ES3_N6thrust23THRUST_200600_302600_NS6detail15normal_iteratorINS9_10device_ptrItEEEESE_tNS9_4plusIvEEtEEDaPvRmT3_T4_T5_mT6_P12ihipStream_tbENKUlT_T0_E_clISt17integral_constantIbLb1EEST_IbLb0EEEEDaSP_SQ_EUlSP_E_NS1_11comp_targetILNS1_3genE0ELNS1_11target_archE4294967295ELNS1_3gpuE0ELNS1_3repE0EEENS1_30default_config_static_selectorELNS0_4arch9wavefront6targetE1EEEvT1_
	.globl	_ZN7rocprim17ROCPRIM_400000_NS6detail17trampoline_kernelINS0_14default_configENS1_20scan_config_selectorItEEZZNS1_9scan_implILNS1_25lookback_scan_determinismE0ELb0ELb0ES3_N6thrust23THRUST_200600_302600_NS6detail15normal_iteratorINS9_10device_ptrItEEEESE_tNS9_4plusIvEEtEEDaPvRmT3_T4_T5_mT6_P12ihipStream_tbENKUlT_T0_E_clISt17integral_constantIbLb1EEST_IbLb0EEEEDaSP_SQ_EUlSP_E_NS1_11comp_targetILNS1_3genE0ELNS1_11target_archE4294967295ELNS1_3gpuE0ELNS1_3repE0EEENS1_30default_config_static_selectorELNS0_4arch9wavefront6targetE1EEEvT1_
	.p2align	8
	.type	_ZN7rocprim17ROCPRIM_400000_NS6detail17trampoline_kernelINS0_14default_configENS1_20scan_config_selectorItEEZZNS1_9scan_implILNS1_25lookback_scan_determinismE0ELb0ELb0ES3_N6thrust23THRUST_200600_302600_NS6detail15normal_iteratorINS9_10device_ptrItEEEESE_tNS9_4plusIvEEtEEDaPvRmT3_T4_T5_mT6_P12ihipStream_tbENKUlT_T0_E_clISt17integral_constantIbLb1EEST_IbLb0EEEEDaSP_SQ_EUlSP_E_NS1_11comp_targetILNS1_3genE0ELNS1_11target_archE4294967295ELNS1_3gpuE0ELNS1_3repE0EEENS1_30default_config_static_selectorELNS0_4arch9wavefront6targetE1EEEvT1_,@function
_ZN7rocprim17ROCPRIM_400000_NS6detail17trampoline_kernelINS0_14default_configENS1_20scan_config_selectorItEEZZNS1_9scan_implILNS1_25lookback_scan_determinismE0ELb0ELb0ES3_N6thrust23THRUST_200600_302600_NS6detail15normal_iteratorINS9_10device_ptrItEEEESE_tNS9_4plusIvEEtEEDaPvRmT3_T4_T5_mT6_P12ihipStream_tbENKUlT_T0_E_clISt17integral_constantIbLb1EEST_IbLb0EEEEDaSP_SQ_EUlSP_E_NS1_11comp_targetILNS1_3genE0ELNS1_11target_archE4294967295ELNS1_3gpuE0ELNS1_3repE0EEENS1_30default_config_static_selectorELNS0_4arch9wavefront6targetE1EEEvT1_: ; @_ZN7rocprim17ROCPRIM_400000_NS6detail17trampoline_kernelINS0_14default_configENS1_20scan_config_selectorItEEZZNS1_9scan_implILNS1_25lookback_scan_determinismE0ELb0ELb0ES3_N6thrust23THRUST_200600_302600_NS6detail15normal_iteratorINS9_10device_ptrItEEEESE_tNS9_4plusIvEEtEEDaPvRmT3_T4_T5_mT6_P12ihipStream_tbENKUlT_T0_E_clISt17integral_constantIbLb1EEST_IbLb0EEEEDaSP_SQ_EUlSP_E_NS1_11comp_targetILNS1_3genE0ELNS1_11target_archE4294967295ELNS1_3gpuE0ELNS1_3repE0EEENS1_30default_config_static_selectorELNS0_4arch9wavefront6targetE1EEEvT1_
; %bb.0:
	.section	.rodata,"a",@progbits
	.p2align	6, 0x0
	.amdhsa_kernel _ZN7rocprim17ROCPRIM_400000_NS6detail17trampoline_kernelINS0_14default_configENS1_20scan_config_selectorItEEZZNS1_9scan_implILNS1_25lookback_scan_determinismE0ELb0ELb0ES3_N6thrust23THRUST_200600_302600_NS6detail15normal_iteratorINS9_10device_ptrItEEEESE_tNS9_4plusIvEEtEEDaPvRmT3_T4_T5_mT6_P12ihipStream_tbENKUlT_T0_E_clISt17integral_constantIbLb1EEST_IbLb0EEEEDaSP_SQ_EUlSP_E_NS1_11comp_targetILNS1_3genE0ELNS1_11target_archE4294967295ELNS1_3gpuE0ELNS1_3repE0EEENS1_30default_config_static_selectorELNS0_4arch9wavefront6targetE1EEEvT1_
		.amdhsa_group_segment_fixed_size 0
		.amdhsa_private_segment_fixed_size 0
		.amdhsa_kernarg_size 96
		.amdhsa_user_sgpr_count 6
		.amdhsa_user_sgpr_private_segment_buffer 1
		.amdhsa_user_sgpr_dispatch_ptr 0
		.amdhsa_user_sgpr_queue_ptr 0
		.amdhsa_user_sgpr_kernarg_segment_ptr 1
		.amdhsa_user_sgpr_dispatch_id 0
		.amdhsa_user_sgpr_flat_scratch_init 0
		.amdhsa_user_sgpr_kernarg_preload_length 0
		.amdhsa_user_sgpr_kernarg_preload_offset 0
		.amdhsa_user_sgpr_private_segment_size 0
		.amdhsa_uses_dynamic_stack 0
		.amdhsa_system_sgpr_private_segment_wavefront_offset 0
		.amdhsa_system_sgpr_workgroup_id_x 1
		.amdhsa_system_sgpr_workgroup_id_y 0
		.amdhsa_system_sgpr_workgroup_id_z 0
		.amdhsa_system_sgpr_workgroup_info 0
		.amdhsa_system_vgpr_workitem_id 0
		.amdhsa_next_free_vgpr 1
		.amdhsa_next_free_sgpr 0
		.amdhsa_accum_offset 4
		.amdhsa_reserve_vcc 0
		.amdhsa_reserve_flat_scratch 0
		.amdhsa_float_round_mode_32 0
		.amdhsa_float_round_mode_16_64 0
		.amdhsa_float_denorm_mode_32 3
		.amdhsa_float_denorm_mode_16_64 3
		.amdhsa_dx10_clamp 1
		.amdhsa_ieee_mode 1
		.amdhsa_fp16_overflow 0
		.amdhsa_tg_split 0
		.amdhsa_exception_fp_ieee_invalid_op 0
		.amdhsa_exception_fp_denorm_src 0
		.amdhsa_exception_fp_ieee_div_zero 0
		.amdhsa_exception_fp_ieee_overflow 0
		.amdhsa_exception_fp_ieee_underflow 0
		.amdhsa_exception_fp_ieee_inexact 0
		.amdhsa_exception_int_div_zero 0
	.end_amdhsa_kernel
	.section	.text._ZN7rocprim17ROCPRIM_400000_NS6detail17trampoline_kernelINS0_14default_configENS1_20scan_config_selectorItEEZZNS1_9scan_implILNS1_25lookback_scan_determinismE0ELb0ELb0ES3_N6thrust23THRUST_200600_302600_NS6detail15normal_iteratorINS9_10device_ptrItEEEESE_tNS9_4plusIvEEtEEDaPvRmT3_T4_T5_mT6_P12ihipStream_tbENKUlT_T0_E_clISt17integral_constantIbLb1EEST_IbLb0EEEEDaSP_SQ_EUlSP_E_NS1_11comp_targetILNS1_3genE0ELNS1_11target_archE4294967295ELNS1_3gpuE0ELNS1_3repE0EEENS1_30default_config_static_selectorELNS0_4arch9wavefront6targetE1EEEvT1_,"axG",@progbits,_ZN7rocprim17ROCPRIM_400000_NS6detail17trampoline_kernelINS0_14default_configENS1_20scan_config_selectorItEEZZNS1_9scan_implILNS1_25lookback_scan_determinismE0ELb0ELb0ES3_N6thrust23THRUST_200600_302600_NS6detail15normal_iteratorINS9_10device_ptrItEEEESE_tNS9_4plusIvEEtEEDaPvRmT3_T4_T5_mT6_P12ihipStream_tbENKUlT_T0_E_clISt17integral_constantIbLb1EEST_IbLb0EEEEDaSP_SQ_EUlSP_E_NS1_11comp_targetILNS1_3genE0ELNS1_11target_archE4294967295ELNS1_3gpuE0ELNS1_3repE0EEENS1_30default_config_static_selectorELNS0_4arch9wavefront6targetE1EEEvT1_,comdat
.Lfunc_end4754:
	.size	_ZN7rocprim17ROCPRIM_400000_NS6detail17trampoline_kernelINS0_14default_configENS1_20scan_config_selectorItEEZZNS1_9scan_implILNS1_25lookback_scan_determinismE0ELb0ELb0ES3_N6thrust23THRUST_200600_302600_NS6detail15normal_iteratorINS9_10device_ptrItEEEESE_tNS9_4plusIvEEtEEDaPvRmT3_T4_T5_mT6_P12ihipStream_tbENKUlT_T0_E_clISt17integral_constantIbLb1EEST_IbLb0EEEEDaSP_SQ_EUlSP_E_NS1_11comp_targetILNS1_3genE0ELNS1_11target_archE4294967295ELNS1_3gpuE0ELNS1_3repE0EEENS1_30default_config_static_selectorELNS0_4arch9wavefront6targetE1EEEvT1_, .Lfunc_end4754-_ZN7rocprim17ROCPRIM_400000_NS6detail17trampoline_kernelINS0_14default_configENS1_20scan_config_selectorItEEZZNS1_9scan_implILNS1_25lookback_scan_determinismE0ELb0ELb0ES3_N6thrust23THRUST_200600_302600_NS6detail15normal_iteratorINS9_10device_ptrItEEEESE_tNS9_4plusIvEEtEEDaPvRmT3_T4_T5_mT6_P12ihipStream_tbENKUlT_T0_E_clISt17integral_constantIbLb1EEST_IbLb0EEEEDaSP_SQ_EUlSP_E_NS1_11comp_targetILNS1_3genE0ELNS1_11target_archE4294967295ELNS1_3gpuE0ELNS1_3repE0EEENS1_30default_config_static_selectorELNS0_4arch9wavefront6targetE1EEEvT1_
                                        ; -- End function
	.section	.AMDGPU.csdata,"",@progbits
; Kernel info:
; codeLenInByte = 0
; NumSgprs: 4
; NumVgprs: 0
; NumAgprs: 0
; TotalNumVgprs: 0
; ScratchSize: 0
; MemoryBound: 0
; FloatMode: 240
; IeeeMode: 1
; LDSByteSize: 0 bytes/workgroup (compile time only)
; SGPRBlocks: 0
; VGPRBlocks: 0
; NumSGPRsForWavesPerEU: 4
; NumVGPRsForWavesPerEU: 1
; AccumOffset: 4
; Occupancy: 8
; WaveLimiterHint : 0
; COMPUTE_PGM_RSRC2:SCRATCH_EN: 0
; COMPUTE_PGM_RSRC2:USER_SGPR: 6
; COMPUTE_PGM_RSRC2:TRAP_HANDLER: 0
; COMPUTE_PGM_RSRC2:TGID_X_EN: 1
; COMPUTE_PGM_RSRC2:TGID_Y_EN: 0
; COMPUTE_PGM_RSRC2:TGID_Z_EN: 0
; COMPUTE_PGM_RSRC2:TIDIG_COMP_CNT: 0
; COMPUTE_PGM_RSRC3_GFX90A:ACCUM_OFFSET: 0
; COMPUTE_PGM_RSRC3_GFX90A:TG_SPLIT: 0
	.section	.text._ZN7rocprim17ROCPRIM_400000_NS6detail17trampoline_kernelINS0_14default_configENS1_20scan_config_selectorItEEZZNS1_9scan_implILNS1_25lookback_scan_determinismE0ELb0ELb0ES3_N6thrust23THRUST_200600_302600_NS6detail15normal_iteratorINS9_10device_ptrItEEEESE_tNS9_4plusIvEEtEEDaPvRmT3_T4_T5_mT6_P12ihipStream_tbENKUlT_T0_E_clISt17integral_constantIbLb1EEST_IbLb0EEEEDaSP_SQ_EUlSP_E_NS1_11comp_targetILNS1_3genE5ELNS1_11target_archE942ELNS1_3gpuE9ELNS1_3repE0EEENS1_30default_config_static_selectorELNS0_4arch9wavefront6targetE1EEEvT1_,"axG",@progbits,_ZN7rocprim17ROCPRIM_400000_NS6detail17trampoline_kernelINS0_14default_configENS1_20scan_config_selectorItEEZZNS1_9scan_implILNS1_25lookback_scan_determinismE0ELb0ELb0ES3_N6thrust23THRUST_200600_302600_NS6detail15normal_iteratorINS9_10device_ptrItEEEESE_tNS9_4plusIvEEtEEDaPvRmT3_T4_T5_mT6_P12ihipStream_tbENKUlT_T0_E_clISt17integral_constantIbLb1EEST_IbLb0EEEEDaSP_SQ_EUlSP_E_NS1_11comp_targetILNS1_3genE5ELNS1_11target_archE942ELNS1_3gpuE9ELNS1_3repE0EEENS1_30default_config_static_selectorELNS0_4arch9wavefront6targetE1EEEvT1_,comdat
	.protected	_ZN7rocprim17ROCPRIM_400000_NS6detail17trampoline_kernelINS0_14default_configENS1_20scan_config_selectorItEEZZNS1_9scan_implILNS1_25lookback_scan_determinismE0ELb0ELb0ES3_N6thrust23THRUST_200600_302600_NS6detail15normal_iteratorINS9_10device_ptrItEEEESE_tNS9_4plusIvEEtEEDaPvRmT3_T4_T5_mT6_P12ihipStream_tbENKUlT_T0_E_clISt17integral_constantIbLb1EEST_IbLb0EEEEDaSP_SQ_EUlSP_E_NS1_11comp_targetILNS1_3genE5ELNS1_11target_archE942ELNS1_3gpuE9ELNS1_3repE0EEENS1_30default_config_static_selectorELNS0_4arch9wavefront6targetE1EEEvT1_ ; -- Begin function _ZN7rocprim17ROCPRIM_400000_NS6detail17trampoline_kernelINS0_14default_configENS1_20scan_config_selectorItEEZZNS1_9scan_implILNS1_25lookback_scan_determinismE0ELb0ELb0ES3_N6thrust23THRUST_200600_302600_NS6detail15normal_iteratorINS9_10device_ptrItEEEESE_tNS9_4plusIvEEtEEDaPvRmT3_T4_T5_mT6_P12ihipStream_tbENKUlT_T0_E_clISt17integral_constantIbLb1EEST_IbLb0EEEEDaSP_SQ_EUlSP_E_NS1_11comp_targetILNS1_3genE5ELNS1_11target_archE942ELNS1_3gpuE9ELNS1_3repE0EEENS1_30default_config_static_selectorELNS0_4arch9wavefront6targetE1EEEvT1_
	.globl	_ZN7rocprim17ROCPRIM_400000_NS6detail17trampoline_kernelINS0_14default_configENS1_20scan_config_selectorItEEZZNS1_9scan_implILNS1_25lookback_scan_determinismE0ELb0ELb0ES3_N6thrust23THRUST_200600_302600_NS6detail15normal_iteratorINS9_10device_ptrItEEEESE_tNS9_4plusIvEEtEEDaPvRmT3_T4_T5_mT6_P12ihipStream_tbENKUlT_T0_E_clISt17integral_constantIbLb1EEST_IbLb0EEEEDaSP_SQ_EUlSP_E_NS1_11comp_targetILNS1_3genE5ELNS1_11target_archE942ELNS1_3gpuE9ELNS1_3repE0EEENS1_30default_config_static_selectorELNS0_4arch9wavefront6targetE1EEEvT1_
	.p2align	8
	.type	_ZN7rocprim17ROCPRIM_400000_NS6detail17trampoline_kernelINS0_14default_configENS1_20scan_config_selectorItEEZZNS1_9scan_implILNS1_25lookback_scan_determinismE0ELb0ELb0ES3_N6thrust23THRUST_200600_302600_NS6detail15normal_iteratorINS9_10device_ptrItEEEESE_tNS9_4plusIvEEtEEDaPvRmT3_T4_T5_mT6_P12ihipStream_tbENKUlT_T0_E_clISt17integral_constantIbLb1EEST_IbLb0EEEEDaSP_SQ_EUlSP_E_NS1_11comp_targetILNS1_3genE5ELNS1_11target_archE942ELNS1_3gpuE9ELNS1_3repE0EEENS1_30default_config_static_selectorELNS0_4arch9wavefront6targetE1EEEvT1_,@function
_ZN7rocprim17ROCPRIM_400000_NS6detail17trampoline_kernelINS0_14default_configENS1_20scan_config_selectorItEEZZNS1_9scan_implILNS1_25lookback_scan_determinismE0ELb0ELb0ES3_N6thrust23THRUST_200600_302600_NS6detail15normal_iteratorINS9_10device_ptrItEEEESE_tNS9_4plusIvEEtEEDaPvRmT3_T4_T5_mT6_P12ihipStream_tbENKUlT_T0_E_clISt17integral_constantIbLb1EEST_IbLb0EEEEDaSP_SQ_EUlSP_E_NS1_11comp_targetILNS1_3genE5ELNS1_11target_archE942ELNS1_3gpuE9ELNS1_3repE0EEENS1_30default_config_static_selectorELNS0_4arch9wavefront6targetE1EEEvT1_: ; @_ZN7rocprim17ROCPRIM_400000_NS6detail17trampoline_kernelINS0_14default_configENS1_20scan_config_selectorItEEZZNS1_9scan_implILNS1_25lookback_scan_determinismE0ELb0ELb0ES3_N6thrust23THRUST_200600_302600_NS6detail15normal_iteratorINS9_10device_ptrItEEEESE_tNS9_4plusIvEEtEEDaPvRmT3_T4_T5_mT6_P12ihipStream_tbENKUlT_T0_E_clISt17integral_constantIbLb1EEST_IbLb0EEEEDaSP_SQ_EUlSP_E_NS1_11comp_targetILNS1_3genE5ELNS1_11target_archE942ELNS1_3gpuE9ELNS1_3repE0EEENS1_30default_config_static_selectorELNS0_4arch9wavefront6targetE1EEEvT1_
; %bb.0:
	.section	.rodata,"a",@progbits
	.p2align	6, 0x0
	.amdhsa_kernel _ZN7rocprim17ROCPRIM_400000_NS6detail17trampoline_kernelINS0_14default_configENS1_20scan_config_selectorItEEZZNS1_9scan_implILNS1_25lookback_scan_determinismE0ELb0ELb0ES3_N6thrust23THRUST_200600_302600_NS6detail15normal_iteratorINS9_10device_ptrItEEEESE_tNS9_4plusIvEEtEEDaPvRmT3_T4_T5_mT6_P12ihipStream_tbENKUlT_T0_E_clISt17integral_constantIbLb1EEST_IbLb0EEEEDaSP_SQ_EUlSP_E_NS1_11comp_targetILNS1_3genE5ELNS1_11target_archE942ELNS1_3gpuE9ELNS1_3repE0EEENS1_30default_config_static_selectorELNS0_4arch9wavefront6targetE1EEEvT1_
		.amdhsa_group_segment_fixed_size 0
		.amdhsa_private_segment_fixed_size 0
		.amdhsa_kernarg_size 96
		.amdhsa_user_sgpr_count 6
		.amdhsa_user_sgpr_private_segment_buffer 1
		.amdhsa_user_sgpr_dispatch_ptr 0
		.amdhsa_user_sgpr_queue_ptr 0
		.amdhsa_user_sgpr_kernarg_segment_ptr 1
		.amdhsa_user_sgpr_dispatch_id 0
		.amdhsa_user_sgpr_flat_scratch_init 0
		.amdhsa_user_sgpr_kernarg_preload_length 0
		.amdhsa_user_sgpr_kernarg_preload_offset 0
		.amdhsa_user_sgpr_private_segment_size 0
		.amdhsa_uses_dynamic_stack 0
		.amdhsa_system_sgpr_private_segment_wavefront_offset 0
		.amdhsa_system_sgpr_workgroup_id_x 1
		.amdhsa_system_sgpr_workgroup_id_y 0
		.amdhsa_system_sgpr_workgroup_id_z 0
		.amdhsa_system_sgpr_workgroup_info 0
		.amdhsa_system_vgpr_workitem_id 0
		.amdhsa_next_free_vgpr 1
		.amdhsa_next_free_sgpr 0
		.amdhsa_accum_offset 4
		.amdhsa_reserve_vcc 0
		.amdhsa_reserve_flat_scratch 0
		.amdhsa_float_round_mode_32 0
		.amdhsa_float_round_mode_16_64 0
		.amdhsa_float_denorm_mode_32 3
		.amdhsa_float_denorm_mode_16_64 3
		.amdhsa_dx10_clamp 1
		.amdhsa_ieee_mode 1
		.amdhsa_fp16_overflow 0
		.amdhsa_tg_split 0
		.amdhsa_exception_fp_ieee_invalid_op 0
		.amdhsa_exception_fp_denorm_src 0
		.amdhsa_exception_fp_ieee_div_zero 0
		.amdhsa_exception_fp_ieee_overflow 0
		.amdhsa_exception_fp_ieee_underflow 0
		.amdhsa_exception_fp_ieee_inexact 0
		.amdhsa_exception_int_div_zero 0
	.end_amdhsa_kernel
	.section	.text._ZN7rocprim17ROCPRIM_400000_NS6detail17trampoline_kernelINS0_14default_configENS1_20scan_config_selectorItEEZZNS1_9scan_implILNS1_25lookback_scan_determinismE0ELb0ELb0ES3_N6thrust23THRUST_200600_302600_NS6detail15normal_iteratorINS9_10device_ptrItEEEESE_tNS9_4plusIvEEtEEDaPvRmT3_T4_T5_mT6_P12ihipStream_tbENKUlT_T0_E_clISt17integral_constantIbLb1EEST_IbLb0EEEEDaSP_SQ_EUlSP_E_NS1_11comp_targetILNS1_3genE5ELNS1_11target_archE942ELNS1_3gpuE9ELNS1_3repE0EEENS1_30default_config_static_selectorELNS0_4arch9wavefront6targetE1EEEvT1_,"axG",@progbits,_ZN7rocprim17ROCPRIM_400000_NS6detail17trampoline_kernelINS0_14default_configENS1_20scan_config_selectorItEEZZNS1_9scan_implILNS1_25lookback_scan_determinismE0ELb0ELb0ES3_N6thrust23THRUST_200600_302600_NS6detail15normal_iteratorINS9_10device_ptrItEEEESE_tNS9_4plusIvEEtEEDaPvRmT3_T4_T5_mT6_P12ihipStream_tbENKUlT_T0_E_clISt17integral_constantIbLb1EEST_IbLb0EEEEDaSP_SQ_EUlSP_E_NS1_11comp_targetILNS1_3genE5ELNS1_11target_archE942ELNS1_3gpuE9ELNS1_3repE0EEENS1_30default_config_static_selectorELNS0_4arch9wavefront6targetE1EEEvT1_,comdat
.Lfunc_end4755:
	.size	_ZN7rocprim17ROCPRIM_400000_NS6detail17trampoline_kernelINS0_14default_configENS1_20scan_config_selectorItEEZZNS1_9scan_implILNS1_25lookback_scan_determinismE0ELb0ELb0ES3_N6thrust23THRUST_200600_302600_NS6detail15normal_iteratorINS9_10device_ptrItEEEESE_tNS9_4plusIvEEtEEDaPvRmT3_T4_T5_mT6_P12ihipStream_tbENKUlT_T0_E_clISt17integral_constantIbLb1EEST_IbLb0EEEEDaSP_SQ_EUlSP_E_NS1_11comp_targetILNS1_3genE5ELNS1_11target_archE942ELNS1_3gpuE9ELNS1_3repE0EEENS1_30default_config_static_selectorELNS0_4arch9wavefront6targetE1EEEvT1_, .Lfunc_end4755-_ZN7rocprim17ROCPRIM_400000_NS6detail17trampoline_kernelINS0_14default_configENS1_20scan_config_selectorItEEZZNS1_9scan_implILNS1_25lookback_scan_determinismE0ELb0ELb0ES3_N6thrust23THRUST_200600_302600_NS6detail15normal_iteratorINS9_10device_ptrItEEEESE_tNS9_4plusIvEEtEEDaPvRmT3_T4_T5_mT6_P12ihipStream_tbENKUlT_T0_E_clISt17integral_constantIbLb1EEST_IbLb0EEEEDaSP_SQ_EUlSP_E_NS1_11comp_targetILNS1_3genE5ELNS1_11target_archE942ELNS1_3gpuE9ELNS1_3repE0EEENS1_30default_config_static_selectorELNS0_4arch9wavefront6targetE1EEEvT1_
                                        ; -- End function
	.section	.AMDGPU.csdata,"",@progbits
; Kernel info:
; codeLenInByte = 0
; NumSgprs: 4
; NumVgprs: 0
; NumAgprs: 0
; TotalNumVgprs: 0
; ScratchSize: 0
; MemoryBound: 0
; FloatMode: 240
; IeeeMode: 1
; LDSByteSize: 0 bytes/workgroup (compile time only)
; SGPRBlocks: 0
; VGPRBlocks: 0
; NumSGPRsForWavesPerEU: 4
; NumVGPRsForWavesPerEU: 1
; AccumOffset: 4
; Occupancy: 8
; WaveLimiterHint : 0
; COMPUTE_PGM_RSRC2:SCRATCH_EN: 0
; COMPUTE_PGM_RSRC2:USER_SGPR: 6
; COMPUTE_PGM_RSRC2:TRAP_HANDLER: 0
; COMPUTE_PGM_RSRC2:TGID_X_EN: 1
; COMPUTE_PGM_RSRC2:TGID_Y_EN: 0
; COMPUTE_PGM_RSRC2:TGID_Z_EN: 0
; COMPUTE_PGM_RSRC2:TIDIG_COMP_CNT: 0
; COMPUTE_PGM_RSRC3_GFX90A:ACCUM_OFFSET: 0
; COMPUTE_PGM_RSRC3_GFX90A:TG_SPLIT: 0
	.section	.text._ZN7rocprim17ROCPRIM_400000_NS6detail17trampoline_kernelINS0_14default_configENS1_20scan_config_selectorItEEZZNS1_9scan_implILNS1_25lookback_scan_determinismE0ELb0ELb0ES3_N6thrust23THRUST_200600_302600_NS6detail15normal_iteratorINS9_10device_ptrItEEEESE_tNS9_4plusIvEEtEEDaPvRmT3_T4_T5_mT6_P12ihipStream_tbENKUlT_T0_E_clISt17integral_constantIbLb1EEST_IbLb0EEEEDaSP_SQ_EUlSP_E_NS1_11comp_targetILNS1_3genE4ELNS1_11target_archE910ELNS1_3gpuE8ELNS1_3repE0EEENS1_30default_config_static_selectorELNS0_4arch9wavefront6targetE1EEEvT1_,"axG",@progbits,_ZN7rocprim17ROCPRIM_400000_NS6detail17trampoline_kernelINS0_14default_configENS1_20scan_config_selectorItEEZZNS1_9scan_implILNS1_25lookback_scan_determinismE0ELb0ELb0ES3_N6thrust23THRUST_200600_302600_NS6detail15normal_iteratorINS9_10device_ptrItEEEESE_tNS9_4plusIvEEtEEDaPvRmT3_T4_T5_mT6_P12ihipStream_tbENKUlT_T0_E_clISt17integral_constantIbLb1EEST_IbLb0EEEEDaSP_SQ_EUlSP_E_NS1_11comp_targetILNS1_3genE4ELNS1_11target_archE910ELNS1_3gpuE8ELNS1_3repE0EEENS1_30default_config_static_selectorELNS0_4arch9wavefront6targetE1EEEvT1_,comdat
	.protected	_ZN7rocprim17ROCPRIM_400000_NS6detail17trampoline_kernelINS0_14default_configENS1_20scan_config_selectorItEEZZNS1_9scan_implILNS1_25lookback_scan_determinismE0ELb0ELb0ES3_N6thrust23THRUST_200600_302600_NS6detail15normal_iteratorINS9_10device_ptrItEEEESE_tNS9_4plusIvEEtEEDaPvRmT3_T4_T5_mT6_P12ihipStream_tbENKUlT_T0_E_clISt17integral_constantIbLb1EEST_IbLb0EEEEDaSP_SQ_EUlSP_E_NS1_11comp_targetILNS1_3genE4ELNS1_11target_archE910ELNS1_3gpuE8ELNS1_3repE0EEENS1_30default_config_static_selectorELNS0_4arch9wavefront6targetE1EEEvT1_ ; -- Begin function _ZN7rocprim17ROCPRIM_400000_NS6detail17trampoline_kernelINS0_14default_configENS1_20scan_config_selectorItEEZZNS1_9scan_implILNS1_25lookback_scan_determinismE0ELb0ELb0ES3_N6thrust23THRUST_200600_302600_NS6detail15normal_iteratorINS9_10device_ptrItEEEESE_tNS9_4plusIvEEtEEDaPvRmT3_T4_T5_mT6_P12ihipStream_tbENKUlT_T0_E_clISt17integral_constantIbLb1EEST_IbLb0EEEEDaSP_SQ_EUlSP_E_NS1_11comp_targetILNS1_3genE4ELNS1_11target_archE910ELNS1_3gpuE8ELNS1_3repE0EEENS1_30default_config_static_selectorELNS0_4arch9wavefront6targetE1EEEvT1_
	.globl	_ZN7rocprim17ROCPRIM_400000_NS6detail17trampoline_kernelINS0_14default_configENS1_20scan_config_selectorItEEZZNS1_9scan_implILNS1_25lookback_scan_determinismE0ELb0ELb0ES3_N6thrust23THRUST_200600_302600_NS6detail15normal_iteratorINS9_10device_ptrItEEEESE_tNS9_4plusIvEEtEEDaPvRmT3_T4_T5_mT6_P12ihipStream_tbENKUlT_T0_E_clISt17integral_constantIbLb1EEST_IbLb0EEEEDaSP_SQ_EUlSP_E_NS1_11comp_targetILNS1_3genE4ELNS1_11target_archE910ELNS1_3gpuE8ELNS1_3repE0EEENS1_30default_config_static_selectorELNS0_4arch9wavefront6targetE1EEEvT1_
	.p2align	8
	.type	_ZN7rocprim17ROCPRIM_400000_NS6detail17trampoline_kernelINS0_14default_configENS1_20scan_config_selectorItEEZZNS1_9scan_implILNS1_25lookback_scan_determinismE0ELb0ELb0ES3_N6thrust23THRUST_200600_302600_NS6detail15normal_iteratorINS9_10device_ptrItEEEESE_tNS9_4plusIvEEtEEDaPvRmT3_T4_T5_mT6_P12ihipStream_tbENKUlT_T0_E_clISt17integral_constantIbLb1EEST_IbLb0EEEEDaSP_SQ_EUlSP_E_NS1_11comp_targetILNS1_3genE4ELNS1_11target_archE910ELNS1_3gpuE8ELNS1_3repE0EEENS1_30default_config_static_selectorELNS0_4arch9wavefront6targetE1EEEvT1_,@function
_ZN7rocprim17ROCPRIM_400000_NS6detail17trampoline_kernelINS0_14default_configENS1_20scan_config_selectorItEEZZNS1_9scan_implILNS1_25lookback_scan_determinismE0ELb0ELb0ES3_N6thrust23THRUST_200600_302600_NS6detail15normal_iteratorINS9_10device_ptrItEEEESE_tNS9_4plusIvEEtEEDaPvRmT3_T4_T5_mT6_P12ihipStream_tbENKUlT_T0_E_clISt17integral_constantIbLb1EEST_IbLb0EEEEDaSP_SQ_EUlSP_E_NS1_11comp_targetILNS1_3genE4ELNS1_11target_archE910ELNS1_3gpuE8ELNS1_3repE0EEENS1_30default_config_static_selectorELNS0_4arch9wavefront6targetE1EEEvT1_: ; @_ZN7rocprim17ROCPRIM_400000_NS6detail17trampoline_kernelINS0_14default_configENS1_20scan_config_selectorItEEZZNS1_9scan_implILNS1_25lookback_scan_determinismE0ELb0ELb0ES3_N6thrust23THRUST_200600_302600_NS6detail15normal_iteratorINS9_10device_ptrItEEEESE_tNS9_4plusIvEEtEEDaPvRmT3_T4_T5_mT6_P12ihipStream_tbENKUlT_T0_E_clISt17integral_constantIbLb1EEST_IbLb0EEEEDaSP_SQ_EUlSP_E_NS1_11comp_targetILNS1_3genE4ELNS1_11target_archE910ELNS1_3gpuE8ELNS1_3repE0EEENS1_30default_config_static_selectorELNS0_4arch9wavefront6targetE1EEEvT1_
; %bb.0:
	s_load_dwordx8 s[8:15], s[4:5], 0x0
	s_load_dword s1, s[4:5], 0x30
	s_mul_i32 s0, s6, 0x600
	v_lshlrev_b32_e32 v20, 1, v0
	s_waitcnt lgkmcnt(0)
	s_lshl_b64 s[16:17], s[10:11], 1
	s_add_u32 s2, s8, s16
	s_addc_u32 s3, s9, s17
	s_add_i32 s7, s1, -1
	s_mul_i32 s8, s7, 0x600
	s_sub_u32 s22, s14, s8
	s_subb_u32 s23, s15, 0
	s_mov_b32 s1, 0
	s_cmp_lg_u32 s6, s7
	s_cselect_b64 s[14:15], -1, 0
	s_lshl_b64 s[18:19], s[0:1], 1
	s_add_u32 s2, s2, s18
	s_addc_u32 s3, s3, s19
	s_mov_b64 s[0:1], -1
	s_and_b64 vcc, exec, s[14:15]
	s_cbranch_vccz .LBB4756_2
; %bb.1:
	v_mov_b32_e32 v1, s3
	v_add_co_u32_e32 v2, vcc, s2, v20
	v_addc_co_u32_e32 v3, vcc, 0, v1, vcc
	flat_load_ushort v1, v[2:3]
	flat_load_ushort v4, v[2:3] offset:128
	flat_load_ushort v5, v[2:3] offset:256
	;; [unrolled: 1-line block ×23, first 2 shown]
	s_mov_b64 s[0:1], 0
	s_waitcnt vmcnt(0) lgkmcnt(0)
	ds_write_b16 v20, v1
	ds_write_b16 v20, v4 offset:128
	ds_write_b16 v20, v5 offset:256
	;; [unrolled: 1-line block ×23, first 2 shown]
	s_waitcnt lgkmcnt(0)
	; wave barrier
.LBB4756_2:
	s_load_dwordx2 s[20:21], s[4:5], 0x28
	s_andn2_b64 vcc, exec, s[0:1]
	v_cmp_gt_u32_e64 s[0:1], s22, v0
	s_cbranch_vccnz .LBB4756_52
; %bb.3:
	v_pk_mov_b32 v[2:3], s[2:3], s[2:3] op_sel:[0,1]
	flat_load_ushort v1, v[2:3]
	s_waitcnt vmcnt(0) lgkmcnt(0)
	v_mov_b32_e32 v2, v1
	s_and_saveexec_b64 s[8:9], s[0:1]
	s_cbranch_execz .LBB4756_5
; %bb.4:
	v_mov_b32_e32 v3, s3
	v_add_co_u32_e32 v2, vcc, s2, v20
	v_addc_co_u32_e32 v3, vcc, 0, v3, vcc
	flat_load_ushort v2, v[2:3]
.LBB4756_5:
	s_or_b64 exec, exec, s[8:9]
	v_or_b32_e32 v3, 64, v0
	v_cmp_gt_u32_e32 vcc, s22, v3
	v_mov_b32_e32 v3, v1
	s_and_saveexec_b64 s[0:1], vcc
	s_cbranch_execz .LBB4756_7
; %bb.6:
	v_mov_b32_e32 v3, s3
	v_add_co_u32_e32 v4, vcc, s2, v20
	v_addc_co_u32_e32 v5, vcc, 0, v3, vcc
	flat_load_ushort v3, v[4:5] offset:128
.LBB4756_7:
	s_or_b64 exec, exec, s[0:1]
	v_or_b32_e32 v4, 0x80, v0
	v_cmp_gt_u32_e32 vcc, s22, v4
	v_mov_b32_e32 v4, v1
	s_and_saveexec_b64 s[0:1], vcc
	s_cbranch_execz .LBB4756_9
; %bb.8:
	v_mov_b32_e32 v5, s3
	v_add_co_u32_e32 v4, vcc, s2, v20
	v_addc_co_u32_e32 v5, vcc, 0, v5, vcc
	flat_load_ushort v4, v[4:5] offset:256
.LBB4756_9:
	;; [unrolled: 12-line block ×22, first 2 shown]
	s_or_b64 exec, exec, s[0:1]
	v_or_b32_e32 v26, 0x5c0, v0
	v_cmp_gt_u32_e32 vcc, s22, v26
	s_and_saveexec_b64 s[0:1], vcc
	s_cbranch_execz .LBB4756_51
; %bb.50:
	v_mov_b32_e32 v1, s3
	v_add_co_u32_e32 v26, vcc, s2, v20
	v_addc_co_u32_e32 v27, vcc, 0, v1, vcc
	flat_load_ushort v1, v[26:27] offset:2944
.LBB4756_51:
	s_or_b64 exec, exec, s[0:1]
	s_waitcnt vmcnt(0) lgkmcnt(0)
	ds_write_b16 v20, v2
	ds_write_b16 v20, v3 offset:128
	ds_write_b16 v20, v4 offset:256
	;; [unrolled: 1-line block ×23, first 2 shown]
	s_waitcnt lgkmcnt(0)
	; wave barrier
.LBB4756_52:
	v_mul_u32_u24_e32 v21, 24, v0
	v_lshlrev_b32_e32 v1, 1, v21
	s_waitcnt lgkmcnt(0)
	ds_read_b128 v[10:13], v1
	ds_read_b128 v[6:9], v1 offset:16
	ds_read_b128 v[2:5], v1 offset:32
	s_cmp_lg_u32 s6, 0
	v_mbcnt_lo_u32_b32 v22, -1, 0
	v_cmp_eq_u32_e32 vcc, 63, v0
	s_waitcnt lgkmcnt(0)
	; wave barrier
	s_waitcnt lgkmcnt(0)
	s_cbranch_scc0 .LBB4756_79
; %bb.53:
	v_add_u16_sdwa v14, v10, v10 dst_sel:DWORD dst_unused:UNUSED_PAD src0_sel:WORD_1 src1_sel:DWORD
	v_add_u16_e32 v14, v14, v11
	v_add_u16_sdwa v14, v14, v11 dst_sel:DWORD dst_unused:UNUSED_PAD src0_sel:DWORD src1_sel:WORD_1
	v_add_u16_e32 v14, v14, v12
	v_add_u16_sdwa v14, v14, v12 dst_sel:DWORD dst_unused:UNUSED_PAD src0_sel:DWORD src1_sel:WORD_1
	;; [unrolled: 2-line block ×10, first 2 shown]
	v_add_u16_e32 v14, v14, v5
	v_mbcnt_hi_u32_b32 v15, -1, v22
	v_add_u16_sdwa v14, v14, v5 dst_sel:DWORD dst_unused:UNUSED_PAD src0_sel:DWORD src1_sel:WORD_1
	v_and_b32_e32 v16, 15, v15
	v_cmp_ne_u32_e64 s[0:1], 0, v16
	v_mov_b32_dpp v17, v14 row_shr:1 row_mask:0xf bank_mask:0xf
	v_cndmask_b32_e64 v17, 0, v17, s[0:1]
	v_add_u16_e32 v14, v17, v14
	v_cmp_lt_u32_e64 s[0:1], 1, v16
	s_nop 0
	v_mov_b32_dpp v17, v14 row_shr:2 row_mask:0xf bank_mask:0xf
	v_cndmask_b32_e64 v17, 0, v17, s[0:1]
	v_add_u16_e32 v14, v14, v17
	v_cmp_lt_u32_e64 s[0:1], 3, v16
	s_nop 0
	;; [unrolled: 5-line block ×3, first 2 shown]
	v_mov_b32_dpp v17, v14 row_shr:8 row_mask:0xf bank_mask:0xf
	v_cndmask_b32_e64 v16, 0, v17, s[0:1]
	v_add_u16_e32 v14, v14, v16
	v_and_b32_e32 v17, 16, v15
	v_cmp_ne_u32_e64 s[0:1], 0, v17
	v_mov_b32_dpp v16, v14 row_bcast:15 row_mask:0xf bank_mask:0xf
	v_cndmask_b32_e64 v16, 0, v16, s[0:1]
	v_add_u16_e32 v14, v14, v16
	v_cmp_lt_u32_e64 s[0:1], 31, v15
	s_nop 0
	v_mov_b32_dpp v16, v14 row_bcast:31 row_mask:0xf bank_mask:0xf
	v_cndmask_b32_e64 v16, 0, v16, s[0:1]
	v_add_u16_e32 v14, v14, v16
	s_and_saveexec_b64 s[0:1], vcc
	s_cbranch_execz .LBB4756_55
; %bb.54:
	v_mov_b32_e32 v16, 0
	ds_write_b16 v16, v14
.LBB4756_55:
	s_or_b64 exec, exec, s[0:1]
	v_add_u32_e32 v16, -1, v15
	v_and_b32_e32 v17, 64, v15
	v_cmp_lt_i32_e32 vcc, v16, v17
	v_cndmask_b32_e32 v16, v16, v15, vcc
	v_lshlrev_b32_e32 v16, 2, v16
	ds_bpermute_b32 v23, v16, v14
	v_cmp_gt_u32_e32 vcc, 64, v0
	s_waitcnt lgkmcnt(0)
	; wave barrier
	s_waitcnt lgkmcnt(0)
	s_and_saveexec_b64 s[10:11], vcc
	s_cbranch_execz .LBB4756_78
; %bb.56:
	v_mov_b32_e32 v19, 0
	ds_read_u16 v24, v19
	s_mov_b32 s9, 0
	v_cmp_eq_u32_e64 s[0:1], 0, v15
	s_and_saveexec_b64 s[2:3], s[0:1]
	s_cbranch_execz .LBB4756_58
; %bb.57:
	s_add_i32 s8, s6, 64
	s_lshl_b64 s[8:9], s[8:9], 2
	s_add_u32 s8, s20, s8
	s_waitcnt lgkmcnt(0)
	v_or_b32_e32 v14, 0x10000, v24
	s_addc_u32 s9, s21, s9
	global_store_dword v19, v14, s[8:9]
.LBB4756_58:
	s_or_b64 exec, exec, s[2:3]
	v_xad_u32 v14, v15, -1, s6
	v_add_u32_e32 v18, 64, v14
	v_lshlrev_b64 v[16:17], 2, v[18:19]
	v_mov_b32_e32 v18, s21
	v_add_co_u32_e32 v16, vcc, s20, v16
	v_addc_co_u32_e32 v17, vcc, v18, v17, vcc
	global_load_dword v18, v[16:17], off glc
	s_waitcnt vmcnt(0)
	v_lshrrev_b32_e32 v28, 16, v18
	v_cmp_eq_u16_sdwa s[8:9], v28, v19 src0_sel:BYTE_0 src1_sel:DWORD
	s_and_saveexec_b64 s[2:3], s[8:9]
	s_cbranch_execz .LBB4756_64
; %bb.59:
	s_mov_b32 s7, 1
	s_mov_b64 s[8:9], 0
	v_mov_b32_e32 v19, 0
.LBB4756_60:                            ; =>This Loop Header: Depth=1
                                        ;     Child Loop BB4756_61 Depth 2
	s_max_u32 s24, s7, 1
.LBB4756_61:                            ;   Parent Loop BB4756_60 Depth=1
                                        ; =>  This Inner Loop Header: Depth=2
	s_add_i32 s24, s24, -1
	s_cmp_eq_u32 s24, 0
	s_sleep 1
	s_cbranch_scc0 .LBB4756_61
; %bb.62:                               ;   in Loop: Header=BB4756_60 Depth=1
	global_load_dword v18, v[16:17], off glc
	s_cmp_lt_u32 s7, 32
	s_cselect_b64 s[24:25], -1, 0
	s_cmp_lg_u64 s[24:25], 0
	s_addc_u32 s7, s7, 0
	s_waitcnt vmcnt(0)
	v_lshrrev_b32_e32 v28, 16, v18
	v_cmp_ne_u16_sdwa s[24:25], v28, v19 src0_sel:BYTE_0 src1_sel:DWORD
	s_or_b64 s[8:9], s[24:25], s[8:9]
	s_andn2_b64 exec, exec, s[8:9]
	s_cbranch_execnz .LBB4756_60
; %bb.63:
	s_or_b64 exec, exec, s[8:9]
.LBB4756_64:
	s_or_b64 exec, exec, s[2:3]
	v_and_b32_e32 v26, 63, v15
	v_cmp_ne_u32_e32 vcc, 63, v26
	v_mov_b32_e32 v25, 2
	v_addc_co_u32_e32 v27, vcc, 0, v15, vcc
	v_cmp_eq_u16_sdwa s[2:3], v28, v25 src0_sel:BYTE_0 src1_sel:DWORD
	v_lshlrev_b64 v[16:17], v15, -1
	v_and_b32_e32 v30, 0xffff, v18
	v_lshlrev_b32_e32 v27, 2, v27
	v_and_b32_e32 v19, s3, v17
	ds_bpermute_b32 v31, v27, v30
	v_or_b32_e32 v19, 0x80000000, v19
	v_and_b32_e32 v29, s2, v16
	v_ffbl_b32_e32 v19, v19
	v_add_u32_e32 v19, 32, v19
	v_ffbl_b32_e32 v29, v29
	v_cmp_gt_u32_e64 s[2:3], 62, v26
	v_min_u32_e32 v19, v29, v19
	v_cndmask_b32_e64 v29, 0, 1, s[2:3]
	s_waitcnt lgkmcnt(0)
	v_add_u16_e32 v31, v31, v18
	v_cmp_lt_u32_e32 vcc, v26, v19
	v_lshlrev_b32_e32 v29, 1, v29
	v_cndmask_b32_e32 v32, v30, v31, vcc
	v_add_lshl_u32 v29, v29, v15, 2
	ds_bpermute_b32 v33, v29, v32
	v_cmp_gt_u32_e64 s[8:9], 60, v26
	v_cndmask_b32_e32 v34, v18, v31, vcc
	v_add_u32_e32 v30, 2, v26
	v_cndmask_b32_e64 v31, 0, 1, s[8:9]
	s_waitcnt lgkmcnt(0)
	v_add_u16_e32 v33, v34, v33
	v_cmp_gt_u32_e64 s[2:3], v30, v19
	v_lshlrev_b32_e32 v31, 2, v31
	v_cndmask_b32_e64 v35, v33, v32, s[2:3]
	v_add_lshl_u32 v31, v31, v15, 2
	ds_bpermute_b32 v36, v31, v35
	v_cmp_gt_u32_e64 s[8:9], 56, v26
	v_cndmask_b32_e64 v34, v33, v34, s[2:3]
	v_add_u32_e32 v32, 4, v26
	v_cndmask_b32_e64 v33, 0, 1, s[8:9]
	s_waitcnt lgkmcnt(0)
	v_add_u16_e32 v36, v34, v36
	v_cmp_gt_u32_e64 s[2:3], v32, v19
	v_lshlrev_b32_e32 v33, 3, v33
	v_cndmask_b32_e64 v35, v36, v35, s[2:3]
	v_add_lshl_u32 v33, v33, v15, 2
	ds_bpermute_b32 v37, v33, v35
	v_cndmask_b32_e64 v36, v36, v34, s[2:3]
	v_add_u32_e32 v34, 8, v26
	v_cmp_gt_u32_e64 s[2:3], v34, v19
	v_cmp_gt_u32_e64 s[8:9], 48, v26
	s_waitcnt lgkmcnt(0)
	v_add_u16_e32 v37, v36, v37
	v_cndmask_b32_e64 v38, v37, v35, s[2:3]
	v_cndmask_b32_e64 v35, 0, 1, s[8:9]
	v_lshlrev_b32_e32 v35, 4, v35
	v_add_lshl_u32 v35, v35, v15, 2
	ds_bpermute_b32 v39, v35, v38
	v_cndmask_b32_e64 v37, v37, v36, s[2:3]
	v_add_u32_e32 v36, 16, v26
	v_cmp_gt_u32_e64 s[2:3], v36, v19
	v_cmp_gt_u32_e64 s[8:9], 32, v26
	s_waitcnt lgkmcnt(0)
	v_add_u16_e32 v40, v37, v39
	v_cndmask_b32_e64 v39, v40, v38, s[2:3]
	v_cndmask_b32_e64 v38, 0, 1, s[8:9]
	v_lshlrev_b32_e32 v38, 5, v38
	v_add_lshl_u32 v38, v38, v15, 2
	ds_bpermute_b32 v15, v38, v39
	v_add_u32_e32 v39, 32, v26
	v_cndmask_b32_e64 v37, v40, v37, s[2:3]
	v_cmp_le_u32_e64 s[2:3], v39, v19
	s_waitcnt lgkmcnt(0)
	v_cndmask_b32_e64 v15, 0, v15, s[2:3]
	v_add_u16_e32 v15, v37, v15
	v_cndmask_b32_e32 v18, v18, v15, vcc
	v_mov_b32_e32 v15, 0
	s_branch .LBB4756_66
.LBB4756_65:                            ;   in Loop: Header=BB4756_66 Depth=1
	s_or_b64 exec, exec, s[2:3]
	v_cmp_eq_u16_sdwa s[2:3], v28, v25 src0_sel:BYTE_0 src1_sel:DWORD
	v_and_b32_e32 v41, 0xffff, v40
	v_and_b32_e32 v18, s3, v17
	ds_bpermute_b32 v42, v27, v41
	v_or_b32_e32 v18, 0x80000000, v18
	v_and_b32_e32 v19, s2, v16
	v_ffbl_b32_e32 v18, v18
	v_add_u32_e32 v18, 32, v18
	v_ffbl_b32_e32 v19, v19
	v_min_u32_e32 v18, v19, v18
	s_waitcnt lgkmcnt(0)
	v_add_u16_e32 v19, v42, v40
	v_cmp_lt_u32_e32 vcc, v26, v18
	v_cndmask_b32_e32 v41, v41, v19, vcc
	ds_bpermute_b32 v42, v29, v41
	v_cndmask_b32_e32 v19, v40, v19, vcc
	v_cmp_gt_u32_e64 s[2:3], v30, v18
	v_subrev_u32_e32 v14, 64, v14
	s_waitcnt lgkmcnt(0)
	v_add_u16_e32 v42, v19, v42
	v_cndmask_b32_e64 v41, v42, v41, s[2:3]
	ds_bpermute_b32 v43, v31, v41
	v_cndmask_b32_e64 v19, v42, v19, s[2:3]
	v_cmp_gt_u32_e64 s[2:3], v32, v18
	s_waitcnt lgkmcnt(0)
	v_add_u16_e32 v42, v19, v43
	v_cndmask_b32_e64 v41, v42, v41, s[2:3]
	ds_bpermute_b32 v43, v33, v41
	v_cndmask_b32_e64 v19, v42, v19, s[2:3]
	v_cmp_gt_u32_e64 s[2:3], v34, v18
	;; [unrolled: 6-line block ×3, first 2 shown]
	s_waitcnt lgkmcnt(0)
	v_add_u16_e32 v42, v19, v43
	v_cndmask_b32_e64 v41, v42, v41, s[2:3]
	ds_bpermute_b32 v41, v38, v41
	v_cndmask_b32_e64 v19, v42, v19, s[2:3]
	v_cmp_le_u32_e64 s[2:3], v39, v18
	s_waitcnt lgkmcnt(0)
	v_cndmask_b32_e64 v18, 0, v41, s[2:3]
	v_add_u16_e32 v18, v19, v18
	v_cndmask_b32_e32 v18, v40, v18, vcc
	v_add_u16_e32 v18, v18, v37
.LBB4756_66:                            ; =>This Loop Header: Depth=1
                                        ;     Child Loop BB4756_69 Depth 2
                                        ;       Child Loop BB4756_70 Depth 3
	v_cmp_ne_u16_sdwa s[2:3], v28, v25 src0_sel:BYTE_0 src1_sel:DWORD
	v_cndmask_b32_e64 v19, 0, 1, s[2:3]
	;;#ASMSTART
	;;#ASMEND
	v_cmp_ne_u32_e32 vcc, 0, v19
	s_cmp_lg_u64 vcc, exec
	v_mov_b32_e32 v37, v18
	s_cbranch_scc1 .LBB4756_73
; %bb.67:                               ;   in Loop: Header=BB4756_66 Depth=1
	v_lshlrev_b64 v[18:19], 2, v[14:15]
	v_mov_b32_e32 v28, s21
	v_add_co_u32_e32 v18, vcc, s20, v18
	v_addc_co_u32_e32 v19, vcc, v28, v19, vcc
	global_load_dword v40, v[18:19], off glc
	s_waitcnt vmcnt(0)
	v_lshrrev_b32_e32 v28, 16, v40
	v_cmp_eq_u16_sdwa s[8:9], v28, v15 src0_sel:BYTE_0 src1_sel:DWORD
	s_and_saveexec_b64 s[2:3], s[8:9]
	s_cbranch_execz .LBB4756_65
; %bb.68:                               ;   in Loop: Header=BB4756_66 Depth=1
	s_mov_b32 s7, 1
	s_mov_b64 s[8:9], 0
.LBB4756_69:                            ;   Parent Loop BB4756_66 Depth=1
                                        ; =>  This Loop Header: Depth=2
                                        ;       Child Loop BB4756_70 Depth 3
	s_max_u32 s24, s7, 1
.LBB4756_70:                            ;   Parent Loop BB4756_66 Depth=1
                                        ;     Parent Loop BB4756_69 Depth=2
                                        ; =>    This Inner Loop Header: Depth=3
	s_add_i32 s24, s24, -1
	s_cmp_eq_u32 s24, 0
	s_sleep 1
	s_cbranch_scc0 .LBB4756_70
; %bb.71:                               ;   in Loop: Header=BB4756_69 Depth=2
	global_load_dword v40, v[18:19], off glc
	s_cmp_lt_u32 s7, 32
	s_cselect_b64 s[24:25], -1, 0
	s_cmp_lg_u64 s[24:25], 0
	s_addc_u32 s7, s7, 0
	s_waitcnt vmcnt(0)
	v_lshrrev_b32_e32 v28, 16, v40
	v_cmp_ne_u16_sdwa s[24:25], v28, v15 src0_sel:BYTE_0 src1_sel:DWORD
	s_or_b64 s[8:9], s[24:25], s[8:9]
	s_andn2_b64 exec, exec, s[8:9]
	s_cbranch_execnz .LBB4756_69
; %bb.72:                               ;   in Loop: Header=BB4756_66 Depth=1
	s_or_b64 exec, exec, s[8:9]
	s_branch .LBB4756_65
.LBB4756_73:                            ;   in Loop: Header=BB4756_66 Depth=1
                                        ; implicit-def: $vgpr18
                                        ; implicit-def: $vgpr28
	s_cbranch_execz .LBB4756_66
; %bb.74:
	s_and_saveexec_b64 s[2:3], s[0:1]
	s_cbranch_execz .LBB4756_76
; %bb.75:
	s_add_i32 s0, s6, 64
	s_mov_b32 s1, 0
	s_lshl_b64 s[0:1], s[0:1], 2
	v_add_u16_e32 v14, v37, v24
	s_add_u32 s0, s20, s0
	v_or_b32_e32 v14, 0x20000, v14
	s_addc_u32 s1, s21, s1
	v_mov_b32_e32 v15, 0
	global_store_dword v15, v14, s[0:1]
.LBB4756_76:
	s_or_b64 exec, exec, s[2:3]
	v_cmp_eq_u32_e32 vcc, 0, v0
	s_and_b64 exec, exec, vcc
	s_cbranch_execz .LBB4756_78
; %bb.77:
	v_mov_b32_e32 v14, 0
	ds_write_b16 v14, v37
.LBB4756_78:
	s_or_b64 exec, exec, s[10:11]
	v_mov_b32_e32 v14, 0
	s_waitcnt lgkmcnt(0)
	; wave barrier
	s_waitcnt lgkmcnt(0)
	ds_read_u16 v14, v14
	v_cmp_ne_u32_e32 vcc, 0, v0
	v_cndmask_b32_e32 v15, 0, v23, vcc
	v_add_u16_e32 v15, v15, v10
	s_waitcnt lgkmcnt(0)
	v_add_u16_e32 v14, v15, v14
	v_add_u16_sdwa v15, v14, v10 dst_sel:DWORD dst_unused:UNUSED_PAD src0_sel:DWORD src1_sel:WORD_1
	v_add_u16_e32 v16, v15, v11
	v_add_u16_sdwa v17, v16, v11 dst_sel:DWORD dst_unused:UNUSED_PAD src0_sel:DWORD src1_sel:WORD_1
	;; [unrolled: 2-line block ×12, first 2 shown]
	s_load_dwordx8 s[4:11], s[4:5], 0x38
	s_branch .LBB4756_89
.LBB4756_79:
                                        ; implicit-def: $vgpr14
                                        ; implicit-def: $vgpr15
                                        ; implicit-def: $vgpr16
                                        ; implicit-def: $vgpr17
                                        ; implicit-def: $vgpr18
                                        ; implicit-def: $vgpr19
                                        ; implicit-def: $vgpr24
                                        ; implicit-def: $vgpr26
                                        ; implicit-def: $vgpr23
                                        ; implicit-def: $vgpr25
                                        ; implicit-def: $vgpr27
                                        ; implicit-def: $vgpr28
                                        ; implicit-def: $vgpr29
                                        ; implicit-def: $vgpr30
                                        ; implicit-def: $vgpr32
                                        ; implicit-def: $vgpr34
                                        ; implicit-def: $vgpr31
                                        ; implicit-def: $vgpr33
                                        ; implicit-def: $vgpr35
                                        ; implicit-def: $vgpr36
                                        ; implicit-def: $vgpr37
                                        ; implicit-def: $vgpr38
                                        ; implicit-def: $vgpr39
                                        ; implicit-def: $vgpr40
	s_load_dwordx8 s[4:11], s[4:5], 0x38
	s_cbranch_execz .LBB4756_89
; %bb.80:
	s_waitcnt lgkmcnt(0)
	s_cmp_lg_u64 s[8:9], 0
	s_cselect_b64 s[2:3], -1, 0
	v_cmp_eq_u32_e32 vcc, 0, v0
	v_cmp_ne_u32_e64 s[0:1], 0, v0
	s_and_b64 s[8:9], vcc, s[2:3]
	v_mov_b32_e32 v14, v10
	s_and_saveexec_b64 s[2:3], s[8:9]
	s_cbranch_execz .LBB4756_82
; %bb.81:
	v_mov_b32_e32 v14, 0
	global_load_ushort v14, v14, s[4:5]
	s_waitcnt vmcnt(0)
	v_add_u16_e32 v14, v14, v10
.LBB4756_82:
	s_or_b64 exec, exec, s[2:3]
	v_add_u16_sdwa v15, v14, v10 dst_sel:DWORD dst_unused:UNUSED_PAD src0_sel:DWORD src1_sel:WORD_1
	v_add_u16_e32 v16, v15, v11
	v_add_u16_sdwa v17, v16, v11 dst_sel:DWORD dst_unused:UNUSED_PAD src0_sel:DWORD src1_sel:WORD_1
	v_add_u16_e32 v18, v17, v12
	;; [unrolled: 2-line block ×11, first 2 shown]
	v_mbcnt_hi_u32_b32 v22, -1, v22
	v_add_u16_sdwa v40, v39, v5 dst_sel:DWORD dst_unused:UNUSED_PAD src0_sel:DWORD src1_sel:WORD_1
	v_and_b32_e32 v41, 15, v22
	v_cmp_ne_u32_e32 vcc, 0, v41
	v_mov_b32_dpp v42, v40 row_shr:1 row_mask:0xf bank_mask:0xf
	v_cndmask_b32_e32 v42, 0, v42, vcc
	v_add_u16_e32 v42, v40, v42
	v_cmp_lt_u32_e32 vcc, 1, v41
	s_nop 0
	v_mov_b32_dpp v43, v42 row_shr:2 row_mask:0xf bank_mask:0xf
	v_cndmask_b32_e32 v43, 0, v43, vcc
	v_add_u16_e32 v42, v42, v43
	v_cmp_lt_u32_e32 vcc, 3, v41
	s_nop 0
	;; [unrolled: 5-line block ×3, first 2 shown]
	v_mov_b32_dpp v43, v42 row_shr:8 row_mask:0xf bank_mask:0xf
	v_cndmask_b32_e32 v41, 0, v43, vcc
	v_add_u16_e32 v41, v42, v41
	v_and_b32_e32 v43, 16, v22
	v_cmp_ne_u32_e32 vcc, 0, v43
	v_mov_b32_dpp v42, v41 row_bcast:15 row_mask:0xf bank_mask:0xf
	v_cndmask_b32_e32 v42, 0, v42, vcc
	v_add_u16_e32 v41, v41, v42
	v_cmp_lt_u32_e32 vcc, 31, v22
	s_nop 0
	v_mov_b32_dpp v42, v41 row_bcast:31 row_mask:0xf bank_mask:0xf
	v_cndmask_b32_e32 v42, 0, v42, vcc
	v_add_u16_e32 v41, v41, v42
	v_cmp_eq_u32_e32 vcc, 63, v0
	s_and_saveexec_b64 s[2:3], vcc
	s_cbranch_execz .LBB4756_84
; %bb.83:
	v_mov_b32_e32 v42, 0
	ds_write_b16 v42, v41
.LBB4756_84:
	s_or_b64 exec, exec, s[2:3]
	v_add_u32_e32 v42, -1, v22
	v_and_b32_e32 v43, 64, v22
	v_cmp_lt_i32_e64 s[2:3], v42, v43
	v_cndmask_b32_e64 v22, v42, v22, s[2:3]
	v_lshlrev_b32_e32 v22, 2, v22
	ds_bpermute_b32 v22, v22, v41
	s_waitcnt lgkmcnt(0)
	; wave barrier
	s_waitcnt lgkmcnt(0)
	s_and_saveexec_b64 s[2:3], s[0:1]
	s_cbranch_execz .LBB4756_86
; %bb.85:
	v_add_u16_e32 v14, v14, v22
	v_add_u16_sdwa v15, v14, v10 dst_sel:DWORD dst_unused:UNUSED_PAD src0_sel:DWORD src1_sel:WORD_1
	v_add_u16_e32 v16, v15, v11
	v_add_u16_sdwa v17, v16, v11 dst_sel:DWORD dst_unused:UNUSED_PAD src0_sel:DWORD src1_sel:WORD_1
	;; [unrolled: 2-line block ×12, first 2 shown]
	;;#ASMSTART
	;;#ASMEND
.LBB4756_86:
	s_or_b64 exec, exec, s[2:3]
	s_and_saveexec_b64 s[0:1], vcc
	s_cbranch_execz .LBB4756_88
; %bb.87:
	s_mov_b32 s2, 0x20000
	v_mov_b32_e32 v2, 0
	v_or_b32_sdwa v3, v40, s2 dst_sel:DWORD dst_unused:UNUSED_PAD src0_sel:WORD_0 src1_sel:DWORD
	global_store_dword v2, v3, s[20:21] offset:256
.LBB4756_88:
	s_or_b64 exec, exec, s[0:1]
.LBB4756_89:
	s_add_u32 s0, s12, s16
	s_addc_u32 s1, s13, s17
	s_add_u32 s2, s0, s18
	s_addc_u32 s3, s1, s19
	s_mov_b64 s[0:1], -1
	s_and_b64 vcc, exec, s[14:15]
	s_waitcnt lgkmcnt(0)
	; wave barrier
	s_waitcnt lgkmcnt(0)
	s_cbranch_vccz .LBB4756_91
; %bb.90:
	s_mov_b32 s0, 0x5040100
	v_perm_b32 v5, v26, v24, s0
	v_perm_b32 v4, v19, v18, s0
	;; [unrolled: 1-line block ×4, first 2 shown]
	ds_write_b128 v1, v[2:5]
	v_perm_b32 v5, v34, v32, s0
	v_perm_b32 v4, v30, v29, s0
	;; [unrolled: 1-line block ×4, first 2 shown]
	ds_write_b128 v1, v[2:5] offset:16
	v_perm_b32 v5, v40, v39, s0
	v_perm_b32 v4, v38, v37, s0
	;; [unrolled: 1-line block ×4, first 2 shown]
	ds_write_b128 v1, v[2:5] offset:32
	s_waitcnt lgkmcnt(0)
	; wave barrier
	s_waitcnt lgkmcnt(0)
	ds_read_u16 v4, v20
	ds_read_u16 v5, v20 offset:128
	ds_read_u16 v6, v20 offset:256
	;; [unrolled: 1-line block ×23, first 2 shown]
	v_mov_b32_e32 v3, s3
	v_add_co_u32_e32 v2, vcc, s2, v20
	v_addc_co_u32_e32 v3, vcc, 0, v3, vcc
	s_waitcnt lgkmcnt(14)
	flat_store_short v[2:3], v4
	flat_store_short v[2:3], v5 offset:128
	flat_store_short v[2:3], v6 offset:256
	;; [unrolled: 1-line block ×9, first 2 shown]
	s_waitcnt lgkmcnt(0)
	flat_store_short v[2:3], v22 offset:1280
	flat_store_short v[2:3], v41 offset:1408
	;; [unrolled: 1-line block ×14, first 2 shown]
	s_mov_b64 s[0:1], 0
.LBB4756_91:
	s_andn2_b64 vcc, exec, s[0:1]
	s_cbranch_vccnz .LBB4756_148
; %bb.92:
	s_mov_b32 s0, 0x5040100
	v_perm_b32 v5, v26, v24, s0
	v_perm_b32 v4, v19, v18, s0
	;; [unrolled: 1-line block ×4, first 2 shown]
	ds_write_b128 v1, v[2:5]
	v_perm_b32 v5, v34, v32, s0
	v_perm_b32 v4, v30, v29, s0
	;; [unrolled: 1-line block ×4, first 2 shown]
	ds_write_b128 v1, v[2:5] offset:16
	v_perm_b32 v5, v40, v39, s0
	v_perm_b32 v4, v38, v37, s0
	;; [unrolled: 1-line block ×4, first 2 shown]
	ds_write_b128 v1, v[2:5] offset:32
	s_waitcnt lgkmcnt(0)
	; wave barrier
	s_waitcnt lgkmcnt(0)
	ds_read_u16 v5, v20
	ds_read_u16 v4, v20 offset:128
	ds_read_u16 v7, v20 offset:256
	;; [unrolled: 1-line block ×23, first 2 shown]
	v_mov_b32_e32 v3, s3
	v_add_co_u32_e32 v2, vcc, s2, v20
	v_addc_co_u32_e32 v3, vcc, 0, v3, vcc
	v_mov_b32_e32 v1, 0
	v_cmp_gt_u32_e32 vcc, s22, v0
	s_and_saveexec_b64 s[0:1], vcc
	s_cbranch_execz .LBB4756_94
; %bb.93:
	s_waitcnt lgkmcnt(0)
	flat_store_short v[2:3], v5
.LBB4756_94:
	s_or_b64 exec, exec, s[0:1]
	v_or_b32_e32 v20, 64, v0
	v_cmp_gt_u32_e32 vcc, s22, v20
	s_and_saveexec_b64 s[0:1], vcc
	s_cbranch_execz .LBB4756_96
; %bb.95:
	s_waitcnt lgkmcnt(0)
	flat_store_short v[2:3], v4 offset:128
.LBB4756_96:
	s_or_b64 exec, exec, s[0:1]
	v_or_b32_e32 v20, 0x80, v0
	v_cmp_gt_u32_e32 vcc, s22, v20
	s_and_saveexec_b64 s[0:1], vcc
	s_cbranch_execz .LBB4756_98
; %bb.97:
	s_waitcnt lgkmcnt(0)
	flat_store_short v[2:3], v7 offset:256
.LBB4756_98:
	;; [unrolled: 9-line block ×23, first 2 shown]
	s_or_b64 exec, exec, s[0:1]
	v_cmp_lt_u64_e64 s[0:1], s[10:11], 2
	s_and_b64 vcc, exec, s[0:1]
	s_cbranch_vccnz .LBB4756_148
; %bb.141:
	s_add_u32 s0, s22, -1
	s_addc_u32 s1, s23, -1
	s_add_u32 s2, 0, 0xaaaa0000
	s_addc_u32 s3, 0, 42
	s_add_i32 s3, s3, 0xaaaaa80
	s_mul_hi_u32 s9, s2, 0xffffffe8
	s_sub_i32 s9, s9, s2
	s_mul_i32 s10, s3, 0xffffffe8
	s_mul_i32 s4, s2, 0xffffffe8
	s_add_i32 s9, s9, s10
	s_mul_hi_u32 s5, s3, s4
	s_mul_i32 s8, s3, s4
	s_mul_i32 s11, s2, s9
	s_mul_hi_u32 s4, s2, s4
	s_mul_hi_u32 s10, s2, s9
	s_add_u32 s4, s4, s11
	s_addc_u32 s10, 0, s10
	s_add_u32 s4, s4, s8
	s_mul_hi_u32 s11, s3, s9
	s_addc_u32 s4, s10, s5
	s_addc_u32 s5, s11, 0
	s_mul_i32 s8, s3, s9
	s_add_u32 s4, s4, s8
	v_mov_b32_e32 v2, s4
	s_addc_u32 s5, 0, s5
	v_add_co_u32_e32 v2, vcc, s2, v2
	s_cmp_lg_u64 vcc, 0
	s_addc_u32 s2, s3, s5
	v_readfirstlane_b32 s5, v2
	s_mul_i32 s4, s0, s2
	s_mul_hi_u32 s8, s0, s5
	s_mul_hi_u32 s3, s0, s2
	s_add_u32 s4, s8, s4
	s_addc_u32 s3, 0, s3
	s_mul_hi_u32 s9, s1, s5
	s_mul_i32 s5, s1, s5
	s_add_u32 s4, s4, s5
	s_mul_hi_u32 s8, s1, s2
	s_addc_u32 s3, s3, s9
	s_addc_u32 s4, s8, 0
	s_mul_i32 s2, s1, s2
	s_add_u32 s2, s3, s2
	s_addc_u32 s3, 0, s4
	s_add_u32 s4, s2, 1
	s_addc_u32 s5, s3, 0
	s_add_u32 s8, s2, 2
	s_mul_i32 s10, s3, 24
	s_mul_hi_u32 s11, s2, 24
	s_addc_u32 s9, s3, 0
	s_add_i32 s11, s11, s10
	s_mul_i32 s10, s2, 24
	v_mov_b32_e32 v2, s10
	v_sub_co_u32_e32 v2, vcc, s0, v2
	s_cmp_lg_u64 vcc, 0
	s_subb_u32 s10, s1, s11
	v_subrev_co_u32_e32 v3, vcc, 24, v2
	s_cmp_lg_u64 vcc, 0
	s_subb_u32 s11, s10, 0
	v_readfirstlane_b32 s12, v3
	s_cmp_gt_u32 s12, 23
	s_cselect_b32 s12, -1, 0
	s_cmp_eq_u32 s11, 0
	s_cselect_b32 s11, s12, -1
	s_cmp_lg_u32 s11, 0
	s_cselect_b32 s4, s8, s4
	v_readfirstlane_b32 s8, v2
	s_cselect_b32 s5, s9, s5
	s_cmp_gt_u32 s8, 23
	s_cselect_b32 s8, -1, 0
	s_cmp_eq_u32 s10, 0
	s_cselect_b32 s8, s8, -1
	s_cmp_lg_u32 s8, 0
	s_cselect_b32 s3, s5, s3
	s_cselect_b32 s2, s4, s2
	v_cmp_eq_u64_e32 vcc, s[2:3], v[0:1]
	s_and_saveexec_b64 s[2:3], vcc
	s_cbranch_execz .LBB4756_148
; %bb.142:
	v_mul_hi_u32_u24_e32 v1, 24, v0
	v_mov_b32_e32 v2, s1
	v_sub_co_u32_e32 v0, vcc, s0, v21
	v_subb_co_u32_e32 v1, vcc, v2, v1, vcc
	v_cmp_lt_i64_e32 vcc, 11, v[0:1]
	s_mov_b64 s[0:1], 0
	s_mov_b64 s[10:11], 0
	;; [unrolled: 1-line block ×4, first 2 shown]
	s_and_saveexec_b64 s[2:3], vcc
	s_xor_b64 s[2:3], exec, s[2:3]
	s_cbranch_execnz .LBB4756_149
; %bb.143:
	s_andn2_saveexec_b64 s[2:3], s[2:3]
	s_cbranch_execnz .LBB4756_194
.LBB4756_144:
	s_or_b64 exec, exec, s[2:3]
	s_and_saveexec_b64 s[2:3], s[10:11]
	s_cbranch_execnz .LBB4756_211
.LBB4756_145:
	s_or_b64 exec, exec, s[2:3]
	s_and_saveexec_b64 s[2:3], s[8:9]
	s_cbranch_execnz .LBB4756_212
.LBB4756_146:
	s_or_b64 exec, exec, s[2:3]
	s_and_saveexec_b64 s[2:3], s[4:5]
	s_xor_b64 s[2:3], exec, s[2:3]
	s_cbranch_execnz .LBB4756_213
.LBB4756_147:
	s_or_b64 exec, exec, s[2:3]
	s_and_b64 exec, exec, s[0:1]
	s_cbranch_execnz .LBB4756_214
.LBB4756_148:
	s_endpgm
.LBB4756_149:
	v_cmp_lt_i64_e32 vcc, 17, v[0:1]
	s_and_saveexec_b64 s[12:13], vcc
	s_xor_b64 s[12:13], exec, s[12:13]
	s_cbranch_execz .LBB4756_171
; %bb.150:
	v_cmp_lt_i64_e32 vcc, 20, v[0:1]
                                        ; implicit-def: $vgpr10
	s_and_saveexec_b64 s[14:15], vcc
	s_xor_b64 s[14:15], exec, s[14:15]
	s_cbranch_execz .LBB4756_160
; %bb.151:
	v_cmp_lt_i64_e32 vcc, 21, v[0:1]
	s_mov_b64 s[16:17], 0
                                        ; implicit-def: $vgpr10
	s_and_saveexec_b64 s[4:5], vcc
	s_xor_b64 s[4:5], exec, s[4:5]
	s_cbranch_execz .LBB4756_157
; %bb.152:
	v_cmp_lt_i64_e32 vcc, 22, v[0:1]
	s_and_saveexec_b64 s[16:17], vcc
	s_xor_b64 s[16:17], exec, s[16:17]
	s_cbranch_execz .LBB4756_154
; %bb.153:
	v_mov_b32_e32 v2, 0
	s_waitcnt lgkmcnt(0)
	global_store_short v2, v29, s[6:7]
                                        ; implicit-def: $vgpr28
.LBB4756_154:
	s_or_saveexec_b64 s[16:17], s[16:17]
	s_mov_b64 s[18:19], 0
	s_xor_b64 exec, exec, s[16:17]
; %bb.155:
	s_mov_b64 s[18:19], exec
; %bb.156:
	s_or_b64 exec, exec, s[16:17]
	s_and_b64 s[16:17], s[18:19], exec
	s_waitcnt lgkmcnt(0)
	v_mov_b32_e32 v10, v28
                                        ; implicit-def: $vgpr11
.LBB4756_157:
	s_andn2_saveexec_b64 s[4:5], s[4:5]
; %bb.158:
	s_mov_b64 s[8:9], exec
                                        ; implicit-def: $vgpr10
; %bb.159:
	s_or_b64 exec, exec, s[4:5]
	s_and_b64 s[4:5], s[16:17], exec
	s_and_b64 s[8:9], s[8:9], exec
                                        ; implicit-def: $vgpr26
                                        ; implicit-def: $vgpr12
                                        ; implicit-def: $vgpr23
.LBB4756_160:
	s_andn2_saveexec_b64 s[14:15], s[14:15]
	s_cbranch_execz .LBB4756_170
; %bb.161:
	v_cmp_lt_i64_e32 vcc, 18, v[0:1]
	s_mov_b64 s[16:17], 0
	s_and_saveexec_b64 s[10:11], vcc
	s_xor_b64 s[10:11], exec, s[10:11]
	s_cbranch_execz .LBB4756_167
; %bb.162:
	v_cmp_lt_i64_e32 vcc, 19, v[0:1]
	s_and_saveexec_b64 s[18:19], vcc
	s_xor_b64 s[18:19], exec, s[18:19]
; %bb.163:
	s_mov_b64 s[16:17], exec
                                        ; implicit-def: $vgpr23
; %bb.164:
	s_andn2_saveexec_b64 s[18:19], s[18:19]
	s_cbranch_execz .LBB4756_166
; %bb.165:
	v_mov_b32_e32 v2, 0
	s_waitcnt lgkmcnt(0)
	global_store_short v2, v23, s[6:7]
                                        ; implicit-def: $vgpr12
.LBB4756_166:
	s_or_b64 exec, exec, s[18:19]
	s_and_b64 s[16:17], s[16:17], exec
                                        ; implicit-def: $vgpr26
.LBB4756_167:
	s_andn2_saveexec_b64 s[10:11], s[10:11]
	s_cbranch_execz .LBB4756_169
; %bb.168:
	v_mov_b32_e32 v2, 0
	s_waitcnt lgkmcnt(0)
	global_store_short v2, v26, s[6:7]
                                        ; implicit-def: $vgpr12
.LBB4756_169:
	s_or_b64 exec, exec, s[10:11]
	s_and_b64 s[10:11], s[16:17], exec
                                        ; implicit-def: $vgpr10
                                        ; implicit-def: $vgpr11
.LBB4756_170:
	s_or_b64 exec, exec, s[14:15]
	s_and_b64 s[4:5], s[4:5], exec
	s_and_b64 s[8:9], s[8:9], exec
	;; [unrolled: 1-line block ×3, first 2 shown]
                                        ; implicit-def: $vgpr18
                                        ; implicit-def: $vgpr13
                                        ; implicit-def: $vgpr14
                                        ; implicit-def: $vgpr24
                                        ; implicit-def: $vgpr27
.LBB4756_171:
	s_andn2_saveexec_b64 s[12:13], s[12:13]
	s_cbranch_execz .LBB4756_193
; %bb.172:
	v_cmp_lt_i64_e32 vcc, 14, v[0:1]
	s_mov_b64 s[14:15], s[4:5]
	s_and_saveexec_b64 s[16:17], vcc
	s_xor_b64 s[16:17], exec, s[16:17]
	s_cbranch_execz .LBB4756_182
; %bb.173:
	v_cmp_lt_i64_e32 vcc, 15, v[0:1]
	s_and_saveexec_b64 s[14:15], vcc
	s_xor_b64 s[14:15], exec, s[14:15]
	s_cbranch_execz .LBB4756_179
; %bb.174:
	v_cmp_lt_i64_e32 vcc, 16, v[0:1]
	s_and_saveexec_b64 s[18:19], vcc
	s_xor_b64 s[18:19], exec, s[18:19]
	s_cbranch_execz .LBB4756_176
; %bb.175:
	v_mov_b32_e32 v2, 0
	s_waitcnt lgkmcnt(0)
	global_store_short v2, v27, s[6:7]
                                        ; implicit-def: $vgpr24
.LBB4756_176:
	s_andn2_saveexec_b64 s[18:19], s[18:19]
	s_cbranch_execz .LBB4756_178
; %bb.177:
	v_mov_b32_e32 v2, 0
	s_waitcnt lgkmcnt(0)
	global_store_short v2, v24, s[6:7]
.LBB4756_178:
	s_or_b64 exec, exec, s[18:19]
                                        ; implicit-def: $vgpr10
.LBB4756_179:
	s_or_saveexec_b64 s[14:15], s[14:15]
	s_mov_b64 s[18:19], s[4:5]
	s_xor_b64 exec, exec, s[14:15]
; %bb.180:
	s_or_b64 s[18:19], s[4:5], exec
; %bb.181:
	s_or_b64 exec, exec, s[14:15]
	s_andn2_b64 s[14:15], s[4:5], exec
	s_and_b64 s[18:19], s[18:19], exec
	s_or_b64 s[14:15], s[14:15], s[18:19]
                                        ; implicit-def: $vgpr18
                                        ; implicit-def: $vgpr13
                                        ; implicit-def: $vgpr14
.LBB4756_182:
	s_or_saveexec_b64 s[16:17], s[16:17]
	s_mov_b64 s[18:19], s[8:9]
                                        ; implicit-def: $vgpr11
	s_xor_b64 exec, exec, s[16:17]
	s_cbranch_execz .LBB4756_192
; %bb.183:
	v_cmp_lt_i64_e32 vcc, 12, v[0:1]
	s_mov_b64 s[20:21], s[8:9]
	s_mov_b64 s[22:23], s[14:15]
                                        ; implicit-def: $vgpr10
                                        ; implicit-def: $vgpr11
	s_and_saveexec_b64 s[18:19], vcc
	s_xor_b64 s[18:19], exec, s[18:19]
	s_cbranch_execz .LBB4756_189
; %bb.184:
	v_cmp_lt_i64_e32 vcc, 13, v[0:1]
	s_mov_b64 s[20:21], s[14:15]
	s_and_saveexec_b64 s[22:23], vcc
	s_xor_b64 s[22:23], exec, s[22:23]
; %bb.185:
	s_or_b64 s[20:21], s[14:15], exec
                                        ; implicit-def: $vgpr13
; %bb.186:
	s_or_saveexec_b64 s[22:23], s[22:23]
	s_mov_b64 s[24:25], s[8:9]
	s_xor_b64 exec, exec, s[22:23]
; %bb.187:
	s_or_b64 s[24:25], s[8:9], exec
                                        ; implicit-def: $vgpr14
; %bb.188:
	s_or_b64 exec, exec, s[22:23]
	s_andn2_b64 s[22:23], s[14:15], exec
	s_and_b64 s[20:21], s[20:21], exec
	s_or_b64 s[22:23], s[22:23], s[20:21]
	s_andn2_b64 s[20:21], s[8:9], exec
	s_and_b64 s[24:25], s[24:25], exec
	s_or_b64 s[20:21], s[20:21], s[24:25]
	s_waitcnt lgkmcnt(0)
	v_mov_b32_e32 v10, v14
	v_mov_b32_e32 v11, v13
                                        ; implicit-def: $vgpr18
.LBB4756_189:
	s_andn2_saveexec_b64 s[18:19], s[18:19]
	s_cbranch_execz .LBB4756_191
; %bb.190:
	s_or_b64 s[20:21], s[20:21], exec
                                        ; implicit-def: $vgpr10
	s_waitcnt lgkmcnt(0)
	v_mov_b32_e32 v11, v18
.LBB4756_191:
	s_or_b64 exec, exec, s[18:19]
	s_andn2_b64 s[14:15], s[14:15], exec
	s_and_b64 s[18:19], s[22:23], exec
	s_or_b64 s[14:15], s[14:15], s[18:19]
	s_andn2_b64 s[18:19], s[8:9], exec
	s_and_b64 s[20:21], s[20:21], exec
	s_or_b64 s[18:19], s[18:19], s[20:21]
.LBB4756_192:
	s_or_b64 exec, exec, s[16:17]
	s_andn2_b64 s[4:5], s[4:5], exec
	s_and_b64 s[14:15], s[14:15], exec
	s_or_b64 s[4:5], s[4:5], s[14:15]
	s_andn2_b64 s[8:9], s[8:9], exec
	s_and_b64 s[14:15], s[18:19], exec
	s_or_b64 s[8:9], s[8:9], s[14:15]
                                        ; implicit-def: $vgpr12
.LBB4756_193:
	s_or_b64 exec, exec, s[12:13]
	s_and_b64 s[4:5], s[4:5], exec
	s_and_b64 s[8:9], s[8:9], exec
	;; [unrolled: 1-line block ×3, first 2 shown]
                                        ; implicit-def: $vgpr17
                                        ; implicit-def: $vgpr15
                                        ; implicit-def: $vgpr16
                                        ; implicit-def: $vgpr25
                                        ; implicit-def: $vgpr22
                                        ; implicit-def: $vgpr19
	s_andn2_saveexec_b64 s[2:3], s[2:3]
	s_cbranch_execz .LBB4756_144
.LBB4756_194:
	v_cmp_lt_i64_e32 vcc, 5, v[0:1]
	s_mov_b64 s[14:15], -1
	s_mov_b64 s[12:13], s[10:11]
	s_mov_b64 s[16:17], s[8:9]
	;; [unrolled: 1-line block ×3, first 2 shown]
                                        ; implicit-def: $vgpr10
                                        ; implicit-def: $vgpr11
                                        ; implicit-def: $vgpr12
	s_and_saveexec_b64 s[0:1], vcc
	s_cbranch_execz .LBB4756_210
; %bb.195:
	v_cmp_lt_i64_e32 vcc, 8, v[0:1]
	s_mov_b64 s[12:13], s[10:11]
                                        ; implicit-def: $vgpr12
	s_and_saveexec_b64 s[14:15], vcc
	s_xor_b64 s[14:15], exec, s[14:15]
	s_cbranch_execz .LBB4756_205
; %bb.196:
	v_cmp_lt_i64_e32 vcc, 9, v[0:1]
	s_and_saveexec_b64 s[12:13], vcc
	s_xor_b64 s[12:13], exec, s[12:13]
	s_cbranch_execz .LBB4756_202
; %bb.197:
	v_cmp_lt_i64_e32 vcc, 10, v[0:1]
	s_and_saveexec_b64 s[16:17], vcc
	s_xor_b64 s[16:17], exec, s[16:17]
; %bb.198:
                                        ; implicit-def: $vgpr22
; %bb.199:
	s_andn2_saveexec_b64 s[16:17], s[16:17]
	s_cbranch_execz .LBB4756_201
; %bb.200:
	s_waitcnt lgkmcnt(0)
	v_mov_b32_e32 v19, v22
.LBB4756_201:
	s_or_b64 exec, exec, s[16:17]
                                        ; implicit-def: $vgpr25
.LBB4756_202:
	s_andn2_saveexec_b64 s[12:13], s[12:13]
	s_cbranch_execz .LBB4756_204
; %bb.203:
	s_waitcnt lgkmcnt(0)
	v_mov_b32_e32 v19, v25
.LBB4756_204:
	s_or_b64 exec, exec, s[12:13]
	s_or_b64 s[12:13], s[10:11], exec
	s_waitcnt lgkmcnt(0)
	v_mov_b32_e32 v12, v19
                                        ; implicit-def: $vgpr17
                                        ; implicit-def: $vgpr15
                                        ; implicit-def: $vgpr16
.LBB4756_205:
	s_or_saveexec_b64 s[14:15], s[14:15]
	s_mov_b64 s[16:17], s[8:9]
	s_mov_b64 s[20:21], s[4:5]
                                        ; implicit-def: $vgpr10
                                        ; implicit-def: $vgpr11
	s_xor_b64 exec, exec, s[14:15]
	s_cbranch_execz .LBB4756_209
; %bb.206:
	v_cmp_lt_i64_e32 vcc, 6, v[0:1]
	s_mov_b64 s[20:21], -1
	s_mov_b64 s[18:19], s[12:13]
	s_mov_b64 s[16:17], s[8:9]
	s_and_saveexec_b64 s[22:23], vcc
; %bb.207:
	v_cmp_lt_i64_e32 vcc, 7, v[0:1]
	s_andn2_b64 s[18:19], s[12:13], exec
	s_and_b64 s[24:25], vcc, exec
	s_xor_b64 s[20:21], exec, -1
	s_or_b64 s[16:17], s[8:9], exec
	s_or_b64 s[18:19], s[18:19], s[24:25]
                                        ; implicit-def: $vgpr17
; %bb.208:
	s_or_b64 exec, exec, s[22:23]
	s_andn2_b64 s[22:23], s[4:5], exec
	s_and_b64 s[20:21], s[20:21], exec
	s_or_b64 s[20:21], s[22:23], s[20:21]
	s_andn2_b64 s[22:23], s[8:9], exec
	s_and_b64 s[16:17], s[16:17], exec
	s_andn2_b64 s[12:13], s[12:13], exec
	s_and_b64 s[18:19], s[18:19], exec
	s_or_b64 s[16:17], s[22:23], s[16:17]
	s_or_b64 s[12:13], s[12:13], s[18:19]
	s_waitcnt lgkmcnt(0)
	v_mov_b32_e32 v10, v17
	v_mov_b32_e32 v11, v15
	;; [unrolled: 1-line block ×3, first 2 shown]
.LBB4756_209:
	s_or_b64 exec, exec, s[14:15]
	s_andn2_b64 s[18:19], s[4:5], exec
	s_and_b64 s[20:21], s[20:21], exec
	s_or_b64 s[18:19], s[18:19], s[20:21]
	s_andn2_b64 s[20:21], s[8:9], exec
	s_and_b64 s[16:17], s[16:17], exec
	s_or_b64 s[16:17], s[20:21], s[16:17]
	s_andn2_b64 s[20:21], s[10:11], exec
	s_and_b64 s[12:13], s[12:13], exec
	s_xor_b64 s[14:15], exec, -1
	s_or_b64 s[12:13], s[20:21], s[12:13]
.LBB4756_210:
	s_or_b64 exec, exec, s[0:1]
	s_and_b64 s[0:1], s[14:15], exec
	s_andn2_b64 s[4:5], s[4:5], exec
	s_and_b64 s[14:15], s[18:19], exec
	s_or_b64 s[4:5], s[4:5], s[14:15]
	s_andn2_b64 s[8:9], s[8:9], exec
	s_and_b64 s[14:15], s[16:17], exec
	s_andn2_b64 s[10:11], s[10:11], exec
	s_and_b64 s[12:13], s[12:13], exec
	s_or_b64 s[8:9], s[8:9], s[14:15]
	s_or_b64 s[10:11], s[10:11], s[12:13]
	s_or_b64 exec, exec, s[2:3]
	s_and_saveexec_b64 s[2:3], s[10:11]
	s_cbranch_execz .LBB4756_145
.LBB4756_211:
	v_mov_b32_e32 v2, 0
	s_andn2_b64 s[8:9], s[8:9], exec
	s_waitcnt lgkmcnt(0)
	global_store_short v2, v12, s[6:7]
                                        ; implicit-def: $vgpr10
                                        ; implicit-def: $vgpr11
	s_or_b64 exec, exec, s[2:3]
	s_and_saveexec_b64 s[2:3], s[8:9]
	s_cbranch_execz .LBB4756_146
.LBB4756_212:
	v_mov_b32_e32 v2, 0
	s_waitcnt lgkmcnt(0)
	global_store_short v2, v11, s[6:7]
                                        ; implicit-def: $vgpr10
	s_or_b64 exec, exec, s[2:3]
	s_and_saveexec_b64 s[2:3], s[4:5]
	s_xor_b64 s[2:3], exec, s[2:3]
	s_cbranch_execz .LBB4756_147
.LBB4756_213:
	v_mov_b32_e32 v2, 0
	s_waitcnt lgkmcnt(0)
	global_store_short v2, v10, s[6:7]
	s_or_b64 exec, exec, s[2:3]
	s_and_b64 exec, exec, s[0:1]
	s_cbranch_execz .LBB4756_148
.LBB4756_214:
	v_cmp_lt_i64_e32 vcc, 2, v[0:1]
	s_and_saveexec_b64 s[0:1], vcc
	s_xor_b64 s[0:1], exec, s[0:1]
	s_cbranch_execz .LBB4756_224
; %bb.215:
	v_cmp_lt_i64_e32 vcc, 3, v[0:1]
	s_and_saveexec_b64 s[2:3], vcc
	s_xor_b64 s[2:3], exec, s[2:3]
	s_cbranch_execz .LBB4756_221
; %bb.216:
	;; [unrolled: 5-line block ×3, first 2 shown]
	v_mov_b32_e32 v0, 0
	s_waitcnt lgkmcnt(0)
	global_store_short v0, v9, s[6:7]
                                        ; implicit-def: $vgpr6
.LBB4756_218:
	s_andn2_saveexec_b64 s[4:5], s[4:5]
	s_cbranch_execz .LBB4756_220
; %bb.219:
	v_mov_b32_e32 v0, 0
	s_waitcnt lgkmcnt(0)
	global_store_short v0, v6, s[6:7]
.LBB4756_220:
	s_or_b64 exec, exec, s[4:5]
                                        ; implicit-def: $vgpr8
.LBB4756_221:
	s_andn2_saveexec_b64 s[2:3], s[2:3]
	s_cbranch_execz .LBB4756_223
; %bb.222:
	v_mov_b32_e32 v0, 0
	s_waitcnt lgkmcnt(0)
	global_store_short v0, v8, s[6:7]
.LBB4756_223:
	s_or_b64 exec, exec, s[2:3]
                                        ; implicit-def: $vgpr0_vgpr1
                                        ; implicit-def: $vgpr7
                                        ; implicit-def: $vgpr4
                                        ; implicit-def: $vgpr5
.LBB4756_224:
	s_andn2_saveexec_b64 s[0:1], s[0:1]
	s_cbranch_execz .LBB4756_148
; %bb.225:
	v_cmp_lt_i64_e32 vcc, 1, v[0:1]
	s_and_saveexec_b64 s[0:1], vcc
	s_xor_b64 s[0:1], exec, s[0:1]
	s_cbranch_execz .LBB4756_227
; %bb.226:
	v_mov_b32_e32 v0, 0
	s_waitcnt lgkmcnt(0)
	global_store_short v0, v7, s[6:7]
                                        ; implicit-def: $vgpr4
                                        ; implicit-def: $vgpr0_vgpr1
                                        ; implicit-def: $vgpr5
.LBB4756_227:
	s_andn2_saveexec_b64 s[0:1], s[0:1]
	s_cbranch_execz .LBB4756_148
; %bb.228:
	v_cmp_ne_u64_e32 vcc, 1, v[0:1]
	s_and_saveexec_b64 s[0:1], vcc
	s_xor_b64 s[0:1], exec, s[0:1]
	s_cbranch_execz .LBB4756_230
; %bb.229:
	v_mov_b32_e32 v0, 0
	s_waitcnt lgkmcnt(0)
	global_store_short v0, v5, s[6:7]
                                        ; implicit-def: $vgpr4
.LBB4756_230:
	s_andn2_saveexec_b64 s[0:1], s[0:1]
	s_cbranch_execz .LBB4756_148
; %bb.231:
	v_mov_b32_e32 v0, 0
	s_waitcnt lgkmcnt(0)
	global_store_short v0, v4, s[6:7]
	s_endpgm
	.section	.rodata,"a",@progbits
	.p2align	6, 0x0
	.amdhsa_kernel _ZN7rocprim17ROCPRIM_400000_NS6detail17trampoline_kernelINS0_14default_configENS1_20scan_config_selectorItEEZZNS1_9scan_implILNS1_25lookback_scan_determinismE0ELb0ELb0ES3_N6thrust23THRUST_200600_302600_NS6detail15normal_iteratorINS9_10device_ptrItEEEESE_tNS9_4plusIvEEtEEDaPvRmT3_T4_T5_mT6_P12ihipStream_tbENKUlT_T0_E_clISt17integral_constantIbLb1EEST_IbLb0EEEEDaSP_SQ_EUlSP_E_NS1_11comp_targetILNS1_3genE4ELNS1_11target_archE910ELNS1_3gpuE8ELNS1_3repE0EEENS1_30default_config_static_selectorELNS0_4arch9wavefront6targetE1EEEvT1_
		.amdhsa_group_segment_fixed_size 3072
		.amdhsa_private_segment_fixed_size 0
		.amdhsa_kernarg_size 96
		.amdhsa_user_sgpr_count 6
		.amdhsa_user_sgpr_private_segment_buffer 1
		.amdhsa_user_sgpr_dispatch_ptr 0
		.amdhsa_user_sgpr_queue_ptr 0
		.amdhsa_user_sgpr_kernarg_segment_ptr 1
		.amdhsa_user_sgpr_dispatch_id 0
		.amdhsa_user_sgpr_flat_scratch_init 0
		.amdhsa_user_sgpr_kernarg_preload_length 0
		.amdhsa_user_sgpr_kernarg_preload_offset 0
		.amdhsa_user_sgpr_private_segment_size 0
		.amdhsa_uses_dynamic_stack 0
		.amdhsa_system_sgpr_private_segment_wavefront_offset 0
		.amdhsa_system_sgpr_workgroup_id_x 1
		.amdhsa_system_sgpr_workgroup_id_y 0
		.amdhsa_system_sgpr_workgroup_id_z 0
		.amdhsa_system_sgpr_workgroup_info 0
		.amdhsa_system_vgpr_workitem_id 0
		.amdhsa_next_free_vgpr 54
		.amdhsa_next_free_sgpr 26
		.amdhsa_accum_offset 56
		.amdhsa_reserve_vcc 1
		.amdhsa_reserve_flat_scratch 0
		.amdhsa_float_round_mode_32 0
		.amdhsa_float_round_mode_16_64 0
		.amdhsa_float_denorm_mode_32 3
		.amdhsa_float_denorm_mode_16_64 3
		.amdhsa_dx10_clamp 1
		.amdhsa_ieee_mode 1
		.amdhsa_fp16_overflow 0
		.amdhsa_tg_split 0
		.amdhsa_exception_fp_ieee_invalid_op 0
		.amdhsa_exception_fp_denorm_src 0
		.amdhsa_exception_fp_ieee_div_zero 0
		.amdhsa_exception_fp_ieee_overflow 0
		.amdhsa_exception_fp_ieee_underflow 0
		.amdhsa_exception_fp_ieee_inexact 0
		.amdhsa_exception_int_div_zero 0
	.end_amdhsa_kernel
	.section	.text._ZN7rocprim17ROCPRIM_400000_NS6detail17trampoline_kernelINS0_14default_configENS1_20scan_config_selectorItEEZZNS1_9scan_implILNS1_25lookback_scan_determinismE0ELb0ELb0ES3_N6thrust23THRUST_200600_302600_NS6detail15normal_iteratorINS9_10device_ptrItEEEESE_tNS9_4plusIvEEtEEDaPvRmT3_T4_T5_mT6_P12ihipStream_tbENKUlT_T0_E_clISt17integral_constantIbLb1EEST_IbLb0EEEEDaSP_SQ_EUlSP_E_NS1_11comp_targetILNS1_3genE4ELNS1_11target_archE910ELNS1_3gpuE8ELNS1_3repE0EEENS1_30default_config_static_selectorELNS0_4arch9wavefront6targetE1EEEvT1_,"axG",@progbits,_ZN7rocprim17ROCPRIM_400000_NS6detail17trampoline_kernelINS0_14default_configENS1_20scan_config_selectorItEEZZNS1_9scan_implILNS1_25lookback_scan_determinismE0ELb0ELb0ES3_N6thrust23THRUST_200600_302600_NS6detail15normal_iteratorINS9_10device_ptrItEEEESE_tNS9_4plusIvEEtEEDaPvRmT3_T4_T5_mT6_P12ihipStream_tbENKUlT_T0_E_clISt17integral_constantIbLb1EEST_IbLb0EEEEDaSP_SQ_EUlSP_E_NS1_11comp_targetILNS1_3genE4ELNS1_11target_archE910ELNS1_3gpuE8ELNS1_3repE0EEENS1_30default_config_static_selectorELNS0_4arch9wavefront6targetE1EEEvT1_,comdat
.Lfunc_end4756:
	.size	_ZN7rocprim17ROCPRIM_400000_NS6detail17trampoline_kernelINS0_14default_configENS1_20scan_config_selectorItEEZZNS1_9scan_implILNS1_25lookback_scan_determinismE0ELb0ELb0ES3_N6thrust23THRUST_200600_302600_NS6detail15normal_iteratorINS9_10device_ptrItEEEESE_tNS9_4plusIvEEtEEDaPvRmT3_T4_T5_mT6_P12ihipStream_tbENKUlT_T0_E_clISt17integral_constantIbLb1EEST_IbLb0EEEEDaSP_SQ_EUlSP_E_NS1_11comp_targetILNS1_3genE4ELNS1_11target_archE910ELNS1_3gpuE8ELNS1_3repE0EEENS1_30default_config_static_selectorELNS0_4arch9wavefront6targetE1EEEvT1_, .Lfunc_end4756-_ZN7rocprim17ROCPRIM_400000_NS6detail17trampoline_kernelINS0_14default_configENS1_20scan_config_selectorItEEZZNS1_9scan_implILNS1_25lookback_scan_determinismE0ELb0ELb0ES3_N6thrust23THRUST_200600_302600_NS6detail15normal_iteratorINS9_10device_ptrItEEEESE_tNS9_4plusIvEEtEEDaPvRmT3_T4_T5_mT6_P12ihipStream_tbENKUlT_T0_E_clISt17integral_constantIbLb1EEST_IbLb0EEEEDaSP_SQ_EUlSP_E_NS1_11comp_targetILNS1_3genE4ELNS1_11target_archE910ELNS1_3gpuE8ELNS1_3repE0EEENS1_30default_config_static_selectorELNS0_4arch9wavefront6targetE1EEEvT1_
                                        ; -- End function
	.section	.AMDGPU.csdata,"",@progbits
; Kernel info:
; codeLenInByte = 7948
; NumSgprs: 30
; NumVgprs: 54
; NumAgprs: 0
; TotalNumVgprs: 54
; ScratchSize: 0
; MemoryBound: 0
; FloatMode: 240
; IeeeMode: 1
; LDSByteSize: 3072 bytes/workgroup (compile time only)
; SGPRBlocks: 3
; VGPRBlocks: 6
; NumSGPRsForWavesPerEU: 30
; NumVGPRsForWavesPerEU: 54
; AccumOffset: 56
; Occupancy: 6
; WaveLimiterHint : 1
; COMPUTE_PGM_RSRC2:SCRATCH_EN: 0
; COMPUTE_PGM_RSRC2:USER_SGPR: 6
; COMPUTE_PGM_RSRC2:TRAP_HANDLER: 0
; COMPUTE_PGM_RSRC2:TGID_X_EN: 1
; COMPUTE_PGM_RSRC2:TGID_Y_EN: 0
; COMPUTE_PGM_RSRC2:TGID_Z_EN: 0
; COMPUTE_PGM_RSRC2:TIDIG_COMP_CNT: 0
; COMPUTE_PGM_RSRC3_GFX90A:ACCUM_OFFSET: 13
; COMPUTE_PGM_RSRC3_GFX90A:TG_SPLIT: 0
	.section	.text._ZN7rocprim17ROCPRIM_400000_NS6detail17trampoline_kernelINS0_14default_configENS1_20scan_config_selectorItEEZZNS1_9scan_implILNS1_25lookback_scan_determinismE0ELb0ELb0ES3_N6thrust23THRUST_200600_302600_NS6detail15normal_iteratorINS9_10device_ptrItEEEESE_tNS9_4plusIvEEtEEDaPvRmT3_T4_T5_mT6_P12ihipStream_tbENKUlT_T0_E_clISt17integral_constantIbLb1EEST_IbLb0EEEEDaSP_SQ_EUlSP_E_NS1_11comp_targetILNS1_3genE3ELNS1_11target_archE908ELNS1_3gpuE7ELNS1_3repE0EEENS1_30default_config_static_selectorELNS0_4arch9wavefront6targetE1EEEvT1_,"axG",@progbits,_ZN7rocprim17ROCPRIM_400000_NS6detail17trampoline_kernelINS0_14default_configENS1_20scan_config_selectorItEEZZNS1_9scan_implILNS1_25lookback_scan_determinismE0ELb0ELb0ES3_N6thrust23THRUST_200600_302600_NS6detail15normal_iteratorINS9_10device_ptrItEEEESE_tNS9_4plusIvEEtEEDaPvRmT3_T4_T5_mT6_P12ihipStream_tbENKUlT_T0_E_clISt17integral_constantIbLb1EEST_IbLb0EEEEDaSP_SQ_EUlSP_E_NS1_11comp_targetILNS1_3genE3ELNS1_11target_archE908ELNS1_3gpuE7ELNS1_3repE0EEENS1_30default_config_static_selectorELNS0_4arch9wavefront6targetE1EEEvT1_,comdat
	.protected	_ZN7rocprim17ROCPRIM_400000_NS6detail17trampoline_kernelINS0_14default_configENS1_20scan_config_selectorItEEZZNS1_9scan_implILNS1_25lookback_scan_determinismE0ELb0ELb0ES3_N6thrust23THRUST_200600_302600_NS6detail15normal_iteratorINS9_10device_ptrItEEEESE_tNS9_4plusIvEEtEEDaPvRmT3_T4_T5_mT6_P12ihipStream_tbENKUlT_T0_E_clISt17integral_constantIbLb1EEST_IbLb0EEEEDaSP_SQ_EUlSP_E_NS1_11comp_targetILNS1_3genE3ELNS1_11target_archE908ELNS1_3gpuE7ELNS1_3repE0EEENS1_30default_config_static_selectorELNS0_4arch9wavefront6targetE1EEEvT1_ ; -- Begin function _ZN7rocprim17ROCPRIM_400000_NS6detail17trampoline_kernelINS0_14default_configENS1_20scan_config_selectorItEEZZNS1_9scan_implILNS1_25lookback_scan_determinismE0ELb0ELb0ES3_N6thrust23THRUST_200600_302600_NS6detail15normal_iteratorINS9_10device_ptrItEEEESE_tNS9_4plusIvEEtEEDaPvRmT3_T4_T5_mT6_P12ihipStream_tbENKUlT_T0_E_clISt17integral_constantIbLb1EEST_IbLb0EEEEDaSP_SQ_EUlSP_E_NS1_11comp_targetILNS1_3genE3ELNS1_11target_archE908ELNS1_3gpuE7ELNS1_3repE0EEENS1_30default_config_static_selectorELNS0_4arch9wavefront6targetE1EEEvT1_
	.globl	_ZN7rocprim17ROCPRIM_400000_NS6detail17trampoline_kernelINS0_14default_configENS1_20scan_config_selectorItEEZZNS1_9scan_implILNS1_25lookback_scan_determinismE0ELb0ELb0ES3_N6thrust23THRUST_200600_302600_NS6detail15normal_iteratorINS9_10device_ptrItEEEESE_tNS9_4plusIvEEtEEDaPvRmT3_T4_T5_mT6_P12ihipStream_tbENKUlT_T0_E_clISt17integral_constantIbLb1EEST_IbLb0EEEEDaSP_SQ_EUlSP_E_NS1_11comp_targetILNS1_3genE3ELNS1_11target_archE908ELNS1_3gpuE7ELNS1_3repE0EEENS1_30default_config_static_selectorELNS0_4arch9wavefront6targetE1EEEvT1_
	.p2align	8
	.type	_ZN7rocprim17ROCPRIM_400000_NS6detail17trampoline_kernelINS0_14default_configENS1_20scan_config_selectorItEEZZNS1_9scan_implILNS1_25lookback_scan_determinismE0ELb0ELb0ES3_N6thrust23THRUST_200600_302600_NS6detail15normal_iteratorINS9_10device_ptrItEEEESE_tNS9_4plusIvEEtEEDaPvRmT3_T4_T5_mT6_P12ihipStream_tbENKUlT_T0_E_clISt17integral_constantIbLb1EEST_IbLb0EEEEDaSP_SQ_EUlSP_E_NS1_11comp_targetILNS1_3genE3ELNS1_11target_archE908ELNS1_3gpuE7ELNS1_3repE0EEENS1_30default_config_static_selectorELNS0_4arch9wavefront6targetE1EEEvT1_,@function
_ZN7rocprim17ROCPRIM_400000_NS6detail17trampoline_kernelINS0_14default_configENS1_20scan_config_selectorItEEZZNS1_9scan_implILNS1_25lookback_scan_determinismE0ELb0ELb0ES3_N6thrust23THRUST_200600_302600_NS6detail15normal_iteratorINS9_10device_ptrItEEEESE_tNS9_4plusIvEEtEEDaPvRmT3_T4_T5_mT6_P12ihipStream_tbENKUlT_T0_E_clISt17integral_constantIbLb1EEST_IbLb0EEEEDaSP_SQ_EUlSP_E_NS1_11comp_targetILNS1_3genE3ELNS1_11target_archE908ELNS1_3gpuE7ELNS1_3repE0EEENS1_30default_config_static_selectorELNS0_4arch9wavefront6targetE1EEEvT1_: ; @_ZN7rocprim17ROCPRIM_400000_NS6detail17trampoline_kernelINS0_14default_configENS1_20scan_config_selectorItEEZZNS1_9scan_implILNS1_25lookback_scan_determinismE0ELb0ELb0ES3_N6thrust23THRUST_200600_302600_NS6detail15normal_iteratorINS9_10device_ptrItEEEESE_tNS9_4plusIvEEtEEDaPvRmT3_T4_T5_mT6_P12ihipStream_tbENKUlT_T0_E_clISt17integral_constantIbLb1EEST_IbLb0EEEEDaSP_SQ_EUlSP_E_NS1_11comp_targetILNS1_3genE3ELNS1_11target_archE908ELNS1_3gpuE7ELNS1_3repE0EEENS1_30default_config_static_selectorELNS0_4arch9wavefront6targetE1EEEvT1_
; %bb.0:
	.section	.rodata,"a",@progbits
	.p2align	6, 0x0
	.amdhsa_kernel _ZN7rocprim17ROCPRIM_400000_NS6detail17trampoline_kernelINS0_14default_configENS1_20scan_config_selectorItEEZZNS1_9scan_implILNS1_25lookback_scan_determinismE0ELb0ELb0ES3_N6thrust23THRUST_200600_302600_NS6detail15normal_iteratorINS9_10device_ptrItEEEESE_tNS9_4plusIvEEtEEDaPvRmT3_T4_T5_mT6_P12ihipStream_tbENKUlT_T0_E_clISt17integral_constantIbLb1EEST_IbLb0EEEEDaSP_SQ_EUlSP_E_NS1_11comp_targetILNS1_3genE3ELNS1_11target_archE908ELNS1_3gpuE7ELNS1_3repE0EEENS1_30default_config_static_selectorELNS0_4arch9wavefront6targetE1EEEvT1_
		.amdhsa_group_segment_fixed_size 0
		.amdhsa_private_segment_fixed_size 0
		.amdhsa_kernarg_size 96
		.amdhsa_user_sgpr_count 6
		.amdhsa_user_sgpr_private_segment_buffer 1
		.amdhsa_user_sgpr_dispatch_ptr 0
		.amdhsa_user_sgpr_queue_ptr 0
		.amdhsa_user_sgpr_kernarg_segment_ptr 1
		.amdhsa_user_sgpr_dispatch_id 0
		.amdhsa_user_sgpr_flat_scratch_init 0
		.amdhsa_user_sgpr_kernarg_preload_length 0
		.amdhsa_user_sgpr_kernarg_preload_offset 0
		.amdhsa_user_sgpr_private_segment_size 0
		.amdhsa_uses_dynamic_stack 0
		.amdhsa_system_sgpr_private_segment_wavefront_offset 0
		.amdhsa_system_sgpr_workgroup_id_x 1
		.amdhsa_system_sgpr_workgroup_id_y 0
		.amdhsa_system_sgpr_workgroup_id_z 0
		.amdhsa_system_sgpr_workgroup_info 0
		.amdhsa_system_vgpr_workitem_id 0
		.amdhsa_next_free_vgpr 1
		.amdhsa_next_free_sgpr 0
		.amdhsa_accum_offset 4
		.amdhsa_reserve_vcc 0
		.amdhsa_reserve_flat_scratch 0
		.amdhsa_float_round_mode_32 0
		.amdhsa_float_round_mode_16_64 0
		.amdhsa_float_denorm_mode_32 3
		.amdhsa_float_denorm_mode_16_64 3
		.amdhsa_dx10_clamp 1
		.amdhsa_ieee_mode 1
		.amdhsa_fp16_overflow 0
		.amdhsa_tg_split 0
		.amdhsa_exception_fp_ieee_invalid_op 0
		.amdhsa_exception_fp_denorm_src 0
		.amdhsa_exception_fp_ieee_div_zero 0
		.amdhsa_exception_fp_ieee_overflow 0
		.amdhsa_exception_fp_ieee_underflow 0
		.amdhsa_exception_fp_ieee_inexact 0
		.amdhsa_exception_int_div_zero 0
	.end_amdhsa_kernel
	.section	.text._ZN7rocprim17ROCPRIM_400000_NS6detail17trampoline_kernelINS0_14default_configENS1_20scan_config_selectorItEEZZNS1_9scan_implILNS1_25lookback_scan_determinismE0ELb0ELb0ES3_N6thrust23THRUST_200600_302600_NS6detail15normal_iteratorINS9_10device_ptrItEEEESE_tNS9_4plusIvEEtEEDaPvRmT3_T4_T5_mT6_P12ihipStream_tbENKUlT_T0_E_clISt17integral_constantIbLb1EEST_IbLb0EEEEDaSP_SQ_EUlSP_E_NS1_11comp_targetILNS1_3genE3ELNS1_11target_archE908ELNS1_3gpuE7ELNS1_3repE0EEENS1_30default_config_static_selectorELNS0_4arch9wavefront6targetE1EEEvT1_,"axG",@progbits,_ZN7rocprim17ROCPRIM_400000_NS6detail17trampoline_kernelINS0_14default_configENS1_20scan_config_selectorItEEZZNS1_9scan_implILNS1_25lookback_scan_determinismE0ELb0ELb0ES3_N6thrust23THRUST_200600_302600_NS6detail15normal_iteratorINS9_10device_ptrItEEEESE_tNS9_4plusIvEEtEEDaPvRmT3_T4_T5_mT6_P12ihipStream_tbENKUlT_T0_E_clISt17integral_constantIbLb1EEST_IbLb0EEEEDaSP_SQ_EUlSP_E_NS1_11comp_targetILNS1_3genE3ELNS1_11target_archE908ELNS1_3gpuE7ELNS1_3repE0EEENS1_30default_config_static_selectorELNS0_4arch9wavefront6targetE1EEEvT1_,comdat
.Lfunc_end4757:
	.size	_ZN7rocprim17ROCPRIM_400000_NS6detail17trampoline_kernelINS0_14default_configENS1_20scan_config_selectorItEEZZNS1_9scan_implILNS1_25lookback_scan_determinismE0ELb0ELb0ES3_N6thrust23THRUST_200600_302600_NS6detail15normal_iteratorINS9_10device_ptrItEEEESE_tNS9_4plusIvEEtEEDaPvRmT3_T4_T5_mT6_P12ihipStream_tbENKUlT_T0_E_clISt17integral_constantIbLb1EEST_IbLb0EEEEDaSP_SQ_EUlSP_E_NS1_11comp_targetILNS1_3genE3ELNS1_11target_archE908ELNS1_3gpuE7ELNS1_3repE0EEENS1_30default_config_static_selectorELNS0_4arch9wavefront6targetE1EEEvT1_, .Lfunc_end4757-_ZN7rocprim17ROCPRIM_400000_NS6detail17trampoline_kernelINS0_14default_configENS1_20scan_config_selectorItEEZZNS1_9scan_implILNS1_25lookback_scan_determinismE0ELb0ELb0ES3_N6thrust23THRUST_200600_302600_NS6detail15normal_iteratorINS9_10device_ptrItEEEESE_tNS9_4plusIvEEtEEDaPvRmT3_T4_T5_mT6_P12ihipStream_tbENKUlT_T0_E_clISt17integral_constantIbLb1EEST_IbLb0EEEEDaSP_SQ_EUlSP_E_NS1_11comp_targetILNS1_3genE3ELNS1_11target_archE908ELNS1_3gpuE7ELNS1_3repE0EEENS1_30default_config_static_selectorELNS0_4arch9wavefront6targetE1EEEvT1_
                                        ; -- End function
	.section	.AMDGPU.csdata,"",@progbits
; Kernel info:
; codeLenInByte = 0
; NumSgprs: 4
; NumVgprs: 0
; NumAgprs: 0
; TotalNumVgprs: 0
; ScratchSize: 0
; MemoryBound: 0
; FloatMode: 240
; IeeeMode: 1
; LDSByteSize: 0 bytes/workgroup (compile time only)
; SGPRBlocks: 0
; VGPRBlocks: 0
; NumSGPRsForWavesPerEU: 4
; NumVGPRsForWavesPerEU: 1
; AccumOffset: 4
; Occupancy: 8
; WaveLimiterHint : 0
; COMPUTE_PGM_RSRC2:SCRATCH_EN: 0
; COMPUTE_PGM_RSRC2:USER_SGPR: 6
; COMPUTE_PGM_RSRC2:TRAP_HANDLER: 0
; COMPUTE_PGM_RSRC2:TGID_X_EN: 1
; COMPUTE_PGM_RSRC2:TGID_Y_EN: 0
; COMPUTE_PGM_RSRC2:TGID_Z_EN: 0
; COMPUTE_PGM_RSRC2:TIDIG_COMP_CNT: 0
; COMPUTE_PGM_RSRC3_GFX90A:ACCUM_OFFSET: 0
; COMPUTE_PGM_RSRC3_GFX90A:TG_SPLIT: 0
	.section	.text._ZN7rocprim17ROCPRIM_400000_NS6detail17trampoline_kernelINS0_14default_configENS1_20scan_config_selectorItEEZZNS1_9scan_implILNS1_25lookback_scan_determinismE0ELb0ELb0ES3_N6thrust23THRUST_200600_302600_NS6detail15normal_iteratorINS9_10device_ptrItEEEESE_tNS9_4plusIvEEtEEDaPvRmT3_T4_T5_mT6_P12ihipStream_tbENKUlT_T0_E_clISt17integral_constantIbLb1EEST_IbLb0EEEEDaSP_SQ_EUlSP_E_NS1_11comp_targetILNS1_3genE2ELNS1_11target_archE906ELNS1_3gpuE6ELNS1_3repE0EEENS1_30default_config_static_selectorELNS0_4arch9wavefront6targetE1EEEvT1_,"axG",@progbits,_ZN7rocprim17ROCPRIM_400000_NS6detail17trampoline_kernelINS0_14default_configENS1_20scan_config_selectorItEEZZNS1_9scan_implILNS1_25lookback_scan_determinismE0ELb0ELb0ES3_N6thrust23THRUST_200600_302600_NS6detail15normal_iteratorINS9_10device_ptrItEEEESE_tNS9_4plusIvEEtEEDaPvRmT3_T4_T5_mT6_P12ihipStream_tbENKUlT_T0_E_clISt17integral_constantIbLb1EEST_IbLb0EEEEDaSP_SQ_EUlSP_E_NS1_11comp_targetILNS1_3genE2ELNS1_11target_archE906ELNS1_3gpuE6ELNS1_3repE0EEENS1_30default_config_static_selectorELNS0_4arch9wavefront6targetE1EEEvT1_,comdat
	.protected	_ZN7rocprim17ROCPRIM_400000_NS6detail17trampoline_kernelINS0_14default_configENS1_20scan_config_selectorItEEZZNS1_9scan_implILNS1_25lookback_scan_determinismE0ELb0ELb0ES3_N6thrust23THRUST_200600_302600_NS6detail15normal_iteratorINS9_10device_ptrItEEEESE_tNS9_4plusIvEEtEEDaPvRmT3_T4_T5_mT6_P12ihipStream_tbENKUlT_T0_E_clISt17integral_constantIbLb1EEST_IbLb0EEEEDaSP_SQ_EUlSP_E_NS1_11comp_targetILNS1_3genE2ELNS1_11target_archE906ELNS1_3gpuE6ELNS1_3repE0EEENS1_30default_config_static_selectorELNS0_4arch9wavefront6targetE1EEEvT1_ ; -- Begin function _ZN7rocprim17ROCPRIM_400000_NS6detail17trampoline_kernelINS0_14default_configENS1_20scan_config_selectorItEEZZNS1_9scan_implILNS1_25lookback_scan_determinismE0ELb0ELb0ES3_N6thrust23THRUST_200600_302600_NS6detail15normal_iteratorINS9_10device_ptrItEEEESE_tNS9_4plusIvEEtEEDaPvRmT3_T4_T5_mT6_P12ihipStream_tbENKUlT_T0_E_clISt17integral_constantIbLb1EEST_IbLb0EEEEDaSP_SQ_EUlSP_E_NS1_11comp_targetILNS1_3genE2ELNS1_11target_archE906ELNS1_3gpuE6ELNS1_3repE0EEENS1_30default_config_static_selectorELNS0_4arch9wavefront6targetE1EEEvT1_
	.globl	_ZN7rocprim17ROCPRIM_400000_NS6detail17trampoline_kernelINS0_14default_configENS1_20scan_config_selectorItEEZZNS1_9scan_implILNS1_25lookback_scan_determinismE0ELb0ELb0ES3_N6thrust23THRUST_200600_302600_NS6detail15normal_iteratorINS9_10device_ptrItEEEESE_tNS9_4plusIvEEtEEDaPvRmT3_T4_T5_mT6_P12ihipStream_tbENKUlT_T0_E_clISt17integral_constantIbLb1EEST_IbLb0EEEEDaSP_SQ_EUlSP_E_NS1_11comp_targetILNS1_3genE2ELNS1_11target_archE906ELNS1_3gpuE6ELNS1_3repE0EEENS1_30default_config_static_selectorELNS0_4arch9wavefront6targetE1EEEvT1_
	.p2align	8
	.type	_ZN7rocprim17ROCPRIM_400000_NS6detail17trampoline_kernelINS0_14default_configENS1_20scan_config_selectorItEEZZNS1_9scan_implILNS1_25lookback_scan_determinismE0ELb0ELb0ES3_N6thrust23THRUST_200600_302600_NS6detail15normal_iteratorINS9_10device_ptrItEEEESE_tNS9_4plusIvEEtEEDaPvRmT3_T4_T5_mT6_P12ihipStream_tbENKUlT_T0_E_clISt17integral_constantIbLb1EEST_IbLb0EEEEDaSP_SQ_EUlSP_E_NS1_11comp_targetILNS1_3genE2ELNS1_11target_archE906ELNS1_3gpuE6ELNS1_3repE0EEENS1_30default_config_static_selectorELNS0_4arch9wavefront6targetE1EEEvT1_,@function
_ZN7rocprim17ROCPRIM_400000_NS6detail17trampoline_kernelINS0_14default_configENS1_20scan_config_selectorItEEZZNS1_9scan_implILNS1_25lookback_scan_determinismE0ELb0ELb0ES3_N6thrust23THRUST_200600_302600_NS6detail15normal_iteratorINS9_10device_ptrItEEEESE_tNS9_4plusIvEEtEEDaPvRmT3_T4_T5_mT6_P12ihipStream_tbENKUlT_T0_E_clISt17integral_constantIbLb1EEST_IbLb0EEEEDaSP_SQ_EUlSP_E_NS1_11comp_targetILNS1_3genE2ELNS1_11target_archE906ELNS1_3gpuE6ELNS1_3repE0EEENS1_30default_config_static_selectorELNS0_4arch9wavefront6targetE1EEEvT1_: ; @_ZN7rocprim17ROCPRIM_400000_NS6detail17trampoline_kernelINS0_14default_configENS1_20scan_config_selectorItEEZZNS1_9scan_implILNS1_25lookback_scan_determinismE0ELb0ELb0ES3_N6thrust23THRUST_200600_302600_NS6detail15normal_iteratorINS9_10device_ptrItEEEESE_tNS9_4plusIvEEtEEDaPvRmT3_T4_T5_mT6_P12ihipStream_tbENKUlT_T0_E_clISt17integral_constantIbLb1EEST_IbLb0EEEEDaSP_SQ_EUlSP_E_NS1_11comp_targetILNS1_3genE2ELNS1_11target_archE906ELNS1_3gpuE6ELNS1_3repE0EEENS1_30default_config_static_selectorELNS0_4arch9wavefront6targetE1EEEvT1_
; %bb.0:
	.section	.rodata,"a",@progbits
	.p2align	6, 0x0
	.amdhsa_kernel _ZN7rocprim17ROCPRIM_400000_NS6detail17trampoline_kernelINS0_14default_configENS1_20scan_config_selectorItEEZZNS1_9scan_implILNS1_25lookback_scan_determinismE0ELb0ELb0ES3_N6thrust23THRUST_200600_302600_NS6detail15normal_iteratorINS9_10device_ptrItEEEESE_tNS9_4plusIvEEtEEDaPvRmT3_T4_T5_mT6_P12ihipStream_tbENKUlT_T0_E_clISt17integral_constantIbLb1EEST_IbLb0EEEEDaSP_SQ_EUlSP_E_NS1_11comp_targetILNS1_3genE2ELNS1_11target_archE906ELNS1_3gpuE6ELNS1_3repE0EEENS1_30default_config_static_selectorELNS0_4arch9wavefront6targetE1EEEvT1_
		.amdhsa_group_segment_fixed_size 0
		.amdhsa_private_segment_fixed_size 0
		.amdhsa_kernarg_size 96
		.amdhsa_user_sgpr_count 6
		.amdhsa_user_sgpr_private_segment_buffer 1
		.amdhsa_user_sgpr_dispatch_ptr 0
		.amdhsa_user_sgpr_queue_ptr 0
		.amdhsa_user_sgpr_kernarg_segment_ptr 1
		.amdhsa_user_sgpr_dispatch_id 0
		.amdhsa_user_sgpr_flat_scratch_init 0
		.amdhsa_user_sgpr_kernarg_preload_length 0
		.amdhsa_user_sgpr_kernarg_preload_offset 0
		.amdhsa_user_sgpr_private_segment_size 0
		.amdhsa_uses_dynamic_stack 0
		.amdhsa_system_sgpr_private_segment_wavefront_offset 0
		.amdhsa_system_sgpr_workgroup_id_x 1
		.amdhsa_system_sgpr_workgroup_id_y 0
		.amdhsa_system_sgpr_workgroup_id_z 0
		.amdhsa_system_sgpr_workgroup_info 0
		.amdhsa_system_vgpr_workitem_id 0
		.amdhsa_next_free_vgpr 1
		.amdhsa_next_free_sgpr 0
		.amdhsa_accum_offset 4
		.amdhsa_reserve_vcc 0
		.amdhsa_reserve_flat_scratch 0
		.amdhsa_float_round_mode_32 0
		.amdhsa_float_round_mode_16_64 0
		.amdhsa_float_denorm_mode_32 3
		.amdhsa_float_denorm_mode_16_64 3
		.amdhsa_dx10_clamp 1
		.amdhsa_ieee_mode 1
		.amdhsa_fp16_overflow 0
		.amdhsa_tg_split 0
		.amdhsa_exception_fp_ieee_invalid_op 0
		.amdhsa_exception_fp_denorm_src 0
		.amdhsa_exception_fp_ieee_div_zero 0
		.amdhsa_exception_fp_ieee_overflow 0
		.amdhsa_exception_fp_ieee_underflow 0
		.amdhsa_exception_fp_ieee_inexact 0
		.amdhsa_exception_int_div_zero 0
	.end_amdhsa_kernel
	.section	.text._ZN7rocprim17ROCPRIM_400000_NS6detail17trampoline_kernelINS0_14default_configENS1_20scan_config_selectorItEEZZNS1_9scan_implILNS1_25lookback_scan_determinismE0ELb0ELb0ES3_N6thrust23THRUST_200600_302600_NS6detail15normal_iteratorINS9_10device_ptrItEEEESE_tNS9_4plusIvEEtEEDaPvRmT3_T4_T5_mT6_P12ihipStream_tbENKUlT_T0_E_clISt17integral_constantIbLb1EEST_IbLb0EEEEDaSP_SQ_EUlSP_E_NS1_11comp_targetILNS1_3genE2ELNS1_11target_archE906ELNS1_3gpuE6ELNS1_3repE0EEENS1_30default_config_static_selectorELNS0_4arch9wavefront6targetE1EEEvT1_,"axG",@progbits,_ZN7rocprim17ROCPRIM_400000_NS6detail17trampoline_kernelINS0_14default_configENS1_20scan_config_selectorItEEZZNS1_9scan_implILNS1_25lookback_scan_determinismE0ELb0ELb0ES3_N6thrust23THRUST_200600_302600_NS6detail15normal_iteratorINS9_10device_ptrItEEEESE_tNS9_4plusIvEEtEEDaPvRmT3_T4_T5_mT6_P12ihipStream_tbENKUlT_T0_E_clISt17integral_constantIbLb1EEST_IbLb0EEEEDaSP_SQ_EUlSP_E_NS1_11comp_targetILNS1_3genE2ELNS1_11target_archE906ELNS1_3gpuE6ELNS1_3repE0EEENS1_30default_config_static_selectorELNS0_4arch9wavefront6targetE1EEEvT1_,comdat
.Lfunc_end4758:
	.size	_ZN7rocprim17ROCPRIM_400000_NS6detail17trampoline_kernelINS0_14default_configENS1_20scan_config_selectorItEEZZNS1_9scan_implILNS1_25lookback_scan_determinismE0ELb0ELb0ES3_N6thrust23THRUST_200600_302600_NS6detail15normal_iteratorINS9_10device_ptrItEEEESE_tNS9_4plusIvEEtEEDaPvRmT3_T4_T5_mT6_P12ihipStream_tbENKUlT_T0_E_clISt17integral_constantIbLb1EEST_IbLb0EEEEDaSP_SQ_EUlSP_E_NS1_11comp_targetILNS1_3genE2ELNS1_11target_archE906ELNS1_3gpuE6ELNS1_3repE0EEENS1_30default_config_static_selectorELNS0_4arch9wavefront6targetE1EEEvT1_, .Lfunc_end4758-_ZN7rocprim17ROCPRIM_400000_NS6detail17trampoline_kernelINS0_14default_configENS1_20scan_config_selectorItEEZZNS1_9scan_implILNS1_25lookback_scan_determinismE0ELb0ELb0ES3_N6thrust23THRUST_200600_302600_NS6detail15normal_iteratorINS9_10device_ptrItEEEESE_tNS9_4plusIvEEtEEDaPvRmT3_T4_T5_mT6_P12ihipStream_tbENKUlT_T0_E_clISt17integral_constantIbLb1EEST_IbLb0EEEEDaSP_SQ_EUlSP_E_NS1_11comp_targetILNS1_3genE2ELNS1_11target_archE906ELNS1_3gpuE6ELNS1_3repE0EEENS1_30default_config_static_selectorELNS0_4arch9wavefront6targetE1EEEvT1_
                                        ; -- End function
	.section	.AMDGPU.csdata,"",@progbits
; Kernel info:
; codeLenInByte = 0
; NumSgprs: 4
; NumVgprs: 0
; NumAgprs: 0
; TotalNumVgprs: 0
; ScratchSize: 0
; MemoryBound: 0
; FloatMode: 240
; IeeeMode: 1
; LDSByteSize: 0 bytes/workgroup (compile time only)
; SGPRBlocks: 0
; VGPRBlocks: 0
; NumSGPRsForWavesPerEU: 4
; NumVGPRsForWavesPerEU: 1
; AccumOffset: 4
; Occupancy: 8
; WaveLimiterHint : 0
; COMPUTE_PGM_RSRC2:SCRATCH_EN: 0
; COMPUTE_PGM_RSRC2:USER_SGPR: 6
; COMPUTE_PGM_RSRC2:TRAP_HANDLER: 0
; COMPUTE_PGM_RSRC2:TGID_X_EN: 1
; COMPUTE_PGM_RSRC2:TGID_Y_EN: 0
; COMPUTE_PGM_RSRC2:TGID_Z_EN: 0
; COMPUTE_PGM_RSRC2:TIDIG_COMP_CNT: 0
; COMPUTE_PGM_RSRC3_GFX90A:ACCUM_OFFSET: 0
; COMPUTE_PGM_RSRC3_GFX90A:TG_SPLIT: 0
	.section	.text._ZN7rocprim17ROCPRIM_400000_NS6detail17trampoline_kernelINS0_14default_configENS1_20scan_config_selectorItEEZZNS1_9scan_implILNS1_25lookback_scan_determinismE0ELb0ELb0ES3_N6thrust23THRUST_200600_302600_NS6detail15normal_iteratorINS9_10device_ptrItEEEESE_tNS9_4plusIvEEtEEDaPvRmT3_T4_T5_mT6_P12ihipStream_tbENKUlT_T0_E_clISt17integral_constantIbLb1EEST_IbLb0EEEEDaSP_SQ_EUlSP_E_NS1_11comp_targetILNS1_3genE10ELNS1_11target_archE1201ELNS1_3gpuE5ELNS1_3repE0EEENS1_30default_config_static_selectorELNS0_4arch9wavefront6targetE1EEEvT1_,"axG",@progbits,_ZN7rocprim17ROCPRIM_400000_NS6detail17trampoline_kernelINS0_14default_configENS1_20scan_config_selectorItEEZZNS1_9scan_implILNS1_25lookback_scan_determinismE0ELb0ELb0ES3_N6thrust23THRUST_200600_302600_NS6detail15normal_iteratorINS9_10device_ptrItEEEESE_tNS9_4plusIvEEtEEDaPvRmT3_T4_T5_mT6_P12ihipStream_tbENKUlT_T0_E_clISt17integral_constantIbLb1EEST_IbLb0EEEEDaSP_SQ_EUlSP_E_NS1_11comp_targetILNS1_3genE10ELNS1_11target_archE1201ELNS1_3gpuE5ELNS1_3repE0EEENS1_30default_config_static_selectorELNS0_4arch9wavefront6targetE1EEEvT1_,comdat
	.protected	_ZN7rocprim17ROCPRIM_400000_NS6detail17trampoline_kernelINS0_14default_configENS1_20scan_config_selectorItEEZZNS1_9scan_implILNS1_25lookback_scan_determinismE0ELb0ELb0ES3_N6thrust23THRUST_200600_302600_NS6detail15normal_iteratorINS9_10device_ptrItEEEESE_tNS9_4plusIvEEtEEDaPvRmT3_T4_T5_mT6_P12ihipStream_tbENKUlT_T0_E_clISt17integral_constantIbLb1EEST_IbLb0EEEEDaSP_SQ_EUlSP_E_NS1_11comp_targetILNS1_3genE10ELNS1_11target_archE1201ELNS1_3gpuE5ELNS1_3repE0EEENS1_30default_config_static_selectorELNS0_4arch9wavefront6targetE1EEEvT1_ ; -- Begin function _ZN7rocprim17ROCPRIM_400000_NS6detail17trampoline_kernelINS0_14default_configENS1_20scan_config_selectorItEEZZNS1_9scan_implILNS1_25lookback_scan_determinismE0ELb0ELb0ES3_N6thrust23THRUST_200600_302600_NS6detail15normal_iteratorINS9_10device_ptrItEEEESE_tNS9_4plusIvEEtEEDaPvRmT3_T4_T5_mT6_P12ihipStream_tbENKUlT_T0_E_clISt17integral_constantIbLb1EEST_IbLb0EEEEDaSP_SQ_EUlSP_E_NS1_11comp_targetILNS1_3genE10ELNS1_11target_archE1201ELNS1_3gpuE5ELNS1_3repE0EEENS1_30default_config_static_selectorELNS0_4arch9wavefront6targetE1EEEvT1_
	.globl	_ZN7rocprim17ROCPRIM_400000_NS6detail17trampoline_kernelINS0_14default_configENS1_20scan_config_selectorItEEZZNS1_9scan_implILNS1_25lookback_scan_determinismE0ELb0ELb0ES3_N6thrust23THRUST_200600_302600_NS6detail15normal_iteratorINS9_10device_ptrItEEEESE_tNS9_4plusIvEEtEEDaPvRmT3_T4_T5_mT6_P12ihipStream_tbENKUlT_T0_E_clISt17integral_constantIbLb1EEST_IbLb0EEEEDaSP_SQ_EUlSP_E_NS1_11comp_targetILNS1_3genE10ELNS1_11target_archE1201ELNS1_3gpuE5ELNS1_3repE0EEENS1_30default_config_static_selectorELNS0_4arch9wavefront6targetE1EEEvT1_
	.p2align	8
	.type	_ZN7rocprim17ROCPRIM_400000_NS6detail17trampoline_kernelINS0_14default_configENS1_20scan_config_selectorItEEZZNS1_9scan_implILNS1_25lookback_scan_determinismE0ELb0ELb0ES3_N6thrust23THRUST_200600_302600_NS6detail15normal_iteratorINS9_10device_ptrItEEEESE_tNS9_4plusIvEEtEEDaPvRmT3_T4_T5_mT6_P12ihipStream_tbENKUlT_T0_E_clISt17integral_constantIbLb1EEST_IbLb0EEEEDaSP_SQ_EUlSP_E_NS1_11comp_targetILNS1_3genE10ELNS1_11target_archE1201ELNS1_3gpuE5ELNS1_3repE0EEENS1_30default_config_static_selectorELNS0_4arch9wavefront6targetE1EEEvT1_,@function
_ZN7rocprim17ROCPRIM_400000_NS6detail17trampoline_kernelINS0_14default_configENS1_20scan_config_selectorItEEZZNS1_9scan_implILNS1_25lookback_scan_determinismE0ELb0ELb0ES3_N6thrust23THRUST_200600_302600_NS6detail15normal_iteratorINS9_10device_ptrItEEEESE_tNS9_4plusIvEEtEEDaPvRmT3_T4_T5_mT6_P12ihipStream_tbENKUlT_T0_E_clISt17integral_constantIbLb1EEST_IbLb0EEEEDaSP_SQ_EUlSP_E_NS1_11comp_targetILNS1_3genE10ELNS1_11target_archE1201ELNS1_3gpuE5ELNS1_3repE0EEENS1_30default_config_static_selectorELNS0_4arch9wavefront6targetE1EEEvT1_: ; @_ZN7rocprim17ROCPRIM_400000_NS6detail17trampoline_kernelINS0_14default_configENS1_20scan_config_selectorItEEZZNS1_9scan_implILNS1_25lookback_scan_determinismE0ELb0ELb0ES3_N6thrust23THRUST_200600_302600_NS6detail15normal_iteratorINS9_10device_ptrItEEEESE_tNS9_4plusIvEEtEEDaPvRmT3_T4_T5_mT6_P12ihipStream_tbENKUlT_T0_E_clISt17integral_constantIbLb1EEST_IbLb0EEEEDaSP_SQ_EUlSP_E_NS1_11comp_targetILNS1_3genE10ELNS1_11target_archE1201ELNS1_3gpuE5ELNS1_3repE0EEENS1_30default_config_static_selectorELNS0_4arch9wavefront6targetE1EEEvT1_
; %bb.0:
	.section	.rodata,"a",@progbits
	.p2align	6, 0x0
	.amdhsa_kernel _ZN7rocprim17ROCPRIM_400000_NS6detail17trampoline_kernelINS0_14default_configENS1_20scan_config_selectorItEEZZNS1_9scan_implILNS1_25lookback_scan_determinismE0ELb0ELb0ES3_N6thrust23THRUST_200600_302600_NS6detail15normal_iteratorINS9_10device_ptrItEEEESE_tNS9_4plusIvEEtEEDaPvRmT3_T4_T5_mT6_P12ihipStream_tbENKUlT_T0_E_clISt17integral_constantIbLb1EEST_IbLb0EEEEDaSP_SQ_EUlSP_E_NS1_11comp_targetILNS1_3genE10ELNS1_11target_archE1201ELNS1_3gpuE5ELNS1_3repE0EEENS1_30default_config_static_selectorELNS0_4arch9wavefront6targetE1EEEvT1_
		.amdhsa_group_segment_fixed_size 0
		.amdhsa_private_segment_fixed_size 0
		.amdhsa_kernarg_size 96
		.amdhsa_user_sgpr_count 6
		.amdhsa_user_sgpr_private_segment_buffer 1
		.amdhsa_user_sgpr_dispatch_ptr 0
		.amdhsa_user_sgpr_queue_ptr 0
		.amdhsa_user_sgpr_kernarg_segment_ptr 1
		.amdhsa_user_sgpr_dispatch_id 0
		.amdhsa_user_sgpr_flat_scratch_init 0
		.amdhsa_user_sgpr_kernarg_preload_length 0
		.amdhsa_user_sgpr_kernarg_preload_offset 0
		.amdhsa_user_sgpr_private_segment_size 0
		.amdhsa_uses_dynamic_stack 0
		.amdhsa_system_sgpr_private_segment_wavefront_offset 0
		.amdhsa_system_sgpr_workgroup_id_x 1
		.amdhsa_system_sgpr_workgroup_id_y 0
		.amdhsa_system_sgpr_workgroup_id_z 0
		.amdhsa_system_sgpr_workgroup_info 0
		.amdhsa_system_vgpr_workitem_id 0
		.amdhsa_next_free_vgpr 1
		.amdhsa_next_free_sgpr 0
		.amdhsa_accum_offset 4
		.amdhsa_reserve_vcc 0
		.amdhsa_reserve_flat_scratch 0
		.amdhsa_float_round_mode_32 0
		.amdhsa_float_round_mode_16_64 0
		.amdhsa_float_denorm_mode_32 3
		.amdhsa_float_denorm_mode_16_64 3
		.amdhsa_dx10_clamp 1
		.amdhsa_ieee_mode 1
		.amdhsa_fp16_overflow 0
		.amdhsa_tg_split 0
		.amdhsa_exception_fp_ieee_invalid_op 0
		.amdhsa_exception_fp_denorm_src 0
		.amdhsa_exception_fp_ieee_div_zero 0
		.amdhsa_exception_fp_ieee_overflow 0
		.amdhsa_exception_fp_ieee_underflow 0
		.amdhsa_exception_fp_ieee_inexact 0
		.amdhsa_exception_int_div_zero 0
	.end_amdhsa_kernel
	.section	.text._ZN7rocprim17ROCPRIM_400000_NS6detail17trampoline_kernelINS0_14default_configENS1_20scan_config_selectorItEEZZNS1_9scan_implILNS1_25lookback_scan_determinismE0ELb0ELb0ES3_N6thrust23THRUST_200600_302600_NS6detail15normal_iteratorINS9_10device_ptrItEEEESE_tNS9_4plusIvEEtEEDaPvRmT3_T4_T5_mT6_P12ihipStream_tbENKUlT_T0_E_clISt17integral_constantIbLb1EEST_IbLb0EEEEDaSP_SQ_EUlSP_E_NS1_11comp_targetILNS1_3genE10ELNS1_11target_archE1201ELNS1_3gpuE5ELNS1_3repE0EEENS1_30default_config_static_selectorELNS0_4arch9wavefront6targetE1EEEvT1_,"axG",@progbits,_ZN7rocprim17ROCPRIM_400000_NS6detail17trampoline_kernelINS0_14default_configENS1_20scan_config_selectorItEEZZNS1_9scan_implILNS1_25lookback_scan_determinismE0ELb0ELb0ES3_N6thrust23THRUST_200600_302600_NS6detail15normal_iteratorINS9_10device_ptrItEEEESE_tNS9_4plusIvEEtEEDaPvRmT3_T4_T5_mT6_P12ihipStream_tbENKUlT_T0_E_clISt17integral_constantIbLb1EEST_IbLb0EEEEDaSP_SQ_EUlSP_E_NS1_11comp_targetILNS1_3genE10ELNS1_11target_archE1201ELNS1_3gpuE5ELNS1_3repE0EEENS1_30default_config_static_selectorELNS0_4arch9wavefront6targetE1EEEvT1_,comdat
.Lfunc_end4759:
	.size	_ZN7rocprim17ROCPRIM_400000_NS6detail17trampoline_kernelINS0_14default_configENS1_20scan_config_selectorItEEZZNS1_9scan_implILNS1_25lookback_scan_determinismE0ELb0ELb0ES3_N6thrust23THRUST_200600_302600_NS6detail15normal_iteratorINS9_10device_ptrItEEEESE_tNS9_4plusIvEEtEEDaPvRmT3_T4_T5_mT6_P12ihipStream_tbENKUlT_T0_E_clISt17integral_constantIbLb1EEST_IbLb0EEEEDaSP_SQ_EUlSP_E_NS1_11comp_targetILNS1_3genE10ELNS1_11target_archE1201ELNS1_3gpuE5ELNS1_3repE0EEENS1_30default_config_static_selectorELNS0_4arch9wavefront6targetE1EEEvT1_, .Lfunc_end4759-_ZN7rocprim17ROCPRIM_400000_NS6detail17trampoline_kernelINS0_14default_configENS1_20scan_config_selectorItEEZZNS1_9scan_implILNS1_25lookback_scan_determinismE0ELb0ELb0ES3_N6thrust23THRUST_200600_302600_NS6detail15normal_iteratorINS9_10device_ptrItEEEESE_tNS9_4plusIvEEtEEDaPvRmT3_T4_T5_mT6_P12ihipStream_tbENKUlT_T0_E_clISt17integral_constantIbLb1EEST_IbLb0EEEEDaSP_SQ_EUlSP_E_NS1_11comp_targetILNS1_3genE10ELNS1_11target_archE1201ELNS1_3gpuE5ELNS1_3repE0EEENS1_30default_config_static_selectorELNS0_4arch9wavefront6targetE1EEEvT1_
                                        ; -- End function
	.section	.AMDGPU.csdata,"",@progbits
; Kernel info:
; codeLenInByte = 0
; NumSgprs: 4
; NumVgprs: 0
; NumAgprs: 0
; TotalNumVgprs: 0
; ScratchSize: 0
; MemoryBound: 0
; FloatMode: 240
; IeeeMode: 1
; LDSByteSize: 0 bytes/workgroup (compile time only)
; SGPRBlocks: 0
; VGPRBlocks: 0
; NumSGPRsForWavesPerEU: 4
; NumVGPRsForWavesPerEU: 1
; AccumOffset: 4
; Occupancy: 8
; WaveLimiterHint : 0
; COMPUTE_PGM_RSRC2:SCRATCH_EN: 0
; COMPUTE_PGM_RSRC2:USER_SGPR: 6
; COMPUTE_PGM_RSRC2:TRAP_HANDLER: 0
; COMPUTE_PGM_RSRC2:TGID_X_EN: 1
; COMPUTE_PGM_RSRC2:TGID_Y_EN: 0
; COMPUTE_PGM_RSRC2:TGID_Z_EN: 0
; COMPUTE_PGM_RSRC2:TIDIG_COMP_CNT: 0
; COMPUTE_PGM_RSRC3_GFX90A:ACCUM_OFFSET: 0
; COMPUTE_PGM_RSRC3_GFX90A:TG_SPLIT: 0
	.section	.text._ZN7rocprim17ROCPRIM_400000_NS6detail17trampoline_kernelINS0_14default_configENS1_20scan_config_selectorItEEZZNS1_9scan_implILNS1_25lookback_scan_determinismE0ELb0ELb0ES3_N6thrust23THRUST_200600_302600_NS6detail15normal_iteratorINS9_10device_ptrItEEEESE_tNS9_4plusIvEEtEEDaPvRmT3_T4_T5_mT6_P12ihipStream_tbENKUlT_T0_E_clISt17integral_constantIbLb1EEST_IbLb0EEEEDaSP_SQ_EUlSP_E_NS1_11comp_targetILNS1_3genE10ELNS1_11target_archE1200ELNS1_3gpuE4ELNS1_3repE0EEENS1_30default_config_static_selectorELNS0_4arch9wavefront6targetE1EEEvT1_,"axG",@progbits,_ZN7rocprim17ROCPRIM_400000_NS6detail17trampoline_kernelINS0_14default_configENS1_20scan_config_selectorItEEZZNS1_9scan_implILNS1_25lookback_scan_determinismE0ELb0ELb0ES3_N6thrust23THRUST_200600_302600_NS6detail15normal_iteratorINS9_10device_ptrItEEEESE_tNS9_4plusIvEEtEEDaPvRmT3_T4_T5_mT6_P12ihipStream_tbENKUlT_T0_E_clISt17integral_constantIbLb1EEST_IbLb0EEEEDaSP_SQ_EUlSP_E_NS1_11comp_targetILNS1_3genE10ELNS1_11target_archE1200ELNS1_3gpuE4ELNS1_3repE0EEENS1_30default_config_static_selectorELNS0_4arch9wavefront6targetE1EEEvT1_,comdat
	.protected	_ZN7rocprim17ROCPRIM_400000_NS6detail17trampoline_kernelINS0_14default_configENS1_20scan_config_selectorItEEZZNS1_9scan_implILNS1_25lookback_scan_determinismE0ELb0ELb0ES3_N6thrust23THRUST_200600_302600_NS6detail15normal_iteratorINS9_10device_ptrItEEEESE_tNS9_4plusIvEEtEEDaPvRmT3_T4_T5_mT6_P12ihipStream_tbENKUlT_T0_E_clISt17integral_constantIbLb1EEST_IbLb0EEEEDaSP_SQ_EUlSP_E_NS1_11comp_targetILNS1_3genE10ELNS1_11target_archE1200ELNS1_3gpuE4ELNS1_3repE0EEENS1_30default_config_static_selectorELNS0_4arch9wavefront6targetE1EEEvT1_ ; -- Begin function _ZN7rocprim17ROCPRIM_400000_NS6detail17trampoline_kernelINS0_14default_configENS1_20scan_config_selectorItEEZZNS1_9scan_implILNS1_25lookback_scan_determinismE0ELb0ELb0ES3_N6thrust23THRUST_200600_302600_NS6detail15normal_iteratorINS9_10device_ptrItEEEESE_tNS9_4plusIvEEtEEDaPvRmT3_T4_T5_mT6_P12ihipStream_tbENKUlT_T0_E_clISt17integral_constantIbLb1EEST_IbLb0EEEEDaSP_SQ_EUlSP_E_NS1_11comp_targetILNS1_3genE10ELNS1_11target_archE1200ELNS1_3gpuE4ELNS1_3repE0EEENS1_30default_config_static_selectorELNS0_4arch9wavefront6targetE1EEEvT1_
	.globl	_ZN7rocprim17ROCPRIM_400000_NS6detail17trampoline_kernelINS0_14default_configENS1_20scan_config_selectorItEEZZNS1_9scan_implILNS1_25lookback_scan_determinismE0ELb0ELb0ES3_N6thrust23THRUST_200600_302600_NS6detail15normal_iteratorINS9_10device_ptrItEEEESE_tNS9_4plusIvEEtEEDaPvRmT3_T4_T5_mT6_P12ihipStream_tbENKUlT_T0_E_clISt17integral_constantIbLb1EEST_IbLb0EEEEDaSP_SQ_EUlSP_E_NS1_11comp_targetILNS1_3genE10ELNS1_11target_archE1200ELNS1_3gpuE4ELNS1_3repE0EEENS1_30default_config_static_selectorELNS0_4arch9wavefront6targetE1EEEvT1_
	.p2align	8
	.type	_ZN7rocprim17ROCPRIM_400000_NS6detail17trampoline_kernelINS0_14default_configENS1_20scan_config_selectorItEEZZNS1_9scan_implILNS1_25lookback_scan_determinismE0ELb0ELb0ES3_N6thrust23THRUST_200600_302600_NS6detail15normal_iteratorINS9_10device_ptrItEEEESE_tNS9_4plusIvEEtEEDaPvRmT3_T4_T5_mT6_P12ihipStream_tbENKUlT_T0_E_clISt17integral_constantIbLb1EEST_IbLb0EEEEDaSP_SQ_EUlSP_E_NS1_11comp_targetILNS1_3genE10ELNS1_11target_archE1200ELNS1_3gpuE4ELNS1_3repE0EEENS1_30default_config_static_selectorELNS0_4arch9wavefront6targetE1EEEvT1_,@function
_ZN7rocprim17ROCPRIM_400000_NS6detail17trampoline_kernelINS0_14default_configENS1_20scan_config_selectorItEEZZNS1_9scan_implILNS1_25lookback_scan_determinismE0ELb0ELb0ES3_N6thrust23THRUST_200600_302600_NS6detail15normal_iteratorINS9_10device_ptrItEEEESE_tNS9_4plusIvEEtEEDaPvRmT3_T4_T5_mT6_P12ihipStream_tbENKUlT_T0_E_clISt17integral_constantIbLb1EEST_IbLb0EEEEDaSP_SQ_EUlSP_E_NS1_11comp_targetILNS1_3genE10ELNS1_11target_archE1200ELNS1_3gpuE4ELNS1_3repE0EEENS1_30default_config_static_selectorELNS0_4arch9wavefront6targetE1EEEvT1_: ; @_ZN7rocprim17ROCPRIM_400000_NS6detail17trampoline_kernelINS0_14default_configENS1_20scan_config_selectorItEEZZNS1_9scan_implILNS1_25lookback_scan_determinismE0ELb0ELb0ES3_N6thrust23THRUST_200600_302600_NS6detail15normal_iteratorINS9_10device_ptrItEEEESE_tNS9_4plusIvEEtEEDaPvRmT3_T4_T5_mT6_P12ihipStream_tbENKUlT_T0_E_clISt17integral_constantIbLb1EEST_IbLb0EEEEDaSP_SQ_EUlSP_E_NS1_11comp_targetILNS1_3genE10ELNS1_11target_archE1200ELNS1_3gpuE4ELNS1_3repE0EEENS1_30default_config_static_selectorELNS0_4arch9wavefront6targetE1EEEvT1_
; %bb.0:
	.section	.rodata,"a",@progbits
	.p2align	6, 0x0
	.amdhsa_kernel _ZN7rocprim17ROCPRIM_400000_NS6detail17trampoline_kernelINS0_14default_configENS1_20scan_config_selectorItEEZZNS1_9scan_implILNS1_25lookback_scan_determinismE0ELb0ELb0ES3_N6thrust23THRUST_200600_302600_NS6detail15normal_iteratorINS9_10device_ptrItEEEESE_tNS9_4plusIvEEtEEDaPvRmT3_T4_T5_mT6_P12ihipStream_tbENKUlT_T0_E_clISt17integral_constantIbLb1EEST_IbLb0EEEEDaSP_SQ_EUlSP_E_NS1_11comp_targetILNS1_3genE10ELNS1_11target_archE1200ELNS1_3gpuE4ELNS1_3repE0EEENS1_30default_config_static_selectorELNS0_4arch9wavefront6targetE1EEEvT1_
		.amdhsa_group_segment_fixed_size 0
		.amdhsa_private_segment_fixed_size 0
		.amdhsa_kernarg_size 96
		.amdhsa_user_sgpr_count 6
		.amdhsa_user_sgpr_private_segment_buffer 1
		.amdhsa_user_sgpr_dispatch_ptr 0
		.amdhsa_user_sgpr_queue_ptr 0
		.amdhsa_user_sgpr_kernarg_segment_ptr 1
		.amdhsa_user_sgpr_dispatch_id 0
		.amdhsa_user_sgpr_flat_scratch_init 0
		.amdhsa_user_sgpr_kernarg_preload_length 0
		.amdhsa_user_sgpr_kernarg_preload_offset 0
		.amdhsa_user_sgpr_private_segment_size 0
		.amdhsa_uses_dynamic_stack 0
		.amdhsa_system_sgpr_private_segment_wavefront_offset 0
		.amdhsa_system_sgpr_workgroup_id_x 1
		.amdhsa_system_sgpr_workgroup_id_y 0
		.amdhsa_system_sgpr_workgroup_id_z 0
		.amdhsa_system_sgpr_workgroup_info 0
		.amdhsa_system_vgpr_workitem_id 0
		.amdhsa_next_free_vgpr 1
		.amdhsa_next_free_sgpr 0
		.amdhsa_accum_offset 4
		.amdhsa_reserve_vcc 0
		.amdhsa_reserve_flat_scratch 0
		.amdhsa_float_round_mode_32 0
		.amdhsa_float_round_mode_16_64 0
		.amdhsa_float_denorm_mode_32 3
		.amdhsa_float_denorm_mode_16_64 3
		.amdhsa_dx10_clamp 1
		.amdhsa_ieee_mode 1
		.amdhsa_fp16_overflow 0
		.amdhsa_tg_split 0
		.amdhsa_exception_fp_ieee_invalid_op 0
		.amdhsa_exception_fp_denorm_src 0
		.amdhsa_exception_fp_ieee_div_zero 0
		.amdhsa_exception_fp_ieee_overflow 0
		.amdhsa_exception_fp_ieee_underflow 0
		.amdhsa_exception_fp_ieee_inexact 0
		.amdhsa_exception_int_div_zero 0
	.end_amdhsa_kernel
	.section	.text._ZN7rocprim17ROCPRIM_400000_NS6detail17trampoline_kernelINS0_14default_configENS1_20scan_config_selectorItEEZZNS1_9scan_implILNS1_25lookback_scan_determinismE0ELb0ELb0ES3_N6thrust23THRUST_200600_302600_NS6detail15normal_iteratorINS9_10device_ptrItEEEESE_tNS9_4plusIvEEtEEDaPvRmT3_T4_T5_mT6_P12ihipStream_tbENKUlT_T0_E_clISt17integral_constantIbLb1EEST_IbLb0EEEEDaSP_SQ_EUlSP_E_NS1_11comp_targetILNS1_3genE10ELNS1_11target_archE1200ELNS1_3gpuE4ELNS1_3repE0EEENS1_30default_config_static_selectorELNS0_4arch9wavefront6targetE1EEEvT1_,"axG",@progbits,_ZN7rocprim17ROCPRIM_400000_NS6detail17trampoline_kernelINS0_14default_configENS1_20scan_config_selectorItEEZZNS1_9scan_implILNS1_25lookback_scan_determinismE0ELb0ELb0ES3_N6thrust23THRUST_200600_302600_NS6detail15normal_iteratorINS9_10device_ptrItEEEESE_tNS9_4plusIvEEtEEDaPvRmT3_T4_T5_mT6_P12ihipStream_tbENKUlT_T0_E_clISt17integral_constantIbLb1EEST_IbLb0EEEEDaSP_SQ_EUlSP_E_NS1_11comp_targetILNS1_3genE10ELNS1_11target_archE1200ELNS1_3gpuE4ELNS1_3repE0EEENS1_30default_config_static_selectorELNS0_4arch9wavefront6targetE1EEEvT1_,comdat
.Lfunc_end4760:
	.size	_ZN7rocprim17ROCPRIM_400000_NS6detail17trampoline_kernelINS0_14default_configENS1_20scan_config_selectorItEEZZNS1_9scan_implILNS1_25lookback_scan_determinismE0ELb0ELb0ES3_N6thrust23THRUST_200600_302600_NS6detail15normal_iteratorINS9_10device_ptrItEEEESE_tNS9_4plusIvEEtEEDaPvRmT3_T4_T5_mT6_P12ihipStream_tbENKUlT_T0_E_clISt17integral_constantIbLb1EEST_IbLb0EEEEDaSP_SQ_EUlSP_E_NS1_11comp_targetILNS1_3genE10ELNS1_11target_archE1200ELNS1_3gpuE4ELNS1_3repE0EEENS1_30default_config_static_selectorELNS0_4arch9wavefront6targetE1EEEvT1_, .Lfunc_end4760-_ZN7rocprim17ROCPRIM_400000_NS6detail17trampoline_kernelINS0_14default_configENS1_20scan_config_selectorItEEZZNS1_9scan_implILNS1_25lookback_scan_determinismE0ELb0ELb0ES3_N6thrust23THRUST_200600_302600_NS6detail15normal_iteratorINS9_10device_ptrItEEEESE_tNS9_4plusIvEEtEEDaPvRmT3_T4_T5_mT6_P12ihipStream_tbENKUlT_T0_E_clISt17integral_constantIbLb1EEST_IbLb0EEEEDaSP_SQ_EUlSP_E_NS1_11comp_targetILNS1_3genE10ELNS1_11target_archE1200ELNS1_3gpuE4ELNS1_3repE0EEENS1_30default_config_static_selectorELNS0_4arch9wavefront6targetE1EEEvT1_
                                        ; -- End function
	.section	.AMDGPU.csdata,"",@progbits
; Kernel info:
; codeLenInByte = 0
; NumSgprs: 4
; NumVgprs: 0
; NumAgprs: 0
; TotalNumVgprs: 0
; ScratchSize: 0
; MemoryBound: 0
; FloatMode: 240
; IeeeMode: 1
; LDSByteSize: 0 bytes/workgroup (compile time only)
; SGPRBlocks: 0
; VGPRBlocks: 0
; NumSGPRsForWavesPerEU: 4
; NumVGPRsForWavesPerEU: 1
; AccumOffset: 4
; Occupancy: 8
; WaveLimiterHint : 0
; COMPUTE_PGM_RSRC2:SCRATCH_EN: 0
; COMPUTE_PGM_RSRC2:USER_SGPR: 6
; COMPUTE_PGM_RSRC2:TRAP_HANDLER: 0
; COMPUTE_PGM_RSRC2:TGID_X_EN: 1
; COMPUTE_PGM_RSRC2:TGID_Y_EN: 0
; COMPUTE_PGM_RSRC2:TGID_Z_EN: 0
; COMPUTE_PGM_RSRC2:TIDIG_COMP_CNT: 0
; COMPUTE_PGM_RSRC3_GFX90A:ACCUM_OFFSET: 0
; COMPUTE_PGM_RSRC3_GFX90A:TG_SPLIT: 0
	.section	.text._ZN7rocprim17ROCPRIM_400000_NS6detail17trampoline_kernelINS0_14default_configENS1_20scan_config_selectorItEEZZNS1_9scan_implILNS1_25lookback_scan_determinismE0ELb0ELb0ES3_N6thrust23THRUST_200600_302600_NS6detail15normal_iteratorINS9_10device_ptrItEEEESE_tNS9_4plusIvEEtEEDaPvRmT3_T4_T5_mT6_P12ihipStream_tbENKUlT_T0_E_clISt17integral_constantIbLb1EEST_IbLb0EEEEDaSP_SQ_EUlSP_E_NS1_11comp_targetILNS1_3genE9ELNS1_11target_archE1100ELNS1_3gpuE3ELNS1_3repE0EEENS1_30default_config_static_selectorELNS0_4arch9wavefront6targetE1EEEvT1_,"axG",@progbits,_ZN7rocprim17ROCPRIM_400000_NS6detail17trampoline_kernelINS0_14default_configENS1_20scan_config_selectorItEEZZNS1_9scan_implILNS1_25lookback_scan_determinismE0ELb0ELb0ES3_N6thrust23THRUST_200600_302600_NS6detail15normal_iteratorINS9_10device_ptrItEEEESE_tNS9_4plusIvEEtEEDaPvRmT3_T4_T5_mT6_P12ihipStream_tbENKUlT_T0_E_clISt17integral_constantIbLb1EEST_IbLb0EEEEDaSP_SQ_EUlSP_E_NS1_11comp_targetILNS1_3genE9ELNS1_11target_archE1100ELNS1_3gpuE3ELNS1_3repE0EEENS1_30default_config_static_selectorELNS0_4arch9wavefront6targetE1EEEvT1_,comdat
	.protected	_ZN7rocprim17ROCPRIM_400000_NS6detail17trampoline_kernelINS0_14default_configENS1_20scan_config_selectorItEEZZNS1_9scan_implILNS1_25lookback_scan_determinismE0ELb0ELb0ES3_N6thrust23THRUST_200600_302600_NS6detail15normal_iteratorINS9_10device_ptrItEEEESE_tNS9_4plusIvEEtEEDaPvRmT3_T4_T5_mT6_P12ihipStream_tbENKUlT_T0_E_clISt17integral_constantIbLb1EEST_IbLb0EEEEDaSP_SQ_EUlSP_E_NS1_11comp_targetILNS1_3genE9ELNS1_11target_archE1100ELNS1_3gpuE3ELNS1_3repE0EEENS1_30default_config_static_selectorELNS0_4arch9wavefront6targetE1EEEvT1_ ; -- Begin function _ZN7rocprim17ROCPRIM_400000_NS6detail17trampoline_kernelINS0_14default_configENS1_20scan_config_selectorItEEZZNS1_9scan_implILNS1_25lookback_scan_determinismE0ELb0ELb0ES3_N6thrust23THRUST_200600_302600_NS6detail15normal_iteratorINS9_10device_ptrItEEEESE_tNS9_4plusIvEEtEEDaPvRmT3_T4_T5_mT6_P12ihipStream_tbENKUlT_T0_E_clISt17integral_constantIbLb1EEST_IbLb0EEEEDaSP_SQ_EUlSP_E_NS1_11comp_targetILNS1_3genE9ELNS1_11target_archE1100ELNS1_3gpuE3ELNS1_3repE0EEENS1_30default_config_static_selectorELNS0_4arch9wavefront6targetE1EEEvT1_
	.globl	_ZN7rocprim17ROCPRIM_400000_NS6detail17trampoline_kernelINS0_14default_configENS1_20scan_config_selectorItEEZZNS1_9scan_implILNS1_25lookback_scan_determinismE0ELb0ELb0ES3_N6thrust23THRUST_200600_302600_NS6detail15normal_iteratorINS9_10device_ptrItEEEESE_tNS9_4plusIvEEtEEDaPvRmT3_T4_T5_mT6_P12ihipStream_tbENKUlT_T0_E_clISt17integral_constantIbLb1EEST_IbLb0EEEEDaSP_SQ_EUlSP_E_NS1_11comp_targetILNS1_3genE9ELNS1_11target_archE1100ELNS1_3gpuE3ELNS1_3repE0EEENS1_30default_config_static_selectorELNS0_4arch9wavefront6targetE1EEEvT1_
	.p2align	8
	.type	_ZN7rocprim17ROCPRIM_400000_NS6detail17trampoline_kernelINS0_14default_configENS1_20scan_config_selectorItEEZZNS1_9scan_implILNS1_25lookback_scan_determinismE0ELb0ELb0ES3_N6thrust23THRUST_200600_302600_NS6detail15normal_iteratorINS9_10device_ptrItEEEESE_tNS9_4plusIvEEtEEDaPvRmT3_T4_T5_mT6_P12ihipStream_tbENKUlT_T0_E_clISt17integral_constantIbLb1EEST_IbLb0EEEEDaSP_SQ_EUlSP_E_NS1_11comp_targetILNS1_3genE9ELNS1_11target_archE1100ELNS1_3gpuE3ELNS1_3repE0EEENS1_30default_config_static_selectorELNS0_4arch9wavefront6targetE1EEEvT1_,@function
_ZN7rocprim17ROCPRIM_400000_NS6detail17trampoline_kernelINS0_14default_configENS1_20scan_config_selectorItEEZZNS1_9scan_implILNS1_25lookback_scan_determinismE0ELb0ELb0ES3_N6thrust23THRUST_200600_302600_NS6detail15normal_iteratorINS9_10device_ptrItEEEESE_tNS9_4plusIvEEtEEDaPvRmT3_T4_T5_mT6_P12ihipStream_tbENKUlT_T0_E_clISt17integral_constantIbLb1EEST_IbLb0EEEEDaSP_SQ_EUlSP_E_NS1_11comp_targetILNS1_3genE9ELNS1_11target_archE1100ELNS1_3gpuE3ELNS1_3repE0EEENS1_30default_config_static_selectorELNS0_4arch9wavefront6targetE1EEEvT1_: ; @_ZN7rocprim17ROCPRIM_400000_NS6detail17trampoline_kernelINS0_14default_configENS1_20scan_config_selectorItEEZZNS1_9scan_implILNS1_25lookback_scan_determinismE0ELb0ELb0ES3_N6thrust23THRUST_200600_302600_NS6detail15normal_iteratorINS9_10device_ptrItEEEESE_tNS9_4plusIvEEtEEDaPvRmT3_T4_T5_mT6_P12ihipStream_tbENKUlT_T0_E_clISt17integral_constantIbLb1EEST_IbLb0EEEEDaSP_SQ_EUlSP_E_NS1_11comp_targetILNS1_3genE9ELNS1_11target_archE1100ELNS1_3gpuE3ELNS1_3repE0EEENS1_30default_config_static_selectorELNS0_4arch9wavefront6targetE1EEEvT1_
; %bb.0:
	.section	.rodata,"a",@progbits
	.p2align	6, 0x0
	.amdhsa_kernel _ZN7rocprim17ROCPRIM_400000_NS6detail17trampoline_kernelINS0_14default_configENS1_20scan_config_selectorItEEZZNS1_9scan_implILNS1_25lookback_scan_determinismE0ELb0ELb0ES3_N6thrust23THRUST_200600_302600_NS6detail15normal_iteratorINS9_10device_ptrItEEEESE_tNS9_4plusIvEEtEEDaPvRmT3_T4_T5_mT6_P12ihipStream_tbENKUlT_T0_E_clISt17integral_constantIbLb1EEST_IbLb0EEEEDaSP_SQ_EUlSP_E_NS1_11comp_targetILNS1_3genE9ELNS1_11target_archE1100ELNS1_3gpuE3ELNS1_3repE0EEENS1_30default_config_static_selectorELNS0_4arch9wavefront6targetE1EEEvT1_
		.amdhsa_group_segment_fixed_size 0
		.amdhsa_private_segment_fixed_size 0
		.amdhsa_kernarg_size 96
		.amdhsa_user_sgpr_count 6
		.amdhsa_user_sgpr_private_segment_buffer 1
		.amdhsa_user_sgpr_dispatch_ptr 0
		.amdhsa_user_sgpr_queue_ptr 0
		.amdhsa_user_sgpr_kernarg_segment_ptr 1
		.amdhsa_user_sgpr_dispatch_id 0
		.amdhsa_user_sgpr_flat_scratch_init 0
		.amdhsa_user_sgpr_kernarg_preload_length 0
		.amdhsa_user_sgpr_kernarg_preload_offset 0
		.amdhsa_user_sgpr_private_segment_size 0
		.amdhsa_uses_dynamic_stack 0
		.amdhsa_system_sgpr_private_segment_wavefront_offset 0
		.amdhsa_system_sgpr_workgroup_id_x 1
		.amdhsa_system_sgpr_workgroup_id_y 0
		.amdhsa_system_sgpr_workgroup_id_z 0
		.amdhsa_system_sgpr_workgroup_info 0
		.amdhsa_system_vgpr_workitem_id 0
		.amdhsa_next_free_vgpr 1
		.amdhsa_next_free_sgpr 0
		.amdhsa_accum_offset 4
		.amdhsa_reserve_vcc 0
		.amdhsa_reserve_flat_scratch 0
		.amdhsa_float_round_mode_32 0
		.amdhsa_float_round_mode_16_64 0
		.amdhsa_float_denorm_mode_32 3
		.amdhsa_float_denorm_mode_16_64 3
		.amdhsa_dx10_clamp 1
		.amdhsa_ieee_mode 1
		.amdhsa_fp16_overflow 0
		.amdhsa_tg_split 0
		.amdhsa_exception_fp_ieee_invalid_op 0
		.amdhsa_exception_fp_denorm_src 0
		.amdhsa_exception_fp_ieee_div_zero 0
		.amdhsa_exception_fp_ieee_overflow 0
		.amdhsa_exception_fp_ieee_underflow 0
		.amdhsa_exception_fp_ieee_inexact 0
		.amdhsa_exception_int_div_zero 0
	.end_amdhsa_kernel
	.section	.text._ZN7rocprim17ROCPRIM_400000_NS6detail17trampoline_kernelINS0_14default_configENS1_20scan_config_selectorItEEZZNS1_9scan_implILNS1_25lookback_scan_determinismE0ELb0ELb0ES3_N6thrust23THRUST_200600_302600_NS6detail15normal_iteratorINS9_10device_ptrItEEEESE_tNS9_4plusIvEEtEEDaPvRmT3_T4_T5_mT6_P12ihipStream_tbENKUlT_T0_E_clISt17integral_constantIbLb1EEST_IbLb0EEEEDaSP_SQ_EUlSP_E_NS1_11comp_targetILNS1_3genE9ELNS1_11target_archE1100ELNS1_3gpuE3ELNS1_3repE0EEENS1_30default_config_static_selectorELNS0_4arch9wavefront6targetE1EEEvT1_,"axG",@progbits,_ZN7rocprim17ROCPRIM_400000_NS6detail17trampoline_kernelINS0_14default_configENS1_20scan_config_selectorItEEZZNS1_9scan_implILNS1_25lookback_scan_determinismE0ELb0ELb0ES3_N6thrust23THRUST_200600_302600_NS6detail15normal_iteratorINS9_10device_ptrItEEEESE_tNS9_4plusIvEEtEEDaPvRmT3_T4_T5_mT6_P12ihipStream_tbENKUlT_T0_E_clISt17integral_constantIbLb1EEST_IbLb0EEEEDaSP_SQ_EUlSP_E_NS1_11comp_targetILNS1_3genE9ELNS1_11target_archE1100ELNS1_3gpuE3ELNS1_3repE0EEENS1_30default_config_static_selectorELNS0_4arch9wavefront6targetE1EEEvT1_,comdat
.Lfunc_end4761:
	.size	_ZN7rocprim17ROCPRIM_400000_NS6detail17trampoline_kernelINS0_14default_configENS1_20scan_config_selectorItEEZZNS1_9scan_implILNS1_25lookback_scan_determinismE0ELb0ELb0ES3_N6thrust23THRUST_200600_302600_NS6detail15normal_iteratorINS9_10device_ptrItEEEESE_tNS9_4plusIvEEtEEDaPvRmT3_T4_T5_mT6_P12ihipStream_tbENKUlT_T0_E_clISt17integral_constantIbLb1EEST_IbLb0EEEEDaSP_SQ_EUlSP_E_NS1_11comp_targetILNS1_3genE9ELNS1_11target_archE1100ELNS1_3gpuE3ELNS1_3repE0EEENS1_30default_config_static_selectorELNS0_4arch9wavefront6targetE1EEEvT1_, .Lfunc_end4761-_ZN7rocprim17ROCPRIM_400000_NS6detail17trampoline_kernelINS0_14default_configENS1_20scan_config_selectorItEEZZNS1_9scan_implILNS1_25lookback_scan_determinismE0ELb0ELb0ES3_N6thrust23THRUST_200600_302600_NS6detail15normal_iteratorINS9_10device_ptrItEEEESE_tNS9_4plusIvEEtEEDaPvRmT3_T4_T5_mT6_P12ihipStream_tbENKUlT_T0_E_clISt17integral_constantIbLb1EEST_IbLb0EEEEDaSP_SQ_EUlSP_E_NS1_11comp_targetILNS1_3genE9ELNS1_11target_archE1100ELNS1_3gpuE3ELNS1_3repE0EEENS1_30default_config_static_selectorELNS0_4arch9wavefront6targetE1EEEvT1_
                                        ; -- End function
	.section	.AMDGPU.csdata,"",@progbits
; Kernel info:
; codeLenInByte = 0
; NumSgprs: 4
; NumVgprs: 0
; NumAgprs: 0
; TotalNumVgprs: 0
; ScratchSize: 0
; MemoryBound: 0
; FloatMode: 240
; IeeeMode: 1
; LDSByteSize: 0 bytes/workgroup (compile time only)
; SGPRBlocks: 0
; VGPRBlocks: 0
; NumSGPRsForWavesPerEU: 4
; NumVGPRsForWavesPerEU: 1
; AccumOffset: 4
; Occupancy: 8
; WaveLimiterHint : 0
; COMPUTE_PGM_RSRC2:SCRATCH_EN: 0
; COMPUTE_PGM_RSRC2:USER_SGPR: 6
; COMPUTE_PGM_RSRC2:TRAP_HANDLER: 0
; COMPUTE_PGM_RSRC2:TGID_X_EN: 1
; COMPUTE_PGM_RSRC2:TGID_Y_EN: 0
; COMPUTE_PGM_RSRC2:TGID_Z_EN: 0
; COMPUTE_PGM_RSRC2:TIDIG_COMP_CNT: 0
; COMPUTE_PGM_RSRC3_GFX90A:ACCUM_OFFSET: 0
; COMPUTE_PGM_RSRC3_GFX90A:TG_SPLIT: 0
	.section	.text._ZN7rocprim17ROCPRIM_400000_NS6detail17trampoline_kernelINS0_14default_configENS1_20scan_config_selectorItEEZZNS1_9scan_implILNS1_25lookback_scan_determinismE0ELb0ELb0ES3_N6thrust23THRUST_200600_302600_NS6detail15normal_iteratorINS9_10device_ptrItEEEESE_tNS9_4plusIvEEtEEDaPvRmT3_T4_T5_mT6_P12ihipStream_tbENKUlT_T0_E_clISt17integral_constantIbLb1EEST_IbLb0EEEEDaSP_SQ_EUlSP_E_NS1_11comp_targetILNS1_3genE8ELNS1_11target_archE1030ELNS1_3gpuE2ELNS1_3repE0EEENS1_30default_config_static_selectorELNS0_4arch9wavefront6targetE1EEEvT1_,"axG",@progbits,_ZN7rocprim17ROCPRIM_400000_NS6detail17trampoline_kernelINS0_14default_configENS1_20scan_config_selectorItEEZZNS1_9scan_implILNS1_25lookback_scan_determinismE0ELb0ELb0ES3_N6thrust23THRUST_200600_302600_NS6detail15normal_iteratorINS9_10device_ptrItEEEESE_tNS9_4plusIvEEtEEDaPvRmT3_T4_T5_mT6_P12ihipStream_tbENKUlT_T0_E_clISt17integral_constantIbLb1EEST_IbLb0EEEEDaSP_SQ_EUlSP_E_NS1_11comp_targetILNS1_3genE8ELNS1_11target_archE1030ELNS1_3gpuE2ELNS1_3repE0EEENS1_30default_config_static_selectorELNS0_4arch9wavefront6targetE1EEEvT1_,comdat
	.protected	_ZN7rocprim17ROCPRIM_400000_NS6detail17trampoline_kernelINS0_14default_configENS1_20scan_config_selectorItEEZZNS1_9scan_implILNS1_25lookback_scan_determinismE0ELb0ELb0ES3_N6thrust23THRUST_200600_302600_NS6detail15normal_iteratorINS9_10device_ptrItEEEESE_tNS9_4plusIvEEtEEDaPvRmT3_T4_T5_mT6_P12ihipStream_tbENKUlT_T0_E_clISt17integral_constantIbLb1EEST_IbLb0EEEEDaSP_SQ_EUlSP_E_NS1_11comp_targetILNS1_3genE8ELNS1_11target_archE1030ELNS1_3gpuE2ELNS1_3repE0EEENS1_30default_config_static_selectorELNS0_4arch9wavefront6targetE1EEEvT1_ ; -- Begin function _ZN7rocprim17ROCPRIM_400000_NS6detail17trampoline_kernelINS0_14default_configENS1_20scan_config_selectorItEEZZNS1_9scan_implILNS1_25lookback_scan_determinismE0ELb0ELb0ES3_N6thrust23THRUST_200600_302600_NS6detail15normal_iteratorINS9_10device_ptrItEEEESE_tNS9_4plusIvEEtEEDaPvRmT3_T4_T5_mT6_P12ihipStream_tbENKUlT_T0_E_clISt17integral_constantIbLb1EEST_IbLb0EEEEDaSP_SQ_EUlSP_E_NS1_11comp_targetILNS1_3genE8ELNS1_11target_archE1030ELNS1_3gpuE2ELNS1_3repE0EEENS1_30default_config_static_selectorELNS0_4arch9wavefront6targetE1EEEvT1_
	.globl	_ZN7rocprim17ROCPRIM_400000_NS6detail17trampoline_kernelINS0_14default_configENS1_20scan_config_selectorItEEZZNS1_9scan_implILNS1_25lookback_scan_determinismE0ELb0ELb0ES3_N6thrust23THRUST_200600_302600_NS6detail15normal_iteratorINS9_10device_ptrItEEEESE_tNS9_4plusIvEEtEEDaPvRmT3_T4_T5_mT6_P12ihipStream_tbENKUlT_T0_E_clISt17integral_constantIbLb1EEST_IbLb0EEEEDaSP_SQ_EUlSP_E_NS1_11comp_targetILNS1_3genE8ELNS1_11target_archE1030ELNS1_3gpuE2ELNS1_3repE0EEENS1_30default_config_static_selectorELNS0_4arch9wavefront6targetE1EEEvT1_
	.p2align	8
	.type	_ZN7rocprim17ROCPRIM_400000_NS6detail17trampoline_kernelINS0_14default_configENS1_20scan_config_selectorItEEZZNS1_9scan_implILNS1_25lookback_scan_determinismE0ELb0ELb0ES3_N6thrust23THRUST_200600_302600_NS6detail15normal_iteratorINS9_10device_ptrItEEEESE_tNS9_4plusIvEEtEEDaPvRmT3_T4_T5_mT6_P12ihipStream_tbENKUlT_T0_E_clISt17integral_constantIbLb1EEST_IbLb0EEEEDaSP_SQ_EUlSP_E_NS1_11comp_targetILNS1_3genE8ELNS1_11target_archE1030ELNS1_3gpuE2ELNS1_3repE0EEENS1_30default_config_static_selectorELNS0_4arch9wavefront6targetE1EEEvT1_,@function
_ZN7rocprim17ROCPRIM_400000_NS6detail17trampoline_kernelINS0_14default_configENS1_20scan_config_selectorItEEZZNS1_9scan_implILNS1_25lookback_scan_determinismE0ELb0ELb0ES3_N6thrust23THRUST_200600_302600_NS6detail15normal_iteratorINS9_10device_ptrItEEEESE_tNS9_4plusIvEEtEEDaPvRmT3_T4_T5_mT6_P12ihipStream_tbENKUlT_T0_E_clISt17integral_constantIbLb1EEST_IbLb0EEEEDaSP_SQ_EUlSP_E_NS1_11comp_targetILNS1_3genE8ELNS1_11target_archE1030ELNS1_3gpuE2ELNS1_3repE0EEENS1_30default_config_static_selectorELNS0_4arch9wavefront6targetE1EEEvT1_: ; @_ZN7rocprim17ROCPRIM_400000_NS6detail17trampoline_kernelINS0_14default_configENS1_20scan_config_selectorItEEZZNS1_9scan_implILNS1_25lookback_scan_determinismE0ELb0ELb0ES3_N6thrust23THRUST_200600_302600_NS6detail15normal_iteratorINS9_10device_ptrItEEEESE_tNS9_4plusIvEEtEEDaPvRmT3_T4_T5_mT6_P12ihipStream_tbENKUlT_T0_E_clISt17integral_constantIbLb1EEST_IbLb0EEEEDaSP_SQ_EUlSP_E_NS1_11comp_targetILNS1_3genE8ELNS1_11target_archE1030ELNS1_3gpuE2ELNS1_3repE0EEENS1_30default_config_static_selectorELNS0_4arch9wavefront6targetE1EEEvT1_
; %bb.0:
	.section	.rodata,"a",@progbits
	.p2align	6, 0x0
	.amdhsa_kernel _ZN7rocprim17ROCPRIM_400000_NS6detail17trampoline_kernelINS0_14default_configENS1_20scan_config_selectorItEEZZNS1_9scan_implILNS1_25lookback_scan_determinismE0ELb0ELb0ES3_N6thrust23THRUST_200600_302600_NS6detail15normal_iteratorINS9_10device_ptrItEEEESE_tNS9_4plusIvEEtEEDaPvRmT3_T4_T5_mT6_P12ihipStream_tbENKUlT_T0_E_clISt17integral_constantIbLb1EEST_IbLb0EEEEDaSP_SQ_EUlSP_E_NS1_11comp_targetILNS1_3genE8ELNS1_11target_archE1030ELNS1_3gpuE2ELNS1_3repE0EEENS1_30default_config_static_selectorELNS0_4arch9wavefront6targetE1EEEvT1_
		.amdhsa_group_segment_fixed_size 0
		.amdhsa_private_segment_fixed_size 0
		.amdhsa_kernarg_size 96
		.amdhsa_user_sgpr_count 6
		.amdhsa_user_sgpr_private_segment_buffer 1
		.amdhsa_user_sgpr_dispatch_ptr 0
		.amdhsa_user_sgpr_queue_ptr 0
		.amdhsa_user_sgpr_kernarg_segment_ptr 1
		.amdhsa_user_sgpr_dispatch_id 0
		.amdhsa_user_sgpr_flat_scratch_init 0
		.amdhsa_user_sgpr_kernarg_preload_length 0
		.amdhsa_user_sgpr_kernarg_preload_offset 0
		.amdhsa_user_sgpr_private_segment_size 0
		.amdhsa_uses_dynamic_stack 0
		.amdhsa_system_sgpr_private_segment_wavefront_offset 0
		.amdhsa_system_sgpr_workgroup_id_x 1
		.amdhsa_system_sgpr_workgroup_id_y 0
		.amdhsa_system_sgpr_workgroup_id_z 0
		.amdhsa_system_sgpr_workgroup_info 0
		.amdhsa_system_vgpr_workitem_id 0
		.amdhsa_next_free_vgpr 1
		.amdhsa_next_free_sgpr 0
		.amdhsa_accum_offset 4
		.amdhsa_reserve_vcc 0
		.amdhsa_reserve_flat_scratch 0
		.amdhsa_float_round_mode_32 0
		.amdhsa_float_round_mode_16_64 0
		.amdhsa_float_denorm_mode_32 3
		.amdhsa_float_denorm_mode_16_64 3
		.amdhsa_dx10_clamp 1
		.amdhsa_ieee_mode 1
		.amdhsa_fp16_overflow 0
		.amdhsa_tg_split 0
		.amdhsa_exception_fp_ieee_invalid_op 0
		.amdhsa_exception_fp_denorm_src 0
		.amdhsa_exception_fp_ieee_div_zero 0
		.amdhsa_exception_fp_ieee_overflow 0
		.amdhsa_exception_fp_ieee_underflow 0
		.amdhsa_exception_fp_ieee_inexact 0
		.amdhsa_exception_int_div_zero 0
	.end_amdhsa_kernel
	.section	.text._ZN7rocprim17ROCPRIM_400000_NS6detail17trampoline_kernelINS0_14default_configENS1_20scan_config_selectorItEEZZNS1_9scan_implILNS1_25lookback_scan_determinismE0ELb0ELb0ES3_N6thrust23THRUST_200600_302600_NS6detail15normal_iteratorINS9_10device_ptrItEEEESE_tNS9_4plusIvEEtEEDaPvRmT3_T4_T5_mT6_P12ihipStream_tbENKUlT_T0_E_clISt17integral_constantIbLb1EEST_IbLb0EEEEDaSP_SQ_EUlSP_E_NS1_11comp_targetILNS1_3genE8ELNS1_11target_archE1030ELNS1_3gpuE2ELNS1_3repE0EEENS1_30default_config_static_selectorELNS0_4arch9wavefront6targetE1EEEvT1_,"axG",@progbits,_ZN7rocprim17ROCPRIM_400000_NS6detail17trampoline_kernelINS0_14default_configENS1_20scan_config_selectorItEEZZNS1_9scan_implILNS1_25lookback_scan_determinismE0ELb0ELb0ES3_N6thrust23THRUST_200600_302600_NS6detail15normal_iteratorINS9_10device_ptrItEEEESE_tNS9_4plusIvEEtEEDaPvRmT3_T4_T5_mT6_P12ihipStream_tbENKUlT_T0_E_clISt17integral_constantIbLb1EEST_IbLb0EEEEDaSP_SQ_EUlSP_E_NS1_11comp_targetILNS1_3genE8ELNS1_11target_archE1030ELNS1_3gpuE2ELNS1_3repE0EEENS1_30default_config_static_selectorELNS0_4arch9wavefront6targetE1EEEvT1_,comdat
.Lfunc_end4762:
	.size	_ZN7rocprim17ROCPRIM_400000_NS6detail17trampoline_kernelINS0_14default_configENS1_20scan_config_selectorItEEZZNS1_9scan_implILNS1_25lookback_scan_determinismE0ELb0ELb0ES3_N6thrust23THRUST_200600_302600_NS6detail15normal_iteratorINS9_10device_ptrItEEEESE_tNS9_4plusIvEEtEEDaPvRmT3_T4_T5_mT6_P12ihipStream_tbENKUlT_T0_E_clISt17integral_constantIbLb1EEST_IbLb0EEEEDaSP_SQ_EUlSP_E_NS1_11comp_targetILNS1_3genE8ELNS1_11target_archE1030ELNS1_3gpuE2ELNS1_3repE0EEENS1_30default_config_static_selectorELNS0_4arch9wavefront6targetE1EEEvT1_, .Lfunc_end4762-_ZN7rocprim17ROCPRIM_400000_NS6detail17trampoline_kernelINS0_14default_configENS1_20scan_config_selectorItEEZZNS1_9scan_implILNS1_25lookback_scan_determinismE0ELb0ELb0ES3_N6thrust23THRUST_200600_302600_NS6detail15normal_iteratorINS9_10device_ptrItEEEESE_tNS9_4plusIvEEtEEDaPvRmT3_T4_T5_mT6_P12ihipStream_tbENKUlT_T0_E_clISt17integral_constantIbLb1EEST_IbLb0EEEEDaSP_SQ_EUlSP_E_NS1_11comp_targetILNS1_3genE8ELNS1_11target_archE1030ELNS1_3gpuE2ELNS1_3repE0EEENS1_30default_config_static_selectorELNS0_4arch9wavefront6targetE1EEEvT1_
                                        ; -- End function
	.section	.AMDGPU.csdata,"",@progbits
; Kernel info:
; codeLenInByte = 0
; NumSgprs: 4
; NumVgprs: 0
; NumAgprs: 0
; TotalNumVgprs: 0
; ScratchSize: 0
; MemoryBound: 0
; FloatMode: 240
; IeeeMode: 1
; LDSByteSize: 0 bytes/workgroup (compile time only)
; SGPRBlocks: 0
; VGPRBlocks: 0
; NumSGPRsForWavesPerEU: 4
; NumVGPRsForWavesPerEU: 1
; AccumOffset: 4
; Occupancy: 8
; WaveLimiterHint : 0
; COMPUTE_PGM_RSRC2:SCRATCH_EN: 0
; COMPUTE_PGM_RSRC2:USER_SGPR: 6
; COMPUTE_PGM_RSRC2:TRAP_HANDLER: 0
; COMPUTE_PGM_RSRC2:TGID_X_EN: 1
; COMPUTE_PGM_RSRC2:TGID_Y_EN: 0
; COMPUTE_PGM_RSRC2:TGID_Z_EN: 0
; COMPUTE_PGM_RSRC2:TIDIG_COMP_CNT: 0
; COMPUTE_PGM_RSRC3_GFX90A:ACCUM_OFFSET: 0
; COMPUTE_PGM_RSRC3_GFX90A:TG_SPLIT: 0
	.section	.text._ZN7rocprim17ROCPRIM_400000_NS6detail17trampoline_kernelINS0_14default_configENS1_20scan_config_selectorItEEZZNS1_9scan_implILNS1_25lookback_scan_determinismE0ELb0ELb0ES3_N6thrust23THRUST_200600_302600_NS6detail15normal_iteratorINS9_10device_ptrItEEEESE_tNS9_4plusIvEEtEEDaPvRmT3_T4_T5_mT6_P12ihipStream_tbENKUlT_T0_E_clISt17integral_constantIbLb1EEST_IbLb0EEEEDaSP_SQ_EUlSP_E0_NS1_11comp_targetILNS1_3genE0ELNS1_11target_archE4294967295ELNS1_3gpuE0ELNS1_3repE0EEENS1_30default_config_static_selectorELNS0_4arch9wavefront6targetE1EEEvT1_,"axG",@progbits,_ZN7rocprim17ROCPRIM_400000_NS6detail17trampoline_kernelINS0_14default_configENS1_20scan_config_selectorItEEZZNS1_9scan_implILNS1_25lookback_scan_determinismE0ELb0ELb0ES3_N6thrust23THRUST_200600_302600_NS6detail15normal_iteratorINS9_10device_ptrItEEEESE_tNS9_4plusIvEEtEEDaPvRmT3_T4_T5_mT6_P12ihipStream_tbENKUlT_T0_E_clISt17integral_constantIbLb1EEST_IbLb0EEEEDaSP_SQ_EUlSP_E0_NS1_11comp_targetILNS1_3genE0ELNS1_11target_archE4294967295ELNS1_3gpuE0ELNS1_3repE0EEENS1_30default_config_static_selectorELNS0_4arch9wavefront6targetE1EEEvT1_,comdat
	.protected	_ZN7rocprim17ROCPRIM_400000_NS6detail17trampoline_kernelINS0_14default_configENS1_20scan_config_selectorItEEZZNS1_9scan_implILNS1_25lookback_scan_determinismE0ELb0ELb0ES3_N6thrust23THRUST_200600_302600_NS6detail15normal_iteratorINS9_10device_ptrItEEEESE_tNS9_4plusIvEEtEEDaPvRmT3_T4_T5_mT6_P12ihipStream_tbENKUlT_T0_E_clISt17integral_constantIbLb1EEST_IbLb0EEEEDaSP_SQ_EUlSP_E0_NS1_11comp_targetILNS1_3genE0ELNS1_11target_archE4294967295ELNS1_3gpuE0ELNS1_3repE0EEENS1_30default_config_static_selectorELNS0_4arch9wavefront6targetE1EEEvT1_ ; -- Begin function _ZN7rocprim17ROCPRIM_400000_NS6detail17trampoline_kernelINS0_14default_configENS1_20scan_config_selectorItEEZZNS1_9scan_implILNS1_25lookback_scan_determinismE0ELb0ELb0ES3_N6thrust23THRUST_200600_302600_NS6detail15normal_iteratorINS9_10device_ptrItEEEESE_tNS9_4plusIvEEtEEDaPvRmT3_T4_T5_mT6_P12ihipStream_tbENKUlT_T0_E_clISt17integral_constantIbLb1EEST_IbLb0EEEEDaSP_SQ_EUlSP_E0_NS1_11comp_targetILNS1_3genE0ELNS1_11target_archE4294967295ELNS1_3gpuE0ELNS1_3repE0EEENS1_30default_config_static_selectorELNS0_4arch9wavefront6targetE1EEEvT1_
	.globl	_ZN7rocprim17ROCPRIM_400000_NS6detail17trampoline_kernelINS0_14default_configENS1_20scan_config_selectorItEEZZNS1_9scan_implILNS1_25lookback_scan_determinismE0ELb0ELb0ES3_N6thrust23THRUST_200600_302600_NS6detail15normal_iteratorINS9_10device_ptrItEEEESE_tNS9_4plusIvEEtEEDaPvRmT3_T4_T5_mT6_P12ihipStream_tbENKUlT_T0_E_clISt17integral_constantIbLb1EEST_IbLb0EEEEDaSP_SQ_EUlSP_E0_NS1_11comp_targetILNS1_3genE0ELNS1_11target_archE4294967295ELNS1_3gpuE0ELNS1_3repE0EEENS1_30default_config_static_selectorELNS0_4arch9wavefront6targetE1EEEvT1_
	.p2align	8
	.type	_ZN7rocprim17ROCPRIM_400000_NS6detail17trampoline_kernelINS0_14default_configENS1_20scan_config_selectorItEEZZNS1_9scan_implILNS1_25lookback_scan_determinismE0ELb0ELb0ES3_N6thrust23THRUST_200600_302600_NS6detail15normal_iteratorINS9_10device_ptrItEEEESE_tNS9_4plusIvEEtEEDaPvRmT3_T4_T5_mT6_P12ihipStream_tbENKUlT_T0_E_clISt17integral_constantIbLb1EEST_IbLb0EEEEDaSP_SQ_EUlSP_E0_NS1_11comp_targetILNS1_3genE0ELNS1_11target_archE4294967295ELNS1_3gpuE0ELNS1_3repE0EEENS1_30default_config_static_selectorELNS0_4arch9wavefront6targetE1EEEvT1_,@function
_ZN7rocprim17ROCPRIM_400000_NS6detail17trampoline_kernelINS0_14default_configENS1_20scan_config_selectorItEEZZNS1_9scan_implILNS1_25lookback_scan_determinismE0ELb0ELb0ES3_N6thrust23THRUST_200600_302600_NS6detail15normal_iteratorINS9_10device_ptrItEEEESE_tNS9_4plusIvEEtEEDaPvRmT3_T4_T5_mT6_P12ihipStream_tbENKUlT_T0_E_clISt17integral_constantIbLb1EEST_IbLb0EEEEDaSP_SQ_EUlSP_E0_NS1_11comp_targetILNS1_3genE0ELNS1_11target_archE4294967295ELNS1_3gpuE0ELNS1_3repE0EEENS1_30default_config_static_selectorELNS0_4arch9wavefront6targetE1EEEvT1_: ; @_ZN7rocprim17ROCPRIM_400000_NS6detail17trampoline_kernelINS0_14default_configENS1_20scan_config_selectorItEEZZNS1_9scan_implILNS1_25lookback_scan_determinismE0ELb0ELb0ES3_N6thrust23THRUST_200600_302600_NS6detail15normal_iteratorINS9_10device_ptrItEEEESE_tNS9_4plusIvEEtEEDaPvRmT3_T4_T5_mT6_P12ihipStream_tbENKUlT_T0_E_clISt17integral_constantIbLb1EEST_IbLb0EEEEDaSP_SQ_EUlSP_E0_NS1_11comp_targetILNS1_3genE0ELNS1_11target_archE4294967295ELNS1_3gpuE0ELNS1_3repE0EEENS1_30default_config_static_selectorELNS0_4arch9wavefront6targetE1EEEvT1_
; %bb.0:
	.section	.rodata,"a",@progbits
	.p2align	6, 0x0
	.amdhsa_kernel _ZN7rocprim17ROCPRIM_400000_NS6detail17trampoline_kernelINS0_14default_configENS1_20scan_config_selectorItEEZZNS1_9scan_implILNS1_25lookback_scan_determinismE0ELb0ELb0ES3_N6thrust23THRUST_200600_302600_NS6detail15normal_iteratorINS9_10device_ptrItEEEESE_tNS9_4plusIvEEtEEDaPvRmT3_T4_T5_mT6_P12ihipStream_tbENKUlT_T0_E_clISt17integral_constantIbLb1EEST_IbLb0EEEEDaSP_SQ_EUlSP_E0_NS1_11comp_targetILNS1_3genE0ELNS1_11target_archE4294967295ELNS1_3gpuE0ELNS1_3repE0EEENS1_30default_config_static_selectorELNS0_4arch9wavefront6targetE1EEEvT1_
		.amdhsa_group_segment_fixed_size 0
		.amdhsa_private_segment_fixed_size 0
		.amdhsa_kernarg_size 32
		.amdhsa_user_sgpr_count 6
		.amdhsa_user_sgpr_private_segment_buffer 1
		.amdhsa_user_sgpr_dispatch_ptr 0
		.amdhsa_user_sgpr_queue_ptr 0
		.amdhsa_user_sgpr_kernarg_segment_ptr 1
		.amdhsa_user_sgpr_dispatch_id 0
		.amdhsa_user_sgpr_flat_scratch_init 0
		.amdhsa_user_sgpr_kernarg_preload_length 0
		.amdhsa_user_sgpr_kernarg_preload_offset 0
		.amdhsa_user_sgpr_private_segment_size 0
		.amdhsa_uses_dynamic_stack 0
		.amdhsa_system_sgpr_private_segment_wavefront_offset 0
		.amdhsa_system_sgpr_workgroup_id_x 1
		.amdhsa_system_sgpr_workgroup_id_y 0
		.amdhsa_system_sgpr_workgroup_id_z 0
		.amdhsa_system_sgpr_workgroup_info 0
		.amdhsa_system_vgpr_workitem_id 0
		.amdhsa_next_free_vgpr 1
		.amdhsa_next_free_sgpr 0
		.amdhsa_accum_offset 4
		.amdhsa_reserve_vcc 0
		.amdhsa_reserve_flat_scratch 0
		.amdhsa_float_round_mode_32 0
		.amdhsa_float_round_mode_16_64 0
		.amdhsa_float_denorm_mode_32 3
		.amdhsa_float_denorm_mode_16_64 3
		.amdhsa_dx10_clamp 1
		.amdhsa_ieee_mode 1
		.amdhsa_fp16_overflow 0
		.amdhsa_tg_split 0
		.amdhsa_exception_fp_ieee_invalid_op 0
		.amdhsa_exception_fp_denorm_src 0
		.amdhsa_exception_fp_ieee_div_zero 0
		.amdhsa_exception_fp_ieee_overflow 0
		.amdhsa_exception_fp_ieee_underflow 0
		.amdhsa_exception_fp_ieee_inexact 0
		.amdhsa_exception_int_div_zero 0
	.end_amdhsa_kernel
	.section	.text._ZN7rocprim17ROCPRIM_400000_NS6detail17trampoline_kernelINS0_14default_configENS1_20scan_config_selectorItEEZZNS1_9scan_implILNS1_25lookback_scan_determinismE0ELb0ELb0ES3_N6thrust23THRUST_200600_302600_NS6detail15normal_iteratorINS9_10device_ptrItEEEESE_tNS9_4plusIvEEtEEDaPvRmT3_T4_T5_mT6_P12ihipStream_tbENKUlT_T0_E_clISt17integral_constantIbLb1EEST_IbLb0EEEEDaSP_SQ_EUlSP_E0_NS1_11comp_targetILNS1_3genE0ELNS1_11target_archE4294967295ELNS1_3gpuE0ELNS1_3repE0EEENS1_30default_config_static_selectorELNS0_4arch9wavefront6targetE1EEEvT1_,"axG",@progbits,_ZN7rocprim17ROCPRIM_400000_NS6detail17trampoline_kernelINS0_14default_configENS1_20scan_config_selectorItEEZZNS1_9scan_implILNS1_25lookback_scan_determinismE0ELb0ELb0ES3_N6thrust23THRUST_200600_302600_NS6detail15normal_iteratorINS9_10device_ptrItEEEESE_tNS9_4plusIvEEtEEDaPvRmT3_T4_T5_mT6_P12ihipStream_tbENKUlT_T0_E_clISt17integral_constantIbLb1EEST_IbLb0EEEEDaSP_SQ_EUlSP_E0_NS1_11comp_targetILNS1_3genE0ELNS1_11target_archE4294967295ELNS1_3gpuE0ELNS1_3repE0EEENS1_30default_config_static_selectorELNS0_4arch9wavefront6targetE1EEEvT1_,comdat
.Lfunc_end4763:
	.size	_ZN7rocprim17ROCPRIM_400000_NS6detail17trampoline_kernelINS0_14default_configENS1_20scan_config_selectorItEEZZNS1_9scan_implILNS1_25lookback_scan_determinismE0ELb0ELb0ES3_N6thrust23THRUST_200600_302600_NS6detail15normal_iteratorINS9_10device_ptrItEEEESE_tNS9_4plusIvEEtEEDaPvRmT3_T4_T5_mT6_P12ihipStream_tbENKUlT_T0_E_clISt17integral_constantIbLb1EEST_IbLb0EEEEDaSP_SQ_EUlSP_E0_NS1_11comp_targetILNS1_3genE0ELNS1_11target_archE4294967295ELNS1_3gpuE0ELNS1_3repE0EEENS1_30default_config_static_selectorELNS0_4arch9wavefront6targetE1EEEvT1_, .Lfunc_end4763-_ZN7rocprim17ROCPRIM_400000_NS6detail17trampoline_kernelINS0_14default_configENS1_20scan_config_selectorItEEZZNS1_9scan_implILNS1_25lookback_scan_determinismE0ELb0ELb0ES3_N6thrust23THRUST_200600_302600_NS6detail15normal_iteratorINS9_10device_ptrItEEEESE_tNS9_4plusIvEEtEEDaPvRmT3_T4_T5_mT6_P12ihipStream_tbENKUlT_T0_E_clISt17integral_constantIbLb1EEST_IbLb0EEEEDaSP_SQ_EUlSP_E0_NS1_11comp_targetILNS1_3genE0ELNS1_11target_archE4294967295ELNS1_3gpuE0ELNS1_3repE0EEENS1_30default_config_static_selectorELNS0_4arch9wavefront6targetE1EEEvT1_
                                        ; -- End function
	.section	.AMDGPU.csdata,"",@progbits
; Kernel info:
; codeLenInByte = 0
; NumSgprs: 4
; NumVgprs: 0
; NumAgprs: 0
; TotalNumVgprs: 0
; ScratchSize: 0
; MemoryBound: 0
; FloatMode: 240
; IeeeMode: 1
; LDSByteSize: 0 bytes/workgroup (compile time only)
; SGPRBlocks: 0
; VGPRBlocks: 0
; NumSGPRsForWavesPerEU: 4
; NumVGPRsForWavesPerEU: 1
; AccumOffset: 4
; Occupancy: 8
; WaveLimiterHint : 0
; COMPUTE_PGM_RSRC2:SCRATCH_EN: 0
; COMPUTE_PGM_RSRC2:USER_SGPR: 6
; COMPUTE_PGM_RSRC2:TRAP_HANDLER: 0
; COMPUTE_PGM_RSRC2:TGID_X_EN: 1
; COMPUTE_PGM_RSRC2:TGID_Y_EN: 0
; COMPUTE_PGM_RSRC2:TGID_Z_EN: 0
; COMPUTE_PGM_RSRC2:TIDIG_COMP_CNT: 0
; COMPUTE_PGM_RSRC3_GFX90A:ACCUM_OFFSET: 0
; COMPUTE_PGM_RSRC3_GFX90A:TG_SPLIT: 0
	.section	.text._ZN7rocprim17ROCPRIM_400000_NS6detail17trampoline_kernelINS0_14default_configENS1_20scan_config_selectorItEEZZNS1_9scan_implILNS1_25lookback_scan_determinismE0ELb0ELb0ES3_N6thrust23THRUST_200600_302600_NS6detail15normal_iteratorINS9_10device_ptrItEEEESE_tNS9_4plusIvEEtEEDaPvRmT3_T4_T5_mT6_P12ihipStream_tbENKUlT_T0_E_clISt17integral_constantIbLb1EEST_IbLb0EEEEDaSP_SQ_EUlSP_E0_NS1_11comp_targetILNS1_3genE5ELNS1_11target_archE942ELNS1_3gpuE9ELNS1_3repE0EEENS1_30default_config_static_selectorELNS0_4arch9wavefront6targetE1EEEvT1_,"axG",@progbits,_ZN7rocprim17ROCPRIM_400000_NS6detail17trampoline_kernelINS0_14default_configENS1_20scan_config_selectorItEEZZNS1_9scan_implILNS1_25lookback_scan_determinismE0ELb0ELb0ES3_N6thrust23THRUST_200600_302600_NS6detail15normal_iteratorINS9_10device_ptrItEEEESE_tNS9_4plusIvEEtEEDaPvRmT3_T4_T5_mT6_P12ihipStream_tbENKUlT_T0_E_clISt17integral_constantIbLb1EEST_IbLb0EEEEDaSP_SQ_EUlSP_E0_NS1_11comp_targetILNS1_3genE5ELNS1_11target_archE942ELNS1_3gpuE9ELNS1_3repE0EEENS1_30default_config_static_selectorELNS0_4arch9wavefront6targetE1EEEvT1_,comdat
	.protected	_ZN7rocprim17ROCPRIM_400000_NS6detail17trampoline_kernelINS0_14default_configENS1_20scan_config_selectorItEEZZNS1_9scan_implILNS1_25lookback_scan_determinismE0ELb0ELb0ES3_N6thrust23THRUST_200600_302600_NS6detail15normal_iteratorINS9_10device_ptrItEEEESE_tNS9_4plusIvEEtEEDaPvRmT3_T4_T5_mT6_P12ihipStream_tbENKUlT_T0_E_clISt17integral_constantIbLb1EEST_IbLb0EEEEDaSP_SQ_EUlSP_E0_NS1_11comp_targetILNS1_3genE5ELNS1_11target_archE942ELNS1_3gpuE9ELNS1_3repE0EEENS1_30default_config_static_selectorELNS0_4arch9wavefront6targetE1EEEvT1_ ; -- Begin function _ZN7rocprim17ROCPRIM_400000_NS6detail17trampoline_kernelINS0_14default_configENS1_20scan_config_selectorItEEZZNS1_9scan_implILNS1_25lookback_scan_determinismE0ELb0ELb0ES3_N6thrust23THRUST_200600_302600_NS6detail15normal_iteratorINS9_10device_ptrItEEEESE_tNS9_4plusIvEEtEEDaPvRmT3_T4_T5_mT6_P12ihipStream_tbENKUlT_T0_E_clISt17integral_constantIbLb1EEST_IbLb0EEEEDaSP_SQ_EUlSP_E0_NS1_11comp_targetILNS1_3genE5ELNS1_11target_archE942ELNS1_3gpuE9ELNS1_3repE0EEENS1_30default_config_static_selectorELNS0_4arch9wavefront6targetE1EEEvT1_
	.globl	_ZN7rocprim17ROCPRIM_400000_NS6detail17trampoline_kernelINS0_14default_configENS1_20scan_config_selectorItEEZZNS1_9scan_implILNS1_25lookback_scan_determinismE0ELb0ELb0ES3_N6thrust23THRUST_200600_302600_NS6detail15normal_iteratorINS9_10device_ptrItEEEESE_tNS9_4plusIvEEtEEDaPvRmT3_T4_T5_mT6_P12ihipStream_tbENKUlT_T0_E_clISt17integral_constantIbLb1EEST_IbLb0EEEEDaSP_SQ_EUlSP_E0_NS1_11comp_targetILNS1_3genE5ELNS1_11target_archE942ELNS1_3gpuE9ELNS1_3repE0EEENS1_30default_config_static_selectorELNS0_4arch9wavefront6targetE1EEEvT1_
	.p2align	8
	.type	_ZN7rocprim17ROCPRIM_400000_NS6detail17trampoline_kernelINS0_14default_configENS1_20scan_config_selectorItEEZZNS1_9scan_implILNS1_25lookback_scan_determinismE0ELb0ELb0ES3_N6thrust23THRUST_200600_302600_NS6detail15normal_iteratorINS9_10device_ptrItEEEESE_tNS9_4plusIvEEtEEDaPvRmT3_T4_T5_mT6_P12ihipStream_tbENKUlT_T0_E_clISt17integral_constantIbLb1EEST_IbLb0EEEEDaSP_SQ_EUlSP_E0_NS1_11comp_targetILNS1_3genE5ELNS1_11target_archE942ELNS1_3gpuE9ELNS1_3repE0EEENS1_30default_config_static_selectorELNS0_4arch9wavefront6targetE1EEEvT1_,@function
_ZN7rocprim17ROCPRIM_400000_NS6detail17trampoline_kernelINS0_14default_configENS1_20scan_config_selectorItEEZZNS1_9scan_implILNS1_25lookback_scan_determinismE0ELb0ELb0ES3_N6thrust23THRUST_200600_302600_NS6detail15normal_iteratorINS9_10device_ptrItEEEESE_tNS9_4plusIvEEtEEDaPvRmT3_T4_T5_mT6_P12ihipStream_tbENKUlT_T0_E_clISt17integral_constantIbLb1EEST_IbLb0EEEEDaSP_SQ_EUlSP_E0_NS1_11comp_targetILNS1_3genE5ELNS1_11target_archE942ELNS1_3gpuE9ELNS1_3repE0EEENS1_30default_config_static_selectorELNS0_4arch9wavefront6targetE1EEEvT1_: ; @_ZN7rocprim17ROCPRIM_400000_NS6detail17trampoline_kernelINS0_14default_configENS1_20scan_config_selectorItEEZZNS1_9scan_implILNS1_25lookback_scan_determinismE0ELb0ELb0ES3_N6thrust23THRUST_200600_302600_NS6detail15normal_iteratorINS9_10device_ptrItEEEESE_tNS9_4plusIvEEtEEDaPvRmT3_T4_T5_mT6_P12ihipStream_tbENKUlT_T0_E_clISt17integral_constantIbLb1EEST_IbLb0EEEEDaSP_SQ_EUlSP_E0_NS1_11comp_targetILNS1_3genE5ELNS1_11target_archE942ELNS1_3gpuE9ELNS1_3repE0EEENS1_30default_config_static_selectorELNS0_4arch9wavefront6targetE1EEEvT1_
; %bb.0:
	.section	.rodata,"a",@progbits
	.p2align	6, 0x0
	.amdhsa_kernel _ZN7rocprim17ROCPRIM_400000_NS6detail17trampoline_kernelINS0_14default_configENS1_20scan_config_selectorItEEZZNS1_9scan_implILNS1_25lookback_scan_determinismE0ELb0ELb0ES3_N6thrust23THRUST_200600_302600_NS6detail15normal_iteratorINS9_10device_ptrItEEEESE_tNS9_4plusIvEEtEEDaPvRmT3_T4_T5_mT6_P12ihipStream_tbENKUlT_T0_E_clISt17integral_constantIbLb1EEST_IbLb0EEEEDaSP_SQ_EUlSP_E0_NS1_11comp_targetILNS1_3genE5ELNS1_11target_archE942ELNS1_3gpuE9ELNS1_3repE0EEENS1_30default_config_static_selectorELNS0_4arch9wavefront6targetE1EEEvT1_
		.amdhsa_group_segment_fixed_size 0
		.amdhsa_private_segment_fixed_size 0
		.amdhsa_kernarg_size 32
		.amdhsa_user_sgpr_count 6
		.amdhsa_user_sgpr_private_segment_buffer 1
		.amdhsa_user_sgpr_dispatch_ptr 0
		.amdhsa_user_sgpr_queue_ptr 0
		.amdhsa_user_sgpr_kernarg_segment_ptr 1
		.amdhsa_user_sgpr_dispatch_id 0
		.amdhsa_user_sgpr_flat_scratch_init 0
		.amdhsa_user_sgpr_kernarg_preload_length 0
		.amdhsa_user_sgpr_kernarg_preload_offset 0
		.amdhsa_user_sgpr_private_segment_size 0
		.amdhsa_uses_dynamic_stack 0
		.amdhsa_system_sgpr_private_segment_wavefront_offset 0
		.amdhsa_system_sgpr_workgroup_id_x 1
		.amdhsa_system_sgpr_workgroup_id_y 0
		.amdhsa_system_sgpr_workgroup_id_z 0
		.amdhsa_system_sgpr_workgroup_info 0
		.amdhsa_system_vgpr_workitem_id 0
		.amdhsa_next_free_vgpr 1
		.amdhsa_next_free_sgpr 0
		.amdhsa_accum_offset 4
		.amdhsa_reserve_vcc 0
		.amdhsa_reserve_flat_scratch 0
		.amdhsa_float_round_mode_32 0
		.amdhsa_float_round_mode_16_64 0
		.amdhsa_float_denorm_mode_32 3
		.amdhsa_float_denorm_mode_16_64 3
		.amdhsa_dx10_clamp 1
		.amdhsa_ieee_mode 1
		.amdhsa_fp16_overflow 0
		.amdhsa_tg_split 0
		.amdhsa_exception_fp_ieee_invalid_op 0
		.amdhsa_exception_fp_denorm_src 0
		.amdhsa_exception_fp_ieee_div_zero 0
		.amdhsa_exception_fp_ieee_overflow 0
		.amdhsa_exception_fp_ieee_underflow 0
		.amdhsa_exception_fp_ieee_inexact 0
		.amdhsa_exception_int_div_zero 0
	.end_amdhsa_kernel
	.section	.text._ZN7rocprim17ROCPRIM_400000_NS6detail17trampoline_kernelINS0_14default_configENS1_20scan_config_selectorItEEZZNS1_9scan_implILNS1_25lookback_scan_determinismE0ELb0ELb0ES3_N6thrust23THRUST_200600_302600_NS6detail15normal_iteratorINS9_10device_ptrItEEEESE_tNS9_4plusIvEEtEEDaPvRmT3_T4_T5_mT6_P12ihipStream_tbENKUlT_T0_E_clISt17integral_constantIbLb1EEST_IbLb0EEEEDaSP_SQ_EUlSP_E0_NS1_11comp_targetILNS1_3genE5ELNS1_11target_archE942ELNS1_3gpuE9ELNS1_3repE0EEENS1_30default_config_static_selectorELNS0_4arch9wavefront6targetE1EEEvT1_,"axG",@progbits,_ZN7rocprim17ROCPRIM_400000_NS6detail17trampoline_kernelINS0_14default_configENS1_20scan_config_selectorItEEZZNS1_9scan_implILNS1_25lookback_scan_determinismE0ELb0ELb0ES3_N6thrust23THRUST_200600_302600_NS6detail15normal_iteratorINS9_10device_ptrItEEEESE_tNS9_4plusIvEEtEEDaPvRmT3_T4_T5_mT6_P12ihipStream_tbENKUlT_T0_E_clISt17integral_constantIbLb1EEST_IbLb0EEEEDaSP_SQ_EUlSP_E0_NS1_11comp_targetILNS1_3genE5ELNS1_11target_archE942ELNS1_3gpuE9ELNS1_3repE0EEENS1_30default_config_static_selectorELNS0_4arch9wavefront6targetE1EEEvT1_,comdat
.Lfunc_end4764:
	.size	_ZN7rocprim17ROCPRIM_400000_NS6detail17trampoline_kernelINS0_14default_configENS1_20scan_config_selectorItEEZZNS1_9scan_implILNS1_25lookback_scan_determinismE0ELb0ELb0ES3_N6thrust23THRUST_200600_302600_NS6detail15normal_iteratorINS9_10device_ptrItEEEESE_tNS9_4plusIvEEtEEDaPvRmT3_T4_T5_mT6_P12ihipStream_tbENKUlT_T0_E_clISt17integral_constantIbLb1EEST_IbLb0EEEEDaSP_SQ_EUlSP_E0_NS1_11comp_targetILNS1_3genE5ELNS1_11target_archE942ELNS1_3gpuE9ELNS1_3repE0EEENS1_30default_config_static_selectorELNS0_4arch9wavefront6targetE1EEEvT1_, .Lfunc_end4764-_ZN7rocprim17ROCPRIM_400000_NS6detail17trampoline_kernelINS0_14default_configENS1_20scan_config_selectorItEEZZNS1_9scan_implILNS1_25lookback_scan_determinismE0ELb0ELb0ES3_N6thrust23THRUST_200600_302600_NS6detail15normal_iteratorINS9_10device_ptrItEEEESE_tNS9_4plusIvEEtEEDaPvRmT3_T4_T5_mT6_P12ihipStream_tbENKUlT_T0_E_clISt17integral_constantIbLb1EEST_IbLb0EEEEDaSP_SQ_EUlSP_E0_NS1_11comp_targetILNS1_3genE5ELNS1_11target_archE942ELNS1_3gpuE9ELNS1_3repE0EEENS1_30default_config_static_selectorELNS0_4arch9wavefront6targetE1EEEvT1_
                                        ; -- End function
	.section	.AMDGPU.csdata,"",@progbits
; Kernel info:
; codeLenInByte = 0
; NumSgprs: 4
; NumVgprs: 0
; NumAgprs: 0
; TotalNumVgprs: 0
; ScratchSize: 0
; MemoryBound: 0
; FloatMode: 240
; IeeeMode: 1
; LDSByteSize: 0 bytes/workgroup (compile time only)
; SGPRBlocks: 0
; VGPRBlocks: 0
; NumSGPRsForWavesPerEU: 4
; NumVGPRsForWavesPerEU: 1
; AccumOffset: 4
; Occupancy: 8
; WaveLimiterHint : 0
; COMPUTE_PGM_RSRC2:SCRATCH_EN: 0
; COMPUTE_PGM_RSRC2:USER_SGPR: 6
; COMPUTE_PGM_RSRC2:TRAP_HANDLER: 0
; COMPUTE_PGM_RSRC2:TGID_X_EN: 1
; COMPUTE_PGM_RSRC2:TGID_Y_EN: 0
; COMPUTE_PGM_RSRC2:TGID_Z_EN: 0
; COMPUTE_PGM_RSRC2:TIDIG_COMP_CNT: 0
; COMPUTE_PGM_RSRC3_GFX90A:ACCUM_OFFSET: 0
; COMPUTE_PGM_RSRC3_GFX90A:TG_SPLIT: 0
	.section	.text._ZN7rocprim17ROCPRIM_400000_NS6detail17trampoline_kernelINS0_14default_configENS1_20scan_config_selectorItEEZZNS1_9scan_implILNS1_25lookback_scan_determinismE0ELb0ELb0ES3_N6thrust23THRUST_200600_302600_NS6detail15normal_iteratorINS9_10device_ptrItEEEESE_tNS9_4plusIvEEtEEDaPvRmT3_T4_T5_mT6_P12ihipStream_tbENKUlT_T0_E_clISt17integral_constantIbLb1EEST_IbLb0EEEEDaSP_SQ_EUlSP_E0_NS1_11comp_targetILNS1_3genE4ELNS1_11target_archE910ELNS1_3gpuE8ELNS1_3repE0EEENS1_30default_config_static_selectorELNS0_4arch9wavefront6targetE1EEEvT1_,"axG",@progbits,_ZN7rocprim17ROCPRIM_400000_NS6detail17trampoline_kernelINS0_14default_configENS1_20scan_config_selectorItEEZZNS1_9scan_implILNS1_25lookback_scan_determinismE0ELb0ELb0ES3_N6thrust23THRUST_200600_302600_NS6detail15normal_iteratorINS9_10device_ptrItEEEESE_tNS9_4plusIvEEtEEDaPvRmT3_T4_T5_mT6_P12ihipStream_tbENKUlT_T0_E_clISt17integral_constantIbLb1EEST_IbLb0EEEEDaSP_SQ_EUlSP_E0_NS1_11comp_targetILNS1_3genE4ELNS1_11target_archE910ELNS1_3gpuE8ELNS1_3repE0EEENS1_30default_config_static_selectorELNS0_4arch9wavefront6targetE1EEEvT1_,comdat
	.protected	_ZN7rocprim17ROCPRIM_400000_NS6detail17trampoline_kernelINS0_14default_configENS1_20scan_config_selectorItEEZZNS1_9scan_implILNS1_25lookback_scan_determinismE0ELb0ELb0ES3_N6thrust23THRUST_200600_302600_NS6detail15normal_iteratorINS9_10device_ptrItEEEESE_tNS9_4plusIvEEtEEDaPvRmT3_T4_T5_mT6_P12ihipStream_tbENKUlT_T0_E_clISt17integral_constantIbLb1EEST_IbLb0EEEEDaSP_SQ_EUlSP_E0_NS1_11comp_targetILNS1_3genE4ELNS1_11target_archE910ELNS1_3gpuE8ELNS1_3repE0EEENS1_30default_config_static_selectorELNS0_4arch9wavefront6targetE1EEEvT1_ ; -- Begin function _ZN7rocprim17ROCPRIM_400000_NS6detail17trampoline_kernelINS0_14default_configENS1_20scan_config_selectorItEEZZNS1_9scan_implILNS1_25lookback_scan_determinismE0ELb0ELb0ES3_N6thrust23THRUST_200600_302600_NS6detail15normal_iteratorINS9_10device_ptrItEEEESE_tNS9_4plusIvEEtEEDaPvRmT3_T4_T5_mT6_P12ihipStream_tbENKUlT_T0_E_clISt17integral_constantIbLb1EEST_IbLb0EEEEDaSP_SQ_EUlSP_E0_NS1_11comp_targetILNS1_3genE4ELNS1_11target_archE910ELNS1_3gpuE8ELNS1_3repE0EEENS1_30default_config_static_selectorELNS0_4arch9wavefront6targetE1EEEvT1_
	.globl	_ZN7rocprim17ROCPRIM_400000_NS6detail17trampoline_kernelINS0_14default_configENS1_20scan_config_selectorItEEZZNS1_9scan_implILNS1_25lookback_scan_determinismE0ELb0ELb0ES3_N6thrust23THRUST_200600_302600_NS6detail15normal_iteratorINS9_10device_ptrItEEEESE_tNS9_4plusIvEEtEEDaPvRmT3_T4_T5_mT6_P12ihipStream_tbENKUlT_T0_E_clISt17integral_constantIbLb1EEST_IbLb0EEEEDaSP_SQ_EUlSP_E0_NS1_11comp_targetILNS1_3genE4ELNS1_11target_archE910ELNS1_3gpuE8ELNS1_3repE0EEENS1_30default_config_static_selectorELNS0_4arch9wavefront6targetE1EEEvT1_
	.p2align	8
	.type	_ZN7rocprim17ROCPRIM_400000_NS6detail17trampoline_kernelINS0_14default_configENS1_20scan_config_selectorItEEZZNS1_9scan_implILNS1_25lookback_scan_determinismE0ELb0ELb0ES3_N6thrust23THRUST_200600_302600_NS6detail15normal_iteratorINS9_10device_ptrItEEEESE_tNS9_4plusIvEEtEEDaPvRmT3_T4_T5_mT6_P12ihipStream_tbENKUlT_T0_E_clISt17integral_constantIbLb1EEST_IbLb0EEEEDaSP_SQ_EUlSP_E0_NS1_11comp_targetILNS1_3genE4ELNS1_11target_archE910ELNS1_3gpuE8ELNS1_3repE0EEENS1_30default_config_static_selectorELNS0_4arch9wavefront6targetE1EEEvT1_,@function
_ZN7rocprim17ROCPRIM_400000_NS6detail17trampoline_kernelINS0_14default_configENS1_20scan_config_selectorItEEZZNS1_9scan_implILNS1_25lookback_scan_determinismE0ELb0ELb0ES3_N6thrust23THRUST_200600_302600_NS6detail15normal_iteratorINS9_10device_ptrItEEEESE_tNS9_4plusIvEEtEEDaPvRmT3_T4_T5_mT6_P12ihipStream_tbENKUlT_T0_E_clISt17integral_constantIbLb1EEST_IbLb0EEEEDaSP_SQ_EUlSP_E0_NS1_11comp_targetILNS1_3genE4ELNS1_11target_archE910ELNS1_3gpuE8ELNS1_3repE0EEENS1_30default_config_static_selectorELNS0_4arch9wavefront6targetE1EEEvT1_: ; @_ZN7rocprim17ROCPRIM_400000_NS6detail17trampoline_kernelINS0_14default_configENS1_20scan_config_selectorItEEZZNS1_9scan_implILNS1_25lookback_scan_determinismE0ELb0ELb0ES3_N6thrust23THRUST_200600_302600_NS6detail15normal_iteratorINS9_10device_ptrItEEEESE_tNS9_4plusIvEEtEEDaPvRmT3_T4_T5_mT6_P12ihipStream_tbENKUlT_T0_E_clISt17integral_constantIbLb1EEST_IbLb0EEEEDaSP_SQ_EUlSP_E0_NS1_11comp_targetILNS1_3genE4ELNS1_11target_archE910ELNS1_3gpuE8ELNS1_3repE0EEENS1_30default_config_static_selectorELNS0_4arch9wavefront6targetE1EEEvT1_
; %bb.0:
	s_load_dwordx4 s[52:55], s[4:5], 0x0
	v_mov_b32_e32 v1, 0
	v_lshlrev_b32_e32 v14, 1, v0
	s_waitcnt lgkmcnt(0)
	global_load_ushort v2, v1, s[52:53]
	v_cmp_gt_u32_e32 vcc, s54, v0
	s_waitcnt vmcnt(0)
	v_mov_b32_e32 v3, v2
	s_and_saveexec_b64 s[0:1], vcc
	s_cbranch_execz .LBB4765_2
; %bb.1:
	global_load_ushort v3, v14, s[52:53]
.LBB4765_2:
	s_or_b64 exec, exec, s[0:1]
	v_or_b32_e32 v1, 64, v0
	v_cmp_gt_u32_e64 s[0:1], s54, v1
	v_mov_b32_e32 v4, v2
	s_and_saveexec_b64 s[2:3], s[0:1]
	s_cbranch_execz .LBB4765_4
; %bb.3:
	global_load_ushort v4, v14, s[52:53] offset:128
.LBB4765_4:
	s_or_b64 exec, exec, s[2:3]
	v_or_b32_e32 v1, 0x80, v0
	v_cmp_gt_u32_e64 s[2:3], s54, v1
	v_mov_b32_e32 v5, v2
	s_and_saveexec_b64 s[6:7], s[2:3]
	s_cbranch_execz .LBB4765_6
; %bb.5:
	global_load_ushort v5, v14, s[52:53] offset:256
.LBB4765_6:
	;; [unrolled: 9-line block ×22, first 2 shown]
	s_or_b64 exec, exec, s[46:47]
	v_or_b32_e32 v1, 0x5c0, v0
	v_cmp_gt_u32_e64 s[46:47], s54, v1
	v_cmp_le_u32_e64 s[50:51], s54, v1
	s_and_saveexec_b64 s[54:55], s[50:51]
	s_xor_b64 s[50:51], exec, s[54:55]
; %bb.47:
	v_mov_b32_e32 v1, 0
; %bb.48:
	s_andn2_saveexec_b64 s[50:51], s[50:51]
	s_cbranch_execz .LBB4765_50
; %bb.49:
	global_load_ushort v2, v14, s[52:53] offset:2944
	v_mov_b32_e32 v1, 0
.LBB4765_50:
	s_or_b64 exec, exec, s[50:51]
	s_waitcnt vmcnt(0)
	ds_write_b16 v14, v3
	ds_write_b16 v14, v4 offset:128
	ds_write_b16 v14, v5 offset:256
	;; [unrolled: 1-line block ×23, first 2 shown]
	v_mad_u32_u24 v6, v0, 46, v14
	s_waitcnt lgkmcnt(0)
	; wave barrier
	s_waitcnt lgkmcnt(0)
	ds_read_b128 v[2:5], v6
	ds_read_b128 v[10:13], v6 offset:16
	ds_read_b128 v[6:9], v6 offset:32
	v_mbcnt_lo_u32_b32 v38, -1, 0
	v_mbcnt_hi_u32_b32 v38, -1, v38
	s_waitcnt lgkmcnt(2)
	v_add_u16_sdwa v15, v2, v2 dst_sel:DWORD dst_unused:UNUSED_PAD src0_sel:WORD_1 src1_sel:DWORD
	v_add_u16_e32 v16, v15, v3
	v_add_u16_sdwa v18, v16, v3 dst_sel:DWORD dst_unused:UNUSED_PAD src0_sel:DWORD src1_sel:WORD_1
	v_add_u16_e32 v20, v18, v4
	v_add_u16_sdwa v22, v20, v4 dst_sel:DWORD dst_unused:UNUSED_PAD src0_sel:DWORD src1_sel:WORD_1
	;; [unrolled: 2-line block ×3, first 2 shown]
	s_waitcnt lgkmcnt(1)
	v_add_u16_e32 v17, v28, v10
	v_add_u16_sdwa v19, v17, v10 dst_sel:DWORD dst_unused:UNUSED_PAD src0_sel:DWORD src1_sel:WORD_1
	v_add_u16_e32 v21, v19, v11
	v_add_u16_sdwa v24, v21, v11 dst_sel:DWORD dst_unused:UNUSED_PAD src0_sel:DWORD src1_sel:WORD_1
	;; [unrolled: 2-line block ×4, first 2 shown]
	s_waitcnt lgkmcnt(0)
	v_add_u16_e32 v23, v34, v6
	v_add_u16_sdwa v26, v23, v6 dst_sel:DWORD dst_unused:UNUSED_PAD src0_sel:DWORD src1_sel:WORD_1
	v_add_u16_e32 v29, v26, v7
	v_add_u16_sdwa v31, v29, v7 dst_sel:DWORD dst_unused:UNUSED_PAD src0_sel:DWORD src1_sel:WORD_1
	;; [unrolled: 2-line block ×4, first 2 shown]
	v_and_b32_e32 v39, 15, v38
	s_load_dwordx2 s[50:51], s[4:5], 0x18
	v_mov_b32_dpp v40, v37 row_shr:1 row_mask:0xf bank_mask:0xf
	v_cmp_ne_u32_e64 s[4:5], 0, v39
	v_cndmask_b32_e64 v40, 0, v40, s[4:5]
	v_add_u16_e32 v40, v40, v37
	v_cmp_lt_u32_e64 s[4:5], 1, v39
	s_waitcnt lgkmcnt(0)
	v_mov_b32_dpp v41, v40 row_shr:2 row_mask:0xf bank_mask:0xf
	v_cndmask_b32_e64 v41, 0, v41, s[4:5]
	v_add_u16_e32 v40, v40, v41
	v_cmp_lt_u32_e64 s[4:5], 3, v39
	; wave barrier
	s_nop 0
	v_mov_b32_dpp v41, v40 row_shr:4 row_mask:0xf bank_mask:0xf
	v_cndmask_b32_e64 v41, 0, v41, s[4:5]
	v_add_u16_e32 v40, v40, v41
	v_cmp_lt_u32_e64 s[4:5], 7, v39
	s_nop 0
	v_mov_b32_dpp v41, v40 row_shr:8 row_mask:0xf bank_mask:0xf
	v_cndmask_b32_e64 v39, 0, v41, s[4:5]
	v_add_u16_e32 v39, v40, v39
	v_and_b32_e32 v41, 16, v38
	v_cmp_ne_u32_e64 s[4:5], 0, v41
	v_mov_b32_dpp v40, v39 row_bcast:15 row_mask:0xf bank_mask:0xf
	v_cndmask_b32_e64 v40, 0, v40, s[4:5]
	v_add_u16_e32 v39, v39, v40
	v_cmp_lt_u32_e64 s[4:5], 31, v38
	s_nop 0
	v_mov_b32_dpp v40, v39 row_bcast:31 row_mask:0xf bank_mask:0xf
	v_cndmask_b32_e64 v40, 0, v40, s[4:5]
	v_add_u16_e32 v39, v39, v40
	v_cmp_eq_u32_e64 s[4:5], 63, v0
	s_and_saveexec_b64 s[52:53], s[4:5]
	s_cbranch_execz .LBB4765_52
; %bb.51:
	v_mov_b32_e32 v40, 0
	ds_write_b16 v40, v39
.LBB4765_52:
	s_or_b64 exec, exec, s[52:53]
	v_add_u32_e32 v40, -1, v38
	v_and_b32_e32 v41, 64, v38
	v_cmp_lt_i32_e64 s[4:5], v40, v41
	v_cndmask_b32_e64 v38, v40, v38, s[4:5]
	v_lshlrev_b32_e32 v38, 2, v38
	ds_bpermute_b32 v39, v38, v39
	v_mul_u32_u24_e32 v38, 46, v0
	v_cmp_ne_u32_e64 s[4:5], 0, v0
	s_waitcnt lgkmcnt(0)
	; wave barrier
	s_waitcnt lgkmcnt(0)
	s_and_saveexec_b64 s[52:53], s[4:5]
	s_cbranch_execz .LBB4765_54
; %bb.53:
	v_add_u16_e32 v39, v2, v39
	v_add_u16_sdwa v15, v39, v2 dst_sel:DWORD dst_unused:UNUSED_PAD src0_sel:DWORD src1_sel:WORD_1
	v_add_u16_e32 v16, v15, v3
	v_add_u16_sdwa v18, v16, v3 dst_sel:DWORD dst_unused:UNUSED_PAD src0_sel:DWORD src1_sel:WORD_1
	;; [unrolled: 2-line block ×12, first 2 shown]
	v_mov_b32_e32 v2, v39
	;;#ASMSTART
	;;#ASMEND
.LBB4765_54:
	s_or_b64 exec, exec, s[52:53]
	s_mov_b32 s4, 0x5040100
	v_add_u32_e32 v6, v14, v38
	v_perm_b32 v5, v28, v25, s4
	v_perm_b32 v4, v22, v20, s4
	;; [unrolled: 1-line block ×4, first 2 shown]
	s_waitcnt lgkmcnt(0)
	; wave barrier
	ds_write_b128 v6, v[2:5]
	v_perm_b32 v5, v34, v32, s4
	v_perm_b32 v4, v30, v27, s4
	v_perm_b32 v3, v24, v21, s4
	v_perm_b32 v2, v19, v17, s4
	ds_write_b128 v6, v[2:5] offset:16
	v_perm_b32 v5, v37, v36, s4
	v_perm_b32 v4, v35, v33, s4
	;; [unrolled: 1-line block ×4, first 2 shown]
	ds_write_b128 v6, v[2:5] offset:32
	s_waitcnt lgkmcnt(0)
	; wave barrier
	s_waitcnt lgkmcnt(0)
	ds_read_u16 v25, v14 offset:128
	ds_read_u16 v24, v14 offset:256
	;; [unrolled: 1-line block ×23, first 2 shown]
	v_lshlrev_b64 v[0:1], 1, v[0:1]
	v_mov_b32_e32 v26, s51
	v_add_co_u32_e64 v0, s[4:5], s50, v0
	v_addc_co_u32_e64 v1, s[4:5], v26, v1, s[4:5]
	s_and_saveexec_b64 s[4:5], vcc
	s_cbranch_execnz .LBB4765_79
; %bb.55:
	s_or_b64 exec, exec, s[4:5]
	s_and_saveexec_b64 s[4:5], s[0:1]
	s_cbranch_execnz .LBB4765_80
.LBB4765_56:
	s_or_b64 exec, exec, s[4:5]
	s_and_saveexec_b64 s[0:1], s[2:3]
	s_cbranch_execnz .LBB4765_81
.LBB4765_57:
	s_or_b64 exec, exec, s[0:1]
	s_and_saveexec_b64 s[0:1], s[48:49]
	s_cbranch_execnz .LBB4765_82
.LBB4765_58:
	s_or_b64 exec, exec, s[0:1]
	s_and_saveexec_b64 s[0:1], s[6:7]
	s_cbranch_execnz .LBB4765_83
.LBB4765_59:
	s_or_b64 exec, exec, s[0:1]
	s_and_saveexec_b64 s[0:1], s[8:9]
	s_cbranch_execnz .LBB4765_84
.LBB4765_60:
	s_or_b64 exec, exec, s[0:1]
	s_and_saveexec_b64 s[0:1], s[10:11]
	s_cbranch_execnz .LBB4765_85
.LBB4765_61:
	s_or_b64 exec, exec, s[0:1]
	s_and_saveexec_b64 s[0:1], s[12:13]
	s_cbranch_execnz .LBB4765_86
.LBB4765_62:
	s_or_b64 exec, exec, s[0:1]
	s_and_saveexec_b64 s[0:1], s[14:15]
	s_cbranch_execnz .LBB4765_87
.LBB4765_63:
	s_or_b64 exec, exec, s[0:1]
	s_and_saveexec_b64 s[0:1], s[16:17]
	s_cbranch_execnz .LBB4765_88
.LBB4765_64:
	s_or_b64 exec, exec, s[0:1]
	s_and_saveexec_b64 s[0:1], s[18:19]
	s_cbranch_execnz .LBB4765_89
.LBB4765_65:
	s_or_b64 exec, exec, s[0:1]
	s_and_saveexec_b64 s[0:1], s[20:21]
	s_cbranch_execnz .LBB4765_90
.LBB4765_66:
	s_or_b64 exec, exec, s[0:1]
	s_and_saveexec_b64 s[0:1], s[22:23]
	s_cbranch_execnz .LBB4765_91
.LBB4765_67:
	s_or_b64 exec, exec, s[0:1]
	s_and_saveexec_b64 s[0:1], s[24:25]
	s_cbranch_execnz .LBB4765_92
.LBB4765_68:
	s_or_b64 exec, exec, s[0:1]
	s_and_saveexec_b64 s[0:1], s[26:27]
	s_cbranch_execnz .LBB4765_93
.LBB4765_69:
	s_or_b64 exec, exec, s[0:1]
	s_and_saveexec_b64 s[0:1], s[28:29]
	s_cbranch_execnz .LBB4765_94
.LBB4765_70:
	s_or_b64 exec, exec, s[0:1]
	s_and_saveexec_b64 s[0:1], s[30:31]
	s_cbranch_execnz .LBB4765_95
.LBB4765_71:
	s_or_b64 exec, exec, s[0:1]
	s_and_saveexec_b64 s[0:1], s[34:35]
	s_cbranch_execnz .LBB4765_96
.LBB4765_72:
	s_or_b64 exec, exec, s[0:1]
	s_and_saveexec_b64 s[0:1], s[36:37]
	s_cbranch_execnz .LBB4765_97
.LBB4765_73:
	s_or_b64 exec, exec, s[0:1]
	s_and_saveexec_b64 s[0:1], s[38:39]
	s_cbranch_execnz .LBB4765_98
.LBB4765_74:
	s_or_b64 exec, exec, s[0:1]
	s_and_saveexec_b64 s[0:1], s[40:41]
	s_cbranch_execnz .LBB4765_99
.LBB4765_75:
	s_or_b64 exec, exec, s[0:1]
	s_and_saveexec_b64 s[0:1], s[42:43]
	s_cbranch_execnz .LBB4765_100
.LBB4765_76:
	s_or_b64 exec, exec, s[0:1]
	s_and_saveexec_b64 s[0:1], s[44:45]
	s_cbranch_execnz .LBB4765_101
.LBB4765_77:
	s_or_b64 exec, exec, s[0:1]
	s_and_saveexec_b64 s[0:1], s[46:47]
	s_cbranch_execnz .LBB4765_102
.LBB4765_78:
	s_endpgm
.LBB4765_79:
	ds_read_u16 v14, v14
	s_waitcnt lgkmcnt(0)
	global_store_short v[0:1], v14, off
	s_or_b64 exec, exec, s[4:5]
	s_and_saveexec_b64 s[4:5], s[0:1]
	s_cbranch_execz .LBB4765_56
.LBB4765_80:
	s_waitcnt lgkmcnt(14)
	global_store_short v[0:1], v25, off offset:128
	s_or_b64 exec, exec, s[4:5]
	s_and_saveexec_b64 s[0:1], s[2:3]
	s_cbranch_execz .LBB4765_57
.LBB4765_81:
	s_waitcnt lgkmcnt(14)
	global_store_short v[0:1], v24, off offset:256
	s_or_b64 exec, exec, s[0:1]
	s_and_saveexec_b64 s[0:1], s[48:49]
	s_cbranch_execz .LBB4765_58
.LBB4765_82:
	s_waitcnt lgkmcnt(14)
	global_store_short v[0:1], v23, off offset:384
	s_or_b64 exec, exec, s[0:1]
	s_and_saveexec_b64 s[0:1], s[6:7]
	s_cbranch_execz .LBB4765_59
.LBB4765_83:
	s_waitcnt lgkmcnt(14)
	global_store_short v[0:1], v22, off offset:512
	s_or_b64 exec, exec, s[0:1]
	s_and_saveexec_b64 s[0:1], s[8:9]
	s_cbranch_execz .LBB4765_60
.LBB4765_84:
	s_waitcnt lgkmcnt(14)
	global_store_short v[0:1], v21, off offset:640
	s_or_b64 exec, exec, s[0:1]
	s_and_saveexec_b64 s[0:1], s[10:11]
	s_cbranch_execz .LBB4765_61
.LBB4765_85:
	s_waitcnt lgkmcnt(14)
	global_store_short v[0:1], v20, off offset:768
	s_or_b64 exec, exec, s[0:1]
	s_and_saveexec_b64 s[0:1], s[12:13]
	s_cbranch_execz .LBB4765_62
.LBB4765_86:
	s_waitcnt lgkmcnt(14)
	global_store_short v[0:1], v19, off offset:896
	s_or_b64 exec, exec, s[0:1]
	s_and_saveexec_b64 s[0:1], s[14:15]
	s_cbranch_execz .LBB4765_63
.LBB4765_87:
	s_waitcnt lgkmcnt(14)
	global_store_short v[0:1], v18, off offset:1024
	s_or_b64 exec, exec, s[0:1]
	s_and_saveexec_b64 s[0:1], s[16:17]
	s_cbranch_execz .LBB4765_64
.LBB4765_88:
	s_waitcnt lgkmcnt(14)
	global_store_short v[0:1], v17, off offset:1152
	s_or_b64 exec, exec, s[0:1]
	s_and_saveexec_b64 s[0:1], s[18:19]
	s_cbranch_execz .LBB4765_65
.LBB4765_89:
	s_waitcnt lgkmcnt(13)
	global_store_short v[0:1], v16, off offset:1280
	s_or_b64 exec, exec, s[0:1]
	s_and_saveexec_b64 s[0:1], s[20:21]
	s_cbranch_execz .LBB4765_66
.LBB4765_90:
	s_waitcnt lgkmcnt(12)
	global_store_short v[0:1], v15, off offset:1408
	s_or_b64 exec, exec, s[0:1]
	s_and_saveexec_b64 s[0:1], s[22:23]
	s_cbranch_execz .LBB4765_67
.LBB4765_91:
	s_waitcnt lgkmcnt(11)
	global_store_short v[0:1], v13, off offset:1536
	s_or_b64 exec, exec, s[0:1]
	s_and_saveexec_b64 s[0:1], s[24:25]
	s_cbranch_execz .LBB4765_68
.LBB4765_92:
	s_waitcnt lgkmcnt(10)
	global_store_short v[0:1], v12, off offset:1664
	s_or_b64 exec, exec, s[0:1]
	s_and_saveexec_b64 s[0:1], s[26:27]
	s_cbranch_execz .LBB4765_69
.LBB4765_93:
	s_waitcnt lgkmcnt(9)
	global_store_short v[0:1], v11, off offset:1792
	s_or_b64 exec, exec, s[0:1]
	s_and_saveexec_b64 s[0:1], s[28:29]
	s_cbranch_execz .LBB4765_70
.LBB4765_94:
	s_waitcnt lgkmcnt(8)
	global_store_short v[0:1], v10, off offset:1920
	s_or_b64 exec, exec, s[0:1]
	s_and_saveexec_b64 s[0:1], s[30:31]
	s_cbranch_execz .LBB4765_71
.LBB4765_95:
	s_waitcnt lgkmcnt(7)
	global_store_short v[0:1], v9, off offset:2048
	s_or_b64 exec, exec, s[0:1]
	s_and_saveexec_b64 s[0:1], s[34:35]
	s_cbranch_execz .LBB4765_72
.LBB4765_96:
	s_waitcnt lgkmcnt(6)
	global_store_short v[0:1], v8, off offset:2176
	s_or_b64 exec, exec, s[0:1]
	s_and_saveexec_b64 s[0:1], s[36:37]
	s_cbranch_execz .LBB4765_73
.LBB4765_97:
	s_waitcnt lgkmcnt(5)
	global_store_short v[0:1], v7, off offset:2304
	s_or_b64 exec, exec, s[0:1]
	s_and_saveexec_b64 s[0:1], s[38:39]
	s_cbranch_execz .LBB4765_74
.LBB4765_98:
	s_waitcnt lgkmcnt(4)
	global_store_short v[0:1], v6, off offset:2432
	s_or_b64 exec, exec, s[0:1]
	s_and_saveexec_b64 s[0:1], s[40:41]
	s_cbranch_execz .LBB4765_75
.LBB4765_99:
	s_waitcnt lgkmcnt(3)
	global_store_short v[0:1], v5, off offset:2560
	s_or_b64 exec, exec, s[0:1]
	s_and_saveexec_b64 s[0:1], s[42:43]
	s_cbranch_execz .LBB4765_76
.LBB4765_100:
	s_waitcnt lgkmcnt(2)
	global_store_short v[0:1], v4, off offset:2688
	s_or_b64 exec, exec, s[0:1]
	s_and_saveexec_b64 s[0:1], s[44:45]
	s_cbranch_execz .LBB4765_77
.LBB4765_101:
	s_waitcnt lgkmcnt(1)
	global_store_short v[0:1], v3, off offset:2816
	s_or_b64 exec, exec, s[0:1]
	s_and_saveexec_b64 s[0:1], s[46:47]
	s_cbranch_execz .LBB4765_78
.LBB4765_102:
	s_waitcnt lgkmcnt(0)
	global_store_short v[0:1], v2, off offset:2944
	s_endpgm
	.section	.rodata,"a",@progbits
	.p2align	6, 0x0
	.amdhsa_kernel _ZN7rocprim17ROCPRIM_400000_NS6detail17trampoline_kernelINS0_14default_configENS1_20scan_config_selectorItEEZZNS1_9scan_implILNS1_25lookback_scan_determinismE0ELb0ELb0ES3_N6thrust23THRUST_200600_302600_NS6detail15normal_iteratorINS9_10device_ptrItEEEESE_tNS9_4plusIvEEtEEDaPvRmT3_T4_T5_mT6_P12ihipStream_tbENKUlT_T0_E_clISt17integral_constantIbLb1EEST_IbLb0EEEEDaSP_SQ_EUlSP_E0_NS1_11comp_targetILNS1_3genE4ELNS1_11target_archE910ELNS1_3gpuE8ELNS1_3repE0EEENS1_30default_config_static_selectorELNS0_4arch9wavefront6targetE1EEEvT1_
		.amdhsa_group_segment_fixed_size 3072
		.amdhsa_private_segment_fixed_size 0
		.amdhsa_kernarg_size 32
		.amdhsa_user_sgpr_count 6
		.amdhsa_user_sgpr_private_segment_buffer 1
		.amdhsa_user_sgpr_dispatch_ptr 0
		.amdhsa_user_sgpr_queue_ptr 0
		.amdhsa_user_sgpr_kernarg_segment_ptr 1
		.amdhsa_user_sgpr_dispatch_id 0
		.amdhsa_user_sgpr_flat_scratch_init 0
		.amdhsa_user_sgpr_kernarg_preload_length 0
		.amdhsa_user_sgpr_kernarg_preload_offset 0
		.amdhsa_user_sgpr_private_segment_size 0
		.amdhsa_uses_dynamic_stack 0
		.amdhsa_system_sgpr_private_segment_wavefront_offset 0
		.amdhsa_system_sgpr_workgroup_id_x 1
		.amdhsa_system_sgpr_workgroup_id_y 0
		.amdhsa_system_sgpr_workgroup_id_z 0
		.amdhsa_system_sgpr_workgroup_info 0
		.amdhsa_system_vgpr_workitem_id 0
		.amdhsa_next_free_vgpr 42
		.amdhsa_next_free_sgpr 56
		.amdhsa_accum_offset 44
		.amdhsa_reserve_vcc 1
		.amdhsa_reserve_flat_scratch 0
		.amdhsa_float_round_mode_32 0
		.amdhsa_float_round_mode_16_64 0
		.amdhsa_float_denorm_mode_32 3
		.amdhsa_float_denorm_mode_16_64 3
		.amdhsa_dx10_clamp 1
		.amdhsa_ieee_mode 1
		.amdhsa_fp16_overflow 0
		.amdhsa_tg_split 0
		.amdhsa_exception_fp_ieee_invalid_op 0
		.amdhsa_exception_fp_denorm_src 0
		.amdhsa_exception_fp_ieee_div_zero 0
		.amdhsa_exception_fp_ieee_overflow 0
		.amdhsa_exception_fp_ieee_underflow 0
		.amdhsa_exception_fp_ieee_inexact 0
		.amdhsa_exception_int_div_zero 0
	.end_amdhsa_kernel
	.section	.text._ZN7rocprim17ROCPRIM_400000_NS6detail17trampoline_kernelINS0_14default_configENS1_20scan_config_selectorItEEZZNS1_9scan_implILNS1_25lookback_scan_determinismE0ELb0ELb0ES3_N6thrust23THRUST_200600_302600_NS6detail15normal_iteratorINS9_10device_ptrItEEEESE_tNS9_4plusIvEEtEEDaPvRmT3_T4_T5_mT6_P12ihipStream_tbENKUlT_T0_E_clISt17integral_constantIbLb1EEST_IbLb0EEEEDaSP_SQ_EUlSP_E0_NS1_11comp_targetILNS1_3genE4ELNS1_11target_archE910ELNS1_3gpuE8ELNS1_3repE0EEENS1_30default_config_static_selectorELNS0_4arch9wavefront6targetE1EEEvT1_,"axG",@progbits,_ZN7rocprim17ROCPRIM_400000_NS6detail17trampoline_kernelINS0_14default_configENS1_20scan_config_selectorItEEZZNS1_9scan_implILNS1_25lookback_scan_determinismE0ELb0ELb0ES3_N6thrust23THRUST_200600_302600_NS6detail15normal_iteratorINS9_10device_ptrItEEEESE_tNS9_4plusIvEEtEEDaPvRmT3_T4_T5_mT6_P12ihipStream_tbENKUlT_T0_E_clISt17integral_constantIbLb1EEST_IbLb0EEEEDaSP_SQ_EUlSP_E0_NS1_11comp_targetILNS1_3genE4ELNS1_11target_archE910ELNS1_3gpuE8ELNS1_3repE0EEENS1_30default_config_static_selectorELNS0_4arch9wavefront6targetE1EEEvT1_,comdat
.Lfunc_end4765:
	.size	_ZN7rocprim17ROCPRIM_400000_NS6detail17trampoline_kernelINS0_14default_configENS1_20scan_config_selectorItEEZZNS1_9scan_implILNS1_25lookback_scan_determinismE0ELb0ELb0ES3_N6thrust23THRUST_200600_302600_NS6detail15normal_iteratorINS9_10device_ptrItEEEESE_tNS9_4plusIvEEtEEDaPvRmT3_T4_T5_mT6_P12ihipStream_tbENKUlT_T0_E_clISt17integral_constantIbLb1EEST_IbLb0EEEEDaSP_SQ_EUlSP_E0_NS1_11comp_targetILNS1_3genE4ELNS1_11target_archE910ELNS1_3gpuE8ELNS1_3repE0EEENS1_30default_config_static_selectorELNS0_4arch9wavefront6targetE1EEEvT1_, .Lfunc_end4765-_ZN7rocprim17ROCPRIM_400000_NS6detail17trampoline_kernelINS0_14default_configENS1_20scan_config_selectorItEEZZNS1_9scan_implILNS1_25lookback_scan_determinismE0ELb0ELb0ES3_N6thrust23THRUST_200600_302600_NS6detail15normal_iteratorINS9_10device_ptrItEEEESE_tNS9_4plusIvEEtEEDaPvRmT3_T4_T5_mT6_P12ihipStream_tbENKUlT_T0_E_clISt17integral_constantIbLb1EEST_IbLb0EEEEDaSP_SQ_EUlSP_E0_NS1_11comp_targetILNS1_3genE4ELNS1_11target_archE910ELNS1_3gpuE8ELNS1_3repE0EEENS1_30default_config_static_selectorELNS0_4arch9wavefront6targetE1EEEvT1_
                                        ; -- End function
	.section	.AMDGPU.csdata,"",@progbits
; Kernel info:
; codeLenInByte = 3068
; NumSgprs: 60
; NumVgprs: 42
; NumAgprs: 0
; TotalNumVgprs: 42
; ScratchSize: 0
; MemoryBound: 0
; FloatMode: 240
; IeeeMode: 1
; LDSByteSize: 3072 bytes/workgroup (compile time only)
; SGPRBlocks: 7
; VGPRBlocks: 5
; NumSGPRsForWavesPerEU: 60
; NumVGPRsForWavesPerEU: 42
; AccumOffset: 44
; Occupancy: 6
; WaveLimiterHint : 0
; COMPUTE_PGM_RSRC2:SCRATCH_EN: 0
; COMPUTE_PGM_RSRC2:USER_SGPR: 6
; COMPUTE_PGM_RSRC2:TRAP_HANDLER: 0
; COMPUTE_PGM_RSRC2:TGID_X_EN: 1
; COMPUTE_PGM_RSRC2:TGID_Y_EN: 0
; COMPUTE_PGM_RSRC2:TGID_Z_EN: 0
; COMPUTE_PGM_RSRC2:TIDIG_COMP_CNT: 0
; COMPUTE_PGM_RSRC3_GFX90A:ACCUM_OFFSET: 10
; COMPUTE_PGM_RSRC3_GFX90A:TG_SPLIT: 0
	.section	.text._ZN7rocprim17ROCPRIM_400000_NS6detail17trampoline_kernelINS0_14default_configENS1_20scan_config_selectorItEEZZNS1_9scan_implILNS1_25lookback_scan_determinismE0ELb0ELb0ES3_N6thrust23THRUST_200600_302600_NS6detail15normal_iteratorINS9_10device_ptrItEEEESE_tNS9_4plusIvEEtEEDaPvRmT3_T4_T5_mT6_P12ihipStream_tbENKUlT_T0_E_clISt17integral_constantIbLb1EEST_IbLb0EEEEDaSP_SQ_EUlSP_E0_NS1_11comp_targetILNS1_3genE3ELNS1_11target_archE908ELNS1_3gpuE7ELNS1_3repE0EEENS1_30default_config_static_selectorELNS0_4arch9wavefront6targetE1EEEvT1_,"axG",@progbits,_ZN7rocprim17ROCPRIM_400000_NS6detail17trampoline_kernelINS0_14default_configENS1_20scan_config_selectorItEEZZNS1_9scan_implILNS1_25lookback_scan_determinismE0ELb0ELb0ES3_N6thrust23THRUST_200600_302600_NS6detail15normal_iteratorINS9_10device_ptrItEEEESE_tNS9_4plusIvEEtEEDaPvRmT3_T4_T5_mT6_P12ihipStream_tbENKUlT_T0_E_clISt17integral_constantIbLb1EEST_IbLb0EEEEDaSP_SQ_EUlSP_E0_NS1_11comp_targetILNS1_3genE3ELNS1_11target_archE908ELNS1_3gpuE7ELNS1_3repE0EEENS1_30default_config_static_selectorELNS0_4arch9wavefront6targetE1EEEvT1_,comdat
	.protected	_ZN7rocprim17ROCPRIM_400000_NS6detail17trampoline_kernelINS0_14default_configENS1_20scan_config_selectorItEEZZNS1_9scan_implILNS1_25lookback_scan_determinismE0ELb0ELb0ES3_N6thrust23THRUST_200600_302600_NS6detail15normal_iteratorINS9_10device_ptrItEEEESE_tNS9_4plusIvEEtEEDaPvRmT3_T4_T5_mT6_P12ihipStream_tbENKUlT_T0_E_clISt17integral_constantIbLb1EEST_IbLb0EEEEDaSP_SQ_EUlSP_E0_NS1_11comp_targetILNS1_3genE3ELNS1_11target_archE908ELNS1_3gpuE7ELNS1_3repE0EEENS1_30default_config_static_selectorELNS0_4arch9wavefront6targetE1EEEvT1_ ; -- Begin function _ZN7rocprim17ROCPRIM_400000_NS6detail17trampoline_kernelINS0_14default_configENS1_20scan_config_selectorItEEZZNS1_9scan_implILNS1_25lookback_scan_determinismE0ELb0ELb0ES3_N6thrust23THRUST_200600_302600_NS6detail15normal_iteratorINS9_10device_ptrItEEEESE_tNS9_4plusIvEEtEEDaPvRmT3_T4_T5_mT6_P12ihipStream_tbENKUlT_T0_E_clISt17integral_constantIbLb1EEST_IbLb0EEEEDaSP_SQ_EUlSP_E0_NS1_11comp_targetILNS1_3genE3ELNS1_11target_archE908ELNS1_3gpuE7ELNS1_3repE0EEENS1_30default_config_static_selectorELNS0_4arch9wavefront6targetE1EEEvT1_
	.globl	_ZN7rocprim17ROCPRIM_400000_NS6detail17trampoline_kernelINS0_14default_configENS1_20scan_config_selectorItEEZZNS1_9scan_implILNS1_25lookback_scan_determinismE0ELb0ELb0ES3_N6thrust23THRUST_200600_302600_NS6detail15normal_iteratorINS9_10device_ptrItEEEESE_tNS9_4plusIvEEtEEDaPvRmT3_T4_T5_mT6_P12ihipStream_tbENKUlT_T0_E_clISt17integral_constantIbLb1EEST_IbLb0EEEEDaSP_SQ_EUlSP_E0_NS1_11comp_targetILNS1_3genE3ELNS1_11target_archE908ELNS1_3gpuE7ELNS1_3repE0EEENS1_30default_config_static_selectorELNS0_4arch9wavefront6targetE1EEEvT1_
	.p2align	8
	.type	_ZN7rocprim17ROCPRIM_400000_NS6detail17trampoline_kernelINS0_14default_configENS1_20scan_config_selectorItEEZZNS1_9scan_implILNS1_25lookback_scan_determinismE0ELb0ELb0ES3_N6thrust23THRUST_200600_302600_NS6detail15normal_iteratorINS9_10device_ptrItEEEESE_tNS9_4plusIvEEtEEDaPvRmT3_T4_T5_mT6_P12ihipStream_tbENKUlT_T0_E_clISt17integral_constantIbLb1EEST_IbLb0EEEEDaSP_SQ_EUlSP_E0_NS1_11comp_targetILNS1_3genE3ELNS1_11target_archE908ELNS1_3gpuE7ELNS1_3repE0EEENS1_30default_config_static_selectorELNS0_4arch9wavefront6targetE1EEEvT1_,@function
_ZN7rocprim17ROCPRIM_400000_NS6detail17trampoline_kernelINS0_14default_configENS1_20scan_config_selectorItEEZZNS1_9scan_implILNS1_25lookback_scan_determinismE0ELb0ELb0ES3_N6thrust23THRUST_200600_302600_NS6detail15normal_iteratorINS9_10device_ptrItEEEESE_tNS9_4plusIvEEtEEDaPvRmT3_T4_T5_mT6_P12ihipStream_tbENKUlT_T0_E_clISt17integral_constantIbLb1EEST_IbLb0EEEEDaSP_SQ_EUlSP_E0_NS1_11comp_targetILNS1_3genE3ELNS1_11target_archE908ELNS1_3gpuE7ELNS1_3repE0EEENS1_30default_config_static_selectorELNS0_4arch9wavefront6targetE1EEEvT1_: ; @_ZN7rocprim17ROCPRIM_400000_NS6detail17trampoline_kernelINS0_14default_configENS1_20scan_config_selectorItEEZZNS1_9scan_implILNS1_25lookback_scan_determinismE0ELb0ELb0ES3_N6thrust23THRUST_200600_302600_NS6detail15normal_iteratorINS9_10device_ptrItEEEESE_tNS9_4plusIvEEtEEDaPvRmT3_T4_T5_mT6_P12ihipStream_tbENKUlT_T0_E_clISt17integral_constantIbLb1EEST_IbLb0EEEEDaSP_SQ_EUlSP_E0_NS1_11comp_targetILNS1_3genE3ELNS1_11target_archE908ELNS1_3gpuE7ELNS1_3repE0EEENS1_30default_config_static_selectorELNS0_4arch9wavefront6targetE1EEEvT1_
; %bb.0:
	.section	.rodata,"a",@progbits
	.p2align	6, 0x0
	.amdhsa_kernel _ZN7rocprim17ROCPRIM_400000_NS6detail17trampoline_kernelINS0_14default_configENS1_20scan_config_selectorItEEZZNS1_9scan_implILNS1_25lookback_scan_determinismE0ELb0ELb0ES3_N6thrust23THRUST_200600_302600_NS6detail15normal_iteratorINS9_10device_ptrItEEEESE_tNS9_4plusIvEEtEEDaPvRmT3_T4_T5_mT6_P12ihipStream_tbENKUlT_T0_E_clISt17integral_constantIbLb1EEST_IbLb0EEEEDaSP_SQ_EUlSP_E0_NS1_11comp_targetILNS1_3genE3ELNS1_11target_archE908ELNS1_3gpuE7ELNS1_3repE0EEENS1_30default_config_static_selectorELNS0_4arch9wavefront6targetE1EEEvT1_
		.amdhsa_group_segment_fixed_size 0
		.amdhsa_private_segment_fixed_size 0
		.amdhsa_kernarg_size 32
		.amdhsa_user_sgpr_count 6
		.amdhsa_user_sgpr_private_segment_buffer 1
		.amdhsa_user_sgpr_dispatch_ptr 0
		.amdhsa_user_sgpr_queue_ptr 0
		.amdhsa_user_sgpr_kernarg_segment_ptr 1
		.amdhsa_user_sgpr_dispatch_id 0
		.amdhsa_user_sgpr_flat_scratch_init 0
		.amdhsa_user_sgpr_kernarg_preload_length 0
		.amdhsa_user_sgpr_kernarg_preload_offset 0
		.amdhsa_user_sgpr_private_segment_size 0
		.amdhsa_uses_dynamic_stack 0
		.amdhsa_system_sgpr_private_segment_wavefront_offset 0
		.amdhsa_system_sgpr_workgroup_id_x 1
		.amdhsa_system_sgpr_workgroup_id_y 0
		.amdhsa_system_sgpr_workgroup_id_z 0
		.amdhsa_system_sgpr_workgroup_info 0
		.amdhsa_system_vgpr_workitem_id 0
		.amdhsa_next_free_vgpr 1
		.amdhsa_next_free_sgpr 0
		.amdhsa_accum_offset 4
		.amdhsa_reserve_vcc 0
		.amdhsa_reserve_flat_scratch 0
		.amdhsa_float_round_mode_32 0
		.amdhsa_float_round_mode_16_64 0
		.amdhsa_float_denorm_mode_32 3
		.amdhsa_float_denorm_mode_16_64 3
		.amdhsa_dx10_clamp 1
		.amdhsa_ieee_mode 1
		.amdhsa_fp16_overflow 0
		.amdhsa_tg_split 0
		.amdhsa_exception_fp_ieee_invalid_op 0
		.amdhsa_exception_fp_denorm_src 0
		.amdhsa_exception_fp_ieee_div_zero 0
		.amdhsa_exception_fp_ieee_overflow 0
		.amdhsa_exception_fp_ieee_underflow 0
		.amdhsa_exception_fp_ieee_inexact 0
		.amdhsa_exception_int_div_zero 0
	.end_amdhsa_kernel
	.section	.text._ZN7rocprim17ROCPRIM_400000_NS6detail17trampoline_kernelINS0_14default_configENS1_20scan_config_selectorItEEZZNS1_9scan_implILNS1_25lookback_scan_determinismE0ELb0ELb0ES3_N6thrust23THRUST_200600_302600_NS6detail15normal_iteratorINS9_10device_ptrItEEEESE_tNS9_4plusIvEEtEEDaPvRmT3_T4_T5_mT6_P12ihipStream_tbENKUlT_T0_E_clISt17integral_constantIbLb1EEST_IbLb0EEEEDaSP_SQ_EUlSP_E0_NS1_11comp_targetILNS1_3genE3ELNS1_11target_archE908ELNS1_3gpuE7ELNS1_3repE0EEENS1_30default_config_static_selectorELNS0_4arch9wavefront6targetE1EEEvT1_,"axG",@progbits,_ZN7rocprim17ROCPRIM_400000_NS6detail17trampoline_kernelINS0_14default_configENS1_20scan_config_selectorItEEZZNS1_9scan_implILNS1_25lookback_scan_determinismE0ELb0ELb0ES3_N6thrust23THRUST_200600_302600_NS6detail15normal_iteratorINS9_10device_ptrItEEEESE_tNS9_4plusIvEEtEEDaPvRmT3_T4_T5_mT6_P12ihipStream_tbENKUlT_T0_E_clISt17integral_constantIbLb1EEST_IbLb0EEEEDaSP_SQ_EUlSP_E0_NS1_11comp_targetILNS1_3genE3ELNS1_11target_archE908ELNS1_3gpuE7ELNS1_3repE0EEENS1_30default_config_static_selectorELNS0_4arch9wavefront6targetE1EEEvT1_,comdat
.Lfunc_end4766:
	.size	_ZN7rocprim17ROCPRIM_400000_NS6detail17trampoline_kernelINS0_14default_configENS1_20scan_config_selectorItEEZZNS1_9scan_implILNS1_25lookback_scan_determinismE0ELb0ELb0ES3_N6thrust23THRUST_200600_302600_NS6detail15normal_iteratorINS9_10device_ptrItEEEESE_tNS9_4plusIvEEtEEDaPvRmT3_T4_T5_mT6_P12ihipStream_tbENKUlT_T0_E_clISt17integral_constantIbLb1EEST_IbLb0EEEEDaSP_SQ_EUlSP_E0_NS1_11comp_targetILNS1_3genE3ELNS1_11target_archE908ELNS1_3gpuE7ELNS1_3repE0EEENS1_30default_config_static_selectorELNS0_4arch9wavefront6targetE1EEEvT1_, .Lfunc_end4766-_ZN7rocprim17ROCPRIM_400000_NS6detail17trampoline_kernelINS0_14default_configENS1_20scan_config_selectorItEEZZNS1_9scan_implILNS1_25lookback_scan_determinismE0ELb0ELb0ES3_N6thrust23THRUST_200600_302600_NS6detail15normal_iteratorINS9_10device_ptrItEEEESE_tNS9_4plusIvEEtEEDaPvRmT3_T4_T5_mT6_P12ihipStream_tbENKUlT_T0_E_clISt17integral_constantIbLb1EEST_IbLb0EEEEDaSP_SQ_EUlSP_E0_NS1_11comp_targetILNS1_3genE3ELNS1_11target_archE908ELNS1_3gpuE7ELNS1_3repE0EEENS1_30default_config_static_selectorELNS0_4arch9wavefront6targetE1EEEvT1_
                                        ; -- End function
	.section	.AMDGPU.csdata,"",@progbits
; Kernel info:
; codeLenInByte = 0
; NumSgprs: 4
; NumVgprs: 0
; NumAgprs: 0
; TotalNumVgprs: 0
; ScratchSize: 0
; MemoryBound: 0
; FloatMode: 240
; IeeeMode: 1
; LDSByteSize: 0 bytes/workgroup (compile time only)
; SGPRBlocks: 0
; VGPRBlocks: 0
; NumSGPRsForWavesPerEU: 4
; NumVGPRsForWavesPerEU: 1
; AccumOffset: 4
; Occupancy: 8
; WaveLimiterHint : 0
; COMPUTE_PGM_RSRC2:SCRATCH_EN: 0
; COMPUTE_PGM_RSRC2:USER_SGPR: 6
; COMPUTE_PGM_RSRC2:TRAP_HANDLER: 0
; COMPUTE_PGM_RSRC2:TGID_X_EN: 1
; COMPUTE_PGM_RSRC2:TGID_Y_EN: 0
; COMPUTE_PGM_RSRC2:TGID_Z_EN: 0
; COMPUTE_PGM_RSRC2:TIDIG_COMP_CNT: 0
; COMPUTE_PGM_RSRC3_GFX90A:ACCUM_OFFSET: 0
; COMPUTE_PGM_RSRC3_GFX90A:TG_SPLIT: 0
	.section	.text._ZN7rocprim17ROCPRIM_400000_NS6detail17trampoline_kernelINS0_14default_configENS1_20scan_config_selectorItEEZZNS1_9scan_implILNS1_25lookback_scan_determinismE0ELb0ELb0ES3_N6thrust23THRUST_200600_302600_NS6detail15normal_iteratorINS9_10device_ptrItEEEESE_tNS9_4plusIvEEtEEDaPvRmT3_T4_T5_mT6_P12ihipStream_tbENKUlT_T0_E_clISt17integral_constantIbLb1EEST_IbLb0EEEEDaSP_SQ_EUlSP_E0_NS1_11comp_targetILNS1_3genE2ELNS1_11target_archE906ELNS1_3gpuE6ELNS1_3repE0EEENS1_30default_config_static_selectorELNS0_4arch9wavefront6targetE1EEEvT1_,"axG",@progbits,_ZN7rocprim17ROCPRIM_400000_NS6detail17trampoline_kernelINS0_14default_configENS1_20scan_config_selectorItEEZZNS1_9scan_implILNS1_25lookback_scan_determinismE0ELb0ELb0ES3_N6thrust23THRUST_200600_302600_NS6detail15normal_iteratorINS9_10device_ptrItEEEESE_tNS9_4plusIvEEtEEDaPvRmT3_T4_T5_mT6_P12ihipStream_tbENKUlT_T0_E_clISt17integral_constantIbLb1EEST_IbLb0EEEEDaSP_SQ_EUlSP_E0_NS1_11comp_targetILNS1_3genE2ELNS1_11target_archE906ELNS1_3gpuE6ELNS1_3repE0EEENS1_30default_config_static_selectorELNS0_4arch9wavefront6targetE1EEEvT1_,comdat
	.protected	_ZN7rocprim17ROCPRIM_400000_NS6detail17trampoline_kernelINS0_14default_configENS1_20scan_config_selectorItEEZZNS1_9scan_implILNS1_25lookback_scan_determinismE0ELb0ELb0ES3_N6thrust23THRUST_200600_302600_NS6detail15normal_iteratorINS9_10device_ptrItEEEESE_tNS9_4plusIvEEtEEDaPvRmT3_T4_T5_mT6_P12ihipStream_tbENKUlT_T0_E_clISt17integral_constantIbLb1EEST_IbLb0EEEEDaSP_SQ_EUlSP_E0_NS1_11comp_targetILNS1_3genE2ELNS1_11target_archE906ELNS1_3gpuE6ELNS1_3repE0EEENS1_30default_config_static_selectorELNS0_4arch9wavefront6targetE1EEEvT1_ ; -- Begin function _ZN7rocprim17ROCPRIM_400000_NS6detail17trampoline_kernelINS0_14default_configENS1_20scan_config_selectorItEEZZNS1_9scan_implILNS1_25lookback_scan_determinismE0ELb0ELb0ES3_N6thrust23THRUST_200600_302600_NS6detail15normal_iteratorINS9_10device_ptrItEEEESE_tNS9_4plusIvEEtEEDaPvRmT3_T4_T5_mT6_P12ihipStream_tbENKUlT_T0_E_clISt17integral_constantIbLb1EEST_IbLb0EEEEDaSP_SQ_EUlSP_E0_NS1_11comp_targetILNS1_3genE2ELNS1_11target_archE906ELNS1_3gpuE6ELNS1_3repE0EEENS1_30default_config_static_selectorELNS0_4arch9wavefront6targetE1EEEvT1_
	.globl	_ZN7rocprim17ROCPRIM_400000_NS6detail17trampoline_kernelINS0_14default_configENS1_20scan_config_selectorItEEZZNS1_9scan_implILNS1_25lookback_scan_determinismE0ELb0ELb0ES3_N6thrust23THRUST_200600_302600_NS6detail15normal_iteratorINS9_10device_ptrItEEEESE_tNS9_4plusIvEEtEEDaPvRmT3_T4_T5_mT6_P12ihipStream_tbENKUlT_T0_E_clISt17integral_constantIbLb1EEST_IbLb0EEEEDaSP_SQ_EUlSP_E0_NS1_11comp_targetILNS1_3genE2ELNS1_11target_archE906ELNS1_3gpuE6ELNS1_3repE0EEENS1_30default_config_static_selectorELNS0_4arch9wavefront6targetE1EEEvT1_
	.p2align	8
	.type	_ZN7rocprim17ROCPRIM_400000_NS6detail17trampoline_kernelINS0_14default_configENS1_20scan_config_selectorItEEZZNS1_9scan_implILNS1_25lookback_scan_determinismE0ELb0ELb0ES3_N6thrust23THRUST_200600_302600_NS6detail15normal_iteratorINS9_10device_ptrItEEEESE_tNS9_4plusIvEEtEEDaPvRmT3_T4_T5_mT6_P12ihipStream_tbENKUlT_T0_E_clISt17integral_constantIbLb1EEST_IbLb0EEEEDaSP_SQ_EUlSP_E0_NS1_11comp_targetILNS1_3genE2ELNS1_11target_archE906ELNS1_3gpuE6ELNS1_3repE0EEENS1_30default_config_static_selectorELNS0_4arch9wavefront6targetE1EEEvT1_,@function
_ZN7rocprim17ROCPRIM_400000_NS6detail17trampoline_kernelINS0_14default_configENS1_20scan_config_selectorItEEZZNS1_9scan_implILNS1_25lookback_scan_determinismE0ELb0ELb0ES3_N6thrust23THRUST_200600_302600_NS6detail15normal_iteratorINS9_10device_ptrItEEEESE_tNS9_4plusIvEEtEEDaPvRmT3_T4_T5_mT6_P12ihipStream_tbENKUlT_T0_E_clISt17integral_constantIbLb1EEST_IbLb0EEEEDaSP_SQ_EUlSP_E0_NS1_11comp_targetILNS1_3genE2ELNS1_11target_archE906ELNS1_3gpuE6ELNS1_3repE0EEENS1_30default_config_static_selectorELNS0_4arch9wavefront6targetE1EEEvT1_: ; @_ZN7rocprim17ROCPRIM_400000_NS6detail17trampoline_kernelINS0_14default_configENS1_20scan_config_selectorItEEZZNS1_9scan_implILNS1_25lookback_scan_determinismE0ELb0ELb0ES3_N6thrust23THRUST_200600_302600_NS6detail15normal_iteratorINS9_10device_ptrItEEEESE_tNS9_4plusIvEEtEEDaPvRmT3_T4_T5_mT6_P12ihipStream_tbENKUlT_T0_E_clISt17integral_constantIbLb1EEST_IbLb0EEEEDaSP_SQ_EUlSP_E0_NS1_11comp_targetILNS1_3genE2ELNS1_11target_archE906ELNS1_3gpuE6ELNS1_3repE0EEENS1_30default_config_static_selectorELNS0_4arch9wavefront6targetE1EEEvT1_
; %bb.0:
	.section	.rodata,"a",@progbits
	.p2align	6, 0x0
	.amdhsa_kernel _ZN7rocprim17ROCPRIM_400000_NS6detail17trampoline_kernelINS0_14default_configENS1_20scan_config_selectorItEEZZNS1_9scan_implILNS1_25lookback_scan_determinismE0ELb0ELb0ES3_N6thrust23THRUST_200600_302600_NS6detail15normal_iteratorINS9_10device_ptrItEEEESE_tNS9_4plusIvEEtEEDaPvRmT3_T4_T5_mT6_P12ihipStream_tbENKUlT_T0_E_clISt17integral_constantIbLb1EEST_IbLb0EEEEDaSP_SQ_EUlSP_E0_NS1_11comp_targetILNS1_3genE2ELNS1_11target_archE906ELNS1_3gpuE6ELNS1_3repE0EEENS1_30default_config_static_selectorELNS0_4arch9wavefront6targetE1EEEvT1_
		.amdhsa_group_segment_fixed_size 0
		.amdhsa_private_segment_fixed_size 0
		.amdhsa_kernarg_size 32
		.amdhsa_user_sgpr_count 6
		.amdhsa_user_sgpr_private_segment_buffer 1
		.amdhsa_user_sgpr_dispatch_ptr 0
		.amdhsa_user_sgpr_queue_ptr 0
		.amdhsa_user_sgpr_kernarg_segment_ptr 1
		.amdhsa_user_sgpr_dispatch_id 0
		.amdhsa_user_sgpr_flat_scratch_init 0
		.amdhsa_user_sgpr_kernarg_preload_length 0
		.amdhsa_user_sgpr_kernarg_preload_offset 0
		.amdhsa_user_sgpr_private_segment_size 0
		.amdhsa_uses_dynamic_stack 0
		.amdhsa_system_sgpr_private_segment_wavefront_offset 0
		.amdhsa_system_sgpr_workgroup_id_x 1
		.amdhsa_system_sgpr_workgroup_id_y 0
		.amdhsa_system_sgpr_workgroup_id_z 0
		.amdhsa_system_sgpr_workgroup_info 0
		.amdhsa_system_vgpr_workitem_id 0
		.amdhsa_next_free_vgpr 1
		.amdhsa_next_free_sgpr 0
		.amdhsa_accum_offset 4
		.amdhsa_reserve_vcc 0
		.amdhsa_reserve_flat_scratch 0
		.amdhsa_float_round_mode_32 0
		.amdhsa_float_round_mode_16_64 0
		.amdhsa_float_denorm_mode_32 3
		.amdhsa_float_denorm_mode_16_64 3
		.amdhsa_dx10_clamp 1
		.amdhsa_ieee_mode 1
		.amdhsa_fp16_overflow 0
		.amdhsa_tg_split 0
		.amdhsa_exception_fp_ieee_invalid_op 0
		.amdhsa_exception_fp_denorm_src 0
		.amdhsa_exception_fp_ieee_div_zero 0
		.amdhsa_exception_fp_ieee_overflow 0
		.amdhsa_exception_fp_ieee_underflow 0
		.amdhsa_exception_fp_ieee_inexact 0
		.amdhsa_exception_int_div_zero 0
	.end_amdhsa_kernel
	.section	.text._ZN7rocprim17ROCPRIM_400000_NS6detail17trampoline_kernelINS0_14default_configENS1_20scan_config_selectorItEEZZNS1_9scan_implILNS1_25lookback_scan_determinismE0ELb0ELb0ES3_N6thrust23THRUST_200600_302600_NS6detail15normal_iteratorINS9_10device_ptrItEEEESE_tNS9_4plusIvEEtEEDaPvRmT3_T4_T5_mT6_P12ihipStream_tbENKUlT_T0_E_clISt17integral_constantIbLb1EEST_IbLb0EEEEDaSP_SQ_EUlSP_E0_NS1_11comp_targetILNS1_3genE2ELNS1_11target_archE906ELNS1_3gpuE6ELNS1_3repE0EEENS1_30default_config_static_selectorELNS0_4arch9wavefront6targetE1EEEvT1_,"axG",@progbits,_ZN7rocprim17ROCPRIM_400000_NS6detail17trampoline_kernelINS0_14default_configENS1_20scan_config_selectorItEEZZNS1_9scan_implILNS1_25lookback_scan_determinismE0ELb0ELb0ES3_N6thrust23THRUST_200600_302600_NS6detail15normal_iteratorINS9_10device_ptrItEEEESE_tNS9_4plusIvEEtEEDaPvRmT3_T4_T5_mT6_P12ihipStream_tbENKUlT_T0_E_clISt17integral_constantIbLb1EEST_IbLb0EEEEDaSP_SQ_EUlSP_E0_NS1_11comp_targetILNS1_3genE2ELNS1_11target_archE906ELNS1_3gpuE6ELNS1_3repE0EEENS1_30default_config_static_selectorELNS0_4arch9wavefront6targetE1EEEvT1_,comdat
.Lfunc_end4767:
	.size	_ZN7rocprim17ROCPRIM_400000_NS6detail17trampoline_kernelINS0_14default_configENS1_20scan_config_selectorItEEZZNS1_9scan_implILNS1_25lookback_scan_determinismE0ELb0ELb0ES3_N6thrust23THRUST_200600_302600_NS6detail15normal_iteratorINS9_10device_ptrItEEEESE_tNS9_4plusIvEEtEEDaPvRmT3_T4_T5_mT6_P12ihipStream_tbENKUlT_T0_E_clISt17integral_constantIbLb1EEST_IbLb0EEEEDaSP_SQ_EUlSP_E0_NS1_11comp_targetILNS1_3genE2ELNS1_11target_archE906ELNS1_3gpuE6ELNS1_3repE0EEENS1_30default_config_static_selectorELNS0_4arch9wavefront6targetE1EEEvT1_, .Lfunc_end4767-_ZN7rocprim17ROCPRIM_400000_NS6detail17trampoline_kernelINS0_14default_configENS1_20scan_config_selectorItEEZZNS1_9scan_implILNS1_25lookback_scan_determinismE0ELb0ELb0ES3_N6thrust23THRUST_200600_302600_NS6detail15normal_iteratorINS9_10device_ptrItEEEESE_tNS9_4plusIvEEtEEDaPvRmT3_T4_T5_mT6_P12ihipStream_tbENKUlT_T0_E_clISt17integral_constantIbLb1EEST_IbLb0EEEEDaSP_SQ_EUlSP_E0_NS1_11comp_targetILNS1_3genE2ELNS1_11target_archE906ELNS1_3gpuE6ELNS1_3repE0EEENS1_30default_config_static_selectorELNS0_4arch9wavefront6targetE1EEEvT1_
                                        ; -- End function
	.section	.AMDGPU.csdata,"",@progbits
; Kernel info:
; codeLenInByte = 0
; NumSgprs: 4
; NumVgprs: 0
; NumAgprs: 0
; TotalNumVgprs: 0
; ScratchSize: 0
; MemoryBound: 0
; FloatMode: 240
; IeeeMode: 1
; LDSByteSize: 0 bytes/workgroup (compile time only)
; SGPRBlocks: 0
; VGPRBlocks: 0
; NumSGPRsForWavesPerEU: 4
; NumVGPRsForWavesPerEU: 1
; AccumOffset: 4
; Occupancy: 8
; WaveLimiterHint : 0
; COMPUTE_PGM_RSRC2:SCRATCH_EN: 0
; COMPUTE_PGM_RSRC2:USER_SGPR: 6
; COMPUTE_PGM_RSRC2:TRAP_HANDLER: 0
; COMPUTE_PGM_RSRC2:TGID_X_EN: 1
; COMPUTE_PGM_RSRC2:TGID_Y_EN: 0
; COMPUTE_PGM_RSRC2:TGID_Z_EN: 0
; COMPUTE_PGM_RSRC2:TIDIG_COMP_CNT: 0
; COMPUTE_PGM_RSRC3_GFX90A:ACCUM_OFFSET: 0
; COMPUTE_PGM_RSRC3_GFX90A:TG_SPLIT: 0
	.section	.text._ZN7rocprim17ROCPRIM_400000_NS6detail17trampoline_kernelINS0_14default_configENS1_20scan_config_selectorItEEZZNS1_9scan_implILNS1_25lookback_scan_determinismE0ELb0ELb0ES3_N6thrust23THRUST_200600_302600_NS6detail15normal_iteratorINS9_10device_ptrItEEEESE_tNS9_4plusIvEEtEEDaPvRmT3_T4_T5_mT6_P12ihipStream_tbENKUlT_T0_E_clISt17integral_constantIbLb1EEST_IbLb0EEEEDaSP_SQ_EUlSP_E0_NS1_11comp_targetILNS1_3genE10ELNS1_11target_archE1201ELNS1_3gpuE5ELNS1_3repE0EEENS1_30default_config_static_selectorELNS0_4arch9wavefront6targetE1EEEvT1_,"axG",@progbits,_ZN7rocprim17ROCPRIM_400000_NS6detail17trampoline_kernelINS0_14default_configENS1_20scan_config_selectorItEEZZNS1_9scan_implILNS1_25lookback_scan_determinismE0ELb0ELb0ES3_N6thrust23THRUST_200600_302600_NS6detail15normal_iteratorINS9_10device_ptrItEEEESE_tNS9_4plusIvEEtEEDaPvRmT3_T4_T5_mT6_P12ihipStream_tbENKUlT_T0_E_clISt17integral_constantIbLb1EEST_IbLb0EEEEDaSP_SQ_EUlSP_E0_NS1_11comp_targetILNS1_3genE10ELNS1_11target_archE1201ELNS1_3gpuE5ELNS1_3repE0EEENS1_30default_config_static_selectorELNS0_4arch9wavefront6targetE1EEEvT1_,comdat
	.protected	_ZN7rocprim17ROCPRIM_400000_NS6detail17trampoline_kernelINS0_14default_configENS1_20scan_config_selectorItEEZZNS1_9scan_implILNS1_25lookback_scan_determinismE0ELb0ELb0ES3_N6thrust23THRUST_200600_302600_NS6detail15normal_iteratorINS9_10device_ptrItEEEESE_tNS9_4plusIvEEtEEDaPvRmT3_T4_T5_mT6_P12ihipStream_tbENKUlT_T0_E_clISt17integral_constantIbLb1EEST_IbLb0EEEEDaSP_SQ_EUlSP_E0_NS1_11comp_targetILNS1_3genE10ELNS1_11target_archE1201ELNS1_3gpuE5ELNS1_3repE0EEENS1_30default_config_static_selectorELNS0_4arch9wavefront6targetE1EEEvT1_ ; -- Begin function _ZN7rocprim17ROCPRIM_400000_NS6detail17trampoline_kernelINS0_14default_configENS1_20scan_config_selectorItEEZZNS1_9scan_implILNS1_25lookback_scan_determinismE0ELb0ELb0ES3_N6thrust23THRUST_200600_302600_NS6detail15normal_iteratorINS9_10device_ptrItEEEESE_tNS9_4plusIvEEtEEDaPvRmT3_T4_T5_mT6_P12ihipStream_tbENKUlT_T0_E_clISt17integral_constantIbLb1EEST_IbLb0EEEEDaSP_SQ_EUlSP_E0_NS1_11comp_targetILNS1_3genE10ELNS1_11target_archE1201ELNS1_3gpuE5ELNS1_3repE0EEENS1_30default_config_static_selectorELNS0_4arch9wavefront6targetE1EEEvT1_
	.globl	_ZN7rocprim17ROCPRIM_400000_NS6detail17trampoline_kernelINS0_14default_configENS1_20scan_config_selectorItEEZZNS1_9scan_implILNS1_25lookback_scan_determinismE0ELb0ELb0ES3_N6thrust23THRUST_200600_302600_NS6detail15normal_iteratorINS9_10device_ptrItEEEESE_tNS9_4plusIvEEtEEDaPvRmT3_T4_T5_mT6_P12ihipStream_tbENKUlT_T0_E_clISt17integral_constantIbLb1EEST_IbLb0EEEEDaSP_SQ_EUlSP_E0_NS1_11comp_targetILNS1_3genE10ELNS1_11target_archE1201ELNS1_3gpuE5ELNS1_3repE0EEENS1_30default_config_static_selectorELNS0_4arch9wavefront6targetE1EEEvT1_
	.p2align	8
	.type	_ZN7rocprim17ROCPRIM_400000_NS6detail17trampoline_kernelINS0_14default_configENS1_20scan_config_selectorItEEZZNS1_9scan_implILNS1_25lookback_scan_determinismE0ELb0ELb0ES3_N6thrust23THRUST_200600_302600_NS6detail15normal_iteratorINS9_10device_ptrItEEEESE_tNS9_4plusIvEEtEEDaPvRmT3_T4_T5_mT6_P12ihipStream_tbENKUlT_T0_E_clISt17integral_constantIbLb1EEST_IbLb0EEEEDaSP_SQ_EUlSP_E0_NS1_11comp_targetILNS1_3genE10ELNS1_11target_archE1201ELNS1_3gpuE5ELNS1_3repE0EEENS1_30default_config_static_selectorELNS0_4arch9wavefront6targetE1EEEvT1_,@function
_ZN7rocprim17ROCPRIM_400000_NS6detail17trampoline_kernelINS0_14default_configENS1_20scan_config_selectorItEEZZNS1_9scan_implILNS1_25lookback_scan_determinismE0ELb0ELb0ES3_N6thrust23THRUST_200600_302600_NS6detail15normal_iteratorINS9_10device_ptrItEEEESE_tNS9_4plusIvEEtEEDaPvRmT3_T4_T5_mT6_P12ihipStream_tbENKUlT_T0_E_clISt17integral_constantIbLb1EEST_IbLb0EEEEDaSP_SQ_EUlSP_E0_NS1_11comp_targetILNS1_3genE10ELNS1_11target_archE1201ELNS1_3gpuE5ELNS1_3repE0EEENS1_30default_config_static_selectorELNS0_4arch9wavefront6targetE1EEEvT1_: ; @_ZN7rocprim17ROCPRIM_400000_NS6detail17trampoline_kernelINS0_14default_configENS1_20scan_config_selectorItEEZZNS1_9scan_implILNS1_25lookback_scan_determinismE0ELb0ELb0ES3_N6thrust23THRUST_200600_302600_NS6detail15normal_iteratorINS9_10device_ptrItEEEESE_tNS9_4plusIvEEtEEDaPvRmT3_T4_T5_mT6_P12ihipStream_tbENKUlT_T0_E_clISt17integral_constantIbLb1EEST_IbLb0EEEEDaSP_SQ_EUlSP_E0_NS1_11comp_targetILNS1_3genE10ELNS1_11target_archE1201ELNS1_3gpuE5ELNS1_3repE0EEENS1_30default_config_static_selectorELNS0_4arch9wavefront6targetE1EEEvT1_
; %bb.0:
	.section	.rodata,"a",@progbits
	.p2align	6, 0x0
	.amdhsa_kernel _ZN7rocprim17ROCPRIM_400000_NS6detail17trampoline_kernelINS0_14default_configENS1_20scan_config_selectorItEEZZNS1_9scan_implILNS1_25lookback_scan_determinismE0ELb0ELb0ES3_N6thrust23THRUST_200600_302600_NS6detail15normal_iteratorINS9_10device_ptrItEEEESE_tNS9_4plusIvEEtEEDaPvRmT3_T4_T5_mT6_P12ihipStream_tbENKUlT_T0_E_clISt17integral_constantIbLb1EEST_IbLb0EEEEDaSP_SQ_EUlSP_E0_NS1_11comp_targetILNS1_3genE10ELNS1_11target_archE1201ELNS1_3gpuE5ELNS1_3repE0EEENS1_30default_config_static_selectorELNS0_4arch9wavefront6targetE1EEEvT1_
		.amdhsa_group_segment_fixed_size 0
		.amdhsa_private_segment_fixed_size 0
		.amdhsa_kernarg_size 32
		.amdhsa_user_sgpr_count 6
		.amdhsa_user_sgpr_private_segment_buffer 1
		.amdhsa_user_sgpr_dispatch_ptr 0
		.amdhsa_user_sgpr_queue_ptr 0
		.amdhsa_user_sgpr_kernarg_segment_ptr 1
		.amdhsa_user_sgpr_dispatch_id 0
		.amdhsa_user_sgpr_flat_scratch_init 0
		.amdhsa_user_sgpr_kernarg_preload_length 0
		.amdhsa_user_sgpr_kernarg_preload_offset 0
		.amdhsa_user_sgpr_private_segment_size 0
		.amdhsa_uses_dynamic_stack 0
		.amdhsa_system_sgpr_private_segment_wavefront_offset 0
		.amdhsa_system_sgpr_workgroup_id_x 1
		.amdhsa_system_sgpr_workgroup_id_y 0
		.amdhsa_system_sgpr_workgroup_id_z 0
		.amdhsa_system_sgpr_workgroup_info 0
		.amdhsa_system_vgpr_workitem_id 0
		.amdhsa_next_free_vgpr 1
		.amdhsa_next_free_sgpr 0
		.amdhsa_accum_offset 4
		.amdhsa_reserve_vcc 0
		.amdhsa_reserve_flat_scratch 0
		.amdhsa_float_round_mode_32 0
		.amdhsa_float_round_mode_16_64 0
		.amdhsa_float_denorm_mode_32 3
		.amdhsa_float_denorm_mode_16_64 3
		.amdhsa_dx10_clamp 1
		.amdhsa_ieee_mode 1
		.amdhsa_fp16_overflow 0
		.amdhsa_tg_split 0
		.amdhsa_exception_fp_ieee_invalid_op 0
		.amdhsa_exception_fp_denorm_src 0
		.amdhsa_exception_fp_ieee_div_zero 0
		.amdhsa_exception_fp_ieee_overflow 0
		.amdhsa_exception_fp_ieee_underflow 0
		.amdhsa_exception_fp_ieee_inexact 0
		.amdhsa_exception_int_div_zero 0
	.end_amdhsa_kernel
	.section	.text._ZN7rocprim17ROCPRIM_400000_NS6detail17trampoline_kernelINS0_14default_configENS1_20scan_config_selectorItEEZZNS1_9scan_implILNS1_25lookback_scan_determinismE0ELb0ELb0ES3_N6thrust23THRUST_200600_302600_NS6detail15normal_iteratorINS9_10device_ptrItEEEESE_tNS9_4plusIvEEtEEDaPvRmT3_T4_T5_mT6_P12ihipStream_tbENKUlT_T0_E_clISt17integral_constantIbLb1EEST_IbLb0EEEEDaSP_SQ_EUlSP_E0_NS1_11comp_targetILNS1_3genE10ELNS1_11target_archE1201ELNS1_3gpuE5ELNS1_3repE0EEENS1_30default_config_static_selectorELNS0_4arch9wavefront6targetE1EEEvT1_,"axG",@progbits,_ZN7rocprim17ROCPRIM_400000_NS6detail17trampoline_kernelINS0_14default_configENS1_20scan_config_selectorItEEZZNS1_9scan_implILNS1_25lookback_scan_determinismE0ELb0ELb0ES3_N6thrust23THRUST_200600_302600_NS6detail15normal_iteratorINS9_10device_ptrItEEEESE_tNS9_4plusIvEEtEEDaPvRmT3_T4_T5_mT6_P12ihipStream_tbENKUlT_T0_E_clISt17integral_constantIbLb1EEST_IbLb0EEEEDaSP_SQ_EUlSP_E0_NS1_11comp_targetILNS1_3genE10ELNS1_11target_archE1201ELNS1_3gpuE5ELNS1_3repE0EEENS1_30default_config_static_selectorELNS0_4arch9wavefront6targetE1EEEvT1_,comdat
.Lfunc_end4768:
	.size	_ZN7rocprim17ROCPRIM_400000_NS6detail17trampoline_kernelINS0_14default_configENS1_20scan_config_selectorItEEZZNS1_9scan_implILNS1_25lookback_scan_determinismE0ELb0ELb0ES3_N6thrust23THRUST_200600_302600_NS6detail15normal_iteratorINS9_10device_ptrItEEEESE_tNS9_4plusIvEEtEEDaPvRmT3_T4_T5_mT6_P12ihipStream_tbENKUlT_T0_E_clISt17integral_constantIbLb1EEST_IbLb0EEEEDaSP_SQ_EUlSP_E0_NS1_11comp_targetILNS1_3genE10ELNS1_11target_archE1201ELNS1_3gpuE5ELNS1_3repE0EEENS1_30default_config_static_selectorELNS0_4arch9wavefront6targetE1EEEvT1_, .Lfunc_end4768-_ZN7rocprim17ROCPRIM_400000_NS6detail17trampoline_kernelINS0_14default_configENS1_20scan_config_selectorItEEZZNS1_9scan_implILNS1_25lookback_scan_determinismE0ELb0ELb0ES3_N6thrust23THRUST_200600_302600_NS6detail15normal_iteratorINS9_10device_ptrItEEEESE_tNS9_4plusIvEEtEEDaPvRmT3_T4_T5_mT6_P12ihipStream_tbENKUlT_T0_E_clISt17integral_constantIbLb1EEST_IbLb0EEEEDaSP_SQ_EUlSP_E0_NS1_11comp_targetILNS1_3genE10ELNS1_11target_archE1201ELNS1_3gpuE5ELNS1_3repE0EEENS1_30default_config_static_selectorELNS0_4arch9wavefront6targetE1EEEvT1_
                                        ; -- End function
	.section	.AMDGPU.csdata,"",@progbits
; Kernel info:
; codeLenInByte = 0
; NumSgprs: 4
; NumVgprs: 0
; NumAgprs: 0
; TotalNumVgprs: 0
; ScratchSize: 0
; MemoryBound: 0
; FloatMode: 240
; IeeeMode: 1
; LDSByteSize: 0 bytes/workgroup (compile time only)
; SGPRBlocks: 0
; VGPRBlocks: 0
; NumSGPRsForWavesPerEU: 4
; NumVGPRsForWavesPerEU: 1
; AccumOffset: 4
; Occupancy: 8
; WaveLimiterHint : 0
; COMPUTE_PGM_RSRC2:SCRATCH_EN: 0
; COMPUTE_PGM_RSRC2:USER_SGPR: 6
; COMPUTE_PGM_RSRC2:TRAP_HANDLER: 0
; COMPUTE_PGM_RSRC2:TGID_X_EN: 1
; COMPUTE_PGM_RSRC2:TGID_Y_EN: 0
; COMPUTE_PGM_RSRC2:TGID_Z_EN: 0
; COMPUTE_PGM_RSRC2:TIDIG_COMP_CNT: 0
; COMPUTE_PGM_RSRC3_GFX90A:ACCUM_OFFSET: 0
; COMPUTE_PGM_RSRC3_GFX90A:TG_SPLIT: 0
	.section	.text._ZN7rocprim17ROCPRIM_400000_NS6detail17trampoline_kernelINS0_14default_configENS1_20scan_config_selectorItEEZZNS1_9scan_implILNS1_25lookback_scan_determinismE0ELb0ELb0ES3_N6thrust23THRUST_200600_302600_NS6detail15normal_iteratorINS9_10device_ptrItEEEESE_tNS9_4plusIvEEtEEDaPvRmT3_T4_T5_mT6_P12ihipStream_tbENKUlT_T0_E_clISt17integral_constantIbLb1EEST_IbLb0EEEEDaSP_SQ_EUlSP_E0_NS1_11comp_targetILNS1_3genE10ELNS1_11target_archE1200ELNS1_3gpuE4ELNS1_3repE0EEENS1_30default_config_static_selectorELNS0_4arch9wavefront6targetE1EEEvT1_,"axG",@progbits,_ZN7rocprim17ROCPRIM_400000_NS6detail17trampoline_kernelINS0_14default_configENS1_20scan_config_selectorItEEZZNS1_9scan_implILNS1_25lookback_scan_determinismE0ELb0ELb0ES3_N6thrust23THRUST_200600_302600_NS6detail15normal_iteratorINS9_10device_ptrItEEEESE_tNS9_4plusIvEEtEEDaPvRmT3_T4_T5_mT6_P12ihipStream_tbENKUlT_T0_E_clISt17integral_constantIbLb1EEST_IbLb0EEEEDaSP_SQ_EUlSP_E0_NS1_11comp_targetILNS1_3genE10ELNS1_11target_archE1200ELNS1_3gpuE4ELNS1_3repE0EEENS1_30default_config_static_selectorELNS0_4arch9wavefront6targetE1EEEvT1_,comdat
	.protected	_ZN7rocprim17ROCPRIM_400000_NS6detail17trampoline_kernelINS0_14default_configENS1_20scan_config_selectorItEEZZNS1_9scan_implILNS1_25lookback_scan_determinismE0ELb0ELb0ES3_N6thrust23THRUST_200600_302600_NS6detail15normal_iteratorINS9_10device_ptrItEEEESE_tNS9_4plusIvEEtEEDaPvRmT3_T4_T5_mT6_P12ihipStream_tbENKUlT_T0_E_clISt17integral_constantIbLb1EEST_IbLb0EEEEDaSP_SQ_EUlSP_E0_NS1_11comp_targetILNS1_3genE10ELNS1_11target_archE1200ELNS1_3gpuE4ELNS1_3repE0EEENS1_30default_config_static_selectorELNS0_4arch9wavefront6targetE1EEEvT1_ ; -- Begin function _ZN7rocprim17ROCPRIM_400000_NS6detail17trampoline_kernelINS0_14default_configENS1_20scan_config_selectorItEEZZNS1_9scan_implILNS1_25lookback_scan_determinismE0ELb0ELb0ES3_N6thrust23THRUST_200600_302600_NS6detail15normal_iteratorINS9_10device_ptrItEEEESE_tNS9_4plusIvEEtEEDaPvRmT3_T4_T5_mT6_P12ihipStream_tbENKUlT_T0_E_clISt17integral_constantIbLb1EEST_IbLb0EEEEDaSP_SQ_EUlSP_E0_NS1_11comp_targetILNS1_3genE10ELNS1_11target_archE1200ELNS1_3gpuE4ELNS1_3repE0EEENS1_30default_config_static_selectorELNS0_4arch9wavefront6targetE1EEEvT1_
	.globl	_ZN7rocprim17ROCPRIM_400000_NS6detail17trampoline_kernelINS0_14default_configENS1_20scan_config_selectorItEEZZNS1_9scan_implILNS1_25lookback_scan_determinismE0ELb0ELb0ES3_N6thrust23THRUST_200600_302600_NS6detail15normal_iteratorINS9_10device_ptrItEEEESE_tNS9_4plusIvEEtEEDaPvRmT3_T4_T5_mT6_P12ihipStream_tbENKUlT_T0_E_clISt17integral_constantIbLb1EEST_IbLb0EEEEDaSP_SQ_EUlSP_E0_NS1_11comp_targetILNS1_3genE10ELNS1_11target_archE1200ELNS1_3gpuE4ELNS1_3repE0EEENS1_30default_config_static_selectorELNS0_4arch9wavefront6targetE1EEEvT1_
	.p2align	8
	.type	_ZN7rocprim17ROCPRIM_400000_NS6detail17trampoline_kernelINS0_14default_configENS1_20scan_config_selectorItEEZZNS1_9scan_implILNS1_25lookback_scan_determinismE0ELb0ELb0ES3_N6thrust23THRUST_200600_302600_NS6detail15normal_iteratorINS9_10device_ptrItEEEESE_tNS9_4plusIvEEtEEDaPvRmT3_T4_T5_mT6_P12ihipStream_tbENKUlT_T0_E_clISt17integral_constantIbLb1EEST_IbLb0EEEEDaSP_SQ_EUlSP_E0_NS1_11comp_targetILNS1_3genE10ELNS1_11target_archE1200ELNS1_3gpuE4ELNS1_3repE0EEENS1_30default_config_static_selectorELNS0_4arch9wavefront6targetE1EEEvT1_,@function
_ZN7rocprim17ROCPRIM_400000_NS6detail17trampoline_kernelINS0_14default_configENS1_20scan_config_selectorItEEZZNS1_9scan_implILNS1_25lookback_scan_determinismE0ELb0ELb0ES3_N6thrust23THRUST_200600_302600_NS6detail15normal_iteratorINS9_10device_ptrItEEEESE_tNS9_4plusIvEEtEEDaPvRmT3_T4_T5_mT6_P12ihipStream_tbENKUlT_T0_E_clISt17integral_constantIbLb1EEST_IbLb0EEEEDaSP_SQ_EUlSP_E0_NS1_11comp_targetILNS1_3genE10ELNS1_11target_archE1200ELNS1_3gpuE4ELNS1_3repE0EEENS1_30default_config_static_selectorELNS0_4arch9wavefront6targetE1EEEvT1_: ; @_ZN7rocprim17ROCPRIM_400000_NS6detail17trampoline_kernelINS0_14default_configENS1_20scan_config_selectorItEEZZNS1_9scan_implILNS1_25lookback_scan_determinismE0ELb0ELb0ES3_N6thrust23THRUST_200600_302600_NS6detail15normal_iteratorINS9_10device_ptrItEEEESE_tNS9_4plusIvEEtEEDaPvRmT3_T4_T5_mT6_P12ihipStream_tbENKUlT_T0_E_clISt17integral_constantIbLb1EEST_IbLb0EEEEDaSP_SQ_EUlSP_E0_NS1_11comp_targetILNS1_3genE10ELNS1_11target_archE1200ELNS1_3gpuE4ELNS1_3repE0EEENS1_30default_config_static_selectorELNS0_4arch9wavefront6targetE1EEEvT1_
; %bb.0:
	.section	.rodata,"a",@progbits
	.p2align	6, 0x0
	.amdhsa_kernel _ZN7rocprim17ROCPRIM_400000_NS6detail17trampoline_kernelINS0_14default_configENS1_20scan_config_selectorItEEZZNS1_9scan_implILNS1_25lookback_scan_determinismE0ELb0ELb0ES3_N6thrust23THRUST_200600_302600_NS6detail15normal_iteratorINS9_10device_ptrItEEEESE_tNS9_4plusIvEEtEEDaPvRmT3_T4_T5_mT6_P12ihipStream_tbENKUlT_T0_E_clISt17integral_constantIbLb1EEST_IbLb0EEEEDaSP_SQ_EUlSP_E0_NS1_11comp_targetILNS1_3genE10ELNS1_11target_archE1200ELNS1_3gpuE4ELNS1_3repE0EEENS1_30default_config_static_selectorELNS0_4arch9wavefront6targetE1EEEvT1_
		.amdhsa_group_segment_fixed_size 0
		.amdhsa_private_segment_fixed_size 0
		.amdhsa_kernarg_size 32
		.amdhsa_user_sgpr_count 6
		.amdhsa_user_sgpr_private_segment_buffer 1
		.amdhsa_user_sgpr_dispatch_ptr 0
		.amdhsa_user_sgpr_queue_ptr 0
		.amdhsa_user_sgpr_kernarg_segment_ptr 1
		.amdhsa_user_sgpr_dispatch_id 0
		.amdhsa_user_sgpr_flat_scratch_init 0
		.amdhsa_user_sgpr_kernarg_preload_length 0
		.amdhsa_user_sgpr_kernarg_preload_offset 0
		.amdhsa_user_sgpr_private_segment_size 0
		.amdhsa_uses_dynamic_stack 0
		.amdhsa_system_sgpr_private_segment_wavefront_offset 0
		.amdhsa_system_sgpr_workgroup_id_x 1
		.amdhsa_system_sgpr_workgroup_id_y 0
		.amdhsa_system_sgpr_workgroup_id_z 0
		.amdhsa_system_sgpr_workgroup_info 0
		.amdhsa_system_vgpr_workitem_id 0
		.amdhsa_next_free_vgpr 1
		.amdhsa_next_free_sgpr 0
		.amdhsa_accum_offset 4
		.amdhsa_reserve_vcc 0
		.amdhsa_reserve_flat_scratch 0
		.amdhsa_float_round_mode_32 0
		.amdhsa_float_round_mode_16_64 0
		.amdhsa_float_denorm_mode_32 3
		.amdhsa_float_denorm_mode_16_64 3
		.amdhsa_dx10_clamp 1
		.amdhsa_ieee_mode 1
		.amdhsa_fp16_overflow 0
		.amdhsa_tg_split 0
		.amdhsa_exception_fp_ieee_invalid_op 0
		.amdhsa_exception_fp_denorm_src 0
		.amdhsa_exception_fp_ieee_div_zero 0
		.amdhsa_exception_fp_ieee_overflow 0
		.amdhsa_exception_fp_ieee_underflow 0
		.amdhsa_exception_fp_ieee_inexact 0
		.amdhsa_exception_int_div_zero 0
	.end_amdhsa_kernel
	.section	.text._ZN7rocprim17ROCPRIM_400000_NS6detail17trampoline_kernelINS0_14default_configENS1_20scan_config_selectorItEEZZNS1_9scan_implILNS1_25lookback_scan_determinismE0ELb0ELb0ES3_N6thrust23THRUST_200600_302600_NS6detail15normal_iteratorINS9_10device_ptrItEEEESE_tNS9_4plusIvEEtEEDaPvRmT3_T4_T5_mT6_P12ihipStream_tbENKUlT_T0_E_clISt17integral_constantIbLb1EEST_IbLb0EEEEDaSP_SQ_EUlSP_E0_NS1_11comp_targetILNS1_3genE10ELNS1_11target_archE1200ELNS1_3gpuE4ELNS1_3repE0EEENS1_30default_config_static_selectorELNS0_4arch9wavefront6targetE1EEEvT1_,"axG",@progbits,_ZN7rocprim17ROCPRIM_400000_NS6detail17trampoline_kernelINS0_14default_configENS1_20scan_config_selectorItEEZZNS1_9scan_implILNS1_25lookback_scan_determinismE0ELb0ELb0ES3_N6thrust23THRUST_200600_302600_NS6detail15normal_iteratorINS9_10device_ptrItEEEESE_tNS9_4plusIvEEtEEDaPvRmT3_T4_T5_mT6_P12ihipStream_tbENKUlT_T0_E_clISt17integral_constantIbLb1EEST_IbLb0EEEEDaSP_SQ_EUlSP_E0_NS1_11comp_targetILNS1_3genE10ELNS1_11target_archE1200ELNS1_3gpuE4ELNS1_3repE0EEENS1_30default_config_static_selectorELNS0_4arch9wavefront6targetE1EEEvT1_,comdat
.Lfunc_end4769:
	.size	_ZN7rocprim17ROCPRIM_400000_NS6detail17trampoline_kernelINS0_14default_configENS1_20scan_config_selectorItEEZZNS1_9scan_implILNS1_25lookback_scan_determinismE0ELb0ELb0ES3_N6thrust23THRUST_200600_302600_NS6detail15normal_iteratorINS9_10device_ptrItEEEESE_tNS9_4plusIvEEtEEDaPvRmT3_T4_T5_mT6_P12ihipStream_tbENKUlT_T0_E_clISt17integral_constantIbLb1EEST_IbLb0EEEEDaSP_SQ_EUlSP_E0_NS1_11comp_targetILNS1_3genE10ELNS1_11target_archE1200ELNS1_3gpuE4ELNS1_3repE0EEENS1_30default_config_static_selectorELNS0_4arch9wavefront6targetE1EEEvT1_, .Lfunc_end4769-_ZN7rocprim17ROCPRIM_400000_NS6detail17trampoline_kernelINS0_14default_configENS1_20scan_config_selectorItEEZZNS1_9scan_implILNS1_25lookback_scan_determinismE0ELb0ELb0ES3_N6thrust23THRUST_200600_302600_NS6detail15normal_iteratorINS9_10device_ptrItEEEESE_tNS9_4plusIvEEtEEDaPvRmT3_T4_T5_mT6_P12ihipStream_tbENKUlT_T0_E_clISt17integral_constantIbLb1EEST_IbLb0EEEEDaSP_SQ_EUlSP_E0_NS1_11comp_targetILNS1_3genE10ELNS1_11target_archE1200ELNS1_3gpuE4ELNS1_3repE0EEENS1_30default_config_static_selectorELNS0_4arch9wavefront6targetE1EEEvT1_
                                        ; -- End function
	.section	.AMDGPU.csdata,"",@progbits
; Kernel info:
; codeLenInByte = 0
; NumSgprs: 4
; NumVgprs: 0
; NumAgprs: 0
; TotalNumVgprs: 0
; ScratchSize: 0
; MemoryBound: 0
; FloatMode: 240
; IeeeMode: 1
; LDSByteSize: 0 bytes/workgroup (compile time only)
; SGPRBlocks: 0
; VGPRBlocks: 0
; NumSGPRsForWavesPerEU: 4
; NumVGPRsForWavesPerEU: 1
; AccumOffset: 4
; Occupancy: 8
; WaveLimiterHint : 0
; COMPUTE_PGM_RSRC2:SCRATCH_EN: 0
; COMPUTE_PGM_RSRC2:USER_SGPR: 6
; COMPUTE_PGM_RSRC2:TRAP_HANDLER: 0
; COMPUTE_PGM_RSRC2:TGID_X_EN: 1
; COMPUTE_PGM_RSRC2:TGID_Y_EN: 0
; COMPUTE_PGM_RSRC2:TGID_Z_EN: 0
; COMPUTE_PGM_RSRC2:TIDIG_COMP_CNT: 0
; COMPUTE_PGM_RSRC3_GFX90A:ACCUM_OFFSET: 0
; COMPUTE_PGM_RSRC3_GFX90A:TG_SPLIT: 0
	.section	.text._ZN7rocprim17ROCPRIM_400000_NS6detail17trampoline_kernelINS0_14default_configENS1_20scan_config_selectorItEEZZNS1_9scan_implILNS1_25lookback_scan_determinismE0ELb0ELb0ES3_N6thrust23THRUST_200600_302600_NS6detail15normal_iteratorINS9_10device_ptrItEEEESE_tNS9_4plusIvEEtEEDaPvRmT3_T4_T5_mT6_P12ihipStream_tbENKUlT_T0_E_clISt17integral_constantIbLb1EEST_IbLb0EEEEDaSP_SQ_EUlSP_E0_NS1_11comp_targetILNS1_3genE9ELNS1_11target_archE1100ELNS1_3gpuE3ELNS1_3repE0EEENS1_30default_config_static_selectorELNS0_4arch9wavefront6targetE1EEEvT1_,"axG",@progbits,_ZN7rocprim17ROCPRIM_400000_NS6detail17trampoline_kernelINS0_14default_configENS1_20scan_config_selectorItEEZZNS1_9scan_implILNS1_25lookback_scan_determinismE0ELb0ELb0ES3_N6thrust23THRUST_200600_302600_NS6detail15normal_iteratorINS9_10device_ptrItEEEESE_tNS9_4plusIvEEtEEDaPvRmT3_T4_T5_mT6_P12ihipStream_tbENKUlT_T0_E_clISt17integral_constantIbLb1EEST_IbLb0EEEEDaSP_SQ_EUlSP_E0_NS1_11comp_targetILNS1_3genE9ELNS1_11target_archE1100ELNS1_3gpuE3ELNS1_3repE0EEENS1_30default_config_static_selectorELNS0_4arch9wavefront6targetE1EEEvT1_,comdat
	.protected	_ZN7rocprim17ROCPRIM_400000_NS6detail17trampoline_kernelINS0_14default_configENS1_20scan_config_selectorItEEZZNS1_9scan_implILNS1_25lookback_scan_determinismE0ELb0ELb0ES3_N6thrust23THRUST_200600_302600_NS6detail15normal_iteratorINS9_10device_ptrItEEEESE_tNS9_4plusIvEEtEEDaPvRmT3_T4_T5_mT6_P12ihipStream_tbENKUlT_T0_E_clISt17integral_constantIbLb1EEST_IbLb0EEEEDaSP_SQ_EUlSP_E0_NS1_11comp_targetILNS1_3genE9ELNS1_11target_archE1100ELNS1_3gpuE3ELNS1_3repE0EEENS1_30default_config_static_selectorELNS0_4arch9wavefront6targetE1EEEvT1_ ; -- Begin function _ZN7rocprim17ROCPRIM_400000_NS6detail17trampoline_kernelINS0_14default_configENS1_20scan_config_selectorItEEZZNS1_9scan_implILNS1_25lookback_scan_determinismE0ELb0ELb0ES3_N6thrust23THRUST_200600_302600_NS6detail15normal_iteratorINS9_10device_ptrItEEEESE_tNS9_4plusIvEEtEEDaPvRmT3_T4_T5_mT6_P12ihipStream_tbENKUlT_T0_E_clISt17integral_constantIbLb1EEST_IbLb0EEEEDaSP_SQ_EUlSP_E0_NS1_11comp_targetILNS1_3genE9ELNS1_11target_archE1100ELNS1_3gpuE3ELNS1_3repE0EEENS1_30default_config_static_selectorELNS0_4arch9wavefront6targetE1EEEvT1_
	.globl	_ZN7rocprim17ROCPRIM_400000_NS6detail17trampoline_kernelINS0_14default_configENS1_20scan_config_selectorItEEZZNS1_9scan_implILNS1_25lookback_scan_determinismE0ELb0ELb0ES3_N6thrust23THRUST_200600_302600_NS6detail15normal_iteratorINS9_10device_ptrItEEEESE_tNS9_4plusIvEEtEEDaPvRmT3_T4_T5_mT6_P12ihipStream_tbENKUlT_T0_E_clISt17integral_constantIbLb1EEST_IbLb0EEEEDaSP_SQ_EUlSP_E0_NS1_11comp_targetILNS1_3genE9ELNS1_11target_archE1100ELNS1_3gpuE3ELNS1_3repE0EEENS1_30default_config_static_selectorELNS0_4arch9wavefront6targetE1EEEvT1_
	.p2align	8
	.type	_ZN7rocprim17ROCPRIM_400000_NS6detail17trampoline_kernelINS0_14default_configENS1_20scan_config_selectorItEEZZNS1_9scan_implILNS1_25lookback_scan_determinismE0ELb0ELb0ES3_N6thrust23THRUST_200600_302600_NS6detail15normal_iteratorINS9_10device_ptrItEEEESE_tNS9_4plusIvEEtEEDaPvRmT3_T4_T5_mT6_P12ihipStream_tbENKUlT_T0_E_clISt17integral_constantIbLb1EEST_IbLb0EEEEDaSP_SQ_EUlSP_E0_NS1_11comp_targetILNS1_3genE9ELNS1_11target_archE1100ELNS1_3gpuE3ELNS1_3repE0EEENS1_30default_config_static_selectorELNS0_4arch9wavefront6targetE1EEEvT1_,@function
_ZN7rocprim17ROCPRIM_400000_NS6detail17trampoline_kernelINS0_14default_configENS1_20scan_config_selectorItEEZZNS1_9scan_implILNS1_25lookback_scan_determinismE0ELb0ELb0ES3_N6thrust23THRUST_200600_302600_NS6detail15normal_iteratorINS9_10device_ptrItEEEESE_tNS9_4plusIvEEtEEDaPvRmT3_T4_T5_mT6_P12ihipStream_tbENKUlT_T0_E_clISt17integral_constantIbLb1EEST_IbLb0EEEEDaSP_SQ_EUlSP_E0_NS1_11comp_targetILNS1_3genE9ELNS1_11target_archE1100ELNS1_3gpuE3ELNS1_3repE0EEENS1_30default_config_static_selectorELNS0_4arch9wavefront6targetE1EEEvT1_: ; @_ZN7rocprim17ROCPRIM_400000_NS6detail17trampoline_kernelINS0_14default_configENS1_20scan_config_selectorItEEZZNS1_9scan_implILNS1_25lookback_scan_determinismE0ELb0ELb0ES3_N6thrust23THRUST_200600_302600_NS6detail15normal_iteratorINS9_10device_ptrItEEEESE_tNS9_4plusIvEEtEEDaPvRmT3_T4_T5_mT6_P12ihipStream_tbENKUlT_T0_E_clISt17integral_constantIbLb1EEST_IbLb0EEEEDaSP_SQ_EUlSP_E0_NS1_11comp_targetILNS1_3genE9ELNS1_11target_archE1100ELNS1_3gpuE3ELNS1_3repE0EEENS1_30default_config_static_selectorELNS0_4arch9wavefront6targetE1EEEvT1_
; %bb.0:
	.section	.rodata,"a",@progbits
	.p2align	6, 0x0
	.amdhsa_kernel _ZN7rocprim17ROCPRIM_400000_NS6detail17trampoline_kernelINS0_14default_configENS1_20scan_config_selectorItEEZZNS1_9scan_implILNS1_25lookback_scan_determinismE0ELb0ELb0ES3_N6thrust23THRUST_200600_302600_NS6detail15normal_iteratorINS9_10device_ptrItEEEESE_tNS9_4plusIvEEtEEDaPvRmT3_T4_T5_mT6_P12ihipStream_tbENKUlT_T0_E_clISt17integral_constantIbLb1EEST_IbLb0EEEEDaSP_SQ_EUlSP_E0_NS1_11comp_targetILNS1_3genE9ELNS1_11target_archE1100ELNS1_3gpuE3ELNS1_3repE0EEENS1_30default_config_static_selectorELNS0_4arch9wavefront6targetE1EEEvT1_
		.amdhsa_group_segment_fixed_size 0
		.amdhsa_private_segment_fixed_size 0
		.amdhsa_kernarg_size 32
		.amdhsa_user_sgpr_count 6
		.amdhsa_user_sgpr_private_segment_buffer 1
		.amdhsa_user_sgpr_dispatch_ptr 0
		.amdhsa_user_sgpr_queue_ptr 0
		.amdhsa_user_sgpr_kernarg_segment_ptr 1
		.amdhsa_user_sgpr_dispatch_id 0
		.amdhsa_user_sgpr_flat_scratch_init 0
		.amdhsa_user_sgpr_kernarg_preload_length 0
		.amdhsa_user_sgpr_kernarg_preload_offset 0
		.amdhsa_user_sgpr_private_segment_size 0
		.amdhsa_uses_dynamic_stack 0
		.amdhsa_system_sgpr_private_segment_wavefront_offset 0
		.amdhsa_system_sgpr_workgroup_id_x 1
		.amdhsa_system_sgpr_workgroup_id_y 0
		.amdhsa_system_sgpr_workgroup_id_z 0
		.amdhsa_system_sgpr_workgroup_info 0
		.amdhsa_system_vgpr_workitem_id 0
		.amdhsa_next_free_vgpr 1
		.amdhsa_next_free_sgpr 0
		.amdhsa_accum_offset 4
		.amdhsa_reserve_vcc 0
		.amdhsa_reserve_flat_scratch 0
		.amdhsa_float_round_mode_32 0
		.amdhsa_float_round_mode_16_64 0
		.amdhsa_float_denorm_mode_32 3
		.amdhsa_float_denorm_mode_16_64 3
		.amdhsa_dx10_clamp 1
		.amdhsa_ieee_mode 1
		.amdhsa_fp16_overflow 0
		.amdhsa_tg_split 0
		.amdhsa_exception_fp_ieee_invalid_op 0
		.amdhsa_exception_fp_denorm_src 0
		.amdhsa_exception_fp_ieee_div_zero 0
		.amdhsa_exception_fp_ieee_overflow 0
		.amdhsa_exception_fp_ieee_underflow 0
		.amdhsa_exception_fp_ieee_inexact 0
		.amdhsa_exception_int_div_zero 0
	.end_amdhsa_kernel
	.section	.text._ZN7rocprim17ROCPRIM_400000_NS6detail17trampoline_kernelINS0_14default_configENS1_20scan_config_selectorItEEZZNS1_9scan_implILNS1_25lookback_scan_determinismE0ELb0ELb0ES3_N6thrust23THRUST_200600_302600_NS6detail15normal_iteratorINS9_10device_ptrItEEEESE_tNS9_4plusIvEEtEEDaPvRmT3_T4_T5_mT6_P12ihipStream_tbENKUlT_T0_E_clISt17integral_constantIbLb1EEST_IbLb0EEEEDaSP_SQ_EUlSP_E0_NS1_11comp_targetILNS1_3genE9ELNS1_11target_archE1100ELNS1_3gpuE3ELNS1_3repE0EEENS1_30default_config_static_selectorELNS0_4arch9wavefront6targetE1EEEvT1_,"axG",@progbits,_ZN7rocprim17ROCPRIM_400000_NS6detail17trampoline_kernelINS0_14default_configENS1_20scan_config_selectorItEEZZNS1_9scan_implILNS1_25lookback_scan_determinismE0ELb0ELb0ES3_N6thrust23THRUST_200600_302600_NS6detail15normal_iteratorINS9_10device_ptrItEEEESE_tNS9_4plusIvEEtEEDaPvRmT3_T4_T5_mT6_P12ihipStream_tbENKUlT_T0_E_clISt17integral_constantIbLb1EEST_IbLb0EEEEDaSP_SQ_EUlSP_E0_NS1_11comp_targetILNS1_3genE9ELNS1_11target_archE1100ELNS1_3gpuE3ELNS1_3repE0EEENS1_30default_config_static_selectorELNS0_4arch9wavefront6targetE1EEEvT1_,comdat
.Lfunc_end4770:
	.size	_ZN7rocprim17ROCPRIM_400000_NS6detail17trampoline_kernelINS0_14default_configENS1_20scan_config_selectorItEEZZNS1_9scan_implILNS1_25lookback_scan_determinismE0ELb0ELb0ES3_N6thrust23THRUST_200600_302600_NS6detail15normal_iteratorINS9_10device_ptrItEEEESE_tNS9_4plusIvEEtEEDaPvRmT3_T4_T5_mT6_P12ihipStream_tbENKUlT_T0_E_clISt17integral_constantIbLb1EEST_IbLb0EEEEDaSP_SQ_EUlSP_E0_NS1_11comp_targetILNS1_3genE9ELNS1_11target_archE1100ELNS1_3gpuE3ELNS1_3repE0EEENS1_30default_config_static_selectorELNS0_4arch9wavefront6targetE1EEEvT1_, .Lfunc_end4770-_ZN7rocprim17ROCPRIM_400000_NS6detail17trampoline_kernelINS0_14default_configENS1_20scan_config_selectorItEEZZNS1_9scan_implILNS1_25lookback_scan_determinismE0ELb0ELb0ES3_N6thrust23THRUST_200600_302600_NS6detail15normal_iteratorINS9_10device_ptrItEEEESE_tNS9_4plusIvEEtEEDaPvRmT3_T4_T5_mT6_P12ihipStream_tbENKUlT_T0_E_clISt17integral_constantIbLb1EEST_IbLb0EEEEDaSP_SQ_EUlSP_E0_NS1_11comp_targetILNS1_3genE9ELNS1_11target_archE1100ELNS1_3gpuE3ELNS1_3repE0EEENS1_30default_config_static_selectorELNS0_4arch9wavefront6targetE1EEEvT1_
                                        ; -- End function
	.section	.AMDGPU.csdata,"",@progbits
; Kernel info:
; codeLenInByte = 0
; NumSgprs: 4
; NumVgprs: 0
; NumAgprs: 0
; TotalNumVgprs: 0
; ScratchSize: 0
; MemoryBound: 0
; FloatMode: 240
; IeeeMode: 1
; LDSByteSize: 0 bytes/workgroup (compile time only)
; SGPRBlocks: 0
; VGPRBlocks: 0
; NumSGPRsForWavesPerEU: 4
; NumVGPRsForWavesPerEU: 1
; AccumOffset: 4
; Occupancy: 8
; WaveLimiterHint : 0
; COMPUTE_PGM_RSRC2:SCRATCH_EN: 0
; COMPUTE_PGM_RSRC2:USER_SGPR: 6
; COMPUTE_PGM_RSRC2:TRAP_HANDLER: 0
; COMPUTE_PGM_RSRC2:TGID_X_EN: 1
; COMPUTE_PGM_RSRC2:TGID_Y_EN: 0
; COMPUTE_PGM_RSRC2:TGID_Z_EN: 0
; COMPUTE_PGM_RSRC2:TIDIG_COMP_CNT: 0
; COMPUTE_PGM_RSRC3_GFX90A:ACCUM_OFFSET: 0
; COMPUTE_PGM_RSRC3_GFX90A:TG_SPLIT: 0
	.section	.text._ZN7rocprim17ROCPRIM_400000_NS6detail17trampoline_kernelINS0_14default_configENS1_20scan_config_selectorItEEZZNS1_9scan_implILNS1_25lookback_scan_determinismE0ELb0ELb0ES3_N6thrust23THRUST_200600_302600_NS6detail15normal_iteratorINS9_10device_ptrItEEEESE_tNS9_4plusIvEEtEEDaPvRmT3_T4_T5_mT6_P12ihipStream_tbENKUlT_T0_E_clISt17integral_constantIbLb1EEST_IbLb0EEEEDaSP_SQ_EUlSP_E0_NS1_11comp_targetILNS1_3genE8ELNS1_11target_archE1030ELNS1_3gpuE2ELNS1_3repE0EEENS1_30default_config_static_selectorELNS0_4arch9wavefront6targetE1EEEvT1_,"axG",@progbits,_ZN7rocprim17ROCPRIM_400000_NS6detail17trampoline_kernelINS0_14default_configENS1_20scan_config_selectorItEEZZNS1_9scan_implILNS1_25lookback_scan_determinismE0ELb0ELb0ES3_N6thrust23THRUST_200600_302600_NS6detail15normal_iteratorINS9_10device_ptrItEEEESE_tNS9_4plusIvEEtEEDaPvRmT3_T4_T5_mT6_P12ihipStream_tbENKUlT_T0_E_clISt17integral_constantIbLb1EEST_IbLb0EEEEDaSP_SQ_EUlSP_E0_NS1_11comp_targetILNS1_3genE8ELNS1_11target_archE1030ELNS1_3gpuE2ELNS1_3repE0EEENS1_30default_config_static_selectorELNS0_4arch9wavefront6targetE1EEEvT1_,comdat
	.protected	_ZN7rocprim17ROCPRIM_400000_NS6detail17trampoline_kernelINS0_14default_configENS1_20scan_config_selectorItEEZZNS1_9scan_implILNS1_25lookback_scan_determinismE0ELb0ELb0ES3_N6thrust23THRUST_200600_302600_NS6detail15normal_iteratorINS9_10device_ptrItEEEESE_tNS9_4plusIvEEtEEDaPvRmT3_T4_T5_mT6_P12ihipStream_tbENKUlT_T0_E_clISt17integral_constantIbLb1EEST_IbLb0EEEEDaSP_SQ_EUlSP_E0_NS1_11comp_targetILNS1_3genE8ELNS1_11target_archE1030ELNS1_3gpuE2ELNS1_3repE0EEENS1_30default_config_static_selectorELNS0_4arch9wavefront6targetE1EEEvT1_ ; -- Begin function _ZN7rocprim17ROCPRIM_400000_NS6detail17trampoline_kernelINS0_14default_configENS1_20scan_config_selectorItEEZZNS1_9scan_implILNS1_25lookback_scan_determinismE0ELb0ELb0ES3_N6thrust23THRUST_200600_302600_NS6detail15normal_iteratorINS9_10device_ptrItEEEESE_tNS9_4plusIvEEtEEDaPvRmT3_T4_T5_mT6_P12ihipStream_tbENKUlT_T0_E_clISt17integral_constantIbLb1EEST_IbLb0EEEEDaSP_SQ_EUlSP_E0_NS1_11comp_targetILNS1_3genE8ELNS1_11target_archE1030ELNS1_3gpuE2ELNS1_3repE0EEENS1_30default_config_static_selectorELNS0_4arch9wavefront6targetE1EEEvT1_
	.globl	_ZN7rocprim17ROCPRIM_400000_NS6detail17trampoline_kernelINS0_14default_configENS1_20scan_config_selectorItEEZZNS1_9scan_implILNS1_25lookback_scan_determinismE0ELb0ELb0ES3_N6thrust23THRUST_200600_302600_NS6detail15normal_iteratorINS9_10device_ptrItEEEESE_tNS9_4plusIvEEtEEDaPvRmT3_T4_T5_mT6_P12ihipStream_tbENKUlT_T0_E_clISt17integral_constantIbLb1EEST_IbLb0EEEEDaSP_SQ_EUlSP_E0_NS1_11comp_targetILNS1_3genE8ELNS1_11target_archE1030ELNS1_3gpuE2ELNS1_3repE0EEENS1_30default_config_static_selectorELNS0_4arch9wavefront6targetE1EEEvT1_
	.p2align	8
	.type	_ZN7rocprim17ROCPRIM_400000_NS6detail17trampoline_kernelINS0_14default_configENS1_20scan_config_selectorItEEZZNS1_9scan_implILNS1_25lookback_scan_determinismE0ELb0ELb0ES3_N6thrust23THRUST_200600_302600_NS6detail15normal_iteratorINS9_10device_ptrItEEEESE_tNS9_4plusIvEEtEEDaPvRmT3_T4_T5_mT6_P12ihipStream_tbENKUlT_T0_E_clISt17integral_constantIbLb1EEST_IbLb0EEEEDaSP_SQ_EUlSP_E0_NS1_11comp_targetILNS1_3genE8ELNS1_11target_archE1030ELNS1_3gpuE2ELNS1_3repE0EEENS1_30default_config_static_selectorELNS0_4arch9wavefront6targetE1EEEvT1_,@function
_ZN7rocprim17ROCPRIM_400000_NS6detail17trampoline_kernelINS0_14default_configENS1_20scan_config_selectorItEEZZNS1_9scan_implILNS1_25lookback_scan_determinismE0ELb0ELb0ES3_N6thrust23THRUST_200600_302600_NS6detail15normal_iteratorINS9_10device_ptrItEEEESE_tNS9_4plusIvEEtEEDaPvRmT3_T4_T5_mT6_P12ihipStream_tbENKUlT_T0_E_clISt17integral_constantIbLb1EEST_IbLb0EEEEDaSP_SQ_EUlSP_E0_NS1_11comp_targetILNS1_3genE8ELNS1_11target_archE1030ELNS1_3gpuE2ELNS1_3repE0EEENS1_30default_config_static_selectorELNS0_4arch9wavefront6targetE1EEEvT1_: ; @_ZN7rocprim17ROCPRIM_400000_NS6detail17trampoline_kernelINS0_14default_configENS1_20scan_config_selectorItEEZZNS1_9scan_implILNS1_25lookback_scan_determinismE0ELb0ELb0ES3_N6thrust23THRUST_200600_302600_NS6detail15normal_iteratorINS9_10device_ptrItEEEESE_tNS9_4plusIvEEtEEDaPvRmT3_T4_T5_mT6_P12ihipStream_tbENKUlT_T0_E_clISt17integral_constantIbLb1EEST_IbLb0EEEEDaSP_SQ_EUlSP_E0_NS1_11comp_targetILNS1_3genE8ELNS1_11target_archE1030ELNS1_3gpuE2ELNS1_3repE0EEENS1_30default_config_static_selectorELNS0_4arch9wavefront6targetE1EEEvT1_
; %bb.0:
	.section	.rodata,"a",@progbits
	.p2align	6, 0x0
	.amdhsa_kernel _ZN7rocprim17ROCPRIM_400000_NS6detail17trampoline_kernelINS0_14default_configENS1_20scan_config_selectorItEEZZNS1_9scan_implILNS1_25lookback_scan_determinismE0ELb0ELb0ES3_N6thrust23THRUST_200600_302600_NS6detail15normal_iteratorINS9_10device_ptrItEEEESE_tNS9_4plusIvEEtEEDaPvRmT3_T4_T5_mT6_P12ihipStream_tbENKUlT_T0_E_clISt17integral_constantIbLb1EEST_IbLb0EEEEDaSP_SQ_EUlSP_E0_NS1_11comp_targetILNS1_3genE8ELNS1_11target_archE1030ELNS1_3gpuE2ELNS1_3repE0EEENS1_30default_config_static_selectorELNS0_4arch9wavefront6targetE1EEEvT1_
		.amdhsa_group_segment_fixed_size 0
		.amdhsa_private_segment_fixed_size 0
		.amdhsa_kernarg_size 32
		.amdhsa_user_sgpr_count 6
		.amdhsa_user_sgpr_private_segment_buffer 1
		.amdhsa_user_sgpr_dispatch_ptr 0
		.amdhsa_user_sgpr_queue_ptr 0
		.amdhsa_user_sgpr_kernarg_segment_ptr 1
		.amdhsa_user_sgpr_dispatch_id 0
		.amdhsa_user_sgpr_flat_scratch_init 0
		.amdhsa_user_sgpr_kernarg_preload_length 0
		.amdhsa_user_sgpr_kernarg_preload_offset 0
		.amdhsa_user_sgpr_private_segment_size 0
		.amdhsa_uses_dynamic_stack 0
		.amdhsa_system_sgpr_private_segment_wavefront_offset 0
		.amdhsa_system_sgpr_workgroup_id_x 1
		.amdhsa_system_sgpr_workgroup_id_y 0
		.amdhsa_system_sgpr_workgroup_id_z 0
		.amdhsa_system_sgpr_workgroup_info 0
		.amdhsa_system_vgpr_workitem_id 0
		.amdhsa_next_free_vgpr 1
		.amdhsa_next_free_sgpr 0
		.amdhsa_accum_offset 4
		.amdhsa_reserve_vcc 0
		.amdhsa_reserve_flat_scratch 0
		.amdhsa_float_round_mode_32 0
		.amdhsa_float_round_mode_16_64 0
		.amdhsa_float_denorm_mode_32 3
		.amdhsa_float_denorm_mode_16_64 3
		.amdhsa_dx10_clamp 1
		.amdhsa_ieee_mode 1
		.amdhsa_fp16_overflow 0
		.amdhsa_tg_split 0
		.amdhsa_exception_fp_ieee_invalid_op 0
		.amdhsa_exception_fp_denorm_src 0
		.amdhsa_exception_fp_ieee_div_zero 0
		.amdhsa_exception_fp_ieee_overflow 0
		.amdhsa_exception_fp_ieee_underflow 0
		.amdhsa_exception_fp_ieee_inexact 0
		.amdhsa_exception_int_div_zero 0
	.end_amdhsa_kernel
	.section	.text._ZN7rocprim17ROCPRIM_400000_NS6detail17trampoline_kernelINS0_14default_configENS1_20scan_config_selectorItEEZZNS1_9scan_implILNS1_25lookback_scan_determinismE0ELb0ELb0ES3_N6thrust23THRUST_200600_302600_NS6detail15normal_iteratorINS9_10device_ptrItEEEESE_tNS9_4plusIvEEtEEDaPvRmT3_T4_T5_mT6_P12ihipStream_tbENKUlT_T0_E_clISt17integral_constantIbLb1EEST_IbLb0EEEEDaSP_SQ_EUlSP_E0_NS1_11comp_targetILNS1_3genE8ELNS1_11target_archE1030ELNS1_3gpuE2ELNS1_3repE0EEENS1_30default_config_static_selectorELNS0_4arch9wavefront6targetE1EEEvT1_,"axG",@progbits,_ZN7rocprim17ROCPRIM_400000_NS6detail17trampoline_kernelINS0_14default_configENS1_20scan_config_selectorItEEZZNS1_9scan_implILNS1_25lookback_scan_determinismE0ELb0ELb0ES3_N6thrust23THRUST_200600_302600_NS6detail15normal_iteratorINS9_10device_ptrItEEEESE_tNS9_4plusIvEEtEEDaPvRmT3_T4_T5_mT6_P12ihipStream_tbENKUlT_T0_E_clISt17integral_constantIbLb1EEST_IbLb0EEEEDaSP_SQ_EUlSP_E0_NS1_11comp_targetILNS1_3genE8ELNS1_11target_archE1030ELNS1_3gpuE2ELNS1_3repE0EEENS1_30default_config_static_selectorELNS0_4arch9wavefront6targetE1EEEvT1_,comdat
.Lfunc_end4771:
	.size	_ZN7rocprim17ROCPRIM_400000_NS6detail17trampoline_kernelINS0_14default_configENS1_20scan_config_selectorItEEZZNS1_9scan_implILNS1_25lookback_scan_determinismE0ELb0ELb0ES3_N6thrust23THRUST_200600_302600_NS6detail15normal_iteratorINS9_10device_ptrItEEEESE_tNS9_4plusIvEEtEEDaPvRmT3_T4_T5_mT6_P12ihipStream_tbENKUlT_T0_E_clISt17integral_constantIbLb1EEST_IbLb0EEEEDaSP_SQ_EUlSP_E0_NS1_11comp_targetILNS1_3genE8ELNS1_11target_archE1030ELNS1_3gpuE2ELNS1_3repE0EEENS1_30default_config_static_selectorELNS0_4arch9wavefront6targetE1EEEvT1_, .Lfunc_end4771-_ZN7rocprim17ROCPRIM_400000_NS6detail17trampoline_kernelINS0_14default_configENS1_20scan_config_selectorItEEZZNS1_9scan_implILNS1_25lookback_scan_determinismE0ELb0ELb0ES3_N6thrust23THRUST_200600_302600_NS6detail15normal_iteratorINS9_10device_ptrItEEEESE_tNS9_4plusIvEEtEEDaPvRmT3_T4_T5_mT6_P12ihipStream_tbENKUlT_T0_E_clISt17integral_constantIbLb1EEST_IbLb0EEEEDaSP_SQ_EUlSP_E0_NS1_11comp_targetILNS1_3genE8ELNS1_11target_archE1030ELNS1_3gpuE2ELNS1_3repE0EEENS1_30default_config_static_selectorELNS0_4arch9wavefront6targetE1EEEvT1_
                                        ; -- End function
	.section	.AMDGPU.csdata,"",@progbits
; Kernel info:
; codeLenInByte = 0
; NumSgprs: 4
; NumVgprs: 0
; NumAgprs: 0
; TotalNumVgprs: 0
; ScratchSize: 0
; MemoryBound: 0
; FloatMode: 240
; IeeeMode: 1
; LDSByteSize: 0 bytes/workgroup (compile time only)
; SGPRBlocks: 0
; VGPRBlocks: 0
; NumSGPRsForWavesPerEU: 4
; NumVGPRsForWavesPerEU: 1
; AccumOffset: 4
; Occupancy: 8
; WaveLimiterHint : 0
; COMPUTE_PGM_RSRC2:SCRATCH_EN: 0
; COMPUTE_PGM_RSRC2:USER_SGPR: 6
; COMPUTE_PGM_RSRC2:TRAP_HANDLER: 0
; COMPUTE_PGM_RSRC2:TGID_X_EN: 1
; COMPUTE_PGM_RSRC2:TGID_Y_EN: 0
; COMPUTE_PGM_RSRC2:TGID_Z_EN: 0
; COMPUTE_PGM_RSRC2:TIDIG_COMP_CNT: 0
; COMPUTE_PGM_RSRC3_GFX90A:ACCUM_OFFSET: 0
; COMPUTE_PGM_RSRC3_GFX90A:TG_SPLIT: 0
	.section	.text._ZN7rocprim17ROCPRIM_400000_NS6detail17trampoline_kernelINS0_14default_configENS1_20scan_config_selectorItEEZZNS1_9scan_implILNS1_25lookback_scan_determinismE0ELb0ELb0ES3_N6thrust23THRUST_200600_302600_NS6detail15normal_iteratorINS9_10device_ptrItEEEESE_tNS9_4plusIvEEtEEDaPvRmT3_T4_T5_mT6_P12ihipStream_tbENKUlT_T0_E_clISt17integral_constantIbLb0EEST_IbLb1EEEEDaSP_SQ_EUlSP_E_NS1_11comp_targetILNS1_3genE0ELNS1_11target_archE4294967295ELNS1_3gpuE0ELNS1_3repE0EEENS1_30default_config_static_selectorELNS0_4arch9wavefront6targetE1EEEvT1_,"axG",@progbits,_ZN7rocprim17ROCPRIM_400000_NS6detail17trampoline_kernelINS0_14default_configENS1_20scan_config_selectorItEEZZNS1_9scan_implILNS1_25lookback_scan_determinismE0ELb0ELb0ES3_N6thrust23THRUST_200600_302600_NS6detail15normal_iteratorINS9_10device_ptrItEEEESE_tNS9_4plusIvEEtEEDaPvRmT3_T4_T5_mT6_P12ihipStream_tbENKUlT_T0_E_clISt17integral_constantIbLb0EEST_IbLb1EEEEDaSP_SQ_EUlSP_E_NS1_11comp_targetILNS1_3genE0ELNS1_11target_archE4294967295ELNS1_3gpuE0ELNS1_3repE0EEENS1_30default_config_static_selectorELNS0_4arch9wavefront6targetE1EEEvT1_,comdat
	.protected	_ZN7rocprim17ROCPRIM_400000_NS6detail17trampoline_kernelINS0_14default_configENS1_20scan_config_selectorItEEZZNS1_9scan_implILNS1_25lookback_scan_determinismE0ELb0ELb0ES3_N6thrust23THRUST_200600_302600_NS6detail15normal_iteratorINS9_10device_ptrItEEEESE_tNS9_4plusIvEEtEEDaPvRmT3_T4_T5_mT6_P12ihipStream_tbENKUlT_T0_E_clISt17integral_constantIbLb0EEST_IbLb1EEEEDaSP_SQ_EUlSP_E_NS1_11comp_targetILNS1_3genE0ELNS1_11target_archE4294967295ELNS1_3gpuE0ELNS1_3repE0EEENS1_30default_config_static_selectorELNS0_4arch9wavefront6targetE1EEEvT1_ ; -- Begin function _ZN7rocprim17ROCPRIM_400000_NS6detail17trampoline_kernelINS0_14default_configENS1_20scan_config_selectorItEEZZNS1_9scan_implILNS1_25lookback_scan_determinismE0ELb0ELb0ES3_N6thrust23THRUST_200600_302600_NS6detail15normal_iteratorINS9_10device_ptrItEEEESE_tNS9_4plusIvEEtEEDaPvRmT3_T4_T5_mT6_P12ihipStream_tbENKUlT_T0_E_clISt17integral_constantIbLb0EEST_IbLb1EEEEDaSP_SQ_EUlSP_E_NS1_11comp_targetILNS1_3genE0ELNS1_11target_archE4294967295ELNS1_3gpuE0ELNS1_3repE0EEENS1_30default_config_static_selectorELNS0_4arch9wavefront6targetE1EEEvT1_
	.globl	_ZN7rocprim17ROCPRIM_400000_NS6detail17trampoline_kernelINS0_14default_configENS1_20scan_config_selectorItEEZZNS1_9scan_implILNS1_25lookback_scan_determinismE0ELb0ELb0ES3_N6thrust23THRUST_200600_302600_NS6detail15normal_iteratorINS9_10device_ptrItEEEESE_tNS9_4plusIvEEtEEDaPvRmT3_T4_T5_mT6_P12ihipStream_tbENKUlT_T0_E_clISt17integral_constantIbLb0EEST_IbLb1EEEEDaSP_SQ_EUlSP_E_NS1_11comp_targetILNS1_3genE0ELNS1_11target_archE4294967295ELNS1_3gpuE0ELNS1_3repE0EEENS1_30default_config_static_selectorELNS0_4arch9wavefront6targetE1EEEvT1_
	.p2align	8
	.type	_ZN7rocprim17ROCPRIM_400000_NS6detail17trampoline_kernelINS0_14default_configENS1_20scan_config_selectorItEEZZNS1_9scan_implILNS1_25lookback_scan_determinismE0ELb0ELb0ES3_N6thrust23THRUST_200600_302600_NS6detail15normal_iteratorINS9_10device_ptrItEEEESE_tNS9_4plusIvEEtEEDaPvRmT3_T4_T5_mT6_P12ihipStream_tbENKUlT_T0_E_clISt17integral_constantIbLb0EEST_IbLb1EEEEDaSP_SQ_EUlSP_E_NS1_11comp_targetILNS1_3genE0ELNS1_11target_archE4294967295ELNS1_3gpuE0ELNS1_3repE0EEENS1_30default_config_static_selectorELNS0_4arch9wavefront6targetE1EEEvT1_,@function
_ZN7rocprim17ROCPRIM_400000_NS6detail17trampoline_kernelINS0_14default_configENS1_20scan_config_selectorItEEZZNS1_9scan_implILNS1_25lookback_scan_determinismE0ELb0ELb0ES3_N6thrust23THRUST_200600_302600_NS6detail15normal_iteratorINS9_10device_ptrItEEEESE_tNS9_4plusIvEEtEEDaPvRmT3_T4_T5_mT6_P12ihipStream_tbENKUlT_T0_E_clISt17integral_constantIbLb0EEST_IbLb1EEEEDaSP_SQ_EUlSP_E_NS1_11comp_targetILNS1_3genE0ELNS1_11target_archE4294967295ELNS1_3gpuE0ELNS1_3repE0EEENS1_30default_config_static_selectorELNS0_4arch9wavefront6targetE1EEEvT1_: ; @_ZN7rocprim17ROCPRIM_400000_NS6detail17trampoline_kernelINS0_14default_configENS1_20scan_config_selectorItEEZZNS1_9scan_implILNS1_25lookback_scan_determinismE0ELb0ELb0ES3_N6thrust23THRUST_200600_302600_NS6detail15normal_iteratorINS9_10device_ptrItEEEESE_tNS9_4plusIvEEtEEDaPvRmT3_T4_T5_mT6_P12ihipStream_tbENKUlT_T0_E_clISt17integral_constantIbLb0EEST_IbLb1EEEEDaSP_SQ_EUlSP_E_NS1_11comp_targetILNS1_3genE0ELNS1_11target_archE4294967295ELNS1_3gpuE0ELNS1_3repE0EEENS1_30default_config_static_selectorELNS0_4arch9wavefront6targetE1EEEvT1_
; %bb.0:
	.section	.rodata,"a",@progbits
	.p2align	6, 0x0
	.amdhsa_kernel _ZN7rocprim17ROCPRIM_400000_NS6detail17trampoline_kernelINS0_14default_configENS1_20scan_config_selectorItEEZZNS1_9scan_implILNS1_25lookback_scan_determinismE0ELb0ELb0ES3_N6thrust23THRUST_200600_302600_NS6detail15normal_iteratorINS9_10device_ptrItEEEESE_tNS9_4plusIvEEtEEDaPvRmT3_T4_T5_mT6_P12ihipStream_tbENKUlT_T0_E_clISt17integral_constantIbLb0EEST_IbLb1EEEEDaSP_SQ_EUlSP_E_NS1_11comp_targetILNS1_3genE0ELNS1_11target_archE4294967295ELNS1_3gpuE0ELNS1_3repE0EEENS1_30default_config_static_selectorELNS0_4arch9wavefront6targetE1EEEvT1_
		.amdhsa_group_segment_fixed_size 0
		.amdhsa_private_segment_fixed_size 0
		.amdhsa_kernarg_size 96
		.amdhsa_user_sgpr_count 6
		.amdhsa_user_sgpr_private_segment_buffer 1
		.amdhsa_user_sgpr_dispatch_ptr 0
		.amdhsa_user_sgpr_queue_ptr 0
		.amdhsa_user_sgpr_kernarg_segment_ptr 1
		.amdhsa_user_sgpr_dispatch_id 0
		.amdhsa_user_sgpr_flat_scratch_init 0
		.amdhsa_user_sgpr_kernarg_preload_length 0
		.amdhsa_user_sgpr_kernarg_preload_offset 0
		.amdhsa_user_sgpr_private_segment_size 0
		.amdhsa_uses_dynamic_stack 0
		.amdhsa_system_sgpr_private_segment_wavefront_offset 0
		.amdhsa_system_sgpr_workgroup_id_x 1
		.amdhsa_system_sgpr_workgroup_id_y 0
		.amdhsa_system_sgpr_workgroup_id_z 0
		.amdhsa_system_sgpr_workgroup_info 0
		.amdhsa_system_vgpr_workitem_id 0
		.amdhsa_next_free_vgpr 1
		.amdhsa_next_free_sgpr 0
		.amdhsa_accum_offset 4
		.amdhsa_reserve_vcc 0
		.amdhsa_reserve_flat_scratch 0
		.amdhsa_float_round_mode_32 0
		.amdhsa_float_round_mode_16_64 0
		.amdhsa_float_denorm_mode_32 3
		.amdhsa_float_denorm_mode_16_64 3
		.amdhsa_dx10_clamp 1
		.amdhsa_ieee_mode 1
		.amdhsa_fp16_overflow 0
		.amdhsa_tg_split 0
		.amdhsa_exception_fp_ieee_invalid_op 0
		.amdhsa_exception_fp_denorm_src 0
		.amdhsa_exception_fp_ieee_div_zero 0
		.amdhsa_exception_fp_ieee_overflow 0
		.amdhsa_exception_fp_ieee_underflow 0
		.amdhsa_exception_fp_ieee_inexact 0
		.amdhsa_exception_int_div_zero 0
	.end_amdhsa_kernel
	.section	.text._ZN7rocprim17ROCPRIM_400000_NS6detail17trampoline_kernelINS0_14default_configENS1_20scan_config_selectorItEEZZNS1_9scan_implILNS1_25lookback_scan_determinismE0ELb0ELb0ES3_N6thrust23THRUST_200600_302600_NS6detail15normal_iteratorINS9_10device_ptrItEEEESE_tNS9_4plusIvEEtEEDaPvRmT3_T4_T5_mT6_P12ihipStream_tbENKUlT_T0_E_clISt17integral_constantIbLb0EEST_IbLb1EEEEDaSP_SQ_EUlSP_E_NS1_11comp_targetILNS1_3genE0ELNS1_11target_archE4294967295ELNS1_3gpuE0ELNS1_3repE0EEENS1_30default_config_static_selectorELNS0_4arch9wavefront6targetE1EEEvT1_,"axG",@progbits,_ZN7rocprim17ROCPRIM_400000_NS6detail17trampoline_kernelINS0_14default_configENS1_20scan_config_selectorItEEZZNS1_9scan_implILNS1_25lookback_scan_determinismE0ELb0ELb0ES3_N6thrust23THRUST_200600_302600_NS6detail15normal_iteratorINS9_10device_ptrItEEEESE_tNS9_4plusIvEEtEEDaPvRmT3_T4_T5_mT6_P12ihipStream_tbENKUlT_T0_E_clISt17integral_constantIbLb0EEST_IbLb1EEEEDaSP_SQ_EUlSP_E_NS1_11comp_targetILNS1_3genE0ELNS1_11target_archE4294967295ELNS1_3gpuE0ELNS1_3repE0EEENS1_30default_config_static_selectorELNS0_4arch9wavefront6targetE1EEEvT1_,comdat
.Lfunc_end4772:
	.size	_ZN7rocprim17ROCPRIM_400000_NS6detail17trampoline_kernelINS0_14default_configENS1_20scan_config_selectorItEEZZNS1_9scan_implILNS1_25lookback_scan_determinismE0ELb0ELb0ES3_N6thrust23THRUST_200600_302600_NS6detail15normal_iteratorINS9_10device_ptrItEEEESE_tNS9_4plusIvEEtEEDaPvRmT3_T4_T5_mT6_P12ihipStream_tbENKUlT_T0_E_clISt17integral_constantIbLb0EEST_IbLb1EEEEDaSP_SQ_EUlSP_E_NS1_11comp_targetILNS1_3genE0ELNS1_11target_archE4294967295ELNS1_3gpuE0ELNS1_3repE0EEENS1_30default_config_static_selectorELNS0_4arch9wavefront6targetE1EEEvT1_, .Lfunc_end4772-_ZN7rocprim17ROCPRIM_400000_NS6detail17trampoline_kernelINS0_14default_configENS1_20scan_config_selectorItEEZZNS1_9scan_implILNS1_25lookback_scan_determinismE0ELb0ELb0ES3_N6thrust23THRUST_200600_302600_NS6detail15normal_iteratorINS9_10device_ptrItEEEESE_tNS9_4plusIvEEtEEDaPvRmT3_T4_T5_mT6_P12ihipStream_tbENKUlT_T0_E_clISt17integral_constantIbLb0EEST_IbLb1EEEEDaSP_SQ_EUlSP_E_NS1_11comp_targetILNS1_3genE0ELNS1_11target_archE4294967295ELNS1_3gpuE0ELNS1_3repE0EEENS1_30default_config_static_selectorELNS0_4arch9wavefront6targetE1EEEvT1_
                                        ; -- End function
	.section	.AMDGPU.csdata,"",@progbits
; Kernel info:
; codeLenInByte = 0
; NumSgprs: 4
; NumVgprs: 0
; NumAgprs: 0
; TotalNumVgprs: 0
; ScratchSize: 0
; MemoryBound: 0
; FloatMode: 240
; IeeeMode: 1
; LDSByteSize: 0 bytes/workgroup (compile time only)
; SGPRBlocks: 0
; VGPRBlocks: 0
; NumSGPRsForWavesPerEU: 4
; NumVGPRsForWavesPerEU: 1
; AccumOffset: 4
; Occupancy: 8
; WaveLimiterHint : 0
; COMPUTE_PGM_RSRC2:SCRATCH_EN: 0
; COMPUTE_PGM_RSRC2:USER_SGPR: 6
; COMPUTE_PGM_RSRC2:TRAP_HANDLER: 0
; COMPUTE_PGM_RSRC2:TGID_X_EN: 1
; COMPUTE_PGM_RSRC2:TGID_Y_EN: 0
; COMPUTE_PGM_RSRC2:TGID_Z_EN: 0
; COMPUTE_PGM_RSRC2:TIDIG_COMP_CNT: 0
; COMPUTE_PGM_RSRC3_GFX90A:ACCUM_OFFSET: 0
; COMPUTE_PGM_RSRC3_GFX90A:TG_SPLIT: 0
	.section	.text._ZN7rocprim17ROCPRIM_400000_NS6detail17trampoline_kernelINS0_14default_configENS1_20scan_config_selectorItEEZZNS1_9scan_implILNS1_25lookback_scan_determinismE0ELb0ELb0ES3_N6thrust23THRUST_200600_302600_NS6detail15normal_iteratorINS9_10device_ptrItEEEESE_tNS9_4plusIvEEtEEDaPvRmT3_T4_T5_mT6_P12ihipStream_tbENKUlT_T0_E_clISt17integral_constantIbLb0EEST_IbLb1EEEEDaSP_SQ_EUlSP_E_NS1_11comp_targetILNS1_3genE5ELNS1_11target_archE942ELNS1_3gpuE9ELNS1_3repE0EEENS1_30default_config_static_selectorELNS0_4arch9wavefront6targetE1EEEvT1_,"axG",@progbits,_ZN7rocprim17ROCPRIM_400000_NS6detail17trampoline_kernelINS0_14default_configENS1_20scan_config_selectorItEEZZNS1_9scan_implILNS1_25lookback_scan_determinismE0ELb0ELb0ES3_N6thrust23THRUST_200600_302600_NS6detail15normal_iteratorINS9_10device_ptrItEEEESE_tNS9_4plusIvEEtEEDaPvRmT3_T4_T5_mT6_P12ihipStream_tbENKUlT_T0_E_clISt17integral_constantIbLb0EEST_IbLb1EEEEDaSP_SQ_EUlSP_E_NS1_11comp_targetILNS1_3genE5ELNS1_11target_archE942ELNS1_3gpuE9ELNS1_3repE0EEENS1_30default_config_static_selectorELNS0_4arch9wavefront6targetE1EEEvT1_,comdat
	.protected	_ZN7rocprim17ROCPRIM_400000_NS6detail17trampoline_kernelINS0_14default_configENS1_20scan_config_selectorItEEZZNS1_9scan_implILNS1_25lookback_scan_determinismE0ELb0ELb0ES3_N6thrust23THRUST_200600_302600_NS6detail15normal_iteratorINS9_10device_ptrItEEEESE_tNS9_4plusIvEEtEEDaPvRmT3_T4_T5_mT6_P12ihipStream_tbENKUlT_T0_E_clISt17integral_constantIbLb0EEST_IbLb1EEEEDaSP_SQ_EUlSP_E_NS1_11comp_targetILNS1_3genE5ELNS1_11target_archE942ELNS1_3gpuE9ELNS1_3repE0EEENS1_30default_config_static_selectorELNS0_4arch9wavefront6targetE1EEEvT1_ ; -- Begin function _ZN7rocprim17ROCPRIM_400000_NS6detail17trampoline_kernelINS0_14default_configENS1_20scan_config_selectorItEEZZNS1_9scan_implILNS1_25lookback_scan_determinismE0ELb0ELb0ES3_N6thrust23THRUST_200600_302600_NS6detail15normal_iteratorINS9_10device_ptrItEEEESE_tNS9_4plusIvEEtEEDaPvRmT3_T4_T5_mT6_P12ihipStream_tbENKUlT_T0_E_clISt17integral_constantIbLb0EEST_IbLb1EEEEDaSP_SQ_EUlSP_E_NS1_11comp_targetILNS1_3genE5ELNS1_11target_archE942ELNS1_3gpuE9ELNS1_3repE0EEENS1_30default_config_static_selectorELNS0_4arch9wavefront6targetE1EEEvT1_
	.globl	_ZN7rocprim17ROCPRIM_400000_NS6detail17trampoline_kernelINS0_14default_configENS1_20scan_config_selectorItEEZZNS1_9scan_implILNS1_25lookback_scan_determinismE0ELb0ELb0ES3_N6thrust23THRUST_200600_302600_NS6detail15normal_iteratorINS9_10device_ptrItEEEESE_tNS9_4plusIvEEtEEDaPvRmT3_T4_T5_mT6_P12ihipStream_tbENKUlT_T0_E_clISt17integral_constantIbLb0EEST_IbLb1EEEEDaSP_SQ_EUlSP_E_NS1_11comp_targetILNS1_3genE5ELNS1_11target_archE942ELNS1_3gpuE9ELNS1_3repE0EEENS1_30default_config_static_selectorELNS0_4arch9wavefront6targetE1EEEvT1_
	.p2align	8
	.type	_ZN7rocprim17ROCPRIM_400000_NS6detail17trampoline_kernelINS0_14default_configENS1_20scan_config_selectorItEEZZNS1_9scan_implILNS1_25lookback_scan_determinismE0ELb0ELb0ES3_N6thrust23THRUST_200600_302600_NS6detail15normal_iteratorINS9_10device_ptrItEEEESE_tNS9_4plusIvEEtEEDaPvRmT3_T4_T5_mT6_P12ihipStream_tbENKUlT_T0_E_clISt17integral_constantIbLb0EEST_IbLb1EEEEDaSP_SQ_EUlSP_E_NS1_11comp_targetILNS1_3genE5ELNS1_11target_archE942ELNS1_3gpuE9ELNS1_3repE0EEENS1_30default_config_static_selectorELNS0_4arch9wavefront6targetE1EEEvT1_,@function
_ZN7rocprim17ROCPRIM_400000_NS6detail17trampoline_kernelINS0_14default_configENS1_20scan_config_selectorItEEZZNS1_9scan_implILNS1_25lookback_scan_determinismE0ELb0ELb0ES3_N6thrust23THRUST_200600_302600_NS6detail15normal_iteratorINS9_10device_ptrItEEEESE_tNS9_4plusIvEEtEEDaPvRmT3_T4_T5_mT6_P12ihipStream_tbENKUlT_T0_E_clISt17integral_constantIbLb0EEST_IbLb1EEEEDaSP_SQ_EUlSP_E_NS1_11comp_targetILNS1_3genE5ELNS1_11target_archE942ELNS1_3gpuE9ELNS1_3repE0EEENS1_30default_config_static_selectorELNS0_4arch9wavefront6targetE1EEEvT1_: ; @_ZN7rocprim17ROCPRIM_400000_NS6detail17trampoline_kernelINS0_14default_configENS1_20scan_config_selectorItEEZZNS1_9scan_implILNS1_25lookback_scan_determinismE0ELb0ELb0ES3_N6thrust23THRUST_200600_302600_NS6detail15normal_iteratorINS9_10device_ptrItEEEESE_tNS9_4plusIvEEtEEDaPvRmT3_T4_T5_mT6_P12ihipStream_tbENKUlT_T0_E_clISt17integral_constantIbLb0EEST_IbLb1EEEEDaSP_SQ_EUlSP_E_NS1_11comp_targetILNS1_3genE5ELNS1_11target_archE942ELNS1_3gpuE9ELNS1_3repE0EEENS1_30default_config_static_selectorELNS0_4arch9wavefront6targetE1EEEvT1_
; %bb.0:
	.section	.rodata,"a",@progbits
	.p2align	6, 0x0
	.amdhsa_kernel _ZN7rocprim17ROCPRIM_400000_NS6detail17trampoline_kernelINS0_14default_configENS1_20scan_config_selectorItEEZZNS1_9scan_implILNS1_25lookback_scan_determinismE0ELb0ELb0ES3_N6thrust23THRUST_200600_302600_NS6detail15normal_iteratorINS9_10device_ptrItEEEESE_tNS9_4plusIvEEtEEDaPvRmT3_T4_T5_mT6_P12ihipStream_tbENKUlT_T0_E_clISt17integral_constantIbLb0EEST_IbLb1EEEEDaSP_SQ_EUlSP_E_NS1_11comp_targetILNS1_3genE5ELNS1_11target_archE942ELNS1_3gpuE9ELNS1_3repE0EEENS1_30default_config_static_selectorELNS0_4arch9wavefront6targetE1EEEvT1_
		.amdhsa_group_segment_fixed_size 0
		.amdhsa_private_segment_fixed_size 0
		.amdhsa_kernarg_size 96
		.amdhsa_user_sgpr_count 6
		.amdhsa_user_sgpr_private_segment_buffer 1
		.amdhsa_user_sgpr_dispatch_ptr 0
		.amdhsa_user_sgpr_queue_ptr 0
		.amdhsa_user_sgpr_kernarg_segment_ptr 1
		.amdhsa_user_sgpr_dispatch_id 0
		.amdhsa_user_sgpr_flat_scratch_init 0
		.amdhsa_user_sgpr_kernarg_preload_length 0
		.amdhsa_user_sgpr_kernarg_preload_offset 0
		.amdhsa_user_sgpr_private_segment_size 0
		.amdhsa_uses_dynamic_stack 0
		.amdhsa_system_sgpr_private_segment_wavefront_offset 0
		.amdhsa_system_sgpr_workgroup_id_x 1
		.amdhsa_system_sgpr_workgroup_id_y 0
		.amdhsa_system_sgpr_workgroup_id_z 0
		.amdhsa_system_sgpr_workgroup_info 0
		.amdhsa_system_vgpr_workitem_id 0
		.amdhsa_next_free_vgpr 1
		.amdhsa_next_free_sgpr 0
		.amdhsa_accum_offset 4
		.amdhsa_reserve_vcc 0
		.amdhsa_reserve_flat_scratch 0
		.amdhsa_float_round_mode_32 0
		.amdhsa_float_round_mode_16_64 0
		.amdhsa_float_denorm_mode_32 3
		.amdhsa_float_denorm_mode_16_64 3
		.amdhsa_dx10_clamp 1
		.amdhsa_ieee_mode 1
		.amdhsa_fp16_overflow 0
		.amdhsa_tg_split 0
		.amdhsa_exception_fp_ieee_invalid_op 0
		.amdhsa_exception_fp_denorm_src 0
		.amdhsa_exception_fp_ieee_div_zero 0
		.amdhsa_exception_fp_ieee_overflow 0
		.amdhsa_exception_fp_ieee_underflow 0
		.amdhsa_exception_fp_ieee_inexact 0
		.amdhsa_exception_int_div_zero 0
	.end_amdhsa_kernel
	.section	.text._ZN7rocprim17ROCPRIM_400000_NS6detail17trampoline_kernelINS0_14default_configENS1_20scan_config_selectorItEEZZNS1_9scan_implILNS1_25lookback_scan_determinismE0ELb0ELb0ES3_N6thrust23THRUST_200600_302600_NS6detail15normal_iteratorINS9_10device_ptrItEEEESE_tNS9_4plusIvEEtEEDaPvRmT3_T4_T5_mT6_P12ihipStream_tbENKUlT_T0_E_clISt17integral_constantIbLb0EEST_IbLb1EEEEDaSP_SQ_EUlSP_E_NS1_11comp_targetILNS1_3genE5ELNS1_11target_archE942ELNS1_3gpuE9ELNS1_3repE0EEENS1_30default_config_static_selectorELNS0_4arch9wavefront6targetE1EEEvT1_,"axG",@progbits,_ZN7rocprim17ROCPRIM_400000_NS6detail17trampoline_kernelINS0_14default_configENS1_20scan_config_selectorItEEZZNS1_9scan_implILNS1_25lookback_scan_determinismE0ELb0ELb0ES3_N6thrust23THRUST_200600_302600_NS6detail15normal_iteratorINS9_10device_ptrItEEEESE_tNS9_4plusIvEEtEEDaPvRmT3_T4_T5_mT6_P12ihipStream_tbENKUlT_T0_E_clISt17integral_constantIbLb0EEST_IbLb1EEEEDaSP_SQ_EUlSP_E_NS1_11comp_targetILNS1_3genE5ELNS1_11target_archE942ELNS1_3gpuE9ELNS1_3repE0EEENS1_30default_config_static_selectorELNS0_4arch9wavefront6targetE1EEEvT1_,comdat
.Lfunc_end4773:
	.size	_ZN7rocprim17ROCPRIM_400000_NS6detail17trampoline_kernelINS0_14default_configENS1_20scan_config_selectorItEEZZNS1_9scan_implILNS1_25lookback_scan_determinismE0ELb0ELb0ES3_N6thrust23THRUST_200600_302600_NS6detail15normal_iteratorINS9_10device_ptrItEEEESE_tNS9_4plusIvEEtEEDaPvRmT3_T4_T5_mT6_P12ihipStream_tbENKUlT_T0_E_clISt17integral_constantIbLb0EEST_IbLb1EEEEDaSP_SQ_EUlSP_E_NS1_11comp_targetILNS1_3genE5ELNS1_11target_archE942ELNS1_3gpuE9ELNS1_3repE0EEENS1_30default_config_static_selectorELNS0_4arch9wavefront6targetE1EEEvT1_, .Lfunc_end4773-_ZN7rocprim17ROCPRIM_400000_NS6detail17trampoline_kernelINS0_14default_configENS1_20scan_config_selectorItEEZZNS1_9scan_implILNS1_25lookback_scan_determinismE0ELb0ELb0ES3_N6thrust23THRUST_200600_302600_NS6detail15normal_iteratorINS9_10device_ptrItEEEESE_tNS9_4plusIvEEtEEDaPvRmT3_T4_T5_mT6_P12ihipStream_tbENKUlT_T0_E_clISt17integral_constantIbLb0EEST_IbLb1EEEEDaSP_SQ_EUlSP_E_NS1_11comp_targetILNS1_3genE5ELNS1_11target_archE942ELNS1_3gpuE9ELNS1_3repE0EEENS1_30default_config_static_selectorELNS0_4arch9wavefront6targetE1EEEvT1_
                                        ; -- End function
	.section	.AMDGPU.csdata,"",@progbits
; Kernel info:
; codeLenInByte = 0
; NumSgprs: 4
; NumVgprs: 0
; NumAgprs: 0
; TotalNumVgprs: 0
; ScratchSize: 0
; MemoryBound: 0
; FloatMode: 240
; IeeeMode: 1
; LDSByteSize: 0 bytes/workgroup (compile time only)
; SGPRBlocks: 0
; VGPRBlocks: 0
; NumSGPRsForWavesPerEU: 4
; NumVGPRsForWavesPerEU: 1
; AccumOffset: 4
; Occupancy: 8
; WaveLimiterHint : 0
; COMPUTE_PGM_RSRC2:SCRATCH_EN: 0
; COMPUTE_PGM_RSRC2:USER_SGPR: 6
; COMPUTE_PGM_RSRC2:TRAP_HANDLER: 0
; COMPUTE_PGM_RSRC2:TGID_X_EN: 1
; COMPUTE_PGM_RSRC2:TGID_Y_EN: 0
; COMPUTE_PGM_RSRC2:TGID_Z_EN: 0
; COMPUTE_PGM_RSRC2:TIDIG_COMP_CNT: 0
; COMPUTE_PGM_RSRC3_GFX90A:ACCUM_OFFSET: 0
; COMPUTE_PGM_RSRC3_GFX90A:TG_SPLIT: 0
	.section	.text._ZN7rocprim17ROCPRIM_400000_NS6detail17trampoline_kernelINS0_14default_configENS1_20scan_config_selectorItEEZZNS1_9scan_implILNS1_25lookback_scan_determinismE0ELb0ELb0ES3_N6thrust23THRUST_200600_302600_NS6detail15normal_iteratorINS9_10device_ptrItEEEESE_tNS9_4plusIvEEtEEDaPvRmT3_T4_T5_mT6_P12ihipStream_tbENKUlT_T0_E_clISt17integral_constantIbLb0EEST_IbLb1EEEEDaSP_SQ_EUlSP_E_NS1_11comp_targetILNS1_3genE4ELNS1_11target_archE910ELNS1_3gpuE8ELNS1_3repE0EEENS1_30default_config_static_selectorELNS0_4arch9wavefront6targetE1EEEvT1_,"axG",@progbits,_ZN7rocprim17ROCPRIM_400000_NS6detail17trampoline_kernelINS0_14default_configENS1_20scan_config_selectorItEEZZNS1_9scan_implILNS1_25lookback_scan_determinismE0ELb0ELb0ES3_N6thrust23THRUST_200600_302600_NS6detail15normal_iteratorINS9_10device_ptrItEEEESE_tNS9_4plusIvEEtEEDaPvRmT3_T4_T5_mT6_P12ihipStream_tbENKUlT_T0_E_clISt17integral_constantIbLb0EEST_IbLb1EEEEDaSP_SQ_EUlSP_E_NS1_11comp_targetILNS1_3genE4ELNS1_11target_archE910ELNS1_3gpuE8ELNS1_3repE0EEENS1_30default_config_static_selectorELNS0_4arch9wavefront6targetE1EEEvT1_,comdat
	.protected	_ZN7rocprim17ROCPRIM_400000_NS6detail17trampoline_kernelINS0_14default_configENS1_20scan_config_selectorItEEZZNS1_9scan_implILNS1_25lookback_scan_determinismE0ELb0ELb0ES3_N6thrust23THRUST_200600_302600_NS6detail15normal_iteratorINS9_10device_ptrItEEEESE_tNS9_4plusIvEEtEEDaPvRmT3_T4_T5_mT6_P12ihipStream_tbENKUlT_T0_E_clISt17integral_constantIbLb0EEST_IbLb1EEEEDaSP_SQ_EUlSP_E_NS1_11comp_targetILNS1_3genE4ELNS1_11target_archE910ELNS1_3gpuE8ELNS1_3repE0EEENS1_30default_config_static_selectorELNS0_4arch9wavefront6targetE1EEEvT1_ ; -- Begin function _ZN7rocprim17ROCPRIM_400000_NS6detail17trampoline_kernelINS0_14default_configENS1_20scan_config_selectorItEEZZNS1_9scan_implILNS1_25lookback_scan_determinismE0ELb0ELb0ES3_N6thrust23THRUST_200600_302600_NS6detail15normal_iteratorINS9_10device_ptrItEEEESE_tNS9_4plusIvEEtEEDaPvRmT3_T4_T5_mT6_P12ihipStream_tbENKUlT_T0_E_clISt17integral_constantIbLb0EEST_IbLb1EEEEDaSP_SQ_EUlSP_E_NS1_11comp_targetILNS1_3genE4ELNS1_11target_archE910ELNS1_3gpuE8ELNS1_3repE0EEENS1_30default_config_static_selectorELNS0_4arch9wavefront6targetE1EEEvT1_
	.globl	_ZN7rocprim17ROCPRIM_400000_NS6detail17trampoline_kernelINS0_14default_configENS1_20scan_config_selectorItEEZZNS1_9scan_implILNS1_25lookback_scan_determinismE0ELb0ELb0ES3_N6thrust23THRUST_200600_302600_NS6detail15normal_iteratorINS9_10device_ptrItEEEESE_tNS9_4plusIvEEtEEDaPvRmT3_T4_T5_mT6_P12ihipStream_tbENKUlT_T0_E_clISt17integral_constantIbLb0EEST_IbLb1EEEEDaSP_SQ_EUlSP_E_NS1_11comp_targetILNS1_3genE4ELNS1_11target_archE910ELNS1_3gpuE8ELNS1_3repE0EEENS1_30default_config_static_selectorELNS0_4arch9wavefront6targetE1EEEvT1_
	.p2align	8
	.type	_ZN7rocprim17ROCPRIM_400000_NS6detail17trampoline_kernelINS0_14default_configENS1_20scan_config_selectorItEEZZNS1_9scan_implILNS1_25lookback_scan_determinismE0ELb0ELb0ES3_N6thrust23THRUST_200600_302600_NS6detail15normal_iteratorINS9_10device_ptrItEEEESE_tNS9_4plusIvEEtEEDaPvRmT3_T4_T5_mT6_P12ihipStream_tbENKUlT_T0_E_clISt17integral_constantIbLb0EEST_IbLb1EEEEDaSP_SQ_EUlSP_E_NS1_11comp_targetILNS1_3genE4ELNS1_11target_archE910ELNS1_3gpuE8ELNS1_3repE0EEENS1_30default_config_static_selectorELNS0_4arch9wavefront6targetE1EEEvT1_,@function
_ZN7rocprim17ROCPRIM_400000_NS6detail17trampoline_kernelINS0_14default_configENS1_20scan_config_selectorItEEZZNS1_9scan_implILNS1_25lookback_scan_determinismE0ELb0ELb0ES3_N6thrust23THRUST_200600_302600_NS6detail15normal_iteratorINS9_10device_ptrItEEEESE_tNS9_4plusIvEEtEEDaPvRmT3_T4_T5_mT6_P12ihipStream_tbENKUlT_T0_E_clISt17integral_constantIbLb0EEST_IbLb1EEEEDaSP_SQ_EUlSP_E_NS1_11comp_targetILNS1_3genE4ELNS1_11target_archE910ELNS1_3gpuE8ELNS1_3repE0EEENS1_30default_config_static_selectorELNS0_4arch9wavefront6targetE1EEEvT1_: ; @_ZN7rocprim17ROCPRIM_400000_NS6detail17trampoline_kernelINS0_14default_configENS1_20scan_config_selectorItEEZZNS1_9scan_implILNS1_25lookback_scan_determinismE0ELb0ELb0ES3_N6thrust23THRUST_200600_302600_NS6detail15normal_iteratorINS9_10device_ptrItEEEESE_tNS9_4plusIvEEtEEDaPvRmT3_T4_T5_mT6_P12ihipStream_tbENKUlT_T0_E_clISt17integral_constantIbLb0EEST_IbLb1EEEEDaSP_SQ_EUlSP_E_NS1_11comp_targetILNS1_3genE4ELNS1_11target_archE910ELNS1_3gpuE8ELNS1_3repE0EEENS1_30default_config_static_selectorELNS0_4arch9wavefront6targetE1EEEvT1_
; %bb.0:
	s_load_dwordx2 s[28:29], s[4:5], 0x28
	v_cmp_ne_u32_e64 s[0:1], 0, v0
	v_cmp_eq_u32_e64 s[2:3], 0, v0
	s_and_saveexec_b64 s[6:7], s[2:3]
	s_cbranch_execz .LBB4774_4
; %bb.1:
	s_mov_b64 s[10:11], exec
	v_mbcnt_lo_u32_b32 v1, s10, 0
	v_mbcnt_hi_u32_b32 v1, s11, v1
	v_cmp_eq_u32_e32 vcc, 0, v1
                                        ; implicit-def: $vgpr2
	s_and_saveexec_b64 s[8:9], vcc
	s_cbranch_execz .LBB4774_3
; %bb.2:
	s_load_dwordx2 s[12:13], s[4:5], 0x58
	s_bcnt1_i32_b64 s10, s[10:11]
	v_mov_b32_e32 v2, 0
	v_mov_b32_e32 v3, s10
	s_waitcnt lgkmcnt(0)
	global_atomic_add v2, v2, v3, s[12:13] glc
.LBB4774_3:
	s_or_b64 exec, exec, s[8:9]
	s_waitcnt vmcnt(0)
	v_readfirstlane_b32 s8, v2
	v_add_u32_e32 v1, s8, v1
	v_mov_b32_e32 v2, 0
	ds_write_b32 v2, v1
.LBB4774_4:
	s_or_b64 exec, exec, s[6:7]
	s_load_dwordx8 s[20:27], s[4:5], 0x0
	s_load_dword s6, s[4:5], 0x30
	s_load_dwordx8 s[12:19], s[4:5], 0x38
	v_mov_b32_e32 v1, 0
	s_waitcnt lgkmcnt(0)
	; wave barrier
	s_waitcnt lgkmcnt(0)
	ds_read_b32 v1, v1
	s_lshl_b64 s[10:11], s[22:23], 1
	s_add_u32 s7, s20, s10
	s_addc_u32 s8, s21, s11
	s_add_i32 s6, s6, -1
	s_mul_i32 s9, s6, 0x600
	s_sub_u32 s30, s26, s9
	s_waitcnt lgkmcnt(0)
	v_readfirstlane_b32 s33, v1
	s_subb_u32 s31, s27, 0
	s_mul_i32 s4, s33, 0x600
	s_mov_b32 s5, 0
	s_cmp_lg_u32 s33, s6
	s_cselect_b64 s[20:21], -1, 0
	s_lshl_b64 s[22:23], s[4:5], 1
	s_add_u32 s6, s7, s22
	s_addc_u32 s7, s8, s23
	s_mov_b64 s[4:5], -1
	s_and_b64 vcc, exec, s[20:21]
	v_lshlrev_b32_e32 v20, 1, v0
	s_waitcnt lgkmcnt(0)
	; wave barrier
	s_cbranch_vccz .LBB4774_6
; %bb.5:
	v_mov_b32_e32 v1, s7
	v_add_co_u32_e32 v2, vcc, s6, v20
	v_addc_co_u32_e32 v3, vcc, 0, v1, vcc
	flat_load_ushort v1, v[2:3]
	flat_load_ushort v4, v[2:3] offset:128
	flat_load_ushort v5, v[2:3] offset:256
	;; [unrolled: 1-line block ×23, first 2 shown]
	s_mov_b64 s[4:5], 0
	s_waitcnt vmcnt(0) lgkmcnt(0)
	ds_write_b16 v20, v1
	ds_write_b16 v20, v4 offset:128
	ds_write_b16 v20, v5 offset:256
	;; [unrolled: 1-line block ×23, first 2 shown]
	s_waitcnt lgkmcnt(0)
	; wave barrier
.LBB4774_6:
	s_andn2_b64 vcc, exec, s[4:5]
	v_cmp_gt_u32_e64 s[4:5], s30, v0
	s_cbranch_vccnz .LBB4774_56
; %bb.7:
	v_pk_mov_b32 v[2:3], s[6:7], s[6:7] op_sel:[0,1]
	flat_load_ushort v1, v[2:3]
	s_waitcnt vmcnt(0) lgkmcnt(0)
	v_mov_b32_e32 v2, v1
	s_and_saveexec_b64 s[8:9], s[4:5]
	s_cbranch_execz .LBB4774_9
; %bb.8:
	v_mov_b32_e32 v3, s7
	v_add_co_u32_e32 v2, vcc, s6, v20
	v_addc_co_u32_e32 v3, vcc, 0, v3, vcc
	flat_load_ushort v2, v[2:3]
.LBB4774_9:
	s_or_b64 exec, exec, s[8:9]
	v_or_b32_e32 v3, 64, v0
	v_cmp_gt_u32_e32 vcc, s30, v3
	v_mov_b32_e32 v3, v1
	s_and_saveexec_b64 s[4:5], vcc
	s_cbranch_execz .LBB4774_11
; %bb.10:
	v_mov_b32_e32 v3, s7
	v_add_co_u32_e32 v4, vcc, s6, v20
	v_addc_co_u32_e32 v5, vcc, 0, v3, vcc
	flat_load_ushort v3, v[4:5] offset:128
.LBB4774_11:
	s_or_b64 exec, exec, s[4:5]
	v_or_b32_e32 v4, 0x80, v0
	v_cmp_gt_u32_e32 vcc, s30, v4
	v_mov_b32_e32 v4, v1
	s_and_saveexec_b64 s[4:5], vcc
	s_cbranch_execz .LBB4774_13
; %bb.12:
	v_mov_b32_e32 v5, s7
	v_add_co_u32_e32 v4, vcc, s6, v20
	v_addc_co_u32_e32 v5, vcc, 0, v5, vcc
	flat_load_ushort v4, v[4:5] offset:256
.LBB4774_13:
	;; [unrolled: 12-line block ×22, first 2 shown]
	s_or_b64 exec, exec, s[4:5]
	v_or_b32_e32 v26, 0x5c0, v0
	v_cmp_gt_u32_e32 vcc, s30, v26
	s_and_saveexec_b64 s[4:5], vcc
	s_cbranch_execz .LBB4774_55
; %bb.54:
	v_mov_b32_e32 v1, s7
	v_add_co_u32_e32 v26, vcc, s6, v20
	v_addc_co_u32_e32 v27, vcc, 0, v1, vcc
	flat_load_ushort v1, v[26:27] offset:2944
.LBB4774_55:
	s_or_b64 exec, exec, s[4:5]
	s_waitcnt vmcnt(0) lgkmcnt(0)
	ds_write_b16 v20, v2
	ds_write_b16 v20, v3 offset:128
	ds_write_b16 v20, v4 offset:256
	;; [unrolled: 1-line block ×23, first 2 shown]
	s_waitcnt lgkmcnt(0)
	; wave barrier
.LBB4774_56:
	v_mul_u32_u24_e32 v21, 24, v0
	v_lshlrev_b32_e32 v1, 1, v21
	s_waitcnt lgkmcnt(0)
	ds_read_b128 v[10:13], v1
	ds_read_b128 v[6:9], v1 offset:16
	ds_read_b128 v[2:5], v1 offset:32
	s_cmp_lg_u32 s33, 0
	v_mbcnt_lo_u32_b32 v22, -1, 0
	v_cmp_eq_u32_e32 vcc, 63, v0
	s_waitcnt lgkmcnt(0)
	; wave barrier
	s_waitcnt lgkmcnt(0)
	s_cbranch_scc0 .LBB4774_79
; %bb.57:
	v_add_u16_sdwa v14, v10, v10 dst_sel:DWORD dst_unused:UNUSED_PAD src0_sel:WORD_1 src1_sel:DWORD
	v_add_u16_e32 v14, v14, v11
	v_add_u16_sdwa v14, v14, v11 dst_sel:DWORD dst_unused:UNUSED_PAD src0_sel:DWORD src1_sel:WORD_1
	v_add_u16_e32 v14, v14, v12
	v_add_u16_sdwa v14, v14, v12 dst_sel:DWORD dst_unused:UNUSED_PAD src0_sel:DWORD src1_sel:WORD_1
	;; [unrolled: 2-line block ×10, first 2 shown]
	v_add_u16_e32 v14, v14, v5
	v_mbcnt_hi_u32_b32 v15, -1, v22
	v_add_u16_sdwa v14, v14, v5 dst_sel:DWORD dst_unused:UNUSED_PAD src0_sel:DWORD src1_sel:WORD_1
	v_and_b32_e32 v16, 15, v15
	v_cmp_ne_u32_e64 s[4:5], 0, v16
	v_mov_b32_dpp v17, v14 row_shr:1 row_mask:0xf bank_mask:0xf
	v_cndmask_b32_e64 v17, 0, v17, s[4:5]
	v_add_u16_e32 v14, v17, v14
	v_cmp_lt_u32_e64 s[4:5], 1, v16
	s_nop 0
	v_mov_b32_dpp v17, v14 row_shr:2 row_mask:0xf bank_mask:0xf
	v_cndmask_b32_e64 v17, 0, v17, s[4:5]
	v_add_u16_e32 v14, v14, v17
	v_cmp_lt_u32_e64 s[4:5], 3, v16
	s_nop 0
	;; [unrolled: 5-line block ×3, first 2 shown]
	v_mov_b32_dpp v17, v14 row_shr:8 row_mask:0xf bank_mask:0xf
	v_cndmask_b32_e64 v16, 0, v17, s[4:5]
	v_add_u16_e32 v14, v14, v16
	v_and_b32_e32 v17, 16, v15
	v_cmp_ne_u32_e64 s[4:5], 0, v17
	v_mov_b32_dpp v16, v14 row_bcast:15 row_mask:0xf bank_mask:0xf
	v_cndmask_b32_e64 v16, 0, v16, s[4:5]
	v_add_u16_e32 v14, v14, v16
	v_cmp_lt_u32_e64 s[4:5], 31, v15
	s_nop 0
	v_mov_b32_dpp v16, v14 row_bcast:31 row_mask:0xf bank_mask:0xf
	v_cndmask_b32_e64 v16, 0, v16, s[4:5]
	v_add_u16_e32 v14, v14, v16
	s_and_saveexec_b64 s[4:5], vcc
	s_cbranch_execz .LBB4774_59
; %bb.58:
	v_mov_b32_e32 v16, 0
	ds_write_b16 v16, v14
.LBB4774_59:
	s_or_b64 exec, exec, s[4:5]
	v_add_u32_e32 v16, -1, v15
	v_and_b32_e32 v17, 64, v15
	v_cmp_lt_i32_e32 vcc, v16, v17
	v_cndmask_b32_e32 v16, v16, v15, vcc
	v_lshlrev_b32_e32 v16, 2, v16
	ds_bpermute_b32 v23, v16, v14
	v_cmp_gt_u32_e32 vcc, 64, v0
	s_waitcnt lgkmcnt(0)
	; wave barrier
	s_waitcnt lgkmcnt(0)
	s_and_saveexec_b64 s[26:27], vcc
	s_cbranch_execz .LBB4774_78
; %bb.60:
	v_mov_b32_e32 v17, 0
	ds_read_u16 v24, v17
	s_mov_b32 s9, 0
	v_cmp_eq_u32_e64 s[4:5], 0, v15
	s_and_saveexec_b64 s[6:7], s[4:5]
	s_cbranch_execz .LBB4774_62
; %bb.61:
	s_add_i32 s8, s33, 64
	s_lshl_b64 s[8:9], s[8:9], 2
	s_add_u32 s8, s28, s8
	s_waitcnt lgkmcnt(0)
	v_or_b32_e32 v14, 0x10000, v24
	s_addc_u32 s9, s29, s9
	global_store_dword v17, v14, s[8:9]
.LBB4774_62:
	s_or_b64 exec, exec, s[6:7]
	v_xad_u32 v14, v15, -1, s33
	v_add_u32_e32 v16, 64, v14
	v_lshlrev_b64 v[18:19], 2, v[16:17]
	v_mov_b32_e32 v16, s29
	v_add_co_u32_e32 v18, vcc, s28, v18
	v_addc_co_u32_e32 v19, vcc, v16, v19, vcc
	global_load_dword v37, v[18:19], off glc
	s_waitcnt vmcnt(0)
	v_lshrrev_b32_e32 v26, 16, v37
	v_cmp_eq_u16_sdwa s[8:9], v26, v17 src0_sel:BYTE_0 src1_sel:DWORD
	s_and_saveexec_b64 s[6:7], s[8:9]
	s_cbranch_execz .LBB4774_66
; %bb.63:
	s_mov_b64 s[8:9], 0
	v_mov_b32_e32 v16, 0
.LBB4774_64:                            ; =>This Inner Loop Header: Depth=1
	global_load_dword v37, v[18:19], off glc
	s_waitcnt vmcnt(0)
	v_lshrrev_b32_e32 v26, 16, v37
	v_cmp_ne_u16_sdwa s[34:35], v26, v16 src0_sel:BYTE_0 src1_sel:DWORD
	s_or_b64 s[8:9], s[34:35], s[8:9]
	s_andn2_b64 exec, exec, s[8:9]
	s_cbranch_execnz .LBB4774_64
; %bb.65:
	s_or_b64 exec, exec, s[8:9]
.LBB4774_66:
	s_or_b64 exec, exec, s[6:7]
	v_and_b32_e32 v27, 63, v15
	v_cmp_ne_u32_e32 vcc, 63, v27
	v_mov_b32_e32 v25, 2
	v_addc_co_u32_e32 v28, vcc, 0, v15, vcc
	v_cmp_eq_u16_sdwa s[6:7], v26, v25 src0_sel:BYTE_0 src1_sel:DWORD
	v_lshlrev_b64 v[16:17], v15, -1
	v_and_b32_e32 v29, 0xffff, v37
	v_lshlrev_b32_e32 v28, 2, v28
	v_and_b32_e32 v18, s7, v17
	ds_bpermute_b32 v30, v28, v29
	v_or_b32_e32 v18, 0x80000000, v18
	v_and_b32_e32 v19, s6, v16
	v_ffbl_b32_e32 v18, v18
	v_add_u32_e32 v18, 32, v18
	v_ffbl_b32_e32 v19, v19
	v_min_u32_e32 v18, v19, v18
	s_waitcnt lgkmcnt(0)
	v_add_u16_e32 v19, v30, v37
	v_cmp_lt_u32_e32 vcc, v27, v18
	v_cmp_gt_u32_e64 s[6:7], 62, v27
	v_cndmask_b32_e32 v31, v29, v19, vcc
	v_cndmask_b32_e64 v29, 0, 1, s[6:7]
	v_lshlrev_b32_e32 v29, 1, v29
	v_add_lshl_u32 v29, v29, v15, 2
	ds_bpermute_b32 v32, v29, v31
	v_cndmask_b32_e32 v19, v37, v19, vcc
	v_add_u32_e32 v30, 2, v27
	v_cmp_gt_u32_e64 s[6:7], v30, v18
	v_cmp_gt_u32_e64 s[8:9], 60, v27
	s_waitcnt lgkmcnt(0)
	v_add_u16_e32 v32, v19, v32
	v_cndmask_b32_e64 v33, v32, v31, s[6:7]
	v_cndmask_b32_e64 v31, 0, 1, s[8:9]
	v_lshlrev_b32_e32 v31, 2, v31
	v_add_lshl_u32 v31, v31, v15, 2
	ds_bpermute_b32 v34, v31, v33
	v_cndmask_b32_e64 v19, v32, v19, s[6:7]
	v_add_u32_e32 v32, 4, v27
	v_cmp_gt_u32_e64 s[6:7], v32, v18
	v_cmp_gt_u32_e64 s[8:9], 56, v27
	s_waitcnt lgkmcnt(0)
	v_add_u16_e32 v34, v19, v34
	v_cndmask_b32_e64 v35, v34, v33, s[6:7]
	v_cndmask_b32_e64 v33, 0, 1, s[8:9]
	v_lshlrev_b32_e32 v33, 3, v33
	v_add_lshl_u32 v33, v33, v15, 2
	ds_bpermute_b32 v36, v33, v35
	v_cndmask_b32_e64 v19, v34, v19, s[6:7]
	;; [unrolled: 11-line block ×3, first 2 shown]
	v_add_u32_e32 v36, 16, v27
	v_cmp_gt_u32_e64 s[6:7], v36, v18
	v_cmp_gt_u32_e64 s[8:9], 32, v27
	s_waitcnt lgkmcnt(0)
	v_add_u16_e32 v40, v19, v39
	v_cndmask_b32_e64 v39, v40, v38, s[6:7]
	v_cndmask_b32_e64 v38, 0, 1, s[8:9]
	v_lshlrev_b32_e32 v38, 5, v38
	v_add_lshl_u32 v38, v38, v15, 2
	ds_bpermute_b32 v15, v38, v39
	v_add_u32_e32 v39, 32, v27
	v_cndmask_b32_e64 v19, v40, v19, s[6:7]
	v_cmp_le_u32_e64 s[6:7], v39, v18
	s_waitcnt lgkmcnt(0)
	v_cndmask_b32_e64 v15, 0, v15, s[6:7]
	v_add_u16_e32 v15, v19, v15
	v_cndmask_b32_e32 v18, v37, v15, vcc
	v_mov_b32_e32 v15, 0
	s_branch .LBB4774_68
.LBB4774_67:                            ;   in Loop: Header=BB4774_68 Depth=1
	s_or_b64 exec, exec, s[6:7]
	v_cmp_eq_u16_sdwa s[6:7], v26, v25 src0_sel:BYTE_0 src1_sel:DWORD
	v_and_b32_e32 v41, 0xffff, v40
	v_and_b32_e32 v18, s7, v17
	ds_bpermute_b32 v42, v28, v41
	v_or_b32_e32 v18, 0x80000000, v18
	v_and_b32_e32 v19, s6, v16
	v_ffbl_b32_e32 v18, v18
	v_add_u32_e32 v18, 32, v18
	v_ffbl_b32_e32 v19, v19
	v_min_u32_e32 v18, v19, v18
	s_waitcnt lgkmcnt(0)
	v_add_u16_e32 v19, v42, v40
	v_cmp_lt_u32_e32 vcc, v27, v18
	v_cndmask_b32_e32 v41, v41, v19, vcc
	ds_bpermute_b32 v42, v29, v41
	v_cndmask_b32_e32 v19, v40, v19, vcc
	v_cmp_gt_u32_e64 s[6:7], v30, v18
	v_subrev_u32_e32 v14, 64, v14
	s_waitcnt lgkmcnt(0)
	v_add_u16_e32 v42, v19, v42
	v_cndmask_b32_e64 v41, v42, v41, s[6:7]
	ds_bpermute_b32 v43, v31, v41
	v_cndmask_b32_e64 v19, v42, v19, s[6:7]
	v_cmp_gt_u32_e64 s[6:7], v32, v18
	s_waitcnt lgkmcnt(0)
	v_add_u16_e32 v42, v19, v43
	v_cndmask_b32_e64 v41, v42, v41, s[6:7]
	ds_bpermute_b32 v43, v33, v41
	v_cndmask_b32_e64 v19, v42, v19, s[6:7]
	v_cmp_gt_u32_e64 s[6:7], v34, v18
	;; [unrolled: 6-line block ×3, first 2 shown]
	s_waitcnt lgkmcnt(0)
	v_add_u16_e32 v42, v19, v43
	v_cndmask_b32_e64 v41, v42, v41, s[6:7]
	ds_bpermute_b32 v41, v38, v41
	v_cndmask_b32_e64 v19, v42, v19, s[6:7]
	v_cmp_le_u32_e64 s[6:7], v39, v18
	s_waitcnt lgkmcnt(0)
	v_cndmask_b32_e64 v18, 0, v41, s[6:7]
	v_add_u16_e32 v18, v19, v18
	v_cndmask_b32_e32 v18, v40, v18, vcc
	v_add_u16_e32 v18, v18, v37
.LBB4774_68:                            ; =>This Loop Header: Depth=1
                                        ;     Child Loop BB4774_71 Depth 2
	v_cmp_ne_u16_sdwa s[6:7], v26, v25 src0_sel:BYTE_0 src1_sel:DWORD
	v_cndmask_b32_e64 v19, 0, 1, s[6:7]
	;;#ASMSTART
	;;#ASMEND
	v_cmp_ne_u32_e32 vcc, 0, v19
	s_cmp_lg_u64 vcc, exec
	v_mov_b32_e32 v37, v18
	s_cbranch_scc1 .LBB4774_73
; %bb.69:                               ;   in Loop: Header=BB4774_68 Depth=1
	v_lshlrev_b64 v[18:19], 2, v[14:15]
	v_mov_b32_e32 v26, s29
	v_add_co_u32_e32 v18, vcc, s28, v18
	v_addc_co_u32_e32 v19, vcc, v26, v19, vcc
	global_load_dword v40, v[18:19], off glc
	s_waitcnt vmcnt(0)
	v_lshrrev_b32_e32 v26, 16, v40
	v_cmp_eq_u16_sdwa s[8:9], v26, v15 src0_sel:BYTE_0 src1_sel:DWORD
	s_and_saveexec_b64 s[6:7], s[8:9]
	s_cbranch_execz .LBB4774_67
; %bb.70:                               ;   in Loop: Header=BB4774_68 Depth=1
	s_mov_b64 s[8:9], 0
.LBB4774_71:                            ;   Parent Loop BB4774_68 Depth=1
                                        ; =>  This Inner Loop Header: Depth=2
	global_load_dword v40, v[18:19], off glc
	s_waitcnt vmcnt(0)
	v_lshrrev_b32_e32 v26, 16, v40
	v_cmp_ne_u16_sdwa s[34:35], v26, v15 src0_sel:BYTE_0 src1_sel:DWORD
	s_or_b64 s[8:9], s[34:35], s[8:9]
	s_andn2_b64 exec, exec, s[8:9]
	s_cbranch_execnz .LBB4774_71
; %bb.72:                               ;   in Loop: Header=BB4774_68 Depth=1
	s_or_b64 exec, exec, s[8:9]
	s_branch .LBB4774_67
.LBB4774_73:                            ;   in Loop: Header=BB4774_68 Depth=1
                                        ; implicit-def: $vgpr18
                                        ; implicit-def: $vgpr26
	s_cbranch_execz .LBB4774_68
; %bb.74:
	s_and_saveexec_b64 s[6:7], s[4:5]
	s_cbranch_execz .LBB4774_76
; %bb.75:
	s_add_i32 s4, s33, 64
	s_mov_b32 s5, 0
	s_lshl_b64 s[4:5], s[4:5], 2
	v_add_u16_e32 v14, v37, v24
	s_add_u32 s4, s28, s4
	v_or_b32_e32 v14, 0x20000, v14
	s_addc_u32 s5, s29, s5
	v_mov_b32_e32 v15, 0
	global_store_dword v15, v14, s[4:5]
.LBB4774_76:
	s_or_b64 exec, exec, s[6:7]
	s_and_b64 exec, exec, s[2:3]
	s_cbranch_execz .LBB4774_78
; %bb.77:
	v_mov_b32_e32 v14, 0
	ds_write_b16 v14, v37
.LBB4774_78:
	s_or_b64 exec, exec, s[26:27]
	v_mov_b32_e32 v14, 0
	s_waitcnt lgkmcnt(0)
	; wave barrier
	s_waitcnt lgkmcnt(0)
	ds_read_u16 v14, v14
	v_cndmask_b32_e64 v15, v23, 0, s[2:3]
	v_add_u16_e32 v15, v15, v10
	s_waitcnt lgkmcnt(0)
	v_add_u16_e32 v14, v15, v14
	v_add_u16_sdwa v15, v14, v10 dst_sel:DWORD dst_unused:UNUSED_PAD src0_sel:DWORD src1_sel:WORD_1
	v_add_u16_e32 v16, v15, v11
	v_add_u16_sdwa v17, v16, v11 dst_sel:DWORD dst_unused:UNUSED_PAD src0_sel:DWORD src1_sel:WORD_1
	;; [unrolled: 2-line block ×12, first 2 shown]
	s_branch .LBB4774_89
.LBB4774_79:
                                        ; implicit-def: $vgpr14
                                        ; implicit-def: $vgpr15
                                        ; implicit-def: $vgpr16
                                        ; implicit-def: $vgpr17
                                        ; implicit-def: $vgpr18
                                        ; implicit-def: $vgpr19
                                        ; implicit-def: $vgpr24
                                        ; implicit-def: $vgpr26
                                        ; implicit-def: $vgpr23
                                        ; implicit-def: $vgpr25
                                        ; implicit-def: $vgpr27
                                        ; implicit-def: $vgpr28
                                        ; implicit-def: $vgpr29
                                        ; implicit-def: $vgpr30
                                        ; implicit-def: $vgpr32
                                        ; implicit-def: $vgpr34
                                        ; implicit-def: $vgpr31
                                        ; implicit-def: $vgpr33
                                        ; implicit-def: $vgpr35
                                        ; implicit-def: $vgpr36
                                        ; implicit-def: $vgpr37
                                        ; implicit-def: $vgpr38
                                        ; implicit-def: $vgpr39
                                        ; implicit-def: $vgpr40
	s_cbranch_execz .LBB4774_89
; %bb.80:
	s_cmp_lg_u64 s[16:17], 0
	s_cselect_b64 s[4:5], -1, 0
	s_and_b64 s[4:5], s[2:3], s[4:5]
	v_mov_b32_e32 v14, v10
	s_and_saveexec_b64 s[2:3], s[4:5]
	s_cbranch_execz .LBB4774_82
; %bb.81:
	v_mov_b32_e32 v14, 0
	global_load_ushort v14, v14, s[12:13]
	s_waitcnt vmcnt(0)
	v_add_u16_e32 v14, v14, v10
.LBB4774_82:
	s_or_b64 exec, exec, s[2:3]
	v_add_u16_sdwa v15, v14, v10 dst_sel:DWORD dst_unused:UNUSED_PAD src0_sel:DWORD src1_sel:WORD_1
	v_add_u16_e32 v16, v15, v11
	v_add_u16_sdwa v17, v16, v11 dst_sel:DWORD dst_unused:UNUSED_PAD src0_sel:DWORD src1_sel:WORD_1
	v_add_u16_e32 v18, v17, v12
	;; [unrolled: 2-line block ×11, first 2 shown]
	v_mbcnt_hi_u32_b32 v22, -1, v22
	v_add_u16_sdwa v40, v39, v5 dst_sel:DWORD dst_unused:UNUSED_PAD src0_sel:DWORD src1_sel:WORD_1
	v_and_b32_e32 v41, 15, v22
	v_cmp_ne_u32_e32 vcc, 0, v41
	v_mov_b32_dpp v42, v40 row_shr:1 row_mask:0xf bank_mask:0xf
	v_cndmask_b32_e32 v42, 0, v42, vcc
	v_add_u16_e32 v42, v40, v42
	v_cmp_lt_u32_e32 vcc, 1, v41
	s_nop 0
	v_mov_b32_dpp v43, v42 row_shr:2 row_mask:0xf bank_mask:0xf
	v_cndmask_b32_e32 v43, 0, v43, vcc
	v_add_u16_e32 v42, v42, v43
	v_cmp_lt_u32_e32 vcc, 3, v41
	s_nop 0
	;; [unrolled: 5-line block ×3, first 2 shown]
	v_mov_b32_dpp v43, v42 row_shr:8 row_mask:0xf bank_mask:0xf
	v_cndmask_b32_e32 v41, 0, v43, vcc
	v_add_u16_e32 v41, v42, v41
	v_and_b32_e32 v43, 16, v22
	v_cmp_ne_u32_e32 vcc, 0, v43
	v_mov_b32_dpp v42, v41 row_bcast:15 row_mask:0xf bank_mask:0xf
	v_cndmask_b32_e32 v42, 0, v42, vcc
	v_add_u16_e32 v41, v41, v42
	v_cmp_lt_u32_e32 vcc, 31, v22
	s_nop 0
	v_mov_b32_dpp v42, v41 row_bcast:31 row_mask:0xf bank_mask:0xf
	v_cndmask_b32_e32 v42, 0, v42, vcc
	v_add_u16_e32 v41, v41, v42
	v_cmp_eq_u32_e32 vcc, 63, v0
	s_and_saveexec_b64 s[2:3], vcc
	s_cbranch_execz .LBB4774_84
; %bb.83:
	v_mov_b32_e32 v42, 0
	ds_write_b16 v42, v41
.LBB4774_84:
	s_or_b64 exec, exec, s[2:3]
	v_add_u32_e32 v42, -1, v22
	v_and_b32_e32 v43, 64, v22
	v_cmp_lt_i32_e64 s[2:3], v42, v43
	v_cndmask_b32_e64 v22, v42, v22, s[2:3]
	v_lshlrev_b32_e32 v22, 2, v22
	ds_bpermute_b32 v22, v22, v41
	s_waitcnt lgkmcnt(0)
	; wave barrier
	s_waitcnt lgkmcnt(0)
	s_and_saveexec_b64 s[2:3], s[0:1]
	s_cbranch_execz .LBB4774_86
; %bb.85:
	v_add_u16_e32 v14, v14, v22
	v_add_u16_sdwa v15, v14, v10 dst_sel:DWORD dst_unused:UNUSED_PAD src0_sel:DWORD src1_sel:WORD_1
	v_add_u16_e32 v16, v15, v11
	v_add_u16_sdwa v17, v16, v11 dst_sel:DWORD dst_unused:UNUSED_PAD src0_sel:DWORD src1_sel:WORD_1
	;; [unrolled: 2-line block ×12, first 2 shown]
	;;#ASMSTART
	;;#ASMEND
.LBB4774_86:
	s_or_b64 exec, exec, s[2:3]
	s_and_saveexec_b64 s[0:1], vcc
	s_cbranch_execz .LBB4774_88
; %bb.87:
	s_mov_b32 s2, 0x20000
	v_mov_b32_e32 v2, 0
	v_or_b32_sdwa v3, v40, s2 dst_sel:DWORD dst_unused:UNUSED_PAD src0_sel:WORD_0 src1_sel:DWORD
	global_store_dword v2, v3, s[28:29] offset:256
.LBB4774_88:
	s_or_b64 exec, exec, s[0:1]
.LBB4774_89:
	s_add_u32 s0, s24, s10
	s_addc_u32 s1, s25, s11
	s_add_u32 s2, s0, s22
	s_addc_u32 s3, s1, s23
	s_mov_b64 s[0:1], -1
	s_and_b64 vcc, exec, s[20:21]
	s_waitcnt lgkmcnt(0)
	; wave barrier
	s_cbranch_vccz .LBB4774_91
; %bb.90:
	s_mov_b32 s0, 0x5040100
	v_perm_b32 v5, v26, v24, s0
	v_perm_b32 v4, v19, v18, s0
	;; [unrolled: 1-line block ×4, first 2 shown]
	ds_write_b128 v1, v[2:5]
	v_perm_b32 v5, v34, v32, s0
	v_perm_b32 v4, v30, v29, s0
	;; [unrolled: 1-line block ×4, first 2 shown]
	ds_write_b128 v1, v[2:5] offset:16
	v_perm_b32 v5, v40, v39, s0
	v_perm_b32 v4, v38, v37, s0
	;; [unrolled: 1-line block ×4, first 2 shown]
	ds_write_b128 v1, v[2:5] offset:32
	s_waitcnt lgkmcnt(0)
	; wave barrier
	s_waitcnt lgkmcnt(0)
	ds_read_u16 v4, v20
	ds_read_u16 v5, v20 offset:128
	ds_read_u16 v6, v20 offset:256
	;; [unrolled: 1-line block ×23, first 2 shown]
	v_mov_b32_e32 v3, s3
	v_add_co_u32_e32 v2, vcc, s2, v20
	v_addc_co_u32_e32 v3, vcc, 0, v3, vcc
	s_waitcnt lgkmcnt(14)
	flat_store_short v[2:3], v4
	flat_store_short v[2:3], v5 offset:128
	flat_store_short v[2:3], v6 offset:256
	;; [unrolled: 1-line block ×9, first 2 shown]
	s_waitcnt lgkmcnt(0)
	flat_store_short v[2:3], v22 offset:1280
	flat_store_short v[2:3], v41 offset:1408
	;; [unrolled: 1-line block ×14, first 2 shown]
	s_mov_b64 s[0:1], 0
.LBB4774_91:
	s_andn2_b64 vcc, exec, s[0:1]
	s_cbranch_vccnz .LBB4774_148
; %bb.92:
	s_mov_b32 s0, 0x5040100
	v_perm_b32 v5, v26, v24, s0
	v_perm_b32 v4, v19, v18, s0
	;; [unrolled: 1-line block ×4, first 2 shown]
	ds_write_b128 v1, v[2:5]
	v_perm_b32 v5, v34, v32, s0
	v_perm_b32 v4, v30, v29, s0
	;; [unrolled: 1-line block ×4, first 2 shown]
	ds_write_b128 v1, v[2:5] offset:16
	v_perm_b32 v5, v40, v39, s0
	v_perm_b32 v4, v38, v37, s0
	;; [unrolled: 1-line block ×4, first 2 shown]
	ds_write_b128 v1, v[2:5] offset:32
	s_waitcnt lgkmcnt(0)
	; wave barrier
	s_waitcnt lgkmcnt(0)
	ds_read_u16 v5, v20
	ds_read_u16 v4, v20 offset:128
	ds_read_u16 v7, v20 offset:256
	;; [unrolled: 1-line block ×23, first 2 shown]
	v_mov_b32_e32 v3, s3
	v_add_co_u32_e32 v2, vcc, s2, v20
	v_addc_co_u32_e32 v3, vcc, 0, v3, vcc
	v_mov_b32_e32 v1, 0
	v_cmp_gt_u32_e32 vcc, s30, v0
	s_and_saveexec_b64 s[0:1], vcc
	s_cbranch_execz .LBB4774_94
; %bb.93:
	s_waitcnt lgkmcnt(0)
	flat_store_short v[2:3], v5
.LBB4774_94:
	s_or_b64 exec, exec, s[0:1]
	v_or_b32_e32 v20, 64, v0
	v_cmp_gt_u32_e32 vcc, s30, v20
	s_and_saveexec_b64 s[0:1], vcc
	s_cbranch_execz .LBB4774_96
; %bb.95:
	s_waitcnt lgkmcnt(0)
	flat_store_short v[2:3], v4 offset:128
.LBB4774_96:
	s_or_b64 exec, exec, s[0:1]
	v_or_b32_e32 v20, 0x80, v0
	v_cmp_gt_u32_e32 vcc, s30, v20
	s_and_saveexec_b64 s[0:1], vcc
	s_cbranch_execz .LBB4774_98
; %bb.97:
	s_waitcnt lgkmcnt(0)
	flat_store_short v[2:3], v7 offset:256
.LBB4774_98:
	;; [unrolled: 9-line block ×23, first 2 shown]
	s_or_b64 exec, exec, s[0:1]
	v_cmp_lt_u64_e64 s[0:1], s[18:19], 2
	s_and_b64 vcc, exec, s[0:1]
	s_cbranch_vccnz .LBB4774_148
; %bb.141:
	s_add_u32 s0, s30, -1
	s_addc_u32 s1, s31, -1
	s_add_u32 s2, 0, 0xaaaa0000
	s_addc_u32 s3, 0, 42
	s_add_i32 s3, s3, 0xaaaaa80
	s_mul_hi_u32 s7, s2, 0xffffffe8
	s_sub_i32 s7, s7, s2
	s_mul_i32 s8, s3, 0xffffffe8
	s_mul_i32 s4, s2, 0xffffffe8
	s_add_i32 s7, s7, s8
	s_mul_hi_u32 s5, s3, s4
	s_mul_i32 s6, s3, s4
	s_mul_i32 s9, s2, s7
	s_mul_hi_u32 s4, s2, s4
	s_mul_hi_u32 s8, s2, s7
	s_add_u32 s4, s4, s9
	s_addc_u32 s8, 0, s8
	s_add_u32 s4, s4, s6
	s_mul_hi_u32 s9, s3, s7
	s_addc_u32 s4, s8, s5
	s_addc_u32 s5, s9, 0
	s_mul_i32 s6, s3, s7
	s_add_u32 s4, s4, s6
	v_mov_b32_e32 v2, s4
	s_addc_u32 s5, 0, s5
	v_add_co_u32_e32 v2, vcc, s2, v2
	s_cmp_lg_u64 vcc, 0
	s_addc_u32 s2, s3, s5
	v_readfirstlane_b32 s5, v2
	s_mul_i32 s4, s0, s2
	s_mul_hi_u32 s6, s0, s5
	s_mul_hi_u32 s3, s0, s2
	s_add_u32 s4, s6, s4
	s_addc_u32 s3, 0, s3
	s_mul_hi_u32 s7, s1, s5
	s_mul_i32 s5, s1, s5
	s_add_u32 s4, s4, s5
	s_mul_hi_u32 s6, s1, s2
	s_addc_u32 s3, s3, s7
	s_addc_u32 s4, s6, 0
	s_mul_i32 s2, s1, s2
	s_add_u32 s2, s3, s2
	s_addc_u32 s3, 0, s4
	s_add_u32 s4, s2, 1
	s_addc_u32 s5, s3, 0
	s_add_u32 s6, s2, 2
	s_mul_i32 s8, s3, 24
	s_mul_hi_u32 s9, s2, 24
	s_addc_u32 s7, s3, 0
	s_add_i32 s9, s9, s8
	s_mul_i32 s8, s2, 24
	v_mov_b32_e32 v2, s8
	v_sub_co_u32_e32 v2, vcc, s0, v2
	s_cmp_lg_u64 vcc, 0
	s_subb_u32 s8, s1, s9
	v_subrev_co_u32_e32 v3, vcc, 24, v2
	s_cmp_lg_u64 vcc, 0
	s_subb_u32 s9, s8, 0
	v_readfirstlane_b32 s10, v3
	s_cmp_gt_u32 s10, 23
	s_cselect_b32 s10, -1, 0
	s_cmp_eq_u32 s9, 0
	s_cselect_b32 s9, s10, -1
	s_cmp_lg_u32 s9, 0
	s_cselect_b32 s4, s6, s4
	v_readfirstlane_b32 s6, v2
	s_cselect_b32 s5, s7, s5
	s_cmp_gt_u32 s6, 23
	s_cselect_b32 s6, -1, 0
	s_cmp_eq_u32 s8, 0
	s_cselect_b32 s6, s6, -1
	s_cmp_lg_u32 s6, 0
	s_cselect_b32 s3, s5, s3
	s_cselect_b32 s2, s4, s2
	v_cmp_eq_u64_e32 vcc, s[2:3], v[0:1]
	s_and_saveexec_b64 s[2:3], vcc
	s_cbranch_execz .LBB4774_148
; %bb.142:
	v_mul_hi_u32_u24_e32 v1, 24, v0
	v_mov_b32_e32 v2, s1
	v_sub_co_u32_e32 v0, vcc, s0, v21
	v_subb_co_u32_e32 v1, vcc, v2, v1, vcc
	v_cmp_lt_i64_e32 vcc, 11, v[0:1]
	s_mov_b64 s[0:1], 0
	s_mov_b64 s[8:9], 0
	;; [unrolled: 1-line block ×4, first 2 shown]
	s_and_saveexec_b64 s[2:3], vcc
	s_xor_b64 s[2:3], exec, s[2:3]
	s_cbranch_execnz .LBB4774_149
; %bb.143:
	s_andn2_saveexec_b64 s[2:3], s[2:3]
	s_cbranch_execnz .LBB4774_194
.LBB4774_144:
	s_or_b64 exec, exec, s[2:3]
	s_and_saveexec_b64 s[2:3], s[8:9]
	s_cbranch_execnz .LBB4774_211
.LBB4774_145:
	s_or_b64 exec, exec, s[2:3]
	s_and_saveexec_b64 s[2:3], s[6:7]
	s_cbranch_execnz .LBB4774_212
.LBB4774_146:
	s_or_b64 exec, exec, s[2:3]
	s_and_saveexec_b64 s[2:3], s[4:5]
	s_xor_b64 s[2:3], exec, s[2:3]
	s_cbranch_execnz .LBB4774_213
.LBB4774_147:
	s_or_b64 exec, exec, s[2:3]
	s_and_b64 exec, exec, s[0:1]
	s_cbranch_execnz .LBB4774_214
.LBB4774_148:
	s_endpgm
.LBB4774_149:
	v_cmp_lt_i64_e32 vcc, 17, v[0:1]
	s_and_saveexec_b64 s[10:11], vcc
	s_xor_b64 s[10:11], exec, s[10:11]
	s_cbranch_execz .LBB4774_171
; %bb.150:
	v_cmp_lt_i64_e32 vcc, 20, v[0:1]
                                        ; implicit-def: $vgpr10
	s_and_saveexec_b64 s[12:13], vcc
	s_xor_b64 s[12:13], exec, s[12:13]
	s_cbranch_execz .LBB4774_160
; %bb.151:
	v_cmp_lt_i64_e32 vcc, 21, v[0:1]
	s_mov_b64 s[16:17], 0
                                        ; implicit-def: $vgpr10
	s_and_saveexec_b64 s[4:5], vcc
	s_xor_b64 s[4:5], exec, s[4:5]
	s_cbranch_execz .LBB4774_157
; %bb.152:
	v_cmp_lt_i64_e32 vcc, 22, v[0:1]
	s_and_saveexec_b64 s[16:17], vcc
	s_xor_b64 s[16:17], exec, s[16:17]
	s_cbranch_execz .LBB4774_154
; %bb.153:
	v_mov_b32_e32 v2, 0
	s_waitcnt lgkmcnt(0)
	global_store_short v2, v29, s[14:15]
                                        ; implicit-def: $vgpr28
.LBB4774_154:
	s_or_saveexec_b64 s[16:17], s[16:17]
	s_mov_b64 s[18:19], 0
	s_xor_b64 exec, exec, s[16:17]
; %bb.155:
	s_mov_b64 s[18:19], exec
; %bb.156:
	s_or_b64 exec, exec, s[16:17]
	s_and_b64 s[16:17], s[18:19], exec
	s_waitcnt lgkmcnt(0)
	v_mov_b32_e32 v10, v28
                                        ; implicit-def: $vgpr11
.LBB4774_157:
	s_andn2_saveexec_b64 s[4:5], s[4:5]
; %bb.158:
	s_mov_b64 s[6:7], exec
                                        ; implicit-def: $vgpr10
; %bb.159:
	s_or_b64 exec, exec, s[4:5]
	s_and_b64 s[4:5], s[16:17], exec
	s_and_b64 s[6:7], s[6:7], exec
                                        ; implicit-def: $vgpr26
                                        ; implicit-def: $vgpr12
                                        ; implicit-def: $vgpr23
.LBB4774_160:
	s_andn2_saveexec_b64 s[12:13], s[12:13]
	s_cbranch_execz .LBB4774_170
; %bb.161:
	v_cmp_lt_i64_e32 vcc, 18, v[0:1]
	s_mov_b64 s[16:17], 0
	s_and_saveexec_b64 s[8:9], vcc
	s_xor_b64 s[8:9], exec, s[8:9]
	s_cbranch_execz .LBB4774_167
; %bb.162:
	v_cmp_lt_i64_e32 vcc, 19, v[0:1]
	s_and_saveexec_b64 s[18:19], vcc
	s_xor_b64 s[18:19], exec, s[18:19]
; %bb.163:
	s_mov_b64 s[16:17], exec
                                        ; implicit-def: $vgpr23
; %bb.164:
	s_andn2_saveexec_b64 s[18:19], s[18:19]
	s_cbranch_execz .LBB4774_166
; %bb.165:
	v_mov_b32_e32 v2, 0
	s_waitcnt lgkmcnt(0)
	global_store_short v2, v23, s[14:15]
                                        ; implicit-def: $vgpr12
.LBB4774_166:
	s_or_b64 exec, exec, s[18:19]
	s_and_b64 s[16:17], s[16:17], exec
                                        ; implicit-def: $vgpr26
.LBB4774_167:
	s_andn2_saveexec_b64 s[8:9], s[8:9]
	s_cbranch_execz .LBB4774_169
; %bb.168:
	v_mov_b32_e32 v2, 0
	s_waitcnt lgkmcnt(0)
	global_store_short v2, v26, s[14:15]
                                        ; implicit-def: $vgpr12
.LBB4774_169:
	s_or_b64 exec, exec, s[8:9]
	s_and_b64 s[8:9], s[16:17], exec
                                        ; implicit-def: $vgpr10
                                        ; implicit-def: $vgpr11
.LBB4774_170:
	s_or_b64 exec, exec, s[12:13]
	s_and_b64 s[4:5], s[4:5], exec
	s_and_b64 s[6:7], s[6:7], exec
	;; [unrolled: 1-line block ×3, first 2 shown]
                                        ; implicit-def: $vgpr18
                                        ; implicit-def: $vgpr13
                                        ; implicit-def: $vgpr14
                                        ; implicit-def: $vgpr24
                                        ; implicit-def: $vgpr27
.LBB4774_171:
	s_andn2_saveexec_b64 s[10:11], s[10:11]
	s_cbranch_execz .LBB4774_193
; %bb.172:
	v_cmp_lt_i64_e32 vcc, 14, v[0:1]
	s_mov_b64 s[12:13], s[4:5]
	s_and_saveexec_b64 s[16:17], vcc
	s_xor_b64 s[16:17], exec, s[16:17]
	s_cbranch_execz .LBB4774_182
; %bb.173:
	v_cmp_lt_i64_e32 vcc, 15, v[0:1]
	s_and_saveexec_b64 s[12:13], vcc
	s_xor_b64 s[12:13], exec, s[12:13]
	s_cbranch_execz .LBB4774_179
; %bb.174:
	v_cmp_lt_i64_e32 vcc, 16, v[0:1]
	s_and_saveexec_b64 s[18:19], vcc
	s_xor_b64 s[18:19], exec, s[18:19]
	s_cbranch_execz .LBB4774_176
; %bb.175:
	v_mov_b32_e32 v2, 0
	s_waitcnt lgkmcnt(0)
	global_store_short v2, v27, s[14:15]
                                        ; implicit-def: $vgpr24
.LBB4774_176:
	s_andn2_saveexec_b64 s[18:19], s[18:19]
	s_cbranch_execz .LBB4774_178
; %bb.177:
	v_mov_b32_e32 v2, 0
	s_waitcnt lgkmcnt(0)
	global_store_short v2, v24, s[14:15]
.LBB4774_178:
	s_or_b64 exec, exec, s[18:19]
                                        ; implicit-def: $vgpr10
.LBB4774_179:
	s_or_saveexec_b64 s[12:13], s[12:13]
	s_mov_b64 s[18:19], s[4:5]
	s_xor_b64 exec, exec, s[12:13]
; %bb.180:
	s_or_b64 s[18:19], s[4:5], exec
; %bb.181:
	s_or_b64 exec, exec, s[12:13]
	s_andn2_b64 s[12:13], s[4:5], exec
	s_and_b64 s[18:19], s[18:19], exec
	s_or_b64 s[12:13], s[12:13], s[18:19]
                                        ; implicit-def: $vgpr18
                                        ; implicit-def: $vgpr13
                                        ; implicit-def: $vgpr14
.LBB4774_182:
	s_or_saveexec_b64 s[16:17], s[16:17]
	s_mov_b64 s[18:19], s[6:7]
                                        ; implicit-def: $vgpr11
	s_xor_b64 exec, exec, s[16:17]
	s_cbranch_execz .LBB4774_192
; %bb.183:
	v_cmp_lt_i64_e32 vcc, 12, v[0:1]
	s_mov_b64 s[20:21], s[6:7]
	s_mov_b64 s[22:23], s[12:13]
                                        ; implicit-def: $vgpr10
                                        ; implicit-def: $vgpr11
	s_and_saveexec_b64 s[18:19], vcc
	s_xor_b64 s[18:19], exec, s[18:19]
	s_cbranch_execz .LBB4774_189
; %bb.184:
	v_cmp_lt_i64_e32 vcc, 13, v[0:1]
	s_mov_b64 s[20:21], s[12:13]
	s_and_saveexec_b64 s[22:23], vcc
	s_xor_b64 s[22:23], exec, s[22:23]
; %bb.185:
	s_or_b64 s[20:21], s[12:13], exec
                                        ; implicit-def: $vgpr13
; %bb.186:
	s_or_saveexec_b64 s[22:23], s[22:23]
	s_mov_b64 s[24:25], s[6:7]
	s_xor_b64 exec, exec, s[22:23]
; %bb.187:
	s_or_b64 s[24:25], s[6:7], exec
                                        ; implicit-def: $vgpr14
; %bb.188:
	s_or_b64 exec, exec, s[22:23]
	s_andn2_b64 s[22:23], s[12:13], exec
	s_and_b64 s[20:21], s[20:21], exec
	s_or_b64 s[22:23], s[22:23], s[20:21]
	s_andn2_b64 s[20:21], s[6:7], exec
	s_and_b64 s[24:25], s[24:25], exec
	s_or_b64 s[20:21], s[20:21], s[24:25]
	s_waitcnt lgkmcnt(0)
	v_mov_b32_e32 v10, v14
	v_mov_b32_e32 v11, v13
                                        ; implicit-def: $vgpr18
.LBB4774_189:
	s_andn2_saveexec_b64 s[18:19], s[18:19]
	s_cbranch_execz .LBB4774_191
; %bb.190:
	s_or_b64 s[20:21], s[20:21], exec
                                        ; implicit-def: $vgpr10
	s_waitcnt lgkmcnt(0)
	v_mov_b32_e32 v11, v18
.LBB4774_191:
	s_or_b64 exec, exec, s[18:19]
	s_andn2_b64 s[12:13], s[12:13], exec
	s_and_b64 s[18:19], s[22:23], exec
	s_or_b64 s[12:13], s[12:13], s[18:19]
	s_andn2_b64 s[18:19], s[6:7], exec
	s_and_b64 s[20:21], s[20:21], exec
	s_or_b64 s[18:19], s[18:19], s[20:21]
.LBB4774_192:
	s_or_b64 exec, exec, s[16:17]
	s_andn2_b64 s[4:5], s[4:5], exec
	s_and_b64 s[12:13], s[12:13], exec
	s_or_b64 s[4:5], s[4:5], s[12:13]
	s_andn2_b64 s[6:7], s[6:7], exec
	s_and_b64 s[12:13], s[18:19], exec
	s_or_b64 s[6:7], s[6:7], s[12:13]
                                        ; implicit-def: $vgpr12
.LBB4774_193:
	s_or_b64 exec, exec, s[10:11]
	s_and_b64 s[4:5], s[4:5], exec
	s_and_b64 s[6:7], s[6:7], exec
	;; [unrolled: 1-line block ×3, first 2 shown]
                                        ; implicit-def: $vgpr17
                                        ; implicit-def: $vgpr15
                                        ; implicit-def: $vgpr16
                                        ; implicit-def: $vgpr25
                                        ; implicit-def: $vgpr22
                                        ; implicit-def: $vgpr19
	s_andn2_saveexec_b64 s[2:3], s[2:3]
	s_cbranch_execz .LBB4774_144
.LBB4774_194:
	v_cmp_lt_i64_e32 vcc, 5, v[0:1]
	s_mov_b64 s[12:13], -1
	s_mov_b64 s[10:11], s[8:9]
	s_mov_b64 s[16:17], s[6:7]
	s_mov_b64 s[18:19], s[4:5]
                                        ; implicit-def: $vgpr10
                                        ; implicit-def: $vgpr11
                                        ; implicit-def: $vgpr12
	s_and_saveexec_b64 s[0:1], vcc
	s_cbranch_execz .LBB4774_210
; %bb.195:
	v_cmp_lt_i64_e32 vcc, 8, v[0:1]
	s_mov_b64 s[10:11], s[8:9]
                                        ; implicit-def: $vgpr12
	s_and_saveexec_b64 s[12:13], vcc
	s_xor_b64 s[12:13], exec, s[12:13]
	s_cbranch_execz .LBB4774_205
; %bb.196:
	v_cmp_lt_i64_e32 vcc, 9, v[0:1]
	s_and_saveexec_b64 s[10:11], vcc
	s_xor_b64 s[10:11], exec, s[10:11]
	s_cbranch_execz .LBB4774_202
; %bb.197:
	v_cmp_lt_i64_e32 vcc, 10, v[0:1]
	s_and_saveexec_b64 s[16:17], vcc
	s_xor_b64 s[16:17], exec, s[16:17]
; %bb.198:
                                        ; implicit-def: $vgpr22
; %bb.199:
	s_andn2_saveexec_b64 s[16:17], s[16:17]
	s_cbranch_execz .LBB4774_201
; %bb.200:
	s_waitcnt lgkmcnt(0)
	v_mov_b32_e32 v19, v22
.LBB4774_201:
	s_or_b64 exec, exec, s[16:17]
                                        ; implicit-def: $vgpr25
.LBB4774_202:
	s_andn2_saveexec_b64 s[10:11], s[10:11]
	s_cbranch_execz .LBB4774_204
; %bb.203:
	s_waitcnt lgkmcnt(0)
	v_mov_b32_e32 v19, v25
.LBB4774_204:
	s_or_b64 exec, exec, s[10:11]
	s_or_b64 s[10:11], s[8:9], exec
	s_waitcnt lgkmcnt(0)
	v_mov_b32_e32 v12, v19
                                        ; implicit-def: $vgpr17
                                        ; implicit-def: $vgpr15
                                        ; implicit-def: $vgpr16
.LBB4774_205:
	s_or_saveexec_b64 s[12:13], s[12:13]
	s_mov_b64 s[16:17], s[6:7]
	s_mov_b64 s[20:21], s[4:5]
                                        ; implicit-def: $vgpr10
                                        ; implicit-def: $vgpr11
	s_xor_b64 exec, exec, s[12:13]
	s_cbranch_execz .LBB4774_209
; %bb.206:
	v_cmp_lt_i64_e32 vcc, 6, v[0:1]
	s_mov_b64 s[20:21], -1
	s_mov_b64 s[18:19], s[10:11]
	s_mov_b64 s[16:17], s[6:7]
	s_and_saveexec_b64 s[22:23], vcc
; %bb.207:
	v_cmp_lt_i64_e32 vcc, 7, v[0:1]
	s_andn2_b64 s[18:19], s[10:11], exec
	s_and_b64 s[24:25], vcc, exec
	s_xor_b64 s[20:21], exec, -1
	s_or_b64 s[16:17], s[6:7], exec
	s_or_b64 s[18:19], s[18:19], s[24:25]
                                        ; implicit-def: $vgpr17
; %bb.208:
	s_or_b64 exec, exec, s[22:23]
	s_andn2_b64 s[22:23], s[4:5], exec
	s_and_b64 s[20:21], s[20:21], exec
	s_or_b64 s[20:21], s[22:23], s[20:21]
	s_andn2_b64 s[22:23], s[6:7], exec
	s_and_b64 s[16:17], s[16:17], exec
	s_andn2_b64 s[10:11], s[10:11], exec
	s_and_b64 s[18:19], s[18:19], exec
	s_or_b64 s[16:17], s[22:23], s[16:17]
	s_or_b64 s[10:11], s[10:11], s[18:19]
	s_waitcnt lgkmcnt(0)
	v_mov_b32_e32 v10, v17
	v_mov_b32_e32 v11, v15
	;; [unrolled: 1-line block ×3, first 2 shown]
.LBB4774_209:
	s_or_b64 exec, exec, s[12:13]
	s_andn2_b64 s[18:19], s[4:5], exec
	s_and_b64 s[20:21], s[20:21], exec
	s_or_b64 s[18:19], s[18:19], s[20:21]
	s_andn2_b64 s[20:21], s[6:7], exec
	s_and_b64 s[16:17], s[16:17], exec
	s_or_b64 s[16:17], s[20:21], s[16:17]
	s_andn2_b64 s[20:21], s[8:9], exec
	s_and_b64 s[10:11], s[10:11], exec
	s_xor_b64 s[12:13], exec, -1
	s_or_b64 s[10:11], s[20:21], s[10:11]
.LBB4774_210:
	s_or_b64 exec, exec, s[0:1]
	s_and_b64 s[0:1], s[12:13], exec
	s_andn2_b64 s[4:5], s[4:5], exec
	s_and_b64 s[12:13], s[18:19], exec
	s_or_b64 s[4:5], s[4:5], s[12:13]
	s_andn2_b64 s[6:7], s[6:7], exec
	s_and_b64 s[12:13], s[16:17], exec
	s_andn2_b64 s[8:9], s[8:9], exec
	s_and_b64 s[10:11], s[10:11], exec
	s_or_b64 s[6:7], s[6:7], s[12:13]
	s_or_b64 s[8:9], s[8:9], s[10:11]
	s_or_b64 exec, exec, s[2:3]
	s_and_saveexec_b64 s[2:3], s[8:9]
	s_cbranch_execz .LBB4774_145
.LBB4774_211:
	v_mov_b32_e32 v2, 0
	s_andn2_b64 s[6:7], s[6:7], exec
	s_waitcnt lgkmcnt(0)
	global_store_short v2, v12, s[14:15]
                                        ; implicit-def: $vgpr10
                                        ; implicit-def: $vgpr11
	s_or_b64 exec, exec, s[2:3]
	s_and_saveexec_b64 s[2:3], s[6:7]
	s_cbranch_execz .LBB4774_146
.LBB4774_212:
	v_mov_b32_e32 v2, 0
	s_waitcnt lgkmcnt(0)
	global_store_short v2, v11, s[14:15]
                                        ; implicit-def: $vgpr10
	s_or_b64 exec, exec, s[2:3]
	s_and_saveexec_b64 s[2:3], s[4:5]
	s_xor_b64 s[2:3], exec, s[2:3]
	s_cbranch_execz .LBB4774_147
.LBB4774_213:
	v_mov_b32_e32 v2, 0
	s_waitcnt lgkmcnt(0)
	global_store_short v2, v10, s[14:15]
	s_or_b64 exec, exec, s[2:3]
	s_and_b64 exec, exec, s[0:1]
	s_cbranch_execz .LBB4774_148
.LBB4774_214:
	v_cmp_lt_i64_e32 vcc, 2, v[0:1]
	s_and_saveexec_b64 s[0:1], vcc
	s_xor_b64 s[0:1], exec, s[0:1]
	s_cbranch_execz .LBB4774_224
; %bb.215:
	v_cmp_lt_i64_e32 vcc, 3, v[0:1]
	s_and_saveexec_b64 s[2:3], vcc
	s_xor_b64 s[2:3], exec, s[2:3]
	s_cbranch_execz .LBB4774_221
; %bb.216:
	;; [unrolled: 5-line block ×3, first 2 shown]
	v_mov_b32_e32 v0, 0
	s_waitcnt lgkmcnt(0)
	global_store_short v0, v9, s[14:15]
                                        ; implicit-def: $vgpr6
.LBB4774_218:
	s_andn2_saveexec_b64 s[4:5], s[4:5]
	s_cbranch_execz .LBB4774_220
; %bb.219:
	v_mov_b32_e32 v0, 0
	s_waitcnt lgkmcnt(0)
	global_store_short v0, v6, s[14:15]
.LBB4774_220:
	s_or_b64 exec, exec, s[4:5]
                                        ; implicit-def: $vgpr8
.LBB4774_221:
	s_andn2_saveexec_b64 s[2:3], s[2:3]
	s_cbranch_execz .LBB4774_223
; %bb.222:
	v_mov_b32_e32 v0, 0
	s_waitcnt lgkmcnt(0)
	global_store_short v0, v8, s[14:15]
.LBB4774_223:
	s_or_b64 exec, exec, s[2:3]
                                        ; implicit-def: $vgpr0_vgpr1
                                        ; implicit-def: $vgpr7
                                        ; implicit-def: $vgpr4
                                        ; implicit-def: $vgpr5
.LBB4774_224:
	s_andn2_saveexec_b64 s[0:1], s[0:1]
	s_cbranch_execz .LBB4774_148
; %bb.225:
	v_cmp_lt_i64_e32 vcc, 1, v[0:1]
	s_and_saveexec_b64 s[0:1], vcc
	s_xor_b64 s[0:1], exec, s[0:1]
	s_cbranch_execz .LBB4774_227
; %bb.226:
	v_mov_b32_e32 v0, 0
	s_waitcnt lgkmcnt(0)
	global_store_short v0, v7, s[14:15]
                                        ; implicit-def: $vgpr4
                                        ; implicit-def: $vgpr0_vgpr1
                                        ; implicit-def: $vgpr5
.LBB4774_227:
	s_andn2_saveexec_b64 s[0:1], s[0:1]
	s_cbranch_execz .LBB4774_148
; %bb.228:
	v_cmp_ne_u64_e32 vcc, 1, v[0:1]
	s_and_saveexec_b64 s[0:1], vcc
	s_xor_b64 s[0:1], exec, s[0:1]
	s_cbranch_execz .LBB4774_230
; %bb.229:
	v_mov_b32_e32 v0, 0
	s_waitcnt lgkmcnt(0)
	global_store_short v0, v5, s[14:15]
                                        ; implicit-def: $vgpr4
.LBB4774_230:
	s_andn2_saveexec_b64 s[0:1], s[0:1]
	s_cbranch_execz .LBB4774_148
; %bb.231:
	v_mov_b32_e32 v0, 0
	s_waitcnt lgkmcnt(0)
	global_store_short v0, v4, s[14:15]
	s_endpgm
	.section	.rodata,"a",@progbits
	.p2align	6, 0x0
	.amdhsa_kernel _ZN7rocprim17ROCPRIM_400000_NS6detail17trampoline_kernelINS0_14default_configENS1_20scan_config_selectorItEEZZNS1_9scan_implILNS1_25lookback_scan_determinismE0ELb0ELb0ES3_N6thrust23THRUST_200600_302600_NS6detail15normal_iteratorINS9_10device_ptrItEEEESE_tNS9_4plusIvEEtEEDaPvRmT3_T4_T5_mT6_P12ihipStream_tbENKUlT_T0_E_clISt17integral_constantIbLb0EEST_IbLb1EEEEDaSP_SQ_EUlSP_E_NS1_11comp_targetILNS1_3genE4ELNS1_11target_archE910ELNS1_3gpuE8ELNS1_3repE0EEENS1_30default_config_static_selectorELNS0_4arch9wavefront6targetE1EEEvT1_
		.amdhsa_group_segment_fixed_size 3072
		.amdhsa_private_segment_fixed_size 0
		.amdhsa_kernarg_size 96
		.amdhsa_user_sgpr_count 6
		.amdhsa_user_sgpr_private_segment_buffer 1
		.amdhsa_user_sgpr_dispatch_ptr 0
		.amdhsa_user_sgpr_queue_ptr 0
		.amdhsa_user_sgpr_kernarg_segment_ptr 1
		.amdhsa_user_sgpr_dispatch_id 0
		.amdhsa_user_sgpr_flat_scratch_init 0
		.amdhsa_user_sgpr_kernarg_preload_length 0
		.amdhsa_user_sgpr_kernarg_preload_offset 0
		.amdhsa_user_sgpr_private_segment_size 0
		.amdhsa_uses_dynamic_stack 0
		.amdhsa_system_sgpr_private_segment_wavefront_offset 0
		.amdhsa_system_sgpr_workgroup_id_x 1
		.amdhsa_system_sgpr_workgroup_id_y 0
		.amdhsa_system_sgpr_workgroup_id_z 0
		.amdhsa_system_sgpr_workgroup_info 0
		.amdhsa_system_vgpr_workitem_id 0
		.amdhsa_next_free_vgpr 54
		.amdhsa_next_free_sgpr 36
		.amdhsa_accum_offset 56
		.amdhsa_reserve_vcc 1
		.amdhsa_reserve_flat_scratch 0
		.amdhsa_float_round_mode_32 0
		.amdhsa_float_round_mode_16_64 0
		.amdhsa_float_denorm_mode_32 3
		.amdhsa_float_denorm_mode_16_64 3
		.amdhsa_dx10_clamp 1
		.amdhsa_ieee_mode 1
		.amdhsa_fp16_overflow 0
		.amdhsa_tg_split 0
		.amdhsa_exception_fp_ieee_invalid_op 0
		.amdhsa_exception_fp_denorm_src 0
		.amdhsa_exception_fp_ieee_div_zero 0
		.amdhsa_exception_fp_ieee_overflow 0
		.amdhsa_exception_fp_ieee_underflow 0
		.amdhsa_exception_fp_ieee_inexact 0
		.amdhsa_exception_int_div_zero 0
	.end_amdhsa_kernel
	.section	.text._ZN7rocprim17ROCPRIM_400000_NS6detail17trampoline_kernelINS0_14default_configENS1_20scan_config_selectorItEEZZNS1_9scan_implILNS1_25lookback_scan_determinismE0ELb0ELb0ES3_N6thrust23THRUST_200600_302600_NS6detail15normal_iteratorINS9_10device_ptrItEEEESE_tNS9_4plusIvEEtEEDaPvRmT3_T4_T5_mT6_P12ihipStream_tbENKUlT_T0_E_clISt17integral_constantIbLb0EEST_IbLb1EEEEDaSP_SQ_EUlSP_E_NS1_11comp_targetILNS1_3genE4ELNS1_11target_archE910ELNS1_3gpuE8ELNS1_3repE0EEENS1_30default_config_static_selectorELNS0_4arch9wavefront6targetE1EEEvT1_,"axG",@progbits,_ZN7rocprim17ROCPRIM_400000_NS6detail17trampoline_kernelINS0_14default_configENS1_20scan_config_selectorItEEZZNS1_9scan_implILNS1_25lookback_scan_determinismE0ELb0ELb0ES3_N6thrust23THRUST_200600_302600_NS6detail15normal_iteratorINS9_10device_ptrItEEEESE_tNS9_4plusIvEEtEEDaPvRmT3_T4_T5_mT6_P12ihipStream_tbENKUlT_T0_E_clISt17integral_constantIbLb0EEST_IbLb1EEEEDaSP_SQ_EUlSP_E_NS1_11comp_targetILNS1_3genE4ELNS1_11target_archE910ELNS1_3gpuE8ELNS1_3repE0EEENS1_30default_config_static_selectorELNS0_4arch9wavefront6targetE1EEEvT1_,comdat
.Lfunc_end4774:
	.size	_ZN7rocprim17ROCPRIM_400000_NS6detail17trampoline_kernelINS0_14default_configENS1_20scan_config_selectorItEEZZNS1_9scan_implILNS1_25lookback_scan_determinismE0ELb0ELb0ES3_N6thrust23THRUST_200600_302600_NS6detail15normal_iteratorINS9_10device_ptrItEEEESE_tNS9_4plusIvEEtEEDaPvRmT3_T4_T5_mT6_P12ihipStream_tbENKUlT_T0_E_clISt17integral_constantIbLb0EEST_IbLb1EEEEDaSP_SQ_EUlSP_E_NS1_11comp_targetILNS1_3genE4ELNS1_11target_archE910ELNS1_3gpuE8ELNS1_3repE0EEENS1_30default_config_static_selectorELNS0_4arch9wavefront6targetE1EEEvT1_, .Lfunc_end4774-_ZN7rocprim17ROCPRIM_400000_NS6detail17trampoline_kernelINS0_14default_configENS1_20scan_config_selectorItEEZZNS1_9scan_implILNS1_25lookback_scan_determinismE0ELb0ELb0ES3_N6thrust23THRUST_200600_302600_NS6detail15normal_iteratorINS9_10device_ptrItEEEESE_tNS9_4plusIvEEtEEDaPvRmT3_T4_T5_mT6_P12ihipStream_tbENKUlT_T0_E_clISt17integral_constantIbLb0EEST_IbLb1EEEEDaSP_SQ_EUlSP_E_NS1_11comp_targetILNS1_3genE4ELNS1_11target_archE910ELNS1_3gpuE8ELNS1_3repE0EEENS1_30default_config_static_selectorELNS0_4arch9wavefront6targetE1EEEvT1_
                                        ; -- End function
	.section	.AMDGPU.csdata,"",@progbits
; Kernel info:
; codeLenInByte = 7984
; NumSgprs: 40
; NumVgprs: 54
; NumAgprs: 0
; TotalNumVgprs: 54
; ScratchSize: 0
; MemoryBound: 0
; FloatMode: 240
; IeeeMode: 1
; LDSByteSize: 3072 bytes/workgroup (compile time only)
; SGPRBlocks: 4
; VGPRBlocks: 6
; NumSGPRsForWavesPerEU: 40
; NumVGPRsForWavesPerEU: 54
; AccumOffset: 56
; Occupancy: 6
; WaveLimiterHint : 1
; COMPUTE_PGM_RSRC2:SCRATCH_EN: 0
; COMPUTE_PGM_RSRC2:USER_SGPR: 6
; COMPUTE_PGM_RSRC2:TRAP_HANDLER: 0
; COMPUTE_PGM_RSRC2:TGID_X_EN: 1
; COMPUTE_PGM_RSRC2:TGID_Y_EN: 0
; COMPUTE_PGM_RSRC2:TGID_Z_EN: 0
; COMPUTE_PGM_RSRC2:TIDIG_COMP_CNT: 0
; COMPUTE_PGM_RSRC3_GFX90A:ACCUM_OFFSET: 13
; COMPUTE_PGM_RSRC3_GFX90A:TG_SPLIT: 0
	.section	.text._ZN7rocprim17ROCPRIM_400000_NS6detail17trampoline_kernelINS0_14default_configENS1_20scan_config_selectorItEEZZNS1_9scan_implILNS1_25lookback_scan_determinismE0ELb0ELb0ES3_N6thrust23THRUST_200600_302600_NS6detail15normal_iteratorINS9_10device_ptrItEEEESE_tNS9_4plusIvEEtEEDaPvRmT3_T4_T5_mT6_P12ihipStream_tbENKUlT_T0_E_clISt17integral_constantIbLb0EEST_IbLb1EEEEDaSP_SQ_EUlSP_E_NS1_11comp_targetILNS1_3genE3ELNS1_11target_archE908ELNS1_3gpuE7ELNS1_3repE0EEENS1_30default_config_static_selectorELNS0_4arch9wavefront6targetE1EEEvT1_,"axG",@progbits,_ZN7rocprim17ROCPRIM_400000_NS6detail17trampoline_kernelINS0_14default_configENS1_20scan_config_selectorItEEZZNS1_9scan_implILNS1_25lookback_scan_determinismE0ELb0ELb0ES3_N6thrust23THRUST_200600_302600_NS6detail15normal_iteratorINS9_10device_ptrItEEEESE_tNS9_4plusIvEEtEEDaPvRmT3_T4_T5_mT6_P12ihipStream_tbENKUlT_T0_E_clISt17integral_constantIbLb0EEST_IbLb1EEEEDaSP_SQ_EUlSP_E_NS1_11comp_targetILNS1_3genE3ELNS1_11target_archE908ELNS1_3gpuE7ELNS1_3repE0EEENS1_30default_config_static_selectorELNS0_4arch9wavefront6targetE1EEEvT1_,comdat
	.protected	_ZN7rocprim17ROCPRIM_400000_NS6detail17trampoline_kernelINS0_14default_configENS1_20scan_config_selectorItEEZZNS1_9scan_implILNS1_25lookback_scan_determinismE0ELb0ELb0ES3_N6thrust23THRUST_200600_302600_NS6detail15normal_iteratorINS9_10device_ptrItEEEESE_tNS9_4plusIvEEtEEDaPvRmT3_T4_T5_mT6_P12ihipStream_tbENKUlT_T0_E_clISt17integral_constantIbLb0EEST_IbLb1EEEEDaSP_SQ_EUlSP_E_NS1_11comp_targetILNS1_3genE3ELNS1_11target_archE908ELNS1_3gpuE7ELNS1_3repE0EEENS1_30default_config_static_selectorELNS0_4arch9wavefront6targetE1EEEvT1_ ; -- Begin function _ZN7rocprim17ROCPRIM_400000_NS6detail17trampoline_kernelINS0_14default_configENS1_20scan_config_selectorItEEZZNS1_9scan_implILNS1_25lookback_scan_determinismE0ELb0ELb0ES3_N6thrust23THRUST_200600_302600_NS6detail15normal_iteratorINS9_10device_ptrItEEEESE_tNS9_4plusIvEEtEEDaPvRmT3_T4_T5_mT6_P12ihipStream_tbENKUlT_T0_E_clISt17integral_constantIbLb0EEST_IbLb1EEEEDaSP_SQ_EUlSP_E_NS1_11comp_targetILNS1_3genE3ELNS1_11target_archE908ELNS1_3gpuE7ELNS1_3repE0EEENS1_30default_config_static_selectorELNS0_4arch9wavefront6targetE1EEEvT1_
	.globl	_ZN7rocprim17ROCPRIM_400000_NS6detail17trampoline_kernelINS0_14default_configENS1_20scan_config_selectorItEEZZNS1_9scan_implILNS1_25lookback_scan_determinismE0ELb0ELb0ES3_N6thrust23THRUST_200600_302600_NS6detail15normal_iteratorINS9_10device_ptrItEEEESE_tNS9_4plusIvEEtEEDaPvRmT3_T4_T5_mT6_P12ihipStream_tbENKUlT_T0_E_clISt17integral_constantIbLb0EEST_IbLb1EEEEDaSP_SQ_EUlSP_E_NS1_11comp_targetILNS1_3genE3ELNS1_11target_archE908ELNS1_3gpuE7ELNS1_3repE0EEENS1_30default_config_static_selectorELNS0_4arch9wavefront6targetE1EEEvT1_
	.p2align	8
	.type	_ZN7rocprim17ROCPRIM_400000_NS6detail17trampoline_kernelINS0_14default_configENS1_20scan_config_selectorItEEZZNS1_9scan_implILNS1_25lookback_scan_determinismE0ELb0ELb0ES3_N6thrust23THRUST_200600_302600_NS6detail15normal_iteratorINS9_10device_ptrItEEEESE_tNS9_4plusIvEEtEEDaPvRmT3_T4_T5_mT6_P12ihipStream_tbENKUlT_T0_E_clISt17integral_constantIbLb0EEST_IbLb1EEEEDaSP_SQ_EUlSP_E_NS1_11comp_targetILNS1_3genE3ELNS1_11target_archE908ELNS1_3gpuE7ELNS1_3repE0EEENS1_30default_config_static_selectorELNS0_4arch9wavefront6targetE1EEEvT1_,@function
_ZN7rocprim17ROCPRIM_400000_NS6detail17trampoline_kernelINS0_14default_configENS1_20scan_config_selectorItEEZZNS1_9scan_implILNS1_25lookback_scan_determinismE0ELb0ELb0ES3_N6thrust23THRUST_200600_302600_NS6detail15normal_iteratorINS9_10device_ptrItEEEESE_tNS9_4plusIvEEtEEDaPvRmT3_T4_T5_mT6_P12ihipStream_tbENKUlT_T0_E_clISt17integral_constantIbLb0EEST_IbLb1EEEEDaSP_SQ_EUlSP_E_NS1_11comp_targetILNS1_3genE3ELNS1_11target_archE908ELNS1_3gpuE7ELNS1_3repE0EEENS1_30default_config_static_selectorELNS0_4arch9wavefront6targetE1EEEvT1_: ; @_ZN7rocprim17ROCPRIM_400000_NS6detail17trampoline_kernelINS0_14default_configENS1_20scan_config_selectorItEEZZNS1_9scan_implILNS1_25lookback_scan_determinismE0ELb0ELb0ES3_N6thrust23THRUST_200600_302600_NS6detail15normal_iteratorINS9_10device_ptrItEEEESE_tNS9_4plusIvEEtEEDaPvRmT3_T4_T5_mT6_P12ihipStream_tbENKUlT_T0_E_clISt17integral_constantIbLb0EEST_IbLb1EEEEDaSP_SQ_EUlSP_E_NS1_11comp_targetILNS1_3genE3ELNS1_11target_archE908ELNS1_3gpuE7ELNS1_3repE0EEENS1_30default_config_static_selectorELNS0_4arch9wavefront6targetE1EEEvT1_
; %bb.0:
	.section	.rodata,"a",@progbits
	.p2align	6, 0x0
	.amdhsa_kernel _ZN7rocprim17ROCPRIM_400000_NS6detail17trampoline_kernelINS0_14default_configENS1_20scan_config_selectorItEEZZNS1_9scan_implILNS1_25lookback_scan_determinismE0ELb0ELb0ES3_N6thrust23THRUST_200600_302600_NS6detail15normal_iteratorINS9_10device_ptrItEEEESE_tNS9_4plusIvEEtEEDaPvRmT3_T4_T5_mT6_P12ihipStream_tbENKUlT_T0_E_clISt17integral_constantIbLb0EEST_IbLb1EEEEDaSP_SQ_EUlSP_E_NS1_11comp_targetILNS1_3genE3ELNS1_11target_archE908ELNS1_3gpuE7ELNS1_3repE0EEENS1_30default_config_static_selectorELNS0_4arch9wavefront6targetE1EEEvT1_
		.amdhsa_group_segment_fixed_size 0
		.amdhsa_private_segment_fixed_size 0
		.amdhsa_kernarg_size 96
		.amdhsa_user_sgpr_count 6
		.amdhsa_user_sgpr_private_segment_buffer 1
		.amdhsa_user_sgpr_dispatch_ptr 0
		.amdhsa_user_sgpr_queue_ptr 0
		.amdhsa_user_sgpr_kernarg_segment_ptr 1
		.amdhsa_user_sgpr_dispatch_id 0
		.amdhsa_user_sgpr_flat_scratch_init 0
		.amdhsa_user_sgpr_kernarg_preload_length 0
		.amdhsa_user_sgpr_kernarg_preload_offset 0
		.amdhsa_user_sgpr_private_segment_size 0
		.amdhsa_uses_dynamic_stack 0
		.amdhsa_system_sgpr_private_segment_wavefront_offset 0
		.amdhsa_system_sgpr_workgroup_id_x 1
		.amdhsa_system_sgpr_workgroup_id_y 0
		.amdhsa_system_sgpr_workgroup_id_z 0
		.amdhsa_system_sgpr_workgroup_info 0
		.amdhsa_system_vgpr_workitem_id 0
		.amdhsa_next_free_vgpr 1
		.amdhsa_next_free_sgpr 0
		.amdhsa_accum_offset 4
		.amdhsa_reserve_vcc 0
		.amdhsa_reserve_flat_scratch 0
		.amdhsa_float_round_mode_32 0
		.amdhsa_float_round_mode_16_64 0
		.amdhsa_float_denorm_mode_32 3
		.amdhsa_float_denorm_mode_16_64 3
		.amdhsa_dx10_clamp 1
		.amdhsa_ieee_mode 1
		.amdhsa_fp16_overflow 0
		.amdhsa_tg_split 0
		.amdhsa_exception_fp_ieee_invalid_op 0
		.amdhsa_exception_fp_denorm_src 0
		.amdhsa_exception_fp_ieee_div_zero 0
		.amdhsa_exception_fp_ieee_overflow 0
		.amdhsa_exception_fp_ieee_underflow 0
		.amdhsa_exception_fp_ieee_inexact 0
		.amdhsa_exception_int_div_zero 0
	.end_amdhsa_kernel
	.section	.text._ZN7rocprim17ROCPRIM_400000_NS6detail17trampoline_kernelINS0_14default_configENS1_20scan_config_selectorItEEZZNS1_9scan_implILNS1_25lookback_scan_determinismE0ELb0ELb0ES3_N6thrust23THRUST_200600_302600_NS6detail15normal_iteratorINS9_10device_ptrItEEEESE_tNS9_4plusIvEEtEEDaPvRmT3_T4_T5_mT6_P12ihipStream_tbENKUlT_T0_E_clISt17integral_constantIbLb0EEST_IbLb1EEEEDaSP_SQ_EUlSP_E_NS1_11comp_targetILNS1_3genE3ELNS1_11target_archE908ELNS1_3gpuE7ELNS1_3repE0EEENS1_30default_config_static_selectorELNS0_4arch9wavefront6targetE1EEEvT1_,"axG",@progbits,_ZN7rocprim17ROCPRIM_400000_NS6detail17trampoline_kernelINS0_14default_configENS1_20scan_config_selectorItEEZZNS1_9scan_implILNS1_25lookback_scan_determinismE0ELb0ELb0ES3_N6thrust23THRUST_200600_302600_NS6detail15normal_iteratorINS9_10device_ptrItEEEESE_tNS9_4plusIvEEtEEDaPvRmT3_T4_T5_mT6_P12ihipStream_tbENKUlT_T0_E_clISt17integral_constantIbLb0EEST_IbLb1EEEEDaSP_SQ_EUlSP_E_NS1_11comp_targetILNS1_3genE3ELNS1_11target_archE908ELNS1_3gpuE7ELNS1_3repE0EEENS1_30default_config_static_selectorELNS0_4arch9wavefront6targetE1EEEvT1_,comdat
.Lfunc_end4775:
	.size	_ZN7rocprim17ROCPRIM_400000_NS6detail17trampoline_kernelINS0_14default_configENS1_20scan_config_selectorItEEZZNS1_9scan_implILNS1_25lookback_scan_determinismE0ELb0ELb0ES3_N6thrust23THRUST_200600_302600_NS6detail15normal_iteratorINS9_10device_ptrItEEEESE_tNS9_4plusIvEEtEEDaPvRmT3_T4_T5_mT6_P12ihipStream_tbENKUlT_T0_E_clISt17integral_constantIbLb0EEST_IbLb1EEEEDaSP_SQ_EUlSP_E_NS1_11comp_targetILNS1_3genE3ELNS1_11target_archE908ELNS1_3gpuE7ELNS1_3repE0EEENS1_30default_config_static_selectorELNS0_4arch9wavefront6targetE1EEEvT1_, .Lfunc_end4775-_ZN7rocprim17ROCPRIM_400000_NS6detail17trampoline_kernelINS0_14default_configENS1_20scan_config_selectorItEEZZNS1_9scan_implILNS1_25lookback_scan_determinismE0ELb0ELb0ES3_N6thrust23THRUST_200600_302600_NS6detail15normal_iteratorINS9_10device_ptrItEEEESE_tNS9_4plusIvEEtEEDaPvRmT3_T4_T5_mT6_P12ihipStream_tbENKUlT_T0_E_clISt17integral_constantIbLb0EEST_IbLb1EEEEDaSP_SQ_EUlSP_E_NS1_11comp_targetILNS1_3genE3ELNS1_11target_archE908ELNS1_3gpuE7ELNS1_3repE0EEENS1_30default_config_static_selectorELNS0_4arch9wavefront6targetE1EEEvT1_
                                        ; -- End function
	.section	.AMDGPU.csdata,"",@progbits
; Kernel info:
; codeLenInByte = 0
; NumSgprs: 4
; NumVgprs: 0
; NumAgprs: 0
; TotalNumVgprs: 0
; ScratchSize: 0
; MemoryBound: 0
; FloatMode: 240
; IeeeMode: 1
; LDSByteSize: 0 bytes/workgroup (compile time only)
; SGPRBlocks: 0
; VGPRBlocks: 0
; NumSGPRsForWavesPerEU: 4
; NumVGPRsForWavesPerEU: 1
; AccumOffset: 4
; Occupancy: 8
; WaveLimiterHint : 0
; COMPUTE_PGM_RSRC2:SCRATCH_EN: 0
; COMPUTE_PGM_RSRC2:USER_SGPR: 6
; COMPUTE_PGM_RSRC2:TRAP_HANDLER: 0
; COMPUTE_PGM_RSRC2:TGID_X_EN: 1
; COMPUTE_PGM_RSRC2:TGID_Y_EN: 0
; COMPUTE_PGM_RSRC2:TGID_Z_EN: 0
; COMPUTE_PGM_RSRC2:TIDIG_COMP_CNT: 0
; COMPUTE_PGM_RSRC3_GFX90A:ACCUM_OFFSET: 0
; COMPUTE_PGM_RSRC3_GFX90A:TG_SPLIT: 0
	.section	.text._ZN7rocprim17ROCPRIM_400000_NS6detail17trampoline_kernelINS0_14default_configENS1_20scan_config_selectorItEEZZNS1_9scan_implILNS1_25lookback_scan_determinismE0ELb0ELb0ES3_N6thrust23THRUST_200600_302600_NS6detail15normal_iteratorINS9_10device_ptrItEEEESE_tNS9_4plusIvEEtEEDaPvRmT3_T4_T5_mT6_P12ihipStream_tbENKUlT_T0_E_clISt17integral_constantIbLb0EEST_IbLb1EEEEDaSP_SQ_EUlSP_E_NS1_11comp_targetILNS1_3genE2ELNS1_11target_archE906ELNS1_3gpuE6ELNS1_3repE0EEENS1_30default_config_static_selectorELNS0_4arch9wavefront6targetE1EEEvT1_,"axG",@progbits,_ZN7rocprim17ROCPRIM_400000_NS6detail17trampoline_kernelINS0_14default_configENS1_20scan_config_selectorItEEZZNS1_9scan_implILNS1_25lookback_scan_determinismE0ELb0ELb0ES3_N6thrust23THRUST_200600_302600_NS6detail15normal_iteratorINS9_10device_ptrItEEEESE_tNS9_4plusIvEEtEEDaPvRmT3_T4_T5_mT6_P12ihipStream_tbENKUlT_T0_E_clISt17integral_constantIbLb0EEST_IbLb1EEEEDaSP_SQ_EUlSP_E_NS1_11comp_targetILNS1_3genE2ELNS1_11target_archE906ELNS1_3gpuE6ELNS1_3repE0EEENS1_30default_config_static_selectorELNS0_4arch9wavefront6targetE1EEEvT1_,comdat
	.protected	_ZN7rocprim17ROCPRIM_400000_NS6detail17trampoline_kernelINS0_14default_configENS1_20scan_config_selectorItEEZZNS1_9scan_implILNS1_25lookback_scan_determinismE0ELb0ELb0ES3_N6thrust23THRUST_200600_302600_NS6detail15normal_iteratorINS9_10device_ptrItEEEESE_tNS9_4plusIvEEtEEDaPvRmT3_T4_T5_mT6_P12ihipStream_tbENKUlT_T0_E_clISt17integral_constantIbLb0EEST_IbLb1EEEEDaSP_SQ_EUlSP_E_NS1_11comp_targetILNS1_3genE2ELNS1_11target_archE906ELNS1_3gpuE6ELNS1_3repE0EEENS1_30default_config_static_selectorELNS0_4arch9wavefront6targetE1EEEvT1_ ; -- Begin function _ZN7rocprim17ROCPRIM_400000_NS6detail17trampoline_kernelINS0_14default_configENS1_20scan_config_selectorItEEZZNS1_9scan_implILNS1_25lookback_scan_determinismE0ELb0ELb0ES3_N6thrust23THRUST_200600_302600_NS6detail15normal_iteratorINS9_10device_ptrItEEEESE_tNS9_4plusIvEEtEEDaPvRmT3_T4_T5_mT6_P12ihipStream_tbENKUlT_T0_E_clISt17integral_constantIbLb0EEST_IbLb1EEEEDaSP_SQ_EUlSP_E_NS1_11comp_targetILNS1_3genE2ELNS1_11target_archE906ELNS1_3gpuE6ELNS1_3repE0EEENS1_30default_config_static_selectorELNS0_4arch9wavefront6targetE1EEEvT1_
	.globl	_ZN7rocprim17ROCPRIM_400000_NS6detail17trampoline_kernelINS0_14default_configENS1_20scan_config_selectorItEEZZNS1_9scan_implILNS1_25lookback_scan_determinismE0ELb0ELb0ES3_N6thrust23THRUST_200600_302600_NS6detail15normal_iteratorINS9_10device_ptrItEEEESE_tNS9_4plusIvEEtEEDaPvRmT3_T4_T5_mT6_P12ihipStream_tbENKUlT_T0_E_clISt17integral_constantIbLb0EEST_IbLb1EEEEDaSP_SQ_EUlSP_E_NS1_11comp_targetILNS1_3genE2ELNS1_11target_archE906ELNS1_3gpuE6ELNS1_3repE0EEENS1_30default_config_static_selectorELNS0_4arch9wavefront6targetE1EEEvT1_
	.p2align	8
	.type	_ZN7rocprim17ROCPRIM_400000_NS6detail17trampoline_kernelINS0_14default_configENS1_20scan_config_selectorItEEZZNS1_9scan_implILNS1_25lookback_scan_determinismE0ELb0ELb0ES3_N6thrust23THRUST_200600_302600_NS6detail15normal_iteratorINS9_10device_ptrItEEEESE_tNS9_4plusIvEEtEEDaPvRmT3_T4_T5_mT6_P12ihipStream_tbENKUlT_T0_E_clISt17integral_constantIbLb0EEST_IbLb1EEEEDaSP_SQ_EUlSP_E_NS1_11comp_targetILNS1_3genE2ELNS1_11target_archE906ELNS1_3gpuE6ELNS1_3repE0EEENS1_30default_config_static_selectorELNS0_4arch9wavefront6targetE1EEEvT1_,@function
_ZN7rocprim17ROCPRIM_400000_NS6detail17trampoline_kernelINS0_14default_configENS1_20scan_config_selectorItEEZZNS1_9scan_implILNS1_25lookback_scan_determinismE0ELb0ELb0ES3_N6thrust23THRUST_200600_302600_NS6detail15normal_iteratorINS9_10device_ptrItEEEESE_tNS9_4plusIvEEtEEDaPvRmT3_T4_T5_mT6_P12ihipStream_tbENKUlT_T0_E_clISt17integral_constantIbLb0EEST_IbLb1EEEEDaSP_SQ_EUlSP_E_NS1_11comp_targetILNS1_3genE2ELNS1_11target_archE906ELNS1_3gpuE6ELNS1_3repE0EEENS1_30default_config_static_selectorELNS0_4arch9wavefront6targetE1EEEvT1_: ; @_ZN7rocprim17ROCPRIM_400000_NS6detail17trampoline_kernelINS0_14default_configENS1_20scan_config_selectorItEEZZNS1_9scan_implILNS1_25lookback_scan_determinismE0ELb0ELb0ES3_N6thrust23THRUST_200600_302600_NS6detail15normal_iteratorINS9_10device_ptrItEEEESE_tNS9_4plusIvEEtEEDaPvRmT3_T4_T5_mT6_P12ihipStream_tbENKUlT_T0_E_clISt17integral_constantIbLb0EEST_IbLb1EEEEDaSP_SQ_EUlSP_E_NS1_11comp_targetILNS1_3genE2ELNS1_11target_archE906ELNS1_3gpuE6ELNS1_3repE0EEENS1_30default_config_static_selectorELNS0_4arch9wavefront6targetE1EEEvT1_
; %bb.0:
	.section	.rodata,"a",@progbits
	.p2align	6, 0x0
	.amdhsa_kernel _ZN7rocprim17ROCPRIM_400000_NS6detail17trampoline_kernelINS0_14default_configENS1_20scan_config_selectorItEEZZNS1_9scan_implILNS1_25lookback_scan_determinismE0ELb0ELb0ES3_N6thrust23THRUST_200600_302600_NS6detail15normal_iteratorINS9_10device_ptrItEEEESE_tNS9_4plusIvEEtEEDaPvRmT3_T4_T5_mT6_P12ihipStream_tbENKUlT_T0_E_clISt17integral_constantIbLb0EEST_IbLb1EEEEDaSP_SQ_EUlSP_E_NS1_11comp_targetILNS1_3genE2ELNS1_11target_archE906ELNS1_3gpuE6ELNS1_3repE0EEENS1_30default_config_static_selectorELNS0_4arch9wavefront6targetE1EEEvT1_
		.amdhsa_group_segment_fixed_size 0
		.amdhsa_private_segment_fixed_size 0
		.amdhsa_kernarg_size 96
		.amdhsa_user_sgpr_count 6
		.amdhsa_user_sgpr_private_segment_buffer 1
		.amdhsa_user_sgpr_dispatch_ptr 0
		.amdhsa_user_sgpr_queue_ptr 0
		.amdhsa_user_sgpr_kernarg_segment_ptr 1
		.amdhsa_user_sgpr_dispatch_id 0
		.amdhsa_user_sgpr_flat_scratch_init 0
		.amdhsa_user_sgpr_kernarg_preload_length 0
		.amdhsa_user_sgpr_kernarg_preload_offset 0
		.amdhsa_user_sgpr_private_segment_size 0
		.amdhsa_uses_dynamic_stack 0
		.amdhsa_system_sgpr_private_segment_wavefront_offset 0
		.amdhsa_system_sgpr_workgroup_id_x 1
		.amdhsa_system_sgpr_workgroup_id_y 0
		.amdhsa_system_sgpr_workgroup_id_z 0
		.amdhsa_system_sgpr_workgroup_info 0
		.amdhsa_system_vgpr_workitem_id 0
		.amdhsa_next_free_vgpr 1
		.amdhsa_next_free_sgpr 0
		.amdhsa_accum_offset 4
		.amdhsa_reserve_vcc 0
		.amdhsa_reserve_flat_scratch 0
		.amdhsa_float_round_mode_32 0
		.amdhsa_float_round_mode_16_64 0
		.amdhsa_float_denorm_mode_32 3
		.amdhsa_float_denorm_mode_16_64 3
		.amdhsa_dx10_clamp 1
		.amdhsa_ieee_mode 1
		.amdhsa_fp16_overflow 0
		.amdhsa_tg_split 0
		.amdhsa_exception_fp_ieee_invalid_op 0
		.amdhsa_exception_fp_denorm_src 0
		.amdhsa_exception_fp_ieee_div_zero 0
		.amdhsa_exception_fp_ieee_overflow 0
		.amdhsa_exception_fp_ieee_underflow 0
		.amdhsa_exception_fp_ieee_inexact 0
		.amdhsa_exception_int_div_zero 0
	.end_amdhsa_kernel
	.section	.text._ZN7rocprim17ROCPRIM_400000_NS6detail17trampoline_kernelINS0_14default_configENS1_20scan_config_selectorItEEZZNS1_9scan_implILNS1_25lookback_scan_determinismE0ELb0ELb0ES3_N6thrust23THRUST_200600_302600_NS6detail15normal_iteratorINS9_10device_ptrItEEEESE_tNS9_4plusIvEEtEEDaPvRmT3_T4_T5_mT6_P12ihipStream_tbENKUlT_T0_E_clISt17integral_constantIbLb0EEST_IbLb1EEEEDaSP_SQ_EUlSP_E_NS1_11comp_targetILNS1_3genE2ELNS1_11target_archE906ELNS1_3gpuE6ELNS1_3repE0EEENS1_30default_config_static_selectorELNS0_4arch9wavefront6targetE1EEEvT1_,"axG",@progbits,_ZN7rocprim17ROCPRIM_400000_NS6detail17trampoline_kernelINS0_14default_configENS1_20scan_config_selectorItEEZZNS1_9scan_implILNS1_25lookback_scan_determinismE0ELb0ELb0ES3_N6thrust23THRUST_200600_302600_NS6detail15normal_iteratorINS9_10device_ptrItEEEESE_tNS9_4plusIvEEtEEDaPvRmT3_T4_T5_mT6_P12ihipStream_tbENKUlT_T0_E_clISt17integral_constantIbLb0EEST_IbLb1EEEEDaSP_SQ_EUlSP_E_NS1_11comp_targetILNS1_3genE2ELNS1_11target_archE906ELNS1_3gpuE6ELNS1_3repE0EEENS1_30default_config_static_selectorELNS0_4arch9wavefront6targetE1EEEvT1_,comdat
.Lfunc_end4776:
	.size	_ZN7rocprim17ROCPRIM_400000_NS6detail17trampoline_kernelINS0_14default_configENS1_20scan_config_selectorItEEZZNS1_9scan_implILNS1_25lookback_scan_determinismE0ELb0ELb0ES3_N6thrust23THRUST_200600_302600_NS6detail15normal_iteratorINS9_10device_ptrItEEEESE_tNS9_4plusIvEEtEEDaPvRmT3_T4_T5_mT6_P12ihipStream_tbENKUlT_T0_E_clISt17integral_constantIbLb0EEST_IbLb1EEEEDaSP_SQ_EUlSP_E_NS1_11comp_targetILNS1_3genE2ELNS1_11target_archE906ELNS1_3gpuE6ELNS1_3repE0EEENS1_30default_config_static_selectorELNS0_4arch9wavefront6targetE1EEEvT1_, .Lfunc_end4776-_ZN7rocprim17ROCPRIM_400000_NS6detail17trampoline_kernelINS0_14default_configENS1_20scan_config_selectorItEEZZNS1_9scan_implILNS1_25lookback_scan_determinismE0ELb0ELb0ES3_N6thrust23THRUST_200600_302600_NS6detail15normal_iteratorINS9_10device_ptrItEEEESE_tNS9_4plusIvEEtEEDaPvRmT3_T4_T5_mT6_P12ihipStream_tbENKUlT_T0_E_clISt17integral_constantIbLb0EEST_IbLb1EEEEDaSP_SQ_EUlSP_E_NS1_11comp_targetILNS1_3genE2ELNS1_11target_archE906ELNS1_3gpuE6ELNS1_3repE0EEENS1_30default_config_static_selectorELNS0_4arch9wavefront6targetE1EEEvT1_
                                        ; -- End function
	.section	.AMDGPU.csdata,"",@progbits
; Kernel info:
; codeLenInByte = 0
; NumSgprs: 4
; NumVgprs: 0
; NumAgprs: 0
; TotalNumVgprs: 0
; ScratchSize: 0
; MemoryBound: 0
; FloatMode: 240
; IeeeMode: 1
; LDSByteSize: 0 bytes/workgroup (compile time only)
; SGPRBlocks: 0
; VGPRBlocks: 0
; NumSGPRsForWavesPerEU: 4
; NumVGPRsForWavesPerEU: 1
; AccumOffset: 4
; Occupancy: 8
; WaveLimiterHint : 0
; COMPUTE_PGM_RSRC2:SCRATCH_EN: 0
; COMPUTE_PGM_RSRC2:USER_SGPR: 6
; COMPUTE_PGM_RSRC2:TRAP_HANDLER: 0
; COMPUTE_PGM_RSRC2:TGID_X_EN: 1
; COMPUTE_PGM_RSRC2:TGID_Y_EN: 0
; COMPUTE_PGM_RSRC2:TGID_Z_EN: 0
; COMPUTE_PGM_RSRC2:TIDIG_COMP_CNT: 0
; COMPUTE_PGM_RSRC3_GFX90A:ACCUM_OFFSET: 0
; COMPUTE_PGM_RSRC3_GFX90A:TG_SPLIT: 0
	.section	.text._ZN7rocprim17ROCPRIM_400000_NS6detail17trampoline_kernelINS0_14default_configENS1_20scan_config_selectorItEEZZNS1_9scan_implILNS1_25lookback_scan_determinismE0ELb0ELb0ES3_N6thrust23THRUST_200600_302600_NS6detail15normal_iteratorINS9_10device_ptrItEEEESE_tNS9_4plusIvEEtEEDaPvRmT3_T4_T5_mT6_P12ihipStream_tbENKUlT_T0_E_clISt17integral_constantIbLb0EEST_IbLb1EEEEDaSP_SQ_EUlSP_E_NS1_11comp_targetILNS1_3genE10ELNS1_11target_archE1201ELNS1_3gpuE5ELNS1_3repE0EEENS1_30default_config_static_selectorELNS0_4arch9wavefront6targetE1EEEvT1_,"axG",@progbits,_ZN7rocprim17ROCPRIM_400000_NS6detail17trampoline_kernelINS0_14default_configENS1_20scan_config_selectorItEEZZNS1_9scan_implILNS1_25lookback_scan_determinismE0ELb0ELb0ES3_N6thrust23THRUST_200600_302600_NS6detail15normal_iteratorINS9_10device_ptrItEEEESE_tNS9_4plusIvEEtEEDaPvRmT3_T4_T5_mT6_P12ihipStream_tbENKUlT_T0_E_clISt17integral_constantIbLb0EEST_IbLb1EEEEDaSP_SQ_EUlSP_E_NS1_11comp_targetILNS1_3genE10ELNS1_11target_archE1201ELNS1_3gpuE5ELNS1_3repE0EEENS1_30default_config_static_selectorELNS0_4arch9wavefront6targetE1EEEvT1_,comdat
	.protected	_ZN7rocprim17ROCPRIM_400000_NS6detail17trampoline_kernelINS0_14default_configENS1_20scan_config_selectorItEEZZNS1_9scan_implILNS1_25lookback_scan_determinismE0ELb0ELb0ES3_N6thrust23THRUST_200600_302600_NS6detail15normal_iteratorINS9_10device_ptrItEEEESE_tNS9_4plusIvEEtEEDaPvRmT3_T4_T5_mT6_P12ihipStream_tbENKUlT_T0_E_clISt17integral_constantIbLb0EEST_IbLb1EEEEDaSP_SQ_EUlSP_E_NS1_11comp_targetILNS1_3genE10ELNS1_11target_archE1201ELNS1_3gpuE5ELNS1_3repE0EEENS1_30default_config_static_selectorELNS0_4arch9wavefront6targetE1EEEvT1_ ; -- Begin function _ZN7rocprim17ROCPRIM_400000_NS6detail17trampoline_kernelINS0_14default_configENS1_20scan_config_selectorItEEZZNS1_9scan_implILNS1_25lookback_scan_determinismE0ELb0ELb0ES3_N6thrust23THRUST_200600_302600_NS6detail15normal_iteratorINS9_10device_ptrItEEEESE_tNS9_4plusIvEEtEEDaPvRmT3_T4_T5_mT6_P12ihipStream_tbENKUlT_T0_E_clISt17integral_constantIbLb0EEST_IbLb1EEEEDaSP_SQ_EUlSP_E_NS1_11comp_targetILNS1_3genE10ELNS1_11target_archE1201ELNS1_3gpuE5ELNS1_3repE0EEENS1_30default_config_static_selectorELNS0_4arch9wavefront6targetE1EEEvT1_
	.globl	_ZN7rocprim17ROCPRIM_400000_NS6detail17trampoline_kernelINS0_14default_configENS1_20scan_config_selectorItEEZZNS1_9scan_implILNS1_25lookback_scan_determinismE0ELb0ELb0ES3_N6thrust23THRUST_200600_302600_NS6detail15normal_iteratorINS9_10device_ptrItEEEESE_tNS9_4plusIvEEtEEDaPvRmT3_T4_T5_mT6_P12ihipStream_tbENKUlT_T0_E_clISt17integral_constantIbLb0EEST_IbLb1EEEEDaSP_SQ_EUlSP_E_NS1_11comp_targetILNS1_3genE10ELNS1_11target_archE1201ELNS1_3gpuE5ELNS1_3repE0EEENS1_30default_config_static_selectorELNS0_4arch9wavefront6targetE1EEEvT1_
	.p2align	8
	.type	_ZN7rocprim17ROCPRIM_400000_NS6detail17trampoline_kernelINS0_14default_configENS1_20scan_config_selectorItEEZZNS1_9scan_implILNS1_25lookback_scan_determinismE0ELb0ELb0ES3_N6thrust23THRUST_200600_302600_NS6detail15normal_iteratorINS9_10device_ptrItEEEESE_tNS9_4plusIvEEtEEDaPvRmT3_T4_T5_mT6_P12ihipStream_tbENKUlT_T0_E_clISt17integral_constantIbLb0EEST_IbLb1EEEEDaSP_SQ_EUlSP_E_NS1_11comp_targetILNS1_3genE10ELNS1_11target_archE1201ELNS1_3gpuE5ELNS1_3repE0EEENS1_30default_config_static_selectorELNS0_4arch9wavefront6targetE1EEEvT1_,@function
_ZN7rocprim17ROCPRIM_400000_NS6detail17trampoline_kernelINS0_14default_configENS1_20scan_config_selectorItEEZZNS1_9scan_implILNS1_25lookback_scan_determinismE0ELb0ELb0ES3_N6thrust23THRUST_200600_302600_NS6detail15normal_iteratorINS9_10device_ptrItEEEESE_tNS9_4plusIvEEtEEDaPvRmT3_T4_T5_mT6_P12ihipStream_tbENKUlT_T0_E_clISt17integral_constantIbLb0EEST_IbLb1EEEEDaSP_SQ_EUlSP_E_NS1_11comp_targetILNS1_3genE10ELNS1_11target_archE1201ELNS1_3gpuE5ELNS1_3repE0EEENS1_30default_config_static_selectorELNS0_4arch9wavefront6targetE1EEEvT1_: ; @_ZN7rocprim17ROCPRIM_400000_NS6detail17trampoline_kernelINS0_14default_configENS1_20scan_config_selectorItEEZZNS1_9scan_implILNS1_25lookback_scan_determinismE0ELb0ELb0ES3_N6thrust23THRUST_200600_302600_NS6detail15normal_iteratorINS9_10device_ptrItEEEESE_tNS9_4plusIvEEtEEDaPvRmT3_T4_T5_mT6_P12ihipStream_tbENKUlT_T0_E_clISt17integral_constantIbLb0EEST_IbLb1EEEEDaSP_SQ_EUlSP_E_NS1_11comp_targetILNS1_3genE10ELNS1_11target_archE1201ELNS1_3gpuE5ELNS1_3repE0EEENS1_30default_config_static_selectorELNS0_4arch9wavefront6targetE1EEEvT1_
; %bb.0:
	.section	.rodata,"a",@progbits
	.p2align	6, 0x0
	.amdhsa_kernel _ZN7rocprim17ROCPRIM_400000_NS6detail17trampoline_kernelINS0_14default_configENS1_20scan_config_selectorItEEZZNS1_9scan_implILNS1_25lookback_scan_determinismE0ELb0ELb0ES3_N6thrust23THRUST_200600_302600_NS6detail15normal_iteratorINS9_10device_ptrItEEEESE_tNS9_4plusIvEEtEEDaPvRmT3_T4_T5_mT6_P12ihipStream_tbENKUlT_T0_E_clISt17integral_constantIbLb0EEST_IbLb1EEEEDaSP_SQ_EUlSP_E_NS1_11comp_targetILNS1_3genE10ELNS1_11target_archE1201ELNS1_3gpuE5ELNS1_3repE0EEENS1_30default_config_static_selectorELNS0_4arch9wavefront6targetE1EEEvT1_
		.amdhsa_group_segment_fixed_size 0
		.amdhsa_private_segment_fixed_size 0
		.amdhsa_kernarg_size 96
		.amdhsa_user_sgpr_count 6
		.amdhsa_user_sgpr_private_segment_buffer 1
		.amdhsa_user_sgpr_dispatch_ptr 0
		.amdhsa_user_sgpr_queue_ptr 0
		.amdhsa_user_sgpr_kernarg_segment_ptr 1
		.amdhsa_user_sgpr_dispatch_id 0
		.amdhsa_user_sgpr_flat_scratch_init 0
		.amdhsa_user_sgpr_kernarg_preload_length 0
		.amdhsa_user_sgpr_kernarg_preload_offset 0
		.amdhsa_user_sgpr_private_segment_size 0
		.amdhsa_uses_dynamic_stack 0
		.amdhsa_system_sgpr_private_segment_wavefront_offset 0
		.amdhsa_system_sgpr_workgroup_id_x 1
		.amdhsa_system_sgpr_workgroup_id_y 0
		.amdhsa_system_sgpr_workgroup_id_z 0
		.amdhsa_system_sgpr_workgroup_info 0
		.amdhsa_system_vgpr_workitem_id 0
		.amdhsa_next_free_vgpr 1
		.amdhsa_next_free_sgpr 0
		.amdhsa_accum_offset 4
		.amdhsa_reserve_vcc 0
		.amdhsa_reserve_flat_scratch 0
		.amdhsa_float_round_mode_32 0
		.amdhsa_float_round_mode_16_64 0
		.amdhsa_float_denorm_mode_32 3
		.amdhsa_float_denorm_mode_16_64 3
		.amdhsa_dx10_clamp 1
		.amdhsa_ieee_mode 1
		.amdhsa_fp16_overflow 0
		.amdhsa_tg_split 0
		.amdhsa_exception_fp_ieee_invalid_op 0
		.amdhsa_exception_fp_denorm_src 0
		.amdhsa_exception_fp_ieee_div_zero 0
		.amdhsa_exception_fp_ieee_overflow 0
		.amdhsa_exception_fp_ieee_underflow 0
		.amdhsa_exception_fp_ieee_inexact 0
		.amdhsa_exception_int_div_zero 0
	.end_amdhsa_kernel
	.section	.text._ZN7rocprim17ROCPRIM_400000_NS6detail17trampoline_kernelINS0_14default_configENS1_20scan_config_selectorItEEZZNS1_9scan_implILNS1_25lookback_scan_determinismE0ELb0ELb0ES3_N6thrust23THRUST_200600_302600_NS6detail15normal_iteratorINS9_10device_ptrItEEEESE_tNS9_4plusIvEEtEEDaPvRmT3_T4_T5_mT6_P12ihipStream_tbENKUlT_T0_E_clISt17integral_constantIbLb0EEST_IbLb1EEEEDaSP_SQ_EUlSP_E_NS1_11comp_targetILNS1_3genE10ELNS1_11target_archE1201ELNS1_3gpuE5ELNS1_3repE0EEENS1_30default_config_static_selectorELNS0_4arch9wavefront6targetE1EEEvT1_,"axG",@progbits,_ZN7rocprim17ROCPRIM_400000_NS6detail17trampoline_kernelINS0_14default_configENS1_20scan_config_selectorItEEZZNS1_9scan_implILNS1_25lookback_scan_determinismE0ELb0ELb0ES3_N6thrust23THRUST_200600_302600_NS6detail15normal_iteratorINS9_10device_ptrItEEEESE_tNS9_4plusIvEEtEEDaPvRmT3_T4_T5_mT6_P12ihipStream_tbENKUlT_T0_E_clISt17integral_constantIbLb0EEST_IbLb1EEEEDaSP_SQ_EUlSP_E_NS1_11comp_targetILNS1_3genE10ELNS1_11target_archE1201ELNS1_3gpuE5ELNS1_3repE0EEENS1_30default_config_static_selectorELNS0_4arch9wavefront6targetE1EEEvT1_,comdat
.Lfunc_end4777:
	.size	_ZN7rocprim17ROCPRIM_400000_NS6detail17trampoline_kernelINS0_14default_configENS1_20scan_config_selectorItEEZZNS1_9scan_implILNS1_25lookback_scan_determinismE0ELb0ELb0ES3_N6thrust23THRUST_200600_302600_NS6detail15normal_iteratorINS9_10device_ptrItEEEESE_tNS9_4plusIvEEtEEDaPvRmT3_T4_T5_mT6_P12ihipStream_tbENKUlT_T0_E_clISt17integral_constantIbLb0EEST_IbLb1EEEEDaSP_SQ_EUlSP_E_NS1_11comp_targetILNS1_3genE10ELNS1_11target_archE1201ELNS1_3gpuE5ELNS1_3repE0EEENS1_30default_config_static_selectorELNS0_4arch9wavefront6targetE1EEEvT1_, .Lfunc_end4777-_ZN7rocprim17ROCPRIM_400000_NS6detail17trampoline_kernelINS0_14default_configENS1_20scan_config_selectorItEEZZNS1_9scan_implILNS1_25lookback_scan_determinismE0ELb0ELb0ES3_N6thrust23THRUST_200600_302600_NS6detail15normal_iteratorINS9_10device_ptrItEEEESE_tNS9_4plusIvEEtEEDaPvRmT3_T4_T5_mT6_P12ihipStream_tbENKUlT_T0_E_clISt17integral_constantIbLb0EEST_IbLb1EEEEDaSP_SQ_EUlSP_E_NS1_11comp_targetILNS1_3genE10ELNS1_11target_archE1201ELNS1_3gpuE5ELNS1_3repE0EEENS1_30default_config_static_selectorELNS0_4arch9wavefront6targetE1EEEvT1_
                                        ; -- End function
	.section	.AMDGPU.csdata,"",@progbits
; Kernel info:
; codeLenInByte = 0
; NumSgprs: 4
; NumVgprs: 0
; NumAgprs: 0
; TotalNumVgprs: 0
; ScratchSize: 0
; MemoryBound: 0
; FloatMode: 240
; IeeeMode: 1
; LDSByteSize: 0 bytes/workgroup (compile time only)
; SGPRBlocks: 0
; VGPRBlocks: 0
; NumSGPRsForWavesPerEU: 4
; NumVGPRsForWavesPerEU: 1
; AccumOffset: 4
; Occupancy: 8
; WaveLimiterHint : 0
; COMPUTE_PGM_RSRC2:SCRATCH_EN: 0
; COMPUTE_PGM_RSRC2:USER_SGPR: 6
; COMPUTE_PGM_RSRC2:TRAP_HANDLER: 0
; COMPUTE_PGM_RSRC2:TGID_X_EN: 1
; COMPUTE_PGM_RSRC2:TGID_Y_EN: 0
; COMPUTE_PGM_RSRC2:TGID_Z_EN: 0
; COMPUTE_PGM_RSRC2:TIDIG_COMP_CNT: 0
; COMPUTE_PGM_RSRC3_GFX90A:ACCUM_OFFSET: 0
; COMPUTE_PGM_RSRC3_GFX90A:TG_SPLIT: 0
	.section	.text._ZN7rocprim17ROCPRIM_400000_NS6detail17trampoline_kernelINS0_14default_configENS1_20scan_config_selectorItEEZZNS1_9scan_implILNS1_25lookback_scan_determinismE0ELb0ELb0ES3_N6thrust23THRUST_200600_302600_NS6detail15normal_iteratorINS9_10device_ptrItEEEESE_tNS9_4plusIvEEtEEDaPvRmT3_T4_T5_mT6_P12ihipStream_tbENKUlT_T0_E_clISt17integral_constantIbLb0EEST_IbLb1EEEEDaSP_SQ_EUlSP_E_NS1_11comp_targetILNS1_3genE10ELNS1_11target_archE1200ELNS1_3gpuE4ELNS1_3repE0EEENS1_30default_config_static_selectorELNS0_4arch9wavefront6targetE1EEEvT1_,"axG",@progbits,_ZN7rocprim17ROCPRIM_400000_NS6detail17trampoline_kernelINS0_14default_configENS1_20scan_config_selectorItEEZZNS1_9scan_implILNS1_25lookback_scan_determinismE0ELb0ELb0ES3_N6thrust23THRUST_200600_302600_NS6detail15normal_iteratorINS9_10device_ptrItEEEESE_tNS9_4plusIvEEtEEDaPvRmT3_T4_T5_mT6_P12ihipStream_tbENKUlT_T0_E_clISt17integral_constantIbLb0EEST_IbLb1EEEEDaSP_SQ_EUlSP_E_NS1_11comp_targetILNS1_3genE10ELNS1_11target_archE1200ELNS1_3gpuE4ELNS1_3repE0EEENS1_30default_config_static_selectorELNS0_4arch9wavefront6targetE1EEEvT1_,comdat
	.protected	_ZN7rocprim17ROCPRIM_400000_NS6detail17trampoline_kernelINS0_14default_configENS1_20scan_config_selectorItEEZZNS1_9scan_implILNS1_25lookback_scan_determinismE0ELb0ELb0ES3_N6thrust23THRUST_200600_302600_NS6detail15normal_iteratorINS9_10device_ptrItEEEESE_tNS9_4plusIvEEtEEDaPvRmT3_T4_T5_mT6_P12ihipStream_tbENKUlT_T0_E_clISt17integral_constantIbLb0EEST_IbLb1EEEEDaSP_SQ_EUlSP_E_NS1_11comp_targetILNS1_3genE10ELNS1_11target_archE1200ELNS1_3gpuE4ELNS1_3repE0EEENS1_30default_config_static_selectorELNS0_4arch9wavefront6targetE1EEEvT1_ ; -- Begin function _ZN7rocprim17ROCPRIM_400000_NS6detail17trampoline_kernelINS0_14default_configENS1_20scan_config_selectorItEEZZNS1_9scan_implILNS1_25lookback_scan_determinismE0ELb0ELb0ES3_N6thrust23THRUST_200600_302600_NS6detail15normal_iteratorINS9_10device_ptrItEEEESE_tNS9_4plusIvEEtEEDaPvRmT3_T4_T5_mT6_P12ihipStream_tbENKUlT_T0_E_clISt17integral_constantIbLb0EEST_IbLb1EEEEDaSP_SQ_EUlSP_E_NS1_11comp_targetILNS1_3genE10ELNS1_11target_archE1200ELNS1_3gpuE4ELNS1_3repE0EEENS1_30default_config_static_selectorELNS0_4arch9wavefront6targetE1EEEvT1_
	.globl	_ZN7rocprim17ROCPRIM_400000_NS6detail17trampoline_kernelINS0_14default_configENS1_20scan_config_selectorItEEZZNS1_9scan_implILNS1_25lookback_scan_determinismE0ELb0ELb0ES3_N6thrust23THRUST_200600_302600_NS6detail15normal_iteratorINS9_10device_ptrItEEEESE_tNS9_4plusIvEEtEEDaPvRmT3_T4_T5_mT6_P12ihipStream_tbENKUlT_T0_E_clISt17integral_constantIbLb0EEST_IbLb1EEEEDaSP_SQ_EUlSP_E_NS1_11comp_targetILNS1_3genE10ELNS1_11target_archE1200ELNS1_3gpuE4ELNS1_3repE0EEENS1_30default_config_static_selectorELNS0_4arch9wavefront6targetE1EEEvT1_
	.p2align	8
	.type	_ZN7rocprim17ROCPRIM_400000_NS6detail17trampoline_kernelINS0_14default_configENS1_20scan_config_selectorItEEZZNS1_9scan_implILNS1_25lookback_scan_determinismE0ELb0ELb0ES3_N6thrust23THRUST_200600_302600_NS6detail15normal_iteratorINS9_10device_ptrItEEEESE_tNS9_4plusIvEEtEEDaPvRmT3_T4_T5_mT6_P12ihipStream_tbENKUlT_T0_E_clISt17integral_constantIbLb0EEST_IbLb1EEEEDaSP_SQ_EUlSP_E_NS1_11comp_targetILNS1_3genE10ELNS1_11target_archE1200ELNS1_3gpuE4ELNS1_3repE0EEENS1_30default_config_static_selectorELNS0_4arch9wavefront6targetE1EEEvT1_,@function
_ZN7rocprim17ROCPRIM_400000_NS6detail17trampoline_kernelINS0_14default_configENS1_20scan_config_selectorItEEZZNS1_9scan_implILNS1_25lookback_scan_determinismE0ELb0ELb0ES3_N6thrust23THRUST_200600_302600_NS6detail15normal_iteratorINS9_10device_ptrItEEEESE_tNS9_4plusIvEEtEEDaPvRmT3_T4_T5_mT6_P12ihipStream_tbENKUlT_T0_E_clISt17integral_constantIbLb0EEST_IbLb1EEEEDaSP_SQ_EUlSP_E_NS1_11comp_targetILNS1_3genE10ELNS1_11target_archE1200ELNS1_3gpuE4ELNS1_3repE0EEENS1_30default_config_static_selectorELNS0_4arch9wavefront6targetE1EEEvT1_: ; @_ZN7rocprim17ROCPRIM_400000_NS6detail17trampoline_kernelINS0_14default_configENS1_20scan_config_selectorItEEZZNS1_9scan_implILNS1_25lookback_scan_determinismE0ELb0ELb0ES3_N6thrust23THRUST_200600_302600_NS6detail15normal_iteratorINS9_10device_ptrItEEEESE_tNS9_4plusIvEEtEEDaPvRmT3_T4_T5_mT6_P12ihipStream_tbENKUlT_T0_E_clISt17integral_constantIbLb0EEST_IbLb1EEEEDaSP_SQ_EUlSP_E_NS1_11comp_targetILNS1_3genE10ELNS1_11target_archE1200ELNS1_3gpuE4ELNS1_3repE0EEENS1_30default_config_static_selectorELNS0_4arch9wavefront6targetE1EEEvT1_
; %bb.0:
	.section	.rodata,"a",@progbits
	.p2align	6, 0x0
	.amdhsa_kernel _ZN7rocprim17ROCPRIM_400000_NS6detail17trampoline_kernelINS0_14default_configENS1_20scan_config_selectorItEEZZNS1_9scan_implILNS1_25lookback_scan_determinismE0ELb0ELb0ES3_N6thrust23THRUST_200600_302600_NS6detail15normal_iteratorINS9_10device_ptrItEEEESE_tNS9_4plusIvEEtEEDaPvRmT3_T4_T5_mT6_P12ihipStream_tbENKUlT_T0_E_clISt17integral_constantIbLb0EEST_IbLb1EEEEDaSP_SQ_EUlSP_E_NS1_11comp_targetILNS1_3genE10ELNS1_11target_archE1200ELNS1_3gpuE4ELNS1_3repE0EEENS1_30default_config_static_selectorELNS0_4arch9wavefront6targetE1EEEvT1_
		.amdhsa_group_segment_fixed_size 0
		.amdhsa_private_segment_fixed_size 0
		.amdhsa_kernarg_size 96
		.amdhsa_user_sgpr_count 6
		.amdhsa_user_sgpr_private_segment_buffer 1
		.amdhsa_user_sgpr_dispatch_ptr 0
		.amdhsa_user_sgpr_queue_ptr 0
		.amdhsa_user_sgpr_kernarg_segment_ptr 1
		.amdhsa_user_sgpr_dispatch_id 0
		.amdhsa_user_sgpr_flat_scratch_init 0
		.amdhsa_user_sgpr_kernarg_preload_length 0
		.amdhsa_user_sgpr_kernarg_preload_offset 0
		.amdhsa_user_sgpr_private_segment_size 0
		.amdhsa_uses_dynamic_stack 0
		.amdhsa_system_sgpr_private_segment_wavefront_offset 0
		.amdhsa_system_sgpr_workgroup_id_x 1
		.amdhsa_system_sgpr_workgroup_id_y 0
		.amdhsa_system_sgpr_workgroup_id_z 0
		.amdhsa_system_sgpr_workgroup_info 0
		.amdhsa_system_vgpr_workitem_id 0
		.amdhsa_next_free_vgpr 1
		.amdhsa_next_free_sgpr 0
		.amdhsa_accum_offset 4
		.amdhsa_reserve_vcc 0
		.amdhsa_reserve_flat_scratch 0
		.amdhsa_float_round_mode_32 0
		.amdhsa_float_round_mode_16_64 0
		.amdhsa_float_denorm_mode_32 3
		.amdhsa_float_denorm_mode_16_64 3
		.amdhsa_dx10_clamp 1
		.amdhsa_ieee_mode 1
		.amdhsa_fp16_overflow 0
		.amdhsa_tg_split 0
		.amdhsa_exception_fp_ieee_invalid_op 0
		.amdhsa_exception_fp_denorm_src 0
		.amdhsa_exception_fp_ieee_div_zero 0
		.amdhsa_exception_fp_ieee_overflow 0
		.amdhsa_exception_fp_ieee_underflow 0
		.amdhsa_exception_fp_ieee_inexact 0
		.amdhsa_exception_int_div_zero 0
	.end_amdhsa_kernel
	.section	.text._ZN7rocprim17ROCPRIM_400000_NS6detail17trampoline_kernelINS0_14default_configENS1_20scan_config_selectorItEEZZNS1_9scan_implILNS1_25lookback_scan_determinismE0ELb0ELb0ES3_N6thrust23THRUST_200600_302600_NS6detail15normal_iteratorINS9_10device_ptrItEEEESE_tNS9_4plusIvEEtEEDaPvRmT3_T4_T5_mT6_P12ihipStream_tbENKUlT_T0_E_clISt17integral_constantIbLb0EEST_IbLb1EEEEDaSP_SQ_EUlSP_E_NS1_11comp_targetILNS1_3genE10ELNS1_11target_archE1200ELNS1_3gpuE4ELNS1_3repE0EEENS1_30default_config_static_selectorELNS0_4arch9wavefront6targetE1EEEvT1_,"axG",@progbits,_ZN7rocprim17ROCPRIM_400000_NS6detail17trampoline_kernelINS0_14default_configENS1_20scan_config_selectorItEEZZNS1_9scan_implILNS1_25lookback_scan_determinismE0ELb0ELb0ES3_N6thrust23THRUST_200600_302600_NS6detail15normal_iteratorINS9_10device_ptrItEEEESE_tNS9_4plusIvEEtEEDaPvRmT3_T4_T5_mT6_P12ihipStream_tbENKUlT_T0_E_clISt17integral_constantIbLb0EEST_IbLb1EEEEDaSP_SQ_EUlSP_E_NS1_11comp_targetILNS1_3genE10ELNS1_11target_archE1200ELNS1_3gpuE4ELNS1_3repE0EEENS1_30default_config_static_selectorELNS0_4arch9wavefront6targetE1EEEvT1_,comdat
.Lfunc_end4778:
	.size	_ZN7rocprim17ROCPRIM_400000_NS6detail17trampoline_kernelINS0_14default_configENS1_20scan_config_selectorItEEZZNS1_9scan_implILNS1_25lookback_scan_determinismE0ELb0ELb0ES3_N6thrust23THRUST_200600_302600_NS6detail15normal_iteratorINS9_10device_ptrItEEEESE_tNS9_4plusIvEEtEEDaPvRmT3_T4_T5_mT6_P12ihipStream_tbENKUlT_T0_E_clISt17integral_constantIbLb0EEST_IbLb1EEEEDaSP_SQ_EUlSP_E_NS1_11comp_targetILNS1_3genE10ELNS1_11target_archE1200ELNS1_3gpuE4ELNS1_3repE0EEENS1_30default_config_static_selectorELNS0_4arch9wavefront6targetE1EEEvT1_, .Lfunc_end4778-_ZN7rocprim17ROCPRIM_400000_NS6detail17trampoline_kernelINS0_14default_configENS1_20scan_config_selectorItEEZZNS1_9scan_implILNS1_25lookback_scan_determinismE0ELb0ELb0ES3_N6thrust23THRUST_200600_302600_NS6detail15normal_iteratorINS9_10device_ptrItEEEESE_tNS9_4plusIvEEtEEDaPvRmT3_T4_T5_mT6_P12ihipStream_tbENKUlT_T0_E_clISt17integral_constantIbLb0EEST_IbLb1EEEEDaSP_SQ_EUlSP_E_NS1_11comp_targetILNS1_3genE10ELNS1_11target_archE1200ELNS1_3gpuE4ELNS1_3repE0EEENS1_30default_config_static_selectorELNS0_4arch9wavefront6targetE1EEEvT1_
                                        ; -- End function
	.section	.AMDGPU.csdata,"",@progbits
; Kernel info:
; codeLenInByte = 0
; NumSgprs: 4
; NumVgprs: 0
; NumAgprs: 0
; TotalNumVgprs: 0
; ScratchSize: 0
; MemoryBound: 0
; FloatMode: 240
; IeeeMode: 1
; LDSByteSize: 0 bytes/workgroup (compile time only)
; SGPRBlocks: 0
; VGPRBlocks: 0
; NumSGPRsForWavesPerEU: 4
; NumVGPRsForWavesPerEU: 1
; AccumOffset: 4
; Occupancy: 8
; WaveLimiterHint : 0
; COMPUTE_PGM_RSRC2:SCRATCH_EN: 0
; COMPUTE_PGM_RSRC2:USER_SGPR: 6
; COMPUTE_PGM_RSRC2:TRAP_HANDLER: 0
; COMPUTE_PGM_RSRC2:TGID_X_EN: 1
; COMPUTE_PGM_RSRC2:TGID_Y_EN: 0
; COMPUTE_PGM_RSRC2:TGID_Z_EN: 0
; COMPUTE_PGM_RSRC2:TIDIG_COMP_CNT: 0
; COMPUTE_PGM_RSRC3_GFX90A:ACCUM_OFFSET: 0
; COMPUTE_PGM_RSRC3_GFX90A:TG_SPLIT: 0
	.section	.text._ZN7rocprim17ROCPRIM_400000_NS6detail17trampoline_kernelINS0_14default_configENS1_20scan_config_selectorItEEZZNS1_9scan_implILNS1_25lookback_scan_determinismE0ELb0ELb0ES3_N6thrust23THRUST_200600_302600_NS6detail15normal_iteratorINS9_10device_ptrItEEEESE_tNS9_4plusIvEEtEEDaPvRmT3_T4_T5_mT6_P12ihipStream_tbENKUlT_T0_E_clISt17integral_constantIbLb0EEST_IbLb1EEEEDaSP_SQ_EUlSP_E_NS1_11comp_targetILNS1_3genE9ELNS1_11target_archE1100ELNS1_3gpuE3ELNS1_3repE0EEENS1_30default_config_static_selectorELNS0_4arch9wavefront6targetE1EEEvT1_,"axG",@progbits,_ZN7rocprim17ROCPRIM_400000_NS6detail17trampoline_kernelINS0_14default_configENS1_20scan_config_selectorItEEZZNS1_9scan_implILNS1_25lookback_scan_determinismE0ELb0ELb0ES3_N6thrust23THRUST_200600_302600_NS6detail15normal_iteratorINS9_10device_ptrItEEEESE_tNS9_4plusIvEEtEEDaPvRmT3_T4_T5_mT6_P12ihipStream_tbENKUlT_T0_E_clISt17integral_constantIbLb0EEST_IbLb1EEEEDaSP_SQ_EUlSP_E_NS1_11comp_targetILNS1_3genE9ELNS1_11target_archE1100ELNS1_3gpuE3ELNS1_3repE0EEENS1_30default_config_static_selectorELNS0_4arch9wavefront6targetE1EEEvT1_,comdat
	.protected	_ZN7rocprim17ROCPRIM_400000_NS6detail17trampoline_kernelINS0_14default_configENS1_20scan_config_selectorItEEZZNS1_9scan_implILNS1_25lookback_scan_determinismE0ELb0ELb0ES3_N6thrust23THRUST_200600_302600_NS6detail15normal_iteratorINS9_10device_ptrItEEEESE_tNS9_4plusIvEEtEEDaPvRmT3_T4_T5_mT6_P12ihipStream_tbENKUlT_T0_E_clISt17integral_constantIbLb0EEST_IbLb1EEEEDaSP_SQ_EUlSP_E_NS1_11comp_targetILNS1_3genE9ELNS1_11target_archE1100ELNS1_3gpuE3ELNS1_3repE0EEENS1_30default_config_static_selectorELNS0_4arch9wavefront6targetE1EEEvT1_ ; -- Begin function _ZN7rocprim17ROCPRIM_400000_NS6detail17trampoline_kernelINS0_14default_configENS1_20scan_config_selectorItEEZZNS1_9scan_implILNS1_25lookback_scan_determinismE0ELb0ELb0ES3_N6thrust23THRUST_200600_302600_NS6detail15normal_iteratorINS9_10device_ptrItEEEESE_tNS9_4plusIvEEtEEDaPvRmT3_T4_T5_mT6_P12ihipStream_tbENKUlT_T0_E_clISt17integral_constantIbLb0EEST_IbLb1EEEEDaSP_SQ_EUlSP_E_NS1_11comp_targetILNS1_3genE9ELNS1_11target_archE1100ELNS1_3gpuE3ELNS1_3repE0EEENS1_30default_config_static_selectorELNS0_4arch9wavefront6targetE1EEEvT1_
	.globl	_ZN7rocprim17ROCPRIM_400000_NS6detail17trampoline_kernelINS0_14default_configENS1_20scan_config_selectorItEEZZNS1_9scan_implILNS1_25lookback_scan_determinismE0ELb0ELb0ES3_N6thrust23THRUST_200600_302600_NS6detail15normal_iteratorINS9_10device_ptrItEEEESE_tNS9_4plusIvEEtEEDaPvRmT3_T4_T5_mT6_P12ihipStream_tbENKUlT_T0_E_clISt17integral_constantIbLb0EEST_IbLb1EEEEDaSP_SQ_EUlSP_E_NS1_11comp_targetILNS1_3genE9ELNS1_11target_archE1100ELNS1_3gpuE3ELNS1_3repE0EEENS1_30default_config_static_selectorELNS0_4arch9wavefront6targetE1EEEvT1_
	.p2align	8
	.type	_ZN7rocprim17ROCPRIM_400000_NS6detail17trampoline_kernelINS0_14default_configENS1_20scan_config_selectorItEEZZNS1_9scan_implILNS1_25lookback_scan_determinismE0ELb0ELb0ES3_N6thrust23THRUST_200600_302600_NS6detail15normal_iteratorINS9_10device_ptrItEEEESE_tNS9_4plusIvEEtEEDaPvRmT3_T4_T5_mT6_P12ihipStream_tbENKUlT_T0_E_clISt17integral_constantIbLb0EEST_IbLb1EEEEDaSP_SQ_EUlSP_E_NS1_11comp_targetILNS1_3genE9ELNS1_11target_archE1100ELNS1_3gpuE3ELNS1_3repE0EEENS1_30default_config_static_selectorELNS0_4arch9wavefront6targetE1EEEvT1_,@function
_ZN7rocprim17ROCPRIM_400000_NS6detail17trampoline_kernelINS0_14default_configENS1_20scan_config_selectorItEEZZNS1_9scan_implILNS1_25lookback_scan_determinismE0ELb0ELb0ES3_N6thrust23THRUST_200600_302600_NS6detail15normal_iteratorINS9_10device_ptrItEEEESE_tNS9_4plusIvEEtEEDaPvRmT3_T4_T5_mT6_P12ihipStream_tbENKUlT_T0_E_clISt17integral_constantIbLb0EEST_IbLb1EEEEDaSP_SQ_EUlSP_E_NS1_11comp_targetILNS1_3genE9ELNS1_11target_archE1100ELNS1_3gpuE3ELNS1_3repE0EEENS1_30default_config_static_selectorELNS0_4arch9wavefront6targetE1EEEvT1_: ; @_ZN7rocprim17ROCPRIM_400000_NS6detail17trampoline_kernelINS0_14default_configENS1_20scan_config_selectorItEEZZNS1_9scan_implILNS1_25lookback_scan_determinismE0ELb0ELb0ES3_N6thrust23THRUST_200600_302600_NS6detail15normal_iteratorINS9_10device_ptrItEEEESE_tNS9_4plusIvEEtEEDaPvRmT3_T4_T5_mT6_P12ihipStream_tbENKUlT_T0_E_clISt17integral_constantIbLb0EEST_IbLb1EEEEDaSP_SQ_EUlSP_E_NS1_11comp_targetILNS1_3genE9ELNS1_11target_archE1100ELNS1_3gpuE3ELNS1_3repE0EEENS1_30default_config_static_selectorELNS0_4arch9wavefront6targetE1EEEvT1_
; %bb.0:
	.section	.rodata,"a",@progbits
	.p2align	6, 0x0
	.amdhsa_kernel _ZN7rocprim17ROCPRIM_400000_NS6detail17trampoline_kernelINS0_14default_configENS1_20scan_config_selectorItEEZZNS1_9scan_implILNS1_25lookback_scan_determinismE0ELb0ELb0ES3_N6thrust23THRUST_200600_302600_NS6detail15normal_iteratorINS9_10device_ptrItEEEESE_tNS9_4plusIvEEtEEDaPvRmT3_T4_T5_mT6_P12ihipStream_tbENKUlT_T0_E_clISt17integral_constantIbLb0EEST_IbLb1EEEEDaSP_SQ_EUlSP_E_NS1_11comp_targetILNS1_3genE9ELNS1_11target_archE1100ELNS1_3gpuE3ELNS1_3repE0EEENS1_30default_config_static_selectorELNS0_4arch9wavefront6targetE1EEEvT1_
		.amdhsa_group_segment_fixed_size 0
		.amdhsa_private_segment_fixed_size 0
		.amdhsa_kernarg_size 96
		.amdhsa_user_sgpr_count 6
		.amdhsa_user_sgpr_private_segment_buffer 1
		.amdhsa_user_sgpr_dispatch_ptr 0
		.amdhsa_user_sgpr_queue_ptr 0
		.amdhsa_user_sgpr_kernarg_segment_ptr 1
		.amdhsa_user_sgpr_dispatch_id 0
		.amdhsa_user_sgpr_flat_scratch_init 0
		.amdhsa_user_sgpr_kernarg_preload_length 0
		.amdhsa_user_sgpr_kernarg_preload_offset 0
		.amdhsa_user_sgpr_private_segment_size 0
		.amdhsa_uses_dynamic_stack 0
		.amdhsa_system_sgpr_private_segment_wavefront_offset 0
		.amdhsa_system_sgpr_workgroup_id_x 1
		.amdhsa_system_sgpr_workgroup_id_y 0
		.amdhsa_system_sgpr_workgroup_id_z 0
		.amdhsa_system_sgpr_workgroup_info 0
		.amdhsa_system_vgpr_workitem_id 0
		.amdhsa_next_free_vgpr 1
		.amdhsa_next_free_sgpr 0
		.amdhsa_accum_offset 4
		.amdhsa_reserve_vcc 0
		.amdhsa_reserve_flat_scratch 0
		.amdhsa_float_round_mode_32 0
		.amdhsa_float_round_mode_16_64 0
		.amdhsa_float_denorm_mode_32 3
		.amdhsa_float_denorm_mode_16_64 3
		.amdhsa_dx10_clamp 1
		.amdhsa_ieee_mode 1
		.amdhsa_fp16_overflow 0
		.amdhsa_tg_split 0
		.amdhsa_exception_fp_ieee_invalid_op 0
		.amdhsa_exception_fp_denorm_src 0
		.amdhsa_exception_fp_ieee_div_zero 0
		.amdhsa_exception_fp_ieee_overflow 0
		.amdhsa_exception_fp_ieee_underflow 0
		.amdhsa_exception_fp_ieee_inexact 0
		.amdhsa_exception_int_div_zero 0
	.end_amdhsa_kernel
	.section	.text._ZN7rocprim17ROCPRIM_400000_NS6detail17trampoline_kernelINS0_14default_configENS1_20scan_config_selectorItEEZZNS1_9scan_implILNS1_25lookback_scan_determinismE0ELb0ELb0ES3_N6thrust23THRUST_200600_302600_NS6detail15normal_iteratorINS9_10device_ptrItEEEESE_tNS9_4plusIvEEtEEDaPvRmT3_T4_T5_mT6_P12ihipStream_tbENKUlT_T0_E_clISt17integral_constantIbLb0EEST_IbLb1EEEEDaSP_SQ_EUlSP_E_NS1_11comp_targetILNS1_3genE9ELNS1_11target_archE1100ELNS1_3gpuE3ELNS1_3repE0EEENS1_30default_config_static_selectorELNS0_4arch9wavefront6targetE1EEEvT1_,"axG",@progbits,_ZN7rocprim17ROCPRIM_400000_NS6detail17trampoline_kernelINS0_14default_configENS1_20scan_config_selectorItEEZZNS1_9scan_implILNS1_25lookback_scan_determinismE0ELb0ELb0ES3_N6thrust23THRUST_200600_302600_NS6detail15normal_iteratorINS9_10device_ptrItEEEESE_tNS9_4plusIvEEtEEDaPvRmT3_T4_T5_mT6_P12ihipStream_tbENKUlT_T0_E_clISt17integral_constantIbLb0EEST_IbLb1EEEEDaSP_SQ_EUlSP_E_NS1_11comp_targetILNS1_3genE9ELNS1_11target_archE1100ELNS1_3gpuE3ELNS1_3repE0EEENS1_30default_config_static_selectorELNS0_4arch9wavefront6targetE1EEEvT1_,comdat
.Lfunc_end4779:
	.size	_ZN7rocprim17ROCPRIM_400000_NS6detail17trampoline_kernelINS0_14default_configENS1_20scan_config_selectorItEEZZNS1_9scan_implILNS1_25lookback_scan_determinismE0ELb0ELb0ES3_N6thrust23THRUST_200600_302600_NS6detail15normal_iteratorINS9_10device_ptrItEEEESE_tNS9_4plusIvEEtEEDaPvRmT3_T4_T5_mT6_P12ihipStream_tbENKUlT_T0_E_clISt17integral_constantIbLb0EEST_IbLb1EEEEDaSP_SQ_EUlSP_E_NS1_11comp_targetILNS1_3genE9ELNS1_11target_archE1100ELNS1_3gpuE3ELNS1_3repE0EEENS1_30default_config_static_selectorELNS0_4arch9wavefront6targetE1EEEvT1_, .Lfunc_end4779-_ZN7rocprim17ROCPRIM_400000_NS6detail17trampoline_kernelINS0_14default_configENS1_20scan_config_selectorItEEZZNS1_9scan_implILNS1_25lookback_scan_determinismE0ELb0ELb0ES3_N6thrust23THRUST_200600_302600_NS6detail15normal_iteratorINS9_10device_ptrItEEEESE_tNS9_4plusIvEEtEEDaPvRmT3_T4_T5_mT6_P12ihipStream_tbENKUlT_T0_E_clISt17integral_constantIbLb0EEST_IbLb1EEEEDaSP_SQ_EUlSP_E_NS1_11comp_targetILNS1_3genE9ELNS1_11target_archE1100ELNS1_3gpuE3ELNS1_3repE0EEENS1_30default_config_static_selectorELNS0_4arch9wavefront6targetE1EEEvT1_
                                        ; -- End function
	.section	.AMDGPU.csdata,"",@progbits
; Kernel info:
; codeLenInByte = 0
; NumSgprs: 4
; NumVgprs: 0
; NumAgprs: 0
; TotalNumVgprs: 0
; ScratchSize: 0
; MemoryBound: 0
; FloatMode: 240
; IeeeMode: 1
; LDSByteSize: 0 bytes/workgroup (compile time only)
; SGPRBlocks: 0
; VGPRBlocks: 0
; NumSGPRsForWavesPerEU: 4
; NumVGPRsForWavesPerEU: 1
; AccumOffset: 4
; Occupancy: 8
; WaveLimiterHint : 0
; COMPUTE_PGM_RSRC2:SCRATCH_EN: 0
; COMPUTE_PGM_RSRC2:USER_SGPR: 6
; COMPUTE_PGM_RSRC2:TRAP_HANDLER: 0
; COMPUTE_PGM_RSRC2:TGID_X_EN: 1
; COMPUTE_PGM_RSRC2:TGID_Y_EN: 0
; COMPUTE_PGM_RSRC2:TGID_Z_EN: 0
; COMPUTE_PGM_RSRC2:TIDIG_COMP_CNT: 0
; COMPUTE_PGM_RSRC3_GFX90A:ACCUM_OFFSET: 0
; COMPUTE_PGM_RSRC3_GFX90A:TG_SPLIT: 0
	.section	.text._ZN7rocprim17ROCPRIM_400000_NS6detail17trampoline_kernelINS0_14default_configENS1_20scan_config_selectorItEEZZNS1_9scan_implILNS1_25lookback_scan_determinismE0ELb0ELb0ES3_N6thrust23THRUST_200600_302600_NS6detail15normal_iteratorINS9_10device_ptrItEEEESE_tNS9_4plusIvEEtEEDaPvRmT3_T4_T5_mT6_P12ihipStream_tbENKUlT_T0_E_clISt17integral_constantIbLb0EEST_IbLb1EEEEDaSP_SQ_EUlSP_E_NS1_11comp_targetILNS1_3genE8ELNS1_11target_archE1030ELNS1_3gpuE2ELNS1_3repE0EEENS1_30default_config_static_selectorELNS0_4arch9wavefront6targetE1EEEvT1_,"axG",@progbits,_ZN7rocprim17ROCPRIM_400000_NS6detail17trampoline_kernelINS0_14default_configENS1_20scan_config_selectorItEEZZNS1_9scan_implILNS1_25lookback_scan_determinismE0ELb0ELb0ES3_N6thrust23THRUST_200600_302600_NS6detail15normal_iteratorINS9_10device_ptrItEEEESE_tNS9_4plusIvEEtEEDaPvRmT3_T4_T5_mT6_P12ihipStream_tbENKUlT_T0_E_clISt17integral_constantIbLb0EEST_IbLb1EEEEDaSP_SQ_EUlSP_E_NS1_11comp_targetILNS1_3genE8ELNS1_11target_archE1030ELNS1_3gpuE2ELNS1_3repE0EEENS1_30default_config_static_selectorELNS0_4arch9wavefront6targetE1EEEvT1_,comdat
	.protected	_ZN7rocprim17ROCPRIM_400000_NS6detail17trampoline_kernelINS0_14default_configENS1_20scan_config_selectorItEEZZNS1_9scan_implILNS1_25lookback_scan_determinismE0ELb0ELb0ES3_N6thrust23THRUST_200600_302600_NS6detail15normal_iteratorINS9_10device_ptrItEEEESE_tNS9_4plusIvEEtEEDaPvRmT3_T4_T5_mT6_P12ihipStream_tbENKUlT_T0_E_clISt17integral_constantIbLb0EEST_IbLb1EEEEDaSP_SQ_EUlSP_E_NS1_11comp_targetILNS1_3genE8ELNS1_11target_archE1030ELNS1_3gpuE2ELNS1_3repE0EEENS1_30default_config_static_selectorELNS0_4arch9wavefront6targetE1EEEvT1_ ; -- Begin function _ZN7rocprim17ROCPRIM_400000_NS6detail17trampoline_kernelINS0_14default_configENS1_20scan_config_selectorItEEZZNS1_9scan_implILNS1_25lookback_scan_determinismE0ELb0ELb0ES3_N6thrust23THRUST_200600_302600_NS6detail15normal_iteratorINS9_10device_ptrItEEEESE_tNS9_4plusIvEEtEEDaPvRmT3_T4_T5_mT6_P12ihipStream_tbENKUlT_T0_E_clISt17integral_constantIbLb0EEST_IbLb1EEEEDaSP_SQ_EUlSP_E_NS1_11comp_targetILNS1_3genE8ELNS1_11target_archE1030ELNS1_3gpuE2ELNS1_3repE0EEENS1_30default_config_static_selectorELNS0_4arch9wavefront6targetE1EEEvT1_
	.globl	_ZN7rocprim17ROCPRIM_400000_NS6detail17trampoline_kernelINS0_14default_configENS1_20scan_config_selectorItEEZZNS1_9scan_implILNS1_25lookback_scan_determinismE0ELb0ELb0ES3_N6thrust23THRUST_200600_302600_NS6detail15normal_iteratorINS9_10device_ptrItEEEESE_tNS9_4plusIvEEtEEDaPvRmT3_T4_T5_mT6_P12ihipStream_tbENKUlT_T0_E_clISt17integral_constantIbLb0EEST_IbLb1EEEEDaSP_SQ_EUlSP_E_NS1_11comp_targetILNS1_3genE8ELNS1_11target_archE1030ELNS1_3gpuE2ELNS1_3repE0EEENS1_30default_config_static_selectorELNS0_4arch9wavefront6targetE1EEEvT1_
	.p2align	8
	.type	_ZN7rocprim17ROCPRIM_400000_NS6detail17trampoline_kernelINS0_14default_configENS1_20scan_config_selectorItEEZZNS1_9scan_implILNS1_25lookback_scan_determinismE0ELb0ELb0ES3_N6thrust23THRUST_200600_302600_NS6detail15normal_iteratorINS9_10device_ptrItEEEESE_tNS9_4plusIvEEtEEDaPvRmT3_T4_T5_mT6_P12ihipStream_tbENKUlT_T0_E_clISt17integral_constantIbLb0EEST_IbLb1EEEEDaSP_SQ_EUlSP_E_NS1_11comp_targetILNS1_3genE8ELNS1_11target_archE1030ELNS1_3gpuE2ELNS1_3repE0EEENS1_30default_config_static_selectorELNS0_4arch9wavefront6targetE1EEEvT1_,@function
_ZN7rocprim17ROCPRIM_400000_NS6detail17trampoline_kernelINS0_14default_configENS1_20scan_config_selectorItEEZZNS1_9scan_implILNS1_25lookback_scan_determinismE0ELb0ELb0ES3_N6thrust23THRUST_200600_302600_NS6detail15normal_iteratorINS9_10device_ptrItEEEESE_tNS9_4plusIvEEtEEDaPvRmT3_T4_T5_mT6_P12ihipStream_tbENKUlT_T0_E_clISt17integral_constantIbLb0EEST_IbLb1EEEEDaSP_SQ_EUlSP_E_NS1_11comp_targetILNS1_3genE8ELNS1_11target_archE1030ELNS1_3gpuE2ELNS1_3repE0EEENS1_30default_config_static_selectorELNS0_4arch9wavefront6targetE1EEEvT1_: ; @_ZN7rocprim17ROCPRIM_400000_NS6detail17trampoline_kernelINS0_14default_configENS1_20scan_config_selectorItEEZZNS1_9scan_implILNS1_25lookback_scan_determinismE0ELb0ELb0ES3_N6thrust23THRUST_200600_302600_NS6detail15normal_iteratorINS9_10device_ptrItEEEESE_tNS9_4plusIvEEtEEDaPvRmT3_T4_T5_mT6_P12ihipStream_tbENKUlT_T0_E_clISt17integral_constantIbLb0EEST_IbLb1EEEEDaSP_SQ_EUlSP_E_NS1_11comp_targetILNS1_3genE8ELNS1_11target_archE1030ELNS1_3gpuE2ELNS1_3repE0EEENS1_30default_config_static_selectorELNS0_4arch9wavefront6targetE1EEEvT1_
; %bb.0:
	.section	.rodata,"a",@progbits
	.p2align	6, 0x0
	.amdhsa_kernel _ZN7rocprim17ROCPRIM_400000_NS6detail17trampoline_kernelINS0_14default_configENS1_20scan_config_selectorItEEZZNS1_9scan_implILNS1_25lookback_scan_determinismE0ELb0ELb0ES3_N6thrust23THRUST_200600_302600_NS6detail15normal_iteratorINS9_10device_ptrItEEEESE_tNS9_4plusIvEEtEEDaPvRmT3_T4_T5_mT6_P12ihipStream_tbENKUlT_T0_E_clISt17integral_constantIbLb0EEST_IbLb1EEEEDaSP_SQ_EUlSP_E_NS1_11comp_targetILNS1_3genE8ELNS1_11target_archE1030ELNS1_3gpuE2ELNS1_3repE0EEENS1_30default_config_static_selectorELNS0_4arch9wavefront6targetE1EEEvT1_
		.amdhsa_group_segment_fixed_size 0
		.amdhsa_private_segment_fixed_size 0
		.amdhsa_kernarg_size 96
		.amdhsa_user_sgpr_count 6
		.amdhsa_user_sgpr_private_segment_buffer 1
		.amdhsa_user_sgpr_dispatch_ptr 0
		.amdhsa_user_sgpr_queue_ptr 0
		.amdhsa_user_sgpr_kernarg_segment_ptr 1
		.amdhsa_user_sgpr_dispatch_id 0
		.amdhsa_user_sgpr_flat_scratch_init 0
		.amdhsa_user_sgpr_kernarg_preload_length 0
		.amdhsa_user_sgpr_kernarg_preload_offset 0
		.amdhsa_user_sgpr_private_segment_size 0
		.amdhsa_uses_dynamic_stack 0
		.amdhsa_system_sgpr_private_segment_wavefront_offset 0
		.amdhsa_system_sgpr_workgroup_id_x 1
		.amdhsa_system_sgpr_workgroup_id_y 0
		.amdhsa_system_sgpr_workgroup_id_z 0
		.amdhsa_system_sgpr_workgroup_info 0
		.amdhsa_system_vgpr_workitem_id 0
		.amdhsa_next_free_vgpr 1
		.amdhsa_next_free_sgpr 0
		.amdhsa_accum_offset 4
		.amdhsa_reserve_vcc 0
		.amdhsa_reserve_flat_scratch 0
		.amdhsa_float_round_mode_32 0
		.amdhsa_float_round_mode_16_64 0
		.amdhsa_float_denorm_mode_32 3
		.amdhsa_float_denorm_mode_16_64 3
		.amdhsa_dx10_clamp 1
		.amdhsa_ieee_mode 1
		.amdhsa_fp16_overflow 0
		.amdhsa_tg_split 0
		.amdhsa_exception_fp_ieee_invalid_op 0
		.amdhsa_exception_fp_denorm_src 0
		.amdhsa_exception_fp_ieee_div_zero 0
		.amdhsa_exception_fp_ieee_overflow 0
		.amdhsa_exception_fp_ieee_underflow 0
		.amdhsa_exception_fp_ieee_inexact 0
		.amdhsa_exception_int_div_zero 0
	.end_amdhsa_kernel
	.section	.text._ZN7rocprim17ROCPRIM_400000_NS6detail17trampoline_kernelINS0_14default_configENS1_20scan_config_selectorItEEZZNS1_9scan_implILNS1_25lookback_scan_determinismE0ELb0ELb0ES3_N6thrust23THRUST_200600_302600_NS6detail15normal_iteratorINS9_10device_ptrItEEEESE_tNS9_4plusIvEEtEEDaPvRmT3_T4_T5_mT6_P12ihipStream_tbENKUlT_T0_E_clISt17integral_constantIbLb0EEST_IbLb1EEEEDaSP_SQ_EUlSP_E_NS1_11comp_targetILNS1_3genE8ELNS1_11target_archE1030ELNS1_3gpuE2ELNS1_3repE0EEENS1_30default_config_static_selectorELNS0_4arch9wavefront6targetE1EEEvT1_,"axG",@progbits,_ZN7rocprim17ROCPRIM_400000_NS6detail17trampoline_kernelINS0_14default_configENS1_20scan_config_selectorItEEZZNS1_9scan_implILNS1_25lookback_scan_determinismE0ELb0ELb0ES3_N6thrust23THRUST_200600_302600_NS6detail15normal_iteratorINS9_10device_ptrItEEEESE_tNS9_4plusIvEEtEEDaPvRmT3_T4_T5_mT6_P12ihipStream_tbENKUlT_T0_E_clISt17integral_constantIbLb0EEST_IbLb1EEEEDaSP_SQ_EUlSP_E_NS1_11comp_targetILNS1_3genE8ELNS1_11target_archE1030ELNS1_3gpuE2ELNS1_3repE0EEENS1_30default_config_static_selectorELNS0_4arch9wavefront6targetE1EEEvT1_,comdat
.Lfunc_end4780:
	.size	_ZN7rocprim17ROCPRIM_400000_NS6detail17trampoline_kernelINS0_14default_configENS1_20scan_config_selectorItEEZZNS1_9scan_implILNS1_25lookback_scan_determinismE0ELb0ELb0ES3_N6thrust23THRUST_200600_302600_NS6detail15normal_iteratorINS9_10device_ptrItEEEESE_tNS9_4plusIvEEtEEDaPvRmT3_T4_T5_mT6_P12ihipStream_tbENKUlT_T0_E_clISt17integral_constantIbLb0EEST_IbLb1EEEEDaSP_SQ_EUlSP_E_NS1_11comp_targetILNS1_3genE8ELNS1_11target_archE1030ELNS1_3gpuE2ELNS1_3repE0EEENS1_30default_config_static_selectorELNS0_4arch9wavefront6targetE1EEEvT1_, .Lfunc_end4780-_ZN7rocprim17ROCPRIM_400000_NS6detail17trampoline_kernelINS0_14default_configENS1_20scan_config_selectorItEEZZNS1_9scan_implILNS1_25lookback_scan_determinismE0ELb0ELb0ES3_N6thrust23THRUST_200600_302600_NS6detail15normal_iteratorINS9_10device_ptrItEEEESE_tNS9_4plusIvEEtEEDaPvRmT3_T4_T5_mT6_P12ihipStream_tbENKUlT_T0_E_clISt17integral_constantIbLb0EEST_IbLb1EEEEDaSP_SQ_EUlSP_E_NS1_11comp_targetILNS1_3genE8ELNS1_11target_archE1030ELNS1_3gpuE2ELNS1_3repE0EEENS1_30default_config_static_selectorELNS0_4arch9wavefront6targetE1EEEvT1_
                                        ; -- End function
	.section	.AMDGPU.csdata,"",@progbits
; Kernel info:
; codeLenInByte = 0
; NumSgprs: 4
; NumVgprs: 0
; NumAgprs: 0
; TotalNumVgprs: 0
; ScratchSize: 0
; MemoryBound: 0
; FloatMode: 240
; IeeeMode: 1
; LDSByteSize: 0 bytes/workgroup (compile time only)
; SGPRBlocks: 0
; VGPRBlocks: 0
; NumSGPRsForWavesPerEU: 4
; NumVGPRsForWavesPerEU: 1
; AccumOffset: 4
; Occupancy: 8
; WaveLimiterHint : 0
; COMPUTE_PGM_RSRC2:SCRATCH_EN: 0
; COMPUTE_PGM_RSRC2:USER_SGPR: 6
; COMPUTE_PGM_RSRC2:TRAP_HANDLER: 0
; COMPUTE_PGM_RSRC2:TGID_X_EN: 1
; COMPUTE_PGM_RSRC2:TGID_Y_EN: 0
; COMPUTE_PGM_RSRC2:TGID_Z_EN: 0
; COMPUTE_PGM_RSRC2:TIDIG_COMP_CNT: 0
; COMPUTE_PGM_RSRC3_GFX90A:ACCUM_OFFSET: 0
; COMPUTE_PGM_RSRC3_GFX90A:TG_SPLIT: 0
	.section	.text._ZN7rocprim17ROCPRIM_400000_NS6detail17trampoline_kernelINS0_14default_configENS1_20scan_config_selectorItEEZZNS1_9scan_implILNS1_25lookback_scan_determinismE0ELb0ELb0ES3_N6thrust23THRUST_200600_302600_NS6detail15normal_iteratorINS9_10device_ptrItEEEESE_tNS9_4plusIvEEtEEDaPvRmT3_T4_T5_mT6_P12ihipStream_tbENKUlT_T0_E_clISt17integral_constantIbLb0EEST_IbLb1EEEEDaSP_SQ_EUlSP_E0_NS1_11comp_targetILNS1_3genE0ELNS1_11target_archE4294967295ELNS1_3gpuE0ELNS1_3repE0EEENS1_30default_config_static_selectorELNS0_4arch9wavefront6targetE1EEEvT1_,"axG",@progbits,_ZN7rocprim17ROCPRIM_400000_NS6detail17trampoline_kernelINS0_14default_configENS1_20scan_config_selectorItEEZZNS1_9scan_implILNS1_25lookback_scan_determinismE0ELb0ELb0ES3_N6thrust23THRUST_200600_302600_NS6detail15normal_iteratorINS9_10device_ptrItEEEESE_tNS9_4plusIvEEtEEDaPvRmT3_T4_T5_mT6_P12ihipStream_tbENKUlT_T0_E_clISt17integral_constantIbLb0EEST_IbLb1EEEEDaSP_SQ_EUlSP_E0_NS1_11comp_targetILNS1_3genE0ELNS1_11target_archE4294967295ELNS1_3gpuE0ELNS1_3repE0EEENS1_30default_config_static_selectorELNS0_4arch9wavefront6targetE1EEEvT1_,comdat
	.protected	_ZN7rocprim17ROCPRIM_400000_NS6detail17trampoline_kernelINS0_14default_configENS1_20scan_config_selectorItEEZZNS1_9scan_implILNS1_25lookback_scan_determinismE0ELb0ELb0ES3_N6thrust23THRUST_200600_302600_NS6detail15normal_iteratorINS9_10device_ptrItEEEESE_tNS9_4plusIvEEtEEDaPvRmT3_T4_T5_mT6_P12ihipStream_tbENKUlT_T0_E_clISt17integral_constantIbLb0EEST_IbLb1EEEEDaSP_SQ_EUlSP_E0_NS1_11comp_targetILNS1_3genE0ELNS1_11target_archE4294967295ELNS1_3gpuE0ELNS1_3repE0EEENS1_30default_config_static_selectorELNS0_4arch9wavefront6targetE1EEEvT1_ ; -- Begin function _ZN7rocprim17ROCPRIM_400000_NS6detail17trampoline_kernelINS0_14default_configENS1_20scan_config_selectorItEEZZNS1_9scan_implILNS1_25lookback_scan_determinismE0ELb0ELb0ES3_N6thrust23THRUST_200600_302600_NS6detail15normal_iteratorINS9_10device_ptrItEEEESE_tNS9_4plusIvEEtEEDaPvRmT3_T4_T5_mT6_P12ihipStream_tbENKUlT_T0_E_clISt17integral_constantIbLb0EEST_IbLb1EEEEDaSP_SQ_EUlSP_E0_NS1_11comp_targetILNS1_3genE0ELNS1_11target_archE4294967295ELNS1_3gpuE0ELNS1_3repE0EEENS1_30default_config_static_selectorELNS0_4arch9wavefront6targetE1EEEvT1_
	.globl	_ZN7rocprim17ROCPRIM_400000_NS6detail17trampoline_kernelINS0_14default_configENS1_20scan_config_selectorItEEZZNS1_9scan_implILNS1_25lookback_scan_determinismE0ELb0ELb0ES3_N6thrust23THRUST_200600_302600_NS6detail15normal_iteratorINS9_10device_ptrItEEEESE_tNS9_4plusIvEEtEEDaPvRmT3_T4_T5_mT6_P12ihipStream_tbENKUlT_T0_E_clISt17integral_constantIbLb0EEST_IbLb1EEEEDaSP_SQ_EUlSP_E0_NS1_11comp_targetILNS1_3genE0ELNS1_11target_archE4294967295ELNS1_3gpuE0ELNS1_3repE0EEENS1_30default_config_static_selectorELNS0_4arch9wavefront6targetE1EEEvT1_
	.p2align	8
	.type	_ZN7rocprim17ROCPRIM_400000_NS6detail17trampoline_kernelINS0_14default_configENS1_20scan_config_selectorItEEZZNS1_9scan_implILNS1_25lookback_scan_determinismE0ELb0ELb0ES3_N6thrust23THRUST_200600_302600_NS6detail15normal_iteratorINS9_10device_ptrItEEEESE_tNS9_4plusIvEEtEEDaPvRmT3_T4_T5_mT6_P12ihipStream_tbENKUlT_T0_E_clISt17integral_constantIbLb0EEST_IbLb1EEEEDaSP_SQ_EUlSP_E0_NS1_11comp_targetILNS1_3genE0ELNS1_11target_archE4294967295ELNS1_3gpuE0ELNS1_3repE0EEENS1_30default_config_static_selectorELNS0_4arch9wavefront6targetE1EEEvT1_,@function
_ZN7rocprim17ROCPRIM_400000_NS6detail17trampoline_kernelINS0_14default_configENS1_20scan_config_selectorItEEZZNS1_9scan_implILNS1_25lookback_scan_determinismE0ELb0ELb0ES3_N6thrust23THRUST_200600_302600_NS6detail15normal_iteratorINS9_10device_ptrItEEEESE_tNS9_4plusIvEEtEEDaPvRmT3_T4_T5_mT6_P12ihipStream_tbENKUlT_T0_E_clISt17integral_constantIbLb0EEST_IbLb1EEEEDaSP_SQ_EUlSP_E0_NS1_11comp_targetILNS1_3genE0ELNS1_11target_archE4294967295ELNS1_3gpuE0ELNS1_3repE0EEENS1_30default_config_static_selectorELNS0_4arch9wavefront6targetE1EEEvT1_: ; @_ZN7rocprim17ROCPRIM_400000_NS6detail17trampoline_kernelINS0_14default_configENS1_20scan_config_selectorItEEZZNS1_9scan_implILNS1_25lookback_scan_determinismE0ELb0ELb0ES3_N6thrust23THRUST_200600_302600_NS6detail15normal_iteratorINS9_10device_ptrItEEEESE_tNS9_4plusIvEEtEEDaPvRmT3_T4_T5_mT6_P12ihipStream_tbENKUlT_T0_E_clISt17integral_constantIbLb0EEST_IbLb1EEEEDaSP_SQ_EUlSP_E0_NS1_11comp_targetILNS1_3genE0ELNS1_11target_archE4294967295ELNS1_3gpuE0ELNS1_3repE0EEENS1_30default_config_static_selectorELNS0_4arch9wavefront6targetE1EEEvT1_
; %bb.0:
	.section	.rodata,"a",@progbits
	.p2align	6, 0x0
	.amdhsa_kernel _ZN7rocprim17ROCPRIM_400000_NS6detail17trampoline_kernelINS0_14default_configENS1_20scan_config_selectorItEEZZNS1_9scan_implILNS1_25lookback_scan_determinismE0ELb0ELb0ES3_N6thrust23THRUST_200600_302600_NS6detail15normal_iteratorINS9_10device_ptrItEEEESE_tNS9_4plusIvEEtEEDaPvRmT3_T4_T5_mT6_P12ihipStream_tbENKUlT_T0_E_clISt17integral_constantIbLb0EEST_IbLb1EEEEDaSP_SQ_EUlSP_E0_NS1_11comp_targetILNS1_3genE0ELNS1_11target_archE4294967295ELNS1_3gpuE0ELNS1_3repE0EEENS1_30default_config_static_selectorELNS0_4arch9wavefront6targetE1EEEvT1_
		.amdhsa_group_segment_fixed_size 0
		.amdhsa_private_segment_fixed_size 0
		.amdhsa_kernarg_size 32
		.amdhsa_user_sgpr_count 6
		.amdhsa_user_sgpr_private_segment_buffer 1
		.amdhsa_user_sgpr_dispatch_ptr 0
		.amdhsa_user_sgpr_queue_ptr 0
		.amdhsa_user_sgpr_kernarg_segment_ptr 1
		.amdhsa_user_sgpr_dispatch_id 0
		.amdhsa_user_sgpr_flat_scratch_init 0
		.amdhsa_user_sgpr_kernarg_preload_length 0
		.amdhsa_user_sgpr_kernarg_preload_offset 0
		.amdhsa_user_sgpr_private_segment_size 0
		.amdhsa_uses_dynamic_stack 0
		.amdhsa_system_sgpr_private_segment_wavefront_offset 0
		.amdhsa_system_sgpr_workgroup_id_x 1
		.amdhsa_system_sgpr_workgroup_id_y 0
		.amdhsa_system_sgpr_workgroup_id_z 0
		.amdhsa_system_sgpr_workgroup_info 0
		.amdhsa_system_vgpr_workitem_id 0
		.amdhsa_next_free_vgpr 1
		.amdhsa_next_free_sgpr 0
		.amdhsa_accum_offset 4
		.amdhsa_reserve_vcc 0
		.amdhsa_reserve_flat_scratch 0
		.amdhsa_float_round_mode_32 0
		.amdhsa_float_round_mode_16_64 0
		.amdhsa_float_denorm_mode_32 3
		.amdhsa_float_denorm_mode_16_64 3
		.amdhsa_dx10_clamp 1
		.amdhsa_ieee_mode 1
		.amdhsa_fp16_overflow 0
		.amdhsa_tg_split 0
		.amdhsa_exception_fp_ieee_invalid_op 0
		.amdhsa_exception_fp_denorm_src 0
		.amdhsa_exception_fp_ieee_div_zero 0
		.amdhsa_exception_fp_ieee_overflow 0
		.amdhsa_exception_fp_ieee_underflow 0
		.amdhsa_exception_fp_ieee_inexact 0
		.amdhsa_exception_int_div_zero 0
	.end_amdhsa_kernel
	.section	.text._ZN7rocprim17ROCPRIM_400000_NS6detail17trampoline_kernelINS0_14default_configENS1_20scan_config_selectorItEEZZNS1_9scan_implILNS1_25lookback_scan_determinismE0ELb0ELb0ES3_N6thrust23THRUST_200600_302600_NS6detail15normal_iteratorINS9_10device_ptrItEEEESE_tNS9_4plusIvEEtEEDaPvRmT3_T4_T5_mT6_P12ihipStream_tbENKUlT_T0_E_clISt17integral_constantIbLb0EEST_IbLb1EEEEDaSP_SQ_EUlSP_E0_NS1_11comp_targetILNS1_3genE0ELNS1_11target_archE4294967295ELNS1_3gpuE0ELNS1_3repE0EEENS1_30default_config_static_selectorELNS0_4arch9wavefront6targetE1EEEvT1_,"axG",@progbits,_ZN7rocprim17ROCPRIM_400000_NS6detail17trampoline_kernelINS0_14default_configENS1_20scan_config_selectorItEEZZNS1_9scan_implILNS1_25lookback_scan_determinismE0ELb0ELb0ES3_N6thrust23THRUST_200600_302600_NS6detail15normal_iteratorINS9_10device_ptrItEEEESE_tNS9_4plusIvEEtEEDaPvRmT3_T4_T5_mT6_P12ihipStream_tbENKUlT_T0_E_clISt17integral_constantIbLb0EEST_IbLb1EEEEDaSP_SQ_EUlSP_E0_NS1_11comp_targetILNS1_3genE0ELNS1_11target_archE4294967295ELNS1_3gpuE0ELNS1_3repE0EEENS1_30default_config_static_selectorELNS0_4arch9wavefront6targetE1EEEvT1_,comdat
.Lfunc_end4781:
	.size	_ZN7rocprim17ROCPRIM_400000_NS6detail17trampoline_kernelINS0_14default_configENS1_20scan_config_selectorItEEZZNS1_9scan_implILNS1_25lookback_scan_determinismE0ELb0ELb0ES3_N6thrust23THRUST_200600_302600_NS6detail15normal_iteratorINS9_10device_ptrItEEEESE_tNS9_4plusIvEEtEEDaPvRmT3_T4_T5_mT6_P12ihipStream_tbENKUlT_T0_E_clISt17integral_constantIbLb0EEST_IbLb1EEEEDaSP_SQ_EUlSP_E0_NS1_11comp_targetILNS1_3genE0ELNS1_11target_archE4294967295ELNS1_3gpuE0ELNS1_3repE0EEENS1_30default_config_static_selectorELNS0_4arch9wavefront6targetE1EEEvT1_, .Lfunc_end4781-_ZN7rocprim17ROCPRIM_400000_NS6detail17trampoline_kernelINS0_14default_configENS1_20scan_config_selectorItEEZZNS1_9scan_implILNS1_25lookback_scan_determinismE0ELb0ELb0ES3_N6thrust23THRUST_200600_302600_NS6detail15normal_iteratorINS9_10device_ptrItEEEESE_tNS9_4plusIvEEtEEDaPvRmT3_T4_T5_mT6_P12ihipStream_tbENKUlT_T0_E_clISt17integral_constantIbLb0EEST_IbLb1EEEEDaSP_SQ_EUlSP_E0_NS1_11comp_targetILNS1_3genE0ELNS1_11target_archE4294967295ELNS1_3gpuE0ELNS1_3repE0EEENS1_30default_config_static_selectorELNS0_4arch9wavefront6targetE1EEEvT1_
                                        ; -- End function
	.section	.AMDGPU.csdata,"",@progbits
; Kernel info:
; codeLenInByte = 0
; NumSgprs: 4
; NumVgprs: 0
; NumAgprs: 0
; TotalNumVgprs: 0
; ScratchSize: 0
; MemoryBound: 0
; FloatMode: 240
; IeeeMode: 1
; LDSByteSize: 0 bytes/workgroup (compile time only)
; SGPRBlocks: 0
; VGPRBlocks: 0
; NumSGPRsForWavesPerEU: 4
; NumVGPRsForWavesPerEU: 1
; AccumOffset: 4
; Occupancy: 8
; WaveLimiterHint : 0
; COMPUTE_PGM_RSRC2:SCRATCH_EN: 0
; COMPUTE_PGM_RSRC2:USER_SGPR: 6
; COMPUTE_PGM_RSRC2:TRAP_HANDLER: 0
; COMPUTE_PGM_RSRC2:TGID_X_EN: 1
; COMPUTE_PGM_RSRC2:TGID_Y_EN: 0
; COMPUTE_PGM_RSRC2:TGID_Z_EN: 0
; COMPUTE_PGM_RSRC2:TIDIG_COMP_CNT: 0
; COMPUTE_PGM_RSRC3_GFX90A:ACCUM_OFFSET: 0
; COMPUTE_PGM_RSRC3_GFX90A:TG_SPLIT: 0
	.section	.text._ZN7rocprim17ROCPRIM_400000_NS6detail17trampoline_kernelINS0_14default_configENS1_20scan_config_selectorItEEZZNS1_9scan_implILNS1_25lookback_scan_determinismE0ELb0ELb0ES3_N6thrust23THRUST_200600_302600_NS6detail15normal_iteratorINS9_10device_ptrItEEEESE_tNS9_4plusIvEEtEEDaPvRmT3_T4_T5_mT6_P12ihipStream_tbENKUlT_T0_E_clISt17integral_constantIbLb0EEST_IbLb1EEEEDaSP_SQ_EUlSP_E0_NS1_11comp_targetILNS1_3genE5ELNS1_11target_archE942ELNS1_3gpuE9ELNS1_3repE0EEENS1_30default_config_static_selectorELNS0_4arch9wavefront6targetE1EEEvT1_,"axG",@progbits,_ZN7rocprim17ROCPRIM_400000_NS6detail17trampoline_kernelINS0_14default_configENS1_20scan_config_selectorItEEZZNS1_9scan_implILNS1_25lookback_scan_determinismE0ELb0ELb0ES3_N6thrust23THRUST_200600_302600_NS6detail15normal_iteratorINS9_10device_ptrItEEEESE_tNS9_4plusIvEEtEEDaPvRmT3_T4_T5_mT6_P12ihipStream_tbENKUlT_T0_E_clISt17integral_constantIbLb0EEST_IbLb1EEEEDaSP_SQ_EUlSP_E0_NS1_11comp_targetILNS1_3genE5ELNS1_11target_archE942ELNS1_3gpuE9ELNS1_3repE0EEENS1_30default_config_static_selectorELNS0_4arch9wavefront6targetE1EEEvT1_,comdat
	.protected	_ZN7rocprim17ROCPRIM_400000_NS6detail17trampoline_kernelINS0_14default_configENS1_20scan_config_selectorItEEZZNS1_9scan_implILNS1_25lookback_scan_determinismE0ELb0ELb0ES3_N6thrust23THRUST_200600_302600_NS6detail15normal_iteratorINS9_10device_ptrItEEEESE_tNS9_4plusIvEEtEEDaPvRmT3_T4_T5_mT6_P12ihipStream_tbENKUlT_T0_E_clISt17integral_constantIbLb0EEST_IbLb1EEEEDaSP_SQ_EUlSP_E0_NS1_11comp_targetILNS1_3genE5ELNS1_11target_archE942ELNS1_3gpuE9ELNS1_3repE0EEENS1_30default_config_static_selectorELNS0_4arch9wavefront6targetE1EEEvT1_ ; -- Begin function _ZN7rocprim17ROCPRIM_400000_NS6detail17trampoline_kernelINS0_14default_configENS1_20scan_config_selectorItEEZZNS1_9scan_implILNS1_25lookback_scan_determinismE0ELb0ELb0ES3_N6thrust23THRUST_200600_302600_NS6detail15normal_iteratorINS9_10device_ptrItEEEESE_tNS9_4plusIvEEtEEDaPvRmT3_T4_T5_mT6_P12ihipStream_tbENKUlT_T0_E_clISt17integral_constantIbLb0EEST_IbLb1EEEEDaSP_SQ_EUlSP_E0_NS1_11comp_targetILNS1_3genE5ELNS1_11target_archE942ELNS1_3gpuE9ELNS1_3repE0EEENS1_30default_config_static_selectorELNS0_4arch9wavefront6targetE1EEEvT1_
	.globl	_ZN7rocprim17ROCPRIM_400000_NS6detail17trampoline_kernelINS0_14default_configENS1_20scan_config_selectorItEEZZNS1_9scan_implILNS1_25lookback_scan_determinismE0ELb0ELb0ES3_N6thrust23THRUST_200600_302600_NS6detail15normal_iteratorINS9_10device_ptrItEEEESE_tNS9_4plusIvEEtEEDaPvRmT3_T4_T5_mT6_P12ihipStream_tbENKUlT_T0_E_clISt17integral_constantIbLb0EEST_IbLb1EEEEDaSP_SQ_EUlSP_E0_NS1_11comp_targetILNS1_3genE5ELNS1_11target_archE942ELNS1_3gpuE9ELNS1_3repE0EEENS1_30default_config_static_selectorELNS0_4arch9wavefront6targetE1EEEvT1_
	.p2align	8
	.type	_ZN7rocprim17ROCPRIM_400000_NS6detail17trampoline_kernelINS0_14default_configENS1_20scan_config_selectorItEEZZNS1_9scan_implILNS1_25lookback_scan_determinismE0ELb0ELb0ES3_N6thrust23THRUST_200600_302600_NS6detail15normal_iteratorINS9_10device_ptrItEEEESE_tNS9_4plusIvEEtEEDaPvRmT3_T4_T5_mT6_P12ihipStream_tbENKUlT_T0_E_clISt17integral_constantIbLb0EEST_IbLb1EEEEDaSP_SQ_EUlSP_E0_NS1_11comp_targetILNS1_3genE5ELNS1_11target_archE942ELNS1_3gpuE9ELNS1_3repE0EEENS1_30default_config_static_selectorELNS0_4arch9wavefront6targetE1EEEvT1_,@function
_ZN7rocprim17ROCPRIM_400000_NS6detail17trampoline_kernelINS0_14default_configENS1_20scan_config_selectorItEEZZNS1_9scan_implILNS1_25lookback_scan_determinismE0ELb0ELb0ES3_N6thrust23THRUST_200600_302600_NS6detail15normal_iteratorINS9_10device_ptrItEEEESE_tNS9_4plusIvEEtEEDaPvRmT3_T4_T5_mT6_P12ihipStream_tbENKUlT_T0_E_clISt17integral_constantIbLb0EEST_IbLb1EEEEDaSP_SQ_EUlSP_E0_NS1_11comp_targetILNS1_3genE5ELNS1_11target_archE942ELNS1_3gpuE9ELNS1_3repE0EEENS1_30default_config_static_selectorELNS0_4arch9wavefront6targetE1EEEvT1_: ; @_ZN7rocprim17ROCPRIM_400000_NS6detail17trampoline_kernelINS0_14default_configENS1_20scan_config_selectorItEEZZNS1_9scan_implILNS1_25lookback_scan_determinismE0ELb0ELb0ES3_N6thrust23THRUST_200600_302600_NS6detail15normal_iteratorINS9_10device_ptrItEEEESE_tNS9_4plusIvEEtEEDaPvRmT3_T4_T5_mT6_P12ihipStream_tbENKUlT_T0_E_clISt17integral_constantIbLb0EEST_IbLb1EEEEDaSP_SQ_EUlSP_E0_NS1_11comp_targetILNS1_3genE5ELNS1_11target_archE942ELNS1_3gpuE9ELNS1_3repE0EEENS1_30default_config_static_selectorELNS0_4arch9wavefront6targetE1EEEvT1_
; %bb.0:
	.section	.rodata,"a",@progbits
	.p2align	6, 0x0
	.amdhsa_kernel _ZN7rocprim17ROCPRIM_400000_NS6detail17trampoline_kernelINS0_14default_configENS1_20scan_config_selectorItEEZZNS1_9scan_implILNS1_25lookback_scan_determinismE0ELb0ELb0ES3_N6thrust23THRUST_200600_302600_NS6detail15normal_iteratorINS9_10device_ptrItEEEESE_tNS9_4plusIvEEtEEDaPvRmT3_T4_T5_mT6_P12ihipStream_tbENKUlT_T0_E_clISt17integral_constantIbLb0EEST_IbLb1EEEEDaSP_SQ_EUlSP_E0_NS1_11comp_targetILNS1_3genE5ELNS1_11target_archE942ELNS1_3gpuE9ELNS1_3repE0EEENS1_30default_config_static_selectorELNS0_4arch9wavefront6targetE1EEEvT1_
		.amdhsa_group_segment_fixed_size 0
		.amdhsa_private_segment_fixed_size 0
		.amdhsa_kernarg_size 32
		.amdhsa_user_sgpr_count 6
		.amdhsa_user_sgpr_private_segment_buffer 1
		.amdhsa_user_sgpr_dispatch_ptr 0
		.amdhsa_user_sgpr_queue_ptr 0
		.amdhsa_user_sgpr_kernarg_segment_ptr 1
		.amdhsa_user_sgpr_dispatch_id 0
		.amdhsa_user_sgpr_flat_scratch_init 0
		.amdhsa_user_sgpr_kernarg_preload_length 0
		.amdhsa_user_sgpr_kernarg_preload_offset 0
		.amdhsa_user_sgpr_private_segment_size 0
		.amdhsa_uses_dynamic_stack 0
		.amdhsa_system_sgpr_private_segment_wavefront_offset 0
		.amdhsa_system_sgpr_workgroup_id_x 1
		.amdhsa_system_sgpr_workgroup_id_y 0
		.amdhsa_system_sgpr_workgroup_id_z 0
		.amdhsa_system_sgpr_workgroup_info 0
		.amdhsa_system_vgpr_workitem_id 0
		.amdhsa_next_free_vgpr 1
		.amdhsa_next_free_sgpr 0
		.amdhsa_accum_offset 4
		.amdhsa_reserve_vcc 0
		.amdhsa_reserve_flat_scratch 0
		.amdhsa_float_round_mode_32 0
		.amdhsa_float_round_mode_16_64 0
		.amdhsa_float_denorm_mode_32 3
		.amdhsa_float_denorm_mode_16_64 3
		.amdhsa_dx10_clamp 1
		.amdhsa_ieee_mode 1
		.amdhsa_fp16_overflow 0
		.amdhsa_tg_split 0
		.amdhsa_exception_fp_ieee_invalid_op 0
		.amdhsa_exception_fp_denorm_src 0
		.amdhsa_exception_fp_ieee_div_zero 0
		.amdhsa_exception_fp_ieee_overflow 0
		.amdhsa_exception_fp_ieee_underflow 0
		.amdhsa_exception_fp_ieee_inexact 0
		.amdhsa_exception_int_div_zero 0
	.end_amdhsa_kernel
	.section	.text._ZN7rocprim17ROCPRIM_400000_NS6detail17trampoline_kernelINS0_14default_configENS1_20scan_config_selectorItEEZZNS1_9scan_implILNS1_25lookback_scan_determinismE0ELb0ELb0ES3_N6thrust23THRUST_200600_302600_NS6detail15normal_iteratorINS9_10device_ptrItEEEESE_tNS9_4plusIvEEtEEDaPvRmT3_T4_T5_mT6_P12ihipStream_tbENKUlT_T0_E_clISt17integral_constantIbLb0EEST_IbLb1EEEEDaSP_SQ_EUlSP_E0_NS1_11comp_targetILNS1_3genE5ELNS1_11target_archE942ELNS1_3gpuE9ELNS1_3repE0EEENS1_30default_config_static_selectorELNS0_4arch9wavefront6targetE1EEEvT1_,"axG",@progbits,_ZN7rocprim17ROCPRIM_400000_NS6detail17trampoline_kernelINS0_14default_configENS1_20scan_config_selectorItEEZZNS1_9scan_implILNS1_25lookback_scan_determinismE0ELb0ELb0ES3_N6thrust23THRUST_200600_302600_NS6detail15normal_iteratorINS9_10device_ptrItEEEESE_tNS9_4plusIvEEtEEDaPvRmT3_T4_T5_mT6_P12ihipStream_tbENKUlT_T0_E_clISt17integral_constantIbLb0EEST_IbLb1EEEEDaSP_SQ_EUlSP_E0_NS1_11comp_targetILNS1_3genE5ELNS1_11target_archE942ELNS1_3gpuE9ELNS1_3repE0EEENS1_30default_config_static_selectorELNS0_4arch9wavefront6targetE1EEEvT1_,comdat
.Lfunc_end4782:
	.size	_ZN7rocprim17ROCPRIM_400000_NS6detail17trampoline_kernelINS0_14default_configENS1_20scan_config_selectorItEEZZNS1_9scan_implILNS1_25lookback_scan_determinismE0ELb0ELb0ES3_N6thrust23THRUST_200600_302600_NS6detail15normal_iteratorINS9_10device_ptrItEEEESE_tNS9_4plusIvEEtEEDaPvRmT3_T4_T5_mT6_P12ihipStream_tbENKUlT_T0_E_clISt17integral_constantIbLb0EEST_IbLb1EEEEDaSP_SQ_EUlSP_E0_NS1_11comp_targetILNS1_3genE5ELNS1_11target_archE942ELNS1_3gpuE9ELNS1_3repE0EEENS1_30default_config_static_selectorELNS0_4arch9wavefront6targetE1EEEvT1_, .Lfunc_end4782-_ZN7rocprim17ROCPRIM_400000_NS6detail17trampoline_kernelINS0_14default_configENS1_20scan_config_selectorItEEZZNS1_9scan_implILNS1_25lookback_scan_determinismE0ELb0ELb0ES3_N6thrust23THRUST_200600_302600_NS6detail15normal_iteratorINS9_10device_ptrItEEEESE_tNS9_4plusIvEEtEEDaPvRmT3_T4_T5_mT6_P12ihipStream_tbENKUlT_T0_E_clISt17integral_constantIbLb0EEST_IbLb1EEEEDaSP_SQ_EUlSP_E0_NS1_11comp_targetILNS1_3genE5ELNS1_11target_archE942ELNS1_3gpuE9ELNS1_3repE0EEENS1_30default_config_static_selectorELNS0_4arch9wavefront6targetE1EEEvT1_
                                        ; -- End function
	.section	.AMDGPU.csdata,"",@progbits
; Kernel info:
; codeLenInByte = 0
; NumSgprs: 4
; NumVgprs: 0
; NumAgprs: 0
; TotalNumVgprs: 0
; ScratchSize: 0
; MemoryBound: 0
; FloatMode: 240
; IeeeMode: 1
; LDSByteSize: 0 bytes/workgroup (compile time only)
; SGPRBlocks: 0
; VGPRBlocks: 0
; NumSGPRsForWavesPerEU: 4
; NumVGPRsForWavesPerEU: 1
; AccumOffset: 4
; Occupancy: 8
; WaveLimiterHint : 0
; COMPUTE_PGM_RSRC2:SCRATCH_EN: 0
; COMPUTE_PGM_RSRC2:USER_SGPR: 6
; COMPUTE_PGM_RSRC2:TRAP_HANDLER: 0
; COMPUTE_PGM_RSRC2:TGID_X_EN: 1
; COMPUTE_PGM_RSRC2:TGID_Y_EN: 0
; COMPUTE_PGM_RSRC2:TGID_Z_EN: 0
; COMPUTE_PGM_RSRC2:TIDIG_COMP_CNT: 0
; COMPUTE_PGM_RSRC3_GFX90A:ACCUM_OFFSET: 0
; COMPUTE_PGM_RSRC3_GFX90A:TG_SPLIT: 0
	.section	.text._ZN7rocprim17ROCPRIM_400000_NS6detail17trampoline_kernelINS0_14default_configENS1_20scan_config_selectorItEEZZNS1_9scan_implILNS1_25lookback_scan_determinismE0ELb0ELb0ES3_N6thrust23THRUST_200600_302600_NS6detail15normal_iteratorINS9_10device_ptrItEEEESE_tNS9_4plusIvEEtEEDaPvRmT3_T4_T5_mT6_P12ihipStream_tbENKUlT_T0_E_clISt17integral_constantIbLb0EEST_IbLb1EEEEDaSP_SQ_EUlSP_E0_NS1_11comp_targetILNS1_3genE4ELNS1_11target_archE910ELNS1_3gpuE8ELNS1_3repE0EEENS1_30default_config_static_selectorELNS0_4arch9wavefront6targetE1EEEvT1_,"axG",@progbits,_ZN7rocprim17ROCPRIM_400000_NS6detail17trampoline_kernelINS0_14default_configENS1_20scan_config_selectorItEEZZNS1_9scan_implILNS1_25lookback_scan_determinismE0ELb0ELb0ES3_N6thrust23THRUST_200600_302600_NS6detail15normal_iteratorINS9_10device_ptrItEEEESE_tNS9_4plusIvEEtEEDaPvRmT3_T4_T5_mT6_P12ihipStream_tbENKUlT_T0_E_clISt17integral_constantIbLb0EEST_IbLb1EEEEDaSP_SQ_EUlSP_E0_NS1_11comp_targetILNS1_3genE4ELNS1_11target_archE910ELNS1_3gpuE8ELNS1_3repE0EEENS1_30default_config_static_selectorELNS0_4arch9wavefront6targetE1EEEvT1_,comdat
	.protected	_ZN7rocprim17ROCPRIM_400000_NS6detail17trampoline_kernelINS0_14default_configENS1_20scan_config_selectorItEEZZNS1_9scan_implILNS1_25lookback_scan_determinismE0ELb0ELb0ES3_N6thrust23THRUST_200600_302600_NS6detail15normal_iteratorINS9_10device_ptrItEEEESE_tNS9_4plusIvEEtEEDaPvRmT3_T4_T5_mT6_P12ihipStream_tbENKUlT_T0_E_clISt17integral_constantIbLb0EEST_IbLb1EEEEDaSP_SQ_EUlSP_E0_NS1_11comp_targetILNS1_3genE4ELNS1_11target_archE910ELNS1_3gpuE8ELNS1_3repE0EEENS1_30default_config_static_selectorELNS0_4arch9wavefront6targetE1EEEvT1_ ; -- Begin function _ZN7rocprim17ROCPRIM_400000_NS6detail17trampoline_kernelINS0_14default_configENS1_20scan_config_selectorItEEZZNS1_9scan_implILNS1_25lookback_scan_determinismE0ELb0ELb0ES3_N6thrust23THRUST_200600_302600_NS6detail15normal_iteratorINS9_10device_ptrItEEEESE_tNS9_4plusIvEEtEEDaPvRmT3_T4_T5_mT6_P12ihipStream_tbENKUlT_T0_E_clISt17integral_constantIbLb0EEST_IbLb1EEEEDaSP_SQ_EUlSP_E0_NS1_11comp_targetILNS1_3genE4ELNS1_11target_archE910ELNS1_3gpuE8ELNS1_3repE0EEENS1_30default_config_static_selectorELNS0_4arch9wavefront6targetE1EEEvT1_
	.globl	_ZN7rocprim17ROCPRIM_400000_NS6detail17trampoline_kernelINS0_14default_configENS1_20scan_config_selectorItEEZZNS1_9scan_implILNS1_25lookback_scan_determinismE0ELb0ELb0ES3_N6thrust23THRUST_200600_302600_NS6detail15normal_iteratorINS9_10device_ptrItEEEESE_tNS9_4plusIvEEtEEDaPvRmT3_T4_T5_mT6_P12ihipStream_tbENKUlT_T0_E_clISt17integral_constantIbLb0EEST_IbLb1EEEEDaSP_SQ_EUlSP_E0_NS1_11comp_targetILNS1_3genE4ELNS1_11target_archE910ELNS1_3gpuE8ELNS1_3repE0EEENS1_30default_config_static_selectorELNS0_4arch9wavefront6targetE1EEEvT1_
	.p2align	8
	.type	_ZN7rocprim17ROCPRIM_400000_NS6detail17trampoline_kernelINS0_14default_configENS1_20scan_config_selectorItEEZZNS1_9scan_implILNS1_25lookback_scan_determinismE0ELb0ELb0ES3_N6thrust23THRUST_200600_302600_NS6detail15normal_iteratorINS9_10device_ptrItEEEESE_tNS9_4plusIvEEtEEDaPvRmT3_T4_T5_mT6_P12ihipStream_tbENKUlT_T0_E_clISt17integral_constantIbLb0EEST_IbLb1EEEEDaSP_SQ_EUlSP_E0_NS1_11comp_targetILNS1_3genE4ELNS1_11target_archE910ELNS1_3gpuE8ELNS1_3repE0EEENS1_30default_config_static_selectorELNS0_4arch9wavefront6targetE1EEEvT1_,@function
_ZN7rocprim17ROCPRIM_400000_NS6detail17trampoline_kernelINS0_14default_configENS1_20scan_config_selectorItEEZZNS1_9scan_implILNS1_25lookback_scan_determinismE0ELb0ELb0ES3_N6thrust23THRUST_200600_302600_NS6detail15normal_iteratorINS9_10device_ptrItEEEESE_tNS9_4plusIvEEtEEDaPvRmT3_T4_T5_mT6_P12ihipStream_tbENKUlT_T0_E_clISt17integral_constantIbLb0EEST_IbLb1EEEEDaSP_SQ_EUlSP_E0_NS1_11comp_targetILNS1_3genE4ELNS1_11target_archE910ELNS1_3gpuE8ELNS1_3repE0EEENS1_30default_config_static_selectorELNS0_4arch9wavefront6targetE1EEEvT1_: ; @_ZN7rocprim17ROCPRIM_400000_NS6detail17trampoline_kernelINS0_14default_configENS1_20scan_config_selectorItEEZZNS1_9scan_implILNS1_25lookback_scan_determinismE0ELb0ELb0ES3_N6thrust23THRUST_200600_302600_NS6detail15normal_iteratorINS9_10device_ptrItEEEESE_tNS9_4plusIvEEtEEDaPvRmT3_T4_T5_mT6_P12ihipStream_tbENKUlT_T0_E_clISt17integral_constantIbLb0EEST_IbLb1EEEEDaSP_SQ_EUlSP_E0_NS1_11comp_targetILNS1_3genE4ELNS1_11target_archE910ELNS1_3gpuE8ELNS1_3repE0EEENS1_30default_config_static_selectorELNS0_4arch9wavefront6targetE1EEEvT1_
; %bb.0:
	s_load_dwordx4 s[52:55], s[4:5], 0x0
	v_mov_b32_e32 v1, 0
	v_lshlrev_b32_e32 v14, 1, v0
	s_waitcnt lgkmcnt(0)
	global_load_ushort v2, v1, s[52:53]
	v_cmp_gt_u32_e32 vcc, s54, v0
	s_waitcnt vmcnt(0)
	v_mov_b32_e32 v3, v2
	s_and_saveexec_b64 s[0:1], vcc
	s_cbranch_execz .LBB4783_2
; %bb.1:
	global_load_ushort v3, v14, s[52:53]
.LBB4783_2:
	s_or_b64 exec, exec, s[0:1]
	v_or_b32_e32 v1, 64, v0
	v_cmp_gt_u32_e64 s[0:1], s54, v1
	v_mov_b32_e32 v4, v2
	s_and_saveexec_b64 s[2:3], s[0:1]
	s_cbranch_execz .LBB4783_4
; %bb.3:
	global_load_ushort v4, v14, s[52:53] offset:128
.LBB4783_4:
	s_or_b64 exec, exec, s[2:3]
	v_or_b32_e32 v1, 0x80, v0
	v_cmp_gt_u32_e64 s[2:3], s54, v1
	v_mov_b32_e32 v5, v2
	s_and_saveexec_b64 s[6:7], s[2:3]
	s_cbranch_execz .LBB4783_6
; %bb.5:
	global_load_ushort v5, v14, s[52:53] offset:256
.LBB4783_6:
	s_or_b64 exec, exec, s[6:7]
	v_or_b32_e32 v1, 0xc0, v0
	v_cmp_gt_u32_e64 s[48:49], s54, v1
	v_mov_b32_e32 v6, v2
	s_and_saveexec_b64 s[6:7], s[48:49]
	s_cbranch_execz .LBB4783_8
; %bb.7:
	global_load_ushort v6, v14, s[52:53] offset:384
.LBB4783_8:
	s_or_b64 exec, exec, s[6:7]
	v_or_b32_e32 v1, 0x100, v0
	v_cmp_gt_u32_e64 s[6:7], s54, v1
	v_mov_b32_e32 v7, v2
	s_and_saveexec_b64 s[8:9], s[6:7]
	s_cbranch_execz .LBB4783_10
; %bb.9:
	global_load_ushort v7, v14, s[52:53] offset:512
.LBB4783_10:
	s_or_b64 exec, exec, s[8:9]
	v_or_b32_e32 v1, 0x140, v0
	v_cmp_gt_u32_e64 s[8:9], s54, v1
	v_mov_b32_e32 v8, v2
	s_and_saveexec_b64 s[10:11], s[8:9]
	s_cbranch_execz .LBB4783_12
; %bb.11:
	global_load_ushort v8, v14, s[52:53] offset:640
.LBB4783_12:
	s_or_b64 exec, exec, s[10:11]
	v_or_b32_e32 v1, 0x180, v0
	v_cmp_gt_u32_e64 s[10:11], s54, v1
	v_mov_b32_e32 v9, v2
	s_and_saveexec_b64 s[12:13], s[10:11]
	s_cbranch_execz .LBB4783_14
; %bb.13:
	global_load_ushort v9, v14, s[52:53] offset:768
.LBB4783_14:
	s_or_b64 exec, exec, s[12:13]
	v_or_b32_e32 v1, 0x1c0, v0
	v_cmp_gt_u32_e64 s[12:13], s54, v1
	v_mov_b32_e32 v10, v2
	s_and_saveexec_b64 s[14:15], s[12:13]
	s_cbranch_execz .LBB4783_16
; %bb.15:
	global_load_ushort v10, v14, s[52:53] offset:896
.LBB4783_16:
	s_or_b64 exec, exec, s[14:15]
	v_or_b32_e32 v1, 0x200, v0
	v_cmp_gt_u32_e64 s[14:15], s54, v1
	v_mov_b32_e32 v11, v2
	s_and_saveexec_b64 s[16:17], s[14:15]
	s_cbranch_execz .LBB4783_18
; %bb.17:
	global_load_ushort v11, v14, s[52:53] offset:1024
.LBB4783_18:
	s_or_b64 exec, exec, s[16:17]
	v_or_b32_e32 v1, 0x240, v0
	v_cmp_gt_u32_e64 s[16:17], s54, v1
	v_mov_b32_e32 v12, v2
	s_and_saveexec_b64 s[18:19], s[16:17]
	s_cbranch_execz .LBB4783_20
; %bb.19:
	global_load_ushort v12, v14, s[52:53] offset:1152
.LBB4783_20:
	s_or_b64 exec, exec, s[18:19]
	v_or_b32_e32 v1, 0x280, v0
	v_cmp_gt_u32_e64 s[18:19], s54, v1
	v_mov_b32_e32 v13, v2
	s_and_saveexec_b64 s[20:21], s[18:19]
	s_cbranch_execz .LBB4783_22
; %bb.21:
	global_load_ushort v13, v14, s[52:53] offset:1280
.LBB4783_22:
	s_or_b64 exec, exec, s[20:21]
	v_or_b32_e32 v1, 0x2c0, v0
	v_cmp_gt_u32_e64 s[20:21], s54, v1
	v_mov_b32_e32 v15, v2
	s_and_saveexec_b64 s[22:23], s[20:21]
	s_cbranch_execz .LBB4783_24
; %bb.23:
	global_load_ushort v15, v14, s[52:53] offset:1408
.LBB4783_24:
	s_or_b64 exec, exec, s[22:23]
	v_or_b32_e32 v1, 0x300, v0
	v_cmp_gt_u32_e64 s[22:23], s54, v1
	v_mov_b32_e32 v16, v2
	s_and_saveexec_b64 s[24:25], s[22:23]
	s_cbranch_execz .LBB4783_26
; %bb.25:
	global_load_ushort v16, v14, s[52:53] offset:1536
.LBB4783_26:
	s_or_b64 exec, exec, s[24:25]
	v_or_b32_e32 v1, 0x340, v0
	v_cmp_gt_u32_e64 s[24:25], s54, v1
	v_mov_b32_e32 v17, v2
	s_and_saveexec_b64 s[26:27], s[24:25]
	s_cbranch_execz .LBB4783_28
; %bb.27:
	global_load_ushort v17, v14, s[52:53] offset:1664
.LBB4783_28:
	s_or_b64 exec, exec, s[26:27]
	v_or_b32_e32 v1, 0x380, v0
	v_cmp_gt_u32_e64 s[26:27], s54, v1
	v_mov_b32_e32 v18, v2
	s_and_saveexec_b64 s[28:29], s[26:27]
	s_cbranch_execz .LBB4783_30
; %bb.29:
	global_load_ushort v18, v14, s[52:53] offset:1792
.LBB4783_30:
	s_or_b64 exec, exec, s[28:29]
	v_or_b32_e32 v1, 0x3c0, v0
	v_cmp_gt_u32_e64 s[28:29], s54, v1
	v_mov_b32_e32 v19, v2
	s_and_saveexec_b64 s[30:31], s[28:29]
	s_cbranch_execz .LBB4783_32
; %bb.31:
	global_load_ushort v19, v14, s[52:53] offset:1920
.LBB4783_32:
	s_or_b64 exec, exec, s[30:31]
	v_or_b32_e32 v1, 0x400, v0
	v_cmp_gt_u32_e64 s[30:31], s54, v1
	v_mov_b32_e32 v20, v2
	s_and_saveexec_b64 s[34:35], s[30:31]
	s_cbranch_execz .LBB4783_34
; %bb.33:
	global_load_ushort v20, v14, s[52:53] offset:2048
.LBB4783_34:
	s_or_b64 exec, exec, s[34:35]
	v_or_b32_e32 v1, 0x440, v0
	v_cmp_gt_u32_e64 s[34:35], s54, v1
	v_mov_b32_e32 v21, v2
	s_and_saveexec_b64 s[36:37], s[34:35]
	s_cbranch_execz .LBB4783_36
; %bb.35:
	global_load_ushort v21, v14, s[52:53] offset:2176
.LBB4783_36:
	s_or_b64 exec, exec, s[36:37]
	v_or_b32_e32 v1, 0x480, v0
	v_cmp_gt_u32_e64 s[36:37], s54, v1
	v_mov_b32_e32 v22, v2
	s_and_saveexec_b64 s[38:39], s[36:37]
	s_cbranch_execz .LBB4783_38
; %bb.37:
	global_load_ushort v22, v14, s[52:53] offset:2304
.LBB4783_38:
	s_or_b64 exec, exec, s[38:39]
	v_or_b32_e32 v1, 0x4c0, v0
	v_cmp_gt_u32_e64 s[38:39], s54, v1
	v_mov_b32_e32 v23, v2
	s_and_saveexec_b64 s[40:41], s[38:39]
	s_cbranch_execz .LBB4783_40
; %bb.39:
	global_load_ushort v23, v14, s[52:53] offset:2432
.LBB4783_40:
	s_or_b64 exec, exec, s[40:41]
	v_or_b32_e32 v1, 0x500, v0
	v_cmp_gt_u32_e64 s[40:41], s54, v1
	v_mov_b32_e32 v24, v2
	s_and_saveexec_b64 s[42:43], s[40:41]
	s_cbranch_execz .LBB4783_42
; %bb.41:
	global_load_ushort v24, v14, s[52:53] offset:2560
.LBB4783_42:
	s_or_b64 exec, exec, s[42:43]
	v_or_b32_e32 v1, 0x540, v0
	v_cmp_gt_u32_e64 s[42:43], s54, v1
	v_mov_b32_e32 v25, v2
	s_and_saveexec_b64 s[44:45], s[42:43]
	s_cbranch_execz .LBB4783_44
; %bb.43:
	global_load_ushort v25, v14, s[52:53] offset:2688
.LBB4783_44:
	s_or_b64 exec, exec, s[44:45]
	v_or_b32_e32 v1, 0x580, v0
	v_cmp_gt_u32_e64 s[44:45], s54, v1
	v_mov_b32_e32 v26, v2
	s_and_saveexec_b64 s[46:47], s[44:45]
	s_cbranch_execz .LBB4783_46
; %bb.45:
	global_load_ushort v26, v14, s[52:53] offset:2816
.LBB4783_46:
	s_or_b64 exec, exec, s[46:47]
	v_or_b32_e32 v1, 0x5c0, v0
	v_cmp_gt_u32_e64 s[46:47], s54, v1
	v_cmp_le_u32_e64 s[50:51], s54, v1
	s_and_saveexec_b64 s[54:55], s[50:51]
	s_xor_b64 s[50:51], exec, s[54:55]
; %bb.47:
	v_mov_b32_e32 v1, 0
; %bb.48:
	s_andn2_saveexec_b64 s[50:51], s[50:51]
	s_cbranch_execz .LBB4783_50
; %bb.49:
	global_load_ushort v2, v14, s[52:53] offset:2944
	v_mov_b32_e32 v1, 0
.LBB4783_50:
	s_or_b64 exec, exec, s[50:51]
	s_waitcnt vmcnt(0)
	ds_write_b16 v14, v3
	ds_write_b16 v14, v4 offset:128
	ds_write_b16 v14, v5 offset:256
	ds_write_b16 v14, v6 offset:384
	ds_write_b16 v14, v7 offset:512
	ds_write_b16 v14, v8 offset:640
	ds_write_b16 v14, v9 offset:768
	ds_write_b16 v14, v10 offset:896
	ds_write_b16 v14, v11 offset:1024
	ds_write_b16 v14, v12 offset:1152
	ds_write_b16 v14, v13 offset:1280
	ds_write_b16 v14, v15 offset:1408
	ds_write_b16 v14, v16 offset:1536
	ds_write_b16 v14, v17 offset:1664
	ds_write_b16 v14, v18 offset:1792
	ds_write_b16 v14, v19 offset:1920
	ds_write_b16 v14, v20 offset:2048
	ds_write_b16 v14, v21 offset:2176
	ds_write_b16 v14, v22 offset:2304
	ds_write_b16 v14, v23 offset:2432
	ds_write_b16 v14, v24 offset:2560
	ds_write_b16 v14, v25 offset:2688
	ds_write_b16 v14, v26 offset:2816
	ds_write_b16 v14, v2 offset:2944
	v_mad_u32_u24 v6, v0, 46, v14
	s_waitcnt lgkmcnt(0)
	; wave barrier
	s_waitcnt lgkmcnt(0)
	ds_read_b128 v[2:5], v6
	ds_read_b128 v[10:13], v6 offset:16
	ds_read_b128 v[6:9], v6 offset:32
	v_mbcnt_lo_u32_b32 v38, -1, 0
	v_mbcnt_hi_u32_b32 v38, -1, v38
	s_waitcnt lgkmcnt(2)
	v_add_u16_sdwa v15, v2, v2 dst_sel:DWORD dst_unused:UNUSED_PAD src0_sel:WORD_1 src1_sel:DWORD
	v_add_u16_e32 v16, v15, v3
	v_add_u16_sdwa v18, v16, v3 dst_sel:DWORD dst_unused:UNUSED_PAD src0_sel:DWORD src1_sel:WORD_1
	v_add_u16_e32 v20, v18, v4
	v_add_u16_sdwa v22, v20, v4 dst_sel:DWORD dst_unused:UNUSED_PAD src0_sel:DWORD src1_sel:WORD_1
	;; [unrolled: 2-line block ×3, first 2 shown]
	s_waitcnt lgkmcnt(1)
	v_add_u16_e32 v17, v28, v10
	v_add_u16_sdwa v19, v17, v10 dst_sel:DWORD dst_unused:UNUSED_PAD src0_sel:DWORD src1_sel:WORD_1
	v_add_u16_e32 v21, v19, v11
	v_add_u16_sdwa v24, v21, v11 dst_sel:DWORD dst_unused:UNUSED_PAD src0_sel:DWORD src1_sel:WORD_1
	;; [unrolled: 2-line block ×4, first 2 shown]
	s_waitcnt lgkmcnt(0)
	v_add_u16_e32 v23, v34, v6
	v_add_u16_sdwa v26, v23, v6 dst_sel:DWORD dst_unused:UNUSED_PAD src0_sel:DWORD src1_sel:WORD_1
	v_add_u16_e32 v29, v26, v7
	v_add_u16_sdwa v31, v29, v7 dst_sel:DWORD dst_unused:UNUSED_PAD src0_sel:DWORD src1_sel:WORD_1
	;; [unrolled: 2-line block ×4, first 2 shown]
	v_and_b32_e32 v39, 15, v38
	s_load_dwordx2 s[50:51], s[4:5], 0x18
	v_mov_b32_dpp v40, v37 row_shr:1 row_mask:0xf bank_mask:0xf
	v_cmp_ne_u32_e64 s[4:5], 0, v39
	v_cndmask_b32_e64 v40, 0, v40, s[4:5]
	v_add_u16_e32 v40, v40, v37
	v_cmp_lt_u32_e64 s[4:5], 1, v39
	s_waitcnt lgkmcnt(0)
	v_mov_b32_dpp v41, v40 row_shr:2 row_mask:0xf bank_mask:0xf
	v_cndmask_b32_e64 v41, 0, v41, s[4:5]
	v_add_u16_e32 v40, v40, v41
	v_cmp_lt_u32_e64 s[4:5], 3, v39
	; wave barrier
	s_nop 0
	v_mov_b32_dpp v41, v40 row_shr:4 row_mask:0xf bank_mask:0xf
	v_cndmask_b32_e64 v41, 0, v41, s[4:5]
	v_add_u16_e32 v40, v40, v41
	v_cmp_lt_u32_e64 s[4:5], 7, v39
	s_nop 0
	v_mov_b32_dpp v41, v40 row_shr:8 row_mask:0xf bank_mask:0xf
	v_cndmask_b32_e64 v39, 0, v41, s[4:5]
	v_add_u16_e32 v39, v40, v39
	v_and_b32_e32 v41, 16, v38
	v_cmp_ne_u32_e64 s[4:5], 0, v41
	v_mov_b32_dpp v40, v39 row_bcast:15 row_mask:0xf bank_mask:0xf
	v_cndmask_b32_e64 v40, 0, v40, s[4:5]
	v_add_u16_e32 v39, v39, v40
	v_cmp_lt_u32_e64 s[4:5], 31, v38
	s_nop 0
	v_mov_b32_dpp v40, v39 row_bcast:31 row_mask:0xf bank_mask:0xf
	v_cndmask_b32_e64 v40, 0, v40, s[4:5]
	v_add_u16_e32 v39, v39, v40
	v_cmp_eq_u32_e64 s[4:5], 63, v0
	s_and_saveexec_b64 s[52:53], s[4:5]
	s_cbranch_execz .LBB4783_52
; %bb.51:
	v_mov_b32_e32 v40, 0
	ds_write_b16 v40, v39
.LBB4783_52:
	s_or_b64 exec, exec, s[52:53]
	v_add_u32_e32 v40, -1, v38
	v_and_b32_e32 v41, 64, v38
	v_cmp_lt_i32_e64 s[4:5], v40, v41
	v_cndmask_b32_e64 v38, v40, v38, s[4:5]
	v_lshlrev_b32_e32 v38, 2, v38
	ds_bpermute_b32 v39, v38, v39
	v_mul_u32_u24_e32 v38, 46, v0
	v_cmp_ne_u32_e64 s[4:5], 0, v0
	s_waitcnt lgkmcnt(0)
	; wave barrier
	s_waitcnt lgkmcnt(0)
	s_and_saveexec_b64 s[52:53], s[4:5]
	s_cbranch_execz .LBB4783_54
; %bb.53:
	v_add_u16_e32 v39, v2, v39
	v_add_u16_sdwa v15, v39, v2 dst_sel:DWORD dst_unused:UNUSED_PAD src0_sel:DWORD src1_sel:WORD_1
	v_add_u16_e32 v16, v15, v3
	v_add_u16_sdwa v18, v16, v3 dst_sel:DWORD dst_unused:UNUSED_PAD src0_sel:DWORD src1_sel:WORD_1
	;; [unrolled: 2-line block ×12, first 2 shown]
	v_mov_b32_e32 v2, v39
	;;#ASMSTART
	;;#ASMEND
.LBB4783_54:
	s_or_b64 exec, exec, s[52:53]
	s_mov_b32 s4, 0x5040100
	v_add_u32_e32 v6, v14, v38
	v_perm_b32 v5, v28, v25, s4
	v_perm_b32 v4, v22, v20, s4
	;; [unrolled: 1-line block ×4, first 2 shown]
	s_waitcnt lgkmcnt(0)
	; wave barrier
	ds_write_b128 v6, v[2:5]
	v_perm_b32 v5, v34, v32, s4
	v_perm_b32 v4, v30, v27, s4
	v_perm_b32 v3, v24, v21, s4
	v_perm_b32 v2, v19, v17, s4
	ds_write_b128 v6, v[2:5] offset:16
	v_perm_b32 v5, v37, v36, s4
	v_perm_b32 v4, v35, v33, s4
	;; [unrolled: 1-line block ×4, first 2 shown]
	ds_write_b128 v6, v[2:5] offset:32
	s_waitcnt lgkmcnt(0)
	; wave barrier
	s_waitcnt lgkmcnt(0)
	ds_read_u16 v25, v14 offset:128
	ds_read_u16 v24, v14 offset:256
	;; [unrolled: 1-line block ×23, first 2 shown]
	v_lshlrev_b64 v[0:1], 1, v[0:1]
	v_mov_b32_e32 v26, s51
	v_add_co_u32_e64 v0, s[4:5], s50, v0
	v_addc_co_u32_e64 v1, s[4:5], v26, v1, s[4:5]
	s_and_saveexec_b64 s[4:5], vcc
	s_cbranch_execnz .LBB4783_79
; %bb.55:
	s_or_b64 exec, exec, s[4:5]
	s_and_saveexec_b64 s[4:5], s[0:1]
	s_cbranch_execnz .LBB4783_80
.LBB4783_56:
	s_or_b64 exec, exec, s[4:5]
	s_and_saveexec_b64 s[0:1], s[2:3]
	s_cbranch_execnz .LBB4783_81
.LBB4783_57:
	s_or_b64 exec, exec, s[0:1]
	s_and_saveexec_b64 s[0:1], s[48:49]
	s_cbranch_execnz .LBB4783_82
.LBB4783_58:
	s_or_b64 exec, exec, s[0:1]
	s_and_saveexec_b64 s[0:1], s[6:7]
	s_cbranch_execnz .LBB4783_83
.LBB4783_59:
	s_or_b64 exec, exec, s[0:1]
	s_and_saveexec_b64 s[0:1], s[8:9]
	s_cbranch_execnz .LBB4783_84
.LBB4783_60:
	s_or_b64 exec, exec, s[0:1]
	s_and_saveexec_b64 s[0:1], s[10:11]
	s_cbranch_execnz .LBB4783_85
.LBB4783_61:
	s_or_b64 exec, exec, s[0:1]
	s_and_saveexec_b64 s[0:1], s[12:13]
	s_cbranch_execnz .LBB4783_86
.LBB4783_62:
	s_or_b64 exec, exec, s[0:1]
	s_and_saveexec_b64 s[0:1], s[14:15]
	s_cbranch_execnz .LBB4783_87
.LBB4783_63:
	s_or_b64 exec, exec, s[0:1]
	s_and_saveexec_b64 s[0:1], s[16:17]
	s_cbranch_execnz .LBB4783_88
.LBB4783_64:
	s_or_b64 exec, exec, s[0:1]
	s_and_saveexec_b64 s[0:1], s[18:19]
	s_cbranch_execnz .LBB4783_89
.LBB4783_65:
	s_or_b64 exec, exec, s[0:1]
	s_and_saveexec_b64 s[0:1], s[20:21]
	s_cbranch_execnz .LBB4783_90
.LBB4783_66:
	s_or_b64 exec, exec, s[0:1]
	s_and_saveexec_b64 s[0:1], s[22:23]
	s_cbranch_execnz .LBB4783_91
.LBB4783_67:
	s_or_b64 exec, exec, s[0:1]
	s_and_saveexec_b64 s[0:1], s[24:25]
	s_cbranch_execnz .LBB4783_92
.LBB4783_68:
	s_or_b64 exec, exec, s[0:1]
	s_and_saveexec_b64 s[0:1], s[26:27]
	s_cbranch_execnz .LBB4783_93
.LBB4783_69:
	s_or_b64 exec, exec, s[0:1]
	s_and_saveexec_b64 s[0:1], s[28:29]
	s_cbranch_execnz .LBB4783_94
.LBB4783_70:
	s_or_b64 exec, exec, s[0:1]
	s_and_saveexec_b64 s[0:1], s[30:31]
	s_cbranch_execnz .LBB4783_95
.LBB4783_71:
	s_or_b64 exec, exec, s[0:1]
	s_and_saveexec_b64 s[0:1], s[34:35]
	s_cbranch_execnz .LBB4783_96
.LBB4783_72:
	s_or_b64 exec, exec, s[0:1]
	s_and_saveexec_b64 s[0:1], s[36:37]
	s_cbranch_execnz .LBB4783_97
.LBB4783_73:
	s_or_b64 exec, exec, s[0:1]
	s_and_saveexec_b64 s[0:1], s[38:39]
	s_cbranch_execnz .LBB4783_98
.LBB4783_74:
	s_or_b64 exec, exec, s[0:1]
	s_and_saveexec_b64 s[0:1], s[40:41]
	s_cbranch_execnz .LBB4783_99
.LBB4783_75:
	s_or_b64 exec, exec, s[0:1]
	s_and_saveexec_b64 s[0:1], s[42:43]
	s_cbranch_execnz .LBB4783_100
.LBB4783_76:
	s_or_b64 exec, exec, s[0:1]
	s_and_saveexec_b64 s[0:1], s[44:45]
	s_cbranch_execnz .LBB4783_101
.LBB4783_77:
	s_or_b64 exec, exec, s[0:1]
	s_and_saveexec_b64 s[0:1], s[46:47]
	s_cbranch_execnz .LBB4783_102
.LBB4783_78:
	s_endpgm
.LBB4783_79:
	ds_read_u16 v14, v14
	s_waitcnt lgkmcnt(0)
	global_store_short v[0:1], v14, off
	s_or_b64 exec, exec, s[4:5]
	s_and_saveexec_b64 s[4:5], s[0:1]
	s_cbranch_execz .LBB4783_56
.LBB4783_80:
	s_waitcnt lgkmcnt(14)
	global_store_short v[0:1], v25, off offset:128
	s_or_b64 exec, exec, s[4:5]
	s_and_saveexec_b64 s[0:1], s[2:3]
	s_cbranch_execz .LBB4783_57
.LBB4783_81:
	s_waitcnt lgkmcnt(14)
	global_store_short v[0:1], v24, off offset:256
	s_or_b64 exec, exec, s[0:1]
	s_and_saveexec_b64 s[0:1], s[48:49]
	s_cbranch_execz .LBB4783_58
.LBB4783_82:
	s_waitcnt lgkmcnt(14)
	global_store_short v[0:1], v23, off offset:384
	s_or_b64 exec, exec, s[0:1]
	s_and_saveexec_b64 s[0:1], s[6:7]
	s_cbranch_execz .LBB4783_59
.LBB4783_83:
	s_waitcnt lgkmcnt(14)
	global_store_short v[0:1], v22, off offset:512
	s_or_b64 exec, exec, s[0:1]
	s_and_saveexec_b64 s[0:1], s[8:9]
	s_cbranch_execz .LBB4783_60
.LBB4783_84:
	s_waitcnt lgkmcnt(14)
	global_store_short v[0:1], v21, off offset:640
	s_or_b64 exec, exec, s[0:1]
	s_and_saveexec_b64 s[0:1], s[10:11]
	s_cbranch_execz .LBB4783_61
.LBB4783_85:
	s_waitcnt lgkmcnt(14)
	global_store_short v[0:1], v20, off offset:768
	s_or_b64 exec, exec, s[0:1]
	s_and_saveexec_b64 s[0:1], s[12:13]
	s_cbranch_execz .LBB4783_62
.LBB4783_86:
	s_waitcnt lgkmcnt(14)
	global_store_short v[0:1], v19, off offset:896
	s_or_b64 exec, exec, s[0:1]
	s_and_saveexec_b64 s[0:1], s[14:15]
	s_cbranch_execz .LBB4783_63
.LBB4783_87:
	s_waitcnt lgkmcnt(14)
	global_store_short v[0:1], v18, off offset:1024
	s_or_b64 exec, exec, s[0:1]
	s_and_saveexec_b64 s[0:1], s[16:17]
	s_cbranch_execz .LBB4783_64
.LBB4783_88:
	s_waitcnt lgkmcnt(14)
	global_store_short v[0:1], v17, off offset:1152
	s_or_b64 exec, exec, s[0:1]
	s_and_saveexec_b64 s[0:1], s[18:19]
	s_cbranch_execz .LBB4783_65
.LBB4783_89:
	s_waitcnt lgkmcnt(13)
	global_store_short v[0:1], v16, off offset:1280
	s_or_b64 exec, exec, s[0:1]
	s_and_saveexec_b64 s[0:1], s[20:21]
	s_cbranch_execz .LBB4783_66
.LBB4783_90:
	s_waitcnt lgkmcnt(12)
	global_store_short v[0:1], v15, off offset:1408
	s_or_b64 exec, exec, s[0:1]
	s_and_saveexec_b64 s[0:1], s[22:23]
	s_cbranch_execz .LBB4783_67
.LBB4783_91:
	s_waitcnt lgkmcnt(11)
	global_store_short v[0:1], v13, off offset:1536
	s_or_b64 exec, exec, s[0:1]
	s_and_saveexec_b64 s[0:1], s[24:25]
	s_cbranch_execz .LBB4783_68
.LBB4783_92:
	s_waitcnt lgkmcnt(10)
	global_store_short v[0:1], v12, off offset:1664
	s_or_b64 exec, exec, s[0:1]
	s_and_saveexec_b64 s[0:1], s[26:27]
	s_cbranch_execz .LBB4783_69
.LBB4783_93:
	s_waitcnt lgkmcnt(9)
	global_store_short v[0:1], v11, off offset:1792
	s_or_b64 exec, exec, s[0:1]
	s_and_saveexec_b64 s[0:1], s[28:29]
	s_cbranch_execz .LBB4783_70
.LBB4783_94:
	s_waitcnt lgkmcnt(8)
	global_store_short v[0:1], v10, off offset:1920
	s_or_b64 exec, exec, s[0:1]
	s_and_saveexec_b64 s[0:1], s[30:31]
	s_cbranch_execz .LBB4783_71
.LBB4783_95:
	s_waitcnt lgkmcnt(7)
	global_store_short v[0:1], v9, off offset:2048
	s_or_b64 exec, exec, s[0:1]
	s_and_saveexec_b64 s[0:1], s[34:35]
	s_cbranch_execz .LBB4783_72
.LBB4783_96:
	s_waitcnt lgkmcnt(6)
	global_store_short v[0:1], v8, off offset:2176
	s_or_b64 exec, exec, s[0:1]
	s_and_saveexec_b64 s[0:1], s[36:37]
	s_cbranch_execz .LBB4783_73
.LBB4783_97:
	s_waitcnt lgkmcnt(5)
	global_store_short v[0:1], v7, off offset:2304
	s_or_b64 exec, exec, s[0:1]
	s_and_saveexec_b64 s[0:1], s[38:39]
	s_cbranch_execz .LBB4783_74
.LBB4783_98:
	s_waitcnt lgkmcnt(4)
	global_store_short v[0:1], v6, off offset:2432
	s_or_b64 exec, exec, s[0:1]
	s_and_saveexec_b64 s[0:1], s[40:41]
	s_cbranch_execz .LBB4783_75
.LBB4783_99:
	s_waitcnt lgkmcnt(3)
	global_store_short v[0:1], v5, off offset:2560
	s_or_b64 exec, exec, s[0:1]
	s_and_saveexec_b64 s[0:1], s[42:43]
	s_cbranch_execz .LBB4783_76
.LBB4783_100:
	s_waitcnt lgkmcnt(2)
	global_store_short v[0:1], v4, off offset:2688
	s_or_b64 exec, exec, s[0:1]
	s_and_saveexec_b64 s[0:1], s[44:45]
	s_cbranch_execz .LBB4783_77
.LBB4783_101:
	s_waitcnt lgkmcnt(1)
	global_store_short v[0:1], v3, off offset:2816
	s_or_b64 exec, exec, s[0:1]
	s_and_saveexec_b64 s[0:1], s[46:47]
	s_cbranch_execz .LBB4783_78
.LBB4783_102:
	s_waitcnt lgkmcnt(0)
	global_store_short v[0:1], v2, off offset:2944
	s_endpgm
	.section	.rodata,"a",@progbits
	.p2align	6, 0x0
	.amdhsa_kernel _ZN7rocprim17ROCPRIM_400000_NS6detail17trampoline_kernelINS0_14default_configENS1_20scan_config_selectorItEEZZNS1_9scan_implILNS1_25lookback_scan_determinismE0ELb0ELb0ES3_N6thrust23THRUST_200600_302600_NS6detail15normal_iteratorINS9_10device_ptrItEEEESE_tNS9_4plusIvEEtEEDaPvRmT3_T4_T5_mT6_P12ihipStream_tbENKUlT_T0_E_clISt17integral_constantIbLb0EEST_IbLb1EEEEDaSP_SQ_EUlSP_E0_NS1_11comp_targetILNS1_3genE4ELNS1_11target_archE910ELNS1_3gpuE8ELNS1_3repE0EEENS1_30default_config_static_selectorELNS0_4arch9wavefront6targetE1EEEvT1_
		.amdhsa_group_segment_fixed_size 3072
		.amdhsa_private_segment_fixed_size 0
		.amdhsa_kernarg_size 32
		.amdhsa_user_sgpr_count 6
		.amdhsa_user_sgpr_private_segment_buffer 1
		.amdhsa_user_sgpr_dispatch_ptr 0
		.amdhsa_user_sgpr_queue_ptr 0
		.amdhsa_user_sgpr_kernarg_segment_ptr 1
		.amdhsa_user_sgpr_dispatch_id 0
		.amdhsa_user_sgpr_flat_scratch_init 0
		.amdhsa_user_sgpr_kernarg_preload_length 0
		.amdhsa_user_sgpr_kernarg_preload_offset 0
		.amdhsa_user_sgpr_private_segment_size 0
		.amdhsa_uses_dynamic_stack 0
		.amdhsa_system_sgpr_private_segment_wavefront_offset 0
		.amdhsa_system_sgpr_workgroup_id_x 1
		.amdhsa_system_sgpr_workgroup_id_y 0
		.amdhsa_system_sgpr_workgroup_id_z 0
		.amdhsa_system_sgpr_workgroup_info 0
		.amdhsa_system_vgpr_workitem_id 0
		.amdhsa_next_free_vgpr 42
		.amdhsa_next_free_sgpr 56
		.amdhsa_accum_offset 44
		.amdhsa_reserve_vcc 1
		.amdhsa_reserve_flat_scratch 0
		.amdhsa_float_round_mode_32 0
		.amdhsa_float_round_mode_16_64 0
		.amdhsa_float_denorm_mode_32 3
		.amdhsa_float_denorm_mode_16_64 3
		.amdhsa_dx10_clamp 1
		.amdhsa_ieee_mode 1
		.amdhsa_fp16_overflow 0
		.amdhsa_tg_split 0
		.amdhsa_exception_fp_ieee_invalid_op 0
		.amdhsa_exception_fp_denorm_src 0
		.amdhsa_exception_fp_ieee_div_zero 0
		.amdhsa_exception_fp_ieee_overflow 0
		.amdhsa_exception_fp_ieee_underflow 0
		.amdhsa_exception_fp_ieee_inexact 0
		.amdhsa_exception_int_div_zero 0
	.end_amdhsa_kernel
	.section	.text._ZN7rocprim17ROCPRIM_400000_NS6detail17trampoline_kernelINS0_14default_configENS1_20scan_config_selectorItEEZZNS1_9scan_implILNS1_25lookback_scan_determinismE0ELb0ELb0ES3_N6thrust23THRUST_200600_302600_NS6detail15normal_iteratorINS9_10device_ptrItEEEESE_tNS9_4plusIvEEtEEDaPvRmT3_T4_T5_mT6_P12ihipStream_tbENKUlT_T0_E_clISt17integral_constantIbLb0EEST_IbLb1EEEEDaSP_SQ_EUlSP_E0_NS1_11comp_targetILNS1_3genE4ELNS1_11target_archE910ELNS1_3gpuE8ELNS1_3repE0EEENS1_30default_config_static_selectorELNS0_4arch9wavefront6targetE1EEEvT1_,"axG",@progbits,_ZN7rocprim17ROCPRIM_400000_NS6detail17trampoline_kernelINS0_14default_configENS1_20scan_config_selectorItEEZZNS1_9scan_implILNS1_25lookback_scan_determinismE0ELb0ELb0ES3_N6thrust23THRUST_200600_302600_NS6detail15normal_iteratorINS9_10device_ptrItEEEESE_tNS9_4plusIvEEtEEDaPvRmT3_T4_T5_mT6_P12ihipStream_tbENKUlT_T0_E_clISt17integral_constantIbLb0EEST_IbLb1EEEEDaSP_SQ_EUlSP_E0_NS1_11comp_targetILNS1_3genE4ELNS1_11target_archE910ELNS1_3gpuE8ELNS1_3repE0EEENS1_30default_config_static_selectorELNS0_4arch9wavefront6targetE1EEEvT1_,comdat
.Lfunc_end4783:
	.size	_ZN7rocprim17ROCPRIM_400000_NS6detail17trampoline_kernelINS0_14default_configENS1_20scan_config_selectorItEEZZNS1_9scan_implILNS1_25lookback_scan_determinismE0ELb0ELb0ES3_N6thrust23THRUST_200600_302600_NS6detail15normal_iteratorINS9_10device_ptrItEEEESE_tNS9_4plusIvEEtEEDaPvRmT3_T4_T5_mT6_P12ihipStream_tbENKUlT_T0_E_clISt17integral_constantIbLb0EEST_IbLb1EEEEDaSP_SQ_EUlSP_E0_NS1_11comp_targetILNS1_3genE4ELNS1_11target_archE910ELNS1_3gpuE8ELNS1_3repE0EEENS1_30default_config_static_selectorELNS0_4arch9wavefront6targetE1EEEvT1_, .Lfunc_end4783-_ZN7rocprim17ROCPRIM_400000_NS6detail17trampoline_kernelINS0_14default_configENS1_20scan_config_selectorItEEZZNS1_9scan_implILNS1_25lookback_scan_determinismE0ELb0ELb0ES3_N6thrust23THRUST_200600_302600_NS6detail15normal_iteratorINS9_10device_ptrItEEEESE_tNS9_4plusIvEEtEEDaPvRmT3_T4_T5_mT6_P12ihipStream_tbENKUlT_T0_E_clISt17integral_constantIbLb0EEST_IbLb1EEEEDaSP_SQ_EUlSP_E0_NS1_11comp_targetILNS1_3genE4ELNS1_11target_archE910ELNS1_3gpuE8ELNS1_3repE0EEENS1_30default_config_static_selectorELNS0_4arch9wavefront6targetE1EEEvT1_
                                        ; -- End function
	.section	.AMDGPU.csdata,"",@progbits
; Kernel info:
; codeLenInByte = 3068
; NumSgprs: 60
; NumVgprs: 42
; NumAgprs: 0
; TotalNumVgprs: 42
; ScratchSize: 0
; MemoryBound: 0
; FloatMode: 240
; IeeeMode: 1
; LDSByteSize: 3072 bytes/workgroup (compile time only)
; SGPRBlocks: 7
; VGPRBlocks: 5
; NumSGPRsForWavesPerEU: 60
; NumVGPRsForWavesPerEU: 42
; AccumOffset: 44
; Occupancy: 6
; WaveLimiterHint : 0
; COMPUTE_PGM_RSRC2:SCRATCH_EN: 0
; COMPUTE_PGM_RSRC2:USER_SGPR: 6
; COMPUTE_PGM_RSRC2:TRAP_HANDLER: 0
; COMPUTE_PGM_RSRC2:TGID_X_EN: 1
; COMPUTE_PGM_RSRC2:TGID_Y_EN: 0
; COMPUTE_PGM_RSRC2:TGID_Z_EN: 0
; COMPUTE_PGM_RSRC2:TIDIG_COMP_CNT: 0
; COMPUTE_PGM_RSRC3_GFX90A:ACCUM_OFFSET: 10
; COMPUTE_PGM_RSRC3_GFX90A:TG_SPLIT: 0
	.section	.text._ZN7rocprim17ROCPRIM_400000_NS6detail17trampoline_kernelINS0_14default_configENS1_20scan_config_selectorItEEZZNS1_9scan_implILNS1_25lookback_scan_determinismE0ELb0ELb0ES3_N6thrust23THRUST_200600_302600_NS6detail15normal_iteratorINS9_10device_ptrItEEEESE_tNS9_4plusIvEEtEEDaPvRmT3_T4_T5_mT6_P12ihipStream_tbENKUlT_T0_E_clISt17integral_constantIbLb0EEST_IbLb1EEEEDaSP_SQ_EUlSP_E0_NS1_11comp_targetILNS1_3genE3ELNS1_11target_archE908ELNS1_3gpuE7ELNS1_3repE0EEENS1_30default_config_static_selectorELNS0_4arch9wavefront6targetE1EEEvT1_,"axG",@progbits,_ZN7rocprim17ROCPRIM_400000_NS6detail17trampoline_kernelINS0_14default_configENS1_20scan_config_selectorItEEZZNS1_9scan_implILNS1_25lookback_scan_determinismE0ELb0ELb0ES3_N6thrust23THRUST_200600_302600_NS6detail15normal_iteratorINS9_10device_ptrItEEEESE_tNS9_4plusIvEEtEEDaPvRmT3_T4_T5_mT6_P12ihipStream_tbENKUlT_T0_E_clISt17integral_constantIbLb0EEST_IbLb1EEEEDaSP_SQ_EUlSP_E0_NS1_11comp_targetILNS1_3genE3ELNS1_11target_archE908ELNS1_3gpuE7ELNS1_3repE0EEENS1_30default_config_static_selectorELNS0_4arch9wavefront6targetE1EEEvT1_,comdat
	.protected	_ZN7rocprim17ROCPRIM_400000_NS6detail17trampoline_kernelINS0_14default_configENS1_20scan_config_selectorItEEZZNS1_9scan_implILNS1_25lookback_scan_determinismE0ELb0ELb0ES3_N6thrust23THRUST_200600_302600_NS6detail15normal_iteratorINS9_10device_ptrItEEEESE_tNS9_4plusIvEEtEEDaPvRmT3_T4_T5_mT6_P12ihipStream_tbENKUlT_T0_E_clISt17integral_constantIbLb0EEST_IbLb1EEEEDaSP_SQ_EUlSP_E0_NS1_11comp_targetILNS1_3genE3ELNS1_11target_archE908ELNS1_3gpuE7ELNS1_3repE0EEENS1_30default_config_static_selectorELNS0_4arch9wavefront6targetE1EEEvT1_ ; -- Begin function _ZN7rocprim17ROCPRIM_400000_NS6detail17trampoline_kernelINS0_14default_configENS1_20scan_config_selectorItEEZZNS1_9scan_implILNS1_25lookback_scan_determinismE0ELb0ELb0ES3_N6thrust23THRUST_200600_302600_NS6detail15normal_iteratorINS9_10device_ptrItEEEESE_tNS9_4plusIvEEtEEDaPvRmT3_T4_T5_mT6_P12ihipStream_tbENKUlT_T0_E_clISt17integral_constantIbLb0EEST_IbLb1EEEEDaSP_SQ_EUlSP_E0_NS1_11comp_targetILNS1_3genE3ELNS1_11target_archE908ELNS1_3gpuE7ELNS1_3repE0EEENS1_30default_config_static_selectorELNS0_4arch9wavefront6targetE1EEEvT1_
	.globl	_ZN7rocprim17ROCPRIM_400000_NS6detail17trampoline_kernelINS0_14default_configENS1_20scan_config_selectorItEEZZNS1_9scan_implILNS1_25lookback_scan_determinismE0ELb0ELb0ES3_N6thrust23THRUST_200600_302600_NS6detail15normal_iteratorINS9_10device_ptrItEEEESE_tNS9_4plusIvEEtEEDaPvRmT3_T4_T5_mT6_P12ihipStream_tbENKUlT_T0_E_clISt17integral_constantIbLb0EEST_IbLb1EEEEDaSP_SQ_EUlSP_E0_NS1_11comp_targetILNS1_3genE3ELNS1_11target_archE908ELNS1_3gpuE7ELNS1_3repE0EEENS1_30default_config_static_selectorELNS0_4arch9wavefront6targetE1EEEvT1_
	.p2align	8
	.type	_ZN7rocprim17ROCPRIM_400000_NS6detail17trampoline_kernelINS0_14default_configENS1_20scan_config_selectorItEEZZNS1_9scan_implILNS1_25lookback_scan_determinismE0ELb0ELb0ES3_N6thrust23THRUST_200600_302600_NS6detail15normal_iteratorINS9_10device_ptrItEEEESE_tNS9_4plusIvEEtEEDaPvRmT3_T4_T5_mT6_P12ihipStream_tbENKUlT_T0_E_clISt17integral_constantIbLb0EEST_IbLb1EEEEDaSP_SQ_EUlSP_E0_NS1_11comp_targetILNS1_3genE3ELNS1_11target_archE908ELNS1_3gpuE7ELNS1_3repE0EEENS1_30default_config_static_selectorELNS0_4arch9wavefront6targetE1EEEvT1_,@function
_ZN7rocprim17ROCPRIM_400000_NS6detail17trampoline_kernelINS0_14default_configENS1_20scan_config_selectorItEEZZNS1_9scan_implILNS1_25lookback_scan_determinismE0ELb0ELb0ES3_N6thrust23THRUST_200600_302600_NS6detail15normal_iteratorINS9_10device_ptrItEEEESE_tNS9_4plusIvEEtEEDaPvRmT3_T4_T5_mT6_P12ihipStream_tbENKUlT_T0_E_clISt17integral_constantIbLb0EEST_IbLb1EEEEDaSP_SQ_EUlSP_E0_NS1_11comp_targetILNS1_3genE3ELNS1_11target_archE908ELNS1_3gpuE7ELNS1_3repE0EEENS1_30default_config_static_selectorELNS0_4arch9wavefront6targetE1EEEvT1_: ; @_ZN7rocprim17ROCPRIM_400000_NS6detail17trampoline_kernelINS0_14default_configENS1_20scan_config_selectorItEEZZNS1_9scan_implILNS1_25lookback_scan_determinismE0ELb0ELb0ES3_N6thrust23THRUST_200600_302600_NS6detail15normal_iteratorINS9_10device_ptrItEEEESE_tNS9_4plusIvEEtEEDaPvRmT3_T4_T5_mT6_P12ihipStream_tbENKUlT_T0_E_clISt17integral_constantIbLb0EEST_IbLb1EEEEDaSP_SQ_EUlSP_E0_NS1_11comp_targetILNS1_3genE3ELNS1_11target_archE908ELNS1_3gpuE7ELNS1_3repE0EEENS1_30default_config_static_selectorELNS0_4arch9wavefront6targetE1EEEvT1_
; %bb.0:
	.section	.rodata,"a",@progbits
	.p2align	6, 0x0
	.amdhsa_kernel _ZN7rocprim17ROCPRIM_400000_NS6detail17trampoline_kernelINS0_14default_configENS1_20scan_config_selectorItEEZZNS1_9scan_implILNS1_25lookback_scan_determinismE0ELb0ELb0ES3_N6thrust23THRUST_200600_302600_NS6detail15normal_iteratorINS9_10device_ptrItEEEESE_tNS9_4plusIvEEtEEDaPvRmT3_T4_T5_mT6_P12ihipStream_tbENKUlT_T0_E_clISt17integral_constantIbLb0EEST_IbLb1EEEEDaSP_SQ_EUlSP_E0_NS1_11comp_targetILNS1_3genE3ELNS1_11target_archE908ELNS1_3gpuE7ELNS1_3repE0EEENS1_30default_config_static_selectorELNS0_4arch9wavefront6targetE1EEEvT1_
		.amdhsa_group_segment_fixed_size 0
		.amdhsa_private_segment_fixed_size 0
		.amdhsa_kernarg_size 32
		.amdhsa_user_sgpr_count 6
		.amdhsa_user_sgpr_private_segment_buffer 1
		.amdhsa_user_sgpr_dispatch_ptr 0
		.amdhsa_user_sgpr_queue_ptr 0
		.amdhsa_user_sgpr_kernarg_segment_ptr 1
		.amdhsa_user_sgpr_dispatch_id 0
		.amdhsa_user_sgpr_flat_scratch_init 0
		.amdhsa_user_sgpr_kernarg_preload_length 0
		.amdhsa_user_sgpr_kernarg_preload_offset 0
		.amdhsa_user_sgpr_private_segment_size 0
		.amdhsa_uses_dynamic_stack 0
		.amdhsa_system_sgpr_private_segment_wavefront_offset 0
		.amdhsa_system_sgpr_workgroup_id_x 1
		.amdhsa_system_sgpr_workgroup_id_y 0
		.amdhsa_system_sgpr_workgroup_id_z 0
		.amdhsa_system_sgpr_workgroup_info 0
		.amdhsa_system_vgpr_workitem_id 0
		.amdhsa_next_free_vgpr 1
		.amdhsa_next_free_sgpr 0
		.amdhsa_accum_offset 4
		.amdhsa_reserve_vcc 0
		.amdhsa_reserve_flat_scratch 0
		.amdhsa_float_round_mode_32 0
		.amdhsa_float_round_mode_16_64 0
		.amdhsa_float_denorm_mode_32 3
		.amdhsa_float_denorm_mode_16_64 3
		.amdhsa_dx10_clamp 1
		.amdhsa_ieee_mode 1
		.amdhsa_fp16_overflow 0
		.amdhsa_tg_split 0
		.amdhsa_exception_fp_ieee_invalid_op 0
		.amdhsa_exception_fp_denorm_src 0
		.amdhsa_exception_fp_ieee_div_zero 0
		.amdhsa_exception_fp_ieee_overflow 0
		.amdhsa_exception_fp_ieee_underflow 0
		.amdhsa_exception_fp_ieee_inexact 0
		.amdhsa_exception_int_div_zero 0
	.end_amdhsa_kernel
	.section	.text._ZN7rocprim17ROCPRIM_400000_NS6detail17trampoline_kernelINS0_14default_configENS1_20scan_config_selectorItEEZZNS1_9scan_implILNS1_25lookback_scan_determinismE0ELb0ELb0ES3_N6thrust23THRUST_200600_302600_NS6detail15normal_iteratorINS9_10device_ptrItEEEESE_tNS9_4plusIvEEtEEDaPvRmT3_T4_T5_mT6_P12ihipStream_tbENKUlT_T0_E_clISt17integral_constantIbLb0EEST_IbLb1EEEEDaSP_SQ_EUlSP_E0_NS1_11comp_targetILNS1_3genE3ELNS1_11target_archE908ELNS1_3gpuE7ELNS1_3repE0EEENS1_30default_config_static_selectorELNS0_4arch9wavefront6targetE1EEEvT1_,"axG",@progbits,_ZN7rocprim17ROCPRIM_400000_NS6detail17trampoline_kernelINS0_14default_configENS1_20scan_config_selectorItEEZZNS1_9scan_implILNS1_25lookback_scan_determinismE0ELb0ELb0ES3_N6thrust23THRUST_200600_302600_NS6detail15normal_iteratorINS9_10device_ptrItEEEESE_tNS9_4plusIvEEtEEDaPvRmT3_T4_T5_mT6_P12ihipStream_tbENKUlT_T0_E_clISt17integral_constantIbLb0EEST_IbLb1EEEEDaSP_SQ_EUlSP_E0_NS1_11comp_targetILNS1_3genE3ELNS1_11target_archE908ELNS1_3gpuE7ELNS1_3repE0EEENS1_30default_config_static_selectorELNS0_4arch9wavefront6targetE1EEEvT1_,comdat
.Lfunc_end4784:
	.size	_ZN7rocprim17ROCPRIM_400000_NS6detail17trampoline_kernelINS0_14default_configENS1_20scan_config_selectorItEEZZNS1_9scan_implILNS1_25lookback_scan_determinismE0ELb0ELb0ES3_N6thrust23THRUST_200600_302600_NS6detail15normal_iteratorINS9_10device_ptrItEEEESE_tNS9_4plusIvEEtEEDaPvRmT3_T4_T5_mT6_P12ihipStream_tbENKUlT_T0_E_clISt17integral_constantIbLb0EEST_IbLb1EEEEDaSP_SQ_EUlSP_E0_NS1_11comp_targetILNS1_3genE3ELNS1_11target_archE908ELNS1_3gpuE7ELNS1_3repE0EEENS1_30default_config_static_selectorELNS0_4arch9wavefront6targetE1EEEvT1_, .Lfunc_end4784-_ZN7rocprim17ROCPRIM_400000_NS6detail17trampoline_kernelINS0_14default_configENS1_20scan_config_selectorItEEZZNS1_9scan_implILNS1_25lookback_scan_determinismE0ELb0ELb0ES3_N6thrust23THRUST_200600_302600_NS6detail15normal_iteratorINS9_10device_ptrItEEEESE_tNS9_4plusIvEEtEEDaPvRmT3_T4_T5_mT6_P12ihipStream_tbENKUlT_T0_E_clISt17integral_constantIbLb0EEST_IbLb1EEEEDaSP_SQ_EUlSP_E0_NS1_11comp_targetILNS1_3genE3ELNS1_11target_archE908ELNS1_3gpuE7ELNS1_3repE0EEENS1_30default_config_static_selectorELNS0_4arch9wavefront6targetE1EEEvT1_
                                        ; -- End function
	.section	.AMDGPU.csdata,"",@progbits
; Kernel info:
; codeLenInByte = 0
; NumSgprs: 4
; NumVgprs: 0
; NumAgprs: 0
; TotalNumVgprs: 0
; ScratchSize: 0
; MemoryBound: 0
; FloatMode: 240
; IeeeMode: 1
; LDSByteSize: 0 bytes/workgroup (compile time only)
; SGPRBlocks: 0
; VGPRBlocks: 0
; NumSGPRsForWavesPerEU: 4
; NumVGPRsForWavesPerEU: 1
; AccumOffset: 4
; Occupancy: 8
; WaveLimiterHint : 0
; COMPUTE_PGM_RSRC2:SCRATCH_EN: 0
; COMPUTE_PGM_RSRC2:USER_SGPR: 6
; COMPUTE_PGM_RSRC2:TRAP_HANDLER: 0
; COMPUTE_PGM_RSRC2:TGID_X_EN: 1
; COMPUTE_PGM_RSRC2:TGID_Y_EN: 0
; COMPUTE_PGM_RSRC2:TGID_Z_EN: 0
; COMPUTE_PGM_RSRC2:TIDIG_COMP_CNT: 0
; COMPUTE_PGM_RSRC3_GFX90A:ACCUM_OFFSET: 0
; COMPUTE_PGM_RSRC3_GFX90A:TG_SPLIT: 0
	.section	.text._ZN7rocprim17ROCPRIM_400000_NS6detail17trampoline_kernelINS0_14default_configENS1_20scan_config_selectorItEEZZNS1_9scan_implILNS1_25lookback_scan_determinismE0ELb0ELb0ES3_N6thrust23THRUST_200600_302600_NS6detail15normal_iteratorINS9_10device_ptrItEEEESE_tNS9_4plusIvEEtEEDaPvRmT3_T4_T5_mT6_P12ihipStream_tbENKUlT_T0_E_clISt17integral_constantIbLb0EEST_IbLb1EEEEDaSP_SQ_EUlSP_E0_NS1_11comp_targetILNS1_3genE2ELNS1_11target_archE906ELNS1_3gpuE6ELNS1_3repE0EEENS1_30default_config_static_selectorELNS0_4arch9wavefront6targetE1EEEvT1_,"axG",@progbits,_ZN7rocprim17ROCPRIM_400000_NS6detail17trampoline_kernelINS0_14default_configENS1_20scan_config_selectorItEEZZNS1_9scan_implILNS1_25lookback_scan_determinismE0ELb0ELb0ES3_N6thrust23THRUST_200600_302600_NS6detail15normal_iteratorINS9_10device_ptrItEEEESE_tNS9_4plusIvEEtEEDaPvRmT3_T4_T5_mT6_P12ihipStream_tbENKUlT_T0_E_clISt17integral_constantIbLb0EEST_IbLb1EEEEDaSP_SQ_EUlSP_E0_NS1_11comp_targetILNS1_3genE2ELNS1_11target_archE906ELNS1_3gpuE6ELNS1_3repE0EEENS1_30default_config_static_selectorELNS0_4arch9wavefront6targetE1EEEvT1_,comdat
	.protected	_ZN7rocprim17ROCPRIM_400000_NS6detail17trampoline_kernelINS0_14default_configENS1_20scan_config_selectorItEEZZNS1_9scan_implILNS1_25lookback_scan_determinismE0ELb0ELb0ES3_N6thrust23THRUST_200600_302600_NS6detail15normal_iteratorINS9_10device_ptrItEEEESE_tNS9_4plusIvEEtEEDaPvRmT3_T4_T5_mT6_P12ihipStream_tbENKUlT_T0_E_clISt17integral_constantIbLb0EEST_IbLb1EEEEDaSP_SQ_EUlSP_E0_NS1_11comp_targetILNS1_3genE2ELNS1_11target_archE906ELNS1_3gpuE6ELNS1_3repE0EEENS1_30default_config_static_selectorELNS0_4arch9wavefront6targetE1EEEvT1_ ; -- Begin function _ZN7rocprim17ROCPRIM_400000_NS6detail17trampoline_kernelINS0_14default_configENS1_20scan_config_selectorItEEZZNS1_9scan_implILNS1_25lookback_scan_determinismE0ELb0ELb0ES3_N6thrust23THRUST_200600_302600_NS6detail15normal_iteratorINS9_10device_ptrItEEEESE_tNS9_4plusIvEEtEEDaPvRmT3_T4_T5_mT6_P12ihipStream_tbENKUlT_T0_E_clISt17integral_constantIbLb0EEST_IbLb1EEEEDaSP_SQ_EUlSP_E0_NS1_11comp_targetILNS1_3genE2ELNS1_11target_archE906ELNS1_3gpuE6ELNS1_3repE0EEENS1_30default_config_static_selectorELNS0_4arch9wavefront6targetE1EEEvT1_
	.globl	_ZN7rocprim17ROCPRIM_400000_NS6detail17trampoline_kernelINS0_14default_configENS1_20scan_config_selectorItEEZZNS1_9scan_implILNS1_25lookback_scan_determinismE0ELb0ELb0ES3_N6thrust23THRUST_200600_302600_NS6detail15normal_iteratorINS9_10device_ptrItEEEESE_tNS9_4plusIvEEtEEDaPvRmT3_T4_T5_mT6_P12ihipStream_tbENKUlT_T0_E_clISt17integral_constantIbLb0EEST_IbLb1EEEEDaSP_SQ_EUlSP_E0_NS1_11comp_targetILNS1_3genE2ELNS1_11target_archE906ELNS1_3gpuE6ELNS1_3repE0EEENS1_30default_config_static_selectorELNS0_4arch9wavefront6targetE1EEEvT1_
	.p2align	8
	.type	_ZN7rocprim17ROCPRIM_400000_NS6detail17trampoline_kernelINS0_14default_configENS1_20scan_config_selectorItEEZZNS1_9scan_implILNS1_25lookback_scan_determinismE0ELb0ELb0ES3_N6thrust23THRUST_200600_302600_NS6detail15normal_iteratorINS9_10device_ptrItEEEESE_tNS9_4plusIvEEtEEDaPvRmT3_T4_T5_mT6_P12ihipStream_tbENKUlT_T0_E_clISt17integral_constantIbLb0EEST_IbLb1EEEEDaSP_SQ_EUlSP_E0_NS1_11comp_targetILNS1_3genE2ELNS1_11target_archE906ELNS1_3gpuE6ELNS1_3repE0EEENS1_30default_config_static_selectorELNS0_4arch9wavefront6targetE1EEEvT1_,@function
_ZN7rocprim17ROCPRIM_400000_NS6detail17trampoline_kernelINS0_14default_configENS1_20scan_config_selectorItEEZZNS1_9scan_implILNS1_25lookback_scan_determinismE0ELb0ELb0ES3_N6thrust23THRUST_200600_302600_NS6detail15normal_iteratorINS9_10device_ptrItEEEESE_tNS9_4plusIvEEtEEDaPvRmT3_T4_T5_mT6_P12ihipStream_tbENKUlT_T0_E_clISt17integral_constantIbLb0EEST_IbLb1EEEEDaSP_SQ_EUlSP_E0_NS1_11comp_targetILNS1_3genE2ELNS1_11target_archE906ELNS1_3gpuE6ELNS1_3repE0EEENS1_30default_config_static_selectorELNS0_4arch9wavefront6targetE1EEEvT1_: ; @_ZN7rocprim17ROCPRIM_400000_NS6detail17trampoline_kernelINS0_14default_configENS1_20scan_config_selectorItEEZZNS1_9scan_implILNS1_25lookback_scan_determinismE0ELb0ELb0ES3_N6thrust23THRUST_200600_302600_NS6detail15normal_iteratorINS9_10device_ptrItEEEESE_tNS9_4plusIvEEtEEDaPvRmT3_T4_T5_mT6_P12ihipStream_tbENKUlT_T0_E_clISt17integral_constantIbLb0EEST_IbLb1EEEEDaSP_SQ_EUlSP_E0_NS1_11comp_targetILNS1_3genE2ELNS1_11target_archE906ELNS1_3gpuE6ELNS1_3repE0EEENS1_30default_config_static_selectorELNS0_4arch9wavefront6targetE1EEEvT1_
; %bb.0:
	.section	.rodata,"a",@progbits
	.p2align	6, 0x0
	.amdhsa_kernel _ZN7rocprim17ROCPRIM_400000_NS6detail17trampoline_kernelINS0_14default_configENS1_20scan_config_selectorItEEZZNS1_9scan_implILNS1_25lookback_scan_determinismE0ELb0ELb0ES3_N6thrust23THRUST_200600_302600_NS6detail15normal_iteratorINS9_10device_ptrItEEEESE_tNS9_4plusIvEEtEEDaPvRmT3_T4_T5_mT6_P12ihipStream_tbENKUlT_T0_E_clISt17integral_constantIbLb0EEST_IbLb1EEEEDaSP_SQ_EUlSP_E0_NS1_11comp_targetILNS1_3genE2ELNS1_11target_archE906ELNS1_3gpuE6ELNS1_3repE0EEENS1_30default_config_static_selectorELNS0_4arch9wavefront6targetE1EEEvT1_
		.amdhsa_group_segment_fixed_size 0
		.amdhsa_private_segment_fixed_size 0
		.amdhsa_kernarg_size 32
		.amdhsa_user_sgpr_count 6
		.amdhsa_user_sgpr_private_segment_buffer 1
		.amdhsa_user_sgpr_dispatch_ptr 0
		.amdhsa_user_sgpr_queue_ptr 0
		.amdhsa_user_sgpr_kernarg_segment_ptr 1
		.amdhsa_user_sgpr_dispatch_id 0
		.amdhsa_user_sgpr_flat_scratch_init 0
		.amdhsa_user_sgpr_kernarg_preload_length 0
		.amdhsa_user_sgpr_kernarg_preload_offset 0
		.amdhsa_user_sgpr_private_segment_size 0
		.amdhsa_uses_dynamic_stack 0
		.amdhsa_system_sgpr_private_segment_wavefront_offset 0
		.amdhsa_system_sgpr_workgroup_id_x 1
		.amdhsa_system_sgpr_workgroup_id_y 0
		.amdhsa_system_sgpr_workgroup_id_z 0
		.amdhsa_system_sgpr_workgroup_info 0
		.amdhsa_system_vgpr_workitem_id 0
		.amdhsa_next_free_vgpr 1
		.amdhsa_next_free_sgpr 0
		.amdhsa_accum_offset 4
		.amdhsa_reserve_vcc 0
		.amdhsa_reserve_flat_scratch 0
		.amdhsa_float_round_mode_32 0
		.amdhsa_float_round_mode_16_64 0
		.amdhsa_float_denorm_mode_32 3
		.amdhsa_float_denorm_mode_16_64 3
		.amdhsa_dx10_clamp 1
		.amdhsa_ieee_mode 1
		.amdhsa_fp16_overflow 0
		.amdhsa_tg_split 0
		.amdhsa_exception_fp_ieee_invalid_op 0
		.amdhsa_exception_fp_denorm_src 0
		.amdhsa_exception_fp_ieee_div_zero 0
		.amdhsa_exception_fp_ieee_overflow 0
		.amdhsa_exception_fp_ieee_underflow 0
		.amdhsa_exception_fp_ieee_inexact 0
		.amdhsa_exception_int_div_zero 0
	.end_amdhsa_kernel
	.section	.text._ZN7rocprim17ROCPRIM_400000_NS6detail17trampoline_kernelINS0_14default_configENS1_20scan_config_selectorItEEZZNS1_9scan_implILNS1_25lookback_scan_determinismE0ELb0ELb0ES3_N6thrust23THRUST_200600_302600_NS6detail15normal_iteratorINS9_10device_ptrItEEEESE_tNS9_4plusIvEEtEEDaPvRmT3_T4_T5_mT6_P12ihipStream_tbENKUlT_T0_E_clISt17integral_constantIbLb0EEST_IbLb1EEEEDaSP_SQ_EUlSP_E0_NS1_11comp_targetILNS1_3genE2ELNS1_11target_archE906ELNS1_3gpuE6ELNS1_3repE0EEENS1_30default_config_static_selectorELNS0_4arch9wavefront6targetE1EEEvT1_,"axG",@progbits,_ZN7rocprim17ROCPRIM_400000_NS6detail17trampoline_kernelINS0_14default_configENS1_20scan_config_selectorItEEZZNS1_9scan_implILNS1_25lookback_scan_determinismE0ELb0ELb0ES3_N6thrust23THRUST_200600_302600_NS6detail15normal_iteratorINS9_10device_ptrItEEEESE_tNS9_4plusIvEEtEEDaPvRmT3_T4_T5_mT6_P12ihipStream_tbENKUlT_T0_E_clISt17integral_constantIbLb0EEST_IbLb1EEEEDaSP_SQ_EUlSP_E0_NS1_11comp_targetILNS1_3genE2ELNS1_11target_archE906ELNS1_3gpuE6ELNS1_3repE0EEENS1_30default_config_static_selectorELNS0_4arch9wavefront6targetE1EEEvT1_,comdat
.Lfunc_end4785:
	.size	_ZN7rocprim17ROCPRIM_400000_NS6detail17trampoline_kernelINS0_14default_configENS1_20scan_config_selectorItEEZZNS1_9scan_implILNS1_25lookback_scan_determinismE0ELb0ELb0ES3_N6thrust23THRUST_200600_302600_NS6detail15normal_iteratorINS9_10device_ptrItEEEESE_tNS9_4plusIvEEtEEDaPvRmT3_T4_T5_mT6_P12ihipStream_tbENKUlT_T0_E_clISt17integral_constantIbLb0EEST_IbLb1EEEEDaSP_SQ_EUlSP_E0_NS1_11comp_targetILNS1_3genE2ELNS1_11target_archE906ELNS1_3gpuE6ELNS1_3repE0EEENS1_30default_config_static_selectorELNS0_4arch9wavefront6targetE1EEEvT1_, .Lfunc_end4785-_ZN7rocprim17ROCPRIM_400000_NS6detail17trampoline_kernelINS0_14default_configENS1_20scan_config_selectorItEEZZNS1_9scan_implILNS1_25lookback_scan_determinismE0ELb0ELb0ES3_N6thrust23THRUST_200600_302600_NS6detail15normal_iteratorINS9_10device_ptrItEEEESE_tNS9_4plusIvEEtEEDaPvRmT3_T4_T5_mT6_P12ihipStream_tbENKUlT_T0_E_clISt17integral_constantIbLb0EEST_IbLb1EEEEDaSP_SQ_EUlSP_E0_NS1_11comp_targetILNS1_3genE2ELNS1_11target_archE906ELNS1_3gpuE6ELNS1_3repE0EEENS1_30default_config_static_selectorELNS0_4arch9wavefront6targetE1EEEvT1_
                                        ; -- End function
	.section	.AMDGPU.csdata,"",@progbits
; Kernel info:
; codeLenInByte = 0
; NumSgprs: 4
; NumVgprs: 0
; NumAgprs: 0
; TotalNumVgprs: 0
; ScratchSize: 0
; MemoryBound: 0
; FloatMode: 240
; IeeeMode: 1
; LDSByteSize: 0 bytes/workgroup (compile time only)
; SGPRBlocks: 0
; VGPRBlocks: 0
; NumSGPRsForWavesPerEU: 4
; NumVGPRsForWavesPerEU: 1
; AccumOffset: 4
; Occupancy: 8
; WaveLimiterHint : 0
; COMPUTE_PGM_RSRC2:SCRATCH_EN: 0
; COMPUTE_PGM_RSRC2:USER_SGPR: 6
; COMPUTE_PGM_RSRC2:TRAP_HANDLER: 0
; COMPUTE_PGM_RSRC2:TGID_X_EN: 1
; COMPUTE_PGM_RSRC2:TGID_Y_EN: 0
; COMPUTE_PGM_RSRC2:TGID_Z_EN: 0
; COMPUTE_PGM_RSRC2:TIDIG_COMP_CNT: 0
; COMPUTE_PGM_RSRC3_GFX90A:ACCUM_OFFSET: 0
; COMPUTE_PGM_RSRC3_GFX90A:TG_SPLIT: 0
	.section	.text._ZN7rocprim17ROCPRIM_400000_NS6detail17trampoline_kernelINS0_14default_configENS1_20scan_config_selectorItEEZZNS1_9scan_implILNS1_25lookback_scan_determinismE0ELb0ELb0ES3_N6thrust23THRUST_200600_302600_NS6detail15normal_iteratorINS9_10device_ptrItEEEESE_tNS9_4plusIvEEtEEDaPvRmT3_T4_T5_mT6_P12ihipStream_tbENKUlT_T0_E_clISt17integral_constantIbLb0EEST_IbLb1EEEEDaSP_SQ_EUlSP_E0_NS1_11comp_targetILNS1_3genE10ELNS1_11target_archE1201ELNS1_3gpuE5ELNS1_3repE0EEENS1_30default_config_static_selectorELNS0_4arch9wavefront6targetE1EEEvT1_,"axG",@progbits,_ZN7rocprim17ROCPRIM_400000_NS6detail17trampoline_kernelINS0_14default_configENS1_20scan_config_selectorItEEZZNS1_9scan_implILNS1_25lookback_scan_determinismE0ELb0ELb0ES3_N6thrust23THRUST_200600_302600_NS6detail15normal_iteratorINS9_10device_ptrItEEEESE_tNS9_4plusIvEEtEEDaPvRmT3_T4_T5_mT6_P12ihipStream_tbENKUlT_T0_E_clISt17integral_constantIbLb0EEST_IbLb1EEEEDaSP_SQ_EUlSP_E0_NS1_11comp_targetILNS1_3genE10ELNS1_11target_archE1201ELNS1_3gpuE5ELNS1_3repE0EEENS1_30default_config_static_selectorELNS0_4arch9wavefront6targetE1EEEvT1_,comdat
	.protected	_ZN7rocprim17ROCPRIM_400000_NS6detail17trampoline_kernelINS0_14default_configENS1_20scan_config_selectorItEEZZNS1_9scan_implILNS1_25lookback_scan_determinismE0ELb0ELb0ES3_N6thrust23THRUST_200600_302600_NS6detail15normal_iteratorINS9_10device_ptrItEEEESE_tNS9_4plusIvEEtEEDaPvRmT3_T4_T5_mT6_P12ihipStream_tbENKUlT_T0_E_clISt17integral_constantIbLb0EEST_IbLb1EEEEDaSP_SQ_EUlSP_E0_NS1_11comp_targetILNS1_3genE10ELNS1_11target_archE1201ELNS1_3gpuE5ELNS1_3repE0EEENS1_30default_config_static_selectorELNS0_4arch9wavefront6targetE1EEEvT1_ ; -- Begin function _ZN7rocprim17ROCPRIM_400000_NS6detail17trampoline_kernelINS0_14default_configENS1_20scan_config_selectorItEEZZNS1_9scan_implILNS1_25lookback_scan_determinismE0ELb0ELb0ES3_N6thrust23THRUST_200600_302600_NS6detail15normal_iteratorINS9_10device_ptrItEEEESE_tNS9_4plusIvEEtEEDaPvRmT3_T4_T5_mT6_P12ihipStream_tbENKUlT_T0_E_clISt17integral_constantIbLb0EEST_IbLb1EEEEDaSP_SQ_EUlSP_E0_NS1_11comp_targetILNS1_3genE10ELNS1_11target_archE1201ELNS1_3gpuE5ELNS1_3repE0EEENS1_30default_config_static_selectorELNS0_4arch9wavefront6targetE1EEEvT1_
	.globl	_ZN7rocprim17ROCPRIM_400000_NS6detail17trampoline_kernelINS0_14default_configENS1_20scan_config_selectorItEEZZNS1_9scan_implILNS1_25lookback_scan_determinismE0ELb0ELb0ES3_N6thrust23THRUST_200600_302600_NS6detail15normal_iteratorINS9_10device_ptrItEEEESE_tNS9_4plusIvEEtEEDaPvRmT3_T4_T5_mT6_P12ihipStream_tbENKUlT_T0_E_clISt17integral_constantIbLb0EEST_IbLb1EEEEDaSP_SQ_EUlSP_E0_NS1_11comp_targetILNS1_3genE10ELNS1_11target_archE1201ELNS1_3gpuE5ELNS1_3repE0EEENS1_30default_config_static_selectorELNS0_4arch9wavefront6targetE1EEEvT1_
	.p2align	8
	.type	_ZN7rocprim17ROCPRIM_400000_NS6detail17trampoline_kernelINS0_14default_configENS1_20scan_config_selectorItEEZZNS1_9scan_implILNS1_25lookback_scan_determinismE0ELb0ELb0ES3_N6thrust23THRUST_200600_302600_NS6detail15normal_iteratorINS9_10device_ptrItEEEESE_tNS9_4plusIvEEtEEDaPvRmT3_T4_T5_mT6_P12ihipStream_tbENKUlT_T0_E_clISt17integral_constantIbLb0EEST_IbLb1EEEEDaSP_SQ_EUlSP_E0_NS1_11comp_targetILNS1_3genE10ELNS1_11target_archE1201ELNS1_3gpuE5ELNS1_3repE0EEENS1_30default_config_static_selectorELNS0_4arch9wavefront6targetE1EEEvT1_,@function
_ZN7rocprim17ROCPRIM_400000_NS6detail17trampoline_kernelINS0_14default_configENS1_20scan_config_selectorItEEZZNS1_9scan_implILNS1_25lookback_scan_determinismE0ELb0ELb0ES3_N6thrust23THRUST_200600_302600_NS6detail15normal_iteratorINS9_10device_ptrItEEEESE_tNS9_4plusIvEEtEEDaPvRmT3_T4_T5_mT6_P12ihipStream_tbENKUlT_T0_E_clISt17integral_constantIbLb0EEST_IbLb1EEEEDaSP_SQ_EUlSP_E0_NS1_11comp_targetILNS1_3genE10ELNS1_11target_archE1201ELNS1_3gpuE5ELNS1_3repE0EEENS1_30default_config_static_selectorELNS0_4arch9wavefront6targetE1EEEvT1_: ; @_ZN7rocprim17ROCPRIM_400000_NS6detail17trampoline_kernelINS0_14default_configENS1_20scan_config_selectorItEEZZNS1_9scan_implILNS1_25lookback_scan_determinismE0ELb0ELb0ES3_N6thrust23THRUST_200600_302600_NS6detail15normal_iteratorINS9_10device_ptrItEEEESE_tNS9_4plusIvEEtEEDaPvRmT3_T4_T5_mT6_P12ihipStream_tbENKUlT_T0_E_clISt17integral_constantIbLb0EEST_IbLb1EEEEDaSP_SQ_EUlSP_E0_NS1_11comp_targetILNS1_3genE10ELNS1_11target_archE1201ELNS1_3gpuE5ELNS1_3repE0EEENS1_30default_config_static_selectorELNS0_4arch9wavefront6targetE1EEEvT1_
; %bb.0:
	.section	.rodata,"a",@progbits
	.p2align	6, 0x0
	.amdhsa_kernel _ZN7rocprim17ROCPRIM_400000_NS6detail17trampoline_kernelINS0_14default_configENS1_20scan_config_selectorItEEZZNS1_9scan_implILNS1_25lookback_scan_determinismE0ELb0ELb0ES3_N6thrust23THRUST_200600_302600_NS6detail15normal_iteratorINS9_10device_ptrItEEEESE_tNS9_4plusIvEEtEEDaPvRmT3_T4_T5_mT6_P12ihipStream_tbENKUlT_T0_E_clISt17integral_constantIbLb0EEST_IbLb1EEEEDaSP_SQ_EUlSP_E0_NS1_11comp_targetILNS1_3genE10ELNS1_11target_archE1201ELNS1_3gpuE5ELNS1_3repE0EEENS1_30default_config_static_selectorELNS0_4arch9wavefront6targetE1EEEvT1_
		.amdhsa_group_segment_fixed_size 0
		.amdhsa_private_segment_fixed_size 0
		.amdhsa_kernarg_size 32
		.amdhsa_user_sgpr_count 6
		.amdhsa_user_sgpr_private_segment_buffer 1
		.amdhsa_user_sgpr_dispatch_ptr 0
		.amdhsa_user_sgpr_queue_ptr 0
		.amdhsa_user_sgpr_kernarg_segment_ptr 1
		.amdhsa_user_sgpr_dispatch_id 0
		.amdhsa_user_sgpr_flat_scratch_init 0
		.amdhsa_user_sgpr_kernarg_preload_length 0
		.amdhsa_user_sgpr_kernarg_preload_offset 0
		.amdhsa_user_sgpr_private_segment_size 0
		.amdhsa_uses_dynamic_stack 0
		.amdhsa_system_sgpr_private_segment_wavefront_offset 0
		.amdhsa_system_sgpr_workgroup_id_x 1
		.amdhsa_system_sgpr_workgroup_id_y 0
		.amdhsa_system_sgpr_workgroup_id_z 0
		.amdhsa_system_sgpr_workgroup_info 0
		.amdhsa_system_vgpr_workitem_id 0
		.amdhsa_next_free_vgpr 1
		.amdhsa_next_free_sgpr 0
		.amdhsa_accum_offset 4
		.amdhsa_reserve_vcc 0
		.amdhsa_reserve_flat_scratch 0
		.amdhsa_float_round_mode_32 0
		.amdhsa_float_round_mode_16_64 0
		.amdhsa_float_denorm_mode_32 3
		.amdhsa_float_denorm_mode_16_64 3
		.amdhsa_dx10_clamp 1
		.amdhsa_ieee_mode 1
		.amdhsa_fp16_overflow 0
		.amdhsa_tg_split 0
		.amdhsa_exception_fp_ieee_invalid_op 0
		.amdhsa_exception_fp_denorm_src 0
		.amdhsa_exception_fp_ieee_div_zero 0
		.amdhsa_exception_fp_ieee_overflow 0
		.amdhsa_exception_fp_ieee_underflow 0
		.amdhsa_exception_fp_ieee_inexact 0
		.amdhsa_exception_int_div_zero 0
	.end_amdhsa_kernel
	.section	.text._ZN7rocprim17ROCPRIM_400000_NS6detail17trampoline_kernelINS0_14default_configENS1_20scan_config_selectorItEEZZNS1_9scan_implILNS1_25lookback_scan_determinismE0ELb0ELb0ES3_N6thrust23THRUST_200600_302600_NS6detail15normal_iteratorINS9_10device_ptrItEEEESE_tNS9_4plusIvEEtEEDaPvRmT3_T4_T5_mT6_P12ihipStream_tbENKUlT_T0_E_clISt17integral_constantIbLb0EEST_IbLb1EEEEDaSP_SQ_EUlSP_E0_NS1_11comp_targetILNS1_3genE10ELNS1_11target_archE1201ELNS1_3gpuE5ELNS1_3repE0EEENS1_30default_config_static_selectorELNS0_4arch9wavefront6targetE1EEEvT1_,"axG",@progbits,_ZN7rocprim17ROCPRIM_400000_NS6detail17trampoline_kernelINS0_14default_configENS1_20scan_config_selectorItEEZZNS1_9scan_implILNS1_25lookback_scan_determinismE0ELb0ELb0ES3_N6thrust23THRUST_200600_302600_NS6detail15normal_iteratorINS9_10device_ptrItEEEESE_tNS9_4plusIvEEtEEDaPvRmT3_T4_T5_mT6_P12ihipStream_tbENKUlT_T0_E_clISt17integral_constantIbLb0EEST_IbLb1EEEEDaSP_SQ_EUlSP_E0_NS1_11comp_targetILNS1_3genE10ELNS1_11target_archE1201ELNS1_3gpuE5ELNS1_3repE0EEENS1_30default_config_static_selectorELNS0_4arch9wavefront6targetE1EEEvT1_,comdat
.Lfunc_end4786:
	.size	_ZN7rocprim17ROCPRIM_400000_NS6detail17trampoline_kernelINS0_14default_configENS1_20scan_config_selectorItEEZZNS1_9scan_implILNS1_25lookback_scan_determinismE0ELb0ELb0ES3_N6thrust23THRUST_200600_302600_NS6detail15normal_iteratorINS9_10device_ptrItEEEESE_tNS9_4plusIvEEtEEDaPvRmT3_T4_T5_mT6_P12ihipStream_tbENKUlT_T0_E_clISt17integral_constantIbLb0EEST_IbLb1EEEEDaSP_SQ_EUlSP_E0_NS1_11comp_targetILNS1_3genE10ELNS1_11target_archE1201ELNS1_3gpuE5ELNS1_3repE0EEENS1_30default_config_static_selectorELNS0_4arch9wavefront6targetE1EEEvT1_, .Lfunc_end4786-_ZN7rocprim17ROCPRIM_400000_NS6detail17trampoline_kernelINS0_14default_configENS1_20scan_config_selectorItEEZZNS1_9scan_implILNS1_25lookback_scan_determinismE0ELb0ELb0ES3_N6thrust23THRUST_200600_302600_NS6detail15normal_iteratorINS9_10device_ptrItEEEESE_tNS9_4plusIvEEtEEDaPvRmT3_T4_T5_mT6_P12ihipStream_tbENKUlT_T0_E_clISt17integral_constantIbLb0EEST_IbLb1EEEEDaSP_SQ_EUlSP_E0_NS1_11comp_targetILNS1_3genE10ELNS1_11target_archE1201ELNS1_3gpuE5ELNS1_3repE0EEENS1_30default_config_static_selectorELNS0_4arch9wavefront6targetE1EEEvT1_
                                        ; -- End function
	.section	.AMDGPU.csdata,"",@progbits
; Kernel info:
; codeLenInByte = 0
; NumSgprs: 4
; NumVgprs: 0
; NumAgprs: 0
; TotalNumVgprs: 0
; ScratchSize: 0
; MemoryBound: 0
; FloatMode: 240
; IeeeMode: 1
; LDSByteSize: 0 bytes/workgroup (compile time only)
; SGPRBlocks: 0
; VGPRBlocks: 0
; NumSGPRsForWavesPerEU: 4
; NumVGPRsForWavesPerEU: 1
; AccumOffset: 4
; Occupancy: 8
; WaveLimiterHint : 0
; COMPUTE_PGM_RSRC2:SCRATCH_EN: 0
; COMPUTE_PGM_RSRC2:USER_SGPR: 6
; COMPUTE_PGM_RSRC2:TRAP_HANDLER: 0
; COMPUTE_PGM_RSRC2:TGID_X_EN: 1
; COMPUTE_PGM_RSRC2:TGID_Y_EN: 0
; COMPUTE_PGM_RSRC2:TGID_Z_EN: 0
; COMPUTE_PGM_RSRC2:TIDIG_COMP_CNT: 0
; COMPUTE_PGM_RSRC3_GFX90A:ACCUM_OFFSET: 0
; COMPUTE_PGM_RSRC3_GFX90A:TG_SPLIT: 0
	.section	.text._ZN7rocprim17ROCPRIM_400000_NS6detail17trampoline_kernelINS0_14default_configENS1_20scan_config_selectorItEEZZNS1_9scan_implILNS1_25lookback_scan_determinismE0ELb0ELb0ES3_N6thrust23THRUST_200600_302600_NS6detail15normal_iteratorINS9_10device_ptrItEEEESE_tNS9_4plusIvEEtEEDaPvRmT3_T4_T5_mT6_P12ihipStream_tbENKUlT_T0_E_clISt17integral_constantIbLb0EEST_IbLb1EEEEDaSP_SQ_EUlSP_E0_NS1_11comp_targetILNS1_3genE10ELNS1_11target_archE1200ELNS1_3gpuE4ELNS1_3repE0EEENS1_30default_config_static_selectorELNS0_4arch9wavefront6targetE1EEEvT1_,"axG",@progbits,_ZN7rocprim17ROCPRIM_400000_NS6detail17trampoline_kernelINS0_14default_configENS1_20scan_config_selectorItEEZZNS1_9scan_implILNS1_25lookback_scan_determinismE0ELb0ELb0ES3_N6thrust23THRUST_200600_302600_NS6detail15normal_iteratorINS9_10device_ptrItEEEESE_tNS9_4plusIvEEtEEDaPvRmT3_T4_T5_mT6_P12ihipStream_tbENKUlT_T0_E_clISt17integral_constantIbLb0EEST_IbLb1EEEEDaSP_SQ_EUlSP_E0_NS1_11comp_targetILNS1_3genE10ELNS1_11target_archE1200ELNS1_3gpuE4ELNS1_3repE0EEENS1_30default_config_static_selectorELNS0_4arch9wavefront6targetE1EEEvT1_,comdat
	.protected	_ZN7rocprim17ROCPRIM_400000_NS6detail17trampoline_kernelINS0_14default_configENS1_20scan_config_selectorItEEZZNS1_9scan_implILNS1_25lookback_scan_determinismE0ELb0ELb0ES3_N6thrust23THRUST_200600_302600_NS6detail15normal_iteratorINS9_10device_ptrItEEEESE_tNS9_4plusIvEEtEEDaPvRmT3_T4_T5_mT6_P12ihipStream_tbENKUlT_T0_E_clISt17integral_constantIbLb0EEST_IbLb1EEEEDaSP_SQ_EUlSP_E0_NS1_11comp_targetILNS1_3genE10ELNS1_11target_archE1200ELNS1_3gpuE4ELNS1_3repE0EEENS1_30default_config_static_selectorELNS0_4arch9wavefront6targetE1EEEvT1_ ; -- Begin function _ZN7rocprim17ROCPRIM_400000_NS6detail17trampoline_kernelINS0_14default_configENS1_20scan_config_selectorItEEZZNS1_9scan_implILNS1_25lookback_scan_determinismE0ELb0ELb0ES3_N6thrust23THRUST_200600_302600_NS6detail15normal_iteratorINS9_10device_ptrItEEEESE_tNS9_4plusIvEEtEEDaPvRmT3_T4_T5_mT6_P12ihipStream_tbENKUlT_T0_E_clISt17integral_constantIbLb0EEST_IbLb1EEEEDaSP_SQ_EUlSP_E0_NS1_11comp_targetILNS1_3genE10ELNS1_11target_archE1200ELNS1_3gpuE4ELNS1_3repE0EEENS1_30default_config_static_selectorELNS0_4arch9wavefront6targetE1EEEvT1_
	.globl	_ZN7rocprim17ROCPRIM_400000_NS6detail17trampoline_kernelINS0_14default_configENS1_20scan_config_selectorItEEZZNS1_9scan_implILNS1_25lookback_scan_determinismE0ELb0ELb0ES3_N6thrust23THRUST_200600_302600_NS6detail15normal_iteratorINS9_10device_ptrItEEEESE_tNS9_4plusIvEEtEEDaPvRmT3_T4_T5_mT6_P12ihipStream_tbENKUlT_T0_E_clISt17integral_constantIbLb0EEST_IbLb1EEEEDaSP_SQ_EUlSP_E0_NS1_11comp_targetILNS1_3genE10ELNS1_11target_archE1200ELNS1_3gpuE4ELNS1_3repE0EEENS1_30default_config_static_selectorELNS0_4arch9wavefront6targetE1EEEvT1_
	.p2align	8
	.type	_ZN7rocprim17ROCPRIM_400000_NS6detail17trampoline_kernelINS0_14default_configENS1_20scan_config_selectorItEEZZNS1_9scan_implILNS1_25lookback_scan_determinismE0ELb0ELb0ES3_N6thrust23THRUST_200600_302600_NS6detail15normal_iteratorINS9_10device_ptrItEEEESE_tNS9_4plusIvEEtEEDaPvRmT3_T4_T5_mT6_P12ihipStream_tbENKUlT_T0_E_clISt17integral_constantIbLb0EEST_IbLb1EEEEDaSP_SQ_EUlSP_E0_NS1_11comp_targetILNS1_3genE10ELNS1_11target_archE1200ELNS1_3gpuE4ELNS1_3repE0EEENS1_30default_config_static_selectorELNS0_4arch9wavefront6targetE1EEEvT1_,@function
_ZN7rocprim17ROCPRIM_400000_NS6detail17trampoline_kernelINS0_14default_configENS1_20scan_config_selectorItEEZZNS1_9scan_implILNS1_25lookback_scan_determinismE0ELb0ELb0ES3_N6thrust23THRUST_200600_302600_NS6detail15normal_iteratorINS9_10device_ptrItEEEESE_tNS9_4plusIvEEtEEDaPvRmT3_T4_T5_mT6_P12ihipStream_tbENKUlT_T0_E_clISt17integral_constantIbLb0EEST_IbLb1EEEEDaSP_SQ_EUlSP_E0_NS1_11comp_targetILNS1_3genE10ELNS1_11target_archE1200ELNS1_3gpuE4ELNS1_3repE0EEENS1_30default_config_static_selectorELNS0_4arch9wavefront6targetE1EEEvT1_: ; @_ZN7rocprim17ROCPRIM_400000_NS6detail17trampoline_kernelINS0_14default_configENS1_20scan_config_selectorItEEZZNS1_9scan_implILNS1_25lookback_scan_determinismE0ELb0ELb0ES3_N6thrust23THRUST_200600_302600_NS6detail15normal_iteratorINS9_10device_ptrItEEEESE_tNS9_4plusIvEEtEEDaPvRmT3_T4_T5_mT6_P12ihipStream_tbENKUlT_T0_E_clISt17integral_constantIbLb0EEST_IbLb1EEEEDaSP_SQ_EUlSP_E0_NS1_11comp_targetILNS1_3genE10ELNS1_11target_archE1200ELNS1_3gpuE4ELNS1_3repE0EEENS1_30default_config_static_selectorELNS0_4arch9wavefront6targetE1EEEvT1_
; %bb.0:
	.section	.rodata,"a",@progbits
	.p2align	6, 0x0
	.amdhsa_kernel _ZN7rocprim17ROCPRIM_400000_NS6detail17trampoline_kernelINS0_14default_configENS1_20scan_config_selectorItEEZZNS1_9scan_implILNS1_25lookback_scan_determinismE0ELb0ELb0ES3_N6thrust23THRUST_200600_302600_NS6detail15normal_iteratorINS9_10device_ptrItEEEESE_tNS9_4plusIvEEtEEDaPvRmT3_T4_T5_mT6_P12ihipStream_tbENKUlT_T0_E_clISt17integral_constantIbLb0EEST_IbLb1EEEEDaSP_SQ_EUlSP_E0_NS1_11comp_targetILNS1_3genE10ELNS1_11target_archE1200ELNS1_3gpuE4ELNS1_3repE0EEENS1_30default_config_static_selectorELNS0_4arch9wavefront6targetE1EEEvT1_
		.amdhsa_group_segment_fixed_size 0
		.amdhsa_private_segment_fixed_size 0
		.amdhsa_kernarg_size 32
		.amdhsa_user_sgpr_count 6
		.amdhsa_user_sgpr_private_segment_buffer 1
		.amdhsa_user_sgpr_dispatch_ptr 0
		.amdhsa_user_sgpr_queue_ptr 0
		.amdhsa_user_sgpr_kernarg_segment_ptr 1
		.amdhsa_user_sgpr_dispatch_id 0
		.amdhsa_user_sgpr_flat_scratch_init 0
		.amdhsa_user_sgpr_kernarg_preload_length 0
		.amdhsa_user_sgpr_kernarg_preload_offset 0
		.amdhsa_user_sgpr_private_segment_size 0
		.amdhsa_uses_dynamic_stack 0
		.amdhsa_system_sgpr_private_segment_wavefront_offset 0
		.amdhsa_system_sgpr_workgroup_id_x 1
		.amdhsa_system_sgpr_workgroup_id_y 0
		.amdhsa_system_sgpr_workgroup_id_z 0
		.amdhsa_system_sgpr_workgroup_info 0
		.amdhsa_system_vgpr_workitem_id 0
		.amdhsa_next_free_vgpr 1
		.amdhsa_next_free_sgpr 0
		.amdhsa_accum_offset 4
		.amdhsa_reserve_vcc 0
		.amdhsa_reserve_flat_scratch 0
		.amdhsa_float_round_mode_32 0
		.amdhsa_float_round_mode_16_64 0
		.amdhsa_float_denorm_mode_32 3
		.amdhsa_float_denorm_mode_16_64 3
		.amdhsa_dx10_clamp 1
		.amdhsa_ieee_mode 1
		.amdhsa_fp16_overflow 0
		.amdhsa_tg_split 0
		.amdhsa_exception_fp_ieee_invalid_op 0
		.amdhsa_exception_fp_denorm_src 0
		.amdhsa_exception_fp_ieee_div_zero 0
		.amdhsa_exception_fp_ieee_overflow 0
		.amdhsa_exception_fp_ieee_underflow 0
		.amdhsa_exception_fp_ieee_inexact 0
		.amdhsa_exception_int_div_zero 0
	.end_amdhsa_kernel
	.section	.text._ZN7rocprim17ROCPRIM_400000_NS6detail17trampoline_kernelINS0_14default_configENS1_20scan_config_selectorItEEZZNS1_9scan_implILNS1_25lookback_scan_determinismE0ELb0ELb0ES3_N6thrust23THRUST_200600_302600_NS6detail15normal_iteratorINS9_10device_ptrItEEEESE_tNS9_4plusIvEEtEEDaPvRmT3_T4_T5_mT6_P12ihipStream_tbENKUlT_T0_E_clISt17integral_constantIbLb0EEST_IbLb1EEEEDaSP_SQ_EUlSP_E0_NS1_11comp_targetILNS1_3genE10ELNS1_11target_archE1200ELNS1_3gpuE4ELNS1_3repE0EEENS1_30default_config_static_selectorELNS0_4arch9wavefront6targetE1EEEvT1_,"axG",@progbits,_ZN7rocprim17ROCPRIM_400000_NS6detail17trampoline_kernelINS0_14default_configENS1_20scan_config_selectorItEEZZNS1_9scan_implILNS1_25lookback_scan_determinismE0ELb0ELb0ES3_N6thrust23THRUST_200600_302600_NS6detail15normal_iteratorINS9_10device_ptrItEEEESE_tNS9_4plusIvEEtEEDaPvRmT3_T4_T5_mT6_P12ihipStream_tbENKUlT_T0_E_clISt17integral_constantIbLb0EEST_IbLb1EEEEDaSP_SQ_EUlSP_E0_NS1_11comp_targetILNS1_3genE10ELNS1_11target_archE1200ELNS1_3gpuE4ELNS1_3repE0EEENS1_30default_config_static_selectorELNS0_4arch9wavefront6targetE1EEEvT1_,comdat
.Lfunc_end4787:
	.size	_ZN7rocprim17ROCPRIM_400000_NS6detail17trampoline_kernelINS0_14default_configENS1_20scan_config_selectorItEEZZNS1_9scan_implILNS1_25lookback_scan_determinismE0ELb0ELb0ES3_N6thrust23THRUST_200600_302600_NS6detail15normal_iteratorINS9_10device_ptrItEEEESE_tNS9_4plusIvEEtEEDaPvRmT3_T4_T5_mT6_P12ihipStream_tbENKUlT_T0_E_clISt17integral_constantIbLb0EEST_IbLb1EEEEDaSP_SQ_EUlSP_E0_NS1_11comp_targetILNS1_3genE10ELNS1_11target_archE1200ELNS1_3gpuE4ELNS1_3repE0EEENS1_30default_config_static_selectorELNS0_4arch9wavefront6targetE1EEEvT1_, .Lfunc_end4787-_ZN7rocprim17ROCPRIM_400000_NS6detail17trampoline_kernelINS0_14default_configENS1_20scan_config_selectorItEEZZNS1_9scan_implILNS1_25lookback_scan_determinismE0ELb0ELb0ES3_N6thrust23THRUST_200600_302600_NS6detail15normal_iteratorINS9_10device_ptrItEEEESE_tNS9_4plusIvEEtEEDaPvRmT3_T4_T5_mT6_P12ihipStream_tbENKUlT_T0_E_clISt17integral_constantIbLb0EEST_IbLb1EEEEDaSP_SQ_EUlSP_E0_NS1_11comp_targetILNS1_3genE10ELNS1_11target_archE1200ELNS1_3gpuE4ELNS1_3repE0EEENS1_30default_config_static_selectorELNS0_4arch9wavefront6targetE1EEEvT1_
                                        ; -- End function
	.section	.AMDGPU.csdata,"",@progbits
; Kernel info:
; codeLenInByte = 0
; NumSgprs: 4
; NumVgprs: 0
; NumAgprs: 0
; TotalNumVgprs: 0
; ScratchSize: 0
; MemoryBound: 0
; FloatMode: 240
; IeeeMode: 1
; LDSByteSize: 0 bytes/workgroup (compile time only)
; SGPRBlocks: 0
; VGPRBlocks: 0
; NumSGPRsForWavesPerEU: 4
; NumVGPRsForWavesPerEU: 1
; AccumOffset: 4
; Occupancy: 8
; WaveLimiterHint : 0
; COMPUTE_PGM_RSRC2:SCRATCH_EN: 0
; COMPUTE_PGM_RSRC2:USER_SGPR: 6
; COMPUTE_PGM_RSRC2:TRAP_HANDLER: 0
; COMPUTE_PGM_RSRC2:TGID_X_EN: 1
; COMPUTE_PGM_RSRC2:TGID_Y_EN: 0
; COMPUTE_PGM_RSRC2:TGID_Z_EN: 0
; COMPUTE_PGM_RSRC2:TIDIG_COMP_CNT: 0
; COMPUTE_PGM_RSRC3_GFX90A:ACCUM_OFFSET: 0
; COMPUTE_PGM_RSRC3_GFX90A:TG_SPLIT: 0
	.section	.text._ZN7rocprim17ROCPRIM_400000_NS6detail17trampoline_kernelINS0_14default_configENS1_20scan_config_selectorItEEZZNS1_9scan_implILNS1_25lookback_scan_determinismE0ELb0ELb0ES3_N6thrust23THRUST_200600_302600_NS6detail15normal_iteratorINS9_10device_ptrItEEEESE_tNS9_4plusIvEEtEEDaPvRmT3_T4_T5_mT6_P12ihipStream_tbENKUlT_T0_E_clISt17integral_constantIbLb0EEST_IbLb1EEEEDaSP_SQ_EUlSP_E0_NS1_11comp_targetILNS1_3genE9ELNS1_11target_archE1100ELNS1_3gpuE3ELNS1_3repE0EEENS1_30default_config_static_selectorELNS0_4arch9wavefront6targetE1EEEvT1_,"axG",@progbits,_ZN7rocprim17ROCPRIM_400000_NS6detail17trampoline_kernelINS0_14default_configENS1_20scan_config_selectorItEEZZNS1_9scan_implILNS1_25lookback_scan_determinismE0ELb0ELb0ES3_N6thrust23THRUST_200600_302600_NS6detail15normal_iteratorINS9_10device_ptrItEEEESE_tNS9_4plusIvEEtEEDaPvRmT3_T4_T5_mT6_P12ihipStream_tbENKUlT_T0_E_clISt17integral_constantIbLb0EEST_IbLb1EEEEDaSP_SQ_EUlSP_E0_NS1_11comp_targetILNS1_3genE9ELNS1_11target_archE1100ELNS1_3gpuE3ELNS1_3repE0EEENS1_30default_config_static_selectorELNS0_4arch9wavefront6targetE1EEEvT1_,comdat
	.protected	_ZN7rocprim17ROCPRIM_400000_NS6detail17trampoline_kernelINS0_14default_configENS1_20scan_config_selectorItEEZZNS1_9scan_implILNS1_25lookback_scan_determinismE0ELb0ELb0ES3_N6thrust23THRUST_200600_302600_NS6detail15normal_iteratorINS9_10device_ptrItEEEESE_tNS9_4plusIvEEtEEDaPvRmT3_T4_T5_mT6_P12ihipStream_tbENKUlT_T0_E_clISt17integral_constantIbLb0EEST_IbLb1EEEEDaSP_SQ_EUlSP_E0_NS1_11comp_targetILNS1_3genE9ELNS1_11target_archE1100ELNS1_3gpuE3ELNS1_3repE0EEENS1_30default_config_static_selectorELNS0_4arch9wavefront6targetE1EEEvT1_ ; -- Begin function _ZN7rocprim17ROCPRIM_400000_NS6detail17trampoline_kernelINS0_14default_configENS1_20scan_config_selectorItEEZZNS1_9scan_implILNS1_25lookback_scan_determinismE0ELb0ELb0ES3_N6thrust23THRUST_200600_302600_NS6detail15normal_iteratorINS9_10device_ptrItEEEESE_tNS9_4plusIvEEtEEDaPvRmT3_T4_T5_mT6_P12ihipStream_tbENKUlT_T0_E_clISt17integral_constantIbLb0EEST_IbLb1EEEEDaSP_SQ_EUlSP_E0_NS1_11comp_targetILNS1_3genE9ELNS1_11target_archE1100ELNS1_3gpuE3ELNS1_3repE0EEENS1_30default_config_static_selectorELNS0_4arch9wavefront6targetE1EEEvT1_
	.globl	_ZN7rocprim17ROCPRIM_400000_NS6detail17trampoline_kernelINS0_14default_configENS1_20scan_config_selectorItEEZZNS1_9scan_implILNS1_25lookback_scan_determinismE0ELb0ELb0ES3_N6thrust23THRUST_200600_302600_NS6detail15normal_iteratorINS9_10device_ptrItEEEESE_tNS9_4plusIvEEtEEDaPvRmT3_T4_T5_mT6_P12ihipStream_tbENKUlT_T0_E_clISt17integral_constantIbLb0EEST_IbLb1EEEEDaSP_SQ_EUlSP_E0_NS1_11comp_targetILNS1_3genE9ELNS1_11target_archE1100ELNS1_3gpuE3ELNS1_3repE0EEENS1_30default_config_static_selectorELNS0_4arch9wavefront6targetE1EEEvT1_
	.p2align	8
	.type	_ZN7rocprim17ROCPRIM_400000_NS6detail17trampoline_kernelINS0_14default_configENS1_20scan_config_selectorItEEZZNS1_9scan_implILNS1_25lookback_scan_determinismE0ELb0ELb0ES3_N6thrust23THRUST_200600_302600_NS6detail15normal_iteratorINS9_10device_ptrItEEEESE_tNS9_4plusIvEEtEEDaPvRmT3_T4_T5_mT6_P12ihipStream_tbENKUlT_T0_E_clISt17integral_constantIbLb0EEST_IbLb1EEEEDaSP_SQ_EUlSP_E0_NS1_11comp_targetILNS1_3genE9ELNS1_11target_archE1100ELNS1_3gpuE3ELNS1_3repE0EEENS1_30default_config_static_selectorELNS0_4arch9wavefront6targetE1EEEvT1_,@function
_ZN7rocprim17ROCPRIM_400000_NS6detail17trampoline_kernelINS0_14default_configENS1_20scan_config_selectorItEEZZNS1_9scan_implILNS1_25lookback_scan_determinismE0ELb0ELb0ES3_N6thrust23THRUST_200600_302600_NS6detail15normal_iteratorINS9_10device_ptrItEEEESE_tNS9_4plusIvEEtEEDaPvRmT3_T4_T5_mT6_P12ihipStream_tbENKUlT_T0_E_clISt17integral_constantIbLb0EEST_IbLb1EEEEDaSP_SQ_EUlSP_E0_NS1_11comp_targetILNS1_3genE9ELNS1_11target_archE1100ELNS1_3gpuE3ELNS1_3repE0EEENS1_30default_config_static_selectorELNS0_4arch9wavefront6targetE1EEEvT1_: ; @_ZN7rocprim17ROCPRIM_400000_NS6detail17trampoline_kernelINS0_14default_configENS1_20scan_config_selectorItEEZZNS1_9scan_implILNS1_25lookback_scan_determinismE0ELb0ELb0ES3_N6thrust23THRUST_200600_302600_NS6detail15normal_iteratorINS9_10device_ptrItEEEESE_tNS9_4plusIvEEtEEDaPvRmT3_T4_T5_mT6_P12ihipStream_tbENKUlT_T0_E_clISt17integral_constantIbLb0EEST_IbLb1EEEEDaSP_SQ_EUlSP_E0_NS1_11comp_targetILNS1_3genE9ELNS1_11target_archE1100ELNS1_3gpuE3ELNS1_3repE0EEENS1_30default_config_static_selectorELNS0_4arch9wavefront6targetE1EEEvT1_
; %bb.0:
	.section	.rodata,"a",@progbits
	.p2align	6, 0x0
	.amdhsa_kernel _ZN7rocprim17ROCPRIM_400000_NS6detail17trampoline_kernelINS0_14default_configENS1_20scan_config_selectorItEEZZNS1_9scan_implILNS1_25lookback_scan_determinismE0ELb0ELb0ES3_N6thrust23THRUST_200600_302600_NS6detail15normal_iteratorINS9_10device_ptrItEEEESE_tNS9_4plusIvEEtEEDaPvRmT3_T4_T5_mT6_P12ihipStream_tbENKUlT_T0_E_clISt17integral_constantIbLb0EEST_IbLb1EEEEDaSP_SQ_EUlSP_E0_NS1_11comp_targetILNS1_3genE9ELNS1_11target_archE1100ELNS1_3gpuE3ELNS1_3repE0EEENS1_30default_config_static_selectorELNS0_4arch9wavefront6targetE1EEEvT1_
		.amdhsa_group_segment_fixed_size 0
		.amdhsa_private_segment_fixed_size 0
		.amdhsa_kernarg_size 32
		.amdhsa_user_sgpr_count 6
		.amdhsa_user_sgpr_private_segment_buffer 1
		.amdhsa_user_sgpr_dispatch_ptr 0
		.amdhsa_user_sgpr_queue_ptr 0
		.amdhsa_user_sgpr_kernarg_segment_ptr 1
		.amdhsa_user_sgpr_dispatch_id 0
		.amdhsa_user_sgpr_flat_scratch_init 0
		.amdhsa_user_sgpr_kernarg_preload_length 0
		.amdhsa_user_sgpr_kernarg_preload_offset 0
		.amdhsa_user_sgpr_private_segment_size 0
		.amdhsa_uses_dynamic_stack 0
		.amdhsa_system_sgpr_private_segment_wavefront_offset 0
		.amdhsa_system_sgpr_workgroup_id_x 1
		.amdhsa_system_sgpr_workgroup_id_y 0
		.amdhsa_system_sgpr_workgroup_id_z 0
		.amdhsa_system_sgpr_workgroup_info 0
		.amdhsa_system_vgpr_workitem_id 0
		.amdhsa_next_free_vgpr 1
		.amdhsa_next_free_sgpr 0
		.amdhsa_accum_offset 4
		.amdhsa_reserve_vcc 0
		.amdhsa_reserve_flat_scratch 0
		.amdhsa_float_round_mode_32 0
		.amdhsa_float_round_mode_16_64 0
		.amdhsa_float_denorm_mode_32 3
		.amdhsa_float_denorm_mode_16_64 3
		.amdhsa_dx10_clamp 1
		.amdhsa_ieee_mode 1
		.amdhsa_fp16_overflow 0
		.amdhsa_tg_split 0
		.amdhsa_exception_fp_ieee_invalid_op 0
		.amdhsa_exception_fp_denorm_src 0
		.amdhsa_exception_fp_ieee_div_zero 0
		.amdhsa_exception_fp_ieee_overflow 0
		.amdhsa_exception_fp_ieee_underflow 0
		.amdhsa_exception_fp_ieee_inexact 0
		.amdhsa_exception_int_div_zero 0
	.end_amdhsa_kernel
	.section	.text._ZN7rocprim17ROCPRIM_400000_NS6detail17trampoline_kernelINS0_14default_configENS1_20scan_config_selectorItEEZZNS1_9scan_implILNS1_25lookback_scan_determinismE0ELb0ELb0ES3_N6thrust23THRUST_200600_302600_NS6detail15normal_iteratorINS9_10device_ptrItEEEESE_tNS9_4plusIvEEtEEDaPvRmT3_T4_T5_mT6_P12ihipStream_tbENKUlT_T0_E_clISt17integral_constantIbLb0EEST_IbLb1EEEEDaSP_SQ_EUlSP_E0_NS1_11comp_targetILNS1_3genE9ELNS1_11target_archE1100ELNS1_3gpuE3ELNS1_3repE0EEENS1_30default_config_static_selectorELNS0_4arch9wavefront6targetE1EEEvT1_,"axG",@progbits,_ZN7rocprim17ROCPRIM_400000_NS6detail17trampoline_kernelINS0_14default_configENS1_20scan_config_selectorItEEZZNS1_9scan_implILNS1_25lookback_scan_determinismE0ELb0ELb0ES3_N6thrust23THRUST_200600_302600_NS6detail15normal_iteratorINS9_10device_ptrItEEEESE_tNS9_4plusIvEEtEEDaPvRmT3_T4_T5_mT6_P12ihipStream_tbENKUlT_T0_E_clISt17integral_constantIbLb0EEST_IbLb1EEEEDaSP_SQ_EUlSP_E0_NS1_11comp_targetILNS1_3genE9ELNS1_11target_archE1100ELNS1_3gpuE3ELNS1_3repE0EEENS1_30default_config_static_selectorELNS0_4arch9wavefront6targetE1EEEvT1_,comdat
.Lfunc_end4788:
	.size	_ZN7rocprim17ROCPRIM_400000_NS6detail17trampoline_kernelINS0_14default_configENS1_20scan_config_selectorItEEZZNS1_9scan_implILNS1_25lookback_scan_determinismE0ELb0ELb0ES3_N6thrust23THRUST_200600_302600_NS6detail15normal_iteratorINS9_10device_ptrItEEEESE_tNS9_4plusIvEEtEEDaPvRmT3_T4_T5_mT6_P12ihipStream_tbENKUlT_T0_E_clISt17integral_constantIbLb0EEST_IbLb1EEEEDaSP_SQ_EUlSP_E0_NS1_11comp_targetILNS1_3genE9ELNS1_11target_archE1100ELNS1_3gpuE3ELNS1_3repE0EEENS1_30default_config_static_selectorELNS0_4arch9wavefront6targetE1EEEvT1_, .Lfunc_end4788-_ZN7rocprim17ROCPRIM_400000_NS6detail17trampoline_kernelINS0_14default_configENS1_20scan_config_selectorItEEZZNS1_9scan_implILNS1_25lookback_scan_determinismE0ELb0ELb0ES3_N6thrust23THRUST_200600_302600_NS6detail15normal_iteratorINS9_10device_ptrItEEEESE_tNS9_4plusIvEEtEEDaPvRmT3_T4_T5_mT6_P12ihipStream_tbENKUlT_T0_E_clISt17integral_constantIbLb0EEST_IbLb1EEEEDaSP_SQ_EUlSP_E0_NS1_11comp_targetILNS1_3genE9ELNS1_11target_archE1100ELNS1_3gpuE3ELNS1_3repE0EEENS1_30default_config_static_selectorELNS0_4arch9wavefront6targetE1EEEvT1_
                                        ; -- End function
	.section	.AMDGPU.csdata,"",@progbits
; Kernel info:
; codeLenInByte = 0
; NumSgprs: 4
; NumVgprs: 0
; NumAgprs: 0
; TotalNumVgprs: 0
; ScratchSize: 0
; MemoryBound: 0
; FloatMode: 240
; IeeeMode: 1
; LDSByteSize: 0 bytes/workgroup (compile time only)
; SGPRBlocks: 0
; VGPRBlocks: 0
; NumSGPRsForWavesPerEU: 4
; NumVGPRsForWavesPerEU: 1
; AccumOffset: 4
; Occupancy: 8
; WaveLimiterHint : 0
; COMPUTE_PGM_RSRC2:SCRATCH_EN: 0
; COMPUTE_PGM_RSRC2:USER_SGPR: 6
; COMPUTE_PGM_RSRC2:TRAP_HANDLER: 0
; COMPUTE_PGM_RSRC2:TGID_X_EN: 1
; COMPUTE_PGM_RSRC2:TGID_Y_EN: 0
; COMPUTE_PGM_RSRC2:TGID_Z_EN: 0
; COMPUTE_PGM_RSRC2:TIDIG_COMP_CNT: 0
; COMPUTE_PGM_RSRC3_GFX90A:ACCUM_OFFSET: 0
; COMPUTE_PGM_RSRC3_GFX90A:TG_SPLIT: 0
	.section	.text._ZN7rocprim17ROCPRIM_400000_NS6detail17trampoline_kernelINS0_14default_configENS1_20scan_config_selectorItEEZZNS1_9scan_implILNS1_25lookback_scan_determinismE0ELb0ELb0ES3_N6thrust23THRUST_200600_302600_NS6detail15normal_iteratorINS9_10device_ptrItEEEESE_tNS9_4plusIvEEtEEDaPvRmT3_T4_T5_mT6_P12ihipStream_tbENKUlT_T0_E_clISt17integral_constantIbLb0EEST_IbLb1EEEEDaSP_SQ_EUlSP_E0_NS1_11comp_targetILNS1_3genE8ELNS1_11target_archE1030ELNS1_3gpuE2ELNS1_3repE0EEENS1_30default_config_static_selectorELNS0_4arch9wavefront6targetE1EEEvT1_,"axG",@progbits,_ZN7rocprim17ROCPRIM_400000_NS6detail17trampoline_kernelINS0_14default_configENS1_20scan_config_selectorItEEZZNS1_9scan_implILNS1_25lookback_scan_determinismE0ELb0ELb0ES3_N6thrust23THRUST_200600_302600_NS6detail15normal_iteratorINS9_10device_ptrItEEEESE_tNS9_4plusIvEEtEEDaPvRmT3_T4_T5_mT6_P12ihipStream_tbENKUlT_T0_E_clISt17integral_constantIbLb0EEST_IbLb1EEEEDaSP_SQ_EUlSP_E0_NS1_11comp_targetILNS1_3genE8ELNS1_11target_archE1030ELNS1_3gpuE2ELNS1_3repE0EEENS1_30default_config_static_selectorELNS0_4arch9wavefront6targetE1EEEvT1_,comdat
	.protected	_ZN7rocprim17ROCPRIM_400000_NS6detail17trampoline_kernelINS0_14default_configENS1_20scan_config_selectorItEEZZNS1_9scan_implILNS1_25lookback_scan_determinismE0ELb0ELb0ES3_N6thrust23THRUST_200600_302600_NS6detail15normal_iteratorINS9_10device_ptrItEEEESE_tNS9_4plusIvEEtEEDaPvRmT3_T4_T5_mT6_P12ihipStream_tbENKUlT_T0_E_clISt17integral_constantIbLb0EEST_IbLb1EEEEDaSP_SQ_EUlSP_E0_NS1_11comp_targetILNS1_3genE8ELNS1_11target_archE1030ELNS1_3gpuE2ELNS1_3repE0EEENS1_30default_config_static_selectorELNS0_4arch9wavefront6targetE1EEEvT1_ ; -- Begin function _ZN7rocprim17ROCPRIM_400000_NS6detail17trampoline_kernelINS0_14default_configENS1_20scan_config_selectorItEEZZNS1_9scan_implILNS1_25lookback_scan_determinismE0ELb0ELb0ES3_N6thrust23THRUST_200600_302600_NS6detail15normal_iteratorINS9_10device_ptrItEEEESE_tNS9_4plusIvEEtEEDaPvRmT3_T4_T5_mT6_P12ihipStream_tbENKUlT_T0_E_clISt17integral_constantIbLb0EEST_IbLb1EEEEDaSP_SQ_EUlSP_E0_NS1_11comp_targetILNS1_3genE8ELNS1_11target_archE1030ELNS1_3gpuE2ELNS1_3repE0EEENS1_30default_config_static_selectorELNS0_4arch9wavefront6targetE1EEEvT1_
	.globl	_ZN7rocprim17ROCPRIM_400000_NS6detail17trampoline_kernelINS0_14default_configENS1_20scan_config_selectorItEEZZNS1_9scan_implILNS1_25lookback_scan_determinismE0ELb0ELb0ES3_N6thrust23THRUST_200600_302600_NS6detail15normal_iteratorINS9_10device_ptrItEEEESE_tNS9_4plusIvEEtEEDaPvRmT3_T4_T5_mT6_P12ihipStream_tbENKUlT_T0_E_clISt17integral_constantIbLb0EEST_IbLb1EEEEDaSP_SQ_EUlSP_E0_NS1_11comp_targetILNS1_3genE8ELNS1_11target_archE1030ELNS1_3gpuE2ELNS1_3repE0EEENS1_30default_config_static_selectorELNS0_4arch9wavefront6targetE1EEEvT1_
	.p2align	8
	.type	_ZN7rocprim17ROCPRIM_400000_NS6detail17trampoline_kernelINS0_14default_configENS1_20scan_config_selectorItEEZZNS1_9scan_implILNS1_25lookback_scan_determinismE0ELb0ELb0ES3_N6thrust23THRUST_200600_302600_NS6detail15normal_iteratorINS9_10device_ptrItEEEESE_tNS9_4plusIvEEtEEDaPvRmT3_T4_T5_mT6_P12ihipStream_tbENKUlT_T0_E_clISt17integral_constantIbLb0EEST_IbLb1EEEEDaSP_SQ_EUlSP_E0_NS1_11comp_targetILNS1_3genE8ELNS1_11target_archE1030ELNS1_3gpuE2ELNS1_3repE0EEENS1_30default_config_static_selectorELNS0_4arch9wavefront6targetE1EEEvT1_,@function
_ZN7rocprim17ROCPRIM_400000_NS6detail17trampoline_kernelINS0_14default_configENS1_20scan_config_selectorItEEZZNS1_9scan_implILNS1_25lookback_scan_determinismE0ELb0ELb0ES3_N6thrust23THRUST_200600_302600_NS6detail15normal_iteratorINS9_10device_ptrItEEEESE_tNS9_4plusIvEEtEEDaPvRmT3_T4_T5_mT6_P12ihipStream_tbENKUlT_T0_E_clISt17integral_constantIbLb0EEST_IbLb1EEEEDaSP_SQ_EUlSP_E0_NS1_11comp_targetILNS1_3genE8ELNS1_11target_archE1030ELNS1_3gpuE2ELNS1_3repE0EEENS1_30default_config_static_selectorELNS0_4arch9wavefront6targetE1EEEvT1_: ; @_ZN7rocprim17ROCPRIM_400000_NS6detail17trampoline_kernelINS0_14default_configENS1_20scan_config_selectorItEEZZNS1_9scan_implILNS1_25lookback_scan_determinismE0ELb0ELb0ES3_N6thrust23THRUST_200600_302600_NS6detail15normal_iteratorINS9_10device_ptrItEEEESE_tNS9_4plusIvEEtEEDaPvRmT3_T4_T5_mT6_P12ihipStream_tbENKUlT_T0_E_clISt17integral_constantIbLb0EEST_IbLb1EEEEDaSP_SQ_EUlSP_E0_NS1_11comp_targetILNS1_3genE8ELNS1_11target_archE1030ELNS1_3gpuE2ELNS1_3repE0EEENS1_30default_config_static_selectorELNS0_4arch9wavefront6targetE1EEEvT1_
; %bb.0:
	.section	.rodata,"a",@progbits
	.p2align	6, 0x0
	.amdhsa_kernel _ZN7rocprim17ROCPRIM_400000_NS6detail17trampoline_kernelINS0_14default_configENS1_20scan_config_selectorItEEZZNS1_9scan_implILNS1_25lookback_scan_determinismE0ELb0ELb0ES3_N6thrust23THRUST_200600_302600_NS6detail15normal_iteratorINS9_10device_ptrItEEEESE_tNS9_4plusIvEEtEEDaPvRmT3_T4_T5_mT6_P12ihipStream_tbENKUlT_T0_E_clISt17integral_constantIbLb0EEST_IbLb1EEEEDaSP_SQ_EUlSP_E0_NS1_11comp_targetILNS1_3genE8ELNS1_11target_archE1030ELNS1_3gpuE2ELNS1_3repE0EEENS1_30default_config_static_selectorELNS0_4arch9wavefront6targetE1EEEvT1_
		.amdhsa_group_segment_fixed_size 0
		.amdhsa_private_segment_fixed_size 0
		.amdhsa_kernarg_size 32
		.amdhsa_user_sgpr_count 6
		.amdhsa_user_sgpr_private_segment_buffer 1
		.amdhsa_user_sgpr_dispatch_ptr 0
		.amdhsa_user_sgpr_queue_ptr 0
		.amdhsa_user_sgpr_kernarg_segment_ptr 1
		.amdhsa_user_sgpr_dispatch_id 0
		.amdhsa_user_sgpr_flat_scratch_init 0
		.amdhsa_user_sgpr_kernarg_preload_length 0
		.amdhsa_user_sgpr_kernarg_preload_offset 0
		.amdhsa_user_sgpr_private_segment_size 0
		.amdhsa_uses_dynamic_stack 0
		.amdhsa_system_sgpr_private_segment_wavefront_offset 0
		.amdhsa_system_sgpr_workgroup_id_x 1
		.amdhsa_system_sgpr_workgroup_id_y 0
		.amdhsa_system_sgpr_workgroup_id_z 0
		.amdhsa_system_sgpr_workgroup_info 0
		.amdhsa_system_vgpr_workitem_id 0
		.amdhsa_next_free_vgpr 1
		.amdhsa_next_free_sgpr 0
		.amdhsa_accum_offset 4
		.amdhsa_reserve_vcc 0
		.amdhsa_reserve_flat_scratch 0
		.amdhsa_float_round_mode_32 0
		.amdhsa_float_round_mode_16_64 0
		.amdhsa_float_denorm_mode_32 3
		.amdhsa_float_denorm_mode_16_64 3
		.amdhsa_dx10_clamp 1
		.amdhsa_ieee_mode 1
		.amdhsa_fp16_overflow 0
		.amdhsa_tg_split 0
		.amdhsa_exception_fp_ieee_invalid_op 0
		.amdhsa_exception_fp_denorm_src 0
		.amdhsa_exception_fp_ieee_div_zero 0
		.amdhsa_exception_fp_ieee_overflow 0
		.amdhsa_exception_fp_ieee_underflow 0
		.amdhsa_exception_fp_ieee_inexact 0
		.amdhsa_exception_int_div_zero 0
	.end_amdhsa_kernel
	.section	.text._ZN7rocprim17ROCPRIM_400000_NS6detail17trampoline_kernelINS0_14default_configENS1_20scan_config_selectorItEEZZNS1_9scan_implILNS1_25lookback_scan_determinismE0ELb0ELb0ES3_N6thrust23THRUST_200600_302600_NS6detail15normal_iteratorINS9_10device_ptrItEEEESE_tNS9_4plusIvEEtEEDaPvRmT3_T4_T5_mT6_P12ihipStream_tbENKUlT_T0_E_clISt17integral_constantIbLb0EEST_IbLb1EEEEDaSP_SQ_EUlSP_E0_NS1_11comp_targetILNS1_3genE8ELNS1_11target_archE1030ELNS1_3gpuE2ELNS1_3repE0EEENS1_30default_config_static_selectorELNS0_4arch9wavefront6targetE1EEEvT1_,"axG",@progbits,_ZN7rocprim17ROCPRIM_400000_NS6detail17trampoline_kernelINS0_14default_configENS1_20scan_config_selectorItEEZZNS1_9scan_implILNS1_25lookback_scan_determinismE0ELb0ELb0ES3_N6thrust23THRUST_200600_302600_NS6detail15normal_iteratorINS9_10device_ptrItEEEESE_tNS9_4plusIvEEtEEDaPvRmT3_T4_T5_mT6_P12ihipStream_tbENKUlT_T0_E_clISt17integral_constantIbLb0EEST_IbLb1EEEEDaSP_SQ_EUlSP_E0_NS1_11comp_targetILNS1_3genE8ELNS1_11target_archE1030ELNS1_3gpuE2ELNS1_3repE0EEENS1_30default_config_static_selectorELNS0_4arch9wavefront6targetE1EEEvT1_,comdat
.Lfunc_end4789:
	.size	_ZN7rocprim17ROCPRIM_400000_NS6detail17trampoline_kernelINS0_14default_configENS1_20scan_config_selectorItEEZZNS1_9scan_implILNS1_25lookback_scan_determinismE0ELb0ELb0ES3_N6thrust23THRUST_200600_302600_NS6detail15normal_iteratorINS9_10device_ptrItEEEESE_tNS9_4plusIvEEtEEDaPvRmT3_T4_T5_mT6_P12ihipStream_tbENKUlT_T0_E_clISt17integral_constantIbLb0EEST_IbLb1EEEEDaSP_SQ_EUlSP_E0_NS1_11comp_targetILNS1_3genE8ELNS1_11target_archE1030ELNS1_3gpuE2ELNS1_3repE0EEENS1_30default_config_static_selectorELNS0_4arch9wavefront6targetE1EEEvT1_, .Lfunc_end4789-_ZN7rocprim17ROCPRIM_400000_NS6detail17trampoline_kernelINS0_14default_configENS1_20scan_config_selectorItEEZZNS1_9scan_implILNS1_25lookback_scan_determinismE0ELb0ELb0ES3_N6thrust23THRUST_200600_302600_NS6detail15normal_iteratorINS9_10device_ptrItEEEESE_tNS9_4plusIvEEtEEDaPvRmT3_T4_T5_mT6_P12ihipStream_tbENKUlT_T0_E_clISt17integral_constantIbLb0EEST_IbLb1EEEEDaSP_SQ_EUlSP_E0_NS1_11comp_targetILNS1_3genE8ELNS1_11target_archE1030ELNS1_3gpuE2ELNS1_3repE0EEENS1_30default_config_static_selectorELNS0_4arch9wavefront6targetE1EEEvT1_
                                        ; -- End function
	.section	.AMDGPU.csdata,"",@progbits
; Kernel info:
; codeLenInByte = 0
; NumSgprs: 4
; NumVgprs: 0
; NumAgprs: 0
; TotalNumVgprs: 0
; ScratchSize: 0
; MemoryBound: 0
; FloatMode: 240
; IeeeMode: 1
; LDSByteSize: 0 bytes/workgroup (compile time only)
; SGPRBlocks: 0
; VGPRBlocks: 0
; NumSGPRsForWavesPerEU: 4
; NumVGPRsForWavesPerEU: 1
; AccumOffset: 4
; Occupancy: 8
; WaveLimiterHint : 0
; COMPUTE_PGM_RSRC2:SCRATCH_EN: 0
; COMPUTE_PGM_RSRC2:USER_SGPR: 6
; COMPUTE_PGM_RSRC2:TRAP_HANDLER: 0
; COMPUTE_PGM_RSRC2:TGID_X_EN: 1
; COMPUTE_PGM_RSRC2:TGID_Y_EN: 0
; COMPUTE_PGM_RSRC2:TGID_Z_EN: 0
; COMPUTE_PGM_RSRC2:TIDIG_COMP_CNT: 0
; COMPUTE_PGM_RSRC3_GFX90A:ACCUM_OFFSET: 0
; COMPUTE_PGM_RSRC3_GFX90A:TG_SPLIT: 0
	.section	.text._ZN7rocprim17ROCPRIM_400000_NS6detail17trampoline_kernelINS0_14default_configENS1_20scan_config_selectorItEEZZNS1_9scan_implILNS1_25lookback_scan_determinismE0ELb1ELb1ES3_N6thrust23THRUST_200600_302600_NS6detail15normal_iteratorINS9_10device_ptrItEEEESE_tNS9_4plusIvEEtEEDaPvRmT3_T4_T5_mT6_P12ihipStream_tbENKUlT_T0_E_clISt17integral_constantIbLb0EESU_EEDaSP_SQ_EUlSP_E_NS1_11comp_targetILNS1_3genE0ELNS1_11target_archE4294967295ELNS1_3gpuE0ELNS1_3repE0EEENS1_30default_config_static_selectorELNS0_4arch9wavefront6targetE1EEEvT1_,"axG",@progbits,_ZN7rocprim17ROCPRIM_400000_NS6detail17trampoline_kernelINS0_14default_configENS1_20scan_config_selectorItEEZZNS1_9scan_implILNS1_25lookback_scan_determinismE0ELb1ELb1ES3_N6thrust23THRUST_200600_302600_NS6detail15normal_iteratorINS9_10device_ptrItEEEESE_tNS9_4plusIvEEtEEDaPvRmT3_T4_T5_mT6_P12ihipStream_tbENKUlT_T0_E_clISt17integral_constantIbLb0EESU_EEDaSP_SQ_EUlSP_E_NS1_11comp_targetILNS1_3genE0ELNS1_11target_archE4294967295ELNS1_3gpuE0ELNS1_3repE0EEENS1_30default_config_static_selectorELNS0_4arch9wavefront6targetE1EEEvT1_,comdat
	.protected	_ZN7rocprim17ROCPRIM_400000_NS6detail17trampoline_kernelINS0_14default_configENS1_20scan_config_selectorItEEZZNS1_9scan_implILNS1_25lookback_scan_determinismE0ELb1ELb1ES3_N6thrust23THRUST_200600_302600_NS6detail15normal_iteratorINS9_10device_ptrItEEEESE_tNS9_4plusIvEEtEEDaPvRmT3_T4_T5_mT6_P12ihipStream_tbENKUlT_T0_E_clISt17integral_constantIbLb0EESU_EEDaSP_SQ_EUlSP_E_NS1_11comp_targetILNS1_3genE0ELNS1_11target_archE4294967295ELNS1_3gpuE0ELNS1_3repE0EEENS1_30default_config_static_selectorELNS0_4arch9wavefront6targetE1EEEvT1_ ; -- Begin function _ZN7rocprim17ROCPRIM_400000_NS6detail17trampoline_kernelINS0_14default_configENS1_20scan_config_selectorItEEZZNS1_9scan_implILNS1_25lookback_scan_determinismE0ELb1ELb1ES3_N6thrust23THRUST_200600_302600_NS6detail15normal_iteratorINS9_10device_ptrItEEEESE_tNS9_4plusIvEEtEEDaPvRmT3_T4_T5_mT6_P12ihipStream_tbENKUlT_T0_E_clISt17integral_constantIbLb0EESU_EEDaSP_SQ_EUlSP_E_NS1_11comp_targetILNS1_3genE0ELNS1_11target_archE4294967295ELNS1_3gpuE0ELNS1_3repE0EEENS1_30default_config_static_selectorELNS0_4arch9wavefront6targetE1EEEvT1_
	.globl	_ZN7rocprim17ROCPRIM_400000_NS6detail17trampoline_kernelINS0_14default_configENS1_20scan_config_selectorItEEZZNS1_9scan_implILNS1_25lookback_scan_determinismE0ELb1ELb1ES3_N6thrust23THRUST_200600_302600_NS6detail15normal_iteratorINS9_10device_ptrItEEEESE_tNS9_4plusIvEEtEEDaPvRmT3_T4_T5_mT6_P12ihipStream_tbENKUlT_T0_E_clISt17integral_constantIbLb0EESU_EEDaSP_SQ_EUlSP_E_NS1_11comp_targetILNS1_3genE0ELNS1_11target_archE4294967295ELNS1_3gpuE0ELNS1_3repE0EEENS1_30default_config_static_selectorELNS0_4arch9wavefront6targetE1EEEvT1_
	.p2align	8
	.type	_ZN7rocprim17ROCPRIM_400000_NS6detail17trampoline_kernelINS0_14default_configENS1_20scan_config_selectorItEEZZNS1_9scan_implILNS1_25lookback_scan_determinismE0ELb1ELb1ES3_N6thrust23THRUST_200600_302600_NS6detail15normal_iteratorINS9_10device_ptrItEEEESE_tNS9_4plusIvEEtEEDaPvRmT3_T4_T5_mT6_P12ihipStream_tbENKUlT_T0_E_clISt17integral_constantIbLb0EESU_EEDaSP_SQ_EUlSP_E_NS1_11comp_targetILNS1_3genE0ELNS1_11target_archE4294967295ELNS1_3gpuE0ELNS1_3repE0EEENS1_30default_config_static_selectorELNS0_4arch9wavefront6targetE1EEEvT1_,@function
_ZN7rocprim17ROCPRIM_400000_NS6detail17trampoline_kernelINS0_14default_configENS1_20scan_config_selectorItEEZZNS1_9scan_implILNS1_25lookback_scan_determinismE0ELb1ELb1ES3_N6thrust23THRUST_200600_302600_NS6detail15normal_iteratorINS9_10device_ptrItEEEESE_tNS9_4plusIvEEtEEDaPvRmT3_T4_T5_mT6_P12ihipStream_tbENKUlT_T0_E_clISt17integral_constantIbLb0EESU_EEDaSP_SQ_EUlSP_E_NS1_11comp_targetILNS1_3genE0ELNS1_11target_archE4294967295ELNS1_3gpuE0ELNS1_3repE0EEENS1_30default_config_static_selectorELNS0_4arch9wavefront6targetE1EEEvT1_: ; @_ZN7rocprim17ROCPRIM_400000_NS6detail17trampoline_kernelINS0_14default_configENS1_20scan_config_selectorItEEZZNS1_9scan_implILNS1_25lookback_scan_determinismE0ELb1ELb1ES3_N6thrust23THRUST_200600_302600_NS6detail15normal_iteratorINS9_10device_ptrItEEEESE_tNS9_4plusIvEEtEEDaPvRmT3_T4_T5_mT6_P12ihipStream_tbENKUlT_T0_E_clISt17integral_constantIbLb0EESU_EEDaSP_SQ_EUlSP_E_NS1_11comp_targetILNS1_3genE0ELNS1_11target_archE4294967295ELNS1_3gpuE0ELNS1_3repE0EEENS1_30default_config_static_selectorELNS0_4arch9wavefront6targetE1EEEvT1_
; %bb.0:
	.section	.rodata,"a",@progbits
	.p2align	6, 0x0
	.amdhsa_kernel _ZN7rocprim17ROCPRIM_400000_NS6detail17trampoline_kernelINS0_14default_configENS1_20scan_config_selectorItEEZZNS1_9scan_implILNS1_25lookback_scan_determinismE0ELb1ELb1ES3_N6thrust23THRUST_200600_302600_NS6detail15normal_iteratorINS9_10device_ptrItEEEESE_tNS9_4plusIvEEtEEDaPvRmT3_T4_T5_mT6_P12ihipStream_tbENKUlT_T0_E_clISt17integral_constantIbLb0EESU_EEDaSP_SQ_EUlSP_E_NS1_11comp_targetILNS1_3genE0ELNS1_11target_archE4294967295ELNS1_3gpuE0ELNS1_3repE0EEENS1_30default_config_static_selectorELNS0_4arch9wavefront6targetE1EEEvT1_
		.amdhsa_group_segment_fixed_size 0
		.amdhsa_private_segment_fixed_size 0
		.amdhsa_kernarg_size 96
		.amdhsa_user_sgpr_count 6
		.amdhsa_user_sgpr_private_segment_buffer 1
		.amdhsa_user_sgpr_dispatch_ptr 0
		.amdhsa_user_sgpr_queue_ptr 0
		.amdhsa_user_sgpr_kernarg_segment_ptr 1
		.amdhsa_user_sgpr_dispatch_id 0
		.amdhsa_user_sgpr_flat_scratch_init 0
		.amdhsa_user_sgpr_kernarg_preload_length 0
		.amdhsa_user_sgpr_kernarg_preload_offset 0
		.amdhsa_user_sgpr_private_segment_size 0
		.amdhsa_uses_dynamic_stack 0
		.amdhsa_system_sgpr_private_segment_wavefront_offset 0
		.amdhsa_system_sgpr_workgroup_id_x 1
		.amdhsa_system_sgpr_workgroup_id_y 0
		.amdhsa_system_sgpr_workgroup_id_z 0
		.amdhsa_system_sgpr_workgroup_info 0
		.amdhsa_system_vgpr_workitem_id 0
		.amdhsa_next_free_vgpr 1
		.amdhsa_next_free_sgpr 0
		.amdhsa_accum_offset 4
		.amdhsa_reserve_vcc 0
		.amdhsa_reserve_flat_scratch 0
		.amdhsa_float_round_mode_32 0
		.amdhsa_float_round_mode_16_64 0
		.amdhsa_float_denorm_mode_32 3
		.amdhsa_float_denorm_mode_16_64 3
		.amdhsa_dx10_clamp 1
		.amdhsa_ieee_mode 1
		.amdhsa_fp16_overflow 0
		.amdhsa_tg_split 0
		.amdhsa_exception_fp_ieee_invalid_op 0
		.amdhsa_exception_fp_denorm_src 0
		.amdhsa_exception_fp_ieee_div_zero 0
		.amdhsa_exception_fp_ieee_overflow 0
		.amdhsa_exception_fp_ieee_underflow 0
		.amdhsa_exception_fp_ieee_inexact 0
		.amdhsa_exception_int_div_zero 0
	.end_amdhsa_kernel
	.section	.text._ZN7rocprim17ROCPRIM_400000_NS6detail17trampoline_kernelINS0_14default_configENS1_20scan_config_selectorItEEZZNS1_9scan_implILNS1_25lookback_scan_determinismE0ELb1ELb1ES3_N6thrust23THRUST_200600_302600_NS6detail15normal_iteratorINS9_10device_ptrItEEEESE_tNS9_4plusIvEEtEEDaPvRmT3_T4_T5_mT6_P12ihipStream_tbENKUlT_T0_E_clISt17integral_constantIbLb0EESU_EEDaSP_SQ_EUlSP_E_NS1_11comp_targetILNS1_3genE0ELNS1_11target_archE4294967295ELNS1_3gpuE0ELNS1_3repE0EEENS1_30default_config_static_selectorELNS0_4arch9wavefront6targetE1EEEvT1_,"axG",@progbits,_ZN7rocprim17ROCPRIM_400000_NS6detail17trampoline_kernelINS0_14default_configENS1_20scan_config_selectorItEEZZNS1_9scan_implILNS1_25lookback_scan_determinismE0ELb1ELb1ES3_N6thrust23THRUST_200600_302600_NS6detail15normal_iteratorINS9_10device_ptrItEEEESE_tNS9_4plusIvEEtEEDaPvRmT3_T4_T5_mT6_P12ihipStream_tbENKUlT_T0_E_clISt17integral_constantIbLb0EESU_EEDaSP_SQ_EUlSP_E_NS1_11comp_targetILNS1_3genE0ELNS1_11target_archE4294967295ELNS1_3gpuE0ELNS1_3repE0EEENS1_30default_config_static_selectorELNS0_4arch9wavefront6targetE1EEEvT1_,comdat
.Lfunc_end4790:
	.size	_ZN7rocprim17ROCPRIM_400000_NS6detail17trampoline_kernelINS0_14default_configENS1_20scan_config_selectorItEEZZNS1_9scan_implILNS1_25lookback_scan_determinismE0ELb1ELb1ES3_N6thrust23THRUST_200600_302600_NS6detail15normal_iteratorINS9_10device_ptrItEEEESE_tNS9_4plusIvEEtEEDaPvRmT3_T4_T5_mT6_P12ihipStream_tbENKUlT_T0_E_clISt17integral_constantIbLb0EESU_EEDaSP_SQ_EUlSP_E_NS1_11comp_targetILNS1_3genE0ELNS1_11target_archE4294967295ELNS1_3gpuE0ELNS1_3repE0EEENS1_30default_config_static_selectorELNS0_4arch9wavefront6targetE1EEEvT1_, .Lfunc_end4790-_ZN7rocprim17ROCPRIM_400000_NS6detail17trampoline_kernelINS0_14default_configENS1_20scan_config_selectorItEEZZNS1_9scan_implILNS1_25lookback_scan_determinismE0ELb1ELb1ES3_N6thrust23THRUST_200600_302600_NS6detail15normal_iteratorINS9_10device_ptrItEEEESE_tNS9_4plusIvEEtEEDaPvRmT3_T4_T5_mT6_P12ihipStream_tbENKUlT_T0_E_clISt17integral_constantIbLb0EESU_EEDaSP_SQ_EUlSP_E_NS1_11comp_targetILNS1_3genE0ELNS1_11target_archE4294967295ELNS1_3gpuE0ELNS1_3repE0EEENS1_30default_config_static_selectorELNS0_4arch9wavefront6targetE1EEEvT1_
                                        ; -- End function
	.section	.AMDGPU.csdata,"",@progbits
; Kernel info:
; codeLenInByte = 0
; NumSgprs: 4
; NumVgprs: 0
; NumAgprs: 0
; TotalNumVgprs: 0
; ScratchSize: 0
; MemoryBound: 0
; FloatMode: 240
; IeeeMode: 1
; LDSByteSize: 0 bytes/workgroup (compile time only)
; SGPRBlocks: 0
; VGPRBlocks: 0
; NumSGPRsForWavesPerEU: 4
; NumVGPRsForWavesPerEU: 1
; AccumOffset: 4
; Occupancy: 8
; WaveLimiterHint : 0
; COMPUTE_PGM_RSRC2:SCRATCH_EN: 0
; COMPUTE_PGM_RSRC2:USER_SGPR: 6
; COMPUTE_PGM_RSRC2:TRAP_HANDLER: 0
; COMPUTE_PGM_RSRC2:TGID_X_EN: 1
; COMPUTE_PGM_RSRC2:TGID_Y_EN: 0
; COMPUTE_PGM_RSRC2:TGID_Z_EN: 0
; COMPUTE_PGM_RSRC2:TIDIG_COMP_CNT: 0
; COMPUTE_PGM_RSRC3_GFX90A:ACCUM_OFFSET: 0
; COMPUTE_PGM_RSRC3_GFX90A:TG_SPLIT: 0
	.section	.text._ZN7rocprim17ROCPRIM_400000_NS6detail17trampoline_kernelINS0_14default_configENS1_20scan_config_selectorItEEZZNS1_9scan_implILNS1_25lookback_scan_determinismE0ELb1ELb1ES3_N6thrust23THRUST_200600_302600_NS6detail15normal_iteratorINS9_10device_ptrItEEEESE_tNS9_4plusIvEEtEEDaPvRmT3_T4_T5_mT6_P12ihipStream_tbENKUlT_T0_E_clISt17integral_constantIbLb0EESU_EEDaSP_SQ_EUlSP_E_NS1_11comp_targetILNS1_3genE5ELNS1_11target_archE942ELNS1_3gpuE9ELNS1_3repE0EEENS1_30default_config_static_selectorELNS0_4arch9wavefront6targetE1EEEvT1_,"axG",@progbits,_ZN7rocprim17ROCPRIM_400000_NS6detail17trampoline_kernelINS0_14default_configENS1_20scan_config_selectorItEEZZNS1_9scan_implILNS1_25lookback_scan_determinismE0ELb1ELb1ES3_N6thrust23THRUST_200600_302600_NS6detail15normal_iteratorINS9_10device_ptrItEEEESE_tNS9_4plusIvEEtEEDaPvRmT3_T4_T5_mT6_P12ihipStream_tbENKUlT_T0_E_clISt17integral_constantIbLb0EESU_EEDaSP_SQ_EUlSP_E_NS1_11comp_targetILNS1_3genE5ELNS1_11target_archE942ELNS1_3gpuE9ELNS1_3repE0EEENS1_30default_config_static_selectorELNS0_4arch9wavefront6targetE1EEEvT1_,comdat
	.protected	_ZN7rocprim17ROCPRIM_400000_NS6detail17trampoline_kernelINS0_14default_configENS1_20scan_config_selectorItEEZZNS1_9scan_implILNS1_25lookback_scan_determinismE0ELb1ELb1ES3_N6thrust23THRUST_200600_302600_NS6detail15normal_iteratorINS9_10device_ptrItEEEESE_tNS9_4plusIvEEtEEDaPvRmT3_T4_T5_mT6_P12ihipStream_tbENKUlT_T0_E_clISt17integral_constantIbLb0EESU_EEDaSP_SQ_EUlSP_E_NS1_11comp_targetILNS1_3genE5ELNS1_11target_archE942ELNS1_3gpuE9ELNS1_3repE0EEENS1_30default_config_static_selectorELNS0_4arch9wavefront6targetE1EEEvT1_ ; -- Begin function _ZN7rocprim17ROCPRIM_400000_NS6detail17trampoline_kernelINS0_14default_configENS1_20scan_config_selectorItEEZZNS1_9scan_implILNS1_25lookback_scan_determinismE0ELb1ELb1ES3_N6thrust23THRUST_200600_302600_NS6detail15normal_iteratorINS9_10device_ptrItEEEESE_tNS9_4plusIvEEtEEDaPvRmT3_T4_T5_mT6_P12ihipStream_tbENKUlT_T0_E_clISt17integral_constantIbLb0EESU_EEDaSP_SQ_EUlSP_E_NS1_11comp_targetILNS1_3genE5ELNS1_11target_archE942ELNS1_3gpuE9ELNS1_3repE0EEENS1_30default_config_static_selectorELNS0_4arch9wavefront6targetE1EEEvT1_
	.globl	_ZN7rocprim17ROCPRIM_400000_NS6detail17trampoline_kernelINS0_14default_configENS1_20scan_config_selectorItEEZZNS1_9scan_implILNS1_25lookback_scan_determinismE0ELb1ELb1ES3_N6thrust23THRUST_200600_302600_NS6detail15normal_iteratorINS9_10device_ptrItEEEESE_tNS9_4plusIvEEtEEDaPvRmT3_T4_T5_mT6_P12ihipStream_tbENKUlT_T0_E_clISt17integral_constantIbLb0EESU_EEDaSP_SQ_EUlSP_E_NS1_11comp_targetILNS1_3genE5ELNS1_11target_archE942ELNS1_3gpuE9ELNS1_3repE0EEENS1_30default_config_static_selectorELNS0_4arch9wavefront6targetE1EEEvT1_
	.p2align	8
	.type	_ZN7rocprim17ROCPRIM_400000_NS6detail17trampoline_kernelINS0_14default_configENS1_20scan_config_selectorItEEZZNS1_9scan_implILNS1_25lookback_scan_determinismE0ELb1ELb1ES3_N6thrust23THRUST_200600_302600_NS6detail15normal_iteratorINS9_10device_ptrItEEEESE_tNS9_4plusIvEEtEEDaPvRmT3_T4_T5_mT6_P12ihipStream_tbENKUlT_T0_E_clISt17integral_constantIbLb0EESU_EEDaSP_SQ_EUlSP_E_NS1_11comp_targetILNS1_3genE5ELNS1_11target_archE942ELNS1_3gpuE9ELNS1_3repE0EEENS1_30default_config_static_selectorELNS0_4arch9wavefront6targetE1EEEvT1_,@function
_ZN7rocprim17ROCPRIM_400000_NS6detail17trampoline_kernelINS0_14default_configENS1_20scan_config_selectorItEEZZNS1_9scan_implILNS1_25lookback_scan_determinismE0ELb1ELb1ES3_N6thrust23THRUST_200600_302600_NS6detail15normal_iteratorINS9_10device_ptrItEEEESE_tNS9_4plusIvEEtEEDaPvRmT3_T4_T5_mT6_P12ihipStream_tbENKUlT_T0_E_clISt17integral_constantIbLb0EESU_EEDaSP_SQ_EUlSP_E_NS1_11comp_targetILNS1_3genE5ELNS1_11target_archE942ELNS1_3gpuE9ELNS1_3repE0EEENS1_30default_config_static_selectorELNS0_4arch9wavefront6targetE1EEEvT1_: ; @_ZN7rocprim17ROCPRIM_400000_NS6detail17trampoline_kernelINS0_14default_configENS1_20scan_config_selectorItEEZZNS1_9scan_implILNS1_25lookback_scan_determinismE0ELb1ELb1ES3_N6thrust23THRUST_200600_302600_NS6detail15normal_iteratorINS9_10device_ptrItEEEESE_tNS9_4plusIvEEtEEDaPvRmT3_T4_T5_mT6_P12ihipStream_tbENKUlT_T0_E_clISt17integral_constantIbLb0EESU_EEDaSP_SQ_EUlSP_E_NS1_11comp_targetILNS1_3genE5ELNS1_11target_archE942ELNS1_3gpuE9ELNS1_3repE0EEENS1_30default_config_static_selectorELNS0_4arch9wavefront6targetE1EEEvT1_
; %bb.0:
	.section	.rodata,"a",@progbits
	.p2align	6, 0x0
	.amdhsa_kernel _ZN7rocprim17ROCPRIM_400000_NS6detail17trampoline_kernelINS0_14default_configENS1_20scan_config_selectorItEEZZNS1_9scan_implILNS1_25lookback_scan_determinismE0ELb1ELb1ES3_N6thrust23THRUST_200600_302600_NS6detail15normal_iteratorINS9_10device_ptrItEEEESE_tNS9_4plusIvEEtEEDaPvRmT3_T4_T5_mT6_P12ihipStream_tbENKUlT_T0_E_clISt17integral_constantIbLb0EESU_EEDaSP_SQ_EUlSP_E_NS1_11comp_targetILNS1_3genE5ELNS1_11target_archE942ELNS1_3gpuE9ELNS1_3repE0EEENS1_30default_config_static_selectorELNS0_4arch9wavefront6targetE1EEEvT1_
		.amdhsa_group_segment_fixed_size 0
		.amdhsa_private_segment_fixed_size 0
		.amdhsa_kernarg_size 96
		.amdhsa_user_sgpr_count 6
		.amdhsa_user_sgpr_private_segment_buffer 1
		.amdhsa_user_sgpr_dispatch_ptr 0
		.amdhsa_user_sgpr_queue_ptr 0
		.amdhsa_user_sgpr_kernarg_segment_ptr 1
		.amdhsa_user_sgpr_dispatch_id 0
		.amdhsa_user_sgpr_flat_scratch_init 0
		.amdhsa_user_sgpr_kernarg_preload_length 0
		.amdhsa_user_sgpr_kernarg_preload_offset 0
		.amdhsa_user_sgpr_private_segment_size 0
		.amdhsa_uses_dynamic_stack 0
		.amdhsa_system_sgpr_private_segment_wavefront_offset 0
		.amdhsa_system_sgpr_workgroup_id_x 1
		.amdhsa_system_sgpr_workgroup_id_y 0
		.amdhsa_system_sgpr_workgroup_id_z 0
		.amdhsa_system_sgpr_workgroup_info 0
		.amdhsa_system_vgpr_workitem_id 0
		.amdhsa_next_free_vgpr 1
		.amdhsa_next_free_sgpr 0
		.amdhsa_accum_offset 4
		.amdhsa_reserve_vcc 0
		.amdhsa_reserve_flat_scratch 0
		.amdhsa_float_round_mode_32 0
		.amdhsa_float_round_mode_16_64 0
		.amdhsa_float_denorm_mode_32 3
		.amdhsa_float_denorm_mode_16_64 3
		.amdhsa_dx10_clamp 1
		.amdhsa_ieee_mode 1
		.amdhsa_fp16_overflow 0
		.amdhsa_tg_split 0
		.amdhsa_exception_fp_ieee_invalid_op 0
		.amdhsa_exception_fp_denorm_src 0
		.amdhsa_exception_fp_ieee_div_zero 0
		.amdhsa_exception_fp_ieee_overflow 0
		.amdhsa_exception_fp_ieee_underflow 0
		.amdhsa_exception_fp_ieee_inexact 0
		.amdhsa_exception_int_div_zero 0
	.end_amdhsa_kernel
	.section	.text._ZN7rocprim17ROCPRIM_400000_NS6detail17trampoline_kernelINS0_14default_configENS1_20scan_config_selectorItEEZZNS1_9scan_implILNS1_25lookback_scan_determinismE0ELb1ELb1ES3_N6thrust23THRUST_200600_302600_NS6detail15normal_iteratorINS9_10device_ptrItEEEESE_tNS9_4plusIvEEtEEDaPvRmT3_T4_T5_mT6_P12ihipStream_tbENKUlT_T0_E_clISt17integral_constantIbLb0EESU_EEDaSP_SQ_EUlSP_E_NS1_11comp_targetILNS1_3genE5ELNS1_11target_archE942ELNS1_3gpuE9ELNS1_3repE0EEENS1_30default_config_static_selectorELNS0_4arch9wavefront6targetE1EEEvT1_,"axG",@progbits,_ZN7rocprim17ROCPRIM_400000_NS6detail17trampoline_kernelINS0_14default_configENS1_20scan_config_selectorItEEZZNS1_9scan_implILNS1_25lookback_scan_determinismE0ELb1ELb1ES3_N6thrust23THRUST_200600_302600_NS6detail15normal_iteratorINS9_10device_ptrItEEEESE_tNS9_4plusIvEEtEEDaPvRmT3_T4_T5_mT6_P12ihipStream_tbENKUlT_T0_E_clISt17integral_constantIbLb0EESU_EEDaSP_SQ_EUlSP_E_NS1_11comp_targetILNS1_3genE5ELNS1_11target_archE942ELNS1_3gpuE9ELNS1_3repE0EEENS1_30default_config_static_selectorELNS0_4arch9wavefront6targetE1EEEvT1_,comdat
.Lfunc_end4791:
	.size	_ZN7rocprim17ROCPRIM_400000_NS6detail17trampoline_kernelINS0_14default_configENS1_20scan_config_selectorItEEZZNS1_9scan_implILNS1_25lookback_scan_determinismE0ELb1ELb1ES3_N6thrust23THRUST_200600_302600_NS6detail15normal_iteratorINS9_10device_ptrItEEEESE_tNS9_4plusIvEEtEEDaPvRmT3_T4_T5_mT6_P12ihipStream_tbENKUlT_T0_E_clISt17integral_constantIbLb0EESU_EEDaSP_SQ_EUlSP_E_NS1_11comp_targetILNS1_3genE5ELNS1_11target_archE942ELNS1_3gpuE9ELNS1_3repE0EEENS1_30default_config_static_selectorELNS0_4arch9wavefront6targetE1EEEvT1_, .Lfunc_end4791-_ZN7rocprim17ROCPRIM_400000_NS6detail17trampoline_kernelINS0_14default_configENS1_20scan_config_selectorItEEZZNS1_9scan_implILNS1_25lookback_scan_determinismE0ELb1ELb1ES3_N6thrust23THRUST_200600_302600_NS6detail15normal_iteratorINS9_10device_ptrItEEEESE_tNS9_4plusIvEEtEEDaPvRmT3_T4_T5_mT6_P12ihipStream_tbENKUlT_T0_E_clISt17integral_constantIbLb0EESU_EEDaSP_SQ_EUlSP_E_NS1_11comp_targetILNS1_3genE5ELNS1_11target_archE942ELNS1_3gpuE9ELNS1_3repE0EEENS1_30default_config_static_selectorELNS0_4arch9wavefront6targetE1EEEvT1_
                                        ; -- End function
	.section	.AMDGPU.csdata,"",@progbits
; Kernel info:
; codeLenInByte = 0
; NumSgprs: 4
; NumVgprs: 0
; NumAgprs: 0
; TotalNumVgprs: 0
; ScratchSize: 0
; MemoryBound: 0
; FloatMode: 240
; IeeeMode: 1
; LDSByteSize: 0 bytes/workgroup (compile time only)
; SGPRBlocks: 0
; VGPRBlocks: 0
; NumSGPRsForWavesPerEU: 4
; NumVGPRsForWavesPerEU: 1
; AccumOffset: 4
; Occupancy: 8
; WaveLimiterHint : 0
; COMPUTE_PGM_RSRC2:SCRATCH_EN: 0
; COMPUTE_PGM_RSRC2:USER_SGPR: 6
; COMPUTE_PGM_RSRC2:TRAP_HANDLER: 0
; COMPUTE_PGM_RSRC2:TGID_X_EN: 1
; COMPUTE_PGM_RSRC2:TGID_Y_EN: 0
; COMPUTE_PGM_RSRC2:TGID_Z_EN: 0
; COMPUTE_PGM_RSRC2:TIDIG_COMP_CNT: 0
; COMPUTE_PGM_RSRC3_GFX90A:ACCUM_OFFSET: 0
; COMPUTE_PGM_RSRC3_GFX90A:TG_SPLIT: 0
	.section	.text._ZN7rocprim17ROCPRIM_400000_NS6detail17trampoline_kernelINS0_14default_configENS1_20scan_config_selectorItEEZZNS1_9scan_implILNS1_25lookback_scan_determinismE0ELb1ELb1ES3_N6thrust23THRUST_200600_302600_NS6detail15normal_iteratorINS9_10device_ptrItEEEESE_tNS9_4plusIvEEtEEDaPvRmT3_T4_T5_mT6_P12ihipStream_tbENKUlT_T0_E_clISt17integral_constantIbLb0EESU_EEDaSP_SQ_EUlSP_E_NS1_11comp_targetILNS1_3genE4ELNS1_11target_archE910ELNS1_3gpuE8ELNS1_3repE0EEENS1_30default_config_static_selectorELNS0_4arch9wavefront6targetE1EEEvT1_,"axG",@progbits,_ZN7rocprim17ROCPRIM_400000_NS6detail17trampoline_kernelINS0_14default_configENS1_20scan_config_selectorItEEZZNS1_9scan_implILNS1_25lookback_scan_determinismE0ELb1ELb1ES3_N6thrust23THRUST_200600_302600_NS6detail15normal_iteratorINS9_10device_ptrItEEEESE_tNS9_4plusIvEEtEEDaPvRmT3_T4_T5_mT6_P12ihipStream_tbENKUlT_T0_E_clISt17integral_constantIbLb0EESU_EEDaSP_SQ_EUlSP_E_NS1_11comp_targetILNS1_3genE4ELNS1_11target_archE910ELNS1_3gpuE8ELNS1_3repE0EEENS1_30default_config_static_selectorELNS0_4arch9wavefront6targetE1EEEvT1_,comdat
	.protected	_ZN7rocprim17ROCPRIM_400000_NS6detail17trampoline_kernelINS0_14default_configENS1_20scan_config_selectorItEEZZNS1_9scan_implILNS1_25lookback_scan_determinismE0ELb1ELb1ES3_N6thrust23THRUST_200600_302600_NS6detail15normal_iteratorINS9_10device_ptrItEEEESE_tNS9_4plusIvEEtEEDaPvRmT3_T4_T5_mT6_P12ihipStream_tbENKUlT_T0_E_clISt17integral_constantIbLb0EESU_EEDaSP_SQ_EUlSP_E_NS1_11comp_targetILNS1_3genE4ELNS1_11target_archE910ELNS1_3gpuE8ELNS1_3repE0EEENS1_30default_config_static_selectorELNS0_4arch9wavefront6targetE1EEEvT1_ ; -- Begin function _ZN7rocprim17ROCPRIM_400000_NS6detail17trampoline_kernelINS0_14default_configENS1_20scan_config_selectorItEEZZNS1_9scan_implILNS1_25lookback_scan_determinismE0ELb1ELb1ES3_N6thrust23THRUST_200600_302600_NS6detail15normal_iteratorINS9_10device_ptrItEEEESE_tNS9_4plusIvEEtEEDaPvRmT3_T4_T5_mT6_P12ihipStream_tbENKUlT_T0_E_clISt17integral_constantIbLb0EESU_EEDaSP_SQ_EUlSP_E_NS1_11comp_targetILNS1_3genE4ELNS1_11target_archE910ELNS1_3gpuE8ELNS1_3repE0EEENS1_30default_config_static_selectorELNS0_4arch9wavefront6targetE1EEEvT1_
	.globl	_ZN7rocprim17ROCPRIM_400000_NS6detail17trampoline_kernelINS0_14default_configENS1_20scan_config_selectorItEEZZNS1_9scan_implILNS1_25lookback_scan_determinismE0ELb1ELb1ES3_N6thrust23THRUST_200600_302600_NS6detail15normal_iteratorINS9_10device_ptrItEEEESE_tNS9_4plusIvEEtEEDaPvRmT3_T4_T5_mT6_P12ihipStream_tbENKUlT_T0_E_clISt17integral_constantIbLb0EESU_EEDaSP_SQ_EUlSP_E_NS1_11comp_targetILNS1_3genE4ELNS1_11target_archE910ELNS1_3gpuE8ELNS1_3repE0EEENS1_30default_config_static_selectorELNS0_4arch9wavefront6targetE1EEEvT1_
	.p2align	8
	.type	_ZN7rocprim17ROCPRIM_400000_NS6detail17trampoline_kernelINS0_14default_configENS1_20scan_config_selectorItEEZZNS1_9scan_implILNS1_25lookback_scan_determinismE0ELb1ELb1ES3_N6thrust23THRUST_200600_302600_NS6detail15normal_iteratorINS9_10device_ptrItEEEESE_tNS9_4plusIvEEtEEDaPvRmT3_T4_T5_mT6_P12ihipStream_tbENKUlT_T0_E_clISt17integral_constantIbLb0EESU_EEDaSP_SQ_EUlSP_E_NS1_11comp_targetILNS1_3genE4ELNS1_11target_archE910ELNS1_3gpuE8ELNS1_3repE0EEENS1_30default_config_static_selectorELNS0_4arch9wavefront6targetE1EEEvT1_,@function
_ZN7rocprim17ROCPRIM_400000_NS6detail17trampoline_kernelINS0_14default_configENS1_20scan_config_selectorItEEZZNS1_9scan_implILNS1_25lookback_scan_determinismE0ELb1ELb1ES3_N6thrust23THRUST_200600_302600_NS6detail15normal_iteratorINS9_10device_ptrItEEEESE_tNS9_4plusIvEEtEEDaPvRmT3_T4_T5_mT6_P12ihipStream_tbENKUlT_T0_E_clISt17integral_constantIbLb0EESU_EEDaSP_SQ_EUlSP_E_NS1_11comp_targetILNS1_3genE4ELNS1_11target_archE910ELNS1_3gpuE8ELNS1_3repE0EEENS1_30default_config_static_selectorELNS0_4arch9wavefront6targetE1EEEvT1_: ; @_ZN7rocprim17ROCPRIM_400000_NS6detail17trampoline_kernelINS0_14default_configENS1_20scan_config_selectorItEEZZNS1_9scan_implILNS1_25lookback_scan_determinismE0ELb1ELb1ES3_N6thrust23THRUST_200600_302600_NS6detail15normal_iteratorINS9_10device_ptrItEEEESE_tNS9_4plusIvEEtEEDaPvRmT3_T4_T5_mT6_P12ihipStream_tbENKUlT_T0_E_clISt17integral_constantIbLb0EESU_EEDaSP_SQ_EUlSP_E_NS1_11comp_targetILNS1_3genE4ELNS1_11target_archE910ELNS1_3gpuE8ELNS1_3repE0EEENS1_30default_config_static_selectorELNS0_4arch9wavefront6targetE1EEEvT1_
; %bb.0:
	s_load_dwordx8 s[12:19], s[4:5], 0x0
	s_load_dword s1, s[4:5], 0x30
	s_mul_i32 s0, s6, 0x600
	v_lshlrev_b32_e32 v20, 1, v0
	s_waitcnt lgkmcnt(0)
	s_lshl_b64 s[22:23], s[14:15], 1
	s_add_u32 s27, s12, s22
	s_addc_u32 s28, s13, s23
	s_add_i32 s2, s1, -1
	s_mul_i32 s3, s2, 0x600
	s_sub_u32 s7, s18, s3
	s_subb_u32 s26, s19, 0
	s_mov_b32 s1, 0
	s_cmp_lg_u32 s6, s2
	s_cselect_b64 s[18:19], -1, 0
	s_lshl_b64 s[20:21], s[0:1], 1
	s_add_u32 s2, s27, s20
	s_addc_u32 s3, s28, s21
	s_mov_b64 s[0:1], -1
	s_and_b64 vcc, exec, s[18:19]
	s_cbranch_vccz .LBB4792_2
; %bb.1:
	v_mov_b32_e32 v1, s3
	v_add_co_u32_e32 v2, vcc, s2, v20
	v_addc_co_u32_e32 v3, vcc, 0, v1, vcc
	flat_load_ushort v1, v[2:3]
	flat_load_ushort v4, v[2:3] offset:128
	flat_load_ushort v5, v[2:3] offset:256
	flat_load_ushort v6, v[2:3] offset:384
	flat_load_ushort v7, v[2:3] offset:512
	flat_load_ushort v8, v[2:3] offset:640
	flat_load_ushort v9, v[2:3] offset:768
	flat_load_ushort v10, v[2:3] offset:896
	flat_load_ushort v11, v[2:3] offset:1024
	flat_load_ushort v12, v[2:3] offset:1152
	flat_load_ushort v13, v[2:3] offset:1280
	flat_load_ushort v14, v[2:3] offset:1408
	flat_load_ushort v15, v[2:3] offset:1536
	flat_load_ushort v16, v[2:3] offset:1664
	flat_load_ushort v17, v[2:3] offset:1792
	flat_load_ushort v18, v[2:3] offset:1920
	flat_load_ushort v19, v[2:3] offset:2048
	flat_load_ushort v21, v[2:3] offset:2176
	flat_load_ushort v22, v[2:3] offset:2304
	flat_load_ushort v23, v[2:3] offset:2432
	flat_load_ushort v24, v[2:3] offset:2560
	flat_load_ushort v25, v[2:3] offset:2688
	flat_load_ushort v26, v[2:3] offset:2816
	flat_load_ushort v27, v[2:3] offset:2944
	s_mov_b64 s[0:1], 0
	s_waitcnt vmcnt(0) lgkmcnt(0)
	ds_write_b16 v20, v1
	ds_write_b16 v20, v4 offset:128
	ds_write_b16 v20, v5 offset:256
	;; [unrolled: 1-line block ×23, first 2 shown]
	s_waitcnt lgkmcnt(0)
	; wave barrier
.LBB4792_2:
	s_load_dwordx2 s[24:25], s[4:5], 0x28
	s_andn2_b64 vcc, exec, s[0:1]
	v_cmp_gt_u32_e64 s[0:1], s7, v0
	s_cbranch_vccnz .LBB4792_52
; %bb.3:
	v_pk_mov_b32 v[2:3], s[2:3], s[2:3] op_sel:[0,1]
	flat_load_ushort v1, v[2:3]
	s_waitcnt vmcnt(0) lgkmcnt(0)
	v_mov_b32_e32 v2, v1
	s_and_saveexec_b64 s[8:9], s[0:1]
	s_cbranch_execz .LBB4792_5
; %bb.4:
	v_mov_b32_e32 v3, s3
	v_add_co_u32_e32 v2, vcc, s2, v20
	v_addc_co_u32_e32 v3, vcc, 0, v3, vcc
	flat_load_ushort v2, v[2:3]
.LBB4792_5:
	s_or_b64 exec, exec, s[8:9]
	v_or_b32_e32 v3, 64, v0
	v_cmp_gt_u32_e32 vcc, s7, v3
	v_mov_b32_e32 v3, v1
	s_and_saveexec_b64 s[0:1], vcc
	s_cbranch_execz .LBB4792_7
; %bb.6:
	v_mov_b32_e32 v3, s3
	v_add_co_u32_e32 v4, vcc, s2, v20
	v_addc_co_u32_e32 v5, vcc, 0, v3, vcc
	flat_load_ushort v3, v[4:5] offset:128
.LBB4792_7:
	s_or_b64 exec, exec, s[0:1]
	v_or_b32_e32 v4, 0x80, v0
	v_cmp_gt_u32_e32 vcc, s7, v4
	v_mov_b32_e32 v4, v1
	s_and_saveexec_b64 s[0:1], vcc
	s_cbranch_execz .LBB4792_9
; %bb.8:
	v_mov_b32_e32 v5, s3
	v_add_co_u32_e32 v4, vcc, s2, v20
	v_addc_co_u32_e32 v5, vcc, 0, v5, vcc
	flat_load_ushort v4, v[4:5] offset:256
.LBB4792_9:
	;; [unrolled: 12-line block ×22, first 2 shown]
	s_or_b64 exec, exec, s[0:1]
	v_or_b32_e32 v26, 0x5c0, v0
	v_cmp_gt_u32_e32 vcc, s7, v26
	s_and_saveexec_b64 s[0:1], vcc
	s_cbranch_execz .LBB4792_51
; %bb.50:
	v_mov_b32_e32 v1, s3
	v_add_co_u32_e32 v26, vcc, s2, v20
	v_addc_co_u32_e32 v27, vcc, 0, v1, vcc
	flat_load_ushort v1, v[26:27] offset:2944
.LBB4792_51:
	s_or_b64 exec, exec, s[0:1]
	s_waitcnt vmcnt(0) lgkmcnt(0)
	ds_write_b16 v20, v2
	ds_write_b16 v20, v3 offset:128
	ds_write_b16 v20, v4 offset:256
	;; [unrolled: 1-line block ×23, first 2 shown]
	s_waitcnt lgkmcnt(0)
	; wave barrier
.LBB4792_52:
	v_mul_u32_u24_e32 v21, 24, v0
	v_lshlrev_b32_e32 v1, 1, v21
	s_waitcnt lgkmcnt(0)
	ds_read_b128 v[10:13], v1
	ds_read_b128 v[6:9], v1 offset:16
	ds_read_b128 v[2:5], v1 offset:32
	s_cmp_lg_u32 s6, 0
	v_mbcnt_lo_u32_b32 v22, -1, 0
	s_waitcnt lgkmcnt(2)
	v_add_u16_sdwa v14, v10, v10 dst_sel:DWORD dst_unused:UNUSED_PAD src0_sel:WORD_1 src1_sel:DWORD
	v_add_u16_e32 v23, v14, v11
	v_cmp_eq_u32_e32 vcc, 63, v0
	s_waitcnt lgkmcnt(0)
	; wave barrier
	s_waitcnt lgkmcnt(0)
	s_cbranch_scc0 .LBB4792_75
; %bb.53:
	v_add_u16_sdwa v14, v23, v11 dst_sel:DWORD dst_unused:UNUSED_PAD src0_sel:DWORD src1_sel:WORD_1
	v_add_u16_e32 v14, v14, v12
	v_add_u16_sdwa v14, v14, v12 dst_sel:DWORD dst_unused:UNUSED_PAD src0_sel:DWORD src1_sel:WORD_1
	v_add_u16_e32 v14, v14, v13
	;; [unrolled: 2-line block ×10, first 2 shown]
	v_mbcnt_hi_u32_b32 v15, -1, v22
	v_add_u16_sdwa v14, v14, v5 dst_sel:DWORD dst_unused:UNUSED_PAD src0_sel:DWORD src1_sel:WORD_1
	v_and_b32_e32 v16, 15, v15
	v_cmp_ne_u32_e64 s[0:1], 0, v16
	v_mov_b32_dpp v17, v14 row_shr:1 row_mask:0xf bank_mask:0xf
	v_cndmask_b32_e64 v17, 0, v17, s[0:1]
	v_add_u16_e32 v14, v17, v14
	v_cmp_lt_u32_e64 s[0:1], 1, v16
	s_nop 0
	v_mov_b32_dpp v17, v14 row_shr:2 row_mask:0xf bank_mask:0xf
	v_cndmask_b32_e64 v17, 0, v17, s[0:1]
	v_add_u16_e32 v14, v14, v17
	v_cmp_lt_u32_e64 s[0:1], 3, v16
	s_nop 0
	v_mov_b32_dpp v17, v14 row_shr:4 row_mask:0xf bank_mask:0xf
	v_cndmask_b32_e64 v17, 0, v17, s[0:1]
	v_add_u16_e32 v14, v14, v17
	v_cmp_lt_u32_e64 s[0:1], 7, v16
	s_nop 0
	v_mov_b32_dpp v17, v14 row_shr:8 row_mask:0xf bank_mask:0xf
	v_cndmask_b32_e64 v16, 0, v17, s[0:1]
	v_add_u16_e32 v14, v14, v16
	v_and_b32_e32 v17, 16, v15
	v_cmp_ne_u32_e64 s[0:1], 0, v17
	v_mov_b32_dpp v16, v14 row_bcast:15 row_mask:0xf bank_mask:0xf
	v_cndmask_b32_e64 v16, 0, v16, s[0:1]
	v_add_u16_e32 v14, v14, v16
	v_cmp_lt_u32_e64 s[0:1], 31, v15
	s_nop 0
	v_mov_b32_dpp v16, v14 row_bcast:31 row_mask:0xf bank_mask:0xf
	v_cndmask_b32_e64 v16, 0, v16, s[0:1]
	v_add_u16_e32 v14, v14, v16
	s_and_saveexec_b64 s[0:1], vcc
	s_cbranch_execz .LBB4792_55
; %bb.54:
	v_mov_b32_e32 v16, 0
	ds_write_b16 v16, v14
.LBB4792_55:
	s_or_b64 exec, exec, s[0:1]
	v_add_u32_e32 v16, -1, v15
	v_and_b32_e32 v17, 64, v15
	v_cmp_lt_i32_e32 vcc, v16, v17
	v_cndmask_b32_e32 v16, v16, v15, vcc
	v_lshlrev_b32_e32 v16, 2, v16
	ds_bpermute_b32 v24, v16, v14
	v_cmp_gt_u32_e32 vcc, 64, v0
	s_waitcnt lgkmcnt(0)
	; wave barrier
	s_waitcnt lgkmcnt(0)
	s_and_saveexec_b64 s[10:11], vcc
	s_cbranch_execz .LBB4792_74
; %bb.56:
	v_mov_b32_e32 v17, 0
	ds_read_u16 v25, v17
	s_mov_b32 s9, 0
	v_cmp_eq_u32_e64 s[0:1], 0, v15
	s_and_saveexec_b64 s[2:3], s[0:1]
	s_cbranch_execz .LBB4792_58
; %bb.57:
	s_add_i32 s8, s6, 64
	s_lshl_b64 s[8:9], s[8:9], 2
	s_add_u32 s8, s24, s8
	s_waitcnt lgkmcnt(0)
	v_or_b32_e32 v14, 0x10000, v25
	s_addc_u32 s9, s25, s9
	global_store_dword v17, v14, s[8:9]
.LBB4792_58:
	s_or_b64 exec, exec, s[2:3]
	v_xad_u32 v14, v15, -1, s6
	v_add_u32_e32 v16, 64, v14
	v_lshlrev_b64 v[18:19], 2, v[16:17]
	v_mov_b32_e32 v16, s25
	v_add_co_u32_e32 v18, vcc, s24, v18
	v_addc_co_u32_e32 v19, vcc, v16, v19, vcc
	global_load_dword v38, v[18:19], off glc
	s_waitcnt vmcnt(0)
	v_lshrrev_b32_e32 v27, 16, v38
	v_cmp_eq_u16_sdwa s[8:9], v27, v17 src0_sel:BYTE_0 src1_sel:DWORD
	s_and_saveexec_b64 s[2:3], s[8:9]
	s_cbranch_execz .LBB4792_62
; %bb.59:
	s_mov_b64 s[8:9], 0
	v_mov_b32_e32 v16, 0
.LBB4792_60:                            ; =>This Inner Loop Header: Depth=1
	global_load_dword v38, v[18:19], off glc
	s_waitcnt vmcnt(0)
	v_lshrrev_b32_e32 v27, 16, v38
	v_cmp_ne_u16_sdwa s[12:13], v27, v16 src0_sel:BYTE_0 src1_sel:DWORD
	s_or_b64 s[8:9], s[12:13], s[8:9]
	s_andn2_b64 exec, exec, s[8:9]
	s_cbranch_execnz .LBB4792_60
; %bb.61:
	s_or_b64 exec, exec, s[8:9]
.LBB4792_62:
	s_or_b64 exec, exec, s[2:3]
	v_and_b32_e32 v28, 63, v15
	v_cmp_ne_u32_e32 vcc, 63, v28
	v_mov_b32_e32 v26, 2
	v_addc_co_u32_e32 v29, vcc, 0, v15, vcc
	v_cmp_eq_u16_sdwa s[2:3], v27, v26 src0_sel:BYTE_0 src1_sel:DWORD
	v_lshlrev_b64 v[16:17], v15, -1
	v_and_b32_e32 v30, 0xffff, v38
	v_lshlrev_b32_e32 v29, 2, v29
	v_and_b32_e32 v18, s3, v17
	ds_bpermute_b32 v31, v29, v30
	v_or_b32_e32 v18, 0x80000000, v18
	v_and_b32_e32 v19, s2, v16
	v_ffbl_b32_e32 v18, v18
	v_add_u32_e32 v18, 32, v18
	v_ffbl_b32_e32 v19, v19
	v_min_u32_e32 v18, v19, v18
	s_waitcnt lgkmcnt(0)
	v_add_u16_e32 v19, v31, v38
	v_cmp_lt_u32_e32 vcc, v28, v18
	v_cmp_gt_u32_e64 s[2:3], 62, v28
	v_cndmask_b32_e32 v32, v30, v19, vcc
	v_cndmask_b32_e64 v30, 0, 1, s[2:3]
	v_lshlrev_b32_e32 v30, 1, v30
	v_add_lshl_u32 v30, v30, v15, 2
	ds_bpermute_b32 v33, v30, v32
	v_cndmask_b32_e32 v19, v38, v19, vcc
	v_add_u32_e32 v31, 2, v28
	v_cmp_gt_u32_e64 s[2:3], v31, v18
	v_cmp_gt_u32_e64 s[8:9], 60, v28
	s_waitcnt lgkmcnt(0)
	v_add_u16_e32 v33, v19, v33
	v_cndmask_b32_e64 v34, v33, v32, s[2:3]
	v_cndmask_b32_e64 v32, 0, 1, s[8:9]
	v_lshlrev_b32_e32 v32, 2, v32
	v_add_lshl_u32 v32, v32, v15, 2
	ds_bpermute_b32 v35, v32, v34
	v_cndmask_b32_e64 v19, v33, v19, s[2:3]
	v_add_u32_e32 v33, 4, v28
	v_cmp_gt_u32_e64 s[2:3], v33, v18
	v_cmp_gt_u32_e64 s[8:9], 56, v28
	s_waitcnt lgkmcnt(0)
	v_add_u16_e32 v35, v19, v35
	v_cndmask_b32_e64 v36, v35, v34, s[2:3]
	v_cndmask_b32_e64 v34, 0, 1, s[8:9]
	v_lshlrev_b32_e32 v34, 3, v34
	v_add_lshl_u32 v34, v34, v15, 2
	ds_bpermute_b32 v37, v34, v36
	v_cndmask_b32_e64 v19, v35, v19, s[2:3]
	;; [unrolled: 11-line block ×3, first 2 shown]
	v_add_u32_e32 v37, 16, v28
	v_cmp_gt_u32_e64 s[2:3], v37, v18
	v_cmp_gt_u32_e64 s[8:9], 32, v28
	s_waitcnt lgkmcnt(0)
	v_add_u16_e32 v41, v19, v40
	v_cndmask_b32_e64 v40, v41, v39, s[2:3]
	v_cndmask_b32_e64 v39, 0, 1, s[8:9]
	v_lshlrev_b32_e32 v39, 5, v39
	v_add_lshl_u32 v39, v39, v15, 2
	ds_bpermute_b32 v15, v39, v40
	v_add_u32_e32 v40, 32, v28
	v_cndmask_b32_e64 v19, v41, v19, s[2:3]
	v_cmp_le_u32_e64 s[2:3], v40, v18
	s_waitcnt lgkmcnt(0)
	v_cndmask_b32_e64 v15, 0, v15, s[2:3]
	v_add_u16_e32 v15, v19, v15
	v_cndmask_b32_e32 v18, v38, v15, vcc
	v_mov_b32_e32 v15, 0
	s_branch .LBB4792_64
.LBB4792_63:                            ;   in Loop: Header=BB4792_64 Depth=1
	s_or_b64 exec, exec, s[2:3]
	v_cmp_eq_u16_sdwa s[2:3], v27, v26 src0_sel:BYTE_0 src1_sel:DWORD
	v_and_b32_e32 v42, 0xffff, v41
	v_and_b32_e32 v18, s3, v17
	ds_bpermute_b32 v43, v29, v42
	v_or_b32_e32 v18, 0x80000000, v18
	v_and_b32_e32 v19, s2, v16
	v_ffbl_b32_e32 v18, v18
	v_add_u32_e32 v18, 32, v18
	v_ffbl_b32_e32 v19, v19
	v_min_u32_e32 v18, v19, v18
	s_waitcnt lgkmcnt(0)
	v_add_u16_e32 v19, v43, v41
	v_cmp_lt_u32_e32 vcc, v28, v18
	v_cndmask_b32_e32 v42, v42, v19, vcc
	ds_bpermute_b32 v43, v30, v42
	v_cndmask_b32_e32 v19, v41, v19, vcc
	v_cmp_gt_u32_e64 s[2:3], v31, v18
	v_subrev_u32_e32 v14, 64, v14
	s_waitcnt lgkmcnt(0)
	v_add_u16_e32 v43, v19, v43
	v_cndmask_b32_e64 v42, v43, v42, s[2:3]
	ds_bpermute_b32 v44, v32, v42
	v_cndmask_b32_e64 v19, v43, v19, s[2:3]
	v_cmp_gt_u32_e64 s[2:3], v33, v18
	s_waitcnt lgkmcnt(0)
	v_add_u16_e32 v43, v19, v44
	v_cndmask_b32_e64 v42, v43, v42, s[2:3]
	ds_bpermute_b32 v44, v34, v42
	v_cndmask_b32_e64 v19, v43, v19, s[2:3]
	v_cmp_gt_u32_e64 s[2:3], v35, v18
	s_waitcnt lgkmcnt(0)
	v_add_u16_e32 v43, v19, v44
	v_cndmask_b32_e64 v42, v43, v42, s[2:3]
	ds_bpermute_b32 v44, v36, v42
	v_cndmask_b32_e64 v19, v43, v19, s[2:3]
	v_cmp_gt_u32_e64 s[2:3], v37, v18
	s_waitcnt lgkmcnt(0)
	v_add_u16_e32 v43, v19, v44
	v_cndmask_b32_e64 v42, v43, v42, s[2:3]
	ds_bpermute_b32 v42, v39, v42
	v_cndmask_b32_e64 v19, v43, v19, s[2:3]
	v_cmp_le_u32_e64 s[2:3], v40, v18
	s_waitcnt lgkmcnt(0)
	v_cndmask_b32_e64 v18, 0, v42, s[2:3]
	v_add_u16_e32 v18, v19, v18
	v_cndmask_b32_e32 v18, v41, v18, vcc
	v_add_u16_e32 v18, v18, v38
.LBB4792_64:                            ; =>This Loop Header: Depth=1
                                        ;     Child Loop BB4792_67 Depth 2
	v_cmp_ne_u16_sdwa s[2:3], v27, v26 src0_sel:BYTE_0 src1_sel:DWORD
	v_cndmask_b32_e64 v19, 0, 1, s[2:3]
	;;#ASMSTART
	;;#ASMEND
	v_cmp_ne_u32_e32 vcc, 0, v19
	s_cmp_lg_u64 vcc, exec
	v_mov_b32_e32 v38, v18
	s_cbranch_scc1 .LBB4792_69
; %bb.65:                               ;   in Loop: Header=BB4792_64 Depth=1
	v_lshlrev_b64 v[18:19], 2, v[14:15]
	v_mov_b32_e32 v27, s25
	v_add_co_u32_e32 v18, vcc, s24, v18
	v_addc_co_u32_e32 v19, vcc, v27, v19, vcc
	global_load_dword v41, v[18:19], off glc
	s_waitcnt vmcnt(0)
	v_lshrrev_b32_e32 v27, 16, v41
	v_cmp_eq_u16_sdwa s[8:9], v27, v15 src0_sel:BYTE_0 src1_sel:DWORD
	s_and_saveexec_b64 s[2:3], s[8:9]
	s_cbranch_execz .LBB4792_63
; %bb.66:                               ;   in Loop: Header=BB4792_64 Depth=1
	s_mov_b64 s[8:9], 0
.LBB4792_67:                            ;   Parent Loop BB4792_64 Depth=1
                                        ; =>  This Inner Loop Header: Depth=2
	global_load_dword v41, v[18:19], off glc
	s_waitcnt vmcnt(0)
	v_lshrrev_b32_e32 v27, 16, v41
	v_cmp_ne_u16_sdwa s[12:13], v27, v15 src0_sel:BYTE_0 src1_sel:DWORD
	s_or_b64 s[8:9], s[12:13], s[8:9]
	s_andn2_b64 exec, exec, s[8:9]
	s_cbranch_execnz .LBB4792_67
; %bb.68:                               ;   in Loop: Header=BB4792_64 Depth=1
	s_or_b64 exec, exec, s[8:9]
	s_branch .LBB4792_63
.LBB4792_69:                            ;   in Loop: Header=BB4792_64 Depth=1
                                        ; implicit-def: $vgpr18
                                        ; implicit-def: $vgpr27
	s_cbranch_execz .LBB4792_64
; %bb.70:
	s_and_saveexec_b64 s[2:3], s[0:1]
	s_cbranch_execz .LBB4792_72
; %bb.71:
	s_add_i32 s0, s6, 64
	s_mov_b32 s1, 0
	s_lshl_b64 s[0:1], s[0:1], 2
	v_add_u16_e32 v14, v38, v25
	s_add_u32 s0, s24, s0
	v_or_b32_e32 v14, 0x20000, v14
	s_addc_u32 s1, s25, s1
	v_mov_b32_e32 v15, 0
	global_store_dword v15, v14, s[0:1]
.LBB4792_72:
	s_or_b64 exec, exec, s[2:3]
	v_cmp_eq_u32_e32 vcc, 0, v0
	s_and_b64 exec, exec, vcc
	s_cbranch_execz .LBB4792_74
; %bb.73:
	v_mov_b32_e32 v14, 0
	ds_write_b16 v14, v38
.LBB4792_74:
	s_or_b64 exec, exec, s[10:11]
	v_mov_b32_e32 v14, 0
	s_waitcnt lgkmcnt(0)
	; wave barrier
	s_waitcnt lgkmcnt(0)
	ds_read_u16 v14, v14
	v_cmp_ne_u32_e32 vcc, 0, v0
	v_cndmask_b32_e32 v15, 0, v24, vcc
	s_waitcnt lgkmcnt(0)
	v_add_u16_e32 v14, v14, v15
	s_load_dwordx8 s[8:15], s[4:5], 0x38
	s_branch .LBB4792_83
.LBB4792_75:
                                        ; implicit-def: $vgpr14
	s_load_dwordx8 s[8:15], s[4:5], 0x38
	s_cbranch_execz .LBB4792_83
; %bb.76:
	s_load_dword s0, s[4:5], 0x20
	s_waitcnt lgkmcnt(0)
	s_cmp_eq_u64 s[12:13], 0
	v_mov_b32_e32 v15, s0
	s_cbranch_scc1 .LBB4792_78
; %bb.77:
	v_mov_b32_e32 v15, s28
	v_add_co_u32_e64 v14, vcc, -2, s27
	v_addc_co_u32_e32 v15, vcc, -1, v15, vcc
	v_mov_b32_e32 v16, 0
	flat_load_ushort v17, v[14:15]
	global_load_ushort v18, v16, s[8:9]
	s_waitcnt vmcnt(0) lgkmcnt(0)
	v_add_u16_e32 v15, v18, v17
.LBB4792_78:
	v_add_u16_sdwa v14, v23, v11 dst_sel:DWORD dst_unused:UNUSED_PAD src0_sel:DWORD src1_sel:WORD_1
	v_add_u16_e32 v14, v14, v12
	v_add_u16_sdwa v14, v14, v12 dst_sel:DWORD dst_unused:UNUSED_PAD src0_sel:DWORD src1_sel:WORD_1
	v_add_u16_e32 v14, v14, v13
	;; [unrolled: 2-line block ×10, first 2 shown]
	v_add_u16_sdwa v16, v14, v5 dst_sel:DWORD dst_unused:UNUSED_PAD src0_sel:DWORD src1_sel:WORD_1
	v_mbcnt_hi_u32_b32 v14, -1, v22
	v_and_b32_e32 v17, 15, v14
	v_mov_b32_dpp v18, v16 row_shr:1 row_mask:0xf bank_mask:0xf
	v_cmp_ne_u32_e32 vcc, 0, v17
	v_cndmask_b32_e32 v18, 0, v18, vcc
	v_add_u16_e32 v16, v18, v16
	v_cmp_lt_u32_e32 vcc, 1, v17
	s_nop 0
	v_mov_b32_dpp v18, v16 row_shr:2 row_mask:0xf bank_mask:0xf
	v_cndmask_b32_e32 v18, 0, v18, vcc
	v_add_u16_e32 v16, v16, v18
	v_cmp_lt_u32_e32 vcc, 3, v17
	s_nop 0
	v_mov_b32_dpp v18, v16 row_shr:4 row_mask:0xf bank_mask:0xf
	;; [unrolled: 5-line block ×3, first 2 shown]
	v_cndmask_b32_e32 v17, 0, v18, vcc
	v_add_u16_e32 v16, v16, v17
	v_and_b32_e32 v18, 16, v14
	v_cmp_ne_u32_e32 vcc, 0, v18
	v_mov_b32_dpp v17, v16 row_bcast:15 row_mask:0xf bank_mask:0xf
	v_cndmask_b32_e32 v17, 0, v17, vcc
	v_add_u16_e32 v16, v16, v17
	v_cmp_lt_u32_e32 vcc, 31, v14
	s_nop 0
	v_mov_b32_dpp v17, v16 row_bcast:31 row_mask:0xf bank_mask:0xf
	v_cndmask_b32_e32 v17, 0, v17, vcc
	v_add_u16_e32 v16, v16, v17
	v_cmp_eq_u32_e32 vcc, 63, v0
	s_and_saveexec_b64 s[0:1], vcc
	s_cbranch_execz .LBB4792_80
; %bb.79:
	v_mov_b32_e32 v17, 0
	ds_write_b16 v17, v16
.LBB4792_80:
	s_or_b64 exec, exec, s[0:1]
	v_add_u32_e32 v17, -1, v14
	v_and_b32_e32 v18, 64, v14
	v_cmp_lt_i32_e32 vcc, v17, v18
	v_cndmask_b32_e32 v17, v17, v14, vcc
	v_add_u16_e32 v16, v16, v15
	v_lshlrev_b32_e32 v17, 2, v17
	ds_bpermute_b32 v16, v17, v16
	v_cmp_eq_u32_e32 vcc, 0, v14
	v_cmp_eq_u32_e64 s[0:1], 0, v0
	s_or_b64 vcc, s[0:1], vcc
	s_waitcnt lgkmcnt(0)
	v_cndmask_b32_e32 v14, v16, v15, vcc
	; wave barrier
	s_and_saveexec_b64 s[2:3], s[0:1]
	s_cbranch_execz .LBB4792_82
; %bb.81:
	v_mov_b32_e32 v14, 0
	ds_read_u16 v16, v14
	s_waitcnt lgkmcnt(0)
	v_add_u16_e32 v16, v16, v15
	v_or_b32_e32 v16, 0x20000, v16
	global_store_dword v14, v16, s[24:25] offset:256
	v_mov_b32_e32 v14, v15
.LBB4792_82:
	s_or_b64 exec, exec, s[2:3]
.LBB4792_83:
	v_add_u16_e32 v15, v14, v10
	v_add_u16_sdwa v16, v15, v10 dst_sel:DWORD dst_unused:UNUSED_PAD src0_sel:DWORD src1_sel:WORD_1
	v_add_u16_e32 v17, v16, v11
	v_add_u16_sdwa v19, v17, v11 dst_sel:DWORD dst_unused:UNUSED_PAD src0_sel:DWORD src1_sel:WORD_1
	;; [unrolled: 2-line block ×9, first 2 shown]
	v_add_u16_e32 v8, v2, v3
	s_add_u32 s0, s16, s22
	v_add_u16_sdwa v3, v8, v3 dst_sel:DWORD dst_unused:UNUSED_PAD src0_sel:DWORD src1_sel:WORD_1
	s_addc_u32 s1, s17, s23
	v_add_u16_e32 v9, v3, v4
	v_add_u16_sdwa v4, v9, v4 dst_sel:DWORD dst_unused:UNUSED_PAD src0_sel:DWORD src1_sel:WORD_1
	s_add_u32 s2, s0, s20
	v_add_u16_e32 v5, v4, v5
	s_addc_u32 s3, s1, s21
	s_mov_b64 s[0:1], -1
	s_and_b64 vcc, exec, s[18:19]
	s_waitcnt lgkmcnt(0)
	; wave barrier
	s_waitcnt lgkmcnt(0)
	s_cbranch_vccz .LBB4792_85
; %bb.84:
	s_mov_b32 s0, 0x5040100
	v_perm_b32 v31, v27, v25, s0
	v_perm_b32 v30, v23, v19, s0
	;; [unrolled: 1-line block ×4, first 2 shown]
	ds_write_b128 v1, v[28:31]
	v_perm_b32 v31, v26, v24, s0
	v_perm_b32 v30, v22, v18, s0
	;; [unrolled: 1-line block ×4, first 2 shown]
	ds_write_b128 v1, v[28:31] offset:16
	v_perm_b32 v31, v5, v4, s0
	v_perm_b32 v30, v9, v3, s0
	;; [unrolled: 1-line block ×4, first 2 shown]
	ds_write_b128 v1, v[28:31] offset:32
	s_waitcnt lgkmcnt(0)
	; wave barrier
	s_waitcnt lgkmcnt(0)
	ds_read_u16 v30, v20
	ds_read_u16 v31, v20 offset:128
	ds_read_u16 v32, v20 offset:256
	;; [unrolled: 1-line block ×23, first 2 shown]
	v_mov_b32_e32 v29, s3
	v_add_co_u32_e32 v28, vcc, s2, v20
	v_addc_co_u32_e32 v29, vcc, 0, v29, vcc
	s_waitcnt lgkmcnt(14)
	flat_store_short v[28:29], v30
	flat_store_short v[28:29], v31 offset:128
	flat_store_short v[28:29], v32 offset:256
	;; [unrolled: 1-line block ×9, first 2 shown]
	s_waitcnt lgkmcnt(0)
	flat_store_short v[28:29], v40 offset:1280
	flat_store_short v[28:29], v41 offset:1408
	;; [unrolled: 1-line block ×14, first 2 shown]
	s_mov_b64 s[0:1], 0
.LBB4792_85:
	s_andn2_b64 vcc, exec, s[0:1]
	s_cbranch_vccnz .LBB4792_142
; %bb.86:
	s_mov_b32 s0, 0x5040100
	v_perm_b32 v31, v27, v25, s0
	v_perm_b32 v30, v23, v19, s0
	;; [unrolled: 1-line block ×12, first 2 shown]
	ds_write_b128 v1, v[28:31]
	ds_write_b128 v1, v[12:15] offset:16
	ds_write_b128 v1, v[2:5] offset:32
	s_waitcnt lgkmcnt(0)
	; wave barrier
	s_waitcnt lgkmcnt(0)
	ds_read_u16 v5, v20
	ds_read_u16 v4, v20 offset:128
	ds_read_u16 v7, v20 offset:256
	;; [unrolled: 1-line block ×23, first 2 shown]
	v_mov_b32_e32 v3, s3
	v_add_co_u32_e32 v2, vcc, s2, v20
	v_addc_co_u32_e32 v3, vcc, 0, v3, vcc
	v_mov_b32_e32 v1, 0
	v_cmp_gt_u32_e32 vcc, s7, v0
	s_and_saveexec_b64 s[0:1], vcc
	s_cbranch_execz .LBB4792_88
; %bb.87:
	s_waitcnt lgkmcnt(0)
	flat_store_short v[2:3], v5
.LBB4792_88:
	s_or_b64 exec, exec, s[0:1]
	v_or_b32_e32 v20, 64, v0
	v_cmp_gt_u32_e32 vcc, s7, v20
	s_and_saveexec_b64 s[0:1], vcc
	s_cbranch_execz .LBB4792_90
; %bb.89:
	s_waitcnt lgkmcnt(0)
	flat_store_short v[2:3], v4 offset:128
.LBB4792_90:
	s_or_b64 exec, exec, s[0:1]
	v_or_b32_e32 v20, 0x80, v0
	v_cmp_gt_u32_e32 vcc, s7, v20
	s_and_saveexec_b64 s[0:1], vcc
	s_cbranch_execz .LBB4792_92
; %bb.91:
	s_waitcnt lgkmcnt(0)
	flat_store_short v[2:3], v7 offset:256
.LBB4792_92:
	;; [unrolled: 9-line block ×23, first 2 shown]
	s_or_b64 exec, exec, s[0:1]
	v_cmp_lt_u64_e64 s[0:1], s[14:15], 2
	s_and_b64 vcc, exec, s[0:1]
	s_cbranch_vccnz .LBB4792_142
; %bb.135:
	s_add_u32 s0, s7, -1
	s_addc_u32 s1, s26, -1
	s_add_u32 s2, 0, 0xaaaa0000
	s_addc_u32 s3, 0, 42
	s_add_i32 s3, s3, 0xaaaaa80
	s_mul_hi_u32 s7, s2, 0xffffffe8
	s_sub_i32 s7, s7, s2
	s_mul_i32 s8, s3, 0xffffffe8
	s_mul_i32 s4, s2, 0xffffffe8
	s_add_i32 s7, s7, s8
	s_mul_hi_u32 s5, s3, s4
	s_mul_i32 s6, s3, s4
	s_mul_i32 s9, s2, s7
	s_mul_hi_u32 s4, s2, s4
	s_mul_hi_u32 s8, s2, s7
	s_add_u32 s4, s4, s9
	s_addc_u32 s8, 0, s8
	s_add_u32 s4, s4, s6
	s_mul_hi_u32 s9, s3, s7
	s_addc_u32 s4, s8, s5
	s_addc_u32 s5, s9, 0
	s_mul_i32 s6, s3, s7
	s_add_u32 s4, s4, s6
	v_mov_b32_e32 v2, s4
	s_addc_u32 s5, 0, s5
	v_add_co_u32_e32 v2, vcc, s2, v2
	s_cmp_lg_u64 vcc, 0
	s_addc_u32 s2, s3, s5
	v_readfirstlane_b32 s5, v2
	s_mul_i32 s4, s0, s2
	s_mul_hi_u32 s6, s0, s5
	s_mul_hi_u32 s3, s0, s2
	s_add_u32 s4, s6, s4
	s_addc_u32 s3, 0, s3
	s_mul_hi_u32 s7, s1, s5
	s_mul_i32 s5, s1, s5
	s_add_u32 s4, s4, s5
	s_mul_hi_u32 s6, s1, s2
	s_addc_u32 s3, s3, s7
	s_addc_u32 s4, s6, 0
	s_mul_i32 s2, s1, s2
	s_add_u32 s2, s3, s2
	s_addc_u32 s3, 0, s4
	s_add_u32 s4, s2, 1
	s_addc_u32 s5, s3, 0
	s_add_u32 s6, s2, 2
	s_mul_i32 s8, s3, 24
	s_mul_hi_u32 s9, s2, 24
	s_addc_u32 s7, s3, 0
	s_add_i32 s9, s9, s8
	s_mul_i32 s8, s2, 24
	v_mov_b32_e32 v2, s8
	v_sub_co_u32_e32 v2, vcc, s0, v2
	s_cmp_lg_u64 vcc, 0
	s_subb_u32 s8, s1, s9
	v_subrev_co_u32_e32 v3, vcc, 24, v2
	s_cmp_lg_u64 vcc, 0
	s_subb_u32 s9, s8, 0
	v_readfirstlane_b32 s12, v3
	s_cmp_gt_u32 s12, 23
	s_cselect_b32 s12, -1, 0
	s_cmp_eq_u32 s9, 0
	s_cselect_b32 s9, s12, -1
	s_cmp_lg_u32 s9, 0
	s_cselect_b32 s4, s6, s4
	v_readfirstlane_b32 s6, v2
	s_cselect_b32 s5, s7, s5
	s_cmp_gt_u32 s6, 23
	s_cselect_b32 s6, -1, 0
	s_cmp_eq_u32 s8, 0
	s_cselect_b32 s6, s6, -1
	s_cmp_lg_u32 s6, 0
	s_cselect_b32 s3, s5, s3
	s_cselect_b32 s2, s4, s2
	v_cmp_eq_u64_e32 vcc, s[2:3], v[0:1]
	s_and_saveexec_b64 s[2:3], vcc
	s_cbranch_execz .LBB4792_142
; %bb.136:
	v_mul_hi_u32_u24_e32 v1, 24, v0
	v_mov_b32_e32 v2, s1
	v_sub_co_u32_e32 v0, vcc, s0, v21
	v_subb_co_u32_e32 v1, vcc, v2, v1, vcc
	v_cmp_lt_i64_e32 vcc, 11, v[0:1]
	s_mov_b64 s[0:1], 0
	s_mov_b64 s[8:9], 0
	;; [unrolled: 1-line block ×4, first 2 shown]
	s_and_saveexec_b64 s[2:3], vcc
	s_xor_b64 s[2:3], exec, s[2:3]
	s_cbranch_execnz .LBB4792_143
; %bb.137:
	s_andn2_saveexec_b64 s[2:3], s[2:3]
	s_cbranch_execnz .LBB4792_188
.LBB4792_138:
	s_or_b64 exec, exec, s[2:3]
	s_and_saveexec_b64 s[2:3], s[8:9]
	s_cbranch_execnz .LBB4792_205
.LBB4792_139:
	s_or_b64 exec, exec, s[2:3]
	s_and_saveexec_b64 s[2:3], s[6:7]
	s_cbranch_execnz .LBB4792_206
.LBB4792_140:
	s_or_b64 exec, exec, s[2:3]
	s_and_saveexec_b64 s[2:3], s[4:5]
	s_xor_b64 s[2:3], exec, s[2:3]
	s_cbranch_execnz .LBB4792_207
.LBB4792_141:
	s_or_b64 exec, exec, s[2:3]
	s_and_b64 exec, exec, s[0:1]
	s_cbranch_execnz .LBB4792_208
.LBB4792_142:
	s_endpgm
.LBB4792_143:
	v_cmp_lt_i64_e32 vcc, 17, v[0:1]
	s_and_saveexec_b64 s[12:13], vcc
	s_xor_b64 s[12:13], exec, s[12:13]
	s_cbranch_execz .LBB4792_165
; %bb.144:
	v_cmp_lt_i64_e32 vcc, 20, v[0:1]
                                        ; implicit-def: $vgpr10
	s_and_saveexec_b64 s[14:15], vcc
	s_xor_b64 s[14:15], exec, s[14:15]
	s_cbranch_execz .LBB4792_154
; %bb.145:
	v_cmp_lt_i64_e32 vcc, 21, v[0:1]
	s_mov_b64 s[16:17], 0
                                        ; implicit-def: $vgpr10
	s_and_saveexec_b64 s[4:5], vcc
	s_xor_b64 s[4:5], exec, s[4:5]
	s_cbranch_execz .LBB4792_151
; %bb.146:
	v_cmp_lt_i64_e32 vcc, 22, v[0:1]
	s_and_saveexec_b64 s[16:17], vcc
	s_xor_b64 s[16:17], exec, s[16:17]
	s_cbranch_execz .LBB4792_148
; %bb.147:
	v_mov_b32_e32 v2, 0
	s_waitcnt lgkmcnt(0)
	global_store_short v2, v29, s[10:11]
                                        ; implicit-def: $vgpr28
.LBB4792_148:
	s_or_saveexec_b64 s[16:17], s[16:17]
	s_mov_b64 s[18:19], 0
	s_xor_b64 exec, exec, s[16:17]
; %bb.149:
	s_mov_b64 s[18:19], exec
; %bb.150:
	s_or_b64 exec, exec, s[16:17]
	s_and_b64 s[16:17], s[18:19], exec
	s_waitcnt lgkmcnt(0)
	v_mov_b32_e32 v10, v28
                                        ; implicit-def: $vgpr11
.LBB4792_151:
	s_andn2_saveexec_b64 s[4:5], s[4:5]
; %bb.152:
	s_mov_b64 s[6:7], exec
                                        ; implicit-def: $vgpr10
; %bb.153:
	s_or_b64 exec, exec, s[4:5]
	s_and_b64 s[4:5], s[16:17], exec
	s_and_b64 s[6:7], s[6:7], exec
                                        ; implicit-def: $vgpr26
                                        ; implicit-def: $vgpr12
                                        ; implicit-def: $vgpr23
.LBB4792_154:
	s_andn2_saveexec_b64 s[14:15], s[14:15]
	s_cbranch_execz .LBB4792_164
; %bb.155:
	v_cmp_lt_i64_e32 vcc, 18, v[0:1]
	s_mov_b64 s[16:17], 0
	s_and_saveexec_b64 s[8:9], vcc
	s_xor_b64 s[8:9], exec, s[8:9]
	s_cbranch_execz .LBB4792_161
; %bb.156:
	v_cmp_lt_i64_e32 vcc, 19, v[0:1]
	s_and_saveexec_b64 s[18:19], vcc
	s_xor_b64 s[18:19], exec, s[18:19]
; %bb.157:
	s_mov_b64 s[16:17], exec
                                        ; implicit-def: $vgpr23
; %bb.158:
	s_andn2_saveexec_b64 s[18:19], s[18:19]
	s_cbranch_execz .LBB4792_160
; %bb.159:
	v_mov_b32_e32 v2, 0
	s_waitcnt lgkmcnt(0)
	global_store_short v2, v23, s[10:11]
                                        ; implicit-def: $vgpr12
.LBB4792_160:
	s_or_b64 exec, exec, s[18:19]
	s_and_b64 s[16:17], s[16:17], exec
                                        ; implicit-def: $vgpr26
.LBB4792_161:
	s_andn2_saveexec_b64 s[8:9], s[8:9]
	s_cbranch_execz .LBB4792_163
; %bb.162:
	v_mov_b32_e32 v2, 0
	s_waitcnt lgkmcnt(0)
	global_store_short v2, v26, s[10:11]
                                        ; implicit-def: $vgpr12
.LBB4792_163:
	s_or_b64 exec, exec, s[8:9]
	s_and_b64 s[8:9], s[16:17], exec
                                        ; implicit-def: $vgpr10
                                        ; implicit-def: $vgpr11
.LBB4792_164:
	s_or_b64 exec, exec, s[14:15]
	s_and_b64 s[4:5], s[4:5], exec
	s_and_b64 s[6:7], s[6:7], exec
	;; [unrolled: 1-line block ×3, first 2 shown]
                                        ; implicit-def: $vgpr18
                                        ; implicit-def: $vgpr13
                                        ; implicit-def: $vgpr14
                                        ; implicit-def: $vgpr24
                                        ; implicit-def: $vgpr27
.LBB4792_165:
	s_andn2_saveexec_b64 s[12:13], s[12:13]
	s_cbranch_execz .LBB4792_187
; %bb.166:
	v_cmp_lt_i64_e32 vcc, 14, v[0:1]
	s_mov_b64 s[14:15], s[4:5]
	s_and_saveexec_b64 s[16:17], vcc
	s_xor_b64 s[16:17], exec, s[16:17]
	s_cbranch_execz .LBB4792_176
; %bb.167:
	v_cmp_lt_i64_e32 vcc, 15, v[0:1]
	s_and_saveexec_b64 s[14:15], vcc
	s_xor_b64 s[14:15], exec, s[14:15]
	s_cbranch_execz .LBB4792_173
; %bb.168:
	v_cmp_lt_i64_e32 vcc, 16, v[0:1]
	s_and_saveexec_b64 s[18:19], vcc
	s_xor_b64 s[18:19], exec, s[18:19]
	s_cbranch_execz .LBB4792_170
; %bb.169:
	v_mov_b32_e32 v2, 0
	s_waitcnt lgkmcnt(0)
	global_store_short v2, v27, s[10:11]
                                        ; implicit-def: $vgpr24
.LBB4792_170:
	s_andn2_saveexec_b64 s[18:19], s[18:19]
	s_cbranch_execz .LBB4792_172
; %bb.171:
	v_mov_b32_e32 v2, 0
	s_waitcnt lgkmcnt(0)
	global_store_short v2, v24, s[10:11]
.LBB4792_172:
	s_or_b64 exec, exec, s[18:19]
                                        ; implicit-def: $vgpr10
.LBB4792_173:
	s_or_saveexec_b64 s[14:15], s[14:15]
	s_mov_b64 s[18:19], s[4:5]
	s_xor_b64 exec, exec, s[14:15]
; %bb.174:
	s_or_b64 s[18:19], s[4:5], exec
; %bb.175:
	s_or_b64 exec, exec, s[14:15]
	s_andn2_b64 s[14:15], s[4:5], exec
	s_and_b64 s[18:19], s[18:19], exec
	s_or_b64 s[14:15], s[14:15], s[18:19]
                                        ; implicit-def: $vgpr18
                                        ; implicit-def: $vgpr13
                                        ; implicit-def: $vgpr14
.LBB4792_176:
	s_or_saveexec_b64 s[16:17], s[16:17]
	s_mov_b64 s[18:19], s[6:7]
                                        ; implicit-def: $vgpr11
	s_xor_b64 exec, exec, s[16:17]
	s_cbranch_execz .LBB4792_186
; %bb.177:
	v_cmp_lt_i64_e32 vcc, 12, v[0:1]
	s_mov_b64 s[20:21], s[6:7]
	s_mov_b64 s[22:23], s[14:15]
                                        ; implicit-def: $vgpr10
                                        ; implicit-def: $vgpr11
	s_and_saveexec_b64 s[18:19], vcc
	s_xor_b64 s[18:19], exec, s[18:19]
	s_cbranch_execz .LBB4792_183
; %bb.178:
	v_cmp_lt_i64_e32 vcc, 13, v[0:1]
	s_mov_b64 s[20:21], s[14:15]
	s_and_saveexec_b64 s[22:23], vcc
	s_xor_b64 s[22:23], exec, s[22:23]
; %bb.179:
	s_or_b64 s[20:21], s[14:15], exec
                                        ; implicit-def: $vgpr13
; %bb.180:
	s_or_saveexec_b64 s[22:23], s[22:23]
	s_mov_b64 s[24:25], s[6:7]
	s_xor_b64 exec, exec, s[22:23]
; %bb.181:
	s_or_b64 s[24:25], s[6:7], exec
                                        ; implicit-def: $vgpr14
; %bb.182:
	s_or_b64 exec, exec, s[22:23]
	s_andn2_b64 s[22:23], s[14:15], exec
	s_and_b64 s[20:21], s[20:21], exec
	s_or_b64 s[22:23], s[22:23], s[20:21]
	s_andn2_b64 s[20:21], s[6:7], exec
	s_and_b64 s[24:25], s[24:25], exec
	s_or_b64 s[20:21], s[20:21], s[24:25]
	s_waitcnt lgkmcnt(0)
	v_mov_b32_e32 v10, v14
	v_mov_b32_e32 v11, v13
                                        ; implicit-def: $vgpr18
.LBB4792_183:
	s_andn2_saveexec_b64 s[18:19], s[18:19]
	s_cbranch_execz .LBB4792_185
; %bb.184:
	s_or_b64 s[20:21], s[20:21], exec
                                        ; implicit-def: $vgpr10
	s_waitcnt lgkmcnt(0)
	v_mov_b32_e32 v11, v18
.LBB4792_185:
	s_or_b64 exec, exec, s[18:19]
	s_andn2_b64 s[14:15], s[14:15], exec
	s_and_b64 s[18:19], s[22:23], exec
	s_or_b64 s[14:15], s[14:15], s[18:19]
	s_andn2_b64 s[18:19], s[6:7], exec
	s_and_b64 s[20:21], s[20:21], exec
	s_or_b64 s[18:19], s[18:19], s[20:21]
.LBB4792_186:
	s_or_b64 exec, exec, s[16:17]
	s_andn2_b64 s[4:5], s[4:5], exec
	s_and_b64 s[14:15], s[14:15], exec
	s_or_b64 s[4:5], s[4:5], s[14:15]
	s_andn2_b64 s[6:7], s[6:7], exec
	s_and_b64 s[14:15], s[18:19], exec
	s_or_b64 s[6:7], s[6:7], s[14:15]
                                        ; implicit-def: $vgpr12
.LBB4792_187:
	s_or_b64 exec, exec, s[12:13]
	s_and_b64 s[4:5], s[4:5], exec
	s_and_b64 s[6:7], s[6:7], exec
	;; [unrolled: 1-line block ×3, first 2 shown]
                                        ; implicit-def: $vgpr17
                                        ; implicit-def: $vgpr15
                                        ; implicit-def: $vgpr16
                                        ; implicit-def: $vgpr25
                                        ; implicit-def: $vgpr22
                                        ; implicit-def: $vgpr19
	s_andn2_saveexec_b64 s[2:3], s[2:3]
	s_cbranch_execz .LBB4792_138
.LBB4792_188:
	v_cmp_lt_i64_e32 vcc, 5, v[0:1]
	s_mov_b64 s[14:15], -1
	s_mov_b64 s[12:13], s[8:9]
	s_mov_b64 s[16:17], s[6:7]
	;; [unrolled: 1-line block ×3, first 2 shown]
                                        ; implicit-def: $vgpr10
                                        ; implicit-def: $vgpr11
                                        ; implicit-def: $vgpr12
	s_and_saveexec_b64 s[0:1], vcc
	s_cbranch_execz .LBB4792_204
; %bb.189:
	v_cmp_lt_i64_e32 vcc, 8, v[0:1]
	s_mov_b64 s[12:13], s[8:9]
                                        ; implicit-def: $vgpr12
	s_and_saveexec_b64 s[14:15], vcc
	s_xor_b64 s[14:15], exec, s[14:15]
	s_cbranch_execz .LBB4792_199
; %bb.190:
	v_cmp_lt_i64_e32 vcc, 9, v[0:1]
	s_and_saveexec_b64 s[12:13], vcc
	s_xor_b64 s[12:13], exec, s[12:13]
	s_cbranch_execz .LBB4792_196
; %bb.191:
	v_cmp_lt_i64_e32 vcc, 10, v[0:1]
	s_and_saveexec_b64 s[16:17], vcc
	s_xor_b64 s[16:17], exec, s[16:17]
; %bb.192:
                                        ; implicit-def: $vgpr22
; %bb.193:
	s_andn2_saveexec_b64 s[16:17], s[16:17]
	s_cbranch_execz .LBB4792_195
; %bb.194:
	s_waitcnt lgkmcnt(0)
	v_mov_b32_e32 v19, v22
.LBB4792_195:
	s_or_b64 exec, exec, s[16:17]
                                        ; implicit-def: $vgpr25
.LBB4792_196:
	s_andn2_saveexec_b64 s[12:13], s[12:13]
	s_cbranch_execz .LBB4792_198
; %bb.197:
	s_waitcnt lgkmcnt(0)
	v_mov_b32_e32 v19, v25
.LBB4792_198:
	s_or_b64 exec, exec, s[12:13]
	s_or_b64 s[12:13], s[8:9], exec
	s_waitcnt lgkmcnt(0)
	v_mov_b32_e32 v12, v19
                                        ; implicit-def: $vgpr17
                                        ; implicit-def: $vgpr15
                                        ; implicit-def: $vgpr16
.LBB4792_199:
	s_or_saveexec_b64 s[14:15], s[14:15]
	s_mov_b64 s[16:17], s[6:7]
	s_mov_b64 s[20:21], s[4:5]
                                        ; implicit-def: $vgpr10
                                        ; implicit-def: $vgpr11
	s_xor_b64 exec, exec, s[14:15]
	s_cbranch_execz .LBB4792_203
; %bb.200:
	v_cmp_lt_i64_e32 vcc, 6, v[0:1]
	s_mov_b64 s[20:21], -1
	s_mov_b64 s[18:19], s[12:13]
	s_mov_b64 s[16:17], s[6:7]
	s_and_saveexec_b64 s[22:23], vcc
; %bb.201:
	v_cmp_lt_i64_e32 vcc, 7, v[0:1]
	s_andn2_b64 s[18:19], s[12:13], exec
	s_and_b64 s[24:25], vcc, exec
	s_xor_b64 s[20:21], exec, -1
	s_or_b64 s[16:17], s[6:7], exec
	s_or_b64 s[18:19], s[18:19], s[24:25]
                                        ; implicit-def: $vgpr17
; %bb.202:
	s_or_b64 exec, exec, s[22:23]
	s_andn2_b64 s[22:23], s[4:5], exec
	s_and_b64 s[20:21], s[20:21], exec
	s_or_b64 s[20:21], s[22:23], s[20:21]
	s_andn2_b64 s[22:23], s[6:7], exec
	s_and_b64 s[16:17], s[16:17], exec
	s_andn2_b64 s[12:13], s[12:13], exec
	s_and_b64 s[18:19], s[18:19], exec
	s_or_b64 s[16:17], s[22:23], s[16:17]
	s_or_b64 s[12:13], s[12:13], s[18:19]
	s_waitcnt lgkmcnt(0)
	v_mov_b32_e32 v10, v17
	v_mov_b32_e32 v11, v15
	;; [unrolled: 1-line block ×3, first 2 shown]
.LBB4792_203:
	s_or_b64 exec, exec, s[14:15]
	s_andn2_b64 s[18:19], s[4:5], exec
	s_and_b64 s[20:21], s[20:21], exec
	s_or_b64 s[18:19], s[18:19], s[20:21]
	s_andn2_b64 s[20:21], s[6:7], exec
	s_and_b64 s[16:17], s[16:17], exec
	s_or_b64 s[16:17], s[20:21], s[16:17]
	s_andn2_b64 s[20:21], s[8:9], exec
	s_and_b64 s[12:13], s[12:13], exec
	s_xor_b64 s[14:15], exec, -1
	s_or_b64 s[12:13], s[20:21], s[12:13]
.LBB4792_204:
	s_or_b64 exec, exec, s[0:1]
	s_and_b64 s[0:1], s[14:15], exec
	s_andn2_b64 s[4:5], s[4:5], exec
	s_and_b64 s[14:15], s[18:19], exec
	s_or_b64 s[4:5], s[4:5], s[14:15]
	s_andn2_b64 s[6:7], s[6:7], exec
	s_and_b64 s[14:15], s[16:17], exec
	s_andn2_b64 s[8:9], s[8:9], exec
	s_and_b64 s[12:13], s[12:13], exec
	s_or_b64 s[6:7], s[6:7], s[14:15]
	s_or_b64 s[8:9], s[8:9], s[12:13]
	s_or_b64 exec, exec, s[2:3]
	s_and_saveexec_b64 s[2:3], s[8:9]
	s_cbranch_execz .LBB4792_139
.LBB4792_205:
	v_mov_b32_e32 v2, 0
	s_andn2_b64 s[6:7], s[6:7], exec
	s_waitcnt lgkmcnt(0)
	global_store_short v2, v12, s[10:11]
                                        ; implicit-def: $vgpr10
                                        ; implicit-def: $vgpr11
	s_or_b64 exec, exec, s[2:3]
	s_and_saveexec_b64 s[2:3], s[6:7]
	s_cbranch_execz .LBB4792_140
.LBB4792_206:
	v_mov_b32_e32 v2, 0
	s_waitcnt lgkmcnt(0)
	global_store_short v2, v11, s[10:11]
                                        ; implicit-def: $vgpr10
	s_or_b64 exec, exec, s[2:3]
	s_and_saveexec_b64 s[2:3], s[4:5]
	s_xor_b64 s[2:3], exec, s[2:3]
	s_cbranch_execz .LBB4792_141
.LBB4792_207:
	v_mov_b32_e32 v2, 0
	s_waitcnt lgkmcnt(0)
	global_store_short v2, v10, s[10:11]
	s_or_b64 exec, exec, s[2:3]
	s_and_b64 exec, exec, s[0:1]
	s_cbranch_execz .LBB4792_142
.LBB4792_208:
	v_cmp_lt_i64_e32 vcc, 2, v[0:1]
	s_and_saveexec_b64 s[0:1], vcc
	s_xor_b64 s[0:1], exec, s[0:1]
	s_cbranch_execz .LBB4792_218
; %bb.209:
	v_cmp_lt_i64_e32 vcc, 3, v[0:1]
	s_and_saveexec_b64 s[2:3], vcc
	s_xor_b64 s[2:3], exec, s[2:3]
	s_cbranch_execz .LBB4792_215
; %bb.210:
	;; [unrolled: 5-line block ×3, first 2 shown]
	v_mov_b32_e32 v0, 0
	s_waitcnt lgkmcnt(0)
	global_store_short v0, v9, s[10:11]
                                        ; implicit-def: $vgpr6
.LBB4792_212:
	s_andn2_saveexec_b64 s[4:5], s[4:5]
	s_cbranch_execz .LBB4792_214
; %bb.213:
	v_mov_b32_e32 v0, 0
	s_waitcnt lgkmcnt(0)
	global_store_short v0, v6, s[10:11]
.LBB4792_214:
	s_or_b64 exec, exec, s[4:5]
                                        ; implicit-def: $vgpr8
.LBB4792_215:
	s_andn2_saveexec_b64 s[2:3], s[2:3]
	s_cbranch_execz .LBB4792_217
; %bb.216:
	v_mov_b32_e32 v0, 0
	s_waitcnt lgkmcnt(0)
	global_store_short v0, v8, s[10:11]
.LBB4792_217:
	s_or_b64 exec, exec, s[2:3]
                                        ; implicit-def: $vgpr0_vgpr1
                                        ; implicit-def: $vgpr7
                                        ; implicit-def: $vgpr4
                                        ; implicit-def: $vgpr5
.LBB4792_218:
	s_andn2_saveexec_b64 s[0:1], s[0:1]
	s_cbranch_execz .LBB4792_142
; %bb.219:
	v_cmp_lt_i64_e32 vcc, 1, v[0:1]
	s_and_saveexec_b64 s[0:1], vcc
	s_xor_b64 s[0:1], exec, s[0:1]
	s_cbranch_execz .LBB4792_221
; %bb.220:
	v_mov_b32_e32 v0, 0
	s_waitcnt lgkmcnt(0)
	global_store_short v0, v7, s[10:11]
                                        ; implicit-def: $vgpr4
                                        ; implicit-def: $vgpr0_vgpr1
                                        ; implicit-def: $vgpr5
.LBB4792_221:
	s_andn2_saveexec_b64 s[0:1], s[0:1]
	s_cbranch_execz .LBB4792_142
; %bb.222:
	v_cmp_ne_u64_e32 vcc, 1, v[0:1]
	s_and_saveexec_b64 s[0:1], vcc
	s_xor_b64 s[0:1], exec, s[0:1]
	s_cbranch_execz .LBB4792_224
; %bb.223:
	v_mov_b32_e32 v0, 0
	s_waitcnt lgkmcnt(0)
	global_store_short v0, v5, s[10:11]
                                        ; implicit-def: $vgpr4
.LBB4792_224:
	s_andn2_saveexec_b64 s[0:1], s[0:1]
	s_cbranch_execz .LBB4792_142
; %bb.225:
	v_mov_b32_e32 v0, 0
	s_waitcnt lgkmcnt(0)
	global_store_short v0, v4, s[10:11]
	s_endpgm
	.section	.rodata,"a",@progbits
	.p2align	6, 0x0
	.amdhsa_kernel _ZN7rocprim17ROCPRIM_400000_NS6detail17trampoline_kernelINS0_14default_configENS1_20scan_config_selectorItEEZZNS1_9scan_implILNS1_25lookback_scan_determinismE0ELb1ELb1ES3_N6thrust23THRUST_200600_302600_NS6detail15normal_iteratorINS9_10device_ptrItEEEESE_tNS9_4plusIvEEtEEDaPvRmT3_T4_T5_mT6_P12ihipStream_tbENKUlT_T0_E_clISt17integral_constantIbLb0EESU_EEDaSP_SQ_EUlSP_E_NS1_11comp_targetILNS1_3genE4ELNS1_11target_archE910ELNS1_3gpuE8ELNS1_3repE0EEENS1_30default_config_static_selectorELNS0_4arch9wavefront6targetE1EEEvT1_
		.amdhsa_group_segment_fixed_size 3072
		.amdhsa_private_segment_fixed_size 0
		.amdhsa_kernarg_size 96
		.amdhsa_user_sgpr_count 6
		.amdhsa_user_sgpr_private_segment_buffer 1
		.amdhsa_user_sgpr_dispatch_ptr 0
		.amdhsa_user_sgpr_queue_ptr 0
		.amdhsa_user_sgpr_kernarg_segment_ptr 1
		.amdhsa_user_sgpr_dispatch_id 0
		.amdhsa_user_sgpr_flat_scratch_init 0
		.amdhsa_user_sgpr_kernarg_preload_length 0
		.amdhsa_user_sgpr_kernarg_preload_offset 0
		.amdhsa_user_sgpr_private_segment_size 0
		.amdhsa_uses_dynamic_stack 0
		.amdhsa_system_sgpr_private_segment_wavefront_offset 0
		.amdhsa_system_sgpr_workgroup_id_x 1
		.amdhsa_system_sgpr_workgroup_id_y 0
		.amdhsa_system_sgpr_workgroup_id_z 0
		.amdhsa_system_sgpr_workgroup_info 0
		.amdhsa_system_vgpr_workitem_id 0
		.amdhsa_next_free_vgpr 54
		.amdhsa_next_free_sgpr 29
		.amdhsa_accum_offset 56
		.amdhsa_reserve_vcc 1
		.amdhsa_reserve_flat_scratch 0
		.amdhsa_float_round_mode_32 0
		.amdhsa_float_round_mode_16_64 0
		.amdhsa_float_denorm_mode_32 3
		.amdhsa_float_denorm_mode_16_64 3
		.amdhsa_dx10_clamp 1
		.amdhsa_ieee_mode 1
		.amdhsa_fp16_overflow 0
		.amdhsa_tg_split 0
		.amdhsa_exception_fp_ieee_invalid_op 0
		.amdhsa_exception_fp_denorm_src 0
		.amdhsa_exception_fp_ieee_div_zero 0
		.amdhsa_exception_fp_ieee_overflow 0
		.amdhsa_exception_fp_ieee_underflow 0
		.amdhsa_exception_fp_ieee_inexact 0
		.amdhsa_exception_int_div_zero 0
	.end_amdhsa_kernel
	.section	.text._ZN7rocprim17ROCPRIM_400000_NS6detail17trampoline_kernelINS0_14default_configENS1_20scan_config_selectorItEEZZNS1_9scan_implILNS1_25lookback_scan_determinismE0ELb1ELb1ES3_N6thrust23THRUST_200600_302600_NS6detail15normal_iteratorINS9_10device_ptrItEEEESE_tNS9_4plusIvEEtEEDaPvRmT3_T4_T5_mT6_P12ihipStream_tbENKUlT_T0_E_clISt17integral_constantIbLb0EESU_EEDaSP_SQ_EUlSP_E_NS1_11comp_targetILNS1_3genE4ELNS1_11target_archE910ELNS1_3gpuE8ELNS1_3repE0EEENS1_30default_config_static_selectorELNS0_4arch9wavefront6targetE1EEEvT1_,"axG",@progbits,_ZN7rocprim17ROCPRIM_400000_NS6detail17trampoline_kernelINS0_14default_configENS1_20scan_config_selectorItEEZZNS1_9scan_implILNS1_25lookback_scan_determinismE0ELb1ELb1ES3_N6thrust23THRUST_200600_302600_NS6detail15normal_iteratorINS9_10device_ptrItEEEESE_tNS9_4plusIvEEtEEDaPvRmT3_T4_T5_mT6_P12ihipStream_tbENKUlT_T0_E_clISt17integral_constantIbLb0EESU_EEDaSP_SQ_EUlSP_E_NS1_11comp_targetILNS1_3genE4ELNS1_11target_archE910ELNS1_3gpuE8ELNS1_3repE0EEENS1_30default_config_static_selectorELNS0_4arch9wavefront6targetE1EEEvT1_,comdat
.Lfunc_end4792:
	.size	_ZN7rocprim17ROCPRIM_400000_NS6detail17trampoline_kernelINS0_14default_configENS1_20scan_config_selectorItEEZZNS1_9scan_implILNS1_25lookback_scan_determinismE0ELb1ELb1ES3_N6thrust23THRUST_200600_302600_NS6detail15normal_iteratorINS9_10device_ptrItEEEESE_tNS9_4plusIvEEtEEDaPvRmT3_T4_T5_mT6_P12ihipStream_tbENKUlT_T0_E_clISt17integral_constantIbLb0EESU_EEDaSP_SQ_EUlSP_E_NS1_11comp_targetILNS1_3genE4ELNS1_11target_archE910ELNS1_3gpuE8ELNS1_3repE0EEENS1_30default_config_static_selectorELNS0_4arch9wavefront6targetE1EEEvT1_, .Lfunc_end4792-_ZN7rocprim17ROCPRIM_400000_NS6detail17trampoline_kernelINS0_14default_configENS1_20scan_config_selectorItEEZZNS1_9scan_implILNS1_25lookback_scan_determinismE0ELb1ELb1ES3_N6thrust23THRUST_200600_302600_NS6detail15normal_iteratorINS9_10device_ptrItEEEESE_tNS9_4plusIvEEtEEDaPvRmT3_T4_T5_mT6_P12ihipStream_tbENKUlT_T0_E_clISt17integral_constantIbLb0EESU_EEDaSP_SQ_EUlSP_E_NS1_11comp_targetILNS1_3genE4ELNS1_11target_archE910ELNS1_3gpuE8ELNS1_3repE0EEENS1_30default_config_static_selectorELNS0_4arch9wavefront6targetE1EEEvT1_
                                        ; -- End function
	.section	.AMDGPU.csdata,"",@progbits
; Kernel info:
; codeLenInByte = 7724
; NumSgprs: 33
; NumVgprs: 54
; NumAgprs: 0
; TotalNumVgprs: 54
; ScratchSize: 0
; MemoryBound: 0
; FloatMode: 240
; IeeeMode: 1
; LDSByteSize: 3072 bytes/workgroup (compile time only)
; SGPRBlocks: 4
; VGPRBlocks: 6
; NumSGPRsForWavesPerEU: 33
; NumVGPRsForWavesPerEU: 54
; AccumOffset: 56
; Occupancy: 6
; WaveLimiterHint : 1
; COMPUTE_PGM_RSRC2:SCRATCH_EN: 0
; COMPUTE_PGM_RSRC2:USER_SGPR: 6
; COMPUTE_PGM_RSRC2:TRAP_HANDLER: 0
; COMPUTE_PGM_RSRC2:TGID_X_EN: 1
; COMPUTE_PGM_RSRC2:TGID_Y_EN: 0
; COMPUTE_PGM_RSRC2:TGID_Z_EN: 0
; COMPUTE_PGM_RSRC2:TIDIG_COMP_CNT: 0
; COMPUTE_PGM_RSRC3_GFX90A:ACCUM_OFFSET: 13
; COMPUTE_PGM_RSRC3_GFX90A:TG_SPLIT: 0
	.section	.text._ZN7rocprim17ROCPRIM_400000_NS6detail17trampoline_kernelINS0_14default_configENS1_20scan_config_selectorItEEZZNS1_9scan_implILNS1_25lookback_scan_determinismE0ELb1ELb1ES3_N6thrust23THRUST_200600_302600_NS6detail15normal_iteratorINS9_10device_ptrItEEEESE_tNS9_4plusIvEEtEEDaPvRmT3_T4_T5_mT6_P12ihipStream_tbENKUlT_T0_E_clISt17integral_constantIbLb0EESU_EEDaSP_SQ_EUlSP_E_NS1_11comp_targetILNS1_3genE3ELNS1_11target_archE908ELNS1_3gpuE7ELNS1_3repE0EEENS1_30default_config_static_selectorELNS0_4arch9wavefront6targetE1EEEvT1_,"axG",@progbits,_ZN7rocprim17ROCPRIM_400000_NS6detail17trampoline_kernelINS0_14default_configENS1_20scan_config_selectorItEEZZNS1_9scan_implILNS1_25lookback_scan_determinismE0ELb1ELb1ES3_N6thrust23THRUST_200600_302600_NS6detail15normal_iteratorINS9_10device_ptrItEEEESE_tNS9_4plusIvEEtEEDaPvRmT3_T4_T5_mT6_P12ihipStream_tbENKUlT_T0_E_clISt17integral_constantIbLb0EESU_EEDaSP_SQ_EUlSP_E_NS1_11comp_targetILNS1_3genE3ELNS1_11target_archE908ELNS1_3gpuE7ELNS1_3repE0EEENS1_30default_config_static_selectorELNS0_4arch9wavefront6targetE1EEEvT1_,comdat
	.protected	_ZN7rocprim17ROCPRIM_400000_NS6detail17trampoline_kernelINS0_14default_configENS1_20scan_config_selectorItEEZZNS1_9scan_implILNS1_25lookback_scan_determinismE0ELb1ELb1ES3_N6thrust23THRUST_200600_302600_NS6detail15normal_iteratorINS9_10device_ptrItEEEESE_tNS9_4plusIvEEtEEDaPvRmT3_T4_T5_mT6_P12ihipStream_tbENKUlT_T0_E_clISt17integral_constantIbLb0EESU_EEDaSP_SQ_EUlSP_E_NS1_11comp_targetILNS1_3genE3ELNS1_11target_archE908ELNS1_3gpuE7ELNS1_3repE0EEENS1_30default_config_static_selectorELNS0_4arch9wavefront6targetE1EEEvT1_ ; -- Begin function _ZN7rocprim17ROCPRIM_400000_NS6detail17trampoline_kernelINS0_14default_configENS1_20scan_config_selectorItEEZZNS1_9scan_implILNS1_25lookback_scan_determinismE0ELb1ELb1ES3_N6thrust23THRUST_200600_302600_NS6detail15normal_iteratorINS9_10device_ptrItEEEESE_tNS9_4plusIvEEtEEDaPvRmT3_T4_T5_mT6_P12ihipStream_tbENKUlT_T0_E_clISt17integral_constantIbLb0EESU_EEDaSP_SQ_EUlSP_E_NS1_11comp_targetILNS1_3genE3ELNS1_11target_archE908ELNS1_3gpuE7ELNS1_3repE0EEENS1_30default_config_static_selectorELNS0_4arch9wavefront6targetE1EEEvT1_
	.globl	_ZN7rocprim17ROCPRIM_400000_NS6detail17trampoline_kernelINS0_14default_configENS1_20scan_config_selectorItEEZZNS1_9scan_implILNS1_25lookback_scan_determinismE0ELb1ELb1ES3_N6thrust23THRUST_200600_302600_NS6detail15normal_iteratorINS9_10device_ptrItEEEESE_tNS9_4plusIvEEtEEDaPvRmT3_T4_T5_mT6_P12ihipStream_tbENKUlT_T0_E_clISt17integral_constantIbLb0EESU_EEDaSP_SQ_EUlSP_E_NS1_11comp_targetILNS1_3genE3ELNS1_11target_archE908ELNS1_3gpuE7ELNS1_3repE0EEENS1_30default_config_static_selectorELNS0_4arch9wavefront6targetE1EEEvT1_
	.p2align	8
	.type	_ZN7rocprim17ROCPRIM_400000_NS6detail17trampoline_kernelINS0_14default_configENS1_20scan_config_selectorItEEZZNS1_9scan_implILNS1_25lookback_scan_determinismE0ELb1ELb1ES3_N6thrust23THRUST_200600_302600_NS6detail15normal_iteratorINS9_10device_ptrItEEEESE_tNS9_4plusIvEEtEEDaPvRmT3_T4_T5_mT6_P12ihipStream_tbENKUlT_T0_E_clISt17integral_constantIbLb0EESU_EEDaSP_SQ_EUlSP_E_NS1_11comp_targetILNS1_3genE3ELNS1_11target_archE908ELNS1_3gpuE7ELNS1_3repE0EEENS1_30default_config_static_selectorELNS0_4arch9wavefront6targetE1EEEvT1_,@function
_ZN7rocprim17ROCPRIM_400000_NS6detail17trampoline_kernelINS0_14default_configENS1_20scan_config_selectorItEEZZNS1_9scan_implILNS1_25lookback_scan_determinismE0ELb1ELb1ES3_N6thrust23THRUST_200600_302600_NS6detail15normal_iteratorINS9_10device_ptrItEEEESE_tNS9_4plusIvEEtEEDaPvRmT3_T4_T5_mT6_P12ihipStream_tbENKUlT_T0_E_clISt17integral_constantIbLb0EESU_EEDaSP_SQ_EUlSP_E_NS1_11comp_targetILNS1_3genE3ELNS1_11target_archE908ELNS1_3gpuE7ELNS1_3repE0EEENS1_30default_config_static_selectorELNS0_4arch9wavefront6targetE1EEEvT1_: ; @_ZN7rocprim17ROCPRIM_400000_NS6detail17trampoline_kernelINS0_14default_configENS1_20scan_config_selectorItEEZZNS1_9scan_implILNS1_25lookback_scan_determinismE0ELb1ELb1ES3_N6thrust23THRUST_200600_302600_NS6detail15normal_iteratorINS9_10device_ptrItEEEESE_tNS9_4plusIvEEtEEDaPvRmT3_T4_T5_mT6_P12ihipStream_tbENKUlT_T0_E_clISt17integral_constantIbLb0EESU_EEDaSP_SQ_EUlSP_E_NS1_11comp_targetILNS1_3genE3ELNS1_11target_archE908ELNS1_3gpuE7ELNS1_3repE0EEENS1_30default_config_static_selectorELNS0_4arch9wavefront6targetE1EEEvT1_
; %bb.0:
	.section	.rodata,"a",@progbits
	.p2align	6, 0x0
	.amdhsa_kernel _ZN7rocprim17ROCPRIM_400000_NS6detail17trampoline_kernelINS0_14default_configENS1_20scan_config_selectorItEEZZNS1_9scan_implILNS1_25lookback_scan_determinismE0ELb1ELb1ES3_N6thrust23THRUST_200600_302600_NS6detail15normal_iteratorINS9_10device_ptrItEEEESE_tNS9_4plusIvEEtEEDaPvRmT3_T4_T5_mT6_P12ihipStream_tbENKUlT_T0_E_clISt17integral_constantIbLb0EESU_EEDaSP_SQ_EUlSP_E_NS1_11comp_targetILNS1_3genE3ELNS1_11target_archE908ELNS1_3gpuE7ELNS1_3repE0EEENS1_30default_config_static_selectorELNS0_4arch9wavefront6targetE1EEEvT1_
		.amdhsa_group_segment_fixed_size 0
		.amdhsa_private_segment_fixed_size 0
		.amdhsa_kernarg_size 96
		.amdhsa_user_sgpr_count 6
		.amdhsa_user_sgpr_private_segment_buffer 1
		.amdhsa_user_sgpr_dispatch_ptr 0
		.amdhsa_user_sgpr_queue_ptr 0
		.amdhsa_user_sgpr_kernarg_segment_ptr 1
		.amdhsa_user_sgpr_dispatch_id 0
		.amdhsa_user_sgpr_flat_scratch_init 0
		.amdhsa_user_sgpr_kernarg_preload_length 0
		.amdhsa_user_sgpr_kernarg_preload_offset 0
		.amdhsa_user_sgpr_private_segment_size 0
		.amdhsa_uses_dynamic_stack 0
		.amdhsa_system_sgpr_private_segment_wavefront_offset 0
		.amdhsa_system_sgpr_workgroup_id_x 1
		.amdhsa_system_sgpr_workgroup_id_y 0
		.amdhsa_system_sgpr_workgroup_id_z 0
		.amdhsa_system_sgpr_workgroup_info 0
		.amdhsa_system_vgpr_workitem_id 0
		.amdhsa_next_free_vgpr 1
		.amdhsa_next_free_sgpr 0
		.amdhsa_accum_offset 4
		.amdhsa_reserve_vcc 0
		.amdhsa_reserve_flat_scratch 0
		.amdhsa_float_round_mode_32 0
		.amdhsa_float_round_mode_16_64 0
		.amdhsa_float_denorm_mode_32 3
		.amdhsa_float_denorm_mode_16_64 3
		.amdhsa_dx10_clamp 1
		.amdhsa_ieee_mode 1
		.amdhsa_fp16_overflow 0
		.amdhsa_tg_split 0
		.amdhsa_exception_fp_ieee_invalid_op 0
		.amdhsa_exception_fp_denorm_src 0
		.amdhsa_exception_fp_ieee_div_zero 0
		.amdhsa_exception_fp_ieee_overflow 0
		.amdhsa_exception_fp_ieee_underflow 0
		.amdhsa_exception_fp_ieee_inexact 0
		.amdhsa_exception_int_div_zero 0
	.end_amdhsa_kernel
	.section	.text._ZN7rocprim17ROCPRIM_400000_NS6detail17trampoline_kernelINS0_14default_configENS1_20scan_config_selectorItEEZZNS1_9scan_implILNS1_25lookback_scan_determinismE0ELb1ELb1ES3_N6thrust23THRUST_200600_302600_NS6detail15normal_iteratorINS9_10device_ptrItEEEESE_tNS9_4plusIvEEtEEDaPvRmT3_T4_T5_mT6_P12ihipStream_tbENKUlT_T0_E_clISt17integral_constantIbLb0EESU_EEDaSP_SQ_EUlSP_E_NS1_11comp_targetILNS1_3genE3ELNS1_11target_archE908ELNS1_3gpuE7ELNS1_3repE0EEENS1_30default_config_static_selectorELNS0_4arch9wavefront6targetE1EEEvT1_,"axG",@progbits,_ZN7rocprim17ROCPRIM_400000_NS6detail17trampoline_kernelINS0_14default_configENS1_20scan_config_selectorItEEZZNS1_9scan_implILNS1_25lookback_scan_determinismE0ELb1ELb1ES3_N6thrust23THRUST_200600_302600_NS6detail15normal_iteratorINS9_10device_ptrItEEEESE_tNS9_4plusIvEEtEEDaPvRmT3_T4_T5_mT6_P12ihipStream_tbENKUlT_T0_E_clISt17integral_constantIbLb0EESU_EEDaSP_SQ_EUlSP_E_NS1_11comp_targetILNS1_3genE3ELNS1_11target_archE908ELNS1_3gpuE7ELNS1_3repE0EEENS1_30default_config_static_selectorELNS0_4arch9wavefront6targetE1EEEvT1_,comdat
.Lfunc_end4793:
	.size	_ZN7rocprim17ROCPRIM_400000_NS6detail17trampoline_kernelINS0_14default_configENS1_20scan_config_selectorItEEZZNS1_9scan_implILNS1_25lookback_scan_determinismE0ELb1ELb1ES3_N6thrust23THRUST_200600_302600_NS6detail15normal_iteratorINS9_10device_ptrItEEEESE_tNS9_4plusIvEEtEEDaPvRmT3_T4_T5_mT6_P12ihipStream_tbENKUlT_T0_E_clISt17integral_constantIbLb0EESU_EEDaSP_SQ_EUlSP_E_NS1_11comp_targetILNS1_3genE3ELNS1_11target_archE908ELNS1_3gpuE7ELNS1_3repE0EEENS1_30default_config_static_selectorELNS0_4arch9wavefront6targetE1EEEvT1_, .Lfunc_end4793-_ZN7rocprim17ROCPRIM_400000_NS6detail17trampoline_kernelINS0_14default_configENS1_20scan_config_selectorItEEZZNS1_9scan_implILNS1_25lookback_scan_determinismE0ELb1ELb1ES3_N6thrust23THRUST_200600_302600_NS6detail15normal_iteratorINS9_10device_ptrItEEEESE_tNS9_4plusIvEEtEEDaPvRmT3_T4_T5_mT6_P12ihipStream_tbENKUlT_T0_E_clISt17integral_constantIbLb0EESU_EEDaSP_SQ_EUlSP_E_NS1_11comp_targetILNS1_3genE3ELNS1_11target_archE908ELNS1_3gpuE7ELNS1_3repE0EEENS1_30default_config_static_selectorELNS0_4arch9wavefront6targetE1EEEvT1_
                                        ; -- End function
	.section	.AMDGPU.csdata,"",@progbits
; Kernel info:
; codeLenInByte = 0
; NumSgprs: 4
; NumVgprs: 0
; NumAgprs: 0
; TotalNumVgprs: 0
; ScratchSize: 0
; MemoryBound: 0
; FloatMode: 240
; IeeeMode: 1
; LDSByteSize: 0 bytes/workgroup (compile time only)
; SGPRBlocks: 0
; VGPRBlocks: 0
; NumSGPRsForWavesPerEU: 4
; NumVGPRsForWavesPerEU: 1
; AccumOffset: 4
; Occupancy: 8
; WaveLimiterHint : 0
; COMPUTE_PGM_RSRC2:SCRATCH_EN: 0
; COMPUTE_PGM_RSRC2:USER_SGPR: 6
; COMPUTE_PGM_RSRC2:TRAP_HANDLER: 0
; COMPUTE_PGM_RSRC2:TGID_X_EN: 1
; COMPUTE_PGM_RSRC2:TGID_Y_EN: 0
; COMPUTE_PGM_RSRC2:TGID_Z_EN: 0
; COMPUTE_PGM_RSRC2:TIDIG_COMP_CNT: 0
; COMPUTE_PGM_RSRC3_GFX90A:ACCUM_OFFSET: 0
; COMPUTE_PGM_RSRC3_GFX90A:TG_SPLIT: 0
	.section	.text._ZN7rocprim17ROCPRIM_400000_NS6detail17trampoline_kernelINS0_14default_configENS1_20scan_config_selectorItEEZZNS1_9scan_implILNS1_25lookback_scan_determinismE0ELb1ELb1ES3_N6thrust23THRUST_200600_302600_NS6detail15normal_iteratorINS9_10device_ptrItEEEESE_tNS9_4plusIvEEtEEDaPvRmT3_T4_T5_mT6_P12ihipStream_tbENKUlT_T0_E_clISt17integral_constantIbLb0EESU_EEDaSP_SQ_EUlSP_E_NS1_11comp_targetILNS1_3genE2ELNS1_11target_archE906ELNS1_3gpuE6ELNS1_3repE0EEENS1_30default_config_static_selectorELNS0_4arch9wavefront6targetE1EEEvT1_,"axG",@progbits,_ZN7rocprim17ROCPRIM_400000_NS6detail17trampoline_kernelINS0_14default_configENS1_20scan_config_selectorItEEZZNS1_9scan_implILNS1_25lookback_scan_determinismE0ELb1ELb1ES3_N6thrust23THRUST_200600_302600_NS6detail15normal_iteratorINS9_10device_ptrItEEEESE_tNS9_4plusIvEEtEEDaPvRmT3_T4_T5_mT6_P12ihipStream_tbENKUlT_T0_E_clISt17integral_constantIbLb0EESU_EEDaSP_SQ_EUlSP_E_NS1_11comp_targetILNS1_3genE2ELNS1_11target_archE906ELNS1_3gpuE6ELNS1_3repE0EEENS1_30default_config_static_selectorELNS0_4arch9wavefront6targetE1EEEvT1_,comdat
	.protected	_ZN7rocprim17ROCPRIM_400000_NS6detail17trampoline_kernelINS0_14default_configENS1_20scan_config_selectorItEEZZNS1_9scan_implILNS1_25lookback_scan_determinismE0ELb1ELb1ES3_N6thrust23THRUST_200600_302600_NS6detail15normal_iteratorINS9_10device_ptrItEEEESE_tNS9_4plusIvEEtEEDaPvRmT3_T4_T5_mT6_P12ihipStream_tbENKUlT_T0_E_clISt17integral_constantIbLb0EESU_EEDaSP_SQ_EUlSP_E_NS1_11comp_targetILNS1_3genE2ELNS1_11target_archE906ELNS1_3gpuE6ELNS1_3repE0EEENS1_30default_config_static_selectorELNS0_4arch9wavefront6targetE1EEEvT1_ ; -- Begin function _ZN7rocprim17ROCPRIM_400000_NS6detail17trampoline_kernelINS0_14default_configENS1_20scan_config_selectorItEEZZNS1_9scan_implILNS1_25lookback_scan_determinismE0ELb1ELb1ES3_N6thrust23THRUST_200600_302600_NS6detail15normal_iteratorINS9_10device_ptrItEEEESE_tNS9_4plusIvEEtEEDaPvRmT3_T4_T5_mT6_P12ihipStream_tbENKUlT_T0_E_clISt17integral_constantIbLb0EESU_EEDaSP_SQ_EUlSP_E_NS1_11comp_targetILNS1_3genE2ELNS1_11target_archE906ELNS1_3gpuE6ELNS1_3repE0EEENS1_30default_config_static_selectorELNS0_4arch9wavefront6targetE1EEEvT1_
	.globl	_ZN7rocprim17ROCPRIM_400000_NS6detail17trampoline_kernelINS0_14default_configENS1_20scan_config_selectorItEEZZNS1_9scan_implILNS1_25lookback_scan_determinismE0ELb1ELb1ES3_N6thrust23THRUST_200600_302600_NS6detail15normal_iteratorINS9_10device_ptrItEEEESE_tNS9_4plusIvEEtEEDaPvRmT3_T4_T5_mT6_P12ihipStream_tbENKUlT_T0_E_clISt17integral_constantIbLb0EESU_EEDaSP_SQ_EUlSP_E_NS1_11comp_targetILNS1_3genE2ELNS1_11target_archE906ELNS1_3gpuE6ELNS1_3repE0EEENS1_30default_config_static_selectorELNS0_4arch9wavefront6targetE1EEEvT1_
	.p2align	8
	.type	_ZN7rocprim17ROCPRIM_400000_NS6detail17trampoline_kernelINS0_14default_configENS1_20scan_config_selectorItEEZZNS1_9scan_implILNS1_25lookback_scan_determinismE0ELb1ELb1ES3_N6thrust23THRUST_200600_302600_NS6detail15normal_iteratorINS9_10device_ptrItEEEESE_tNS9_4plusIvEEtEEDaPvRmT3_T4_T5_mT6_P12ihipStream_tbENKUlT_T0_E_clISt17integral_constantIbLb0EESU_EEDaSP_SQ_EUlSP_E_NS1_11comp_targetILNS1_3genE2ELNS1_11target_archE906ELNS1_3gpuE6ELNS1_3repE0EEENS1_30default_config_static_selectorELNS0_4arch9wavefront6targetE1EEEvT1_,@function
_ZN7rocprim17ROCPRIM_400000_NS6detail17trampoline_kernelINS0_14default_configENS1_20scan_config_selectorItEEZZNS1_9scan_implILNS1_25lookback_scan_determinismE0ELb1ELb1ES3_N6thrust23THRUST_200600_302600_NS6detail15normal_iteratorINS9_10device_ptrItEEEESE_tNS9_4plusIvEEtEEDaPvRmT3_T4_T5_mT6_P12ihipStream_tbENKUlT_T0_E_clISt17integral_constantIbLb0EESU_EEDaSP_SQ_EUlSP_E_NS1_11comp_targetILNS1_3genE2ELNS1_11target_archE906ELNS1_3gpuE6ELNS1_3repE0EEENS1_30default_config_static_selectorELNS0_4arch9wavefront6targetE1EEEvT1_: ; @_ZN7rocprim17ROCPRIM_400000_NS6detail17trampoline_kernelINS0_14default_configENS1_20scan_config_selectorItEEZZNS1_9scan_implILNS1_25lookback_scan_determinismE0ELb1ELb1ES3_N6thrust23THRUST_200600_302600_NS6detail15normal_iteratorINS9_10device_ptrItEEEESE_tNS9_4plusIvEEtEEDaPvRmT3_T4_T5_mT6_P12ihipStream_tbENKUlT_T0_E_clISt17integral_constantIbLb0EESU_EEDaSP_SQ_EUlSP_E_NS1_11comp_targetILNS1_3genE2ELNS1_11target_archE906ELNS1_3gpuE6ELNS1_3repE0EEENS1_30default_config_static_selectorELNS0_4arch9wavefront6targetE1EEEvT1_
; %bb.0:
	.section	.rodata,"a",@progbits
	.p2align	6, 0x0
	.amdhsa_kernel _ZN7rocprim17ROCPRIM_400000_NS6detail17trampoline_kernelINS0_14default_configENS1_20scan_config_selectorItEEZZNS1_9scan_implILNS1_25lookback_scan_determinismE0ELb1ELb1ES3_N6thrust23THRUST_200600_302600_NS6detail15normal_iteratorINS9_10device_ptrItEEEESE_tNS9_4plusIvEEtEEDaPvRmT3_T4_T5_mT6_P12ihipStream_tbENKUlT_T0_E_clISt17integral_constantIbLb0EESU_EEDaSP_SQ_EUlSP_E_NS1_11comp_targetILNS1_3genE2ELNS1_11target_archE906ELNS1_3gpuE6ELNS1_3repE0EEENS1_30default_config_static_selectorELNS0_4arch9wavefront6targetE1EEEvT1_
		.amdhsa_group_segment_fixed_size 0
		.amdhsa_private_segment_fixed_size 0
		.amdhsa_kernarg_size 96
		.amdhsa_user_sgpr_count 6
		.amdhsa_user_sgpr_private_segment_buffer 1
		.amdhsa_user_sgpr_dispatch_ptr 0
		.amdhsa_user_sgpr_queue_ptr 0
		.amdhsa_user_sgpr_kernarg_segment_ptr 1
		.amdhsa_user_sgpr_dispatch_id 0
		.amdhsa_user_sgpr_flat_scratch_init 0
		.amdhsa_user_sgpr_kernarg_preload_length 0
		.amdhsa_user_sgpr_kernarg_preload_offset 0
		.amdhsa_user_sgpr_private_segment_size 0
		.amdhsa_uses_dynamic_stack 0
		.amdhsa_system_sgpr_private_segment_wavefront_offset 0
		.amdhsa_system_sgpr_workgroup_id_x 1
		.amdhsa_system_sgpr_workgroup_id_y 0
		.amdhsa_system_sgpr_workgroup_id_z 0
		.amdhsa_system_sgpr_workgroup_info 0
		.amdhsa_system_vgpr_workitem_id 0
		.amdhsa_next_free_vgpr 1
		.amdhsa_next_free_sgpr 0
		.amdhsa_accum_offset 4
		.amdhsa_reserve_vcc 0
		.amdhsa_reserve_flat_scratch 0
		.amdhsa_float_round_mode_32 0
		.amdhsa_float_round_mode_16_64 0
		.amdhsa_float_denorm_mode_32 3
		.amdhsa_float_denorm_mode_16_64 3
		.amdhsa_dx10_clamp 1
		.amdhsa_ieee_mode 1
		.amdhsa_fp16_overflow 0
		.amdhsa_tg_split 0
		.amdhsa_exception_fp_ieee_invalid_op 0
		.amdhsa_exception_fp_denorm_src 0
		.amdhsa_exception_fp_ieee_div_zero 0
		.amdhsa_exception_fp_ieee_overflow 0
		.amdhsa_exception_fp_ieee_underflow 0
		.amdhsa_exception_fp_ieee_inexact 0
		.amdhsa_exception_int_div_zero 0
	.end_amdhsa_kernel
	.section	.text._ZN7rocprim17ROCPRIM_400000_NS6detail17trampoline_kernelINS0_14default_configENS1_20scan_config_selectorItEEZZNS1_9scan_implILNS1_25lookback_scan_determinismE0ELb1ELb1ES3_N6thrust23THRUST_200600_302600_NS6detail15normal_iteratorINS9_10device_ptrItEEEESE_tNS9_4plusIvEEtEEDaPvRmT3_T4_T5_mT6_P12ihipStream_tbENKUlT_T0_E_clISt17integral_constantIbLb0EESU_EEDaSP_SQ_EUlSP_E_NS1_11comp_targetILNS1_3genE2ELNS1_11target_archE906ELNS1_3gpuE6ELNS1_3repE0EEENS1_30default_config_static_selectorELNS0_4arch9wavefront6targetE1EEEvT1_,"axG",@progbits,_ZN7rocprim17ROCPRIM_400000_NS6detail17trampoline_kernelINS0_14default_configENS1_20scan_config_selectorItEEZZNS1_9scan_implILNS1_25lookback_scan_determinismE0ELb1ELb1ES3_N6thrust23THRUST_200600_302600_NS6detail15normal_iteratorINS9_10device_ptrItEEEESE_tNS9_4plusIvEEtEEDaPvRmT3_T4_T5_mT6_P12ihipStream_tbENKUlT_T0_E_clISt17integral_constantIbLb0EESU_EEDaSP_SQ_EUlSP_E_NS1_11comp_targetILNS1_3genE2ELNS1_11target_archE906ELNS1_3gpuE6ELNS1_3repE0EEENS1_30default_config_static_selectorELNS0_4arch9wavefront6targetE1EEEvT1_,comdat
.Lfunc_end4794:
	.size	_ZN7rocprim17ROCPRIM_400000_NS6detail17trampoline_kernelINS0_14default_configENS1_20scan_config_selectorItEEZZNS1_9scan_implILNS1_25lookback_scan_determinismE0ELb1ELb1ES3_N6thrust23THRUST_200600_302600_NS6detail15normal_iteratorINS9_10device_ptrItEEEESE_tNS9_4plusIvEEtEEDaPvRmT3_T4_T5_mT6_P12ihipStream_tbENKUlT_T0_E_clISt17integral_constantIbLb0EESU_EEDaSP_SQ_EUlSP_E_NS1_11comp_targetILNS1_3genE2ELNS1_11target_archE906ELNS1_3gpuE6ELNS1_3repE0EEENS1_30default_config_static_selectorELNS0_4arch9wavefront6targetE1EEEvT1_, .Lfunc_end4794-_ZN7rocprim17ROCPRIM_400000_NS6detail17trampoline_kernelINS0_14default_configENS1_20scan_config_selectorItEEZZNS1_9scan_implILNS1_25lookback_scan_determinismE0ELb1ELb1ES3_N6thrust23THRUST_200600_302600_NS6detail15normal_iteratorINS9_10device_ptrItEEEESE_tNS9_4plusIvEEtEEDaPvRmT3_T4_T5_mT6_P12ihipStream_tbENKUlT_T0_E_clISt17integral_constantIbLb0EESU_EEDaSP_SQ_EUlSP_E_NS1_11comp_targetILNS1_3genE2ELNS1_11target_archE906ELNS1_3gpuE6ELNS1_3repE0EEENS1_30default_config_static_selectorELNS0_4arch9wavefront6targetE1EEEvT1_
                                        ; -- End function
	.section	.AMDGPU.csdata,"",@progbits
; Kernel info:
; codeLenInByte = 0
; NumSgprs: 4
; NumVgprs: 0
; NumAgprs: 0
; TotalNumVgprs: 0
; ScratchSize: 0
; MemoryBound: 0
; FloatMode: 240
; IeeeMode: 1
; LDSByteSize: 0 bytes/workgroup (compile time only)
; SGPRBlocks: 0
; VGPRBlocks: 0
; NumSGPRsForWavesPerEU: 4
; NumVGPRsForWavesPerEU: 1
; AccumOffset: 4
; Occupancy: 8
; WaveLimiterHint : 0
; COMPUTE_PGM_RSRC2:SCRATCH_EN: 0
; COMPUTE_PGM_RSRC2:USER_SGPR: 6
; COMPUTE_PGM_RSRC2:TRAP_HANDLER: 0
; COMPUTE_PGM_RSRC2:TGID_X_EN: 1
; COMPUTE_PGM_RSRC2:TGID_Y_EN: 0
; COMPUTE_PGM_RSRC2:TGID_Z_EN: 0
; COMPUTE_PGM_RSRC2:TIDIG_COMP_CNT: 0
; COMPUTE_PGM_RSRC3_GFX90A:ACCUM_OFFSET: 0
; COMPUTE_PGM_RSRC3_GFX90A:TG_SPLIT: 0
	.section	.text._ZN7rocprim17ROCPRIM_400000_NS6detail17trampoline_kernelINS0_14default_configENS1_20scan_config_selectorItEEZZNS1_9scan_implILNS1_25lookback_scan_determinismE0ELb1ELb1ES3_N6thrust23THRUST_200600_302600_NS6detail15normal_iteratorINS9_10device_ptrItEEEESE_tNS9_4plusIvEEtEEDaPvRmT3_T4_T5_mT6_P12ihipStream_tbENKUlT_T0_E_clISt17integral_constantIbLb0EESU_EEDaSP_SQ_EUlSP_E_NS1_11comp_targetILNS1_3genE10ELNS1_11target_archE1201ELNS1_3gpuE5ELNS1_3repE0EEENS1_30default_config_static_selectorELNS0_4arch9wavefront6targetE1EEEvT1_,"axG",@progbits,_ZN7rocprim17ROCPRIM_400000_NS6detail17trampoline_kernelINS0_14default_configENS1_20scan_config_selectorItEEZZNS1_9scan_implILNS1_25lookback_scan_determinismE0ELb1ELb1ES3_N6thrust23THRUST_200600_302600_NS6detail15normal_iteratorINS9_10device_ptrItEEEESE_tNS9_4plusIvEEtEEDaPvRmT3_T4_T5_mT6_P12ihipStream_tbENKUlT_T0_E_clISt17integral_constantIbLb0EESU_EEDaSP_SQ_EUlSP_E_NS1_11comp_targetILNS1_3genE10ELNS1_11target_archE1201ELNS1_3gpuE5ELNS1_3repE0EEENS1_30default_config_static_selectorELNS0_4arch9wavefront6targetE1EEEvT1_,comdat
	.protected	_ZN7rocprim17ROCPRIM_400000_NS6detail17trampoline_kernelINS0_14default_configENS1_20scan_config_selectorItEEZZNS1_9scan_implILNS1_25lookback_scan_determinismE0ELb1ELb1ES3_N6thrust23THRUST_200600_302600_NS6detail15normal_iteratorINS9_10device_ptrItEEEESE_tNS9_4plusIvEEtEEDaPvRmT3_T4_T5_mT6_P12ihipStream_tbENKUlT_T0_E_clISt17integral_constantIbLb0EESU_EEDaSP_SQ_EUlSP_E_NS1_11comp_targetILNS1_3genE10ELNS1_11target_archE1201ELNS1_3gpuE5ELNS1_3repE0EEENS1_30default_config_static_selectorELNS0_4arch9wavefront6targetE1EEEvT1_ ; -- Begin function _ZN7rocprim17ROCPRIM_400000_NS6detail17trampoline_kernelINS0_14default_configENS1_20scan_config_selectorItEEZZNS1_9scan_implILNS1_25lookback_scan_determinismE0ELb1ELb1ES3_N6thrust23THRUST_200600_302600_NS6detail15normal_iteratorINS9_10device_ptrItEEEESE_tNS9_4plusIvEEtEEDaPvRmT3_T4_T5_mT6_P12ihipStream_tbENKUlT_T0_E_clISt17integral_constantIbLb0EESU_EEDaSP_SQ_EUlSP_E_NS1_11comp_targetILNS1_3genE10ELNS1_11target_archE1201ELNS1_3gpuE5ELNS1_3repE0EEENS1_30default_config_static_selectorELNS0_4arch9wavefront6targetE1EEEvT1_
	.globl	_ZN7rocprim17ROCPRIM_400000_NS6detail17trampoline_kernelINS0_14default_configENS1_20scan_config_selectorItEEZZNS1_9scan_implILNS1_25lookback_scan_determinismE0ELb1ELb1ES3_N6thrust23THRUST_200600_302600_NS6detail15normal_iteratorINS9_10device_ptrItEEEESE_tNS9_4plusIvEEtEEDaPvRmT3_T4_T5_mT6_P12ihipStream_tbENKUlT_T0_E_clISt17integral_constantIbLb0EESU_EEDaSP_SQ_EUlSP_E_NS1_11comp_targetILNS1_3genE10ELNS1_11target_archE1201ELNS1_3gpuE5ELNS1_3repE0EEENS1_30default_config_static_selectorELNS0_4arch9wavefront6targetE1EEEvT1_
	.p2align	8
	.type	_ZN7rocprim17ROCPRIM_400000_NS6detail17trampoline_kernelINS0_14default_configENS1_20scan_config_selectorItEEZZNS1_9scan_implILNS1_25lookback_scan_determinismE0ELb1ELb1ES3_N6thrust23THRUST_200600_302600_NS6detail15normal_iteratorINS9_10device_ptrItEEEESE_tNS9_4plusIvEEtEEDaPvRmT3_T4_T5_mT6_P12ihipStream_tbENKUlT_T0_E_clISt17integral_constantIbLb0EESU_EEDaSP_SQ_EUlSP_E_NS1_11comp_targetILNS1_3genE10ELNS1_11target_archE1201ELNS1_3gpuE5ELNS1_3repE0EEENS1_30default_config_static_selectorELNS0_4arch9wavefront6targetE1EEEvT1_,@function
_ZN7rocprim17ROCPRIM_400000_NS6detail17trampoline_kernelINS0_14default_configENS1_20scan_config_selectorItEEZZNS1_9scan_implILNS1_25lookback_scan_determinismE0ELb1ELb1ES3_N6thrust23THRUST_200600_302600_NS6detail15normal_iteratorINS9_10device_ptrItEEEESE_tNS9_4plusIvEEtEEDaPvRmT3_T4_T5_mT6_P12ihipStream_tbENKUlT_T0_E_clISt17integral_constantIbLb0EESU_EEDaSP_SQ_EUlSP_E_NS1_11comp_targetILNS1_3genE10ELNS1_11target_archE1201ELNS1_3gpuE5ELNS1_3repE0EEENS1_30default_config_static_selectorELNS0_4arch9wavefront6targetE1EEEvT1_: ; @_ZN7rocprim17ROCPRIM_400000_NS6detail17trampoline_kernelINS0_14default_configENS1_20scan_config_selectorItEEZZNS1_9scan_implILNS1_25lookback_scan_determinismE0ELb1ELb1ES3_N6thrust23THRUST_200600_302600_NS6detail15normal_iteratorINS9_10device_ptrItEEEESE_tNS9_4plusIvEEtEEDaPvRmT3_T4_T5_mT6_P12ihipStream_tbENKUlT_T0_E_clISt17integral_constantIbLb0EESU_EEDaSP_SQ_EUlSP_E_NS1_11comp_targetILNS1_3genE10ELNS1_11target_archE1201ELNS1_3gpuE5ELNS1_3repE0EEENS1_30default_config_static_selectorELNS0_4arch9wavefront6targetE1EEEvT1_
; %bb.0:
	.section	.rodata,"a",@progbits
	.p2align	6, 0x0
	.amdhsa_kernel _ZN7rocprim17ROCPRIM_400000_NS6detail17trampoline_kernelINS0_14default_configENS1_20scan_config_selectorItEEZZNS1_9scan_implILNS1_25lookback_scan_determinismE0ELb1ELb1ES3_N6thrust23THRUST_200600_302600_NS6detail15normal_iteratorINS9_10device_ptrItEEEESE_tNS9_4plusIvEEtEEDaPvRmT3_T4_T5_mT6_P12ihipStream_tbENKUlT_T0_E_clISt17integral_constantIbLb0EESU_EEDaSP_SQ_EUlSP_E_NS1_11comp_targetILNS1_3genE10ELNS1_11target_archE1201ELNS1_3gpuE5ELNS1_3repE0EEENS1_30default_config_static_selectorELNS0_4arch9wavefront6targetE1EEEvT1_
		.amdhsa_group_segment_fixed_size 0
		.amdhsa_private_segment_fixed_size 0
		.amdhsa_kernarg_size 96
		.amdhsa_user_sgpr_count 6
		.amdhsa_user_sgpr_private_segment_buffer 1
		.amdhsa_user_sgpr_dispatch_ptr 0
		.amdhsa_user_sgpr_queue_ptr 0
		.amdhsa_user_sgpr_kernarg_segment_ptr 1
		.amdhsa_user_sgpr_dispatch_id 0
		.amdhsa_user_sgpr_flat_scratch_init 0
		.amdhsa_user_sgpr_kernarg_preload_length 0
		.amdhsa_user_sgpr_kernarg_preload_offset 0
		.amdhsa_user_sgpr_private_segment_size 0
		.amdhsa_uses_dynamic_stack 0
		.amdhsa_system_sgpr_private_segment_wavefront_offset 0
		.amdhsa_system_sgpr_workgroup_id_x 1
		.amdhsa_system_sgpr_workgroup_id_y 0
		.amdhsa_system_sgpr_workgroup_id_z 0
		.amdhsa_system_sgpr_workgroup_info 0
		.amdhsa_system_vgpr_workitem_id 0
		.amdhsa_next_free_vgpr 1
		.amdhsa_next_free_sgpr 0
		.amdhsa_accum_offset 4
		.amdhsa_reserve_vcc 0
		.amdhsa_reserve_flat_scratch 0
		.amdhsa_float_round_mode_32 0
		.amdhsa_float_round_mode_16_64 0
		.amdhsa_float_denorm_mode_32 3
		.amdhsa_float_denorm_mode_16_64 3
		.amdhsa_dx10_clamp 1
		.amdhsa_ieee_mode 1
		.amdhsa_fp16_overflow 0
		.amdhsa_tg_split 0
		.amdhsa_exception_fp_ieee_invalid_op 0
		.amdhsa_exception_fp_denorm_src 0
		.amdhsa_exception_fp_ieee_div_zero 0
		.amdhsa_exception_fp_ieee_overflow 0
		.amdhsa_exception_fp_ieee_underflow 0
		.amdhsa_exception_fp_ieee_inexact 0
		.amdhsa_exception_int_div_zero 0
	.end_amdhsa_kernel
	.section	.text._ZN7rocprim17ROCPRIM_400000_NS6detail17trampoline_kernelINS0_14default_configENS1_20scan_config_selectorItEEZZNS1_9scan_implILNS1_25lookback_scan_determinismE0ELb1ELb1ES3_N6thrust23THRUST_200600_302600_NS6detail15normal_iteratorINS9_10device_ptrItEEEESE_tNS9_4plusIvEEtEEDaPvRmT3_T4_T5_mT6_P12ihipStream_tbENKUlT_T0_E_clISt17integral_constantIbLb0EESU_EEDaSP_SQ_EUlSP_E_NS1_11comp_targetILNS1_3genE10ELNS1_11target_archE1201ELNS1_3gpuE5ELNS1_3repE0EEENS1_30default_config_static_selectorELNS0_4arch9wavefront6targetE1EEEvT1_,"axG",@progbits,_ZN7rocprim17ROCPRIM_400000_NS6detail17trampoline_kernelINS0_14default_configENS1_20scan_config_selectorItEEZZNS1_9scan_implILNS1_25lookback_scan_determinismE0ELb1ELb1ES3_N6thrust23THRUST_200600_302600_NS6detail15normal_iteratorINS9_10device_ptrItEEEESE_tNS9_4plusIvEEtEEDaPvRmT3_T4_T5_mT6_P12ihipStream_tbENKUlT_T0_E_clISt17integral_constantIbLb0EESU_EEDaSP_SQ_EUlSP_E_NS1_11comp_targetILNS1_3genE10ELNS1_11target_archE1201ELNS1_3gpuE5ELNS1_3repE0EEENS1_30default_config_static_selectorELNS0_4arch9wavefront6targetE1EEEvT1_,comdat
.Lfunc_end4795:
	.size	_ZN7rocprim17ROCPRIM_400000_NS6detail17trampoline_kernelINS0_14default_configENS1_20scan_config_selectorItEEZZNS1_9scan_implILNS1_25lookback_scan_determinismE0ELb1ELb1ES3_N6thrust23THRUST_200600_302600_NS6detail15normal_iteratorINS9_10device_ptrItEEEESE_tNS9_4plusIvEEtEEDaPvRmT3_T4_T5_mT6_P12ihipStream_tbENKUlT_T0_E_clISt17integral_constantIbLb0EESU_EEDaSP_SQ_EUlSP_E_NS1_11comp_targetILNS1_3genE10ELNS1_11target_archE1201ELNS1_3gpuE5ELNS1_3repE0EEENS1_30default_config_static_selectorELNS0_4arch9wavefront6targetE1EEEvT1_, .Lfunc_end4795-_ZN7rocprim17ROCPRIM_400000_NS6detail17trampoline_kernelINS0_14default_configENS1_20scan_config_selectorItEEZZNS1_9scan_implILNS1_25lookback_scan_determinismE0ELb1ELb1ES3_N6thrust23THRUST_200600_302600_NS6detail15normal_iteratorINS9_10device_ptrItEEEESE_tNS9_4plusIvEEtEEDaPvRmT3_T4_T5_mT6_P12ihipStream_tbENKUlT_T0_E_clISt17integral_constantIbLb0EESU_EEDaSP_SQ_EUlSP_E_NS1_11comp_targetILNS1_3genE10ELNS1_11target_archE1201ELNS1_3gpuE5ELNS1_3repE0EEENS1_30default_config_static_selectorELNS0_4arch9wavefront6targetE1EEEvT1_
                                        ; -- End function
	.section	.AMDGPU.csdata,"",@progbits
; Kernel info:
; codeLenInByte = 0
; NumSgprs: 4
; NumVgprs: 0
; NumAgprs: 0
; TotalNumVgprs: 0
; ScratchSize: 0
; MemoryBound: 0
; FloatMode: 240
; IeeeMode: 1
; LDSByteSize: 0 bytes/workgroup (compile time only)
; SGPRBlocks: 0
; VGPRBlocks: 0
; NumSGPRsForWavesPerEU: 4
; NumVGPRsForWavesPerEU: 1
; AccumOffset: 4
; Occupancy: 8
; WaveLimiterHint : 0
; COMPUTE_PGM_RSRC2:SCRATCH_EN: 0
; COMPUTE_PGM_RSRC2:USER_SGPR: 6
; COMPUTE_PGM_RSRC2:TRAP_HANDLER: 0
; COMPUTE_PGM_RSRC2:TGID_X_EN: 1
; COMPUTE_PGM_RSRC2:TGID_Y_EN: 0
; COMPUTE_PGM_RSRC2:TGID_Z_EN: 0
; COMPUTE_PGM_RSRC2:TIDIG_COMP_CNT: 0
; COMPUTE_PGM_RSRC3_GFX90A:ACCUM_OFFSET: 0
; COMPUTE_PGM_RSRC3_GFX90A:TG_SPLIT: 0
	.section	.text._ZN7rocprim17ROCPRIM_400000_NS6detail17trampoline_kernelINS0_14default_configENS1_20scan_config_selectorItEEZZNS1_9scan_implILNS1_25lookback_scan_determinismE0ELb1ELb1ES3_N6thrust23THRUST_200600_302600_NS6detail15normal_iteratorINS9_10device_ptrItEEEESE_tNS9_4plusIvEEtEEDaPvRmT3_T4_T5_mT6_P12ihipStream_tbENKUlT_T0_E_clISt17integral_constantIbLb0EESU_EEDaSP_SQ_EUlSP_E_NS1_11comp_targetILNS1_3genE10ELNS1_11target_archE1200ELNS1_3gpuE4ELNS1_3repE0EEENS1_30default_config_static_selectorELNS0_4arch9wavefront6targetE1EEEvT1_,"axG",@progbits,_ZN7rocprim17ROCPRIM_400000_NS6detail17trampoline_kernelINS0_14default_configENS1_20scan_config_selectorItEEZZNS1_9scan_implILNS1_25lookback_scan_determinismE0ELb1ELb1ES3_N6thrust23THRUST_200600_302600_NS6detail15normal_iteratorINS9_10device_ptrItEEEESE_tNS9_4plusIvEEtEEDaPvRmT3_T4_T5_mT6_P12ihipStream_tbENKUlT_T0_E_clISt17integral_constantIbLb0EESU_EEDaSP_SQ_EUlSP_E_NS1_11comp_targetILNS1_3genE10ELNS1_11target_archE1200ELNS1_3gpuE4ELNS1_3repE0EEENS1_30default_config_static_selectorELNS0_4arch9wavefront6targetE1EEEvT1_,comdat
	.protected	_ZN7rocprim17ROCPRIM_400000_NS6detail17trampoline_kernelINS0_14default_configENS1_20scan_config_selectorItEEZZNS1_9scan_implILNS1_25lookback_scan_determinismE0ELb1ELb1ES3_N6thrust23THRUST_200600_302600_NS6detail15normal_iteratorINS9_10device_ptrItEEEESE_tNS9_4plusIvEEtEEDaPvRmT3_T4_T5_mT6_P12ihipStream_tbENKUlT_T0_E_clISt17integral_constantIbLb0EESU_EEDaSP_SQ_EUlSP_E_NS1_11comp_targetILNS1_3genE10ELNS1_11target_archE1200ELNS1_3gpuE4ELNS1_3repE0EEENS1_30default_config_static_selectorELNS0_4arch9wavefront6targetE1EEEvT1_ ; -- Begin function _ZN7rocprim17ROCPRIM_400000_NS6detail17trampoline_kernelINS0_14default_configENS1_20scan_config_selectorItEEZZNS1_9scan_implILNS1_25lookback_scan_determinismE0ELb1ELb1ES3_N6thrust23THRUST_200600_302600_NS6detail15normal_iteratorINS9_10device_ptrItEEEESE_tNS9_4plusIvEEtEEDaPvRmT3_T4_T5_mT6_P12ihipStream_tbENKUlT_T0_E_clISt17integral_constantIbLb0EESU_EEDaSP_SQ_EUlSP_E_NS1_11comp_targetILNS1_3genE10ELNS1_11target_archE1200ELNS1_3gpuE4ELNS1_3repE0EEENS1_30default_config_static_selectorELNS0_4arch9wavefront6targetE1EEEvT1_
	.globl	_ZN7rocprim17ROCPRIM_400000_NS6detail17trampoline_kernelINS0_14default_configENS1_20scan_config_selectorItEEZZNS1_9scan_implILNS1_25lookback_scan_determinismE0ELb1ELb1ES3_N6thrust23THRUST_200600_302600_NS6detail15normal_iteratorINS9_10device_ptrItEEEESE_tNS9_4plusIvEEtEEDaPvRmT3_T4_T5_mT6_P12ihipStream_tbENKUlT_T0_E_clISt17integral_constantIbLb0EESU_EEDaSP_SQ_EUlSP_E_NS1_11comp_targetILNS1_3genE10ELNS1_11target_archE1200ELNS1_3gpuE4ELNS1_3repE0EEENS1_30default_config_static_selectorELNS0_4arch9wavefront6targetE1EEEvT1_
	.p2align	8
	.type	_ZN7rocprim17ROCPRIM_400000_NS6detail17trampoline_kernelINS0_14default_configENS1_20scan_config_selectorItEEZZNS1_9scan_implILNS1_25lookback_scan_determinismE0ELb1ELb1ES3_N6thrust23THRUST_200600_302600_NS6detail15normal_iteratorINS9_10device_ptrItEEEESE_tNS9_4plusIvEEtEEDaPvRmT3_T4_T5_mT6_P12ihipStream_tbENKUlT_T0_E_clISt17integral_constantIbLb0EESU_EEDaSP_SQ_EUlSP_E_NS1_11comp_targetILNS1_3genE10ELNS1_11target_archE1200ELNS1_3gpuE4ELNS1_3repE0EEENS1_30default_config_static_selectorELNS0_4arch9wavefront6targetE1EEEvT1_,@function
_ZN7rocprim17ROCPRIM_400000_NS6detail17trampoline_kernelINS0_14default_configENS1_20scan_config_selectorItEEZZNS1_9scan_implILNS1_25lookback_scan_determinismE0ELb1ELb1ES3_N6thrust23THRUST_200600_302600_NS6detail15normal_iteratorINS9_10device_ptrItEEEESE_tNS9_4plusIvEEtEEDaPvRmT3_T4_T5_mT6_P12ihipStream_tbENKUlT_T0_E_clISt17integral_constantIbLb0EESU_EEDaSP_SQ_EUlSP_E_NS1_11comp_targetILNS1_3genE10ELNS1_11target_archE1200ELNS1_3gpuE4ELNS1_3repE0EEENS1_30default_config_static_selectorELNS0_4arch9wavefront6targetE1EEEvT1_: ; @_ZN7rocprim17ROCPRIM_400000_NS6detail17trampoline_kernelINS0_14default_configENS1_20scan_config_selectorItEEZZNS1_9scan_implILNS1_25lookback_scan_determinismE0ELb1ELb1ES3_N6thrust23THRUST_200600_302600_NS6detail15normal_iteratorINS9_10device_ptrItEEEESE_tNS9_4plusIvEEtEEDaPvRmT3_T4_T5_mT6_P12ihipStream_tbENKUlT_T0_E_clISt17integral_constantIbLb0EESU_EEDaSP_SQ_EUlSP_E_NS1_11comp_targetILNS1_3genE10ELNS1_11target_archE1200ELNS1_3gpuE4ELNS1_3repE0EEENS1_30default_config_static_selectorELNS0_4arch9wavefront6targetE1EEEvT1_
; %bb.0:
	.section	.rodata,"a",@progbits
	.p2align	6, 0x0
	.amdhsa_kernel _ZN7rocprim17ROCPRIM_400000_NS6detail17trampoline_kernelINS0_14default_configENS1_20scan_config_selectorItEEZZNS1_9scan_implILNS1_25lookback_scan_determinismE0ELb1ELb1ES3_N6thrust23THRUST_200600_302600_NS6detail15normal_iteratorINS9_10device_ptrItEEEESE_tNS9_4plusIvEEtEEDaPvRmT3_T4_T5_mT6_P12ihipStream_tbENKUlT_T0_E_clISt17integral_constantIbLb0EESU_EEDaSP_SQ_EUlSP_E_NS1_11comp_targetILNS1_3genE10ELNS1_11target_archE1200ELNS1_3gpuE4ELNS1_3repE0EEENS1_30default_config_static_selectorELNS0_4arch9wavefront6targetE1EEEvT1_
		.amdhsa_group_segment_fixed_size 0
		.amdhsa_private_segment_fixed_size 0
		.amdhsa_kernarg_size 96
		.amdhsa_user_sgpr_count 6
		.amdhsa_user_sgpr_private_segment_buffer 1
		.amdhsa_user_sgpr_dispatch_ptr 0
		.amdhsa_user_sgpr_queue_ptr 0
		.amdhsa_user_sgpr_kernarg_segment_ptr 1
		.amdhsa_user_sgpr_dispatch_id 0
		.amdhsa_user_sgpr_flat_scratch_init 0
		.amdhsa_user_sgpr_kernarg_preload_length 0
		.amdhsa_user_sgpr_kernarg_preload_offset 0
		.amdhsa_user_sgpr_private_segment_size 0
		.amdhsa_uses_dynamic_stack 0
		.amdhsa_system_sgpr_private_segment_wavefront_offset 0
		.amdhsa_system_sgpr_workgroup_id_x 1
		.amdhsa_system_sgpr_workgroup_id_y 0
		.amdhsa_system_sgpr_workgroup_id_z 0
		.amdhsa_system_sgpr_workgroup_info 0
		.amdhsa_system_vgpr_workitem_id 0
		.amdhsa_next_free_vgpr 1
		.amdhsa_next_free_sgpr 0
		.amdhsa_accum_offset 4
		.amdhsa_reserve_vcc 0
		.amdhsa_reserve_flat_scratch 0
		.amdhsa_float_round_mode_32 0
		.amdhsa_float_round_mode_16_64 0
		.amdhsa_float_denorm_mode_32 3
		.amdhsa_float_denorm_mode_16_64 3
		.amdhsa_dx10_clamp 1
		.amdhsa_ieee_mode 1
		.amdhsa_fp16_overflow 0
		.amdhsa_tg_split 0
		.amdhsa_exception_fp_ieee_invalid_op 0
		.amdhsa_exception_fp_denorm_src 0
		.amdhsa_exception_fp_ieee_div_zero 0
		.amdhsa_exception_fp_ieee_overflow 0
		.amdhsa_exception_fp_ieee_underflow 0
		.amdhsa_exception_fp_ieee_inexact 0
		.amdhsa_exception_int_div_zero 0
	.end_amdhsa_kernel
	.section	.text._ZN7rocprim17ROCPRIM_400000_NS6detail17trampoline_kernelINS0_14default_configENS1_20scan_config_selectorItEEZZNS1_9scan_implILNS1_25lookback_scan_determinismE0ELb1ELb1ES3_N6thrust23THRUST_200600_302600_NS6detail15normal_iteratorINS9_10device_ptrItEEEESE_tNS9_4plusIvEEtEEDaPvRmT3_T4_T5_mT6_P12ihipStream_tbENKUlT_T0_E_clISt17integral_constantIbLb0EESU_EEDaSP_SQ_EUlSP_E_NS1_11comp_targetILNS1_3genE10ELNS1_11target_archE1200ELNS1_3gpuE4ELNS1_3repE0EEENS1_30default_config_static_selectorELNS0_4arch9wavefront6targetE1EEEvT1_,"axG",@progbits,_ZN7rocprim17ROCPRIM_400000_NS6detail17trampoline_kernelINS0_14default_configENS1_20scan_config_selectorItEEZZNS1_9scan_implILNS1_25lookback_scan_determinismE0ELb1ELb1ES3_N6thrust23THRUST_200600_302600_NS6detail15normal_iteratorINS9_10device_ptrItEEEESE_tNS9_4plusIvEEtEEDaPvRmT3_T4_T5_mT6_P12ihipStream_tbENKUlT_T0_E_clISt17integral_constantIbLb0EESU_EEDaSP_SQ_EUlSP_E_NS1_11comp_targetILNS1_3genE10ELNS1_11target_archE1200ELNS1_3gpuE4ELNS1_3repE0EEENS1_30default_config_static_selectorELNS0_4arch9wavefront6targetE1EEEvT1_,comdat
.Lfunc_end4796:
	.size	_ZN7rocprim17ROCPRIM_400000_NS6detail17trampoline_kernelINS0_14default_configENS1_20scan_config_selectorItEEZZNS1_9scan_implILNS1_25lookback_scan_determinismE0ELb1ELb1ES3_N6thrust23THRUST_200600_302600_NS6detail15normal_iteratorINS9_10device_ptrItEEEESE_tNS9_4plusIvEEtEEDaPvRmT3_T4_T5_mT6_P12ihipStream_tbENKUlT_T0_E_clISt17integral_constantIbLb0EESU_EEDaSP_SQ_EUlSP_E_NS1_11comp_targetILNS1_3genE10ELNS1_11target_archE1200ELNS1_3gpuE4ELNS1_3repE0EEENS1_30default_config_static_selectorELNS0_4arch9wavefront6targetE1EEEvT1_, .Lfunc_end4796-_ZN7rocprim17ROCPRIM_400000_NS6detail17trampoline_kernelINS0_14default_configENS1_20scan_config_selectorItEEZZNS1_9scan_implILNS1_25lookback_scan_determinismE0ELb1ELb1ES3_N6thrust23THRUST_200600_302600_NS6detail15normal_iteratorINS9_10device_ptrItEEEESE_tNS9_4plusIvEEtEEDaPvRmT3_T4_T5_mT6_P12ihipStream_tbENKUlT_T0_E_clISt17integral_constantIbLb0EESU_EEDaSP_SQ_EUlSP_E_NS1_11comp_targetILNS1_3genE10ELNS1_11target_archE1200ELNS1_3gpuE4ELNS1_3repE0EEENS1_30default_config_static_selectorELNS0_4arch9wavefront6targetE1EEEvT1_
                                        ; -- End function
	.section	.AMDGPU.csdata,"",@progbits
; Kernel info:
; codeLenInByte = 0
; NumSgprs: 4
; NumVgprs: 0
; NumAgprs: 0
; TotalNumVgprs: 0
; ScratchSize: 0
; MemoryBound: 0
; FloatMode: 240
; IeeeMode: 1
; LDSByteSize: 0 bytes/workgroup (compile time only)
; SGPRBlocks: 0
; VGPRBlocks: 0
; NumSGPRsForWavesPerEU: 4
; NumVGPRsForWavesPerEU: 1
; AccumOffset: 4
; Occupancy: 8
; WaveLimiterHint : 0
; COMPUTE_PGM_RSRC2:SCRATCH_EN: 0
; COMPUTE_PGM_RSRC2:USER_SGPR: 6
; COMPUTE_PGM_RSRC2:TRAP_HANDLER: 0
; COMPUTE_PGM_RSRC2:TGID_X_EN: 1
; COMPUTE_PGM_RSRC2:TGID_Y_EN: 0
; COMPUTE_PGM_RSRC2:TGID_Z_EN: 0
; COMPUTE_PGM_RSRC2:TIDIG_COMP_CNT: 0
; COMPUTE_PGM_RSRC3_GFX90A:ACCUM_OFFSET: 0
; COMPUTE_PGM_RSRC3_GFX90A:TG_SPLIT: 0
	.section	.text._ZN7rocprim17ROCPRIM_400000_NS6detail17trampoline_kernelINS0_14default_configENS1_20scan_config_selectorItEEZZNS1_9scan_implILNS1_25lookback_scan_determinismE0ELb1ELb1ES3_N6thrust23THRUST_200600_302600_NS6detail15normal_iteratorINS9_10device_ptrItEEEESE_tNS9_4plusIvEEtEEDaPvRmT3_T4_T5_mT6_P12ihipStream_tbENKUlT_T0_E_clISt17integral_constantIbLb0EESU_EEDaSP_SQ_EUlSP_E_NS1_11comp_targetILNS1_3genE9ELNS1_11target_archE1100ELNS1_3gpuE3ELNS1_3repE0EEENS1_30default_config_static_selectorELNS0_4arch9wavefront6targetE1EEEvT1_,"axG",@progbits,_ZN7rocprim17ROCPRIM_400000_NS6detail17trampoline_kernelINS0_14default_configENS1_20scan_config_selectorItEEZZNS1_9scan_implILNS1_25lookback_scan_determinismE0ELb1ELb1ES3_N6thrust23THRUST_200600_302600_NS6detail15normal_iteratorINS9_10device_ptrItEEEESE_tNS9_4plusIvEEtEEDaPvRmT3_T4_T5_mT6_P12ihipStream_tbENKUlT_T0_E_clISt17integral_constantIbLb0EESU_EEDaSP_SQ_EUlSP_E_NS1_11comp_targetILNS1_3genE9ELNS1_11target_archE1100ELNS1_3gpuE3ELNS1_3repE0EEENS1_30default_config_static_selectorELNS0_4arch9wavefront6targetE1EEEvT1_,comdat
	.protected	_ZN7rocprim17ROCPRIM_400000_NS6detail17trampoline_kernelINS0_14default_configENS1_20scan_config_selectorItEEZZNS1_9scan_implILNS1_25lookback_scan_determinismE0ELb1ELb1ES3_N6thrust23THRUST_200600_302600_NS6detail15normal_iteratorINS9_10device_ptrItEEEESE_tNS9_4plusIvEEtEEDaPvRmT3_T4_T5_mT6_P12ihipStream_tbENKUlT_T0_E_clISt17integral_constantIbLb0EESU_EEDaSP_SQ_EUlSP_E_NS1_11comp_targetILNS1_3genE9ELNS1_11target_archE1100ELNS1_3gpuE3ELNS1_3repE0EEENS1_30default_config_static_selectorELNS0_4arch9wavefront6targetE1EEEvT1_ ; -- Begin function _ZN7rocprim17ROCPRIM_400000_NS6detail17trampoline_kernelINS0_14default_configENS1_20scan_config_selectorItEEZZNS1_9scan_implILNS1_25lookback_scan_determinismE0ELb1ELb1ES3_N6thrust23THRUST_200600_302600_NS6detail15normal_iteratorINS9_10device_ptrItEEEESE_tNS9_4plusIvEEtEEDaPvRmT3_T4_T5_mT6_P12ihipStream_tbENKUlT_T0_E_clISt17integral_constantIbLb0EESU_EEDaSP_SQ_EUlSP_E_NS1_11comp_targetILNS1_3genE9ELNS1_11target_archE1100ELNS1_3gpuE3ELNS1_3repE0EEENS1_30default_config_static_selectorELNS0_4arch9wavefront6targetE1EEEvT1_
	.globl	_ZN7rocprim17ROCPRIM_400000_NS6detail17trampoline_kernelINS0_14default_configENS1_20scan_config_selectorItEEZZNS1_9scan_implILNS1_25lookback_scan_determinismE0ELb1ELb1ES3_N6thrust23THRUST_200600_302600_NS6detail15normal_iteratorINS9_10device_ptrItEEEESE_tNS9_4plusIvEEtEEDaPvRmT3_T4_T5_mT6_P12ihipStream_tbENKUlT_T0_E_clISt17integral_constantIbLb0EESU_EEDaSP_SQ_EUlSP_E_NS1_11comp_targetILNS1_3genE9ELNS1_11target_archE1100ELNS1_3gpuE3ELNS1_3repE0EEENS1_30default_config_static_selectorELNS0_4arch9wavefront6targetE1EEEvT1_
	.p2align	8
	.type	_ZN7rocprim17ROCPRIM_400000_NS6detail17trampoline_kernelINS0_14default_configENS1_20scan_config_selectorItEEZZNS1_9scan_implILNS1_25lookback_scan_determinismE0ELb1ELb1ES3_N6thrust23THRUST_200600_302600_NS6detail15normal_iteratorINS9_10device_ptrItEEEESE_tNS9_4plusIvEEtEEDaPvRmT3_T4_T5_mT6_P12ihipStream_tbENKUlT_T0_E_clISt17integral_constantIbLb0EESU_EEDaSP_SQ_EUlSP_E_NS1_11comp_targetILNS1_3genE9ELNS1_11target_archE1100ELNS1_3gpuE3ELNS1_3repE0EEENS1_30default_config_static_selectorELNS0_4arch9wavefront6targetE1EEEvT1_,@function
_ZN7rocprim17ROCPRIM_400000_NS6detail17trampoline_kernelINS0_14default_configENS1_20scan_config_selectorItEEZZNS1_9scan_implILNS1_25lookback_scan_determinismE0ELb1ELb1ES3_N6thrust23THRUST_200600_302600_NS6detail15normal_iteratorINS9_10device_ptrItEEEESE_tNS9_4plusIvEEtEEDaPvRmT3_T4_T5_mT6_P12ihipStream_tbENKUlT_T0_E_clISt17integral_constantIbLb0EESU_EEDaSP_SQ_EUlSP_E_NS1_11comp_targetILNS1_3genE9ELNS1_11target_archE1100ELNS1_3gpuE3ELNS1_3repE0EEENS1_30default_config_static_selectorELNS0_4arch9wavefront6targetE1EEEvT1_: ; @_ZN7rocprim17ROCPRIM_400000_NS6detail17trampoline_kernelINS0_14default_configENS1_20scan_config_selectorItEEZZNS1_9scan_implILNS1_25lookback_scan_determinismE0ELb1ELb1ES3_N6thrust23THRUST_200600_302600_NS6detail15normal_iteratorINS9_10device_ptrItEEEESE_tNS9_4plusIvEEtEEDaPvRmT3_T4_T5_mT6_P12ihipStream_tbENKUlT_T0_E_clISt17integral_constantIbLb0EESU_EEDaSP_SQ_EUlSP_E_NS1_11comp_targetILNS1_3genE9ELNS1_11target_archE1100ELNS1_3gpuE3ELNS1_3repE0EEENS1_30default_config_static_selectorELNS0_4arch9wavefront6targetE1EEEvT1_
; %bb.0:
	.section	.rodata,"a",@progbits
	.p2align	6, 0x0
	.amdhsa_kernel _ZN7rocprim17ROCPRIM_400000_NS6detail17trampoline_kernelINS0_14default_configENS1_20scan_config_selectorItEEZZNS1_9scan_implILNS1_25lookback_scan_determinismE0ELb1ELb1ES3_N6thrust23THRUST_200600_302600_NS6detail15normal_iteratorINS9_10device_ptrItEEEESE_tNS9_4plusIvEEtEEDaPvRmT3_T4_T5_mT6_P12ihipStream_tbENKUlT_T0_E_clISt17integral_constantIbLb0EESU_EEDaSP_SQ_EUlSP_E_NS1_11comp_targetILNS1_3genE9ELNS1_11target_archE1100ELNS1_3gpuE3ELNS1_3repE0EEENS1_30default_config_static_selectorELNS0_4arch9wavefront6targetE1EEEvT1_
		.amdhsa_group_segment_fixed_size 0
		.amdhsa_private_segment_fixed_size 0
		.amdhsa_kernarg_size 96
		.amdhsa_user_sgpr_count 6
		.amdhsa_user_sgpr_private_segment_buffer 1
		.amdhsa_user_sgpr_dispatch_ptr 0
		.amdhsa_user_sgpr_queue_ptr 0
		.amdhsa_user_sgpr_kernarg_segment_ptr 1
		.amdhsa_user_sgpr_dispatch_id 0
		.amdhsa_user_sgpr_flat_scratch_init 0
		.amdhsa_user_sgpr_kernarg_preload_length 0
		.amdhsa_user_sgpr_kernarg_preload_offset 0
		.amdhsa_user_sgpr_private_segment_size 0
		.amdhsa_uses_dynamic_stack 0
		.amdhsa_system_sgpr_private_segment_wavefront_offset 0
		.amdhsa_system_sgpr_workgroup_id_x 1
		.amdhsa_system_sgpr_workgroup_id_y 0
		.amdhsa_system_sgpr_workgroup_id_z 0
		.amdhsa_system_sgpr_workgroup_info 0
		.amdhsa_system_vgpr_workitem_id 0
		.amdhsa_next_free_vgpr 1
		.amdhsa_next_free_sgpr 0
		.amdhsa_accum_offset 4
		.amdhsa_reserve_vcc 0
		.amdhsa_reserve_flat_scratch 0
		.amdhsa_float_round_mode_32 0
		.amdhsa_float_round_mode_16_64 0
		.amdhsa_float_denorm_mode_32 3
		.amdhsa_float_denorm_mode_16_64 3
		.amdhsa_dx10_clamp 1
		.amdhsa_ieee_mode 1
		.amdhsa_fp16_overflow 0
		.amdhsa_tg_split 0
		.amdhsa_exception_fp_ieee_invalid_op 0
		.amdhsa_exception_fp_denorm_src 0
		.amdhsa_exception_fp_ieee_div_zero 0
		.amdhsa_exception_fp_ieee_overflow 0
		.amdhsa_exception_fp_ieee_underflow 0
		.amdhsa_exception_fp_ieee_inexact 0
		.amdhsa_exception_int_div_zero 0
	.end_amdhsa_kernel
	.section	.text._ZN7rocprim17ROCPRIM_400000_NS6detail17trampoline_kernelINS0_14default_configENS1_20scan_config_selectorItEEZZNS1_9scan_implILNS1_25lookback_scan_determinismE0ELb1ELb1ES3_N6thrust23THRUST_200600_302600_NS6detail15normal_iteratorINS9_10device_ptrItEEEESE_tNS9_4plusIvEEtEEDaPvRmT3_T4_T5_mT6_P12ihipStream_tbENKUlT_T0_E_clISt17integral_constantIbLb0EESU_EEDaSP_SQ_EUlSP_E_NS1_11comp_targetILNS1_3genE9ELNS1_11target_archE1100ELNS1_3gpuE3ELNS1_3repE0EEENS1_30default_config_static_selectorELNS0_4arch9wavefront6targetE1EEEvT1_,"axG",@progbits,_ZN7rocprim17ROCPRIM_400000_NS6detail17trampoline_kernelINS0_14default_configENS1_20scan_config_selectorItEEZZNS1_9scan_implILNS1_25lookback_scan_determinismE0ELb1ELb1ES3_N6thrust23THRUST_200600_302600_NS6detail15normal_iteratorINS9_10device_ptrItEEEESE_tNS9_4plusIvEEtEEDaPvRmT3_T4_T5_mT6_P12ihipStream_tbENKUlT_T0_E_clISt17integral_constantIbLb0EESU_EEDaSP_SQ_EUlSP_E_NS1_11comp_targetILNS1_3genE9ELNS1_11target_archE1100ELNS1_3gpuE3ELNS1_3repE0EEENS1_30default_config_static_selectorELNS0_4arch9wavefront6targetE1EEEvT1_,comdat
.Lfunc_end4797:
	.size	_ZN7rocprim17ROCPRIM_400000_NS6detail17trampoline_kernelINS0_14default_configENS1_20scan_config_selectorItEEZZNS1_9scan_implILNS1_25lookback_scan_determinismE0ELb1ELb1ES3_N6thrust23THRUST_200600_302600_NS6detail15normal_iteratorINS9_10device_ptrItEEEESE_tNS9_4plusIvEEtEEDaPvRmT3_T4_T5_mT6_P12ihipStream_tbENKUlT_T0_E_clISt17integral_constantIbLb0EESU_EEDaSP_SQ_EUlSP_E_NS1_11comp_targetILNS1_3genE9ELNS1_11target_archE1100ELNS1_3gpuE3ELNS1_3repE0EEENS1_30default_config_static_selectorELNS0_4arch9wavefront6targetE1EEEvT1_, .Lfunc_end4797-_ZN7rocprim17ROCPRIM_400000_NS6detail17trampoline_kernelINS0_14default_configENS1_20scan_config_selectorItEEZZNS1_9scan_implILNS1_25lookback_scan_determinismE0ELb1ELb1ES3_N6thrust23THRUST_200600_302600_NS6detail15normal_iteratorINS9_10device_ptrItEEEESE_tNS9_4plusIvEEtEEDaPvRmT3_T4_T5_mT6_P12ihipStream_tbENKUlT_T0_E_clISt17integral_constantIbLb0EESU_EEDaSP_SQ_EUlSP_E_NS1_11comp_targetILNS1_3genE9ELNS1_11target_archE1100ELNS1_3gpuE3ELNS1_3repE0EEENS1_30default_config_static_selectorELNS0_4arch9wavefront6targetE1EEEvT1_
                                        ; -- End function
	.section	.AMDGPU.csdata,"",@progbits
; Kernel info:
; codeLenInByte = 0
; NumSgprs: 4
; NumVgprs: 0
; NumAgprs: 0
; TotalNumVgprs: 0
; ScratchSize: 0
; MemoryBound: 0
; FloatMode: 240
; IeeeMode: 1
; LDSByteSize: 0 bytes/workgroup (compile time only)
; SGPRBlocks: 0
; VGPRBlocks: 0
; NumSGPRsForWavesPerEU: 4
; NumVGPRsForWavesPerEU: 1
; AccumOffset: 4
; Occupancy: 8
; WaveLimiterHint : 0
; COMPUTE_PGM_RSRC2:SCRATCH_EN: 0
; COMPUTE_PGM_RSRC2:USER_SGPR: 6
; COMPUTE_PGM_RSRC2:TRAP_HANDLER: 0
; COMPUTE_PGM_RSRC2:TGID_X_EN: 1
; COMPUTE_PGM_RSRC2:TGID_Y_EN: 0
; COMPUTE_PGM_RSRC2:TGID_Z_EN: 0
; COMPUTE_PGM_RSRC2:TIDIG_COMP_CNT: 0
; COMPUTE_PGM_RSRC3_GFX90A:ACCUM_OFFSET: 0
; COMPUTE_PGM_RSRC3_GFX90A:TG_SPLIT: 0
	.section	.text._ZN7rocprim17ROCPRIM_400000_NS6detail17trampoline_kernelINS0_14default_configENS1_20scan_config_selectorItEEZZNS1_9scan_implILNS1_25lookback_scan_determinismE0ELb1ELb1ES3_N6thrust23THRUST_200600_302600_NS6detail15normal_iteratorINS9_10device_ptrItEEEESE_tNS9_4plusIvEEtEEDaPvRmT3_T4_T5_mT6_P12ihipStream_tbENKUlT_T0_E_clISt17integral_constantIbLb0EESU_EEDaSP_SQ_EUlSP_E_NS1_11comp_targetILNS1_3genE8ELNS1_11target_archE1030ELNS1_3gpuE2ELNS1_3repE0EEENS1_30default_config_static_selectorELNS0_4arch9wavefront6targetE1EEEvT1_,"axG",@progbits,_ZN7rocprim17ROCPRIM_400000_NS6detail17trampoline_kernelINS0_14default_configENS1_20scan_config_selectorItEEZZNS1_9scan_implILNS1_25lookback_scan_determinismE0ELb1ELb1ES3_N6thrust23THRUST_200600_302600_NS6detail15normal_iteratorINS9_10device_ptrItEEEESE_tNS9_4plusIvEEtEEDaPvRmT3_T4_T5_mT6_P12ihipStream_tbENKUlT_T0_E_clISt17integral_constantIbLb0EESU_EEDaSP_SQ_EUlSP_E_NS1_11comp_targetILNS1_3genE8ELNS1_11target_archE1030ELNS1_3gpuE2ELNS1_3repE0EEENS1_30default_config_static_selectorELNS0_4arch9wavefront6targetE1EEEvT1_,comdat
	.protected	_ZN7rocprim17ROCPRIM_400000_NS6detail17trampoline_kernelINS0_14default_configENS1_20scan_config_selectorItEEZZNS1_9scan_implILNS1_25lookback_scan_determinismE0ELb1ELb1ES3_N6thrust23THRUST_200600_302600_NS6detail15normal_iteratorINS9_10device_ptrItEEEESE_tNS9_4plusIvEEtEEDaPvRmT3_T4_T5_mT6_P12ihipStream_tbENKUlT_T0_E_clISt17integral_constantIbLb0EESU_EEDaSP_SQ_EUlSP_E_NS1_11comp_targetILNS1_3genE8ELNS1_11target_archE1030ELNS1_3gpuE2ELNS1_3repE0EEENS1_30default_config_static_selectorELNS0_4arch9wavefront6targetE1EEEvT1_ ; -- Begin function _ZN7rocprim17ROCPRIM_400000_NS6detail17trampoline_kernelINS0_14default_configENS1_20scan_config_selectorItEEZZNS1_9scan_implILNS1_25lookback_scan_determinismE0ELb1ELb1ES3_N6thrust23THRUST_200600_302600_NS6detail15normal_iteratorINS9_10device_ptrItEEEESE_tNS9_4plusIvEEtEEDaPvRmT3_T4_T5_mT6_P12ihipStream_tbENKUlT_T0_E_clISt17integral_constantIbLb0EESU_EEDaSP_SQ_EUlSP_E_NS1_11comp_targetILNS1_3genE8ELNS1_11target_archE1030ELNS1_3gpuE2ELNS1_3repE0EEENS1_30default_config_static_selectorELNS0_4arch9wavefront6targetE1EEEvT1_
	.globl	_ZN7rocprim17ROCPRIM_400000_NS6detail17trampoline_kernelINS0_14default_configENS1_20scan_config_selectorItEEZZNS1_9scan_implILNS1_25lookback_scan_determinismE0ELb1ELb1ES3_N6thrust23THRUST_200600_302600_NS6detail15normal_iteratorINS9_10device_ptrItEEEESE_tNS9_4plusIvEEtEEDaPvRmT3_T4_T5_mT6_P12ihipStream_tbENKUlT_T0_E_clISt17integral_constantIbLb0EESU_EEDaSP_SQ_EUlSP_E_NS1_11comp_targetILNS1_3genE8ELNS1_11target_archE1030ELNS1_3gpuE2ELNS1_3repE0EEENS1_30default_config_static_selectorELNS0_4arch9wavefront6targetE1EEEvT1_
	.p2align	8
	.type	_ZN7rocprim17ROCPRIM_400000_NS6detail17trampoline_kernelINS0_14default_configENS1_20scan_config_selectorItEEZZNS1_9scan_implILNS1_25lookback_scan_determinismE0ELb1ELb1ES3_N6thrust23THRUST_200600_302600_NS6detail15normal_iteratorINS9_10device_ptrItEEEESE_tNS9_4plusIvEEtEEDaPvRmT3_T4_T5_mT6_P12ihipStream_tbENKUlT_T0_E_clISt17integral_constantIbLb0EESU_EEDaSP_SQ_EUlSP_E_NS1_11comp_targetILNS1_3genE8ELNS1_11target_archE1030ELNS1_3gpuE2ELNS1_3repE0EEENS1_30default_config_static_selectorELNS0_4arch9wavefront6targetE1EEEvT1_,@function
_ZN7rocprim17ROCPRIM_400000_NS6detail17trampoline_kernelINS0_14default_configENS1_20scan_config_selectorItEEZZNS1_9scan_implILNS1_25lookback_scan_determinismE0ELb1ELb1ES3_N6thrust23THRUST_200600_302600_NS6detail15normal_iteratorINS9_10device_ptrItEEEESE_tNS9_4plusIvEEtEEDaPvRmT3_T4_T5_mT6_P12ihipStream_tbENKUlT_T0_E_clISt17integral_constantIbLb0EESU_EEDaSP_SQ_EUlSP_E_NS1_11comp_targetILNS1_3genE8ELNS1_11target_archE1030ELNS1_3gpuE2ELNS1_3repE0EEENS1_30default_config_static_selectorELNS0_4arch9wavefront6targetE1EEEvT1_: ; @_ZN7rocprim17ROCPRIM_400000_NS6detail17trampoline_kernelINS0_14default_configENS1_20scan_config_selectorItEEZZNS1_9scan_implILNS1_25lookback_scan_determinismE0ELb1ELb1ES3_N6thrust23THRUST_200600_302600_NS6detail15normal_iteratorINS9_10device_ptrItEEEESE_tNS9_4plusIvEEtEEDaPvRmT3_T4_T5_mT6_P12ihipStream_tbENKUlT_T0_E_clISt17integral_constantIbLb0EESU_EEDaSP_SQ_EUlSP_E_NS1_11comp_targetILNS1_3genE8ELNS1_11target_archE1030ELNS1_3gpuE2ELNS1_3repE0EEENS1_30default_config_static_selectorELNS0_4arch9wavefront6targetE1EEEvT1_
; %bb.0:
	.section	.rodata,"a",@progbits
	.p2align	6, 0x0
	.amdhsa_kernel _ZN7rocprim17ROCPRIM_400000_NS6detail17trampoline_kernelINS0_14default_configENS1_20scan_config_selectorItEEZZNS1_9scan_implILNS1_25lookback_scan_determinismE0ELb1ELb1ES3_N6thrust23THRUST_200600_302600_NS6detail15normal_iteratorINS9_10device_ptrItEEEESE_tNS9_4plusIvEEtEEDaPvRmT3_T4_T5_mT6_P12ihipStream_tbENKUlT_T0_E_clISt17integral_constantIbLb0EESU_EEDaSP_SQ_EUlSP_E_NS1_11comp_targetILNS1_3genE8ELNS1_11target_archE1030ELNS1_3gpuE2ELNS1_3repE0EEENS1_30default_config_static_selectorELNS0_4arch9wavefront6targetE1EEEvT1_
		.amdhsa_group_segment_fixed_size 0
		.amdhsa_private_segment_fixed_size 0
		.amdhsa_kernarg_size 96
		.amdhsa_user_sgpr_count 6
		.amdhsa_user_sgpr_private_segment_buffer 1
		.amdhsa_user_sgpr_dispatch_ptr 0
		.amdhsa_user_sgpr_queue_ptr 0
		.amdhsa_user_sgpr_kernarg_segment_ptr 1
		.amdhsa_user_sgpr_dispatch_id 0
		.amdhsa_user_sgpr_flat_scratch_init 0
		.amdhsa_user_sgpr_kernarg_preload_length 0
		.amdhsa_user_sgpr_kernarg_preload_offset 0
		.amdhsa_user_sgpr_private_segment_size 0
		.amdhsa_uses_dynamic_stack 0
		.amdhsa_system_sgpr_private_segment_wavefront_offset 0
		.amdhsa_system_sgpr_workgroup_id_x 1
		.amdhsa_system_sgpr_workgroup_id_y 0
		.amdhsa_system_sgpr_workgroup_id_z 0
		.amdhsa_system_sgpr_workgroup_info 0
		.amdhsa_system_vgpr_workitem_id 0
		.amdhsa_next_free_vgpr 1
		.amdhsa_next_free_sgpr 0
		.amdhsa_accum_offset 4
		.amdhsa_reserve_vcc 0
		.amdhsa_reserve_flat_scratch 0
		.amdhsa_float_round_mode_32 0
		.amdhsa_float_round_mode_16_64 0
		.amdhsa_float_denorm_mode_32 3
		.amdhsa_float_denorm_mode_16_64 3
		.amdhsa_dx10_clamp 1
		.amdhsa_ieee_mode 1
		.amdhsa_fp16_overflow 0
		.amdhsa_tg_split 0
		.amdhsa_exception_fp_ieee_invalid_op 0
		.amdhsa_exception_fp_denorm_src 0
		.amdhsa_exception_fp_ieee_div_zero 0
		.amdhsa_exception_fp_ieee_overflow 0
		.amdhsa_exception_fp_ieee_underflow 0
		.amdhsa_exception_fp_ieee_inexact 0
		.amdhsa_exception_int_div_zero 0
	.end_amdhsa_kernel
	.section	.text._ZN7rocprim17ROCPRIM_400000_NS6detail17trampoline_kernelINS0_14default_configENS1_20scan_config_selectorItEEZZNS1_9scan_implILNS1_25lookback_scan_determinismE0ELb1ELb1ES3_N6thrust23THRUST_200600_302600_NS6detail15normal_iteratorINS9_10device_ptrItEEEESE_tNS9_4plusIvEEtEEDaPvRmT3_T4_T5_mT6_P12ihipStream_tbENKUlT_T0_E_clISt17integral_constantIbLb0EESU_EEDaSP_SQ_EUlSP_E_NS1_11comp_targetILNS1_3genE8ELNS1_11target_archE1030ELNS1_3gpuE2ELNS1_3repE0EEENS1_30default_config_static_selectorELNS0_4arch9wavefront6targetE1EEEvT1_,"axG",@progbits,_ZN7rocprim17ROCPRIM_400000_NS6detail17trampoline_kernelINS0_14default_configENS1_20scan_config_selectorItEEZZNS1_9scan_implILNS1_25lookback_scan_determinismE0ELb1ELb1ES3_N6thrust23THRUST_200600_302600_NS6detail15normal_iteratorINS9_10device_ptrItEEEESE_tNS9_4plusIvEEtEEDaPvRmT3_T4_T5_mT6_P12ihipStream_tbENKUlT_T0_E_clISt17integral_constantIbLb0EESU_EEDaSP_SQ_EUlSP_E_NS1_11comp_targetILNS1_3genE8ELNS1_11target_archE1030ELNS1_3gpuE2ELNS1_3repE0EEENS1_30default_config_static_selectorELNS0_4arch9wavefront6targetE1EEEvT1_,comdat
.Lfunc_end4798:
	.size	_ZN7rocprim17ROCPRIM_400000_NS6detail17trampoline_kernelINS0_14default_configENS1_20scan_config_selectorItEEZZNS1_9scan_implILNS1_25lookback_scan_determinismE0ELb1ELb1ES3_N6thrust23THRUST_200600_302600_NS6detail15normal_iteratorINS9_10device_ptrItEEEESE_tNS9_4plusIvEEtEEDaPvRmT3_T4_T5_mT6_P12ihipStream_tbENKUlT_T0_E_clISt17integral_constantIbLb0EESU_EEDaSP_SQ_EUlSP_E_NS1_11comp_targetILNS1_3genE8ELNS1_11target_archE1030ELNS1_3gpuE2ELNS1_3repE0EEENS1_30default_config_static_selectorELNS0_4arch9wavefront6targetE1EEEvT1_, .Lfunc_end4798-_ZN7rocprim17ROCPRIM_400000_NS6detail17trampoline_kernelINS0_14default_configENS1_20scan_config_selectorItEEZZNS1_9scan_implILNS1_25lookback_scan_determinismE0ELb1ELb1ES3_N6thrust23THRUST_200600_302600_NS6detail15normal_iteratorINS9_10device_ptrItEEEESE_tNS9_4plusIvEEtEEDaPvRmT3_T4_T5_mT6_P12ihipStream_tbENKUlT_T0_E_clISt17integral_constantIbLb0EESU_EEDaSP_SQ_EUlSP_E_NS1_11comp_targetILNS1_3genE8ELNS1_11target_archE1030ELNS1_3gpuE2ELNS1_3repE0EEENS1_30default_config_static_selectorELNS0_4arch9wavefront6targetE1EEEvT1_
                                        ; -- End function
	.section	.AMDGPU.csdata,"",@progbits
; Kernel info:
; codeLenInByte = 0
; NumSgprs: 4
; NumVgprs: 0
; NumAgprs: 0
; TotalNumVgprs: 0
; ScratchSize: 0
; MemoryBound: 0
; FloatMode: 240
; IeeeMode: 1
; LDSByteSize: 0 bytes/workgroup (compile time only)
; SGPRBlocks: 0
; VGPRBlocks: 0
; NumSGPRsForWavesPerEU: 4
; NumVGPRsForWavesPerEU: 1
; AccumOffset: 4
; Occupancy: 8
; WaveLimiterHint : 0
; COMPUTE_PGM_RSRC2:SCRATCH_EN: 0
; COMPUTE_PGM_RSRC2:USER_SGPR: 6
; COMPUTE_PGM_RSRC2:TRAP_HANDLER: 0
; COMPUTE_PGM_RSRC2:TGID_X_EN: 1
; COMPUTE_PGM_RSRC2:TGID_Y_EN: 0
; COMPUTE_PGM_RSRC2:TGID_Z_EN: 0
; COMPUTE_PGM_RSRC2:TIDIG_COMP_CNT: 0
; COMPUTE_PGM_RSRC3_GFX90A:ACCUM_OFFSET: 0
; COMPUTE_PGM_RSRC3_GFX90A:TG_SPLIT: 0
	.section	.text._ZN7rocprim17ROCPRIM_400000_NS6detail17trampoline_kernelINS0_14default_configENS1_20scan_config_selectorItEEZZNS1_9scan_implILNS1_25lookback_scan_determinismE0ELb1ELb1ES3_N6thrust23THRUST_200600_302600_NS6detail15normal_iteratorINS9_10device_ptrItEEEESE_tNS9_4plusIvEEtEEDaPvRmT3_T4_T5_mT6_P12ihipStream_tbENKUlT_T0_E_clISt17integral_constantIbLb0EESU_EEDaSP_SQ_EUlSP_E0_NS1_11comp_targetILNS1_3genE0ELNS1_11target_archE4294967295ELNS1_3gpuE0ELNS1_3repE0EEENS1_30default_config_static_selectorELNS0_4arch9wavefront6targetE1EEEvT1_,"axG",@progbits,_ZN7rocprim17ROCPRIM_400000_NS6detail17trampoline_kernelINS0_14default_configENS1_20scan_config_selectorItEEZZNS1_9scan_implILNS1_25lookback_scan_determinismE0ELb1ELb1ES3_N6thrust23THRUST_200600_302600_NS6detail15normal_iteratorINS9_10device_ptrItEEEESE_tNS9_4plusIvEEtEEDaPvRmT3_T4_T5_mT6_P12ihipStream_tbENKUlT_T0_E_clISt17integral_constantIbLb0EESU_EEDaSP_SQ_EUlSP_E0_NS1_11comp_targetILNS1_3genE0ELNS1_11target_archE4294967295ELNS1_3gpuE0ELNS1_3repE0EEENS1_30default_config_static_selectorELNS0_4arch9wavefront6targetE1EEEvT1_,comdat
	.protected	_ZN7rocprim17ROCPRIM_400000_NS6detail17trampoline_kernelINS0_14default_configENS1_20scan_config_selectorItEEZZNS1_9scan_implILNS1_25lookback_scan_determinismE0ELb1ELb1ES3_N6thrust23THRUST_200600_302600_NS6detail15normal_iteratorINS9_10device_ptrItEEEESE_tNS9_4plusIvEEtEEDaPvRmT3_T4_T5_mT6_P12ihipStream_tbENKUlT_T0_E_clISt17integral_constantIbLb0EESU_EEDaSP_SQ_EUlSP_E0_NS1_11comp_targetILNS1_3genE0ELNS1_11target_archE4294967295ELNS1_3gpuE0ELNS1_3repE0EEENS1_30default_config_static_selectorELNS0_4arch9wavefront6targetE1EEEvT1_ ; -- Begin function _ZN7rocprim17ROCPRIM_400000_NS6detail17trampoline_kernelINS0_14default_configENS1_20scan_config_selectorItEEZZNS1_9scan_implILNS1_25lookback_scan_determinismE0ELb1ELb1ES3_N6thrust23THRUST_200600_302600_NS6detail15normal_iteratorINS9_10device_ptrItEEEESE_tNS9_4plusIvEEtEEDaPvRmT3_T4_T5_mT6_P12ihipStream_tbENKUlT_T0_E_clISt17integral_constantIbLb0EESU_EEDaSP_SQ_EUlSP_E0_NS1_11comp_targetILNS1_3genE0ELNS1_11target_archE4294967295ELNS1_3gpuE0ELNS1_3repE0EEENS1_30default_config_static_selectorELNS0_4arch9wavefront6targetE1EEEvT1_
	.globl	_ZN7rocprim17ROCPRIM_400000_NS6detail17trampoline_kernelINS0_14default_configENS1_20scan_config_selectorItEEZZNS1_9scan_implILNS1_25lookback_scan_determinismE0ELb1ELb1ES3_N6thrust23THRUST_200600_302600_NS6detail15normal_iteratorINS9_10device_ptrItEEEESE_tNS9_4plusIvEEtEEDaPvRmT3_T4_T5_mT6_P12ihipStream_tbENKUlT_T0_E_clISt17integral_constantIbLb0EESU_EEDaSP_SQ_EUlSP_E0_NS1_11comp_targetILNS1_3genE0ELNS1_11target_archE4294967295ELNS1_3gpuE0ELNS1_3repE0EEENS1_30default_config_static_selectorELNS0_4arch9wavefront6targetE1EEEvT1_
	.p2align	8
	.type	_ZN7rocprim17ROCPRIM_400000_NS6detail17trampoline_kernelINS0_14default_configENS1_20scan_config_selectorItEEZZNS1_9scan_implILNS1_25lookback_scan_determinismE0ELb1ELb1ES3_N6thrust23THRUST_200600_302600_NS6detail15normal_iteratorINS9_10device_ptrItEEEESE_tNS9_4plusIvEEtEEDaPvRmT3_T4_T5_mT6_P12ihipStream_tbENKUlT_T0_E_clISt17integral_constantIbLb0EESU_EEDaSP_SQ_EUlSP_E0_NS1_11comp_targetILNS1_3genE0ELNS1_11target_archE4294967295ELNS1_3gpuE0ELNS1_3repE0EEENS1_30default_config_static_selectorELNS0_4arch9wavefront6targetE1EEEvT1_,@function
_ZN7rocprim17ROCPRIM_400000_NS6detail17trampoline_kernelINS0_14default_configENS1_20scan_config_selectorItEEZZNS1_9scan_implILNS1_25lookback_scan_determinismE0ELb1ELb1ES3_N6thrust23THRUST_200600_302600_NS6detail15normal_iteratorINS9_10device_ptrItEEEESE_tNS9_4plusIvEEtEEDaPvRmT3_T4_T5_mT6_P12ihipStream_tbENKUlT_T0_E_clISt17integral_constantIbLb0EESU_EEDaSP_SQ_EUlSP_E0_NS1_11comp_targetILNS1_3genE0ELNS1_11target_archE4294967295ELNS1_3gpuE0ELNS1_3repE0EEENS1_30default_config_static_selectorELNS0_4arch9wavefront6targetE1EEEvT1_: ; @_ZN7rocprim17ROCPRIM_400000_NS6detail17trampoline_kernelINS0_14default_configENS1_20scan_config_selectorItEEZZNS1_9scan_implILNS1_25lookback_scan_determinismE0ELb1ELb1ES3_N6thrust23THRUST_200600_302600_NS6detail15normal_iteratorINS9_10device_ptrItEEEESE_tNS9_4plusIvEEtEEDaPvRmT3_T4_T5_mT6_P12ihipStream_tbENKUlT_T0_E_clISt17integral_constantIbLb0EESU_EEDaSP_SQ_EUlSP_E0_NS1_11comp_targetILNS1_3genE0ELNS1_11target_archE4294967295ELNS1_3gpuE0ELNS1_3repE0EEENS1_30default_config_static_selectorELNS0_4arch9wavefront6targetE1EEEvT1_
; %bb.0:
	.section	.rodata,"a",@progbits
	.p2align	6, 0x0
	.amdhsa_kernel _ZN7rocprim17ROCPRIM_400000_NS6detail17trampoline_kernelINS0_14default_configENS1_20scan_config_selectorItEEZZNS1_9scan_implILNS1_25lookback_scan_determinismE0ELb1ELb1ES3_N6thrust23THRUST_200600_302600_NS6detail15normal_iteratorINS9_10device_ptrItEEEESE_tNS9_4plusIvEEtEEDaPvRmT3_T4_T5_mT6_P12ihipStream_tbENKUlT_T0_E_clISt17integral_constantIbLb0EESU_EEDaSP_SQ_EUlSP_E0_NS1_11comp_targetILNS1_3genE0ELNS1_11target_archE4294967295ELNS1_3gpuE0ELNS1_3repE0EEENS1_30default_config_static_selectorELNS0_4arch9wavefront6targetE1EEEvT1_
		.amdhsa_group_segment_fixed_size 0
		.amdhsa_private_segment_fixed_size 0
		.amdhsa_kernarg_size 32
		.amdhsa_user_sgpr_count 6
		.amdhsa_user_sgpr_private_segment_buffer 1
		.amdhsa_user_sgpr_dispatch_ptr 0
		.amdhsa_user_sgpr_queue_ptr 0
		.amdhsa_user_sgpr_kernarg_segment_ptr 1
		.amdhsa_user_sgpr_dispatch_id 0
		.amdhsa_user_sgpr_flat_scratch_init 0
		.amdhsa_user_sgpr_kernarg_preload_length 0
		.amdhsa_user_sgpr_kernarg_preload_offset 0
		.amdhsa_user_sgpr_private_segment_size 0
		.amdhsa_uses_dynamic_stack 0
		.amdhsa_system_sgpr_private_segment_wavefront_offset 0
		.amdhsa_system_sgpr_workgroup_id_x 1
		.amdhsa_system_sgpr_workgroup_id_y 0
		.amdhsa_system_sgpr_workgroup_id_z 0
		.amdhsa_system_sgpr_workgroup_info 0
		.amdhsa_system_vgpr_workitem_id 0
		.amdhsa_next_free_vgpr 1
		.amdhsa_next_free_sgpr 0
		.amdhsa_accum_offset 4
		.amdhsa_reserve_vcc 0
		.amdhsa_reserve_flat_scratch 0
		.amdhsa_float_round_mode_32 0
		.amdhsa_float_round_mode_16_64 0
		.amdhsa_float_denorm_mode_32 3
		.amdhsa_float_denorm_mode_16_64 3
		.amdhsa_dx10_clamp 1
		.amdhsa_ieee_mode 1
		.amdhsa_fp16_overflow 0
		.amdhsa_tg_split 0
		.amdhsa_exception_fp_ieee_invalid_op 0
		.amdhsa_exception_fp_denorm_src 0
		.amdhsa_exception_fp_ieee_div_zero 0
		.amdhsa_exception_fp_ieee_overflow 0
		.amdhsa_exception_fp_ieee_underflow 0
		.amdhsa_exception_fp_ieee_inexact 0
		.amdhsa_exception_int_div_zero 0
	.end_amdhsa_kernel
	.section	.text._ZN7rocprim17ROCPRIM_400000_NS6detail17trampoline_kernelINS0_14default_configENS1_20scan_config_selectorItEEZZNS1_9scan_implILNS1_25lookback_scan_determinismE0ELb1ELb1ES3_N6thrust23THRUST_200600_302600_NS6detail15normal_iteratorINS9_10device_ptrItEEEESE_tNS9_4plusIvEEtEEDaPvRmT3_T4_T5_mT6_P12ihipStream_tbENKUlT_T0_E_clISt17integral_constantIbLb0EESU_EEDaSP_SQ_EUlSP_E0_NS1_11comp_targetILNS1_3genE0ELNS1_11target_archE4294967295ELNS1_3gpuE0ELNS1_3repE0EEENS1_30default_config_static_selectorELNS0_4arch9wavefront6targetE1EEEvT1_,"axG",@progbits,_ZN7rocprim17ROCPRIM_400000_NS6detail17trampoline_kernelINS0_14default_configENS1_20scan_config_selectorItEEZZNS1_9scan_implILNS1_25lookback_scan_determinismE0ELb1ELb1ES3_N6thrust23THRUST_200600_302600_NS6detail15normal_iteratorINS9_10device_ptrItEEEESE_tNS9_4plusIvEEtEEDaPvRmT3_T4_T5_mT6_P12ihipStream_tbENKUlT_T0_E_clISt17integral_constantIbLb0EESU_EEDaSP_SQ_EUlSP_E0_NS1_11comp_targetILNS1_3genE0ELNS1_11target_archE4294967295ELNS1_3gpuE0ELNS1_3repE0EEENS1_30default_config_static_selectorELNS0_4arch9wavefront6targetE1EEEvT1_,comdat
.Lfunc_end4799:
	.size	_ZN7rocprim17ROCPRIM_400000_NS6detail17trampoline_kernelINS0_14default_configENS1_20scan_config_selectorItEEZZNS1_9scan_implILNS1_25lookback_scan_determinismE0ELb1ELb1ES3_N6thrust23THRUST_200600_302600_NS6detail15normal_iteratorINS9_10device_ptrItEEEESE_tNS9_4plusIvEEtEEDaPvRmT3_T4_T5_mT6_P12ihipStream_tbENKUlT_T0_E_clISt17integral_constantIbLb0EESU_EEDaSP_SQ_EUlSP_E0_NS1_11comp_targetILNS1_3genE0ELNS1_11target_archE4294967295ELNS1_3gpuE0ELNS1_3repE0EEENS1_30default_config_static_selectorELNS0_4arch9wavefront6targetE1EEEvT1_, .Lfunc_end4799-_ZN7rocprim17ROCPRIM_400000_NS6detail17trampoline_kernelINS0_14default_configENS1_20scan_config_selectorItEEZZNS1_9scan_implILNS1_25lookback_scan_determinismE0ELb1ELb1ES3_N6thrust23THRUST_200600_302600_NS6detail15normal_iteratorINS9_10device_ptrItEEEESE_tNS9_4plusIvEEtEEDaPvRmT3_T4_T5_mT6_P12ihipStream_tbENKUlT_T0_E_clISt17integral_constantIbLb0EESU_EEDaSP_SQ_EUlSP_E0_NS1_11comp_targetILNS1_3genE0ELNS1_11target_archE4294967295ELNS1_3gpuE0ELNS1_3repE0EEENS1_30default_config_static_selectorELNS0_4arch9wavefront6targetE1EEEvT1_
                                        ; -- End function
	.section	.AMDGPU.csdata,"",@progbits
; Kernel info:
; codeLenInByte = 0
; NumSgprs: 4
; NumVgprs: 0
; NumAgprs: 0
; TotalNumVgprs: 0
; ScratchSize: 0
; MemoryBound: 0
; FloatMode: 240
; IeeeMode: 1
; LDSByteSize: 0 bytes/workgroup (compile time only)
; SGPRBlocks: 0
; VGPRBlocks: 0
; NumSGPRsForWavesPerEU: 4
; NumVGPRsForWavesPerEU: 1
; AccumOffset: 4
; Occupancy: 8
; WaveLimiterHint : 0
; COMPUTE_PGM_RSRC2:SCRATCH_EN: 0
; COMPUTE_PGM_RSRC2:USER_SGPR: 6
; COMPUTE_PGM_RSRC2:TRAP_HANDLER: 0
; COMPUTE_PGM_RSRC2:TGID_X_EN: 1
; COMPUTE_PGM_RSRC2:TGID_Y_EN: 0
; COMPUTE_PGM_RSRC2:TGID_Z_EN: 0
; COMPUTE_PGM_RSRC2:TIDIG_COMP_CNT: 0
; COMPUTE_PGM_RSRC3_GFX90A:ACCUM_OFFSET: 0
; COMPUTE_PGM_RSRC3_GFX90A:TG_SPLIT: 0
	.section	.text._ZN7rocprim17ROCPRIM_400000_NS6detail17trampoline_kernelINS0_14default_configENS1_20scan_config_selectorItEEZZNS1_9scan_implILNS1_25lookback_scan_determinismE0ELb1ELb1ES3_N6thrust23THRUST_200600_302600_NS6detail15normal_iteratorINS9_10device_ptrItEEEESE_tNS9_4plusIvEEtEEDaPvRmT3_T4_T5_mT6_P12ihipStream_tbENKUlT_T0_E_clISt17integral_constantIbLb0EESU_EEDaSP_SQ_EUlSP_E0_NS1_11comp_targetILNS1_3genE5ELNS1_11target_archE942ELNS1_3gpuE9ELNS1_3repE0EEENS1_30default_config_static_selectorELNS0_4arch9wavefront6targetE1EEEvT1_,"axG",@progbits,_ZN7rocprim17ROCPRIM_400000_NS6detail17trampoline_kernelINS0_14default_configENS1_20scan_config_selectorItEEZZNS1_9scan_implILNS1_25lookback_scan_determinismE0ELb1ELb1ES3_N6thrust23THRUST_200600_302600_NS6detail15normal_iteratorINS9_10device_ptrItEEEESE_tNS9_4plusIvEEtEEDaPvRmT3_T4_T5_mT6_P12ihipStream_tbENKUlT_T0_E_clISt17integral_constantIbLb0EESU_EEDaSP_SQ_EUlSP_E0_NS1_11comp_targetILNS1_3genE5ELNS1_11target_archE942ELNS1_3gpuE9ELNS1_3repE0EEENS1_30default_config_static_selectorELNS0_4arch9wavefront6targetE1EEEvT1_,comdat
	.protected	_ZN7rocprim17ROCPRIM_400000_NS6detail17trampoline_kernelINS0_14default_configENS1_20scan_config_selectorItEEZZNS1_9scan_implILNS1_25lookback_scan_determinismE0ELb1ELb1ES3_N6thrust23THRUST_200600_302600_NS6detail15normal_iteratorINS9_10device_ptrItEEEESE_tNS9_4plusIvEEtEEDaPvRmT3_T4_T5_mT6_P12ihipStream_tbENKUlT_T0_E_clISt17integral_constantIbLb0EESU_EEDaSP_SQ_EUlSP_E0_NS1_11comp_targetILNS1_3genE5ELNS1_11target_archE942ELNS1_3gpuE9ELNS1_3repE0EEENS1_30default_config_static_selectorELNS0_4arch9wavefront6targetE1EEEvT1_ ; -- Begin function _ZN7rocprim17ROCPRIM_400000_NS6detail17trampoline_kernelINS0_14default_configENS1_20scan_config_selectorItEEZZNS1_9scan_implILNS1_25lookback_scan_determinismE0ELb1ELb1ES3_N6thrust23THRUST_200600_302600_NS6detail15normal_iteratorINS9_10device_ptrItEEEESE_tNS9_4plusIvEEtEEDaPvRmT3_T4_T5_mT6_P12ihipStream_tbENKUlT_T0_E_clISt17integral_constantIbLb0EESU_EEDaSP_SQ_EUlSP_E0_NS1_11comp_targetILNS1_3genE5ELNS1_11target_archE942ELNS1_3gpuE9ELNS1_3repE0EEENS1_30default_config_static_selectorELNS0_4arch9wavefront6targetE1EEEvT1_
	.globl	_ZN7rocprim17ROCPRIM_400000_NS6detail17trampoline_kernelINS0_14default_configENS1_20scan_config_selectorItEEZZNS1_9scan_implILNS1_25lookback_scan_determinismE0ELb1ELb1ES3_N6thrust23THRUST_200600_302600_NS6detail15normal_iteratorINS9_10device_ptrItEEEESE_tNS9_4plusIvEEtEEDaPvRmT3_T4_T5_mT6_P12ihipStream_tbENKUlT_T0_E_clISt17integral_constantIbLb0EESU_EEDaSP_SQ_EUlSP_E0_NS1_11comp_targetILNS1_3genE5ELNS1_11target_archE942ELNS1_3gpuE9ELNS1_3repE0EEENS1_30default_config_static_selectorELNS0_4arch9wavefront6targetE1EEEvT1_
	.p2align	8
	.type	_ZN7rocprim17ROCPRIM_400000_NS6detail17trampoline_kernelINS0_14default_configENS1_20scan_config_selectorItEEZZNS1_9scan_implILNS1_25lookback_scan_determinismE0ELb1ELb1ES3_N6thrust23THRUST_200600_302600_NS6detail15normal_iteratorINS9_10device_ptrItEEEESE_tNS9_4plusIvEEtEEDaPvRmT3_T4_T5_mT6_P12ihipStream_tbENKUlT_T0_E_clISt17integral_constantIbLb0EESU_EEDaSP_SQ_EUlSP_E0_NS1_11comp_targetILNS1_3genE5ELNS1_11target_archE942ELNS1_3gpuE9ELNS1_3repE0EEENS1_30default_config_static_selectorELNS0_4arch9wavefront6targetE1EEEvT1_,@function
_ZN7rocprim17ROCPRIM_400000_NS6detail17trampoline_kernelINS0_14default_configENS1_20scan_config_selectorItEEZZNS1_9scan_implILNS1_25lookback_scan_determinismE0ELb1ELb1ES3_N6thrust23THRUST_200600_302600_NS6detail15normal_iteratorINS9_10device_ptrItEEEESE_tNS9_4plusIvEEtEEDaPvRmT3_T4_T5_mT6_P12ihipStream_tbENKUlT_T0_E_clISt17integral_constantIbLb0EESU_EEDaSP_SQ_EUlSP_E0_NS1_11comp_targetILNS1_3genE5ELNS1_11target_archE942ELNS1_3gpuE9ELNS1_3repE0EEENS1_30default_config_static_selectorELNS0_4arch9wavefront6targetE1EEEvT1_: ; @_ZN7rocprim17ROCPRIM_400000_NS6detail17trampoline_kernelINS0_14default_configENS1_20scan_config_selectorItEEZZNS1_9scan_implILNS1_25lookback_scan_determinismE0ELb1ELb1ES3_N6thrust23THRUST_200600_302600_NS6detail15normal_iteratorINS9_10device_ptrItEEEESE_tNS9_4plusIvEEtEEDaPvRmT3_T4_T5_mT6_P12ihipStream_tbENKUlT_T0_E_clISt17integral_constantIbLb0EESU_EEDaSP_SQ_EUlSP_E0_NS1_11comp_targetILNS1_3genE5ELNS1_11target_archE942ELNS1_3gpuE9ELNS1_3repE0EEENS1_30default_config_static_selectorELNS0_4arch9wavefront6targetE1EEEvT1_
; %bb.0:
	.section	.rodata,"a",@progbits
	.p2align	6, 0x0
	.amdhsa_kernel _ZN7rocprim17ROCPRIM_400000_NS6detail17trampoline_kernelINS0_14default_configENS1_20scan_config_selectorItEEZZNS1_9scan_implILNS1_25lookback_scan_determinismE0ELb1ELb1ES3_N6thrust23THRUST_200600_302600_NS6detail15normal_iteratorINS9_10device_ptrItEEEESE_tNS9_4plusIvEEtEEDaPvRmT3_T4_T5_mT6_P12ihipStream_tbENKUlT_T0_E_clISt17integral_constantIbLb0EESU_EEDaSP_SQ_EUlSP_E0_NS1_11comp_targetILNS1_3genE5ELNS1_11target_archE942ELNS1_3gpuE9ELNS1_3repE0EEENS1_30default_config_static_selectorELNS0_4arch9wavefront6targetE1EEEvT1_
		.amdhsa_group_segment_fixed_size 0
		.amdhsa_private_segment_fixed_size 0
		.amdhsa_kernarg_size 32
		.amdhsa_user_sgpr_count 6
		.amdhsa_user_sgpr_private_segment_buffer 1
		.amdhsa_user_sgpr_dispatch_ptr 0
		.amdhsa_user_sgpr_queue_ptr 0
		.amdhsa_user_sgpr_kernarg_segment_ptr 1
		.amdhsa_user_sgpr_dispatch_id 0
		.amdhsa_user_sgpr_flat_scratch_init 0
		.amdhsa_user_sgpr_kernarg_preload_length 0
		.amdhsa_user_sgpr_kernarg_preload_offset 0
		.amdhsa_user_sgpr_private_segment_size 0
		.amdhsa_uses_dynamic_stack 0
		.amdhsa_system_sgpr_private_segment_wavefront_offset 0
		.amdhsa_system_sgpr_workgroup_id_x 1
		.amdhsa_system_sgpr_workgroup_id_y 0
		.amdhsa_system_sgpr_workgroup_id_z 0
		.amdhsa_system_sgpr_workgroup_info 0
		.amdhsa_system_vgpr_workitem_id 0
		.amdhsa_next_free_vgpr 1
		.amdhsa_next_free_sgpr 0
		.amdhsa_accum_offset 4
		.amdhsa_reserve_vcc 0
		.amdhsa_reserve_flat_scratch 0
		.amdhsa_float_round_mode_32 0
		.amdhsa_float_round_mode_16_64 0
		.amdhsa_float_denorm_mode_32 3
		.amdhsa_float_denorm_mode_16_64 3
		.amdhsa_dx10_clamp 1
		.amdhsa_ieee_mode 1
		.amdhsa_fp16_overflow 0
		.amdhsa_tg_split 0
		.amdhsa_exception_fp_ieee_invalid_op 0
		.amdhsa_exception_fp_denorm_src 0
		.amdhsa_exception_fp_ieee_div_zero 0
		.amdhsa_exception_fp_ieee_overflow 0
		.amdhsa_exception_fp_ieee_underflow 0
		.amdhsa_exception_fp_ieee_inexact 0
		.amdhsa_exception_int_div_zero 0
	.end_amdhsa_kernel
	.section	.text._ZN7rocprim17ROCPRIM_400000_NS6detail17trampoline_kernelINS0_14default_configENS1_20scan_config_selectorItEEZZNS1_9scan_implILNS1_25lookback_scan_determinismE0ELb1ELb1ES3_N6thrust23THRUST_200600_302600_NS6detail15normal_iteratorINS9_10device_ptrItEEEESE_tNS9_4plusIvEEtEEDaPvRmT3_T4_T5_mT6_P12ihipStream_tbENKUlT_T0_E_clISt17integral_constantIbLb0EESU_EEDaSP_SQ_EUlSP_E0_NS1_11comp_targetILNS1_3genE5ELNS1_11target_archE942ELNS1_3gpuE9ELNS1_3repE0EEENS1_30default_config_static_selectorELNS0_4arch9wavefront6targetE1EEEvT1_,"axG",@progbits,_ZN7rocprim17ROCPRIM_400000_NS6detail17trampoline_kernelINS0_14default_configENS1_20scan_config_selectorItEEZZNS1_9scan_implILNS1_25lookback_scan_determinismE0ELb1ELb1ES3_N6thrust23THRUST_200600_302600_NS6detail15normal_iteratorINS9_10device_ptrItEEEESE_tNS9_4plusIvEEtEEDaPvRmT3_T4_T5_mT6_P12ihipStream_tbENKUlT_T0_E_clISt17integral_constantIbLb0EESU_EEDaSP_SQ_EUlSP_E0_NS1_11comp_targetILNS1_3genE5ELNS1_11target_archE942ELNS1_3gpuE9ELNS1_3repE0EEENS1_30default_config_static_selectorELNS0_4arch9wavefront6targetE1EEEvT1_,comdat
.Lfunc_end4800:
	.size	_ZN7rocprim17ROCPRIM_400000_NS6detail17trampoline_kernelINS0_14default_configENS1_20scan_config_selectorItEEZZNS1_9scan_implILNS1_25lookback_scan_determinismE0ELb1ELb1ES3_N6thrust23THRUST_200600_302600_NS6detail15normal_iteratorINS9_10device_ptrItEEEESE_tNS9_4plusIvEEtEEDaPvRmT3_T4_T5_mT6_P12ihipStream_tbENKUlT_T0_E_clISt17integral_constantIbLb0EESU_EEDaSP_SQ_EUlSP_E0_NS1_11comp_targetILNS1_3genE5ELNS1_11target_archE942ELNS1_3gpuE9ELNS1_3repE0EEENS1_30default_config_static_selectorELNS0_4arch9wavefront6targetE1EEEvT1_, .Lfunc_end4800-_ZN7rocprim17ROCPRIM_400000_NS6detail17trampoline_kernelINS0_14default_configENS1_20scan_config_selectorItEEZZNS1_9scan_implILNS1_25lookback_scan_determinismE0ELb1ELb1ES3_N6thrust23THRUST_200600_302600_NS6detail15normal_iteratorINS9_10device_ptrItEEEESE_tNS9_4plusIvEEtEEDaPvRmT3_T4_T5_mT6_P12ihipStream_tbENKUlT_T0_E_clISt17integral_constantIbLb0EESU_EEDaSP_SQ_EUlSP_E0_NS1_11comp_targetILNS1_3genE5ELNS1_11target_archE942ELNS1_3gpuE9ELNS1_3repE0EEENS1_30default_config_static_selectorELNS0_4arch9wavefront6targetE1EEEvT1_
                                        ; -- End function
	.section	.AMDGPU.csdata,"",@progbits
; Kernel info:
; codeLenInByte = 0
; NumSgprs: 4
; NumVgprs: 0
; NumAgprs: 0
; TotalNumVgprs: 0
; ScratchSize: 0
; MemoryBound: 0
; FloatMode: 240
; IeeeMode: 1
; LDSByteSize: 0 bytes/workgroup (compile time only)
; SGPRBlocks: 0
; VGPRBlocks: 0
; NumSGPRsForWavesPerEU: 4
; NumVGPRsForWavesPerEU: 1
; AccumOffset: 4
; Occupancy: 8
; WaveLimiterHint : 0
; COMPUTE_PGM_RSRC2:SCRATCH_EN: 0
; COMPUTE_PGM_RSRC2:USER_SGPR: 6
; COMPUTE_PGM_RSRC2:TRAP_HANDLER: 0
; COMPUTE_PGM_RSRC2:TGID_X_EN: 1
; COMPUTE_PGM_RSRC2:TGID_Y_EN: 0
; COMPUTE_PGM_RSRC2:TGID_Z_EN: 0
; COMPUTE_PGM_RSRC2:TIDIG_COMP_CNT: 0
; COMPUTE_PGM_RSRC3_GFX90A:ACCUM_OFFSET: 0
; COMPUTE_PGM_RSRC3_GFX90A:TG_SPLIT: 0
	.section	.text._ZN7rocprim17ROCPRIM_400000_NS6detail17trampoline_kernelINS0_14default_configENS1_20scan_config_selectorItEEZZNS1_9scan_implILNS1_25lookback_scan_determinismE0ELb1ELb1ES3_N6thrust23THRUST_200600_302600_NS6detail15normal_iteratorINS9_10device_ptrItEEEESE_tNS9_4plusIvEEtEEDaPvRmT3_T4_T5_mT6_P12ihipStream_tbENKUlT_T0_E_clISt17integral_constantIbLb0EESU_EEDaSP_SQ_EUlSP_E0_NS1_11comp_targetILNS1_3genE4ELNS1_11target_archE910ELNS1_3gpuE8ELNS1_3repE0EEENS1_30default_config_static_selectorELNS0_4arch9wavefront6targetE1EEEvT1_,"axG",@progbits,_ZN7rocprim17ROCPRIM_400000_NS6detail17trampoline_kernelINS0_14default_configENS1_20scan_config_selectorItEEZZNS1_9scan_implILNS1_25lookback_scan_determinismE0ELb1ELb1ES3_N6thrust23THRUST_200600_302600_NS6detail15normal_iteratorINS9_10device_ptrItEEEESE_tNS9_4plusIvEEtEEDaPvRmT3_T4_T5_mT6_P12ihipStream_tbENKUlT_T0_E_clISt17integral_constantIbLb0EESU_EEDaSP_SQ_EUlSP_E0_NS1_11comp_targetILNS1_3genE4ELNS1_11target_archE910ELNS1_3gpuE8ELNS1_3repE0EEENS1_30default_config_static_selectorELNS0_4arch9wavefront6targetE1EEEvT1_,comdat
	.protected	_ZN7rocprim17ROCPRIM_400000_NS6detail17trampoline_kernelINS0_14default_configENS1_20scan_config_selectorItEEZZNS1_9scan_implILNS1_25lookback_scan_determinismE0ELb1ELb1ES3_N6thrust23THRUST_200600_302600_NS6detail15normal_iteratorINS9_10device_ptrItEEEESE_tNS9_4plusIvEEtEEDaPvRmT3_T4_T5_mT6_P12ihipStream_tbENKUlT_T0_E_clISt17integral_constantIbLb0EESU_EEDaSP_SQ_EUlSP_E0_NS1_11comp_targetILNS1_3genE4ELNS1_11target_archE910ELNS1_3gpuE8ELNS1_3repE0EEENS1_30default_config_static_selectorELNS0_4arch9wavefront6targetE1EEEvT1_ ; -- Begin function _ZN7rocprim17ROCPRIM_400000_NS6detail17trampoline_kernelINS0_14default_configENS1_20scan_config_selectorItEEZZNS1_9scan_implILNS1_25lookback_scan_determinismE0ELb1ELb1ES3_N6thrust23THRUST_200600_302600_NS6detail15normal_iteratorINS9_10device_ptrItEEEESE_tNS9_4plusIvEEtEEDaPvRmT3_T4_T5_mT6_P12ihipStream_tbENKUlT_T0_E_clISt17integral_constantIbLb0EESU_EEDaSP_SQ_EUlSP_E0_NS1_11comp_targetILNS1_3genE4ELNS1_11target_archE910ELNS1_3gpuE8ELNS1_3repE0EEENS1_30default_config_static_selectorELNS0_4arch9wavefront6targetE1EEEvT1_
	.globl	_ZN7rocprim17ROCPRIM_400000_NS6detail17trampoline_kernelINS0_14default_configENS1_20scan_config_selectorItEEZZNS1_9scan_implILNS1_25lookback_scan_determinismE0ELb1ELb1ES3_N6thrust23THRUST_200600_302600_NS6detail15normal_iteratorINS9_10device_ptrItEEEESE_tNS9_4plusIvEEtEEDaPvRmT3_T4_T5_mT6_P12ihipStream_tbENKUlT_T0_E_clISt17integral_constantIbLb0EESU_EEDaSP_SQ_EUlSP_E0_NS1_11comp_targetILNS1_3genE4ELNS1_11target_archE910ELNS1_3gpuE8ELNS1_3repE0EEENS1_30default_config_static_selectorELNS0_4arch9wavefront6targetE1EEEvT1_
	.p2align	8
	.type	_ZN7rocprim17ROCPRIM_400000_NS6detail17trampoline_kernelINS0_14default_configENS1_20scan_config_selectorItEEZZNS1_9scan_implILNS1_25lookback_scan_determinismE0ELb1ELb1ES3_N6thrust23THRUST_200600_302600_NS6detail15normal_iteratorINS9_10device_ptrItEEEESE_tNS9_4plusIvEEtEEDaPvRmT3_T4_T5_mT6_P12ihipStream_tbENKUlT_T0_E_clISt17integral_constantIbLb0EESU_EEDaSP_SQ_EUlSP_E0_NS1_11comp_targetILNS1_3genE4ELNS1_11target_archE910ELNS1_3gpuE8ELNS1_3repE0EEENS1_30default_config_static_selectorELNS0_4arch9wavefront6targetE1EEEvT1_,@function
_ZN7rocprim17ROCPRIM_400000_NS6detail17trampoline_kernelINS0_14default_configENS1_20scan_config_selectorItEEZZNS1_9scan_implILNS1_25lookback_scan_determinismE0ELb1ELb1ES3_N6thrust23THRUST_200600_302600_NS6detail15normal_iteratorINS9_10device_ptrItEEEESE_tNS9_4plusIvEEtEEDaPvRmT3_T4_T5_mT6_P12ihipStream_tbENKUlT_T0_E_clISt17integral_constantIbLb0EESU_EEDaSP_SQ_EUlSP_E0_NS1_11comp_targetILNS1_3genE4ELNS1_11target_archE910ELNS1_3gpuE8ELNS1_3repE0EEENS1_30default_config_static_selectorELNS0_4arch9wavefront6targetE1EEEvT1_: ; @_ZN7rocprim17ROCPRIM_400000_NS6detail17trampoline_kernelINS0_14default_configENS1_20scan_config_selectorItEEZZNS1_9scan_implILNS1_25lookback_scan_determinismE0ELb1ELb1ES3_N6thrust23THRUST_200600_302600_NS6detail15normal_iteratorINS9_10device_ptrItEEEESE_tNS9_4plusIvEEtEEDaPvRmT3_T4_T5_mT6_P12ihipStream_tbENKUlT_T0_E_clISt17integral_constantIbLb0EESU_EEDaSP_SQ_EUlSP_E0_NS1_11comp_targetILNS1_3genE4ELNS1_11target_archE910ELNS1_3gpuE8ELNS1_3repE0EEENS1_30default_config_static_selectorELNS0_4arch9wavefront6targetE1EEEvT1_
; %bb.0:
	s_load_dwordx4 s[52:55], s[4:5], 0x0
	v_mov_b32_e32 v1, 0
	v_lshlrev_b32_e32 v14, 1, v0
	s_waitcnt lgkmcnt(0)
	global_load_ushort v2, v1, s[52:53]
	v_cmp_gt_u32_e32 vcc, s54, v0
	s_waitcnt vmcnt(0)
	v_mov_b32_e32 v3, v2
	s_and_saveexec_b64 s[0:1], vcc
	s_cbranch_execz .LBB4801_2
; %bb.1:
	global_load_ushort v3, v14, s[52:53]
.LBB4801_2:
	s_or_b64 exec, exec, s[0:1]
	v_or_b32_e32 v1, 64, v0
	v_cmp_gt_u32_e64 s[0:1], s54, v1
	v_mov_b32_e32 v4, v2
	s_and_saveexec_b64 s[2:3], s[0:1]
	s_cbranch_execz .LBB4801_4
; %bb.3:
	global_load_ushort v4, v14, s[52:53] offset:128
.LBB4801_4:
	s_or_b64 exec, exec, s[2:3]
	v_or_b32_e32 v1, 0x80, v0
	v_cmp_gt_u32_e64 s[2:3], s54, v1
	v_mov_b32_e32 v5, v2
	s_and_saveexec_b64 s[6:7], s[2:3]
	s_cbranch_execz .LBB4801_6
; %bb.5:
	global_load_ushort v5, v14, s[52:53] offset:256
.LBB4801_6:
	;; [unrolled: 9-line block ×22, first 2 shown]
	s_or_b64 exec, exec, s[46:47]
	v_or_b32_e32 v1, 0x5c0, v0
	v_cmp_gt_u32_e64 s[46:47], s54, v1
	v_cmp_le_u32_e64 s[50:51], s54, v1
	s_and_saveexec_b64 s[54:55], s[50:51]
	s_xor_b64 s[50:51], exec, s[54:55]
; %bb.47:
	v_mov_b32_e32 v1, 0
; %bb.48:
	s_or_saveexec_b64 s[50:51], s[50:51]
	s_load_dword s33, s[4:5], 0x10
	s_load_dwordx2 s[54:55], s[4:5], 0x18
	s_xor_b64 exec, exec, s[50:51]
	s_cbranch_execz .LBB4801_50
; %bb.49:
	global_load_ushort v2, v14, s[52:53] offset:2944
	v_mov_b32_e32 v1, 0
.LBB4801_50:
	s_or_b64 exec, exec, s[50:51]
	s_waitcnt vmcnt(0)
	ds_write_b16 v14, v3
	ds_write_b16 v14, v4 offset:128
	ds_write_b16 v14, v5 offset:256
	;; [unrolled: 1-line block ×23, first 2 shown]
	v_mad_u32_u24 v2, v0, 46, v14
	s_waitcnt lgkmcnt(0)
	; wave barrier
	s_waitcnt lgkmcnt(0)
	ds_read_b128 v[10:13], v2
	ds_read_b128 v[6:9], v2 offset:16
	ds_read_b128 v[2:5], v2 offset:32
	v_mul_u32_u24_e32 v15, 46, v0
	s_waitcnt lgkmcnt(0)
	v_add_u16_sdwa v16, v10, v10 dst_sel:DWORD dst_unused:UNUSED_PAD src0_sel:WORD_1 src1_sel:DWORD
	v_add_u16_e32 v16, v16, v11
	v_add_u16_sdwa v16, v16, v11 dst_sel:DWORD dst_unused:UNUSED_PAD src0_sel:DWORD src1_sel:WORD_1
	v_add_u16_e32 v16, v16, v12
	v_add_u16_sdwa v16, v16, v12 dst_sel:DWORD dst_unused:UNUSED_PAD src0_sel:DWORD src1_sel:WORD_1
	;; [unrolled: 2-line block ×11, first 2 shown]
	v_mbcnt_lo_u32_b32 v16, -1, 0
	v_mbcnt_hi_u32_b32 v16, -1, v16
	v_and_b32_e32 v18, 15, v16
	v_mov_b32_dpp v19, v17 row_shr:1 row_mask:0xf bank_mask:0xf
	v_cmp_ne_u32_e64 s[4:5], 0, v18
	v_cndmask_b32_e64 v19, 0, v19, s[4:5]
	v_add_u16_e32 v17, v19, v17
	v_cmp_lt_u32_e64 s[4:5], 1, v18
	; wave barrier
	s_nop 0
	v_mov_b32_dpp v19, v17 row_shr:2 row_mask:0xf bank_mask:0xf
	v_cndmask_b32_e64 v19, 0, v19, s[4:5]
	v_add_u16_e32 v17, v17, v19
	v_cmp_lt_u32_e64 s[4:5], 3, v18
	s_nop 0
	v_mov_b32_dpp v19, v17 row_shr:4 row_mask:0xf bank_mask:0xf
	v_cndmask_b32_e64 v19, 0, v19, s[4:5]
	v_add_u16_e32 v17, v17, v19
	v_cmp_lt_u32_e64 s[4:5], 7, v18
	s_nop 0
	v_mov_b32_dpp v19, v17 row_shr:8 row_mask:0xf bank_mask:0xf
	v_cndmask_b32_e64 v18, 0, v19, s[4:5]
	v_add_u16_e32 v17, v17, v18
	v_and_b32_e32 v19, 16, v16
	v_cmp_ne_u32_e64 s[4:5], 0, v19
	v_mov_b32_dpp v18, v17 row_bcast:15 row_mask:0xf bank_mask:0xf
	v_cndmask_b32_e64 v18, 0, v18, s[4:5]
	v_add_u16_e32 v17, v17, v18
	v_cmp_lt_u32_e64 s[4:5], 31, v16
	s_nop 0
	v_mov_b32_dpp v18, v17 row_bcast:31 row_mask:0xf bank_mask:0xf
	v_cndmask_b32_e64 v18, 0, v18, s[4:5]
	v_add_u16_e32 v17, v17, v18
	v_cmp_eq_u32_e64 s[4:5], 63, v0
	s_and_saveexec_b64 s[50:51], s[4:5]
	s_cbranch_execz .LBB4801_52
; %bb.51:
	v_mov_b32_e32 v18, 0
	ds_write_b16 v18, v17
.LBB4801_52:
	s_or_b64 exec, exec, s[50:51]
	v_add_u32_e32 v18, -1, v16
	v_and_b32_e32 v19, 64, v16
	v_cmp_lt_i32_e64 s[4:5], v18, v19
	v_cndmask_b32_e64 v18, v18, v16, s[4:5]
	v_add_u16_e32 v17, s33, v17
	v_lshlrev_b32_e32 v18, 2, v18
	ds_bpermute_b32 v17, v18, v17
	v_cmp_eq_u32_e64 s[4:5], 0, v16
	v_cmp_eq_u32_e64 s[50:51], 0, v0
	v_mov_b32_e32 v16, s33
	s_or_b64 s[4:5], s[50:51], s[4:5]
	s_waitcnt lgkmcnt(0)
	v_cndmask_b32_e64 v16, v17, v16, s[4:5]
	v_add_u16_e32 v17, v16, v10
	v_add_u16_sdwa v10, v17, v10 dst_sel:DWORD dst_unused:UNUSED_PAD src0_sel:DWORD src1_sel:WORD_1
	v_add_u16_e32 v18, v10, v11
	v_add_u16_sdwa v11, v18, v11 dst_sel:DWORD dst_unused:UNUSED_PAD src0_sel:DWORD src1_sel:WORD_1
	;; [unrolled: 2-line block ×11, first 2 shown]
	s_mov_b32 s4, 0x5040100
	v_add_u16_e32 v31, v30, v5
	v_add_u32_e32 v15, v14, v15
	v_perm_b32 v2, v17, v16, s4
	v_perm_b32 v3, v18, v10, s4
	;; [unrolled: 1-line block ×4, first 2 shown]
	s_waitcnt lgkmcnt(0)
	; wave barrier
	s_waitcnt lgkmcnt(0)
	s_waitcnt lgkmcnt(0)
	; wave barrier
	ds_write_b128 v15, v[2:5]
	v_perm_b32 v2, v21, v13, s4
	v_perm_b32 v3, v22, v6, s4
	;; [unrolled: 1-line block ×4, first 2 shown]
	ds_write_b128 v15, v[2:5] offset:16
	v_perm_b32 v2, v25, v9, s4
	v_perm_b32 v3, v27, v26, s4
	;; [unrolled: 1-line block ×4, first 2 shown]
	ds_write_b128 v15, v[2:5] offset:32
	s_waitcnt lgkmcnt(0)
	; wave barrier
	s_waitcnt lgkmcnt(0)
	ds_read_u16 v25, v14 offset:128
	ds_read_u16 v24, v14 offset:256
	;; [unrolled: 1-line block ×23, first 2 shown]
	v_lshlrev_b64 v[0:1], 1, v[0:1]
	v_mov_b32_e32 v26, s55
	v_add_co_u32_e64 v0, s[4:5], s54, v0
	v_addc_co_u32_e64 v1, s[4:5], v26, v1, s[4:5]
	s_and_saveexec_b64 s[4:5], vcc
	s_cbranch_execnz .LBB4801_77
; %bb.53:
	s_or_b64 exec, exec, s[4:5]
	s_and_saveexec_b64 s[4:5], s[0:1]
	s_cbranch_execnz .LBB4801_78
.LBB4801_54:
	s_or_b64 exec, exec, s[4:5]
	s_and_saveexec_b64 s[0:1], s[2:3]
	s_cbranch_execnz .LBB4801_79
.LBB4801_55:
	s_or_b64 exec, exec, s[0:1]
	s_and_saveexec_b64 s[0:1], s[48:49]
	s_cbranch_execnz .LBB4801_80
.LBB4801_56:
	s_or_b64 exec, exec, s[0:1]
	s_and_saveexec_b64 s[0:1], s[6:7]
	s_cbranch_execnz .LBB4801_81
.LBB4801_57:
	s_or_b64 exec, exec, s[0:1]
	s_and_saveexec_b64 s[0:1], s[8:9]
	s_cbranch_execnz .LBB4801_82
.LBB4801_58:
	s_or_b64 exec, exec, s[0:1]
	s_and_saveexec_b64 s[0:1], s[10:11]
	s_cbranch_execnz .LBB4801_83
.LBB4801_59:
	s_or_b64 exec, exec, s[0:1]
	s_and_saveexec_b64 s[0:1], s[12:13]
	s_cbranch_execnz .LBB4801_84
.LBB4801_60:
	s_or_b64 exec, exec, s[0:1]
	s_and_saveexec_b64 s[0:1], s[14:15]
	s_cbranch_execnz .LBB4801_85
.LBB4801_61:
	s_or_b64 exec, exec, s[0:1]
	s_and_saveexec_b64 s[0:1], s[16:17]
	s_cbranch_execnz .LBB4801_86
.LBB4801_62:
	s_or_b64 exec, exec, s[0:1]
	s_and_saveexec_b64 s[0:1], s[18:19]
	s_cbranch_execnz .LBB4801_87
.LBB4801_63:
	s_or_b64 exec, exec, s[0:1]
	s_and_saveexec_b64 s[0:1], s[20:21]
	s_cbranch_execnz .LBB4801_88
.LBB4801_64:
	s_or_b64 exec, exec, s[0:1]
	s_and_saveexec_b64 s[0:1], s[22:23]
	s_cbranch_execnz .LBB4801_89
.LBB4801_65:
	s_or_b64 exec, exec, s[0:1]
	s_and_saveexec_b64 s[0:1], s[24:25]
	s_cbranch_execnz .LBB4801_90
.LBB4801_66:
	s_or_b64 exec, exec, s[0:1]
	s_and_saveexec_b64 s[0:1], s[26:27]
	s_cbranch_execnz .LBB4801_91
.LBB4801_67:
	s_or_b64 exec, exec, s[0:1]
	s_and_saveexec_b64 s[0:1], s[28:29]
	s_cbranch_execnz .LBB4801_92
.LBB4801_68:
	s_or_b64 exec, exec, s[0:1]
	s_and_saveexec_b64 s[0:1], s[30:31]
	s_cbranch_execnz .LBB4801_93
.LBB4801_69:
	s_or_b64 exec, exec, s[0:1]
	s_and_saveexec_b64 s[0:1], s[34:35]
	s_cbranch_execnz .LBB4801_94
.LBB4801_70:
	s_or_b64 exec, exec, s[0:1]
	s_and_saveexec_b64 s[0:1], s[36:37]
	s_cbranch_execnz .LBB4801_95
.LBB4801_71:
	s_or_b64 exec, exec, s[0:1]
	s_and_saveexec_b64 s[0:1], s[38:39]
	s_cbranch_execnz .LBB4801_96
.LBB4801_72:
	s_or_b64 exec, exec, s[0:1]
	s_and_saveexec_b64 s[0:1], s[40:41]
	s_cbranch_execnz .LBB4801_97
.LBB4801_73:
	s_or_b64 exec, exec, s[0:1]
	s_and_saveexec_b64 s[0:1], s[42:43]
	s_cbranch_execnz .LBB4801_98
.LBB4801_74:
	s_or_b64 exec, exec, s[0:1]
	s_and_saveexec_b64 s[0:1], s[44:45]
	s_cbranch_execnz .LBB4801_99
.LBB4801_75:
	s_or_b64 exec, exec, s[0:1]
	s_and_saveexec_b64 s[0:1], s[46:47]
	s_cbranch_execnz .LBB4801_100
.LBB4801_76:
	s_endpgm
.LBB4801_77:
	ds_read_u16 v14, v14
	s_waitcnt lgkmcnt(0)
	global_store_short v[0:1], v14, off
	s_or_b64 exec, exec, s[4:5]
	s_and_saveexec_b64 s[4:5], s[0:1]
	s_cbranch_execz .LBB4801_54
.LBB4801_78:
	s_waitcnt lgkmcnt(14)
	global_store_short v[0:1], v25, off offset:128
	s_or_b64 exec, exec, s[4:5]
	s_and_saveexec_b64 s[0:1], s[2:3]
	s_cbranch_execz .LBB4801_55
.LBB4801_79:
	s_waitcnt lgkmcnt(14)
	global_store_short v[0:1], v24, off offset:256
	s_or_b64 exec, exec, s[0:1]
	s_and_saveexec_b64 s[0:1], s[48:49]
	s_cbranch_execz .LBB4801_56
.LBB4801_80:
	s_waitcnt lgkmcnt(14)
	global_store_short v[0:1], v23, off offset:384
	s_or_b64 exec, exec, s[0:1]
	s_and_saveexec_b64 s[0:1], s[6:7]
	s_cbranch_execz .LBB4801_57
.LBB4801_81:
	s_waitcnt lgkmcnt(14)
	global_store_short v[0:1], v22, off offset:512
	s_or_b64 exec, exec, s[0:1]
	s_and_saveexec_b64 s[0:1], s[8:9]
	s_cbranch_execz .LBB4801_58
.LBB4801_82:
	s_waitcnt lgkmcnt(14)
	global_store_short v[0:1], v21, off offset:640
	s_or_b64 exec, exec, s[0:1]
	s_and_saveexec_b64 s[0:1], s[10:11]
	s_cbranch_execz .LBB4801_59
.LBB4801_83:
	s_waitcnt lgkmcnt(14)
	global_store_short v[0:1], v20, off offset:768
	s_or_b64 exec, exec, s[0:1]
	s_and_saveexec_b64 s[0:1], s[12:13]
	s_cbranch_execz .LBB4801_60
.LBB4801_84:
	s_waitcnt lgkmcnt(14)
	global_store_short v[0:1], v19, off offset:896
	s_or_b64 exec, exec, s[0:1]
	s_and_saveexec_b64 s[0:1], s[14:15]
	s_cbranch_execz .LBB4801_61
.LBB4801_85:
	s_waitcnt lgkmcnt(14)
	global_store_short v[0:1], v18, off offset:1024
	s_or_b64 exec, exec, s[0:1]
	s_and_saveexec_b64 s[0:1], s[16:17]
	s_cbranch_execz .LBB4801_62
.LBB4801_86:
	s_waitcnt lgkmcnt(14)
	global_store_short v[0:1], v17, off offset:1152
	s_or_b64 exec, exec, s[0:1]
	s_and_saveexec_b64 s[0:1], s[18:19]
	s_cbranch_execz .LBB4801_63
.LBB4801_87:
	s_waitcnt lgkmcnt(13)
	global_store_short v[0:1], v16, off offset:1280
	s_or_b64 exec, exec, s[0:1]
	s_and_saveexec_b64 s[0:1], s[20:21]
	s_cbranch_execz .LBB4801_64
.LBB4801_88:
	s_waitcnt lgkmcnt(12)
	global_store_short v[0:1], v15, off offset:1408
	s_or_b64 exec, exec, s[0:1]
	s_and_saveexec_b64 s[0:1], s[22:23]
	s_cbranch_execz .LBB4801_65
.LBB4801_89:
	s_waitcnt lgkmcnt(11)
	global_store_short v[0:1], v13, off offset:1536
	s_or_b64 exec, exec, s[0:1]
	s_and_saveexec_b64 s[0:1], s[24:25]
	s_cbranch_execz .LBB4801_66
.LBB4801_90:
	s_waitcnt lgkmcnt(10)
	global_store_short v[0:1], v12, off offset:1664
	s_or_b64 exec, exec, s[0:1]
	s_and_saveexec_b64 s[0:1], s[26:27]
	s_cbranch_execz .LBB4801_67
.LBB4801_91:
	s_waitcnt lgkmcnt(9)
	global_store_short v[0:1], v11, off offset:1792
	s_or_b64 exec, exec, s[0:1]
	s_and_saveexec_b64 s[0:1], s[28:29]
	s_cbranch_execz .LBB4801_68
.LBB4801_92:
	s_waitcnt lgkmcnt(8)
	global_store_short v[0:1], v10, off offset:1920
	s_or_b64 exec, exec, s[0:1]
	s_and_saveexec_b64 s[0:1], s[30:31]
	s_cbranch_execz .LBB4801_69
.LBB4801_93:
	s_waitcnt lgkmcnt(7)
	global_store_short v[0:1], v9, off offset:2048
	s_or_b64 exec, exec, s[0:1]
	s_and_saveexec_b64 s[0:1], s[34:35]
	s_cbranch_execz .LBB4801_70
.LBB4801_94:
	s_waitcnt lgkmcnt(6)
	global_store_short v[0:1], v8, off offset:2176
	s_or_b64 exec, exec, s[0:1]
	s_and_saveexec_b64 s[0:1], s[36:37]
	s_cbranch_execz .LBB4801_71
.LBB4801_95:
	s_waitcnt lgkmcnt(5)
	global_store_short v[0:1], v7, off offset:2304
	s_or_b64 exec, exec, s[0:1]
	s_and_saveexec_b64 s[0:1], s[38:39]
	s_cbranch_execz .LBB4801_72
.LBB4801_96:
	s_waitcnt lgkmcnt(4)
	global_store_short v[0:1], v6, off offset:2432
	s_or_b64 exec, exec, s[0:1]
	s_and_saveexec_b64 s[0:1], s[40:41]
	s_cbranch_execz .LBB4801_73
.LBB4801_97:
	s_waitcnt lgkmcnt(3)
	global_store_short v[0:1], v5, off offset:2560
	s_or_b64 exec, exec, s[0:1]
	s_and_saveexec_b64 s[0:1], s[42:43]
	s_cbranch_execz .LBB4801_74
.LBB4801_98:
	s_waitcnt lgkmcnt(2)
	global_store_short v[0:1], v4, off offset:2688
	s_or_b64 exec, exec, s[0:1]
	s_and_saveexec_b64 s[0:1], s[44:45]
	s_cbranch_execz .LBB4801_75
.LBB4801_99:
	s_waitcnt lgkmcnt(1)
	global_store_short v[0:1], v3, off offset:2816
	s_or_b64 exec, exec, s[0:1]
	s_and_saveexec_b64 s[0:1], s[46:47]
	s_cbranch_execz .LBB4801_76
.LBB4801_100:
	s_waitcnt lgkmcnt(0)
	global_store_short v[0:1], v2, off offset:2944
	s_endpgm
	.section	.rodata,"a",@progbits
	.p2align	6, 0x0
	.amdhsa_kernel _ZN7rocprim17ROCPRIM_400000_NS6detail17trampoline_kernelINS0_14default_configENS1_20scan_config_selectorItEEZZNS1_9scan_implILNS1_25lookback_scan_determinismE0ELb1ELb1ES3_N6thrust23THRUST_200600_302600_NS6detail15normal_iteratorINS9_10device_ptrItEEEESE_tNS9_4plusIvEEtEEDaPvRmT3_T4_T5_mT6_P12ihipStream_tbENKUlT_T0_E_clISt17integral_constantIbLb0EESU_EEDaSP_SQ_EUlSP_E0_NS1_11comp_targetILNS1_3genE4ELNS1_11target_archE910ELNS1_3gpuE8ELNS1_3repE0EEENS1_30default_config_static_selectorELNS0_4arch9wavefront6targetE1EEEvT1_
		.amdhsa_group_segment_fixed_size 3072
		.amdhsa_private_segment_fixed_size 0
		.amdhsa_kernarg_size 32
		.amdhsa_user_sgpr_count 6
		.amdhsa_user_sgpr_private_segment_buffer 1
		.amdhsa_user_sgpr_dispatch_ptr 0
		.amdhsa_user_sgpr_queue_ptr 0
		.amdhsa_user_sgpr_kernarg_segment_ptr 1
		.amdhsa_user_sgpr_dispatch_id 0
		.amdhsa_user_sgpr_flat_scratch_init 0
		.amdhsa_user_sgpr_kernarg_preload_length 0
		.amdhsa_user_sgpr_kernarg_preload_offset 0
		.amdhsa_user_sgpr_private_segment_size 0
		.amdhsa_uses_dynamic_stack 0
		.amdhsa_system_sgpr_private_segment_wavefront_offset 0
		.amdhsa_system_sgpr_workgroup_id_x 1
		.amdhsa_system_sgpr_workgroup_id_y 0
		.amdhsa_system_sgpr_workgroup_id_z 0
		.amdhsa_system_sgpr_workgroup_info 0
		.amdhsa_system_vgpr_workitem_id 0
		.amdhsa_next_free_vgpr 32
		.amdhsa_next_free_sgpr 56
		.amdhsa_accum_offset 32
		.amdhsa_reserve_vcc 1
		.amdhsa_reserve_flat_scratch 0
		.amdhsa_float_round_mode_32 0
		.amdhsa_float_round_mode_16_64 0
		.amdhsa_float_denorm_mode_32 3
		.amdhsa_float_denorm_mode_16_64 3
		.amdhsa_dx10_clamp 1
		.amdhsa_ieee_mode 1
		.amdhsa_fp16_overflow 0
		.amdhsa_tg_split 0
		.amdhsa_exception_fp_ieee_invalid_op 0
		.amdhsa_exception_fp_denorm_src 0
		.amdhsa_exception_fp_ieee_div_zero 0
		.amdhsa_exception_fp_ieee_overflow 0
		.amdhsa_exception_fp_ieee_underflow 0
		.amdhsa_exception_fp_ieee_inexact 0
		.amdhsa_exception_int_div_zero 0
	.end_amdhsa_kernel
	.section	.text._ZN7rocprim17ROCPRIM_400000_NS6detail17trampoline_kernelINS0_14default_configENS1_20scan_config_selectorItEEZZNS1_9scan_implILNS1_25lookback_scan_determinismE0ELb1ELb1ES3_N6thrust23THRUST_200600_302600_NS6detail15normal_iteratorINS9_10device_ptrItEEEESE_tNS9_4plusIvEEtEEDaPvRmT3_T4_T5_mT6_P12ihipStream_tbENKUlT_T0_E_clISt17integral_constantIbLb0EESU_EEDaSP_SQ_EUlSP_E0_NS1_11comp_targetILNS1_3genE4ELNS1_11target_archE910ELNS1_3gpuE8ELNS1_3repE0EEENS1_30default_config_static_selectorELNS0_4arch9wavefront6targetE1EEEvT1_,"axG",@progbits,_ZN7rocprim17ROCPRIM_400000_NS6detail17trampoline_kernelINS0_14default_configENS1_20scan_config_selectorItEEZZNS1_9scan_implILNS1_25lookback_scan_determinismE0ELb1ELb1ES3_N6thrust23THRUST_200600_302600_NS6detail15normal_iteratorINS9_10device_ptrItEEEESE_tNS9_4plusIvEEtEEDaPvRmT3_T4_T5_mT6_P12ihipStream_tbENKUlT_T0_E_clISt17integral_constantIbLb0EESU_EEDaSP_SQ_EUlSP_E0_NS1_11comp_targetILNS1_3genE4ELNS1_11target_archE910ELNS1_3gpuE8ELNS1_3repE0EEENS1_30default_config_static_selectorELNS0_4arch9wavefront6targetE1EEEvT1_,comdat
.Lfunc_end4801:
	.size	_ZN7rocprim17ROCPRIM_400000_NS6detail17trampoline_kernelINS0_14default_configENS1_20scan_config_selectorItEEZZNS1_9scan_implILNS1_25lookback_scan_determinismE0ELb1ELb1ES3_N6thrust23THRUST_200600_302600_NS6detail15normal_iteratorINS9_10device_ptrItEEEESE_tNS9_4plusIvEEtEEDaPvRmT3_T4_T5_mT6_P12ihipStream_tbENKUlT_T0_E_clISt17integral_constantIbLb0EESU_EEDaSP_SQ_EUlSP_E0_NS1_11comp_targetILNS1_3genE4ELNS1_11target_archE910ELNS1_3gpuE8ELNS1_3repE0EEENS1_30default_config_static_selectorELNS0_4arch9wavefront6targetE1EEEvT1_, .Lfunc_end4801-_ZN7rocprim17ROCPRIM_400000_NS6detail17trampoline_kernelINS0_14default_configENS1_20scan_config_selectorItEEZZNS1_9scan_implILNS1_25lookback_scan_determinismE0ELb1ELb1ES3_N6thrust23THRUST_200600_302600_NS6detail15normal_iteratorINS9_10device_ptrItEEEESE_tNS9_4plusIvEEtEEDaPvRmT3_T4_T5_mT6_P12ihipStream_tbENKUlT_T0_E_clISt17integral_constantIbLb0EESU_EEDaSP_SQ_EUlSP_E0_NS1_11comp_targetILNS1_3genE4ELNS1_11target_archE910ELNS1_3gpuE8ELNS1_3repE0EEENS1_30default_config_static_selectorELNS0_4arch9wavefront6targetE1EEEvT1_
                                        ; -- End function
	.section	.AMDGPU.csdata,"",@progbits
; Kernel info:
; codeLenInByte = 3080
; NumSgprs: 60
; NumVgprs: 32
; NumAgprs: 0
; TotalNumVgprs: 32
; ScratchSize: 0
; MemoryBound: 0
; FloatMode: 240
; IeeeMode: 1
; LDSByteSize: 3072 bytes/workgroup (compile time only)
; SGPRBlocks: 7
; VGPRBlocks: 3
; NumSGPRsForWavesPerEU: 60
; NumVGPRsForWavesPerEU: 32
; AccumOffset: 32
; Occupancy: 6
; WaveLimiterHint : 0
; COMPUTE_PGM_RSRC2:SCRATCH_EN: 0
; COMPUTE_PGM_RSRC2:USER_SGPR: 6
; COMPUTE_PGM_RSRC2:TRAP_HANDLER: 0
; COMPUTE_PGM_RSRC2:TGID_X_EN: 1
; COMPUTE_PGM_RSRC2:TGID_Y_EN: 0
; COMPUTE_PGM_RSRC2:TGID_Z_EN: 0
; COMPUTE_PGM_RSRC2:TIDIG_COMP_CNT: 0
; COMPUTE_PGM_RSRC3_GFX90A:ACCUM_OFFSET: 7
; COMPUTE_PGM_RSRC3_GFX90A:TG_SPLIT: 0
	.section	.text._ZN7rocprim17ROCPRIM_400000_NS6detail17trampoline_kernelINS0_14default_configENS1_20scan_config_selectorItEEZZNS1_9scan_implILNS1_25lookback_scan_determinismE0ELb1ELb1ES3_N6thrust23THRUST_200600_302600_NS6detail15normal_iteratorINS9_10device_ptrItEEEESE_tNS9_4plusIvEEtEEDaPvRmT3_T4_T5_mT6_P12ihipStream_tbENKUlT_T0_E_clISt17integral_constantIbLb0EESU_EEDaSP_SQ_EUlSP_E0_NS1_11comp_targetILNS1_3genE3ELNS1_11target_archE908ELNS1_3gpuE7ELNS1_3repE0EEENS1_30default_config_static_selectorELNS0_4arch9wavefront6targetE1EEEvT1_,"axG",@progbits,_ZN7rocprim17ROCPRIM_400000_NS6detail17trampoline_kernelINS0_14default_configENS1_20scan_config_selectorItEEZZNS1_9scan_implILNS1_25lookback_scan_determinismE0ELb1ELb1ES3_N6thrust23THRUST_200600_302600_NS6detail15normal_iteratorINS9_10device_ptrItEEEESE_tNS9_4plusIvEEtEEDaPvRmT3_T4_T5_mT6_P12ihipStream_tbENKUlT_T0_E_clISt17integral_constantIbLb0EESU_EEDaSP_SQ_EUlSP_E0_NS1_11comp_targetILNS1_3genE3ELNS1_11target_archE908ELNS1_3gpuE7ELNS1_3repE0EEENS1_30default_config_static_selectorELNS0_4arch9wavefront6targetE1EEEvT1_,comdat
	.protected	_ZN7rocprim17ROCPRIM_400000_NS6detail17trampoline_kernelINS0_14default_configENS1_20scan_config_selectorItEEZZNS1_9scan_implILNS1_25lookback_scan_determinismE0ELb1ELb1ES3_N6thrust23THRUST_200600_302600_NS6detail15normal_iteratorINS9_10device_ptrItEEEESE_tNS9_4plusIvEEtEEDaPvRmT3_T4_T5_mT6_P12ihipStream_tbENKUlT_T0_E_clISt17integral_constantIbLb0EESU_EEDaSP_SQ_EUlSP_E0_NS1_11comp_targetILNS1_3genE3ELNS1_11target_archE908ELNS1_3gpuE7ELNS1_3repE0EEENS1_30default_config_static_selectorELNS0_4arch9wavefront6targetE1EEEvT1_ ; -- Begin function _ZN7rocprim17ROCPRIM_400000_NS6detail17trampoline_kernelINS0_14default_configENS1_20scan_config_selectorItEEZZNS1_9scan_implILNS1_25lookback_scan_determinismE0ELb1ELb1ES3_N6thrust23THRUST_200600_302600_NS6detail15normal_iteratorINS9_10device_ptrItEEEESE_tNS9_4plusIvEEtEEDaPvRmT3_T4_T5_mT6_P12ihipStream_tbENKUlT_T0_E_clISt17integral_constantIbLb0EESU_EEDaSP_SQ_EUlSP_E0_NS1_11comp_targetILNS1_3genE3ELNS1_11target_archE908ELNS1_3gpuE7ELNS1_3repE0EEENS1_30default_config_static_selectorELNS0_4arch9wavefront6targetE1EEEvT1_
	.globl	_ZN7rocprim17ROCPRIM_400000_NS6detail17trampoline_kernelINS0_14default_configENS1_20scan_config_selectorItEEZZNS1_9scan_implILNS1_25lookback_scan_determinismE0ELb1ELb1ES3_N6thrust23THRUST_200600_302600_NS6detail15normal_iteratorINS9_10device_ptrItEEEESE_tNS9_4plusIvEEtEEDaPvRmT3_T4_T5_mT6_P12ihipStream_tbENKUlT_T0_E_clISt17integral_constantIbLb0EESU_EEDaSP_SQ_EUlSP_E0_NS1_11comp_targetILNS1_3genE3ELNS1_11target_archE908ELNS1_3gpuE7ELNS1_3repE0EEENS1_30default_config_static_selectorELNS0_4arch9wavefront6targetE1EEEvT1_
	.p2align	8
	.type	_ZN7rocprim17ROCPRIM_400000_NS6detail17trampoline_kernelINS0_14default_configENS1_20scan_config_selectorItEEZZNS1_9scan_implILNS1_25lookback_scan_determinismE0ELb1ELb1ES3_N6thrust23THRUST_200600_302600_NS6detail15normal_iteratorINS9_10device_ptrItEEEESE_tNS9_4plusIvEEtEEDaPvRmT3_T4_T5_mT6_P12ihipStream_tbENKUlT_T0_E_clISt17integral_constantIbLb0EESU_EEDaSP_SQ_EUlSP_E0_NS1_11comp_targetILNS1_3genE3ELNS1_11target_archE908ELNS1_3gpuE7ELNS1_3repE0EEENS1_30default_config_static_selectorELNS0_4arch9wavefront6targetE1EEEvT1_,@function
_ZN7rocprim17ROCPRIM_400000_NS6detail17trampoline_kernelINS0_14default_configENS1_20scan_config_selectorItEEZZNS1_9scan_implILNS1_25lookback_scan_determinismE0ELb1ELb1ES3_N6thrust23THRUST_200600_302600_NS6detail15normal_iteratorINS9_10device_ptrItEEEESE_tNS9_4plusIvEEtEEDaPvRmT3_T4_T5_mT6_P12ihipStream_tbENKUlT_T0_E_clISt17integral_constantIbLb0EESU_EEDaSP_SQ_EUlSP_E0_NS1_11comp_targetILNS1_3genE3ELNS1_11target_archE908ELNS1_3gpuE7ELNS1_3repE0EEENS1_30default_config_static_selectorELNS0_4arch9wavefront6targetE1EEEvT1_: ; @_ZN7rocprim17ROCPRIM_400000_NS6detail17trampoline_kernelINS0_14default_configENS1_20scan_config_selectorItEEZZNS1_9scan_implILNS1_25lookback_scan_determinismE0ELb1ELb1ES3_N6thrust23THRUST_200600_302600_NS6detail15normal_iteratorINS9_10device_ptrItEEEESE_tNS9_4plusIvEEtEEDaPvRmT3_T4_T5_mT6_P12ihipStream_tbENKUlT_T0_E_clISt17integral_constantIbLb0EESU_EEDaSP_SQ_EUlSP_E0_NS1_11comp_targetILNS1_3genE3ELNS1_11target_archE908ELNS1_3gpuE7ELNS1_3repE0EEENS1_30default_config_static_selectorELNS0_4arch9wavefront6targetE1EEEvT1_
; %bb.0:
	.section	.rodata,"a",@progbits
	.p2align	6, 0x0
	.amdhsa_kernel _ZN7rocprim17ROCPRIM_400000_NS6detail17trampoline_kernelINS0_14default_configENS1_20scan_config_selectorItEEZZNS1_9scan_implILNS1_25lookback_scan_determinismE0ELb1ELb1ES3_N6thrust23THRUST_200600_302600_NS6detail15normal_iteratorINS9_10device_ptrItEEEESE_tNS9_4plusIvEEtEEDaPvRmT3_T4_T5_mT6_P12ihipStream_tbENKUlT_T0_E_clISt17integral_constantIbLb0EESU_EEDaSP_SQ_EUlSP_E0_NS1_11comp_targetILNS1_3genE3ELNS1_11target_archE908ELNS1_3gpuE7ELNS1_3repE0EEENS1_30default_config_static_selectorELNS0_4arch9wavefront6targetE1EEEvT1_
		.amdhsa_group_segment_fixed_size 0
		.amdhsa_private_segment_fixed_size 0
		.amdhsa_kernarg_size 32
		.amdhsa_user_sgpr_count 6
		.amdhsa_user_sgpr_private_segment_buffer 1
		.amdhsa_user_sgpr_dispatch_ptr 0
		.amdhsa_user_sgpr_queue_ptr 0
		.amdhsa_user_sgpr_kernarg_segment_ptr 1
		.amdhsa_user_sgpr_dispatch_id 0
		.amdhsa_user_sgpr_flat_scratch_init 0
		.amdhsa_user_sgpr_kernarg_preload_length 0
		.amdhsa_user_sgpr_kernarg_preload_offset 0
		.amdhsa_user_sgpr_private_segment_size 0
		.amdhsa_uses_dynamic_stack 0
		.amdhsa_system_sgpr_private_segment_wavefront_offset 0
		.amdhsa_system_sgpr_workgroup_id_x 1
		.amdhsa_system_sgpr_workgroup_id_y 0
		.amdhsa_system_sgpr_workgroup_id_z 0
		.amdhsa_system_sgpr_workgroup_info 0
		.amdhsa_system_vgpr_workitem_id 0
		.amdhsa_next_free_vgpr 1
		.amdhsa_next_free_sgpr 0
		.amdhsa_accum_offset 4
		.amdhsa_reserve_vcc 0
		.amdhsa_reserve_flat_scratch 0
		.amdhsa_float_round_mode_32 0
		.amdhsa_float_round_mode_16_64 0
		.amdhsa_float_denorm_mode_32 3
		.amdhsa_float_denorm_mode_16_64 3
		.amdhsa_dx10_clamp 1
		.amdhsa_ieee_mode 1
		.amdhsa_fp16_overflow 0
		.amdhsa_tg_split 0
		.amdhsa_exception_fp_ieee_invalid_op 0
		.amdhsa_exception_fp_denorm_src 0
		.amdhsa_exception_fp_ieee_div_zero 0
		.amdhsa_exception_fp_ieee_overflow 0
		.amdhsa_exception_fp_ieee_underflow 0
		.amdhsa_exception_fp_ieee_inexact 0
		.amdhsa_exception_int_div_zero 0
	.end_amdhsa_kernel
	.section	.text._ZN7rocprim17ROCPRIM_400000_NS6detail17trampoline_kernelINS0_14default_configENS1_20scan_config_selectorItEEZZNS1_9scan_implILNS1_25lookback_scan_determinismE0ELb1ELb1ES3_N6thrust23THRUST_200600_302600_NS6detail15normal_iteratorINS9_10device_ptrItEEEESE_tNS9_4plusIvEEtEEDaPvRmT3_T4_T5_mT6_P12ihipStream_tbENKUlT_T0_E_clISt17integral_constantIbLb0EESU_EEDaSP_SQ_EUlSP_E0_NS1_11comp_targetILNS1_3genE3ELNS1_11target_archE908ELNS1_3gpuE7ELNS1_3repE0EEENS1_30default_config_static_selectorELNS0_4arch9wavefront6targetE1EEEvT1_,"axG",@progbits,_ZN7rocprim17ROCPRIM_400000_NS6detail17trampoline_kernelINS0_14default_configENS1_20scan_config_selectorItEEZZNS1_9scan_implILNS1_25lookback_scan_determinismE0ELb1ELb1ES3_N6thrust23THRUST_200600_302600_NS6detail15normal_iteratorINS9_10device_ptrItEEEESE_tNS9_4plusIvEEtEEDaPvRmT3_T4_T5_mT6_P12ihipStream_tbENKUlT_T0_E_clISt17integral_constantIbLb0EESU_EEDaSP_SQ_EUlSP_E0_NS1_11comp_targetILNS1_3genE3ELNS1_11target_archE908ELNS1_3gpuE7ELNS1_3repE0EEENS1_30default_config_static_selectorELNS0_4arch9wavefront6targetE1EEEvT1_,comdat
.Lfunc_end4802:
	.size	_ZN7rocprim17ROCPRIM_400000_NS6detail17trampoline_kernelINS0_14default_configENS1_20scan_config_selectorItEEZZNS1_9scan_implILNS1_25lookback_scan_determinismE0ELb1ELb1ES3_N6thrust23THRUST_200600_302600_NS6detail15normal_iteratorINS9_10device_ptrItEEEESE_tNS9_4plusIvEEtEEDaPvRmT3_T4_T5_mT6_P12ihipStream_tbENKUlT_T0_E_clISt17integral_constantIbLb0EESU_EEDaSP_SQ_EUlSP_E0_NS1_11comp_targetILNS1_3genE3ELNS1_11target_archE908ELNS1_3gpuE7ELNS1_3repE0EEENS1_30default_config_static_selectorELNS0_4arch9wavefront6targetE1EEEvT1_, .Lfunc_end4802-_ZN7rocprim17ROCPRIM_400000_NS6detail17trampoline_kernelINS0_14default_configENS1_20scan_config_selectorItEEZZNS1_9scan_implILNS1_25lookback_scan_determinismE0ELb1ELb1ES3_N6thrust23THRUST_200600_302600_NS6detail15normal_iteratorINS9_10device_ptrItEEEESE_tNS9_4plusIvEEtEEDaPvRmT3_T4_T5_mT6_P12ihipStream_tbENKUlT_T0_E_clISt17integral_constantIbLb0EESU_EEDaSP_SQ_EUlSP_E0_NS1_11comp_targetILNS1_3genE3ELNS1_11target_archE908ELNS1_3gpuE7ELNS1_3repE0EEENS1_30default_config_static_selectorELNS0_4arch9wavefront6targetE1EEEvT1_
                                        ; -- End function
	.section	.AMDGPU.csdata,"",@progbits
; Kernel info:
; codeLenInByte = 0
; NumSgprs: 4
; NumVgprs: 0
; NumAgprs: 0
; TotalNumVgprs: 0
; ScratchSize: 0
; MemoryBound: 0
; FloatMode: 240
; IeeeMode: 1
; LDSByteSize: 0 bytes/workgroup (compile time only)
; SGPRBlocks: 0
; VGPRBlocks: 0
; NumSGPRsForWavesPerEU: 4
; NumVGPRsForWavesPerEU: 1
; AccumOffset: 4
; Occupancy: 8
; WaveLimiterHint : 0
; COMPUTE_PGM_RSRC2:SCRATCH_EN: 0
; COMPUTE_PGM_RSRC2:USER_SGPR: 6
; COMPUTE_PGM_RSRC2:TRAP_HANDLER: 0
; COMPUTE_PGM_RSRC2:TGID_X_EN: 1
; COMPUTE_PGM_RSRC2:TGID_Y_EN: 0
; COMPUTE_PGM_RSRC2:TGID_Z_EN: 0
; COMPUTE_PGM_RSRC2:TIDIG_COMP_CNT: 0
; COMPUTE_PGM_RSRC3_GFX90A:ACCUM_OFFSET: 0
; COMPUTE_PGM_RSRC3_GFX90A:TG_SPLIT: 0
	.section	.text._ZN7rocprim17ROCPRIM_400000_NS6detail17trampoline_kernelINS0_14default_configENS1_20scan_config_selectorItEEZZNS1_9scan_implILNS1_25lookback_scan_determinismE0ELb1ELb1ES3_N6thrust23THRUST_200600_302600_NS6detail15normal_iteratorINS9_10device_ptrItEEEESE_tNS9_4plusIvEEtEEDaPvRmT3_T4_T5_mT6_P12ihipStream_tbENKUlT_T0_E_clISt17integral_constantIbLb0EESU_EEDaSP_SQ_EUlSP_E0_NS1_11comp_targetILNS1_3genE2ELNS1_11target_archE906ELNS1_3gpuE6ELNS1_3repE0EEENS1_30default_config_static_selectorELNS0_4arch9wavefront6targetE1EEEvT1_,"axG",@progbits,_ZN7rocprim17ROCPRIM_400000_NS6detail17trampoline_kernelINS0_14default_configENS1_20scan_config_selectorItEEZZNS1_9scan_implILNS1_25lookback_scan_determinismE0ELb1ELb1ES3_N6thrust23THRUST_200600_302600_NS6detail15normal_iteratorINS9_10device_ptrItEEEESE_tNS9_4plusIvEEtEEDaPvRmT3_T4_T5_mT6_P12ihipStream_tbENKUlT_T0_E_clISt17integral_constantIbLb0EESU_EEDaSP_SQ_EUlSP_E0_NS1_11comp_targetILNS1_3genE2ELNS1_11target_archE906ELNS1_3gpuE6ELNS1_3repE0EEENS1_30default_config_static_selectorELNS0_4arch9wavefront6targetE1EEEvT1_,comdat
	.protected	_ZN7rocprim17ROCPRIM_400000_NS6detail17trampoline_kernelINS0_14default_configENS1_20scan_config_selectorItEEZZNS1_9scan_implILNS1_25lookback_scan_determinismE0ELb1ELb1ES3_N6thrust23THRUST_200600_302600_NS6detail15normal_iteratorINS9_10device_ptrItEEEESE_tNS9_4plusIvEEtEEDaPvRmT3_T4_T5_mT6_P12ihipStream_tbENKUlT_T0_E_clISt17integral_constantIbLb0EESU_EEDaSP_SQ_EUlSP_E0_NS1_11comp_targetILNS1_3genE2ELNS1_11target_archE906ELNS1_3gpuE6ELNS1_3repE0EEENS1_30default_config_static_selectorELNS0_4arch9wavefront6targetE1EEEvT1_ ; -- Begin function _ZN7rocprim17ROCPRIM_400000_NS6detail17trampoline_kernelINS0_14default_configENS1_20scan_config_selectorItEEZZNS1_9scan_implILNS1_25lookback_scan_determinismE0ELb1ELb1ES3_N6thrust23THRUST_200600_302600_NS6detail15normal_iteratorINS9_10device_ptrItEEEESE_tNS9_4plusIvEEtEEDaPvRmT3_T4_T5_mT6_P12ihipStream_tbENKUlT_T0_E_clISt17integral_constantIbLb0EESU_EEDaSP_SQ_EUlSP_E0_NS1_11comp_targetILNS1_3genE2ELNS1_11target_archE906ELNS1_3gpuE6ELNS1_3repE0EEENS1_30default_config_static_selectorELNS0_4arch9wavefront6targetE1EEEvT1_
	.globl	_ZN7rocprim17ROCPRIM_400000_NS6detail17trampoline_kernelINS0_14default_configENS1_20scan_config_selectorItEEZZNS1_9scan_implILNS1_25lookback_scan_determinismE0ELb1ELb1ES3_N6thrust23THRUST_200600_302600_NS6detail15normal_iteratorINS9_10device_ptrItEEEESE_tNS9_4plusIvEEtEEDaPvRmT3_T4_T5_mT6_P12ihipStream_tbENKUlT_T0_E_clISt17integral_constantIbLb0EESU_EEDaSP_SQ_EUlSP_E0_NS1_11comp_targetILNS1_3genE2ELNS1_11target_archE906ELNS1_3gpuE6ELNS1_3repE0EEENS1_30default_config_static_selectorELNS0_4arch9wavefront6targetE1EEEvT1_
	.p2align	8
	.type	_ZN7rocprim17ROCPRIM_400000_NS6detail17trampoline_kernelINS0_14default_configENS1_20scan_config_selectorItEEZZNS1_9scan_implILNS1_25lookback_scan_determinismE0ELb1ELb1ES3_N6thrust23THRUST_200600_302600_NS6detail15normal_iteratorINS9_10device_ptrItEEEESE_tNS9_4plusIvEEtEEDaPvRmT3_T4_T5_mT6_P12ihipStream_tbENKUlT_T0_E_clISt17integral_constantIbLb0EESU_EEDaSP_SQ_EUlSP_E0_NS1_11comp_targetILNS1_3genE2ELNS1_11target_archE906ELNS1_3gpuE6ELNS1_3repE0EEENS1_30default_config_static_selectorELNS0_4arch9wavefront6targetE1EEEvT1_,@function
_ZN7rocprim17ROCPRIM_400000_NS6detail17trampoline_kernelINS0_14default_configENS1_20scan_config_selectorItEEZZNS1_9scan_implILNS1_25lookback_scan_determinismE0ELb1ELb1ES3_N6thrust23THRUST_200600_302600_NS6detail15normal_iteratorINS9_10device_ptrItEEEESE_tNS9_4plusIvEEtEEDaPvRmT3_T4_T5_mT6_P12ihipStream_tbENKUlT_T0_E_clISt17integral_constantIbLb0EESU_EEDaSP_SQ_EUlSP_E0_NS1_11comp_targetILNS1_3genE2ELNS1_11target_archE906ELNS1_3gpuE6ELNS1_3repE0EEENS1_30default_config_static_selectorELNS0_4arch9wavefront6targetE1EEEvT1_: ; @_ZN7rocprim17ROCPRIM_400000_NS6detail17trampoline_kernelINS0_14default_configENS1_20scan_config_selectorItEEZZNS1_9scan_implILNS1_25lookback_scan_determinismE0ELb1ELb1ES3_N6thrust23THRUST_200600_302600_NS6detail15normal_iteratorINS9_10device_ptrItEEEESE_tNS9_4plusIvEEtEEDaPvRmT3_T4_T5_mT6_P12ihipStream_tbENKUlT_T0_E_clISt17integral_constantIbLb0EESU_EEDaSP_SQ_EUlSP_E0_NS1_11comp_targetILNS1_3genE2ELNS1_11target_archE906ELNS1_3gpuE6ELNS1_3repE0EEENS1_30default_config_static_selectorELNS0_4arch9wavefront6targetE1EEEvT1_
; %bb.0:
	.section	.rodata,"a",@progbits
	.p2align	6, 0x0
	.amdhsa_kernel _ZN7rocprim17ROCPRIM_400000_NS6detail17trampoline_kernelINS0_14default_configENS1_20scan_config_selectorItEEZZNS1_9scan_implILNS1_25lookback_scan_determinismE0ELb1ELb1ES3_N6thrust23THRUST_200600_302600_NS6detail15normal_iteratorINS9_10device_ptrItEEEESE_tNS9_4plusIvEEtEEDaPvRmT3_T4_T5_mT6_P12ihipStream_tbENKUlT_T0_E_clISt17integral_constantIbLb0EESU_EEDaSP_SQ_EUlSP_E0_NS1_11comp_targetILNS1_3genE2ELNS1_11target_archE906ELNS1_3gpuE6ELNS1_3repE0EEENS1_30default_config_static_selectorELNS0_4arch9wavefront6targetE1EEEvT1_
		.amdhsa_group_segment_fixed_size 0
		.amdhsa_private_segment_fixed_size 0
		.amdhsa_kernarg_size 32
		.amdhsa_user_sgpr_count 6
		.amdhsa_user_sgpr_private_segment_buffer 1
		.amdhsa_user_sgpr_dispatch_ptr 0
		.amdhsa_user_sgpr_queue_ptr 0
		.amdhsa_user_sgpr_kernarg_segment_ptr 1
		.amdhsa_user_sgpr_dispatch_id 0
		.amdhsa_user_sgpr_flat_scratch_init 0
		.amdhsa_user_sgpr_kernarg_preload_length 0
		.amdhsa_user_sgpr_kernarg_preload_offset 0
		.amdhsa_user_sgpr_private_segment_size 0
		.amdhsa_uses_dynamic_stack 0
		.amdhsa_system_sgpr_private_segment_wavefront_offset 0
		.amdhsa_system_sgpr_workgroup_id_x 1
		.amdhsa_system_sgpr_workgroup_id_y 0
		.amdhsa_system_sgpr_workgroup_id_z 0
		.amdhsa_system_sgpr_workgroup_info 0
		.amdhsa_system_vgpr_workitem_id 0
		.amdhsa_next_free_vgpr 1
		.amdhsa_next_free_sgpr 0
		.amdhsa_accum_offset 4
		.amdhsa_reserve_vcc 0
		.amdhsa_reserve_flat_scratch 0
		.amdhsa_float_round_mode_32 0
		.amdhsa_float_round_mode_16_64 0
		.amdhsa_float_denorm_mode_32 3
		.amdhsa_float_denorm_mode_16_64 3
		.amdhsa_dx10_clamp 1
		.amdhsa_ieee_mode 1
		.amdhsa_fp16_overflow 0
		.amdhsa_tg_split 0
		.amdhsa_exception_fp_ieee_invalid_op 0
		.amdhsa_exception_fp_denorm_src 0
		.amdhsa_exception_fp_ieee_div_zero 0
		.amdhsa_exception_fp_ieee_overflow 0
		.amdhsa_exception_fp_ieee_underflow 0
		.amdhsa_exception_fp_ieee_inexact 0
		.amdhsa_exception_int_div_zero 0
	.end_amdhsa_kernel
	.section	.text._ZN7rocprim17ROCPRIM_400000_NS6detail17trampoline_kernelINS0_14default_configENS1_20scan_config_selectorItEEZZNS1_9scan_implILNS1_25lookback_scan_determinismE0ELb1ELb1ES3_N6thrust23THRUST_200600_302600_NS6detail15normal_iteratorINS9_10device_ptrItEEEESE_tNS9_4plusIvEEtEEDaPvRmT3_T4_T5_mT6_P12ihipStream_tbENKUlT_T0_E_clISt17integral_constantIbLb0EESU_EEDaSP_SQ_EUlSP_E0_NS1_11comp_targetILNS1_3genE2ELNS1_11target_archE906ELNS1_3gpuE6ELNS1_3repE0EEENS1_30default_config_static_selectorELNS0_4arch9wavefront6targetE1EEEvT1_,"axG",@progbits,_ZN7rocprim17ROCPRIM_400000_NS6detail17trampoline_kernelINS0_14default_configENS1_20scan_config_selectorItEEZZNS1_9scan_implILNS1_25lookback_scan_determinismE0ELb1ELb1ES3_N6thrust23THRUST_200600_302600_NS6detail15normal_iteratorINS9_10device_ptrItEEEESE_tNS9_4plusIvEEtEEDaPvRmT3_T4_T5_mT6_P12ihipStream_tbENKUlT_T0_E_clISt17integral_constantIbLb0EESU_EEDaSP_SQ_EUlSP_E0_NS1_11comp_targetILNS1_3genE2ELNS1_11target_archE906ELNS1_3gpuE6ELNS1_3repE0EEENS1_30default_config_static_selectorELNS0_4arch9wavefront6targetE1EEEvT1_,comdat
.Lfunc_end4803:
	.size	_ZN7rocprim17ROCPRIM_400000_NS6detail17trampoline_kernelINS0_14default_configENS1_20scan_config_selectorItEEZZNS1_9scan_implILNS1_25lookback_scan_determinismE0ELb1ELb1ES3_N6thrust23THRUST_200600_302600_NS6detail15normal_iteratorINS9_10device_ptrItEEEESE_tNS9_4plusIvEEtEEDaPvRmT3_T4_T5_mT6_P12ihipStream_tbENKUlT_T0_E_clISt17integral_constantIbLb0EESU_EEDaSP_SQ_EUlSP_E0_NS1_11comp_targetILNS1_3genE2ELNS1_11target_archE906ELNS1_3gpuE6ELNS1_3repE0EEENS1_30default_config_static_selectorELNS0_4arch9wavefront6targetE1EEEvT1_, .Lfunc_end4803-_ZN7rocprim17ROCPRIM_400000_NS6detail17trampoline_kernelINS0_14default_configENS1_20scan_config_selectorItEEZZNS1_9scan_implILNS1_25lookback_scan_determinismE0ELb1ELb1ES3_N6thrust23THRUST_200600_302600_NS6detail15normal_iteratorINS9_10device_ptrItEEEESE_tNS9_4plusIvEEtEEDaPvRmT3_T4_T5_mT6_P12ihipStream_tbENKUlT_T0_E_clISt17integral_constantIbLb0EESU_EEDaSP_SQ_EUlSP_E0_NS1_11comp_targetILNS1_3genE2ELNS1_11target_archE906ELNS1_3gpuE6ELNS1_3repE0EEENS1_30default_config_static_selectorELNS0_4arch9wavefront6targetE1EEEvT1_
                                        ; -- End function
	.section	.AMDGPU.csdata,"",@progbits
; Kernel info:
; codeLenInByte = 0
; NumSgprs: 4
; NumVgprs: 0
; NumAgprs: 0
; TotalNumVgprs: 0
; ScratchSize: 0
; MemoryBound: 0
; FloatMode: 240
; IeeeMode: 1
; LDSByteSize: 0 bytes/workgroup (compile time only)
; SGPRBlocks: 0
; VGPRBlocks: 0
; NumSGPRsForWavesPerEU: 4
; NumVGPRsForWavesPerEU: 1
; AccumOffset: 4
; Occupancy: 8
; WaveLimiterHint : 0
; COMPUTE_PGM_RSRC2:SCRATCH_EN: 0
; COMPUTE_PGM_RSRC2:USER_SGPR: 6
; COMPUTE_PGM_RSRC2:TRAP_HANDLER: 0
; COMPUTE_PGM_RSRC2:TGID_X_EN: 1
; COMPUTE_PGM_RSRC2:TGID_Y_EN: 0
; COMPUTE_PGM_RSRC2:TGID_Z_EN: 0
; COMPUTE_PGM_RSRC2:TIDIG_COMP_CNT: 0
; COMPUTE_PGM_RSRC3_GFX90A:ACCUM_OFFSET: 0
; COMPUTE_PGM_RSRC3_GFX90A:TG_SPLIT: 0
	.section	.text._ZN7rocprim17ROCPRIM_400000_NS6detail17trampoline_kernelINS0_14default_configENS1_20scan_config_selectorItEEZZNS1_9scan_implILNS1_25lookback_scan_determinismE0ELb1ELb1ES3_N6thrust23THRUST_200600_302600_NS6detail15normal_iteratorINS9_10device_ptrItEEEESE_tNS9_4plusIvEEtEEDaPvRmT3_T4_T5_mT6_P12ihipStream_tbENKUlT_T0_E_clISt17integral_constantIbLb0EESU_EEDaSP_SQ_EUlSP_E0_NS1_11comp_targetILNS1_3genE10ELNS1_11target_archE1201ELNS1_3gpuE5ELNS1_3repE0EEENS1_30default_config_static_selectorELNS0_4arch9wavefront6targetE1EEEvT1_,"axG",@progbits,_ZN7rocprim17ROCPRIM_400000_NS6detail17trampoline_kernelINS0_14default_configENS1_20scan_config_selectorItEEZZNS1_9scan_implILNS1_25lookback_scan_determinismE0ELb1ELb1ES3_N6thrust23THRUST_200600_302600_NS6detail15normal_iteratorINS9_10device_ptrItEEEESE_tNS9_4plusIvEEtEEDaPvRmT3_T4_T5_mT6_P12ihipStream_tbENKUlT_T0_E_clISt17integral_constantIbLb0EESU_EEDaSP_SQ_EUlSP_E0_NS1_11comp_targetILNS1_3genE10ELNS1_11target_archE1201ELNS1_3gpuE5ELNS1_3repE0EEENS1_30default_config_static_selectorELNS0_4arch9wavefront6targetE1EEEvT1_,comdat
	.protected	_ZN7rocprim17ROCPRIM_400000_NS6detail17trampoline_kernelINS0_14default_configENS1_20scan_config_selectorItEEZZNS1_9scan_implILNS1_25lookback_scan_determinismE0ELb1ELb1ES3_N6thrust23THRUST_200600_302600_NS6detail15normal_iteratorINS9_10device_ptrItEEEESE_tNS9_4plusIvEEtEEDaPvRmT3_T4_T5_mT6_P12ihipStream_tbENKUlT_T0_E_clISt17integral_constantIbLb0EESU_EEDaSP_SQ_EUlSP_E0_NS1_11comp_targetILNS1_3genE10ELNS1_11target_archE1201ELNS1_3gpuE5ELNS1_3repE0EEENS1_30default_config_static_selectorELNS0_4arch9wavefront6targetE1EEEvT1_ ; -- Begin function _ZN7rocprim17ROCPRIM_400000_NS6detail17trampoline_kernelINS0_14default_configENS1_20scan_config_selectorItEEZZNS1_9scan_implILNS1_25lookback_scan_determinismE0ELb1ELb1ES3_N6thrust23THRUST_200600_302600_NS6detail15normal_iteratorINS9_10device_ptrItEEEESE_tNS9_4plusIvEEtEEDaPvRmT3_T4_T5_mT6_P12ihipStream_tbENKUlT_T0_E_clISt17integral_constantIbLb0EESU_EEDaSP_SQ_EUlSP_E0_NS1_11comp_targetILNS1_3genE10ELNS1_11target_archE1201ELNS1_3gpuE5ELNS1_3repE0EEENS1_30default_config_static_selectorELNS0_4arch9wavefront6targetE1EEEvT1_
	.globl	_ZN7rocprim17ROCPRIM_400000_NS6detail17trampoline_kernelINS0_14default_configENS1_20scan_config_selectorItEEZZNS1_9scan_implILNS1_25lookback_scan_determinismE0ELb1ELb1ES3_N6thrust23THRUST_200600_302600_NS6detail15normal_iteratorINS9_10device_ptrItEEEESE_tNS9_4plusIvEEtEEDaPvRmT3_T4_T5_mT6_P12ihipStream_tbENKUlT_T0_E_clISt17integral_constantIbLb0EESU_EEDaSP_SQ_EUlSP_E0_NS1_11comp_targetILNS1_3genE10ELNS1_11target_archE1201ELNS1_3gpuE5ELNS1_3repE0EEENS1_30default_config_static_selectorELNS0_4arch9wavefront6targetE1EEEvT1_
	.p2align	8
	.type	_ZN7rocprim17ROCPRIM_400000_NS6detail17trampoline_kernelINS0_14default_configENS1_20scan_config_selectorItEEZZNS1_9scan_implILNS1_25lookback_scan_determinismE0ELb1ELb1ES3_N6thrust23THRUST_200600_302600_NS6detail15normal_iteratorINS9_10device_ptrItEEEESE_tNS9_4plusIvEEtEEDaPvRmT3_T4_T5_mT6_P12ihipStream_tbENKUlT_T0_E_clISt17integral_constantIbLb0EESU_EEDaSP_SQ_EUlSP_E0_NS1_11comp_targetILNS1_3genE10ELNS1_11target_archE1201ELNS1_3gpuE5ELNS1_3repE0EEENS1_30default_config_static_selectorELNS0_4arch9wavefront6targetE1EEEvT1_,@function
_ZN7rocprim17ROCPRIM_400000_NS6detail17trampoline_kernelINS0_14default_configENS1_20scan_config_selectorItEEZZNS1_9scan_implILNS1_25lookback_scan_determinismE0ELb1ELb1ES3_N6thrust23THRUST_200600_302600_NS6detail15normal_iteratorINS9_10device_ptrItEEEESE_tNS9_4plusIvEEtEEDaPvRmT3_T4_T5_mT6_P12ihipStream_tbENKUlT_T0_E_clISt17integral_constantIbLb0EESU_EEDaSP_SQ_EUlSP_E0_NS1_11comp_targetILNS1_3genE10ELNS1_11target_archE1201ELNS1_3gpuE5ELNS1_3repE0EEENS1_30default_config_static_selectorELNS0_4arch9wavefront6targetE1EEEvT1_: ; @_ZN7rocprim17ROCPRIM_400000_NS6detail17trampoline_kernelINS0_14default_configENS1_20scan_config_selectorItEEZZNS1_9scan_implILNS1_25lookback_scan_determinismE0ELb1ELb1ES3_N6thrust23THRUST_200600_302600_NS6detail15normal_iteratorINS9_10device_ptrItEEEESE_tNS9_4plusIvEEtEEDaPvRmT3_T4_T5_mT6_P12ihipStream_tbENKUlT_T0_E_clISt17integral_constantIbLb0EESU_EEDaSP_SQ_EUlSP_E0_NS1_11comp_targetILNS1_3genE10ELNS1_11target_archE1201ELNS1_3gpuE5ELNS1_3repE0EEENS1_30default_config_static_selectorELNS0_4arch9wavefront6targetE1EEEvT1_
; %bb.0:
	.section	.rodata,"a",@progbits
	.p2align	6, 0x0
	.amdhsa_kernel _ZN7rocprim17ROCPRIM_400000_NS6detail17trampoline_kernelINS0_14default_configENS1_20scan_config_selectorItEEZZNS1_9scan_implILNS1_25lookback_scan_determinismE0ELb1ELb1ES3_N6thrust23THRUST_200600_302600_NS6detail15normal_iteratorINS9_10device_ptrItEEEESE_tNS9_4plusIvEEtEEDaPvRmT3_T4_T5_mT6_P12ihipStream_tbENKUlT_T0_E_clISt17integral_constantIbLb0EESU_EEDaSP_SQ_EUlSP_E0_NS1_11comp_targetILNS1_3genE10ELNS1_11target_archE1201ELNS1_3gpuE5ELNS1_3repE0EEENS1_30default_config_static_selectorELNS0_4arch9wavefront6targetE1EEEvT1_
		.amdhsa_group_segment_fixed_size 0
		.amdhsa_private_segment_fixed_size 0
		.amdhsa_kernarg_size 32
		.amdhsa_user_sgpr_count 6
		.amdhsa_user_sgpr_private_segment_buffer 1
		.amdhsa_user_sgpr_dispatch_ptr 0
		.amdhsa_user_sgpr_queue_ptr 0
		.amdhsa_user_sgpr_kernarg_segment_ptr 1
		.amdhsa_user_sgpr_dispatch_id 0
		.amdhsa_user_sgpr_flat_scratch_init 0
		.amdhsa_user_sgpr_kernarg_preload_length 0
		.amdhsa_user_sgpr_kernarg_preload_offset 0
		.amdhsa_user_sgpr_private_segment_size 0
		.amdhsa_uses_dynamic_stack 0
		.amdhsa_system_sgpr_private_segment_wavefront_offset 0
		.amdhsa_system_sgpr_workgroup_id_x 1
		.amdhsa_system_sgpr_workgroup_id_y 0
		.amdhsa_system_sgpr_workgroup_id_z 0
		.amdhsa_system_sgpr_workgroup_info 0
		.amdhsa_system_vgpr_workitem_id 0
		.amdhsa_next_free_vgpr 1
		.amdhsa_next_free_sgpr 0
		.amdhsa_accum_offset 4
		.amdhsa_reserve_vcc 0
		.amdhsa_reserve_flat_scratch 0
		.amdhsa_float_round_mode_32 0
		.amdhsa_float_round_mode_16_64 0
		.amdhsa_float_denorm_mode_32 3
		.amdhsa_float_denorm_mode_16_64 3
		.amdhsa_dx10_clamp 1
		.amdhsa_ieee_mode 1
		.amdhsa_fp16_overflow 0
		.amdhsa_tg_split 0
		.amdhsa_exception_fp_ieee_invalid_op 0
		.amdhsa_exception_fp_denorm_src 0
		.amdhsa_exception_fp_ieee_div_zero 0
		.amdhsa_exception_fp_ieee_overflow 0
		.amdhsa_exception_fp_ieee_underflow 0
		.amdhsa_exception_fp_ieee_inexact 0
		.amdhsa_exception_int_div_zero 0
	.end_amdhsa_kernel
	.section	.text._ZN7rocprim17ROCPRIM_400000_NS6detail17trampoline_kernelINS0_14default_configENS1_20scan_config_selectorItEEZZNS1_9scan_implILNS1_25lookback_scan_determinismE0ELb1ELb1ES3_N6thrust23THRUST_200600_302600_NS6detail15normal_iteratorINS9_10device_ptrItEEEESE_tNS9_4plusIvEEtEEDaPvRmT3_T4_T5_mT6_P12ihipStream_tbENKUlT_T0_E_clISt17integral_constantIbLb0EESU_EEDaSP_SQ_EUlSP_E0_NS1_11comp_targetILNS1_3genE10ELNS1_11target_archE1201ELNS1_3gpuE5ELNS1_3repE0EEENS1_30default_config_static_selectorELNS0_4arch9wavefront6targetE1EEEvT1_,"axG",@progbits,_ZN7rocprim17ROCPRIM_400000_NS6detail17trampoline_kernelINS0_14default_configENS1_20scan_config_selectorItEEZZNS1_9scan_implILNS1_25lookback_scan_determinismE0ELb1ELb1ES3_N6thrust23THRUST_200600_302600_NS6detail15normal_iteratorINS9_10device_ptrItEEEESE_tNS9_4plusIvEEtEEDaPvRmT3_T4_T5_mT6_P12ihipStream_tbENKUlT_T0_E_clISt17integral_constantIbLb0EESU_EEDaSP_SQ_EUlSP_E0_NS1_11comp_targetILNS1_3genE10ELNS1_11target_archE1201ELNS1_3gpuE5ELNS1_3repE0EEENS1_30default_config_static_selectorELNS0_4arch9wavefront6targetE1EEEvT1_,comdat
.Lfunc_end4804:
	.size	_ZN7rocprim17ROCPRIM_400000_NS6detail17trampoline_kernelINS0_14default_configENS1_20scan_config_selectorItEEZZNS1_9scan_implILNS1_25lookback_scan_determinismE0ELb1ELb1ES3_N6thrust23THRUST_200600_302600_NS6detail15normal_iteratorINS9_10device_ptrItEEEESE_tNS9_4plusIvEEtEEDaPvRmT3_T4_T5_mT6_P12ihipStream_tbENKUlT_T0_E_clISt17integral_constantIbLb0EESU_EEDaSP_SQ_EUlSP_E0_NS1_11comp_targetILNS1_3genE10ELNS1_11target_archE1201ELNS1_3gpuE5ELNS1_3repE0EEENS1_30default_config_static_selectorELNS0_4arch9wavefront6targetE1EEEvT1_, .Lfunc_end4804-_ZN7rocprim17ROCPRIM_400000_NS6detail17trampoline_kernelINS0_14default_configENS1_20scan_config_selectorItEEZZNS1_9scan_implILNS1_25lookback_scan_determinismE0ELb1ELb1ES3_N6thrust23THRUST_200600_302600_NS6detail15normal_iteratorINS9_10device_ptrItEEEESE_tNS9_4plusIvEEtEEDaPvRmT3_T4_T5_mT6_P12ihipStream_tbENKUlT_T0_E_clISt17integral_constantIbLb0EESU_EEDaSP_SQ_EUlSP_E0_NS1_11comp_targetILNS1_3genE10ELNS1_11target_archE1201ELNS1_3gpuE5ELNS1_3repE0EEENS1_30default_config_static_selectorELNS0_4arch9wavefront6targetE1EEEvT1_
                                        ; -- End function
	.section	.AMDGPU.csdata,"",@progbits
; Kernel info:
; codeLenInByte = 0
; NumSgprs: 4
; NumVgprs: 0
; NumAgprs: 0
; TotalNumVgprs: 0
; ScratchSize: 0
; MemoryBound: 0
; FloatMode: 240
; IeeeMode: 1
; LDSByteSize: 0 bytes/workgroup (compile time only)
; SGPRBlocks: 0
; VGPRBlocks: 0
; NumSGPRsForWavesPerEU: 4
; NumVGPRsForWavesPerEU: 1
; AccumOffset: 4
; Occupancy: 8
; WaveLimiterHint : 0
; COMPUTE_PGM_RSRC2:SCRATCH_EN: 0
; COMPUTE_PGM_RSRC2:USER_SGPR: 6
; COMPUTE_PGM_RSRC2:TRAP_HANDLER: 0
; COMPUTE_PGM_RSRC2:TGID_X_EN: 1
; COMPUTE_PGM_RSRC2:TGID_Y_EN: 0
; COMPUTE_PGM_RSRC2:TGID_Z_EN: 0
; COMPUTE_PGM_RSRC2:TIDIG_COMP_CNT: 0
; COMPUTE_PGM_RSRC3_GFX90A:ACCUM_OFFSET: 0
; COMPUTE_PGM_RSRC3_GFX90A:TG_SPLIT: 0
	.section	.text._ZN7rocprim17ROCPRIM_400000_NS6detail17trampoline_kernelINS0_14default_configENS1_20scan_config_selectorItEEZZNS1_9scan_implILNS1_25lookback_scan_determinismE0ELb1ELb1ES3_N6thrust23THRUST_200600_302600_NS6detail15normal_iteratorINS9_10device_ptrItEEEESE_tNS9_4plusIvEEtEEDaPvRmT3_T4_T5_mT6_P12ihipStream_tbENKUlT_T0_E_clISt17integral_constantIbLb0EESU_EEDaSP_SQ_EUlSP_E0_NS1_11comp_targetILNS1_3genE10ELNS1_11target_archE1200ELNS1_3gpuE4ELNS1_3repE0EEENS1_30default_config_static_selectorELNS0_4arch9wavefront6targetE1EEEvT1_,"axG",@progbits,_ZN7rocprim17ROCPRIM_400000_NS6detail17trampoline_kernelINS0_14default_configENS1_20scan_config_selectorItEEZZNS1_9scan_implILNS1_25lookback_scan_determinismE0ELb1ELb1ES3_N6thrust23THRUST_200600_302600_NS6detail15normal_iteratorINS9_10device_ptrItEEEESE_tNS9_4plusIvEEtEEDaPvRmT3_T4_T5_mT6_P12ihipStream_tbENKUlT_T0_E_clISt17integral_constantIbLb0EESU_EEDaSP_SQ_EUlSP_E0_NS1_11comp_targetILNS1_3genE10ELNS1_11target_archE1200ELNS1_3gpuE4ELNS1_3repE0EEENS1_30default_config_static_selectorELNS0_4arch9wavefront6targetE1EEEvT1_,comdat
	.protected	_ZN7rocprim17ROCPRIM_400000_NS6detail17trampoline_kernelINS0_14default_configENS1_20scan_config_selectorItEEZZNS1_9scan_implILNS1_25lookback_scan_determinismE0ELb1ELb1ES3_N6thrust23THRUST_200600_302600_NS6detail15normal_iteratorINS9_10device_ptrItEEEESE_tNS9_4plusIvEEtEEDaPvRmT3_T4_T5_mT6_P12ihipStream_tbENKUlT_T0_E_clISt17integral_constantIbLb0EESU_EEDaSP_SQ_EUlSP_E0_NS1_11comp_targetILNS1_3genE10ELNS1_11target_archE1200ELNS1_3gpuE4ELNS1_3repE0EEENS1_30default_config_static_selectorELNS0_4arch9wavefront6targetE1EEEvT1_ ; -- Begin function _ZN7rocprim17ROCPRIM_400000_NS6detail17trampoline_kernelINS0_14default_configENS1_20scan_config_selectorItEEZZNS1_9scan_implILNS1_25lookback_scan_determinismE0ELb1ELb1ES3_N6thrust23THRUST_200600_302600_NS6detail15normal_iteratorINS9_10device_ptrItEEEESE_tNS9_4plusIvEEtEEDaPvRmT3_T4_T5_mT6_P12ihipStream_tbENKUlT_T0_E_clISt17integral_constantIbLb0EESU_EEDaSP_SQ_EUlSP_E0_NS1_11comp_targetILNS1_3genE10ELNS1_11target_archE1200ELNS1_3gpuE4ELNS1_3repE0EEENS1_30default_config_static_selectorELNS0_4arch9wavefront6targetE1EEEvT1_
	.globl	_ZN7rocprim17ROCPRIM_400000_NS6detail17trampoline_kernelINS0_14default_configENS1_20scan_config_selectorItEEZZNS1_9scan_implILNS1_25lookback_scan_determinismE0ELb1ELb1ES3_N6thrust23THRUST_200600_302600_NS6detail15normal_iteratorINS9_10device_ptrItEEEESE_tNS9_4plusIvEEtEEDaPvRmT3_T4_T5_mT6_P12ihipStream_tbENKUlT_T0_E_clISt17integral_constantIbLb0EESU_EEDaSP_SQ_EUlSP_E0_NS1_11comp_targetILNS1_3genE10ELNS1_11target_archE1200ELNS1_3gpuE4ELNS1_3repE0EEENS1_30default_config_static_selectorELNS0_4arch9wavefront6targetE1EEEvT1_
	.p2align	8
	.type	_ZN7rocprim17ROCPRIM_400000_NS6detail17trampoline_kernelINS0_14default_configENS1_20scan_config_selectorItEEZZNS1_9scan_implILNS1_25lookback_scan_determinismE0ELb1ELb1ES3_N6thrust23THRUST_200600_302600_NS6detail15normal_iteratorINS9_10device_ptrItEEEESE_tNS9_4plusIvEEtEEDaPvRmT3_T4_T5_mT6_P12ihipStream_tbENKUlT_T0_E_clISt17integral_constantIbLb0EESU_EEDaSP_SQ_EUlSP_E0_NS1_11comp_targetILNS1_3genE10ELNS1_11target_archE1200ELNS1_3gpuE4ELNS1_3repE0EEENS1_30default_config_static_selectorELNS0_4arch9wavefront6targetE1EEEvT1_,@function
_ZN7rocprim17ROCPRIM_400000_NS6detail17trampoline_kernelINS0_14default_configENS1_20scan_config_selectorItEEZZNS1_9scan_implILNS1_25lookback_scan_determinismE0ELb1ELb1ES3_N6thrust23THRUST_200600_302600_NS6detail15normal_iteratorINS9_10device_ptrItEEEESE_tNS9_4plusIvEEtEEDaPvRmT3_T4_T5_mT6_P12ihipStream_tbENKUlT_T0_E_clISt17integral_constantIbLb0EESU_EEDaSP_SQ_EUlSP_E0_NS1_11comp_targetILNS1_3genE10ELNS1_11target_archE1200ELNS1_3gpuE4ELNS1_3repE0EEENS1_30default_config_static_selectorELNS0_4arch9wavefront6targetE1EEEvT1_: ; @_ZN7rocprim17ROCPRIM_400000_NS6detail17trampoline_kernelINS0_14default_configENS1_20scan_config_selectorItEEZZNS1_9scan_implILNS1_25lookback_scan_determinismE0ELb1ELb1ES3_N6thrust23THRUST_200600_302600_NS6detail15normal_iteratorINS9_10device_ptrItEEEESE_tNS9_4plusIvEEtEEDaPvRmT3_T4_T5_mT6_P12ihipStream_tbENKUlT_T0_E_clISt17integral_constantIbLb0EESU_EEDaSP_SQ_EUlSP_E0_NS1_11comp_targetILNS1_3genE10ELNS1_11target_archE1200ELNS1_3gpuE4ELNS1_3repE0EEENS1_30default_config_static_selectorELNS0_4arch9wavefront6targetE1EEEvT1_
; %bb.0:
	.section	.rodata,"a",@progbits
	.p2align	6, 0x0
	.amdhsa_kernel _ZN7rocprim17ROCPRIM_400000_NS6detail17trampoline_kernelINS0_14default_configENS1_20scan_config_selectorItEEZZNS1_9scan_implILNS1_25lookback_scan_determinismE0ELb1ELb1ES3_N6thrust23THRUST_200600_302600_NS6detail15normal_iteratorINS9_10device_ptrItEEEESE_tNS9_4plusIvEEtEEDaPvRmT3_T4_T5_mT6_P12ihipStream_tbENKUlT_T0_E_clISt17integral_constantIbLb0EESU_EEDaSP_SQ_EUlSP_E0_NS1_11comp_targetILNS1_3genE10ELNS1_11target_archE1200ELNS1_3gpuE4ELNS1_3repE0EEENS1_30default_config_static_selectorELNS0_4arch9wavefront6targetE1EEEvT1_
		.amdhsa_group_segment_fixed_size 0
		.amdhsa_private_segment_fixed_size 0
		.amdhsa_kernarg_size 32
		.amdhsa_user_sgpr_count 6
		.amdhsa_user_sgpr_private_segment_buffer 1
		.amdhsa_user_sgpr_dispatch_ptr 0
		.amdhsa_user_sgpr_queue_ptr 0
		.amdhsa_user_sgpr_kernarg_segment_ptr 1
		.amdhsa_user_sgpr_dispatch_id 0
		.amdhsa_user_sgpr_flat_scratch_init 0
		.amdhsa_user_sgpr_kernarg_preload_length 0
		.amdhsa_user_sgpr_kernarg_preload_offset 0
		.amdhsa_user_sgpr_private_segment_size 0
		.amdhsa_uses_dynamic_stack 0
		.amdhsa_system_sgpr_private_segment_wavefront_offset 0
		.amdhsa_system_sgpr_workgroup_id_x 1
		.amdhsa_system_sgpr_workgroup_id_y 0
		.amdhsa_system_sgpr_workgroup_id_z 0
		.amdhsa_system_sgpr_workgroup_info 0
		.amdhsa_system_vgpr_workitem_id 0
		.amdhsa_next_free_vgpr 1
		.amdhsa_next_free_sgpr 0
		.amdhsa_accum_offset 4
		.amdhsa_reserve_vcc 0
		.amdhsa_reserve_flat_scratch 0
		.amdhsa_float_round_mode_32 0
		.amdhsa_float_round_mode_16_64 0
		.amdhsa_float_denorm_mode_32 3
		.amdhsa_float_denorm_mode_16_64 3
		.amdhsa_dx10_clamp 1
		.amdhsa_ieee_mode 1
		.amdhsa_fp16_overflow 0
		.amdhsa_tg_split 0
		.amdhsa_exception_fp_ieee_invalid_op 0
		.amdhsa_exception_fp_denorm_src 0
		.amdhsa_exception_fp_ieee_div_zero 0
		.amdhsa_exception_fp_ieee_overflow 0
		.amdhsa_exception_fp_ieee_underflow 0
		.amdhsa_exception_fp_ieee_inexact 0
		.amdhsa_exception_int_div_zero 0
	.end_amdhsa_kernel
	.section	.text._ZN7rocprim17ROCPRIM_400000_NS6detail17trampoline_kernelINS0_14default_configENS1_20scan_config_selectorItEEZZNS1_9scan_implILNS1_25lookback_scan_determinismE0ELb1ELb1ES3_N6thrust23THRUST_200600_302600_NS6detail15normal_iteratorINS9_10device_ptrItEEEESE_tNS9_4plusIvEEtEEDaPvRmT3_T4_T5_mT6_P12ihipStream_tbENKUlT_T0_E_clISt17integral_constantIbLb0EESU_EEDaSP_SQ_EUlSP_E0_NS1_11comp_targetILNS1_3genE10ELNS1_11target_archE1200ELNS1_3gpuE4ELNS1_3repE0EEENS1_30default_config_static_selectorELNS0_4arch9wavefront6targetE1EEEvT1_,"axG",@progbits,_ZN7rocprim17ROCPRIM_400000_NS6detail17trampoline_kernelINS0_14default_configENS1_20scan_config_selectorItEEZZNS1_9scan_implILNS1_25lookback_scan_determinismE0ELb1ELb1ES3_N6thrust23THRUST_200600_302600_NS6detail15normal_iteratorINS9_10device_ptrItEEEESE_tNS9_4plusIvEEtEEDaPvRmT3_T4_T5_mT6_P12ihipStream_tbENKUlT_T0_E_clISt17integral_constantIbLb0EESU_EEDaSP_SQ_EUlSP_E0_NS1_11comp_targetILNS1_3genE10ELNS1_11target_archE1200ELNS1_3gpuE4ELNS1_3repE0EEENS1_30default_config_static_selectorELNS0_4arch9wavefront6targetE1EEEvT1_,comdat
.Lfunc_end4805:
	.size	_ZN7rocprim17ROCPRIM_400000_NS6detail17trampoline_kernelINS0_14default_configENS1_20scan_config_selectorItEEZZNS1_9scan_implILNS1_25lookback_scan_determinismE0ELb1ELb1ES3_N6thrust23THRUST_200600_302600_NS6detail15normal_iteratorINS9_10device_ptrItEEEESE_tNS9_4plusIvEEtEEDaPvRmT3_T4_T5_mT6_P12ihipStream_tbENKUlT_T0_E_clISt17integral_constantIbLb0EESU_EEDaSP_SQ_EUlSP_E0_NS1_11comp_targetILNS1_3genE10ELNS1_11target_archE1200ELNS1_3gpuE4ELNS1_3repE0EEENS1_30default_config_static_selectorELNS0_4arch9wavefront6targetE1EEEvT1_, .Lfunc_end4805-_ZN7rocprim17ROCPRIM_400000_NS6detail17trampoline_kernelINS0_14default_configENS1_20scan_config_selectorItEEZZNS1_9scan_implILNS1_25lookback_scan_determinismE0ELb1ELb1ES3_N6thrust23THRUST_200600_302600_NS6detail15normal_iteratorINS9_10device_ptrItEEEESE_tNS9_4plusIvEEtEEDaPvRmT3_T4_T5_mT6_P12ihipStream_tbENKUlT_T0_E_clISt17integral_constantIbLb0EESU_EEDaSP_SQ_EUlSP_E0_NS1_11comp_targetILNS1_3genE10ELNS1_11target_archE1200ELNS1_3gpuE4ELNS1_3repE0EEENS1_30default_config_static_selectorELNS0_4arch9wavefront6targetE1EEEvT1_
                                        ; -- End function
	.section	.AMDGPU.csdata,"",@progbits
; Kernel info:
; codeLenInByte = 0
; NumSgprs: 4
; NumVgprs: 0
; NumAgprs: 0
; TotalNumVgprs: 0
; ScratchSize: 0
; MemoryBound: 0
; FloatMode: 240
; IeeeMode: 1
; LDSByteSize: 0 bytes/workgroup (compile time only)
; SGPRBlocks: 0
; VGPRBlocks: 0
; NumSGPRsForWavesPerEU: 4
; NumVGPRsForWavesPerEU: 1
; AccumOffset: 4
; Occupancy: 8
; WaveLimiterHint : 0
; COMPUTE_PGM_RSRC2:SCRATCH_EN: 0
; COMPUTE_PGM_RSRC2:USER_SGPR: 6
; COMPUTE_PGM_RSRC2:TRAP_HANDLER: 0
; COMPUTE_PGM_RSRC2:TGID_X_EN: 1
; COMPUTE_PGM_RSRC2:TGID_Y_EN: 0
; COMPUTE_PGM_RSRC2:TGID_Z_EN: 0
; COMPUTE_PGM_RSRC2:TIDIG_COMP_CNT: 0
; COMPUTE_PGM_RSRC3_GFX90A:ACCUM_OFFSET: 0
; COMPUTE_PGM_RSRC3_GFX90A:TG_SPLIT: 0
	.section	.text._ZN7rocprim17ROCPRIM_400000_NS6detail17trampoline_kernelINS0_14default_configENS1_20scan_config_selectorItEEZZNS1_9scan_implILNS1_25lookback_scan_determinismE0ELb1ELb1ES3_N6thrust23THRUST_200600_302600_NS6detail15normal_iteratorINS9_10device_ptrItEEEESE_tNS9_4plusIvEEtEEDaPvRmT3_T4_T5_mT6_P12ihipStream_tbENKUlT_T0_E_clISt17integral_constantIbLb0EESU_EEDaSP_SQ_EUlSP_E0_NS1_11comp_targetILNS1_3genE9ELNS1_11target_archE1100ELNS1_3gpuE3ELNS1_3repE0EEENS1_30default_config_static_selectorELNS0_4arch9wavefront6targetE1EEEvT1_,"axG",@progbits,_ZN7rocprim17ROCPRIM_400000_NS6detail17trampoline_kernelINS0_14default_configENS1_20scan_config_selectorItEEZZNS1_9scan_implILNS1_25lookback_scan_determinismE0ELb1ELb1ES3_N6thrust23THRUST_200600_302600_NS6detail15normal_iteratorINS9_10device_ptrItEEEESE_tNS9_4plusIvEEtEEDaPvRmT3_T4_T5_mT6_P12ihipStream_tbENKUlT_T0_E_clISt17integral_constantIbLb0EESU_EEDaSP_SQ_EUlSP_E0_NS1_11comp_targetILNS1_3genE9ELNS1_11target_archE1100ELNS1_3gpuE3ELNS1_3repE0EEENS1_30default_config_static_selectorELNS0_4arch9wavefront6targetE1EEEvT1_,comdat
	.protected	_ZN7rocprim17ROCPRIM_400000_NS6detail17trampoline_kernelINS0_14default_configENS1_20scan_config_selectorItEEZZNS1_9scan_implILNS1_25lookback_scan_determinismE0ELb1ELb1ES3_N6thrust23THRUST_200600_302600_NS6detail15normal_iteratorINS9_10device_ptrItEEEESE_tNS9_4plusIvEEtEEDaPvRmT3_T4_T5_mT6_P12ihipStream_tbENKUlT_T0_E_clISt17integral_constantIbLb0EESU_EEDaSP_SQ_EUlSP_E0_NS1_11comp_targetILNS1_3genE9ELNS1_11target_archE1100ELNS1_3gpuE3ELNS1_3repE0EEENS1_30default_config_static_selectorELNS0_4arch9wavefront6targetE1EEEvT1_ ; -- Begin function _ZN7rocprim17ROCPRIM_400000_NS6detail17trampoline_kernelINS0_14default_configENS1_20scan_config_selectorItEEZZNS1_9scan_implILNS1_25lookback_scan_determinismE0ELb1ELb1ES3_N6thrust23THRUST_200600_302600_NS6detail15normal_iteratorINS9_10device_ptrItEEEESE_tNS9_4plusIvEEtEEDaPvRmT3_T4_T5_mT6_P12ihipStream_tbENKUlT_T0_E_clISt17integral_constantIbLb0EESU_EEDaSP_SQ_EUlSP_E0_NS1_11comp_targetILNS1_3genE9ELNS1_11target_archE1100ELNS1_3gpuE3ELNS1_3repE0EEENS1_30default_config_static_selectorELNS0_4arch9wavefront6targetE1EEEvT1_
	.globl	_ZN7rocprim17ROCPRIM_400000_NS6detail17trampoline_kernelINS0_14default_configENS1_20scan_config_selectorItEEZZNS1_9scan_implILNS1_25lookback_scan_determinismE0ELb1ELb1ES3_N6thrust23THRUST_200600_302600_NS6detail15normal_iteratorINS9_10device_ptrItEEEESE_tNS9_4plusIvEEtEEDaPvRmT3_T4_T5_mT6_P12ihipStream_tbENKUlT_T0_E_clISt17integral_constantIbLb0EESU_EEDaSP_SQ_EUlSP_E0_NS1_11comp_targetILNS1_3genE9ELNS1_11target_archE1100ELNS1_3gpuE3ELNS1_3repE0EEENS1_30default_config_static_selectorELNS0_4arch9wavefront6targetE1EEEvT1_
	.p2align	8
	.type	_ZN7rocprim17ROCPRIM_400000_NS6detail17trampoline_kernelINS0_14default_configENS1_20scan_config_selectorItEEZZNS1_9scan_implILNS1_25lookback_scan_determinismE0ELb1ELb1ES3_N6thrust23THRUST_200600_302600_NS6detail15normal_iteratorINS9_10device_ptrItEEEESE_tNS9_4plusIvEEtEEDaPvRmT3_T4_T5_mT6_P12ihipStream_tbENKUlT_T0_E_clISt17integral_constantIbLb0EESU_EEDaSP_SQ_EUlSP_E0_NS1_11comp_targetILNS1_3genE9ELNS1_11target_archE1100ELNS1_3gpuE3ELNS1_3repE0EEENS1_30default_config_static_selectorELNS0_4arch9wavefront6targetE1EEEvT1_,@function
_ZN7rocprim17ROCPRIM_400000_NS6detail17trampoline_kernelINS0_14default_configENS1_20scan_config_selectorItEEZZNS1_9scan_implILNS1_25lookback_scan_determinismE0ELb1ELb1ES3_N6thrust23THRUST_200600_302600_NS6detail15normal_iteratorINS9_10device_ptrItEEEESE_tNS9_4plusIvEEtEEDaPvRmT3_T4_T5_mT6_P12ihipStream_tbENKUlT_T0_E_clISt17integral_constantIbLb0EESU_EEDaSP_SQ_EUlSP_E0_NS1_11comp_targetILNS1_3genE9ELNS1_11target_archE1100ELNS1_3gpuE3ELNS1_3repE0EEENS1_30default_config_static_selectorELNS0_4arch9wavefront6targetE1EEEvT1_: ; @_ZN7rocprim17ROCPRIM_400000_NS6detail17trampoline_kernelINS0_14default_configENS1_20scan_config_selectorItEEZZNS1_9scan_implILNS1_25lookback_scan_determinismE0ELb1ELb1ES3_N6thrust23THRUST_200600_302600_NS6detail15normal_iteratorINS9_10device_ptrItEEEESE_tNS9_4plusIvEEtEEDaPvRmT3_T4_T5_mT6_P12ihipStream_tbENKUlT_T0_E_clISt17integral_constantIbLb0EESU_EEDaSP_SQ_EUlSP_E0_NS1_11comp_targetILNS1_3genE9ELNS1_11target_archE1100ELNS1_3gpuE3ELNS1_3repE0EEENS1_30default_config_static_selectorELNS0_4arch9wavefront6targetE1EEEvT1_
; %bb.0:
	.section	.rodata,"a",@progbits
	.p2align	6, 0x0
	.amdhsa_kernel _ZN7rocprim17ROCPRIM_400000_NS6detail17trampoline_kernelINS0_14default_configENS1_20scan_config_selectorItEEZZNS1_9scan_implILNS1_25lookback_scan_determinismE0ELb1ELb1ES3_N6thrust23THRUST_200600_302600_NS6detail15normal_iteratorINS9_10device_ptrItEEEESE_tNS9_4plusIvEEtEEDaPvRmT3_T4_T5_mT6_P12ihipStream_tbENKUlT_T0_E_clISt17integral_constantIbLb0EESU_EEDaSP_SQ_EUlSP_E0_NS1_11comp_targetILNS1_3genE9ELNS1_11target_archE1100ELNS1_3gpuE3ELNS1_3repE0EEENS1_30default_config_static_selectorELNS0_4arch9wavefront6targetE1EEEvT1_
		.amdhsa_group_segment_fixed_size 0
		.amdhsa_private_segment_fixed_size 0
		.amdhsa_kernarg_size 32
		.amdhsa_user_sgpr_count 6
		.amdhsa_user_sgpr_private_segment_buffer 1
		.amdhsa_user_sgpr_dispatch_ptr 0
		.amdhsa_user_sgpr_queue_ptr 0
		.amdhsa_user_sgpr_kernarg_segment_ptr 1
		.amdhsa_user_sgpr_dispatch_id 0
		.amdhsa_user_sgpr_flat_scratch_init 0
		.amdhsa_user_sgpr_kernarg_preload_length 0
		.amdhsa_user_sgpr_kernarg_preload_offset 0
		.amdhsa_user_sgpr_private_segment_size 0
		.amdhsa_uses_dynamic_stack 0
		.amdhsa_system_sgpr_private_segment_wavefront_offset 0
		.amdhsa_system_sgpr_workgroup_id_x 1
		.amdhsa_system_sgpr_workgroup_id_y 0
		.amdhsa_system_sgpr_workgroup_id_z 0
		.amdhsa_system_sgpr_workgroup_info 0
		.amdhsa_system_vgpr_workitem_id 0
		.amdhsa_next_free_vgpr 1
		.amdhsa_next_free_sgpr 0
		.amdhsa_accum_offset 4
		.amdhsa_reserve_vcc 0
		.amdhsa_reserve_flat_scratch 0
		.amdhsa_float_round_mode_32 0
		.amdhsa_float_round_mode_16_64 0
		.amdhsa_float_denorm_mode_32 3
		.amdhsa_float_denorm_mode_16_64 3
		.amdhsa_dx10_clamp 1
		.amdhsa_ieee_mode 1
		.amdhsa_fp16_overflow 0
		.amdhsa_tg_split 0
		.amdhsa_exception_fp_ieee_invalid_op 0
		.amdhsa_exception_fp_denorm_src 0
		.amdhsa_exception_fp_ieee_div_zero 0
		.amdhsa_exception_fp_ieee_overflow 0
		.amdhsa_exception_fp_ieee_underflow 0
		.amdhsa_exception_fp_ieee_inexact 0
		.amdhsa_exception_int_div_zero 0
	.end_amdhsa_kernel
	.section	.text._ZN7rocprim17ROCPRIM_400000_NS6detail17trampoline_kernelINS0_14default_configENS1_20scan_config_selectorItEEZZNS1_9scan_implILNS1_25lookback_scan_determinismE0ELb1ELb1ES3_N6thrust23THRUST_200600_302600_NS6detail15normal_iteratorINS9_10device_ptrItEEEESE_tNS9_4plusIvEEtEEDaPvRmT3_T4_T5_mT6_P12ihipStream_tbENKUlT_T0_E_clISt17integral_constantIbLb0EESU_EEDaSP_SQ_EUlSP_E0_NS1_11comp_targetILNS1_3genE9ELNS1_11target_archE1100ELNS1_3gpuE3ELNS1_3repE0EEENS1_30default_config_static_selectorELNS0_4arch9wavefront6targetE1EEEvT1_,"axG",@progbits,_ZN7rocprim17ROCPRIM_400000_NS6detail17trampoline_kernelINS0_14default_configENS1_20scan_config_selectorItEEZZNS1_9scan_implILNS1_25lookback_scan_determinismE0ELb1ELb1ES3_N6thrust23THRUST_200600_302600_NS6detail15normal_iteratorINS9_10device_ptrItEEEESE_tNS9_4plusIvEEtEEDaPvRmT3_T4_T5_mT6_P12ihipStream_tbENKUlT_T0_E_clISt17integral_constantIbLb0EESU_EEDaSP_SQ_EUlSP_E0_NS1_11comp_targetILNS1_3genE9ELNS1_11target_archE1100ELNS1_3gpuE3ELNS1_3repE0EEENS1_30default_config_static_selectorELNS0_4arch9wavefront6targetE1EEEvT1_,comdat
.Lfunc_end4806:
	.size	_ZN7rocprim17ROCPRIM_400000_NS6detail17trampoline_kernelINS0_14default_configENS1_20scan_config_selectorItEEZZNS1_9scan_implILNS1_25lookback_scan_determinismE0ELb1ELb1ES3_N6thrust23THRUST_200600_302600_NS6detail15normal_iteratorINS9_10device_ptrItEEEESE_tNS9_4plusIvEEtEEDaPvRmT3_T4_T5_mT6_P12ihipStream_tbENKUlT_T0_E_clISt17integral_constantIbLb0EESU_EEDaSP_SQ_EUlSP_E0_NS1_11comp_targetILNS1_3genE9ELNS1_11target_archE1100ELNS1_3gpuE3ELNS1_3repE0EEENS1_30default_config_static_selectorELNS0_4arch9wavefront6targetE1EEEvT1_, .Lfunc_end4806-_ZN7rocprim17ROCPRIM_400000_NS6detail17trampoline_kernelINS0_14default_configENS1_20scan_config_selectorItEEZZNS1_9scan_implILNS1_25lookback_scan_determinismE0ELb1ELb1ES3_N6thrust23THRUST_200600_302600_NS6detail15normal_iteratorINS9_10device_ptrItEEEESE_tNS9_4plusIvEEtEEDaPvRmT3_T4_T5_mT6_P12ihipStream_tbENKUlT_T0_E_clISt17integral_constantIbLb0EESU_EEDaSP_SQ_EUlSP_E0_NS1_11comp_targetILNS1_3genE9ELNS1_11target_archE1100ELNS1_3gpuE3ELNS1_3repE0EEENS1_30default_config_static_selectorELNS0_4arch9wavefront6targetE1EEEvT1_
                                        ; -- End function
	.section	.AMDGPU.csdata,"",@progbits
; Kernel info:
; codeLenInByte = 0
; NumSgprs: 4
; NumVgprs: 0
; NumAgprs: 0
; TotalNumVgprs: 0
; ScratchSize: 0
; MemoryBound: 0
; FloatMode: 240
; IeeeMode: 1
; LDSByteSize: 0 bytes/workgroup (compile time only)
; SGPRBlocks: 0
; VGPRBlocks: 0
; NumSGPRsForWavesPerEU: 4
; NumVGPRsForWavesPerEU: 1
; AccumOffset: 4
; Occupancy: 8
; WaveLimiterHint : 0
; COMPUTE_PGM_RSRC2:SCRATCH_EN: 0
; COMPUTE_PGM_RSRC2:USER_SGPR: 6
; COMPUTE_PGM_RSRC2:TRAP_HANDLER: 0
; COMPUTE_PGM_RSRC2:TGID_X_EN: 1
; COMPUTE_PGM_RSRC2:TGID_Y_EN: 0
; COMPUTE_PGM_RSRC2:TGID_Z_EN: 0
; COMPUTE_PGM_RSRC2:TIDIG_COMP_CNT: 0
; COMPUTE_PGM_RSRC3_GFX90A:ACCUM_OFFSET: 0
; COMPUTE_PGM_RSRC3_GFX90A:TG_SPLIT: 0
	.section	.text._ZN7rocprim17ROCPRIM_400000_NS6detail17trampoline_kernelINS0_14default_configENS1_20scan_config_selectorItEEZZNS1_9scan_implILNS1_25lookback_scan_determinismE0ELb1ELb1ES3_N6thrust23THRUST_200600_302600_NS6detail15normal_iteratorINS9_10device_ptrItEEEESE_tNS9_4plusIvEEtEEDaPvRmT3_T4_T5_mT6_P12ihipStream_tbENKUlT_T0_E_clISt17integral_constantIbLb0EESU_EEDaSP_SQ_EUlSP_E0_NS1_11comp_targetILNS1_3genE8ELNS1_11target_archE1030ELNS1_3gpuE2ELNS1_3repE0EEENS1_30default_config_static_selectorELNS0_4arch9wavefront6targetE1EEEvT1_,"axG",@progbits,_ZN7rocprim17ROCPRIM_400000_NS6detail17trampoline_kernelINS0_14default_configENS1_20scan_config_selectorItEEZZNS1_9scan_implILNS1_25lookback_scan_determinismE0ELb1ELb1ES3_N6thrust23THRUST_200600_302600_NS6detail15normal_iteratorINS9_10device_ptrItEEEESE_tNS9_4plusIvEEtEEDaPvRmT3_T4_T5_mT6_P12ihipStream_tbENKUlT_T0_E_clISt17integral_constantIbLb0EESU_EEDaSP_SQ_EUlSP_E0_NS1_11comp_targetILNS1_3genE8ELNS1_11target_archE1030ELNS1_3gpuE2ELNS1_3repE0EEENS1_30default_config_static_selectorELNS0_4arch9wavefront6targetE1EEEvT1_,comdat
	.protected	_ZN7rocprim17ROCPRIM_400000_NS6detail17trampoline_kernelINS0_14default_configENS1_20scan_config_selectorItEEZZNS1_9scan_implILNS1_25lookback_scan_determinismE0ELb1ELb1ES3_N6thrust23THRUST_200600_302600_NS6detail15normal_iteratorINS9_10device_ptrItEEEESE_tNS9_4plusIvEEtEEDaPvRmT3_T4_T5_mT6_P12ihipStream_tbENKUlT_T0_E_clISt17integral_constantIbLb0EESU_EEDaSP_SQ_EUlSP_E0_NS1_11comp_targetILNS1_3genE8ELNS1_11target_archE1030ELNS1_3gpuE2ELNS1_3repE0EEENS1_30default_config_static_selectorELNS0_4arch9wavefront6targetE1EEEvT1_ ; -- Begin function _ZN7rocprim17ROCPRIM_400000_NS6detail17trampoline_kernelINS0_14default_configENS1_20scan_config_selectorItEEZZNS1_9scan_implILNS1_25lookback_scan_determinismE0ELb1ELb1ES3_N6thrust23THRUST_200600_302600_NS6detail15normal_iteratorINS9_10device_ptrItEEEESE_tNS9_4plusIvEEtEEDaPvRmT3_T4_T5_mT6_P12ihipStream_tbENKUlT_T0_E_clISt17integral_constantIbLb0EESU_EEDaSP_SQ_EUlSP_E0_NS1_11comp_targetILNS1_3genE8ELNS1_11target_archE1030ELNS1_3gpuE2ELNS1_3repE0EEENS1_30default_config_static_selectorELNS0_4arch9wavefront6targetE1EEEvT1_
	.globl	_ZN7rocprim17ROCPRIM_400000_NS6detail17trampoline_kernelINS0_14default_configENS1_20scan_config_selectorItEEZZNS1_9scan_implILNS1_25lookback_scan_determinismE0ELb1ELb1ES3_N6thrust23THRUST_200600_302600_NS6detail15normal_iteratorINS9_10device_ptrItEEEESE_tNS9_4plusIvEEtEEDaPvRmT3_T4_T5_mT6_P12ihipStream_tbENKUlT_T0_E_clISt17integral_constantIbLb0EESU_EEDaSP_SQ_EUlSP_E0_NS1_11comp_targetILNS1_3genE8ELNS1_11target_archE1030ELNS1_3gpuE2ELNS1_3repE0EEENS1_30default_config_static_selectorELNS0_4arch9wavefront6targetE1EEEvT1_
	.p2align	8
	.type	_ZN7rocprim17ROCPRIM_400000_NS6detail17trampoline_kernelINS0_14default_configENS1_20scan_config_selectorItEEZZNS1_9scan_implILNS1_25lookback_scan_determinismE0ELb1ELb1ES3_N6thrust23THRUST_200600_302600_NS6detail15normal_iteratorINS9_10device_ptrItEEEESE_tNS9_4plusIvEEtEEDaPvRmT3_T4_T5_mT6_P12ihipStream_tbENKUlT_T0_E_clISt17integral_constantIbLb0EESU_EEDaSP_SQ_EUlSP_E0_NS1_11comp_targetILNS1_3genE8ELNS1_11target_archE1030ELNS1_3gpuE2ELNS1_3repE0EEENS1_30default_config_static_selectorELNS0_4arch9wavefront6targetE1EEEvT1_,@function
_ZN7rocprim17ROCPRIM_400000_NS6detail17trampoline_kernelINS0_14default_configENS1_20scan_config_selectorItEEZZNS1_9scan_implILNS1_25lookback_scan_determinismE0ELb1ELb1ES3_N6thrust23THRUST_200600_302600_NS6detail15normal_iteratorINS9_10device_ptrItEEEESE_tNS9_4plusIvEEtEEDaPvRmT3_T4_T5_mT6_P12ihipStream_tbENKUlT_T0_E_clISt17integral_constantIbLb0EESU_EEDaSP_SQ_EUlSP_E0_NS1_11comp_targetILNS1_3genE8ELNS1_11target_archE1030ELNS1_3gpuE2ELNS1_3repE0EEENS1_30default_config_static_selectorELNS0_4arch9wavefront6targetE1EEEvT1_: ; @_ZN7rocprim17ROCPRIM_400000_NS6detail17trampoline_kernelINS0_14default_configENS1_20scan_config_selectorItEEZZNS1_9scan_implILNS1_25lookback_scan_determinismE0ELb1ELb1ES3_N6thrust23THRUST_200600_302600_NS6detail15normal_iteratorINS9_10device_ptrItEEEESE_tNS9_4plusIvEEtEEDaPvRmT3_T4_T5_mT6_P12ihipStream_tbENKUlT_T0_E_clISt17integral_constantIbLb0EESU_EEDaSP_SQ_EUlSP_E0_NS1_11comp_targetILNS1_3genE8ELNS1_11target_archE1030ELNS1_3gpuE2ELNS1_3repE0EEENS1_30default_config_static_selectorELNS0_4arch9wavefront6targetE1EEEvT1_
; %bb.0:
	.section	.rodata,"a",@progbits
	.p2align	6, 0x0
	.amdhsa_kernel _ZN7rocprim17ROCPRIM_400000_NS6detail17trampoline_kernelINS0_14default_configENS1_20scan_config_selectorItEEZZNS1_9scan_implILNS1_25lookback_scan_determinismE0ELb1ELb1ES3_N6thrust23THRUST_200600_302600_NS6detail15normal_iteratorINS9_10device_ptrItEEEESE_tNS9_4plusIvEEtEEDaPvRmT3_T4_T5_mT6_P12ihipStream_tbENKUlT_T0_E_clISt17integral_constantIbLb0EESU_EEDaSP_SQ_EUlSP_E0_NS1_11comp_targetILNS1_3genE8ELNS1_11target_archE1030ELNS1_3gpuE2ELNS1_3repE0EEENS1_30default_config_static_selectorELNS0_4arch9wavefront6targetE1EEEvT1_
		.amdhsa_group_segment_fixed_size 0
		.amdhsa_private_segment_fixed_size 0
		.amdhsa_kernarg_size 32
		.amdhsa_user_sgpr_count 6
		.amdhsa_user_sgpr_private_segment_buffer 1
		.amdhsa_user_sgpr_dispatch_ptr 0
		.amdhsa_user_sgpr_queue_ptr 0
		.amdhsa_user_sgpr_kernarg_segment_ptr 1
		.amdhsa_user_sgpr_dispatch_id 0
		.amdhsa_user_sgpr_flat_scratch_init 0
		.amdhsa_user_sgpr_kernarg_preload_length 0
		.amdhsa_user_sgpr_kernarg_preload_offset 0
		.amdhsa_user_sgpr_private_segment_size 0
		.amdhsa_uses_dynamic_stack 0
		.amdhsa_system_sgpr_private_segment_wavefront_offset 0
		.amdhsa_system_sgpr_workgroup_id_x 1
		.amdhsa_system_sgpr_workgroup_id_y 0
		.amdhsa_system_sgpr_workgroup_id_z 0
		.amdhsa_system_sgpr_workgroup_info 0
		.amdhsa_system_vgpr_workitem_id 0
		.amdhsa_next_free_vgpr 1
		.amdhsa_next_free_sgpr 0
		.amdhsa_accum_offset 4
		.amdhsa_reserve_vcc 0
		.amdhsa_reserve_flat_scratch 0
		.amdhsa_float_round_mode_32 0
		.amdhsa_float_round_mode_16_64 0
		.amdhsa_float_denorm_mode_32 3
		.amdhsa_float_denorm_mode_16_64 3
		.amdhsa_dx10_clamp 1
		.amdhsa_ieee_mode 1
		.amdhsa_fp16_overflow 0
		.amdhsa_tg_split 0
		.amdhsa_exception_fp_ieee_invalid_op 0
		.amdhsa_exception_fp_denorm_src 0
		.amdhsa_exception_fp_ieee_div_zero 0
		.amdhsa_exception_fp_ieee_overflow 0
		.amdhsa_exception_fp_ieee_underflow 0
		.amdhsa_exception_fp_ieee_inexact 0
		.amdhsa_exception_int_div_zero 0
	.end_amdhsa_kernel
	.section	.text._ZN7rocprim17ROCPRIM_400000_NS6detail17trampoline_kernelINS0_14default_configENS1_20scan_config_selectorItEEZZNS1_9scan_implILNS1_25lookback_scan_determinismE0ELb1ELb1ES3_N6thrust23THRUST_200600_302600_NS6detail15normal_iteratorINS9_10device_ptrItEEEESE_tNS9_4plusIvEEtEEDaPvRmT3_T4_T5_mT6_P12ihipStream_tbENKUlT_T0_E_clISt17integral_constantIbLb0EESU_EEDaSP_SQ_EUlSP_E0_NS1_11comp_targetILNS1_3genE8ELNS1_11target_archE1030ELNS1_3gpuE2ELNS1_3repE0EEENS1_30default_config_static_selectorELNS0_4arch9wavefront6targetE1EEEvT1_,"axG",@progbits,_ZN7rocprim17ROCPRIM_400000_NS6detail17trampoline_kernelINS0_14default_configENS1_20scan_config_selectorItEEZZNS1_9scan_implILNS1_25lookback_scan_determinismE0ELb1ELb1ES3_N6thrust23THRUST_200600_302600_NS6detail15normal_iteratorINS9_10device_ptrItEEEESE_tNS9_4plusIvEEtEEDaPvRmT3_T4_T5_mT6_P12ihipStream_tbENKUlT_T0_E_clISt17integral_constantIbLb0EESU_EEDaSP_SQ_EUlSP_E0_NS1_11comp_targetILNS1_3genE8ELNS1_11target_archE1030ELNS1_3gpuE2ELNS1_3repE0EEENS1_30default_config_static_selectorELNS0_4arch9wavefront6targetE1EEEvT1_,comdat
.Lfunc_end4807:
	.size	_ZN7rocprim17ROCPRIM_400000_NS6detail17trampoline_kernelINS0_14default_configENS1_20scan_config_selectorItEEZZNS1_9scan_implILNS1_25lookback_scan_determinismE0ELb1ELb1ES3_N6thrust23THRUST_200600_302600_NS6detail15normal_iteratorINS9_10device_ptrItEEEESE_tNS9_4plusIvEEtEEDaPvRmT3_T4_T5_mT6_P12ihipStream_tbENKUlT_T0_E_clISt17integral_constantIbLb0EESU_EEDaSP_SQ_EUlSP_E0_NS1_11comp_targetILNS1_3genE8ELNS1_11target_archE1030ELNS1_3gpuE2ELNS1_3repE0EEENS1_30default_config_static_selectorELNS0_4arch9wavefront6targetE1EEEvT1_, .Lfunc_end4807-_ZN7rocprim17ROCPRIM_400000_NS6detail17trampoline_kernelINS0_14default_configENS1_20scan_config_selectorItEEZZNS1_9scan_implILNS1_25lookback_scan_determinismE0ELb1ELb1ES3_N6thrust23THRUST_200600_302600_NS6detail15normal_iteratorINS9_10device_ptrItEEEESE_tNS9_4plusIvEEtEEDaPvRmT3_T4_T5_mT6_P12ihipStream_tbENKUlT_T0_E_clISt17integral_constantIbLb0EESU_EEDaSP_SQ_EUlSP_E0_NS1_11comp_targetILNS1_3genE8ELNS1_11target_archE1030ELNS1_3gpuE2ELNS1_3repE0EEENS1_30default_config_static_selectorELNS0_4arch9wavefront6targetE1EEEvT1_
                                        ; -- End function
	.section	.AMDGPU.csdata,"",@progbits
; Kernel info:
; codeLenInByte = 0
; NumSgprs: 4
; NumVgprs: 0
; NumAgprs: 0
; TotalNumVgprs: 0
; ScratchSize: 0
; MemoryBound: 0
; FloatMode: 240
; IeeeMode: 1
; LDSByteSize: 0 bytes/workgroup (compile time only)
; SGPRBlocks: 0
; VGPRBlocks: 0
; NumSGPRsForWavesPerEU: 4
; NumVGPRsForWavesPerEU: 1
; AccumOffset: 4
; Occupancy: 8
; WaveLimiterHint : 0
; COMPUTE_PGM_RSRC2:SCRATCH_EN: 0
; COMPUTE_PGM_RSRC2:USER_SGPR: 6
; COMPUTE_PGM_RSRC2:TRAP_HANDLER: 0
; COMPUTE_PGM_RSRC2:TGID_X_EN: 1
; COMPUTE_PGM_RSRC2:TGID_Y_EN: 0
; COMPUTE_PGM_RSRC2:TGID_Z_EN: 0
; COMPUTE_PGM_RSRC2:TIDIG_COMP_CNT: 0
; COMPUTE_PGM_RSRC3_GFX90A:ACCUM_OFFSET: 0
; COMPUTE_PGM_RSRC3_GFX90A:TG_SPLIT: 0
	.section	.text._ZN7rocprim17ROCPRIM_400000_NS6detail17trampoline_kernelINS0_14default_configENS1_20scan_config_selectorItEEZZNS1_9scan_implILNS1_25lookback_scan_determinismE0ELb1ELb1ES3_N6thrust23THRUST_200600_302600_NS6detail15normal_iteratorINS9_10device_ptrItEEEESE_tNS9_4plusIvEEtEEDaPvRmT3_T4_T5_mT6_P12ihipStream_tbENKUlT_T0_E_clISt17integral_constantIbLb1EESU_EEDaSP_SQ_EUlSP_E_NS1_11comp_targetILNS1_3genE0ELNS1_11target_archE4294967295ELNS1_3gpuE0ELNS1_3repE0EEENS1_30default_config_static_selectorELNS0_4arch9wavefront6targetE1EEEvT1_,"axG",@progbits,_ZN7rocprim17ROCPRIM_400000_NS6detail17trampoline_kernelINS0_14default_configENS1_20scan_config_selectorItEEZZNS1_9scan_implILNS1_25lookback_scan_determinismE0ELb1ELb1ES3_N6thrust23THRUST_200600_302600_NS6detail15normal_iteratorINS9_10device_ptrItEEEESE_tNS9_4plusIvEEtEEDaPvRmT3_T4_T5_mT6_P12ihipStream_tbENKUlT_T0_E_clISt17integral_constantIbLb1EESU_EEDaSP_SQ_EUlSP_E_NS1_11comp_targetILNS1_3genE0ELNS1_11target_archE4294967295ELNS1_3gpuE0ELNS1_3repE0EEENS1_30default_config_static_selectorELNS0_4arch9wavefront6targetE1EEEvT1_,comdat
	.protected	_ZN7rocprim17ROCPRIM_400000_NS6detail17trampoline_kernelINS0_14default_configENS1_20scan_config_selectorItEEZZNS1_9scan_implILNS1_25lookback_scan_determinismE0ELb1ELb1ES3_N6thrust23THRUST_200600_302600_NS6detail15normal_iteratorINS9_10device_ptrItEEEESE_tNS9_4plusIvEEtEEDaPvRmT3_T4_T5_mT6_P12ihipStream_tbENKUlT_T0_E_clISt17integral_constantIbLb1EESU_EEDaSP_SQ_EUlSP_E_NS1_11comp_targetILNS1_3genE0ELNS1_11target_archE4294967295ELNS1_3gpuE0ELNS1_3repE0EEENS1_30default_config_static_selectorELNS0_4arch9wavefront6targetE1EEEvT1_ ; -- Begin function _ZN7rocprim17ROCPRIM_400000_NS6detail17trampoline_kernelINS0_14default_configENS1_20scan_config_selectorItEEZZNS1_9scan_implILNS1_25lookback_scan_determinismE0ELb1ELb1ES3_N6thrust23THRUST_200600_302600_NS6detail15normal_iteratorINS9_10device_ptrItEEEESE_tNS9_4plusIvEEtEEDaPvRmT3_T4_T5_mT6_P12ihipStream_tbENKUlT_T0_E_clISt17integral_constantIbLb1EESU_EEDaSP_SQ_EUlSP_E_NS1_11comp_targetILNS1_3genE0ELNS1_11target_archE4294967295ELNS1_3gpuE0ELNS1_3repE0EEENS1_30default_config_static_selectorELNS0_4arch9wavefront6targetE1EEEvT1_
	.globl	_ZN7rocprim17ROCPRIM_400000_NS6detail17trampoline_kernelINS0_14default_configENS1_20scan_config_selectorItEEZZNS1_9scan_implILNS1_25lookback_scan_determinismE0ELb1ELb1ES3_N6thrust23THRUST_200600_302600_NS6detail15normal_iteratorINS9_10device_ptrItEEEESE_tNS9_4plusIvEEtEEDaPvRmT3_T4_T5_mT6_P12ihipStream_tbENKUlT_T0_E_clISt17integral_constantIbLb1EESU_EEDaSP_SQ_EUlSP_E_NS1_11comp_targetILNS1_3genE0ELNS1_11target_archE4294967295ELNS1_3gpuE0ELNS1_3repE0EEENS1_30default_config_static_selectorELNS0_4arch9wavefront6targetE1EEEvT1_
	.p2align	8
	.type	_ZN7rocprim17ROCPRIM_400000_NS6detail17trampoline_kernelINS0_14default_configENS1_20scan_config_selectorItEEZZNS1_9scan_implILNS1_25lookback_scan_determinismE0ELb1ELb1ES3_N6thrust23THRUST_200600_302600_NS6detail15normal_iteratorINS9_10device_ptrItEEEESE_tNS9_4plusIvEEtEEDaPvRmT3_T4_T5_mT6_P12ihipStream_tbENKUlT_T0_E_clISt17integral_constantIbLb1EESU_EEDaSP_SQ_EUlSP_E_NS1_11comp_targetILNS1_3genE0ELNS1_11target_archE4294967295ELNS1_3gpuE0ELNS1_3repE0EEENS1_30default_config_static_selectorELNS0_4arch9wavefront6targetE1EEEvT1_,@function
_ZN7rocprim17ROCPRIM_400000_NS6detail17trampoline_kernelINS0_14default_configENS1_20scan_config_selectorItEEZZNS1_9scan_implILNS1_25lookback_scan_determinismE0ELb1ELb1ES3_N6thrust23THRUST_200600_302600_NS6detail15normal_iteratorINS9_10device_ptrItEEEESE_tNS9_4plusIvEEtEEDaPvRmT3_T4_T5_mT6_P12ihipStream_tbENKUlT_T0_E_clISt17integral_constantIbLb1EESU_EEDaSP_SQ_EUlSP_E_NS1_11comp_targetILNS1_3genE0ELNS1_11target_archE4294967295ELNS1_3gpuE0ELNS1_3repE0EEENS1_30default_config_static_selectorELNS0_4arch9wavefront6targetE1EEEvT1_: ; @_ZN7rocprim17ROCPRIM_400000_NS6detail17trampoline_kernelINS0_14default_configENS1_20scan_config_selectorItEEZZNS1_9scan_implILNS1_25lookback_scan_determinismE0ELb1ELb1ES3_N6thrust23THRUST_200600_302600_NS6detail15normal_iteratorINS9_10device_ptrItEEEESE_tNS9_4plusIvEEtEEDaPvRmT3_T4_T5_mT6_P12ihipStream_tbENKUlT_T0_E_clISt17integral_constantIbLb1EESU_EEDaSP_SQ_EUlSP_E_NS1_11comp_targetILNS1_3genE0ELNS1_11target_archE4294967295ELNS1_3gpuE0ELNS1_3repE0EEENS1_30default_config_static_selectorELNS0_4arch9wavefront6targetE1EEEvT1_
; %bb.0:
	.section	.rodata,"a",@progbits
	.p2align	6, 0x0
	.amdhsa_kernel _ZN7rocprim17ROCPRIM_400000_NS6detail17trampoline_kernelINS0_14default_configENS1_20scan_config_selectorItEEZZNS1_9scan_implILNS1_25lookback_scan_determinismE0ELb1ELb1ES3_N6thrust23THRUST_200600_302600_NS6detail15normal_iteratorINS9_10device_ptrItEEEESE_tNS9_4plusIvEEtEEDaPvRmT3_T4_T5_mT6_P12ihipStream_tbENKUlT_T0_E_clISt17integral_constantIbLb1EESU_EEDaSP_SQ_EUlSP_E_NS1_11comp_targetILNS1_3genE0ELNS1_11target_archE4294967295ELNS1_3gpuE0ELNS1_3repE0EEENS1_30default_config_static_selectorELNS0_4arch9wavefront6targetE1EEEvT1_
		.amdhsa_group_segment_fixed_size 0
		.amdhsa_private_segment_fixed_size 0
		.amdhsa_kernarg_size 96
		.amdhsa_user_sgpr_count 6
		.amdhsa_user_sgpr_private_segment_buffer 1
		.amdhsa_user_sgpr_dispatch_ptr 0
		.amdhsa_user_sgpr_queue_ptr 0
		.amdhsa_user_sgpr_kernarg_segment_ptr 1
		.amdhsa_user_sgpr_dispatch_id 0
		.amdhsa_user_sgpr_flat_scratch_init 0
		.amdhsa_user_sgpr_kernarg_preload_length 0
		.amdhsa_user_sgpr_kernarg_preload_offset 0
		.amdhsa_user_sgpr_private_segment_size 0
		.amdhsa_uses_dynamic_stack 0
		.amdhsa_system_sgpr_private_segment_wavefront_offset 0
		.amdhsa_system_sgpr_workgroup_id_x 1
		.amdhsa_system_sgpr_workgroup_id_y 0
		.amdhsa_system_sgpr_workgroup_id_z 0
		.amdhsa_system_sgpr_workgroup_info 0
		.amdhsa_system_vgpr_workitem_id 0
		.amdhsa_next_free_vgpr 1
		.amdhsa_next_free_sgpr 0
		.amdhsa_accum_offset 4
		.amdhsa_reserve_vcc 0
		.amdhsa_reserve_flat_scratch 0
		.amdhsa_float_round_mode_32 0
		.amdhsa_float_round_mode_16_64 0
		.amdhsa_float_denorm_mode_32 3
		.amdhsa_float_denorm_mode_16_64 3
		.amdhsa_dx10_clamp 1
		.amdhsa_ieee_mode 1
		.amdhsa_fp16_overflow 0
		.amdhsa_tg_split 0
		.amdhsa_exception_fp_ieee_invalid_op 0
		.amdhsa_exception_fp_denorm_src 0
		.amdhsa_exception_fp_ieee_div_zero 0
		.amdhsa_exception_fp_ieee_overflow 0
		.amdhsa_exception_fp_ieee_underflow 0
		.amdhsa_exception_fp_ieee_inexact 0
		.amdhsa_exception_int_div_zero 0
	.end_amdhsa_kernel
	.section	.text._ZN7rocprim17ROCPRIM_400000_NS6detail17trampoline_kernelINS0_14default_configENS1_20scan_config_selectorItEEZZNS1_9scan_implILNS1_25lookback_scan_determinismE0ELb1ELb1ES3_N6thrust23THRUST_200600_302600_NS6detail15normal_iteratorINS9_10device_ptrItEEEESE_tNS9_4plusIvEEtEEDaPvRmT3_T4_T5_mT6_P12ihipStream_tbENKUlT_T0_E_clISt17integral_constantIbLb1EESU_EEDaSP_SQ_EUlSP_E_NS1_11comp_targetILNS1_3genE0ELNS1_11target_archE4294967295ELNS1_3gpuE0ELNS1_3repE0EEENS1_30default_config_static_selectorELNS0_4arch9wavefront6targetE1EEEvT1_,"axG",@progbits,_ZN7rocprim17ROCPRIM_400000_NS6detail17trampoline_kernelINS0_14default_configENS1_20scan_config_selectorItEEZZNS1_9scan_implILNS1_25lookback_scan_determinismE0ELb1ELb1ES3_N6thrust23THRUST_200600_302600_NS6detail15normal_iteratorINS9_10device_ptrItEEEESE_tNS9_4plusIvEEtEEDaPvRmT3_T4_T5_mT6_P12ihipStream_tbENKUlT_T0_E_clISt17integral_constantIbLb1EESU_EEDaSP_SQ_EUlSP_E_NS1_11comp_targetILNS1_3genE0ELNS1_11target_archE4294967295ELNS1_3gpuE0ELNS1_3repE0EEENS1_30default_config_static_selectorELNS0_4arch9wavefront6targetE1EEEvT1_,comdat
.Lfunc_end4808:
	.size	_ZN7rocprim17ROCPRIM_400000_NS6detail17trampoline_kernelINS0_14default_configENS1_20scan_config_selectorItEEZZNS1_9scan_implILNS1_25lookback_scan_determinismE0ELb1ELb1ES3_N6thrust23THRUST_200600_302600_NS6detail15normal_iteratorINS9_10device_ptrItEEEESE_tNS9_4plusIvEEtEEDaPvRmT3_T4_T5_mT6_P12ihipStream_tbENKUlT_T0_E_clISt17integral_constantIbLb1EESU_EEDaSP_SQ_EUlSP_E_NS1_11comp_targetILNS1_3genE0ELNS1_11target_archE4294967295ELNS1_3gpuE0ELNS1_3repE0EEENS1_30default_config_static_selectorELNS0_4arch9wavefront6targetE1EEEvT1_, .Lfunc_end4808-_ZN7rocprim17ROCPRIM_400000_NS6detail17trampoline_kernelINS0_14default_configENS1_20scan_config_selectorItEEZZNS1_9scan_implILNS1_25lookback_scan_determinismE0ELb1ELb1ES3_N6thrust23THRUST_200600_302600_NS6detail15normal_iteratorINS9_10device_ptrItEEEESE_tNS9_4plusIvEEtEEDaPvRmT3_T4_T5_mT6_P12ihipStream_tbENKUlT_T0_E_clISt17integral_constantIbLb1EESU_EEDaSP_SQ_EUlSP_E_NS1_11comp_targetILNS1_3genE0ELNS1_11target_archE4294967295ELNS1_3gpuE0ELNS1_3repE0EEENS1_30default_config_static_selectorELNS0_4arch9wavefront6targetE1EEEvT1_
                                        ; -- End function
	.section	.AMDGPU.csdata,"",@progbits
; Kernel info:
; codeLenInByte = 0
; NumSgprs: 4
; NumVgprs: 0
; NumAgprs: 0
; TotalNumVgprs: 0
; ScratchSize: 0
; MemoryBound: 0
; FloatMode: 240
; IeeeMode: 1
; LDSByteSize: 0 bytes/workgroup (compile time only)
; SGPRBlocks: 0
; VGPRBlocks: 0
; NumSGPRsForWavesPerEU: 4
; NumVGPRsForWavesPerEU: 1
; AccumOffset: 4
; Occupancy: 8
; WaveLimiterHint : 0
; COMPUTE_PGM_RSRC2:SCRATCH_EN: 0
; COMPUTE_PGM_RSRC2:USER_SGPR: 6
; COMPUTE_PGM_RSRC2:TRAP_HANDLER: 0
; COMPUTE_PGM_RSRC2:TGID_X_EN: 1
; COMPUTE_PGM_RSRC2:TGID_Y_EN: 0
; COMPUTE_PGM_RSRC2:TGID_Z_EN: 0
; COMPUTE_PGM_RSRC2:TIDIG_COMP_CNT: 0
; COMPUTE_PGM_RSRC3_GFX90A:ACCUM_OFFSET: 0
; COMPUTE_PGM_RSRC3_GFX90A:TG_SPLIT: 0
	.section	.text._ZN7rocprim17ROCPRIM_400000_NS6detail17trampoline_kernelINS0_14default_configENS1_20scan_config_selectorItEEZZNS1_9scan_implILNS1_25lookback_scan_determinismE0ELb1ELb1ES3_N6thrust23THRUST_200600_302600_NS6detail15normal_iteratorINS9_10device_ptrItEEEESE_tNS9_4plusIvEEtEEDaPvRmT3_T4_T5_mT6_P12ihipStream_tbENKUlT_T0_E_clISt17integral_constantIbLb1EESU_EEDaSP_SQ_EUlSP_E_NS1_11comp_targetILNS1_3genE5ELNS1_11target_archE942ELNS1_3gpuE9ELNS1_3repE0EEENS1_30default_config_static_selectorELNS0_4arch9wavefront6targetE1EEEvT1_,"axG",@progbits,_ZN7rocprim17ROCPRIM_400000_NS6detail17trampoline_kernelINS0_14default_configENS1_20scan_config_selectorItEEZZNS1_9scan_implILNS1_25lookback_scan_determinismE0ELb1ELb1ES3_N6thrust23THRUST_200600_302600_NS6detail15normal_iteratorINS9_10device_ptrItEEEESE_tNS9_4plusIvEEtEEDaPvRmT3_T4_T5_mT6_P12ihipStream_tbENKUlT_T0_E_clISt17integral_constantIbLb1EESU_EEDaSP_SQ_EUlSP_E_NS1_11comp_targetILNS1_3genE5ELNS1_11target_archE942ELNS1_3gpuE9ELNS1_3repE0EEENS1_30default_config_static_selectorELNS0_4arch9wavefront6targetE1EEEvT1_,comdat
	.protected	_ZN7rocprim17ROCPRIM_400000_NS6detail17trampoline_kernelINS0_14default_configENS1_20scan_config_selectorItEEZZNS1_9scan_implILNS1_25lookback_scan_determinismE0ELb1ELb1ES3_N6thrust23THRUST_200600_302600_NS6detail15normal_iteratorINS9_10device_ptrItEEEESE_tNS9_4plusIvEEtEEDaPvRmT3_T4_T5_mT6_P12ihipStream_tbENKUlT_T0_E_clISt17integral_constantIbLb1EESU_EEDaSP_SQ_EUlSP_E_NS1_11comp_targetILNS1_3genE5ELNS1_11target_archE942ELNS1_3gpuE9ELNS1_3repE0EEENS1_30default_config_static_selectorELNS0_4arch9wavefront6targetE1EEEvT1_ ; -- Begin function _ZN7rocprim17ROCPRIM_400000_NS6detail17trampoline_kernelINS0_14default_configENS1_20scan_config_selectorItEEZZNS1_9scan_implILNS1_25lookback_scan_determinismE0ELb1ELb1ES3_N6thrust23THRUST_200600_302600_NS6detail15normal_iteratorINS9_10device_ptrItEEEESE_tNS9_4plusIvEEtEEDaPvRmT3_T4_T5_mT6_P12ihipStream_tbENKUlT_T0_E_clISt17integral_constantIbLb1EESU_EEDaSP_SQ_EUlSP_E_NS1_11comp_targetILNS1_3genE5ELNS1_11target_archE942ELNS1_3gpuE9ELNS1_3repE0EEENS1_30default_config_static_selectorELNS0_4arch9wavefront6targetE1EEEvT1_
	.globl	_ZN7rocprim17ROCPRIM_400000_NS6detail17trampoline_kernelINS0_14default_configENS1_20scan_config_selectorItEEZZNS1_9scan_implILNS1_25lookback_scan_determinismE0ELb1ELb1ES3_N6thrust23THRUST_200600_302600_NS6detail15normal_iteratorINS9_10device_ptrItEEEESE_tNS9_4plusIvEEtEEDaPvRmT3_T4_T5_mT6_P12ihipStream_tbENKUlT_T0_E_clISt17integral_constantIbLb1EESU_EEDaSP_SQ_EUlSP_E_NS1_11comp_targetILNS1_3genE5ELNS1_11target_archE942ELNS1_3gpuE9ELNS1_3repE0EEENS1_30default_config_static_selectorELNS0_4arch9wavefront6targetE1EEEvT1_
	.p2align	8
	.type	_ZN7rocprim17ROCPRIM_400000_NS6detail17trampoline_kernelINS0_14default_configENS1_20scan_config_selectorItEEZZNS1_9scan_implILNS1_25lookback_scan_determinismE0ELb1ELb1ES3_N6thrust23THRUST_200600_302600_NS6detail15normal_iteratorINS9_10device_ptrItEEEESE_tNS9_4plusIvEEtEEDaPvRmT3_T4_T5_mT6_P12ihipStream_tbENKUlT_T0_E_clISt17integral_constantIbLb1EESU_EEDaSP_SQ_EUlSP_E_NS1_11comp_targetILNS1_3genE5ELNS1_11target_archE942ELNS1_3gpuE9ELNS1_3repE0EEENS1_30default_config_static_selectorELNS0_4arch9wavefront6targetE1EEEvT1_,@function
_ZN7rocprim17ROCPRIM_400000_NS6detail17trampoline_kernelINS0_14default_configENS1_20scan_config_selectorItEEZZNS1_9scan_implILNS1_25lookback_scan_determinismE0ELb1ELb1ES3_N6thrust23THRUST_200600_302600_NS6detail15normal_iteratorINS9_10device_ptrItEEEESE_tNS9_4plusIvEEtEEDaPvRmT3_T4_T5_mT6_P12ihipStream_tbENKUlT_T0_E_clISt17integral_constantIbLb1EESU_EEDaSP_SQ_EUlSP_E_NS1_11comp_targetILNS1_3genE5ELNS1_11target_archE942ELNS1_3gpuE9ELNS1_3repE0EEENS1_30default_config_static_selectorELNS0_4arch9wavefront6targetE1EEEvT1_: ; @_ZN7rocprim17ROCPRIM_400000_NS6detail17trampoline_kernelINS0_14default_configENS1_20scan_config_selectorItEEZZNS1_9scan_implILNS1_25lookback_scan_determinismE0ELb1ELb1ES3_N6thrust23THRUST_200600_302600_NS6detail15normal_iteratorINS9_10device_ptrItEEEESE_tNS9_4plusIvEEtEEDaPvRmT3_T4_T5_mT6_P12ihipStream_tbENKUlT_T0_E_clISt17integral_constantIbLb1EESU_EEDaSP_SQ_EUlSP_E_NS1_11comp_targetILNS1_3genE5ELNS1_11target_archE942ELNS1_3gpuE9ELNS1_3repE0EEENS1_30default_config_static_selectorELNS0_4arch9wavefront6targetE1EEEvT1_
; %bb.0:
	.section	.rodata,"a",@progbits
	.p2align	6, 0x0
	.amdhsa_kernel _ZN7rocprim17ROCPRIM_400000_NS6detail17trampoline_kernelINS0_14default_configENS1_20scan_config_selectorItEEZZNS1_9scan_implILNS1_25lookback_scan_determinismE0ELb1ELb1ES3_N6thrust23THRUST_200600_302600_NS6detail15normal_iteratorINS9_10device_ptrItEEEESE_tNS9_4plusIvEEtEEDaPvRmT3_T4_T5_mT6_P12ihipStream_tbENKUlT_T0_E_clISt17integral_constantIbLb1EESU_EEDaSP_SQ_EUlSP_E_NS1_11comp_targetILNS1_3genE5ELNS1_11target_archE942ELNS1_3gpuE9ELNS1_3repE0EEENS1_30default_config_static_selectorELNS0_4arch9wavefront6targetE1EEEvT1_
		.amdhsa_group_segment_fixed_size 0
		.amdhsa_private_segment_fixed_size 0
		.amdhsa_kernarg_size 96
		.amdhsa_user_sgpr_count 6
		.amdhsa_user_sgpr_private_segment_buffer 1
		.amdhsa_user_sgpr_dispatch_ptr 0
		.amdhsa_user_sgpr_queue_ptr 0
		.amdhsa_user_sgpr_kernarg_segment_ptr 1
		.amdhsa_user_sgpr_dispatch_id 0
		.amdhsa_user_sgpr_flat_scratch_init 0
		.amdhsa_user_sgpr_kernarg_preload_length 0
		.amdhsa_user_sgpr_kernarg_preload_offset 0
		.amdhsa_user_sgpr_private_segment_size 0
		.amdhsa_uses_dynamic_stack 0
		.amdhsa_system_sgpr_private_segment_wavefront_offset 0
		.amdhsa_system_sgpr_workgroup_id_x 1
		.amdhsa_system_sgpr_workgroup_id_y 0
		.amdhsa_system_sgpr_workgroup_id_z 0
		.amdhsa_system_sgpr_workgroup_info 0
		.amdhsa_system_vgpr_workitem_id 0
		.amdhsa_next_free_vgpr 1
		.amdhsa_next_free_sgpr 0
		.amdhsa_accum_offset 4
		.amdhsa_reserve_vcc 0
		.amdhsa_reserve_flat_scratch 0
		.amdhsa_float_round_mode_32 0
		.amdhsa_float_round_mode_16_64 0
		.amdhsa_float_denorm_mode_32 3
		.amdhsa_float_denorm_mode_16_64 3
		.amdhsa_dx10_clamp 1
		.amdhsa_ieee_mode 1
		.amdhsa_fp16_overflow 0
		.amdhsa_tg_split 0
		.amdhsa_exception_fp_ieee_invalid_op 0
		.amdhsa_exception_fp_denorm_src 0
		.amdhsa_exception_fp_ieee_div_zero 0
		.amdhsa_exception_fp_ieee_overflow 0
		.amdhsa_exception_fp_ieee_underflow 0
		.amdhsa_exception_fp_ieee_inexact 0
		.amdhsa_exception_int_div_zero 0
	.end_amdhsa_kernel
	.section	.text._ZN7rocprim17ROCPRIM_400000_NS6detail17trampoline_kernelINS0_14default_configENS1_20scan_config_selectorItEEZZNS1_9scan_implILNS1_25lookback_scan_determinismE0ELb1ELb1ES3_N6thrust23THRUST_200600_302600_NS6detail15normal_iteratorINS9_10device_ptrItEEEESE_tNS9_4plusIvEEtEEDaPvRmT3_T4_T5_mT6_P12ihipStream_tbENKUlT_T0_E_clISt17integral_constantIbLb1EESU_EEDaSP_SQ_EUlSP_E_NS1_11comp_targetILNS1_3genE5ELNS1_11target_archE942ELNS1_3gpuE9ELNS1_3repE0EEENS1_30default_config_static_selectorELNS0_4arch9wavefront6targetE1EEEvT1_,"axG",@progbits,_ZN7rocprim17ROCPRIM_400000_NS6detail17trampoline_kernelINS0_14default_configENS1_20scan_config_selectorItEEZZNS1_9scan_implILNS1_25lookback_scan_determinismE0ELb1ELb1ES3_N6thrust23THRUST_200600_302600_NS6detail15normal_iteratorINS9_10device_ptrItEEEESE_tNS9_4plusIvEEtEEDaPvRmT3_T4_T5_mT6_P12ihipStream_tbENKUlT_T0_E_clISt17integral_constantIbLb1EESU_EEDaSP_SQ_EUlSP_E_NS1_11comp_targetILNS1_3genE5ELNS1_11target_archE942ELNS1_3gpuE9ELNS1_3repE0EEENS1_30default_config_static_selectorELNS0_4arch9wavefront6targetE1EEEvT1_,comdat
.Lfunc_end4809:
	.size	_ZN7rocprim17ROCPRIM_400000_NS6detail17trampoline_kernelINS0_14default_configENS1_20scan_config_selectorItEEZZNS1_9scan_implILNS1_25lookback_scan_determinismE0ELb1ELb1ES3_N6thrust23THRUST_200600_302600_NS6detail15normal_iteratorINS9_10device_ptrItEEEESE_tNS9_4plusIvEEtEEDaPvRmT3_T4_T5_mT6_P12ihipStream_tbENKUlT_T0_E_clISt17integral_constantIbLb1EESU_EEDaSP_SQ_EUlSP_E_NS1_11comp_targetILNS1_3genE5ELNS1_11target_archE942ELNS1_3gpuE9ELNS1_3repE0EEENS1_30default_config_static_selectorELNS0_4arch9wavefront6targetE1EEEvT1_, .Lfunc_end4809-_ZN7rocprim17ROCPRIM_400000_NS6detail17trampoline_kernelINS0_14default_configENS1_20scan_config_selectorItEEZZNS1_9scan_implILNS1_25lookback_scan_determinismE0ELb1ELb1ES3_N6thrust23THRUST_200600_302600_NS6detail15normal_iteratorINS9_10device_ptrItEEEESE_tNS9_4plusIvEEtEEDaPvRmT3_T4_T5_mT6_P12ihipStream_tbENKUlT_T0_E_clISt17integral_constantIbLb1EESU_EEDaSP_SQ_EUlSP_E_NS1_11comp_targetILNS1_3genE5ELNS1_11target_archE942ELNS1_3gpuE9ELNS1_3repE0EEENS1_30default_config_static_selectorELNS0_4arch9wavefront6targetE1EEEvT1_
                                        ; -- End function
	.section	.AMDGPU.csdata,"",@progbits
; Kernel info:
; codeLenInByte = 0
; NumSgprs: 4
; NumVgprs: 0
; NumAgprs: 0
; TotalNumVgprs: 0
; ScratchSize: 0
; MemoryBound: 0
; FloatMode: 240
; IeeeMode: 1
; LDSByteSize: 0 bytes/workgroup (compile time only)
; SGPRBlocks: 0
; VGPRBlocks: 0
; NumSGPRsForWavesPerEU: 4
; NumVGPRsForWavesPerEU: 1
; AccumOffset: 4
; Occupancy: 8
; WaveLimiterHint : 0
; COMPUTE_PGM_RSRC2:SCRATCH_EN: 0
; COMPUTE_PGM_RSRC2:USER_SGPR: 6
; COMPUTE_PGM_RSRC2:TRAP_HANDLER: 0
; COMPUTE_PGM_RSRC2:TGID_X_EN: 1
; COMPUTE_PGM_RSRC2:TGID_Y_EN: 0
; COMPUTE_PGM_RSRC2:TGID_Z_EN: 0
; COMPUTE_PGM_RSRC2:TIDIG_COMP_CNT: 0
; COMPUTE_PGM_RSRC3_GFX90A:ACCUM_OFFSET: 0
; COMPUTE_PGM_RSRC3_GFX90A:TG_SPLIT: 0
	.section	.text._ZN7rocprim17ROCPRIM_400000_NS6detail17trampoline_kernelINS0_14default_configENS1_20scan_config_selectorItEEZZNS1_9scan_implILNS1_25lookback_scan_determinismE0ELb1ELb1ES3_N6thrust23THRUST_200600_302600_NS6detail15normal_iteratorINS9_10device_ptrItEEEESE_tNS9_4plusIvEEtEEDaPvRmT3_T4_T5_mT6_P12ihipStream_tbENKUlT_T0_E_clISt17integral_constantIbLb1EESU_EEDaSP_SQ_EUlSP_E_NS1_11comp_targetILNS1_3genE4ELNS1_11target_archE910ELNS1_3gpuE8ELNS1_3repE0EEENS1_30default_config_static_selectorELNS0_4arch9wavefront6targetE1EEEvT1_,"axG",@progbits,_ZN7rocprim17ROCPRIM_400000_NS6detail17trampoline_kernelINS0_14default_configENS1_20scan_config_selectorItEEZZNS1_9scan_implILNS1_25lookback_scan_determinismE0ELb1ELb1ES3_N6thrust23THRUST_200600_302600_NS6detail15normal_iteratorINS9_10device_ptrItEEEESE_tNS9_4plusIvEEtEEDaPvRmT3_T4_T5_mT6_P12ihipStream_tbENKUlT_T0_E_clISt17integral_constantIbLb1EESU_EEDaSP_SQ_EUlSP_E_NS1_11comp_targetILNS1_3genE4ELNS1_11target_archE910ELNS1_3gpuE8ELNS1_3repE0EEENS1_30default_config_static_selectorELNS0_4arch9wavefront6targetE1EEEvT1_,comdat
	.protected	_ZN7rocprim17ROCPRIM_400000_NS6detail17trampoline_kernelINS0_14default_configENS1_20scan_config_selectorItEEZZNS1_9scan_implILNS1_25lookback_scan_determinismE0ELb1ELb1ES3_N6thrust23THRUST_200600_302600_NS6detail15normal_iteratorINS9_10device_ptrItEEEESE_tNS9_4plusIvEEtEEDaPvRmT3_T4_T5_mT6_P12ihipStream_tbENKUlT_T0_E_clISt17integral_constantIbLb1EESU_EEDaSP_SQ_EUlSP_E_NS1_11comp_targetILNS1_3genE4ELNS1_11target_archE910ELNS1_3gpuE8ELNS1_3repE0EEENS1_30default_config_static_selectorELNS0_4arch9wavefront6targetE1EEEvT1_ ; -- Begin function _ZN7rocprim17ROCPRIM_400000_NS6detail17trampoline_kernelINS0_14default_configENS1_20scan_config_selectorItEEZZNS1_9scan_implILNS1_25lookback_scan_determinismE0ELb1ELb1ES3_N6thrust23THRUST_200600_302600_NS6detail15normal_iteratorINS9_10device_ptrItEEEESE_tNS9_4plusIvEEtEEDaPvRmT3_T4_T5_mT6_P12ihipStream_tbENKUlT_T0_E_clISt17integral_constantIbLb1EESU_EEDaSP_SQ_EUlSP_E_NS1_11comp_targetILNS1_3genE4ELNS1_11target_archE910ELNS1_3gpuE8ELNS1_3repE0EEENS1_30default_config_static_selectorELNS0_4arch9wavefront6targetE1EEEvT1_
	.globl	_ZN7rocprim17ROCPRIM_400000_NS6detail17trampoline_kernelINS0_14default_configENS1_20scan_config_selectorItEEZZNS1_9scan_implILNS1_25lookback_scan_determinismE0ELb1ELb1ES3_N6thrust23THRUST_200600_302600_NS6detail15normal_iteratorINS9_10device_ptrItEEEESE_tNS9_4plusIvEEtEEDaPvRmT3_T4_T5_mT6_P12ihipStream_tbENKUlT_T0_E_clISt17integral_constantIbLb1EESU_EEDaSP_SQ_EUlSP_E_NS1_11comp_targetILNS1_3genE4ELNS1_11target_archE910ELNS1_3gpuE8ELNS1_3repE0EEENS1_30default_config_static_selectorELNS0_4arch9wavefront6targetE1EEEvT1_
	.p2align	8
	.type	_ZN7rocprim17ROCPRIM_400000_NS6detail17trampoline_kernelINS0_14default_configENS1_20scan_config_selectorItEEZZNS1_9scan_implILNS1_25lookback_scan_determinismE0ELb1ELb1ES3_N6thrust23THRUST_200600_302600_NS6detail15normal_iteratorINS9_10device_ptrItEEEESE_tNS9_4plusIvEEtEEDaPvRmT3_T4_T5_mT6_P12ihipStream_tbENKUlT_T0_E_clISt17integral_constantIbLb1EESU_EEDaSP_SQ_EUlSP_E_NS1_11comp_targetILNS1_3genE4ELNS1_11target_archE910ELNS1_3gpuE8ELNS1_3repE0EEENS1_30default_config_static_selectorELNS0_4arch9wavefront6targetE1EEEvT1_,@function
_ZN7rocprim17ROCPRIM_400000_NS6detail17trampoline_kernelINS0_14default_configENS1_20scan_config_selectorItEEZZNS1_9scan_implILNS1_25lookback_scan_determinismE0ELb1ELb1ES3_N6thrust23THRUST_200600_302600_NS6detail15normal_iteratorINS9_10device_ptrItEEEESE_tNS9_4plusIvEEtEEDaPvRmT3_T4_T5_mT6_P12ihipStream_tbENKUlT_T0_E_clISt17integral_constantIbLb1EESU_EEDaSP_SQ_EUlSP_E_NS1_11comp_targetILNS1_3genE4ELNS1_11target_archE910ELNS1_3gpuE8ELNS1_3repE0EEENS1_30default_config_static_selectorELNS0_4arch9wavefront6targetE1EEEvT1_: ; @_ZN7rocprim17ROCPRIM_400000_NS6detail17trampoline_kernelINS0_14default_configENS1_20scan_config_selectorItEEZZNS1_9scan_implILNS1_25lookback_scan_determinismE0ELb1ELb1ES3_N6thrust23THRUST_200600_302600_NS6detail15normal_iteratorINS9_10device_ptrItEEEESE_tNS9_4plusIvEEtEEDaPvRmT3_T4_T5_mT6_P12ihipStream_tbENKUlT_T0_E_clISt17integral_constantIbLb1EESU_EEDaSP_SQ_EUlSP_E_NS1_11comp_targetILNS1_3genE4ELNS1_11target_archE910ELNS1_3gpuE8ELNS1_3repE0EEENS1_30default_config_static_selectorELNS0_4arch9wavefront6targetE1EEEvT1_
; %bb.0:
	s_load_dword s30, s[4:5], 0x20
	s_load_dwordx2 s[24:25], s[4:5], 0x28
	v_cmp_eq_u32_e64 s[0:1], 0, v0
	s_and_saveexec_b64 s[2:3], s[0:1]
	s_cbranch_execz .LBB4810_4
; %bb.1:
	s_mov_b64 s[8:9], exec
	v_mbcnt_lo_u32_b32 v1, s8, 0
	v_mbcnt_hi_u32_b32 v1, s9, v1
	v_cmp_eq_u32_e32 vcc, 0, v1
                                        ; implicit-def: $vgpr2
	s_and_saveexec_b64 s[6:7], vcc
	s_cbranch_execz .LBB4810_3
; %bb.2:
	s_load_dwordx2 s[10:11], s[4:5], 0x58
	s_bcnt1_i32_b64 s8, s[8:9]
	v_mov_b32_e32 v2, 0
	v_mov_b32_e32 v3, s8
	s_waitcnt lgkmcnt(0)
	global_atomic_add v2, v2, v3, s[10:11] glc
.LBB4810_3:
	s_or_b64 exec, exec, s[6:7]
	s_waitcnt vmcnt(0)
	v_readfirstlane_b32 s6, v2
	v_add_u32_e32 v1, s6, v1
	v_mov_b32_e32 v2, 0
	ds_write_b32 v2, v1
.LBB4810_4:
	s_or_b64 exec, exec, s[2:3]
	s_load_dwordx8 s[16:23], s[4:5], 0x0
	s_load_dword s2, s[4:5], 0x30
	s_load_dwordx8 s[8:15], s[4:5], 0x38
	v_mov_b32_e32 v1, 0
	s_waitcnt lgkmcnt(0)
	; wave barrier
	s_waitcnt lgkmcnt(0)
	ds_read_b32 v1, v1
	s_lshl_b64 s[26:27], s[18:19], 1
	s_add_u32 s31, s16, s26
	s_addc_u32 s33, s17, s27
	s_add_i32 s2, s2, -1
	s_mul_i32 s3, s2, 0x600
	s_sub_u32 s28, s22, s3
	s_waitcnt lgkmcnt(0)
	v_readfirstlane_b32 s34, v1
	s_subb_u32 s29, s23, 0
	s_mul_i32 s4, s34, 0x600
	s_mov_b32 s5, 0
	s_cmp_lg_u32 s34, s2
	s_cselect_b64 s[16:17], -1, 0
	s_lshl_b64 s[18:19], s[4:5], 1
	s_add_u32 s4, s31, s18
	s_addc_u32 s5, s33, s19
	s_mov_b64 s[2:3], -1
	s_and_b64 vcc, exec, s[16:17]
	v_lshlrev_b32_e32 v20, 1, v0
	s_waitcnt lgkmcnt(0)
	; wave barrier
	s_cbranch_vccz .LBB4810_6
; %bb.5:
	v_mov_b32_e32 v1, s5
	v_add_co_u32_e32 v2, vcc, s4, v20
	v_addc_co_u32_e32 v3, vcc, 0, v1, vcc
	flat_load_ushort v1, v[2:3]
	flat_load_ushort v4, v[2:3] offset:128
	flat_load_ushort v5, v[2:3] offset:256
	;; [unrolled: 1-line block ×23, first 2 shown]
	s_mov_b64 s[2:3], 0
	s_waitcnt vmcnt(0) lgkmcnt(0)
	ds_write_b16 v20, v1
	ds_write_b16 v20, v4 offset:128
	ds_write_b16 v20, v5 offset:256
	;; [unrolled: 1-line block ×23, first 2 shown]
	s_waitcnt lgkmcnt(0)
	; wave barrier
.LBB4810_6:
	s_andn2_b64 vcc, exec, s[2:3]
	v_cmp_gt_u32_e64 s[2:3], s28, v0
	s_cbranch_vccnz .LBB4810_56
; %bb.7:
	v_pk_mov_b32 v[2:3], s[4:5], s[4:5] op_sel:[0,1]
	flat_load_ushort v1, v[2:3]
	s_waitcnt vmcnt(0) lgkmcnt(0)
	v_mov_b32_e32 v2, v1
	s_and_saveexec_b64 s[6:7], s[2:3]
	s_cbranch_execz .LBB4810_9
; %bb.8:
	v_mov_b32_e32 v3, s5
	v_add_co_u32_e32 v2, vcc, s4, v20
	v_addc_co_u32_e32 v3, vcc, 0, v3, vcc
	flat_load_ushort v2, v[2:3]
.LBB4810_9:
	s_or_b64 exec, exec, s[6:7]
	v_or_b32_e32 v3, 64, v0
	v_cmp_gt_u32_e32 vcc, s28, v3
	v_mov_b32_e32 v3, v1
	s_and_saveexec_b64 s[2:3], vcc
	s_cbranch_execz .LBB4810_11
; %bb.10:
	v_mov_b32_e32 v3, s5
	v_add_co_u32_e32 v4, vcc, s4, v20
	v_addc_co_u32_e32 v5, vcc, 0, v3, vcc
	flat_load_ushort v3, v[4:5] offset:128
.LBB4810_11:
	s_or_b64 exec, exec, s[2:3]
	v_or_b32_e32 v4, 0x80, v0
	v_cmp_gt_u32_e32 vcc, s28, v4
	v_mov_b32_e32 v4, v1
	s_and_saveexec_b64 s[2:3], vcc
	s_cbranch_execz .LBB4810_13
; %bb.12:
	v_mov_b32_e32 v5, s5
	v_add_co_u32_e32 v4, vcc, s4, v20
	v_addc_co_u32_e32 v5, vcc, 0, v5, vcc
	flat_load_ushort v4, v[4:5] offset:256
.LBB4810_13:
	;; [unrolled: 12-line block ×22, first 2 shown]
	s_or_b64 exec, exec, s[2:3]
	v_or_b32_e32 v26, 0x5c0, v0
	v_cmp_gt_u32_e32 vcc, s28, v26
	s_and_saveexec_b64 s[2:3], vcc
	s_cbranch_execz .LBB4810_55
; %bb.54:
	v_mov_b32_e32 v1, s5
	v_add_co_u32_e32 v26, vcc, s4, v20
	v_addc_co_u32_e32 v27, vcc, 0, v1, vcc
	flat_load_ushort v1, v[26:27] offset:2944
.LBB4810_55:
	s_or_b64 exec, exec, s[2:3]
	s_waitcnt vmcnt(0) lgkmcnt(0)
	ds_write_b16 v20, v2
	ds_write_b16 v20, v3 offset:128
	ds_write_b16 v20, v4 offset:256
	;; [unrolled: 1-line block ×23, first 2 shown]
	s_waitcnt lgkmcnt(0)
	; wave barrier
.LBB4810_56:
	v_mul_u32_u24_e32 v21, 24, v0
	v_lshlrev_b32_e32 v1, 1, v21
	s_waitcnt lgkmcnt(0)
	ds_read_b128 v[10:13], v1
	ds_read_b128 v[6:9], v1 offset:16
	ds_read_b128 v[2:5], v1 offset:32
	s_cmp_lg_u32 s34, 0
	v_mbcnt_lo_u32_b32 v22, -1, 0
	s_waitcnt lgkmcnt(2)
	v_add_u16_sdwa v14, v10, v10 dst_sel:DWORD dst_unused:UNUSED_PAD src0_sel:WORD_1 src1_sel:DWORD
	v_add_u16_e32 v23, v14, v11
	v_cmp_eq_u32_e32 vcc, 63, v0
	s_waitcnt lgkmcnt(0)
	; wave barrier
	s_waitcnt lgkmcnt(0)
	s_cbranch_scc0 .LBB4810_83
; %bb.57:
	v_add_u16_sdwa v14, v23, v11 dst_sel:DWORD dst_unused:UNUSED_PAD src0_sel:DWORD src1_sel:WORD_1
	v_add_u16_e32 v14, v14, v12
	v_add_u16_sdwa v14, v14, v12 dst_sel:DWORD dst_unused:UNUSED_PAD src0_sel:DWORD src1_sel:WORD_1
	v_add_u16_e32 v14, v14, v13
	;; [unrolled: 2-line block ×10, first 2 shown]
	v_mbcnt_hi_u32_b32 v15, -1, v22
	v_add_u16_sdwa v14, v14, v5 dst_sel:DWORD dst_unused:UNUSED_PAD src0_sel:DWORD src1_sel:WORD_1
	v_and_b32_e32 v16, 15, v15
	v_cmp_ne_u32_e64 s[2:3], 0, v16
	v_mov_b32_dpp v17, v14 row_shr:1 row_mask:0xf bank_mask:0xf
	v_cndmask_b32_e64 v17, 0, v17, s[2:3]
	v_add_u16_e32 v14, v17, v14
	v_cmp_lt_u32_e64 s[2:3], 1, v16
	s_nop 0
	v_mov_b32_dpp v17, v14 row_shr:2 row_mask:0xf bank_mask:0xf
	v_cndmask_b32_e64 v17, 0, v17, s[2:3]
	v_add_u16_e32 v14, v14, v17
	v_cmp_lt_u32_e64 s[2:3], 3, v16
	s_nop 0
	v_mov_b32_dpp v17, v14 row_shr:4 row_mask:0xf bank_mask:0xf
	v_cndmask_b32_e64 v17, 0, v17, s[2:3]
	v_add_u16_e32 v14, v14, v17
	v_cmp_lt_u32_e64 s[2:3], 7, v16
	s_nop 0
	v_mov_b32_dpp v17, v14 row_shr:8 row_mask:0xf bank_mask:0xf
	v_cndmask_b32_e64 v16, 0, v17, s[2:3]
	v_add_u16_e32 v14, v14, v16
	v_and_b32_e32 v17, 16, v15
	v_cmp_ne_u32_e64 s[2:3], 0, v17
	v_mov_b32_dpp v16, v14 row_bcast:15 row_mask:0xf bank_mask:0xf
	v_cndmask_b32_e64 v16, 0, v16, s[2:3]
	v_add_u16_e32 v14, v14, v16
	v_cmp_lt_u32_e64 s[2:3], 31, v15
	s_nop 0
	v_mov_b32_dpp v16, v14 row_bcast:31 row_mask:0xf bank_mask:0xf
	v_cndmask_b32_e64 v16, 0, v16, s[2:3]
	v_add_u16_e32 v14, v14, v16
	s_and_saveexec_b64 s[2:3], vcc
	s_cbranch_execz .LBB4810_59
; %bb.58:
	v_mov_b32_e32 v16, 0
	ds_write_b16 v16, v14
.LBB4810_59:
	s_or_b64 exec, exec, s[2:3]
	v_add_u32_e32 v16, -1, v15
	v_and_b32_e32 v17, 64, v15
	v_cmp_lt_i32_e32 vcc, v16, v17
	v_cndmask_b32_e32 v16, v16, v15, vcc
	v_lshlrev_b32_e32 v16, 2, v16
	ds_bpermute_b32 v24, v16, v14
	v_cmp_gt_u32_e32 vcc, 64, v0
	s_waitcnt lgkmcnt(0)
	; wave barrier
	s_waitcnt lgkmcnt(0)
	s_and_saveexec_b64 s[22:23], vcc
	s_cbranch_execz .LBB4810_82
; %bb.60:
	v_mov_b32_e32 v19, 0
	ds_read_u16 v25, v19
	s_mov_b32 s7, 0
	v_cmp_eq_u32_e64 s[2:3], 0, v15
	s_and_saveexec_b64 s[4:5], s[2:3]
	s_cbranch_execz .LBB4810_62
; %bb.61:
	s_add_i32 s6, s34, 64
	s_lshl_b64 s[6:7], s[6:7], 2
	s_add_u32 s6, s24, s6
	s_waitcnt lgkmcnt(0)
	v_or_b32_e32 v14, 0x10000, v25
	s_addc_u32 s7, s25, s7
	global_store_dword v19, v14, s[6:7]
.LBB4810_62:
	s_or_b64 exec, exec, s[4:5]
	v_xad_u32 v14, v15, -1, s34
	v_add_u32_e32 v18, 64, v14
	v_lshlrev_b64 v[16:17], 2, v[18:19]
	v_mov_b32_e32 v18, s25
	v_add_co_u32_e32 v16, vcc, s24, v16
	v_addc_co_u32_e32 v17, vcc, v18, v17, vcc
	global_load_dword v18, v[16:17], off glc
	s_waitcnt vmcnt(0)
	v_lshrrev_b32_e32 v29, 16, v18
	v_cmp_eq_u16_sdwa s[6:7], v29, v19 src0_sel:BYTE_0 src1_sel:DWORD
	s_and_saveexec_b64 s[4:5], s[6:7]
	s_cbranch_execz .LBB4810_68
; %bb.63:
	s_mov_b32 s35, 1
	s_mov_b64 s[6:7], 0
	v_mov_b32_e32 v19, 0
.LBB4810_64:                            ; =>This Loop Header: Depth=1
                                        ;     Child Loop BB4810_65 Depth 2
	s_max_u32 s36, s35, 1
.LBB4810_65:                            ;   Parent Loop BB4810_64 Depth=1
                                        ; =>  This Inner Loop Header: Depth=2
	s_add_i32 s36, s36, -1
	s_cmp_eq_u32 s36, 0
	s_sleep 1
	s_cbranch_scc0 .LBB4810_65
; %bb.66:                               ;   in Loop: Header=BB4810_64 Depth=1
	global_load_dword v18, v[16:17], off glc
	s_cmp_lt_u32 s35, 32
	s_cselect_b64 s[36:37], -1, 0
	s_cmp_lg_u64 s[36:37], 0
	s_addc_u32 s35, s35, 0
	s_waitcnt vmcnt(0)
	v_lshrrev_b32_e32 v29, 16, v18
	v_cmp_ne_u16_sdwa s[36:37], v29, v19 src0_sel:BYTE_0 src1_sel:DWORD
	s_or_b64 s[6:7], s[36:37], s[6:7]
	s_andn2_b64 exec, exec, s[6:7]
	s_cbranch_execnz .LBB4810_64
; %bb.67:
	s_or_b64 exec, exec, s[6:7]
.LBB4810_68:
	s_or_b64 exec, exec, s[4:5]
	v_and_b32_e32 v27, 63, v15
	v_cmp_ne_u32_e32 vcc, 63, v27
	v_mov_b32_e32 v26, 2
	v_addc_co_u32_e32 v28, vcc, 0, v15, vcc
	v_cmp_eq_u16_sdwa s[4:5], v29, v26 src0_sel:BYTE_0 src1_sel:DWORD
	v_lshlrev_b64 v[16:17], v15, -1
	v_and_b32_e32 v31, 0xffff, v18
	v_lshlrev_b32_e32 v28, 2, v28
	v_and_b32_e32 v19, s5, v17
	ds_bpermute_b32 v32, v28, v31
	v_or_b32_e32 v19, 0x80000000, v19
	v_and_b32_e32 v30, s4, v16
	v_ffbl_b32_e32 v19, v19
	v_add_u32_e32 v19, 32, v19
	v_ffbl_b32_e32 v30, v30
	v_cmp_gt_u32_e64 s[4:5], 62, v27
	v_min_u32_e32 v19, v30, v19
	v_cndmask_b32_e64 v30, 0, 1, s[4:5]
	s_waitcnt lgkmcnt(0)
	v_add_u16_e32 v32, v32, v18
	v_cmp_lt_u32_e32 vcc, v27, v19
	v_lshlrev_b32_e32 v30, 1, v30
	v_cndmask_b32_e32 v33, v31, v32, vcc
	v_add_lshl_u32 v30, v30, v15, 2
	ds_bpermute_b32 v34, v30, v33
	v_cmp_gt_u32_e64 s[6:7], 60, v27
	v_cndmask_b32_e32 v35, v18, v32, vcc
	v_add_u32_e32 v31, 2, v27
	v_cndmask_b32_e64 v32, 0, 1, s[6:7]
	s_waitcnt lgkmcnt(0)
	v_add_u16_e32 v34, v35, v34
	v_cmp_gt_u32_e64 s[4:5], v31, v19
	v_lshlrev_b32_e32 v32, 2, v32
	v_cndmask_b32_e64 v36, v34, v33, s[4:5]
	v_add_lshl_u32 v32, v32, v15, 2
	ds_bpermute_b32 v37, v32, v36
	v_cmp_gt_u32_e64 s[6:7], 56, v27
	v_cndmask_b32_e64 v35, v34, v35, s[4:5]
	v_add_u32_e32 v33, 4, v27
	v_cndmask_b32_e64 v34, 0, 1, s[6:7]
	s_waitcnt lgkmcnt(0)
	v_add_u16_e32 v37, v35, v37
	v_cmp_gt_u32_e64 s[4:5], v33, v19
	v_lshlrev_b32_e32 v34, 3, v34
	v_cndmask_b32_e64 v36, v37, v36, s[4:5]
	v_add_lshl_u32 v34, v34, v15, 2
	ds_bpermute_b32 v38, v34, v36
	v_cndmask_b32_e64 v37, v37, v35, s[4:5]
	v_add_u32_e32 v35, 8, v27
	v_cmp_gt_u32_e64 s[4:5], v35, v19
	v_cmp_gt_u32_e64 s[6:7], 48, v27
	s_waitcnt lgkmcnt(0)
	v_add_u16_e32 v38, v37, v38
	v_cndmask_b32_e64 v39, v38, v36, s[4:5]
	v_cndmask_b32_e64 v36, 0, 1, s[6:7]
	v_lshlrev_b32_e32 v36, 4, v36
	v_add_lshl_u32 v36, v36, v15, 2
	ds_bpermute_b32 v40, v36, v39
	v_cndmask_b32_e64 v38, v38, v37, s[4:5]
	v_add_u32_e32 v37, 16, v27
	v_cmp_gt_u32_e64 s[4:5], v37, v19
	v_cmp_gt_u32_e64 s[6:7], 32, v27
	s_waitcnt lgkmcnt(0)
	v_add_u16_e32 v41, v38, v40
	v_cndmask_b32_e64 v40, v41, v39, s[4:5]
	v_cndmask_b32_e64 v39, 0, 1, s[6:7]
	v_lshlrev_b32_e32 v39, 5, v39
	v_add_lshl_u32 v39, v39, v15, 2
	ds_bpermute_b32 v15, v39, v40
	v_add_u32_e32 v40, 32, v27
	v_cndmask_b32_e64 v38, v41, v38, s[4:5]
	v_cmp_le_u32_e64 s[4:5], v40, v19
	s_waitcnt lgkmcnt(0)
	v_cndmask_b32_e64 v15, 0, v15, s[4:5]
	v_add_u16_e32 v15, v38, v15
	v_cndmask_b32_e32 v18, v18, v15, vcc
	v_mov_b32_e32 v15, 0
	s_branch .LBB4810_70
.LBB4810_69:                            ;   in Loop: Header=BB4810_70 Depth=1
	s_or_b64 exec, exec, s[4:5]
	v_cmp_eq_u16_sdwa s[4:5], v29, v26 src0_sel:BYTE_0 src1_sel:DWORD
	v_and_b32_e32 v42, 0xffff, v41
	v_and_b32_e32 v18, s5, v17
	ds_bpermute_b32 v43, v28, v42
	v_or_b32_e32 v18, 0x80000000, v18
	v_and_b32_e32 v19, s4, v16
	v_ffbl_b32_e32 v18, v18
	v_add_u32_e32 v18, 32, v18
	v_ffbl_b32_e32 v19, v19
	v_min_u32_e32 v18, v19, v18
	s_waitcnt lgkmcnt(0)
	v_add_u16_e32 v19, v43, v41
	v_cmp_lt_u32_e32 vcc, v27, v18
	v_cndmask_b32_e32 v42, v42, v19, vcc
	ds_bpermute_b32 v43, v30, v42
	v_cndmask_b32_e32 v19, v41, v19, vcc
	v_cmp_gt_u32_e64 s[4:5], v31, v18
	v_subrev_u32_e32 v14, 64, v14
	s_waitcnt lgkmcnt(0)
	v_add_u16_e32 v43, v19, v43
	v_cndmask_b32_e64 v42, v43, v42, s[4:5]
	ds_bpermute_b32 v44, v32, v42
	v_cndmask_b32_e64 v19, v43, v19, s[4:5]
	v_cmp_gt_u32_e64 s[4:5], v33, v18
	s_waitcnt lgkmcnt(0)
	v_add_u16_e32 v43, v19, v44
	v_cndmask_b32_e64 v42, v43, v42, s[4:5]
	ds_bpermute_b32 v44, v34, v42
	v_cndmask_b32_e64 v19, v43, v19, s[4:5]
	v_cmp_gt_u32_e64 s[4:5], v35, v18
	;; [unrolled: 6-line block ×3, first 2 shown]
	s_waitcnt lgkmcnt(0)
	v_add_u16_e32 v43, v19, v44
	v_cndmask_b32_e64 v42, v43, v42, s[4:5]
	ds_bpermute_b32 v42, v39, v42
	v_cndmask_b32_e64 v19, v43, v19, s[4:5]
	v_cmp_le_u32_e64 s[4:5], v40, v18
	s_waitcnt lgkmcnt(0)
	v_cndmask_b32_e64 v18, 0, v42, s[4:5]
	v_add_u16_e32 v18, v19, v18
	v_cndmask_b32_e32 v18, v41, v18, vcc
	v_add_u16_e32 v18, v18, v38
.LBB4810_70:                            ; =>This Loop Header: Depth=1
                                        ;     Child Loop BB4810_73 Depth 2
                                        ;       Child Loop BB4810_74 Depth 3
	v_cmp_ne_u16_sdwa s[4:5], v29, v26 src0_sel:BYTE_0 src1_sel:DWORD
	v_cndmask_b32_e64 v19, 0, 1, s[4:5]
	;;#ASMSTART
	;;#ASMEND
	v_cmp_ne_u32_e32 vcc, 0, v19
	s_cmp_lg_u64 vcc, exec
	v_mov_b32_e32 v38, v18
	s_cbranch_scc1 .LBB4810_77
; %bb.71:                               ;   in Loop: Header=BB4810_70 Depth=1
	v_lshlrev_b64 v[18:19], 2, v[14:15]
	v_mov_b32_e32 v29, s25
	v_add_co_u32_e32 v18, vcc, s24, v18
	v_addc_co_u32_e32 v19, vcc, v29, v19, vcc
	global_load_dword v41, v[18:19], off glc
	s_waitcnt vmcnt(0)
	v_lshrrev_b32_e32 v29, 16, v41
	v_cmp_eq_u16_sdwa s[6:7], v29, v15 src0_sel:BYTE_0 src1_sel:DWORD
	s_and_saveexec_b64 s[4:5], s[6:7]
	s_cbranch_execz .LBB4810_69
; %bb.72:                               ;   in Loop: Header=BB4810_70 Depth=1
	s_mov_b32 s35, 1
	s_mov_b64 s[6:7], 0
.LBB4810_73:                            ;   Parent Loop BB4810_70 Depth=1
                                        ; =>  This Loop Header: Depth=2
                                        ;       Child Loop BB4810_74 Depth 3
	s_max_u32 s36, s35, 1
.LBB4810_74:                            ;   Parent Loop BB4810_70 Depth=1
                                        ;     Parent Loop BB4810_73 Depth=2
                                        ; =>    This Inner Loop Header: Depth=3
	s_add_i32 s36, s36, -1
	s_cmp_eq_u32 s36, 0
	s_sleep 1
	s_cbranch_scc0 .LBB4810_74
; %bb.75:                               ;   in Loop: Header=BB4810_73 Depth=2
	global_load_dword v41, v[18:19], off glc
	s_cmp_lt_u32 s35, 32
	s_cselect_b64 s[36:37], -1, 0
	s_cmp_lg_u64 s[36:37], 0
	s_addc_u32 s35, s35, 0
	s_waitcnt vmcnt(0)
	v_lshrrev_b32_e32 v29, 16, v41
	v_cmp_ne_u16_sdwa s[36:37], v29, v15 src0_sel:BYTE_0 src1_sel:DWORD
	s_or_b64 s[6:7], s[36:37], s[6:7]
	s_andn2_b64 exec, exec, s[6:7]
	s_cbranch_execnz .LBB4810_73
; %bb.76:                               ;   in Loop: Header=BB4810_70 Depth=1
	s_or_b64 exec, exec, s[6:7]
	s_branch .LBB4810_69
.LBB4810_77:                            ;   in Loop: Header=BB4810_70 Depth=1
                                        ; implicit-def: $vgpr18
                                        ; implicit-def: $vgpr29
	s_cbranch_execz .LBB4810_70
; %bb.78:
	s_and_saveexec_b64 s[4:5], s[2:3]
	s_cbranch_execz .LBB4810_80
; %bb.79:
	s_add_i32 s2, s34, 64
	s_mov_b32 s3, 0
	s_lshl_b64 s[2:3], s[2:3], 2
	v_add_u16_e32 v14, v38, v25
	s_add_u32 s2, s24, s2
	v_or_b32_e32 v14, 0x20000, v14
	s_addc_u32 s3, s25, s3
	v_mov_b32_e32 v15, 0
	global_store_dword v15, v14, s[2:3]
.LBB4810_80:
	s_or_b64 exec, exec, s[4:5]
	s_and_b64 exec, exec, s[0:1]
	s_cbranch_execz .LBB4810_82
; %bb.81:
	v_mov_b32_e32 v14, 0
	ds_write_b16 v14, v38
.LBB4810_82:
	s_or_b64 exec, exec, s[22:23]
	v_mov_b32_e32 v14, 0
	s_waitcnt lgkmcnt(0)
	; wave barrier
	s_waitcnt lgkmcnt(0)
	ds_read_u16 v14, v14
	v_cndmask_b32_e64 v15, v24, 0, s[0:1]
	s_waitcnt lgkmcnt(0)
	v_add_u16_e32 v14, v14, v15
	s_branch .LBB4810_91
.LBB4810_83:
                                        ; implicit-def: $vgpr14
	s_cbranch_execz .LBB4810_91
; %bb.84:
	s_cmp_eq_u64 s[12:13], 0
	v_mov_b32_e32 v15, s30
	s_cbranch_scc1 .LBB4810_86
; %bb.85:
	v_mov_b32_e32 v15, s33
	v_add_co_u32_e64 v14, vcc, -2, s31
	v_addc_co_u32_e32 v15, vcc, -1, v15, vcc
	v_mov_b32_e32 v16, 0
	flat_load_ushort v17, v[14:15]
	global_load_ushort v18, v16, s[8:9]
	s_waitcnt vmcnt(0) lgkmcnt(0)
	v_add_u16_e32 v15, v18, v17
.LBB4810_86:
	v_add_u16_sdwa v14, v23, v11 dst_sel:DWORD dst_unused:UNUSED_PAD src0_sel:DWORD src1_sel:WORD_1
	v_add_u16_e32 v14, v14, v12
	v_add_u16_sdwa v14, v14, v12 dst_sel:DWORD dst_unused:UNUSED_PAD src0_sel:DWORD src1_sel:WORD_1
	v_add_u16_e32 v14, v14, v13
	;; [unrolled: 2-line block ×10, first 2 shown]
	v_add_u16_sdwa v16, v14, v5 dst_sel:DWORD dst_unused:UNUSED_PAD src0_sel:DWORD src1_sel:WORD_1
	v_mbcnt_hi_u32_b32 v14, -1, v22
	v_and_b32_e32 v17, 15, v14
	v_mov_b32_dpp v18, v16 row_shr:1 row_mask:0xf bank_mask:0xf
	v_cmp_ne_u32_e32 vcc, 0, v17
	v_cndmask_b32_e32 v18, 0, v18, vcc
	v_add_u16_e32 v16, v18, v16
	v_cmp_lt_u32_e32 vcc, 1, v17
	s_nop 0
	v_mov_b32_dpp v18, v16 row_shr:2 row_mask:0xf bank_mask:0xf
	v_cndmask_b32_e32 v18, 0, v18, vcc
	v_add_u16_e32 v16, v16, v18
	v_cmp_lt_u32_e32 vcc, 3, v17
	s_nop 0
	v_mov_b32_dpp v18, v16 row_shr:4 row_mask:0xf bank_mask:0xf
	;; [unrolled: 5-line block ×3, first 2 shown]
	v_cndmask_b32_e32 v17, 0, v18, vcc
	v_add_u16_e32 v16, v16, v17
	v_and_b32_e32 v18, 16, v14
	v_cmp_ne_u32_e32 vcc, 0, v18
	v_mov_b32_dpp v17, v16 row_bcast:15 row_mask:0xf bank_mask:0xf
	v_cndmask_b32_e32 v17, 0, v17, vcc
	v_add_u16_e32 v16, v16, v17
	v_cmp_lt_u32_e32 vcc, 31, v14
	s_nop 0
	v_mov_b32_dpp v17, v16 row_bcast:31 row_mask:0xf bank_mask:0xf
	v_cndmask_b32_e32 v17, 0, v17, vcc
	v_add_u16_e32 v16, v16, v17
	v_cmp_eq_u32_e32 vcc, 63, v0
	s_and_saveexec_b64 s[2:3], vcc
	s_cbranch_execz .LBB4810_88
; %bb.87:
	v_mov_b32_e32 v17, 0
	ds_write_b16 v17, v16
.LBB4810_88:
	s_or_b64 exec, exec, s[2:3]
	v_add_u32_e32 v17, -1, v14
	v_and_b32_e32 v18, 64, v14
	v_cmp_lt_i32_e32 vcc, v17, v18
	v_cndmask_b32_e32 v17, v17, v14, vcc
	v_add_u16_e32 v16, v16, v15
	v_lshlrev_b32_e32 v17, 2, v17
	ds_bpermute_b32 v16, v17, v16
	v_cmp_eq_u32_e32 vcc, 0, v14
	s_or_b64 vcc, s[0:1], vcc
	s_waitcnt lgkmcnt(0)
	; wave barrier
	s_waitcnt lgkmcnt(0)
	v_cndmask_b32_e32 v14, v16, v15, vcc
	s_and_saveexec_b64 s[2:3], s[0:1]
	s_cbranch_execz .LBB4810_90
; %bb.89:
	v_mov_b32_e32 v14, 0
	ds_read_u16 v16, v14
	s_waitcnt lgkmcnt(0)
	v_add_u16_e32 v16, v16, v15
	v_or_b32_e32 v16, 0x20000, v16
	global_store_dword v14, v16, s[24:25] offset:256
	v_mov_b32_e32 v14, v15
.LBB4810_90:
	s_or_b64 exec, exec, s[2:3]
.LBB4810_91:
	v_add_u16_e32 v15, v14, v10
	v_add_u16_sdwa v16, v15, v10 dst_sel:DWORD dst_unused:UNUSED_PAD src0_sel:DWORD src1_sel:WORD_1
	v_add_u16_e32 v17, v16, v11
	v_add_u16_sdwa v19, v17, v11 dst_sel:DWORD dst_unused:UNUSED_PAD src0_sel:DWORD src1_sel:WORD_1
	;; [unrolled: 2-line block ×9, first 2 shown]
	v_add_u16_e32 v8, v2, v3
	s_add_u32 s0, s20, s26
	v_add_u16_sdwa v3, v8, v3 dst_sel:DWORD dst_unused:UNUSED_PAD src0_sel:DWORD src1_sel:WORD_1
	s_addc_u32 s1, s21, s27
	v_add_u16_e32 v9, v3, v4
	v_add_u16_sdwa v4, v9, v4 dst_sel:DWORD dst_unused:UNUSED_PAD src0_sel:DWORD src1_sel:WORD_1
	s_add_u32 s2, s0, s18
	v_add_u16_e32 v5, v4, v5
	s_addc_u32 s3, s1, s19
	s_mov_b64 s[0:1], -1
	s_and_b64 vcc, exec, s[16:17]
	s_waitcnt lgkmcnt(0)
	; wave barrier
	s_cbranch_vccz .LBB4810_93
; %bb.92:
	s_mov_b32 s0, 0x5040100
	v_perm_b32 v31, v27, v25, s0
	v_perm_b32 v30, v23, v19, s0
	;; [unrolled: 1-line block ×4, first 2 shown]
	ds_write_b128 v1, v[28:31]
	v_perm_b32 v31, v26, v24, s0
	v_perm_b32 v30, v22, v18, s0
	;; [unrolled: 1-line block ×4, first 2 shown]
	ds_write_b128 v1, v[28:31] offset:16
	v_perm_b32 v31, v5, v4, s0
	v_perm_b32 v30, v9, v3, s0
	v_perm_b32 v29, v8, v2, s0
	v_perm_b32 v28, v7, v6, s0
	ds_write_b128 v1, v[28:31] offset:32
	s_waitcnt lgkmcnt(0)
	; wave barrier
	s_waitcnt lgkmcnt(0)
	ds_read_u16 v30, v20
	ds_read_u16 v31, v20 offset:128
	ds_read_u16 v32, v20 offset:256
	;; [unrolled: 1-line block ×23, first 2 shown]
	v_mov_b32_e32 v29, s3
	v_add_co_u32_e32 v28, vcc, s2, v20
	v_addc_co_u32_e32 v29, vcc, 0, v29, vcc
	s_waitcnt lgkmcnt(14)
	flat_store_short v[28:29], v30
	flat_store_short v[28:29], v31 offset:128
	flat_store_short v[28:29], v32 offset:256
	;; [unrolled: 1-line block ×9, first 2 shown]
	s_waitcnt lgkmcnt(0)
	flat_store_short v[28:29], v40 offset:1280
	flat_store_short v[28:29], v41 offset:1408
	;; [unrolled: 1-line block ×14, first 2 shown]
	s_mov_b64 s[0:1], 0
.LBB4810_93:
	s_andn2_b64 vcc, exec, s[0:1]
	s_cbranch_vccnz .LBB4810_150
; %bb.94:
	s_mov_b32 s0, 0x5040100
	v_perm_b32 v31, v27, v25, s0
	v_perm_b32 v30, v23, v19, s0
	;; [unrolled: 1-line block ×12, first 2 shown]
	ds_write_b128 v1, v[28:31]
	ds_write_b128 v1, v[12:15] offset:16
	ds_write_b128 v1, v[2:5] offset:32
	s_waitcnt lgkmcnt(0)
	; wave barrier
	s_waitcnt lgkmcnt(0)
	ds_read_u16 v5, v20
	ds_read_u16 v4, v20 offset:128
	ds_read_u16 v7, v20 offset:256
	;; [unrolled: 1-line block ×23, first 2 shown]
	v_mov_b32_e32 v3, s3
	v_add_co_u32_e32 v2, vcc, s2, v20
	v_addc_co_u32_e32 v3, vcc, 0, v3, vcc
	v_mov_b32_e32 v1, 0
	v_cmp_gt_u32_e32 vcc, s28, v0
	s_and_saveexec_b64 s[0:1], vcc
	s_cbranch_execz .LBB4810_96
; %bb.95:
	s_waitcnt lgkmcnt(0)
	flat_store_short v[2:3], v5
.LBB4810_96:
	s_or_b64 exec, exec, s[0:1]
	v_or_b32_e32 v20, 64, v0
	v_cmp_gt_u32_e32 vcc, s28, v20
	s_and_saveexec_b64 s[0:1], vcc
	s_cbranch_execz .LBB4810_98
; %bb.97:
	s_waitcnt lgkmcnt(0)
	flat_store_short v[2:3], v4 offset:128
.LBB4810_98:
	s_or_b64 exec, exec, s[0:1]
	v_or_b32_e32 v20, 0x80, v0
	v_cmp_gt_u32_e32 vcc, s28, v20
	s_and_saveexec_b64 s[0:1], vcc
	s_cbranch_execz .LBB4810_100
; %bb.99:
	s_waitcnt lgkmcnt(0)
	flat_store_short v[2:3], v7 offset:256
.LBB4810_100:
	;; [unrolled: 9-line block ×23, first 2 shown]
	s_or_b64 exec, exec, s[0:1]
	v_cmp_lt_u64_e64 s[0:1], s[14:15], 2
	s_and_b64 vcc, exec, s[0:1]
	s_cbranch_vccnz .LBB4810_150
; %bb.143:
	s_add_u32 s0, s28, -1
	s_addc_u32 s1, s29, -1
	s_add_u32 s2, 0, 0xaaaa0000
	s_addc_u32 s3, 0, 42
	s_add_i32 s3, s3, 0xaaaaa80
	s_mul_hi_u32 s7, s2, 0xffffffe8
	s_sub_i32 s7, s7, s2
	s_mul_i32 s8, s3, 0xffffffe8
	s_mul_i32 s4, s2, 0xffffffe8
	s_add_i32 s7, s7, s8
	s_mul_hi_u32 s5, s3, s4
	s_mul_i32 s6, s3, s4
	s_mul_i32 s9, s2, s7
	s_mul_hi_u32 s4, s2, s4
	s_mul_hi_u32 s8, s2, s7
	s_add_u32 s4, s4, s9
	s_addc_u32 s8, 0, s8
	s_add_u32 s4, s4, s6
	s_mul_hi_u32 s9, s3, s7
	s_addc_u32 s4, s8, s5
	s_addc_u32 s5, s9, 0
	s_mul_i32 s6, s3, s7
	s_add_u32 s4, s4, s6
	v_mov_b32_e32 v2, s4
	s_addc_u32 s5, 0, s5
	v_add_co_u32_e32 v2, vcc, s2, v2
	s_cmp_lg_u64 vcc, 0
	s_addc_u32 s2, s3, s5
	v_readfirstlane_b32 s5, v2
	s_mul_i32 s4, s0, s2
	s_mul_hi_u32 s6, s0, s5
	s_mul_hi_u32 s3, s0, s2
	s_add_u32 s4, s6, s4
	s_addc_u32 s3, 0, s3
	s_mul_hi_u32 s7, s1, s5
	s_mul_i32 s5, s1, s5
	s_add_u32 s4, s4, s5
	s_mul_hi_u32 s6, s1, s2
	s_addc_u32 s3, s3, s7
	s_addc_u32 s4, s6, 0
	s_mul_i32 s2, s1, s2
	s_add_u32 s2, s3, s2
	s_addc_u32 s3, 0, s4
	s_add_u32 s4, s2, 1
	s_addc_u32 s5, s3, 0
	s_add_u32 s6, s2, 2
	s_mul_i32 s8, s3, 24
	s_mul_hi_u32 s9, s2, 24
	s_addc_u32 s7, s3, 0
	s_add_i32 s9, s9, s8
	s_mul_i32 s8, s2, 24
	v_mov_b32_e32 v2, s8
	v_sub_co_u32_e32 v2, vcc, s0, v2
	s_cmp_lg_u64 vcc, 0
	s_subb_u32 s8, s1, s9
	v_subrev_co_u32_e32 v3, vcc, 24, v2
	s_cmp_lg_u64 vcc, 0
	s_subb_u32 s9, s8, 0
	v_readfirstlane_b32 s12, v3
	s_cmp_gt_u32 s12, 23
	s_cselect_b32 s12, -1, 0
	s_cmp_eq_u32 s9, 0
	s_cselect_b32 s9, s12, -1
	s_cmp_lg_u32 s9, 0
	s_cselect_b32 s4, s6, s4
	v_readfirstlane_b32 s6, v2
	s_cselect_b32 s5, s7, s5
	s_cmp_gt_u32 s6, 23
	s_cselect_b32 s6, -1, 0
	s_cmp_eq_u32 s8, 0
	s_cselect_b32 s6, s6, -1
	s_cmp_lg_u32 s6, 0
	s_cselect_b32 s3, s5, s3
	s_cselect_b32 s2, s4, s2
	v_cmp_eq_u64_e32 vcc, s[2:3], v[0:1]
	s_and_saveexec_b64 s[2:3], vcc
	s_cbranch_execz .LBB4810_150
; %bb.144:
	v_mul_hi_u32_u24_e32 v1, 24, v0
	v_mov_b32_e32 v2, s1
	v_sub_co_u32_e32 v0, vcc, s0, v21
	v_subb_co_u32_e32 v1, vcc, v2, v1, vcc
	v_cmp_lt_i64_e32 vcc, 11, v[0:1]
	s_mov_b64 s[0:1], 0
	s_mov_b64 s[8:9], 0
	;; [unrolled: 1-line block ×4, first 2 shown]
	s_and_saveexec_b64 s[2:3], vcc
	s_xor_b64 s[2:3], exec, s[2:3]
	s_cbranch_execnz .LBB4810_151
; %bb.145:
	s_andn2_saveexec_b64 s[2:3], s[2:3]
	s_cbranch_execnz .LBB4810_196
.LBB4810_146:
	s_or_b64 exec, exec, s[2:3]
	s_and_saveexec_b64 s[2:3], s[8:9]
	s_cbranch_execnz .LBB4810_213
.LBB4810_147:
	s_or_b64 exec, exec, s[2:3]
	s_and_saveexec_b64 s[2:3], s[6:7]
	s_cbranch_execnz .LBB4810_214
.LBB4810_148:
	s_or_b64 exec, exec, s[2:3]
	s_and_saveexec_b64 s[2:3], s[4:5]
	s_xor_b64 s[2:3], exec, s[2:3]
	s_cbranch_execnz .LBB4810_215
.LBB4810_149:
	s_or_b64 exec, exec, s[2:3]
	s_and_b64 exec, exec, s[0:1]
	s_cbranch_execnz .LBB4810_216
.LBB4810_150:
	s_endpgm
.LBB4810_151:
	v_cmp_lt_i64_e32 vcc, 17, v[0:1]
	s_and_saveexec_b64 s[12:13], vcc
	s_xor_b64 s[12:13], exec, s[12:13]
	s_cbranch_execz .LBB4810_173
; %bb.152:
	v_cmp_lt_i64_e32 vcc, 20, v[0:1]
                                        ; implicit-def: $vgpr10
	s_and_saveexec_b64 s[14:15], vcc
	s_xor_b64 s[14:15], exec, s[14:15]
	s_cbranch_execz .LBB4810_162
; %bb.153:
	v_cmp_lt_i64_e32 vcc, 21, v[0:1]
	s_mov_b64 s[16:17], 0
                                        ; implicit-def: $vgpr10
	s_and_saveexec_b64 s[4:5], vcc
	s_xor_b64 s[4:5], exec, s[4:5]
	s_cbranch_execz .LBB4810_159
; %bb.154:
	v_cmp_lt_i64_e32 vcc, 22, v[0:1]
	s_and_saveexec_b64 s[16:17], vcc
	s_xor_b64 s[16:17], exec, s[16:17]
	s_cbranch_execz .LBB4810_156
; %bb.155:
	v_mov_b32_e32 v2, 0
	s_waitcnt lgkmcnt(0)
	global_store_short v2, v29, s[10:11]
                                        ; implicit-def: $vgpr28
.LBB4810_156:
	s_or_saveexec_b64 s[16:17], s[16:17]
	s_mov_b64 s[18:19], 0
	s_xor_b64 exec, exec, s[16:17]
; %bb.157:
	s_mov_b64 s[18:19], exec
; %bb.158:
	s_or_b64 exec, exec, s[16:17]
	s_and_b64 s[16:17], s[18:19], exec
	s_waitcnt lgkmcnt(0)
	v_mov_b32_e32 v10, v28
                                        ; implicit-def: $vgpr11
.LBB4810_159:
	s_andn2_saveexec_b64 s[4:5], s[4:5]
; %bb.160:
	s_mov_b64 s[6:7], exec
                                        ; implicit-def: $vgpr10
; %bb.161:
	s_or_b64 exec, exec, s[4:5]
	s_and_b64 s[4:5], s[16:17], exec
	s_and_b64 s[6:7], s[6:7], exec
                                        ; implicit-def: $vgpr26
                                        ; implicit-def: $vgpr12
                                        ; implicit-def: $vgpr23
.LBB4810_162:
	s_andn2_saveexec_b64 s[14:15], s[14:15]
	s_cbranch_execz .LBB4810_172
; %bb.163:
	v_cmp_lt_i64_e32 vcc, 18, v[0:1]
	s_mov_b64 s[16:17], 0
	s_and_saveexec_b64 s[8:9], vcc
	s_xor_b64 s[8:9], exec, s[8:9]
	s_cbranch_execz .LBB4810_169
; %bb.164:
	v_cmp_lt_i64_e32 vcc, 19, v[0:1]
	s_and_saveexec_b64 s[18:19], vcc
	s_xor_b64 s[18:19], exec, s[18:19]
; %bb.165:
	s_mov_b64 s[16:17], exec
                                        ; implicit-def: $vgpr23
; %bb.166:
	s_andn2_saveexec_b64 s[18:19], s[18:19]
	s_cbranch_execz .LBB4810_168
; %bb.167:
	v_mov_b32_e32 v2, 0
	s_waitcnt lgkmcnt(0)
	global_store_short v2, v23, s[10:11]
                                        ; implicit-def: $vgpr12
.LBB4810_168:
	s_or_b64 exec, exec, s[18:19]
	s_and_b64 s[16:17], s[16:17], exec
                                        ; implicit-def: $vgpr26
.LBB4810_169:
	s_andn2_saveexec_b64 s[8:9], s[8:9]
	s_cbranch_execz .LBB4810_171
; %bb.170:
	v_mov_b32_e32 v2, 0
	s_waitcnt lgkmcnt(0)
	global_store_short v2, v26, s[10:11]
                                        ; implicit-def: $vgpr12
.LBB4810_171:
	s_or_b64 exec, exec, s[8:9]
	s_and_b64 s[8:9], s[16:17], exec
                                        ; implicit-def: $vgpr10
                                        ; implicit-def: $vgpr11
.LBB4810_172:
	s_or_b64 exec, exec, s[14:15]
	s_and_b64 s[4:5], s[4:5], exec
	s_and_b64 s[6:7], s[6:7], exec
	;; [unrolled: 1-line block ×3, first 2 shown]
                                        ; implicit-def: $vgpr18
                                        ; implicit-def: $vgpr13
                                        ; implicit-def: $vgpr14
                                        ; implicit-def: $vgpr24
                                        ; implicit-def: $vgpr27
.LBB4810_173:
	s_andn2_saveexec_b64 s[12:13], s[12:13]
	s_cbranch_execz .LBB4810_195
; %bb.174:
	v_cmp_lt_i64_e32 vcc, 14, v[0:1]
	s_mov_b64 s[14:15], s[4:5]
	s_and_saveexec_b64 s[16:17], vcc
	s_xor_b64 s[16:17], exec, s[16:17]
	s_cbranch_execz .LBB4810_184
; %bb.175:
	v_cmp_lt_i64_e32 vcc, 15, v[0:1]
	s_and_saveexec_b64 s[14:15], vcc
	s_xor_b64 s[14:15], exec, s[14:15]
	s_cbranch_execz .LBB4810_181
; %bb.176:
	v_cmp_lt_i64_e32 vcc, 16, v[0:1]
	s_and_saveexec_b64 s[18:19], vcc
	s_xor_b64 s[18:19], exec, s[18:19]
	s_cbranch_execz .LBB4810_178
; %bb.177:
	v_mov_b32_e32 v2, 0
	s_waitcnt lgkmcnt(0)
	global_store_short v2, v27, s[10:11]
                                        ; implicit-def: $vgpr24
.LBB4810_178:
	s_andn2_saveexec_b64 s[18:19], s[18:19]
	s_cbranch_execz .LBB4810_180
; %bb.179:
	v_mov_b32_e32 v2, 0
	s_waitcnt lgkmcnt(0)
	global_store_short v2, v24, s[10:11]
.LBB4810_180:
	s_or_b64 exec, exec, s[18:19]
                                        ; implicit-def: $vgpr10
.LBB4810_181:
	s_or_saveexec_b64 s[14:15], s[14:15]
	s_mov_b64 s[18:19], s[4:5]
	s_xor_b64 exec, exec, s[14:15]
; %bb.182:
	s_or_b64 s[18:19], s[4:5], exec
; %bb.183:
	s_or_b64 exec, exec, s[14:15]
	s_andn2_b64 s[14:15], s[4:5], exec
	s_and_b64 s[18:19], s[18:19], exec
	s_or_b64 s[14:15], s[14:15], s[18:19]
                                        ; implicit-def: $vgpr18
                                        ; implicit-def: $vgpr13
                                        ; implicit-def: $vgpr14
.LBB4810_184:
	s_or_saveexec_b64 s[16:17], s[16:17]
	s_mov_b64 s[18:19], s[6:7]
                                        ; implicit-def: $vgpr11
	s_xor_b64 exec, exec, s[16:17]
	s_cbranch_execz .LBB4810_194
; %bb.185:
	v_cmp_lt_i64_e32 vcc, 12, v[0:1]
	s_mov_b64 s[20:21], s[6:7]
	s_mov_b64 s[22:23], s[14:15]
                                        ; implicit-def: $vgpr10
                                        ; implicit-def: $vgpr11
	s_and_saveexec_b64 s[18:19], vcc
	s_xor_b64 s[18:19], exec, s[18:19]
	s_cbranch_execz .LBB4810_191
; %bb.186:
	v_cmp_lt_i64_e32 vcc, 13, v[0:1]
	s_mov_b64 s[20:21], s[14:15]
	s_and_saveexec_b64 s[22:23], vcc
	s_xor_b64 s[22:23], exec, s[22:23]
; %bb.187:
	s_or_b64 s[20:21], s[14:15], exec
                                        ; implicit-def: $vgpr13
; %bb.188:
	s_or_saveexec_b64 s[22:23], s[22:23]
	s_mov_b64 s[24:25], s[6:7]
	s_xor_b64 exec, exec, s[22:23]
; %bb.189:
	s_or_b64 s[24:25], s[6:7], exec
                                        ; implicit-def: $vgpr14
; %bb.190:
	s_or_b64 exec, exec, s[22:23]
	s_andn2_b64 s[22:23], s[14:15], exec
	s_and_b64 s[20:21], s[20:21], exec
	s_or_b64 s[22:23], s[22:23], s[20:21]
	s_andn2_b64 s[20:21], s[6:7], exec
	s_and_b64 s[24:25], s[24:25], exec
	s_or_b64 s[20:21], s[20:21], s[24:25]
	s_waitcnt lgkmcnt(0)
	v_mov_b32_e32 v10, v14
	v_mov_b32_e32 v11, v13
                                        ; implicit-def: $vgpr18
.LBB4810_191:
	s_andn2_saveexec_b64 s[18:19], s[18:19]
	s_cbranch_execz .LBB4810_193
; %bb.192:
	s_or_b64 s[20:21], s[20:21], exec
                                        ; implicit-def: $vgpr10
	s_waitcnt lgkmcnt(0)
	v_mov_b32_e32 v11, v18
.LBB4810_193:
	s_or_b64 exec, exec, s[18:19]
	s_andn2_b64 s[14:15], s[14:15], exec
	s_and_b64 s[18:19], s[22:23], exec
	s_or_b64 s[14:15], s[14:15], s[18:19]
	s_andn2_b64 s[18:19], s[6:7], exec
	s_and_b64 s[20:21], s[20:21], exec
	s_or_b64 s[18:19], s[18:19], s[20:21]
.LBB4810_194:
	s_or_b64 exec, exec, s[16:17]
	s_andn2_b64 s[4:5], s[4:5], exec
	s_and_b64 s[14:15], s[14:15], exec
	s_or_b64 s[4:5], s[4:5], s[14:15]
	s_andn2_b64 s[6:7], s[6:7], exec
	s_and_b64 s[14:15], s[18:19], exec
	s_or_b64 s[6:7], s[6:7], s[14:15]
                                        ; implicit-def: $vgpr12
.LBB4810_195:
	s_or_b64 exec, exec, s[12:13]
	s_and_b64 s[4:5], s[4:5], exec
	s_and_b64 s[6:7], s[6:7], exec
	;; [unrolled: 1-line block ×3, first 2 shown]
                                        ; implicit-def: $vgpr17
                                        ; implicit-def: $vgpr15
                                        ; implicit-def: $vgpr16
                                        ; implicit-def: $vgpr25
                                        ; implicit-def: $vgpr22
                                        ; implicit-def: $vgpr19
	s_andn2_saveexec_b64 s[2:3], s[2:3]
	s_cbranch_execz .LBB4810_146
.LBB4810_196:
	v_cmp_lt_i64_e32 vcc, 5, v[0:1]
	s_mov_b64 s[14:15], -1
	s_mov_b64 s[12:13], s[8:9]
	s_mov_b64 s[16:17], s[6:7]
	;; [unrolled: 1-line block ×3, first 2 shown]
                                        ; implicit-def: $vgpr10
                                        ; implicit-def: $vgpr11
                                        ; implicit-def: $vgpr12
	s_and_saveexec_b64 s[0:1], vcc
	s_cbranch_execz .LBB4810_212
; %bb.197:
	v_cmp_lt_i64_e32 vcc, 8, v[0:1]
	s_mov_b64 s[12:13], s[8:9]
                                        ; implicit-def: $vgpr12
	s_and_saveexec_b64 s[14:15], vcc
	s_xor_b64 s[14:15], exec, s[14:15]
	s_cbranch_execz .LBB4810_207
; %bb.198:
	v_cmp_lt_i64_e32 vcc, 9, v[0:1]
	s_and_saveexec_b64 s[12:13], vcc
	s_xor_b64 s[12:13], exec, s[12:13]
	s_cbranch_execz .LBB4810_204
; %bb.199:
	v_cmp_lt_i64_e32 vcc, 10, v[0:1]
	s_and_saveexec_b64 s[16:17], vcc
	s_xor_b64 s[16:17], exec, s[16:17]
; %bb.200:
                                        ; implicit-def: $vgpr22
; %bb.201:
	s_andn2_saveexec_b64 s[16:17], s[16:17]
	s_cbranch_execz .LBB4810_203
; %bb.202:
	s_waitcnt lgkmcnt(0)
	v_mov_b32_e32 v19, v22
.LBB4810_203:
	s_or_b64 exec, exec, s[16:17]
                                        ; implicit-def: $vgpr25
.LBB4810_204:
	s_andn2_saveexec_b64 s[12:13], s[12:13]
	s_cbranch_execz .LBB4810_206
; %bb.205:
	s_waitcnt lgkmcnt(0)
	v_mov_b32_e32 v19, v25
.LBB4810_206:
	s_or_b64 exec, exec, s[12:13]
	s_or_b64 s[12:13], s[8:9], exec
	s_waitcnt lgkmcnt(0)
	v_mov_b32_e32 v12, v19
                                        ; implicit-def: $vgpr17
                                        ; implicit-def: $vgpr15
                                        ; implicit-def: $vgpr16
.LBB4810_207:
	s_or_saveexec_b64 s[14:15], s[14:15]
	s_mov_b64 s[16:17], s[6:7]
	s_mov_b64 s[20:21], s[4:5]
                                        ; implicit-def: $vgpr10
                                        ; implicit-def: $vgpr11
	s_xor_b64 exec, exec, s[14:15]
	s_cbranch_execz .LBB4810_211
; %bb.208:
	v_cmp_lt_i64_e32 vcc, 6, v[0:1]
	s_mov_b64 s[20:21], -1
	s_mov_b64 s[18:19], s[12:13]
	s_mov_b64 s[16:17], s[6:7]
	s_and_saveexec_b64 s[22:23], vcc
; %bb.209:
	v_cmp_lt_i64_e32 vcc, 7, v[0:1]
	s_andn2_b64 s[18:19], s[12:13], exec
	s_and_b64 s[24:25], vcc, exec
	s_xor_b64 s[20:21], exec, -1
	s_or_b64 s[16:17], s[6:7], exec
	s_or_b64 s[18:19], s[18:19], s[24:25]
                                        ; implicit-def: $vgpr17
; %bb.210:
	s_or_b64 exec, exec, s[22:23]
	s_andn2_b64 s[22:23], s[4:5], exec
	s_and_b64 s[20:21], s[20:21], exec
	s_or_b64 s[20:21], s[22:23], s[20:21]
	s_andn2_b64 s[22:23], s[6:7], exec
	s_and_b64 s[16:17], s[16:17], exec
	s_andn2_b64 s[12:13], s[12:13], exec
	s_and_b64 s[18:19], s[18:19], exec
	s_or_b64 s[16:17], s[22:23], s[16:17]
	s_or_b64 s[12:13], s[12:13], s[18:19]
	s_waitcnt lgkmcnt(0)
	v_mov_b32_e32 v10, v17
	v_mov_b32_e32 v11, v15
	;; [unrolled: 1-line block ×3, first 2 shown]
.LBB4810_211:
	s_or_b64 exec, exec, s[14:15]
	s_andn2_b64 s[18:19], s[4:5], exec
	s_and_b64 s[20:21], s[20:21], exec
	s_or_b64 s[18:19], s[18:19], s[20:21]
	s_andn2_b64 s[20:21], s[6:7], exec
	s_and_b64 s[16:17], s[16:17], exec
	s_or_b64 s[16:17], s[20:21], s[16:17]
	s_andn2_b64 s[20:21], s[8:9], exec
	s_and_b64 s[12:13], s[12:13], exec
	s_xor_b64 s[14:15], exec, -1
	s_or_b64 s[12:13], s[20:21], s[12:13]
.LBB4810_212:
	s_or_b64 exec, exec, s[0:1]
	s_and_b64 s[0:1], s[14:15], exec
	s_andn2_b64 s[4:5], s[4:5], exec
	s_and_b64 s[14:15], s[18:19], exec
	s_or_b64 s[4:5], s[4:5], s[14:15]
	s_andn2_b64 s[6:7], s[6:7], exec
	s_and_b64 s[14:15], s[16:17], exec
	s_andn2_b64 s[8:9], s[8:9], exec
	s_and_b64 s[12:13], s[12:13], exec
	s_or_b64 s[6:7], s[6:7], s[14:15]
	s_or_b64 s[8:9], s[8:9], s[12:13]
	s_or_b64 exec, exec, s[2:3]
	s_and_saveexec_b64 s[2:3], s[8:9]
	s_cbranch_execz .LBB4810_147
.LBB4810_213:
	v_mov_b32_e32 v2, 0
	s_andn2_b64 s[6:7], s[6:7], exec
	s_waitcnt lgkmcnt(0)
	global_store_short v2, v12, s[10:11]
                                        ; implicit-def: $vgpr10
                                        ; implicit-def: $vgpr11
	s_or_b64 exec, exec, s[2:3]
	s_and_saveexec_b64 s[2:3], s[6:7]
	s_cbranch_execz .LBB4810_148
.LBB4810_214:
	v_mov_b32_e32 v2, 0
	s_waitcnt lgkmcnt(0)
	global_store_short v2, v11, s[10:11]
                                        ; implicit-def: $vgpr10
	s_or_b64 exec, exec, s[2:3]
	s_and_saveexec_b64 s[2:3], s[4:5]
	s_xor_b64 s[2:3], exec, s[2:3]
	s_cbranch_execz .LBB4810_149
.LBB4810_215:
	v_mov_b32_e32 v2, 0
	s_waitcnt lgkmcnt(0)
	global_store_short v2, v10, s[10:11]
	s_or_b64 exec, exec, s[2:3]
	s_and_b64 exec, exec, s[0:1]
	s_cbranch_execz .LBB4810_150
.LBB4810_216:
	v_cmp_lt_i64_e32 vcc, 2, v[0:1]
	s_and_saveexec_b64 s[0:1], vcc
	s_xor_b64 s[0:1], exec, s[0:1]
	s_cbranch_execz .LBB4810_226
; %bb.217:
	v_cmp_lt_i64_e32 vcc, 3, v[0:1]
	s_and_saveexec_b64 s[2:3], vcc
	s_xor_b64 s[2:3], exec, s[2:3]
	s_cbranch_execz .LBB4810_223
; %bb.218:
	;; [unrolled: 5-line block ×3, first 2 shown]
	v_mov_b32_e32 v0, 0
	s_waitcnt lgkmcnt(0)
	global_store_short v0, v9, s[10:11]
                                        ; implicit-def: $vgpr6
.LBB4810_220:
	s_andn2_saveexec_b64 s[4:5], s[4:5]
	s_cbranch_execz .LBB4810_222
; %bb.221:
	v_mov_b32_e32 v0, 0
	s_waitcnt lgkmcnt(0)
	global_store_short v0, v6, s[10:11]
.LBB4810_222:
	s_or_b64 exec, exec, s[4:5]
                                        ; implicit-def: $vgpr8
.LBB4810_223:
	s_andn2_saveexec_b64 s[2:3], s[2:3]
	s_cbranch_execz .LBB4810_225
; %bb.224:
	v_mov_b32_e32 v0, 0
	s_waitcnt lgkmcnt(0)
	global_store_short v0, v8, s[10:11]
.LBB4810_225:
	s_or_b64 exec, exec, s[2:3]
                                        ; implicit-def: $vgpr0_vgpr1
                                        ; implicit-def: $vgpr7
                                        ; implicit-def: $vgpr4
                                        ; implicit-def: $vgpr5
.LBB4810_226:
	s_andn2_saveexec_b64 s[0:1], s[0:1]
	s_cbranch_execz .LBB4810_150
; %bb.227:
	v_cmp_lt_i64_e32 vcc, 1, v[0:1]
	s_and_saveexec_b64 s[0:1], vcc
	s_xor_b64 s[0:1], exec, s[0:1]
	s_cbranch_execz .LBB4810_229
; %bb.228:
	v_mov_b32_e32 v0, 0
	s_waitcnt lgkmcnt(0)
	global_store_short v0, v7, s[10:11]
                                        ; implicit-def: $vgpr4
                                        ; implicit-def: $vgpr0_vgpr1
                                        ; implicit-def: $vgpr5
.LBB4810_229:
	s_andn2_saveexec_b64 s[0:1], s[0:1]
	s_cbranch_execz .LBB4810_150
; %bb.230:
	v_cmp_ne_u64_e32 vcc, 1, v[0:1]
	s_and_saveexec_b64 s[0:1], vcc
	s_xor_b64 s[0:1], exec, s[0:1]
	s_cbranch_execz .LBB4810_232
; %bb.231:
	v_mov_b32_e32 v0, 0
	s_waitcnt lgkmcnt(0)
	global_store_short v0, v5, s[10:11]
                                        ; implicit-def: $vgpr4
.LBB4810_232:
	s_andn2_saveexec_b64 s[0:1], s[0:1]
	s_cbranch_execz .LBB4810_150
; %bb.233:
	v_mov_b32_e32 v0, 0
	s_waitcnt lgkmcnt(0)
	global_store_short v0, v4, s[10:11]
	s_endpgm
	.section	.rodata,"a",@progbits
	.p2align	6, 0x0
	.amdhsa_kernel _ZN7rocprim17ROCPRIM_400000_NS6detail17trampoline_kernelINS0_14default_configENS1_20scan_config_selectorItEEZZNS1_9scan_implILNS1_25lookback_scan_determinismE0ELb1ELb1ES3_N6thrust23THRUST_200600_302600_NS6detail15normal_iteratorINS9_10device_ptrItEEEESE_tNS9_4plusIvEEtEEDaPvRmT3_T4_T5_mT6_P12ihipStream_tbENKUlT_T0_E_clISt17integral_constantIbLb1EESU_EEDaSP_SQ_EUlSP_E_NS1_11comp_targetILNS1_3genE4ELNS1_11target_archE910ELNS1_3gpuE8ELNS1_3repE0EEENS1_30default_config_static_selectorELNS0_4arch9wavefront6targetE1EEEvT1_
		.amdhsa_group_segment_fixed_size 3072
		.amdhsa_private_segment_fixed_size 0
		.amdhsa_kernarg_size 96
		.amdhsa_user_sgpr_count 6
		.amdhsa_user_sgpr_private_segment_buffer 1
		.amdhsa_user_sgpr_dispatch_ptr 0
		.amdhsa_user_sgpr_queue_ptr 0
		.amdhsa_user_sgpr_kernarg_segment_ptr 1
		.amdhsa_user_sgpr_dispatch_id 0
		.amdhsa_user_sgpr_flat_scratch_init 0
		.amdhsa_user_sgpr_kernarg_preload_length 0
		.amdhsa_user_sgpr_kernarg_preload_offset 0
		.amdhsa_user_sgpr_private_segment_size 0
		.amdhsa_uses_dynamic_stack 0
		.amdhsa_system_sgpr_private_segment_wavefront_offset 0
		.amdhsa_system_sgpr_workgroup_id_x 1
		.amdhsa_system_sgpr_workgroup_id_y 0
		.amdhsa_system_sgpr_workgroup_id_z 0
		.amdhsa_system_sgpr_workgroup_info 0
		.amdhsa_system_vgpr_workitem_id 0
		.amdhsa_next_free_vgpr 54
		.amdhsa_next_free_sgpr 38
		.amdhsa_accum_offset 56
		.amdhsa_reserve_vcc 1
		.amdhsa_reserve_flat_scratch 0
		.amdhsa_float_round_mode_32 0
		.amdhsa_float_round_mode_16_64 0
		.amdhsa_float_denorm_mode_32 3
		.amdhsa_float_denorm_mode_16_64 3
		.amdhsa_dx10_clamp 1
		.amdhsa_ieee_mode 1
		.amdhsa_fp16_overflow 0
		.amdhsa_tg_split 0
		.amdhsa_exception_fp_ieee_invalid_op 0
		.amdhsa_exception_fp_denorm_src 0
		.amdhsa_exception_fp_ieee_div_zero 0
		.amdhsa_exception_fp_ieee_overflow 0
		.amdhsa_exception_fp_ieee_underflow 0
		.amdhsa_exception_fp_ieee_inexact 0
		.amdhsa_exception_int_div_zero 0
	.end_amdhsa_kernel
	.section	.text._ZN7rocprim17ROCPRIM_400000_NS6detail17trampoline_kernelINS0_14default_configENS1_20scan_config_selectorItEEZZNS1_9scan_implILNS1_25lookback_scan_determinismE0ELb1ELb1ES3_N6thrust23THRUST_200600_302600_NS6detail15normal_iteratorINS9_10device_ptrItEEEESE_tNS9_4plusIvEEtEEDaPvRmT3_T4_T5_mT6_P12ihipStream_tbENKUlT_T0_E_clISt17integral_constantIbLb1EESU_EEDaSP_SQ_EUlSP_E_NS1_11comp_targetILNS1_3genE4ELNS1_11target_archE910ELNS1_3gpuE8ELNS1_3repE0EEENS1_30default_config_static_selectorELNS0_4arch9wavefront6targetE1EEEvT1_,"axG",@progbits,_ZN7rocprim17ROCPRIM_400000_NS6detail17trampoline_kernelINS0_14default_configENS1_20scan_config_selectorItEEZZNS1_9scan_implILNS1_25lookback_scan_determinismE0ELb1ELb1ES3_N6thrust23THRUST_200600_302600_NS6detail15normal_iteratorINS9_10device_ptrItEEEESE_tNS9_4plusIvEEtEEDaPvRmT3_T4_T5_mT6_P12ihipStream_tbENKUlT_T0_E_clISt17integral_constantIbLb1EESU_EEDaSP_SQ_EUlSP_E_NS1_11comp_targetILNS1_3genE4ELNS1_11target_archE910ELNS1_3gpuE8ELNS1_3repE0EEENS1_30default_config_static_selectorELNS0_4arch9wavefront6targetE1EEEvT1_,comdat
.Lfunc_end4810:
	.size	_ZN7rocprim17ROCPRIM_400000_NS6detail17trampoline_kernelINS0_14default_configENS1_20scan_config_selectorItEEZZNS1_9scan_implILNS1_25lookback_scan_determinismE0ELb1ELb1ES3_N6thrust23THRUST_200600_302600_NS6detail15normal_iteratorINS9_10device_ptrItEEEESE_tNS9_4plusIvEEtEEDaPvRmT3_T4_T5_mT6_P12ihipStream_tbENKUlT_T0_E_clISt17integral_constantIbLb1EESU_EEDaSP_SQ_EUlSP_E_NS1_11comp_targetILNS1_3genE4ELNS1_11target_archE910ELNS1_3gpuE8ELNS1_3repE0EEENS1_30default_config_static_selectorELNS0_4arch9wavefront6targetE1EEEvT1_, .Lfunc_end4810-_ZN7rocprim17ROCPRIM_400000_NS6detail17trampoline_kernelINS0_14default_configENS1_20scan_config_selectorItEEZZNS1_9scan_implILNS1_25lookback_scan_determinismE0ELb1ELb1ES3_N6thrust23THRUST_200600_302600_NS6detail15normal_iteratorINS9_10device_ptrItEEEESE_tNS9_4plusIvEEtEEDaPvRmT3_T4_T5_mT6_P12ihipStream_tbENKUlT_T0_E_clISt17integral_constantIbLb1EESU_EEDaSP_SQ_EUlSP_E_NS1_11comp_targetILNS1_3genE4ELNS1_11target_archE910ELNS1_3gpuE8ELNS1_3repE0EEENS1_30default_config_static_selectorELNS0_4arch9wavefront6targetE1EEEvT1_
                                        ; -- End function
	.section	.AMDGPU.csdata,"",@progbits
; Kernel info:
; codeLenInByte = 7920
; NumSgprs: 42
; NumVgprs: 54
; NumAgprs: 0
; TotalNumVgprs: 54
; ScratchSize: 0
; MemoryBound: 0
; FloatMode: 240
; IeeeMode: 1
; LDSByteSize: 3072 bytes/workgroup (compile time only)
; SGPRBlocks: 5
; VGPRBlocks: 6
; NumSGPRsForWavesPerEU: 42
; NumVGPRsForWavesPerEU: 54
; AccumOffset: 56
; Occupancy: 6
; WaveLimiterHint : 1
; COMPUTE_PGM_RSRC2:SCRATCH_EN: 0
; COMPUTE_PGM_RSRC2:USER_SGPR: 6
; COMPUTE_PGM_RSRC2:TRAP_HANDLER: 0
; COMPUTE_PGM_RSRC2:TGID_X_EN: 1
; COMPUTE_PGM_RSRC2:TGID_Y_EN: 0
; COMPUTE_PGM_RSRC2:TGID_Z_EN: 0
; COMPUTE_PGM_RSRC2:TIDIG_COMP_CNT: 0
; COMPUTE_PGM_RSRC3_GFX90A:ACCUM_OFFSET: 13
; COMPUTE_PGM_RSRC3_GFX90A:TG_SPLIT: 0
	.section	.text._ZN7rocprim17ROCPRIM_400000_NS6detail17trampoline_kernelINS0_14default_configENS1_20scan_config_selectorItEEZZNS1_9scan_implILNS1_25lookback_scan_determinismE0ELb1ELb1ES3_N6thrust23THRUST_200600_302600_NS6detail15normal_iteratorINS9_10device_ptrItEEEESE_tNS9_4plusIvEEtEEDaPvRmT3_T4_T5_mT6_P12ihipStream_tbENKUlT_T0_E_clISt17integral_constantIbLb1EESU_EEDaSP_SQ_EUlSP_E_NS1_11comp_targetILNS1_3genE3ELNS1_11target_archE908ELNS1_3gpuE7ELNS1_3repE0EEENS1_30default_config_static_selectorELNS0_4arch9wavefront6targetE1EEEvT1_,"axG",@progbits,_ZN7rocprim17ROCPRIM_400000_NS6detail17trampoline_kernelINS0_14default_configENS1_20scan_config_selectorItEEZZNS1_9scan_implILNS1_25lookback_scan_determinismE0ELb1ELb1ES3_N6thrust23THRUST_200600_302600_NS6detail15normal_iteratorINS9_10device_ptrItEEEESE_tNS9_4plusIvEEtEEDaPvRmT3_T4_T5_mT6_P12ihipStream_tbENKUlT_T0_E_clISt17integral_constantIbLb1EESU_EEDaSP_SQ_EUlSP_E_NS1_11comp_targetILNS1_3genE3ELNS1_11target_archE908ELNS1_3gpuE7ELNS1_3repE0EEENS1_30default_config_static_selectorELNS0_4arch9wavefront6targetE1EEEvT1_,comdat
	.protected	_ZN7rocprim17ROCPRIM_400000_NS6detail17trampoline_kernelINS0_14default_configENS1_20scan_config_selectorItEEZZNS1_9scan_implILNS1_25lookback_scan_determinismE0ELb1ELb1ES3_N6thrust23THRUST_200600_302600_NS6detail15normal_iteratorINS9_10device_ptrItEEEESE_tNS9_4plusIvEEtEEDaPvRmT3_T4_T5_mT6_P12ihipStream_tbENKUlT_T0_E_clISt17integral_constantIbLb1EESU_EEDaSP_SQ_EUlSP_E_NS1_11comp_targetILNS1_3genE3ELNS1_11target_archE908ELNS1_3gpuE7ELNS1_3repE0EEENS1_30default_config_static_selectorELNS0_4arch9wavefront6targetE1EEEvT1_ ; -- Begin function _ZN7rocprim17ROCPRIM_400000_NS6detail17trampoline_kernelINS0_14default_configENS1_20scan_config_selectorItEEZZNS1_9scan_implILNS1_25lookback_scan_determinismE0ELb1ELb1ES3_N6thrust23THRUST_200600_302600_NS6detail15normal_iteratorINS9_10device_ptrItEEEESE_tNS9_4plusIvEEtEEDaPvRmT3_T4_T5_mT6_P12ihipStream_tbENKUlT_T0_E_clISt17integral_constantIbLb1EESU_EEDaSP_SQ_EUlSP_E_NS1_11comp_targetILNS1_3genE3ELNS1_11target_archE908ELNS1_3gpuE7ELNS1_3repE0EEENS1_30default_config_static_selectorELNS0_4arch9wavefront6targetE1EEEvT1_
	.globl	_ZN7rocprim17ROCPRIM_400000_NS6detail17trampoline_kernelINS0_14default_configENS1_20scan_config_selectorItEEZZNS1_9scan_implILNS1_25lookback_scan_determinismE0ELb1ELb1ES3_N6thrust23THRUST_200600_302600_NS6detail15normal_iteratorINS9_10device_ptrItEEEESE_tNS9_4plusIvEEtEEDaPvRmT3_T4_T5_mT6_P12ihipStream_tbENKUlT_T0_E_clISt17integral_constantIbLb1EESU_EEDaSP_SQ_EUlSP_E_NS1_11comp_targetILNS1_3genE3ELNS1_11target_archE908ELNS1_3gpuE7ELNS1_3repE0EEENS1_30default_config_static_selectorELNS0_4arch9wavefront6targetE1EEEvT1_
	.p2align	8
	.type	_ZN7rocprim17ROCPRIM_400000_NS6detail17trampoline_kernelINS0_14default_configENS1_20scan_config_selectorItEEZZNS1_9scan_implILNS1_25lookback_scan_determinismE0ELb1ELb1ES3_N6thrust23THRUST_200600_302600_NS6detail15normal_iteratorINS9_10device_ptrItEEEESE_tNS9_4plusIvEEtEEDaPvRmT3_T4_T5_mT6_P12ihipStream_tbENKUlT_T0_E_clISt17integral_constantIbLb1EESU_EEDaSP_SQ_EUlSP_E_NS1_11comp_targetILNS1_3genE3ELNS1_11target_archE908ELNS1_3gpuE7ELNS1_3repE0EEENS1_30default_config_static_selectorELNS0_4arch9wavefront6targetE1EEEvT1_,@function
_ZN7rocprim17ROCPRIM_400000_NS6detail17trampoline_kernelINS0_14default_configENS1_20scan_config_selectorItEEZZNS1_9scan_implILNS1_25lookback_scan_determinismE0ELb1ELb1ES3_N6thrust23THRUST_200600_302600_NS6detail15normal_iteratorINS9_10device_ptrItEEEESE_tNS9_4plusIvEEtEEDaPvRmT3_T4_T5_mT6_P12ihipStream_tbENKUlT_T0_E_clISt17integral_constantIbLb1EESU_EEDaSP_SQ_EUlSP_E_NS1_11comp_targetILNS1_3genE3ELNS1_11target_archE908ELNS1_3gpuE7ELNS1_3repE0EEENS1_30default_config_static_selectorELNS0_4arch9wavefront6targetE1EEEvT1_: ; @_ZN7rocprim17ROCPRIM_400000_NS6detail17trampoline_kernelINS0_14default_configENS1_20scan_config_selectorItEEZZNS1_9scan_implILNS1_25lookback_scan_determinismE0ELb1ELb1ES3_N6thrust23THRUST_200600_302600_NS6detail15normal_iteratorINS9_10device_ptrItEEEESE_tNS9_4plusIvEEtEEDaPvRmT3_T4_T5_mT6_P12ihipStream_tbENKUlT_T0_E_clISt17integral_constantIbLb1EESU_EEDaSP_SQ_EUlSP_E_NS1_11comp_targetILNS1_3genE3ELNS1_11target_archE908ELNS1_3gpuE7ELNS1_3repE0EEENS1_30default_config_static_selectorELNS0_4arch9wavefront6targetE1EEEvT1_
; %bb.0:
	.section	.rodata,"a",@progbits
	.p2align	6, 0x0
	.amdhsa_kernel _ZN7rocprim17ROCPRIM_400000_NS6detail17trampoline_kernelINS0_14default_configENS1_20scan_config_selectorItEEZZNS1_9scan_implILNS1_25lookback_scan_determinismE0ELb1ELb1ES3_N6thrust23THRUST_200600_302600_NS6detail15normal_iteratorINS9_10device_ptrItEEEESE_tNS9_4plusIvEEtEEDaPvRmT3_T4_T5_mT6_P12ihipStream_tbENKUlT_T0_E_clISt17integral_constantIbLb1EESU_EEDaSP_SQ_EUlSP_E_NS1_11comp_targetILNS1_3genE3ELNS1_11target_archE908ELNS1_3gpuE7ELNS1_3repE0EEENS1_30default_config_static_selectorELNS0_4arch9wavefront6targetE1EEEvT1_
		.amdhsa_group_segment_fixed_size 0
		.amdhsa_private_segment_fixed_size 0
		.amdhsa_kernarg_size 96
		.amdhsa_user_sgpr_count 6
		.amdhsa_user_sgpr_private_segment_buffer 1
		.amdhsa_user_sgpr_dispatch_ptr 0
		.amdhsa_user_sgpr_queue_ptr 0
		.amdhsa_user_sgpr_kernarg_segment_ptr 1
		.amdhsa_user_sgpr_dispatch_id 0
		.amdhsa_user_sgpr_flat_scratch_init 0
		.amdhsa_user_sgpr_kernarg_preload_length 0
		.amdhsa_user_sgpr_kernarg_preload_offset 0
		.amdhsa_user_sgpr_private_segment_size 0
		.amdhsa_uses_dynamic_stack 0
		.amdhsa_system_sgpr_private_segment_wavefront_offset 0
		.amdhsa_system_sgpr_workgroup_id_x 1
		.amdhsa_system_sgpr_workgroup_id_y 0
		.amdhsa_system_sgpr_workgroup_id_z 0
		.amdhsa_system_sgpr_workgroup_info 0
		.amdhsa_system_vgpr_workitem_id 0
		.amdhsa_next_free_vgpr 1
		.amdhsa_next_free_sgpr 0
		.amdhsa_accum_offset 4
		.amdhsa_reserve_vcc 0
		.amdhsa_reserve_flat_scratch 0
		.amdhsa_float_round_mode_32 0
		.amdhsa_float_round_mode_16_64 0
		.amdhsa_float_denorm_mode_32 3
		.amdhsa_float_denorm_mode_16_64 3
		.amdhsa_dx10_clamp 1
		.amdhsa_ieee_mode 1
		.amdhsa_fp16_overflow 0
		.amdhsa_tg_split 0
		.amdhsa_exception_fp_ieee_invalid_op 0
		.amdhsa_exception_fp_denorm_src 0
		.amdhsa_exception_fp_ieee_div_zero 0
		.amdhsa_exception_fp_ieee_overflow 0
		.amdhsa_exception_fp_ieee_underflow 0
		.amdhsa_exception_fp_ieee_inexact 0
		.amdhsa_exception_int_div_zero 0
	.end_amdhsa_kernel
	.section	.text._ZN7rocprim17ROCPRIM_400000_NS6detail17trampoline_kernelINS0_14default_configENS1_20scan_config_selectorItEEZZNS1_9scan_implILNS1_25lookback_scan_determinismE0ELb1ELb1ES3_N6thrust23THRUST_200600_302600_NS6detail15normal_iteratorINS9_10device_ptrItEEEESE_tNS9_4plusIvEEtEEDaPvRmT3_T4_T5_mT6_P12ihipStream_tbENKUlT_T0_E_clISt17integral_constantIbLb1EESU_EEDaSP_SQ_EUlSP_E_NS1_11comp_targetILNS1_3genE3ELNS1_11target_archE908ELNS1_3gpuE7ELNS1_3repE0EEENS1_30default_config_static_selectorELNS0_4arch9wavefront6targetE1EEEvT1_,"axG",@progbits,_ZN7rocprim17ROCPRIM_400000_NS6detail17trampoline_kernelINS0_14default_configENS1_20scan_config_selectorItEEZZNS1_9scan_implILNS1_25lookback_scan_determinismE0ELb1ELb1ES3_N6thrust23THRUST_200600_302600_NS6detail15normal_iteratorINS9_10device_ptrItEEEESE_tNS9_4plusIvEEtEEDaPvRmT3_T4_T5_mT6_P12ihipStream_tbENKUlT_T0_E_clISt17integral_constantIbLb1EESU_EEDaSP_SQ_EUlSP_E_NS1_11comp_targetILNS1_3genE3ELNS1_11target_archE908ELNS1_3gpuE7ELNS1_3repE0EEENS1_30default_config_static_selectorELNS0_4arch9wavefront6targetE1EEEvT1_,comdat
.Lfunc_end4811:
	.size	_ZN7rocprim17ROCPRIM_400000_NS6detail17trampoline_kernelINS0_14default_configENS1_20scan_config_selectorItEEZZNS1_9scan_implILNS1_25lookback_scan_determinismE0ELb1ELb1ES3_N6thrust23THRUST_200600_302600_NS6detail15normal_iteratorINS9_10device_ptrItEEEESE_tNS9_4plusIvEEtEEDaPvRmT3_T4_T5_mT6_P12ihipStream_tbENKUlT_T0_E_clISt17integral_constantIbLb1EESU_EEDaSP_SQ_EUlSP_E_NS1_11comp_targetILNS1_3genE3ELNS1_11target_archE908ELNS1_3gpuE7ELNS1_3repE0EEENS1_30default_config_static_selectorELNS0_4arch9wavefront6targetE1EEEvT1_, .Lfunc_end4811-_ZN7rocprim17ROCPRIM_400000_NS6detail17trampoline_kernelINS0_14default_configENS1_20scan_config_selectorItEEZZNS1_9scan_implILNS1_25lookback_scan_determinismE0ELb1ELb1ES3_N6thrust23THRUST_200600_302600_NS6detail15normal_iteratorINS9_10device_ptrItEEEESE_tNS9_4plusIvEEtEEDaPvRmT3_T4_T5_mT6_P12ihipStream_tbENKUlT_T0_E_clISt17integral_constantIbLb1EESU_EEDaSP_SQ_EUlSP_E_NS1_11comp_targetILNS1_3genE3ELNS1_11target_archE908ELNS1_3gpuE7ELNS1_3repE0EEENS1_30default_config_static_selectorELNS0_4arch9wavefront6targetE1EEEvT1_
                                        ; -- End function
	.section	.AMDGPU.csdata,"",@progbits
; Kernel info:
; codeLenInByte = 0
; NumSgprs: 4
; NumVgprs: 0
; NumAgprs: 0
; TotalNumVgprs: 0
; ScratchSize: 0
; MemoryBound: 0
; FloatMode: 240
; IeeeMode: 1
; LDSByteSize: 0 bytes/workgroup (compile time only)
; SGPRBlocks: 0
; VGPRBlocks: 0
; NumSGPRsForWavesPerEU: 4
; NumVGPRsForWavesPerEU: 1
; AccumOffset: 4
; Occupancy: 8
; WaveLimiterHint : 0
; COMPUTE_PGM_RSRC2:SCRATCH_EN: 0
; COMPUTE_PGM_RSRC2:USER_SGPR: 6
; COMPUTE_PGM_RSRC2:TRAP_HANDLER: 0
; COMPUTE_PGM_RSRC2:TGID_X_EN: 1
; COMPUTE_PGM_RSRC2:TGID_Y_EN: 0
; COMPUTE_PGM_RSRC2:TGID_Z_EN: 0
; COMPUTE_PGM_RSRC2:TIDIG_COMP_CNT: 0
; COMPUTE_PGM_RSRC3_GFX90A:ACCUM_OFFSET: 0
; COMPUTE_PGM_RSRC3_GFX90A:TG_SPLIT: 0
	.section	.text._ZN7rocprim17ROCPRIM_400000_NS6detail17trampoline_kernelINS0_14default_configENS1_20scan_config_selectorItEEZZNS1_9scan_implILNS1_25lookback_scan_determinismE0ELb1ELb1ES3_N6thrust23THRUST_200600_302600_NS6detail15normal_iteratorINS9_10device_ptrItEEEESE_tNS9_4plusIvEEtEEDaPvRmT3_T4_T5_mT6_P12ihipStream_tbENKUlT_T0_E_clISt17integral_constantIbLb1EESU_EEDaSP_SQ_EUlSP_E_NS1_11comp_targetILNS1_3genE2ELNS1_11target_archE906ELNS1_3gpuE6ELNS1_3repE0EEENS1_30default_config_static_selectorELNS0_4arch9wavefront6targetE1EEEvT1_,"axG",@progbits,_ZN7rocprim17ROCPRIM_400000_NS6detail17trampoline_kernelINS0_14default_configENS1_20scan_config_selectorItEEZZNS1_9scan_implILNS1_25lookback_scan_determinismE0ELb1ELb1ES3_N6thrust23THRUST_200600_302600_NS6detail15normal_iteratorINS9_10device_ptrItEEEESE_tNS9_4plusIvEEtEEDaPvRmT3_T4_T5_mT6_P12ihipStream_tbENKUlT_T0_E_clISt17integral_constantIbLb1EESU_EEDaSP_SQ_EUlSP_E_NS1_11comp_targetILNS1_3genE2ELNS1_11target_archE906ELNS1_3gpuE6ELNS1_3repE0EEENS1_30default_config_static_selectorELNS0_4arch9wavefront6targetE1EEEvT1_,comdat
	.protected	_ZN7rocprim17ROCPRIM_400000_NS6detail17trampoline_kernelINS0_14default_configENS1_20scan_config_selectorItEEZZNS1_9scan_implILNS1_25lookback_scan_determinismE0ELb1ELb1ES3_N6thrust23THRUST_200600_302600_NS6detail15normal_iteratorINS9_10device_ptrItEEEESE_tNS9_4plusIvEEtEEDaPvRmT3_T4_T5_mT6_P12ihipStream_tbENKUlT_T0_E_clISt17integral_constantIbLb1EESU_EEDaSP_SQ_EUlSP_E_NS1_11comp_targetILNS1_3genE2ELNS1_11target_archE906ELNS1_3gpuE6ELNS1_3repE0EEENS1_30default_config_static_selectorELNS0_4arch9wavefront6targetE1EEEvT1_ ; -- Begin function _ZN7rocprim17ROCPRIM_400000_NS6detail17trampoline_kernelINS0_14default_configENS1_20scan_config_selectorItEEZZNS1_9scan_implILNS1_25lookback_scan_determinismE0ELb1ELb1ES3_N6thrust23THRUST_200600_302600_NS6detail15normal_iteratorINS9_10device_ptrItEEEESE_tNS9_4plusIvEEtEEDaPvRmT3_T4_T5_mT6_P12ihipStream_tbENKUlT_T0_E_clISt17integral_constantIbLb1EESU_EEDaSP_SQ_EUlSP_E_NS1_11comp_targetILNS1_3genE2ELNS1_11target_archE906ELNS1_3gpuE6ELNS1_3repE0EEENS1_30default_config_static_selectorELNS0_4arch9wavefront6targetE1EEEvT1_
	.globl	_ZN7rocprim17ROCPRIM_400000_NS6detail17trampoline_kernelINS0_14default_configENS1_20scan_config_selectorItEEZZNS1_9scan_implILNS1_25lookback_scan_determinismE0ELb1ELb1ES3_N6thrust23THRUST_200600_302600_NS6detail15normal_iteratorINS9_10device_ptrItEEEESE_tNS9_4plusIvEEtEEDaPvRmT3_T4_T5_mT6_P12ihipStream_tbENKUlT_T0_E_clISt17integral_constantIbLb1EESU_EEDaSP_SQ_EUlSP_E_NS1_11comp_targetILNS1_3genE2ELNS1_11target_archE906ELNS1_3gpuE6ELNS1_3repE0EEENS1_30default_config_static_selectorELNS0_4arch9wavefront6targetE1EEEvT1_
	.p2align	8
	.type	_ZN7rocprim17ROCPRIM_400000_NS6detail17trampoline_kernelINS0_14default_configENS1_20scan_config_selectorItEEZZNS1_9scan_implILNS1_25lookback_scan_determinismE0ELb1ELb1ES3_N6thrust23THRUST_200600_302600_NS6detail15normal_iteratorINS9_10device_ptrItEEEESE_tNS9_4plusIvEEtEEDaPvRmT3_T4_T5_mT6_P12ihipStream_tbENKUlT_T0_E_clISt17integral_constantIbLb1EESU_EEDaSP_SQ_EUlSP_E_NS1_11comp_targetILNS1_3genE2ELNS1_11target_archE906ELNS1_3gpuE6ELNS1_3repE0EEENS1_30default_config_static_selectorELNS0_4arch9wavefront6targetE1EEEvT1_,@function
_ZN7rocprim17ROCPRIM_400000_NS6detail17trampoline_kernelINS0_14default_configENS1_20scan_config_selectorItEEZZNS1_9scan_implILNS1_25lookback_scan_determinismE0ELb1ELb1ES3_N6thrust23THRUST_200600_302600_NS6detail15normal_iteratorINS9_10device_ptrItEEEESE_tNS9_4plusIvEEtEEDaPvRmT3_T4_T5_mT6_P12ihipStream_tbENKUlT_T0_E_clISt17integral_constantIbLb1EESU_EEDaSP_SQ_EUlSP_E_NS1_11comp_targetILNS1_3genE2ELNS1_11target_archE906ELNS1_3gpuE6ELNS1_3repE0EEENS1_30default_config_static_selectorELNS0_4arch9wavefront6targetE1EEEvT1_: ; @_ZN7rocprim17ROCPRIM_400000_NS6detail17trampoline_kernelINS0_14default_configENS1_20scan_config_selectorItEEZZNS1_9scan_implILNS1_25lookback_scan_determinismE0ELb1ELb1ES3_N6thrust23THRUST_200600_302600_NS6detail15normal_iteratorINS9_10device_ptrItEEEESE_tNS9_4plusIvEEtEEDaPvRmT3_T4_T5_mT6_P12ihipStream_tbENKUlT_T0_E_clISt17integral_constantIbLb1EESU_EEDaSP_SQ_EUlSP_E_NS1_11comp_targetILNS1_3genE2ELNS1_11target_archE906ELNS1_3gpuE6ELNS1_3repE0EEENS1_30default_config_static_selectorELNS0_4arch9wavefront6targetE1EEEvT1_
; %bb.0:
	.section	.rodata,"a",@progbits
	.p2align	6, 0x0
	.amdhsa_kernel _ZN7rocprim17ROCPRIM_400000_NS6detail17trampoline_kernelINS0_14default_configENS1_20scan_config_selectorItEEZZNS1_9scan_implILNS1_25lookback_scan_determinismE0ELb1ELb1ES3_N6thrust23THRUST_200600_302600_NS6detail15normal_iteratorINS9_10device_ptrItEEEESE_tNS9_4plusIvEEtEEDaPvRmT3_T4_T5_mT6_P12ihipStream_tbENKUlT_T0_E_clISt17integral_constantIbLb1EESU_EEDaSP_SQ_EUlSP_E_NS1_11comp_targetILNS1_3genE2ELNS1_11target_archE906ELNS1_3gpuE6ELNS1_3repE0EEENS1_30default_config_static_selectorELNS0_4arch9wavefront6targetE1EEEvT1_
		.amdhsa_group_segment_fixed_size 0
		.amdhsa_private_segment_fixed_size 0
		.amdhsa_kernarg_size 96
		.amdhsa_user_sgpr_count 6
		.amdhsa_user_sgpr_private_segment_buffer 1
		.amdhsa_user_sgpr_dispatch_ptr 0
		.amdhsa_user_sgpr_queue_ptr 0
		.amdhsa_user_sgpr_kernarg_segment_ptr 1
		.amdhsa_user_sgpr_dispatch_id 0
		.amdhsa_user_sgpr_flat_scratch_init 0
		.amdhsa_user_sgpr_kernarg_preload_length 0
		.amdhsa_user_sgpr_kernarg_preload_offset 0
		.amdhsa_user_sgpr_private_segment_size 0
		.amdhsa_uses_dynamic_stack 0
		.amdhsa_system_sgpr_private_segment_wavefront_offset 0
		.amdhsa_system_sgpr_workgroup_id_x 1
		.amdhsa_system_sgpr_workgroup_id_y 0
		.amdhsa_system_sgpr_workgroup_id_z 0
		.amdhsa_system_sgpr_workgroup_info 0
		.amdhsa_system_vgpr_workitem_id 0
		.amdhsa_next_free_vgpr 1
		.amdhsa_next_free_sgpr 0
		.amdhsa_accum_offset 4
		.amdhsa_reserve_vcc 0
		.amdhsa_reserve_flat_scratch 0
		.amdhsa_float_round_mode_32 0
		.amdhsa_float_round_mode_16_64 0
		.amdhsa_float_denorm_mode_32 3
		.amdhsa_float_denorm_mode_16_64 3
		.amdhsa_dx10_clamp 1
		.amdhsa_ieee_mode 1
		.amdhsa_fp16_overflow 0
		.amdhsa_tg_split 0
		.amdhsa_exception_fp_ieee_invalid_op 0
		.amdhsa_exception_fp_denorm_src 0
		.amdhsa_exception_fp_ieee_div_zero 0
		.amdhsa_exception_fp_ieee_overflow 0
		.amdhsa_exception_fp_ieee_underflow 0
		.amdhsa_exception_fp_ieee_inexact 0
		.amdhsa_exception_int_div_zero 0
	.end_amdhsa_kernel
	.section	.text._ZN7rocprim17ROCPRIM_400000_NS6detail17trampoline_kernelINS0_14default_configENS1_20scan_config_selectorItEEZZNS1_9scan_implILNS1_25lookback_scan_determinismE0ELb1ELb1ES3_N6thrust23THRUST_200600_302600_NS6detail15normal_iteratorINS9_10device_ptrItEEEESE_tNS9_4plusIvEEtEEDaPvRmT3_T4_T5_mT6_P12ihipStream_tbENKUlT_T0_E_clISt17integral_constantIbLb1EESU_EEDaSP_SQ_EUlSP_E_NS1_11comp_targetILNS1_3genE2ELNS1_11target_archE906ELNS1_3gpuE6ELNS1_3repE0EEENS1_30default_config_static_selectorELNS0_4arch9wavefront6targetE1EEEvT1_,"axG",@progbits,_ZN7rocprim17ROCPRIM_400000_NS6detail17trampoline_kernelINS0_14default_configENS1_20scan_config_selectorItEEZZNS1_9scan_implILNS1_25lookback_scan_determinismE0ELb1ELb1ES3_N6thrust23THRUST_200600_302600_NS6detail15normal_iteratorINS9_10device_ptrItEEEESE_tNS9_4plusIvEEtEEDaPvRmT3_T4_T5_mT6_P12ihipStream_tbENKUlT_T0_E_clISt17integral_constantIbLb1EESU_EEDaSP_SQ_EUlSP_E_NS1_11comp_targetILNS1_3genE2ELNS1_11target_archE906ELNS1_3gpuE6ELNS1_3repE0EEENS1_30default_config_static_selectorELNS0_4arch9wavefront6targetE1EEEvT1_,comdat
.Lfunc_end4812:
	.size	_ZN7rocprim17ROCPRIM_400000_NS6detail17trampoline_kernelINS0_14default_configENS1_20scan_config_selectorItEEZZNS1_9scan_implILNS1_25lookback_scan_determinismE0ELb1ELb1ES3_N6thrust23THRUST_200600_302600_NS6detail15normal_iteratorINS9_10device_ptrItEEEESE_tNS9_4plusIvEEtEEDaPvRmT3_T4_T5_mT6_P12ihipStream_tbENKUlT_T0_E_clISt17integral_constantIbLb1EESU_EEDaSP_SQ_EUlSP_E_NS1_11comp_targetILNS1_3genE2ELNS1_11target_archE906ELNS1_3gpuE6ELNS1_3repE0EEENS1_30default_config_static_selectorELNS0_4arch9wavefront6targetE1EEEvT1_, .Lfunc_end4812-_ZN7rocprim17ROCPRIM_400000_NS6detail17trampoline_kernelINS0_14default_configENS1_20scan_config_selectorItEEZZNS1_9scan_implILNS1_25lookback_scan_determinismE0ELb1ELb1ES3_N6thrust23THRUST_200600_302600_NS6detail15normal_iteratorINS9_10device_ptrItEEEESE_tNS9_4plusIvEEtEEDaPvRmT3_T4_T5_mT6_P12ihipStream_tbENKUlT_T0_E_clISt17integral_constantIbLb1EESU_EEDaSP_SQ_EUlSP_E_NS1_11comp_targetILNS1_3genE2ELNS1_11target_archE906ELNS1_3gpuE6ELNS1_3repE0EEENS1_30default_config_static_selectorELNS0_4arch9wavefront6targetE1EEEvT1_
                                        ; -- End function
	.section	.AMDGPU.csdata,"",@progbits
; Kernel info:
; codeLenInByte = 0
; NumSgprs: 4
; NumVgprs: 0
; NumAgprs: 0
; TotalNumVgprs: 0
; ScratchSize: 0
; MemoryBound: 0
; FloatMode: 240
; IeeeMode: 1
; LDSByteSize: 0 bytes/workgroup (compile time only)
; SGPRBlocks: 0
; VGPRBlocks: 0
; NumSGPRsForWavesPerEU: 4
; NumVGPRsForWavesPerEU: 1
; AccumOffset: 4
; Occupancy: 8
; WaveLimiterHint : 0
; COMPUTE_PGM_RSRC2:SCRATCH_EN: 0
; COMPUTE_PGM_RSRC2:USER_SGPR: 6
; COMPUTE_PGM_RSRC2:TRAP_HANDLER: 0
; COMPUTE_PGM_RSRC2:TGID_X_EN: 1
; COMPUTE_PGM_RSRC2:TGID_Y_EN: 0
; COMPUTE_PGM_RSRC2:TGID_Z_EN: 0
; COMPUTE_PGM_RSRC2:TIDIG_COMP_CNT: 0
; COMPUTE_PGM_RSRC3_GFX90A:ACCUM_OFFSET: 0
; COMPUTE_PGM_RSRC3_GFX90A:TG_SPLIT: 0
	.section	.text._ZN7rocprim17ROCPRIM_400000_NS6detail17trampoline_kernelINS0_14default_configENS1_20scan_config_selectorItEEZZNS1_9scan_implILNS1_25lookback_scan_determinismE0ELb1ELb1ES3_N6thrust23THRUST_200600_302600_NS6detail15normal_iteratorINS9_10device_ptrItEEEESE_tNS9_4plusIvEEtEEDaPvRmT3_T4_T5_mT6_P12ihipStream_tbENKUlT_T0_E_clISt17integral_constantIbLb1EESU_EEDaSP_SQ_EUlSP_E_NS1_11comp_targetILNS1_3genE10ELNS1_11target_archE1201ELNS1_3gpuE5ELNS1_3repE0EEENS1_30default_config_static_selectorELNS0_4arch9wavefront6targetE1EEEvT1_,"axG",@progbits,_ZN7rocprim17ROCPRIM_400000_NS6detail17trampoline_kernelINS0_14default_configENS1_20scan_config_selectorItEEZZNS1_9scan_implILNS1_25lookback_scan_determinismE0ELb1ELb1ES3_N6thrust23THRUST_200600_302600_NS6detail15normal_iteratorINS9_10device_ptrItEEEESE_tNS9_4plusIvEEtEEDaPvRmT3_T4_T5_mT6_P12ihipStream_tbENKUlT_T0_E_clISt17integral_constantIbLb1EESU_EEDaSP_SQ_EUlSP_E_NS1_11comp_targetILNS1_3genE10ELNS1_11target_archE1201ELNS1_3gpuE5ELNS1_3repE0EEENS1_30default_config_static_selectorELNS0_4arch9wavefront6targetE1EEEvT1_,comdat
	.protected	_ZN7rocprim17ROCPRIM_400000_NS6detail17trampoline_kernelINS0_14default_configENS1_20scan_config_selectorItEEZZNS1_9scan_implILNS1_25lookback_scan_determinismE0ELb1ELb1ES3_N6thrust23THRUST_200600_302600_NS6detail15normal_iteratorINS9_10device_ptrItEEEESE_tNS9_4plusIvEEtEEDaPvRmT3_T4_T5_mT6_P12ihipStream_tbENKUlT_T0_E_clISt17integral_constantIbLb1EESU_EEDaSP_SQ_EUlSP_E_NS1_11comp_targetILNS1_3genE10ELNS1_11target_archE1201ELNS1_3gpuE5ELNS1_3repE0EEENS1_30default_config_static_selectorELNS0_4arch9wavefront6targetE1EEEvT1_ ; -- Begin function _ZN7rocprim17ROCPRIM_400000_NS6detail17trampoline_kernelINS0_14default_configENS1_20scan_config_selectorItEEZZNS1_9scan_implILNS1_25lookback_scan_determinismE0ELb1ELb1ES3_N6thrust23THRUST_200600_302600_NS6detail15normal_iteratorINS9_10device_ptrItEEEESE_tNS9_4plusIvEEtEEDaPvRmT3_T4_T5_mT6_P12ihipStream_tbENKUlT_T0_E_clISt17integral_constantIbLb1EESU_EEDaSP_SQ_EUlSP_E_NS1_11comp_targetILNS1_3genE10ELNS1_11target_archE1201ELNS1_3gpuE5ELNS1_3repE0EEENS1_30default_config_static_selectorELNS0_4arch9wavefront6targetE1EEEvT1_
	.globl	_ZN7rocprim17ROCPRIM_400000_NS6detail17trampoline_kernelINS0_14default_configENS1_20scan_config_selectorItEEZZNS1_9scan_implILNS1_25lookback_scan_determinismE0ELb1ELb1ES3_N6thrust23THRUST_200600_302600_NS6detail15normal_iteratorINS9_10device_ptrItEEEESE_tNS9_4plusIvEEtEEDaPvRmT3_T4_T5_mT6_P12ihipStream_tbENKUlT_T0_E_clISt17integral_constantIbLb1EESU_EEDaSP_SQ_EUlSP_E_NS1_11comp_targetILNS1_3genE10ELNS1_11target_archE1201ELNS1_3gpuE5ELNS1_3repE0EEENS1_30default_config_static_selectorELNS0_4arch9wavefront6targetE1EEEvT1_
	.p2align	8
	.type	_ZN7rocprim17ROCPRIM_400000_NS6detail17trampoline_kernelINS0_14default_configENS1_20scan_config_selectorItEEZZNS1_9scan_implILNS1_25lookback_scan_determinismE0ELb1ELb1ES3_N6thrust23THRUST_200600_302600_NS6detail15normal_iteratorINS9_10device_ptrItEEEESE_tNS9_4plusIvEEtEEDaPvRmT3_T4_T5_mT6_P12ihipStream_tbENKUlT_T0_E_clISt17integral_constantIbLb1EESU_EEDaSP_SQ_EUlSP_E_NS1_11comp_targetILNS1_3genE10ELNS1_11target_archE1201ELNS1_3gpuE5ELNS1_3repE0EEENS1_30default_config_static_selectorELNS0_4arch9wavefront6targetE1EEEvT1_,@function
_ZN7rocprim17ROCPRIM_400000_NS6detail17trampoline_kernelINS0_14default_configENS1_20scan_config_selectorItEEZZNS1_9scan_implILNS1_25lookback_scan_determinismE0ELb1ELb1ES3_N6thrust23THRUST_200600_302600_NS6detail15normal_iteratorINS9_10device_ptrItEEEESE_tNS9_4plusIvEEtEEDaPvRmT3_T4_T5_mT6_P12ihipStream_tbENKUlT_T0_E_clISt17integral_constantIbLb1EESU_EEDaSP_SQ_EUlSP_E_NS1_11comp_targetILNS1_3genE10ELNS1_11target_archE1201ELNS1_3gpuE5ELNS1_3repE0EEENS1_30default_config_static_selectorELNS0_4arch9wavefront6targetE1EEEvT1_: ; @_ZN7rocprim17ROCPRIM_400000_NS6detail17trampoline_kernelINS0_14default_configENS1_20scan_config_selectorItEEZZNS1_9scan_implILNS1_25lookback_scan_determinismE0ELb1ELb1ES3_N6thrust23THRUST_200600_302600_NS6detail15normal_iteratorINS9_10device_ptrItEEEESE_tNS9_4plusIvEEtEEDaPvRmT3_T4_T5_mT6_P12ihipStream_tbENKUlT_T0_E_clISt17integral_constantIbLb1EESU_EEDaSP_SQ_EUlSP_E_NS1_11comp_targetILNS1_3genE10ELNS1_11target_archE1201ELNS1_3gpuE5ELNS1_3repE0EEENS1_30default_config_static_selectorELNS0_4arch9wavefront6targetE1EEEvT1_
; %bb.0:
	.section	.rodata,"a",@progbits
	.p2align	6, 0x0
	.amdhsa_kernel _ZN7rocprim17ROCPRIM_400000_NS6detail17trampoline_kernelINS0_14default_configENS1_20scan_config_selectorItEEZZNS1_9scan_implILNS1_25lookback_scan_determinismE0ELb1ELb1ES3_N6thrust23THRUST_200600_302600_NS6detail15normal_iteratorINS9_10device_ptrItEEEESE_tNS9_4plusIvEEtEEDaPvRmT3_T4_T5_mT6_P12ihipStream_tbENKUlT_T0_E_clISt17integral_constantIbLb1EESU_EEDaSP_SQ_EUlSP_E_NS1_11comp_targetILNS1_3genE10ELNS1_11target_archE1201ELNS1_3gpuE5ELNS1_3repE0EEENS1_30default_config_static_selectorELNS0_4arch9wavefront6targetE1EEEvT1_
		.amdhsa_group_segment_fixed_size 0
		.amdhsa_private_segment_fixed_size 0
		.amdhsa_kernarg_size 96
		.amdhsa_user_sgpr_count 6
		.amdhsa_user_sgpr_private_segment_buffer 1
		.amdhsa_user_sgpr_dispatch_ptr 0
		.amdhsa_user_sgpr_queue_ptr 0
		.amdhsa_user_sgpr_kernarg_segment_ptr 1
		.amdhsa_user_sgpr_dispatch_id 0
		.amdhsa_user_sgpr_flat_scratch_init 0
		.amdhsa_user_sgpr_kernarg_preload_length 0
		.amdhsa_user_sgpr_kernarg_preload_offset 0
		.amdhsa_user_sgpr_private_segment_size 0
		.amdhsa_uses_dynamic_stack 0
		.amdhsa_system_sgpr_private_segment_wavefront_offset 0
		.amdhsa_system_sgpr_workgroup_id_x 1
		.amdhsa_system_sgpr_workgroup_id_y 0
		.amdhsa_system_sgpr_workgroup_id_z 0
		.amdhsa_system_sgpr_workgroup_info 0
		.amdhsa_system_vgpr_workitem_id 0
		.amdhsa_next_free_vgpr 1
		.amdhsa_next_free_sgpr 0
		.amdhsa_accum_offset 4
		.amdhsa_reserve_vcc 0
		.amdhsa_reserve_flat_scratch 0
		.amdhsa_float_round_mode_32 0
		.amdhsa_float_round_mode_16_64 0
		.amdhsa_float_denorm_mode_32 3
		.amdhsa_float_denorm_mode_16_64 3
		.amdhsa_dx10_clamp 1
		.amdhsa_ieee_mode 1
		.amdhsa_fp16_overflow 0
		.amdhsa_tg_split 0
		.amdhsa_exception_fp_ieee_invalid_op 0
		.amdhsa_exception_fp_denorm_src 0
		.amdhsa_exception_fp_ieee_div_zero 0
		.amdhsa_exception_fp_ieee_overflow 0
		.amdhsa_exception_fp_ieee_underflow 0
		.amdhsa_exception_fp_ieee_inexact 0
		.amdhsa_exception_int_div_zero 0
	.end_amdhsa_kernel
	.section	.text._ZN7rocprim17ROCPRIM_400000_NS6detail17trampoline_kernelINS0_14default_configENS1_20scan_config_selectorItEEZZNS1_9scan_implILNS1_25lookback_scan_determinismE0ELb1ELb1ES3_N6thrust23THRUST_200600_302600_NS6detail15normal_iteratorINS9_10device_ptrItEEEESE_tNS9_4plusIvEEtEEDaPvRmT3_T4_T5_mT6_P12ihipStream_tbENKUlT_T0_E_clISt17integral_constantIbLb1EESU_EEDaSP_SQ_EUlSP_E_NS1_11comp_targetILNS1_3genE10ELNS1_11target_archE1201ELNS1_3gpuE5ELNS1_3repE0EEENS1_30default_config_static_selectorELNS0_4arch9wavefront6targetE1EEEvT1_,"axG",@progbits,_ZN7rocprim17ROCPRIM_400000_NS6detail17trampoline_kernelINS0_14default_configENS1_20scan_config_selectorItEEZZNS1_9scan_implILNS1_25lookback_scan_determinismE0ELb1ELb1ES3_N6thrust23THRUST_200600_302600_NS6detail15normal_iteratorINS9_10device_ptrItEEEESE_tNS9_4plusIvEEtEEDaPvRmT3_T4_T5_mT6_P12ihipStream_tbENKUlT_T0_E_clISt17integral_constantIbLb1EESU_EEDaSP_SQ_EUlSP_E_NS1_11comp_targetILNS1_3genE10ELNS1_11target_archE1201ELNS1_3gpuE5ELNS1_3repE0EEENS1_30default_config_static_selectorELNS0_4arch9wavefront6targetE1EEEvT1_,comdat
.Lfunc_end4813:
	.size	_ZN7rocprim17ROCPRIM_400000_NS6detail17trampoline_kernelINS0_14default_configENS1_20scan_config_selectorItEEZZNS1_9scan_implILNS1_25lookback_scan_determinismE0ELb1ELb1ES3_N6thrust23THRUST_200600_302600_NS6detail15normal_iteratorINS9_10device_ptrItEEEESE_tNS9_4plusIvEEtEEDaPvRmT3_T4_T5_mT6_P12ihipStream_tbENKUlT_T0_E_clISt17integral_constantIbLb1EESU_EEDaSP_SQ_EUlSP_E_NS1_11comp_targetILNS1_3genE10ELNS1_11target_archE1201ELNS1_3gpuE5ELNS1_3repE0EEENS1_30default_config_static_selectorELNS0_4arch9wavefront6targetE1EEEvT1_, .Lfunc_end4813-_ZN7rocprim17ROCPRIM_400000_NS6detail17trampoline_kernelINS0_14default_configENS1_20scan_config_selectorItEEZZNS1_9scan_implILNS1_25lookback_scan_determinismE0ELb1ELb1ES3_N6thrust23THRUST_200600_302600_NS6detail15normal_iteratorINS9_10device_ptrItEEEESE_tNS9_4plusIvEEtEEDaPvRmT3_T4_T5_mT6_P12ihipStream_tbENKUlT_T0_E_clISt17integral_constantIbLb1EESU_EEDaSP_SQ_EUlSP_E_NS1_11comp_targetILNS1_3genE10ELNS1_11target_archE1201ELNS1_3gpuE5ELNS1_3repE0EEENS1_30default_config_static_selectorELNS0_4arch9wavefront6targetE1EEEvT1_
                                        ; -- End function
	.section	.AMDGPU.csdata,"",@progbits
; Kernel info:
; codeLenInByte = 0
; NumSgprs: 4
; NumVgprs: 0
; NumAgprs: 0
; TotalNumVgprs: 0
; ScratchSize: 0
; MemoryBound: 0
; FloatMode: 240
; IeeeMode: 1
; LDSByteSize: 0 bytes/workgroup (compile time only)
; SGPRBlocks: 0
; VGPRBlocks: 0
; NumSGPRsForWavesPerEU: 4
; NumVGPRsForWavesPerEU: 1
; AccumOffset: 4
; Occupancy: 8
; WaveLimiterHint : 0
; COMPUTE_PGM_RSRC2:SCRATCH_EN: 0
; COMPUTE_PGM_RSRC2:USER_SGPR: 6
; COMPUTE_PGM_RSRC2:TRAP_HANDLER: 0
; COMPUTE_PGM_RSRC2:TGID_X_EN: 1
; COMPUTE_PGM_RSRC2:TGID_Y_EN: 0
; COMPUTE_PGM_RSRC2:TGID_Z_EN: 0
; COMPUTE_PGM_RSRC2:TIDIG_COMP_CNT: 0
; COMPUTE_PGM_RSRC3_GFX90A:ACCUM_OFFSET: 0
; COMPUTE_PGM_RSRC3_GFX90A:TG_SPLIT: 0
	.section	.text._ZN7rocprim17ROCPRIM_400000_NS6detail17trampoline_kernelINS0_14default_configENS1_20scan_config_selectorItEEZZNS1_9scan_implILNS1_25lookback_scan_determinismE0ELb1ELb1ES3_N6thrust23THRUST_200600_302600_NS6detail15normal_iteratorINS9_10device_ptrItEEEESE_tNS9_4plusIvEEtEEDaPvRmT3_T4_T5_mT6_P12ihipStream_tbENKUlT_T0_E_clISt17integral_constantIbLb1EESU_EEDaSP_SQ_EUlSP_E_NS1_11comp_targetILNS1_3genE10ELNS1_11target_archE1200ELNS1_3gpuE4ELNS1_3repE0EEENS1_30default_config_static_selectorELNS0_4arch9wavefront6targetE1EEEvT1_,"axG",@progbits,_ZN7rocprim17ROCPRIM_400000_NS6detail17trampoline_kernelINS0_14default_configENS1_20scan_config_selectorItEEZZNS1_9scan_implILNS1_25lookback_scan_determinismE0ELb1ELb1ES3_N6thrust23THRUST_200600_302600_NS6detail15normal_iteratorINS9_10device_ptrItEEEESE_tNS9_4plusIvEEtEEDaPvRmT3_T4_T5_mT6_P12ihipStream_tbENKUlT_T0_E_clISt17integral_constantIbLb1EESU_EEDaSP_SQ_EUlSP_E_NS1_11comp_targetILNS1_3genE10ELNS1_11target_archE1200ELNS1_3gpuE4ELNS1_3repE0EEENS1_30default_config_static_selectorELNS0_4arch9wavefront6targetE1EEEvT1_,comdat
	.protected	_ZN7rocprim17ROCPRIM_400000_NS6detail17trampoline_kernelINS0_14default_configENS1_20scan_config_selectorItEEZZNS1_9scan_implILNS1_25lookback_scan_determinismE0ELb1ELb1ES3_N6thrust23THRUST_200600_302600_NS6detail15normal_iteratorINS9_10device_ptrItEEEESE_tNS9_4plusIvEEtEEDaPvRmT3_T4_T5_mT6_P12ihipStream_tbENKUlT_T0_E_clISt17integral_constantIbLb1EESU_EEDaSP_SQ_EUlSP_E_NS1_11comp_targetILNS1_3genE10ELNS1_11target_archE1200ELNS1_3gpuE4ELNS1_3repE0EEENS1_30default_config_static_selectorELNS0_4arch9wavefront6targetE1EEEvT1_ ; -- Begin function _ZN7rocprim17ROCPRIM_400000_NS6detail17trampoline_kernelINS0_14default_configENS1_20scan_config_selectorItEEZZNS1_9scan_implILNS1_25lookback_scan_determinismE0ELb1ELb1ES3_N6thrust23THRUST_200600_302600_NS6detail15normal_iteratorINS9_10device_ptrItEEEESE_tNS9_4plusIvEEtEEDaPvRmT3_T4_T5_mT6_P12ihipStream_tbENKUlT_T0_E_clISt17integral_constantIbLb1EESU_EEDaSP_SQ_EUlSP_E_NS1_11comp_targetILNS1_3genE10ELNS1_11target_archE1200ELNS1_3gpuE4ELNS1_3repE0EEENS1_30default_config_static_selectorELNS0_4arch9wavefront6targetE1EEEvT1_
	.globl	_ZN7rocprim17ROCPRIM_400000_NS6detail17trampoline_kernelINS0_14default_configENS1_20scan_config_selectorItEEZZNS1_9scan_implILNS1_25lookback_scan_determinismE0ELb1ELb1ES3_N6thrust23THRUST_200600_302600_NS6detail15normal_iteratorINS9_10device_ptrItEEEESE_tNS9_4plusIvEEtEEDaPvRmT3_T4_T5_mT6_P12ihipStream_tbENKUlT_T0_E_clISt17integral_constantIbLb1EESU_EEDaSP_SQ_EUlSP_E_NS1_11comp_targetILNS1_3genE10ELNS1_11target_archE1200ELNS1_3gpuE4ELNS1_3repE0EEENS1_30default_config_static_selectorELNS0_4arch9wavefront6targetE1EEEvT1_
	.p2align	8
	.type	_ZN7rocprim17ROCPRIM_400000_NS6detail17trampoline_kernelINS0_14default_configENS1_20scan_config_selectorItEEZZNS1_9scan_implILNS1_25lookback_scan_determinismE0ELb1ELb1ES3_N6thrust23THRUST_200600_302600_NS6detail15normal_iteratorINS9_10device_ptrItEEEESE_tNS9_4plusIvEEtEEDaPvRmT3_T4_T5_mT6_P12ihipStream_tbENKUlT_T0_E_clISt17integral_constantIbLb1EESU_EEDaSP_SQ_EUlSP_E_NS1_11comp_targetILNS1_3genE10ELNS1_11target_archE1200ELNS1_3gpuE4ELNS1_3repE0EEENS1_30default_config_static_selectorELNS0_4arch9wavefront6targetE1EEEvT1_,@function
_ZN7rocprim17ROCPRIM_400000_NS6detail17trampoline_kernelINS0_14default_configENS1_20scan_config_selectorItEEZZNS1_9scan_implILNS1_25lookback_scan_determinismE0ELb1ELb1ES3_N6thrust23THRUST_200600_302600_NS6detail15normal_iteratorINS9_10device_ptrItEEEESE_tNS9_4plusIvEEtEEDaPvRmT3_T4_T5_mT6_P12ihipStream_tbENKUlT_T0_E_clISt17integral_constantIbLb1EESU_EEDaSP_SQ_EUlSP_E_NS1_11comp_targetILNS1_3genE10ELNS1_11target_archE1200ELNS1_3gpuE4ELNS1_3repE0EEENS1_30default_config_static_selectorELNS0_4arch9wavefront6targetE1EEEvT1_: ; @_ZN7rocprim17ROCPRIM_400000_NS6detail17trampoline_kernelINS0_14default_configENS1_20scan_config_selectorItEEZZNS1_9scan_implILNS1_25lookback_scan_determinismE0ELb1ELb1ES3_N6thrust23THRUST_200600_302600_NS6detail15normal_iteratorINS9_10device_ptrItEEEESE_tNS9_4plusIvEEtEEDaPvRmT3_T4_T5_mT6_P12ihipStream_tbENKUlT_T0_E_clISt17integral_constantIbLb1EESU_EEDaSP_SQ_EUlSP_E_NS1_11comp_targetILNS1_3genE10ELNS1_11target_archE1200ELNS1_3gpuE4ELNS1_3repE0EEENS1_30default_config_static_selectorELNS0_4arch9wavefront6targetE1EEEvT1_
; %bb.0:
	.section	.rodata,"a",@progbits
	.p2align	6, 0x0
	.amdhsa_kernel _ZN7rocprim17ROCPRIM_400000_NS6detail17trampoline_kernelINS0_14default_configENS1_20scan_config_selectorItEEZZNS1_9scan_implILNS1_25lookback_scan_determinismE0ELb1ELb1ES3_N6thrust23THRUST_200600_302600_NS6detail15normal_iteratorINS9_10device_ptrItEEEESE_tNS9_4plusIvEEtEEDaPvRmT3_T4_T5_mT6_P12ihipStream_tbENKUlT_T0_E_clISt17integral_constantIbLb1EESU_EEDaSP_SQ_EUlSP_E_NS1_11comp_targetILNS1_3genE10ELNS1_11target_archE1200ELNS1_3gpuE4ELNS1_3repE0EEENS1_30default_config_static_selectorELNS0_4arch9wavefront6targetE1EEEvT1_
		.amdhsa_group_segment_fixed_size 0
		.amdhsa_private_segment_fixed_size 0
		.amdhsa_kernarg_size 96
		.amdhsa_user_sgpr_count 6
		.amdhsa_user_sgpr_private_segment_buffer 1
		.amdhsa_user_sgpr_dispatch_ptr 0
		.amdhsa_user_sgpr_queue_ptr 0
		.amdhsa_user_sgpr_kernarg_segment_ptr 1
		.amdhsa_user_sgpr_dispatch_id 0
		.amdhsa_user_sgpr_flat_scratch_init 0
		.amdhsa_user_sgpr_kernarg_preload_length 0
		.amdhsa_user_sgpr_kernarg_preload_offset 0
		.amdhsa_user_sgpr_private_segment_size 0
		.amdhsa_uses_dynamic_stack 0
		.amdhsa_system_sgpr_private_segment_wavefront_offset 0
		.amdhsa_system_sgpr_workgroup_id_x 1
		.amdhsa_system_sgpr_workgroup_id_y 0
		.amdhsa_system_sgpr_workgroup_id_z 0
		.amdhsa_system_sgpr_workgroup_info 0
		.amdhsa_system_vgpr_workitem_id 0
		.amdhsa_next_free_vgpr 1
		.amdhsa_next_free_sgpr 0
		.amdhsa_accum_offset 4
		.amdhsa_reserve_vcc 0
		.amdhsa_reserve_flat_scratch 0
		.amdhsa_float_round_mode_32 0
		.amdhsa_float_round_mode_16_64 0
		.amdhsa_float_denorm_mode_32 3
		.amdhsa_float_denorm_mode_16_64 3
		.amdhsa_dx10_clamp 1
		.amdhsa_ieee_mode 1
		.amdhsa_fp16_overflow 0
		.amdhsa_tg_split 0
		.amdhsa_exception_fp_ieee_invalid_op 0
		.amdhsa_exception_fp_denorm_src 0
		.amdhsa_exception_fp_ieee_div_zero 0
		.amdhsa_exception_fp_ieee_overflow 0
		.amdhsa_exception_fp_ieee_underflow 0
		.amdhsa_exception_fp_ieee_inexact 0
		.amdhsa_exception_int_div_zero 0
	.end_amdhsa_kernel
	.section	.text._ZN7rocprim17ROCPRIM_400000_NS6detail17trampoline_kernelINS0_14default_configENS1_20scan_config_selectorItEEZZNS1_9scan_implILNS1_25lookback_scan_determinismE0ELb1ELb1ES3_N6thrust23THRUST_200600_302600_NS6detail15normal_iteratorINS9_10device_ptrItEEEESE_tNS9_4plusIvEEtEEDaPvRmT3_T4_T5_mT6_P12ihipStream_tbENKUlT_T0_E_clISt17integral_constantIbLb1EESU_EEDaSP_SQ_EUlSP_E_NS1_11comp_targetILNS1_3genE10ELNS1_11target_archE1200ELNS1_3gpuE4ELNS1_3repE0EEENS1_30default_config_static_selectorELNS0_4arch9wavefront6targetE1EEEvT1_,"axG",@progbits,_ZN7rocprim17ROCPRIM_400000_NS6detail17trampoline_kernelINS0_14default_configENS1_20scan_config_selectorItEEZZNS1_9scan_implILNS1_25lookback_scan_determinismE0ELb1ELb1ES3_N6thrust23THRUST_200600_302600_NS6detail15normal_iteratorINS9_10device_ptrItEEEESE_tNS9_4plusIvEEtEEDaPvRmT3_T4_T5_mT6_P12ihipStream_tbENKUlT_T0_E_clISt17integral_constantIbLb1EESU_EEDaSP_SQ_EUlSP_E_NS1_11comp_targetILNS1_3genE10ELNS1_11target_archE1200ELNS1_3gpuE4ELNS1_3repE0EEENS1_30default_config_static_selectorELNS0_4arch9wavefront6targetE1EEEvT1_,comdat
.Lfunc_end4814:
	.size	_ZN7rocprim17ROCPRIM_400000_NS6detail17trampoline_kernelINS0_14default_configENS1_20scan_config_selectorItEEZZNS1_9scan_implILNS1_25lookback_scan_determinismE0ELb1ELb1ES3_N6thrust23THRUST_200600_302600_NS6detail15normal_iteratorINS9_10device_ptrItEEEESE_tNS9_4plusIvEEtEEDaPvRmT3_T4_T5_mT6_P12ihipStream_tbENKUlT_T0_E_clISt17integral_constantIbLb1EESU_EEDaSP_SQ_EUlSP_E_NS1_11comp_targetILNS1_3genE10ELNS1_11target_archE1200ELNS1_3gpuE4ELNS1_3repE0EEENS1_30default_config_static_selectorELNS0_4arch9wavefront6targetE1EEEvT1_, .Lfunc_end4814-_ZN7rocprim17ROCPRIM_400000_NS6detail17trampoline_kernelINS0_14default_configENS1_20scan_config_selectorItEEZZNS1_9scan_implILNS1_25lookback_scan_determinismE0ELb1ELb1ES3_N6thrust23THRUST_200600_302600_NS6detail15normal_iteratorINS9_10device_ptrItEEEESE_tNS9_4plusIvEEtEEDaPvRmT3_T4_T5_mT6_P12ihipStream_tbENKUlT_T0_E_clISt17integral_constantIbLb1EESU_EEDaSP_SQ_EUlSP_E_NS1_11comp_targetILNS1_3genE10ELNS1_11target_archE1200ELNS1_3gpuE4ELNS1_3repE0EEENS1_30default_config_static_selectorELNS0_4arch9wavefront6targetE1EEEvT1_
                                        ; -- End function
	.section	.AMDGPU.csdata,"",@progbits
; Kernel info:
; codeLenInByte = 0
; NumSgprs: 4
; NumVgprs: 0
; NumAgprs: 0
; TotalNumVgprs: 0
; ScratchSize: 0
; MemoryBound: 0
; FloatMode: 240
; IeeeMode: 1
; LDSByteSize: 0 bytes/workgroup (compile time only)
; SGPRBlocks: 0
; VGPRBlocks: 0
; NumSGPRsForWavesPerEU: 4
; NumVGPRsForWavesPerEU: 1
; AccumOffset: 4
; Occupancy: 8
; WaveLimiterHint : 0
; COMPUTE_PGM_RSRC2:SCRATCH_EN: 0
; COMPUTE_PGM_RSRC2:USER_SGPR: 6
; COMPUTE_PGM_RSRC2:TRAP_HANDLER: 0
; COMPUTE_PGM_RSRC2:TGID_X_EN: 1
; COMPUTE_PGM_RSRC2:TGID_Y_EN: 0
; COMPUTE_PGM_RSRC2:TGID_Z_EN: 0
; COMPUTE_PGM_RSRC2:TIDIG_COMP_CNT: 0
; COMPUTE_PGM_RSRC3_GFX90A:ACCUM_OFFSET: 0
; COMPUTE_PGM_RSRC3_GFX90A:TG_SPLIT: 0
	.section	.text._ZN7rocprim17ROCPRIM_400000_NS6detail17trampoline_kernelINS0_14default_configENS1_20scan_config_selectorItEEZZNS1_9scan_implILNS1_25lookback_scan_determinismE0ELb1ELb1ES3_N6thrust23THRUST_200600_302600_NS6detail15normal_iteratorINS9_10device_ptrItEEEESE_tNS9_4plusIvEEtEEDaPvRmT3_T4_T5_mT6_P12ihipStream_tbENKUlT_T0_E_clISt17integral_constantIbLb1EESU_EEDaSP_SQ_EUlSP_E_NS1_11comp_targetILNS1_3genE9ELNS1_11target_archE1100ELNS1_3gpuE3ELNS1_3repE0EEENS1_30default_config_static_selectorELNS0_4arch9wavefront6targetE1EEEvT1_,"axG",@progbits,_ZN7rocprim17ROCPRIM_400000_NS6detail17trampoline_kernelINS0_14default_configENS1_20scan_config_selectorItEEZZNS1_9scan_implILNS1_25lookback_scan_determinismE0ELb1ELb1ES3_N6thrust23THRUST_200600_302600_NS6detail15normal_iteratorINS9_10device_ptrItEEEESE_tNS9_4plusIvEEtEEDaPvRmT3_T4_T5_mT6_P12ihipStream_tbENKUlT_T0_E_clISt17integral_constantIbLb1EESU_EEDaSP_SQ_EUlSP_E_NS1_11comp_targetILNS1_3genE9ELNS1_11target_archE1100ELNS1_3gpuE3ELNS1_3repE0EEENS1_30default_config_static_selectorELNS0_4arch9wavefront6targetE1EEEvT1_,comdat
	.protected	_ZN7rocprim17ROCPRIM_400000_NS6detail17trampoline_kernelINS0_14default_configENS1_20scan_config_selectorItEEZZNS1_9scan_implILNS1_25lookback_scan_determinismE0ELb1ELb1ES3_N6thrust23THRUST_200600_302600_NS6detail15normal_iteratorINS9_10device_ptrItEEEESE_tNS9_4plusIvEEtEEDaPvRmT3_T4_T5_mT6_P12ihipStream_tbENKUlT_T0_E_clISt17integral_constantIbLb1EESU_EEDaSP_SQ_EUlSP_E_NS1_11comp_targetILNS1_3genE9ELNS1_11target_archE1100ELNS1_3gpuE3ELNS1_3repE0EEENS1_30default_config_static_selectorELNS0_4arch9wavefront6targetE1EEEvT1_ ; -- Begin function _ZN7rocprim17ROCPRIM_400000_NS6detail17trampoline_kernelINS0_14default_configENS1_20scan_config_selectorItEEZZNS1_9scan_implILNS1_25lookback_scan_determinismE0ELb1ELb1ES3_N6thrust23THRUST_200600_302600_NS6detail15normal_iteratorINS9_10device_ptrItEEEESE_tNS9_4plusIvEEtEEDaPvRmT3_T4_T5_mT6_P12ihipStream_tbENKUlT_T0_E_clISt17integral_constantIbLb1EESU_EEDaSP_SQ_EUlSP_E_NS1_11comp_targetILNS1_3genE9ELNS1_11target_archE1100ELNS1_3gpuE3ELNS1_3repE0EEENS1_30default_config_static_selectorELNS0_4arch9wavefront6targetE1EEEvT1_
	.globl	_ZN7rocprim17ROCPRIM_400000_NS6detail17trampoline_kernelINS0_14default_configENS1_20scan_config_selectorItEEZZNS1_9scan_implILNS1_25lookback_scan_determinismE0ELb1ELb1ES3_N6thrust23THRUST_200600_302600_NS6detail15normal_iteratorINS9_10device_ptrItEEEESE_tNS9_4plusIvEEtEEDaPvRmT3_T4_T5_mT6_P12ihipStream_tbENKUlT_T0_E_clISt17integral_constantIbLb1EESU_EEDaSP_SQ_EUlSP_E_NS1_11comp_targetILNS1_3genE9ELNS1_11target_archE1100ELNS1_3gpuE3ELNS1_3repE0EEENS1_30default_config_static_selectorELNS0_4arch9wavefront6targetE1EEEvT1_
	.p2align	8
	.type	_ZN7rocprim17ROCPRIM_400000_NS6detail17trampoline_kernelINS0_14default_configENS1_20scan_config_selectorItEEZZNS1_9scan_implILNS1_25lookback_scan_determinismE0ELb1ELb1ES3_N6thrust23THRUST_200600_302600_NS6detail15normal_iteratorINS9_10device_ptrItEEEESE_tNS9_4plusIvEEtEEDaPvRmT3_T4_T5_mT6_P12ihipStream_tbENKUlT_T0_E_clISt17integral_constantIbLb1EESU_EEDaSP_SQ_EUlSP_E_NS1_11comp_targetILNS1_3genE9ELNS1_11target_archE1100ELNS1_3gpuE3ELNS1_3repE0EEENS1_30default_config_static_selectorELNS0_4arch9wavefront6targetE1EEEvT1_,@function
_ZN7rocprim17ROCPRIM_400000_NS6detail17trampoline_kernelINS0_14default_configENS1_20scan_config_selectorItEEZZNS1_9scan_implILNS1_25lookback_scan_determinismE0ELb1ELb1ES3_N6thrust23THRUST_200600_302600_NS6detail15normal_iteratorINS9_10device_ptrItEEEESE_tNS9_4plusIvEEtEEDaPvRmT3_T4_T5_mT6_P12ihipStream_tbENKUlT_T0_E_clISt17integral_constantIbLb1EESU_EEDaSP_SQ_EUlSP_E_NS1_11comp_targetILNS1_3genE9ELNS1_11target_archE1100ELNS1_3gpuE3ELNS1_3repE0EEENS1_30default_config_static_selectorELNS0_4arch9wavefront6targetE1EEEvT1_: ; @_ZN7rocprim17ROCPRIM_400000_NS6detail17trampoline_kernelINS0_14default_configENS1_20scan_config_selectorItEEZZNS1_9scan_implILNS1_25lookback_scan_determinismE0ELb1ELb1ES3_N6thrust23THRUST_200600_302600_NS6detail15normal_iteratorINS9_10device_ptrItEEEESE_tNS9_4plusIvEEtEEDaPvRmT3_T4_T5_mT6_P12ihipStream_tbENKUlT_T0_E_clISt17integral_constantIbLb1EESU_EEDaSP_SQ_EUlSP_E_NS1_11comp_targetILNS1_3genE9ELNS1_11target_archE1100ELNS1_3gpuE3ELNS1_3repE0EEENS1_30default_config_static_selectorELNS0_4arch9wavefront6targetE1EEEvT1_
; %bb.0:
	.section	.rodata,"a",@progbits
	.p2align	6, 0x0
	.amdhsa_kernel _ZN7rocprim17ROCPRIM_400000_NS6detail17trampoline_kernelINS0_14default_configENS1_20scan_config_selectorItEEZZNS1_9scan_implILNS1_25lookback_scan_determinismE0ELb1ELb1ES3_N6thrust23THRUST_200600_302600_NS6detail15normal_iteratorINS9_10device_ptrItEEEESE_tNS9_4plusIvEEtEEDaPvRmT3_T4_T5_mT6_P12ihipStream_tbENKUlT_T0_E_clISt17integral_constantIbLb1EESU_EEDaSP_SQ_EUlSP_E_NS1_11comp_targetILNS1_3genE9ELNS1_11target_archE1100ELNS1_3gpuE3ELNS1_3repE0EEENS1_30default_config_static_selectorELNS0_4arch9wavefront6targetE1EEEvT1_
		.amdhsa_group_segment_fixed_size 0
		.amdhsa_private_segment_fixed_size 0
		.amdhsa_kernarg_size 96
		.amdhsa_user_sgpr_count 6
		.amdhsa_user_sgpr_private_segment_buffer 1
		.amdhsa_user_sgpr_dispatch_ptr 0
		.amdhsa_user_sgpr_queue_ptr 0
		.amdhsa_user_sgpr_kernarg_segment_ptr 1
		.amdhsa_user_sgpr_dispatch_id 0
		.amdhsa_user_sgpr_flat_scratch_init 0
		.amdhsa_user_sgpr_kernarg_preload_length 0
		.amdhsa_user_sgpr_kernarg_preload_offset 0
		.amdhsa_user_sgpr_private_segment_size 0
		.amdhsa_uses_dynamic_stack 0
		.amdhsa_system_sgpr_private_segment_wavefront_offset 0
		.amdhsa_system_sgpr_workgroup_id_x 1
		.amdhsa_system_sgpr_workgroup_id_y 0
		.amdhsa_system_sgpr_workgroup_id_z 0
		.amdhsa_system_sgpr_workgroup_info 0
		.amdhsa_system_vgpr_workitem_id 0
		.amdhsa_next_free_vgpr 1
		.amdhsa_next_free_sgpr 0
		.amdhsa_accum_offset 4
		.amdhsa_reserve_vcc 0
		.amdhsa_reserve_flat_scratch 0
		.amdhsa_float_round_mode_32 0
		.amdhsa_float_round_mode_16_64 0
		.amdhsa_float_denorm_mode_32 3
		.amdhsa_float_denorm_mode_16_64 3
		.amdhsa_dx10_clamp 1
		.amdhsa_ieee_mode 1
		.amdhsa_fp16_overflow 0
		.amdhsa_tg_split 0
		.amdhsa_exception_fp_ieee_invalid_op 0
		.amdhsa_exception_fp_denorm_src 0
		.amdhsa_exception_fp_ieee_div_zero 0
		.amdhsa_exception_fp_ieee_overflow 0
		.amdhsa_exception_fp_ieee_underflow 0
		.amdhsa_exception_fp_ieee_inexact 0
		.amdhsa_exception_int_div_zero 0
	.end_amdhsa_kernel
	.section	.text._ZN7rocprim17ROCPRIM_400000_NS6detail17trampoline_kernelINS0_14default_configENS1_20scan_config_selectorItEEZZNS1_9scan_implILNS1_25lookback_scan_determinismE0ELb1ELb1ES3_N6thrust23THRUST_200600_302600_NS6detail15normal_iteratorINS9_10device_ptrItEEEESE_tNS9_4plusIvEEtEEDaPvRmT3_T4_T5_mT6_P12ihipStream_tbENKUlT_T0_E_clISt17integral_constantIbLb1EESU_EEDaSP_SQ_EUlSP_E_NS1_11comp_targetILNS1_3genE9ELNS1_11target_archE1100ELNS1_3gpuE3ELNS1_3repE0EEENS1_30default_config_static_selectorELNS0_4arch9wavefront6targetE1EEEvT1_,"axG",@progbits,_ZN7rocprim17ROCPRIM_400000_NS6detail17trampoline_kernelINS0_14default_configENS1_20scan_config_selectorItEEZZNS1_9scan_implILNS1_25lookback_scan_determinismE0ELb1ELb1ES3_N6thrust23THRUST_200600_302600_NS6detail15normal_iteratorINS9_10device_ptrItEEEESE_tNS9_4plusIvEEtEEDaPvRmT3_T4_T5_mT6_P12ihipStream_tbENKUlT_T0_E_clISt17integral_constantIbLb1EESU_EEDaSP_SQ_EUlSP_E_NS1_11comp_targetILNS1_3genE9ELNS1_11target_archE1100ELNS1_3gpuE3ELNS1_3repE0EEENS1_30default_config_static_selectorELNS0_4arch9wavefront6targetE1EEEvT1_,comdat
.Lfunc_end4815:
	.size	_ZN7rocprim17ROCPRIM_400000_NS6detail17trampoline_kernelINS0_14default_configENS1_20scan_config_selectorItEEZZNS1_9scan_implILNS1_25lookback_scan_determinismE0ELb1ELb1ES3_N6thrust23THRUST_200600_302600_NS6detail15normal_iteratorINS9_10device_ptrItEEEESE_tNS9_4plusIvEEtEEDaPvRmT3_T4_T5_mT6_P12ihipStream_tbENKUlT_T0_E_clISt17integral_constantIbLb1EESU_EEDaSP_SQ_EUlSP_E_NS1_11comp_targetILNS1_3genE9ELNS1_11target_archE1100ELNS1_3gpuE3ELNS1_3repE0EEENS1_30default_config_static_selectorELNS0_4arch9wavefront6targetE1EEEvT1_, .Lfunc_end4815-_ZN7rocprim17ROCPRIM_400000_NS6detail17trampoline_kernelINS0_14default_configENS1_20scan_config_selectorItEEZZNS1_9scan_implILNS1_25lookback_scan_determinismE0ELb1ELb1ES3_N6thrust23THRUST_200600_302600_NS6detail15normal_iteratorINS9_10device_ptrItEEEESE_tNS9_4plusIvEEtEEDaPvRmT3_T4_T5_mT6_P12ihipStream_tbENKUlT_T0_E_clISt17integral_constantIbLb1EESU_EEDaSP_SQ_EUlSP_E_NS1_11comp_targetILNS1_3genE9ELNS1_11target_archE1100ELNS1_3gpuE3ELNS1_3repE0EEENS1_30default_config_static_selectorELNS0_4arch9wavefront6targetE1EEEvT1_
                                        ; -- End function
	.section	.AMDGPU.csdata,"",@progbits
; Kernel info:
; codeLenInByte = 0
; NumSgprs: 4
; NumVgprs: 0
; NumAgprs: 0
; TotalNumVgprs: 0
; ScratchSize: 0
; MemoryBound: 0
; FloatMode: 240
; IeeeMode: 1
; LDSByteSize: 0 bytes/workgroup (compile time only)
; SGPRBlocks: 0
; VGPRBlocks: 0
; NumSGPRsForWavesPerEU: 4
; NumVGPRsForWavesPerEU: 1
; AccumOffset: 4
; Occupancy: 8
; WaveLimiterHint : 0
; COMPUTE_PGM_RSRC2:SCRATCH_EN: 0
; COMPUTE_PGM_RSRC2:USER_SGPR: 6
; COMPUTE_PGM_RSRC2:TRAP_HANDLER: 0
; COMPUTE_PGM_RSRC2:TGID_X_EN: 1
; COMPUTE_PGM_RSRC2:TGID_Y_EN: 0
; COMPUTE_PGM_RSRC2:TGID_Z_EN: 0
; COMPUTE_PGM_RSRC2:TIDIG_COMP_CNT: 0
; COMPUTE_PGM_RSRC3_GFX90A:ACCUM_OFFSET: 0
; COMPUTE_PGM_RSRC3_GFX90A:TG_SPLIT: 0
	.section	.text._ZN7rocprim17ROCPRIM_400000_NS6detail17trampoline_kernelINS0_14default_configENS1_20scan_config_selectorItEEZZNS1_9scan_implILNS1_25lookback_scan_determinismE0ELb1ELb1ES3_N6thrust23THRUST_200600_302600_NS6detail15normal_iteratorINS9_10device_ptrItEEEESE_tNS9_4plusIvEEtEEDaPvRmT3_T4_T5_mT6_P12ihipStream_tbENKUlT_T0_E_clISt17integral_constantIbLb1EESU_EEDaSP_SQ_EUlSP_E_NS1_11comp_targetILNS1_3genE8ELNS1_11target_archE1030ELNS1_3gpuE2ELNS1_3repE0EEENS1_30default_config_static_selectorELNS0_4arch9wavefront6targetE1EEEvT1_,"axG",@progbits,_ZN7rocprim17ROCPRIM_400000_NS6detail17trampoline_kernelINS0_14default_configENS1_20scan_config_selectorItEEZZNS1_9scan_implILNS1_25lookback_scan_determinismE0ELb1ELb1ES3_N6thrust23THRUST_200600_302600_NS6detail15normal_iteratorINS9_10device_ptrItEEEESE_tNS9_4plusIvEEtEEDaPvRmT3_T4_T5_mT6_P12ihipStream_tbENKUlT_T0_E_clISt17integral_constantIbLb1EESU_EEDaSP_SQ_EUlSP_E_NS1_11comp_targetILNS1_3genE8ELNS1_11target_archE1030ELNS1_3gpuE2ELNS1_3repE0EEENS1_30default_config_static_selectorELNS0_4arch9wavefront6targetE1EEEvT1_,comdat
	.protected	_ZN7rocprim17ROCPRIM_400000_NS6detail17trampoline_kernelINS0_14default_configENS1_20scan_config_selectorItEEZZNS1_9scan_implILNS1_25lookback_scan_determinismE0ELb1ELb1ES3_N6thrust23THRUST_200600_302600_NS6detail15normal_iteratorINS9_10device_ptrItEEEESE_tNS9_4plusIvEEtEEDaPvRmT3_T4_T5_mT6_P12ihipStream_tbENKUlT_T0_E_clISt17integral_constantIbLb1EESU_EEDaSP_SQ_EUlSP_E_NS1_11comp_targetILNS1_3genE8ELNS1_11target_archE1030ELNS1_3gpuE2ELNS1_3repE0EEENS1_30default_config_static_selectorELNS0_4arch9wavefront6targetE1EEEvT1_ ; -- Begin function _ZN7rocprim17ROCPRIM_400000_NS6detail17trampoline_kernelINS0_14default_configENS1_20scan_config_selectorItEEZZNS1_9scan_implILNS1_25lookback_scan_determinismE0ELb1ELb1ES3_N6thrust23THRUST_200600_302600_NS6detail15normal_iteratorINS9_10device_ptrItEEEESE_tNS9_4plusIvEEtEEDaPvRmT3_T4_T5_mT6_P12ihipStream_tbENKUlT_T0_E_clISt17integral_constantIbLb1EESU_EEDaSP_SQ_EUlSP_E_NS1_11comp_targetILNS1_3genE8ELNS1_11target_archE1030ELNS1_3gpuE2ELNS1_3repE0EEENS1_30default_config_static_selectorELNS0_4arch9wavefront6targetE1EEEvT1_
	.globl	_ZN7rocprim17ROCPRIM_400000_NS6detail17trampoline_kernelINS0_14default_configENS1_20scan_config_selectorItEEZZNS1_9scan_implILNS1_25lookback_scan_determinismE0ELb1ELb1ES3_N6thrust23THRUST_200600_302600_NS6detail15normal_iteratorINS9_10device_ptrItEEEESE_tNS9_4plusIvEEtEEDaPvRmT3_T4_T5_mT6_P12ihipStream_tbENKUlT_T0_E_clISt17integral_constantIbLb1EESU_EEDaSP_SQ_EUlSP_E_NS1_11comp_targetILNS1_3genE8ELNS1_11target_archE1030ELNS1_3gpuE2ELNS1_3repE0EEENS1_30default_config_static_selectorELNS0_4arch9wavefront6targetE1EEEvT1_
	.p2align	8
	.type	_ZN7rocprim17ROCPRIM_400000_NS6detail17trampoline_kernelINS0_14default_configENS1_20scan_config_selectorItEEZZNS1_9scan_implILNS1_25lookback_scan_determinismE0ELb1ELb1ES3_N6thrust23THRUST_200600_302600_NS6detail15normal_iteratorINS9_10device_ptrItEEEESE_tNS9_4plusIvEEtEEDaPvRmT3_T4_T5_mT6_P12ihipStream_tbENKUlT_T0_E_clISt17integral_constantIbLb1EESU_EEDaSP_SQ_EUlSP_E_NS1_11comp_targetILNS1_3genE8ELNS1_11target_archE1030ELNS1_3gpuE2ELNS1_3repE0EEENS1_30default_config_static_selectorELNS0_4arch9wavefront6targetE1EEEvT1_,@function
_ZN7rocprim17ROCPRIM_400000_NS6detail17trampoline_kernelINS0_14default_configENS1_20scan_config_selectorItEEZZNS1_9scan_implILNS1_25lookback_scan_determinismE0ELb1ELb1ES3_N6thrust23THRUST_200600_302600_NS6detail15normal_iteratorINS9_10device_ptrItEEEESE_tNS9_4plusIvEEtEEDaPvRmT3_T4_T5_mT6_P12ihipStream_tbENKUlT_T0_E_clISt17integral_constantIbLb1EESU_EEDaSP_SQ_EUlSP_E_NS1_11comp_targetILNS1_3genE8ELNS1_11target_archE1030ELNS1_3gpuE2ELNS1_3repE0EEENS1_30default_config_static_selectorELNS0_4arch9wavefront6targetE1EEEvT1_: ; @_ZN7rocprim17ROCPRIM_400000_NS6detail17trampoline_kernelINS0_14default_configENS1_20scan_config_selectorItEEZZNS1_9scan_implILNS1_25lookback_scan_determinismE0ELb1ELb1ES3_N6thrust23THRUST_200600_302600_NS6detail15normal_iteratorINS9_10device_ptrItEEEESE_tNS9_4plusIvEEtEEDaPvRmT3_T4_T5_mT6_P12ihipStream_tbENKUlT_T0_E_clISt17integral_constantIbLb1EESU_EEDaSP_SQ_EUlSP_E_NS1_11comp_targetILNS1_3genE8ELNS1_11target_archE1030ELNS1_3gpuE2ELNS1_3repE0EEENS1_30default_config_static_selectorELNS0_4arch9wavefront6targetE1EEEvT1_
; %bb.0:
	.section	.rodata,"a",@progbits
	.p2align	6, 0x0
	.amdhsa_kernel _ZN7rocprim17ROCPRIM_400000_NS6detail17trampoline_kernelINS0_14default_configENS1_20scan_config_selectorItEEZZNS1_9scan_implILNS1_25lookback_scan_determinismE0ELb1ELb1ES3_N6thrust23THRUST_200600_302600_NS6detail15normal_iteratorINS9_10device_ptrItEEEESE_tNS9_4plusIvEEtEEDaPvRmT3_T4_T5_mT6_P12ihipStream_tbENKUlT_T0_E_clISt17integral_constantIbLb1EESU_EEDaSP_SQ_EUlSP_E_NS1_11comp_targetILNS1_3genE8ELNS1_11target_archE1030ELNS1_3gpuE2ELNS1_3repE0EEENS1_30default_config_static_selectorELNS0_4arch9wavefront6targetE1EEEvT1_
		.amdhsa_group_segment_fixed_size 0
		.amdhsa_private_segment_fixed_size 0
		.amdhsa_kernarg_size 96
		.amdhsa_user_sgpr_count 6
		.amdhsa_user_sgpr_private_segment_buffer 1
		.amdhsa_user_sgpr_dispatch_ptr 0
		.amdhsa_user_sgpr_queue_ptr 0
		.amdhsa_user_sgpr_kernarg_segment_ptr 1
		.amdhsa_user_sgpr_dispatch_id 0
		.amdhsa_user_sgpr_flat_scratch_init 0
		.amdhsa_user_sgpr_kernarg_preload_length 0
		.amdhsa_user_sgpr_kernarg_preload_offset 0
		.amdhsa_user_sgpr_private_segment_size 0
		.amdhsa_uses_dynamic_stack 0
		.amdhsa_system_sgpr_private_segment_wavefront_offset 0
		.amdhsa_system_sgpr_workgroup_id_x 1
		.amdhsa_system_sgpr_workgroup_id_y 0
		.amdhsa_system_sgpr_workgroup_id_z 0
		.amdhsa_system_sgpr_workgroup_info 0
		.amdhsa_system_vgpr_workitem_id 0
		.amdhsa_next_free_vgpr 1
		.amdhsa_next_free_sgpr 0
		.amdhsa_accum_offset 4
		.amdhsa_reserve_vcc 0
		.amdhsa_reserve_flat_scratch 0
		.amdhsa_float_round_mode_32 0
		.amdhsa_float_round_mode_16_64 0
		.amdhsa_float_denorm_mode_32 3
		.amdhsa_float_denorm_mode_16_64 3
		.amdhsa_dx10_clamp 1
		.amdhsa_ieee_mode 1
		.amdhsa_fp16_overflow 0
		.amdhsa_tg_split 0
		.amdhsa_exception_fp_ieee_invalid_op 0
		.amdhsa_exception_fp_denorm_src 0
		.amdhsa_exception_fp_ieee_div_zero 0
		.amdhsa_exception_fp_ieee_overflow 0
		.amdhsa_exception_fp_ieee_underflow 0
		.amdhsa_exception_fp_ieee_inexact 0
		.amdhsa_exception_int_div_zero 0
	.end_amdhsa_kernel
	.section	.text._ZN7rocprim17ROCPRIM_400000_NS6detail17trampoline_kernelINS0_14default_configENS1_20scan_config_selectorItEEZZNS1_9scan_implILNS1_25lookback_scan_determinismE0ELb1ELb1ES3_N6thrust23THRUST_200600_302600_NS6detail15normal_iteratorINS9_10device_ptrItEEEESE_tNS9_4plusIvEEtEEDaPvRmT3_T4_T5_mT6_P12ihipStream_tbENKUlT_T0_E_clISt17integral_constantIbLb1EESU_EEDaSP_SQ_EUlSP_E_NS1_11comp_targetILNS1_3genE8ELNS1_11target_archE1030ELNS1_3gpuE2ELNS1_3repE0EEENS1_30default_config_static_selectorELNS0_4arch9wavefront6targetE1EEEvT1_,"axG",@progbits,_ZN7rocprim17ROCPRIM_400000_NS6detail17trampoline_kernelINS0_14default_configENS1_20scan_config_selectorItEEZZNS1_9scan_implILNS1_25lookback_scan_determinismE0ELb1ELb1ES3_N6thrust23THRUST_200600_302600_NS6detail15normal_iteratorINS9_10device_ptrItEEEESE_tNS9_4plusIvEEtEEDaPvRmT3_T4_T5_mT6_P12ihipStream_tbENKUlT_T0_E_clISt17integral_constantIbLb1EESU_EEDaSP_SQ_EUlSP_E_NS1_11comp_targetILNS1_3genE8ELNS1_11target_archE1030ELNS1_3gpuE2ELNS1_3repE0EEENS1_30default_config_static_selectorELNS0_4arch9wavefront6targetE1EEEvT1_,comdat
.Lfunc_end4816:
	.size	_ZN7rocprim17ROCPRIM_400000_NS6detail17trampoline_kernelINS0_14default_configENS1_20scan_config_selectorItEEZZNS1_9scan_implILNS1_25lookback_scan_determinismE0ELb1ELb1ES3_N6thrust23THRUST_200600_302600_NS6detail15normal_iteratorINS9_10device_ptrItEEEESE_tNS9_4plusIvEEtEEDaPvRmT3_T4_T5_mT6_P12ihipStream_tbENKUlT_T0_E_clISt17integral_constantIbLb1EESU_EEDaSP_SQ_EUlSP_E_NS1_11comp_targetILNS1_3genE8ELNS1_11target_archE1030ELNS1_3gpuE2ELNS1_3repE0EEENS1_30default_config_static_selectorELNS0_4arch9wavefront6targetE1EEEvT1_, .Lfunc_end4816-_ZN7rocprim17ROCPRIM_400000_NS6detail17trampoline_kernelINS0_14default_configENS1_20scan_config_selectorItEEZZNS1_9scan_implILNS1_25lookback_scan_determinismE0ELb1ELb1ES3_N6thrust23THRUST_200600_302600_NS6detail15normal_iteratorINS9_10device_ptrItEEEESE_tNS9_4plusIvEEtEEDaPvRmT3_T4_T5_mT6_P12ihipStream_tbENKUlT_T0_E_clISt17integral_constantIbLb1EESU_EEDaSP_SQ_EUlSP_E_NS1_11comp_targetILNS1_3genE8ELNS1_11target_archE1030ELNS1_3gpuE2ELNS1_3repE0EEENS1_30default_config_static_selectorELNS0_4arch9wavefront6targetE1EEEvT1_
                                        ; -- End function
	.section	.AMDGPU.csdata,"",@progbits
; Kernel info:
; codeLenInByte = 0
; NumSgprs: 4
; NumVgprs: 0
; NumAgprs: 0
; TotalNumVgprs: 0
; ScratchSize: 0
; MemoryBound: 0
; FloatMode: 240
; IeeeMode: 1
; LDSByteSize: 0 bytes/workgroup (compile time only)
; SGPRBlocks: 0
; VGPRBlocks: 0
; NumSGPRsForWavesPerEU: 4
; NumVGPRsForWavesPerEU: 1
; AccumOffset: 4
; Occupancy: 8
; WaveLimiterHint : 0
; COMPUTE_PGM_RSRC2:SCRATCH_EN: 0
; COMPUTE_PGM_RSRC2:USER_SGPR: 6
; COMPUTE_PGM_RSRC2:TRAP_HANDLER: 0
; COMPUTE_PGM_RSRC2:TGID_X_EN: 1
; COMPUTE_PGM_RSRC2:TGID_Y_EN: 0
; COMPUTE_PGM_RSRC2:TGID_Z_EN: 0
; COMPUTE_PGM_RSRC2:TIDIG_COMP_CNT: 0
; COMPUTE_PGM_RSRC3_GFX90A:ACCUM_OFFSET: 0
; COMPUTE_PGM_RSRC3_GFX90A:TG_SPLIT: 0
	.section	.text._ZN7rocprim17ROCPRIM_400000_NS6detail17trampoline_kernelINS0_14default_configENS1_20scan_config_selectorItEEZZNS1_9scan_implILNS1_25lookback_scan_determinismE0ELb1ELb1ES3_N6thrust23THRUST_200600_302600_NS6detail15normal_iteratorINS9_10device_ptrItEEEESE_tNS9_4plusIvEEtEEDaPvRmT3_T4_T5_mT6_P12ihipStream_tbENKUlT_T0_E_clISt17integral_constantIbLb1EESU_EEDaSP_SQ_EUlSP_E0_NS1_11comp_targetILNS1_3genE0ELNS1_11target_archE4294967295ELNS1_3gpuE0ELNS1_3repE0EEENS1_30default_config_static_selectorELNS0_4arch9wavefront6targetE1EEEvT1_,"axG",@progbits,_ZN7rocprim17ROCPRIM_400000_NS6detail17trampoline_kernelINS0_14default_configENS1_20scan_config_selectorItEEZZNS1_9scan_implILNS1_25lookback_scan_determinismE0ELb1ELb1ES3_N6thrust23THRUST_200600_302600_NS6detail15normal_iteratorINS9_10device_ptrItEEEESE_tNS9_4plusIvEEtEEDaPvRmT3_T4_T5_mT6_P12ihipStream_tbENKUlT_T0_E_clISt17integral_constantIbLb1EESU_EEDaSP_SQ_EUlSP_E0_NS1_11comp_targetILNS1_3genE0ELNS1_11target_archE4294967295ELNS1_3gpuE0ELNS1_3repE0EEENS1_30default_config_static_selectorELNS0_4arch9wavefront6targetE1EEEvT1_,comdat
	.protected	_ZN7rocprim17ROCPRIM_400000_NS6detail17trampoline_kernelINS0_14default_configENS1_20scan_config_selectorItEEZZNS1_9scan_implILNS1_25lookback_scan_determinismE0ELb1ELb1ES3_N6thrust23THRUST_200600_302600_NS6detail15normal_iteratorINS9_10device_ptrItEEEESE_tNS9_4plusIvEEtEEDaPvRmT3_T4_T5_mT6_P12ihipStream_tbENKUlT_T0_E_clISt17integral_constantIbLb1EESU_EEDaSP_SQ_EUlSP_E0_NS1_11comp_targetILNS1_3genE0ELNS1_11target_archE4294967295ELNS1_3gpuE0ELNS1_3repE0EEENS1_30default_config_static_selectorELNS0_4arch9wavefront6targetE1EEEvT1_ ; -- Begin function _ZN7rocprim17ROCPRIM_400000_NS6detail17trampoline_kernelINS0_14default_configENS1_20scan_config_selectorItEEZZNS1_9scan_implILNS1_25lookback_scan_determinismE0ELb1ELb1ES3_N6thrust23THRUST_200600_302600_NS6detail15normal_iteratorINS9_10device_ptrItEEEESE_tNS9_4plusIvEEtEEDaPvRmT3_T4_T5_mT6_P12ihipStream_tbENKUlT_T0_E_clISt17integral_constantIbLb1EESU_EEDaSP_SQ_EUlSP_E0_NS1_11comp_targetILNS1_3genE0ELNS1_11target_archE4294967295ELNS1_3gpuE0ELNS1_3repE0EEENS1_30default_config_static_selectorELNS0_4arch9wavefront6targetE1EEEvT1_
	.globl	_ZN7rocprim17ROCPRIM_400000_NS6detail17trampoline_kernelINS0_14default_configENS1_20scan_config_selectorItEEZZNS1_9scan_implILNS1_25lookback_scan_determinismE0ELb1ELb1ES3_N6thrust23THRUST_200600_302600_NS6detail15normal_iteratorINS9_10device_ptrItEEEESE_tNS9_4plusIvEEtEEDaPvRmT3_T4_T5_mT6_P12ihipStream_tbENKUlT_T0_E_clISt17integral_constantIbLb1EESU_EEDaSP_SQ_EUlSP_E0_NS1_11comp_targetILNS1_3genE0ELNS1_11target_archE4294967295ELNS1_3gpuE0ELNS1_3repE0EEENS1_30default_config_static_selectorELNS0_4arch9wavefront6targetE1EEEvT1_
	.p2align	8
	.type	_ZN7rocprim17ROCPRIM_400000_NS6detail17trampoline_kernelINS0_14default_configENS1_20scan_config_selectorItEEZZNS1_9scan_implILNS1_25lookback_scan_determinismE0ELb1ELb1ES3_N6thrust23THRUST_200600_302600_NS6detail15normal_iteratorINS9_10device_ptrItEEEESE_tNS9_4plusIvEEtEEDaPvRmT3_T4_T5_mT6_P12ihipStream_tbENKUlT_T0_E_clISt17integral_constantIbLb1EESU_EEDaSP_SQ_EUlSP_E0_NS1_11comp_targetILNS1_3genE0ELNS1_11target_archE4294967295ELNS1_3gpuE0ELNS1_3repE0EEENS1_30default_config_static_selectorELNS0_4arch9wavefront6targetE1EEEvT1_,@function
_ZN7rocprim17ROCPRIM_400000_NS6detail17trampoline_kernelINS0_14default_configENS1_20scan_config_selectorItEEZZNS1_9scan_implILNS1_25lookback_scan_determinismE0ELb1ELb1ES3_N6thrust23THRUST_200600_302600_NS6detail15normal_iteratorINS9_10device_ptrItEEEESE_tNS9_4plusIvEEtEEDaPvRmT3_T4_T5_mT6_P12ihipStream_tbENKUlT_T0_E_clISt17integral_constantIbLb1EESU_EEDaSP_SQ_EUlSP_E0_NS1_11comp_targetILNS1_3genE0ELNS1_11target_archE4294967295ELNS1_3gpuE0ELNS1_3repE0EEENS1_30default_config_static_selectorELNS0_4arch9wavefront6targetE1EEEvT1_: ; @_ZN7rocprim17ROCPRIM_400000_NS6detail17trampoline_kernelINS0_14default_configENS1_20scan_config_selectorItEEZZNS1_9scan_implILNS1_25lookback_scan_determinismE0ELb1ELb1ES3_N6thrust23THRUST_200600_302600_NS6detail15normal_iteratorINS9_10device_ptrItEEEESE_tNS9_4plusIvEEtEEDaPvRmT3_T4_T5_mT6_P12ihipStream_tbENKUlT_T0_E_clISt17integral_constantIbLb1EESU_EEDaSP_SQ_EUlSP_E0_NS1_11comp_targetILNS1_3genE0ELNS1_11target_archE4294967295ELNS1_3gpuE0ELNS1_3repE0EEENS1_30default_config_static_selectorELNS0_4arch9wavefront6targetE1EEEvT1_
; %bb.0:
	.section	.rodata,"a",@progbits
	.p2align	6, 0x0
	.amdhsa_kernel _ZN7rocprim17ROCPRIM_400000_NS6detail17trampoline_kernelINS0_14default_configENS1_20scan_config_selectorItEEZZNS1_9scan_implILNS1_25lookback_scan_determinismE0ELb1ELb1ES3_N6thrust23THRUST_200600_302600_NS6detail15normal_iteratorINS9_10device_ptrItEEEESE_tNS9_4plusIvEEtEEDaPvRmT3_T4_T5_mT6_P12ihipStream_tbENKUlT_T0_E_clISt17integral_constantIbLb1EESU_EEDaSP_SQ_EUlSP_E0_NS1_11comp_targetILNS1_3genE0ELNS1_11target_archE4294967295ELNS1_3gpuE0ELNS1_3repE0EEENS1_30default_config_static_selectorELNS0_4arch9wavefront6targetE1EEEvT1_
		.amdhsa_group_segment_fixed_size 0
		.amdhsa_private_segment_fixed_size 0
		.amdhsa_kernarg_size 32
		.amdhsa_user_sgpr_count 6
		.amdhsa_user_sgpr_private_segment_buffer 1
		.amdhsa_user_sgpr_dispatch_ptr 0
		.amdhsa_user_sgpr_queue_ptr 0
		.amdhsa_user_sgpr_kernarg_segment_ptr 1
		.amdhsa_user_sgpr_dispatch_id 0
		.amdhsa_user_sgpr_flat_scratch_init 0
		.amdhsa_user_sgpr_kernarg_preload_length 0
		.amdhsa_user_sgpr_kernarg_preload_offset 0
		.amdhsa_user_sgpr_private_segment_size 0
		.amdhsa_uses_dynamic_stack 0
		.amdhsa_system_sgpr_private_segment_wavefront_offset 0
		.amdhsa_system_sgpr_workgroup_id_x 1
		.amdhsa_system_sgpr_workgroup_id_y 0
		.amdhsa_system_sgpr_workgroup_id_z 0
		.amdhsa_system_sgpr_workgroup_info 0
		.amdhsa_system_vgpr_workitem_id 0
		.amdhsa_next_free_vgpr 1
		.amdhsa_next_free_sgpr 0
		.amdhsa_accum_offset 4
		.amdhsa_reserve_vcc 0
		.amdhsa_reserve_flat_scratch 0
		.amdhsa_float_round_mode_32 0
		.amdhsa_float_round_mode_16_64 0
		.amdhsa_float_denorm_mode_32 3
		.amdhsa_float_denorm_mode_16_64 3
		.amdhsa_dx10_clamp 1
		.amdhsa_ieee_mode 1
		.amdhsa_fp16_overflow 0
		.amdhsa_tg_split 0
		.amdhsa_exception_fp_ieee_invalid_op 0
		.amdhsa_exception_fp_denorm_src 0
		.amdhsa_exception_fp_ieee_div_zero 0
		.amdhsa_exception_fp_ieee_overflow 0
		.amdhsa_exception_fp_ieee_underflow 0
		.amdhsa_exception_fp_ieee_inexact 0
		.amdhsa_exception_int_div_zero 0
	.end_amdhsa_kernel
	.section	.text._ZN7rocprim17ROCPRIM_400000_NS6detail17trampoline_kernelINS0_14default_configENS1_20scan_config_selectorItEEZZNS1_9scan_implILNS1_25lookback_scan_determinismE0ELb1ELb1ES3_N6thrust23THRUST_200600_302600_NS6detail15normal_iteratorINS9_10device_ptrItEEEESE_tNS9_4plusIvEEtEEDaPvRmT3_T4_T5_mT6_P12ihipStream_tbENKUlT_T0_E_clISt17integral_constantIbLb1EESU_EEDaSP_SQ_EUlSP_E0_NS1_11comp_targetILNS1_3genE0ELNS1_11target_archE4294967295ELNS1_3gpuE0ELNS1_3repE0EEENS1_30default_config_static_selectorELNS0_4arch9wavefront6targetE1EEEvT1_,"axG",@progbits,_ZN7rocprim17ROCPRIM_400000_NS6detail17trampoline_kernelINS0_14default_configENS1_20scan_config_selectorItEEZZNS1_9scan_implILNS1_25lookback_scan_determinismE0ELb1ELb1ES3_N6thrust23THRUST_200600_302600_NS6detail15normal_iteratorINS9_10device_ptrItEEEESE_tNS9_4plusIvEEtEEDaPvRmT3_T4_T5_mT6_P12ihipStream_tbENKUlT_T0_E_clISt17integral_constantIbLb1EESU_EEDaSP_SQ_EUlSP_E0_NS1_11comp_targetILNS1_3genE0ELNS1_11target_archE4294967295ELNS1_3gpuE0ELNS1_3repE0EEENS1_30default_config_static_selectorELNS0_4arch9wavefront6targetE1EEEvT1_,comdat
.Lfunc_end4817:
	.size	_ZN7rocprim17ROCPRIM_400000_NS6detail17trampoline_kernelINS0_14default_configENS1_20scan_config_selectorItEEZZNS1_9scan_implILNS1_25lookback_scan_determinismE0ELb1ELb1ES3_N6thrust23THRUST_200600_302600_NS6detail15normal_iteratorINS9_10device_ptrItEEEESE_tNS9_4plusIvEEtEEDaPvRmT3_T4_T5_mT6_P12ihipStream_tbENKUlT_T0_E_clISt17integral_constantIbLb1EESU_EEDaSP_SQ_EUlSP_E0_NS1_11comp_targetILNS1_3genE0ELNS1_11target_archE4294967295ELNS1_3gpuE0ELNS1_3repE0EEENS1_30default_config_static_selectorELNS0_4arch9wavefront6targetE1EEEvT1_, .Lfunc_end4817-_ZN7rocprim17ROCPRIM_400000_NS6detail17trampoline_kernelINS0_14default_configENS1_20scan_config_selectorItEEZZNS1_9scan_implILNS1_25lookback_scan_determinismE0ELb1ELb1ES3_N6thrust23THRUST_200600_302600_NS6detail15normal_iteratorINS9_10device_ptrItEEEESE_tNS9_4plusIvEEtEEDaPvRmT3_T4_T5_mT6_P12ihipStream_tbENKUlT_T0_E_clISt17integral_constantIbLb1EESU_EEDaSP_SQ_EUlSP_E0_NS1_11comp_targetILNS1_3genE0ELNS1_11target_archE4294967295ELNS1_3gpuE0ELNS1_3repE0EEENS1_30default_config_static_selectorELNS0_4arch9wavefront6targetE1EEEvT1_
                                        ; -- End function
	.section	.AMDGPU.csdata,"",@progbits
; Kernel info:
; codeLenInByte = 0
; NumSgprs: 4
; NumVgprs: 0
; NumAgprs: 0
; TotalNumVgprs: 0
; ScratchSize: 0
; MemoryBound: 0
; FloatMode: 240
; IeeeMode: 1
; LDSByteSize: 0 bytes/workgroup (compile time only)
; SGPRBlocks: 0
; VGPRBlocks: 0
; NumSGPRsForWavesPerEU: 4
; NumVGPRsForWavesPerEU: 1
; AccumOffset: 4
; Occupancy: 8
; WaveLimiterHint : 0
; COMPUTE_PGM_RSRC2:SCRATCH_EN: 0
; COMPUTE_PGM_RSRC2:USER_SGPR: 6
; COMPUTE_PGM_RSRC2:TRAP_HANDLER: 0
; COMPUTE_PGM_RSRC2:TGID_X_EN: 1
; COMPUTE_PGM_RSRC2:TGID_Y_EN: 0
; COMPUTE_PGM_RSRC2:TGID_Z_EN: 0
; COMPUTE_PGM_RSRC2:TIDIG_COMP_CNT: 0
; COMPUTE_PGM_RSRC3_GFX90A:ACCUM_OFFSET: 0
; COMPUTE_PGM_RSRC3_GFX90A:TG_SPLIT: 0
	.section	.text._ZN7rocprim17ROCPRIM_400000_NS6detail17trampoline_kernelINS0_14default_configENS1_20scan_config_selectorItEEZZNS1_9scan_implILNS1_25lookback_scan_determinismE0ELb1ELb1ES3_N6thrust23THRUST_200600_302600_NS6detail15normal_iteratorINS9_10device_ptrItEEEESE_tNS9_4plusIvEEtEEDaPvRmT3_T4_T5_mT6_P12ihipStream_tbENKUlT_T0_E_clISt17integral_constantIbLb1EESU_EEDaSP_SQ_EUlSP_E0_NS1_11comp_targetILNS1_3genE5ELNS1_11target_archE942ELNS1_3gpuE9ELNS1_3repE0EEENS1_30default_config_static_selectorELNS0_4arch9wavefront6targetE1EEEvT1_,"axG",@progbits,_ZN7rocprim17ROCPRIM_400000_NS6detail17trampoline_kernelINS0_14default_configENS1_20scan_config_selectorItEEZZNS1_9scan_implILNS1_25lookback_scan_determinismE0ELb1ELb1ES3_N6thrust23THRUST_200600_302600_NS6detail15normal_iteratorINS9_10device_ptrItEEEESE_tNS9_4plusIvEEtEEDaPvRmT3_T4_T5_mT6_P12ihipStream_tbENKUlT_T0_E_clISt17integral_constantIbLb1EESU_EEDaSP_SQ_EUlSP_E0_NS1_11comp_targetILNS1_3genE5ELNS1_11target_archE942ELNS1_3gpuE9ELNS1_3repE0EEENS1_30default_config_static_selectorELNS0_4arch9wavefront6targetE1EEEvT1_,comdat
	.protected	_ZN7rocprim17ROCPRIM_400000_NS6detail17trampoline_kernelINS0_14default_configENS1_20scan_config_selectorItEEZZNS1_9scan_implILNS1_25lookback_scan_determinismE0ELb1ELb1ES3_N6thrust23THRUST_200600_302600_NS6detail15normal_iteratorINS9_10device_ptrItEEEESE_tNS9_4plusIvEEtEEDaPvRmT3_T4_T5_mT6_P12ihipStream_tbENKUlT_T0_E_clISt17integral_constantIbLb1EESU_EEDaSP_SQ_EUlSP_E0_NS1_11comp_targetILNS1_3genE5ELNS1_11target_archE942ELNS1_3gpuE9ELNS1_3repE0EEENS1_30default_config_static_selectorELNS0_4arch9wavefront6targetE1EEEvT1_ ; -- Begin function _ZN7rocprim17ROCPRIM_400000_NS6detail17trampoline_kernelINS0_14default_configENS1_20scan_config_selectorItEEZZNS1_9scan_implILNS1_25lookback_scan_determinismE0ELb1ELb1ES3_N6thrust23THRUST_200600_302600_NS6detail15normal_iteratorINS9_10device_ptrItEEEESE_tNS9_4plusIvEEtEEDaPvRmT3_T4_T5_mT6_P12ihipStream_tbENKUlT_T0_E_clISt17integral_constantIbLb1EESU_EEDaSP_SQ_EUlSP_E0_NS1_11comp_targetILNS1_3genE5ELNS1_11target_archE942ELNS1_3gpuE9ELNS1_3repE0EEENS1_30default_config_static_selectorELNS0_4arch9wavefront6targetE1EEEvT1_
	.globl	_ZN7rocprim17ROCPRIM_400000_NS6detail17trampoline_kernelINS0_14default_configENS1_20scan_config_selectorItEEZZNS1_9scan_implILNS1_25lookback_scan_determinismE0ELb1ELb1ES3_N6thrust23THRUST_200600_302600_NS6detail15normal_iteratorINS9_10device_ptrItEEEESE_tNS9_4plusIvEEtEEDaPvRmT3_T4_T5_mT6_P12ihipStream_tbENKUlT_T0_E_clISt17integral_constantIbLb1EESU_EEDaSP_SQ_EUlSP_E0_NS1_11comp_targetILNS1_3genE5ELNS1_11target_archE942ELNS1_3gpuE9ELNS1_3repE0EEENS1_30default_config_static_selectorELNS0_4arch9wavefront6targetE1EEEvT1_
	.p2align	8
	.type	_ZN7rocprim17ROCPRIM_400000_NS6detail17trampoline_kernelINS0_14default_configENS1_20scan_config_selectorItEEZZNS1_9scan_implILNS1_25lookback_scan_determinismE0ELb1ELb1ES3_N6thrust23THRUST_200600_302600_NS6detail15normal_iteratorINS9_10device_ptrItEEEESE_tNS9_4plusIvEEtEEDaPvRmT3_T4_T5_mT6_P12ihipStream_tbENKUlT_T0_E_clISt17integral_constantIbLb1EESU_EEDaSP_SQ_EUlSP_E0_NS1_11comp_targetILNS1_3genE5ELNS1_11target_archE942ELNS1_3gpuE9ELNS1_3repE0EEENS1_30default_config_static_selectorELNS0_4arch9wavefront6targetE1EEEvT1_,@function
_ZN7rocprim17ROCPRIM_400000_NS6detail17trampoline_kernelINS0_14default_configENS1_20scan_config_selectorItEEZZNS1_9scan_implILNS1_25lookback_scan_determinismE0ELb1ELb1ES3_N6thrust23THRUST_200600_302600_NS6detail15normal_iteratorINS9_10device_ptrItEEEESE_tNS9_4plusIvEEtEEDaPvRmT3_T4_T5_mT6_P12ihipStream_tbENKUlT_T0_E_clISt17integral_constantIbLb1EESU_EEDaSP_SQ_EUlSP_E0_NS1_11comp_targetILNS1_3genE5ELNS1_11target_archE942ELNS1_3gpuE9ELNS1_3repE0EEENS1_30default_config_static_selectorELNS0_4arch9wavefront6targetE1EEEvT1_: ; @_ZN7rocprim17ROCPRIM_400000_NS6detail17trampoline_kernelINS0_14default_configENS1_20scan_config_selectorItEEZZNS1_9scan_implILNS1_25lookback_scan_determinismE0ELb1ELb1ES3_N6thrust23THRUST_200600_302600_NS6detail15normal_iteratorINS9_10device_ptrItEEEESE_tNS9_4plusIvEEtEEDaPvRmT3_T4_T5_mT6_P12ihipStream_tbENKUlT_T0_E_clISt17integral_constantIbLb1EESU_EEDaSP_SQ_EUlSP_E0_NS1_11comp_targetILNS1_3genE5ELNS1_11target_archE942ELNS1_3gpuE9ELNS1_3repE0EEENS1_30default_config_static_selectorELNS0_4arch9wavefront6targetE1EEEvT1_
; %bb.0:
	.section	.rodata,"a",@progbits
	.p2align	6, 0x0
	.amdhsa_kernel _ZN7rocprim17ROCPRIM_400000_NS6detail17trampoline_kernelINS0_14default_configENS1_20scan_config_selectorItEEZZNS1_9scan_implILNS1_25lookback_scan_determinismE0ELb1ELb1ES3_N6thrust23THRUST_200600_302600_NS6detail15normal_iteratorINS9_10device_ptrItEEEESE_tNS9_4plusIvEEtEEDaPvRmT3_T4_T5_mT6_P12ihipStream_tbENKUlT_T0_E_clISt17integral_constantIbLb1EESU_EEDaSP_SQ_EUlSP_E0_NS1_11comp_targetILNS1_3genE5ELNS1_11target_archE942ELNS1_3gpuE9ELNS1_3repE0EEENS1_30default_config_static_selectorELNS0_4arch9wavefront6targetE1EEEvT1_
		.amdhsa_group_segment_fixed_size 0
		.amdhsa_private_segment_fixed_size 0
		.amdhsa_kernarg_size 32
		.amdhsa_user_sgpr_count 6
		.amdhsa_user_sgpr_private_segment_buffer 1
		.amdhsa_user_sgpr_dispatch_ptr 0
		.amdhsa_user_sgpr_queue_ptr 0
		.amdhsa_user_sgpr_kernarg_segment_ptr 1
		.amdhsa_user_sgpr_dispatch_id 0
		.amdhsa_user_sgpr_flat_scratch_init 0
		.amdhsa_user_sgpr_kernarg_preload_length 0
		.amdhsa_user_sgpr_kernarg_preload_offset 0
		.amdhsa_user_sgpr_private_segment_size 0
		.amdhsa_uses_dynamic_stack 0
		.amdhsa_system_sgpr_private_segment_wavefront_offset 0
		.amdhsa_system_sgpr_workgroup_id_x 1
		.amdhsa_system_sgpr_workgroup_id_y 0
		.amdhsa_system_sgpr_workgroup_id_z 0
		.amdhsa_system_sgpr_workgroup_info 0
		.amdhsa_system_vgpr_workitem_id 0
		.amdhsa_next_free_vgpr 1
		.amdhsa_next_free_sgpr 0
		.amdhsa_accum_offset 4
		.amdhsa_reserve_vcc 0
		.amdhsa_reserve_flat_scratch 0
		.amdhsa_float_round_mode_32 0
		.amdhsa_float_round_mode_16_64 0
		.amdhsa_float_denorm_mode_32 3
		.amdhsa_float_denorm_mode_16_64 3
		.amdhsa_dx10_clamp 1
		.amdhsa_ieee_mode 1
		.amdhsa_fp16_overflow 0
		.amdhsa_tg_split 0
		.amdhsa_exception_fp_ieee_invalid_op 0
		.amdhsa_exception_fp_denorm_src 0
		.amdhsa_exception_fp_ieee_div_zero 0
		.amdhsa_exception_fp_ieee_overflow 0
		.amdhsa_exception_fp_ieee_underflow 0
		.amdhsa_exception_fp_ieee_inexact 0
		.amdhsa_exception_int_div_zero 0
	.end_amdhsa_kernel
	.section	.text._ZN7rocprim17ROCPRIM_400000_NS6detail17trampoline_kernelINS0_14default_configENS1_20scan_config_selectorItEEZZNS1_9scan_implILNS1_25lookback_scan_determinismE0ELb1ELb1ES3_N6thrust23THRUST_200600_302600_NS6detail15normal_iteratorINS9_10device_ptrItEEEESE_tNS9_4plusIvEEtEEDaPvRmT3_T4_T5_mT6_P12ihipStream_tbENKUlT_T0_E_clISt17integral_constantIbLb1EESU_EEDaSP_SQ_EUlSP_E0_NS1_11comp_targetILNS1_3genE5ELNS1_11target_archE942ELNS1_3gpuE9ELNS1_3repE0EEENS1_30default_config_static_selectorELNS0_4arch9wavefront6targetE1EEEvT1_,"axG",@progbits,_ZN7rocprim17ROCPRIM_400000_NS6detail17trampoline_kernelINS0_14default_configENS1_20scan_config_selectorItEEZZNS1_9scan_implILNS1_25lookback_scan_determinismE0ELb1ELb1ES3_N6thrust23THRUST_200600_302600_NS6detail15normal_iteratorINS9_10device_ptrItEEEESE_tNS9_4plusIvEEtEEDaPvRmT3_T4_T5_mT6_P12ihipStream_tbENKUlT_T0_E_clISt17integral_constantIbLb1EESU_EEDaSP_SQ_EUlSP_E0_NS1_11comp_targetILNS1_3genE5ELNS1_11target_archE942ELNS1_3gpuE9ELNS1_3repE0EEENS1_30default_config_static_selectorELNS0_4arch9wavefront6targetE1EEEvT1_,comdat
.Lfunc_end4818:
	.size	_ZN7rocprim17ROCPRIM_400000_NS6detail17trampoline_kernelINS0_14default_configENS1_20scan_config_selectorItEEZZNS1_9scan_implILNS1_25lookback_scan_determinismE0ELb1ELb1ES3_N6thrust23THRUST_200600_302600_NS6detail15normal_iteratorINS9_10device_ptrItEEEESE_tNS9_4plusIvEEtEEDaPvRmT3_T4_T5_mT6_P12ihipStream_tbENKUlT_T0_E_clISt17integral_constantIbLb1EESU_EEDaSP_SQ_EUlSP_E0_NS1_11comp_targetILNS1_3genE5ELNS1_11target_archE942ELNS1_3gpuE9ELNS1_3repE0EEENS1_30default_config_static_selectorELNS0_4arch9wavefront6targetE1EEEvT1_, .Lfunc_end4818-_ZN7rocprim17ROCPRIM_400000_NS6detail17trampoline_kernelINS0_14default_configENS1_20scan_config_selectorItEEZZNS1_9scan_implILNS1_25lookback_scan_determinismE0ELb1ELb1ES3_N6thrust23THRUST_200600_302600_NS6detail15normal_iteratorINS9_10device_ptrItEEEESE_tNS9_4plusIvEEtEEDaPvRmT3_T4_T5_mT6_P12ihipStream_tbENKUlT_T0_E_clISt17integral_constantIbLb1EESU_EEDaSP_SQ_EUlSP_E0_NS1_11comp_targetILNS1_3genE5ELNS1_11target_archE942ELNS1_3gpuE9ELNS1_3repE0EEENS1_30default_config_static_selectorELNS0_4arch9wavefront6targetE1EEEvT1_
                                        ; -- End function
	.section	.AMDGPU.csdata,"",@progbits
; Kernel info:
; codeLenInByte = 0
; NumSgprs: 4
; NumVgprs: 0
; NumAgprs: 0
; TotalNumVgprs: 0
; ScratchSize: 0
; MemoryBound: 0
; FloatMode: 240
; IeeeMode: 1
; LDSByteSize: 0 bytes/workgroup (compile time only)
; SGPRBlocks: 0
; VGPRBlocks: 0
; NumSGPRsForWavesPerEU: 4
; NumVGPRsForWavesPerEU: 1
; AccumOffset: 4
; Occupancy: 8
; WaveLimiterHint : 0
; COMPUTE_PGM_RSRC2:SCRATCH_EN: 0
; COMPUTE_PGM_RSRC2:USER_SGPR: 6
; COMPUTE_PGM_RSRC2:TRAP_HANDLER: 0
; COMPUTE_PGM_RSRC2:TGID_X_EN: 1
; COMPUTE_PGM_RSRC2:TGID_Y_EN: 0
; COMPUTE_PGM_RSRC2:TGID_Z_EN: 0
; COMPUTE_PGM_RSRC2:TIDIG_COMP_CNT: 0
; COMPUTE_PGM_RSRC3_GFX90A:ACCUM_OFFSET: 0
; COMPUTE_PGM_RSRC3_GFX90A:TG_SPLIT: 0
	.section	.text._ZN7rocprim17ROCPRIM_400000_NS6detail17trampoline_kernelINS0_14default_configENS1_20scan_config_selectorItEEZZNS1_9scan_implILNS1_25lookback_scan_determinismE0ELb1ELb1ES3_N6thrust23THRUST_200600_302600_NS6detail15normal_iteratorINS9_10device_ptrItEEEESE_tNS9_4plusIvEEtEEDaPvRmT3_T4_T5_mT6_P12ihipStream_tbENKUlT_T0_E_clISt17integral_constantIbLb1EESU_EEDaSP_SQ_EUlSP_E0_NS1_11comp_targetILNS1_3genE4ELNS1_11target_archE910ELNS1_3gpuE8ELNS1_3repE0EEENS1_30default_config_static_selectorELNS0_4arch9wavefront6targetE1EEEvT1_,"axG",@progbits,_ZN7rocprim17ROCPRIM_400000_NS6detail17trampoline_kernelINS0_14default_configENS1_20scan_config_selectorItEEZZNS1_9scan_implILNS1_25lookback_scan_determinismE0ELb1ELb1ES3_N6thrust23THRUST_200600_302600_NS6detail15normal_iteratorINS9_10device_ptrItEEEESE_tNS9_4plusIvEEtEEDaPvRmT3_T4_T5_mT6_P12ihipStream_tbENKUlT_T0_E_clISt17integral_constantIbLb1EESU_EEDaSP_SQ_EUlSP_E0_NS1_11comp_targetILNS1_3genE4ELNS1_11target_archE910ELNS1_3gpuE8ELNS1_3repE0EEENS1_30default_config_static_selectorELNS0_4arch9wavefront6targetE1EEEvT1_,comdat
	.protected	_ZN7rocprim17ROCPRIM_400000_NS6detail17trampoline_kernelINS0_14default_configENS1_20scan_config_selectorItEEZZNS1_9scan_implILNS1_25lookback_scan_determinismE0ELb1ELb1ES3_N6thrust23THRUST_200600_302600_NS6detail15normal_iteratorINS9_10device_ptrItEEEESE_tNS9_4plusIvEEtEEDaPvRmT3_T4_T5_mT6_P12ihipStream_tbENKUlT_T0_E_clISt17integral_constantIbLb1EESU_EEDaSP_SQ_EUlSP_E0_NS1_11comp_targetILNS1_3genE4ELNS1_11target_archE910ELNS1_3gpuE8ELNS1_3repE0EEENS1_30default_config_static_selectorELNS0_4arch9wavefront6targetE1EEEvT1_ ; -- Begin function _ZN7rocprim17ROCPRIM_400000_NS6detail17trampoline_kernelINS0_14default_configENS1_20scan_config_selectorItEEZZNS1_9scan_implILNS1_25lookback_scan_determinismE0ELb1ELb1ES3_N6thrust23THRUST_200600_302600_NS6detail15normal_iteratorINS9_10device_ptrItEEEESE_tNS9_4plusIvEEtEEDaPvRmT3_T4_T5_mT6_P12ihipStream_tbENKUlT_T0_E_clISt17integral_constantIbLb1EESU_EEDaSP_SQ_EUlSP_E0_NS1_11comp_targetILNS1_3genE4ELNS1_11target_archE910ELNS1_3gpuE8ELNS1_3repE0EEENS1_30default_config_static_selectorELNS0_4arch9wavefront6targetE1EEEvT1_
	.globl	_ZN7rocprim17ROCPRIM_400000_NS6detail17trampoline_kernelINS0_14default_configENS1_20scan_config_selectorItEEZZNS1_9scan_implILNS1_25lookback_scan_determinismE0ELb1ELb1ES3_N6thrust23THRUST_200600_302600_NS6detail15normal_iteratorINS9_10device_ptrItEEEESE_tNS9_4plusIvEEtEEDaPvRmT3_T4_T5_mT6_P12ihipStream_tbENKUlT_T0_E_clISt17integral_constantIbLb1EESU_EEDaSP_SQ_EUlSP_E0_NS1_11comp_targetILNS1_3genE4ELNS1_11target_archE910ELNS1_3gpuE8ELNS1_3repE0EEENS1_30default_config_static_selectorELNS0_4arch9wavefront6targetE1EEEvT1_
	.p2align	8
	.type	_ZN7rocprim17ROCPRIM_400000_NS6detail17trampoline_kernelINS0_14default_configENS1_20scan_config_selectorItEEZZNS1_9scan_implILNS1_25lookback_scan_determinismE0ELb1ELb1ES3_N6thrust23THRUST_200600_302600_NS6detail15normal_iteratorINS9_10device_ptrItEEEESE_tNS9_4plusIvEEtEEDaPvRmT3_T4_T5_mT6_P12ihipStream_tbENKUlT_T0_E_clISt17integral_constantIbLb1EESU_EEDaSP_SQ_EUlSP_E0_NS1_11comp_targetILNS1_3genE4ELNS1_11target_archE910ELNS1_3gpuE8ELNS1_3repE0EEENS1_30default_config_static_selectorELNS0_4arch9wavefront6targetE1EEEvT1_,@function
_ZN7rocprim17ROCPRIM_400000_NS6detail17trampoline_kernelINS0_14default_configENS1_20scan_config_selectorItEEZZNS1_9scan_implILNS1_25lookback_scan_determinismE0ELb1ELb1ES3_N6thrust23THRUST_200600_302600_NS6detail15normal_iteratorINS9_10device_ptrItEEEESE_tNS9_4plusIvEEtEEDaPvRmT3_T4_T5_mT6_P12ihipStream_tbENKUlT_T0_E_clISt17integral_constantIbLb1EESU_EEDaSP_SQ_EUlSP_E0_NS1_11comp_targetILNS1_3genE4ELNS1_11target_archE910ELNS1_3gpuE8ELNS1_3repE0EEENS1_30default_config_static_selectorELNS0_4arch9wavefront6targetE1EEEvT1_: ; @_ZN7rocprim17ROCPRIM_400000_NS6detail17trampoline_kernelINS0_14default_configENS1_20scan_config_selectorItEEZZNS1_9scan_implILNS1_25lookback_scan_determinismE0ELb1ELb1ES3_N6thrust23THRUST_200600_302600_NS6detail15normal_iteratorINS9_10device_ptrItEEEESE_tNS9_4plusIvEEtEEDaPvRmT3_T4_T5_mT6_P12ihipStream_tbENKUlT_T0_E_clISt17integral_constantIbLb1EESU_EEDaSP_SQ_EUlSP_E0_NS1_11comp_targetILNS1_3genE4ELNS1_11target_archE910ELNS1_3gpuE8ELNS1_3repE0EEENS1_30default_config_static_selectorELNS0_4arch9wavefront6targetE1EEEvT1_
; %bb.0:
	s_load_dwordx4 s[52:55], s[4:5], 0x0
	v_mov_b32_e32 v1, 0
	v_lshlrev_b32_e32 v14, 1, v0
	s_waitcnt lgkmcnt(0)
	global_load_ushort v2, v1, s[52:53]
	v_cmp_gt_u32_e32 vcc, s54, v0
	s_waitcnt vmcnt(0)
	v_mov_b32_e32 v3, v2
	s_and_saveexec_b64 s[0:1], vcc
	s_cbranch_execz .LBB4819_2
; %bb.1:
	global_load_ushort v3, v14, s[52:53]
.LBB4819_2:
	s_or_b64 exec, exec, s[0:1]
	v_or_b32_e32 v1, 64, v0
	v_cmp_gt_u32_e64 s[0:1], s54, v1
	v_mov_b32_e32 v4, v2
	s_and_saveexec_b64 s[2:3], s[0:1]
	s_cbranch_execz .LBB4819_4
; %bb.3:
	global_load_ushort v4, v14, s[52:53] offset:128
.LBB4819_4:
	s_or_b64 exec, exec, s[2:3]
	v_or_b32_e32 v1, 0x80, v0
	v_cmp_gt_u32_e64 s[2:3], s54, v1
	v_mov_b32_e32 v5, v2
	s_and_saveexec_b64 s[6:7], s[2:3]
	s_cbranch_execz .LBB4819_6
; %bb.5:
	global_load_ushort v5, v14, s[52:53] offset:256
.LBB4819_6:
	;; [unrolled: 9-line block ×22, first 2 shown]
	s_or_b64 exec, exec, s[46:47]
	v_or_b32_e32 v1, 0x5c0, v0
	v_cmp_gt_u32_e64 s[46:47], s54, v1
	v_cmp_le_u32_e64 s[50:51], s54, v1
	s_and_saveexec_b64 s[54:55], s[50:51]
	s_xor_b64 s[50:51], exec, s[54:55]
; %bb.47:
	v_mov_b32_e32 v1, 0
; %bb.48:
	s_or_saveexec_b64 s[50:51], s[50:51]
	s_load_dword s33, s[4:5], 0x10
	s_load_dwordx2 s[54:55], s[4:5], 0x18
	s_xor_b64 exec, exec, s[50:51]
	s_cbranch_execz .LBB4819_50
; %bb.49:
	global_load_ushort v2, v14, s[52:53] offset:2944
	v_mov_b32_e32 v1, 0
.LBB4819_50:
	s_or_b64 exec, exec, s[50:51]
	s_waitcnt vmcnt(0)
	ds_write_b16 v14, v3
	ds_write_b16 v14, v4 offset:128
	ds_write_b16 v14, v5 offset:256
	;; [unrolled: 1-line block ×23, first 2 shown]
	v_mad_u32_u24 v2, v0, 46, v14
	s_waitcnt lgkmcnt(0)
	; wave barrier
	s_waitcnt lgkmcnt(0)
	ds_read_b128 v[10:13], v2
	ds_read_b128 v[6:9], v2 offset:16
	ds_read_b128 v[2:5], v2 offset:32
	v_mul_u32_u24_e32 v15, 46, v0
	s_waitcnt lgkmcnt(0)
	v_add_u16_sdwa v16, v10, v10 dst_sel:DWORD dst_unused:UNUSED_PAD src0_sel:WORD_1 src1_sel:DWORD
	v_add_u16_e32 v16, v16, v11
	v_add_u16_sdwa v16, v16, v11 dst_sel:DWORD dst_unused:UNUSED_PAD src0_sel:DWORD src1_sel:WORD_1
	v_add_u16_e32 v16, v16, v12
	v_add_u16_sdwa v16, v16, v12 dst_sel:DWORD dst_unused:UNUSED_PAD src0_sel:DWORD src1_sel:WORD_1
	;; [unrolled: 2-line block ×11, first 2 shown]
	v_mbcnt_lo_u32_b32 v16, -1, 0
	v_mbcnt_hi_u32_b32 v16, -1, v16
	v_and_b32_e32 v18, 15, v16
	v_mov_b32_dpp v19, v17 row_shr:1 row_mask:0xf bank_mask:0xf
	v_cmp_ne_u32_e64 s[4:5], 0, v18
	v_cndmask_b32_e64 v19, 0, v19, s[4:5]
	v_add_u16_e32 v17, v19, v17
	v_cmp_lt_u32_e64 s[4:5], 1, v18
	; wave barrier
	s_nop 0
	v_mov_b32_dpp v19, v17 row_shr:2 row_mask:0xf bank_mask:0xf
	v_cndmask_b32_e64 v19, 0, v19, s[4:5]
	v_add_u16_e32 v17, v17, v19
	v_cmp_lt_u32_e64 s[4:5], 3, v18
	s_nop 0
	v_mov_b32_dpp v19, v17 row_shr:4 row_mask:0xf bank_mask:0xf
	v_cndmask_b32_e64 v19, 0, v19, s[4:5]
	v_add_u16_e32 v17, v17, v19
	v_cmp_lt_u32_e64 s[4:5], 7, v18
	s_nop 0
	v_mov_b32_dpp v19, v17 row_shr:8 row_mask:0xf bank_mask:0xf
	v_cndmask_b32_e64 v18, 0, v19, s[4:5]
	v_add_u16_e32 v17, v17, v18
	v_and_b32_e32 v19, 16, v16
	v_cmp_ne_u32_e64 s[4:5], 0, v19
	v_mov_b32_dpp v18, v17 row_bcast:15 row_mask:0xf bank_mask:0xf
	v_cndmask_b32_e64 v18, 0, v18, s[4:5]
	v_add_u16_e32 v17, v17, v18
	v_cmp_lt_u32_e64 s[4:5], 31, v16
	s_nop 0
	v_mov_b32_dpp v18, v17 row_bcast:31 row_mask:0xf bank_mask:0xf
	v_cndmask_b32_e64 v18, 0, v18, s[4:5]
	v_add_u16_e32 v17, v17, v18
	v_cmp_eq_u32_e64 s[4:5], 63, v0
	s_and_saveexec_b64 s[50:51], s[4:5]
	s_cbranch_execz .LBB4819_52
; %bb.51:
	v_mov_b32_e32 v18, 0
	ds_write_b16 v18, v17
.LBB4819_52:
	s_or_b64 exec, exec, s[50:51]
	v_add_u32_e32 v18, -1, v16
	v_and_b32_e32 v19, 64, v16
	v_cmp_lt_i32_e64 s[4:5], v18, v19
	v_cndmask_b32_e64 v18, v18, v16, s[4:5]
	v_add_u16_e32 v17, s33, v17
	v_lshlrev_b32_e32 v18, 2, v18
	ds_bpermute_b32 v17, v18, v17
	v_cmp_eq_u32_e64 s[4:5], 0, v16
	v_cmp_eq_u32_e64 s[50:51], 0, v0
	v_mov_b32_e32 v16, s33
	s_or_b64 s[4:5], s[50:51], s[4:5]
	s_waitcnt lgkmcnt(0)
	v_cndmask_b32_e64 v16, v17, v16, s[4:5]
	v_add_u16_e32 v17, v16, v10
	v_add_u16_sdwa v10, v17, v10 dst_sel:DWORD dst_unused:UNUSED_PAD src0_sel:DWORD src1_sel:WORD_1
	v_add_u16_e32 v18, v10, v11
	v_add_u16_sdwa v11, v18, v11 dst_sel:DWORD dst_unused:UNUSED_PAD src0_sel:DWORD src1_sel:WORD_1
	;; [unrolled: 2-line block ×11, first 2 shown]
	s_mov_b32 s4, 0x5040100
	v_add_u16_e32 v31, v30, v5
	v_add_u32_e32 v15, v14, v15
	v_perm_b32 v2, v17, v16, s4
	v_perm_b32 v3, v18, v10, s4
	;; [unrolled: 1-line block ×4, first 2 shown]
	s_waitcnt lgkmcnt(0)
	; wave barrier
	s_waitcnt lgkmcnt(0)
	s_waitcnt lgkmcnt(0)
	; wave barrier
	ds_write_b128 v15, v[2:5]
	v_perm_b32 v2, v21, v13, s4
	v_perm_b32 v3, v22, v6, s4
	;; [unrolled: 1-line block ×4, first 2 shown]
	ds_write_b128 v15, v[2:5] offset:16
	v_perm_b32 v2, v25, v9, s4
	v_perm_b32 v3, v27, v26, s4
	;; [unrolled: 1-line block ×4, first 2 shown]
	ds_write_b128 v15, v[2:5] offset:32
	s_waitcnt lgkmcnt(0)
	; wave barrier
	s_waitcnt lgkmcnt(0)
	ds_read_u16 v25, v14 offset:128
	ds_read_u16 v24, v14 offset:256
	;; [unrolled: 1-line block ×23, first 2 shown]
	v_lshlrev_b64 v[0:1], 1, v[0:1]
	v_mov_b32_e32 v26, s55
	v_add_co_u32_e64 v0, s[4:5], s54, v0
	v_addc_co_u32_e64 v1, s[4:5], v26, v1, s[4:5]
	s_and_saveexec_b64 s[4:5], vcc
	s_cbranch_execnz .LBB4819_77
; %bb.53:
	s_or_b64 exec, exec, s[4:5]
	s_and_saveexec_b64 s[4:5], s[0:1]
	s_cbranch_execnz .LBB4819_78
.LBB4819_54:
	s_or_b64 exec, exec, s[4:5]
	s_and_saveexec_b64 s[0:1], s[2:3]
	s_cbranch_execnz .LBB4819_79
.LBB4819_55:
	s_or_b64 exec, exec, s[0:1]
	s_and_saveexec_b64 s[0:1], s[48:49]
	s_cbranch_execnz .LBB4819_80
.LBB4819_56:
	s_or_b64 exec, exec, s[0:1]
	s_and_saveexec_b64 s[0:1], s[6:7]
	s_cbranch_execnz .LBB4819_81
.LBB4819_57:
	s_or_b64 exec, exec, s[0:1]
	s_and_saveexec_b64 s[0:1], s[8:9]
	s_cbranch_execnz .LBB4819_82
.LBB4819_58:
	s_or_b64 exec, exec, s[0:1]
	s_and_saveexec_b64 s[0:1], s[10:11]
	s_cbranch_execnz .LBB4819_83
.LBB4819_59:
	s_or_b64 exec, exec, s[0:1]
	s_and_saveexec_b64 s[0:1], s[12:13]
	s_cbranch_execnz .LBB4819_84
.LBB4819_60:
	s_or_b64 exec, exec, s[0:1]
	s_and_saveexec_b64 s[0:1], s[14:15]
	s_cbranch_execnz .LBB4819_85
.LBB4819_61:
	s_or_b64 exec, exec, s[0:1]
	s_and_saveexec_b64 s[0:1], s[16:17]
	s_cbranch_execnz .LBB4819_86
.LBB4819_62:
	s_or_b64 exec, exec, s[0:1]
	s_and_saveexec_b64 s[0:1], s[18:19]
	s_cbranch_execnz .LBB4819_87
.LBB4819_63:
	s_or_b64 exec, exec, s[0:1]
	s_and_saveexec_b64 s[0:1], s[20:21]
	s_cbranch_execnz .LBB4819_88
.LBB4819_64:
	s_or_b64 exec, exec, s[0:1]
	s_and_saveexec_b64 s[0:1], s[22:23]
	s_cbranch_execnz .LBB4819_89
.LBB4819_65:
	s_or_b64 exec, exec, s[0:1]
	s_and_saveexec_b64 s[0:1], s[24:25]
	s_cbranch_execnz .LBB4819_90
.LBB4819_66:
	s_or_b64 exec, exec, s[0:1]
	s_and_saveexec_b64 s[0:1], s[26:27]
	s_cbranch_execnz .LBB4819_91
.LBB4819_67:
	s_or_b64 exec, exec, s[0:1]
	s_and_saveexec_b64 s[0:1], s[28:29]
	s_cbranch_execnz .LBB4819_92
.LBB4819_68:
	s_or_b64 exec, exec, s[0:1]
	s_and_saveexec_b64 s[0:1], s[30:31]
	s_cbranch_execnz .LBB4819_93
.LBB4819_69:
	s_or_b64 exec, exec, s[0:1]
	s_and_saveexec_b64 s[0:1], s[34:35]
	s_cbranch_execnz .LBB4819_94
.LBB4819_70:
	s_or_b64 exec, exec, s[0:1]
	s_and_saveexec_b64 s[0:1], s[36:37]
	s_cbranch_execnz .LBB4819_95
.LBB4819_71:
	s_or_b64 exec, exec, s[0:1]
	s_and_saveexec_b64 s[0:1], s[38:39]
	s_cbranch_execnz .LBB4819_96
.LBB4819_72:
	s_or_b64 exec, exec, s[0:1]
	s_and_saveexec_b64 s[0:1], s[40:41]
	s_cbranch_execnz .LBB4819_97
.LBB4819_73:
	s_or_b64 exec, exec, s[0:1]
	s_and_saveexec_b64 s[0:1], s[42:43]
	s_cbranch_execnz .LBB4819_98
.LBB4819_74:
	s_or_b64 exec, exec, s[0:1]
	s_and_saveexec_b64 s[0:1], s[44:45]
	s_cbranch_execnz .LBB4819_99
.LBB4819_75:
	s_or_b64 exec, exec, s[0:1]
	s_and_saveexec_b64 s[0:1], s[46:47]
	s_cbranch_execnz .LBB4819_100
.LBB4819_76:
	s_endpgm
.LBB4819_77:
	ds_read_u16 v14, v14
	s_waitcnt lgkmcnt(0)
	global_store_short v[0:1], v14, off
	s_or_b64 exec, exec, s[4:5]
	s_and_saveexec_b64 s[4:5], s[0:1]
	s_cbranch_execz .LBB4819_54
.LBB4819_78:
	s_waitcnt lgkmcnt(14)
	global_store_short v[0:1], v25, off offset:128
	s_or_b64 exec, exec, s[4:5]
	s_and_saveexec_b64 s[0:1], s[2:3]
	s_cbranch_execz .LBB4819_55
.LBB4819_79:
	s_waitcnt lgkmcnt(14)
	global_store_short v[0:1], v24, off offset:256
	s_or_b64 exec, exec, s[0:1]
	s_and_saveexec_b64 s[0:1], s[48:49]
	s_cbranch_execz .LBB4819_56
.LBB4819_80:
	s_waitcnt lgkmcnt(14)
	global_store_short v[0:1], v23, off offset:384
	s_or_b64 exec, exec, s[0:1]
	s_and_saveexec_b64 s[0:1], s[6:7]
	s_cbranch_execz .LBB4819_57
.LBB4819_81:
	s_waitcnt lgkmcnt(14)
	global_store_short v[0:1], v22, off offset:512
	s_or_b64 exec, exec, s[0:1]
	s_and_saveexec_b64 s[0:1], s[8:9]
	s_cbranch_execz .LBB4819_58
.LBB4819_82:
	s_waitcnt lgkmcnt(14)
	global_store_short v[0:1], v21, off offset:640
	s_or_b64 exec, exec, s[0:1]
	s_and_saveexec_b64 s[0:1], s[10:11]
	s_cbranch_execz .LBB4819_59
.LBB4819_83:
	s_waitcnt lgkmcnt(14)
	global_store_short v[0:1], v20, off offset:768
	s_or_b64 exec, exec, s[0:1]
	s_and_saveexec_b64 s[0:1], s[12:13]
	s_cbranch_execz .LBB4819_60
.LBB4819_84:
	s_waitcnt lgkmcnt(14)
	global_store_short v[0:1], v19, off offset:896
	s_or_b64 exec, exec, s[0:1]
	s_and_saveexec_b64 s[0:1], s[14:15]
	s_cbranch_execz .LBB4819_61
.LBB4819_85:
	s_waitcnt lgkmcnt(14)
	global_store_short v[0:1], v18, off offset:1024
	s_or_b64 exec, exec, s[0:1]
	s_and_saveexec_b64 s[0:1], s[16:17]
	s_cbranch_execz .LBB4819_62
.LBB4819_86:
	s_waitcnt lgkmcnt(14)
	global_store_short v[0:1], v17, off offset:1152
	s_or_b64 exec, exec, s[0:1]
	s_and_saveexec_b64 s[0:1], s[18:19]
	s_cbranch_execz .LBB4819_63
.LBB4819_87:
	s_waitcnt lgkmcnt(13)
	global_store_short v[0:1], v16, off offset:1280
	s_or_b64 exec, exec, s[0:1]
	s_and_saveexec_b64 s[0:1], s[20:21]
	s_cbranch_execz .LBB4819_64
.LBB4819_88:
	s_waitcnt lgkmcnt(12)
	global_store_short v[0:1], v15, off offset:1408
	s_or_b64 exec, exec, s[0:1]
	s_and_saveexec_b64 s[0:1], s[22:23]
	s_cbranch_execz .LBB4819_65
.LBB4819_89:
	s_waitcnt lgkmcnt(11)
	global_store_short v[0:1], v13, off offset:1536
	s_or_b64 exec, exec, s[0:1]
	s_and_saveexec_b64 s[0:1], s[24:25]
	s_cbranch_execz .LBB4819_66
.LBB4819_90:
	s_waitcnt lgkmcnt(10)
	global_store_short v[0:1], v12, off offset:1664
	s_or_b64 exec, exec, s[0:1]
	s_and_saveexec_b64 s[0:1], s[26:27]
	s_cbranch_execz .LBB4819_67
.LBB4819_91:
	s_waitcnt lgkmcnt(9)
	global_store_short v[0:1], v11, off offset:1792
	s_or_b64 exec, exec, s[0:1]
	s_and_saveexec_b64 s[0:1], s[28:29]
	s_cbranch_execz .LBB4819_68
.LBB4819_92:
	s_waitcnt lgkmcnt(8)
	global_store_short v[0:1], v10, off offset:1920
	s_or_b64 exec, exec, s[0:1]
	s_and_saveexec_b64 s[0:1], s[30:31]
	s_cbranch_execz .LBB4819_69
.LBB4819_93:
	s_waitcnt lgkmcnt(7)
	global_store_short v[0:1], v9, off offset:2048
	s_or_b64 exec, exec, s[0:1]
	s_and_saveexec_b64 s[0:1], s[34:35]
	s_cbranch_execz .LBB4819_70
.LBB4819_94:
	s_waitcnt lgkmcnt(6)
	global_store_short v[0:1], v8, off offset:2176
	s_or_b64 exec, exec, s[0:1]
	s_and_saveexec_b64 s[0:1], s[36:37]
	s_cbranch_execz .LBB4819_71
.LBB4819_95:
	s_waitcnt lgkmcnt(5)
	global_store_short v[0:1], v7, off offset:2304
	s_or_b64 exec, exec, s[0:1]
	s_and_saveexec_b64 s[0:1], s[38:39]
	s_cbranch_execz .LBB4819_72
.LBB4819_96:
	s_waitcnt lgkmcnt(4)
	global_store_short v[0:1], v6, off offset:2432
	s_or_b64 exec, exec, s[0:1]
	s_and_saveexec_b64 s[0:1], s[40:41]
	s_cbranch_execz .LBB4819_73
.LBB4819_97:
	s_waitcnt lgkmcnt(3)
	global_store_short v[0:1], v5, off offset:2560
	s_or_b64 exec, exec, s[0:1]
	s_and_saveexec_b64 s[0:1], s[42:43]
	s_cbranch_execz .LBB4819_74
.LBB4819_98:
	s_waitcnt lgkmcnt(2)
	global_store_short v[0:1], v4, off offset:2688
	s_or_b64 exec, exec, s[0:1]
	s_and_saveexec_b64 s[0:1], s[44:45]
	s_cbranch_execz .LBB4819_75
.LBB4819_99:
	s_waitcnt lgkmcnt(1)
	global_store_short v[0:1], v3, off offset:2816
	s_or_b64 exec, exec, s[0:1]
	s_and_saveexec_b64 s[0:1], s[46:47]
	s_cbranch_execz .LBB4819_76
.LBB4819_100:
	s_waitcnt lgkmcnt(0)
	global_store_short v[0:1], v2, off offset:2944
	s_endpgm
	.section	.rodata,"a",@progbits
	.p2align	6, 0x0
	.amdhsa_kernel _ZN7rocprim17ROCPRIM_400000_NS6detail17trampoline_kernelINS0_14default_configENS1_20scan_config_selectorItEEZZNS1_9scan_implILNS1_25lookback_scan_determinismE0ELb1ELb1ES3_N6thrust23THRUST_200600_302600_NS6detail15normal_iteratorINS9_10device_ptrItEEEESE_tNS9_4plusIvEEtEEDaPvRmT3_T4_T5_mT6_P12ihipStream_tbENKUlT_T0_E_clISt17integral_constantIbLb1EESU_EEDaSP_SQ_EUlSP_E0_NS1_11comp_targetILNS1_3genE4ELNS1_11target_archE910ELNS1_3gpuE8ELNS1_3repE0EEENS1_30default_config_static_selectorELNS0_4arch9wavefront6targetE1EEEvT1_
		.amdhsa_group_segment_fixed_size 3072
		.amdhsa_private_segment_fixed_size 0
		.amdhsa_kernarg_size 32
		.amdhsa_user_sgpr_count 6
		.amdhsa_user_sgpr_private_segment_buffer 1
		.amdhsa_user_sgpr_dispatch_ptr 0
		.amdhsa_user_sgpr_queue_ptr 0
		.amdhsa_user_sgpr_kernarg_segment_ptr 1
		.amdhsa_user_sgpr_dispatch_id 0
		.amdhsa_user_sgpr_flat_scratch_init 0
		.amdhsa_user_sgpr_kernarg_preload_length 0
		.amdhsa_user_sgpr_kernarg_preload_offset 0
		.amdhsa_user_sgpr_private_segment_size 0
		.amdhsa_uses_dynamic_stack 0
		.amdhsa_system_sgpr_private_segment_wavefront_offset 0
		.amdhsa_system_sgpr_workgroup_id_x 1
		.amdhsa_system_sgpr_workgroup_id_y 0
		.amdhsa_system_sgpr_workgroup_id_z 0
		.amdhsa_system_sgpr_workgroup_info 0
		.amdhsa_system_vgpr_workitem_id 0
		.amdhsa_next_free_vgpr 32
		.amdhsa_next_free_sgpr 56
		.amdhsa_accum_offset 32
		.amdhsa_reserve_vcc 1
		.amdhsa_reserve_flat_scratch 0
		.amdhsa_float_round_mode_32 0
		.amdhsa_float_round_mode_16_64 0
		.amdhsa_float_denorm_mode_32 3
		.amdhsa_float_denorm_mode_16_64 3
		.amdhsa_dx10_clamp 1
		.amdhsa_ieee_mode 1
		.amdhsa_fp16_overflow 0
		.amdhsa_tg_split 0
		.amdhsa_exception_fp_ieee_invalid_op 0
		.amdhsa_exception_fp_denorm_src 0
		.amdhsa_exception_fp_ieee_div_zero 0
		.amdhsa_exception_fp_ieee_overflow 0
		.amdhsa_exception_fp_ieee_underflow 0
		.amdhsa_exception_fp_ieee_inexact 0
		.amdhsa_exception_int_div_zero 0
	.end_amdhsa_kernel
	.section	.text._ZN7rocprim17ROCPRIM_400000_NS6detail17trampoline_kernelINS0_14default_configENS1_20scan_config_selectorItEEZZNS1_9scan_implILNS1_25lookback_scan_determinismE0ELb1ELb1ES3_N6thrust23THRUST_200600_302600_NS6detail15normal_iteratorINS9_10device_ptrItEEEESE_tNS9_4plusIvEEtEEDaPvRmT3_T4_T5_mT6_P12ihipStream_tbENKUlT_T0_E_clISt17integral_constantIbLb1EESU_EEDaSP_SQ_EUlSP_E0_NS1_11comp_targetILNS1_3genE4ELNS1_11target_archE910ELNS1_3gpuE8ELNS1_3repE0EEENS1_30default_config_static_selectorELNS0_4arch9wavefront6targetE1EEEvT1_,"axG",@progbits,_ZN7rocprim17ROCPRIM_400000_NS6detail17trampoline_kernelINS0_14default_configENS1_20scan_config_selectorItEEZZNS1_9scan_implILNS1_25lookback_scan_determinismE0ELb1ELb1ES3_N6thrust23THRUST_200600_302600_NS6detail15normal_iteratorINS9_10device_ptrItEEEESE_tNS9_4plusIvEEtEEDaPvRmT3_T4_T5_mT6_P12ihipStream_tbENKUlT_T0_E_clISt17integral_constantIbLb1EESU_EEDaSP_SQ_EUlSP_E0_NS1_11comp_targetILNS1_3genE4ELNS1_11target_archE910ELNS1_3gpuE8ELNS1_3repE0EEENS1_30default_config_static_selectorELNS0_4arch9wavefront6targetE1EEEvT1_,comdat
.Lfunc_end4819:
	.size	_ZN7rocprim17ROCPRIM_400000_NS6detail17trampoline_kernelINS0_14default_configENS1_20scan_config_selectorItEEZZNS1_9scan_implILNS1_25lookback_scan_determinismE0ELb1ELb1ES3_N6thrust23THRUST_200600_302600_NS6detail15normal_iteratorINS9_10device_ptrItEEEESE_tNS9_4plusIvEEtEEDaPvRmT3_T4_T5_mT6_P12ihipStream_tbENKUlT_T0_E_clISt17integral_constantIbLb1EESU_EEDaSP_SQ_EUlSP_E0_NS1_11comp_targetILNS1_3genE4ELNS1_11target_archE910ELNS1_3gpuE8ELNS1_3repE0EEENS1_30default_config_static_selectorELNS0_4arch9wavefront6targetE1EEEvT1_, .Lfunc_end4819-_ZN7rocprim17ROCPRIM_400000_NS6detail17trampoline_kernelINS0_14default_configENS1_20scan_config_selectorItEEZZNS1_9scan_implILNS1_25lookback_scan_determinismE0ELb1ELb1ES3_N6thrust23THRUST_200600_302600_NS6detail15normal_iteratorINS9_10device_ptrItEEEESE_tNS9_4plusIvEEtEEDaPvRmT3_T4_T5_mT6_P12ihipStream_tbENKUlT_T0_E_clISt17integral_constantIbLb1EESU_EEDaSP_SQ_EUlSP_E0_NS1_11comp_targetILNS1_3genE4ELNS1_11target_archE910ELNS1_3gpuE8ELNS1_3repE0EEENS1_30default_config_static_selectorELNS0_4arch9wavefront6targetE1EEEvT1_
                                        ; -- End function
	.section	.AMDGPU.csdata,"",@progbits
; Kernel info:
; codeLenInByte = 3080
; NumSgprs: 60
; NumVgprs: 32
; NumAgprs: 0
; TotalNumVgprs: 32
; ScratchSize: 0
; MemoryBound: 0
; FloatMode: 240
; IeeeMode: 1
; LDSByteSize: 3072 bytes/workgroup (compile time only)
; SGPRBlocks: 7
; VGPRBlocks: 3
; NumSGPRsForWavesPerEU: 60
; NumVGPRsForWavesPerEU: 32
; AccumOffset: 32
; Occupancy: 6
; WaveLimiterHint : 0
; COMPUTE_PGM_RSRC2:SCRATCH_EN: 0
; COMPUTE_PGM_RSRC2:USER_SGPR: 6
; COMPUTE_PGM_RSRC2:TRAP_HANDLER: 0
; COMPUTE_PGM_RSRC2:TGID_X_EN: 1
; COMPUTE_PGM_RSRC2:TGID_Y_EN: 0
; COMPUTE_PGM_RSRC2:TGID_Z_EN: 0
; COMPUTE_PGM_RSRC2:TIDIG_COMP_CNT: 0
; COMPUTE_PGM_RSRC3_GFX90A:ACCUM_OFFSET: 7
; COMPUTE_PGM_RSRC3_GFX90A:TG_SPLIT: 0
	.section	.text._ZN7rocprim17ROCPRIM_400000_NS6detail17trampoline_kernelINS0_14default_configENS1_20scan_config_selectorItEEZZNS1_9scan_implILNS1_25lookback_scan_determinismE0ELb1ELb1ES3_N6thrust23THRUST_200600_302600_NS6detail15normal_iteratorINS9_10device_ptrItEEEESE_tNS9_4plusIvEEtEEDaPvRmT3_T4_T5_mT6_P12ihipStream_tbENKUlT_T0_E_clISt17integral_constantIbLb1EESU_EEDaSP_SQ_EUlSP_E0_NS1_11comp_targetILNS1_3genE3ELNS1_11target_archE908ELNS1_3gpuE7ELNS1_3repE0EEENS1_30default_config_static_selectorELNS0_4arch9wavefront6targetE1EEEvT1_,"axG",@progbits,_ZN7rocprim17ROCPRIM_400000_NS6detail17trampoline_kernelINS0_14default_configENS1_20scan_config_selectorItEEZZNS1_9scan_implILNS1_25lookback_scan_determinismE0ELb1ELb1ES3_N6thrust23THRUST_200600_302600_NS6detail15normal_iteratorINS9_10device_ptrItEEEESE_tNS9_4plusIvEEtEEDaPvRmT3_T4_T5_mT6_P12ihipStream_tbENKUlT_T0_E_clISt17integral_constantIbLb1EESU_EEDaSP_SQ_EUlSP_E0_NS1_11comp_targetILNS1_3genE3ELNS1_11target_archE908ELNS1_3gpuE7ELNS1_3repE0EEENS1_30default_config_static_selectorELNS0_4arch9wavefront6targetE1EEEvT1_,comdat
	.protected	_ZN7rocprim17ROCPRIM_400000_NS6detail17trampoline_kernelINS0_14default_configENS1_20scan_config_selectorItEEZZNS1_9scan_implILNS1_25lookback_scan_determinismE0ELb1ELb1ES3_N6thrust23THRUST_200600_302600_NS6detail15normal_iteratorINS9_10device_ptrItEEEESE_tNS9_4plusIvEEtEEDaPvRmT3_T4_T5_mT6_P12ihipStream_tbENKUlT_T0_E_clISt17integral_constantIbLb1EESU_EEDaSP_SQ_EUlSP_E0_NS1_11comp_targetILNS1_3genE3ELNS1_11target_archE908ELNS1_3gpuE7ELNS1_3repE0EEENS1_30default_config_static_selectorELNS0_4arch9wavefront6targetE1EEEvT1_ ; -- Begin function _ZN7rocprim17ROCPRIM_400000_NS6detail17trampoline_kernelINS0_14default_configENS1_20scan_config_selectorItEEZZNS1_9scan_implILNS1_25lookback_scan_determinismE0ELb1ELb1ES3_N6thrust23THRUST_200600_302600_NS6detail15normal_iteratorINS9_10device_ptrItEEEESE_tNS9_4plusIvEEtEEDaPvRmT3_T4_T5_mT6_P12ihipStream_tbENKUlT_T0_E_clISt17integral_constantIbLb1EESU_EEDaSP_SQ_EUlSP_E0_NS1_11comp_targetILNS1_3genE3ELNS1_11target_archE908ELNS1_3gpuE7ELNS1_3repE0EEENS1_30default_config_static_selectorELNS0_4arch9wavefront6targetE1EEEvT1_
	.globl	_ZN7rocprim17ROCPRIM_400000_NS6detail17trampoline_kernelINS0_14default_configENS1_20scan_config_selectorItEEZZNS1_9scan_implILNS1_25lookback_scan_determinismE0ELb1ELb1ES3_N6thrust23THRUST_200600_302600_NS6detail15normal_iteratorINS9_10device_ptrItEEEESE_tNS9_4plusIvEEtEEDaPvRmT3_T4_T5_mT6_P12ihipStream_tbENKUlT_T0_E_clISt17integral_constantIbLb1EESU_EEDaSP_SQ_EUlSP_E0_NS1_11comp_targetILNS1_3genE3ELNS1_11target_archE908ELNS1_3gpuE7ELNS1_3repE0EEENS1_30default_config_static_selectorELNS0_4arch9wavefront6targetE1EEEvT1_
	.p2align	8
	.type	_ZN7rocprim17ROCPRIM_400000_NS6detail17trampoline_kernelINS0_14default_configENS1_20scan_config_selectorItEEZZNS1_9scan_implILNS1_25lookback_scan_determinismE0ELb1ELb1ES3_N6thrust23THRUST_200600_302600_NS6detail15normal_iteratorINS9_10device_ptrItEEEESE_tNS9_4plusIvEEtEEDaPvRmT3_T4_T5_mT6_P12ihipStream_tbENKUlT_T0_E_clISt17integral_constantIbLb1EESU_EEDaSP_SQ_EUlSP_E0_NS1_11comp_targetILNS1_3genE3ELNS1_11target_archE908ELNS1_3gpuE7ELNS1_3repE0EEENS1_30default_config_static_selectorELNS0_4arch9wavefront6targetE1EEEvT1_,@function
_ZN7rocprim17ROCPRIM_400000_NS6detail17trampoline_kernelINS0_14default_configENS1_20scan_config_selectorItEEZZNS1_9scan_implILNS1_25lookback_scan_determinismE0ELb1ELb1ES3_N6thrust23THRUST_200600_302600_NS6detail15normal_iteratorINS9_10device_ptrItEEEESE_tNS9_4plusIvEEtEEDaPvRmT3_T4_T5_mT6_P12ihipStream_tbENKUlT_T0_E_clISt17integral_constantIbLb1EESU_EEDaSP_SQ_EUlSP_E0_NS1_11comp_targetILNS1_3genE3ELNS1_11target_archE908ELNS1_3gpuE7ELNS1_3repE0EEENS1_30default_config_static_selectorELNS0_4arch9wavefront6targetE1EEEvT1_: ; @_ZN7rocprim17ROCPRIM_400000_NS6detail17trampoline_kernelINS0_14default_configENS1_20scan_config_selectorItEEZZNS1_9scan_implILNS1_25lookback_scan_determinismE0ELb1ELb1ES3_N6thrust23THRUST_200600_302600_NS6detail15normal_iteratorINS9_10device_ptrItEEEESE_tNS9_4plusIvEEtEEDaPvRmT3_T4_T5_mT6_P12ihipStream_tbENKUlT_T0_E_clISt17integral_constantIbLb1EESU_EEDaSP_SQ_EUlSP_E0_NS1_11comp_targetILNS1_3genE3ELNS1_11target_archE908ELNS1_3gpuE7ELNS1_3repE0EEENS1_30default_config_static_selectorELNS0_4arch9wavefront6targetE1EEEvT1_
; %bb.0:
	.section	.rodata,"a",@progbits
	.p2align	6, 0x0
	.amdhsa_kernel _ZN7rocprim17ROCPRIM_400000_NS6detail17trampoline_kernelINS0_14default_configENS1_20scan_config_selectorItEEZZNS1_9scan_implILNS1_25lookback_scan_determinismE0ELb1ELb1ES3_N6thrust23THRUST_200600_302600_NS6detail15normal_iteratorINS9_10device_ptrItEEEESE_tNS9_4plusIvEEtEEDaPvRmT3_T4_T5_mT6_P12ihipStream_tbENKUlT_T0_E_clISt17integral_constantIbLb1EESU_EEDaSP_SQ_EUlSP_E0_NS1_11comp_targetILNS1_3genE3ELNS1_11target_archE908ELNS1_3gpuE7ELNS1_3repE0EEENS1_30default_config_static_selectorELNS0_4arch9wavefront6targetE1EEEvT1_
		.amdhsa_group_segment_fixed_size 0
		.amdhsa_private_segment_fixed_size 0
		.amdhsa_kernarg_size 32
		.amdhsa_user_sgpr_count 6
		.amdhsa_user_sgpr_private_segment_buffer 1
		.amdhsa_user_sgpr_dispatch_ptr 0
		.amdhsa_user_sgpr_queue_ptr 0
		.amdhsa_user_sgpr_kernarg_segment_ptr 1
		.amdhsa_user_sgpr_dispatch_id 0
		.amdhsa_user_sgpr_flat_scratch_init 0
		.amdhsa_user_sgpr_kernarg_preload_length 0
		.amdhsa_user_sgpr_kernarg_preload_offset 0
		.amdhsa_user_sgpr_private_segment_size 0
		.amdhsa_uses_dynamic_stack 0
		.amdhsa_system_sgpr_private_segment_wavefront_offset 0
		.amdhsa_system_sgpr_workgroup_id_x 1
		.amdhsa_system_sgpr_workgroup_id_y 0
		.amdhsa_system_sgpr_workgroup_id_z 0
		.amdhsa_system_sgpr_workgroup_info 0
		.amdhsa_system_vgpr_workitem_id 0
		.amdhsa_next_free_vgpr 1
		.amdhsa_next_free_sgpr 0
		.amdhsa_accum_offset 4
		.amdhsa_reserve_vcc 0
		.amdhsa_reserve_flat_scratch 0
		.amdhsa_float_round_mode_32 0
		.amdhsa_float_round_mode_16_64 0
		.amdhsa_float_denorm_mode_32 3
		.amdhsa_float_denorm_mode_16_64 3
		.amdhsa_dx10_clamp 1
		.amdhsa_ieee_mode 1
		.amdhsa_fp16_overflow 0
		.amdhsa_tg_split 0
		.amdhsa_exception_fp_ieee_invalid_op 0
		.amdhsa_exception_fp_denorm_src 0
		.amdhsa_exception_fp_ieee_div_zero 0
		.amdhsa_exception_fp_ieee_overflow 0
		.amdhsa_exception_fp_ieee_underflow 0
		.amdhsa_exception_fp_ieee_inexact 0
		.amdhsa_exception_int_div_zero 0
	.end_amdhsa_kernel
	.section	.text._ZN7rocprim17ROCPRIM_400000_NS6detail17trampoline_kernelINS0_14default_configENS1_20scan_config_selectorItEEZZNS1_9scan_implILNS1_25lookback_scan_determinismE0ELb1ELb1ES3_N6thrust23THRUST_200600_302600_NS6detail15normal_iteratorINS9_10device_ptrItEEEESE_tNS9_4plusIvEEtEEDaPvRmT3_T4_T5_mT6_P12ihipStream_tbENKUlT_T0_E_clISt17integral_constantIbLb1EESU_EEDaSP_SQ_EUlSP_E0_NS1_11comp_targetILNS1_3genE3ELNS1_11target_archE908ELNS1_3gpuE7ELNS1_3repE0EEENS1_30default_config_static_selectorELNS0_4arch9wavefront6targetE1EEEvT1_,"axG",@progbits,_ZN7rocprim17ROCPRIM_400000_NS6detail17trampoline_kernelINS0_14default_configENS1_20scan_config_selectorItEEZZNS1_9scan_implILNS1_25lookback_scan_determinismE0ELb1ELb1ES3_N6thrust23THRUST_200600_302600_NS6detail15normal_iteratorINS9_10device_ptrItEEEESE_tNS9_4plusIvEEtEEDaPvRmT3_T4_T5_mT6_P12ihipStream_tbENKUlT_T0_E_clISt17integral_constantIbLb1EESU_EEDaSP_SQ_EUlSP_E0_NS1_11comp_targetILNS1_3genE3ELNS1_11target_archE908ELNS1_3gpuE7ELNS1_3repE0EEENS1_30default_config_static_selectorELNS0_4arch9wavefront6targetE1EEEvT1_,comdat
.Lfunc_end4820:
	.size	_ZN7rocprim17ROCPRIM_400000_NS6detail17trampoline_kernelINS0_14default_configENS1_20scan_config_selectorItEEZZNS1_9scan_implILNS1_25lookback_scan_determinismE0ELb1ELb1ES3_N6thrust23THRUST_200600_302600_NS6detail15normal_iteratorINS9_10device_ptrItEEEESE_tNS9_4plusIvEEtEEDaPvRmT3_T4_T5_mT6_P12ihipStream_tbENKUlT_T0_E_clISt17integral_constantIbLb1EESU_EEDaSP_SQ_EUlSP_E0_NS1_11comp_targetILNS1_3genE3ELNS1_11target_archE908ELNS1_3gpuE7ELNS1_3repE0EEENS1_30default_config_static_selectorELNS0_4arch9wavefront6targetE1EEEvT1_, .Lfunc_end4820-_ZN7rocprim17ROCPRIM_400000_NS6detail17trampoline_kernelINS0_14default_configENS1_20scan_config_selectorItEEZZNS1_9scan_implILNS1_25lookback_scan_determinismE0ELb1ELb1ES3_N6thrust23THRUST_200600_302600_NS6detail15normal_iteratorINS9_10device_ptrItEEEESE_tNS9_4plusIvEEtEEDaPvRmT3_T4_T5_mT6_P12ihipStream_tbENKUlT_T0_E_clISt17integral_constantIbLb1EESU_EEDaSP_SQ_EUlSP_E0_NS1_11comp_targetILNS1_3genE3ELNS1_11target_archE908ELNS1_3gpuE7ELNS1_3repE0EEENS1_30default_config_static_selectorELNS0_4arch9wavefront6targetE1EEEvT1_
                                        ; -- End function
	.section	.AMDGPU.csdata,"",@progbits
; Kernel info:
; codeLenInByte = 0
; NumSgprs: 4
; NumVgprs: 0
; NumAgprs: 0
; TotalNumVgprs: 0
; ScratchSize: 0
; MemoryBound: 0
; FloatMode: 240
; IeeeMode: 1
; LDSByteSize: 0 bytes/workgroup (compile time only)
; SGPRBlocks: 0
; VGPRBlocks: 0
; NumSGPRsForWavesPerEU: 4
; NumVGPRsForWavesPerEU: 1
; AccumOffset: 4
; Occupancy: 8
; WaveLimiterHint : 0
; COMPUTE_PGM_RSRC2:SCRATCH_EN: 0
; COMPUTE_PGM_RSRC2:USER_SGPR: 6
; COMPUTE_PGM_RSRC2:TRAP_HANDLER: 0
; COMPUTE_PGM_RSRC2:TGID_X_EN: 1
; COMPUTE_PGM_RSRC2:TGID_Y_EN: 0
; COMPUTE_PGM_RSRC2:TGID_Z_EN: 0
; COMPUTE_PGM_RSRC2:TIDIG_COMP_CNT: 0
; COMPUTE_PGM_RSRC3_GFX90A:ACCUM_OFFSET: 0
; COMPUTE_PGM_RSRC3_GFX90A:TG_SPLIT: 0
	.section	.text._ZN7rocprim17ROCPRIM_400000_NS6detail17trampoline_kernelINS0_14default_configENS1_20scan_config_selectorItEEZZNS1_9scan_implILNS1_25lookback_scan_determinismE0ELb1ELb1ES3_N6thrust23THRUST_200600_302600_NS6detail15normal_iteratorINS9_10device_ptrItEEEESE_tNS9_4plusIvEEtEEDaPvRmT3_T4_T5_mT6_P12ihipStream_tbENKUlT_T0_E_clISt17integral_constantIbLb1EESU_EEDaSP_SQ_EUlSP_E0_NS1_11comp_targetILNS1_3genE2ELNS1_11target_archE906ELNS1_3gpuE6ELNS1_3repE0EEENS1_30default_config_static_selectorELNS0_4arch9wavefront6targetE1EEEvT1_,"axG",@progbits,_ZN7rocprim17ROCPRIM_400000_NS6detail17trampoline_kernelINS0_14default_configENS1_20scan_config_selectorItEEZZNS1_9scan_implILNS1_25lookback_scan_determinismE0ELb1ELb1ES3_N6thrust23THRUST_200600_302600_NS6detail15normal_iteratorINS9_10device_ptrItEEEESE_tNS9_4plusIvEEtEEDaPvRmT3_T4_T5_mT6_P12ihipStream_tbENKUlT_T0_E_clISt17integral_constantIbLb1EESU_EEDaSP_SQ_EUlSP_E0_NS1_11comp_targetILNS1_3genE2ELNS1_11target_archE906ELNS1_3gpuE6ELNS1_3repE0EEENS1_30default_config_static_selectorELNS0_4arch9wavefront6targetE1EEEvT1_,comdat
	.protected	_ZN7rocprim17ROCPRIM_400000_NS6detail17trampoline_kernelINS0_14default_configENS1_20scan_config_selectorItEEZZNS1_9scan_implILNS1_25lookback_scan_determinismE0ELb1ELb1ES3_N6thrust23THRUST_200600_302600_NS6detail15normal_iteratorINS9_10device_ptrItEEEESE_tNS9_4plusIvEEtEEDaPvRmT3_T4_T5_mT6_P12ihipStream_tbENKUlT_T0_E_clISt17integral_constantIbLb1EESU_EEDaSP_SQ_EUlSP_E0_NS1_11comp_targetILNS1_3genE2ELNS1_11target_archE906ELNS1_3gpuE6ELNS1_3repE0EEENS1_30default_config_static_selectorELNS0_4arch9wavefront6targetE1EEEvT1_ ; -- Begin function _ZN7rocprim17ROCPRIM_400000_NS6detail17trampoline_kernelINS0_14default_configENS1_20scan_config_selectorItEEZZNS1_9scan_implILNS1_25lookback_scan_determinismE0ELb1ELb1ES3_N6thrust23THRUST_200600_302600_NS6detail15normal_iteratorINS9_10device_ptrItEEEESE_tNS9_4plusIvEEtEEDaPvRmT3_T4_T5_mT6_P12ihipStream_tbENKUlT_T0_E_clISt17integral_constantIbLb1EESU_EEDaSP_SQ_EUlSP_E0_NS1_11comp_targetILNS1_3genE2ELNS1_11target_archE906ELNS1_3gpuE6ELNS1_3repE0EEENS1_30default_config_static_selectorELNS0_4arch9wavefront6targetE1EEEvT1_
	.globl	_ZN7rocprim17ROCPRIM_400000_NS6detail17trampoline_kernelINS0_14default_configENS1_20scan_config_selectorItEEZZNS1_9scan_implILNS1_25lookback_scan_determinismE0ELb1ELb1ES3_N6thrust23THRUST_200600_302600_NS6detail15normal_iteratorINS9_10device_ptrItEEEESE_tNS9_4plusIvEEtEEDaPvRmT3_T4_T5_mT6_P12ihipStream_tbENKUlT_T0_E_clISt17integral_constantIbLb1EESU_EEDaSP_SQ_EUlSP_E0_NS1_11comp_targetILNS1_3genE2ELNS1_11target_archE906ELNS1_3gpuE6ELNS1_3repE0EEENS1_30default_config_static_selectorELNS0_4arch9wavefront6targetE1EEEvT1_
	.p2align	8
	.type	_ZN7rocprim17ROCPRIM_400000_NS6detail17trampoline_kernelINS0_14default_configENS1_20scan_config_selectorItEEZZNS1_9scan_implILNS1_25lookback_scan_determinismE0ELb1ELb1ES3_N6thrust23THRUST_200600_302600_NS6detail15normal_iteratorINS9_10device_ptrItEEEESE_tNS9_4plusIvEEtEEDaPvRmT3_T4_T5_mT6_P12ihipStream_tbENKUlT_T0_E_clISt17integral_constantIbLb1EESU_EEDaSP_SQ_EUlSP_E0_NS1_11comp_targetILNS1_3genE2ELNS1_11target_archE906ELNS1_3gpuE6ELNS1_3repE0EEENS1_30default_config_static_selectorELNS0_4arch9wavefront6targetE1EEEvT1_,@function
_ZN7rocprim17ROCPRIM_400000_NS6detail17trampoline_kernelINS0_14default_configENS1_20scan_config_selectorItEEZZNS1_9scan_implILNS1_25lookback_scan_determinismE0ELb1ELb1ES3_N6thrust23THRUST_200600_302600_NS6detail15normal_iteratorINS9_10device_ptrItEEEESE_tNS9_4plusIvEEtEEDaPvRmT3_T4_T5_mT6_P12ihipStream_tbENKUlT_T0_E_clISt17integral_constantIbLb1EESU_EEDaSP_SQ_EUlSP_E0_NS1_11comp_targetILNS1_3genE2ELNS1_11target_archE906ELNS1_3gpuE6ELNS1_3repE0EEENS1_30default_config_static_selectorELNS0_4arch9wavefront6targetE1EEEvT1_: ; @_ZN7rocprim17ROCPRIM_400000_NS6detail17trampoline_kernelINS0_14default_configENS1_20scan_config_selectorItEEZZNS1_9scan_implILNS1_25lookback_scan_determinismE0ELb1ELb1ES3_N6thrust23THRUST_200600_302600_NS6detail15normal_iteratorINS9_10device_ptrItEEEESE_tNS9_4plusIvEEtEEDaPvRmT3_T4_T5_mT6_P12ihipStream_tbENKUlT_T0_E_clISt17integral_constantIbLb1EESU_EEDaSP_SQ_EUlSP_E0_NS1_11comp_targetILNS1_3genE2ELNS1_11target_archE906ELNS1_3gpuE6ELNS1_3repE0EEENS1_30default_config_static_selectorELNS0_4arch9wavefront6targetE1EEEvT1_
; %bb.0:
	.section	.rodata,"a",@progbits
	.p2align	6, 0x0
	.amdhsa_kernel _ZN7rocprim17ROCPRIM_400000_NS6detail17trampoline_kernelINS0_14default_configENS1_20scan_config_selectorItEEZZNS1_9scan_implILNS1_25lookback_scan_determinismE0ELb1ELb1ES3_N6thrust23THRUST_200600_302600_NS6detail15normal_iteratorINS9_10device_ptrItEEEESE_tNS9_4plusIvEEtEEDaPvRmT3_T4_T5_mT6_P12ihipStream_tbENKUlT_T0_E_clISt17integral_constantIbLb1EESU_EEDaSP_SQ_EUlSP_E0_NS1_11comp_targetILNS1_3genE2ELNS1_11target_archE906ELNS1_3gpuE6ELNS1_3repE0EEENS1_30default_config_static_selectorELNS0_4arch9wavefront6targetE1EEEvT1_
		.amdhsa_group_segment_fixed_size 0
		.amdhsa_private_segment_fixed_size 0
		.amdhsa_kernarg_size 32
		.amdhsa_user_sgpr_count 6
		.amdhsa_user_sgpr_private_segment_buffer 1
		.amdhsa_user_sgpr_dispatch_ptr 0
		.amdhsa_user_sgpr_queue_ptr 0
		.amdhsa_user_sgpr_kernarg_segment_ptr 1
		.amdhsa_user_sgpr_dispatch_id 0
		.amdhsa_user_sgpr_flat_scratch_init 0
		.amdhsa_user_sgpr_kernarg_preload_length 0
		.amdhsa_user_sgpr_kernarg_preload_offset 0
		.amdhsa_user_sgpr_private_segment_size 0
		.amdhsa_uses_dynamic_stack 0
		.amdhsa_system_sgpr_private_segment_wavefront_offset 0
		.amdhsa_system_sgpr_workgroup_id_x 1
		.amdhsa_system_sgpr_workgroup_id_y 0
		.amdhsa_system_sgpr_workgroup_id_z 0
		.amdhsa_system_sgpr_workgroup_info 0
		.amdhsa_system_vgpr_workitem_id 0
		.amdhsa_next_free_vgpr 1
		.amdhsa_next_free_sgpr 0
		.amdhsa_accum_offset 4
		.amdhsa_reserve_vcc 0
		.amdhsa_reserve_flat_scratch 0
		.amdhsa_float_round_mode_32 0
		.amdhsa_float_round_mode_16_64 0
		.amdhsa_float_denorm_mode_32 3
		.amdhsa_float_denorm_mode_16_64 3
		.amdhsa_dx10_clamp 1
		.amdhsa_ieee_mode 1
		.amdhsa_fp16_overflow 0
		.amdhsa_tg_split 0
		.amdhsa_exception_fp_ieee_invalid_op 0
		.amdhsa_exception_fp_denorm_src 0
		.amdhsa_exception_fp_ieee_div_zero 0
		.amdhsa_exception_fp_ieee_overflow 0
		.amdhsa_exception_fp_ieee_underflow 0
		.amdhsa_exception_fp_ieee_inexact 0
		.amdhsa_exception_int_div_zero 0
	.end_amdhsa_kernel
	.section	.text._ZN7rocprim17ROCPRIM_400000_NS6detail17trampoline_kernelINS0_14default_configENS1_20scan_config_selectorItEEZZNS1_9scan_implILNS1_25lookback_scan_determinismE0ELb1ELb1ES3_N6thrust23THRUST_200600_302600_NS6detail15normal_iteratorINS9_10device_ptrItEEEESE_tNS9_4plusIvEEtEEDaPvRmT3_T4_T5_mT6_P12ihipStream_tbENKUlT_T0_E_clISt17integral_constantIbLb1EESU_EEDaSP_SQ_EUlSP_E0_NS1_11comp_targetILNS1_3genE2ELNS1_11target_archE906ELNS1_3gpuE6ELNS1_3repE0EEENS1_30default_config_static_selectorELNS0_4arch9wavefront6targetE1EEEvT1_,"axG",@progbits,_ZN7rocprim17ROCPRIM_400000_NS6detail17trampoline_kernelINS0_14default_configENS1_20scan_config_selectorItEEZZNS1_9scan_implILNS1_25lookback_scan_determinismE0ELb1ELb1ES3_N6thrust23THRUST_200600_302600_NS6detail15normal_iteratorINS9_10device_ptrItEEEESE_tNS9_4plusIvEEtEEDaPvRmT3_T4_T5_mT6_P12ihipStream_tbENKUlT_T0_E_clISt17integral_constantIbLb1EESU_EEDaSP_SQ_EUlSP_E0_NS1_11comp_targetILNS1_3genE2ELNS1_11target_archE906ELNS1_3gpuE6ELNS1_3repE0EEENS1_30default_config_static_selectorELNS0_4arch9wavefront6targetE1EEEvT1_,comdat
.Lfunc_end4821:
	.size	_ZN7rocprim17ROCPRIM_400000_NS6detail17trampoline_kernelINS0_14default_configENS1_20scan_config_selectorItEEZZNS1_9scan_implILNS1_25lookback_scan_determinismE0ELb1ELb1ES3_N6thrust23THRUST_200600_302600_NS6detail15normal_iteratorINS9_10device_ptrItEEEESE_tNS9_4plusIvEEtEEDaPvRmT3_T4_T5_mT6_P12ihipStream_tbENKUlT_T0_E_clISt17integral_constantIbLb1EESU_EEDaSP_SQ_EUlSP_E0_NS1_11comp_targetILNS1_3genE2ELNS1_11target_archE906ELNS1_3gpuE6ELNS1_3repE0EEENS1_30default_config_static_selectorELNS0_4arch9wavefront6targetE1EEEvT1_, .Lfunc_end4821-_ZN7rocprim17ROCPRIM_400000_NS6detail17trampoline_kernelINS0_14default_configENS1_20scan_config_selectorItEEZZNS1_9scan_implILNS1_25lookback_scan_determinismE0ELb1ELb1ES3_N6thrust23THRUST_200600_302600_NS6detail15normal_iteratorINS9_10device_ptrItEEEESE_tNS9_4plusIvEEtEEDaPvRmT3_T4_T5_mT6_P12ihipStream_tbENKUlT_T0_E_clISt17integral_constantIbLb1EESU_EEDaSP_SQ_EUlSP_E0_NS1_11comp_targetILNS1_3genE2ELNS1_11target_archE906ELNS1_3gpuE6ELNS1_3repE0EEENS1_30default_config_static_selectorELNS0_4arch9wavefront6targetE1EEEvT1_
                                        ; -- End function
	.section	.AMDGPU.csdata,"",@progbits
; Kernel info:
; codeLenInByte = 0
; NumSgprs: 4
; NumVgprs: 0
; NumAgprs: 0
; TotalNumVgprs: 0
; ScratchSize: 0
; MemoryBound: 0
; FloatMode: 240
; IeeeMode: 1
; LDSByteSize: 0 bytes/workgroup (compile time only)
; SGPRBlocks: 0
; VGPRBlocks: 0
; NumSGPRsForWavesPerEU: 4
; NumVGPRsForWavesPerEU: 1
; AccumOffset: 4
; Occupancy: 8
; WaveLimiterHint : 0
; COMPUTE_PGM_RSRC2:SCRATCH_EN: 0
; COMPUTE_PGM_RSRC2:USER_SGPR: 6
; COMPUTE_PGM_RSRC2:TRAP_HANDLER: 0
; COMPUTE_PGM_RSRC2:TGID_X_EN: 1
; COMPUTE_PGM_RSRC2:TGID_Y_EN: 0
; COMPUTE_PGM_RSRC2:TGID_Z_EN: 0
; COMPUTE_PGM_RSRC2:TIDIG_COMP_CNT: 0
; COMPUTE_PGM_RSRC3_GFX90A:ACCUM_OFFSET: 0
; COMPUTE_PGM_RSRC3_GFX90A:TG_SPLIT: 0
	.section	.text._ZN7rocprim17ROCPRIM_400000_NS6detail17trampoline_kernelINS0_14default_configENS1_20scan_config_selectorItEEZZNS1_9scan_implILNS1_25lookback_scan_determinismE0ELb1ELb1ES3_N6thrust23THRUST_200600_302600_NS6detail15normal_iteratorINS9_10device_ptrItEEEESE_tNS9_4plusIvEEtEEDaPvRmT3_T4_T5_mT6_P12ihipStream_tbENKUlT_T0_E_clISt17integral_constantIbLb1EESU_EEDaSP_SQ_EUlSP_E0_NS1_11comp_targetILNS1_3genE10ELNS1_11target_archE1201ELNS1_3gpuE5ELNS1_3repE0EEENS1_30default_config_static_selectorELNS0_4arch9wavefront6targetE1EEEvT1_,"axG",@progbits,_ZN7rocprim17ROCPRIM_400000_NS6detail17trampoline_kernelINS0_14default_configENS1_20scan_config_selectorItEEZZNS1_9scan_implILNS1_25lookback_scan_determinismE0ELb1ELb1ES3_N6thrust23THRUST_200600_302600_NS6detail15normal_iteratorINS9_10device_ptrItEEEESE_tNS9_4plusIvEEtEEDaPvRmT3_T4_T5_mT6_P12ihipStream_tbENKUlT_T0_E_clISt17integral_constantIbLb1EESU_EEDaSP_SQ_EUlSP_E0_NS1_11comp_targetILNS1_3genE10ELNS1_11target_archE1201ELNS1_3gpuE5ELNS1_3repE0EEENS1_30default_config_static_selectorELNS0_4arch9wavefront6targetE1EEEvT1_,comdat
	.protected	_ZN7rocprim17ROCPRIM_400000_NS6detail17trampoline_kernelINS0_14default_configENS1_20scan_config_selectorItEEZZNS1_9scan_implILNS1_25lookback_scan_determinismE0ELb1ELb1ES3_N6thrust23THRUST_200600_302600_NS6detail15normal_iteratorINS9_10device_ptrItEEEESE_tNS9_4plusIvEEtEEDaPvRmT3_T4_T5_mT6_P12ihipStream_tbENKUlT_T0_E_clISt17integral_constantIbLb1EESU_EEDaSP_SQ_EUlSP_E0_NS1_11comp_targetILNS1_3genE10ELNS1_11target_archE1201ELNS1_3gpuE5ELNS1_3repE0EEENS1_30default_config_static_selectorELNS0_4arch9wavefront6targetE1EEEvT1_ ; -- Begin function _ZN7rocprim17ROCPRIM_400000_NS6detail17trampoline_kernelINS0_14default_configENS1_20scan_config_selectorItEEZZNS1_9scan_implILNS1_25lookback_scan_determinismE0ELb1ELb1ES3_N6thrust23THRUST_200600_302600_NS6detail15normal_iteratorINS9_10device_ptrItEEEESE_tNS9_4plusIvEEtEEDaPvRmT3_T4_T5_mT6_P12ihipStream_tbENKUlT_T0_E_clISt17integral_constantIbLb1EESU_EEDaSP_SQ_EUlSP_E0_NS1_11comp_targetILNS1_3genE10ELNS1_11target_archE1201ELNS1_3gpuE5ELNS1_3repE0EEENS1_30default_config_static_selectorELNS0_4arch9wavefront6targetE1EEEvT1_
	.globl	_ZN7rocprim17ROCPRIM_400000_NS6detail17trampoline_kernelINS0_14default_configENS1_20scan_config_selectorItEEZZNS1_9scan_implILNS1_25lookback_scan_determinismE0ELb1ELb1ES3_N6thrust23THRUST_200600_302600_NS6detail15normal_iteratorINS9_10device_ptrItEEEESE_tNS9_4plusIvEEtEEDaPvRmT3_T4_T5_mT6_P12ihipStream_tbENKUlT_T0_E_clISt17integral_constantIbLb1EESU_EEDaSP_SQ_EUlSP_E0_NS1_11comp_targetILNS1_3genE10ELNS1_11target_archE1201ELNS1_3gpuE5ELNS1_3repE0EEENS1_30default_config_static_selectorELNS0_4arch9wavefront6targetE1EEEvT1_
	.p2align	8
	.type	_ZN7rocprim17ROCPRIM_400000_NS6detail17trampoline_kernelINS0_14default_configENS1_20scan_config_selectorItEEZZNS1_9scan_implILNS1_25lookback_scan_determinismE0ELb1ELb1ES3_N6thrust23THRUST_200600_302600_NS6detail15normal_iteratorINS9_10device_ptrItEEEESE_tNS9_4plusIvEEtEEDaPvRmT3_T4_T5_mT6_P12ihipStream_tbENKUlT_T0_E_clISt17integral_constantIbLb1EESU_EEDaSP_SQ_EUlSP_E0_NS1_11comp_targetILNS1_3genE10ELNS1_11target_archE1201ELNS1_3gpuE5ELNS1_3repE0EEENS1_30default_config_static_selectorELNS0_4arch9wavefront6targetE1EEEvT1_,@function
_ZN7rocprim17ROCPRIM_400000_NS6detail17trampoline_kernelINS0_14default_configENS1_20scan_config_selectorItEEZZNS1_9scan_implILNS1_25lookback_scan_determinismE0ELb1ELb1ES3_N6thrust23THRUST_200600_302600_NS6detail15normal_iteratorINS9_10device_ptrItEEEESE_tNS9_4plusIvEEtEEDaPvRmT3_T4_T5_mT6_P12ihipStream_tbENKUlT_T0_E_clISt17integral_constantIbLb1EESU_EEDaSP_SQ_EUlSP_E0_NS1_11comp_targetILNS1_3genE10ELNS1_11target_archE1201ELNS1_3gpuE5ELNS1_3repE0EEENS1_30default_config_static_selectorELNS0_4arch9wavefront6targetE1EEEvT1_: ; @_ZN7rocprim17ROCPRIM_400000_NS6detail17trampoline_kernelINS0_14default_configENS1_20scan_config_selectorItEEZZNS1_9scan_implILNS1_25lookback_scan_determinismE0ELb1ELb1ES3_N6thrust23THRUST_200600_302600_NS6detail15normal_iteratorINS9_10device_ptrItEEEESE_tNS9_4plusIvEEtEEDaPvRmT3_T4_T5_mT6_P12ihipStream_tbENKUlT_T0_E_clISt17integral_constantIbLb1EESU_EEDaSP_SQ_EUlSP_E0_NS1_11comp_targetILNS1_3genE10ELNS1_11target_archE1201ELNS1_3gpuE5ELNS1_3repE0EEENS1_30default_config_static_selectorELNS0_4arch9wavefront6targetE1EEEvT1_
; %bb.0:
	.section	.rodata,"a",@progbits
	.p2align	6, 0x0
	.amdhsa_kernel _ZN7rocprim17ROCPRIM_400000_NS6detail17trampoline_kernelINS0_14default_configENS1_20scan_config_selectorItEEZZNS1_9scan_implILNS1_25lookback_scan_determinismE0ELb1ELb1ES3_N6thrust23THRUST_200600_302600_NS6detail15normal_iteratorINS9_10device_ptrItEEEESE_tNS9_4plusIvEEtEEDaPvRmT3_T4_T5_mT6_P12ihipStream_tbENKUlT_T0_E_clISt17integral_constantIbLb1EESU_EEDaSP_SQ_EUlSP_E0_NS1_11comp_targetILNS1_3genE10ELNS1_11target_archE1201ELNS1_3gpuE5ELNS1_3repE0EEENS1_30default_config_static_selectorELNS0_4arch9wavefront6targetE1EEEvT1_
		.amdhsa_group_segment_fixed_size 0
		.amdhsa_private_segment_fixed_size 0
		.amdhsa_kernarg_size 32
		.amdhsa_user_sgpr_count 6
		.amdhsa_user_sgpr_private_segment_buffer 1
		.amdhsa_user_sgpr_dispatch_ptr 0
		.amdhsa_user_sgpr_queue_ptr 0
		.amdhsa_user_sgpr_kernarg_segment_ptr 1
		.amdhsa_user_sgpr_dispatch_id 0
		.amdhsa_user_sgpr_flat_scratch_init 0
		.amdhsa_user_sgpr_kernarg_preload_length 0
		.amdhsa_user_sgpr_kernarg_preload_offset 0
		.amdhsa_user_sgpr_private_segment_size 0
		.amdhsa_uses_dynamic_stack 0
		.amdhsa_system_sgpr_private_segment_wavefront_offset 0
		.amdhsa_system_sgpr_workgroup_id_x 1
		.amdhsa_system_sgpr_workgroup_id_y 0
		.amdhsa_system_sgpr_workgroup_id_z 0
		.amdhsa_system_sgpr_workgroup_info 0
		.amdhsa_system_vgpr_workitem_id 0
		.amdhsa_next_free_vgpr 1
		.amdhsa_next_free_sgpr 0
		.amdhsa_accum_offset 4
		.amdhsa_reserve_vcc 0
		.amdhsa_reserve_flat_scratch 0
		.amdhsa_float_round_mode_32 0
		.amdhsa_float_round_mode_16_64 0
		.amdhsa_float_denorm_mode_32 3
		.amdhsa_float_denorm_mode_16_64 3
		.amdhsa_dx10_clamp 1
		.amdhsa_ieee_mode 1
		.amdhsa_fp16_overflow 0
		.amdhsa_tg_split 0
		.amdhsa_exception_fp_ieee_invalid_op 0
		.amdhsa_exception_fp_denorm_src 0
		.amdhsa_exception_fp_ieee_div_zero 0
		.amdhsa_exception_fp_ieee_overflow 0
		.amdhsa_exception_fp_ieee_underflow 0
		.amdhsa_exception_fp_ieee_inexact 0
		.amdhsa_exception_int_div_zero 0
	.end_amdhsa_kernel
	.section	.text._ZN7rocprim17ROCPRIM_400000_NS6detail17trampoline_kernelINS0_14default_configENS1_20scan_config_selectorItEEZZNS1_9scan_implILNS1_25lookback_scan_determinismE0ELb1ELb1ES3_N6thrust23THRUST_200600_302600_NS6detail15normal_iteratorINS9_10device_ptrItEEEESE_tNS9_4plusIvEEtEEDaPvRmT3_T4_T5_mT6_P12ihipStream_tbENKUlT_T0_E_clISt17integral_constantIbLb1EESU_EEDaSP_SQ_EUlSP_E0_NS1_11comp_targetILNS1_3genE10ELNS1_11target_archE1201ELNS1_3gpuE5ELNS1_3repE0EEENS1_30default_config_static_selectorELNS0_4arch9wavefront6targetE1EEEvT1_,"axG",@progbits,_ZN7rocprim17ROCPRIM_400000_NS6detail17trampoline_kernelINS0_14default_configENS1_20scan_config_selectorItEEZZNS1_9scan_implILNS1_25lookback_scan_determinismE0ELb1ELb1ES3_N6thrust23THRUST_200600_302600_NS6detail15normal_iteratorINS9_10device_ptrItEEEESE_tNS9_4plusIvEEtEEDaPvRmT3_T4_T5_mT6_P12ihipStream_tbENKUlT_T0_E_clISt17integral_constantIbLb1EESU_EEDaSP_SQ_EUlSP_E0_NS1_11comp_targetILNS1_3genE10ELNS1_11target_archE1201ELNS1_3gpuE5ELNS1_3repE0EEENS1_30default_config_static_selectorELNS0_4arch9wavefront6targetE1EEEvT1_,comdat
.Lfunc_end4822:
	.size	_ZN7rocprim17ROCPRIM_400000_NS6detail17trampoline_kernelINS0_14default_configENS1_20scan_config_selectorItEEZZNS1_9scan_implILNS1_25lookback_scan_determinismE0ELb1ELb1ES3_N6thrust23THRUST_200600_302600_NS6detail15normal_iteratorINS9_10device_ptrItEEEESE_tNS9_4plusIvEEtEEDaPvRmT3_T4_T5_mT6_P12ihipStream_tbENKUlT_T0_E_clISt17integral_constantIbLb1EESU_EEDaSP_SQ_EUlSP_E0_NS1_11comp_targetILNS1_3genE10ELNS1_11target_archE1201ELNS1_3gpuE5ELNS1_3repE0EEENS1_30default_config_static_selectorELNS0_4arch9wavefront6targetE1EEEvT1_, .Lfunc_end4822-_ZN7rocprim17ROCPRIM_400000_NS6detail17trampoline_kernelINS0_14default_configENS1_20scan_config_selectorItEEZZNS1_9scan_implILNS1_25lookback_scan_determinismE0ELb1ELb1ES3_N6thrust23THRUST_200600_302600_NS6detail15normal_iteratorINS9_10device_ptrItEEEESE_tNS9_4plusIvEEtEEDaPvRmT3_T4_T5_mT6_P12ihipStream_tbENKUlT_T0_E_clISt17integral_constantIbLb1EESU_EEDaSP_SQ_EUlSP_E0_NS1_11comp_targetILNS1_3genE10ELNS1_11target_archE1201ELNS1_3gpuE5ELNS1_3repE0EEENS1_30default_config_static_selectorELNS0_4arch9wavefront6targetE1EEEvT1_
                                        ; -- End function
	.section	.AMDGPU.csdata,"",@progbits
; Kernel info:
; codeLenInByte = 0
; NumSgprs: 4
; NumVgprs: 0
; NumAgprs: 0
; TotalNumVgprs: 0
; ScratchSize: 0
; MemoryBound: 0
; FloatMode: 240
; IeeeMode: 1
; LDSByteSize: 0 bytes/workgroup (compile time only)
; SGPRBlocks: 0
; VGPRBlocks: 0
; NumSGPRsForWavesPerEU: 4
; NumVGPRsForWavesPerEU: 1
; AccumOffset: 4
; Occupancy: 8
; WaveLimiterHint : 0
; COMPUTE_PGM_RSRC2:SCRATCH_EN: 0
; COMPUTE_PGM_RSRC2:USER_SGPR: 6
; COMPUTE_PGM_RSRC2:TRAP_HANDLER: 0
; COMPUTE_PGM_RSRC2:TGID_X_EN: 1
; COMPUTE_PGM_RSRC2:TGID_Y_EN: 0
; COMPUTE_PGM_RSRC2:TGID_Z_EN: 0
; COMPUTE_PGM_RSRC2:TIDIG_COMP_CNT: 0
; COMPUTE_PGM_RSRC3_GFX90A:ACCUM_OFFSET: 0
; COMPUTE_PGM_RSRC3_GFX90A:TG_SPLIT: 0
	.section	.text._ZN7rocprim17ROCPRIM_400000_NS6detail17trampoline_kernelINS0_14default_configENS1_20scan_config_selectorItEEZZNS1_9scan_implILNS1_25lookback_scan_determinismE0ELb1ELb1ES3_N6thrust23THRUST_200600_302600_NS6detail15normal_iteratorINS9_10device_ptrItEEEESE_tNS9_4plusIvEEtEEDaPvRmT3_T4_T5_mT6_P12ihipStream_tbENKUlT_T0_E_clISt17integral_constantIbLb1EESU_EEDaSP_SQ_EUlSP_E0_NS1_11comp_targetILNS1_3genE10ELNS1_11target_archE1200ELNS1_3gpuE4ELNS1_3repE0EEENS1_30default_config_static_selectorELNS0_4arch9wavefront6targetE1EEEvT1_,"axG",@progbits,_ZN7rocprim17ROCPRIM_400000_NS6detail17trampoline_kernelINS0_14default_configENS1_20scan_config_selectorItEEZZNS1_9scan_implILNS1_25lookback_scan_determinismE0ELb1ELb1ES3_N6thrust23THRUST_200600_302600_NS6detail15normal_iteratorINS9_10device_ptrItEEEESE_tNS9_4plusIvEEtEEDaPvRmT3_T4_T5_mT6_P12ihipStream_tbENKUlT_T0_E_clISt17integral_constantIbLb1EESU_EEDaSP_SQ_EUlSP_E0_NS1_11comp_targetILNS1_3genE10ELNS1_11target_archE1200ELNS1_3gpuE4ELNS1_3repE0EEENS1_30default_config_static_selectorELNS0_4arch9wavefront6targetE1EEEvT1_,comdat
	.protected	_ZN7rocprim17ROCPRIM_400000_NS6detail17trampoline_kernelINS0_14default_configENS1_20scan_config_selectorItEEZZNS1_9scan_implILNS1_25lookback_scan_determinismE0ELb1ELb1ES3_N6thrust23THRUST_200600_302600_NS6detail15normal_iteratorINS9_10device_ptrItEEEESE_tNS9_4plusIvEEtEEDaPvRmT3_T4_T5_mT6_P12ihipStream_tbENKUlT_T0_E_clISt17integral_constantIbLb1EESU_EEDaSP_SQ_EUlSP_E0_NS1_11comp_targetILNS1_3genE10ELNS1_11target_archE1200ELNS1_3gpuE4ELNS1_3repE0EEENS1_30default_config_static_selectorELNS0_4arch9wavefront6targetE1EEEvT1_ ; -- Begin function _ZN7rocprim17ROCPRIM_400000_NS6detail17trampoline_kernelINS0_14default_configENS1_20scan_config_selectorItEEZZNS1_9scan_implILNS1_25lookback_scan_determinismE0ELb1ELb1ES3_N6thrust23THRUST_200600_302600_NS6detail15normal_iteratorINS9_10device_ptrItEEEESE_tNS9_4plusIvEEtEEDaPvRmT3_T4_T5_mT6_P12ihipStream_tbENKUlT_T0_E_clISt17integral_constantIbLb1EESU_EEDaSP_SQ_EUlSP_E0_NS1_11comp_targetILNS1_3genE10ELNS1_11target_archE1200ELNS1_3gpuE4ELNS1_3repE0EEENS1_30default_config_static_selectorELNS0_4arch9wavefront6targetE1EEEvT1_
	.globl	_ZN7rocprim17ROCPRIM_400000_NS6detail17trampoline_kernelINS0_14default_configENS1_20scan_config_selectorItEEZZNS1_9scan_implILNS1_25lookback_scan_determinismE0ELb1ELb1ES3_N6thrust23THRUST_200600_302600_NS6detail15normal_iteratorINS9_10device_ptrItEEEESE_tNS9_4plusIvEEtEEDaPvRmT3_T4_T5_mT6_P12ihipStream_tbENKUlT_T0_E_clISt17integral_constantIbLb1EESU_EEDaSP_SQ_EUlSP_E0_NS1_11comp_targetILNS1_3genE10ELNS1_11target_archE1200ELNS1_3gpuE4ELNS1_3repE0EEENS1_30default_config_static_selectorELNS0_4arch9wavefront6targetE1EEEvT1_
	.p2align	8
	.type	_ZN7rocprim17ROCPRIM_400000_NS6detail17trampoline_kernelINS0_14default_configENS1_20scan_config_selectorItEEZZNS1_9scan_implILNS1_25lookback_scan_determinismE0ELb1ELb1ES3_N6thrust23THRUST_200600_302600_NS6detail15normal_iteratorINS9_10device_ptrItEEEESE_tNS9_4plusIvEEtEEDaPvRmT3_T4_T5_mT6_P12ihipStream_tbENKUlT_T0_E_clISt17integral_constantIbLb1EESU_EEDaSP_SQ_EUlSP_E0_NS1_11comp_targetILNS1_3genE10ELNS1_11target_archE1200ELNS1_3gpuE4ELNS1_3repE0EEENS1_30default_config_static_selectorELNS0_4arch9wavefront6targetE1EEEvT1_,@function
_ZN7rocprim17ROCPRIM_400000_NS6detail17trampoline_kernelINS0_14default_configENS1_20scan_config_selectorItEEZZNS1_9scan_implILNS1_25lookback_scan_determinismE0ELb1ELb1ES3_N6thrust23THRUST_200600_302600_NS6detail15normal_iteratorINS9_10device_ptrItEEEESE_tNS9_4plusIvEEtEEDaPvRmT3_T4_T5_mT6_P12ihipStream_tbENKUlT_T0_E_clISt17integral_constantIbLb1EESU_EEDaSP_SQ_EUlSP_E0_NS1_11comp_targetILNS1_3genE10ELNS1_11target_archE1200ELNS1_3gpuE4ELNS1_3repE0EEENS1_30default_config_static_selectorELNS0_4arch9wavefront6targetE1EEEvT1_: ; @_ZN7rocprim17ROCPRIM_400000_NS6detail17trampoline_kernelINS0_14default_configENS1_20scan_config_selectorItEEZZNS1_9scan_implILNS1_25lookback_scan_determinismE0ELb1ELb1ES3_N6thrust23THRUST_200600_302600_NS6detail15normal_iteratorINS9_10device_ptrItEEEESE_tNS9_4plusIvEEtEEDaPvRmT3_T4_T5_mT6_P12ihipStream_tbENKUlT_T0_E_clISt17integral_constantIbLb1EESU_EEDaSP_SQ_EUlSP_E0_NS1_11comp_targetILNS1_3genE10ELNS1_11target_archE1200ELNS1_3gpuE4ELNS1_3repE0EEENS1_30default_config_static_selectorELNS0_4arch9wavefront6targetE1EEEvT1_
; %bb.0:
	.section	.rodata,"a",@progbits
	.p2align	6, 0x0
	.amdhsa_kernel _ZN7rocprim17ROCPRIM_400000_NS6detail17trampoline_kernelINS0_14default_configENS1_20scan_config_selectorItEEZZNS1_9scan_implILNS1_25lookback_scan_determinismE0ELb1ELb1ES3_N6thrust23THRUST_200600_302600_NS6detail15normal_iteratorINS9_10device_ptrItEEEESE_tNS9_4plusIvEEtEEDaPvRmT3_T4_T5_mT6_P12ihipStream_tbENKUlT_T0_E_clISt17integral_constantIbLb1EESU_EEDaSP_SQ_EUlSP_E0_NS1_11comp_targetILNS1_3genE10ELNS1_11target_archE1200ELNS1_3gpuE4ELNS1_3repE0EEENS1_30default_config_static_selectorELNS0_4arch9wavefront6targetE1EEEvT1_
		.amdhsa_group_segment_fixed_size 0
		.amdhsa_private_segment_fixed_size 0
		.amdhsa_kernarg_size 32
		.amdhsa_user_sgpr_count 6
		.amdhsa_user_sgpr_private_segment_buffer 1
		.amdhsa_user_sgpr_dispatch_ptr 0
		.amdhsa_user_sgpr_queue_ptr 0
		.amdhsa_user_sgpr_kernarg_segment_ptr 1
		.amdhsa_user_sgpr_dispatch_id 0
		.amdhsa_user_sgpr_flat_scratch_init 0
		.amdhsa_user_sgpr_kernarg_preload_length 0
		.amdhsa_user_sgpr_kernarg_preload_offset 0
		.amdhsa_user_sgpr_private_segment_size 0
		.amdhsa_uses_dynamic_stack 0
		.amdhsa_system_sgpr_private_segment_wavefront_offset 0
		.amdhsa_system_sgpr_workgroup_id_x 1
		.amdhsa_system_sgpr_workgroup_id_y 0
		.amdhsa_system_sgpr_workgroup_id_z 0
		.amdhsa_system_sgpr_workgroup_info 0
		.amdhsa_system_vgpr_workitem_id 0
		.amdhsa_next_free_vgpr 1
		.amdhsa_next_free_sgpr 0
		.amdhsa_accum_offset 4
		.amdhsa_reserve_vcc 0
		.amdhsa_reserve_flat_scratch 0
		.amdhsa_float_round_mode_32 0
		.amdhsa_float_round_mode_16_64 0
		.amdhsa_float_denorm_mode_32 3
		.amdhsa_float_denorm_mode_16_64 3
		.amdhsa_dx10_clamp 1
		.amdhsa_ieee_mode 1
		.amdhsa_fp16_overflow 0
		.amdhsa_tg_split 0
		.amdhsa_exception_fp_ieee_invalid_op 0
		.amdhsa_exception_fp_denorm_src 0
		.amdhsa_exception_fp_ieee_div_zero 0
		.amdhsa_exception_fp_ieee_overflow 0
		.amdhsa_exception_fp_ieee_underflow 0
		.amdhsa_exception_fp_ieee_inexact 0
		.amdhsa_exception_int_div_zero 0
	.end_amdhsa_kernel
	.section	.text._ZN7rocprim17ROCPRIM_400000_NS6detail17trampoline_kernelINS0_14default_configENS1_20scan_config_selectorItEEZZNS1_9scan_implILNS1_25lookback_scan_determinismE0ELb1ELb1ES3_N6thrust23THRUST_200600_302600_NS6detail15normal_iteratorINS9_10device_ptrItEEEESE_tNS9_4plusIvEEtEEDaPvRmT3_T4_T5_mT6_P12ihipStream_tbENKUlT_T0_E_clISt17integral_constantIbLb1EESU_EEDaSP_SQ_EUlSP_E0_NS1_11comp_targetILNS1_3genE10ELNS1_11target_archE1200ELNS1_3gpuE4ELNS1_3repE0EEENS1_30default_config_static_selectorELNS0_4arch9wavefront6targetE1EEEvT1_,"axG",@progbits,_ZN7rocprim17ROCPRIM_400000_NS6detail17trampoline_kernelINS0_14default_configENS1_20scan_config_selectorItEEZZNS1_9scan_implILNS1_25lookback_scan_determinismE0ELb1ELb1ES3_N6thrust23THRUST_200600_302600_NS6detail15normal_iteratorINS9_10device_ptrItEEEESE_tNS9_4plusIvEEtEEDaPvRmT3_T4_T5_mT6_P12ihipStream_tbENKUlT_T0_E_clISt17integral_constantIbLb1EESU_EEDaSP_SQ_EUlSP_E0_NS1_11comp_targetILNS1_3genE10ELNS1_11target_archE1200ELNS1_3gpuE4ELNS1_3repE0EEENS1_30default_config_static_selectorELNS0_4arch9wavefront6targetE1EEEvT1_,comdat
.Lfunc_end4823:
	.size	_ZN7rocprim17ROCPRIM_400000_NS6detail17trampoline_kernelINS0_14default_configENS1_20scan_config_selectorItEEZZNS1_9scan_implILNS1_25lookback_scan_determinismE0ELb1ELb1ES3_N6thrust23THRUST_200600_302600_NS6detail15normal_iteratorINS9_10device_ptrItEEEESE_tNS9_4plusIvEEtEEDaPvRmT3_T4_T5_mT6_P12ihipStream_tbENKUlT_T0_E_clISt17integral_constantIbLb1EESU_EEDaSP_SQ_EUlSP_E0_NS1_11comp_targetILNS1_3genE10ELNS1_11target_archE1200ELNS1_3gpuE4ELNS1_3repE0EEENS1_30default_config_static_selectorELNS0_4arch9wavefront6targetE1EEEvT1_, .Lfunc_end4823-_ZN7rocprim17ROCPRIM_400000_NS6detail17trampoline_kernelINS0_14default_configENS1_20scan_config_selectorItEEZZNS1_9scan_implILNS1_25lookback_scan_determinismE0ELb1ELb1ES3_N6thrust23THRUST_200600_302600_NS6detail15normal_iteratorINS9_10device_ptrItEEEESE_tNS9_4plusIvEEtEEDaPvRmT3_T4_T5_mT6_P12ihipStream_tbENKUlT_T0_E_clISt17integral_constantIbLb1EESU_EEDaSP_SQ_EUlSP_E0_NS1_11comp_targetILNS1_3genE10ELNS1_11target_archE1200ELNS1_3gpuE4ELNS1_3repE0EEENS1_30default_config_static_selectorELNS0_4arch9wavefront6targetE1EEEvT1_
                                        ; -- End function
	.section	.AMDGPU.csdata,"",@progbits
; Kernel info:
; codeLenInByte = 0
; NumSgprs: 4
; NumVgprs: 0
; NumAgprs: 0
; TotalNumVgprs: 0
; ScratchSize: 0
; MemoryBound: 0
; FloatMode: 240
; IeeeMode: 1
; LDSByteSize: 0 bytes/workgroup (compile time only)
; SGPRBlocks: 0
; VGPRBlocks: 0
; NumSGPRsForWavesPerEU: 4
; NumVGPRsForWavesPerEU: 1
; AccumOffset: 4
; Occupancy: 8
; WaveLimiterHint : 0
; COMPUTE_PGM_RSRC2:SCRATCH_EN: 0
; COMPUTE_PGM_RSRC2:USER_SGPR: 6
; COMPUTE_PGM_RSRC2:TRAP_HANDLER: 0
; COMPUTE_PGM_RSRC2:TGID_X_EN: 1
; COMPUTE_PGM_RSRC2:TGID_Y_EN: 0
; COMPUTE_PGM_RSRC2:TGID_Z_EN: 0
; COMPUTE_PGM_RSRC2:TIDIG_COMP_CNT: 0
; COMPUTE_PGM_RSRC3_GFX90A:ACCUM_OFFSET: 0
; COMPUTE_PGM_RSRC3_GFX90A:TG_SPLIT: 0
	.section	.text._ZN7rocprim17ROCPRIM_400000_NS6detail17trampoline_kernelINS0_14default_configENS1_20scan_config_selectorItEEZZNS1_9scan_implILNS1_25lookback_scan_determinismE0ELb1ELb1ES3_N6thrust23THRUST_200600_302600_NS6detail15normal_iteratorINS9_10device_ptrItEEEESE_tNS9_4plusIvEEtEEDaPvRmT3_T4_T5_mT6_P12ihipStream_tbENKUlT_T0_E_clISt17integral_constantIbLb1EESU_EEDaSP_SQ_EUlSP_E0_NS1_11comp_targetILNS1_3genE9ELNS1_11target_archE1100ELNS1_3gpuE3ELNS1_3repE0EEENS1_30default_config_static_selectorELNS0_4arch9wavefront6targetE1EEEvT1_,"axG",@progbits,_ZN7rocprim17ROCPRIM_400000_NS6detail17trampoline_kernelINS0_14default_configENS1_20scan_config_selectorItEEZZNS1_9scan_implILNS1_25lookback_scan_determinismE0ELb1ELb1ES3_N6thrust23THRUST_200600_302600_NS6detail15normal_iteratorINS9_10device_ptrItEEEESE_tNS9_4plusIvEEtEEDaPvRmT3_T4_T5_mT6_P12ihipStream_tbENKUlT_T0_E_clISt17integral_constantIbLb1EESU_EEDaSP_SQ_EUlSP_E0_NS1_11comp_targetILNS1_3genE9ELNS1_11target_archE1100ELNS1_3gpuE3ELNS1_3repE0EEENS1_30default_config_static_selectorELNS0_4arch9wavefront6targetE1EEEvT1_,comdat
	.protected	_ZN7rocprim17ROCPRIM_400000_NS6detail17trampoline_kernelINS0_14default_configENS1_20scan_config_selectorItEEZZNS1_9scan_implILNS1_25lookback_scan_determinismE0ELb1ELb1ES3_N6thrust23THRUST_200600_302600_NS6detail15normal_iteratorINS9_10device_ptrItEEEESE_tNS9_4plusIvEEtEEDaPvRmT3_T4_T5_mT6_P12ihipStream_tbENKUlT_T0_E_clISt17integral_constantIbLb1EESU_EEDaSP_SQ_EUlSP_E0_NS1_11comp_targetILNS1_3genE9ELNS1_11target_archE1100ELNS1_3gpuE3ELNS1_3repE0EEENS1_30default_config_static_selectorELNS0_4arch9wavefront6targetE1EEEvT1_ ; -- Begin function _ZN7rocprim17ROCPRIM_400000_NS6detail17trampoline_kernelINS0_14default_configENS1_20scan_config_selectorItEEZZNS1_9scan_implILNS1_25lookback_scan_determinismE0ELb1ELb1ES3_N6thrust23THRUST_200600_302600_NS6detail15normal_iteratorINS9_10device_ptrItEEEESE_tNS9_4plusIvEEtEEDaPvRmT3_T4_T5_mT6_P12ihipStream_tbENKUlT_T0_E_clISt17integral_constantIbLb1EESU_EEDaSP_SQ_EUlSP_E0_NS1_11comp_targetILNS1_3genE9ELNS1_11target_archE1100ELNS1_3gpuE3ELNS1_3repE0EEENS1_30default_config_static_selectorELNS0_4arch9wavefront6targetE1EEEvT1_
	.globl	_ZN7rocprim17ROCPRIM_400000_NS6detail17trampoline_kernelINS0_14default_configENS1_20scan_config_selectorItEEZZNS1_9scan_implILNS1_25lookback_scan_determinismE0ELb1ELb1ES3_N6thrust23THRUST_200600_302600_NS6detail15normal_iteratorINS9_10device_ptrItEEEESE_tNS9_4plusIvEEtEEDaPvRmT3_T4_T5_mT6_P12ihipStream_tbENKUlT_T0_E_clISt17integral_constantIbLb1EESU_EEDaSP_SQ_EUlSP_E0_NS1_11comp_targetILNS1_3genE9ELNS1_11target_archE1100ELNS1_3gpuE3ELNS1_3repE0EEENS1_30default_config_static_selectorELNS0_4arch9wavefront6targetE1EEEvT1_
	.p2align	8
	.type	_ZN7rocprim17ROCPRIM_400000_NS6detail17trampoline_kernelINS0_14default_configENS1_20scan_config_selectorItEEZZNS1_9scan_implILNS1_25lookback_scan_determinismE0ELb1ELb1ES3_N6thrust23THRUST_200600_302600_NS6detail15normal_iteratorINS9_10device_ptrItEEEESE_tNS9_4plusIvEEtEEDaPvRmT3_T4_T5_mT6_P12ihipStream_tbENKUlT_T0_E_clISt17integral_constantIbLb1EESU_EEDaSP_SQ_EUlSP_E0_NS1_11comp_targetILNS1_3genE9ELNS1_11target_archE1100ELNS1_3gpuE3ELNS1_3repE0EEENS1_30default_config_static_selectorELNS0_4arch9wavefront6targetE1EEEvT1_,@function
_ZN7rocprim17ROCPRIM_400000_NS6detail17trampoline_kernelINS0_14default_configENS1_20scan_config_selectorItEEZZNS1_9scan_implILNS1_25lookback_scan_determinismE0ELb1ELb1ES3_N6thrust23THRUST_200600_302600_NS6detail15normal_iteratorINS9_10device_ptrItEEEESE_tNS9_4plusIvEEtEEDaPvRmT3_T4_T5_mT6_P12ihipStream_tbENKUlT_T0_E_clISt17integral_constantIbLb1EESU_EEDaSP_SQ_EUlSP_E0_NS1_11comp_targetILNS1_3genE9ELNS1_11target_archE1100ELNS1_3gpuE3ELNS1_3repE0EEENS1_30default_config_static_selectorELNS0_4arch9wavefront6targetE1EEEvT1_: ; @_ZN7rocprim17ROCPRIM_400000_NS6detail17trampoline_kernelINS0_14default_configENS1_20scan_config_selectorItEEZZNS1_9scan_implILNS1_25lookback_scan_determinismE0ELb1ELb1ES3_N6thrust23THRUST_200600_302600_NS6detail15normal_iteratorINS9_10device_ptrItEEEESE_tNS9_4plusIvEEtEEDaPvRmT3_T4_T5_mT6_P12ihipStream_tbENKUlT_T0_E_clISt17integral_constantIbLb1EESU_EEDaSP_SQ_EUlSP_E0_NS1_11comp_targetILNS1_3genE9ELNS1_11target_archE1100ELNS1_3gpuE3ELNS1_3repE0EEENS1_30default_config_static_selectorELNS0_4arch9wavefront6targetE1EEEvT1_
; %bb.0:
	.section	.rodata,"a",@progbits
	.p2align	6, 0x0
	.amdhsa_kernel _ZN7rocprim17ROCPRIM_400000_NS6detail17trampoline_kernelINS0_14default_configENS1_20scan_config_selectorItEEZZNS1_9scan_implILNS1_25lookback_scan_determinismE0ELb1ELb1ES3_N6thrust23THRUST_200600_302600_NS6detail15normal_iteratorINS9_10device_ptrItEEEESE_tNS9_4plusIvEEtEEDaPvRmT3_T4_T5_mT6_P12ihipStream_tbENKUlT_T0_E_clISt17integral_constantIbLb1EESU_EEDaSP_SQ_EUlSP_E0_NS1_11comp_targetILNS1_3genE9ELNS1_11target_archE1100ELNS1_3gpuE3ELNS1_3repE0EEENS1_30default_config_static_selectorELNS0_4arch9wavefront6targetE1EEEvT1_
		.amdhsa_group_segment_fixed_size 0
		.amdhsa_private_segment_fixed_size 0
		.amdhsa_kernarg_size 32
		.amdhsa_user_sgpr_count 6
		.amdhsa_user_sgpr_private_segment_buffer 1
		.amdhsa_user_sgpr_dispatch_ptr 0
		.amdhsa_user_sgpr_queue_ptr 0
		.amdhsa_user_sgpr_kernarg_segment_ptr 1
		.amdhsa_user_sgpr_dispatch_id 0
		.amdhsa_user_sgpr_flat_scratch_init 0
		.amdhsa_user_sgpr_kernarg_preload_length 0
		.amdhsa_user_sgpr_kernarg_preload_offset 0
		.amdhsa_user_sgpr_private_segment_size 0
		.amdhsa_uses_dynamic_stack 0
		.amdhsa_system_sgpr_private_segment_wavefront_offset 0
		.amdhsa_system_sgpr_workgroup_id_x 1
		.amdhsa_system_sgpr_workgroup_id_y 0
		.amdhsa_system_sgpr_workgroup_id_z 0
		.amdhsa_system_sgpr_workgroup_info 0
		.amdhsa_system_vgpr_workitem_id 0
		.amdhsa_next_free_vgpr 1
		.amdhsa_next_free_sgpr 0
		.amdhsa_accum_offset 4
		.amdhsa_reserve_vcc 0
		.amdhsa_reserve_flat_scratch 0
		.amdhsa_float_round_mode_32 0
		.amdhsa_float_round_mode_16_64 0
		.amdhsa_float_denorm_mode_32 3
		.amdhsa_float_denorm_mode_16_64 3
		.amdhsa_dx10_clamp 1
		.amdhsa_ieee_mode 1
		.amdhsa_fp16_overflow 0
		.amdhsa_tg_split 0
		.amdhsa_exception_fp_ieee_invalid_op 0
		.amdhsa_exception_fp_denorm_src 0
		.amdhsa_exception_fp_ieee_div_zero 0
		.amdhsa_exception_fp_ieee_overflow 0
		.amdhsa_exception_fp_ieee_underflow 0
		.amdhsa_exception_fp_ieee_inexact 0
		.amdhsa_exception_int_div_zero 0
	.end_amdhsa_kernel
	.section	.text._ZN7rocprim17ROCPRIM_400000_NS6detail17trampoline_kernelINS0_14default_configENS1_20scan_config_selectorItEEZZNS1_9scan_implILNS1_25lookback_scan_determinismE0ELb1ELb1ES3_N6thrust23THRUST_200600_302600_NS6detail15normal_iteratorINS9_10device_ptrItEEEESE_tNS9_4plusIvEEtEEDaPvRmT3_T4_T5_mT6_P12ihipStream_tbENKUlT_T0_E_clISt17integral_constantIbLb1EESU_EEDaSP_SQ_EUlSP_E0_NS1_11comp_targetILNS1_3genE9ELNS1_11target_archE1100ELNS1_3gpuE3ELNS1_3repE0EEENS1_30default_config_static_selectorELNS0_4arch9wavefront6targetE1EEEvT1_,"axG",@progbits,_ZN7rocprim17ROCPRIM_400000_NS6detail17trampoline_kernelINS0_14default_configENS1_20scan_config_selectorItEEZZNS1_9scan_implILNS1_25lookback_scan_determinismE0ELb1ELb1ES3_N6thrust23THRUST_200600_302600_NS6detail15normal_iteratorINS9_10device_ptrItEEEESE_tNS9_4plusIvEEtEEDaPvRmT3_T4_T5_mT6_P12ihipStream_tbENKUlT_T0_E_clISt17integral_constantIbLb1EESU_EEDaSP_SQ_EUlSP_E0_NS1_11comp_targetILNS1_3genE9ELNS1_11target_archE1100ELNS1_3gpuE3ELNS1_3repE0EEENS1_30default_config_static_selectorELNS0_4arch9wavefront6targetE1EEEvT1_,comdat
.Lfunc_end4824:
	.size	_ZN7rocprim17ROCPRIM_400000_NS6detail17trampoline_kernelINS0_14default_configENS1_20scan_config_selectorItEEZZNS1_9scan_implILNS1_25lookback_scan_determinismE0ELb1ELb1ES3_N6thrust23THRUST_200600_302600_NS6detail15normal_iteratorINS9_10device_ptrItEEEESE_tNS9_4plusIvEEtEEDaPvRmT3_T4_T5_mT6_P12ihipStream_tbENKUlT_T0_E_clISt17integral_constantIbLb1EESU_EEDaSP_SQ_EUlSP_E0_NS1_11comp_targetILNS1_3genE9ELNS1_11target_archE1100ELNS1_3gpuE3ELNS1_3repE0EEENS1_30default_config_static_selectorELNS0_4arch9wavefront6targetE1EEEvT1_, .Lfunc_end4824-_ZN7rocprim17ROCPRIM_400000_NS6detail17trampoline_kernelINS0_14default_configENS1_20scan_config_selectorItEEZZNS1_9scan_implILNS1_25lookback_scan_determinismE0ELb1ELb1ES3_N6thrust23THRUST_200600_302600_NS6detail15normal_iteratorINS9_10device_ptrItEEEESE_tNS9_4plusIvEEtEEDaPvRmT3_T4_T5_mT6_P12ihipStream_tbENKUlT_T0_E_clISt17integral_constantIbLb1EESU_EEDaSP_SQ_EUlSP_E0_NS1_11comp_targetILNS1_3genE9ELNS1_11target_archE1100ELNS1_3gpuE3ELNS1_3repE0EEENS1_30default_config_static_selectorELNS0_4arch9wavefront6targetE1EEEvT1_
                                        ; -- End function
	.section	.AMDGPU.csdata,"",@progbits
; Kernel info:
; codeLenInByte = 0
; NumSgprs: 4
; NumVgprs: 0
; NumAgprs: 0
; TotalNumVgprs: 0
; ScratchSize: 0
; MemoryBound: 0
; FloatMode: 240
; IeeeMode: 1
; LDSByteSize: 0 bytes/workgroup (compile time only)
; SGPRBlocks: 0
; VGPRBlocks: 0
; NumSGPRsForWavesPerEU: 4
; NumVGPRsForWavesPerEU: 1
; AccumOffset: 4
; Occupancy: 8
; WaveLimiterHint : 0
; COMPUTE_PGM_RSRC2:SCRATCH_EN: 0
; COMPUTE_PGM_RSRC2:USER_SGPR: 6
; COMPUTE_PGM_RSRC2:TRAP_HANDLER: 0
; COMPUTE_PGM_RSRC2:TGID_X_EN: 1
; COMPUTE_PGM_RSRC2:TGID_Y_EN: 0
; COMPUTE_PGM_RSRC2:TGID_Z_EN: 0
; COMPUTE_PGM_RSRC2:TIDIG_COMP_CNT: 0
; COMPUTE_PGM_RSRC3_GFX90A:ACCUM_OFFSET: 0
; COMPUTE_PGM_RSRC3_GFX90A:TG_SPLIT: 0
	.section	.text._ZN7rocprim17ROCPRIM_400000_NS6detail17trampoline_kernelINS0_14default_configENS1_20scan_config_selectorItEEZZNS1_9scan_implILNS1_25lookback_scan_determinismE0ELb1ELb1ES3_N6thrust23THRUST_200600_302600_NS6detail15normal_iteratorINS9_10device_ptrItEEEESE_tNS9_4plusIvEEtEEDaPvRmT3_T4_T5_mT6_P12ihipStream_tbENKUlT_T0_E_clISt17integral_constantIbLb1EESU_EEDaSP_SQ_EUlSP_E0_NS1_11comp_targetILNS1_3genE8ELNS1_11target_archE1030ELNS1_3gpuE2ELNS1_3repE0EEENS1_30default_config_static_selectorELNS0_4arch9wavefront6targetE1EEEvT1_,"axG",@progbits,_ZN7rocprim17ROCPRIM_400000_NS6detail17trampoline_kernelINS0_14default_configENS1_20scan_config_selectorItEEZZNS1_9scan_implILNS1_25lookback_scan_determinismE0ELb1ELb1ES3_N6thrust23THRUST_200600_302600_NS6detail15normal_iteratorINS9_10device_ptrItEEEESE_tNS9_4plusIvEEtEEDaPvRmT3_T4_T5_mT6_P12ihipStream_tbENKUlT_T0_E_clISt17integral_constantIbLb1EESU_EEDaSP_SQ_EUlSP_E0_NS1_11comp_targetILNS1_3genE8ELNS1_11target_archE1030ELNS1_3gpuE2ELNS1_3repE0EEENS1_30default_config_static_selectorELNS0_4arch9wavefront6targetE1EEEvT1_,comdat
	.protected	_ZN7rocprim17ROCPRIM_400000_NS6detail17trampoline_kernelINS0_14default_configENS1_20scan_config_selectorItEEZZNS1_9scan_implILNS1_25lookback_scan_determinismE0ELb1ELb1ES3_N6thrust23THRUST_200600_302600_NS6detail15normal_iteratorINS9_10device_ptrItEEEESE_tNS9_4plusIvEEtEEDaPvRmT3_T4_T5_mT6_P12ihipStream_tbENKUlT_T0_E_clISt17integral_constantIbLb1EESU_EEDaSP_SQ_EUlSP_E0_NS1_11comp_targetILNS1_3genE8ELNS1_11target_archE1030ELNS1_3gpuE2ELNS1_3repE0EEENS1_30default_config_static_selectorELNS0_4arch9wavefront6targetE1EEEvT1_ ; -- Begin function _ZN7rocprim17ROCPRIM_400000_NS6detail17trampoline_kernelINS0_14default_configENS1_20scan_config_selectorItEEZZNS1_9scan_implILNS1_25lookback_scan_determinismE0ELb1ELb1ES3_N6thrust23THRUST_200600_302600_NS6detail15normal_iteratorINS9_10device_ptrItEEEESE_tNS9_4plusIvEEtEEDaPvRmT3_T4_T5_mT6_P12ihipStream_tbENKUlT_T0_E_clISt17integral_constantIbLb1EESU_EEDaSP_SQ_EUlSP_E0_NS1_11comp_targetILNS1_3genE8ELNS1_11target_archE1030ELNS1_3gpuE2ELNS1_3repE0EEENS1_30default_config_static_selectorELNS0_4arch9wavefront6targetE1EEEvT1_
	.globl	_ZN7rocprim17ROCPRIM_400000_NS6detail17trampoline_kernelINS0_14default_configENS1_20scan_config_selectorItEEZZNS1_9scan_implILNS1_25lookback_scan_determinismE0ELb1ELb1ES3_N6thrust23THRUST_200600_302600_NS6detail15normal_iteratorINS9_10device_ptrItEEEESE_tNS9_4plusIvEEtEEDaPvRmT3_T4_T5_mT6_P12ihipStream_tbENKUlT_T0_E_clISt17integral_constantIbLb1EESU_EEDaSP_SQ_EUlSP_E0_NS1_11comp_targetILNS1_3genE8ELNS1_11target_archE1030ELNS1_3gpuE2ELNS1_3repE0EEENS1_30default_config_static_selectorELNS0_4arch9wavefront6targetE1EEEvT1_
	.p2align	8
	.type	_ZN7rocprim17ROCPRIM_400000_NS6detail17trampoline_kernelINS0_14default_configENS1_20scan_config_selectorItEEZZNS1_9scan_implILNS1_25lookback_scan_determinismE0ELb1ELb1ES3_N6thrust23THRUST_200600_302600_NS6detail15normal_iteratorINS9_10device_ptrItEEEESE_tNS9_4plusIvEEtEEDaPvRmT3_T4_T5_mT6_P12ihipStream_tbENKUlT_T0_E_clISt17integral_constantIbLb1EESU_EEDaSP_SQ_EUlSP_E0_NS1_11comp_targetILNS1_3genE8ELNS1_11target_archE1030ELNS1_3gpuE2ELNS1_3repE0EEENS1_30default_config_static_selectorELNS0_4arch9wavefront6targetE1EEEvT1_,@function
_ZN7rocprim17ROCPRIM_400000_NS6detail17trampoline_kernelINS0_14default_configENS1_20scan_config_selectorItEEZZNS1_9scan_implILNS1_25lookback_scan_determinismE0ELb1ELb1ES3_N6thrust23THRUST_200600_302600_NS6detail15normal_iteratorINS9_10device_ptrItEEEESE_tNS9_4plusIvEEtEEDaPvRmT3_T4_T5_mT6_P12ihipStream_tbENKUlT_T0_E_clISt17integral_constantIbLb1EESU_EEDaSP_SQ_EUlSP_E0_NS1_11comp_targetILNS1_3genE8ELNS1_11target_archE1030ELNS1_3gpuE2ELNS1_3repE0EEENS1_30default_config_static_selectorELNS0_4arch9wavefront6targetE1EEEvT1_: ; @_ZN7rocprim17ROCPRIM_400000_NS6detail17trampoline_kernelINS0_14default_configENS1_20scan_config_selectorItEEZZNS1_9scan_implILNS1_25lookback_scan_determinismE0ELb1ELb1ES3_N6thrust23THRUST_200600_302600_NS6detail15normal_iteratorINS9_10device_ptrItEEEESE_tNS9_4plusIvEEtEEDaPvRmT3_T4_T5_mT6_P12ihipStream_tbENKUlT_T0_E_clISt17integral_constantIbLb1EESU_EEDaSP_SQ_EUlSP_E0_NS1_11comp_targetILNS1_3genE8ELNS1_11target_archE1030ELNS1_3gpuE2ELNS1_3repE0EEENS1_30default_config_static_selectorELNS0_4arch9wavefront6targetE1EEEvT1_
; %bb.0:
	.section	.rodata,"a",@progbits
	.p2align	6, 0x0
	.amdhsa_kernel _ZN7rocprim17ROCPRIM_400000_NS6detail17trampoline_kernelINS0_14default_configENS1_20scan_config_selectorItEEZZNS1_9scan_implILNS1_25lookback_scan_determinismE0ELb1ELb1ES3_N6thrust23THRUST_200600_302600_NS6detail15normal_iteratorINS9_10device_ptrItEEEESE_tNS9_4plusIvEEtEEDaPvRmT3_T4_T5_mT6_P12ihipStream_tbENKUlT_T0_E_clISt17integral_constantIbLb1EESU_EEDaSP_SQ_EUlSP_E0_NS1_11comp_targetILNS1_3genE8ELNS1_11target_archE1030ELNS1_3gpuE2ELNS1_3repE0EEENS1_30default_config_static_selectorELNS0_4arch9wavefront6targetE1EEEvT1_
		.amdhsa_group_segment_fixed_size 0
		.amdhsa_private_segment_fixed_size 0
		.amdhsa_kernarg_size 32
		.amdhsa_user_sgpr_count 6
		.amdhsa_user_sgpr_private_segment_buffer 1
		.amdhsa_user_sgpr_dispatch_ptr 0
		.amdhsa_user_sgpr_queue_ptr 0
		.amdhsa_user_sgpr_kernarg_segment_ptr 1
		.amdhsa_user_sgpr_dispatch_id 0
		.amdhsa_user_sgpr_flat_scratch_init 0
		.amdhsa_user_sgpr_kernarg_preload_length 0
		.amdhsa_user_sgpr_kernarg_preload_offset 0
		.amdhsa_user_sgpr_private_segment_size 0
		.amdhsa_uses_dynamic_stack 0
		.amdhsa_system_sgpr_private_segment_wavefront_offset 0
		.amdhsa_system_sgpr_workgroup_id_x 1
		.amdhsa_system_sgpr_workgroup_id_y 0
		.amdhsa_system_sgpr_workgroup_id_z 0
		.amdhsa_system_sgpr_workgroup_info 0
		.amdhsa_system_vgpr_workitem_id 0
		.amdhsa_next_free_vgpr 1
		.amdhsa_next_free_sgpr 0
		.amdhsa_accum_offset 4
		.amdhsa_reserve_vcc 0
		.amdhsa_reserve_flat_scratch 0
		.amdhsa_float_round_mode_32 0
		.amdhsa_float_round_mode_16_64 0
		.amdhsa_float_denorm_mode_32 3
		.amdhsa_float_denorm_mode_16_64 3
		.amdhsa_dx10_clamp 1
		.amdhsa_ieee_mode 1
		.amdhsa_fp16_overflow 0
		.amdhsa_tg_split 0
		.amdhsa_exception_fp_ieee_invalid_op 0
		.amdhsa_exception_fp_denorm_src 0
		.amdhsa_exception_fp_ieee_div_zero 0
		.amdhsa_exception_fp_ieee_overflow 0
		.amdhsa_exception_fp_ieee_underflow 0
		.amdhsa_exception_fp_ieee_inexact 0
		.amdhsa_exception_int_div_zero 0
	.end_amdhsa_kernel
	.section	.text._ZN7rocprim17ROCPRIM_400000_NS6detail17trampoline_kernelINS0_14default_configENS1_20scan_config_selectorItEEZZNS1_9scan_implILNS1_25lookback_scan_determinismE0ELb1ELb1ES3_N6thrust23THRUST_200600_302600_NS6detail15normal_iteratorINS9_10device_ptrItEEEESE_tNS9_4plusIvEEtEEDaPvRmT3_T4_T5_mT6_P12ihipStream_tbENKUlT_T0_E_clISt17integral_constantIbLb1EESU_EEDaSP_SQ_EUlSP_E0_NS1_11comp_targetILNS1_3genE8ELNS1_11target_archE1030ELNS1_3gpuE2ELNS1_3repE0EEENS1_30default_config_static_selectorELNS0_4arch9wavefront6targetE1EEEvT1_,"axG",@progbits,_ZN7rocprim17ROCPRIM_400000_NS6detail17trampoline_kernelINS0_14default_configENS1_20scan_config_selectorItEEZZNS1_9scan_implILNS1_25lookback_scan_determinismE0ELb1ELb1ES3_N6thrust23THRUST_200600_302600_NS6detail15normal_iteratorINS9_10device_ptrItEEEESE_tNS9_4plusIvEEtEEDaPvRmT3_T4_T5_mT6_P12ihipStream_tbENKUlT_T0_E_clISt17integral_constantIbLb1EESU_EEDaSP_SQ_EUlSP_E0_NS1_11comp_targetILNS1_3genE8ELNS1_11target_archE1030ELNS1_3gpuE2ELNS1_3repE0EEENS1_30default_config_static_selectorELNS0_4arch9wavefront6targetE1EEEvT1_,comdat
.Lfunc_end4825:
	.size	_ZN7rocprim17ROCPRIM_400000_NS6detail17trampoline_kernelINS0_14default_configENS1_20scan_config_selectorItEEZZNS1_9scan_implILNS1_25lookback_scan_determinismE0ELb1ELb1ES3_N6thrust23THRUST_200600_302600_NS6detail15normal_iteratorINS9_10device_ptrItEEEESE_tNS9_4plusIvEEtEEDaPvRmT3_T4_T5_mT6_P12ihipStream_tbENKUlT_T0_E_clISt17integral_constantIbLb1EESU_EEDaSP_SQ_EUlSP_E0_NS1_11comp_targetILNS1_3genE8ELNS1_11target_archE1030ELNS1_3gpuE2ELNS1_3repE0EEENS1_30default_config_static_selectorELNS0_4arch9wavefront6targetE1EEEvT1_, .Lfunc_end4825-_ZN7rocprim17ROCPRIM_400000_NS6detail17trampoline_kernelINS0_14default_configENS1_20scan_config_selectorItEEZZNS1_9scan_implILNS1_25lookback_scan_determinismE0ELb1ELb1ES3_N6thrust23THRUST_200600_302600_NS6detail15normal_iteratorINS9_10device_ptrItEEEESE_tNS9_4plusIvEEtEEDaPvRmT3_T4_T5_mT6_P12ihipStream_tbENKUlT_T0_E_clISt17integral_constantIbLb1EESU_EEDaSP_SQ_EUlSP_E0_NS1_11comp_targetILNS1_3genE8ELNS1_11target_archE1030ELNS1_3gpuE2ELNS1_3repE0EEENS1_30default_config_static_selectorELNS0_4arch9wavefront6targetE1EEEvT1_
                                        ; -- End function
	.section	.AMDGPU.csdata,"",@progbits
; Kernel info:
; codeLenInByte = 0
; NumSgprs: 4
; NumVgprs: 0
; NumAgprs: 0
; TotalNumVgprs: 0
; ScratchSize: 0
; MemoryBound: 0
; FloatMode: 240
; IeeeMode: 1
; LDSByteSize: 0 bytes/workgroup (compile time only)
; SGPRBlocks: 0
; VGPRBlocks: 0
; NumSGPRsForWavesPerEU: 4
; NumVGPRsForWavesPerEU: 1
; AccumOffset: 4
; Occupancy: 8
; WaveLimiterHint : 0
; COMPUTE_PGM_RSRC2:SCRATCH_EN: 0
; COMPUTE_PGM_RSRC2:USER_SGPR: 6
; COMPUTE_PGM_RSRC2:TRAP_HANDLER: 0
; COMPUTE_PGM_RSRC2:TGID_X_EN: 1
; COMPUTE_PGM_RSRC2:TGID_Y_EN: 0
; COMPUTE_PGM_RSRC2:TGID_Z_EN: 0
; COMPUTE_PGM_RSRC2:TIDIG_COMP_CNT: 0
; COMPUTE_PGM_RSRC3_GFX90A:ACCUM_OFFSET: 0
; COMPUTE_PGM_RSRC3_GFX90A:TG_SPLIT: 0
	.section	.text._ZN7rocprim17ROCPRIM_400000_NS6detail17trampoline_kernelINS0_14default_configENS1_20scan_config_selectorItEEZZNS1_9scan_implILNS1_25lookback_scan_determinismE0ELb1ELb1ES3_N6thrust23THRUST_200600_302600_NS6detail15normal_iteratorINS9_10device_ptrItEEEESE_tNS9_4plusIvEEtEEDaPvRmT3_T4_T5_mT6_P12ihipStream_tbENKUlT_T0_E_clISt17integral_constantIbLb1EEST_IbLb0EEEEDaSP_SQ_EUlSP_E_NS1_11comp_targetILNS1_3genE0ELNS1_11target_archE4294967295ELNS1_3gpuE0ELNS1_3repE0EEENS1_30default_config_static_selectorELNS0_4arch9wavefront6targetE1EEEvT1_,"axG",@progbits,_ZN7rocprim17ROCPRIM_400000_NS6detail17trampoline_kernelINS0_14default_configENS1_20scan_config_selectorItEEZZNS1_9scan_implILNS1_25lookback_scan_determinismE0ELb1ELb1ES3_N6thrust23THRUST_200600_302600_NS6detail15normal_iteratorINS9_10device_ptrItEEEESE_tNS9_4plusIvEEtEEDaPvRmT3_T4_T5_mT6_P12ihipStream_tbENKUlT_T0_E_clISt17integral_constantIbLb1EEST_IbLb0EEEEDaSP_SQ_EUlSP_E_NS1_11comp_targetILNS1_3genE0ELNS1_11target_archE4294967295ELNS1_3gpuE0ELNS1_3repE0EEENS1_30default_config_static_selectorELNS0_4arch9wavefront6targetE1EEEvT1_,comdat
	.protected	_ZN7rocprim17ROCPRIM_400000_NS6detail17trampoline_kernelINS0_14default_configENS1_20scan_config_selectorItEEZZNS1_9scan_implILNS1_25lookback_scan_determinismE0ELb1ELb1ES3_N6thrust23THRUST_200600_302600_NS6detail15normal_iteratorINS9_10device_ptrItEEEESE_tNS9_4plusIvEEtEEDaPvRmT3_T4_T5_mT6_P12ihipStream_tbENKUlT_T0_E_clISt17integral_constantIbLb1EEST_IbLb0EEEEDaSP_SQ_EUlSP_E_NS1_11comp_targetILNS1_3genE0ELNS1_11target_archE4294967295ELNS1_3gpuE0ELNS1_3repE0EEENS1_30default_config_static_selectorELNS0_4arch9wavefront6targetE1EEEvT1_ ; -- Begin function _ZN7rocprim17ROCPRIM_400000_NS6detail17trampoline_kernelINS0_14default_configENS1_20scan_config_selectorItEEZZNS1_9scan_implILNS1_25lookback_scan_determinismE0ELb1ELb1ES3_N6thrust23THRUST_200600_302600_NS6detail15normal_iteratorINS9_10device_ptrItEEEESE_tNS9_4plusIvEEtEEDaPvRmT3_T4_T5_mT6_P12ihipStream_tbENKUlT_T0_E_clISt17integral_constantIbLb1EEST_IbLb0EEEEDaSP_SQ_EUlSP_E_NS1_11comp_targetILNS1_3genE0ELNS1_11target_archE4294967295ELNS1_3gpuE0ELNS1_3repE0EEENS1_30default_config_static_selectorELNS0_4arch9wavefront6targetE1EEEvT1_
	.globl	_ZN7rocprim17ROCPRIM_400000_NS6detail17trampoline_kernelINS0_14default_configENS1_20scan_config_selectorItEEZZNS1_9scan_implILNS1_25lookback_scan_determinismE0ELb1ELb1ES3_N6thrust23THRUST_200600_302600_NS6detail15normal_iteratorINS9_10device_ptrItEEEESE_tNS9_4plusIvEEtEEDaPvRmT3_T4_T5_mT6_P12ihipStream_tbENKUlT_T0_E_clISt17integral_constantIbLb1EEST_IbLb0EEEEDaSP_SQ_EUlSP_E_NS1_11comp_targetILNS1_3genE0ELNS1_11target_archE4294967295ELNS1_3gpuE0ELNS1_3repE0EEENS1_30default_config_static_selectorELNS0_4arch9wavefront6targetE1EEEvT1_
	.p2align	8
	.type	_ZN7rocprim17ROCPRIM_400000_NS6detail17trampoline_kernelINS0_14default_configENS1_20scan_config_selectorItEEZZNS1_9scan_implILNS1_25lookback_scan_determinismE0ELb1ELb1ES3_N6thrust23THRUST_200600_302600_NS6detail15normal_iteratorINS9_10device_ptrItEEEESE_tNS9_4plusIvEEtEEDaPvRmT3_T4_T5_mT6_P12ihipStream_tbENKUlT_T0_E_clISt17integral_constantIbLb1EEST_IbLb0EEEEDaSP_SQ_EUlSP_E_NS1_11comp_targetILNS1_3genE0ELNS1_11target_archE4294967295ELNS1_3gpuE0ELNS1_3repE0EEENS1_30default_config_static_selectorELNS0_4arch9wavefront6targetE1EEEvT1_,@function
_ZN7rocprim17ROCPRIM_400000_NS6detail17trampoline_kernelINS0_14default_configENS1_20scan_config_selectorItEEZZNS1_9scan_implILNS1_25lookback_scan_determinismE0ELb1ELb1ES3_N6thrust23THRUST_200600_302600_NS6detail15normal_iteratorINS9_10device_ptrItEEEESE_tNS9_4plusIvEEtEEDaPvRmT3_T4_T5_mT6_P12ihipStream_tbENKUlT_T0_E_clISt17integral_constantIbLb1EEST_IbLb0EEEEDaSP_SQ_EUlSP_E_NS1_11comp_targetILNS1_3genE0ELNS1_11target_archE4294967295ELNS1_3gpuE0ELNS1_3repE0EEENS1_30default_config_static_selectorELNS0_4arch9wavefront6targetE1EEEvT1_: ; @_ZN7rocprim17ROCPRIM_400000_NS6detail17trampoline_kernelINS0_14default_configENS1_20scan_config_selectorItEEZZNS1_9scan_implILNS1_25lookback_scan_determinismE0ELb1ELb1ES3_N6thrust23THRUST_200600_302600_NS6detail15normal_iteratorINS9_10device_ptrItEEEESE_tNS9_4plusIvEEtEEDaPvRmT3_T4_T5_mT6_P12ihipStream_tbENKUlT_T0_E_clISt17integral_constantIbLb1EEST_IbLb0EEEEDaSP_SQ_EUlSP_E_NS1_11comp_targetILNS1_3genE0ELNS1_11target_archE4294967295ELNS1_3gpuE0ELNS1_3repE0EEENS1_30default_config_static_selectorELNS0_4arch9wavefront6targetE1EEEvT1_
; %bb.0:
	.section	.rodata,"a",@progbits
	.p2align	6, 0x0
	.amdhsa_kernel _ZN7rocprim17ROCPRIM_400000_NS6detail17trampoline_kernelINS0_14default_configENS1_20scan_config_selectorItEEZZNS1_9scan_implILNS1_25lookback_scan_determinismE0ELb1ELb1ES3_N6thrust23THRUST_200600_302600_NS6detail15normal_iteratorINS9_10device_ptrItEEEESE_tNS9_4plusIvEEtEEDaPvRmT3_T4_T5_mT6_P12ihipStream_tbENKUlT_T0_E_clISt17integral_constantIbLb1EEST_IbLb0EEEEDaSP_SQ_EUlSP_E_NS1_11comp_targetILNS1_3genE0ELNS1_11target_archE4294967295ELNS1_3gpuE0ELNS1_3repE0EEENS1_30default_config_static_selectorELNS0_4arch9wavefront6targetE1EEEvT1_
		.amdhsa_group_segment_fixed_size 0
		.amdhsa_private_segment_fixed_size 0
		.amdhsa_kernarg_size 96
		.amdhsa_user_sgpr_count 6
		.amdhsa_user_sgpr_private_segment_buffer 1
		.amdhsa_user_sgpr_dispatch_ptr 0
		.amdhsa_user_sgpr_queue_ptr 0
		.amdhsa_user_sgpr_kernarg_segment_ptr 1
		.amdhsa_user_sgpr_dispatch_id 0
		.amdhsa_user_sgpr_flat_scratch_init 0
		.amdhsa_user_sgpr_kernarg_preload_length 0
		.amdhsa_user_sgpr_kernarg_preload_offset 0
		.amdhsa_user_sgpr_private_segment_size 0
		.amdhsa_uses_dynamic_stack 0
		.amdhsa_system_sgpr_private_segment_wavefront_offset 0
		.amdhsa_system_sgpr_workgroup_id_x 1
		.amdhsa_system_sgpr_workgroup_id_y 0
		.amdhsa_system_sgpr_workgroup_id_z 0
		.amdhsa_system_sgpr_workgroup_info 0
		.amdhsa_system_vgpr_workitem_id 0
		.amdhsa_next_free_vgpr 1
		.amdhsa_next_free_sgpr 0
		.amdhsa_accum_offset 4
		.amdhsa_reserve_vcc 0
		.amdhsa_reserve_flat_scratch 0
		.amdhsa_float_round_mode_32 0
		.amdhsa_float_round_mode_16_64 0
		.amdhsa_float_denorm_mode_32 3
		.amdhsa_float_denorm_mode_16_64 3
		.amdhsa_dx10_clamp 1
		.amdhsa_ieee_mode 1
		.amdhsa_fp16_overflow 0
		.amdhsa_tg_split 0
		.amdhsa_exception_fp_ieee_invalid_op 0
		.amdhsa_exception_fp_denorm_src 0
		.amdhsa_exception_fp_ieee_div_zero 0
		.amdhsa_exception_fp_ieee_overflow 0
		.amdhsa_exception_fp_ieee_underflow 0
		.amdhsa_exception_fp_ieee_inexact 0
		.amdhsa_exception_int_div_zero 0
	.end_amdhsa_kernel
	.section	.text._ZN7rocprim17ROCPRIM_400000_NS6detail17trampoline_kernelINS0_14default_configENS1_20scan_config_selectorItEEZZNS1_9scan_implILNS1_25lookback_scan_determinismE0ELb1ELb1ES3_N6thrust23THRUST_200600_302600_NS6detail15normal_iteratorINS9_10device_ptrItEEEESE_tNS9_4plusIvEEtEEDaPvRmT3_T4_T5_mT6_P12ihipStream_tbENKUlT_T0_E_clISt17integral_constantIbLb1EEST_IbLb0EEEEDaSP_SQ_EUlSP_E_NS1_11comp_targetILNS1_3genE0ELNS1_11target_archE4294967295ELNS1_3gpuE0ELNS1_3repE0EEENS1_30default_config_static_selectorELNS0_4arch9wavefront6targetE1EEEvT1_,"axG",@progbits,_ZN7rocprim17ROCPRIM_400000_NS6detail17trampoline_kernelINS0_14default_configENS1_20scan_config_selectorItEEZZNS1_9scan_implILNS1_25lookback_scan_determinismE0ELb1ELb1ES3_N6thrust23THRUST_200600_302600_NS6detail15normal_iteratorINS9_10device_ptrItEEEESE_tNS9_4plusIvEEtEEDaPvRmT3_T4_T5_mT6_P12ihipStream_tbENKUlT_T0_E_clISt17integral_constantIbLb1EEST_IbLb0EEEEDaSP_SQ_EUlSP_E_NS1_11comp_targetILNS1_3genE0ELNS1_11target_archE4294967295ELNS1_3gpuE0ELNS1_3repE0EEENS1_30default_config_static_selectorELNS0_4arch9wavefront6targetE1EEEvT1_,comdat
.Lfunc_end4826:
	.size	_ZN7rocprim17ROCPRIM_400000_NS6detail17trampoline_kernelINS0_14default_configENS1_20scan_config_selectorItEEZZNS1_9scan_implILNS1_25lookback_scan_determinismE0ELb1ELb1ES3_N6thrust23THRUST_200600_302600_NS6detail15normal_iteratorINS9_10device_ptrItEEEESE_tNS9_4plusIvEEtEEDaPvRmT3_T4_T5_mT6_P12ihipStream_tbENKUlT_T0_E_clISt17integral_constantIbLb1EEST_IbLb0EEEEDaSP_SQ_EUlSP_E_NS1_11comp_targetILNS1_3genE0ELNS1_11target_archE4294967295ELNS1_3gpuE0ELNS1_3repE0EEENS1_30default_config_static_selectorELNS0_4arch9wavefront6targetE1EEEvT1_, .Lfunc_end4826-_ZN7rocprim17ROCPRIM_400000_NS6detail17trampoline_kernelINS0_14default_configENS1_20scan_config_selectorItEEZZNS1_9scan_implILNS1_25lookback_scan_determinismE0ELb1ELb1ES3_N6thrust23THRUST_200600_302600_NS6detail15normal_iteratorINS9_10device_ptrItEEEESE_tNS9_4plusIvEEtEEDaPvRmT3_T4_T5_mT6_P12ihipStream_tbENKUlT_T0_E_clISt17integral_constantIbLb1EEST_IbLb0EEEEDaSP_SQ_EUlSP_E_NS1_11comp_targetILNS1_3genE0ELNS1_11target_archE4294967295ELNS1_3gpuE0ELNS1_3repE0EEENS1_30default_config_static_selectorELNS0_4arch9wavefront6targetE1EEEvT1_
                                        ; -- End function
	.section	.AMDGPU.csdata,"",@progbits
; Kernel info:
; codeLenInByte = 0
; NumSgprs: 4
; NumVgprs: 0
; NumAgprs: 0
; TotalNumVgprs: 0
; ScratchSize: 0
; MemoryBound: 0
; FloatMode: 240
; IeeeMode: 1
; LDSByteSize: 0 bytes/workgroup (compile time only)
; SGPRBlocks: 0
; VGPRBlocks: 0
; NumSGPRsForWavesPerEU: 4
; NumVGPRsForWavesPerEU: 1
; AccumOffset: 4
; Occupancy: 8
; WaveLimiterHint : 0
; COMPUTE_PGM_RSRC2:SCRATCH_EN: 0
; COMPUTE_PGM_RSRC2:USER_SGPR: 6
; COMPUTE_PGM_RSRC2:TRAP_HANDLER: 0
; COMPUTE_PGM_RSRC2:TGID_X_EN: 1
; COMPUTE_PGM_RSRC2:TGID_Y_EN: 0
; COMPUTE_PGM_RSRC2:TGID_Z_EN: 0
; COMPUTE_PGM_RSRC2:TIDIG_COMP_CNT: 0
; COMPUTE_PGM_RSRC3_GFX90A:ACCUM_OFFSET: 0
; COMPUTE_PGM_RSRC3_GFX90A:TG_SPLIT: 0
	.section	.text._ZN7rocprim17ROCPRIM_400000_NS6detail17trampoline_kernelINS0_14default_configENS1_20scan_config_selectorItEEZZNS1_9scan_implILNS1_25lookback_scan_determinismE0ELb1ELb1ES3_N6thrust23THRUST_200600_302600_NS6detail15normal_iteratorINS9_10device_ptrItEEEESE_tNS9_4plusIvEEtEEDaPvRmT3_T4_T5_mT6_P12ihipStream_tbENKUlT_T0_E_clISt17integral_constantIbLb1EEST_IbLb0EEEEDaSP_SQ_EUlSP_E_NS1_11comp_targetILNS1_3genE5ELNS1_11target_archE942ELNS1_3gpuE9ELNS1_3repE0EEENS1_30default_config_static_selectorELNS0_4arch9wavefront6targetE1EEEvT1_,"axG",@progbits,_ZN7rocprim17ROCPRIM_400000_NS6detail17trampoline_kernelINS0_14default_configENS1_20scan_config_selectorItEEZZNS1_9scan_implILNS1_25lookback_scan_determinismE0ELb1ELb1ES3_N6thrust23THRUST_200600_302600_NS6detail15normal_iteratorINS9_10device_ptrItEEEESE_tNS9_4plusIvEEtEEDaPvRmT3_T4_T5_mT6_P12ihipStream_tbENKUlT_T0_E_clISt17integral_constantIbLb1EEST_IbLb0EEEEDaSP_SQ_EUlSP_E_NS1_11comp_targetILNS1_3genE5ELNS1_11target_archE942ELNS1_3gpuE9ELNS1_3repE0EEENS1_30default_config_static_selectorELNS0_4arch9wavefront6targetE1EEEvT1_,comdat
	.protected	_ZN7rocprim17ROCPRIM_400000_NS6detail17trampoline_kernelINS0_14default_configENS1_20scan_config_selectorItEEZZNS1_9scan_implILNS1_25lookback_scan_determinismE0ELb1ELb1ES3_N6thrust23THRUST_200600_302600_NS6detail15normal_iteratorINS9_10device_ptrItEEEESE_tNS9_4plusIvEEtEEDaPvRmT3_T4_T5_mT6_P12ihipStream_tbENKUlT_T0_E_clISt17integral_constantIbLb1EEST_IbLb0EEEEDaSP_SQ_EUlSP_E_NS1_11comp_targetILNS1_3genE5ELNS1_11target_archE942ELNS1_3gpuE9ELNS1_3repE0EEENS1_30default_config_static_selectorELNS0_4arch9wavefront6targetE1EEEvT1_ ; -- Begin function _ZN7rocprim17ROCPRIM_400000_NS6detail17trampoline_kernelINS0_14default_configENS1_20scan_config_selectorItEEZZNS1_9scan_implILNS1_25lookback_scan_determinismE0ELb1ELb1ES3_N6thrust23THRUST_200600_302600_NS6detail15normal_iteratorINS9_10device_ptrItEEEESE_tNS9_4plusIvEEtEEDaPvRmT3_T4_T5_mT6_P12ihipStream_tbENKUlT_T0_E_clISt17integral_constantIbLb1EEST_IbLb0EEEEDaSP_SQ_EUlSP_E_NS1_11comp_targetILNS1_3genE5ELNS1_11target_archE942ELNS1_3gpuE9ELNS1_3repE0EEENS1_30default_config_static_selectorELNS0_4arch9wavefront6targetE1EEEvT1_
	.globl	_ZN7rocprim17ROCPRIM_400000_NS6detail17trampoline_kernelINS0_14default_configENS1_20scan_config_selectorItEEZZNS1_9scan_implILNS1_25lookback_scan_determinismE0ELb1ELb1ES3_N6thrust23THRUST_200600_302600_NS6detail15normal_iteratorINS9_10device_ptrItEEEESE_tNS9_4plusIvEEtEEDaPvRmT3_T4_T5_mT6_P12ihipStream_tbENKUlT_T0_E_clISt17integral_constantIbLb1EEST_IbLb0EEEEDaSP_SQ_EUlSP_E_NS1_11comp_targetILNS1_3genE5ELNS1_11target_archE942ELNS1_3gpuE9ELNS1_3repE0EEENS1_30default_config_static_selectorELNS0_4arch9wavefront6targetE1EEEvT1_
	.p2align	8
	.type	_ZN7rocprim17ROCPRIM_400000_NS6detail17trampoline_kernelINS0_14default_configENS1_20scan_config_selectorItEEZZNS1_9scan_implILNS1_25lookback_scan_determinismE0ELb1ELb1ES3_N6thrust23THRUST_200600_302600_NS6detail15normal_iteratorINS9_10device_ptrItEEEESE_tNS9_4plusIvEEtEEDaPvRmT3_T4_T5_mT6_P12ihipStream_tbENKUlT_T0_E_clISt17integral_constantIbLb1EEST_IbLb0EEEEDaSP_SQ_EUlSP_E_NS1_11comp_targetILNS1_3genE5ELNS1_11target_archE942ELNS1_3gpuE9ELNS1_3repE0EEENS1_30default_config_static_selectorELNS0_4arch9wavefront6targetE1EEEvT1_,@function
_ZN7rocprim17ROCPRIM_400000_NS6detail17trampoline_kernelINS0_14default_configENS1_20scan_config_selectorItEEZZNS1_9scan_implILNS1_25lookback_scan_determinismE0ELb1ELb1ES3_N6thrust23THRUST_200600_302600_NS6detail15normal_iteratorINS9_10device_ptrItEEEESE_tNS9_4plusIvEEtEEDaPvRmT3_T4_T5_mT6_P12ihipStream_tbENKUlT_T0_E_clISt17integral_constantIbLb1EEST_IbLb0EEEEDaSP_SQ_EUlSP_E_NS1_11comp_targetILNS1_3genE5ELNS1_11target_archE942ELNS1_3gpuE9ELNS1_3repE0EEENS1_30default_config_static_selectorELNS0_4arch9wavefront6targetE1EEEvT1_: ; @_ZN7rocprim17ROCPRIM_400000_NS6detail17trampoline_kernelINS0_14default_configENS1_20scan_config_selectorItEEZZNS1_9scan_implILNS1_25lookback_scan_determinismE0ELb1ELb1ES3_N6thrust23THRUST_200600_302600_NS6detail15normal_iteratorINS9_10device_ptrItEEEESE_tNS9_4plusIvEEtEEDaPvRmT3_T4_T5_mT6_P12ihipStream_tbENKUlT_T0_E_clISt17integral_constantIbLb1EEST_IbLb0EEEEDaSP_SQ_EUlSP_E_NS1_11comp_targetILNS1_3genE5ELNS1_11target_archE942ELNS1_3gpuE9ELNS1_3repE0EEENS1_30default_config_static_selectorELNS0_4arch9wavefront6targetE1EEEvT1_
; %bb.0:
	.section	.rodata,"a",@progbits
	.p2align	6, 0x0
	.amdhsa_kernel _ZN7rocprim17ROCPRIM_400000_NS6detail17trampoline_kernelINS0_14default_configENS1_20scan_config_selectorItEEZZNS1_9scan_implILNS1_25lookback_scan_determinismE0ELb1ELb1ES3_N6thrust23THRUST_200600_302600_NS6detail15normal_iteratorINS9_10device_ptrItEEEESE_tNS9_4plusIvEEtEEDaPvRmT3_T4_T5_mT6_P12ihipStream_tbENKUlT_T0_E_clISt17integral_constantIbLb1EEST_IbLb0EEEEDaSP_SQ_EUlSP_E_NS1_11comp_targetILNS1_3genE5ELNS1_11target_archE942ELNS1_3gpuE9ELNS1_3repE0EEENS1_30default_config_static_selectorELNS0_4arch9wavefront6targetE1EEEvT1_
		.amdhsa_group_segment_fixed_size 0
		.amdhsa_private_segment_fixed_size 0
		.amdhsa_kernarg_size 96
		.amdhsa_user_sgpr_count 6
		.amdhsa_user_sgpr_private_segment_buffer 1
		.amdhsa_user_sgpr_dispatch_ptr 0
		.amdhsa_user_sgpr_queue_ptr 0
		.amdhsa_user_sgpr_kernarg_segment_ptr 1
		.amdhsa_user_sgpr_dispatch_id 0
		.amdhsa_user_sgpr_flat_scratch_init 0
		.amdhsa_user_sgpr_kernarg_preload_length 0
		.amdhsa_user_sgpr_kernarg_preload_offset 0
		.amdhsa_user_sgpr_private_segment_size 0
		.amdhsa_uses_dynamic_stack 0
		.amdhsa_system_sgpr_private_segment_wavefront_offset 0
		.amdhsa_system_sgpr_workgroup_id_x 1
		.amdhsa_system_sgpr_workgroup_id_y 0
		.amdhsa_system_sgpr_workgroup_id_z 0
		.amdhsa_system_sgpr_workgroup_info 0
		.amdhsa_system_vgpr_workitem_id 0
		.amdhsa_next_free_vgpr 1
		.amdhsa_next_free_sgpr 0
		.amdhsa_accum_offset 4
		.amdhsa_reserve_vcc 0
		.amdhsa_reserve_flat_scratch 0
		.amdhsa_float_round_mode_32 0
		.amdhsa_float_round_mode_16_64 0
		.amdhsa_float_denorm_mode_32 3
		.amdhsa_float_denorm_mode_16_64 3
		.amdhsa_dx10_clamp 1
		.amdhsa_ieee_mode 1
		.amdhsa_fp16_overflow 0
		.amdhsa_tg_split 0
		.amdhsa_exception_fp_ieee_invalid_op 0
		.amdhsa_exception_fp_denorm_src 0
		.amdhsa_exception_fp_ieee_div_zero 0
		.amdhsa_exception_fp_ieee_overflow 0
		.amdhsa_exception_fp_ieee_underflow 0
		.amdhsa_exception_fp_ieee_inexact 0
		.amdhsa_exception_int_div_zero 0
	.end_amdhsa_kernel
	.section	.text._ZN7rocprim17ROCPRIM_400000_NS6detail17trampoline_kernelINS0_14default_configENS1_20scan_config_selectorItEEZZNS1_9scan_implILNS1_25lookback_scan_determinismE0ELb1ELb1ES3_N6thrust23THRUST_200600_302600_NS6detail15normal_iteratorINS9_10device_ptrItEEEESE_tNS9_4plusIvEEtEEDaPvRmT3_T4_T5_mT6_P12ihipStream_tbENKUlT_T0_E_clISt17integral_constantIbLb1EEST_IbLb0EEEEDaSP_SQ_EUlSP_E_NS1_11comp_targetILNS1_3genE5ELNS1_11target_archE942ELNS1_3gpuE9ELNS1_3repE0EEENS1_30default_config_static_selectorELNS0_4arch9wavefront6targetE1EEEvT1_,"axG",@progbits,_ZN7rocprim17ROCPRIM_400000_NS6detail17trampoline_kernelINS0_14default_configENS1_20scan_config_selectorItEEZZNS1_9scan_implILNS1_25lookback_scan_determinismE0ELb1ELb1ES3_N6thrust23THRUST_200600_302600_NS6detail15normal_iteratorINS9_10device_ptrItEEEESE_tNS9_4plusIvEEtEEDaPvRmT3_T4_T5_mT6_P12ihipStream_tbENKUlT_T0_E_clISt17integral_constantIbLb1EEST_IbLb0EEEEDaSP_SQ_EUlSP_E_NS1_11comp_targetILNS1_3genE5ELNS1_11target_archE942ELNS1_3gpuE9ELNS1_3repE0EEENS1_30default_config_static_selectorELNS0_4arch9wavefront6targetE1EEEvT1_,comdat
.Lfunc_end4827:
	.size	_ZN7rocprim17ROCPRIM_400000_NS6detail17trampoline_kernelINS0_14default_configENS1_20scan_config_selectorItEEZZNS1_9scan_implILNS1_25lookback_scan_determinismE0ELb1ELb1ES3_N6thrust23THRUST_200600_302600_NS6detail15normal_iteratorINS9_10device_ptrItEEEESE_tNS9_4plusIvEEtEEDaPvRmT3_T4_T5_mT6_P12ihipStream_tbENKUlT_T0_E_clISt17integral_constantIbLb1EEST_IbLb0EEEEDaSP_SQ_EUlSP_E_NS1_11comp_targetILNS1_3genE5ELNS1_11target_archE942ELNS1_3gpuE9ELNS1_3repE0EEENS1_30default_config_static_selectorELNS0_4arch9wavefront6targetE1EEEvT1_, .Lfunc_end4827-_ZN7rocprim17ROCPRIM_400000_NS6detail17trampoline_kernelINS0_14default_configENS1_20scan_config_selectorItEEZZNS1_9scan_implILNS1_25lookback_scan_determinismE0ELb1ELb1ES3_N6thrust23THRUST_200600_302600_NS6detail15normal_iteratorINS9_10device_ptrItEEEESE_tNS9_4plusIvEEtEEDaPvRmT3_T4_T5_mT6_P12ihipStream_tbENKUlT_T0_E_clISt17integral_constantIbLb1EEST_IbLb0EEEEDaSP_SQ_EUlSP_E_NS1_11comp_targetILNS1_3genE5ELNS1_11target_archE942ELNS1_3gpuE9ELNS1_3repE0EEENS1_30default_config_static_selectorELNS0_4arch9wavefront6targetE1EEEvT1_
                                        ; -- End function
	.section	.AMDGPU.csdata,"",@progbits
; Kernel info:
; codeLenInByte = 0
; NumSgprs: 4
; NumVgprs: 0
; NumAgprs: 0
; TotalNumVgprs: 0
; ScratchSize: 0
; MemoryBound: 0
; FloatMode: 240
; IeeeMode: 1
; LDSByteSize: 0 bytes/workgroup (compile time only)
; SGPRBlocks: 0
; VGPRBlocks: 0
; NumSGPRsForWavesPerEU: 4
; NumVGPRsForWavesPerEU: 1
; AccumOffset: 4
; Occupancy: 8
; WaveLimiterHint : 0
; COMPUTE_PGM_RSRC2:SCRATCH_EN: 0
; COMPUTE_PGM_RSRC2:USER_SGPR: 6
; COMPUTE_PGM_RSRC2:TRAP_HANDLER: 0
; COMPUTE_PGM_RSRC2:TGID_X_EN: 1
; COMPUTE_PGM_RSRC2:TGID_Y_EN: 0
; COMPUTE_PGM_RSRC2:TGID_Z_EN: 0
; COMPUTE_PGM_RSRC2:TIDIG_COMP_CNT: 0
; COMPUTE_PGM_RSRC3_GFX90A:ACCUM_OFFSET: 0
; COMPUTE_PGM_RSRC3_GFX90A:TG_SPLIT: 0
	.section	.text._ZN7rocprim17ROCPRIM_400000_NS6detail17trampoline_kernelINS0_14default_configENS1_20scan_config_selectorItEEZZNS1_9scan_implILNS1_25lookback_scan_determinismE0ELb1ELb1ES3_N6thrust23THRUST_200600_302600_NS6detail15normal_iteratorINS9_10device_ptrItEEEESE_tNS9_4plusIvEEtEEDaPvRmT3_T4_T5_mT6_P12ihipStream_tbENKUlT_T0_E_clISt17integral_constantIbLb1EEST_IbLb0EEEEDaSP_SQ_EUlSP_E_NS1_11comp_targetILNS1_3genE4ELNS1_11target_archE910ELNS1_3gpuE8ELNS1_3repE0EEENS1_30default_config_static_selectorELNS0_4arch9wavefront6targetE1EEEvT1_,"axG",@progbits,_ZN7rocprim17ROCPRIM_400000_NS6detail17trampoline_kernelINS0_14default_configENS1_20scan_config_selectorItEEZZNS1_9scan_implILNS1_25lookback_scan_determinismE0ELb1ELb1ES3_N6thrust23THRUST_200600_302600_NS6detail15normal_iteratorINS9_10device_ptrItEEEESE_tNS9_4plusIvEEtEEDaPvRmT3_T4_T5_mT6_P12ihipStream_tbENKUlT_T0_E_clISt17integral_constantIbLb1EEST_IbLb0EEEEDaSP_SQ_EUlSP_E_NS1_11comp_targetILNS1_3genE4ELNS1_11target_archE910ELNS1_3gpuE8ELNS1_3repE0EEENS1_30default_config_static_selectorELNS0_4arch9wavefront6targetE1EEEvT1_,comdat
	.protected	_ZN7rocprim17ROCPRIM_400000_NS6detail17trampoline_kernelINS0_14default_configENS1_20scan_config_selectorItEEZZNS1_9scan_implILNS1_25lookback_scan_determinismE0ELb1ELb1ES3_N6thrust23THRUST_200600_302600_NS6detail15normal_iteratorINS9_10device_ptrItEEEESE_tNS9_4plusIvEEtEEDaPvRmT3_T4_T5_mT6_P12ihipStream_tbENKUlT_T0_E_clISt17integral_constantIbLb1EEST_IbLb0EEEEDaSP_SQ_EUlSP_E_NS1_11comp_targetILNS1_3genE4ELNS1_11target_archE910ELNS1_3gpuE8ELNS1_3repE0EEENS1_30default_config_static_selectorELNS0_4arch9wavefront6targetE1EEEvT1_ ; -- Begin function _ZN7rocprim17ROCPRIM_400000_NS6detail17trampoline_kernelINS0_14default_configENS1_20scan_config_selectorItEEZZNS1_9scan_implILNS1_25lookback_scan_determinismE0ELb1ELb1ES3_N6thrust23THRUST_200600_302600_NS6detail15normal_iteratorINS9_10device_ptrItEEEESE_tNS9_4plusIvEEtEEDaPvRmT3_T4_T5_mT6_P12ihipStream_tbENKUlT_T0_E_clISt17integral_constantIbLb1EEST_IbLb0EEEEDaSP_SQ_EUlSP_E_NS1_11comp_targetILNS1_3genE4ELNS1_11target_archE910ELNS1_3gpuE8ELNS1_3repE0EEENS1_30default_config_static_selectorELNS0_4arch9wavefront6targetE1EEEvT1_
	.globl	_ZN7rocprim17ROCPRIM_400000_NS6detail17trampoline_kernelINS0_14default_configENS1_20scan_config_selectorItEEZZNS1_9scan_implILNS1_25lookback_scan_determinismE0ELb1ELb1ES3_N6thrust23THRUST_200600_302600_NS6detail15normal_iteratorINS9_10device_ptrItEEEESE_tNS9_4plusIvEEtEEDaPvRmT3_T4_T5_mT6_P12ihipStream_tbENKUlT_T0_E_clISt17integral_constantIbLb1EEST_IbLb0EEEEDaSP_SQ_EUlSP_E_NS1_11comp_targetILNS1_3genE4ELNS1_11target_archE910ELNS1_3gpuE8ELNS1_3repE0EEENS1_30default_config_static_selectorELNS0_4arch9wavefront6targetE1EEEvT1_
	.p2align	8
	.type	_ZN7rocprim17ROCPRIM_400000_NS6detail17trampoline_kernelINS0_14default_configENS1_20scan_config_selectorItEEZZNS1_9scan_implILNS1_25lookback_scan_determinismE0ELb1ELb1ES3_N6thrust23THRUST_200600_302600_NS6detail15normal_iteratorINS9_10device_ptrItEEEESE_tNS9_4plusIvEEtEEDaPvRmT3_T4_T5_mT6_P12ihipStream_tbENKUlT_T0_E_clISt17integral_constantIbLb1EEST_IbLb0EEEEDaSP_SQ_EUlSP_E_NS1_11comp_targetILNS1_3genE4ELNS1_11target_archE910ELNS1_3gpuE8ELNS1_3repE0EEENS1_30default_config_static_selectorELNS0_4arch9wavefront6targetE1EEEvT1_,@function
_ZN7rocprim17ROCPRIM_400000_NS6detail17trampoline_kernelINS0_14default_configENS1_20scan_config_selectorItEEZZNS1_9scan_implILNS1_25lookback_scan_determinismE0ELb1ELb1ES3_N6thrust23THRUST_200600_302600_NS6detail15normal_iteratorINS9_10device_ptrItEEEESE_tNS9_4plusIvEEtEEDaPvRmT3_T4_T5_mT6_P12ihipStream_tbENKUlT_T0_E_clISt17integral_constantIbLb1EEST_IbLb0EEEEDaSP_SQ_EUlSP_E_NS1_11comp_targetILNS1_3genE4ELNS1_11target_archE910ELNS1_3gpuE8ELNS1_3repE0EEENS1_30default_config_static_selectorELNS0_4arch9wavefront6targetE1EEEvT1_: ; @_ZN7rocprim17ROCPRIM_400000_NS6detail17trampoline_kernelINS0_14default_configENS1_20scan_config_selectorItEEZZNS1_9scan_implILNS1_25lookback_scan_determinismE0ELb1ELb1ES3_N6thrust23THRUST_200600_302600_NS6detail15normal_iteratorINS9_10device_ptrItEEEESE_tNS9_4plusIvEEtEEDaPvRmT3_T4_T5_mT6_P12ihipStream_tbENKUlT_T0_E_clISt17integral_constantIbLb1EEST_IbLb0EEEEDaSP_SQ_EUlSP_E_NS1_11comp_targetILNS1_3genE4ELNS1_11target_archE910ELNS1_3gpuE8ELNS1_3repE0EEENS1_30default_config_static_selectorELNS0_4arch9wavefront6targetE1EEEvT1_
; %bb.0:
	s_load_dwordx8 s[12:19], s[4:5], 0x0
	s_load_dword s1, s[4:5], 0x30
	s_mul_i32 s0, s6, 0x600
	v_lshlrev_b32_e32 v20, 1, v0
	s_waitcnt lgkmcnt(0)
	s_lshl_b64 s[22:23], s[14:15], 1
	s_add_u32 s27, s12, s22
	s_addc_u32 s28, s13, s23
	s_add_i32 s2, s1, -1
	s_mul_i32 s3, s2, 0x600
	s_sub_u32 s7, s18, s3
	s_subb_u32 s26, s19, 0
	s_mov_b32 s1, 0
	s_cmp_lg_u32 s6, s2
	s_cselect_b64 s[18:19], -1, 0
	s_lshl_b64 s[20:21], s[0:1], 1
	s_add_u32 s2, s27, s20
	s_addc_u32 s3, s28, s21
	s_mov_b64 s[0:1], -1
	s_and_b64 vcc, exec, s[18:19]
	s_cbranch_vccz .LBB4828_2
; %bb.1:
	v_mov_b32_e32 v1, s3
	v_add_co_u32_e32 v2, vcc, s2, v20
	v_addc_co_u32_e32 v3, vcc, 0, v1, vcc
	flat_load_ushort v1, v[2:3]
	flat_load_ushort v4, v[2:3] offset:128
	flat_load_ushort v5, v[2:3] offset:256
	;; [unrolled: 1-line block ×23, first 2 shown]
	s_mov_b64 s[0:1], 0
	s_waitcnt vmcnt(0) lgkmcnt(0)
	ds_write_b16 v20, v1
	ds_write_b16 v20, v4 offset:128
	ds_write_b16 v20, v5 offset:256
	;; [unrolled: 1-line block ×23, first 2 shown]
	s_waitcnt lgkmcnt(0)
	; wave barrier
.LBB4828_2:
	s_load_dwordx2 s[24:25], s[4:5], 0x28
	s_andn2_b64 vcc, exec, s[0:1]
	v_cmp_gt_u32_e64 s[0:1], s7, v0
	s_cbranch_vccnz .LBB4828_52
; %bb.3:
	v_pk_mov_b32 v[2:3], s[2:3], s[2:3] op_sel:[0,1]
	flat_load_ushort v1, v[2:3]
	s_waitcnt vmcnt(0) lgkmcnt(0)
	v_mov_b32_e32 v2, v1
	s_and_saveexec_b64 s[8:9], s[0:1]
	s_cbranch_execz .LBB4828_5
; %bb.4:
	v_mov_b32_e32 v3, s3
	v_add_co_u32_e32 v2, vcc, s2, v20
	v_addc_co_u32_e32 v3, vcc, 0, v3, vcc
	flat_load_ushort v2, v[2:3]
.LBB4828_5:
	s_or_b64 exec, exec, s[8:9]
	v_or_b32_e32 v3, 64, v0
	v_cmp_gt_u32_e32 vcc, s7, v3
	v_mov_b32_e32 v3, v1
	s_and_saveexec_b64 s[0:1], vcc
	s_cbranch_execz .LBB4828_7
; %bb.6:
	v_mov_b32_e32 v3, s3
	v_add_co_u32_e32 v4, vcc, s2, v20
	v_addc_co_u32_e32 v5, vcc, 0, v3, vcc
	flat_load_ushort v3, v[4:5] offset:128
.LBB4828_7:
	s_or_b64 exec, exec, s[0:1]
	v_or_b32_e32 v4, 0x80, v0
	v_cmp_gt_u32_e32 vcc, s7, v4
	v_mov_b32_e32 v4, v1
	s_and_saveexec_b64 s[0:1], vcc
	s_cbranch_execz .LBB4828_9
; %bb.8:
	v_mov_b32_e32 v5, s3
	v_add_co_u32_e32 v4, vcc, s2, v20
	v_addc_co_u32_e32 v5, vcc, 0, v5, vcc
	flat_load_ushort v4, v[4:5] offset:256
.LBB4828_9:
	s_or_b64 exec, exec, s[0:1]
	v_or_b32_e32 v5, 0xc0, v0
	v_cmp_gt_u32_e32 vcc, s7, v5
	v_mov_b32_e32 v5, v1
	s_and_saveexec_b64 s[0:1], vcc
	s_cbranch_execz .LBB4828_11
; %bb.10:
	v_mov_b32_e32 v5, s3
	v_add_co_u32_e32 v6, vcc, s2, v20
	v_addc_co_u32_e32 v7, vcc, 0, v5, vcc
	flat_load_ushort v5, v[6:7] offset:384
.LBB4828_11:
	s_or_b64 exec, exec, s[0:1]
	v_or_b32_e32 v6, 0x100, v0
	v_cmp_gt_u32_e32 vcc, s7, v6
	v_mov_b32_e32 v6, v1
	s_and_saveexec_b64 s[0:1], vcc
	s_cbranch_execz .LBB4828_13
; %bb.12:
	v_mov_b32_e32 v7, s3
	v_add_co_u32_e32 v6, vcc, s2, v20
	v_addc_co_u32_e32 v7, vcc, 0, v7, vcc
	flat_load_ushort v6, v[6:7] offset:512
.LBB4828_13:
	s_or_b64 exec, exec, s[0:1]
	v_or_b32_e32 v7, 0x140, v0
	v_cmp_gt_u32_e32 vcc, s7, v7
	v_mov_b32_e32 v7, v1
	s_and_saveexec_b64 s[0:1], vcc
	s_cbranch_execz .LBB4828_15
; %bb.14:
	v_mov_b32_e32 v7, s3
	v_add_co_u32_e32 v8, vcc, s2, v20
	v_addc_co_u32_e32 v9, vcc, 0, v7, vcc
	flat_load_ushort v7, v[8:9] offset:640
.LBB4828_15:
	s_or_b64 exec, exec, s[0:1]
	v_or_b32_e32 v8, 0x180, v0
	v_cmp_gt_u32_e32 vcc, s7, v8
	v_mov_b32_e32 v8, v1
	s_and_saveexec_b64 s[0:1], vcc
	s_cbranch_execz .LBB4828_17
; %bb.16:
	v_mov_b32_e32 v9, s3
	v_add_co_u32_e32 v8, vcc, s2, v20
	v_addc_co_u32_e32 v9, vcc, 0, v9, vcc
	flat_load_ushort v8, v[8:9] offset:768
.LBB4828_17:
	s_or_b64 exec, exec, s[0:1]
	v_or_b32_e32 v9, 0x1c0, v0
	v_cmp_gt_u32_e32 vcc, s7, v9
	v_mov_b32_e32 v9, v1
	s_and_saveexec_b64 s[0:1], vcc
	s_cbranch_execz .LBB4828_19
; %bb.18:
	v_mov_b32_e32 v9, s3
	v_add_co_u32_e32 v10, vcc, s2, v20
	v_addc_co_u32_e32 v11, vcc, 0, v9, vcc
	flat_load_ushort v9, v[10:11] offset:896
.LBB4828_19:
	s_or_b64 exec, exec, s[0:1]
	v_or_b32_e32 v10, 0x200, v0
	v_cmp_gt_u32_e32 vcc, s7, v10
	v_mov_b32_e32 v10, v1
	s_and_saveexec_b64 s[0:1], vcc
	s_cbranch_execz .LBB4828_21
; %bb.20:
	v_mov_b32_e32 v11, s3
	v_add_co_u32_e32 v10, vcc, s2, v20
	v_addc_co_u32_e32 v11, vcc, 0, v11, vcc
	flat_load_ushort v10, v[10:11] offset:1024
.LBB4828_21:
	s_or_b64 exec, exec, s[0:1]
	v_or_b32_e32 v11, 0x240, v0
	v_cmp_gt_u32_e32 vcc, s7, v11
	v_mov_b32_e32 v11, v1
	s_and_saveexec_b64 s[0:1], vcc
	s_cbranch_execz .LBB4828_23
; %bb.22:
	v_mov_b32_e32 v11, s3
	v_add_co_u32_e32 v12, vcc, s2, v20
	v_addc_co_u32_e32 v13, vcc, 0, v11, vcc
	flat_load_ushort v11, v[12:13] offset:1152
.LBB4828_23:
	s_or_b64 exec, exec, s[0:1]
	v_or_b32_e32 v12, 0x280, v0
	v_cmp_gt_u32_e32 vcc, s7, v12
	v_mov_b32_e32 v12, v1
	s_and_saveexec_b64 s[0:1], vcc
	s_cbranch_execz .LBB4828_25
; %bb.24:
	v_mov_b32_e32 v13, s3
	v_add_co_u32_e32 v12, vcc, s2, v20
	v_addc_co_u32_e32 v13, vcc, 0, v13, vcc
	flat_load_ushort v12, v[12:13] offset:1280
.LBB4828_25:
	s_or_b64 exec, exec, s[0:1]
	v_or_b32_e32 v13, 0x2c0, v0
	v_cmp_gt_u32_e32 vcc, s7, v13
	v_mov_b32_e32 v13, v1
	s_and_saveexec_b64 s[0:1], vcc
	s_cbranch_execz .LBB4828_27
; %bb.26:
	v_mov_b32_e32 v13, s3
	v_add_co_u32_e32 v14, vcc, s2, v20
	v_addc_co_u32_e32 v15, vcc, 0, v13, vcc
	flat_load_ushort v13, v[14:15] offset:1408
.LBB4828_27:
	s_or_b64 exec, exec, s[0:1]
	v_or_b32_e32 v14, 0x300, v0
	v_cmp_gt_u32_e32 vcc, s7, v14
	v_mov_b32_e32 v14, v1
	s_and_saveexec_b64 s[0:1], vcc
	s_cbranch_execz .LBB4828_29
; %bb.28:
	v_mov_b32_e32 v15, s3
	v_add_co_u32_e32 v14, vcc, s2, v20
	v_addc_co_u32_e32 v15, vcc, 0, v15, vcc
	flat_load_ushort v14, v[14:15] offset:1536
.LBB4828_29:
	s_or_b64 exec, exec, s[0:1]
	v_or_b32_e32 v15, 0x340, v0
	v_cmp_gt_u32_e32 vcc, s7, v15
	v_mov_b32_e32 v15, v1
	s_and_saveexec_b64 s[0:1], vcc
	s_cbranch_execz .LBB4828_31
; %bb.30:
	v_mov_b32_e32 v15, s3
	v_add_co_u32_e32 v16, vcc, s2, v20
	v_addc_co_u32_e32 v17, vcc, 0, v15, vcc
	flat_load_ushort v15, v[16:17] offset:1664
.LBB4828_31:
	s_or_b64 exec, exec, s[0:1]
	v_or_b32_e32 v16, 0x380, v0
	v_cmp_gt_u32_e32 vcc, s7, v16
	v_mov_b32_e32 v16, v1
	s_and_saveexec_b64 s[0:1], vcc
	s_cbranch_execz .LBB4828_33
; %bb.32:
	v_mov_b32_e32 v17, s3
	v_add_co_u32_e32 v16, vcc, s2, v20
	v_addc_co_u32_e32 v17, vcc, 0, v17, vcc
	flat_load_ushort v16, v[16:17] offset:1792
.LBB4828_33:
	s_or_b64 exec, exec, s[0:1]
	v_or_b32_e32 v17, 0x3c0, v0
	v_cmp_gt_u32_e32 vcc, s7, v17
	v_mov_b32_e32 v17, v1
	s_and_saveexec_b64 s[0:1], vcc
	s_cbranch_execz .LBB4828_35
; %bb.34:
	v_mov_b32_e32 v17, s3
	v_add_co_u32_e32 v18, vcc, s2, v20
	v_addc_co_u32_e32 v19, vcc, 0, v17, vcc
	flat_load_ushort v17, v[18:19] offset:1920
.LBB4828_35:
	s_or_b64 exec, exec, s[0:1]
	v_or_b32_e32 v18, 0x400, v0
	v_cmp_gt_u32_e32 vcc, s7, v18
	v_mov_b32_e32 v18, v1
	s_and_saveexec_b64 s[0:1], vcc
	s_cbranch_execz .LBB4828_37
; %bb.36:
	v_mov_b32_e32 v19, s3
	v_add_co_u32_e32 v18, vcc, s2, v20
	v_addc_co_u32_e32 v19, vcc, 0, v19, vcc
	flat_load_ushort v18, v[18:19] offset:2048
.LBB4828_37:
	s_or_b64 exec, exec, s[0:1]
	v_or_b32_e32 v19, 0x440, v0
	v_cmp_gt_u32_e32 vcc, s7, v19
	v_mov_b32_e32 v19, v1
	s_and_saveexec_b64 s[0:1], vcc
	s_cbranch_execz .LBB4828_39
; %bb.38:
	v_mov_b32_e32 v19, s3
	v_add_co_u32_e32 v22, vcc, s2, v20
	v_addc_co_u32_e32 v23, vcc, 0, v19, vcc
	flat_load_ushort v19, v[22:23] offset:2176
.LBB4828_39:
	s_or_b64 exec, exec, s[0:1]
	v_or_b32_e32 v21, 0x480, v0
	v_cmp_gt_u32_e32 vcc, s7, v21
	v_mov_b32_e32 v21, v1
	s_and_saveexec_b64 s[0:1], vcc
	s_cbranch_execz .LBB4828_41
; %bb.40:
	v_mov_b32_e32 v21, s3
	v_add_co_u32_e32 v22, vcc, s2, v20
	v_addc_co_u32_e32 v23, vcc, 0, v21, vcc
	flat_load_ushort v21, v[22:23] offset:2304
.LBB4828_41:
	s_or_b64 exec, exec, s[0:1]
	v_or_b32_e32 v22, 0x4c0, v0
	v_cmp_gt_u32_e32 vcc, s7, v22
	v_mov_b32_e32 v22, v1
	s_and_saveexec_b64 s[0:1], vcc
	s_cbranch_execz .LBB4828_43
; %bb.42:
	v_mov_b32_e32 v23, s3
	v_add_co_u32_e32 v22, vcc, s2, v20
	v_addc_co_u32_e32 v23, vcc, 0, v23, vcc
	flat_load_ushort v22, v[22:23] offset:2432
.LBB4828_43:
	s_or_b64 exec, exec, s[0:1]
	v_or_b32_e32 v23, 0x500, v0
	v_cmp_gt_u32_e32 vcc, s7, v23
	v_mov_b32_e32 v23, v1
	s_and_saveexec_b64 s[0:1], vcc
	s_cbranch_execz .LBB4828_45
; %bb.44:
	v_mov_b32_e32 v23, s3
	v_add_co_u32_e32 v24, vcc, s2, v20
	v_addc_co_u32_e32 v25, vcc, 0, v23, vcc
	flat_load_ushort v23, v[24:25] offset:2560
.LBB4828_45:
	s_or_b64 exec, exec, s[0:1]
	v_or_b32_e32 v24, 0x540, v0
	v_cmp_gt_u32_e32 vcc, s7, v24
	v_mov_b32_e32 v24, v1
	s_and_saveexec_b64 s[0:1], vcc
	s_cbranch_execz .LBB4828_47
; %bb.46:
	v_mov_b32_e32 v25, s3
	v_add_co_u32_e32 v24, vcc, s2, v20
	v_addc_co_u32_e32 v25, vcc, 0, v25, vcc
	flat_load_ushort v24, v[24:25] offset:2688
.LBB4828_47:
	s_or_b64 exec, exec, s[0:1]
	v_or_b32_e32 v25, 0x580, v0
	v_cmp_gt_u32_e32 vcc, s7, v25
	v_mov_b32_e32 v25, v1
	s_and_saveexec_b64 s[0:1], vcc
	s_cbranch_execz .LBB4828_49
; %bb.48:
	v_mov_b32_e32 v25, s3
	v_add_co_u32_e32 v26, vcc, s2, v20
	v_addc_co_u32_e32 v27, vcc, 0, v25, vcc
	flat_load_ushort v25, v[26:27] offset:2816
.LBB4828_49:
	s_or_b64 exec, exec, s[0:1]
	v_or_b32_e32 v26, 0x5c0, v0
	v_cmp_gt_u32_e32 vcc, s7, v26
	s_and_saveexec_b64 s[0:1], vcc
	s_cbranch_execz .LBB4828_51
; %bb.50:
	v_mov_b32_e32 v1, s3
	v_add_co_u32_e32 v26, vcc, s2, v20
	v_addc_co_u32_e32 v27, vcc, 0, v1, vcc
	flat_load_ushort v1, v[26:27] offset:2944
.LBB4828_51:
	s_or_b64 exec, exec, s[0:1]
	s_waitcnt vmcnt(0) lgkmcnt(0)
	ds_write_b16 v20, v2
	ds_write_b16 v20, v3 offset:128
	ds_write_b16 v20, v4 offset:256
	;; [unrolled: 1-line block ×23, first 2 shown]
	s_waitcnt lgkmcnt(0)
	; wave barrier
.LBB4828_52:
	v_mul_u32_u24_e32 v21, 24, v0
	v_lshlrev_b32_e32 v1, 1, v21
	s_waitcnt lgkmcnt(0)
	ds_read_b128 v[10:13], v1
	ds_read_b128 v[6:9], v1 offset:16
	ds_read_b128 v[2:5], v1 offset:32
	s_cmp_lg_u32 s6, 0
	v_mbcnt_lo_u32_b32 v22, -1, 0
	s_waitcnt lgkmcnt(2)
	v_add_u16_sdwa v14, v10, v10 dst_sel:DWORD dst_unused:UNUSED_PAD src0_sel:WORD_1 src1_sel:DWORD
	v_add_u16_e32 v23, v14, v11
	v_cmp_eq_u32_e32 vcc, 63, v0
	s_waitcnt lgkmcnt(0)
	; wave barrier
	s_waitcnt lgkmcnt(0)
	s_cbranch_scc0 .LBB4828_79
; %bb.53:
	v_add_u16_sdwa v14, v23, v11 dst_sel:DWORD dst_unused:UNUSED_PAD src0_sel:DWORD src1_sel:WORD_1
	v_add_u16_e32 v14, v14, v12
	v_add_u16_sdwa v14, v14, v12 dst_sel:DWORD dst_unused:UNUSED_PAD src0_sel:DWORD src1_sel:WORD_1
	v_add_u16_e32 v14, v14, v13
	;; [unrolled: 2-line block ×10, first 2 shown]
	v_mbcnt_hi_u32_b32 v15, -1, v22
	v_add_u16_sdwa v14, v14, v5 dst_sel:DWORD dst_unused:UNUSED_PAD src0_sel:DWORD src1_sel:WORD_1
	v_and_b32_e32 v16, 15, v15
	v_cmp_ne_u32_e64 s[0:1], 0, v16
	v_mov_b32_dpp v17, v14 row_shr:1 row_mask:0xf bank_mask:0xf
	v_cndmask_b32_e64 v17, 0, v17, s[0:1]
	v_add_u16_e32 v14, v17, v14
	v_cmp_lt_u32_e64 s[0:1], 1, v16
	s_nop 0
	v_mov_b32_dpp v17, v14 row_shr:2 row_mask:0xf bank_mask:0xf
	v_cndmask_b32_e64 v17, 0, v17, s[0:1]
	v_add_u16_e32 v14, v14, v17
	v_cmp_lt_u32_e64 s[0:1], 3, v16
	s_nop 0
	;; [unrolled: 5-line block ×3, first 2 shown]
	v_mov_b32_dpp v17, v14 row_shr:8 row_mask:0xf bank_mask:0xf
	v_cndmask_b32_e64 v16, 0, v17, s[0:1]
	v_add_u16_e32 v14, v14, v16
	v_and_b32_e32 v17, 16, v15
	v_cmp_ne_u32_e64 s[0:1], 0, v17
	v_mov_b32_dpp v16, v14 row_bcast:15 row_mask:0xf bank_mask:0xf
	v_cndmask_b32_e64 v16, 0, v16, s[0:1]
	v_add_u16_e32 v14, v14, v16
	v_cmp_lt_u32_e64 s[0:1], 31, v15
	s_nop 0
	v_mov_b32_dpp v16, v14 row_bcast:31 row_mask:0xf bank_mask:0xf
	v_cndmask_b32_e64 v16, 0, v16, s[0:1]
	v_add_u16_e32 v14, v14, v16
	s_and_saveexec_b64 s[0:1], vcc
	s_cbranch_execz .LBB4828_55
; %bb.54:
	v_mov_b32_e32 v16, 0
	ds_write_b16 v16, v14
.LBB4828_55:
	s_or_b64 exec, exec, s[0:1]
	v_add_u32_e32 v16, -1, v15
	v_and_b32_e32 v17, 64, v15
	v_cmp_lt_i32_e32 vcc, v16, v17
	v_cndmask_b32_e32 v16, v16, v15, vcc
	v_lshlrev_b32_e32 v16, 2, v16
	ds_bpermute_b32 v24, v16, v14
	v_cmp_gt_u32_e32 vcc, 64, v0
	s_waitcnt lgkmcnt(0)
	; wave barrier
	s_waitcnt lgkmcnt(0)
	s_and_saveexec_b64 s[10:11], vcc
	s_cbranch_execz .LBB4828_78
; %bb.56:
	v_mov_b32_e32 v19, 0
	ds_read_u16 v25, v19
	s_mov_b32 s9, 0
	v_cmp_eq_u32_e64 s[0:1], 0, v15
	s_and_saveexec_b64 s[2:3], s[0:1]
	s_cbranch_execz .LBB4828_58
; %bb.57:
	s_add_i32 s8, s6, 64
	s_lshl_b64 s[8:9], s[8:9], 2
	s_add_u32 s8, s24, s8
	s_waitcnt lgkmcnt(0)
	v_or_b32_e32 v14, 0x10000, v25
	s_addc_u32 s9, s25, s9
	global_store_dword v19, v14, s[8:9]
.LBB4828_58:
	s_or_b64 exec, exec, s[2:3]
	v_xad_u32 v14, v15, -1, s6
	v_add_u32_e32 v18, 64, v14
	v_lshlrev_b64 v[16:17], 2, v[18:19]
	v_mov_b32_e32 v18, s25
	v_add_co_u32_e32 v16, vcc, s24, v16
	v_addc_co_u32_e32 v17, vcc, v18, v17, vcc
	global_load_dword v18, v[16:17], off glc
	s_waitcnt vmcnt(0)
	v_lshrrev_b32_e32 v29, 16, v18
	v_cmp_eq_u16_sdwa s[8:9], v29, v19 src0_sel:BYTE_0 src1_sel:DWORD
	s_and_saveexec_b64 s[2:3], s[8:9]
	s_cbranch_execz .LBB4828_64
; %bb.59:
	s_mov_b32 s12, 1
	s_mov_b64 s[8:9], 0
	v_mov_b32_e32 v19, 0
.LBB4828_60:                            ; =>This Loop Header: Depth=1
                                        ;     Child Loop BB4828_61 Depth 2
	s_max_u32 s13, s12, 1
.LBB4828_61:                            ;   Parent Loop BB4828_60 Depth=1
                                        ; =>  This Inner Loop Header: Depth=2
	s_add_i32 s13, s13, -1
	s_cmp_eq_u32 s13, 0
	s_sleep 1
	s_cbranch_scc0 .LBB4828_61
; %bb.62:                               ;   in Loop: Header=BB4828_60 Depth=1
	global_load_dword v18, v[16:17], off glc
	s_cmp_lt_u32 s12, 32
	s_cselect_b64 s[14:15], -1, 0
	s_cmp_lg_u64 s[14:15], 0
	s_addc_u32 s12, s12, 0
	s_waitcnt vmcnt(0)
	v_lshrrev_b32_e32 v29, 16, v18
	v_cmp_ne_u16_sdwa s[14:15], v29, v19 src0_sel:BYTE_0 src1_sel:DWORD
	s_or_b64 s[8:9], s[14:15], s[8:9]
	s_andn2_b64 exec, exec, s[8:9]
	s_cbranch_execnz .LBB4828_60
; %bb.63:
	s_or_b64 exec, exec, s[8:9]
.LBB4828_64:
	s_or_b64 exec, exec, s[2:3]
	v_and_b32_e32 v27, 63, v15
	v_cmp_ne_u32_e32 vcc, 63, v27
	v_mov_b32_e32 v26, 2
	v_addc_co_u32_e32 v28, vcc, 0, v15, vcc
	v_cmp_eq_u16_sdwa s[2:3], v29, v26 src0_sel:BYTE_0 src1_sel:DWORD
	v_lshlrev_b64 v[16:17], v15, -1
	v_and_b32_e32 v31, 0xffff, v18
	v_lshlrev_b32_e32 v28, 2, v28
	v_and_b32_e32 v19, s3, v17
	ds_bpermute_b32 v32, v28, v31
	v_or_b32_e32 v19, 0x80000000, v19
	v_and_b32_e32 v30, s2, v16
	v_ffbl_b32_e32 v19, v19
	v_add_u32_e32 v19, 32, v19
	v_ffbl_b32_e32 v30, v30
	v_cmp_gt_u32_e64 s[2:3], 62, v27
	v_min_u32_e32 v19, v30, v19
	v_cndmask_b32_e64 v30, 0, 1, s[2:3]
	s_waitcnt lgkmcnt(0)
	v_add_u16_e32 v32, v32, v18
	v_cmp_lt_u32_e32 vcc, v27, v19
	v_lshlrev_b32_e32 v30, 1, v30
	v_cndmask_b32_e32 v33, v31, v32, vcc
	v_add_lshl_u32 v30, v30, v15, 2
	ds_bpermute_b32 v34, v30, v33
	v_cmp_gt_u32_e64 s[8:9], 60, v27
	v_cndmask_b32_e32 v35, v18, v32, vcc
	v_add_u32_e32 v31, 2, v27
	v_cndmask_b32_e64 v32, 0, 1, s[8:9]
	s_waitcnt lgkmcnt(0)
	v_add_u16_e32 v34, v35, v34
	v_cmp_gt_u32_e64 s[2:3], v31, v19
	v_lshlrev_b32_e32 v32, 2, v32
	v_cndmask_b32_e64 v36, v34, v33, s[2:3]
	v_add_lshl_u32 v32, v32, v15, 2
	ds_bpermute_b32 v37, v32, v36
	v_cmp_gt_u32_e64 s[8:9], 56, v27
	v_cndmask_b32_e64 v35, v34, v35, s[2:3]
	v_add_u32_e32 v33, 4, v27
	v_cndmask_b32_e64 v34, 0, 1, s[8:9]
	s_waitcnt lgkmcnt(0)
	v_add_u16_e32 v37, v35, v37
	v_cmp_gt_u32_e64 s[2:3], v33, v19
	v_lshlrev_b32_e32 v34, 3, v34
	v_cndmask_b32_e64 v36, v37, v36, s[2:3]
	v_add_lshl_u32 v34, v34, v15, 2
	ds_bpermute_b32 v38, v34, v36
	v_cndmask_b32_e64 v37, v37, v35, s[2:3]
	v_add_u32_e32 v35, 8, v27
	v_cmp_gt_u32_e64 s[2:3], v35, v19
	v_cmp_gt_u32_e64 s[8:9], 48, v27
	s_waitcnt lgkmcnt(0)
	v_add_u16_e32 v38, v37, v38
	v_cndmask_b32_e64 v39, v38, v36, s[2:3]
	v_cndmask_b32_e64 v36, 0, 1, s[8:9]
	v_lshlrev_b32_e32 v36, 4, v36
	v_add_lshl_u32 v36, v36, v15, 2
	ds_bpermute_b32 v40, v36, v39
	v_cndmask_b32_e64 v38, v38, v37, s[2:3]
	v_add_u32_e32 v37, 16, v27
	v_cmp_gt_u32_e64 s[2:3], v37, v19
	v_cmp_gt_u32_e64 s[8:9], 32, v27
	s_waitcnt lgkmcnt(0)
	v_add_u16_e32 v41, v38, v40
	v_cndmask_b32_e64 v40, v41, v39, s[2:3]
	v_cndmask_b32_e64 v39, 0, 1, s[8:9]
	v_lshlrev_b32_e32 v39, 5, v39
	v_add_lshl_u32 v39, v39, v15, 2
	ds_bpermute_b32 v15, v39, v40
	v_add_u32_e32 v40, 32, v27
	v_cndmask_b32_e64 v38, v41, v38, s[2:3]
	v_cmp_le_u32_e64 s[2:3], v40, v19
	s_waitcnt lgkmcnt(0)
	v_cndmask_b32_e64 v15, 0, v15, s[2:3]
	v_add_u16_e32 v15, v38, v15
	v_cndmask_b32_e32 v18, v18, v15, vcc
	v_mov_b32_e32 v15, 0
	s_branch .LBB4828_66
.LBB4828_65:                            ;   in Loop: Header=BB4828_66 Depth=1
	s_or_b64 exec, exec, s[2:3]
	v_cmp_eq_u16_sdwa s[2:3], v29, v26 src0_sel:BYTE_0 src1_sel:DWORD
	v_and_b32_e32 v42, 0xffff, v41
	v_and_b32_e32 v18, s3, v17
	ds_bpermute_b32 v43, v28, v42
	v_or_b32_e32 v18, 0x80000000, v18
	v_and_b32_e32 v19, s2, v16
	v_ffbl_b32_e32 v18, v18
	v_add_u32_e32 v18, 32, v18
	v_ffbl_b32_e32 v19, v19
	v_min_u32_e32 v18, v19, v18
	s_waitcnt lgkmcnt(0)
	v_add_u16_e32 v19, v43, v41
	v_cmp_lt_u32_e32 vcc, v27, v18
	v_cndmask_b32_e32 v42, v42, v19, vcc
	ds_bpermute_b32 v43, v30, v42
	v_cndmask_b32_e32 v19, v41, v19, vcc
	v_cmp_gt_u32_e64 s[2:3], v31, v18
	v_subrev_u32_e32 v14, 64, v14
	s_waitcnt lgkmcnt(0)
	v_add_u16_e32 v43, v19, v43
	v_cndmask_b32_e64 v42, v43, v42, s[2:3]
	ds_bpermute_b32 v44, v32, v42
	v_cndmask_b32_e64 v19, v43, v19, s[2:3]
	v_cmp_gt_u32_e64 s[2:3], v33, v18
	s_waitcnt lgkmcnt(0)
	v_add_u16_e32 v43, v19, v44
	v_cndmask_b32_e64 v42, v43, v42, s[2:3]
	ds_bpermute_b32 v44, v34, v42
	v_cndmask_b32_e64 v19, v43, v19, s[2:3]
	v_cmp_gt_u32_e64 s[2:3], v35, v18
	;; [unrolled: 6-line block ×3, first 2 shown]
	s_waitcnt lgkmcnt(0)
	v_add_u16_e32 v43, v19, v44
	v_cndmask_b32_e64 v42, v43, v42, s[2:3]
	ds_bpermute_b32 v42, v39, v42
	v_cndmask_b32_e64 v19, v43, v19, s[2:3]
	v_cmp_le_u32_e64 s[2:3], v40, v18
	s_waitcnt lgkmcnt(0)
	v_cndmask_b32_e64 v18, 0, v42, s[2:3]
	v_add_u16_e32 v18, v19, v18
	v_cndmask_b32_e32 v18, v41, v18, vcc
	v_add_u16_e32 v18, v18, v38
.LBB4828_66:                            ; =>This Loop Header: Depth=1
                                        ;     Child Loop BB4828_69 Depth 2
                                        ;       Child Loop BB4828_70 Depth 3
	v_cmp_ne_u16_sdwa s[2:3], v29, v26 src0_sel:BYTE_0 src1_sel:DWORD
	v_cndmask_b32_e64 v19, 0, 1, s[2:3]
	;;#ASMSTART
	;;#ASMEND
	v_cmp_ne_u32_e32 vcc, 0, v19
	s_cmp_lg_u64 vcc, exec
	v_mov_b32_e32 v38, v18
	s_cbranch_scc1 .LBB4828_73
; %bb.67:                               ;   in Loop: Header=BB4828_66 Depth=1
	v_lshlrev_b64 v[18:19], 2, v[14:15]
	v_mov_b32_e32 v29, s25
	v_add_co_u32_e32 v18, vcc, s24, v18
	v_addc_co_u32_e32 v19, vcc, v29, v19, vcc
	global_load_dword v41, v[18:19], off glc
	s_waitcnt vmcnt(0)
	v_lshrrev_b32_e32 v29, 16, v41
	v_cmp_eq_u16_sdwa s[8:9], v29, v15 src0_sel:BYTE_0 src1_sel:DWORD
	s_and_saveexec_b64 s[2:3], s[8:9]
	s_cbranch_execz .LBB4828_65
; %bb.68:                               ;   in Loop: Header=BB4828_66 Depth=1
	s_mov_b32 s12, 1
	s_mov_b64 s[8:9], 0
.LBB4828_69:                            ;   Parent Loop BB4828_66 Depth=1
                                        ; =>  This Loop Header: Depth=2
                                        ;       Child Loop BB4828_70 Depth 3
	s_max_u32 s13, s12, 1
.LBB4828_70:                            ;   Parent Loop BB4828_66 Depth=1
                                        ;     Parent Loop BB4828_69 Depth=2
                                        ; =>    This Inner Loop Header: Depth=3
	s_add_i32 s13, s13, -1
	s_cmp_eq_u32 s13, 0
	s_sleep 1
	s_cbranch_scc0 .LBB4828_70
; %bb.71:                               ;   in Loop: Header=BB4828_69 Depth=2
	global_load_dword v41, v[18:19], off glc
	s_cmp_lt_u32 s12, 32
	s_cselect_b64 s[14:15], -1, 0
	s_cmp_lg_u64 s[14:15], 0
	s_addc_u32 s12, s12, 0
	s_waitcnt vmcnt(0)
	v_lshrrev_b32_e32 v29, 16, v41
	v_cmp_ne_u16_sdwa s[14:15], v29, v15 src0_sel:BYTE_0 src1_sel:DWORD
	s_or_b64 s[8:9], s[14:15], s[8:9]
	s_andn2_b64 exec, exec, s[8:9]
	s_cbranch_execnz .LBB4828_69
; %bb.72:                               ;   in Loop: Header=BB4828_66 Depth=1
	s_or_b64 exec, exec, s[8:9]
	s_branch .LBB4828_65
.LBB4828_73:                            ;   in Loop: Header=BB4828_66 Depth=1
                                        ; implicit-def: $vgpr18
                                        ; implicit-def: $vgpr29
	s_cbranch_execz .LBB4828_66
; %bb.74:
	s_and_saveexec_b64 s[2:3], s[0:1]
	s_cbranch_execz .LBB4828_76
; %bb.75:
	s_add_i32 s0, s6, 64
	s_mov_b32 s1, 0
	s_lshl_b64 s[0:1], s[0:1], 2
	v_add_u16_e32 v14, v38, v25
	s_add_u32 s0, s24, s0
	v_or_b32_e32 v14, 0x20000, v14
	s_addc_u32 s1, s25, s1
	v_mov_b32_e32 v15, 0
	global_store_dword v15, v14, s[0:1]
.LBB4828_76:
	s_or_b64 exec, exec, s[2:3]
	v_cmp_eq_u32_e32 vcc, 0, v0
	s_and_b64 exec, exec, vcc
	s_cbranch_execz .LBB4828_78
; %bb.77:
	v_mov_b32_e32 v14, 0
	ds_write_b16 v14, v38
.LBB4828_78:
	s_or_b64 exec, exec, s[10:11]
	v_mov_b32_e32 v14, 0
	s_waitcnt lgkmcnt(0)
	; wave barrier
	s_waitcnt lgkmcnt(0)
	ds_read_u16 v14, v14
	v_cmp_ne_u32_e32 vcc, 0, v0
	v_cndmask_b32_e32 v15, 0, v24, vcc
	s_waitcnt lgkmcnt(0)
	v_add_u16_e32 v14, v14, v15
	s_load_dwordx8 s[8:15], s[4:5], 0x38
	s_branch .LBB4828_87
.LBB4828_79:
                                        ; implicit-def: $vgpr14
	s_load_dwordx8 s[8:15], s[4:5], 0x38
	s_cbranch_execz .LBB4828_87
; %bb.80:
	s_load_dword s0, s[4:5], 0x20
	s_waitcnt lgkmcnt(0)
	s_cmp_eq_u64 s[12:13], 0
	v_mov_b32_e32 v15, s0
	s_cbranch_scc1 .LBB4828_82
; %bb.81:
	v_mov_b32_e32 v15, s28
	v_add_co_u32_e64 v14, vcc, -2, s27
	v_addc_co_u32_e32 v15, vcc, -1, v15, vcc
	v_mov_b32_e32 v16, 0
	flat_load_ushort v17, v[14:15]
	global_load_ushort v18, v16, s[8:9]
	s_waitcnt vmcnt(0) lgkmcnt(0)
	v_add_u16_e32 v15, v18, v17
.LBB4828_82:
	v_add_u16_sdwa v14, v23, v11 dst_sel:DWORD dst_unused:UNUSED_PAD src0_sel:DWORD src1_sel:WORD_1
	v_add_u16_e32 v14, v14, v12
	v_add_u16_sdwa v14, v14, v12 dst_sel:DWORD dst_unused:UNUSED_PAD src0_sel:DWORD src1_sel:WORD_1
	v_add_u16_e32 v14, v14, v13
	;; [unrolled: 2-line block ×10, first 2 shown]
	v_add_u16_sdwa v16, v14, v5 dst_sel:DWORD dst_unused:UNUSED_PAD src0_sel:DWORD src1_sel:WORD_1
	v_mbcnt_hi_u32_b32 v14, -1, v22
	v_and_b32_e32 v17, 15, v14
	v_mov_b32_dpp v18, v16 row_shr:1 row_mask:0xf bank_mask:0xf
	v_cmp_ne_u32_e32 vcc, 0, v17
	v_cndmask_b32_e32 v18, 0, v18, vcc
	v_add_u16_e32 v16, v18, v16
	v_cmp_lt_u32_e32 vcc, 1, v17
	s_nop 0
	v_mov_b32_dpp v18, v16 row_shr:2 row_mask:0xf bank_mask:0xf
	v_cndmask_b32_e32 v18, 0, v18, vcc
	v_add_u16_e32 v16, v16, v18
	v_cmp_lt_u32_e32 vcc, 3, v17
	s_nop 0
	v_mov_b32_dpp v18, v16 row_shr:4 row_mask:0xf bank_mask:0xf
	;; [unrolled: 5-line block ×3, first 2 shown]
	v_cndmask_b32_e32 v17, 0, v18, vcc
	v_add_u16_e32 v16, v16, v17
	v_and_b32_e32 v18, 16, v14
	v_cmp_ne_u32_e32 vcc, 0, v18
	v_mov_b32_dpp v17, v16 row_bcast:15 row_mask:0xf bank_mask:0xf
	v_cndmask_b32_e32 v17, 0, v17, vcc
	v_add_u16_e32 v16, v16, v17
	v_cmp_lt_u32_e32 vcc, 31, v14
	s_nop 0
	v_mov_b32_dpp v17, v16 row_bcast:31 row_mask:0xf bank_mask:0xf
	v_cndmask_b32_e32 v17, 0, v17, vcc
	v_add_u16_e32 v16, v16, v17
	v_cmp_eq_u32_e32 vcc, 63, v0
	s_and_saveexec_b64 s[0:1], vcc
	s_cbranch_execz .LBB4828_84
; %bb.83:
	v_mov_b32_e32 v17, 0
	ds_write_b16 v17, v16
.LBB4828_84:
	s_or_b64 exec, exec, s[0:1]
	v_add_u32_e32 v17, -1, v14
	v_and_b32_e32 v18, 64, v14
	v_cmp_lt_i32_e32 vcc, v17, v18
	v_cndmask_b32_e32 v17, v17, v14, vcc
	v_add_u16_e32 v16, v16, v15
	v_lshlrev_b32_e32 v17, 2, v17
	ds_bpermute_b32 v16, v17, v16
	v_cmp_eq_u32_e32 vcc, 0, v14
	v_cmp_eq_u32_e64 s[0:1], 0, v0
	s_or_b64 vcc, s[0:1], vcc
	s_waitcnt lgkmcnt(0)
	v_cndmask_b32_e32 v14, v16, v15, vcc
	; wave barrier
	s_and_saveexec_b64 s[2:3], s[0:1]
	s_cbranch_execz .LBB4828_86
; %bb.85:
	v_mov_b32_e32 v14, 0
	ds_read_u16 v16, v14
	s_waitcnt lgkmcnt(0)
	v_add_u16_e32 v16, v16, v15
	v_or_b32_e32 v16, 0x20000, v16
	global_store_dword v14, v16, s[24:25] offset:256
	v_mov_b32_e32 v14, v15
.LBB4828_86:
	s_or_b64 exec, exec, s[2:3]
.LBB4828_87:
	v_add_u16_e32 v15, v14, v10
	v_add_u16_sdwa v16, v15, v10 dst_sel:DWORD dst_unused:UNUSED_PAD src0_sel:DWORD src1_sel:WORD_1
	v_add_u16_e32 v17, v16, v11
	v_add_u16_sdwa v19, v17, v11 dst_sel:DWORD dst_unused:UNUSED_PAD src0_sel:DWORD src1_sel:WORD_1
	;; [unrolled: 2-line block ×9, first 2 shown]
	v_add_u16_e32 v8, v2, v3
	s_add_u32 s0, s16, s22
	v_add_u16_sdwa v3, v8, v3 dst_sel:DWORD dst_unused:UNUSED_PAD src0_sel:DWORD src1_sel:WORD_1
	s_addc_u32 s1, s17, s23
	v_add_u16_e32 v9, v3, v4
	v_add_u16_sdwa v4, v9, v4 dst_sel:DWORD dst_unused:UNUSED_PAD src0_sel:DWORD src1_sel:WORD_1
	s_add_u32 s2, s0, s20
	v_add_u16_e32 v5, v4, v5
	s_addc_u32 s3, s1, s21
	s_mov_b64 s[0:1], -1
	s_and_b64 vcc, exec, s[18:19]
	s_waitcnt lgkmcnt(0)
	; wave barrier
	s_waitcnt lgkmcnt(0)
	s_cbranch_vccz .LBB4828_89
; %bb.88:
	s_mov_b32 s0, 0x5040100
	v_perm_b32 v31, v27, v25, s0
	v_perm_b32 v30, v23, v19, s0
	v_perm_b32 v29, v17, v16, s0
	v_perm_b32 v28, v15, v14, s0
	ds_write_b128 v1, v[28:31]
	v_perm_b32 v31, v26, v24, s0
	v_perm_b32 v30, v22, v18, s0
	;; [unrolled: 1-line block ×4, first 2 shown]
	ds_write_b128 v1, v[28:31] offset:16
	v_perm_b32 v31, v5, v4, s0
	v_perm_b32 v30, v9, v3, s0
	;; [unrolled: 1-line block ×4, first 2 shown]
	ds_write_b128 v1, v[28:31] offset:32
	s_waitcnt lgkmcnt(0)
	; wave barrier
	s_waitcnt lgkmcnt(0)
	ds_read_u16 v30, v20
	ds_read_u16 v31, v20 offset:128
	ds_read_u16 v32, v20 offset:256
	;; [unrolled: 1-line block ×23, first 2 shown]
	v_mov_b32_e32 v29, s3
	v_add_co_u32_e32 v28, vcc, s2, v20
	v_addc_co_u32_e32 v29, vcc, 0, v29, vcc
	s_waitcnt lgkmcnt(14)
	flat_store_short v[28:29], v30
	flat_store_short v[28:29], v31 offset:128
	flat_store_short v[28:29], v32 offset:256
	;; [unrolled: 1-line block ×9, first 2 shown]
	s_waitcnt lgkmcnt(0)
	flat_store_short v[28:29], v40 offset:1280
	flat_store_short v[28:29], v41 offset:1408
	;; [unrolled: 1-line block ×14, first 2 shown]
	s_mov_b64 s[0:1], 0
.LBB4828_89:
	s_andn2_b64 vcc, exec, s[0:1]
	s_cbranch_vccnz .LBB4828_146
; %bb.90:
	s_mov_b32 s0, 0x5040100
	v_perm_b32 v31, v27, v25, s0
	v_perm_b32 v30, v23, v19, s0
	;; [unrolled: 1-line block ×12, first 2 shown]
	ds_write_b128 v1, v[28:31]
	ds_write_b128 v1, v[12:15] offset:16
	ds_write_b128 v1, v[2:5] offset:32
	s_waitcnt lgkmcnt(0)
	; wave barrier
	s_waitcnt lgkmcnt(0)
	ds_read_u16 v5, v20
	ds_read_u16 v4, v20 offset:128
	ds_read_u16 v7, v20 offset:256
	;; [unrolled: 1-line block ×23, first 2 shown]
	v_mov_b32_e32 v3, s3
	v_add_co_u32_e32 v2, vcc, s2, v20
	v_addc_co_u32_e32 v3, vcc, 0, v3, vcc
	v_mov_b32_e32 v1, 0
	v_cmp_gt_u32_e32 vcc, s7, v0
	s_and_saveexec_b64 s[0:1], vcc
	s_cbranch_execz .LBB4828_92
; %bb.91:
	s_waitcnt lgkmcnt(0)
	flat_store_short v[2:3], v5
.LBB4828_92:
	s_or_b64 exec, exec, s[0:1]
	v_or_b32_e32 v20, 64, v0
	v_cmp_gt_u32_e32 vcc, s7, v20
	s_and_saveexec_b64 s[0:1], vcc
	s_cbranch_execz .LBB4828_94
; %bb.93:
	s_waitcnt lgkmcnt(0)
	flat_store_short v[2:3], v4 offset:128
.LBB4828_94:
	s_or_b64 exec, exec, s[0:1]
	v_or_b32_e32 v20, 0x80, v0
	v_cmp_gt_u32_e32 vcc, s7, v20
	s_and_saveexec_b64 s[0:1], vcc
	s_cbranch_execz .LBB4828_96
; %bb.95:
	s_waitcnt lgkmcnt(0)
	flat_store_short v[2:3], v7 offset:256
.LBB4828_96:
	;; [unrolled: 9-line block ×23, first 2 shown]
	s_or_b64 exec, exec, s[0:1]
	v_cmp_lt_u64_e64 s[0:1], s[14:15], 2
	s_and_b64 vcc, exec, s[0:1]
	s_cbranch_vccnz .LBB4828_146
; %bb.139:
	s_add_u32 s0, s7, -1
	s_addc_u32 s1, s26, -1
	s_add_u32 s2, 0, 0xaaaa0000
	s_addc_u32 s3, 0, 42
	s_add_i32 s3, s3, 0xaaaaa80
	s_mul_hi_u32 s7, s2, 0xffffffe8
	s_sub_i32 s7, s7, s2
	s_mul_i32 s8, s3, 0xffffffe8
	s_mul_i32 s4, s2, 0xffffffe8
	s_add_i32 s7, s7, s8
	s_mul_hi_u32 s5, s3, s4
	s_mul_i32 s6, s3, s4
	s_mul_i32 s9, s2, s7
	s_mul_hi_u32 s4, s2, s4
	s_mul_hi_u32 s8, s2, s7
	s_add_u32 s4, s4, s9
	s_addc_u32 s8, 0, s8
	s_add_u32 s4, s4, s6
	s_mul_hi_u32 s9, s3, s7
	s_addc_u32 s4, s8, s5
	s_addc_u32 s5, s9, 0
	s_mul_i32 s6, s3, s7
	s_add_u32 s4, s4, s6
	v_mov_b32_e32 v2, s4
	s_addc_u32 s5, 0, s5
	v_add_co_u32_e32 v2, vcc, s2, v2
	s_cmp_lg_u64 vcc, 0
	s_addc_u32 s2, s3, s5
	v_readfirstlane_b32 s5, v2
	s_mul_i32 s4, s0, s2
	s_mul_hi_u32 s6, s0, s5
	s_mul_hi_u32 s3, s0, s2
	s_add_u32 s4, s6, s4
	s_addc_u32 s3, 0, s3
	s_mul_hi_u32 s7, s1, s5
	s_mul_i32 s5, s1, s5
	s_add_u32 s4, s4, s5
	s_mul_hi_u32 s6, s1, s2
	s_addc_u32 s3, s3, s7
	s_addc_u32 s4, s6, 0
	s_mul_i32 s2, s1, s2
	s_add_u32 s2, s3, s2
	s_addc_u32 s3, 0, s4
	s_add_u32 s4, s2, 1
	s_addc_u32 s5, s3, 0
	s_add_u32 s6, s2, 2
	s_mul_i32 s8, s3, 24
	s_mul_hi_u32 s9, s2, 24
	s_addc_u32 s7, s3, 0
	s_add_i32 s9, s9, s8
	s_mul_i32 s8, s2, 24
	v_mov_b32_e32 v2, s8
	v_sub_co_u32_e32 v2, vcc, s0, v2
	s_cmp_lg_u64 vcc, 0
	s_subb_u32 s8, s1, s9
	v_subrev_co_u32_e32 v3, vcc, 24, v2
	s_cmp_lg_u64 vcc, 0
	s_subb_u32 s9, s8, 0
	v_readfirstlane_b32 s12, v3
	s_cmp_gt_u32 s12, 23
	s_cselect_b32 s12, -1, 0
	s_cmp_eq_u32 s9, 0
	s_cselect_b32 s9, s12, -1
	s_cmp_lg_u32 s9, 0
	s_cselect_b32 s4, s6, s4
	v_readfirstlane_b32 s6, v2
	s_cselect_b32 s5, s7, s5
	s_cmp_gt_u32 s6, 23
	s_cselect_b32 s6, -1, 0
	s_cmp_eq_u32 s8, 0
	s_cselect_b32 s6, s6, -1
	s_cmp_lg_u32 s6, 0
	s_cselect_b32 s3, s5, s3
	s_cselect_b32 s2, s4, s2
	v_cmp_eq_u64_e32 vcc, s[2:3], v[0:1]
	s_and_saveexec_b64 s[2:3], vcc
	s_cbranch_execz .LBB4828_146
; %bb.140:
	v_mul_hi_u32_u24_e32 v1, 24, v0
	v_mov_b32_e32 v2, s1
	v_sub_co_u32_e32 v0, vcc, s0, v21
	v_subb_co_u32_e32 v1, vcc, v2, v1, vcc
	v_cmp_lt_i64_e32 vcc, 11, v[0:1]
	s_mov_b64 s[0:1], 0
	s_mov_b64 s[8:9], 0
	;; [unrolled: 1-line block ×4, first 2 shown]
	s_and_saveexec_b64 s[2:3], vcc
	s_xor_b64 s[2:3], exec, s[2:3]
	s_cbranch_execnz .LBB4828_147
; %bb.141:
	s_andn2_saveexec_b64 s[2:3], s[2:3]
	s_cbranch_execnz .LBB4828_192
.LBB4828_142:
	s_or_b64 exec, exec, s[2:3]
	s_and_saveexec_b64 s[2:3], s[8:9]
	s_cbranch_execnz .LBB4828_209
.LBB4828_143:
	s_or_b64 exec, exec, s[2:3]
	s_and_saveexec_b64 s[2:3], s[6:7]
	s_cbranch_execnz .LBB4828_210
.LBB4828_144:
	s_or_b64 exec, exec, s[2:3]
	s_and_saveexec_b64 s[2:3], s[4:5]
	s_xor_b64 s[2:3], exec, s[2:3]
	s_cbranch_execnz .LBB4828_211
.LBB4828_145:
	s_or_b64 exec, exec, s[2:3]
	s_and_b64 exec, exec, s[0:1]
	s_cbranch_execnz .LBB4828_212
.LBB4828_146:
	s_endpgm
.LBB4828_147:
	v_cmp_lt_i64_e32 vcc, 17, v[0:1]
	s_and_saveexec_b64 s[12:13], vcc
	s_xor_b64 s[12:13], exec, s[12:13]
	s_cbranch_execz .LBB4828_169
; %bb.148:
	v_cmp_lt_i64_e32 vcc, 20, v[0:1]
                                        ; implicit-def: $vgpr10
	s_and_saveexec_b64 s[14:15], vcc
	s_xor_b64 s[14:15], exec, s[14:15]
	s_cbranch_execz .LBB4828_158
; %bb.149:
	v_cmp_lt_i64_e32 vcc, 21, v[0:1]
	s_mov_b64 s[16:17], 0
                                        ; implicit-def: $vgpr10
	s_and_saveexec_b64 s[4:5], vcc
	s_xor_b64 s[4:5], exec, s[4:5]
	s_cbranch_execz .LBB4828_155
; %bb.150:
	v_cmp_lt_i64_e32 vcc, 22, v[0:1]
	s_and_saveexec_b64 s[16:17], vcc
	s_xor_b64 s[16:17], exec, s[16:17]
	s_cbranch_execz .LBB4828_152
; %bb.151:
	v_mov_b32_e32 v2, 0
	s_waitcnt lgkmcnt(0)
	global_store_short v2, v29, s[10:11]
                                        ; implicit-def: $vgpr28
.LBB4828_152:
	s_or_saveexec_b64 s[16:17], s[16:17]
	s_mov_b64 s[18:19], 0
	s_xor_b64 exec, exec, s[16:17]
; %bb.153:
	s_mov_b64 s[18:19], exec
; %bb.154:
	s_or_b64 exec, exec, s[16:17]
	s_and_b64 s[16:17], s[18:19], exec
	s_waitcnt lgkmcnt(0)
	v_mov_b32_e32 v10, v28
                                        ; implicit-def: $vgpr11
.LBB4828_155:
	s_andn2_saveexec_b64 s[4:5], s[4:5]
; %bb.156:
	s_mov_b64 s[6:7], exec
                                        ; implicit-def: $vgpr10
; %bb.157:
	s_or_b64 exec, exec, s[4:5]
	s_and_b64 s[4:5], s[16:17], exec
	s_and_b64 s[6:7], s[6:7], exec
                                        ; implicit-def: $vgpr26
                                        ; implicit-def: $vgpr12
                                        ; implicit-def: $vgpr23
.LBB4828_158:
	s_andn2_saveexec_b64 s[14:15], s[14:15]
	s_cbranch_execz .LBB4828_168
; %bb.159:
	v_cmp_lt_i64_e32 vcc, 18, v[0:1]
	s_mov_b64 s[16:17], 0
	s_and_saveexec_b64 s[8:9], vcc
	s_xor_b64 s[8:9], exec, s[8:9]
	s_cbranch_execz .LBB4828_165
; %bb.160:
	v_cmp_lt_i64_e32 vcc, 19, v[0:1]
	s_and_saveexec_b64 s[18:19], vcc
	s_xor_b64 s[18:19], exec, s[18:19]
; %bb.161:
	s_mov_b64 s[16:17], exec
                                        ; implicit-def: $vgpr23
; %bb.162:
	s_andn2_saveexec_b64 s[18:19], s[18:19]
	s_cbranch_execz .LBB4828_164
; %bb.163:
	v_mov_b32_e32 v2, 0
	s_waitcnt lgkmcnt(0)
	global_store_short v2, v23, s[10:11]
                                        ; implicit-def: $vgpr12
.LBB4828_164:
	s_or_b64 exec, exec, s[18:19]
	s_and_b64 s[16:17], s[16:17], exec
                                        ; implicit-def: $vgpr26
.LBB4828_165:
	s_andn2_saveexec_b64 s[8:9], s[8:9]
	s_cbranch_execz .LBB4828_167
; %bb.166:
	v_mov_b32_e32 v2, 0
	s_waitcnt lgkmcnt(0)
	global_store_short v2, v26, s[10:11]
                                        ; implicit-def: $vgpr12
.LBB4828_167:
	s_or_b64 exec, exec, s[8:9]
	s_and_b64 s[8:9], s[16:17], exec
                                        ; implicit-def: $vgpr10
                                        ; implicit-def: $vgpr11
.LBB4828_168:
	s_or_b64 exec, exec, s[14:15]
	s_and_b64 s[4:5], s[4:5], exec
	s_and_b64 s[6:7], s[6:7], exec
	;; [unrolled: 1-line block ×3, first 2 shown]
                                        ; implicit-def: $vgpr18
                                        ; implicit-def: $vgpr13
                                        ; implicit-def: $vgpr14
                                        ; implicit-def: $vgpr24
                                        ; implicit-def: $vgpr27
.LBB4828_169:
	s_andn2_saveexec_b64 s[12:13], s[12:13]
	s_cbranch_execz .LBB4828_191
; %bb.170:
	v_cmp_lt_i64_e32 vcc, 14, v[0:1]
	s_mov_b64 s[14:15], s[4:5]
	s_and_saveexec_b64 s[16:17], vcc
	s_xor_b64 s[16:17], exec, s[16:17]
	s_cbranch_execz .LBB4828_180
; %bb.171:
	v_cmp_lt_i64_e32 vcc, 15, v[0:1]
	s_and_saveexec_b64 s[14:15], vcc
	s_xor_b64 s[14:15], exec, s[14:15]
	s_cbranch_execz .LBB4828_177
; %bb.172:
	v_cmp_lt_i64_e32 vcc, 16, v[0:1]
	s_and_saveexec_b64 s[18:19], vcc
	s_xor_b64 s[18:19], exec, s[18:19]
	s_cbranch_execz .LBB4828_174
; %bb.173:
	v_mov_b32_e32 v2, 0
	s_waitcnt lgkmcnt(0)
	global_store_short v2, v27, s[10:11]
                                        ; implicit-def: $vgpr24
.LBB4828_174:
	s_andn2_saveexec_b64 s[18:19], s[18:19]
	s_cbranch_execz .LBB4828_176
; %bb.175:
	v_mov_b32_e32 v2, 0
	s_waitcnt lgkmcnt(0)
	global_store_short v2, v24, s[10:11]
.LBB4828_176:
	s_or_b64 exec, exec, s[18:19]
                                        ; implicit-def: $vgpr10
.LBB4828_177:
	s_or_saveexec_b64 s[14:15], s[14:15]
	s_mov_b64 s[18:19], s[4:5]
	s_xor_b64 exec, exec, s[14:15]
; %bb.178:
	s_or_b64 s[18:19], s[4:5], exec
; %bb.179:
	s_or_b64 exec, exec, s[14:15]
	s_andn2_b64 s[14:15], s[4:5], exec
	s_and_b64 s[18:19], s[18:19], exec
	s_or_b64 s[14:15], s[14:15], s[18:19]
                                        ; implicit-def: $vgpr18
                                        ; implicit-def: $vgpr13
                                        ; implicit-def: $vgpr14
.LBB4828_180:
	s_or_saveexec_b64 s[16:17], s[16:17]
	s_mov_b64 s[18:19], s[6:7]
                                        ; implicit-def: $vgpr11
	s_xor_b64 exec, exec, s[16:17]
	s_cbranch_execz .LBB4828_190
; %bb.181:
	v_cmp_lt_i64_e32 vcc, 12, v[0:1]
	s_mov_b64 s[20:21], s[6:7]
	s_mov_b64 s[22:23], s[14:15]
                                        ; implicit-def: $vgpr10
                                        ; implicit-def: $vgpr11
	s_and_saveexec_b64 s[18:19], vcc
	s_xor_b64 s[18:19], exec, s[18:19]
	s_cbranch_execz .LBB4828_187
; %bb.182:
	v_cmp_lt_i64_e32 vcc, 13, v[0:1]
	s_mov_b64 s[20:21], s[14:15]
	s_and_saveexec_b64 s[22:23], vcc
	s_xor_b64 s[22:23], exec, s[22:23]
; %bb.183:
	s_or_b64 s[20:21], s[14:15], exec
                                        ; implicit-def: $vgpr13
; %bb.184:
	s_or_saveexec_b64 s[22:23], s[22:23]
	s_mov_b64 s[24:25], s[6:7]
	s_xor_b64 exec, exec, s[22:23]
; %bb.185:
	s_or_b64 s[24:25], s[6:7], exec
                                        ; implicit-def: $vgpr14
; %bb.186:
	s_or_b64 exec, exec, s[22:23]
	s_andn2_b64 s[22:23], s[14:15], exec
	s_and_b64 s[20:21], s[20:21], exec
	s_or_b64 s[22:23], s[22:23], s[20:21]
	s_andn2_b64 s[20:21], s[6:7], exec
	s_and_b64 s[24:25], s[24:25], exec
	s_or_b64 s[20:21], s[20:21], s[24:25]
	s_waitcnt lgkmcnt(0)
	v_mov_b32_e32 v10, v14
	v_mov_b32_e32 v11, v13
                                        ; implicit-def: $vgpr18
.LBB4828_187:
	s_andn2_saveexec_b64 s[18:19], s[18:19]
	s_cbranch_execz .LBB4828_189
; %bb.188:
	s_or_b64 s[20:21], s[20:21], exec
                                        ; implicit-def: $vgpr10
	s_waitcnt lgkmcnt(0)
	v_mov_b32_e32 v11, v18
.LBB4828_189:
	s_or_b64 exec, exec, s[18:19]
	s_andn2_b64 s[14:15], s[14:15], exec
	s_and_b64 s[18:19], s[22:23], exec
	s_or_b64 s[14:15], s[14:15], s[18:19]
	s_andn2_b64 s[18:19], s[6:7], exec
	s_and_b64 s[20:21], s[20:21], exec
	s_or_b64 s[18:19], s[18:19], s[20:21]
.LBB4828_190:
	s_or_b64 exec, exec, s[16:17]
	s_andn2_b64 s[4:5], s[4:5], exec
	s_and_b64 s[14:15], s[14:15], exec
	s_or_b64 s[4:5], s[4:5], s[14:15]
	s_andn2_b64 s[6:7], s[6:7], exec
	s_and_b64 s[14:15], s[18:19], exec
	s_or_b64 s[6:7], s[6:7], s[14:15]
                                        ; implicit-def: $vgpr12
.LBB4828_191:
	s_or_b64 exec, exec, s[12:13]
	s_and_b64 s[4:5], s[4:5], exec
	s_and_b64 s[6:7], s[6:7], exec
	;; [unrolled: 1-line block ×3, first 2 shown]
                                        ; implicit-def: $vgpr17
                                        ; implicit-def: $vgpr15
                                        ; implicit-def: $vgpr16
                                        ; implicit-def: $vgpr25
                                        ; implicit-def: $vgpr22
                                        ; implicit-def: $vgpr19
	s_andn2_saveexec_b64 s[2:3], s[2:3]
	s_cbranch_execz .LBB4828_142
.LBB4828_192:
	v_cmp_lt_i64_e32 vcc, 5, v[0:1]
	s_mov_b64 s[14:15], -1
	s_mov_b64 s[12:13], s[8:9]
	s_mov_b64 s[16:17], s[6:7]
	;; [unrolled: 1-line block ×3, first 2 shown]
                                        ; implicit-def: $vgpr10
                                        ; implicit-def: $vgpr11
                                        ; implicit-def: $vgpr12
	s_and_saveexec_b64 s[0:1], vcc
	s_cbranch_execz .LBB4828_208
; %bb.193:
	v_cmp_lt_i64_e32 vcc, 8, v[0:1]
	s_mov_b64 s[12:13], s[8:9]
                                        ; implicit-def: $vgpr12
	s_and_saveexec_b64 s[14:15], vcc
	s_xor_b64 s[14:15], exec, s[14:15]
	s_cbranch_execz .LBB4828_203
; %bb.194:
	v_cmp_lt_i64_e32 vcc, 9, v[0:1]
	s_and_saveexec_b64 s[12:13], vcc
	s_xor_b64 s[12:13], exec, s[12:13]
	s_cbranch_execz .LBB4828_200
; %bb.195:
	v_cmp_lt_i64_e32 vcc, 10, v[0:1]
	s_and_saveexec_b64 s[16:17], vcc
	s_xor_b64 s[16:17], exec, s[16:17]
; %bb.196:
                                        ; implicit-def: $vgpr22
; %bb.197:
	s_andn2_saveexec_b64 s[16:17], s[16:17]
	s_cbranch_execz .LBB4828_199
; %bb.198:
	s_waitcnt lgkmcnt(0)
	v_mov_b32_e32 v19, v22
.LBB4828_199:
	s_or_b64 exec, exec, s[16:17]
                                        ; implicit-def: $vgpr25
.LBB4828_200:
	s_andn2_saveexec_b64 s[12:13], s[12:13]
	s_cbranch_execz .LBB4828_202
; %bb.201:
	s_waitcnt lgkmcnt(0)
	v_mov_b32_e32 v19, v25
.LBB4828_202:
	s_or_b64 exec, exec, s[12:13]
	s_or_b64 s[12:13], s[8:9], exec
	s_waitcnt lgkmcnt(0)
	v_mov_b32_e32 v12, v19
                                        ; implicit-def: $vgpr17
                                        ; implicit-def: $vgpr15
                                        ; implicit-def: $vgpr16
.LBB4828_203:
	s_or_saveexec_b64 s[14:15], s[14:15]
	s_mov_b64 s[16:17], s[6:7]
	s_mov_b64 s[20:21], s[4:5]
                                        ; implicit-def: $vgpr10
                                        ; implicit-def: $vgpr11
	s_xor_b64 exec, exec, s[14:15]
	s_cbranch_execz .LBB4828_207
; %bb.204:
	v_cmp_lt_i64_e32 vcc, 6, v[0:1]
	s_mov_b64 s[20:21], -1
	s_mov_b64 s[18:19], s[12:13]
	s_mov_b64 s[16:17], s[6:7]
	s_and_saveexec_b64 s[22:23], vcc
; %bb.205:
	v_cmp_lt_i64_e32 vcc, 7, v[0:1]
	s_andn2_b64 s[18:19], s[12:13], exec
	s_and_b64 s[24:25], vcc, exec
	s_xor_b64 s[20:21], exec, -1
	s_or_b64 s[16:17], s[6:7], exec
	s_or_b64 s[18:19], s[18:19], s[24:25]
                                        ; implicit-def: $vgpr17
; %bb.206:
	s_or_b64 exec, exec, s[22:23]
	s_andn2_b64 s[22:23], s[4:5], exec
	s_and_b64 s[20:21], s[20:21], exec
	s_or_b64 s[20:21], s[22:23], s[20:21]
	s_andn2_b64 s[22:23], s[6:7], exec
	s_and_b64 s[16:17], s[16:17], exec
	s_andn2_b64 s[12:13], s[12:13], exec
	s_and_b64 s[18:19], s[18:19], exec
	s_or_b64 s[16:17], s[22:23], s[16:17]
	s_or_b64 s[12:13], s[12:13], s[18:19]
	s_waitcnt lgkmcnt(0)
	v_mov_b32_e32 v10, v17
	v_mov_b32_e32 v11, v15
	;; [unrolled: 1-line block ×3, first 2 shown]
.LBB4828_207:
	s_or_b64 exec, exec, s[14:15]
	s_andn2_b64 s[18:19], s[4:5], exec
	s_and_b64 s[20:21], s[20:21], exec
	s_or_b64 s[18:19], s[18:19], s[20:21]
	s_andn2_b64 s[20:21], s[6:7], exec
	s_and_b64 s[16:17], s[16:17], exec
	s_or_b64 s[16:17], s[20:21], s[16:17]
	s_andn2_b64 s[20:21], s[8:9], exec
	s_and_b64 s[12:13], s[12:13], exec
	s_xor_b64 s[14:15], exec, -1
	s_or_b64 s[12:13], s[20:21], s[12:13]
.LBB4828_208:
	s_or_b64 exec, exec, s[0:1]
	s_and_b64 s[0:1], s[14:15], exec
	s_andn2_b64 s[4:5], s[4:5], exec
	s_and_b64 s[14:15], s[18:19], exec
	s_or_b64 s[4:5], s[4:5], s[14:15]
	s_andn2_b64 s[6:7], s[6:7], exec
	s_and_b64 s[14:15], s[16:17], exec
	s_andn2_b64 s[8:9], s[8:9], exec
	s_and_b64 s[12:13], s[12:13], exec
	s_or_b64 s[6:7], s[6:7], s[14:15]
	s_or_b64 s[8:9], s[8:9], s[12:13]
	s_or_b64 exec, exec, s[2:3]
	s_and_saveexec_b64 s[2:3], s[8:9]
	s_cbranch_execz .LBB4828_143
.LBB4828_209:
	v_mov_b32_e32 v2, 0
	s_andn2_b64 s[6:7], s[6:7], exec
	s_waitcnt lgkmcnt(0)
	global_store_short v2, v12, s[10:11]
                                        ; implicit-def: $vgpr10
                                        ; implicit-def: $vgpr11
	s_or_b64 exec, exec, s[2:3]
	s_and_saveexec_b64 s[2:3], s[6:7]
	s_cbranch_execz .LBB4828_144
.LBB4828_210:
	v_mov_b32_e32 v2, 0
	s_waitcnt lgkmcnt(0)
	global_store_short v2, v11, s[10:11]
                                        ; implicit-def: $vgpr10
	s_or_b64 exec, exec, s[2:3]
	s_and_saveexec_b64 s[2:3], s[4:5]
	s_xor_b64 s[2:3], exec, s[2:3]
	s_cbranch_execz .LBB4828_145
.LBB4828_211:
	v_mov_b32_e32 v2, 0
	s_waitcnt lgkmcnt(0)
	global_store_short v2, v10, s[10:11]
	s_or_b64 exec, exec, s[2:3]
	s_and_b64 exec, exec, s[0:1]
	s_cbranch_execz .LBB4828_146
.LBB4828_212:
	v_cmp_lt_i64_e32 vcc, 2, v[0:1]
	s_and_saveexec_b64 s[0:1], vcc
	s_xor_b64 s[0:1], exec, s[0:1]
	s_cbranch_execz .LBB4828_222
; %bb.213:
	v_cmp_lt_i64_e32 vcc, 3, v[0:1]
	s_and_saveexec_b64 s[2:3], vcc
	s_xor_b64 s[2:3], exec, s[2:3]
	s_cbranch_execz .LBB4828_219
; %bb.214:
	v_cmp_lt_i64_e32 vcc, 4, v[0:1]
	s_and_saveexec_b64 s[4:5], vcc
	s_xor_b64 s[4:5], exec, s[4:5]
	s_cbranch_execz .LBB4828_216
; %bb.215:
	v_mov_b32_e32 v0, 0
	s_waitcnt lgkmcnt(0)
	global_store_short v0, v9, s[10:11]
                                        ; implicit-def: $vgpr6
.LBB4828_216:
	s_andn2_saveexec_b64 s[4:5], s[4:5]
	s_cbranch_execz .LBB4828_218
; %bb.217:
	v_mov_b32_e32 v0, 0
	s_waitcnt lgkmcnt(0)
	global_store_short v0, v6, s[10:11]
.LBB4828_218:
	s_or_b64 exec, exec, s[4:5]
                                        ; implicit-def: $vgpr8
.LBB4828_219:
	s_andn2_saveexec_b64 s[2:3], s[2:3]
	s_cbranch_execz .LBB4828_221
; %bb.220:
	v_mov_b32_e32 v0, 0
	s_waitcnt lgkmcnt(0)
	global_store_short v0, v8, s[10:11]
.LBB4828_221:
	s_or_b64 exec, exec, s[2:3]
                                        ; implicit-def: $vgpr0_vgpr1
                                        ; implicit-def: $vgpr7
                                        ; implicit-def: $vgpr4
                                        ; implicit-def: $vgpr5
.LBB4828_222:
	s_andn2_saveexec_b64 s[0:1], s[0:1]
	s_cbranch_execz .LBB4828_146
; %bb.223:
	v_cmp_lt_i64_e32 vcc, 1, v[0:1]
	s_and_saveexec_b64 s[0:1], vcc
	s_xor_b64 s[0:1], exec, s[0:1]
	s_cbranch_execz .LBB4828_225
; %bb.224:
	v_mov_b32_e32 v0, 0
	s_waitcnt lgkmcnt(0)
	global_store_short v0, v7, s[10:11]
                                        ; implicit-def: $vgpr4
                                        ; implicit-def: $vgpr0_vgpr1
                                        ; implicit-def: $vgpr5
.LBB4828_225:
	s_andn2_saveexec_b64 s[0:1], s[0:1]
	s_cbranch_execz .LBB4828_146
; %bb.226:
	v_cmp_ne_u64_e32 vcc, 1, v[0:1]
	s_and_saveexec_b64 s[0:1], vcc
	s_xor_b64 s[0:1], exec, s[0:1]
	s_cbranch_execz .LBB4828_228
; %bb.227:
	v_mov_b32_e32 v0, 0
	s_waitcnt lgkmcnt(0)
	global_store_short v0, v5, s[10:11]
                                        ; implicit-def: $vgpr4
.LBB4828_228:
	s_andn2_saveexec_b64 s[0:1], s[0:1]
	s_cbranch_execz .LBB4828_146
; %bb.229:
	v_mov_b32_e32 v0, 0
	s_waitcnt lgkmcnt(0)
	global_store_short v0, v4, s[10:11]
	s_endpgm
	.section	.rodata,"a",@progbits
	.p2align	6, 0x0
	.amdhsa_kernel _ZN7rocprim17ROCPRIM_400000_NS6detail17trampoline_kernelINS0_14default_configENS1_20scan_config_selectorItEEZZNS1_9scan_implILNS1_25lookback_scan_determinismE0ELb1ELb1ES3_N6thrust23THRUST_200600_302600_NS6detail15normal_iteratorINS9_10device_ptrItEEEESE_tNS9_4plusIvEEtEEDaPvRmT3_T4_T5_mT6_P12ihipStream_tbENKUlT_T0_E_clISt17integral_constantIbLb1EEST_IbLb0EEEEDaSP_SQ_EUlSP_E_NS1_11comp_targetILNS1_3genE4ELNS1_11target_archE910ELNS1_3gpuE8ELNS1_3repE0EEENS1_30default_config_static_selectorELNS0_4arch9wavefront6targetE1EEEvT1_
		.amdhsa_group_segment_fixed_size 3072
		.amdhsa_private_segment_fixed_size 0
		.amdhsa_kernarg_size 96
		.amdhsa_user_sgpr_count 6
		.amdhsa_user_sgpr_private_segment_buffer 1
		.amdhsa_user_sgpr_dispatch_ptr 0
		.amdhsa_user_sgpr_queue_ptr 0
		.amdhsa_user_sgpr_kernarg_segment_ptr 1
		.amdhsa_user_sgpr_dispatch_id 0
		.amdhsa_user_sgpr_flat_scratch_init 0
		.amdhsa_user_sgpr_kernarg_preload_length 0
		.amdhsa_user_sgpr_kernarg_preload_offset 0
		.amdhsa_user_sgpr_private_segment_size 0
		.amdhsa_uses_dynamic_stack 0
		.amdhsa_system_sgpr_private_segment_wavefront_offset 0
		.amdhsa_system_sgpr_workgroup_id_x 1
		.amdhsa_system_sgpr_workgroup_id_y 0
		.amdhsa_system_sgpr_workgroup_id_z 0
		.amdhsa_system_sgpr_workgroup_info 0
		.amdhsa_system_vgpr_workitem_id 0
		.amdhsa_next_free_vgpr 54
		.amdhsa_next_free_sgpr 29
		.amdhsa_accum_offset 56
		.amdhsa_reserve_vcc 1
		.amdhsa_reserve_flat_scratch 0
		.amdhsa_float_round_mode_32 0
		.amdhsa_float_round_mode_16_64 0
		.amdhsa_float_denorm_mode_32 3
		.amdhsa_float_denorm_mode_16_64 3
		.amdhsa_dx10_clamp 1
		.amdhsa_ieee_mode 1
		.amdhsa_fp16_overflow 0
		.amdhsa_tg_split 0
		.amdhsa_exception_fp_ieee_invalid_op 0
		.amdhsa_exception_fp_denorm_src 0
		.amdhsa_exception_fp_ieee_div_zero 0
		.amdhsa_exception_fp_ieee_overflow 0
		.amdhsa_exception_fp_ieee_underflow 0
		.amdhsa_exception_fp_ieee_inexact 0
		.amdhsa_exception_int_div_zero 0
	.end_amdhsa_kernel
	.section	.text._ZN7rocprim17ROCPRIM_400000_NS6detail17trampoline_kernelINS0_14default_configENS1_20scan_config_selectorItEEZZNS1_9scan_implILNS1_25lookback_scan_determinismE0ELb1ELb1ES3_N6thrust23THRUST_200600_302600_NS6detail15normal_iteratorINS9_10device_ptrItEEEESE_tNS9_4plusIvEEtEEDaPvRmT3_T4_T5_mT6_P12ihipStream_tbENKUlT_T0_E_clISt17integral_constantIbLb1EEST_IbLb0EEEEDaSP_SQ_EUlSP_E_NS1_11comp_targetILNS1_3genE4ELNS1_11target_archE910ELNS1_3gpuE8ELNS1_3repE0EEENS1_30default_config_static_selectorELNS0_4arch9wavefront6targetE1EEEvT1_,"axG",@progbits,_ZN7rocprim17ROCPRIM_400000_NS6detail17trampoline_kernelINS0_14default_configENS1_20scan_config_selectorItEEZZNS1_9scan_implILNS1_25lookback_scan_determinismE0ELb1ELb1ES3_N6thrust23THRUST_200600_302600_NS6detail15normal_iteratorINS9_10device_ptrItEEEESE_tNS9_4plusIvEEtEEDaPvRmT3_T4_T5_mT6_P12ihipStream_tbENKUlT_T0_E_clISt17integral_constantIbLb1EEST_IbLb0EEEEDaSP_SQ_EUlSP_E_NS1_11comp_targetILNS1_3genE4ELNS1_11target_archE910ELNS1_3gpuE8ELNS1_3repE0EEENS1_30default_config_static_selectorELNS0_4arch9wavefront6targetE1EEEvT1_,comdat
.Lfunc_end4828:
	.size	_ZN7rocprim17ROCPRIM_400000_NS6detail17trampoline_kernelINS0_14default_configENS1_20scan_config_selectorItEEZZNS1_9scan_implILNS1_25lookback_scan_determinismE0ELb1ELb1ES3_N6thrust23THRUST_200600_302600_NS6detail15normal_iteratorINS9_10device_ptrItEEEESE_tNS9_4plusIvEEtEEDaPvRmT3_T4_T5_mT6_P12ihipStream_tbENKUlT_T0_E_clISt17integral_constantIbLb1EEST_IbLb0EEEEDaSP_SQ_EUlSP_E_NS1_11comp_targetILNS1_3genE4ELNS1_11target_archE910ELNS1_3gpuE8ELNS1_3repE0EEENS1_30default_config_static_selectorELNS0_4arch9wavefront6targetE1EEEvT1_, .Lfunc_end4828-_ZN7rocprim17ROCPRIM_400000_NS6detail17trampoline_kernelINS0_14default_configENS1_20scan_config_selectorItEEZZNS1_9scan_implILNS1_25lookback_scan_determinismE0ELb1ELb1ES3_N6thrust23THRUST_200600_302600_NS6detail15normal_iteratorINS9_10device_ptrItEEEESE_tNS9_4plusIvEEtEEDaPvRmT3_T4_T5_mT6_P12ihipStream_tbENKUlT_T0_E_clISt17integral_constantIbLb1EEST_IbLb0EEEEDaSP_SQ_EUlSP_E_NS1_11comp_targetILNS1_3genE4ELNS1_11target_archE910ELNS1_3gpuE8ELNS1_3repE0EEENS1_30default_config_static_selectorELNS0_4arch9wavefront6targetE1EEEvT1_
                                        ; -- End function
	.section	.AMDGPU.csdata,"",@progbits
; Kernel info:
; codeLenInByte = 7804
; NumSgprs: 33
; NumVgprs: 54
; NumAgprs: 0
; TotalNumVgprs: 54
; ScratchSize: 0
; MemoryBound: 0
; FloatMode: 240
; IeeeMode: 1
; LDSByteSize: 3072 bytes/workgroup (compile time only)
; SGPRBlocks: 4
; VGPRBlocks: 6
; NumSGPRsForWavesPerEU: 33
; NumVGPRsForWavesPerEU: 54
; AccumOffset: 56
; Occupancy: 6
; WaveLimiterHint : 1
; COMPUTE_PGM_RSRC2:SCRATCH_EN: 0
; COMPUTE_PGM_RSRC2:USER_SGPR: 6
; COMPUTE_PGM_RSRC2:TRAP_HANDLER: 0
; COMPUTE_PGM_RSRC2:TGID_X_EN: 1
; COMPUTE_PGM_RSRC2:TGID_Y_EN: 0
; COMPUTE_PGM_RSRC2:TGID_Z_EN: 0
; COMPUTE_PGM_RSRC2:TIDIG_COMP_CNT: 0
; COMPUTE_PGM_RSRC3_GFX90A:ACCUM_OFFSET: 13
; COMPUTE_PGM_RSRC3_GFX90A:TG_SPLIT: 0
	.section	.text._ZN7rocprim17ROCPRIM_400000_NS6detail17trampoline_kernelINS0_14default_configENS1_20scan_config_selectorItEEZZNS1_9scan_implILNS1_25lookback_scan_determinismE0ELb1ELb1ES3_N6thrust23THRUST_200600_302600_NS6detail15normal_iteratorINS9_10device_ptrItEEEESE_tNS9_4plusIvEEtEEDaPvRmT3_T4_T5_mT6_P12ihipStream_tbENKUlT_T0_E_clISt17integral_constantIbLb1EEST_IbLb0EEEEDaSP_SQ_EUlSP_E_NS1_11comp_targetILNS1_3genE3ELNS1_11target_archE908ELNS1_3gpuE7ELNS1_3repE0EEENS1_30default_config_static_selectorELNS0_4arch9wavefront6targetE1EEEvT1_,"axG",@progbits,_ZN7rocprim17ROCPRIM_400000_NS6detail17trampoline_kernelINS0_14default_configENS1_20scan_config_selectorItEEZZNS1_9scan_implILNS1_25lookback_scan_determinismE0ELb1ELb1ES3_N6thrust23THRUST_200600_302600_NS6detail15normal_iteratorINS9_10device_ptrItEEEESE_tNS9_4plusIvEEtEEDaPvRmT3_T4_T5_mT6_P12ihipStream_tbENKUlT_T0_E_clISt17integral_constantIbLb1EEST_IbLb0EEEEDaSP_SQ_EUlSP_E_NS1_11comp_targetILNS1_3genE3ELNS1_11target_archE908ELNS1_3gpuE7ELNS1_3repE0EEENS1_30default_config_static_selectorELNS0_4arch9wavefront6targetE1EEEvT1_,comdat
	.protected	_ZN7rocprim17ROCPRIM_400000_NS6detail17trampoline_kernelINS0_14default_configENS1_20scan_config_selectorItEEZZNS1_9scan_implILNS1_25lookback_scan_determinismE0ELb1ELb1ES3_N6thrust23THRUST_200600_302600_NS6detail15normal_iteratorINS9_10device_ptrItEEEESE_tNS9_4plusIvEEtEEDaPvRmT3_T4_T5_mT6_P12ihipStream_tbENKUlT_T0_E_clISt17integral_constantIbLb1EEST_IbLb0EEEEDaSP_SQ_EUlSP_E_NS1_11comp_targetILNS1_3genE3ELNS1_11target_archE908ELNS1_3gpuE7ELNS1_3repE0EEENS1_30default_config_static_selectorELNS0_4arch9wavefront6targetE1EEEvT1_ ; -- Begin function _ZN7rocprim17ROCPRIM_400000_NS6detail17trampoline_kernelINS0_14default_configENS1_20scan_config_selectorItEEZZNS1_9scan_implILNS1_25lookback_scan_determinismE0ELb1ELb1ES3_N6thrust23THRUST_200600_302600_NS6detail15normal_iteratorINS9_10device_ptrItEEEESE_tNS9_4plusIvEEtEEDaPvRmT3_T4_T5_mT6_P12ihipStream_tbENKUlT_T0_E_clISt17integral_constantIbLb1EEST_IbLb0EEEEDaSP_SQ_EUlSP_E_NS1_11comp_targetILNS1_3genE3ELNS1_11target_archE908ELNS1_3gpuE7ELNS1_3repE0EEENS1_30default_config_static_selectorELNS0_4arch9wavefront6targetE1EEEvT1_
	.globl	_ZN7rocprim17ROCPRIM_400000_NS6detail17trampoline_kernelINS0_14default_configENS1_20scan_config_selectorItEEZZNS1_9scan_implILNS1_25lookback_scan_determinismE0ELb1ELb1ES3_N6thrust23THRUST_200600_302600_NS6detail15normal_iteratorINS9_10device_ptrItEEEESE_tNS9_4plusIvEEtEEDaPvRmT3_T4_T5_mT6_P12ihipStream_tbENKUlT_T0_E_clISt17integral_constantIbLb1EEST_IbLb0EEEEDaSP_SQ_EUlSP_E_NS1_11comp_targetILNS1_3genE3ELNS1_11target_archE908ELNS1_3gpuE7ELNS1_3repE0EEENS1_30default_config_static_selectorELNS0_4arch9wavefront6targetE1EEEvT1_
	.p2align	8
	.type	_ZN7rocprim17ROCPRIM_400000_NS6detail17trampoline_kernelINS0_14default_configENS1_20scan_config_selectorItEEZZNS1_9scan_implILNS1_25lookback_scan_determinismE0ELb1ELb1ES3_N6thrust23THRUST_200600_302600_NS6detail15normal_iteratorINS9_10device_ptrItEEEESE_tNS9_4plusIvEEtEEDaPvRmT3_T4_T5_mT6_P12ihipStream_tbENKUlT_T0_E_clISt17integral_constantIbLb1EEST_IbLb0EEEEDaSP_SQ_EUlSP_E_NS1_11comp_targetILNS1_3genE3ELNS1_11target_archE908ELNS1_3gpuE7ELNS1_3repE0EEENS1_30default_config_static_selectorELNS0_4arch9wavefront6targetE1EEEvT1_,@function
_ZN7rocprim17ROCPRIM_400000_NS6detail17trampoline_kernelINS0_14default_configENS1_20scan_config_selectorItEEZZNS1_9scan_implILNS1_25lookback_scan_determinismE0ELb1ELb1ES3_N6thrust23THRUST_200600_302600_NS6detail15normal_iteratorINS9_10device_ptrItEEEESE_tNS9_4plusIvEEtEEDaPvRmT3_T4_T5_mT6_P12ihipStream_tbENKUlT_T0_E_clISt17integral_constantIbLb1EEST_IbLb0EEEEDaSP_SQ_EUlSP_E_NS1_11comp_targetILNS1_3genE3ELNS1_11target_archE908ELNS1_3gpuE7ELNS1_3repE0EEENS1_30default_config_static_selectorELNS0_4arch9wavefront6targetE1EEEvT1_: ; @_ZN7rocprim17ROCPRIM_400000_NS6detail17trampoline_kernelINS0_14default_configENS1_20scan_config_selectorItEEZZNS1_9scan_implILNS1_25lookback_scan_determinismE0ELb1ELb1ES3_N6thrust23THRUST_200600_302600_NS6detail15normal_iteratorINS9_10device_ptrItEEEESE_tNS9_4plusIvEEtEEDaPvRmT3_T4_T5_mT6_P12ihipStream_tbENKUlT_T0_E_clISt17integral_constantIbLb1EEST_IbLb0EEEEDaSP_SQ_EUlSP_E_NS1_11comp_targetILNS1_3genE3ELNS1_11target_archE908ELNS1_3gpuE7ELNS1_3repE0EEENS1_30default_config_static_selectorELNS0_4arch9wavefront6targetE1EEEvT1_
; %bb.0:
	.section	.rodata,"a",@progbits
	.p2align	6, 0x0
	.amdhsa_kernel _ZN7rocprim17ROCPRIM_400000_NS6detail17trampoline_kernelINS0_14default_configENS1_20scan_config_selectorItEEZZNS1_9scan_implILNS1_25lookback_scan_determinismE0ELb1ELb1ES3_N6thrust23THRUST_200600_302600_NS6detail15normal_iteratorINS9_10device_ptrItEEEESE_tNS9_4plusIvEEtEEDaPvRmT3_T4_T5_mT6_P12ihipStream_tbENKUlT_T0_E_clISt17integral_constantIbLb1EEST_IbLb0EEEEDaSP_SQ_EUlSP_E_NS1_11comp_targetILNS1_3genE3ELNS1_11target_archE908ELNS1_3gpuE7ELNS1_3repE0EEENS1_30default_config_static_selectorELNS0_4arch9wavefront6targetE1EEEvT1_
		.amdhsa_group_segment_fixed_size 0
		.amdhsa_private_segment_fixed_size 0
		.amdhsa_kernarg_size 96
		.amdhsa_user_sgpr_count 6
		.amdhsa_user_sgpr_private_segment_buffer 1
		.amdhsa_user_sgpr_dispatch_ptr 0
		.amdhsa_user_sgpr_queue_ptr 0
		.amdhsa_user_sgpr_kernarg_segment_ptr 1
		.amdhsa_user_sgpr_dispatch_id 0
		.amdhsa_user_sgpr_flat_scratch_init 0
		.amdhsa_user_sgpr_kernarg_preload_length 0
		.amdhsa_user_sgpr_kernarg_preload_offset 0
		.amdhsa_user_sgpr_private_segment_size 0
		.amdhsa_uses_dynamic_stack 0
		.amdhsa_system_sgpr_private_segment_wavefront_offset 0
		.amdhsa_system_sgpr_workgroup_id_x 1
		.amdhsa_system_sgpr_workgroup_id_y 0
		.amdhsa_system_sgpr_workgroup_id_z 0
		.amdhsa_system_sgpr_workgroup_info 0
		.amdhsa_system_vgpr_workitem_id 0
		.amdhsa_next_free_vgpr 1
		.amdhsa_next_free_sgpr 0
		.amdhsa_accum_offset 4
		.amdhsa_reserve_vcc 0
		.amdhsa_reserve_flat_scratch 0
		.amdhsa_float_round_mode_32 0
		.amdhsa_float_round_mode_16_64 0
		.amdhsa_float_denorm_mode_32 3
		.amdhsa_float_denorm_mode_16_64 3
		.amdhsa_dx10_clamp 1
		.amdhsa_ieee_mode 1
		.amdhsa_fp16_overflow 0
		.amdhsa_tg_split 0
		.amdhsa_exception_fp_ieee_invalid_op 0
		.amdhsa_exception_fp_denorm_src 0
		.amdhsa_exception_fp_ieee_div_zero 0
		.amdhsa_exception_fp_ieee_overflow 0
		.amdhsa_exception_fp_ieee_underflow 0
		.amdhsa_exception_fp_ieee_inexact 0
		.amdhsa_exception_int_div_zero 0
	.end_amdhsa_kernel
	.section	.text._ZN7rocprim17ROCPRIM_400000_NS6detail17trampoline_kernelINS0_14default_configENS1_20scan_config_selectorItEEZZNS1_9scan_implILNS1_25lookback_scan_determinismE0ELb1ELb1ES3_N6thrust23THRUST_200600_302600_NS6detail15normal_iteratorINS9_10device_ptrItEEEESE_tNS9_4plusIvEEtEEDaPvRmT3_T4_T5_mT6_P12ihipStream_tbENKUlT_T0_E_clISt17integral_constantIbLb1EEST_IbLb0EEEEDaSP_SQ_EUlSP_E_NS1_11comp_targetILNS1_3genE3ELNS1_11target_archE908ELNS1_3gpuE7ELNS1_3repE0EEENS1_30default_config_static_selectorELNS0_4arch9wavefront6targetE1EEEvT1_,"axG",@progbits,_ZN7rocprim17ROCPRIM_400000_NS6detail17trampoline_kernelINS0_14default_configENS1_20scan_config_selectorItEEZZNS1_9scan_implILNS1_25lookback_scan_determinismE0ELb1ELb1ES3_N6thrust23THRUST_200600_302600_NS6detail15normal_iteratorINS9_10device_ptrItEEEESE_tNS9_4plusIvEEtEEDaPvRmT3_T4_T5_mT6_P12ihipStream_tbENKUlT_T0_E_clISt17integral_constantIbLb1EEST_IbLb0EEEEDaSP_SQ_EUlSP_E_NS1_11comp_targetILNS1_3genE3ELNS1_11target_archE908ELNS1_3gpuE7ELNS1_3repE0EEENS1_30default_config_static_selectorELNS0_4arch9wavefront6targetE1EEEvT1_,comdat
.Lfunc_end4829:
	.size	_ZN7rocprim17ROCPRIM_400000_NS6detail17trampoline_kernelINS0_14default_configENS1_20scan_config_selectorItEEZZNS1_9scan_implILNS1_25lookback_scan_determinismE0ELb1ELb1ES3_N6thrust23THRUST_200600_302600_NS6detail15normal_iteratorINS9_10device_ptrItEEEESE_tNS9_4plusIvEEtEEDaPvRmT3_T4_T5_mT6_P12ihipStream_tbENKUlT_T0_E_clISt17integral_constantIbLb1EEST_IbLb0EEEEDaSP_SQ_EUlSP_E_NS1_11comp_targetILNS1_3genE3ELNS1_11target_archE908ELNS1_3gpuE7ELNS1_3repE0EEENS1_30default_config_static_selectorELNS0_4arch9wavefront6targetE1EEEvT1_, .Lfunc_end4829-_ZN7rocprim17ROCPRIM_400000_NS6detail17trampoline_kernelINS0_14default_configENS1_20scan_config_selectorItEEZZNS1_9scan_implILNS1_25lookback_scan_determinismE0ELb1ELb1ES3_N6thrust23THRUST_200600_302600_NS6detail15normal_iteratorINS9_10device_ptrItEEEESE_tNS9_4plusIvEEtEEDaPvRmT3_T4_T5_mT6_P12ihipStream_tbENKUlT_T0_E_clISt17integral_constantIbLb1EEST_IbLb0EEEEDaSP_SQ_EUlSP_E_NS1_11comp_targetILNS1_3genE3ELNS1_11target_archE908ELNS1_3gpuE7ELNS1_3repE0EEENS1_30default_config_static_selectorELNS0_4arch9wavefront6targetE1EEEvT1_
                                        ; -- End function
	.section	.AMDGPU.csdata,"",@progbits
; Kernel info:
; codeLenInByte = 0
; NumSgprs: 4
; NumVgprs: 0
; NumAgprs: 0
; TotalNumVgprs: 0
; ScratchSize: 0
; MemoryBound: 0
; FloatMode: 240
; IeeeMode: 1
; LDSByteSize: 0 bytes/workgroup (compile time only)
; SGPRBlocks: 0
; VGPRBlocks: 0
; NumSGPRsForWavesPerEU: 4
; NumVGPRsForWavesPerEU: 1
; AccumOffset: 4
; Occupancy: 8
; WaveLimiterHint : 0
; COMPUTE_PGM_RSRC2:SCRATCH_EN: 0
; COMPUTE_PGM_RSRC2:USER_SGPR: 6
; COMPUTE_PGM_RSRC2:TRAP_HANDLER: 0
; COMPUTE_PGM_RSRC2:TGID_X_EN: 1
; COMPUTE_PGM_RSRC2:TGID_Y_EN: 0
; COMPUTE_PGM_RSRC2:TGID_Z_EN: 0
; COMPUTE_PGM_RSRC2:TIDIG_COMP_CNT: 0
; COMPUTE_PGM_RSRC3_GFX90A:ACCUM_OFFSET: 0
; COMPUTE_PGM_RSRC3_GFX90A:TG_SPLIT: 0
	.section	.text._ZN7rocprim17ROCPRIM_400000_NS6detail17trampoline_kernelINS0_14default_configENS1_20scan_config_selectorItEEZZNS1_9scan_implILNS1_25lookback_scan_determinismE0ELb1ELb1ES3_N6thrust23THRUST_200600_302600_NS6detail15normal_iteratorINS9_10device_ptrItEEEESE_tNS9_4plusIvEEtEEDaPvRmT3_T4_T5_mT6_P12ihipStream_tbENKUlT_T0_E_clISt17integral_constantIbLb1EEST_IbLb0EEEEDaSP_SQ_EUlSP_E_NS1_11comp_targetILNS1_3genE2ELNS1_11target_archE906ELNS1_3gpuE6ELNS1_3repE0EEENS1_30default_config_static_selectorELNS0_4arch9wavefront6targetE1EEEvT1_,"axG",@progbits,_ZN7rocprim17ROCPRIM_400000_NS6detail17trampoline_kernelINS0_14default_configENS1_20scan_config_selectorItEEZZNS1_9scan_implILNS1_25lookback_scan_determinismE0ELb1ELb1ES3_N6thrust23THRUST_200600_302600_NS6detail15normal_iteratorINS9_10device_ptrItEEEESE_tNS9_4plusIvEEtEEDaPvRmT3_T4_T5_mT6_P12ihipStream_tbENKUlT_T0_E_clISt17integral_constantIbLb1EEST_IbLb0EEEEDaSP_SQ_EUlSP_E_NS1_11comp_targetILNS1_3genE2ELNS1_11target_archE906ELNS1_3gpuE6ELNS1_3repE0EEENS1_30default_config_static_selectorELNS0_4arch9wavefront6targetE1EEEvT1_,comdat
	.protected	_ZN7rocprim17ROCPRIM_400000_NS6detail17trampoline_kernelINS0_14default_configENS1_20scan_config_selectorItEEZZNS1_9scan_implILNS1_25lookback_scan_determinismE0ELb1ELb1ES3_N6thrust23THRUST_200600_302600_NS6detail15normal_iteratorINS9_10device_ptrItEEEESE_tNS9_4plusIvEEtEEDaPvRmT3_T4_T5_mT6_P12ihipStream_tbENKUlT_T0_E_clISt17integral_constantIbLb1EEST_IbLb0EEEEDaSP_SQ_EUlSP_E_NS1_11comp_targetILNS1_3genE2ELNS1_11target_archE906ELNS1_3gpuE6ELNS1_3repE0EEENS1_30default_config_static_selectorELNS0_4arch9wavefront6targetE1EEEvT1_ ; -- Begin function _ZN7rocprim17ROCPRIM_400000_NS6detail17trampoline_kernelINS0_14default_configENS1_20scan_config_selectorItEEZZNS1_9scan_implILNS1_25lookback_scan_determinismE0ELb1ELb1ES3_N6thrust23THRUST_200600_302600_NS6detail15normal_iteratorINS9_10device_ptrItEEEESE_tNS9_4plusIvEEtEEDaPvRmT3_T4_T5_mT6_P12ihipStream_tbENKUlT_T0_E_clISt17integral_constantIbLb1EEST_IbLb0EEEEDaSP_SQ_EUlSP_E_NS1_11comp_targetILNS1_3genE2ELNS1_11target_archE906ELNS1_3gpuE6ELNS1_3repE0EEENS1_30default_config_static_selectorELNS0_4arch9wavefront6targetE1EEEvT1_
	.globl	_ZN7rocprim17ROCPRIM_400000_NS6detail17trampoline_kernelINS0_14default_configENS1_20scan_config_selectorItEEZZNS1_9scan_implILNS1_25lookback_scan_determinismE0ELb1ELb1ES3_N6thrust23THRUST_200600_302600_NS6detail15normal_iteratorINS9_10device_ptrItEEEESE_tNS9_4plusIvEEtEEDaPvRmT3_T4_T5_mT6_P12ihipStream_tbENKUlT_T0_E_clISt17integral_constantIbLb1EEST_IbLb0EEEEDaSP_SQ_EUlSP_E_NS1_11comp_targetILNS1_3genE2ELNS1_11target_archE906ELNS1_3gpuE6ELNS1_3repE0EEENS1_30default_config_static_selectorELNS0_4arch9wavefront6targetE1EEEvT1_
	.p2align	8
	.type	_ZN7rocprim17ROCPRIM_400000_NS6detail17trampoline_kernelINS0_14default_configENS1_20scan_config_selectorItEEZZNS1_9scan_implILNS1_25lookback_scan_determinismE0ELb1ELb1ES3_N6thrust23THRUST_200600_302600_NS6detail15normal_iteratorINS9_10device_ptrItEEEESE_tNS9_4plusIvEEtEEDaPvRmT3_T4_T5_mT6_P12ihipStream_tbENKUlT_T0_E_clISt17integral_constantIbLb1EEST_IbLb0EEEEDaSP_SQ_EUlSP_E_NS1_11comp_targetILNS1_3genE2ELNS1_11target_archE906ELNS1_3gpuE6ELNS1_3repE0EEENS1_30default_config_static_selectorELNS0_4arch9wavefront6targetE1EEEvT1_,@function
_ZN7rocprim17ROCPRIM_400000_NS6detail17trampoline_kernelINS0_14default_configENS1_20scan_config_selectorItEEZZNS1_9scan_implILNS1_25lookback_scan_determinismE0ELb1ELb1ES3_N6thrust23THRUST_200600_302600_NS6detail15normal_iteratorINS9_10device_ptrItEEEESE_tNS9_4plusIvEEtEEDaPvRmT3_T4_T5_mT6_P12ihipStream_tbENKUlT_T0_E_clISt17integral_constantIbLb1EEST_IbLb0EEEEDaSP_SQ_EUlSP_E_NS1_11comp_targetILNS1_3genE2ELNS1_11target_archE906ELNS1_3gpuE6ELNS1_3repE0EEENS1_30default_config_static_selectorELNS0_4arch9wavefront6targetE1EEEvT1_: ; @_ZN7rocprim17ROCPRIM_400000_NS6detail17trampoline_kernelINS0_14default_configENS1_20scan_config_selectorItEEZZNS1_9scan_implILNS1_25lookback_scan_determinismE0ELb1ELb1ES3_N6thrust23THRUST_200600_302600_NS6detail15normal_iteratorINS9_10device_ptrItEEEESE_tNS9_4plusIvEEtEEDaPvRmT3_T4_T5_mT6_P12ihipStream_tbENKUlT_T0_E_clISt17integral_constantIbLb1EEST_IbLb0EEEEDaSP_SQ_EUlSP_E_NS1_11comp_targetILNS1_3genE2ELNS1_11target_archE906ELNS1_3gpuE6ELNS1_3repE0EEENS1_30default_config_static_selectorELNS0_4arch9wavefront6targetE1EEEvT1_
; %bb.0:
	.section	.rodata,"a",@progbits
	.p2align	6, 0x0
	.amdhsa_kernel _ZN7rocprim17ROCPRIM_400000_NS6detail17trampoline_kernelINS0_14default_configENS1_20scan_config_selectorItEEZZNS1_9scan_implILNS1_25lookback_scan_determinismE0ELb1ELb1ES3_N6thrust23THRUST_200600_302600_NS6detail15normal_iteratorINS9_10device_ptrItEEEESE_tNS9_4plusIvEEtEEDaPvRmT3_T4_T5_mT6_P12ihipStream_tbENKUlT_T0_E_clISt17integral_constantIbLb1EEST_IbLb0EEEEDaSP_SQ_EUlSP_E_NS1_11comp_targetILNS1_3genE2ELNS1_11target_archE906ELNS1_3gpuE6ELNS1_3repE0EEENS1_30default_config_static_selectorELNS0_4arch9wavefront6targetE1EEEvT1_
		.amdhsa_group_segment_fixed_size 0
		.amdhsa_private_segment_fixed_size 0
		.amdhsa_kernarg_size 96
		.amdhsa_user_sgpr_count 6
		.amdhsa_user_sgpr_private_segment_buffer 1
		.amdhsa_user_sgpr_dispatch_ptr 0
		.amdhsa_user_sgpr_queue_ptr 0
		.amdhsa_user_sgpr_kernarg_segment_ptr 1
		.amdhsa_user_sgpr_dispatch_id 0
		.amdhsa_user_sgpr_flat_scratch_init 0
		.amdhsa_user_sgpr_kernarg_preload_length 0
		.amdhsa_user_sgpr_kernarg_preload_offset 0
		.amdhsa_user_sgpr_private_segment_size 0
		.amdhsa_uses_dynamic_stack 0
		.amdhsa_system_sgpr_private_segment_wavefront_offset 0
		.amdhsa_system_sgpr_workgroup_id_x 1
		.amdhsa_system_sgpr_workgroup_id_y 0
		.amdhsa_system_sgpr_workgroup_id_z 0
		.amdhsa_system_sgpr_workgroup_info 0
		.amdhsa_system_vgpr_workitem_id 0
		.amdhsa_next_free_vgpr 1
		.amdhsa_next_free_sgpr 0
		.amdhsa_accum_offset 4
		.amdhsa_reserve_vcc 0
		.amdhsa_reserve_flat_scratch 0
		.amdhsa_float_round_mode_32 0
		.amdhsa_float_round_mode_16_64 0
		.amdhsa_float_denorm_mode_32 3
		.amdhsa_float_denorm_mode_16_64 3
		.amdhsa_dx10_clamp 1
		.amdhsa_ieee_mode 1
		.amdhsa_fp16_overflow 0
		.amdhsa_tg_split 0
		.amdhsa_exception_fp_ieee_invalid_op 0
		.amdhsa_exception_fp_denorm_src 0
		.amdhsa_exception_fp_ieee_div_zero 0
		.amdhsa_exception_fp_ieee_overflow 0
		.amdhsa_exception_fp_ieee_underflow 0
		.amdhsa_exception_fp_ieee_inexact 0
		.amdhsa_exception_int_div_zero 0
	.end_amdhsa_kernel
	.section	.text._ZN7rocprim17ROCPRIM_400000_NS6detail17trampoline_kernelINS0_14default_configENS1_20scan_config_selectorItEEZZNS1_9scan_implILNS1_25lookback_scan_determinismE0ELb1ELb1ES3_N6thrust23THRUST_200600_302600_NS6detail15normal_iteratorINS9_10device_ptrItEEEESE_tNS9_4plusIvEEtEEDaPvRmT3_T4_T5_mT6_P12ihipStream_tbENKUlT_T0_E_clISt17integral_constantIbLb1EEST_IbLb0EEEEDaSP_SQ_EUlSP_E_NS1_11comp_targetILNS1_3genE2ELNS1_11target_archE906ELNS1_3gpuE6ELNS1_3repE0EEENS1_30default_config_static_selectorELNS0_4arch9wavefront6targetE1EEEvT1_,"axG",@progbits,_ZN7rocprim17ROCPRIM_400000_NS6detail17trampoline_kernelINS0_14default_configENS1_20scan_config_selectorItEEZZNS1_9scan_implILNS1_25lookback_scan_determinismE0ELb1ELb1ES3_N6thrust23THRUST_200600_302600_NS6detail15normal_iteratorINS9_10device_ptrItEEEESE_tNS9_4plusIvEEtEEDaPvRmT3_T4_T5_mT6_P12ihipStream_tbENKUlT_T0_E_clISt17integral_constantIbLb1EEST_IbLb0EEEEDaSP_SQ_EUlSP_E_NS1_11comp_targetILNS1_3genE2ELNS1_11target_archE906ELNS1_3gpuE6ELNS1_3repE0EEENS1_30default_config_static_selectorELNS0_4arch9wavefront6targetE1EEEvT1_,comdat
.Lfunc_end4830:
	.size	_ZN7rocprim17ROCPRIM_400000_NS6detail17trampoline_kernelINS0_14default_configENS1_20scan_config_selectorItEEZZNS1_9scan_implILNS1_25lookback_scan_determinismE0ELb1ELb1ES3_N6thrust23THRUST_200600_302600_NS6detail15normal_iteratorINS9_10device_ptrItEEEESE_tNS9_4plusIvEEtEEDaPvRmT3_T4_T5_mT6_P12ihipStream_tbENKUlT_T0_E_clISt17integral_constantIbLb1EEST_IbLb0EEEEDaSP_SQ_EUlSP_E_NS1_11comp_targetILNS1_3genE2ELNS1_11target_archE906ELNS1_3gpuE6ELNS1_3repE0EEENS1_30default_config_static_selectorELNS0_4arch9wavefront6targetE1EEEvT1_, .Lfunc_end4830-_ZN7rocprim17ROCPRIM_400000_NS6detail17trampoline_kernelINS0_14default_configENS1_20scan_config_selectorItEEZZNS1_9scan_implILNS1_25lookback_scan_determinismE0ELb1ELb1ES3_N6thrust23THRUST_200600_302600_NS6detail15normal_iteratorINS9_10device_ptrItEEEESE_tNS9_4plusIvEEtEEDaPvRmT3_T4_T5_mT6_P12ihipStream_tbENKUlT_T0_E_clISt17integral_constantIbLb1EEST_IbLb0EEEEDaSP_SQ_EUlSP_E_NS1_11comp_targetILNS1_3genE2ELNS1_11target_archE906ELNS1_3gpuE6ELNS1_3repE0EEENS1_30default_config_static_selectorELNS0_4arch9wavefront6targetE1EEEvT1_
                                        ; -- End function
	.section	.AMDGPU.csdata,"",@progbits
; Kernel info:
; codeLenInByte = 0
; NumSgprs: 4
; NumVgprs: 0
; NumAgprs: 0
; TotalNumVgprs: 0
; ScratchSize: 0
; MemoryBound: 0
; FloatMode: 240
; IeeeMode: 1
; LDSByteSize: 0 bytes/workgroup (compile time only)
; SGPRBlocks: 0
; VGPRBlocks: 0
; NumSGPRsForWavesPerEU: 4
; NumVGPRsForWavesPerEU: 1
; AccumOffset: 4
; Occupancy: 8
; WaveLimiterHint : 0
; COMPUTE_PGM_RSRC2:SCRATCH_EN: 0
; COMPUTE_PGM_RSRC2:USER_SGPR: 6
; COMPUTE_PGM_RSRC2:TRAP_HANDLER: 0
; COMPUTE_PGM_RSRC2:TGID_X_EN: 1
; COMPUTE_PGM_RSRC2:TGID_Y_EN: 0
; COMPUTE_PGM_RSRC2:TGID_Z_EN: 0
; COMPUTE_PGM_RSRC2:TIDIG_COMP_CNT: 0
; COMPUTE_PGM_RSRC3_GFX90A:ACCUM_OFFSET: 0
; COMPUTE_PGM_RSRC3_GFX90A:TG_SPLIT: 0
	.section	.text._ZN7rocprim17ROCPRIM_400000_NS6detail17trampoline_kernelINS0_14default_configENS1_20scan_config_selectorItEEZZNS1_9scan_implILNS1_25lookback_scan_determinismE0ELb1ELb1ES3_N6thrust23THRUST_200600_302600_NS6detail15normal_iteratorINS9_10device_ptrItEEEESE_tNS9_4plusIvEEtEEDaPvRmT3_T4_T5_mT6_P12ihipStream_tbENKUlT_T0_E_clISt17integral_constantIbLb1EEST_IbLb0EEEEDaSP_SQ_EUlSP_E_NS1_11comp_targetILNS1_3genE10ELNS1_11target_archE1201ELNS1_3gpuE5ELNS1_3repE0EEENS1_30default_config_static_selectorELNS0_4arch9wavefront6targetE1EEEvT1_,"axG",@progbits,_ZN7rocprim17ROCPRIM_400000_NS6detail17trampoline_kernelINS0_14default_configENS1_20scan_config_selectorItEEZZNS1_9scan_implILNS1_25lookback_scan_determinismE0ELb1ELb1ES3_N6thrust23THRUST_200600_302600_NS6detail15normal_iteratorINS9_10device_ptrItEEEESE_tNS9_4plusIvEEtEEDaPvRmT3_T4_T5_mT6_P12ihipStream_tbENKUlT_T0_E_clISt17integral_constantIbLb1EEST_IbLb0EEEEDaSP_SQ_EUlSP_E_NS1_11comp_targetILNS1_3genE10ELNS1_11target_archE1201ELNS1_3gpuE5ELNS1_3repE0EEENS1_30default_config_static_selectorELNS0_4arch9wavefront6targetE1EEEvT1_,comdat
	.protected	_ZN7rocprim17ROCPRIM_400000_NS6detail17trampoline_kernelINS0_14default_configENS1_20scan_config_selectorItEEZZNS1_9scan_implILNS1_25lookback_scan_determinismE0ELb1ELb1ES3_N6thrust23THRUST_200600_302600_NS6detail15normal_iteratorINS9_10device_ptrItEEEESE_tNS9_4plusIvEEtEEDaPvRmT3_T4_T5_mT6_P12ihipStream_tbENKUlT_T0_E_clISt17integral_constantIbLb1EEST_IbLb0EEEEDaSP_SQ_EUlSP_E_NS1_11comp_targetILNS1_3genE10ELNS1_11target_archE1201ELNS1_3gpuE5ELNS1_3repE0EEENS1_30default_config_static_selectorELNS0_4arch9wavefront6targetE1EEEvT1_ ; -- Begin function _ZN7rocprim17ROCPRIM_400000_NS6detail17trampoline_kernelINS0_14default_configENS1_20scan_config_selectorItEEZZNS1_9scan_implILNS1_25lookback_scan_determinismE0ELb1ELb1ES3_N6thrust23THRUST_200600_302600_NS6detail15normal_iteratorINS9_10device_ptrItEEEESE_tNS9_4plusIvEEtEEDaPvRmT3_T4_T5_mT6_P12ihipStream_tbENKUlT_T0_E_clISt17integral_constantIbLb1EEST_IbLb0EEEEDaSP_SQ_EUlSP_E_NS1_11comp_targetILNS1_3genE10ELNS1_11target_archE1201ELNS1_3gpuE5ELNS1_3repE0EEENS1_30default_config_static_selectorELNS0_4arch9wavefront6targetE1EEEvT1_
	.globl	_ZN7rocprim17ROCPRIM_400000_NS6detail17trampoline_kernelINS0_14default_configENS1_20scan_config_selectorItEEZZNS1_9scan_implILNS1_25lookback_scan_determinismE0ELb1ELb1ES3_N6thrust23THRUST_200600_302600_NS6detail15normal_iteratorINS9_10device_ptrItEEEESE_tNS9_4plusIvEEtEEDaPvRmT3_T4_T5_mT6_P12ihipStream_tbENKUlT_T0_E_clISt17integral_constantIbLb1EEST_IbLb0EEEEDaSP_SQ_EUlSP_E_NS1_11comp_targetILNS1_3genE10ELNS1_11target_archE1201ELNS1_3gpuE5ELNS1_3repE0EEENS1_30default_config_static_selectorELNS0_4arch9wavefront6targetE1EEEvT1_
	.p2align	8
	.type	_ZN7rocprim17ROCPRIM_400000_NS6detail17trampoline_kernelINS0_14default_configENS1_20scan_config_selectorItEEZZNS1_9scan_implILNS1_25lookback_scan_determinismE0ELb1ELb1ES3_N6thrust23THRUST_200600_302600_NS6detail15normal_iteratorINS9_10device_ptrItEEEESE_tNS9_4plusIvEEtEEDaPvRmT3_T4_T5_mT6_P12ihipStream_tbENKUlT_T0_E_clISt17integral_constantIbLb1EEST_IbLb0EEEEDaSP_SQ_EUlSP_E_NS1_11comp_targetILNS1_3genE10ELNS1_11target_archE1201ELNS1_3gpuE5ELNS1_3repE0EEENS1_30default_config_static_selectorELNS0_4arch9wavefront6targetE1EEEvT1_,@function
_ZN7rocprim17ROCPRIM_400000_NS6detail17trampoline_kernelINS0_14default_configENS1_20scan_config_selectorItEEZZNS1_9scan_implILNS1_25lookback_scan_determinismE0ELb1ELb1ES3_N6thrust23THRUST_200600_302600_NS6detail15normal_iteratorINS9_10device_ptrItEEEESE_tNS9_4plusIvEEtEEDaPvRmT3_T4_T5_mT6_P12ihipStream_tbENKUlT_T0_E_clISt17integral_constantIbLb1EEST_IbLb0EEEEDaSP_SQ_EUlSP_E_NS1_11comp_targetILNS1_3genE10ELNS1_11target_archE1201ELNS1_3gpuE5ELNS1_3repE0EEENS1_30default_config_static_selectorELNS0_4arch9wavefront6targetE1EEEvT1_: ; @_ZN7rocprim17ROCPRIM_400000_NS6detail17trampoline_kernelINS0_14default_configENS1_20scan_config_selectorItEEZZNS1_9scan_implILNS1_25lookback_scan_determinismE0ELb1ELb1ES3_N6thrust23THRUST_200600_302600_NS6detail15normal_iteratorINS9_10device_ptrItEEEESE_tNS9_4plusIvEEtEEDaPvRmT3_T4_T5_mT6_P12ihipStream_tbENKUlT_T0_E_clISt17integral_constantIbLb1EEST_IbLb0EEEEDaSP_SQ_EUlSP_E_NS1_11comp_targetILNS1_3genE10ELNS1_11target_archE1201ELNS1_3gpuE5ELNS1_3repE0EEENS1_30default_config_static_selectorELNS0_4arch9wavefront6targetE1EEEvT1_
; %bb.0:
	.section	.rodata,"a",@progbits
	.p2align	6, 0x0
	.amdhsa_kernel _ZN7rocprim17ROCPRIM_400000_NS6detail17trampoline_kernelINS0_14default_configENS1_20scan_config_selectorItEEZZNS1_9scan_implILNS1_25lookback_scan_determinismE0ELb1ELb1ES3_N6thrust23THRUST_200600_302600_NS6detail15normal_iteratorINS9_10device_ptrItEEEESE_tNS9_4plusIvEEtEEDaPvRmT3_T4_T5_mT6_P12ihipStream_tbENKUlT_T0_E_clISt17integral_constantIbLb1EEST_IbLb0EEEEDaSP_SQ_EUlSP_E_NS1_11comp_targetILNS1_3genE10ELNS1_11target_archE1201ELNS1_3gpuE5ELNS1_3repE0EEENS1_30default_config_static_selectorELNS0_4arch9wavefront6targetE1EEEvT1_
		.amdhsa_group_segment_fixed_size 0
		.amdhsa_private_segment_fixed_size 0
		.amdhsa_kernarg_size 96
		.amdhsa_user_sgpr_count 6
		.amdhsa_user_sgpr_private_segment_buffer 1
		.amdhsa_user_sgpr_dispatch_ptr 0
		.amdhsa_user_sgpr_queue_ptr 0
		.amdhsa_user_sgpr_kernarg_segment_ptr 1
		.amdhsa_user_sgpr_dispatch_id 0
		.amdhsa_user_sgpr_flat_scratch_init 0
		.amdhsa_user_sgpr_kernarg_preload_length 0
		.amdhsa_user_sgpr_kernarg_preload_offset 0
		.amdhsa_user_sgpr_private_segment_size 0
		.amdhsa_uses_dynamic_stack 0
		.amdhsa_system_sgpr_private_segment_wavefront_offset 0
		.amdhsa_system_sgpr_workgroup_id_x 1
		.amdhsa_system_sgpr_workgroup_id_y 0
		.amdhsa_system_sgpr_workgroup_id_z 0
		.amdhsa_system_sgpr_workgroup_info 0
		.amdhsa_system_vgpr_workitem_id 0
		.amdhsa_next_free_vgpr 1
		.amdhsa_next_free_sgpr 0
		.amdhsa_accum_offset 4
		.amdhsa_reserve_vcc 0
		.amdhsa_reserve_flat_scratch 0
		.amdhsa_float_round_mode_32 0
		.amdhsa_float_round_mode_16_64 0
		.amdhsa_float_denorm_mode_32 3
		.amdhsa_float_denorm_mode_16_64 3
		.amdhsa_dx10_clamp 1
		.amdhsa_ieee_mode 1
		.amdhsa_fp16_overflow 0
		.amdhsa_tg_split 0
		.amdhsa_exception_fp_ieee_invalid_op 0
		.amdhsa_exception_fp_denorm_src 0
		.amdhsa_exception_fp_ieee_div_zero 0
		.amdhsa_exception_fp_ieee_overflow 0
		.amdhsa_exception_fp_ieee_underflow 0
		.amdhsa_exception_fp_ieee_inexact 0
		.amdhsa_exception_int_div_zero 0
	.end_amdhsa_kernel
	.section	.text._ZN7rocprim17ROCPRIM_400000_NS6detail17trampoline_kernelINS0_14default_configENS1_20scan_config_selectorItEEZZNS1_9scan_implILNS1_25lookback_scan_determinismE0ELb1ELb1ES3_N6thrust23THRUST_200600_302600_NS6detail15normal_iteratorINS9_10device_ptrItEEEESE_tNS9_4plusIvEEtEEDaPvRmT3_T4_T5_mT6_P12ihipStream_tbENKUlT_T0_E_clISt17integral_constantIbLb1EEST_IbLb0EEEEDaSP_SQ_EUlSP_E_NS1_11comp_targetILNS1_3genE10ELNS1_11target_archE1201ELNS1_3gpuE5ELNS1_3repE0EEENS1_30default_config_static_selectorELNS0_4arch9wavefront6targetE1EEEvT1_,"axG",@progbits,_ZN7rocprim17ROCPRIM_400000_NS6detail17trampoline_kernelINS0_14default_configENS1_20scan_config_selectorItEEZZNS1_9scan_implILNS1_25lookback_scan_determinismE0ELb1ELb1ES3_N6thrust23THRUST_200600_302600_NS6detail15normal_iteratorINS9_10device_ptrItEEEESE_tNS9_4plusIvEEtEEDaPvRmT3_T4_T5_mT6_P12ihipStream_tbENKUlT_T0_E_clISt17integral_constantIbLb1EEST_IbLb0EEEEDaSP_SQ_EUlSP_E_NS1_11comp_targetILNS1_3genE10ELNS1_11target_archE1201ELNS1_3gpuE5ELNS1_3repE0EEENS1_30default_config_static_selectorELNS0_4arch9wavefront6targetE1EEEvT1_,comdat
.Lfunc_end4831:
	.size	_ZN7rocprim17ROCPRIM_400000_NS6detail17trampoline_kernelINS0_14default_configENS1_20scan_config_selectorItEEZZNS1_9scan_implILNS1_25lookback_scan_determinismE0ELb1ELb1ES3_N6thrust23THRUST_200600_302600_NS6detail15normal_iteratorINS9_10device_ptrItEEEESE_tNS9_4plusIvEEtEEDaPvRmT3_T4_T5_mT6_P12ihipStream_tbENKUlT_T0_E_clISt17integral_constantIbLb1EEST_IbLb0EEEEDaSP_SQ_EUlSP_E_NS1_11comp_targetILNS1_3genE10ELNS1_11target_archE1201ELNS1_3gpuE5ELNS1_3repE0EEENS1_30default_config_static_selectorELNS0_4arch9wavefront6targetE1EEEvT1_, .Lfunc_end4831-_ZN7rocprim17ROCPRIM_400000_NS6detail17trampoline_kernelINS0_14default_configENS1_20scan_config_selectorItEEZZNS1_9scan_implILNS1_25lookback_scan_determinismE0ELb1ELb1ES3_N6thrust23THRUST_200600_302600_NS6detail15normal_iteratorINS9_10device_ptrItEEEESE_tNS9_4plusIvEEtEEDaPvRmT3_T4_T5_mT6_P12ihipStream_tbENKUlT_T0_E_clISt17integral_constantIbLb1EEST_IbLb0EEEEDaSP_SQ_EUlSP_E_NS1_11comp_targetILNS1_3genE10ELNS1_11target_archE1201ELNS1_3gpuE5ELNS1_3repE0EEENS1_30default_config_static_selectorELNS0_4arch9wavefront6targetE1EEEvT1_
                                        ; -- End function
	.section	.AMDGPU.csdata,"",@progbits
; Kernel info:
; codeLenInByte = 0
; NumSgprs: 4
; NumVgprs: 0
; NumAgprs: 0
; TotalNumVgprs: 0
; ScratchSize: 0
; MemoryBound: 0
; FloatMode: 240
; IeeeMode: 1
; LDSByteSize: 0 bytes/workgroup (compile time only)
; SGPRBlocks: 0
; VGPRBlocks: 0
; NumSGPRsForWavesPerEU: 4
; NumVGPRsForWavesPerEU: 1
; AccumOffset: 4
; Occupancy: 8
; WaveLimiterHint : 0
; COMPUTE_PGM_RSRC2:SCRATCH_EN: 0
; COMPUTE_PGM_RSRC2:USER_SGPR: 6
; COMPUTE_PGM_RSRC2:TRAP_HANDLER: 0
; COMPUTE_PGM_RSRC2:TGID_X_EN: 1
; COMPUTE_PGM_RSRC2:TGID_Y_EN: 0
; COMPUTE_PGM_RSRC2:TGID_Z_EN: 0
; COMPUTE_PGM_RSRC2:TIDIG_COMP_CNT: 0
; COMPUTE_PGM_RSRC3_GFX90A:ACCUM_OFFSET: 0
; COMPUTE_PGM_RSRC3_GFX90A:TG_SPLIT: 0
	.section	.text._ZN7rocprim17ROCPRIM_400000_NS6detail17trampoline_kernelINS0_14default_configENS1_20scan_config_selectorItEEZZNS1_9scan_implILNS1_25lookback_scan_determinismE0ELb1ELb1ES3_N6thrust23THRUST_200600_302600_NS6detail15normal_iteratorINS9_10device_ptrItEEEESE_tNS9_4plusIvEEtEEDaPvRmT3_T4_T5_mT6_P12ihipStream_tbENKUlT_T0_E_clISt17integral_constantIbLb1EEST_IbLb0EEEEDaSP_SQ_EUlSP_E_NS1_11comp_targetILNS1_3genE10ELNS1_11target_archE1200ELNS1_3gpuE4ELNS1_3repE0EEENS1_30default_config_static_selectorELNS0_4arch9wavefront6targetE1EEEvT1_,"axG",@progbits,_ZN7rocprim17ROCPRIM_400000_NS6detail17trampoline_kernelINS0_14default_configENS1_20scan_config_selectorItEEZZNS1_9scan_implILNS1_25lookback_scan_determinismE0ELb1ELb1ES3_N6thrust23THRUST_200600_302600_NS6detail15normal_iteratorINS9_10device_ptrItEEEESE_tNS9_4plusIvEEtEEDaPvRmT3_T4_T5_mT6_P12ihipStream_tbENKUlT_T0_E_clISt17integral_constantIbLb1EEST_IbLb0EEEEDaSP_SQ_EUlSP_E_NS1_11comp_targetILNS1_3genE10ELNS1_11target_archE1200ELNS1_3gpuE4ELNS1_3repE0EEENS1_30default_config_static_selectorELNS0_4arch9wavefront6targetE1EEEvT1_,comdat
	.protected	_ZN7rocprim17ROCPRIM_400000_NS6detail17trampoline_kernelINS0_14default_configENS1_20scan_config_selectorItEEZZNS1_9scan_implILNS1_25lookback_scan_determinismE0ELb1ELb1ES3_N6thrust23THRUST_200600_302600_NS6detail15normal_iteratorINS9_10device_ptrItEEEESE_tNS9_4plusIvEEtEEDaPvRmT3_T4_T5_mT6_P12ihipStream_tbENKUlT_T0_E_clISt17integral_constantIbLb1EEST_IbLb0EEEEDaSP_SQ_EUlSP_E_NS1_11comp_targetILNS1_3genE10ELNS1_11target_archE1200ELNS1_3gpuE4ELNS1_3repE0EEENS1_30default_config_static_selectorELNS0_4arch9wavefront6targetE1EEEvT1_ ; -- Begin function _ZN7rocprim17ROCPRIM_400000_NS6detail17trampoline_kernelINS0_14default_configENS1_20scan_config_selectorItEEZZNS1_9scan_implILNS1_25lookback_scan_determinismE0ELb1ELb1ES3_N6thrust23THRUST_200600_302600_NS6detail15normal_iteratorINS9_10device_ptrItEEEESE_tNS9_4plusIvEEtEEDaPvRmT3_T4_T5_mT6_P12ihipStream_tbENKUlT_T0_E_clISt17integral_constantIbLb1EEST_IbLb0EEEEDaSP_SQ_EUlSP_E_NS1_11comp_targetILNS1_3genE10ELNS1_11target_archE1200ELNS1_3gpuE4ELNS1_3repE0EEENS1_30default_config_static_selectorELNS0_4arch9wavefront6targetE1EEEvT1_
	.globl	_ZN7rocprim17ROCPRIM_400000_NS6detail17trampoline_kernelINS0_14default_configENS1_20scan_config_selectorItEEZZNS1_9scan_implILNS1_25lookback_scan_determinismE0ELb1ELb1ES3_N6thrust23THRUST_200600_302600_NS6detail15normal_iteratorINS9_10device_ptrItEEEESE_tNS9_4plusIvEEtEEDaPvRmT3_T4_T5_mT6_P12ihipStream_tbENKUlT_T0_E_clISt17integral_constantIbLb1EEST_IbLb0EEEEDaSP_SQ_EUlSP_E_NS1_11comp_targetILNS1_3genE10ELNS1_11target_archE1200ELNS1_3gpuE4ELNS1_3repE0EEENS1_30default_config_static_selectorELNS0_4arch9wavefront6targetE1EEEvT1_
	.p2align	8
	.type	_ZN7rocprim17ROCPRIM_400000_NS6detail17trampoline_kernelINS0_14default_configENS1_20scan_config_selectorItEEZZNS1_9scan_implILNS1_25lookback_scan_determinismE0ELb1ELb1ES3_N6thrust23THRUST_200600_302600_NS6detail15normal_iteratorINS9_10device_ptrItEEEESE_tNS9_4plusIvEEtEEDaPvRmT3_T4_T5_mT6_P12ihipStream_tbENKUlT_T0_E_clISt17integral_constantIbLb1EEST_IbLb0EEEEDaSP_SQ_EUlSP_E_NS1_11comp_targetILNS1_3genE10ELNS1_11target_archE1200ELNS1_3gpuE4ELNS1_3repE0EEENS1_30default_config_static_selectorELNS0_4arch9wavefront6targetE1EEEvT1_,@function
_ZN7rocprim17ROCPRIM_400000_NS6detail17trampoline_kernelINS0_14default_configENS1_20scan_config_selectorItEEZZNS1_9scan_implILNS1_25lookback_scan_determinismE0ELb1ELb1ES3_N6thrust23THRUST_200600_302600_NS6detail15normal_iteratorINS9_10device_ptrItEEEESE_tNS9_4plusIvEEtEEDaPvRmT3_T4_T5_mT6_P12ihipStream_tbENKUlT_T0_E_clISt17integral_constantIbLb1EEST_IbLb0EEEEDaSP_SQ_EUlSP_E_NS1_11comp_targetILNS1_3genE10ELNS1_11target_archE1200ELNS1_3gpuE4ELNS1_3repE0EEENS1_30default_config_static_selectorELNS0_4arch9wavefront6targetE1EEEvT1_: ; @_ZN7rocprim17ROCPRIM_400000_NS6detail17trampoline_kernelINS0_14default_configENS1_20scan_config_selectorItEEZZNS1_9scan_implILNS1_25lookback_scan_determinismE0ELb1ELb1ES3_N6thrust23THRUST_200600_302600_NS6detail15normal_iteratorINS9_10device_ptrItEEEESE_tNS9_4plusIvEEtEEDaPvRmT3_T4_T5_mT6_P12ihipStream_tbENKUlT_T0_E_clISt17integral_constantIbLb1EEST_IbLb0EEEEDaSP_SQ_EUlSP_E_NS1_11comp_targetILNS1_3genE10ELNS1_11target_archE1200ELNS1_3gpuE4ELNS1_3repE0EEENS1_30default_config_static_selectorELNS0_4arch9wavefront6targetE1EEEvT1_
; %bb.0:
	.section	.rodata,"a",@progbits
	.p2align	6, 0x0
	.amdhsa_kernel _ZN7rocprim17ROCPRIM_400000_NS6detail17trampoline_kernelINS0_14default_configENS1_20scan_config_selectorItEEZZNS1_9scan_implILNS1_25lookback_scan_determinismE0ELb1ELb1ES3_N6thrust23THRUST_200600_302600_NS6detail15normal_iteratorINS9_10device_ptrItEEEESE_tNS9_4plusIvEEtEEDaPvRmT3_T4_T5_mT6_P12ihipStream_tbENKUlT_T0_E_clISt17integral_constantIbLb1EEST_IbLb0EEEEDaSP_SQ_EUlSP_E_NS1_11comp_targetILNS1_3genE10ELNS1_11target_archE1200ELNS1_3gpuE4ELNS1_3repE0EEENS1_30default_config_static_selectorELNS0_4arch9wavefront6targetE1EEEvT1_
		.amdhsa_group_segment_fixed_size 0
		.amdhsa_private_segment_fixed_size 0
		.amdhsa_kernarg_size 96
		.amdhsa_user_sgpr_count 6
		.amdhsa_user_sgpr_private_segment_buffer 1
		.amdhsa_user_sgpr_dispatch_ptr 0
		.amdhsa_user_sgpr_queue_ptr 0
		.amdhsa_user_sgpr_kernarg_segment_ptr 1
		.amdhsa_user_sgpr_dispatch_id 0
		.amdhsa_user_sgpr_flat_scratch_init 0
		.amdhsa_user_sgpr_kernarg_preload_length 0
		.amdhsa_user_sgpr_kernarg_preload_offset 0
		.amdhsa_user_sgpr_private_segment_size 0
		.amdhsa_uses_dynamic_stack 0
		.amdhsa_system_sgpr_private_segment_wavefront_offset 0
		.amdhsa_system_sgpr_workgroup_id_x 1
		.amdhsa_system_sgpr_workgroup_id_y 0
		.amdhsa_system_sgpr_workgroup_id_z 0
		.amdhsa_system_sgpr_workgroup_info 0
		.amdhsa_system_vgpr_workitem_id 0
		.amdhsa_next_free_vgpr 1
		.amdhsa_next_free_sgpr 0
		.amdhsa_accum_offset 4
		.amdhsa_reserve_vcc 0
		.amdhsa_reserve_flat_scratch 0
		.amdhsa_float_round_mode_32 0
		.amdhsa_float_round_mode_16_64 0
		.amdhsa_float_denorm_mode_32 3
		.amdhsa_float_denorm_mode_16_64 3
		.amdhsa_dx10_clamp 1
		.amdhsa_ieee_mode 1
		.amdhsa_fp16_overflow 0
		.amdhsa_tg_split 0
		.amdhsa_exception_fp_ieee_invalid_op 0
		.amdhsa_exception_fp_denorm_src 0
		.amdhsa_exception_fp_ieee_div_zero 0
		.amdhsa_exception_fp_ieee_overflow 0
		.amdhsa_exception_fp_ieee_underflow 0
		.amdhsa_exception_fp_ieee_inexact 0
		.amdhsa_exception_int_div_zero 0
	.end_amdhsa_kernel
	.section	.text._ZN7rocprim17ROCPRIM_400000_NS6detail17trampoline_kernelINS0_14default_configENS1_20scan_config_selectorItEEZZNS1_9scan_implILNS1_25lookback_scan_determinismE0ELb1ELb1ES3_N6thrust23THRUST_200600_302600_NS6detail15normal_iteratorINS9_10device_ptrItEEEESE_tNS9_4plusIvEEtEEDaPvRmT3_T4_T5_mT6_P12ihipStream_tbENKUlT_T0_E_clISt17integral_constantIbLb1EEST_IbLb0EEEEDaSP_SQ_EUlSP_E_NS1_11comp_targetILNS1_3genE10ELNS1_11target_archE1200ELNS1_3gpuE4ELNS1_3repE0EEENS1_30default_config_static_selectorELNS0_4arch9wavefront6targetE1EEEvT1_,"axG",@progbits,_ZN7rocprim17ROCPRIM_400000_NS6detail17trampoline_kernelINS0_14default_configENS1_20scan_config_selectorItEEZZNS1_9scan_implILNS1_25lookback_scan_determinismE0ELb1ELb1ES3_N6thrust23THRUST_200600_302600_NS6detail15normal_iteratorINS9_10device_ptrItEEEESE_tNS9_4plusIvEEtEEDaPvRmT3_T4_T5_mT6_P12ihipStream_tbENKUlT_T0_E_clISt17integral_constantIbLb1EEST_IbLb0EEEEDaSP_SQ_EUlSP_E_NS1_11comp_targetILNS1_3genE10ELNS1_11target_archE1200ELNS1_3gpuE4ELNS1_3repE0EEENS1_30default_config_static_selectorELNS0_4arch9wavefront6targetE1EEEvT1_,comdat
.Lfunc_end4832:
	.size	_ZN7rocprim17ROCPRIM_400000_NS6detail17trampoline_kernelINS0_14default_configENS1_20scan_config_selectorItEEZZNS1_9scan_implILNS1_25lookback_scan_determinismE0ELb1ELb1ES3_N6thrust23THRUST_200600_302600_NS6detail15normal_iteratorINS9_10device_ptrItEEEESE_tNS9_4plusIvEEtEEDaPvRmT3_T4_T5_mT6_P12ihipStream_tbENKUlT_T0_E_clISt17integral_constantIbLb1EEST_IbLb0EEEEDaSP_SQ_EUlSP_E_NS1_11comp_targetILNS1_3genE10ELNS1_11target_archE1200ELNS1_3gpuE4ELNS1_3repE0EEENS1_30default_config_static_selectorELNS0_4arch9wavefront6targetE1EEEvT1_, .Lfunc_end4832-_ZN7rocprim17ROCPRIM_400000_NS6detail17trampoline_kernelINS0_14default_configENS1_20scan_config_selectorItEEZZNS1_9scan_implILNS1_25lookback_scan_determinismE0ELb1ELb1ES3_N6thrust23THRUST_200600_302600_NS6detail15normal_iteratorINS9_10device_ptrItEEEESE_tNS9_4plusIvEEtEEDaPvRmT3_T4_T5_mT6_P12ihipStream_tbENKUlT_T0_E_clISt17integral_constantIbLb1EEST_IbLb0EEEEDaSP_SQ_EUlSP_E_NS1_11comp_targetILNS1_3genE10ELNS1_11target_archE1200ELNS1_3gpuE4ELNS1_3repE0EEENS1_30default_config_static_selectorELNS0_4arch9wavefront6targetE1EEEvT1_
                                        ; -- End function
	.section	.AMDGPU.csdata,"",@progbits
; Kernel info:
; codeLenInByte = 0
; NumSgprs: 4
; NumVgprs: 0
; NumAgprs: 0
; TotalNumVgprs: 0
; ScratchSize: 0
; MemoryBound: 0
; FloatMode: 240
; IeeeMode: 1
; LDSByteSize: 0 bytes/workgroup (compile time only)
; SGPRBlocks: 0
; VGPRBlocks: 0
; NumSGPRsForWavesPerEU: 4
; NumVGPRsForWavesPerEU: 1
; AccumOffset: 4
; Occupancy: 8
; WaveLimiterHint : 0
; COMPUTE_PGM_RSRC2:SCRATCH_EN: 0
; COMPUTE_PGM_RSRC2:USER_SGPR: 6
; COMPUTE_PGM_RSRC2:TRAP_HANDLER: 0
; COMPUTE_PGM_RSRC2:TGID_X_EN: 1
; COMPUTE_PGM_RSRC2:TGID_Y_EN: 0
; COMPUTE_PGM_RSRC2:TGID_Z_EN: 0
; COMPUTE_PGM_RSRC2:TIDIG_COMP_CNT: 0
; COMPUTE_PGM_RSRC3_GFX90A:ACCUM_OFFSET: 0
; COMPUTE_PGM_RSRC3_GFX90A:TG_SPLIT: 0
	.section	.text._ZN7rocprim17ROCPRIM_400000_NS6detail17trampoline_kernelINS0_14default_configENS1_20scan_config_selectorItEEZZNS1_9scan_implILNS1_25lookback_scan_determinismE0ELb1ELb1ES3_N6thrust23THRUST_200600_302600_NS6detail15normal_iteratorINS9_10device_ptrItEEEESE_tNS9_4plusIvEEtEEDaPvRmT3_T4_T5_mT6_P12ihipStream_tbENKUlT_T0_E_clISt17integral_constantIbLb1EEST_IbLb0EEEEDaSP_SQ_EUlSP_E_NS1_11comp_targetILNS1_3genE9ELNS1_11target_archE1100ELNS1_3gpuE3ELNS1_3repE0EEENS1_30default_config_static_selectorELNS0_4arch9wavefront6targetE1EEEvT1_,"axG",@progbits,_ZN7rocprim17ROCPRIM_400000_NS6detail17trampoline_kernelINS0_14default_configENS1_20scan_config_selectorItEEZZNS1_9scan_implILNS1_25lookback_scan_determinismE0ELb1ELb1ES3_N6thrust23THRUST_200600_302600_NS6detail15normal_iteratorINS9_10device_ptrItEEEESE_tNS9_4plusIvEEtEEDaPvRmT3_T4_T5_mT6_P12ihipStream_tbENKUlT_T0_E_clISt17integral_constantIbLb1EEST_IbLb0EEEEDaSP_SQ_EUlSP_E_NS1_11comp_targetILNS1_3genE9ELNS1_11target_archE1100ELNS1_3gpuE3ELNS1_3repE0EEENS1_30default_config_static_selectorELNS0_4arch9wavefront6targetE1EEEvT1_,comdat
	.protected	_ZN7rocprim17ROCPRIM_400000_NS6detail17trampoline_kernelINS0_14default_configENS1_20scan_config_selectorItEEZZNS1_9scan_implILNS1_25lookback_scan_determinismE0ELb1ELb1ES3_N6thrust23THRUST_200600_302600_NS6detail15normal_iteratorINS9_10device_ptrItEEEESE_tNS9_4plusIvEEtEEDaPvRmT3_T4_T5_mT6_P12ihipStream_tbENKUlT_T0_E_clISt17integral_constantIbLb1EEST_IbLb0EEEEDaSP_SQ_EUlSP_E_NS1_11comp_targetILNS1_3genE9ELNS1_11target_archE1100ELNS1_3gpuE3ELNS1_3repE0EEENS1_30default_config_static_selectorELNS0_4arch9wavefront6targetE1EEEvT1_ ; -- Begin function _ZN7rocprim17ROCPRIM_400000_NS6detail17trampoline_kernelINS0_14default_configENS1_20scan_config_selectorItEEZZNS1_9scan_implILNS1_25lookback_scan_determinismE0ELb1ELb1ES3_N6thrust23THRUST_200600_302600_NS6detail15normal_iteratorINS9_10device_ptrItEEEESE_tNS9_4plusIvEEtEEDaPvRmT3_T4_T5_mT6_P12ihipStream_tbENKUlT_T0_E_clISt17integral_constantIbLb1EEST_IbLb0EEEEDaSP_SQ_EUlSP_E_NS1_11comp_targetILNS1_3genE9ELNS1_11target_archE1100ELNS1_3gpuE3ELNS1_3repE0EEENS1_30default_config_static_selectorELNS0_4arch9wavefront6targetE1EEEvT1_
	.globl	_ZN7rocprim17ROCPRIM_400000_NS6detail17trampoline_kernelINS0_14default_configENS1_20scan_config_selectorItEEZZNS1_9scan_implILNS1_25lookback_scan_determinismE0ELb1ELb1ES3_N6thrust23THRUST_200600_302600_NS6detail15normal_iteratorINS9_10device_ptrItEEEESE_tNS9_4plusIvEEtEEDaPvRmT3_T4_T5_mT6_P12ihipStream_tbENKUlT_T0_E_clISt17integral_constantIbLb1EEST_IbLb0EEEEDaSP_SQ_EUlSP_E_NS1_11comp_targetILNS1_3genE9ELNS1_11target_archE1100ELNS1_3gpuE3ELNS1_3repE0EEENS1_30default_config_static_selectorELNS0_4arch9wavefront6targetE1EEEvT1_
	.p2align	8
	.type	_ZN7rocprim17ROCPRIM_400000_NS6detail17trampoline_kernelINS0_14default_configENS1_20scan_config_selectorItEEZZNS1_9scan_implILNS1_25lookback_scan_determinismE0ELb1ELb1ES3_N6thrust23THRUST_200600_302600_NS6detail15normal_iteratorINS9_10device_ptrItEEEESE_tNS9_4plusIvEEtEEDaPvRmT3_T4_T5_mT6_P12ihipStream_tbENKUlT_T0_E_clISt17integral_constantIbLb1EEST_IbLb0EEEEDaSP_SQ_EUlSP_E_NS1_11comp_targetILNS1_3genE9ELNS1_11target_archE1100ELNS1_3gpuE3ELNS1_3repE0EEENS1_30default_config_static_selectorELNS0_4arch9wavefront6targetE1EEEvT1_,@function
_ZN7rocprim17ROCPRIM_400000_NS6detail17trampoline_kernelINS0_14default_configENS1_20scan_config_selectorItEEZZNS1_9scan_implILNS1_25lookback_scan_determinismE0ELb1ELb1ES3_N6thrust23THRUST_200600_302600_NS6detail15normal_iteratorINS9_10device_ptrItEEEESE_tNS9_4plusIvEEtEEDaPvRmT3_T4_T5_mT6_P12ihipStream_tbENKUlT_T0_E_clISt17integral_constantIbLb1EEST_IbLb0EEEEDaSP_SQ_EUlSP_E_NS1_11comp_targetILNS1_3genE9ELNS1_11target_archE1100ELNS1_3gpuE3ELNS1_3repE0EEENS1_30default_config_static_selectorELNS0_4arch9wavefront6targetE1EEEvT1_: ; @_ZN7rocprim17ROCPRIM_400000_NS6detail17trampoline_kernelINS0_14default_configENS1_20scan_config_selectorItEEZZNS1_9scan_implILNS1_25lookback_scan_determinismE0ELb1ELb1ES3_N6thrust23THRUST_200600_302600_NS6detail15normal_iteratorINS9_10device_ptrItEEEESE_tNS9_4plusIvEEtEEDaPvRmT3_T4_T5_mT6_P12ihipStream_tbENKUlT_T0_E_clISt17integral_constantIbLb1EEST_IbLb0EEEEDaSP_SQ_EUlSP_E_NS1_11comp_targetILNS1_3genE9ELNS1_11target_archE1100ELNS1_3gpuE3ELNS1_3repE0EEENS1_30default_config_static_selectorELNS0_4arch9wavefront6targetE1EEEvT1_
; %bb.0:
	.section	.rodata,"a",@progbits
	.p2align	6, 0x0
	.amdhsa_kernel _ZN7rocprim17ROCPRIM_400000_NS6detail17trampoline_kernelINS0_14default_configENS1_20scan_config_selectorItEEZZNS1_9scan_implILNS1_25lookback_scan_determinismE0ELb1ELb1ES3_N6thrust23THRUST_200600_302600_NS6detail15normal_iteratorINS9_10device_ptrItEEEESE_tNS9_4plusIvEEtEEDaPvRmT3_T4_T5_mT6_P12ihipStream_tbENKUlT_T0_E_clISt17integral_constantIbLb1EEST_IbLb0EEEEDaSP_SQ_EUlSP_E_NS1_11comp_targetILNS1_3genE9ELNS1_11target_archE1100ELNS1_3gpuE3ELNS1_3repE0EEENS1_30default_config_static_selectorELNS0_4arch9wavefront6targetE1EEEvT1_
		.amdhsa_group_segment_fixed_size 0
		.amdhsa_private_segment_fixed_size 0
		.amdhsa_kernarg_size 96
		.amdhsa_user_sgpr_count 6
		.amdhsa_user_sgpr_private_segment_buffer 1
		.amdhsa_user_sgpr_dispatch_ptr 0
		.amdhsa_user_sgpr_queue_ptr 0
		.amdhsa_user_sgpr_kernarg_segment_ptr 1
		.amdhsa_user_sgpr_dispatch_id 0
		.amdhsa_user_sgpr_flat_scratch_init 0
		.amdhsa_user_sgpr_kernarg_preload_length 0
		.amdhsa_user_sgpr_kernarg_preload_offset 0
		.amdhsa_user_sgpr_private_segment_size 0
		.amdhsa_uses_dynamic_stack 0
		.amdhsa_system_sgpr_private_segment_wavefront_offset 0
		.amdhsa_system_sgpr_workgroup_id_x 1
		.amdhsa_system_sgpr_workgroup_id_y 0
		.amdhsa_system_sgpr_workgroup_id_z 0
		.amdhsa_system_sgpr_workgroup_info 0
		.amdhsa_system_vgpr_workitem_id 0
		.amdhsa_next_free_vgpr 1
		.amdhsa_next_free_sgpr 0
		.amdhsa_accum_offset 4
		.amdhsa_reserve_vcc 0
		.amdhsa_reserve_flat_scratch 0
		.amdhsa_float_round_mode_32 0
		.amdhsa_float_round_mode_16_64 0
		.amdhsa_float_denorm_mode_32 3
		.amdhsa_float_denorm_mode_16_64 3
		.amdhsa_dx10_clamp 1
		.amdhsa_ieee_mode 1
		.amdhsa_fp16_overflow 0
		.amdhsa_tg_split 0
		.amdhsa_exception_fp_ieee_invalid_op 0
		.amdhsa_exception_fp_denorm_src 0
		.amdhsa_exception_fp_ieee_div_zero 0
		.amdhsa_exception_fp_ieee_overflow 0
		.amdhsa_exception_fp_ieee_underflow 0
		.amdhsa_exception_fp_ieee_inexact 0
		.amdhsa_exception_int_div_zero 0
	.end_amdhsa_kernel
	.section	.text._ZN7rocprim17ROCPRIM_400000_NS6detail17trampoline_kernelINS0_14default_configENS1_20scan_config_selectorItEEZZNS1_9scan_implILNS1_25lookback_scan_determinismE0ELb1ELb1ES3_N6thrust23THRUST_200600_302600_NS6detail15normal_iteratorINS9_10device_ptrItEEEESE_tNS9_4plusIvEEtEEDaPvRmT3_T4_T5_mT6_P12ihipStream_tbENKUlT_T0_E_clISt17integral_constantIbLb1EEST_IbLb0EEEEDaSP_SQ_EUlSP_E_NS1_11comp_targetILNS1_3genE9ELNS1_11target_archE1100ELNS1_3gpuE3ELNS1_3repE0EEENS1_30default_config_static_selectorELNS0_4arch9wavefront6targetE1EEEvT1_,"axG",@progbits,_ZN7rocprim17ROCPRIM_400000_NS6detail17trampoline_kernelINS0_14default_configENS1_20scan_config_selectorItEEZZNS1_9scan_implILNS1_25lookback_scan_determinismE0ELb1ELb1ES3_N6thrust23THRUST_200600_302600_NS6detail15normal_iteratorINS9_10device_ptrItEEEESE_tNS9_4plusIvEEtEEDaPvRmT3_T4_T5_mT6_P12ihipStream_tbENKUlT_T0_E_clISt17integral_constantIbLb1EEST_IbLb0EEEEDaSP_SQ_EUlSP_E_NS1_11comp_targetILNS1_3genE9ELNS1_11target_archE1100ELNS1_3gpuE3ELNS1_3repE0EEENS1_30default_config_static_selectorELNS0_4arch9wavefront6targetE1EEEvT1_,comdat
.Lfunc_end4833:
	.size	_ZN7rocprim17ROCPRIM_400000_NS6detail17trampoline_kernelINS0_14default_configENS1_20scan_config_selectorItEEZZNS1_9scan_implILNS1_25lookback_scan_determinismE0ELb1ELb1ES3_N6thrust23THRUST_200600_302600_NS6detail15normal_iteratorINS9_10device_ptrItEEEESE_tNS9_4plusIvEEtEEDaPvRmT3_T4_T5_mT6_P12ihipStream_tbENKUlT_T0_E_clISt17integral_constantIbLb1EEST_IbLb0EEEEDaSP_SQ_EUlSP_E_NS1_11comp_targetILNS1_3genE9ELNS1_11target_archE1100ELNS1_3gpuE3ELNS1_3repE0EEENS1_30default_config_static_selectorELNS0_4arch9wavefront6targetE1EEEvT1_, .Lfunc_end4833-_ZN7rocprim17ROCPRIM_400000_NS6detail17trampoline_kernelINS0_14default_configENS1_20scan_config_selectorItEEZZNS1_9scan_implILNS1_25lookback_scan_determinismE0ELb1ELb1ES3_N6thrust23THRUST_200600_302600_NS6detail15normal_iteratorINS9_10device_ptrItEEEESE_tNS9_4plusIvEEtEEDaPvRmT3_T4_T5_mT6_P12ihipStream_tbENKUlT_T0_E_clISt17integral_constantIbLb1EEST_IbLb0EEEEDaSP_SQ_EUlSP_E_NS1_11comp_targetILNS1_3genE9ELNS1_11target_archE1100ELNS1_3gpuE3ELNS1_3repE0EEENS1_30default_config_static_selectorELNS0_4arch9wavefront6targetE1EEEvT1_
                                        ; -- End function
	.section	.AMDGPU.csdata,"",@progbits
; Kernel info:
; codeLenInByte = 0
; NumSgprs: 4
; NumVgprs: 0
; NumAgprs: 0
; TotalNumVgprs: 0
; ScratchSize: 0
; MemoryBound: 0
; FloatMode: 240
; IeeeMode: 1
; LDSByteSize: 0 bytes/workgroup (compile time only)
; SGPRBlocks: 0
; VGPRBlocks: 0
; NumSGPRsForWavesPerEU: 4
; NumVGPRsForWavesPerEU: 1
; AccumOffset: 4
; Occupancy: 8
; WaveLimiterHint : 0
; COMPUTE_PGM_RSRC2:SCRATCH_EN: 0
; COMPUTE_PGM_RSRC2:USER_SGPR: 6
; COMPUTE_PGM_RSRC2:TRAP_HANDLER: 0
; COMPUTE_PGM_RSRC2:TGID_X_EN: 1
; COMPUTE_PGM_RSRC2:TGID_Y_EN: 0
; COMPUTE_PGM_RSRC2:TGID_Z_EN: 0
; COMPUTE_PGM_RSRC2:TIDIG_COMP_CNT: 0
; COMPUTE_PGM_RSRC3_GFX90A:ACCUM_OFFSET: 0
; COMPUTE_PGM_RSRC3_GFX90A:TG_SPLIT: 0
	.section	.text._ZN7rocprim17ROCPRIM_400000_NS6detail17trampoline_kernelINS0_14default_configENS1_20scan_config_selectorItEEZZNS1_9scan_implILNS1_25lookback_scan_determinismE0ELb1ELb1ES3_N6thrust23THRUST_200600_302600_NS6detail15normal_iteratorINS9_10device_ptrItEEEESE_tNS9_4plusIvEEtEEDaPvRmT3_T4_T5_mT6_P12ihipStream_tbENKUlT_T0_E_clISt17integral_constantIbLb1EEST_IbLb0EEEEDaSP_SQ_EUlSP_E_NS1_11comp_targetILNS1_3genE8ELNS1_11target_archE1030ELNS1_3gpuE2ELNS1_3repE0EEENS1_30default_config_static_selectorELNS0_4arch9wavefront6targetE1EEEvT1_,"axG",@progbits,_ZN7rocprim17ROCPRIM_400000_NS6detail17trampoline_kernelINS0_14default_configENS1_20scan_config_selectorItEEZZNS1_9scan_implILNS1_25lookback_scan_determinismE0ELb1ELb1ES3_N6thrust23THRUST_200600_302600_NS6detail15normal_iteratorINS9_10device_ptrItEEEESE_tNS9_4plusIvEEtEEDaPvRmT3_T4_T5_mT6_P12ihipStream_tbENKUlT_T0_E_clISt17integral_constantIbLb1EEST_IbLb0EEEEDaSP_SQ_EUlSP_E_NS1_11comp_targetILNS1_3genE8ELNS1_11target_archE1030ELNS1_3gpuE2ELNS1_3repE0EEENS1_30default_config_static_selectorELNS0_4arch9wavefront6targetE1EEEvT1_,comdat
	.protected	_ZN7rocprim17ROCPRIM_400000_NS6detail17trampoline_kernelINS0_14default_configENS1_20scan_config_selectorItEEZZNS1_9scan_implILNS1_25lookback_scan_determinismE0ELb1ELb1ES3_N6thrust23THRUST_200600_302600_NS6detail15normal_iteratorINS9_10device_ptrItEEEESE_tNS9_4plusIvEEtEEDaPvRmT3_T4_T5_mT6_P12ihipStream_tbENKUlT_T0_E_clISt17integral_constantIbLb1EEST_IbLb0EEEEDaSP_SQ_EUlSP_E_NS1_11comp_targetILNS1_3genE8ELNS1_11target_archE1030ELNS1_3gpuE2ELNS1_3repE0EEENS1_30default_config_static_selectorELNS0_4arch9wavefront6targetE1EEEvT1_ ; -- Begin function _ZN7rocprim17ROCPRIM_400000_NS6detail17trampoline_kernelINS0_14default_configENS1_20scan_config_selectorItEEZZNS1_9scan_implILNS1_25lookback_scan_determinismE0ELb1ELb1ES3_N6thrust23THRUST_200600_302600_NS6detail15normal_iteratorINS9_10device_ptrItEEEESE_tNS9_4plusIvEEtEEDaPvRmT3_T4_T5_mT6_P12ihipStream_tbENKUlT_T0_E_clISt17integral_constantIbLb1EEST_IbLb0EEEEDaSP_SQ_EUlSP_E_NS1_11comp_targetILNS1_3genE8ELNS1_11target_archE1030ELNS1_3gpuE2ELNS1_3repE0EEENS1_30default_config_static_selectorELNS0_4arch9wavefront6targetE1EEEvT1_
	.globl	_ZN7rocprim17ROCPRIM_400000_NS6detail17trampoline_kernelINS0_14default_configENS1_20scan_config_selectorItEEZZNS1_9scan_implILNS1_25lookback_scan_determinismE0ELb1ELb1ES3_N6thrust23THRUST_200600_302600_NS6detail15normal_iteratorINS9_10device_ptrItEEEESE_tNS9_4plusIvEEtEEDaPvRmT3_T4_T5_mT6_P12ihipStream_tbENKUlT_T0_E_clISt17integral_constantIbLb1EEST_IbLb0EEEEDaSP_SQ_EUlSP_E_NS1_11comp_targetILNS1_3genE8ELNS1_11target_archE1030ELNS1_3gpuE2ELNS1_3repE0EEENS1_30default_config_static_selectorELNS0_4arch9wavefront6targetE1EEEvT1_
	.p2align	8
	.type	_ZN7rocprim17ROCPRIM_400000_NS6detail17trampoline_kernelINS0_14default_configENS1_20scan_config_selectorItEEZZNS1_9scan_implILNS1_25lookback_scan_determinismE0ELb1ELb1ES3_N6thrust23THRUST_200600_302600_NS6detail15normal_iteratorINS9_10device_ptrItEEEESE_tNS9_4plusIvEEtEEDaPvRmT3_T4_T5_mT6_P12ihipStream_tbENKUlT_T0_E_clISt17integral_constantIbLb1EEST_IbLb0EEEEDaSP_SQ_EUlSP_E_NS1_11comp_targetILNS1_3genE8ELNS1_11target_archE1030ELNS1_3gpuE2ELNS1_3repE0EEENS1_30default_config_static_selectorELNS0_4arch9wavefront6targetE1EEEvT1_,@function
_ZN7rocprim17ROCPRIM_400000_NS6detail17trampoline_kernelINS0_14default_configENS1_20scan_config_selectorItEEZZNS1_9scan_implILNS1_25lookback_scan_determinismE0ELb1ELb1ES3_N6thrust23THRUST_200600_302600_NS6detail15normal_iteratorINS9_10device_ptrItEEEESE_tNS9_4plusIvEEtEEDaPvRmT3_T4_T5_mT6_P12ihipStream_tbENKUlT_T0_E_clISt17integral_constantIbLb1EEST_IbLb0EEEEDaSP_SQ_EUlSP_E_NS1_11comp_targetILNS1_3genE8ELNS1_11target_archE1030ELNS1_3gpuE2ELNS1_3repE0EEENS1_30default_config_static_selectorELNS0_4arch9wavefront6targetE1EEEvT1_: ; @_ZN7rocprim17ROCPRIM_400000_NS6detail17trampoline_kernelINS0_14default_configENS1_20scan_config_selectorItEEZZNS1_9scan_implILNS1_25lookback_scan_determinismE0ELb1ELb1ES3_N6thrust23THRUST_200600_302600_NS6detail15normal_iteratorINS9_10device_ptrItEEEESE_tNS9_4plusIvEEtEEDaPvRmT3_T4_T5_mT6_P12ihipStream_tbENKUlT_T0_E_clISt17integral_constantIbLb1EEST_IbLb0EEEEDaSP_SQ_EUlSP_E_NS1_11comp_targetILNS1_3genE8ELNS1_11target_archE1030ELNS1_3gpuE2ELNS1_3repE0EEENS1_30default_config_static_selectorELNS0_4arch9wavefront6targetE1EEEvT1_
; %bb.0:
	.section	.rodata,"a",@progbits
	.p2align	6, 0x0
	.amdhsa_kernel _ZN7rocprim17ROCPRIM_400000_NS6detail17trampoline_kernelINS0_14default_configENS1_20scan_config_selectorItEEZZNS1_9scan_implILNS1_25lookback_scan_determinismE0ELb1ELb1ES3_N6thrust23THRUST_200600_302600_NS6detail15normal_iteratorINS9_10device_ptrItEEEESE_tNS9_4plusIvEEtEEDaPvRmT3_T4_T5_mT6_P12ihipStream_tbENKUlT_T0_E_clISt17integral_constantIbLb1EEST_IbLb0EEEEDaSP_SQ_EUlSP_E_NS1_11comp_targetILNS1_3genE8ELNS1_11target_archE1030ELNS1_3gpuE2ELNS1_3repE0EEENS1_30default_config_static_selectorELNS0_4arch9wavefront6targetE1EEEvT1_
		.amdhsa_group_segment_fixed_size 0
		.amdhsa_private_segment_fixed_size 0
		.amdhsa_kernarg_size 96
		.amdhsa_user_sgpr_count 6
		.amdhsa_user_sgpr_private_segment_buffer 1
		.amdhsa_user_sgpr_dispatch_ptr 0
		.amdhsa_user_sgpr_queue_ptr 0
		.amdhsa_user_sgpr_kernarg_segment_ptr 1
		.amdhsa_user_sgpr_dispatch_id 0
		.amdhsa_user_sgpr_flat_scratch_init 0
		.amdhsa_user_sgpr_kernarg_preload_length 0
		.amdhsa_user_sgpr_kernarg_preload_offset 0
		.amdhsa_user_sgpr_private_segment_size 0
		.amdhsa_uses_dynamic_stack 0
		.amdhsa_system_sgpr_private_segment_wavefront_offset 0
		.amdhsa_system_sgpr_workgroup_id_x 1
		.amdhsa_system_sgpr_workgroup_id_y 0
		.amdhsa_system_sgpr_workgroup_id_z 0
		.amdhsa_system_sgpr_workgroup_info 0
		.amdhsa_system_vgpr_workitem_id 0
		.amdhsa_next_free_vgpr 1
		.amdhsa_next_free_sgpr 0
		.amdhsa_accum_offset 4
		.amdhsa_reserve_vcc 0
		.amdhsa_reserve_flat_scratch 0
		.amdhsa_float_round_mode_32 0
		.amdhsa_float_round_mode_16_64 0
		.amdhsa_float_denorm_mode_32 3
		.amdhsa_float_denorm_mode_16_64 3
		.amdhsa_dx10_clamp 1
		.amdhsa_ieee_mode 1
		.amdhsa_fp16_overflow 0
		.amdhsa_tg_split 0
		.amdhsa_exception_fp_ieee_invalid_op 0
		.amdhsa_exception_fp_denorm_src 0
		.amdhsa_exception_fp_ieee_div_zero 0
		.amdhsa_exception_fp_ieee_overflow 0
		.amdhsa_exception_fp_ieee_underflow 0
		.amdhsa_exception_fp_ieee_inexact 0
		.amdhsa_exception_int_div_zero 0
	.end_amdhsa_kernel
	.section	.text._ZN7rocprim17ROCPRIM_400000_NS6detail17trampoline_kernelINS0_14default_configENS1_20scan_config_selectorItEEZZNS1_9scan_implILNS1_25lookback_scan_determinismE0ELb1ELb1ES3_N6thrust23THRUST_200600_302600_NS6detail15normal_iteratorINS9_10device_ptrItEEEESE_tNS9_4plusIvEEtEEDaPvRmT3_T4_T5_mT6_P12ihipStream_tbENKUlT_T0_E_clISt17integral_constantIbLb1EEST_IbLb0EEEEDaSP_SQ_EUlSP_E_NS1_11comp_targetILNS1_3genE8ELNS1_11target_archE1030ELNS1_3gpuE2ELNS1_3repE0EEENS1_30default_config_static_selectorELNS0_4arch9wavefront6targetE1EEEvT1_,"axG",@progbits,_ZN7rocprim17ROCPRIM_400000_NS6detail17trampoline_kernelINS0_14default_configENS1_20scan_config_selectorItEEZZNS1_9scan_implILNS1_25lookback_scan_determinismE0ELb1ELb1ES3_N6thrust23THRUST_200600_302600_NS6detail15normal_iteratorINS9_10device_ptrItEEEESE_tNS9_4plusIvEEtEEDaPvRmT3_T4_T5_mT6_P12ihipStream_tbENKUlT_T0_E_clISt17integral_constantIbLb1EEST_IbLb0EEEEDaSP_SQ_EUlSP_E_NS1_11comp_targetILNS1_3genE8ELNS1_11target_archE1030ELNS1_3gpuE2ELNS1_3repE0EEENS1_30default_config_static_selectorELNS0_4arch9wavefront6targetE1EEEvT1_,comdat
.Lfunc_end4834:
	.size	_ZN7rocprim17ROCPRIM_400000_NS6detail17trampoline_kernelINS0_14default_configENS1_20scan_config_selectorItEEZZNS1_9scan_implILNS1_25lookback_scan_determinismE0ELb1ELb1ES3_N6thrust23THRUST_200600_302600_NS6detail15normal_iteratorINS9_10device_ptrItEEEESE_tNS9_4plusIvEEtEEDaPvRmT3_T4_T5_mT6_P12ihipStream_tbENKUlT_T0_E_clISt17integral_constantIbLb1EEST_IbLb0EEEEDaSP_SQ_EUlSP_E_NS1_11comp_targetILNS1_3genE8ELNS1_11target_archE1030ELNS1_3gpuE2ELNS1_3repE0EEENS1_30default_config_static_selectorELNS0_4arch9wavefront6targetE1EEEvT1_, .Lfunc_end4834-_ZN7rocprim17ROCPRIM_400000_NS6detail17trampoline_kernelINS0_14default_configENS1_20scan_config_selectorItEEZZNS1_9scan_implILNS1_25lookback_scan_determinismE0ELb1ELb1ES3_N6thrust23THRUST_200600_302600_NS6detail15normal_iteratorINS9_10device_ptrItEEEESE_tNS9_4plusIvEEtEEDaPvRmT3_T4_T5_mT6_P12ihipStream_tbENKUlT_T0_E_clISt17integral_constantIbLb1EEST_IbLb0EEEEDaSP_SQ_EUlSP_E_NS1_11comp_targetILNS1_3genE8ELNS1_11target_archE1030ELNS1_3gpuE2ELNS1_3repE0EEENS1_30default_config_static_selectorELNS0_4arch9wavefront6targetE1EEEvT1_
                                        ; -- End function
	.section	.AMDGPU.csdata,"",@progbits
; Kernel info:
; codeLenInByte = 0
; NumSgprs: 4
; NumVgprs: 0
; NumAgprs: 0
; TotalNumVgprs: 0
; ScratchSize: 0
; MemoryBound: 0
; FloatMode: 240
; IeeeMode: 1
; LDSByteSize: 0 bytes/workgroup (compile time only)
; SGPRBlocks: 0
; VGPRBlocks: 0
; NumSGPRsForWavesPerEU: 4
; NumVGPRsForWavesPerEU: 1
; AccumOffset: 4
; Occupancy: 8
; WaveLimiterHint : 0
; COMPUTE_PGM_RSRC2:SCRATCH_EN: 0
; COMPUTE_PGM_RSRC2:USER_SGPR: 6
; COMPUTE_PGM_RSRC2:TRAP_HANDLER: 0
; COMPUTE_PGM_RSRC2:TGID_X_EN: 1
; COMPUTE_PGM_RSRC2:TGID_Y_EN: 0
; COMPUTE_PGM_RSRC2:TGID_Z_EN: 0
; COMPUTE_PGM_RSRC2:TIDIG_COMP_CNT: 0
; COMPUTE_PGM_RSRC3_GFX90A:ACCUM_OFFSET: 0
; COMPUTE_PGM_RSRC3_GFX90A:TG_SPLIT: 0
	.section	.text._ZN7rocprim17ROCPRIM_400000_NS6detail17trampoline_kernelINS0_14default_configENS1_20scan_config_selectorItEEZZNS1_9scan_implILNS1_25lookback_scan_determinismE0ELb1ELb1ES3_N6thrust23THRUST_200600_302600_NS6detail15normal_iteratorINS9_10device_ptrItEEEESE_tNS9_4plusIvEEtEEDaPvRmT3_T4_T5_mT6_P12ihipStream_tbENKUlT_T0_E_clISt17integral_constantIbLb1EEST_IbLb0EEEEDaSP_SQ_EUlSP_E0_NS1_11comp_targetILNS1_3genE0ELNS1_11target_archE4294967295ELNS1_3gpuE0ELNS1_3repE0EEENS1_30default_config_static_selectorELNS0_4arch9wavefront6targetE1EEEvT1_,"axG",@progbits,_ZN7rocprim17ROCPRIM_400000_NS6detail17trampoline_kernelINS0_14default_configENS1_20scan_config_selectorItEEZZNS1_9scan_implILNS1_25lookback_scan_determinismE0ELb1ELb1ES3_N6thrust23THRUST_200600_302600_NS6detail15normal_iteratorINS9_10device_ptrItEEEESE_tNS9_4plusIvEEtEEDaPvRmT3_T4_T5_mT6_P12ihipStream_tbENKUlT_T0_E_clISt17integral_constantIbLb1EEST_IbLb0EEEEDaSP_SQ_EUlSP_E0_NS1_11comp_targetILNS1_3genE0ELNS1_11target_archE4294967295ELNS1_3gpuE0ELNS1_3repE0EEENS1_30default_config_static_selectorELNS0_4arch9wavefront6targetE1EEEvT1_,comdat
	.protected	_ZN7rocprim17ROCPRIM_400000_NS6detail17trampoline_kernelINS0_14default_configENS1_20scan_config_selectorItEEZZNS1_9scan_implILNS1_25lookback_scan_determinismE0ELb1ELb1ES3_N6thrust23THRUST_200600_302600_NS6detail15normal_iteratorINS9_10device_ptrItEEEESE_tNS9_4plusIvEEtEEDaPvRmT3_T4_T5_mT6_P12ihipStream_tbENKUlT_T0_E_clISt17integral_constantIbLb1EEST_IbLb0EEEEDaSP_SQ_EUlSP_E0_NS1_11comp_targetILNS1_3genE0ELNS1_11target_archE4294967295ELNS1_3gpuE0ELNS1_3repE0EEENS1_30default_config_static_selectorELNS0_4arch9wavefront6targetE1EEEvT1_ ; -- Begin function _ZN7rocprim17ROCPRIM_400000_NS6detail17trampoline_kernelINS0_14default_configENS1_20scan_config_selectorItEEZZNS1_9scan_implILNS1_25lookback_scan_determinismE0ELb1ELb1ES3_N6thrust23THRUST_200600_302600_NS6detail15normal_iteratorINS9_10device_ptrItEEEESE_tNS9_4plusIvEEtEEDaPvRmT3_T4_T5_mT6_P12ihipStream_tbENKUlT_T0_E_clISt17integral_constantIbLb1EEST_IbLb0EEEEDaSP_SQ_EUlSP_E0_NS1_11comp_targetILNS1_3genE0ELNS1_11target_archE4294967295ELNS1_3gpuE0ELNS1_3repE0EEENS1_30default_config_static_selectorELNS0_4arch9wavefront6targetE1EEEvT1_
	.globl	_ZN7rocprim17ROCPRIM_400000_NS6detail17trampoline_kernelINS0_14default_configENS1_20scan_config_selectorItEEZZNS1_9scan_implILNS1_25lookback_scan_determinismE0ELb1ELb1ES3_N6thrust23THRUST_200600_302600_NS6detail15normal_iteratorINS9_10device_ptrItEEEESE_tNS9_4plusIvEEtEEDaPvRmT3_T4_T5_mT6_P12ihipStream_tbENKUlT_T0_E_clISt17integral_constantIbLb1EEST_IbLb0EEEEDaSP_SQ_EUlSP_E0_NS1_11comp_targetILNS1_3genE0ELNS1_11target_archE4294967295ELNS1_3gpuE0ELNS1_3repE0EEENS1_30default_config_static_selectorELNS0_4arch9wavefront6targetE1EEEvT1_
	.p2align	8
	.type	_ZN7rocprim17ROCPRIM_400000_NS6detail17trampoline_kernelINS0_14default_configENS1_20scan_config_selectorItEEZZNS1_9scan_implILNS1_25lookback_scan_determinismE0ELb1ELb1ES3_N6thrust23THRUST_200600_302600_NS6detail15normal_iteratorINS9_10device_ptrItEEEESE_tNS9_4plusIvEEtEEDaPvRmT3_T4_T5_mT6_P12ihipStream_tbENKUlT_T0_E_clISt17integral_constantIbLb1EEST_IbLb0EEEEDaSP_SQ_EUlSP_E0_NS1_11comp_targetILNS1_3genE0ELNS1_11target_archE4294967295ELNS1_3gpuE0ELNS1_3repE0EEENS1_30default_config_static_selectorELNS0_4arch9wavefront6targetE1EEEvT1_,@function
_ZN7rocprim17ROCPRIM_400000_NS6detail17trampoline_kernelINS0_14default_configENS1_20scan_config_selectorItEEZZNS1_9scan_implILNS1_25lookback_scan_determinismE0ELb1ELb1ES3_N6thrust23THRUST_200600_302600_NS6detail15normal_iteratorINS9_10device_ptrItEEEESE_tNS9_4plusIvEEtEEDaPvRmT3_T4_T5_mT6_P12ihipStream_tbENKUlT_T0_E_clISt17integral_constantIbLb1EEST_IbLb0EEEEDaSP_SQ_EUlSP_E0_NS1_11comp_targetILNS1_3genE0ELNS1_11target_archE4294967295ELNS1_3gpuE0ELNS1_3repE0EEENS1_30default_config_static_selectorELNS0_4arch9wavefront6targetE1EEEvT1_: ; @_ZN7rocprim17ROCPRIM_400000_NS6detail17trampoline_kernelINS0_14default_configENS1_20scan_config_selectorItEEZZNS1_9scan_implILNS1_25lookback_scan_determinismE0ELb1ELb1ES3_N6thrust23THRUST_200600_302600_NS6detail15normal_iteratorINS9_10device_ptrItEEEESE_tNS9_4plusIvEEtEEDaPvRmT3_T4_T5_mT6_P12ihipStream_tbENKUlT_T0_E_clISt17integral_constantIbLb1EEST_IbLb0EEEEDaSP_SQ_EUlSP_E0_NS1_11comp_targetILNS1_3genE0ELNS1_11target_archE4294967295ELNS1_3gpuE0ELNS1_3repE0EEENS1_30default_config_static_selectorELNS0_4arch9wavefront6targetE1EEEvT1_
; %bb.0:
	.section	.rodata,"a",@progbits
	.p2align	6, 0x0
	.amdhsa_kernel _ZN7rocprim17ROCPRIM_400000_NS6detail17trampoline_kernelINS0_14default_configENS1_20scan_config_selectorItEEZZNS1_9scan_implILNS1_25lookback_scan_determinismE0ELb1ELb1ES3_N6thrust23THRUST_200600_302600_NS6detail15normal_iteratorINS9_10device_ptrItEEEESE_tNS9_4plusIvEEtEEDaPvRmT3_T4_T5_mT6_P12ihipStream_tbENKUlT_T0_E_clISt17integral_constantIbLb1EEST_IbLb0EEEEDaSP_SQ_EUlSP_E0_NS1_11comp_targetILNS1_3genE0ELNS1_11target_archE4294967295ELNS1_3gpuE0ELNS1_3repE0EEENS1_30default_config_static_selectorELNS0_4arch9wavefront6targetE1EEEvT1_
		.amdhsa_group_segment_fixed_size 0
		.amdhsa_private_segment_fixed_size 0
		.amdhsa_kernarg_size 32
		.amdhsa_user_sgpr_count 6
		.amdhsa_user_sgpr_private_segment_buffer 1
		.amdhsa_user_sgpr_dispatch_ptr 0
		.amdhsa_user_sgpr_queue_ptr 0
		.amdhsa_user_sgpr_kernarg_segment_ptr 1
		.amdhsa_user_sgpr_dispatch_id 0
		.amdhsa_user_sgpr_flat_scratch_init 0
		.amdhsa_user_sgpr_kernarg_preload_length 0
		.amdhsa_user_sgpr_kernarg_preload_offset 0
		.amdhsa_user_sgpr_private_segment_size 0
		.amdhsa_uses_dynamic_stack 0
		.amdhsa_system_sgpr_private_segment_wavefront_offset 0
		.amdhsa_system_sgpr_workgroup_id_x 1
		.amdhsa_system_sgpr_workgroup_id_y 0
		.amdhsa_system_sgpr_workgroup_id_z 0
		.amdhsa_system_sgpr_workgroup_info 0
		.amdhsa_system_vgpr_workitem_id 0
		.amdhsa_next_free_vgpr 1
		.amdhsa_next_free_sgpr 0
		.amdhsa_accum_offset 4
		.amdhsa_reserve_vcc 0
		.amdhsa_reserve_flat_scratch 0
		.amdhsa_float_round_mode_32 0
		.amdhsa_float_round_mode_16_64 0
		.amdhsa_float_denorm_mode_32 3
		.amdhsa_float_denorm_mode_16_64 3
		.amdhsa_dx10_clamp 1
		.amdhsa_ieee_mode 1
		.amdhsa_fp16_overflow 0
		.amdhsa_tg_split 0
		.amdhsa_exception_fp_ieee_invalid_op 0
		.amdhsa_exception_fp_denorm_src 0
		.amdhsa_exception_fp_ieee_div_zero 0
		.amdhsa_exception_fp_ieee_overflow 0
		.amdhsa_exception_fp_ieee_underflow 0
		.amdhsa_exception_fp_ieee_inexact 0
		.amdhsa_exception_int_div_zero 0
	.end_amdhsa_kernel
	.section	.text._ZN7rocprim17ROCPRIM_400000_NS6detail17trampoline_kernelINS0_14default_configENS1_20scan_config_selectorItEEZZNS1_9scan_implILNS1_25lookback_scan_determinismE0ELb1ELb1ES3_N6thrust23THRUST_200600_302600_NS6detail15normal_iteratorINS9_10device_ptrItEEEESE_tNS9_4plusIvEEtEEDaPvRmT3_T4_T5_mT6_P12ihipStream_tbENKUlT_T0_E_clISt17integral_constantIbLb1EEST_IbLb0EEEEDaSP_SQ_EUlSP_E0_NS1_11comp_targetILNS1_3genE0ELNS1_11target_archE4294967295ELNS1_3gpuE0ELNS1_3repE0EEENS1_30default_config_static_selectorELNS0_4arch9wavefront6targetE1EEEvT1_,"axG",@progbits,_ZN7rocprim17ROCPRIM_400000_NS6detail17trampoline_kernelINS0_14default_configENS1_20scan_config_selectorItEEZZNS1_9scan_implILNS1_25lookback_scan_determinismE0ELb1ELb1ES3_N6thrust23THRUST_200600_302600_NS6detail15normal_iteratorINS9_10device_ptrItEEEESE_tNS9_4plusIvEEtEEDaPvRmT3_T4_T5_mT6_P12ihipStream_tbENKUlT_T0_E_clISt17integral_constantIbLb1EEST_IbLb0EEEEDaSP_SQ_EUlSP_E0_NS1_11comp_targetILNS1_3genE0ELNS1_11target_archE4294967295ELNS1_3gpuE0ELNS1_3repE0EEENS1_30default_config_static_selectorELNS0_4arch9wavefront6targetE1EEEvT1_,comdat
.Lfunc_end4835:
	.size	_ZN7rocprim17ROCPRIM_400000_NS6detail17trampoline_kernelINS0_14default_configENS1_20scan_config_selectorItEEZZNS1_9scan_implILNS1_25lookback_scan_determinismE0ELb1ELb1ES3_N6thrust23THRUST_200600_302600_NS6detail15normal_iteratorINS9_10device_ptrItEEEESE_tNS9_4plusIvEEtEEDaPvRmT3_T4_T5_mT6_P12ihipStream_tbENKUlT_T0_E_clISt17integral_constantIbLb1EEST_IbLb0EEEEDaSP_SQ_EUlSP_E0_NS1_11comp_targetILNS1_3genE0ELNS1_11target_archE4294967295ELNS1_3gpuE0ELNS1_3repE0EEENS1_30default_config_static_selectorELNS0_4arch9wavefront6targetE1EEEvT1_, .Lfunc_end4835-_ZN7rocprim17ROCPRIM_400000_NS6detail17trampoline_kernelINS0_14default_configENS1_20scan_config_selectorItEEZZNS1_9scan_implILNS1_25lookback_scan_determinismE0ELb1ELb1ES3_N6thrust23THRUST_200600_302600_NS6detail15normal_iteratorINS9_10device_ptrItEEEESE_tNS9_4plusIvEEtEEDaPvRmT3_T4_T5_mT6_P12ihipStream_tbENKUlT_T0_E_clISt17integral_constantIbLb1EEST_IbLb0EEEEDaSP_SQ_EUlSP_E0_NS1_11comp_targetILNS1_3genE0ELNS1_11target_archE4294967295ELNS1_3gpuE0ELNS1_3repE0EEENS1_30default_config_static_selectorELNS0_4arch9wavefront6targetE1EEEvT1_
                                        ; -- End function
	.section	.AMDGPU.csdata,"",@progbits
; Kernel info:
; codeLenInByte = 0
; NumSgprs: 4
; NumVgprs: 0
; NumAgprs: 0
; TotalNumVgprs: 0
; ScratchSize: 0
; MemoryBound: 0
; FloatMode: 240
; IeeeMode: 1
; LDSByteSize: 0 bytes/workgroup (compile time only)
; SGPRBlocks: 0
; VGPRBlocks: 0
; NumSGPRsForWavesPerEU: 4
; NumVGPRsForWavesPerEU: 1
; AccumOffset: 4
; Occupancy: 8
; WaveLimiterHint : 0
; COMPUTE_PGM_RSRC2:SCRATCH_EN: 0
; COMPUTE_PGM_RSRC2:USER_SGPR: 6
; COMPUTE_PGM_RSRC2:TRAP_HANDLER: 0
; COMPUTE_PGM_RSRC2:TGID_X_EN: 1
; COMPUTE_PGM_RSRC2:TGID_Y_EN: 0
; COMPUTE_PGM_RSRC2:TGID_Z_EN: 0
; COMPUTE_PGM_RSRC2:TIDIG_COMP_CNT: 0
; COMPUTE_PGM_RSRC3_GFX90A:ACCUM_OFFSET: 0
; COMPUTE_PGM_RSRC3_GFX90A:TG_SPLIT: 0
	.section	.text._ZN7rocprim17ROCPRIM_400000_NS6detail17trampoline_kernelINS0_14default_configENS1_20scan_config_selectorItEEZZNS1_9scan_implILNS1_25lookback_scan_determinismE0ELb1ELb1ES3_N6thrust23THRUST_200600_302600_NS6detail15normal_iteratorINS9_10device_ptrItEEEESE_tNS9_4plusIvEEtEEDaPvRmT3_T4_T5_mT6_P12ihipStream_tbENKUlT_T0_E_clISt17integral_constantIbLb1EEST_IbLb0EEEEDaSP_SQ_EUlSP_E0_NS1_11comp_targetILNS1_3genE5ELNS1_11target_archE942ELNS1_3gpuE9ELNS1_3repE0EEENS1_30default_config_static_selectorELNS0_4arch9wavefront6targetE1EEEvT1_,"axG",@progbits,_ZN7rocprim17ROCPRIM_400000_NS6detail17trampoline_kernelINS0_14default_configENS1_20scan_config_selectorItEEZZNS1_9scan_implILNS1_25lookback_scan_determinismE0ELb1ELb1ES3_N6thrust23THRUST_200600_302600_NS6detail15normal_iteratorINS9_10device_ptrItEEEESE_tNS9_4plusIvEEtEEDaPvRmT3_T4_T5_mT6_P12ihipStream_tbENKUlT_T0_E_clISt17integral_constantIbLb1EEST_IbLb0EEEEDaSP_SQ_EUlSP_E0_NS1_11comp_targetILNS1_3genE5ELNS1_11target_archE942ELNS1_3gpuE9ELNS1_3repE0EEENS1_30default_config_static_selectorELNS0_4arch9wavefront6targetE1EEEvT1_,comdat
	.protected	_ZN7rocprim17ROCPRIM_400000_NS6detail17trampoline_kernelINS0_14default_configENS1_20scan_config_selectorItEEZZNS1_9scan_implILNS1_25lookback_scan_determinismE0ELb1ELb1ES3_N6thrust23THRUST_200600_302600_NS6detail15normal_iteratorINS9_10device_ptrItEEEESE_tNS9_4plusIvEEtEEDaPvRmT3_T4_T5_mT6_P12ihipStream_tbENKUlT_T0_E_clISt17integral_constantIbLb1EEST_IbLb0EEEEDaSP_SQ_EUlSP_E0_NS1_11comp_targetILNS1_3genE5ELNS1_11target_archE942ELNS1_3gpuE9ELNS1_3repE0EEENS1_30default_config_static_selectorELNS0_4arch9wavefront6targetE1EEEvT1_ ; -- Begin function _ZN7rocprim17ROCPRIM_400000_NS6detail17trampoline_kernelINS0_14default_configENS1_20scan_config_selectorItEEZZNS1_9scan_implILNS1_25lookback_scan_determinismE0ELb1ELb1ES3_N6thrust23THRUST_200600_302600_NS6detail15normal_iteratorINS9_10device_ptrItEEEESE_tNS9_4plusIvEEtEEDaPvRmT3_T4_T5_mT6_P12ihipStream_tbENKUlT_T0_E_clISt17integral_constantIbLb1EEST_IbLb0EEEEDaSP_SQ_EUlSP_E0_NS1_11comp_targetILNS1_3genE5ELNS1_11target_archE942ELNS1_3gpuE9ELNS1_3repE0EEENS1_30default_config_static_selectorELNS0_4arch9wavefront6targetE1EEEvT1_
	.globl	_ZN7rocprim17ROCPRIM_400000_NS6detail17trampoline_kernelINS0_14default_configENS1_20scan_config_selectorItEEZZNS1_9scan_implILNS1_25lookback_scan_determinismE0ELb1ELb1ES3_N6thrust23THRUST_200600_302600_NS6detail15normal_iteratorINS9_10device_ptrItEEEESE_tNS9_4plusIvEEtEEDaPvRmT3_T4_T5_mT6_P12ihipStream_tbENKUlT_T0_E_clISt17integral_constantIbLb1EEST_IbLb0EEEEDaSP_SQ_EUlSP_E0_NS1_11comp_targetILNS1_3genE5ELNS1_11target_archE942ELNS1_3gpuE9ELNS1_3repE0EEENS1_30default_config_static_selectorELNS0_4arch9wavefront6targetE1EEEvT1_
	.p2align	8
	.type	_ZN7rocprim17ROCPRIM_400000_NS6detail17trampoline_kernelINS0_14default_configENS1_20scan_config_selectorItEEZZNS1_9scan_implILNS1_25lookback_scan_determinismE0ELb1ELb1ES3_N6thrust23THRUST_200600_302600_NS6detail15normal_iteratorINS9_10device_ptrItEEEESE_tNS9_4plusIvEEtEEDaPvRmT3_T4_T5_mT6_P12ihipStream_tbENKUlT_T0_E_clISt17integral_constantIbLb1EEST_IbLb0EEEEDaSP_SQ_EUlSP_E0_NS1_11comp_targetILNS1_3genE5ELNS1_11target_archE942ELNS1_3gpuE9ELNS1_3repE0EEENS1_30default_config_static_selectorELNS0_4arch9wavefront6targetE1EEEvT1_,@function
_ZN7rocprim17ROCPRIM_400000_NS6detail17trampoline_kernelINS0_14default_configENS1_20scan_config_selectorItEEZZNS1_9scan_implILNS1_25lookback_scan_determinismE0ELb1ELb1ES3_N6thrust23THRUST_200600_302600_NS6detail15normal_iteratorINS9_10device_ptrItEEEESE_tNS9_4plusIvEEtEEDaPvRmT3_T4_T5_mT6_P12ihipStream_tbENKUlT_T0_E_clISt17integral_constantIbLb1EEST_IbLb0EEEEDaSP_SQ_EUlSP_E0_NS1_11comp_targetILNS1_3genE5ELNS1_11target_archE942ELNS1_3gpuE9ELNS1_3repE0EEENS1_30default_config_static_selectorELNS0_4arch9wavefront6targetE1EEEvT1_: ; @_ZN7rocprim17ROCPRIM_400000_NS6detail17trampoline_kernelINS0_14default_configENS1_20scan_config_selectorItEEZZNS1_9scan_implILNS1_25lookback_scan_determinismE0ELb1ELb1ES3_N6thrust23THRUST_200600_302600_NS6detail15normal_iteratorINS9_10device_ptrItEEEESE_tNS9_4plusIvEEtEEDaPvRmT3_T4_T5_mT6_P12ihipStream_tbENKUlT_T0_E_clISt17integral_constantIbLb1EEST_IbLb0EEEEDaSP_SQ_EUlSP_E0_NS1_11comp_targetILNS1_3genE5ELNS1_11target_archE942ELNS1_3gpuE9ELNS1_3repE0EEENS1_30default_config_static_selectorELNS0_4arch9wavefront6targetE1EEEvT1_
; %bb.0:
	.section	.rodata,"a",@progbits
	.p2align	6, 0x0
	.amdhsa_kernel _ZN7rocprim17ROCPRIM_400000_NS6detail17trampoline_kernelINS0_14default_configENS1_20scan_config_selectorItEEZZNS1_9scan_implILNS1_25lookback_scan_determinismE0ELb1ELb1ES3_N6thrust23THRUST_200600_302600_NS6detail15normal_iteratorINS9_10device_ptrItEEEESE_tNS9_4plusIvEEtEEDaPvRmT3_T4_T5_mT6_P12ihipStream_tbENKUlT_T0_E_clISt17integral_constantIbLb1EEST_IbLb0EEEEDaSP_SQ_EUlSP_E0_NS1_11comp_targetILNS1_3genE5ELNS1_11target_archE942ELNS1_3gpuE9ELNS1_3repE0EEENS1_30default_config_static_selectorELNS0_4arch9wavefront6targetE1EEEvT1_
		.amdhsa_group_segment_fixed_size 0
		.amdhsa_private_segment_fixed_size 0
		.amdhsa_kernarg_size 32
		.amdhsa_user_sgpr_count 6
		.amdhsa_user_sgpr_private_segment_buffer 1
		.amdhsa_user_sgpr_dispatch_ptr 0
		.amdhsa_user_sgpr_queue_ptr 0
		.amdhsa_user_sgpr_kernarg_segment_ptr 1
		.amdhsa_user_sgpr_dispatch_id 0
		.amdhsa_user_sgpr_flat_scratch_init 0
		.amdhsa_user_sgpr_kernarg_preload_length 0
		.amdhsa_user_sgpr_kernarg_preload_offset 0
		.amdhsa_user_sgpr_private_segment_size 0
		.amdhsa_uses_dynamic_stack 0
		.amdhsa_system_sgpr_private_segment_wavefront_offset 0
		.amdhsa_system_sgpr_workgroup_id_x 1
		.amdhsa_system_sgpr_workgroup_id_y 0
		.amdhsa_system_sgpr_workgroup_id_z 0
		.amdhsa_system_sgpr_workgroup_info 0
		.amdhsa_system_vgpr_workitem_id 0
		.amdhsa_next_free_vgpr 1
		.amdhsa_next_free_sgpr 0
		.amdhsa_accum_offset 4
		.amdhsa_reserve_vcc 0
		.amdhsa_reserve_flat_scratch 0
		.amdhsa_float_round_mode_32 0
		.amdhsa_float_round_mode_16_64 0
		.amdhsa_float_denorm_mode_32 3
		.amdhsa_float_denorm_mode_16_64 3
		.amdhsa_dx10_clamp 1
		.amdhsa_ieee_mode 1
		.amdhsa_fp16_overflow 0
		.amdhsa_tg_split 0
		.amdhsa_exception_fp_ieee_invalid_op 0
		.amdhsa_exception_fp_denorm_src 0
		.amdhsa_exception_fp_ieee_div_zero 0
		.amdhsa_exception_fp_ieee_overflow 0
		.amdhsa_exception_fp_ieee_underflow 0
		.amdhsa_exception_fp_ieee_inexact 0
		.amdhsa_exception_int_div_zero 0
	.end_amdhsa_kernel
	.section	.text._ZN7rocprim17ROCPRIM_400000_NS6detail17trampoline_kernelINS0_14default_configENS1_20scan_config_selectorItEEZZNS1_9scan_implILNS1_25lookback_scan_determinismE0ELb1ELb1ES3_N6thrust23THRUST_200600_302600_NS6detail15normal_iteratorINS9_10device_ptrItEEEESE_tNS9_4plusIvEEtEEDaPvRmT3_T4_T5_mT6_P12ihipStream_tbENKUlT_T0_E_clISt17integral_constantIbLb1EEST_IbLb0EEEEDaSP_SQ_EUlSP_E0_NS1_11comp_targetILNS1_3genE5ELNS1_11target_archE942ELNS1_3gpuE9ELNS1_3repE0EEENS1_30default_config_static_selectorELNS0_4arch9wavefront6targetE1EEEvT1_,"axG",@progbits,_ZN7rocprim17ROCPRIM_400000_NS6detail17trampoline_kernelINS0_14default_configENS1_20scan_config_selectorItEEZZNS1_9scan_implILNS1_25lookback_scan_determinismE0ELb1ELb1ES3_N6thrust23THRUST_200600_302600_NS6detail15normal_iteratorINS9_10device_ptrItEEEESE_tNS9_4plusIvEEtEEDaPvRmT3_T4_T5_mT6_P12ihipStream_tbENKUlT_T0_E_clISt17integral_constantIbLb1EEST_IbLb0EEEEDaSP_SQ_EUlSP_E0_NS1_11comp_targetILNS1_3genE5ELNS1_11target_archE942ELNS1_3gpuE9ELNS1_3repE0EEENS1_30default_config_static_selectorELNS0_4arch9wavefront6targetE1EEEvT1_,comdat
.Lfunc_end4836:
	.size	_ZN7rocprim17ROCPRIM_400000_NS6detail17trampoline_kernelINS0_14default_configENS1_20scan_config_selectorItEEZZNS1_9scan_implILNS1_25lookback_scan_determinismE0ELb1ELb1ES3_N6thrust23THRUST_200600_302600_NS6detail15normal_iteratorINS9_10device_ptrItEEEESE_tNS9_4plusIvEEtEEDaPvRmT3_T4_T5_mT6_P12ihipStream_tbENKUlT_T0_E_clISt17integral_constantIbLb1EEST_IbLb0EEEEDaSP_SQ_EUlSP_E0_NS1_11comp_targetILNS1_3genE5ELNS1_11target_archE942ELNS1_3gpuE9ELNS1_3repE0EEENS1_30default_config_static_selectorELNS0_4arch9wavefront6targetE1EEEvT1_, .Lfunc_end4836-_ZN7rocprim17ROCPRIM_400000_NS6detail17trampoline_kernelINS0_14default_configENS1_20scan_config_selectorItEEZZNS1_9scan_implILNS1_25lookback_scan_determinismE0ELb1ELb1ES3_N6thrust23THRUST_200600_302600_NS6detail15normal_iteratorINS9_10device_ptrItEEEESE_tNS9_4plusIvEEtEEDaPvRmT3_T4_T5_mT6_P12ihipStream_tbENKUlT_T0_E_clISt17integral_constantIbLb1EEST_IbLb0EEEEDaSP_SQ_EUlSP_E0_NS1_11comp_targetILNS1_3genE5ELNS1_11target_archE942ELNS1_3gpuE9ELNS1_3repE0EEENS1_30default_config_static_selectorELNS0_4arch9wavefront6targetE1EEEvT1_
                                        ; -- End function
	.section	.AMDGPU.csdata,"",@progbits
; Kernel info:
; codeLenInByte = 0
; NumSgprs: 4
; NumVgprs: 0
; NumAgprs: 0
; TotalNumVgprs: 0
; ScratchSize: 0
; MemoryBound: 0
; FloatMode: 240
; IeeeMode: 1
; LDSByteSize: 0 bytes/workgroup (compile time only)
; SGPRBlocks: 0
; VGPRBlocks: 0
; NumSGPRsForWavesPerEU: 4
; NumVGPRsForWavesPerEU: 1
; AccumOffset: 4
; Occupancy: 8
; WaveLimiterHint : 0
; COMPUTE_PGM_RSRC2:SCRATCH_EN: 0
; COMPUTE_PGM_RSRC2:USER_SGPR: 6
; COMPUTE_PGM_RSRC2:TRAP_HANDLER: 0
; COMPUTE_PGM_RSRC2:TGID_X_EN: 1
; COMPUTE_PGM_RSRC2:TGID_Y_EN: 0
; COMPUTE_PGM_RSRC2:TGID_Z_EN: 0
; COMPUTE_PGM_RSRC2:TIDIG_COMP_CNT: 0
; COMPUTE_PGM_RSRC3_GFX90A:ACCUM_OFFSET: 0
; COMPUTE_PGM_RSRC3_GFX90A:TG_SPLIT: 0
	.section	.text._ZN7rocprim17ROCPRIM_400000_NS6detail17trampoline_kernelINS0_14default_configENS1_20scan_config_selectorItEEZZNS1_9scan_implILNS1_25lookback_scan_determinismE0ELb1ELb1ES3_N6thrust23THRUST_200600_302600_NS6detail15normal_iteratorINS9_10device_ptrItEEEESE_tNS9_4plusIvEEtEEDaPvRmT3_T4_T5_mT6_P12ihipStream_tbENKUlT_T0_E_clISt17integral_constantIbLb1EEST_IbLb0EEEEDaSP_SQ_EUlSP_E0_NS1_11comp_targetILNS1_3genE4ELNS1_11target_archE910ELNS1_3gpuE8ELNS1_3repE0EEENS1_30default_config_static_selectorELNS0_4arch9wavefront6targetE1EEEvT1_,"axG",@progbits,_ZN7rocprim17ROCPRIM_400000_NS6detail17trampoline_kernelINS0_14default_configENS1_20scan_config_selectorItEEZZNS1_9scan_implILNS1_25lookback_scan_determinismE0ELb1ELb1ES3_N6thrust23THRUST_200600_302600_NS6detail15normal_iteratorINS9_10device_ptrItEEEESE_tNS9_4plusIvEEtEEDaPvRmT3_T4_T5_mT6_P12ihipStream_tbENKUlT_T0_E_clISt17integral_constantIbLb1EEST_IbLb0EEEEDaSP_SQ_EUlSP_E0_NS1_11comp_targetILNS1_3genE4ELNS1_11target_archE910ELNS1_3gpuE8ELNS1_3repE0EEENS1_30default_config_static_selectorELNS0_4arch9wavefront6targetE1EEEvT1_,comdat
	.protected	_ZN7rocprim17ROCPRIM_400000_NS6detail17trampoline_kernelINS0_14default_configENS1_20scan_config_selectorItEEZZNS1_9scan_implILNS1_25lookback_scan_determinismE0ELb1ELb1ES3_N6thrust23THRUST_200600_302600_NS6detail15normal_iteratorINS9_10device_ptrItEEEESE_tNS9_4plusIvEEtEEDaPvRmT3_T4_T5_mT6_P12ihipStream_tbENKUlT_T0_E_clISt17integral_constantIbLb1EEST_IbLb0EEEEDaSP_SQ_EUlSP_E0_NS1_11comp_targetILNS1_3genE4ELNS1_11target_archE910ELNS1_3gpuE8ELNS1_3repE0EEENS1_30default_config_static_selectorELNS0_4arch9wavefront6targetE1EEEvT1_ ; -- Begin function _ZN7rocprim17ROCPRIM_400000_NS6detail17trampoline_kernelINS0_14default_configENS1_20scan_config_selectorItEEZZNS1_9scan_implILNS1_25lookback_scan_determinismE0ELb1ELb1ES3_N6thrust23THRUST_200600_302600_NS6detail15normal_iteratorINS9_10device_ptrItEEEESE_tNS9_4plusIvEEtEEDaPvRmT3_T4_T5_mT6_P12ihipStream_tbENKUlT_T0_E_clISt17integral_constantIbLb1EEST_IbLb0EEEEDaSP_SQ_EUlSP_E0_NS1_11comp_targetILNS1_3genE4ELNS1_11target_archE910ELNS1_3gpuE8ELNS1_3repE0EEENS1_30default_config_static_selectorELNS0_4arch9wavefront6targetE1EEEvT1_
	.globl	_ZN7rocprim17ROCPRIM_400000_NS6detail17trampoline_kernelINS0_14default_configENS1_20scan_config_selectorItEEZZNS1_9scan_implILNS1_25lookback_scan_determinismE0ELb1ELb1ES3_N6thrust23THRUST_200600_302600_NS6detail15normal_iteratorINS9_10device_ptrItEEEESE_tNS9_4plusIvEEtEEDaPvRmT3_T4_T5_mT6_P12ihipStream_tbENKUlT_T0_E_clISt17integral_constantIbLb1EEST_IbLb0EEEEDaSP_SQ_EUlSP_E0_NS1_11comp_targetILNS1_3genE4ELNS1_11target_archE910ELNS1_3gpuE8ELNS1_3repE0EEENS1_30default_config_static_selectorELNS0_4arch9wavefront6targetE1EEEvT1_
	.p2align	8
	.type	_ZN7rocprim17ROCPRIM_400000_NS6detail17trampoline_kernelINS0_14default_configENS1_20scan_config_selectorItEEZZNS1_9scan_implILNS1_25lookback_scan_determinismE0ELb1ELb1ES3_N6thrust23THRUST_200600_302600_NS6detail15normal_iteratorINS9_10device_ptrItEEEESE_tNS9_4plusIvEEtEEDaPvRmT3_T4_T5_mT6_P12ihipStream_tbENKUlT_T0_E_clISt17integral_constantIbLb1EEST_IbLb0EEEEDaSP_SQ_EUlSP_E0_NS1_11comp_targetILNS1_3genE4ELNS1_11target_archE910ELNS1_3gpuE8ELNS1_3repE0EEENS1_30default_config_static_selectorELNS0_4arch9wavefront6targetE1EEEvT1_,@function
_ZN7rocprim17ROCPRIM_400000_NS6detail17trampoline_kernelINS0_14default_configENS1_20scan_config_selectorItEEZZNS1_9scan_implILNS1_25lookback_scan_determinismE0ELb1ELb1ES3_N6thrust23THRUST_200600_302600_NS6detail15normal_iteratorINS9_10device_ptrItEEEESE_tNS9_4plusIvEEtEEDaPvRmT3_T4_T5_mT6_P12ihipStream_tbENKUlT_T0_E_clISt17integral_constantIbLb1EEST_IbLb0EEEEDaSP_SQ_EUlSP_E0_NS1_11comp_targetILNS1_3genE4ELNS1_11target_archE910ELNS1_3gpuE8ELNS1_3repE0EEENS1_30default_config_static_selectorELNS0_4arch9wavefront6targetE1EEEvT1_: ; @_ZN7rocprim17ROCPRIM_400000_NS6detail17trampoline_kernelINS0_14default_configENS1_20scan_config_selectorItEEZZNS1_9scan_implILNS1_25lookback_scan_determinismE0ELb1ELb1ES3_N6thrust23THRUST_200600_302600_NS6detail15normal_iteratorINS9_10device_ptrItEEEESE_tNS9_4plusIvEEtEEDaPvRmT3_T4_T5_mT6_P12ihipStream_tbENKUlT_T0_E_clISt17integral_constantIbLb1EEST_IbLb0EEEEDaSP_SQ_EUlSP_E0_NS1_11comp_targetILNS1_3genE4ELNS1_11target_archE910ELNS1_3gpuE8ELNS1_3repE0EEENS1_30default_config_static_selectorELNS0_4arch9wavefront6targetE1EEEvT1_
; %bb.0:
	s_load_dwordx4 s[52:55], s[4:5], 0x0
	v_mov_b32_e32 v1, 0
	v_lshlrev_b32_e32 v14, 1, v0
	s_waitcnt lgkmcnt(0)
	global_load_ushort v2, v1, s[52:53]
	v_cmp_gt_u32_e32 vcc, s54, v0
	s_waitcnt vmcnt(0)
	v_mov_b32_e32 v3, v2
	s_and_saveexec_b64 s[0:1], vcc
	s_cbranch_execz .LBB4837_2
; %bb.1:
	global_load_ushort v3, v14, s[52:53]
.LBB4837_2:
	s_or_b64 exec, exec, s[0:1]
	v_or_b32_e32 v1, 64, v0
	v_cmp_gt_u32_e64 s[0:1], s54, v1
	v_mov_b32_e32 v4, v2
	s_and_saveexec_b64 s[2:3], s[0:1]
	s_cbranch_execz .LBB4837_4
; %bb.3:
	global_load_ushort v4, v14, s[52:53] offset:128
.LBB4837_4:
	s_or_b64 exec, exec, s[2:3]
	v_or_b32_e32 v1, 0x80, v0
	v_cmp_gt_u32_e64 s[2:3], s54, v1
	v_mov_b32_e32 v5, v2
	s_and_saveexec_b64 s[6:7], s[2:3]
	s_cbranch_execz .LBB4837_6
; %bb.5:
	global_load_ushort v5, v14, s[52:53] offset:256
.LBB4837_6:
	;; [unrolled: 9-line block ×22, first 2 shown]
	s_or_b64 exec, exec, s[46:47]
	v_or_b32_e32 v1, 0x5c0, v0
	v_cmp_gt_u32_e64 s[46:47], s54, v1
	v_cmp_le_u32_e64 s[50:51], s54, v1
	s_and_saveexec_b64 s[54:55], s[50:51]
	s_xor_b64 s[50:51], exec, s[54:55]
; %bb.47:
	v_mov_b32_e32 v1, 0
; %bb.48:
	s_or_saveexec_b64 s[50:51], s[50:51]
	s_load_dword s33, s[4:5], 0x10
	s_load_dwordx2 s[54:55], s[4:5], 0x18
	s_xor_b64 exec, exec, s[50:51]
	s_cbranch_execz .LBB4837_50
; %bb.49:
	global_load_ushort v2, v14, s[52:53] offset:2944
	v_mov_b32_e32 v1, 0
.LBB4837_50:
	s_or_b64 exec, exec, s[50:51]
	s_waitcnt vmcnt(0)
	ds_write_b16 v14, v3
	ds_write_b16 v14, v4 offset:128
	ds_write_b16 v14, v5 offset:256
	;; [unrolled: 1-line block ×23, first 2 shown]
	v_mad_u32_u24 v2, v0, 46, v14
	s_waitcnt lgkmcnt(0)
	; wave barrier
	s_waitcnt lgkmcnt(0)
	ds_read_b128 v[10:13], v2
	ds_read_b128 v[6:9], v2 offset:16
	ds_read_b128 v[2:5], v2 offset:32
	v_mul_u32_u24_e32 v15, 46, v0
	s_waitcnt lgkmcnt(0)
	v_add_u16_sdwa v16, v10, v10 dst_sel:DWORD dst_unused:UNUSED_PAD src0_sel:WORD_1 src1_sel:DWORD
	v_add_u16_e32 v16, v16, v11
	v_add_u16_sdwa v16, v16, v11 dst_sel:DWORD dst_unused:UNUSED_PAD src0_sel:DWORD src1_sel:WORD_1
	v_add_u16_e32 v16, v16, v12
	v_add_u16_sdwa v16, v16, v12 dst_sel:DWORD dst_unused:UNUSED_PAD src0_sel:DWORD src1_sel:WORD_1
	;; [unrolled: 2-line block ×11, first 2 shown]
	v_mbcnt_lo_u32_b32 v16, -1, 0
	v_mbcnt_hi_u32_b32 v16, -1, v16
	v_and_b32_e32 v18, 15, v16
	v_mov_b32_dpp v19, v17 row_shr:1 row_mask:0xf bank_mask:0xf
	v_cmp_ne_u32_e64 s[4:5], 0, v18
	v_cndmask_b32_e64 v19, 0, v19, s[4:5]
	v_add_u16_e32 v17, v19, v17
	v_cmp_lt_u32_e64 s[4:5], 1, v18
	; wave barrier
	s_nop 0
	v_mov_b32_dpp v19, v17 row_shr:2 row_mask:0xf bank_mask:0xf
	v_cndmask_b32_e64 v19, 0, v19, s[4:5]
	v_add_u16_e32 v17, v17, v19
	v_cmp_lt_u32_e64 s[4:5], 3, v18
	s_nop 0
	v_mov_b32_dpp v19, v17 row_shr:4 row_mask:0xf bank_mask:0xf
	v_cndmask_b32_e64 v19, 0, v19, s[4:5]
	v_add_u16_e32 v17, v17, v19
	v_cmp_lt_u32_e64 s[4:5], 7, v18
	s_nop 0
	v_mov_b32_dpp v19, v17 row_shr:8 row_mask:0xf bank_mask:0xf
	v_cndmask_b32_e64 v18, 0, v19, s[4:5]
	v_add_u16_e32 v17, v17, v18
	v_and_b32_e32 v19, 16, v16
	v_cmp_ne_u32_e64 s[4:5], 0, v19
	v_mov_b32_dpp v18, v17 row_bcast:15 row_mask:0xf bank_mask:0xf
	v_cndmask_b32_e64 v18, 0, v18, s[4:5]
	v_add_u16_e32 v17, v17, v18
	v_cmp_lt_u32_e64 s[4:5], 31, v16
	s_nop 0
	v_mov_b32_dpp v18, v17 row_bcast:31 row_mask:0xf bank_mask:0xf
	v_cndmask_b32_e64 v18, 0, v18, s[4:5]
	v_add_u16_e32 v17, v17, v18
	v_cmp_eq_u32_e64 s[4:5], 63, v0
	s_and_saveexec_b64 s[50:51], s[4:5]
	s_cbranch_execz .LBB4837_52
; %bb.51:
	v_mov_b32_e32 v18, 0
	ds_write_b16 v18, v17
.LBB4837_52:
	s_or_b64 exec, exec, s[50:51]
	v_add_u32_e32 v18, -1, v16
	v_and_b32_e32 v19, 64, v16
	v_cmp_lt_i32_e64 s[4:5], v18, v19
	v_cndmask_b32_e64 v18, v18, v16, s[4:5]
	v_add_u16_e32 v17, s33, v17
	v_lshlrev_b32_e32 v18, 2, v18
	ds_bpermute_b32 v17, v18, v17
	v_cmp_eq_u32_e64 s[4:5], 0, v16
	v_cmp_eq_u32_e64 s[50:51], 0, v0
	v_mov_b32_e32 v16, s33
	s_or_b64 s[4:5], s[50:51], s[4:5]
	s_waitcnt lgkmcnt(0)
	v_cndmask_b32_e64 v16, v17, v16, s[4:5]
	v_add_u16_e32 v17, v16, v10
	v_add_u16_sdwa v10, v17, v10 dst_sel:DWORD dst_unused:UNUSED_PAD src0_sel:DWORD src1_sel:WORD_1
	v_add_u16_e32 v18, v10, v11
	v_add_u16_sdwa v11, v18, v11 dst_sel:DWORD dst_unused:UNUSED_PAD src0_sel:DWORD src1_sel:WORD_1
	;; [unrolled: 2-line block ×11, first 2 shown]
	s_mov_b32 s4, 0x5040100
	v_add_u16_e32 v31, v30, v5
	v_add_u32_e32 v15, v14, v15
	v_perm_b32 v2, v17, v16, s4
	v_perm_b32 v3, v18, v10, s4
	;; [unrolled: 1-line block ×4, first 2 shown]
	s_waitcnt lgkmcnt(0)
	; wave barrier
	s_waitcnt lgkmcnt(0)
	s_waitcnt lgkmcnt(0)
	; wave barrier
	ds_write_b128 v15, v[2:5]
	v_perm_b32 v2, v21, v13, s4
	v_perm_b32 v3, v22, v6, s4
	;; [unrolled: 1-line block ×4, first 2 shown]
	ds_write_b128 v15, v[2:5] offset:16
	v_perm_b32 v2, v25, v9, s4
	v_perm_b32 v3, v27, v26, s4
	;; [unrolled: 1-line block ×4, first 2 shown]
	ds_write_b128 v15, v[2:5] offset:32
	s_waitcnt lgkmcnt(0)
	; wave barrier
	s_waitcnt lgkmcnt(0)
	ds_read_u16 v25, v14 offset:128
	ds_read_u16 v24, v14 offset:256
	;; [unrolled: 1-line block ×23, first 2 shown]
	v_lshlrev_b64 v[0:1], 1, v[0:1]
	v_mov_b32_e32 v26, s55
	v_add_co_u32_e64 v0, s[4:5], s54, v0
	v_addc_co_u32_e64 v1, s[4:5], v26, v1, s[4:5]
	s_and_saveexec_b64 s[4:5], vcc
	s_cbranch_execnz .LBB4837_77
; %bb.53:
	s_or_b64 exec, exec, s[4:5]
	s_and_saveexec_b64 s[4:5], s[0:1]
	s_cbranch_execnz .LBB4837_78
.LBB4837_54:
	s_or_b64 exec, exec, s[4:5]
	s_and_saveexec_b64 s[0:1], s[2:3]
	s_cbranch_execnz .LBB4837_79
.LBB4837_55:
	s_or_b64 exec, exec, s[0:1]
	s_and_saveexec_b64 s[0:1], s[48:49]
	s_cbranch_execnz .LBB4837_80
.LBB4837_56:
	s_or_b64 exec, exec, s[0:1]
	s_and_saveexec_b64 s[0:1], s[6:7]
	s_cbranch_execnz .LBB4837_81
.LBB4837_57:
	s_or_b64 exec, exec, s[0:1]
	s_and_saveexec_b64 s[0:1], s[8:9]
	s_cbranch_execnz .LBB4837_82
.LBB4837_58:
	s_or_b64 exec, exec, s[0:1]
	s_and_saveexec_b64 s[0:1], s[10:11]
	s_cbranch_execnz .LBB4837_83
.LBB4837_59:
	s_or_b64 exec, exec, s[0:1]
	s_and_saveexec_b64 s[0:1], s[12:13]
	s_cbranch_execnz .LBB4837_84
.LBB4837_60:
	s_or_b64 exec, exec, s[0:1]
	s_and_saveexec_b64 s[0:1], s[14:15]
	s_cbranch_execnz .LBB4837_85
.LBB4837_61:
	s_or_b64 exec, exec, s[0:1]
	s_and_saveexec_b64 s[0:1], s[16:17]
	s_cbranch_execnz .LBB4837_86
.LBB4837_62:
	s_or_b64 exec, exec, s[0:1]
	s_and_saveexec_b64 s[0:1], s[18:19]
	s_cbranch_execnz .LBB4837_87
.LBB4837_63:
	s_or_b64 exec, exec, s[0:1]
	s_and_saveexec_b64 s[0:1], s[20:21]
	s_cbranch_execnz .LBB4837_88
.LBB4837_64:
	s_or_b64 exec, exec, s[0:1]
	s_and_saveexec_b64 s[0:1], s[22:23]
	s_cbranch_execnz .LBB4837_89
.LBB4837_65:
	s_or_b64 exec, exec, s[0:1]
	s_and_saveexec_b64 s[0:1], s[24:25]
	s_cbranch_execnz .LBB4837_90
.LBB4837_66:
	s_or_b64 exec, exec, s[0:1]
	s_and_saveexec_b64 s[0:1], s[26:27]
	s_cbranch_execnz .LBB4837_91
.LBB4837_67:
	s_or_b64 exec, exec, s[0:1]
	s_and_saveexec_b64 s[0:1], s[28:29]
	s_cbranch_execnz .LBB4837_92
.LBB4837_68:
	s_or_b64 exec, exec, s[0:1]
	s_and_saveexec_b64 s[0:1], s[30:31]
	s_cbranch_execnz .LBB4837_93
.LBB4837_69:
	s_or_b64 exec, exec, s[0:1]
	s_and_saveexec_b64 s[0:1], s[34:35]
	s_cbranch_execnz .LBB4837_94
.LBB4837_70:
	s_or_b64 exec, exec, s[0:1]
	s_and_saveexec_b64 s[0:1], s[36:37]
	s_cbranch_execnz .LBB4837_95
.LBB4837_71:
	s_or_b64 exec, exec, s[0:1]
	s_and_saveexec_b64 s[0:1], s[38:39]
	s_cbranch_execnz .LBB4837_96
.LBB4837_72:
	s_or_b64 exec, exec, s[0:1]
	s_and_saveexec_b64 s[0:1], s[40:41]
	s_cbranch_execnz .LBB4837_97
.LBB4837_73:
	s_or_b64 exec, exec, s[0:1]
	s_and_saveexec_b64 s[0:1], s[42:43]
	s_cbranch_execnz .LBB4837_98
.LBB4837_74:
	s_or_b64 exec, exec, s[0:1]
	s_and_saveexec_b64 s[0:1], s[44:45]
	s_cbranch_execnz .LBB4837_99
.LBB4837_75:
	s_or_b64 exec, exec, s[0:1]
	s_and_saveexec_b64 s[0:1], s[46:47]
	s_cbranch_execnz .LBB4837_100
.LBB4837_76:
	s_endpgm
.LBB4837_77:
	ds_read_u16 v14, v14
	s_waitcnt lgkmcnt(0)
	global_store_short v[0:1], v14, off
	s_or_b64 exec, exec, s[4:5]
	s_and_saveexec_b64 s[4:5], s[0:1]
	s_cbranch_execz .LBB4837_54
.LBB4837_78:
	s_waitcnt lgkmcnt(14)
	global_store_short v[0:1], v25, off offset:128
	s_or_b64 exec, exec, s[4:5]
	s_and_saveexec_b64 s[0:1], s[2:3]
	s_cbranch_execz .LBB4837_55
.LBB4837_79:
	s_waitcnt lgkmcnt(14)
	global_store_short v[0:1], v24, off offset:256
	s_or_b64 exec, exec, s[0:1]
	s_and_saveexec_b64 s[0:1], s[48:49]
	s_cbranch_execz .LBB4837_56
.LBB4837_80:
	s_waitcnt lgkmcnt(14)
	global_store_short v[0:1], v23, off offset:384
	s_or_b64 exec, exec, s[0:1]
	s_and_saveexec_b64 s[0:1], s[6:7]
	s_cbranch_execz .LBB4837_57
.LBB4837_81:
	s_waitcnt lgkmcnt(14)
	global_store_short v[0:1], v22, off offset:512
	s_or_b64 exec, exec, s[0:1]
	s_and_saveexec_b64 s[0:1], s[8:9]
	s_cbranch_execz .LBB4837_58
.LBB4837_82:
	s_waitcnt lgkmcnt(14)
	global_store_short v[0:1], v21, off offset:640
	s_or_b64 exec, exec, s[0:1]
	s_and_saveexec_b64 s[0:1], s[10:11]
	s_cbranch_execz .LBB4837_59
.LBB4837_83:
	s_waitcnt lgkmcnt(14)
	global_store_short v[0:1], v20, off offset:768
	s_or_b64 exec, exec, s[0:1]
	s_and_saveexec_b64 s[0:1], s[12:13]
	s_cbranch_execz .LBB4837_60
.LBB4837_84:
	s_waitcnt lgkmcnt(14)
	global_store_short v[0:1], v19, off offset:896
	s_or_b64 exec, exec, s[0:1]
	s_and_saveexec_b64 s[0:1], s[14:15]
	s_cbranch_execz .LBB4837_61
.LBB4837_85:
	s_waitcnt lgkmcnt(14)
	global_store_short v[0:1], v18, off offset:1024
	s_or_b64 exec, exec, s[0:1]
	s_and_saveexec_b64 s[0:1], s[16:17]
	s_cbranch_execz .LBB4837_62
.LBB4837_86:
	s_waitcnt lgkmcnt(14)
	global_store_short v[0:1], v17, off offset:1152
	s_or_b64 exec, exec, s[0:1]
	s_and_saveexec_b64 s[0:1], s[18:19]
	s_cbranch_execz .LBB4837_63
.LBB4837_87:
	s_waitcnt lgkmcnt(13)
	global_store_short v[0:1], v16, off offset:1280
	s_or_b64 exec, exec, s[0:1]
	s_and_saveexec_b64 s[0:1], s[20:21]
	s_cbranch_execz .LBB4837_64
.LBB4837_88:
	s_waitcnt lgkmcnt(12)
	global_store_short v[0:1], v15, off offset:1408
	s_or_b64 exec, exec, s[0:1]
	s_and_saveexec_b64 s[0:1], s[22:23]
	s_cbranch_execz .LBB4837_65
.LBB4837_89:
	s_waitcnt lgkmcnt(11)
	global_store_short v[0:1], v13, off offset:1536
	s_or_b64 exec, exec, s[0:1]
	s_and_saveexec_b64 s[0:1], s[24:25]
	s_cbranch_execz .LBB4837_66
.LBB4837_90:
	s_waitcnt lgkmcnt(10)
	global_store_short v[0:1], v12, off offset:1664
	s_or_b64 exec, exec, s[0:1]
	s_and_saveexec_b64 s[0:1], s[26:27]
	s_cbranch_execz .LBB4837_67
.LBB4837_91:
	s_waitcnt lgkmcnt(9)
	global_store_short v[0:1], v11, off offset:1792
	s_or_b64 exec, exec, s[0:1]
	s_and_saveexec_b64 s[0:1], s[28:29]
	s_cbranch_execz .LBB4837_68
.LBB4837_92:
	s_waitcnt lgkmcnt(8)
	global_store_short v[0:1], v10, off offset:1920
	s_or_b64 exec, exec, s[0:1]
	s_and_saveexec_b64 s[0:1], s[30:31]
	s_cbranch_execz .LBB4837_69
.LBB4837_93:
	s_waitcnt lgkmcnt(7)
	global_store_short v[0:1], v9, off offset:2048
	s_or_b64 exec, exec, s[0:1]
	s_and_saveexec_b64 s[0:1], s[34:35]
	s_cbranch_execz .LBB4837_70
.LBB4837_94:
	s_waitcnt lgkmcnt(6)
	global_store_short v[0:1], v8, off offset:2176
	s_or_b64 exec, exec, s[0:1]
	s_and_saveexec_b64 s[0:1], s[36:37]
	s_cbranch_execz .LBB4837_71
.LBB4837_95:
	s_waitcnt lgkmcnt(5)
	global_store_short v[0:1], v7, off offset:2304
	s_or_b64 exec, exec, s[0:1]
	s_and_saveexec_b64 s[0:1], s[38:39]
	s_cbranch_execz .LBB4837_72
.LBB4837_96:
	s_waitcnt lgkmcnt(4)
	global_store_short v[0:1], v6, off offset:2432
	s_or_b64 exec, exec, s[0:1]
	s_and_saveexec_b64 s[0:1], s[40:41]
	s_cbranch_execz .LBB4837_73
.LBB4837_97:
	s_waitcnt lgkmcnt(3)
	global_store_short v[0:1], v5, off offset:2560
	s_or_b64 exec, exec, s[0:1]
	s_and_saveexec_b64 s[0:1], s[42:43]
	s_cbranch_execz .LBB4837_74
.LBB4837_98:
	s_waitcnt lgkmcnt(2)
	global_store_short v[0:1], v4, off offset:2688
	s_or_b64 exec, exec, s[0:1]
	s_and_saveexec_b64 s[0:1], s[44:45]
	s_cbranch_execz .LBB4837_75
.LBB4837_99:
	s_waitcnt lgkmcnt(1)
	global_store_short v[0:1], v3, off offset:2816
	s_or_b64 exec, exec, s[0:1]
	s_and_saveexec_b64 s[0:1], s[46:47]
	s_cbranch_execz .LBB4837_76
.LBB4837_100:
	s_waitcnt lgkmcnt(0)
	global_store_short v[0:1], v2, off offset:2944
	s_endpgm
	.section	.rodata,"a",@progbits
	.p2align	6, 0x0
	.amdhsa_kernel _ZN7rocprim17ROCPRIM_400000_NS6detail17trampoline_kernelINS0_14default_configENS1_20scan_config_selectorItEEZZNS1_9scan_implILNS1_25lookback_scan_determinismE0ELb1ELb1ES3_N6thrust23THRUST_200600_302600_NS6detail15normal_iteratorINS9_10device_ptrItEEEESE_tNS9_4plusIvEEtEEDaPvRmT3_T4_T5_mT6_P12ihipStream_tbENKUlT_T0_E_clISt17integral_constantIbLb1EEST_IbLb0EEEEDaSP_SQ_EUlSP_E0_NS1_11comp_targetILNS1_3genE4ELNS1_11target_archE910ELNS1_3gpuE8ELNS1_3repE0EEENS1_30default_config_static_selectorELNS0_4arch9wavefront6targetE1EEEvT1_
		.amdhsa_group_segment_fixed_size 3072
		.amdhsa_private_segment_fixed_size 0
		.amdhsa_kernarg_size 32
		.amdhsa_user_sgpr_count 6
		.amdhsa_user_sgpr_private_segment_buffer 1
		.amdhsa_user_sgpr_dispatch_ptr 0
		.amdhsa_user_sgpr_queue_ptr 0
		.amdhsa_user_sgpr_kernarg_segment_ptr 1
		.amdhsa_user_sgpr_dispatch_id 0
		.amdhsa_user_sgpr_flat_scratch_init 0
		.amdhsa_user_sgpr_kernarg_preload_length 0
		.amdhsa_user_sgpr_kernarg_preload_offset 0
		.amdhsa_user_sgpr_private_segment_size 0
		.amdhsa_uses_dynamic_stack 0
		.amdhsa_system_sgpr_private_segment_wavefront_offset 0
		.amdhsa_system_sgpr_workgroup_id_x 1
		.amdhsa_system_sgpr_workgroup_id_y 0
		.amdhsa_system_sgpr_workgroup_id_z 0
		.amdhsa_system_sgpr_workgroup_info 0
		.amdhsa_system_vgpr_workitem_id 0
		.amdhsa_next_free_vgpr 32
		.amdhsa_next_free_sgpr 56
		.amdhsa_accum_offset 32
		.amdhsa_reserve_vcc 1
		.amdhsa_reserve_flat_scratch 0
		.amdhsa_float_round_mode_32 0
		.amdhsa_float_round_mode_16_64 0
		.amdhsa_float_denorm_mode_32 3
		.amdhsa_float_denorm_mode_16_64 3
		.amdhsa_dx10_clamp 1
		.amdhsa_ieee_mode 1
		.amdhsa_fp16_overflow 0
		.amdhsa_tg_split 0
		.amdhsa_exception_fp_ieee_invalid_op 0
		.amdhsa_exception_fp_denorm_src 0
		.amdhsa_exception_fp_ieee_div_zero 0
		.amdhsa_exception_fp_ieee_overflow 0
		.amdhsa_exception_fp_ieee_underflow 0
		.amdhsa_exception_fp_ieee_inexact 0
		.amdhsa_exception_int_div_zero 0
	.end_amdhsa_kernel
	.section	.text._ZN7rocprim17ROCPRIM_400000_NS6detail17trampoline_kernelINS0_14default_configENS1_20scan_config_selectorItEEZZNS1_9scan_implILNS1_25lookback_scan_determinismE0ELb1ELb1ES3_N6thrust23THRUST_200600_302600_NS6detail15normal_iteratorINS9_10device_ptrItEEEESE_tNS9_4plusIvEEtEEDaPvRmT3_T4_T5_mT6_P12ihipStream_tbENKUlT_T0_E_clISt17integral_constantIbLb1EEST_IbLb0EEEEDaSP_SQ_EUlSP_E0_NS1_11comp_targetILNS1_3genE4ELNS1_11target_archE910ELNS1_3gpuE8ELNS1_3repE0EEENS1_30default_config_static_selectorELNS0_4arch9wavefront6targetE1EEEvT1_,"axG",@progbits,_ZN7rocprim17ROCPRIM_400000_NS6detail17trampoline_kernelINS0_14default_configENS1_20scan_config_selectorItEEZZNS1_9scan_implILNS1_25lookback_scan_determinismE0ELb1ELb1ES3_N6thrust23THRUST_200600_302600_NS6detail15normal_iteratorINS9_10device_ptrItEEEESE_tNS9_4plusIvEEtEEDaPvRmT3_T4_T5_mT6_P12ihipStream_tbENKUlT_T0_E_clISt17integral_constantIbLb1EEST_IbLb0EEEEDaSP_SQ_EUlSP_E0_NS1_11comp_targetILNS1_3genE4ELNS1_11target_archE910ELNS1_3gpuE8ELNS1_3repE0EEENS1_30default_config_static_selectorELNS0_4arch9wavefront6targetE1EEEvT1_,comdat
.Lfunc_end4837:
	.size	_ZN7rocprim17ROCPRIM_400000_NS6detail17trampoline_kernelINS0_14default_configENS1_20scan_config_selectorItEEZZNS1_9scan_implILNS1_25lookback_scan_determinismE0ELb1ELb1ES3_N6thrust23THRUST_200600_302600_NS6detail15normal_iteratorINS9_10device_ptrItEEEESE_tNS9_4plusIvEEtEEDaPvRmT3_T4_T5_mT6_P12ihipStream_tbENKUlT_T0_E_clISt17integral_constantIbLb1EEST_IbLb0EEEEDaSP_SQ_EUlSP_E0_NS1_11comp_targetILNS1_3genE4ELNS1_11target_archE910ELNS1_3gpuE8ELNS1_3repE0EEENS1_30default_config_static_selectorELNS0_4arch9wavefront6targetE1EEEvT1_, .Lfunc_end4837-_ZN7rocprim17ROCPRIM_400000_NS6detail17trampoline_kernelINS0_14default_configENS1_20scan_config_selectorItEEZZNS1_9scan_implILNS1_25lookback_scan_determinismE0ELb1ELb1ES3_N6thrust23THRUST_200600_302600_NS6detail15normal_iteratorINS9_10device_ptrItEEEESE_tNS9_4plusIvEEtEEDaPvRmT3_T4_T5_mT6_P12ihipStream_tbENKUlT_T0_E_clISt17integral_constantIbLb1EEST_IbLb0EEEEDaSP_SQ_EUlSP_E0_NS1_11comp_targetILNS1_3genE4ELNS1_11target_archE910ELNS1_3gpuE8ELNS1_3repE0EEENS1_30default_config_static_selectorELNS0_4arch9wavefront6targetE1EEEvT1_
                                        ; -- End function
	.section	.AMDGPU.csdata,"",@progbits
; Kernel info:
; codeLenInByte = 3080
; NumSgprs: 60
; NumVgprs: 32
; NumAgprs: 0
; TotalNumVgprs: 32
; ScratchSize: 0
; MemoryBound: 0
; FloatMode: 240
; IeeeMode: 1
; LDSByteSize: 3072 bytes/workgroup (compile time only)
; SGPRBlocks: 7
; VGPRBlocks: 3
; NumSGPRsForWavesPerEU: 60
; NumVGPRsForWavesPerEU: 32
; AccumOffset: 32
; Occupancy: 6
; WaveLimiterHint : 0
; COMPUTE_PGM_RSRC2:SCRATCH_EN: 0
; COMPUTE_PGM_RSRC2:USER_SGPR: 6
; COMPUTE_PGM_RSRC2:TRAP_HANDLER: 0
; COMPUTE_PGM_RSRC2:TGID_X_EN: 1
; COMPUTE_PGM_RSRC2:TGID_Y_EN: 0
; COMPUTE_PGM_RSRC2:TGID_Z_EN: 0
; COMPUTE_PGM_RSRC2:TIDIG_COMP_CNT: 0
; COMPUTE_PGM_RSRC3_GFX90A:ACCUM_OFFSET: 7
; COMPUTE_PGM_RSRC3_GFX90A:TG_SPLIT: 0
	.section	.text._ZN7rocprim17ROCPRIM_400000_NS6detail17trampoline_kernelINS0_14default_configENS1_20scan_config_selectorItEEZZNS1_9scan_implILNS1_25lookback_scan_determinismE0ELb1ELb1ES3_N6thrust23THRUST_200600_302600_NS6detail15normal_iteratorINS9_10device_ptrItEEEESE_tNS9_4plusIvEEtEEDaPvRmT3_T4_T5_mT6_P12ihipStream_tbENKUlT_T0_E_clISt17integral_constantIbLb1EEST_IbLb0EEEEDaSP_SQ_EUlSP_E0_NS1_11comp_targetILNS1_3genE3ELNS1_11target_archE908ELNS1_3gpuE7ELNS1_3repE0EEENS1_30default_config_static_selectorELNS0_4arch9wavefront6targetE1EEEvT1_,"axG",@progbits,_ZN7rocprim17ROCPRIM_400000_NS6detail17trampoline_kernelINS0_14default_configENS1_20scan_config_selectorItEEZZNS1_9scan_implILNS1_25lookback_scan_determinismE0ELb1ELb1ES3_N6thrust23THRUST_200600_302600_NS6detail15normal_iteratorINS9_10device_ptrItEEEESE_tNS9_4plusIvEEtEEDaPvRmT3_T4_T5_mT6_P12ihipStream_tbENKUlT_T0_E_clISt17integral_constantIbLb1EEST_IbLb0EEEEDaSP_SQ_EUlSP_E0_NS1_11comp_targetILNS1_3genE3ELNS1_11target_archE908ELNS1_3gpuE7ELNS1_3repE0EEENS1_30default_config_static_selectorELNS0_4arch9wavefront6targetE1EEEvT1_,comdat
	.protected	_ZN7rocprim17ROCPRIM_400000_NS6detail17trampoline_kernelINS0_14default_configENS1_20scan_config_selectorItEEZZNS1_9scan_implILNS1_25lookback_scan_determinismE0ELb1ELb1ES3_N6thrust23THRUST_200600_302600_NS6detail15normal_iteratorINS9_10device_ptrItEEEESE_tNS9_4plusIvEEtEEDaPvRmT3_T4_T5_mT6_P12ihipStream_tbENKUlT_T0_E_clISt17integral_constantIbLb1EEST_IbLb0EEEEDaSP_SQ_EUlSP_E0_NS1_11comp_targetILNS1_3genE3ELNS1_11target_archE908ELNS1_3gpuE7ELNS1_3repE0EEENS1_30default_config_static_selectorELNS0_4arch9wavefront6targetE1EEEvT1_ ; -- Begin function _ZN7rocprim17ROCPRIM_400000_NS6detail17trampoline_kernelINS0_14default_configENS1_20scan_config_selectorItEEZZNS1_9scan_implILNS1_25lookback_scan_determinismE0ELb1ELb1ES3_N6thrust23THRUST_200600_302600_NS6detail15normal_iteratorINS9_10device_ptrItEEEESE_tNS9_4plusIvEEtEEDaPvRmT3_T4_T5_mT6_P12ihipStream_tbENKUlT_T0_E_clISt17integral_constantIbLb1EEST_IbLb0EEEEDaSP_SQ_EUlSP_E0_NS1_11comp_targetILNS1_3genE3ELNS1_11target_archE908ELNS1_3gpuE7ELNS1_3repE0EEENS1_30default_config_static_selectorELNS0_4arch9wavefront6targetE1EEEvT1_
	.globl	_ZN7rocprim17ROCPRIM_400000_NS6detail17trampoline_kernelINS0_14default_configENS1_20scan_config_selectorItEEZZNS1_9scan_implILNS1_25lookback_scan_determinismE0ELb1ELb1ES3_N6thrust23THRUST_200600_302600_NS6detail15normal_iteratorINS9_10device_ptrItEEEESE_tNS9_4plusIvEEtEEDaPvRmT3_T4_T5_mT6_P12ihipStream_tbENKUlT_T0_E_clISt17integral_constantIbLb1EEST_IbLb0EEEEDaSP_SQ_EUlSP_E0_NS1_11comp_targetILNS1_3genE3ELNS1_11target_archE908ELNS1_3gpuE7ELNS1_3repE0EEENS1_30default_config_static_selectorELNS0_4arch9wavefront6targetE1EEEvT1_
	.p2align	8
	.type	_ZN7rocprim17ROCPRIM_400000_NS6detail17trampoline_kernelINS0_14default_configENS1_20scan_config_selectorItEEZZNS1_9scan_implILNS1_25lookback_scan_determinismE0ELb1ELb1ES3_N6thrust23THRUST_200600_302600_NS6detail15normal_iteratorINS9_10device_ptrItEEEESE_tNS9_4plusIvEEtEEDaPvRmT3_T4_T5_mT6_P12ihipStream_tbENKUlT_T0_E_clISt17integral_constantIbLb1EEST_IbLb0EEEEDaSP_SQ_EUlSP_E0_NS1_11comp_targetILNS1_3genE3ELNS1_11target_archE908ELNS1_3gpuE7ELNS1_3repE0EEENS1_30default_config_static_selectorELNS0_4arch9wavefront6targetE1EEEvT1_,@function
_ZN7rocprim17ROCPRIM_400000_NS6detail17trampoline_kernelINS0_14default_configENS1_20scan_config_selectorItEEZZNS1_9scan_implILNS1_25lookback_scan_determinismE0ELb1ELb1ES3_N6thrust23THRUST_200600_302600_NS6detail15normal_iteratorINS9_10device_ptrItEEEESE_tNS9_4plusIvEEtEEDaPvRmT3_T4_T5_mT6_P12ihipStream_tbENKUlT_T0_E_clISt17integral_constantIbLb1EEST_IbLb0EEEEDaSP_SQ_EUlSP_E0_NS1_11comp_targetILNS1_3genE3ELNS1_11target_archE908ELNS1_3gpuE7ELNS1_3repE0EEENS1_30default_config_static_selectorELNS0_4arch9wavefront6targetE1EEEvT1_: ; @_ZN7rocprim17ROCPRIM_400000_NS6detail17trampoline_kernelINS0_14default_configENS1_20scan_config_selectorItEEZZNS1_9scan_implILNS1_25lookback_scan_determinismE0ELb1ELb1ES3_N6thrust23THRUST_200600_302600_NS6detail15normal_iteratorINS9_10device_ptrItEEEESE_tNS9_4plusIvEEtEEDaPvRmT3_T4_T5_mT6_P12ihipStream_tbENKUlT_T0_E_clISt17integral_constantIbLb1EEST_IbLb0EEEEDaSP_SQ_EUlSP_E0_NS1_11comp_targetILNS1_3genE3ELNS1_11target_archE908ELNS1_3gpuE7ELNS1_3repE0EEENS1_30default_config_static_selectorELNS0_4arch9wavefront6targetE1EEEvT1_
; %bb.0:
	.section	.rodata,"a",@progbits
	.p2align	6, 0x0
	.amdhsa_kernel _ZN7rocprim17ROCPRIM_400000_NS6detail17trampoline_kernelINS0_14default_configENS1_20scan_config_selectorItEEZZNS1_9scan_implILNS1_25lookback_scan_determinismE0ELb1ELb1ES3_N6thrust23THRUST_200600_302600_NS6detail15normal_iteratorINS9_10device_ptrItEEEESE_tNS9_4plusIvEEtEEDaPvRmT3_T4_T5_mT6_P12ihipStream_tbENKUlT_T0_E_clISt17integral_constantIbLb1EEST_IbLb0EEEEDaSP_SQ_EUlSP_E0_NS1_11comp_targetILNS1_3genE3ELNS1_11target_archE908ELNS1_3gpuE7ELNS1_3repE0EEENS1_30default_config_static_selectorELNS0_4arch9wavefront6targetE1EEEvT1_
		.amdhsa_group_segment_fixed_size 0
		.amdhsa_private_segment_fixed_size 0
		.amdhsa_kernarg_size 32
		.amdhsa_user_sgpr_count 6
		.amdhsa_user_sgpr_private_segment_buffer 1
		.amdhsa_user_sgpr_dispatch_ptr 0
		.amdhsa_user_sgpr_queue_ptr 0
		.amdhsa_user_sgpr_kernarg_segment_ptr 1
		.amdhsa_user_sgpr_dispatch_id 0
		.amdhsa_user_sgpr_flat_scratch_init 0
		.amdhsa_user_sgpr_kernarg_preload_length 0
		.amdhsa_user_sgpr_kernarg_preload_offset 0
		.amdhsa_user_sgpr_private_segment_size 0
		.amdhsa_uses_dynamic_stack 0
		.amdhsa_system_sgpr_private_segment_wavefront_offset 0
		.amdhsa_system_sgpr_workgroup_id_x 1
		.amdhsa_system_sgpr_workgroup_id_y 0
		.amdhsa_system_sgpr_workgroup_id_z 0
		.amdhsa_system_sgpr_workgroup_info 0
		.amdhsa_system_vgpr_workitem_id 0
		.amdhsa_next_free_vgpr 1
		.amdhsa_next_free_sgpr 0
		.amdhsa_accum_offset 4
		.amdhsa_reserve_vcc 0
		.amdhsa_reserve_flat_scratch 0
		.amdhsa_float_round_mode_32 0
		.amdhsa_float_round_mode_16_64 0
		.amdhsa_float_denorm_mode_32 3
		.amdhsa_float_denorm_mode_16_64 3
		.amdhsa_dx10_clamp 1
		.amdhsa_ieee_mode 1
		.amdhsa_fp16_overflow 0
		.amdhsa_tg_split 0
		.amdhsa_exception_fp_ieee_invalid_op 0
		.amdhsa_exception_fp_denorm_src 0
		.amdhsa_exception_fp_ieee_div_zero 0
		.amdhsa_exception_fp_ieee_overflow 0
		.amdhsa_exception_fp_ieee_underflow 0
		.amdhsa_exception_fp_ieee_inexact 0
		.amdhsa_exception_int_div_zero 0
	.end_amdhsa_kernel
	.section	.text._ZN7rocprim17ROCPRIM_400000_NS6detail17trampoline_kernelINS0_14default_configENS1_20scan_config_selectorItEEZZNS1_9scan_implILNS1_25lookback_scan_determinismE0ELb1ELb1ES3_N6thrust23THRUST_200600_302600_NS6detail15normal_iteratorINS9_10device_ptrItEEEESE_tNS9_4plusIvEEtEEDaPvRmT3_T4_T5_mT6_P12ihipStream_tbENKUlT_T0_E_clISt17integral_constantIbLb1EEST_IbLb0EEEEDaSP_SQ_EUlSP_E0_NS1_11comp_targetILNS1_3genE3ELNS1_11target_archE908ELNS1_3gpuE7ELNS1_3repE0EEENS1_30default_config_static_selectorELNS0_4arch9wavefront6targetE1EEEvT1_,"axG",@progbits,_ZN7rocprim17ROCPRIM_400000_NS6detail17trampoline_kernelINS0_14default_configENS1_20scan_config_selectorItEEZZNS1_9scan_implILNS1_25lookback_scan_determinismE0ELb1ELb1ES3_N6thrust23THRUST_200600_302600_NS6detail15normal_iteratorINS9_10device_ptrItEEEESE_tNS9_4plusIvEEtEEDaPvRmT3_T4_T5_mT6_P12ihipStream_tbENKUlT_T0_E_clISt17integral_constantIbLb1EEST_IbLb0EEEEDaSP_SQ_EUlSP_E0_NS1_11comp_targetILNS1_3genE3ELNS1_11target_archE908ELNS1_3gpuE7ELNS1_3repE0EEENS1_30default_config_static_selectorELNS0_4arch9wavefront6targetE1EEEvT1_,comdat
.Lfunc_end4838:
	.size	_ZN7rocprim17ROCPRIM_400000_NS6detail17trampoline_kernelINS0_14default_configENS1_20scan_config_selectorItEEZZNS1_9scan_implILNS1_25lookback_scan_determinismE0ELb1ELb1ES3_N6thrust23THRUST_200600_302600_NS6detail15normal_iteratorINS9_10device_ptrItEEEESE_tNS9_4plusIvEEtEEDaPvRmT3_T4_T5_mT6_P12ihipStream_tbENKUlT_T0_E_clISt17integral_constantIbLb1EEST_IbLb0EEEEDaSP_SQ_EUlSP_E0_NS1_11comp_targetILNS1_3genE3ELNS1_11target_archE908ELNS1_3gpuE7ELNS1_3repE0EEENS1_30default_config_static_selectorELNS0_4arch9wavefront6targetE1EEEvT1_, .Lfunc_end4838-_ZN7rocprim17ROCPRIM_400000_NS6detail17trampoline_kernelINS0_14default_configENS1_20scan_config_selectorItEEZZNS1_9scan_implILNS1_25lookback_scan_determinismE0ELb1ELb1ES3_N6thrust23THRUST_200600_302600_NS6detail15normal_iteratorINS9_10device_ptrItEEEESE_tNS9_4plusIvEEtEEDaPvRmT3_T4_T5_mT6_P12ihipStream_tbENKUlT_T0_E_clISt17integral_constantIbLb1EEST_IbLb0EEEEDaSP_SQ_EUlSP_E0_NS1_11comp_targetILNS1_3genE3ELNS1_11target_archE908ELNS1_3gpuE7ELNS1_3repE0EEENS1_30default_config_static_selectorELNS0_4arch9wavefront6targetE1EEEvT1_
                                        ; -- End function
	.section	.AMDGPU.csdata,"",@progbits
; Kernel info:
; codeLenInByte = 0
; NumSgprs: 4
; NumVgprs: 0
; NumAgprs: 0
; TotalNumVgprs: 0
; ScratchSize: 0
; MemoryBound: 0
; FloatMode: 240
; IeeeMode: 1
; LDSByteSize: 0 bytes/workgroup (compile time only)
; SGPRBlocks: 0
; VGPRBlocks: 0
; NumSGPRsForWavesPerEU: 4
; NumVGPRsForWavesPerEU: 1
; AccumOffset: 4
; Occupancy: 8
; WaveLimiterHint : 0
; COMPUTE_PGM_RSRC2:SCRATCH_EN: 0
; COMPUTE_PGM_RSRC2:USER_SGPR: 6
; COMPUTE_PGM_RSRC2:TRAP_HANDLER: 0
; COMPUTE_PGM_RSRC2:TGID_X_EN: 1
; COMPUTE_PGM_RSRC2:TGID_Y_EN: 0
; COMPUTE_PGM_RSRC2:TGID_Z_EN: 0
; COMPUTE_PGM_RSRC2:TIDIG_COMP_CNT: 0
; COMPUTE_PGM_RSRC3_GFX90A:ACCUM_OFFSET: 0
; COMPUTE_PGM_RSRC3_GFX90A:TG_SPLIT: 0
	.section	.text._ZN7rocprim17ROCPRIM_400000_NS6detail17trampoline_kernelINS0_14default_configENS1_20scan_config_selectorItEEZZNS1_9scan_implILNS1_25lookback_scan_determinismE0ELb1ELb1ES3_N6thrust23THRUST_200600_302600_NS6detail15normal_iteratorINS9_10device_ptrItEEEESE_tNS9_4plusIvEEtEEDaPvRmT3_T4_T5_mT6_P12ihipStream_tbENKUlT_T0_E_clISt17integral_constantIbLb1EEST_IbLb0EEEEDaSP_SQ_EUlSP_E0_NS1_11comp_targetILNS1_3genE2ELNS1_11target_archE906ELNS1_3gpuE6ELNS1_3repE0EEENS1_30default_config_static_selectorELNS0_4arch9wavefront6targetE1EEEvT1_,"axG",@progbits,_ZN7rocprim17ROCPRIM_400000_NS6detail17trampoline_kernelINS0_14default_configENS1_20scan_config_selectorItEEZZNS1_9scan_implILNS1_25lookback_scan_determinismE0ELb1ELb1ES3_N6thrust23THRUST_200600_302600_NS6detail15normal_iteratorINS9_10device_ptrItEEEESE_tNS9_4plusIvEEtEEDaPvRmT3_T4_T5_mT6_P12ihipStream_tbENKUlT_T0_E_clISt17integral_constantIbLb1EEST_IbLb0EEEEDaSP_SQ_EUlSP_E0_NS1_11comp_targetILNS1_3genE2ELNS1_11target_archE906ELNS1_3gpuE6ELNS1_3repE0EEENS1_30default_config_static_selectorELNS0_4arch9wavefront6targetE1EEEvT1_,comdat
	.protected	_ZN7rocprim17ROCPRIM_400000_NS6detail17trampoline_kernelINS0_14default_configENS1_20scan_config_selectorItEEZZNS1_9scan_implILNS1_25lookback_scan_determinismE0ELb1ELb1ES3_N6thrust23THRUST_200600_302600_NS6detail15normal_iteratorINS9_10device_ptrItEEEESE_tNS9_4plusIvEEtEEDaPvRmT3_T4_T5_mT6_P12ihipStream_tbENKUlT_T0_E_clISt17integral_constantIbLb1EEST_IbLb0EEEEDaSP_SQ_EUlSP_E0_NS1_11comp_targetILNS1_3genE2ELNS1_11target_archE906ELNS1_3gpuE6ELNS1_3repE0EEENS1_30default_config_static_selectorELNS0_4arch9wavefront6targetE1EEEvT1_ ; -- Begin function _ZN7rocprim17ROCPRIM_400000_NS6detail17trampoline_kernelINS0_14default_configENS1_20scan_config_selectorItEEZZNS1_9scan_implILNS1_25lookback_scan_determinismE0ELb1ELb1ES3_N6thrust23THRUST_200600_302600_NS6detail15normal_iteratorINS9_10device_ptrItEEEESE_tNS9_4plusIvEEtEEDaPvRmT3_T4_T5_mT6_P12ihipStream_tbENKUlT_T0_E_clISt17integral_constantIbLb1EEST_IbLb0EEEEDaSP_SQ_EUlSP_E0_NS1_11comp_targetILNS1_3genE2ELNS1_11target_archE906ELNS1_3gpuE6ELNS1_3repE0EEENS1_30default_config_static_selectorELNS0_4arch9wavefront6targetE1EEEvT1_
	.globl	_ZN7rocprim17ROCPRIM_400000_NS6detail17trampoline_kernelINS0_14default_configENS1_20scan_config_selectorItEEZZNS1_9scan_implILNS1_25lookback_scan_determinismE0ELb1ELb1ES3_N6thrust23THRUST_200600_302600_NS6detail15normal_iteratorINS9_10device_ptrItEEEESE_tNS9_4plusIvEEtEEDaPvRmT3_T4_T5_mT6_P12ihipStream_tbENKUlT_T0_E_clISt17integral_constantIbLb1EEST_IbLb0EEEEDaSP_SQ_EUlSP_E0_NS1_11comp_targetILNS1_3genE2ELNS1_11target_archE906ELNS1_3gpuE6ELNS1_3repE0EEENS1_30default_config_static_selectorELNS0_4arch9wavefront6targetE1EEEvT1_
	.p2align	8
	.type	_ZN7rocprim17ROCPRIM_400000_NS6detail17trampoline_kernelINS0_14default_configENS1_20scan_config_selectorItEEZZNS1_9scan_implILNS1_25lookback_scan_determinismE0ELb1ELb1ES3_N6thrust23THRUST_200600_302600_NS6detail15normal_iteratorINS9_10device_ptrItEEEESE_tNS9_4plusIvEEtEEDaPvRmT3_T4_T5_mT6_P12ihipStream_tbENKUlT_T0_E_clISt17integral_constantIbLb1EEST_IbLb0EEEEDaSP_SQ_EUlSP_E0_NS1_11comp_targetILNS1_3genE2ELNS1_11target_archE906ELNS1_3gpuE6ELNS1_3repE0EEENS1_30default_config_static_selectorELNS0_4arch9wavefront6targetE1EEEvT1_,@function
_ZN7rocprim17ROCPRIM_400000_NS6detail17trampoline_kernelINS0_14default_configENS1_20scan_config_selectorItEEZZNS1_9scan_implILNS1_25lookback_scan_determinismE0ELb1ELb1ES3_N6thrust23THRUST_200600_302600_NS6detail15normal_iteratorINS9_10device_ptrItEEEESE_tNS9_4plusIvEEtEEDaPvRmT3_T4_T5_mT6_P12ihipStream_tbENKUlT_T0_E_clISt17integral_constantIbLb1EEST_IbLb0EEEEDaSP_SQ_EUlSP_E0_NS1_11comp_targetILNS1_3genE2ELNS1_11target_archE906ELNS1_3gpuE6ELNS1_3repE0EEENS1_30default_config_static_selectorELNS0_4arch9wavefront6targetE1EEEvT1_: ; @_ZN7rocprim17ROCPRIM_400000_NS6detail17trampoline_kernelINS0_14default_configENS1_20scan_config_selectorItEEZZNS1_9scan_implILNS1_25lookback_scan_determinismE0ELb1ELb1ES3_N6thrust23THRUST_200600_302600_NS6detail15normal_iteratorINS9_10device_ptrItEEEESE_tNS9_4plusIvEEtEEDaPvRmT3_T4_T5_mT6_P12ihipStream_tbENKUlT_T0_E_clISt17integral_constantIbLb1EEST_IbLb0EEEEDaSP_SQ_EUlSP_E0_NS1_11comp_targetILNS1_3genE2ELNS1_11target_archE906ELNS1_3gpuE6ELNS1_3repE0EEENS1_30default_config_static_selectorELNS0_4arch9wavefront6targetE1EEEvT1_
; %bb.0:
	.section	.rodata,"a",@progbits
	.p2align	6, 0x0
	.amdhsa_kernel _ZN7rocprim17ROCPRIM_400000_NS6detail17trampoline_kernelINS0_14default_configENS1_20scan_config_selectorItEEZZNS1_9scan_implILNS1_25lookback_scan_determinismE0ELb1ELb1ES3_N6thrust23THRUST_200600_302600_NS6detail15normal_iteratorINS9_10device_ptrItEEEESE_tNS9_4plusIvEEtEEDaPvRmT3_T4_T5_mT6_P12ihipStream_tbENKUlT_T0_E_clISt17integral_constantIbLb1EEST_IbLb0EEEEDaSP_SQ_EUlSP_E0_NS1_11comp_targetILNS1_3genE2ELNS1_11target_archE906ELNS1_3gpuE6ELNS1_3repE0EEENS1_30default_config_static_selectorELNS0_4arch9wavefront6targetE1EEEvT1_
		.amdhsa_group_segment_fixed_size 0
		.amdhsa_private_segment_fixed_size 0
		.amdhsa_kernarg_size 32
		.amdhsa_user_sgpr_count 6
		.amdhsa_user_sgpr_private_segment_buffer 1
		.amdhsa_user_sgpr_dispatch_ptr 0
		.amdhsa_user_sgpr_queue_ptr 0
		.amdhsa_user_sgpr_kernarg_segment_ptr 1
		.amdhsa_user_sgpr_dispatch_id 0
		.amdhsa_user_sgpr_flat_scratch_init 0
		.amdhsa_user_sgpr_kernarg_preload_length 0
		.amdhsa_user_sgpr_kernarg_preload_offset 0
		.amdhsa_user_sgpr_private_segment_size 0
		.amdhsa_uses_dynamic_stack 0
		.amdhsa_system_sgpr_private_segment_wavefront_offset 0
		.amdhsa_system_sgpr_workgroup_id_x 1
		.amdhsa_system_sgpr_workgroup_id_y 0
		.amdhsa_system_sgpr_workgroup_id_z 0
		.amdhsa_system_sgpr_workgroup_info 0
		.amdhsa_system_vgpr_workitem_id 0
		.amdhsa_next_free_vgpr 1
		.amdhsa_next_free_sgpr 0
		.amdhsa_accum_offset 4
		.amdhsa_reserve_vcc 0
		.amdhsa_reserve_flat_scratch 0
		.amdhsa_float_round_mode_32 0
		.amdhsa_float_round_mode_16_64 0
		.amdhsa_float_denorm_mode_32 3
		.amdhsa_float_denorm_mode_16_64 3
		.amdhsa_dx10_clamp 1
		.amdhsa_ieee_mode 1
		.amdhsa_fp16_overflow 0
		.amdhsa_tg_split 0
		.amdhsa_exception_fp_ieee_invalid_op 0
		.amdhsa_exception_fp_denorm_src 0
		.amdhsa_exception_fp_ieee_div_zero 0
		.amdhsa_exception_fp_ieee_overflow 0
		.amdhsa_exception_fp_ieee_underflow 0
		.amdhsa_exception_fp_ieee_inexact 0
		.amdhsa_exception_int_div_zero 0
	.end_amdhsa_kernel
	.section	.text._ZN7rocprim17ROCPRIM_400000_NS6detail17trampoline_kernelINS0_14default_configENS1_20scan_config_selectorItEEZZNS1_9scan_implILNS1_25lookback_scan_determinismE0ELb1ELb1ES3_N6thrust23THRUST_200600_302600_NS6detail15normal_iteratorINS9_10device_ptrItEEEESE_tNS9_4plusIvEEtEEDaPvRmT3_T4_T5_mT6_P12ihipStream_tbENKUlT_T0_E_clISt17integral_constantIbLb1EEST_IbLb0EEEEDaSP_SQ_EUlSP_E0_NS1_11comp_targetILNS1_3genE2ELNS1_11target_archE906ELNS1_3gpuE6ELNS1_3repE0EEENS1_30default_config_static_selectorELNS0_4arch9wavefront6targetE1EEEvT1_,"axG",@progbits,_ZN7rocprim17ROCPRIM_400000_NS6detail17trampoline_kernelINS0_14default_configENS1_20scan_config_selectorItEEZZNS1_9scan_implILNS1_25lookback_scan_determinismE0ELb1ELb1ES3_N6thrust23THRUST_200600_302600_NS6detail15normal_iteratorINS9_10device_ptrItEEEESE_tNS9_4plusIvEEtEEDaPvRmT3_T4_T5_mT6_P12ihipStream_tbENKUlT_T0_E_clISt17integral_constantIbLb1EEST_IbLb0EEEEDaSP_SQ_EUlSP_E0_NS1_11comp_targetILNS1_3genE2ELNS1_11target_archE906ELNS1_3gpuE6ELNS1_3repE0EEENS1_30default_config_static_selectorELNS0_4arch9wavefront6targetE1EEEvT1_,comdat
.Lfunc_end4839:
	.size	_ZN7rocprim17ROCPRIM_400000_NS6detail17trampoline_kernelINS0_14default_configENS1_20scan_config_selectorItEEZZNS1_9scan_implILNS1_25lookback_scan_determinismE0ELb1ELb1ES3_N6thrust23THRUST_200600_302600_NS6detail15normal_iteratorINS9_10device_ptrItEEEESE_tNS9_4plusIvEEtEEDaPvRmT3_T4_T5_mT6_P12ihipStream_tbENKUlT_T0_E_clISt17integral_constantIbLb1EEST_IbLb0EEEEDaSP_SQ_EUlSP_E0_NS1_11comp_targetILNS1_3genE2ELNS1_11target_archE906ELNS1_3gpuE6ELNS1_3repE0EEENS1_30default_config_static_selectorELNS0_4arch9wavefront6targetE1EEEvT1_, .Lfunc_end4839-_ZN7rocprim17ROCPRIM_400000_NS6detail17trampoline_kernelINS0_14default_configENS1_20scan_config_selectorItEEZZNS1_9scan_implILNS1_25lookback_scan_determinismE0ELb1ELb1ES3_N6thrust23THRUST_200600_302600_NS6detail15normal_iteratorINS9_10device_ptrItEEEESE_tNS9_4plusIvEEtEEDaPvRmT3_T4_T5_mT6_P12ihipStream_tbENKUlT_T0_E_clISt17integral_constantIbLb1EEST_IbLb0EEEEDaSP_SQ_EUlSP_E0_NS1_11comp_targetILNS1_3genE2ELNS1_11target_archE906ELNS1_3gpuE6ELNS1_3repE0EEENS1_30default_config_static_selectorELNS0_4arch9wavefront6targetE1EEEvT1_
                                        ; -- End function
	.section	.AMDGPU.csdata,"",@progbits
; Kernel info:
; codeLenInByte = 0
; NumSgprs: 4
; NumVgprs: 0
; NumAgprs: 0
; TotalNumVgprs: 0
; ScratchSize: 0
; MemoryBound: 0
; FloatMode: 240
; IeeeMode: 1
; LDSByteSize: 0 bytes/workgroup (compile time only)
; SGPRBlocks: 0
; VGPRBlocks: 0
; NumSGPRsForWavesPerEU: 4
; NumVGPRsForWavesPerEU: 1
; AccumOffset: 4
; Occupancy: 8
; WaveLimiterHint : 0
; COMPUTE_PGM_RSRC2:SCRATCH_EN: 0
; COMPUTE_PGM_RSRC2:USER_SGPR: 6
; COMPUTE_PGM_RSRC2:TRAP_HANDLER: 0
; COMPUTE_PGM_RSRC2:TGID_X_EN: 1
; COMPUTE_PGM_RSRC2:TGID_Y_EN: 0
; COMPUTE_PGM_RSRC2:TGID_Z_EN: 0
; COMPUTE_PGM_RSRC2:TIDIG_COMP_CNT: 0
; COMPUTE_PGM_RSRC3_GFX90A:ACCUM_OFFSET: 0
; COMPUTE_PGM_RSRC3_GFX90A:TG_SPLIT: 0
	.section	.text._ZN7rocprim17ROCPRIM_400000_NS6detail17trampoline_kernelINS0_14default_configENS1_20scan_config_selectorItEEZZNS1_9scan_implILNS1_25lookback_scan_determinismE0ELb1ELb1ES3_N6thrust23THRUST_200600_302600_NS6detail15normal_iteratorINS9_10device_ptrItEEEESE_tNS9_4plusIvEEtEEDaPvRmT3_T4_T5_mT6_P12ihipStream_tbENKUlT_T0_E_clISt17integral_constantIbLb1EEST_IbLb0EEEEDaSP_SQ_EUlSP_E0_NS1_11comp_targetILNS1_3genE10ELNS1_11target_archE1201ELNS1_3gpuE5ELNS1_3repE0EEENS1_30default_config_static_selectorELNS0_4arch9wavefront6targetE1EEEvT1_,"axG",@progbits,_ZN7rocprim17ROCPRIM_400000_NS6detail17trampoline_kernelINS0_14default_configENS1_20scan_config_selectorItEEZZNS1_9scan_implILNS1_25lookback_scan_determinismE0ELb1ELb1ES3_N6thrust23THRUST_200600_302600_NS6detail15normal_iteratorINS9_10device_ptrItEEEESE_tNS9_4plusIvEEtEEDaPvRmT3_T4_T5_mT6_P12ihipStream_tbENKUlT_T0_E_clISt17integral_constantIbLb1EEST_IbLb0EEEEDaSP_SQ_EUlSP_E0_NS1_11comp_targetILNS1_3genE10ELNS1_11target_archE1201ELNS1_3gpuE5ELNS1_3repE0EEENS1_30default_config_static_selectorELNS0_4arch9wavefront6targetE1EEEvT1_,comdat
	.protected	_ZN7rocprim17ROCPRIM_400000_NS6detail17trampoline_kernelINS0_14default_configENS1_20scan_config_selectorItEEZZNS1_9scan_implILNS1_25lookback_scan_determinismE0ELb1ELb1ES3_N6thrust23THRUST_200600_302600_NS6detail15normal_iteratorINS9_10device_ptrItEEEESE_tNS9_4plusIvEEtEEDaPvRmT3_T4_T5_mT6_P12ihipStream_tbENKUlT_T0_E_clISt17integral_constantIbLb1EEST_IbLb0EEEEDaSP_SQ_EUlSP_E0_NS1_11comp_targetILNS1_3genE10ELNS1_11target_archE1201ELNS1_3gpuE5ELNS1_3repE0EEENS1_30default_config_static_selectorELNS0_4arch9wavefront6targetE1EEEvT1_ ; -- Begin function _ZN7rocprim17ROCPRIM_400000_NS6detail17trampoline_kernelINS0_14default_configENS1_20scan_config_selectorItEEZZNS1_9scan_implILNS1_25lookback_scan_determinismE0ELb1ELb1ES3_N6thrust23THRUST_200600_302600_NS6detail15normal_iteratorINS9_10device_ptrItEEEESE_tNS9_4plusIvEEtEEDaPvRmT3_T4_T5_mT6_P12ihipStream_tbENKUlT_T0_E_clISt17integral_constantIbLb1EEST_IbLb0EEEEDaSP_SQ_EUlSP_E0_NS1_11comp_targetILNS1_3genE10ELNS1_11target_archE1201ELNS1_3gpuE5ELNS1_3repE0EEENS1_30default_config_static_selectorELNS0_4arch9wavefront6targetE1EEEvT1_
	.globl	_ZN7rocprim17ROCPRIM_400000_NS6detail17trampoline_kernelINS0_14default_configENS1_20scan_config_selectorItEEZZNS1_9scan_implILNS1_25lookback_scan_determinismE0ELb1ELb1ES3_N6thrust23THRUST_200600_302600_NS6detail15normal_iteratorINS9_10device_ptrItEEEESE_tNS9_4plusIvEEtEEDaPvRmT3_T4_T5_mT6_P12ihipStream_tbENKUlT_T0_E_clISt17integral_constantIbLb1EEST_IbLb0EEEEDaSP_SQ_EUlSP_E0_NS1_11comp_targetILNS1_3genE10ELNS1_11target_archE1201ELNS1_3gpuE5ELNS1_3repE0EEENS1_30default_config_static_selectorELNS0_4arch9wavefront6targetE1EEEvT1_
	.p2align	8
	.type	_ZN7rocprim17ROCPRIM_400000_NS6detail17trampoline_kernelINS0_14default_configENS1_20scan_config_selectorItEEZZNS1_9scan_implILNS1_25lookback_scan_determinismE0ELb1ELb1ES3_N6thrust23THRUST_200600_302600_NS6detail15normal_iteratorINS9_10device_ptrItEEEESE_tNS9_4plusIvEEtEEDaPvRmT3_T4_T5_mT6_P12ihipStream_tbENKUlT_T0_E_clISt17integral_constantIbLb1EEST_IbLb0EEEEDaSP_SQ_EUlSP_E0_NS1_11comp_targetILNS1_3genE10ELNS1_11target_archE1201ELNS1_3gpuE5ELNS1_3repE0EEENS1_30default_config_static_selectorELNS0_4arch9wavefront6targetE1EEEvT1_,@function
_ZN7rocprim17ROCPRIM_400000_NS6detail17trampoline_kernelINS0_14default_configENS1_20scan_config_selectorItEEZZNS1_9scan_implILNS1_25lookback_scan_determinismE0ELb1ELb1ES3_N6thrust23THRUST_200600_302600_NS6detail15normal_iteratorINS9_10device_ptrItEEEESE_tNS9_4plusIvEEtEEDaPvRmT3_T4_T5_mT6_P12ihipStream_tbENKUlT_T0_E_clISt17integral_constantIbLb1EEST_IbLb0EEEEDaSP_SQ_EUlSP_E0_NS1_11comp_targetILNS1_3genE10ELNS1_11target_archE1201ELNS1_3gpuE5ELNS1_3repE0EEENS1_30default_config_static_selectorELNS0_4arch9wavefront6targetE1EEEvT1_: ; @_ZN7rocprim17ROCPRIM_400000_NS6detail17trampoline_kernelINS0_14default_configENS1_20scan_config_selectorItEEZZNS1_9scan_implILNS1_25lookback_scan_determinismE0ELb1ELb1ES3_N6thrust23THRUST_200600_302600_NS6detail15normal_iteratorINS9_10device_ptrItEEEESE_tNS9_4plusIvEEtEEDaPvRmT3_T4_T5_mT6_P12ihipStream_tbENKUlT_T0_E_clISt17integral_constantIbLb1EEST_IbLb0EEEEDaSP_SQ_EUlSP_E0_NS1_11comp_targetILNS1_3genE10ELNS1_11target_archE1201ELNS1_3gpuE5ELNS1_3repE0EEENS1_30default_config_static_selectorELNS0_4arch9wavefront6targetE1EEEvT1_
; %bb.0:
	.section	.rodata,"a",@progbits
	.p2align	6, 0x0
	.amdhsa_kernel _ZN7rocprim17ROCPRIM_400000_NS6detail17trampoline_kernelINS0_14default_configENS1_20scan_config_selectorItEEZZNS1_9scan_implILNS1_25lookback_scan_determinismE0ELb1ELb1ES3_N6thrust23THRUST_200600_302600_NS6detail15normal_iteratorINS9_10device_ptrItEEEESE_tNS9_4plusIvEEtEEDaPvRmT3_T4_T5_mT6_P12ihipStream_tbENKUlT_T0_E_clISt17integral_constantIbLb1EEST_IbLb0EEEEDaSP_SQ_EUlSP_E0_NS1_11comp_targetILNS1_3genE10ELNS1_11target_archE1201ELNS1_3gpuE5ELNS1_3repE0EEENS1_30default_config_static_selectorELNS0_4arch9wavefront6targetE1EEEvT1_
		.amdhsa_group_segment_fixed_size 0
		.amdhsa_private_segment_fixed_size 0
		.amdhsa_kernarg_size 32
		.amdhsa_user_sgpr_count 6
		.amdhsa_user_sgpr_private_segment_buffer 1
		.amdhsa_user_sgpr_dispatch_ptr 0
		.amdhsa_user_sgpr_queue_ptr 0
		.amdhsa_user_sgpr_kernarg_segment_ptr 1
		.amdhsa_user_sgpr_dispatch_id 0
		.amdhsa_user_sgpr_flat_scratch_init 0
		.amdhsa_user_sgpr_kernarg_preload_length 0
		.amdhsa_user_sgpr_kernarg_preload_offset 0
		.amdhsa_user_sgpr_private_segment_size 0
		.amdhsa_uses_dynamic_stack 0
		.amdhsa_system_sgpr_private_segment_wavefront_offset 0
		.amdhsa_system_sgpr_workgroup_id_x 1
		.amdhsa_system_sgpr_workgroup_id_y 0
		.amdhsa_system_sgpr_workgroup_id_z 0
		.amdhsa_system_sgpr_workgroup_info 0
		.amdhsa_system_vgpr_workitem_id 0
		.amdhsa_next_free_vgpr 1
		.amdhsa_next_free_sgpr 0
		.amdhsa_accum_offset 4
		.amdhsa_reserve_vcc 0
		.amdhsa_reserve_flat_scratch 0
		.amdhsa_float_round_mode_32 0
		.amdhsa_float_round_mode_16_64 0
		.amdhsa_float_denorm_mode_32 3
		.amdhsa_float_denorm_mode_16_64 3
		.amdhsa_dx10_clamp 1
		.amdhsa_ieee_mode 1
		.amdhsa_fp16_overflow 0
		.amdhsa_tg_split 0
		.amdhsa_exception_fp_ieee_invalid_op 0
		.amdhsa_exception_fp_denorm_src 0
		.amdhsa_exception_fp_ieee_div_zero 0
		.amdhsa_exception_fp_ieee_overflow 0
		.amdhsa_exception_fp_ieee_underflow 0
		.amdhsa_exception_fp_ieee_inexact 0
		.amdhsa_exception_int_div_zero 0
	.end_amdhsa_kernel
	.section	.text._ZN7rocprim17ROCPRIM_400000_NS6detail17trampoline_kernelINS0_14default_configENS1_20scan_config_selectorItEEZZNS1_9scan_implILNS1_25lookback_scan_determinismE0ELb1ELb1ES3_N6thrust23THRUST_200600_302600_NS6detail15normal_iteratorINS9_10device_ptrItEEEESE_tNS9_4plusIvEEtEEDaPvRmT3_T4_T5_mT6_P12ihipStream_tbENKUlT_T0_E_clISt17integral_constantIbLb1EEST_IbLb0EEEEDaSP_SQ_EUlSP_E0_NS1_11comp_targetILNS1_3genE10ELNS1_11target_archE1201ELNS1_3gpuE5ELNS1_3repE0EEENS1_30default_config_static_selectorELNS0_4arch9wavefront6targetE1EEEvT1_,"axG",@progbits,_ZN7rocprim17ROCPRIM_400000_NS6detail17trampoline_kernelINS0_14default_configENS1_20scan_config_selectorItEEZZNS1_9scan_implILNS1_25lookback_scan_determinismE0ELb1ELb1ES3_N6thrust23THRUST_200600_302600_NS6detail15normal_iteratorINS9_10device_ptrItEEEESE_tNS9_4plusIvEEtEEDaPvRmT3_T4_T5_mT6_P12ihipStream_tbENKUlT_T0_E_clISt17integral_constantIbLb1EEST_IbLb0EEEEDaSP_SQ_EUlSP_E0_NS1_11comp_targetILNS1_3genE10ELNS1_11target_archE1201ELNS1_3gpuE5ELNS1_3repE0EEENS1_30default_config_static_selectorELNS0_4arch9wavefront6targetE1EEEvT1_,comdat
.Lfunc_end4840:
	.size	_ZN7rocprim17ROCPRIM_400000_NS6detail17trampoline_kernelINS0_14default_configENS1_20scan_config_selectorItEEZZNS1_9scan_implILNS1_25lookback_scan_determinismE0ELb1ELb1ES3_N6thrust23THRUST_200600_302600_NS6detail15normal_iteratorINS9_10device_ptrItEEEESE_tNS9_4plusIvEEtEEDaPvRmT3_T4_T5_mT6_P12ihipStream_tbENKUlT_T0_E_clISt17integral_constantIbLb1EEST_IbLb0EEEEDaSP_SQ_EUlSP_E0_NS1_11comp_targetILNS1_3genE10ELNS1_11target_archE1201ELNS1_3gpuE5ELNS1_3repE0EEENS1_30default_config_static_selectorELNS0_4arch9wavefront6targetE1EEEvT1_, .Lfunc_end4840-_ZN7rocprim17ROCPRIM_400000_NS6detail17trampoline_kernelINS0_14default_configENS1_20scan_config_selectorItEEZZNS1_9scan_implILNS1_25lookback_scan_determinismE0ELb1ELb1ES3_N6thrust23THRUST_200600_302600_NS6detail15normal_iteratorINS9_10device_ptrItEEEESE_tNS9_4plusIvEEtEEDaPvRmT3_T4_T5_mT6_P12ihipStream_tbENKUlT_T0_E_clISt17integral_constantIbLb1EEST_IbLb0EEEEDaSP_SQ_EUlSP_E0_NS1_11comp_targetILNS1_3genE10ELNS1_11target_archE1201ELNS1_3gpuE5ELNS1_3repE0EEENS1_30default_config_static_selectorELNS0_4arch9wavefront6targetE1EEEvT1_
                                        ; -- End function
	.section	.AMDGPU.csdata,"",@progbits
; Kernel info:
; codeLenInByte = 0
; NumSgprs: 4
; NumVgprs: 0
; NumAgprs: 0
; TotalNumVgprs: 0
; ScratchSize: 0
; MemoryBound: 0
; FloatMode: 240
; IeeeMode: 1
; LDSByteSize: 0 bytes/workgroup (compile time only)
; SGPRBlocks: 0
; VGPRBlocks: 0
; NumSGPRsForWavesPerEU: 4
; NumVGPRsForWavesPerEU: 1
; AccumOffset: 4
; Occupancy: 8
; WaveLimiterHint : 0
; COMPUTE_PGM_RSRC2:SCRATCH_EN: 0
; COMPUTE_PGM_RSRC2:USER_SGPR: 6
; COMPUTE_PGM_RSRC2:TRAP_HANDLER: 0
; COMPUTE_PGM_RSRC2:TGID_X_EN: 1
; COMPUTE_PGM_RSRC2:TGID_Y_EN: 0
; COMPUTE_PGM_RSRC2:TGID_Z_EN: 0
; COMPUTE_PGM_RSRC2:TIDIG_COMP_CNT: 0
; COMPUTE_PGM_RSRC3_GFX90A:ACCUM_OFFSET: 0
; COMPUTE_PGM_RSRC3_GFX90A:TG_SPLIT: 0
	.section	.text._ZN7rocprim17ROCPRIM_400000_NS6detail17trampoline_kernelINS0_14default_configENS1_20scan_config_selectorItEEZZNS1_9scan_implILNS1_25lookback_scan_determinismE0ELb1ELb1ES3_N6thrust23THRUST_200600_302600_NS6detail15normal_iteratorINS9_10device_ptrItEEEESE_tNS9_4plusIvEEtEEDaPvRmT3_T4_T5_mT6_P12ihipStream_tbENKUlT_T0_E_clISt17integral_constantIbLb1EEST_IbLb0EEEEDaSP_SQ_EUlSP_E0_NS1_11comp_targetILNS1_3genE10ELNS1_11target_archE1200ELNS1_3gpuE4ELNS1_3repE0EEENS1_30default_config_static_selectorELNS0_4arch9wavefront6targetE1EEEvT1_,"axG",@progbits,_ZN7rocprim17ROCPRIM_400000_NS6detail17trampoline_kernelINS0_14default_configENS1_20scan_config_selectorItEEZZNS1_9scan_implILNS1_25lookback_scan_determinismE0ELb1ELb1ES3_N6thrust23THRUST_200600_302600_NS6detail15normal_iteratorINS9_10device_ptrItEEEESE_tNS9_4plusIvEEtEEDaPvRmT3_T4_T5_mT6_P12ihipStream_tbENKUlT_T0_E_clISt17integral_constantIbLb1EEST_IbLb0EEEEDaSP_SQ_EUlSP_E0_NS1_11comp_targetILNS1_3genE10ELNS1_11target_archE1200ELNS1_3gpuE4ELNS1_3repE0EEENS1_30default_config_static_selectorELNS0_4arch9wavefront6targetE1EEEvT1_,comdat
	.protected	_ZN7rocprim17ROCPRIM_400000_NS6detail17trampoline_kernelINS0_14default_configENS1_20scan_config_selectorItEEZZNS1_9scan_implILNS1_25lookback_scan_determinismE0ELb1ELb1ES3_N6thrust23THRUST_200600_302600_NS6detail15normal_iteratorINS9_10device_ptrItEEEESE_tNS9_4plusIvEEtEEDaPvRmT3_T4_T5_mT6_P12ihipStream_tbENKUlT_T0_E_clISt17integral_constantIbLb1EEST_IbLb0EEEEDaSP_SQ_EUlSP_E0_NS1_11comp_targetILNS1_3genE10ELNS1_11target_archE1200ELNS1_3gpuE4ELNS1_3repE0EEENS1_30default_config_static_selectorELNS0_4arch9wavefront6targetE1EEEvT1_ ; -- Begin function _ZN7rocprim17ROCPRIM_400000_NS6detail17trampoline_kernelINS0_14default_configENS1_20scan_config_selectorItEEZZNS1_9scan_implILNS1_25lookback_scan_determinismE0ELb1ELb1ES3_N6thrust23THRUST_200600_302600_NS6detail15normal_iteratorINS9_10device_ptrItEEEESE_tNS9_4plusIvEEtEEDaPvRmT3_T4_T5_mT6_P12ihipStream_tbENKUlT_T0_E_clISt17integral_constantIbLb1EEST_IbLb0EEEEDaSP_SQ_EUlSP_E0_NS1_11comp_targetILNS1_3genE10ELNS1_11target_archE1200ELNS1_3gpuE4ELNS1_3repE0EEENS1_30default_config_static_selectorELNS0_4arch9wavefront6targetE1EEEvT1_
	.globl	_ZN7rocprim17ROCPRIM_400000_NS6detail17trampoline_kernelINS0_14default_configENS1_20scan_config_selectorItEEZZNS1_9scan_implILNS1_25lookback_scan_determinismE0ELb1ELb1ES3_N6thrust23THRUST_200600_302600_NS6detail15normal_iteratorINS9_10device_ptrItEEEESE_tNS9_4plusIvEEtEEDaPvRmT3_T4_T5_mT6_P12ihipStream_tbENKUlT_T0_E_clISt17integral_constantIbLb1EEST_IbLb0EEEEDaSP_SQ_EUlSP_E0_NS1_11comp_targetILNS1_3genE10ELNS1_11target_archE1200ELNS1_3gpuE4ELNS1_3repE0EEENS1_30default_config_static_selectorELNS0_4arch9wavefront6targetE1EEEvT1_
	.p2align	8
	.type	_ZN7rocprim17ROCPRIM_400000_NS6detail17trampoline_kernelINS0_14default_configENS1_20scan_config_selectorItEEZZNS1_9scan_implILNS1_25lookback_scan_determinismE0ELb1ELb1ES3_N6thrust23THRUST_200600_302600_NS6detail15normal_iteratorINS9_10device_ptrItEEEESE_tNS9_4plusIvEEtEEDaPvRmT3_T4_T5_mT6_P12ihipStream_tbENKUlT_T0_E_clISt17integral_constantIbLb1EEST_IbLb0EEEEDaSP_SQ_EUlSP_E0_NS1_11comp_targetILNS1_3genE10ELNS1_11target_archE1200ELNS1_3gpuE4ELNS1_3repE0EEENS1_30default_config_static_selectorELNS0_4arch9wavefront6targetE1EEEvT1_,@function
_ZN7rocprim17ROCPRIM_400000_NS6detail17trampoline_kernelINS0_14default_configENS1_20scan_config_selectorItEEZZNS1_9scan_implILNS1_25lookback_scan_determinismE0ELb1ELb1ES3_N6thrust23THRUST_200600_302600_NS6detail15normal_iteratorINS9_10device_ptrItEEEESE_tNS9_4plusIvEEtEEDaPvRmT3_T4_T5_mT6_P12ihipStream_tbENKUlT_T0_E_clISt17integral_constantIbLb1EEST_IbLb0EEEEDaSP_SQ_EUlSP_E0_NS1_11comp_targetILNS1_3genE10ELNS1_11target_archE1200ELNS1_3gpuE4ELNS1_3repE0EEENS1_30default_config_static_selectorELNS0_4arch9wavefront6targetE1EEEvT1_: ; @_ZN7rocprim17ROCPRIM_400000_NS6detail17trampoline_kernelINS0_14default_configENS1_20scan_config_selectorItEEZZNS1_9scan_implILNS1_25lookback_scan_determinismE0ELb1ELb1ES3_N6thrust23THRUST_200600_302600_NS6detail15normal_iteratorINS9_10device_ptrItEEEESE_tNS9_4plusIvEEtEEDaPvRmT3_T4_T5_mT6_P12ihipStream_tbENKUlT_T0_E_clISt17integral_constantIbLb1EEST_IbLb0EEEEDaSP_SQ_EUlSP_E0_NS1_11comp_targetILNS1_3genE10ELNS1_11target_archE1200ELNS1_3gpuE4ELNS1_3repE0EEENS1_30default_config_static_selectorELNS0_4arch9wavefront6targetE1EEEvT1_
; %bb.0:
	.section	.rodata,"a",@progbits
	.p2align	6, 0x0
	.amdhsa_kernel _ZN7rocprim17ROCPRIM_400000_NS6detail17trampoline_kernelINS0_14default_configENS1_20scan_config_selectorItEEZZNS1_9scan_implILNS1_25lookback_scan_determinismE0ELb1ELb1ES3_N6thrust23THRUST_200600_302600_NS6detail15normal_iteratorINS9_10device_ptrItEEEESE_tNS9_4plusIvEEtEEDaPvRmT3_T4_T5_mT6_P12ihipStream_tbENKUlT_T0_E_clISt17integral_constantIbLb1EEST_IbLb0EEEEDaSP_SQ_EUlSP_E0_NS1_11comp_targetILNS1_3genE10ELNS1_11target_archE1200ELNS1_3gpuE4ELNS1_3repE0EEENS1_30default_config_static_selectorELNS0_4arch9wavefront6targetE1EEEvT1_
		.amdhsa_group_segment_fixed_size 0
		.amdhsa_private_segment_fixed_size 0
		.amdhsa_kernarg_size 32
		.amdhsa_user_sgpr_count 6
		.amdhsa_user_sgpr_private_segment_buffer 1
		.amdhsa_user_sgpr_dispatch_ptr 0
		.amdhsa_user_sgpr_queue_ptr 0
		.amdhsa_user_sgpr_kernarg_segment_ptr 1
		.amdhsa_user_sgpr_dispatch_id 0
		.amdhsa_user_sgpr_flat_scratch_init 0
		.amdhsa_user_sgpr_kernarg_preload_length 0
		.amdhsa_user_sgpr_kernarg_preload_offset 0
		.amdhsa_user_sgpr_private_segment_size 0
		.amdhsa_uses_dynamic_stack 0
		.amdhsa_system_sgpr_private_segment_wavefront_offset 0
		.amdhsa_system_sgpr_workgroup_id_x 1
		.amdhsa_system_sgpr_workgroup_id_y 0
		.amdhsa_system_sgpr_workgroup_id_z 0
		.amdhsa_system_sgpr_workgroup_info 0
		.amdhsa_system_vgpr_workitem_id 0
		.amdhsa_next_free_vgpr 1
		.amdhsa_next_free_sgpr 0
		.amdhsa_accum_offset 4
		.amdhsa_reserve_vcc 0
		.amdhsa_reserve_flat_scratch 0
		.amdhsa_float_round_mode_32 0
		.amdhsa_float_round_mode_16_64 0
		.amdhsa_float_denorm_mode_32 3
		.amdhsa_float_denorm_mode_16_64 3
		.amdhsa_dx10_clamp 1
		.amdhsa_ieee_mode 1
		.amdhsa_fp16_overflow 0
		.amdhsa_tg_split 0
		.amdhsa_exception_fp_ieee_invalid_op 0
		.amdhsa_exception_fp_denorm_src 0
		.amdhsa_exception_fp_ieee_div_zero 0
		.amdhsa_exception_fp_ieee_overflow 0
		.amdhsa_exception_fp_ieee_underflow 0
		.amdhsa_exception_fp_ieee_inexact 0
		.amdhsa_exception_int_div_zero 0
	.end_amdhsa_kernel
	.section	.text._ZN7rocprim17ROCPRIM_400000_NS6detail17trampoline_kernelINS0_14default_configENS1_20scan_config_selectorItEEZZNS1_9scan_implILNS1_25lookback_scan_determinismE0ELb1ELb1ES3_N6thrust23THRUST_200600_302600_NS6detail15normal_iteratorINS9_10device_ptrItEEEESE_tNS9_4plusIvEEtEEDaPvRmT3_T4_T5_mT6_P12ihipStream_tbENKUlT_T0_E_clISt17integral_constantIbLb1EEST_IbLb0EEEEDaSP_SQ_EUlSP_E0_NS1_11comp_targetILNS1_3genE10ELNS1_11target_archE1200ELNS1_3gpuE4ELNS1_3repE0EEENS1_30default_config_static_selectorELNS0_4arch9wavefront6targetE1EEEvT1_,"axG",@progbits,_ZN7rocprim17ROCPRIM_400000_NS6detail17trampoline_kernelINS0_14default_configENS1_20scan_config_selectorItEEZZNS1_9scan_implILNS1_25lookback_scan_determinismE0ELb1ELb1ES3_N6thrust23THRUST_200600_302600_NS6detail15normal_iteratorINS9_10device_ptrItEEEESE_tNS9_4plusIvEEtEEDaPvRmT3_T4_T5_mT6_P12ihipStream_tbENKUlT_T0_E_clISt17integral_constantIbLb1EEST_IbLb0EEEEDaSP_SQ_EUlSP_E0_NS1_11comp_targetILNS1_3genE10ELNS1_11target_archE1200ELNS1_3gpuE4ELNS1_3repE0EEENS1_30default_config_static_selectorELNS0_4arch9wavefront6targetE1EEEvT1_,comdat
.Lfunc_end4841:
	.size	_ZN7rocprim17ROCPRIM_400000_NS6detail17trampoline_kernelINS0_14default_configENS1_20scan_config_selectorItEEZZNS1_9scan_implILNS1_25lookback_scan_determinismE0ELb1ELb1ES3_N6thrust23THRUST_200600_302600_NS6detail15normal_iteratorINS9_10device_ptrItEEEESE_tNS9_4plusIvEEtEEDaPvRmT3_T4_T5_mT6_P12ihipStream_tbENKUlT_T0_E_clISt17integral_constantIbLb1EEST_IbLb0EEEEDaSP_SQ_EUlSP_E0_NS1_11comp_targetILNS1_3genE10ELNS1_11target_archE1200ELNS1_3gpuE4ELNS1_3repE0EEENS1_30default_config_static_selectorELNS0_4arch9wavefront6targetE1EEEvT1_, .Lfunc_end4841-_ZN7rocprim17ROCPRIM_400000_NS6detail17trampoline_kernelINS0_14default_configENS1_20scan_config_selectorItEEZZNS1_9scan_implILNS1_25lookback_scan_determinismE0ELb1ELb1ES3_N6thrust23THRUST_200600_302600_NS6detail15normal_iteratorINS9_10device_ptrItEEEESE_tNS9_4plusIvEEtEEDaPvRmT3_T4_T5_mT6_P12ihipStream_tbENKUlT_T0_E_clISt17integral_constantIbLb1EEST_IbLb0EEEEDaSP_SQ_EUlSP_E0_NS1_11comp_targetILNS1_3genE10ELNS1_11target_archE1200ELNS1_3gpuE4ELNS1_3repE0EEENS1_30default_config_static_selectorELNS0_4arch9wavefront6targetE1EEEvT1_
                                        ; -- End function
	.section	.AMDGPU.csdata,"",@progbits
; Kernel info:
; codeLenInByte = 0
; NumSgprs: 4
; NumVgprs: 0
; NumAgprs: 0
; TotalNumVgprs: 0
; ScratchSize: 0
; MemoryBound: 0
; FloatMode: 240
; IeeeMode: 1
; LDSByteSize: 0 bytes/workgroup (compile time only)
; SGPRBlocks: 0
; VGPRBlocks: 0
; NumSGPRsForWavesPerEU: 4
; NumVGPRsForWavesPerEU: 1
; AccumOffset: 4
; Occupancy: 8
; WaveLimiterHint : 0
; COMPUTE_PGM_RSRC2:SCRATCH_EN: 0
; COMPUTE_PGM_RSRC2:USER_SGPR: 6
; COMPUTE_PGM_RSRC2:TRAP_HANDLER: 0
; COMPUTE_PGM_RSRC2:TGID_X_EN: 1
; COMPUTE_PGM_RSRC2:TGID_Y_EN: 0
; COMPUTE_PGM_RSRC2:TGID_Z_EN: 0
; COMPUTE_PGM_RSRC2:TIDIG_COMP_CNT: 0
; COMPUTE_PGM_RSRC3_GFX90A:ACCUM_OFFSET: 0
; COMPUTE_PGM_RSRC3_GFX90A:TG_SPLIT: 0
	.section	.text._ZN7rocprim17ROCPRIM_400000_NS6detail17trampoline_kernelINS0_14default_configENS1_20scan_config_selectorItEEZZNS1_9scan_implILNS1_25lookback_scan_determinismE0ELb1ELb1ES3_N6thrust23THRUST_200600_302600_NS6detail15normal_iteratorINS9_10device_ptrItEEEESE_tNS9_4plusIvEEtEEDaPvRmT3_T4_T5_mT6_P12ihipStream_tbENKUlT_T0_E_clISt17integral_constantIbLb1EEST_IbLb0EEEEDaSP_SQ_EUlSP_E0_NS1_11comp_targetILNS1_3genE9ELNS1_11target_archE1100ELNS1_3gpuE3ELNS1_3repE0EEENS1_30default_config_static_selectorELNS0_4arch9wavefront6targetE1EEEvT1_,"axG",@progbits,_ZN7rocprim17ROCPRIM_400000_NS6detail17trampoline_kernelINS0_14default_configENS1_20scan_config_selectorItEEZZNS1_9scan_implILNS1_25lookback_scan_determinismE0ELb1ELb1ES3_N6thrust23THRUST_200600_302600_NS6detail15normal_iteratorINS9_10device_ptrItEEEESE_tNS9_4plusIvEEtEEDaPvRmT3_T4_T5_mT6_P12ihipStream_tbENKUlT_T0_E_clISt17integral_constantIbLb1EEST_IbLb0EEEEDaSP_SQ_EUlSP_E0_NS1_11comp_targetILNS1_3genE9ELNS1_11target_archE1100ELNS1_3gpuE3ELNS1_3repE0EEENS1_30default_config_static_selectorELNS0_4arch9wavefront6targetE1EEEvT1_,comdat
	.protected	_ZN7rocprim17ROCPRIM_400000_NS6detail17trampoline_kernelINS0_14default_configENS1_20scan_config_selectorItEEZZNS1_9scan_implILNS1_25lookback_scan_determinismE0ELb1ELb1ES3_N6thrust23THRUST_200600_302600_NS6detail15normal_iteratorINS9_10device_ptrItEEEESE_tNS9_4plusIvEEtEEDaPvRmT3_T4_T5_mT6_P12ihipStream_tbENKUlT_T0_E_clISt17integral_constantIbLb1EEST_IbLb0EEEEDaSP_SQ_EUlSP_E0_NS1_11comp_targetILNS1_3genE9ELNS1_11target_archE1100ELNS1_3gpuE3ELNS1_3repE0EEENS1_30default_config_static_selectorELNS0_4arch9wavefront6targetE1EEEvT1_ ; -- Begin function _ZN7rocprim17ROCPRIM_400000_NS6detail17trampoline_kernelINS0_14default_configENS1_20scan_config_selectorItEEZZNS1_9scan_implILNS1_25lookback_scan_determinismE0ELb1ELb1ES3_N6thrust23THRUST_200600_302600_NS6detail15normal_iteratorINS9_10device_ptrItEEEESE_tNS9_4plusIvEEtEEDaPvRmT3_T4_T5_mT6_P12ihipStream_tbENKUlT_T0_E_clISt17integral_constantIbLb1EEST_IbLb0EEEEDaSP_SQ_EUlSP_E0_NS1_11comp_targetILNS1_3genE9ELNS1_11target_archE1100ELNS1_3gpuE3ELNS1_3repE0EEENS1_30default_config_static_selectorELNS0_4arch9wavefront6targetE1EEEvT1_
	.globl	_ZN7rocprim17ROCPRIM_400000_NS6detail17trampoline_kernelINS0_14default_configENS1_20scan_config_selectorItEEZZNS1_9scan_implILNS1_25lookback_scan_determinismE0ELb1ELb1ES3_N6thrust23THRUST_200600_302600_NS6detail15normal_iteratorINS9_10device_ptrItEEEESE_tNS9_4plusIvEEtEEDaPvRmT3_T4_T5_mT6_P12ihipStream_tbENKUlT_T0_E_clISt17integral_constantIbLb1EEST_IbLb0EEEEDaSP_SQ_EUlSP_E0_NS1_11comp_targetILNS1_3genE9ELNS1_11target_archE1100ELNS1_3gpuE3ELNS1_3repE0EEENS1_30default_config_static_selectorELNS0_4arch9wavefront6targetE1EEEvT1_
	.p2align	8
	.type	_ZN7rocprim17ROCPRIM_400000_NS6detail17trampoline_kernelINS0_14default_configENS1_20scan_config_selectorItEEZZNS1_9scan_implILNS1_25lookback_scan_determinismE0ELb1ELb1ES3_N6thrust23THRUST_200600_302600_NS6detail15normal_iteratorINS9_10device_ptrItEEEESE_tNS9_4plusIvEEtEEDaPvRmT3_T4_T5_mT6_P12ihipStream_tbENKUlT_T0_E_clISt17integral_constantIbLb1EEST_IbLb0EEEEDaSP_SQ_EUlSP_E0_NS1_11comp_targetILNS1_3genE9ELNS1_11target_archE1100ELNS1_3gpuE3ELNS1_3repE0EEENS1_30default_config_static_selectorELNS0_4arch9wavefront6targetE1EEEvT1_,@function
_ZN7rocprim17ROCPRIM_400000_NS6detail17trampoline_kernelINS0_14default_configENS1_20scan_config_selectorItEEZZNS1_9scan_implILNS1_25lookback_scan_determinismE0ELb1ELb1ES3_N6thrust23THRUST_200600_302600_NS6detail15normal_iteratorINS9_10device_ptrItEEEESE_tNS9_4plusIvEEtEEDaPvRmT3_T4_T5_mT6_P12ihipStream_tbENKUlT_T0_E_clISt17integral_constantIbLb1EEST_IbLb0EEEEDaSP_SQ_EUlSP_E0_NS1_11comp_targetILNS1_3genE9ELNS1_11target_archE1100ELNS1_3gpuE3ELNS1_3repE0EEENS1_30default_config_static_selectorELNS0_4arch9wavefront6targetE1EEEvT1_: ; @_ZN7rocprim17ROCPRIM_400000_NS6detail17trampoline_kernelINS0_14default_configENS1_20scan_config_selectorItEEZZNS1_9scan_implILNS1_25lookback_scan_determinismE0ELb1ELb1ES3_N6thrust23THRUST_200600_302600_NS6detail15normal_iteratorINS9_10device_ptrItEEEESE_tNS9_4plusIvEEtEEDaPvRmT3_T4_T5_mT6_P12ihipStream_tbENKUlT_T0_E_clISt17integral_constantIbLb1EEST_IbLb0EEEEDaSP_SQ_EUlSP_E0_NS1_11comp_targetILNS1_3genE9ELNS1_11target_archE1100ELNS1_3gpuE3ELNS1_3repE0EEENS1_30default_config_static_selectorELNS0_4arch9wavefront6targetE1EEEvT1_
; %bb.0:
	.section	.rodata,"a",@progbits
	.p2align	6, 0x0
	.amdhsa_kernel _ZN7rocprim17ROCPRIM_400000_NS6detail17trampoline_kernelINS0_14default_configENS1_20scan_config_selectorItEEZZNS1_9scan_implILNS1_25lookback_scan_determinismE0ELb1ELb1ES3_N6thrust23THRUST_200600_302600_NS6detail15normal_iteratorINS9_10device_ptrItEEEESE_tNS9_4plusIvEEtEEDaPvRmT3_T4_T5_mT6_P12ihipStream_tbENKUlT_T0_E_clISt17integral_constantIbLb1EEST_IbLb0EEEEDaSP_SQ_EUlSP_E0_NS1_11comp_targetILNS1_3genE9ELNS1_11target_archE1100ELNS1_3gpuE3ELNS1_3repE0EEENS1_30default_config_static_selectorELNS0_4arch9wavefront6targetE1EEEvT1_
		.amdhsa_group_segment_fixed_size 0
		.amdhsa_private_segment_fixed_size 0
		.amdhsa_kernarg_size 32
		.amdhsa_user_sgpr_count 6
		.amdhsa_user_sgpr_private_segment_buffer 1
		.amdhsa_user_sgpr_dispatch_ptr 0
		.amdhsa_user_sgpr_queue_ptr 0
		.amdhsa_user_sgpr_kernarg_segment_ptr 1
		.amdhsa_user_sgpr_dispatch_id 0
		.amdhsa_user_sgpr_flat_scratch_init 0
		.amdhsa_user_sgpr_kernarg_preload_length 0
		.amdhsa_user_sgpr_kernarg_preload_offset 0
		.amdhsa_user_sgpr_private_segment_size 0
		.amdhsa_uses_dynamic_stack 0
		.amdhsa_system_sgpr_private_segment_wavefront_offset 0
		.amdhsa_system_sgpr_workgroup_id_x 1
		.amdhsa_system_sgpr_workgroup_id_y 0
		.amdhsa_system_sgpr_workgroup_id_z 0
		.amdhsa_system_sgpr_workgroup_info 0
		.amdhsa_system_vgpr_workitem_id 0
		.amdhsa_next_free_vgpr 1
		.amdhsa_next_free_sgpr 0
		.amdhsa_accum_offset 4
		.amdhsa_reserve_vcc 0
		.amdhsa_reserve_flat_scratch 0
		.amdhsa_float_round_mode_32 0
		.amdhsa_float_round_mode_16_64 0
		.amdhsa_float_denorm_mode_32 3
		.amdhsa_float_denorm_mode_16_64 3
		.amdhsa_dx10_clamp 1
		.amdhsa_ieee_mode 1
		.amdhsa_fp16_overflow 0
		.amdhsa_tg_split 0
		.amdhsa_exception_fp_ieee_invalid_op 0
		.amdhsa_exception_fp_denorm_src 0
		.amdhsa_exception_fp_ieee_div_zero 0
		.amdhsa_exception_fp_ieee_overflow 0
		.amdhsa_exception_fp_ieee_underflow 0
		.amdhsa_exception_fp_ieee_inexact 0
		.amdhsa_exception_int_div_zero 0
	.end_amdhsa_kernel
	.section	.text._ZN7rocprim17ROCPRIM_400000_NS6detail17trampoline_kernelINS0_14default_configENS1_20scan_config_selectorItEEZZNS1_9scan_implILNS1_25lookback_scan_determinismE0ELb1ELb1ES3_N6thrust23THRUST_200600_302600_NS6detail15normal_iteratorINS9_10device_ptrItEEEESE_tNS9_4plusIvEEtEEDaPvRmT3_T4_T5_mT6_P12ihipStream_tbENKUlT_T0_E_clISt17integral_constantIbLb1EEST_IbLb0EEEEDaSP_SQ_EUlSP_E0_NS1_11comp_targetILNS1_3genE9ELNS1_11target_archE1100ELNS1_3gpuE3ELNS1_3repE0EEENS1_30default_config_static_selectorELNS0_4arch9wavefront6targetE1EEEvT1_,"axG",@progbits,_ZN7rocprim17ROCPRIM_400000_NS6detail17trampoline_kernelINS0_14default_configENS1_20scan_config_selectorItEEZZNS1_9scan_implILNS1_25lookback_scan_determinismE0ELb1ELb1ES3_N6thrust23THRUST_200600_302600_NS6detail15normal_iteratorINS9_10device_ptrItEEEESE_tNS9_4plusIvEEtEEDaPvRmT3_T4_T5_mT6_P12ihipStream_tbENKUlT_T0_E_clISt17integral_constantIbLb1EEST_IbLb0EEEEDaSP_SQ_EUlSP_E0_NS1_11comp_targetILNS1_3genE9ELNS1_11target_archE1100ELNS1_3gpuE3ELNS1_3repE0EEENS1_30default_config_static_selectorELNS0_4arch9wavefront6targetE1EEEvT1_,comdat
.Lfunc_end4842:
	.size	_ZN7rocprim17ROCPRIM_400000_NS6detail17trampoline_kernelINS0_14default_configENS1_20scan_config_selectorItEEZZNS1_9scan_implILNS1_25lookback_scan_determinismE0ELb1ELb1ES3_N6thrust23THRUST_200600_302600_NS6detail15normal_iteratorINS9_10device_ptrItEEEESE_tNS9_4plusIvEEtEEDaPvRmT3_T4_T5_mT6_P12ihipStream_tbENKUlT_T0_E_clISt17integral_constantIbLb1EEST_IbLb0EEEEDaSP_SQ_EUlSP_E0_NS1_11comp_targetILNS1_3genE9ELNS1_11target_archE1100ELNS1_3gpuE3ELNS1_3repE0EEENS1_30default_config_static_selectorELNS0_4arch9wavefront6targetE1EEEvT1_, .Lfunc_end4842-_ZN7rocprim17ROCPRIM_400000_NS6detail17trampoline_kernelINS0_14default_configENS1_20scan_config_selectorItEEZZNS1_9scan_implILNS1_25lookback_scan_determinismE0ELb1ELb1ES3_N6thrust23THRUST_200600_302600_NS6detail15normal_iteratorINS9_10device_ptrItEEEESE_tNS9_4plusIvEEtEEDaPvRmT3_T4_T5_mT6_P12ihipStream_tbENKUlT_T0_E_clISt17integral_constantIbLb1EEST_IbLb0EEEEDaSP_SQ_EUlSP_E0_NS1_11comp_targetILNS1_3genE9ELNS1_11target_archE1100ELNS1_3gpuE3ELNS1_3repE0EEENS1_30default_config_static_selectorELNS0_4arch9wavefront6targetE1EEEvT1_
                                        ; -- End function
	.section	.AMDGPU.csdata,"",@progbits
; Kernel info:
; codeLenInByte = 0
; NumSgprs: 4
; NumVgprs: 0
; NumAgprs: 0
; TotalNumVgprs: 0
; ScratchSize: 0
; MemoryBound: 0
; FloatMode: 240
; IeeeMode: 1
; LDSByteSize: 0 bytes/workgroup (compile time only)
; SGPRBlocks: 0
; VGPRBlocks: 0
; NumSGPRsForWavesPerEU: 4
; NumVGPRsForWavesPerEU: 1
; AccumOffset: 4
; Occupancy: 8
; WaveLimiterHint : 0
; COMPUTE_PGM_RSRC2:SCRATCH_EN: 0
; COMPUTE_PGM_RSRC2:USER_SGPR: 6
; COMPUTE_PGM_RSRC2:TRAP_HANDLER: 0
; COMPUTE_PGM_RSRC2:TGID_X_EN: 1
; COMPUTE_PGM_RSRC2:TGID_Y_EN: 0
; COMPUTE_PGM_RSRC2:TGID_Z_EN: 0
; COMPUTE_PGM_RSRC2:TIDIG_COMP_CNT: 0
; COMPUTE_PGM_RSRC3_GFX90A:ACCUM_OFFSET: 0
; COMPUTE_PGM_RSRC3_GFX90A:TG_SPLIT: 0
	.section	.text._ZN7rocprim17ROCPRIM_400000_NS6detail17trampoline_kernelINS0_14default_configENS1_20scan_config_selectorItEEZZNS1_9scan_implILNS1_25lookback_scan_determinismE0ELb1ELb1ES3_N6thrust23THRUST_200600_302600_NS6detail15normal_iteratorINS9_10device_ptrItEEEESE_tNS9_4plusIvEEtEEDaPvRmT3_T4_T5_mT6_P12ihipStream_tbENKUlT_T0_E_clISt17integral_constantIbLb1EEST_IbLb0EEEEDaSP_SQ_EUlSP_E0_NS1_11comp_targetILNS1_3genE8ELNS1_11target_archE1030ELNS1_3gpuE2ELNS1_3repE0EEENS1_30default_config_static_selectorELNS0_4arch9wavefront6targetE1EEEvT1_,"axG",@progbits,_ZN7rocprim17ROCPRIM_400000_NS6detail17trampoline_kernelINS0_14default_configENS1_20scan_config_selectorItEEZZNS1_9scan_implILNS1_25lookback_scan_determinismE0ELb1ELb1ES3_N6thrust23THRUST_200600_302600_NS6detail15normal_iteratorINS9_10device_ptrItEEEESE_tNS9_4plusIvEEtEEDaPvRmT3_T4_T5_mT6_P12ihipStream_tbENKUlT_T0_E_clISt17integral_constantIbLb1EEST_IbLb0EEEEDaSP_SQ_EUlSP_E0_NS1_11comp_targetILNS1_3genE8ELNS1_11target_archE1030ELNS1_3gpuE2ELNS1_3repE0EEENS1_30default_config_static_selectorELNS0_4arch9wavefront6targetE1EEEvT1_,comdat
	.protected	_ZN7rocprim17ROCPRIM_400000_NS6detail17trampoline_kernelINS0_14default_configENS1_20scan_config_selectorItEEZZNS1_9scan_implILNS1_25lookback_scan_determinismE0ELb1ELb1ES3_N6thrust23THRUST_200600_302600_NS6detail15normal_iteratorINS9_10device_ptrItEEEESE_tNS9_4plusIvEEtEEDaPvRmT3_T4_T5_mT6_P12ihipStream_tbENKUlT_T0_E_clISt17integral_constantIbLb1EEST_IbLb0EEEEDaSP_SQ_EUlSP_E0_NS1_11comp_targetILNS1_3genE8ELNS1_11target_archE1030ELNS1_3gpuE2ELNS1_3repE0EEENS1_30default_config_static_selectorELNS0_4arch9wavefront6targetE1EEEvT1_ ; -- Begin function _ZN7rocprim17ROCPRIM_400000_NS6detail17trampoline_kernelINS0_14default_configENS1_20scan_config_selectorItEEZZNS1_9scan_implILNS1_25lookback_scan_determinismE0ELb1ELb1ES3_N6thrust23THRUST_200600_302600_NS6detail15normal_iteratorINS9_10device_ptrItEEEESE_tNS9_4plusIvEEtEEDaPvRmT3_T4_T5_mT6_P12ihipStream_tbENKUlT_T0_E_clISt17integral_constantIbLb1EEST_IbLb0EEEEDaSP_SQ_EUlSP_E0_NS1_11comp_targetILNS1_3genE8ELNS1_11target_archE1030ELNS1_3gpuE2ELNS1_3repE0EEENS1_30default_config_static_selectorELNS0_4arch9wavefront6targetE1EEEvT1_
	.globl	_ZN7rocprim17ROCPRIM_400000_NS6detail17trampoline_kernelINS0_14default_configENS1_20scan_config_selectorItEEZZNS1_9scan_implILNS1_25lookback_scan_determinismE0ELb1ELb1ES3_N6thrust23THRUST_200600_302600_NS6detail15normal_iteratorINS9_10device_ptrItEEEESE_tNS9_4plusIvEEtEEDaPvRmT3_T4_T5_mT6_P12ihipStream_tbENKUlT_T0_E_clISt17integral_constantIbLb1EEST_IbLb0EEEEDaSP_SQ_EUlSP_E0_NS1_11comp_targetILNS1_3genE8ELNS1_11target_archE1030ELNS1_3gpuE2ELNS1_3repE0EEENS1_30default_config_static_selectorELNS0_4arch9wavefront6targetE1EEEvT1_
	.p2align	8
	.type	_ZN7rocprim17ROCPRIM_400000_NS6detail17trampoline_kernelINS0_14default_configENS1_20scan_config_selectorItEEZZNS1_9scan_implILNS1_25lookback_scan_determinismE0ELb1ELb1ES3_N6thrust23THRUST_200600_302600_NS6detail15normal_iteratorINS9_10device_ptrItEEEESE_tNS9_4plusIvEEtEEDaPvRmT3_T4_T5_mT6_P12ihipStream_tbENKUlT_T0_E_clISt17integral_constantIbLb1EEST_IbLb0EEEEDaSP_SQ_EUlSP_E0_NS1_11comp_targetILNS1_3genE8ELNS1_11target_archE1030ELNS1_3gpuE2ELNS1_3repE0EEENS1_30default_config_static_selectorELNS0_4arch9wavefront6targetE1EEEvT1_,@function
_ZN7rocprim17ROCPRIM_400000_NS6detail17trampoline_kernelINS0_14default_configENS1_20scan_config_selectorItEEZZNS1_9scan_implILNS1_25lookback_scan_determinismE0ELb1ELb1ES3_N6thrust23THRUST_200600_302600_NS6detail15normal_iteratorINS9_10device_ptrItEEEESE_tNS9_4plusIvEEtEEDaPvRmT3_T4_T5_mT6_P12ihipStream_tbENKUlT_T0_E_clISt17integral_constantIbLb1EEST_IbLb0EEEEDaSP_SQ_EUlSP_E0_NS1_11comp_targetILNS1_3genE8ELNS1_11target_archE1030ELNS1_3gpuE2ELNS1_3repE0EEENS1_30default_config_static_selectorELNS0_4arch9wavefront6targetE1EEEvT1_: ; @_ZN7rocprim17ROCPRIM_400000_NS6detail17trampoline_kernelINS0_14default_configENS1_20scan_config_selectorItEEZZNS1_9scan_implILNS1_25lookback_scan_determinismE0ELb1ELb1ES3_N6thrust23THRUST_200600_302600_NS6detail15normal_iteratorINS9_10device_ptrItEEEESE_tNS9_4plusIvEEtEEDaPvRmT3_T4_T5_mT6_P12ihipStream_tbENKUlT_T0_E_clISt17integral_constantIbLb1EEST_IbLb0EEEEDaSP_SQ_EUlSP_E0_NS1_11comp_targetILNS1_3genE8ELNS1_11target_archE1030ELNS1_3gpuE2ELNS1_3repE0EEENS1_30default_config_static_selectorELNS0_4arch9wavefront6targetE1EEEvT1_
; %bb.0:
	.section	.rodata,"a",@progbits
	.p2align	6, 0x0
	.amdhsa_kernel _ZN7rocprim17ROCPRIM_400000_NS6detail17trampoline_kernelINS0_14default_configENS1_20scan_config_selectorItEEZZNS1_9scan_implILNS1_25lookback_scan_determinismE0ELb1ELb1ES3_N6thrust23THRUST_200600_302600_NS6detail15normal_iteratorINS9_10device_ptrItEEEESE_tNS9_4plusIvEEtEEDaPvRmT3_T4_T5_mT6_P12ihipStream_tbENKUlT_T0_E_clISt17integral_constantIbLb1EEST_IbLb0EEEEDaSP_SQ_EUlSP_E0_NS1_11comp_targetILNS1_3genE8ELNS1_11target_archE1030ELNS1_3gpuE2ELNS1_3repE0EEENS1_30default_config_static_selectorELNS0_4arch9wavefront6targetE1EEEvT1_
		.amdhsa_group_segment_fixed_size 0
		.amdhsa_private_segment_fixed_size 0
		.amdhsa_kernarg_size 32
		.amdhsa_user_sgpr_count 6
		.amdhsa_user_sgpr_private_segment_buffer 1
		.amdhsa_user_sgpr_dispatch_ptr 0
		.amdhsa_user_sgpr_queue_ptr 0
		.amdhsa_user_sgpr_kernarg_segment_ptr 1
		.amdhsa_user_sgpr_dispatch_id 0
		.amdhsa_user_sgpr_flat_scratch_init 0
		.amdhsa_user_sgpr_kernarg_preload_length 0
		.amdhsa_user_sgpr_kernarg_preload_offset 0
		.amdhsa_user_sgpr_private_segment_size 0
		.amdhsa_uses_dynamic_stack 0
		.amdhsa_system_sgpr_private_segment_wavefront_offset 0
		.amdhsa_system_sgpr_workgroup_id_x 1
		.amdhsa_system_sgpr_workgroup_id_y 0
		.amdhsa_system_sgpr_workgroup_id_z 0
		.amdhsa_system_sgpr_workgroup_info 0
		.amdhsa_system_vgpr_workitem_id 0
		.amdhsa_next_free_vgpr 1
		.amdhsa_next_free_sgpr 0
		.amdhsa_accum_offset 4
		.amdhsa_reserve_vcc 0
		.amdhsa_reserve_flat_scratch 0
		.amdhsa_float_round_mode_32 0
		.amdhsa_float_round_mode_16_64 0
		.amdhsa_float_denorm_mode_32 3
		.amdhsa_float_denorm_mode_16_64 3
		.amdhsa_dx10_clamp 1
		.amdhsa_ieee_mode 1
		.amdhsa_fp16_overflow 0
		.amdhsa_tg_split 0
		.amdhsa_exception_fp_ieee_invalid_op 0
		.amdhsa_exception_fp_denorm_src 0
		.amdhsa_exception_fp_ieee_div_zero 0
		.amdhsa_exception_fp_ieee_overflow 0
		.amdhsa_exception_fp_ieee_underflow 0
		.amdhsa_exception_fp_ieee_inexact 0
		.amdhsa_exception_int_div_zero 0
	.end_amdhsa_kernel
	.section	.text._ZN7rocprim17ROCPRIM_400000_NS6detail17trampoline_kernelINS0_14default_configENS1_20scan_config_selectorItEEZZNS1_9scan_implILNS1_25lookback_scan_determinismE0ELb1ELb1ES3_N6thrust23THRUST_200600_302600_NS6detail15normal_iteratorINS9_10device_ptrItEEEESE_tNS9_4plusIvEEtEEDaPvRmT3_T4_T5_mT6_P12ihipStream_tbENKUlT_T0_E_clISt17integral_constantIbLb1EEST_IbLb0EEEEDaSP_SQ_EUlSP_E0_NS1_11comp_targetILNS1_3genE8ELNS1_11target_archE1030ELNS1_3gpuE2ELNS1_3repE0EEENS1_30default_config_static_selectorELNS0_4arch9wavefront6targetE1EEEvT1_,"axG",@progbits,_ZN7rocprim17ROCPRIM_400000_NS6detail17trampoline_kernelINS0_14default_configENS1_20scan_config_selectorItEEZZNS1_9scan_implILNS1_25lookback_scan_determinismE0ELb1ELb1ES3_N6thrust23THRUST_200600_302600_NS6detail15normal_iteratorINS9_10device_ptrItEEEESE_tNS9_4plusIvEEtEEDaPvRmT3_T4_T5_mT6_P12ihipStream_tbENKUlT_T0_E_clISt17integral_constantIbLb1EEST_IbLb0EEEEDaSP_SQ_EUlSP_E0_NS1_11comp_targetILNS1_3genE8ELNS1_11target_archE1030ELNS1_3gpuE2ELNS1_3repE0EEENS1_30default_config_static_selectorELNS0_4arch9wavefront6targetE1EEEvT1_,comdat
.Lfunc_end4843:
	.size	_ZN7rocprim17ROCPRIM_400000_NS6detail17trampoline_kernelINS0_14default_configENS1_20scan_config_selectorItEEZZNS1_9scan_implILNS1_25lookback_scan_determinismE0ELb1ELb1ES3_N6thrust23THRUST_200600_302600_NS6detail15normal_iteratorINS9_10device_ptrItEEEESE_tNS9_4plusIvEEtEEDaPvRmT3_T4_T5_mT6_P12ihipStream_tbENKUlT_T0_E_clISt17integral_constantIbLb1EEST_IbLb0EEEEDaSP_SQ_EUlSP_E0_NS1_11comp_targetILNS1_3genE8ELNS1_11target_archE1030ELNS1_3gpuE2ELNS1_3repE0EEENS1_30default_config_static_selectorELNS0_4arch9wavefront6targetE1EEEvT1_, .Lfunc_end4843-_ZN7rocprim17ROCPRIM_400000_NS6detail17trampoline_kernelINS0_14default_configENS1_20scan_config_selectorItEEZZNS1_9scan_implILNS1_25lookback_scan_determinismE0ELb1ELb1ES3_N6thrust23THRUST_200600_302600_NS6detail15normal_iteratorINS9_10device_ptrItEEEESE_tNS9_4plusIvEEtEEDaPvRmT3_T4_T5_mT6_P12ihipStream_tbENKUlT_T0_E_clISt17integral_constantIbLb1EEST_IbLb0EEEEDaSP_SQ_EUlSP_E0_NS1_11comp_targetILNS1_3genE8ELNS1_11target_archE1030ELNS1_3gpuE2ELNS1_3repE0EEENS1_30default_config_static_selectorELNS0_4arch9wavefront6targetE1EEEvT1_
                                        ; -- End function
	.section	.AMDGPU.csdata,"",@progbits
; Kernel info:
; codeLenInByte = 0
; NumSgprs: 4
; NumVgprs: 0
; NumAgprs: 0
; TotalNumVgprs: 0
; ScratchSize: 0
; MemoryBound: 0
; FloatMode: 240
; IeeeMode: 1
; LDSByteSize: 0 bytes/workgroup (compile time only)
; SGPRBlocks: 0
; VGPRBlocks: 0
; NumSGPRsForWavesPerEU: 4
; NumVGPRsForWavesPerEU: 1
; AccumOffset: 4
; Occupancy: 8
; WaveLimiterHint : 0
; COMPUTE_PGM_RSRC2:SCRATCH_EN: 0
; COMPUTE_PGM_RSRC2:USER_SGPR: 6
; COMPUTE_PGM_RSRC2:TRAP_HANDLER: 0
; COMPUTE_PGM_RSRC2:TGID_X_EN: 1
; COMPUTE_PGM_RSRC2:TGID_Y_EN: 0
; COMPUTE_PGM_RSRC2:TGID_Z_EN: 0
; COMPUTE_PGM_RSRC2:TIDIG_COMP_CNT: 0
; COMPUTE_PGM_RSRC3_GFX90A:ACCUM_OFFSET: 0
; COMPUTE_PGM_RSRC3_GFX90A:TG_SPLIT: 0
	.section	.text._ZN7rocprim17ROCPRIM_400000_NS6detail17trampoline_kernelINS0_14default_configENS1_20scan_config_selectorItEEZZNS1_9scan_implILNS1_25lookback_scan_determinismE0ELb1ELb1ES3_N6thrust23THRUST_200600_302600_NS6detail15normal_iteratorINS9_10device_ptrItEEEESE_tNS9_4plusIvEEtEEDaPvRmT3_T4_T5_mT6_P12ihipStream_tbENKUlT_T0_E_clISt17integral_constantIbLb0EEST_IbLb1EEEEDaSP_SQ_EUlSP_E_NS1_11comp_targetILNS1_3genE0ELNS1_11target_archE4294967295ELNS1_3gpuE0ELNS1_3repE0EEENS1_30default_config_static_selectorELNS0_4arch9wavefront6targetE1EEEvT1_,"axG",@progbits,_ZN7rocprim17ROCPRIM_400000_NS6detail17trampoline_kernelINS0_14default_configENS1_20scan_config_selectorItEEZZNS1_9scan_implILNS1_25lookback_scan_determinismE0ELb1ELb1ES3_N6thrust23THRUST_200600_302600_NS6detail15normal_iteratorINS9_10device_ptrItEEEESE_tNS9_4plusIvEEtEEDaPvRmT3_T4_T5_mT6_P12ihipStream_tbENKUlT_T0_E_clISt17integral_constantIbLb0EEST_IbLb1EEEEDaSP_SQ_EUlSP_E_NS1_11comp_targetILNS1_3genE0ELNS1_11target_archE4294967295ELNS1_3gpuE0ELNS1_3repE0EEENS1_30default_config_static_selectorELNS0_4arch9wavefront6targetE1EEEvT1_,comdat
	.protected	_ZN7rocprim17ROCPRIM_400000_NS6detail17trampoline_kernelINS0_14default_configENS1_20scan_config_selectorItEEZZNS1_9scan_implILNS1_25lookback_scan_determinismE0ELb1ELb1ES3_N6thrust23THRUST_200600_302600_NS6detail15normal_iteratorINS9_10device_ptrItEEEESE_tNS9_4plusIvEEtEEDaPvRmT3_T4_T5_mT6_P12ihipStream_tbENKUlT_T0_E_clISt17integral_constantIbLb0EEST_IbLb1EEEEDaSP_SQ_EUlSP_E_NS1_11comp_targetILNS1_3genE0ELNS1_11target_archE4294967295ELNS1_3gpuE0ELNS1_3repE0EEENS1_30default_config_static_selectorELNS0_4arch9wavefront6targetE1EEEvT1_ ; -- Begin function _ZN7rocprim17ROCPRIM_400000_NS6detail17trampoline_kernelINS0_14default_configENS1_20scan_config_selectorItEEZZNS1_9scan_implILNS1_25lookback_scan_determinismE0ELb1ELb1ES3_N6thrust23THRUST_200600_302600_NS6detail15normal_iteratorINS9_10device_ptrItEEEESE_tNS9_4plusIvEEtEEDaPvRmT3_T4_T5_mT6_P12ihipStream_tbENKUlT_T0_E_clISt17integral_constantIbLb0EEST_IbLb1EEEEDaSP_SQ_EUlSP_E_NS1_11comp_targetILNS1_3genE0ELNS1_11target_archE4294967295ELNS1_3gpuE0ELNS1_3repE0EEENS1_30default_config_static_selectorELNS0_4arch9wavefront6targetE1EEEvT1_
	.globl	_ZN7rocprim17ROCPRIM_400000_NS6detail17trampoline_kernelINS0_14default_configENS1_20scan_config_selectorItEEZZNS1_9scan_implILNS1_25lookback_scan_determinismE0ELb1ELb1ES3_N6thrust23THRUST_200600_302600_NS6detail15normal_iteratorINS9_10device_ptrItEEEESE_tNS9_4plusIvEEtEEDaPvRmT3_T4_T5_mT6_P12ihipStream_tbENKUlT_T0_E_clISt17integral_constantIbLb0EEST_IbLb1EEEEDaSP_SQ_EUlSP_E_NS1_11comp_targetILNS1_3genE0ELNS1_11target_archE4294967295ELNS1_3gpuE0ELNS1_3repE0EEENS1_30default_config_static_selectorELNS0_4arch9wavefront6targetE1EEEvT1_
	.p2align	8
	.type	_ZN7rocprim17ROCPRIM_400000_NS6detail17trampoline_kernelINS0_14default_configENS1_20scan_config_selectorItEEZZNS1_9scan_implILNS1_25lookback_scan_determinismE0ELb1ELb1ES3_N6thrust23THRUST_200600_302600_NS6detail15normal_iteratorINS9_10device_ptrItEEEESE_tNS9_4plusIvEEtEEDaPvRmT3_T4_T5_mT6_P12ihipStream_tbENKUlT_T0_E_clISt17integral_constantIbLb0EEST_IbLb1EEEEDaSP_SQ_EUlSP_E_NS1_11comp_targetILNS1_3genE0ELNS1_11target_archE4294967295ELNS1_3gpuE0ELNS1_3repE0EEENS1_30default_config_static_selectorELNS0_4arch9wavefront6targetE1EEEvT1_,@function
_ZN7rocprim17ROCPRIM_400000_NS6detail17trampoline_kernelINS0_14default_configENS1_20scan_config_selectorItEEZZNS1_9scan_implILNS1_25lookback_scan_determinismE0ELb1ELb1ES3_N6thrust23THRUST_200600_302600_NS6detail15normal_iteratorINS9_10device_ptrItEEEESE_tNS9_4plusIvEEtEEDaPvRmT3_T4_T5_mT6_P12ihipStream_tbENKUlT_T0_E_clISt17integral_constantIbLb0EEST_IbLb1EEEEDaSP_SQ_EUlSP_E_NS1_11comp_targetILNS1_3genE0ELNS1_11target_archE4294967295ELNS1_3gpuE0ELNS1_3repE0EEENS1_30default_config_static_selectorELNS0_4arch9wavefront6targetE1EEEvT1_: ; @_ZN7rocprim17ROCPRIM_400000_NS6detail17trampoline_kernelINS0_14default_configENS1_20scan_config_selectorItEEZZNS1_9scan_implILNS1_25lookback_scan_determinismE0ELb1ELb1ES3_N6thrust23THRUST_200600_302600_NS6detail15normal_iteratorINS9_10device_ptrItEEEESE_tNS9_4plusIvEEtEEDaPvRmT3_T4_T5_mT6_P12ihipStream_tbENKUlT_T0_E_clISt17integral_constantIbLb0EEST_IbLb1EEEEDaSP_SQ_EUlSP_E_NS1_11comp_targetILNS1_3genE0ELNS1_11target_archE4294967295ELNS1_3gpuE0ELNS1_3repE0EEENS1_30default_config_static_selectorELNS0_4arch9wavefront6targetE1EEEvT1_
; %bb.0:
	.section	.rodata,"a",@progbits
	.p2align	6, 0x0
	.amdhsa_kernel _ZN7rocprim17ROCPRIM_400000_NS6detail17trampoline_kernelINS0_14default_configENS1_20scan_config_selectorItEEZZNS1_9scan_implILNS1_25lookback_scan_determinismE0ELb1ELb1ES3_N6thrust23THRUST_200600_302600_NS6detail15normal_iteratorINS9_10device_ptrItEEEESE_tNS9_4plusIvEEtEEDaPvRmT3_T4_T5_mT6_P12ihipStream_tbENKUlT_T0_E_clISt17integral_constantIbLb0EEST_IbLb1EEEEDaSP_SQ_EUlSP_E_NS1_11comp_targetILNS1_3genE0ELNS1_11target_archE4294967295ELNS1_3gpuE0ELNS1_3repE0EEENS1_30default_config_static_selectorELNS0_4arch9wavefront6targetE1EEEvT1_
		.amdhsa_group_segment_fixed_size 0
		.amdhsa_private_segment_fixed_size 0
		.amdhsa_kernarg_size 96
		.amdhsa_user_sgpr_count 6
		.amdhsa_user_sgpr_private_segment_buffer 1
		.amdhsa_user_sgpr_dispatch_ptr 0
		.amdhsa_user_sgpr_queue_ptr 0
		.amdhsa_user_sgpr_kernarg_segment_ptr 1
		.amdhsa_user_sgpr_dispatch_id 0
		.amdhsa_user_sgpr_flat_scratch_init 0
		.amdhsa_user_sgpr_kernarg_preload_length 0
		.amdhsa_user_sgpr_kernarg_preload_offset 0
		.amdhsa_user_sgpr_private_segment_size 0
		.amdhsa_uses_dynamic_stack 0
		.amdhsa_system_sgpr_private_segment_wavefront_offset 0
		.amdhsa_system_sgpr_workgroup_id_x 1
		.amdhsa_system_sgpr_workgroup_id_y 0
		.amdhsa_system_sgpr_workgroup_id_z 0
		.amdhsa_system_sgpr_workgroup_info 0
		.amdhsa_system_vgpr_workitem_id 0
		.amdhsa_next_free_vgpr 1
		.amdhsa_next_free_sgpr 0
		.amdhsa_accum_offset 4
		.amdhsa_reserve_vcc 0
		.amdhsa_reserve_flat_scratch 0
		.amdhsa_float_round_mode_32 0
		.amdhsa_float_round_mode_16_64 0
		.amdhsa_float_denorm_mode_32 3
		.amdhsa_float_denorm_mode_16_64 3
		.amdhsa_dx10_clamp 1
		.amdhsa_ieee_mode 1
		.amdhsa_fp16_overflow 0
		.amdhsa_tg_split 0
		.amdhsa_exception_fp_ieee_invalid_op 0
		.amdhsa_exception_fp_denorm_src 0
		.amdhsa_exception_fp_ieee_div_zero 0
		.amdhsa_exception_fp_ieee_overflow 0
		.amdhsa_exception_fp_ieee_underflow 0
		.amdhsa_exception_fp_ieee_inexact 0
		.amdhsa_exception_int_div_zero 0
	.end_amdhsa_kernel
	.section	.text._ZN7rocprim17ROCPRIM_400000_NS6detail17trampoline_kernelINS0_14default_configENS1_20scan_config_selectorItEEZZNS1_9scan_implILNS1_25lookback_scan_determinismE0ELb1ELb1ES3_N6thrust23THRUST_200600_302600_NS6detail15normal_iteratorINS9_10device_ptrItEEEESE_tNS9_4plusIvEEtEEDaPvRmT3_T4_T5_mT6_P12ihipStream_tbENKUlT_T0_E_clISt17integral_constantIbLb0EEST_IbLb1EEEEDaSP_SQ_EUlSP_E_NS1_11comp_targetILNS1_3genE0ELNS1_11target_archE4294967295ELNS1_3gpuE0ELNS1_3repE0EEENS1_30default_config_static_selectorELNS0_4arch9wavefront6targetE1EEEvT1_,"axG",@progbits,_ZN7rocprim17ROCPRIM_400000_NS6detail17trampoline_kernelINS0_14default_configENS1_20scan_config_selectorItEEZZNS1_9scan_implILNS1_25lookback_scan_determinismE0ELb1ELb1ES3_N6thrust23THRUST_200600_302600_NS6detail15normal_iteratorINS9_10device_ptrItEEEESE_tNS9_4plusIvEEtEEDaPvRmT3_T4_T5_mT6_P12ihipStream_tbENKUlT_T0_E_clISt17integral_constantIbLb0EEST_IbLb1EEEEDaSP_SQ_EUlSP_E_NS1_11comp_targetILNS1_3genE0ELNS1_11target_archE4294967295ELNS1_3gpuE0ELNS1_3repE0EEENS1_30default_config_static_selectorELNS0_4arch9wavefront6targetE1EEEvT1_,comdat
.Lfunc_end4844:
	.size	_ZN7rocprim17ROCPRIM_400000_NS6detail17trampoline_kernelINS0_14default_configENS1_20scan_config_selectorItEEZZNS1_9scan_implILNS1_25lookback_scan_determinismE0ELb1ELb1ES3_N6thrust23THRUST_200600_302600_NS6detail15normal_iteratorINS9_10device_ptrItEEEESE_tNS9_4plusIvEEtEEDaPvRmT3_T4_T5_mT6_P12ihipStream_tbENKUlT_T0_E_clISt17integral_constantIbLb0EEST_IbLb1EEEEDaSP_SQ_EUlSP_E_NS1_11comp_targetILNS1_3genE0ELNS1_11target_archE4294967295ELNS1_3gpuE0ELNS1_3repE0EEENS1_30default_config_static_selectorELNS0_4arch9wavefront6targetE1EEEvT1_, .Lfunc_end4844-_ZN7rocprim17ROCPRIM_400000_NS6detail17trampoline_kernelINS0_14default_configENS1_20scan_config_selectorItEEZZNS1_9scan_implILNS1_25lookback_scan_determinismE0ELb1ELb1ES3_N6thrust23THRUST_200600_302600_NS6detail15normal_iteratorINS9_10device_ptrItEEEESE_tNS9_4plusIvEEtEEDaPvRmT3_T4_T5_mT6_P12ihipStream_tbENKUlT_T0_E_clISt17integral_constantIbLb0EEST_IbLb1EEEEDaSP_SQ_EUlSP_E_NS1_11comp_targetILNS1_3genE0ELNS1_11target_archE4294967295ELNS1_3gpuE0ELNS1_3repE0EEENS1_30default_config_static_selectorELNS0_4arch9wavefront6targetE1EEEvT1_
                                        ; -- End function
	.section	.AMDGPU.csdata,"",@progbits
; Kernel info:
; codeLenInByte = 0
; NumSgprs: 4
; NumVgprs: 0
; NumAgprs: 0
; TotalNumVgprs: 0
; ScratchSize: 0
; MemoryBound: 0
; FloatMode: 240
; IeeeMode: 1
; LDSByteSize: 0 bytes/workgroup (compile time only)
; SGPRBlocks: 0
; VGPRBlocks: 0
; NumSGPRsForWavesPerEU: 4
; NumVGPRsForWavesPerEU: 1
; AccumOffset: 4
; Occupancy: 8
; WaveLimiterHint : 0
; COMPUTE_PGM_RSRC2:SCRATCH_EN: 0
; COMPUTE_PGM_RSRC2:USER_SGPR: 6
; COMPUTE_PGM_RSRC2:TRAP_HANDLER: 0
; COMPUTE_PGM_RSRC2:TGID_X_EN: 1
; COMPUTE_PGM_RSRC2:TGID_Y_EN: 0
; COMPUTE_PGM_RSRC2:TGID_Z_EN: 0
; COMPUTE_PGM_RSRC2:TIDIG_COMP_CNT: 0
; COMPUTE_PGM_RSRC3_GFX90A:ACCUM_OFFSET: 0
; COMPUTE_PGM_RSRC3_GFX90A:TG_SPLIT: 0
	.section	.text._ZN7rocprim17ROCPRIM_400000_NS6detail17trampoline_kernelINS0_14default_configENS1_20scan_config_selectorItEEZZNS1_9scan_implILNS1_25lookback_scan_determinismE0ELb1ELb1ES3_N6thrust23THRUST_200600_302600_NS6detail15normal_iteratorINS9_10device_ptrItEEEESE_tNS9_4plusIvEEtEEDaPvRmT3_T4_T5_mT6_P12ihipStream_tbENKUlT_T0_E_clISt17integral_constantIbLb0EEST_IbLb1EEEEDaSP_SQ_EUlSP_E_NS1_11comp_targetILNS1_3genE5ELNS1_11target_archE942ELNS1_3gpuE9ELNS1_3repE0EEENS1_30default_config_static_selectorELNS0_4arch9wavefront6targetE1EEEvT1_,"axG",@progbits,_ZN7rocprim17ROCPRIM_400000_NS6detail17trampoline_kernelINS0_14default_configENS1_20scan_config_selectorItEEZZNS1_9scan_implILNS1_25lookback_scan_determinismE0ELb1ELb1ES3_N6thrust23THRUST_200600_302600_NS6detail15normal_iteratorINS9_10device_ptrItEEEESE_tNS9_4plusIvEEtEEDaPvRmT3_T4_T5_mT6_P12ihipStream_tbENKUlT_T0_E_clISt17integral_constantIbLb0EEST_IbLb1EEEEDaSP_SQ_EUlSP_E_NS1_11comp_targetILNS1_3genE5ELNS1_11target_archE942ELNS1_3gpuE9ELNS1_3repE0EEENS1_30default_config_static_selectorELNS0_4arch9wavefront6targetE1EEEvT1_,comdat
	.protected	_ZN7rocprim17ROCPRIM_400000_NS6detail17trampoline_kernelINS0_14default_configENS1_20scan_config_selectorItEEZZNS1_9scan_implILNS1_25lookback_scan_determinismE0ELb1ELb1ES3_N6thrust23THRUST_200600_302600_NS6detail15normal_iteratorINS9_10device_ptrItEEEESE_tNS9_4plusIvEEtEEDaPvRmT3_T4_T5_mT6_P12ihipStream_tbENKUlT_T0_E_clISt17integral_constantIbLb0EEST_IbLb1EEEEDaSP_SQ_EUlSP_E_NS1_11comp_targetILNS1_3genE5ELNS1_11target_archE942ELNS1_3gpuE9ELNS1_3repE0EEENS1_30default_config_static_selectorELNS0_4arch9wavefront6targetE1EEEvT1_ ; -- Begin function _ZN7rocprim17ROCPRIM_400000_NS6detail17trampoline_kernelINS0_14default_configENS1_20scan_config_selectorItEEZZNS1_9scan_implILNS1_25lookback_scan_determinismE0ELb1ELb1ES3_N6thrust23THRUST_200600_302600_NS6detail15normal_iteratorINS9_10device_ptrItEEEESE_tNS9_4plusIvEEtEEDaPvRmT3_T4_T5_mT6_P12ihipStream_tbENKUlT_T0_E_clISt17integral_constantIbLb0EEST_IbLb1EEEEDaSP_SQ_EUlSP_E_NS1_11comp_targetILNS1_3genE5ELNS1_11target_archE942ELNS1_3gpuE9ELNS1_3repE0EEENS1_30default_config_static_selectorELNS0_4arch9wavefront6targetE1EEEvT1_
	.globl	_ZN7rocprim17ROCPRIM_400000_NS6detail17trampoline_kernelINS0_14default_configENS1_20scan_config_selectorItEEZZNS1_9scan_implILNS1_25lookback_scan_determinismE0ELb1ELb1ES3_N6thrust23THRUST_200600_302600_NS6detail15normal_iteratorINS9_10device_ptrItEEEESE_tNS9_4plusIvEEtEEDaPvRmT3_T4_T5_mT6_P12ihipStream_tbENKUlT_T0_E_clISt17integral_constantIbLb0EEST_IbLb1EEEEDaSP_SQ_EUlSP_E_NS1_11comp_targetILNS1_3genE5ELNS1_11target_archE942ELNS1_3gpuE9ELNS1_3repE0EEENS1_30default_config_static_selectorELNS0_4arch9wavefront6targetE1EEEvT1_
	.p2align	8
	.type	_ZN7rocprim17ROCPRIM_400000_NS6detail17trampoline_kernelINS0_14default_configENS1_20scan_config_selectorItEEZZNS1_9scan_implILNS1_25lookback_scan_determinismE0ELb1ELb1ES3_N6thrust23THRUST_200600_302600_NS6detail15normal_iteratorINS9_10device_ptrItEEEESE_tNS9_4plusIvEEtEEDaPvRmT3_T4_T5_mT6_P12ihipStream_tbENKUlT_T0_E_clISt17integral_constantIbLb0EEST_IbLb1EEEEDaSP_SQ_EUlSP_E_NS1_11comp_targetILNS1_3genE5ELNS1_11target_archE942ELNS1_3gpuE9ELNS1_3repE0EEENS1_30default_config_static_selectorELNS0_4arch9wavefront6targetE1EEEvT1_,@function
_ZN7rocprim17ROCPRIM_400000_NS6detail17trampoline_kernelINS0_14default_configENS1_20scan_config_selectorItEEZZNS1_9scan_implILNS1_25lookback_scan_determinismE0ELb1ELb1ES3_N6thrust23THRUST_200600_302600_NS6detail15normal_iteratorINS9_10device_ptrItEEEESE_tNS9_4plusIvEEtEEDaPvRmT3_T4_T5_mT6_P12ihipStream_tbENKUlT_T0_E_clISt17integral_constantIbLb0EEST_IbLb1EEEEDaSP_SQ_EUlSP_E_NS1_11comp_targetILNS1_3genE5ELNS1_11target_archE942ELNS1_3gpuE9ELNS1_3repE0EEENS1_30default_config_static_selectorELNS0_4arch9wavefront6targetE1EEEvT1_: ; @_ZN7rocprim17ROCPRIM_400000_NS6detail17trampoline_kernelINS0_14default_configENS1_20scan_config_selectorItEEZZNS1_9scan_implILNS1_25lookback_scan_determinismE0ELb1ELb1ES3_N6thrust23THRUST_200600_302600_NS6detail15normal_iteratorINS9_10device_ptrItEEEESE_tNS9_4plusIvEEtEEDaPvRmT3_T4_T5_mT6_P12ihipStream_tbENKUlT_T0_E_clISt17integral_constantIbLb0EEST_IbLb1EEEEDaSP_SQ_EUlSP_E_NS1_11comp_targetILNS1_3genE5ELNS1_11target_archE942ELNS1_3gpuE9ELNS1_3repE0EEENS1_30default_config_static_selectorELNS0_4arch9wavefront6targetE1EEEvT1_
; %bb.0:
	.section	.rodata,"a",@progbits
	.p2align	6, 0x0
	.amdhsa_kernel _ZN7rocprim17ROCPRIM_400000_NS6detail17trampoline_kernelINS0_14default_configENS1_20scan_config_selectorItEEZZNS1_9scan_implILNS1_25lookback_scan_determinismE0ELb1ELb1ES3_N6thrust23THRUST_200600_302600_NS6detail15normal_iteratorINS9_10device_ptrItEEEESE_tNS9_4plusIvEEtEEDaPvRmT3_T4_T5_mT6_P12ihipStream_tbENKUlT_T0_E_clISt17integral_constantIbLb0EEST_IbLb1EEEEDaSP_SQ_EUlSP_E_NS1_11comp_targetILNS1_3genE5ELNS1_11target_archE942ELNS1_3gpuE9ELNS1_3repE0EEENS1_30default_config_static_selectorELNS0_4arch9wavefront6targetE1EEEvT1_
		.amdhsa_group_segment_fixed_size 0
		.amdhsa_private_segment_fixed_size 0
		.amdhsa_kernarg_size 96
		.amdhsa_user_sgpr_count 6
		.amdhsa_user_sgpr_private_segment_buffer 1
		.amdhsa_user_sgpr_dispatch_ptr 0
		.amdhsa_user_sgpr_queue_ptr 0
		.amdhsa_user_sgpr_kernarg_segment_ptr 1
		.amdhsa_user_sgpr_dispatch_id 0
		.amdhsa_user_sgpr_flat_scratch_init 0
		.amdhsa_user_sgpr_kernarg_preload_length 0
		.amdhsa_user_sgpr_kernarg_preload_offset 0
		.amdhsa_user_sgpr_private_segment_size 0
		.amdhsa_uses_dynamic_stack 0
		.amdhsa_system_sgpr_private_segment_wavefront_offset 0
		.amdhsa_system_sgpr_workgroup_id_x 1
		.amdhsa_system_sgpr_workgroup_id_y 0
		.amdhsa_system_sgpr_workgroup_id_z 0
		.amdhsa_system_sgpr_workgroup_info 0
		.amdhsa_system_vgpr_workitem_id 0
		.amdhsa_next_free_vgpr 1
		.amdhsa_next_free_sgpr 0
		.amdhsa_accum_offset 4
		.amdhsa_reserve_vcc 0
		.amdhsa_reserve_flat_scratch 0
		.amdhsa_float_round_mode_32 0
		.amdhsa_float_round_mode_16_64 0
		.amdhsa_float_denorm_mode_32 3
		.amdhsa_float_denorm_mode_16_64 3
		.amdhsa_dx10_clamp 1
		.amdhsa_ieee_mode 1
		.amdhsa_fp16_overflow 0
		.amdhsa_tg_split 0
		.amdhsa_exception_fp_ieee_invalid_op 0
		.amdhsa_exception_fp_denorm_src 0
		.amdhsa_exception_fp_ieee_div_zero 0
		.amdhsa_exception_fp_ieee_overflow 0
		.amdhsa_exception_fp_ieee_underflow 0
		.amdhsa_exception_fp_ieee_inexact 0
		.amdhsa_exception_int_div_zero 0
	.end_amdhsa_kernel
	.section	.text._ZN7rocprim17ROCPRIM_400000_NS6detail17trampoline_kernelINS0_14default_configENS1_20scan_config_selectorItEEZZNS1_9scan_implILNS1_25lookback_scan_determinismE0ELb1ELb1ES3_N6thrust23THRUST_200600_302600_NS6detail15normal_iteratorINS9_10device_ptrItEEEESE_tNS9_4plusIvEEtEEDaPvRmT3_T4_T5_mT6_P12ihipStream_tbENKUlT_T0_E_clISt17integral_constantIbLb0EEST_IbLb1EEEEDaSP_SQ_EUlSP_E_NS1_11comp_targetILNS1_3genE5ELNS1_11target_archE942ELNS1_3gpuE9ELNS1_3repE0EEENS1_30default_config_static_selectorELNS0_4arch9wavefront6targetE1EEEvT1_,"axG",@progbits,_ZN7rocprim17ROCPRIM_400000_NS6detail17trampoline_kernelINS0_14default_configENS1_20scan_config_selectorItEEZZNS1_9scan_implILNS1_25lookback_scan_determinismE0ELb1ELb1ES3_N6thrust23THRUST_200600_302600_NS6detail15normal_iteratorINS9_10device_ptrItEEEESE_tNS9_4plusIvEEtEEDaPvRmT3_T4_T5_mT6_P12ihipStream_tbENKUlT_T0_E_clISt17integral_constantIbLb0EEST_IbLb1EEEEDaSP_SQ_EUlSP_E_NS1_11comp_targetILNS1_3genE5ELNS1_11target_archE942ELNS1_3gpuE9ELNS1_3repE0EEENS1_30default_config_static_selectorELNS0_4arch9wavefront6targetE1EEEvT1_,comdat
.Lfunc_end4845:
	.size	_ZN7rocprim17ROCPRIM_400000_NS6detail17trampoline_kernelINS0_14default_configENS1_20scan_config_selectorItEEZZNS1_9scan_implILNS1_25lookback_scan_determinismE0ELb1ELb1ES3_N6thrust23THRUST_200600_302600_NS6detail15normal_iteratorINS9_10device_ptrItEEEESE_tNS9_4plusIvEEtEEDaPvRmT3_T4_T5_mT6_P12ihipStream_tbENKUlT_T0_E_clISt17integral_constantIbLb0EEST_IbLb1EEEEDaSP_SQ_EUlSP_E_NS1_11comp_targetILNS1_3genE5ELNS1_11target_archE942ELNS1_3gpuE9ELNS1_3repE0EEENS1_30default_config_static_selectorELNS0_4arch9wavefront6targetE1EEEvT1_, .Lfunc_end4845-_ZN7rocprim17ROCPRIM_400000_NS6detail17trampoline_kernelINS0_14default_configENS1_20scan_config_selectorItEEZZNS1_9scan_implILNS1_25lookback_scan_determinismE0ELb1ELb1ES3_N6thrust23THRUST_200600_302600_NS6detail15normal_iteratorINS9_10device_ptrItEEEESE_tNS9_4plusIvEEtEEDaPvRmT3_T4_T5_mT6_P12ihipStream_tbENKUlT_T0_E_clISt17integral_constantIbLb0EEST_IbLb1EEEEDaSP_SQ_EUlSP_E_NS1_11comp_targetILNS1_3genE5ELNS1_11target_archE942ELNS1_3gpuE9ELNS1_3repE0EEENS1_30default_config_static_selectorELNS0_4arch9wavefront6targetE1EEEvT1_
                                        ; -- End function
	.section	.AMDGPU.csdata,"",@progbits
; Kernel info:
; codeLenInByte = 0
; NumSgprs: 4
; NumVgprs: 0
; NumAgprs: 0
; TotalNumVgprs: 0
; ScratchSize: 0
; MemoryBound: 0
; FloatMode: 240
; IeeeMode: 1
; LDSByteSize: 0 bytes/workgroup (compile time only)
; SGPRBlocks: 0
; VGPRBlocks: 0
; NumSGPRsForWavesPerEU: 4
; NumVGPRsForWavesPerEU: 1
; AccumOffset: 4
; Occupancy: 8
; WaveLimiterHint : 0
; COMPUTE_PGM_RSRC2:SCRATCH_EN: 0
; COMPUTE_PGM_RSRC2:USER_SGPR: 6
; COMPUTE_PGM_RSRC2:TRAP_HANDLER: 0
; COMPUTE_PGM_RSRC2:TGID_X_EN: 1
; COMPUTE_PGM_RSRC2:TGID_Y_EN: 0
; COMPUTE_PGM_RSRC2:TGID_Z_EN: 0
; COMPUTE_PGM_RSRC2:TIDIG_COMP_CNT: 0
; COMPUTE_PGM_RSRC3_GFX90A:ACCUM_OFFSET: 0
; COMPUTE_PGM_RSRC3_GFX90A:TG_SPLIT: 0
	.section	.text._ZN7rocprim17ROCPRIM_400000_NS6detail17trampoline_kernelINS0_14default_configENS1_20scan_config_selectorItEEZZNS1_9scan_implILNS1_25lookback_scan_determinismE0ELb1ELb1ES3_N6thrust23THRUST_200600_302600_NS6detail15normal_iteratorINS9_10device_ptrItEEEESE_tNS9_4plusIvEEtEEDaPvRmT3_T4_T5_mT6_P12ihipStream_tbENKUlT_T0_E_clISt17integral_constantIbLb0EEST_IbLb1EEEEDaSP_SQ_EUlSP_E_NS1_11comp_targetILNS1_3genE4ELNS1_11target_archE910ELNS1_3gpuE8ELNS1_3repE0EEENS1_30default_config_static_selectorELNS0_4arch9wavefront6targetE1EEEvT1_,"axG",@progbits,_ZN7rocprim17ROCPRIM_400000_NS6detail17trampoline_kernelINS0_14default_configENS1_20scan_config_selectorItEEZZNS1_9scan_implILNS1_25lookback_scan_determinismE0ELb1ELb1ES3_N6thrust23THRUST_200600_302600_NS6detail15normal_iteratorINS9_10device_ptrItEEEESE_tNS9_4plusIvEEtEEDaPvRmT3_T4_T5_mT6_P12ihipStream_tbENKUlT_T0_E_clISt17integral_constantIbLb0EEST_IbLb1EEEEDaSP_SQ_EUlSP_E_NS1_11comp_targetILNS1_3genE4ELNS1_11target_archE910ELNS1_3gpuE8ELNS1_3repE0EEENS1_30default_config_static_selectorELNS0_4arch9wavefront6targetE1EEEvT1_,comdat
	.protected	_ZN7rocprim17ROCPRIM_400000_NS6detail17trampoline_kernelINS0_14default_configENS1_20scan_config_selectorItEEZZNS1_9scan_implILNS1_25lookback_scan_determinismE0ELb1ELb1ES3_N6thrust23THRUST_200600_302600_NS6detail15normal_iteratorINS9_10device_ptrItEEEESE_tNS9_4plusIvEEtEEDaPvRmT3_T4_T5_mT6_P12ihipStream_tbENKUlT_T0_E_clISt17integral_constantIbLb0EEST_IbLb1EEEEDaSP_SQ_EUlSP_E_NS1_11comp_targetILNS1_3genE4ELNS1_11target_archE910ELNS1_3gpuE8ELNS1_3repE0EEENS1_30default_config_static_selectorELNS0_4arch9wavefront6targetE1EEEvT1_ ; -- Begin function _ZN7rocprim17ROCPRIM_400000_NS6detail17trampoline_kernelINS0_14default_configENS1_20scan_config_selectorItEEZZNS1_9scan_implILNS1_25lookback_scan_determinismE0ELb1ELb1ES3_N6thrust23THRUST_200600_302600_NS6detail15normal_iteratorINS9_10device_ptrItEEEESE_tNS9_4plusIvEEtEEDaPvRmT3_T4_T5_mT6_P12ihipStream_tbENKUlT_T0_E_clISt17integral_constantIbLb0EEST_IbLb1EEEEDaSP_SQ_EUlSP_E_NS1_11comp_targetILNS1_3genE4ELNS1_11target_archE910ELNS1_3gpuE8ELNS1_3repE0EEENS1_30default_config_static_selectorELNS0_4arch9wavefront6targetE1EEEvT1_
	.globl	_ZN7rocprim17ROCPRIM_400000_NS6detail17trampoline_kernelINS0_14default_configENS1_20scan_config_selectorItEEZZNS1_9scan_implILNS1_25lookback_scan_determinismE0ELb1ELb1ES3_N6thrust23THRUST_200600_302600_NS6detail15normal_iteratorINS9_10device_ptrItEEEESE_tNS9_4plusIvEEtEEDaPvRmT3_T4_T5_mT6_P12ihipStream_tbENKUlT_T0_E_clISt17integral_constantIbLb0EEST_IbLb1EEEEDaSP_SQ_EUlSP_E_NS1_11comp_targetILNS1_3genE4ELNS1_11target_archE910ELNS1_3gpuE8ELNS1_3repE0EEENS1_30default_config_static_selectorELNS0_4arch9wavefront6targetE1EEEvT1_
	.p2align	8
	.type	_ZN7rocprim17ROCPRIM_400000_NS6detail17trampoline_kernelINS0_14default_configENS1_20scan_config_selectorItEEZZNS1_9scan_implILNS1_25lookback_scan_determinismE0ELb1ELb1ES3_N6thrust23THRUST_200600_302600_NS6detail15normal_iteratorINS9_10device_ptrItEEEESE_tNS9_4plusIvEEtEEDaPvRmT3_T4_T5_mT6_P12ihipStream_tbENKUlT_T0_E_clISt17integral_constantIbLb0EEST_IbLb1EEEEDaSP_SQ_EUlSP_E_NS1_11comp_targetILNS1_3genE4ELNS1_11target_archE910ELNS1_3gpuE8ELNS1_3repE0EEENS1_30default_config_static_selectorELNS0_4arch9wavefront6targetE1EEEvT1_,@function
_ZN7rocprim17ROCPRIM_400000_NS6detail17trampoline_kernelINS0_14default_configENS1_20scan_config_selectorItEEZZNS1_9scan_implILNS1_25lookback_scan_determinismE0ELb1ELb1ES3_N6thrust23THRUST_200600_302600_NS6detail15normal_iteratorINS9_10device_ptrItEEEESE_tNS9_4plusIvEEtEEDaPvRmT3_T4_T5_mT6_P12ihipStream_tbENKUlT_T0_E_clISt17integral_constantIbLb0EEST_IbLb1EEEEDaSP_SQ_EUlSP_E_NS1_11comp_targetILNS1_3genE4ELNS1_11target_archE910ELNS1_3gpuE8ELNS1_3repE0EEENS1_30default_config_static_selectorELNS0_4arch9wavefront6targetE1EEEvT1_: ; @_ZN7rocprim17ROCPRIM_400000_NS6detail17trampoline_kernelINS0_14default_configENS1_20scan_config_selectorItEEZZNS1_9scan_implILNS1_25lookback_scan_determinismE0ELb1ELb1ES3_N6thrust23THRUST_200600_302600_NS6detail15normal_iteratorINS9_10device_ptrItEEEESE_tNS9_4plusIvEEtEEDaPvRmT3_T4_T5_mT6_P12ihipStream_tbENKUlT_T0_E_clISt17integral_constantIbLb0EEST_IbLb1EEEEDaSP_SQ_EUlSP_E_NS1_11comp_targetILNS1_3genE4ELNS1_11target_archE910ELNS1_3gpuE8ELNS1_3repE0EEENS1_30default_config_static_selectorELNS0_4arch9wavefront6targetE1EEEvT1_
; %bb.0:
	s_load_dword s30, s[4:5], 0x20
	s_load_dwordx2 s[24:25], s[4:5], 0x28
	v_cmp_eq_u32_e64 s[0:1], 0, v0
	s_and_saveexec_b64 s[2:3], s[0:1]
	s_cbranch_execz .LBB4846_4
; %bb.1:
	s_mov_b64 s[8:9], exec
	v_mbcnt_lo_u32_b32 v1, s8, 0
	v_mbcnt_hi_u32_b32 v1, s9, v1
	v_cmp_eq_u32_e32 vcc, 0, v1
                                        ; implicit-def: $vgpr2
	s_and_saveexec_b64 s[6:7], vcc
	s_cbranch_execz .LBB4846_3
; %bb.2:
	s_load_dwordx2 s[10:11], s[4:5], 0x58
	s_bcnt1_i32_b64 s8, s[8:9]
	v_mov_b32_e32 v2, 0
	v_mov_b32_e32 v3, s8
	s_waitcnt lgkmcnt(0)
	global_atomic_add v2, v2, v3, s[10:11] glc
.LBB4846_3:
	s_or_b64 exec, exec, s[6:7]
	s_waitcnt vmcnt(0)
	v_readfirstlane_b32 s6, v2
	v_add_u32_e32 v1, s6, v1
	v_mov_b32_e32 v2, 0
	ds_write_b32 v2, v1
.LBB4846_4:
	s_or_b64 exec, exec, s[2:3]
	s_load_dwordx8 s[16:23], s[4:5], 0x0
	s_load_dword s2, s[4:5], 0x30
	s_load_dwordx8 s[8:15], s[4:5], 0x38
	v_mov_b32_e32 v1, 0
	s_waitcnt lgkmcnt(0)
	; wave barrier
	s_waitcnt lgkmcnt(0)
	ds_read_b32 v1, v1
	s_lshl_b64 s[26:27], s[18:19], 1
	s_add_u32 s31, s16, s26
	s_addc_u32 s33, s17, s27
	s_add_i32 s2, s2, -1
	s_mul_i32 s3, s2, 0x600
	s_sub_u32 s28, s22, s3
	s_waitcnt lgkmcnt(0)
	v_readfirstlane_b32 s34, v1
	s_subb_u32 s29, s23, 0
	s_mul_i32 s4, s34, 0x600
	s_mov_b32 s5, 0
	s_cmp_lg_u32 s34, s2
	s_cselect_b64 s[16:17], -1, 0
	s_lshl_b64 s[18:19], s[4:5], 1
	s_add_u32 s4, s31, s18
	s_addc_u32 s5, s33, s19
	s_mov_b64 s[2:3], -1
	s_and_b64 vcc, exec, s[16:17]
	v_lshlrev_b32_e32 v20, 1, v0
	s_waitcnt lgkmcnt(0)
	; wave barrier
	s_cbranch_vccz .LBB4846_6
; %bb.5:
	v_mov_b32_e32 v1, s5
	v_add_co_u32_e32 v2, vcc, s4, v20
	v_addc_co_u32_e32 v3, vcc, 0, v1, vcc
	flat_load_ushort v1, v[2:3]
	flat_load_ushort v4, v[2:3] offset:128
	flat_load_ushort v5, v[2:3] offset:256
	flat_load_ushort v6, v[2:3] offset:384
	flat_load_ushort v7, v[2:3] offset:512
	flat_load_ushort v8, v[2:3] offset:640
	flat_load_ushort v9, v[2:3] offset:768
	flat_load_ushort v10, v[2:3] offset:896
	flat_load_ushort v11, v[2:3] offset:1024
	flat_load_ushort v12, v[2:3] offset:1152
	flat_load_ushort v13, v[2:3] offset:1280
	flat_load_ushort v14, v[2:3] offset:1408
	flat_load_ushort v15, v[2:3] offset:1536
	flat_load_ushort v16, v[2:3] offset:1664
	flat_load_ushort v17, v[2:3] offset:1792
	flat_load_ushort v18, v[2:3] offset:1920
	flat_load_ushort v19, v[2:3] offset:2048
	flat_load_ushort v21, v[2:3] offset:2176
	flat_load_ushort v22, v[2:3] offset:2304
	flat_load_ushort v23, v[2:3] offset:2432
	flat_load_ushort v24, v[2:3] offset:2560
	flat_load_ushort v25, v[2:3] offset:2688
	flat_load_ushort v26, v[2:3] offset:2816
	flat_load_ushort v27, v[2:3] offset:2944
	s_mov_b64 s[2:3], 0
	s_waitcnt vmcnt(0) lgkmcnt(0)
	ds_write_b16 v20, v1
	ds_write_b16 v20, v4 offset:128
	ds_write_b16 v20, v5 offset:256
	;; [unrolled: 1-line block ×23, first 2 shown]
	s_waitcnt lgkmcnt(0)
	; wave barrier
.LBB4846_6:
	s_andn2_b64 vcc, exec, s[2:3]
	v_cmp_gt_u32_e64 s[2:3], s28, v0
	s_cbranch_vccnz .LBB4846_56
; %bb.7:
	v_pk_mov_b32 v[2:3], s[4:5], s[4:5] op_sel:[0,1]
	flat_load_ushort v1, v[2:3]
	s_waitcnt vmcnt(0) lgkmcnt(0)
	v_mov_b32_e32 v2, v1
	s_and_saveexec_b64 s[6:7], s[2:3]
	s_cbranch_execz .LBB4846_9
; %bb.8:
	v_mov_b32_e32 v3, s5
	v_add_co_u32_e32 v2, vcc, s4, v20
	v_addc_co_u32_e32 v3, vcc, 0, v3, vcc
	flat_load_ushort v2, v[2:3]
.LBB4846_9:
	s_or_b64 exec, exec, s[6:7]
	v_or_b32_e32 v3, 64, v0
	v_cmp_gt_u32_e32 vcc, s28, v3
	v_mov_b32_e32 v3, v1
	s_and_saveexec_b64 s[2:3], vcc
	s_cbranch_execz .LBB4846_11
; %bb.10:
	v_mov_b32_e32 v3, s5
	v_add_co_u32_e32 v4, vcc, s4, v20
	v_addc_co_u32_e32 v5, vcc, 0, v3, vcc
	flat_load_ushort v3, v[4:5] offset:128
.LBB4846_11:
	s_or_b64 exec, exec, s[2:3]
	v_or_b32_e32 v4, 0x80, v0
	v_cmp_gt_u32_e32 vcc, s28, v4
	v_mov_b32_e32 v4, v1
	s_and_saveexec_b64 s[2:3], vcc
	s_cbranch_execz .LBB4846_13
; %bb.12:
	v_mov_b32_e32 v5, s5
	v_add_co_u32_e32 v4, vcc, s4, v20
	v_addc_co_u32_e32 v5, vcc, 0, v5, vcc
	flat_load_ushort v4, v[4:5] offset:256
.LBB4846_13:
	;; [unrolled: 12-line block ×22, first 2 shown]
	s_or_b64 exec, exec, s[2:3]
	v_or_b32_e32 v26, 0x5c0, v0
	v_cmp_gt_u32_e32 vcc, s28, v26
	s_and_saveexec_b64 s[2:3], vcc
	s_cbranch_execz .LBB4846_55
; %bb.54:
	v_mov_b32_e32 v1, s5
	v_add_co_u32_e32 v26, vcc, s4, v20
	v_addc_co_u32_e32 v27, vcc, 0, v1, vcc
	flat_load_ushort v1, v[26:27] offset:2944
.LBB4846_55:
	s_or_b64 exec, exec, s[2:3]
	s_waitcnt vmcnt(0) lgkmcnt(0)
	ds_write_b16 v20, v2
	ds_write_b16 v20, v3 offset:128
	ds_write_b16 v20, v4 offset:256
	;; [unrolled: 1-line block ×23, first 2 shown]
	s_waitcnt lgkmcnt(0)
	; wave barrier
.LBB4846_56:
	v_mul_u32_u24_e32 v21, 24, v0
	v_lshlrev_b32_e32 v1, 1, v21
	s_waitcnt lgkmcnt(0)
	ds_read_b128 v[10:13], v1
	ds_read_b128 v[6:9], v1 offset:16
	ds_read_b128 v[2:5], v1 offset:32
	s_cmp_lg_u32 s34, 0
	v_mbcnt_lo_u32_b32 v22, -1, 0
	s_waitcnt lgkmcnt(2)
	v_add_u16_sdwa v14, v10, v10 dst_sel:DWORD dst_unused:UNUSED_PAD src0_sel:WORD_1 src1_sel:DWORD
	v_add_u16_e32 v23, v14, v11
	v_cmp_eq_u32_e32 vcc, 63, v0
	s_waitcnt lgkmcnt(0)
	; wave barrier
	s_waitcnt lgkmcnt(0)
	s_cbranch_scc0 .LBB4846_79
; %bb.57:
	v_add_u16_sdwa v14, v23, v11 dst_sel:DWORD dst_unused:UNUSED_PAD src0_sel:DWORD src1_sel:WORD_1
	v_add_u16_e32 v14, v14, v12
	v_add_u16_sdwa v14, v14, v12 dst_sel:DWORD dst_unused:UNUSED_PAD src0_sel:DWORD src1_sel:WORD_1
	v_add_u16_e32 v14, v14, v13
	v_add_u16_sdwa v14, v14, v13 dst_sel:DWORD dst_unused:UNUSED_PAD src0_sel:DWORD src1_sel:WORD_1
	v_add_u16_e32 v14, v14, v6
	v_add_u16_sdwa v14, v14, v6 dst_sel:DWORD dst_unused:UNUSED_PAD src0_sel:DWORD src1_sel:WORD_1
	v_add_u16_e32 v14, v14, v7
	v_add_u16_sdwa v14, v14, v7 dst_sel:DWORD dst_unused:UNUSED_PAD src0_sel:DWORD src1_sel:WORD_1
	v_add_u16_e32 v14, v14, v8
	v_add_u16_sdwa v14, v14, v8 dst_sel:DWORD dst_unused:UNUSED_PAD src0_sel:DWORD src1_sel:WORD_1
	v_add_u16_e32 v14, v14, v9
	v_add_u16_sdwa v14, v14, v9 dst_sel:DWORD dst_unused:UNUSED_PAD src0_sel:DWORD src1_sel:WORD_1
	v_add_u16_e32 v14, v14, v2
	v_add_u16_sdwa v14, v14, v2 dst_sel:DWORD dst_unused:UNUSED_PAD src0_sel:DWORD src1_sel:WORD_1
	v_add_u16_e32 v14, v14, v3
	v_add_u16_sdwa v14, v14, v3 dst_sel:DWORD dst_unused:UNUSED_PAD src0_sel:DWORD src1_sel:WORD_1
	v_add_u16_e32 v14, v14, v4
	v_add_u16_sdwa v14, v14, v4 dst_sel:DWORD dst_unused:UNUSED_PAD src0_sel:DWORD src1_sel:WORD_1
	v_add_u16_e32 v14, v14, v5
	v_mbcnt_hi_u32_b32 v15, -1, v22
	v_add_u16_sdwa v14, v14, v5 dst_sel:DWORD dst_unused:UNUSED_PAD src0_sel:DWORD src1_sel:WORD_1
	v_and_b32_e32 v16, 15, v15
	v_cmp_ne_u32_e64 s[2:3], 0, v16
	v_mov_b32_dpp v17, v14 row_shr:1 row_mask:0xf bank_mask:0xf
	v_cndmask_b32_e64 v17, 0, v17, s[2:3]
	v_add_u16_e32 v14, v17, v14
	v_cmp_lt_u32_e64 s[2:3], 1, v16
	s_nop 0
	v_mov_b32_dpp v17, v14 row_shr:2 row_mask:0xf bank_mask:0xf
	v_cndmask_b32_e64 v17, 0, v17, s[2:3]
	v_add_u16_e32 v14, v14, v17
	v_cmp_lt_u32_e64 s[2:3], 3, v16
	s_nop 0
	;; [unrolled: 5-line block ×3, first 2 shown]
	v_mov_b32_dpp v17, v14 row_shr:8 row_mask:0xf bank_mask:0xf
	v_cndmask_b32_e64 v16, 0, v17, s[2:3]
	v_add_u16_e32 v14, v14, v16
	v_and_b32_e32 v17, 16, v15
	v_cmp_ne_u32_e64 s[2:3], 0, v17
	v_mov_b32_dpp v16, v14 row_bcast:15 row_mask:0xf bank_mask:0xf
	v_cndmask_b32_e64 v16, 0, v16, s[2:3]
	v_add_u16_e32 v14, v14, v16
	v_cmp_lt_u32_e64 s[2:3], 31, v15
	s_nop 0
	v_mov_b32_dpp v16, v14 row_bcast:31 row_mask:0xf bank_mask:0xf
	v_cndmask_b32_e64 v16, 0, v16, s[2:3]
	v_add_u16_e32 v14, v14, v16
	s_and_saveexec_b64 s[2:3], vcc
	s_cbranch_execz .LBB4846_59
; %bb.58:
	v_mov_b32_e32 v16, 0
	ds_write_b16 v16, v14
.LBB4846_59:
	s_or_b64 exec, exec, s[2:3]
	v_add_u32_e32 v16, -1, v15
	v_and_b32_e32 v17, 64, v15
	v_cmp_lt_i32_e32 vcc, v16, v17
	v_cndmask_b32_e32 v16, v16, v15, vcc
	v_lshlrev_b32_e32 v16, 2, v16
	ds_bpermute_b32 v24, v16, v14
	v_cmp_gt_u32_e32 vcc, 64, v0
	s_waitcnt lgkmcnt(0)
	; wave barrier
	s_waitcnt lgkmcnt(0)
	s_and_saveexec_b64 s[22:23], vcc
	s_cbranch_execz .LBB4846_78
; %bb.60:
	v_mov_b32_e32 v17, 0
	ds_read_u16 v25, v17
	s_mov_b32 s7, 0
	v_cmp_eq_u32_e64 s[2:3], 0, v15
	s_and_saveexec_b64 s[4:5], s[2:3]
	s_cbranch_execz .LBB4846_62
; %bb.61:
	s_add_i32 s6, s34, 64
	s_lshl_b64 s[6:7], s[6:7], 2
	s_add_u32 s6, s24, s6
	s_waitcnt lgkmcnt(0)
	v_or_b32_e32 v14, 0x10000, v25
	s_addc_u32 s7, s25, s7
	global_store_dword v17, v14, s[6:7]
.LBB4846_62:
	s_or_b64 exec, exec, s[4:5]
	v_xad_u32 v14, v15, -1, s34
	v_add_u32_e32 v16, 64, v14
	v_lshlrev_b64 v[18:19], 2, v[16:17]
	v_mov_b32_e32 v16, s25
	v_add_co_u32_e32 v18, vcc, s24, v18
	v_addc_co_u32_e32 v19, vcc, v16, v19, vcc
	global_load_dword v38, v[18:19], off glc
	s_waitcnt vmcnt(0)
	v_lshrrev_b32_e32 v27, 16, v38
	v_cmp_eq_u16_sdwa s[6:7], v27, v17 src0_sel:BYTE_0 src1_sel:DWORD
	s_and_saveexec_b64 s[4:5], s[6:7]
	s_cbranch_execz .LBB4846_66
; %bb.63:
	s_mov_b64 s[6:7], 0
	v_mov_b32_e32 v16, 0
.LBB4846_64:                            ; =>This Inner Loop Header: Depth=1
	global_load_dword v38, v[18:19], off glc
	s_waitcnt vmcnt(0)
	v_lshrrev_b32_e32 v27, 16, v38
	v_cmp_ne_u16_sdwa s[36:37], v27, v16 src0_sel:BYTE_0 src1_sel:DWORD
	s_or_b64 s[6:7], s[36:37], s[6:7]
	s_andn2_b64 exec, exec, s[6:7]
	s_cbranch_execnz .LBB4846_64
; %bb.65:
	s_or_b64 exec, exec, s[6:7]
.LBB4846_66:
	s_or_b64 exec, exec, s[4:5]
	v_and_b32_e32 v28, 63, v15
	v_cmp_ne_u32_e32 vcc, 63, v28
	v_mov_b32_e32 v26, 2
	v_addc_co_u32_e32 v29, vcc, 0, v15, vcc
	v_cmp_eq_u16_sdwa s[4:5], v27, v26 src0_sel:BYTE_0 src1_sel:DWORD
	v_lshlrev_b64 v[16:17], v15, -1
	v_and_b32_e32 v30, 0xffff, v38
	v_lshlrev_b32_e32 v29, 2, v29
	v_and_b32_e32 v18, s5, v17
	ds_bpermute_b32 v31, v29, v30
	v_or_b32_e32 v18, 0x80000000, v18
	v_and_b32_e32 v19, s4, v16
	v_ffbl_b32_e32 v18, v18
	v_add_u32_e32 v18, 32, v18
	v_ffbl_b32_e32 v19, v19
	v_min_u32_e32 v18, v19, v18
	s_waitcnt lgkmcnt(0)
	v_add_u16_e32 v19, v31, v38
	v_cmp_lt_u32_e32 vcc, v28, v18
	v_cmp_gt_u32_e64 s[4:5], 62, v28
	v_cndmask_b32_e32 v32, v30, v19, vcc
	v_cndmask_b32_e64 v30, 0, 1, s[4:5]
	v_lshlrev_b32_e32 v30, 1, v30
	v_add_lshl_u32 v30, v30, v15, 2
	ds_bpermute_b32 v33, v30, v32
	v_cndmask_b32_e32 v19, v38, v19, vcc
	v_add_u32_e32 v31, 2, v28
	v_cmp_gt_u32_e64 s[4:5], v31, v18
	v_cmp_gt_u32_e64 s[6:7], 60, v28
	s_waitcnt lgkmcnt(0)
	v_add_u16_e32 v33, v19, v33
	v_cndmask_b32_e64 v34, v33, v32, s[4:5]
	v_cndmask_b32_e64 v32, 0, 1, s[6:7]
	v_lshlrev_b32_e32 v32, 2, v32
	v_add_lshl_u32 v32, v32, v15, 2
	ds_bpermute_b32 v35, v32, v34
	v_cndmask_b32_e64 v19, v33, v19, s[4:5]
	v_add_u32_e32 v33, 4, v28
	v_cmp_gt_u32_e64 s[4:5], v33, v18
	v_cmp_gt_u32_e64 s[6:7], 56, v28
	s_waitcnt lgkmcnt(0)
	v_add_u16_e32 v35, v19, v35
	v_cndmask_b32_e64 v36, v35, v34, s[4:5]
	v_cndmask_b32_e64 v34, 0, 1, s[6:7]
	v_lshlrev_b32_e32 v34, 3, v34
	v_add_lshl_u32 v34, v34, v15, 2
	ds_bpermute_b32 v37, v34, v36
	v_cndmask_b32_e64 v19, v35, v19, s[4:5]
	;; [unrolled: 11-line block ×3, first 2 shown]
	v_add_u32_e32 v37, 16, v28
	v_cmp_gt_u32_e64 s[4:5], v37, v18
	v_cmp_gt_u32_e64 s[6:7], 32, v28
	s_waitcnt lgkmcnt(0)
	v_add_u16_e32 v41, v19, v40
	v_cndmask_b32_e64 v40, v41, v39, s[4:5]
	v_cndmask_b32_e64 v39, 0, 1, s[6:7]
	v_lshlrev_b32_e32 v39, 5, v39
	v_add_lshl_u32 v39, v39, v15, 2
	ds_bpermute_b32 v15, v39, v40
	v_add_u32_e32 v40, 32, v28
	v_cndmask_b32_e64 v19, v41, v19, s[4:5]
	v_cmp_le_u32_e64 s[4:5], v40, v18
	s_waitcnt lgkmcnt(0)
	v_cndmask_b32_e64 v15, 0, v15, s[4:5]
	v_add_u16_e32 v15, v19, v15
	v_cndmask_b32_e32 v18, v38, v15, vcc
	v_mov_b32_e32 v15, 0
	s_branch .LBB4846_68
.LBB4846_67:                            ;   in Loop: Header=BB4846_68 Depth=1
	s_or_b64 exec, exec, s[4:5]
	v_cmp_eq_u16_sdwa s[4:5], v27, v26 src0_sel:BYTE_0 src1_sel:DWORD
	v_and_b32_e32 v42, 0xffff, v41
	v_and_b32_e32 v18, s5, v17
	ds_bpermute_b32 v43, v29, v42
	v_or_b32_e32 v18, 0x80000000, v18
	v_and_b32_e32 v19, s4, v16
	v_ffbl_b32_e32 v18, v18
	v_add_u32_e32 v18, 32, v18
	v_ffbl_b32_e32 v19, v19
	v_min_u32_e32 v18, v19, v18
	s_waitcnt lgkmcnt(0)
	v_add_u16_e32 v19, v43, v41
	v_cmp_lt_u32_e32 vcc, v28, v18
	v_cndmask_b32_e32 v42, v42, v19, vcc
	ds_bpermute_b32 v43, v30, v42
	v_cndmask_b32_e32 v19, v41, v19, vcc
	v_cmp_gt_u32_e64 s[4:5], v31, v18
	v_subrev_u32_e32 v14, 64, v14
	s_waitcnt lgkmcnt(0)
	v_add_u16_e32 v43, v19, v43
	v_cndmask_b32_e64 v42, v43, v42, s[4:5]
	ds_bpermute_b32 v44, v32, v42
	v_cndmask_b32_e64 v19, v43, v19, s[4:5]
	v_cmp_gt_u32_e64 s[4:5], v33, v18
	s_waitcnt lgkmcnt(0)
	v_add_u16_e32 v43, v19, v44
	v_cndmask_b32_e64 v42, v43, v42, s[4:5]
	ds_bpermute_b32 v44, v34, v42
	v_cndmask_b32_e64 v19, v43, v19, s[4:5]
	v_cmp_gt_u32_e64 s[4:5], v35, v18
	;; [unrolled: 6-line block ×3, first 2 shown]
	s_waitcnt lgkmcnt(0)
	v_add_u16_e32 v43, v19, v44
	v_cndmask_b32_e64 v42, v43, v42, s[4:5]
	ds_bpermute_b32 v42, v39, v42
	v_cndmask_b32_e64 v19, v43, v19, s[4:5]
	v_cmp_le_u32_e64 s[4:5], v40, v18
	s_waitcnt lgkmcnt(0)
	v_cndmask_b32_e64 v18, 0, v42, s[4:5]
	v_add_u16_e32 v18, v19, v18
	v_cndmask_b32_e32 v18, v41, v18, vcc
	v_add_u16_e32 v18, v18, v38
.LBB4846_68:                            ; =>This Loop Header: Depth=1
                                        ;     Child Loop BB4846_71 Depth 2
	v_cmp_ne_u16_sdwa s[4:5], v27, v26 src0_sel:BYTE_0 src1_sel:DWORD
	v_cndmask_b32_e64 v19, 0, 1, s[4:5]
	;;#ASMSTART
	;;#ASMEND
	v_cmp_ne_u32_e32 vcc, 0, v19
	s_cmp_lg_u64 vcc, exec
	v_mov_b32_e32 v38, v18
	s_cbranch_scc1 .LBB4846_73
; %bb.69:                               ;   in Loop: Header=BB4846_68 Depth=1
	v_lshlrev_b64 v[18:19], 2, v[14:15]
	v_mov_b32_e32 v27, s25
	v_add_co_u32_e32 v18, vcc, s24, v18
	v_addc_co_u32_e32 v19, vcc, v27, v19, vcc
	global_load_dword v41, v[18:19], off glc
	s_waitcnt vmcnt(0)
	v_lshrrev_b32_e32 v27, 16, v41
	v_cmp_eq_u16_sdwa s[6:7], v27, v15 src0_sel:BYTE_0 src1_sel:DWORD
	s_and_saveexec_b64 s[4:5], s[6:7]
	s_cbranch_execz .LBB4846_67
; %bb.70:                               ;   in Loop: Header=BB4846_68 Depth=1
	s_mov_b64 s[6:7], 0
.LBB4846_71:                            ;   Parent Loop BB4846_68 Depth=1
                                        ; =>  This Inner Loop Header: Depth=2
	global_load_dword v41, v[18:19], off glc
	s_waitcnt vmcnt(0)
	v_lshrrev_b32_e32 v27, 16, v41
	v_cmp_ne_u16_sdwa s[36:37], v27, v15 src0_sel:BYTE_0 src1_sel:DWORD
	s_or_b64 s[6:7], s[36:37], s[6:7]
	s_andn2_b64 exec, exec, s[6:7]
	s_cbranch_execnz .LBB4846_71
; %bb.72:                               ;   in Loop: Header=BB4846_68 Depth=1
	s_or_b64 exec, exec, s[6:7]
	s_branch .LBB4846_67
.LBB4846_73:                            ;   in Loop: Header=BB4846_68 Depth=1
                                        ; implicit-def: $vgpr18
                                        ; implicit-def: $vgpr27
	s_cbranch_execz .LBB4846_68
; %bb.74:
	s_and_saveexec_b64 s[4:5], s[2:3]
	s_cbranch_execz .LBB4846_76
; %bb.75:
	s_add_i32 s2, s34, 64
	s_mov_b32 s3, 0
	s_lshl_b64 s[2:3], s[2:3], 2
	v_add_u16_e32 v14, v38, v25
	s_add_u32 s2, s24, s2
	v_or_b32_e32 v14, 0x20000, v14
	s_addc_u32 s3, s25, s3
	v_mov_b32_e32 v15, 0
	global_store_dword v15, v14, s[2:3]
.LBB4846_76:
	s_or_b64 exec, exec, s[4:5]
	s_and_b64 exec, exec, s[0:1]
	s_cbranch_execz .LBB4846_78
; %bb.77:
	v_mov_b32_e32 v14, 0
	ds_write_b16 v14, v38
.LBB4846_78:
	s_or_b64 exec, exec, s[22:23]
	v_mov_b32_e32 v14, 0
	s_waitcnt lgkmcnt(0)
	; wave barrier
	s_waitcnt lgkmcnt(0)
	ds_read_u16 v14, v14
	v_cndmask_b32_e64 v15, v24, 0, s[0:1]
	s_waitcnt lgkmcnt(0)
	v_add_u16_e32 v14, v14, v15
	s_branch .LBB4846_87
.LBB4846_79:
                                        ; implicit-def: $vgpr14
	s_cbranch_execz .LBB4846_87
; %bb.80:
	s_cmp_eq_u64 s[12:13], 0
	v_mov_b32_e32 v15, s30
	s_cbranch_scc1 .LBB4846_82
; %bb.81:
	v_mov_b32_e32 v15, s33
	v_add_co_u32_e64 v14, vcc, -2, s31
	v_addc_co_u32_e32 v15, vcc, -1, v15, vcc
	v_mov_b32_e32 v16, 0
	flat_load_ushort v17, v[14:15]
	global_load_ushort v18, v16, s[8:9]
	s_waitcnt vmcnt(0) lgkmcnt(0)
	v_add_u16_e32 v15, v18, v17
.LBB4846_82:
	v_add_u16_sdwa v14, v23, v11 dst_sel:DWORD dst_unused:UNUSED_PAD src0_sel:DWORD src1_sel:WORD_1
	v_add_u16_e32 v14, v14, v12
	v_add_u16_sdwa v14, v14, v12 dst_sel:DWORD dst_unused:UNUSED_PAD src0_sel:DWORD src1_sel:WORD_1
	v_add_u16_e32 v14, v14, v13
	;; [unrolled: 2-line block ×10, first 2 shown]
	v_add_u16_sdwa v16, v14, v5 dst_sel:DWORD dst_unused:UNUSED_PAD src0_sel:DWORD src1_sel:WORD_1
	v_mbcnt_hi_u32_b32 v14, -1, v22
	v_and_b32_e32 v17, 15, v14
	v_mov_b32_dpp v18, v16 row_shr:1 row_mask:0xf bank_mask:0xf
	v_cmp_ne_u32_e32 vcc, 0, v17
	v_cndmask_b32_e32 v18, 0, v18, vcc
	v_add_u16_e32 v16, v18, v16
	v_cmp_lt_u32_e32 vcc, 1, v17
	s_nop 0
	v_mov_b32_dpp v18, v16 row_shr:2 row_mask:0xf bank_mask:0xf
	v_cndmask_b32_e32 v18, 0, v18, vcc
	v_add_u16_e32 v16, v16, v18
	v_cmp_lt_u32_e32 vcc, 3, v17
	s_nop 0
	v_mov_b32_dpp v18, v16 row_shr:4 row_mask:0xf bank_mask:0xf
	;; [unrolled: 5-line block ×3, first 2 shown]
	v_cndmask_b32_e32 v17, 0, v18, vcc
	v_add_u16_e32 v16, v16, v17
	v_and_b32_e32 v18, 16, v14
	v_cmp_ne_u32_e32 vcc, 0, v18
	v_mov_b32_dpp v17, v16 row_bcast:15 row_mask:0xf bank_mask:0xf
	v_cndmask_b32_e32 v17, 0, v17, vcc
	v_add_u16_e32 v16, v16, v17
	v_cmp_lt_u32_e32 vcc, 31, v14
	s_nop 0
	v_mov_b32_dpp v17, v16 row_bcast:31 row_mask:0xf bank_mask:0xf
	v_cndmask_b32_e32 v17, 0, v17, vcc
	v_add_u16_e32 v16, v16, v17
	v_cmp_eq_u32_e32 vcc, 63, v0
	s_and_saveexec_b64 s[2:3], vcc
	s_cbranch_execz .LBB4846_84
; %bb.83:
	v_mov_b32_e32 v17, 0
	ds_write_b16 v17, v16
.LBB4846_84:
	s_or_b64 exec, exec, s[2:3]
	v_add_u32_e32 v17, -1, v14
	v_and_b32_e32 v18, 64, v14
	v_cmp_lt_i32_e32 vcc, v17, v18
	v_cndmask_b32_e32 v17, v17, v14, vcc
	v_add_u16_e32 v16, v16, v15
	v_lshlrev_b32_e32 v17, 2, v17
	ds_bpermute_b32 v16, v17, v16
	v_cmp_eq_u32_e32 vcc, 0, v14
	s_or_b64 vcc, s[0:1], vcc
	s_waitcnt lgkmcnt(0)
	; wave barrier
	s_waitcnt lgkmcnt(0)
	v_cndmask_b32_e32 v14, v16, v15, vcc
	s_and_saveexec_b64 s[2:3], s[0:1]
	s_cbranch_execz .LBB4846_86
; %bb.85:
	v_mov_b32_e32 v14, 0
	ds_read_u16 v16, v14
	s_waitcnt lgkmcnt(0)
	v_add_u16_e32 v16, v16, v15
	v_or_b32_e32 v16, 0x20000, v16
	global_store_dword v14, v16, s[24:25] offset:256
	v_mov_b32_e32 v14, v15
.LBB4846_86:
	s_or_b64 exec, exec, s[2:3]
.LBB4846_87:
	v_add_u16_e32 v15, v14, v10
	v_add_u16_sdwa v16, v15, v10 dst_sel:DWORD dst_unused:UNUSED_PAD src0_sel:DWORD src1_sel:WORD_1
	v_add_u16_e32 v17, v16, v11
	v_add_u16_sdwa v19, v17, v11 dst_sel:DWORD dst_unused:UNUSED_PAD src0_sel:DWORD src1_sel:WORD_1
	;; [unrolled: 2-line block ×9, first 2 shown]
	v_add_u16_e32 v8, v2, v3
	s_add_u32 s0, s20, s26
	v_add_u16_sdwa v3, v8, v3 dst_sel:DWORD dst_unused:UNUSED_PAD src0_sel:DWORD src1_sel:WORD_1
	s_addc_u32 s1, s21, s27
	v_add_u16_e32 v9, v3, v4
	v_add_u16_sdwa v4, v9, v4 dst_sel:DWORD dst_unused:UNUSED_PAD src0_sel:DWORD src1_sel:WORD_1
	s_add_u32 s2, s0, s18
	v_add_u16_e32 v5, v4, v5
	s_addc_u32 s3, s1, s19
	s_mov_b64 s[0:1], -1
	s_and_b64 vcc, exec, s[16:17]
	s_waitcnt lgkmcnt(0)
	; wave barrier
	s_cbranch_vccz .LBB4846_89
; %bb.88:
	s_mov_b32 s0, 0x5040100
	v_perm_b32 v31, v27, v25, s0
	v_perm_b32 v30, v23, v19, s0
	;; [unrolled: 1-line block ×4, first 2 shown]
	ds_write_b128 v1, v[28:31]
	v_perm_b32 v31, v26, v24, s0
	v_perm_b32 v30, v22, v18, s0
	;; [unrolled: 1-line block ×4, first 2 shown]
	ds_write_b128 v1, v[28:31] offset:16
	v_perm_b32 v31, v5, v4, s0
	v_perm_b32 v30, v9, v3, s0
	v_perm_b32 v29, v8, v2, s0
	v_perm_b32 v28, v7, v6, s0
	ds_write_b128 v1, v[28:31] offset:32
	s_waitcnt lgkmcnt(0)
	; wave barrier
	s_waitcnt lgkmcnt(0)
	ds_read_u16 v30, v20
	ds_read_u16 v31, v20 offset:128
	ds_read_u16 v32, v20 offset:256
	;; [unrolled: 1-line block ×23, first 2 shown]
	v_mov_b32_e32 v29, s3
	v_add_co_u32_e32 v28, vcc, s2, v20
	v_addc_co_u32_e32 v29, vcc, 0, v29, vcc
	s_waitcnt lgkmcnt(14)
	flat_store_short v[28:29], v30
	flat_store_short v[28:29], v31 offset:128
	flat_store_short v[28:29], v32 offset:256
	;; [unrolled: 1-line block ×9, first 2 shown]
	s_waitcnt lgkmcnt(0)
	flat_store_short v[28:29], v40 offset:1280
	flat_store_short v[28:29], v41 offset:1408
	;; [unrolled: 1-line block ×14, first 2 shown]
	s_mov_b64 s[0:1], 0
.LBB4846_89:
	s_andn2_b64 vcc, exec, s[0:1]
	s_cbranch_vccnz .LBB4846_146
; %bb.90:
	s_mov_b32 s0, 0x5040100
	v_perm_b32 v31, v27, v25, s0
	v_perm_b32 v30, v23, v19, s0
	;; [unrolled: 1-line block ×12, first 2 shown]
	ds_write_b128 v1, v[28:31]
	ds_write_b128 v1, v[12:15] offset:16
	ds_write_b128 v1, v[2:5] offset:32
	s_waitcnt lgkmcnt(0)
	; wave barrier
	s_waitcnt lgkmcnt(0)
	ds_read_u16 v5, v20
	ds_read_u16 v4, v20 offset:128
	ds_read_u16 v7, v20 offset:256
	;; [unrolled: 1-line block ×23, first 2 shown]
	v_mov_b32_e32 v3, s3
	v_add_co_u32_e32 v2, vcc, s2, v20
	v_addc_co_u32_e32 v3, vcc, 0, v3, vcc
	v_mov_b32_e32 v1, 0
	v_cmp_gt_u32_e32 vcc, s28, v0
	s_and_saveexec_b64 s[0:1], vcc
	s_cbranch_execz .LBB4846_92
; %bb.91:
	s_waitcnt lgkmcnt(0)
	flat_store_short v[2:3], v5
.LBB4846_92:
	s_or_b64 exec, exec, s[0:1]
	v_or_b32_e32 v20, 64, v0
	v_cmp_gt_u32_e32 vcc, s28, v20
	s_and_saveexec_b64 s[0:1], vcc
	s_cbranch_execz .LBB4846_94
; %bb.93:
	s_waitcnt lgkmcnt(0)
	flat_store_short v[2:3], v4 offset:128
.LBB4846_94:
	s_or_b64 exec, exec, s[0:1]
	v_or_b32_e32 v20, 0x80, v0
	v_cmp_gt_u32_e32 vcc, s28, v20
	s_and_saveexec_b64 s[0:1], vcc
	s_cbranch_execz .LBB4846_96
; %bb.95:
	s_waitcnt lgkmcnt(0)
	flat_store_short v[2:3], v7 offset:256
.LBB4846_96:
	;; [unrolled: 9-line block ×23, first 2 shown]
	s_or_b64 exec, exec, s[0:1]
	v_cmp_lt_u64_e64 s[0:1], s[14:15], 2
	s_and_b64 vcc, exec, s[0:1]
	s_cbranch_vccnz .LBB4846_146
; %bb.139:
	s_add_u32 s0, s28, -1
	s_addc_u32 s1, s29, -1
	s_add_u32 s2, 0, 0xaaaa0000
	s_addc_u32 s3, 0, 42
	s_add_i32 s3, s3, 0xaaaaa80
	s_mul_hi_u32 s7, s2, 0xffffffe8
	s_sub_i32 s7, s7, s2
	s_mul_i32 s8, s3, 0xffffffe8
	s_mul_i32 s4, s2, 0xffffffe8
	s_add_i32 s7, s7, s8
	s_mul_hi_u32 s5, s3, s4
	s_mul_i32 s6, s3, s4
	s_mul_i32 s9, s2, s7
	s_mul_hi_u32 s4, s2, s4
	s_mul_hi_u32 s8, s2, s7
	s_add_u32 s4, s4, s9
	s_addc_u32 s8, 0, s8
	s_add_u32 s4, s4, s6
	s_mul_hi_u32 s9, s3, s7
	s_addc_u32 s4, s8, s5
	s_addc_u32 s5, s9, 0
	s_mul_i32 s6, s3, s7
	s_add_u32 s4, s4, s6
	v_mov_b32_e32 v2, s4
	s_addc_u32 s5, 0, s5
	v_add_co_u32_e32 v2, vcc, s2, v2
	s_cmp_lg_u64 vcc, 0
	s_addc_u32 s2, s3, s5
	v_readfirstlane_b32 s5, v2
	s_mul_i32 s4, s0, s2
	s_mul_hi_u32 s6, s0, s5
	s_mul_hi_u32 s3, s0, s2
	s_add_u32 s4, s6, s4
	s_addc_u32 s3, 0, s3
	s_mul_hi_u32 s7, s1, s5
	s_mul_i32 s5, s1, s5
	s_add_u32 s4, s4, s5
	s_mul_hi_u32 s6, s1, s2
	s_addc_u32 s3, s3, s7
	s_addc_u32 s4, s6, 0
	s_mul_i32 s2, s1, s2
	s_add_u32 s2, s3, s2
	s_addc_u32 s3, 0, s4
	s_add_u32 s4, s2, 1
	s_addc_u32 s5, s3, 0
	s_add_u32 s6, s2, 2
	s_mul_i32 s8, s3, 24
	s_mul_hi_u32 s9, s2, 24
	s_addc_u32 s7, s3, 0
	s_add_i32 s9, s9, s8
	s_mul_i32 s8, s2, 24
	v_mov_b32_e32 v2, s8
	v_sub_co_u32_e32 v2, vcc, s0, v2
	s_cmp_lg_u64 vcc, 0
	s_subb_u32 s8, s1, s9
	v_subrev_co_u32_e32 v3, vcc, 24, v2
	s_cmp_lg_u64 vcc, 0
	s_subb_u32 s9, s8, 0
	v_readfirstlane_b32 s12, v3
	s_cmp_gt_u32 s12, 23
	s_cselect_b32 s12, -1, 0
	s_cmp_eq_u32 s9, 0
	s_cselect_b32 s9, s12, -1
	s_cmp_lg_u32 s9, 0
	s_cselect_b32 s4, s6, s4
	v_readfirstlane_b32 s6, v2
	s_cselect_b32 s5, s7, s5
	s_cmp_gt_u32 s6, 23
	s_cselect_b32 s6, -1, 0
	s_cmp_eq_u32 s8, 0
	s_cselect_b32 s6, s6, -1
	s_cmp_lg_u32 s6, 0
	s_cselect_b32 s3, s5, s3
	s_cselect_b32 s2, s4, s2
	v_cmp_eq_u64_e32 vcc, s[2:3], v[0:1]
	s_and_saveexec_b64 s[2:3], vcc
	s_cbranch_execz .LBB4846_146
; %bb.140:
	v_mul_hi_u32_u24_e32 v1, 24, v0
	v_mov_b32_e32 v2, s1
	v_sub_co_u32_e32 v0, vcc, s0, v21
	v_subb_co_u32_e32 v1, vcc, v2, v1, vcc
	v_cmp_lt_i64_e32 vcc, 11, v[0:1]
	s_mov_b64 s[0:1], 0
	s_mov_b64 s[8:9], 0
	s_mov_b64 s[6:7], 0
	s_mov_b64 s[4:5], 0
	s_and_saveexec_b64 s[2:3], vcc
	s_xor_b64 s[2:3], exec, s[2:3]
	s_cbranch_execnz .LBB4846_147
; %bb.141:
	s_andn2_saveexec_b64 s[2:3], s[2:3]
	s_cbranch_execnz .LBB4846_192
.LBB4846_142:
	s_or_b64 exec, exec, s[2:3]
	s_and_saveexec_b64 s[2:3], s[8:9]
	s_cbranch_execnz .LBB4846_209
.LBB4846_143:
	s_or_b64 exec, exec, s[2:3]
	s_and_saveexec_b64 s[2:3], s[6:7]
	s_cbranch_execnz .LBB4846_210
.LBB4846_144:
	s_or_b64 exec, exec, s[2:3]
	s_and_saveexec_b64 s[2:3], s[4:5]
	s_xor_b64 s[2:3], exec, s[2:3]
	s_cbranch_execnz .LBB4846_211
.LBB4846_145:
	s_or_b64 exec, exec, s[2:3]
	s_and_b64 exec, exec, s[0:1]
	s_cbranch_execnz .LBB4846_212
.LBB4846_146:
	s_endpgm
.LBB4846_147:
	v_cmp_lt_i64_e32 vcc, 17, v[0:1]
	s_and_saveexec_b64 s[12:13], vcc
	s_xor_b64 s[12:13], exec, s[12:13]
	s_cbranch_execz .LBB4846_169
; %bb.148:
	v_cmp_lt_i64_e32 vcc, 20, v[0:1]
                                        ; implicit-def: $vgpr10
	s_and_saveexec_b64 s[14:15], vcc
	s_xor_b64 s[14:15], exec, s[14:15]
	s_cbranch_execz .LBB4846_158
; %bb.149:
	v_cmp_lt_i64_e32 vcc, 21, v[0:1]
	s_mov_b64 s[16:17], 0
                                        ; implicit-def: $vgpr10
	s_and_saveexec_b64 s[4:5], vcc
	s_xor_b64 s[4:5], exec, s[4:5]
	s_cbranch_execz .LBB4846_155
; %bb.150:
	v_cmp_lt_i64_e32 vcc, 22, v[0:1]
	s_and_saveexec_b64 s[16:17], vcc
	s_xor_b64 s[16:17], exec, s[16:17]
	s_cbranch_execz .LBB4846_152
; %bb.151:
	v_mov_b32_e32 v2, 0
	s_waitcnt lgkmcnt(0)
	global_store_short v2, v29, s[10:11]
                                        ; implicit-def: $vgpr28
.LBB4846_152:
	s_or_saveexec_b64 s[16:17], s[16:17]
	s_mov_b64 s[18:19], 0
	s_xor_b64 exec, exec, s[16:17]
; %bb.153:
	s_mov_b64 s[18:19], exec
; %bb.154:
	s_or_b64 exec, exec, s[16:17]
	s_and_b64 s[16:17], s[18:19], exec
	s_waitcnt lgkmcnt(0)
	v_mov_b32_e32 v10, v28
                                        ; implicit-def: $vgpr11
.LBB4846_155:
	s_andn2_saveexec_b64 s[4:5], s[4:5]
; %bb.156:
	s_mov_b64 s[6:7], exec
                                        ; implicit-def: $vgpr10
; %bb.157:
	s_or_b64 exec, exec, s[4:5]
	s_and_b64 s[4:5], s[16:17], exec
	s_and_b64 s[6:7], s[6:7], exec
                                        ; implicit-def: $vgpr26
                                        ; implicit-def: $vgpr12
                                        ; implicit-def: $vgpr23
.LBB4846_158:
	s_andn2_saveexec_b64 s[14:15], s[14:15]
	s_cbranch_execz .LBB4846_168
; %bb.159:
	v_cmp_lt_i64_e32 vcc, 18, v[0:1]
	s_mov_b64 s[16:17], 0
	s_and_saveexec_b64 s[8:9], vcc
	s_xor_b64 s[8:9], exec, s[8:9]
	s_cbranch_execz .LBB4846_165
; %bb.160:
	v_cmp_lt_i64_e32 vcc, 19, v[0:1]
	s_and_saveexec_b64 s[18:19], vcc
	s_xor_b64 s[18:19], exec, s[18:19]
; %bb.161:
	s_mov_b64 s[16:17], exec
                                        ; implicit-def: $vgpr23
; %bb.162:
	s_andn2_saveexec_b64 s[18:19], s[18:19]
	s_cbranch_execz .LBB4846_164
; %bb.163:
	v_mov_b32_e32 v2, 0
	s_waitcnt lgkmcnt(0)
	global_store_short v2, v23, s[10:11]
                                        ; implicit-def: $vgpr12
.LBB4846_164:
	s_or_b64 exec, exec, s[18:19]
	s_and_b64 s[16:17], s[16:17], exec
                                        ; implicit-def: $vgpr26
.LBB4846_165:
	s_andn2_saveexec_b64 s[8:9], s[8:9]
	s_cbranch_execz .LBB4846_167
; %bb.166:
	v_mov_b32_e32 v2, 0
	s_waitcnt lgkmcnt(0)
	global_store_short v2, v26, s[10:11]
                                        ; implicit-def: $vgpr12
.LBB4846_167:
	s_or_b64 exec, exec, s[8:9]
	s_and_b64 s[8:9], s[16:17], exec
                                        ; implicit-def: $vgpr10
                                        ; implicit-def: $vgpr11
.LBB4846_168:
	s_or_b64 exec, exec, s[14:15]
	s_and_b64 s[4:5], s[4:5], exec
	s_and_b64 s[6:7], s[6:7], exec
	;; [unrolled: 1-line block ×3, first 2 shown]
                                        ; implicit-def: $vgpr18
                                        ; implicit-def: $vgpr13
                                        ; implicit-def: $vgpr14
                                        ; implicit-def: $vgpr24
                                        ; implicit-def: $vgpr27
.LBB4846_169:
	s_andn2_saveexec_b64 s[12:13], s[12:13]
	s_cbranch_execz .LBB4846_191
; %bb.170:
	v_cmp_lt_i64_e32 vcc, 14, v[0:1]
	s_mov_b64 s[14:15], s[4:5]
	s_and_saveexec_b64 s[16:17], vcc
	s_xor_b64 s[16:17], exec, s[16:17]
	s_cbranch_execz .LBB4846_180
; %bb.171:
	v_cmp_lt_i64_e32 vcc, 15, v[0:1]
	s_and_saveexec_b64 s[14:15], vcc
	s_xor_b64 s[14:15], exec, s[14:15]
	s_cbranch_execz .LBB4846_177
; %bb.172:
	v_cmp_lt_i64_e32 vcc, 16, v[0:1]
	s_and_saveexec_b64 s[18:19], vcc
	s_xor_b64 s[18:19], exec, s[18:19]
	s_cbranch_execz .LBB4846_174
; %bb.173:
	v_mov_b32_e32 v2, 0
	s_waitcnt lgkmcnt(0)
	global_store_short v2, v27, s[10:11]
                                        ; implicit-def: $vgpr24
.LBB4846_174:
	s_andn2_saveexec_b64 s[18:19], s[18:19]
	s_cbranch_execz .LBB4846_176
; %bb.175:
	v_mov_b32_e32 v2, 0
	s_waitcnt lgkmcnt(0)
	global_store_short v2, v24, s[10:11]
.LBB4846_176:
	s_or_b64 exec, exec, s[18:19]
                                        ; implicit-def: $vgpr10
.LBB4846_177:
	s_or_saveexec_b64 s[14:15], s[14:15]
	s_mov_b64 s[18:19], s[4:5]
	s_xor_b64 exec, exec, s[14:15]
; %bb.178:
	s_or_b64 s[18:19], s[4:5], exec
; %bb.179:
	s_or_b64 exec, exec, s[14:15]
	s_andn2_b64 s[14:15], s[4:5], exec
	s_and_b64 s[18:19], s[18:19], exec
	s_or_b64 s[14:15], s[14:15], s[18:19]
                                        ; implicit-def: $vgpr18
                                        ; implicit-def: $vgpr13
                                        ; implicit-def: $vgpr14
.LBB4846_180:
	s_or_saveexec_b64 s[16:17], s[16:17]
	s_mov_b64 s[18:19], s[6:7]
                                        ; implicit-def: $vgpr11
	s_xor_b64 exec, exec, s[16:17]
	s_cbranch_execz .LBB4846_190
; %bb.181:
	v_cmp_lt_i64_e32 vcc, 12, v[0:1]
	s_mov_b64 s[20:21], s[6:7]
	s_mov_b64 s[22:23], s[14:15]
                                        ; implicit-def: $vgpr10
                                        ; implicit-def: $vgpr11
	s_and_saveexec_b64 s[18:19], vcc
	s_xor_b64 s[18:19], exec, s[18:19]
	s_cbranch_execz .LBB4846_187
; %bb.182:
	v_cmp_lt_i64_e32 vcc, 13, v[0:1]
	s_mov_b64 s[20:21], s[14:15]
	s_and_saveexec_b64 s[22:23], vcc
	s_xor_b64 s[22:23], exec, s[22:23]
; %bb.183:
	s_or_b64 s[20:21], s[14:15], exec
                                        ; implicit-def: $vgpr13
; %bb.184:
	s_or_saveexec_b64 s[22:23], s[22:23]
	s_mov_b64 s[24:25], s[6:7]
	s_xor_b64 exec, exec, s[22:23]
; %bb.185:
	s_or_b64 s[24:25], s[6:7], exec
                                        ; implicit-def: $vgpr14
; %bb.186:
	s_or_b64 exec, exec, s[22:23]
	s_andn2_b64 s[22:23], s[14:15], exec
	s_and_b64 s[20:21], s[20:21], exec
	s_or_b64 s[22:23], s[22:23], s[20:21]
	s_andn2_b64 s[20:21], s[6:7], exec
	s_and_b64 s[24:25], s[24:25], exec
	s_or_b64 s[20:21], s[20:21], s[24:25]
	s_waitcnt lgkmcnt(0)
	v_mov_b32_e32 v10, v14
	v_mov_b32_e32 v11, v13
                                        ; implicit-def: $vgpr18
.LBB4846_187:
	s_andn2_saveexec_b64 s[18:19], s[18:19]
	s_cbranch_execz .LBB4846_189
; %bb.188:
	s_or_b64 s[20:21], s[20:21], exec
                                        ; implicit-def: $vgpr10
	s_waitcnt lgkmcnt(0)
	v_mov_b32_e32 v11, v18
.LBB4846_189:
	s_or_b64 exec, exec, s[18:19]
	s_andn2_b64 s[14:15], s[14:15], exec
	s_and_b64 s[18:19], s[22:23], exec
	s_or_b64 s[14:15], s[14:15], s[18:19]
	s_andn2_b64 s[18:19], s[6:7], exec
	s_and_b64 s[20:21], s[20:21], exec
	s_or_b64 s[18:19], s[18:19], s[20:21]
.LBB4846_190:
	s_or_b64 exec, exec, s[16:17]
	s_andn2_b64 s[4:5], s[4:5], exec
	s_and_b64 s[14:15], s[14:15], exec
	s_or_b64 s[4:5], s[4:5], s[14:15]
	s_andn2_b64 s[6:7], s[6:7], exec
	s_and_b64 s[14:15], s[18:19], exec
	s_or_b64 s[6:7], s[6:7], s[14:15]
                                        ; implicit-def: $vgpr12
.LBB4846_191:
	s_or_b64 exec, exec, s[12:13]
	s_and_b64 s[4:5], s[4:5], exec
	s_and_b64 s[6:7], s[6:7], exec
	;; [unrolled: 1-line block ×3, first 2 shown]
                                        ; implicit-def: $vgpr17
                                        ; implicit-def: $vgpr15
                                        ; implicit-def: $vgpr16
                                        ; implicit-def: $vgpr25
                                        ; implicit-def: $vgpr22
                                        ; implicit-def: $vgpr19
	s_andn2_saveexec_b64 s[2:3], s[2:3]
	s_cbranch_execz .LBB4846_142
.LBB4846_192:
	v_cmp_lt_i64_e32 vcc, 5, v[0:1]
	s_mov_b64 s[14:15], -1
	s_mov_b64 s[12:13], s[8:9]
	s_mov_b64 s[16:17], s[6:7]
	;; [unrolled: 1-line block ×3, first 2 shown]
                                        ; implicit-def: $vgpr10
                                        ; implicit-def: $vgpr11
                                        ; implicit-def: $vgpr12
	s_and_saveexec_b64 s[0:1], vcc
	s_cbranch_execz .LBB4846_208
; %bb.193:
	v_cmp_lt_i64_e32 vcc, 8, v[0:1]
	s_mov_b64 s[12:13], s[8:9]
                                        ; implicit-def: $vgpr12
	s_and_saveexec_b64 s[14:15], vcc
	s_xor_b64 s[14:15], exec, s[14:15]
	s_cbranch_execz .LBB4846_203
; %bb.194:
	v_cmp_lt_i64_e32 vcc, 9, v[0:1]
	s_and_saveexec_b64 s[12:13], vcc
	s_xor_b64 s[12:13], exec, s[12:13]
	s_cbranch_execz .LBB4846_200
; %bb.195:
	v_cmp_lt_i64_e32 vcc, 10, v[0:1]
	s_and_saveexec_b64 s[16:17], vcc
	s_xor_b64 s[16:17], exec, s[16:17]
; %bb.196:
                                        ; implicit-def: $vgpr22
; %bb.197:
	s_andn2_saveexec_b64 s[16:17], s[16:17]
	s_cbranch_execz .LBB4846_199
; %bb.198:
	s_waitcnt lgkmcnt(0)
	v_mov_b32_e32 v19, v22
.LBB4846_199:
	s_or_b64 exec, exec, s[16:17]
                                        ; implicit-def: $vgpr25
.LBB4846_200:
	s_andn2_saveexec_b64 s[12:13], s[12:13]
	s_cbranch_execz .LBB4846_202
; %bb.201:
	s_waitcnt lgkmcnt(0)
	v_mov_b32_e32 v19, v25
.LBB4846_202:
	s_or_b64 exec, exec, s[12:13]
	s_or_b64 s[12:13], s[8:9], exec
	s_waitcnt lgkmcnt(0)
	v_mov_b32_e32 v12, v19
                                        ; implicit-def: $vgpr17
                                        ; implicit-def: $vgpr15
                                        ; implicit-def: $vgpr16
.LBB4846_203:
	s_or_saveexec_b64 s[14:15], s[14:15]
	s_mov_b64 s[16:17], s[6:7]
	s_mov_b64 s[20:21], s[4:5]
                                        ; implicit-def: $vgpr10
                                        ; implicit-def: $vgpr11
	s_xor_b64 exec, exec, s[14:15]
	s_cbranch_execz .LBB4846_207
; %bb.204:
	v_cmp_lt_i64_e32 vcc, 6, v[0:1]
	s_mov_b64 s[20:21], -1
	s_mov_b64 s[18:19], s[12:13]
	s_mov_b64 s[16:17], s[6:7]
	s_and_saveexec_b64 s[22:23], vcc
; %bb.205:
	v_cmp_lt_i64_e32 vcc, 7, v[0:1]
	s_andn2_b64 s[18:19], s[12:13], exec
	s_and_b64 s[24:25], vcc, exec
	s_xor_b64 s[20:21], exec, -1
	s_or_b64 s[16:17], s[6:7], exec
	s_or_b64 s[18:19], s[18:19], s[24:25]
                                        ; implicit-def: $vgpr17
; %bb.206:
	s_or_b64 exec, exec, s[22:23]
	s_andn2_b64 s[22:23], s[4:5], exec
	s_and_b64 s[20:21], s[20:21], exec
	s_or_b64 s[20:21], s[22:23], s[20:21]
	s_andn2_b64 s[22:23], s[6:7], exec
	s_and_b64 s[16:17], s[16:17], exec
	s_andn2_b64 s[12:13], s[12:13], exec
	s_and_b64 s[18:19], s[18:19], exec
	s_or_b64 s[16:17], s[22:23], s[16:17]
	s_or_b64 s[12:13], s[12:13], s[18:19]
	s_waitcnt lgkmcnt(0)
	v_mov_b32_e32 v10, v17
	v_mov_b32_e32 v11, v15
	;; [unrolled: 1-line block ×3, first 2 shown]
.LBB4846_207:
	s_or_b64 exec, exec, s[14:15]
	s_andn2_b64 s[18:19], s[4:5], exec
	s_and_b64 s[20:21], s[20:21], exec
	s_or_b64 s[18:19], s[18:19], s[20:21]
	s_andn2_b64 s[20:21], s[6:7], exec
	s_and_b64 s[16:17], s[16:17], exec
	s_or_b64 s[16:17], s[20:21], s[16:17]
	s_andn2_b64 s[20:21], s[8:9], exec
	s_and_b64 s[12:13], s[12:13], exec
	s_xor_b64 s[14:15], exec, -1
	s_or_b64 s[12:13], s[20:21], s[12:13]
.LBB4846_208:
	s_or_b64 exec, exec, s[0:1]
	s_and_b64 s[0:1], s[14:15], exec
	s_andn2_b64 s[4:5], s[4:5], exec
	s_and_b64 s[14:15], s[18:19], exec
	s_or_b64 s[4:5], s[4:5], s[14:15]
	s_andn2_b64 s[6:7], s[6:7], exec
	s_and_b64 s[14:15], s[16:17], exec
	s_andn2_b64 s[8:9], s[8:9], exec
	s_and_b64 s[12:13], s[12:13], exec
	s_or_b64 s[6:7], s[6:7], s[14:15]
	s_or_b64 s[8:9], s[8:9], s[12:13]
	s_or_b64 exec, exec, s[2:3]
	s_and_saveexec_b64 s[2:3], s[8:9]
	s_cbranch_execz .LBB4846_143
.LBB4846_209:
	v_mov_b32_e32 v2, 0
	s_andn2_b64 s[6:7], s[6:7], exec
	s_waitcnt lgkmcnt(0)
	global_store_short v2, v12, s[10:11]
                                        ; implicit-def: $vgpr10
                                        ; implicit-def: $vgpr11
	s_or_b64 exec, exec, s[2:3]
	s_and_saveexec_b64 s[2:3], s[6:7]
	s_cbranch_execz .LBB4846_144
.LBB4846_210:
	v_mov_b32_e32 v2, 0
	s_waitcnt lgkmcnt(0)
	global_store_short v2, v11, s[10:11]
                                        ; implicit-def: $vgpr10
	s_or_b64 exec, exec, s[2:3]
	s_and_saveexec_b64 s[2:3], s[4:5]
	s_xor_b64 s[2:3], exec, s[2:3]
	s_cbranch_execz .LBB4846_145
.LBB4846_211:
	v_mov_b32_e32 v2, 0
	s_waitcnt lgkmcnt(0)
	global_store_short v2, v10, s[10:11]
	s_or_b64 exec, exec, s[2:3]
	s_and_b64 exec, exec, s[0:1]
	s_cbranch_execz .LBB4846_146
.LBB4846_212:
	v_cmp_lt_i64_e32 vcc, 2, v[0:1]
	s_and_saveexec_b64 s[0:1], vcc
	s_xor_b64 s[0:1], exec, s[0:1]
	s_cbranch_execz .LBB4846_222
; %bb.213:
	v_cmp_lt_i64_e32 vcc, 3, v[0:1]
	s_and_saveexec_b64 s[2:3], vcc
	s_xor_b64 s[2:3], exec, s[2:3]
	s_cbranch_execz .LBB4846_219
; %bb.214:
	;; [unrolled: 5-line block ×3, first 2 shown]
	v_mov_b32_e32 v0, 0
	s_waitcnt lgkmcnt(0)
	global_store_short v0, v9, s[10:11]
                                        ; implicit-def: $vgpr6
.LBB4846_216:
	s_andn2_saveexec_b64 s[4:5], s[4:5]
	s_cbranch_execz .LBB4846_218
; %bb.217:
	v_mov_b32_e32 v0, 0
	s_waitcnt lgkmcnt(0)
	global_store_short v0, v6, s[10:11]
.LBB4846_218:
	s_or_b64 exec, exec, s[4:5]
                                        ; implicit-def: $vgpr8
.LBB4846_219:
	s_andn2_saveexec_b64 s[2:3], s[2:3]
	s_cbranch_execz .LBB4846_221
; %bb.220:
	v_mov_b32_e32 v0, 0
	s_waitcnt lgkmcnt(0)
	global_store_short v0, v8, s[10:11]
.LBB4846_221:
	s_or_b64 exec, exec, s[2:3]
                                        ; implicit-def: $vgpr0_vgpr1
                                        ; implicit-def: $vgpr7
                                        ; implicit-def: $vgpr4
                                        ; implicit-def: $vgpr5
.LBB4846_222:
	s_andn2_saveexec_b64 s[0:1], s[0:1]
	s_cbranch_execz .LBB4846_146
; %bb.223:
	v_cmp_lt_i64_e32 vcc, 1, v[0:1]
	s_and_saveexec_b64 s[0:1], vcc
	s_xor_b64 s[0:1], exec, s[0:1]
	s_cbranch_execz .LBB4846_225
; %bb.224:
	v_mov_b32_e32 v0, 0
	s_waitcnt lgkmcnt(0)
	global_store_short v0, v7, s[10:11]
                                        ; implicit-def: $vgpr4
                                        ; implicit-def: $vgpr0_vgpr1
                                        ; implicit-def: $vgpr5
.LBB4846_225:
	s_andn2_saveexec_b64 s[0:1], s[0:1]
	s_cbranch_execz .LBB4846_146
; %bb.226:
	v_cmp_ne_u64_e32 vcc, 1, v[0:1]
	s_and_saveexec_b64 s[0:1], vcc
	s_xor_b64 s[0:1], exec, s[0:1]
	s_cbranch_execz .LBB4846_228
; %bb.227:
	v_mov_b32_e32 v0, 0
	s_waitcnt lgkmcnt(0)
	global_store_short v0, v5, s[10:11]
                                        ; implicit-def: $vgpr4
.LBB4846_228:
	s_andn2_saveexec_b64 s[0:1], s[0:1]
	s_cbranch_execz .LBB4846_146
; %bb.229:
	v_mov_b32_e32 v0, 0
	s_waitcnt lgkmcnt(0)
	global_store_short v0, v4, s[10:11]
	s_endpgm
	.section	.rodata,"a",@progbits
	.p2align	6, 0x0
	.amdhsa_kernel _ZN7rocprim17ROCPRIM_400000_NS6detail17trampoline_kernelINS0_14default_configENS1_20scan_config_selectorItEEZZNS1_9scan_implILNS1_25lookback_scan_determinismE0ELb1ELb1ES3_N6thrust23THRUST_200600_302600_NS6detail15normal_iteratorINS9_10device_ptrItEEEESE_tNS9_4plusIvEEtEEDaPvRmT3_T4_T5_mT6_P12ihipStream_tbENKUlT_T0_E_clISt17integral_constantIbLb0EEST_IbLb1EEEEDaSP_SQ_EUlSP_E_NS1_11comp_targetILNS1_3genE4ELNS1_11target_archE910ELNS1_3gpuE8ELNS1_3repE0EEENS1_30default_config_static_selectorELNS0_4arch9wavefront6targetE1EEEvT1_
		.amdhsa_group_segment_fixed_size 3072
		.amdhsa_private_segment_fixed_size 0
		.amdhsa_kernarg_size 96
		.amdhsa_user_sgpr_count 6
		.amdhsa_user_sgpr_private_segment_buffer 1
		.amdhsa_user_sgpr_dispatch_ptr 0
		.amdhsa_user_sgpr_queue_ptr 0
		.amdhsa_user_sgpr_kernarg_segment_ptr 1
		.amdhsa_user_sgpr_dispatch_id 0
		.amdhsa_user_sgpr_flat_scratch_init 0
		.amdhsa_user_sgpr_kernarg_preload_length 0
		.amdhsa_user_sgpr_kernarg_preload_offset 0
		.amdhsa_user_sgpr_private_segment_size 0
		.amdhsa_uses_dynamic_stack 0
		.amdhsa_system_sgpr_private_segment_wavefront_offset 0
		.amdhsa_system_sgpr_workgroup_id_x 1
		.amdhsa_system_sgpr_workgroup_id_y 0
		.amdhsa_system_sgpr_workgroup_id_z 0
		.amdhsa_system_sgpr_workgroup_info 0
		.amdhsa_system_vgpr_workitem_id 0
		.amdhsa_next_free_vgpr 54
		.amdhsa_next_free_sgpr 38
		.amdhsa_accum_offset 56
		.amdhsa_reserve_vcc 1
		.amdhsa_reserve_flat_scratch 0
		.amdhsa_float_round_mode_32 0
		.amdhsa_float_round_mode_16_64 0
		.amdhsa_float_denorm_mode_32 3
		.amdhsa_float_denorm_mode_16_64 3
		.amdhsa_dx10_clamp 1
		.amdhsa_ieee_mode 1
		.amdhsa_fp16_overflow 0
		.amdhsa_tg_split 0
		.amdhsa_exception_fp_ieee_invalid_op 0
		.amdhsa_exception_fp_denorm_src 0
		.amdhsa_exception_fp_ieee_div_zero 0
		.amdhsa_exception_fp_ieee_overflow 0
		.amdhsa_exception_fp_ieee_underflow 0
		.amdhsa_exception_fp_ieee_inexact 0
		.amdhsa_exception_int_div_zero 0
	.end_amdhsa_kernel
	.section	.text._ZN7rocprim17ROCPRIM_400000_NS6detail17trampoline_kernelINS0_14default_configENS1_20scan_config_selectorItEEZZNS1_9scan_implILNS1_25lookback_scan_determinismE0ELb1ELb1ES3_N6thrust23THRUST_200600_302600_NS6detail15normal_iteratorINS9_10device_ptrItEEEESE_tNS9_4plusIvEEtEEDaPvRmT3_T4_T5_mT6_P12ihipStream_tbENKUlT_T0_E_clISt17integral_constantIbLb0EEST_IbLb1EEEEDaSP_SQ_EUlSP_E_NS1_11comp_targetILNS1_3genE4ELNS1_11target_archE910ELNS1_3gpuE8ELNS1_3repE0EEENS1_30default_config_static_selectorELNS0_4arch9wavefront6targetE1EEEvT1_,"axG",@progbits,_ZN7rocprim17ROCPRIM_400000_NS6detail17trampoline_kernelINS0_14default_configENS1_20scan_config_selectorItEEZZNS1_9scan_implILNS1_25lookback_scan_determinismE0ELb1ELb1ES3_N6thrust23THRUST_200600_302600_NS6detail15normal_iteratorINS9_10device_ptrItEEEESE_tNS9_4plusIvEEtEEDaPvRmT3_T4_T5_mT6_P12ihipStream_tbENKUlT_T0_E_clISt17integral_constantIbLb0EEST_IbLb1EEEEDaSP_SQ_EUlSP_E_NS1_11comp_targetILNS1_3genE4ELNS1_11target_archE910ELNS1_3gpuE8ELNS1_3repE0EEENS1_30default_config_static_selectorELNS0_4arch9wavefront6targetE1EEEvT1_,comdat
.Lfunc_end4846:
	.size	_ZN7rocprim17ROCPRIM_400000_NS6detail17trampoline_kernelINS0_14default_configENS1_20scan_config_selectorItEEZZNS1_9scan_implILNS1_25lookback_scan_determinismE0ELb1ELb1ES3_N6thrust23THRUST_200600_302600_NS6detail15normal_iteratorINS9_10device_ptrItEEEESE_tNS9_4plusIvEEtEEDaPvRmT3_T4_T5_mT6_P12ihipStream_tbENKUlT_T0_E_clISt17integral_constantIbLb0EEST_IbLb1EEEEDaSP_SQ_EUlSP_E_NS1_11comp_targetILNS1_3genE4ELNS1_11target_archE910ELNS1_3gpuE8ELNS1_3repE0EEENS1_30default_config_static_selectorELNS0_4arch9wavefront6targetE1EEEvT1_, .Lfunc_end4846-_ZN7rocprim17ROCPRIM_400000_NS6detail17trampoline_kernelINS0_14default_configENS1_20scan_config_selectorItEEZZNS1_9scan_implILNS1_25lookback_scan_determinismE0ELb1ELb1ES3_N6thrust23THRUST_200600_302600_NS6detail15normal_iteratorINS9_10device_ptrItEEEESE_tNS9_4plusIvEEtEEDaPvRmT3_T4_T5_mT6_P12ihipStream_tbENKUlT_T0_E_clISt17integral_constantIbLb0EEST_IbLb1EEEEDaSP_SQ_EUlSP_E_NS1_11comp_targetILNS1_3genE4ELNS1_11target_archE910ELNS1_3gpuE8ELNS1_3repE0EEENS1_30default_config_static_selectorELNS0_4arch9wavefront6targetE1EEEvT1_
                                        ; -- End function
	.section	.AMDGPU.csdata,"",@progbits
; Kernel info:
; codeLenInByte = 7840
; NumSgprs: 42
; NumVgprs: 54
; NumAgprs: 0
; TotalNumVgprs: 54
; ScratchSize: 0
; MemoryBound: 0
; FloatMode: 240
; IeeeMode: 1
; LDSByteSize: 3072 bytes/workgroup (compile time only)
; SGPRBlocks: 5
; VGPRBlocks: 6
; NumSGPRsForWavesPerEU: 42
; NumVGPRsForWavesPerEU: 54
; AccumOffset: 56
; Occupancy: 6
; WaveLimiterHint : 1
; COMPUTE_PGM_RSRC2:SCRATCH_EN: 0
; COMPUTE_PGM_RSRC2:USER_SGPR: 6
; COMPUTE_PGM_RSRC2:TRAP_HANDLER: 0
; COMPUTE_PGM_RSRC2:TGID_X_EN: 1
; COMPUTE_PGM_RSRC2:TGID_Y_EN: 0
; COMPUTE_PGM_RSRC2:TGID_Z_EN: 0
; COMPUTE_PGM_RSRC2:TIDIG_COMP_CNT: 0
; COMPUTE_PGM_RSRC3_GFX90A:ACCUM_OFFSET: 13
; COMPUTE_PGM_RSRC3_GFX90A:TG_SPLIT: 0
	.section	.text._ZN7rocprim17ROCPRIM_400000_NS6detail17trampoline_kernelINS0_14default_configENS1_20scan_config_selectorItEEZZNS1_9scan_implILNS1_25lookback_scan_determinismE0ELb1ELb1ES3_N6thrust23THRUST_200600_302600_NS6detail15normal_iteratorINS9_10device_ptrItEEEESE_tNS9_4plusIvEEtEEDaPvRmT3_T4_T5_mT6_P12ihipStream_tbENKUlT_T0_E_clISt17integral_constantIbLb0EEST_IbLb1EEEEDaSP_SQ_EUlSP_E_NS1_11comp_targetILNS1_3genE3ELNS1_11target_archE908ELNS1_3gpuE7ELNS1_3repE0EEENS1_30default_config_static_selectorELNS0_4arch9wavefront6targetE1EEEvT1_,"axG",@progbits,_ZN7rocprim17ROCPRIM_400000_NS6detail17trampoline_kernelINS0_14default_configENS1_20scan_config_selectorItEEZZNS1_9scan_implILNS1_25lookback_scan_determinismE0ELb1ELb1ES3_N6thrust23THRUST_200600_302600_NS6detail15normal_iteratorINS9_10device_ptrItEEEESE_tNS9_4plusIvEEtEEDaPvRmT3_T4_T5_mT6_P12ihipStream_tbENKUlT_T0_E_clISt17integral_constantIbLb0EEST_IbLb1EEEEDaSP_SQ_EUlSP_E_NS1_11comp_targetILNS1_3genE3ELNS1_11target_archE908ELNS1_3gpuE7ELNS1_3repE0EEENS1_30default_config_static_selectorELNS0_4arch9wavefront6targetE1EEEvT1_,comdat
	.protected	_ZN7rocprim17ROCPRIM_400000_NS6detail17trampoline_kernelINS0_14default_configENS1_20scan_config_selectorItEEZZNS1_9scan_implILNS1_25lookback_scan_determinismE0ELb1ELb1ES3_N6thrust23THRUST_200600_302600_NS6detail15normal_iteratorINS9_10device_ptrItEEEESE_tNS9_4plusIvEEtEEDaPvRmT3_T4_T5_mT6_P12ihipStream_tbENKUlT_T0_E_clISt17integral_constantIbLb0EEST_IbLb1EEEEDaSP_SQ_EUlSP_E_NS1_11comp_targetILNS1_3genE3ELNS1_11target_archE908ELNS1_3gpuE7ELNS1_3repE0EEENS1_30default_config_static_selectorELNS0_4arch9wavefront6targetE1EEEvT1_ ; -- Begin function _ZN7rocprim17ROCPRIM_400000_NS6detail17trampoline_kernelINS0_14default_configENS1_20scan_config_selectorItEEZZNS1_9scan_implILNS1_25lookback_scan_determinismE0ELb1ELb1ES3_N6thrust23THRUST_200600_302600_NS6detail15normal_iteratorINS9_10device_ptrItEEEESE_tNS9_4plusIvEEtEEDaPvRmT3_T4_T5_mT6_P12ihipStream_tbENKUlT_T0_E_clISt17integral_constantIbLb0EEST_IbLb1EEEEDaSP_SQ_EUlSP_E_NS1_11comp_targetILNS1_3genE3ELNS1_11target_archE908ELNS1_3gpuE7ELNS1_3repE0EEENS1_30default_config_static_selectorELNS0_4arch9wavefront6targetE1EEEvT1_
	.globl	_ZN7rocprim17ROCPRIM_400000_NS6detail17trampoline_kernelINS0_14default_configENS1_20scan_config_selectorItEEZZNS1_9scan_implILNS1_25lookback_scan_determinismE0ELb1ELb1ES3_N6thrust23THRUST_200600_302600_NS6detail15normal_iteratorINS9_10device_ptrItEEEESE_tNS9_4plusIvEEtEEDaPvRmT3_T4_T5_mT6_P12ihipStream_tbENKUlT_T0_E_clISt17integral_constantIbLb0EEST_IbLb1EEEEDaSP_SQ_EUlSP_E_NS1_11comp_targetILNS1_3genE3ELNS1_11target_archE908ELNS1_3gpuE7ELNS1_3repE0EEENS1_30default_config_static_selectorELNS0_4arch9wavefront6targetE1EEEvT1_
	.p2align	8
	.type	_ZN7rocprim17ROCPRIM_400000_NS6detail17trampoline_kernelINS0_14default_configENS1_20scan_config_selectorItEEZZNS1_9scan_implILNS1_25lookback_scan_determinismE0ELb1ELb1ES3_N6thrust23THRUST_200600_302600_NS6detail15normal_iteratorINS9_10device_ptrItEEEESE_tNS9_4plusIvEEtEEDaPvRmT3_T4_T5_mT6_P12ihipStream_tbENKUlT_T0_E_clISt17integral_constantIbLb0EEST_IbLb1EEEEDaSP_SQ_EUlSP_E_NS1_11comp_targetILNS1_3genE3ELNS1_11target_archE908ELNS1_3gpuE7ELNS1_3repE0EEENS1_30default_config_static_selectorELNS0_4arch9wavefront6targetE1EEEvT1_,@function
_ZN7rocprim17ROCPRIM_400000_NS6detail17trampoline_kernelINS0_14default_configENS1_20scan_config_selectorItEEZZNS1_9scan_implILNS1_25lookback_scan_determinismE0ELb1ELb1ES3_N6thrust23THRUST_200600_302600_NS6detail15normal_iteratorINS9_10device_ptrItEEEESE_tNS9_4plusIvEEtEEDaPvRmT3_T4_T5_mT6_P12ihipStream_tbENKUlT_T0_E_clISt17integral_constantIbLb0EEST_IbLb1EEEEDaSP_SQ_EUlSP_E_NS1_11comp_targetILNS1_3genE3ELNS1_11target_archE908ELNS1_3gpuE7ELNS1_3repE0EEENS1_30default_config_static_selectorELNS0_4arch9wavefront6targetE1EEEvT1_: ; @_ZN7rocprim17ROCPRIM_400000_NS6detail17trampoline_kernelINS0_14default_configENS1_20scan_config_selectorItEEZZNS1_9scan_implILNS1_25lookback_scan_determinismE0ELb1ELb1ES3_N6thrust23THRUST_200600_302600_NS6detail15normal_iteratorINS9_10device_ptrItEEEESE_tNS9_4plusIvEEtEEDaPvRmT3_T4_T5_mT6_P12ihipStream_tbENKUlT_T0_E_clISt17integral_constantIbLb0EEST_IbLb1EEEEDaSP_SQ_EUlSP_E_NS1_11comp_targetILNS1_3genE3ELNS1_11target_archE908ELNS1_3gpuE7ELNS1_3repE0EEENS1_30default_config_static_selectorELNS0_4arch9wavefront6targetE1EEEvT1_
; %bb.0:
	.section	.rodata,"a",@progbits
	.p2align	6, 0x0
	.amdhsa_kernel _ZN7rocprim17ROCPRIM_400000_NS6detail17trampoline_kernelINS0_14default_configENS1_20scan_config_selectorItEEZZNS1_9scan_implILNS1_25lookback_scan_determinismE0ELb1ELb1ES3_N6thrust23THRUST_200600_302600_NS6detail15normal_iteratorINS9_10device_ptrItEEEESE_tNS9_4plusIvEEtEEDaPvRmT3_T4_T5_mT6_P12ihipStream_tbENKUlT_T0_E_clISt17integral_constantIbLb0EEST_IbLb1EEEEDaSP_SQ_EUlSP_E_NS1_11comp_targetILNS1_3genE3ELNS1_11target_archE908ELNS1_3gpuE7ELNS1_3repE0EEENS1_30default_config_static_selectorELNS0_4arch9wavefront6targetE1EEEvT1_
		.amdhsa_group_segment_fixed_size 0
		.amdhsa_private_segment_fixed_size 0
		.amdhsa_kernarg_size 96
		.amdhsa_user_sgpr_count 6
		.amdhsa_user_sgpr_private_segment_buffer 1
		.amdhsa_user_sgpr_dispatch_ptr 0
		.amdhsa_user_sgpr_queue_ptr 0
		.amdhsa_user_sgpr_kernarg_segment_ptr 1
		.amdhsa_user_sgpr_dispatch_id 0
		.amdhsa_user_sgpr_flat_scratch_init 0
		.amdhsa_user_sgpr_kernarg_preload_length 0
		.amdhsa_user_sgpr_kernarg_preload_offset 0
		.amdhsa_user_sgpr_private_segment_size 0
		.amdhsa_uses_dynamic_stack 0
		.amdhsa_system_sgpr_private_segment_wavefront_offset 0
		.amdhsa_system_sgpr_workgroup_id_x 1
		.amdhsa_system_sgpr_workgroup_id_y 0
		.amdhsa_system_sgpr_workgroup_id_z 0
		.amdhsa_system_sgpr_workgroup_info 0
		.amdhsa_system_vgpr_workitem_id 0
		.amdhsa_next_free_vgpr 1
		.amdhsa_next_free_sgpr 0
		.amdhsa_accum_offset 4
		.amdhsa_reserve_vcc 0
		.amdhsa_reserve_flat_scratch 0
		.amdhsa_float_round_mode_32 0
		.amdhsa_float_round_mode_16_64 0
		.amdhsa_float_denorm_mode_32 3
		.amdhsa_float_denorm_mode_16_64 3
		.amdhsa_dx10_clamp 1
		.amdhsa_ieee_mode 1
		.amdhsa_fp16_overflow 0
		.amdhsa_tg_split 0
		.amdhsa_exception_fp_ieee_invalid_op 0
		.amdhsa_exception_fp_denorm_src 0
		.amdhsa_exception_fp_ieee_div_zero 0
		.amdhsa_exception_fp_ieee_overflow 0
		.amdhsa_exception_fp_ieee_underflow 0
		.amdhsa_exception_fp_ieee_inexact 0
		.amdhsa_exception_int_div_zero 0
	.end_amdhsa_kernel
	.section	.text._ZN7rocprim17ROCPRIM_400000_NS6detail17trampoline_kernelINS0_14default_configENS1_20scan_config_selectorItEEZZNS1_9scan_implILNS1_25lookback_scan_determinismE0ELb1ELb1ES3_N6thrust23THRUST_200600_302600_NS6detail15normal_iteratorINS9_10device_ptrItEEEESE_tNS9_4plusIvEEtEEDaPvRmT3_T4_T5_mT6_P12ihipStream_tbENKUlT_T0_E_clISt17integral_constantIbLb0EEST_IbLb1EEEEDaSP_SQ_EUlSP_E_NS1_11comp_targetILNS1_3genE3ELNS1_11target_archE908ELNS1_3gpuE7ELNS1_3repE0EEENS1_30default_config_static_selectorELNS0_4arch9wavefront6targetE1EEEvT1_,"axG",@progbits,_ZN7rocprim17ROCPRIM_400000_NS6detail17trampoline_kernelINS0_14default_configENS1_20scan_config_selectorItEEZZNS1_9scan_implILNS1_25lookback_scan_determinismE0ELb1ELb1ES3_N6thrust23THRUST_200600_302600_NS6detail15normal_iteratorINS9_10device_ptrItEEEESE_tNS9_4plusIvEEtEEDaPvRmT3_T4_T5_mT6_P12ihipStream_tbENKUlT_T0_E_clISt17integral_constantIbLb0EEST_IbLb1EEEEDaSP_SQ_EUlSP_E_NS1_11comp_targetILNS1_3genE3ELNS1_11target_archE908ELNS1_3gpuE7ELNS1_3repE0EEENS1_30default_config_static_selectorELNS0_4arch9wavefront6targetE1EEEvT1_,comdat
.Lfunc_end4847:
	.size	_ZN7rocprim17ROCPRIM_400000_NS6detail17trampoline_kernelINS0_14default_configENS1_20scan_config_selectorItEEZZNS1_9scan_implILNS1_25lookback_scan_determinismE0ELb1ELb1ES3_N6thrust23THRUST_200600_302600_NS6detail15normal_iteratorINS9_10device_ptrItEEEESE_tNS9_4plusIvEEtEEDaPvRmT3_T4_T5_mT6_P12ihipStream_tbENKUlT_T0_E_clISt17integral_constantIbLb0EEST_IbLb1EEEEDaSP_SQ_EUlSP_E_NS1_11comp_targetILNS1_3genE3ELNS1_11target_archE908ELNS1_3gpuE7ELNS1_3repE0EEENS1_30default_config_static_selectorELNS0_4arch9wavefront6targetE1EEEvT1_, .Lfunc_end4847-_ZN7rocprim17ROCPRIM_400000_NS6detail17trampoline_kernelINS0_14default_configENS1_20scan_config_selectorItEEZZNS1_9scan_implILNS1_25lookback_scan_determinismE0ELb1ELb1ES3_N6thrust23THRUST_200600_302600_NS6detail15normal_iteratorINS9_10device_ptrItEEEESE_tNS9_4plusIvEEtEEDaPvRmT3_T4_T5_mT6_P12ihipStream_tbENKUlT_T0_E_clISt17integral_constantIbLb0EEST_IbLb1EEEEDaSP_SQ_EUlSP_E_NS1_11comp_targetILNS1_3genE3ELNS1_11target_archE908ELNS1_3gpuE7ELNS1_3repE0EEENS1_30default_config_static_selectorELNS0_4arch9wavefront6targetE1EEEvT1_
                                        ; -- End function
	.section	.AMDGPU.csdata,"",@progbits
; Kernel info:
; codeLenInByte = 0
; NumSgprs: 4
; NumVgprs: 0
; NumAgprs: 0
; TotalNumVgprs: 0
; ScratchSize: 0
; MemoryBound: 0
; FloatMode: 240
; IeeeMode: 1
; LDSByteSize: 0 bytes/workgroup (compile time only)
; SGPRBlocks: 0
; VGPRBlocks: 0
; NumSGPRsForWavesPerEU: 4
; NumVGPRsForWavesPerEU: 1
; AccumOffset: 4
; Occupancy: 8
; WaveLimiterHint : 0
; COMPUTE_PGM_RSRC2:SCRATCH_EN: 0
; COMPUTE_PGM_RSRC2:USER_SGPR: 6
; COMPUTE_PGM_RSRC2:TRAP_HANDLER: 0
; COMPUTE_PGM_RSRC2:TGID_X_EN: 1
; COMPUTE_PGM_RSRC2:TGID_Y_EN: 0
; COMPUTE_PGM_RSRC2:TGID_Z_EN: 0
; COMPUTE_PGM_RSRC2:TIDIG_COMP_CNT: 0
; COMPUTE_PGM_RSRC3_GFX90A:ACCUM_OFFSET: 0
; COMPUTE_PGM_RSRC3_GFX90A:TG_SPLIT: 0
	.section	.text._ZN7rocprim17ROCPRIM_400000_NS6detail17trampoline_kernelINS0_14default_configENS1_20scan_config_selectorItEEZZNS1_9scan_implILNS1_25lookback_scan_determinismE0ELb1ELb1ES3_N6thrust23THRUST_200600_302600_NS6detail15normal_iteratorINS9_10device_ptrItEEEESE_tNS9_4plusIvEEtEEDaPvRmT3_T4_T5_mT6_P12ihipStream_tbENKUlT_T0_E_clISt17integral_constantIbLb0EEST_IbLb1EEEEDaSP_SQ_EUlSP_E_NS1_11comp_targetILNS1_3genE2ELNS1_11target_archE906ELNS1_3gpuE6ELNS1_3repE0EEENS1_30default_config_static_selectorELNS0_4arch9wavefront6targetE1EEEvT1_,"axG",@progbits,_ZN7rocprim17ROCPRIM_400000_NS6detail17trampoline_kernelINS0_14default_configENS1_20scan_config_selectorItEEZZNS1_9scan_implILNS1_25lookback_scan_determinismE0ELb1ELb1ES3_N6thrust23THRUST_200600_302600_NS6detail15normal_iteratorINS9_10device_ptrItEEEESE_tNS9_4plusIvEEtEEDaPvRmT3_T4_T5_mT6_P12ihipStream_tbENKUlT_T0_E_clISt17integral_constantIbLb0EEST_IbLb1EEEEDaSP_SQ_EUlSP_E_NS1_11comp_targetILNS1_3genE2ELNS1_11target_archE906ELNS1_3gpuE6ELNS1_3repE0EEENS1_30default_config_static_selectorELNS0_4arch9wavefront6targetE1EEEvT1_,comdat
	.protected	_ZN7rocprim17ROCPRIM_400000_NS6detail17trampoline_kernelINS0_14default_configENS1_20scan_config_selectorItEEZZNS1_9scan_implILNS1_25lookback_scan_determinismE0ELb1ELb1ES3_N6thrust23THRUST_200600_302600_NS6detail15normal_iteratorINS9_10device_ptrItEEEESE_tNS9_4plusIvEEtEEDaPvRmT3_T4_T5_mT6_P12ihipStream_tbENKUlT_T0_E_clISt17integral_constantIbLb0EEST_IbLb1EEEEDaSP_SQ_EUlSP_E_NS1_11comp_targetILNS1_3genE2ELNS1_11target_archE906ELNS1_3gpuE6ELNS1_3repE0EEENS1_30default_config_static_selectorELNS0_4arch9wavefront6targetE1EEEvT1_ ; -- Begin function _ZN7rocprim17ROCPRIM_400000_NS6detail17trampoline_kernelINS0_14default_configENS1_20scan_config_selectorItEEZZNS1_9scan_implILNS1_25lookback_scan_determinismE0ELb1ELb1ES3_N6thrust23THRUST_200600_302600_NS6detail15normal_iteratorINS9_10device_ptrItEEEESE_tNS9_4plusIvEEtEEDaPvRmT3_T4_T5_mT6_P12ihipStream_tbENKUlT_T0_E_clISt17integral_constantIbLb0EEST_IbLb1EEEEDaSP_SQ_EUlSP_E_NS1_11comp_targetILNS1_3genE2ELNS1_11target_archE906ELNS1_3gpuE6ELNS1_3repE0EEENS1_30default_config_static_selectorELNS0_4arch9wavefront6targetE1EEEvT1_
	.globl	_ZN7rocprim17ROCPRIM_400000_NS6detail17trampoline_kernelINS0_14default_configENS1_20scan_config_selectorItEEZZNS1_9scan_implILNS1_25lookback_scan_determinismE0ELb1ELb1ES3_N6thrust23THRUST_200600_302600_NS6detail15normal_iteratorINS9_10device_ptrItEEEESE_tNS9_4plusIvEEtEEDaPvRmT3_T4_T5_mT6_P12ihipStream_tbENKUlT_T0_E_clISt17integral_constantIbLb0EEST_IbLb1EEEEDaSP_SQ_EUlSP_E_NS1_11comp_targetILNS1_3genE2ELNS1_11target_archE906ELNS1_3gpuE6ELNS1_3repE0EEENS1_30default_config_static_selectorELNS0_4arch9wavefront6targetE1EEEvT1_
	.p2align	8
	.type	_ZN7rocprim17ROCPRIM_400000_NS6detail17trampoline_kernelINS0_14default_configENS1_20scan_config_selectorItEEZZNS1_9scan_implILNS1_25lookback_scan_determinismE0ELb1ELb1ES3_N6thrust23THRUST_200600_302600_NS6detail15normal_iteratorINS9_10device_ptrItEEEESE_tNS9_4plusIvEEtEEDaPvRmT3_T4_T5_mT6_P12ihipStream_tbENKUlT_T0_E_clISt17integral_constantIbLb0EEST_IbLb1EEEEDaSP_SQ_EUlSP_E_NS1_11comp_targetILNS1_3genE2ELNS1_11target_archE906ELNS1_3gpuE6ELNS1_3repE0EEENS1_30default_config_static_selectorELNS0_4arch9wavefront6targetE1EEEvT1_,@function
_ZN7rocprim17ROCPRIM_400000_NS6detail17trampoline_kernelINS0_14default_configENS1_20scan_config_selectorItEEZZNS1_9scan_implILNS1_25lookback_scan_determinismE0ELb1ELb1ES3_N6thrust23THRUST_200600_302600_NS6detail15normal_iteratorINS9_10device_ptrItEEEESE_tNS9_4plusIvEEtEEDaPvRmT3_T4_T5_mT6_P12ihipStream_tbENKUlT_T0_E_clISt17integral_constantIbLb0EEST_IbLb1EEEEDaSP_SQ_EUlSP_E_NS1_11comp_targetILNS1_3genE2ELNS1_11target_archE906ELNS1_3gpuE6ELNS1_3repE0EEENS1_30default_config_static_selectorELNS0_4arch9wavefront6targetE1EEEvT1_: ; @_ZN7rocprim17ROCPRIM_400000_NS6detail17trampoline_kernelINS0_14default_configENS1_20scan_config_selectorItEEZZNS1_9scan_implILNS1_25lookback_scan_determinismE0ELb1ELb1ES3_N6thrust23THRUST_200600_302600_NS6detail15normal_iteratorINS9_10device_ptrItEEEESE_tNS9_4plusIvEEtEEDaPvRmT3_T4_T5_mT6_P12ihipStream_tbENKUlT_T0_E_clISt17integral_constantIbLb0EEST_IbLb1EEEEDaSP_SQ_EUlSP_E_NS1_11comp_targetILNS1_3genE2ELNS1_11target_archE906ELNS1_3gpuE6ELNS1_3repE0EEENS1_30default_config_static_selectorELNS0_4arch9wavefront6targetE1EEEvT1_
; %bb.0:
	.section	.rodata,"a",@progbits
	.p2align	6, 0x0
	.amdhsa_kernel _ZN7rocprim17ROCPRIM_400000_NS6detail17trampoline_kernelINS0_14default_configENS1_20scan_config_selectorItEEZZNS1_9scan_implILNS1_25lookback_scan_determinismE0ELb1ELb1ES3_N6thrust23THRUST_200600_302600_NS6detail15normal_iteratorINS9_10device_ptrItEEEESE_tNS9_4plusIvEEtEEDaPvRmT3_T4_T5_mT6_P12ihipStream_tbENKUlT_T0_E_clISt17integral_constantIbLb0EEST_IbLb1EEEEDaSP_SQ_EUlSP_E_NS1_11comp_targetILNS1_3genE2ELNS1_11target_archE906ELNS1_3gpuE6ELNS1_3repE0EEENS1_30default_config_static_selectorELNS0_4arch9wavefront6targetE1EEEvT1_
		.amdhsa_group_segment_fixed_size 0
		.amdhsa_private_segment_fixed_size 0
		.amdhsa_kernarg_size 96
		.amdhsa_user_sgpr_count 6
		.amdhsa_user_sgpr_private_segment_buffer 1
		.amdhsa_user_sgpr_dispatch_ptr 0
		.amdhsa_user_sgpr_queue_ptr 0
		.amdhsa_user_sgpr_kernarg_segment_ptr 1
		.amdhsa_user_sgpr_dispatch_id 0
		.amdhsa_user_sgpr_flat_scratch_init 0
		.amdhsa_user_sgpr_kernarg_preload_length 0
		.amdhsa_user_sgpr_kernarg_preload_offset 0
		.amdhsa_user_sgpr_private_segment_size 0
		.amdhsa_uses_dynamic_stack 0
		.amdhsa_system_sgpr_private_segment_wavefront_offset 0
		.amdhsa_system_sgpr_workgroup_id_x 1
		.amdhsa_system_sgpr_workgroup_id_y 0
		.amdhsa_system_sgpr_workgroup_id_z 0
		.amdhsa_system_sgpr_workgroup_info 0
		.amdhsa_system_vgpr_workitem_id 0
		.amdhsa_next_free_vgpr 1
		.amdhsa_next_free_sgpr 0
		.amdhsa_accum_offset 4
		.amdhsa_reserve_vcc 0
		.amdhsa_reserve_flat_scratch 0
		.amdhsa_float_round_mode_32 0
		.amdhsa_float_round_mode_16_64 0
		.amdhsa_float_denorm_mode_32 3
		.amdhsa_float_denorm_mode_16_64 3
		.amdhsa_dx10_clamp 1
		.amdhsa_ieee_mode 1
		.amdhsa_fp16_overflow 0
		.amdhsa_tg_split 0
		.amdhsa_exception_fp_ieee_invalid_op 0
		.amdhsa_exception_fp_denorm_src 0
		.amdhsa_exception_fp_ieee_div_zero 0
		.amdhsa_exception_fp_ieee_overflow 0
		.amdhsa_exception_fp_ieee_underflow 0
		.amdhsa_exception_fp_ieee_inexact 0
		.amdhsa_exception_int_div_zero 0
	.end_amdhsa_kernel
	.section	.text._ZN7rocprim17ROCPRIM_400000_NS6detail17trampoline_kernelINS0_14default_configENS1_20scan_config_selectorItEEZZNS1_9scan_implILNS1_25lookback_scan_determinismE0ELb1ELb1ES3_N6thrust23THRUST_200600_302600_NS6detail15normal_iteratorINS9_10device_ptrItEEEESE_tNS9_4plusIvEEtEEDaPvRmT3_T4_T5_mT6_P12ihipStream_tbENKUlT_T0_E_clISt17integral_constantIbLb0EEST_IbLb1EEEEDaSP_SQ_EUlSP_E_NS1_11comp_targetILNS1_3genE2ELNS1_11target_archE906ELNS1_3gpuE6ELNS1_3repE0EEENS1_30default_config_static_selectorELNS0_4arch9wavefront6targetE1EEEvT1_,"axG",@progbits,_ZN7rocprim17ROCPRIM_400000_NS6detail17trampoline_kernelINS0_14default_configENS1_20scan_config_selectorItEEZZNS1_9scan_implILNS1_25lookback_scan_determinismE0ELb1ELb1ES3_N6thrust23THRUST_200600_302600_NS6detail15normal_iteratorINS9_10device_ptrItEEEESE_tNS9_4plusIvEEtEEDaPvRmT3_T4_T5_mT6_P12ihipStream_tbENKUlT_T0_E_clISt17integral_constantIbLb0EEST_IbLb1EEEEDaSP_SQ_EUlSP_E_NS1_11comp_targetILNS1_3genE2ELNS1_11target_archE906ELNS1_3gpuE6ELNS1_3repE0EEENS1_30default_config_static_selectorELNS0_4arch9wavefront6targetE1EEEvT1_,comdat
.Lfunc_end4848:
	.size	_ZN7rocprim17ROCPRIM_400000_NS6detail17trampoline_kernelINS0_14default_configENS1_20scan_config_selectorItEEZZNS1_9scan_implILNS1_25lookback_scan_determinismE0ELb1ELb1ES3_N6thrust23THRUST_200600_302600_NS6detail15normal_iteratorINS9_10device_ptrItEEEESE_tNS9_4plusIvEEtEEDaPvRmT3_T4_T5_mT6_P12ihipStream_tbENKUlT_T0_E_clISt17integral_constantIbLb0EEST_IbLb1EEEEDaSP_SQ_EUlSP_E_NS1_11comp_targetILNS1_3genE2ELNS1_11target_archE906ELNS1_3gpuE6ELNS1_3repE0EEENS1_30default_config_static_selectorELNS0_4arch9wavefront6targetE1EEEvT1_, .Lfunc_end4848-_ZN7rocprim17ROCPRIM_400000_NS6detail17trampoline_kernelINS0_14default_configENS1_20scan_config_selectorItEEZZNS1_9scan_implILNS1_25lookback_scan_determinismE0ELb1ELb1ES3_N6thrust23THRUST_200600_302600_NS6detail15normal_iteratorINS9_10device_ptrItEEEESE_tNS9_4plusIvEEtEEDaPvRmT3_T4_T5_mT6_P12ihipStream_tbENKUlT_T0_E_clISt17integral_constantIbLb0EEST_IbLb1EEEEDaSP_SQ_EUlSP_E_NS1_11comp_targetILNS1_3genE2ELNS1_11target_archE906ELNS1_3gpuE6ELNS1_3repE0EEENS1_30default_config_static_selectorELNS0_4arch9wavefront6targetE1EEEvT1_
                                        ; -- End function
	.section	.AMDGPU.csdata,"",@progbits
; Kernel info:
; codeLenInByte = 0
; NumSgprs: 4
; NumVgprs: 0
; NumAgprs: 0
; TotalNumVgprs: 0
; ScratchSize: 0
; MemoryBound: 0
; FloatMode: 240
; IeeeMode: 1
; LDSByteSize: 0 bytes/workgroup (compile time only)
; SGPRBlocks: 0
; VGPRBlocks: 0
; NumSGPRsForWavesPerEU: 4
; NumVGPRsForWavesPerEU: 1
; AccumOffset: 4
; Occupancy: 8
; WaveLimiterHint : 0
; COMPUTE_PGM_RSRC2:SCRATCH_EN: 0
; COMPUTE_PGM_RSRC2:USER_SGPR: 6
; COMPUTE_PGM_RSRC2:TRAP_HANDLER: 0
; COMPUTE_PGM_RSRC2:TGID_X_EN: 1
; COMPUTE_PGM_RSRC2:TGID_Y_EN: 0
; COMPUTE_PGM_RSRC2:TGID_Z_EN: 0
; COMPUTE_PGM_RSRC2:TIDIG_COMP_CNT: 0
; COMPUTE_PGM_RSRC3_GFX90A:ACCUM_OFFSET: 0
; COMPUTE_PGM_RSRC3_GFX90A:TG_SPLIT: 0
	.section	.text._ZN7rocprim17ROCPRIM_400000_NS6detail17trampoline_kernelINS0_14default_configENS1_20scan_config_selectorItEEZZNS1_9scan_implILNS1_25lookback_scan_determinismE0ELb1ELb1ES3_N6thrust23THRUST_200600_302600_NS6detail15normal_iteratorINS9_10device_ptrItEEEESE_tNS9_4plusIvEEtEEDaPvRmT3_T4_T5_mT6_P12ihipStream_tbENKUlT_T0_E_clISt17integral_constantIbLb0EEST_IbLb1EEEEDaSP_SQ_EUlSP_E_NS1_11comp_targetILNS1_3genE10ELNS1_11target_archE1201ELNS1_3gpuE5ELNS1_3repE0EEENS1_30default_config_static_selectorELNS0_4arch9wavefront6targetE1EEEvT1_,"axG",@progbits,_ZN7rocprim17ROCPRIM_400000_NS6detail17trampoline_kernelINS0_14default_configENS1_20scan_config_selectorItEEZZNS1_9scan_implILNS1_25lookback_scan_determinismE0ELb1ELb1ES3_N6thrust23THRUST_200600_302600_NS6detail15normal_iteratorINS9_10device_ptrItEEEESE_tNS9_4plusIvEEtEEDaPvRmT3_T4_T5_mT6_P12ihipStream_tbENKUlT_T0_E_clISt17integral_constantIbLb0EEST_IbLb1EEEEDaSP_SQ_EUlSP_E_NS1_11comp_targetILNS1_3genE10ELNS1_11target_archE1201ELNS1_3gpuE5ELNS1_3repE0EEENS1_30default_config_static_selectorELNS0_4arch9wavefront6targetE1EEEvT1_,comdat
	.protected	_ZN7rocprim17ROCPRIM_400000_NS6detail17trampoline_kernelINS0_14default_configENS1_20scan_config_selectorItEEZZNS1_9scan_implILNS1_25lookback_scan_determinismE0ELb1ELb1ES3_N6thrust23THRUST_200600_302600_NS6detail15normal_iteratorINS9_10device_ptrItEEEESE_tNS9_4plusIvEEtEEDaPvRmT3_T4_T5_mT6_P12ihipStream_tbENKUlT_T0_E_clISt17integral_constantIbLb0EEST_IbLb1EEEEDaSP_SQ_EUlSP_E_NS1_11comp_targetILNS1_3genE10ELNS1_11target_archE1201ELNS1_3gpuE5ELNS1_3repE0EEENS1_30default_config_static_selectorELNS0_4arch9wavefront6targetE1EEEvT1_ ; -- Begin function _ZN7rocprim17ROCPRIM_400000_NS6detail17trampoline_kernelINS0_14default_configENS1_20scan_config_selectorItEEZZNS1_9scan_implILNS1_25lookback_scan_determinismE0ELb1ELb1ES3_N6thrust23THRUST_200600_302600_NS6detail15normal_iteratorINS9_10device_ptrItEEEESE_tNS9_4plusIvEEtEEDaPvRmT3_T4_T5_mT6_P12ihipStream_tbENKUlT_T0_E_clISt17integral_constantIbLb0EEST_IbLb1EEEEDaSP_SQ_EUlSP_E_NS1_11comp_targetILNS1_3genE10ELNS1_11target_archE1201ELNS1_3gpuE5ELNS1_3repE0EEENS1_30default_config_static_selectorELNS0_4arch9wavefront6targetE1EEEvT1_
	.globl	_ZN7rocprim17ROCPRIM_400000_NS6detail17trampoline_kernelINS0_14default_configENS1_20scan_config_selectorItEEZZNS1_9scan_implILNS1_25lookback_scan_determinismE0ELb1ELb1ES3_N6thrust23THRUST_200600_302600_NS6detail15normal_iteratorINS9_10device_ptrItEEEESE_tNS9_4plusIvEEtEEDaPvRmT3_T4_T5_mT6_P12ihipStream_tbENKUlT_T0_E_clISt17integral_constantIbLb0EEST_IbLb1EEEEDaSP_SQ_EUlSP_E_NS1_11comp_targetILNS1_3genE10ELNS1_11target_archE1201ELNS1_3gpuE5ELNS1_3repE0EEENS1_30default_config_static_selectorELNS0_4arch9wavefront6targetE1EEEvT1_
	.p2align	8
	.type	_ZN7rocprim17ROCPRIM_400000_NS6detail17trampoline_kernelINS0_14default_configENS1_20scan_config_selectorItEEZZNS1_9scan_implILNS1_25lookback_scan_determinismE0ELb1ELb1ES3_N6thrust23THRUST_200600_302600_NS6detail15normal_iteratorINS9_10device_ptrItEEEESE_tNS9_4plusIvEEtEEDaPvRmT3_T4_T5_mT6_P12ihipStream_tbENKUlT_T0_E_clISt17integral_constantIbLb0EEST_IbLb1EEEEDaSP_SQ_EUlSP_E_NS1_11comp_targetILNS1_3genE10ELNS1_11target_archE1201ELNS1_3gpuE5ELNS1_3repE0EEENS1_30default_config_static_selectorELNS0_4arch9wavefront6targetE1EEEvT1_,@function
_ZN7rocprim17ROCPRIM_400000_NS6detail17trampoline_kernelINS0_14default_configENS1_20scan_config_selectorItEEZZNS1_9scan_implILNS1_25lookback_scan_determinismE0ELb1ELb1ES3_N6thrust23THRUST_200600_302600_NS6detail15normal_iteratorINS9_10device_ptrItEEEESE_tNS9_4plusIvEEtEEDaPvRmT3_T4_T5_mT6_P12ihipStream_tbENKUlT_T0_E_clISt17integral_constantIbLb0EEST_IbLb1EEEEDaSP_SQ_EUlSP_E_NS1_11comp_targetILNS1_3genE10ELNS1_11target_archE1201ELNS1_3gpuE5ELNS1_3repE0EEENS1_30default_config_static_selectorELNS0_4arch9wavefront6targetE1EEEvT1_: ; @_ZN7rocprim17ROCPRIM_400000_NS6detail17trampoline_kernelINS0_14default_configENS1_20scan_config_selectorItEEZZNS1_9scan_implILNS1_25lookback_scan_determinismE0ELb1ELb1ES3_N6thrust23THRUST_200600_302600_NS6detail15normal_iteratorINS9_10device_ptrItEEEESE_tNS9_4plusIvEEtEEDaPvRmT3_T4_T5_mT6_P12ihipStream_tbENKUlT_T0_E_clISt17integral_constantIbLb0EEST_IbLb1EEEEDaSP_SQ_EUlSP_E_NS1_11comp_targetILNS1_3genE10ELNS1_11target_archE1201ELNS1_3gpuE5ELNS1_3repE0EEENS1_30default_config_static_selectorELNS0_4arch9wavefront6targetE1EEEvT1_
; %bb.0:
	.section	.rodata,"a",@progbits
	.p2align	6, 0x0
	.amdhsa_kernel _ZN7rocprim17ROCPRIM_400000_NS6detail17trampoline_kernelINS0_14default_configENS1_20scan_config_selectorItEEZZNS1_9scan_implILNS1_25lookback_scan_determinismE0ELb1ELb1ES3_N6thrust23THRUST_200600_302600_NS6detail15normal_iteratorINS9_10device_ptrItEEEESE_tNS9_4plusIvEEtEEDaPvRmT3_T4_T5_mT6_P12ihipStream_tbENKUlT_T0_E_clISt17integral_constantIbLb0EEST_IbLb1EEEEDaSP_SQ_EUlSP_E_NS1_11comp_targetILNS1_3genE10ELNS1_11target_archE1201ELNS1_3gpuE5ELNS1_3repE0EEENS1_30default_config_static_selectorELNS0_4arch9wavefront6targetE1EEEvT1_
		.amdhsa_group_segment_fixed_size 0
		.amdhsa_private_segment_fixed_size 0
		.amdhsa_kernarg_size 96
		.amdhsa_user_sgpr_count 6
		.amdhsa_user_sgpr_private_segment_buffer 1
		.amdhsa_user_sgpr_dispatch_ptr 0
		.amdhsa_user_sgpr_queue_ptr 0
		.amdhsa_user_sgpr_kernarg_segment_ptr 1
		.amdhsa_user_sgpr_dispatch_id 0
		.amdhsa_user_sgpr_flat_scratch_init 0
		.amdhsa_user_sgpr_kernarg_preload_length 0
		.amdhsa_user_sgpr_kernarg_preload_offset 0
		.amdhsa_user_sgpr_private_segment_size 0
		.amdhsa_uses_dynamic_stack 0
		.amdhsa_system_sgpr_private_segment_wavefront_offset 0
		.amdhsa_system_sgpr_workgroup_id_x 1
		.amdhsa_system_sgpr_workgroup_id_y 0
		.amdhsa_system_sgpr_workgroup_id_z 0
		.amdhsa_system_sgpr_workgroup_info 0
		.amdhsa_system_vgpr_workitem_id 0
		.amdhsa_next_free_vgpr 1
		.amdhsa_next_free_sgpr 0
		.amdhsa_accum_offset 4
		.amdhsa_reserve_vcc 0
		.amdhsa_reserve_flat_scratch 0
		.amdhsa_float_round_mode_32 0
		.amdhsa_float_round_mode_16_64 0
		.amdhsa_float_denorm_mode_32 3
		.amdhsa_float_denorm_mode_16_64 3
		.amdhsa_dx10_clamp 1
		.amdhsa_ieee_mode 1
		.amdhsa_fp16_overflow 0
		.amdhsa_tg_split 0
		.amdhsa_exception_fp_ieee_invalid_op 0
		.amdhsa_exception_fp_denorm_src 0
		.amdhsa_exception_fp_ieee_div_zero 0
		.amdhsa_exception_fp_ieee_overflow 0
		.amdhsa_exception_fp_ieee_underflow 0
		.amdhsa_exception_fp_ieee_inexact 0
		.amdhsa_exception_int_div_zero 0
	.end_amdhsa_kernel
	.section	.text._ZN7rocprim17ROCPRIM_400000_NS6detail17trampoline_kernelINS0_14default_configENS1_20scan_config_selectorItEEZZNS1_9scan_implILNS1_25lookback_scan_determinismE0ELb1ELb1ES3_N6thrust23THRUST_200600_302600_NS6detail15normal_iteratorINS9_10device_ptrItEEEESE_tNS9_4plusIvEEtEEDaPvRmT3_T4_T5_mT6_P12ihipStream_tbENKUlT_T0_E_clISt17integral_constantIbLb0EEST_IbLb1EEEEDaSP_SQ_EUlSP_E_NS1_11comp_targetILNS1_3genE10ELNS1_11target_archE1201ELNS1_3gpuE5ELNS1_3repE0EEENS1_30default_config_static_selectorELNS0_4arch9wavefront6targetE1EEEvT1_,"axG",@progbits,_ZN7rocprim17ROCPRIM_400000_NS6detail17trampoline_kernelINS0_14default_configENS1_20scan_config_selectorItEEZZNS1_9scan_implILNS1_25lookback_scan_determinismE0ELb1ELb1ES3_N6thrust23THRUST_200600_302600_NS6detail15normal_iteratorINS9_10device_ptrItEEEESE_tNS9_4plusIvEEtEEDaPvRmT3_T4_T5_mT6_P12ihipStream_tbENKUlT_T0_E_clISt17integral_constantIbLb0EEST_IbLb1EEEEDaSP_SQ_EUlSP_E_NS1_11comp_targetILNS1_3genE10ELNS1_11target_archE1201ELNS1_3gpuE5ELNS1_3repE0EEENS1_30default_config_static_selectorELNS0_4arch9wavefront6targetE1EEEvT1_,comdat
.Lfunc_end4849:
	.size	_ZN7rocprim17ROCPRIM_400000_NS6detail17trampoline_kernelINS0_14default_configENS1_20scan_config_selectorItEEZZNS1_9scan_implILNS1_25lookback_scan_determinismE0ELb1ELb1ES3_N6thrust23THRUST_200600_302600_NS6detail15normal_iteratorINS9_10device_ptrItEEEESE_tNS9_4plusIvEEtEEDaPvRmT3_T4_T5_mT6_P12ihipStream_tbENKUlT_T0_E_clISt17integral_constantIbLb0EEST_IbLb1EEEEDaSP_SQ_EUlSP_E_NS1_11comp_targetILNS1_3genE10ELNS1_11target_archE1201ELNS1_3gpuE5ELNS1_3repE0EEENS1_30default_config_static_selectorELNS0_4arch9wavefront6targetE1EEEvT1_, .Lfunc_end4849-_ZN7rocprim17ROCPRIM_400000_NS6detail17trampoline_kernelINS0_14default_configENS1_20scan_config_selectorItEEZZNS1_9scan_implILNS1_25lookback_scan_determinismE0ELb1ELb1ES3_N6thrust23THRUST_200600_302600_NS6detail15normal_iteratorINS9_10device_ptrItEEEESE_tNS9_4plusIvEEtEEDaPvRmT3_T4_T5_mT6_P12ihipStream_tbENKUlT_T0_E_clISt17integral_constantIbLb0EEST_IbLb1EEEEDaSP_SQ_EUlSP_E_NS1_11comp_targetILNS1_3genE10ELNS1_11target_archE1201ELNS1_3gpuE5ELNS1_3repE0EEENS1_30default_config_static_selectorELNS0_4arch9wavefront6targetE1EEEvT1_
                                        ; -- End function
	.section	.AMDGPU.csdata,"",@progbits
; Kernel info:
; codeLenInByte = 0
; NumSgprs: 4
; NumVgprs: 0
; NumAgprs: 0
; TotalNumVgprs: 0
; ScratchSize: 0
; MemoryBound: 0
; FloatMode: 240
; IeeeMode: 1
; LDSByteSize: 0 bytes/workgroup (compile time only)
; SGPRBlocks: 0
; VGPRBlocks: 0
; NumSGPRsForWavesPerEU: 4
; NumVGPRsForWavesPerEU: 1
; AccumOffset: 4
; Occupancy: 8
; WaveLimiterHint : 0
; COMPUTE_PGM_RSRC2:SCRATCH_EN: 0
; COMPUTE_PGM_RSRC2:USER_SGPR: 6
; COMPUTE_PGM_RSRC2:TRAP_HANDLER: 0
; COMPUTE_PGM_RSRC2:TGID_X_EN: 1
; COMPUTE_PGM_RSRC2:TGID_Y_EN: 0
; COMPUTE_PGM_RSRC2:TGID_Z_EN: 0
; COMPUTE_PGM_RSRC2:TIDIG_COMP_CNT: 0
; COMPUTE_PGM_RSRC3_GFX90A:ACCUM_OFFSET: 0
; COMPUTE_PGM_RSRC3_GFX90A:TG_SPLIT: 0
	.section	.text._ZN7rocprim17ROCPRIM_400000_NS6detail17trampoline_kernelINS0_14default_configENS1_20scan_config_selectorItEEZZNS1_9scan_implILNS1_25lookback_scan_determinismE0ELb1ELb1ES3_N6thrust23THRUST_200600_302600_NS6detail15normal_iteratorINS9_10device_ptrItEEEESE_tNS9_4plusIvEEtEEDaPvRmT3_T4_T5_mT6_P12ihipStream_tbENKUlT_T0_E_clISt17integral_constantIbLb0EEST_IbLb1EEEEDaSP_SQ_EUlSP_E_NS1_11comp_targetILNS1_3genE10ELNS1_11target_archE1200ELNS1_3gpuE4ELNS1_3repE0EEENS1_30default_config_static_selectorELNS0_4arch9wavefront6targetE1EEEvT1_,"axG",@progbits,_ZN7rocprim17ROCPRIM_400000_NS6detail17trampoline_kernelINS0_14default_configENS1_20scan_config_selectorItEEZZNS1_9scan_implILNS1_25lookback_scan_determinismE0ELb1ELb1ES3_N6thrust23THRUST_200600_302600_NS6detail15normal_iteratorINS9_10device_ptrItEEEESE_tNS9_4plusIvEEtEEDaPvRmT3_T4_T5_mT6_P12ihipStream_tbENKUlT_T0_E_clISt17integral_constantIbLb0EEST_IbLb1EEEEDaSP_SQ_EUlSP_E_NS1_11comp_targetILNS1_3genE10ELNS1_11target_archE1200ELNS1_3gpuE4ELNS1_3repE0EEENS1_30default_config_static_selectorELNS0_4arch9wavefront6targetE1EEEvT1_,comdat
	.protected	_ZN7rocprim17ROCPRIM_400000_NS6detail17trampoline_kernelINS0_14default_configENS1_20scan_config_selectorItEEZZNS1_9scan_implILNS1_25lookback_scan_determinismE0ELb1ELb1ES3_N6thrust23THRUST_200600_302600_NS6detail15normal_iteratorINS9_10device_ptrItEEEESE_tNS9_4plusIvEEtEEDaPvRmT3_T4_T5_mT6_P12ihipStream_tbENKUlT_T0_E_clISt17integral_constantIbLb0EEST_IbLb1EEEEDaSP_SQ_EUlSP_E_NS1_11comp_targetILNS1_3genE10ELNS1_11target_archE1200ELNS1_3gpuE4ELNS1_3repE0EEENS1_30default_config_static_selectorELNS0_4arch9wavefront6targetE1EEEvT1_ ; -- Begin function _ZN7rocprim17ROCPRIM_400000_NS6detail17trampoline_kernelINS0_14default_configENS1_20scan_config_selectorItEEZZNS1_9scan_implILNS1_25lookback_scan_determinismE0ELb1ELb1ES3_N6thrust23THRUST_200600_302600_NS6detail15normal_iteratorINS9_10device_ptrItEEEESE_tNS9_4plusIvEEtEEDaPvRmT3_T4_T5_mT6_P12ihipStream_tbENKUlT_T0_E_clISt17integral_constantIbLb0EEST_IbLb1EEEEDaSP_SQ_EUlSP_E_NS1_11comp_targetILNS1_3genE10ELNS1_11target_archE1200ELNS1_3gpuE4ELNS1_3repE0EEENS1_30default_config_static_selectorELNS0_4arch9wavefront6targetE1EEEvT1_
	.globl	_ZN7rocprim17ROCPRIM_400000_NS6detail17trampoline_kernelINS0_14default_configENS1_20scan_config_selectorItEEZZNS1_9scan_implILNS1_25lookback_scan_determinismE0ELb1ELb1ES3_N6thrust23THRUST_200600_302600_NS6detail15normal_iteratorINS9_10device_ptrItEEEESE_tNS9_4plusIvEEtEEDaPvRmT3_T4_T5_mT6_P12ihipStream_tbENKUlT_T0_E_clISt17integral_constantIbLb0EEST_IbLb1EEEEDaSP_SQ_EUlSP_E_NS1_11comp_targetILNS1_3genE10ELNS1_11target_archE1200ELNS1_3gpuE4ELNS1_3repE0EEENS1_30default_config_static_selectorELNS0_4arch9wavefront6targetE1EEEvT1_
	.p2align	8
	.type	_ZN7rocprim17ROCPRIM_400000_NS6detail17trampoline_kernelINS0_14default_configENS1_20scan_config_selectorItEEZZNS1_9scan_implILNS1_25lookback_scan_determinismE0ELb1ELb1ES3_N6thrust23THRUST_200600_302600_NS6detail15normal_iteratorINS9_10device_ptrItEEEESE_tNS9_4plusIvEEtEEDaPvRmT3_T4_T5_mT6_P12ihipStream_tbENKUlT_T0_E_clISt17integral_constantIbLb0EEST_IbLb1EEEEDaSP_SQ_EUlSP_E_NS1_11comp_targetILNS1_3genE10ELNS1_11target_archE1200ELNS1_3gpuE4ELNS1_3repE0EEENS1_30default_config_static_selectorELNS0_4arch9wavefront6targetE1EEEvT1_,@function
_ZN7rocprim17ROCPRIM_400000_NS6detail17trampoline_kernelINS0_14default_configENS1_20scan_config_selectorItEEZZNS1_9scan_implILNS1_25lookback_scan_determinismE0ELb1ELb1ES3_N6thrust23THRUST_200600_302600_NS6detail15normal_iteratorINS9_10device_ptrItEEEESE_tNS9_4plusIvEEtEEDaPvRmT3_T4_T5_mT6_P12ihipStream_tbENKUlT_T0_E_clISt17integral_constantIbLb0EEST_IbLb1EEEEDaSP_SQ_EUlSP_E_NS1_11comp_targetILNS1_3genE10ELNS1_11target_archE1200ELNS1_3gpuE4ELNS1_3repE0EEENS1_30default_config_static_selectorELNS0_4arch9wavefront6targetE1EEEvT1_: ; @_ZN7rocprim17ROCPRIM_400000_NS6detail17trampoline_kernelINS0_14default_configENS1_20scan_config_selectorItEEZZNS1_9scan_implILNS1_25lookback_scan_determinismE0ELb1ELb1ES3_N6thrust23THRUST_200600_302600_NS6detail15normal_iteratorINS9_10device_ptrItEEEESE_tNS9_4plusIvEEtEEDaPvRmT3_T4_T5_mT6_P12ihipStream_tbENKUlT_T0_E_clISt17integral_constantIbLb0EEST_IbLb1EEEEDaSP_SQ_EUlSP_E_NS1_11comp_targetILNS1_3genE10ELNS1_11target_archE1200ELNS1_3gpuE4ELNS1_3repE0EEENS1_30default_config_static_selectorELNS0_4arch9wavefront6targetE1EEEvT1_
; %bb.0:
	.section	.rodata,"a",@progbits
	.p2align	6, 0x0
	.amdhsa_kernel _ZN7rocprim17ROCPRIM_400000_NS6detail17trampoline_kernelINS0_14default_configENS1_20scan_config_selectorItEEZZNS1_9scan_implILNS1_25lookback_scan_determinismE0ELb1ELb1ES3_N6thrust23THRUST_200600_302600_NS6detail15normal_iteratorINS9_10device_ptrItEEEESE_tNS9_4plusIvEEtEEDaPvRmT3_T4_T5_mT6_P12ihipStream_tbENKUlT_T0_E_clISt17integral_constantIbLb0EEST_IbLb1EEEEDaSP_SQ_EUlSP_E_NS1_11comp_targetILNS1_3genE10ELNS1_11target_archE1200ELNS1_3gpuE4ELNS1_3repE0EEENS1_30default_config_static_selectorELNS0_4arch9wavefront6targetE1EEEvT1_
		.amdhsa_group_segment_fixed_size 0
		.amdhsa_private_segment_fixed_size 0
		.amdhsa_kernarg_size 96
		.amdhsa_user_sgpr_count 6
		.amdhsa_user_sgpr_private_segment_buffer 1
		.amdhsa_user_sgpr_dispatch_ptr 0
		.amdhsa_user_sgpr_queue_ptr 0
		.amdhsa_user_sgpr_kernarg_segment_ptr 1
		.amdhsa_user_sgpr_dispatch_id 0
		.amdhsa_user_sgpr_flat_scratch_init 0
		.amdhsa_user_sgpr_kernarg_preload_length 0
		.amdhsa_user_sgpr_kernarg_preload_offset 0
		.amdhsa_user_sgpr_private_segment_size 0
		.amdhsa_uses_dynamic_stack 0
		.amdhsa_system_sgpr_private_segment_wavefront_offset 0
		.amdhsa_system_sgpr_workgroup_id_x 1
		.amdhsa_system_sgpr_workgroup_id_y 0
		.amdhsa_system_sgpr_workgroup_id_z 0
		.amdhsa_system_sgpr_workgroup_info 0
		.amdhsa_system_vgpr_workitem_id 0
		.amdhsa_next_free_vgpr 1
		.amdhsa_next_free_sgpr 0
		.amdhsa_accum_offset 4
		.amdhsa_reserve_vcc 0
		.amdhsa_reserve_flat_scratch 0
		.amdhsa_float_round_mode_32 0
		.amdhsa_float_round_mode_16_64 0
		.amdhsa_float_denorm_mode_32 3
		.amdhsa_float_denorm_mode_16_64 3
		.amdhsa_dx10_clamp 1
		.amdhsa_ieee_mode 1
		.amdhsa_fp16_overflow 0
		.amdhsa_tg_split 0
		.amdhsa_exception_fp_ieee_invalid_op 0
		.amdhsa_exception_fp_denorm_src 0
		.amdhsa_exception_fp_ieee_div_zero 0
		.amdhsa_exception_fp_ieee_overflow 0
		.amdhsa_exception_fp_ieee_underflow 0
		.amdhsa_exception_fp_ieee_inexact 0
		.amdhsa_exception_int_div_zero 0
	.end_amdhsa_kernel
	.section	.text._ZN7rocprim17ROCPRIM_400000_NS6detail17trampoline_kernelINS0_14default_configENS1_20scan_config_selectorItEEZZNS1_9scan_implILNS1_25lookback_scan_determinismE0ELb1ELb1ES3_N6thrust23THRUST_200600_302600_NS6detail15normal_iteratorINS9_10device_ptrItEEEESE_tNS9_4plusIvEEtEEDaPvRmT3_T4_T5_mT6_P12ihipStream_tbENKUlT_T0_E_clISt17integral_constantIbLb0EEST_IbLb1EEEEDaSP_SQ_EUlSP_E_NS1_11comp_targetILNS1_3genE10ELNS1_11target_archE1200ELNS1_3gpuE4ELNS1_3repE0EEENS1_30default_config_static_selectorELNS0_4arch9wavefront6targetE1EEEvT1_,"axG",@progbits,_ZN7rocprim17ROCPRIM_400000_NS6detail17trampoline_kernelINS0_14default_configENS1_20scan_config_selectorItEEZZNS1_9scan_implILNS1_25lookback_scan_determinismE0ELb1ELb1ES3_N6thrust23THRUST_200600_302600_NS6detail15normal_iteratorINS9_10device_ptrItEEEESE_tNS9_4plusIvEEtEEDaPvRmT3_T4_T5_mT6_P12ihipStream_tbENKUlT_T0_E_clISt17integral_constantIbLb0EEST_IbLb1EEEEDaSP_SQ_EUlSP_E_NS1_11comp_targetILNS1_3genE10ELNS1_11target_archE1200ELNS1_3gpuE4ELNS1_3repE0EEENS1_30default_config_static_selectorELNS0_4arch9wavefront6targetE1EEEvT1_,comdat
.Lfunc_end4850:
	.size	_ZN7rocprim17ROCPRIM_400000_NS6detail17trampoline_kernelINS0_14default_configENS1_20scan_config_selectorItEEZZNS1_9scan_implILNS1_25lookback_scan_determinismE0ELb1ELb1ES3_N6thrust23THRUST_200600_302600_NS6detail15normal_iteratorINS9_10device_ptrItEEEESE_tNS9_4plusIvEEtEEDaPvRmT3_T4_T5_mT6_P12ihipStream_tbENKUlT_T0_E_clISt17integral_constantIbLb0EEST_IbLb1EEEEDaSP_SQ_EUlSP_E_NS1_11comp_targetILNS1_3genE10ELNS1_11target_archE1200ELNS1_3gpuE4ELNS1_3repE0EEENS1_30default_config_static_selectorELNS0_4arch9wavefront6targetE1EEEvT1_, .Lfunc_end4850-_ZN7rocprim17ROCPRIM_400000_NS6detail17trampoline_kernelINS0_14default_configENS1_20scan_config_selectorItEEZZNS1_9scan_implILNS1_25lookback_scan_determinismE0ELb1ELb1ES3_N6thrust23THRUST_200600_302600_NS6detail15normal_iteratorINS9_10device_ptrItEEEESE_tNS9_4plusIvEEtEEDaPvRmT3_T4_T5_mT6_P12ihipStream_tbENKUlT_T0_E_clISt17integral_constantIbLb0EEST_IbLb1EEEEDaSP_SQ_EUlSP_E_NS1_11comp_targetILNS1_3genE10ELNS1_11target_archE1200ELNS1_3gpuE4ELNS1_3repE0EEENS1_30default_config_static_selectorELNS0_4arch9wavefront6targetE1EEEvT1_
                                        ; -- End function
	.section	.AMDGPU.csdata,"",@progbits
; Kernel info:
; codeLenInByte = 0
; NumSgprs: 4
; NumVgprs: 0
; NumAgprs: 0
; TotalNumVgprs: 0
; ScratchSize: 0
; MemoryBound: 0
; FloatMode: 240
; IeeeMode: 1
; LDSByteSize: 0 bytes/workgroup (compile time only)
; SGPRBlocks: 0
; VGPRBlocks: 0
; NumSGPRsForWavesPerEU: 4
; NumVGPRsForWavesPerEU: 1
; AccumOffset: 4
; Occupancy: 8
; WaveLimiterHint : 0
; COMPUTE_PGM_RSRC2:SCRATCH_EN: 0
; COMPUTE_PGM_RSRC2:USER_SGPR: 6
; COMPUTE_PGM_RSRC2:TRAP_HANDLER: 0
; COMPUTE_PGM_RSRC2:TGID_X_EN: 1
; COMPUTE_PGM_RSRC2:TGID_Y_EN: 0
; COMPUTE_PGM_RSRC2:TGID_Z_EN: 0
; COMPUTE_PGM_RSRC2:TIDIG_COMP_CNT: 0
; COMPUTE_PGM_RSRC3_GFX90A:ACCUM_OFFSET: 0
; COMPUTE_PGM_RSRC3_GFX90A:TG_SPLIT: 0
	.section	.text._ZN7rocprim17ROCPRIM_400000_NS6detail17trampoline_kernelINS0_14default_configENS1_20scan_config_selectorItEEZZNS1_9scan_implILNS1_25lookback_scan_determinismE0ELb1ELb1ES3_N6thrust23THRUST_200600_302600_NS6detail15normal_iteratorINS9_10device_ptrItEEEESE_tNS9_4plusIvEEtEEDaPvRmT3_T4_T5_mT6_P12ihipStream_tbENKUlT_T0_E_clISt17integral_constantIbLb0EEST_IbLb1EEEEDaSP_SQ_EUlSP_E_NS1_11comp_targetILNS1_3genE9ELNS1_11target_archE1100ELNS1_3gpuE3ELNS1_3repE0EEENS1_30default_config_static_selectorELNS0_4arch9wavefront6targetE1EEEvT1_,"axG",@progbits,_ZN7rocprim17ROCPRIM_400000_NS6detail17trampoline_kernelINS0_14default_configENS1_20scan_config_selectorItEEZZNS1_9scan_implILNS1_25lookback_scan_determinismE0ELb1ELb1ES3_N6thrust23THRUST_200600_302600_NS6detail15normal_iteratorINS9_10device_ptrItEEEESE_tNS9_4plusIvEEtEEDaPvRmT3_T4_T5_mT6_P12ihipStream_tbENKUlT_T0_E_clISt17integral_constantIbLb0EEST_IbLb1EEEEDaSP_SQ_EUlSP_E_NS1_11comp_targetILNS1_3genE9ELNS1_11target_archE1100ELNS1_3gpuE3ELNS1_3repE0EEENS1_30default_config_static_selectorELNS0_4arch9wavefront6targetE1EEEvT1_,comdat
	.protected	_ZN7rocprim17ROCPRIM_400000_NS6detail17trampoline_kernelINS0_14default_configENS1_20scan_config_selectorItEEZZNS1_9scan_implILNS1_25lookback_scan_determinismE0ELb1ELb1ES3_N6thrust23THRUST_200600_302600_NS6detail15normal_iteratorINS9_10device_ptrItEEEESE_tNS9_4plusIvEEtEEDaPvRmT3_T4_T5_mT6_P12ihipStream_tbENKUlT_T0_E_clISt17integral_constantIbLb0EEST_IbLb1EEEEDaSP_SQ_EUlSP_E_NS1_11comp_targetILNS1_3genE9ELNS1_11target_archE1100ELNS1_3gpuE3ELNS1_3repE0EEENS1_30default_config_static_selectorELNS0_4arch9wavefront6targetE1EEEvT1_ ; -- Begin function _ZN7rocprim17ROCPRIM_400000_NS6detail17trampoline_kernelINS0_14default_configENS1_20scan_config_selectorItEEZZNS1_9scan_implILNS1_25lookback_scan_determinismE0ELb1ELb1ES3_N6thrust23THRUST_200600_302600_NS6detail15normal_iteratorINS9_10device_ptrItEEEESE_tNS9_4plusIvEEtEEDaPvRmT3_T4_T5_mT6_P12ihipStream_tbENKUlT_T0_E_clISt17integral_constantIbLb0EEST_IbLb1EEEEDaSP_SQ_EUlSP_E_NS1_11comp_targetILNS1_3genE9ELNS1_11target_archE1100ELNS1_3gpuE3ELNS1_3repE0EEENS1_30default_config_static_selectorELNS0_4arch9wavefront6targetE1EEEvT1_
	.globl	_ZN7rocprim17ROCPRIM_400000_NS6detail17trampoline_kernelINS0_14default_configENS1_20scan_config_selectorItEEZZNS1_9scan_implILNS1_25lookback_scan_determinismE0ELb1ELb1ES3_N6thrust23THRUST_200600_302600_NS6detail15normal_iteratorINS9_10device_ptrItEEEESE_tNS9_4plusIvEEtEEDaPvRmT3_T4_T5_mT6_P12ihipStream_tbENKUlT_T0_E_clISt17integral_constantIbLb0EEST_IbLb1EEEEDaSP_SQ_EUlSP_E_NS1_11comp_targetILNS1_3genE9ELNS1_11target_archE1100ELNS1_3gpuE3ELNS1_3repE0EEENS1_30default_config_static_selectorELNS0_4arch9wavefront6targetE1EEEvT1_
	.p2align	8
	.type	_ZN7rocprim17ROCPRIM_400000_NS6detail17trampoline_kernelINS0_14default_configENS1_20scan_config_selectorItEEZZNS1_9scan_implILNS1_25lookback_scan_determinismE0ELb1ELb1ES3_N6thrust23THRUST_200600_302600_NS6detail15normal_iteratorINS9_10device_ptrItEEEESE_tNS9_4plusIvEEtEEDaPvRmT3_T4_T5_mT6_P12ihipStream_tbENKUlT_T0_E_clISt17integral_constantIbLb0EEST_IbLb1EEEEDaSP_SQ_EUlSP_E_NS1_11comp_targetILNS1_3genE9ELNS1_11target_archE1100ELNS1_3gpuE3ELNS1_3repE0EEENS1_30default_config_static_selectorELNS0_4arch9wavefront6targetE1EEEvT1_,@function
_ZN7rocprim17ROCPRIM_400000_NS6detail17trampoline_kernelINS0_14default_configENS1_20scan_config_selectorItEEZZNS1_9scan_implILNS1_25lookback_scan_determinismE0ELb1ELb1ES3_N6thrust23THRUST_200600_302600_NS6detail15normal_iteratorINS9_10device_ptrItEEEESE_tNS9_4plusIvEEtEEDaPvRmT3_T4_T5_mT6_P12ihipStream_tbENKUlT_T0_E_clISt17integral_constantIbLb0EEST_IbLb1EEEEDaSP_SQ_EUlSP_E_NS1_11comp_targetILNS1_3genE9ELNS1_11target_archE1100ELNS1_3gpuE3ELNS1_3repE0EEENS1_30default_config_static_selectorELNS0_4arch9wavefront6targetE1EEEvT1_: ; @_ZN7rocprim17ROCPRIM_400000_NS6detail17trampoline_kernelINS0_14default_configENS1_20scan_config_selectorItEEZZNS1_9scan_implILNS1_25lookback_scan_determinismE0ELb1ELb1ES3_N6thrust23THRUST_200600_302600_NS6detail15normal_iteratorINS9_10device_ptrItEEEESE_tNS9_4plusIvEEtEEDaPvRmT3_T4_T5_mT6_P12ihipStream_tbENKUlT_T0_E_clISt17integral_constantIbLb0EEST_IbLb1EEEEDaSP_SQ_EUlSP_E_NS1_11comp_targetILNS1_3genE9ELNS1_11target_archE1100ELNS1_3gpuE3ELNS1_3repE0EEENS1_30default_config_static_selectorELNS0_4arch9wavefront6targetE1EEEvT1_
; %bb.0:
	.section	.rodata,"a",@progbits
	.p2align	6, 0x0
	.amdhsa_kernel _ZN7rocprim17ROCPRIM_400000_NS6detail17trampoline_kernelINS0_14default_configENS1_20scan_config_selectorItEEZZNS1_9scan_implILNS1_25lookback_scan_determinismE0ELb1ELb1ES3_N6thrust23THRUST_200600_302600_NS6detail15normal_iteratorINS9_10device_ptrItEEEESE_tNS9_4plusIvEEtEEDaPvRmT3_T4_T5_mT6_P12ihipStream_tbENKUlT_T0_E_clISt17integral_constantIbLb0EEST_IbLb1EEEEDaSP_SQ_EUlSP_E_NS1_11comp_targetILNS1_3genE9ELNS1_11target_archE1100ELNS1_3gpuE3ELNS1_3repE0EEENS1_30default_config_static_selectorELNS0_4arch9wavefront6targetE1EEEvT1_
		.amdhsa_group_segment_fixed_size 0
		.amdhsa_private_segment_fixed_size 0
		.amdhsa_kernarg_size 96
		.amdhsa_user_sgpr_count 6
		.amdhsa_user_sgpr_private_segment_buffer 1
		.amdhsa_user_sgpr_dispatch_ptr 0
		.amdhsa_user_sgpr_queue_ptr 0
		.amdhsa_user_sgpr_kernarg_segment_ptr 1
		.amdhsa_user_sgpr_dispatch_id 0
		.amdhsa_user_sgpr_flat_scratch_init 0
		.amdhsa_user_sgpr_kernarg_preload_length 0
		.amdhsa_user_sgpr_kernarg_preload_offset 0
		.amdhsa_user_sgpr_private_segment_size 0
		.amdhsa_uses_dynamic_stack 0
		.amdhsa_system_sgpr_private_segment_wavefront_offset 0
		.amdhsa_system_sgpr_workgroup_id_x 1
		.amdhsa_system_sgpr_workgroup_id_y 0
		.amdhsa_system_sgpr_workgroup_id_z 0
		.amdhsa_system_sgpr_workgroup_info 0
		.amdhsa_system_vgpr_workitem_id 0
		.amdhsa_next_free_vgpr 1
		.amdhsa_next_free_sgpr 0
		.amdhsa_accum_offset 4
		.amdhsa_reserve_vcc 0
		.amdhsa_reserve_flat_scratch 0
		.amdhsa_float_round_mode_32 0
		.amdhsa_float_round_mode_16_64 0
		.amdhsa_float_denorm_mode_32 3
		.amdhsa_float_denorm_mode_16_64 3
		.amdhsa_dx10_clamp 1
		.amdhsa_ieee_mode 1
		.amdhsa_fp16_overflow 0
		.amdhsa_tg_split 0
		.amdhsa_exception_fp_ieee_invalid_op 0
		.amdhsa_exception_fp_denorm_src 0
		.amdhsa_exception_fp_ieee_div_zero 0
		.amdhsa_exception_fp_ieee_overflow 0
		.amdhsa_exception_fp_ieee_underflow 0
		.amdhsa_exception_fp_ieee_inexact 0
		.amdhsa_exception_int_div_zero 0
	.end_amdhsa_kernel
	.section	.text._ZN7rocprim17ROCPRIM_400000_NS6detail17trampoline_kernelINS0_14default_configENS1_20scan_config_selectorItEEZZNS1_9scan_implILNS1_25lookback_scan_determinismE0ELb1ELb1ES3_N6thrust23THRUST_200600_302600_NS6detail15normal_iteratorINS9_10device_ptrItEEEESE_tNS9_4plusIvEEtEEDaPvRmT3_T4_T5_mT6_P12ihipStream_tbENKUlT_T0_E_clISt17integral_constantIbLb0EEST_IbLb1EEEEDaSP_SQ_EUlSP_E_NS1_11comp_targetILNS1_3genE9ELNS1_11target_archE1100ELNS1_3gpuE3ELNS1_3repE0EEENS1_30default_config_static_selectorELNS0_4arch9wavefront6targetE1EEEvT1_,"axG",@progbits,_ZN7rocprim17ROCPRIM_400000_NS6detail17trampoline_kernelINS0_14default_configENS1_20scan_config_selectorItEEZZNS1_9scan_implILNS1_25lookback_scan_determinismE0ELb1ELb1ES3_N6thrust23THRUST_200600_302600_NS6detail15normal_iteratorINS9_10device_ptrItEEEESE_tNS9_4plusIvEEtEEDaPvRmT3_T4_T5_mT6_P12ihipStream_tbENKUlT_T0_E_clISt17integral_constantIbLb0EEST_IbLb1EEEEDaSP_SQ_EUlSP_E_NS1_11comp_targetILNS1_3genE9ELNS1_11target_archE1100ELNS1_3gpuE3ELNS1_3repE0EEENS1_30default_config_static_selectorELNS0_4arch9wavefront6targetE1EEEvT1_,comdat
.Lfunc_end4851:
	.size	_ZN7rocprim17ROCPRIM_400000_NS6detail17trampoline_kernelINS0_14default_configENS1_20scan_config_selectorItEEZZNS1_9scan_implILNS1_25lookback_scan_determinismE0ELb1ELb1ES3_N6thrust23THRUST_200600_302600_NS6detail15normal_iteratorINS9_10device_ptrItEEEESE_tNS9_4plusIvEEtEEDaPvRmT3_T4_T5_mT6_P12ihipStream_tbENKUlT_T0_E_clISt17integral_constantIbLb0EEST_IbLb1EEEEDaSP_SQ_EUlSP_E_NS1_11comp_targetILNS1_3genE9ELNS1_11target_archE1100ELNS1_3gpuE3ELNS1_3repE0EEENS1_30default_config_static_selectorELNS0_4arch9wavefront6targetE1EEEvT1_, .Lfunc_end4851-_ZN7rocprim17ROCPRIM_400000_NS6detail17trampoline_kernelINS0_14default_configENS1_20scan_config_selectorItEEZZNS1_9scan_implILNS1_25lookback_scan_determinismE0ELb1ELb1ES3_N6thrust23THRUST_200600_302600_NS6detail15normal_iteratorINS9_10device_ptrItEEEESE_tNS9_4plusIvEEtEEDaPvRmT3_T4_T5_mT6_P12ihipStream_tbENKUlT_T0_E_clISt17integral_constantIbLb0EEST_IbLb1EEEEDaSP_SQ_EUlSP_E_NS1_11comp_targetILNS1_3genE9ELNS1_11target_archE1100ELNS1_3gpuE3ELNS1_3repE0EEENS1_30default_config_static_selectorELNS0_4arch9wavefront6targetE1EEEvT1_
                                        ; -- End function
	.section	.AMDGPU.csdata,"",@progbits
; Kernel info:
; codeLenInByte = 0
; NumSgprs: 4
; NumVgprs: 0
; NumAgprs: 0
; TotalNumVgprs: 0
; ScratchSize: 0
; MemoryBound: 0
; FloatMode: 240
; IeeeMode: 1
; LDSByteSize: 0 bytes/workgroup (compile time only)
; SGPRBlocks: 0
; VGPRBlocks: 0
; NumSGPRsForWavesPerEU: 4
; NumVGPRsForWavesPerEU: 1
; AccumOffset: 4
; Occupancy: 8
; WaveLimiterHint : 0
; COMPUTE_PGM_RSRC2:SCRATCH_EN: 0
; COMPUTE_PGM_RSRC2:USER_SGPR: 6
; COMPUTE_PGM_RSRC2:TRAP_HANDLER: 0
; COMPUTE_PGM_RSRC2:TGID_X_EN: 1
; COMPUTE_PGM_RSRC2:TGID_Y_EN: 0
; COMPUTE_PGM_RSRC2:TGID_Z_EN: 0
; COMPUTE_PGM_RSRC2:TIDIG_COMP_CNT: 0
; COMPUTE_PGM_RSRC3_GFX90A:ACCUM_OFFSET: 0
; COMPUTE_PGM_RSRC3_GFX90A:TG_SPLIT: 0
	.section	.text._ZN7rocprim17ROCPRIM_400000_NS6detail17trampoline_kernelINS0_14default_configENS1_20scan_config_selectorItEEZZNS1_9scan_implILNS1_25lookback_scan_determinismE0ELb1ELb1ES3_N6thrust23THRUST_200600_302600_NS6detail15normal_iteratorINS9_10device_ptrItEEEESE_tNS9_4plusIvEEtEEDaPvRmT3_T4_T5_mT6_P12ihipStream_tbENKUlT_T0_E_clISt17integral_constantIbLb0EEST_IbLb1EEEEDaSP_SQ_EUlSP_E_NS1_11comp_targetILNS1_3genE8ELNS1_11target_archE1030ELNS1_3gpuE2ELNS1_3repE0EEENS1_30default_config_static_selectorELNS0_4arch9wavefront6targetE1EEEvT1_,"axG",@progbits,_ZN7rocprim17ROCPRIM_400000_NS6detail17trampoline_kernelINS0_14default_configENS1_20scan_config_selectorItEEZZNS1_9scan_implILNS1_25lookback_scan_determinismE0ELb1ELb1ES3_N6thrust23THRUST_200600_302600_NS6detail15normal_iteratorINS9_10device_ptrItEEEESE_tNS9_4plusIvEEtEEDaPvRmT3_T4_T5_mT6_P12ihipStream_tbENKUlT_T0_E_clISt17integral_constantIbLb0EEST_IbLb1EEEEDaSP_SQ_EUlSP_E_NS1_11comp_targetILNS1_3genE8ELNS1_11target_archE1030ELNS1_3gpuE2ELNS1_3repE0EEENS1_30default_config_static_selectorELNS0_4arch9wavefront6targetE1EEEvT1_,comdat
	.protected	_ZN7rocprim17ROCPRIM_400000_NS6detail17trampoline_kernelINS0_14default_configENS1_20scan_config_selectorItEEZZNS1_9scan_implILNS1_25lookback_scan_determinismE0ELb1ELb1ES3_N6thrust23THRUST_200600_302600_NS6detail15normal_iteratorINS9_10device_ptrItEEEESE_tNS9_4plusIvEEtEEDaPvRmT3_T4_T5_mT6_P12ihipStream_tbENKUlT_T0_E_clISt17integral_constantIbLb0EEST_IbLb1EEEEDaSP_SQ_EUlSP_E_NS1_11comp_targetILNS1_3genE8ELNS1_11target_archE1030ELNS1_3gpuE2ELNS1_3repE0EEENS1_30default_config_static_selectorELNS0_4arch9wavefront6targetE1EEEvT1_ ; -- Begin function _ZN7rocprim17ROCPRIM_400000_NS6detail17trampoline_kernelINS0_14default_configENS1_20scan_config_selectorItEEZZNS1_9scan_implILNS1_25lookback_scan_determinismE0ELb1ELb1ES3_N6thrust23THRUST_200600_302600_NS6detail15normal_iteratorINS9_10device_ptrItEEEESE_tNS9_4plusIvEEtEEDaPvRmT3_T4_T5_mT6_P12ihipStream_tbENKUlT_T0_E_clISt17integral_constantIbLb0EEST_IbLb1EEEEDaSP_SQ_EUlSP_E_NS1_11comp_targetILNS1_3genE8ELNS1_11target_archE1030ELNS1_3gpuE2ELNS1_3repE0EEENS1_30default_config_static_selectorELNS0_4arch9wavefront6targetE1EEEvT1_
	.globl	_ZN7rocprim17ROCPRIM_400000_NS6detail17trampoline_kernelINS0_14default_configENS1_20scan_config_selectorItEEZZNS1_9scan_implILNS1_25lookback_scan_determinismE0ELb1ELb1ES3_N6thrust23THRUST_200600_302600_NS6detail15normal_iteratorINS9_10device_ptrItEEEESE_tNS9_4plusIvEEtEEDaPvRmT3_T4_T5_mT6_P12ihipStream_tbENKUlT_T0_E_clISt17integral_constantIbLb0EEST_IbLb1EEEEDaSP_SQ_EUlSP_E_NS1_11comp_targetILNS1_3genE8ELNS1_11target_archE1030ELNS1_3gpuE2ELNS1_3repE0EEENS1_30default_config_static_selectorELNS0_4arch9wavefront6targetE1EEEvT1_
	.p2align	8
	.type	_ZN7rocprim17ROCPRIM_400000_NS6detail17trampoline_kernelINS0_14default_configENS1_20scan_config_selectorItEEZZNS1_9scan_implILNS1_25lookback_scan_determinismE0ELb1ELb1ES3_N6thrust23THRUST_200600_302600_NS6detail15normal_iteratorINS9_10device_ptrItEEEESE_tNS9_4plusIvEEtEEDaPvRmT3_T4_T5_mT6_P12ihipStream_tbENKUlT_T0_E_clISt17integral_constantIbLb0EEST_IbLb1EEEEDaSP_SQ_EUlSP_E_NS1_11comp_targetILNS1_3genE8ELNS1_11target_archE1030ELNS1_3gpuE2ELNS1_3repE0EEENS1_30default_config_static_selectorELNS0_4arch9wavefront6targetE1EEEvT1_,@function
_ZN7rocprim17ROCPRIM_400000_NS6detail17trampoline_kernelINS0_14default_configENS1_20scan_config_selectorItEEZZNS1_9scan_implILNS1_25lookback_scan_determinismE0ELb1ELb1ES3_N6thrust23THRUST_200600_302600_NS6detail15normal_iteratorINS9_10device_ptrItEEEESE_tNS9_4plusIvEEtEEDaPvRmT3_T4_T5_mT6_P12ihipStream_tbENKUlT_T0_E_clISt17integral_constantIbLb0EEST_IbLb1EEEEDaSP_SQ_EUlSP_E_NS1_11comp_targetILNS1_3genE8ELNS1_11target_archE1030ELNS1_3gpuE2ELNS1_3repE0EEENS1_30default_config_static_selectorELNS0_4arch9wavefront6targetE1EEEvT1_: ; @_ZN7rocprim17ROCPRIM_400000_NS6detail17trampoline_kernelINS0_14default_configENS1_20scan_config_selectorItEEZZNS1_9scan_implILNS1_25lookback_scan_determinismE0ELb1ELb1ES3_N6thrust23THRUST_200600_302600_NS6detail15normal_iteratorINS9_10device_ptrItEEEESE_tNS9_4plusIvEEtEEDaPvRmT3_T4_T5_mT6_P12ihipStream_tbENKUlT_T0_E_clISt17integral_constantIbLb0EEST_IbLb1EEEEDaSP_SQ_EUlSP_E_NS1_11comp_targetILNS1_3genE8ELNS1_11target_archE1030ELNS1_3gpuE2ELNS1_3repE0EEENS1_30default_config_static_selectorELNS0_4arch9wavefront6targetE1EEEvT1_
; %bb.0:
	.section	.rodata,"a",@progbits
	.p2align	6, 0x0
	.amdhsa_kernel _ZN7rocprim17ROCPRIM_400000_NS6detail17trampoline_kernelINS0_14default_configENS1_20scan_config_selectorItEEZZNS1_9scan_implILNS1_25lookback_scan_determinismE0ELb1ELb1ES3_N6thrust23THRUST_200600_302600_NS6detail15normal_iteratorINS9_10device_ptrItEEEESE_tNS9_4plusIvEEtEEDaPvRmT3_T4_T5_mT6_P12ihipStream_tbENKUlT_T0_E_clISt17integral_constantIbLb0EEST_IbLb1EEEEDaSP_SQ_EUlSP_E_NS1_11comp_targetILNS1_3genE8ELNS1_11target_archE1030ELNS1_3gpuE2ELNS1_3repE0EEENS1_30default_config_static_selectorELNS0_4arch9wavefront6targetE1EEEvT1_
		.amdhsa_group_segment_fixed_size 0
		.amdhsa_private_segment_fixed_size 0
		.amdhsa_kernarg_size 96
		.amdhsa_user_sgpr_count 6
		.amdhsa_user_sgpr_private_segment_buffer 1
		.amdhsa_user_sgpr_dispatch_ptr 0
		.amdhsa_user_sgpr_queue_ptr 0
		.amdhsa_user_sgpr_kernarg_segment_ptr 1
		.amdhsa_user_sgpr_dispatch_id 0
		.amdhsa_user_sgpr_flat_scratch_init 0
		.amdhsa_user_sgpr_kernarg_preload_length 0
		.amdhsa_user_sgpr_kernarg_preload_offset 0
		.amdhsa_user_sgpr_private_segment_size 0
		.amdhsa_uses_dynamic_stack 0
		.amdhsa_system_sgpr_private_segment_wavefront_offset 0
		.amdhsa_system_sgpr_workgroup_id_x 1
		.amdhsa_system_sgpr_workgroup_id_y 0
		.amdhsa_system_sgpr_workgroup_id_z 0
		.amdhsa_system_sgpr_workgroup_info 0
		.amdhsa_system_vgpr_workitem_id 0
		.amdhsa_next_free_vgpr 1
		.amdhsa_next_free_sgpr 0
		.amdhsa_accum_offset 4
		.amdhsa_reserve_vcc 0
		.amdhsa_reserve_flat_scratch 0
		.amdhsa_float_round_mode_32 0
		.amdhsa_float_round_mode_16_64 0
		.amdhsa_float_denorm_mode_32 3
		.amdhsa_float_denorm_mode_16_64 3
		.amdhsa_dx10_clamp 1
		.amdhsa_ieee_mode 1
		.amdhsa_fp16_overflow 0
		.amdhsa_tg_split 0
		.amdhsa_exception_fp_ieee_invalid_op 0
		.amdhsa_exception_fp_denorm_src 0
		.amdhsa_exception_fp_ieee_div_zero 0
		.amdhsa_exception_fp_ieee_overflow 0
		.amdhsa_exception_fp_ieee_underflow 0
		.amdhsa_exception_fp_ieee_inexact 0
		.amdhsa_exception_int_div_zero 0
	.end_amdhsa_kernel
	.section	.text._ZN7rocprim17ROCPRIM_400000_NS6detail17trampoline_kernelINS0_14default_configENS1_20scan_config_selectorItEEZZNS1_9scan_implILNS1_25lookback_scan_determinismE0ELb1ELb1ES3_N6thrust23THRUST_200600_302600_NS6detail15normal_iteratorINS9_10device_ptrItEEEESE_tNS9_4plusIvEEtEEDaPvRmT3_T4_T5_mT6_P12ihipStream_tbENKUlT_T0_E_clISt17integral_constantIbLb0EEST_IbLb1EEEEDaSP_SQ_EUlSP_E_NS1_11comp_targetILNS1_3genE8ELNS1_11target_archE1030ELNS1_3gpuE2ELNS1_3repE0EEENS1_30default_config_static_selectorELNS0_4arch9wavefront6targetE1EEEvT1_,"axG",@progbits,_ZN7rocprim17ROCPRIM_400000_NS6detail17trampoline_kernelINS0_14default_configENS1_20scan_config_selectorItEEZZNS1_9scan_implILNS1_25lookback_scan_determinismE0ELb1ELb1ES3_N6thrust23THRUST_200600_302600_NS6detail15normal_iteratorINS9_10device_ptrItEEEESE_tNS9_4plusIvEEtEEDaPvRmT3_T4_T5_mT6_P12ihipStream_tbENKUlT_T0_E_clISt17integral_constantIbLb0EEST_IbLb1EEEEDaSP_SQ_EUlSP_E_NS1_11comp_targetILNS1_3genE8ELNS1_11target_archE1030ELNS1_3gpuE2ELNS1_3repE0EEENS1_30default_config_static_selectorELNS0_4arch9wavefront6targetE1EEEvT1_,comdat
.Lfunc_end4852:
	.size	_ZN7rocprim17ROCPRIM_400000_NS6detail17trampoline_kernelINS0_14default_configENS1_20scan_config_selectorItEEZZNS1_9scan_implILNS1_25lookback_scan_determinismE0ELb1ELb1ES3_N6thrust23THRUST_200600_302600_NS6detail15normal_iteratorINS9_10device_ptrItEEEESE_tNS9_4plusIvEEtEEDaPvRmT3_T4_T5_mT6_P12ihipStream_tbENKUlT_T0_E_clISt17integral_constantIbLb0EEST_IbLb1EEEEDaSP_SQ_EUlSP_E_NS1_11comp_targetILNS1_3genE8ELNS1_11target_archE1030ELNS1_3gpuE2ELNS1_3repE0EEENS1_30default_config_static_selectorELNS0_4arch9wavefront6targetE1EEEvT1_, .Lfunc_end4852-_ZN7rocprim17ROCPRIM_400000_NS6detail17trampoline_kernelINS0_14default_configENS1_20scan_config_selectorItEEZZNS1_9scan_implILNS1_25lookback_scan_determinismE0ELb1ELb1ES3_N6thrust23THRUST_200600_302600_NS6detail15normal_iteratorINS9_10device_ptrItEEEESE_tNS9_4plusIvEEtEEDaPvRmT3_T4_T5_mT6_P12ihipStream_tbENKUlT_T0_E_clISt17integral_constantIbLb0EEST_IbLb1EEEEDaSP_SQ_EUlSP_E_NS1_11comp_targetILNS1_3genE8ELNS1_11target_archE1030ELNS1_3gpuE2ELNS1_3repE0EEENS1_30default_config_static_selectorELNS0_4arch9wavefront6targetE1EEEvT1_
                                        ; -- End function
	.section	.AMDGPU.csdata,"",@progbits
; Kernel info:
; codeLenInByte = 0
; NumSgprs: 4
; NumVgprs: 0
; NumAgprs: 0
; TotalNumVgprs: 0
; ScratchSize: 0
; MemoryBound: 0
; FloatMode: 240
; IeeeMode: 1
; LDSByteSize: 0 bytes/workgroup (compile time only)
; SGPRBlocks: 0
; VGPRBlocks: 0
; NumSGPRsForWavesPerEU: 4
; NumVGPRsForWavesPerEU: 1
; AccumOffset: 4
; Occupancy: 8
; WaveLimiterHint : 0
; COMPUTE_PGM_RSRC2:SCRATCH_EN: 0
; COMPUTE_PGM_RSRC2:USER_SGPR: 6
; COMPUTE_PGM_RSRC2:TRAP_HANDLER: 0
; COMPUTE_PGM_RSRC2:TGID_X_EN: 1
; COMPUTE_PGM_RSRC2:TGID_Y_EN: 0
; COMPUTE_PGM_RSRC2:TGID_Z_EN: 0
; COMPUTE_PGM_RSRC2:TIDIG_COMP_CNT: 0
; COMPUTE_PGM_RSRC3_GFX90A:ACCUM_OFFSET: 0
; COMPUTE_PGM_RSRC3_GFX90A:TG_SPLIT: 0
	.section	.text._ZN7rocprim17ROCPRIM_400000_NS6detail17trampoline_kernelINS0_14default_configENS1_20scan_config_selectorItEEZZNS1_9scan_implILNS1_25lookback_scan_determinismE0ELb1ELb1ES3_N6thrust23THRUST_200600_302600_NS6detail15normal_iteratorINS9_10device_ptrItEEEESE_tNS9_4plusIvEEtEEDaPvRmT3_T4_T5_mT6_P12ihipStream_tbENKUlT_T0_E_clISt17integral_constantIbLb0EEST_IbLb1EEEEDaSP_SQ_EUlSP_E0_NS1_11comp_targetILNS1_3genE0ELNS1_11target_archE4294967295ELNS1_3gpuE0ELNS1_3repE0EEENS1_30default_config_static_selectorELNS0_4arch9wavefront6targetE1EEEvT1_,"axG",@progbits,_ZN7rocprim17ROCPRIM_400000_NS6detail17trampoline_kernelINS0_14default_configENS1_20scan_config_selectorItEEZZNS1_9scan_implILNS1_25lookback_scan_determinismE0ELb1ELb1ES3_N6thrust23THRUST_200600_302600_NS6detail15normal_iteratorINS9_10device_ptrItEEEESE_tNS9_4plusIvEEtEEDaPvRmT3_T4_T5_mT6_P12ihipStream_tbENKUlT_T0_E_clISt17integral_constantIbLb0EEST_IbLb1EEEEDaSP_SQ_EUlSP_E0_NS1_11comp_targetILNS1_3genE0ELNS1_11target_archE4294967295ELNS1_3gpuE0ELNS1_3repE0EEENS1_30default_config_static_selectorELNS0_4arch9wavefront6targetE1EEEvT1_,comdat
	.protected	_ZN7rocprim17ROCPRIM_400000_NS6detail17trampoline_kernelINS0_14default_configENS1_20scan_config_selectorItEEZZNS1_9scan_implILNS1_25lookback_scan_determinismE0ELb1ELb1ES3_N6thrust23THRUST_200600_302600_NS6detail15normal_iteratorINS9_10device_ptrItEEEESE_tNS9_4plusIvEEtEEDaPvRmT3_T4_T5_mT6_P12ihipStream_tbENKUlT_T0_E_clISt17integral_constantIbLb0EEST_IbLb1EEEEDaSP_SQ_EUlSP_E0_NS1_11comp_targetILNS1_3genE0ELNS1_11target_archE4294967295ELNS1_3gpuE0ELNS1_3repE0EEENS1_30default_config_static_selectorELNS0_4arch9wavefront6targetE1EEEvT1_ ; -- Begin function _ZN7rocprim17ROCPRIM_400000_NS6detail17trampoline_kernelINS0_14default_configENS1_20scan_config_selectorItEEZZNS1_9scan_implILNS1_25lookback_scan_determinismE0ELb1ELb1ES3_N6thrust23THRUST_200600_302600_NS6detail15normal_iteratorINS9_10device_ptrItEEEESE_tNS9_4plusIvEEtEEDaPvRmT3_T4_T5_mT6_P12ihipStream_tbENKUlT_T0_E_clISt17integral_constantIbLb0EEST_IbLb1EEEEDaSP_SQ_EUlSP_E0_NS1_11comp_targetILNS1_3genE0ELNS1_11target_archE4294967295ELNS1_3gpuE0ELNS1_3repE0EEENS1_30default_config_static_selectorELNS0_4arch9wavefront6targetE1EEEvT1_
	.globl	_ZN7rocprim17ROCPRIM_400000_NS6detail17trampoline_kernelINS0_14default_configENS1_20scan_config_selectorItEEZZNS1_9scan_implILNS1_25lookback_scan_determinismE0ELb1ELb1ES3_N6thrust23THRUST_200600_302600_NS6detail15normal_iteratorINS9_10device_ptrItEEEESE_tNS9_4plusIvEEtEEDaPvRmT3_T4_T5_mT6_P12ihipStream_tbENKUlT_T0_E_clISt17integral_constantIbLb0EEST_IbLb1EEEEDaSP_SQ_EUlSP_E0_NS1_11comp_targetILNS1_3genE0ELNS1_11target_archE4294967295ELNS1_3gpuE0ELNS1_3repE0EEENS1_30default_config_static_selectorELNS0_4arch9wavefront6targetE1EEEvT1_
	.p2align	8
	.type	_ZN7rocprim17ROCPRIM_400000_NS6detail17trampoline_kernelINS0_14default_configENS1_20scan_config_selectorItEEZZNS1_9scan_implILNS1_25lookback_scan_determinismE0ELb1ELb1ES3_N6thrust23THRUST_200600_302600_NS6detail15normal_iteratorINS9_10device_ptrItEEEESE_tNS9_4plusIvEEtEEDaPvRmT3_T4_T5_mT6_P12ihipStream_tbENKUlT_T0_E_clISt17integral_constantIbLb0EEST_IbLb1EEEEDaSP_SQ_EUlSP_E0_NS1_11comp_targetILNS1_3genE0ELNS1_11target_archE4294967295ELNS1_3gpuE0ELNS1_3repE0EEENS1_30default_config_static_selectorELNS0_4arch9wavefront6targetE1EEEvT1_,@function
_ZN7rocprim17ROCPRIM_400000_NS6detail17trampoline_kernelINS0_14default_configENS1_20scan_config_selectorItEEZZNS1_9scan_implILNS1_25lookback_scan_determinismE0ELb1ELb1ES3_N6thrust23THRUST_200600_302600_NS6detail15normal_iteratorINS9_10device_ptrItEEEESE_tNS9_4plusIvEEtEEDaPvRmT3_T4_T5_mT6_P12ihipStream_tbENKUlT_T0_E_clISt17integral_constantIbLb0EEST_IbLb1EEEEDaSP_SQ_EUlSP_E0_NS1_11comp_targetILNS1_3genE0ELNS1_11target_archE4294967295ELNS1_3gpuE0ELNS1_3repE0EEENS1_30default_config_static_selectorELNS0_4arch9wavefront6targetE1EEEvT1_: ; @_ZN7rocprim17ROCPRIM_400000_NS6detail17trampoline_kernelINS0_14default_configENS1_20scan_config_selectorItEEZZNS1_9scan_implILNS1_25lookback_scan_determinismE0ELb1ELb1ES3_N6thrust23THRUST_200600_302600_NS6detail15normal_iteratorINS9_10device_ptrItEEEESE_tNS9_4plusIvEEtEEDaPvRmT3_T4_T5_mT6_P12ihipStream_tbENKUlT_T0_E_clISt17integral_constantIbLb0EEST_IbLb1EEEEDaSP_SQ_EUlSP_E0_NS1_11comp_targetILNS1_3genE0ELNS1_11target_archE4294967295ELNS1_3gpuE0ELNS1_3repE0EEENS1_30default_config_static_selectorELNS0_4arch9wavefront6targetE1EEEvT1_
; %bb.0:
	.section	.rodata,"a",@progbits
	.p2align	6, 0x0
	.amdhsa_kernel _ZN7rocprim17ROCPRIM_400000_NS6detail17trampoline_kernelINS0_14default_configENS1_20scan_config_selectorItEEZZNS1_9scan_implILNS1_25lookback_scan_determinismE0ELb1ELb1ES3_N6thrust23THRUST_200600_302600_NS6detail15normal_iteratorINS9_10device_ptrItEEEESE_tNS9_4plusIvEEtEEDaPvRmT3_T4_T5_mT6_P12ihipStream_tbENKUlT_T0_E_clISt17integral_constantIbLb0EEST_IbLb1EEEEDaSP_SQ_EUlSP_E0_NS1_11comp_targetILNS1_3genE0ELNS1_11target_archE4294967295ELNS1_3gpuE0ELNS1_3repE0EEENS1_30default_config_static_selectorELNS0_4arch9wavefront6targetE1EEEvT1_
		.amdhsa_group_segment_fixed_size 0
		.amdhsa_private_segment_fixed_size 0
		.amdhsa_kernarg_size 32
		.amdhsa_user_sgpr_count 6
		.amdhsa_user_sgpr_private_segment_buffer 1
		.amdhsa_user_sgpr_dispatch_ptr 0
		.amdhsa_user_sgpr_queue_ptr 0
		.amdhsa_user_sgpr_kernarg_segment_ptr 1
		.amdhsa_user_sgpr_dispatch_id 0
		.amdhsa_user_sgpr_flat_scratch_init 0
		.amdhsa_user_sgpr_kernarg_preload_length 0
		.amdhsa_user_sgpr_kernarg_preload_offset 0
		.amdhsa_user_sgpr_private_segment_size 0
		.amdhsa_uses_dynamic_stack 0
		.amdhsa_system_sgpr_private_segment_wavefront_offset 0
		.amdhsa_system_sgpr_workgroup_id_x 1
		.amdhsa_system_sgpr_workgroup_id_y 0
		.amdhsa_system_sgpr_workgroup_id_z 0
		.amdhsa_system_sgpr_workgroup_info 0
		.amdhsa_system_vgpr_workitem_id 0
		.amdhsa_next_free_vgpr 1
		.amdhsa_next_free_sgpr 0
		.amdhsa_accum_offset 4
		.amdhsa_reserve_vcc 0
		.amdhsa_reserve_flat_scratch 0
		.amdhsa_float_round_mode_32 0
		.amdhsa_float_round_mode_16_64 0
		.amdhsa_float_denorm_mode_32 3
		.amdhsa_float_denorm_mode_16_64 3
		.amdhsa_dx10_clamp 1
		.amdhsa_ieee_mode 1
		.amdhsa_fp16_overflow 0
		.amdhsa_tg_split 0
		.amdhsa_exception_fp_ieee_invalid_op 0
		.amdhsa_exception_fp_denorm_src 0
		.amdhsa_exception_fp_ieee_div_zero 0
		.amdhsa_exception_fp_ieee_overflow 0
		.amdhsa_exception_fp_ieee_underflow 0
		.amdhsa_exception_fp_ieee_inexact 0
		.amdhsa_exception_int_div_zero 0
	.end_amdhsa_kernel
	.section	.text._ZN7rocprim17ROCPRIM_400000_NS6detail17trampoline_kernelINS0_14default_configENS1_20scan_config_selectorItEEZZNS1_9scan_implILNS1_25lookback_scan_determinismE0ELb1ELb1ES3_N6thrust23THRUST_200600_302600_NS6detail15normal_iteratorINS9_10device_ptrItEEEESE_tNS9_4plusIvEEtEEDaPvRmT3_T4_T5_mT6_P12ihipStream_tbENKUlT_T0_E_clISt17integral_constantIbLb0EEST_IbLb1EEEEDaSP_SQ_EUlSP_E0_NS1_11comp_targetILNS1_3genE0ELNS1_11target_archE4294967295ELNS1_3gpuE0ELNS1_3repE0EEENS1_30default_config_static_selectorELNS0_4arch9wavefront6targetE1EEEvT1_,"axG",@progbits,_ZN7rocprim17ROCPRIM_400000_NS6detail17trampoline_kernelINS0_14default_configENS1_20scan_config_selectorItEEZZNS1_9scan_implILNS1_25lookback_scan_determinismE0ELb1ELb1ES3_N6thrust23THRUST_200600_302600_NS6detail15normal_iteratorINS9_10device_ptrItEEEESE_tNS9_4plusIvEEtEEDaPvRmT3_T4_T5_mT6_P12ihipStream_tbENKUlT_T0_E_clISt17integral_constantIbLb0EEST_IbLb1EEEEDaSP_SQ_EUlSP_E0_NS1_11comp_targetILNS1_3genE0ELNS1_11target_archE4294967295ELNS1_3gpuE0ELNS1_3repE0EEENS1_30default_config_static_selectorELNS0_4arch9wavefront6targetE1EEEvT1_,comdat
.Lfunc_end4853:
	.size	_ZN7rocprim17ROCPRIM_400000_NS6detail17trampoline_kernelINS0_14default_configENS1_20scan_config_selectorItEEZZNS1_9scan_implILNS1_25lookback_scan_determinismE0ELb1ELb1ES3_N6thrust23THRUST_200600_302600_NS6detail15normal_iteratorINS9_10device_ptrItEEEESE_tNS9_4plusIvEEtEEDaPvRmT3_T4_T5_mT6_P12ihipStream_tbENKUlT_T0_E_clISt17integral_constantIbLb0EEST_IbLb1EEEEDaSP_SQ_EUlSP_E0_NS1_11comp_targetILNS1_3genE0ELNS1_11target_archE4294967295ELNS1_3gpuE0ELNS1_3repE0EEENS1_30default_config_static_selectorELNS0_4arch9wavefront6targetE1EEEvT1_, .Lfunc_end4853-_ZN7rocprim17ROCPRIM_400000_NS6detail17trampoline_kernelINS0_14default_configENS1_20scan_config_selectorItEEZZNS1_9scan_implILNS1_25lookback_scan_determinismE0ELb1ELb1ES3_N6thrust23THRUST_200600_302600_NS6detail15normal_iteratorINS9_10device_ptrItEEEESE_tNS9_4plusIvEEtEEDaPvRmT3_T4_T5_mT6_P12ihipStream_tbENKUlT_T0_E_clISt17integral_constantIbLb0EEST_IbLb1EEEEDaSP_SQ_EUlSP_E0_NS1_11comp_targetILNS1_3genE0ELNS1_11target_archE4294967295ELNS1_3gpuE0ELNS1_3repE0EEENS1_30default_config_static_selectorELNS0_4arch9wavefront6targetE1EEEvT1_
                                        ; -- End function
	.section	.AMDGPU.csdata,"",@progbits
; Kernel info:
; codeLenInByte = 0
; NumSgprs: 4
; NumVgprs: 0
; NumAgprs: 0
; TotalNumVgprs: 0
; ScratchSize: 0
; MemoryBound: 0
; FloatMode: 240
; IeeeMode: 1
; LDSByteSize: 0 bytes/workgroup (compile time only)
; SGPRBlocks: 0
; VGPRBlocks: 0
; NumSGPRsForWavesPerEU: 4
; NumVGPRsForWavesPerEU: 1
; AccumOffset: 4
; Occupancy: 8
; WaveLimiterHint : 0
; COMPUTE_PGM_RSRC2:SCRATCH_EN: 0
; COMPUTE_PGM_RSRC2:USER_SGPR: 6
; COMPUTE_PGM_RSRC2:TRAP_HANDLER: 0
; COMPUTE_PGM_RSRC2:TGID_X_EN: 1
; COMPUTE_PGM_RSRC2:TGID_Y_EN: 0
; COMPUTE_PGM_RSRC2:TGID_Z_EN: 0
; COMPUTE_PGM_RSRC2:TIDIG_COMP_CNT: 0
; COMPUTE_PGM_RSRC3_GFX90A:ACCUM_OFFSET: 0
; COMPUTE_PGM_RSRC3_GFX90A:TG_SPLIT: 0
	.section	.text._ZN7rocprim17ROCPRIM_400000_NS6detail17trampoline_kernelINS0_14default_configENS1_20scan_config_selectorItEEZZNS1_9scan_implILNS1_25lookback_scan_determinismE0ELb1ELb1ES3_N6thrust23THRUST_200600_302600_NS6detail15normal_iteratorINS9_10device_ptrItEEEESE_tNS9_4plusIvEEtEEDaPvRmT3_T4_T5_mT6_P12ihipStream_tbENKUlT_T0_E_clISt17integral_constantIbLb0EEST_IbLb1EEEEDaSP_SQ_EUlSP_E0_NS1_11comp_targetILNS1_3genE5ELNS1_11target_archE942ELNS1_3gpuE9ELNS1_3repE0EEENS1_30default_config_static_selectorELNS0_4arch9wavefront6targetE1EEEvT1_,"axG",@progbits,_ZN7rocprim17ROCPRIM_400000_NS6detail17trampoline_kernelINS0_14default_configENS1_20scan_config_selectorItEEZZNS1_9scan_implILNS1_25lookback_scan_determinismE0ELb1ELb1ES3_N6thrust23THRUST_200600_302600_NS6detail15normal_iteratorINS9_10device_ptrItEEEESE_tNS9_4plusIvEEtEEDaPvRmT3_T4_T5_mT6_P12ihipStream_tbENKUlT_T0_E_clISt17integral_constantIbLb0EEST_IbLb1EEEEDaSP_SQ_EUlSP_E0_NS1_11comp_targetILNS1_3genE5ELNS1_11target_archE942ELNS1_3gpuE9ELNS1_3repE0EEENS1_30default_config_static_selectorELNS0_4arch9wavefront6targetE1EEEvT1_,comdat
	.protected	_ZN7rocprim17ROCPRIM_400000_NS6detail17trampoline_kernelINS0_14default_configENS1_20scan_config_selectorItEEZZNS1_9scan_implILNS1_25lookback_scan_determinismE0ELb1ELb1ES3_N6thrust23THRUST_200600_302600_NS6detail15normal_iteratorINS9_10device_ptrItEEEESE_tNS9_4plusIvEEtEEDaPvRmT3_T4_T5_mT6_P12ihipStream_tbENKUlT_T0_E_clISt17integral_constantIbLb0EEST_IbLb1EEEEDaSP_SQ_EUlSP_E0_NS1_11comp_targetILNS1_3genE5ELNS1_11target_archE942ELNS1_3gpuE9ELNS1_3repE0EEENS1_30default_config_static_selectorELNS0_4arch9wavefront6targetE1EEEvT1_ ; -- Begin function _ZN7rocprim17ROCPRIM_400000_NS6detail17trampoline_kernelINS0_14default_configENS1_20scan_config_selectorItEEZZNS1_9scan_implILNS1_25lookback_scan_determinismE0ELb1ELb1ES3_N6thrust23THRUST_200600_302600_NS6detail15normal_iteratorINS9_10device_ptrItEEEESE_tNS9_4plusIvEEtEEDaPvRmT3_T4_T5_mT6_P12ihipStream_tbENKUlT_T0_E_clISt17integral_constantIbLb0EEST_IbLb1EEEEDaSP_SQ_EUlSP_E0_NS1_11comp_targetILNS1_3genE5ELNS1_11target_archE942ELNS1_3gpuE9ELNS1_3repE0EEENS1_30default_config_static_selectorELNS0_4arch9wavefront6targetE1EEEvT1_
	.globl	_ZN7rocprim17ROCPRIM_400000_NS6detail17trampoline_kernelINS0_14default_configENS1_20scan_config_selectorItEEZZNS1_9scan_implILNS1_25lookback_scan_determinismE0ELb1ELb1ES3_N6thrust23THRUST_200600_302600_NS6detail15normal_iteratorINS9_10device_ptrItEEEESE_tNS9_4plusIvEEtEEDaPvRmT3_T4_T5_mT6_P12ihipStream_tbENKUlT_T0_E_clISt17integral_constantIbLb0EEST_IbLb1EEEEDaSP_SQ_EUlSP_E0_NS1_11comp_targetILNS1_3genE5ELNS1_11target_archE942ELNS1_3gpuE9ELNS1_3repE0EEENS1_30default_config_static_selectorELNS0_4arch9wavefront6targetE1EEEvT1_
	.p2align	8
	.type	_ZN7rocprim17ROCPRIM_400000_NS6detail17trampoline_kernelINS0_14default_configENS1_20scan_config_selectorItEEZZNS1_9scan_implILNS1_25lookback_scan_determinismE0ELb1ELb1ES3_N6thrust23THRUST_200600_302600_NS6detail15normal_iteratorINS9_10device_ptrItEEEESE_tNS9_4plusIvEEtEEDaPvRmT3_T4_T5_mT6_P12ihipStream_tbENKUlT_T0_E_clISt17integral_constantIbLb0EEST_IbLb1EEEEDaSP_SQ_EUlSP_E0_NS1_11comp_targetILNS1_3genE5ELNS1_11target_archE942ELNS1_3gpuE9ELNS1_3repE0EEENS1_30default_config_static_selectorELNS0_4arch9wavefront6targetE1EEEvT1_,@function
_ZN7rocprim17ROCPRIM_400000_NS6detail17trampoline_kernelINS0_14default_configENS1_20scan_config_selectorItEEZZNS1_9scan_implILNS1_25lookback_scan_determinismE0ELb1ELb1ES3_N6thrust23THRUST_200600_302600_NS6detail15normal_iteratorINS9_10device_ptrItEEEESE_tNS9_4plusIvEEtEEDaPvRmT3_T4_T5_mT6_P12ihipStream_tbENKUlT_T0_E_clISt17integral_constantIbLb0EEST_IbLb1EEEEDaSP_SQ_EUlSP_E0_NS1_11comp_targetILNS1_3genE5ELNS1_11target_archE942ELNS1_3gpuE9ELNS1_3repE0EEENS1_30default_config_static_selectorELNS0_4arch9wavefront6targetE1EEEvT1_: ; @_ZN7rocprim17ROCPRIM_400000_NS6detail17trampoline_kernelINS0_14default_configENS1_20scan_config_selectorItEEZZNS1_9scan_implILNS1_25lookback_scan_determinismE0ELb1ELb1ES3_N6thrust23THRUST_200600_302600_NS6detail15normal_iteratorINS9_10device_ptrItEEEESE_tNS9_4plusIvEEtEEDaPvRmT3_T4_T5_mT6_P12ihipStream_tbENKUlT_T0_E_clISt17integral_constantIbLb0EEST_IbLb1EEEEDaSP_SQ_EUlSP_E0_NS1_11comp_targetILNS1_3genE5ELNS1_11target_archE942ELNS1_3gpuE9ELNS1_3repE0EEENS1_30default_config_static_selectorELNS0_4arch9wavefront6targetE1EEEvT1_
; %bb.0:
	.section	.rodata,"a",@progbits
	.p2align	6, 0x0
	.amdhsa_kernel _ZN7rocprim17ROCPRIM_400000_NS6detail17trampoline_kernelINS0_14default_configENS1_20scan_config_selectorItEEZZNS1_9scan_implILNS1_25lookback_scan_determinismE0ELb1ELb1ES3_N6thrust23THRUST_200600_302600_NS6detail15normal_iteratorINS9_10device_ptrItEEEESE_tNS9_4plusIvEEtEEDaPvRmT3_T4_T5_mT6_P12ihipStream_tbENKUlT_T0_E_clISt17integral_constantIbLb0EEST_IbLb1EEEEDaSP_SQ_EUlSP_E0_NS1_11comp_targetILNS1_3genE5ELNS1_11target_archE942ELNS1_3gpuE9ELNS1_3repE0EEENS1_30default_config_static_selectorELNS0_4arch9wavefront6targetE1EEEvT1_
		.amdhsa_group_segment_fixed_size 0
		.amdhsa_private_segment_fixed_size 0
		.amdhsa_kernarg_size 32
		.amdhsa_user_sgpr_count 6
		.amdhsa_user_sgpr_private_segment_buffer 1
		.amdhsa_user_sgpr_dispatch_ptr 0
		.amdhsa_user_sgpr_queue_ptr 0
		.amdhsa_user_sgpr_kernarg_segment_ptr 1
		.amdhsa_user_sgpr_dispatch_id 0
		.amdhsa_user_sgpr_flat_scratch_init 0
		.amdhsa_user_sgpr_kernarg_preload_length 0
		.amdhsa_user_sgpr_kernarg_preload_offset 0
		.amdhsa_user_sgpr_private_segment_size 0
		.amdhsa_uses_dynamic_stack 0
		.amdhsa_system_sgpr_private_segment_wavefront_offset 0
		.amdhsa_system_sgpr_workgroup_id_x 1
		.amdhsa_system_sgpr_workgroup_id_y 0
		.amdhsa_system_sgpr_workgroup_id_z 0
		.amdhsa_system_sgpr_workgroup_info 0
		.amdhsa_system_vgpr_workitem_id 0
		.amdhsa_next_free_vgpr 1
		.amdhsa_next_free_sgpr 0
		.amdhsa_accum_offset 4
		.amdhsa_reserve_vcc 0
		.amdhsa_reserve_flat_scratch 0
		.amdhsa_float_round_mode_32 0
		.amdhsa_float_round_mode_16_64 0
		.amdhsa_float_denorm_mode_32 3
		.amdhsa_float_denorm_mode_16_64 3
		.amdhsa_dx10_clamp 1
		.amdhsa_ieee_mode 1
		.amdhsa_fp16_overflow 0
		.amdhsa_tg_split 0
		.amdhsa_exception_fp_ieee_invalid_op 0
		.amdhsa_exception_fp_denorm_src 0
		.amdhsa_exception_fp_ieee_div_zero 0
		.amdhsa_exception_fp_ieee_overflow 0
		.amdhsa_exception_fp_ieee_underflow 0
		.amdhsa_exception_fp_ieee_inexact 0
		.amdhsa_exception_int_div_zero 0
	.end_amdhsa_kernel
	.section	.text._ZN7rocprim17ROCPRIM_400000_NS6detail17trampoline_kernelINS0_14default_configENS1_20scan_config_selectorItEEZZNS1_9scan_implILNS1_25lookback_scan_determinismE0ELb1ELb1ES3_N6thrust23THRUST_200600_302600_NS6detail15normal_iteratorINS9_10device_ptrItEEEESE_tNS9_4plusIvEEtEEDaPvRmT3_T4_T5_mT6_P12ihipStream_tbENKUlT_T0_E_clISt17integral_constantIbLb0EEST_IbLb1EEEEDaSP_SQ_EUlSP_E0_NS1_11comp_targetILNS1_3genE5ELNS1_11target_archE942ELNS1_3gpuE9ELNS1_3repE0EEENS1_30default_config_static_selectorELNS0_4arch9wavefront6targetE1EEEvT1_,"axG",@progbits,_ZN7rocprim17ROCPRIM_400000_NS6detail17trampoline_kernelINS0_14default_configENS1_20scan_config_selectorItEEZZNS1_9scan_implILNS1_25lookback_scan_determinismE0ELb1ELb1ES3_N6thrust23THRUST_200600_302600_NS6detail15normal_iteratorINS9_10device_ptrItEEEESE_tNS9_4plusIvEEtEEDaPvRmT3_T4_T5_mT6_P12ihipStream_tbENKUlT_T0_E_clISt17integral_constantIbLb0EEST_IbLb1EEEEDaSP_SQ_EUlSP_E0_NS1_11comp_targetILNS1_3genE5ELNS1_11target_archE942ELNS1_3gpuE9ELNS1_3repE0EEENS1_30default_config_static_selectorELNS0_4arch9wavefront6targetE1EEEvT1_,comdat
.Lfunc_end4854:
	.size	_ZN7rocprim17ROCPRIM_400000_NS6detail17trampoline_kernelINS0_14default_configENS1_20scan_config_selectorItEEZZNS1_9scan_implILNS1_25lookback_scan_determinismE0ELb1ELb1ES3_N6thrust23THRUST_200600_302600_NS6detail15normal_iteratorINS9_10device_ptrItEEEESE_tNS9_4plusIvEEtEEDaPvRmT3_T4_T5_mT6_P12ihipStream_tbENKUlT_T0_E_clISt17integral_constantIbLb0EEST_IbLb1EEEEDaSP_SQ_EUlSP_E0_NS1_11comp_targetILNS1_3genE5ELNS1_11target_archE942ELNS1_3gpuE9ELNS1_3repE0EEENS1_30default_config_static_selectorELNS0_4arch9wavefront6targetE1EEEvT1_, .Lfunc_end4854-_ZN7rocprim17ROCPRIM_400000_NS6detail17trampoline_kernelINS0_14default_configENS1_20scan_config_selectorItEEZZNS1_9scan_implILNS1_25lookback_scan_determinismE0ELb1ELb1ES3_N6thrust23THRUST_200600_302600_NS6detail15normal_iteratorINS9_10device_ptrItEEEESE_tNS9_4plusIvEEtEEDaPvRmT3_T4_T5_mT6_P12ihipStream_tbENKUlT_T0_E_clISt17integral_constantIbLb0EEST_IbLb1EEEEDaSP_SQ_EUlSP_E0_NS1_11comp_targetILNS1_3genE5ELNS1_11target_archE942ELNS1_3gpuE9ELNS1_3repE0EEENS1_30default_config_static_selectorELNS0_4arch9wavefront6targetE1EEEvT1_
                                        ; -- End function
	.section	.AMDGPU.csdata,"",@progbits
; Kernel info:
; codeLenInByte = 0
; NumSgprs: 4
; NumVgprs: 0
; NumAgprs: 0
; TotalNumVgprs: 0
; ScratchSize: 0
; MemoryBound: 0
; FloatMode: 240
; IeeeMode: 1
; LDSByteSize: 0 bytes/workgroup (compile time only)
; SGPRBlocks: 0
; VGPRBlocks: 0
; NumSGPRsForWavesPerEU: 4
; NumVGPRsForWavesPerEU: 1
; AccumOffset: 4
; Occupancy: 8
; WaveLimiterHint : 0
; COMPUTE_PGM_RSRC2:SCRATCH_EN: 0
; COMPUTE_PGM_RSRC2:USER_SGPR: 6
; COMPUTE_PGM_RSRC2:TRAP_HANDLER: 0
; COMPUTE_PGM_RSRC2:TGID_X_EN: 1
; COMPUTE_PGM_RSRC2:TGID_Y_EN: 0
; COMPUTE_PGM_RSRC2:TGID_Z_EN: 0
; COMPUTE_PGM_RSRC2:TIDIG_COMP_CNT: 0
; COMPUTE_PGM_RSRC3_GFX90A:ACCUM_OFFSET: 0
; COMPUTE_PGM_RSRC3_GFX90A:TG_SPLIT: 0
	.section	.text._ZN7rocprim17ROCPRIM_400000_NS6detail17trampoline_kernelINS0_14default_configENS1_20scan_config_selectorItEEZZNS1_9scan_implILNS1_25lookback_scan_determinismE0ELb1ELb1ES3_N6thrust23THRUST_200600_302600_NS6detail15normal_iteratorINS9_10device_ptrItEEEESE_tNS9_4plusIvEEtEEDaPvRmT3_T4_T5_mT6_P12ihipStream_tbENKUlT_T0_E_clISt17integral_constantIbLb0EEST_IbLb1EEEEDaSP_SQ_EUlSP_E0_NS1_11comp_targetILNS1_3genE4ELNS1_11target_archE910ELNS1_3gpuE8ELNS1_3repE0EEENS1_30default_config_static_selectorELNS0_4arch9wavefront6targetE1EEEvT1_,"axG",@progbits,_ZN7rocprim17ROCPRIM_400000_NS6detail17trampoline_kernelINS0_14default_configENS1_20scan_config_selectorItEEZZNS1_9scan_implILNS1_25lookback_scan_determinismE0ELb1ELb1ES3_N6thrust23THRUST_200600_302600_NS6detail15normal_iteratorINS9_10device_ptrItEEEESE_tNS9_4plusIvEEtEEDaPvRmT3_T4_T5_mT6_P12ihipStream_tbENKUlT_T0_E_clISt17integral_constantIbLb0EEST_IbLb1EEEEDaSP_SQ_EUlSP_E0_NS1_11comp_targetILNS1_3genE4ELNS1_11target_archE910ELNS1_3gpuE8ELNS1_3repE0EEENS1_30default_config_static_selectorELNS0_4arch9wavefront6targetE1EEEvT1_,comdat
	.protected	_ZN7rocprim17ROCPRIM_400000_NS6detail17trampoline_kernelINS0_14default_configENS1_20scan_config_selectorItEEZZNS1_9scan_implILNS1_25lookback_scan_determinismE0ELb1ELb1ES3_N6thrust23THRUST_200600_302600_NS6detail15normal_iteratorINS9_10device_ptrItEEEESE_tNS9_4plusIvEEtEEDaPvRmT3_T4_T5_mT6_P12ihipStream_tbENKUlT_T0_E_clISt17integral_constantIbLb0EEST_IbLb1EEEEDaSP_SQ_EUlSP_E0_NS1_11comp_targetILNS1_3genE4ELNS1_11target_archE910ELNS1_3gpuE8ELNS1_3repE0EEENS1_30default_config_static_selectorELNS0_4arch9wavefront6targetE1EEEvT1_ ; -- Begin function _ZN7rocprim17ROCPRIM_400000_NS6detail17trampoline_kernelINS0_14default_configENS1_20scan_config_selectorItEEZZNS1_9scan_implILNS1_25lookback_scan_determinismE0ELb1ELb1ES3_N6thrust23THRUST_200600_302600_NS6detail15normal_iteratorINS9_10device_ptrItEEEESE_tNS9_4plusIvEEtEEDaPvRmT3_T4_T5_mT6_P12ihipStream_tbENKUlT_T0_E_clISt17integral_constantIbLb0EEST_IbLb1EEEEDaSP_SQ_EUlSP_E0_NS1_11comp_targetILNS1_3genE4ELNS1_11target_archE910ELNS1_3gpuE8ELNS1_3repE0EEENS1_30default_config_static_selectorELNS0_4arch9wavefront6targetE1EEEvT1_
	.globl	_ZN7rocprim17ROCPRIM_400000_NS6detail17trampoline_kernelINS0_14default_configENS1_20scan_config_selectorItEEZZNS1_9scan_implILNS1_25lookback_scan_determinismE0ELb1ELb1ES3_N6thrust23THRUST_200600_302600_NS6detail15normal_iteratorINS9_10device_ptrItEEEESE_tNS9_4plusIvEEtEEDaPvRmT3_T4_T5_mT6_P12ihipStream_tbENKUlT_T0_E_clISt17integral_constantIbLb0EEST_IbLb1EEEEDaSP_SQ_EUlSP_E0_NS1_11comp_targetILNS1_3genE4ELNS1_11target_archE910ELNS1_3gpuE8ELNS1_3repE0EEENS1_30default_config_static_selectorELNS0_4arch9wavefront6targetE1EEEvT1_
	.p2align	8
	.type	_ZN7rocprim17ROCPRIM_400000_NS6detail17trampoline_kernelINS0_14default_configENS1_20scan_config_selectorItEEZZNS1_9scan_implILNS1_25lookback_scan_determinismE0ELb1ELb1ES3_N6thrust23THRUST_200600_302600_NS6detail15normal_iteratorINS9_10device_ptrItEEEESE_tNS9_4plusIvEEtEEDaPvRmT3_T4_T5_mT6_P12ihipStream_tbENKUlT_T0_E_clISt17integral_constantIbLb0EEST_IbLb1EEEEDaSP_SQ_EUlSP_E0_NS1_11comp_targetILNS1_3genE4ELNS1_11target_archE910ELNS1_3gpuE8ELNS1_3repE0EEENS1_30default_config_static_selectorELNS0_4arch9wavefront6targetE1EEEvT1_,@function
_ZN7rocprim17ROCPRIM_400000_NS6detail17trampoline_kernelINS0_14default_configENS1_20scan_config_selectorItEEZZNS1_9scan_implILNS1_25lookback_scan_determinismE0ELb1ELb1ES3_N6thrust23THRUST_200600_302600_NS6detail15normal_iteratorINS9_10device_ptrItEEEESE_tNS9_4plusIvEEtEEDaPvRmT3_T4_T5_mT6_P12ihipStream_tbENKUlT_T0_E_clISt17integral_constantIbLb0EEST_IbLb1EEEEDaSP_SQ_EUlSP_E0_NS1_11comp_targetILNS1_3genE4ELNS1_11target_archE910ELNS1_3gpuE8ELNS1_3repE0EEENS1_30default_config_static_selectorELNS0_4arch9wavefront6targetE1EEEvT1_: ; @_ZN7rocprim17ROCPRIM_400000_NS6detail17trampoline_kernelINS0_14default_configENS1_20scan_config_selectorItEEZZNS1_9scan_implILNS1_25lookback_scan_determinismE0ELb1ELb1ES3_N6thrust23THRUST_200600_302600_NS6detail15normal_iteratorINS9_10device_ptrItEEEESE_tNS9_4plusIvEEtEEDaPvRmT3_T4_T5_mT6_P12ihipStream_tbENKUlT_T0_E_clISt17integral_constantIbLb0EEST_IbLb1EEEEDaSP_SQ_EUlSP_E0_NS1_11comp_targetILNS1_3genE4ELNS1_11target_archE910ELNS1_3gpuE8ELNS1_3repE0EEENS1_30default_config_static_selectorELNS0_4arch9wavefront6targetE1EEEvT1_
; %bb.0:
	s_load_dwordx4 s[52:55], s[4:5], 0x0
	v_mov_b32_e32 v1, 0
	v_lshlrev_b32_e32 v14, 1, v0
	s_waitcnt lgkmcnt(0)
	global_load_ushort v2, v1, s[52:53]
	v_cmp_gt_u32_e32 vcc, s54, v0
	s_waitcnt vmcnt(0)
	v_mov_b32_e32 v3, v2
	s_and_saveexec_b64 s[0:1], vcc
	s_cbranch_execz .LBB4855_2
; %bb.1:
	global_load_ushort v3, v14, s[52:53]
.LBB4855_2:
	s_or_b64 exec, exec, s[0:1]
	v_or_b32_e32 v1, 64, v0
	v_cmp_gt_u32_e64 s[0:1], s54, v1
	v_mov_b32_e32 v4, v2
	s_and_saveexec_b64 s[2:3], s[0:1]
	s_cbranch_execz .LBB4855_4
; %bb.3:
	global_load_ushort v4, v14, s[52:53] offset:128
.LBB4855_4:
	s_or_b64 exec, exec, s[2:3]
	v_or_b32_e32 v1, 0x80, v0
	v_cmp_gt_u32_e64 s[2:3], s54, v1
	v_mov_b32_e32 v5, v2
	s_and_saveexec_b64 s[6:7], s[2:3]
	s_cbranch_execz .LBB4855_6
; %bb.5:
	global_load_ushort v5, v14, s[52:53] offset:256
.LBB4855_6:
	;; [unrolled: 9-line block ×22, first 2 shown]
	s_or_b64 exec, exec, s[46:47]
	v_or_b32_e32 v1, 0x5c0, v0
	v_cmp_gt_u32_e64 s[46:47], s54, v1
	v_cmp_le_u32_e64 s[50:51], s54, v1
	s_and_saveexec_b64 s[54:55], s[50:51]
	s_xor_b64 s[50:51], exec, s[54:55]
; %bb.47:
	v_mov_b32_e32 v1, 0
; %bb.48:
	s_or_saveexec_b64 s[50:51], s[50:51]
	s_load_dword s33, s[4:5], 0x10
	s_load_dwordx2 s[54:55], s[4:5], 0x18
	s_xor_b64 exec, exec, s[50:51]
	s_cbranch_execz .LBB4855_50
; %bb.49:
	global_load_ushort v2, v14, s[52:53] offset:2944
	v_mov_b32_e32 v1, 0
.LBB4855_50:
	s_or_b64 exec, exec, s[50:51]
	s_waitcnt vmcnt(0)
	ds_write_b16 v14, v3
	ds_write_b16 v14, v4 offset:128
	ds_write_b16 v14, v5 offset:256
	;; [unrolled: 1-line block ×23, first 2 shown]
	v_mad_u32_u24 v2, v0, 46, v14
	s_waitcnt lgkmcnt(0)
	; wave barrier
	s_waitcnt lgkmcnt(0)
	ds_read_b128 v[10:13], v2
	ds_read_b128 v[6:9], v2 offset:16
	ds_read_b128 v[2:5], v2 offset:32
	v_mul_u32_u24_e32 v15, 46, v0
	s_waitcnt lgkmcnt(0)
	v_add_u16_sdwa v16, v10, v10 dst_sel:DWORD dst_unused:UNUSED_PAD src0_sel:WORD_1 src1_sel:DWORD
	v_add_u16_e32 v16, v16, v11
	v_add_u16_sdwa v16, v16, v11 dst_sel:DWORD dst_unused:UNUSED_PAD src0_sel:DWORD src1_sel:WORD_1
	v_add_u16_e32 v16, v16, v12
	v_add_u16_sdwa v16, v16, v12 dst_sel:DWORD dst_unused:UNUSED_PAD src0_sel:DWORD src1_sel:WORD_1
	v_add_u16_e32 v16, v16, v13
	v_add_u16_sdwa v16, v16, v13 dst_sel:DWORD dst_unused:UNUSED_PAD src0_sel:DWORD src1_sel:WORD_1
	v_add_u16_e32 v16, v16, v6
	v_add_u16_sdwa v16, v16, v6 dst_sel:DWORD dst_unused:UNUSED_PAD src0_sel:DWORD src1_sel:WORD_1
	v_add_u16_e32 v16, v16, v7
	v_add_u16_sdwa v16, v16, v7 dst_sel:DWORD dst_unused:UNUSED_PAD src0_sel:DWORD src1_sel:WORD_1
	v_add_u16_e32 v16, v16, v8
	v_add_u16_sdwa v16, v16, v8 dst_sel:DWORD dst_unused:UNUSED_PAD src0_sel:DWORD src1_sel:WORD_1
	v_add_u16_e32 v16, v16, v9
	v_add_u16_sdwa v16, v16, v9 dst_sel:DWORD dst_unused:UNUSED_PAD src0_sel:DWORD src1_sel:WORD_1
	v_add_u16_e32 v16, v16, v2
	v_add_u16_sdwa v16, v16, v2 dst_sel:DWORD dst_unused:UNUSED_PAD src0_sel:DWORD src1_sel:WORD_1
	v_add_u16_e32 v16, v16, v3
	v_add_u16_sdwa v16, v16, v3 dst_sel:DWORD dst_unused:UNUSED_PAD src0_sel:DWORD src1_sel:WORD_1
	v_add_u16_e32 v16, v16, v4
	v_add_u16_sdwa v16, v16, v4 dst_sel:DWORD dst_unused:UNUSED_PAD src0_sel:DWORD src1_sel:WORD_1
	v_add_u16_e32 v16, v16, v5
	v_add_u16_sdwa v17, v16, v5 dst_sel:DWORD dst_unused:UNUSED_PAD src0_sel:DWORD src1_sel:WORD_1
	v_mbcnt_lo_u32_b32 v16, -1, 0
	v_mbcnt_hi_u32_b32 v16, -1, v16
	v_and_b32_e32 v18, 15, v16
	v_mov_b32_dpp v19, v17 row_shr:1 row_mask:0xf bank_mask:0xf
	v_cmp_ne_u32_e64 s[4:5], 0, v18
	v_cndmask_b32_e64 v19, 0, v19, s[4:5]
	v_add_u16_e32 v17, v19, v17
	v_cmp_lt_u32_e64 s[4:5], 1, v18
	; wave barrier
	s_nop 0
	v_mov_b32_dpp v19, v17 row_shr:2 row_mask:0xf bank_mask:0xf
	v_cndmask_b32_e64 v19, 0, v19, s[4:5]
	v_add_u16_e32 v17, v17, v19
	v_cmp_lt_u32_e64 s[4:5], 3, v18
	s_nop 0
	v_mov_b32_dpp v19, v17 row_shr:4 row_mask:0xf bank_mask:0xf
	v_cndmask_b32_e64 v19, 0, v19, s[4:5]
	v_add_u16_e32 v17, v17, v19
	v_cmp_lt_u32_e64 s[4:5], 7, v18
	s_nop 0
	v_mov_b32_dpp v19, v17 row_shr:8 row_mask:0xf bank_mask:0xf
	v_cndmask_b32_e64 v18, 0, v19, s[4:5]
	v_add_u16_e32 v17, v17, v18
	v_and_b32_e32 v19, 16, v16
	v_cmp_ne_u32_e64 s[4:5], 0, v19
	v_mov_b32_dpp v18, v17 row_bcast:15 row_mask:0xf bank_mask:0xf
	v_cndmask_b32_e64 v18, 0, v18, s[4:5]
	v_add_u16_e32 v17, v17, v18
	v_cmp_lt_u32_e64 s[4:5], 31, v16
	s_nop 0
	v_mov_b32_dpp v18, v17 row_bcast:31 row_mask:0xf bank_mask:0xf
	v_cndmask_b32_e64 v18, 0, v18, s[4:5]
	v_add_u16_e32 v17, v17, v18
	v_cmp_eq_u32_e64 s[4:5], 63, v0
	s_and_saveexec_b64 s[50:51], s[4:5]
	s_cbranch_execz .LBB4855_52
; %bb.51:
	v_mov_b32_e32 v18, 0
	ds_write_b16 v18, v17
.LBB4855_52:
	s_or_b64 exec, exec, s[50:51]
	v_add_u32_e32 v18, -1, v16
	v_and_b32_e32 v19, 64, v16
	v_cmp_lt_i32_e64 s[4:5], v18, v19
	v_cndmask_b32_e64 v18, v18, v16, s[4:5]
	v_add_u16_e32 v17, s33, v17
	v_lshlrev_b32_e32 v18, 2, v18
	ds_bpermute_b32 v17, v18, v17
	v_cmp_eq_u32_e64 s[4:5], 0, v16
	v_cmp_eq_u32_e64 s[50:51], 0, v0
	v_mov_b32_e32 v16, s33
	s_or_b64 s[4:5], s[50:51], s[4:5]
	s_waitcnt lgkmcnt(0)
	v_cndmask_b32_e64 v16, v17, v16, s[4:5]
	v_add_u16_e32 v17, v16, v10
	v_add_u16_sdwa v10, v17, v10 dst_sel:DWORD dst_unused:UNUSED_PAD src0_sel:DWORD src1_sel:WORD_1
	v_add_u16_e32 v18, v10, v11
	v_add_u16_sdwa v11, v18, v11 dst_sel:DWORD dst_unused:UNUSED_PAD src0_sel:DWORD src1_sel:WORD_1
	;; [unrolled: 2-line block ×11, first 2 shown]
	s_mov_b32 s4, 0x5040100
	v_add_u16_e32 v31, v30, v5
	v_add_u32_e32 v15, v14, v15
	v_perm_b32 v2, v17, v16, s4
	v_perm_b32 v3, v18, v10, s4
	;; [unrolled: 1-line block ×4, first 2 shown]
	s_waitcnt lgkmcnt(0)
	; wave barrier
	s_waitcnt lgkmcnt(0)
	s_waitcnt lgkmcnt(0)
	; wave barrier
	ds_write_b128 v15, v[2:5]
	v_perm_b32 v2, v21, v13, s4
	v_perm_b32 v3, v22, v6, s4
	;; [unrolled: 1-line block ×4, first 2 shown]
	ds_write_b128 v15, v[2:5] offset:16
	v_perm_b32 v2, v25, v9, s4
	v_perm_b32 v3, v27, v26, s4
	;; [unrolled: 1-line block ×4, first 2 shown]
	ds_write_b128 v15, v[2:5] offset:32
	s_waitcnt lgkmcnt(0)
	; wave barrier
	s_waitcnt lgkmcnt(0)
	ds_read_u16 v25, v14 offset:128
	ds_read_u16 v24, v14 offset:256
	;; [unrolled: 1-line block ×23, first 2 shown]
	v_lshlrev_b64 v[0:1], 1, v[0:1]
	v_mov_b32_e32 v26, s55
	v_add_co_u32_e64 v0, s[4:5], s54, v0
	v_addc_co_u32_e64 v1, s[4:5], v26, v1, s[4:5]
	s_and_saveexec_b64 s[4:5], vcc
	s_cbranch_execnz .LBB4855_77
; %bb.53:
	s_or_b64 exec, exec, s[4:5]
	s_and_saveexec_b64 s[4:5], s[0:1]
	s_cbranch_execnz .LBB4855_78
.LBB4855_54:
	s_or_b64 exec, exec, s[4:5]
	s_and_saveexec_b64 s[0:1], s[2:3]
	s_cbranch_execnz .LBB4855_79
.LBB4855_55:
	s_or_b64 exec, exec, s[0:1]
	s_and_saveexec_b64 s[0:1], s[48:49]
	s_cbranch_execnz .LBB4855_80
.LBB4855_56:
	s_or_b64 exec, exec, s[0:1]
	s_and_saveexec_b64 s[0:1], s[6:7]
	s_cbranch_execnz .LBB4855_81
.LBB4855_57:
	s_or_b64 exec, exec, s[0:1]
	s_and_saveexec_b64 s[0:1], s[8:9]
	s_cbranch_execnz .LBB4855_82
.LBB4855_58:
	s_or_b64 exec, exec, s[0:1]
	s_and_saveexec_b64 s[0:1], s[10:11]
	s_cbranch_execnz .LBB4855_83
.LBB4855_59:
	s_or_b64 exec, exec, s[0:1]
	s_and_saveexec_b64 s[0:1], s[12:13]
	s_cbranch_execnz .LBB4855_84
.LBB4855_60:
	s_or_b64 exec, exec, s[0:1]
	s_and_saveexec_b64 s[0:1], s[14:15]
	s_cbranch_execnz .LBB4855_85
.LBB4855_61:
	s_or_b64 exec, exec, s[0:1]
	s_and_saveexec_b64 s[0:1], s[16:17]
	s_cbranch_execnz .LBB4855_86
.LBB4855_62:
	s_or_b64 exec, exec, s[0:1]
	s_and_saveexec_b64 s[0:1], s[18:19]
	s_cbranch_execnz .LBB4855_87
.LBB4855_63:
	s_or_b64 exec, exec, s[0:1]
	s_and_saveexec_b64 s[0:1], s[20:21]
	s_cbranch_execnz .LBB4855_88
.LBB4855_64:
	s_or_b64 exec, exec, s[0:1]
	s_and_saveexec_b64 s[0:1], s[22:23]
	s_cbranch_execnz .LBB4855_89
.LBB4855_65:
	s_or_b64 exec, exec, s[0:1]
	s_and_saveexec_b64 s[0:1], s[24:25]
	s_cbranch_execnz .LBB4855_90
.LBB4855_66:
	s_or_b64 exec, exec, s[0:1]
	s_and_saveexec_b64 s[0:1], s[26:27]
	s_cbranch_execnz .LBB4855_91
.LBB4855_67:
	s_or_b64 exec, exec, s[0:1]
	s_and_saveexec_b64 s[0:1], s[28:29]
	s_cbranch_execnz .LBB4855_92
.LBB4855_68:
	s_or_b64 exec, exec, s[0:1]
	s_and_saveexec_b64 s[0:1], s[30:31]
	s_cbranch_execnz .LBB4855_93
.LBB4855_69:
	s_or_b64 exec, exec, s[0:1]
	s_and_saveexec_b64 s[0:1], s[34:35]
	s_cbranch_execnz .LBB4855_94
.LBB4855_70:
	s_or_b64 exec, exec, s[0:1]
	s_and_saveexec_b64 s[0:1], s[36:37]
	s_cbranch_execnz .LBB4855_95
.LBB4855_71:
	s_or_b64 exec, exec, s[0:1]
	s_and_saveexec_b64 s[0:1], s[38:39]
	s_cbranch_execnz .LBB4855_96
.LBB4855_72:
	s_or_b64 exec, exec, s[0:1]
	s_and_saveexec_b64 s[0:1], s[40:41]
	s_cbranch_execnz .LBB4855_97
.LBB4855_73:
	s_or_b64 exec, exec, s[0:1]
	s_and_saveexec_b64 s[0:1], s[42:43]
	s_cbranch_execnz .LBB4855_98
.LBB4855_74:
	s_or_b64 exec, exec, s[0:1]
	s_and_saveexec_b64 s[0:1], s[44:45]
	s_cbranch_execnz .LBB4855_99
.LBB4855_75:
	s_or_b64 exec, exec, s[0:1]
	s_and_saveexec_b64 s[0:1], s[46:47]
	s_cbranch_execnz .LBB4855_100
.LBB4855_76:
	s_endpgm
.LBB4855_77:
	ds_read_u16 v14, v14
	s_waitcnt lgkmcnt(0)
	global_store_short v[0:1], v14, off
	s_or_b64 exec, exec, s[4:5]
	s_and_saveexec_b64 s[4:5], s[0:1]
	s_cbranch_execz .LBB4855_54
.LBB4855_78:
	s_waitcnt lgkmcnt(14)
	global_store_short v[0:1], v25, off offset:128
	s_or_b64 exec, exec, s[4:5]
	s_and_saveexec_b64 s[0:1], s[2:3]
	s_cbranch_execz .LBB4855_55
.LBB4855_79:
	s_waitcnt lgkmcnt(14)
	global_store_short v[0:1], v24, off offset:256
	s_or_b64 exec, exec, s[0:1]
	s_and_saveexec_b64 s[0:1], s[48:49]
	s_cbranch_execz .LBB4855_56
.LBB4855_80:
	s_waitcnt lgkmcnt(14)
	global_store_short v[0:1], v23, off offset:384
	s_or_b64 exec, exec, s[0:1]
	s_and_saveexec_b64 s[0:1], s[6:7]
	s_cbranch_execz .LBB4855_57
.LBB4855_81:
	s_waitcnt lgkmcnt(14)
	global_store_short v[0:1], v22, off offset:512
	s_or_b64 exec, exec, s[0:1]
	s_and_saveexec_b64 s[0:1], s[8:9]
	s_cbranch_execz .LBB4855_58
.LBB4855_82:
	s_waitcnt lgkmcnt(14)
	global_store_short v[0:1], v21, off offset:640
	s_or_b64 exec, exec, s[0:1]
	s_and_saveexec_b64 s[0:1], s[10:11]
	s_cbranch_execz .LBB4855_59
.LBB4855_83:
	s_waitcnt lgkmcnt(14)
	global_store_short v[0:1], v20, off offset:768
	s_or_b64 exec, exec, s[0:1]
	s_and_saveexec_b64 s[0:1], s[12:13]
	s_cbranch_execz .LBB4855_60
.LBB4855_84:
	s_waitcnt lgkmcnt(14)
	global_store_short v[0:1], v19, off offset:896
	s_or_b64 exec, exec, s[0:1]
	s_and_saveexec_b64 s[0:1], s[14:15]
	s_cbranch_execz .LBB4855_61
.LBB4855_85:
	s_waitcnt lgkmcnt(14)
	global_store_short v[0:1], v18, off offset:1024
	s_or_b64 exec, exec, s[0:1]
	s_and_saveexec_b64 s[0:1], s[16:17]
	s_cbranch_execz .LBB4855_62
.LBB4855_86:
	s_waitcnt lgkmcnt(14)
	global_store_short v[0:1], v17, off offset:1152
	s_or_b64 exec, exec, s[0:1]
	s_and_saveexec_b64 s[0:1], s[18:19]
	s_cbranch_execz .LBB4855_63
.LBB4855_87:
	s_waitcnt lgkmcnt(13)
	global_store_short v[0:1], v16, off offset:1280
	s_or_b64 exec, exec, s[0:1]
	s_and_saveexec_b64 s[0:1], s[20:21]
	s_cbranch_execz .LBB4855_64
.LBB4855_88:
	s_waitcnt lgkmcnt(12)
	global_store_short v[0:1], v15, off offset:1408
	s_or_b64 exec, exec, s[0:1]
	s_and_saveexec_b64 s[0:1], s[22:23]
	s_cbranch_execz .LBB4855_65
.LBB4855_89:
	s_waitcnt lgkmcnt(11)
	global_store_short v[0:1], v13, off offset:1536
	s_or_b64 exec, exec, s[0:1]
	s_and_saveexec_b64 s[0:1], s[24:25]
	s_cbranch_execz .LBB4855_66
.LBB4855_90:
	s_waitcnt lgkmcnt(10)
	global_store_short v[0:1], v12, off offset:1664
	s_or_b64 exec, exec, s[0:1]
	s_and_saveexec_b64 s[0:1], s[26:27]
	s_cbranch_execz .LBB4855_67
.LBB4855_91:
	s_waitcnt lgkmcnt(9)
	global_store_short v[0:1], v11, off offset:1792
	s_or_b64 exec, exec, s[0:1]
	s_and_saveexec_b64 s[0:1], s[28:29]
	s_cbranch_execz .LBB4855_68
.LBB4855_92:
	s_waitcnt lgkmcnt(8)
	global_store_short v[0:1], v10, off offset:1920
	s_or_b64 exec, exec, s[0:1]
	s_and_saveexec_b64 s[0:1], s[30:31]
	s_cbranch_execz .LBB4855_69
.LBB4855_93:
	s_waitcnt lgkmcnt(7)
	global_store_short v[0:1], v9, off offset:2048
	s_or_b64 exec, exec, s[0:1]
	s_and_saveexec_b64 s[0:1], s[34:35]
	s_cbranch_execz .LBB4855_70
.LBB4855_94:
	s_waitcnt lgkmcnt(6)
	global_store_short v[0:1], v8, off offset:2176
	s_or_b64 exec, exec, s[0:1]
	s_and_saveexec_b64 s[0:1], s[36:37]
	s_cbranch_execz .LBB4855_71
.LBB4855_95:
	s_waitcnt lgkmcnt(5)
	global_store_short v[0:1], v7, off offset:2304
	s_or_b64 exec, exec, s[0:1]
	s_and_saveexec_b64 s[0:1], s[38:39]
	s_cbranch_execz .LBB4855_72
.LBB4855_96:
	s_waitcnt lgkmcnt(4)
	global_store_short v[0:1], v6, off offset:2432
	s_or_b64 exec, exec, s[0:1]
	s_and_saveexec_b64 s[0:1], s[40:41]
	s_cbranch_execz .LBB4855_73
.LBB4855_97:
	s_waitcnt lgkmcnt(3)
	global_store_short v[0:1], v5, off offset:2560
	s_or_b64 exec, exec, s[0:1]
	s_and_saveexec_b64 s[0:1], s[42:43]
	s_cbranch_execz .LBB4855_74
.LBB4855_98:
	s_waitcnt lgkmcnt(2)
	global_store_short v[0:1], v4, off offset:2688
	s_or_b64 exec, exec, s[0:1]
	s_and_saveexec_b64 s[0:1], s[44:45]
	s_cbranch_execz .LBB4855_75
.LBB4855_99:
	s_waitcnt lgkmcnt(1)
	global_store_short v[0:1], v3, off offset:2816
	s_or_b64 exec, exec, s[0:1]
	s_and_saveexec_b64 s[0:1], s[46:47]
	s_cbranch_execz .LBB4855_76
.LBB4855_100:
	s_waitcnt lgkmcnt(0)
	global_store_short v[0:1], v2, off offset:2944
	s_endpgm
	.section	.rodata,"a",@progbits
	.p2align	6, 0x0
	.amdhsa_kernel _ZN7rocprim17ROCPRIM_400000_NS6detail17trampoline_kernelINS0_14default_configENS1_20scan_config_selectorItEEZZNS1_9scan_implILNS1_25lookback_scan_determinismE0ELb1ELb1ES3_N6thrust23THRUST_200600_302600_NS6detail15normal_iteratorINS9_10device_ptrItEEEESE_tNS9_4plusIvEEtEEDaPvRmT3_T4_T5_mT6_P12ihipStream_tbENKUlT_T0_E_clISt17integral_constantIbLb0EEST_IbLb1EEEEDaSP_SQ_EUlSP_E0_NS1_11comp_targetILNS1_3genE4ELNS1_11target_archE910ELNS1_3gpuE8ELNS1_3repE0EEENS1_30default_config_static_selectorELNS0_4arch9wavefront6targetE1EEEvT1_
		.amdhsa_group_segment_fixed_size 3072
		.amdhsa_private_segment_fixed_size 0
		.amdhsa_kernarg_size 32
		.amdhsa_user_sgpr_count 6
		.amdhsa_user_sgpr_private_segment_buffer 1
		.amdhsa_user_sgpr_dispatch_ptr 0
		.amdhsa_user_sgpr_queue_ptr 0
		.amdhsa_user_sgpr_kernarg_segment_ptr 1
		.amdhsa_user_sgpr_dispatch_id 0
		.amdhsa_user_sgpr_flat_scratch_init 0
		.amdhsa_user_sgpr_kernarg_preload_length 0
		.amdhsa_user_sgpr_kernarg_preload_offset 0
		.amdhsa_user_sgpr_private_segment_size 0
		.amdhsa_uses_dynamic_stack 0
		.amdhsa_system_sgpr_private_segment_wavefront_offset 0
		.amdhsa_system_sgpr_workgroup_id_x 1
		.amdhsa_system_sgpr_workgroup_id_y 0
		.amdhsa_system_sgpr_workgroup_id_z 0
		.amdhsa_system_sgpr_workgroup_info 0
		.amdhsa_system_vgpr_workitem_id 0
		.amdhsa_next_free_vgpr 32
		.amdhsa_next_free_sgpr 56
		.amdhsa_accum_offset 32
		.amdhsa_reserve_vcc 1
		.amdhsa_reserve_flat_scratch 0
		.amdhsa_float_round_mode_32 0
		.amdhsa_float_round_mode_16_64 0
		.amdhsa_float_denorm_mode_32 3
		.amdhsa_float_denorm_mode_16_64 3
		.amdhsa_dx10_clamp 1
		.amdhsa_ieee_mode 1
		.amdhsa_fp16_overflow 0
		.amdhsa_tg_split 0
		.amdhsa_exception_fp_ieee_invalid_op 0
		.amdhsa_exception_fp_denorm_src 0
		.amdhsa_exception_fp_ieee_div_zero 0
		.amdhsa_exception_fp_ieee_overflow 0
		.amdhsa_exception_fp_ieee_underflow 0
		.amdhsa_exception_fp_ieee_inexact 0
		.amdhsa_exception_int_div_zero 0
	.end_amdhsa_kernel
	.section	.text._ZN7rocprim17ROCPRIM_400000_NS6detail17trampoline_kernelINS0_14default_configENS1_20scan_config_selectorItEEZZNS1_9scan_implILNS1_25lookback_scan_determinismE0ELb1ELb1ES3_N6thrust23THRUST_200600_302600_NS6detail15normal_iteratorINS9_10device_ptrItEEEESE_tNS9_4plusIvEEtEEDaPvRmT3_T4_T5_mT6_P12ihipStream_tbENKUlT_T0_E_clISt17integral_constantIbLb0EEST_IbLb1EEEEDaSP_SQ_EUlSP_E0_NS1_11comp_targetILNS1_3genE4ELNS1_11target_archE910ELNS1_3gpuE8ELNS1_3repE0EEENS1_30default_config_static_selectorELNS0_4arch9wavefront6targetE1EEEvT1_,"axG",@progbits,_ZN7rocprim17ROCPRIM_400000_NS6detail17trampoline_kernelINS0_14default_configENS1_20scan_config_selectorItEEZZNS1_9scan_implILNS1_25lookback_scan_determinismE0ELb1ELb1ES3_N6thrust23THRUST_200600_302600_NS6detail15normal_iteratorINS9_10device_ptrItEEEESE_tNS9_4plusIvEEtEEDaPvRmT3_T4_T5_mT6_P12ihipStream_tbENKUlT_T0_E_clISt17integral_constantIbLb0EEST_IbLb1EEEEDaSP_SQ_EUlSP_E0_NS1_11comp_targetILNS1_3genE4ELNS1_11target_archE910ELNS1_3gpuE8ELNS1_3repE0EEENS1_30default_config_static_selectorELNS0_4arch9wavefront6targetE1EEEvT1_,comdat
.Lfunc_end4855:
	.size	_ZN7rocprim17ROCPRIM_400000_NS6detail17trampoline_kernelINS0_14default_configENS1_20scan_config_selectorItEEZZNS1_9scan_implILNS1_25lookback_scan_determinismE0ELb1ELb1ES3_N6thrust23THRUST_200600_302600_NS6detail15normal_iteratorINS9_10device_ptrItEEEESE_tNS9_4plusIvEEtEEDaPvRmT3_T4_T5_mT6_P12ihipStream_tbENKUlT_T0_E_clISt17integral_constantIbLb0EEST_IbLb1EEEEDaSP_SQ_EUlSP_E0_NS1_11comp_targetILNS1_3genE4ELNS1_11target_archE910ELNS1_3gpuE8ELNS1_3repE0EEENS1_30default_config_static_selectorELNS0_4arch9wavefront6targetE1EEEvT1_, .Lfunc_end4855-_ZN7rocprim17ROCPRIM_400000_NS6detail17trampoline_kernelINS0_14default_configENS1_20scan_config_selectorItEEZZNS1_9scan_implILNS1_25lookback_scan_determinismE0ELb1ELb1ES3_N6thrust23THRUST_200600_302600_NS6detail15normal_iteratorINS9_10device_ptrItEEEESE_tNS9_4plusIvEEtEEDaPvRmT3_T4_T5_mT6_P12ihipStream_tbENKUlT_T0_E_clISt17integral_constantIbLb0EEST_IbLb1EEEEDaSP_SQ_EUlSP_E0_NS1_11comp_targetILNS1_3genE4ELNS1_11target_archE910ELNS1_3gpuE8ELNS1_3repE0EEENS1_30default_config_static_selectorELNS0_4arch9wavefront6targetE1EEEvT1_
                                        ; -- End function
	.section	.AMDGPU.csdata,"",@progbits
; Kernel info:
; codeLenInByte = 3080
; NumSgprs: 60
; NumVgprs: 32
; NumAgprs: 0
; TotalNumVgprs: 32
; ScratchSize: 0
; MemoryBound: 0
; FloatMode: 240
; IeeeMode: 1
; LDSByteSize: 3072 bytes/workgroup (compile time only)
; SGPRBlocks: 7
; VGPRBlocks: 3
; NumSGPRsForWavesPerEU: 60
; NumVGPRsForWavesPerEU: 32
; AccumOffset: 32
; Occupancy: 6
; WaveLimiterHint : 0
; COMPUTE_PGM_RSRC2:SCRATCH_EN: 0
; COMPUTE_PGM_RSRC2:USER_SGPR: 6
; COMPUTE_PGM_RSRC2:TRAP_HANDLER: 0
; COMPUTE_PGM_RSRC2:TGID_X_EN: 1
; COMPUTE_PGM_RSRC2:TGID_Y_EN: 0
; COMPUTE_PGM_RSRC2:TGID_Z_EN: 0
; COMPUTE_PGM_RSRC2:TIDIG_COMP_CNT: 0
; COMPUTE_PGM_RSRC3_GFX90A:ACCUM_OFFSET: 7
; COMPUTE_PGM_RSRC3_GFX90A:TG_SPLIT: 0
	.section	.text._ZN7rocprim17ROCPRIM_400000_NS6detail17trampoline_kernelINS0_14default_configENS1_20scan_config_selectorItEEZZNS1_9scan_implILNS1_25lookback_scan_determinismE0ELb1ELb1ES3_N6thrust23THRUST_200600_302600_NS6detail15normal_iteratorINS9_10device_ptrItEEEESE_tNS9_4plusIvEEtEEDaPvRmT3_T4_T5_mT6_P12ihipStream_tbENKUlT_T0_E_clISt17integral_constantIbLb0EEST_IbLb1EEEEDaSP_SQ_EUlSP_E0_NS1_11comp_targetILNS1_3genE3ELNS1_11target_archE908ELNS1_3gpuE7ELNS1_3repE0EEENS1_30default_config_static_selectorELNS0_4arch9wavefront6targetE1EEEvT1_,"axG",@progbits,_ZN7rocprim17ROCPRIM_400000_NS6detail17trampoline_kernelINS0_14default_configENS1_20scan_config_selectorItEEZZNS1_9scan_implILNS1_25lookback_scan_determinismE0ELb1ELb1ES3_N6thrust23THRUST_200600_302600_NS6detail15normal_iteratorINS9_10device_ptrItEEEESE_tNS9_4plusIvEEtEEDaPvRmT3_T4_T5_mT6_P12ihipStream_tbENKUlT_T0_E_clISt17integral_constantIbLb0EEST_IbLb1EEEEDaSP_SQ_EUlSP_E0_NS1_11comp_targetILNS1_3genE3ELNS1_11target_archE908ELNS1_3gpuE7ELNS1_3repE0EEENS1_30default_config_static_selectorELNS0_4arch9wavefront6targetE1EEEvT1_,comdat
	.protected	_ZN7rocprim17ROCPRIM_400000_NS6detail17trampoline_kernelINS0_14default_configENS1_20scan_config_selectorItEEZZNS1_9scan_implILNS1_25lookback_scan_determinismE0ELb1ELb1ES3_N6thrust23THRUST_200600_302600_NS6detail15normal_iteratorINS9_10device_ptrItEEEESE_tNS9_4plusIvEEtEEDaPvRmT3_T4_T5_mT6_P12ihipStream_tbENKUlT_T0_E_clISt17integral_constantIbLb0EEST_IbLb1EEEEDaSP_SQ_EUlSP_E0_NS1_11comp_targetILNS1_3genE3ELNS1_11target_archE908ELNS1_3gpuE7ELNS1_3repE0EEENS1_30default_config_static_selectorELNS0_4arch9wavefront6targetE1EEEvT1_ ; -- Begin function _ZN7rocprim17ROCPRIM_400000_NS6detail17trampoline_kernelINS0_14default_configENS1_20scan_config_selectorItEEZZNS1_9scan_implILNS1_25lookback_scan_determinismE0ELb1ELb1ES3_N6thrust23THRUST_200600_302600_NS6detail15normal_iteratorINS9_10device_ptrItEEEESE_tNS9_4plusIvEEtEEDaPvRmT3_T4_T5_mT6_P12ihipStream_tbENKUlT_T0_E_clISt17integral_constantIbLb0EEST_IbLb1EEEEDaSP_SQ_EUlSP_E0_NS1_11comp_targetILNS1_3genE3ELNS1_11target_archE908ELNS1_3gpuE7ELNS1_3repE0EEENS1_30default_config_static_selectorELNS0_4arch9wavefront6targetE1EEEvT1_
	.globl	_ZN7rocprim17ROCPRIM_400000_NS6detail17trampoline_kernelINS0_14default_configENS1_20scan_config_selectorItEEZZNS1_9scan_implILNS1_25lookback_scan_determinismE0ELb1ELb1ES3_N6thrust23THRUST_200600_302600_NS6detail15normal_iteratorINS9_10device_ptrItEEEESE_tNS9_4plusIvEEtEEDaPvRmT3_T4_T5_mT6_P12ihipStream_tbENKUlT_T0_E_clISt17integral_constantIbLb0EEST_IbLb1EEEEDaSP_SQ_EUlSP_E0_NS1_11comp_targetILNS1_3genE3ELNS1_11target_archE908ELNS1_3gpuE7ELNS1_3repE0EEENS1_30default_config_static_selectorELNS0_4arch9wavefront6targetE1EEEvT1_
	.p2align	8
	.type	_ZN7rocprim17ROCPRIM_400000_NS6detail17trampoline_kernelINS0_14default_configENS1_20scan_config_selectorItEEZZNS1_9scan_implILNS1_25lookback_scan_determinismE0ELb1ELb1ES3_N6thrust23THRUST_200600_302600_NS6detail15normal_iteratorINS9_10device_ptrItEEEESE_tNS9_4plusIvEEtEEDaPvRmT3_T4_T5_mT6_P12ihipStream_tbENKUlT_T0_E_clISt17integral_constantIbLb0EEST_IbLb1EEEEDaSP_SQ_EUlSP_E0_NS1_11comp_targetILNS1_3genE3ELNS1_11target_archE908ELNS1_3gpuE7ELNS1_3repE0EEENS1_30default_config_static_selectorELNS0_4arch9wavefront6targetE1EEEvT1_,@function
_ZN7rocprim17ROCPRIM_400000_NS6detail17trampoline_kernelINS0_14default_configENS1_20scan_config_selectorItEEZZNS1_9scan_implILNS1_25lookback_scan_determinismE0ELb1ELb1ES3_N6thrust23THRUST_200600_302600_NS6detail15normal_iteratorINS9_10device_ptrItEEEESE_tNS9_4plusIvEEtEEDaPvRmT3_T4_T5_mT6_P12ihipStream_tbENKUlT_T0_E_clISt17integral_constantIbLb0EEST_IbLb1EEEEDaSP_SQ_EUlSP_E0_NS1_11comp_targetILNS1_3genE3ELNS1_11target_archE908ELNS1_3gpuE7ELNS1_3repE0EEENS1_30default_config_static_selectorELNS0_4arch9wavefront6targetE1EEEvT1_: ; @_ZN7rocprim17ROCPRIM_400000_NS6detail17trampoline_kernelINS0_14default_configENS1_20scan_config_selectorItEEZZNS1_9scan_implILNS1_25lookback_scan_determinismE0ELb1ELb1ES3_N6thrust23THRUST_200600_302600_NS6detail15normal_iteratorINS9_10device_ptrItEEEESE_tNS9_4plusIvEEtEEDaPvRmT3_T4_T5_mT6_P12ihipStream_tbENKUlT_T0_E_clISt17integral_constantIbLb0EEST_IbLb1EEEEDaSP_SQ_EUlSP_E0_NS1_11comp_targetILNS1_3genE3ELNS1_11target_archE908ELNS1_3gpuE7ELNS1_3repE0EEENS1_30default_config_static_selectorELNS0_4arch9wavefront6targetE1EEEvT1_
; %bb.0:
	.section	.rodata,"a",@progbits
	.p2align	6, 0x0
	.amdhsa_kernel _ZN7rocprim17ROCPRIM_400000_NS6detail17trampoline_kernelINS0_14default_configENS1_20scan_config_selectorItEEZZNS1_9scan_implILNS1_25lookback_scan_determinismE0ELb1ELb1ES3_N6thrust23THRUST_200600_302600_NS6detail15normal_iteratorINS9_10device_ptrItEEEESE_tNS9_4plusIvEEtEEDaPvRmT3_T4_T5_mT6_P12ihipStream_tbENKUlT_T0_E_clISt17integral_constantIbLb0EEST_IbLb1EEEEDaSP_SQ_EUlSP_E0_NS1_11comp_targetILNS1_3genE3ELNS1_11target_archE908ELNS1_3gpuE7ELNS1_3repE0EEENS1_30default_config_static_selectorELNS0_4arch9wavefront6targetE1EEEvT1_
		.amdhsa_group_segment_fixed_size 0
		.amdhsa_private_segment_fixed_size 0
		.amdhsa_kernarg_size 32
		.amdhsa_user_sgpr_count 6
		.amdhsa_user_sgpr_private_segment_buffer 1
		.amdhsa_user_sgpr_dispatch_ptr 0
		.amdhsa_user_sgpr_queue_ptr 0
		.amdhsa_user_sgpr_kernarg_segment_ptr 1
		.amdhsa_user_sgpr_dispatch_id 0
		.amdhsa_user_sgpr_flat_scratch_init 0
		.amdhsa_user_sgpr_kernarg_preload_length 0
		.amdhsa_user_sgpr_kernarg_preload_offset 0
		.amdhsa_user_sgpr_private_segment_size 0
		.amdhsa_uses_dynamic_stack 0
		.amdhsa_system_sgpr_private_segment_wavefront_offset 0
		.amdhsa_system_sgpr_workgroup_id_x 1
		.amdhsa_system_sgpr_workgroup_id_y 0
		.amdhsa_system_sgpr_workgroup_id_z 0
		.amdhsa_system_sgpr_workgroup_info 0
		.amdhsa_system_vgpr_workitem_id 0
		.amdhsa_next_free_vgpr 1
		.amdhsa_next_free_sgpr 0
		.amdhsa_accum_offset 4
		.amdhsa_reserve_vcc 0
		.amdhsa_reserve_flat_scratch 0
		.amdhsa_float_round_mode_32 0
		.amdhsa_float_round_mode_16_64 0
		.amdhsa_float_denorm_mode_32 3
		.amdhsa_float_denorm_mode_16_64 3
		.amdhsa_dx10_clamp 1
		.amdhsa_ieee_mode 1
		.amdhsa_fp16_overflow 0
		.amdhsa_tg_split 0
		.amdhsa_exception_fp_ieee_invalid_op 0
		.amdhsa_exception_fp_denorm_src 0
		.amdhsa_exception_fp_ieee_div_zero 0
		.amdhsa_exception_fp_ieee_overflow 0
		.amdhsa_exception_fp_ieee_underflow 0
		.amdhsa_exception_fp_ieee_inexact 0
		.amdhsa_exception_int_div_zero 0
	.end_amdhsa_kernel
	.section	.text._ZN7rocprim17ROCPRIM_400000_NS6detail17trampoline_kernelINS0_14default_configENS1_20scan_config_selectorItEEZZNS1_9scan_implILNS1_25lookback_scan_determinismE0ELb1ELb1ES3_N6thrust23THRUST_200600_302600_NS6detail15normal_iteratorINS9_10device_ptrItEEEESE_tNS9_4plusIvEEtEEDaPvRmT3_T4_T5_mT6_P12ihipStream_tbENKUlT_T0_E_clISt17integral_constantIbLb0EEST_IbLb1EEEEDaSP_SQ_EUlSP_E0_NS1_11comp_targetILNS1_3genE3ELNS1_11target_archE908ELNS1_3gpuE7ELNS1_3repE0EEENS1_30default_config_static_selectorELNS0_4arch9wavefront6targetE1EEEvT1_,"axG",@progbits,_ZN7rocprim17ROCPRIM_400000_NS6detail17trampoline_kernelINS0_14default_configENS1_20scan_config_selectorItEEZZNS1_9scan_implILNS1_25lookback_scan_determinismE0ELb1ELb1ES3_N6thrust23THRUST_200600_302600_NS6detail15normal_iteratorINS9_10device_ptrItEEEESE_tNS9_4plusIvEEtEEDaPvRmT3_T4_T5_mT6_P12ihipStream_tbENKUlT_T0_E_clISt17integral_constantIbLb0EEST_IbLb1EEEEDaSP_SQ_EUlSP_E0_NS1_11comp_targetILNS1_3genE3ELNS1_11target_archE908ELNS1_3gpuE7ELNS1_3repE0EEENS1_30default_config_static_selectorELNS0_4arch9wavefront6targetE1EEEvT1_,comdat
.Lfunc_end4856:
	.size	_ZN7rocprim17ROCPRIM_400000_NS6detail17trampoline_kernelINS0_14default_configENS1_20scan_config_selectorItEEZZNS1_9scan_implILNS1_25lookback_scan_determinismE0ELb1ELb1ES3_N6thrust23THRUST_200600_302600_NS6detail15normal_iteratorINS9_10device_ptrItEEEESE_tNS9_4plusIvEEtEEDaPvRmT3_T4_T5_mT6_P12ihipStream_tbENKUlT_T0_E_clISt17integral_constantIbLb0EEST_IbLb1EEEEDaSP_SQ_EUlSP_E0_NS1_11comp_targetILNS1_3genE3ELNS1_11target_archE908ELNS1_3gpuE7ELNS1_3repE0EEENS1_30default_config_static_selectorELNS0_4arch9wavefront6targetE1EEEvT1_, .Lfunc_end4856-_ZN7rocprim17ROCPRIM_400000_NS6detail17trampoline_kernelINS0_14default_configENS1_20scan_config_selectorItEEZZNS1_9scan_implILNS1_25lookback_scan_determinismE0ELb1ELb1ES3_N6thrust23THRUST_200600_302600_NS6detail15normal_iteratorINS9_10device_ptrItEEEESE_tNS9_4plusIvEEtEEDaPvRmT3_T4_T5_mT6_P12ihipStream_tbENKUlT_T0_E_clISt17integral_constantIbLb0EEST_IbLb1EEEEDaSP_SQ_EUlSP_E0_NS1_11comp_targetILNS1_3genE3ELNS1_11target_archE908ELNS1_3gpuE7ELNS1_3repE0EEENS1_30default_config_static_selectorELNS0_4arch9wavefront6targetE1EEEvT1_
                                        ; -- End function
	.section	.AMDGPU.csdata,"",@progbits
; Kernel info:
; codeLenInByte = 0
; NumSgprs: 4
; NumVgprs: 0
; NumAgprs: 0
; TotalNumVgprs: 0
; ScratchSize: 0
; MemoryBound: 0
; FloatMode: 240
; IeeeMode: 1
; LDSByteSize: 0 bytes/workgroup (compile time only)
; SGPRBlocks: 0
; VGPRBlocks: 0
; NumSGPRsForWavesPerEU: 4
; NumVGPRsForWavesPerEU: 1
; AccumOffset: 4
; Occupancy: 8
; WaveLimiterHint : 0
; COMPUTE_PGM_RSRC2:SCRATCH_EN: 0
; COMPUTE_PGM_RSRC2:USER_SGPR: 6
; COMPUTE_PGM_RSRC2:TRAP_HANDLER: 0
; COMPUTE_PGM_RSRC2:TGID_X_EN: 1
; COMPUTE_PGM_RSRC2:TGID_Y_EN: 0
; COMPUTE_PGM_RSRC2:TGID_Z_EN: 0
; COMPUTE_PGM_RSRC2:TIDIG_COMP_CNT: 0
; COMPUTE_PGM_RSRC3_GFX90A:ACCUM_OFFSET: 0
; COMPUTE_PGM_RSRC3_GFX90A:TG_SPLIT: 0
	.section	.text._ZN7rocprim17ROCPRIM_400000_NS6detail17trampoline_kernelINS0_14default_configENS1_20scan_config_selectorItEEZZNS1_9scan_implILNS1_25lookback_scan_determinismE0ELb1ELb1ES3_N6thrust23THRUST_200600_302600_NS6detail15normal_iteratorINS9_10device_ptrItEEEESE_tNS9_4plusIvEEtEEDaPvRmT3_T4_T5_mT6_P12ihipStream_tbENKUlT_T0_E_clISt17integral_constantIbLb0EEST_IbLb1EEEEDaSP_SQ_EUlSP_E0_NS1_11comp_targetILNS1_3genE2ELNS1_11target_archE906ELNS1_3gpuE6ELNS1_3repE0EEENS1_30default_config_static_selectorELNS0_4arch9wavefront6targetE1EEEvT1_,"axG",@progbits,_ZN7rocprim17ROCPRIM_400000_NS6detail17trampoline_kernelINS0_14default_configENS1_20scan_config_selectorItEEZZNS1_9scan_implILNS1_25lookback_scan_determinismE0ELb1ELb1ES3_N6thrust23THRUST_200600_302600_NS6detail15normal_iteratorINS9_10device_ptrItEEEESE_tNS9_4plusIvEEtEEDaPvRmT3_T4_T5_mT6_P12ihipStream_tbENKUlT_T0_E_clISt17integral_constantIbLb0EEST_IbLb1EEEEDaSP_SQ_EUlSP_E0_NS1_11comp_targetILNS1_3genE2ELNS1_11target_archE906ELNS1_3gpuE6ELNS1_3repE0EEENS1_30default_config_static_selectorELNS0_4arch9wavefront6targetE1EEEvT1_,comdat
	.protected	_ZN7rocprim17ROCPRIM_400000_NS6detail17trampoline_kernelINS0_14default_configENS1_20scan_config_selectorItEEZZNS1_9scan_implILNS1_25lookback_scan_determinismE0ELb1ELb1ES3_N6thrust23THRUST_200600_302600_NS6detail15normal_iteratorINS9_10device_ptrItEEEESE_tNS9_4plusIvEEtEEDaPvRmT3_T4_T5_mT6_P12ihipStream_tbENKUlT_T0_E_clISt17integral_constantIbLb0EEST_IbLb1EEEEDaSP_SQ_EUlSP_E0_NS1_11comp_targetILNS1_3genE2ELNS1_11target_archE906ELNS1_3gpuE6ELNS1_3repE0EEENS1_30default_config_static_selectorELNS0_4arch9wavefront6targetE1EEEvT1_ ; -- Begin function _ZN7rocprim17ROCPRIM_400000_NS6detail17trampoline_kernelINS0_14default_configENS1_20scan_config_selectorItEEZZNS1_9scan_implILNS1_25lookback_scan_determinismE0ELb1ELb1ES3_N6thrust23THRUST_200600_302600_NS6detail15normal_iteratorINS9_10device_ptrItEEEESE_tNS9_4plusIvEEtEEDaPvRmT3_T4_T5_mT6_P12ihipStream_tbENKUlT_T0_E_clISt17integral_constantIbLb0EEST_IbLb1EEEEDaSP_SQ_EUlSP_E0_NS1_11comp_targetILNS1_3genE2ELNS1_11target_archE906ELNS1_3gpuE6ELNS1_3repE0EEENS1_30default_config_static_selectorELNS0_4arch9wavefront6targetE1EEEvT1_
	.globl	_ZN7rocprim17ROCPRIM_400000_NS6detail17trampoline_kernelINS0_14default_configENS1_20scan_config_selectorItEEZZNS1_9scan_implILNS1_25lookback_scan_determinismE0ELb1ELb1ES3_N6thrust23THRUST_200600_302600_NS6detail15normal_iteratorINS9_10device_ptrItEEEESE_tNS9_4plusIvEEtEEDaPvRmT3_T4_T5_mT6_P12ihipStream_tbENKUlT_T0_E_clISt17integral_constantIbLb0EEST_IbLb1EEEEDaSP_SQ_EUlSP_E0_NS1_11comp_targetILNS1_3genE2ELNS1_11target_archE906ELNS1_3gpuE6ELNS1_3repE0EEENS1_30default_config_static_selectorELNS0_4arch9wavefront6targetE1EEEvT1_
	.p2align	8
	.type	_ZN7rocprim17ROCPRIM_400000_NS6detail17trampoline_kernelINS0_14default_configENS1_20scan_config_selectorItEEZZNS1_9scan_implILNS1_25lookback_scan_determinismE0ELb1ELb1ES3_N6thrust23THRUST_200600_302600_NS6detail15normal_iteratorINS9_10device_ptrItEEEESE_tNS9_4plusIvEEtEEDaPvRmT3_T4_T5_mT6_P12ihipStream_tbENKUlT_T0_E_clISt17integral_constantIbLb0EEST_IbLb1EEEEDaSP_SQ_EUlSP_E0_NS1_11comp_targetILNS1_3genE2ELNS1_11target_archE906ELNS1_3gpuE6ELNS1_3repE0EEENS1_30default_config_static_selectorELNS0_4arch9wavefront6targetE1EEEvT1_,@function
_ZN7rocprim17ROCPRIM_400000_NS6detail17trampoline_kernelINS0_14default_configENS1_20scan_config_selectorItEEZZNS1_9scan_implILNS1_25lookback_scan_determinismE0ELb1ELb1ES3_N6thrust23THRUST_200600_302600_NS6detail15normal_iteratorINS9_10device_ptrItEEEESE_tNS9_4plusIvEEtEEDaPvRmT3_T4_T5_mT6_P12ihipStream_tbENKUlT_T0_E_clISt17integral_constantIbLb0EEST_IbLb1EEEEDaSP_SQ_EUlSP_E0_NS1_11comp_targetILNS1_3genE2ELNS1_11target_archE906ELNS1_3gpuE6ELNS1_3repE0EEENS1_30default_config_static_selectorELNS0_4arch9wavefront6targetE1EEEvT1_: ; @_ZN7rocprim17ROCPRIM_400000_NS6detail17trampoline_kernelINS0_14default_configENS1_20scan_config_selectorItEEZZNS1_9scan_implILNS1_25lookback_scan_determinismE0ELb1ELb1ES3_N6thrust23THRUST_200600_302600_NS6detail15normal_iteratorINS9_10device_ptrItEEEESE_tNS9_4plusIvEEtEEDaPvRmT3_T4_T5_mT6_P12ihipStream_tbENKUlT_T0_E_clISt17integral_constantIbLb0EEST_IbLb1EEEEDaSP_SQ_EUlSP_E0_NS1_11comp_targetILNS1_3genE2ELNS1_11target_archE906ELNS1_3gpuE6ELNS1_3repE0EEENS1_30default_config_static_selectorELNS0_4arch9wavefront6targetE1EEEvT1_
; %bb.0:
	.section	.rodata,"a",@progbits
	.p2align	6, 0x0
	.amdhsa_kernel _ZN7rocprim17ROCPRIM_400000_NS6detail17trampoline_kernelINS0_14default_configENS1_20scan_config_selectorItEEZZNS1_9scan_implILNS1_25lookback_scan_determinismE0ELb1ELb1ES3_N6thrust23THRUST_200600_302600_NS6detail15normal_iteratorINS9_10device_ptrItEEEESE_tNS9_4plusIvEEtEEDaPvRmT3_T4_T5_mT6_P12ihipStream_tbENKUlT_T0_E_clISt17integral_constantIbLb0EEST_IbLb1EEEEDaSP_SQ_EUlSP_E0_NS1_11comp_targetILNS1_3genE2ELNS1_11target_archE906ELNS1_3gpuE6ELNS1_3repE0EEENS1_30default_config_static_selectorELNS0_4arch9wavefront6targetE1EEEvT1_
		.amdhsa_group_segment_fixed_size 0
		.amdhsa_private_segment_fixed_size 0
		.amdhsa_kernarg_size 32
		.amdhsa_user_sgpr_count 6
		.amdhsa_user_sgpr_private_segment_buffer 1
		.amdhsa_user_sgpr_dispatch_ptr 0
		.amdhsa_user_sgpr_queue_ptr 0
		.amdhsa_user_sgpr_kernarg_segment_ptr 1
		.amdhsa_user_sgpr_dispatch_id 0
		.amdhsa_user_sgpr_flat_scratch_init 0
		.amdhsa_user_sgpr_kernarg_preload_length 0
		.amdhsa_user_sgpr_kernarg_preload_offset 0
		.amdhsa_user_sgpr_private_segment_size 0
		.amdhsa_uses_dynamic_stack 0
		.amdhsa_system_sgpr_private_segment_wavefront_offset 0
		.amdhsa_system_sgpr_workgroup_id_x 1
		.amdhsa_system_sgpr_workgroup_id_y 0
		.amdhsa_system_sgpr_workgroup_id_z 0
		.amdhsa_system_sgpr_workgroup_info 0
		.amdhsa_system_vgpr_workitem_id 0
		.amdhsa_next_free_vgpr 1
		.amdhsa_next_free_sgpr 0
		.amdhsa_accum_offset 4
		.amdhsa_reserve_vcc 0
		.amdhsa_reserve_flat_scratch 0
		.amdhsa_float_round_mode_32 0
		.amdhsa_float_round_mode_16_64 0
		.amdhsa_float_denorm_mode_32 3
		.amdhsa_float_denorm_mode_16_64 3
		.amdhsa_dx10_clamp 1
		.amdhsa_ieee_mode 1
		.amdhsa_fp16_overflow 0
		.amdhsa_tg_split 0
		.amdhsa_exception_fp_ieee_invalid_op 0
		.amdhsa_exception_fp_denorm_src 0
		.amdhsa_exception_fp_ieee_div_zero 0
		.amdhsa_exception_fp_ieee_overflow 0
		.amdhsa_exception_fp_ieee_underflow 0
		.amdhsa_exception_fp_ieee_inexact 0
		.amdhsa_exception_int_div_zero 0
	.end_amdhsa_kernel
	.section	.text._ZN7rocprim17ROCPRIM_400000_NS6detail17trampoline_kernelINS0_14default_configENS1_20scan_config_selectorItEEZZNS1_9scan_implILNS1_25lookback_scan_determinismE0ELb1ELb1ES3_N6thrust23THRUST_200600_302600_NS6detail15normal_iteratorINS9_10device_ptrItEEEESE_tNS9_4plusIvEEtEEDaPvRmT3_T4_T5_mT6_P12ihipStream_tbENKUlT_T0_E_clISt17integral_constantIbLb0EEST_IbLb1EEEEDaSP_SQ_EUlSP_E0_NS1_11comp_targetILNS1_3genE2ELNS1_11target_archE906ELNS1_3gpuE6ELNS1_3repE0EEENS1_30default_config_static_selectorELNS0_4arch9wavefront6targetE1EEEvT1_,"axG",@progbits,_ZN7rocprim17ROCPRIM_400000_NS6detail17trampoline_kernelINS0_14default_configENS1_20scan_config_selectorItEEZZNS1_9scan_implILNS1_25lookback_scan_determinismE0ELb1ELb1ES3_N6thrust23THRUST_200600_302600_NS6detail15normal_iteratorINS9_10device_ptrItEEEESE_tNS9_4plusIvEEtEEDaPvRmT3_T4_T5_mT6_P12ihipStream_tbENKUlT_T0_E_clISt17integral_constantIbLb0EEST_IbLb1EEEEDaSP_SQ_EUlSP_E0_NS1_11comp_targetILNS1_3genE2ELNS1_11target_archE906ELNS1_3gpuE6ELNS1_3repE0EEENS1_30default_config_static_selectorELNS0_4arch9wavefront6targetE1EEEvT1_,comdat
.Lfunc_end4857:
	.size	_ZN7rocprim17ROCPRIM_400000_NS6detail17trampoline_kernelINS0_14default_configENS1_20scan_config_selectorItEEZZNS1_9scan_implILNS1_25lookback_scan_determinismE0ELb1ELb1ES3_N6thrust23THRUST_200600_302600_NS6detail15normal_iteratorINS9_10device_ptrItEEEESE_tNS9_4plusIvEEtEEDaPvRmT3_T4_T5_mT6_P12ihipStream_tbENKUlT_T0_E_clISt17integral_constantIbLb0EEST_IbLb1EEEEDaSP_SQ_EUlSP_E0_NS1_11comp_targetILNS1_3genE2ELNS1_11target_archE906ELNS1_3gpuE6ELNS1_3repE0EEENS1_30default_config_static_selectorELNS0_4arch9wavefront6targetE1EEEvT1_, .Lfunc_end4857-_ZN7rocprim17ROCPRIM_400000_NS6detail17trampoline_kernelINS0_14default_configENS1_20scan_config_selectorItEEZZNS1_9scan_implILNS1_25lookback_scan_determinismE0ELb1ELb1ES3_N6thrust23THRUST_200600_302600_NS6detail15normal_iteratorINS9_10device_ptrItEEEESE_tNS9_4plusIvEEtEEDaPvRmT3_T4_T5_mT6_P12ihipStream_tbENKUlT_T0_E_clISt17integral_constantIbLb0EEST_IbLb1EEEEDaSP_SQ_EUlSP_E0_NS1_11comp_targetILNS1_3genE2ELNS1_11target_archE906ELNS1_3gpuE6ELNS1_3repE0EEENS1_30default_config_static_selectorELNS0_4arch9wavefront6targetE1EEEvT1_
                                        ; -- End function
	.section	.AMDGPU.csdata,"",@progbits
; Kernel info:
; codeLenInByte = 0
; NumSgprs: 4
; NumVgprs: 0
; NumAgprs: 0
; TotalNumVgprs: 0
; ScratchSize: 0
; MemoryBound: 0
; FloatMode: 240
; IeeeMode: 1
; LDSByteSize: 0 bytes/workgroup (compile time only)
; SGPRBlocks: 0
; VGPRBlocks: 0
; NumSGPRsForWavesPerEU: 4
; NumVGPRsForWavesPerEU: 1
; AccumOffset: 4
; Occupancy: 8
; WaveLimiterHint : 0
; COMPUTE_PGM_RSRC2:SCRATCH_EN: 0
; COMPUTE_PGM_RSRC2:USER_SGPR: 6
; COMPUTE_PGM_RSRC2:TRAP_HANDLER: 0
; COMPUTE_PGM_RSRC2:TGID_X_EN: 1
; COMPUTE_PGM_RSRC2:TGID_Y_EN: 0
; COMPUTE_PGM_RSRC2:TGID_Z_EN: 0
; COMPUTE_PGM_RSRC2:TIDIG_COMP_CNT: 0
; COMPUTE_PGM_RSRC3_GFX90A:ACCUM_OFFSET: 0
; COMPUTE_PGM_RSRC3_GFX90A:TG_SPLIT: 0
	.section	.text._ZN7rocprim17ROCPRIM_400000_NS6detail17trampoline_kernelINS0_14default_configENS1_20scan_config_selectorItEEZZNS1_9scan_implILNS1_25lookback_scan_determinismE0ELb1ELb1ES3_N6thrust23THRUST_200600_302600_NS6detail15normal_iteratorINS9_10device_ptrItEEEESE_tNS9_4plusIvEEtEEDaPvRmT3_T4_T5_mT6_P12ihipStream_tbENKUlT_T0_E_clISt17integral_constantIbLb0EEST_IbLb1EEEEDaSP_SQ_EUlSP_E0_NS1_11comp_targetILNS1_3genE10ELNS1_11target_archE1201ELNS1_3gpuE5ELNS1_3repE0EEENS1_30default_config_static_selectorELNS0_4arch9wavefront6targetE1EEEvT1_,"axG",@progbits,_ZN7rocprim17ROCPRIM_400000_NS6detail17trampoline_kernelINS0_14default_configENS1_20scan_config_selectorItEEZZNS1_9scan_implILNS1_25lookback_scan_determinismE0ELb1ELb1ES3_N6thrust23THRUST_200600_302600_NS6detail15normal_iteratorINS9_10device_ptrItEEEESE_tNS9_4plusIvEEtEEDaPvRmT3_T4_T5_mT6_P12ihipStream_tbENKUlT_T0_E_clISt17integral_constantIbLb0EEST_IbLb1EEEEDaSP_SQ_EUlSP_E0_NS1_11comp_targetILNS1_3genE10ELNS1_11target_archE1201ELNS1_3gpuE5ELNS1_3repE0EEENS1_30default_config_static_selectorELNS0_4arch9wavefront6targetE1EEEvT1_,comdat
	.protected	_ZN7rocprim17ROCPRIM_400000_NS6detail17trampoline_kernelINS0_14default_configENS1_20scan_config_selectorItEEZZNS1_9scan_implILNS1_25lookback_scan_determinismE0ELb1ELb1ES3_N6thrust23THRUST_200600_302600_NS6detail15normal_iteratorINS9_10device_ptrItEEEESE_tNS9_4plusIvEEtEEDaPvRmT3_T4_T5_mT6_P12ihipStream_tbENKUlT_T0_E_clISt17integral_constantIbLb0EEST_IbLb1EEEEDaSP_SQ_EUlSP_E0_NS1_11comp_targetILNS1_3genE10ELNS1_11target_archE1201ELNS1_3gpuE5ELNS1_3repE0EEENS1_30default_config_static_selectorELNS0_4arch9wavefront6targetE1EEEvT1_ ; -- Begin function _ZN7rocprim17ROCPRIM_400000_NS6detail17trampoline_kernelINS0_14default_configENS1_20scan_config_selectorItEEZZNS1_9scan_implILNS1_25lookback_scan_determinismE0ELb1ELb1ES3_N6thrust23THRUST_200600_302600_NS6detail15normal_iteratorINS9_10device_ptrItEEEESE_tNS9_4plusIvEEtEEDaPvRmT3_T4_T5_mT6_P12ihipStream_tbENKUlT_T0_E_clISt17integral_constantIbLb0EEST_IbLb1EEEEDaSP_SQ_EUlSP_E0_NS1_11comp_targetILNS1_3genE10ELNS1_11target_archE1201ELNS1_3gpuE5ELNS1_3repE0EEENS1_30default_config_static_selectorELNS0_4arch9wavefront6targetE1EEEvT1_
	.globl	_ZN7rocprim17ROCPRIM_400000_NS6detail17trampoline_kernelINS0_14default_configENS1_20scan_config_selectorItEEZZNS1_9scan_implILNS1_25lookback_scan_determinismE0ELb1ELb1ES3_N6thrust23THRUST_200600_302600_NS6detail15normal_iteratorINS9_10device_ptrItEEEESE_tNS9_4plusIvEEtEEDaPvRmT3_T4_T5_mT6_P12ihipStream_tbENKUlT_T0_E_clISt17integral_constantIbLb0EEST_IbLb1EEEEDaSP_SQ_EUlSP_E0_NS1_11comp_targetILNS1_3genE10ELNS1_11target_archE1201ELNS1_3gpuE5ELNS1_3repE0EEENS1_30default_config_static_selectorELNS0_4arch9wavefront6targetE1EEEvT1_
	.p2align	8
	.type	_ZN7rocprim17ROCPRIM_400000_NS6detail17trampoline_kernelINS0_14default_configENS1_20scan_config_selectorItEEZZNS1_9scan_implILNS1_25lookback_scan_determinismE0ELb1ELb1ES3_N6thrust23THRUST_200600_302600_NS6detail15normal_iteratorINS9_10device_ptrItEEEESE_tNS9_4plusIvEEtEEDaPvRmT3_T4_T5_mT6_P12ihipStream_tbENKUlT_T0_E_clISt17integral_constantIbLb0EEST_IbLb1EEEEDaSP_SQ_EUlSP_E0_NS1_11comp_targetILNS1_3genE10ELNS1_11target_archE1201ELNS1_3gpuE5ELNS1_3repE0EEENS1_30default_config_static_selectorELNS0_4arch9wavefront6targetE1EEEvT1_,@function
_ZN7rocprim17ROCPRIM_400000_NS6detail17trampoline_kernelINS0_14default_configENS1_20scan_config_selectorItEEZZNS1_9scan_implILNS1_25lookback_scan_determinismE0ELb1ELb1ES3_N6thrust23THRUST_200600_302600_NS6detail15normal_iteratorINS9_10device_ptrItEEEESE_tNS9_4plusIvEEtEEDaPvRmT3_T4_T5_mT6_P12ihipStream_tbENKUlT_T0_E_clISt17integral_constantIbLb0EEST_IbLb1EEEEDaSP_SQ_EUlSP_E0_NS1_11comp_targetILNS1_3genE10ELNS1_11target_archE1201ELNS1_3gpuE5ELNS1_3repE0EEENS1_30default_config_static_selectorELNS0_4arch9wavefront6targetE1EEEvT1_: ; @_ZN7rocprim17ROCPRIM_400000_NS6detail17trampoline_kernelINS0_14default_configENS1_20scan_config_selectorItEEZZNS1_9scan_implILNS1_25lookback_scan_determinismE0ELb1ELb1ES3_N6thrust23THRUST_200600_302600_NS6detail15normal_iteratorINS9_10device_ptrItEEEESE_tNS9_4plusIvEEtEEDaPvRmT3_T4_T5_mT6_P12ihipStream_tbENKUlT_T0_E_clISt17integral_constantIbLb0EEST_IbLb1EEEEDaSP_SQ_EUlSP_E0_NS1_11comp_targetILNS1_3genE10ELNS1_11target_archE1201ELNS1_3gpuE5ELNS1_3repE0EEENS1_30default_config_static_selectorELNS0_4arch9wavefront6targetE1EEEvT1_
; %bb.0:
	.section	.rodata,"a",@progbits
	.p2align	6, 0x0
	.amdhsa_kernel _ZN7rocprim17ROCPRIM_400000_NS6detail17trampoline_kernelINS0_14default_configENS1_20scan_config_selectorItEEZZNS1_9scan_implILNS1_25lookback_scan_determinismE0ELb1ELb1ES3_N6thrust23THRUST_200600_302600_NS6detail15normal_iteratorINS9_10device_ptrItEEEESE_tNS9_4plusIvEEtEEDaPvRmT3_T4_T5_mT6_P12ihipStream_tbENKUlT_T0_E_clISt17integral_constantIbLb0EEST_IbLb1EEEEDaSP_SQ_EUlSP_E0_NS1_11comp_targetILNS1_3genE10ELNS1_11target_archE1201ELNS1_3gpuE5ELNS1_3repE0EEENS1_30default_config_static_selectorELNS0_4arch9wavefront6targetE1EEEvT1_
		.amdhsa_group_segment_fixed_size 0
		.amdhsa_private_segment_fixed_size 0
		.amdhsa_kernarg_size 32
		.amdhsa_user_sgpr_count 6
		.amdhsa_user_sgpr_private_segment_buffer 1
		.amdhsa_user_sgpr_dispatch_ptr 0
		.amdhsa_user_sgpr_queue_ptr 0
		.amdhsa_user_sgpr_kernarg_segment_ptr 1
		.amdhsa_user_sgpr_dispatch_id 0
		.amdhsa_user_sgpr_flat_scratch_init 0
		.amdhsa_user_sgpr_kernarg_preload_length 0
		.amdhsa_user_sgpr_kernarg_preload_offset 0
		.amdhsa_user_sgpr_private_segment_size 0
		.amdhsa_uses_dynamic_stack 0
		.amdhsa_system_sgpr_private_segment_wavefront_offset 0
		.amdhsa_system_sgpr_workgroup_id_x 1
		.amdhsa_system_sgpr_workgroup_id_y 0
		.amdhsa_system_sgpr_workgroup_id_z 0
		.amdhsa_system_sgpr_workgroup_info 0
		.amdhsa_system_vgpr_workitem_id 0
		.amdhsa_next_free_vgpr 1
		.amdhsa_next_free_sgpr 0
		.amdhsa_accum_offset 4
		.amdhsa_reserve_vcc 0
		.amdhsa_reserve_flat_scratch 0
		.amdhsa_float_round_mode_32 0
		.amdhsa_float_round_mode_16_64 0
		.amdhsa_float_denorm_mode_32 3
		.amdhsa_float_denorm_mode_16_64 3
		.amdhsa_dx10_clamp 1
		.amdhsa_ieee_mode 1
		.amdhsa_fp16_overflow 0
		.amdhsa_tg_split 0
		.amdhsa_exception_fp_ieee_invalid_op 0
		.amdhsa_exception_fp_denorm_src 0
		.amdhsa_exception_fp_ieee_div_zero 0
		.amdhsa_exception_fp_ieee_overflow 0
		.amdhsa_exception_fp_ieee_underflow 0
		.amdhsa_exception_fp_ieee_inexact 0
		.amdhsa_exception_int_div_zero 0
	.end_amdhsa_kernel
	.section	.text._ZN7rocprim17ROCPRIM_400000_NS6detail17trampoline_kernelINS0_14default_configENS1_20scan_config_selectorItEEZZNS1_9scan_implILNS1_25lookback_scan_determinismE0ELb1ELb1ES3_N6thrust23THRUST_200600_302600_NS6detail15normal_iteratorINS9_10device_ptrItEEEESE_tNS9_4plusIvEEtEEDaPvRmT3_T4_T5_mT6_P12ihipStream_tbENKUlT_T0_E_clISt17integral_constantIbLb0EEST_IbLb1EEEEDaSP_SQ_EUlSP_E0_NS1_11comp_targetILNS1_3genE10ELNS1_11target_archE1201ELNS1_3gpuE5ELNS1_3repE0EEENS1_30default_config_static_selectorELNS0_4arch9wavefront6targetE1EEEvT1_,"axG",@progbits,_ZN7rocprim17ROCPRIM_400000_NS6detail17trampoline_kernelINS0_14default_configENS1_20scan_config_selectorItEEZZNS1_9scan_implILNS1_25lookback_scan_determinismE0ELb1ELb1ES3_N6thrust23THRUST_200600_302600_NS6detail15normal_iteratorINS9_10device_ptrItEEEESE_tNS9_4plusIvEEtEEDaPvRmT3_T4_T5_mT6_P12ihipStream_tbENKUlT_T0_E_clISt17integral_constantIbLb0EEST_IbLb1EEEEDaSP_SQ_EUlSP_E0_NS1_11comp_targetILNS1_3genE10ELNS1_11target_archE1201ELNS1_3gpuE5ELNS1_3repE0EEENS1_30default_config_static_selectorELNS0_4arch9wavefront6targetE1EEEvT1_,comdat
.Lfunc_end4858:
	.size	_ZN7rocprim17ROCPRIM_400000_NS6detail17trampoline_kernelINS0_14default_configENS1_20scan_config_selectorItEEZZNS1_9scan_implILNS1_25lookback_scan_determinismE0ELb1ELb1ES3_N6thrust23THRUST_200600_302600_NS6detail15normal_iteratorINS9_10device_ptrItEEEESE_tNS9_4plusIvEEtEEDaPvRmT3_T4_T5_mT6_P12ihipStream_tbENKUlT_T0_E_clISt17integral_constantIbLb0EEST_IbLb1EEEEDaSP_SQ_EUlSP_E0_NS1_11comp_targetILNS1_3genE10ELNS1_11target_archE1201ELNS1_3gpuE5ELNS1_3repE0EEENS1_30default_config_static_selectorELNS0_4arch9wavefront6targetE1EEEvT1_, .Lfunc_end4858-_ZN7rocprim17ROCPRIM_400000_NS6detail17trampoline_kernelINS0_14default_configENS1_20scan_config_selectorItEEZZNS1_9scan_implILNS1_25lookback_scan_determinismE0ELb1ELb1ES3_N6thrust23THRUST_200600_302600_NS6detail15normal_iteratorINS9_10device_ptrItEEEESE_tNS9_4plusIvEEtEEDaPvRmT3_T4_T5_mT6_P12ihipStream_tbENKUlT_T0_E_clISt17integral_constantIbLb0EEST_IbLb1EEEEDaSP_SQ_EUlSP_E0_NS1_11comp_targetILNS1_3genE10ELNS1_11target_archE1201ELNS1_3gpuE5ELNS1_3repE0EEENS1_30default_config_static_selectorELNS0_4arch9wavefront6targetE1EEEvT1_
                                        ; -- End function
	.section	.AMDGPU.csdata,"",@progbits
; Kernel info:
; codeLenInByte = 0
; NumSgprs: 4
; NumVgprs: 0
; NumAgprs: 0
; TotalNumVgprs: 0
; ScratchSize: 0
; MemoryBound: 0
; FloatMode: 240
; IeeeMode: 1
; LDSByteSize: 0 bytes/workgroup (compile time only)
; SGPRBlocks: 0
; VGPRBlocks: 0
; NumSGPRsForWavesPerEU: 4
; NumVGPRsForWavesPerEU: 1
; AccumOffset: 4
; Occupancy: 8
; WaveLimiterHint : 0
; COMPUTE_PGM_RSRC2:SCRATCH_EN: 0
; COMPUTE_PGM_RSRC2:USER_SGPR: 6
; COMPUTE_PGM_RSRC2:TRAP_HANDLER: 0
; COMPUTE_PGM_RSRC2:TGID_X_EN: 1
; COMPUTE_PGM_RSRC2:TGID_Y_EN: 0
; COMPUTE_PGM_RSRC2:TGID_Z_EN: 0
; COMPUTE_PGM_RSRC2:TIDIG_COMP_CNT: 0
; COMPUTE_PGM_RSRC3_GFX90A:ACCUM_OFFSET: 0
; COMPUTE_PGM_RSRC3_GFX90A:TG_SPLIT: 0
	.section	.text._ZN7rocprim17ROCPRIM_400000_NS6detail17trampoline_kernelINS0_14default_configENS1_20scan_config_selectorItEEZZNS1_9scan_implILNS1_25lookback_scan_determinismE0ELb1ELb1ES3_N6thrust23THRUST_200600_302600_NS6detail15normal_iteratorINS9_10device_ptrItEEEESE_tNS9_4plusIvEEtEEDaPvRmT3_T4_T5_mT6_P12ihipStream_tbENKUlT_T0_E_clISt17integral_constantIbLb0EEST_IbLb1EEEEDaSP_SQ_EUlSP_E0_NS1_11comp_targetILNS1_3genE10ELNS1_11target_archE1200ELNS1_3gpuE4ELNS1_3repE0EEENS1_30default_config_static_selectorELNS0_4arch9wavefront6targetE1EEEvT1_,"axG",@progbits,_ZN7rocprim17ROCPRIM_400000_NS6detail17trampoline_kernelINS0_14default_configENS1_20scan_config_selectorItEEZZNS1_9scan_implILNS1_25lookback_scan_determinismE0ELb1ELb1ES3_N6thrust23THRUST_200600_302600_NS6detail15normal_iteratorINS9_10device_ptrItEEEESE_tNS9_4plusIvEEtEEDaPvRmT3_T4_T5_mT6_P12ihipStream_tbENKUlT_T0_E_clISt17integral_constantIbLb0EEST_IbLb1EEEEDaSP_SQ_EUlSP_E0_NS1_11comp_targetILNS1_3genE10ELNS1_11target_archE1200ELNS1_3gpuE4ELNS1_3repE0EEENS1_30default_config_static_selectorELNS0_4arch9wavefront6targetE1EEEvT1_,comdat
	.protected	_ZN7rocprim17ROCPRIM_400000_NS6detail17trampoline_kernelINS0_14default_configENS1_20scan_config_selectorItEEZZNS1_9scan_implILNS1_25lookback_scan_determinismE0ELb1ELb1ES3_N6thrust23THRUST_200600_302600_NS6detail15normal_iteratorINS9_10device_ptrItEEEESE_tNS9_4plusIvEEtEEDaPvRmT3_T4_T5_mT6_P12ihipStream_tbENKUlT_T0_E_clISt17integral_constantIbLb0EEST_IbLb1EEEEDaSP_SQ_EUlSP_E0_NS1_11comp_targetILNS1_3genE10ELNS1_11target_archE1200ELNS1_3gpuE4ELNS1_3repE0EEENS1_30default_config_static_selectorELNS0_4arch9wavefront6targetE1EEEvT1_ ; -- Begin function _ZN7rocprim17ROCPRIM_400000_NS6detail17trampoline_kernelINS0_14default_configENS1_20scan_config_selectorItEEZZNS1_9scan_implILNS1_25lookback_scan_determinismE0ELb1ELb1ES3_N6thrust23THRUST_200600_302600_NS6detail15normal_iteratorINS9_10device_ptrItEEEESE_tNS9_4plusIvEEtEEDaPvRmT3_T4_T5_mT6_P12ihipStream_tbENKUlT_T0_E_clISt17integral_constantIbLb0EEST_IbLb1EEEEDaSP_SQ_EUlSP_E0_NS1_11comp_targetILNS1_3genE10ELNS1_11target_archE1200ELNS1_3gpuE4ELNS1_3repE0EEENS1_30default_config_static_selectorELNS0_4arch9wavefront6targetE1EEEvT1_
	.globl	_ZN7rocprim17ROCPRIM_400000_NS6detail17trampoline_kernelINS0_14default_configENS1_20scan_config_selectorItEEZZNS1_9scan_implILNS1_25lookback_scan_determinismE0ELb1ELb1ES3_N6thrust23THRUST_200600_302600_NS6detail15normal_iteratorINS9_10device_ptrItEEEESE_tNS9_4plusIvEEtEEDaPvRmT3_T4_T5_mT6_P12ihipStream_tbENKUlT_T0_E_clISt17integral_constantIbLb0EEST_IbLb1EEEEDaSP_SQ_EUlSP_E0_NS1_11comp_targetILNS1_3genE10ELNS1_11target_archE1200ELNS1_3gpuE4ELNS1_3repE0EEENS1_30default_config_static_selectorELNS0_4arch9wavefront6targetE1EEEvT1_
	.p2align	8
	.type	_ZN7rocprim17ROCPRIM_400000_NS6detail17trampoline_kernelINS0_14default_configENS1_20scan_config_selectorItEEZZNS1_9scan_implILNS1_25lookback_scan_determinismE0ELb1ELb1ES3_N6thrust23THRUST_200600_302600_NS6detail15normal_iteratorINS9_10device_ptrItEEEESE_tNS9_4plusIvEEtEEDaPvRmT3_T4_T5_mT6_P12ihipStream_tbENKUlT_T0_E_clISt17integral_constantIbLb0EEST_IbLb1EEEEDaSP_SQ_EUlSP_E0_NS1_11comp_targetILNS1_3genE10ELNS1_11target_archE1200ELNS1_3gpuE4ELNS1_3repE0EEENS1_30default_config_static_selectorELNS0_4arch9wavefront6targetE1EEEvT1_,@function
_ZN7rocprim17ROCPRIM_400000_NS6detail17trampoline_kernelINS0_14default_configENS1_20scan_config_selectorItEEZZNS1_9scan_implILNS1_25lookback_scan_determinismE0ELb1ELb1ES3_N6thrust23THRUST_200600_302600_NS6detail15normal_iteratorINS9_10device_ptrItEEEESE_tNS9_4plusIvEEtEEDaPvRmT3_T4_T5_mT6_P12ihipStream_tbENKUlT_T0_E_clISt17integral_constantIbLb0EEST_IbLb1EEEEDaSP_SQ_EUlSP_E0_NS1_11comp_targetILNS1_3genE10ELNS1_11target_archE1200ELNS1_3gpuE4ELNS1_3repE0EEENS1_30default_config_static_selectorELNS0_4arch9wavefront6targetE1EEEvT1_: ; @_ZN7rocprim17ROCPRIM_400000_NS6detail17trampoline_kernelINS0_14default_configENS1_20scan_config_selectorItEEZZNS1_9scan_implILNS1_25lookback_scan_determinismE0ELb1ELb1ES3_N6thrust23THRUST_200600_302600_NS6detail15normal_iteratorINS9_10device_ptrItEEEESE_tNS9_4plusIvEEtEEDaPvRmT3_T4_T5_mT6_P12ihipStream_tbENKUlT_T0_E_clISt17integral_constantIbLb0EEST_IbLb1EEEEDaSP_SQ_EUlSP_E0_NS1_11comp_targetILNS1_3genE10ELNS1_11target_archE1200ELNS1_3gpuE4ELNS1_3repE0EEENS1_30default_config_static_selectorELNS0_4arch9wavefront6targetE1EEEvT1_
; %bb.0:
	.section	.rodata,"a",@progbits
	.p2align	6, 0x0
	.amdhsa_kernel _ZN7rocprim17ROCPRIM_400000_NS6detail17trampoline_kernelINS0_14default_configENS1_20scan_config_selectorItEEZZNS1_9scan_implILNS1_25lookback_scan_determinismE0ELb1ELb1ES3_N6thrust23THRUST_200600_302600_NS6detail15normal_iteratorINS9_10device_ptrItEEEESE_tNS9_4plusIvEEtEEDaPvRmT3_T4_T5_mT6_P12ihipStream_tbENKUlT_T0_E_clISt17integral_constantIbLb0EEST_IbLb1EEEEDaSP_SQ_EUlSP_E0_NS1_11comp_targetILNS1_3genE10ELNS1_11target_archE1200ELNS1_3gpuE4ELNS1_3repE0EEENS1_30default_config_static_selectorELNS0_4arch9wavefront6targetE1EEEvT1_
		.amdhsa_group_segment_fixed_size 0
		.amdhsa_private_segment_fixed_size 0
		.amdhsa_kernarg_size 32
		.amdhsa_user_sgpr_count 6
		.amdhsa_user_sgpr_private_segment_buffer 1
		.amdhsa_user_sgpr_dispatch_ptr 0
		.amdhsa_user_sgpr_queue_ptr 0
		.amdhsa_user_sgpr_kernarg_segment_ptr 1
		.amdhsa_user_sgpr_dispatch_id 0
		.amdhsa_user_sgpr_flat_scratch_init 0
		.amdhsa_user_sgpr_kernarg_preload_length 0
		.amdhsa_user_sgpr_kernarg_preload_offset 0
		.amdhsa_user_sgpr_private_segment_size 0
		.amdhsa_uses_dynamic_stack 0
		.amdhsa_system_sgpr_private_segment_wavefront_offset 0
		.amdhsa_system_sgpr_workgroup_id_x 1
		.amdhsa_system_sgpr_workgroup_id_y 0
		.amdhsa_system_sgpr_workgroup_id_z 0
		.amdhsa_system_sgpr_workgroup_info 0
		.amdhsa_system_vgpr_workitem_id 0
		.amdhsa_next_free_vgpr 1
		.amdhsa_next_free_sgpr 0
		.amdhsa_accum_offset 4
		.amdhsa_reserve_vcc 0
		.amdhsa_reserve_flat_scratch 0
		.amdhsa_float_round_mode_32 0
		.amdhsa_float_round_mode_16_64 0
		.amdhsa_float_denorm_mode_32 3
		.amdhsa_float_denorm_mode_16_64 3
		.amdhsa_dx10_clamp 1
		.amdhsa_ieee_mode 1
		.amdhsa_fp16_overflow 0
		.amdhsa_tg_split 0
		.amdhsa_exception_fp_ieee_invalid_op 0
		.amdhsa_exception_fp_denorm_src 0
		.amdhsa_exception_fp_ieee_div_zero 0
		.amdhsa_exception_fp_ieee_overflow 0
		.amdhsa_exception_fp_ieee_underflow 0
		.amdhsa_exception_fp_ieee_inexact 0
		.amdhsa_exception_int_div_zero 0
	.end_amdhsa_kernel
	.section	.text._ZN7rocprim17ROCPRIM_400000_NS6detail17trampoline_kernelINS0_14default_configENS1_20scan_config_selectorItEEZZNS1_9scan_implILNS1_25lookback_scan_determinismE0ELb1ELb1ES3_N6thrust23THRUST_200600_302600_NS6detail15normal_iteratorINS9_10device_ptrItEEEESE_tNS9_4plusIvEEtEEDaPvRmT3_T4_T5_mT6_P12ihipStream_tbENKUlT_T0_E_clISt17integral_constantIbLb0EEST_IbLb1EEEEDaSP_SQ_EUlSP_E0_NS1_11comp_targetILNS1_3genE10ELNS1_11target_archE1200ELNS1_3gpuE4ELNS1_3repE0EEENS1_30default_config_static_selectorELNS0_4arch9wavefront6targetE1EEEvT1_,"axG",@progbits,_ZN7rocprim17ROCPRIM_400000_NS6detail17trampoline_kernelINS0_14default_configENS1_20scan_config_selectorItEEZZNS1_9scan_implILNS1_25lookback_scan_determinismE0ELb1ELb1ES3_N6thrust23THRUST_200600_302600_NS6detail15normal_iteratorINS9_10device_ptrItEEEESE_tNS9_4plusIvEEtEEDaPvRmT3_T4_T5_mT6_P12ihipStream_tbENKUlT_T0_E_clISt17integral_constantIbLb0EEST_IbLb1EEEEDaSP_SQ_EUlSP_E0_NS1_11comp_targetILNS1_3genE10ELNS1_11target_archE1200ELNS1_3gpuE4ELNS1_3repE0EEENS1_30default_config_static_selectorELNS0_4arch9wavefront6targetE1EEEvT1_,comdat
.Lfunc_end4859:
	.size	_ZN7rocprim17ROCPRIM_400000_NS6detail17trampoline_kernelINS0_14default_configENS1_20scan_config_selectorItEEZZNS1_9scan_implILNS1_25lookback_scan_determinismE0ELb1ELb1ES3_N6thrust23THRUST_200600_302600_NS6detail15normal_iteratorINS9_10device_ptrItEEEESE_tNS9_4plusIvEEtEEDaPvRmT3_T4_T5_mT6_P12ihipStream_tbENKUlT_T0_E_clISt17integral_constantIbLb0EEST_IbLb1EEEEDaSP_SQ_EUlSP_E0_NS1_11comp_targetILNS1_3genE10ELNS1_11target_archE1200ELNS1_3gpuE4ELNS1_3repE0EEENS1_30default_config_static_selectorELNS0_4arch9wavefront6targetE1EEEvT1_, .Lfunc_end4859-_ZN7rocprim17ROCPRIM_400000_NS6detail17trampoline_kernelINS0_14default_configENS1_20scan_config_selectorItEEZZNS1_9scan_implILNS1_25lookback_scan_determinismE0ELb1ELb1ES3_N6thrust23THRUST_200600_302600_NS6detail15normal_iteratorINS9_10device_ptrItEEEESE_tNS9_4plusIvEEtEEDaPvRmT3_T4_T5_mT6_P12ihipStream_tbENKUlT_T0_E_clISt17integral_constantIbLb0EEST_IbLb1EEEEDaSP_SQ_EUlSP_E0_NS1_11comp_targetILNS1_3genE10ELNS1_11target_archE1200ELNS1_3gpuE4ELNS1_3repE0EEENS1_30default_config_static_selectorELNS0_4arch9wavefront6targetE1EEEvT1_
                                        ; -- End function
	.section	.AMDGPU.csdata,"",@progbits
; Kernel info:
; codeLenInByte = 0
; NumSgprs: 4
; NumVgprs: 0
; NumAgprs: 0
; TotalNumVgprs: 0
; ScratchSize: 0
; MemoryBound: 0
; FloatMode: 240
; IeeeMode: 1
; LDSByteSize: 0 bytes/workgroup (compile time only)
; SGPRBlocks: 0
; VGPRBlocks: 0
; NumSGPRsForWavesPerEU: 4
; NumVGPRsForWavesPerEU: 1
; AccumOffset: 4
; Occupancy: 8
; WaveLimiterHint : 0
; COMPUTE_PGM_RSRC2:SCRATCH_EN: 0
; COMPUTE_PGM_RSRC2:USER_SGPR: 6
; COMPUTE_PGM_RSRC2:TRAP_HANDLER: 0
; COMPUTE_PGM_RSRC2:TGID_X_EN: 1
; COMPUTE_PGM_RSRC2:TGID_Y_EN: 0
; COMPUTE_PGM_RSRC2:TGID_Z_EN: 0
; COMPUTE_PGM_RSRC2:TIDIG_COMP_CNT: 0
; COMPUTE_PGM_RSRC3_GFX90A:ACCUM_OFFSET: 0
; COMPUTE_PGM_RSRC3_GFX90A:TG_SPLIT: 0
	.section	.text._ZN7rocprim17ROCPRIM_400000_NS6detail17trampoline_kernelINS0_14default_configENS1_20scan_config_selectorItEEZZNS1_9scan_implILNS1_25lookback_scan_determinismE0ELb1ELb1ES3_N6thrust23THRUST_200600_302600_NS6detail15normal_iteratorINS9_10device_ptrItEEEESE_tNS9_4plusIvEEtEEDaPvRmT3_T4_T5_mT6_P12ihipStream_tbENKUlT_T0_E_clISt17integral_constantIbLb0EEST_IbLb1EEEEDaSP_SQ_EUlSP_E0_NS1_11comp_targetILNS1_3genE9ELNS1_11target_archE1100ELNS1_3gpuE3ELNS1_3repE0EEENS1_30default_config_static_selectorELNS0_4arch9wavefront6targetE1EEEvT1_,"axG",@progbits,_ZN7rocprim17ROCPRIM_400000_NS6detail17trampoline_kernelINS0_14default_configENS1_20scan_config_selectorItEEZZNS1_9scan_implILNS1_25lookback_scan_determinismE0ELb1ELb1ES3_N6thrust23THRUST_200600_302600_NS6detail15normal_iteratorINS9_10device_ptrItEEEESE_tNS9_4plusIvEEtEEDaPvRmT3_T4_T5_mT6_P12ihipStream_tbENKUlT_T0_E_clISt17integral_constantIbLb0EEST_IbLb1EEEEDaSP_SQ_EUlSP_E0_NS1_11comp_targetILNS1_3genE9ELNS1_11target_archE1100ELNS1_3gpuE3ELNS1_3repE0EEENS1_30default_config_static_selectorELNS0_4arch9wavefront6targetE1EEEvT1_,comdat
	.protected	_ZN7rocprim17ROCPRIM_400000_NS6detail17trampoline_kernelINS0_14default_configENS1_20scan_config_selectorItEEZZNS1_9scan_implILNS1_25lookback_scan_determinismE0ELb1ELb1ES3_N6thrust23THRUST_200600_302600_NS6detail15normal_iteratorINS9_10device_ptrItEEEESE_tNS9_4plusIvEEtEEDaPvRmT3_T4_T5_mT6_P12ihipStream_tbENKUlT_T0_E_clISt17integral_constantIbLb0EEST_IbLb1EEEEDaSP_SQ_EUlSP_E0_NS1_11comp_targetILNS1_3genE9ELNS1_11target_archE1100ELNS1_3gpuE3ELNS1_3repE0EEENS1_30default_config_static_selectorELNS0_4arch9wavefront6targetE1EEEvT1_ ; -- Begin function _ZN7rocprim17ROCPRIM_400000_NS6detail17trampoline_kernelINS0_14default_configENS1_20scan_config_selectorItEEZZNS1_9scan_implILNS1_25lookback_scan_determinismE0ELb1ELb1ES3_N6thrust23THRUST_200600_302600_NS6detail15normal_iteratorINS9_10device_ptrItEEEESE_tNS9_4plusIvEEtEEDaPvRmT3_T4_T5_mT6_P12ihipStream_tbENKUlT_T0_E_clISt17integral_constantIbLb0EEST_IbLb1EEEEDaSP_SQ_EUlSP_E0_NS1_11comp_targetILNS1_3genE9ELNS1_11target_archE1100ELNS1_3gpuE3ELNS1_3repE0EEENS1_30default_config_static_selectorELNS0_4arch9wavefront6targetE1EEEvT1_
	.globl	_ZN7rocprim17ROCPRIM_400000_NS6detail17trampoline_kernelINS0_14default_configENS1_20scan_config_selectorItEEZZNS1_9scan_implILNS1_25lookback_scan_determinismE0ELb1ELb1ES3_N6thrust23THRUST_200600_302600_NS6detail15normal_iteratorINS9_10device_ptrItEEEESE_tNS9_4plusIvEEtEEDaPvRmT3_T4_T5_mT6_P12ihipStream_tbENKUlT_T0_E_clISt17integral_constantIbLb0EEST_IbLb1EEEEDaSP_SQ_EUlSP_E0_NS1_11comp_targetILNS1_3genE9ELNS1_11target_archE1100ELNS1_3gpuE3ELNS1_3repE0EEENS1_30default_config_static_selectorELNS0_4arch9wavefront6targetE1EEEvT1_
	.p2align	8
	.type	_ZN7rocprim17ROCPRIM_400000_NS6detail17trampoline_kernelINS0_14default_configENS1_20scan_config_selectorItEEZZNS1_9scan_implILNS1_25lookback_scan_determinismE0ELb1ELb1ES3_N6thrust23THRUST_200600_302600_NS6detail15normal_iteratorINS9_10device_ptrItEEEESE_tNS9_4plusIvEEtEEDaPvRmT3_T4_T5_mT6_P12ihipStream_tbENKUlT_T0_E_clISt17integral_constantIbLb0EEST_IbLb1EEEEDaSP_SQ_EUlSP_E0_NS1_11comp_targetILNS1_3genE9ELNS1_11target_archE1100ELNS1_3gpuE3ELNS1_3repE0EEENS1_30default_config_static_selectorELNS0_4arch9wavefront6targetE1EEEvT1_,@function
_ZN7rocprim17ROCPRIM_400000_NS6detail17trampoline_kernelINS0_14default_configENS1_20scan_config_selectorItEEZZNS1_9scan_implILNS1_25lookback_scan_determinismE0ELb1ELb1ES3_N6thrust23THRUST_200600_302600_NS6detail15normal_iteratorINS9_10device_ptrItEEEESE_tNS9_4plusIvEEtEEDaPvRmT3_T4_T5_mT6_P12ihipStream_tbENKUlT_T0_E_clISt17integral_constantIbLb0EEST_IbLb1EEEEDaSP_SQ_EUlSP_E0_NS1_11comp_targetILNS1_3genE9ELNS1_11target_archE1100ELNS1_3gpuE3ELNS1_3repE0EEENS1_30default_config_static_selectorELNS0_4arch9wavefront6targetE1EEEvT1_: ; @_ZN7rocprim17ROCPRIM_400000_NS6detail17trampoline_kernelINS0_14default_configENS1_20scan_config_selectorItEEZZNS1_9scan_implILNS1_25lookback_scan_determinismE0ELb1ELb1ES3_N6thrust23THRUST_200600_302600_NS6detail15normal_iteratorINS9_10device_ptrItEEEESE_tNS9_4plusIvEEtEEDaPvRmT3_T4_T5_mT6_P12ihipStream_tbENKUlT_T0_E_clISt17integral_constantIbLb0EEST_IbLb1EEEEDaSP_SQ_EUlSP_E0_NS1_11comp_targetILNS1_3genE9ELNS1_11target_archE1100ELNS1_3gpuE3ELNS1_3repE0EEENS1_30default_config_static_selectorELNS0_4arch9wavefront6targetE1EEEvT1_
; %bb.0:
	.section	.rodata,"a",@progbits
	.p2align	6, 0x0
	.amdhsa_kernel _ZN7rocprim17ROCPRIM_400000_NS6detail17trampoline_kernelINS0_14default_configENS1_20scan_config_selectorItEEZZNS1_9scan_implILNS1_25lookback_scan_determinismE0ELb1ELb1ES3_N6thrust23THRUST_200600_302600_NS6detail15normal_iteratorINS9_10device_ptrItEEEESE_tNS9_4plusIvEEtEEDaPvRmT3_T4_T5_mT6_P12ihipStream_tbENKUlT_T0_E_clISt17integral_constantIbLb0EEST_IbLb1EEEEDaSP_SQ_EUlSP_E0_NS1_11comp_targetILNS1_3genE9ELNS1_11target_archE1100ELNS1_3gpuE3ELNS1_3repE0EEENS1_30default_config_static_selectorELNS0_4arch9wavefront6targetE1EEEvT1_
		.amdhsa_group_segment_fixed_size 0
		.amdhsa_private_segment_fixed_size 0
		.amdhsa_kernarg_size 32
		.amdhsa_user_sgpr_count 6
		.amdhsa_user_sgpr_private_segment_buffer 1
		.amdhsa_user_sgpr_dispatch_ptr 0
		.amdhsa_user_sgpr_queue_ptr 0
		.amdhsa_user_sgpr_kernarg_segment_ptr 1
		.amdhsa_user_sgpr_dispatch_id 0
		.amdhsa_user_sgpr_flat_scratch_init 0
		.amdhsa_user_sgpr_kernarg_preload_length 0
		.amdhsa_user_sgpr_kernarg_preload_offset 0
		.amdhsa_user_sgpr_private_segment_size 0
		.amdhsa_uses_dynamic_stack 0
		.amdhsa_system_sgpr_private_segment_wavefront_offset 0
		.amdhsa_system_sgpr_workgroup_id_x 1
		.amdhsa_system_sgpr_workgroup_id_y 0
		.amdhsa_system_sgpr_workgroup_id_z 0
		.amdhsa_system_sgpr_workgroup_info 0
		.amdhsa_system_vgpr_workitem_id 0
		.amdhsa_next_free_vgpr 1
		.amdhsa_next_free_sgpr 0
		.amdhsa_accum_offset 4
		.amdhsa_reserve_vcc 0
		.amdhsa_reserve_flat_scratch 0
		.amdhsa_float_round_mode_32 0
		.amdhsa_float_round_mode_16_64 0
		.amdhsa_float_denorm_mode_32 3
		.amdhsa_float_denorm_mode_16_64 3
		.amdhsa_dx10_clamp 1
		.amdhsa_ieee_mode 1
		.amdhsa_fp16_overflow 0
		.amdhsa_tg_split 0
		.amdhsa_exception_fp_ieee_invalid_op 0
		.amdhsa_exception_fp_denorm_src 0
		.amdhsa_exception_fp_ieee_div_zero 0
		.amdhsa_exception_fp_ieee_overflow 0
		.amdhsa_exception_fp_ieee_underflow 0
		.amdhsa_exception_fp_ieee_inexact 0
		.amdhsa_exception_int_div_zero 0
	.end_amdhsa_kernel
	.section	.text._ZN7rocprim17ROCPRIM_400000_NS6detail17trampoline_kernelINS0_14default_configENS1_20scan_config_selectorItEEZZNS1_9scan_implILNS1_25lookback_scan_determinismE0ELb1ELb1ES3_N6thrust23THRUST_200600_302600_NS6detail15normal_iteratorINS9_10device_ptrItEEEESE_tNS9_4plusIvEEtEEDaPvRmT3_T4_T5_mT6_P12ihipStream_tbENKUlT_T0_E_clISt17integral_constantIbLb0EEST_IbLb1EEEEDaSP_SQ_EUlSP_E0_NS1_11comp_targetILNS1_3genE9ELNS1_11target_archE1100ELNS1_3gpuE3ELNS1_3repE0EEENS1_30default_config_static_selectorELNS0_4arch9wavefront6targetE1EEEvT1_,"axG",@progbits,_ZN7rocprim17ROCPRIM_400000_NS6detail17trampoline_kernelINS0_14default_configENS1_20scan_config_selectorItEEZZNS1_9scan_implILNS1_25lookback_scan_determinismE0ELb1ELb1ES3_N6thrust23THRUST_200600_302600_NS6detail15normal_iteratorINS9_10device_ptrItEEEESE_tNS9_4plusIvEEtEEDaPvRmT3_T4_T5_mT6_P12ihipStream_tbENKUlT_T0_E_clISt17integral_constantIbLb0EEST_IbLb1EEEEDaSP_SQ_EUlSP_E0_NS1_11comp_targetILNS1_3genE9ELNS1_11target_archE1100ELNS1_3gpuE3ELNS1_3repE0EEENS1_30default_config_static_selectorELNS0_4arch9wavefront6targetE1EEEvT1_,comdat
.Lfunc_end4860:
	.size	_ZN7rocprim17ROCPRIM_400000_NS6detail17trampoline_kernelINS0_14default_configENS1_20scan_config_selectorItEEZZNS1_9scan_implILNS1_25lookback_scan_determinismE0ELb1ELb1ES3_N6thrust23THRUST_200600_302600_NS6detail15normal_iteratorINS9_10device_ptrItEEEESE_tNS9_4plusIvEEtEEDaPvRmT3_T4_T5_mT6_P12ihipStream_tbENKUlT_T0_E_clISt17integral_constantIbLb0EEST_IbLb1EEEEDaSP_SQ_EUlSP_E0_NS1_11comp_targetILNS1_3genE9ELNS1_11target_archE1100ELNS1_3gpuE3ELNS1_3repE0EEENS1_30default_config_static_selectorELNS0_4arch9wavefront6targetE1EEEvT1_, .Lfunc_end4860-_ZN7rocprim17ROCPRIM_400000_NS6detail17trampoline_kernelINS0_14default_configENS1_20scan_config_selectorItEEZZNS1_9scan_implILNS1_25lookback_scan_determinismE0ELb1ELb1ES3_N6thrust23THRUST_200600_302600_NS6detail15normal_iteratorINS9_10device_ptrItEEEESE_tNS9_4plusIvEEtEEDaPvRmT3_T4_T5_mT6_P12ihipStream_tbENKUlT_T0_E_clISt17integral_constantIbLb0EEST_IbLb1EEEEDaSP_SQ_EUlSP_E0_NS1_11comp_targetILNS1_3genE9ELNS1_11target_archE1100ELNS1_3gpuE3ELNS1_3repE0EEENS1_30default_config_static_selectorELNS0_4arch9wavefront6targetE1EEEvT1_
                                        ; -- End function
	.section	.AMDGPU.csdata,"",@progbits
; Kernel info:
; codeLenInByte = 0
; NumSgprs: 4
; NumVgprs: 0
; NumAgprs: 0
; TotalNumVgprs: 0
; ScratchSize: 0
; MemoryBound: 0
; FloatMode: 240
; IeeeMode: 1
; LDSByteSize: 0 bytes/workgroup (compile time only)
; SGPRBlocks: 0
; VGPRBlocks: 0
; NumSGPRsForWavesPerEU: 4
; NumVGPRsForWavesPerEU: 1
; AccumOffset: 4
; Occupancy: 8
; WaveLimiterHint : 0
; COMPUTE_PGM_RSRC2:SCRATCH_EN: 0
; COMPUTE_PGM_RSRC2:USER_SGPR: 6
; COMPUTE_PGM_RSRC2:TRAP_HANDLER: 0
; COMPUTE_PGM_RSRC2:TGID_X_EN: 1
; COMPUTE_PGM_RSRC2:TGID_Y_EN: 0
; COMPUTE_PGM_RSRC2:TGID_Z_EN: 0
; COMPUTE_PGM_RSRC2:TIDIG_COMP_CNT: 0
; COMPUTE_PGM_RSRC3_GFX90A:ACCUM_OFFSET: 0
; COMPUTE_PGM_RSRC3_GFX90A:TG_SPLIT: 0
	.section	.text._ZN7rocprim17ROCPRIM_400000_NS6detail17trampoline_kernelINS0_14default_configENS1_20scan_config_selectorItEEZZNS1_9scan_implILNS1_25lookback_scan_determinismE0ELb1ELb1ES3_N6thrust23THRUST_200600_302600_NS6detail15normal_iteratorINS9_10device_ptrItEEEESE_tNS9_4plusIvEEtEEDaPvRmT3_T4_T5_mT6_P12ihipStream_tbENKUlT_T0_E_clISt17integral_constantIbLb0EEST_IbLb1EEEEDaSP_SQ_EUlSP_E0_NS1_11comp_targetILNS1_3genE8ELNS1_11target_archE1030ELNS1_3gpuE2ELNS1_3repE0EEENS1_30default_config_static_selectorELNS0_4arch9wavefront6targetE1EEEvT1_,"axG",@progbits,_ZN7rocprim17ROCPRIM_400000_NS6detail17trampoline_kernelINS0_14default_configENS1_20scan_config_selectorItEEZZNS1_9scan_implILNS1_25lookback_scan_determinismE0ELb1ELb1ES3_N6thrust23THRUST_200600_302600_NS6detail15normal_iteratorINS9_10device_ptrItEEEESE_tNS9_4plusIvEEtEEDaPvRmT3_T4_T5_mT6_P12ihipStream_tbENKUlT_T0_E_clISt17integral_constantIbLb0EEST_IbLb1EEEEDaSP_SQ_EUlSP_E0_NS1_11comp_targetILNS1_3genE8ELNS1_11target_archE1030ELNS1_3gpuE2ELNS1_3repE0EEENS1_30default_config_static_selectorELNS0_4arch9wavefront6targetE1EEEvT1_,comdat
	.protected	_ZN7rocprim17ROCPRIM_400000_NS6detail17trampoline_kernelINS0_14default_configENS1_20scan_config_selectorItEEZZNS1_9scan_implILNS1_25lookback_scan_determinismE0ELb1ELb1ES3_N6thrust23THRUST_200600_302600_NS6detail15normal_iteratorINS9_10device_ptrItEEEESE_tNS9_4plusIvEEtEEDaPvRmT3_T4_T5_mT6_P12ihipStream_tbENKUlT_T0_E_clISt17integral_constantIbLb0EEST_IbLb1EEEEDaSP_SQ_EUlSP_E0_NS1_11comp_targetILNS1_3genE8ELNS1_11target_archE1030ELNS1_3gpuE2ELNS1_3repE0EEENS1_30default_config_static_selectorELNS0_4arch9wavefront6targetE1EEEvT1_ ; -- Begin function _ZN7rocprim17ROCPRIM_400000_NS6detail17trampoline_kernelINS0_14default_configENS1_20scan_config_selectorItEEZZNS1_9scan_implILNS1_25lookback_scan_determinismE0ELb1ELb1ES3_N6thrust23THRUST_200600_302600_NS6detail15normal_iteratorINS9_10device_ptrItEEEESE_tNS9_4plusIvEEtEEDaPvRmT3_T4_T5_mT6_P12ihipStream_tbENKUlT_T0_E_clISt17integral_constantIbLb0EEST_IbLb1EEEEDaSP_SQ_EUlSP_E0_NS1_11comp_targetILNS1_3genE8ELNS1_11target_archE1030ELNS1_3gpuE2ELNS1_3repE0EEENS1_30default_config_static_selectorELNS0_4arch9wavefront6targetE1EEEvT1_
	.globl	_ZN7rocprim17ROCPRIM_400000_NS6detail17trampoline_kernelINS0_14default_configENS1_20scan_config_selectorItEEZZNS1_9scan_implILNS1_25lookback_scan_determinismE0ELb1ELb1ES3_N6thrust23THRUST_200600_302600_NS6detail15normal_iteratorINS9_10device_ptrItEEEESE_tNS9_4plusIvEEtEEDaPvRmT3_T4_T5_mT6_P12ihipStream_tbENKUlT_T0_E_clISt17integral_constantIbLb0EEST_IbLb1EEEEDaSP_SQ_EUlSP_E0_NS1_11comp_targetILNS1_3genE8ELNS1_11target_archE1030ELNS1_3gpuE2ELNS1_3repE0EEENS1_30default_config_static_selectorELNS0_4arch9wavefront6targetE1EEEvT1_
	.p2align	8
	.type	_ZN7rocprim17ROCPRIM_400000_NS6detail17trampoline_kernelINS0_14default_configENS1_20scan_config_selectorItEEZZNS1_9scan_implILNS1_25lookback_scan_determinismE0ELb1ELb1ES3_N6thrust23THRUST_200600_302600_NS6detail15normal_iteratorINS9_10device_ptrItEEEESE_tNS9_4plusIvEEtEEDaPvRmT3_T4_T5_mT6_P12ihipStream_tbENKUlT_T0_E_clISt17integral_constantIbLb0EEST_IbLb1EEEEDaSP_SQ_EUlSP_E0_NS1_11comp_targetILNS1_3genE8ELNS1_11target_archE1030ELNS1_3gpuE2ELNS1_3repE0EEENS1_30default_config_static_selectorELNS0_4arch9wavefront6targetE1EEEvT1_,@function
_ZN7rocprim17ROCPRIM_400000_NS6detail17trampoline_kernelINS0_14default_configENS1_20scan_config_selectorItEEZZNS1_9scan_implILNS1_25lookback_scan_determinismE0ELb1ELb1ES3_N6thrust23THRUST_200600_302600_NS6detail15normal_iteratorINS9_10device_ptrItEEEESE_tNS9_4plusIvEEtEEDaPvRmT3_T4_T5_mT6_P12ihipStream_tbENKUlT_T0_E_clISt17integral_constantIbLb0EEST_IbLb1EEEEDaSP_SQ_EUlSP_E0_NS1_11comp_targetILNS1_3genE8ELNS1_11target_archE1030ELNS1_3gpuE2ELNS1_3repE0EEENS1_30default_config_static_selectorELNS0_4arch9wavefront6targetE1EEEvT1_: ; @_ZN7rocprim17ROCPRIM_400000_NS6detail17trampoline_kernelINS0_14default_configENS1_20scan_config_selectorItEEZZNS1_9scan_implILNS1_25lookback_scan_determinismE0ELb1ELb1ES3_N6thrust23THRUST_200600_302600_NS6detail15normal_iteratorINS9_10device_ptrItEEEESE_tNS9_4plusIvEEtEEDaPvRmT3_T4_T5_mT6_P12ihipStream_tbENKUlT_T0_E_clISt17integral_constantIbLb0EEST_IbLb1EEEEDaSP_SQ_EUlSP_E0_NS1_11comp_targetILNS1_3genE8ELNS1_11target_archE1030ELNS1_3gpuE2ELNS1_3repE0EEENS1_30default_config_static_selectorELNS0_4arch9wavefront6targetE1EEEvT1_
; %bb.0:
	.section	.rodata,"a",@progbits
	.p2align	6, 0x0
	.amdhsa_kernel _ZN7rocprim17ROCPRIM_400000_NS6detail17trampoline_kernelINS0_14default_configENS1_20scan_config_selectorItEEZZNS1_9scan_implILNS1_25lookback_scan_determinismE0ELb1ELb1ES3_N6thrust23THRUST_200600_302600_NS6detail15normal_iteratorINS9_10device_ptrItEEEESE_tNS9_4plusIvEEtEEDaPvRmT3_T4_T5_mT6_P12ihipStream_tbENKUlT_T0_E_clISt17integral_constantIbLb0EEST_IbLb1EEEEDaSP_SQ_EUlSP_E0_NS1_11comp_targetILNS1_3genE8ELNS1_11target_archE1030ELNS1_3gpuE2ELNS1_3repE0EEENS1_30default_config_static_selectorELNS0_4arch9wavefront6targetE1EEEvT1_
		.amdhsa_group_segment_fixed_size 0
		.amdhsa_private_segment_fixed_size 0
		.amdhsa_kernarg_size 32
		.amdhsa_user_sgpr_count 6
		.amdhsa_user_sgpr_private_segment_buffer 1
		.amdhsa_user_sgpr_dispatch_ptr 0
		.amdhsa_user_sgpr_queue_ptr 0
		.amdhsa_user_sgpr_kernarg_segment_ptr 1
		.amdhsa_user_sgpr_dispatch_id 0
		.amdhsa_user_sgpr_flat_scratch_init 0
		.amdhsa_user_sgpr_kernarg_preload_length 0
		.amdhsa_user_sgpr_kernarg_preload_offset 0
		.amdhsa_user_sgpr_private_segment_size 0
		.amdhsa_uses_dynamic_stack 0
		.amdhsa_system_sgpr_private_segment_wavefront_offset 0
		.amdhsa_system_sgpr_workgroup_id_x 1
		.amdhsa_system_sgpr_workgroup_id_y 0
		.amdhsa_system_sgpr_workgroup_id_z 0
		.amdhsa_system_sgpr_workgroup_info 0
		.amdhsa_system_vgpr_workitem_id 0
		.amdhsa_next_free_vgpr 1
		.amdhsa_next_free_sgpr 0
		.amdhsa_accum_offset 4
		.amdhsa_reserve_vcc 0
		.amdhsa_reserve_flat_scratch 0
		.amdhsa_float_round_mode_32 0
		.amdhsa_float_round_mode_16_64 0
		.amdhsa_float_denorm_mode_32 3
		.amdhsa_float_denorm_mode_16_64 3
		.amdhsa_dx10_clamp 1
		.amdhsa_ieee_mode 1
		.amdhsa_fp16_overflow 0
		.amdhsa_tg_split 0
		.amdhsa_exception_fp_ieee_invalid_op 0
		.amdhsa_exception_fp_denorm_src 0
		.amdhsa_exception_fp_ieee_div_zero 0
		.amdhsa_exception_fp_ieee_overflow 0
		.amdhsa_exception_fp_ieee_underflow 0
		.amdhsa_exception_fp_ieee_inexact 0
		.amdhsa_exception_int_div_zero 0
	.end_amdhsa_kernel
	.section	.text._ZN7rocprim17ROCPRIM_400000_NS6detail17trampoline_kernelINS0_14default_configENS1_20scan_config_selectorItEEZZNS1_9scan_implILNS1_25lookback_scan_determinismE0ELb1ELb1ES3_N6thrust23THRUST_200600_302600_NS6detail15normal_iteratorINS9_10device_ptrItEEEESE_tNS9_4plusIvEEtEEDaPvRmT3_T4_T5_mT6_P12ihipStream_tbENKUlT_T0_E_clISt17integral_constantIbLb0EEST_IbLb1EEEEDaSP_SQ_EUlSP_E0_NS1_11comp_targetILNS1_3genE8ELNS1_11target_archE1030ELNS1_3gpuE2ELNS1_3repE0EEENS1_30default_config_static_selectorELNS0_4arch9wavefront6targetE1EEEvT1_,"axG",@progbits,_ZN7rocprim17ROCPRIM_400000_NS6detail17trampoline_kernelINS0_14default_configENS1_20scan_config_selectorItEEZZNS1_9scan_implILNS1_25lookback_scan_determinismE0ELb1ELb1ES3_N6thrust23THRUST_200600_302600_NS6detail15normal_iteratorINS9_10device_ptrItEEEESE_tNS9_4plusIvEEtEEDaPvRmT3_T4_T5_mT6_P12ihipStream_tbENKUlT_T0_E_clISt17integral_constantIbLb0EEST_IbLb1EEEEDaSP_SQ_EUlSP_E0_NS1_11comp_targetILNS1_3genE8ELNS1_11target_archE1030ELNS1_3gpuE2ELNS1_3repE0EEENS1_30default_config_static_selectorELNS0_4arch9wavefront6targetE1EEEvT1_,comdat
.Lfunc_end4861:
	.size	_ZN7rocprim17ROCPRIM_400000_NS6detail17trampoline_kernelINS0_14default_configENS1_20scan_config_selectorItEEZZNS1_9scan_implILNS1_25lookback_scan_determinismE0ELb1ELb1ES3_N6thrust23THRUST_200600_302600_NS6detail15normal_iteratorINS9_10device_ptrItEEEESE_tNS9_4plusIvEEtEEDaPvRmT3_T4_T5_mT6_P12ihipStream_tbENKUlT_T0_E_clISt17integral_constantIbLb0EEST_IbLb1EEEEDaSP_SQ_EUlSP_E0_NS1_11comp_targetILNS1_3genE8ELNS1_11target_archE1030ELNS1_3gpuE2ELNS1_3repE0EEENS1_30default_config_static_selectorELNS0_4arch9wavefront6targetE1EEEvT1_, .Lfunc_end4861-_ZN7rocprim17ROCPRIM_400000_NS6detail17trampoline_kernelINS0_14default_configENS1_20scan_config_selectorItEEZZNS1_9scan_implILNS1_25lookback_scan_determinismE0ELb1ELb1ES3_N6thrust23THRUST_200600_302600_NS6detail15normal_iteratorINS9_10device_ptrItEEEESE_tNS9_4plusIvEEtEEDaPvRmT3_T4_T5_mT6_P12ihipStream_tbENKUlT_T0_E_clISt17integral_constantIbLb0EEST_IbLb1EEEEDaSP_SQ_EUlSP_E0_NS1_11comp_targetILNS1_3genE8ELNS1_11target_archE1030ELNS1_3gpuE2ELNS1_3repE0EEENS1_30default_config_static_selectorELNS0_4arch9wavefront6targetE1EEEvT1_
                                        ; -- End function
	.section	.AMDGPU.csdata,"",@progbits
; Kernel info:
; codeLenInByte = 0
; NumSgprs: 4
; NumVgprs: 0
; NumAgprs: 0
; TotalNumVgprs: 0
; ScratchSize: 0
; MemoryBound: 0
; FloatMode: 240
; IeeeMode: 1
; LDSByteSize: 0 bytes/workgroup (compile time only)
; SGPRBlocks: 0
; VGPRBlocks: 0
; NumSGPRsForWavesPerEU: 4
; NumVGPRsForWavesPerEU: 1
; AccumOffset: 4
; Occupancy: 8
; WaveLimiterHint : 0
; COMPUTE_PGM_RSRC2:SCRATCH_EN: 0
; COMPUTE_PGM_RSRC2:USER_SGPR: 6
; COMPUTE_PGM_RSRC2:TRAP_HANDLER: 0
; COMPUTE_PGM_RSRC2:TGID_X_EN: 1
; COMPUTE_PGM_RSRC2:TGID_Y_EN: 0
; COMPUTE_PGM_RSRC2:TGID_Z_EN: 0
; COMPUTE_PGM_RSRC2:TIDIG_COMP_CNT: 0
; COMPUTE_PGM_RSRC3_GFX90A:ACCUM_OFFSET: 0
; COMPUTE_PGM_RSRC3_GFX90A:TG_SPLIT: 0
	.section	.text._ZN7rocprim17ROCPRIM_400000_NS6detail17trampoline_kernelINS0_14default_configENS1_20scan_config_selectorIdEEZZNS1_9scan_implILNS1_25lookback_scan_determinismE0ELb0ELb0ES3_N6thrust23THRUST_200600_302600_NS6detail15normal_iteratorINS9_10device_ptrIdEEEENS9_16discard_iteratorINS9_11use_defaultEEEdNS9_4plusIvEEdEEDaPvRmT3_T4_T5_mT6_P12ihipStream_tbENKUlT_T0_E_clISt17integral_constantIbLb0EESX_EEDaSS_ST_EUlSS_E_NS1_11comp_targetILNS1_3genE0ELNS1_11target_archE4294967295ELNS1_3gpuE0ELNS1_3repE0EEENS1_30default_config_static_selectorELNS0_4arch9wavefront6targetE1EEEvT1_,"axG",@progbits,_ZN7rocprim17ROCPRIM_400000_NS6detail17trampoline_kernelINS0_14default_configENS1_20scan_config_selectorIdEEZZNS1_9scan_implILNS1_25lookback_scan_determinismE0ELb0ELb0ES3_N6thrust23THRUST_200600_302600_NS6detail15normal_iteratorINS9_10device_ptrIdEEEENS9_16discard_iteratorINS9_11use_defaultEEEdNS9_4plusIvEEdEEDaPvRmT3_T4_T5_mT6_P12ihipStream_tbENKUlT_T0_E_clISt17integral_constantIbLb0EESX_EEDaSS_ST_EUlSS_E_NS1_11comp_targetILNS1_3genE0ELNS1_11target_archE4294967295ELNS1_3gpuE0ELNS1_3repE0EEENS1_30default_config_static_selectorELNS0_4arch9wavefront6targetE1EEEvT1_,comdat
	.protected	_ZN7rocprim17ROCPRIM_400000_NS6detail17trampoline_kernelINS0_14default_configENS1_20scan_config_selectorIdEEZZNS1_9scan_implILNS1_25lookback_scan_determinismE0ELb0ELb0ES3_N6thrust23THRUST_200600_302600_NS6detail15normal_iteratorINS9_10device_ptrIdEEEENS9_16discard_iteratorINS9_11use_defaultEEEdNS9_4plusIvEEdEEDaPvRmT3_T4_T5_mT6_P12ihipStream_tbENKUlT_T0_E_clISt17integral_constantIbLb0EESX_EEDaSS_ST_EUlSS_E_NS1_11comp_targetILNS1_3genE0ELNS1_11target_archE4294967295ELNS1_3gpuE0ELNS1_3repE0EEENS1_30default_config_static_selectorELNS0_4arch9wavefront6targetE1EEEvT1_ ; -- Begin function _ZN7rocprim17ROCPRIM_400000_NS6detail17trampoline_kernelINS0_14default_configENS1_20scan_config_selectorIdEEZZNS1_9scan_implILNS1_25lookback_scan_determinismE0ELb0ELb0ES3_N6thrust23THRUST_200600_302600_NS6detail15normal_iteratorINS9_10device_ptrIdEEEENS9_16discard_iteratorINS9_11use_defaultEEEdNS9_4plusIvEEdEEDaPvRmT3_T4_T5_mT6_P12ihipStream_tbENKUlT_T0_E_clISt17integral_constantIbLb0EESX_EEDaSS_ST_EUlSS_E_NS1_11comp_targetILNS1_3genE0ELNS1_11target_archE4294967295ELNS1_3gpuE0ELNS1_3repE0EEENS1_30default_config_static_selectorELNS0_4arch9wavefront6targetE1EEEvT1_
	.globl	_ZN7rocprim17ROCPRIM_400000_NS6detail17trampoline_kernelINS0_14default_configENS1_20scan_config_selectorIdEEZZNS1_9scan_implILNS1_25lookback_scan_determinismE0ELb0ELb0ES3_N6thrust23THRUST_200600_302600_NS6detail15normal_iteratorINS9_10device_ptrIdEEEENS9_16discard_iteratorINS9_11use_defaultEEEdNS9_4plusIvEEdEEDaPvRmT3_T4_T5_mT6_P12ihipStream_tbENKUlT_T0_E_clISt17integral_constantIbLb0EESX_EEDaSS_ST_EUlSS_E_NS1_11comp_targetILNS1_3genE0ELNS1_11target_archE4294967295ELNS1_3gpuE0ELNS1_3repE0EEENS1_30default_config_static_selectorELNS0_4arch9wavefront6targetE1EEEvT1_
	.p2align	8
	.type	_ZN7rocprim17ROCPRIM_400000_NS6detail17trampoline_kernelINS0_14default_configENS1_20scan_config_selectorIdEEZZNS1_9scan_implILNS1_25lookback_scan_determinismE0ELb0ELb0ES3_N6thrust23THRUST_200600_302600_NS6detail15normal_iteratorINS9_10device_ptrIdEEEENS9_16discard_iteratorINS9_11use_defaultEEEdNS9_4plusIvEEdEEDaPvRmT3_T4_T5_mT6_P12ihipStream_tbENKUlT_T0_E_clISt17integral_constantIbLb0EESX_EEDaSS_ST_EUlSS_E_NS1_11comp_targetILNS1_3genE0ELNS1_11target_archE4294967295ELNS1_3gpuE0ELNS1_3repE0EEENS1_30default_config_static_selectorELNS0_4arch9wavefront6targetE1EEEvT1_,@function
_ZN7rocprim17ROCPRIM_400000_NS6detail17trampoline_kernelINS0_14default_configENS1_20scan_config_selectorIdEEZZNS1_9scan_implILNS1_25lookback_scan_determinismE0ELb0ELb0ES3_N6thrust23THRUST_200600_302600_NS6detail15normal_iteratorINS9_10device_ptrIdEEEENS9_16discard_iteratorINS9_11use_defaultEEEdNS9_4plusIvEEdEEDaPvRmT3_T4_T5_mT6_P12ihipStream_tbENKUlT_T0_E_clISt17integral_constantIbLb0EESX_EEDaSS_ST_EUlSS_E_NS1_11comp_targetILNS1_3genE0ELNS1_11target_archE4294967295ELNS1_3gpuE0ELNS1_3repE0EEENS1_30default_config_static_selectorELNS0_4arch9wavefront6targetE1EEEvT1_: ; @_ZN7rocprim17ROCPRIM_400000_NS6detail17trampoline_kernelINS0_14default_configENS1_20scan_config_selectorIdEEZZNS1_9scan_implILNS1_25lookback_scan_determinismE0ELb0ELb0ES3_N6thrust23THRUST_200600_302600_NS6detail15normal_iteratorINS9_10device_ptrIdEEEENS9_16discard_iteratorINS9_11use_defaultEEEdNS9_4plusIvEEdEEDaPvRmT3_T4_T5_mT6_P12ihipStream_tbENKUlT_T0_E_clISt17integral_constantIbLb0EESX_EEDaSS_ST_EUlSS_E_NS1_11comp_targetILNS1_3genE0ELNS1_11target_archE4294967295ELNS1_3gpuE0ELNS1_3repE0EEENS1_30default_config_static_selectorELNS0_4arch9wavefront6targetE1EEEvT1_
; %bb.0:
	.section	.rodata,"a",@progbits
	.p2align	6, 0x0
	.amdhsa_kernel _ZN7rocprim17ROCPRIM_400000_NS6detail17trampoline_kernelINS0_14default_configENS1_20scan_config_selectorIdEEZZNS1_9scan_implILNS1_25lookback_scan_determinismE0ELb0ELb0ES3_N6thrust23THRUST_200600_302600_NS6detail15normal_iteratorINS9_10device_ptrIdEEEENS9_16discard_iteratorINS9_11use_defaultEEEdNS9_4plusIvEEdEEDaPvRmT3_T4_T5_mT6_P12ihipStream_tbENKUlT_T0_E_clISt17integral_constantIbLb0EESX_EEDaSS_ST_EUlSS_E_NS1_11comp_targetILNS1_3genE0ELNS1_11target_archE4294967295ELNS1_3gpuE0ELNS1_3repE0EEENS1_30default_config_static_selectorELNS0_4arch9wavefront6targetE1EEEvT1_
		.amdhsa_group_segment_fixed_size 0
		.amdhsa_private_segment_fixed_size 0
		.amdhsa_kernarg_size 112
		.amdhsa_user_sgpr_count 6
		.amdhsa_user_sgpr_private_segment_buffer 1
		.amdhsa_user_sgpr_dispatch_ptr 0
		.amdhsa_user_sgpr_queue_ptr 0
		.amdhsa_user_sgpr_kernarg_segment_ptr 1
		.amdhsa_user_sgpr_dispatch_id 0
		.amdhsa_user_sgpr_flat_scratch_init 0
		.amdhsa_user_sgpr_kernarg_preload_length 0
		.amdhsa_user_sgpr_kernarg_preload_offset 0
		.amdhsa_user_sgpr_private_segment_size 0
		.amdhsa_uses_dynamic_stack 0
		.amdhsa_system_sgpr_private_segment_wavefront_offset 0
		.amdhsa_system_sgpr_workgroup_id_x 1
		.amdhsa_system_sgpr_workgroup_id_y 0
		.amdhsa_system_sgpr_workgroup_id_z 0
		.amdhsa_system_sgpr_workgroup_info 0
		.amdhsa_system_vgpr_workitem_id 0
		.amdhsa_next_free_vgpr 1
		.amdhsa_next_free_sgpr 0
		.amdhsa_accum_offset 4
		.amdhsa_reserve_vcc 0
		.amdhsa_reserve_flat_scratch 0
		.amdhsa_float_round_mode_32 0
		.amdhsa_float_round_mode_16_64 0
		.amdhsa_float_denorm_mode_32 3
		.amdhsa_float_denorm_mode_16_64 3
		.amdhsa_dx10_clamp 1
		.amdhsa_ieee_mode 1
		.amdhsa_fp16_overflow 0
		.amdhsa_tg_split 0
		.amdhsa_exception_fp_ieee_invalid_op 0
		.amdhsa_exception_fp_denorm_src 0
		.amdhsa_exception_fp_ieee_div_zero 0
		.amdhsa_exception_fp_ieee_overflow 0
		.amdhsa_exception_fp_ieee_underflow 0
		.amdhsa_exception_fp_ieee_inexact 0
		.amdhsa_exception_int_div_zero 0
	.end_amdhsa_kernel
	.section	.text._ZN7rocprim17ROCPRIM_400000_NS6detail17trampoline_kernelINS0_14default_configENS1_20scan_config_selectorIdEEZZNS1_9scan_implILNS1_25lookback_scan_determinismE0ELb0ELb0ES3_N6thrust23THRUST_200600_302600_NS6detail15normal_iteratorINS9_10device_ptrIdEEEENS9_16discard_iteratorINS9_11use_defaultEEEdNS9_4plusIvEEdEEDaPvRmT3_T4_T5_mT6_P12ihipStream_tbENKUlT_T0_E_clISt17integral_constantIbLb0EESX_EEDaSS_ST_EUlSS_E_NS1_11comp_targetILNS1_3genE0ELNS1_11target_archE4294967295ELNS1_3gpuE0ELNS1_3repE0EEENS1_30default_config_static_selectorELNS0_4arch9wavefront6targetE1EEEvT1_,"axG",@progbits,_ZN7rocprim17ROCPRIM_400000_NS6detail17trampoline_kernelINS0_14default_configENS1_20scan_config_selectorIdEEZZNS1_9scan_implILNS1_25lookback_scan_determinismE0ELb0ELb0ES3_N6thrust23THRUST_200600_302600_NS6detail15normal_iteratorINS9_10device_ptrIdEEEENS9_16discard_iteratorINS9_11use_defaultEEEdNS9_4plusIvEEdEEDaPvRmT3_T4_T5_mT6_P12ihipStream_tbENKUlT_T0_E_clISt17integral_constantIbLb0EESX_EEDaSS_ST_EUlSS_E_NS1_11comp_targetILNS1_3genE0ELNS1_11target_archE4294967295ELNS1_3gpuE0ELNS1_3repE0EEENS1_30default_config_static_selectorELNS0_4arch9wavefront6targetE1EEEvT1_,comdat
.Lfunc_end4862:
	.size	_ZN7rocprim17ROCPRIM_400000_NS6detail17trampoline_kernelINS0_14default_configENS1_20scan_config_selectorIdEEZZNS1_9scan_implILNS1_25lookback_scan_determinismE0ELb0ELb0ES3_N6thrust23THRUST_200600_302600_NS6detail15normal_iteratorINS9_10device_ptrIdEEEENS9_16discard_iteratorINS9_11use_defaultEEEdNS9_4plusIvEEdEEDaPvRmT3_T4_T5_mT6_P12ihipStream_tbENKUlT_T0_E_clISt17integral_constantIbLb0EESX_EEDaSS_ST_EUlSS_E_NS1_11comp_targetILNS1_3genE0ELNS1_11target_archE4294967295ELNS1_3gpuE0ELNS1_3repE0EEENS1_30default_config_static_selectorELNS0_4arch9wavefront6targetE1EEEvT1_, .Lfunc_end4862-_ZN7rocprim17ROCPRIM_400000_NS6detail17trampoline_kernelINS0_14default_configENS1_20scan_config_selectorIdEEZZNS1_9scan_implILNS1_25lookback_scan_determinismE0ELb0ELb0ES3_N6thrust23THRUST_200600_302600_NS6detail15normal_iteratorINS9_10device_ptrIdEEEENS9_16discard_iteratorINS9_11use_defaultEEEdNS9_4plusIvEEdEEDaPvRmT3_T4_T5_mT6_P12ihipStream_tbENKUlT_T0_E_clISt17integral_constantIbLb0EESX_EEDaSS_ST_EUlSS_E_NS1_11comp_targetILNS1_3genE0ELNS1_11target_archE4294967295ELNS1_3gpuE0ELNS1_3repE0EEENS1_30default_config_static_selectorELNS0_4arch9wavefront6targetE1EEEvT1_
                                        ; -- End function
	.section	.AMDGPU.csdata,"",@progbits
; Kernel info:
; codeLenInByte = 0
; NumSgprs: 4
; NumVgprs: 0
; NumAgprs: 0
; TotalNumVgprs: 0
; ScratchSize: 0
; MemoryBound: 0
; FloatMode: 240
; IeeeMode: 1
; LDSByteSize: 0 bytes/workgroup (compile time only)
; SGPRBlocks: 0
; VGPRBlocks: 0
; NumSGPRsForWavesPerEU: 4
; NumVGPRsForWavesPerEU: 1
; AccumOffset: 4
; Occupancy: 8
; WaveLimiterHint : 0
; COMPUTE_PGM_RSRC2:SCRATCH_EN: 0
; COMPUTE_PGM_RSRC2:USER_SGPR: 6
; COMPUTE_PGM_RSRC2:TRAP_HANDLER: 0
; COMPUTE_PGM_RSRC2:TGID_X_EN: 1
; COMPUTE_PGM_RSRC2:TGID_Y_EN: 0
; COMPUTE_PGM_RSRC2:TGID_Z_EN: 0
; COMPUTE_PGM_RSRC2:TIDIG_COMP_CNT: 0
; COMPUTE_PGM_RSRC3_GFX90A:ACCUM_OFFSET: 0
; COMPUTE_PGM_RSRC3_GFX90A:TG_SPLIT: 0
	.section	.text._ZN7rocprim17ROCPRIM_400000_NS6detail17trampoline_kernelINS0_14default_configENS1_20scan_config_selectorIdEEZZNS1_9scan_implILNS1_25lookback_scan_determinismE0ELb0ELb0ES3_N6thrust23THRUST_200600_302600_NS6detail15normal_iteratorINS9_10device_ptrIdEEEENS9_16discard_iteratorINS9_11use_defaultEEEdNS9_4plusIvEEdEEDaPvRmT3_T4_T5_mT6_P12ihipStream_tbENKUlT_T0_E_clISt17integral_constantIbLb0EESX_EEDaSS_ST_EUlSS_E_NS1_11comp_targetILNS1_3genE5ELNS1_11target_archE942ELNS1_3gpuE9ELNS1_3repE0EEENS1_30default_config_static_selectorELNS0_4arch9wavefront6targetE1EEEvT1_,"axG",@progbits,_ZN7rocprim17ROCPRIM_400000_NS6detail17trampoline_kernelINS0_14default_configENS1_20scan_config_selectorIdEEZZNS1_9scan_implILNS1_25lookback_scan_determinismE0ELb0ELb0ES3_N6thrust23THRUST_200600_302600_NS6detail15normal_iteratorINS9_10device_ptrIdEEEENS9_16discard_iteratorINS9_11use_defaultEEEdNS9_4plusIvEEdEEDaPvRmT3_T4_T5_mT6_P12ihipStream_tbENKUlT_T0_E_clISt17integral_constantIbLb0EESX_EEDaSS_ST_EUlSS_E_NS1_11comp_targetILNS1_3genE5ELNS1_11target_archE942ELNS1_3gpuE9ELNS1_3repE0EEENS1_30default_config_static_selectorELNS0_4arch9wavefront6targetE1EEEvT1_,comdat
	.protected	_ZN7rocprim17ROCPRIM_400000_NS6detail17trampoline_kernelINS0_14default_configENS1_20scan_config_selectorIdEEZZNS1_9scan_implILNS1_25lookback_scan_determinismE0ELb0ELb0ES3_N6thrust23THRUST_200600_302600_NS6detail15normal_iteratorINS9_10device_ptrIdEEEENS9_16discard_iteratorINS9_11use_defaultEEEdNS9_4plusIvEEdEEDaPvRmT3_T4_T5_mT6_P12ihipStream_tbENKUlT_T0_E_clISt17integral_constantIbLb0EESX_EEDaSS_ST_EUlSS_E_NS1_11comp_targetILNS1_3genE5ELNS1_11target_archE942ELNS1_3gpuE9ELNS1_3repE0EEENS1_30default_config_static_selectorELNS0_4arch9wavefront6targetE1EEEvT1_ ; -- Begin function _ZN7rocprim17ROCPRIM_400000_NS6detail17trampoline_kernelINS0_14default_configENS1_20scan_config_selectorIdEEZZNS1_9scan_implILNS1_25lookback_scan_determinismE0ELb0ELb0ES3_N6thrust23THRUST_200600_302600_NS6detail15normal_iteratorINS9_10device_ptrIdEEEENS9_16discard_iteratorINS9_11use_defaultEEEdNS9_4plusIvEEdEEDaPvRmT3_T4_T5_mT6_P12ihipStream_tbENKUlT_T0_E_clISt17integral_constantIbLb0EESX_EEDaSS_ST_EUlSS_E_NS1_11comp_targetILNS1_3genE5ELNS1_11target_archE942ELNS1_3gpuE9ELNS1_3repE0EEENS1_30default_config_static_selectorELNS0_4arch9wavefront6targetE1EEEvT1_
	.globl	_ZN7rocprim17ROCPRIM_400000_NS6detail17trampoline_kernelINS0_14default_configENS1_20scan_config_selectorIdEEZZNS1_9scan_implILNS1_25lookback_scan_determinismE0ELb0ELb0ES3_N6thrust23THRUST_200600_302600_NS6detail15normal_iteratorINS9_10device_ptrIdEEEENS9_16discard_iteratorINS9_11use_defaultEEEdNS9_4plusIvEEdEEDaPvRmT3_T4_T5_mT6_P12ihipStream_tbENKUlT_T0_E_clISt17integral_constantIbLb0EESX_EEDaSS_ST_EUlSS_E_NS1_11comp_targetILNS1_3genE5ELNS1_11target_archE942ELNS1_3gpuE9ELNS1_3repE0EEENS1_30default_config_static_selectorELNS0_4arch9wavefront6targetE1EEEvT1_
	.p2align	8
	.type	_ZN7rocprim17ROCPRIM_400000_NS6detail17trampoline_kernelINS0_14default_configENS1_20scan_config_selectorIdEEZZNS1_9scan_implILNS1_25lookback_scan_determinismE0ELb0ELb0ES3_N6thrust23THRUST_200600_302600_NS6detail15normal_iteratorINS9_10device_ptrIdEEEENS9_16discard_iteratorINS9_11use_defaultEEEdNS9_4plusIvEEdEEDaPvRmT3_T4_T5_mT6_P12ihipStream_tbENKUlT_T0_E_clISt17integral_constantIbLb0EESX_EEDaSS_ST_EUlSS_E_NS1_11comp_targetILNS1_3genE5ELNS1_11target_archE942ELNS1_3gpuE9ELNS1_3repE0EEENS1_30default_config_static_selectorELNS0_4arch9wavefront6targetE1EEEvT1_,@function
_ZN7rocprim17ROCPRIM_400000_NS6detail17trampoline_kernelINS0_14default_configENS1_20scan_config_selectorIdEEZZNS1_9scan_implILNS1_25lookback_scan_determinismE0ELb0ELb0ES3_N6thrust23THRUST_200600_302600_NS6detail15normal_iteratorINS9_10device_ptrIdEEEENS9_16discard_iteratorINS9_11use_defaultEEEdNS9_4plusIvEEdEEDaPvRmT3_T4_T5_mT6_P12ihipStream_tbENKUlT_T0_E_clISt17integral_constantIbLb0EESX_EEDaSS_ST_EUlSS_E_NS1_11comp_targetILNS1_3genE5ELNS1_11target_archE942ELNS1_3gpuE9ELNS1_3repE0EEENS1_30default_config_static_selectorELNS0_4arch9wavefront6targetE1EEEvT1_: ; @_ZN7rocprim17ROCPRIM_400000_NS6detail17trampoline_kernelINS0_14default_configENS1_20scan_config_selectorIdEEZZNS1_9scan_implILNS1_25lookback_scan_determinismE0ELb0ELb0ES3_N6thrust23THRUST_200600_302600_NS6detail15normal_iteratorINS9_10device_ptrIdEEEENS9_16discard_iteratorINS9_11use_defaultEEEdNS9_4plusIvEEdEEDaPvRmT3_T4_T5_mT6_P12ihipStream_tbENKUlT_T0_E_clISt17integral_constantIbLb0EESX_EEDaSS_ST_EUlSS_E_NS1_11comp_targetILNS1_3genE5ELNS1_11target_archE942ELNS1_3gpuE9ELNS1_3repE0EEENS1_30default_config_static_selectorELNS0_4arch9wavefront6targetE1EEEvT1_
; %bb.0:
	.section	.rodata,"a",@progbits
	.p2align	6, 0x0
	.amdhsa_kernel _ZN7rocprim17ROCPRIM_400000_NS6detail17trampoline_kernelINS0_14default_configENS1_20scan_config_selectorIdEEZZNS1_9scan_implILNS1_25lookback_scan_determinismE0ELb0ELb0ES3_N6thrust23THRUST_200600_302600_NS6detail15normal_iteratorINS9_10device_ptrIdEEEENS9_16discard_iteratorINS9_11use_defaultEEEdNS9_4plusIvEEdEEDaPvRmT3_T4_T5_mT6_P12ihipStream_tbENKUlT_T0_E_clISt17integral_constantIbLb0EESX_EEDaSS_ST_EUlSS_E_NS1_11comp_targetILNS1_3genE5ELNS1_11target_archE942ELNS1_3gpuE9ELNS1_3repE0EEENS1_30default_config_static_selectorELNS0_4arch9wavefront6targetE1EEEvT1_
		.amdhsa_group_segment_fixed_size 0
		.amdhsa_private_segment_fixed_size 0
		.amdhsa_kernarg_size 112
		.amdhsa_user_sgpr_count 6
		.amdhsa_user_sgpr_private_segment_buffer 1
		.amdhsa_user_sgpr_dispatch_ptr 0
		.amdhsa_user_sgpr_queue_ptr 0
		.amdhsa_user_sgpr_kernarg_segment_ptr 1
		.amdhsa_user_sgpr_dispatch_id 0
		.amdhsa_user_sgpr_flat_scratch_init 0
		.amdhsa_user_sgpr_kernarg_preload_length 0
		.amdhsa_user_sgpr_kernarg_preload_offset 0
		.amdhsa_user_sgpr_private_segment_size 0
		.amdhsa_uses_dynamic_stack 0
		.amdhsa_system_sgpr_private_segment_wavefront_offset 0
		.amdhsa_system_sgpr_workgroup_id_x 1
		.amdhsa_system_sgpr_workgroup_id_y 0
		.amdhsa_system_sgpr_workgroup_id_z 0
		.amdhsa_system_sgpr_workgroup_info 0
		.amdhsa_system_vgpr_workitem_id 0
		.amdhsa_next_free_vgpr 1
		.amdhsa_next_free_sgpr 0
		.amdhsa_accum_offset 4
		.amdhsa_reserve_vcc 0
		.amdhsa_reserve_flat_scratch 0
		.amdhsa_float_round_mode_32 0
		.amdhsa_float_round_mode_16_64 0
		.amdhsa_float_denorm_mode_32 3
		.amdhsa_float_denorm_mode_16_64 3
		.amdhsa_dx10_clamp 1
		.amdhsa_ieee_mode 1
		.amdhsa_fp16_overflow 0
		.amdhsa_tg_split 0
		.amdhsa_exception_fp_ieee_invalid_op 0
		.amdhsa_exception_fp_denorm_src 0
		.amdhsa_exception_fp_ieee_div_zero 0
		.amdhsa_exception_fp_ieee_overflow 0
		.amdhsa_exception_fp_ieee_underflow 0
		.amdhsa_exception_fp_ieee_inexact 0
		.amdhsa_exception_int_div_zero 0
	.end_amdhsa_kernel
	.section	.text._ZN7rocprim17ROCPRIM_400000_NS6detail17trampoline_kernelINS0_14default_configENS1_20scan_config_selectorIdEEZZNS1_9scan_implILNS1_25lookback_scan_determinismE0ELb0ELb0ES3_N6thrust23THRUST_200600_302600_NS6detail15normal_iteratorINS9_10device_ptrIdEEEENS9_16discard_iteratorINS9_11use_defaultEEEdNS9_4plusIvEEdEEDaPvRmT3_T4_T5_mT6_P12ihipStream_tbENKUlT_T0_E_clISt17integral_constantIbLb0EESX_EEDaSS_ST_EUlSS_E_NS1_11comp_targetILNS1_3genE5ELNS1_11target_archE942ELNS1_3gpuE9ELNS1_3repE0EEENS1_30default_config_static_selectorELNS0_4arch9wavefront6targetE1EEEvT1_,"axG",@progbits,_ZN7rocprim17ROCPRIM_400000_NS6detail17trampoline_kernelINS0_14default_configENS1_20scan_config_selectorIdEEZZNS1_9scan_implILNS1_25lookback_scan_determinismE0ELb0ELb0ES3_N6thrust23THRUST_200600_302600_NS6detail15normal_iteratorINS9_10device_ptrIdEEEENS9_16discard_iteratorINS9_11use_defaultEEEdNS9_4plusIvEEdEEDaPvRmT3_T4_T5_mT6_P12ihipStream_tbENKUlT_T0_E_clISt17integral_constantIbLb0EESX_EEDaSS_ST_EUlSS_E_NS1_11comp_targetILNS1_3genE5ELNS1_11target_archE942ELNS1_3gpuE9ELNS1_3repE0EEENS1_30default_config_static_selectorELNS0_4arch9wavefront6targetE1EEEvT1_,comdat
.Lfunc_end4863:
	.size	_ZN7rocprim17ROCPRIM_400000_NS6detail17trampoline_kernelINS0_14default_configENS1_20scan_config_selectorIdEEZZNS1_9scan_implILNS1_25lookback_scan_determinismE0ELb0ELb0ES3_N6thrust23THRUST_200600_302600_NS6detail15normal_iteratorINS9_10device_ptrIdEEEENS9_16discard_iteratorINS9_11use_defaultEEEdNS9_4plusIvEEdEEDaPvRmT3_T4_T5_mT6_P12ihipStream_tbENKUlT_T0_E_clISt17integral_constantIbLb0EESX_EEDaSS_ST_EUlSS_E_NS1_11comp_targetILNS1_3genE5ELNS1_11target_archE942ELNS1_3gpuE9ELNS1_3repE0EEENS1_30default_config_static_selectorELNS0_4arch9wavefront6targetE1EEEvT1_, .Lfunc_end4863-_ZN7rocprim17ROCPRIM_400000_NS6detail17trampoline_kernelINS0_14default_configENS1_20scan_config_selectorIdEEZZNS1_9scan_implILNS1_25lookback_scan_determinismE0ELb0ELb0ES3_N6thrust23THRUST_200600_302600_NS6detail15normal_iteratorINS9_10device_ptrIdEEEENS9_16discard_iteratorINS9_11use_defaultEEEdNS9_4plusIvEEdEEDaPvRmT3_T4_T5_mT6_P12ihipStream_tbENKUlT_T0_E_clISt17integral_constantIbLb0EESX_EEDaSS_ST_EUlSS_E_NS1_11comp_targetILNS1_3genE5ELNS1_11target_archE942ELNS1_3gpuE9ELNS1_3repE0EEENS1_30default_config_static_selectorELNS0_4arch9wavefront6targetE1EEEvT1_
                                        ; -- End function
	.section	.AMDGPU.csdata,"",@progbits
; Kernel info:
; codeLenInByte = 0
; NumSgprs: 4
; NumVgprs: 0
; NumAgprs: 0
; TotalNumVgprs: 0
; ScratchSize: 0
; MemoryBound: 0
; FloatMode: 240
; IeeeMode: 1
; LDSByteSize: 0 bytes/workgroup (compile time only)
; SGPRBlocks: 0
; VGPRBlocks: 0
; NumSGPRsForWavesPerEU: 4
; NumVGPRsForWavesPerEU: 1
; AccumOffset: 4
; Occupancy: 8
; WaveLimiterHint : 0
; COMPUTE_PGM_RSRC2:SCRATCH_EN: 0
; COMPUTE_PGM_RSRC2:USER_SGPR: 6
; COMPUTE_PGM_RSRC2:TRAP_HANDLER: 0
; COMPUTE_PGM_RSRC2:TGID_X_EN: 1
; COMPUTE_PGM_RSRC2:TGID_Y_EN: 0
; COMPUTE_PGM_RSRC2:TGID_Z_EN: 0
; COMPUTE_PGM_RSRC2:TIDIG_COMP_CNT: 0
; COMPUTE_PGM_RSRC3_GFX90A:ACCUM_OFFSET: 0
; COMPUTE_PGM_RSRC3_GFX90A:TG_SPLIT: 0
	.section	.text._ZN7rocprim17ROCPRIM_400000_NS6detail17trampoline_kernelINS0_14default_configENS1_20scan_config_selectorIdEEZZNS1_9scan_implILNS1_25lookback_scan_determinismE0ELb0ELb0ES3_N6thrust23THRUST_200600_302600_NS6detail15normal_iteratorINS9_10device_ptrIdEEEENS9_16discard_iteratorINS9_11use_defaultEEEdNS9_4plusIvEEdEEDaPvRmT3_T4_T5_mT6_P12ihipStream_tbENKUlT_T0_E_clISt17integral_constantIbLb0EESX_EEDaSS_ST_EUlSS_E_NS1_11comp_targetILNS1_3genE4ELNS1_11target_archE910ELNS1_3gpuE8ELNS1_3repE0EEENS1_30default_config_static_selectorELNS0_4arch9wavefront6targetE1EEEvT1_,"axG",@progbits,_ZN7rocprim17ROCPRIM_400000_NS6detail17trampoline_kernelINS0_14default_configENS1_20scan_config_selectorIdEEZZNS1_9scan_implILNS1_25lookback_scan_determinismE0ELb0ELb0ES3_N6thrust23THRUST_200600_302600_NS6detail15normal_iteratorINS9_10device_ptrIdEEEENS9_16discard_iteratorINS9_11use_defaultEEEdNS9_4plusIvEEdEEDaPvRmT3_T4_T5_mT6_P12ihipStream_tbENKUlT_T0_E_clISt17integral_constantIbLb0EESX_EEDaSS_ST_EUlSS_E_NS1_11comp_targetILNS1_3genE4ELNS1_11target_archE910ELNS1_3gpuE8ELNS1_3repE0EEENS1_30default_config_static_selectorELNS0_4arch9wavefront6targetE1EEEvT1_,comdat
	.protected	_ZN7rocprim17ROCPRIM_400000_NS6detail17trampoline_kernelINS0_14default_configENS1_20scan_config_selectorIdEEZZNS1_9scan_implILNS1_25lookback_scan_determinismE0ELb0ELb0ES3_N6thrust23THRUST_200600_302600_NS6detail15normal_iteratorINS9_10device_ptrIdEEEENS9_16discard_iteratorINS9_11use_defaultEEEdNS9_4plusIvEEdEEDaPvRmT3_T4_T5_mT6_P12ihipStream_tbENKUlT_T0_E_clISt17integral_constantIbLb0EESX_EEDaSS_ST_EUlSS_E_NS1_11comp_targetILNS1_3genE4ELNS1_11target_archE910ELNS1_3gpuE8ELNS1_3repE0EEENS1_30default_config_static_selectorELNS0_4arch9wavefront6targetE1EEEvT1_ ; -- Begin function _ZN7rocprim17ROCPRIM_400000_NS6detail17trampoline_kernelINS0_14default_configENS1_20scan_config_selectorIdEEZZNS1_9scan_implILNS1_25lookback_scan_determinismE0ELb0ELb0ES3_N6thrust23THRUST_200600_302600_NS6detail15normal_iteratorINS9_10device_ptrIdEEEENS9_16discard_iteratorINS9_11use_defaultEEEdNS9_4plusIvEEdEEDaPvRmT3_T4_T5_mT6_P12ihipStream_tbENKUlT_T0_E_clISt17integral_constantIbLb0EESX_EEDaSS_ST_EUlSS_E_NS1_11comp_targetILNS1_3genE4ELNS1_11target_archE910ELNS1_3gpuE8ELNS1_3repE0EEENS1_30default_config_static_selectorELNS0_4arch9wavefront6targetE1EEEvT1_
	.globl	_ZN7rocprim17ROCPRIM_400000_NS6detail17trampoline_kernelINS0_14default_configENS1_20scan_config_selectorIdEEZZNS1_9scan_implILNS1_25lookback_scan_determinismE0ELb0ELb0ES3_N6thrust23THRUST_200600_302600_NS6detail15normal_iteratorINS9_10device_ptrIdEEEENS9_16discard_iteratorINS9_11use_defaultEEEdNS9_4plusIvEEdEEDaPvRmT3_T4_T5_mT6_P12ihipStream_tbENKUlT_T0_E_clISt17integral_constantIbLb0EESX_EEDaSS_ST_EUlSS_E_NS1_11comp_targetILNS1_3genE4ELNS1_11target_archE910ELNS1_3gpuE8ELNS1_3repE0EEENS1_30default_config_static_selectorELNS0_4arch9wavefront6targetE1EEEvT1_
	.p2align	8
	.type	_ZN7rocprim17ROCPRIM_400000_NS6detail17trampoline_kernelINS0_14default_configENS1_20scan_config_selectorIdEEZZNS1_9scan_implILNS1_25lookback_scan_determinismE0ELb0ELb0ES3_N6thrust23THRUST_200600_302600_NS6detail15normal_iteratorINS9_10device_ptrIdEEEENS9_16discard_iteratorINS9_11use_defaultEEEdNS9_4plusIvEEdEEDaPvRmT3_T4_T5_mT6_P12ihipStream_tbENKUlT_T0_E_clISt17integral_constantIbLb0EESX_EEDaSS_ST_EUlSS_E_NS1_11comp_targetILNS1_3genE4ELNS1_11target_archE910ELNS1_3gpuE8ELNS1_3repE0EEENS1_30default_config_static_selectorELNS0_4arch9wavefront6targetE1EEEvT1_,@function
_ZN7rocprim17ROCPRIM_400000_NS6detail17trampoline_kernelINS0_14default_configENS1_20scan_config_selectorIdEEZZNS1_9scan_implILNS1_25lookback_scan_determinismE0ELb0ELb0ES3_N6thrust23THRUST_200600_302600_NS6detail15normal_iteratorINS9_10device_ptrIdEEEENS9_16discard_iteratorINS9_11use_defaultEEEdNS9_4plusIvEEdEEDaPvRmT3_T4_T5_mT6_P12ihipStream_tbENKUlT_T0_E_clISt17integral_constantIbLb0EESX_EEDaSS_ST_EUlSS_E_NS1_11comp_targetILNS1_3genE4ELNS1_11target_archE910ELNS1_3gpuE8ELNS1_3repE0EEENS1_30default_config_static_selectorELNS0_4arch9wavefront6targetE1EEEvT1_: ; @_ZN7rocprim17ROCPRIM_400000_NS6detail17trampoline_kernelINS0_14default_configENS1_20scan_config_selectorIdEEZZNS1_9scan_implILNS1_25lookback_scan_determinismE0ELb0ELb0ES3_N6thrust23THRUST_200600_302600_NS6detail15normal_iteratorINS9_10device_ptrIdEEEENS9_16discard_iteratorINS9_11use_defaultEEEdNS9_4plusIvEEdEEDaPvRmT3_T4_T5_mT6_P12ihipStream_tbENKUlT_T0_E_clISt17integral_constantIbLb0EESX_EEDaSS_ST_EUlSS_E_NS1_11comp_targetILNS1_3genE4ELNS1_11target_archE910ELNS1_3gpuE8ELNS1_3repE0EEENS1_30default_config_static_selectorELNS0_4arch9wavefront6targetE1EEEvT1_
; %bb.0:
	s_load_dwordx4 s[0:3], s[4:5], 0x0
	s_load_dwordx2 s[8:9], s[4:5], 0x20
	s_load_dword s7, s[4:5], 0x40
	s_waitcnt lgkmcnt(0)
	s_lshl_b64 s[2:3], s[2:3], 3
	s_add_u32 s2, s0, s2
	s_addc_u32 s3, s1, s3
	s_add_i32 s7, s7, -1
	s_mul_i32 s10, s7, 0x500
	s_sub_u32 s20, s8, s10
	s_subb_u32 s21, s9, 0
	s_mul_i32 s0, s6, 0x500
	s_mov_b32 s1, 0
	s_cmp_lg_u32 s6, s7
	s_cselect_b64 s[14:15], -1, 0
	s_lshl_b64 s[0:1], s[0:1], 3
	s_add_u32 s0, s2, s0
	s_addc_u32 s1, s3, s1
	s_mov_b64 s[2:3], -1
	s_and_b64 vcc, exec, s[14:15]
	s_cbranch_vccz .LBB4864_2
; %bb.1:
	v_lshlrev_b32_e32 v1, 3, v0
	v_mov_b32_e32 v3, s1
	v_add_co_u32_e32 v2, vcc, s0, v1
	v_addc_co_u32_e32 v3, vcc, 0, v3, vcc
	v_add_co_u32_e32 v12, vcc, 0x1000, v2
	v_addc_co_u32_e32 v13, vcc, 0, v3, vcc
	flat_load_dwordx2 v[4:5], v[2:3]
	flat_load_dwordx2 v[6:7], v[2:3] offset:1024
	flat_load_dwordx2 v[8:9], v[2:3] offset:2048
	;; [unrolled: 1-line block ×3, first 2 shown]
	v_add_co_u32_e32 v2, vcc, 0x2000, v2
	v_addc_co_u32_e32 v3, vcc, 0, v3, vcc
	flat_load_dwordx2 v[14:15], v[12:13]
	flat_load_dwordx2 v[16:17], v[12:13] offset:1024
	flat_load_dwordx2 v[18:19], v[12:13] offset:2048
	;; [unrolled: 1-line block ×3, first 2 shown]
	s_nop 0
	flat_load_dwordx2 v[12:13], v[2:3]
	flat_load_dwordx2 v[22:23], v[2:3] offset:1024
	s_mov_b64 s[2:3], 0
	s_waitcnt vmcnt(0) lgkmcnt(0)
	ds_write2st64_b64 v1, v[4:5], v[6:7] offset1:2
	ds_write2st64_b64 v1, v[8:9], v[10:11] offset0:4 offset1:6
	ds_write2st64_b64 v1, v[14:15], v[16:17] offset0:8 offset1:10
	ds_write2st64_b64 v1, v[18:19], v[20:21] offset0:12 offset1:14
	ds_write2st64_b64 v1, v[12:13], v[22:23] offset0:16 offset1:18
	s_waitcnt lgkmcnt(0)
	s_barrier
.LBB4864_2:
	s_load_dwordx2 s[16:17], s[4:5], 0x38
	s_andn2_b64 vcc, exec, s[2:3]
	s_cbranch_vccnz .LBB4864_24
; %bb.3:
	v_pk_mov_b32 v[2:3], s[0:1], s[0:1] op_sel:[0,1]
	flat_load_dwordx2 v[2:3], v[2:3]
	v_cmp_gt_u32_e32 vcc, s20, v0
	s_waitcnt vmcnt(0) lgkmcnt(0)
	v_mov_b32_e32 v4, v2
	v_mov_b32_e32 v5, v3
	;; [unrolled: 1-line block ×16, first 2 shown]
	v_pk_mov_b32 v[34:35], v[30:31], v[30:31] op_sel:[0,1]
	v_pk_mov_b32 v[32:33], v[28:29], v[28:29] op_sel:[0,1]
	;; [unrolled: 1-line block ×16, first 2 shown]
	s_and_saveexec_b64 s[2:3], vcc
	s_cbranch_execz .LBB4864_5
; %bb.4:
	v_lshlrev_b32_e32 v1, 3, v0
	v_mov_b32_e32 v5, s1
	v_add_co_u32_e32 v4, vcc, s0, v1
	v_addc_co_u32_e32 v5, vcc, 0, v5, vcc
	flat_load_dwordx2 v[36:37], v[4:5]
	v_mov_b32_e32 v4, v2
	v_mov_b32_e32 v5, v3
	;; [unrolled: 1-line block ×16, first 2 shown]
	v_pk_mov_b32 v[34:35], v[30:31], v[30:31] op_sel:[0,1]
	v_pk_mov_b32 v[32:33], v[28:29], v[28:29] op_sel:[0,1]
	;; [unrolled: 1-line block ×16, first 2 shown]
	s_waitcnt vmcnt(0) lgkmcnt(0)
	v_pk_mov_b32 v[2:3], v[36:37], v[36:37] op_sel:[0,1]
.LBB4864_5:
	s_or_b64 exec, exec, s[2:3]
	v_or_b32_e32 v1, 0x80, v0
	v_cmp_gt_u32_e32 vcc, s20, v1
	s_and_saveexec_b64 s[2:3], vcc
	s_cbranch_execz .LBB4864_7
; %bb.6:
	v_lshlrev_b32_e32 v1, 3, v0
	v_mov_b32_e32 v5, s1
	v_add_co_u32_e32 v4, vcc, s0, v1
	v_addc_co_u32_e32 v5, vcc, 0, v5, vcc
	flat_load_dwordx2 v[6:7], v[4:5] offset:1024
.LBB4864_7:
	s_or_b64 exec, exec, s[2:3]
	v_or_b32_e32 v1, 0x100, v0
	v_cmp_gt_u32_e32 vcc, s20, v1
	s_and_saveexec_b64 s[2:3], vcc
	s_cbranch_execz .LBB4864_9
; %bb.8:
	v_lshlrev_b32_e32 v1, 3, v0
	v_mov_b32_e32 v5, s1
	v_add_co_u32_e32 v4, vcc, s0, v1
	v_addc_co_u32_e32 v5, vcc, 0, v5, vcc
	flat_load_dwordx2 v[8:9], v[4:5] offset:2048
.LBB4864_9:
	;; [unrolled: 12-line block ×3, first 2 shown]
	s_or_b64 exec, exec, s[2:3]
	v_or_b32_e32 v1, 0x200, v0
	v_cmp_gt_u32_e32 vcc, s20, v1
	s_and_saveexec_b64 s[2:3], vcc
	s_cbranch_execz .LBB4864_13
; %bb.12:
	v_lshlrev_b32_e32 v1, 3, v1
	v_mov_b32_e32 v5, s1
	v_add_co_u32_e32 v4, vcc, s0, v1
	v_addc_co_u32_e32 v5, vcc, 0, v5, vcc
	flat_load_dwordx2 v[12:13], v[4:5]
.LBB4864_13:
	s_or_b64 exec, exec, s[2:3]
	v_or_b32_e32 v1, 0x280, v0
	v_cmp_gt_u32_e32 vcc, s20, v1
	s_and_saveexec_b64 s[2:3], vcc
	s_cbranch_execz .LBB4864_15
; %bb.14:
	v_lshlrev_b32_e32 v1, 3, v1
	v_mov_b32_e32 v5, s1
	v_add_co_u32_e32 v4, vcc, s0, v1
	v_addc_co_u32_e32 v5, vcc, 0, v5, vcc
	flat_load_dwordx2 v[14:15], v[4:5]
.LBB4864_15:
	;; [unrolled: 12-line block ×6, first 2 shown]
	s_or_b64 exec, exec, s[2:3]
	v_lshlrev_b32_e32 v1, 3, v0
	s_waitcnt vmcnt(0) lgkmcnt(0)
	ds_write2st64_b64 v1, v[2:3], v[6:7] offset1:2
	ds_write2st64_b64 v1, v[8:9], v[10:11] offset0:4 offset1:6
	ds_write2st64_b64 v1, v[12:13], v[14:15] offset0:8 offset1:10
	;; [unrolled: 1-line block ×4, first 2 shown]
	s_waitcnt lgkmcnt(0)
	s_barrier
.LBB4864_24:
	v_mul_u32_u24_e32 v48, 10, v0
	v_lshlrev_b32_e32 v49, 3, v48
	s_waitcnt lgkmcnt(0)
	ds_read_b128 v[2:5], v49
	ds_read_b128 v[14:17], v49 offset:16
	ds_read_b128 v[10:13], v49 offset:32
	;; [unrolled: 1-line block ×4, first 2 shown]
	s_cmp_lg_u32 s6, 0
	v_mbcnt_lo_u32_b32 v1, -1, 0
	s_waitcnt lgkmcnt(0)
	s_barrier
	s_cbranch_scc0 .LBB4864_53
; %bb.25:
	v_add_f64 v[22:23], v[2:3], v[4:5]
	v_add_f64 v[22:23], v[14:15], v[22:23]
	;; [unrolled: 1-line block ×9, first 2 shown]
	v_mbcnt_hi_u32_b32 v33, -1, v1
	v_and_b32_e32 v28, 15, v33
	v_mov_b32_dpp v24, v22 row_shr:1 row_mask:0xf bank_mask:0xf
	v_mov_b32_dpp v25, v23 row_shr:1 row_mask:0xf bank_mask:0xf
	v_add_f64 v[24:25], v[22:23], v[24:25]
	v_cmp_eq_u32_e32 vcc, 0, v28
	v_cndmask_b32_e32 v24, v24, v22, vcc
	v_cndmask_b32_e32 v25, v25, v23, vcc
	v_cmp_lt_u32_e32 vcc, 1, v28
	v_mov_b32_dpp v26, v24 row_shr:2 row_mask:0xf bank_mask:0xf
	v_mov_b32_dpp v27, v25 row_shr:2 row_mask:0xf bank_mask:0xf
	v_add_f64 v[26:27], v[24:25], v[26:27]
	v_cndmask_b32_e32 v24, v24, v26, vcc
	v_cndmask_b32_e32 v25, v25, v27, vcc
	v_cmp_lt_u32_e32 vcc, 3, v28
	v_mov_b32_dpp v26, v24 row_shr:4 row_mask:0xf bank_mask:0xf
	v_mov_b32_dpp v27, v25 row_shr:4 row_mask:0xf bank_mask:0xf
	v_add_f64 v[26:27], v[24:25], v[26:27]
	;; [unrolled: 6-line block ×3, first 2 shown]
	v_cndmask_b32_e32 v24, v24, v26, vcc
	v_cndmask_b32_e32 v25, v25, v27, vcc
	v_and_b32_e32 v30, 16, v33
	v_mov_b32_dpp v26, v24 row_bcast:15 row_mask:0xf bank_mask:0xf
	v_mov_b32_dpp v27, v25 row_bcast:15 row_mask:0xf bank_mask:0xf
	v_add_f64 v[28:29], v[24:25], v[26:27]
	v_cmp_eq_u32_e32 vcc, 0, v30
	v_cndmask_b32_e32 v27, v29, v25, vcc
	v_cndmask_b32_e32 v26, v28, v24, vcc
	v_cmp_eq_u32_e64 s[0:1], 0, v33
	v_mov_b32_dpp v27, v27 row_bcast:31 row_mask:0xf bank_mask:0xf
	v_mov_b32_dpp v26, v26 row_bcast:31 row_mask:0xf bank_mask:0xf
	v_cmp_ne_u32_e64 s[2:3], 0, v33
	s_and_saveexec_b64 s[8:9], s[2:3]
; %bb.26:
	v_cndmask_b32_e32 v23, v29, v25, vcc
	v_cndmask_b32_e32 v22, v28, v24, vcc
	v_add_f64 v[24:25], v[22:23], v[26:27]
	v_cmp_lt_u32_e32 vcc, 31, v33
	v_cndmask_b32_e32 v23, v23, v25, vcc
	v_cndmask_b32_e32 v22, v22, v24, vcc
; %bb.27:
	s_or_b64 exec, exec, s[8:9]
	v_or_b32_e32 v25, 63, v0
	v_lshrrev_b32_e32 v24, 6, v0
	v_cmp_eq_u32_e32 vcc, v25, v0
	s_and_saveexec_b64 s[2:3], vcc
	s_cbranch_execz .LBB4864_29
; %bb.28:
	v_lshlrev_b32_e32 v25, 3, v24
	ds_write_b64 v25, v[22:23]
.LBB4864_29:
	s_or_b64 exec, exec, s[2:3]
	v_cmp_gt_u32_e32 vcc, 2, v0
	s_waitcnt lgkmcnt(0)
	s_barrier
	s_and_saveexec_b64 s[2:3], vcc
	s_cbranch_execz .LBB4864_31
; %bb.30:
	v_lshlrev_b32_e32 v25, 3, v0
	ds_read_b64 v[26:27], v25
	v_and_b32_e32 v30, 1, v33
	v_cmp_eq_u32_e32 vcc, 0, v30
	s_waitcnt lgkmcnt(0)
	v_mov_b32_dpp v28, v26 row_shr:1 row_mask:0xf bank_mask:0xf
	v_mov_b32_dpp v29, v27 row_shr:1 row_mask:0xf bank_mask:0xf
	v_add_f64 v[28:29], v[26:27], v[28:29]
	v_cndmask_b32_e32 v27, v29, v27, vcc
	v_cndmask_b32_e32 v26, v28, v26, vcc
	ds_write_b64 v25, v[26:27]
.LBB4864_31:
	s_or_b64 exec, exec, s[2:3]
	v_cmp_gt_u32_e32 vcc, 64, v0
	v_cmp_lt_u32_e64 s[2:3], 63, v0
	s_waitcnt lgkmcnt(0)
	s_barrier
	s_waitcnt lgkmcnt(0)
                                        ; implicit-def: $vgpr30_vgpr31
	s_and_saveexec_b64 s[8:9], s[2:3]
	s_cbranch_execz .LBB4864_33
; %bb.32:
	v_lshl_add_u32 v24, v24, 3, -8
	ds_read_b64 v[30:31], v24
	s_waitcnt lgkmcnt(0)
	v_add_f64 v[22:23], v[22:23], v[30:31]
.LBB4864_33:
	s_or_b64 exec, exec, s[8:9]
	v_add_u32_e32 v24, -1, v33
	v_and_b32_e32 v25, 64, v33
	v_cmp_lt_i32_e64 s[2:3], v24, v25
	v_cndmask_b32_e64 v24, v24, v33, s[2:3]
	v_lshlrev_b32_e32 v24, 2, v24
	ds_bpermute_b32 v38, v24, v22
	ds_bpermute_b32 v39, v24, v23
	s_and_saveexec_b64 s[18:19], vcc
	s_cbranch_execz .LBB4864_52
; %bb.34:
	v_mov_b32_e32 v25, 0
	ds_read_b64 v[22:23], v25 offset:8
	s_and_saveexec_b64 s[2:3], s[0:1]
	s_cbranch_execz .LBB4864_36
; %bb.35:
	s_add_i32 s8, s6, 64
	s_mov_b32 s9, 0
	s_lshl_b64 s[8:9], s[8:9], 4
	s_add_u32 s8, s16, s8
	s_addc_u32 s9, s17, s9
	v_mov_b32_e32 v24, 1
	v_pk_mov_b32 v[26:27], s[8:9], s[8:9] op_sel:[0,1]
	s_waitcnt lgkmcnt(0)
	;;#ASMSTART
	global_store_dwordx4 v[26:27], v[22:25] off	
s_waitcnt vmcnt(0)
	;;#ASMEND
.LBB4864_36:
	s_or_b64 exec, exec, s[2:3]
	v_xad_u32 v32, v33, -1, s6
	v_add_u32_e32 v24, 64, v32
	v_lshlrev_b64 v[26:27], 4, v[24:25]
	v_mov_b32_e32 v24, s17
	v_add_co_u32_e32 v34, vcc, s16, v26
	v_addc_co_u32_e32 v35, vcc, v24, v27, vcc
	;;#ASMSTART
	global_load_dwordx4 v[26:29], v[34:35] off glc	
s_waitcnt vmcnt(0)
	;;#ASMEND
	v_and_b32_e32 v24, 0xff, v27
	v_and_b32_e32 v29, 0xff00, v27
	v_or3_b32 v24, 0, v24, v29
	v_or3_b32 v26, v26, 0, 0
	v_and_b32_e32 v29, 0xff000000, v27
	v_and_b32_e32 v27, 0xff0000, v27
	v_or3_b32 v27, v24, v27, v29
	v_or3_b32 v26, v26, 0, 0
	v_cmp_eq_u16_sdwa s[8:9], v28, v25 src0_sel:BYTE_0 src1_sel:DWORD
	s_and_saveexec_b64 s[2:3], s[8:9]
	s_cbranch_execz .LBB4864_40
; %bb.37:
	s_mov_b64 s[8:9], 0
	v_mov_b32_e32 v24, 0
.LBB4864_38:                            ; =>This Inner Loop Header: Depth=1
	;;#ASMSTART
	global_load_dwordx4 v[26:29], v[34:35] off glc	
s_waitcnt vmcnt(0)
	;;#ASMEND
	v_cmp_ne_u16_sdwa s[10:11], v28, v24 src0_sel:BYTE_0 src1_sel:DWORD
	s_or_b64 s[8:9], s[10:11], s[8:9]
	s_andn2_b64 exec, exec, s[8:9]
	s_cbranch_execnz .LBB4864_38
; %bb.39:
	s_or_b64 exec, exec, s[8:9]
.LBB4864_40:
	s_or_b64 exec, exec, s[2:3]
	v_and_b32_e32 v41, 63, v33
	v_cmp_ne_u32_e32 vcc, 63, v41
	v_mov_b32_e32 v40, 2
	v_addc_co_u32_e32 v34, vcc, 0, v33, vcc
	v_cmp_eq_u16_sdwa s[2:3], v28, v40 src0_sel:BYTE_0 src1_sel:DWORD
	v_lshlrev_b64 v[24:25], v33, -1
	v_lshlrev_b32_e32 v42, 2, v34
	v_and_b32_e32 v29, s3, v25
	ds_bpermute_b32 v34, v42, v26
	ds_bpermute_b32 v35, v42, v27
	v_or_b32_e32 v29, 0x80000000, v29
	v_and_b32_e32 v36, s2, v24
	v_ffbl_b32_e32 v29, v29
	v_add_u32_e32 v29, 32, v29
	v_ffbl_b32_e32 v36, v36
	v_cmp_gt_u32_e64 s[2:3], 62, v41
	v_min_u32_e32 v29, v36, v29
	v_cndmask_b32_e64 v36, 0, 1, s[2:3]
	s_waitcnt lgkmcnt(0)
	v_add_f64 v[34:35], v[26:27], v[34:35]
	v_cmp_lt_u32_e32 vcc, v41, v29
	v_lshlrev_b32_e32 v36, 1, v36
	v_cndmask_b32_e32 v34, v26, v34, vcc
	v_cndmask_b32_e32 v35, v27, v35, vcc
	v_add_lshl_u32 v43, v36, v33, 2
	ds_bpermute_b32 v36, v43, v34
	ds_bpermute_b32 v37, v43, v35
	v_add_u32_e32 v44, 2, v41
	v_cmp_gt_u32_e64 s[2:3], v44, v29
	v_cmp_gt_u32_e64 s[8:9], 56, v41
	v_add_u32_e32 v46, 4, v41
	s_waitcnt lgkmcnt(0)
	v_add_f64 v[36:37], v[34:35], v[36:37]
	v_cndmask_b32_e64 v34, v36, v34, s[2:3]
	v_cndmask_b32_e64 v35, v37, v35, s[2:3]
	v_cmp_gt_u32_e64 s[2:3], 60, v41
	v_cndmask_b32_e64 v36, 0, 1, s[2:3]
	v_lshlrev_b32_e32 v36, 2, v36
	v_add_lshl_u32 v45, v36, v33, 2
	ds_bpermute_b32 v36, v45, v34
	ds_bpermute_b32 v37, v45, v35
	v_cndmask_b32_e64 v47, 0, 1, s[8:9]
	v_cmp_gt_u32_e64 s[2:3], v46, v29
	v_lshlrev_b32_e32 v47, 3, v47
	v_add_lshl_u32 v47, v47, v33, 2
	s_waitcnt lgkmcnt(0)
	v_add_f64 v[36:37], v[34:35], v[36:37]
	v_cndmask_b32_e64 v52, v36, v34, s[2:3]
	v_cndmask_b32_e64 v53, v37, v35, s[2:3]
	ds_bpermute_b32 v54, v47, v52
	ds_bpermute_b32 v55, v47, v53
	v_cmp_gt_u32_e64 s[10:11], 48, v41
	v_add_u32_e32 v50, 8, v41
	v_cndmask_b32_e64 v51, 0, 1, s[10:11]
	v_cmp_gt_u32_e64 s[8:9], v50, v29
	s_waitcnt lgkmcnt(0)
	v_add_f64 v[56:57], v[52:53], v[54:55]
	v_lshlrev_b32_e32 v51, 4, v51
	v_cndmask_b32_e64 v54, v56, v52, s[8:9]
	v_cndmask_b32_e64 v55, v57, v53, s[8:9]
	v_add_lshl_u32 v51, v51, v33, 2
	ds_bpermute_b32 v58, v51, v54
	ds_bpermute_b32 v59, v51, v55
	v_cmp_gt_u32_e64 s[12:13], 32, v41
	v_add_u32_e32 v52, 16, v41
	v_cndmask_b32_e64 v53, 0, 1, s[12:13]
	v_cmp_gt_u32_e64 s[10:11], v52, v29
	s_waitcnt lgkmcnt(0)
	v_add_f64 v[58:59], v[54:55], v[58:59]
	v_lshlrev_b32_e32 v53, 5, v53
	v_cndmask_b32_e64 v60, v58, v54, s[10:11]
	v_add_lshl_u32 v53, v53, v33, 2
	v_cndmask_b32_e64 v61, v59, v55, s[10:11]
	ds_bpermute_b32 v62, v53, v60
	ds_bpermute_b32 v63, v53, v61
	v_cndmask_b32_e32 v27, v27, v35, vcc
	v_cndmask_b32_e32 v26, v26, v34, vcc
	v_cndmask_b32_e64 v26, v36, v26, s[2:3]
	v_cndmask_b32_e64 v27, v37, v27, s[2:3]
	v_add_u32_e32 v54, 32, v41
	v_cndmask_b32_e64 v27, v57, v27, s[8:9]
	v_cndmask_b32_e64 v26, v56, v26, s[8:9]
	s_waitcnt lgkmcnt(0)
	v_add_f64 v[60:61], v[60:61], v[62:63]
	v_cndmask_b32_e64 v26, v58, v26, s[10:11]
	v_cndmask_b32_e64 v27, v59, v27, s[10:11]
	v_cmp_gt_u32_e32 vcc, v54, v29
	v_cndmask_b32_e32 v27, v61, v27, vcc
	v_cndmask_b32_e32 v26, v60, v26, vcc
	v_mov_b32_e32 v33, 0
	s_branch .LBB4864_42
.LBB4864_41:                            ;   in Loop: Header=BB4864_42 Depth=1
	s_or_b64 exec, exec, s[2:3]
	v_cmp_eq_u16_sdwa s[2:3], v28, v40 src0_sel:BYTE_0 src1_sel:DWORD
	v_and_b32_e32 v29, s3, v25
	ds_bpermute_b32 v36, v42, v26
	ds_bpermute_b32 v37, v42, v27
	v_or_b32_e32 v29, 0x80000000, v29
	v_and_b32_e32 v55, s2, v24
	v_ffbl_b32_e32 v29, v29
	v_add_u32_e32 v29, 32, v29
	v_ffbl_b32_e32 v55, v55
	v_min_u32_e32 v29, v55, v29
	s_waitcnt lgkmcnt(0)
	v_add_f64 v[36:37], v[26:27], v[36:37]
	v_cmp_lt_u32_e32 vcc, v41, v29
	v_cndmask_b32_e32 v36, v26, v36, vcc
	v_cndmask_b32_e32 v37, v27, v37, vcc
	ds_bpermute_b32 v56, v43, v36
	ds_bpermute_b32 v57, v43, v37
	v_cmp_gt_u32_e64 s[2:3], v44, v29
	v_cmp_gt_u32_e64 s[8:9], v50, v29
	;; [unrolled: 1-line block ×3, first 2 shown]
	v_subrev_u32_e32 v32, 64, v32
	s_waitcnt lgkmcnt(0)
	v_add_f64 v[56:57], v[36:37], v[56:57]
	v_cndmask_b32_e64 v36, v56, v36, s[2:3]
	v_cndmask_b32_e64 v37, v57, v37, s[2:3]
	ds_bpermute_b32 v56, v45, v36
	ds_bpermute_b32 v57, v45, v37
	v_cmp_gt_u32_e64 s[2:3], v46, v29
	v_cndmask_b32_e32 v27, v27, v37, vcc
	v_cndmask_b32_e32 v26, v26, v36, vcc
	v_cmp_gt_u32_e32 vcc, v54, v29
	s_waitcnt lgkmcnt(0)
	v_add_f64 v[56:57], v[36:37], v[56:57]
	v_cndmask_b32_e64 v58, v56, v36, s[2:3]
	v_cndmask_b32_e64 v59, v57, v37, s[2:3]
	ds_bpermute_b32 v60, v47, v58
	ds_bpermute_b32 v61, v47, v59
	v_cndmask_b32_e64 v26, v56, v26, s[2:3]
	v_cndmask_b32_e64 v27, v57, v27, s[2:3]
	s_waitcnt lgkmcnt(0)
	v_add_f64 v[60:61], v[58:59], v[60:61]
	v_cndmask_b32_e64 v58, v60, v58, s[8:9]
	v_cndmask_b32_e64 v59, v61, v59, s[8:9]
	ds_bpermute_b32 v62, v51, v58
	ds_bpermute_b32 v63, v51, v59
	v_cndmask_b32_e64 v27, v61, v27, s[8:9]
	v_cndmask_b32_e64 v26, v60, v26, s[8:9]
	;; [unrolled: 8-line block ×3, first 2 shown]
	s_waitcnt lgkmcnt(0)
	v_add_f64 v[58:59], v[58:59], v[64:65]
	v_cndmask_b32_e32 v27, v59, v27, vcc
	v_cndmask_b32_e32 v26, v58, v26, vcc
	v_add_f64 v[26:27], v[34:35], v[26:27]
.LBB4864_42:                            ; =>This Loop Header: Depth=1
                                        ;     Child Loop BB4864_45 Depth 2
	v_cmp_ne_u16_sdwa s[2:3], v28, v40 src0_sel:BYTE_0 src1_sel:DWORD
	v_cndmask_b32_e64 v28, 0, 1, s[2:3]
	;;#ASMSTART
	;;#ASMEND
	v_cmp_ne_u32_e32 vcc, 0, v28
	s_cmp_lg_u64 vcc, exec
	v_pk_mov_b32 v[34:35], v[26:27], v[26:27] op_sel:[0,1]
	s_cbranch_scc1 .LBB4864_47
; %bb.43:                               ;   in Loop: Header=BB4864_42 Depth=1
	v_lshlrev_b64 v[26:27], 4, v[32:33]
	v_mov_b32_e32 v28, s17
	v_add_co_u32_e32 v36, vcc, s16, v26
	v_addc_co_u32_e32 v37, vcc, v28, v27, vcc
	;;#ASMSTART
	global_load_dwordx4 v[26:29], v[36:37] off glc	
s_waitcnt vmcnt(0)
	;;#ASMEND
	v_and_b32_e32 v29, 0xff, v27
	v_and_b32_e32 v55, 0xff00, v27
	v_or3_b32 v29, 0, v29, v55
	v_or3_b32 v26, v26, 0, 0
	v_and_b32_e32 v55, 0xff000000, v27
	v_and_b32_e32 v27, 0xff0000, v27
	v_or3_b32 v27, v29, v27, v55
	v_or3_b32 v26, v26, 0, 0
	v_cmp_eq_u16_sdwa s[8:9], v28, v33 src0_sel:BYTE_0 src1_sel:DWORD
	s_and_saveexec_b64 s[2:3], s[8:9]
	s_cbranch_execz .LBB4864_41
; %bb.44:                               ;   in Loop: Header=BB4864_42 Depth=1
	s_mov_b64 s[8:9], 0
.LBB4864_45:                            ;   Parent Loop BB4864_42 Depth=1
                                        ; =>  This Inner Loop Header: Depth=2
	;;#ASMSTART
	global_load_dwordx4 v[26:29], v[36:37] off glc	
s_waitcnt vmcnt(0)
	;;#ASMEND
	v_cmp_ne_u16_sdwa s[10:11], v28, v33 src0_sel:BYTE_0 src1_sel:DWORD
	s_or_b64 s[8:9], s[10:11], s[8:9]
	s_andn2_b64 exec, exec, s[8:9]
	s_cbranch_execnz .LBB4864_45
; %bb.46:                               ;   in Loop: Header=BB4864_42 Depth=1
	s_or_b64 exec, exec, s[8:9]
	s_branch .LBB4864_41
.LBB4864_47:                            ;   in Loop: Header=BB4864_42 Depth=1
                                        ; implicit-def: $vgpr26_vgpr27
                                        ; implicit-def: $vgpr28
	s_cbranch_execz .LBB4864_42
; %bb.48:
	s_and_saveexec_b64 s[2:3], s[0:1]
	s_cbranch_execz .LBB4864_50
; %bb.49:
	s_add_i32 s6, s6, 64
	s_mov_b32 s7, 0
	s_lshl_b64 s[6:7], s[6:7], 4
	s_add_u32 s6, s16, s6
	s_addc_u32 s7, s17, s7
	v_add_f64 v[22:23], v[22:23], v[34:35]
	v_mov_b32_e32 v24, 2
	v_mov_b32_e32 v25, 0
	v_pk_mov_b32 v[26:27], s[6:7], s[6:7] op_sel:[0,1]
	;;#ASMSTART
	global_store_dwordx4 v[26:27], v[22:25] off	
s_waitcnt vmcnt(0)
	;;#ASMEND
.LBB4864_50:
	s_or_b64 exec, exec, s[2:3]
	v_cmp_eq_u32_e32 vcc, 0, v0
	s_and_b64 exec, exec, vcc
	s_cbranch_execz .LBB4864_52
; %bb.51:
	v_mov_b32_e32 v22, 0
	ds_write_b64 v22, v[34:35] offset:8
.LBB4864_52:
	s_or_b64 exec, exec, s[18:19]
	v_mov_b32_e32 v24, 0
	s_waitcnt lgkmcnt(0)
	s_barrier
	ds_read_b64 v[24:25], v24 offset:8
	v_cndmask_b32_e64 v23, v39, v31, s[0:1]
	v_cndmask_b32_e64 v22, v38, v30, s[0:1]
	v_add_f64 v[22:23], v[2:3], v[22:23]
	v_cmp_eq_u32_e32 vcc, 0, v0
	v_cndmask_b32_e32 v23, v23, v3, vcc
	v_cndmask_b32_e32 v22, v22, v2, vcc
	s_waitcnt lgkmcnt(0)
	v_add_f64 v[38:39], v[22:23], v[24:25]
	v_add_f64 v[40:41], v[4:5], v[38:39]
	;; [unrolled: 1-line block ×10, first 2 shown]
	s_load_dwordx8 s[4:11], s[4:5], 0x48
	s_branch .LBB4864_69
.LBB4864_53:
                                        ; implicit-def: $vgpr24_vgpr25
                                        ; implicit-def: $vgpr28_vgpr29
                                        ; implicit-def: $vgpr32_vgpr33
                                        ; implicit-def: $vgpr36_vgpr37
                                        ; implicit-def: $vgpr40_vgpr41
	s_load_dwordx8 s[4:11], s[4:5], 0x48
	s_cbranch_execz .LBB4864_69
; %bb.54:
	s_waitcnt lgkmcnt(0)
	s_cmp_lg_u64 s[8:9], 0
	s_cselect_b64 s[2:3], -1, 0
	v_cmp_eq_u32_e64 s[0:1], 0, v0
	v_cmp_ne_u32_e32 vcc, 0, v0
	s_and_b64 s[2:3], s[0:1], s[2:3]
	s_and_saveexec_b64 s[0:1], s[2:3]
	s_cbranch_execz .LBB4864_56
; %bb.55:
	v_mov_b32_e32 v22, 0
	global_load_dwordx2 v[22:23], v22, s[4:5]
	s_waitcnt vmcnt(0)
	v_add_f64 v[2:3], v[2:3], v[22:23]
.LBB4864_56:
	s_or_b64 exec, exec, s[0:1]
	v_add_f64 v[40:41], v[2:3], v[4:5]
	v_add_f64 v[34:35], v[14:15], v[40:41]
	;; [unrolled: 1-line block ×9, first 2 shown]
	v_mbcnt_hi_u32_b32 v1, -1, v1
	v_and_b32_e32 v44, 15, v1
	v_mov_b32_dpp v38, v24 row_shr:1 row_mask:0xf bank_mask:0xf
	v_mov_b32_dpp v39, v25 row_shr:1 row_mask:0xf bank_mask:0xf
	v_add_f64 v[38:39], v[24:25], v[38:39]
	v_cmp_eq_u32_e64 s[0:1], 0, v44
	v_cndmask_b32_e64 v38, v38, v24, s[0:1]
	v_cndmask_b32_e64 v39, v39, v25, s[0:1]
	v_cmp_lt_u32_e64 s[0:1], 1, v44
	v_mov_b32_dpp v42, v38 row_shr:2 row_mask:0xf bank_mask:0xf
	v_mov_b32_dpp v43, v39 row_shr:2 row_mask:0xf bank_mask:0xf
	v_add_f64 v[42:43], v[38:39], v[42:43]
	v_cndmask_b32_e64 v38, v38, v42, s[0:1]
	v_cndmask_b32_e64 v39, v39, v43, s[0:1]
	v_cmp_lt_u32_e64 s[0:1], 3, v44
	v_mov_b32_dpp v42, v38 row_shr:4 row_mask:0xf bank_mask:0xf
	v_mov_b32_dpp v43, v39 row_shr:4 row_mask:0xf bank_mask:0xf
	v_add_f64 v[42:43], v[38:39], v[42:43]
	;; [unrolled: 6-line block ×3, first 2 shown]
	v_cndmask_b32_e64 v42, v38, v42, s[0:1]
	v_cndmask_b32_e64 v43, v39, v43, s[0:1]
	v_and_b32_e32 v44, 16, v1
	v_mov_b32_dpp v38, v42 row_bcast:15 row_mask:0xf bank_mask:0xf
	v_mov_b32_dpp v39, v43 row_bcast:15 row_mask:0xf bank_mask:0xf
	v_add_f64 v[46:47], v[42:43], v[38:39]
	v_cmp_eq_u32_e64 s[2:3], 0, v44
	v_cndmask_b32_e64 v38, v47, v43, s[2:3]
	v_cndmask_b32_e64 v39, v46, v42, s[2:3]
	v_cmp_eq_u32_e64 s[0:1], 0, v1
	v_mov_b32_dpp v45, v38 row_bcast:31 row_mask:0xf bank_mask:0xf
	v_mov_b32_dpp v44, v39 row_bcast:31 row_mask:0xf bank_mask:0xf
	v_cmp_ne_u32_e64 s[4:5], 0, v1
	v_pk_mov_b32 v[38:39], v[24:25], v[24:25] op_sel:[0,1]
	s_and_saveexec_b64 s[8:9], s[4:5]
; %bb.57:
	v_cndmask_b32_e64 v39, v47, v43, s[2:3]
	v_cndmask_b32_e64 v38, v46, v42, s[2:3]
	v_add_f64 v[42:43], v[38:39], v[44:45]
	v_cmp_lt_u32_e64 s[2:3], 31, v1
	v_cndmask_b32_e64 v39, v39, v43, s[2:3]
	v_cndmask_b32_e64 v38, v38, v42, s[2:3]
; %bb.58:
	s_or_b64 exec, exec, s[8:9]
	v_or_b32_e32 v42, 63, v0
	v_lshrrev_b32_e32 v44, 6, v0
	v_cmp_eq_u32_e64 s[2:3], v42, v0
	s_and_saveexec_b64 s[4:5], s[2:3]
	s_cbranch_execz .LBB4864_60
; %bb.59:
	v_lshlrev_b32_e32 v42, 3, v44
	ds_write_b64 v42, v[38:39]
.LBB4864_60:
	s_or_b64 exec, exec, s[4:5]
	v_cmp_gt_u32_e64 s[2:3], 2, v0
	s_waitcnt lgkmcnt(0)
	s_barrier
	s_and_saveexec_b64 s[4:5], s[2:3]
	s_cbranch_execz .LBB4864_62
; %bb.61:
	s_movk_i32 s2, 0xffb8
	v_mad_i32_i24 v45, v0, s2, v49
	ds_read_b64 v[42:43], v45
	v_and_b32_e32 v50, 1, v1
	v_cmp_eq_u32_e64 s[2:3], 0, v50
	s_waitcnt lgkmcnt(0)
	v_mov_b32_dpp v46, v42 row_shr:1 row_mask:0xf bank_mask:0xf
	v_mov_b32_dpp v47, v43 row_shr:1 row_mask:0xf bank_mask:0xf
	v_add_f64 v[46:47], v[42:43], v[46:47]
	v_cndmask_b32_e64 v43, v47, v43, s[2:3]
	v_cndmask_b32_e64 v42, v46, v42, s[2:3]
	ds_write_b64 v45, v[42:43]
.LBB4864_62:
	s_or_b64 exec, exec, s[4:5]
	v_cmp_lt_u32_e64 s[2:3], 63, v0
	s_waitcnt lgkmcnt(0)
	s_barrier
	s_waitcnt lgkmcnt(0)
                                        ; implicit-def: $vgpr42_vgpr43
	s_and_saveexec_b64 s[4:5], s[2:3]
	s_cbranch_execz .LBB4864_64
; %bb.63:
	v_lshl_add_u32 v42, v44, 3, -8
	ds_read_b64 v[42:43], v42
	s_waitcnt lgkmcnt(0)
	v_add_f64 v[38:39], v[38:39], v[42:43]
.LBB4864_64:
	s_or_b64 exec, exec, s[4:5]
	v_add_u32_e32 v44, -1, v1
	v_and_b32_e32 v45, 64, v1
	v_cmp_lt_i32_e64 s[2:3], v44, v45
	v_cndmask_b32_e64 v1, v44, v1, s[2:3]
	v_lshlrev_b32_e32 v44, 2, v1
	ds_bpermute_b32 v1, v44, v38
	ds_bpermute_b32 v38, v44, v39
	s_and_saveexec_b64 s[2:3], vcc
	s_cbranch_execz .LBB4864_66
; %bb.65:
	s_waitcnt lgkmcnt(0)
	v_cndmask_b32_e64 v23, v38, v43, s[0:1]
	v_cndmask_b32_e64 v22, v1, v42, s[0:1]
	v_add_f64 v[2:3], v[2:3], v[22:23]
	v_add_f64 v[40:41], v[4:5], v[2:3]
	;; [unrolled: 1-line block ×10, first 2 shown]
	;;#ASMSTART
	;;#ASMEND
.LBB4864_66:
	s_or_b64 exec, exec, s[2:3]
	s_movk_i32 s0, 0x7f
	v_cmp_eq_u32_e32 vcc, s0, v0
	s_and_saveexec_b64 s[0:1], vcc
	s_cbranch_execz .LBB4864_68
; %bb.67:
	s_add_u32 s2, s16, 0x400
	s_addc_u32 s3, s17, 0
	v_mov_b32_e32 v6, 2
	v_mov_b32_e32 v7, 0
	;; [unrolled: 1-line block ×4, first 2 shown]
	v_pk_mov_b32 v[8:9], s[2:3], s[2:3] op_sel:[0,1]
	;;#ASMSTART
	global_store_dwordx4 v[8:9], v[4:7] off	
s_waitcnt vmcnt(0)
	;;#ASMEND
.LBB4864_68:
	s_or_b64 exec, exec, s[0:1]
	s_waitcnt lgkmcnt(0)
	v_pk_mov_b32 v[38:39], v[2:3], v[2:3] op_sel:[0,1]
.LBB4864_69:
	s_mov_b64 s[0:1], -1
	s_and_b64 vcc, exec, s[14:15]
	s_waitcnt lgkmcnt(0)
	s_barrier
	ds_write_b128 v49, v[38:41]
	ds_write_b128 v49, v[34:37] offset:16
	ds_write_b128 v49, v[30:33] offset:32
	;; [unrolled: 1-line block ×4, first 2 shown]
	s_waitcnt lgkmcnt(0)
	s_cbranch_vccz .LBB4864_71
; %bb.70:
	s_barrier
	s_mov_b64 s[0:1], 0
.LBB4864_71:
	s_andn2_b64 vcc, exec, s[0:1]
	s_cbranch_vccnz .LBB4864_107
; %bb.72:
	v_cmp_lt_u64_e64 s[0:1], s[10:11], 2
	s_and_b64 vcc, exec, s[0:1]
	s_barrier
	s_cbranch_vccnz .LBB4864_107
; %bb.73:
	s_add_u32 s0, s20, -1
	s_addc_u32 s1, s21, -1
	s_add_u32 s2, 0, 0x99986000
	s_addc_u32 s3, 0, 0x59
	s_add_i32 s3, s3, 0x19999940
	s_mul_hi_u32 s9, s2, -10
	s_sub_i32 s9, s9, s2
	s_mul_i32 s10, s3, -10
	s_mul_i32 s4, s2, -10
	s_add_i32 s9, s9, s10
	s_mul_hi_u32 s5, s3, s4
	s_mul_i32 s8, s3, s4
	s_mul_i32 s11, s2, s9
	s_mul_hi_u32 s4, s2, s4
	s_mul_hi_u32 s10, s2, s9
	s_add_u32 s4, s4, s11
	s_addc_u32 s10, 0, s10
	s_add_u32 s4, s4, s8
	s_mul_hi_u32 s11, s3, s9
	s_addc_u32 s4, s10, s5
	s_addc_u32 s5, s11, 0
	s_mul_i32 s8, s3, s9
	s_add_u32 s4, s4, s8
	v_mov_b32_e32 v2, s4
	s_addc_u32 s5, 0, s5
	v_add_co_u32_e32 v2, vcc, s2, v2
	s_cmp_lg_u64 vcc, 0
	s_addc_u32 s2, s3, s5
	v_readfirstlane_b32 s5, v2
	s_mul_i32 s4, s0, s2
	s_mul_hi_u32 s8, s0, s5
	s_mul_hi_u32 s3, s0, s2
	s_add_u32 s4, s8, s4
	s_addc_u32 s3, 0, s3
	s_mul_hi_u32 s9, s1, s5
	s_mul_i32 s5, s1, s5
	s_add_u32 s4, s4, s5
	s_mul_hi_u32 s8, s1, s2
	s_addc_u32 s3, s3, s9
	s_addc_u32 s4, s8, 0
	s_mul_i32 s2, s1, s2
	s_add_u32 s2, s3, s2
	s_addc_u32 s3, 0, s4
	s_add_u32 s4, s2, 1
	s_addc_u32 s5, s3, 0
	s_add_u32 s8, s2, 2
	s_mul_i32 s10, s3, 10
	s_mul_hi_u32 s11, s2, 10
	s_addc_u32 s9, s3, 0
	s_add_i32 s11, s11, s10
	s_mul_i32 s10, s2, 10
	v_mov_b32_e32 v2, s10
	v_sub_co_u32_e32 v2, vcc, s0, v2
	s_cmp_lg_u64 vcc, 0
	s_subb_u32 s10, s1, s11
	v_subrev_co_u32_e32 v3, vcc, 10, v2
	s_cmp_lg_u64 vcc, 0
	s_subb_u32 s11, s10, 0
	v_readfirstlane_b32 s12, v3
	s_cmp_gt_u32 s12, 9
	s_cselect_b32 s12, -1, 0
	s_cmp_eq_u32 s11, 0
	s_cselect_b32 s11, s12, -1
	s_cmp_lg_u32 s11, 0
	s_cselect_b32 s4, s8, s4
	v_readfirstlane_b32 s8, v2
	s_cselect_b32 s5, s9, s5
	s_cmp_gt_u32 s8, 9
	s_cselect_b32 s8, -1, 0
	s_cmp_eq_u32 s10, 0
	s_cselect_b32 s8, s8, -1
	s_cmp_lg_u32 s8, 0
	v_mov_b32_e32 v1, 0
	s_cselect_b32 s3, s5, s3
	s_cselect_b32 s2, s4, s2
	v_cmp_eq_u64_e32 vcc, s[2:3], v[0:1]
	s_and_saveexec_b64 s[2:3], vcc
	s_cbranch_execz .LBB4864_107
; %bb.74:
	s_movk_i32 s2, 0xffb8
	v_mad_i32_i24 v2, v0, s2, v49
	v_mul_hi_u32_u24_e32 v1, 10, v0
	v_mov_b32_e32 v3, s1
	v_sub_co_u32_e32 v0, vcc, s0, v48
	v_subb_co_u32_e32 v1, vcc, v3, v1, vcc
	v_cmp_lt_i64_e32 vcc, 4, v[0:1]
	s_and_saveexec_b64 s[0:1], vcc
	s_xor_b64 s[0:1], exec, s[0:1]
	s_cbranch_execz .LBB4864_92
; %bb.75:
	v_cmp_lt_i64_e32 vcc, 6, v[0:1]
	s_and_saveexec_b64 s[2:3], vcc
	s_xor_b64 s[2:3], exec, s[2:3]
	s_cbranch_execz .LBB4864_85
; %bb.76:
	;; [unrolled: 5-line block ×4, first 2 shown]
	ds_read_b64 v[0:1], v2 offset:9216
	v_mov_b32_e32 v2, 0
	s_waitcnt lgkmcnt(0)
	global_store_dwordx2 v2, v[0:1], s[6:7]
                                        ; implicit-def: $vgpr2
.LBB4864_79:
	s_andn2_saveexec_b64 s[8:9], s[8:9]
	s_cbranch_execz .LBB4864_81
; %bb.80:
	ds_read_b64 v[0:1], v2 offset:8192
	v_mov_b32_e32 v2, 0
	s_waitcnt lgkmcnt(0)
	global_store_dwordx2 v2, v[0:1], s[6:7]
.LBB4864_81:
	s_or_b64 exec, exec, s[8:9]
                                        ; implicit-def: $vgpr2
.LBB4864_82:
	s_andn2_saveexec_b64 s[4:5], s[4:5]
	s_cbranch_execz .LBB4864_84
; %bb.83:
	ds_read_b64 v[0:1], v2 offset:7168
	v_mov_b32_e32 v2, 0
	s_waitcnt lgkmcnt(0)
	global_store_dwordx2 v2, v[0:1], s[6:7]
.LBB4864_84:
	s_or_b64 exec, exec, s[4:5]
                                        ; implicit-def: $vgpr2
                                        ; implicit-def: $vgpr0_vgpr1
.LBB4864_85:
	s_andn2_saveexec_b64 s[2:3], s[2:3]
	s_cbranch_execz .LBB4864_91
; %bb.86:
	v_cmp_lt_i64_e32 vcc, 5, v[0:1]
	s_and_saveexec_b64 s[4:5], vcc
	s_xor_b64 s[4:5], exec, s[4:5]
	s_cbranch_execz .LBB4864_88
; %bb.87:
	ds_read_b64 v[0:1], v2 offset:6144
	v_mov_b32_e32 v2, 0
	s_waitcnt lgkmcnt(0)
	global_store_dwordx2 v2, v[0:1], s[6:7]
                                        ; implicit-def: $vgpr2
.LBB4864_88:
	s_andn2_saveexec_b64 s[4:5], s[4:5]
	s_cbranch_execz .LBB4864_90
; %bb.89:
	ds_read_b64 v[0:1], v2 offset:5120
	v_mov_b32_e32 v2, 0
	s_waitcnt lgkmcnt(0)
	global_store_dwordx2 v2, v[0:1], s[6:7]
.LBB4864_90:
	s_or_b64 exec, exec, s[4:5]
.LBB4864_91:
	s_or_b64 exec, exec, s[2:3]
                                        ; implicit-def: $vgpr0_vgpr1
                                        ; implicit-def: $vgpr2
.LBB4864_92:
	s_andn2_saveexec_b64 s[0:1], s[0:1]
	s_cbranch_execz .LBB4864_107
; %bb.93:
	v_cmp_lt_i64_e32 vcc, 2, v[0:1]
	s_and_saveexec_b64 s[0:1], vcc
	s_xor_b64 s[0:1], exec, s[0:1]
	s_cbranch_execz .LBB4864_99
; %bb.94:
	v_cmp_lt_i64_e32 vcc, 3, v[0:1]
	s_and_saveexec_b64 s[2:3], vcc
	s_xor_b64 s[2:3], exec, s[2:3]
	s_cbranch_execz .LBB4864_96
; %bb.95:
	ds_read_b64 v[0:1], v2 offset:4096
	v_mov_b32_e32 v2, 0
	s_waitcnt lgkmcnt(0)
	global_store_dwordx2 v2, v[0:1], s[6:7]
                                        ; implicit-def: $vgpr2
.LBB4864_96:
	s_andn2_saveexec_b64 s[2:3], s[2:3]
	s_cbranch_execz .LBB4864_98
; %bb.97:
	ds_read_b64 v[0:1], v2 offset:3072
	v_mov_b32_e32 v2, 0
	s_waitcnt lgkmcnt(0)
	global_store_dwordx2 v2, v[0:1], s[6:7]
.LBB4864_98:
	s_or_b64 exec, exec, s[2:3]
                                        ; implicit-def: $vgpr0_vgpr1
                                        ; implicit-def: $vgpr2
.LBB4864_99:
	s_andn2_saveexec_b64 s[0:1], s[0:1]
	s_cbranch_execz .LBB4864_107
; %bb.100:
	v_cmp_lt_i64_e32 vcc, 1, v[0:1]
	s_and_saveexec_b64 s[0:1], vcc
	s_xor_b64 s[0:1], exec, s[0:1]
	s_cbranch_execz .LBB4864_102
; %bb.101:
	ds_read_b64 v[0:1], v2 offset:2048
	v_mov_b32_e32 v2, 0
	s_waitcnt lgkmcnt(0)
	global_store_dwordx2 v2, v[0:1], s[6:7]
                                        ; implicit-def: $vgpr2
                                        ; implicit-def: $vgpr0_vgpr1
.LBB4864_102:
	s_andn2_saveexec_b64 s[0:1], s[0:1]
	s_cbranch_execz .LBB4864_107
; %bb.103:
	v_cmp_ne_u64_e32 vcc, 1, v[0:1]
	s_and_saveexec_b64 s[0:1], vcc
	s_xor_b64 s[0:1], exec, s[0:1]
	s_cbranch_execz .LBB4864_105
; %bb.104:
	ds_read_b64 v[0:1], v2
	v_mov_b32_e32 v2, 0
	s_waitcnt lgkmcnt(0)
	global_store_dwordx2 v2, v[0:1], s[6:7]
                                        ; implicit-def: $vgpr2
.LBB4864_105:
	s_andn2_saveexec_b64 s[0:1], s[0:1]
	s_cbranch_execz .LBB4864_107
; %bb.106:
	ds_read_b64 v[0:1], v2 offset:1024
	v_mov_b32_e32 v2, 0
	s_waitcnt lgkmcnt(0)
	global_store_dwordx2 v2, v[0:1], s[6:7]
.LBB4864_107:
	s_endpgm
	.section	.rodata,"a",@progbits
	.p2align	6, 0x0
	.amdhsa_kernel _ZN7rocprim17ROCPRIM_400000_NS6detail17trampoline_kernelINS0_14default_configENS1_20scan_config_selectorIdEEZZNS1_9scan_implILNS1_25lookback_scan_determinismE0ELb0ELb0ES3_N6thrust23THRUST_200600_302600_NS6detail15normal_iteratorINS9_10device_ptrIdEEEENS9_16discard_iteratorINS9_11use_defaultEEEdNS9_4plusIvEEdEEDaPvRmT3_T4_T5_mT6_P12ihipStream_tbENKUlT_T0_E_clISt17integral_constantIbLb0EESX_EEDaSS_ST_EUlSS_E_NS1_11comp_targetILNS1_3genE4ELNS1_11target_archE910ELNS1_3gpuE8ELNS1_3repE0EEENS1_30default_config_static_selectorELNS0_4arch9wavefront6targetE1EEEvT1_
		.amdhsa_group_segment_fixed_size 10240
		.amdhsa_private_segment_fixed_size 0
		.amdhsa_kernarg_size 112
		.amdhsa_user_sgpr_count 6
		.amdhsa_user_sgpr_private_segment_buffer 1
		.amdhsa_user_sgpr_dispatch_ptr 0
		.amdhsa_user_sgpr_queue_ptr 0
		.amdhsa_user_sgpr_kernarg_segment_ptr 1
		.amdhsa_user_sgpr_dispatch_id 0
		.amdhsa_user_sgpr_flat_scratch_init 0
		.amdhsa_user_sgpr_kernarg_preload_length 0
		.amdhsa_user_sgpr_kernarg_preload_offset 0
		.amdhsa_user_sgpr_private_segment_size 0
		.amdhsa_uses_dynamic_stack 0
		.amdhsa_system_sgpr_private_segment_wavefront_offset 0
		.amdhsa_system_sgpr_workgroup_id_x 1
		.amdhsa_system_sgpr_workgroup_id_y 0
		.amdhsa_system_sgpr_workgroup_id_z 0
		.amdhsa_system_sgpr_workgroup_info 0
		.amdhsa_system_vgpr_workitem_id 0
		.amdhsa_next_free_vgpr 66
		.amdhsa_next_free_sgpr 22
		.amdhsa_accum_offset 68
		.amdhsa_reserve_vcc 1
		.amdhsa_reserve_flat_scratch 0
		.amdhsa_float_round_mode_32 0
		.amdhsa_float_round_mode_16_64 0
		.amdhsa_float_denorm_mode_32 3
		.amdhsa_float_denorm_mode_16_64 3
		.amdhsa_dx10_clamp 1
		.amdhsa_ieee_mode 1
		.amdhsa_fp16_overflow 0
		.amdhsa_tg_split 0
		.amdhsa_exception_fp_ieee_invalid_op 0
		.amdhsa_exception_fp_denorm_src 0
		.amdhsa_exception_fp_ieee_div_zero 0
		.amdhsa_exception_fp_ieee_overflow 0
		.amdhsa_exception_fp_ieee_underflow 0
		.amdhsa_exception_fp_ieee_inexact 0
		.amdhsa_exception_int_div_zero 0
	.end_amdhsa_kernel
	.section	.text._ZN7rocprim17ROCPRIM_400000_NS6detail17trampoline_kernelINS0_14default_configENS1_20scan_config_selectorIdEEZZNS1_9scan_implILNS1_25lookback_scan_determinismE0ELb0ELb0ES3_N6thrust23THRUST_200600_302600_NS6detail15normal_iteratorINS9_10device_ptrIdEEEENS9_16discard_iteratorINS9_11use_defaultEEEdNS9_4plusIvEEdEEDaPvRmT3_T4_T5_mT6_P12ihipStream_tbENKUlT_T0_E_clISt17integral_constantIbLb0EESX_EEDaSS_ST_EUlSS_E_NS1_11comp_targetILNS1_3genE4ELNS1_11target_archE910ELNS1_3gpuE8ELNS1_3repE0EEENS1_30default_config_static_selectorELNS0_4arch9wavefront6targetE1EEEvT1_,"axG",@progbits,_ZN7rocprim17ROCPRIM_400000_NS6detail17trampoline_kernelINS0_14default_configENS1_20scan_config_selectorIdEEZZNS1_9scan_implILNS1_25lookback_scan_determinismE0ELb0ELb0ES3_N6thrust23THRUST_200600_302600_NS6detail15normal_iteratorINS9_10device_ptrIdEEEENS9_16discard_iteratorINS9_11use_defaultEEEdNS9_4plusIvEEdEEDaPvRmT3_T4_T5_mT6_P12ihipStream_tbENKUlT_T0_E_clISt17integral_constantIbLb0EESX_EEDaSS_ST_EUlSS_E_NS1_11comp_targetILNS1_3genE4ELNS1_11target_archE910ELNS1_3gpuE8ELNS1_3repE0EEENS1_30default_config_static_selectorELNS0_4arch9wavefront6targetE1EEEvT1_,comdat
.Lfunc_end4864:
	.size	_ZN7rocprim17ROCPRIM_400000_NS6detail17trampoline_kernelINS0_14default_configENS1_20scan_config_selectorIdEEZZNS1_9scan_implILNS1_25lookback_scan_determinismE0ELb0ELb0ES3_N6thrust23THRUST_200600_302600_NS6detail15normal_iteratorINS9_10device_ptrIdEEEENS9_16discard_iteratorINS9_11use_defaultEEEdNS9_4plusIvEEdEEDaPvRmT3_T4_T5_mT6_P12ihipStream_tbENKUlT_T0_E_clISt17integral_constantIbLb0EESX_EEDaSS_ST_EUlSS_E_NS1_11comp_targetILNS1_3genE4ELNS1_11target_archE910ELNS1_3gpuE8ELNS1_3repE0EEENS1_30default_config_static_selectorELNS0_4arch9wavefront6targetE1EEEvT1_, .Lfunc_end4864-_ZN7rocprim17ROCPRIM_400000_NS6detail17trampoline_kernelINS0_14default_configENS1_20scan_config_selectorIdEEZZNS1_9scan_implILNS1_25lookback_scan_determinismE0ELb0ELb0ES3_N6thrust23THRUST_200600_302600_NS6detail15normal_iteratorINS9_10device_ptrIdEEEENS9_16discard_iteratorINS9_11use_defaultEEEdNS9_4plusIvEEdEEDaPvRmT3_T4_T5_mT6_P12ihipStream_tbENKUlT_T0_E_clISt17integral_constantIbLb0EESX_EEDaSS_ST_EUlSS_E_NS1_11comp_targetILNS1_3genE4ELNS1_11target_archE910ELNS1_3gpuE8ELNS1_3repE0EEENS1_30default_config_static_selectorELNS0_4arch9wavefront6targetE1EEEvT1_
                                        ; -- End function
	.section	.AMDGPU.csdata,"",@progbits
; Kernel info:
; codeLenInByte = 5472
; NumSgprs: 26
; NumVgprs: 66
; NumAgprs: 0
; TotalNumVgprs: 66
; ScratchSize: 0
; MemoryBound: 0
; FloatMode: 240
; IeeeMode: 1
; LDSByteSize: 10240 bytes/workgroup (compile time only)
; SGPRBlocks: 3
; VGPRBlocks: 8
; NumSGPRsForWavesPerEU: 26
; NumVGPRsForWavesPerEU: 66
; AccumOffset: 68
; Occupancy: 3
; WaveLimiterHint : 1
; COMPUTE_PGM_RSRC2:SCRATCH_EN: 0
; COMPUTE_PGM_RSRC2:USER_SGPR: 6
; COMPUTE_PGM_RSRC2:TRAP_HANDLER: 0
; COMPUTE_PGM_RSRC2:TGID_X_EN: 1
; COMPUTE_PGM_RSRC2:TGID_Y_EN: 0
; COMPUTE_PGM_RSRC2:TGID_Z_EN: 0
; COMPUTE_PGM_RSRC2:TIDIG_COMP_CNT: 0
; COMPUTE_PGM_RSRC3_GFX90A:ACCUM_OFFSET: 16
; COMPUTE_PGM_RSRC3_GFX90A:TG_SPLIT: 0
	.section	.text._ZN7rocprim17ROCPRIM_400000_NS6detail17trampoline_kernelINS0_14default_configENS1_20scan_config_selectorIdEEZZNS1_9scan_implILNS1_25lookback_scan_determinismE0ELb0ELb0ES3_N6thrust23THRUST_200600_302600_NS6detail15normal_iteratorINS9_10device_ptrIdEEEENS9_16discard_iteratorINS9_11use_defaultEEEdNS9_4plusIvEEdEEDaPvRmT3_T4_T5_mT6_P12ihipStream_tbENKUlT_T0_E_clISt17integral_constantIbLb0EESX_EEDaSS_ST_EUlSS_E_NS1_11comp_targetILNS1_3genE3ELNS1_11target_archE908ELNS1_3gpuE7ELNS1_3repE0EEENS1_30default_config_static_selectorELNS0_4arch9wavefront6targetE1EEEvT1_,"axG",@progbits,_ZN7rocprim17ROCPRIM_400000_NS6detail17trampoline_kernelINS0_14default_configENS1_20scan_config_selectorIdEEZZNS1_9scan_implILNS1_25lookback_scan_determinismE0ELb0ELb0ES3_N6thrust23THRUST_200600_302600_NS6detail15normal_iteratorINS9_10device_ptrIdEEEENS9_16discard_iteratorINS9_11use_defaultEEEdNS9_4plusIvEEdEEDaPvRmT3_T4_T5_mT6_P12ihipStream_tbENKUlT_T0_E_clISt17integral_constantIbLb0EESX_EEDaSS_ST_EUlSS_E_NS1_11comp_targetILNS1_3genE3ELNS1_11target_archE908ELNS1_3gpuE7ELNS1_3repE0EEENS1_30default_config_static_selectorELNS0_4arch9wavefront6targetE1EEEvT1_,comdat
	.protected	_ZN7rocprim17ROCPRIM_400000_NS6detail17trampoline_kernelINS0_14default_configENS1_20scan_config_selectorIdEEZZNS1_9scan_implILNS1_25lookback_scan_determinismE0ELb0ELb0ES3_N6thrust23THRUST_200600_302600_NS6detail15normal_iteratorINS9_10device_ptrIdEEEENS9_16discard_iteratorINS9_11use_defaultEEEdNS9_4plusIvEEdEEDaPvRmT3_T4_T5_mT6_P12ihipStream_tbENKUlT_T0_E_clISt17integral_constantIbLb0EESX_EEDaSS_ST_EUlSS_E_NS1_11comp_targetILNS1_3genE3ELNS1_11target_archE908ELNS1_3gpuE7ELNS1_3repE0EEENS1_30default_config_static_selectorELNS0_4arch9wavefront6targetE1EEEvT1_ ; -- Begin function _ZN7rocprim17ROCPRIM_400000_NS6detail17trampoline_kernelINS0_14default_configENS1_20scan_config_selectorIdEEZZNS1_9scan_implILNS1_25lookback_scan_determinismE0ELb0ELb0ES3_N6thrust23THRUST_200600_302600_NS6detail15normal_iteratorINS9_10device_ptrIdEEEENS9_16discard_iteratorINS9_11use_defaultEEEdNS9_4plusIvEEdEEDaPvRmT3_T4_T5_mT6_P12ihipStream_tbENKUlT_T0_E_clISt17integral_constantIbLb0EESX_EEDaSS_ST_EUlSS_E_NS1_11comp_targetILNS1_3genE3ELNS1_11target_archE908ELNS1_3gpuE7ELNS1_3repE0EEENS1_30default_config_static_selectorELNS0_4arch9wavefront6targetE1EEEvT1_
	.globl	_ZN7rocprim17ROCPRIM_400000_NS6detail17trampoline_kernelINS0_14default_configENS1_20scan_config_selectorIdEEZZNS1_9scan_implILNS1_25lookback_scan_determinismE0ELb0ELb0ES3_N6thrust23THRUST_200600_302600_NS6detail15normal_iteratorINS9_10device_ptrIdEEEENS9_16discard_iteratorINS9_11use_defaultEEEdNS9_4plusIvEEdEEDaPvRmT3_T4_T5_mT6_P12ihipStream_tbENKUlT_T0_E_clISt17integral_constantIbLb0EESX_EEDaSS_ST_EUlSS_E_NS1_11comp_targetILNS1_3genE3ELNS1_11target_archE908ELNS1_3gpuE7ELNS1_3repE0EEENS1_30default_config_static_selectorELNS0_4arch9wavefront6targetE1EEEvT1_
	.p2align	8
	.type	_ZN7rocprim17ROCPRIM_400000_NS6detail17trampoline_kernelINS0_14default_configENS1_20scan_config_selectorIdEEZZNS1_9scan_implILNS1_25lookback_scan_determinismE0ELb0ELb0ES3_N6thrust23THRUST_200600_302600_NS6detail15normal_iteratorINS9_10device_ptrIdEEEENS9_16discard_iteratorINS9_11use_defaultEEEdNS9_4plusIvEEdEEDaPvRmT3_T4_T5_mT6_P12ihipStream_tbENKUlT_T0_E_clISt17integral_constantIbLb0EESX_EEDaSS_ST_EUlSS_E_NS1_11comp_targetILNS1_3genE3ELNS1_11target_archE908ELNS1_3gpuE7ELNS1_3repE0EEENS1_30default_config_static_selectorELNS0_4arch9wavefront6targetE1EEEvT1_,@function
_ZN7rocprim17ROCPRIM_400000_NS6detail17trampoline_kernelINS0_14default_configENS1_20scan_config_selectorIdEEZZNS1_9scan_implILNS1_25lookback_scan_determinismE0ELb0ELb0ES3_N6thrust23THRUST_200600_302600_NS6detail15normal_iteratorINS9_10device_ptrIdEEEENS9_16discard_iteratorINS9_11use_defaultEEEdNS9_4plusIvEEdEEDaPvRmT3_T4_T5_mT6_P12ihipStream_tbENKUlT_T0_E_clISt17integral_constantIbLb0EESX_EEDaSS_ST_EUlSS_E_NS1_11comp_targetILNS1_3genE3ELNS1_11target_archE908ELNS1_3gpuE7ELNS1_3repE0EEENS1_30default_config_static_selectorELNS0_4arch9wavefront6targetE1EEEvT1_: ; @_ZN7rocprim17ROCPRIM_400000_NS6detail17trampoline_kernelINS0_14default_configENS1_20scan_config_selectorIdEEZZNS1_9scan_implILNS1_25lookback_scan_determinismE0ELb0ELb0ES3_N6thrust23THRUST_200600_302600_NS6detail15normal_iteratorINS9_10device_ptrIdEEEENS9_16discard_iteratorINS9_11use_defaultEEEdNS9_4plusIvEEdEEDaPvRmT3_T4_T5_mT6_P12ihipStream_tbENKUlT_T0_E_clISt17integral_constantIbLb0EESX_EEDaSS_ST_EUlSS_E_NS1_11comp_targetILNS1_3genE3ELNS1_11target_archE908ELNS1_3gpuE7ELNS1_3repE0EEENS1_30default_config_static_selectorELNS0_4arch9wavefront6targetE1EEEvT1_
; %bb.0:
	.section	.rodata,"a",@progbits
	.p2align	6, 0x0
	.amdhsa_kernel _ZN7rocprim17ROCPRIM_400000_NS6detail17trampoline_kernelINS0_14default_configENS1_20scan_config_selectorIdEEZZNS1_9scan_implILNS1_25lookback_scan_determinismE0ELb0ELb0ES3_N6thrust23THRUST_200600_302600_NS6detail15normal_iteratorINS9_10device_ptrIdEEEENS9_16discard_iteratorINS9_11use_defaultEEEdNS9_4plusIvEEdEEDaPvRmT3_T4_T5_mT6_P12ihipStream_tbENKUlT_T0_E_clISt17integral_constantIbLb0EESX_EEDaSS_ST_EUlSS_E_NS1_11comp_targetILNS1_3genE3ELNS1_11target_archE908ELNS1_3gpuE7ELNS1_3repE0EEENS1_30default_config_static_selectorELNS0_4arch9wavefront6targetE1EEEvT1_
		.amdhsa_group_segment_fixed_size 0
		.amdhsa_private_segment_fixed_size 0
		.amdhsa_kernarg_size 112
		.amdhsa_user_sgpr_count 6
		.amdhsa_user_sgpr_private_segment_buffer 1
		.amdhsa_user_sgpr_dispatch_ptr 0
		.amdhsa_user_sgpr_queue_ptr 0
		.amdhsa_user_sgpr_kernarg_segment_ptr 1
		.amdhsa_user_sgpr_dispatch_id 0
		.amdhsa_user_sgpr_flat_scratch_init 0
		.amdhsa_user_sgpr_kernarg_preload_length 0
		.amdhsa_user_sgpr_kernarg_preload_offset 0
		.amdhsa_user_sgpr_private_segment_size 0
		.amdhsa_uses_dynamic_stack 0
		.amdhsa_system_sgpr_private_segment_wavefront_offset 0
		.amdhsa_system_sgpr_workgroup_id_x 1
		.amdhsa_system_sgpr_workgroup_id_y 0
		.amdhsa_system_sgpr_workgroup_id_z 0
		.amdhsa_system_sgpr_workgroup_info 0
		.amdhsa_system_vgpr_workitem_id 0
		.amdhsa_next_free_vgpr 1
		.amdhsa_next_free_sgpr 0
		.amdhsa_accum_offset 4
		.amdhsa_reserve_vcc 0
		.amdhsa_reserve_flat_scratch 0
		.amdhsa_float_round_mode_32 0
		.amdhsa_float_round_mode_16_64 0
		.amdhsa_float_denorm_mode_32 3
		.amdhsa_float_denorm_mode_16_64 3
		.amdhsa_dx10_clamp 1
		.amdhsa_ieee_mode 1
		.amdhsa_fp16_overflow 0
		.amdhsa_tg_split 0
		.amdhsa_exception_fp_ieee_invalid_op 0
		.amdhsa_exception_fp_denorm_src 0
		.amdhsa_exception_fp_ieee_div_zero 0
		.amdhsa_exception_fp_ieee_overflow 0
		.amdhsa_exception_fp_ieee_underflow 0
		.amdhsa_exception_fp_ieee_inexact 0
		.amdhsa_exception_int_div_zero 0
	.end_amdhsa_kernel
	.section	.text._ZN7rocprim17ROCPRIM_400000_NS6detail17trampoline_kernelINS0_14default_configENS1_20scan_config_selectorIdEEZZNS1_9scan_implILNS1_25lookback_scan_determinismE0ELb0ELb0ES3_N6thrust23THRUST_200600_302600_NS6detail15normal_iteratorINS9_10device_ptrIdEEEENS9_16discard_iteratorINS9_11use_defaultEEEdNS9_4plusIvEEdEEDaPvRmT3_T4_T5_mT6_P12ihipStream_tbENKUlT_T0_E_clISt17integral_constantIbLb0EESX_EEDaSS_ST_EUlSS_E_NS1_11comp_targetILNS1_3genE3ELNS1_11target_archE908ELNS1_3gpuE7ELNS1_3repE0EEENS1_30default_config_static_selectorELNS0_4arch9wavefront6targetE1EEEvT1_,"axG",@progbits,_ZN7rocprim17ROCPRIM_400000_NS6detail17trampoline_kernelINS0_14default_configENS1_20scan_config_selectorIdEEZZNS1_9scan_implILNS1_25lookback_scan_determinismE0ELb0ELb0ES3_N6thrust23THRUST_200600_302600_NS6detail15normal_iteratorINS9_10device_ptrIdEEEENS9_16discard_iteratorINS9_11use_defaultEEEdNS9_4plusIvEEdEEDaPvRmT3_T4_T5_mT6_P12ihipStream_tbENKUlT_T0_E_clISt17integral_constantIbLb0EESX_EEDaSS_ST_EUlSS_E_NS1_11comp_targetILNS1_3genE3ELNS1_11target_archE908ELNS1_3gpuE7ELNS1_3repE0EEENS1_30default_config_static_selectorELNS0_4arch9wavefront6targetE1EEEvT1_,comdat
.Lfunc_end4865:
	.size	_ZN7rocprim17ROCPRIM_400000_NS6detail17trampoline_kernelINS0_14default_configENS1_20scan_config_selectorIdEEZZNS1_9scan_implILNS1_25lookback_scan_determinismE0ELb0ELb0ES3_N6thrust23THRUST_200600_302600_NS6detail15normal_iteratorINS9_10device_ptrIdEEEENS9_16discard_iteratorINS9_11use_defaultEEEdNS9_4plusIvEEdEEDaPvRmT3_T4_T5_mT6_P12ihipStream_tbENKUlT_T0_E_clISt17integral_constantIbLb0EESX_EEDaSS_ST_EUlSS_E_NS1_11comp_targetILNS1_3genE3ELNS1_11target_archE908ELNS1_3gpuE7ELNS1_3repE0EEENS1_30default_config_static_selectorELNS0_4arch9wavefront6targetE1EEEvT1_, .Lfunc_end4865-_ZN7rocprim17ROCPRIM_400000_NS6detail17trampoline_kernelINS0_14default_configENS1_20scan_config_selectorIdEEZZNS1_9scan_implILNS1_25lookback_scan_determinismE0ELb0ELb0ES3_N6thrust23THRUST_200600_302600_NS6detail15normal_iteratorINS9_10device_ptrIdEEEENS9_16discard_iteratorINS9_11use_defaultEEEdNS9_4plusIvEEdEEDaPvRmT3_T4_T5_mT6_P12ihipStream_tbENKUlT_T0_E_clISt17integral_constantIbLb0EESX_EEDaSS_ST_EUlSS_E_NS1_11comp_targetILNS1_3genE3ELNS1_11target_archE908ELNS1_3gpuE7ELNS1_3repE0EEENS1_30default_config_static_selectorELNS0_4arch9wavefront6targetE1EEEvT1_
                                        ; -- End function
	.section	.AMDGPU.csdata,"",@progbits
; Kernel info:
; codeLenInByte = 0
; NumSgprs: 4
; NumVgprs: 0
; NumAgprs: 0
; TotalNumVgprs: 0
; ScratchSize: 0
; MemoryBound: 0
; FloatMode: 240
; IeeeMode: 1
; LDSByteSize: 0 bytes/workgroup (compile time only)
; SGPRBlocks: 0
; VGPRBlocks: 0
; NumSGPRsForWavesPerEU: 4
; NumVGPRsForWavesPerEU: 1
; AccumOffset: 4
; Occupancy: 8
; WaveLimiterHint : 0
; COMPUTE_PGM_RSRC2:SCRATCH_EN: 0
; COMPUTE_PGM_RSRC2:USER_SGPR: 6
; COMPUTE_PGM_RSRC2:TRAP_HANDLER: 0
; COMPUTE_PGM_RSRC2:TGID_X_EN: 1
; COMPUTE_PGM_RSRC2:TGID_Y_EN: 0
; COMPUTE_PGM_RSRC2:TGID_Z_EN: 0
; COMPUTE_PGM_RSRC2:TIDIG_COMP_CNT: 0
; COMPUTE_PGM_RSRC3_GFX90A:ACCUM_OFFSET: 0
; COMPUTE_PGM_RSRC3_GFX90A:TG_SPLIT: 0
	.section	.text._ZN7rocprim17ROCPRIM_400000_NS6detail17trampoline_kernelINS0_14default_configENS1_20scan_config_selectorIdEEZZNS1_9scan_implILNS1_25lookback_scan_determinismE0ELb0ELb0ES3_N6thrust23THRUST_200600_302600_NS6detail15normal_iteratorINS9_10device_ptrIdEEEENS9_16discard_iteratorINS9_11use_defaultEEEdNS9_4plusIvEEdEEDaPvRmT3_T4_T5_mT6_P12ihipStream_tbENKUlT_T0_E_clISt17integral_constantIbLb0EESX_EEDaSS_ST_EUlSS_E_NS1_11comp_targetILNS1_3genE2ELNS1_11target_archE906ELNS1_3gpuE6ELNS1_3repE0EEENS1_30default_config_static_selectorELNS0_4arch9wavefront6targetE1EEEvT1_,"axG",@progbits,_ZN7rocprim17ROCPRIM_400000_NS6detail17trampoline_kernelINS0_14default_configENS1_20scan_config_selectorIdEEZZNS1_9scan_implILNS1_25lookback_scan_determinismE0ELb0ELb0ES3_N6thrust23THRUST_200600_302600_NS6detail15normal_iteratorINS9_10device_ptrIdEEEENS9_16discard_iteratorINS9_11use_defaultEEEdNS9_4plusIvEEdEEDaPvRmT3_T4_T5_mT6_P12ihipStream_tbENKUlT_T0_E_clISt17integral_constantIbLb0EESX_EEDaSS_ST_EUlSS_E_NS1_11comp_targetILNS1_3genE2ELNS1_11target_archE906ELNS1_3gpuE6ELNS1_3repE0EEENS1_30default_config_static_selectorELNS0_4arch9wavefront6targetE1EEEvT1_,comdat
	.protected	_ZN7rocprim17ROCPRIM_400000_NS6detail17trampoline_kernelINS0_14default_configENS1_20scan_config_selectorIdEEZZNS1_9scan_implILNS1_25lookback_scan_determinismE0ELb0ELb0ES3_N6thrust23THRUST_200600_302600_NS6detail15normal_iteratorINS9_10device_ptrIdEEEENS9_16discard_iteratorINS9_11use_defaultEEEdNS9_4plusIvEEdEEDaPvRmT3_T4_T5_mT6_P12ihipStream_tbENKUlT_T0_E_clISt17integral_constantIbLb0EESX_EEDaSS_ST_EUlSS_E_NS1_11comp_targetILNS1_3genE2ELNS1_11target_archE906ELNS1_3gpuE6ELNS1_3repE0EEENS1_30default_config_static_selectorELNS0_4arch9wavefront6targetE1EEEvT1_ ; -- Begin function _ZN7rocprim17ROCPRIM_400000_NS6detail17trampoline_kernelINS0_14default_configENS1_20scan_config_selectorIdEEZZNS1_9scan_implILNS1_25lookback_scan_determinismE0ELb0ELb0ES3_N6thrust23THRUST_200600_302600_NS6detail15normal_iteratorINS9_10device_ptrIdEEEENS9_16discard_iteratorINS9_11use_defaultEEEdNS9_4plusIvEEdEEDaPvRmT3_T4_T5_mT6_P12ihipStream_tbENKUlT_T0_E_clISt17integral_constantIbLb0EESX_EEDaSS_ST_EUlSS_E_NS1_11comp_targetILNS1_3genE2ELNS1_11target_archE906ELNS1_3gpuE6ELNS1_3repE0EEENS1_30default_config_static_selectorELNS0_4arch9wavefront6targetE1EEEvT1_
	.globl	_ZN7rocprim17ROCPRIM_400000_NS6detail17trampoline_kernelINS0_14default_configENS1_20scan_config_selectorIdEEZZNS1_9scan_implILNS1_25lookback_scan_determinismE0ELb0ELb0ES3_N6thrust23THRUST_200600_302600_NS6detail15normal_iteratorINS9_10device_ptrIdEEEENS9_16discard_iteratorINS9_11use_defaultEEEdNS9_4plusIvEEdEEDaPvRmT3_T4_T5_mT6_P12ihipStream_tbENKUlT_T0_E_clISt17integral_constantIbLb0EESX_EEDaSS_ST_EUlSS_E_NS1_11comp_targetILNS1_3genE2ELNS1_11target_archE906ELNS1_3gpuE6ELNS1_3repE0EEENS1_30default_config_static_selectorELNS0_4arch9wavefront6targetE1EEEvT1_
	.p2align	8
	.type	_ZN7rocprim17ROCPRIM_400000_NS6detail17trampoline_kernelINS0_14default_configENS1_20scan_config_selectorIdEEZZNS1_9scan_implILNS1_25lookback_scan_determinismE0ELb0ELb0ES3_N6thrust23THRUST_200600_302600_NS6detail15normal_iteratorINS9_10device_ptrIdEEEENS9_16discard_iteratorINS9_11use_defaultEEEdNS9_4plusIvEEdEEDaPvRmT3_T4_T5_mT6_P12ihipStream_tbENKUlT_T0_E_clISt17integral_constantIbLb0EESX_EEDaSS_ST_EUlSS_E_NS1_11comp_targetILNS1_3genE2ELNS1_11target_archE906ELNS1_3gpuE6ELNS1_3repE0EEENS1_30default_config_static_selectorELNS0_4arch9wavefront6targetE1EEEvT1_,@function
_ZN7rocprim17ROCPRIM_400000_NS6detail17trampoline_kernelINS0_14default_configENS1_20scan_config_selectorIdEEZZNS1_9scan_implILNS1_25lookback_scan_determinismE0ELb0ELb0ES3_N6thrust23THRUST_200600_302600_NS6detail15normal_iteratorINS9_10device_ptrIdEEEENS9_16discard_iteratorINS9_11use_defaultEEEdNS9_4plusIvEEdEEDaPvRmT3_T4_T5_mT6_P12ihipStream_tbENKUlT_T0_E_clISt17integral_constantIbLb0EESX_EEDaSS_ST_EUlSS_E_NS1_11comp_targetILNS1_3genE2ELNS1_11target_archE906ELNS1_3gpuE6ELNS1_3repE0EEENS1_30default_config_static_selectorELNS0_4arch9wavefront6targetE1EEEvT1_: ; @_ZN7rocprim17ROCPRIM_400000_NS6detail17trampoline_kernelINS0_14default_configENS1_20scan_config_selectorIdEEZZNS1_9scan_implILNS1_25lookback_scan_determinismE0ELb0ELb0ES3_N6thrust23THRUST_200600_302600_NS6detail15normal_iteratorINS9_10device_ptrIdEEEENS9_16discard_iteratorINS9_11use_defaultEEEdNS9_4plusIvEEdEEDaPvRmT3_T4_T5_mT6_P12ihipStream_tbENKUlT_T0_E_clISt17integral_constantIbLb0EESX_EEDaSS_ST_EUlSS_E_NS1_11comp_targetILNS1_3genE2ELNS1_11target_archE906ELNS1_3gpuE6ELNS1_3repE0EEENS1_30default_config_static_selectorELNS0_4arch9wavefront6targetE1EEEvT1_
; %bb.0:
	.section	.rodata,"a",@progbits
	.p2align	6, 0x0
	.amdhsa_kernel _ZN7rocprim17ROCPRIM_400000_NS6detail17trampoline_kernelINS0_14default_configENS1_20scan_config_selectorIdEEZZNS1_9scan_implILNS1_25lookback_scan_determinismE0ELb0ELb0ES3_N6thrust23THRUST_200600_302600_NS6detail15normal_iteratorINS9_10device_ptrIdEEEENS9_16discard_iteratorINS9_11use_defaultEEEdNS9_4plusIvEEdEEDaPvRmT3_T4_T5_mT6_P12ihipStream_tbENKUlT_T0_E_clISt17integral_constantIbLb0EESX_EEDaSS_ST_EUlSS_E_NS1_11comp_targetILNS1_3genE2ELNS1_11target_archE906ELNS1_3gpuE6ELNS1_3repE0EEENS1_30default_config_static_selectorELNS0_4arch9wavefront6targetE1EEEvT1_
		.amdhsa_group_segment_fixed_size 0
		.amdhsa_private_segment_fixed_size 0
		.amdhsa_kernarg_size 112
		.amdhsa_user_sgpr_count 6
		.amdhsa_user_sgpr_private_segment_buffer 1
		.amdhsa_user_sgpr_dispatch_ptr 0
		.amdhsa_user_sgpr_queue_ptr 0
		.amdhsa_user_sgpr_kernarg_segment_ptr 1
		.amdhsa_user_sgpr_dispatch_id 0
		.amdhsa_user_sgpr_flat_scratch_init 0
		.amdhsa_user_sgpr_kernarg_preload_length 0
		.amdhsa_user_sgpr_kernarg_preload_offset 0
		.amdhsa_user_sgpr_private_segment_size 0
		.amdhsa_uses_dynamic_stack 0
		.amdhsa_system_sgpr_private_segment_wavefront_offset 0
		.amdhsa_system_sgpr_workgroup_id_x 1
		.amdhsa_system_sgpr_workgroup_id_y 0
		.amdhsa_system_sgpr_workgroup_id_z 0
		.amdhsa_system_sgpr_workgroup_info 0
		.amdhsa_system_vgpr_workitem_id 0
		.amdhsa_next_free_vgpr 1
		.amdhsa_next_free_sgpr 0
		.amdhsa_accum_offset 4
		.amdhsa_reserve_vcc 0
		.amdhsa_reserve_flat_scratch 0
		.amdhsa_float_round_mode_32 0
		.amdhsa_float_round_mode_16_64 0
		.amdhsa_float_denorm_mode_32 3
		.amdhsa_float_denorm_mode_16_64 3
		.amdhsa_dx10_clamp 1
		.amdhsa_ieee_mode 1
		.amdhsa_fp16_overflow 0
		.amdhsa_tg_split 0
		.amdhsa_exception_fp_ieee_invalid_op 0
		.amdhsa_exception_fp_denorm_src 0
		.amdhsa_exception_fp_ieee_div_zero 0
		.amdhsa_exception_fp_ieee_overflow 0
		.amdhsa_exception_fp_ieee_underflow 0
		.amdhsa_exception_fp_ieee_inexact 0
		.amdhsa_exception_int_div_zero 0
	.end_amdhsa_kernel
	.section	.text._ZN7rocprim17ROCPRIM_400000_NS6detail17trampoline_kernelINS0_14default_configENS1_20scan_config_selectorIdEEZZNS1_9scan_implILNS1_25lookback_scan_determinismE0ELb0ELb0ES3_N6thrust23THRUST_200600_302600_NS6detail15normal_iteratorINS9_10device_ptrIdEEEENS9_16discard_iteratorINS9_11use_defaultEEEdNS9_4plusIvEEdEEDaPvRmT3_T4_T5_mT6_P12ihipStream_tbENKUlT_T0_E_clISt17integral_constantIbLb0EESX_EEDaSS_ST_EUlSS_E_NS1_11comp_targetILNS1_3genE2ELNS1_11target_archE906ELNS1_3gpuE6ELNS1_3repE0EEENS1_30default_config_static_selectorELNS0_4arch9wavefront6targetE1EEEvT1_,"axG",@progbits,_ZN7rocprim17ROCPRIM_400000_NS6detail17trampoline_kernelINS0_14default_configENS1_20scan_config_selectorIdEEZZNS1_9scan_implILNS1_25lookback_scan_determinismE0ELb0ELb0ES3_N6thrust23THRUST_200600_302600_NS6detail15normal_iteratorINS9_10device_ptrIdEEEENS9_16discard_iteratorINS9_11use_defaultEEEdNS9_4plusIvEEdEEDaPvRmT3_T4_T5_mT6_P12ihipStream_tbENKUlT_T0_E_clISt17integral_constantIbLb0EESX_EEDaSS_ST_EUlSS_E_NS1_11comp_targetILNS1_3genE2ELNS1_11target_archE906ELNS1_3gpuE6ELNS1_3repE0EEENS1_30default_config_static_selectorELNS0_4arch9wavefront6targetE1EEEvT1_,comdat
.Lfunc_end4866:
	.size	_ZN7rocprim17ROCPRIM_400000_NS6detail17trampoline_kernelINS0_14default_configENS1_20scan_config_selectorIdEEZZNS1_9scan_implILNS1_25lookback_scan_determinismE0ELb0ELb0ES3_N6thrust23THRUST_200600_302600_NS6detail15normal_iteratorINS9_10device_ptrIdEEEENS9_16discard_iteratorINS9_11use_defaultEEEdNS9_4plusIvEEdEEDaPvRmT3_T4_T5_mT6_P12ihipStream_tbENKUlT_T0_E_clISt17integral_constantIbLb0EESX_EEDaSS_ST_EUlSS_E_NS1_11comp_targetILNS1_3genE2ELNS1_11target_archE906ELNS1_3gpuE6ELNS1_3repE0EEENS1_30default_config_static_selectorELNS0_4arch9wavefront6targetE1EEEvT1_, .Lfunc_end4866-_ZN7rocprim17ROCPRIM_400000_NS6detail17trampoline_kernelINS0_14default_configENS1_20scan_config_selectorIdEEZZNS1_9scan_implILNS1_25lookback_scan_determinismE0ELb0ELb0ES3_N6thrust23THRUST_200600_302600_NS6detail15normal_iteratorINS9_10device_ptrIdEEEENS9_16discard_iteratorINS9_11use_defaultEEEdNS9_4plusIvEEdEEDaPvRmT3_T4_T5_mT6_P12ihipStream_tbENKUlT_T0_E_clISt17integral_constantIbLb0EESX_EEDaSS_ST_EUlSS_E_NS1_11comp_targetILNS1_3genE2ELNS1_11target_archE906ELNS1_3gpuE6ELNS1_3repE0EEENS1_30default_config_static_selectorELNS0_4arch9wavefront6targetE1EEEvT1_
                                        ; -- End function
	.section	.AMDGPU.csdata,"",@progbits
; Kernel info:
; codeLenInByte = 0
; NumSgprs: 4
; NumVgprs: 0
; NumAgprs: 0
; TotalNumVgprs: 0
; ScratchSize: 0
; MemoryBound: 0
; FloatMode: 240
; IeeeMode: 1
; LDSByteSize: 0 bytes/workgroup (compile time only)
; SGPRBlocks: 0
; VGPRBlocks: 0
; NumSGPRsForWavesPerEU: 4
; NumVGPRsForWavesPerEU: 1
; AccumOffset: 4
; Occupancy: 8
; WaveLimiterHint : 0
; COMPUTE_PGM_RSRC2:SCRATCH_EN: 0
; COMPUTE_PGM_RSRC2:USER_SGPR: 6
; COMPUTE_PGM_RSRC2:TRAP_HANDLER: 0
; COMPUTE_PGM_RSRC2:TGID_X_EN: 1
; COMPUTE_PGM_RSRC2:TGID_Y_EN: 0
; COMPUTE_PGM_RSRC2:TGID_Z_EN: 0
; COMPUTE_PGM_RSRC2:TIDIG_COMP_CNT: 0
; COMPUTE_PGM_RSRC3_GFX90A:ACCUM_OFFSET: 0
; COMPUTE_PGM_RSRC3_GFX90A:TG_SPLIT: 0
	.section	.text._ZN7rocprim17ROCPRIM_400000_NS6detail17trampoline_kernelINS0_14default_configENS1_20scan_config_selectorIdEEZZNS1_9scan_implILNS1_25lookback_scan_determinismE0ELb0ELb0ES3_N6thrust23THRUST_200600_302600_NS6detail15normal_iteratorINS9_10device_ptrIdEEEENS9_16discard_iteratorINS9_11use_defaultEEEdNS9_4plusIvEEdEEDaPvRmT3_T4_T5_mT6_P12ihipStream_tbENKUlT_T0_E_clISt17integral_constantIbLb0EESX_EEDaSS_ST_EUlSS_E_NS1_11comp_targetILNS1_3genE10ELNS1_11target_archE1201ELNS1_3gpuE5ELNS1_3repE0EEENS1_30default_config_static_selectorELNS0_4arch9wavefront6targetE1EEEvT1_,"axG",@progbits,_ZN7rocprim17ROCPRIM_400000_NS6detail17trampoline_kernelINS0_14default_configENS1_20scan_config_selectorIdEEZZNS1_9scan_implILNS1_25lookback_scan_determinismE0ELb0ELb0ES3_N6thrust23THRUST_200600_302600_NS6detail15normal_iteratorINS9_10device_ptrIdEEEENS9_16discard_iteratorINS9_11use_defaultEEEdNS9_4plusIvEEdEEDaPvRmT3_T4_T5_mT6_P12ihipStream_tbENKUlT_T0_E_clISt17integral_constantIbLb0EESX_EEDaSS_ST_EUlSS_E_NS1_11comp_targetILNS1_3genE10ELNS1_11target_archE1201ELNS1_3gpuE5ELNS1_3repE0EEENS1_30default_config_static_selectorELNS0_4arch9wavefront6targetE1EEEvT1_,comdat
	.protected	_ZN7rocprim17ROCPRIM_400000_NS6detail17trampoline_kernelINS0_14default_configENS1_20scan_config_selectorIdEEZZNS1_9scan_implILNS1_25lookback_scan_determinismE0ELb0ELb0ES3_N6thrust23THRUST_200600_302600_NS6detail15normal_iteratorINS9_10device_ptrIdEEEENS9_16discard_iteratorINS9_11use_defaultEEEdNS9_4plusIvEEdEEDaPvRmT3_T4_T5_mT6_P12ihipStream_tbENKUlT_T0_E_clISt17integral_constantIbLb0EESX_EEDaSS_ST_EUlSS_E_NS1_11comp_targetILNS1_3genE10ELNS1_11target_archE1201ELNS1_3gpuE5ELNS1_3repE0EEENS1_30default_config_static_selectorELNS0_4arch9wavefront6targetE1EEEvT1_ ; -- Begin function _ZN7rocprim17ROCPRIM_400000_NS6detail17trampoline_kernelINS0_14default_configENS1_20scan_config_selectorIdEEZZNS1_9scan_implILNS1_25lookback_scan_determinismE0ELb0ELb0ES3_N6thrust23THRUST_200600_302600_NS6detail15normal_iteratorINS9_10device_ptrIdEEEENS9_16discard_iteratorINS9_11use_defaultEEEdNS9_4plusIvEEdEEDaPvRmT3_T4_T5_mT6_P12ihipStream_tbENKUlT_T0_E_clISt17integral_constantIbLb0EESX_EEDaSS_ST_EUlSS_E_NS1_11comp_targetILNS1_3genE10ELNS1_11target_archE1201ELNS1_3gpuE5ELNS1_3repE0EEENS1_30default_config_static_selectorELNS0_4arch9wavefront6targetE1EEEvT1_
	.globl	_ZN7rocprim17ROCPRIM_400000_NS6detail17trampoline_kernelINS0_14default_configENS1_20scan_config_selectorIdEEZZNS1_9scan_implILNS1_25lookback_scan_determinismE0ELb0ELb0ES3_N6thrust23THRUST_200600_302600_NS6detail15normal_iteratorINS9_10device_ptrIdEEEENS9_16discard_iteratorINS9_11use_defaultEEEdNS9_4plusIvEEdEEDaPvRmT3_T4_T5_mT6_P12ihipStream_tbENKUlT_T0_E_clISt17integral_constantIbLb0EESX_EEDaSS_ST_EUlSS_E_NS1_11comp_targetILNS1_3genE10ELNS1_11target_archE1201ELNS1_3gpuE5ELNS1_3repE0EEENS1_30default_config_static_selectorELNS0_4arch9wavefront6targetE1EEEvT1_
	.p2align	8
	.type	_ZN7rocprim17ROCPRIM_400000_NS6detail17trampoline_kernelINS0_14default_configENS1_20scan_config_selectorIdEEZZNS1_9scan_implILNS1_25lookback_scan_determinismE0ELb0ELb0ES3_N6thrust23THRUST_200600_302600_NS6detail15normal_iteratorINS9_10device_ptrIdEEEENS9_16discard_iteratorINS9_11use_defaultEEEdNS9_4plusIvEEdEEDaPvRmT3_T4_T5_mT6_P12ihipStream_tbENKUlT_T0_E_clISt17integral_constantIbLb0EESX_EEDaSS_ST_EUlSS_E_NS1_11comp_targetILNS1_3genE10ELNS1_11target_archE1201ELNS1_3gpuE5ELNS1_3repE0EEENS1_30default_config_static_selectorELNS0_4arch9wavefront6targetE1EEEvT1_,@function
_ZN7rocprim17ROCPRIM_400000_NS6detail17trampoline_kernelINS0_14default_configENS1_20scan_config_selectorIdEEZZNS1_9scan_implILNS1_25lookback_scan_determinismE0ELb0ELb0ES3_N6thrust23THRUST_200600_302600_NS6detail15normal_iteratorINS9_10device_ptrIdEEEENS9_16discard_iteratorINS9_11use_defaultEEEdNS9_4plusIvEEdEEDaPvRmT3_T4_T5_mT6_P12ihipStream_tbENKUlT_T0_E_clISt17integral_constantIbLb0EESX_EEDaSS_ST_EUlSS_E_NS1_11comp_targetILNS1_3genE10ELNS1_11target_archE1201ELNS1_3gpuE5ELNS1_3repE0EEENS1_30default_config_static_selectorELNS0_4arch9wavefront6targetE1EEEvT1_: ; @_ZN7rocprim17ROCPRIM_400000_NS6detail17trampoline_kernelINS0_14default_configENS1_20scan_config_selectorIdEEZZNS1_9scan_implILNS1_25lookback_scan_determinismE0ELb0ELb0ES3_N6thrust23THRUST_200600_302600_NS6detail15normal_iteratorINS9_10device_ptrIdEEEENS9_16discard_iteratorINS9_11use_defaultEEEdNS9_4plusIvEEdEEDaPvRmT3_T4_T5_mT6_P12ihipStream_tbENKUlT_T0_E_clISt17integral_constantIbLb0EESX_EEDaSS_ST_EUlSS_E_NS1_11comp_targetILNS1_3genE10ELNS1_11target_archE1201ELNS1_3gpuE5ELNS1_3repE0EEENS1_30default_config_static_selectorELNS0_4arch9wavefront6targetE1EEEvT1_
; %bb.0:
	.section	.rodata,"a",@progbits
	.p2align	6, 0x0
	.amdhsa_kernel _ZN7rocprim17ROCPRIM_400000_NS6detail17trampoline_kernelINS0_14default_configENS1_20scan_config_selectorIdEEZZNS1_9scan_implILNS1_25lookback_scan_determinismE0ELb0ELb0ES3_N6thrust23THRUST_200600_302600_NS6detail15normal_iteratorINS9_10device_ptrIdEEEENS9_16discard_iteratorINS9_11use_defaultEEEdNS9_4plusIvEEdEEDaPvRmT3_T4_T5_mT6_P12ihipStream_tbENKUlT_T0_E_clISt17integral_constantIbLb0EESX_EEDaSS_ST_EUlSS_E_NS1_11comp_targetILNS1_3genE10ELNS1_11target_archE1201ELNS1_3gpuE5ELNS1_3repE0EEENS1_30default_config_static_selectorELNS0_4arch9wavefront6targetE1EEEvT1_
		.amdhsa_group_segment_fixed_size 0
		.amdhsa_private_segment_fixed_size 0
		.amdhsa_kernarg_size 112
		.amdhsa_user_sgpr_count 6
		.amdhsa_user_sgpr_private_segment_buffer 1
		.amdhsa_user_sgpr_dispatch_ptr 0
		.amdhsa_user_sgpr_queue_ptr 0
		.amdhsa_user_sgpr_kernarg_segment_ptr 1
		.amdhsa_user_sgpr_dispatch_id 0
		.amdhsa_user_sgpr_flat_scratch_init 0
		.amdhsa_user_sgpr_kernarg_preload_length 0
		.amdhsa_user_sgpr_kernarg_preload_offset 0
		.amdhsa_user_sgpr_private_segment_size 0
		.amdhsa_uses_dynamic_stack 0
		.amdhsa_system_sgpr_private_segment_wavefront_offset 0
		.amdhsa_system_sgpr_workgroup_id_x 1
		.amdhsa_system_sgpr_workgroup_id_y 0
		.amdhsa_system_sgpr_workgroup_id_z 0
		.amdhsa_system_sgpr_workgroup_info 0
		.amdhsa_system_vgpr_workitem_id 0
		.amdhsa_next_free_vgpr 1
		.amdhsa_next_free_sgpr 0
		.amdhsa_accum_offset 4
		.amdhsa_reserve_vcc 0
		.amdhsa_reserve_flat_scratch 0
		.amdhsa_float_round_mode_32 0
		.amdhsa_float_round_mode_16_64 0
		.amdhsa_float_denorm_mode_32 3
		.amdhsa_float_denorm_mode_16_64 3
		.amdhsa_dx10_clamp 1
		.amdhsa_ieee_mode 1
		.amdhsa_fp16_overflow 0
		.amdhsa_tg_split 0
		.amdhsa_exception_fp_ieee_invalid_op 0
		.amdhsa_exception_fp_denorm_src 0
		.amdhsa_exception_fp_ieee_div_zero 0
		.amdhsa_exception_fp_ieee_overflow 0
		.amdhsa_exception_fp_ieee_underflow 0
		.amdhsa_exception_fp_ieee_inexact 0
		.amdhsa_exception_int_div_zero 0
	.end_amdhsa_kernel
	.section	.text._ZN7rocprim17ROCPRIM_400000_NS6detail17trampoline_kernelINS0_14default_configENS1_20scan_config_selectorIdEEZZNS1_9scan_implILNS1_25lookback_scan_determinismE0ELb0ELb0ES3_N6thrust23THRUST_200600_302600_NS6detail15normal_iteratorINS9_10device_ptrIdEEEENS9_16discard_iteratorINS9_11use_defaultEEEdNS9_4plusIvEEdEEDaPvRmT3_T4_T5_mT6_P12ihipStream_tbENKUlT_T0_E_clISt17integral_constantIbLb0EESX_EEDaSS_ST_EUlSS_E_NS1_11comp_targetILNS1_3genE10ELNS1_11target_archE1201ELNS1_3gpuE5ELNS1_3repE0EEENS1_30default_config_static_selectorELNS0_4arch9wavefront6targetE1EEEvT1_,"axG",@progbits,_ZN7rocprim17ROCPRIM_400000_NS6detail17trampoline_kernelINS0_14default_configENS1_20scan_config_selectorIdEEZZNS1_9scan_implILNS1_25lookback_scan_determinismE0ELb0ELb0ES3_N6thrust23THRUST_200600_302600_NS6detail15normal_iteratorINS9_10device_ptrIdEEEENS9_16discard_iteratorINS9_11use_defaultEEEdNS9_4plusIvEEdEEDaPvRmT3_T4_T5_mT6_P12ihipStream_tbENKUlT_T0_E_clISt17integral_constantIbLb0EESX_EEDaSS_ST_EUlSS_E_NS1_11comp_targetILNS1_3genE10ELNS1_11target_archE1201ELNS1_3gpuE5ELNS1_3repE0EEENS1_30default_config_static_selectorELNS0_4arch9wavefront6targetE1EEEvT1_,comdat
.Lfunc_end4867:
	.size	_ZN7rocprim17ROCPRIM_400000_NS6detail17trampoline_kernelINS0_14default_configENS1_20scan_config_selectorIdEEZZNS1_9scan_implILNS1_25lookback_scan_determinismE0ELb0ELb0ES3_N6thrust23THRUST_200600_302600_NS6detail15normal_iteratorINS9_10device_ptrIdEEEENS9_16discard_iteratorINS9_11use_defaultEEEdNS9_4plusIvEEdEEDaPvRmT3_T4_T5_mT6_P12ihipStream_tbENKUlT_T0_E_clISt17integral_constantIbLb0EESX_EEDaSS_ST_EUlSS_E_NS1_11comp_targetILNS1_3genE10ELNS1_11target_archE1201ELNS1_3gpuE5ELNS1_3repE0EEENS1_30default_config_static_selectorELNS0_4arch9wavefront6targetE1EEEvT1_, .Lfunc_end4867-_ZN7rocprim17ROCPRIM_400000_NS6detail17trampoline_kernelINS0_14default_configENS1_20scan_config_selectorIdEEZZNS1_9scan_implILNS1_25lookback_scan_determinismE0ELb0ELb0ES3_N6thrust23THRUST_200600_302600_NS6detail15normal_iteratorINS9_10device_ptrIdEEEENS9_16discard_iteratorINS9_11use_defaultEEEdNS9_4plusIvEEdEEDaPvRmT3_T4_T5_mT6_P12ihipStream_tbENKUlT_T0_E_clISt17integral_constantIbLb0EESX_EEDaSS_ST_EUlSS_E_NS1_11comp_targetILNS1_3genE10ELNS1_11target_archE1201ELNS1_3gpuE5ELNS1_3repE0EEENS1_30default_config_static_selectorELNS0_4arch9wavefront6targetE1EEEvT1_
                                        ; -- End function
	.section	.AMDGPU.csdata,"",@progbits
; Kernel info:
; codeLenInByte = 0
; NumSgprs: 4
; NumVgprs: 0
; NumAgprs: 0
; TotalNumVgprs: 0
; ScratchSize: 0
; MemoryBound: 0
; FloatMode: 240
; IeeeMode: 1
; LDSByteSize: 0 bytes/workgroup (compile time only)
; SGPRBlocks: 0
; VGPRBlocks: 0
; NumSGPRsForWavesPerEU: 4
; NumVGPRsForWavesPerEU: 1
; AccumOffset: 4
; Occupancy: 8
; WaveLimiterHint : 0
; COMPUTE_PGM_RSRC2:SCRATCH_EN: 0
; COMPUTE_PGM_RSRC2:USER_SGPR: 6
; COMPUTE_PGM_RSRC2:TRAP_HANDLER: 0
; COMPUTE_PGM_RSRC2:TGID_X_EN: 1
; COMPUTE_PGM_RSRC2:TGID_Y_EN: 0
; COMPUTE_PGM_RSRC2:TGID_Z_EN: 0
; COMPUTE_PGM_RSRC2:TIDIG_COMP_CNT: 0
; COMPUTE_PGM_RSRC3_GFX90A:ACCUM_OFFSET: 0
; COMPUTE_PGM_RSRC3_GFX90A:TG_SPLIT: 0
	.section	.text._ZN7rocprim17ROCPRIM_400000_NS6detail17trampoline_kernelINS0_14default_configENS1_20scan_config_selectorIdEEZZNS1_9scan_implILNS1_25lookback_scan_determinismE0ELb0ELb0ES3_N6thrust23THRUST_200600_302600_NS6detail15normal_iteratorINS9_10device_ptrIdEEEENS9_16discard_iteratorINS9_11use_defaultEEEdNS9_4plusIvEEdEEDaPvRmT3_T4_T5_mT6_P12ihipStream_tbENKUlT_T0_E_clISt17integral_constantIbLb0EESX_EEDaSS_ST_EUlSS_E_NS1_11comp_targetILNS1_3genE10ELNS1_11target_archE1200ELNS1_3gpuE4ELNS1_3repE0EEENS1_30default_config_static_selectorELNS0_4arch9wavefront6targetE1EEEvT1_,"axG",@progbits,_ZN7rocprim17ROCPRIM_400000_NS6detail17trampoline_kernelINS0_14default_configENS1_20scan_config_selectorIdEEZZNS1_9scan_implILNS1_25lookback_scan_determinismE0ELb0ELb0ES3_N6thrust23THRUST_200600_302600_NS6detail15normal_iteratorINS9_10device_ptrIdEEEENS9_16discard_iteratorINS9_11use_defaultEEEdNS9_4plusIvEEdEEDaPvRmT3_T4_T5_mT6_P12ihipStream_tbENKUlT_T0_E_clISt17integral_constantIbLb0EESX_EEDaSS_ST_EUlSS_E_NS1_11comp_targetILNS1_3genE10ELNS1_11target_archE1200ELNS1_3gpuE4ELNS1_3repE0EEENS1_30default_config_static_selectorELNS0_4arch9wavefront6targetE1EEEvT1_,comdat
	.protected	_ZN7rocprim17ROCPRIM_400000_NS6detail17trampoline_kernelINS0_14default_configENS1_20scan_config_selectorIdEEZZNS1_9scan_implILNS1_25lookback_scan_determinismE0ELb0ELb0ES3_N6thrust23THRUST_200600_302600_NS6detail15normal_iteratorINS9_10device_ptrIdEEEENS9_16discard_iteratorINS9_11use_defaultEEEdNS9_4plusIvEEdEEDaPvRmT3_T4_T5_mT6_P12ihipStream_tbENKUlT_T0_E_clISt17integral_constantIbLb0EESX_EEDaSS_ST_EUlSS_E_NS1_11comp_targetILNS1_3genE10ELNS1_11target_archE1200ELNS1_3gpuE4ELNS1_3repE0EEENS1_30default_config_static_selectorELNS0_4arch9wavefront6targetE1EEEvT1_ ; -- Begin function _ZN7rocprim17ROCPRIM_400000_NS6detail17trampoline_kernelINS0_14default_configENS1_20scan_config_selectorIdEEZZNS1_9scan_implILNS1_25lookback_scan_determinismE0ELb0ELb0ES3_N6thrust23THRUST_200600_302600_NS6detail15normal_iteratorINS9_10device_ptrIdEEEENS9_16discard_iteratorINS9_11use_defaultEEEdNS9_4plusIvEEdEEDaPvRmT3_T4_T5_mT6_P12ihipStream_tbENKUlT_T0_E_clISt17integral_constantIbLb0EESX_EEDaSS_ST_EUlSS_E_NS1_11comp_targetILNS1_3genE10ELNS1_11target_archE1200ELNS1_3gpuE4ELNS1_3repE0EEENS1_30default_config_static_selectorELNS0_4arch9wavefront6targetE1EEEvT1_
	.globl	_ZN7rocprim17ROCPRIM_400000_NS6detail17trampoline_kernelINS0_14default_configENS1_20scan_config_selectorIdEEZZNS1_9scan_implILNS1_25lookback_scan_determinismE0ELb0ELb0ES3_N6thrust23THRUST_200600_302600_NS6detail15normal_iteratorINS9_10device_ptrIdEEEENS9_16discard_iteratorINS9_11use_defaultEEEdNS9_4plusIvEEdEEDaPvRmT3_T4_T5_mT6_P12ihipStream_tbENKUlT_T0_E_clISt17integral_constantIbLb0EESX_EEDaSS_ST_EUlSS_E_NS1_11comp_targetILNS1_3genE10ELNS1_11target_archE1200ELNS1_3gpuE4ELNS1_3repE0EEENS1_30default_config_static_selectorELNS0_4arch9wavefront6targetE1EEEvT1_
	.p2align	8
	.type	_ZN7rocprim17ROCPRIM_400000_NS6detail17trampoline_kernelINS0_14default_configENS1_20scan_config_selectorIdEEZZNS1_9scan_implILNS1_25lookback_scan_determinismE0ELb0ELb0ES3_N6thrust23THRUST_200600_302600_NS6detail15normal_iteratorINS9_10device_ptrIdEEEENS9_16discard_iteratorINS9_11use_defaultEEEdNS9_4plusIvEEdEEDaPvRmT3_T4_T5_mT6_P12ihipStream_tbENKUlT_T0_E_clISt17integral_constantIbLb0EESX_EEDaSS_ST_EUlSS_E_NS1_11comp_targetILNS1_3genE10ELNS1_11target_archE1200ELNS1_3gpuE4ELNS1_3repE0EEENS1_30default_config_static_selectorELNS0_4arch9wavefront6targetE1EEEvT1_,@function
_ZN7rocprim17ROCPRIM_400000_NS6detail17trampoline_kernelINS0_14default_configENS1_20scan_config_selectorIdEEZZNS1_9scan_implILNS1_25lookback_scan_determinismE0ELb0ELb0ES3_N6thrust23THRUST_200600_302600_NS6detail15normal_iteratorINS9_10device_ptrIdEEEENS9_16discard_iteratorINS9_11use_defaultEEEdNS9_4plusIvEEdEEDaPvRmT3_T4_T5_mT6_P12ihipStream_tbENKUlT_T0_E_clISt17integral_constantIbLb0EESX_EEDaSS_ST_EUlSS_E_NS1_11comp_targetILNS1_3genE10ELNS1_11target_archE1200ELNS1_3gpuE4ELNS1_3repE0EEENS1_30default_config_static_selectorELNS0_4arch9wavefront6targetE1EEEvT1_: ; @_ZN7rocprim17ROCPRIM_400000_NS6detail17trampoline_kernelINS0_14default_configENS1_20scan_config_selectorIdEEZZNS1_9scan_implILNS1_25lookback_scan_determinismE0ELb0ELb0ES3_N6thrust23THRUST_200600_302600_NS6detail15normal_iteratorINS9_10device_ptrIdEEEENS9_16discard_iteratorINS9_11use_defaultEEEdNS9_4plusIvEEdEEDaPvRmT3_T4_T5_mT6_P12ihipStream_tbENKUlT_T0_E_clISt17integral_constantIbLb0EESX_EEDaSS_ST_EUlSS_E_NS1_11comp_targetILNS1_3genE10ELNS1_11target_archE1200ELNS1_3gpuE4ELNS1_3repE0EEENS1_30default_config_static_selectorELNS0_4arch9wavefront6targetE1EEEvT1_
; %bb.0:
	.section	.rodata,"a",@progbits
	.p2align	6, 0x0
	.amdhsa_kernel _ZN7rocprim17ROCPRIM_400000_NS6detail17trampoline_kernelINS0_14default_configENS1_20scan_config_selectorIdEEZZNS1_9scan_implILNS1_25lookback_scan_determinismE0ELb0ELb0ES3_N6thrust23THRUST_200600_302600_NS6detail15normal_iteratorINS9_10device_ptrIdEEEENS9_16discard_iteratorINS9_11use_defaultEEEdNS9_4plusIvEEdEEDaPvRmT3_T4_T5_mT6_P12ihipStream_tbENKUlT_T0_E_clISt17integral_constantIbLb0EESX_EEDaSS_ST_EUlSS_E_NS1_11comp_targetILNS1_3genE10ELNS1_11target_archE1200ELNS1_3gpuE4ELNS1_3repE0EEENS1_30default_config_static_selectorELNS0_4arch9wavefront6targetE1EEEvT1_
		.amdhsa_group_segment_fixed_size 0
		.amdhsa_private_segment_fixed_size 0
		.amdhsa_kernarg_size 112
		.amdhsa_user_sgpr_count 6
		.amdhsa_user_sgpr_private_segment_buffer 1
		.amdhsa_user_sgpr_dispatch_ptr 0
		.amdhsa_user_sgpr_queue_ptr 0
		.amdhsa_user_sgpr_kernarg_segment_ptr 1
		.amdhsa_user_sgpr_dispatch_id 0
		.amdhsa_user_sgpr_flat_scratch_init 0
		.amdhsa_user_sgpr_kernarg_preload_length 0
		.amdhsa_user_sgpr_kernarg_preload_offset 0
		.amdhsa_user_sgpr_private_segment_size 0
		.amdhsa_uses_dynamic_stack 0
		.amdhsa_system_sgpr_private_segment_wavefront_offset 0
		.amdhsa_system_sgpr_workgroup_id_x 1
		.amdhsa_system_sgpr_workgroup_id_y 0
		.amdhsa_system_sgpr_workgroup_id_z 0
		.amdhsa_system_sgpr_workgroup_info 0
		.amdhsa_system_vgpr_workitem_id 0
		.amdhsa_next_free_vgpr 1
		.amdhsa_next_free_sgpr 0
		.amdhsa_accum_offset 4
		.amdhsa_reserve_vcc 0
		.amdhsa_reserve_flat_scratch 0
		.amdhsa_float_round_mode_32 0
		.amdhsa_float_round_mode_16_64 0
		.amdhsa_float_denorm_mode_32 3
		.amdhsa_float_denorm_mode_16_64 3
		.amdhsa_dx10_clamp 1
		.amdhsa_ieee_mode 1
		.amdhsa_fp16_overflow 0
		.amdhsa_tg_split 0
		.amdhsa_exception_fp_ieee_invalid_op 0
		.amdhsa_exception_fp_denorm_src 0
		.amdhsa_exception_fp_ieee_div_zero 0
		.amdhsa_exception_fp_ieee_overflow 0
		.amdhsa_exception_fp_ieee_underflow 0
		.amdhsa_exception_fp_ieee_inexact 0
		.amdhsa_exception_int_div_zero 0
	.end_amdhsa_kernel
	.section	.text._ZN7rocprim17ROCPRIM_400000_NS6detail17trampoline_kernelINS0_14default_configENS1_20scan_config_selectorIdEEZZNS1_9scan_implILNS1_25lookback_scan_determinismE0ELb0ELb0ES3_N6thrust23THRUST_200600_302600_NS6detail15normal_iteratorINS9_10device_ptrIdEEEENS9_16discard_iteratorINS9_11use_defaultEEEdNS9_4plusIvEEdEEDaPvRmT3_T4_T5_mT6_P12ihipStream_tbENKUlT_T0_E_clISt17integral_constantIbLb0EESX_EEDaSS_ST_EUlSS_E_NS1_11comp_targetILNS1_3genE10ELNS1_11target_archE1200ELNS1_3gpuE4ELNS1_3repE0EEENS1_30default_config_static_selectorELNS0_4arch9wavefront6targetE1EEEvT1_,"axG",@progbits,_ZN7rocprim17ROCPRIM_400000_NS6detail17trampoline_kernelINS0_14default_configENS1_20scan_config_selectorIdEEZZNS1_9scan_implILNS1_25lookback_scan_determinismE0ELb0ELb0ES3_N6thrust23THRUST_200600_302600_NS6detail15normal_iteratorINS9_10device_ptrIdEEEENS9_16discard_iteratorINS9_11use_defaultEEEdNS9_4plusIvEEdEEDaPvRmT3_T4_T5_mT6_P12ihipStream_tbENKUlT_T0_E_clISt17integral_constantIbLb0EESX_EEDaSS_ST_EUlSS_E_NS1_11comp_targetILNS1_3genE10ELNS1_11target_archE1200ELNS1_3gpuE4ELNS1_3repE0EEENS1_30default_config_static_selectorELNS0_4arch9wavefront6targetE1EEEvT1_,comdat
.Lfunc_end4868:
	.size	_ZN7rocprim17ROCPRIM_400000_NS6detail17trampoline_kernelINS0_14default_configENS1_20scan_config_selectorIdEEZZNS1_9scan_implILNS1_25lookback_scan_determinismE0ELb0ELb0ES3_N6thrust23THRUST_200600_302600_NS6detail15normal_iteratorINS9_10device_ptrIdEEEENS9_16discard_iteratorINS9_11use_defaultEEEdNS9_4plusIvEEdEEDaPvRmT3_T4_T5_mT6_P12ihipStream_tbENKUlT_T0_E_clISt17integral_constantIbLb0EESX_EEDaSS_ST_EUlSS_E_NS1_11comp_targetILNS1_3genE10ELNS1_11target_archE1200ELNS1_3gpuE4ELNS1_3repE0EEENS1_30default_config_static_selectorELNS0_4arch9wavefront6targetE1EEEvT1_, .Lfunc_end4868-_ZN7rocprim17ROCPRIM_400000_NS6detail17trampoline_kernelINS0_14default_configENS1_20scan_config_selectorIdEEZZNS1_9scan_implILNS1_25lookback_scan_determinismE0ELb0ELb0ES3_N6thrust23THRUST_200600_302600_NS6detail15normal_iteratorINS9_10device_ptrIdEEEENS9_16discard_iteratorINS9_11use_defaultEEEdNS9_4plusIvEEdEEDaPvRmT3_T4_T5_mT6_P12ihipStream_tbENKUlT_T0_E_clISt17integral_constantIbLb0EESX_EEDaSS_ST_EUlSS_E_NS1_11comp_targetILNS1_3genE10ELNS1_11target_archE1200ELNS1_3gpuE4ELNS1_3repE0EEENS1_30default_config_static_selectorELNS0_4arch9wavefront6targetE1EEEvT1_
                                        ; -- End function
	.section	.AMDGPU.csdata,"",@progbits
; Kernel info:
; codeLenInByte = 0
; NumSgprs: 4
; NumVgprs: 0
; NumAgprs: 0
; TotalNumVgprs: 0
; ScratchSize: 0
; MemoryBound: 0
; FloatMode: 240
; IeeeMode: 1
; LDSByteSize: 0 bytes/workgroup (compile time only)
; SGPRBlocks: 0
; VGPRBlocks: 0
; NumSGPRsForWavesPerEU: 4
; NumVGPRsForWavesPerEU: 1
; AccumOffset: 4
; Occupancy: 8
; WaveLimiterHint : 0
; COMPUTE_PGM_RSRC2:SCRATCH_EN: 0
; COMPUTE_PGM_RSRC2:USER_SGPR: 6
; COMPUTE_PGM_RSRC2:TRAP_HANDLER: 0
; COMPUTE_PGM_RSRC2:TGID_X_EN: 1
; COMPUTE_PGM_RSRC2:TGID_Y_EN: 0
; COMPUTE_PGM_RSRC2:TGID_Z_EN: 0
; COMPUTE_PGM_RSRC2:TIDIG_COMP_CNT: 0
; COMPUTE_PGM_RSRC3_GFX90A:ACCUM_OFFSET: 0
; COMPUTE_PGM_RSRC3_GFX90A:TG_SPLIT: 0
	.section	.text._ZN7rocprim17ROCPRIM_400000_NS6detail17trampoline_kernelINS0_14default_configENS1_20scan_config_selectorIdEEZZNS1_9scan_implILNS1_25lookback_scan_determinismE0ELb0ELb0ES3_N6thrust23THRUST_200600_302600_NS6detail15normal_iteratorINS9_10device_ptrIdEEEENS9_16discard_iteratorINS9_11use_defaultEEEdNS9_4plusIvEEdEEDaPvRmT3_T4_T5_mT6_P12ihipStream_tbENKUlT_T0_E_clISt17integral_constantIbLb0EESX_EEDaSS_ST_EUlSS_E_NS1_11comp_targetILNS1_3genE9ELNS1_11target_archE1100ELNS1_3gpuE3ELNS1_3repE0EEENS1_30default_config_static_selectorELNS0_4arch9wavefront6targetE1EEEvT1_,"axG",@progbits,_ZN7rocprim17ROCPRIM_400000_NS6detail17trampoline_kernelINS0_14default_configENS1_20scan_config_selectorIdEEZZNS1_9scan_implILNS1_25lookback_scan_determinismE0ELb0ELb0ES3_N6thrust23THRUST_200600_302600_NS6detail15normal_iteratorINS9_10device_ptrIdEEEENS9_16discard_iteratorINS9_11use_defaultEEEdNS9_4plusIvEEdEEDaPvRmT3_T4_T5_mT6_P12ihipStream_tbENKUlT_T0_E_clISt17integral_constantIbLb0EESX_EEDaSS_ST_EUlSS_E_NS1_11comp_targetILNS1_3genE9ELNS1_11target_archE1100ELNS1_3gpuE3ELNS1_3repE0EEENS1_30default_config_static_selectorELNS0_4arch9wavefront6targetE1EEEvT1_,comdat
	.protected	_ZN7rocprim17ROCPRIM_400000_NS6detail17trampoline_kernelINS0_14default_configENS1_20scan_config_selectorIdEEZZNS1_9scan_implILNS1_25lookback_scan_determinismE0ELb0ELb0ES3_N6thrust23THRUST_200600_302600_NS6detail15normal_iteratorINS9_10device_ptrIdEEEENS9_16discard_iteratorINS9_11use_defaultEEEdNS9_4plusIvEEdEEDaPvRmT3_T4_T5_mT6_P12ihipStream_tbENKUlT_T0_E_clISt17integral_constantIbLb0EESX_EEDaSS_ST_EUlSS_E_NS1_11comp_targetILNS1_3genE9ELNS1_11target_archE1100ELNS1_3gpuE3ELNS1_3repE0EEENS1_30default_config_static_selectorELNS0_4arch9wavefront6targetE1EEEvT1_ ; -- Begin function _ZN7rocprim17ROCPRIM_400000_NS6detail17trampoline_kernelINS0_14default_configENS1_20scan_config_selectorIdEEZZNS1_9scan_implILNS1_25lookback_scan_determinismE0ELb0ELb0ES3_N6thrust23THRUST_200600_302600_NS6detail15normal_iteratorINS9_10device_ptrIdEEEENS9_16discard_iteratorINS9_11use_defaultEEEdNS9_4plusIvEEdEEDaPvRmT3_T4_T5_mT6_P12ihipStream_tbENKUlT_T0_E_clISt17integral_constantIbLb0EESX_EEDaSS_ST_EUlSS_E_NS1_11comp_targetILNS1_3genE9ELNS1_11target_archE1100ELNS1_3gpuE3ELNS1_3repE0EEENS1_30default_config_static_selectorELNS0_4arch9wavefront6targetE1EEEvT1_
	.globl	_ZN7rocprim17ROCPRIM_400000_NS6detail17trampoline_kernelINS0_14default_configENS1_20scan_config_selectorIdEEZZNS1_9scan_implILNS1_25lookback_scan_determinismE0ELb0ELb0ES3_N6thrust23THRUST_200600_302600_NS6detail15normal_iteratorINS9_10device_ptrIdEEEENS9_16discard_iteratorINS9_11use_defaultEEEdNS9_4plusIvEEdEEDaPvRmT3_T4_T5_mT6_P12ihipStream_tbENKUlT_T0_E_clISt17integral_constantIbLb0EESX_EEDaSS_ST_EUlSS_E_NS1_11comp_targetILNS1_3genE9ELNS1_11target_archE1100ELNS1_3gpuE3ELNS1_3repE0EEENS1_30default_config_static_selectorELNS0_4arch9wavefront6targetE1EEEvT1_
	.p2align	8
	.type	_ZN7rocprim17ROCPRIM_400000_NS6detail17trampoline_kernelINS0_14default_configENS1_20scan_config_selectorIdEEZZNS1_9scan_implILNS1_25lookback_scan_determinismE0ELb0ELb0ES3_N6thrust23THRUST_200600_302600_NS6detail15normal_iteratorINS9_10device_ptrIdEEEENS9_16discard_iteratorINS9_11use_defaultEEEdNS9_4plusIvEEdEEDaPvRmT3_T4_T5_mT6_P12ihipStream_tbENKUlT_T0_E_clISt17integral_constantIbLb0EESX_EEDaSS_ST_EUlSS_E_NS1_11comp_targetILNS1_3genE9ELNS1_11target_archE1100ELNS1_3gpuE3ELNS1_3repE0EEENS1_30default_config_static_selectorELNS0_4arch9wavefront6targetE1EEEvT1_,@function
_ZN7rocprim17ROCPRIM_400000_NS6detail17trampoline_kernelINS0_14default_configENS1_20scan_config_selectorIdEEZZNS1_9scan_implILNS1_25lookback_scan_determinismE0ELb0ELb0ES3_N6thrust23THRUST_200600_302600_NS6detail15normal_iteratorINS9_10device_ptrIdEEEENS9_16discard_iteratorINS9_11use_defaultEEEdNS9_4plusIvEEdEEDaPvRmT3_T4_T5_mT6_P12ihipStream_tbENKUlT_T0_E_clISt17integral_constantIbLb0EESX_EEDaSS_ST_EUlSS_E_NS1_11comp_targetILNS1_3genE9ELNS1_11target_archE1100ELNS1_3gpuE3ELNS1_3repE0EEENS1_30default_config_static_selectorELNS0_4arch9wavefront6targetE1EEEvT1_: ; @_ZN7rocprim17ROCPRIM_400000_NS6detail17trampoline_kernelINS0_14default_configENS1_20scan_config_selectorIdEEZZNS1_9scan_implILNS1_25lookback_scan_determinismE0ELb0ELb0ES3_N6thrust23THRUST_200600_302600_NS6detail15normal_iteratorINS9_10device_ptrIdEEEENS9_16discard_iteratorINS9_11use_defaultEEEdNS9_4plusIvEEdEEDaPvRmT3_T4_T5_mT6_P12ihipStream_tbENKUlT_T0_E_clISt17integral_constantIbLb0EESX_EEDaSS_ST_EUlSS_E_NS1_11comp_targetILNS1_3genE9ELNS1_11target_archE1100ELNS1_3gpuE3ELNS1_3repE0EEENS1_30default_config_static_selectorELNS0_4arch9wavefront6targetE1EEEvT1_
; %bb.0:
	.section	.rodata,"a",@progbits
	.p2align	6, 0x0
	.amdhsa_kernel _ZN7rocprim17ROCPRIM_400000_NS6detail17trampoline_kernelINS0_14default_configENS1_20scan_config_selectorIdEEZZNS1_9scan_implILNS1_25lookback_scan_determinismE0ELb0ELb0ES3_N6thrust23THRUST_200600_302600_NS6detail15normal_iteratorINS9_10device_ptrIdEEEENS9_16discard_iteratorINS9_11use_defaultEEEdNS9_4plusIvEEdEEDaPvRmT3_T4_T5_mT6_P12ihipStream_tbENKUlT_T0_E_clISt17integral_constantIbLb0EESX_EEDaSS_ST_EUlSS_E_NS1_11comp_targetILNS1_3genE9ELNS1_11target_archE1100ELNS1_3gpuE3ELNS1_3repE0EEENS1_30default_config_static_selectorELNS0_4arch9wavefront6targetE1EEEvT1_
		.amdhsa_group_segment_fixed_size 0
		.amdhsa_private_segment_fixed_size 0
		.amdhsa_kernarg_size 112
		.amdhsa_user_sgpr_count 6
		.amdhsa_user_sgpr_private_segment_buffer 1
		.amdhsa_user_sgpr_dispatch_ptr 0
		.amdhsa_user_sgpr_queue_ptr 0
		.amdhsa_user_sgpr_kernarg_segment_ptr 1
		.amdhsa_user_sgpr_dispatch_id 0
		.amdhsa_user_sgpr_flat_scratch_init 0
		.amdhsa_user_sgpr_kernarg_preload_length 0
		.amdhsa_user_sgpr_kernarg_preload_offset 0
		.amdhsa_user_sgpr_private_segment_size 0
		.amdhsa_uses_dynamic_stack 0
		.amdhsa_system_sgpr_private_segment_wavefront_offset 0
		.amdhsa_system_sgpr_workgroup_id_x 1
		.amdhsa_system_sgpr_workgroup_id_y 0
		.amdhsa_system_sgpr_workgroup_id_z 0
		.amdhsa_system_sgpr_workgroup_info 0
		.amdhsa_system_vgpr_workitem_id 0
		.amdhsa_next_free_vgpr 1
		.amdhsa_next_free_sgpr 0
		.amdhsa_accum_offset 4
		.amdhsa_reserve_vcc 0
		.amdhsa_reserve_flat_scratch 0
		.amdhsa_float_round_mode_32 0
		.amdhsa_float_round_mode_16_64 0
		.amdhsa_float_denorm_mode_32 3
		.amdhsa_float_denorm_mode_16_64 3
		.amdhsa_dx10_clamp 1
		.amdhsa_ieee_mode 1
		.amdhsa_fp16_overflow 0
		.amdhsa_tg_split 0
		.amdhsa_exception_fp_ieee_invalid_op 0
		.amdhsa_exception_fp_denorm_src 0
		.amdhsa_exception_fp_ieee_div_zero 0
		.amdhsa_exception_fp_ieee_overflow 0
		.amdhsa_exception_fp_ieee_underflow 0
		.amdhsa_exception_fp_ieee_inexact 0
		.amdhsa_exception_int_div_zero 0
	.end_amdhsa_kernel
	.section	.text._ZN7rocprim17ROCPRIM_400000_NS6detail17trampoline_kernelINS0_14default_configENS1_20scan_config_selectorIdEEZZNS1_9scan_implILNS1_25lookback_scan_determinismE0ELb0ELb0ES3_N6thrust23THRUST_200600_302600_NS6detail15normal_iteratorINS9_10device_ptrIdEEEENS9_16discard_iteratorINS9_11use_defaultEEEdNS9_4plusIvEEdEEDaPvRmT3_T4_T5_mT6_P12ihipStream_tbENKUlT_T0_E_clISt17integral_constantIbLb0EESX_EEDaSS_ST_EUlSS_E_NS1_11comp_targetILNS1_3genE9ELNS1_11target_archE1100ELNS1_3gpuE3ELNS1_3repE0EEENS1_30default_config_static_selectorELNS0_4arch9wavefront6targetE1EEEvT1_,"axG",@progbits,_ZN7rocprim17ROCPRIM_400000_NS6detail17trampoline_kernelINS0_14default_configENS1_20scan_config_selectorIdEEZZNS1_9scan_implILNS1_25lookback_scan_determinismE0ELb0ELb0ES3_N6thrust23THRUST_200600_302600_NS6detail15normal_iteratorINS9_10device_ptrIdEEEENS9_16discard_iteratorINS9_11use_defaultEEEdNS9_4plusIvEEdEEDaPvRmT3_T4_T5_mT6_P12ihipStream_tbENKUlT_T0_E_clISt17integral_constantIbLb0EESX_EEDaSS_ST_EUlSS_E_NS1_11comp_targetILNS1_3genE9ELNS1_11target_archE1100ELNS1_3gpuE3ELNS1_3repE0EEENS1_30default_config_static_selectorELNS0_4arch9wavefront6targetE1EEEvT1_,comdat
.Lfunc_end4869:
	.size	_ZN7rocprim17ROCPRIM_400000_NS6detail17trampoline_kernelINS0_14default_configENS1_20scan_config_selectorIdEEZZNS1_9scan_implILNS1_25lookback_scan_determinismE0ELb0ELb0ES3_N6thrust23THRUST_200600_302600_NS6detail15normal_iteratorINS9_10device_ptrIdEEEENS9_16discard_iteratorINS9_11use_defaultEEEdNS9_4plusIvEEdEEDaPvRmT3_T4_T5_mT6_P12ihipStream_tbENKUlT_T0_E_clISt17integral_constantIbLb0EESX_EEDaSS_ST_EUlSS_E_NS1_11comp_targetILNS1_3genE9ELNS1_11target_archE1100ELNS1_3gpuE3ELNS1_3repE0EEENS1_30default_config_static_selectorELNS0_4arch9wavefront6targetE1EEEvT1_, .Lfunc_end4869-_ZN7rocprim17ROCPRIM_400000_NS6detail17trampoline_kernelINS0_14default_configENS1_20scan_config_selectorIdEEZZNS1_9scan_implILNS1_25lookback_scan_determinismE0ELb0ELb0ES3_N6thrust23THRUST_200600_302600_NS6detail15normal_iteratorINS9_10device_ptrIdEEEENS9_16discard_iteratorINS9_11use_defaultEEEdNS9_4plusIvEEdEEDaPvRmT3_T4_T5_mT6_P12ihipStream_tbENKUlT_T0_E_clISt17integral_constantIbLb0EESX_EEDaSS_ST_EUlSS_E_NS1_11comp_targetILNS1_3genE9ELNS1_11target_archE1100ELNS1_3gpuE3ELNS1_3repE0EEENS1_30default_config_static_selectorELNS0_4arch9wavefront6targetE1EEEvT1_
                                        ; -- End function
	.section	.AMDGPU.csdata,"",@progbits
; Kernel info:
; codeLenInByte = 0
; NumSgprs: 4
; NumVgprs: 0
; NumAgprs: 0
; TotalNumVgprs: 0
; ScratchSize: 0
; MemoryBound: 0
; FloatMode: 240
; IeeeMode: 1
; LDSByteSize: 0 bytes/workgroup (compile time only)
; SGPRBlocks: 0
; VGPRBlocks: 0
; NumSGPRsForWavesPerEU: 4
; NumVGPRsForWavesPerEU: 1
; AccumOffset: 4
; Occupancy: 8
; WaveLimiterHint : 0
; COMPUTE_PGM_RSRC2:SCRATCH_EN: 0
; COMPUTE_PGM_RSRC2:USER_SGPR: 6
; COMPUTE_PGM_RSRC2:TRAP_HANDLER: 0
; COMPUTE_PGM_RSRC2:TGID_X_EN: 1
; COMPUTE_PGM_RSRC2:TGID_Y_EN: 0
; COMPUTE_PGM_RSRC2:TGID_Z_EN: 0
; COMPUTE_PGM_RSRC2:TIDIG_COMP_CNT: 0
; COMPUTE_PGM_RSRC3_GFX90A:ACCUM_OFFSET: 0
; COMPUTE_PGM_RSRC3_GFX90A:TG_SPLIT: 0
	.section	.text._ZN7rocprim17ROCPRIM_400000_NS6detail17trampoline_kernelINS0_14default_configENS1_20scan_config_selectorIdEEZZNS1_9scan_implILNS1_25lookback_scan_determinismE0ELb0ELb0ES3_N6thrust23THRUST_200600_302600_NS6detail15normal_iteratorINS9_10device_ptrIdEEEENS9_16discard_iteratorINS9_11use_defaultEEEdNS9_4plusIvEEdEEDaPvRmT3_T4_T5_mT6_P12ihipStream_tbENKUlT_T0_E_clISt17integral_constantIbLb0EESX_EEDaSS_ST_EUlSS_E_NS1_11comp_targetILNS1_3genE8ELNS1_11target_archE1030ELNS1_3gpuE2ELNS1_3repE0EEENS1_30default_config_static_selectorELNS0_4arch9wavefront6targetE1EEEvT1_,"axG",@progbits,_ZN7rocprim17ROCPRIM_400000_NS6detail17trampoline_kernelINS0_14default_configENS1_20scan_config_selectorIdEEZZNS1_9scan_implILNS1_25lookback_scan_determinismE0ELb0ELb0ES3_N6thrust23THRUST_200600_302600_NS6detail15normal_iteratorINS9_10device_ptrIdEEEENS9_16discard_iteratorINS9_11use_defaultEEEdNS9_4plusIvEEdEEDaPvRmT3_T4_T5_mT6_P12ihipStream_tbENKUlT_T0_E_clISt17integral_constantIbLb0EESX_EEDaSS_ST_EUlSS_E_NS1_11comp_targetILNS1_3genE8ELNS1_11target_archE1030ELNS1_3gpuE2ELNS1_3repE0EEENS1_30default_config_static_selectorELNS0_4arch9wavefront6targetE1EEEvT1_,comdat
	.protected	_ZN7rocprim17ROCPRIM_400000_NS6detail17trampoline_kernelINS0_14default_configENS1_20scan_config_selectorIdEEZZNS1_9scan_implILNS1_25lookback_scan_determinismE0ELb0ELb0ES3_N6thrust23THRUST_200600_302600_NS6detail15normal_iteratorINS9_10device_ptrIdEEEENS9_16discard_iteratorINS9_11use_defaultEEEdNS9_4plusIvEEdEEDaPvRmT3_T4_T5_mT6_P12ihipStream_tbENKUlT_T0_E_clISt17integral_constantIbLb0EESX_EEDaSS_ST_EUlSS_E_NS1_11comp_targetILNS1_3genE8ELNS1_11target_archE1030ELNS1_3gpuE2ELNS1_3repE0EEENS1_30default_config_static_selectorELNS0_4arch9wavefront6targetE1EEEvT1_ ; -- Begin function _ZN7rocprim17ROCPRIM_400000_NS6detail17trampoline_kernelINS0_14default_configENS1_20scan_config_selectorIdEEZZNS1_9scan_implILNS1_25lookback_scan_determinismE0ELb0ELb0ES3_N6thrust23THRUST_200600_302600_NS6detail15normal_iteratorINS9_10device_ptrIdEEEENS9_16discard_iteratorINS9_11use_defaultEEEdNS9_4plusIvEEdEEDaPvRmT3_T4_T5_mT6_P12ihipStream_tbENKUlT_T0_E_clISt17integral_constantIbLb0EESX_EEDaSS_ST_EUlSS_E_NS1_11comp_targetILNS1_3genE8ELNS1_11target_archE1030ELNS1_3gpuE2ELNS1_3repE0EEENS1_30default_config_static_selectorELNS0_4arch9wavefront6targetE1EEEvT1_
	.globl	_ZN7rocprim17ROCPRIM_400000_NS6detail17trampoline_kernelINS0_14default_configENS1_20scan_config_selectorIdEEZZNS1_9scan_implILNS1_25lookback_scan_determinismE0ELb0ELb0ES3_N6thrust23THRUST_200600_302600_NS6detail15normal_iteratorINS9_10device_ptrIdEEEENS9_16discard_iteratorINS9_11use_defaultEEEdNS9_4plusIvEEdEEDaPvRmT3_T4_T5_mT6_P12ihipStream_tbENKUlT_T0_E_clISt17integral_constantIbLb0EESX_EEDaSS_ST_EUlSS_E_NS1_11comp_targetILNS1_3genE8ELNS1_11target_archE1030ELNS1_3gpuE2ELNS1_3repE0EEENS1_30default_config_static_selectorELNS0_4arch9wavefront6targetE1EEEvT1_
	.p2align	8
	.type	_ZN7rocprim17ROCPRIM_400000_NS6detail17trampoline_kernelINS0_14default_configENS1_20scan_config_selectorIdEEZZNS1_9scan_implILNS1_25lookback_scan_determinismE0ELb0ELb0ES3_N6thrust23THRUST_200600_302600_NS6detail15normal_iteratorINS9_10device_ptrIdEEEENS9_16discard_iteratorINS9_11use_defaultEEEdNS9_4plusIvEEdEEDaPvRmT3_T4_T5_mT6_P12ihipStream_tbENKUlT_T0_E_clISt17integral_constantIbLb0EESX_EEDaSS_ST_EUlSS_E_NS1_11comp_targetILNS1_3genE8ELNS1_11target_archE1030ELNS1_3gpuE2ELNS1_3repE0EEENS1_30default_config_static_selectorELNS0_4arch9wavefront6targetE1EEEvT1_,@function
_ZN7rocprim17ROCPRIM_400000_NS6detail17trampoline_kernelINS0_14default_configENS1_20scan_config_selectorIdEEZZNS1_9scan_implILNS1_25lookback_scan_determinismE0ELb0ELb0ES3_N6thrust23THRUST_200600_302600_NS6detail15normal_iteratorINS9_10device_ptrIdEEEENS9_16discard_iteratorINS9_11use_defaultEEEdNS9_4plusIvEEdEEDaPvRmT3_T4_T5_mT6_P12ihipStream_tbENKUlT_T0_E_clISt17integral_constantIbLb0EESX_EEDaSS_ST_EUlSS_E_NS1_11comp_targetILNS1_3genE8ELNS1_11target_archE1030ELNS1_3gpuE2ELNS1_3repE0EEENS1_30default_config_static_selectorELNS0_4arch9wavefront6targetE1EEEvT1_: ; @_ZN7rocprim17ROCPRIM_400000_NS6detail17trampoline_kernelINS0_14default_configENS1_20scan_config_selectorIdEEZZNS1_9scan_implILNS1_25lookback_scan_determinismE0ELb0ELb0ES3_N6thrust23THRUST_200600_302600_NS6detail15normal_iteratorINS9_10device_ptrIdEEEENS9_16discard_iteratorINS9_11use_defaultEEEdNS9_4plusIvEEdEEDaPvRmT3_T4_T5_mT6_P12ihipStream_tbENKUlT_T0_E_clISt17integral_constantIbLb0EESX_EEDaSS_ST_EUlSS_E_NS1_11comp_targetILNS1_3genE8ELNS1_11target_archE1030ELNS1_3gpuE2ELNS1_3repE0EEENS1_30default_config_static_selectorELNS0_4arch9wavefront6targetE1EEEvT1_
; %bb.0:
	.section	.rodata,"a",@progbits
	.p2align	6, 0x0
	.amdhsa_kernel _ZN7rocprim17ROCPRIM_400000_NS6detail17trampoline_kernelINS0_14default_configENS1_20scan_config_selectorIdEEZZNS1_9scan_implILNS1_25lookback_scan_determinismE0ELb0ELb0ES3_N6thrust23THRUST_200600_302600_NS6detail15normal_iteratorINS9_10device_ptrIdEEEENS9_16discard_iteratorINS9_11use_defaultEEEdNS9_4plusIvEEdEEDaPvRmT3_T4_T5_mT6_P12ihipStream_tbENKUlT_T0_E_clISt17integral_constantIbLb0EESX_EEDaSS_ST_EUlSS_E_NS1_11comp_targetILNS1_3genE8ELNS1_11target_archE1030ELNS1_3gpuE2ELNS1_3repE0EEENS1_30default_config_static_selectorELNS0_4arch9wavefront6targetE1EEEvT1_
		.amdhsa_group_segment_fixed_size 0
		.amdhsa_private_segment_fixed_size 0
		.amdhsa_kernarg_size 112
		.amdhsa_user_sgpr_count 6
		.amdhsa_user_sgpr_private_segment_buffer 1
		.amdhsa_user_sgpr_dispatch_ptr 0
		.amdhsa_user_sgpr_queue_ptr 0
		.amdhsa_user_sgpr_kernarg_segment_ptr 1
		.amdhsa_user_sgpr_dispatch_id 0
		.amdhsa_user_sgpr_flat_scratch_init 0
		.amdhsa_user_sgpr_kernarg_preload_length 0
		.amdhsa_user_sgpr_kernarg_preload_offset 0
		.amdhsa_user_sgpr_private_segment_size 0
		.amdhsa_uses_dynamic_stack 0
		.amdhsa_system_sgpr_private_segment_wavefront_offset 0
		.amdhsa_system_sgpr_workgroup_id_x 1
		.amdhsa_system_sgpr_workgroup_id_y 0
		.amdhsa_system_sgpr_workgroup_id_z 0
		.amdhsa_system_sgpr_workgroup_info 0
		.amdhsa_system_vgpr_workitem_id 0
		.amdhsa_next_free_vgpr 1
		.amdhsa_next_free_sgpr 0
		.amdhsa_accum_offset 4
		.amdhsa_reserve_vcc 0
		.amdhsa_reserve_flat_scratch 0
		.amdhsa_float_round_mode_32 0
		.amdhsa_float_round_mode_16_64 0
		.amdhsa_float_denorm_mode_32 3
		.amdhsa_float_denorm_mode_16_64 3
		.amdhsa_dx10_clamp 1
		.amdhsa_ieee_mode 1
		.amdhsa_fp16_overflow 0
		.amdhsa_tg_split 0
		.amdhsa_exception_fp_ieee_invalid_op 0
		.amdhsa_exception_fp_denorm_src 0
		.amdhsa_exception_fp_ieee_div_zero 0
		.amdhsa_exception_fp_ieee_overflow 0
		.amdhsa_exception_fp_ieee_underflow 0
		.amdhsa_exception_fp_ieee_inexact 0
		.amdhsa_exception_int_div_zero 0
	.end_amdhsa_kernel
	.section	.text._ZN7rocprim17ROCPRIM_400000_NS6detail17trampoline_kernelINS0_14default_configENS1_20scan_config_selectorIdEEZZNS1_9scan_implILNS1_25lookback_scan_determinismE0ELb0ELb0ES3_N6thrust23THRUST_200600_302600_NS6detail15normal_iteratorINS9_10device_ptrIdEEEENS9_16discard_iteratorINS9_11use_defaultEEEdNS9_4plusIvEEdEEDaPvRmT3_T4_T5_mT6_P12ihipStream_tbENKUlT_T0_E_clISt17integral_constantIbLb0EESX_EEDaSS_ST_EUlSS_E_NS1_11comp_targetILNS1_3genE8ELNS1_11target_archE1030ELNS1_3gpuE2ELNS1_3repE0EEENS1_30default_config_static_selectorELNS0_4arch9wavefront6targetE1EEEvT1_,"axG",@progbits,_ZN7rocprim17ROCPRIM_400000_NS6detail17trampoline_kernelINS0_14default_configENS1_20scan_config_selectorIdEEZZNS1_9scan_implILNS1_25lookback_scan_determinismE0ELb0ELb0ES3_N6thrust23THRUST_200600_302600_NS6detail15normal_iteratorINS9_10device_ptrIdEEEENS9_16discard_iteratorINS9_11use_defaultEEEdNS9_4plusIvEEdEEDaPvRmT3_T4_T5_mT6_P12ihipStream_tbENKUlT_T0_E_clISt17integral_constantIbLb0EESX_EEDaSS_ST_EUlSS_E_NS1_11comp_targetILNS1_3genE8ELNS1_11target_archE1030ELNS1_3gpuE2ELNS1_3repE0EEENS1_30default_config_static_selectorELNS0_4arch9wavefront6targetE1EEEvT1_,comdat
.Lfunc_end4870:
	.size	_ZN7rocprim17ROCPRIM_400000_NS6detail17trampoline_kernelINS0_14default_configENS1_20scan_config_selectorIdEEZZNS1_9scan_implILNS1_25lookback_scan_determinismE0ELb0ELb0ES3_N6thrust23THRUST_200600_302600_NS6detail15normal_iteratorINS9_10device_ptrIdEEEENS9_16discard_iteratorINS9_11use_defaultEEEdNS9_4plusIvEEdEEDaPvRmT3_T4_T5_mT6_P12ihipStream_tbENKUlT_T0_E_clISt17integral_constantIbLb0EESX_EEDaSS_ST_EUlSS_E_NS1_11comp_targetILNS1_3genE8ELNS1_11target_archE1030ELNS1_3gpuE2ELNS1_3repE0EEENS1_30default_config_static_selectorELNS0_4arch9wavefront6targetE1EEEvT1_, .Lfunc_end4870-_ZN7rocprim17ROCPRIM_400000_NS6detail17trampoline_kernelINS0_14default_configENS1_20scan_config_selectorIdEEZZNS1_9scan_implILNS1_25lookback_scan_determinismE0ELb0ELb0ES3_N6thrust23THRUST_200600_302600_NS6detail15normal_iteratorINS9_10device_ptrIdEEEENS9_16discard_iteratorINS9_11use_defaultEEEdNS9_4plusIvEEdEEDaPvRmT3_T4_T5_mT6_P12ihipStream_tbENKUlT_T0_E_clISt17integral_constantIbLb0EESX_EEDaSS_ST_EUlSS_E_NS1_11comp_targetILNS1_3genE8ELNS1_11target_archE1030ELNS1_3gpuE2ELNS1_3repE0EEENS1_30default_config_static_selectorELNS0_4arch9wavefront6targetE1EEEvT1_
                                        ; -- End function
	.section	.AMDGPU.csdata,"",@progbits
; Kernel info:
; codeLenInByte = 0
; NumSgprs: 4
; NumVgprs: 0
; NumAgprs: 0
; TotalNumVgprs: 0
; ScratchSize: 0
; MemoryBound: 0
; FloatMode: 240
; IeeeMode: 1
; LDSByteSize: 0 bytes/workgroup (compile time only)
; SGPRBlocks: 0
; VGPRBlocks: 0
; NumSGPRsForWavesPerEU: 4
; NumVGPRsForWavesPerEU: 1
; AccumOffset: 4
; Occupancy: 8
; WaveLimiterHint : 0
; COMPUTE_PGM_RSRC2:SCRATCH_EN: 0
; COMPUTE_PGM_RSRC2:USER_SGPR: 6
; COMPUTE_PGM_RSRC2:TRAP_HANDLER: 0
; COMPUTE_PGM_RSRC2:TGID_X_EN: 1
; COMPUTE_PGM_RSRC2:TGID_Y_EN: 0
; COMPUTE_PGM_RSRC2:TGID_Z_EN: 0
; COMPUTE_PGM_RSRC2:TIDIG_COMP_CNT: 0
; COMPUTE_PGM_RSRC3_GFX90A:ACCUM_OFFSET: 0
; COMPUTE_PGM_RSRC3_GFX90A:TG_SPLIT: 0
	.section	.text._ZN7rocprim17ROCPRIM_400000_NS6detail17trampoline_kernelINS0_14default_configENS1_20scan_config_selectorIdEEZZNS1_9scan_implILNS1_25lookback_scan_determinismE0ELb0ELb0ES3_N6thrust23THRUST_200600_302600_NS6detail15normal_iteratorINS9_10device_ptrIdEEEENS9_16discard_iteratorINS9_11use_defaultEEEdNS9_4plusIvEEdEEDaPvRmT3_T4_T5_mT6_P12ihipStream_tbENKUlT_T0_E_clISt17integral_constantIbLb0EESX_EEDaSS_ST_EUlSS_E0_NS1_11comp_targetILNS1_3genE0ELNS1_11target_archE4294967295ELNS1_3gpuE0ELNS1_3repE0EEENS1_30default_config_static_selectorELNS0_4arch9wavefront6targetE1EEEvT1_,"axG",@progbits,_ZN7rocprim17ROCPRIM_400000_NS6detail17trampoline_kernelINS0_14default_configENS1_20scan_config_selectorIdEEZZNS1_9scan_implILNS1_25lookback_scan_determinismE0ELb0ELb0ES3_N6thrust23THRUST_200600_302600_NS6detail15normal_iteratorINS9_10device_ptrIdEEEENS9_16discard_iteratorINS9_11use_defaultEEEdNS9_4plusIvEEdEEDaPvRmT3_T4_T5_mT6_P12ihipStream_tbENKUlT_T0_E_clISt17integral_constantIbLb0EESX_EEDaSS_ST_EUlSS_E0_NS1_11comp_targetILNS1_3genE0ELNS1_11target_archE4294967295ELNS1_3gpuE0ELNS1_3repE0EEENS1_30default_config_static_selectorELNS0_4arch9wavefront6targetE1EEEvT1_,comdat
	.protected	_ZN7rocprim17ROCPRIM_400000_NS6detail17trampoline_kernelINS0_14default_configENS1_20scan_config_selectorIdEEZZNS1_9scan_implILNS1_25lookback_scan_determinismE0ELb0ELb0ES3_N6thrust23THRUST_200600_302600_NS6detail15normal_iteratorINS9_10device_ptrIdEEEENS9_16discard_iteratorINS9_11use_defaultEEEdNS9_4plusIvEEdEEDaPvRmT3_T4_T5_mT6_P12ihipStream_tbENKUlT_T0_E_clISt17integral_constantIbLb0EESX_EEDaSS_ST_EUlSS_E0_NS1_11comp_targetILNS1_3genE0ELNS1_11target_archE4294967295ELNS1_3gpuE0ELNS1_3repE0EEENS1_30default_config_static_selectorELNS0_4arch9wavefront6targetE1EEEvT1_ ; -- Begin function _ZN7rocprim17ROCPRIM_400000_NS6detail17trampoline_kernelINS0_14default_configENS1_20scan_config_selectorIdEEZZNS1_9scan_implILNS1_25lookback_scan_determinismE0ELb0ELb0ES3_N6thrust23THRUST_200600_302600_NS6detail15normal_iteratorINS9_10device_ptrIdEEEENS9_16discard_iteratorINS9_11use_defaultEEEdNS9_4plusIvEEdEEDaPvRmT3_T4_T5_mT6_P12ihipStream_tbENKUlT_T0_E_clISt17integral_constantIbLb0EESX_EEDaSS_ST_EUlSS_E0_NS1_11comp_targetILNS1_3genE0ELNS1_11target_archE4294967295ELNS1_3gpuE0ELNS1_3repE0EEENS1_30default_config_static_selectorELNS0_4arch9wavefront6targetE1EEEvT1_
	.globl	_ZN7rocprim17ROCPRIM_400000_NS6detail17trampoline_kernelINS0_14default_configENS1_20scan_config_selectorIdEEZZNS1_9scan_implILNS1_25lookback_scan_determinismE0ELb0ELb0ES3_N6thrust23THRUST_200600_302600_NS6detail15normal_iteratorINS9_10device_ptrIdEEEENS9_16discard_iteratorINS9_11use_defaultEEEdNS9_4plusIvEEdEEDaPvRmT3_T4_T5_mT6_P12ihipStream_tbENKUlT_T0_E_clISt17integral_constantIbLb0EESX_EEDaSS_ST_EUlSS_E0_NS1_11comp_targetILNS1_3genE0ELNS1_11target_archE4294967295ELNS1_3gpuE0ELNS1_3repE0EEENS1_30default_config_static_selectorELNS0_4arch9wavefront6targetE1EEEvT1_
	.p2align	8
	.type	_ZN7rocprim17ROCPRIM_400000_NS6detail17trampoline_kernelINS0_14default_configENS1_20scan_config_selectorIdEEZZNS1_9scan_implILNS1_25lookback_scan_determinismE0ELb0ELb0ES3_N6thrust23THRUST_200600_302600_NS6detail15normal_iteratorINS9_10device_ptrIdEEEENS9_16discard_iteratorINS9_11use_defaultEEEdNS9_4plusIvEEdEEDaPvRmT3_T4_T5_mT6_P12ihipStream_tbENKUlT_T0_E_clISt17integral_constantIbLb0EESX_EEDaSS_ST_EUlSS_E0_NS1_11comp_targetILNS1_3genE0ELNS1_11target_archE4294967295ELNS1_3gpuE0ELNS1_3repE0EEENS1_30default_config_static_selectorELNS0_4arch9wavefront6targetE1EEEvT1_,@function
_ZN7rocprim17ROCPRIM_400000_NS6detail17trampoline_kernelINS0_14default_configENS1_20scan_config_selectorIdEEZZNS1_9scan_implILNS1_25lookback_scan_determinismE0ELb0ELb0ES3_N6thrust23THRUST_200600_302600_NS6detail15normal_iteratorINS9_10device_ptrIdEEEENS9_16discard_iteratorINS9_11use_defaultEEEdNS9_4plusIvEEdEEDaPvRmT3_T4_T5_mT6_P12ihipStream_tbENKUlT_T0_E_clISt17integral_constantIbLb0EESX_EEDaSS_ST_EUlSS_E0_NS1_11comp_targetILNS1_3genE0ELNS1_11target_archE4294967295ELNS1_3gpuE0ELNS1_3repE0EEENS1_30default_config_static_selectorELNS0_4arch9wavefront6targetE1EEEvT1_: ; @_ZN7rocprim17ROCPRIM_400000_NS6detail17trampoline_kernelINS0_14default_configENS1_20scan_config_selectorIdEEZZNS1_9scan_implILNS1_25lookback_scan_determinismE0ELb0ELb0ES3_N6thrust23THRUST_200600_302600_NS6detail15normal_iteratorINS9_10device_ptrIdEEEENS9_16discard_iteratorINS9_11use_defaultEEEdNS9_4plusIvEEdEEDaPvRmT3_T4_T5_mT6_P12ihipStream_tbENKUlT_T0_E_clISt17integral_constantIbLb0EESX_EEDaSS_ST_EUlSS_E0_NS1_11comp_targetILNS1_3genE0ELNS1_11target_archE4294967295ELNS1_3gpuE0ELNS1_3repE0EEENS1_30default_config_static_selectorELNS0_4arch9wavefront6targetE1EEEvT1_
; %bb.0:
	.section	.rodata,"a",@progbits
	.p2align	6, 0x0
	.amdhsa_kernel _ZN7rocprim17ROCPRIM_400000_NS6detail17trampoline_kernelINS0_14default_configENS1_20scan_config_selectorIdEEZZNS1_9scan_implILNS1_25lookback_scan_determinismE0ELb0ELb0ES3_N6thrust23THRUST_200600_302600_NS6detail15normal_iteratorINS9_10device_ptrIdEEEENS9_16discard_iteratorINS9_11use_defaultEEEdNS9_4plusIvEEdEEDaPvRmT3_T4_T5_mT6_P12ihipStream_tbENKUlT_T0_E_clISt17integral_constantIbLb0EESX_EEDaSS_ST_EUlSS_E0_NS1_11comp_targetILNS1_3genE0ELNS1_11target_archE4294967295ELNS1_3gpuE0ELNS1_3repE0EEENS1_30default_config_static_selectorELNS0_4arch9wavefront6targetE1EEEvT1_
		.amdhsa_group_segment_fixed_size 0
		.amdhsa_private_segment_fixed_size 0
		.amdhsa_kernarg_size 48
		.amdhsa_user_sgpr_count 6
		.amdhsa_user_sgpr_private_segment_buffer 1
		.amdhsa_user_sgpr_dispatch_ptr 0
		.amdhsa_user_sgpr_queue_ptr 0
		.amdhsa_user_sgpr_kernarg_segment_ptr 1
		.amdhsa_user_sgpr_dispatch_id 0
		.amdhsa_user_sgpr_flat_scratch_init 0
		.amdhsa_user_sgpr_kernarg_preload_length 0
		.amdhsa_user_sgpr_kernarg_preload_offset 0
		.amdhsa_user_sgpr_private_segment_size 0
		.amdhsa_uses_dynamic_stack 0
		.amdhsa_system_sgpr_private_segment_wavefront_offset 0
		.amdhsa_system_sgpr_workgroup_id_x 1
		.amdhsa_system_sgpr_workgroup_id_y 0
		.amdhsa_system_sgpr_workgroup_id_z 0
		.amdhsa_system_sgpr_workgroup_info 0
		.amdhsa_system_vgpr_workitem_id 0
		.amdhsa_next_free_vgpr 1
		.amdhsa_next_free_sgpr 0
		.amdhsa_accum_offset 4
		.amdhsa_reserve_vcc 0
		.amdhsa_reserve_flat_scratch 0
		.amdhsa_float_round_mode_32 0
		.amdhsa_float_round_mode_16_64 0
		.amdhsa_float_denorm_mode_32 3
		.amdhsa_float_denorm_mode_16_64 3
		.amdhsa_dx10_clamp 1
		.amdhsa_ieee_mode 1
		.amdhsa_fp16_overflow 0
		.amdhsa_tg_split 0
		.amdhsa_exception_fp_ieee_invalid_op 0
		.amdhsa_exception_fp_denorm_src 0
		.amdhsa_exception_fp_ieee_div_zero 0
		.amdhsa_exception_fp_ieee_overflow 0
		.amdhsa_exception_fp_ieee_underflow 0
		.amdhsa_exception_fp_ieee_inexact 0
		.amdhsa_exception_int_div_zero 0
	.end_amdhsa_kernel
	.section	.text._ZN7rocprim17ROCPRIM_400000_NS6detail17trampoline_kernelINS0_14default_configENS1_20scan_config_selectorIdEEZZNS1_9scan_implILNS1_25lookback_scan_determinismE0ELb0ELb0ES3_N6thrust23THRUST_200600_302600_NS6detail15normal_iteratorINS9_10device_ptrIdEEEENS9_16discard_iteratorINS9_11use_defaultEEEdNS9_4plusIvEEdEEDaPvRmT3_T4_T5_mT6_P12ihipStream_tbENKUlT_T0_E_clISt17integral_constantIbLb0EESX_EEDaSS_ST_EUlSS_E0_NS1_11comp_targetILNS1_3genE0ELNS1_11target_archE4294967295ELNS1_3gpuE0ELNS1_3repE0EEENS1_30default_config_static_selectorELNS0_4arch9wavefront6targetE1EEEvT1_,"axG",@progbits,_ZN7rocprim17ROCPRIM_400000_NS6detail17trampoline_kernelINS0_14default_configENS1_20scan_config_selectorIdEEZZNS1_9scan_implILNS1_25lookback_scan_determinismE0ELb0ELb0ES3_N6thrust23THRUST_200600_302600_NS6detail15normal_iteratorINS9_10device_ptrIdEEEENS9_16discard_iteratorINS9_11use_defaultEEEdNS9_4plusIvEEdEEDaPvRmT3_T4_T5_mT6_P12ihipStream_tbENKUlT_T0_E_clISt17integral_constantIbLb0EESX_EEDaSS_ST_EUlSS_E0_NS1_11comp_targetILNS1_3genE0ELNS1_11target_archE4294967295ELNS1_3gpuE0ELNS1_3repE0EEENS1_30default_config_static_selectorELNS0_4arch9wavefront6targetE1EEEvT1_,comdat
.Lfunc_end4871:
	.size	_ZN7rocprim17ROCPRIM_400000_NS6detail17trampoline_kernelINS0_14default_configENS1_20scan_config_selectorIdEEZZNS1_9scan_implILNS1_25lookback_scan_determinismE0ELb0ELb0ES3_N6thrust23THRUST_200600_302600_NS6detail15normal_iteratorINS9_10device_ptrIdEEEENS9_16discard_iteratorINS9_11use_defaultEEEdNS9_4plusIvEEdEEDaPvRmT3_T4_T5_mT6_P12ihipStream_tbENKUlT_T0_E_clISt17integral_constantIbLb0EESX_EEDaSS_ST_EUlSS_E0_NS1_11comp_targetILNS1_3genE0ELNS1_11target_archE4294967295ELNS1_3gpuE0ELNS1_3repE0EEENS1_30default_config_static_selectorELNS0_4arch9wavefront6targetE1EEEvT1_, .Lfunc_end4871-_ZN7rocprim17ROCPRIM_400000_NS6detail17trampoline_kernelINS0_14default_configENS1_20scan_config_selectorIdEEZZNS1_9scan_implILNS1_25lookback_scan_determinismE0ELb0ELb0ES3_N6thrust23THRUST_200600_302600_NS6detail15normal_iteratorINS9_10device_ptrIdEEEENS9_16discard_iteratorINS9_11use_defaultEEEdNS9_4plusIvEEdEEDaPvRmT3_T4_T5_mT6_P12ihipStream_tbENKUlT_T0_E_clISt17integral_constantIbLb0EESX_EEDaSS_ST_EUlSS_E0_NS1_11comp_targetILNS1_3genE0ELNS1_11target_archE4294967295ELNS1_3gpuE0ELNS1_3repE0EEENS1_30default_config_static_selectorELNS0_4arch9wavefront6targetE1EEEvT1_
                                        ; -- End function
	.section	.AMDGPU.csdata,"",@progbits
; Kernel info:
; codeLenInByte = 0
; NumSgprs: 4
; NumVgprs: 0
; NumAgprs: 0
; TotalNumVgprs: 0
; ScratchSize: 0
; MemoryBound: 0
; FloatMode: 240
; IeeeMode: 1
; LDSByteSize: 0 bytes/workgroup (compile time only)
; SGPRBlocks: 0
; VGPRBlocks: 0
; NumSGPRsForWavesPerEU: 4
; NumVGPRsForWavesPerEU: 1
; AccumOffset: 4
; Occupancy: 8
; WaveLimiterHint : 0
; COMPUTE_PGM_RSRC2:SCRATCH_EN: 0
; COMPUTE_PGM_RSRC2:USER_SGPR: 6
; COMPUTE_PGM_RSRC2:TRAP_HANDLER: 0
; COMPUTE_PGM_RSRC2:TGID_X_EN: 1
; COMPUTE_PGM_RSRC2:TGID_Y_EN: 0
; COMPUTE_PGM_RSRC2:TGID_Z_EN: 0
; COMPUTE_PGM_RSRC2:TIDIG_COMP_CNT: 0
; COMPUTE_PGM_RSRC3_GFX90A:ACCUM_OFFSET: 0
; COMPUTE_PGM_RSRC3_GFX90A:TG_SPLIT: 0
	.section	.text._ZN7rocprim17ROCPRIM_400000_NS6detail17trampoline_kernelINS0_14default_configENS1_20scan_config_selectorIdEEZZNS1_9scan_implILNS1_25lookback_scan_determinismE0ELb0ELb0ES3_N6thrust23THRUST_200600_302600_NS6detail15normal_iteratorINS9_10device_ptrIdEEEENS9_16discard_iteratorINS9_11use_defaultEEEdNS9_4plusIvEEdEEDaPvRmT3_T4_T5_mT6_P12ihipStream_tbENKUlT_T0_E_clISt17integral_constantIbLb0EESX_EEDaSS_ST_EUlSS_E0_NS1_11comp_targetILNS1_3genE5ELNS1_11target_archE942ELNS1_3gpuE9ELNS1_3repE0EEENS1_30default_config_static_selectorELNS0_4arch9wavefront6targetE1EEEvT1_,"axG",@progbits,_ZN7rocprim17ROCPRIM_400000_NS6detail17trampoline_kernelINS0_14default_configENS1_20scan_config_selectorIdEEZZNS1_9scan_implILNS1_25lookback_scan_determinismE0ELb0ELb0ES3_N6thrust23THRUST_200600_302600_NS6detail15normal_iteratorINS9_10device_ptrIdEEEENS9_16discard_iteratorINS9_11use_defaultEEEdNS9_4plusIvEEdEEDaPvRmT3_T4_T5_mT6_P12ihipStream_tbENKUlT_T0_E_clISt17integral_constantIbLb0EESX_EEDaSS_ST_EUlSS_E0_NS1_11comp_targetILNS1_3genE5ELNS1_11target_archE942ELNS1_3gpuE9ELNS1_3repE0EEENS1_30default_config_static_selectorELNS0_4arch9wavefront6targetE1EEEvT1_,comdat
	.protected	_ZN7rocprim17ROCPRIM_400000_NS6detail17trampoline_kernelINS0_14default_configENS1_20scan_config_selectorIdEEZZNS1_9scan_implILNS1_25lookback_scan_determinismE0ELb0ELb0ES3_N6thrust23THRUST_200600_302600_NS6detail15normal_iteratorINS9_10device_ptrIdEEEENS9_16discard_iteratorINS9_11use_defaultEEEdNS9_4plusIvEEdEEDaPvRmT3_T4_T5_mT6_P12ihipStream_tbENKUlT_T0_E_clISt17integral_constantIbLb0EESX_EEDaSS_ST_EUlSS_E0_NS1_11comp_targetILNS1_3genE5ELNS1_11target_archE942ELNS1_3gpuE9ELNS1_3repE0EEENS1_30default_config_static_selectorELNS0_4arch9wavefront6targetE1EEEvT1_ ; -- Begin function _ZN7rocprim17ROCPRIM_400000_NS6detail17trampoline_kernelINS0_14default_configENS1_20scan_config_selectorIdEEZZNS1_9scan_implILNS1_25lookback_scan_determinismE0ELb0ELb0ES3_N6thrust23THRUST_200600_302600_NS6detail15normal_iteratorINS9_10device_ptrIdEEEENS9_16discard_iteratorINS9_11use_defaultEEEdNS9_4plusIvEEdEEDaPvRmT3_T4_T5_mT6_P12ihipStream_tbENKUlT_T0_E_clISt17integral_constantIbLb0EESX_EEDaSS_ST_EUlSS_E0_NS1_11comp_targetILNS1_3genE5ELNS1_11target_archE942ELNS1_3gpuE9ELNS1_3repE0EEENS1_30default_config_static_selectorELNS0_4arch9wavefront6targetE1EEEvT1_
	.globl	_ZN7rocprim17ROCPRIM_400000_NS6detail17trampoline_kernelINS0_14default_configENS1_20scan_config_selectorIdEEZZNS1_9scan_implILNS1_25lookback_scan_determinismE0ELb0ELb0ES3_N6thrust23THRUST_200600_302600_NS6detail15normal_iteratorINS9_10device_ptrIdEEEENS9_16discard_iteratorINS9_11use_defaultEEEdNS9_4plusIvEEdEEDaPvRmT3_T4_T5_mT6_P12ihipStream_tbENKUlT_T0_E_clISt17integral_constantIbLb0EESX_EEDaSS_ST_EUlSS_E0_NS1_11comp_targetILNS1_3genE5ELNS1_11target_archE942ELNS1_3gpuE9ELNS1_3repE0EEENS1_30default_config_static_selectorELNS0_4arch9wavefront6targetE1EEEvT1_
	.p2align	8
	.type	_ZN7rocprim17ROCPRIM_400000_NS6detail17trampoline_kernelINS0_14default_configENS1_20scan_config_selectorIdEEZZNS1_9scan_implILNS1_25lookback_scan_determinismE0ELb0ELb0ES3_N6thrust23THRUST_200600_302600_NS6detail15normal_iteratorINS9_10device_ptrIdEEEENS9_16discard_iteratorINS9_11use_defaultEEEdNS9_4plusIvEEdEEDaPvRmT3_T4_T5_mT6_P12ihipStream_tbENKUlT_T0_E_clISt17integral_constantIbLb0EESX_EEDaSS_ST_EUlSS_E0_NS1_11comp_targetILNS1_3genE5ELNS1_11target_archE942ELNS1_3gpuE9ELNS1_3repE0EEENS1_30default_config_static_selectorELNS0_4arch9wavefront6targetE1EEEvT1_,@function
_ZN7rocprim17ROCPRIM_400000_NS6detail17trampoline_kernelINS0_14default_configENS1_20scan_config_selectorIdEEZZNS1_9scan_implILNS1_25lookback_scan_determinismE0ELb0ELb0ES3_N6thrust23THRUST_200600_302600_NS6detail15normal_iteratorINS9_10device_ptrIdEEEENS9_16discard_iteratorINS9_11use_defaultEEEdNS9_4plusIvEEdEEDaPvRmT3_T4_T5_mT6_P12ihipStream_tbENKUlT_T0_E_clISt17integral_constantIbLb0EESX_EEDaSS_ST_EUlSS_E0_NS1_11comp_targetILNS1_3genE5ELNS1_11target_archE942ELNS1_3gpuE9ELNS1_3repE0EEENS1_30default_config_static_selectorELNS0_4arch9wavefront6targetE1EEEvT1_: ; @_ZN7rocprim17ROCPRIM_400000_NS6detail17trampoline_kernelINS0_14default_configENS1_20scan_config_selectorIdEEZZNS1_9scan_implILNS1_25lookback_scan_determinismE0ELb0ELb0ES3_N6thrust23THRUST_200600_302600_NS6detail15normal_iteratorINS9_10device_ptrIdEEEENS9_16discard_iteratorINS9_11use_defaultEEEdNS9_4plusIvEEdEEDaPvRmT3_T4_T5_mT6_P12ihipStream_tbENKUlT_T0_E_clISt17integral_constantIbLb0EESX_EEDaSS_ST_EUlSS_E0_NS1_11comp_targetILNS1_3genE5ELNS1_11target_archE942ELNS1_3gpuE9ELNS1_3repE0EEENS1_30default_config_static_selectorELNS0_4arch9wavefront6targetE1EEEvT1_
; %bb.0:
	.section	.rodata,"a",@progbits
	.p2align	6, 0x0
	.amdhsa_kernel _ZN7rocprim17ROCPRIM_400000_NS6detail17trampoline_kernelINS0_14default_configENS1_20scan_config_selectorIdEEZZNS1_9scan_implILNS1_25lookback_scan_determinismE0ELb0ELb0ES3_N6thrust23THRUST_200600_302600_NS6detail15normal_iteratorINS9_10device_ptrIdEEEENS9_16discard_iteratorINS9_11use_defaultEEEdNS9_4plusIvEEdEEDaPvRmT3_T4_T5_mT6_P12ihipStream_tbENKUlT_T0_E_clISt17integral_constantIbLb0EESX_EEDaSS_ST_EUlSS_E0_NS1_11comp_targetILNS1_3genE5ELNS1_11target_archE942ELNS1_3gpuE9ELNS1_3repE0EEENS1_30default_config_static_selectorELNS0_4arch9wavefront6targetE1EEEvT1_
		.amdhsa_group_segment_fixed_size 0
		.amdhsa_private_segment_fixed_size 0
		.amdhsa_kernarg_size 48
		.amdhsa_user_sgpr_count 6
		.amdhsa_user_sgpr_private_segment_buffer 1
		.amdhsa_user_sgpr_dispatch_ptr 0
		.amdhsa_user_sgpr_queue_ptr 0
		.amdhsa_user_sgpr_kernarg_segment_ptr 1
		.amdhsa_user_sgpr_dispatch_id 0
		.amdhsa_user_sgpr_flat_scratch_init 0
		.amdhsa_user_sgpr_kernarg_preload_length 0
		.amdhsa_user_sgpr_kernarg_preload_offset 0
		.amdhsa_user_sgpr_private_segment_size 0
		.amdhsa_uses_dynamic_stack 0
		.amdhsa_system_sgpr_private_segment_wavefront_offset 0
		.amdhsa_system_sgpr_workgroup_id_x 1
		.amdhsa_system_sgpr_workgroup_id_y 0
		.amdhsa_system_sgpr_workgroup_id_z 0
		.amdhsa_system_sgpr_workgroup_info 0
		.amdhsa_system_vgpr_workitem_id 0
		.amdhsa_next_free_vgpr 1
		.amdhsa_next_free_sgpr 0
		.amdhsa_accum_offset 4
		.amdhsa_reserve_vcc 0
		.amdhsa_reserve_flat_scratch 0
		.amdhsa_float_round_mode_32 0
		.amdhsa_float_round_mode_16_64 0
		.amdhsa_float_denorm_mode_32 3
		.amdhsa_float_denorm_mode_16_64 3
		.amdhsa_dx10_clamp 1
		.amdhsa_ieee_mode 1
		.amdhsa_fp16_overflow 0
		.amdhsa_tg_split 0
		.amdhsa_exception_fp_ieee_invalid_op 0
		.amdhsa_exception_fp_denorm_src 0
		.amdhsa_exception_fp_ieee_div_zero 0
		.amdhsa_exception_fp_ieee_overflow 0
		.amdhsa_exception_fp_ieee_underflow 0
		.amdhsa_exception_fp_ieee_inexact 0
		.amdhsa_exception_int_div_zero 0
	.end_amdhsa_kernel
	.section	.text._ZN7rocprim17ROCPRIM_400000_NS6detail17trampoline_kernelINS0_14default_configENS1_20scan_config_selectorIdEEZZNS1_9scan_implILNS1_25lookback_scan_determinismE0ELb0ELb0ES3_N6thrust23THRUST_200600_302600_NS6detail15normal_iteratorINS9_10device_ptrIdEEEENS9_16discard_iteratorINS9_11use_defaultEEEdNS9_4plusIvEEdEEDaPvRmT3_T4_T5_mT6_P12ihipStream_tbENKUlT_T0_E_clISt17integral_constantIbLb0EESX_EEDaSS_ST_EUlSS_E0_NS1_11comp_targetILNS1_3genE5ELNS1_11target_archE942ELNS1_3gpuE9ELNS1_3repE0EEENS1_30default_config_static_selectorELNS0_4arch9wavefront6targetE1EEEvT1_,"axG",@progbits,_ZN7rocprim17ROCPRIM_400000_NS6detail17trampoline_kernelINS0_14default_configENS1_20scan_config_selectorIdEEZZNS1_9scan_implILNS1_25lookback_scan_determinismE0ELb0ELb0ES3_N6thrust23THRUST_200600_302600_NS6detail15normal_iteratorINS9_10device_ptrIdEEEENS9_16discard_iteratorINS9_11use_defaultEEEdNS9_4plusIvEEdEEDaPvRmT3_T4_T5_mT6_P12ihipStream_tbENKUlT_T0_E_clISt17integral_constantIbLb0EESX_EEDaSS_ST_EUlSS_E0_NS1_11comp_targetILNS1_3genE5ELNS1_11target_archE942ELNS1_3gpuE9ELNS1_3repE0EEENS1_30default_config_static_selectorELNS0_4arch9wavefront6targetE1EEEvT1_,comdat
.Lfunc_end4872:
	.size	_ZN7rocprim17ROCPRIM_400000_NS6detail17trampoline_kernelINS0_14default_configENS1_20scan_config_selectorIdEEZZNS1_9scan_implILNS1_25lookback_scan_determinismE0ELb0ELb0ES3_N6thrust23THRUST_200600_302600_NS6detail15normal_iteratorINS9_10device_ptrIdEEEENS9_16discard_iteratorINS9_11use_defaultEEEdNS9_4plusIvEEdEEDaPvRmT3_T4_T5_mT6_P12ihipStream_tbENKUlT_T0_E_clISt17integral_constantIbLb0EESX_EEDaSS_ST_EUlSS_E0_NS1_11comp_targetILNS1_3genE5ELNS1_11target_archE942ELNS1_3gpuE9ELNS1_3repE0EEENS1_30default_config_static_selectorELNS0_4arch9wavefront6targetE1EEEvT1_, .Lfunc_end4872-_ZN7rocprim17ROCPRIM_400000_NS6detail17trampoline_kernelINS0_14default_configENS1_20scan_config_selectorIdEEZZNS1_9scan_implILNS1_25lookback_scan_determinismE0ELb0ELb0ES3_N6thrust23THRUST_200600_302600_NS6detail15normal_iteratorINS9_10device_ptrIdEEEENS9_16discard_iteratorINS9_11use_defaultEEEdNS9_4plusIvEEdEEDaPvRmT3_T4_T5_mT6_P12ihipStream_tbENKUlT_T0_E_clISt17integral_constantIbLb0EESX_EEDaSS_ST_EUlSS_E0_NS1_11comp_targetILNS1_3genE5ELNS1_11target_archE942ELNS1_3gpuE9ELNS1_3repE0EEENS1_30default_config_static_selectorELNS0_4arch9wavefront6targetE1EEEvT1_
                                        ; -- End function
	.section	.AMDGPU.csdata,"",@progbits
; Kernel info:
; codeLenInByte = 0
; NumSgprs: 4
; NumVgprs: 0
; NumAgprs: 0
; TotalNumVgprs: 0
; ScratchSize: 0
; MemoryBound: 0
; FloatMode: 240
; IeeeMode: 1
; LDSByteSize: 0 bytes/workgroup (compile time only)
; SGPRBlocks: 0
; VGPRBlocks: 0
; NumSGPRsForWavesPerEU: 4
; NumVGPRsForWavesPerEU: 1
; AccumOffset: 4
; Occupancy: 8
; WaveLimiterHint : 0
; COMPUTE_PGM_RSRC2:SCRATCH_EN: 0
; COMPUTE_PGM_RSRC2:USER_SGPR: 6
; COMPUTE_PGM_RSRC2:TRAP_HANDLER: 0
; COMPUTE_PGM_RSRC2:TGID_X_EN: 1
; COMPUTE_PGM_RSRC2:TGID_Y_EN: 0
; COMPUTE_PGM_RSRC2:TGID_Z_EN: 0
; COMPUTE_PGM_RSRC2:TIDIG_COMP_CNT: 0
; COMPUTE_PGM_RSRC3_GFX90A:ACCUM_OFFSET: 0
; COMPUTE_PGM_RSRC3_GFX90A:TG_SPLIT: 0
	.section	.text._ZN7rocprim17ROCPRIM_400000_NS6detail17trampoline_kernelINS0_14default_configENS1_20scan_config_selectorIdEEZZNS1_9scan_implILNS1_25lookback_scan_determinismE0ELb0ELb0ES3_N6thrust23THRUST_200600_302600_NS6detail15normal_iteratorINS9_10device_ptrIdEEEENS9_16discard_iteratorINS9_11use_defaultEEEdNS9_4plusIvEEdEEDaPvRmT3_T4_T5_mT6_P12ihipStream_tbENKUlT_T0_E_clISt17integral_constantIbLb0EESX_EEDaSS_ST_EUlSS_E0_NS1_11comp_targetILNS1_3genE4ELNS1_11target_archE910ELNS1_3gpuE8ELNS1_3repE0EEENS1_30default_config_static_selectorELNS0_4arch9wavefront6targetE1EEEvT1_,"axG",@progbits,_ZN7rocprim17ROCPRIM_400000_NS6detail17trampoline_kernelINS0_14default_configENS1_20scan_config_selectorIdEEZZNS1_9scan_implILNS1_25lookback_scan_determinismE0ELb0ELb0ES3_N6thrust23THRUST_200600_302600_NS6detail15normal_iteratorINS9_10device_ptrIdEEEENS9_16discard_iteratorINS9_11use_defaultEEEdNS9_4plusIvEEdEEDaPvRmT3_T4_T5_mT6_P12ihipStream_tbENKUlT_T0_E_clISt17integral_constantIbLb0EESX_EEDaSS_ST_EUlSS_E0_NS1_11comp_targetILNS1_3genE4ELNS1_11target_archE910ELNS1_3gpuE8ELNS1_3repE0EEENS1_30default_config_static_selectorELNS0_4arch9wavefront6targetE1EEEvT1_,comdat
	.protected	_ZN7rocprim17ROCPRIM_400000_NS6detail17trampoline_kernelINS0_14default_configENS1_20scan_config_selectorIdEEZZNS1_9scan_implILNS1_25lookback_scan_determinismE0ELb0ELb0ES3_N6thrust23THRUST_200600_302600_NS6detail15normal_iteratorINS9_10device_ptrIdEEEENS9_16discard_iteratorINS9_11use_defaultEEEdNS9_4plusIvEEdEEDaPvRmT3_T4_T5_mT6_P12ihipStream_tbENKUlT_T0_E_clISt17integral_constantIbLb0EESX_EEDaSS_ST_EUlSS_E0_NS1_11comp_targetILNS1_3genE4ELNS1_11target_archE910ELNS1_3gpuE8ELNS1_3repE0EEENS1_30default_config_static_selectorELNS0_4arch9wavefront6targetE1EEEvT1_ ; -- Begin function _ZN7rocprim17ROCPRIM_400000_NS6detail17trampoline_kernelINS0_14default_configENS1_20scan_config_selectorIdEEZZNS1_9scan_implILNS1_25lookback_scan_determinismE0ELb0ELb0ES3_N6thrust23THRUST_200600_302600_NS6detail15normal_iteratorINS9_10device_ptrIdEEEENS9_16discard_iteratorINS9_11use_defaultEEEdNS9_4plusIvEEdEEDaPvRmT3_T4_T5_mT6_P12ihipStream_tbENKUlT_T0_E_clISt17integral_constantIbLb0EESX_EEDaSS_ST_EUlSS_E0_NS1_11comp_targetILNS1_3genE4ELNS1_11target_archE910ELNS1_3gpuE8ELNS1_3repE0EEENS1_30default_config_static_selectorELNS0_4arch9wavefront6targetE1EEEvT1_
	.globl	_ZN7rocprim17ROCPRIM_400000_NS6detail17trampoline_kernelINS0_14default_configENS1_20scan_config_selectorIdEEZZNS1_9scan_implILNS1_25lookback_scan_determinismE0ELb0ELb0ES3_N6thrust23THRUST_200600_302600_NS6detail15normal_iteratorINS9_10device_ptrIdEEEENS9_16discard_iteratorINS9_11use_defaultEEEdNS9_4plusIvEEdEEDaPvRmT3_T4_T5_mT6_P12ihipStream_tbENKUlT_T0_E_clISt17integral_constantIbLb0EESX_EEDaSS_ST_EUlSS_E0_NS1_11comp_targetILNS1_3genE4ELNS1_11target_archE910ELNS1_3gpuE8ELNS1_3repE0EEENS1_30default_config_static_selectorELNS0_4arch9wavefront6targetE1EEEvT1_
	.p2align	8
	.type	_ZN7rocprim17ROCPRIM_400000_NS6detail17trampoline_kernelINS0_14default_configENS1_20scan_config_selectorIdEEZZNS1_9scan_implILNS1_25lookback_scan_determinismE0ELb0ELb0ES3_N6thrust23THRUST_200600_302600_NS6detail15normal_iteratorINS9_10device_ptrIdEEEENS9_16discard_iteratorINS9_11use_defaultEEEdNS9_4plusIvEEdEEDaPvRmT3_T4_T5_mT6_P12ihipStream_tbENKUlT_T0_E_clISt17integral_constantIbLb0EESX_EEDaSS_ST_EUlSS_E0_NS1_11comp_targetILNS1_3genE4ELNS1_11target_archE910ELNS1_3gpuE8ELNS1_3repE0EEENS1_30default_config_static_selectorELNS0_4arch9wavefront6targetE1EEEvT1_,@function
_ZN7rocprim17ROCPRIM_400000_NS6detail17trampoline_kernelINS0_14default_configENS1_20scan_config_selectorIdEEZZNS1_9scan_implILNS1_25lookback_scan_determinismE0ELb0ELb0ES3_N6thrust23THRUST_200600_302600_NS6detail15normal_iteratorINS9_10device_ptrIdEEEENS9_16discard_iteratorINS9_11use_defaultEEEdNS9_4plusIvEEdEEDaPvRmT3_T4_T5_mT6_P12ihipStream_tbENKUlT_T0_E_clISt17integral_constantIbLb0EESX_EEDaSS_ST_EUlSS_E0_NS1_11comp_targetILNS1_3genE4ELNS1_11target_archE910ELNS1_3gpuE8ELNS1_3repE0EEENS1_30default_config_static_selectorELNS0_4arch9wavefront6targetE1EEEvT1_: ; @_ZN7rocprim17ROCPRIM_400000_NS6detail17trampoline_kernelINS0_14default_configENS1_20scan_config_selectorIdEEZZNS1_9scan_implILNS1_25lookback_scan_determinismE0ELb0ELb0ES3_N6thrust23THRUST_200600_302600_NS6detail15normal_iteratorINS9_10device_ptrIdEEEENS9_16discard_iteratorINS9_11use_defaultEEEdNS9_4plusIvEEdEEDaPvRmT3_T4_T5_mT6_P12ihipStream_tbENKUlT_T0_E_clISt17integral_constantIbLb0EESX_EEDaSS_ST_EUlSS_E0_NS1_11comp_targetILNS1_3genE4ELNS1_11target_archE910ELNS1_3gpuE8ELNS1_3repE0EEENS1_30default_config_static_selectorELNS0_4arch9wavefront6targetE1EEEvT1_
; %bb.0:
	s_load_dwordx4 s[0:3], s[4:5], 0x0
	v_lshlrev_b32_e32 v1, 3, v0
	s_waitcnt lgkmcnt(0)
	s_load_dwordx2 s[4:5], s[0:1], 0x0
	v_cmp_gt_u32_e32 vcc, s2, v0
	s_waitcnt lgkmcnt(0)
	v_pk_mov_b32 v[2:3], s[4:5], s[4:5] op_sel:[0,1]
	s_and_saveexec_b64 s[6:7], vcc
	s_cbranch_execz .LBB4873_2
; %bb.1:
	global_load_dwordx2 v[2:3], v1, s[0:1]
.LBB4873_2:
	s_or_b64 exec, exec, s[6:7]
	v_or_b32_e32 v4, 0x80, v0
	v_cmp_gt_u32_e32 vcc, s2, v4
	v_pk_mov_b32 v[4:5], s[4:5], s[4:5] op_sel:[0,1]
	s_and_saveexec_b64 s[6:7], vcc
	s_cbranch_execz .LBB4873_4
; %bb.3:
	global_load_dwordx2 v[4:5], v1, s[0:1] offset:1024
.LBB4873_4:
	s_or_b64 exec, exec, s[6:7]
	v_or_b32_e32 v6, 0x100, v0
	v_cmp_gt_u32_e32 vcc, s2, v6
	v_pk_mov_b32 v[6:7], s[4:5], s[4:5] op_sel:[0,1]
	s_and_saveexec_b64 s[6:7], vcc
	s_cbranch_execz .LBB4873_6
; %bb.5:
	global_load_dwordx2 v[6:7], v1, s[0:1] offset:2048
.LBB4873_6:
	s_or_b64 exec, exec, s[6:7]
	v_or_b32_e32 v8, 0x180, v0
	v_cmp_gt_u32_e32 vcc, s2, v8
	v_pk_mov_b32 v[8:9], s[4:5], s[4:5] op_sel:[0,1]
	s_and_saveexec_b64 s[6:7], vcc
	s_cbranch_execz .LBB4873_8
; %bb.7:
	global_load_dwordx2 v[8:9], v1, s[0:1] offset:3072
.LBB4873_8:
	s_or_b64 exec, exec, s[6:7]
	v_or_b32_e32 v12, 0x200, v0
	v_cmp_gt_u32_e32 vcc, s2, v12
	v_pk_mov_b32 v[10:11], s[4:5], s[4:5] op_sel:[0,1]
	s_and_saveexec_b64 s[6:7], vcc
	s_cbranch_execz .LBB4873_10
; %bb.9:
	v_lshlrev_b32_e32 v10, 3, v12
	global_load_dwordx2 v[10:11], v10, s[0:1]
.LBB4873_10:
	s_or_b64 exec, exec, s[6:7]
	v_or_b32_e32 v14, 0x280, v0
	v_cmp_gt_u32_e32 vcc, s2, v14
	v_pk_mov_b32 v[12:13], s[4:5], s[4:5] op_sel:[0,1]
	s_and_saveexec_b64 s[6:7], vcc
	s_cbranch_execz .LBB4873_12
; %bb.11:
	v_lshlrev_b32_e32 v12, 3, v14
	global_load_dwordx2 v[12:13], v12, s[0:1]
.LBB4873_12:
	;; [unrolled: 10-line block ×6, first 2 shown]
	s_or_b64 exec, exec, s[2:3]
	s_movk_i32 s0, 0x48
	s_waitcnt vmcnt(0)
	ds_write2st64_b64 v1, v[2:3], v[4:5] offset1:2
	ds_write2st64_b64 v1, v[6:7], v[8:9] offset0:4 offset1:6
	ds_write2st64_b64 v1, v[10:11], v[12:13] offset0:8 offset1:10
	;; [unrolled: 1-line block ×4, first 2 shown]
	v_mad_u32_u24 v6, v0, s0, v1
	s_waitcnt lgkmcnt(0)
	s_barrier
	ds_read_b128 v[2:5], v6
	ds_read_b128 v[22:25], v6 offset:16
	ds_read_b128 v[18:21], v6 offset:32
	;; [unrolled: 1-line block ×4, first 2 shown]
	s_waitcnt lgkmcnt(4)
	v_add_f64 v[38:39], v[2:3], v[4:5]
	s_waitcnt lgkmcnt(3)
	v_add_f64 v[30:31], v[38:39], v[22:23]
	v_add_f64 v[32:33], v[30:31], v[24:25]
	s_waitcnt lgkmcnt(2)
	v_add_f64 v[26:27], v[32:33], v[18:19]
	;; [unrolled: 3-line block ×4, first 2 shown]
	v_mbcnt_lo_u32_b32 v40, -1, 0
	v_add_f64 v[8:9], v[6:7], v[36:37]
	v_mbcnt_hi_u32_b32 v48, -1, v40
	v_and_b32_e32 v44, 15, v48
	v_mov_b32_dpp v40, v8 row_shr:1 row_mask:0xf bank_mask:0xf
	v_mov_b32_dpp v41, v9 row_shr:1 row_mask:0xf bank_mask:0xf
	v_add_f64 v[40:41], v[8:9], v[40:41]
	v_cmp_eq_u32_e32 vcc, 0, v44
	v_cndmask_b32_e32 v40, v40, v8, vcc
	v_cndmask_b32_e32 v41, v41, v9, vcc
	v_cmp_lt_u32_e32 vcc, 1, v44
	v_mov_b32_dpp v42, v40 row_shr:2 row_mask:0xf bank_mask:0xf
	v_mov_b32_dpp v43, v41 row_shr:2 row_mask:0xf bank_mask:0xf
	v_add_f64 v[42:43], v[40:41], v[42:43]
	v_cndmask_b32_e32 v40, v40, v42, vcc
	v_cndmask_b32_e32 v41, v41, v43, vcc
	v_cmp_lt_u32_e32 vcc, 3, v44
	v_mov_b32_dpp v42, v40 row_shr:4 row_mask:0xf bank_mask:0xf
	v_mov_b32_dpp v43, v41 row_shr:4 row_mask:0xf bank_mask:0xf
	v_add_f64 v[42:43], v[40:41], v[42:43]
	;; [unrolled: 6-line block ×3, first 2 shown]
	v_cndmask_b32_e32 v42, v40, v42, vcc
	v_cndmask_b32_e32 v43, v41, v43, vcc
	v_and_b32_e32 v44, 16, v48
	v_mov_b32_dpp v40, v42 row_bcast:15 row_mask:0xf bank_mask:0xf
	v_mov_b32_dpp v41, v43 row_bcast:15 row_mask:0xf bank_mask:0xf
	v_add_f64 v[46:47], v[42:43], v[40:41]
	v_cmp_eq_u32_e64 s[0:1], 0, v44
	v_cndmask_b32_e64 v40, v47, v43, s[0:1]
	v_cndmask_b32_e64 v41, v46, v42, s[0:1]
	v_cmp_eq_u32_e32 vcc, 0, v48
	v_mov_b32_dpp v45, v40 row_bcast:31 row_mask:0xf bank_mask:0xf
	v_mov_b32_dpp v44, v41 row_bcast:31 row_mask:0xf bank_mask:0xf
	v_cmp_ne_u32_e64 s[2:3], 0, v48
	v_pk_mov_b32 v[40:41], v[8:9], v[8:9] op_sel:[0,1]
	s_barrier
	s_and_saveexec_b64 s[4:5], s[2:3]
; %bb.21:
	v_cndmask_b32_e64 v41, v47, v43, s[0:1]
	v_cndmask_b32_e64 v40, v46, v42, s[0:1]
	v_add_f64 v[42:43], v[40:41], v[44:45]
	v_cmp_lt_u32_e64 s[0:1], 31, v48
	v_cndmask_b32_e64 v41, v41, v43, s[0:1]
	v_cndmask_b32_e64 v40, v40, v42, s[0:1]
; %bb.22:
	s_or_b64 exec, exec, s[4:5]
	v_or_b32_e32 v42, 63, v0
	v_lshrrev_b32_e32 v44, 6, v0
	v_cmp_eq_u32_e64 s[0:1], v42, v0
	s_and_saveexec_b64 s[2:3], s[0:1]
	s_cbranch_execz .LBB4873_24
; %bb.23:
	v_lshlrev_b32_e32 v42, 3, v44
	ds_write_b64 v42, v[40:41]
.LBB4873_24:
	s_or_b64 exec, exec, s[2:3]
	v_cmp_gt_u32_e64 s[0:1], 2, v0
	s_waitcnt lgkmcnt(0)
	s_barrier
	s_and_saveexec_b64 s[2:3], s[0:1]
	s_cbranch_execz .LBB4873_26
; %bb.25:
	ds_read_b64 v[42:43], v1
	v_and_b32_e32 v45, 1, v48
	v_cmp_eq_u32_e64 s[0:1], 0, v45
	s_waitcnt lgkmcnt(0)
	v_mov_b32_dpp v46, v42 row_shr:1 row_mask:0xf bank_mask:0xf
	v_mov_b32_dpp v47, v43 row_shr:1 row_mask:0xf bank_mask:0xf
	v_add_f64 v[46:47], v[42:43], v[46:47]
	v_cndmask_b32_e64 v43, v47, v43, s[0:1]
	v_cndmask_b32_e64 v42, v46, v42, s[0:1]
	ds_write_b64 v1, v[42:43]
.LBB4873_26:
	s_or_b64 exec, exec, s[2:3]
	v_cmp_lt_u32_e64 s[0:1], 63, v0
	s_waitcnt lgkmcnt(0)
	s_barrier
	s_waitcnt lgkmcnt(0)
                                        ; implicit-def: $vgpr42_vgpr43
	s_and_saveexec_b64 s[2:3], s[0:1]
	s_cbranch_execz .LBB4873_28
; %bb.27:
	v_lshl_add_u32 v42, v44, 3, -8
	ds_read_b64 v[42:43], v42
	s_waitcnt lgkmcnt(0)
	v_add_f64 v[40:41], v[40:41], v[42:43]
.LBB4873_28:
	s_or_b64 exec, exec, s[2:3]
	v_add_u32_e32 v44, -1, v48
	v_and_b32_e32 v45, 64, v48
	v_cmp_lt_i32_e64 s[0:1], v44, v45
	v_cndmask_b32_e64 v44, v44, v48, s[0:1]
	v_lshlrev_b32_e32 v45, 2, v44
	ds_bpermute_b32 v44, v45, v40
	ds_bpermute_b32 v41, v45, v41
	v_mul_u32_u24_e32 v40, 0x48, v0
	v_cmp_ne_u32_e64 s[0:1], 0, v0
	s_and_saveexec_b64 s[2:3], s[0:1]
	s_cbranch_execz .LBB4873_30
; %bb.29:
	s_waitcnt lgkmcnt(0)
	v_cndmask_b32_e32 v7, v41, v43, vcc
	v_cndmask_b32_e32 v6, v44, v42, vcc
	v_add_f64 v[2:3], v[2:3], v[6:7]
	v_add_f64 v[38:39], v[4:5], v[2:3]
	;; [unrolled: 1-line block ×10, first 2 shown]
	;;#ASMSTART
	;;#ASMEND
.LBB4873_30:
	s_or_b64 exec, exec, s[2:3]
	v_add_u32_e32 v0, v1, v40
	v_mov_b32_e32 v4, v38
	v_mov_b32_e32 v5, v39
	s_waitcnt lgkmcnt(0)
	s_barrier
	ds_write_b128 v0, v[2:5]
	ds_write_b128 v0, v[30:33] offset:16
	ds_write_b128 v0, v[26:29] offset:32
	;; [unrolled: 1-line block ×4, first 2 shown]
	s_waitcnt lgkmcnt(0)
	s_barrier
	s_endpgm
	.section	.rodata,"a",@progbits
	.p2align	6, 0x0
	.amdhsa_kernel _ZN7rocprim17ROCPRIM_400000_NS6detail17trampoline_kernelINS0_14default_configENS1_20scan_config_selectorIdEEZZNS1_9scan_implILNS1_25lookback_scan_determinismE0ELb0ELb0ES3_N6thrust23THRUST_200600_302600_NS6detail15normal_iteratorINS9_10device_ptrIdEEEENS9_16discard_iteratorINS9_11use_defaultEEEdNS9_4plusIvEEdEEDaPvRmT3_T4_T5_mT6_P12ihipStream_tbENKUlT_T0_E_clISt17integral_constantIbLb0EESX_EEDaSS_ST_EUlSS_E0_NS1_11comp_targetILNS1_3genE4ELNS1_11target_archE910ELNS1_3gpuE8ELNS1_3repE0EEENS1_30default_config_static_selectorELNS0_4arch9wavefront6targetE1EEEvT1_
		.amdhsa_group_segment_fixed_size 10240
		.amdhsa_private_segment_fixed_size 0
		.amdhsa_kernarg_size 48
		.amdhsa_user_sgpr_count 6
		.amdhsa_user_sgpr_private_segment_buffer 1
		.amdhsa_user_sgpr_dispatch_ptr 0
		.amdhsa_user_sgpr_queue_ptr 0
		.amdhsa_user_sgpr_kernarg_segment_ptr 1
		.amdhsa_user_sgpr_dispatch_id 0
		.amdhsa_user_sgpr_flat_scratch_init 0
		.amdhsa_user_sgpr_kernarg_preload_length 0
		.amdhsa_user_sgpr_kernarg_preload_offset 0
		.amdhsa_user_sgpr_private_segment_size 0
		.amdhsa_uses_dynamic_stack 0
		.amdhsa_system_sgpr_private_segment_wavefront_offset 0
		.amdhsa_system_sgpr_workgroup_id_x 1
		.amdhsa_system_sgpr_workgroup_id_y 0
		.amdhsa_system_sgpr_workgroup_id_z 0
		.amdhsa_system_sgpr_workgroup_info 0
		.amdhsa_system_vgpr_workitem_id 0
		.amdhsa_next_free_vgpr 49
		.amdhsa_next_free_sgpr 8
		.amdhsa_accum_offset 52
		.amdhsa_reserve_vcc 1
		.amdhsa_reserve_flat_scratch 0
		.amdhsa_float_round_mode_32 0
		.amdhsa_float_round_mode_16_64 0
		.amdhsa_float_denorm_mode_32 3
		.amdhsa_float_denorm_mode_16_64 3
		.amdhsa_dx10_clamp 1
		.amdhsa_ieee_mode 1
		.amdhsa_fp16_overflow 0
		.amdhsa_tg_split 0
		.amdhsa_exception_fp_ieee_invalid_op 0
		.amdhsa_exception_fp_denorm_src 0
		.amdhsa_exception_fp_ieee_div_zero 0
		.amdhsa_exception_fp_ieee_overflow 0
		.amdhsa_exception_fp_ieee_underflow 0
		.amdhsa_exception_fp_ieee_inexact 0
		.amdhsa_exception_int_div_zero 0
	.end_amdhsa_kernel
	.section	.text._ZN7rocprim17ROCPRIM_400000_NS6detail17trampoline_kernelINS0_14default_configENS1_20scan_config_selectorIdEEZZNS1_9scan_implILNS1_25lookback_scan_determinismE0ELb0ELb0ES3_N6thrust23THRUST_200600_302600_NS6detail15normal_iteratorINS9_10device_ptrIdEEEENS9_16discard_iteratorINS9_11use_defaultEEEdNS9_4plusIvEEdEEDaPvRmT3_T4_T5_mT6_P12ihipStream_tbENKUlT_T0_E_clISt17integral_constantIbLb0EESX_EEDaSS_ST_EUlSS_E0_NS1_11comp_targetILNS1_3genE4ELNS1_11target_archE910ELNS1_3gpuE8ELNS1_3repE0EEENS1_30default_config_static_selectorELNS0_4arch9wavefront6targetE1EEEvT1_,"axG",@progbits,_ZN7rocprim17ROCPRIM_400000_NS6detail17trampoline_kernelINS0_14default_configENS1_20scan_config_selectorIdEEZZNS1_9scan_implILNS1_25lookback_scan_determinismE0ELb0ELb0ES3_N6thrust23THRUST_200600_302600_NS6detail15normal_iteratorINS9_10device_ptrIdEEEENS9_16discard_iteratorINS9_11use_defaultEEEdNS9_4plusIvEEdEEDaPvRmT3_T4_T5_mT6_P12ihipStream_tbENKUlT_T0_E_clISt17integral_constantIbLb0EESX_EEDaSS_ST_EUlSS_E0_NS1_11comp_targetILNS1_3genE4ELNS1_11target_archE910ELNS1_3gpuE8ELNS1_3repE0EEENS1_30default_config_static_selectorELNS0_4arch9wavefront6targetE1EEEvT1_,comdat
.Lfunc_end4873:
	.size	_ZN7rocprim17ROCPRIM_400000_NS6detail17trampoline_kernelINS0_14default_configENS1_20scan_config_selectorIdEEZZNS1_9scan_implILNS1_25lookback_scan_determinismE0ELb0ELb0ES3_N6thrust23THRUST_200600_302600_NS6detail15normal_iteratorINS9_10device_ptrIdEEEENS9_16discard_iteratorINS9_11use_defaultEEEdNS9_4plusIvEEdEEDaPvRmT3_T4_T5_mT6_P12ihipStream_tbENKUlT_T0_E_clISt17integral_constantIbLb0EESX_EEDaSS_ST_EUlSS_E0_NS1_11comp_targetILNS1_3genE4ELNS1_11target_archE910ELNS1_3gpuE8ELNS1_3repE0EEENS1_30default_config_static_selectorELNS0_4arch9wavefront6targetE1EEEvT1_, .Lfunc_end4873-_ZN7rocprim17ROCPRIM_400000_NS6detail17trampoline_kernelINS0_14default_configENS1_20scan_config_selectorIdEEZZNS1_9scan_implILNS1_25lookback_scan_determinismE0ELb0ELb0ES3_N6thrust23THRUST_200600_302600_NS6detail15normal_iteratorINS9_10device_ptrIdEEEENS9_16discard_iteratorINS9_11use_defaultEEEdNS9_4plusIvEEdEEDaPvRmT3_T4_T5_mT6_P12ihipStream_tbENKUlT_T0_E_clISt17integral_constantIbLb0EESX_EEDaSS_ST_EUlSS_E0_NS1_11comp_targetILNS1_3genE4ELNS1_11target_archE910ELNS1_3gpuE8ELNS1_3repE0EEENS1_30default_config_static_selectorELNS0_4arch9wavefront6targetE1EEEvT1_
                                        ; -- End function
	.section	.AMDGPU.csdata,"",@progbits
; Kernel info:
; codeLenInByte = 1388
; NumSgprs: 12
; NumVgprs: 49
; NumAgprs: 0
; TotalNumVgprs: 49
; ScratchSize: 0
; MemoryBound: 0
; FloatMode: 240
; IeeeMode: 1
; LDSByteSize: 10240 bytes/workgroup (compile time only)
; SGPRBlocks: 1
; VGPRBlocks: 6
; NumSGPRsForWavesPerEU: 12
; NumVGPRsForWavesPerEU: 49
; AccumOffset: 52
; Occupancy: 3
; WaveLimiterHint : 0
; COMPUTE_PGM_RSRC2:SCRATCH_EN: 0
; COMPUTE_PGM_RSRC2:USER_SGPR: 6
; COMPUTE_PGM_RSRC2:TRAP_HANDLER: 0
; COMPUTE_PGM_RSRC2:TGID_X_EN: 1
; COMPUTE_PGM_RSRC2:TGID_Y_EN: 0
; COMPUTE_PGM_RSRC2:TGID_Z_EN: 0
; COMPUTE_PGM_RSRC2:TIDIG_COMP_CNT: 0
; COMPUTE_PGM_RSRC3_GFX90A:ACCUM_OFFSET: 12
; COMPUTE_PGM_RSRC3_GFX90A:TG_SPLIT: 0
	.section	.text._ZN7rocprim17ROCPRIM_400000_NS6detail17trampoline_kernelINS0_14default_configENS1_20scan_config_selectorIdEEZZNS1_9scan_implILNS1_25lookback_scan_determinismE0ELb0ELb0ES3_N6thrust23THRUST_200600_302600_NS6detail15normal_iteratorINS9_10device_ptrIdEEEENS9_16discard_iteratorINS9_11use_defaultEEEdNS9_4plusIvEEdEEDaPvRmT3_T4_T5_mT6_P12ihipStream_tbENKUlT_T0_E_clISt17integral_constantIbLb0EESX_EEDaSS_ST_EUlSS_E0_NS1_11comp_targetILNS1_3genE3ELNS1_11target_archE908ELNS1_3gpuE7ELNS1_3repE0EEENS1_30default_config_static_selectorELNS0_4arch9wavefront6targetE1EEEvT1_,"axG",@progbits,_ZN7rocprim17ROCPRIM_400000_NS6detail17trampoline_kernelINS0_14default_configENS1_20scan_config_selectorIdEEZZNS1_9scan_implILNS1_25lookback_scan_determinismE0ELb0ELb0ES3_N6thrust23THRUST_200600_302600_NS6detail15normal_iteratorINS9_10device_ptrIdEEEENS9_16discard_iteratorINS9_11use_defaultEEEdNS9_4plusIvEEdEEDaPvRmT3_T4_T5_mT6_P12ihipStream_tbENKUlT_T0_E_clISt17integral_constantIbLb0EESX_EEDaSS_ST_EUlSS_E0_NS1_11comp_targetILNS1_3genE3ELNS1_11target_archE908ELNS1_3gpuE7ELNS1_3repE0EEENS1_30default_config_static_selectorELNS0_4arch9wavefront6targetE1EEEvT1_,comdat
	.protected	_ZN7rocprim17ROCPRIM_400000_NS6detail17trampoline_kernelINS0_14default_configENS1_20scan_config_selectorIdEEZZNS1_9scan_implILNS1_25lookback_scan_determinismE0ELb0ELb0ES3_N6thrust23THRUST_200600_302600_NS6detail15normal_iteratorINS9_10device_ptrIdEEEENS9_16discard_iteratorINS9_11use_defaultEEEdNS9_4plusIvEEdEEDaPvRmT3_T4_T5_mT6_P12ihipStream_tbENKUlT_T0_E_clISt17integral_constantIbLb0EESX_EEDaSS_ST_EUlSS_E0_NS1_11comp_targetILNS1_3genE3ELNS1_11target_archE908ELNS1_3gpuE7ELNS1_3repE0EEENS1_30default_config_static_selectorELNS0_4arch9wavefront6targetE1EEEvT1_ ; -- Begin function _ZN7rocprim17ROCPRIM_400000_NS6detail17trampoline_kernelINS0_14default_configENS1_20scan_config_selectorIdEEZZNS1_9scan_implILNS1_25lookback_scan_determinismE0ELb0ELb0ES3_N6thrust23THRUST_200600_302600_NS6detail15normal_iteratorINS9_10device_ptrIdEEEENS9_16discard_iteratorINS9_11use_defaultEEEdNS9_4plusIvEEdEEDaPvRmT3_T4_T5_mT6_P12ihipStream_tbENKUlT_T0_E_clISt17integral_constantIbLb0EESX_EEDaSS_ST_EUlSS_E0_NS1_11comp_targetILNS1_3genE3ELNS1_11target_archE908ELNS1_3gpuE7ELNS1_3repE0EEENS1_30default_config_static_selectorELNS0_4arch9wavefront6targetE1EEEvT1_
	.globl	_ZN7rocprim17ROCPRIM_400000_NS6detail17trampoline_kernelINS0_14default_configENS1_20scan_config_selectorIdEEZZNS1_9scan_implILNS1_25lookback_scan_determinismE0ELb0ELb0ES3_N6thrust23THRUST_200600_302600_NS6detail15normal_iteratorINS9_10device_ptrIdEEEENS9_16discard_iteratorINS9_11use_defaultEEEdNS9_4plusIvEEdEEDaPvRmT3_T4_T5_mT6_P12ihipStream_tbENKUlT_T0_E_clISt17integral_constantIbLb0EESX_EEDaSS_ST_EUlSS_E0_NS1_11comp_targetILNS1_3genE3ELNS1_11target_archE908ELNS1_3gpuE7ELNS1_3repE0EEENS1_30default_config_static_selectorELNS0_4arch9wavefront6targetE1EEEvT1_
	.p2align	8
	.type	_ZN7rocprim17ROCPRIM_400000_NS6detail17trampoline_kernelINS0_14default_configENS1_20scan_config_selectorIdEEZZNS1_9scan_implILNS1_25lookback_scan_determinismE0ELb0ELb0ES3_N6thrust23THRUST_200600_302600_NS6detail15normal_iteratorINS9_10device_ptrIdEEEENS9_16discard_iteratorINS9_11use_defaultEEEdNS9_4plusIvEEdEEDaPvRmT3_T4_T5_mT6_P12ihipStream_tbENKUlT_T0_E_clISt17integral_constantIbLb0EESX_EEDaSS_ST_EUlSS_E0_NS1_11comp_targetILNS1_3genE3ELNS1_11target_archE908ELNS1_3gpuE7ELNS1_3repE0EEENS1_30default_config_static_selectorELNS0_4arch9wavefront6targetE1EEEvT1_,@function
_ZN7rocprim17ROCPRIM_400000_NS6detail17trampoline_kernelINS0_14default_configENS1_20scan_config_selectorIdEEZZNS1_9scan_implILNS1_25lookback_scan_determinismE0ELb0ELb0ES3_N6thrust23THRUST_200600_302600_NS6detail15normal_iteratorINS9_10device_ptrIdEEEENS9_16discard_iteratorINS9_11use_defaultEEEdNS9_4plusIvEEdEEDaPvRmT3_T4_T5_mT6_P12ihipStream_tbENKUlT_T0_E_clISt17integral_constantIbLb0EESX_EEDaSS_ST_EUlSS_E0_NS1_11comp_targetILNS1_3genE3ELNS1_11target_archE908ELNS1_3gpuE7ELNS1_3repE0EEENS1_30default_config_static_selectorELNS0_4arch9wavefront6targetE1EEEvT1_: ; @_ZN7rocprim17ROCPRIM_400000_NS6detail17trampoline_kernelINS0_14default_configENS1_20scan_config_selectorIdEEZZNS1_9scan_implILNS1_25lookback_scan_determinismE0ELb0ELb0ES3_N6thrust23THRUST_200600_302600_NS6detail15normal_iteratorINS9_10device_ptrIdEEEENS9_16discard_iteratorINS9_11use_defaultEEEdNS9_4plusIvEEdEEDaPvRmT3_T4_T5_mT6_P12ihipStream_tbENKUlT_T0_E_clISt17integral_constantIbLb0EESX_EEDaSS_ST_EUlSS_E0_NS1_11comp_targetILNS1_3genE3ELNS1_11target_archE908ELNS1_3gpuE7ELNS1_3repE0EEENS1_30default_config_static_selectorELNS0_4arch9wavefront6targetE1EEEvT1_
; %bb.0:
	.section	.rodata,"a",@progbits
	.p2align	6, 0x0
	.amdhsa_kernel _ZN7rocprim17ROCPRIM_400000_NS6detail17trampoline_kernelINS0_14default_configENS1_20scan_config_selectorIdEEZZNS1_9scan_implILNS1_25lookback_scan_determinismE0ELb0ELb0ES3_N6thrust23THRUST_200600_302600_NS6detail15normal_iteratorINS9_10device_ptrIdEEEENS9_16discard_iteratorINS9_11use_defaultEEEdNS9_4plusIvEEdEEDaPvRmT3_T4_T5_mT6_P12ihipStream_tbENKUlT_T0_E_clISt17integral_constantIbLb0EESX_EEDaSS_ST_EUlSS_E0_NS1_11comp_targetILNS1_3genE3ELNS1_11target_archE908ELNS1_3gpuE7ELNS1_3repE0EEENS1_30default_config_static_selectorELNS0_4arch9wavefront6targetE1EEEvT1_
		.amdhsa_group_segment_fixed_size 0
		.amdhsa_private_segment_fixed_size 0
		.amdhsa_kernarg_size 48
		.amdhsa_user_sgpr_count 6
		.amdhsa_user_sgpr_private_segment_buffer 1
		.amdhsa_user_sgpr_dispatch_ptr 0
		.amdhsa_user_sgpr_queue_ptr 0
		.amdhsa_user_sgpr_kernarg_segment_ptr 1
		.amdhsa_user_sgpr_dispatch_id 0
		.amdhsa_user_sgpr_flat_scratch_init 0
		.amdhsa_user_sgpr_kernarg_preload_length 0
		.amdhsa_user_sgpr_kernarg_preload_offset 0
		.amdhsa_user_sgpr_private_segment_size 0
		.amdhsa_uses_dynamic_stack 0
		.amdhsa_system_sgpr_private_segment_wavefront_offset 0
		.amdhsa_system_sgpr_workgroup_id_x 1
		.amdhsa_system_sgpr_workgroup_id_y 0
		.amdhsa_system_sgpr_workgroup_id_z 0
		.amdhsa_system_sgpr_workgroup_info 0
		.amdhsa_system_vgpr_workitem_id 0
		.amdhsa_next_free_vgpr 1
		.amdhsa_next_free_sgpr 0
		.amdhsa_accum_offset 4
		.amdhsa_reserve_vcc 0
		.amdhsa_reserve_flat_scratch 0
		.amdhsa_float_round_mode_32 0
		.amdhsa_float_round_mode_16_64 0
		.amdhsa_float_denorm_mode_32 3
		.amdhsa_float_denorm_mode_16_64 3
		.amdhsa_dx10_clamp 1
		.amdhsa_ieee_mode 1
		.amdhsa_fp16_overflow 0
		.amdhsa_tg_split 0
		.amdhsa_exception_fp_ieee_invalid_op 0
		.amdhsa_exception_fp_denorm_src 0
		.amdhsa_exception_fp_ieee_div_zero 0
		.amdhsa_exception_fp_ieee_overflow 0
		.amdhsa_exception_fp_ieee_underflow 0
		.amdhsa_exception_fp_ieee_inexact 0
		.amdhsa_exception_int_div_zero 0
	.end_amdhsa_kernel
	.section	.text._ZN7rocprim17ROCPRIM_400000_NS6detail17trampoline_kernelINS0_14default_configENS1_20scan_config_selectorIdEEZZNS1_9scan_implILNS1_25lookback_scan_determinismE0ELb0ELb0ES3_N6thrust23THRUST_200600_302600_NS6detail15normal_iteratorINS9_10device_ptrIdEEEENS9_16discard_iteratorINS9_11use_defaultEEEdNS9_4plusIvEEdEEDaPvRmT3_T4_T5_mT6_P12ihipStream_tbENKUlT_T0_E_clISt17integral_constantIbLb0EESX_EEDaSS_ST_EUlSS_E0_NS1_11comp_targetILNS1_3genE3ELNS1_11target_archE908ELNS1_3gpuE7ELNS1_3repE0EEENS1_30default_config_static_selectorELNS0_4arch9wavefront6targetE1EEEvT1_,"axG",@progbits,_ZN7rocprim17ROCPRIM_400000_NS6detail17trampoline_kernelINS0_14default_configENS1_20scan_config_selectorIdEEZZNS1_9scan_implILNS1_25lookback_scan_determinismE0ELb0ELb0ES3_N6thrust23THRUST_200600_302600_NS6detail15normal_iteratorINS9_10device_ptrIdEEEENS9_16discard_iteratorINS9_11use_defaultEEEdNS9_4plusIvEEdEEDaPvRmT3_T4_T5_mT6_P12ihipStream_tbENKUlT_T0_E_clISt17integral_constantIbLb0EESX_EEDaSS_ST_EUlSS_E0_NS1_11comp_targetILNS1_3genE3ELNS1_11target_archE908ELNS1_3gpuE7ELNS1_3repE0EEENS1_30default_config_static_selectorELNS0_4arch9wavefront6targetE1EEEvT1_,comdat
.Lfunc_end4874:
	.size	_ZN7rocprim17ROCPRIM_400000_NS6detail17trampoline_kernelINS0_14default_configENS1_20scan_config_selectorIdEEZZNS1_9scan_implILNS1_25lookback_scan_determinismE0ELb0ELb0ES3_N6thrust23THRUST_200600_302600_NS6detail15normal_iteratorINS9_10device_ptrIdEEEENS9_16discard_iteratorINS9_11use_defaultEEEdNS9_4plusIvEEdEEDaPvRmT3_T4_T5_mT6_P12ihipStream_tbENKUlT_T0_E_clISt17integral_constantIbLb0EESX_EEDaSS_ST_EUlSS_E0_NS1_11comp_targetILNS1_3genE3ELNS1_11target_archE908ELNS1_3gpuE7ELNS1_3repE0EEENS1_30default_config_static_selectorELNS0_4arch9wavefront6targetE1EEEvT1_, .Lfunc_end4874-_ZN7rocprim17ROCPRIM_400000_NS6detail17trampoline_kernelINS0_14default_configENS1_20scan_config_selectorIdEEZZNS1_9scan_implILNS1_25lookback_scan_determinismE0ELb0ELb0ES3_N6thrust23THRUST_200600_302600_NS6detail15normal_iteratorINS9_10device_ptrIdEEEENS9_16discard_iteratorINS9_11use_defaultEEEdNS9_4plusIvEEdEEDaPvRmT3_T4_T5_mT6_P12ihipStream_tbENKUlT_T0_E_clISt17integral_constantIbLb0EESX_EEDaSS_ST_EUlSS_E0_NS1_11comp_targetILNS1_3genE3ELNS1_11target_archE908ELNS1_3gpuE7ELNS1_3repE0EEENS1_30default_config_static_selectorELNS0_4arch9wavefront6targetE1EEEvT1_
                                        ; -- End function
	.section	.AMDGPU.csdata,"",@progbits
; Kernel info:
; codeLenInByte = 0
; NumSgprs: 4
; NumVgprs: 0
; NumAgprs: 0
; TotalNumVgprs: 0
; ScratchSize: 0
; MemoryBound: 0
; FloatMode: 240
; IeeeMode: 1
; LDSByteSize: 0 bytes/workgroup (compile time only)
; SGPRBlocks: 0
; VGPRBlocks: 0
; NumSGPRsForWavesPerEU: 4
; NumVGPRsForWavesPerEU: 1
; AccumOffset: 4
; Occupancy: 8
; WaveLimiterHint : 0
; COMPUTE_PGM_RSRC2:SCRATCH_EN: 0
; COMPUTE_PGM_RSRC2:USER_SGPR: 6
; COMPUTE_PGM_RSRC2:TRAP_HANDLER: 0
; COMPUTE_PGM_RSRC2:TGID_X_EN: 1
; COMPUTE_PGM_RSRC2:TGID_Y_EN: 0
; COMPUTE_PGM_RSRC2:TGID_Z_EN: 0
; COMPUTE_PGM_RSRC2:TIDIG_COMP_CNT: 0
; COMPUTE_PGM_RSRC3_GFX90A:ACCUM_OFFSET: 0
; COMPUTE_PGM_RSRC3_GFX90A:TG_SPLIT: 0
	.section	.text._ZN7rocprim17ROCPRIM_400000_NS6detail17trampoline_kernelINS0_14default_configENS1_20scan_config_selectorIdEEZZNS1_9scan_implILNS1_25lookback_scan_determinismE0ELb0ELb0ES3_N6thrust23THRUST_200600_302600_NS6detail15normal_iteratorINS9_10device_ptrIdEEEENS9_16discard_iteratorINS9_11use_defaultEEEdNS9_4plusIvEEdEEDaPvRmT3_T4_T5_mT6_P12ihipStream_tbENKUlT_T0_E_clISt17integral_constantIbLb0EESX_EEDaSS_ST_EUlSS_E0_NS1_11comp_targetILNS1_3genE2ELNS1_11target_archE906ELNS1_3gpuE6ELNS1_3repE0EEENS1_30default_config_static_selectorELNS0_4arch9wavefront6targetE1EEEvT1_,"axG",@progbits,_ZN7rocprim17ROCPRIM_400000_NS6detail17trampoline_kernelINS0_14default_configENS1_20scan_config_selectorIdEEZZNS1_9scan_implILNS1_25lookback_scan_determinismE0ELb0ELb0ES3_N6thrust23THRUST_200600_302600_NS6detail15normal_iteratorINS9_10device_ptrIdEEEENS9_16discard_iteratorINS9_11use_defaultEEEdNS9_4plusIvEEdEEDaPvRmT3_T4_T5_mT6_P12ihipStream_tbENKUlT_T0_E_clISt17integral_constantIbLb0EESX_EEDaSS_ST_EUlSS_E0_NS1_11comp_targetILNS1_3genE2ELNS1_11target_archE906ELNS1_3gpuE6ELNS1_3repE0EEENS1_30default_config_static_selectorELNS0_4arch9wavefront6targetE1EEEvT1_,comdat
	.protected	_ZN7rocprim17ROCPRIM_400000_NS6detail17trampoline_kernelINS0_14default_configENS1_20scan_config_selectorIdEEZZNS1_9scan_implILNS1_25lookback_scan_determinismE0ELb0ELb0ES3_N6thrust23THRUST_200600_302600_NS6detail15normal_iteratorINS9_10device_ptrIdEEEENS9_16discard_iteratorINS9_11use_defaultEEEdNS9_4plusIvEEdEEDaPvRmT3_T4_T5_mT6_P12ihipStream_tbENKUlT_T0_E_clISt17integral_constantIbLb0EESX_EEDaSS_ST_EUlSS_E0_NS1_11comp_targetILNS1_3genE2ELNS1_11target_archE906ELNS1_3gpuE6ELNS1_3repE0EEENS1_30default_config_static_selectorELNS0_4arch9wavefront6targetE1EEEvT1_ ; -- Begin function _ZN7rocprim17ROCPRIM_400000_NS6detail17trampoline_kernelINS0_14default_configENS1_20scan_config_selectorIdEEZZNS1_9scan_implILNS1_25lookback_scan_determinismE0ELb0ELb0ES3_N6thrust23THRUST_200600_302600_NS6detail15normal_iteratorINS9_10device_ptrIdEEEENS9_16discard_iteratorINS9_11use_defaultEEEdNS9_4plusIvEEdEEDaPvRmT3_T4_T5_mT6_P12ihipStream_tbENKUlT_T0_E_clISt17integral_constantIbLb0EESX_EEDaSS_ST_EUlSS_E0_NS1_11comp_targetILNS1_3genE2ELNS1_11target_archE906ELNS1_3gpuE6ELNS1_3repE0EEENS1_30default_config_static_selectorELNS0_4arch9wavefront6targetE1EEEvT1_
	.globl	_ZN7rocprim17ROCPRIM_400000_NS6detail17trampoline_kernelINS0_14default_configENS1_20scan_config_selectorIdEEZZNS1_9scan_implILNS1_25lookback_scan_determinismE0ELb0ELb0ES3_N6thrust23THRUST_200600_302600_NS6detail15normal_iteratorINS9_10device_ptrIdEEEENS9_16discard_iteratorINS9_11use_defaultEEEdNS9_4plusIvEEdEEDaPvRmT3_T4_T5_mT6_P12ihipStream_tbENKUlT_T0_E_clISt17integral_constantIbLb0EESX_EEDaSS_ST_EUlSS_E0_NS1_11comp_targetILNS1_3genE2ELNS1_11target_archE906ELNS1_3gpuE6ELNS1_3repE0EEENS1_30default_config_static_selectorELNS0_4arch9wavefront6targetE1EEEvT1_
	.p2align	8
	.type	_ZN7rocprim17ROCPRIM_400000_NS6detail17trampoline_kernelINS0_14default_configENS1_20scan_config_selectorIdEEZZNS1_9scan_implILNS1_25lookback_scan_determinismE0ELb0ELb0ES3_N6thrust23THRUST_200600_302600_NS6detail15normal_iteratorINS9_10device_ptrIdEEEENS9_16discard_iteratorINS9_11use_defaultEEEdNS9_4plusIvEEdEEDaPvRmT3_T4_T5_mT6_P12ihipStream_tbENKUlT_T0_E_clISt17integral_constantIbLb0EESX_EEDaSS_ST_EUlSS_E0_NS1_11comp_targetILNS1_3genE2ELNS1_11target_archE906ELNS1_3gpuE6ELNS1_3repE0EEENS1_30default_config_static_selectorELNS0_4arch9wavefront6targetE1EEEvT1_,@function
_ZN7rocprim17ROCPRIM_400000_NS6detail17trampoline_kernelINS0_14default_configENS1_20scan_config_selectorIdEEZZNS1_9scan_implILNS1_25lookback_scan_determinismE0ELb0ELb0ES3_N6thrust23THRUST_200600_302600_NS6detail15normal_iteratorINS9_10device_ptrIdEEEENS9_16discard_iteratorINS9_11use_defaultEEEdNS9_4plusIvEEdEEDaPvRmT3_T4_T5_mT6_P12ihipStream_tbENKUlT_T0_E_clISt17integral_constantIbLb0EESX_EEDaSS_ST_EUlSS_E0_NS1_11comp_targetILNS1_3genE2ELNS1_11target_archE906ELNS1_3gpuE6ELNS1_3repE0EEENS1_30default_config_static_selectorELNS0_4arch9wavefront6targetE1EEEvT1_: ; @_ZN7rocprim17ROCPRIM_400000_NS6detail17trampoline_kernelINS0_14default_configENS1_20scan_config_selectorIdEEZZNS1_9scan_implILNS1_25lookback_scan_determinismE0ELb0ELb0ES3_N6thrust23THRUST_200600_302600_NS6detail15normal_iteratorINS9_10device_ptrIdEEEENS9_16discard_iteratorINS9_11use_defaultEEEdNS9_4plusIvEEdEEDaPvRmT3_T4_T5_mT6_P12ihipStream_tbENKUlT_T0_E_clISt17integral_constantIbLb0EESX_EEDaSS_ST_EUlSS_E0_NS1_11comp_targetILNS1_3genE2ELNS1_11target_archE906ELNS1_3gpuE6ELNS1_3repE0EEENS1_30default_config_static_selectorELNS0_4arch9wavefront6targetE1EEEvT1_
; %bb.0:
	.section	.rodata,"a",@progbits
	.p2align	6, 0x0
	.amdhsa_kernel _ZN7rocprim17ROCPRIM_400000_NS6detail17trampoline_kernelINS0_14default_configENS1_20scan_config_selectorIdEEZZNS1_9scan_implILNS1_25lookback_scan_determinismE0ELb0ELb0ES3_N6thrust23THRUST_200600_302600_NS6detail15normal_iteratorINS9_10device_ptrIdEEEENS9_16discard_iteratorINS9_11use_defaultEEEdNS9_4plusIvEEdEEDaPvRmT3_T4_T5_mT6_P12ihipStream_tbENKUlT_T0_E_clISt17integral_constantIbLb0EESX_EEDaSS_ST_EUlSS_E0_NS1_11comp_targetILNS1_3genE2ELNS1_11target_archE906ELNS1_3gpuE6ELNS1_3repE0EEENS1_30default_config_static_selectorELNS0_4arch9wavefront6targetE1EEEvT1_
		.amdhsa_group_segment_fixed_size 0
		.amdhsa_private_segment_fixed_size 0
		.amdhsa_kernarg_size 48
		.amdhsa_user_sgpr_count 6
		.amdhsa_user_sgpr_private_segment_buffer 1
		.amdhsa_user_sgpr_dispatch_ptr 0
		.amdhsa_user_sgpr_queue_ptr 0
		.amdhsa_user_sgpr_kernarg_segment_ptr 1
		.amdhsa_user_sgpr_dispatch_id 0
		.amdhsa_user_sgpr_flat_scratch_init 0
		.amdhsa_user_sgpr_kernarg_preload_length 0
		.amdhsa_user_sgpr_kernarg_preload_offset 0
		.amdhsa_user_sgpr_private_segment_size 0
		.amdhsa_uses_dynamic_stack 0
		.amdhsa_system_sgpr_private_segment_wavefront_offset 0
		.amdhsa_system_sgpr_workgroup_id_x 1
		.amdhsa_system_sgpr_workgroup_id_y 0
		.amdhsa_system_sgpr_workgroup_id_z 0
		.amdhsa_system_sgpr_workgroup_info 0
		.amdhsa_system_vgpr_workitem_id 0
		.amdhsa_next_free_vgpr 1
		.amdhsa_next_free_sgpr 0
		.amdhsa_accum_offset 4
		.amdhsa_reserve_vcc 0
		.amdhsa_reserve_flat_scratch 0
		.amdhsa_float_round_mode_32 0
		.amdhsa_float_round_mode_16_64 0
		.amdhsa_float_denorm_mode_32 3
		.amdhsa_float_denorm_mode_16_64 3
		.amdhsa_dx10_clamp 1
		.amdhsa_ieee_mode 1
		.amdhsa_fp16_overflow 0
		.amdhsa_tg_split 0
		.amdhsa_exception_fp_ieee_invalid_op 0
		.amdhsa_exception_fp_denorm_src 0
		.amdhsa_exception_fp_ieee_div_zero 0
		.amdhsa_exception_fp_ieee_overflow 0
		.amdhsa_exception_fp_ieee_underflow 0
		.amdhsa_exception_fp_ieee_inexact 0
		.amdhsa_exception_int_div_zero 0
	.end_amdhsa_kernel
	.section	.text._ZN7rocprim17ROCPRIM_400000_NS6detail17trampoline_kernelINS0_14default_configENS1_20scan_config_selectorIdEEZZNS1_9scan_implILNS1_25lookback_scan_determinismE0ELb0ELb0ES3_N6thrust23THRUST_200600_302600_NS6detail15normal_iteratorINS9_10device_ptrIdEEEENS9_16discard_iteratorINS9_11use_defaultEEEdNS9_4plusIvEEdEEDaPvRmT3_T4_T5_mT6_P12ihipStream_tbENKUlT_T0_E_clISt17integral_constantIbLb0EESX_EEDaSS_ST_EUlSS_E0_NS1_11comp_targetILNS1_3genE2ELNS1_11target_archE906ELNS1_3gpuE6ELNS1_3repE0EEENS1_30default_config_static_selectorELNS0_4arch9wavefront6targetE1EEEvT1_,"axG",@progbits,_ZN7rocprim17ROCPRIM_400000_NS6detail17trampoline_kernelINS0_14default_configENS1_20scan_config_selectorIdEEZZNS1_9scan_implILNS1_25lookback_scan_determinismE0ELb0ELb0ES3_N6thrust23THRUST_200600_302600_NS6detail15normal_iteratorINS9_10device_ptrIdEEEENS9_16discard_iteratorINS9_11use_defaultEEEdNS9_4plusIvEEdEEDaPvRmT3_T4_T5_mT6_P12ihipStream_tbENKUlT_T0_E_clISt17integral_constantIbLb0EESX_EEDaSS_ST_EUlSS_E0_NS1_11comp_targetILNS1_3genE2ELNS1_11target_archE906ELNS1_3gpuE6ELNS1_3repE0EEENS1_30default_config_static_selectorELNS0_4arch9wavefront6targetE1EEEvT1_,comdat
.Lfunc_end4875:
	.size	_ZN7rocprim17ROCPRIM_400000_NS6detail17trampoline_kernelINS0_14default_configENS1_20scan_config_selectorIdEEZZNS1_9scan_implILNS1_25lookback_scan_determinismE0ELb0ELb0ES3_N6thrust23THRUST_200600_302600_NS6detail15normal_iteratorINS9_10device_ptrIdEEEENS9_16discard_iteratorINS9_11use_defaultEEEdNS9_4plusIvEEdEEDaPvRmT3_T4_T5_mT6_P12ihipStream_tbENKUlT_T0_E_clISt17integral_constantIbLb0EESX_EEDaSS_ST_EUlSS_E0_NS1_11comp_targetILNS1_3genE2ELNS1_11target_archE906ELNS1_3gpuE6ELNS1_3repE0EEENS1_30default_config_static_selectorELNS0_4arch9wavefront6targetE1EEEvT1_, .Lfunc_end4875-_ZN7rocprim17ROCPRIM_400000_NS6detail17trampoline_kernelINS0_14default_configENS1_20scan_config_selectorIdEEZZNS1_9scan_implILNS1_25lookback_scan_determinismE0ELb0ELb0ES3_N6thrust23THRUST_200600_302600_NS6detail15normal_iteratorINS9_10device_ptrIdEEEENS9_16discard_iteratorINS9_11use_defaultEEEdNS9_4plusIvEEdEEDaPvRmT3_T4_T5_mT6_P12ihipStream_tbENKUlT_T0_E_clISt17integral_constantIbLb0EESX_EEDaSS_ST_EUlSS_E0_NS1_11comp_targetILNS1_3genE2ELNS1_11target_archE906ELNS1_3gpuE6ELNS1_3repE0EEENS1_30default_config_static_selectorELNS0_4arch9wavefront6targetE1EEEvT1_
                                        ; -- End function
	.section	.AMDGPU.csdata,"",@progbits
; Kernel info:
; codeLenInByte = 0
; NumSgprs: 4
; NumVgprs: 0
; NumAgprs: 0
; TotalNumVgprs: 0
; ScratchSize: 0
; MemoryBound: 0
; FloatMode: 240
; IeeeMode: 1
; LDSByteSize: 0 bytes/workgroup (compile time only)
; SGPRBlocks: 0
; VGPRBlocks: 0
; NumSGPRsForWavesPerEU: 4
; NumVGPRsForWavesPerEU: 1
; AccumOffset: 4
; Occupancy: 8
; WaveLimiterHint : 0
; COMPUTE_PGM_RSRC2:SCRATCH_EN: 0
; COMPUTE_PGM_RSRC2:USER_SGPR: 6
; COMPUTE_PGM_RSRC2:TRAP_HANDLER: 0
; COMPUTE_PGM_RSRC2:TGID_X_EN: 1
; COMPUTE_PGM_RSRC2:TGID_Y_EN: 0
; COMPUTE_PGM_RSRC2:TGID_Z_EN: 0
; COMPUTE_PGM_RSRC2:TIDIG_COMP_CNT: 0
; COMPUTE_PGM_RSRC3_GFX90A:ACCUM_OFFSET: 0
; COMPUTE_PGM_RSRC3_GFX90A:TG_SPLIT: 0
	.section	.text._ZN7rocprim17ROCPRIM_400000_NS6detail17trampoline_kernelINS0_14default_configENS1_20scan_config_selectorIdEEZZNS1_9scan_implILNS1_25lookback_scan_determinismE0ELb0ELb0ES3_N6thrust23THRUST_200600_302600_NS6detail15normal_iteratorINS9_10device_ptrIdEEEENS9_16discard_iteratorINS9_11use_defaultEEEdNS9_4plusIvEEdEEDaPvRmT3_T4_T5_mT6_P12ihipStream_tbENKUlT_T0_E_clISt17integral_constantIbLb0EESX_EEDaSS_ST_EUlSS_E0_NS1_11comp_targetILNS1_3genE10ELNS1_11target_archE1201ELNS1_3gpuE5ELNS1_3repE0EEENS1_30default_config_static_selectorELNS0_4arch9wavefront6targetE1EEEvT1_,"axG",@progbits,_ZN7rocprim17ROCPRIM_400000_NS6detail17trampoline_kernelINS0_14default_configENS1_20scan_config_selectorIdEEZZNS1_9scan_implILNS1_25lookback_scan_determinismE0ELb0ELb0ES3_N6thrust23THRUST_200600_302600_NS6detail15normal_iteratorINS9_10device_ptrIdEEEENS9_16discard_iteratorINS9_11use_defaultEEEdNS9_4plusIvEEdEEDaPvRmT3_T4_T5_mT6_P12ihipStream_tbENKUlT_T0_E_clISt17integral_constantIbLb0EESX_EEDaSS_ST_EUlSS_E0_NS1_11comp_targetILNS1_3genE10ELNS1_11target_archE1201ELNS1_3gpuE5ELNS1_3repE0EEENS1_30default_config_static_selectorELNS0_4arch9wavefront6targetE1EEEvT1_,comdat
	.protected	_ZN7rocprim17ROCPRIM_400000_NS6detail17trampoline_kernelINS0_14default_configENS1_20scan_config_selectorIdEEZZNS1_9scan_implILNS1_25lookback_scan_determinismE0ELb0ELb0ES3_N6thrust23THRUST_200600_302600_NS6detail15normal_iteratorINS9_10device_ptrIdEEEENS9_16discard_iteratorINS9_11use_defaultEEEdNS9_4plusIvEEdEEDaPvRmT3_T4_T5_mT6_P12ihipStream_tbENKUlT_T0_E_clISt17integral_constantIbLb0EESX_EEDaSS_ST_EUlSS_E0_NS1_11comp_targetILNS1_3genE10ELNS1_11target_archE1201ELNS1_3gpuE5ELNS1_3repE0EEENS1_30default_config_static_selectorELNS0_4arch9wavefront6targetE1EEEvT1_ ; -- Begin function _ZN7rocprim17ROCPRIM_400000_NS6detail17trampoline_kernelINS0_14default_configENS1_20scan_config_selectorIdEEZZNS1_9scan_implILNS1_25lookback_scan_determinismE0ELb0ELb0ES3_N6thrust23THRUST_200600_302600_NS6detail15normal_iteratorINS9_10device_ptrIdEEEENS9_16discard_iteratorINS9_11use_defaultEEEdNS9_4plusIvEEdEEDaPvRmT3_T4_T5_mT6_P12ihipStream_tbENKUlT_T0_E_clISt17integral_constantIbLb0EESX_EEDaSS_ST_EUlSS_E0_NS1_11comp_targetILNS1_3genE10ELNS1_11target_archE1201ELNS1_3gpuE5ELNS1_3repE0EEENS1_30default_config_static_selectorELNS0_4arch9wavefront6targetE1EEEvT1_
	.globl	_ZN7rocprim17ROCPRIM_400000_NS6detail17trampoline_kernelINS0_14default_configENS1_20scan_config_selectorIdEEZZNS1_9scan_implILNS1_25lookback_scan_determinismE0ELb0ELb0ES3_N6thrust23THRUST_200600_302600_NS6detail15normal_iteratorINS9_10device_ptrIdEEEENS9_16discard_iteratorINS9_11use_defaultEEEdNS9_4plusIvEEdEEDaPvRmT3_T4_T5_mT6_P12ihipStream_tbENKUlT_T0_E_clISt17integral_constantIbLb0EESX_EEDaSS_ST_EUlSS_E0_NS1_11comp_targetILNS1_3genE10ELNS1_11target_archE1201ELNS1_3gpuE5ELNS1_3repE0EEENS1_30default_config_static_selectorELNS0_4arch9wavefront6targetE1EEEvT1_
	.p2align	8
	.type	_ZN7rocprim17ROCPRIM_400000_NS6detail17trampoline_kernelINS0_14default_configENS1_20scan_config_selectorIdEEZZNS1_9scan_implILNS1_25lookback_scan_determinismE0ELb0ELb0ES3_N6thrust23THRUST_200600_302600_NS6detail15normal_iteratorINS9_10device_ptrIdEEEENS9_16discard_iteratorINS9_11use_defaultEEEdNS9_4plusIvEEdEEDaPvRmT3_T4_T5_mT6_P12ihipStream_tbENKUlT_T0_E_clISt17integral_constantIbLb0EESX_EEDaSS_ST_EUlSS_E0_NS1_11comp_targetILNS1_3genE10ELNS1_11target_archE1201ELNS1_3gpuE5ELNS1_3repE0EEENS1_30default_config_static_selectorELNS0_4arch9wavefront6targetE1EEEvT1_,@function
_ZN7rocprim17ROCPRIM_400000_NS6detail17trampoline_kernelINS0_14default_configENS1_20scan_config_selectorIdEEZZNS1_9scan_implILNS1_25lookback_scan_determinismE0ELb0ELb0ES3_N6thrust23THRUST_200600_302600_NS6detail15normal_iteratorINS9_10device_ptrIdEEEENS9_16discard_iteratorINS9_11use_defaultEEEdNS9_4plusIvEEdEEDaPvRmT3_T4_T5_mT6_P12ihipStream_tbENKUlT_T0_E_clISt17integral_constantIbLb0EESX_EEDaSS_ST_EUlSS_E0_NS1_11comp_targetILNS1_3genE10ELNS1_11target_archE1201ELNS1_3gpuE5ELNS1_3repE0EEENS1_30default_config_static_selectorELNS0_4arch9wavefront6targetE1EEEvT1_: ; @_ZN7rocprim17ROCPRIM_400000_NS6detail17trampoline_kernelINS0_14default_configENS1_20scan_config_selectorIdEEZZNS1_9scan_implILNS1_25lookback_scan_determinismE0ELb0ELb0ES3_N6thrust23THRUST_200600_302600_NS6detail15normal_iteratorINS9_10device_ptrIdEEEENS9_16discard_iteratorINS9_11use_defaultEEEdNS9_4plusIvEEdEEDaPvRmT3_T4_T5_mT6_P12ihipStream_tbENKUlT_T0_E_clISt17integral_constantIbLb0EESX_EEDaSS_ST_EUlSS_E0_NS1_11comp_targetILNS1_3genE10ELNS1_11target_archE1201ELNS1_3gpuE5ELNS1_3repE0EEENS1_30default_config_static_selectorELNS0_4arch9wavefront6targetE1EEEvT1_
; %bb.0:
	.section	.rodata,"a",@progbits
	.p2align	6, 0x0
	.amdhsa_kernel _ZN7rocprim17ROCPRIM_400000_NS6detail17trampoline_kernelINS0_14default_configENS1_20scan_config_selectorIdEEZZNS1_9scan_implILNS1_25lookback_scan_determinismE0ELb0ELb0ES3_N6thrust23THRUST_200600_302600_NS6detail15normal_iteratorINS9_10device_ptrIdEEEENS9_16discard_iteratorINS9_11use_defaultEEEdNS9_4plusIvEEdEEDaPvRmT3_T4_T5_mT6_P12ihipStream_tbENKUlT_T0_E_clISt17integral_constantIbLb0EESX_EEDaSS_ST_EUlSS_E0_NS1_11comp_targetILNS1_3genE10ELNS1_11target_archE1201ELNS1_3gpuE5ELNS1_3repE0EEENS1_30default_config_static_selectorELNS0_4arch9wavefront6targetE1EEEvT1_
		.amdhsa_group_segment_fixed_size 0
		.amdhsa_private_segment_fixed_size 0
		.amdhsa_kernarg_size 48
		.amdhsa_user_sgpr_count 6
		.amdhsa_user_sgpr_private_segment_buffer 1
		.amdhsa_user_sgpr_dispatch_ptr 0
		.amdhsa_user_sgpr_queue_ptr 0
		.amdhsa_user_sgpr_kernarg_segment_ptr 1
		.amdhsa_user_sgpr_dispatch_id 0
		.amdhsa_user_sgpr_flat_scratch_init 0
		.amdhsa_user_sgpr_kernarg_preload_length 0
		.amdhsa_user_sgpr_kernarg_preload_offset 0
		.amdhsa_user_sgpr_private_segment_size 0
		.amdhsa_uses_dynamic_stack 0
		.amdhsa_system_sgpr_private_segment_wavefront_offset 0
		.amdhsa_system_sgpr_workgroup_id_x 1
		.amdhsa_system_sgpr_workgroup_id_y 0
		.amdhsa_system_sgpr_workgroup_id_z 0
		.amdhsa_system_sgpr_workgroup_info 0
		.amdhsa_system_vgpr_workitem_id 0
		.amdhsa_next_free_vgpr 1
		.amdhsa_next_free_sgpr 0
		.amdhsa_accum_offset 4
		.amdhsa_reserve_vcc 0
		.amdhsa_reserve_flat_scratch 0
		.amdhsa_float_round_mode_32 0
		.amdhsa_float_round_mode_16_64 0
		.amdhsa_float_denorm_mode_32 3
		.amdhsa_float_denorm_mode_16_64 3
		.amdhsa_dx10_clamp 1
		.amdhsa_ieee_mode 1
		.amdhsa_fp16_overflow 0
		.amdhsa_tg_split 0
		.amdhsa_exception_fp_ieee_invalid_op 0
		.amdhsa_exception_fp_denorm_src 0
		.amdhsa_exception_fp_ieee_div_zero 0
		.amdhsa_exception_fp_ieee_overflow 0
		.amdhsa_exception_fp_ieee_underflow 0
		.amdhsa_exception_fp_ieee_inexact 0
		.amdhsa_exception_int_div_zero 0
	.end_amdhsa_kernel
	.section	.text._ZN7rocprim17ROCPRIM_400000_NS6detail17trampoline_kernelINS0_14default_configENS1_20scan_config_selectorIdEEZZNS1_9scan_implILNS1_25lookback_scan_determinismE0ELb0ELb0ES3_N6thrust23THRUST_200600_302600_NS6detail15normal_iteratorINS9_10device_ptrIdEEEENS9_16discard_iteratorINS9_11use_defaultEEEdNS9_4plusIvEEdEEDaPvRmT3_T4_T5_mT6_P12ihipStream_tbENKUlT_T0_E_clISt17integral_constantIbLb0EESX_EEDaSS_ST_EUlSS_E0_NS1_11comp_targetILNS1_3genE10ELNS1_11target_archE1201ELNS1_3gpuE5ELNS1_3repE0EEENS1_30default_config_static_selectorELNS0_4arch9wavefront6targetE1EEEvT1_,"axG",@progbits,_ZN7rocprim17ROCPRIM_400000_NS6detail17trampoline_kernelINS0_14default_configENS1_20scan_config_selectorIdEEZZNS1_9scan_implILNS1_25lookback_scan_determinismE0ELb0ELb0ES3_N6thrust23THRUST_200600_302600_NS6detail15normal_iteratorINS9_10device_ptrIdEEEENS9_16discard_iteratorINS9_11use_defaultEEEdNS9_4plusIvEEdEEDaPvRmT3_T4_T5_mT6_P12ihipStream_tbENKUlT_T0_E_clISt17integral_constantIbLb0EESX_EEDaSS_ST_EUlSS_E0_NS1_11comp_targetILNS1_3genE10ELNS1_11target_archE1201ELNS1_3gpuE5ELNS1_3repE0EEENS1_30default_config_static_selectorELNS0_4arch9wavefront6targetE1EEEvT1_,comdat
.Lfunc_end4876:
	.size	_ZN7rocprim17ROCPRIM_400000_NS6detail17trampoline_kernelINS0_14default_configENS1_20scan_config_selectorIdEEZZNS1_9scan_implILNS1_25lookback_scan_determinismE0ELb0ELb0ES3_N6thrust23THRUST_200600_302600_NS6detail15normal_iteratorINS9_10device_ptrIdEEEENS9_16discard_iteratorINS9_11use_defaultEEEdNS9_4plusIvEEdEEDaPvRmT3_T4_T5_mT6_P12ihipStream_tbENKUlT_T0_E_clISt17integral_constantIbLb0EESX_EEDaSS_ST_EUlSS_E0_NS1_11comp_targetILNS1_3genE10ELNS1_11target_archE1201ELNS1_3gpuE5ELNS1_3repE0EEENS1_30default_config_static_selectorELNS0_4arch9wavefront6targetE1EEEvT1_, .Lfunc_end4876-_ZN7rocprim17ROCPRIM_400000_NS6detail17trampoline_kernelINS0_14default_configENS1_20scan_config_selectorIdEEZZNS1_9scan_implILNS1_25lookback_scan_determinismE0ELb0ELb0ES3_N6thrust23THRUST_200600_302600_NS6detail15normal_iteratorINS9_10device_ptrIdEEEENS9_16discard_iteratorINS9_11use_defaultEEEdNS9_4plusIvEEdEEDaPvRmT3_T4_T5_mT6_P12ihipStream_tbENKUlT_T0_E_clISt17integral_constantIbLb0EESX_EEDaSS_ST_EUlSS_E0_NS1_11comp_targetILNS1_3genE10ELNS1_11target_archE1201ELNS1_3gpuE5ELNS1_3repE0EEENS1_30default_config_static_selectorELNS0_4arch9wavefront6targetE1EEEvT1_
                                        ; -- End function
	.section	.AMDGPU.csdata,"",@progbits
; Kernel info:
; codeLenInByte = 0
; NumSgprs: 4
; NumVgprs: 0
; NumAgprs: 0
; TotalNumVgprs: 0
; ScratchSize: 0
; MemoryBound: 0
; FloatMode: 240
; IeeeMode: 1
; LDSByteSize: 0 bytes/workgroup (compile time only)
; SGPRBlocks: 0
; VGPRBlocks: 0
; NumSGPRsForWavesPerEU: 4
; NumVGPRsForWavesPerEU: 1
; AccumOffset: 4
; Occupancy: 8
; WaveLimiterHint : 0
; COMPUTE_PGM_RSRC2:SCRATCH_EN: 0
; COMPUTE_PGM_RSRC2:USER_SGPR: 6
; COMPUTE_PGM_RSRC2:TRAP_HANDLER: 0
; COMPUTE_PGM_RSRC2:TGID_X_EN: 1
; COMPUTE_PGM_RSRC2:TGID_Y_EN: 0
; COMPUTE_PGM_RSRC2:TGID_Z_EN: 0
; COMPUTE_PGM_RSRC2:TIDIG_COMP_CNT: 0
; COMPUTE_PGM_RSRC3_GFX90A:ACCUM_OFFSET: 0
; COMPUTE_PGM_RSRC3_GFX90A:TG_SPLIT: 0
	.section	.text._ZN7rocprim17ROCPRIM_400000_NS6detail17trampoline_kernelINS0_14default_configENS1_20scan_config_selectorIdEEZZNS1_9scan_implILNS1_25lookback_scan_determinismE0ELb0ELb0ES3_N6thrust23THRUST_200600_302600_NS6detail15normal_iteratorINS9_10device_ptrIdEEEENS9_16discard_iteratorINS9_11use_defaultEEEdNS9_4plusIvEEdEEDaPvRmT3_T4_T5_mT6_P12ihipStream_tbENKUlT_T0_E_clISt17integral_constantIbLb0EESX_EEDaSS_ST_EUlSS_E0_NS1_11comp_targetILNS1_3genE10ELNS1_11target_archE1200ELNS1_3gpuE4ELNS1_3repE0EEENS1_30default_config_static_selectorELNS0_4arch9wavefront6targetE1EEEvT1_,"axG",@progbits,_ZN7rocprim17ROCPRIM_400000_NS6detail17trampoline_kernelINS0_14default_configENS1_20scan_config_selectorIdEEZZNS1_9scan_implILNS1_25lookback_scan_determinismE0ELb0ELb0ES3_N6thrust23THRUST_200600_302600_NS6detail15normal_iteratorINS9_10device_ptrIdEEEENS9_16discard_iteratorINS9_11use_defaultEEEdNS9_4plusIvEEdEEDaPvRmT3_T4_T5_mT6_P12ihipStream_tbENKUlT_T0_E_clISt17integral_constantIbLb0EESX_EEDaSS_ST_EUlSS_E0_NS1_11comp_targetILNS1_3genE10ELNS1_11target_archE1200ELNS1_3gpuE4ELNS1_3repE0EEENS1_30default_config_static_selectorELNS0_4arch9wavefront6targetE1EEEvT1_,comdat
	.protected	_ZN7rocprim17ROCPRIM_400000_NS6detail17trampoline_kernelINS0_14default_configENS1_20scan_config_selectorIdEEZZNS1_9scan_implILNS1_25lookback_scan_determinismE0ELb0ELb0ES3_N6thrust23THRUST_200600_302600_NS6detail15normal_iteratorINS9_10device_ptrIdEEEENS9_16discard_iteratorINS9_11use_defaultEEEdNS9_4plusIvEEdEEDaPvRmT3_T4_T5_mT6_P12ihipStream_tbENKUlT_T0_E_clISt17integral_constantIbLb0EESX_EEDaSS_ST_EUlSS_E0_NS1_11comp_targetILNS1_3genE10ELNS1_11target_archE1200ELNS1_3gpuE4ELNS1_3repE0EEENS1_30default_config_static_selectorELNS0_4arch9wavefront6targetE1EEEvT1_ ; -- Begin function _ZN7rocprim17ROCPRIM_400000_NS6detail17trampoline_kernelINS0_14default_configENS1_20scan_config_selectorIdEEZZNS1_9scan_implILNS1_25lookback_scan_determinismE0ELb0ELb0ES3_N6thrust23THRUST_200600_302600_NS6detail15normal_iteratorINS9_10device_ptrIdEEEENS9_16discard_iteratorINS9_11use_defaultEEEdNS9_4plusIvEEdEEDaPvRmT3_T4_T5_mT6_P12ihipStream_tbENKUlT_T0_E_clISt17integral_constantIbLb0EESX_EEDaSS_ST_EUlSS_E0_NS1_11comp_targetILNS1_3genE10ELNS1_11target_archE1200ELNS1_3gpuE4ELNS1_3repE0EEENS1_30default_config_static_selectorELNS0_4arch9wavefront6targetE1EEEvT1_
	.globl	_ZN7rocprim17ROCPRIM_400000_NS6detail17trampoline_kernelINS0_14default_configENS1_20scan_config_selectorIdEEZZNS1_9scan_implILNS1_25lookback_scan_determinismE0ELb0ELb0ES3_N6thrust23THRUST_200600_302600_NS6detail15normal_iteratorINS9_10device_ptrIdEEEENS9_16discard_iteratorINS9_11use_defaultEEEdNS9_4plusIvEEdEEDaPvRmT3_T4_T5_mT6_P12ihipStream_tbENKUlT_T0_E_clISt17integral_constantIbLb0EESX_EEDaSS_ST_EUlSS_E0_NS1_11comp_targetILNS1_3genE10ELNS1_11target_archE1200ELNS1_3gpuE4ELNS1_3repE0EEENS1_30default_config_static_selectorELNS0_4arch9wavefront6targetE1EEEvT1_
	.p2align	8
	.type	_ZN7rocprim17ROCPRIM_400000_NS6detail17trampoline_kernelINS0_14default_configENS1_20scan_config_selectorIdEEZZNS1_9scan_implILNS1_25lookback_scan_determinismE0ELb0ELb0ES3_N6thrust23THRUST_200600_302600_NS6detail15normal_iteratorINS9_10device_ptrIdEEEENS9_16discard_iteratorINS9_11use_defaultEEEdNS9_4plusIvEEdEEDaPvRmT3_T4_T5_mT6_P12ihipStream_tbENKUlT_T0_E_clISt17integral_constantIbLb0EESX_EEDaSS_ST_EUlSS_E0_NS1_11comp_targetILNS1_3genE10ELNS1_11target_archE1200ELNS1_3gpuE4ELNS1_3repE0EEENS1_30default_config_static_selectorELNS0_4arch9wavefront6targetE1EEEvT1_,@function
_ZN7rocprim17ROCPRIM_400000_NS6detail17trampoline_kernelINS0_14default_configENS1_20scan_config_selectorIdEEZZNS1_9scan_implILNS1_25lookback_scan_determinismE0ELb0ELb0ES3_N6thrust23THRUST_200600_302600_NS6detail15normal_iteratorINS9_10device_ptrIdEEEENS9_16discard_iteratorINS9_11use_defaultEEEdNS9_4plusIvEEdEEDaPvRmT3_T4_T5_mT6_P12ihipStream_tbENKUlT_T0_E_clISt17integral_constantIbLb0EESX_EEDaSS_ST_EUlSS_E0_NS1_11comp_targetILNS1_3genE10ELNS1_11target_archE1200ELNS1_3gpuE4ELNS1_3repE0EEENS1_30default_config_static_selectorELNS0_4arch9wavefront6targetE1EEEvT1_: ; @_ZN7rocprim17ROCPRIM_400000_NS6detail17trampoline_kernelINS0_14default_configENS1_20scan_config_selectorIdEEZZNS1_9scan_implILNS1_25lookback_scan_determinismE0ELb0ELb0ES3_N6thrust23THRUST_200600_302600_NS6detail15normal_iteratorINS9_10device_ptrIdEEEENS9_16discard_iteratorINS9_11use_defaultEEEdNS9_4plusIvEEdEEDaPvRmT3_T4_T5_mT6_P12ihipStream_tbENKUlT_T0_E_clISt17integral_constantIbLb0EESX_EEDaSS_ST_EUlSS_E0_NS1_11comp_targetILNS1_3genE10ELNS1_11target_archE1200ELNS1_3gpuE4ELNS1_3repE0EEENS1_30default_config_static_selectorELNS0_4arch9wavefront6targetE1EEEvT1_
; %bb.0:
	.section	.rodata,"a",@progbits
	.p2align	6, 0x0
	.amdhsa_kernel _ZN7rocprim17ROCPRIM_400000_NS6detail17trampoline_kernelINS0_14default_configENS1_20scan_config_selectorIdEEZZNS1_9scan_implILNS1_25lookback_scan_determinismE0ELb0ELb0ES3_N6thrust23THRUST_200600_302600_NS6detail15normal_iteratorINS9_10device_ptrIdEEEENS9_16discard_iteratorINS9_11use_defaultEEEdNS9_4plusIvEEdEEDaPvRmT3_T4_T5_mT6_P12ihipStream_tbENKUlT_T0_E_clISt17integral_constantIbLb0EESX_EEDaSS_ST_EUlSS_E0_NS1_11comp_targetILNS1_3genE10ELNS1_11target_archE1200ELNS1_3gpuE4ELNS1_3repE0EEENS1_30default_config_static_selectorELNS0_4arch9wavefront6targetE1EEEvT1_
		.amdhsa_group_segment_fixed_size 0
		.amdhsa_private_segment_fixed_size 0
		.amdhsa_kernarg_size 48
		.amdhsa_user_sgpr_count 6
		.amdhsa_user_sgpr_private_segment_buffer 1
		.amdhsa_user_sgpr_dispatch_ptr 0
		.amdhsa_user_sgpr_queue_ptr 0
		.amdhsa_user_sgpr_kernarg_segment_ptr 1
		.amdhsa_user_sgpr_dispatch_id 0
		.amdhsa_user_sgpr_flat_scratch_init 0
		.amdhsa_user_sgpr_kernarg_preload_length 0
		.amdhsa_user_sgpr_kernarg_preload_offset 0
		.amdhsa_user_sgpr_private_segment_size 0
		.amdhsa_uses_dynamic_stack 0
		.amdhsa_system_sgpr_private_segment_wavefront_offset 0
		.amdhsa_system_sgpr_workgroup_id_x 1
		.amdhsa_system_sgpr_workgroup_id_y 0
		.amdhsa_system_sgpr_workgroup_id_z 0
		.amdhsa_system_sgpr_workgroup_info 0
		.amdhsa_system_vgpr_workitem_id 0
		.amdhsa_next_free_vgpr 1
		.amdhsa_next_free_sgpr 0
		.amdhsa_accum_offset 4
		.amdhsa_reserve_vcc 0
		.amdhsa_reserve_flat_scratch 0
		.amdhsa_float_round_mode_32 0
		.amdhsa_float_round_mode_16_64 0
		.amdhsa_float_denorm_mode_32 3
		.amdhsa_float_denorm_mode_16_64 3
		.amdhsa_dx10_clamp 1
		.amdhsa_ieee_mode 1
		.amdhsa_fp16_overflow 0
		.amdhsa_tg_split 0
		.amdhsa_exception_fp_ieee_invalid_op 0
		.amdhsa_exception_fp_denorm_src 0
		.amdhsa_exception_fp_ieee_div_zero 0
		.amdhsa_exception_fp_ieee_overflow 0
		.amdhsa_exception_fp_ieee_underflow 0
		.amdhsa_exception_fp_ieee_inexact 0
		.amdhsa_exception_int_div_zero 0
	.end_amdhsa_kernel
	.section	.text._ZN7rocprim17ROCPRIM_400000_NS6detail17trampoline_kernelINS0_14default_configENS1_20scan_config_selectorIdEEZZNS1_9scan_implILNS1_25lookback_scan_determinismE0ELb0ELb0ES3_N6thrust23THRUST_200600_302600_NS6detail15normal_iteratorINS9_10device_ptrIdEEEENS9_16discard_iteratorINS9_11use_defaultEEEdNS9_4plusIvEEdEEDaPvRmT3_T4_T5_mT6_P12ihipStream_tbENKUlT_T0_E_clISt17integral_constantIbLb0EESX_EEDaSS_ST_EUlSS_E0_NS1_11comp_targetILNS1_3genE10ELNS1_11target_archE1200ELNS1_3gpuE4ELNS1_3repE0EEENS1_30default_config_static_selectorELNS0_4arch9wavefront6targetE1EEEvT1_,"axG",@progbits,_ZN7rocprim17ROCPRIM_400000_NS6detail17trampoline_kernelINS0_14default_configENS1_20scan_config_selectorIdEEZZNS1_9scan_implILNS1_25lookback_scan_determinismE0ELb0ELb0ES3_N6thrust23THRUST_200600_302600_NS6detail15normal_iteratorINS9_10device_ptrIdEEEENS9_16discard_iteratorINS9_11use_defaultEEEdNS9_4plusIvEEdEEDaPvRmT3_T4_T5_mT6_P12ihipStream_tbENKUlT_T0_E_clISt17integral_constantIbLb0EESX_EEDaSS_ST_EUlSS_E0_NS1_11comp_targetILNS1_3genE10ELNS1_11target_archE1200ELNS1_3gpuE4ELNS1_3repE0EEENS1_30default_config_static_selectorELNS0_4arch9wavefront6targetE1EEEvT1_,comdat
.Lfunc_end4877:
	.size	_ZN7rocprim17ROCPRIM_400000_NS6detail17trampoline_kernelINS0_14default_configENS1_20scan_config_selectorIdEEZZNS1_9scan_implILNS1_25lookback_scan_determinismE0ELb0ELb0ES3_N6thrust23THRUST_200600_302600_NS6detail15normal_iteratorINS9_10device_ptrIdEEEENS9_16discard_iteratorINS9_11use_defaultEEEdNS9_4plusIvEEdEEDaPvRmT3_T4_T5_mT6_P12ihipStream_tbENKUlT_T0_E_clISt17integral_constantIbLb0EESX_EEDaSS_ST_EUlSS_E0_NS1_11comp_targetILNS1_3genE10ELNS1_11target_archE1200ELNS1_3gpuE4ELNS1_3repE0EEENS1_30default_config_static_selectorELNS0_4arch9wavefront6targetE1EEEvT1_, .Lfunc_end4877-_ZN7rocprim17ROCPRIM_400000_NS6detail17trampoline_kernelINS0_14default_configENS1_20scan_config_selectorIdEEZZNS1_9scan_implILNS1_25lookback_scan_determinismE0ELb0ELb0ES3_N6thrust23THRUST_200600_302600_NS6detail15normal_iteratorINS9_10device_ptrIdEEEENS9_16discard_iteratorINS9_11use_defaultEEEdNS9_4plusIvEEdEEDaPvRmT3_T4_T5_mT6_P12ihipStream_tbENKUlT_T0_E_clISt17integral_constantIbLb0EESX_EEDaSS_ST_EUlSS_E0_NS1_11comp_targetILNS1_3genE10ELNS1_11target_archE1200ELNS1_3gpuE4ELNS1_3repE0EEENS1_30default_config_static_selectorELNS0_4arch9wavefront6targetE1EEEvT1_
                                        ; -- End function
	.section	.AMDGPU.csdata,"",@progbits
; Kernel info:
; codeLenInByte = 0
; NumSgprs: 4
; NumVgprs: 0
; NumAgprs: 0
; TotalNumVgprs: 0
; ScratchSize: 0
; MemoryBound: 0
; FloatMode: 240
; IeeeMode: 1
; LDSByteSize: 0 bytes/workgroup (compile time only)
; SGPRBlocks: 0
; VGPRBlocks: 0
; NumSGPRsForWavesPerEU: 4
; NumVGPRsForWavesPerEU: 1
; AccumOffset: 4
; Occupancy: 8
; WaveLimiterHint : 0
; COMPUTE_PGM_RSRC2:SCRATCH_EN: 0
; COMPUTE_PGM_RSRC2:USER_SGPR: 6
; COMPUTE_PGM_RSRC2:TRAP_HANDLER: 0
; COMPUTE_PGM_RSRC2:TGID_X_EN: 1
; COMPUTE_PGM_RSRC2:TGID_Y_EN: 0
; COMPUTE_PGM_RSRC2:TGID_Z_EN: 0
; COMPUTE_PGM_RSRC2:TIDIG_COMP_CNT: 0
; COMPUTE_PGM_RSRC3_GFX90A:ACCUM_OFFSET: 0
; COMPUTE_PGM_RSRC3_GFX90A:TG_SPLIT: 0
	.section	.text._ZN7rocprim17ROCPRIM_400000_NS6detail17trampoline_kernelINS0_14default_configENS1_20scan_config_selectorIdEEZZNS1_9scan_implILNS1_25lookback_scan_determinismE0ELb0ELb0ES3_N6thrust23THRUST_200600_302600_NS6detail15normal_iteratorINS9_10device_ptrIdEEEENS9_16discard_iteratorINS9_11use_defaultEEEdNS9_4plusIvEEdEEDaPvRmT3_T4_T5_mT6_P12ihipStream_tbENKUlT_T0_E_clISt17integral_constantIbLb0EESX_EEDaSS_ST_EUlSS_E0_NS1_11comp_targetILNS1_3genE9ELNS1_11target_archE1100ELNS1_3gpuE3ELNS1_3repE0EEENS1_30default_config_static_selectorELNS0_4arch9wavefront6targetE1EEEvT1_,"axG",@progbits,_ZN7rocprim17ROCPRIM_400000_NS6detail17trampoline_kernelINS0_14default_configENS1_20scan_config_selectorIdEEZZNS1_9scan_implILNS1_25lookback_scan_determinismE0ELb0ELb0ES3_N6thrust23THRUST_200600_302600_NS6detail15normal_iteratorINS9_10device_ptrIdEEEENS9_16discard_iteratorINS9_11use_defaultEEEdNS9_4plusIvEEdEEDaPvRmT3_T4_T5_mT6_P12ihipStream_tbENKUlT_T0_E_clISt17integral_constantIbLb0EESX_EEDaSS_ST_EUlSS_E0_NS1_11comp_targetILNS1_3genE9ELNS1_11target_archE1100ELNS1_3gpuE3ELNS1_3repE0EEENS1_30default_config_static_selectorELNS0_4arch9wavefront6targetE1EEEvT1_,comdat
	.protected	_ZN7rocprim17ROCPRIM_400000_NS6detail17trampoline_kernelINS0_14default_configENS1_20scan_config_selectorIdEEZZNS1_9scan_implILNS1_25lookback_scan_determinismE0ELb0ELb0ES3_N6thrust23THRUST_200600_302600_NS6detail15normal_iteratorINS9_10device_ptrIdEEEENS9_16discard_iteratorINS9_11use_defaultEEEdNS9_4plusIvEEdEEDaPvRmT3_T4_T5_mT6_P12ihipStream_tbENKUlT_T0_E_clISt17integral_constantIbLb0EESX_EEDaSS_ST_EUlSS_E0_NS1_11comp_targetILNS1_3genE9ELNS1_11target_archE1100ELNS1_3gpuE3ELNS1_3repE0EEENS1_30default_config_static_selectorELNS0_4arch9wavefront6targetE1EEEvT1_ ; -- Begin function _ZN7rocprim17ROCPRIM_400000_NS6detail17trampoline_kernelINS0_14default_configENS1_20scan_config_selectorIdEEZZNS1_9scan_implILNS1_25lookback_scan_determinismE0ELb0ELb0ES3_N6thrust23THRUST_200600_302600_NS6detail15normal_iteratorINS9_10device_ptrIdEEEENS9_16discard_iteratorINS9_11use_defaultEEEdNS9_4plusIvEEdEEDaPvRmT3_T4_T5_mT6_P12ihipStream_tbENKUlT_T0_E_clISt17integral_constantIbLb0EESX_EEDaSS_ST_EUlSS_E0_NS1_11comp_targetILNS1_3genE9ELNS1_11target_archE1100ELNS1_3gpuE3ELNS1_3repE0EEENS1_30default_config_static_selectorELNS0_4arch9wavefront6targetE1EEEvT1_
	.globl	_ZN7rocprim17ROCPRIM_400000_NS6detail17trampoline_kernelINS0_14default_configENS1_20scan_config_selectorIdEEZZNS1_9scan_implILNS1_25lookback_scan_determinismE0ELb0ELb0ES3_N6thrust23THRUST_200600_302600_NS6detail15normal_iteratorINS9_10device_ptrIdEEEENS9_16discard_iteratorINS9_11use_defaultEEEdNS9_4plusIvEEdEEDaPvRmT3_T4_T5_mT6_P12ihipStream_tbENKUlT_T0_E_clISt17integral_constantIbLb0EESX_EEDaSS_ST_EUlSS_E0_NS1_11comp_targetILNS1_3genE9ELNS1_11target_archE1100ELNS1_3gpuE3ELNS1_3repE0EEENS1_30default_config_static_selectorELNS0_4arch9wavefront6targetE1EEEvT1_
	.p2align	8
	.type	_ZN7rocprim17ROCPRIM_400000_NS6detail17trampoline_kernelINS0_14default_configENS1_20scan_config_selectorIdEEZZNS1_9scan_implILNS1_25lookback_scan_determinismE0ELb0ELb0ES3_N6thrust23THRUST_200600_302600_NS6detail15normal_iteratorINS9_10device_ptrIdEEEENS9_16discard_iteratorINS9_11use_defaultEEEdNS9_4plusIvEEdEEDaPvRmT3_T4_T5_mT6_P12ihipStream_tbENKUlT_T0_E_clISt17integral_constantIbLb0EESX_EEDaSS_ST_EUlSS_E0_NS1_11comp_targetILNS1_3genE9ELNS1_11target_archE1100ELNS1_3gpuE3ELNS1_3repE0EEENS1_30default_config_static_selectorELNS0_4arch9wavefront6targetE1EEEvT1_,@function
_ZN7rocprim17ROCPRIM_400000_NS6detail17trampoline_kernelINS0_14default_configENS1_20scan_config_selectorIdEEZZNS1_9scan_implILNS1_25lookback_scan_determinismE0ELb0ELb0ES3_N6thrust23THRUST_200600_302600_NS6detail15normal_iteratorINS9_10device_ptrIdEEEENS9_16discard_iteratorINS9_11use_defaultEEEdNS9_4plusIvEEdEEDaPvRmT3_T4_T5_mT6_P12ihipStream_tbENKUlT_T0_E_clISt17integral_constantIbLb0EESX_EEDaSS_ST_EUlSS_E0_NS1_11comp_targetILNS1_3genE9ELNS1_11target_archE1100ELNS1_3gpuE3ELNS1_3repE0EEENS1_30default_config_static_selectorELNS0_4arch9wavefront6targetE1EEEvT1_: ; @_ZN7rocprim17ROCPRIM_400000_NS6detail17trampoline_kernelINS0_14default_configENS1_20scan_config_selectorIdEEZZNS1_9scan_implILNS1_25lookback_scan_determinismE0ELb0ELb0ES3_N6thrust23THRUST_200600_302600_NS6detail15normal_iteratorINS9_10device_ptrIdEEEENS9_16discard_iteratorINS9_11use_defaultEEEdNS9_4plusIvEEdEEDaPvRmT3_T4_T5_mT6_P12ihipStream_tbENKUlT_T0_E_clISt17integral_constantIbLb0EESX_EEDaSS_ST_EUlSS_E0_NS1_11comp_targetILNS1_3genE9ELNS1_11target_archE1100ELNS1_3gpuE3ELNS1_3repE0EEENS1_30default_config_static_selectorELNS0_4arch9wavefront6targetE1EEEvT1_
; %bb.0:
	.section	.rodata,"a",@progbits
	.p2align	6, 0x0
	.amdhsa_kernel _ZN7rocprim17ROCPRIM_400000_NS6detail17trampoline_kernelINS0_14default_configENS1_20scan_config_selectorIdEEZZNS1_9scan_implILNS1_25lookback_scan_determinismE0ELb0ELb0ES3_N6thrust23THRUST_200600_302600_NS6detail15normal_iteratorINS9_10device_ptrIdEEEENS9_16discard_iteratorINS9_11use_defaultEEEdNS9_4plusIvEEdEEDaPvRmT3_T4_T5_mT6_P12ihipStream_tbENKUlT_T0_E_clISt17integral_constantIbLb0EESX_EEDaSS_ST_EUlSS_E0_NS1_11comp_targetILNS1_3genE9ELNS1_11target_archE1100ELNS1_3gpuE3ELNS1_3repE0EEENS1_30default_config_static_selectorELNS0_4arch9wavefront6targetE1EEEvT1_
		.amdhsa_group_segment_fixed_size 0
		.amdhsa_private_segment_fixed_size 0
		.amdhsa_kernarg_size 48
		.amdhsa_user_sgpr_count 6
		.amdhsa_user_sgpr_private_segment_buffer 1
		.amdhsa_user_sgpr_dispatch_ptr 0
		.amdhsa_user_sgpr_queue_ptr 0
		.amdhsa_user_sgpr_kernarg_segment_ptr 1
		.amdhsa_user_sgpr_dispatch_id 0
		.amdhsa_user_sgpr_flat_scratch_init 0
		.amdhsa_user_sgpr_kernarg_preload_length 0
		.amdhsa_user_sgpr_kernarg_preload_offset 0
		.amdhsa_user_sgpr_private_segment_size 0
		.amdhsa_uses_dynamic_stack 0
		.amdhsa_system_sgpr_private_segment_wavefront_offset 0
		.amdhsa_system_sgpr_workgroup_id_x 1
		.amdhsa_system_sgpr_workgroup_id_y 0
		.amdhsa_system_sgpr_workgroup_id_z 0
		.amdhsa_system_sgpr_workgroup_info 0
		.amdhsa_system_vgpr_workitem_id 0
		.amdhsa_next_free_vgpr 1
		.amdhsa_next_free_sgpr 0
		.amdhsa_accum_offset 4
		.amdhsa_reserve_vcc 0
		.amdhsa_reserve_flat_scratch 0
		.amdhsa_float_round_mode_32 0
		.amdhsa_float_round_mode_16_64 0
		.amdhsa_float_denorm_mode_32 3
		.amdhsa_float_denorm_mode_16_64 3
		.amdhsa_dx10_clamp 1
		.amdhsa_ieee_mode 1
		.amdhsa_fp16_overflow 0
		.amdhsa_tg_split 0
		.amdhsa_exception_fp_ieee_invalid_op 0
		.amdhsa_exception_fp_denorm_src 0
		.amdhsa_exception_fp_ieee_div_zero 0
		.amdhsa_exception_fp_ieee_overflow 0
		.amdhsa_exception_fp_ieee_underflow 0
		.amdhsa_exception_fp_ieee_inexact 0
		.amdhsa_exception_int_div_zero 0
	.end_amdhsa_kernel
	.section	.text._ZN7rocprim17ROCPRIM_400000_NS6detail17trampoline_kernelINS0_14default_configENS1_20scan_config_selectorIdEEZZNS1_9scan_implILNS1_25lookback_scan_determinismE0ELb0ELb0ES3_N6thrust23THRUST_200600_302600_NS6detail15normal_iteratorINS9_10device_ptrIdEEEENS9_16discard_iteratorINS9_11use_defaultEEEdNS9_4plusIvEEdEEDaPvRmT3_T4_T5_mT6_P12ihipStream_tbENKUlT_T0_E_clISt17integral_constantIbLb0EESX_EEDaSS_ST_EUlSS_E0_NS1_11comp_targetILNS1_3genE9ELNS1_11target_archE1100ELNS1_3gpuE3ELNS1_3repE0EEENS1_30default_config_static_selectorELNS0_4arch9wavefront6targetE1EEEvT1_,"axG",@progbits,_ZN7rocprim17ROCPRIM_400000_NS6detail17trampoline_kernelINS0_14default_configENS1_20scan_config_selectorIdEEZZNS1_9scan_implILNS1_25lookback_scan_determinismE0ELb0ELb0ES3_N6thrust23THRUST_200600_302600_NS6detail15normal_iteratorINS9_10device_ptrIdEEEENS9_16discard_iteratorINS9_11use_defaultEEEdNS9_4plusIvEEdEEDaPvRmT3_T4_T5_mT6_P12ihipStream_tbENKUlT_T0_E_clISt17integral_constantIbLb0EESX_EEDaSS_ST_EUlSS_E0_NS1_11comp_targetILNS1_3genE9ELNS1_11target_archE1100ELNS1_3gpuE3ELNS1_3repE0EEENS1_30default_config_static_selectorELNS0_4arch9wavefront6targetE1EEEvT1_,comdat
.Lfunc_end4878:
	.size	_ZN7rocprim17ROCPRIM_400000_NS6detail17trampoline_kernelINS0_14default_configENS1_20scan_config_selectorIdEEZZNS1_9scan_implILNS1_25lookback_scan_determinismE0ELb0ELb0ES3_N6thrust23THRUST_200600_302600_NS6detail15normal_iteratorINS9_10device_ptrIdEEEENS9_16discard_iteratorINS9_11use_defaultEEEdNS9_4plusIvEEdEEDaPvRmT3_T4_T5_mT6_P12ihipStream_tbENKUlT_T0_E_clISt17integral_constantIbLb0EESX_EEDaSS_ST_EUlSS_E0_NS1_11comp_targetILNS1_3genE9ELNS1_11target_archE1100ELNS1_3gpuE3ELNS1_3repE0EEENS1_30default_config_static_selectorELNS0_4arch9wavefront6targetE1EEEvT1_, .Lfunc_end4878-_ZN7rocprim17ROCPRIM_400000_NS6detail17trampoline_kernelINS0_14default_configENS1_20scan_config_selectorIdEEZZNS1_9scan_implILNS1_25lookback_scan_determinismE0ELb0ELb0ES3_N6thrust23THRUST_200600_302600_NS6detail15normal_iteratorINS9_10device_ptrIdEEEENS9_16discard_iteratorINS9_11use_defaultEEEdNS9_4plusIvEEdEEDaPvRmT3_T4_T5_mT6_P12ihipStream_tbENKUlT_T0_E_clISt17integral_constantIbLb0EESX_EEDaSS_ST_EUlSS_E0_NS1_11comp_targetILNS1_3genE9ELNS1_11target_archE1100ELNS1_3gpuE3ELNS1_3repE0EEENS1_30default_config_static_selectorELNS0_4arch9wavefront6targetE1EEEvT1_
                                        ; -- End function
	.section	.AMDGPU.csdata,"",@progbits
; Kernel info:
; codeLenInByte = 0
; NumSgprs: 4
; NumVgprs: 0
; NumAgprs: 0
; TotalNumVgprs: 0
; ScratchSize: 0
; MemoryBound: 0
; FloatMode: 240
; IeeeMode: 1
; LDSByteSize: 0 bytes/workgroup (compile time only)
; SGPRBlocks: 0
; VGPRBlocks: 0
; NumSGPRsForWavesPerEU: 4
; NumVGPRsForWavesPerEU: 1
; AccumOffset: 4
; Occupancy: 8
; WaveLimiterHint : 0
; COMPUTE_PGM_RSRC2:SCRATCH_EN: 0
; COMPUTE_PGM_RSRC2:USER_SGPR: 6
; COMPUTE_PGM_RSRC2:TRAP_HANDLER: 0
; COMPUTE_PGM_RSRC2:TGID_X_EN: 1
; COMPUTE_PGM_RSRC2:TGID_Y_EN: 0
; COMPUTE_PGM_RSRC2:TGID_Z_EN: 0
; COMPUTE_PGM_RSRC2:TIDIG_COMP_CNT: 0
; COMPUTE_PGM_RSRC3_GFX90A:ACCUM_OFFSET: 0
; COMPUTE_PGM_RSRC3_GFX90A:TG_SPLIT: 0
	.section	.text._ZN7rocprim17ROCPRIM_400000_NS6detail17trampoline_kernelINS0_14default_configENS1_20scan_config_selectorIdEEZZNS1_9scan_implILNS1_25lookback_scan_determinismE0ELb0ELb0ES3_N6thrust23THRUST_200600_302600_NS6detail15normal_iteratorINS9_10device_ptrIdEEEENS9_16discard_iteratorINS9_11use_defaultEEEdNS9_4plusIvEEdEEDaPvRmT3_T4_T5_mT6_P12ihipStream_tbENKUlT_T0_E_clISt17integral_constantIbLb0EESX_EEDaSS_ST_EUlSS_E0_NS1_11comp_targetILNS1_3genE8ELNS1_11target_archE1030ELNS1_3gpuE2ELNS1_3repE0EEENS1_30default_config_static_selectorELNS0_4arch9wavefront6targetE1EEEvT1_,"axG",@progbits,_ZN7rocprim17ROCPRIM_400000_NS6detail17trampoline_kernelINS0_14default_configENS1_20scan_config_selectorIdEEZZNS1_9scan_implILNS1_25lookback_scan_determinismE0ELb0ELb0ES3_N6thrust23THRUST_200600_302600_NS6detail15normal_iteratorINS9_10device_ptrIdEEEENS9_16discard_iteratorINS9_11use_defaultEEEdNS9_4plusIvEEdEEDaPvRmT3_T4_T5_mT6_P12ihipStream_tbENKUlT_T0_E_clISt17integral_constantIbLb0EESX_EEDaSS_ST_EUlSS_E0_NS1_11comp_targetILNS1_3genE8ELNS1_11target_archE1030ELNS1_3gpuE2ELNS1_3repE0EEENS1_30default_config_static_selectorELNS0_4arch9wavefront6targetE1EEEvT1_,comdat
	.protected	_ZN7rocprim17ROCPRIM_400000_NS6detail17trampoline_kernelINS0_14default_configENS1_20scan_config_selectorIdEEZZNS1_9scan_implILNS1_25lookback_scan_determinismE0ELb0ELb0ES3_N6thrust23THRUST_200600_302600_NS6detail15normal_iteratorINS9_10device_ptrIdEEEENS9_16discard_iteratorINS9_11use_defaultEEEdNS9_4plusIvEEdEEDaPvRmT3_T4_T5_mT6_P12ihipStream_tbENKUlT_T0_E_clISt17integral_constantIbLb0EESX_EEDaSS_ST_EUlSS_E0_NS1_11comp_targetILNS1_3genE8ELNS1_11target_archE1030ELNS1_3gpuE2ELNS1_3repE0EEENS1_30default_config_static_selectorELNS0_4arch9wavefront6targetE1EEEvT1_ ; -- Begin function _ZN7rocprim17ROCPRIM_400000_NS6detail17trampoline_kernelINS0_14default_configENS1_20scan_config_selectorIdEEZZNS1_9scan_implILNS1_25lookback_scan_determinismE0ELb0ELb0ES3_N6thrust23THRUST_200600_302600_NS6detail15normal_iteratorINS9_10device_ptrIdEEEENS9_16discard_iteratorINS9_11use_defaultEEEdNS9_4plusIvEEdEEDaPvRmT3_T4_T5_mT6_P12ihipStream_tbENKUlT_T0_E_clISt17integral_constantIbLb0EESX_EEDaSS_ST_EUlSS_E0_NS1_11comp_targetILNS1_3genE8ELNS1_11target_archE1030ELNS1_3gpuE2ELNS1_3repE0EEENS1_30default_config_static_selectorELNS0_4arch9wavefront6targetE1EEEvT1_
	.globl	_ZN7rocprim17ROCPRIM_400000_NS6detail17trampoline_kernelINS0_14default_configENS1_20scan_config_selectorIdEEZZNS1_9scan_implILNS1_25lookback_scan_determinismE0ELb0ELb0ES3_N6thrust23THRUST_200600_302600_NS6detail15normal_iteratorINS9_10device_ptrIdEEEENS9_16discard_iteratorINS9_11use_defaultEEEdNS9_4plusIvEEdEEDaPvRmT3_T4_T5_mT6_P12ihipStream_tbENKUlT_T0_E_clISt17integral_constantIbLb0EESX_EEDaSS_ST_EUlSS_E0_NS1_11comp_targetILNS1_3genE8ELNS1_11target_archE1030ELNS1_3gpuE2ELNS1_3repE0EEENS1_30default_config_static_selectorELNS0_4arch9wavefront6targetE1EEEvT1_
	.p2align	8
	.type	_ZN7rocprim17ROCPRIM_400000_NS6detail17trampoline_kernelINS0_14default_configENS1_20scan_config_selectorIdEEZZNS1_9scan_implILNS1_25lookback_scan_determinismE0ELb0ELb0ES3_N6thrust23THRUST_200600_302600_NS6detail15normal_iteratorINS9_10device_ptrIdEEEENS9_16discard_iteratorINS9_11use_defaultEEEdNS9_4plusIvEEdEEDaPvRmT3_T4_T5_mT6_P12ihipStream_tbENKUlT_T0_E_clISt17integral_constantIbLb0EESX_EEDaSS_ST_EUlSS_E0_NS1_11comp_targetILNS1_3genE8ELNS1_11target_archE1030ELNS1_3gpuE2ELNS1_3repE0EEENS1_30default_config_static_selectorELNS0_4arch9wavefront6targetE1EEEvT1_,@function
_ZN7rocprim17ROCPRIM_400000_NS6detail17trampoline_kernelINS0_14default_configENS1_20scan_config_selectorIdEEZZNS1_9scan_implILNS1_25lookback_scan_determinismE0ELb0ELb0ES3_N6thrust23THRUST_200600_302600_NS6detail15normal_iteratorINS9_10device_ptrIdEEEENS9_16discard_iteratorINS9_11use_defaultEEEdNS9_4plusIvEEdEEDaPvRmT3_T4_T5_mT6_P12ihipStream_tbENKUlT_T0_E_clISt17integral_constantIbLb0EESX_EEDaSS_ST_EUlSS_E0_NS1_11comp_targetILNS1_3genE8ELNS1_11target_archE1030ELNS1_3gpuE2ELNS1_3repE0EEENS1_30default_config_static_selectorELNS0_4arch9wavefront6targetE1EEEvT1_: ; @_ZN7rocprim17ROCPRIM_400000_NS6detail17trampoline_kernelINS0_14default_configENS1_20scan_config_selectorIdEEZZNS1_9scan_implILNS1_25lookback_scan_determinismE0ELb0ELb0ES3_N6thrust23THRUST_200600_302600_NS6detail15normal_iteratorINS9_10device_ptrIdEEEENS9_16discard_iteratorINS9_11use_defaultEEEdNS9_4plusIvEEdEEDaPvRmT3_T4_T5_mT6_P12ihipStream_tbENKUlT_T0_E_clISt17integral_constantIbLb0EESX_EEDaSS_ST_EUlSS_E0_NS1_11comp_targetILNS1_3genE8ELNS1_11target_archE1030ELNS1_3gpuE2ELNS1_3repE0EEENS1_30default_config_static_selectorELNS0_4arch9wavefront6targetE1EEEvT1_
; %bb.0:
	.section	.rodata,"a",@progbits
	.p2align	6, 0x0
	.amdhsa_kernel _ZN7rocprim17ROCPRIM_400000_NS6detail17trampoline_kernelINS0_14default_configENS1_20scan_config_selectorIdEEZZNS1_9scan_implILNS1_25lookback_scan_determinismE0ELb0ELb0ES3_N6thrust23THRUST_200600_302600_NS6detail15normal_iteratorINS9_10device_ptrIdEEEENS9_16discard_iteratorINS9_11use_defaultEEEdNS9_4plusIvEEdEEDaPvRmT3_T4_T5_mT6_P12ihipStream_tbENKUlT_T0_E_clISt17integral_constantIbLb0EESX_EEDaSS_ST_EUlSS_E0_NS1_11comp_targetILNS1_3genE8ELNS1_11target_archE1030ELNS1_3gpuE2ELNS1_3repE0EEENS1_30default_config_static_selectorELNS0_4arch9wavefront6targetE1EEEvT1_
		.amdhsa_group_segment_fixed_size 0
		.amdhsa_private_segment_fixed_size 0
		.amdhsa_kernarg_size 48
		.amdhsa_user_sgpr_count 6
		.amdhsa_user_sgpr_private_segment_buffer 1
		.amdhsa_user_sgpr_dispatch_ptr 0
		.amdhsa_user_sgpr_queue_ptr 0
		.amdhsa_user_sgpr_kernarg_segment_ptr 1
		.amdhsa_user_sgpr_dispatch_id 0
		.amdhsa_user_sgpr_flat_scratch_init 0
		.amdhsa_user_sgpr_kernarg_preload_length 0
		.amdhsa_user_sgpr_kernarg_preload_offset 0
		.amdhsa_user_sgpr_private_segment_size 0
		.amdhsa_uses_dynamic_stack 0
		.amdhsa_system_sgpr_private_segment_wavefront_offset 0
		.amdhsa_system_sgpr_workgroup_id_x 1
		.amdhsa_system_sgpr_workgroup_id_y 0
		.amdhsa_system_sgpr_workgroup_id_z 0
		.amdhsa_system_sgpr_workgroup_info 0
		.amdhsa_system_vgpr_workitem_id 0
		.amdhsa_next_free_vgpr 1
		.amdhsa_next_free_sgpr 0
		.amdhsa_accum_offset 4
		.amdhsa_reserve_vcc 0
		.amdhsa_reserve_flat_scratch 0
		.amdhsa_float_round_mode_32 0
		.amdhsa_float_round_mode_16_64 0
		.amdhsa_float_denorm_mode_32 3
		.amdhsa_float_denorm_mode_16_64 3
		.amdhsa_dx10_clamp 1
		.amdhsa_ieee_mode 1
		.amdhsa_fp16_overflow 0
		.amdhsa_tg_split 0
		.amdhsa_exception_fp_ieee_invalid_op 0
		.amdhsa_exception_fp_denorm_src 0
		.amdhsa_exception_fp_ieee_div_zero 0
		.amdhsa_exception_fp_ieee_overflow 0
		.amdhsa_exception_fp_ieee_underflow 0
		.amdhsa_exception_fp_ieee_inexact 0
		.amdhsa_exception_int_div_zero 0
	.end_amdhsa_kernel
	.section	.text._ZN7rocprim17ROCPRIM_400000_NS6detail17trampoline_kernelINS0_14default_configENS1_20scan_config_selectorIdEEZZNS1_9scan_implILNS1_25lookback_scan_determinismE0ELb0ELb0ES3_N6thrust23THRUST_200600_302600_NS6detail15normal_iteratorINS9_10device_ptrIdEEEENS9_16discard_iteratorINS9_11use_defaultEEEdNS9_4plusIvEEdEEDaPvRmT3_T4_T5_mT6_P12ihipStream_tbENKUlT_T0_E_clISt17integral_constantIbLb0EESX_EEDaSS_ST_EUlSS_E0_NS1_11comp_targetILNS1_3genE8ELNS1_11target_archE1030ELNS1_3gpuE2ELNS1_3repE0EEENS1_30default_config_static_selectorELNS0_4arch9wavefront6targetE1EEEvT1_,"axG",@progbits,_ZN7rocprim17ROCPRIM_400000_NS6detail17trampoline_kernelINS0_14default_configENS1_20scan_config_selectorIdEEZZNS1_9scan_implILNS1_25lookback_scan_determinismE0ELb0ELb0ES3_N6thrust23THRUST_200600_302600_NS6detail15normal_iteratorINS9_10device_ptrIdEEEENS9_16discard_iteratorINS9_11use_defaultEEEdNS9_4plusIvEEdEEDaPvRmT3_T4_T5_mT6_P12ihipStream_tbENKUlT_T0_E_clISt17integral_constantIbLb0EESX_EEDaSS_ST_EUlSS_E0_NS1_11comp_targetILNS1_3genE8ELNS1_11target_archE1030ELNS1_3gpuE2ELNS1_3repE0EEENS1_30default_config_static_selectorELNS0_4arch9wavefront6targetE1EEEvT1_,comdat
.Lfunc_end4879:
	.size	_ZN7rocprim17ROCPRIM_400000_NS6detail17trampoline_kernelINS0_14default_configENS1_20scan_config_selectorIdEEZZNS1_9scan_implILNS1_25lookback_scan_determinismE0ELb0ELb0ES3_N6thrust23THRUST_200600_302600_NS6detail15normal_iteratorINS9_10device_ptrIdEEEENS9_16discard_iteratorINS9_11use_defaultEEEdNS9_4plusIvEEdEEDaPvRmT3_T4_T5_mT6_P12ihipStream_tbENKUlT_T0_E_clISt17integral_constantIbLb0EESX_EEDaSS_ST_EUlSS_E0_NS1_11comp_targetILNS1_3genE8ELNS1_11target_archE1030ELNS1_3gpuE2ELNS1_3repE0EEENS1_30default_config_static_selectorELNS0_4arch9wavefront6targetE1EEEvT1_, .Lfunc_end4879-_ZN7rocprim17ROCPRIM_400000_NS6detail17trampoline_kernelINS0_14default_configENS1_20scan_config_selectorIdEEZZNS1_9scan_implILNS1_25lookback_scan_determinismE0ELb0ELb0ES3_N6thrust23THRUST_200600_302600_NS6detail15normal_iteratorINS9_10device_ptrIdEEEENS9_16discard_iteratorINS9_11use_defaultEEEdNS9_4plusIvEEdEEDaPvRmT3_T4_T5_mT6_P12ihipStream_tbENKUlT_T0_E_clISt17integral_constantIbLb0EESX_EEDaSS_ST_EUlSS_E0_NS1_11comp_targetILNS1_3genE8ELNS1_11target_archE1030ELNS1_3gpuE2ELNS1_3repE0EEENS1_30default_config_static_selectorELNS0_4arch9wavefront6targetE1EEEvT1_
                                        ; -- End function
	.section	.AMDGPU.csdata,"",@progbits
; Kernel info:
; codeLenInByte = 0
; NumSgprs: 4
; NumVgprs: 0
; NumAgprs: 0
; TotalNumVgprs: 0
; ScratchSize: 0
; MemoryBound: 0
; FloatMode: 240
; IeeeMode: 1
; LDSByteSize: 0 bytes/workgroup (compile time only)
; SGPRBlocks: 0
; VGPRBlocks: 0
; NumSGPRsForWavesPerEU: 4
; NumVGPRsForWavesPerEU: 1
; AccumOffset: 4
; Occupancy: 8
; WaveLimiterHint : 0
; COMPUTE_PGM_RSRC2:SCRATCH_EN: 0
; COMPUTE_PGM_RSRC2:USER_SGPR: 6
; COMPUTE_PGM_RSRC2:TRAP_HANDLER: 0
; COMPUTE_PGM_RSRC2:TGID_X_EN: 1
; COMPUTE_PGM_RSRC2:TGID_Y_EN: 0
; COMPUTE_PGM_RSRC2:TGID_Z_EN: 0
; COMPUTE_PGM_RSRC2:TIDIG_COMP_CNT: 0
; COMPUTE_PGM_RSRC3_GFX90A:ACCUM_OFFSET: 0
; COMPUTE_PGM_RSRC3_GFX90A:TG_SPLIT: 0
	.section	.text._ZN7rocprim17ROCPRIM_400000_NS6detail17trampoline_kernelINS0_14default_configENS1_20scan_config_selectorIdEEZZNS1_9scan_implILNS1_25lookback_scan_determinismE0ELb0ELb0ES3_N6thrust23THRUST_200600_302600_NS6detail15normal_iteratorINS9_10device_ptrIdEEEENS9_16discard_iteratorINS9_11use_defaultEEEdNS9_4plusIvEEdEEDaPvRmT3_T4_T5_mT6_P12ihipStream_tbENKUlT_T0_E_clISt17integral_constantIbLb1EESX_EEDaSS_ST_EUlSS_E_NS1_11comp_targetILNS1_3genE0ELNS1_11target_archE4294967295ELNS1_3gpuE0ELNS1_3repE0EEENS1_30default_config_static_selectorELNS0_4arch9wavefront6targetE1EEEvT1_,"axG",@progbits,_ZN7rocprim17ROCPRIM_400000_NS6detail17trampoline_kernelINS0_14default_configENS1_20scan_config_selectorIdEEZZNS1_9scan_implILNS1_25lookback_scan_determinismE0ELb0ELb0ES3_N6thrust23THRUST_200600_302600_NS6detail15normal_iteratorINS9_10device_ptrIdEEEENS9_16discard_iteratorINS9_11use_defaultEEEdNS9_4plusIvEEdEEDaPvRmT3_T4_T5_mT6_P12ihipStream_tbENKUlT_T0_E_clISt17integral_constantIbLb1EESX_EEDaSS_ST_EUlSS_E_NS1_11comp_targetILNS1_3genE0ELNS1_11target_archE4294967295ELNS1_3gpuE0ELNS1_3repE0EEENS1_30default_config_static_selectorELNS0_4arch9wavefront6targetE1EEEvT1_,comdat
	.protected	_ZN7rocprim17ROCPRIM_400000_NS6detail17trampoline_kernelINS0_14default_configENS1_20scan_config_selectorIdEEZZNS1_9scan_implILNS1_25lookback_scan_determinismE0ELb0ELb0ES3_N6thrust23THRUST_200600_302600_NS6detail15normal_iteratorINS9_10device_ptrIdEEEENS9_16discard_iteratorINS9_11use_defaultEEEdNS9_4plusIvEEdEEDaPvRmT3_T4_T5_mT6_P12ihipStream_tbENKUlT_T0_E_clISt17integral_constantIbLb1EESX_EEDaSS_ST_EUlSS_E_NS1_11comp_targetILNS1_3genE0ELNS1_11target_archE4294967295ELNS1_3gpuE0ELNS1_3repE0EEENS1_30default_config_static_selectorELNS0_4arch9wavefront6targetE1EEEvT1_ ; -- Begin function _ZN7rocprim17ROCPRIM_400000_NS6detail17trampoline_kernelINS0_14default_configENS1_20scan_config_selectorIdEEZZNS1_9scan_implILNS1_25lookback_scan_determinismE0ELb0ELb0ES3_N6thrust23THRUST_200600_302600_NS6detail15normal_iteratorINS9_10device_ptrIdEEEENS9_16discard_iteratorINS9_11use_defaultEEEdNS9_4plusIvEEdEEDaPvRmT3_T4_T5_mT6_P12ihipStream_tbENKUlT_T0_E_clISt17integral_constantIbLb1EESX_EEDaSS_ST_EUlSS_E_NS1_11comp_targetILNS1_3genE0ELNS1_11target_archE4294967295ELNS1_3gpuE0ELNS1_3repE0EEENS1_30default_config_static_selectorELNS0_4arch9wavefront6targetE1EEEvT1_
	.globl	_ZN7rocprim17ROCPRIM_400000_NS6detail17trampoline_kernelINS0_14default_configENS1_20scan_config_selectorIdEEZZNS1_9scan_implILNS1_25lookback_scan_determinismE0ELb0ELb0ES3_N6thrust23THRUST_200600_302600_NS6detail15normal_iteratorINS9_10device_ptrIdEEEENS9_16discard_iteratorINS9_11use_defaultEEEdNS9_4plusIvEEdEEDaPvRmT3_T4_T5_mT6_P12ihipStream_tbENKUlT_T0_E_clISt17integral_constantIbLb1EESX_EEDaSS_ST_EUlSS_E_NS1_11comp_targetILNS1_3genE0ELNS1_11target_archE4294967295ELNS1_3gpuE0ELNS1_3repE0EEENS1_30default_config_static_selectorELNS0_4arch9wavefront6targetE1EEEvT1_
	.p2align	8
	.type	_ZN7rocprim17ROCPRIM_400000_NS6detail17trampoline_kernelINS0_14default_configENS1_20scan_config_selectorIdEEZZNS1_9scan_implILNS1_25lookback_scan_determinismE0ELb0ELb0ES3_N6thrust23THRUST_200600_302600_NS6detail15normal_iteratorINS9_10device_ptrIdEEEENS9_16discard_iteratorINS9_11use_defaultEEEdNS9_4plusIvEEdEEDaPvRmT3_T4_T5_mT6_P12ihipStream_tbENKUlT_T0_E_clISt17integral_constantIbLb1EESX_EEDaSS_ST_EUlSS_E_NS1_11comp_targetILNS1_3genE0ELNS1_11target_archE4294967295ELNS1_3gpuE0ELNS1_3repE0EEENS1_30default_config_static_selectorELNS0_4arch9wavefront6targetE1EEEvT1_,@function
_ZN7rocprim17ROCPRIM_400000_NS6detail17trampoline_kernelINS0_14default_configENS1_20scan_config_selectorIdEEZZNS1_9scan_implILNS1_25lookback_scan_determinismE0ELb0ELb0ES3_N6thrust23THRUST_200600_302600_NS6detail15normal_iteratorINS9_10device_ptrIdEEEENS9_16discard_iteratorINS9_11use_defaultEEEdNS9_4plusIvEEdEEDaPvRmT3_T4_T5_mT6_P12ihipStream_tbENKUlT_T0_E_clISt17integral_constantIbLb1EESX_EEDaSS_ST_EUlSS_E_NS1_11comp_targetILNS1_3genE0ELNS1_11target_archE4294967295ELNS1_3gpuE0ELNS1_3repE0EEENS1_30default_config_static_selectorELNS0_4arch9wavefront6targetE1EEEvT1_: ; @_ZN7rocprim17ROCPRIM_400000_NS6detail17trampoline_kernelINS0_14default_configENS1_20scan_config_selectorIdEEZZNS1_9scan_implILNS1_25lookback_scan_determinismE0ELb0ELb0ES3_N6thrust23THRUST_200600_302600_NS6detail15normal_iteratorINS9_10device_ptrIdEEEENS9_16discard_iteratorINS9_11use_defaultEEEdNS9_4plusIvEEdEEDaPvRmT3_T4_T5_mT6_P12ihipStream_tbENKUlT_T0_E_clISt17integral_constantIbLb1EESX_EEDaSS_ST_EUlSS_E_NS1_11comp_targetILNS1_3genE0ELNS1_11target_archE4294967295ELNS1_3gpuE0ELNS1_3repE0EEENS1_30default_config_static_selectorELNS0_4arch9wavefront6targetE1EEEvT1_
; %bb.0:
	.section	.rodata,"a",@progbits
	.p2align	6, 0x0
	.amdhsa_kernel _ZN7rocprim17ROCPRIM_400000_NS6detail17trampoline_kernelINS0_14default_configENS1_20scan_config_selectorIdEEZZNS1_9scan_implILNS1_25lookback_scan_determinismE0ELb0ELb0ES3_N6thrust23THRUST_200600_302600_NS6detail15normal_iteratorINS9_10device_ptrIdEEEENS9_16discard_iteratorINS9_11use_defaultEEEdNS9_4plusIvEEdEEDaPvRmT3_T4_T5_mT6_P12ihipStream_tbENKUlT_T0_E_clISt17integral_constantIbLb1EESX_EEDaSS_ST_EUlSS_E_NS1_11comp_targetILNS1_3genE0ELNS1_11target_archE4294967295ELNS1_3gpuE0ELNS1_3repE0EEENS1_30default_config_static_selectorELNS0_4arch9wavefront6targetE1EEEvT1_
		.amdhsa_group_segment_fixed_size 0
		.amdhsa_private_segment_fixed_size 0
		.amdhsa_kernarg_size 112
		.amdhsa_user_sgpr_count 6
		.amdhsa_user_sgpr_private_segment_buffer 1
		.amdhsa_user_sgpr_dispatch_ptr 0
		.amdhsa_user_sgpr_queue_ptr 0
		.amdhsa_user_sgpr_kernarg_segment_ptr 1
		.amdhsa_user_sgpr_dispatch_id 0
		.amdhsa_user_sgpr_flat_scratch_init 0
		.amdhsa_user_sgpr_kernarg_preload_length 0
		.amdhsa_user_sgpr_kernarg_preload_offset 0
		.amdhsa_user_sgpr_private_segment_size 0
		.amdhsa_uses_dynamic_stack 0
		.amdhsa_system_sgpr_private_segment_wavefront_offset 0
		.amdhsa_system_sgpr_workgroup_id_x 1
		.amdhsa_system_sgpr_workgroup_id_y 0
		.amdhsa_system_sgpr_workgroup_id_z 0
		.amdhsa_system_sgpr_workgroup_info 0
		.amdhsa_system_vgpr_workitem_id 0
		.amdhsa_next_free_vgpr 1
		.amdhsa_next_free_sgpr 0
		.amdhsa_accum_offset 4
		.amdhsa_reserve_vcc 0
		.amdhsa_reserve_flat_scratch 0
		.amdhsa_float_round_mode_32 0
		.amdhsa_float_round_mode_16_64 0
		.amdhsa_float_denorm_mode_32 3
		.amdhsa_float_denorm_mode_16_64 3
		.amdhsa_dx10_clamp 1
		.amdhsa_ieee_mode 1
		.amdhsa_fp16_overflow 0
		.amdhsa_tg_split 0
		.amdhsa_exception_fp_ieee_invalid_op 0
		.amdhsa_exception_fp_denorm_src 0
		.amdhsa_exception_fp_ieee_div_zero 0
		.amdhsa_exception_fp_ieee_overflow 0
		.amdhsa_exception_fp_ieee_underflow 0
		.amdhsa_exception_fp_ieee_inexact 0
		.amdhsa_exception_int_div_zero 0
	.end_amdhsa_kernel
	.section	.text._ZN7rocprim17ROCPRIM_400000_NS6detail17trampoline_kernelINS0_14default_configENS1_20scan_config_selectorIdEEZZNS1_9scan_implILNS1_25lookback_scan_determinismE0ELb0ELb0ES3_N6thrust23THRUST_200600_302600_NS6detail15normal_iteratorINS9_10device_ptrIdEEEENS9_16discard_iteratorINS9_11use_defaultEEEdNS9_4plusIvEEdEEDaPvRmT3_T4_T5_mT6_P12ihipStream_tbENKUlT_T0_E_clISt17integral_constantIbLb1EESX_EEDaSS_ST_EUlSS_E_NS1_11comp_targetILNS1_3genE0ELNS1_11target_archE4294967295ELNS1_3gpuE0ELNS1_3repE0EEENS1_30default_config_static_selectorELNS0_4arch9wavefront6targetE1EEEvT1_,"axG",@progbits,_ZN7rocprim17ROCPRIM_400000_NS6detail17trampoline_kernelINS0_14default_configENS1_20scan_config_selectorIdEEZZNS1_9scan_implILNS1_25lookback_scan_determinismE0ELb0ELb0ES3_N6thrust23THRUST_200600_302600_NS6detail15normal_iteratorINS9_10device_ptrIdEEEENS9_16discard_iteratorINS9_11use_defaultEEEdNS9_4plusIvEEdEEDaPvRmT3_T4_T5_mT6_P12ihipStream_tbENKUlT_T0_E_clISt17integral_constantIbLb1EESX_EEDaSS_ST_EUlSS_E_NS1_11comp_targetILNS1_3genE0ELNS1_11target_archE4294967295ELNS1_3gpuE0ELNS1_3repE0EEENS1_30default_config_static_selectorELNS0_4arch9wavefront6targetE1EEEvT1_,comdat
.Lfunc_end4880:
	.size	_ZN7rocprim17ROCPRIM_400000_NS6detail17trampoline_kernelINS0_14default_configENS1_20scan_config_selectorIdEEZZNS1_9scan_implILNS1_25lookback_scan_determinismE0ELb0ELb0ES3_N6thrust23THRUST_200600_302600_NS6detail15normal_iteratorINS9_10device_ptrIdEEEENS9_16discard_iteratorINS9_11use_defaultEEEdNS9_4plusIvEEdEEDaPvRmT3_T4_T5_mT6_P12ihipStream_tbENKUlT_T0_E_clISt17integral_constantIbLb1EESX_EEDaSS_ST_EUlSS_E_NS1_11comp_targetILNS1_3genE0ELNS1_11target_archE4294967295ELNS1_3gpuE0ELNS1_3repE0EEENS1_30default_config_static_selectorELNS0_4arch9wavefront6targetE1EEEvT1_, .Lfunc_end4880-_ZN7rocprim17ROCPRIM_400000_NS6detail17trampoline_kernelINS0_14default_configENS1_20scan_config_selectorIdEEZZNS1_9scan_implILNS1_25lookback_scan_determinismE0ELb0ELb0ES3_N6thrust23THRUST_200600_302600_NS6detail15normal_iteratorINS9_10device_ptrIdEEEENS9_16discard_iteratorINS9_11use_defaultEEEdNS9_4plusIvEEdEEDaPvRmT3_T4_T5_mT6_P12ihipStream_tbENKUlT_T0_E_clISt17integral_constantIbLb1EESX_EEDaSS_ST_EUlSS_E_NS1_11comp_targetILNS1_3genE0ELNS1_11target_archE4294967295ELNS1_3gpuE0ELNS1_3repE0EEENS1_30default_config_static_selectorELNS0_4arch9wavefront6targetE1EEEvT1_
                                        ; -- End function
	.section	.AMDGPU.csdata,"",@progbits
; Kernel info:
; codeLenInByte = 0
; NumSgprs: 4
; NumVgprs: 0
; NumAgprs: 0
; TotalNumVgprs: 0
; ScratchSize: 0
; MemoryBound: 0
; FloatMode: 240
; IeeeMode: 1
; LDSByteSize: 0 bytes/workgroup (compile time only)
; SGPRBlocks: 0
; VGPRBlocks: 0
; NumSGPRsForWavesPerEU: 4
; NumVGPRsForWavesPerEU: 1
; AccumOffset: 4
; Occupancy: 8
; WaveLimiterHint : 0
; COMPUTE_PGM_RSRC2:SCRATCH_EN: 0
; COMPUTE_PGM_RSRC2:USER_SGPR: 6
; COMPUTE_PGM_RSRC2:TRAP_HANDLER: 0
; COMPUTE_PGM_RSRC2:TGID_X_EN: 1
; COMPUTE_PGM_RSRC2:TGID_Y_EN: 0
; COMPUTE_PGM_RSRC2:TGID_Z_EN: 0
; COMPUTE_PGM_RSRC2:TIDIG_COMP_CNT: 0
; COMPUTE_PGM_RSRC3_GFX90A:ACCUM_OFFSET: 0
; COMPUTE_PGM_RSRC3_GFX90A:TG_SPLIT: 0
	.section	.text._ZN7rocprim17ROCPRIM_400000_NS6detail17trampoline_kernelINS0_14default_configENS1_20scan_config_selectorIdEEZZNS1_9scan_implILNS1_25lookback_scan_determinismE0ELb0ELb0ES3_N6thrust23THRUST_200600_302600_NS6detail15normal_iteratorINS9_10device_ptrIdEEEENS9_16discard_iteratorINS9_11use_defaultEEEdNS9_4plusIvEEdEEDaPvRmT3_T4_T5_mT6_P12ihipStream_tbENKUlT_T0_E_clISt17integral_constantIbLb1EESX_EEDaSS_ST_EUlSS_E_NS1_11comp_targetILNS1_3genE5ELNS1_11target_archE942ELNS1_3gpuE9ELNS1_3repE0EEENS1_30default_config_static_selectorELNS0_4arch9wavefront6targetE1EEEvT1_,"axG",@progbits,_ZN7rocprim17ROCPRIM_400000_NS6detail17trampoline_kernelINS0_14default_configENS1_20scan_config_selectorIdEEZZNS1_9scan_implILNS1_25lookback_scan_determinismE0ELb0ELb0ES3_N6thrust23THRUST_200600_302600_NS6detail15normal_iteratorINS9_10device_ptrIdEEEENS9_16discard_iteratorINS9_11use_defaultEEEdNS9_4plusIvEEdEEDaPvRmT3_T4_T5_mT6_P12ihipStream_tbENKUlT_T0_E_clISt17integral_constantIbLb1EESX_EEDaSS_ST_EUlSS_E_NS1_11comp_targetILNS1_3genE5ELNS1_11target_archE942ELNS1_3gpuE9ELNS1_3repE0EEENS1_30default_config_static_selectorELNS0_4arch9wavefront6targetE1EEEvT1_,comdat
	.protected	_ZN7rocprim17ROCPRIM_400000_NS6detail17trampoline_kernelINS0_14default_configENS1_20scan_config_selectorIdEEZZNS1_9scan_implILNS1_25lookback_scan_determinismE0ELb0ELb0ES3_N6thrust23THRUST_200600_302600_NS6detail15normal_iteratorINS9_10device_ptrIdEEEENS9_16discard_iteratorINS9_11use_defaultEEEdNS9_4plusIvEEdEEDaPvRmT3_T4_T5_mT6_P12ihipStream_tbENKUlT_T0_E_clISt17integral_constantIbLb1EESX_EEDaSS_ST_EUlSS_E_NS1_11comp_targetILNS1_3genE5ELNS1_11target_archE942ELNS1_3gpuE9ELNS1_3repE0EEENS1_30default_config_static_selectorELNS0_4arch9wavefront6targetE1EEEvT1_ ; -- Begin function _ZN7rocprim17ROCPRIM_400000_NS6detail17trampoline_kernelINS0_14default_configENS1_20scan_config_selectorIdEEZZNS1_9scan_implILNS1_25lookback_scan_determinismE0ELb0ELb0ES3_N6thrust23THRUST_200600_302600_NS6detail15normal_iteratorINS9_10device_ptrIdEEEENS9_16discard_iteratorINS9_11use_defaultEEEdNS9_4plusIvEEdEEDaPvRmT3_T4_T5_mT6_P12ihipStream_tbENKUlT_T0_E_clISt17integral_constantIbLb1EESX_EEDaSS_ST_EUlSS_E_NS1_11comp_targetILNS1_3genE5ELNS1_11target_archE942ELNS1_3gpuE9ELNS1_3repE0EEENS1_30default_config_static_selectorELNS0_4arch9wavefront6targetE1EEEvT1_
	.globl	_ZN7rocprim17ROCPRIM_400000_NS6detail17trampoline_kernelINS0_14default_configENS1_20scan_config_selectorIdEEZZNS1_9scan_implILNS1_25lookback_scan_determinismE0ELb0ELb0ES3_N6thrust23THRUST_200600_302600_NS6detail15normal_iteratorINS9_10device_ptrIdEEEENS9_16discard_iteratorINS9_11use_defaultEEEdNS9_4plusIvEEdEEDaPvRmT3_T4_T5_mT6_P12ihipStream_tbENKUlT_T0_E_clISt17integral_constantIbLb1EESX_EEDaSS_ST_EUlSS_E_NS1_11comp_targetILNS1_3genE5ELNS1_11target_archE942ELNS1_3gpuE9ELNS1_3repE0EEENS1_30default_config_static_selectorELNS0_4arch9wavefront6targetE1EEEvT1_
	.p2align	8
	.type	_ZN7rocprim17ROCPRIM_400000_NS6detail17trampoline_kernelINS0_14default_configENS1_20scan_config_selectorIdEEZZNS1_9scan_implILNS1_25lookback_scan_determinismE0ELb0ELb0ES3_N6thrust23THRUST_200600_302600_NS6detail15normal_iteratorINS9_10device_ptrIdEEEENS9_16discard_iteratorINS9_11use_defaultEEEdNS9_4plusIvEEdEEDaPvRmT3_T4_T5_mT6_P12ihipStream_tbENKUlT_T0_E_clISt17integral_constantIbLb1EESX_EEDaSS_ST_EUlSS_E_NS1_11comp_targetILNS1_3genE5ELNS1_11target_archE942ELNS1_3gpuE9ELNS1_3repE0EEENS1_30default_config_static_selectorELNS0_4arch9wavefront6targetE1EEEvT1_,@function
_ZN7rocprim17ROCPRIM_400000_NS6detail17trampoline_kernelINS0_14default_configENS1_20scan_config_selectorIdEEZZNS1_9scan_implILNS1_25lookback_scan_determinismE0ELb0ELb0ES3_N6thrust23THRUST_200600_302600_NS6detail15normal_iteratorINS9_10device_ptrIdEEEENS9_16discard_iteratorINS9_11use_defaultEEEdNS9_4plusIvEEdEEDaPvRmT3_T4_T5_mT6_P12ihipStream_tbENKUlT_T0_E_clISt17integral_constantIbLb1EESX_EEDaSS_ST_EUlSS_E_NS1_11comp_targetILNS1_3genE5ELNS1_11target_archE942ELNS1_3gpuE9ELNS1_3repE0EEENS1_30default_config_static_selectorELNS0_4arch9wavefront6targetE1EEEvT1_: ; @_ZN7rocprim17ROCPRIM_400000_NS6detail17trampoline_kernelINS0_14default_configENS1_20scan_config_selectorIdEEZZNS1_9scan_implILNS1_25lookback_scan_determinismE0ELb0ELb0ES3_N6thrust23THRUST_200600_302600_NS6detail15normal_iteratorINS9_10device_ptrIdEEEENS9_16discard_iteratorINS9_11use_defaultEEEdNS9_4plusIvEEdEEDaPvRmT3_T4_T5_mT6_P12ihipStream_tbENKUlT_T0_E_clISt17integral_constantIbLb1EESX_EEDaSS_ST_EUlSS_E_NS1_11comp_targetILNS1_3genE5ELNS1_11target_archE942ELNS1_3gpuE9ELNS1_3repE0EEENS1_30default_config_static_selectorELNS0_4arch9wavefront6targetE1EEEvT1_
; %bb.0:
	.section	.rodata,"a",@progbits
	.p2align	6, 0x0
	.amdhsa_kernel _ZN7rocprim17ROCPRIM_400000_NS6detail17trampoline_kernelINS0_14default_configENS1_20scan_config_selectorIdEEZZNS1_9scan_implILNS1_25lookback_scan_determinismE0ELb0ELb0ES3_N6thrust23THRUST_200600_302600_NS6detail15normal_iteratorINS9_10device_ptrIdEEEENS9_16discard_iteratorINS9_11use_defaultEEEdNS9_4plusIvEEdEEDaPvRmT3_T4_T5_mT6_P12ihipStream_tbENKUlT_T0_E_clISt17integral_constantIbLb1EESX_EEDaSS_ST_EUlSS_E_NS1_11comp_targetILNS1_3genE5ELNS1_11target_archE942ELNS1_3gpuE9ELNS1_3repE0EEENS1_30default_config_static_selectorELNS0_4arch9wavefront6targetE1EEEvT1_
		.amdhsa_group_segment_fixed_size 0
		.amdhsa_private_segment_fixed_size 0
		.amdhsa_kernarg_size 112
		.amdhsa_user_sgpr_count 6
		.amdhsa_user_sgpr_private_segment_buffer 1
		.amdhsa_user_sgpr_dispatch_ptr 0
		.amdhsa_user_sgpr_queue_ptr 0
		.amdhsa_user_sgpr_kernarg_segment_ptr 1
		.amdhsa_user_sgpr_dispatch_id 0
		.amdhsa_user_sgpr_flat_scratch_init 0
		.amdhsa_user_sgpr_kernarg_preload_length 0
		.amdhsa_user_sgpr_kernarg_preload_offset 0
		.amdhsa_user_sgpr_private_segment_size 0
		.amdhsa_uses_dynamic_stack 0
		.amdhsa_system_sgpr_private_segment_wavefront_offset 0
		.amdhsa_system_sgpr_workgroup_id_x 1
		.amdhsa_system_sgpr_workgroup_id_y 0
		.amdhsa_system_sgpr_workgroup_id_z 0
		.amdhsa_system_sgpr_workgroup_info 0
		.amdhsa_system_vgpr_workitem_id 0
		.amdhsa_next_free_vgpr 1
		.amdhsa_next_free_sgpr 0
		.amdhsa_accum_offset 4
		.amdhsa_reserve_vcc 0
		.amdhsa_reserve_flat_scratch 0
		.amdhsa_float_round_mode_32 0
		.amdhsa_float_round_mode_16_64 0
		.amdhsa_float_denorm_mode_32 3
		.amdhsa_float_denorm_mode_16_64 3
		.amdhsa_dx10_clamp 1
		.amdhsa_ieee_mode 1
		.amdhsa_fp16_overflow 0
		.amdhsa_tg_split 0
		.amdhsa_exception_fp_ieee_invalid_op 0
		.amdhsa_exception_fp_denorm_src 0
		.amdhsa_exception_fp_ieee_div_zero 0
		.amdhsa_exception_fp_ieee_overflow 0
		.amdhsa_exception_fp_ieee_underflow 0
		.amdhsa_exception_fp_ieee_inexact 0
		.amdhsa_exception_int_div_zero 0
	.end_amdhsa_kernel
	.section	.text._ZN7rocprim17ROCPRIM_400000_NS6detail17trampoline_kernelINS0_14default_configENS1_20scan_config_selectorIdEEZZNS1_9scan_implILNS1_25lookback_scan_determinismE0ELb0ELb0ES3_N6thrust23THRUST_200600_302600_NS6detail15normal_iteratorINS9_10device_ptrIdEEEENS9_16discard_iteratorINS9_11use_defaultEEEdNS9_4plusIvEEdEEDaPvRmT3_T4_T5_mT6_P12ihipStream_tbENKUlT_T0_E_clISt17integral_constantIbLb1EESX_EEDaSS_ST_EUlSS_E_NS1_11comp_targetILNS1_3genE5ELNS1_11target_archE942ELNS1_3gpuE9ELNS1_3repE0EEENS1_30default_config_static_selectorELNS0_4arch9wavefront6targetE1EEEvT1_,"axG",@progbits,_ZN7rocprim17ROCPRIM_400000_NS6detail17trampoline_kernelINS0_14default_configENS1_20scan_config_selectorIdEEZZNS1_9scan_implILNS1_25lookback_scan_determinismE0ELb0ELb0ES3_N6thrust23THRUST_200600_302600_NS6detail15normal_iteratorINS9_10device_ptrIdEEEENS9_16discard_iteratorINS9_11use_defaultEEEdNS9_4plusIvEEdEEDaPvRmT3_T4_T5_mT6_P12ihipStream_tbENKUlT_T0_E_clISt17integral_constantIbLb1EESX_EEDaSS_ST_EUlSS_E_NS1_11comp_targetILNS1_3genE5ELNS1_11target_archE942ELNS1_3gpuE9ELNS1_3repE0EEENS1_30default_config_static_selectorELNS0_4arch9wavefront6targetE1EEEvT1_,comdat
.Lfunc_end4881:
	.size	_ZN7rocprim17ROCPRIM_400000_NS6detail17trampoline_kernelINS0_14default_configENS1_20scan_config_selectorIdEEZZNS1_9scan_implILNS1_25lookback_scan_determinismE0ELb0ELb0ES3_N6thrust23THRUST_200600_302600_NS6detail15normal_iteratorINS9_10device_ptrIdEEEENS9_16discard_iteratorINS9_11use_defaultEEEdNS9_4plusIvEEdEEDaPvRmT3_T4_T5_mT6_P12ihipStream_tbENKUlT_T0_E_clISt17integral_constantIbLb1EESX_EEDaSS_ST_EUlSS_E_NS1_11comp_targetILNS1_3genE5ELNS1_11target_archE942ELNS1_3gpuE9ELNS1_3repE0EEENS1_30default_config_static_selectorELNS0_4arch9wavefront6targetE1EEEvT1_, .Lfunc_end4881-_ZN7rocprim17ROCPRIM_400000_NS6detail17trampoline_kernelINS0_14default_configENS1_20scan_config_selectorIdEEZZNS1_9scan_implILNS1_25lookback_scan_determinismE0ELb0ELb0ES3_N6thrust23THRUST_200600_302600_NS6detail15normal_iteratorINS9_10device_ptrIdEEEENS9_16discard_iteratorINS9_11use_defaultEEEdNS9_4plusIvEEdEEDaPvRmT3_T4_T5_mT6_P12ihipStream_tbENKUlT_T0_E_clISt17integral_constantIbLb1EESX_EEDaSS_ST_EUlSS_E_NS1_11comp_targetILNS1_3genE5ELNS1_11target_archE942ELNS1_3gpuE9ELNS1_3repE0EEENS1_30default_config_static_selectorELNS0_4arch9wavefront6targetE1EEEvT1_
                                        ; -- End function
	.section	.AMDGPU.csdata,"",@progbits
; Kernel info:
; codeLenInByte = 0
; NumSgprs: 4
; NumVgprs: 0
; NumAgprs: 0
; TotalNumVgprs: 0
; ScratchSize: 0
; MemoryBound: 0
; FloatMode: 240
; IeeeMode: 1
; LDSByteSize: 0 bytes/workgroup (compile time only)
; SGPRBlocks: 0
; VGPRBlocks: 0
; NumSGPRsForWavesPerEU: 4
; NumVGPRsForWavesPerEU: 1
; AccumOffset: 4
; Occupancy: 8
; WaveLimiterHint : 0
; COMPUTE_PGM_RSRC2:SCRATCH_EN: 0
; COMPUTE_PGM_RSRC2:USER_SGPR: 6
; COMPUTE_PGM_RSRC2:TRAP_HANDLER: 0
; COMPUTE_PGM_RSRC2:TGID_X_EN: 1
; COMPUTE_PGM_RSRC2:TGID_Y_EN: 0
; COMPUTE_PGM_RSRC2:TGID_Z_EN: 0
; COMPUTE_PGM_RSRC2:TIDIG_COMP_CNT: 0
; COMPUTE_PGM_RSRC3_GFX90A:ACCUM_OFFSET: 0
; COMPUTE_PGM_RSRC3_GFX90A:TG_SPLIT: 0
	.section	.text._ZN7rocprim17ROCPRIM_400000_NS6detail17trampoline_kernelINS0_14default_configENS1_20scan_config_selectorIdEEZZNS1_9scan_implILNS1_25lookback_scan_determinismE0ELb0ELb0ES3_N6thrust23THRUST_200600_302600_NS6detail15normal_iteratorINS9_10device_ptrIdEEEENS9_16discard_iteratorINS9_11use_defaultEEEdNS9_4plusIvEEdEEDaPvRmT3_T4_T5_mT6_P12ihipStream_tbENKUlT_T0_E_clISt17integral_constantIbLb1EESX_EEDaSS_ST_EUlSS_E_NS1_11comp_targetILNS1_3genE4ELNS1_11target_archE910ELNS1_3gpuE8ELNS1_3repE0EEENS1_30default_config_static_selectorELNS0_4arch9wavefront6targetE1EEEvT1_,"axG",@progbits,_ZN7rocprim17ROCPRIM_400000_NS6detail17trampoline_kernelINS0_14default_configENS1_20scan_config_selectorIdEEZZNS1_9scan_implILNS1_25lookback_scan_determinismE0ELb0ELb0ES3_N6thrust23THRUST_200600_302600_NS6detail15normal_iteratorINS9_10device_ptrIdEEEENS9_16discard_iteratorINS9_11use_defaultEEEdNS9_4plusIvEEdEEDaPvRmT3_T4_T5_mT6_P12ihipStream_tbENKUlT_T0_E_clISt17integral_constantIbLb1EESX_EEDaSS_ST_EUlSS_E_NS1_11comp_targetILNS1_3genE4ELNS1_11target_archE910ELNS1_3gpuE8ELNS1_3repE0EEENS1_30default_config_static_selectorELNS0_4arch9wavefront6targetE1EEEvT1_,comdat
	.protected	_ZN7rocprim17ROCPRIM_400000_NS6detail17trampoline_kernelINS0_14default_configENS1_20scan_config_selectorIdEEZZNS1_9scan_implILNS1_25lookback_scan_determinismE0ELb0ELb0ES3_N6thrust23THRUST_200600_302600_NS6detail15normal_iteratorINS9_10device_ptrIdEEEENS9_16discard_iteratorINS9_11use_defaultEEEdNS9_4plusIvEEdEEDaPvRmT3_T4_T5_mT6_P12ihipStream_tbENKUlT_T0_E_clISt17integral_constantIbLb1EESX_EEDaSS_ST_EUlSS_E_NS1_11comp_targetILNS1_3genE4ELNS1_11target_archE910ELNS1_3gpuE8ELNS1_3repE0EEENS1_30default_config_static_selectorELNS0_4arch9wavefront6targetE1EEEvT1_ ; -- Begin function _ZN7rocprim17ROCPRIM_400000_NS6detail17trampoline_kernelINS0_14default_configENS1_20scan_config_selectorIdEEZZNS1_9scan_implILNS1_25lookback_scan_determinismE0ELb0ELb0ES3_N6thrust23THRUST_200600_302600_NS6detail15normal_iteratorINS9_10device_ptrIdEEEENS9_16discard_iteratorINS9_11use_defaultEEEdNS9_4plusIvEEdEEDaPvRmT3_T4_T5_mT6_P12ihipStream_tbENKUlT_T0_E_clISt17integral_constantIbLb1EESX_EEDaSS_ST_EUlSS_E_NS1_11comp_targetILNS1_3genE4ELNS1_11target_archE910ELNS1_3gpuE8ELNS1_3repE0EEENS1_30default_config_static_selectorELNS0_4arch9wavefront6targetE1EEEvT1_
	.globl	_ZN7rocprim17ROCPRIM_400000_NS6detail17trampoline_kernelINS0_14default_configENS1_20scan_config_selectorIdEEZZNS1_9scan_implILNS1_25lookback_scan_determinismE0ELb0ELb0ES3_N6thrust23THRUST_200600_302600_NS6detail15normal_iteratorINS9_10device_ptrIdEEEENS9_16discard_iteratorINS9_11use_defaultEEEdNS9_4plusIvEEdEEDaPvRmT3_T4_T5_mT6_P12ihipStream_tbENKUlT_T0_E_clISt17integral_constantIbLb1EESX_EEDaSS_ST_EUlSS_E_NS1_11comp_targetILNS1_3genE4ELNS1_11target_archE910ELNS1_3gpuE8ELNS1_3repE0EEENS1_30default_config_static_selectorELNS0_4arch9wavefront6targetE1EEEvT1_
	.p2align	8
	.type	_ZN7rocprim17ROCPRIM_400000_NS6detail17trampoline_kernelINS0_14default_configENS1_20scan_config_selectorIdEEZZNS1_9scan_implILNS1_25lookback_scan_determinismE0ELb0ELb0ES3_N6thrust23THRUST_200600_302600_NS6detail15normal_iteratorINS9_10device_ptrIdEEEENS9_16discard_iteratorINS9_11use_defaultEEEdNS9_4plusIvEEdEEDaPvRmT3_T4_T5_mT6_P12ihipStream_tbENKUlT_T0_E_clISt17integral_constantIbLb1EESX_EEDaSS_ST_EUlSS_E_NS1_11comp_targetILNS1_3genE4ELNS1_11target_archE910ELNS1_3gpuE8ELNS1_3repE0EEENS1_30default_config_static_selectorELNS0_4arch9wavefront6targetE1EEEvT1_,@function
_ZN7rocprim17ROCPRIM_400000_NS6detail17trampoline_kernelINS0_14default_configENS1_20scan_config_selectorIdEEZZNS1_9scan_implILNS1_25lookback_scan_determinismE0ELb0ELb0ES3_N6thrust23THRUST_200600_302600_NS6detail15normal_iteratorINS9_10device_ptrIdEEEENS9_16discard_iteratorINS9_11use_defaultEEEdNS9_4plusIvEEdEEDaPvRmT3_T4_T5_mT6_P12ihipStream_tbENKUlT_T0_E_clISt17integral_constantIbLb1EESX_EEDaSS_ST_EUlSS_E_NS1_11comp_targetILNS1_3genE4ELNS1_11target_archE910ELNS1_3gpuE8ELNS1_3repE0EEENS1_30default_config_static_selectorELNS0_4arch9wavefront6targetE1EEEvT1_: ; @_ZN7rocprim17ROCPRIM_400000_NS6detail17trampoline_kernelINS0_14default_configENS1_20scan_config_selectorIdEEZZNS1_9scan_implILNS1_25lookback_scan_determinismE0ELb0ELb0ES3_N6thrust23THRUST_200600_302600_NS6detail15normal_iteratorINS9_10device_ptrIdEEEENS9_16discard_iteratorINS9_11use_defaultEEEdNS9_4plusIvEEdEEDaPvRmT3_T4_T5_mT6_P12ihipStream_tbENKUlT_T0_E_clISt17integral_constantIbLb1EESX_EEDaSS_ST_EUlSS_E_NS1_11comp_targetILNS1_3genE4ELNS1_11target_archE910ELNS1_3gpuE8ELNS1_3repE0EEENS1_30default_config_static_selectorELNS0_4arch9wavefront6targetE1EEEvT1_
; %bb.0:
	s_load_dwordx2 s[6:7], s[4:5], 0x20
	s_load_dwordx2 s[24:25], s[4:5], 0x38
	v_cmp_ne_u32_e64 s[0:1], 0, v0
	v_cmp_eq_u32_e64 s[2:3], 0, v0
	s_and_saveexec_b64 s[8:9], s[2:3]
	s_cbranch_execz .LBB4882_4
; %bb.1:
	s_mov_b64 s[12:13], exec
	v_mbcnt_lo_u32_b32 v1, s12, 0
	v_mbcnt_hi_u32_b32 v1, s13, v1
	v_cmp_eq_u32_e32 vcc, 0, v1
                                        ; implicit-def: $vgpr2
	s_and_saveexec_b64 s[10:11], vcc
	s_cbranch_execz .LBB4882_3
; %bb.2:
	s_load_dwordx2 s[14:15], s[4:5], 0x68
	s_bcnt1_i32_b64 s12, s[12:13]
	v_mov_b32_e32 v2, 0
	v_mov_b32_e32 v3, s12
	s_waitcnt lgkmcnt(0)
	global_atomic_add v2, v2, v3, s[14:15] glc
.LBB4882_3:
	s_or_b64 exec, exec, s[10:11]
	s_waitcnt vmcnt(0)
	v_readfirstlane_b32 s10, v2
	v_add_u32_e32 v1, s10, v1
	v_mov_b32_e32 v2, 0
	ds_write_b32 v2, v1
.LBB4882_4:
	s_or_b64 exec, exec, s[8:9]
	v_mov_b32_e32 v3, 0
	s_load_dwordx4 s[8:11], s[4:5], 0x0
	s_load_dword s12, s[4:5], 0x40
	s_load_dwordx8 s[16:23], s[4:5], 0x48
	s_waitcnt lgkmcnt(0)
	s_barrier
	ds_read_b32 v1, v3
	s_lshl_b64 s[4:5], s[10:11], 3
	s_add_u32 s4, s8, s4
	s_movk_i32 s8, 0x500
	s_addc_u32 s5, s9, s5
	s_waitcnt lgkmcnt(0)
	v_mul_lo_u32 v2, v1, s8
	s_add_i32 s8, s12, -1
	s_mul_i32 s9, s8, 0x500
	s_sub_u32 s28, s6, s9
	v_readfirstlane_b32 s30, v1
	s_subb_u32 s29, s7, 0
	v_lshlrev_b64 v[2:3], 3, v[2:3]
	s_cmp_lg_u32 s30, s8
	v_mov_b32_e32 v1, s5
	v_add_co_u32_e32 v36, vcc, s4, v2
	s_cselect_b64 s[14:15], -1, 0
	v_addc_co_u32_e32 v37, vcc, v1, v3, vcc
	s_mov_b64 s[4:5], -1
	s_and_b64 vcc, exec, s[14:15]
	s_barrier
	s_cbranch_vccz .LBB4882_6
; %bb.5:
	v_lshlrev_b32_e32 v1, 3, v0
	v_add_co_u32_e32 v2, vcc, v36, v1
	v_addc_co_u32_e32 v3, vcc, 0, v37, vcc
	v_add_co_u32_e32 v12, vcc, 0x1000, v2
	v_addc_co_u32_e32 v13, vcc, 0, v3, vcc
	flat_load_dwordx2 v[4:5], v[2:3]
	flat_load_dwordx2 v[6:7], v[2:3] offset:1024
	flat_load_dwordx2 v[8:9], v[2:3] offset:2048
	;; [unrolled: 1-line block ×3, first 2 shown]
	v_add_co_u32_e32 v2, vcc, 0x2000, v2
	v_addc_co_u32_e32 v3, vcc, 0, v3, vcc
	flat_load_dwordx2 v[14:15], v[12:13]
	flat_load_dwordx2 v[16:17], v[12:13] offset:1024
	flat_load_dwordx2 v[18:19], v[12:13] offset:2048
	flat_load_dwordx2 v[20:21], v[12:13] offset:3072
	s_nop 0
	flat_load_dwordx2 v[12:13], v[2:3]
	flat_load_dwordx2 v[22:23], v[2:3] offset:1024
	s_mov_b64 s[4:5], 0
	s_waitcnt vmcnt(0) lgkmcnt(0)
	ds_write2st64_b64 v1, v[4:5], v[6:7] offset1:2
	ds_write2st64_b64 v1, v[8:9], v[10:11] offset0:4 offset1:6
	ds_write2st64_b64 v1, v[14:15], v[16:17] offset0:8 offset1:10
	;; [unrolled: 1-line block ×4, first 2 shown]
	s_waitcnt lgkmcnt(0)
	s_barrier
.LBB4882_6:
	s_andn2_b64 vcc, exec, s[4:5]
	s_cbranch_vccnz .LBB4882_28
; %bb.7:
	flat_load_dwordx2 v[2:3], v[36:37]
	v_cmp_gt_u32_e32 vcc, s28, v0
	s_waitcnt vmcnt(0) lgkmcnt(0)
	v_mov_b32_e32 v4, v2
	v_mov_b32_e32 v5, v3
	;; [unrolled: 1-line block ×16, first 2 shown]
	v_pk_mov_b32 v[34:35], v[30:31], v[30:31] op_sel:[0,1]
	v_pk_mov_b32 v[32:33], v[28:29], v[28:29] op_sel:[0,1]
	;; [unrolled: 1-line block ×16, first 2 shown]
	s_and_saveexec_b64 s[4:5], vcc
	s_cbranch_execz .LBB4882_9
; %bb.8:
	v_lshlrev_b32_e32 v1, 3, v0
	v_add_co_u32_e32 v4, vcc, v36, v1
	v_addc_co_u32_e32 v5, vcc, 0, v37, vcc
	flat_load_dwordx2 v[38:39], v[4:5]
	v_mov_b32_e32 v4, v2
	v_mov_b32_e32 v5, v3
	;; [unrolled: 1-line block ×16, first 2 shown]
	v_pk_mov_b32 v[34:35], v[30:31], v[30:31] op_sel:[0,1]
	v_pk_mov_b32 v[32:33], v[28:29], v[28:29] op_sel:[0,1]
	;; [unrolled: 1-line block ×16, first 2 shown]
	s_waitcnt vmcnt(0) lgkmcnt(0)
	v_pk_mov_b32 v[2:3], v[38:39], v[38:39] op_sel:[0,1]
.LBB4882_9:
	s_or_b64 exec, exec, s[4:5]
	v_or_b32_e32 v1, 0x80, v0
	v_cmp_gt_u32_e32 vcc, s28, v1
	s_and_saveexec_b64 s[4:5], vcc
	s_cbranch_execz .LBB4882_11
; %bb.10:
	v_lshlrev_b32_e32 v1, 3, v0
	v_add_co_u32_e32 v4, vcc, v36, v1
	v_addc_co_u32_e32 v5, vcc, 0, v37, vcc
	flat_load_dwordx2 v[6:7], v[4:5] offset:1024
.LBB4882_11:
	s_or_b64 exec, exec, s[4:5]
	v_or_b32_e32 v1, 0x100, v0
	v_cmp_gt_u32_e32 vcc, s28, v1
	s_and_saveexec_b64 s[4:5], vcc
	s_cbranch_execz .LBB4882_13
; %bb.12:
	v_lshlrev_b32_e32 v1, 3, v0
	v_add_co_u32_e32 v4, vcc, v36, v1
	v_addc_co_u32_e32 v5, vcc, 0, v37, vcc
	flat_load_dwordx2 v[8:9], v[4:5] offset:2048
.LBB4882_13:
	;; [unrolled: 11-line block ×3, first 2 shown]
	s_or_b64 exec, exec, s[4:5]
	v_or_b32_e32 v1, 0x200, v0
	v_cmp_gt_u32_e32 vcc, s28, v1
	s_and_saveexec_b64 s[4:5], vcc
	s_cbranch_execz .LBB4882_17
; %bb.16:
	v_lshlrev_b32_e32 v1, 3, v1
	v_add_co_u32_e32 v4, vcc, v36, v1
	v_addc_co_u32_e32 v5, vcc, 0, v37, vcc
	flat_load_dwordx2 v[12:13], v[4:5]
.LBB4882_17:
	s_or_b64 exec, exec, s[4:5]
	v_or_b32_e32 v1, 0x280, v0
	v_cmp_gt_u32_e32 vcc, s28, v1
	s_and_saveexec_b64 s[4:5], vcc
	s_cbranch_execz .LBB4882_19
; %bb.18:
	v_lshlrev_b32_e32 v1, 3, v1
	v_add_co_u32_e32 v4, vcc, v36, v1
	v_addc_co_u32_e32 v5, vcc, 0, v37, vcc
	flat_load_dwordx2 v[14:15], v[4:5]
.LBB4882_19:
	;; [unrolled: 11-line block ×6, first 2 shown]
	s_or_b64 exec, exec, s[4:5]
	v_lshlrev_b32_e32 v1, 3, v0
	s_waitcnt vmcnt(0) lgkmcnt(0)
	ds_write2st64_b64 v1, v[2:3], v[6:7] offset1:2
	ds_write2st64_b64 v1, v[8:9], v[10:11] offset0:4 offset1:6
	ds_write2st64_b64 v1, v[12:13], v[14:15] offset0:8 offset1:10
	;; [unrolled: 1-line block ×4, first 2 shown]
	s_waitcnt lgkmcnt(0)
	s_barrier
.LBB4882_28:
	v_mul_u32_u24_e32 v48, 10, v0
	v_lshlrev_b32_e32 v49, 3, v48
	ds_read_b128 v[2:5], v49
	ds_read_b128 v[14:17], v49 offset:16
	ds_read_b128 v[10:13], v49 offset:32
	;; [unrolled: 1-line block ×4, first 2 shown]
	s_cmp_lg_u32 s30, 0
	v_mbcnt_lo_u32_b32 v1, -1, 0
	s_waitcnt lgkmcnt(0)
	s_barrier
	s_cbranch_scc0 .LBB4882_61
; %bb.29:
	v_add_f64 v[22:23], v[2:3], v[4:5]
	v_add_f64 v[22:23], v[14:15], v[22:23]
	;; [unrolled: 1-line block ×9, first 2 shown]
	v_mbcnt_hi_u32_b32 v33, -1, v1
	v_and_b32_e32 v28, 15, v33
	v_mov_b32_dpp v24, v22 row_shr:1 row_mask:0xf bank_mask:0xf
	v_mov_b32_dpp v25, v23 row_shr:1 row_mask:0xf bank_mask:0xf
	v_add_f64 v[24:25], v[22:23], v[24:25]
	v_cmp_eq_u32_e32 vcc, 0, v28
	v_cndmask_b32_e32 v24, v24, v22, vcc
	v_cndmask_b32_e32 v25, v25, v23, vcc
	v_cmp_lt_u32_e32 vcc, 1, v28
	v_mov_b32_dpp v26, v24 row_shr:2 row_mask:0xf bank_mask:0xf
	v_mov_b32_dpp v27, v25 row_shr:2 row_mask:0xf bank_mask:0xf
	v_add_f64 v[26:27], v[24:25], v[26:27]
	v_cndmask_b32_e32 v24, v24, v26, vcc
	v_cndmask_b32_e32 v25, v25, v27, vcc
	v_cmp_lt_u32_e32 vcc, 3, v28
	v_mov_b32_dpp v26, v24 row_shr:4 row_mask:0xf bank_mask:0xf
	v_mov_b32_dpp v27, v25 row_shr:4 row_mask:0xf bank_mask:0xf
	v_add_f64 v[26:27], v[24:25], v[26:27]
	;; [unrolled: 6-line block ×3, first 2 shown]
	v_cndmask_b32_e32 v24, v24, v26, vcc
	v_cndmask_b32_e32 v25, v25, v27, vcc
	v_and_b32_e32 v30, 16, v33
	v_mov_b32_dpp v26, v24 row_bcast:15 row_mask:0xf bank_mask:0xf
	v_mov_b32_dpp v27, v25 row_bcast:15 row_mask:0xf bank_mask:0xf
	v_add_f64 v[28:29], v[24:25], v[26:27]
	v_cmp_eq_u32_e32 vcc, 0, v30
	v_cndmask_b32_e32 v27, v29, v25, vcc
	v_cndmask_b32_e32 v26, v28, v24, vcc
	v_cmp_eq_u32_e64 s[4:5], 0, v33
	v_mov_b32_dpp v27, v27 row_bcast:31 row_mask:0xf bank_mask:0xf
	v_mov_b32_dpp v26, v26 row_bcast:31 row_mask:0xf bank_mask:0xf
	v_cmp_ne_u32_e64 s[6:7], 0, v33
	s_and_saveexec_b64 s[8:9], s[6:7]
; %bb.30:
	v_cndmask_b32_e32 v23, v29, v25, vcc
	v_cndmask_b32_e32 v22, v28, v24, vcc
	v_add_f64 v[24:25], v[22:23], v[26:27]
	v_cmp_lt_u32_e32 vcc, 31, v33
	v_cndmask_b32_e32 v23, v23, v25, vcc
	v_cndmask_b32_e32 v22, v22, v24, vcc
; %bb.31:
	s_or_b64 exec, exec, s[8:9]
	v_or_b32_e32 v25, 63, v0
	v_lshrrev_b32_e32 v24, 6, v0
	v_cmp_eq_u32_e32 vcc, v25, v0
	s_and_saveexec_b64 s[6:7], vcc
	s_cbranch_execz .LBB4882_33
; %bb.32:
	v_lshlrev_b32_e32 v25, 3, v24
	ds_write_b64 v25, v[22:23]
.LBB4882_33:
	s_or_b64 exec, exec, s[6:7]
	v_cmp_gt_u32_e32 vcc, 2, v0
	s_waitcnt lgkmcnt(0)
	s_barrier
	s_and_saveexec_b64 s[6:7], vcc
	s_cbranch_execz .LBB4882_35
; %bb.34:
	v_lshlrev_b32_e32 v25, 3, v0
	ds_read_b64 v[26:27], v25
	v_and_b32_e32 v30, 1, v33
	v_cmp_eq_u32_e32 vcc, 0, v30
	s_waitcnt lgkmcnt(0)
	v_mov_b32_dpp v28, v26 row_shr:1 row_mask:0xf bank_mask:0xf
	v_mov_b32_dpp v29, v27 row_shr:1 row_mask:0xf bank_mask:0xf
	v_add_f64 v[28:29], v[26:27], v[28:29]
	v_cndmask_b32_e32 v27, v29, v27, vcc
	v_cndmask_b32_e32 v26, v28, v26, vcc
	ds_write_b64 v25, v[26:27]
.LBB4882_35:
	s_or_b64 exec, exec, s[6:7]
	v_cmp_gt_u32_e32 vcc, 64, v0
	v_cmp_lt_u32_e64 s[6:7], 63, v0
	s_waitcnt lgkmcnt(0)
	s_barrier
	s_waitcnt lgkmcnt(0)
                                        ; implicit-def: $vgpr30_vgpr31
	s_and_saveexec_b64 s[8:9], s[6:7]
	s_cbranch_execz .LBB4882_37
; %bb.36:
	v_lshl_add_u32 v24, v24, 3, -8
	ds_read_b64 v[30:31], v24
	s_waitcnt lgkmcnt(0)
	v_add_f64 v[22:23], v[22:23], v[30:31]
.LBB4882_37:
	s_or_b64 exec, exec, s[8:9]
	v_add_u32_e32 v24, -1, v33
	v_and_b32_e32 v25, 64, v33
	v_cmp_lt_i32_e64 s[6:7], v24, v25
	v_cndmask_b32_e64 v24, v24, v33, s[6:7]
	v_lshlrev_b32_e32 v24, 2, v24
	ds_bpermute_b32 v38, v24, v22
	ds_bpermute_b32 v39, v24, v23
	s_and_saveexec_b64 s[26:27], vcc
	s_cbranch_execz .LBB4882_60
; %bb.38:
	v_mov_b32_e32 v25, 0
	ds_read_b64 v[22:23], v25 offset:8
	s_and_saveexec_b64 s[6:7], s[4:5]
	s_cbranch_execz .LBB4882_40
; %bb.39:
	s_add_i32 s8, s30, 64
	s_mov_b32 s9, 0
	s_lshl_b64 s[8:9], s[8:9], 4
	s_add_u32 s8, s24, s8
	s_addc_u32 s9, s25, s9
	v_mov_b32_e32 v24, 1
	v_pk_mov_b32 v[26:27], s[8:9], s[8:9] op_sel:[0,1]
	s_waitcnt lgkmcnt(0)
	;;#ASMSTART
	global_store_dwordx4 v[26:27], v[22:25] off	
s_waitcnt vmcnt(0)
	;;#ASMEND
.LBB4882_40:
	s_or_b64 exec, exec, s[6:7]
	v_xad_u32 v32, v33, -1, s30
	v_add_u32_e32 v24, 64, v32
	v_lshlrev_b64 v[26:27], 4, v[24:25]
	v_mov_b32_e32 v24, s25
	v_add_co_u32_e32 v34, vcc, s24, v26
	v_addc_co_u32_e32 v35, vcc, v24, v27, vcc
	;;#ASMSTART
	global_load_dwordx4 v[26:29], v[34:35] off glc	
s_waitcnt vmcnt(0)
	;;#ASMEND
	v_and_b32_e32 v24, 0xff, v27
	v_and_b32_e32 v29, 0xff00, v27
	v_or3_b32 v24, 0, v24, v29
	v_or3_b32 v26, v26, 0, 0
	v_and_b32_e32 v29, 0xff000000, v27
	v_and_b32_e32 v27, 0xff0000, v27
	v_or3_b32 v27, v24, v27, v29
	v_or3_b32 v26, v26, 0, 0
	v_cmp_eq_u16_sdwa s[8:9], v28, v25 src0_sel:BYTE_0 src1_sel:DWORD
	s_and_saveexec_b64 s[6:7], s[8:9]
	s_cbranch_execz .LBB4882_46
; %bb.41:
	s_mov_b32 s10, 1
	s_mov_b64 s[8:9], 0
	v_mov_b32_e32 v24, 0
.LBB4882_42:                            ; =>This Loop Header: Depth=1
                                        ;     Child Loop BB4882_43 Depth 2
	s_max_u32 s11, s10, 1
.LBB4882_43:                            ;   Parent Loop BB4882_42 Depth=1
                                        ; =>  This Inner Loop Header: Depth=2
	s_add_i32 s11, s11, -1
	s_cmp_eq_u32 s11, 0
	s_sleep 1
	s_cbranch_scc0 .LBB4882_43
; %bb.44:                               ;   in Loop: Header=BB4882_42 Depth=1
	s_cmp_lt_u32 s10, 32
	s_cselect_b64 s[12:13], -1, 0
	s_cmp_lg_u64 s[12:13], 0
	s_addc_u32 s10, s10, 0
	;;#ASMSTART
	global_load_dwordx4 v[26:29], v[34:35] off glc	
s_waitcnt vmcnt(0)
	;;#ASMEND
	v_cmp_ne_u16_sdwa s[12:13], v28, v24 src0_sel:BYTE_0 src1_sel:DWORD
	s_or_b64 s[8:9], s[12:13], s[8:9]
	s_andn2_b64 exec, exec, s[8:9]
	s_cbranch_execnz .LBB4882_42
; %bb.45:
	s_or_b64 exec, exec, s[8:9]
.LBB4882_46:
	s_or_b64 exec, exec, s[6:7]
	v_and_b32_e32 v41, 63, v33
	v_cmp_ne_u32_e32 vcc, 63, v41
	v_mov_b32_e32 v40, 2
	v_addc_co_u32_e32 v34, vcc, 0, v33, vcc
	v_cmp_eq_u16_sdwa s[6:7], v28, v40 src0_sel:BYTE_0 src1_sel:DWORD
	v_lshlrev_b64 v[24:25], v33, -1
	v_lshlrev_b32_e32 v42, 2, v34
	v_and_b32_e32 v29, s7, v25
	ds_bpermute_b32 v34, v42, v26
	ds_bpermute_b32 v35, v42, v27
	v_or_b32_e32 v29, 0x80000000, v29
	v_and_b32_e32 v36, s6, v24
	v_ffbl_b32_e32 v29, v29
	v_add_u32_e32 v29, 32, v29
	v_ffbl_b32_e32 v36, v36
	v_cmp_gt_u32_e64 s[6:7], 62, v41
	v_min_u32_e32 v29, v36, v29
	v_cndmask_b32_e64 v36, 0, 1, s[6:7]
	s_waitcnt lgkmcnt(0)
	v_add_f64 v[34:35], v[26:27], v[34:35]
	v_cmp_lt_u32_e32 vcc, v41, v29
	v_lshlrev_b32_e32 v36, 1, v36
	v_cndmask_b32_e32 v34, v26, v34, vcc
	v_cndmask_b32_e32 v35, v27, v35, vcc
	v_add_lshl_u32 v43, v36, v33, 2
	ds_bpermute_b32 v36, v43, v34
	ds_bpermute_b32 v37, v43, v35
	v_add_u32_e32 v44, 2, v41
	v_cmp_gt_u32_e64 s[6:7], v44, v29
	v_cmp_gt_u32_e64 s[8:9], 56, v41
	v_add_u32_e32 v46, 4, v41
	s_waitcnt lgkmcnt(0)
	v_add_f64 v[36:37], v[34:35], v[36:37]
	v_cndmask_b32_e64 v34, v36, v34, s[6:7]
	v_cndmask_b32_e64 v35, v37, v35, s[6:7]
	v_cmp_gt_u32_e64 s[6:7], 60, v41
	v_cndmask_b32_e64 v36, 0, 1, s[6:7]
	v_lshlrev_b32_e32 v36, 2, v36
	v_add_lshl_u32 v45, v36, v33, 2
	ds_bpermute_b32 v36, v45, v34
	ds_bpermute_b32 v37, v45, v35
	v_cndmask_b32_e64 v47, 0, 1, s[8:9]
	v_cmp_gt_u32_e64 s[6:7], v46, v29
	v_lshlrev_b32_e32 v47, 3, v47
	v_add_lshl_u32 v47, v47, v33, 2
	s_waitcnt lgkmcnt(0)
	v_add_f64 v[36:37], v[34:35], v[36:37]
	v_cndmask_b32_e64 v52, v36, v34, s[6:7]
	v_cndmask_b32_e64 v53, v37, v35, s[6:7]
	ds_bpermute_b32 v54, v47, v52
	ds_bpermute_b32 v55, v47, v53
	v_cmp_gt_u32_e64 s[10:11], 48, v41
	v_add_u32_e32 v50, 8, v41
	v_cndmask_b32_e64 v51, 0, 1, s[10:11]
	v_cmp_gt_u32_e64 s[8:9], v50, v29
	s_waitcnt lgkmcnt(0)
	v_add_f64 v[56:57], v[52:53], v[54:55]
	v_lshlrev_b32_e32 v51, 4, v51
	v_cndmask_b32_e64 v54, v56, v52, s[8:9]
	v_cndmask_b32_e64 v55, v57, v53, s[8:9]
	v_add_lshl_u32 v51, v51, v33, 2
	ds_bpermute_b32 v58, v51, v54
	ds_bpermute_b32 v59, v51, v55
	v_cmp_gt_u32_e64 s[12:13], 32, v41
	v_add_u32_e32 v52, 16, v41
	v_cndmask_b32_e64 v53, 0, 1, s[12:13]
	v_cmp_gt_u32_e64 s[10:11], v52, v29
	s_waitcnt lgkmcnt(0)
	v_add_f64 v[58:59], v[54:55], v[58:59]
	v_lshlrev_b32_e32 v53, 5, v53
	v_cndmask_b32_e64 v60, v58, v54, s[10:11]
	v_add_lshl_u32 v53, v53, v33, 2
	v_cndmask_b32_e64 v61, v59, v55, s[10:11]
	ds_bpermute_b32 v62, v53, v60
	ds_bpermute_b32 v63, v53, v61
	v_cndmask_b32_e32 v27, v27, v35, vcc
	v_cndmask_b32_e32 v26, v26, v34, vcc
	v_cndmask_b32_e64 v26, v36, v26, s[6:7]
	v_cndmask_b32_e64 v27, v37, v27, s[6:7]
	v_add_u32_e32 v54, 32, v41
	v_cndmask_b32_e64 v27, v57, v27, s[8:9]
	v_cndmask_b32_e64 v26, v56, v26, s[8:9]
	s_waitcnt lgkmcnt(0)
	v_add_f64 v[60:61], v[60:61], v[62:63]
	v_cndmask_b32_e64 v26, v58, v26, s[10:11]
	v_cndmask_b32_e64 v27, v59, v27, s[10:11]
	v_cmp_gt_u32_e32 vcc, v54, v29
	v_cndmask_b32_e32 v27, v61, v27, vcc
	v_cndmask_b32_e32 v26, v60, v26, vcc
	v_mov_b32_e32 v33, 0
	s_branch .LBB4882_48
.LBB4882_47:                            ;   in Loop: Header=BB4882_48 Depth=1
	s_or_b64 exec, exec, s[6:7]
	v_cmp_eq_u16_sdwa s[6:7], v28, v40 src0_sel:BYTE_0 src1_sel:DWORD
	v_and_b32_e32 v29, s7, v25
	ds_bpermute_b32 v36, v42, v26
	ds_bpermute_b32 v37, v42, v27
	v_or_b32_e32 v29, 0x80000000, v29
	v_and_b32_e32 v55, s6, v24
	v_ffbl_b32_e32 v29, v29
	v_add_u32_e32 v29, 32, v29
	v_ffbl_b32_e32 v55, v55
	v_min_u32_e32 v29, v55, v29
	s_waitcnt lgkmcnt(0)
	v_add_f64 v[36:37], v[26:27], v[36:37]
	v_cmp_lt_u32_e32 vcc, v41, v29
	v_cndmask_b32_e32 v36, v26, v36, vcc
	v_cndmask_b32_e32 v37, v27, v37, vcc
	ds_bpermute_b32 v56, v43, v36
	ds_bpermute_b32 v57, v43, v37
	v_cmp_gt_u32_e64 s[6:7], v44, v29
	v_cmp_gt_u32_e64 s[8:9], v50, v29
	;; [unrolled: 1-line block ×3, first 2 shown]
	v_subrev_u32_e32 v32, 64, v32
	s_waitcnt lgkmcnt(0)
	v_add_f64 v[56:57], v[36:37], v[56:57]
	v_cndmask_b32_e64 v36, v56, v36, s[6:7]
	v_cndmask_b32_e64 v37, v57, v37, s[6:7]
	ds_bpermute_b32 v56, v45, v36
	ds_bpermute_b32 v57, v45, v37
	v_cmp_gt_u32_e64 s[6:7], v46, v29
	v_cndmask_b32_e32 v27, v27, v37, vcc
	v_cndmask_b32_e32 v26, v26, v36, vcc
	v_cmp_gt_u32_e32 vcc, v54, v29
	s_waitcnt lgkmcnt(0)
	v_add_f64 v[56:57], v[36:37], v[56:57]
	v_cndmask_b32_e64 v58, v56, v36, s[6:7]
	v_cndmask_b32_e64 v59, v57, v37, s[6:7]
	ds_bpermute_b32 v60, v47, v58
	ds_bpermute_b32 v61, v47, v59
	v_cndmask_b32_e64 v26, v56, v26, s[6:7]
	v_cndmask_b32_e64 v27, v57, v27, s[6:7]
	s_waitcnt lgkmcnt(0)
	v_add_f64 v[60:61], v[58:59], v[60:61]
	v_cndmask_b32_e64 v58, v60, v58, s[8:9]
	v_cndmask_b32_e64 v59, v61, v59, s[8:9]
	ds_bpermute_b32 v62, v51, v58
	ds_bpermute_b32 v63, v51, v59
	v_cndmask_b32_e64 v27, v61, v27, s[8:9]
	v_cndmask_b32_e64 v26, v60, v26, s[8:9]
	;; [unrolled: 8-line block ×3, first 2 shown]
	s_waitcnt lgkmcnt(0)
	v_add_f64 v[58:59], v[58:59], v[64:65]
	v_cndmask_b32_e32 v27, v59, v27, vcc
	v_cndmask_b32_e32 v26, v58, v26, vcc
	v_add_f64 v[26:27], v[34:35], v[26:27]
.LBB4882_48:                            ; =>This Loop Header: Depth=1
                                        ;     Child Loop BB4882_51 Depth 2
                                        ;       Child Loop BB4882_52 Depth 3
	v_cmp_ne_u16_sdwa s[6:7], v28, v40 src0_sel:BYTE_0 src1_sel:DWORD
	v_cndmask_b32_e64 v28, 0, 1, s[6:7]
	;;#ASMSTART
	;;#ASMEND
	v_cmp_ne_u32_e32 vcc, 0, v28
	s_cmp_lg_u64 vcc, exec
	v_pk_mov_b32 v[34:35], v[26:27], v[26:27] op_sel:[0,1]
	s_cbranch_scc1 .LBB4882_55
; %bb.49:                               ;   in Loop: Header=BB4882_48 Depth=1
	v_lshlrev_b64 v[26:27], 4, v[32:33]
	v_mov_b32_e32 v28, s25
	v_add_co_u32_e32 v36, vcc, s24, v26
	v_addc_co_u32_e32 v37, vcc, v28, v27, vcc
	;;#ASMSTART
	global_load_dwordx4 v[26:29], v[36:37] off glc	
s_waitcnt vmcnt(0)
	;;#ASMEND
	v_and_b32_e32 v29, 0xff, v27
	v_and_b32_e32 v55, 0xff00, v27
	v_or3_b32 v29, 0, v29, v55
	v_or3_b32 v26, v26, 0, 0
	v_and_b32_e32 v55, 0xff000000, v27
	v_and_b32_e32 v27, 0xff0000, v27
	v_or3_b32 v27, v29, v27, v55
	v_or3_b32 v26, v26, 0, 0
	v_cmp_eq_u16_sdwa s[8:9], v28, v33 src0_sel:BYTE_0 src1_sel:DWORD
	s_and_saveexec_b64 s[6:7], s[8:9]
	s_cbranch_execz .LBB4882_47
; %bb.50:                               ;   in Loop: Header=BB4882_48 Depth=1
	s_mov_b32 s10, 1
	s_mov_b64 s[8:9], 0
.LBB4882_51:                            ;   Parent Loop BB4882_48 Depth=1
                                        ; =>  This Loop Header: Depth=2
                                        ;       Child Loop BB4882_52 Depth 3
	s_max_u32 s11, s10, 1
.LBB4882_52:                            ;   Parent Loop BB4882_48 Depth=1
                                        ;     Parent Loop BB4882_51 Depth=2
                                        ; =>    This Inner Loop Header: Depth=3
	s_add_i32 s11, s11, -1
	s_cmp_eq_u32 s11, 0
	s_sleep 1
	s_cbranch_scc0 .LBB4882_52
; %bb.53:                               ;   in Loop: Header=BB4882_51 Depth=2
	s_cmp_lt_u32 s10, 32
	s_cselect_b64 s[12:13], -1, 0
	s_cmp_lg_u64 s[12:13], 0
	s_addc_u32 s10, s10, 0
	;;#ASMSTART
	global_load_dwordx4 v[26:29], v[36:37] off glc	
s_waitcnt vmcnt(0)
	;;#ASMEND
	v_cmp_ne_u16_sdwa s[12:13], v28, v33 src0_sel:BYTE_0 src1_sel:DWORD
	s_or_b64 s[8:9], s[12:13], s[8:9]
	s_andn2_b64 exec, exec, s[8:9]
	s_cbranch_execnz .LBB4882_51
; %bb.54:                               ;   in Loop: Header=BB4882_48 Depth=1
	s_or_b64 exec, exec, s[8:9]
	s_branch .LBB4882_47
.LBB4882_55:                            ;   in Loop: Header=BB4882_48 Depth=1
                                        ; implicit-def: $vgpr26_vgpr27
                                        ; implicit-def: $vgpr28
	s_cbranch_execz .LBB4882_48
; %bb.56:
	s_and_saveexec_b64 s[6:7], s[4:5]
	s_cbranch_execz .LBB4882_58
; %bb.57:
	s_add_i32 s8, s30, 64
	s_mov_b32 s9, 0
	s_lshl_b64 s[8:9], s[8:9], 4
	s_add_u32 s8, s24, s8
	s_addc_u32 s9, s25, s9
	v_add_f64 v[22:23], v[22:23], v[34:35]
	v_mov_b32_e32 v24, 2
	v_mov_b32_e32 v25, 0
	v_pk_mov_b32 v[26:27], s[8:9], s[8:9] op_sel:[0,1]
	;;#ASMSTART
	global_store_dwordx4 v[26:27], v[22:25] off	
s_waitcnt vmcnt(0)
	;;#ASMEND
.LBB4882_58:
	s_or_b64 exec, exec, s[6:7]
	s_and_b64 exec, exec, s[2:3]
	s_cbranch_execz .LBB4882_60
; %bb.59:
	v_mov_b32_e32 v22, 0
	ds_write_b64 v22, v[34:35] offset:8
.LBB4882_60:
	s_or_b64 exec, exec, s[26:27]
	v_mov_b32_e32 v22, 0
	s_waitcnt lgkmcnt(0)
	s_barrier
	ds_read_b64 v[24:25], v22 offset:8
	v_cndmask_b32_e64 v23, v39, v31, s[4:5]
	v_cndmask_b32_e64 v22, v38, v30, s[4:5]
	v_add_f64 v[22:23], v[2:3], v[22:23]
	v_cndmask_b32_e64 v23, v23, v3, s[2:3]
	v_cndmask_b32_e64 v22, v22, v2, s[2:3]
	s_waitcnt lgkmcnt(0)
	v_add_f64 v[38:39], v[22:23], v[24:25]
	v_add_f64 v[40:41], v[4:5], v[38:39]
	;; [unrolled: 1-line block ×10, first 2 shown]
	s_branch .LBB4882_77
.LBB4882_61:
                                        ; implicit-def: $vgpr24_vgpr25
                                        ; implicit-def: $vgpr28_vgpr29
                                        ; implicit-def: $vgpr32_vgpr33
                                        ; implicit-def: $vgpr36_vgpr37
                                        ; implicit-def: $vgpr40_vgpr41
	s_cbranch_execz .LBB4882_77
; %bb.62:
	s_cmp_lg_u64 s[20:21], 0
	s_cselect_b64 s[4:5], -1, 0
	s_and_b64 s[4:5], s[2:3], s[4:5]
	s_and_saveexec_b64 s[2:3], s[4:5]
	s_cbranch_execz .LBB4882_64
; %bb.63:
	v_mov_b32_e32 v22, 0
	global_load_dwordx2 v[22:23], v22, s[16:17]
	s_waitcnt vmcnt(0)
	v_add_f64 v[2:3], v[2:3], v[22:23]
.LBB4882_64:
	s_or_b64 exec, exec, s[2:3]
	v_add_f64 v[40:41], v[2:3], v[4:5]
	v_add_f64 v[34:35], v[14:15], v[40:41]
	;; [unrolled: 1-line block ×9, first 2 shown]
	v_mbcnt_hi_u32_b32 v1, -1, v1
	v_and_b32_e32 v44, 15, v1
	v_mov_b32_dpp v38, v24 row_shr:1 row_mask:0xf bank_mask:0xf
	v_mov_b32_dpp v39, v25 row_shr:1 row_mask:0xf bank_mask:0xf
	v_add_f64 v[38:39], v[24:25], v[38:39]
	v_cmp_eq_u32_e32 vcc, 0, v44
	v_cndmask_b32_e32 v38, v38, v24, vcc
	v_cndmask_b32_e32 v39, v39, v25, vcc
	v_cmp_lt_u32_e32 vcc, 1, v44
	v_mov_b32_dpp v42, v38 row_shr:2 row_mask:0xf bank_mask:0xf
	v_mov_b32_dpp v43, v39 row_shr:2 row_mask:0xf bank_mask:0xf
	v_add_f64 v[42:43], v[38:39], v[42:43]
	v_cndmask_b32_e32 v38, v38, v42, vcc
	v_cndmask_b32_e32 v39, v39, v43, vcc
	v_cmp_lt_u32_e32 vcc, 3, v44
	v_mov_b32_dpp v42, v38 row_shr:4 row_mask:0xf bank_mask:0xf
	v_mov_b32_dpp v43, v39 row_shr:4 row_mask:0xf bank_mask:0xf
	v_add_f64 v[42:43], v[38:39], v[42:43]
	;; [unrolled: 6-line block ×3, first 2 shown]
	v_cndmask_b32_e32 v42, v38, v42, vcc
	v_cndmask_b32_e32 v43, v39, v43, vcc
	v_and_b32_e32 v44, 16, v1
	v_mov_b32_dpp v38, v42 row_bcast:15 row_mask:0xf bank_mask:0xf
	v_mov_b32_dpp v39, v43 row_bcast:15 row_mask:0xf bank_mask:0xf
	v_add_f64 v[46:47], v[42:43], v[38:39]
	v_cmp_eq_u32_e64 s[2:3], 0, v44
	v_cndmask_b32_e64 v38, v47, v43, s[2:3]
	v_cndmask_b32_e64 v39, v46, v42, s[2:3]
	v_cmp_eq_u32_e32 vcc, 0, v1
	v_mov_b32_dpp v45, v38 row_bcast:31 row_mask:0xf bank_mask:0xf
	v_mov_b32_dpp v44, v39 row_bcast:31 row_mask:0xf bank_mask:0xf
	v_cmp_ne_u32_e64 s[4:5], 0, v1
	v_pk_mov_b32 v[38:39], v[24:25], v[24:25] op_sel:[0,1]
	s_and_saveexec_b64 s[6:7], s[4:5]
; %bb.65:
	v_cndmask_b32_e64 v39, v47, v43, s[2:3]
	v_cndmask_b32_e64 v38, v46, v42, s[2:3]
	v_add_f64 v[42:43], v[38:39], v[44:45]
	v_cmp_lt_u32_e64 s[2:3], 31, v1
	v_cndmask_b32_e64 v39, v39, v43, s[2:3]
	v_cndmask_b32_e64 v38, v38, v42, s[2:3]
; %bb.66:
	s_or_b64 exec, exec, s[6:7]
	v_or_b32_e32 v42, 63, v0
	v_lshrrev_b32_e32 v44, 6, v0
	v_cmp_eq_u32_e64 s[2:3], v42, v0
	s_and_saveexec_b64 s[4:5], s[2:3]
	s_cbranch_execz .LBB4882_68
; %bb.67:
	v_lshlrev_b32_e32 v42, 3, v44
	ds_write_b64 v42, v[38:39]
.LBB4882_68:
	s_or_b64 exec, exec, s[4:5]
	v_cmp_gt_u32_e64 s[2:3], 2, v0
	s_waitcnt lgkmcnt(0)
	s_barrier
	s_and_saveexec_b64 s[4:5], s[2:3]
	s_cbranch_execz .LBB4882_70
; %bb.69:
	s_movk_i32 s2, 0xffb8
	v_mad_i32_i24 v45, v0, s2, v49
	ds_read_b64 v[42:43], v45
	v_and_b32_e32 v50, 1, v1
	v_cmp_eq_u32_e64 s[2:3], 0, v50
	s_waitcnt lgkmcnt(0)
	v_mov_b32_dpp v46, v42 row_shr:1 row_mask:0xf bank_mask:0xf
	v_mov_b32_dpp v47, v43 row_shr:1 row_mask:0xf bank_mask:0xf
	v_add_f64 v[46:47], v[42:43], v[46:47]
	v_cndmask_b32_e64 v43, v47, v43, s[2:3]
	v_cndmask_b32_e64 v42, v46, v42, s[2:3]
	ds_write_b64 v45, v[42:43]
.LBB4882_70:
	s_or_b64 exec, exec, s[4:5]
	v_cmp_lt_u32_e64 s[2:3], 63, v0
	s_waitcnt lgkmcnt(0)
	s_barrier
	s_waitcnt lgkmcnt(0)
                                        ; implicit-def: $vgpr42_vgpr43
	s_and_saveexec_b64 s[4:5], s[2:3]
	s_cbranch_execz .LBB4882_72
; %bb.71:
	v_lshl_add_u32 v42, v44, 3, -8
	ds_read_b64 v[42:43], v42
	s_waitcnt lgkmcnt(0)
	v_add_f64 v[38:39], v[38:39], v[42:43]
.LBB4882_72:
	s_or_b64 exec, exec, s[4:5]
	v_add_u32_e32 v44, -1, v1
	v_and_b32_e32 v45, 64, v1
	v_cmp_lt_i32_e64 s[2:3], v44, v45
	v_cndmask_b32_e64 v1, v44, v1, s[2:3]
	v_lshlrev_b32_e32 v44, 2, v1
	ds_bpermute_b32 v1, v44, v38
	ds_bpermute_b32 v38, v44, v39
	s_and_saveexec_b64 s[2:3], s[0:1]
	s_cbranch_execz .LBB4882_74
; %bb.73:
	s_waitcnt lgkmcnt(0)
	v_cndmask_b32_e32 v23, v38, v43, vcc
	v_cndmask_b32_e32 v22, v1, v42, vcc
	v_add_f64 v[2:3], v[2:3], v[22:23]
	v_add_f64 v[40:41], v[4:5], v[2:3]
	;; [unrolled: 1-line block ×10, first 2 shown]
	;;#ASMSTART
	;;#ASMEND
.LBB4882_74:
	s_or_b64 exec, exec, s[2:3]
	s_movk_i32 s0, 0x7f
	v_cmp_eq_u32_e32 vcc, s0, v0
	s_and_saveexec_b64 s[0:1], vcc
	s_cbranch_execz .LBB4882_76
; %bb.75:
	s_add_u32 s2, s24, 0x400
	s_addc_u32 s3, s25, 0
	v_mov_b32_e32 v6, 2
	v_mov_b32_e32 v7, 0
	;; [unrolled: 1-line block ×4, first 2 shown]
	v_pk_mov_b32 v[8:9], s[2:3], s[2:3] op_sel:[0,1]
	;;#ASMSTART
	global_store_dwordx4 v[8:9], v[4:7] off	
s_waitcnt vmcnt(0)
	;;#ASMEND
.LBB4882_76:
	s_or_b64 exec, exec, s[0:1]
	s_waitcnt lgkmcnt(0)
	v_pk_mov_b32 v[38:39], v[2:3], v[2:3] op_sel:[0,1]
.LBB4882_77:
	s_mov_b64 s[0:1], -1
	s_and_b64 vcc, exec, s[14:15]
	s_barrier
	ds_write_b128 v49, v[38:41]
	ds_write_b128 v49, v[34:37] offset:16
	ds_write_b128 v49, v[30:33] offset:32
	;; [unrolled: 1-line block ×4, first 2 shown]
	s_waitcnt lgkmcnt(0)
	s_cbranch_vccz .LBB4882_79
; %bb.78:
	s_barrier
	s_mov_b64 s[0:1], 0
.LBB4882_79:
	s_andn2_b64 vcc, exec, s[0:1]
	s_cbranch_vccnz .LBB4882_115
; %bb.80:
	v_cmp_lt_u64_e64 s[0:1], s[22:23], 2
	s_and_b64 vcc, exec, s[0:1]
	s_barrier
	s_cbranch_vccnz .LBB4882_115
; %bb.81:
	s_add_u32 s0, s28, -1
	s_addc_u32 s1, s29, -1
	s_add_u32 s2, 0, 0x99986000
	s_addc_u32 s3, 0, 0x59
	s_add_i32 s3, s3, 0x19999940
	s_mul_hi_u32 s7, s2, -10
	s_sub_i32 s7, s7, s2
	s_mul_i32 s8, s3, -10
	s_mul_i32 s4, s2, -10
	s_add_i32 s7, s7, s8
	s_mul_hi_u32 s5, s3, s4
	s_mul_i32 s6, s3, s4
	s_mul_i32 s9, s2, s7
	s_mul_hi_u32 s4, s2, s4
	s_mul_hi_u32 s8, s2, s7
	s_add_u32 s4, s4, s9
	s_addc_u32 s8, 0, s8
	s_add_u32 s4, s4, s6
	s_mul_hi_u32 s9, s3, s7
	s_addc_u32 s4, s8, s5
	s_addc_u32 s5, s9, 0
	s_mul_i32 s6, s3, s7
	s_add_u32 s4, s4, s6
	v_mov_b32_e32 v2, s4
	s_addc_u32 s5, 0, s5
	v_add_co_u32_e32 v2, vcc, s2, v2
	s_cmp_lg_u64 vcc, 0
	s_addc_u32 s2, s3, s5
	v_readfirstlane_b32 s5, v2
	s_mul_i32 s4, s0, s2
	s_mul_hi_u32 s6, s0, s5
	s_mul_hi_u32 s3, s0, s2
	s_add_u32 s4, s6, s4
	s_addc_u32 s3, 0, s3
	s_mul_hi_u32 s7, s1, s5
	s_mul_i32 s5, s1, s5
	s_add_u32 s4, s4, s5
	s_mul_hi_u32 s6, s1, s2
	s_addc_u32 s3, s3, s7
	s_addc_u32 s4, s6, 0
	s_mul_i32 s2, s1, s2
	s_add_u32 s2, s3, s2
	s_addc_u32 s3, 0, s4
	s_add_u32 s4, s2, 1
	s_addc_u32 s5, s3, 0
	s_add_u32 s6, s2, 2
	s_mul_i32 s8, s3, 10
	s_mul_hi_u32 s9, s2, 10
	s_addc_u32 s7, s3, 0
	s_add_i32 s9, s9, s8
	s_mul_i32 s8, s2, 10
	v_mov_b32_e32 v2, s8
	v_sub_co_u32_e32 v2, vcc, s0, v2
	s_cmp_lg_u64 vcc, 0
	s_subb_u32 s8, s1, s9
	v_subrev_co_u32_e32 v3, vcc, 10, v2
	s_cmp_lg_u64 vcc, 0
	s_subb_u32 s9, s8, 0
	v_readfirstlane_b32 s10, v3
	s_cmp_gt_u32 s10, 9
	s_cselect_b32 s10, -1, 0
	s_cmp_eq_u32 s9, 0
	s_cselect_b32 s9, s10, -1
	s_cmp_lg_u32 s9, 0
	s_cselect_b32 s4, s6, s4
	v_readfirstlane_b32 s6, v2
	s_cselect_b32 s5, s7, s5
	s_cmp_gt_u32 s6, 9
	s_cselect_b32 s6, -1, 0
	s_cmp_eq_u32 s8, 0
	s_cselect_b32 s6, s6, -1
	s_cmp_lg_u32 s6, 0
	v_mov_b32_e32 v1, 0
	s_cselect_b32 s3, s5, s3
	s_cselect_b32 s2, s4, s2
	v_cmp_eq_u64_e32 vcc, s[2:3], v[0:1]
	s_and_saveexec_b64 s[2:3], vcc
	s_cbranch_execz .LBB4882_115
; %bb.82:
	s_movk_i32 s2, 0xffb8
	v_mad_i32_i24 v2, v0, s2, v49
	v_mul_hi_u32_u24_e32 v1, 10, v0
	v_mov_b32_e32 v3, s1
	v_sub_co_u32_e32 v0, vcc, s0, v48
	v_subb_co_u32_e32 v1, vcc, v3, v1, vcc
	v_cmp_lt_i64_e32 vcc, 4, v[0:1]
	s_and_saveexec_b64 s[0:1], vcc
	s_xor_b64 s[0:1], exec, s[0:1]
	s_cbranch_execz .LBB4882_100
; %bb.83:
	v_cmp_lt_i64_e32 vcc, 6, v[0:1]
	s_and_saveexec_b64 s[2:3], vcc
	s_xor_b64 s[2:3], exec, s[2:3]
	s_cbranch_execz .LBB4882_93
; %bb.84:
	;; [unrolled: 5-line block ×4, first 2 shown]
	ds_read_b64 v[0:1], v2 offset:9216
	v_mov_b32_e32 v2, 0
	s_waitcnt lgkmcnt(0)
	global_store_dwordx2 v2, v[0:1], s[18:19]
                                        ; implicit-def: $vgpr2
.LBB4882_87:
	s_andn2_saveexec_b64 s[6:7], s[6:7]
	s_cbranch_execz .LBB4882_89
; %bb.88:
	ds_read_b64 v[0:1], v2 offset:8192
	v_mov_b32_e32 v2, 0
	s_waitcnt lgkmcnt(0)
	global_store_dwordx2 v2, v[0:1], s[18:19]
.LBB4882_89:
	s_or_b64 exec, exec, s[6:7]
                                        ; implicit-def: $vgpr2
.LBB4882_90:
	s_andn2_saveexec_b64 s[4:5], s[4:5]
	s_cbranch_execz .LBB4882_92
; %bb.91:
	ds_read_b64 v[0:1], v2 offset:7168
	v_mov_b32_e32 v2, 0
	s_waitcnt lgkmcnt(0)
	global_store_dwordx2 v2, v[0:1], s[18:19]
.LBB4882_92:
	s_or_b64 exec, exec, s[4:5]
                                        ; implicit-def: $vgpr2
                                        ; implicit-def: $vgpr0_vgpr1
.LBB4882_93:
	s_andn2_saveexec_b64 s[2:3], s[2:3]
	s_cbranch_execz .LBB4882_99
; %bb.94:
	v_cmp_lt_i64_e32 vcc, 5, v[0:1]
	s_and_saveexec_b64 s[4:5], vcc
	s_xor_b64 s[4:5], exec, s[4:5]
	s_cbranch_execz .LBB4882_96
; %bb.95:
	ds_read_b64 v[0:1], v2 offset:6144
	v_mov_b32_e32 v2, 0
	s_waitcnt lgkmcnt(0)
	global_store_dwordx2 v2, v[0:1], s[18:19]
                                        ; implicit-def: $vgpr2
.LBB4882_96:
	s_andn2_saveexec_b64 s[4:5], s[4:5]
	s_cbranch_execz .LBB4882_98
; %bb.97:
	ds_read_b64 v[0:1], v2 offset:5120
	v_mov_b32_e32 v2, 0
	s_waitcnt lgkmcnt(0)
	global_store_dwordx2 v2, v[0:1], s[18:19]
.LBB4882_98:
	s_or_b64 exec, exec, s[4:5]
.LBB4882_99:
	s_or_b64 exec, exec, s[2:3]
                                        ; implicit-def: $vgpr0_vgpr1
                                        ; implicit-def: $vgpr2
.LBB4882_100:
	s_andn2_saveexec_b64 s[0:1], s[0:1]
	s_cbranch_execz .LBB4882_115
; %bb.101:
	v_cmp_lt_i64_e32 vcc, 2, v[0:1]
	s_and_saveexec_b64 s[0:1], vcc
	s_xor_b64 s[0:1], exec, s[0:1]
	s_cbranch_execz .LBB4882_107
; %bb.102:
	v_cmp_lt_i64_e32 vcc, 3, v[0:1]
	s_and_saveexec_b64 s[2:3], vcc
	s_xor_b64 s[2:3], exec, s[2:3]
	s_cbranch_execz .LBB4882_104
; %bb.103:
	ds_read_b64 v[0:1], v2 offset:4096
	v_mov_b32_e32 v2, 0
	s_waitcnt lgkmcnt(0)
	global_store_dwordx2 v2, v[0:1], s[18:19]
                                        ; implicit-def: $vgpr2
.LBB4882_104:
	s_andn2_saveexec_b64 s[2:3], s[2:3]
	s_cbranch_execz .LBB4882_106
; %bb.105:
	ds_read_b64 v[0:1], v2 offset:3072
	v_mov_b32_e32 v2, 0
	s_waitcnt lgkmcnt(0)
	global_store_dwordx2 v2, v[0:1], s[18:19]
.LBB4882_106:
	s_or_b64 exec, exec, s[2:3]
                                        ; implicit-def: $vgpr0_vgpr1
                                        ; implicit-def: $vgpr2
.LBB4882_107:
	s_andn2_saveexec_b64 s[0:1], s[0:1]
	s_cbranch_execz .LBB4882_115
; %bb.108:
	v_cmp_lt_i64_e32 vcc, 1, v[0:1]
	s_and_saveexec_b64 s[0:1], vcc
	s_xor_b64 s[0:1], exec, s[0:1]
	s_cbranch_execz .LBB4882_110
; %bb.109:
	ds_read_b64 v[0:1], v2 offset:2048
	v_mov_b32_e32 v2, 0
	s_waitcnt lgkmcnt(0)
	global_store_dwordx2 v2, v[0:1], s[18:19]
                                        ; implicit-def: $vgpr2
                                        ; implicit-def: $vgpr0_vgpr1
.LBB4882_110:
	s_andn2_saveexec_b64 s[0:1], s[0:1]
	s_cbranch_execz .LBB4882_115
; %bb.111:
	v_cmp_ne_u64_e32 vcc, 1, v[0:1]
	s_and_saveexec_b64 s[0:1], vcc
	s_xor_b64 s[0:1], exec, s[0:1]
	s_cbranch_execz .LBB4882_113
; %bb.112:
	ds_read_b64 v[0:1], v2
	v_mov_b32_e32 v2, 0
	s_waitcnt lgkmcnt(0)
	global_store_dwordx2 v2, v[0:1], s[18:19]
                                        ; implicit-def: $vgpr2
.LBB4882_113:
	s_andn2_saveexec_b64 s[0:1], s[0:1]
	s_cbranch_execz .LBB4882_115
; %bb.114:
	ds_read_b64 v[0:1], v2 offset:1024
	v_mov_b32_e32 v2, 0
	s_waitcnt lgkmcnt(0)
	global_store_dwordx2 v2, v[0:1], s[18:19]
.LBB4882_115:
	s_endpgm
	.section	.rodata,"a",@progbits
	.p2align	6, 0x0
	.amdhsa_kernel _ZN7rocprim17ROCPRIM_400000_NS6detail17trampoline_kernelINS0_14default_configENS1_20scan_config_selectorIdEEZZNS1_9scan_implILNS1_25lookback_scan_determinismE0ELb0ELb0ES3_N6thrust23THRUST_200600_302600_NS6detail15normal_iteratorINS9_10device_ptrIdEEEENS9_16discard_iteratorINS9_11use_defaultEEEdNS9_4plusIvEEdEEDaPvRmT3_T4_T5_mT6_P12ihipStream_tbENKUlT_T0_E_clISt17integral_constantIbLb1EESX_EEDaSS_ST_EUlSS_E_NS1_11comp_targetILNS1_3genE4ELNS1_11target_archE910ELNS1_3gpuE8ELNS1_3repE0EEENS1_30default_config_static_selectorELNS0_4arch9wavefront6targetE1EEEvT1_
		.amdhsa_group_segment_fixed_size 10240
		.amdhsa_private_segment_fixed_size 0
		.amdhsa_kernarg_size 112
		.amdhsa_user_sgpr_count 6
		.amdhsa_user_sgpr_private_segment_buffer 1
		.amdhsa_user_sgpr_dispatch_ptr 0
		.amdhsa_user_sgpr_queue_ptr 0
		.amdhsa_user_sgpr_kernarg_segment_ptr 1
		.amdhsa_user_sgpr_dispatch_id 0
		.amdhsa_user_sgpr_flat_scratch_init 0
		.amdhsa_user_sgpr_kernarg_preload_length 0
		.amdhsa_user_sgpr_kernarg_preload_offset 0
		.amdhsa_user_sgpr_private_segment_size 0
		.amdhsa_uses_dynamic_stack 0
		.amdhsa_system_sgpr_private_segment_wavefront_offset 0
		.amdhsa_system_sgpr_workgroup_id_x 1
		.amdhsa_system_sgpr_workgroup_id_y 0
		.amdhsa_system_sgpr_workgroup_id_z 0
		.amdhsa_system_sgpr_workgroup_info 0
		.amdhsa_system_vgpr_workitem_id 0
		.amdhsa_next_free_vgpr 66
		.amdhsa_next_free_sgpr 31
		.amdhsa_accum_offset 68
		.amdhsa_reserve_vcc 1
		.amdhsa_reserve_flat_scratch 0
		.amdhsa_float_round_mode_32 0
		.amdhsa_float_round_mode_16_64 0
		.amdhsa_float_denorm_mode_32 3
		.amdhsa_float_denorm_mode_16_64 3
		.amdhsa_dx10_clamp 1
		.amdhsa_ieee_mode 1
		.amdhsa_fp16_overflow 0
		.amdhsa_tg_split 0
		.amdhsa_exception_fp_ieee_invalid_op 0
		.amdhsa_exception_fp_denorm_src 0
		.amdhsa_exception_fp_ieee_div_zero 0
		.amdhsa_exception_fp_ieee_overflow 0
		.amdhsa_exception_fp_ieee_underflow 0
		.amdhsa_exception_fp_ieee_inexact 0
		.amdhsa_exception_int_div_zero 0
	.end_amdhsa_kernel
	.section	.text._ZN7rocprim17ROCPRIM_400000_NS6detail17trampoline_kernelINS0_14default_configENS1_20scan_config_selectorIdEEZZNS1_9scan_implILNS1_25lookback_scan_determinismE0ELb0ELb0ES3_N6thrust23THRUST_200600_302600_NS6detail15normal_iteratorINS9_10device_ptrIdEEEENS9_16discard_iteratorINS9_11use_defaultEEEdNS9_4plusIvEEdEEDaPvRmT3_T4_T5_mT6_P12ihipStream_tbENKUlT_T0_E_clISt17integral_constantIbLb1EESX_EEDaSS_ST_EUlSS_E_NS1_11comp_targetILNS1_3genE4ELNS1_11target_archE910ELNS1_3gpuE8ELNS1_3repE0EEENS1_30default_config_static_selectorELNS0_4arch9wavefront6targetE1EEEvT1_,"axG",@progbits,_ZN7rocprim17ROCPRIM_400000_NS6detail17trampoline_kernelINS0_14default_configENS1_20scan_config_selectorIdEEZZNS1_9scan_implILNS1_25lookback_scan_determinismE0ELb0ELb0ES3_N6thrust23THRUST_200600_302600_NS6detail15normal_iteratorINS9_10device_ptrIdEEEENS9_16discard_iteratorINS9_11use_defaultEEEdNS9_4plusIvEEdEEDaPvRmT3_T4_T5_mT6_P12ihipStream_tbENKUlT_T0_E_clISt17integral_constantIbLb1EESX_EEDaSS_ST_EUlSS_E_NS1_11comp_targetILNS1_3genE4ELNS1_11target_archE910ELNS1_3gpuE8ELNS1_3repE0EEENS1_30default_config_static_selectorELNS0_4arch9wavefront6targetE1EEEvT1_,comdat
.Lfunc_end4882:
	.size	_ZN7rocprim17ROCPRIM_400000_NS6detail17trampoline_kernelINS0_14default_configENS1_20scan_config_selectorIdEEZZNS1_9scan_implILNS1_25lookback_scan_determinismE0ELb0ELb0ES3_N6thrust23THRUST_200600_302600_NS6detail15normal_iteratorINS9_10device_ptrIdEEEENS9_16discard_iteratorINS9_11use_defaultEEEdNS9_4plusIvEEdEEDaPvRmT3_T4_T5_mT6_P12ihipStream_tbENKUlT_T0_E_clISt17integral_constantIbLb1EESX_EEDaSS_ST_EUlSS_E_NS1_11comp_targetILNS1_3genE4ELNS1_11target_archE910ELNS1_3gpuE8ELNS1_3repE0EEENS1_30default_config_static_selectorELNS0_4arch9wavefront6targetE1EEEvT1_, .Lfunc_end4882-_ZN7rocprim17ROCPRIM_400000_NS6detail17trampoline_kernelINS0_14default_configENS1_20scan_config_selectorIdEEZZNS1_9scan_implILNS1_25lookback_scan_determinismE0ELb0ELb0ES3_N6thrust23THRUST_200600_302600_NS6detail15normal_iteratorINS9_10device_ptrIdEEEENS9_16discard_iteratorINS9_11use_defaultEEEdNS9_4plusIvEEdEEDaPvRmT3_T4_T5_mT6_P12ihipStream_tbENKUlT_T0_E_clISt17integral_constantIbLb1EESX_EEDaSS_ST_EUlSS_E_NS1_11comp_targetILNS1_3genE4ELNS1_11target_archE910ELNS1_3gpuE8ELNS1_3repE0EEENS1_30default_config_static_selectorELNS0_4arch9wavefront6targetE1EEEvT1_
                                        ; -- End function
	.section	.AMDGPU.csdata,"",@progbits
; Kernel info:
; codeLenInByte = 5564
; NumSgprs: 35
; NumVgprs: 66
; NumAgprs: 0
; TotalNumVgprs: 66
; ScratchSize: 0
; MemoryBound: 0
; FloatMode: 240
; IeeeMode: 1
; LDSByteSize: 10240 bytes/workgroup (compile time only)
; SGPRBlocks: 4
; VGPRBlocks: 8
; NumSGPRsForWavesPerEU: 35
; NumVGPRsForWavesPerEU: 66
; AccumOffset: 68
; Occupancy: 3
; WaveLimiterHint : 1
; COMPUTE_PGM_RSRC2:SCRATCH_EN: 0
; COMPUTE_PGM_RSRC2:USER_SGPR: 6
; COMPUTE_PGM_RSRC2:TRAP_HANDLER: 0
; COMPUTE_PGM_RSRC2:TGID_X_EN: 1
; COMPUTE_PGM_RSRC2:TGID_Y_EN: 0
; COMPUTE_PGM_RSRC2:TGID_Z_EN: 0
; COMPUTE_PGM_RSRC2:TIDIG_COMP_CNT: 0
; COMPUTE_PGM_RSRC3_GFX90A:ACCUM_OFFSET: 16
; COMPUTE_PGM_RSRC3_GFX90A:TG_SPLIT: 0
	.section	.text._ZN7rocprim17ROCPRIM_400000_NS6detail17trampoline_kernelINS0_14default_configENS1_20scan_config_selectorIdEEZZNS1_9scan_implILNS1_25lookback_scan_determinismE0ELb0ELb0ES3_N6thrust23THRUST_200600_302600_NS6detail15normal_iteratorINS9_10device_ptrIdEEEENS9_16discard_iteratorINS9_11use_defaultEEEdNS9_4plusIvEEdEEDaPvRmT3_T4_T5_mT6_P12ihipStream_tbENKUlT_T0_E_clISt17integral_constantIbLb1EESX_EEDaSS_ST_EUlSS_E_NS1_11comp_targetILNS1_3genE3ELNS1_11target_archE908ELNS1_3gpuE7ELNS1_3repE0EEENS1_30default_config_static_selectorELNS0_4arch9wavefront6targetE1EEEvT1_,"axG",@progbits,_ZN7rocprim17ROCPRIM_400000_NS6detail17trampoline_kernelINS0_14default_configENS1_20scan_config_selectorIdEEZZNS1_9scan_implILNS1_25lookback_scan_determinismE0ELb0ELb0ES3_N6thrust23THRUST_200600_302600_NS6detail15normal_iteratorINS9_10device_ptrIdEEEENS9_16discard_iteratorINS9_11use_defaultEEEdNS9_4plusIvEEdEEDaPvRmT3_T4_T5_mT6_P12ihipStream_tbENKUlT_T0_E_clISt17integral_constantIbLb1EESX_EEDaSS_ST_EUlSS_E_NS1_11comp_targetILNS1_3genE3ELNS1_11target_archE908ELNS1_3gpuE7ELNS1_3repE0EEENS1_30default_config_static_selectorELNS0_4arch9wavefront6targetE1EEEvT1_,comdat
	.protected	_ZN7rocprim17ROCPRIM_400000_NS6detail17trampoline_kernelINS0_14default_configENS1_20scan_config_selectorIdEEZZNS1_9scan_implILNS1_25lookback_scan_determinismE0ELb0ELb0ES3_N6thrust23THRUST_200600_302600_NS6detail15normal_iteratorINS9_10device_ptrIdEEEENS9_16discard_iteratorINS9_11use_defaultEEEdNS9_4plusIvEEdEEDaPvRmT3_T4_T5_mT6_P12ihipStream_tbENKUlT_T0_E_clISt17integral_constantIbLb1EESX_EEDaSS_ST_EUlSS_E_NS1_11comp_targetILNS1_3genE3ELNS1_11target_archE908ELNS1_3gpuE7ELNS1_3repE0EEENS1_30default_config_static_selectorELNS0_4arch9wavefront6targetE1EEEvT1_ ; -- Begin function _ZN7rocprim17ROCPRIM_400000_NS6detail17trampoline_kernelINS0_14default_configENS1_20scan_config_selectorIdEEZZNS1_9scan_implILNS1_25lookback_scan_determinismE0ELb0ELb0ES3_N6thrust23THRUST_200600_302600_NS6detail15normal_iteratorINS9_10device_ptrIdEEEENS9_16discard_iteratorINS9_11use_defaultEEEdNS9_4plusIvEEdEEDaPvRmT3_T4_T5_mT6_P12ihipStream_tbENKUlT_T0_E_clISt17integral_constantIbLb1EESX_EEDaSS_ST_EUlSS_E_NS1_11comp_targetILNS1_3genE3ELNS1_11target_archE908ELNS1_3gpuE7ELNS1_3repE0EEENS1_30default_config_static_selectorELNS0_4arch9wavefront6targetE1EEEvT1_
	.globl	_ZN7rocprim17ROCPRIM_400000_NS6detail17trampoline_kernelINS0_14default_configENS1_20scan_config_selectorIdEEZZNS1_9scan_implILNS1_25lookback_scan_determinismE0ELb0ELb0ES3_N6thrust23THRUST_200600_302600_NS6detail15normal_iteratorINS9_10device_ptrIdEEEENS9_16discard_iteratorINS9_11use_defaultEEEdNS9_4plusIvEEdEEDaPvRmT3_T4_T5_mT6_P12ihipStream_tbENKUlT_T0_E_clISt17integral_constantIbLb1EESX_EEDaSS_ST_EUlSS_E_NS1_11comp_targetILNS1_3genE3ELNS1_11target_archE908ELNS1_3gpuE7ELNS1_3repE0EEENS1_30default_config_static_selectorELNS0_4arch9wavefront6targetE1EEEvT1_
	.p2align	8
	.type	_ZN7rocprim17ROCPRIM_400000_NS6detail17trampoline_kernelINS0_14default_configENS1_20scan_config_selectorIdEEZZNS1_9scan_implILNS1_25lookback_scan_determinismE0ELb0ELb0ES3_N6thrust23THRUST_200600_302600_NS6detail15normal_iteratorINS9_10device_ptrIdEEEENS9_16discard_iteratorINS9_11use_defaultEEEdNS9_4plusIvEEdEEDaPvRmT3_T4_T5_mT6_P12ihipStream_tbENKUlT_T0_E_clISt17integral_constantIbLb1EESX_EEDaSS_ST_EUlSS_E_NS1_11comp_targetILNS1_3genE3ELNS1_11target_archE908ELNS1_3gpuE7ELNS1_3repE0EEENS1_30default_config_static_selectorELNS0_4arch9wavefront6targetE1EEEvT1_,@function
_ZN7rocprim17ROCPRIM_400000_NS6detail17trampoline_kernelINS0_14default_configENS1_20scan_config_selectorIdEEZZNS1_9scan_implILNS1_25lookback_scan_determinismE0ELb0ELb0ES3_N6thrust23THRUST_200600_302600_NS6detail15normal_iteratorINS9_10device_ptrIdEEEENS9_16discard_iteratorINS9_11use_defaultEEEdNS9_4plusIvEEdEEDaPvRmT3_T4_T5_mT6_P12ihipStream_tbENKUlT_T0_E_clISt17integral_constantIbLb1EESX_EEDaSS_ST_EUlSS_E_NS1_11comp_targetILNS1_3genE3ELNS1_11target_archE908ELNS1_3gpuE7ELNS1_3repE0EEENS1_30default_config_static_selectorELNS0_4arch9wavefront6targetE1EEEvT1_: ; @_ZN7rocprim17ROCPRIM_400000_NS6detail17trampoline_kernelINS0_14default_configENS1_20scan_config_selectorIdEEZZNS1_9scan_implILNS1_25lookback_scan_determinismE0ELb0ELb0ES3_N6thrust23THRUST_200600_302600_NS6detail15normal_iteratorINS9_10device_ptrIdEEEENS9_16discard_iteratorINS9_11use_defaultEEEdNS9_4plusIvEEdEEDaPvRmT3_T4_T5_mT6_P12ihipStream_tbENKUlT_T0_E_clISt17integral_constantIbLb1EESX_EEDaSS_ST_EUlSS_E_NS1_11comp_targetILNS1_3genE3ELNS1_11target_archE908ELNS1_3gpuE7ELNS1_3repE0EEENS1_30default_config_static_selectorELNS0_4arch9wavefront6targetE1EEEvT1_
; %bb.0:
	.section	.rodata,"a",@progbits
	.p2align	6, 0x0
	.amdhsa_kernel _ZN7rocprim17ROCPRIM_400000_NS6detail17trampoline_kernelINS0_14default_configENS1_20scan_config_selectorIdEEZZNS1_9scan_implILNS1_25lookback_scan_determinismE0ELb0ELb0ES3_N6thrust23THRUST_200600_302600_NS6detail15normal_iteratorINS9_10device_ptrIdEEEENS9_16discard_iteratorINS9_11use_defaultEEEdNS9_4plusIvEEdEEDaPvRmT3_T4_T5_mT6_P12ihipStream_tbENKUlT_T0_E_clISt17integral_constantIbLb1EESX_EEDaSS_ST_EUlSS_E_NS1_11comp_targetILNS1_3genE3ELNS1_11target_archE908ELNS1_3gpuE7ELNS1_3repE0EEENS1_30default_config_static_selectorELNS0_4arch9wavefront6targetE1EEEvT1_
		.amdhsa_group_segment_fixed_size 0
		.amdhsa_private_segment_fixed_size 0
		.amdhsa_kernarg_size 112
		.amdhsa_user_sgpr_count 6
		.amdhsa_user_sgpr_private_segment_buffer 1
		.amdhsa_user_sgpr_dispatch_ptr 0
		.amdhsa_user_sgpr_queue_ptr 0
		.amdhsa_user_sgpr_kernarg_segment_ptr 1
		.amdhsa_user_sgpr_dispatch_id 0
		.amdhsa_user_sgpr_flat_scratch_init 0
		.amdhsa_user_sgpr_kernarg_preload_length 0
		.amdhsa_user_sgpr_kernarg_preload_offset 0
		.amdhsa_user_sgpr_private_segment_size 0
		.amdhsa_uses_dynamic_stack 0
		.amdhsa_system_sgpr_private_segment_wavefront_offset 0
		.amdhsa_system_sgpr_workgroup_id_x 1
		.amdhsa_system_sgpr_workgroup_id_y 0
		.amdhsa_system_sgpr_workgroup_id_z 0
		.amdhsa_system_sgpr_workgroup_info 0
		.amdhsa_system_vgpr_workitem_id 0
		.amdhsa_next_free_vgpr 1
		.amdhsa_next_free_sgpr 0
		.amdhsa_accum_offset 4
		.amdhsa_reserve_vcc 0
		.amdhsa_reserve_flat_scratch 0
		.amdhsa_float_round_mode_32 0
		.amdhsa_float_round_mode_16_64 0
		.amdhsa_float_denorm_mode_32 3
		.amdhsa_float_denorm_mode_16_64 3
		.amdhsa_dx10_clamp 1
		.amdhsa_ieee_mode 1
		.amdhsa_fp16_overflow 0
		.amdhsa_tg_split 0
		.amdhsa_exception_fp_ieee_invalid_op 0
		.amdhsa_exception_fp_denorm_src 0
		.amdhsa_exception_fp_ieee_div_zero 0
		.amdhsa_exception_fp_ieee_overflow 0
		.amdhsa_exception_fp_ieee_underflow 0
		.amdhsa_exception_fp_ieee_inexact 0
		.amdhsa_exception_int_div_zero 0
	.end_amdhsa_kernel
	.section	.text._ZN7rocprim17ROCPRIM_400000_NS6detail17trampoline_kernelINS0_14default_configENS1_20scan_config_selectorIdEEZZNS1_9scan_implILNS1_25lookback_scan_determinismE0ELb0ELb0ES3_N6thrust23THRUST_200600_302600_NS6detail15normal_iteratorINS9_10device_ptrIdEEEENS9_16discard_iteratorINS9_11use_defaultEEEdNS9_4plusIvEEdEEDaPvRmT3_T4_T5_mT6_P12ihipStream_tbENKUlT_T0_E_clISt17integral_constantIbLb1EESX_EEDaSS_ST_EUlSS_E_NS1_11comp_targetILNS1_3genE3ELNS1_11target_archE908ELNS1_3gpuE7ELNS1_3repE0EEENS1_30default_config_static_selectorELNS0_4arch9wavefront6targetE1EEEvT1_,"axG",@progbits,_ZN7rocprim17ROCPRIM_400000_NS6detail17trampoline_kernelINS0_14default_configENS1_20scan_config_selectorIdEEZZNS1_9scan_implILNS1_25lookback_scan_determinismE0ELb0ELb0ES3_N6thrust23THRUST_200600_302600_NS6detail15normal_iteratorINS9_10device_ptrIdEEEENS9_16discard_iteratorINS9_11use_defaultEEEdNS9_4plusIvEEdEEDaPvRmT3_T4_T5_mT6_P12ihipStream_tbENKUlT_T0_E_clISt17integral_constantIbLb1EESX_EEDaSS_ST_EUlSS_E_NS1_11comp_targetILNS1_3genE3ELNS1_11target_archE908ELNS1_3gpuE7ELNS1_3repE0EEENS1_30default_config_static_selectorELNS0_4arch9wavefront6targetE1EEEvT1_,comdat
.Lfunc_end4883:
	.size	_ZN7rocprim17ROCPRIM_400000_NS6detail17trampoline_kernelINS0_14default_configENS1_20scan_config_selectorIdEEZZNS1_9scan_implILNS1_25lookback_scan_determinismE0ELb0ELb0ES3_N6thrust23THRUST_200600_302600_NS6detail15normal_iteratorINS9_10device_ptrIdEEEENS9_16discard_iteratorINS9_11use_defaultEEEdNS9_4plusIvEEdEEDaPvRmT3_T4_T5_mT6_P12ihipStream_tbENKUlT_T0_E_clISt17integral_constantIbLb1EESX_EEDaSS_ST_EUlSS_E_NS1_11comp_targetILNS1_3genE3ELNS1_11target_archE908ELNS1_3gpuE7ELNS1_3repE0EEENS1_30default_config_static_selectorELNS0_4arch9wavefront6targetE1EEEvT1_, .Lfunc_end4883-_ZN7rocprim17ROCPRIM_400000_NS6detail17trampoline_kernelINS0_14default_configENS1_20scan_config_selectorIdEEZZNS1_9scan_implILNS1_25lookback_scan_determinismE0ELb0ELb0ES3_N6thrust23THRUST_200600_302600_NS6detail15normal_iteratorINS9_10device_ptrIdEEEENS9_16discard_iteratorINS9_11use_defaultEEEdNS9_4plusIvEEdEEDaPvRmT3_T4_T5_mT6_P12ihipStream_tbENKUlT_T0_E_clISt17integral_constantIbLb1EESX_EEDaSS_ST_EUlSS_E_NS1_11comp_targetILNS1_3genE3ELNS1_11target_archE908ELNS1_3gpuE7ELNS1_3repE0EEENS1_30default_config_static_selectorELNS0_4arch9wavefront6targetE1EEEvT1_
                                        ; -- End function
	.section	.AMDGPU.csdata,"",@progbits
; Kernel info:
; codeLenInByte = 0
; NumSgprs: 4
; NumVgprs: 0
; NumAgprs: 0
; TotalNumVgprs: 0
; ScratchSize: 0
; MemoryBound: 0
; FloatMode: 240
; IeeeMode: 1
; LDSByteSize: 0 bytes/workgroup (compile time only)
; SGPRBlocks: 0
; VGPRBlocks: 0
; NumSGPRsForWavesPerEU: 4
; NumVGPRsForWavesPerEU: 1
; AccumOffset: 4
; Occupancy: 8
; WaveLimiterHint : 0
; COMPUTE_PGM_RSRC2:SCRATCH_EN: 0
; COMPUTE_PGM_RSRC2:USER_SGPR: 6
; COMPUTE_PGM_RSRC2:TRAP_HANDLER: 0
; COMPUTE_PGM_RSRC2:TGID_X_EN: 1
; COMPUTE_PGM_RSRC2:TGID_Y_EN: 0
; COMPUTE_PGM_RSRC2:TGID_Z_EN: 0
; COMPUTE_PGM_RSRC2:TIDIG_COMP_CNT: 0
; COMPUTE_PGM_RSRC3_GFX90A:ACCUM_OFFSET: 0
; COMPUTE_PGM_RSRC3_GFX90A:TG_SPLIT: 0
	.section	.text._ZN7rocprim17ROCPRIM_400000_NS6detail17trampoline_kernelINS0_14default_configENS1_20scan_config_selectorIdEEZZNS1_9scan_implILNS1_25lookback_scan_determinismE0ELb0ELb0ES3_N6thrust23THRUST_200600_302600_NS6detail15normal_iteratorINS9_10device_ptrIdEEEENS9_16discard_iteratorINS9_11use_defaultEEEdNS9_4plusIvEEdEEDaPvRmT3_T4_T5_mT6_P12ihipStream_tbENKUlT_T0_E_clISt17integral_constantIbLb1EESX_EEDaSS_ST_EUlSS_E_NS1_11comp_targetILNS1_3genE2ELNS1_11target_archE906ELNS1_3gpuE6ELNS1_3repE0EEENS1_30default_config_static_selectorELNS0_4arch9wavefront6targetE1EEEvT1_,"axG",@progbits,_ZN7rocprim17ROCPRIM_400000_NS6detail17trampoline_kernelINS0_14default_configENS1_20scan_config_selectorIdEEZZNS1_9scan_implILNS1_25lookback_scan_determinismE0ELb0ELb0ES3_N6thrust23THRUST_200600_302600_NS6detail15normal_iteratorINS9_10device_ptrIdEEEENS9_16discard_iteratorINS9_11use_defaultEEEdNS9_4plusIvEEdEEDaPvRmT3_T4_T5_mT6_P12ihipStream_tbENKUlT_T0_E_clISt17integral_constantIbLb1EESX_EEDaSS_ST_EUlSS_E_NS1_11comp_targetILNS1_3genE2ELNS1_11target_archE906ELNS1_3gpuE6ELNS1_3repE0EEENS1_30default_config_static_selectorELNS0_4arch9wavefront6targetE1EEEvT1_,comdat
	.protected	_ZN7rocprim17ROCPRIM_400000_NS6detail17trampoline_kernelINS0_14default_configENS1_20scan_config_selectorIdEEZZNS1_9scan_implILNS1_25lookback_scan_determinismE0ELb0ELb0ES3_N6thrust23THRUST_200600_302600_NS6detail15normal_iteratorINS9_10device_ptrIdEEEENS9_16discard_iteratorINS9_11use_defaultEEEdNS9_4plusIvEEdEEDaPvRmT3_T4_T5_mT6_P12ihipStream_tbENKUlT_T0_E_clISt17integral_constantIbLb1EESX_EEDaSS_ST_EUlSS_E_NS1_11comp_targetILNS1_3genE2ELNS1_11target_archE906ELNS1_3gpuE6ELNS1_3repE0EEENS1_30default_config_static_selectorELNS0_4arch9wavefront6targetE1EEEvT1_ ; -- Begin function _ZN7rocprim17ROCPRIM_400000_NS6detail17trampoline_kernelINS0_14default_configENS1_20scan_config_selectorIdEEZZNS1_9scan_implILNS1_25lookback_scan_determinismE0ELb0ELb0ES3_N6thrust23THRUST_200600_302600_NS6detail15normal_iteratorINS9_10device_ptrIdEEEENS9_16discard_iteratorINS9_11use_defaultEEEdNS9_4plusIvEEdEEDaPvRmT3_T4_T5_mT6_P12ihipStream_tbENKUlT_T0_E_clISt17integral_constantIbLb1EESX_EEDaSS_ST_EUlSS_E_NS1_11comp_targetILNS1_3genE2ELNS1_11target_archE906ELNS1_3gpuE6ELNS1_3repE0EEENS1_30default_config_static_selectorELNS0_4arch9wavefront6targetE1EEEvT1_
	.globl	_ZN7rocprim17ROCPRIM_400000_NS6detail17trampoline_kernelINS0_14default_configENS1_20scan_config_selectorIdEEZZNS1_9scan_implILNS1_25lookback_scan_determinismE0ELb0ELb0ES3_N6thrust23THRUST_200600_302600_NS6detail15normal_iteratorINS9_10device_ptrIdEEEENS9_16discard_iteratorINS9_11use_defaultEEEdNS9_4plusIvEEdEEDaPvRmT3_T4_T5_mT6_P12ihipStream_tbENKUlT_T0_E_clISt17integral_constantIbLb1EESX_EEDaSS_ST_EUlSS_E_NS1_11comp_targetILNS1_3genE2ELNS1_11target_archE906ELNS1_3gpuE6ELNS1_3repE0EEENS1_30default_config_static_selectorELNS0_4arch9wavefront6targetE1EEEvT1_
	.p2align	8
	.type	_ZN7rocprim17ROCPRIM_400000_NS6detail17trampoline_kernelINS0_14default_configENS1_20scan_config_selectorIdEEZZNS1_9scan_implILNS1_25lookback_scan_determinismE0ELb0ELb0ES3_N6thrust23THRUST_200600_302600_NS6detail15normal_iteratorINS9_10device_ptrIdEEEENS9_16discard_iteratorINS9_11use_defaultEEEdNS9_4plusIvEEdEEDaPvRmT3_T4_T5_mT6_P12ihipStream_tbENKUlT_T0_E_clISt17integral_constantIbLb1EESX_EEDaSS_ST_EUlSS_E_NS1_11comp_targetILNS1_3genE2ELNS1_11target_archE906ELNS1_3gpuE6ELNS1_3repE0EEENS1_30default_config_static_selectorELNS0_4arch9wavefront6targetE1EEEvT1_,@function
_ZN7rocprim17ROCPRIM_400000_NS6detail17trampoline_kernelINS0_14default_configENS1_20scan_config_selectorIdEEZZNS1_9scan_implILNS1_25lookback_scan_determinismE0ELb0ELb0ES3_N6thrust23THRUST_200600_302600_NS6detail15normal_iteratorINS9_10device_ptrIdEEEENS9_16discard_iteratorINS9_11use_defaultEEEdNS9_4plusIvEEdEEDaPvRmT3_T4_T5_mT6_P12ihipStream_tbENKUlT_T0_E_clISt17integral_constantIbLb1EESX_EEDaSS_ST_EUlSS_E_NS1_11comp_targetILNS1_3genE2ELNS1_11target_archE906ELNS1_3gpuE6ELNS1_3repE0EEENS1_30default_config_static_selectorELNS0_4arch9wavefront6targetE1EEEvT1_: ; @_ZN7rocprim17ROCPRIM_400000_NS6detail17trampoline_kernelINS0_14default_configENS1_20scan_config_selectorIdEEZZNS1_9scan_implILNS1_25lookback_scan_determinismE0ELb0ELb0ES3_N6thrust23THRUST_200600_302600_NS6detail15normal_iteratorINS9_10device_ptrIdEEEENS9_16discard_iteratorINS9_11use_defaultEEEdNS9_4plusIvEEdEEDaPvRmT3_T4_T5_mT6_P12ihipStream_tbENKUlT_T0_E_clISt17integral_constantIbLb1EESX_EEDaSS_ST_EUlSS_E_NS1_11comp_targetILNS1_3genE2ELNS1_11target_archE906ELNS1_3gpuE6ELNS1_3repE0EEENS1_30default_config_static_selectorELNS0_4arch9wavefront6targetE1EEEvT1_
; %bb.0:
	.section	.rodata,"a",@progbits
	.p2align	6, 0x0
	.amdhsa_kernel _ZN7rocprim17ROCPRIM_400000_NS6detail17trampoline_kernelINS0_14default_configENS1_20scan_config_selectorIdEEZZNS1_9scan_implILNS1_25lookback_scan_determinismE0ELb0ELb0ES3_N6thrust23THRUST_200600_302600_NS6detail15normal_iteratorINS9_10device_ptrIdEEEENS9_16discard_iteratorINS9_11use_defaultEEEdNS9_4plusIvEEdEEDaPvRmT3_T4_T5_mT6_P12ihipStream_tbENKUlT_T0_E_clISt17integral_constantIbLb1EESX_EEDaSS_ST_EUlSS_E_NS1_11comp_targetILNS1_3genE2ELNS1_11target_archE906ELNS1_3gpuE6ELNS1_3repE0EEENS1_30default_config_static_selectorELNS0_4arch9wavefront6targetE1EEEvT1_
		.amdhsa_group_segment_fixed_size 0
		.amdhsa_private_segment_fixed_size 0
		.amdhsa_kernarg_size 112
		.amdhsa_user_sgpr_count 6
		.amdhsa_user_sgpr_private_segment_buffer 1
		.amdhsa_user_sgpr_dispatch_ptr 0
		.amdhsa_user_sgpr_queue_ptr 0
		.amdhsa_user_sgpr_kernarg_segment_ptr 1
		.amdhsa_user_sgpr_dispatch_id 0
		.amdhsa_user_sgpr_flat_scratch_init 0
		.amdhsa_user_sgpr_kernarg_preload_length 0
		.amdhsa_user_sgpr_kernarg_preload_offset 0
		.amdhsa_user_sgpr_private_segment_size 0
		.amdhsa_uses_dynamic_stack 0
		.amdhsa_system_sgpr_private_segment_wavefront_offset 0
		.amdhsa_system_sgpr_workgroup_id_x 1
		.amdhsa_system_sgpr_workgroup_id_y 0
		.amdhsa_system_sgpr_workgroup_id_z 0
		.amdhsa_system_sgpr_workgroup_info 0
		.amdhsa_system_vgpr_workitem_id 0
		.amdhsa_next_free_vgpr 1
		.amdhsa_next_free_sgpr 0
		.amdhsa_accum_offset 4
		.amdhsa_reserve_vcc 0
		.amdhsa_reserve_flat_scratch 0
		.amdhsa_float_round_mode_32 0
		.amdhsa_float_round_mode_16_64 0
		.amdhsa_float_denorm_mode_32 3
		.amdhsa_float_denorm_mode_16_64 3
		.amdhsa_dx10_clamp 1
		.amdhsa_ieee_mode 1
		.amdhsa_fp16_overflow 0
		.amdhsa_tg_split 0
		.amdhsa_exception_fp_ieee_invalid_op 0
		.amdhsa_exception_fp_denorm_src 0
		.amdhsa_exception_fp_ieee_div_zero 0
		.amdhsa_exception_fp_ieee_overflow 0
		.amdhsa_exception_fp_ieee_underflow 0
		.amdhsa_exception_fp_ieee_inexact 0
		.amdhsa_exception_int_div_zero 0
	.end_amdhsa_kernel
	.section	.text._ZN7rocprim17ROCPRIM_400000_NS6detail17trampoline_kernelINS0_14default_configENS1_20scan_config_selectorIdEEZZNS1_9scan_implILNS1_25lookback_scan_determinismE0ELb0ELb0ES3_N6thrust23THRUST_200600_302600_NS6detail15normal_iteratorINS9_10device_ptrIdEEEENS9_16discard_iteratorINS9_11use_defaultEEEdNS9_4plusIvEEdEEDaPvRmT3_T4_T5_mT6_P12ihipStream_tbENKUlT_T0_E_clISt17integral_constantIbLb1EESX_EEDaSS_ST_EUlSS_E_NS1_11comp_targetILNS1_3genE2ELNS1_11target_archE906ELNS1_3gpuE6ELNS1_3repE0EEENS1_30default_config_static_selectorELNS0_4arch9wavefront6targetE1EEEvT1_,"axG",@progbits,_ZN7rocprim17ROCPRIM_400000_NS6detail17trampoline_kernelINS0_14default_configENS1_20scan_config_selectorIdEEZZNS1_9scan_implILNS1_25lookback_scan_determinismE0ELb0ELb0ES3_N6thrust23THRUST_200600_302600_NS6detail15normal_iteratorINS9_10device_ptrIdEEEENS9_16discard_iteratorINS9_11use_defaultEEEdNS9_4plusIvEEdEEDaPvRmT3_T4_T5_mT6_P12ihipStream_tbENKUlT_T0_E_clISt17integral_constantIbLb1EESX_EEDaSS_ST_EUlSS_E_NS1_11comp_targetILNS1_3genE2ELNS1_11target_archE906ELNS1_3gpuE6ELNS1_3repE0EEENS1_30default_config_static_selectorELNS0_4arch9wavefront6targetE1EEEvT1_,comdat
.Lfunc_end4884:
	.size	_ZN7rocprim17ROCPRIM_400000_NS6detail17trampoline_kernelINS0_14default_configENS1_20scan_config_selectorIdEEZZNS1_9scan_implILNS1_25lookback_scan_determinismE0ELb0ELb0ES3_N6thrust23THRUST_200600_302600_NS6detail15normal_iteratorINS9_10device_ptrIdEEEENS9_16discard_iteratorINS9_11use_defaultEEEdNS9_4plusIvEEdEEDaPvRmT3_T4_T5_mT6_P12ihipStream_tbENKUlT_T0_E_clISt17integral_constantIbLb1EESX_EEDaSS_ST_EUlSS_E_NS1_11comp_targetILNS1_3genE2ELNS1_11target_archE906ELNS1_3gpuE6ELNS1_3repE0EEENS1_30default_config_static_selectorELNS0_4arch9wavefront6targetE1EEEvT1_, .Lfunc_end4884-_ZN7rocprim17ROCPRIM_400000_NS6detail17trampoline_kernelINS0_14default_configENS1_20scan_config_selectorIdEEZZNS1_9scan_implILNS1_25lookback_scan_determinismE0ELb0ELb0ES3_N6thrust23THRUST_200600_302600_NS6detail15normal_iteratorINS9_10device_ptrIdEEEENS9_16discard_iteratorINS9_11use_defaultEEEdNS9_4plusIvEEdEEDaPvRmT3_T4_T5_mT6_P12ihipStream_tbENKUlT_T0_E_clISt17integral_constantIbLb1EESX_EEDaSS_ST_EUlSS_E_NS1_11comp_targetILNS1_3genE2ELNS1_11target_archE906ELNS1_3gpuE6ELNS1_3repE0EEENS1_30default_config_static_selectorELNS0_4arch9wavefront6targetE1EEEvT1_
                                        ; -- End function
	.section	.AMDGPU.csdata,"",@progbits
; Kernel info:
; codeLenInByte = 0
; NumSgprs: 4
; NumVgprs: 0
; NumAgprs: 0
; TotalNumVgprs: 0
; ScratchSize: 0
; MemoryBound: 0
; FloatMode: 240
; IeeeMode: 1
; LDSByteSize: 0 bytes/workgroup (compile time only)
; SGPRBlocks: 0
; VGPRBlocks: 0
; NumSGPRsForWavesPerEU: 4
; NumVGPRsForWavesPerEU: 1
; AccumOffset: 4
; Occupancy: 8
; WaveLimiterHint : 0
; COMPUTE_PGM_RSRC2:SCRATCH_EN: 0
; COMPUTE_PGM_RSRC2:USER_SGPR: 6
; COMPUTE_PGM_RSRC2:TRAP_HANDLER: 0
; COMPUTE_PGM_RSRC2:TGID_X_EN: 1
; COMPUTE_PGM_RSRC2:TGID_Y_EN: 0
; COMPUTE_PGM_RSRC2:TGID_Z_EN: 0
; COMPUTE_PGM_RSRC2:TIDIG_COMP_CNT: 0
; COMPUTE_PGM_RSRC3_GFX90A:ACCUM_OFFSET: 0
; COMPUTE_PGM_RSRC3_GFX90A:TG_SPLIT: 0
	.section	.text._ZN7rocprim17ROCPRIM_400000_NS6detail17trampoline_kernelINS0_14default_configENS1_20scan_config_selectorIdEEZZNS1_9scan_implILNS1_25lookback_scan_determinismE0ELb0ELb0ES3_N6thrust23THRUST_200600_302600_NS6detail15normal_iteratorINS9_10device_ptrIdEEEENS9_16discard_iteratorINS9_11use_defaultEEEdNS9_4plusIvEEdEEDaPvRmT3_T4_T5_mT6_P12ihipStream_tbENKUlT_T0_E_clISt17integral_constantIbLb1EESX_EEDaSS_ST_EUlSS_E_NS1_11comp_targetILNS1_3genE10ELNS1_11target_archE1201ELNS1_3gpuE5ELNS1_3repE0EEENS1_30default_config_static_selectorELNS0_4arch9wavefront6targetE1EEEvT1_,"axG",@progbits,_ZN7rocprim17ROCPRIM_400000_NS6detail17trampoline_kernelINS0_14default_configENS1_20scan_config_selectorIdEEZZNS1_9scan_implILNS1_25lookback_scan_determinismE0ELb0ELb0ES3_N6thrust23THRUST_200600_302600_NS6detail15normal_iteratorINS9_10device_ptrIdEEEENS9_16discard_iteratorINS9_11use_defaultEEEdNS9_4plusIvEEdEEDaPvRmT3_T4_T5_mT6_P12ihipStream_tbENKUlT_T0_E_clISt17integral_constantIbLb1EESX_EEDaSS_ST_EUlSS_E_NS1_11comp_targetILNS1_3genE10ELNS1_11target_archE1201ELNS1_3gpuE5ELNS1_3repE0EEENS1_30default_config_static_selectorELNS0_4arch9wavefront6targetE1EEEvT1_,comdat
	.protected	_ZN7rocprim17ROCPRIM_400000_NS6detail17trampoline_kernelINS0_14default_configENS1_20scan_config_selectorIdEEZZNS1_9scan_implILNS1_25lookback_scan_determinismE0ELb0ELb0ES3_N6thrust23THRUST_200600_302600_NS6detail15normal_iteratorINS9_10device_ptrIdEEEENS9_16discard_iteratorINS9_11use_defaultEEEdNS9_4plusIvEEdEEDaPvRmT3_T4_T5_mT6_P12ihipStream_tbENKUlT_T0_E_clISt17integral_constantIbLb1EESX_EEDaSS_ST_EUlSS_E_NS1_11comp_targetILNS1_3genE10ELNS1_11target_archE1201ELNS1_3gpuE5ELNS1_3repE0EEENS1_30default_config_static_selectorELNS0_4arch9wavefront6targetE1EEEvT1_ ; -- Begin function _ZN7rocprim17ROCPRIM_400000_NS6detail17trampoline_kernelINS0_14default_configENS1_20scan_config_selectorIdEEZZNS1_9scan_implILNS1_25lookback_scan_determinismE0ELb0ELb0ES3_N6thrust23THRUST_200600_302600_NS6detail15normal_iteratorINS9_10device_ptrIdEEEENS9_16discard_iteratorINS9_11use_defaultEEEdNS9_4plusIvEEdEEDaPvRmT3_T4_T5_mT6_P12ihipStream_tbENKUlT_T0_E_clISt17integral_constantIbLb1EESX_EEDaSS_ST_EUlSS_E_NS1_11comp_targetILNS1_3genE10ELNS1_11target_archE1201ELNS1_3gpuE5ELNS1_3repE0EEENS1_30default_config_static_selectorELNS0_4arch9wavefront6targetE1EEEvT1_
	.globl	_ZN7rocprim17ROCPRIM_400000_NS6detail17trampoline_kernelINS0_14default_configENS1_20scan_config_selectorIdEEZZNS1_9scan_implILNS1_25lookback_scan_determinismE0ELb0ELb0ES3_N6thrust23THRUST_200600_302600_NS6detail15normal_iteratorINS9_10device_ptrIdEEEENS9_16discard_iteratorINS9_11use_defaultEEEdNS9_4plusIvEEdEEDaPvRmT3_T4_T5_mT6_P12ihipStream_tbENKUlT_T0_E_clISt17integral_constantIbLb1EESX_EEDaSS_ST_EUlSS_E_NS1_11comp_targetILNS1_3genE10ELNS1_11target_archE1201ELNS1_3gpuE5ELNS1_3repE0EEENS1_30default_config_static_selectorELNS0_4arch9wavefront6targetE1EEEvT1_
	.p2align	8
	.type	_ZN7rocprim17ROCPRIM_400000_NS6detail17trampoline_kernelINS0_14default_configENS1_20scan_config_selectorIdEEZZNS1_9scan_implILNS1_25lookback_scan_determinismE0ELb0ELb0ES3_N6thrust23THRUST_200600_302600_NS6detail15normal_iteratorINS9_10device_ptrIdEEEENS9_16discard_iteratorINS9_11use_defaultEEEdNS9_4plusIvEEdEEDaPvRmT3_T4_T5_mT6_P12ihipStream_tbENKUlT_T0_E_clISt17integral_constantIbLb1EESX_EEDaSS_ST_EUlSS_E_NS1_11comp_targetILNS1_3genE10ELNS1_11target_archE1201ELNS1_3gpuE5ELNS1_3repE0EEENS1_30default_config_static_selectorELNS0_4arch9wavefront6targetE1EEEvT1_,@function
_ZN7rocprim17ROCPRIM_400000_NS6detail17trampoline_kernelINS0_14default_configENS1_20scan_config_selectorIdEEZZNS1_9scan_implILNS1_25lookback_scan_determinismE0ELb0ELb0ES3_N6thrust23THRUST_200600_302600_NS6detail15normal_iteratorINS9_10device_ptrIdEEEENS9_16discard_iteratorINS9_11use_defaultEEEdNS9_4plusIvEEdEEDaPvRmT3_T4_T5_mT6_P12ihipStream_tbENKUlT_T0_E_clISt17integral_constantIbLb1EESX_EEDaSS_ST_EUlSS_E_NS1_11comp_targetILNS1_3genE10ELNS1_11target_archE1201ELNS1_3gpuE5ELNS1_3repE0EEENS1_30default_config_static_selectorELNS0_4arch9wavefront6targetE1EEEvT1_: ; @_ZN7rocprim17ROCPRIM_400000_NS6detail17trampoline_kernelINS0_14default_configENS1_20scan_config_selectorIdEEZZNS1_9scan_implILNS1_25lookback_scan_determinismE0ELb0ELb0ES3_N6thrust23THRUST_200600_302600_NS6detail15normal_iteratorINS9_10device_ptrIdEEEENS9_16discard_iteratorINS9_11use_defaultEEEdNS9_4plusIvEEdEEDaPvRmT3_T4_T5_mT6_P12ihipStream_tbENKUlT_T0_E_clISt17integral_constantIbLb1EESX_EEDaSS_ST_EUlSS_E_NS1_11comp_targetILNS1_3genE10ELNS1_11target_archE1201ELNS1_3gpuE5ELNS1_3repE0EEENS1_30default_config_static_selectorELNS0_4arch9wavefront6targetE1EEEvT1_
; %bb.0:
	.section	.rodata,"a",@progbits
	.p2align	6, 0x0
	.amdhsa_kernel _ZN7rocprim17ROCPRIM_400000_NS6detail17trampoline_kernelINS0_14default_configENS1_20scan_config_selectorIdEEZZNS1_9scan_implILNS1_25lookback_scan_determinismE0ELb0ELb0ES3_N6thrust23THRUST_200600_302600_NS6detail15normal_iteratorINS9_10device_ptrIdEEEENS9_16discard_iteratorINS9_11use_defaultEEEdNS9_4plusIvEEdEEDaPvRmT3_T4_T5_mT6_P12ihipStream_tbENKUlT_T0_E_clISt17integral_constantIbLb1EESX_EEDaSS_ST_EUlSS_E_NS1_11comp_targetILNS1_3genE10ELNS1_11target_archE1201ELNS1_3gpuE5ELNS1_3repE0EEENS1_30default_config_static_selectorELNS0_4arch9wavefront6targetE1EEEvT1_
		.amdhsa_group_segment_fixed_size 0
		.amdhsa_private_segment_fixed_size 0
		.amdhsa_kernarg_size 112
		.amdhsa_user_sgpr_count 6
		.amdhsa_user_sgpr_private_segment_buffer 1
		.amdhsa_user_sgpr_dispatch_ptr 0
		.amdhsa_user_sgpr_queue_ptr 0
		.amdhsa_user_sgpr_kernarg_segment_ptr 1
		.amdhsa_user_sgpr_dispatch_id 0
		.amdhsa_user_sgpr_flat_scratch_init 0
		.amdhsa_user_sgpr_kernarg_preload_length 0
		.amdhsa_user_sgpr_kernarg_preload_offset 0
		.amdhsa_user_sgpr_private_segment_size 0
		.amdhsa_uses_dynamic_stack 0
		.amdhsa_system_sgpr_private_segment_wavefront_offset 0
		.amdhsa_system_sgpr_workgroup_id_x 1
		.amdhsa_system_sgpr_workgroup_id_y 0
		.amdhsa_system_sgpr_workgroup_id_z 0
		.amdhsa_system_sgpr_workgroup_info 0
		.amdhsa_system_vgpr_workitem_id 0
		.amdhsa_next_free_vgpr 1
		.amdhsa_next_free_sgpr 0
		.amdhsa_accum_offset 4
		.amdhsa_reserve_vcc 0
		.amdhsa_reserve_flat_scratch 0
		.amdhsa_float_round_mode_32 0
		.amdhsa_float_round_mode_16_64 0
		.amdhsa_float_denorm_mode_32 3
		.amdhsa_float_denorm_mode_16_64 3
		.amdhsa_dx10_clamp 1
		.amdhsa_ieee_mode 1
		.amdhsa_fp16_overflow 0
		.amdhsa_tg_split 0
		.amdhsa_exception_fp_ieee_invalid_op 0
		.amdhsa_exception_fp_denorm_src 0
		.amdhsa_exception_fp_ieee_div_zero 0
		.amdhsa_exception_fp_ieee_overflow 0
		.amdhsa_exception_fp_ieee_underflow 0
		.amdhsa_exception_fp_ieee_inexact 0
		.amdhsa_exception_int_div_zero 0
	.end_amdhsa_kernel
	.section	.text._ZN7rocprim17ROCPRIM_400000_NS6detail17trampoline_kernelINS0_14default_configENS1_20scan_config_selectorIdEEZZNS1_9scan_implILNS1_25lookback_scan_determinismE0ELb0ELb0ES3_N6thrust23THRUST_200600_302600_NS6detail15normal_iteratorINS9_10device_ptrIdEEEENS9_16discard_iteratorINS9_11use_defaultEEEdNS9_4plusIvEEdEEDaPvRmT3_T4_T5_mT6_P12ihipStream_tbENKUlT_T0_E_clISt17integral_constantIbLb1EESX_EEDaSS_ST_EUlSS_E_NS1_11comp_targetILNS1_3genE10ELNS1_11target_archE1201ELNS1_3gpuE5ELNS1_3repE0EEENS1_30default_config_static_selectorELNS0_4arch9wavefront6targetE1EEEvT1_,"axG",@progbits,_ZN7rocprim17ROCPRIM_400000_NS6detail17trampoline_kernelINS0_14default_configENS1_20scan_config_selectorIdEEZZNS1_9scan_implILNS1_25lookback_scan_determinismE0ELb0ELb0ES3_N6thrust23THRUST_200600_302600_NS6detail15normal_iteratorINS9_10device_ptrIdEEEENS9_16discard_iteratorINS9_11use_defaultEEEdNS9_4plusIvEEdEEDaPvRmT3_T4_T5_mT6_P12ihipStream_tbENKUlT_T0_E_clISt17integral_constantIbLb1EESX_EEDaSS_ST_EUlSS_E_NS1_11comp_targetILNS1_3genE10ELNS1_11target_archE1201ELNS1_3gpuE5ELNS1_3repE0EEENS1_30default_config_static_selectorELNS0_4arch9wavefront6targetE1EEEvT1_,comdat
.Lfunc_end4885:
	.size	_ZN7rocprim17ROCPRIM_400000_NS6detail17trampoline_kernelINS0_14default_configENS1_20scan_config_selectorIdEEZZNS1_9scan_implILNS1_25lookback_scan_determinismE0ELb0ELb0ES3_N6thrust23THRUST_200600_302600_NS6detail15normal_iteratorINS9_10device_ptrIdEEEENS9_16discard_iteratorINS9_11use_defaultEEEdNS9_4plusIvEEdEEDaPvRmT3_T4_T5_mT6_P12ihipStream_tbENKUlT_T0_E_clISt17integral_constantIbLb1EESX_EEDaSS_ST_EUlSS_E_NS1_11comp_targetILNS1_3genE10ELNS1_11target_archE1201ELNS1_3gpuE5ELNS1_3repE0EEENS1_30default_config_static_selectorELNS0_4arch9wavefront6targetE1EEEvT1_, .Lfunc_end4885-_ZN7rocprim17ROCPRIM_400000_NS6detail17trampoline_kernelINS0_14default_configENS1_20scan_config_selectorIdEEZZNS1_9scan_implILNS1_25lookback_scan_determinismE0ELb0ELb0ES3_N6thrust23THRUST_200600_302600_NS6detail15normal_iteratorINS9_10device_ptrIdEEEENS9_16discard_iteratorINS9_11use_defaultEEEdNS9_4plusIvEEdEEDaPvRmT3_T4_T5_mT6_P12ihipStream_tbENKUlT_T0_E_clISt17integral_constantIbLb1EESX_EEDaSS_ST_EUlSS_E_NS1_11comp_targetILNS1_3genE10ELNS1_11target_archE1201ELNS1_3gpuE5ELNS1_3repE0EEENS1_30default_config_static_selectorELNS0_4arch9wavefront6targetE1EEEvT1_
                                        ; -- End function
	.section	.AMDGPU.csdata,"",@progbits
; Kernel info:
; codeLenInByte = 0
; NumSgprs: 4
; NumVgprs: 0
; NumAgprs: 0
; TotalNumVgprs: 0
; ScratchSize: 0
; MemoryBound: 0
; FloatMode: 240
; IeeeMode: 1
; LDSByteSize: 0 bytes/workgroup (compile time only)
; SGPRBlocks: 0
; VGPRBlocks: 0
; NumSGPRsForWavesPerEU: 4
; NumVGPRsForWavesPerEU: 1
; AccumOffset: 4
; Occupancy: 8
; WaveLimiterHint : 0
; COMPUTE_PGM_RSRC2:SCRATCH_EN: 0
; COMPUTE_PGM_RSRC2:USER_SGPR: 6
; COMPUTE_PGM_RSRC2:TRAP_HANDLER: 0
; COMPUTE_PGM_RSRC2:TGID_X_EN: 1
; COMPUTE_PGM_RSRC2:TGID_Y_EN: 0
; COMPUTE_PGM_RSRC2:TGID_Z_EN: 0
; COMPUTE_PGM_RSRC2:TIDIG_COMP_CNT: 0
; COMPUTE_PGM_RSRC3_GFX90A:ACCUM_OFFSET: 0
; COMPUTE_PGM_RSRC3_GFX90A:TG_SPLIT: 0
	.section	.text._ZN7rocprim17ROCPRIM_400000_NS6detail17trampoline_kernelINS0_14default_configENS1_20scan_config_selectorIdEEZZNS1_9scan_implILNS1_25lookback_scan_determinismE0ELb0ELb0ES3_N6thrust23THRUST_200600_302600_NS6detail15normal_iteratorINS9_10device_ptrIdEEEENS9_16discard_iteratorINS9_11use_defaultEEEdNS9_4plusIvEEdEEDaPvRmT3_T4_T5_mT6_P12ihipStream_tbENKUlT_T0_E_clISt17integral_constantIbLb1EESX_EEDaSS_ST_EUlSS_E_NS1_11comp_targetILNS1_3genE10ELNS1_11target_archE1200ELNS1_3gpuE4ELNS1_3repE0EEENS1_30default_config_static_selectorELNS0_4arch9wavefront6targetE1EEEvT1_,"axG",@progbits,_ZN7rocprim17ROCPRIM_400000_NS6detail17trampoline_kernelINS0_14default_configENS1_20scan_config_selectorIdEEZZNS1_9scan_implILNS1_25lookback_scan_determinismE0ELb0ELb0ES3_N6thrust23THRUST_200600_302600_NS6detail15normal_iteratorINS9_10device_ptrIdEEEENS9_16discard_iteratorINS9_11use_defaultEEEdNS9_4plusIvEEdEEDaPvRmT3_T4_T5_mT6_P12ihipStream_tbENKUlT_T0_E_clISt17integral_constantIbLb1EESX_EEDaSS_ST_EUlSS_E_NS1_11comp_targetILNS1_3genE10ELNS1_11target_archE1200ELNS1_3gpuE4ELNS1_3repE0EEENS1_30default_config_static_selectorELNS0_4arch9wavefront6targetE1EEEvT1_,comdat
	.protected	_ZN7rocprim17ROCPRIM_400000_NS6detail17trampoline_kernelINS0_14default_configENS1_20scan_config_selectorIdEEZZNS1_9scan_implILNS1_25lookback_scan_determinismE0ELb0ELb0ES3_N6thrust23THRUST_200600_302600_NS6detail15normal_iteratorINS9_10device_ptrIdEEEENS9_16discard_iteratorINS9_11use_defaultEEEdNS9_4plusIvEEdEEDaPvRmT3_T4_T5_mT6_P12ihipStream_tbENKUlT_T0_E_clISt17integral_constantIbLb1EESX_EEDaSS_ST_EUlSS_E_NS1_11comp_targetILNS1_3genE10ELNS1_11target_archE1200ELNS1_3gpuE4ELNS1_3repE0EEENS1_30default_config_static_selectorELNS0_4arch9wavefront6targetE1EEEvT1_ ; -- Begin function _ZN7rocprim17ROCPRIM_400000_NS6detail17trampoline_kernelINS0_14default_configENS1_20scan_config_selectorIdEEZZNS1_9scan_implILNS1_25lookback_scan_determinismE0ELb0ELb0ES3_N6thrust23THRUST_200600_302600_NS6detail15normal_iteratorINS9_10device_ptrIdEEEENS9_16discard_iteratorINS9_11use_defaultEEEdNS9_4plusIvEEdEEDaPvRmT3_T4_T5_mT6_P12ihipStream_tbENKUlT_T0_E_clISt17integral_constantIbLb1EESX_EEDaSS_ST_EUlSS_E_NS1_11comp_targetILNS1_3genE10ELNS1_11target_archE1200ELNS1_3gpuE4ELNS1_3repE0EEENS1_30default_config_static_selectorELNS0_4arch9wavefront6targetE1EEEvT1_
	.globl	_ZN7rocprim17ROCPRIM_400000_NS6detail17trampoline_kernelINS0_14default_configENS1_20scan_config_selectorIdEEZZNS1_9scan_implILNS1_25lookback_scan_determinismE0ELb0ELb0ES3_N6thrust23THRUST_200600_302600_NS6detail15normal_iteratorINS9_10device_ptrIdEEEENS9_16discard_iteratorINS9_11use_defaultEEEdNS9_4plusIvEEdEEDaPvRmT3_T4_T5_mT6_P12ihipStream_tbENKUlT_T0_E_clISt17integral_constantIbLb1EESX_EEDaSS_ST_EUlSS_E_NS1_11comp_targetILNS1_3genE10ELNS1_11target_archE1200ELNS1_3gpuE4ELNS1_3repE0EEENS1_30default_config_static_selectorELNS0_4arch9wavefront6targetE1EEEvT1_
	.p2align	8
	.type	_ZN7rocprim17ROCPRIM_400000_NS6detail17trampoline_kernelINS0_14default_configENS1_20scan_config_selectorIdEEZZNS1_9scan_implILNS1_25lookback_scan_determinismE0ELb0ELb0ES3_N6thrust23THRUST_200600_302600_NS6detail15normal_iteratorINS9_10device_ptrIdEEEENS9_16discard_iteratorINS9_11use_defaultEEEdNS9_4plusIvEEdEEDaPvRmT3_T4_T5_mT6_P12ihipStream_tbENKUlT_T0_E_clISt17integral_constantIbLb1EESX_EEDaSS_ST_EUlSS_E_NS1_11comp_targetILNS1_3genE10ELNS1_11target_archE1200ELNS1_3gpuE4ELNS1_3repE0EEENS1_30default_config_static_selectorELNS0_4arch9wavefront6targetE1EEEvT1_,@function
_ZN7rocprim17ROCPRIM_400000_NS6detail17trampoline_kernelINS0_14default_configENS1_20scan_config_selectorIdEEZZNS1_9scan_implILNS1_25lookback_scan_determinismE0ELb0ELb0ES3_N6thrust23THRUST_200600_302600_NS6detail15normal_iteratorINS9_10device_ptrIdEEEENS9_16discard_iteratorINS9_11use_defaultEEEdNS9_4plusIvEEdEEDaPvRmT3_T4_T5_mT6_P12ihipStream_tbENKUlT_T0_E_clISt17integral_constantIbLb1EESX_EEDaSS_ST_EUlSS_E_NS1_11comp_targetILNS1_3genE10ELNS1_11target_archE1200ELNS1_3gpuE4ELNS1_3repE0EEENS1_30default_config_static_selectorELNS0_4arch9wavefront6targetE1EEEvT1_: ; @_ZN7rocprim17ROCPRIM_400000_NS6detail17trampoline_kernelINS0_14default_configENS1_20scan_config_selectorIdEEZZNS1_9scan_implILNS1_25lookback_scan_determinismE0ELb0ELb0ES3_N6thrust23THRUST_200600_302600_NS6detail15normal_iteratorINS9_10device_ptrIdEEEENS9_16discard_iteratorINS9_11use_defaultEEEdNS9_4plusIvEEdEEDaPvRmT3_T4_T5_mT6_P12ihipStream_tbENKUlT_T0_E_clISt17integral_constantIbLb1EESX_EEDaSS_ST_EUlSS_E_NS1_11comp_targetILNS1_3genE10ELNS1_11target_archE1200ELNS1_3gpuE4ELNS1_3repE0EEENS1_30default_config_static_selectorELNS0_4arch9wavefront6targetE1EEEvT1_
; %bb.0:
	.section	.rodata,"a",@progbits
	.p2align	6, 0x0
	.amdhsa_kernel _ZN7rocprim17ROCPRIM_400000_NS6detail17trampoline_kernelINS0_14default_configENS1_20scan_config_selectorIdEEZZNS1_9scan_implILNS1_25lookback_scan_determinismE0ELb0ELb0ES3_N6thrust23THRUST_200600_302600_NS6detail15normal_iteratorINS9_10device_ptrIdEEEENS9_16discard_iteratorINS9_11use_defaultEEEdNS9_4plusIvEEdEEDaPvRmT3_T4_T5_mT6_P12ihipStream_tbENKUlT_T0_E_clISt17integral_constantIbLb1EESX_EEDaSS_ST_EUlSS_E_NS1_11comp_targetILNS1_3genE10ELNS1_11target_archE1200ELNS1_3gpuE4ELNS1_3repE0EEENS1_30default_config_static_selectorELNS0_4arch9wavefront6targetE1EEEvT1_
		.amdhsa_group_segment_fixed_size 0
		.amdhsa_private_segment_fixed_size 0
		.amdhsa_kernarg_size 112
		.amdhsa_user_sgpr_count 6
		.amdhsa_user_sgpr_private_segment_buffer 1
		.amdhsa_user_sgpr_dispatch_ptr 0
		.amdhsa_user_sgpr_queue_ptr 0
		.amdhsa_user_sgpr_kernarg_segment_ptr 1
		.amdhsa_user_sgpr_dispatch_id 0
		.amdhsa_user_sgpr_flat_scratch_init 0
		.amdhsa_user_sgpr_kernarg_preload_length 0
		.amdhsa_user_sgpr_kernarg_preload_offset 0
		.amdhsa_user_sgpr_private_segment_size 0
		.amdhsa_uses_dynamic_stack 0
		.amdhsa_system_sgpr_private_segment_wavefront_offset 0
		.amdhsa_system_sgpr_workgroup_id_x 1
		.amdhsa_system_sgpr_workgroup_id_y 0
		.amdhsa_system_sgpr_workgroup_id_z 0
		.amdhsa_system_sgpr_workgroup_info 0
		.amdhsa_system_vgpr_workitem_id 0
		.amdhsa_next_free_vgpr 1
		.amdhsa_next_free_sgpr 0
		.amdhsa_accum_offset 4
		.amdhsa_reserve_vcc 0
		.amdhsa_reserve_flat_scratch 0
		.amdhsa_float_round_mode_32 0
		.amdhsa_float_round_mode_16_64 0
		.amdhsa_float_denorm_mode_32 3
		.amdhsa_float_denorm_mode_16_64 3
		.amdhsa_dx10_clamp 1
		.amdhsa_ieee_mode 1
		.amdhsa_fp16_overflow 0
		.amdhsa_tg_split 0
		.amdhsa_exception_fp_ieee_invalid_op 0
		.amdhsa_exception_fp_denorm_src 0
		.amdhsa_exception_fp_ieee_div_zero 0
		.amdhsa_exception_fp_ieee_overflow 0
		.amdhsa_exception_fp_ieee_underflow 0
		.amdhsa_exception_fp_ieee_inexact 0
		.amdhsa_exception_int_div_zero 0
	.end_amdhsa_kernel
	.section	.text._ZN7rocprim17ROCPRIM_400000_NS6detail17trampoline_kernelINS0_14default_configENS1_20scan_config_selectorIdEEZZNS1_9scan_implILNS1_25lookback_scan_determinismE0ELb0ELb0ES3_N6thrust23THRUST_200600_302600_NS6detail15normal_iteratorINS9_10device_ptrIdEEEENS9_16discard_iteratorINS9_11use_defaultEEEdNS9_4plusIvEEdEEDaPvRmT3_T4_T5_mT6_P12ihipStream_tbENKUlT_T0_E_clISt17integral_constantIbLb1EESX_EEDaSS_ST_EUlSS_E_NS1_11comp_targetILNS1_3genE10ELNS1_11target_archE1200ELNS1_3gpuE4ELNS1_3repE0EEENS1_30default_config_static_selectorELNS0_4arch9wavefront6targetE1EEEvT1_,"axG",@progbits,_ZN7rocprim17ROCPRIM_400000_NS6detail17trampoline_kernelINS0_14default_configENS1_20scan_config_selectorIdEEZZNS1_9scan_implILNS1_25lookback_scan_determinismE0ELb0ELb0ES3_N6thrust23THRUST_200600_302600_NS6detail15normal_iteratorINS9_10device_ptrIdEEEENS9_16discard_iteratorINS9_11use_defaultEEEdNS9_4plusIvEEdEEDaPvRmT3_T4_T5_mT6_P12ihipStream_tbENKUlT_T0_E_clISt17integral_constantIbLb1EESX_EEDaSS_ST_EUlSS_E_NS1_11comp_targetILNS1_3genE10ELNS1_11target_archE1200ELNS1_3gpuE4ELNS1_3repE0EEENS1_30default_config_static_selectorELNS0_4arch9wavefront6targetE1EEEvT1_,comdat
.Lfunc_end4886:
	.size	_ZN7rocprim17ROCPRIM_400000_NS6detail17trampoline_kernelINS0_14default_configENS1_20scan_config_selectorIdEEZZNS1_9scan_implILNS1_25lookback_scan_determinismE0ELb0ELb0ES3_N6thrust23THRUST_200600_302600_NS6detail15normal_iteratorINS9_10device_ptrIdEEEENS9_16discard_iteratorINS9_11use_defaultEEEdNS9_4plusIvEEdEEDaPvRmT3_T4_T5_mT6_P12ihipStream_tbENKUlT_T0_E_clISt17integral_constantIbLb1EESX_EEDaSS_ST_EUlSS_E_NS1_11comp_targetILNS1_3genE10ELNS1_11target_archE1200ELNS1_3gpuE4ELNS1_3repE0EEENS1_30default_config_static_selectorELNS0_4arch9wavefront6targetE1EEEvT1_, .Lfunc_end4886-_ZN7rocprim17ROCPRIM_400000_NS6detail17trampoline_kernelINS0_14default_configENS1_20scan_config_selectorIdEEZZNS1_9scan_implILNS1_25lookback_scan_determinismE0ELb0ELb0ES3_N6thrust23THRUST_200600_302600_NS6detail15normal_iteratorINS9_10device_ptrIdEEEENS9_16discard_iteratorINS9_11use_defaultEEEdNS9_4plusIvEEdEEDaPvRmT3_T4_T5_mT6_P12ihipStream_tbENKUlT_T0_E_clISt17integral_constantIbLb1EESX_EEDaSS_ST_EUlSS_E_NS1_11comp_targetILNS1_3genE10ELNS1_11target_archE1200ELNS1_3gpuE4ELNS1_3repE0EEENS1_30default_config_static_selectorELNS0_4arch9wavefront6targetE1EEEvT1_
                                        ; -- End function
	.section	.AMDGPU.csdata,"",@progbits
; Kernel info:
; codeLenInByte = 0
; NumSgprs: 4
; NumVgprs: 0
; NumAgprs: 0
; TotalNumVgprs: 0
; ScratchSize: 0
; MemoryBound: 0
; FloatMode: 240
; IeeeMode: 1
; LDSByteSize: 0 bytes/workgroup (compile time only)
; SGPRBlocks: 0
; VGPRBlocks: 0
; NumSGPRsForWavesPerEU: 4
; NumVGPRsForWavesPerEU: 1
; AccumOffset: 4
; Occupancy: 8
; WaveLimiterHint : 0
; COMPUTE_PGM_RSRC2:SCRATCH_EN: 0
; COMPUTE_PGM_RSRC2:USER_SGPR: 6
; COMPUTE_PGM_RSRC2:TRAP_HANDLER: 0
; COMPUTE_PGM_RSRC2:TGID_X_EN: 1
; COMPUTE_PGM_RSRC2:TGID_Y_EN: 0
; COMPUTE_PGM_RSRC2:TGID_Z_EN: 0
; COMPUTE_PGM_RSRC2:TIDIG_COMP_CNT: 0
; COMPUTE_PGM_RSRC3_GFX90A:ACCUM_OFFSET: 0
; COMPUTE_PGM_RSRC3_GFX90A:TG_SPLIT: 0
	.section	.text._ZN7rocprim17ROCPRIM_400000_NS6detail17trampoline_kernelINS0_14default_configENS1_20scan_config_selectorIdEEZZNS1_9scan_implILNS1_25lookback_scan_determinismE0ELb0ELb0ES3_N6thrust23THRUST_200600_302600_NS6detail15normal_iteratorINS9_10device_ptrIdEEEENS9_16discard_iteratorINS9_11use_defaultEEEdNS9_4plusIvEEdEEDaPvRmT3_T4_T5_mT6_P12ihipStream_tbENKUlT_T0_E_clISt17integral_constantIbLb1EESX_EEDaSS_ST_EUlSS_E_NS1_11comp_targetILNS1_3genE9ELNS1_11target_archE1100ELNS1_3gpuE3ELNS1_3repE0EEENS1_30default_config_static_selectorELNS0_4arch9wavefront6targetE1EEEvT1_,"axG",@progbits,_ZN7rocprim17ROCPRIM_400000_NS6detail17trampoline_kernelINS0_14default_configENS1_20scan_config_selectorIdEEZZNS1_9scan_implILNS1_25lookback_scan_determinismE0ELb0ELb0ES3_N6thrust23THRUST_200600_302600_NS6detail15normal_iteratorINS9_10device_ptrIdEEEENS9_16discard_iteratorINS9_11use_defaultEEEdNS9_4plusIvEEdEEDaPvRmT3_T4_T5_mT6_P12ihipStream_tbENKUlT_T0_E_clISt17integral_constantIbLb1EESX_EEDaSS_ST_EUlSS_E_NS1_11comp_targetILNS1_3genE9ELNS1_11target_archE1100ELNS1_3gpuE3ELNS1_3repE0EEENS1_30default_config_static_selectorELNS0_4arch9wavefront6targetE1EEEvT1_,comdat
	.protected	_ZN7rocprim17ROCPRIM_400000_NS6detail17trampoline_kernelINS0_14default_configENS1_20scan_config_selectorIdEEZZNS1_9scan_implILNS1_25lookback_scan_determinismE0ELb0ELb0ES3_N6thrust23THRUST_200600_302600_NS6detail15normal_iteratorINS9_10device_ptrIdEEEENS9_16discard_iteratorINS9_11use_defaultEEEdNS9_4plusIvEEdEEDaPvRmT3_T4_T5_mT6_P12ihipStream_tbENKUlT_T0_E_clISt17integral_constantIbLb1EESX_EEDaSS_ST_EUlSS_E_NS1_11comp_targetILNS1_3genE9ELNS1_11target_archE1100ELNS1_3gpuE3ELNS1_3repE0EEENS1_30default_config_static_selectorELNS0_4arch9wavefront6targetE1EEEvT1_ ; -- Begin function _ZN7rocprim17ROCPRIM_400000_NS6detail17trampoline_kernelINS0_14default_configENS1_20scan_config_selectorIdEEZZNS1_9scan_implILNS1_25lookback_scan_determinismE0ELb0ELb0ES3_N6thrust23THRUST_200600_302600_NS6detail15normal_iteratorINS9_10device_ptrIdEEEENS9_16discard_iteratorINS9_11use_defaultEEEdNS9_4plusIvEEdEEDaPvRmT3_T4_T5_mT6_P12ihipStream_tbENKUlT_T0_E_clISt17integral_constantIbLb1EESX_EEDaSS_ST_EUlSS_E_NS1_11comp_targetILNS1_3genE9ELNS1_11target_archE1100ELNS1_3gpuE3ELNS1_3repE0EEENS1_30default_config_static_selectorELNS0_4arch9wavefront6targetE1EEEvT1_
	.globl	_ZN7rocprim17ROCPRIM_400000_NS6detail17trampoline_kernelINS0_14default_configENS1_20scan_config_selectorIdEEZZNS1_9scan_implILNS1_25lookback_scan_determinismE0ELb0ELb0ES3_N6thrust23THRUST_200600_302600_NS6detail15normal_iteratorINS9_10device_ptrIdEEEENS9_16discard_iteratorINS9_11use_defaultEEEdNS9_4plusIvEEdEEDaPvRmT3_T4_T5_mT6_P12ihipStream_tbENKUlT_T0_E_clISt17integral_constantIbLb1EESX_EEDaSS_ST_EUlSS_E_NS1_11comp_targetILNS1_3genE9ELNS1_11target_archE1100ELNS1_3gpuE3ELNS1_3repE0EEENS1_30default_config_static_selectorELNS0_4arch9wavefront6targetE1EEEvT1_
	.p2align	8
	.type	_ZN7rocprim17ROCPRIM_400000_NS6detail17trampoline_kernelINS0_14default_configENS1_20scan_config_selectorIdEEZZNS1_9scan_implILNS1_25lookback_scan_determinismE0ELb0ELb0ES3_N6thrust23THRUST_200600_302600_NS6detail15normal_iteratorINS9_10device_ptrIdEEEENS9_16discard_iteratorINS9_11use_defaultEEEdNS9_4plusIvEEdEEDaPvRmT3_T4_T5_mT6_P12ihipStream_tbENKUlT_T0_E_clISt17integral_constantIbLb1EESX_EEDaSS_ST_EUlSS_E_NS1_11comp_targetILNS1_3genE9ELNS1_11target_archE1100ELNS1_3gpuE3ELNS1_3repE0EEENS1_30default_config_static_selectorELNS0_4arch9wavefront6targetE1EEEvT1_,@function
_ZN7rocprim17ROCPRIM_400000_NS6detail17trampoline_kernelINS0_14default_configENS1_20scan_config_selectorIdEEZZNS1_9scan_implILNS1_25lookback_scan_determinismE0ELb0ELb0ES3_N6thrust23THRUST_200600_302600_NS6detail15normal_iteratorINS9_10device_ptrIdEEEENS9_16discard_iteratorINS9_11use_defaultEEEdNS9_4plusIvEEdEEDaPvRmT3_T4_T5_mT6_P12ihipStream_tbENKUlT_T0_E_clISt17integral_constantIbLb1EESX_EEDaSS_ST_EUlSS_E_NS1_11comp_targetILNS1_3genE9ELNS1_11target_archE1100ELNS1_3gpuE3ELNS1_3repE0EEENS1_30default_config_static_selectorELNS0_4arch9wavefront6targetE1EEEvT1_: ; @_ZN7rocprim17ROCPRIM_400000_NS6detail17trampoline_kernelINS0_14default_configENS1_20scan_config_selectorIdEEZZNS1_9scan_implILNS1_25lookback_scan_determinismE0ELb0ELb0ES3_N6thrust23THRUST_200600_302600_NS6detail15normal_iteratorINS9_10device_ptrIdEEEENS9_16discard_iteratorINS9_11use_defaultEEEdNS9_4plusIvEEdEEDaPvRmT3_T4_T5_mT6_P12ihipStream_tbENKUlT_T0_E_clISt17integral_constantIbLb1EESX_EEDaSS_ST_EUlSS_E_NS1_11comp_targetILNS1_3genE9ELNS1_11target_archE1100ELNS1_3gpuE3ELNS1_3repE0EEENS1_30default_config_static_selectorELNS0_4arch9wavefront6targetE1EEEvT1_
; %bb.0:
	.section	.rodata,"a",@progbits
	.p2align	6, 0x0
	.amdhsa_kernel _ZN7rocprim17ROCPRIM_400000_NS6detail17trampoline_kernelINS0_14default_configENS1_20scan_config_selectorIdEEZZNS1_9scan_implILNS1_25lookback_scan_determinismE0ELb0ELb0ES3_N6thrust23THRUST_200600_302600_NS6detail15normal_iteratorINS9_10device_ptrIdEEEENS9_16discard_iteratorINS9_11use_defaultEEEdNS9_4plusIvEEdEEDaPvRmT3_T4_T5_mT6_P12ihipStream_tbENKUlT_T0_E_clISt17integral_constantIbLb1EESX_EEDaSS_ST_EUlSS_E_NS1_11comp_targetILNS1_3genE9ELNS1_11target_archE1100ELNS1_3gpuE3ELNS1_3repE0EEENS1_30default_config_static_selectorELNS0_4arch9wavefront6targetE1EEEvT1_
		.amdhsa_group_segment_fixed_size 0
		.amdhsa_private_segment_fixed_size 0
		.amdhsa_kernarg_size 112
		.amdhsa_user_sgpr_count 6
		.amdhsa_user_sgpr_private_segment_buffer 1
		.amdhsa_user_sgpr_dispatch_ptr 0
		.amdhsa_user_sgpr_queue_ptr 0
		.amdhsa_user_sgpr_kernarg_segment_ptr 1
		.amdhsa_user_sgpr_dispatch_id 0
		.amdhsa_user_sgpr_flat_scratch_init 0
		.amdhsa_user_sgpr_kernarg_preload_length 0
		.amdhsa_user_sgpr_kernarg_preload_offset 0
		.amdhsa_user_sgpr_private_segment_size 0
		.amdhsa_uses_dynamic_stack 0
		.amdhsa_system_sgpr_private_segment_wavefront_offset 0
		.amdhsa_system_sgpr_workgroup_id_x 1
		.amdhsa_system_sgpr_workgroup_id_y 0
		.amdhsa_system_sgpr_workgroup_id_z 0
		.amdhsa_system_sgpr_workgroup_info 0
		.amdhsa_system_vgpr_workitem_id 0
		.amdhsa_next_free_vgpr 1
		.amdhsa_next_free_sgpr 0
		.amdhsa_accum_offset 4
		.amdhsa_reserve_vcc 0
		.amdhsa_reserve_flat_scratch 0
		.amdhsa_float_round_mode_32 0
		.amdhsa_float_round_mode_16_64 0
		.amdhsa_float_denorm_mode_32 3
		.amdhsa_float_denorm_mode_16_64 3
		.amdhsa_dx10_clamp 1
		.amdhsa_ieee_mode 1
		.amdhsa_fp16_overflow 0
		.amdhsa_tg_split 0
		.amdhsa_exception_fp_ieee_invalid_op 0
		.amdhsa_exception_fp_denorm_src 0
		.amdhsa_exception_fp_ieee_div_zero 0
		.amdhsa_exception_fp_ieee_overflow 0
		.amdhsa_exception_fp_ieee_underflow 0
		.amdhsa_exception_fp_ieee_inexact 0
		.amdhsa_exception_int_div_zero 0
	.end_amdhsa_kernel
	.section	.text._ZN7rocprim17ROCPRIM_400000_NS6detail17trampoline_kernelINS0_14default_configENS1_20scan_config_selectorIdEEZZNS1_9scan_implILNS1_25lookback_scan_determinismE0ELb0ELb0ES3_N6thrust23THRUST_200600_302600_NS6detail15normal_iteratorINS9_10device_ptrIdEEEENS9_16discard_iteratorINS9_11use_defaultEEEdNS9_4plusIvEEdEEDaPvRmT3_T4_T5_mT6_P12ihipStream_tbENKUlT_T0_E_clISt17integral_constantIbLb1EESX_EEDaSS_ST_EUlSS_E_NS1_11comp_targetILNS1_3genE9ELNS1_11target_archE1100ELNS1_3gpuE3ELNS1_3repE0EEENS1_30default_config_static_selectorELNS0_4arch9wavefront6targetE1EEEvT1_,"axG",@progbits,_ZN7rocprim17ROCPRIM_400000_NS6detail17trampoline_kernelINS0_14default_configENS1_20scan_config_selectorIdEEZZNS1_9scan_implILNS1_25lookback_scan_determinismE0ELb0ELb0ES3_N6thrust23THRUST_200600_302600_NS6detail15normal_iteratorINS9_10device_ptrIdEEEENS9_16discard_iteratorINS9_11use_defaultEEEdNS9_4plusIvEEdEEDaPvRmT3_T4_T5_mT6_P12ihipStream_tbENKUlT_T0_E_clISt17integral_constantIbLb1EESX_EEDaSS_ST_EUlSS_E_NS1_11comp_targetILNS1_3genE9ELNS1_11target_archE1100ELNS1_3gpuE3ELNS1_3repE0EEENS1_30default_config_static_selectorELNS0_4arch9wavefront6targetE1EEEvT1_,comdat
.Lfunc_end4887:
	.size	_ZN7rocprim17ROCPRIM_400000_NS6detail17trampoline_kernelINS0_14default_configENS1_20scan_config_selectorIdEEZZNS1_9scan_implILNS1_25lookback_scan_determinismE0ELb0ELb0ES3_N6thrust23THRUST_200600_302600_NS6detail15normal_iteratorINS9_10device_ptrIdEEEENS9_16discard_iteratorINS9_11use_defaultEEEdNS9_4plusIvEEdEEDaPvRmT3_T4_T5_mT6_P12ihipStream_tbENKUlT_T0_E_clISt17integral_constantIbLb1EESX_EEDaSS_ST_EUlSS_E_NS1_11comp_targetILNS1_3genE9ELNS1_11target_archE1100ELNS1_3gpuE3ELNS1_3repE0EEENS1_30default_config_static_selectorELNS0_4arch9wavefront6targetE1EEEvT1_, .Lfunc_end4887-_ZN7rocprim17ROCPRIM_400000_NS6detail17trampoline_kernelINS0_14default_configENS1_20scan_config_selectorIdEEZZNS1_9scan_implILNS1_25lookback_scan_determinismE0ELb0ELb0ES3_N6thrust23THRUST_200600_302600_NS6detail15normal_iteratorINS9_10device_ptrIdEEEENS9_16discard_iteratorINS9_11use_defaultEEEdNS9_4plusIvEEdEEDaPvRmT3_T4_T5_mT6_P12ihipStream_tbENKUlT_T0_E_clISt17integral_constantIbLb1EESX_EEDaSS_ST_EUlSS_E_NS1_11comp_targetILNS1_3genE9ELNS1_11target_archE1100ELNS1_3gpuE3ELNS1_3repE0EEENS1_30default_config_static_selectorELNS0_4arch9wavefront6targetE1EEEvT1_
                                        ; -- End function
	.section	.AMDGPU.csdata,"",@progbits
; Kernel info:
; codeLenInByte = 0
; NumSgprs: 4
; NumVgprs: 0
; NumAgprs: 0
; TotalNumVgprs: 0
; ScratchSize: 0
; MemoryBound: 0
; FloatMode: 240
; IeeeMode: 1
; LDSByteSize: 0 bytes/workgroup (compile time only)
; SGPRBlocks: 0
; VGPRBlocks: 0
; NumSGPRsForWavesPerEU: 4
; NumVGPRsForWavesPerEU: 1
; AccumOffset: 4
; Occupancy: 8
; WaveLimiterHint : 0
; COMPUTE_PGM_RSRC2:SCRATCH_EN: 0
; COMPUTE_PGM_RSRC2:USER_SGPR: 6
; COMPUTE_PGM_RSRC2:TRAP_HANDLER: 0
; COMPUTE_PGM_RSRC2:TGID_X_EN: 1
; COMPUTE_PGM_RSRC2:TGID_Y_EN: 0
; COMPUTE_PGM_RSRC2:TGID_Z_EN: 0
; COMPUTE_PGM_RSRC2:TIDIG_COMP_CNT: 0
; COMPUTE_PGM_RSRC3_GFX90A:ACCUM_OFFSET: 0
; COMPUTE_PGM_RSRC3_GFX90A:TG_SPLIT: 0
	.section	.text._ZN7rocprim17ROCPRIM_400000_NS6detail17trampoline_kernelINS0_14default_configENS1_20scan_config_selectorIdEEZZNS1_9scan_implILNS1_25lookback_scan_determinismE0ELb0ELb0ES3_N6thrust23THRUST_200600_302600_NS6detail15normal_iteratorINS9_10device_ptrIdEEEENS9_16discard_iteratorINS9_11use_defaultEEEdNS9_4plusIvEEdEEDaPvRmT3_T4_T5_mT6_P12ihipStream_tbENKUlT_T0_E_clISt17integral_constantIbLb1EESX_EEDaSS_ST_EUlSS_E_NS1_11comp_targetILNS1_3genE8ELNS1_11target_archE1030ELNS1_3gpuE2ELNS1_3repE0EEENS1_30default_config_static_selectorELNS0_4arch9wavefront6targetE1EEEvT1_,"axG",@progbits,_ZN7rocprim17ROCPRIM_400000_NS6detail17trampoline_kernelINS0_14default_configENS1_20scan_config_selectorIdEEZZNS1_9scan_implILNS1_25lookback_scan_determinismE0ELb0ELb0ES3_N6thrust23THRUST_200600_302600_NS6detail15normal_iteratorINS9_10device_ptrIdEEEENS9_16discard_iteratorINS9_11use_defaultEEEdNS9_4plusIvEEdEEDaPvRmT3_T4_T5_mT6_P12ihipStream_tbENKUlT_T0_E_clISt17integral_constantIbLb1EESX_EEDaSS_ST_EUlSS_E_NS1_11comp_targetILNS1_3genE8ELNS1_11target_archE1030ELNS1_3gpuE2ELNS1_3repE0EEENS1_30default_config_static_selectorELNS0_4arch9wavefront6targetE1EEEvT1_,comdat
	.protected	_ZN7rocprim17ROCPRIM_400000_NS6detail17trampoline_kernelINS0_14default_configENS1_20scan_config_selectorIdEEZZNS1_9scan_implILNS1_25lookback_scan_determinismE0ELb0ELb0ES3_N6thrust23THRUST_200600_302600_NS6detail15normal_iteratorINS9_10device_ptrIdEEEENS9_16discard_iteratorINS9_11use_defaultEEEdNS9_4plusIvEEdEEDaPvRmT3_T4_T5_mT6_P12ihipStream_tbENKUlT_T0_E_clISt17integral_constantIbLb1EESX_EEDaSS_ST_EUlSS_E_NS1_11comp_targetILNS1_3genE8ELNS1_11target_archE1030ELNS1_3gpuE2ELNS1_3repE0EEENS1_30default_config_static_selectorELNS0_4arch9wavefront6targetE1EEEvT1_ ; -- Begin function _ZN7rocprim17ROCPRIM_400000_NS6detail17trampoline_kernelINS0_14default_configENS1_20scan_config_selectorIdEEZZNS1_9scan_implILNS1_25lookback_scan_determinismE0ELb0ELb0ES3_N6thrust23THRUST_200600_302600_NS6detail15normal_iteratorINS9_10device_ptrIdEEEENS9_16discard_iteratorINS9_11use_defaultEEEdNS9_4plusIvEEdEEDaPvRmT3_T4_T5_mT6_P12ihipStream_tbENKUlT_T0_E_clISt17integral_constantIbLb1EESX_EEDaSS_ST_EUlSS_E_NS1_11comp_targetILNS1_3genE8ELNS1_11target_archE1030ELNS1_3gpuE2ELNS1_3repE0EEENS1_30default_config_static_selectorELNS0_4arch9wavefront6targetE1EEEvT1_
	.globl	_ZN7rocprim17ROCPRIM_400000_NS6detail17trampoline_kernelINS0_14default_configENS1_20scan_config_selectorIdEEZZNS1_9scan_implILNS1_25lookback_scan_determinismE0ELb0ELb0ES3_N6thrust23THRUST_200600_302600_NS6detail15normal_iteratorINS9_10device_ptrIdEEEENS9_16discard_iteratorINS9_11use_defaultEEEdNS9_4plusIvEEdEEDaPvRmT3_T4_T5_mT6_P12ihipStream_tbENKUlT_T0_E_clISt17integral_constantIbLb1EESX_EEDaSS_ST_EUlSS_E_NS1_11comp_targetILNS1_3genE8ELNS1_11target_archE1030ELNS1_3gpuE2ELNS1_3repE0EEENS1_30default_config_static_selectorELNS0_4arch9wavefront6targetE1EEEvT1_
	.p2align	8
	.type	_ZN7rocprim17ROCPRIM_400000_NS6detail17trampoline_kernelINS0_14default_configENS1_20scan_config_selectorIdEEZZNS1_9scan_implILNS1_25lookback_scan_determinismE0ELb0ELb0ES3_N6thrust23THRUST_200600_302600_NS6detail15normal_iteratorINS9_10device_ptrIdEEEENS9_16discard_iteratorINS9_11use_defaultEEEdNS9_4plusIvEEdEEDaPvRmT3_T4_T5_mT6_P12ihipStream_tbENKUlT_T0_E_clISt17integral_constantIbLb1EESX_EEDaSS_ST_EUlSS_E_NS1_11comp_targetILNS1_3genE8ELNS1_11target_archE1030ELNS1_3gpuE2ELNS1_3repE0EEENS1_30default_config_static_selectorELNS0_4arch9wavefront6targetE1EEEvT1_,@function
_ZN7rocprim17ROCPRIM_400000_NS6detail17trampoline_kernelINS0_14default_configENS1_20scan_config_selectorIdEEZZNS1_9scan_implILNS1_25lookback_scan_determinismE0ELb0ELb0ES3_N6thrust23THRUST_200600_302600_NS6detail15normal_iteratorINS9_10device_ptrIdEEEENS9_16discard_iteratorINS9_11use_defaultEEEdNS9_4plusIvEEdEEDaPvRmT3_T4_T5_mT6_P12ihipStream_tbENKUlT_T0_E_clISt17integral_constantIbLb1EESX_EEDaSS_ST_EUlSS_E_NS1_11comp_targetILNS1_3genE8ELNS1_11target_archE1030ELNS1_3gpuE2ELNS1_3repE0EEENS1_30default_config_static_selectorELNS0_4arch9wavefront6targetE1EEEvT1_: ; @_ZN7rocprim17ROCPRIM_400000_NS6detail17trampoline_kernelINS0_14default_configENS1_20scan_config_selectorIdEEZZNS1_9scan_implILNS1_25lookback_scan_determinismE0ELb0ELb0ES3_N6thrust23THRUST_200600_302600_NS6detail15normal_iteratorINS9_10device_ptrIdEEEENS9_16discard_iteratorINS9_11use_defaultEEEdNS9_4plusIvEEdEEDaPvRmT3_T4_T5_mT6_P12ihipStream_tbENKUlT_T0_E_clISt17integral_constantIbLb1EESX_EEDaSS_ST_EUlSS_E_NS1_11comp_targetILNS1_3genE8ELNS1_11target_archE1030ELNS1_3gpuE2ELNS1_3repE0EEENS1_30default_config_static_selectorELNS0_4arch9wavefront6targetE1EEEvT1_
; %bb.0:
	.section	.rodata,"a",@progbits
	.p2align	6, 0x0
	.amdhsa_kernel _ZN7rocprim17ROCPRIM_400000_NS6detail17trampoline_kernelINS0_14default_configENS1_20scan_config_selectorIdEEZZNS1_9scan_implILNS1_25lookback_scan_determinismE0ELb0ELb0ES3_N6thrust23THRUST_200600_302600_NS6detail15normal_iteratorINS9_10device_ptrIdEEEENS9_16discard_iteratorINS9_11use_defaultEEEdNS9_4plusIvEEdEEDaPvRmT3_T4_T5_mT6_P12ihipStream_tbENKUlT_T0_E_clISt17integral_constantIbLb1EESX_EEDaSS_ST_EUlSS_E_NS1_11comp_targetILNS1_3genE8ELNS1_11target_archE1030ELNS1_3gpuE2ELNS1_3repE0EEENS1_30default_config_static_selectorELNS0_4arch9wavefront6targetE1EEEvT1_
		.amdhsa_group_segment_fixed_size 0
		.amdhsa_private_segment_fixed_size 0
		.amdhsa_kernarg_size 112
		.amdhsa_user_sgpr_count 6
		.amdhsa_user_sgpr_private_segment_buffer 1
		.amdhsa_user_sgpr_dispatch_ptr 0
		.amdhsa_user_sgpr_queue_ptr 0
		.amdhsa_user_sgpr_kernarg_segment_ptr 1
		.amdhsa_user_sgpr_dispatch_id 0
		.amdhsa_user_sgpr_flat_scratch_init 0
		.amdhsa_user_sgpr_kernarg_preload_length 0
		.amdhsa_user_sgpr_kernarg_preload_offset 0
		.amdhsa_user_sgpr_private_segment_size 0
		.amdhsa_uses_dynamic_stack 0
		.amdhsa_system_sgpr_private_segment_wavefront_offset 0
		.amdhsa_system_sgpr_workgroup_id_x 1
		.amdhsa_system_sgpr_workgroup_id_y 0
		.amdhsa_system_sgpr_workgroup_id_z 0
		.amdhsa_system_sgpr_workgroup_info 0
		.amdhsa_system_vgpr_workitem_id 0
		.amdhsa_next_free_vgpr 1
		.amdhsa_next_free_sgpr 0
		.amdhsa_accum_offset 4
		.amdhsa_reserve_vcc 0
		.amdhsa_reserve_flat_scratch 0
		.amdhsa_float_round_mode_32 0
		.amdhsa_float_round_mode_16_64 0
		.amdhsa_float_denorm_mode_32 3
		.amdhsa_float_denorm_mode_16_64 3
		.amdhsa_dx10_clamp 1
		.amdhsa_ieee_mode 1
		.amdhsa_fp16_overflow 0
		.amdhsa_tg_split 0
		.amdhsa_exception_fp_ieee_invalid_op 0
		.amdhsa_exception_fp_denorm_src 0
		.amdhsa_exception_fp_ieee_div_zero 0
		.amdhsa_exception_fp_ieee_overflow 0
		.amdhsa_exception_fp_ieee_underflow 0
		.amdhsa_exception_fp_ieee_inexact 0
		.amdhsa_exception_int_div_zero 0
	.end_amdhsa_kernel
	.section	.text._ZN7rocprim17ROCPRIM_400000_NS6detail17trampoline_kernelINS0_14default_configENS1_20scan_config_selectorIdEEZZNS1_9scan_implILNS1_25lookback_scan_determinismE0ELb0ELb0ES3_N6thrust23THRUST_200600_302600_NS6detail15normal_iteratorINS9_10device_ptrIdEEEENS9_16discard_iteratorINS9_11use_defaultEEEdNS9_4plusIvEEdEEDaPvRmT3_T4_T5_mT6_P12ihipStream_tbENKUlT_T0_E_clISt17integral_constantIbLb1EESX_EEDaSS_ST_EUlSS_E_NS1_11comp_targetILNS1_3genE8ELNS1_11target_archE1030ELNS1_3gpuE2ELNS1_3repE0EEENS1_30default_config_static_selectorELNS0_4arch9wavefront6targetE1EEEvT1_,"axG",@progbits,_ZN7rocprim17ROCPRIM_400000_NS6detail17trampoline_kernelINS0_14default_configENS1_20scan_config_selectorIdEEZZNS1_9scan_implILNS1_25lookback_scan_determinismE0ELb0ELb0ES3_N6thrust23THRUST_200600_302600_NS6detail15normal_iteratorINS9_10device_ptrIdEEEENS9_16discard_iteratorINS9_11use_defaultEEEdNS9_4plusIvEEdEEDaPvRmT3_T4_T5_mT6_P12ihipStream_tbENKUlT_T0_E_clISt17integral_constantIbLb1EESX_EEDaSS_ST_EUlSS_E_NS1_11comp_targetILNS1_3genE8ELNS1_11target_archE1030ELNS1_3gpuE2ELNS1_3repE0EEENS1_30default_config_static_selectorELNS0_4arch9wavefront6targetE1EEEvT1_,comdat
.Lfunc_end4888:
	.size	_ZN7rocprim17ROCPRIM_400000_NS6detail17trampoline_kernelINS0_14default_configENS1_20scan_config_selectorIdEEZZNS1_9scan_implILNS1_25lookback_scan_determinismE0ELb0ELb0ES3_N6thrust23THRUST_200600_302600_NS6detail15normal_iteratorINS9_10device_ptrIdEEEENS9_16discard_iteratorINS9_11use_defaultEEEdNS9_4plusIvEEdEEDaPvRmT3_T4_T5_mT6_P12ihipStream_tbENKUlT_T0_E_clISt17integral_constantIbLb1EESX_EEDaSS_ST_EUlSS_E_NS1_11comp_targetILNS1_3genE8ELNS1_11target_archE1030ELNS1_3gpuE2ELNS1_3repE0EEENS1_30default_config_static_selectorELNS0_4arch9wavefront6targetE1EEEvT1_, .Lfunc_end4888-_ZN7rocprim17ROCPRIM_400000_NS6detail17trampoline_kernelINS0_14default_configENS1_20scan_config_selectorIdEEZZNS1_9scan_implILNS1_25lookback_scan_determinismE0ELb0ELb0ES3_N6thrust23THRUST_200600_302600_NS6detail15normal_iteratorINS9_10device_ptrIdEEEENS9_16discard_iteratorINS9_11use_defaultEEEdNS9_4plusIvEEdEEDaPvRmT3_T4_T5_mT6_P12ihipStream_tbENKUlT_T0_E_clISt17integral_constantIbLb1EESX_EEDaSS_ST_EUlSS_E_NS1_11comp_targetILNS1_3genE8ELNS1_11target_archE1030ELNS1_3gpuE2ELNS1_3repE0EEENS1_30default_config_static_selectorELNS0_4arch9wavefront6targetE1EEEvT1_
                                        ; -- End function
	.section	.AMDGPU.csdata,"",@progbits
; Kernel info:
; codeLenInByte = 0
; NumSgprs: 4
; NumVgprs: 0
; NumAgprs: 0
; TotalNumVgprs: 0
; ScratchSize: 0
; MemoryBound: 0
; FloatMode: 240
; IeeeMode: 1
; LDSByteSize: 0 bytes/workgroup (compile time only)
; SGPRBlocks: 0
; VGPRBlocks: 0
; NumSGPRsForWavesPerEU: 4
; NumVGPRsForWavesPerEU: 1
; AccumOffset: 4
; Occupancy: 8
; WaveLimiterHint : 0
; COMPUTE_PGM_RSRC2:SCRATCH_EN: 0
; COMPUTE_PGM_RSRC2:USER_SGPR: 6
; COMPUTE_PGM_RSRC2:TRAP_HANDLER: 0
; COMPUTE_PGM_RSRC2:TGID_X_EN: 1
; COMPUTE_PGM_RSRC2:TGID_Y_EN: 0
; COMPUTE_PGM_RSRC2:TGID_Z_EN: 0
; COMPUTE_PGM_RSRC2:TIDIG_COMP_CNT: 0
; COMPUTE_PGM_RSRC3_GFX90A:ACCUM_OFFSET: 0
; COMPUTE_PGM_RSRC3_GFX90A:TG_SPLIT: 0
	.section	.text._ZN7rocprim17ROCPRIM_400000_NS6detail17trampoline_kernelINS0_14default_configENS1_20scan_config_selectorIdEEZZNS1_9scan_implILNS1_25lookback_scan_determinismE0ELb0ELb0ES3_N6thrust23THRUST_200600_302600_NS6detail15normal_iteratorINS9_10device_ptrIdEEEENS9_16discard_iteratorINS9_11use_defaultEEEdNS9_4plusIvEEdEEDaPvRmT3_T4_T5_mT6_P12ihipStream_tbENKUlT_T0_E_clISt17integral_constantIbLb1EESX_EEDaSS_ST_EUlSS_E0_NS1_11comp_targetILNS1_3genE0ELNS1_11target_archE4294967295ELNS1_3gpuE0ELNS1_3repE0EEENS1_30default_config_static_selectorELNS0_4arch9wavefront6targetE1EEEvT1_,"axG",@progbits,_ZN7rocprim17ROCPRIM_400000_NS6detail17trampoline_kernelINS0_14default_configENS1_20scan_config_selectorIdEEZZNS1_9scan_implILNS1_25lookback_scan_determinismE0ELb0ELb0ES3_N6thrust23THRUST_200600_302600_NS6detail15normal_iteratorINS9_10device_ptrIdEEEENS9_16discard_iteratorINS9_11use_defaultEEEdNS9_4plusIvEEdEEDaPvRmT3_T4_T5_mT6_P12ihipStream_tbENKUlT_T0_E_clISt17integral_constantIbLb1EESX_EEDaSS_ST_EUlSS_E0_NS1_11comp_targetILNS1_3genE0ELNS1_11target_archE4294967295ELNS1_3gpuE0ELNS1_3repE0EEENS1_30default_config_static_selectorELNS0_4arch9wavefront6targetE1EEEvT1_,comdat
	.protected	_ZN7rocprim17ROCPRIM_400000_NS6detail17trampoline_kernelINS0_14default_configENS1_20scan_config_selectorIdEEZZNS1_9scan_implILNS1_25lookback_scan_determinismE0ELb0ELb0ES3_N6thrust23THRUST_200600_302600_NS6detail15normal_iteratorINS9_10device_ptrIdEEEENS9_16discard_iteratorINS9_11use_defaultEEEdNS9_4plusIvEEdEEDaPvRmT3_T4_T5_mT6_P12ihipStream_tbENKUlT_T0_E_clISt17integral_constantIbLb1EESX_EEDaSS_ST_EUlSS_E0_NS1_11comp_targetILNS1_3genE0ELNS1_11target_archE4294967295ELNS1_3gpuE0ELNS1_3repE0EEENS1_30default_config_static_selectorELNS0_4arch9wavefront6targetE1EEEvT1_ ; -- Begin function _ZN7rocprim17ROCPRIM_400000_NS6detail17trampoline_kernelINS0_14default_configENS1_20scan_config_selectorIdEEZZNS1_9scan_implILNS1_25lookback_scan_determinismE0ELb0ELb0ES3_N6thrust23THRUST_200600_302600_NS6detail15normal_iteratorINS9_10device_ptrIdEEEENS9_16discard_iteratorINS9_11use_defaultEEEdNS9_4plusIvEEdEEDaPvRmT3_T4_T5_mT6_P12ihipStream_tbENKUlT_T0_E_clISt17integral_constantIbLb1EESX_EEDaSS_ST_EUlSS_E0_NS1_11comp_targetILNS1_3genE0ELNS1_11target_archE4294967295ELNS1_3gpuE0ELNS1_3repE0EEENS1_30default_config_static_selectorELNS0_4arch9wavefront6targetE1EEEvT1_
	.globl	_ZN7rocprim17ROCPRIM_400000_NS6detail17trampoline_kernelINS0_14default_configENS1_20scan_config_selectorIdEEZZNS1_9scan_implILNS1_25lookback_scan_determinismE0ELb0ELb0ES3_N6thrust23THRUST_200600_302600_NS6detail15normal_iteratorINS9_10device_ptrIdEEEENS9_16discard_iteratorINS9_11use_defaultEEEdNS9_4plusIvEEdEEDaPvRmT3_T4_T5_mT6_P12ihipStream_tbENKUlT_T0_E_clISt17integral_constantIbLb1EESX_EEDaSS_ST_EUlSS_E0_NS1_11comp_targetILNS1_3genE0ELNS1_11target_archE4294967295ELNS1_3gpuE0ELNS1_3repE0EEENS1_30default_config_static_selectorELNS0_4arch9wavefront6targetE1EEEvT1_
	.p2align	8
	.type	_ZN7rocprim17ROCPRIM_400000_NS6detail17trampoline_kernelINS0_14default_configENS1_20scan_config_selectorIdEEZZNS1_9scan_implILNS1_25lookback_scan_determinismE0ELb0ELb0ES3_N6thrust23THRUST_200600_302600_NS6detail15normal_iteratorINS9_10device_ptrIdEEEENS9_16discard_iteratorINS9_11use_defaultEEEdNS9_4plusIvEEdEEDaPvRmT3_T4_T5_mT6_P12ihipStream_tbENKUlT_T0_E_clISt17integral_constantIbLb1EESX_EEDaSS_ST_EUlSS_E0_NS1_11comp_targetILNS1_3genE0ELNS1_11target_archE4294967295ELNS1_3gpuE0ELNS1_3repE0EEENS1_30default_config_static_selectorELNS0_4arch9wavefront6targetE1EEEvT1_,@function
_ZN7rocprim17ROCPRIM_400000_NS6detail17trampoline_kernelINS0_14default_configENS1_20scan_config_selectorIdEEZZNS1_9scan_implILNS1_25lookback_scan_determinismE0ELb0ELb0ES3_N6thrust23THRUST_200600_302600_NS6detail15normal_iteratorINS9_10device_ptrIdEEEENS9_16discard_iteratorINS9_11use_defaultEEEdNS9_4plusIvEEdEEDaPvRmT3_T4_T5_mT6_P12ihipStream_tbENKUlT_T0_E_clISt17integral_constantIbLb1EESX_EEDaSS_ST_EUlSS_E0_NS1_11comp_targetILNS1_3genE0ELNS1_11target_archE4294967295ELNS1_3gpuE0ELNS1_3repE0EEENS1_30default_config_static_selectorELNS0_4arch9wavefront6targetE1EEEvT1_: ; @_ZN7rocprim17ROCPRIM_400000_NS6detail17trampoline_kernelINS0_14default_configENS1_20scan_config_selectorIdEEZZNS1_9scan_implILNS1_25lookback_scan_determinismE0ELb0ELb0ES3_N6thrust23THRUST_200600_302600_NS6detail15normal_iteratorINS9_10device_ptrIdEEEENS9_16discard_iteratorINS9_11use_defaultEEEdNS9_4plusIvEEdEEDaPvRmT3_T4_T5_mT6_P12ihipStream_tbENKUlT_T0_E_clISt17integral_constantIbLb1EESX_EEDaSS_ST_EUlSS_E0_NS1_11comp_targetILNS1_3genE0ELNS1_11target_archE4294967295ELNS1_3gpuE0ELNS1_3repE0EEENS1_30default_config_static_selectorELNS0_4arch9wavefront6targetE1EEEvT1_
; %bb.0:
	.section	.rodata,"a",@progbits
	.p2align	6, 0x0
	.amdhsa_kernel _ZN7rocprim17ROCPRIM_400000_NS6detail17trampoline_kernelINS0_14default_configENS1_20scan_config_selectorIdEEZZNS1_9scan_implILNS1_25lookback_scan_determinismE0ELb0ELb0ES3_N6thrust23THRUST_200600_302600_NS6detail15normal_iteratorINS9_10device_ptrIdEEEENS9_16discard_iteratorINS9_11use_defaultEEEdNS9_4plusIvEEdEEDaPvRmT3_T4_T5_mT6_P12ihipStream_tbENKUlT_T0_E_clISt17integral_constantIbLb1EESX_EEDaSS_ST_EUlSS_E0_NS1_11comp_targetILNS1_3genE0ELNS1_11target_archE4294967295ELNS1_3gpuE0ELNS1_3repE0EEENS1_30default_config_static_selectorELNS0_4arch9wavefront6targetE1EEEvT1_
		.amdhsa_group_segment_fixed_size 0
		.amdhsa_private_segment_fixed_size 0
		.amdhsa_kernarg_size 48
		.amdhsa_user_sgpr_count 6
		.amdhsa_user_sgpr_private_segment_buffer 1
		.amdhsa_user_sgpr_dispatch_ptr 0
		.amdhsa_user_sgpr_queue_ptr 0
		.amdhsa_user_sgpr_kernarg_segment_ptr 1
		.amdhsa_user_sgpr_dispatch_id 0
		.amdhsa_user_sgpr_flat_scratch_init 0
		.amdhsa_user_sgpr_kernarg_preload_length 0
		.amdhsa_user_sgpr_kernarg_preload_offset 0
		.amdhsa_user_sgpr_private_segment_size 0
		.amdhsa_uses_dynamic_stack 0
		.amdhsa_system_sgpr_private_segment_wavefront_offset 0
		.amdhsa_system_sgpr_workgroup_id_x 1
		.amdhsa_system_sgpr_workgroup_id_y 0
		.amdhsa_system_sgpr_workgroup_id_z 0
		.amdhsa_system_sgpr_workgroup_info 0
		.amdhsa_system_vgpr_workitem_id 0
		.amdhsa_next_free_vgpr 1
		.amdhsa_next_free_sgpr 0
		.amdhsa_accum_offset 4
		.amdhsa_reserve_vcc 0
		.amdhsa_reserve_flat_scratch 0
		.amdhsa_float_round_mode_32 0
		.amdhsa_float_round_mode_16_64 0
		.amdhsa_float_denorm_mode_32 3
		.amdhsa_float_denorm_mode_16_64 3
		.amdhsa_dx10_clamp 1
		.amdhsa_ieee_mode 1
		.amdhsa_fp16_overflow 0
		.amdhsa_tg_split 0
		.amdhsa_exception_fp_ieee_invalid_op 0
		.amdhsa_exception_fp_denorm_src 0
		.amdhsa_exception_fp_ieee_div_zero 0
		.amdhsa_exception_fp_ieee_overflow 0
		.amdhsa_exception_fp_ieee_underflow 0
		.amdhsa_exception_fp_ieee_inexact 0
		.amdhsa_exception_int_div_zero 0
	.end_amdhsa_kernel
	.section	.text._ZN7rocprim17ROCPRIM_400000_NS6detail17trampoline_kernelINS0_14default_configENS1_20scan_config_selectorIdEEZZNS1_9scan_implILNS1_25lookback_scan_determinismE0ELb0ELb0ES3_N6thrust23THRUST_200600_302600_NS6detail15normal_iteratorINS9_10device_ptrIdEEEENS9_16discard_iteratorINS9_11use_defaultEEEdNS9_4plusIvEEdEEDaPvRmT3_T4_T5_mT6_P12ihipStream_tbENKUlT_T0_E_clISt17integral_constantIbLb1EESX_EEDaSS_ST_EUlSS_E0_NS1_11comp_targetILNS1_3genE0ELNS1_11target_archE4294967295ELNS1_3gpuE0ELNS1_3repE0EEENS1_30default_config_static_selectorELNS0_4arch9wavefront6targetE1EEEvT1_,"axG",@progbits,_ZN7rocprim17ROCPRIM_400000_NS6detail17trampoline_kernelINS0_14default_configENS1_20scan_config_selectorIdEEZZNS1_9scan_implILNS1_25lookback_scan_determinismE0ELb0ELb0ES3_N6thrust23THRUST_200600_302600_NS6detail15normal_iteratorINS9_10device_ptrIdEEEENS9_16discard_iteratorINS9_11use_defaultEEEdNS9_4plusIvEEdEEDaPvRmT3_T4_T5_mT6_P12ihipStream_tbENKUlT_T0_E_clISt17integral_constantIbLb1EESX_EEDaSS_ST_EUlSS_E0_NS1_11comp_targetILNS1_3genE0ELNS1_11target_archE4294967295ELNS1_3gpuE0ELNS1_3repE0EEENS1_30default_config_static_selectorELNS0_4arch9wavefront6targetE1EEEvT1_,comdat
.Lfunc_end4889:
	.size	_ZN7rocprim17ROCPRIM_400000_NS6detail17trampoline_kernelINS0_14default_configENS1_20scan_config_selectorIdEEZZNS1_9scan_implILNS1_25lookback_scan_determinismE0ELb0ELb0ES3_N6thrust23THRUST_200600_302600_NS6detail15normal_iteratorINS9_10device_ptrIdEEEENS9_16discard_iteratorINS9_11use_defaultEEEdNS9_4plusIvEEdEEDaPvRmT3_T4_T5_mT6_P12ihipStream_tbENKUlT_T0_E_clISt17integral_constantIbLb1EESX_EEDaSS_ST_EUlSS_E0_NS1_11comp_targetILNS1_3genE0ELNS1_11target_archE4294967295ELNS1_3gpuE0ELNS1_3repE0EEENS1_30default_config_static_selectorELNS0_4arch9wavefront6targetE1EEEvT1_, .Lfunc_end4889-_ZN7rocprim17ROCPRIM_400000_NS6detail17trampoline_kernelINS0_14default_configENS1_20scan_config_selectorIdEEZZNS1_9scan_implILNS1_25lookback_scan_determinismE0ELb0ELb0ES3_N6thrust23THRUST_200600_302600_NS6detail15normal_iteratorINS9_10device_ptrIdEEEENS9_16discard_iteratorINS9_11use_defaultEEEdNS9_4plusIvEEdEEDaPvRmT3_T4_T5_mT6_P12ihipStream_tbENKUlT_T0_E_clISt17integral_constantIbLb1EESX_EEDaSS_ST_EUlSS_E0_NS1_11comp_targetILNS1_3genE0ELNS1_11target_archE4294967295ELNS1_3gpuE0ELNS1_3repE0EEENS1_30default_config_static_selectorELNS0_4arch9wavefront6targetE1EEEvT1_
                                        ; -- End function
	.section	.AMDGPU.csdata,"",@progbits
; Kernel info:
; codeLenInByte = 0
; NumSgprs: 4
; NumVgprs: 0
; NumAgprs: 0
; TotalNumVgprs: 0
; ScratchSize: 0
; MemoryBound: 0
; FloatMode: 240
; IeeeMode: 1
; LDSByteSize: 0 bytes/workgroup (compile time only)
; SGPRBlocks: 0
; VGPRBlocks: 0
; NumSGPRsForWavesPerEU: 4
; NumVGPRsForWavesPerEU: 1
; AccumOffset: 4
; Occupancy: 8
; WaveLimiterHint : 0
; COMPUTE_PGM_RSRC2:SCRATCH_EN: 0
; COMPUTE_PGM_RSRC2:USER_SGPR: 6
; COMPUTE_PGM_RSRC2:TRAP_HANDLER: 0
; COMPUTE_PGM_RSRC2:TGID_X_EN: 1
; COMPUTE_PGM_RSRC2:TGID_Y_EN: 0
; COMPUTE_PGM_RSRC2:TGID_Z_EN: 0
; COMPUTE_PGM_RSRC2:TIDIG_COMP_CNT: 0
; COMPUTE_PGM_RSRC3_GFX90A:ACCUM_OFFSET: 0
; COMPUTE_PGM_RSRC3_GFX90A:TG_SPLIT: 0
	.section	.text._ZN7rocprim17ROCPRIM_400000_NS6detail17trampoline_kernelINS0_14default_configENS1_20scan_config_selectorIdEEZZNS1_9scan_implILNS1_25lookback_scan_determinismE0ELb0ELb0ES3_N6thrust23THRUST_200600_302600_NS6detail15normal_iteratorINS9_10device_ptrIdEEEENS9_16discard_iteratorINS9_11use_defaultEEEdNS9_4plusIvEEdEEDaPvRmT3_T4_T5_mT6_P12ihipStream_tbENKUlT_T0_E_clISt17integral_constantIbLb1EESX_EEDaSS_ST_EUlSS_E0_NS1_11comp_targetILNS1_3genE5ELNS1_11target_archE942ELNS1_3gpuE9ELNS1_3repE0EEENS1_30default_config_static_selectorELNS0_4arch9wavefront6targetE1EEEvT1_,"axG",@progbits,_ZN7rocprim17ROCPRIM_400000_NS6detail17trampoline_kernelINS0_14default_configENS1_20scan_config_selectorIdEEZZNS1_9scan_implILNS1_25lookback_scan_determinismE0ELb0ELb0ES3_N6thrust23THRUST_200600_302600_NS6detail15normal_iteratorINS9_10device_ptrIdEEEENS9_16discard_iteratorINS9_11use_defaultEEEdNS9_4plusIvEEdEEDaPvRmT3_T4_T5_mT6_P12ihipStream_tbENKUlT_T0_E_clISt17integral_constantIbLb1EESX_EEDaSS_ST_EUlSS_E0_NS1_11comp_targetILNS1_3genE5ELNS1_11target_archE942ELNS1_3gpuE9ELNS1_3repE0EEENS1_30default_config_static_selectorELNS0_4arch9wavefront6targetE1EEEvT1_,comdat
	.protected	_ZN7rocprim17ROCPRIM_400000_NS6detail17trampoline_kernelINS0_14default_configENS1_20scan_config_selectorIdEEZZNS1_9scan_implILNS1_25lookback_scan_determinismE0ELb0ELb0ES3_N6thrust23THRUST_200600_302600_NS6detail15normal_iteratorINS9_10device_ptrIdEEEENS9_16discard_iteratorINS9_11use_defaultEEEdNS9_4plusIvEEdEEDaPvRmT3_T4_T5_mT6_P12ihipStream_tbENKUlT_T0_E_clISt17integral_constantIbLb1EESX_EEDaSS_ST_EUlSS_E0_NS1_11comp_targetILNS1_3genE5ELNS1_11target_archE942ELNS1_3gpuE9ELNS1_3repE0EEENS1_30default_config_static_selectorELNS0_4arch9wavefront6targetE1EEEvT1_ ; -- Begin function _ZN7rocprim17ROCPRIM_400000_NS6detail17trampoline_kernelINS0_14default_configENS1_20scan_config_selectorIdEEZZNS1_9scan_implILNS1_25lookback_scan_determinismE0ELb0ELb0ES3_N6thrust23THRUST_200600_302600_NS6detail15normal_iteratorINS9_10device_ptrIdEEEENS9_16discard_iteratorINS9_11use_defaultEEEdNS9_4plusIvEEdEEDaPvRmT3_T4_T5_mT6_P12ihipStream_tbENKUlT_T0_E_clISt17integral_constantIbLb1EESX_EEDaSS_ST_EUlSS_E0_NS1_11comp_targetILNS1_3genE5ELNS1_11target_archE942ELNS1_3gpuE9ELNS1_3repE0EEENS1_30default_config_static_selectorELNS0_4arch9wavefront6targetE1EEEvT1_
	.globl	_ZN7rocprim17ROCPRIM_400000_NS6detail17trampoline_kernelINS0_14default_configENS1_20scan_config_selectorIdEEZZNS1_9scan_implILNS1_25lookback_scan_determinismE0ELb0ELb0ES3_N6thrust23THRUST_200600_302600_NS6detail15normal_iteratorINS9_10device_ptrIdEEEENS9_16discard_iteratorINS9_11use_defaultEEEdNS9_4plusIvEEdEEDaPvRmT3_T4_T5_mT6_P12ihipStream_tbENKUlT_T0_E_clISt17integral_constantIbLb1EESX_EEDaSS_ST_EUlSS_E0_NS1_11comp_targetILNS1_3genE5ELNS1_11target_archE942ELNS1_3gpuE9ELNS1_3repE0EEENS1_30default_config_static_selectorELNS0_4arch9wavefront6targetE1EEEvT1_
	.p2align	8
	.type	_ZN7rocprim17ROCPRIM_400000_NS6detail17trampoline_kernelINS0_14default_configENS1_20scan_config_selectorIdEEZZNS1_9scan_implILNS1_25lookback_scan_determinismE0ELb0ELb0ES3_N6thrust23THRUST_200600_302600_NS6detail15normal_iteratorINS9_10device_ptrIdEEEENS9_16discard_iteratorINS9_11use_defaultEEEdNS9_4plusIvEEdEEDaPvRmT3_T4_T5_mT6_P12ihipStream_tbENKUlT_T0_E_clISt17integral_constantIbLb1EESX_EEDaSS_ST_EUlSS_E0_NS1_11comp_targetILNS1_3genE5ELNS1_11target_archE942ELNS1_3gpuE9ELNS1_3repE0EEENS1_30default_config_static_selectorELNS0_4arch9wavefront6targetE1EEEvT1_,@function
_ZN7rocprim17ROCPRIM_400000_NS6detail17trampoline_kernelINS0_14default_configENS1_20scan_config_selectorIdEEZZNS1_9scan_implILNS1_25lookback_scan_determinismE0ELb0ELb0ES3_N6thrust23THRUST_200600_302600_NS6detail15normal_iteratorINS9_10device_ptrIdEEEENS9_16discard_iteratorINS9_11use_defaultEEEdNS9_4plusIvEEdEEDaPvRmT3_T4_T5_mT6_P12ihipStream_tbENKUlT_T0_E_clISt17integral_constantIbLb1EESX_EEDaSS_ST_EUlSS_E0_NS1_11comp_targetILNS1_3genE5ELNS1_11target_archE942ELNS1_3gpuE9ELNS1_3repE0EEENS1_30default_config_static_selectorELNS0_4arch9wavefront6targetE1EEEvT1_: ; @_ZN7rocprim17ROCPRIM_400000_NS6detail17trampoline_kernelINS0_14default_configENS1_20scan_config_selectorIdEEZZNS1_9scan_implILNS1_25lookback_scan_determinismE0ELb0ELb0ES3_N6thrust23THRUST_200600_302600_NS6detail15normal_iteratorINS9_10device_ptrIdEEEENS9_16discard_iteratorINS9_11use_defaultEEEdNS9_4plusIvEEdEEDaPvRmT3_T4_T5_mT6_P12ihipStream_tbENKUlT_T0_E_clISt17integral_constantIbLb1EESX_EEDaSS_ST_EUlSS_E0_NS1_11comp_targetILNS1_3genE5ELNS1_11target_archE942ELNS1_3gpuE9ELNS1_3repE0EEENS1_30default_config_static_selectorELNS0_4arch9wavefront6targetE1EEEvT1_
; %bb.0:
	.section	.rodata,"a",@progbits
	.p2align	6, 0x0
	.amdhsa_kernel _ZN7rocprim17ROCPRIM_400000_NS6detail17trampoline_kernelINS0_14default_configENS1_20scan_config_selectorIdEEZZNS1_9scan_implILNS1_25lookback_scan_determinismE0ELb0ELb0ES3_N6thrust23THRUST_200600_302600_NS6detail15normal_iteratorINS9_10device_ptrIdEEEENS9_16discard_iteratorINS9_11use_defaultEEEdNS9_4plusIvEEdEEDaPvRmT3_T4_T5_mT6_P12ihipStream_tbENKUlT_T0_E_clISt17integral_constantIbLb1EESX_EEDaSS_ST_EUlSS_E0_NS1_11comp_targetILNS1_3genE5ELNS1_11target_archE942ELNS1_3gpuE9ELNS1_3repE0EEENS1_30default_config_static_selectorELNS0_4arch9wavefront6targetE1EEEvT1_
		.amdhsa_group_segment_fixed_size 0
		.amdhsa_private_segment_fixed_size 0
		.amdhsa_kernarg_size 48
		.amdhsa_user_sgpr_count 6
		.amdhsa_user_sgpr_private_segment_buffer 1
		.amdhsa_user_sgpr_dispatch_ptr 0
		.amdhsa_user_sgpr_queue_ptr 0
		.amdhsa_user_sgpr_kernarg_segment_ptr 1
		.amdhsa_user_sgpr_dispatch_id 0
		.amdhsa_user_sgpr_flat_scratch_init 0
		.amdhsa_user_sgpr_kernarg_preload_length 0
		.amdhsa_user_sgpr_kernarg_preload_offset 0
		.amdhsa_user_sgpr_private_segment_size 0
		.amdhsa_uses_dynamic_stack 0
		.amdhsa_system_sgpr_private_segment_wavefront_offset 0
		.amdhsa_system_sgpr_workgroup_id_x 1
		.amdhsa_system_sgpr_workgroup_id_y 0
		.amdhsa_system_sgpr_workgroup_id_z 0
		.amdhsa_system_sgpr_workgroup_info 0
		.amdhsa_system_vgpr_workitem_id 0
		.amdhsa_next_free_vgpr 1
		.amdhsa_next_free_sgpr 0
		.amdhsa_accum_offset 4
		.amdhsa_reserve_vcc 0
		.amdhsa_reserve_flat_scratch 0
		.amdhsa_float_round_mode_32 0
		.amdhsa_float_round_mode_16_64 0
		.amdhsa_float_denorm_mode_32 3
		.amdhsa_float_denorm_mode_16_64 3
		.amdhsa_dx10_clamp 1
		.amdhsa_ieee_mode 1
		.amdhsa_fp16_overflow 0
		.amdhsa_tg_split 0
		.amdhsa_exception_fp_ieee_invalid_op 0
		.amdhsa_exception_fp_denorm_src 0
		.amdhsa_exception_fp_ieee_div_zero 0
		.amdhsa_exception_fp_ieee_overflow 0
		.amdhsa_exception_fp_ieee_underflow 0
		.amdhsa_exception_fp_ieee_inexact 0
		.amdhsa_exception_int_div_zero 0
	.end_amdhsa_kernel
	.section	.text._ZN7rocprim17ROCPRIM_400000_NS6detail17trampoline_kernelINS0_14default_configENS1_20scan_config_selectorIdEEZZNS1_9scan_implILNS1_25lookback_scan_determinismE0ELb0ELb0ES3_N6thrust23THRUST_200600_302600_NS6detail15normal_iteratorINS9_10device_ptrIdEEEENS9_16discard_iteratorINS9_11use_defaultEEEdNS9_4plusIvEEdEEDaPvRmT3_T4_T5_mT6_P12ihipStream_tbENKUlT_T0_E_clISt17integral_constantIbLb1EESX_EEDaSS_ST_EUlSS_E0_NS1_11comp_targetILNS1_3genE5ELNS1_11target_archE942ELNS1_3gpuE9ELNS1_3repE0EEENS1_30default_config_static_selectorELNS0_4arch9wavefront6targetE1EEEvT1_,"axG",@progbits,_ZN7rocprim17ROCPRIM_400000_NS6detail17trampoline_kernelINS0_14default_configENS1_20scan_config_selectorIdEEZZNS1_9scan_implILNS1_25lookback_scan_determinismE0ELb0ELb0ES3_N6thrust23THRUST_200600_302600_NS6detail15normal_iteratorINS9_10device_ptrIdEEEENS9_16discard_iteratorINS9_11use_defaultEEEdNS9_4plusIvEEdEEDaPvRmT3_T4_T5_mT6_P12ihipStream_tbENKUlT_T0_E_clISt17integral_constantIbLb1EESX_EEDaSS_ST_EUlSS_E0_NS1_11comp_targetILNS1_3genE5ELNS1_11target_archE942ELNS1_3gpuE9ELNS1_3repE0EEENS1_30default_config_static_selectorELNS0_4arch9wavefront6targetE1EEEvT1_,comdat
.Lfunc_end4890:
	.size	_ZN7rocprim17ROCPRIM_400000_NS6detail17trampoline_kernelINS0_14default_configENS1_20scan_config_selectorIdEEZZNS1_9scan_implILNS1_25lookback_scan_determinismE0ELb0ELb0ES3_N6thrust23THRUST_200600_302600_NS6detail15normal_iteratorINS9_10device_ptrIdEEEENS9_16discard_iteratorINS9_11use_defaultEEEdNS9_4plusIvEEdEEDaPvRmT3_T4_T5_mT6_P12ihipStream_tbENKUlT_T0_E_clISt17integral_constantIbLb1EESX_EEDaSS_ST_EUlSS_E0_NS1_11comp_targetILNS1_3genE5ELNS1_11target_archE942ELNS1_3gpuE9ELNS1_3repE0EEENS1_30default_config_static_selectorELNS0_4arch9wavefront6targetE1EEEvT1_, .Lfunc_end4890-_ZN7rocprim17ROCPRIM_400000_NS6detail17trampoline_kernelINS0_14default_configENS1_20scan_config_selectorIdEEZZNS1_9scan_implILNS1_25lookback_scan_determinismE0ELb0ELb0ES3_N6thrust23THRUST_200600_302600_NS6detail15normal_iteratorINS9_10device_ptrIdEEEENS9_16discard_iteratorINS9_11use_defaultEEEdNS9_4plusIvEEdEEDaPvRmT3_T4_T5_mT6_P12ihipStream_tbENKUlT_T0_E_clISt17integral_constantIbLb1EESX_EEDaSS_ST_EUlSS_E0_NS1_11comp_targetILNS1_3genE5ELNS1_11target_archE942ELNS1_3gpuE9ELNS1_3repE0EEENS1_30default_config_static_selectorELNS0_4arch9wavefront6targetE1EEEvT1_
                                        ; -- End function
	.section	.AMDGPU.csdata,"",@progbits
; Kernel info:
; codeLenInByte = 0
; NumSgprs: 4
; NumVgprs: 0
; NumAgprs: 0
; TotalNumVgprs: 0
; ScratchSize: 0
; MemoryBound: 0
; FloatMode: 240
; IeeeMode: 1
; LDSByteSize: 0 bytes/workgroup (compile time only)
; SGPRBlocks: 0
; VGPRBlocks: 0
; NumSGPRsForWavesPerEU: 4
; NumVGPRsForWavesPerEU: 1
; AccumOffset: 4
; Occupancy: 8
; WaveLimiterHint : 0
; COMPUTE_PGM_RSRC2:SCRATCH_EN: 0
; COMPUTE_PGM_RSRC2:USER_SGPR: 6
; COMPUTE_PGM_RSRC2:TRAP_HANDLER: 0
; COMPUTE_PGM_RSRC2:TGID_X_EN: 1
; COMPUTE_PGM_RSRC2:TGID_Y_EN: 0
; COMPUTE_PGM_RSRC2:TGID_Z_EN: 0
; COMPUTE_PGM_RSRC2:TIDIG_COMP_CNT: 0
; COMPUTE_PGM_RSRC3_GFX90A:ACCUM_OFFSET: 0
; COMPUTE_PGM_RSRC3_GFX90A:TG_SPLIT: 0
	.section	.text._ZN7rocprim17ROCPRIM_400000_NS6detail17trampoline_kernelINS0_14default_configENS1_20scan_config_selectorIdEEZZNS1_9scan_implILNS1_25lookback_scan_determinismE0ELb0ELb0ES3_N6thrust23THRUST_200600_302600_NS6detail15normal_iteratorINS9_10device_ptrIdEEEENS9_16discard_iteratorINS9_11use_defaultEEEdNS9_4plusIvEEdEEDaPvRmT3_T4_T5_mT6_P12ihipStream_tbENKUlT_T0_E_clISt17integral_constantIbLb1EESX_EEDaSS_ST_EUlSS_E0_NS1_11comp_targetILNS1_3genE4ELNS1_11target_archE910ELNS1_3gpuE8ELNS1_3repE0EEENS1_30default_config_static_selectorELNS0_4arch9wavefront6targetE1EEEvT1_,"axG",@progbits,_ZN7rocprim17ROCPRIM_400000_NS6detail17trampoline_kernelINS0_14default_configENS1_20scan_config_selectorIdEEZZNS1_9scan_implILNS1_25lookback_scan_determinismE0ELb0ELb0ES3_N6thrust23THRUST_200600_302600_NS6detail15normal_iteratorINS9_10device_ptrIdEEEENS9_16discard_iteratorINS9_11use_defaultEEEdNS9_4plusIvEEdEEDaPvRmT3_T4_T5_mT6_P12ihipStream_tbENKUlT_T0_E_clISt17integral_constantIbLb1EESX_EEDaSS_ST_EUlSS_E0_NS1_11comp_targetILNS1_3genE4ELNS1_11target_archE910ELNS1_3gpuE8ELNS1_3repE0EEENS1_30default_config_static_selectorELNS0_4arch9wavefront6targetE1EEEvT1_,comdat
	.protected	_ZN7rocprim17ROCPRIM_400000_NS6detail17trampoline_kernelINS0_14default_configENS1_20scan_config_selectorIdEEZZNS1_9scan_implILNS1_25lookback_scan_determinismE0ELb0ELb0ES3_N6thrust23THRUST_200600_302600_NS6detail15normal_iteratorINS9_10device_ptrIdEEEENS9_16discard_iteratorINS9_11use_defaultEEEdNS9_4plusIvEEdEEDaPvRmT3_T4_T5_mT6_P12ihipStream_tbENKUlT_T0_E_clISt17integral_constantIbLb1EESX_EEDaSS_ST_EUlSS_E0_NS1_11comp_targetILNS1_3genE4ELNS1_11target_archE910ELNS1_3gpuE8ELNS1_3repE0EEENS1_30default_config_static_selectorELNS0_4arch9wavefront6targetE1EEEvT1_ ; -- Begin function _ZN7rocprim17ROCPRIM_400000_NS6detail17trampoline_kernelINS0_14default_configENS1_20scan_config_selectorIdEEZZNS1_9scan_implILNS1_25lookback_scan_determinismE0ELb0ELb0ES3_N6thrust23THRUST_200600_302600_NS6detail15normal_iteratorINS9_10device_ptrIdEEEENS9_16discard_iteratorINS9_11use_defaultEEEdNS9_4plusIvEEdEEDaPvRmT3_T4_T5_mT6_P12ihipStream_tbENKUlT_T0_E_clISt17integral_constantIbLb1EESX_EEDaSS_ST_EUlSS_E0_NS1_11comp_targetILNS1_3genE4ELNS1_11target_archE910ELNS1_3gpuE8ELNS1_3repE0EEENS1_30default_config_static_selectorELNS0_4arch9wavefront6targetE1EEEvT1_
	.globl	_ZN7rocprim17ROCPRIM_400000_NS6detail17trampoline_kernelINS0_14default_configENS1_20scan_config_selectorIdEEZZNS1_9scan_implILNS1_25lookback_scan_determinismE0ELb0ELb0ES3_N6thrust23THRUST_200600_302600_NS6detail15normal_iteratorINS9_10device_ptrIdEEEENS9_16discard_iteratorINS9_11use_defaultEEEdNS9_4plusIvEEdEEDaPvRmT3_T4_T5_mT6_P12ihipStream_tbENKUlT_T0_E_clISt17integral_constantIbLb1EESX_EEDaSS_ST_EUlSS_E0_NS1_11comp_targetILNS1_3genE4ELNS1_11target_archE910ELNS1_3gpuE8ELNS1_3repE0EEENS1_30default_config_static_selectorELNS0_4arch9wavefront6targetE1EEEvT1_
	.p2align	8
	.type	_ZN7rocprim17ROCPRIM_400000_NS6detail17trampoline_kernelINS0_14default_configENS1_20scan_config_selectorIdEEZZNS1_9scan_implILNS1_25lookback_scan_determinismE0ELb0ELb0ES3_N6thrust23THRUST_200600_302600_NS6detail15normal_iteratorINS9_10device_ptrIdEEEENS9_16discard_iteratorINS9_11use_defaultEEEdNS9_4plusIvEEdEEDaPvRmT3_T4_T5_mT6_P12ihipStream_tbENKUlT_T0_E_clISt17integral_constantIbLb1EESX_EEDaSS_ST_EUlSS_E0_NS1_11comp_targetILNS1_3genE4ELNS1_11target_archE910ELNS1_3gpuE8ELNS1_3repE0EEENS1_30default_config_static_selectorELNS0_4arch9wavefront6targetE1EEEvT1_,@function
_ZN7rocprim17ROCPRIM_400000_NS6detail17trampoline_kernelINS0_14default_configENS1_20scan_config_selectorIdEEZZNS1_9scan_implILNS1_25lookback_scan_determinismE0ELb0ELb0ES3_N6thrust23THRUST_200600_302600_NS6detail15normal_iteratorINS9_10device_ptrIdEEEENS9_16discard_iteratorINS9_11use_defaultEEEdNS9_4plusIvEEdEEDaPvRmT3_T4_T5_mT6_P12ihipStream_tbENKUlT_T0_E_clISt17integral_constantIbLb1EESX_EEDaSS_ST_EUlSS_E0_NS1_11comp_targetILNS1_3genE4ELNS1_11target_archE910ELNS1_3gpuE8ELNS1_3repE0EEENS1_30default_config_static_selectorELNS0_4arch9wavefront6targetE1EEEvT1_: ; @_ZN7rocprim17ROCPRIM_400000_NS6detail17trampoline_kernelINS0_14default_configENS1_20scan_config_selectorIdEEZZNS1_9scan_implILNS1_25lookback_scan_determinismE0ELb0ELb0ES3_N6thrust23THRUST_200600_302600_NS6detail15normal_iteratorINS9_10device_ptrIdEEEENS9_16discard_iteratorINS9_11use_defaultEEEdNS9_4plusIvEEdEEDaPvRmT3_T4_T5_mT6_P12ihipStream_tbENKUlT_T0_E_clISt17integral_constantIbLb1EESX_EEDaSS_ST_EUlSS_E0_NS1_11comp_targetILNS1_3genE4ELNS1_11target_archE910ELNS1_3gpuE8ELNS1_3repE0EEENS1_30default_config_static_selectorELNS0_4arch9wavefront6targetE1EEEvT1_
; %bb.0:
	s_load_dwordx4 s[0:3], s[4:5], 0x0
	v_lshlrev_b32_e32 v1, 3, v0
	s_waitcnt lgkmcnt(0)
	s_load_dwordx2 s[4:5], s[0:1], 0x0
	v_cmp_gt_u32_e32 vcc, s2, v0
	s_waitcnt lgkmcnt(0)
	v_pk_mov_b32 v[2:3], s[4:5], s[4:5] op_sel:[0,1]
	s_and_saveexec_b64 s[6:7], vcc
	s_cbranch_execz .LBB4891_2
; %bb.1:
	global_load_dwordx2 v[2:3], v1, s[0:1]
.LBB4891_2:
	s_or_b64 exec, exec, s[6:7]
	v_or_b32_e32 v4, 0x80, v0
	v_cmp_gt_u32_e32 vcc, s2, v4
	v_pk_mov_b32 v[4:5], s[4:5], s[4:5] op_sel:[0,1]
	s_and_saveexec_b64 s[6:7], vcc
	s_cbranch_execz .LBB4891_4
; %bb.3:
	global_load_dwordx2 v[4:5], v1, s[0:1] offset:1024
.LBB4891_4:
	s_or_b64 exec, exec, s[6:7]
	v_or_b32_e32 v6, 0x100, v0
	v_cmp_gt_u32_e32 vcc, s2, v6
	v_pk_mov_b32 v[6:7], s[4:5], s[4:5] op_sel:[0,1]
	s_and_saveexec_b64 s[6:7], vcc
	s_cbranch_execz .LBB4891_6
; %bb.5:
	global_load_dwordx2 v[6:7], v1, s[0:1] offset:2048
.LBB4891_6:
	;; [unrolled: 9-line block ×3, first 2 shown]
	s_or_b64 exec, exec, s[6:7]
	v_or_b32_e32 v12, 0x200, v0
	v_cmp_gt_u32_e32 vcc, s2, v12
	v_pk_mov_b32 v[10:11], s[4:5], s[4:5] op_sel:[0,1]
	s_and_saveexec_b64 s[6:7], vcc
	s_cbranch_execz .LBB4891_10
; %bb.9:
	v_lshlrev_b32_e32 v10, 3, v12
	global_load_dwordx2 v[10:11], v10, s[0:1]
.LBB4891_10:
	s_or_b64 exec, exec, s[6:7]
	v_or_b32_e32 v14, 0x280, v0
	v_cmp_gt_u32_e32 vcc, s2, v14
	v_pk_mov_b32 v[12:13], s[4:5], s[4:5] op_sel:[0,1]
	s_and_saveexec_b64 s[6:7], vcc
	s_cbranch_execz .LBB4891_12
; %bb.11:
	v_lshlrev_b32_e32 v12, 3, v14
	global_load_dwordx2 v[12:13], v12, s[0:1]
.LBB4891_12:
	;; [unrolled: 10-line block ×6, first 2 shown]
	s_or_b64 exec, exec, s[2:3]
	s_movk_i32 s0, 0x48
	s_waitcnt vmcnt(0)
	ds_write2st64_b64 v1, v[2:3], v[4:5] offset1:2
	ds_write2st64_b64 v1, v[6:7], v[8:9] offset0:4 offset1:6
	ds_write2st64_b64 v1, v[10:11], v[12:13] offset0:8 offset1:10
	;; [unrolled: 1-line block ×4, first 2 shown]
	v_mad_u32_u24 v6, v0, s0, v1
	s_waitcnt lgkmcnt(0)
	s_barrier
	ds_read_b128 v[2:5], v6
	ds_read_b128 v[22:25], v6 offset:16
	ds_read_b128 v[18:21], v6 offset:32
	;; [unrolled: 1-line block ×4, first 2 shown]
	s_waitcnt lgkmcnt(4)
	v_add_f64 v[38:39], v[2:3], v[4:5]
	s_waitcnt lgkmcnt(3)
	v_add_f64 v[30:31], v[38:39], v[22:23]
	v_add_f64 v[32:33], v[30:31], v[24:25]
	s_waitcnt lgkmcnt(2)
	v_add_f64 v[26:27], v[32:33], v[18:19]
	;; [unrolled: 3-line block ×4, first 2 shown]
	v_mbcnt_lo_u32_b32 v40, -1, 0
	v_add_f64 v[8:9], v[6:7], v[36:37]
	v_mbcnt_hi_u32_b32 v48, -1, v40
	v_and_b32_e32 v44, 15, v48
	v_mov_b32_dpp v40, v8 row_shr:1 row_mask:0xf bank_mask:0xf
	v_mov_b32_dpp v41, v9 row_shr:1 row_mask:0xf bank_mask:0xf
	v_add_f64 v[40:41], v[8:9], v[40:41]
	v_cmp_eq_u32_e32 vcc, 0, v44
	v_cndmask_b32_e32 v40, v40, v8, vcc
	v_cndmask_b32_e32 v41, v41, v9, vcc
	v_cmp_lt_u32_e32 vcc, 1, v44
	v_mov_b32_dpp v42, v40 row_shr:2 row_mask:0xf bank_mask:0xf
	v_mov_b32_dpp v43, v41 row_shr:2 row_mask:0xf bank_mask:0xf
	v_add_f64 v[42:43], v[40:41], v[42:43]
	v_cndmask_b32_e32 v40, v40, v42, vcc
	v_cndmask_b32_e32 v41, v41, v43, vcc
	v_cmp_lt_u32_e32 vcc, 3, v44
	v_mov_b32_dpp v42, v40 row_shr:4 row_mask:0xf bank_mask:0xf
	v_mov_b32_dpp v43, v41 row_shr:4 row_mask:0xf bank_mask:0xf
	v_add_f64 v[42:43], v[40:41], v[42:43]
	;; [unrolled: 6-line block ×3, first 2 shown]
	v_cndmask_b32_e32 v42, v40, v42, vcc
	v_cndmask_b32_e32 v43, v41, v43, vcc
	v_and_b32_e32 v44, 16, v48
	v_mov_b32_dpp v40, v42 row_bcast:15 row_mask:0xf bank_mask:0xf
	v_mov_b32_dpp v41, v43 row_bcast:15 row_mask:0xf bank_mask:0xf
	v_add_f64 v[46:47], v[42:43], v[40:41]
	v_cmp_eq_u32_e64 s[0:1], 0, v44
	v_cndmask_b32_e64 v40, v47, v43, s[0:1]
	v_cndmask_b32_e64 v41, v46, v42, s[0:1]
	v_cmp_eq_u32_e32 vcc, 0, v48
	v_mov_b32_dpp v45, v40 row_bcast:31 row_mask:0xf bank_mask:0xf
	v_mov_b32_dpp v44, v41 row_bcast:31 row_mask:0xf bank_mask:0xf
	v_cmp_ne_u32_e64 s[2:3], 0, v48
	v_pk_mov_b32 v[40:41], v[8:9], v[8:9] op_sel:[0,1]
	s_barrier
	s_and_saveexec_b64 s[4:5], s[2:3]
; %bb.21:
	v_cndmask_b32_e64 v41, v47, v43, s[0:1]
	v_cndmask_b32_e64 v40, v46, v42, s[0:1]
	v_add_f64 v[42:43], v[40:41], v[44:45]
	v_cmp_lt_u32_e64 s[0:1], 31, v48
	v_cndmask_b32_e64 v41, v41, v43, s[0:1]
	v_cndmask_b32_e64 v40, v40, v42, s[0:1]
; %bb.22:
	s_or_b64 exec, exec, s[4:5]
	v_or_b32_e32 v42, 63, v0
	v_lshrrev_b32_e32 v44, 6, v0
	v_cmp_eq_u32_e64 s[0:1], v42, v0
	s_and_saveexec_b64 s[2:3], s[0:1]
	s_cbranch_execz .LBB4891_24
; %bb.23:
	v_lshlrev_b32_e32 v42, 3, v44
	ds_write_b64 v42, v[40:41]
.LBB4891_24:
	s_or_b64 exec, exec, s[2:3]
	v_cmp_gt_u32_e64 s[0:1], 2, v0
	s_waitcnt lgkmcnt(0)
	s_barrier
	s_and_saveexec_b64 s[2:3], s[0:1]
	s_cbranch_execz .LBB4891_26
; %bb.25:
	ds_read_b64 v[42:43], v1
	v_and_b32_e32 v45, 1, v48
	v_cmp_eq_u32_e64 s[0:1], 0, v45
	s_waitcnt lgkmcnt(0)
	v_mov_b32_dpp v46, v42 row_shr:1 row_mask:0xf bank_mask:0xf
	v_mov_b32_dpp v47, v43 row_shr:1 row_mask:0xf bank_mask:0xf
	v_add_f64 v[46:47], v[42:43], v[46:47]
	v_cndmask_b32_e64 v43, v47, v43, s[0:1]
	v_cndmask_b32_e64 v42, v46, v42, s[0:1]
	ds_write_b64 v1, v[42:43]
.LBB4891_26:
	s_or_b64 exec, exec, s[2:3]
	v_cmp_lt_u32_e64 s[0:1], 63, v0
	s_waitcnt lgkmcnt(0)
	s_barrier
	s_waitcnt lgkmcnt(0)
                                        ; implicit-def: $vgpr42_vgpr43
	s_and_saveexec_b64 s[2:3], s[0:1]
	s_cbranch_execz .LBB4891_28
; %bb.27:
	v_lshl_add_u32 v42, v44, 3, -8
	ds_read_b64 v[42:43], v42
	s_waitcnt lgkmcnt(0)
	v_add_f64 v[40:41], v[40:41], v[42:43]
.LBB4891_28:
	s_or_b64 exec, exec, s[2:3]
	v_add_u32_e32 v44, -1, v48
	v_and_b32_e32 v45, 64, v48
	v_cmp_lt_i32_e64 s[0:1], v44, v45
	v_cndmask_b32_e64 v44, v44, v48, s[0:1]
	v_lshlrev_b32_e32 v45, 2, v44
	ds_bpermute_b32 v44, v45, v40
	ds_bpermute_b32 v41, v45, v41
	v_mul_u32_u24_e32 v40, 0x48, v0
	v_cmp_ne_u32_e64 s[0:1], 0, v0
	s_and_saveexec_b64 s[2:3], s[0:1]
	s_cbranch_execz .LBB4891_30
; %bb.29:
	s_waitcnt lgkmcnt(0)
	v_cndmask_b32_e32 v7, v41, v43, vcc
	v_cndmask_b32_e32 v6, v44, v42, vcc
	v_add_f64 v[2:3], v[2:3], v[6:7]
	v_add_f64 v[38:39], v[4:5], v[2:3]
	;; [unrolled: 1-line block ×10, first 2 shown]
	;;#ASMSTART
	;;#ASMEND
.LBB4891_30:
	s_or_b64 exec, exec, s[2:3]
	v_add_u32_e32 v0, v1, v40
	v_mov_b32_e32 v4, v38
	v_mov_b32_e32 v5, v39
	s_waitcnt lgkmcnt(0)
	s_barrier
	ds_write_b128 v0, v[2:5]
	ds_write_b128 v0, v[30:33] offset:16
	ds_write_b128 v0, v[26:29] offset:32
	;; [unrolled: 1-line block ×4, first 2 shown]
	s_waitcnt lgkmcnt(0)
	s_barrier
	s_endpgm
	.section	.rodata,"a",@progbits
	.p2align	6, 0x0
	.amdhsa_kernel _ZN7rocprim17ROCPRIM_400000_NS6detail17trampoline_kernelINS0_14default_configENS1_20scan_config_selectorIdEEZZNS1_9scan_implILNS1_25lookback_scan_determinismE0ELb0ELb0ES3_N6thrust23THRUST_200600_302600_NS6detail15normal_iteratorINS9_10device_ptrIdEEEENS9_16discard_iteratorINS9_11use_defaultEEEdNS9_4plusIvEEdEEDaPvRmT3_T4_T5_mT6_P12ihipStream_tbENKUlT_T0_E_clISt17integral_constantIbLb1EESX_EEDaSS_ST_EUlSS_E0_NS1_11comp_targetILNS1_3genE4ELNS1_11target_archE910ELNS1_3gpuE8ELNS1_3repE0EEENS1_30default_config_static_selectorELNS0_4arch9wavefront6targetE1EEEvT1_
		.amdhsa_group_segment_fixed_size 10240
		.amdhsa_private_segment_fixed_size 0
		.amdhsa_kernarg_size 48
		.amdhsa_user_sgpr_count 6
		.amdhsa_user_sgpr_private_segment_buffer 1
		.amdhsa_user_sgpr_dispatch_ptr 0
		.amdhsa_user_sgpr_queue_ptr 0
		.amdhsa_user_sgpr_kernarg_segment_ptr 1
		.amdhsa_user_sgpr_dispatch_id 0
		.amdhsa_user_sgpr_flat_scratch_init 0
		.amdhsa_user_sgpr_kernarg_preload_length 0
		.amdhsa_user_sgpr_kernarg_preload_offset 0
		.amdhsa_user_sgpr_private_segment_size 0
		.amdhsa_uses_dynamic_stack 0
		.amdhsa_system_sgpr_private_segment_wavefront_offset 0
		.amdhsa_system_sgpr_workgroup_id_x 1
		.amdhsa_system_sgpr_workgroup_id_y 0
		.amdhsa_system_sgpr_workgroup_id_z 0
		.amdhsa_system_sgpr_workgroup_info 0
		.amdhsa_system_vgpr_workitem_id 0
		.amdhsa_next_free_vgpr 49
		.amdhsa_next_free_sgpr 8
		.amdhsa_accum_offset 52
		.amdhsa_reserve_vcc 1
		.amdhsa_reserve_flat_scratch 0
		.amdhsa_float_round_mode_32 0
		.amdhsa_float_round_mode_16_64 0
		.amdhsa_float_denorm_mode_32 3
		.amdhsa_float_denorm_mode_16_64 3
		.amdhsa_dx10_clamp 1
		.amdhsa_ieee_mode 1
		.amdhsa_fp16_overflow 0
		.amdhsa_tg_split 0
		.amdhsa_exception_fp_ieee_invalid_op 0
		.amdhsa_exception_fp_denorm_src 0
		.amdhsa_exception_fp_ieee_div_zero 0
		.amdhsa_exception_fp_ieee_overflow 0
		.amdhsa_exception_fp_ieee_underflow 0
		.amdhsa_exception_fp_ieee_inexact 0
		.amdhsa_exception_int_div_zero 0
	.end_amdhsa_kernel
	.section	.text._ZN7rocprim17ROCPRIM_400000_NS6detail17trampoline_kernelINS0_14default_configENS1_20scan_config_selectorIdEEZZNS1_9scan_implILNS1_25lookback_scan_determinismE0ELb0ELb0ES3_N6thrust23THRUST_200600_302600_NS6detail15normal_iteratorINS9_10device_ptrIdEEEENS9_16discard_iteratorINS9_11use_defaultEEEdNS9_4plusIvEEdEEDaPvRmT3_T4_T5_mT6_P12ihipStream_tbENKUlT_T0_E_clISt17integral_constantIbLb1EESX_EEDaSS_ST_EUlSS_E0_NS1_11comp_targetILNS1_3genE4ELNS1_11target_archE910ELNS1_3gpuE8ELNS1_3repE0EEENS1_30default_config_static_selectorELNS0_4arch9wavefront6targetE1EEEvT1_,"axG",@progbits,_ZN7rocprim17ROCPRIM_400000_NS6detail17trampoline_kernelINS0_14default_configENS1_20scan_config_selectorIdEEZZNS1_9scan_implILNS1_25lookback_scan_determinismE0ELb0ELb0ES3_N6thrust23THRUST_200600_302600_NS6detail15normal_iteratorINS9_10device_ptrIdEEEENS9_16discard_iteratorINS9_11use_defaultEEEdNS9_4plusIvEEdEEDaPvRmT3_T4_T5_mT6_P12ihipStream_tbENKUlT_T0_E_clISt17integral_constantIbLb1EESX_EEDaSS_ST_EUlSS_E0_NS1_11comp_targetILNS1_3genE4ELNS1_11target_archE910ELNS1_3gpuE8ELNS1_3repE0EEENS1_30default_config_static_selectorELNS0_4arch9wavefront6targetE1EEEvT1_,comdat
.Lfunc_end4891:
	.size	_ZN7rocprim17ROCPRIM_400000_NS6detail17trampoline_kernelINS0_14default_configENS1_20scan_config_selectorIdEEZZNS1_9scan_implILNS1_25lookback_scan_determinismE0ELb0ELb0ES3_N6thrust23THRUST_200600_302600_NS6detail15normal_iteratorINS9_10device_ptrIdEEEENS9_16discard_iteratorINS9_11use_defaultEEEdNS9_4plusIvEEdEEDaPvRmT3_T4_T5_mT6_P12ihipStream_tbENKUlT_T0_E_clISt17integral_constantIbLb1EESX_EEDaSS_ST_EUlSS_E0_NS1_11comp_targetILNS1_3genE4ELNS1_11target_archE910ELNS1_3gpuE8ELNS1_3repE0EEENS1_30default_config_static_selectorELNS0_4arch9wavefront6targetE1EEEvT1_, .Lfunc_end4891-_ZN7rocprim17ROCPRIM_400000_NS6detail17trampoline_kernelINS0_14default_configENS1_20scan_config_selectorIdEEZZNS1_9scan_implILNS1_25lookback_scan_determinismE0ELb0ELb0ES3_N6thrust23THRUST_200600_302600_NS6detail15normal_iteratorINS9_10device_ptrIdEEEENS9_16discard_iteratorINS9_11use_defaultEEEdNS9_4plusIvEEdEEDaPvRmT3_T4_T5_mT6_P12ihipStream_tbENKUlT_T0_E_clISt17integral_constantIbLb1EESX_EEDaSS_ST_EUlSS_E0_NS1_11comp_targetILNS1_3genE4ELNS1_11target_archE910ELNS1_3gpuE8ELNS1_3repE0EEENS1_30default_config_static_selectorELNS0_4arch9wavefront6targetE1EEEvT1_
                                        ; -- End function
	.section	.AMDGPU.csdata,"",@progbits
; Kernel info:
; codeLenInByte = 1388
; NumSgprs: 12
; NumVgprs: 49
; NumAgprs: 0
; TotalNumVgprs: 49
; ScratchSize: 0
; MemoryBound: 0
; FloatMode: 240
; IeeeMode: 1
; LDSByteSize: 10240 bytes/workgroup (compile time only)
; SGPRBlocks: 1
; VGPRBlocks: 6
; NumSGPRsForWavesPerEU: 12
; NumVGPRsForWavesPerEU: 49
; AccumOffset: 52
; Occupancy: 3
; WaveLimiterHint : 0
; COMPUTE_PGM_RSRC2:SCRATCH_EN: 0
; COMPUTE_PGM_RSRC2:USER_SGPR: 6
; COMPUTE_PGM_RSRC2:TRAP_HANDLER: 0
; COMPUTE_PGM_RSRC2:TGID_X_EN: 1
; COMPUTE_PGM_RSRC2:TGID_Y_EN: 0
; COMPUTE_PGM_RSRC2:TGID_Z_EN: 0
; COMPUTE_PGM_RSRC2:TIDIG_COMP_CNT: 0
; COMPUTE_PGM_RSRC3_GFX90A:ACCUM_OFFSET: 12
; COMPUTE_PGM_RSRC3_GFX90A:TG_SPLIT: 0
	.section	.text._ZN7rocprim17ROCPRIM_400000_NS6detail17trampoline_kernelINS0_14default_configENS1_20scan_config_selectorIdEEZZNS1_9scan_implILNS1_25lookback_scan_determinismE0ELb0ELb0ES3_N6thrust23THRUST_200600_302600_NS6detail15normal_iteratorINS9_10device_ptrIdEEEENS9_16discard_iteratorINS9_11use_defaultEEEdNS9_4plusIvEEdEEDaPvRmT3_T4_T5_mT6_P12ihipStream_tbENKUlT_T0_E_clISt17integral_constantIbLb1EESX_EEDaSS_ST_EUlSS_E0_NS1_11comp_targetILNS1_3genE3ELNS1_11target_archE908ELNS1_3gpuE7ELNS1_3repE0EEENS1_30default_config_static_selectorELNS0_4arch9wavefront6targetE1EEEvT1_,"axG",@progbits,_ZN7rocprim17ROCPRIM_400000_NS6detail17trampoline_kernelINS0_14default_configENS1_20scan_config_selectorIdEEZZNS1_9scan_implILNS1_25lookback_scan_determinismE0ELb0ELb0ES3_N6thrust23THRUST_200600_302600_NS6detail15normal_iteratorINS9_10device_ptrIdEEEENS9_16discard_iteratorINS9_11use_defaultEEEdNS9_4plusIvEEdEEDaPvRmT3_T4_T5_mT6_P12ihipStream_tbENKUlT_T0_E_clISt17integral_constantIbLb1EESX_EEDaSS_ST_EUlSS_E0_NS1_11comp_targetILNS1_3genE3ELNS1_11target_archE908ELNS1_3gpuE7ELNS1_3repE0EEENS1_30default_config_static_selectorELNS0_4arch9wavefront6targetE1EEEvT1_,comdat
	.protected	_ZN7rocprim17ROCPRIM_400000_NS6detail17trampoline_kernelINS0_14default_configENS1_20scan_config_selectorIdEEZZNS1_9scan_implILNS1_25lookback_scan_determinismE0ELb0ELb0ES3_N6thrust23THRUST_200600_302600_NS6detail15normal_iteratorINS9_10device_ptrIdEEEENS9_16discard_iteratorINS9_11use_defaultEEEdNS9_4plusIvEEdEEDaPvRmT3_T4_T5_mT6_P12ihipStream_tbENKUlT_T0_E_clISt17integral_constantIbLb1EESX_EEDaSS_ST_EUlSS_E0_NS1_11comp_targetILNS1_3genE3ELNS1_11target_archE908ELNS1_3gpuE7ELNS1_3repE0EEENS1_30default_config_static_selectorELNS0_4arch9wavefront6targetE1EEEvT1_ ; -- Begin function _ZN7rocprim17ROCPRIM_400000_NS6detail17trampoline_kernelINS0_14default_configENS1_20scan_config_selectorIdEEZZNS1_9scan_implILNS1_25lookback_scan_determinismE0ELb0ELb0ES3_N6thrust23THRUST_200600_302600_NS6detail15normal_iteratorINS9_10device_ptrIdEEEENS9_16discard_iteratorINS9_11use_defaultEEEdNS9_4plusIvEEdEEDaPvRmT3_T4_T5_mT6_P12ihipStream_tbENKUlT_T0_E_clISt17integral_constantIbLb1EESX_EEDaSS_ST_EUlSS_E0_NS1_11comp_targetILNS1_3genE3ELNS1_11target_archE908ELNS1_3gpuE7ELNS1_3repE0EEENS1_30default_config_static_selectorELNS0_4arch9wavefront6targetE1EEEvT1_
	.globl	_ZN7rocprim17ROCPRIM_400000_NS6detail17trampoline_kernelINS0_14default_configENS1_20scan_config_selectorIdEEZZNS1_9scan_implILNS1_25lookback_scan_determinismE0ELb0ELb0ES3_N6thrust23THRUST_200600_302600_NS6detail15normal_iteratorINS9_10device_ptrIdEEEENS9_16discard_iteratorINS9_11use_defaultEEEdNS9_4plusIvEEdEEDaPvRmT3_T4_T5_mT6_P12ihipStream_tbENKUlT_T0_E_clISt17integral_constantIbLb1EESX_EEDaSS_ST_EUlSS_E0_NS1_11comp_targetILNS1_3genE3ELNS1_11target_archE908ELNS1_3gpuE7ELNS1_3repE0EEENS1_30default_config_static_selectorELNS0_4arch9wavefront6targetE1EEEvT1_
	.p2align	8
	.type	_ZN7rocprim17ROCPRIM_400000_NS6detail17trampoline_kernelINS0_14default_configENS1_20scan_config_selectorIdEEZZNS1_9scan_implILNS1_25lookback_scan_determinismE0ELb0ELb0ES3_N6thrust23THRUST_200600_302600_NS6detail15normal_iteratorINS9_10device_ptrIdEEEENS9_16discard_iteratorINS9_11use_defaultEEEdNS9_4plusIvEEdEEDaPvRmT3_T4_T5_mT6_P12ihipStream_tbENKUlT_T0_E_clISt17integral_constantIbLb1EESX_EEDaSS_ST_EUlSS_E0_NS1_11comp_targetILNS1_3genE3ELNS1_11target_archE908ELNS1_3gpuE7ELNS1_3repE0EEENS1_30default_config_static_selectorELNS0_4arch9wavefront6targetE1EEEvT1_,@function
_ZN7rocprim17ROCPRIM_400000_NS6detail17trampoline_kernelINS0_14default_configENS1_20scan_config_selectorIdEEZZNS1_9scan_implILNS1_25lookback_scan_determinismE0ELb0ELb0ES3_N6thrust23THRUST_200600_302600_NS6detail15normal_iteratorINS9_10device_ptrIdEEEENS9_16discard_iteratorINS9_11use_defaultEEEdNS9_4plusIvEEdEEDaPvRmT3_T4_T5_mT6_P12ihipStream_tbENKUlT_T0_E_clISt17integral_constantIbLb1EESX_EEDaSS_ST_EUlSS_E0_NS1_11comp_targetILNS1_3genE3ELNS1_11target_archE908ELNS1_3gpuE7ELNS1_3repE0EEENS1_30default_config_static_selectorELNS0_4arch9wavefront6targetE1EEEvT1_: ; @_ZN7rocprim17ROCPRIM_400000_NS6detail17trampoline_kernelINS0_14default_configENS1_20scan_config_selectorIdEEZZNS1_9scan_implILNS1_25lookback_scan_determinismE0ELb0ELb0ES3_N6thrust23THRUST_200600_302600_NS6detail15normal_iteratorINS9_10device_ptrIdEEEENS9_16discard_iteratorINS9_11use_defaultEEEdNS9_4plusIvEEdEEDaPvRmT3_T4_T5_mT6_P12ihipStream_tbENKUlT_T0_E_clISt17integral_constantIbLb1EESX_EEDaSS_ST_EUlSS_E0_NS1_11comp_targetILNS1_3genE3ELNS1_11target_archE908ELNS1_3gpuE7ELNS1_3repE0EEENS1_30default_config_static_selectorELNS0_4arch9wavefront6targetE1EEEvT1_
; %bb.0:
	.section	.rodata,"a",@progbits
	.p2align	6, 0x0
	.amdhsa_kernel _ZN7rocprim17ROCPRIM_400000_NS6detail17trampoline_kernelINS0_14default_configENS1_20scan_config_selectorIdEEZZNS1_9scan_implILNS1_25lookback_scan_determinismE0ELb0ELb0ES3_N6thrust23THRUST_200600_302600_NS6detail15normal_iteratorINS9_10device_ptrIdEEEENS9_16discard_iteratorINS9_11use_defaultEEEdNS9_4plusIvEEdEEDaPvRmT3_T4_T5_mT6_P12ihipStream_tbENKUlT_T0_E_clISt17integral_constantIbLb1EESX_EEDaSS_ST_EUlSS_E0_NS1_11comp_targetILNS1_3genE3ELNS1_11target_archE908ELNS1_3gpuE7ELNS1_3repE0EEENS1_30default_config_static_selectorELNS0_4arch9wavefront6targetE1EEEvT1_
		.amdhsa_group_segment_fixed_size 0
		.amdhsa_private_segment_fixed_size 0
		.amdhsa_kernarg_size 48
		.amdhsa_user_sgpr_count 6
		.amdhsa_user_sgpr_private_segment_buffer 1
		.amdhsa_user_sgpr_dispatch_ptr 0
		.amdhsa_user_sgpr_queue_ptr 0
		.amdhsa_user_sgpr_kernarg_segment_ptr 1
		.amdhsa_user_sgpr_dispatch_id 0
		.amdhsa_user_sgpr_flat_scratch_init 0
		.amdhsa_user_sgpr_kernarg_preload_length 0
		.amdhsa_user_sgpr_kernarg_preload_offset 0
		.amdhsa_user_sgpr_private_segment_size 0
		.amdhsa_uses_dynamic_stack 0
		.amdhsa_system_sgpr_private_segment_wavefront_offset 0
		.amdhsa_system_sgpr_workgroup_id_x 1
		.amdhsa_system_sgpr_workgroup_id_y 0
		.amdhsa_system_sgpr_workgroup_id_z 0
		.amdhsa_system_sgpr_workgroup_info 0
		.amdhsa_system_vgpr_workitem_id 0
		.amdhsa_next_free_vgpr 1
		.amdhsa_next_free_sgpr 0
		.amdhsa_accum_offset 4
		.amdhsa_reserve_vcc 0
		.amdhsa_reserve_flat_scratch 0
		.amdhsa_float_round_mode_32 0
		.amdhsa_float_round_mode_16_64 0
		.amdhsa_float_denorm_mode_32 3
		.amdhsa_float_denorm_mode_16_64 3
		.amdhsa_dx10_clamp 1
		.amdhsa_ieee_mode 1
		.amdhsa_fp16_overflow 0
		.amdhsa_tg_split 0
		.amdhsa_exception_fp_ieee_invalid_op 0
		.amdhsa_exception_fp_denorm_src 0
		.amdhsa_exception_fp_ieee_div_zero 0
		.amdhsa_exception_fp_ieee_overflow 0
		.amdhsa_exception_fp_ieee_underflow 0
		.amdhsa_exception_fp_ieee_inexact 0
		.amdhsa_exception_int_div_zero 0
	.end_amdhsa_kernel
	.section	.text._ZN7rocprim17ROCPRIM_400000_NS6detail17trampoline_kernelINS0_14default_configENS1_20scan_config_selectorIdEEZZNS1_9scan_implILNS1_25lookback_scan_determinismE0ELb0ELb0ES3_N6thrust23THRUST_200600_302600_NS6detail15normal_iteratorINS9_10device_ptrIdEEEENS9_16discard_iteratorINS9_11use_defaultEEEdNS9_4plusIvEEdEEDaPvRmT3_T4_T5_mT6_P12ihipStream_tbENKUlT_T0_E_clISt17integral_constantIbLb1EESX_EEDaSS_ST_EUlSS_E0_NS1_11comp_targetILNS1_3genE3ELNS1_11target_archE908ELNS1_3gpuE7ELNS1_3repE0EEENS1_30default_config_static_selectorELNS0_4arch9wavefront6targetE1EEEvT1_,"axG",@progbits,_ZN7rocprim17ROCPRIM_400000_NS6detail17trampoline_kernelINS0_14default_configENS1_20scan_config_selectorIdEEZZNS1_9scan_implILNS1_25lookback_scan_determinismE0ELb0ELb0ES3_N6thrust23THRUST_200600_302600_NS6detail15normal_iteratorINS9_10device_ptrIdEEEENS9_16discard_iteratorINS9_11use_defaultEEEdNS9_4plusIvEEdEEDaPvRmT3_T4_T5_mT6_P12ihipStream_tbENKUlT_T0_E_clISt17integral_constantIbLb1EESX_EEDaSS_ST_EUlSS_E0_NS1_11comp_targetILNS1_3genE3ELNS1_11target_archE908ELNS1_3gpuE7ELNS1_3repE0EEENS1_30default_config_static_selectorELNS0_4arch9wavefront6targetE1EEEvT1_,comdat
.Lfunc_end4892:
	.size	_ZN7rocprim17ROCPRIM_400000_NS6detail17trampoline_kernelINS0_14default_configENS1_20scan_config_selectorIdEEZZNS1_9scan_implILNS1_25lookback_scan_determinismE0ELb0ELb0ES3_N6thrust23THRUST_200600_302600_NS6detail15normal_iteratorINS9_10device_ptrIdEEEENS9_16discard_iteratorINS9_11use_defaultEEEdNS9_4plusIvEEdEEDaPvRmT3_T4_T5_mT6_P12ihipStream_tbENKUlT_T0_E_clISt17integral_constantIbLb1EESX_EEDaSS_ST_EUlSS_E0_NS1_11comp_targetILNS1_3genE3ELNS1_11target_archE908ELNS1_3gpuE7ELNS1_3repE0EEENS1_30default_config_static_selectorELNS0_4arch9wavefront6targetE1EEEvT1_, .Lfunc_end4892-_ZN7rocprim17ROCPRIM_400000_NS6detail17trampoline_kernelINS0_14default_configENS1_20scan_config_selectorIdEEZZNS1_9scan_implILNS1_25lookback_scan_determinismE0ELb0ELb0ES3_N6thrust23THRUST_200600_302600_NS6detail15normal_iteratorINS9_10device_ptrIdEEEENS9_16discard_iteratorINS9_11use_defaultEEEdNS9_4plusIvEEdEEDaPvRmT3_T4_T5_mT6_P12ihipStream_tbENKUlT_T0_E_clISt17integral_constantIbLb1EESX_EEDaSS_ST_EUlSS_E0_NS1_11comp_targetILNS1_3genE3ELNS1_11target_archE908ELNS1_3gpuE7ELNS1_3repE0EEENS1_30default_config_static_selectorELNS0_4arch9wavefront6targetE1EEEvT1_
                                        ; -- End function
	.section	.AMDGPU.csdata,"",@progbits
; Kernel info:
; codeLenInByte = 0
; NumSgprs: 4
; NumVgprs: 0
; NumAgprs: 0
; TotalNumVgprs: 0
; ScratchSize: 0
; MemoryBound: 0
; FloatMode: 240
; IeeeMode: 1
; LDSByteSize: 0 bytes/workgroup (compile time only)
; SGPRBlocks: 0
; VGPRBlocks: 0
; NumSGPRsForWavesPerEU: 4
; NumVGPRsForWavesPerEU: 1
; AccumOffset: 4
; Occupancy: 8
; WaveLimiterHint : 0
; COMPUTE_PGM_RSRC2:SCRATCH_EN: 0
; COMPUTE_PGM_RSRC2:USER_SGPR: 6
; COMPUTE_PGM_RSRC2:TRAP_HANDLER: 0
; COMPUTE_PGM_RSRC2:TGID_X_EN: 1
; COMPUTE_PGM_RSRC2:TGID_Y_EN: 0
; COMPUTE_PGM_RSRC2:TGID_Z_EN: 0
; COMPUTE_PGM_RSRC2:TIDIG_COMP_CNT: 0
; COMPUTE_PGM_RSRC3_GFX90A:ACCUM_OFFSET: 0
; COMPUTE_PGM_RSRC3_GFX90A:TG_SPLIT: 0
	.section	.text._ZN7rocprim17ROCPRIM_400000_NS6detail17trampoline_kernelINS0_14default_configENS1_20scan_config_selectorIdEEZZNS1_9scan_implILNS1_25lookback_scan_determinismE0ELb0ELb0ES3_N6thrust23THRUST_200600_302600_NS6detail15normal_iteratorINS9_10device_ptrIdEEEENS9_16discard_iteratorINS9_11use_defaultEEEdNS9_4plusIvEEdEEDaPvRmT3_T4_T5_mT6_P12ihipStream_tbENKUlT_T0_E_clISt17integral_constantIbLb1EESX_EEDaSS_ST_EUlSS_E0_NS1_11comp_targetILNS1_3genE2ELNS1_11target_archE906ELNS1_3gpuE6ELNS1_3repE0EEENS1_30default_config_static_selectorELNS0_4arch9wavefront6targetE1EEEvT1_,"axG",@progbits,_ZN7rocprim17ROCPRIM_400000_NS6detail17trampoline_kernelINS0_14default_configENS1_20scan_config_selectorIdEEZZNS1_9scan_implILNS1_25lookback_scan_determinismE0ELb0ELb0ES3_N6thrust23THRUST_200600_302600_NS6detail15normal_iteratorINS9_10device_ptrIdEEEENS9_16discard_iteratorINS9_11use_defaultEEEdNS9_4plusIvEEdEEDaPvRmT3_T4_T5_mT6_P12ihipStream_tbENKUlT_T0_E_clISt17integral_constantIbLb1EESX_EEDaSS_ST_EUlSS_E0_NS1_11comp_targetILNS1_3genE2ELNS1_11target_archE906ELNS1_3gpuE6ELNS1_3repE0EEENS1_30default_config_static_selectorELNS0_4arch9wavefront6targetE1EEEvT1_,comdat
	.protected	_ZN7rocprim17ROCPRIM_400000_NS6detail17trampoline_kernelINS0_14default_configENS1_20scan_config_selectorIdEEZZNS1_9scan_implILNS1_25lookback_scan_determinismE0ELb0ELb0ES3_N6thrust23THRUST_200600_302600_NS6detail15normal_iteratorINS9_10device_ptrIdEEEENS9_16discard_iteratorINS9_11use_defaultEEEdNS9_4plusIvEEdEEDaPvRmT3_T4_T5_mT6_P12ihipStream_tbENKUlT_T0_E_clISt17integral_constantIbLb1EESX_EEDaSS_ST_EUlSS_E0_NS1_11comp_targetILNS1_3genE2ELNS1_11target_archE906ELNS1_3gpuE6ELNS1_3repE0EEENS1_30default_config_static_selectorELNS0_4arch9wavefront6targetE1EEEvT1_ ; -- Begin function _ZN7rocprim17ROCPRIM_400000_NS6detail17trampoline_kernelINS0_14default_configENS1_20scan_config_selectorIdEEZZNS1_9scan_implILNS1_25lookback_scan_determinismE0ELb0ELb0ES3_N6thrust23THRUST_200600_302600_NS6detail15normal_iteratorINS9_10device_ptrIdEEEENS9_16discard_iteratorINS9_11use_defaultEEEdNS9_4plusIvEEdEEDaPvRmT3_T4_T5_mT6_P12ihipStream_tbENKUlT_T0_E_clISt17integral_constantIbLb1EESX_EEDaSS_ST_EUlSS_E0_NS1_11comp_targetILNS1_3genE2ELNS1_11target_archE906ELNS1_3gpuE6ELNS1_3repE0EEENS1_30default_config_static_selectorELNS0_4arch9wavefront6targetE1EEEvT1_
	.globl	_ZN7rocprim17ROCPRIM_400000_NS6detail17trampoline_kernelINS0_14default_configENS1_20scan_config_selectorIdEEZZNS1_9scan_implILNS1_25lookback_scan_determinismE0ELb0ELb0ES3_N6thrust23THRUST_200600_302600_NS6detail15normal_iteratorINS9_10device_ptrIdEEEENS9_16discard_iteratorINS9_11use_defaultEEEdNS9_4plusIvEEdEEDaPvRmT3_T4_T5_mT6_P12ihipStream_tbENKUlT_T0_E_clISt17integral_constantIbLb1EESX_EEDaSS_ST_EUlSS_E0_NS1_11comp_targetILNS1_3genE2ELNS1_11target_archE906ELNS1_3gpuE6ELNS1_3repE0EEENS1_30default_config_static_selectorELNS0_4arch9wavefront6targetE1EEEvT1_
	.p2align	8
	.type	_ZN7rocprim17ROCPRIM_400000_NS6detail17trampoline_kernelINS0_14default_configENS1_20scan_config_selectorIdEEZZNS1_9scan_implILNS1_25lookback_scan_determinismE0ELb0ELb0ES3_N6thrust23THRUST_200600_302600_NS6detail15normal_iteratorINS9_10device_ptrIdEEEENS9_16discard_iteratorINS9_11use_defaultEEEdNS9_4plusIvEEdEEDaPvRmT3_T4_T5_mT6_P12ihipStream_tbENKUlT_T0_E_clISt17integral_constantIbLb1EESX_EEDaSS_ST_EUlSS_E0_NS1_11comp_targetILNS1_3genE2ELNS1_11target_archE906ELNS1_3gpuE6ELNS1_3repE0EEENS1_30default_config_static_selectorELNS0_4arch9wavefront6targetE1EEEvT1_,@function
_ZN7rocprim17ROCPRIM_400000_NS6detail17trampoline_kernelINS0_14default_configENS1_20scan_config_selectorIdEEZZNS1_9scan_implILNS1_25lookback_scan_determinismE0ELb0ELb0ES3_N6thrust23THRUST_200600_302600_NS6detail15normal_iteratorINS9_10device_ptrIdEEEENS9_16discard_iteratorINS9_11use_defaultEEEdNS9_4plusIvEEdEEDaPvRmT3_T4_T5_mT6_P12ihipStream_tbENKUlT_T0_E_clISt17integral_constantIbLb1EESX_EEDaSS_ST_EUlSS_E0_NS1_11comp_targetILNS1_3genE2ELNS1_11target_archE906ELNS1_3gpuE6ELNS1_3repE0EEENS1_30default_config_static_selectorELNS0_4arch9wavefront6targetE1EEEvT1_: ; @_ZN7rocprim17ROCPRIM_400000_NS6detail17trampoline_kernelINS0_14default_configENS1_20scan_config_selectorIdEEZZNS1_9scan_implILNS1_25lookback_scan_determinismE0ELb0ELb0ES3_N6thrust23THRUST_200600_302600_NS6detail15normal_iteratorINS9_10device_ptrIdEEEENS9_16discard_iteratorINS9_11use_defaultEEEdNS9_4plusIvEEdEEDaPvRmT3_T4_T5_mT6_P12ihipStream_tbENKUlT_T0_E_clISt17integral_constantIbLb1EESX_EEDaSS_ST_EUlSS_E0_NS1_11comp_targetILNS1_3genE2ELNS1_11target_archE906ELNS1_3gpuE6ELNS1_3repE0EEENS1_30default_config_static_selectorELNS0_4arch9wavefront6targetE1EEEvT1_
; %bb.0:
	.section	.rodata,"a",@progbits
	.p2align	6, 0x0
	.amdhsa_kernel _ZN7rocprim17ROCPRIM_400000_NS6detail17trampoline_kernelINS0_14default_configENS1_20scan_config_selectorIdEEZZNS1_9scan_implILNS1_25lookback_scan_determinismE0ELb0ELb0ES3_N6thrust23THRUST_200600_302600_NS6detail15normal_iteratorINS9_10device_ptrIdEEEENS9_16discard_iteratorINS9_11use_defaultEEEdNS9_4plusIvEEdEEDaPvRmT3_T4_T5_mT6_P12ihipStream_tbENKUlT_T0_E_clISt17integral_constantIbLb1EESX_EEDaSS_ST_EUlSS_E0_NS1_11comp_targetILNS1_3genE2ELNS1_11target_archE906ELNS1_3gpuE6ELNS1_3repE0EEENS1_30default_config_static_selectorELNS0_4arch9wavefront6targetE1EEEvT1_
		.amdhsa_group_segment_fixed_size 0
		.amdhsa_private_segment_fixed_size 0
		.amdhsa_kernarg_size 48
		.amdhsa_user_sgpr_count 6
		.amdhsa_user_sgpr_private_segment_buffer 1
		.amdhsa_user_sgpr_dispatch_ptr 0
		.amdhsa_user_sgpr_queue_ptr 0
		.amdhsa_user_sgpr_kernarg_segment_ptr 1
		.amdhsa_user_sgpr_dispatch_id 0
		.amdhsa_user_sgpr_flat_scratch_init 0
		.amdhsa_user_sgpr_kernarg_preload_length 0
		.amdhsa_user_sgpr_kernarg_preload_offset 0
		.amdhsa_user_sgpr_private_segment_size 0
		.amdhsa_uses_dynamic_stack 0
		.amdhsa_system_sgpr_private_segment_wavefront_offset 0
		.amdhsa_system_sgpr_workgroup_id_x 1
		.amdhsa_system_sgpr_workgroup_id_y 0
		.amdhsa_system_sgpr_workgroup_id_z 0
		.amdhsa_system_sgpr_workgroup_info 0
		.amdhsa_system_vgpr_workitem_id 0
		.amdhsa_next_free_vgpr 1
		.amdhsa_next_free_sgpr 0
		.amdhsa_accum_offset 4
		.amdhsa_reserve_vcc 0
		.amdhsa_reserve_flat_scratch 0
		.amdhsa_float_round_mode_32 0
		.amdhsa_float_round_mode_16_64 0
		.amdhsa_float_denorm_mode_32 3
		.amdhsa_float_denorm_mode_16_64 3
		.amdhsa_dx10_clamp 1
		.amdhsa_ieee_mode 1
		.amdhsa_fp16_overflow 0
		.amdhsa_tg_split 0
		.amdhsa_exception_fp_ieee_invalid_op 0
		.amdhsa_exception_fp_denorm_src 0
		.amdhsa_exception_fp_ieee_div_zero 0
		.amdhsa_exception_fp_ieee_overflow 0
		.amdhsa_exception_fp_ieee_underflow 0
		.amdhsa_exception_fp_ieee_inexact 0
		.amdhsa_exception_int_div_zero 0
	.end_amdhsa_kernel
	.section	.text._ZN7rocprim17ROCPRIM_400000_NS6detail17trampoline_kernelINS0_14default_configENS1_20scan_config_selectorIdEEZZNS1_9scan_implILNS1_25lookback_scan_determinismE0ELb0ELb0ES3_N6thrust23THRUST_200600_302600_NS6detail15normal_iteratorINS9_10device_ptrIdEEEENS9_16discard_iteratorINS9_11use_defaultEEEdNS9_4plusIvEEdEEDaPvRmT3_T4_T5_mT6_P12ihipStream_tbENKUlT_T0_E_clISt17integral_constantIbLb1EESX_EEDaSS_ST_EUlSS_E0_NS1_11comp_targetILNS1_3genE2ELNS1_11target_archE906ELNS1_3gpuE6ELNS1_3repE0EEENS1_30default_config_static_selectorELNS0_4arch9wavefront6targetE1EEEvT1_,"axG",@progbits,_ZN7rocprim17ROCPRIM_400000_NS6detail17trampoline_kernelINS0_14default_configENS1_20scan_config_selectorIdEEZZNS1_9scan_implILNS1_25lookback_scan_determinismE0ELb0ELb0ES3_N6thrust23THRUST_200600_302600_NS6detail15normal_iteratorINS9_10device_ptrIdEEEENS9_16discard_iteratorINS9_11use_defaultEEEdNS9_4plusIvEEdEEDaPvRmT3_T4_T5_mT6_P12ihipStream_tbENKUlT_T0_E_clISt17integral_constantIbLb1EESX_EEDaSS_ST_EUlSS_E0_NS1_11comp_targetILNS1_3genE2ELNS1_11target_archE906ELNS1_3gpuE6ELNS1_3repE0EEENS1_30default_config_static_selectorELNS0_4arch9wavefront6targetE1EEEvT1_,comdat
.Lfunc_end4893:
	.size	_ZN7rocprim17ROCPRIM_400000_NS6detail17trampoline_kernelINS0_14default_configENS1_20scan_config_selectorIdEEZZNS1_9scan_implILNS1_25lookback_scan_determinismE0ELb0ELb0ES3_N6thrust23THRUST_200600_302600_NS6detail15normal_iteratorINS9_10device_ptrIdEEEENS9_16discard_iteratorINS9_11use_defaultEEEdNS9_4plusIvEEdEEDaPvRmT3_T4_T5_mT6_P12ihipStream_tbENKUlT_T0_E_clISt17integral_constantIbLb1EESX_EEDaSS_ST_EUlSS_E0_NS1_11comp_targetILNS1_3genE2ELNS1_11target_archE906ELNS1_3gpuE6ELNS1_3repE0EEENS1_30default_config_static_selectorELNS0_4arch9wavefront6targetE1EEEvT1_, .Lfunc_end4893-_ZN7rocprim17ROCPRIM_400000_NS6detail17trampoline_kernelINS0_14default_configENS1_20scan_config_selectorIdEEZZNS1_9scan_implILNS1_25lookback_scan_determinismE0ELb0ELb0ES3_N6thrust23THRUST_200600_302600_NS6detail15normal_iteratorINS9_10device_ptrIdEEEENS9_16discard_iteratorINS9_11use_defaultEEEdNS9_4plusIvEEdEEDaPvRmT3_T4_T5_mT6_P12ihipStream_tbENKUlT_T0_E_clISt17integral_constantIbLb1EESX_EEDaSS_ST_EUlSS_E0_NS1_11comp_targetILNS1_3genE2ELNS1_11target_archE906ELNS1_3gpuE6ELNS1_3repE0EEENS1_30default_config_static_selectorELNS0_4arch9wavefront6targetE1EEEvT1_
                                        ; -- End function
	.section	.AMDGPU.csdata,"",@progbits
; Kernel info:
; codeLenInByte = 0
; NumSgprs: 4
; NumVgprs: 0
; NumAgprs: 0
; TotalNumVgprs: 0
; ScratchSize: 0
; MemoryBound: 0
; FloatMode: 240
; IeeeMode: 1
; LDSByteSize: 0 bytes/workgroup (compile time only)
; SGPRBlocks: 0
; VGPRBlocks: 0
; NumSGPRsForWavesPerEU: 4
; NumVGPRsForWavesPerEU: 1
; AccumOffset: 4
; Occupancy: 8
; WaveLimiterHint : 0
; COMPUTE_PGM_RSRC2:SCRATCH_EN: 0
; COMPUTE_PGM_RSRC2:USER_SGPR: 6
; COMPUTE_PGM_RSRC2:TRAP_HANDLER: 0
; COMPUTE_PGM_RSRC2:TGID_X_EN: 1
; COMPUTE_PGM_RSRC2:TGID_Y_EN: 0
; COMPUTE_PGM_RSRC2:TGID_Z_EN: 0
; COMPUTE_PGM_RSRC2:TIDIG_COMP_CNT: 0
; COMPUTE_PGM_RSRC3_GFX90A:ACCUM_OFFSET: 0
; COMPUTE_PGM_RSRC3_GFX90A:TG_SPLIT: 0
	.section	.text._ZN7rocprim17ROCPRIM_400000_NS6detail17trampoline_kernelINS0_14default_configENS1_20scan_config_selectorIdEEZZNS1_9scan_implILNS1_25lookback_scan_determinismE0ELb0ELb0ES3_N6thrust23THRUST_200600_302600_NS6detail15normal_iteratorINS9_10device_ptrIdEEEENS9_16discard_iteratorINS9_11use_defaultEEEdNS9_4plusIvEEdEEDaPvRmT3_T4_T5_mT6_P12ihipStream_tbENKUlT_T0_E_clISt17integral_constantIbLb1EESX_EEDaSS_ST_EUlSS_E0_NS1_11comp_targetILNS1_3genE10ELNS1_11target_archE1201ELNS1_3gpuE5ELNS1_3repE0EEENS1_30default_config_static_selectorELNS0_4arch9wavefront6targetE1EEEvT1_,"axG",@progbits,_ZN7rocprim17ROCPRIM_400000_NS6detail17trampoline_kernelINS0_14default_configENS1_20scan_config_selectorIdEEZZNS1_9scan_implILNS1_25lookback_scan_determinismE0ELb0ELb0ES3_N6thrust23THRUST_200600_302600_NS6detail15normal_iteratorINS9_10device_ptrIdEEEENS9_16discard_iteratorINS9_11use_defaultEEEdNS9_4plusIvEEdEEDaPvRmT3_T4_T5_mT6_P12ihipStream_tbENKUlT_T0_E_clISt17integral_constantIbLb1EESX_EEDaSS_ST_EUlSS_E0_NS1_11comp_targetILNS1_3genE10ELNS1_11target_archE1201ELNS1_3gpuE5ELNS1_3repE0EEENS1_30default_config_static_selectorELNS0_4arch9wavefront6targetE1EEEvT1_,comdat
	.protected	_ZN7rocprim17ROCPRIM_400000_NS6detail17trampoline_kernelINS0_14default_configENS1_20scan_config_selectorIdEEZZNS1_9scan_implILNS1_25lookback_scan_determinismE0ELb0ELb0ES3_N6thrust23THRUST_200600_302600_NS6detail15normal_iteratorINS9_10device_ptrIdEEEENS9_16discard_iteratorINS9_11use_defaultEEEdNS9_4plusIvEEdEEDaPvRmT3_T4_T5_mT6_P12ihipStream_tbENKUlT_T0_E_clISt17integral_constantIbLb1EESX_EEDaSS_ST_EUlSS_E0_NS1_11comp_targetILNS1_3genE10ELNS1_11target_archE1201ELNS1_3gpuE5ELNS1_3repE0EEENS1_30default_config_static_selectorELNS0_4arch9wavefront6targetE1EEEvT1_ ; -- Begin function _ZN7rocprim17ROCPRIM_400000_NS6detail17trampoline_kernelINS0_14default_configENS1_20scan_config_selectorIdEEZZNS1_9scan_implILNS1_25lookback_scan_determinismE0ELb0ELb0ES3_N6thrust23THRUST_200600_302600_NS6detail15normal_iteratorINS9_10device_ptrIdEEEENS9_16discard_iteratorINS9_11use_defaultEEEdNS9_4plusIvEEdEEDaPvRmT3_T4_T5_mT6_P12ihipStream_tbENKUlT_T0_E_clISt17integral_constantIbLb1EESX_EEDaSS_ST_EUlSS_E0_NS1_11comp_targetILNS1_3genE10ELNS1_11target_archE1201ELNS1_3gpuE5ELNS1_3repE0EEENS1_30default_config_static_selectorELNS0_4arch9wavefront6targetE1EEEvT1_
	.globl	_ZN7rocprim17ROCPRIM_400000_NS6detail17trampoline_kernelINS0_14default_configENS1_20scan_config_selectorIdEEZZNS1_9scan_implILNS1_25lookback_scan_determinismE0ELb0ELb0ES3_N6thrust23THRUST_200600_302600_NS6detail15normal_iteratorINS9_10device_ptrIdEEEENS9_16discard_iteratorINS9_11use_defaultEEEdNS9_4plusIvEEdEEDaPvRmT3_T4_T5_mT6_P12ihipStream_tbENKUlT_T0_E_clISt17integral_constantIbLb1EESX_EEDaSS_ST_EUlSS_E0_NS1_11comp_targetILNS1_3genE10ELNS1_11target_archE1201ELNS1_3gpuE5ELNS1_3repE0EEENS1_30default_config_static_selectorELNS0_4arch9wavefront6targetE1EEEvT1_
	.p2align	8
	.type	_ZN7rocprim17ROCPRIM_400000_NS6detail17trampoline_kernelINS0_14default_configENS1_20scan_config_selectorIdEEZZNS1_9scan_implILNS1_25lookback_scan_determinismE0ELb0ELb0ES3_N6thrust23THRUST_200600_302600_NS6detail15normal_iteratorINS9_10device_ptrIdEEEENS9_16discard_iteratorINS9_11use_defaultEEEdNS9_4plusIvEEdEEDaPvRmT3_T4_T5_mT6_P12ihipStream_tbENKUlT_T0_E_clISt17integral_constantIbLb1EESX_EEDaSS_ST_EUlSS_E0_NS1_11comp_targetILNS1_3genE10ELNS1_11target_archE1201ELNS1_3gpuE5ELNS1_3repE0EEENS1_30default_config_static_selectorELNS0_4arch9wavefront6targetE1EEEvT1_,@function
_ZN7rocprim17ROCPRIM_400000_NS6detail17trampoline_kernelINS0_14default_configENS1_20scan_config_selectorIdEEZZNS1_9scan_implILNS1_25lookback_scan_determinismE0ELb0ELb0ES3_N6thrust23THRUST_200600_302600_NS6detail15normal_iteratorINS9_10device_ptrIdEEEENS9_16discard_iteratorINS9_11use_defaultEEEdNS9_4plusIvEEdEEDaPvRmT3_T4_T5_mT6_P12ihipStream_tbENKUlT_T0_E_clISt17integral_constantIbLb1EESX_EEDaSS_ST_EUlSS_E0_NS1_11comp_targetILNS1_3genE10ELNS1_11target_archE1201ELNS1_3gpuE5ELNS1_3repE0EEENS1_30default_config_static_selectorELNS0_4arch9wavefront6targetE1EEEvT1_: ; @_ZN7rocprim17ROCPRIM_400000_NS6detail17trampoline_kernelINS0_14default_configENS1_20scan_config_selectorIdEEZZNS1_9scan_implILNS1_25lookback_scan_determinismE0ELb0ELb0ES3_N6thrust23THRUST_200600_302600_NS6detail15normal_iteratorINS9_10device_ptrIdEEEENS9_16discard_iteratorINS9_11use_defaultEEEdNS9_4plusIvEEdEEDaPvRmT3_T4_T5_mT6_P12ihipStream_tbENKUlT_T0_E_clISt17integral_constantIbLb1EESX_EEDaSS_ST_EUlSS_E0_NS1_11comp_targetILNS1_3genE10ELNS1_11target_archE1201ELNS1_3gpuE5ELNS1_3repE0EEENS1_30default_config_static_selectorELNS0_4arch9wavefront6targetE1EEEvT1_
; %bb.0:
	.section	.rodata,"a",@progbits
	.p2align	6, 0x0
	.amdhsa_kernel _ZN7rocprim17ROCPRIM_400000_NS6detail17trampoline_kernelINS0_14default_configENS1_20scan_config_selectorIdEEZZNS1_9scan_implILNS1_25lookback_scan_determinismE0ELb0ELb0ES3_N6thrust23THRUST_200600_302600_NS6detail15normal_iteratorINS9_10device_ptrIdEEEENS9_16discard_iteratorINS9_11use_defaultEEEdNS9_4plusIvEEdEEDaPvRmT3_T4_T5_mT6_P12ihipStream_tbENKUlT_T0_E_clISt17integral_constantIbLb1EESX_EEDaSS_ST_EUlSS_E0_NS1_11comp_targetILNS1_3genE10ELNS1_11target_archE1201ELNS1_3gpuE5ELNS1_3repE0EEENS1_30default_config_static_selectorELNS0_4arch9wavefront6targetE1EEEvT1_
		.amdhsa_group_segment_fixed_size 0
		.amdhsa_private_segment_fixed_size 0
		.amdhsa_kernarg_size 48
		.amdhsa_user_sgpr_count 6
		.amdhsa_user_sgpr_private_segment_buffer 1
		.amdhsa_user_sgpr_dispatch_ptr 0
		.amdhsa_user_sgpr_queue_ptr 0
		.amdhsa_user_sgpr_kernarg_segment_ptr 1
		.amdhsa_user_sgpr_dispatch_id 0
		.amdhsa_user_sgpr_flat_scratch_init 0
		.amdhsa_user_sgpr_kernarg_preload_length 0
		.amdhsa_user_sgpr_kernarg_preload_offset 0
		.amdhsa_user_sgpr_private_segment_size 0
		.amdhsa_uses_dynamic_stack 0
		.amdhsa_system_sgpr_private_segment_wavefront_offset 0
		.amdhsa_system_sgpr_workgroup_id_x 1
		.amdhsa_system_sgpr_workgroup_id_y 0
		.amdhsa_system_sgpr_workgroup_id_z 0
		.amdhsa_system_sgpr_workgroup_info 0
		.amdhsa_system_vgpr_workitem_id 0
		.amdhsa_next_free_vgpr 1
		.amdhsa_next_free_sgpr 0
		.amdhsa_accum_offset 4
		.amdhsa_reserve_vcc 0
		.amdhsa_reserve_flat_scratch 0
		.amdhsa_float_round_mode_32 0
		.amdhsa_float_round_mode_16_64 0
		.amdhsa_float_denorm_mode_32 3
		.amdhsa_float_denorm_mode_16_64 3
		.amdhsa_dx10_clamp 1
		.amdhsa_ieee_mode 1
		.amdhsa_fp16_overflow 0
		.amdhsa_tg_split 0
		.amdhsa_exception_fp_ieee_invalid_op 0
		.amdhsa_exception_fp_denorm_src 0
		.amdhsa_exception_fp_ieee_div_zero 0
		.amdhsa_exception_fp_ieee_overflow 0
		.amdhsa_exception_fp_ieee_underflow 0
		.amdhsa_exception_fp_ieee_inexact 0
		.amdhsa_exception_int_div_zero 0
	.end_amdhsa_kernel
	.section	.text._ZN7rocprim17ROCPRIM_400000_NS6detail17trampoline_kernelINS0_14default_configENS1_20scan_config_selectorIdEEZZNS1_9scan_implILNS1_25lookback_scan_determinismE0ELb0ELb0ES3_N6thrust23THRUST_200600_302600_NS6detail15normal_iteratorINS9_10device_ptrIdEEEENS9_16discard_iteratorINS9_11use_defaultEEEdNS9_4plusIvEEdEEDaPvRmT3_T4_T5_mT6_P12ihipStream_tbENKUlT_T0_E_clISt17integral_constantIbLb1EESX_EEDaSS_ST_EUlSS_E0_NS1_11comp_targetILNS1_3genE10ELNS1_11target_archE1201ELNS1_3gpuE5ELNS1_3repE0EEENS1_30default_config_static_selectorELNS0_4arch9wavefront6targetE1EEEvT1_,"axG",@progbits,_ZN7rocprim17ROCPRIM_400000_NS6detail17trampoline_kernelINS0_14default_configENS1_20scan_config_selectorIdEEZZNS1_9scan_implILNS1_25lookback_scan_determinismE0ELb0ELb0ES3_N6thrust23THRUST_200600_302600_NS6detail15normal_iteratorINS9_10device_ptrIdEEEENS9_16discard_iteratorINS9_11use_defaultEEEdNS9_4plusIvEEdEEDaPvRmT3_T4_T5_mT6_P12ihipStream_tbENKUlT_T0_E_clISt17integral_constantIbLb1EESX_EEDaSS_ST_EUlSS_E0_NS1_11comp_targetILNS1_3genE10ELNS1_11target_archE1201ELNS1_3gpuE5ELNS1_3repE0EEENS1_30default_config_static_selectorELNS0_4arch9wavefront6targetE1EEEvT1_,comdat
.Lfunc_end4894:
	.size	_ZN7rocprim17ROCPRIM_400000_NS6detail17trampoline_kernelINS0_14default_configENS1_20scan_config_selectorIdEEZZNS1_9scan_implILNS1_25lookback_scan_determinismE0ELb0ELb0ES3_N6thrust23THRUST_200600_302600_NS6detail15normal_iteratorINS9_10device_ptrIdEEEENS9_16discard_iteratorINS9_11use_defaultEEEdNS9_4plusIvEEdEEDaPvRmT3_T4_T5_mT6_P12ihipStream_tbENKUlT_T0_E_clISt17integral_constantIbLb1EESX_EEDaSS_ST_EUlSS_E0_NS1_11comp_targetILNS1_3genE10ELNS1_11target_archE1201ELNS1_3gpuE5ELNS1_3repE0EEENS1_30default_config_static_selectorELNS0_4arch9wavefront6targetE1EEEvT1_, .Lfunc_end4894-_ZN7rocprim17ROCPRIM_400000_NS6detail17trampoline_kernelINS0_14default_configENS1_20scan_config_selectorIdEEZZNS1_9scan_implILNS1_25lookback_scan_determinismE0ELb0ELb0ES3_N6thrust23THRUST_200600_302600_NS6detail15normal_iteratorINS9_10device_ptrIdEEEENS9_16discard_iteratorINS9_11use_defaultEEEdNS9_4plusIvEEdEEDaPvRmT3_T4_T5_mT6_P12ihipStream_tbENKUlT_T0_E_clISt17integral_constantIbLb1EESX_EEDaSS_ST_EUlSS_E0_NS1_11comp_targetILNS1_3genE10ELNS1_11target_archE1201ELNS1_3gpuE5ELNS1_3repE0EEENS1_30default_config_static_selectorELNS0_4arch9wavefront6targetE1EEEvT1_
                                        ; -- End function
	.section	.AMDGPU.csdata,"",@progbits
; Kernel info:
; codeLenInByte = 0
; NumSgprs: 4
; NumVgprs: 0
; NumAgprs: 0
; TotalNumVgprs: 0
; ScratchSize: 0
; MemoryBound: 0
; FloatMode: 240
; IeeeMode: 1
; LDSByteSize: 0 bytes/workgroup (compile time only)
; SGPRBlocks: 0
; VGPRBlocks: 0
; NumSGPRsForWavesPerEU: 4
; NumVGPRsForWavesPerEU: 1
; AccumOffset: 4
; Occupancy: 8
; WaveLimiterHint : 0
; COMPUTE_PGM_RSRC2:SCRATCH_EN: 0
; COMPUTE_PGM_RSRC2:USER_SGPR: 6
; COMPUTE_PGM_RSRC2:TRAP_HANDLER: 0
; COMPUTE_PGM_RSRC2:TGID_X_EN: 1
; COMPUTE_PGM_RSRC2:TGID_Y_EN: 0
; COMPUTE_PGM_RSRC2:TGID_Z_EN: 0
; COMPUTE_PGM_RSRC2:TIDIG_COMP_CNT: 0
; COMPUTE_PGM_RSRC3_GFX90A:ACCUM_OFFSET: 0
; COMPUTE_PGM_RSRC3_GFX90A:TG_SPLIT: 0
	.section	.text._ZN7rocprim17ROCPRIM_400000_NS6detail17trampoline_kernelINS0_14default_configENS1_20scan_config_selectorIdEEZZNS1_9scan_implILNS1_25lookback_scan_determinismE0ELb0ELb0ES3_N6thrust23THRUST_200600_302600_NS6detail15normal_iteratorINS9_10device_ptrIdEEEENS9_16discard_iteratorINS9_11use_defaultEEEdNS9_4plusIvEEdEEDaPvRmT3_T4_T5_mT6_P12ihipStream_tbENKUlT_T0_E_clISt17integral_constantIbLb1EESX_EEDaSS_ST_EUlSS_E0_NS1_11comp_targetILNS1_3genE10ELNS1_11target_archE1200ELNS1_3gpuE4ELNS1_3repE0EEENS1_30default_config_static_selectorELNS0_4arch9wavefront6targetE1EEEvT1_,"axG",@progbits,_ZN7rocprim17ROCPRIM_400000_NS6detail17trampoline_kernelINS0_14default_configENS1_20scan_config_selectorIdEEZZNS1_9scan_implILNS1_25lookback_scan_determinismE0ELb0ELb0ES3_N6thrust23THRUST_200600_302600_NS6detail15normal_iteratorINS9_10device_ptrIdEEEENS9_16discard_iteratorINS9_11use_defaultEEEdNS9_4plusIvEEdEEDaPvRmT3_T4_T5_mT6_P12ihipStream_tbENKUlT_T0_E_clISt17integral_constantIbLb1EESX_EEDaSS_ST_EUlSS_E0_NS1_11comp_targetILNS1_3genE10ELNS1_11target_archE1200ELNS1_3gpuE4ELNS1_3repE0EEENS1_30default_config_static_selectorELNS0_4arch9wavefront6targetE1EEEvT1_,comdat
	.protected	_ZN7rocprim17ROCPRIM_400000_NS6detail17trampoline_kernelINS0_14default_configENS1_20scan_config_selectorIdEEZZNS1_9scan_implILNS1_25lookback_scan_determinismE0ELb0ELb0ES3_N6thrust23THRUST_200600_302600_NS6detail15normal_iteratorINS9_10device_ptrIdEEEENS9_16discard_iteratorINS9_11use_defaultEEEdNS9_4plusIvEEdEEDaPvRmT3_T4_T5_mT6_P12ihipStream_tbENKUlT_T0_E_clISt17integral_constantIbLb1EESX_EEDaSS_ST_EUlSS_E0_NS1_11comp_targetILNS1_3genE10ELNS1_11target_archE1200ELNS1_3gpuE4ELNS1_3repE0EEENS1_30default_config_static_selectorELNS0_4arch9wavefront6targetE1EEEvT1_ ; -- Begin function _ZN7rocprim17ROCPRIM_400000_NS6detail17trampoline_kernelINS0_14default_configENS1_20scan_config_selectorIdEEZZNS1_9scan_implILNS1_25lookback_scan_determinismE0ELb0ELb0ES3_N6thrust23THRUST_200600_302600_NS6detail15normal_iteratorINS9_10device_ptrIdEEEENS9_16discard_iteratorINS9_11use_defaultEEEdNS9_4plusIvEEdEEDaPvRmT3_T4_T5_mT6_P12ihipStream_tbENKUlT_T0_E_clISt17integral_constantIbLb1EESX_EEDaSS_ST_EUlSS_E0_NS1_11comp_targetILNS1_3genE10ELNS1_11target_archE1200ELNS1_3gpuE4ELNS1_3repE0EEENS1_30default_config_static_selectorELNS0_4arch9wavefront6targetE1EEEvT1_
	.globl	_ZN7rocprim17ROCPRIM_400000_NS6detail17trampoline_kernelINS0_14default_configENS1_20scan_config_selectorIdEEZZNS1_9scan_implILNS1_25lookback_scan_determinismE0ELb0ELb0ES3_N6thrust23THRUST_200600_302600_NS6detail15normal_iteratorINS9_10device_ptrIdEEEENS9_16discard_iteratorINS9_11use_defaultEEEdNS9_4plusIvEEdEEDaPvRmT3_T4_T5_mT6_P12ihipStream_tbENKUlT_T0_E_clISt17integral_constantIbLb1EESX_EEDaSS_ST_EUlSS_E0_NS1_11comp_targetILNS1_3genE10ELNS1_11target_archE1200ELNS1_3gpuE4ELNS1_3repE0EEENS1_30default_config_static_selectorELNS0_4arch9wavefront6targetE1EEEvT1_
	.p2align	8
	.type	_ZN7rocprim17ROCPRIM_400000_NS6detail17trampoline_kernelINS0_14default_configENS1_20scan_config_selectorIdEEZZNS1_9scan_implILNS1_25lookback_scan_determinismE0ELb0ELb0ES3_N6thrust23THRUST_200600_302600_NS6detail15normal_iteratorINS9_10device_ptrIdEEEENS9_16discard_iteratorINS9_11use_defaultEEEdNS9_4plusIvEEdEEDaPvRmT3_T4_T5_mT6_P12ihipStream_tbENKUlT_T0_E_clISt17integral_constantIbLb1EESX_EEDaSS_ST_EUlSS_E0_NS1_11comp_targetILNS1_3genE10ELNS1_11target_archE1200ELNS1_3gpuE4ELNS1_3repE0EEENS1_30default_config_static_selectorELNS0_4arch9wavefront6targetE1EEEvT1_,@function
_ZN7rocprim17ROCPRIM_400000_NS6detail17trampoline_kernelINS0_14default_configENS1_20scan_config_selectorIdEEZZNS1_9scan_implILNS1_25lookback_scan_determinismE0ELb0ELb0ES3_N6thrust23THRUST_200600_302600_NS6detail15normal_iteratorINS9_10device_ptrIdEEEENS9_16discard_iteratorINS9_11use_defaultEEEdNS9_4plusIvEEdEEDaPvRmT3_T4_T5_mT6_P12ihipStream_tbENKUlT_T0_E_clISt17integral_constantIbLb1EESX_EEDaSS_ST_EUlSS_E0_NS1_11comp_targetILNS1_3genE10ELNS1_11target_archE1200ELNS1_3gpuE4ELNS1_3repE0EEENS1_30default_config_static_selectorELNS0_4arch9wavefront6targetE1EEEvT1_: ; @_ZN7rocprim17ROCPRIM_400000_NS6detail17trampoline_kernelINS0_14default_configENS1_20scan_config_selectorIdEEZZNS1_9scan_implILNS1_25lookback_scan_determinismE0ELb0ELb0ES3_N6thrust23THRUST_200600_302600_NS6detail15normal_iteratorINS9_10device_ptrIdEEEENS9_16discard_iteratorINS9_11use_defaultEEEdNS9_4plusIvEEdEEDaPvRmT3_T4_T5_mT6_P12ihipStream_tbENKUlT_T0_E_clISt17integral_constantIbLb1EESX_EEDaSS_ST_EUlSS_E0_NS1_11comp_targetILNS1_3genE10ELNS1_11target_archE1200ELNS1_3gpuE4ELNS1_3repE0EEENS1_30default_config_static_selectorELNS0_4arch9wavefront6targetE1EEEvT1_
; %bb.0:
	.section	.rodata,"a",@progbits
	.p2align	6, 0x0
	.amdhsa_kernel _ZN7rocprim17ROCPRIM_400000_NS6detail17trampoline_kernelINS0_14default_configENS1_20scan_config_selectorIdEEZZNS1_9scan_implILNS1_25lookback_scan_determinismE0ELb0ELb0ES3_N6thrust23THRUST_200600_302600_NS6detail15normal_iteratorINS9_10device_ptrIdEEEENS9_16discard_iteratorINS9_11use_defaultEEEdNS9_4plusIvEEdEEDaPvRmT3_T4_T5_mT6_P12ihipStream_tbENKUlT_T0_E_clISt17integral_constantIbLb1EESX_EEDaSS_ST_EUlSS_E0_NS1_11comp_targetILNS1_3genE10ELNS1_11target_archE1200ELNS1_3gpuE4ELNS1_3repE0EEENS1_30default_config_static_selectorELNS0_4arch9wavefront6targetE1EEEvT1_
		.amdhsa_group_segment_fixed_size 0
		.amdhsa_private_segment_fixed_size 0
		.amdhsa_kernarg_size 48
		.amdhsa_user_sgpr_count 6
		.amdhsa_user_sgpr_private_segment_buffer 1
		.amdhsa_user_sgpr_dispatch_ptr 0
		.amdhsa_user_sgpr_queue_ptr 0
		.amdhsa_user_sgpr_kernarg_segment_ptr 1
		.amdhsa_user_sgpr_dispatch_id 0
		.amdhsa_user_sgpr_flat_scratch_init 0
		.amdhsa_user_sgpr_kernarg_preload_length 0
		.amdhsa_user_sgpr_kernarg_preload_offset 0
		.amdhsa_user_sgpr_private_segment_size 0
		.amdhsa_uses_dynamic_stack 0
		.amdhsa_system_sgpr_private_segment_wavefront_offset 0
		.amdhsa_system_sgpr_workgroup_id_x 1
		.amdhsa_system_sgpr_workgroup_id_y 0
		.amdhsa_system_sgpr_workgroup_id_z 0
		.amdhsa_system_sgpr_workgroup_info 0
		.amdhsa_system_vgpr_workitem_id 0
		.amdhsa_next_free_vgpr 1
		.amdhsa_next_free_sgpr 0
		.amdhsa_accum_offset 4
		.amdhsa_reserve_vcc 0
		.amdhsa_reserve_flat_scratch 0
		.amdhsa_float_round_mode_32 0
		.amdhsa_float_round_mode_16_64 0
		.amdhsa_float_denorm_mode_32 3
		.amdhsa_float_denorm_mode_16_64 3
		.amdhsa_dx10_clamp 1
		.amdhsa_ieee_mode 1
		.amdhsa_fp16_overflow 0
		.amdhsa_tg_split 0
		.amdhsa_exception_fp_ieee_invalid_op 0
		.amdhsa_exception_fp_denorm_src 0
		.amdhsa_exception_fp_ieee_div_zero 0
		.amdhsa_exception_fp_ieee_overflow 0
		.amdhsa_exception_fp_ieee_underflow 0
		.amdhsa_exception_fp_ieee_inexact 0
		.amdhsa_exception_int_div_zero 0
	.end_amdhsa_kernel
	.section	.text._ZN7rocprim17ROCPRIM_400000_NS6detail17trampoline_kernelINS0_14default_configENS1_20scan_config_selectorIdEEZZNS1_9scan_implILNS1_25lookback_scan_determinismE0ELb0ELb0ES3_N6thrust23THRUST_200600_302600_NS6detail15normal_iteratorINS9_10device_ptrIdEEEENS9_16discard_iteratorINS9_11use_defaultEEEdNS9_4plusIvEEdEEDaPvRmT3_T4_T5_mT6_P12ihipStream_tbENKUlT_T0_E_clISt17integral_constantIbLb1EESX_EEDaSS_ST_EUlSS_E0_NS1_11comp_targetILNS1_3genE10ELNS1_11target_archE1200ELNS1_3gpuE4ELNS1_3repE0EEENS1_30default_config_static_selectorELNS0_4arch9wavefront6targetE1EEEvT1_,"axG",@progbits,_ZN7rocprim17ROCPRIM_400000_NS6detail17trampoline_kernelINS0_14default_configENS1_20scan_config_selectorIdEEZZNS1_9scan_implILNS1_25lookback_scan_determinismE0ELb0ELb0ES3_N6thrust23THRUST_200600_302600_NS6detail15normal_iteratorINS9_10device_ptrIdEEEENS9_16discard_iteratorINS9_11use_defaultEEEdNS9_4plusIvEEdEEDaPvRmT3_T4_T5_mT6_P12ihipStream_tbENKUlT_T0_E_clISt17integral_constantIbLb1EESX_EEDaSS_ST_EUlSS_E0_NS1_11comp_targetILNS1_3genE10ELNS1_11target_archE1200ELNS1_3gpuE4ELNS1_3repE0EEENS1_30default_config_static_selectorELNS0_4arch9wavefront6targetE1EEEvT1_,comdat
.Lfunc_end4895:
	.size	_ZN7rocprim17ROCPRIM_400000_NS6detail17trampoline_kernelINS0_14default_configENS1_20scan_config_selectorIdEEZZNS1_9scan_implILNS1_25lookback_scan_determinismE0ELb0ELb0ES3_N6thrust23THRUST_200600_302600_NS6detail15normal_iteratorINS9_10device_ptrIdEEEENS9_16discard_iteratorINS9_11use_defaultEEEdNS9_4plusIvEEdEEDaPvRmT3_T4_T5_mT6_P12ihipStream_tbENKUlT_T0_E_clISt17integral_constantIbLb1EESX_EEDaSS_ST_EUlSS_E0_NS1_11comp_targetILNS1_3genE10ELNS1_11target_archE1200ELNS1_3gpuE4ELNS1_3repE0EEENS1_30default_config_static_selectorELNS0_4arch9wavefront6targetE1EEEvT1_, .Lfunc_end4895-_ZN7rocprim17ROCPRIM_400000_NS6detail17trampoline_kernelINS0_14default_configENS1_20scan_config_selectorIdEEZZNS1_9scan_implILNS1_25lookback_scan_determinismE0ELb0ELb0ES3_N6thrust23THRUST_200600_302600_NS6detail15normal_iteratorINS9_10device_ptrIdEEEENS9_16discard_iteratorINS9_11use_defaultEEEdNS9_4plusIvEEdEEDaPvRmT3_T4_T5_mT6_P12ihipStream_tbENKUlT_T0_E_clISt17integral_constantIbLb1EESX_EEDaSS_ST_EUlSS_E0_NS1_11comp_targetILNS1_3genE10ELNS1_11target_archE1200ELNS1_3gpuE4ELNS1_3repE0EEENS1_30default_config_static_selectorELNS0_4arch9wavefront6targetE1EEEvT1_
                                        ; -- End function
	.section	.AMDGPU.csdata,"",@progbits
; Kernel info:
; codeLenInByte = 0
; NumSgprs: 4
; NumVgprs: 0
; NumAgprs: 0
; TotalNumVgprs: 0
; ScratchSize: 0
; MemoryBound: 0
; FloatMode: 240
; IeeeMode: 1
; LDSByteSize: 0 bytes/workgroup (compile time only)
; SGPRBlocks: 0
; VGPRBlocks: 0
; NumSGPRsForWavesPerEU: 4
; NumVGPRsForWavesPerEU: 1
; AccumOffset: 4
; Occupancy: 8
; WaveLimiterHint : 0
; COMPUTE_PGM_RSRC2:SCRATCH_EN: 0
; COMPUTE_PGM_RSRC2:USER_SGPR: 6
; COMPUTE_PGM_RSRC2:TRAP_HANDLER: 0
; COMPUTE_PGM_RSRC2:TGID_X_EN: 1
; COMPUTE_PGM_RSRC2:TGID_Y_EN: 0
; COMPUTE_PGM_RSRC2:TGID_Z_EN: 0
; COMPUTE_PGM_RSRC2:TIDIG_COMP_CNT: 0
; COMPUTE_PGM_RSRC3_GFX90A:ACCUM_OFFSET: 0
; COMPUTE_PGM_RSRC3_GFX90A:TG_SPLIT: 0
	.section	.text._ZN7rocprim17ROCPRIM_400000_NS6detail17trampoline_kernelINS0_14default_configENS1_20scan_config_selectorIdEEZZNS1_9scan_implILNS1_25lookback_scan_determinismE0ELb0ELb0ES3_N6thrust23THRUST_200600_302600_NS6detail15normal_iteratorINS9_10device_ptrIdEEEENS9_16discard_iteratorINS9_11use_defaultEEEdNS9_4plusIvEEdEEDaPvRmT3_T4_T5_mT6_P12ihipStream_tbENKUlT_T0_E_clISt17integral_constantIbLb1EESX_EEDaSS_ST_EUlSS_E0_NS1_11comp_targetILNS1_3genE9ELNS1_11target_archE1100ELNS1_3gpuE3ELNS1_3repE0EEENS1_30default_config_static_selectorELNS0_4arch9wavefront6targetE1EEEvT1_,"axG",@progbits,_ZN7rocprim17ROCPRIM_400000_NS6detail17trampoline_kernelINS0_14default_configENS1_20scan_config_selectorIdEEZZNS1_9scan_implILNS1_25lookback_scan_determinismE0ELb0ELb0ES3_N6thrust23THRUST_200600_302600_NS6detail15normal_iteratorINS9_10device_ptrIdEEEENS9_16discard_iteratorINS9_11use_defaultEEEdNS9_4plusIvEEdEEDaPvRmT3_T4_T5_mT6_P12ihipStream_tbENKUlT_T0_E_clISt17integral_constantIbLb1EESX_EEDaSS_ST_EUlSS_E0_NS1_11comp_targetILNS1_3genE9ELNS1_11target_archE1100ELNS1_3gpuE3ELNS1_3repE0EEENS1_30default_config_static_selectorELNS0_4arch9wavefront6targetE1EEEvT1_,comdat
	.protected	_ZN7rocprim17ROCPRIM_400000_NS6detail17trampoline_kernelINS0_14default_configENS1_20scan_config_selectorIdEEZZNS1_9scan_implILNS1_25lookback_scan_determinismE0ELb0ELb0ES3_N6thrust23THRUST_200600_302600_NS6detail15normal_iteratorINS9_10device_ptrIdEEEENS9_16discard_iteratorINS9_11use_defaultEEEdNS9_4plusIvEEdEEDaPvRmT3_T4_T5_mT6_P12ihipStream_tbENKUlT_T0_E_clISt17integral_constantIbLb1EESX_EEDaSS_ST_EUlSS_E0_NS1_11comp_targetILNS1_3genE9ELNS1_11target_archE1100ELNS1_3gpuE3ELNS1_3repE0EEENS1_30default_config_static_selectorELNS0_4arch9wavefront6targetE1EEEvT1_ ; -- Begin function _ZN7rocprim17ROCPRIM_400000_NS6detail17trampoline_kernelINS0_14default_configENS1_20scan_config_selectorIdEEZZNS1_9scan_implILNS1_25lookback_scan_determinismE0ELb0ELb0ES3_N6thrust23THRUST_200600_302600_NS6detail15normal_iteratorINS9_10device_ptrIdEEEENS9_16discard_iteratorINS9_11use_defaultEEEdNS9_4plusIvEEdEEDaPvRmT3_T4_T5_mT6_P12ihipStream_tbENKUlT_T0_E_clISt17integral_constantIbLb1EESX_EEDaSS_ST_EUlSS_E0_NS1_11comp_targetILNS1_3genE9ELNS1_11target_archE1100ELNS1_3gpuE3ELNS1_3repE0EEENS1_30default_config_static_selectorELNS0_4arch9wavefront6targetE1EEEvT1_
	.globl	_ZN7rocprim17ROCPRIM_400000_NS6detail17trampoline_kernelINS0_14default_configENS1_20scan_config_selectorIdEEZZNS1_9scan_implILNS1_25lookback_scan_determinismE0ELb0ELb0ES3_N6thrust23THRUST_200600_302600_NS6detail15normal_iteratorINS9_10device_ptrIdEEEENS9_16discard_iteratorINS9_11use_defaultEEEdNS9_4plusIvEEdEEDaPvRmT3_T4_T5_mT6_P12ihipStream_tbENKUlT_T0_E_clISt17integral_constantIbLb1EESX_EEDaSS_ST_EUlSS_E0_NS1_11comp_targetILNS1_3genE9ELNS1_11target_archE1100ELNS1_3gpuE3ELNS1_3repE0EEENS1_30default_config_static_selectorELNS0_4arch9wavefront6targetE1EEEvT1_
	.p2align	8
	.type	_ZN7rocprim17ROCPRIM_400000_NS6detail17trampoline_kernelINS0_14default_configENS1_20scan_config_selectorIdEEZZNS1_9scan_implILNS1_25lookback_scan_determinismE0ELb0ELb0ES3_N6thrust23THRUST_200600_302600_NS6detail15normal_iteratorINS9_10device_ptrIdEEEENS9_16discard_iteratorINS9_11use_defaultEEEdNS9_4plusIvEEdEEDaPvRmT3_T4_T5_mT6_P12ihipStream_tbENKUlT_T0_E_clISt17integral_constantIbLb1EESX_EEDaSS_ST_EUlSS_E0_NS1_11comp_targetILNS1_3genE9ELNS1_11target_archE1100ELNS1_3gpuE3ELNS1_3repE0EEENS1_30default_config_static_selectorELNS0_4arch9wavefront6targetE1EEEvT1_,@function
_ZN7rocprim17ROCPRIM_400000_NS6detail17trampoline_kernelINS0_14default_configENS1_20scan_config_selectorIdEEZZNS1_9scan_implILNS1_25lookback_scan_determinismE0ELb0ELb0ES3_N6thrust23THRUST_200600_302600_NS6detail15normal_iteratorINS9_10device_ptrIdEEEENS9_16discard_iteratorINS9_11use_defaultEEEdNS9_4plusIvEEdEEDaPvRmT3_T4_T5_mT6_P12ihipStream_tbENKUlT_T0_E_clISt17integral_constantIbLb1EESX_EEDaSS_ST_EUlSS_E0_NS1_11comp_targetILNS1_3genE9ELNS1_11target_archE1100ELNS1_3gpuE3ELNS1_3repE0EEENS1_30default_config_static_selectorELNS0_4arch9wavefront6targetE1EEEvT1_: ; @_ZN7rocprim17ROCPRIM_400000_NS6detail17trampoline_kernelINS0_14default_configENS1_20scan_config_selectorIdEEZZNS1_9scan_implILNS1_25lookback_scan_determinismE0ELb0ELb0ES3_N6thrust23THRUST_200600_302600_NS6detail15normal_iteratorINS9_10device_ptrIdEEEENS9_16discard_iteratorINS9_11use_defaultEEEdNS9_4plusIvEEdEEDaPvRmT3_T4_T5_mT6_P12ihipStream_tbENKUlT_T0_E_clISt17integral_constantIbLb1EESX_EEDaSS_ST_EUlSS_E0_NS1_11comp_targetILNS1_3genE9ELNS1_11target_archE1100ELNS1_3gpuE3ELNS1_3repE0EEENS1_30default_config_static_selectorELNS0_4arch9wavefront6targetE1EEEvT1_
; %bb.0:
	.section	.rodata,"a",@progbits
	.p2align	6, 0x0
	.amdhsa_kernel _ZN7rocprim17ROCPRIM_400000_NS6detail17trampoline_kernelINS0_14default_configENS1_20scan_config_selectorIdEEZZNS1_9scan_implILNS1_25lookback_scan_determinismE0ELb0ELb0ES3_N6thrust23THRUST_200600_302600_NS6detail15normal_iteratorINS9_10device_ptrIdEEEENS9_16discard_iteratorINS9_11use_defaultEEEdNS9_4plusIvEEdEEDaPvRmT3_T4_T5_mT6_P12ihipStream_tbENKUlT_T0_E_clISt17integral_constantIbLb1EESX_EEDaSS_ST_EUlSS_E0_NS1_11comp_targetILNS1_3genE9ELNS1_11target_archE1100ELNS1_3gpuE3ELNS1_3repE0EEENS1_30default_config_static_selectorELNS0_4arch9wavefront6targetE1EEEvT1_
		.amdhsa_group_segment_fixed_size 0
		.amdhsa_private_segment_fixed_size 0
		.amdhsa_kernarg_size 48
		.amdhsa_user_sgpr_count 6
		.amdhsa_user_sgpr_private_segment_buffer 1
		.amdhsa_user_sgpr_dispatch_ptr 0
		.amdhsa_user_sgpr_queue_ptr 0
		.amdhsa_user_sgpr_kernarg_segment_ptr 1
		.amdhsa_user_sgpr_dispatch_id 0
		.amdhsa_user_sgpr_flat_scratch_init 0
		.amdhsa_user_sgpr_kernarg_preload_length 0
		.amdhsa_user_sgpr_kernarg_preload_offset 0
		.amdhsa_user_sgpr_private_segment_size 0
		.amdhsa_uses_dynamic_stack 0
		.amdhsa_system_sgpr_private_segment_wavefront_offset 0
		.amdhsa_system_sgpr_workgroup_id_x 1
		.amdhsa_system_sgpr_workgroup_id_y 0
		.amdhsa_system_sgpr_workgroup_id_z 0
		.amdhsa_system_sgpr_workgroup_info 0
		.amdhsa_system_vgpr_workitem_id 0
		.amdhsa_next_free_vgpr 1
		.amdhsa_next_free_sgpr 0
		.amdhsa_accum_offset 4
		.amdhsa_reserve_vcc 0
		.amdhsa_reserve_flat_scratch 0
		.amdhsa_float_round_mode_32 0
		.amdhsa_float_round_mode_16_64 0
		.amdhsa_float_denorm_mode_32 3
		.amdhsa_float_denorm_mode_16_64 3
		.amdhsa_dx10_clamp 1
		.amdhsa_ieee_mode 1
		.amdhsa_fp16_overflow 0
		.amdhsa_tg_split 0
		.amdhsa_exception_fp_ieee_invalid_op 0
		.amdhsa_exception_fp_denorm_src 0
		.amdhsa_exception_fp_ieee_div_zero 0
		.amdhsa_exception_fp_ieee_overflow 0
		.amdhsa_exception_fp_ieee_underflow 0
		.amdhsa_exception_fp_ieee_inexact 0
		.amdhsa_exception_int_div_zero 0
	.end_amdhsa_kernel
	.section	.text._ZN7rocprim17ROCPRIM_400000_NS6detail17trampoline_kernelINS0_14default_configENS1_20scan_config_selectorIdEEZZNS1_9scan_implILNS1_25lookback_scan_determinismE0ELb0ELb0ES3_N6thrust23THRUST_200600_302600_NS6detail15normal_iteratorINS9_10device_ptrIdEEEENS9_16discard_iteratorINS9_11use_defaultEEEdNS9_4plusIvEEdEEDaPvRmT3_T4_T5_mT6_P12ihipStream_tbENKUlT_T0_E_clISt17integral_constantIbLb1EESX_EEDaSS_ST_EUlSS_E0_NS1_11comp_targetILNS1_3genE9ELNS1_11target_archE1100ELNS1_3gpuE3ELNS1_3repE0EEENS1_30default_config_static_selectorELNS0_4arch9wavefront6targetE1EEEvT1_,"axG",@progbits,_ZN7rocprim17ROCPRIM_400000_NS6detail17trampoline_kernelINS0_14default_configENS1_20scan_config_selectorIdEEZZNS1_9scan_implILNS1_25lookback_scan_determinismE0ELb0ELb0ES3_N6thrust23THRUST_200600_302600_NS6detail15normal_iteratorINS9_10device_ptrIdEEEENS9_16discard_iteratorINS9_11use_defaultEEEdNS9_4plusIvEEdEEDaPvRmT3_T4_T5_mT6_P12ihipStream_tbENKUlT_T0_E_clISt17integral_constantIbLb1EESX_EEDaSS_ST_EUlSS_E0_NS1_11comp_targetILNS1_3genE9ELNS1_11target_archE1100ELNS1_3gpuE3ELNS1_3repE0EEENS1_30default_config_static_selectorELNS0_4arch9wavefront6targetE1EEEvT1_,comdat
.Lfunc_end4896:
	.size	_ZN7rocprim17ROCPRIM_400000_NS6detail17trampoline_kernelINS0_14default_configENS1_20scan_config_selectorIdEEZZNS1_9scan_implILNS1_25lookback_scan_determinismE0ELb0ELb0ES3_N6thrust23THRUST_200600_302600_NS6detail15normal_iteratorINS9_10device_ptrIdEEEENS9_16discard_iteratorINS9_11use_defaultEEEdNS9_4plusIvEEdEEDaPvRmT3_T4_T5_mT6_P12ihipStream_tbENKUlT_T0_E_clISt17integral_constantIbLb1EESX_EEDaSS_ST_EUlSS_E0_NS1_11comp_targetILNS1_3genE9ELNS1_11target_archE1100ELNS1_3gpuE3ELNS1_3repE0EEENS1_30default_config_static_selectorELNS0_4arch9wavefront6targetE1EEEvT1_, .Lfunc_end4896-_ZN7rocprim17ROCPRIM_400000_NS6detail17trampoline_kernelINS0_14default_configENS1_20scan_config_selectorIdEEZZNS1_9scan_implILNS1_25lookback_scan_determinismE0ELb0ELb0ES3_N6thrust23THRUST_200600_302600_NS6detail15normal_iteratorINS9_10device_ptrIdEEEENS9_16discard_iteratorINS9_11use_defaultEEEdNS9_4plusIvEEdEEDaPvRmT3_T4_T5_mT6_P12ihipStream_tbENKUlT_T0_E_clISt17integral_constantIbLb1EESX_EEDaSS_ST_EUlSS_E0_NS1_11comp_targetILNS1_3genE9ELNS1_11target_archE1100ELNS1_3gpuE3ELNS1_3repE0EEENS1_30default_config_static_selectorELNS0_4arch9wavefront6targetE1EEEvT1_
                                        ; -- End function
	.section	.AMDGPU.csdata,"",@progbits
; Kernel info:
; codeLenInByte = 0
; NumSgprs: 4
; NumVgprs: 0
; NumAgprs: 0
; TotalNumVgprs: 0
; ScratchSize: 0
; MemoryBound: 0
; FloatMode: 240
; IeeeMode: 1
; LDSByteSize: 0 bytes/workgroup (compile time only)
; SGPRBlocks: 0
; VGPRBlocks: 0
; NumSGPRsForWavesPerEU: 4
; NumVGPRsForWavesPerEU: 1
; AccumOffset: 4
; Occupancy: 8
; WaveLimiterHint : 0
; COMPUTE_PGM_RSRC2:SCRATCH_EN: 0
; COMPUTE_PGM_RSRC2:USER_SGPR: 6
; COMPUTE_PGM_RSRC2:TRAP_HANDLER: 0
; COMPUTE_PGM_RSRC2:TGID_X_EN: 1
; COMPUTE_PGM_RSRC2:TGID_Y_EN: 0
; COMPUTE_PGM_RSRC2:TGID_Z_EN: 0
; COMPUTE_PGM_RSRC2:TIDIG_COMP_CNT: 0
; COMPUTE_PGM_RSRC3_GFX90A:ACCUM_OFFSET: 0
; COMPUTE_PGM_RSRC3_GFX90A:TG_SPLIT: 0
	.section	.text._ZN7rocprim17ROCPRIM_400000_NS6detail17trampoline_kernelINS0_14default_configENS1_20scan_config_selectorIdEEZZNS1_9scan_implILNS1_25lookback_scan_determinismE0ELb0ELb0ES3_N6thrust23THRUST_200600_302600_NS6detail15normal_iteratorINS9_10device_ptrIdEEEENS9_16discard_iteratorINS9_11use_defaultEEEdNS9_4plusIvEEdEEDaPvRmT3_T4_T5_mT6_P12ihipStream_tbENKUlT_T0_E_clISt17integral_constantIbLb1EESX_EEDaSS_ST_EUlSS_E0_NS1_11comp_targetILNS1_3genE8ELNS1_11target_archE1030ELNS1_3gpuE2ELNS1_3repE0EEENS1_30default_config_static_selectorELNS0_4arch9wavefront6targetE1EEEvT1_,"axG",@progbits,_ZN7rocprim17ROCPRIM_400000_NS6detail17trampoline_kernelINS0_14default_configENS1_20scan_config_selectorIdEEZZNS1_9scan_implILNS1_25lookback_scan_determinismE0ELb0ELb0ES3_N6thrust23THRUST_200600_302600_NS6detail15normal_iteratorINS9_10device_ptrIdEEEENS9_16discard_iteratorINS9_11use_defaultEEEdNS9_4plusIvEEdEEDaPvRmT3_T4_T5_mT6_P12ihipStream_tbENKUlT_T0_E_clISt17integral_constantIbLb1EESX_EEDaSS_ST_EUlSS_E0_NS1_11comp_targetILNS1_3genE8ELNS1_11target_archE1030ELNS1_3gpuE2ELNS1_3repE0EEENS1_30default_config_static_selectorELNS0_4arch9wavefront6targetE1EEEvT1_,comdat
	.protected	_ZN7rocprim17ROCPRIM_400000_NS6detail17trampoline_kernelINS0_14default_configENS1_20scan_config_selectorIdEEZZNS1_9scan_implILNS1_25lookback_scan_determinismE0ELb0ELb0ES3_N6thrust23THRUST_200600_302600_NS6detail15normal_iteratorINS9_10device_ptrIdEEEENS9_16discard_iteratorINS9_11use_defaultEEEdNS9_4plusIvEEdEEDaPvRmT3_T4_T5_mT6_P12ihipStream_tbENKUlT_T0_E_clISt17integral_constantIbLb1EESX_EEDaSS_ST_EUlSS_E0_NS1_11comp_targetILNS1_3genE8ELNS1_11target_archE1030ELNS1_3gpuE2ELNS1_3repE0EEENS1_30default_config_static_selectorELNS0_4arch9wavefront6targetE1EEEvT1_ ; -- Begin function _ZN7rocprim17ROCPRIM_400000_NS6detail17trampoline_kernelINS0_14default_configENS1_20scan_config_selectorIdEEZZNS1_9scan_implILNS1_25lookback_scan_determinismE0ELb0ELb0ES3_N6thrust23THRUST_200600_302600_NS6detail15normal_iteratorINS9_10device_ptrIdEEEENS9_16discard_iteratorINS9_11use_defaultEEEdNS9_4plusIvEEdEEDaPvRmT3_T4_T5_mT6_P12ihipStream_tbENKUlT_T0_E_clISt17integral_constantIbLb1EESX_EEDaSS_ST_EUlSS_E0_NS1_11comp_targetILNS1_3genE8ELNS1_11target_archE1030ELNS1_3gpuE2ELNS1_3repE0EEENS1_30default_config_static_selectorELNS0_4arch9wavefront6targetE1EEEvT1_
	.globl	_ZN7rocprim17ROCPRIM_400000_NS6detail17trampoline_kernelINS0_14default_configENS1_20scan_config_selectorIdEEZZNS1_9scan_implILNS1_25lookback_scan_determinismE0ELb0ELb0ES3_N6thrust23THRUST_200600_302600_NS6detail15normal_iteratorINS9_10device_ptrIdEEEENS9_16discard_iteratorINS9_11use_defaultEEEdNS9_4plusIvEEdEEDaPvRmT3_T4_T5_mT6_P12ihipStream_tbENKUlT_T0_E_clISt17integral_constantIbLb1EESX_EEDaSS_ST_EUlSS_E0_NS1_11comp_targetILNS1_3genE8ELNS1_11target_archE1030ELNS1_3gpuE2ELNS1_3repE0EEENS1_30default_config_static_selectorELNS0_4arch9wavefront6targetE1EEEvT1_
	.p2align	8
	.type	_ZN7rocprim17ROCPRIM_400000_NS6detail17trampoline_kernelINS0_14default_configENS1_20scan_config_selectorIdEEZZNS1_9scan_implILNS1_25lookback_scan_determinismE0ELb0ELb0ES3_N6thrust23THRUST_200600_302600_NS6detail15normal_iteratorINS9_10device_ptrIdEEEENS9_16discard_iteratorINS9_11use_defaultEEEdNS9_4plusIvEEdEEDaPvRmT3_T4_T5_mT6_P12ihipStream_tbENKUlT_T0_E_clISt17integral_constantIbLb1EESX_EEDaSS_ST_EUlSS_E0_NS1_11comp_targetILNS1_3genE8ELNS1_11target_archE1030ELNS1_3gpuE2ELNS1_3repE0EEENS1_30default_config_static_selectorELNS0_4arch9wavefront6targetE1EEEvT1_,@function
_ZN7rocprim17ROCPRIM_400000_NS6detail17trampoline_kernelINS0_14default_configENS1_20scan_config_selectorIdEEZZNS1_9scan_implILNS1_25lookback_scan_determinismE0ELb0ELb0ES3_N6thrust23THRUST_200600_302600_NS6detail15normal_iteratorINS9_10device_ptrIdEEEENS9_16discard_iteratorINS9_11use_defaultEEEdNS9_4plusIvEEdEEDaPvRmT3_T4_T5_mT6_P12ihipStream_tbENKUlT_T0_E_clISt17integral_constantIbLb1EESX_EEDaSS_ST_EUlSS_E0_NS1_11comp_targetILNS1_3genE8ELNS1_11target_archE1030ELNS1_3gpuE2ELNS1_3repE0EEENS1_30default_config_static_selectorELNS0_4arch9wavefront6targetE1EEEvT1_: ; @_ZN7rocprim17ROCPRIM_400000_NS6detail17trampoline_kernelINS0_14default_configENS1_20scan_config_selectorIdEEZZNS1_9scan_implILNS1_25lookback_scan_determinismE0ELb0ELb0ES3_N6thrust23THRUST_200600_302600_NS6detail15normal_iteratorINS9_10device_ptrIdEEEENS9_16discard_iteratorINS9_11use_defaultEEEdNS9_4plusIvEEdEEDaPvRmT3_T4_T5_mT6_P12ihipStream_tbENKUlT_T0_E_clISt17integral_constantIbLb1EESX_EEDaSS_ST_EUlSS_E0_NS1_11comp_targetILNS1_3genE8ELNS1_11target_archE1030ELNS1_3gpuE2ELNS1_3repE0EEENS1_30default_config_static_selectorELNS0_4arch9wavefront6targetE1EEEvT1_
; %bb.0:
	.section	.rodata,"a",@progbits
	.p2align	6, 0x0
	.amdhsa_kernel _ZN7rocprim17ROCPRIM_400000_NS6detail17trampoline_kernelINS0_14default_configENS1_20scan_config_selectorIdEEZZNS1_9scan_implILNS1_25lookback_scan_determinismE0ELb0ELb0ES3_N6thrust23THRUST_200600_302600_NS6detail15normal_iteratorINS9_10device_ptrIdEEEENS9_16discard_iteratorINS9_11use_defaultEEEdNS9_4plusIvEEdEEDaPvRmT3_T4_T5_mT6_P12ihipStream_tbENKUlT_T0_E_clISt17integral_constantIbLb1EESX_EEDaSS_ST_EUlSS_E0_NS1_11comp_targetILNS1_3genE8ELNS1_11target_archE1030ELNS1_3gpuE2ELNS1_3repE0EEENS1_30default_config_static_selectorELNS0_4arch9wavefront6targetE1EEEvT1_
		.amdhsa_group_segment_fixed_size 0
		.amdhsa_private_segment_fixed_size 0
		.amdhsa_kernarg_size 48
		.amdhsa_user_sgpr_count 6
		.amdhsa_user_sgpr_private_segment_buffer 1
		.amdhsa_user_sgpr_dispatch_ptr 0
		.amdhsa_user_sgpr_queue_ptr 0
		.amdhsa_user_sgpr_kernarg_segment_ptr 1
		.amdhsa_user_sgpr_dispatch_id 0
		.amdhsa_user_sgpr_flat_scratch_init 0
		.amdhsa_user_sgpr_kernarg_preload_length 0
		.amdhsa_user_sgpr_kernarg_preload_offset 0
		.amdhsa_user_sgpr_private_segment_size 0
		.amdhsa_uses_dynamic_stack 0
		.amdhsa_system_sgpr_private_segment_wavefront_offset 0
		.amdhsa_system_sgpr_workgroup_id_x 1
		.amdhsa_system_sgpr_workgroup_id_y 0
		.amdhsa_system_sgpr_workgroup_id_z 0
		.amdhsa_system_sgpr_workgroup_info 0
		.amdhsa_system_vgpr_workitem_id 0
		.amdhsa_next_free_vgpr 1
		.amdhsa_next_free_sgpr 0
		.amdhsa_accum_offset 4
		.amdhsa_reserve_vcc 0
		.amdhsa_reserve_flat_scratch 0
		.amdhsa_float_round_mode_32 0
		.amdhsa_float_round_mode_16_64 0
		.amdhsa_float_denorm_mode_32 3
		.amdhsa_float_denorm_mode_16_64 3
		.amdhsa_dx10_clamp 1
		.amdhsa_ieee_mode 1
		.amdhsa_fp16_overflow 0
		.amdhsa_tg_split 0
		.amdhsa_exception_fp_ieee_invalid_op 0
		.amdhsa_exception_fp_denorm_src 0
		.amdhsa_exception_fp_ieee_div_zero 0
		.amdhsa_exception_fp_ieee_overflow 0
		.amdhsa_exception_fp_ieee_underflow 0
		.amdhsa_exception_fp_ieee_inexact 0
		.amdhsa_exception_int_div_zero 0
	.end_amdhsa_kernel
	.section	.text._ZN7rocprim17ROCPRIM_400000_NS6detail17trampoline_kernelINS0_14default_configENS1_20scan_config_selectorIdEEZZNS1_9scan_implILNS1_25lookback_scan_determinismE0ELb0ELb0ES3_N6thrust23THRUST_200600_302600_NS6detail15normal_iteratorINS9_10device_ptrIdEEEENS9_16discard_iteratorINS9_11use_defaultEEEdNS9_4plusIvEEdEEDaPvRmT3_T4_T5_mT6_P12ihipStream_tbENKUlT_T0_E_clISt17integral_constantIbLb1EESX_EEDaSS_ST_EUlSS_E0_NS1_11comp_targetILNS1_3genE8ELNS1_11target_archE1030ELNS1_3gpuE2ELNS1_3repE0EEENS1_30default_config_static_selectorELNS0_4arch9wavefront6targetE1EEEvT1_,"axG",@progbits,_ZN7rocprim17ROCPRIM_400000_NS6detail17trampoline_kernelINS0_14default_configENS1_20scan_config_selectorIdEEZZNS1_9scan_implILNS1_25lookback_scan_determinismE0ELb0ELb0ES3_N6thrust23THRUST_200600_302600_NS6detail15normal_iteratorINS9_10device_ptrIdEEEENS9_16discard_iteratorINS9_11use_defaultEEEdNS9_4plusIvEEdEEDaPvRmT3_T4_T5_mT6_P12ihipStream_tbENKUlT_T0_E_clISt17integral_constantIbLb1EESX_EEDaSS_ST_EUlSS_E0_NS1_11comp_targetILNS1_3genE8ELNS1_11target_archE1030ELNS1_3gpuE2ELNS1_3repE0EEENS1_30default_config_static_selectorELNS0_4arch9wavefront6targetE1EEEvT1_,comdat
.Lfunc_end4897:
	.size	_ZN7rocprim17ROCPRIM_400000_NS6detail17trampoline_kernelINS0_14default_configENS1_20scan_config_selectorIdEEZZNS1_9scan_implILNS1_25lookback_scan_determinismE0ELb0ELb0ES3_N6thrust23THRUST_200600_302600_NS6detail15normal_iteratorINS9_10device_ptrIdEEEENS9_16discard_iteratorINS9_11use_defaultEEEdNS9_4plusIvEEdEEDaPvRmT3_T4_T5_mT6_P12ihipStream_tbENKUlT_T0_E_clISt17integral_constantIbLb1EESX_EEDaSS_ST_EUlSS_E0_NS1_11comp_targetILNS1_3genE8ELNS1_11target_archE1030ELNS1_3gpuE2ELNS1_3repE0EEENS1_30default_config_static_selectorELNS0_4arch9wavefront6targetE1EEEvT1_, .Lfunc_end4897-_ZN7rocprim17ROCPRIM_400000_NS6detail17trampoline_kernelINS0_14default_configENS1_20scan_config_selectorIdEEZZNS1_9scan_implILNS1_25lookback_scan_determinismE0ELb0ELb0ES3_N6thrust23THRUST_200600_302600_NS6detail15normal_iteratorINS9_10device_ptrIdEEEENS9_16discard_iteratorINS9_11use_defaultEEEdNS9_4plusIvEEdEEDaPvRmT3_T4_T5_mT6_P12ihipStream_tbENKUlT_T0_E_clISt17integral_constantIbLb1EESX_EEDaSS_ST_EUlSS_E0_NS1_11comp_targetILNS1_3genE8ELNS1_11target_archE1030ELNS1_3gpuE2ELNS1_3repE0EEENS1_30default_config_static_selectorELNS0_4arch9wavefront6targetE1EEEvT1_
                                        ; -- End function
	.section	.AMDGPU.csdata,"",@progbits
; Kernel info:
; codeLenInByte = 0
; NumSgprs: 4
; NumVgprs: 0
; NumAgprs: 0
; TotalNumVgprs: 0
; ScratchSize: 0
; MemoryBound: 0
; FloatMode: 240
; IeeeMode: 1
; LDSByteSize: 0 bytes/workgroup (compile time only)
; SGPRBlocks: 0
; VGPRBlocks: 0
; NumSGPRsForWavesPerEU: 4
; NumVGPRsForWavesPerEU: 1
; AccumOffset: 4
; Occupancy: 8
; WaveLimiterHint : 0
; COMPUTE_PGM_RSRC2:SCRATCH_EN: 0
; COMPUTE_PGM_RSRC2:USER_SGPR: 6
; COMPUTE_PGM_RSRC2:TRAP_HANDLER: 0
; COMPUTE_PGM_RSRC2:TGID_X_EN: 1
; COMPUTE_PGM_RSRC2:TGID_Y_EN: 0
; COMPUTE_PGM_RSRC2:TGID_Z_EN: 0
; COMPUTE_PGM_RSRC2:TIDIG_COMP_CNT: 0
; COMPUTE_PGM_RSRC3_GFX90A:ACCUM_OFFSET: 0
; COMPUTE_PGM_RSRC3_GFX90A:TG_SPLIT: 0
	.section	.text._ZN7rocprim17ROCPRIM_400000_NS6detail17trampoline_kernelINS0_14default_configENS1_20scan_config_selectorIdEEZZNS1_9scan_implILNS1_25lookback_scan_determinismE0ELb0ELb0ES3_N6thrust23THRUST_200600_302600_NS6detail15normal_iteratorINS9_10device_ptrIdEEEENS9_16discard_iteratorINS9_11use_defaultEEEdNS9_4plusIvEEdEEDaPvRmT3_T4_T5_mT6_P12ihipStream_tbENKUlT_T0_E_clISt17integral_constantIbLb1EESW_IbLb0EEEEDaSS_ST_EUlSS_E_NS1_11comp_targetILNS1_3genE0ELNS1_11target_archE4294967295ELNS1_3gpuE0ELNS1_3repE0EEENS1_30default_config_static_selectorELNS0_4arch9wavefront6targetE1EEEvT1_,"axG",@progbits,_ZN7rocprim17ROCPRIM_400000_NS6detail17trampoline_kernelINS0_14default_configENS1_20scan_config_selectorIdEEZZNS1_9scan_implILNS1_25lookback_scan_determinismE0ELb0ELb0ES3_N6thrust23THRUST_200600_302600_NS6detail15normal_iteratorINS9_10device_ptrIdEEEENS9_16discard_iteratorINS9_11use_defaultEEEdNS9_4plusIvEEdEEDaPvRmT3_T4_T5_mT6_P12ihipStream_tbENKUlT_T0_E_clISt17integral_constantIbLb1EESW_IbLb0EEEEDaSS_ST_EUlSS_E_NS1_11comp_targetILNS1_3genE0ELNS1_11target_archE4294967295ELNS1_3gpuE0ELNS1_3repE0EEENS1_30default_config_static_selectorELNS0_4arch9wavefront6targetE1EEEvT1_,comdat
	.protected	_ZN7rocprim17ROCPRIM_400000_NS6detail17trampoline_kernelINS0_14default_configENS1_20scan_config_selectorIdEEZZNS1_9scan_implILNS1_25lookback_scan_determinismE0ELb0ELb0ES3_N6thrust23THRUST_200600_302600_NS6detail15normal_iteratorINS9_10device_ptrIdEEEENS9_16discard_iteratorINS9_11use_defaultEEEdNS9_4plusIvEEdEEDaPvRmT3_T4_T5_mT6_P12ihipStream_tbENKUlT_T0_E_clISt17integral_constantIbLb1EESW_IbLb0EEEEDaSS_ST_EUlSS_E_NS1_11comp_targetILNS1_3genE0ELNS1_11target_archE4294967295ELNS1_3gpuE0ELNS1_3repE0EEENS1_30default_config_static_selectorELNS0_4arch9wavefront6targetE1EEEvT1_ ; -- Begin function _ZN7rocprim17ROCPRIM_400000_NS6detail17trampoline_kernelINS0_14default_configENS1_20scan_config_selectorIdEEZZNS1_9scan_implILNS1_25lookback_scan_determinismE0ELb0ELb0ES3_N6thrust23THRUST_200600_302600_NS6detail15normal_iteratorINS9_10device_ptrIdEEEENS9_16discard_iteratorINS9_11use_defaultEEEdNS9_4plusIvEEdEEDaPvRmT3_T4_T5_mT6_P12ihipStream_tbENKUlT_T0_E_clISt17integral_constantIbLb1EESW_IbLb0EEEEDaSS_ST_EUlSS_E_NS1_11comp_targetILNS1_3genE0ELNS1_11target_archE4294967295ELNS1_3gpuE0ELNS1_3repE0EEENS1_30default_config_static_selectorELNS0_4arch9wavefront6targetE1EEEvT1_
	.globl	_ZN7rocprim17ROCPRIM_400000_NS6detail17trampoline_kernelINS0_14default_configENS1_20scan_config_selectorIdEEZZNS1_9scan_implILNS1_25lookback_scan_determinismE0ELb0ELb0ES3_N6thrust23THRUST_200600_302600_NS6detail15normal_iteratorINS9_10device_ptrIdEEEENS9_16discard_iteratorINS9_11use_defaultEEEdNS9_4plusIvEEdEEDaPvRmT3_T4_T5_mT6_P12ihipStream_tbENKUlT_T0_E_clISt17integral_constantIbLb1EESW_IbLb0EEEEDaSS_ST_EUlSS_E_NS1_11comp_targetILNS1_3genE0ELNS1_11target_archE4294967295ELNS1_3gpuE0ELNS1_3repE0EEENS1_30default_config_static_selectorELNS0_4arch9wavefront6targetE1EEEvT1_
	.p2align	8
	.type	_ZN7rocprim17ROCPRIM_400000_NS6detail17trampoline_kernelINS0_14default_configENS1_20scan_config_selectorIdEEZZNS1_9scan_implILNS1_25lookback_scan_determinismE0ELb0ELb0ES3_N6thrust23THRUST_200600_302600_NS6detail15normal_iteratorINS9_10device_ptrIdEEEENS9_16discard_iteratorINS9_11use_defaultEEEdNS9_4plusIvEEdEEDaPvRmT3_T4_T5_mT6_P12ihipStream_tbENKUlT_T0_E_clISt17integral_constantIbLb1EESW_IbLb0EEEEDaSS_ST_EUlSS_E_NS1_11comp_targetILNS1_3genE0ELNS1_11target_archE4294967295ELNS1_3gpuE0ELNS1_3repE0EEENS1_30default_config_static_selectorELNS0_4arch9wavefront6targetE1EEEvT1_,@function
_ZN7rocprim17ROCPRIM_400000_NS6detail17trampoline_kernelINS0_14default_configENS1_20scan_config_selectorIdEEZZNS1_9scan_implILNS1_25lookback_scan_determinismE0ELb0ELb0ES3_N6thrust23THRUST_200600_302600_NS6detail15normal_iteratorINS9_10device_ptrIdEEEENS9_16discard_iteratorINS9_11use_defaultEEEdNS9_4plusIvEEdEEDaPvRmT3_T4_T5_mT6_P12ihipStream_tbENKUlT_T0_E_clISt17integral_constantIbLb1EESW_IbLb0EEEEDaSS_ST_EUlSS_E_NS1_11comp_targetILNS1_3genE0ELNS1_11target_archE4294967295ELNS1_3gpuE0ELNS1_3repE0EEENS1_30default_config_static_selectorELNS0_4arch9wavefront6targetE1EEEvT1_: ; @_ZN7rocprim17ROCPRIM_400000_NS6detail17trampoline_kernelINS0_14default_configENS1_20scan_config_selectorIdEEZZNS1_9scan_implILNS1_25lookback_scan_determinismE0ELb0ELb0ES3_N6thrust23THRUST_200600_302600_NS6detail15normal_iteratorINS9_10device_ptrIdEEEENS9_16discard_iteratorINS9_11use_defaultEEEdNS9_4plusIvEEdEEDaPvRmT3_T4_T5_mT6_P12ihipStream_tbENKUlT_T0_E_clISt17integral_constantIbLb1EESW_IbLb0EEEEDaSS_ST_EUlSS_E_NS1_11comp_targetILNS1_3genE0ELNS1_11target_archE4294967295ELNS1_3gpuE0ELNS1_3repE0EEENS1_30default_config_static_selectorELNS0_4arch9wavefront6targetE1EEEvT1_
; %bb.0:
	.section	.rodata,"a",@progbits
	.p2align	6, 0x0
	.amdhsa_kernel _ZN7rocprim17ROCPRIM_400000_NS6detail17trampoline_kernelINS0_14default_configENS1_20scan_config_selectorIdEEZZNS1_9scan_implILNS1_25lookback_scan_determinismE0ELb0ELb0ES3_N6thrust23THRUST_200600_302600_NS6detail15normal_iteratorINS9_10device_ptrIdEEEENS9_16discard_iteratorINS9_11use_defaultEEEdNS9_4plusIvEEdEEDaPvRmT3_T4_T5_mT6_P12ihipStream_tbENKUlT_T0_E_clISt17integral_constantIbLb1EESW_IbLb0EEEEDaSS_ST_EUlSS_E_NS1_11comp_targetILNS1_3genE0ELNS1_11target_archE4294967295ELNS1_3gpuE0ELNS1_3repE0EEENS1_30default_config_static_selectorELNS0_4arch9wavefront6targetE1EEEvT1_
		.amdhsa_group_segment_fixed_size 0
		.amdhsa_private_segment_fixed_size 0
		.amdhsa_kernarg_size 112
		.amdhsa_user_sgpr_count 6
		.amdhsa_user_sgpr_private_segment_buffer 1
		.amdhsa_user_sgpr_dispatch_ptr 0
		.amdhsa_user_sgpr_queue_ptr 0
		.amdhsa_user_sgpr_kernarg_segment_ptr 1
		.amdhsa_user_sgpr_dispatch_id 0
		.amdhsa_user_sgpr_flat_scratch_init 0
		.amdhsa_user_sgpr_kernarg_preload_length 0
		.amdhsa_user_sgpr_kernarg_preload_offset 0
		.amdhsa_user_sgpr_private_segment_size 0
		.amdhsa_uses_dynamic_stack 0
		.amdhsa_system_sgpr_private_segment_wavefront_offset 0
		.amdhsa_system_sgpr_workgroup_id_x 1
		.amdhsa_system_sgpr_workgroup_id_y 0
		.amdhsa_system_sgpr_workgroup_id_z 0
		.amdhsa_system_sgpr_workgroup_info 0
		.amdhsa_system_vgpr_workitem_id 0
		.amdhsa_next_free_vgpr 1
		.amdhsa_next_free_sgpr 0
		.amdhsa_accum_offset 4
		.amdhsa_reserve_vcc 0
		.amdhsa_reserve_flat_scratch 0
		.amdhsa_float_round_mode_32 0
		.amdhsa_float_round_mode_16_64 0
		.amdhsa_float_denorm_mode_32 3
		.amdhsa_float_denorm_mode_16_64 3
		.amdhsa_dx10_clamp 1
		.amdhsa_ieee_mode 1
		.amdhsa_fp16_overflow 0
		.amdhsa_tg_split 0
		.amdhsa_exception_fp_ieee_invalid_op 0
		.amdhsa_exception_fp_denorm_src 0
		.amdhsa_exception_fp_ieee_div_zero 0
		.amdhsa_exception_fp_ieee_overflow 0
		.amdhsa_exception_fp_ieee_underflow 0
		.amdhsa_exception_fp_ieee_inexact 0
		.amdhsa_exception_int_div_zero 0
	.end_amdhsa_kernel
	.section	.text._ZN7rocprim17ROCPRIM_400000_NS6detail17trampoline_kernelINS0_14default_configENS1_20scan_config_selectorIdEEZZNS1_9scan_implILNS1_25lookback_scan_determinismE0ELb0ELb0ES3_N6thrust23THRUST_200600_302600_NS6detail15normal_iteratorINS9_10device_ptrIdEEEENS9_16discard_iteratorINS9_11use_defaultEEEdNS9_4plusIvEEdEEDaPvRmT3_T4_T5_mT6_P12ihipStream_tbENKUlT_T0_E_clISt17integral_constantIbLb1EESW_IbLb0EEEEDaSS_ST_EUlSS_E_NS1_11comp_targetILNS1_3genE0ELNS1_11target_archE4294967295ELNS1_3gpuE0ELNS1_3repE0EEENS1_30default_config_static_selectorELNS0_4arch9wavefront6targetE1EEEvT1_,"axG",@progbits,_ZN7rocprim17ROCPRIM_400000_NS6detail17trampoline_kernelINS0_14default_configENS1_20scan_config_selectorIdEEZZNS1_9scan_implILNS1_25lookback_scan_determinismE0ELb0ELb0ES3_N6thrust23THRUST_200600_302600_NS6detail15normal_iteratorINS9_10device_ptrIdEEEENS9_16discard_iteratorINS9_11use_defaultEEEdNS9_4plusIvEEdEEDaPvRmT3_T4_T5_mT6_P12ihipStream_tbENKUlT_T0_E_clISt17integral_constantIbLb1EESW_IbLb0EEEEDaSS_ST_EUlSS_E_NS1_11comp_targetILNS1_3genE0ELNS1_11target_archE4294967295ELNS1_3gpuE0ELNS1_3repE0EEENS1_30default_config_static_selectorELNS0_4arch9wavefront6targetE1EEEvT1_,comdat
.Lfunc_end4898:
	.size	_ZN7rocprim17ROCPRIM_400000_NS6detail17trampoline_kernelINS0_14default_configENS1_20scan_config_selectorIdEEZZNS1_9scan_implILNS1_25lookback_scan_determinismE0ELb0ELb0ES3_N6thrust23THRUST_200600_302600_NS6detail15normal_iteratorINS9_10device_ptrIdEEEENS9_16discard_iteratorINS9_11use_defaultEEEdNS9_4plusIvEEdEEDaPvRmT3_T4_T5_mT6_P12ihipStream_tbENKUlT_T0_E_clISt17integral_constantIbLb1EESW_IbLb0EEEEDaSS_ST_EUlSS_E_NS1_11comp_targetILNS1_3genE0ELNS1_11target_archE4294967295ELNS1_3gpuE0ELNS1_3repE0EEENS1_30default_config_static_selectorELNS0_4arch9wavefront6targetE1EEEvT1_, .Lfunc_end4898-_ZN7rocprim17ROCPRIM_400000_NS6detail17trampoline_kernelINS0_14default_configENS1_20scan_config_selectorIdEEZZNS1_9scan_implILNS1_25lookback_scan_determinismE0ELb0ELb0ES3_N6thrust23THRUST_200600_302600_NS6detail15normal_iteratorINS9_10device_ptrIdEEEENS9_16discard_iteratorINS9_11use_defaultEEEdNS9_4plusIvEEdEEDaPvRmT3_T4_T5_mT6_P12ihipStream_tbENKUlT_T0_E_clISt17integral_constantIbLb1EESW_IbLb0EEEEDaSS_ST_EUlSS_E_NS1_11comp_targetILNS1_3genE0ELNS1_11target_archE4294967295ELNS1_3gpuE0ELNS1_3repE0EEENS1_30default_config_static_selectorELNS0_4arch9wavefront6targetE1EEEvT1_
                                        ; -- End function
	.section	.AMDGPU.csdata,"",@progbits
; Kernel info:
; codeLenInByte = 0
; NumSgprs: 4
; NumVgprs: 0
; NumAgprs: 0
; TotalNumVgprs: 0
; ScratchSize: 0
; MemoryBound: 0
; FloatMode: 240
; IeeeMode: 1
; LDSByteSize: 0 bytes/workgroup (compile time only)
; SGPRBlocks: 0
; VGPRBlocks: 0
; NumSGPRsForWavesPerEU: 4
; NumVGPRsForWavesPerEU: 1
; AccumOffset: 4
; Occupancy: 8
; WaveLimiterHint : 0
; COMPUTE_PGM_RSRC2:SCRATCH_EN: 0
; COMPUTE_PGM_RSRC2:USER_SGPR: 6
; COMPUTE_PGM_RSRC2:TRAP_HANDLER: 0
; COMPUTE_PGM_RSRC2:TGID_X_EN: 1
; COMPUTE_PGM_RSRC2:TGID_Y_EN: 0
; COMPUTE_PGM_RSRC2:TGID_Z_EN: 0
; COMPUTE_PGM_RSRC2:TIDIG_COMP_CNT: 0
; COMPUTE_PGM_RSRC3_GFX90A:ACCUM_OFFSET: 0
; COMPUTE_PGM_RSRC3_GFX90A:TG_SPLIT: 0
	.section	.text._ZN7rocprim17ROCPRIM_400000_NS6detail17trampoline_kernelINS0_14default_configENS1_20scan_config_selectorIdEEZZNS1_9scan_implILNS1_25lookback_scan_determinismE0ELb0ELb0ES3_N6thrust23THRUST_200600_302600_NS6detail15normal_iteratorINS9_10device_ptrIdEEEENS9_16discard_iteratorINS9_11use_defaultEEEdNS9_4plusIvEEdEEDaPvRmT3_T4_T5_mT6_P12ihipStream_tbENKUlT_T0_E_clISt17integral_constantIbLb1EESW_IbLb0EEEEDaSS_ST_EUlSS_E_NS1_11comp_targetILNS1_3genE5ELNS1_11target_archE942ELNS1_3gpuE9ELNS1_3repE0EEENS1_30default_config_static_selectorELNS0_4arch9wavefront6targetE1EEEvT1_,"axG",@progbits,_ZN7rocprim17ROCPRIM_400000_NS6detail17trampoline_kernelINS0_14default_configENS1_20scan_config_selectorIdEEZZNS1_9scan_implILNS1_25lookback_scan_determinismE0ELb0ELb0ES3_N6thrust23THRUST_200600_302600_NS6detail15normal_iteratorINS9_10device_ptrIdEEEENS9_16discard_iteratorINS9_11use_defaultEEEdNS9_4plusIvEEdEEDaPvRmT3_T4_T5_mT6_P12ihipStream_tbENKUlT_T0_E_clISt17integral_constantIbLb1EESW_IbLb0EEEEDaSS_ST_EUlSS_E_NS1_11comp_targetILNS1_3genE5ELNS1_11target_archE942ELNS1_3gpuE9ELNS1_3repE0EEENS1_30default_config_static_selectorELNS0_4arch9wavefront6targetE1EEEvT1_,comdat
	.protected	_ZN7rocprim17ROCPRIM_400000_NS6detail17trampoline_kernelINS0_14default_configENS1_20scan_config_selectorIdEEZZNS1_9scan_implILNS1_25lookback_scan_determinismE0ELb0ELb0ES3_N6thrust23THRUST_200600_302600_NS6detail15normal_iteratorINS9_10device_ptrIdEEEENS9_16discard_iteratorINS9_11use_defaultEEEdNS9_4plusIvEEdEEDaPvRmT3_T4_T5_mT6_P12ihipStream_tbENKUlT_T0_E_clISt17integral_constantIbLb1EESW_IbLb0EEEEDaSS_ST_EUlSS_E_NS1_11comp_targetILNS1_3genE5ELNS1_11target_archE942ELNS1_3gpuE9ELNS1_3repE0EEENS1_30default_config_static_selectorELNS0_4arch9wavefront6targetE1EEEvT1_ ; -- Begin function _ZN7rocprim17ROCPRIM_400000_NS6detail17trampoline_kernelINS0_14default_configENS1_20scan_config_selectorIdEEZZNS1_9scan_implILNS1_25lookback_scan_determinismE0ELb0ELb0ES3_N6thrust23THRUST_200600_302600_NS6detail15normal_iteratorINS9_10device_ptrIdEEEENS9_16discard_iteratorINS9_11use_defaultEEEdNS9_4plusIvEEdEEDaPvRmT3_T4_T5_mT6_P12ihipStream_tbENKUlT_T0_E_clISt17integral_constantIbLb1EESW_IbLb0EEEEDaSS_ST_EUlSS_E_NS1_11comp_targetILNS1_3genE5ELNS1_11target_archE942ELNS1_3gpuE9ELNS1_3repE0EEENS1_30default_config_static_selectorELNS0_4arch9wavefront6targetE1EEEvT1_
	.globl	_ZN7rocprim17ROCPRIM_400000_NS6detail17trampoline_kernelINS0_14default_configENS1_20scan_config_selectorIdEEZZNS1_9scan_implILNS1_25lookback_scan_determinismE0ELb0ELb0ES3_N6thrust23THRUST_200600_302600_NS6detail15normal_iteratorINS9_10device_ptrIdEEEENS9_16discard_iteratorINS9_11use_defaultEEEdNS9_4plusIvEEdEEDaPvRmT3_T4_T5_mT6_P12ihipStream_tbENKUlT_T0_E_clISt17integral_constantIbLb1EESW_IbLb0EEEEDaSS_ST_EUlSS_E_NS1_11comp_targetILNS1_3genE5ELNS1_11target_archE942ELNS1_3gpuE9ELNS1_3repE0EEENS1_30default_config_static_selectorELNS0_4arch9wavefront6targetE1EEEvT1_
	.p2align	8
	.type	_ZN7rocprim17ROCPRIM_400000_NS6detail17trampoline_kernelINS0_14default_configENS1_20scan_config_selectorIdEEZZNS1_9scan_implILNS1_25lookback_scan_determinismE0ELb0ELb0ES3_N6thrust23THRUST_200600_302600_NS6detail15normal_iteratorINS9_10device_ptrIdEEEENS9_16discard_iteratorINS9_11use_defaultEEEdNS9_4plusIvEEdEEDaPvRmT3_T4_T5_mT6_P12ihipStream_tbENKUlT_T0_E_clISt17integral_constantIbLb1EESW_IbLb0EEEEDaSS_ST_EUlSS_E_NS1_11comp_targetILNS1_3genE5ELNS1_11target_archE942ELNS1_3gpuE9ELNS1_3repE0EEENS1_30default_config_static_selectorELNS0_4arch9wavefront6targetE1EEEvT1_,@function
_ZN7rocprim17ROCPRIM_400000_NS6detail17trampoline_kernelINS0_14default_configENS1_20scan_config_selectorIdEEZZNS1_9scan_implILNS1_25lookback_scan_determinismE0ELb0ELb0ES3_N6thrust23THRUST_200600_302600_NS6detail15normal_iteratorINS9_10device_ptrIdEEEENS9_16discard_iteratorINS9_11use_defaultEEEdNS9_4plusIvEEdEEDaPvRmT3_T4_T5_mT6_P12ihipStream_tbENKUlT_T0_E_clISt17integral_constantIbLb1EESW_IbLb0EEEEDaSS_ST_EUlSS_E_NS1_11comp_targetILNS1_3genE5ELNS1_11target_archE942ELNS1_3gpuE9ELNS1_3repE0EEENS1_30default_config_static_selectorELNS0_4arch9wavefront6targetE1EEEvT1_: ; @_ZN7rocprim17ROCPRIM_400000_NS6detail17trampoline_kernelINS0_14default_configENS1_20scan_config_selectorIdEEZZNS1_9scan_implILNS1_25lookback_scan_determinismE0ELb0ELb0ES3_N6thrust23THRUST_200600_302600_NS6detail15normal_iteratorINS9_10device_ptrIdEEEENS9_16discard_iteratorINS9_11use_defaultEEEdNS9_4plusIvEEdEEDaPvRmT3_T4_T5_mT6_P12ihipStream_tbENKUlT_T0_E_clISt17integral_constantIbLb1EESW_IbLb0EEEEDaSS_ST_EUlSS_E_NS1_11comp_targetILNS1_3genE5ELNS1_11target_archE942ELNS1_3gpuE9ELNS1_3repE0EEENS1_30default_config_static_selectorELNS0_4arch9wavefront6targetE1EEEvT1_
; %bb.0:
	.section	.rodata,"a",@progbits
	.p2align	6, 0x0
	.amdhsa_kernel _ZN7rocprim17ROCPRIM_400000_NS6detail17trampoline_kernelINS0_14default_configENS1_20scan_config_selectorIdEEZZNS1_9scan_implILNS1_25lookback_scan_determinismE0ELb0ELb0ES3_N6thrust23THRUST_200600_302600_NS6detail15normal_iteratorINS9_10device_ptrIdEEEENS9_16discard_iteratorINS9_11use_defaultEEEdNS9_4plusIvEEdEEDaPvRmT3_T4_T5_mT6_P12ihipStream_tbENKUlT_T0_E_clISt17integral_constantIbLb1EESW_IbLb0EEEEDaSS_ST_EUlSS_E_NS1_11comp_targetILNS1_3genE5ELNS1_11target_archE942ELNS1_3gpuE9ELNS1_3repE0EEENS1_30default_config_static_selectorELNS0_4arch9wavefront6targetE1EEEvT1_
		.amdhsa_group_segment_fixed_size 0
		.amdhsa_private_segment_fixed_size 0
		.amdhsa_kernarg_size 112
		.amdhsa_user_sgpr_count 6
		.amdhsa_user_sgpr_private_segment_buffer 1
		.amdhsa_user_sgpr_dispatch_ptr 0
		.amdhsa_user_sgpr_queue_ptr 0
		.amdhsa_user_sgpr_kernarg_segment_ptr 1
		.amdhsa_user_sgpr_dispatch_id 0
		.amdhsa_user_sgpr_flat_scratch_init 0
		.amdhsa_user_sgpr_kernarg_preload_length 0
		.amdhsa_user_sgpr_kernarg_preload_offset 0
		.amdhsa_user_sgpr_private_segment_size 0
		.amdhsa_uses_dynamic_stack 0
		.amdhsa_system_sgpr_private_segment_wavefront_offset 0
		.amdhsa_system_sgpr_workgroup_id_x 1
		.amdhsa_system_sgpr_workgroup_id_y 0
		.amdhsa_system_sgpr_workgroup_id_z 0
		.amdhsa_system_sgpr_workgroup_info 0
		.amdhsa_system_vgpr_workitem_id 0
		.amdhsa_next_free_vgpr 1
		.amdhsa_next_free_sgpr 0
		.amdhsa_accum_offset 4
		.amdhsa_reserve_vcc 0
		.amdhsa_reserve_flat_scratch 0
		.amdhsa_float_round_mode_32 0
		.amdhsa_float_round_mode_16_64 0
		.amdhsa_float_denorm_mode_32 3
		.amdhsa_float_denorm_mode_16_64 3
		.amdhsa_dx10_clamp 1
		.amdhsa_ieee_mode 1
		.amdhsa_fp16_overflow 0
		.amdhsa_tg_split 0
		.amdhsa_exception_fp_ieee_invalid_op 0
		.amdhsa_exception_fp_denorm_src 0
		.amdhsa_exception_fp_ieee_div_zero 0
		.amdhsa_exception_fp_ieee_overflow 0
		.amdhsa_exception_fp_ieee_underflow 0
		.amdhsa_exception_fp_ieee_inexact 0
		.amdhsa_exception_int_div_zero 0
	.end_amdhsa_kernel
	.section	.text._ZN7rocprim17ROCPRIM_400000_NS6detail17trampoline_kernelINS0_14default_configENS1_20scan_config_selectorIdEEZZNS1_9scan_implILNS1_25lookback_scan_determinismE0ELb0ELb0ES3_N6thrust23THRUST_200600_302600_NS6detail15normal_iteratorINS9_10device_ptrIdEEEENS9_16discard_iteratorINS9_11use_defaultEEEdNS9_4plusIvEEdEEDaPvRmT3_T4_T5_mT6_P12ihipStream_tbENKUlT_T0_E_clISt17integral_constantIbLb1EESW_IbLb0EEEEDaSS_ST_EUlSS_E_NS1_11comp_targetILNS1_3genE5ELNS1_11target_archE942ELNS1_3gpuE9ELNS1_3repE0EEENS1_30default_config_static_selectorELNS0_4arch9wavefront6targetE1EEEvT1_,"axG",@progbits,_ZN7rocprim17ROCPRIM_400000_NS6detail17trampoline_kernelINS0_14default_configENS1_20scan_config_selectorIdEEZZNS1_9scan_implILNS1_25lookback_scan_determinismE0ELb0ELb0ES3_N6thrust23THRUST_200600_302600_NS6detail15normal_iteratorINS9_10device_ptrIdEEEENS9_16discard_iteratorINS9_11use_defaultEEEdNS9_4plusIvEEdEEDaPvRmT3_T4_T5_mT6_P12ihipStream_tbENKUlT_T0_E_clISt17integral_constantIbLb1EESW_IbLb0EEEEDaSS_ST_EUlSS_E_NS1_11comp_targetILNS1_3genE5ELNS1_11target_archE942ELNS1_3gpuE9ELNS1_3repE0EEENS1_30default_config_static_selectorELNS0_4arch9wavefront6targetE1EEEvT1_,comdat
.Lfunc_end4899:
	.size	_ZN7rocprim17ROCPRIM_400000_NS6detail17trampoline_kernelINS0_14default_configENS1_20scan_config_selectorIdEEZZNS1_9scan_implILNS1_25lookback_scan_determinismE0ELb0ELb0ES3_N6thrust23THRUST_200600_302600_NS6detail15normal_iteratorINS9_10device_ptrIdEEEENS9_16discard_iteratorINS9_11use_defaultEEEdNS9_4plusIvEEdEEDaPvRmT3_T4_T5_mT6_P12ihipStream_tbENKUlT_T0_E_clISt17integral_constantIbLb1EESW_IbLb0EEEEDaSS_ST_EUlSS_E_NS1_11comp_targetILNS1_3genE5ELNS1_11target_archE942ELNS1_3gpuE9ELNS1_3repE0EEENS1_30default_config_static_selectorELNS0_4arch9wavefront6targetE1EEEvT1_, .Lfunc_end4899-_ZN7rocprim17ROCPRIM_400000_NS6detail17trampoline_kernelINS0_14default_configENS1_20scan_config_selectorIdEEZZNS1_9scan_implILNS1_25lookback_scan_determinismE0ELb0ELb0ES3_N6thrust23THRUST_200600_302600_NS6detail15normal_iteratorINS9_10device_ptrIdEEEENS9_16discard_iteratorINS9_11use_defaultEEEdNS9_4plusIvEEdEEDaPvRmT3_T4_T5_mT6_P12ihipStream_tbENKUlT_T0_E_clISt17integral_constantIbLb1EESW_IbLb0EEEEDaSS_ST_EUlSS_E_NS1_11comp_targetILNS1_3genE5ELNS1_11target_archE942ELNS1_3gpuE9ELNS1_3repE0EEENS1_30default_config_static_selectorELNS0_4arch9wavefront6targetE1EEEvT1_
                                        ; -- End function
	.section	.AMDGPU.csdata,"",@progbits
; Kernel info:
; codeLenInByte = 0
; NumSgprs: 4
; NumVgprs: 0
; NumAgprs: 0
; TotalNumVgprs: 0
; ScratchSize: 0
; MemoryBound: 0
; FloatMode: 240
; IeeeMode: 1
; LDSByteSize: 0 bytes/workgroup (compile time only)
; SGPRBlocks: 0
; VGPRBlocks: 0
; NumSGPRsForWavesPerEU: 4
; NumVGPRsForWavesPerEU: 1
; AccumOffset: 4
; Occupancy: 8
; WaveLimiterHint : 0
; COMPUTE_PGM_RSRC2:SCRATCH_EN: 0
; COMPUTE_PGM_RSRC2:USER_SGPR: 6
; COMPUTE_PGM_RSRC2:TRAP_HANDLER: 0
; COMPUTE_PGM_RSRC2:TGID_X_EN: 1
; COMPUTE_PGM_RSRC2:TGID_Y_EN: 0
; COMPUTE_PGM_RSRC2:TGID_Z_EN: 0
; COMPUTE_PGM_RSRC2:TIDIG_COMP_CNT: 0
; COMPUTE_PGM_RSRC3_GFX90A:ACCUM_OFFSET: 0
; COMPUTE_PGM_RSRC3_GFX90A:TG_SPLIT: 0
	.section	.text._ZN7rocprim17ROCPRIM_400000_NS6detail17trampoline_kernelINS0_14default_configENS1_20scan_config_selectorIdEEZZNS1_9scan_implILNS1_25lookback_scan_determinismE0ELb0ELb0ES3_N6thrust23THRUST_200600_302600_NS6detail15normal_iteratorINS9_10device_ptrIdEEEENS9_16discard_iteratorINS9_11use_defaultEEEdNS9_4plusIvEEdEEDaPvRmT3_T4_T5_mT6_P12ihipStream_tbENKUlT_T0_E_clISt17integral_constantIbLb1EESW_IbLb0EEEEDaSS_ST_EUlSS_E_NS1_11comp_targetILNS1_3genE4ELNS1_11target_archE910ELNS1_3gpuE8ELNS1_3repE0EEENS1_30default_config_static_selectorELNS0_4arch9wavefront6targetE1EEEvT1_,"axG",@progbits,_ZN7rocprim17ROCPRIM_400000_NS6detail17trampoline_kernelINS0_14default_configENS1_20scan_config_selectorIdEEZZNS1_9scan_implILNS1_25lookback_scan_determinismE0ELb0ELb0ES3_N6thrust23THRUST_200600_302600_NS6detail15normal_iteratorINS9_10device_ptrIdEEEENS9_16discard_iteratorINS9_11use_defaultEEEdNS9_4plusIvEEdEEDaPvRmT3_T4_T5_mT6_P12ihipStream_tbENKUlT_T0_E_clISt17integral_constantIbLb1EESW_IbLb0EEEEDaSS_ST_EUlSS_E_NS1_11comp_targetILNS1_3genE4ELNS1_11target_archE910ELNS1_3gpuE8ELNS1_3repE0EEENS1_30default_config_static_selectorELNS0_4arch9wavefront6targetE1EEEvT1_,comdat
	.protected	_ZN7rocprim17ROCPRIM_400000_NS6detail17trampoline_kernelINS0_14default_configENS1_20scan_config_selectorIdEEZZNS1_9scan_implILNS1_25lookback_scan_determinismE0ELb0ELb0ES3_N6thrust23THRUST_200600_302600_NS6detail15normal_iteratorINS9_10device_ptrIdEEEENS9_16discard_iteratorINS9_11use_defaultEEEdNS9_4plusIvEEdEEDaPvRmT3_T4_T5_mT6_P12ihipStream_tbENKUlT_T0_E_clISt17integral_constantIbLb1EESW_IbLb0EEEEDaSS_ST_EUlSS_E_NS1_11comp_targetILNS1_3genE4ELNS1_11target_archE910ELNS1_3gpuE8ELNS1_3repE0EEENS1_30default_config_static_selectorELNS0_4arch9wavefront6targetE1EEEvT1_ ; -- Begin function _ZN7rocprim17ROCPRIM_400000_NS6detail17trampoline_kernelINS0_14default_configENS1_20scan_config_selectorIdEEZZNS1_9scan_implILNS1_25lookback_scan_determinismE0ELb0ELb0ES3_N6thrust23THRUST_200600_302600_NS6detail15normal_iteratorINS9_10device_ptrIdEEEENS9_16discard_iteratorINS9_11use_defaultEEEdNS9_4plusIvEEdEEDaPvRmT3_T4_T5_mT6_P12ihipStream_tbENKUlT_T0_E_clISt17integral_constantIbLb1EESW_IbLb0EEEEDaSS_ST_EUlSS_E_NS1_11comp_targetILNS1_3genE4ELNS1_11target_archE910ELNS1_3gpuE8ELNS1_3repE0EEENS1_30default_config_static_selectorELNS0_4arch9wavefront6targetE1EEEvT1_
	.globl	_ZN7rocprim17ROCPRIM_400000_NS6detail17trampoline_kernelINS0_14default_configENS1_20scan_config_selectorIdEEZZNS1_9scan_implILNS1_25lookback_scan_determinismE0ELb0ELb0ES3_N6thrust23THRUST_200600_302600_NS6detail15normal_iteratorINS9_10device_ptrIdEEEENS9_16discard_iteratorINS9_11use_defaultEEEdNS9_4plusIvEEdEEDaPvRmT3_T4_T5_mT6_P12ihipStream_tbENKUlT_T0_E_clISt17integral_constantIbLb1EESW_IbLb0EEEEDaSS_ST_EUlSS_E_NS1_11comp_targetILNS1_3genE4ELNS1_11target_archE910ELNS1_3gpuE8ELNS1_3repE0EEENS1_30default_config_static_selectorELNS0_4arch9wavefront6targetE1EEEvT1_
	.p2align	8
	.type	_ZN7rocprim17ROCPRIM_400000_NS6detail17trampoline_kernelINS0_14default_configENS1_20scan_config_selectorIdEEZZNS1_9scan_implILNS1_25lookback_scan_determinismE0ELb0ELb0ES3_N6thrust23THRUST_200600_302600_NS6detail15normal_iteratorINS9_10device_ptrIdEEEENS9_16discard_iteratorINS9_11use_defaultEEEdNS9_4plusIvEEdEEDaPvRmT3_T4_T5_mT6_P12ihipStream_tbENKUlT_T0_E_clISt17integral_constantIbLb1EESW_IbLb0EEEEDaSS_ST_EUlSS_E_NS1_11comp_targetILNS1_3genE4ELNS1_11target_archE910ELNS1_3gpuE8ELNS1_3repE0EEENS1_30default_config_static_selectorELNS0_4arch9wavefront6targetE1EEEvT1_,@function
_ZN7rocprim17ROCPRIM_400000_NS6detail17trampoline_kernelINS0_14default_configENS1_20scan_config_selectorIdEEZZNS1_9scan_implILNS1_25lookback_scan_determinismE0ELb0ELb0ES3_N6thrust23THRUST_200600_302600_NS6detail15normal_iteratorINS9_10device_ptrIdEEEENS9_16discard_iteratorINS9_11use_defaultEEEdNS9_4plusIvEEdEEDaPvRmT3_T4_T5_mT6_P12ihipStream_tbENKUlT_T0_E_clISt17integral_constantIbLb1EESW_IbLb0EEEEDaSS_ST_EUlSS_E_NS1_11comp_targetILNS1_3genE4ELNS1_11target_archE910ELNS1_3gpuE8ELNS1_3repE0EEENS1_30default_config_static_selectorELNS0_4arch9wavefront6targetE1EEEvT1_: ; @_ZN7rocprim17ROCPRIM_400000_NS6detail17trampoline_kernelINS0_14default_configENS1_20scan_config_selectorIdEEZZNS1_9scan_implILNS1_25lookback_scan_determinismE0ELb0ELb0ES3_N6thrust23THRUST_200600_302600_NS6detail15normal_iteratorINS9_10device_ptrIdEEEENS9_16discard_iteratorINS9_11use_defaultEEEdNS9_4plusIvEEdEEDaPvRmT3_T4_T5_mT6_P12ihipStream_tbENKUlT_T0_E_clISt17integral_constantIbLb1EESW_IbLb0EEEEDaSS_ST_EUlSS_E_NS1_11comp_targetILNS1_3genE4ELNS1_11target_archE910ELNS1_3gpuE8ELNS1_3repE0EEENS1_30default_config_static_selectorELNS0_4arch9wavefront6targetE1EEEvT1_
; %bb.0:
	s_load_dwordx4 s[0:3], s[4:5], 0x0
	s_load_dwordx2 s[8:9], s[4:5], 0x20
	s_load_dword s7, s[4:5], 0x40
	s_waitcnt lgkmcnt(0)
	s_lshl_b64 s[2:3], s[2:3], 3
	s_add_u32 s2, s0, s2
	s_addc_u32 s3, s1, s3
	s_add_i32 s7, s7, -1
	s_mul_i32 s10, s7, 0x500
	s_sub_u32 s20, s8, s10
	s_subb_u32 s21, s9, 0
	s_mul_i32 s0, s6, 0x500
	s_mov_b32 s1, 0
	s_cmp_lg_u32 s6, s7
	s_cselect_b64 s[14:15], -1, 0
	s_lshl_b64 s[0:1], s[0:1], 3
	s_add_u32 s0, s2, s0
	s_addc_u32 s1, s3, s1
	s_mov_b64 s[2:3], -1
	s_and_b64 vcc, exec, s[14:15]
	s_cbranch_vccz .LBB4900_2
; %bb.1:
	v_lshlrev_b32_e32 v1, 3, v0
	v_mov_b32_e32 v3, s1
	v_add_co_u32_e32 v2, vcc, s0, v1
	v_addc_co_u32_e32 v3, vcc, 0, v3, vcc
	v_add_co_u32_e32 v12, vcc, 0x1000, v2
	v_addc_co_u32_e32 v13, vcc, 0, v3, vcc
	flat_load_dwordx2 v[4:5], v[2:3]
	flat_load_dwordx2 v[6:7], v[2:3] offset:1024
	flat_load_dwordx2 v[8:9], v[2:3] offset:2048
	;; [unrolled: 1-line block ×3, first 2 shown]
	v_add_co_u32_e32 v2, vcc, 0x2000, v2
	v_addc_co_u32_e32 v3, vcc, 0, v3, vcc
	flat_load_dwordx2 v[14:15], v[12:13]
	flat_load_dwordx2 v[16:17], v[12:13] offset:1024
	flat_load_dwordx2 v[18:19], v[12:13] offset:2048
	;; [unrolled: 1-line block ×3, first 2 shown]
	s_nop 0
	flat_load_dwordx2 v[12:13], v[2:3]
	flat_load_dwordx2 v[22:23], v[2:3] offset:1024
	s_mov_b64 s[2:3], 0
	s_waitcnt vmcnt(0) lgkmcnt(0)
	ds_write2st64_b64 v1, v[4:5], v[6:7] offset1:2
	ds_write2st64_b64 v1, v[8:9], v[10:11] offset0:4 offset1:6
	ds_write2st64_b64 v1, v[14:15], v[16:17] offset0:8 offset1:10
	;; [unrolled: 1-line block ×4, first 2 shown]
	s_waitcnt lgkmcnt(0)
	s_barrier
.LBB4900_2:
	s_load_dwordx2 s[16:17], s[4:5], 0x38
	s_andn2_b64 vcc, exec, s[2:3]
	s_cbranch_vccnz .LBB4900_24
; %bb.3:
	v_pk_mov_b32 v[2:3], s[0:1], s[0:1] op_sel:[0,1]
	flat_load_dwordx2 v[2:3], v[2:3]
	v_cmp_gt_u32_e32 vcc, s20, v0
	s_waitcnt vmcnt(0) lgkmcnt(0)
	v_mov_b32_e32 v4, v2
	v_mov_b32_e32 v5, v3
	;; [unrolled: 1-line block ×16, first 2 shown]
	v_pk_mov_b32 v[34:35], v[30:31], v[30:31] op_sel:[0,1]
	v_pk_mov_b32 v[32:33], v[28:29], v[28:29] op_sel:[0,1]
	;; [unrolled: 1-line block ×16, first 2 shown]
	s_and_saveexec_b64 s[2:3], vcc
	s_cbranch_execz .LBB4900_5
; %bb.4:
	v_lshlrev_b32_e32 v1, 3, v0
	v_mov_b32_e32 v5, s1
	v_add_co_u32_e32 v4, vcc, s0, v1
	v_addc_co_u32_e32 v5, vcc, 0, v5, vcc
	flat_load_dwordx2 v[36:37], v[4:5]
	v_mov_b32_e32 v4, v2
	v_mov_b32_e32 v5, v3
	;; [unrolled: 1-line block ×16, first 2 shown]
	v_pk_mov_b32 v[34:35], v[30:31], v[30:31] op_sel:[0,1]
	v_pk_mov_b32 v[32:33], v[28:29], v[28:29] op_sel:[0,1]
	;; [unrolled: 1-line block ×16, first 2 shown]
	s_waitcnt vmcnt(0) lgkmcnt(0)
	v_pk_mov_b32 v[2:3], v[36:37], v[36:37] op_sel:[0,1]
.LBB4900_5:
	s_or_b64 exec, exec, s[2:3]
	v_or_b32_e32 v1, 0x80, v0
	v_cmp_gt_u32_e32 vcc, s20, v1
	s_and_saveexec_b64 s[2:3], vcc
	s_cbranch_execz .LBB4900_7
; %bb.6:
	v_lshlrev_b32_e32 v1, 3, v0
	v_mov_b32_e32 v5, s1
	v_add_co_u32_e32 v4, vcc, s0, v1
	v_addc_co_u32_e32 v5, vcc, 0, v5, vcc
	flat_load_dwordx2 v[6:7], v[4:5] offset:1024
.LBB4900_7:
	s_or_b64 exec, exec, s[2:3]
	v_or_b32_e32 v1, 0x100, v0
	v_cmp_gt_u32_e32 vcc, s20, v1
	s_and_saveexec_b64 s[2:3], vcc
	s_cbranch_execz .LBB4900_9
; %bb.8:
	v_lshlrev_b32_e32 v1, 3, v0
	v_mov_b32_e32 v5, s1
	v_add_co_u32_e32 v4, vcc, s0, v1
	v_addc_co_u32_e32 v5, vcc, 0, v5, vcc
	flat_load_dwordx2 v[8:9], v[4:5] offset:2048
.LBB4900_9:
	;; [unrolled: 12-line block ×3, first 2 shown]
	s_or_b64 exec, exec, s[2:3]
	v_or_b32_e32 v1, 0x200, v0
	v_cmp_gt_u32_e32 vcc, s20, v1
	s_and_saveexec_b64 s[2:3], vcc
	s_cbranch_execz .LBB4900_13
; %bb.12:
	v_lshlrev_b32_e32 v1, 3, v1
	v_mov_b32_e32 v5, s1
	v_add_co_u32_e32 v4, vcc, s0, v1
	v_addc_co_u32_e32 v5, vcc, 0, v5, vcc
	flat_load_dwordx2 v[12:13], v[4:5]
.LBB4900_13:
	s_or_b64 exec, exec, s[2:3]
	v_or_b32_e32 v1, 0x280, v0
	v_cmp_gt_u32_e32 vcc, s20, v1
	s_and_saveexec_b64 s[2:3], vcc
	s_cbranch_execz .LBB4900_15
; %bb.14:
	v_lshlrev_b32_e32 v1, 3, v1
	v_mov_b32_e32 v5, s1
	v_add_co_u32_e32 v4, vcc, s0, v1
	v_addc_co_u32_e32 v5, vcc, 0, v5, vcc
	flat_load_dwordx2 v[14:15], v[4:5]
.LBB4900_15:
	;; [unrolled: 12-line block ×6, first 2 shown]
	s_or_b64 exec, exec, s[2:3]
	v_lshlrev_b32_e32 v1, 3, v0
	s_waitcnt vmcnt(0) lgkmcnt(0)
	ds_write2st64_b64 v1, v[2:3], v[6:7] offset1:2
	ds_write2st64_b64 v1, v[8:9], v[10:11] offset0:4 offset1:6
	ds_write2st64_b64 v1, v[12:13], v[14:15] offset0:8 offset1:10
	;; [unrolled: 1-line block ×4, first 2 shown]
	s_waitcnt lgkmcnt(0)
	s_barrier
.LBB4900_24:
	v_mul_u32_u24_e32 v48, 10, v0
	v_lshlrev_b32_e32 v49, 3, v48
	s_waitcnt lgkmcnt(0)
	ds_read_b128 v[2:5], v49
	ds_read_b128 v[14:17], v49 offset:16
	ds_read_b128 v[10:13], v49 offset:32
	ds_read_b128 v[6:9], v49 offset:48
	ds_read_b128 v[18:21], v49 offset:64
	s_cmp_lg_u32 s6, 0
	v_mbcnt_lo_u32_b32 v1, -1, 0
	s_waitcnt lgkmcnt(0)
	s_barrier
	s_cbranch_scc0 .LBB4900_57
; %bb.25:
	v_add_f64 v[22:23], v[2:3], v[4:5]
	v_add_f64 v[22:23], v[14:15], v[22:23]
	;; [unrolled: 1-line block ×9, first 2 shown]
	v_mbcnt_hi_u32_b32 v33, -1, v1
	v_and_b32_e32 v28, 15, v33
	v_mov_b32_dpp v24, v22 row_shr:1 row_mask:0xf bank_mask:0xf
	v_mov_b32_dpp v25, v23 row_shr:1 row_mask:0xf bank_mask:0xf
	v_add_f64 v[24:25], v[22:23], v[24:25]
	v_cmp_eq_u32_e32 vcc, 0, v28
	v_cndmask_b32_e32 v24, v24, v22, vcc
	v_cndmask_b32_e32 v25, v25, v23, vcc
	v_cmp_lt_u32_e32 vcc, 1, v28
	v_mov_b32_dpp v26, v24 row_shr:2 row_mask:0xf bank_mask:0xf
	v_mov_b32_dpp v27, v25 row_shr:2 row_mask:0xf bank_mask:0xf
	v_add_f64 v[26:27], v[24:25], v[26:27]
	v_cndmask_b32_e32 v24, v24, v26, vcc
	v_cndmask_b32_e32 v25, v25, v27, vcc
	v_cmp_lt_u32_e32 vcc, 3, v28
	v_mov_b32_dpp v26, v24 row_shr:4 row_mask:0xf bank_mask:0xf
	v_mov_b32_dpp v27, v25 row_shr:4 row_mask:0xf bank_mask:0xf
	v_add_f64 v[26:27], v[24:25], v[26:27]
	;; [unrolled: 6-line block ×3, first 2 shown]
	v_cndmask_b32_e32 v24, v24, v26, vcc
	v_cndmask_b32_e32 v25, v25, v27, vcc
	v_and_b32_e32 v30, 16, v33
	v_mov_b32_dpp v26, v24 row_bcast:15 row_mask:0xf bank_mask:0xf
	v_mov_b32_dpp v27, v25 row_bcast:15 row_mask:0xf bank_mask:0xf
	v_add_f64 v[28:29], v[24:25], v[26:27]
	v_cmp_eq_u32_e32 vcc, 0, v30
	v_cndmask_b32_e32 v27, v29, v25, vcc
	v_cndmask_b32_e32 v26, v28, v24, vcc
	v_cmp_eq_u32_e64 s[0:1], 0, v33
	v_mov_b32_dpp v27, v27 row_bcast:31 row_mask:0xf bank_mask:0xf
	v_mov_b32_dpp v26, v26 row_bcast:31 row_mask:0xf bank_mask:0xf
	v_cmp_ne_u32_e64 s[2:3], 0, v33
	s_and_saveexec_b64 s[8:9], s[2:3]
; %bb.26:
	v_cndmask_b32_e32 v23, v29, v25, vcc
	v_cndmask_b32_e32 v22, v28, v24, vcc
	v_add_f64 v[24:25], v[22:23], v[26:27]
	v_cmp_lt_u32_e32 vcc, 31, v33
	v_cndmask_b32_e32 v23, v23, v25, vcc
	v_cndmask_b32_e32 v22, v22, v24, vcc
; %bb.27:
	s_or_b64 exec, exec, s[8:9]
	v_or_b32_e32 v25, 63, v0
	v_lshrrev_b32_e32 v24, 6, v0
	v_cmp_eq_u32_e32 vcc, v25, v0
	s_and_saveexec_b64 s[2:3], vcc
	s_cbranch_execz .LBB4900_29
; %bb.28:
	v_lshlrev_b32_e32 v25, 3, v24
	ds_write_b64 v25, v[22:23]
.LBB4900_29:
	s_or_b64 exec, exec, s[2:3]
	v_cmp_gt_u32_e32 vcc, 2, v0
	s_waitcnt lgkmcnt(0)
	s_barrier
	s_and_saveexec_b64 s[2:3], vcc
	s_cbranch_execz .LBB4900_31
; %bb.30:
	v_lshlrev_b32_e32 v25, 3, v0
	ds_read_b64 v[26:27], v25
	v_and_b32_e32 v30, 1, v33
	v_cmp_eq_u32_e32 vcc, 0, v30
	s_waitcnt lgkmcnt(0)
	v_mov_b32_dpp v28, v26 row_shr:1 row_mask:0xf bank_mask:0xf
	v_mov_b32_dpp v29, v27 row_shr:1 row_mask:0xf bank_mask:0xf
	v_add_f64 v[28:29], v[26:27], v[28:29]
	v_cndmask_b32_e32 v27, v29, v27, vcc
	v_cndmask_b32_e32 v26, v28, v26, vcc
	ds_write_b64 v25, v[26:27]
.LBB4900_31:
	s_or_b64 exec, exec, s[2:3]
	v_cmp_gt_u32_e32 vcc, 64, v0
	v_cmp_lt_u32_e64 s[2:3], 63, v0
	s_waitcnt lgkmcnt(0)
	s_barrier
	s_waitcnt lgkmcnt(0)
                                        ; implicit-def: $vgpr30_vgpr31
	s_and_saveexec_b64 s[8:9], s[2:3]
	s_cbranch_execz .LBB4900_33
; %bb.32:
	v_lshl_add_u32 v24, v24, 3, -8
	ds_read_b64 v[30:31], v24
	s_waitcnt lgkmcnt(0)
	v_add_f64 v[22:23], v[22:23], v[30:31]
.LBB4900_33:
	s_or_b64 exec, exec, s[8:9]
	v_add_u32_e32 v24, -1, v33
	v_and_b32_e32 v25, 64, v33
	v_cmp_lt_i32_e64 s[2:3], v24, v25
	v_cndmask_b32_e64 v24, v24, v33, s[2:3]
	v_lshlrev_b32_e32 v24, 2, v24
	ds_bpermute_b32 v38, v24, v22
	ds_bpermute_b32 v39, v24, v23
	s_and_saveexec_b64 s[18:19], vcc
	s_cbranch_execz .LBB4900_56
; %bb.34:
	v_mov_b32_e32 v25, 0
	ds_read_b64 v[22:23], v25 offset:8
	s_and_saveexec_b64 s[2:3], s[0:1]
	s_cbranch_execz .LBB4900_36
; %bb.35:
	s_add_i32 s8, s6, 64
	s_mov_b32 s9, 0
	s_lshl_b64 s[8:9], s[8:9], 4
	s_add_u32 s8, s16, s8
	s_addc_u32 s9, s17, s9
	v_mov_b32_e32 v24, 1
	v_pk_mov_b32 v[26:27], s[8:9], s[8:9] op_sel:[0,1]
	s_waitcnt lgkmcnt(0)
	;;#ASMSTART
	global_store_dwordx4 v[26:27], v[22:25] off	
s_waitcnt vmcnt(0)
	;;#ASMEND
.LBB4900_36:
	s_or_b64 exec, exec, s[2:3]
	v_xad_u32 v32, v33, -1, s6
	v_add_u32_e32 v24, 64, v32
	v_lshlrev_b64 v[26:27], 4, v[24:25]
	v_mov_b32_e32 v24, s17
	v_add_co_u32_e32 v34, vcc, s16, v26
	v_addc_co_u32_e32 v35, vcc, v24, v27, vcc
	;;#ASMSTART
	global_load_dwordx4 v[26:29], v[34:35] off glc	
s_waitcnt vmcnt(0)
	;;#ASMEND
	v_and_b32_e32 v24, 0xff, v27
	v_and_b32_e32 v29, 0xff00, v27
	v_or3_b32 v24, 0, v24, v29
	v_or3_b32 v26, v26, 0, 0
	v_and_b32_e32 v29, 0xff000000, v27
	v_and_b32_e32 v27, 0xff0000, v27
	v_or3_b32 v27, v24, v27, v29
	v_or3_b32 v26, v26, 0, 0
	v_cmp_eq_u16_sdwa s[8:9], v28, v25 src0_sel:BYTE_0 src1_sel:DWORD
	s_and_saveexec_b64 s[2:3], s[8:9]
	s_cbranch_execz .LBB4900_42
; %bb.37:
	s_mov_b32 s7, 1
	s_mov_b64 s[8:9], 0
	v_mov_b32_e32 v24, 0
.LBB4900_38:                            ; =>This Loop Header: Depth=1
                                        ;     Child Loop BB4900_39 Depth 2
	s_max_u32 s10, s7, 1
.LBB4900_39:                            ;   Parent Loop BB4900_38 Depth=1
                                        ; =>  This Inner Loop Header: Depth=2
	s_add_i32 s10, s10, -1
	s_cmp_eq_u32 s10, 0
	s_sleep 1
	s_cbranch_scc0 .LBB4900_39
; %bb.40:                               ;   in Loop: Header=BB4900_38 Depth=1
	s_cmp_lt_u32 s7, 32
	s_cselect_b64 s[10:11], -1, 0
	s_cmp_lg_u64 s[10:11], 0
	s_addc_u32 s7, s7, 0
	;;#ASMSTART
	global_load_dwordx4 v[26:29], v[34:35] off glc	
s_waitcnt vmcnt(0)
	;;#ASMEND
	v_cmp_ne_u16_sdwa s[10:11], v28, v24 src0_sel:BYTE_0 src1_sel:DWORD
	s_or_b64 s[8:9], s[10:11], s[8:9]
	s_andn2_b64 exec, exec, s[8:9]
	s_cbranch_execnz .LBB4900_38
; %bb.41:
	s_or_b64 exec, exec, s[8:9]
.LBB4900_42:
	s_or_b64 exec, exec, s[2:3]
	v_and_b32_e32 v41, 63, v33
	v_cmp_ne_u32_e32 vcc, 63, v41
	v_mov_b32_e32 v40, 2
	v_addc_co_u32_e32 v34, vcc, 0, v33, vcc
	v_cmp_eq_u16_sdwa s[2:3], v28, v40 src0_sel:BYTE_0 src1_sel:DWORD
	v_lshlrev_b64 v[24:25], v33, -1
	v_lshlrev_b32_e32 v42, 2, v34
	v_and_b32_e32 v29, s3, v25
	ds_bpermute_b32 v34, v42, v26
	ds_bpermute_b32 v35, v42, v27
	v_or_b32_e32 v29, 0x80000000, v29
	v_and_b32_e32 v36, s2, v24
	v_ffbl_b32_e32 v29, v29
	v_add_u32_e32 v29, 32, v29
	v_ffbl_b32_e32 v36, v36
	v_cmp_gt_u32_e64 s[2:3], 62, v41
	v_min_u32_e32 v29, v36, v29
	v_cndmask_b32_e64 v36, 0, 1, s[2:3]
	s_waitcnt lgkmcnt(0)
	v_add_f64 v[34:35], v[26:27], v[34:35]
	v_cmp_lt_u32_e32 vcc, v41, v29
	v_lshlrev_b32_e32 v36, 1, v36
	v_cndmask_b32_e32 v34, v26, v34, vcc
	v_cndmask_b32_e32 v35, v27, v35, vcc
	v_add_lshl_u32 v43, v36, v33, 2
	ds_bpermute_b32 v36, v43, v34
	ds_bpermute_b32 v37, v43, v35
	v_add_u32_e32 v44, 2, v41
	v_cmp_gt_u32_e64 s[2:3], v44, v29
	v_cmp_gt_u32_e64 s[8:9], 56, v41
	v_add_u32_e32 v46, 4, v41
	s_waitcnt lgkmcnt(0)
	v_add_f64 v[36:37], v[34:35], v[36:37]
	v_cndmask_b32_e64 v34, v36, v34, s[2:3]
	v_cndmask_b32_e64 v35, v37, v35, s[2:3]
	v_cmp_gt_u32_e64 s[2:3], 60, v41
	v_cndmask_b32_e64 v36, 0, 1, s[2:3]
	v_lshlrev_b32_e32 v36, 2, v36
	v_add_lshl_u32 v45, v36, v33, 2
	ds_bpermute_b32 v36, v45, v34
	ds_bpermute_b32 v37, v45, v35
	v_cndmask_b32_e64 v47, 0, 1, s[8:9]
	v_cmp_gt_u32_e64 s[2:3], v46, v29
	v_lshlrev_b32_e32 v47, 3, v47
	v_add_lshl_u32 v47, v47, v33, 2
	s_waitcnt lgkmcnt(0)
	v_add_f64 v[36:37], v[34:35], v[36:37]
	v_cndmask_b32_e64 v52, v36, v34, s[2:3]
	v_cndmask_b32_e64 v53, v37, v35, s[2:3]
	ds_bpermute_b32 v54, v47, v52
	ds_bpermute_b32 v55, v47, v53
	v_cmp_gt_u32_e64 s[10:11], 48, v41
	v_add_u32_e32 v50, 8, v41
	v_cndmask_b32_e64 v51, 0, 1, s[10:11]
	v_cmp_gt_u32_e64 s[8:9], v50, v29
	s_waitcnt lgkmcnt(0)
	v_add_f64 v[56:57], v[52:53], v[54:55]
	v_lshlrev_b32_e32 v51, 4, v51
	v_cndmask_b32_e64 v54, v56, v52, s[8:9]
	v_cndmask_b32_e64 v55, v57, v53, s[8:9]
	v_add_lshl_u32 v51, v51, v33, 2
	ds_bpermute_b32 v58, v51, v54
	ds_bpermute_b32 v59, v51, v55
	v_cmp_gt_u32_e64 s[12:13], 32, v41
	v_add_u32_e32 v52, 16, v41
	v_cndmask_b32_e64 v53, 0, 1, s[12:13]
	v_cmp_gt_u32_e64 s[10:11], v52, v29
	s_waitcnt lgkmcnt(0)
	v_add_f64 v[58:59], v[54:55], v[58:59]
	v_lshlrev_b32_e32 v53, 5, v53
	v_cndmask_b32_e64 v60, v58, v54, s[10:11]
	v_add_lshl_u32 v53, v53, v33, 2
	v_cndmask_b32_e64 v61, v59, v55, s[10:11]
	ds_bpermute_b32 v62, v53, v60
	ds_bpermute_b32 v63, v53, v61
	v_cndmask_b32_e32 v27, v27, v35, vcc
	v_cndmask_b32_e32 v26, v26, v34, vcc
	v_cndmask_b32_e64 v26, v36, v26, s[2:3]
	v_cndmask_b32_e64 v27, v37, v27, s[2:3]
	v_add_u32_e32 v54, 32, v41
	v_cndmask_b32_e64 v27, v57, v27, s[8:9]
	v_cndmask_b32_e64 v26, v56, v26, s[8:9]
	s_waitcnt lgkmcnt(0)
	v_add_f64 v[60:61], v[60:61], v[62:63]
	v_cndmask_b32_e64 v26, v58, v26, s[10:11]
	v_cndmask_b32_e64 v27, v59, v27, s[10:11]
	v_cmp_gt_u32_e32 vcc, v54, v29
	v_cndmask_b32_e32 v27, v61, v27, vcc
	v_cndmask_b32_e32 v26, v60, v26, vcc
	v_mov_b32_e32 v33, 0
	s_branch .LBB4900_44
.LBB4900_43:                            ;   in Loop: Header=BB4900_44 Depth=1
	s_or_b64 exec, exec, s[2:3]
	v_cmp_eq_u16_sdwa s[2:3], v28, v40 src0_sel:BYTE_0 src1_sel:DWORD
	v_and_b32_e32 v29, s3, v25
	ds_bpermute_b32 v36, v42, v26
	ds_bpermute_b32 v37, v42, v27
	v_or_b32_e32 v29, 0x80000000, v29
	v_and_b32_e32 v55, s2, v24
	v_ffbl_b32_e32 v29, v29
	v_add_u32_e32 v29, 32, v29
	v_ffbl_b32_e32 v55, v55
	v_min_u32_e32 v29, v55, v29
	s_waitcnt lgkmcnt(0)
	v_add_f64 v[36:37], v[26:27], v[36:37]
	v_cmp_lt_u32_e32 vcc, v41, v29
	v_cndmask_b32_e32 v36, v26, v36, vcc
	v_cndmask_b32_e32 v37, v27, v37, vcc
	ds_bpermute_b32 v56, v43, v36
	ds_bpermute_b32 v57, v43, v37
	v_cmp_gt_u32_e64 s[2:3], v44, v29
	v_cmp_gt_u32_e64 s[8:9], v50, v29
	;; [unrolled: 1-line block ×3, first 2 shown]
	v_subrev_u32_e32 v32, 64, v32
	s_waitcnt lgkmcnt(0)
	v_add_f64 v[56:57], v[36:37], v[56:57]
	v_cndmask_b32_e64 v36, v56, v36, s[2:3]
	v_cndmask_b32_e64 v37, v57, v37, s[2:3]
	ds_bpermute_b32 v56, v45, v36
	ds_bpermute_b32 v57, v45, v37
	v_cmp_gt_u32_e64 s[2:3], v46, v29
	v_cndmask_b32_e32 v27, v27, v37, vcc
	v_cndmask_b32_e32 v26, v26, v36, vcc
	v_cmp_gt_u32_e32 vcc, v54, v29
	s_waitcnt lgkmcnt(0)
	v_add_f64 v[56:57], v[36:37], v[56:57]
	v_cndmask_b32_e64 v58, v56, v36, s[2:3]
	v_cndmask_b32_e64 v59, v57, v37, s[2:3]
	ds_bpermute_b32 v60, v47, v58
	ds_bpermute_b32 v61, v47, v59
	v_cndmask_b32_e64 v26, v56, v26, s[2:3]
	v_cndmask_b32_e64 v27, v57, v27, s[2:3]
	s_waitcnt lgkmcnt(0)
	v_add_f64 v[60:61], v[58:59], v[60:61]
	v_cndmask_b32_e64 v58, v60, v58, s[8:9]
	v_cndmask_b32_e64 v59, v61, v59, s[8:9]
	ds_bpermute_b32 v62, v51, v58
	ds_bpermute_b32 v63, v51, v59
	v_cndmask_b32_e64 v27, v61, v27, s[8:9]
	v_cndmask_b32_e64 v26, v60, v26, s[8:9]
	;; [unrolled: 8-line block ×3, first 2 shown]
	s_waitcnt lgkmcnt(0)
	v_add_f64 v[58:59], v[58:59], v[64:65]
	v_cndmask_b32_e32 v27, v59, v27, vcc
	v_cndmask_b32_e32 v26, v58, v26, vcc
	v_add_f64 v[26:27], v[34:35], v[26:27]
.LBB4900_44:                            ; =>This Loop Header: Depth=1
                                        ;     Child Loop BB4900_47 Depth 2
                                        ;       Child Loop BB4900_48 Depth 3
	v_cmp_ne_u16_sdwa s[2:3], v28, v40 src0_sel:BYTE_0 src1_sel:DWORD
	v_cndmask_b32_e64 v28, 0, 1, s[2:3]
	;;#ASMSTART
	;;#ASMEND
	v_cmp_ne_u32_e32 vcc, 0, v28
	s_cmp_lg_u64 vcc, exec
	v_pk_mov_b32 v[34:35], v[26:27], v[26:27] op_sel:[0,1]
	s_cbranch_scc1 .LBB4900_51
; %bb.45:                               ;   in Loop: Header=BB4900_44 Depth=1
	v_lshlrev_b64 v[26:27], 4, v[32:33]
	v_mov_b32_e32 v28, s17
	v_add_co_u32_e32 v36, vcc, s16, v26
	v_addc_co_u32_e32 v37, vcc, v28, v27, vcc
	;;#ASMSTART
	global_load_dwordx4 v[26:29], v[36:37] off glc	
s_waitcnt vmcnt(0)
	;;#ASMEND
	v_and_b32_e32 v29, 0xff, v27
	v_and_b32_e32 v55, 0xff00, v27
	v_or3_b32 v29, 0, v29, v55
	v_or3_b32 v26, v26, 0, 0
	v_and_b32_e32 v55, 0xff000000, v27
	v_and_b32_e32 v27, 0xff0000, v27
	v_or3_b32 v27, v29, v27, v55
	v_or3_b32 v26, v26, 0, 0
	v_cmp_eq_u16_sdwa s[8:9], v28, v33 src0_sel:BYTE_0 src1_sel:DWORD
	s_and_saveexec_b64 s[2:3], s[8:9]
	s_cbranch_execz .LBB4900_43
; %bb.46:                               ;   in Loop: Header=BB4900_44 Depth=1
	s_mov_b32 s7, 1
	s_mov_b64 s[8:9], 0
.LBB4900_47:                            ;   Parent Loop BB4900_44 Depth=1
                                        ; =>  This Loop Header: Depth=2
                                        ;       Child Loop BB4900_48 Depth 3
	s_max_u32 s10, s7, 1
.LBB4900_48:                            ;   Parent Loop BB4900_44 Depth=1
                                        ;     Parent Loop BB4900_47 Depth=2
                                        ; =>    This Inner Loop Header: Depth=3
	s_add_i32 s10, s10, -1
	s_cmp_eq_u32 s10, 0
	s_sleep 1
	s_cbranch_scc0 .LBB4900_48
; %bb.49:                               ;   in Loop: Header=BB4900_47 Depth=2
	s_cmp_lt_u32 s7, 32
	s_cselect_b64 s[10:11], -1, 0
	s_cmp_lg_u64 s[10:11], 0
	s_addc_u32 s7, s7, 0
	;;#ASMSTART
	global_load_dwordx4 v[26:29], v[36:37] off glc	
s_waitcnt vmcnt(0)
	;;#ASMEND
	v_cmp_ne_u16_sdwa s[10:11], v28, v33 src0_sel:BYTE_0 src1_sel:DWORD
	s_or_b64 s[8:9], s[10:11], s[8:9]
	s_andn2_b64 exec, exec, s[8:9]
	s_cbranch_execnz .LBB4900_47
; %bb.50:                               ;   in Loop: Header=BB4900_44 Depth=1
	s_or_b64 exec, exec, s[8:9]
	s_branch .LBB4900_43
.LBB4900_51:                            ;   in Loop: Header=BB4900_44 Depth=1
                                        ; implicit-def: $vgpr26_vgpr27
                                        ; implicit-def: $vgpr28
	s_cbranch_execz .LBB4900_44
; %bb.52:
	s_and_saveexec_b64 s[2:3], s[0:1]
	s_cbranch_execz .LBB4900_54
; %bb.53:
	s_add_i32 s6, s6, 64
	s_mov_b32 s7, 0
	s_lshl_b64 s[6:7], s[6:7], 4
	s_add_u32 s6, s16, s6
	s_addc_u32 s7, s17, s7
	v_add_f64 v[22:23], v[22:23], v[34:35]
	v_mov_b32_e32 v24, 2
	v_mov_b32_e32 v25, 0
	v_pk_mov_b32 v[26:27], s[6:7], s[6:7] op_sel:[0,1]
	;;#ASMSTART
	global_store_dwordx4 v[26:27], v[22:25] off	
s_waitcnt vmcnt(0)
	;;#ASMEND
.LBB4900_54:
	s_or_b64 exec, exec, s[2:3]
	v_cmp_eq_u32_e32 vcc, 0, v0
	s_and_b64 exec, exec, vcc
	s_cbranch_execz .LBB4900_56
; %bb.55:
	v_mov_b32_e32 v22, 0
	ds_write_b64 v22, v[34:35] offset:8
.LBB4900_56:
	s_or_b64 exec, exec, s[18:19]
	v_mov_b32_e32 v24, 0
	s_waitcnt lgkmcnt(0)
	s_barrier
	ds_read_b64 v[24:25], v24 offset:8
	v_cndmask_b32_e64 v23, v39, v31, s[0:1]
	v_cndmask_b32_e64 v22, v38, v30, s[0:1]
	v_add_f64 v[22:23], v[2:3], v[22:23]
	v_cmp_eq_u32_e32 vcc, 0, v0
	v_cndmask_b32_e32 v23, v23, v3, vcc
	v_cndmask_b32_e32 v22, v22, v2, vcc
	s_waitcnt lgkmcnt(0)
	v_add_f64 v[38:39], v[22:23], v[24:25]
	v_add_f64 v[40:41], v[4:5], v[38:39]
	v_add_f64 v[34:35], v[14:15], v[40:41]
	v_add_f64 v[36:37], v[16:17], v[34:35]
	v_add_f64 v[30:31], v[10:11], v[36:37]
	v_add_f64 v[32:33], v[12:13], v[30:31]
	v_add_f64 v[26:27], v[6:7], v[32:33]
	v_add_f64 v[28:29], v[8:9], v[26:27]
	v_add_f64 v[22:23], v[18:19], v[28:29]
	v_add_f64 v[24:25], v[20:21], v[22:23]
	s_load_dwordx8 s[4:11], s[4:5], 0x48
	s_branch .LBB4900_73
.LBB4900_57:
                                        ; implicit-def: $vgpr24_vgpr25
                                        ; implicit-def: $vgpr28_vgpr29
                                        ; implicit-def: $vgpr32_vgpr33
                                        ; implicit-def: $vgpr36_vgpr37
                                        ; implicit-def: $vgpr40_vgpr41
	s_load_dwordx8 s[4:11], s[4:5], 0x48
	s_cbranch_execz .LBB4900_73
; %bb.58:
	s_waitcnt lgkmcnt(0)
	s_cmp_lg_u64 s[8:9], 0
	s_cselect_b64 s[2:3], -1, 0
	v_cmp_eq_u32_e64 s[0:1], 0, v0
	v_cmp_ne_u32_e32 vcc, 0, v0
	s_and_b64 s[2:3], s[0:1], s[2:3]
	s_and_saveexec_b64 s[0:1], s[2:3]
	s_cbranch_execz .LBB4900_60
; %bb.59:
	v_mov_b32_e32 v22, 0
	global_load_dwordx2 v[22:23], v22, s[4:5]
	s_waitcnt vmcnt(0)
	v_add_f64 v[2:3], v[2:3], v[22:23]
.LBB4900_60:
	s_or_b64 exec, exec, s[0:1]
	v_add_f64 v[40:41], v[2:3], v[4:5]
	v_add_f64 v[34:35], v[14:15], v[40:41]
	;; [unrolled: 1-line block ×9, first 2 shown]
	v_mbcnt_hi_u32_b32 v1, -1, v1
	v_and_b32_e32 v44, 15, v1
	v_mov_b32_dpp v38, v24 row_shr:1 row_mask:0xf bank_mask:0xf
	v_mov_b32_dpp v39, v25 row_shr:1 row_mask:0xf bank_mask:0xf
	v_add_f64 v[38:39], v[24:25], v[38:39]
	v_cmp_eq_u32_e64 s[0:1], 0, v44
	v_cndmask_b32_e64 v38, v38, v24, s[0:1]
	v_cndmask_b32_e64 v39, v39, v25, s[0:1]
	v_cmp_lt_u32_e64 s[0:1], 1, v44
	v_mov_b32_dpp v42, v38 row_shr:2 row_mask:0xf bank_mask:0xf
	v_mov_b32_dpp v43, v39 row_shr:2 row_mask:0xf bank_mask:0xf
	v_add_f64 v[42:43], v[38:39], v[42:43]
	v_cndmask_b32_e64 v38, v38, v42, s[0:1]
	v_cndmask_b32_e64 v39, v39, v43, s[0:1]
	v_cmp_lt_u32_e64 s[0:1], 3, v44
	v_mov_b32_dpp v42, v38 row_shr:4 row_mask:0xf bank_mask:0xf
	v_mov_b32_dpp v43, v39 row_shr:4 row_mask:0xf bank_mask:0xf
	v_add_f64 v[42:43], v[38:39], v[42:43]
	;; [unrolled: 6-line block ×3, first 2 shown]
	v_cndmask_b32_e64 v42, v38, v42, s[0:1]
	v_cndmask_b32_e64 v43, v39, v43, s[0:1]
	v_and_b32_e32 v44, 16, v1
	v_mov_b32_dpp v38, v42 row_bcast:15 row_mask:0xf bank_mask:0xf
	v_mov_b32_dpp v39, v43 row_bcast:15 row_mask:0xf bank_mask:0xf
	v_add_f64 v[46:47], v[42:43], v[38:39]
	v_cmp_eq_u32_e64 s[2:3], 0, v44
	v_cndmask_b32_e64 v38, v47, v43, s[2:3]
	v_cndmask_b32_e64 v39, v46, v42, s[2:3]
	v_cmp_eq_u32_e64 s[0:1], 0, v1
	v_mov_b32_dpp v45, v38 row_bcast:31 row_mask:0xf bank_mask:0xf
	v_mov_b32_dpp v44, v39 row_bcast:31 row_mask:0xf bank_mask:0xf
	v_cmp_ne_u32_e64 s[4:5], 0, v1
	v_pk_mov_b32 v[38:39], v[24:25], v[24:25] op_sel:[0,1]
	s_and_saveexec_b64 s[8:9], s[4:5]
; %bb.61:
	v_cndmask_b32_e64 v39, v47, v43, s[2:3]
	v_cndmask_b32_e64 v38, v46, v42, s[2:3]
	v_add_f64 v[42:43], v[38:39], v[44:45]
	v_cmp_lt_u32_e64 s[2:3], 31, v1
	v_cndmask_b32_e64 v39, v39, v43, s[2:3]
	v_cndmask_b32_e64 v38, v38, v42, s[2:3]
; %bb.62:
	s_or_b64 exec, exec, s[8:9]
	v_or_b32_e32 v42, 63, v0
	v_lshrrev_b32_e32 v44, 6, v0
	v_cmp_eq_u32_e64 s[2:3], v42, v0
	s_and_saveexec_b64 s[4:5], s[2:3]
	s_cbranch_execz .LBB4900_64
; %bb.63:
	v_lshlrev_b32_e32 v42, 3, v44
	ds_write_b64 v42, v[38:39]
.LBB4900_64:
	s_or_b64 exec, exec, s[4:5]
	v_cmp_gt_u32_e64 s[2:3], 2, v0
	s_waitcnt lgkmcnt(0)
	s_barrier
	s_and_saveexec_b64 s[4:5], s[2:3]
	s_cbranch_execz .LBB4900_66
; %bb.65:
	s_movk_i32 s2, 0xffb8
	v_mad_i32_i24 v45, v0, s2, v49
	ds_read_b64 v[42:43], v45
	v_and_b32_e32 v50, 1, v1
	v_cmp_eq_u32_e64 s[2:3], 0, v50
	s_waitcnt lgkmcnt(0)
	v_mov_b32_dpp v46, v42 row_shr:1 row_mask:0xf bank_mask:0xf
	v_mov_b32_dpp v47, v43 row_shr:1 row_mask:0xf bank_mask:0xf
	v_add_f64 v[46:47], v[42:43], v[46:47]
	v_cndmask_b32_e64 v43, v47, v43, s[2:3]
	v_cndmask_b32_e64 v42, v46, v42, s[2:3]
	ds_write_b64 v45, v[42:43]
.LBB4900_66:
	s_or_b64 exec, exec, s[4:5]
	v_cmp_lt_u32_e64 s[2:3], 63, v0
	s_waitcnt lgkmcnt(0)
	s_barrier
	s_waitcnt lgkmcnt(0)
                                        ; implicit-def: $vgpr42_vgpr43
	s_and_saveexec_b64 s[4:5], s[2:3]
	s_cbranch_execz .LBB4900_68
; %bb.67:
	v_lshl_add_u32 v42, v44, 3, -8
	ds_read_b64 v[42:43], v42
	s_waitcnt lgkmcnt(0)
	v_add_f64 v[38:39], v[38:39], v[42:43]
.LBB4900_68:
	s_or_b64 exec, exec, s[4:5]
	v_add_u32_e32 v44, -1, v1
	v_and_b32_e32 v45, 64, v1
	v_cmp_lt_i32_e64 s[2:3], v44, v45
	v_cndmask_b32_e64 v1, v44, v1, s[2:3]
	v_lshlrev_b32_e32 v44, 2, v1
	ds_bpermute_b32 v1, v44, v38
	ds_bpermute_b32 v38, v44, v39
	s_and_saveexec_b64 s[2:3], vcc
	s_cbranch_execz .LBB4900_70
; %bb.69:
	s_waitcnt lgkmcnt(0)
	v_cndmask_b32_e64 v23, v38, v43, s[0:1]
	v_cndmask_b32_e64 v22, v1, v42, s[0:1]
	v_add_f64 v[2:3], v[2:3], v[22:23]
	v_add_f64 v[40:41], v[4:5], v[2:3]
	;; [unrolled: 1-line block ×10, first 2 shown]
	;;#ASMSTART
	;;#ASMEND
.LBB4900_70:
	s_or_b64 exec, exec, s[2:3]
	s_movk_i32 s0, 0x7f
	v_cmp_eq_u32_e32 vcc, s0, v0
	s_and_saveexec_b64 s[0:1], vcc
	s_cbranch_execz .LBB4900_72
; %bb.71:
	s_add_u32 s2, s16, 0x400
	s_addc_u32 s3, s17, 0
	v_mov_b32_e32 v6, 2
	v_mov_b32_e32 v7, 0
	;; [unrolled: 1-line block ×4, first 2 shown]
	v_pk_mov_b32 v[8:9], s[2:3], s[2:3] op_sel:[0,1]
	;;#ASMSTART
	global_store_dwordx4 v[8:9], v[4:7] off	
s_waitcnt vmcnt(0)
	;;#ASMEND
.LBB4900_72:
	s_or_b64 exec, exec, s[0:1]
	s_waitcnt lgkmcnt(0)
	v_pk_mov_b32 v[38:39], v[2:3], v[2:3] op_sel:[0,1]
.LBB4900_73:
	s_mov_b64 s[0:1], -1
	s_and_b64 vcc, exec, s[14:15]
	s_waitcnt lgkmcnt(0)
	s_barrier
	ds_write_b128 v49, v[38:41]
	ds_write_b128 v49, v[34:37] offset:16
	ds_write_b128 v49, v[30:33] offset:32
	;; [unrolled: 1-line block ×4, first 2 shown]
	s_waitcnt lgkmcnt(0)
	s_cbranch_vccz .LBB4900_75
; %bb.74:
	s_barrier
	s_mov_b64 s[0:1], 0
.LBB4900_75:
	s_andn2_b64 vcc, exec, s[0:1]
	s_cbranch_vccnz .LBB4900_111
; %bb.76:
	v_cmp_lt_u64_e64 s[0:1], s[10:11], 2
	s_and_b64 vcc, exec, s[0:1]
	s_barrier
	s_cbranch_vccnz .LBB4900_111
; %bb.77:
	s_add_u32 s0, s20, -1
	s_addc_u32 s1, s21, -1
	s_add_u32 s2, 0, 0x99986000
	s_addc_u32 s3, 0, 0x59
	s_add_i32 s3, s3, 0x19999940
	s_mul_hi_u32 s9, s2, -10
	s_sub_i32 s9, s9, s2
	s_mul_i32 s10, s3, -10
	s_mul_i32 s4, s2, -10
	s_add_i32 s9, s9, s10
	s_mul_hi_u32 s5, s3, s4
	s_mul_i32 s8, s3, s4
	s_mul_i32 s11, s2, s9
	s_mul_hi_u32 s4, s2, s4
	s_mul_hi_u32 s10, s2, s9
	s_add_u32 s4, s4, s11
	s_addc_u32 s10, 0, s10
	s_add_u32 s4, s4, s8
	s_mul_hi_u32 s11, s3, s9
	s_addc_u32 s4, s10, s5
	s_addc_u32 s5, s11, 0
	s_mul_i32 s8, s3, s9
	s_add_u32 s4, s4, s8
	v_mov_b32_e32 v2, s4
	s_addc_u32 s5, 0, s5
	v_add_co_u32_e32 v2, vcc, s2, v2
	s_cmp_lg_u64 vcc, 0
	s_addc_u32 s2, s3, s5
	v_readfirstlane_b32 s5, v2
	s_mul_i32 s4, s0, s2
	s_mul_hi_u32 s8, s0, s5
	s_mul_hi_u32 s3, s0, s2
	s_add_u32 s4, s8, s4
	s_addc_u32 s3, 0, s3
	s_mul_hi_u32 s9, s1, s5
	s_mul_i32 s5, s1, s5
	s_add_u32 s4, s4, s5
	s_mul_hi_u32 s8, s1, s2
	s_addc_u32 s3, s3, s9
	s_addc_u32 s4, s8, 0
	s_mul_i32 s2, s1, s2
	s_add_u32 s2, s3, s2
	s_addc_u32 s3, 0, s4
	s_add_u32 s4, s2, 1
	s_addc_u32 s5, s3, 0
	s_add_u32 s8, s2, 2
	s_mul_i32 s10, s3, 10
	s_mul_hi_u32 s11, s2, 10
	s_addc_u32 s9, s3, 0
	s_add_i32 s11, s11, s10
	s_mul_i32 s10, s2, 10
	v_mov_b32_e32 v2, s10
	v_sub_co_u32_e32 v2, vcc, s0, v2
	s_cmp_lg_u64 vcc, 0
	s_subb_u32 s10, s1, s11
	v_subrev_co_u32_e32 v3, vcc, 10, v2
	s_cmp_lg_u64 vcc, 0
	s_subb_u32 s11, s10, 0
	v_readfirstlane_b32 s12, v3
	s_cmp_gt_u32 s12, 9
	s_cselect_b32 s12, -1, 0
	s_cmp_eq_u32 s11, 0
	s_cselect_b32 s11, s12, -1
	s_cmp_lg_u32 s11, 0
	s_cselect_b32 s4, s8, s4
	v_readfirstlane_b32 s8, v2
	s_cselect_b32 s5, s9, s5
	s_cmp_gt_u32 s8, 9
	s_cselect_b32 s8, -1, 0
	s_cmp_eq_u32 s10, 0
	s_cselect_b32 s8, s8, -1
	s_cmp_lg_u32 s8, 0
	v_mov_b32_e32 v1, 0
	s_cselect_b32 s3, s5, s3
	s_cselect_b32 s2, s4, s2
	v_cmp_eq_u64_e32 vcc, s[2:3], v[0:1]
	s_and_saveexec_b64 s[2:3], vcc
	s_cbranch_execz .LBB4900_111
; %bb.78:
	s_movk_i32 s2, 0xffb8
	v_mad_i32_i24 v2, v0, s2, v49
	v_mul_hi_u32_u24_e32 v1, 10, v0
	v_mov_b32_e32 v3, s1
	v_sub_co_u32_e32 v0, vcc, s0, v48
	v_subb_co_u32_e32 v1, vcc, v3, v1, vcc
	v_cmp_lt_i64_e32 vcc, 4, v[0:1]
	s_and_saveexec_b64 s[0:1], vcc
	s_xor_b64 s[0:1], exec, s[0:1]
	s_cbranch_execz .LBB4900_96
; %bb.79:
	v_cmp_lt_i64_e32 vcc, 6, v[0:1]
	s_and_saveexec_b64 s[2:3], vcc
	s_xor_b64 s[2:3], exec, s[2:3]
	s_cbranch_execz .LBB4900_89
; %bb.80:
	;; [unrolled: 5-line block ×4, first 2 shown]
	ds_read_b64 v[0:1], v2 offset:9216
	v_mov_b32_e32 v2, 0
	s_waitcnt lgkmcnt(0)
	global_store_dwordx2 v2, v[0:1], s[6:7]
                                        ; implicit-def: $vgpr2
.LBB4900_83:
	s_andn2_saveexec_b64 s[8:9], s[8:9]
	s_cbranch_execz .LBB4900_85
; %bb.84:
	ds_read_b64 v[0:1], v2 offset:8192
	v_mov_b32_e32 v2, 0
	s_waitcnt lgkmcnt(0)
	global_store_dwordx2 v2, v[0:1], s[6:7]
.LBB4900_85:
	s_or_b64 exec, exec, s[8:9]
                                        ; implicit-def: $vgpr2
.LBB4900_86:
	s_andn2_saveexec_b64 s[4:5], s[4:5]
	s_cbranch_execz .LBB4900_88
; %bb.87:
	ds_read_b64 v[0:1], v2 offset:7168
	v_mov_b32_e32 v2, 0
	s_waitcnt lgkmcnt(0)
	global_store_dwordx2 v2, v[0:1], s[6:7]
.LBB4900_88:
	s_or_b64 exec, exec, s[4:5]
                                        ; implicit-def: $vgpr2
                                        ; implicit-def: $vgpr0_vgpr1
.LBB4900_89:
	s_andn2_saveexec_b64 s[2:3], s[2:3]
	s_cbranch_execz .LBB4900_95
; %bb.90:
	v_cmp_lt_i64_e32 vcc, 5, v[0:1]
	s_and_saveexec_b64 s[4:5], vcc
	s_xor_b64 s[4:5], exec, s[4:5]
	s_cbranch_execz .LBB4900_92
; %bb.91:
	ds_read_b64 v[0:1], v2 offset:6144
	v_mov_b32_e32 v2, 0
	s_waitcnt lgkmcnt(0)
	global_store_dwordx2 v2, v[0:1], s[6:7]
                                        ; implicit-def: $vgpr2
.LBB4900_92:
	s_andn2_saveexec_b64 s[4:5], s[4:5]
	s_cbranch_execz .LBB4900_94
; %bb.93:
	ds_read_b64 v[0:1], v2 offset:5120
	v_mov_b32_e32 v2, 0
	s_waitcnt lgkmcnt(0)
	global_store_dwordx2 v2, v[0:1], s[6:7]
.LBB4900_94:
	s_or_b64 exec, exec, s[4:5]
.LBB4900_95:
	s_or_b64 exec, exec, s[2:3]
                                        ; implicit-def: $vgpr0_vgpr1
                                        ; implicit-def: $vgpr2
.LBB4900_96:
	s_andn2_saveexec_b64 s[0:1], s[0:1]
	s_cbranch_execz .LBB4900_111
; %bb.97:
	v_cmp_lt_i64_e32 vcc, 2, v[0:1]
	s_and_saveexec_b64 s[0:1], vcc
	s_xor_b64 s[0:1], exec, s[0:1]
	s_cbranch_execz .LBB4900_103
; %bb.98:
	v_cmp_lt_i64_e32 vcc, 3, v[0:1]
	s_and_saveexec_b64 s[2:3], vcc
	s_xor_b64 s[2:3], exec, s[2:3]
	s_cbranch_execz .LBB4900_100
; %bb.99:
	ds_read_b64 v[0:1], v2 offset:4096
	v_mov_b32_e32 v2, 0
	s_waitcnt lgkmcnt(0)
	global_store_dwordx2 v2, v[0:1], s[6:7]
                                        ; implicit-def: $vgpr2
.LBB4900_100:
	s_andn2_saveexec_b64 s[2:3], s[2:3]
	s_cbranch_execz .LBB4900_102
; %bb.101:
	ds_read_b64 v[0:1], v2 offset:3072
	v_mov_b32_e32 v2, 0
	s_waitcnt lgkmcnt(0)
	global_store_dwordx2 v2, v[0:1], s[6:7]
.LBB4900_102:
	s_or_b64 exec, exec, s[2:3]
                                        ; implicit-def: $vgpr0_vgpr1
                                        ; implicit-def: $vgpr2
.LBB4900_103:
	s_andn2_saveexec_b64 s[0:1], s[0:1]
	s_cbranch_execz .LBB4900_111
; %bb.104:
	v_cmp_lt_i64_e32 vcc, 1, v[0:1]
	s_and_saveexec_b64 s[0:1], vcc
	s_xor_b64 s[0:1], exec, s[0:1]
	s_cbranch_execz .LBB4900_106
; %bb.105:
	ds_read_b64 v[0:1], v2 offset:2048
	v_mov_b32_e32 v2, 0
	s_waitcnt lgkmcnt(0)
	global_store_dwordx2 v2, v[0:1], s[6:7]
                                        ; implicit-def: $vgpr2
                                        ; implicit-def: $vgpr0_vgpr1
.LBB4900_106:
	s_andn2_saveexec_b64 s[0:1], s[0:1]
	s_cbranch_execz .LBB4900_111
; %bb.107:
	v_cmp_ne_u64_e32 vcc, 1, v[0:1]
	s_and_saveexec_b64 s[0:1], vcc
	s_xor_b64 s[0:1], exec, s[0:1]
	s_cbranch_execz .LBB4900_109
; %bb.108:
	ds_read_b64 v[0:1], v2
	v_mov_b32_e32 v2, 0
	s_waitcnt lgkmcnt(0)
	global_store_dwordx2 v2, v[0:1], s[6:7]
                                        ; implicit-def: $vgpr2
.LBB4900_109:
	s_andn2_saveexec_b64 s[0:1], s[0:1]
	s_cbranch_execz .LBB4900_111
; %bb.110:
	ds_read_b64 v[0:1], v2 offset:1024
	v_mov_b32_e32 v2, 0
	s_waitcnt lgkmcnt(0)
	global_store_dwordx2 v2, v[0:1], s[6:7]
.LBB4900_111:
	s_endpgm
	.section	.rodata,"a",@progbits
	.p2align	6, 0x0
	.amdhsa_kernel _ZN7rocprim17ROCPRIM_400000_NS6detail17trampoline_kernelINS0_14default_configENS1_20scan_config_selectorIdEEZZNS1_9scan_implILNS1_25lookback_scan_determinismE0ELb0ELb0ES3_N6thrust23THRUST_200600_302600_NS6detail15normal_iteratorINS9_10device_ptrIdEEEENS9_16discard_iteratorINS9_11use_defaultEEEdNS9_4plusIvEEdEEDaPvRmT3_T4_T5_mT6_P12ihipStream_tbENKUlT_T0_E_clISt17integral_constantIbLb1EESW_IbLb0EEEEDaSS_ST_EUlSS_E_NS1_11comp_targetILNS1_3genE4ELNS1_11target_archE910ELNS1_3gpuE8ELNS1_3repE0EEENS1_30default_config_static_selectorELNS0_4arch9wavefront6targetE1EEEvT1_
		.amdhsa_group_segment_fixed_size 10240
		.amdhsa_private_segment_fixed_size 0
		.amdhsa_kernarg_size 112
		.amdhsa_user_sgpr_count 6
		.amdhsa_user_sgpr_private_segment_buffer 1
		.amdhsa_user_sgpr_dispatch_ptr 0
		.amdhsa_user_sgpr_queue_ptr 0
		.amdhsa_user_sgpr_kernarg_segment_ptr 1
		.amdhsa_user_sgpr_dispatch_id 0
		.amdhsa_user_sgpr_flat_scratch_init 0
		.amdhsa_user_sgpr_kernarg_preload_length 0
		.amdhsa_user_sgpr_kernarg_preload_offset 0
		.amdhsa_user_sgpr_private_segment_size 0
		.amdhsa_uses_dynamic_stack 0
		.amdhsa_system_sgpr_private_segment_wavefront_offset 0
		.amdhsa_system_sgpr_workgroup_id_x 1
		.amdhsa_system_sgpr_workgroup_id_y 0
		.amdhsa_system_sgpr_workgroup_id_z 0
		.amdhsa_system_sgpr_workgroup_info 0
		.amdhsa_system_vgpr_workitem_id 0
		.amdhsa_next_free_vgpr 66
		.amdhsa_next_free_sgpr 22
		.amdhsa_accum_offset 68
		.amdhsa_reserve_vcc 1
		.amdhsa_reserve_flat_scratch 0
		.amdhsa_float_round_mode_32 0
		.amdhsa_float_round_mode_16_64 0
		.amdhsa_float_denorm_mode_32 3
		.amdhsa_float_denorm_mode_16_64 3
		.amdhsa_dx10_clamp 1
		.amdhsa_ieee_mode 1
		.amdhsa_fp16_overflow 0
		.amdhsa_tg_split 0
		.amdhsa_exception_fp_ieee_invalid_op 0
		.amdhsa_exception_fp_denorm_src 0
		.amdhsa_exception_fp_ieee_div_zero 0
		.amdhsa_exception_fp_ieee_overflow 0
		.amdhsa_exception_fp_ieee_underflow 0
		.amdhsa_exception_fp_ieee_inexact 0
		.amdhsa_exception_int_div_zero 0
	.end_amdhsa_kernel
	.section	.text._ZN7rocprim17ROCPRIM_400000_NS6detail17trampoline_kernelINS0_14default_configENS1_20scan_config_selectorIdEEZZNS1_9scan_implILNS1_25lookback_scan_determinismE0ELb0ELb0ES3_N6thrust23THRUST_200600_302600_NS6detail15normal_iteratorINS9_10device_ptrIdEEEENS9_16discard_iteratorINS9_11use_defaultEEEdNS9_4plusIvEEdEEDaPvRmT3_T4_T5_mT6_P12ihipStream_tbENKUlT_T0_E_clISt17integral_constantIbLb1EESW_IbLb0EEEEDaSS_ST_EUlSS_E_NS1_11comp_targetILNS1_3genE4ELNS1_11target_archE910ELNS1_3gpuE8ELNS1_3repE0EEENS1_30default_config_static_selectorELNS0_4arch9wavefront6targetE1EEEvT1_,"axG",@progbits,_ZN7rocprim17ROCPRIM_400000_NS6detail17trampoline_kernelINS0_14default_configENS1_20scan_config_selectorIdEEZZNS1_9scan_implILNS1_25lookback_scan_determinismE0ELb0ELb0ES3_N6thrust23THRUST_200600_302600_NS6detail15normal_iteratorINS9_10device_ptrIdEEEENS9_16discard_iteratorINS9_11use_defaultEEEdNS9_4plusIvEEdEEDaPvRmT3_T4_T5_mT6_P12ihipStream_tbENKUlT_T0_E_clISt17integral_constantIbLb1EESW_IbLb0EEEEDaSS_ST_EUlSS_E_NS1_11comp_targetILNS1_3genE4ELNS1_11target_archE910ELNS1_3gpuE8ELNS1_3repE0EEENS1_30default_config_static_selectorELNS0_4arch9wavefront6targetE1EEEvT1_,comdat
.Lfunc_end4900:
	.size	_ZN7rocprim17ROCPRIM_400000_NS6detail17trampoline_kernelINS0_14default_configENS1_20scan_config_selectorIdEEZZNS1_9scan_implILNS1_25lookback_scan_determinismE0ELb0ELb0ES3_N6thrust23THRUST_200600_302600_NS6detail15normal_iteratorINS9_10device_ptrIdEEEENS9_16discard_iteratorINS9_11use_defaultEEEdNS9_4plusIvEEdEEDaPvRmT3_T4_T5_mT6_P12ihipStream_tbENKUlT_T0_E_clISt17integral_constantIbLb1EESW_IbLb0EEEEDaSS_ST_EUlSS_E_NS1_11comp_targetILNS1_3genE4ELNS1_11target_archE910ELNS1_3gpuE8ELNS1_3repE0EEENS1_30default_config_static_selectorELNS0_4arch9wavefront6targetE1EEEvT1_, .Lfunc_end4900-_ZN7rocprim17ROCPRIM_400000_NS6detail17trampoline_kernelINS0_14default_configENS1_20scan_config_selectorIdEEZZNS1_9scan_implILNS1_25lookback_scan_determinismE0ELb0ELb0ES3_N6thrust23THRUST_200600_302600_NS6detail15normal_iteratorINS9_10device_ptrIdEEEENS9_16discard_iteratorINS9_11use_defaultEEEdNS9_4plusIvEEdEEDaPvRmT3_T4_T5_mT6_P12ihipStream_tbENKUlT_T0_E_clISt17integral_constantIbLb1EESW_IbLb0EEEEDaSS_ST_EUlSS_E_NS1_11comp_targetILNS1_3genE4ELNS1_11target_archE910ELNS1_3gpuE8ELNS1_3repE0EEENS1_30default_config_static_selectorELNS0_4arch9wavefront6targetE1EEEvT1_
                                        ; -- End function
	.section	.AMDGPU.csdata,"",@progbits
; Kernel info:
; codeLenInByte = 5552
; NumSgprs: 26
; NumVgprs: 66
; NumAgprs: 0
; TotalNumVgprs: 66
; ScratchSize: 0
; MemoryBound: 0
; FloatMode: 240
; IeeeMode: 1
; LDSByteSize: 10240 bytes/workgroup (compile time only)
; SGPRBlocks: 3
; VGPRBlocks: 8
; NumSGPRsForWavesPerEU: 26
; NumVGPRsForWavesPerEU: 66
; AccumOffset: 68
; Occupancy: 3
; WaveLimiterHint : 1
; COMPUTE_PGM_RSRC2:SCRATCH_EN: 0
; COMPUTE_PGM_RSRC2:USER_SGPR: 6
; COMPUTE_PGM_RSRC2:TRAP_HANDLER: 0
; COMPUTE_PGM_RSRC2:TGID_X_EN: 1
; COMPUTE_PGM_RSRC2:TGID_Y_EN: 0
; COMPUTE_PGM_RSRC2:TGID_Z_EN: 0
; COMPUTE_PGM_RSRC2:TIDIG_COMP_CNT: 0
; COMPUTE_PGM_RSRC3_GFX90A:ACCUM_OFFSET: 16
; COMPUTE_PGM_RSRC3_GFX90A:TG_SPLIT: 0
	.section	.text._ZN7rocprim17ROCPRIM_400000_NS6detail17trampoline_kernelINS0_14default_configENS1_20scan_config_selectorIdEEZZNS1_9scan_implILNS1_25lookback_scan_determinismE0ELb0ELb0ES3_N6thrust23THRUST_200600_302600_NS6detail15normal_iteratorINS9_10device_ptrIdEEEENS9_16discard_iteratorINS9_11use_defaultEEEdNS9_4plusIvEEdEEDaPvRmT3_T4_T5_mT6_P12ihipStream_tbENKUlT_T0_E_clISt17integral_constantIbLb1EESW_IbLb0EEEEDaSS_ST_EUlSS_E_NS1_11comp_targetILNS1_3genE3ELNS1_11target_archE908ELNS1_3gpuE7ELNS1_3repE0EEENS1_30default_config_static_selectorELNS0_4arch9wavefront6targetE1EEEvT1_,"axG",@progbits,_ZN7rocprim17ROCPRIM_400000_NS6detail17trampoline_kernelINS0_14default_configENS1_20scan_config_selectorIdEEZZNS1_9scan_implILNS1_25lookback_scan_determinismE0ELb0ELb0ES3_N6thrust23THRUST_200600_302600_NS6detail15normal_iteratorINS9_10device_ptrIdEEEENS9_16discard_iteratorINS9_11use_defaultEEEdNS9_4plusIvEEdEEDaPvRmT3_T4_T5_mT6_P12ihipStream_tbENKUlT_T0_E_clISt17integral_constantIbLb1EESW_IbLb0EEEEDaSS_ST_EUlSS_E_NS1_11comp_targetILNS1_3genE3ELNS1_11target_archE908ELNS1_3gpuE7ELNS1_3repE0EEENS1_30default_config_static_selectorELNS0_4arch9wavefront6targetE1EEEvT1_,comdat
	.protected	_ZN7rocprim17ROCPRIM_400000_NS6detail17trampoline_kernelINS0_14default_configENS1_20scan_config_selectorIdEEZZNS1_9scan_implILNS1_25lookback_scan_determinismE0ELb0ELb0ES3_N6thrust23THRUST_200600_302600_NS6detail15normal_iteratorINS9_10device_ptrIdEEEENS9_16discard_iteratorINS9_11use_defaultEEEdNS9_4plusIvEEdEEDaPvRmT3_T4_T5_mT6_P12ihipStream_tbENKUlT_T0_E_clISt17integral_constantIbLb1EESW_IbLb0EEEEDaSS_ST_EUlSS_E_NS1_11comp_targetILNS1_3genE3ELNS1_11target_archE908ELNS1_3gpuE7ELNS1_3repE0EEENS1_30default_config_static_selectorELNS0_4arch9wavefront6targetE1EEEvT1_ ; -- Begin function _ZN7rocprim17ROCPRIM_400000_NS6detail17trampoline_kernelINS0_14default_configENS1_20scan_config_selectorIdEEZZNS1_9scan_implILNS1_25lookback_scan_determinismE0ELb0ELb0ES3_N6thrust23THRUST_200600_302600_NS6detail15normal_iteratorINS9_10device_ptrIdEEEENS9_16discard_iteratorINS9_11use_defaultEEEdNS9_4plusIvEEdEEDaPvRmT3_T4_T5_mT6_P12ihipStream_tbENKUlT_T0_E_clISt17integral_constantIbLb1EESW_IbLb0EEEEDaSS_ST_EUlSS_E_NS1_11comp_targetILNS1_3genE3ELNS1_11target_archE908ELNS1_3gpuE7ELNS1_3repE0EEENS1_30default_config_static_selectorELNS0_4arch9wavefront6targetE1EEEvT1_
	.globl	_ZN7rocprim17ROCPRIM_400000_NS6detail17trampoline_kernelINS0_14default_configENS1_20scan_config_selectorIdEEZZNS1_9scan_implILNS1_25lookback_scan_determinismE0ELb0ELb0ES3_N6thrust23THRUST_200600_302600_NS6detail15normal_iteratorINS9_10device_ptrIdEEEENS9_16discard_iteratorINS9_11use_defaultEEEdNS9_4plusIvEEdEEDaPvRmT3_T4_T5_mT6_P12ihipStream_tbENKUlT_T0_E_clISt17integral_constantIbLb1EESW_IbLb0EEEEDaSS_ST_EUlSS_E_NS1_11comp_targetILNS1_3genE3ELNS1_11target_archE908ELNS1_3gpuE7ELNS1_3repE0EEENS1_30default_config_static_selectorELNS0_4arch9wavefront6targetE1EEEvT1_
	.p2align	8
	.type	_ZN7rocprim17ROCPRIM_400000_NS6detail17trampoline_kernelINS0_14default_configENS1_20scan_config_selectorIdEEZZNS1_9scan_implILNS1_25lookback_scan_determinismE0ELb0ELb0ES3_N6thrust23THRUST_200600_302600_NS6detail15normal_iteratorINS9_10device_ptrIdEEEENS9_16discard_iteratorINS9_11use_defaultEEEdNS9_4plusIvEEdEEDaPvRmT3_T4_T5_mT6_P12ihipStream_tbENKUlT_T0_E_clISt17integral_constantIbLb1EESW_IbLb0EEEEDaSS_ST_EUlSS_E_NS1_11comp_targetILNS1_3genE3ELNS1_11target_archE908ELNS1_3gpuE7ELNS1_3repE0EEENS1_30default_config_static_selectorELNS0_4arch9wavefront6targetE1EEEvT1_,@function
_ZN7rocprim17ROCPRIM_400000_NS6detail17trampoline_kernelINS0_14default_configENS1_20scan_config_selectorIdEEZZNS1_9scan_implILNS1_25lookback_scan_determinismE0ELb0ELb0ES3_N6thrust23THRUST_200600_302600_NS6detail15normal_iteratorINS9_10device_ptrIdEEEENS9_16discard_iteratorINS9_11use_defaultEEEdNS9_4plusIvEEdEEDaPvRmT3_T4_T5_mT6_P12ihipStream_tbENKUlT_T0_E_clISt17integral_constantIbLb1EESW_IbLb0EEEEDaSS_ST_EUlSS_E_NS1_11comp_targetILNS1_3genE3ELNS1_11target_archE908ELNS1_3gpuE7ELNS1_3repE0EEENS1_30default_config_static_selectorELNS0_4arch9wavefront6targetE1EEEvT1_: ; @_ZN7rocprim17ROCPRIM_400000_NS6detail17trampoline_kernelINS0_14default_configENS1_20scan_config_selectorIdEEZZNS1_9scan_implILNS1_25lookback_scan_determinismE0ELb0ELb0ES3_N6thrust23THRUST_200600_302600_NS6detail15normal_iteratorINS9_10device_ptrIdEEEENS9_16discard_iteratorINS9_11use_defaultEEEdNS9_4plusIvEEdEEDaPvRmT3_T4_T5_mT6_P12ihipStream_tbENKUlT_T0_E_clISt17integral_constantIbLb1EESW_IbLb0EEEEDaSS_ST_EUlSS_E_NS1_11comp_targetILNS1_3genE3ELNS1_11target_archE908ELNS1_3gpuE7ELNS1_3repE0EEENS1_30default_config_static_selectorELNS0_4arch9wavefront6targetE1EEEvT1_
; %bb.0:
	.section	.rodata,"a",@progbits
	.p2align	6, 0x0
	.amdhsa_kernel _ZN7rocprim17ROCPRIM_400000_NS6detail17trampoline_kernelINS0_14default_configENS1_20scan_config_selectorIdEEZZNS1_9scan_implILNS1_25lookback_scan_determinismE0ELb0ELb0ES3_N6thrust23THRUST_200600_302600_NS6detail15normal_iteratorINS9_10device_ptrIdEEEENS9_16discard_iteratorINS9_11use_defaultEEEdNS9_4plusIvEEdEEDaPvRmT3_T4_T5_mT6_P12ihipStream_tbENKUlT_T0_E_clISt17integral_constantIbLb1EESW_IbLb0EEEEDaSS_ST_EUlSS_E_NS1_11comp_targetILNS1_3genE3ELNS1_11target_archE908ELNS1_3gpuE7ELNS1_3repE0EEENS1_30default_config_static_selectorELNS0_4arch9wavefront6targetE1EEEvT1_
		.amdhsa_group_segment_fixed_size 0
		.amdhsa_private_segment_fixed_size 0
		.amdhsa_kernarg_size 112
		.amdhsa_user_sgpr_count 6
		.amdhsa_user_sgpr_private_segment_buffer 1
		.amdhsa_user_sgpr_dispatch_ptr 0
		.amdhsa_user_sgpr_queue_ptr 0
		.amdhsa_user_sgpr_kernarg_segment_ptr 1
		.amdhsa_user_sgpr_dispatch_id 0
		.amdhsa_user_sgpr_flat_scratch_init 0
		.amdhsa_user_sgpr_kernarg_preload_length 0
		.amdhsa_user_sgpr_kernarg_preload_offset 0
		.amdhsa_user_sgpr_private_segment_size 0
		.amdhsa_uses_dynamic_stack 0
		.amdhsa_system_sgpr_private_segment_wavefront_offset 0
		.amdhsa_system_sgpr_workgroup_id_x 1
		.amdhsa_system_sgpr_workgroup_id_y 0
		.amdhsa_system_sgpr_workgroup_id_z 0
		.amdhsa_system_sgpr_workgroup_info 0
		.amdhsa_system_vgpr_workitem_id 0
		.amdhsa_next_free_vgpr 1
		.amdhsa_next_free_sgpr 0
		.amdhsa_accum_offset 4
		.amdhsa_reserve_vcc 0
		.amdhsa_reserve_flat_scratch 0
		.amdhsa_float_round_mode_32 0
		.amdhsa_float_round_mode_16_64 0
		.amdhsa_float_denorm_mode_32 3
		.amdhsa_float_denorm_mode_16_64 3
		.amdhsa_dx10_clamp 1
		.amdhsa_ieee_mode 1
		.amdhsa_fp16_overflow 0
		.amdhsa_tg_split 0
		.amdhsa_exception_fp_ieee_invalid_op 0
		.amdhsa_exception_fp_denorm_src 0
		.amdhsa_exception_fp_ieee_div_zero 0
		.amdhsa_exception_fp_ieee_overflow 0
		.amdhsa_exception_fp_ieee_underflow 0
		.amdhsa_exception_fp_ieee_inexact 0
		.amdhsa_exception_int_div_zero 0
	.end_amdhsa_kernel
	.section	.text._ZN7rocprim17ROCPRIM_400000_NS6detail17trampoline_kernelINS0_14default_configENS1_20scan_config_selectorIdEEZZNS1_9scan_implILNS1_25lookback_scan_determinismE0ELb0ELb0ES3_N6thrust23THRUST_200600_302600_NS6detail15normal_iteratorINS9_10device_ptrIdEEEENS9_16discard_iteratorINS9_11use_defaultEEEdNS9_4plusIvEEdEEDaPvRmT3_T4_T5_mT6_P12ihipStream_tbENKUlT_T0_E_clISt17integral_constantIbLb1EESW_IbLb0EEEEDaSS_ST_EUlSS_E_NS1_11comp_targetILNS1_3genE3ELNS1_11target_archE908ELNS1_3gpuE7ELNS1_3repE0EEENS1_30default_config_static_selectorELNS0_4arch9wavefront6targetE1EEEvT1_,"axG",@progbits,_ZN7rocprim17ROCPRIM_400000_NS6detail17trampoline_kernelINS0_14default_configENS1_20scan_config_selectorIdEEZZNS1_9scan_implILNS1_25lookback_scan_determinismE0ELb0ELb0ES3_N6thrust23THRUST_200600_302600_NS6detail15normal_iteratorINS9_10device_ptrIdEEEENS9_16discard_iteratorINS9_11use_defaultEEEdNS9_4plusIvEEdEEDaPvRmT3_T4_T5_mT6_P12ihipStream_tbENKUlT_T0_E_clISt17integral_constantIbLb1EESW_IbLb0EEEEDaSS_ST_EUlSS_E_NS1_11comp_targetILNS1_3genE3ELNS1_11target_archE908ELNS1_3gpuE7ELNS1_3repE0EEENS1_30default_config_static_selectorELNS0_4arch9wavefront6targetE1EEEvT1_,comdat
.Lfunc_end4901:
	.size	_ZN7rocprim17ROCPRIM_400000_NS6detail17trampoline_kernelINS0_14default_configENS1_20scan_config_selectorIdEEZZNS1_9scan_implILNS1_25lookback_scan_determinismE0ELb0ELb0ES3_N6thrust23THRUST_200600_302600_NS6detail15normal_iteratorINS9_10device_ptrIdEEEENS9_16discard_iteratorINS9_11use_defaultEEEdNS9_4plusIvEEdEEDaPvRmT3_T4_T5_mT6_P12ihipStream_tbENKUlT_T0_E_clISt17integral_constantIbLb1EESW_IbLb0EEEEDaSS_ST_EUlSS_E_NS1_11comp_targetILNS1_3genE3ELNS1_11target_archE908ELNS1_3gpuE7ELNS1_3repE0EEENS1_30default_config_static_selectorELNS0_4arch9wavefront6targetE1EEEvT1_, .Lfunc_end4901-_ZN7rocprim17ROCPRIM_400000_NS6detail17trampoline_kernelINS0_14default_configENS1_20scan_config_selectorIdEEZZNS1_9scan_implILNS1_25lookback_scan_determinismE0ELb0ELb0ES3_N6thrust23THRUST_200600_302600_NS6detail15normal_iteratorINS9_10device_ptrIdEEEENS9_16discard_iteratorINS9_11use_defaultEEEdNS9_4plusIvEEdEEDaPvRmT3_T4_T5_mT6_P12ihipStream_tbENKUlT_T0_E_clISt17integral_constantIbLb1EESW_IbLb0EEEEDaSS_ST_EUlSS_E_NS1_11comp_targetILNS1_3genE3ELNS1_11target_archE908ELNS1_3gpuE7ELNS1_3repE0EEENS1_30default_config_static_selectorELNS0_4arch9wavefront6targetE1EEEvT1_
                                        ; -- End function
	.section	.AMDGPU.csdata,"",@progbits
; Kernel info:
; codeLenInByte = 0
; NumSgprs: 4
; NumVgprs: 0
; NumAgprs: 0
; TotalNumVgprs: 0
; ScratchSize: 0
; MemoryBound: 0
; FloatMode: 240
; IeeeMode: 1
; LDSByteSize: 0 bytes/workgroup (compile time only)
; SGPRBlocks: 0
; VGPRBlocks: 0
; NumSGPRsForWavesPerEU: 4
; NumVGPRsForWavesPerEU: 1
; AccumOffset: 4
; Occupancy: 8
; WaveLimiterHint : 0
; COMPUTE_PGM_RSRC2:SCRATCH_EN: 0
; COMPUTE_PGM_RSRC2:USER_SGPR: 6
; COMPUTE_PGM_RSRC2:TRAP_HANDLER: 0
; COMPUTE_PGM_RSRC2:TGID_X_EN: 1
; COMPUTE_PGM_RSRC2:TGID_Y_EN: 0
; COMPUTE_PGM_RSRC2:TGID_Z_EN: 0
; COMPUTE_PGM_RSRC2:TIDIG_COMP_CNT: 0
; COMPUTE_PGM_RSRC3_GFX90A:ACCUM_OFFSET: 0
; COMPUTE_PGM_RSRC3_GFX90A:TG_SPLIT: 0
	.section	.text._ZN7rocprim17ROCPRIM_400000_NS6detail17trampoline_kernelINS0_14default_configENS1_20scan_config_selectorIdEEZZNS1_9scan_implILNS1_25lookback_scan_determinismE0ELb0ELb0ES3_N6thrust23THRUST_200600_302600_NS6detail15normal_iteratorINS9_10device_ptrIdEEEENS9_16discard_iteratorINS9_11use_defaultEEEdNS9_4plusIvEEdEEDaPvRmT3_T4_T5_mT6_P12ihipStream_tbENKUlT_T0_E_clISt17integral_constantIbLb1EESW_IbLb0EEEEDaSS_ST_EUlSS_E_NS1_11comp_targetILNS1_3genE2ELNS1_11target_archE906ELNS1_3gpuE6ELNS1_3repE0EEENS1_30default_config_static_selectorELNS0_4arch9wavefront6targetE1EEEvT1_,"axG",@progbits,_ZN7rocprim17ROCPRIM_400000_NS6detail17trampoline_kernelINS0_14default_configENS1_20scan_config_selectorIdEEZZNS1_9scan_implILNS1_25lookback_scan_determinismE0ELb0ELb0ES3_N6thrust23THRUST_200600_302600_NS6detail15normal_iteratorINS9_10device_ptrIdEEEENS9_16discard_iteratorINS9_11use_defaultEEEdNS9_4plusIvEEdEEDaPvRmT3_T4_T5_mT6_P12ihipStream_tbENKUlT_T0_E_clISt17integral_constantIbLb1EESW_IbLb0EEEEDaSS_ST_EUlSS_E_NS1_11comp_targetILNS1_3genE2ELNS1_11target_archE906ELNS1_3gpuE6ELNS1_3repE0EEENS1_30default_config_static_selectorELNS0_4arch9wavefront6targetE1EEEvT1_,comdat
	.protected	_ZN7rocprim17ROCPRIM_400000_NS6detail17trampoline_kernelINS0_14default_configENS1_20scan_config_selectorIdEEZZNS1_9scan_implILNS1_25lookback_scan_determinismE0ELb0ELb0ES3_N6thrust23THRUST_200600_302600_NS6detail15normal_iteratorINS9_10device_ptrIdEEEENS9_16discard_iteratorINS9_11use_defaultEEEdNS9_4plusIvEEdEEDaPvRmT3_T4_T5_mT6_P12ihipStream_tbENKUlT_T0_E_clISt17integral_constantIbLb1EESW_IbLb0EEEEDaSS_ST_EUlSS_E_NS1_11comp_targetILNS1_3genE2ELNS1_11target_archE906ELNS1_3gpuE6ELNS1_3repE0EEENS1_30default_config_static_selectorELNS0_4arch9wavefront6targetE1EEEvT1_ ; -- Begin function _ZN7rocprim17ROCPRIM_400000_NS6detail17trampoline_kernelINS0_14default_configENS1_20scan_config_selectorIdEEZZNS1_9scan_implILNS1_25lookback_scan_determinismE0ELb0ELb0ES3_N6thrust23THRUST_200600_302600_NS6detail15normal_iteratorINS9_10device_ptrIdEEEENS9_16discard_iteratorINS9_11use_defaultEEEdNS9_4plusIvEEdEEDaPvRmT3_T4_T5_mT6_P12ihipStream_tbENKUlT_T0_E_clISt17integral_constantIbLb1EESW_IbLb0EEEEDaSS_ST_EUlSS_E_NS1_11comp_targetILNS1_3genE2ELNS1_11target_archE906ELNS1_3gpuE6ELNS1_3repE0EEENS1_30default_config_static_selectorELNS0_4arch9wavefront6targetE1EEEvT1_
	.globl	_ZN7rocprim17ROCPRIM_400000_NS6detail17trampoline_kernelINS0_14default_configENS1_20scan_config_selectorIdEEZZNS1_9scan_implILNS1_25lookback_scan_determinismE0ELb0ELb0ES3_N6thrust23THRUST_200600_302600_NS6detail15normal_iteratorINS9_10device_ptrIdEEEENS9_16discard_iteratorINS9_11use_defaultEEEdNS9_4plusIvEEdEEDaPvRmT3_T4_T5_mT6_P12ihipStream_tbENKUlT_T0_E_clISt17integral_constantIbLb1EESW_IbLb0EEEEDaSS_ST_EUlSS_E_NS1_11comp_targetILNS1_3genE2ELNS1_11target_archE906ELNS1_3gpuE6ELNS1_3repE0EEENS1_30default_config_static_selectorELNS0_4arch9wavefront6targetE1EEEvT1_
	.p2align	8
	.type	_ZN7rocprim17ROCPRIM_400000_NS6detail17trampoline_kernelINS0_14default_configENS1_20scan_config_selectorIdEEZZNS1_9scan_implILNS1_25lookback_scan_determinismE0ELb0ELb0ES3_N6thrust23THRUST_200600_302600_NS6detail15normal_iteratorINS9_10device_ptrIdEEEENS9_16discard_iteratorINS9_11use_defaultEEEdNS9_4plusIvEEdEEDaPvRmT3_T4_T5_mT6_P12ihipStream_tbENKUlT_T0_E_clISt17integral_constantIbLb1EESW_IbLb0EEEEDaSS_ST_EUlSS_E_NS1_11comp_targetILNS1_3genE2ELNS1_11target_archE906ELNS1_3gpuE6ELNS1_3repE0EEENS1_30default_config_static_selectorELNS0_4arch9wavefront6targetE1EEEvT1_,@function
_ZN7rocprim17ROCPRIM_400000_NS6detail17trampoline_kernelINS0_14default_configENS1_20scan_config_selectorIdEEZZNS1_9scan_implILNS1_25lookback_scan_determinismE0ELb0ELb0ES3_N6thrust23THRUST_200600_302600_NS6detail15normal_iteratorINS9_10device_ptrIdEEEENS9_16discard_iteratorINS9_11use_defaultEEEdNS9_4plusIvEEdEEDaPvRmT3_T4_T5_mT6_P12ihipStream_tbENKUlT_T0_E_clISt17integral_constantIbLb1EESW_IbLb0EEEEDaSS_ST_EUlSS_E_NS1_11comp_targetILNS1_3genE2ELNS1_11target_archE906ELNS1_3gpuE6ELNS1_3repE0EEENS1_30default_config_static_selectorELNS0_4arch9wavefront6targetE1EEEvT1_: ; @_ZN7rocprim17ROCPRIM_400000_NS6detail17trampoline_kernelINS0_14default_configENS1_20scan_config_selectorIdEEZZNS1_9scan_implILNS1_25lookback_scan_determinismE0ELb0ELb0ES3_N6thrust23THRUST_200600_302600_NS6detail15normal_iteratorINS9_10device_ptrIdEEEENS9_16discard_iteratorINS9_11use_defaultEEEdNS9_4plusIvEEdEEDaPvRmT3_T4_T5_mT6_P12ihipStream_tbENKUlT_T0_E_clISt17integral_constantIbLb1EESW_IbLb0EEEEDaSS_ST_EUlSS_E_NS1_11comp_targetILNS1_3genE2ELNS1_11target_archE906ELNS1_3gpuE6ELNS1_3repE0EEENS1_30default_config_static_selectorELNS0_4arch9wavefront6targetE1EEEvT1_
; %bb.0:
	.section	.rodata,"a",@progbits
	.p2align	6, 0x0
	.amdhsa_kernel _ZN7rocprim17ROCPRIM_400000_NS6detail17trampoline_kernelINS0_14default_configENS1_20scan_config_selectorIdEEZZNS1_9scan_implILNS1_25lookback_scan_determinismE0ELb0ELb0ES3_N6thrust23THRUST_200600_302600_NS6detail15normal_iteratorINS9_10device_ptrIdEEEENS9_16discard_iteratorINS9_11use_defaultEEEdNS9_4plusIvEEdEEDaPvRmT3_T4_T5_mT6_P12ihipStream_tbENKUlT_T0_E_clISt17integral_constantIbLb1EESW_IbLb0EEEEDaSS_ST_EUlSS_E_NS1_11comp_targetILNS1_3genE2ELNS1_11target_archE906ELNS1_3gpuE6ELNS1_3repE0EEENS1_30default_config_static_selectorELNS0_4arch9wavefront6targetE1EEEvT1_
		.amdhsa_group_segment_fixed_size 0
		.amdhsa_private_segment_fixed_size 0
		.amdhsa_kernarg_size 112
		.amdhsa_user_sgpr_count 6
		.amdhsa_user_sgpr_private_segment_buffer 1
		.amdhsa_user_sgpr_dispatch_ptr 0
		.amdhsa_user_sgpr_queue_ptr 0
		.amdhsa_user_sgpr_kernarg_segment_ptr 1
		.amdhsa_user_sgpr_dispatch_id 0
		.amdhsa_user_sgpr_flat_scratch_init 0
		.amdhsa_user_sgpr_kernarg_preload_length 0
		.amdhsa_user_sgpr_kernarg_preload_offset 0
		.amdhsa_user_sgpr_private_segment_size 0
		.amdhsa_uses_dynamic_stack 0
		.amdhsa_system_sgpr_private_segment_wavefront_offset 0
		.amdhsa_system_sgpr_workgroup_id_x 1
		.amdhsa_system_sgpr_workgroup_id_y 0
		.amdhsa_system_sgpr_workgroup_id_z 0
		.amdhsa_system_sgpr_workgroup_info 0
		.amdhsa_system_vgpr_workitem_id 0
		.amdhsa_next_free_vgpr 1
		.amdhsa_next_free_sgpr 0
		.amdhsa_accum_offset 4
		.amdhsa_reserve_vcc 0
		.amdhsa_reserve_flat_scratch 0
		.amdhsa_float_round_mode_32 0
		.amdhsa_float_round_mode_16_64 0
		.amdhsa_float_denorm_mode_32 3
		.amdhsa_float_denorm_mode_16_64 3
		.amdhsa_dx10_clamp 1
		.amdhsa_ieee_mode 1
		.amdhsa_fp16_overflow 0
		.amdhsa_tg_split 0
		.amdhsa_exception_fp_ieee_invalid_op 0
		.amdhsa_exception_fp_denorm_src 0
		.amdhsa_exception_fp_ieee_div_zero 0
		.amdhsa_exception_fp_ieee_overflow 0
		.amdhsa_exception_fp_ieee_underflow 0
		.amdhsa_exception_fp_ieee_inexact 0
		.amdhsa_exception_int_div_zero 0
	.end_amdhsa_kernel
	.section	.text._ZN7rocprim17ROCPRIM_400000_NS6detail17trampoline_kernelINS0_14default_configENS1_20scan_config_selectorIdEEZZNS1_9scan_implILNS1_25lookback_scan_determinismE0ELb0ELb0ES3_N6thrust23THRUST_200600_302600_NS6detail15normal_iteratorINS9_10device_ptrIdEEEENS9_16discard_iteratorINS9_11use_defaultEEEdNS9_4plusIvEEdEEDaPvRmT3_T4_T5_mT6_P12ihipStream_tbENKUlT_T0_E_clISt17integral_constantIbLb1EESW_IbLb0EEEEDaSS_ST_EUlSS_E_NS1_11comp_targetILNS1_3genE2ELNS1_11target_archE906ELNS1_3gpuE6ELNS1_3repE0EEENS1_30default_config_static_selectorELNS0_4arch9wavefront6targetE1EEEvT1_,"axG",@progbits,_ZN7rocprim17ROCPRIM_400000_NS6detail17trampoline_kernelINS0_14default_configENS1_20scan_config_selectorIdEEZZNS1_9scan_implILNS1_25lookback_scan_determinismE0ELb0ELb0ES3_N6thrust23THRUST_200600_302600_NS6detail15normal_iteratorINS9_10device_ptrIdEEEENS9_16discard_iteratorINS9_11use_defaultEEEdNS9_4plusIvEEdEEDaPvRmT3_T4_T5_mT6_P12ihipStream_tbENKUlT_T0_E_clISt17integral_constantIbLb1EESW_IbLb0EEEEDaSS_ST_EUlSS_E_NS1_11comp_targetILNS1_3genE2ELNS1_11target_archE906ELNS1_3gpuE6ELNS1_3repE0EEENS1_30default_config_static_selectorELNS0_4arch9wavefront6targetE1EEEvT1_,comdat
.Lfunc_end4902:
	.size	_ZN7rocprim17ROCPRIM_400000_NS6detail17trampoline_kernelINS0_14default_configENS1_20scan_config_selectorIdEEZZNS1_9scan_implILNS1_25lookback_scan_determinismE0ELb0ELb0ES3_N6thrust23THRUST_200600_302600_NS6detail15normal_iteratorINS9_10device_ptrIdEEEENS9_16discard_iteratorINS9_11use_defaultEEEdNS9_4plusIvEEdEEDaPvRmT3_T4_T5_mT6_P12ihipStream_tbENKUlT_T0_E_clISt17integral_constantIbLb1EESW_IbLb0EEEEDaSS_ST_EUlSS_E_NS1_11comp_targetILNS1_3genE2ELNS1_11target_archE906ELNS1_3gpuE6ELNS1_3repE0EEENS1_30default_config_static_selectorELNS0_4arch9wavefront6targetE1EEEvT1_, .Lfunc_end4902-_ZN7rocprim17ROCPRIM_400000_NS6detail17trampoline_kernelINS0_14default_configENS1_20scan_config_selectorIdEEZZNS1_9scan_implILNS1_25lookback_scan_determinismE0ELb0ELb0ES3_N6thrust23THRUST_200600_302600_NS6detail15normal_iteratorINS9_10device_ptrIdEEEENS9_16discard_iteratorINS9_11use_defaultEEEdNS9_4plusIvEEdEEDaPvRmT3_T4_T5_mT6_P12ihipStream_tbENKUlT_T0_E_clISt17integral_constantIbLb1EESW_IbLb0EEEEDaSS_ST_EUlSS_E_NS1_11comp_targetILNS1_3genE2ELNS1_11target_archE906ELNS1_3gpuE6ELNS1_3repE0EEENS1_30default_config_static_selectorELNS0_4arch9wavefront6targetE1EEEvT1_
                                        ; -- End function
	.section	.AMDGPU.csdata,"",@progbits
; Kernel info:
; codeLenInByte = 0
; NumSgprs: 4
; NumVgprs: 0
; NumAgprs: 0
; TotalNumVgprs: 0
; ScratchSize: 0
; MemoryBound: 0
; FloatMode: 240
; IeeeMode: 1
; LDSByteSize: 0 bytes/workgroup (compile time only)
; SGPRBlocks: 0
; VGPRBlocks: 0
; NumSGPRsForWavesPerEU: 4
; NumVGPRsForWavesPerEU: 1
; AccumOffset: 4
; Occupancy: 8
; WaveLimiterHint : 0
; COMPUTE_PGM_RSRC2:SCRATCH_EN: 0
; COMPUTE_PGM_RSRC2:USER_SGPR: 6
; COMPUTE_PGM_RSRC2:TRAP_HANDLER: 0
; COMPUTE_PGM_RSRC2:TGID_X_EN: 1
; COMPUTE_PGM_RSRC2:TGID_Y_EN: 0
; COMPUTE_PGM_RSRC2:TGID_Z_EN: 0
; COMPUTE_PGM_RSRC2:TIDIG_COMP_CNT: 0
; COMPUTE_PGM_RSRC3_GFX90A:ACCUM_OFFSET: 0
; COMPUTE_PGM_RSRC3_GFX90A:TG_SPLIT: 0
	.section	.text._ZN7rocprim17ROCPRIM_400000_NS6detail17trampoline_kernelINS0_14default_configENS1_20scan_config_selectorIdEEZZNS1_9scan_implILNS1_25lookback_scan_determinismE0ELb0ELb0ES3_N6thrust23THRUST_200600_302600_NS6detail15normal_iteratorINS9_10device_ptrIdEEEENS9_16discard_iteratorINS9_11use_defaultEEEdNS9_4plusIvEEdEEDaPvRmT3_T4_T5_mT6_P12ihipStream_tbENKUlT_T0_E_clISt17integral_constantIbLb1EESW_IbLb0EEEEDaSS_ST_EUlSS_E_NS1_11comp_targetILNS1_3genE10ELNS1_11target_archE1201ELNS1_3gpuE5ELNS1_3repE0EEENS1_30default_config_static_selectorELNS0_4arch9wavefront6targetE1EEEvT1_,"axG",@progbits,_ZN7rocprim17ROCPRIM_400000_NS6detail17trampoline_kernelINS0_14default_configENS1_20scan_config_selectorIdEEZZNS1_9scan_implILNS1_25lookback_scan_determinismE0ELb0ELb0ES3_N6thrust23THRUST_200600_302600_NS6detail15normal_iteratorINS9_10device_ptrIdEEEENS9_16discard_iteratorINS9_11use_defaultEEEdNS9_4plusIvEEdEEDaPvRmT3_T4_T5_mT6_P12ihipStream_tbENKUlT_T0_E_clISt17integral_constantIbLb1EESW_IbLb0EEEEDaSS_ST_EUlSS_E_NS1_11comp_targetILNS1_3genE10ELNS1_11target_archE1201ELNS1_3gpuE5ELNS1_3repE0EEENS1_30default_config_static_selectorELNS0_4arch9wavefront6targetE1EEEvT1_,comdat
	.protected	_ZN7rocprim17ROCPRIM_400000_NS6detail17trampoline_kernelINS0_14default_configENS1_20scan_config_selectorIdEEZZNS1_9scan_implILNS1_25lookback_scan_determinismE0ELb0ELb0ES3_N6thrust23THRUST_200600_302600_NS6detail15normal_iteratorINS9_10device_ptrIdEEEENS9_16discard_iteratorINS9_11use_defaultEEEdNS9_4plusIvEEdEEDaPvRmT3_T4_T5_mT6_P12ihipStream_tbENKUlT_T0_E_clISt17integral_constantIbLb1EESW_IbLb0EEEEDaSS_ST_EUlSS_E_NS1_11comp_targetILNS1_3genE10ELNS1_11target_archE1201ELNS1_3gpuE5ELNS1_3repE0EEENS1_30default_config_static_selectorELNS0_4arch9wavefront6targetE1EEEvT1_ ; -- Begin function _ZN7rocprim17ROCPRIM_400000_NS6detail17trampoline_kernelINS0_14default_configENS1_20scan_config_selectorIdEEZZNS1_9scan_implILNS1_25lookback_scan_determinismE0ELb0ELb0ES3_N6thrust23THRUST_200600_302600_NS6detail15normal_iteratorINS9_10device_ptrIdEEEENS9_16discard_iteratorINS9_11use_defaultEEEdNS9_4plusIvEEdEEDaPvRmT3_T4_T5_mT6_P12ihipStream_tbENKUlT_T0_E_clISt17integral_constantIbLb1EESW_IbLb0EEEEDaSS_ST_EUlSS_E_NS1_11comp_targetILNS1_3genE10ELNS1_11target_archE1201ELNS1_3gpuE5ELNS1_3repE0EEENS1_30default_config_static_selectorELNS0_4arch9wavefront6targetE1EEEvT1_
	.globl	_ZN7rocprim17ROCPRIM_400000_NS6detail17trampoline_kernelINS0_14default_configENS1_20scan_config_selectorIdEEZZNS1_9scan_implILNS1_25lookback_scan_determinismE0ELb0ELb0ES3_N6thrust23THRUST_200600_302600_NS6detail15normal_iteratorINS9_10device_ptrIdEEEENS9_16discard_iteratorINS9_11use_defaultEEEdNS9_4plusIvEEdEEDaPvRmT3_T4_T5_mT6_P12ihipStream_tbENKUlT_T0_E_clISt17integral_constantIbLb1EESW_IbLb0EEEEDaSS_ST_EUlSS_E_NS1_11comp_targetILNS1_3genE10ELNS1_11target_archE1201ELNS1_3gpuE5ELNS1_3repE0EEENS1_30default_config_static_selectorELNS0_4arch9wavefront6targetE1EEEvT1_
	.p2align	8
	.type	_ZN7rocprim17ROCPRIM_400000_NS6detail17trampoline_kernelINS0_14default_configENS1_20scan_config_selectorIdEEZZNS1_9scan_implILNS1_25lookback_scan_determinismE0ELb0ELb0ES3_N6thrust23THRUST_200600_302600_NS6detail15normal_iteratorINS9_10device_ptrIdEEEENS9_16discard_iteratorINS9_11use_defaultEEEdNS9_4plusIvEEdEEDaPvRmT3_T4_T5_mT6_P12ihipStream_tbENKUlT_T0_E_clISt17integral_constantIbLb1EESW_IbLb0EEEEDaSS_ST_EUlSS_E_NS1_11comp_targetILNS1_3genE10ELNS1_11target_archE1201ELNS1_3gpuE5ELNS1_3repE0EEENS1_30default_config_static_selectorELNS0_4arch9wavefront6targetE1EEEvT1_,@function
_ZN7rocprim17ROCPRIM_400000_NS6detail17trampoline_kernelINS0_14default_configENS1_20scan_config_selectorIdEEZZNS1_9scan_implILNS1_25lookback_scan_determinismE0ELb0ELb0ES3_N6thrust23THRUST_200600_302600_NS6detail15normal_iteratorINS9_10device_ptrIdEEEENS9_16discard_iteratorINS9_11use_defaultEEEdNS9_4plusIvEEdEEDaPvRmT3_T4_T5_mT6_P12ihipStream_tbENKUlT_T0_E_clISt17integral_constantIbLb1EESW_IbLb0EEEEDaSS_ST_EUlSS_E_NS1_11comp_targetILNS1_3genE10ELNS1_11target_archE1201ELNS1_3gpuE5ELNS1_3repE0EEENS1_30default_config_static_selectorELNS0_4arch9wavefront6targetE1EEEvT1_: ; @_ZN7rocprim17ROCPRIM_400000_NS6detail17trampoline_kernelINS0_14default_configENS1_20scan_config_selectorIdEEZZNS1_9scan_implILNS1_25lookback_scan_determinismE0ELb0ELb0ES3_N6thrust23THRUST_200600_302600_NS6detail15normal_iteratorINS9_10device_ptrIdEEEENS9_16discard_iteratorINS9_11use_defaultEEEdNS9_4plusIvEEdEEDaPvRmT3_T4_T5_mT6_P12ihipStream_tbENKUlT_T0_E_clISt17integral_constantIbLb1EESW_IbLb0EEEEDaSS_ST_EUlSS_E_NS1_11comp_targetILNS1_3genE10ELNS1_11target_archE1201ELNS1_3gpuE5ELNS1_3repE0EEENS1_30default_config_static_selectorELNS0_4arch9wavefront6targetE1EEEvT1_
; %bb.0:
	.section	.rodata,"a",@progbits
	.p2align	6, 0x0
	.amdhsa_kernel _ZN7rocprim17ROCPRIM_400000_NS6detail17trampoline_kernelINS0_14default_configENS1_20scan_config_selectorIdEEZZNS1_9scan_implILNS1_25lookback_scan_determinismE0ELb0ELb0ES3_N6thrust23THRUST_200600_302600_NS6detail15normal_iteratorINS9_10device_ptrIdEEEENS9_16discard_iteratorINS9_11use_defaultEEEdNS9_4plusIvEEdEEDaPvRmT3_T4_T5_mT6_P12ihipStream_tbENKUlT_T0_E_clISt17integral_constantIbLb1EESW_IbLb0EEEEDaSS_ST_EUlSS_E_NS1_11comp_targetILNS1_3genE10ELNS1_11target_archE1201ELNS1_3gpuE5ELNS1_3repE0EEENS1_30default_config_static_selectorELNS0_4arch9wavefront6targetE1EEEvT1_
		.amdhsa_group_segment_fixed_size 0
		.amdhsa_private_segment_fixed_size 0
		.amdhsa_kernarg_size 112
		.amdhsa_user_sgpr_count 6
		.amdhsa_user_sgpr_private_segment_buffer 1
		.amdhsa_user_sgpr_dispatch_ptr 0
		.amdhsa_user_sgpr_queue_ptr 0
		.amdhsa_user_sgpr_kernarg_segment_ptr 1
		.amdhsa_user_sgpr_dispatch_id 0
		.amdhsa_user_sgpr_flat_scratch_init 0
		.amdhsa_user_sgpr_kernarg_preload_length 0
		.amdhsa_user_sgpr_kernarg_preload_offset 0
		.amdhsa_user_sgpr_private_segment_size 0
		.amdhsa_uses_dynamic_stack 0
		.amdhsa_system_sgpr_private_segment_wavefront_offset 0
		.amdhsa_system_sgpr_workgroup_id_x 1
		.amdhsa_system_sgpr_workgroup_id_y 0
		.amdhsa_system_sgpr_workgroup_id_z 0
		.amdhsa_system_sgpr_workgroup_info 0
		.amdhsa_system_vgpr_workitem_id 0
		.amdhsa_next_free_vgpr 1
		.amdhsa_next_free_sgpr 0
		.amdhsa_accum_offset 4
		.amdhsa_reserve_vcc 0
		.amdhsa_reserve_flat_scratch 0
		.amdhsa_float_round_mode_32 0
		.amdhsa_float_round_mode_16_64 0
		.amdhsa_float_denorm_mode_32 3
		.amdhsa_float_denorm_mode_16_64 3
		.amdhsa_dx10_clamp 1
		.amdhsa_ieee_mode 1
		.amdhsa_fp16_overflow 0
		.amdhsa_tg_split 0
		.amdhsa_exception_fp_ieee_invalid_op 0
		.amdhsa_exception_fp_denorm_src 0
		.amdhsa_exception_fp_ieee_div_zero 0
		.amdhsa_exception_fp_ieee_overflow 0
		.amdhsa_exception_fp_ieee_underflow 0
		.amdhsa_exception_fp_ieee_inexact 0
		.amdhsa_exception_int_div_zero 0
	.end_amdhsa_kernel
	.section	.text._ZN7rocprim17ROCPRIM_400000_NS6detail17trampoline_kernelINS0_14default_configENS1_20scan_config_selectorIdEEZZNS1_9scan_implILNS1_25lookback_scan_determinismE0ELb0ELb0ES3_N6thrust23THRUST_200600_302600_NS6detail15normal_iteratorINS9_10device_ptrIdEEEENS9_16discard_iteratorINS9_11use_defaultEEEdNS9_4plusIvEEdEEDaPvRmT3_T4_T5_mT6_P12ihipStream_tbENKUlT_T0_E_clISt17integral_constantIbLb1EESW_IbLb0EEEEDaSS_ST_EUlSS_E_NS1_11comp_targetILNS1_3genE10ELNS1_11target_archE1201ELNS1_3gpuE5ELNS1_3repE0EEENS1_30default_config_static_selectorELNS0_4arch9wavefront6targetE1EEEvT1_,"axG",@progbits,_ZN7rocprim17ROCPRIM_400000_NS6detail17trampoline_kernelINS0_14default_configENS1_20scan_config_selectorIdEEZZNS1_9scan_implILNS1_25lookback_scan_determinismE0ELb0ELb0ES3_N6thrust23THRUST_200600_302600_NS6detail15normal_iteratorINS9_10device_ptrIdEEEENS9_16discard_iteratorINS9_11use_defaultEEEdNS9_4plusIvEEdEEDaPvRmT3_T4_T5_mT6_P12ihipStream_tbENKUlT_T0_E_clISt17integral_constantIbLb1EESW_IbLb0EEEEDaSS_ST_EUlSS_E_NS1_11comp_targetILNS1_3genE10ELNS1_11target_archE1201ELNS1_3gpuE5ELNS1_3repE0EEENS1_30default_config_static_selectorELNS0_4arch9wavefront6targetE1EEEvT1_,comdat
.Lfunc_end4903:
	.size	_ZN7rocprim17ROCPRIM_400000_NS6detail17trampoline_kernelINS0_14default_configENS1_20scan_config_selectorIdEEZZNS1_9scan_implILNS1_25lookback_scan_determinismE0ELb0ELb0ES3_N6thrust23THRUST_200600_302600_NS6detail15normal_iteratorINS9_10device_ptrIdEEEENS9_16discard_iteratorINS9_11use_defaultEEEdNS9_4plusIvEEdEEDaPvRmT3_T4_T5_mT6_P12ihipStream_tbENKUlT_T0_E_clISt17integral_constantIbLb1EESW_IbLb0EEEEDaSS_ST_EUlSS_E_NS1_11comp_targetILNS1_3genE10ELNS1_11target_archE1201ELNS1_3gpuE5ELNS1_3repE0EEENS1_30default_config_static_selectorELNS0_4arch9wavefront6targetE1EEEvT1_, .Lfunc_end4903-_ZN7rocprim17ROCPRIM_400000_NS6detail17trampoline_kernelINS0_14default_configENS1_20scan_config_selectorIdEEZZNS1_9scan_implILNS1_25lookback_scan_determinismE0ELb0ELb0ES3_N6thrust23THRUST_200600_302600_NS6detail15normal_iteratorINS9_10device_ptrIdEEEENS9_16discard_iteratorINS9_11use_defaultEEEdNS9_4plusIvEEdEEDaPvRmT3_T4_T5_mT6_P12ihipStream_tbENKUlT_T0_E_clISt17integral_constantIbLb1EESW_IbLb0EEEEDaSS_ST_EUlSS_E_NS1_11comp_targetILNS1_3genE10ELNS1_11target_archE1201ELNS1_3gpuE5ELNS1_3repE0EEENS1_30default_config_static_selectorELNS0_4arch9wavefront6targetE1EEEvT1_
                                        ; -- End function
	.section	.AMDGPU.csdata,"",@progbits
; Kernel info:
; codeLenInByte = 0
; NumSgprs: 4
; NumVgprs: 0
; NumAgprs: 0
; TotalNumVgprs: 0
; ScratchSize: 0
; MemoryBound: 0
; FloatMode: 240
; IeeeMode: 1
; LDSByteSize: 0 bytes/workgroup (compile time only)
; SGPRBlocks: 0
; VGPRBlocks: 0
; NumSGPRsForWavesPerEU: 4
; NumVGPRsForWavesPerEU: 1
; AccumOffset: 4
; Occupancy: 8
; WaveLimiterHint : 0
; COMPUTE_PGM_RSRC2:SCRATCH_EN: 0
; COMPUTE_PGM_RSRC2:USER_SGPR: 6
; COMPUTE_PGM_RSRC2:TRAP_HANDLER: 0
; COMPUTE_PGM_RSRC2:TGID_X_EN: 1
; COMPUTE_PGM_RSRC2:TGID_Y_EN: 0
; COMPUTE_PGM_RSRC2:TGID_Z_EN: 0
; COMPUTE_PGM_RSRC2:TIDIG_COMP_CNT: 0
; COMPUTE_PGM_RSRC3_GFX90A:ACCUM_OFFSET: 0
; COMPUTE_PGM_RSRC3_GFX90A:TG_SPLIT: 0
	.section	.text._ZN7rocprim17ROCPRIM_400000_NS6detail17trampoline_kernelINS0_14default_configENS1_20scan_config_selectorIdEEZZNS1_9scan_implILNS1_25lookback_scan_determinismE0ELb0ELb0ES3_N6thrust23THRUST_200600_302600_NS6detail15normal_iteratorINS9_10device_ptrIdEEEENS9_16discard_iteratorINS9_11use_defaultEEEdNS9_4plusIvEEdEEDaPvRmT3_T4_T5_mT6_P12ihipStream_tbENKUlT_T0_E_clISt17integral_constantIbLb1EESW_IbLb0EEEEDaSS_ST_EUlSS_E_NS1_11comp_targetILNS1_3genE10ELNS1_11target_archE1200ELNS1_3gpuE4ELNS1_3repE0EEENS1_30default_config_static_selectorELNS0_4arch9wavefront6targetE1EEEvT1_,"axG",@progbits,_ZN7rocprim17ROCPRIM_400000_NS6detail17trampoline_kernelINS0_14default_configENS1_20scan_config_selectorIdEEZZNS1_9scan_implILNS1_25lookback_scan_determinismE0ELb0ELb0ES3_N6thrust23THRUST_200600_302600_NS6detail15normal_iteratorINS9_10device_ptrIdEEEENS9_16discard_iteratorINS9_11use_defaultEEEdNS9_4plusIvEEdEEDaPvRmT3_T4_T5_mT6_P12ihipStream_tbENKUlT_T0_E_clISt17integral_constantIbLb1EESW_IbLb0EEEEDaSS_ST_EUlSS_E_NS1_11comp_targetILNS1_3genE10ELNS1_11target_archE1200ELNS1_3gpuE4ELNS1_3repE0EEENS1_30default_config_static_selectorELNS0_4arch9wavefront6targetE1EEEvT1_,comdat
	.protected	_ZN7rocprim17ROCPRIM_400000_NS6detail17trampoline_kernelINS0_14default_configENS1_20scan_config_selectorIdEEZZNS1_9scan_implILNS1_25lookback_scan_determinismE0ELb0ELb0ES3_N6thrust23THRUST_200600_302600_NS6detail15normal_iteratorINS9_10device_ptrIdEEEENS9_16discard_iteratorINS9_11use_defaultEEEdNS9_4plusIvEEdEEDaPvRmT3_T4_T5_mT6_P12ihipStream_tbENKUlT_T0_E_clISt17integral_constantIbLb1EESW_IbLb0EEEEDaSS_ST_EUlSS_E_NS1_11comp_targetILNS1_3genE10ELNS1_11target_archE1200ELNS1_3gpuE4ELNS1_3repE0EEENS1_30default_config_static_selectorELNS0_4arch9wavefront6targetE1EEEvT1_ ; -- Begin function _ZN7rocprim17ROCPRIM_400000_NS6detail17trampoline_kernelINS0_14default_configENS1_20scan_config_selectorIdEEZZNS1_9scan_implILNS1_25lookback_scan_determinismE0ELb0ELb0ES3_N6thrust23THRUST_200600_302600_NS6detail15normal_iteratorINS9_10device_ptrIdEEEENS9_16discard_iteratorINS9_11use_defaultEEEdNS9_4plusIvEEdEEDaPvRmT3_T4_T5_mT6_P12ihipStream_tbENKUlT_T0_E_clISt17integral_constantIbLb1EESW_IbLb0EEEEDaSS_ST_EUlSS_E_NS1_11comp_targetILNS1_3genE10ELNS1_11target_archE1200ELNS1_3gpuE4ELNS1_3repE0EEENS1_30default_config_static_selectorELNS0_4arch9wavefront6targetE1EEEvT1_
	.globl	_ZN7rocprim17ROCPRIM_400000_NS6detail17trampoline_kernelINS0_14default_configENS1_20scan_config_selectorIdEEZZNS1_9scan_implILNS1_25lookback_scan_determinismE0ELb0ELb0ES3_N6thrust23THRUST_200600_302600_NS6detail15normal_iteratorINS9_10device_ptrIdEEEENS9_16discard_iteratorINS9_11use_defaultEEEdNS9_4plusIvEEdEEDaPvRmT3_T4_T5_mT6_P12ihipStream_tbENKUlT_T0_E_clISt17integral_constantIbLb1EESW_IbLb0EEEEDaSS_ST_EUlSS_E_NS1_11comp_targetILNS1_3genE10ELNS1_11target_archE1200ELNS1_3gpuE4ELNS1_3repE0EEENS1_30default_config_static_selectorELNS0_4arch9wavefront6targetE1EEEvT1_
	.p2align	8
	.type	_ZN7rocprim17ROCPRIM_400000_NS6detail17trampoline_kernelINS0_14default_configENS1_20scan_config_selectorIdEEZZNS1_9scan_implILNS1_25lookback_scan_determinismE0ELb0ELb0ES3_N6thrust23THRUST_200600_302600_NS6detail15normal_iteratorINS9_10device_ptrIdEEEENS9_16discard_iteratorINS9_11use_defaultEEEdNS9_4plusIvEEdEEDaPvRmT3_T4_T5_mT6_P12ihipStream_tbENKUlT_T0_E_clISt17integral_constantIbLb1EESW_IbLb0EEEEDaSS_ST_EUlSS_E_NS1_11comp_targetILNS1_3genE10ELNS1_11target_archE1200ELNS1_3gpuE4ELNS1_3repE0EEENS1_30default_config_static_selectorELNS0_4arch9wavefront6targetE1EEEvT1_,@function
_ZN7rocprim17ROCPRIM_400000_NS6detail17trampoline_kernelINS0_14default_configENS1_20scan_config_selectorIdEEZZNS1_9scan_implILNS1_25lookback_scan_determinismE0ELb0ELb0ES3_N6thrust23THRUST_200600_302600_NS6detail15normal_iteratorINS9_10device_ptrIdEEEENS9_16discard_iteratorINS9_11use_defaultEEEdNS9_4plusIvEEdEEDaPvRmT3_T4_T5_mT6_P12ihipStream_tbENKUlT_T0_E_clISt17integral_constantIbLb1EESW_IbLb0EEEEDaSS_ST_EUlSS_E_NS1_11comp_targetILNS1_3genE10ELNS1_11target_archE1200ELNS1_3gpuE4ELNS1_3repE0EEENS1_30default_config_static_selectorELNS0_4arch9wavefront6targetE1EEEvT1_: ; @_ZN7rocprim17ROCPRIM_400000_NS6detail17trampoline_kernelINS0_14default_configENS1_20scan_config_selectorIdEEZZNS1_9scan_implILNS1_25lookback_scan_determinismE0ELb0ELb0ES3_N6thrust23THRUST_200600_302600_NS6detail15normal_iteratorINS9_10device_ptrIdEEEENS9_16discard_iteratorINS9_11use_defaultEEEdNS9_4plusIvEEdEEDaPvRmT3_T4_T5_mT6_P12ihipStream_tbENKUlT_T0_E_clISt17integral_constantIbLb1EESW_IbLb0EEEEDaSS_ST_EUlSS_E_NS1_11comp_targetILNS1_3genE10ELNS1_11target_archE1200ELNS1_3gpuE4ELNS1_3repE0EEENS1_30default_config_static_selectorELNS0_4arch9wavefront6targetE1EEEvT1_
; %bb.0:
	.section	.rodata,"a",@progbits
	.p2align	6, 0x0
	.amdhsa_kernel _ZN7rocprim17ROCPRIM_400000_NS6detail17trampoline_kernelINS0_14default_configENS1_20scan_config_selectorIdEEZZNS1_9scan_implILNS1_25lookback_scan_determinismE0ELb0ELb0ES3_N6thrust23THRUST_200600_302600_NS6detail15normal_iteratorINS9_10device_ptrIdEEEENS9_16discard_iteratorINS9_11use_defaultEEEdNS9_4plusIvEEdEEDaPvRmT3_T4_T5_mT6_P12ihipStream_tbENKUlT_T0_E_clISt17integral_constantIbLb1EESW_IbLb0EEEEDaSS_ST_EUlSS_E_NS1_11comp_targetILNS1_3genE10ELNS1_11target_archE1200ELNS1_3gpuE4ELNS1_3repE0EEENS1_30default_config_static_selectorELNS0_4arch9wavefront6targetE1EEEvT1_
		.amdhsa_group_segment_fixed_size 0
		.amdhsa_private_segment_fixed_size 0
		.amdhsa_kernarg_size 112
		.amdhsa_user_sgpr_count 6
		.amdhsa_user_sgpr_private_segment_buffer 1
		.amdhsa_user_sgpr_dispatch_ptr 0
		.amdhsa_user_sgpr_queue_ptr 0
		.amdhsa_user_sgpr_kernarg_segment_ptr 1
		.amdhsa_user_sgpr_dispatch_id 0
		.amdhsa_user_sgpr_flat_scratch_init 0
		.amdhsa_user_sgpr_kernarg_preload_length 0
		.amdhsa_user_sgpr_kernarg_preload_offset 0
		.amdhsa_user_sgpr_private_segment_size 0
		.amdhsa_uses_dynamic_stack 0
		.amdhsa_system_sgpr_private_segment_wavefront_offset 0
		.amdhsa_system_sgpr_workgroup_id_x 1
		.amdhsa_system_sgpr_workgroup_id_y 0
		.amdhsa_system_sgpr_workgroup_id_z 0
		.amdhsa_system_sgpr_workgroup_info 0
		.amdhsa_system_vgpr_workitem_id 0
		.amdhsa_next_free_vgpr 1
		.amdhsa_next_free_sgpr 0
		.amdhsa_accum_offset 4
		.amdhsa_reserve_vcc 0
		.amdhsa_reserve_flat_scratch 0
		.amdhsa_float_round_mode_32 0
		.amdhsa_float_round_mode_16_64 0
		.amdhsa_float_denorm_mode_32 3
		.amdhsa_float_denorm_mode_16_64 3
		.amdhsa_dx10_clamp 1
		.amdhsa_ieee_mode 1
		.amdhsa_fp16_overflow 0
		.amdhsa_tg_split 0
		.amdhsa_exception_fp_ieee_invalid_op 0
		.amdhsa_exception_fp_denorm_src 0
		.amdhsa_exception_fp_ieee_div_zero 0
		.amdhsa_exception_fp_ieee_overflow 0
		.amdhsa_exception_fp_ieee_underflow 0
		.amdhsa_exception_fp_ieee_inexact 0
		.amdhsa_exception_int_div_zero 0
	.end_amdhsa_kernel
	.section	.text._ZN7rocprim17ROCPRIM_400000_NS6detail17trampoline_kernelINS0_14default_configENS1_20scan_config_selectorIdEEZZNS1_9scan_implILNS1_25lookback_scan_determinismE0ELb0ELb0ES3_N6thrust23THRUST_200600_302600_NS6detail15normal_iteratorINS9_10device_ptrIdEEEENS9_16discard_iteratorINS9_11use_defaultEEEdNS9_4plusIvEEdEEDaPvRmT3_T4_T5_mT6_P12ihipStream_tbENKUlT_T0_E_clISt17integral_constantIbLb1EESW_IbLb0EEEEDaSS_ST_EUlSS_E_NS1_11comp_targetILNS1_3genE10ELNS1_11target_archE1200ELNS1_3gpuE4ELNS1_3repE0EEENS1_30default_config_static_selectorELNS0_4arch9wavefront6targetE1EEEvT1_,"axG",@progbits,_ZN7rocprim17ROCPRIM_400000_NS6detail17trampoline_kernelINS0_14default_configENS1_20scan_config_selectorIdEEZZNS1_9scan_implILNS1_25lookback_scan_determinismE0ELb0ELb0ES3_N6thrust23THRUST_200600_302600_NS6detail15normal_iteratorINS9_10device_ptrIdEEEENS9_16discard_iteratorINS9_11use_defaultEEEdNS9_4plusIvEEdEEDaPvRmT3_T4_T5_mT6_P12ihipStream_tbENKUlT_T0_E_clISt17integral_constantIbLb1EESW_IbLb0EEEEDaSS_ST_EUlSS_E_NS1_11comp_targetILNS1_3genE10ELNS1_11target_archE1200ELNS1_3gpuE4ELNS1_3repE0EEENS1_30default_config_static_selectorELNS0_4arch9wavefront6targetE1EEEvT1_,comdat
.Lfunc_end4904:
	.size	_ZN7rocprim17ROCPRIM_400000_NS6detail17trampoline_kernelINS0_14default_configENS1_20scan_config_selectorIdEEZZNS1_9scan_implILNS1_25lookback_scan_determinismE0ELb0ELb0ES3_N6thrust23THRUST_200600_302600_NS6detail15normal_iteratorINS9_10device_ptrIdEEEENS9_16discard_iteratorINS9_11use_defaultEEEdNS9_4plusIvEEdEEDaPvRmT3_T4_T5_mT6_P12ihipStream_tbENKUlT_T0_E_clISt17integral_constantIbLb1EESW_IbLb0EEEEDaSS_ST_EUlSS_E_NS1_11comp_targetILNS1_3genE10ELNS1_11target_archE1200ELNS1_3gpuE4ELNS1_3repE0EEENS1_30default_config_static_selectorELNS0_4arch9wavefront6targetE1EEEvT1_, .Lfunc_end4904-_ZN7rocprim17ROCPRIM_400000_NS6detail17trampoline_kernelINS0_14default_configENS1_20scan_config_selectorIdEEZZNS1_9scan_implILNS1_25lookback_scan_determinismE0ELb0ELb0ES3_N6thrust23THRUST_200600_302600_NS6detail15normal_iteratorINS9_10device_ptrIdEEEENS9_16discard_iteratorINS9_11use_defaultEEEdNS9_4plusIvEEdEEDaPvRmT3_T4_T5_mT6_P12ihipStream_tbENKUlT_T0_E_clISt17integral_constantIbLb1EESW_IbLb0EEEEDaSS_ST_EUlSS_E_NS1_11comp_targetILNS1_3genE10ELNS1_11target_archE1200ELNS1_3gpuE4ELNS1_3repE0EEENS1_30default_config_static_selectorELNS0_4arch9wavefront6targetE1EEEvT1_
                                        ; -- End function
	.section	.AMDGPU.csdata,"",@progbits
; Kernel info:
; codeLenInByte = 0
; NumSgprs: 4
; NumVgprs: 0
; NumAgprs: 0
; TotalNumVgprs: 0
; ScratchSize: 0
; MemoryBound: 0
; FloatMode: 240
; IeeeMode: 1
; LDSByteSize: 0 bytes/workgroup (compile time only)
; SGPRBlocks: 0
; VGPRBlocks: 0
; NumSGPRsForWavesPerEU: 4
; NumVGPRsForWavesPerEU: 1
; AccumOffset: 4
; Occupancy: 8
; WaveLimiterHint : 0
; COMPUTE_PGM_RSRC2:SCRATCH_EN: 0
; COMPUTE_PGM_RSRC2:USER_SGPR: 6
; COMPUTE_PGM_RSRC2:TRAP_HANDLER: 0
; COMPUTE_PGM_RSRC2:TGID_X_EN: 1
; COMPUTE_PGM_RSRC2:TGID_Y_EN: 0
; COMPUTE_PGM_RSRC2:TGID_Z_EN: 0
; COMPUTE_PGM_RSRC2:TIDIG_COMP_CNT: 0
; COMPUTE_PGM_RSRC3_GFX90A:ACCUM_OFFSET: 0
; COMPUTE_PGM_RSRC3_GFX90A:TG_SPLIT: 0
	.section	.text._ZN7rocprim17ROCPRIM_400000_NS6detail17trampoline_kernelINS0_14default_configENS1_20scan_config_selectorIdEEZZNS1_9scan_implILNS1_25lookback_scan_determinismE0ELb0ELb0ES3_N6thrust23THRUST_200600_302600_NS6detail15normal_iteratorINS9_10device_ptrIdEEEENS9_16discard_iteratorINS9_11use_defaultEEEdNS9_4plusIvEEdEEDaPvRmT3_T4_T5_mT6_P12ihipStream_tbENKUlT_T0_E_clISt17integral_constantIbLb1EESW_IbLb0EEEEDaSS_ST_EUlSS_E_NS1_11comp_targetILNS1_3genE9ELNS1_11target_archE1100ELNS1_3gpuE3ELNS1_3repE0EEENS1_30default_config_static_selectorELNS0_4arch9wavefront6targetE1EEEvT1_,"axG",@progbits,_ZN7rocprim17ROCPRIM_400000_NS6detail17trampoline_kernelINS0_14default_configENS1_20scan_config_selectorIdEEZZNS1_9scan_implILNS1_25lookback_scan_determinismE0ELb0ELb0ES3_N6thrust23THRUST_200600_302600_NS6detail15normal_iteratorINS9_10device_ptrIdEEEENS9_16discard_iteratorINS9_11use_defaultEEEdNS9_4plusIvEEdEEDaPvRmT3_T4_T5_mT6_P12ihipStream_tbENKUlT_T0_E_clISt17integral_constantIbLb1EESW_IbLb0EEEEDaSS_ST_EUlSS_E_NS1_11comp_targetILNS1_3genE9ELNS1_11target_archE1100ELNS1_3gpuE3ELNS1_3repE0EEENS1_30default_config_static_selectorELNS0_4arch9wavefront6targetE1EEEvT1_,comdat
	.protected	_ZN7rocprim17ROCPRIM_400000_NS6detail17trampoline_kernelINS0_14default_configENS1_20scan_config_selectorIdEEZZNS1_9scan_implILNS1_25lookback_scan_determinismE0ELb0ELb0ES3_N6thrust23THRUST_200600_302600_NS6detail15normal_iteratorINS9_10device_ptrIdEEEENS9_16discard_iteratorINS9_11use_defaultEEEdNS9_4plusIvEEdEEDaPvRmT3_T4_T5_mT6_P12ihipStream_tbENKUlT_T0_E_clISt17integral_constantIbLb1EESW_IbLb0EEEEDaSS_ST_EUlSS_E_NS1_11comp_targetILNS1_3genE9ELNS1_11target_archE1100ELNS1_3gpuE3ELNS1_3repE0EEENS1_30default_config_static_selectorELNS0_4arch9wavefront6targetE1EEEvT1_ ; -- Begin function _ZN7rocprim17ROCPRIM_400000_NS6detail17trampoline_kernelINS0_14default_configENS1_20scan_config_selectorIdEEZZNS1_9scan_implILNS1_25lookback_scan_determinismE0ELb0ELb0ES3_N6thrust23THRUST_200600_302600_NS6detail15normal_iteratorINS9_10device_ptrIdEEEENS9_16discard_iteratorINS9_11use_defaultEEEdNS9_4plusIvEEdEEDaPvRmT3_T4_T5_mT6_P12ihipStream_tbENKUlT_T0_E_clISt17integral_constantIbLb1EESW_IbLb0EEEEDaSS_ST_EUlSS_E_NS1_11comp_targetILNS1_3genE9ELNS1_11target_archE1100ELNS1_3gpuE3ELNS1_3repE0EEENS1_30default_config_static_selectorELNS0_4arch9wavefront6targetE1EEEvT1_
	.globl	_ZN7rocprim17ROCPRIM_400000_NS6detail17trampoline_kernelINS0_14default_configENS1_20scan_config_selectorIdEEZZNS1_9scan_implILNS1_25lookback_scan_determinismE0ELb0ELb0ES3_N6thrust23THRUST_200600_302600_NS6detail15normal_iteratorINS9_10device_ptrIdEEEENS9_16discard_iteratorINS9_11use_defaultEEEdNS9_4plusIvEEdEEDaPvRmT3_T4_T5_mT6_P12ihipStream_tbENKUlT_T0_E_clISt17integral_constantIbLb1EESW_IbLb0EEEEDaSS_ST_EUlSS_E_NS1_11comp_targetILNS1_3genE9ELNS1_11target_archE1100ELNS1_3gpuE3ELNS1_3repE0EEENS1_30default_config_static_selectorELNS0_4arch9wavefront6targetE1EEEvT1_
	.p2align	8
	.type	_ZN7rocprim17ROCPRIM_400000_NS6detail17trampoline_kernelINS0_14default_configENS1_20scan_config_selectorIdEEZZNS1_9scan_implILNS1_25lookback_scan_determinismE0ELb0ELb0ES3_N6thrust23THRUST_200600_302600_NS6detail15normal_iteratorINS9_10device_ptrIdEEEENS9_16discard_iteratorINS9_11use_defaultEEEdNS9_4plusIvEEdEEDaPvRmT3_T4_T5_mT6_P12ihipStream_tbENKUlT_T0_E_clISt17integral_constantIbLb1EESW_IbLb0EEEEDaSS_ST_EUlSS_E_NS1_11comp_targetILNS1_3genE9ELNS1_11target_archE1100ELNS1_3gpuE3ELNS1_3repE0EEENS1_30default_config_static_selectorELNS0_4arch9wavefront6targetE1EEEvT1_,@function
_ZN7rocprim17ROCPRIM_400000_NS6detail17trampoline_kernelINS0_14default_configENS1_20scan_config_selectorIdEEZZNS1_9scan_implILNS1_25lookback_scan_determinismE0ELb0ELb0ES3_N6thrust23THRUST_200600_302600_NS6detail15normal_iteratorINS9_10device_ptrIdEEEENS9_16discard_iteratorINS9_11use_defaultEEEdNS9_4plusIvEEdEEDaPvRmT3_T4_T5_mT6_P12ihipStream_tbENKUlT_T0_E_clISt17integral_constantIbLb1EESW_IbLb0EEEEDaSS_ST_EUlSS_E_NS1_11comp_targetILNS1_3genE9ELNS1_11target_archE1100ELNS1_3gpuE3ELNS1_3repE0EEENS1_30default_config_static_selectorELNS0_4arch9wavefront6targetE1EEEvT1_: ; @_ZN7rocprim17ROCPRIM_400000_NS6detail17trampoline_kernelINS0_14default_configENS1_20scan_config_selectorIdEEZZNS1_9scan_implILNS1_25lookback_scan_determinismE0ELb0ELb0ES3_N6thrust23THRUST_200600_302600_NS6detail15normal_iteratorINS9_10device_ptrIdEEEENS9_16discard_iteratorINS9_11use_defaultEEEdNS9_4plusIvEEdEEDaPvRmT3_T4_T5_mT6_P12ihipStream_tbENKUlT_T0_E_clISt17integral_constantIbLb1EESW_IbLb0EEEEDaSS_ST_EUlSS_E_NS1_11comp_targetILNS1_3genE9ELNS1_11target_archE1100ELNS1_3gpuE3ELNS1_3repE0EEENS1_30default_config_static_selectorELNS0_4arch9wavefront6targetE1EEEvT1_
; %bb.0:
	.section	.rodata,"a",@progbits
	.p2align	6, 0x0
	.amdhsa_kernel _ZN7rocprim17ROCPRIM_400000_NS6detail17trampoline_kernelINS0_14default_configENS1_20scan_config_selectorIdEEZZNS1_9scan_implILNS1_25lookback_scan_determinismE0ELb0ELb0ES3_N6thrust23THRUST_200600_302600_NS6detail15normal_iteratorINS9_10device_ptrIdEEEENS9_16discard_iteratorINS9_11use_defaultEEEdNS9_4plusIvEEdEEDaPvRmT3_T4_T5_mT6_P12ihipStream_tbENKUlT_T0_E_clISt17integral_constantIbLb1EESW_IbLb0EEEEDaSS_ST_EUlSS_E_NS1_11comp_targetILNS1_3genE9ELNS1_11target_archE1100ELNS1_3gpuE3ELNS1_3repE0EEENS1_30default_config_static_selectorELNS0_4arch9wavefront6targetE1EEEvT1_
		.amdhsa_group_segment_fixed_size 0
		.amdhsa_private_segment_fixed_size 0
		.amdhsa_kernarg_size 112
		.amdhsa_user_sgpr_count 6
		.amdhsa_user_sgpr_private_segment_buffer 1
		.amdhsa_user_sgpr_dispatch_ptr 0
		.amdhsa_user_sgpr_queue_ptr 0
		.amdhsa_user_sgpr_kernarg_segment_ptr 1
		.amdhsa_user_sgpr_dispatch_id 0
		.amdhsa_user_sgpr_flat_scratch_init 0
		.amdhsa_user_sgpr_kernarg_preload_length 0
		.amdhsa_user_sgpr_kernarg_preload_offset 0
		.amdhsa_user_sgpr_private_segment_size 0
		.amdhsa_uses_dynamic_stack 0
		.amdhsa_system_sgpr_private_segment_wavefront_offset 0
		.amdhsa_system_sgpr_workgroup_id_x 1
		.amdhsa_system_sgpr_workgroup_id_y 0
		.amdhsa_system_sgpr_workgroup_id_z 0
		.amdhsa_system_sgpr_workgroup_info 0
		.amdhsa_system_vgpr_workitem_id 0
		.amdhsa_next_free_vgpr 1
		.amdhsa_next_free_sgpr 0
		.amdhsa_accum_offset 4
		.amdhsa_reserve_vcc 0
		.amdhsa_reserve_flat_scratch 0
		.amdhsa_float_round_mode_32 0
		.amdhsa_float_round_mode_16_64 0
		.amdhsa_float_denorm_mode_32 3
		.amdhsa_float_denorm_mode_16_64 3
		.amdhsa_dx10_clamp 1
		.amdhsa_ieee_mode 1
		.amdhsa_fp16_overflow 0
		.amdhsa_tg_split 0
		.amdhsa_exception_fp_ieee_invalid_op 0
		.amdhsa_exception_fp_denorm_src 0
		.amdhsa_exception_fp_ieee_div_zero 0
		.amdhsa_exception_fp_ieee_overflow 0
		.amdhsa_exception_fp_ieee_underflow 0
		.amdhsa_exception_fp_ieee_inexact 0
		.amdhsa_exception_int_div_zero 0
	.end_amdhsa_kernel
	.section	.text._ZN7rocprim17ROCPRIM_400000_NS6detail17trampoline_kernelINS0_14default_configENS1_20scan_config_selectorIdEEZZNS1_9scan_implILNS1_25lookback_scan_determinismE0ELb0ELb0ES3_N6thrust23THRUST_200600_302600_NS6detail15normal_iteratorINS9_10device_ptrIdEEEENS9_16discard_iteratorINS9_11use_defaultEEEdNS9_4plusIvEEdEEDaPvRmT3_T4_T5_mT6_P12ihipStream_tbENKUlT_T0_E_clISt17integral_constantIbLb1EESW_IbLb0EEEEDaSS_ST_EUlSS_E_NS1_11comp_targetILNS1_3genE9ELNS1_11target_archE1100ELNS1_3gpuE3ELNS1_3repE0EEENS1_30default_config_static_selectorELNS0_4arch9wavefront6targetE1EEEvT1_,"axG",@progbits,_ZN7rocprim17ROCPRIM_400000_NS6detail17trampoline_kernelINS0_14default_configENS1_20scan_config_selectorIdEEZZNS1_9scan_implILNS1_25lookback_scan_determinismE0ELb0ELb0ES3_N6thrust23THRUST_200600_302600_NS6detail15normal_iteratorINS9_10device_ptrIdEEEENS9_16discard_iteratorINS9_11use_defaultEEEdNS9_4plusIvEEdEEDaPvRmT3_T4_T5_mT6_P12ihipStream_tbENKUlT_T0_E_clISt17integral_constantIbLb1EESW_IbLb0EEEEDaSS_ST_EUlSS_E_NS1_11comp_targetILNS1_3genE9ELNS1_11target_archE1100ELNS1_3gpuE3ELNS1_3repE0EEENS1_30default_config_static_selectorELNS0_4arch9wavefront6targetE1EEEvT1_,comdat
.Lfunc_end4905:
	.size	_ZN7rocprim17ROCPRIM_400000_NS6detail17trampoline_kernelINS0_14default_configENS1_20scan_config_selectorIdEEZZNS1_9scan_implILNS1_25lookback_scan_determinismE0ELb0ELb0ES3_N6thrust23THRUST_200600_302600_NS6detail15normal_iteratorINS9_10device_ptrIdEEEENS9_16discard_iteratorINS9_11use_defaultEEEdNS9_4plusIvEEdEEDaPvRmT3_T4_T5_mT6_P12ihipStream_tbENKUlT_T0_E_clISt17integral_constantIbLb1EESW_IbLb0EEEEDaSS_ST_EUlSS_E_NS1_11comp_targetILNS1_3genE9ELNS1_11target_archE1100ELNS1_3gpuE3ELNS1_3repE0EEENS1_30default_config_static_selectorELNS0_4arch9wavefront6targetE1EEEvT1_, .Lfunc_end4905-_ZN7rocprim17ROCPRIM_400000_NS6detail17trampoline_kernelINS0_14default_configENS1_20scan_config_selectorIdEEZZNS1_9scan_implILNS1_25lookback_scan_determinismE0ELb0ELb0ES3_N6thrust23THRUST_200600_302600_NS6detail15normal_iteratorINS9_10device_ptrIdEEEENS9_16discard_iteratorINS9_11use_defaultEEEdNS9_4plusIvEEdEEDaPvRmT3_T4_T5_mT6_P12ihipStream_tbENKUlT_T0_E_clISt17integral_constantIbLb1EESW_IbLb0EEEEDaSS_ST_EUlSS_E_NS1_11comp_targetILNS1_3genE9ELNS1_11target_archE1100ELNS1_3gpuE3ELNS1_3repE0EEENS1_30default_config_static_selectorELNS0_4arch9wavefront6targetE1EEEvT1_
                                        ; -- End function
	.section	.AMDGPU.csdata,"",@progbits
; Kernel info:
; codeLenInByte = 0
; NumSgprs: 4
; NumVgprs: 0
; NumAgprs: 0
; TotalNumVgprs: 0
; ScratchSize: 0
; MemoryBound: 0
; FloatMode: 240
; IeeeMode: 1
; LDSByteSize: 0 bytes/workgroup (compile time only)
; SGPRBlocks: 0
; VGPRBlocks: 0
; NumSGPRsForWavesPerEU: 4
; NumVGPRsForWavesPerEU: 1
; AccumOffset: 4
; Occupancy: 8
; WaveLimiterHint : 0
; COMPUTE_PGM_RSRC2:SCRATCH_EN: 0
; COMPUTE_PGM_RSRC2:USER_SGPR: 6
; COMPUTE_PGM_RSRC2:TRAP_HANDLER: 0
; COMPUTE_PGM_RSRC2:TGID_X_EN: 1
; COMPUTE_PGM_RSRC2:TGID_Y_EN: 0
; COMPUTE_PGM_RSRC2:TGID_Z_EN: 0
; COMPUTE_PGM_RSRC2:TIDIG_COMP_CNT: 0
; COMPUTE_PGM_RSRC3_GFX90A:ACCUM_OFFSET: 0
; COMPUTE_PGM_RSRC3_GFX90A:TG_SPLIT: 0
	.section	.text._ZN7rocprim17ROCPRIM_400000_NS6detail17trampoline_kernelINS0_14default_configENS1_20scan_config_selectorIdEEZZNS1_9scan_implILNS1_25lookback_scan_determinismE0ELb0ELb0ES3_N6thrust23THRUST_200600_302600_NS6detail15normal_iteratorINS9_10device_ptrIdEEEENS9_16discard_iteratorINS9_11use_defaultEEEdNS9_4plusIvEEdEEDaPvRmT3_T4_T5_mT6_P12ihipStream_tbENKUlT_T0_E_clISt17integral_constantIbLb1EESW_IbLb0EEEEDaSS_ST_EUlSS_E_NS1_11comp_targetILNS1_3genE8ELNS1_11target_archE1030ELNS1_3gpuE2ELNS1_3repE0EEENS1_30default_config_static_selectorELNS0_4arch9wavefront6targetE1EEEvT1_,"axG",@progbits,_ZN7rocprim17ROCPRIM_400000_NS6detail17trampoline_kernelINS0_14default_configENS1_20scan_config_selectorIdEEZZNS1_9scan_implILNS1_25lookback_scan_determinismE0ELb0ELb0ES3_N6thrust23THRUST_200600_302600_NS6detail15normal_iteratorINS9_10device_ptrIdEEEENS9_16discard_iteratorINS9_11use_defaultEEEdNS9_4plusIvEEdEEDaPvRmT3_T4_T5_mT6_P12ihipStream_tbENKUlT_T0_E_clISt17integral_constantIbLb1EESW_IbLb0EEEEDaSS_ST_EUlSS_E_NS1_11comp_targetILNS1_3genE8ELNS1_11target_archE1030ELNS1_3gpuE2ELNS1_3repE0EEENS1_30default_config_static_selectorELNS0_4arch9wavefront6targetE1EEEvT1_,comdat
	.protected	_ZN7rocprim17ROCPRIM_400000_NS6detail17trampoline_kernelINS0_14default_configENS1_20scan_config_selectorIdEEZZNS1_9scan_implILNS1_25lookback_scan_determinismE0ELb0ELb0ES3_N6thrust23THRUST_200600_302600_NS6detail15normal_iteratorINS9_10device_ptrIdEEEENS9_16discard_iteratorINS9_11use_defaultEEEdNS9_4plusIvEEdEEDaPvRmT3_T4_T5_mT6_P12ihipStream_tbENKUlT_T0_E_clISt17integral_constantIbLb1EESW_IbLb0EEEEDaSS_ST_EUlSS_E_NS1_11comp_targetILNS1_3genE8ELNS1_11target_archE1030ELNS1_3gpuE2ELNS1_3repE0EEENS1_30default_config_static_selectorELNS0_4arch9wavefront6targetE1EEEvT1_ ; -- Begin function _ZN7rocprim17ROCPRIM_400000_NS6detail17trampoline_kernelINS0_14default_configENS1_20scan_config_selectorIdEEZZNS1_9scan_implILNS1_25lookback_scan_determinismE0ELb0ELb0ES3_N6thrust23THRUST_200600_302600_NS6detail15normal_iteratorINS9_10device_ptrIdEEEENS9_16discard_iteratorINS9_11use_defaultEEEdNS9_4plusIvEEdEEDaPvRmT3_T4_T5_mT6_P12ihipStream_tbENKUlT_T0_E_clISt17integral_constantIbLb1EESW_IbLb0EEEEDaSS_ST_EUlSS_E_NS1_11comp_targetILNS1_3genE8ELNS1_11target_archE1030ELNS1_3gpuE2ELNS1_3repE0EEENS1_30default_config_static_selectorELNS0_4arch9wavefront6targetE1EEEvT1_
	.globl	_ZN7rocprim17ROCPRIM_400000_NS6detail17trampoline_kernelINS0_14default_configENS1_20scan_config_selectorIdEEZZNS1_9scan_implILNS1_25lookback_scan_determinismE0ELb0ELb0ES3_N6thrust23THRUST_200600_302600_NS6detail15normal_iteratorINS9_10device_ptrIdEEEENS9_16discard_iteratorINS9_11use_defaultEEEdNS9_4plusIvEEdEEDaPvRmT3_T4_T5_mT6_P12ihipStream_tbENKUlT_T0_E_clISt17integral_constantIbLb1EESW_IbLb0EEEEDaSS_ST_EUlSS_E_NS1_11comp_targetILNS1_3genE8ELNS1_11target_archE1030ELNS1_3gpuE2ELNS1_3repE0EEENS1_30default_config_static_selectorELNS0_4arch9wavefront6targetE1EEEvT1_
	.p2align	8
	.type	_ZN7rocprim17ROCPRIM_400000_NS6detail17trampoline_kernelINS0_14default_configENS1_20scan_config_selectorIdEEZZNS1_9scan_implILNS1_25lookback_scan_determinismE0ELb0ELb0ES3_N6thrust23THRUST_200600_302600_NS6detail15normal_iteratorINS9_10device_ptrIdEEEENS9_16discard_iteratorINS9_11use_defaultEEEdNS9_4plusIvEEdEEDaPvRmT3_T4_T5_mT6_P12ihipStream_tbENKUlT_T0_E_clISt17integral_constantIbLb1EESW_IbLb0EEEEDaSS_ST_EUlSS_E_NS1_11comp_targetILNS1_3genE8ELNS1_11target_archE1030ELNS1_3gpuE2ELNS1_3repE0EEENS1_30default_config_static_selectorELNS0_4arch9wavefront6targetE1EEEvT1_,@function
_ZN7rocprim17ROCPRIM_400000_NS6detail17trampoline_kernelINS0_14default_configENS1_20scan_config_selectorIdEEZZNS1_9scan_implILNS1_25lookback_scan_determinismE0ELb0ELb0ES3_N6thrust23THRUST_200600_302600_NS6detail15normal_iteratorINS9_10device_ptrIdEEEENS9_16discard_iteratorINS9_11use_defaultEEEdNS9_4plusIvEEdEEDaPvRmT3_T4_T5_mT6_P12ihipStream_tbENKUlT_T0_E_clISt17integral_constantIbLb1EESW_IbLb0EEEEDaSS_ST_EUlSS_E_NS1_11comp_targetILNS1_3genE8ELNS1_11target_archE1030ELNS1_3gpuE2ELNS1_3repE0EEENS1_30default_config_static_selectorELNS0_4arch9wavefront6targetE1EEEvT1_: ; @_ZN7rocprim17ROCPRIM_400000_NS6detail17trampoline_kernelINS0_14default_configENS1_20scan_config_selectorIdEEZZNS1_9scan_implILNS1_25lookback_scan_determinismE0ELb0ELb0ES3_N6thrust23THRUST_200600_302600_NS6detail15normal_iteratorINS9_10device_ptrIdEEEENS9_16discard_iteratorINS9_11use_defaultEEEdNS9_4plusIvEEdEEDaPvRmT3_T4_T5_mT6_P12ihipStream_tbENKUlT_T0_E_clISt17integral_constantIbLb1EESW_IbLb0EEEEDaSS_ST_EUlSS_E_NS1_11comp_targetILNS1_3genE8ELNS1_11target_archE1030ELNS1_3gpuE2ELNS1_3repE0EEENS1_30default_config_static_selectorELNS0_4arch9wavefront6targetE1EEEvT1_
; %bb.0:
	.section	.rodata,"a",@progbits
	.p2align	6, 0x0
	.amdhsa_kernel _ZN7rocprim17ROCPRIM_400000_NS6detail17trampoline_kernelINS0_14default_configENS1_20scan_config_selectorIdEEZZNS1_9scan_implILNS1_25lookback_scan_determinismE0ELb0ELb0ES3_N6thrust23THRUST_200600_302600_NS6detail15normal_iteratorINS9_10device_ptrIdEEEENS9_16discard_iteratorINS9_11use_defaultEEEdNS9_4plusIvEEdEEDaPvRmT3_T4_T5_mT6_P12ihipStream_tbENKUlT_T0_E_clISt17integral_constantIbLb1EESW_IbLb0EEEEDaSS_ST_EUlSS_E_NS1_11comp_targetILNS1_3genE8ELNS1_11target_archE1030ELNS1_3gpuE2ELNS1_3repE0EEENS1_30default_config_static_selectorELNS0_4arch9wavefront6targetE1EEEvT1_
		.amdhsa_group_segment_fixed_size 0
		.amdhsa_private_segment_fixed_size 0
		.amdhsa_kernarg_size 112
		.amdhsa_user_sgpr_count 6
		.amdhsa_user_sgpr_private_segment_buffer 1
		.amdhsa_user_sgpr_dispatch_ptr 0
		.amdhsa_user_sgpr_queue_ptr 0
		.amdhsa_user_sgpr_kernarg_segment_ptr 1
		.amdhsa_user_sgpr_dispatch_id 0
		.amdhsa_user_sgpr_flat_scratch_init 0
		.amdhsa_user_sgpr_kernarg_preload_length 0
		.amdhsa_user_sgpr_kernarg_preload_offset 0
		.amdhsa_user_sgpr_private_segment_size 0
		.amdhsa_uses_dynamic_stack 0
		.amdhsa_system_sgpr_private_segment_wavefront_offset 0
		.amdhsa_system_sgpr_workgroup_id_x 1
		.amdhsa_system_sgpr_workgroup_id_y 0
		.amdhsa_system_sgpr_workgroup_id_z 0
		.amdhsa_system_sgpr_workgroup_info 0
		.amdhsa_system_vgpr_workitem_id 0
		.amdhsa_next_free_vgpr 1
		.amdhsa_next_free_sgpr 0
		.amdhsa_accum_offset 4
		.amdhsa_reserve_vcc 0
		.amdhsa_reserve_flat_scratch 0
		.amdhsa_float_round_mode_32 0
		.amdhsa_float_round_mode_16_64 0
		.amdhsa_float_denorm_mode_32 3
		.amdhsa_float_denorm_mode_16_64 3
		.amdhsa_dx10_clamp 1
		.amdhsa_ieee_mode 1
		.amdhsa_fp16_overflow 0
		.amdhsa_tg_split 0
		.amdhsa_exception_fp_ieee_invalid_op 0
		.amdhsa_exception_fp_denorm_src 0
		.amdhsa_exception_fp_ieee_div_zero 0
		.amdhsa_exception_fp_ieee_overflow 0
		.amdhsa_exception_fp_ieee_underflow 0
		.amdhsa_exception_fp_ieee_inexact 0
		.amdhsa_exception_int_div_zero 0
	.end_amdhsa_kernel
	.section	.text._ZN7rocprim17ROCPRIM_400000_NS6detail17trampoline_kernelINS0_14default_configENS1_20scan_config_selectorIdEEZZNS1_9scan_implILNS1_25lookback_scan_determinismE0ELb0ELb0ES3_N6thrust23THRUST_200600_302600_NS6detail15normal_iteratorINS9_10device_ptrIdEEEENS9_16discard_iteratorINS9_11use_defaultEEEdNS9_4plusIvEEdEEDaPvRmT3_T4_T5_mT6_P12ihipStream_tbENKUlT_T0_E_clISt17integral_constantIbLb1EESW_IbLb0EEEEDaSS_ST_EUlSS_E_NS1_11comp_targetILNS1_3genE8ELNS1_11target_archE1030ELNS1_3gpuE2ELNS1_3repE0EEENS1_30default_config_static_selectorELNS0_4arch9wavefront6targetE1EEEvT1_,"axG",@progbits,_ZN7rocprim17ROCPRIM_400000_NS6detail17trampoline_kernelINS0_14default_configENS1_20scan_config_selectorIdEEZZNS1_9scan_implILNS1_25lookback_scan_determinismE0ELb0ELb0ES3_N6thrust23THRUST_200600_302600_NS6detail15normal_iteratorINS9_10device_ptrIdEEEENS9_16discard_iteratorINS9_11use_defaultEEEdNS9_4plusIvEEdEEDaPvRmT3_T4_T5_mT6_P12ihipStream_tbENKUlT_T0_E_clISt17integral_constantIbLb1EESW_IbLb0EEEEDaSS_ST_EUlSS_E_NS1_11comp_targetILNS1_3genE8ELNS1_11target_archE1030ELNS1_3gpuE2ELNS1_3repE0EEENS1_30default_config_static_selectorELNS0_4arch9wavefront6targetE1EEEvT1_,comdat
.Lfunc_end4906:
	.size	_ZN7rocprim17ROCPRIM_400000_NS6detail17trampoline_kernelINS0_14default_configENS1_20scan_config_selectorIdEEZZNS1_9scan_implILNS1_25lookback_scan_determinismE0ELb0ELb0ES3_N6thrust23THRUST_200600_302600_NS6detail15normal_iteratorINS9_10device_ptrIdEEEENS9_16discard_iteratorINS9_11use_defaultEEEdNS9_4plusIvEEdEEDaPvRmT3_T4_T5_mT6_P12ihipStream_tbENKUlT_T0_E_clISt17integral_constantIbLb1EESW_IbLb0EEEEDaSS_ST_EUlSS_E_NS1_11comp_targetILNS1_3genE8ELNS1_11target_archE1030ELNS1_3gpuE2ELNS1_3repE0EEENS1_30default_config_static_selectorELNS0_4arch9wavefront6targetE1EEEvT1_, .Lfunc_end4906-_ZN7rocprim17ROCPRIM_400000_NS6detail17trampoline_kernelINS0_14default_configENS1_20scan_config_selectorIdEEZZNS1_9scan_implILNS1_25lookback_scan_determinismE0ELb0ELb0ES3_N6thrust23THRUST_200600_302600_NS6detail15normal_iteratorINS9_10device_ptrIdEEEENS9_16discard_iteratorINS9_11use_defaultEEEdNS9_4plusIvEEdEEDaPvRmT3_T4_T5_mT6_P12ihipStream_tbENKUlT_T0_E_clISt17integral_constantIbLb1EESW_IbLb0EEEEDaSS_ST_EUlSS_E_NS1_11comp_targetILNS1_3genE8ELNS1_11target_archE1030ELNS1_3gpuE2ELNS1_3repE0EEENS1_30default_config_static_selectorELNS0_4arch9wavefront6targetE1EEEvT1_
                                        ; -- End function
	.section	.AMDGPU.csdata,"",@progbits
; Kernel info:
; codeLenInByte = 0
; NumSgprs: 4
; NumVgprs: 0
; NumAgprs: 0
; TotalNumVgprs: 0
; ScratchSize: 0
; MemoryBound: 0
; FloatMode: 240
; IeeeMode: 1
; LDSByteSize: 0 bytes/workgroup (compile time only)
; SGPRBlocks: 0
; VGPRBlocks: 0
; NumSGPRsForWavesPerEU: 4
; NumVGPRsForWavesPerEU: 1
; AccumOffset: 4
; Occupancy: 8
; WaveLimiterHint : 0
; COMPUTE_PGM_RSRC2:SCRATCH_EN: 0
; COMPUTE_PGM_RSRC2:USER_SGPR: 6
; COMPUTE_PGM_RSRC2:TRAP_HANDLER: 0
; COMPUTE_PGM_RSRC2:TGID_X_EN: 1
; COMPUTE_PGM_RSRC2:TGID_Y_EN: 0
; COMPUTE_PGM_RSRC2:TGID_Z_EN: 0
; COMPUTE_PGM_RSRC2:TIDIG_COMP_CNT: 0
; COMPUTE_PGM_RSRC3_GFX90A:ACCUM_OFFSET: 0
; COMPUTE_PGM_RSRC3_GFX90A:TG_SPLIT: 0
	.section	.text._ZN7rocprim17ROCPRIM_400000_NS6detail17trampoline_kernelINS0_14default_configENS1_20scan_config_selectorIdEEZZNS1_9scan_implILNS1_25lookback_scan_determinismE0ELb0ELb0ES3_N6thrust23THRUST_200600_302600_NS6detail15normal_iteratorINS9_10device_ptrIdEEEENS9_16discard_iteratorINS9_11use_defaultEEEdNS9_4plusIvEEdEEDaPvRmT3_T4_T5_mT6_P12ihipStream_tbENKUlT_T0_E_clISt17integral_constantIbLb1EESW_IbLb0EEEEDaSS_ST_EUlSS_E0_NS1_11comp_targetILNS1_3genE0ELNS1_11target_archE4294967295ELNS1_3gpuE0ELNS1_3repE0EEENS1_30default_config_static_selectorELNS0_4arch9wavefront6targetE1EEEvT1_,"axG",@progbits,_ZN7rocprim17ROCPRIM_400000_NS6detail17trampoline_kernelINS0_14default_configENS1_20scan_config_selectorIdEEZZNS1_9scan_implILNS1_25lookback_scan_determinismE0ELb0ELb0ES3_N6thrust23THRUST_200600_302600_NS6detail15normal_iteratorINS9_10device_ptrIdEEEENS9_16discard_iteratorINS9_11use_defaultEEEdNS9_4plusIvEEdEEDaPvRmT3_T4_T5_mT6_P12ihipStream_tbENKUlT_T0_E_clISt17integral_constantIbLb1EESW_IbLb0EEEEDaSS_ST_EUlSS_E0_NS1_11comp_targetILNS1_3genE0ELNS1_11target_archE4294967295ELNS1_3gpuE0ELNS1_3repE0EEENS1_30default_config_static_selectorELNS0_4arch9wavefront6targetE1EEEvT1_,comdat
	.protected	_ZN7rocprim17ROCPRIM_400000_NS6detail17trampoline_kernelINS0_14default_configENS1_20scan_config_selectorIdEEZZNS1_9scan_implILNS1_25lookback_scan_determinismE0ELb0ELb0ES3_N6thrust23THRUST_200600_302600_NS6detail15normal_iteratorINS9_10device_ptrIdEEEENS9_16discard_iteratorINS9_11use_defaultEEEdNS9_4plusIvEEdEEDaPvRmT3_T4_T5_mT6_P12ihipStream_tbENKUlT_T0_E_clISt17integral_constantIbLb1EESW_IbLb0EEEEDaSS_ST_EUlSS_E0_NS1_11comp_targetILNS1_3genE0ELNS1_11target_archE4294967295ELNS1_3gpuE0ELNS1_3repE0EEENS1_30default_config_static_selectorELNS0_4arch9wavefront6targetE1EEEvT1_ ; -- Begin function _ZN7rocprim17ROCPRIM_400000_NS6detail17trampoline_kernelINS0_14default_configENS1_20scan_config_selectorIdEEZZNS1_9scan_implILNS1_25lookback_scan_determinismE0ELb0ELb0ES3_N6thrust23THRUST_200600_302600_NS6detail15normal_iteratorINS9_10device_ptrIdEEEENS9_16discard_iteratorINS9_11use_defaultEEEdNS9_4plusIvEEdEEDaPvRmT3_T4_T5_mT6_P12ihipStream_tbENKUlT_T0_E_clISt17integral_constantIbLb1EESW_IbLb0EEEEDaSS_ST_EUlSS_E0_NS1_11comp_targetILNS1_3genE0ELNS1_11target_archE4294967295ELNS1_3gpuE0ELNS1_3repE0EEENS1_30default_config_static_selectorELNS0_4arch9wavefront6targetE1EEEvT1_
	.globl	_ZN7rocprim17ROCPRIM_400000_NS6detail17trampoline_kernelINS0_14default_configENS1_20scan_config_selectorIdEEZZNS1_9scan_implILNS1_25lookback_scan_determinismE0ELb0ELb0ES3_N6thrust23THRUST_200600_302600_NS6detail15normal_iteratorINS9_10device_ptrIdEEEENS9_16discard_iteratorINS9_11use_defaultEEEdNS9_4plusIvEEdEEDaPvRmT3_T4_T5_mT6_P12ihipStream_tbENKUlT_T0_E_clISt17integral_constantIbLb1EESW_IbLb0EEEEDaSS_ST_EUlSS_E0_NS1_11comp_targetILNS1_3genE0ELNS1_11target_archE4294967295ELNS1_3gpuE0ELNS1_3repE0EEENS1_30default_config_static_selectorELNS0_4arch9wavefront6targetE1EEEvT1_
	.p2align	8
	.type	_ZN7rocprim17ROCPRIM_400000_NS6detail17trampoline_kernelINS0_14default_configENS1_20scan_config_selectorIdEEZZNS1_9scan_implILNS1_25lookback_scan_determinismE0ELb0ELb0ES3_N6thrust23THRUST_200600_302600_NS6detail15normal_iteratorINS9_10device_ptrIdEEEENS9_16discard_iteratorINS9_11use_defaultEEEdNS9_4plusIvEEdEEDaPvRmT3_T4_T5_mT6_P12ihipStream_tbENKUlT_T0_E_clISt17integral_constantIbLb1EESW_IbLb0EEEEDaSS_ST_EUlSS_E0_NS1_11comp_targetILNS1_3genE0ELNS1_11target_archE4294967295ELNS1_3gpuE0ELNS1_3repE0EEENS1_30default_config_static_selectorELNS0_4arch9wavefront6targetE1EEEvT1_,@function
_ZN7rocprim17ROCPRIM_400000_NS6detail17trampoline_kernelINS0_14default_configENS1_20scan_config_selectorIdEEZZNS1_9scan_implILNS1_25lookback_scan_determinismE0ELb0ELb0ES3_N6thrust23THRUST_200600_302600_NS6detail15normal_iteratorINS9_10device_ptrIdEEEENS9_16discard_iteratorINS9_11use_defaultEEEdNS9_4plusIvEEdEEDaPvRmT3_T4_T5_mT6_P12ihipStream_tbENKUlT_T0_E_clISt17integral_constantIbLb1EESW_IbLb0EEEEDaSS_ST_EUlSS_E0_NS1_11comp_targetILNS1_3genE0ELNS1_11target_archE4294967295ELNS1_3gpuE0ELNS1_3repE0EEENS1_30default_config_static_selectorELNS0_4arch9wavefront6targetE1EEEvT1_: ; @_ZN7rocprim17ROCPRIM_400000_NS6detail17trampoline_kernelINS0_14default_configENS1_20scan_config_selectorIdEEZZNS1_9scan_implILNS1_25lookback_scan_determinismE0ELb0ELb0ES3_N6thrust23THRUST_200600_302600_NS6detail15normal_iteratorINS9_10device_ptrIdEEEENS9_16discard_iteratorINS9_11use_defaultEEEdNS9_4plusIvEEdEEDaPvRmT3_T4_T5_mT6_P12ihipStream_tbENKUlT_T0_E_clISt17integral_constantIbLb1EESW_IbLb0EEEEDaSS_ST_EUlSS_E0_NS1_11comp_targetILNS1_3genE0ELNS1_11target_archE4294967295ELNS1_3gpuE0ELNS1_3repE0EEENS1_30default_config_static_selectorELNS0_4arch9wavefront6targetE1EEEvT1_
; %bb.0:
	.section	.rodata,"a",@progbits
	.p2align	6, 0x0
	.amdhsa_kernel _ZN7rocprim17ROCPRIM_400000_NS6detail17trampoline_kernelINS0_14default_configENS1_20scan_config_selectorIdEEZZNS1_9scan_implILNS1_25lookback_scan_determinismE0ELb0ELb0ES3_N6thrust23THRUST_200600_302600_NS6detail15normal_iteratorINS9_10device_ptrIdEEEENS9_16discard_iteratorINS9_11use_defaultEEEdNS9_4plusIvEEdEEDaPvRmT3_T4_T5_mT6_P12ihipStream_tbENKUlT_T0_E_clISt17integral_constantIbLb1EESW_IbLb0EEEEDaSS_ST_EUlSS_E0_NS1_11comp_targetILNS1_3genE0ELNS1_11target_archE4294967295ELNS1_3gpuE0ELNS1_3repE0EEENS1_30default_config_static_selectorELNS0_4arch9wavefront6targetE1EEEvT1_
		.amdhsa_group_segment_fixed_size 0
		.amdhsa_private_segment_fixed_size 0
		.amdhsa_kernarg_size 48
		.amdhsa_user_sgpr_count 6
		.amdhsa_user_sgpr_private_segment_buffer 1
		.amdhsa_user_sgpr_dispatch_ptr 0
		.amdhsa_user_sgpr_queue_ptr 0
		.amdhsa_user_sgpr_kernarg_segment_ptr 1
		.amdhsa_user_sgpr_dispatch_id 0
		.amdhsa_user_sgpr_flat_scratch_init 0
		.amdhsa_user_sgpr_kernarg_preload_length 0
		.amdhsa_user_sgpr_kernarg_preload_offset 0
		.amdhsa_user_sgpr_private_segment_size 0
		.amdhsa_uses_dynamic_stack 0
		.amdhsa_system_sgpr_private_segment_wavefront_offset 0
		.amdhsa_system_sgpr_workgroup_id_x 1
		.amdhsa_system_sgpr_workgroup_id_y 0
		.amdhsa_system_sgpr_workgroup_id_z 0
		.amdhsa_system_sgpr_workgroup_info 0
		.amdhsa_system_vgpr_workitem_id 0
		.amdhsa_next_free_vgpr 1
		.amdhsa_next_free_sgpr 0
		.amdhsa_accum_offset 4
		.amdhsa_reserve_vcc 0
		.amdhsa_reserve_flat_scratch 0
		.amdhsa_float_round_mode_32 0
		.amdhsa_float_round_mode_16_64 0
		.amdhsa_float_denorm_mode_32 3
		.amdhsa_float_denorm_mode_16_64 3
		.amdhsa_dx10_clamp 1
		.amdhsa_ieee_mode 1
		.amdhsa_fp16_overflow 0
		.amdhsa_tg_split 0
		.amdhsa_exception_fp_ieee_invalid_op 0
		.amdhsa_exception_fp_denorm_src 0
		.amdhsa_exception_fp_ieee_div_zero 0
		.amdhsa_exception_fp_ieee_overflow 0
		.amdhsa_exception_fp_ieee_underflow 0
		.amdhsa_exception_fp_ieee_inexact 0
		.amdhsa_exception_int_div_zero 0
	.end_amdhsa_kernel
	.section	.text._ZN7rocprim17ROCPRIM_400000_NS6detail17trampoline_kernelINS0_14default_configENS1_20scan_config_selectorIdEEZZNS1_9scan_implILNS1_25lookback_scan_determinismE0ELb0ELb0ES3_N6thrust23THRUST_200600_302600_NS6detail15normal_iteratorINS9_10device_ptrIdEEEENS9_16discard_iteratorINS9_11use_defaultEEEdNS9_4plusIvEEdEEDaPvRmT3_T4_T5_mT6_P12ihipStream_tbENKUlT_T0_E_clISt17integral_constantIbLb1EESW_IbLb0EEEEDaSS_ST_EUlSS_E0_NS1_11comp_targetILNS1_3genE0ELNS1_11target_archE4294967295ELNS1_3gpuE0ELNS1_3repE0EEENS1_30default_config_static_selectorELNS0_4arch9wavefront6targetE1EEEvT1_,"axG",@progbits,_ZN7rocprim17ROCPRIM_400000_NS6detail17trampoline_kernelINS0_14default_configENS1_20scan_config_selectorIdEEZZNS1_9scan_implILNS1_25lookback_scan_determinismE0ELb0ELb0ES3_N6thrust23THRUST_200600_302600_NS6detail15normal_iteratorINS9_10device_ptrIdEEEENS9_16discard_iteratorINS9_11use_defaultEEEdNS9_4plusIvEEdEEDaPvRmT3_T4_T5_mT6_P12ihipStream_tbENKUlT_T0_E_clISt17integral_constantIbLb1EESW_IbLb0EEEEDaSS_ST_EUlSS_E0_NS1_11comp_targetILNS1_3genE0ELNS1_11target_archE4294967295ELNS1_3gpuE0ELNS1_3repE0EEENS1_30default_config_static_selectorELNS0_4arch9wavefront6targetE1EEEvT1_,comdat
.Lfunc_end4907:
	.size	_ZN7rocprim17ROCPRIM_400000_NS6detail17trampoline_kernelINS0_14default_configENS1_20scan_config_selectorIdEEZZNS1_9scan_implILNS1_25lookback_scan_determinismE0ELb0ELb0ES3_N6thrust23THRUST_200600_302600_NS6detail15normal_iteratorINS9_10device_ptrIdEEEENS9_16discard_iteratorINS9_11use_defaultEEEdNS9_4plusIvEEdEEDaPvRmT3_T4_T5_mT6_P12ihipStream_tbENKUlT_T0_E_clISt17integral_constantIbLb1EESW_IbLb0EEEEDaSS_ST_EUlSS_E0_NS1_11comp_targetILNS1_3genE0ELNS1_11target_archE4294967295ELNS1_3gpuE0ELNS1_3repE0EEENS1_30default_config_static_selectorELNS0_4arch9wavefront6targetE1EEEvT1_, .Lfunc_end4907-_ZN7rocprim17ROCPRIM_400000_NS6detail17trampoline_kernelINS0_14default_configENS1_20scan_config_selectorIdEEZZNS1_9scan_implILNS1_25lookback_scan_determinismE0ELb0ELb0ES3_N6thrust23THRUST_200600_302600_NS6detail15normal_iteratorINS9_10device_ptrIdEEEENS9_16discard_iteratorINS9_11use_defaultEEEdNS9_4plusIvEEdEEDaPvRmT3_T4_T5_mT6_P12ihipStream_tbENKUlT_T0_E_clISt17integral_constantIbLb1EESW_IbLb0EEEEDaSS_ST_EUlSS_E0_NS1_11comp_targetILNS1_3genE0ELNS1_11target_archE4294967295ELNS1_3gpuE0ELNS1_3repE0EEENS1_30default_config_static_selectorELNS0_4arch9wavefront6targetE1EEEvT1_
                                        ; -- End function
	.section	.AMDGPU.csdata,"",@progbits
; Kernel info:
; codeLenInByte = 0
; NumSgprs: 4
; NumVgprs: 0
; NumAgprs: 0
; TotalNumVgprs: 0
; ScratchSize: 0
; MemoryBound: 0
; FloatMode: 240
; IeeeMode: 1
; LDSByteSize: 0 bytes/workgroup (compile time only)
; SGPRBlocks: 0
; VGPRBlocks: 0
; NumSGPRsForWavesPerEU: 4
; NumVGPRsForWavesPerEU: 1
; AccumOffset: 4
; Occupancy: 8
; WaveLimiterHint : 0
; COMPUTE_PGM_RSRC2:SCRATCH_EN: 0
; COMPUTE_PGM_RSRC2:USER_SGPR: 6
; COMPUTE_PGM_RSRC2:TRAP_HANDLER: 0
; COMPUTE_PGM_RSRC2:TGID_X_EN: 1
; COMPUTE_PGM_RSRC2:TGID_Y_EN: 0
; COMPUTE_PGM_RSRC2:TGID_Z_EN: 0
; COMPUTE_PGM_RSRC2:TIDIG_COMP_CNT: 0
; COMPUTE_PGM_RSRC3_GFX90A:ACCUM_OFFSET: 0
; COMPUTE_PGM_RSRC3_GFX90A:TG_SPLIT: 0
	.section	.text._ZN7rocprim17ROCPRIM_400000_NS6detail17trampoline_kernelINS0_14default_configENS1_20scan_config_selectorIdEEZZNS1_9scan_implILNS1_25lookback_scan_determinismE0ELb0ELb0ES3_N6thrust23THRUST_200600_302600_NS6detail15normal_iteratorINS9_10device_ptrIdEEEENS9_16discard_iteratorINS9_11use_defaultEEEdNS9_4plusIvEEdEEDaPvRmT3_T4_T5_mT6_P12ihipStream_tbENKUlT_T0_E_clISt17integral_constantIbLb1EESW_IbLb0EEEEDaSS_ST_EUlSS_E0_NS1_11comp_targetILNS1_3genE5ELNS1_11target_archE942ELNS1_3gpuE9ELNS1_3repE0EEENS1_30default_config_static_selectorELNS0_4arch9wavefront6targetE1EEEvT1_,"axG",@progbits,_ZN7rocprim17ROCPRIM_400000_NS6detail17trampoline_kernelINS0_14default_configENS1_20scan_config_selectorIdEEZZNS1_9scan_implILNS1_25lookback_scan_determinismE0ELb0ELb0ES3_N6thrust23THRUST_200600_302600_NS6detail15normal_iteratorINS9_10device_ptrIdEEEENS9_16discard_iteratorINS9_11use_defaultEEEdNS9_4plusIvEEdEEDaPvRmT3_T4_T5_mT6_P12ihipStream_tbENKUlT_T0_E_clISt17integral_constantIbLb1EESW_IbLb0EEEEDaSS_ST_EUlSS_E0_NS1_11comp_targetILNS1_3genE5ELNS1_11target_archE942ELNS1_3gpuE9ELNS1_3repE0EEENS1_30default_config_static_selectorELNS0_4arch9wavefront6targetE1EEEvT1_,comdat
	.protected	_ZN7rocprim17ROCPRIM_400000_NS6detail17trampoline_kernelINS0_14default_configENS1_20scan_config_selectorIdEEZZNS1_9scan_implILNS1_25lookback_scan_determinismE0ELb0ELb0ES3_N6thrust23THRUST_200600_302600_NS6detail15normal_iteratorINS9_10device_ptrIdEEEENS9_16discard_iteratorINS9_11use_defaultEEEdNS9_4plusIvEEdEEDaPvRmT3_T4_T5_mT6_P12ihipStream_tbENKUlT_T0_E_clISt17integral_constantIbLb1EESW_IbLb0EEEEDaSS_ST_EUlSS_E0_NS1_11comp_targetILNS1_3genE5ELNS1_11target_archE942ELNS1_3gpuE9ELNS1_3repE0EEENS1_30default_config_static_selectorELNS0_4arch9wavefront6targetE1EEEvT1_ ; -- Begin function _ZN7rocprim17ROCPRIM_400000_NS6detail17trampoline_kernelINS0_14default_configENS1_20scan_config_selectorIdEEZZNS1_9scan_implILNS1_25lookback_scan_determinismE0ELb0ELb0ES3_N6thrust23THRUST_200600_302600_NS6detail15normal_iteratorINS9_10device_ptrIdEEEENS9_16discard_iteratorINS9_11use_defaultEEEdNS9_4plusIvEEdEEDaPvRmT3_T4_T5_mT6_P12ihipStream_tbENKUlT_T0_E_clISt17integral_constantIbLb1EESW_IbLb0EEEEDaSS_ST_EUlSS_E0_NS1_11comp_targetILNS1_3genE5ELNS1_11target_archE942ELNS1_3gpuE9ELNS1_3repE0EEENS1_30default_config_static_selectorELNS0_4arch9wavefront6targetE1EEEvT1_
	.globl	_ZN7rocprim17ROCPRIM_400000_NS6detail17trampoline_kernelINS0_14default_configENS1_20scan_config_selectorIdEEZZNS1_9scan_implILNS1_25lookback_scan_determinismE0ELb0ELb0ES3_N6thrust23THRUST_200600_302600_NS6detail15normal_iteratorINS9_10device_ptrIdEEEENS9_16discard_iteratorINS9_11use_defaultEEEdNS9_4plusIvEEdEEDaPvRmT3_T4_T5_mT6_P12ihipStream_tbENKUlT_T0_E_clISt17integral_constantIbLb1EESW_IbLb0EEEEDaSS_ST_EUlSS_E0_NS1_11comp_targetILNS1_3genE5ELNS1_11target_archE942ELNS1_3gpuE9ELNS1_3repE0EEENS1_30default_config_static_selectorELNS0_4arch9wavefront6targetE1EEEvT1_
	.p2align	8
	.type	_ZN7rocprim17ROCPRIM_400000_NS6detail17trampoline_kernelINS0_14default_configENS1_20scan_config_selectorIdEEZZNS1_9scan_implILNS1_25lookback_scan_determinismE0ELb0ELb0ES3_N6thrust23THRUST_200600_302600_NS6detail15normal_iteratorINS9_10device_ptrIdEEEENS9_16discard_iteratorINS9_11use_defaultEEEdNS9_4plusIvEEdEEDaPvRmT3_T4_T5_mT6_P12ihipStream_tbENKUlT_T0_E_clISt17integral_constantIbLb1EESW_IbLb0EEEEDaSS_ST_EUlSS_E0_NS1_11comp_targetILNS1_3genE5ELNS1_11target_archE942ELNS1_3gpuE9ELNS1_3repE0EEENS1_30default_config_static_selectorELNS0_4arch9wavefront6targetE1EEEvT1_,@function
_ZN7rocprim17ROCPRIM_400000_NS6detail17trampoline_kernelINS0_14default_configENS1_20scan_config_selectorIdEEZZNS1_9scan_implILNS1_25lookback_scan_determinismE0ELb0ELb0ES3_N6thrust23THRUST_200600_302600_NS6detail15normal_iteratorINS9_10device_ptrIdEEEENS9_16discard_iteratorINS9_11use_defaultEEEdNS9_4plusIvEEdEEDaPvRmT3_T4_T5_mT6_P12ihipStream_tbENKUlT_T0_E_clISt17integral_constantIbLb1EESW_IbLb0EEEEDaSS_ST_EUlSS_E0_NS1_11comp_targetILNS1_3genE5ELNS1_11target_archE942ELNS1_3gpuE9ELNS1_3repE0EEENS1_30default_config_static_selectorELNS0_4arch9wavefront6targetE1EEEvT1_: ; @_ZN7rocprim17ROCPRIM_400000_NS6detail17trampoline_kernelINS0_14default_configENS1_20scan_config_selectorIdEEZZNS1_9scan_implILNS1_25lookback_scan_determinismE0ELb0ELb0ES3_N6thrust23THRUST_200600_302600_NS6detail15normal_iteratorINS9_10device_ptrIdEEEENS9_16discard_iteratorINS9_11use_defaultEEEdNS9_4plusIvEEdEEDaPvRmT3_T4_T5_mT6_P12ihipStream_tbENKUlT_T0_E_clISt17integral_constantIbLb1EESW_IbLb0EEEEDaSS_ST_EUlSS_E0_NS1_11comp_targetILNS1_3genE5ELNS1_11target_archE942ELNS1_3gpuE9ELNS1_3repE0EEENS1_30default_config_static_selectorELNS0_4arch9wavefront6targetE1EEEvT1_
; %bb.0:
	.section	.rodata,"a",@progbits
	.p2align	6, 0x0
	.amdhsa_kernel _ZN7rocprim17ROCPRIM_400000_NS6detail17trampoline_kernelINS0_14default_configENS1_20scan_config_selectorIdEEZZNS1_9scan_implILNS1_25lookback_scan_determinismE0ELb0ELb0ES3_N6thrust23THRUST_200600_302600_NS6detail15normal_iteratorINS9_10device_ptrIdEEEENS9_16discard_iteratorINS9_11use_defaultEEEdNS9_4plusIvEEdEEDaPvRmT3_T4_T5_mT6_P12ihipStream_tbENKUlT_T0_E_clISt17integral_constantIbLb1EESW_IbLb0EEEEDaSS_ST_EUlSS_E0_NS1_11comp_targetILNS1_3genE5ELNS1_11target_archE942ELNS1_3gpuE9ELNS1_3repE0EEENS1_30default_config_static_selectorELNS0_4arch9wavefront6targetE1EEEvT1_
		.amdhsa_group_segment_fixed_size 0
		.amdhsa_private_segment_fixed_size 0
		.amdhsa_kernarg_size 48
		.amdhsa_user_sgpr_count 6
		.amdhsa_user_sgpr_private_segment_buffer 1
		.amdhsa_user_sgpr_dispatch_ptr 0
		.amdhsa_user_sgpr_queue_ptr 0
		.amdhsa_user_sgpr_kernarg_segment_ptr 1
		.amdhsa_user_sgpr_dispatch_id 0
		.amdhsa_user_sgpr_flat_scratch_init 0
		.amdhsa_user_sgpr_kernarg_preload_length 0
		.amdhsa_user_sgpr_kernarg_preload_offset 0
		.amdhsa_user_sgpr_private_segment_size 0
		.amdhsa_uses_dynamic_stack 0
		.amdhsa_system_sgpr_private_segment_wavefront_offset 0
		.amdhsa_system_sgpr_workgroup_id_x 1
		.amdhsa_system_sgpr_workgroup_id_y 0
		.amdhsa_system_sgpr_workgroup_id_z 0
		.amdhsa_system_sgpr_workgroup_info 0
		.amdhsa_system_vgpr_workitem_id 0
		.amdhsa_next_free_vgpr 1
		.amdhsa_next_free_sgpr 0
		.amdhsa_accum_offset 4
		.amdhsa_reserve_vcc 0
		.amdhsa_reserve_flat_scratch 0
		.amdhsa_float_round_mode_32 0
		.amdhsa_float_round_mode_16_64 0
		.amdhsa_float_denorm_mode_32 3
		.amdhsa_float_denorm_mode_16_64 3
		.amdhsa_dx10_clamp 1
		.amdhsa_ieee_mode 1
		.amdhsa_fp16_overflow 0
		.amdhsa_tg_split 0
		.amdhsa_exception_fp_ieee_invalid_op 0
		.amdhsa_exception_fp_denorm_src 0
		.amdhsa_exception_fp_ieee_div_zero 0
		.amdhsa_exception_fp_ieee_overflow 0
		.amdhsa_exception_fp_ieee_underflow 0
		.amdhsa_exception_fp_ieee_inexact 0
		.amdhsa_exception_int_div_zero 0
	.end_amdhsa_kernel
	.section	.text._ZN7rocprim17ROCPRIM_400000_NS6detail17trampoline_kernelINS0_14default_configENS1_20scan_config_selectorIdEEZZNS1_9scan_implILNS1_25lookback_scan_determinismE0ELb0ELb0ES3_N6thrust23THRUST_200600_302600_NS6detail15normal_iteratorINS9_10device_ptrIdEEEENS9_16discard_iteratorINS9_11use_defaultEEEdNS9_4plusIvEEdEEDaPvRmT3_T4_T5_mT6_P12ihipStream_tbENKUlT_T0_E_clISt17integral_constantIbLb1EESW_IbLb0EEEEDaSS_ST_EUlSS_E0_NS1_11comp_targetILNS1_3genE5ELNS1_11target_archE942ELNS1_3gpuE9ELNS1_3repE0EEENS1_30default_config_static_selectorELNS0_4arch9wavefront6targetE1EEEvT1_,"axG",@progbits,_ZN7rocprim17ROCPRIM_400000_NS6detail17trampoline_kernelINS0_14default_configENS1_20scan_config_selectorIdEEZZNS1_9scan_implILNS1_25lookback_scan_determinismE0ELb0ELb0ES3_N6thrust23THRUST_200600_302600_NS6detail15normal_iteratorINS9_10device_ptrIdEEEENS9_16discard_iteratorINS9_11use_defaultEEEdNS9_4plusIvEEdEEDaPvRmT3_T4_T5_mT6_P12ihipStream_tbENKUlT_T0_E_clISt17integral_constantIbLb1EESW_IbLb0EEEEDaSS_ST_EUlSS_E0_NS1_11comp_targetILNS1_3genE5ELNS1_11target_archE942ELNS1_3gpuE9ELNS1_3repE0EEENS1_30default_config_static_selectorELNS0_4arch9wavefront6targetE1EEEvT1_,comdat
.Lfunc_end4908:
	.size	_ZN7rocprim17ROCPRIM_400000_NS6detail17trampoline_kernelINS0_14default_configENS1_20scan_config_selectorIdEEZZNS1_9scan_implILNS1_25lookback_scan_determinismE0ELb0ELb0ES3_N6thrust23THRUST_200600_302600_NS6detail15normal_iteratorINS9_10device_ptrIdEEEENS9_16discard_iteratorINS9_11use_defaultEEEdNS9_4plusIvEEdEEDaPvRmT3_T4_T5_mT6_P12ihipStream_tbENKUlT_T0_E_clISt17integral_constantIbLb1EESW_IbLb0EEEEDaSS_ST_EUlSS_E0_NS1_11comp_targetILNS1_3genE5ELNS1_11target_archE942ELNS1_3gpuE9ELNS1_3repE0EEENS1_30default_config_static_selectorELNS0_4arch9wavefront6targetE1EEEvT1_, .Lfunc_end4908-_ZN7rocprim17ROCPRIM_400000_NS6detail17trampoline_kernelINS0_14default_configENS1_20scan_config_selectorIdEEZZNS1_9scan_implILNS1_25lookback_scan_determinismE0ELb0ELb0ES3_N6thrust23THRUST_200600_302600_NS6detail15normal_iteratorINS9_10device_ptrIdEEEENS9_16discard_iteratorINS9_11use_defaultEEEdNS9_4plusIvEEdEEDaPvRmT3_T4_T5_mT6_P12ihipStream_tbENKUlT_T0_E_clISt17integral_constantIbLb1EESW_IbLb0EEEEDaSS_ST_EUlSS_E0_NS1_11comp_targetILNS1_3genE5ELNS1_11target_archE942ELNS1_3gpuE9ELNS1_3repE0EEENS1_30default_config_static_selectorELNS0_4arch9wavefront6targetE1EEEvT1_
                                        ; -- End function
	.section	.AMDGPU.csdata,"",@progbits
; Kernel info:
; codeLenInByte = 0
; NumSgprs: 4
; NumVgprs: 0
; NumAgprs: 0
; TotalNumVgprs: 0
; ScratchSize: 0
; MemoryBound: 0
; FloatMode: 240
; IeeeMode: 1
; LDSByteSize: 0 bytes/workgroup (compile time only)
; SGPRBlocks: 0
; VGPRBlocks: 0
; NumSGPRsForWavesPerEU: 4
; NumVGPRsForWavesPerEU: 1
; AccumOffset: 4
; Occupancy: 8
; WaveLimiterHint : 0
; COMPUTE_PGM_RSRC2:SCRATCH_EN: 0
; COMPUTE_PGM_RSRC2:USER_SGPR: 6
; COMPUTE_PGM_RSRC2:TRAP_HANDLER: 0
; COMPUTE_PGM_RSRC2:TGID_X_EN: 1
; COMPUTE_PGM_RSRC2:TGID_Y_EN: 0
; COMPUTE_PGM_RSRC2:TGID_Z_EN: 0
; COMPUTE_PGM_RSRC2:TIDIG_COMP_CNT: 0
; COMPUTE_PGM_RSRC3_GFX90A:ACCUM_OFFSET: 0
; COMPUTE_PGM_RSRC3_GFX90A:TG_SPLIT: 0
	.section	.text._ZN7rocprim17ROCPRIM_400000_NS6detail17trampoline_kernelINS0_14default_configENS1_20scan_config_selectorIdEEZZNS1_9scan_implILNS1_25lookback_scan_determinismE0ELb0ELb0ES3_N6thrust23THRUST_200600_302600_NS6detail15normal_iteratorINS9_10device_ptrIdEEEENS9_16discard_iteratorINS9_11use_defaultEEEdNS9_4plusIvEEdEEDaPvRmT3_T4_T5_mT6_P12ihipStream_tbENKUlT_T0_E_clISt17integral_constantIbLb1EESW_IbLb0EEEEDaSS_ST_EUlSS_E0_NS1_11comp_targetILNS1_3genE4ELNS1_11target_archE910ELNS1_3gpuE8ELNS1_3repE0EEENS1_30default_config_static_selectorELNS0_4arch9wavefront6targetE1EEEvT1_,"axG",@progbits,_ZN7rocprim17ROCPRIM_400000_NS6detail17trampoline_kernelINS0_14default_configENS1_20scan_config_selectorIdEEZZNS1_9scan_implILNS1_25lookback_scan_determinismE0ELb0ELb0ES3_N6thrust23THRUST_200600_302600_NS6detail15normal_iteratorINS9_10device_ptrIdEEEENS9_16discard_iteratorINS9_11use_defaultEEEdNS9_4plusIvEEdEEDaPvRmT3_T4_T5_mT6_P12ihipStream_tbENKUlT_T0_E_clISt17integral_constantIbLb1EESW_IbLb0EEEEDaSS_ST_EUlSS_E0_NS1_11comp_targetILNS1_3genE4ELNS1_11target_archE910ELNS1_3gpuE8ELNS1_3repE0EEENS1_30default_config_static_selectorELNS0_4arch9wavefront6targetE1EEEvT1_,comdat
	.protected	_ZN7rocprim17ROCPRIM_400000_NS6detail17trampoline_kernelINS0_14default_configENS1_20scan_config_selectorIdEEZZNS1_9scan_implILNS1_25lookback_scan_determinismE0ELb0ELb0ES3_N6thrust23THRUST_200600_302600_NS6detail15normal_iteratorINS9_10device_ptrIdEEEENS9_16discard_iteratorINS9_11use_defaultEEEdNS9_4plusIvEEdEEDaPvRmT3_T4_T5_mT6_P12ihipStream_tbENKUlT_T0_E_clISt17integral_constantIbLb1EESW_IbLb0EEEEDaSS_ST_EUlSS_E0_NS1_11comp_targetILNS1_3genE4ELNS1_11target_archE910ELNS1_3gpuE8ELNS1_3repE0EEENS1_30default_config_static_selectorELNS0_4arch9wavefront6targetE1EEEvT1_ ; -- Begin function _ZN7rocprim17ROCPRIM_400000_NS6detail17trampoline_kernelINS0_14default_configENS1_20scan_config_selectorIdEEZZNS1_9scan_implILNS1_25lookback_scan_determinismE0ELb0ELb0ES3_N6thrust23THRUST_200600_302600_NS6detail15normal_iteratorINS9_10device_ptrIdEEEENS9_16discard_iteratorINS9_11use_defaultEEEdNS9_4plusIvEEdEEDaPvRmT3_T4_T5_mT6_P12ihipStream_tbENKUlT_T0_E_clISt17integral_constantIbLb1EESW_IbLb0EEEEDaSS_ST_EUlSS_E0_NS1_11comp_targetILNS1_3genE4ELNS1_11target_archE910ELNS1_3gpuE8ELNS1_3repE0EEENS1_30default_config_static_selectorELNS0_4arch9wavefront6targetE1EEEvT1_
	.globl	_ZN7rocprim17ROCPRIM_400000_NS6detail17trampoline_kernelINS0_14default_configENS1_20scan_config_selectorIdEEZZNS1_9scan_implILNS1_25lookback_scan_determinismE0ELb0ELb0ES3_N6thrust23THRUST_200600_302600_NS6detail15normal_iteratorINS9_10device_ptrIdEEEENS9_16discard_iteratorINS9_11use_defaultEEEdNS9_4plusIvEEdEEDaPvRmT3_T4_T5_mT6_P12ihipStream_tbENKUlT_T0_E_clISt17integral_constantIbLb1EESW_IbLb0EEEEDaSS_ST_EUlSS_E0_NS1_11comp_targetILNS1_3genE4ELNS1_11target_archE910ELNS1_3gpuE8ELNS1_3repE0EEENS1_30default_config_static_selectorELNS0_4arch9wavefront6targetE1EEEvT1_
	.p2align	8
	.type	_ZN7rocprim17ROCPRIM_400000_NS6detail17trampoline_kernelINS0_14default_configENS1_20scan_config_selectorIdEEZZNS1_9scan_implILNS1_25lookback_scan_determinismE0ELb0ELb0ES3_N6thrust23THRUST_200600_302600_NS6detail15normal_iteratorINS9_10device_ptrIdEEEENS9_16discard_iteratorINS9_11use_defaultEEEdNS9_4plusIvEEdEEDaPvRmT3_T4_T5_mT6_P12ihipStream_tbENKUlT_T0_E_clISt17integral_constantIbLb1EESW_IbLb0EEEEDaSS_ST_EUlSS_E0_NS1_11comp_targetILNS1_3genE4ELNS1_11target_archE910ELNS1_3gpuE8ELNS1_3repE0EEENS1_30default_config_static_selectorELNS0_4arch9wavefront6targetE1EEEvT1_,@function
_ZN7rocprim17ROCPRIM_400000_NS6detail17trampoline_kernelINS0_14default_configENS1_20scan_config_selectorIdEEZZNS1_9scan_implILNS1_25lookback_scan_determinismE0ELb0ELb0ES3_N6thrust23THRUST_200600_302600_NS6detail15normal_iteratorINS9_10device_ptrIdEEEENS9_16discard_iteratorINS9_11use_defaultEEEdNS9_4plusIvEEdEEDaPvRmT3_T4_T5_mT6_P12ihipStream_tbENKUlT_T0_E_clISt17integral_constantIbLb1EESW_IbLb0EEEEDaSS_ST_EUlSS_E0_NS1_11comp_targetILNS1_3genE4ELNS1_11target_archE910ELNS1_3gpuE8ELNS1_3repE0EEENS1_30default_config_static_selectorELNS0_4arch9wavefront6targetE1EEEvT1_: ; @_ZN7rocprim17ROCPRIM_400000_NS6detail17trampoline_kernelINS0_14default_configENS1_20scan_config_selectorIdEEZZNS1_9scan_implILNS1_25lookback_scan_determinismE0ELb0ELb0ES3_N6thrust23THRUST_200600_302600_NS6detail15normal_iteratorINS9_10device_ptrIdEEEENS9_16discard_iteratorINS9_11use_defaultEEEdNS9_4plusIvEEdEEDaPvRmT3_T4_T5_mT6_P12ihipStream_tbENKUlT_T0_E_clISt17integral_constantIbLb1EESW_IbLb0EEEEDaSS_ST_EUlSS_E0_NS1_11comp_targetILNS1_3genE4ELNS1_11target_archE910ELNS1_3gpuE8ELNS1_3repE0EEENS1_30default_config_static_selectorELNS0_4arch9wavefront6targetE1EEEvT1_
; %bb.0:
	s_load_dwordx4 s[0:3], s[4:5], 0x0
	v_lshlrev_b32_e32 v1, 3, v0
	s_waitcnt lgkmcnt(0)
	s_load_dwordx2 s[4:5], s[0:1], 0x0
	v_cmp_gt_u32_e32 vcc, s2, v0
	s_waitcnt lgkmcnt(0)
	v_pk_mov_b32 v[2:3], s[4:5], s[4:5] op_sel:[0,1]
	s_and_saveexec_b64 s[6:7], vcc
	s_cbranch_execz .LBB4909_2
; %bb.1:
	global_load_dwordx2 v[2:3], v1, s[0:1]
.LBB4909_2:
	s_or_b64 exec, exec, s[6:7]
	v_or_b32_e32 v4, 0x80, v0
	v_cmp_gt_u32_e32 vcc, s2, v4
	v_pk_mov_b32 v[4:5], s[4:5], s[4:5] op_sel:[0,1]
	s_and_saveexec_b64 s[6:7], vcc
	s_cbranch_execz .LBB4909_4
; %bb.3:
	global_load_dwordx2 v[4:5], v1, s[0:1] offset:1024
.LBB4909_4:
	s_or_b64 exec, exec, s[6:7]
	v_or_b32_e32 v6, 0x100, v0
	v_cmp_gt_u32_e32 vcc, s2, v6
	v_pk_mov_b32 v[6:7], s[4:5], s[4:5] op_sel:[0,1]
	s_and_saveexec_b64 s[6:7], vcc
	s_cbranch_execz .LBB4909_6
; %bb.5:
	global_load_dwordx2 v[6:7], v1, s[0:1] offset:2048
.LBB4909_6:
	;; [unrolled: 9-line block ×3, first 2 shown]
	s_or_b64 exec, exec, s[6:7]
	v_or_b32_e32 v12, 0x200, v0
	v_cmp_gt_u32_e32 vcc, s2, v12
	v_pk_mov_b32 v[10:11], s[4:5], s[4:5] op_sel:[0,1]
	s_and_saveexec_b64 s[6:7], vcc
	s_cbranch_execz .LBB4909_10
; %bb.9:
	v_lshlrev_b32_e32 v10, 3, v12
	global_load_dwordx2 v[10:11], v10, s[0:1]
.LBB4909_10:
	s_or_b64 exec, exec, s[6:7]
	v_or_b32_e32 v14, 0x280, v0
	v_cmp_gt_u32_e32 vcc, s2, v14
	v_pk_mov_b32 v[12:13], s[4:5], s[4:5] op_sel:[0,1]
	s_and_saveexec_b64 s[6:7], vcc
	s_cbranch_execz .LBB4909_12
; %bb.11:
	v_lshlrev_b32_e32 v12, 3, v14
	global_load_dwordx2 v[12:13], v12, s[0:1]
.LBB4909_12:
	;; [unrolled: 10-line block ×6, first 2 shown]
	s_or_b64 exec, exec, s[2:3]
	s_movk_i32 s0, 0x48
	s_waitcnt vmcnt(0)
	ds_write2st64_b64 v1, v[2:3], v[4:5] offset1:2
	ds_write2st64_b64 v1, v[6:7], v[8:9] offset0:4 offset1:6
	ds_write2st64_b64 v1, v[10:11], v[12:13] offset0:8 offset1:10
	;; [unrolled: 1-line block ×4, first 2 shown]
	v_mad_u32_u24 v6, v0, s0, v1
	s_waitcnt lgkmcnt(0)
	s_barrier
	ds_read_b128 v[2:5], v6
	ds_read_b128 v[22:25], v6 offset:16
	ds_read_b128 v[18:21], v6 offset:32
	;; [unrolled: 1-line block ×4, first 2 shown]
	s_waitcnt lgkmcnt(4)
	v_add_f64 v[38:39], v[2:3], v[4:5]
	s_waitcnt lgkmcnt(3)
	v_add_f64 v[30:31], v[38:39], v[22:23]
	v_add_f64 v[32:33], v[30:31], v[24:25]
	s_waitcnt lgkmcnt(2)
	v_add_f64 v[26:27], v[32:33], v[18:19]
	;; [unrolled: 3-line block ×4, first 2 shown]
	v_mbcnt_lo_u32_b32 v40, -1, 0
	v_add_f64 v[8:9], v[6:7], v[36:37]
	v_mbcnt_hi_u32_b32 v48, -1, v40
	v_and_b32_e32 v44, 15, v48
	v_mov_b32_dpp v40, v8 row_shr:1 row_mask:0xf bank_mask:0xf
	v_mov_b32_dpp v41, v9 row_shr:1 row_mask:0xf bank_mask:0xf
	v_add_f64 v[40:41], v[8:9], v[40:41]
	v_cmp_eq_u32_e32 vcc, 0, v44
	v_cndmask_b32_e32 v40, v40, v8, vcc
	v_cndmask_b32_e32 v41, v41, v9, vcc
	v_cmp_lt_u32_e32 vcc, 1, v44
	v_mov_b32_dpp v42, v40 row_shr:2 row_mask:0xf bank_mask:0xf
	v_mov_b32_dpp v43, v41 row_shr:2 row_mask:0xf bank_mask:0xf
	v_add_f64 v[42:43], v[40:41], v[42:43]
	v_cndmask_b32_e32 v40, v40, v42, vcc
	v_cndmask_b32_e32 v41, v41, v43, vcc
	v_cmp_lt_u32_e32 vcc, 3, v44
	v_mov_b32_dpp v42, v40 row_shr:4 row_mask:0xf bank_mask:0xf
	v_mov_b32_dpp v43, v41 row_shr:4 row_mask:0xf bank_mask:0xf
	v_add_f64 v[42:43], v[40:41], v[42:43]
	;; [unrolled: 6-line block ×3, first 2 shown]
	v_cndmask_b32_e32 v42, v40, v42, vcc
	v_cndmask_b32_e32 v43, v41, v43, vcc
	v_and_b32_e32 v44, 16, v48
	v_mov_b32_dpp v40, v42 row_bcast:15 row_mask:0xf bank_mask:0xf
	v_mov_b32_dpp v41, v43 row_bcast:15 row_mask:0xf bank_mask:0xf
	v_add_f64 v[46:47], v[42:43], v[40:41]
	v_cmp_eq_u32_e64 s[0:1], 0, v44
	v_cndmask_b32_e64 v40, v47, v43, s[0:1]
	v_cndmask_b32_e64 v41, v46, v42, s[0:1]
	v_cmp_eq_u32_e32 vcc, 0, v48
	v_mov_b32_dpp v45, v40 row_bcast:31 row_mask:0xf bank_mask:0xf
	v_mov_b32_dpp v44, v41 row_bcast:31 row_mask:0xf bank_mask:0xf
	v_cmp_ne_u32_e64 s[2:3], 0, v48
	v_pk_mov_b32 v[40:41], v[8:9], v[8:9] op_sel:[0,1]
	s_barrier
	s_and_saveexec_b64 s[4:5], s[2:3]
; %bb.21:
	v_cndmask_b32_e64 v41, v47, v43, s[0:1]
	v_cndmask_b32_e64 v40, v46, v42, s[0:1]
	v_add_f64 v[42:43], v[40:41], v[44:45]
	v_cmp_lt_u32_e64 s[0:1], 31, v48
	v_cndmask_b32_e64 v41, v41, v43, s[0:1]
	v_cndmask_b32_e64 v40, v40, v42, s[0:1]
; %bb.22:
	s_or_b64 exec, exec, s[4:5]
	v_or_b32_e32 v42, 63, v0
	v_lshrrev_b32_e32 v44, 6, v0
	v_cmp_eq_u32_e64 s[0:1], v42, v0
	s_and_saveexec_b64 s[2:3], s[0:1]
	s_cbranch_execz .LBB4909_24
; %bb.23:
	v_lshlrev_b32_e32 v42, 3, v44
	ds_write_b64 v42, v[40:41]
.LBB4909_24:
	s_or_b64 exec, exec, s[2:3]
	v_cmp_gt_u32_e64 s[0:1], 2, v0
	s_waitcnt lgkmcnt(0)
	s_barrier
	s_and_saveexec_b64 s[2:3], s[0:1]
	s_cbranch_execz .LBB4909_26
; %bb.25:
	ds_read_b64 v[42:43], v1
	v_and_b32_e32 v45, 1, v48
	v_cmp_eq_u32_e64 s[0:1], 0, v45
	s_waitcnt lgkmcnt(0)
	v_mov_b32_dpp v46, v42 row_shr:1 row_mask:0xf bank_mask:0xf
	v_mov_b32_dpp v47, v43 row_shr:1 row_mask:0xf bank_mask:0xf
	v_add_f64 v[46:47], v[42:43], v[46:47]
	v_cndmask_b32_e64 v43, v47, v43, s[0:1]
	v_cndmask_b32_e64 v42, v46, v42, s[0:1]
	ds_write_b64 v1, v[42:43]
.LBB4909_26:
	s_or_b64 exec, exec, s[2:3]
	v_cmp_lt_u32_e64 s[0:1], 63, v0
	s_waitcnt lgkmcnt(0)
	s_barrier
	s_waitcnt lgkmcnt(0)
                                        ; implicit-def: $vgpr42_vgpr43
	s_and_saveexec_b64 s[2:3], s[0:1]
	s_cbranch_execz .LBB4909_28
; %bb.27:
	v_lshl_add_u32 v42, v44, 3, -8
	ds_read_b64 v[42:43], v42
	s_waitcnt lgkmcnt(0)
	v_add_f64 v[40:41], v[40:41], v[42:43]
.LBB4909_28:
	s_or_b64 exec, exec, s[2:3]
	v_add_u32_e32 v44, -1, v48
	v_and_b32_e32 v45, 64, v48
	v_cmp_lt_i32_e64 s[0:1], v44, v45
	v_cndmask_b32_e64 v44, v44, v48, s[0:1]
	v_lshlrev_b32_e32 v45, 2, v44
	ds_bpermute_b32 v44, v45, v40
	ds_bpermute_b32 v41, v45, v41
	v_mul_u32_u24_e32 v40, 0x48, v0
	v_cmp_ne_u32_e64 s[0:1], 0, v0
	s_and_saveexec_b64 s[2:3], s[0:1]
	s_cbranch_execz .LBB4909_30
; %bb.29:
	s_waitcnt lgkmcnt(0)
	v_cndmask_b32_e32 v7, v41, v43, vcc
	v_cndmask_b32_e32 v6, v44, v42, vcc
	v_add_f64 v[2:3], v[2:3], v[6:7]
	v_add_f64 v[38:39], v[4:5], v[2:3]
	;; [unrolled: 1-line block ×10, first 2 shown]
	;;#ASMSTART
	;;#ASMEND
.LBB4909_30:
	s_or_b64 exec, exec, s[2:3]
	v_add_u32_e32 v0, v1, v40
	v_mov_b32_e32 v4, v38
	v_mov_b32_e32 v5, v39
	s_waitcnt lgkmcnt(0)
	s_barrier
	ds_write_b128 v0, v[2:5]
	ds_write_b128 v0, v[30:33] offset:16
	ds_write_b128 v0, v[26:29] offset:32
	;; [unrolled: 1-line block ×4, first 2 shown]
	s_waitcnt lgkmcnt(0)
	s_barrier
	s_endpgm
	.section	.rodata,"a",@progbits
	.p2align	6, 0x0
	.amdhsa_kernel _ZN7rocprim17ROCPRIM_400000_NS6detail17trampoline_kernelINS0_14default_configENS1_20scan_config_selectorIdEEZZNS1_9scan_implILNS1_25lookback_scan_determinismE0ELb0ELb0ES3_N6thrust23THRUST_200600_302600_NS6detail15normal_iteratorINS9_10device_ptrIdEEEENS9_16discard_iteratorINS9_11use_defaultEEEdNS9_4plusIvEEdEEDaPvRmT3_T4_T5_mT6_P12ihipStream_tbENKUlT_T0_E_clISt17integral_constantIbLb1EESW_IbLb0EEEEDaSS_ST_EUlSS_E0_NS1_11comp_targetILNS1_3genE4ELNS1_11target_archE910ELNS1_3gpuE8ELNS1_3repE0EEENS1_30default_config_static_selectorELNS0_4arch9wavefront6targetE1EEEvT1_
		.amdhsa_group_segment_fixed_size 10240
		.amdhsa_private_segment_fixed_size 0
		.amdhsa_kernarg_size 48
		.amdhsa_user_sgpr_count 6
		.amdhsa_user_sgpr_private_segment_buffer 1
		.amdhsa_user_sgpr_dispatch_ptr 0
		.amdhsa_user_sgpr_queue_ptr 0
		.amdhsa_user_sgpr_kernarg_segment_ptr 1
		.amdhsa_user_sgpr_dispatch_id 0
		.amdhsa_user_sgpr_flat_scratch_init 0
		.amdhsa_user_sgpr_kernarg_preload_length 0
		.amdhsa_user_sgpr_kernarg_preload_offset 0
		.amdhsa_user_sgpr_private_segment_size 0
		.amdhsa_uses_dynamic_stack 0
		.amdhsa_system_sgpr_private_segment_wavefront_offset 0
		.amdhsa_system_sgpr_workgroup_id_x 1
		.amdhsa_system_sgpr_workgroup_id_y 0
		.amdhsa_system_sgpr_workgroup_id_z 0
		.amdhsa_system_sgpr_workgroup_info 0
		.amdhsa_system_vgpr_workitem_id 0
		.amdhsa_next_free_vgpr 49
		.amdhsa_next_free_sgpr 8
		.amdhsa_accum_offset 52
		.amdhsa_reserve_vcc 1
		.amdhsa_reserve_flat_scratch 0
		.amdhsa_float_round_mode_32 0
		.amdhsa_float_round_mode_16_64 0
		.amdhsa_float_denorm_mode_32 3
		.amdhsa_float_denorm_mode_16_64 3
		.amdhsa_dx10_clamp 1
		.amdhsa_ieee_mode 1
		.amdhsa_fp16_overflow 0
		.amdhsa_tg_split 0
		.amdhsa_exception_fp_ieee_invalid_op 0
		.amdhsa_exception_fp_denorm_src 0
		.amdhsa_exception_fp_ieee_div_zero 0
		.amdhsa_exception_fp_ieee_overflow 0
		.amdhsa_exception_fp_ieee_underflow 0
		.amdhsa_exception_fp_ieee_inexact 0
		.amdhsa_exception_int_div_zero 0
	.end_amdhsa_kernel
	.section	.text._ZN7rocprim17ROCPRIM_400000_NS6detail17trampoline_kernelINS0_14default_configENS1_20scan_config_selectorIdEEZZNS1_9scan_implILNS1_25lookback_scan_determinismE0ELb0ELb0ES3_N6thrust23THRUST_200600_302600_NS6detail15normal_iteratorINS9_10device_ptrIdEEEENS9_16discard_iteratorINS9_11use_defaultEEEdNS9_4plusIvEEdEEDaPvRmT3_T4_T5_mT6_P12ihipStream_tbENKUlT_T0_E_clISt17integral_constantIbLb1EESW_IbLb0EEEEDaSS_ST_EUlSS_E0_NS1_11comp_targetILNS1_3genE4ELNS1_11target_archE910ELNS1_3gpuE8ELNS1_3repE0EEENS1_30default_config_static_selectorELNS0_4arch9wavefront6targetE1EEEvT1_,"axG",@progbits,_ZN7rocprim17ROCPRIM_400000_NS6detail17trampoline_kernelINS0_14default_configENS1_20scan_config_selectorIdEEZZNS1_9scan_implILNS1_25lookback_scan_determinismE0ELb0ELb0ES3_N6thrust23THRUST_200600_302600_NS6detail15normal_iteratorINS9_10device_ptrIdEEEENS9_16discard_iteratorINS9_11use_defaultEEEdNS9_4plusIvEEdEEDaPvRmT3_T4_T5_mT6_P12ihipStream_tbENKUlT_T0_E_clISt17integral_constantIbLb1EESW_IbLb0EEEEDaSS_ST_EUlSS_E0_NS1_11comp_targetILNS1_3genE4ELNS1_11target_archE910ELNS1_3gpuE8ELNS1_3repE0EEENS1_30default_config_static_selectorELNS0_4arch9wavefront6targetE1EEEvT1_,comdat
.Lfunc_end4909:
	.size	_ZN7rocprim17ROCPRIM_400000_NS6detail17trampoline_kernelINS0_14default_configENS1_20scan_config_selectorIdEEZZNS1_9scan_implILNS1_25lookback_scan_determinismE0ELb0ELb0ES3_N6thrust23THRUST_200600_302600_NS6detail15normal_iteratorINS9_10device_ptrIdEEEENS9_16discard_iteratorINS9_11use_defaultEEEdNS9_4plusIvEEdEEDaPvRmT3_T4_T5_mT6_P12ihipStream_tbENKUlT_T0_E_clISt17integral_constantIbLb1EESW_IbLb0EEEEDaSS_ST_EUlSS_E0_NS1_11comp_targetILNS1_3genE4ELNS1_11target_archE910ELNS1_3gpuE8ELNS1_3repE0EEENS1_30default_config_static_selectorELNS0_4arch9wavefront6targetE1EEEvT1_, .Lfunc_end4909-_ZN7rocprim17ROCPRIM_400000_NS6detail17trampoline_kernelINS0_14default_configENS1_20scan_config_selectorIdEEZZNS1_9scan_implILNS1_25lookback_scan_determinismE0ELb0ELb0ES3_N6thrust23THRUST_200600_302600_NS6detail15normal_iteratorINS9_10device_ptrIdEEEENS9_16discard_iteratorINS9_11use_defaultEEEdNS9_4plusIvEEdEEDaPvRmT3_T4_T5_mT6_P12ihipStream_tbENKUlT_T0_E_clISt17integral_constantIbLb1EESW_IbLb0EEEEDaSS_ST_EUlSS_E0_NS1_11comp_targetILNS1_3genE4ELNS1_11target_archE910ELNS1_3gpuE8ELNS1_3repE0EEENS1_30default_config_static_selectorELNS0_4arch9wavefront6targetE1EEEvT1_
                                        ; -- End function
	.section	.AMDGPU.csdata,"",@progbits
; Kernel info:
; codeLenInByte = 1388
; NumSgprs: 12
; NumVgprs: 49
; NumAgprs: 0
; TotalNumVgprs: 49
; ScratchSize: 0
; MemoryBound: 0
; FloatMode: 240
; IeeeMode: 1
; LDSByteSize: 10240 bytes/workgroup (compile time only)
; SGPRBlocks: 1
; VGPRBlocks: 6
; NumSGPRsForWavesPerEU: 12
; NumVGPRsForWavesPerEU: 49
; AccumOffset: 52
; Occupancy: 3
; WaveLimiterHint : 0
; COMPUTE_PGM_RSRC2:SCRATCH_EN: 0
; COMPUTE_PGM_RSRC2:USER_SGPR: 6
; COMPUTE_PGM_RSRC2:TRAP_HANDLER: 0
; COMPUTE_PGM_RSRC2:TGID_X_EN: 1
; COMPUTE_PGM_RSRC2:TGID_Y_EN: 0
; COMPUTE_PGM_RSRC2:TGID_Z_EN: 0
; COMPUTE_PGM_RSRC2:TIDIG_COMP_CNT: 0
; COMPUTE_PGM_RSRC3_GFX90A:ACCUM_OFFSET: 12
; COMPUTE_PGM_RSRC3_GFX90A:TG_SPLIT: 0
	.section	.text._ZN7rocprim17ROCPRIM_400000_NS6detail17trampoline_kernelINS0_14default_configENS1_20scan_config_selectorIdEEZZNS1_9scan_implILNS1_25lookback_scan_determinismE0ELb0ELb0ES3_N6thrust23THRUST_200600_302600_NS6detail15normal_iteratorINS9_10device_ptrIdEEEENS9_16discard_iteratorINS9_11use_defaultEEEdNS9_4plusIvEEdEEDaPvRmT3_T4_T5_mT6_P12ihipStream_tbENKUlT_T0_E_clISt17integral_constantIbLb1EESW_IbLb0EEEEDaSS_ST_EUlSS_E0_NS1_11comp_targetILNS1_3genE3ELNS1_11target_archE908ELNS1_3gpuE7ELNS1_3repE0EEENS1_30default_config_static_selectorELNS0_4arch9wavefront6targetE1EEEvT1_,"axG",@progbits,_ZN7rocprim17ROCPRIM_400000_NS6detail17trampoline_kernelINS0_14default_configENS1_20scan_config_selectorIdEEZZNS1_9scan_implILNS1_25lookback_scan_determinismE0ELb0ELb0ES3_N6thrust23THRUST_200600_302600_NS6detail15normal_iteratorINS9_10device_ptrIdEEEENS9_16discard_iteratorINS9_11use_defaultEEEdNS9_4plusIvEEdEEDaPvRmT3_T4_T5_mT6_P12ihipStream_tbENKUlT_T0_E_clISt17integral_constantIbLb1EESW_IbLb0EEEEDaSS_ST_EUlSS_E0_NS1_11comp_targetILNS1_3genE3ELNS1_11target_archE908ELNS1_3gpuE7ELNS1_3repE0EEENS1_30default_config_static_selectorELNS0_4arch9wavefront6targetE1EEEvT1_,comdat
	.protected	_ZN7rocprim17ROCPRIM_400000_NS6detail17trampoline_kernelINS0_14default_configENS1_20scan_config_selectorIdEEZZNS1_9scan_implILNS1_25lookback_scan_determinismE0ELb0ELb0ES3_N6thrust23THRUST_200600_302600_NS6detail15normal_iteratorINS9_10device_ptrIdEEEENS9_16discard_iteratorINS9_11use_defaultEEEdNS9_4plusIvEEdEEDaPvRmT3_T4_T5_mT6_P12ihipStream_tbENKUlT_T0_E_clISt17integral_constantIbLb1EESW_IbLb0EEEEDaSS_ST_EUlSS_E0_NS1_11comp_targetILNS1_3genE3ELNS1_11target_archE908ELNS1_3gpuE7ELNS1_3repE0EEENS1_30default_config_static_selectorELNS0_4arch9wavefront6targetE1EEEvT1_ ; -- Begin function _ZN7rocprim17ROCPRIM_400000_NS6detail17trampoline_kernelINS0_14default_configENS1_20scan_config_selectorIdEEZZNS1_9scan_implILNS1_25lookback_scan_determinismE0ELb0ELb0ES3_N6thrust23THRUST_200600_302600_NS6detail15normal_iteratorINS9_10device_ptrIdEEEENS9_16discard_iteratorINS9_11use_defaultEEEdNS9_4plusIvEEdEEDaPvRmT3_T4_T5_mT6_P12ihipStream_tbENKUlT_T0_E_clISt17integral_constantIbLb1EESW_IbLb0EEEEDaSS_ST_EUlSS_E0_NS1_11comp_targetILNS1_3genE3ELNS1_11target_archE908ELNS1_3gpuE7ELNS1_3repE0EEENS1_30default_config_static_selectorELNS0_4arch9wavefront6targetE1EEEvT1_
	.globl	_ZN7rocprim17ROCPRIM_400000_NS6detail17trampoline_kernelINS0_14default_configENS1_20scan_config_selectorIdEEZZNS1_9scan_implILNS1_25lookback_scan_determinismE0ELb0ELb0ES3_N6thrust23THRUST_200600_302600_NS6detail15normal_iteratorINS9_10device_ptrIdEEEENS9_16discard_iteratorINS9_11use_defaultEEEdNS9_4plusIvEEdEEDaPvRmT3_T4_T5_mT6_P12ihipStream_tbENKUlT_T0_E_clISt17integral_constantIbLb1EESW_IbLb0EEEEDaSS_ST_EUlSS_E0_NS1_11comp_targetILNS1_3genE3ELNS1_11target_archE908ELNS1_3gpuE7ELNS1_3repE0EEENS1_30default_config_static_selectorELNS0_4arch9wavefront6targetE1EEEvT1_
	.p2align	8
	.type	_ZN7rocprim17ROCPRIM_400000_NS6detail17trampoline_kernelINS0_14default_configENS1_20scan_config_selectorIdEEZZNS1_9scan_implILNS1_25lookback_scan_determinismE0ELb0ELb0ES3_N6thrust23THRUST_200600_302600_NS6detail15normal_iteratorINS9_10device_ptrIdEEEENS9_16discard_iteratorINS9_11use_defaultEEEdNS9_4plusIvEEdEEDaPvRmT3_T4_T5_mT6_P12ihipStream_tbENKUlT_T0_E_clISt17integral_constantIbLb1EESW_IbLb0EEEEDaSS_ST_EUlSS_E0_NS1_11comp_targetILNS1_3genE3ELNS1_11target_archE908ELNS1_3gpuE7ELNS1_3repE0EEENS1_30default_config_static_selectorELNS0_4arch9wavefront6targetE1EEEvT1_,@function
_ZN7rocprim17ROCPRIM_400000_NS6detail17trampoline_kernelINS0_14default_configENS1_20scan_config_selectorIdEEZZNS1_9scan_implILNS1_25lookback_scan_determinismE0ELb0ELb0ES3_N6thrust23THRUST_200600_302600_NS6detail15normal_iteratorINS9_10device_ptrIdEEEENS9_16discard_iteratorINS9_11use_defaultEEEdNS9_4plusIvEEdEEDaPvRmT3_T4_T5_mT6_P12ihipStream_tbENKUlT_T0_E_clISt17integral_constantIbLb1EESW_IbLb0EEEEDaSS_ST_EUlSS_E0_NS1_11comp_targetILNS1_3genE3ELNS1_11target_archE908ELNS1_3gpuE7ELNS1_3repE0EEENS1_30default_config_static_selectorELNS0_4arch9wavefront6targetE1EEEvT1_: ; @_ZN7rocprim17ROCPRIM_400000_NS6detail17trampoline_kernelINS0_14default_configENS1_20scan_config_selectorIdEEZZNS1_9scan_implILNS1_25lookback_scan_determinismE0ELb0ELb0ES3_N6thrust23THRUST_200600_302600_NS6detail15normal_iteratorINS9_10device_ptrIdEEEENS9_16discard_iteratorINS9_11use_defaultEEEdNS9_4plusIvEEdEEDaPvRmT3_T4_T5_mT6_P12ihipStream_tbENKUlT_T0_E_clISt17integral_constantIbLb1EESW_IbLb0EEEEDaSS_ST_EUlSS_E0_NS1_11comp_targetILNS1_3genE3ELNS1_11target_archE908ELNS1_3gpuE7ELNS1_3repE0EEENS1_30default_config_static_selectorELNS0_4arch9wavefront6targetE1EEEvT1_
; %bb.0:
	.section	.rodata,"a",@progbits
	.p2align	6, 0x0
	.amdhsa_kernel _ZN7rocprim17ROCPRIM_400000_NS6detail17trampoline_kernelINS0_14default_configENS1_20scan_config_selectorIdEEZZNS1_9scan_implILNS1_25lookback_scan_determinismE0ELb0ELb0ES3_N6thrust23THRUST_200600_302600_NS6detail15normal_iteratorINS9_10device_ptrIdEEEENS9_16discard_iteratorINS9_11use_defaultEEEdNS9_4plusIvEEdEEDaPvRmT3_T4_T5_mT6_P12ihipStream_tbENKUlT_T0_E_clISt17integral_constantIbLb1EESW_IbLb0EEEEDaSS_ST_EUlSS_E0_NS1_11comp_targetILNS1_3genE3ELNS1_11target_archE908ELNS1_3gpuE7ELNS1_3repE0EEENS1_30default_config_static_selectorELNS0_4arch9wavefront6targetE1EEEvT1_
		.amdhsa_group_segment_fixed_size 0
		.amdhsa_private_segment_fixed_size 0
		.amdhsa_kernarg_size 48
		.amdhsa_user_sgpr_count 6
		.amdhsa_user_sgpr_private_segment_buffer 1
		.amdhsa_user_sgpr_dispatch_ptr 0
		.amdhsa_user_sgpr_queue_ptr 0
		.amdhsa_user_sgpr_kernarg_segment_ptr 1
		.amdhsa_user_sgpr_dispatch_id 0
		.amdhsa_user_sgpr_flat_scratch_init 0
		.amdhsa_user_sgpr_kernarg_preload_length 0
		.amdhsa_user_sgpr_kernarg_preload_offset 0
		.amdhsa_user_sgpr_private_segment_size 0
		.amdhsa_uses_dynamic_stack 0
		.amdhsa_system_sgpr_private_segment_wavefront_offset 0
		.amdhsa_system_sgpr_workgroup_id_x 1
		.amdhsa_system_sgpr_workgroup_id_y 0
		.amdhsa_system_sgpr_workgroup_id_z 0
		.amdhsa_system_sgpr_workgroup_info 0
		.amdhsa_system_vgpr_workitem_id 0
		.amdhsa_next_free_vgpr 1
		.amdhsa_next_free_sgpr 0
		.amdhsa_accum_offset 4
		.amdhsa_reserve_vcc 0
		.amdhsa_reserve_flat_scratch 0
		.amdhsa_float_round_mode_32 0
		.amdhsa_float_round_mode_16_64 0
		.amdhsa_float_denorm_mode_32 3
		.amdhsa_float_denorm_mode_16_64 3
		.amdhsa_dx10_clamp 1
		.amdhsa_ieee_mode 1
		.amdhsa_fp16_overflow 0
		.amdhsa_tg_split 0
		.amdhsa_exception_fp_ieee_invalid_op 0
		.amdhsa_exception_fp_denorm_src 0
		.amdhsa_exception_fp_ieee_div_zero 0
		.amdhsa_exception_fp_ieee_overflow 0
		.amdhsa_exception_fp_ieee_underflow 0
		.amdhsa_exception_fp_ieee_inexact 0
		.amdhsa_exception_int_div_zero 0
	.end_amdhsa_kernel
	.section	.text._ZN7rocprim17ROCPRIM_400000_NS6detail17trampoline_kernelINS0_14default_configENS1_20scan_config_selectorIdEEZZNS1_9scan_implILNS1_25lookback_scan_determinismE0ELb0ELb0ES3_N6thrust23THRUST_200600_302600_NS6detail15normal_iteratorINS9_10device_ptrIdEEEENS9_16discard_iteratorINS9_11use_defaultEEEdNS9_4plusIvEEdEEDaPvRmT3_T4_T5_mT6_P12ihipStream_tbENKUlT_T0_E_clISt17integral_constantIbLb1EESW_IbLb0EEEEDaSS_ST_EUlSS_E0_NS1_11comp_targetILNS1_3genE3ELNS1_11target_archE908ELNS1_3gpuE7ELNS1_3repE0EEENS1_30default_config_static_selectorELNS0_4arch9wavefront6targetE1EEEvT1_,"axG",@progbits,_ZN7rocprim17ROCPRIM_400000_NS6detail17trampoline_kernelINS0_14default_configENS1_20scan_config_selectorIdEEZZNS1_9scan_implILNS1_25lookback_scan_determinismE0ELb0ELb0ES3_N6thrust23THRUST_200600_302600_NS6detail15normal_iteratorINS9_10device_ptrIdEEEENS9_16discard_iteratorINS9_11use_defaultEEEdNS9_4plusIvEEdEEDaPvRmT3_T4_T5_mT6_P12ihipStream_tbENKUlT_T0_E_clISt17integral_constantIbLb1EESW_IbLb0EEEEDaSS_ST_EUlSS_E0_NS1_11comp_targetILNS1_3genE3ELNS1_11target_archE908ELNS1_3gpuE7ELNS1_3repE0EEENS1_30default_config_static_selectorELNS0_4arch9wavefront6targetE1EEEvT1_,comdat
.Lfunc_end4910:
	.size	_ZN7rocprim17ROCPRIM_400000_NS6detail17trampoline_kernelINS0_14default_configENS1_20scan_config_selectorIdEEZZNS1_9scan_implILNS1_25lookback_scan_determinismE0ELb0ELb0ES3_N6thrust23THRUST_200600_302600_NS6detail15normal_iteratorINS9_10device_ptrIdEEEENS9_16discard_iteratorINS9_11use_defaultEEEdNS9_4plusIvEEdEEDaPvRmT3_T4_T5_mT6_P12ihipStream_tbENKUlT_T0_E_clISt17integral_constantIbLb1EESW_IbLb0EEEEDaSS_ST_EUlSS_E0_NS1_11comp_targetILNS1_3genE3ELNS1_11target_archE908ELNS1_3gpuE7ELNS1_3repE0EEENS1_30default_config_static_selectorELNS0_4arch9wavefront6targetE1EEEvT1_, .Lfunc_end4910-_ZN7rocprim17ROCPRIM_400000_NS6detail17trampoline_kernelINS0_14default_configENS1_20scan_config_selectorIdEEZZNS1_9scan_implILNS1_25lookback_scan_determinismE0ELb0ELb0ES3_N6thrust23THRUST_200600_302600_NS6detail15normal_iteratorINS9_10device_ptrIdEEEENS9_16discard_iteratorINS9_11use_defaultEEEdNS9_4plusIvEEdEEDaPvRmT3_T4_T5_mT6_P12ihipStream_tbENKUlT_T0_E_clISt17integral_constantIbLb1EESW_IbLb0EEEEDaSS_ST_EUlSS_E0_NS1_11comp_targetILNS1_3genE3ELNS1_11target_archE908ELNS1_3gpuE7ELNS1_3repE0EEENS1_30default_config_static_selectorELNS0_4arch9wavefront6targetE1EEEvT1_
                                        ; -- End function
	.section	.AMDGPU.csdata,"",@progbits
; Kernel info:
; codeLenInByte = 0
; NumSgprs: 4
; NumVgprs: 0
; NumAgprs: 0
; TotalNumVgprs: 0
; ScratchSize: 0
; MemoryBound: 0
; FloatMode: 240
; IeeeMode: 1
; LDSByteSize: 0 bytes/workgroup (compile time only)
; SGPRBlocks: 0
; VGPRBlocks: 0
; NumSGPRsForWavesPerEU: 4
; NumVGPRsForWavesPerEU: 1
; AccumOffset: 4
; Occupancy: 8
; WaveLimiterHint : 0
; COMPUTE_PGM_RSRC2:SCRATCH_EN: 0
; COMPUTE_PGM_RSRC2:USER_SGPR: 6
; COMPUTE_PGM_RSRC2:TRAP_HANDLER: 0
; COMPUTE_PGM_RSRC2:TGID_X_EN: 1
; COMPUTE_PGM_RSRC2:TGID_Y_EN: 0
; COMPUTE_PGM_RSRC2:TGID_Z_EN: 0
; COMPUTE_PGM_RSRC2:TIDIG_COMP_CNT: 0
; COMPUTE_PGM_RSRC3_GFX90A:ACCUM_OFFSET: 0
; COMPUTE_PGM_RSRC3_GFX90A:TG_SPLIT: 0
	.section	.text._ZN7rocprim17ROCPRIM_400000_NS6detail17trampoline_kernelINS0_14default_configENS1_20scan_config_selectorIdEEZZNS1_9scan_implILNS1_25lookback_scan_determinismE0ELb0ELb0ES3_N6thrust23THRUST_200600_302600_NS6detail15normal_iteratorINS9_10device_ptrIdEEEENS9_16discard_iteratorINS9_11use_defaultEEEdNS9_4plusIvEEdEEDaPvRmT3_T4_T5_mT6_P12ihipStream_tbENKUlT_T0_E_clISt17integral_constantIbLb1EESW_IbLb0EEEEDaSS_ST_EUlSS_E0_NS1_11comp_targetILNS1_3genE2ELNS1_11target_archE906ELNS1_3gpuE6ELNS1_3repE0EEENS1_30default_config_static_selectorELNS0_4arch9wavefront6targetE1EEEvT1_,"axG",@progbits,_ZN7rocprim17ROCPRIM_400000_NS6detail17trampoline_kernelINS0_14default_configENS1_20scan_config_selectorIdEEZZNS1_9scan_implILNS1_25lookback_scan_determinismE0ELb0ELb0ES3_N6thrust23THRUST_200600_302600_NS6detail15normal_iteratorINS9_10device_ptrIdEEEENS9_16discard_iteratorINS9_11use_defaultEEEdNS9_4plusIvEEdEEDaPvRmT3_T4_T5_mT6_P12ihipStream_tbENKUlT_T0_E_clISt17integral_constantIbLb1EESW_IbLb0EEEEDaSS_ST_EUlSS_E0_NS1_11comp_targetILNS1_3genE2ELNS1_11target_archE906ELNS1_3gpuE6ELNS1_3repE0EEENS1_30default_config_static_selectorELNS0_4arch9wavefront6targetE1EEEvT1_,comdat
	.protected	_ZN7rocprim17ROCPRIM_400000_NS6detail17trampoline_kernelINS0_14default_configENS1_20scan_config_selectorIdEEZZNS1_9scan_implILNS1_25lookback_scan_determinismE0ELb0ELb0ES3_N6thrust23THRUST_200600_302600_NS6detail15normal_iteratorINS9_10device_ptrIdEEEENS9_16discard_iteratorINS9_11use_defaultEEEdNS9_4plusIvEEdEEDaPvRmT3_T4_T5_mT6_P12ihipStream_tbENKUlT_T0_E_clISt17integral_constantIbLb1EESW_IbLb0EEEEDaSS_ST_EUlSS_E0_NS1_11comp_targetILNS1_3genE2ELNS1_11target_archE906ELNS1_3gpuE6ELNS1_3repE0EEENS1_30default_config_static_selectorELNS0_4arch9wavefront6targetE1EEEvT1_ ; -- Begin function _ZN7rocprim17ROCPRIM_400000_NS6detail17trampoline_kernelINS0_14default_configENS1_20scan_config_selectorIdEEZZNS1_9scan_implILNS1_25lookback_scan_determinismE0ELb0ELb0ES3_N6thrust23THRUST_200600_302600_NS6detail15normal_iteratorINS9_10device_ptrIdEEEENS9_16discard_iteratorINS9_11use_defaultEEEdNS9_4plusIvEEdEEDaPvRmT3_T4_T5_mT6_P12ihipStream_tbENKUlT_T0_E_clISt17integral_constantIbLb1EESW_IbLb0EEEEDaSS_ST_EUlSS_E0_NS1_11comp_targetILNS1_3genE2ELNS1_11target_archE906ELNS1_3gpuE6ELNS1_3repE0EEENS1_30default_config_static_selectorELNS0_4arch9wavefront6targetE1EEEvT1_
	.globl	_ZN7rocprim17ROCPRIM_400000_NS6detail17trampoline_kernelINS0_14default_configENS1_20scan_config_selectorIdEEZZNS1_9scan_implILNS1_25lookback_scan_determinismE0ELb0ELb0ES3_N6thrust23THRUST_200600_302600_NS6detail15normal_iteratorINS9_10device_ptrIdEEEENS9_16discard_iteratorINS9_11use_defaultEEEdNS9_4plusIvEEdEEDaPvRmT3_T4_T5_mT6_P12ihipStream_tbENKUlT_T0_E_clISt17integral_constantIbLb1EESW_IbLb0EEEEDaSS_ST_EUlSS_E0_NS1_11comp_targetILNS1_3genE2ELNS1_11target_archE906ELNS1_3gpuE6ELNS1_3repE0EEENS1_30default_config_static_selectorELNS0_4arch9wavefront6targetE1EEEvT1_
	.p2align	8
	.type	_ZN7rocprim17ROCPRIM_400000_NS6detail17trampoline_kernelINS0_14default_configENS1_20scan_config_selectorIdEEZZNS1_9scan_implILNS1_25lookback_scan_determinismE0ELb0ELb0ES3_N6thrust23THRUST_200600_302600_NS6detail15normal_iteratorINS9_10device_ptrIdEEEENS9_16discard_iteratorINS9_11use_defaultEEEdNS9_4plusIvEEdEEDaPvRmT3_T4_T5_mT6_P12ihipStream_tbENKUlT_T0_E_clISt17integral_constantIbLb1EESW_IbLb0EEEEDaSS_ST_EUlSS_E0_NS1_11comp_targetILNS1_3genE2ELNS1_11target_archE906ELNS1_3gpuE6ELNS1_3repE0EEENS1_30default_config_static_selectorELNS0_4arch9wavefront6targetE1EEEvT1_,@function
_ZN7rocprim17ROCPRIM_400000_NS6detail17trampoline_kernelINS0_14default_configENS1_20scan_config_selectorIdEEZZNS1_9scan_implILNS1_25lookback_scan_determinismE0ELb0ELb0ES3_N6thrust23THRUST_200600_302600_NS6detail15normal_iteratorINS9_10device_ptrIdEEEENS9_16discard_iteratorINS9_11use_defaultEEEdNS9_4plusIvEEdEEDaPvRmT3_T4_T5_mT6_P12ihipStream_tbENKUlT_T0_E_clISt17integral_constantIbLb1EESW_IbLb0EEEEDaSS_ST_EUlSS_E0_NS1_11comp_targetILNS1_3genE2ELNS1_11target_archE906ELNS1_3gpuE6ELNS1_3repE0EEENS1_30default_config_static_selectorELNS0_4arch9wavefront6targetE1EEEvT1_: ; @_ZN7rocprim17ROCPRIM_400000_NS6detail17trampoline_kernelINS0_14default_configENS1_20scan_config_selectorIdEEZZNS1_9scan_implILNS1_25lookback_scan_determinismE0ELb0ELb0ES3_N6thrust23THRUST_200600_302600_NS6detail15normal_iteratorINS9_10device_ptrIdEEEENS9_16discard_iteratorINS9_11use_defaultEEEdNS9_4plusIvEEdEEDaPvRmT3_T4_T5_mT6_P12ihipStream_tbENKUlT_T0_E_clISt17integral_constantIbLb1EESW_IbLb0EEEEDaSS_ST_EUlSS_E0_NS1_11comp_targetILNS1_3genE2ELNS1_11target_archE906ELNS1_3gpuE6ELNS1_3repE0EEENS1_30default_config_static_selectorELNS0_4arch9wavefront6targetE1EEEvT1_
; %bb.0:
	.section	.rodata,"a",@progbits
	.p2align	6, 0x0
	.amdhsa_kernel _ZN7rocprim17ROCPRIM_400000_NS6detail17trampoline_kernelINS0_14default_configENS1_20scan_config_selectorIdEEZZNS1_9scan_implILNS1_25lookback_scan_determinismE0ELb0ELb0ES3_N6thrust23THRUST_200600_302600_NS6detail15normal_iteratorINS9_10device_ptrIdEEEENS9_16discard_iteratorINS9_11use_defaultEEEdNS9_4plusIvEEdEEDaPvRmT3_T4_T5_mT6_P12ihipStream_tbENKUlT_T0_E_clISt17integral_constantIbLb1EESW_IbLb0EEEEDaSS_ST_EUlSS_E0_NS1_11comp_targetILNS1_3genE2ELNS1_11target_archE906ELNS1_3gpuE6ELNS1_3repE0EEENS1_30default_config_static_selectorELNS0_4arch9wavefront6targetE1EEEvT1_
		.amdhsa_group_segment_fixed_size 0
		.amdhsa_private_segment_fixed_size 0
		.amdhsa_kernarg_size 48
		.amdhsa_user_sgpr_count 6
		.amdhsa_user_sgpr_private_segment_buffer 1
		.amdhsa_user_sgpr_dispatch_ptr 0
		.amdhsa_user_sgpr_queue_ptr 0
		.amdhsa_user_sgpr_kernarg_segment_ptr 1
		.amdhsa_user_sgpr_dispatch_id 0
		.amdhsa_user_sgpr_flat_scratch_init 0
		.amdhsa_user_sgpr_kernarg_preload_length 0
		.amdhsa_user_sgpr_kernarg_preload_offset 0
		.amdhsa_user_sgpr_private_segment_size 0
		.amdhsa_uses_dynamic_stack 0
		.amdhsa_system_sgpr_private_segment_wavefront_offset 0
		.amdhsa_system_sgpr_workgroup_id_x 1
		.amdhsa_system_sgpr_workgroup_id_y 0
		.amdhsa_system_sgpr_workgroup_id_z 0
		.amdhsa_system_sgpr_workgroup_info 0
		.amdhsa_system_vgpr_workitem_id 0
		.amdhsa_next_free_vgpr 1
		.amdhsa_next_free_sgpr 0
		.amdhsa_accum_offset 4
		.amdhsa_reserve_vcc 0
		.amdhsa_reserve_flat_scratch 0
		.amdhsa_float_round_mode_32 0
		.amdhsa_float_round_mode_16_64 0
		.amdhsa_float_denorm_mode_32 3
		.amdhsa_float_denorm_mode_16_64 3
		.amdhsa_dx10_clamp 1
		.amdhsa_ieee_mode 1
		.amdhsa_fp16_overflow 0
		.amdhsa_tg_split 0
		.amdhsa_exception_fp_ieee_invalid_op 0
		.amdhsa_exception_fp_denorm_src 0
		.amdhsa_exception_fp_ieee_div_zero 0
		.amdhsa_exception_fp_ieee_overflow 0
		.amdhsa_exception_fp_ieee_underflow 0
		.amdhsa_exception_fp_ieee_inexact 0
		.amdhsa_exception_int_div_zero 0
	.end_amdhsa_kernel
	.section	.text._ZN7rocprim17ROCPRIM_400000_NS6detail17trampoline_kernelINS0_14default_configENS1_20scan_config_selectorIdEEZZNS1_9scan_implILNS1_25lookback_scan_determinismE0ELb0ELb0ES3_N6thrust23THRUST_200600_302600_NS6detail15normal_iteratorINS9_10device_ptrIdEEEENS9_16discard_iteratorINS9_11use_defaultEEEdNS9_4plusIvEEdEEDaPvRmT3_T4_T5_mT6_P12ihipStream_tbENKUlT_T0_E_clISt17integral_constantIbLb1EESW_IbLb0EEEEDaSS_ST_EUlSS_E0_NS1_11comp_targetILNS1_3genE2ELNS1_11target_archE906ELNS1_3gpuE6ELNS1_3repE0EEENS1_30default_config_static_selectorELNS0_4arch9wavefront6targetE1EEEvT1_,"axG",@progbits,_ZN7rocprim17ROCPRIM_400000_NS6detail17trampoline_kernelINS0_14default_configENS1_20scan_config_selectorIdEEZZNS1_9scan_implILNS1_25lookback_scan_determinismE0ELb0ELb0ES3_N6thrust23THRUST_200600_302600_NS6detail15normal_iteratorINS9_10device_ptrIdEEEENS9_16discard_iteratorINS9_11use_defaultEEEdNS9_4plusIvEEdEEDaPvRmT3_T4_T5_mT6_P12ihipStream_tbENKUlT_T0_E_clISt17integral_constantIbLb1EESW_IbLb0EEEEDaSS_ST_EUlSS_E0_NS1_11comp_targetILNS1_3genE2ELNS1_11target_archE906ELNS1_3gpuE6ELNS1_3repE0EEENS1_30default_config_static_selectorELNS0_4arch9wavefront6targetE1EEEvT1_,comdat
.Lfunc_end4911:
	.size	_ZN7rocprim17ROCPRIM_400000_NS6detail17trampoline_kernelINS0_14default_configENS1_20scan_config_selectorIdEEZZNS1_9scan_implILNS1_25lookback_scan_determinismE0ELb0ELb0ES3_N6thrust23THRUST_200600_302600_NS6detail15normal_iteratorINS9_10device_ptrIdEEEENS9_16discard_iteratorINS9_11use_defaultEEEdNS9_4plusIvEEdEEDaPvRmT3_T4_T5_mT6_P12ihipStream_tbENKUlT_T0_E_clISt17integral_constantIbLb1EESW_IbLb0EEEEDaSS_ST_EUlSS_E0_NS1_11comp_targetILNS1_3genE2ELNS1_11target_archE906ELNS1_3gpuE6ELNS1_3repE0EEENS1_30default_config_static_selectorELNS0_4arch9wavefront6targetE1EEEvT1_, .Lfunc_end4911-_ZN7rocprim17ROCPRIM_400000_NS6detail17trampoline_kernelINS0_14default_configENS1_20scan_config_selectorIdEEZZNS1_9scan_implILNS1_25lookback_scan_determinismE0ELb0ELb0ES3_N6thrust23THRUST_200600_302600_NS6detail15normal_iteratorINS9_10device_ptrIdEEEENS9_16discard_iteratorINS9_11use_defaultEEEdNS9_4plusIvEEdEEDaPvRmT3_T4_T5_mT6_P12ihipStream_tbENKUlT_T0_E_clISt17integral_constantIbLb1EESW_IbLb0EEEEDaSS_ST_EUlSS_E0_NS1_11comp_targetILNS1_3genE2ELNS1_11target_archE906ELNS1_3gpuE6ELNS1_3repE0EEENS1_30default_config_static_selectorELNS0_4arch9wavefront6targetE1EEEvT1_
                                        ; -- End function
	.section	.AMDGPU.csdata,"",@progbits
; Kernel info:
; codeLenInByte = 0
; NumSgprs: 4
; NumVgprs: 0
; NumAgprs: 0
; TotalNumVgprs: 0
; ScratchSize: 0
; MemoryBound: 0
; FloatMode: 240
; IeeeMode: 1
; LDSByteSize: 0 bytes/workgroup (compile time only)
; SGPRBlocks: 0
; VGPRBlocks: 0
; NumSGPRsForWavesPerEU: 4
; NumVGPRsForWavesPerEU: 1
; AccumOffset: 4
; Occupancy: 8
; WaveLimiterHint : 0
; COMPUTE_PGM_RSRC2:SCRATCH_EN: 0
; COMPUTE_PGM_RSRC2:USER_SGPR: 6
; COMPUTE_PGM_RSRC2:TRAP_HANDLER: 0
; COMPUTE_PGM_RSRC2:TGID_X_EN: 1
; COMPUTE_PGM_RSRC2:TGID_Y_EN: 0
; COMPUTE_PGM_RSRC2:TGID_Z_EN: 0
; COMPUTE_PGM_RSRC2:TIDIG_COMP_CNT: 0
; COMPUTE_PGM_RSRC3_GFX90A:ACCUM_OFFSET: 0
; COMPUTE_PGM_RSRC3_GFX90A:TG_SPLIT: 0
	.section	.text._ZN7rocprim17ROCPRIM_400000_NS6detail17trampoline_kernelINS0_14default_configENS1_20scan_config_selectorIdEEZZNS1_9scan_implILNS1_25lookback_scan_determinismE0ELb0ELb0ES3_N6thrust23THRUST_200600_302600_NS6detail15normal_iteratorINS9_10device_ptrIdEEEENS9_16discard_iteratorINS9_11use_defaultEEEdNS9_4plusIvEEdEEDaPvRmT3_T4_T5_mT6_P12ihipStream_tbENKUlT_T0_E_clISt17integral_constantIbLb1EESW_IbLb0EEEEDaSS_ST_EUlSS_E0_NS1_11comp_targetILNS1_3genE10ELNS1_11target_archE1201ELNS1_3gpuE5ELNS1_3repE0EEENS1_30default_config_static_selectorELNS0_4arch9wavefront6targetE1EEEvT1_,"axG",@progbits,_ZN7rocprim17ROCPRIM_400000_NS6detail17trampoline_kernelINS0_14default_configENS1_20scan_config_selectorIdEEZZNS1_9scan_implILNS1_25lookback_scan_determinismE0ELb0ELb0ES3_N6thrust23THRUST_200600_302600_NS6detail15normal_iteratorINS9_10device_ptrIdEEEENS9_16discard_iteratorINS9_11use_defaultEEEdNS9_4plusIvEEdEEDaPvRmT3_T4_T5_mT6_P12ihipStream_tbENKUlT_T0_E_clISt17integral_constantIbLb1EESW_IbLb0EEEEDaSS_ST_EUlSS_E0_NS1_11comp_targetILNS1_3genE10ELNS1_11target_archE1201ELNS1_3gpuE5ELNS1_3repE0EEENS1_30default_config_static_selectorELNS0_4arch9wavefront6targetE1EEEvT1_,comdat
	.protected	_ZN7rocprim17ROCPRIM_400000_NS6detail17trampoline_kernelINS0_14default_configENS1_20scan_config_selectorIdEEZZNS1_9scan_implILNS1_25lookback_scan_determinismE0ELb0ELb0ES3_N6thrust23THRUST_200600_302600_NS6detail15normal_iteratorINS9_10device_ptrIdEEEENS9_16discard_iteratorINS9_11use_defaultEEEdNS9_4plusIvEEdEEDaPvRmT3_T4_T5_mT6_P12ihipStream_tbENKUlT_T0_E_clISt17integral_constantIbLb1EESW_IbLb0EEEEDaSS_ST_EUlSS_E0_NS1_11comp_targetILNS1_3genE10ELNS1_11target_archE1201ELNS1_3gpuE5ELNS1_3repE0EEENS1_30default_config_static_selectorELNS0_4arch9wavefront6targetE1EEEvT1_ ; -- Begin function _ZN7rocprim17ROCPRIM_400000_NS6detail17trampoline_kernelINS0_14default_configENS1_20scan_config_selectorIdEEZZNS1_9scan_implILNS1_25lookback_scan_determinismE0ELb0ELb0ES3_N6thrust23THRUST_200600_302600_NS6detail15normal_iteratorINS9_10device_ptrIdEEEENS9_16discard_iteratorINS9_11use_defaultEEEdNS9_4plusIvEEdEEDaPvRmT3_T4_T5_mT6_P12ihipStream_tbENKUlT_T0_E_clISt17integral_constantIbLb1EESW_IbLb0EEEEDaSS_ST_EUlSS_E0_NS1_11comp_targetILNS1_3genE10ELNS1_11target_archE1201ELNS1_3gpuE5ELNS1_3repE0EEENS1_30default_config_static_selectorELNS0_4arch9wavefront6targetE1EEEvT1_
	.globl	_ZN7rocprim17ROCPRIM_400000_NS6detail17trampoline_kernelINS0_14default_configENS1_20scan_config_selectorIdEEZZNS1_9scan_implILNS1_25lookback_scan_determinismE0ELb0ELb0ES3_N6thrust23THRUST_200600_302600_NS6detail15normal_iteratorINS9_10device_ptrIdEEEENS9_16discard_iteratorINS9_11use_defaultEEEdNS9_4plusIvEEdEEDaPvRmT3_T4_T5_mT6_P12ihipStream_tbENKUlT_T0_E_clISt17integral_constantIbLb1EESW_IbLb0EEEEDaSS_ST_EUlSS_E0_NS1_11comp_targetILNS1_3genE10ELNS1_11target_archE1201ELNS1_3gpuE5ELNS1_3repE0EEENS1_30default_config_static_selectorELNS0_4arch9wavefront6targetE1EEEvT1_
	.p2align	8
	.type	_ZN7rocprim17ROCPRIM_400000_NS6detail17trampoline_kernelINS0_14default_configENS1_20scan_config_selectorIdEEZZNS1_9scan_implILNS1_25lookback_scan_determinismE0ELb0ELb0ES3_N6thrust23THRUST_200600_302600_NS6detail15normal_iteratorINS9_10device_ptrIdEEEENS9_16discard_iteratorINS9_11use_defaultEEEdNS9_4plusIvEEdEEDaPvRmT3_T4_T5_mT6_P12ihipStream_tbENKUlT_T0_E_clISt17integral_constantIbLb1EESW_IbLb0EEEEDaSS_ST_EUlSS_E0_NS1_11comp_targetILNS1_3genE10ELNS1_11target_archE1201ELNS1_3gpuE5ELNS1_3repE0EEENS1_30default_config_static_selectorELNS0_4arch9wavefront6targetE1EEEvT1_,@function
_ZN7rocprim17ROCPRIM_400000_NS6detail17trampoline_kernelINS0_14default_configENS1_20scan_config_selectorIdEEZZNS1_9scan_implILNS1_25lookback_scan_determinismE0ELb0ELb0ES3_N6thrust23THRUST_200600_302600_NS6detail15normal_iteratorINS9_10device_ptrIdEEEENS9_16discard_iteratorINS9_11use_defaultEEEdNS9_4plusIvEEdEEDaPvRmT3_T4_T5_mT6_P12ihipStream_tbENKUlT_T0_E_clISt17integral_constantIbLb1EESW_IbLb0EEEEDaSS_ST_EUlSS_E0_NS1_11comp_targetILNS1_3genE10ELNS1_11target_archE1201ELNS1_3gpuE5ELNS1_3repE0EEENS1_30default_config_static_selectorELNS0_4arch9wavefront6targetE1EEEvT1_: ; @_ZN7rocprim17ROCPRIM_400000_NS6detail17trampoline_kernelINS0_14default_configENS1_20scan_config_selectorIdEEZZNS1_9scan_implILNS1_25lookback_scan_determinismE0ELb0ELb0ES3_N6thrust23THRUST_200600_302600_NS6detail15normal_iteratorINS9_10device_ptrIdEEEENS9_16discard_iteratorINS9_11use_defaultEEEdNS9_4plusIvEEdEEDaPvRmT3_T4_T5_mT6_P12ihipStream_tbENKUlT_T0_E_clISt17integral_constantIbLb1EESW_IbLb0EEEEDaSS_ST_EUlSS_E0_NS1_11comp_targetILNS1_3genE10ELNS1_11target_archE1201ELNS1_3gpuE5ELNS1_3repE0EEENS1_30default_config_static_selectorELNS0_4arch9wavefront6targetE1EEEvT1_
; %bb.0:
	.section	.rodata,"a",@progbits
	.p2align	6, 0x0
	.amdhsa_kernel _ZN7rocprim17ROCPRIM_400000_NS6detail17trampoline_kernelINS0_14default_configENS1_20scan_config_selectorIdEEZZNS1_9scan_implILNS1_25lookback_scan_determinismE0ELb0ELb0ES3_N6thrust23THRUST_200600_302600_NS6detail15normal_iteratorINS9_10device_ptrIdEEEENS9_16discard_iteratorINS9_11use_defaultEEEdNS9_4plusIvEEdEEDaPvRmT3_T4_T5_mT6_P12ihipStream_tbENKUlT_T0_E_clISt17integral_constantIbLb1EESW_IbLb0EEEEDaSS_ST_EUlSS_E0_NS1_11comp_targetILNS1_3genE10ELNS1_11target_archE1201ELNS1_3gpuE5ELNS1_3repE0EEENS1_30default_config_static_selectorELNS0_4arch9wavefront6targetE1EEEvT1_
		.amdhsa_group_segment_fixed_size 0
		.amdhsa_private_segment_fixed_size 0
		.amdhsa_kernarg_size 48
		.amdhsa_user_sgpr_count 6
		.amdhsa_user_sgpr_private_segment_buffer 1
		.amdhsa_user_sgpr_dispatch_ptr 0
		.amdhsa_user_sgpr_queue_ptr 0
		.amdhsa_user_sgpr_kernarg_segment_ptr 1
		.amdhsa_user_sgpr_dispatch_id 0
		.amdhsa_user_sgpr_flat_scratch_init 0
		.amdhsa_user_sgpr_kernarg_preload_length 0
		.amdhsa_user_sgpr_kernarg_preload_offset 0
		.amdhsa_user_sgpr_private_segment_size 0
		.amdhsa_uses_dynamic_stack 0
		.amdhsa_system_sgpr_private_segment_wavefront_offset 0
		.amdhsa_system_sgpr_workgroup_id_x 1
		.amdhsa_system_sgpr_workgroup_id_y 0
		.amdhsa_system_sgpr_workgroup_id_z 0
		.amdhsa_system_sgpr_workgroup_info 0
		.amdhsa_system_vgpr_workitem_id 0
		.amdhsa_next_free_vgpr 1
		.amdhsa_next_free_sgpr 0
		.amdhsa_accum_offset 4
		.amdhsa_reserve_vcc 0
		.amdhsa_reserve_flat_scratch 0
		.amdhsa_float_round_mode_32 0
		.amdhsa_float_round_mode_16_64 0
		.amdhsa_float_denorm_mode_32 3
		.amdhsa_float_denorm_mode_16_64 3
		.amdhsa_dx10_clamp 1
		.amdhsa_ieee_mode 1
		.amdhsa_fp16_overflow 0
		.amdhsa_tg_split 0
		.amdhsa_exception_fp_ieee_invalid_op 0
		.amdhsa_exception_fp_denorm_src 0
		.amdhsa_exception_fp_ieee_div_zero 0
		.amdhsa_exception_fp_ieee_overflow 0
		.amdhsa_exception_fp_ieee_underflow 0
		.amdhsa_exception_fp_ieee_inexact 0
		.amdhsa_exception_int_div_zero 0
	.end_amdhsa_kernel
	.section	.text._ZN7rocprim17ROCPRIM_400000_NS6detail17trampoline_kernelINS0_14default_configENS1_20scan_config_selectorIdEEZZNS1_9scan_implILNS1_25lookback_scan_determinismE0ELb0ELb0ES3_N6thrust23THRUST_200600_302600_NS6detail15normal_iteratorINS9_10device_ptrIdEEEENS9_16discard_iteratorINS9_11use_defaultEEEdNS9_4plusIvEEdEEDaPvRmT3_T4_T5_mT6_P12ihipStream_tbENKUlT_T0_E_clISt17integral_constantIbLb1EESW_IbLb0EEEEDaSS_ST_EUlSS_E0_NS1_11comp_targetILNS1_3genE10ELNS1_11target_archE1201ELNS1_3gpuE5ELNS1_3repE0EEENS1_30default_config_static_selectorELNS0_4arch9wavefront6targetE1EEEvT1_,"axG",@progbits,_ZN7rocprim17ROCPRIM_400000_NS6detail17trampoline_kernelINS0_14default_configENS1_20scan_config_selectorIdEEZZNS1_9scan_implILNS1_25lookback_scan_determinismE0ELb0ELb0ES3_N6thrust23THRUST_200600_302600_NS6detail15normal_iteratorINS9_10device_ptrIdEEEENS9_16discard_iteratorINS9_11use_defaultEEEdNS9_4plusIvEEdEEDaPvRmT3_T4_T5_mT6_P12ihipStream_tbENKUlT_T0_E_clISt17integral_constantIbLb1EESW_IbLb0EEEEDaSS_ST_EUlSS_E0_NS1_11comp_targetILNS1_3genE10ELNS1_11target_archE1201ELNS1_3gpuE5ELNS1_3repE0EEENS1_30default_config_static_selectorELNS0_4arch9wavefront6targetE1EEEvT1_,comdat
.Lfunc_end4912:
	.size	_ZN7rocprim17ROCPRIM_400000_NS6detail17trampoline_kernelINS0_14default_configENS1_20scan_config_selectorIdEEZZNS1_9scan_implILNS1_25lookback_scan_determinismE0ELb0ELb0ES3_N6thrust23THRUST_200600_302600_NS6detail15normal_iteratorINS9_10device_ptrIdEEEENS9_16discard_iteratorINS9_11use_defaultEEEdNS9_4plusIvEEdEEDaPvRmT3_T4_T5_mT6_P12ihipStream_tbENKUlT_T0_E_clISt17integral_constantIbLb1EESW_IbLb0EEEEDaSS_ST_EUlSS_E0_NS1_11comp_targetILNS1_3genE10ELNS1_11target_archE1201ELNS1_3gpuE5ELNS1_3repE0EEENS1_30default_config_static_selectorELNS0_4arch9wavefront6targetE1EEEvT1_, .Lfunc_end4912-_ZN7rocprim17ROCPRIM_400000_NS6detail17trampoline_kernelINS0_14default_configENS1_20scan_config_selectorIdEEZZNS1_9scan_implILNS1_25lookback_scan_determinismE0ELb0ELb0ES3_N6thrust23THRUST_200600_302600_NS6detail15normal_iteratorINS9_10device_ptrIdEEEENS9_16discard_iteratorINS9_11use_defaultEEEdNS9_4plusIvEEdEEDaPvRmT3_T4_T5_mT6_P12ihipStream_tbENKUlT_T0_E_clISt17integral_constantIbLb1EESW_IbLb0EEEEDaSS_ST_EUlSS_E0_NS1_11comp_targetILNS1_3genE10ELNS1_11target_archE1201ELNS1_3gpuE5ELNS1_3repE0EEENS1_30default_config_static_selectorELNS0_4arch9wavefront6targetE1EEEvT1_
                                        ; -- End function
	.section	.AMDGPU.csdata,"",@progbits
; Kernel info:
; codeLenInByte = 0
; NumSgprs: 4
; NumVgprs: 0
; NumAgprs: 0
; TotalNumVgprs: 0
; ScratchSize: 0
; MemoryBound: 0
; FloatMode: 240
; IeeeMode: 1
; LDSByteSize: 0 bytes/workgroup (compile time only)
; SGPRBlocks: 0
; VGPRBlocks: 0
; NumSGPRsForWavesPerEU: 4
; NumVGPRsForWavesPerEU: 1
; AccumOffset: 4
; Occupancy: 8
; WaveLimiterHint : 0
; COMPUTE_PGM_RSRC2:SCRATCH_EN: 0
; COMPUTE_PGM_RSRC2:USER_SGPR: 6
; COMPUTE_PGM_RSRC2:TRAP_HANDLER: 0
; COMPUTE_PGM_RSRC2:TGID_X_EN: 1
; COMPUTE_PGM_RSRC2:TGID_Y_EN: 0
; COMPUTE_PGM_RSRC2:TGID_Z_EN: 0
; COMPUTE_PGM_RSRC2:TIDIG_COMP_CNT: 0
; COMPUTE_PGM_RSRC3_GFX90A:ACCUM_OFFSET: 0
; COMPUTE_PGM_RSRC3_GFX90A:TG_SPLIT: 0
	.section	.text._ZN7rocprim17ROCPRIM_400000_NS6detail17trampoline_kernelINS0_14default_configENS1_20scan_config_selectorIdEEZZNS1_9scan_implILNS1_25lookback_scan_determinismE0ELb0ELb0ES3_N6thrust23THRUST_200600_302600_NS6detail15normal_iteratorINS9_10device_ptrIdEEEENS9_16discard_iteratorINS9_11use_defaultEEEdNS9_4plusIvEEdEEDaPvRmT3_T4_T5_mT6_P12ihipStream_tbENKUlT_T0_E_clISt17integral_constantIbLb1EESW_IbLb0EEEEDaSS_ST_EUlSS_E0_NS1_11comp_targetILNS1_3genE10ELNS1_11target_archE1200ELNS1_3gpuE4ELNS1_3repE0EEENS1_30default_config_static_selectorELNS0_4arch9wavefront6targetE1EEEvT1_,"axG",@progbits,_ZN7rocprim17ROCPRIM_400000_NS6detail17trampoline_kernelINS0_14default_configENS1_20scan_config_selectorIdEEZZNS1_9scan_implILNS1_25lookback_scan_determinismE0ELb0ELb0ES3_N6thrust23THRUST_200600_302600_NS6detail15normal_iteratorINS9_10device_ptrIdEEEENS9_16discard_iteratorINS9_11use_defaultEEEdNS9_4plusIvEEdEEDaPvRmT3_T4_T5_mT6_P12ihipStream_tbENKUlT_T0_E_clISt17integral_constantIbLb1EESW_IbLb0EEEEDaSS_ST_EUlSS_E0_NS1_11comp_targetILNS1_3genE10ELNS1_11target_archE1200ELNS1_3gpuE4ELNS1_3repE0EEENS1_30default_config_static_selectorELNS0_4arch9wavefront6targetE1EEEvT1_,comdat
	.protected	_ZN7rocprim17ROCPRIM_400000_NS6detail17trampoline_kernelINS0_14default_configENS1_20scan_config_selectorIdEEZZNS1_9scan_implILNS1_25lookback_scan_determinismE0ELb0ELb0ES3_N6thrust23THRUST_200600_302600_NS6detail15normal_iteratorINS9_10device_ptrIdEEEENS9_16discard_iteratorINS9_11use_defaultEEEdNS9_4plusIvEEdEEDaPvRmT3_T4_T5_mT6_P12ihipStream_tbENKUlT_T0_E_clISt17integral_constantIbLb1EESW_IbLb0EEEEDaSS_ST_EUlSS_E0_NS1_11comp_targetILNS1_3genE10ELNS1_11target_archE1200ELNS1_3gpuE4ELNS1_3repE0EEENS1_30default_config_static_selectorELNS0_4arch9wavefront6targetE1EEEvT1_ ; -- Begin function _ZN7rocprim17ROCPRIM_400000_NS6detail17trampoline_kernelINS0_14default_configENS1_20scan_config_selectorIdEEZZNS1_9scan_implILNS1_25lookback_scan_determinismE0ELb0ELb0ES3_N6thrust23THRUST_200600_302600_NS6detail15normal_iteratorINS9_10device_ptrIdEEEENS9_16discard_iteratorINS9_11use_defaultEEEdNS9_4plusIvEEdEEDaPvRmT3_T4_T5_mT6_P12ihipStream_tbENKUlT_T0_E_clISt17integral_constantIbLb1EESW_IbLb0EEEEDaSS_ST_EUlSS_E0_NS1_11comp_targetILNS1_3genE10ELNS1_11target_archE1200ELNS1_3gpuE4ELNS1_3repE0EEENS1_30default_config_static_selectorELNS0_4arch9wavefront6targetE1EEEvT1_
	.globl	_ZN7rocprim17ROCPRIM_400000_NS6detail17trampoline_kernelINS0_14default_configENS1_20scan_config_selectorIdEEZZNS1_9scan_implILNS1_25lookback_scan_determinismE0ELb0ELb0ES3_N6thrust23THRUST_200600_302600_NS6detail15normal_iteratorINS9_10device_ptrIdEEEENS9_16discard_iteratorINS9_11use_defaultEEEdNS9_4plusIvEEdEEDaPvRmT3_T4_T5_mT6_P12ihipStream_tbENKUlT_T0_E_clISt17integral_constantIbLb1EESW_IbLb0EEEEDaSS_ST_EUlSS_E0_NS1_11comp_targetILNS1_3genE10ELNS1_11target_archE1200ELNS1_3gpuE4ELNS1_3repE0EEENS1_30default_config_static_selectorELNS0_4arch9wavefront6targetE1EEEvT1_
	.p2align	8
	.type	_ZN7rocprim17ROCPRIM_400000_NS6detail17trampoline_kernelINS0_14default_configENS1_20scan_config_selectorIdEEZZNS1_9scan_implILNS1_25lookback_scan_determinismE0ELb0ELb0ES3_N6thrust23THRUST_200600_302600_NS6detail15normal_iteratorINS9_10device_ptrIdEEEENS9_16discard_iteratorINS9_11use_defaultEEEdNS9_4plusIvEEdEEDaPvRmT3_T4_T5_mT6_P12ihipStream_tbENKUlT_T0_E_clISt17integral_constantIbLb1EESW_IbLb0EEEEDaSS_ST_EUlSS_E0_NS1_11comp_targetILNS1_3genE10ELNS1_11target_archE1200ELNS1_3gpuE4ELNS1_3repE0EEENS1_30default_config_static_selectorELNS0_4arch9wavefront6targetE1EEEvT1_,@function
_ZN7rocprim17ROCPRIM_400000_NS6detail17trampoline_kernelINS0_14default_configENS1_20scan_config_selectorIdEEZZNS1_9scan_implILNS1_25lookback_scan_determinismE0ELb0ELb0ES3_N6thrust23THRUST_200600_302600_NS6detail15normal_iteratorINS9_10device_ptrIdEEEENS9_16discard_iteratorINS9_11use_defaultEEEdNS9_4plusIvEEdEEDaPvRmT3_T4_T5_mT6_P12ihipStream_tbENKUlT_T0_E_clISt17integral_constantIbLb1EESW_IbLb0EEEEDaSS_ST_EUlSS_E0_NS1_11comp_targetILNS1_3genE10ELNS1_11target_archE1200ELNS1_3gpuE4ELNS1_3repE0EEENS1_30default_config_static_selectorELNS0_4arch9wavefront6targetE1EEEvT1_: ; @_ZN7rocprim17ROCPRIM_400000_NS6detail17trampoline_kernelINS0_14default_configENS1_20scan_config_selectorIdEEZZNS1_9scan_implILNS1_25lookback_scan_determinismE0ELb0ELb0ES3_N6thrust23THRUST_200600_302600_NS6detail15normal_iteratorINS9_10device_ptrIdEEEENS9_16discard_iteratorINS9_11use_defaultEEEdNS9_4plusIvEEdEEDaPvRmT3_T4_T5_mT6_P12ihipStream_tbENKUlT_T0_E_clISt17integral_constantIbLb1EESW_IbLb0EEEEDaSS_ST_EUlSS_E0_NS1_11comp_targetILNS1_3genE10ELNS1_11target_archE1200ELNS1_3gpuE4ELNS1_3repE0EEENS1_30default_config_static_selectorELNS0_4arch9wavefront6targetE1EEEvT1_
; %bb.0:
	.section	.rodata,"a",@progbits
	.p2align	6, 0x0
	.amdhsa_kernel _ZN7rocprim17ROCPRIM_400000_NS6detail17trampoline_kernelINS0_14default_configENS1_20scan_config_selectorIdEEZZNS1_9scan_implILNS1_25lookback_scan_determinismE0ELb0ELb0ES3_N6thrust23THRUST_200600_302600_NS6detail15normal_iteratorINS9_10device_ptrIdEEEENS9_16discard_iteratorINS9_11use_defaultEEEdNS9_4plusIvEEdEEDaPvRmT3_T4_T5_mT6_P12ihipStream_tbENKUlT_T0_E_clISt17integral_constantIbLb1EESW_IbLb0EEEEDaSS_ST_EUlSS_E0_NS1_11comp_targetILNS1_3genE10ELNS1_11target_archE1200ELNS1_3gpuE4ELNS1_3repE0EEENS1_30default_config_static_selectorELNS0_4arch9wavefront6targetE1EEEvT1_
		.amdhsa_group_segment_fixed_size 0
		.amdhsa_private_segment_fixed_size 0
		.amdhsa_kernarg_size 48
		.amdhsa_user_sgpr_count 6
		.amdhsa_user_sgpr_private_segment_buffer 1
		.amdhsa_user_sgpr_dispatch_ptr 0
		.amdhsa_user_sgpr_queue_ptr 0
		.amdhsa_user_sgpr_kernarg_segment_ptr 1
		.amdhsa_user_sgpr_dispatch_id 0
		.amdhsa_user_sgpr_flat_scratch_init 0
		.amdhsa_user_sgpr_kernarg_preload_length 0
		.amdhsa_user_sgpr_kernarg_preload_offset 0
		.amdhsa_user_sgpr_private_segment_size 0
		.amdhsa_uses_dynamic_stack 0
		.amdhsa_system_sgpr_private_segment_wavefront_offset 0
		.amdhsa_system_sgpr_workgroup_id_x 1
		.amdhsa_system_sgpr_workgroup_id_y 0
		.amdhsa_system_sgpr_workgroup_id_z 0
		.amdhsa_system_sgpr_workgroup_info 0
		.amdhsa_system_vgpr_workitem_id 0
		.amdhsa_next_free_vgpr 1
		.amdhsa_next_free_sgpr 0
		.amdhsa_accum_offset 4
		.amdhsa_reserve_vcc 0
		.amdhsa_reserve_flat_scratch 0
		.amdhsa_float_round_mode_32 0
		.amdhsa_float_round_mode_16_64 0
		.amdhsa_float_denorm_mode_32 3
		.amdhsa_float_denorm_mode_16_64 3
		.amdhsa_dx10_clamp 1
		.amdhsa_ieee_mode 1
		.amdhsa_fp16_overflow 0
		.amdhsa_tg_split 0
		.amdhsa_exception_fp_ieee_invalid_op 0
		.amdhsa_exception_fp_denorm_src 0
		.amdhsa_exception_fp_ieee_div_zero 0
		.amdhsa_exception_fp_ieee_overflow 0
		.amdhsa_exception_fp_ieee_underflow 0
		.amdhsa_exception_fp_ieee_inexact 0
		.amdhsa_exception_int_div_zero 0
	.end_amdhsa_kernel
	.section	.text._ZN7rocprim17ROCPRIM_400000_NS6detail17trampoline_kernelINS0_14default_configENS1_20scan_config_selectorIdEEZZNS1_9scan_implILNS1_25lookback_scan_determinismE0ELb0ELb0ES3_N6thrust23THRUST_200600_302600_NS6detail15normal_iteratorINS9_10device_ptrIdEEEENS9_16discard_iteratorINS9_11use_defaultEEEdNS9_4plusIvEEdEEDaPvRmT3_T4_T5_mT6_P12ihipStream_tbENKUlT_T0_E_clISt17integral_constantIbLb1EESW_IbLb0EEEEDaSS_ST_EUlSS_E0_NS1_11comp_targetILNS1_3genE10ELNS1_11target_archE1200ELNS1_3gpuE4ELNS1_3repE0EEENS1_30default_config_static_selectorELNS0_4arch9wavefront6targetE1EEEvT1_,"axG",@progbits,_ZN7rocprim17ROCPRIM_400000_NS6detail17trampoline_kernelINS0_14default_configENS1_20scan_config_selectorIdEEZZNS1_9scan_implILNS1_25lookback_scan_determinismE0ELb0ELb0ES3_N6thrust23THRUST_200600_302600_NS6detail15normal_iteratorINS9_10device_ptrIdEEEENS9_16discard_iteratorINS9_11use_defaultEEEdNS9_4plusIvEEdEEDaPvRmT3_T4_T5_mT6_P12ihipStream_tbENKUlT_T0_E_clISt17integral_constantIbLb1EESW_IbLb0EEEEDaSS_ST_EUlSS_E0_NS1_11comp_targetILNS1_3genE10ELNS1_11target_archE1200ELNS1_3gpuE4ELNS1_3repE0EEENS1_30default_config_static_selectorELNS0_4arch9wavefront6targetE1EEEvT1_,comdat
.Lfunc_end4913:
	.size	_ZN7rocprim17ROCPRIM_400000_NS6detail17trampoline_kernelINS0_14default_configENS1_20scan_config_selectorIdEEZZNS1_9scan_implILNS1_25lookback_scan_determinismE0ELb0ELb0ES3_N6thrust23THRUST_200600_302600_NS6detail15normal_iteratorINS9_10device_ptrIdEEEENS9_16discard_iteratorINS9_11use_defaultEEEdNS9_4plusIvEEdEEDaPvRmT3_T4_T5_mT6_P12ihipStream_tbENKUlT_T0_E_clISt17integral_constantIbLb1EESW_IbLb0EEEEDaSS_ST_EUlSS_E0_NS1_11comp_targetILNS1_3genE10ELNS1_11target_archE1200ELNS1_3gpuE4ELNS1_3repE0EEENS1_30default_config_static_selectorELNS0_4arch9wavefront6targetE1EEEvT1_, .Lfunc_end4913-_ZN7rocprim17ROCPRIM_400000_NS6detail17trampoline_kernelINS0_14default_configENS1_20scan_config_selectorIdEEZZNS1_9scan_implILNS1_25lookback_scan_determinismE0ELb0ELb0ES3_N6thrust23THRUST_200600_302600_NS6detail15normal_iteratorINS9_10device_ptrIdEEEENS9_16discard_iteratorINS9_11use_defaultEEEdNS9_4plusIvEEdEEDaPvRmT3_T4_T5_mT6_P12ihipStream_tbENKUlT_T0_E_clISt17integral_constantIbLb1EESW_IbLb0EEEEDaSS_ST_EUlSS_E0_NS1_11comp_targetILNS1_3genE10ELNS1_11target_archE1200ELNS1_3gpuE4ELNS1_3repE0EEENS1_30default_config_static_selectorELNS0_4arch9wavefront6targetE1EEEvT1_
                                        ; -- End function
	.section	.AMDGPU.csdata,"",@progbits
; Kernel info:
; codeLenInByte = 0
; NumSgprs: 4
; NumVgprs: 0
; NumAgprs: 0
; TotalNumVgprs: 0
; ScratchSize: 0
; MemoryBound: 0
; FloatMode: 240
; IeeeMode: 1
; LDSByteSize: 0 bytes/workgroup (compile time only)
; SGPRBlocks: 0
; VGPRBlocks: 0
; NumSGPRsForWavesPerEU: 4
; NumVGPRsForWavesPerEU: 1
; AccumOffset: 4
; Occupancy: 8
; WaveLimiterHint : 0
; COMPUTE_PGM_RSRC2:SCRATCH_EN: 0
; COMPUTE_PGM_RSRC2:USER_SGPR: 6
; COMPUTE_PGM_RSRC2:TRAP_HANDLER: 0
; COMPUTE_PGM_RSRC2:TGID_X_EN: 1
; COMPUTE_PGM_RSRC2:TGID_Y_EN: 0
; COMPUTE_PGM_RSRC2:TGID_Z_EN: 0
; COMPUTE_PGM_RSRC2:TIDIG_COMP_CNT: 0
; COMPUTE_PGM_RSRC3_GFX90A:ACCUM_OFFSET: 0
; COMPUTE_PGM_RSRC3_GFX90A:TG_SPLIT: 0
	.section	.text._ZN7rocprim17ROCPRIM_400000_NS6detail17trampoline_kernelINS0_14default_configENS1_20scan_config_selectorIdEEZZNS1_9scan_implILNS1_25lookback_scan_determinismE0ELb0ELb0ES3_N6thrust23THRUST_200600_302600_NS6detail15normal_iteratorINS9_10device_ptrIdEEEENS9_16discard_iteratorINS9_11use_defaultEEEdNS9_4plusIvEEdEEDaPvRmT3_T4_T5_mT6_P12ihipStream_tbENKUlT_T0_E_clISt17integral_constantIbLb1EESW_IbLb0EEEEDaSS_ST_EUlSS_E0_NS1_11comp_targetILNS1_3genE9ELNS1_11target_archE1100ELNS1_3gpuE3ELNS1_3repE0EEENS1_30default_config_static_selectorELNS0_4arch9wavefront6targetE1EEEvT1_,"axG",@progbits,_ZN7rocprim17ROCPRIM_400000_NS6detail17trampoline_kernelINS0_14default_configENS1_20scan_config_selectorIdEEZZNS1_9scan_implILNS1_25lookback_scan_determinismE0ELb0ELb0ES3_N6thrust23THRUST_200600_302600_NS6detail15normal_iteratorINS9_10device_ptrIdEEEENS9_16discard_iteratorINS9_11use_defaultEEEdNS9_4plusIvEEdEEDaPvRmT3_T4_T5_mT6_P12ihipStream_tbENKUlT_T0_E_clISt17integral_constantIbLb1EESW_IbLb0EEEEDaSS_ST_EUlSS_E0_NS1_11comp_targetILNS1_3genE9ELNS1_11target_archE1100ELNS1_3gpuE3ELNS1_3repE0EEENS1_30default_config_static_selectorELNS0_4arch9wavefront6targetE1EEEvT1_,comdat
	.protected	_ZN7rocprim17ROCPRIM_400000_NS6detail17trampoline_kernelINS0_14default_configENS1_20scan_config_selectorIdEEZZNS1_9scan_implILNS1_25lookback_scan_determinismE0ELb0ELb0ES3_N6thrust23THRUST_200600_302600_NS6detail15normal_iteratorINS9_10device_ptrIdEEEENS9_16discard_iteratorINS9_11use_defaultEEEdNS9_4plusIvEEdEEDaPvRmT3_T4_T5_mT6_P12ihipStream_tbENKUlT_T0_E_clISt17integral_constantIbLb1EESW_IbLb0EEEEDaSS_ST_EUlSS_E0_NS1_11comp_targetILNS1_3genE9ELNS1_11target_archE1100ELNS1_3gpuE3ELNS1_3repE0EEENS1_30default_config_static_selectorELNS0_4arch9wavefront6targetE1EEEvT1_ ; -- Begin function _ZN7rocprim17ROCPRIM_400000_NS6detail17trampoline_kernelINS0_14default_configENS1_20scan_config_selectorIdEEZZNS1_9scan_implILNS1_25lookback_scan_determinismE0ELb0ELb0ES3_N6thrust23THRUST_200600_302600_NS6detail15normal_iteratorINS9_10device_ptrIdEEEENS9_16discard_iteratorINS9_11use_defaultEEEdNS9_4plusIvEEdEEDaPvRmT3_T4_T5_mT6_P12ihipStream_tbENKUlT_T0_E_clISt17integral_constantIbLb1EESW_IbLb0EEEEDaSS_ST_EUlSS_E0_NS1_11comp_targetILNS1_3genE9ELNS1_11target_archE1100ELNS1_3gpuE3ELNS1_3repE0EEENS1_30default_config_static_selectorELNS0_4arch9wavefront6targetE1EEEvT1_
	.globl	_ZN7rocprim17ROCPRIM_400000_NS6detail17trampoline_kernelINS0_14default_configENS1_20scan_config_selectorIdEEZZNS1_9scan_implILNS1_25lookback_scan_determinismE0ELb0ELb0ES3_N6thrust23THRUST_200600_302600_NS6detail15normal_iteratorINS9_10device_ptrIdEEEENS9_16discard_iteratorINS9_11use_defaultEEEdNS9_4plusIvEEdEEDaPvRmT3_T4_T5_mT6_P12ihipStream_tbENKUlT_T0_E_clISt17integral_constantIbLb1EESW_IbLb0EEEEDaSS_ST_EUlSS_E0_NS1_11comp_targetILNS1_3genE9ELNS1_11target_archE1100ELNS1_3gpuE3ELNS1_3repE0EEENS1_30default_config_static_selectorELNS0_4arch9wavefront6targetE1EEEvT1_
	.p2align	8
	.type	_ZN7rocprim17ROCPRIM_400000_NS6detail17trampoline_kernelINS0_14default_configENS1_20scan_config_selectorIdEEZZNS1_9scan_implILNS1_25lookback_scan_determinismE0ELb0ELb0ES3_N6thrust23THRUST_200600_302600_NS6detail15normal_iteratorINS9_10device_ptrIdEEEENS9_16discard_iteratorINS9_11use_defaultEEEdNS9_4plusIvEEdEEDaPvRmT3_T4_T5_mT6_P12ihipStream_tbENKUlT_T0_E_clISt17integral_constantIbLb1EESW_IbLb0EEEEDaSS_ST_EUlSS_E0_NS1_11comp_targetILNS1_3genE9ELNS1_11target_archE1100ELNS1_3gpuE3ELNS1_3repE0EEENS1_30default_config_static_selectorELNS0_4arch9wavefront6targetE1EEEvT1_,@function
_ZN7rocprim17ROCPRIM_400000_NS6detail17trampoline_kernelINS0_14default_configENS1_20scan_config_selectorIdEEZZNS1_9scan_implILNS1_25lookback_scan_determinismE0ELb0ELb0ES3_N6thrust23THRUST_200600_302600_NS6detail15normal_iteratorINS9_10device_ptrIdEEEENS9_16discard_iteratorINS9_11use_defaultEEEdNS9_4plusIvEEdEEDaPvRmT3_T4_T5_mT6_P12ihipStream_tbENKUlT_T0_E_clISt17integral_constantIbLb1EESW_IbLb0EEEEDaSS_ST_EUlSS_E0_NS1_11comp_targetILNS1_3genE9ELNS1_11target_archE1100ELNS1_3gpuE3ELNS1_3repE0EEENS1_30default_config_static_selectorELNS0_4arch9wavefront6targetE1EEEvT1_: ; @_ZN7rocprim17ROCPRIM_400000_NS6detail17trampoline_kernelINS0_14default_configENS1_20scan_config_selectorIdEEZZNS1_9scan_implILNS1_25lookback_scan_determinismE0ELb0ELb0ES3_N6thrust23THRUST_200600_302600_NS6detail15normal_iteratorINS9_10device_ptrIdEEEENS9_16discard_iteratorINS9_11use_defaultEEEdNS9_4plusIvEEdEEDaPvRmT3_T4_T5_mT6_P12ihipStream_tbENKUlT_T0_E_clISt17integral_constantIbLb1EESW_IbLb0EEEEDaSS_ST_EUlSS_E0_NS1_11comp_targetILNS1_3genE9ELNS1_11target_archE1100ELNS1_3gpuE3ELNS1_3repE0EEENS1_30default_config_static_selectorELNS0_4arch9wavefront6targetE1EEEvT1_
; %bb.0:
	.section	.rodata,"a",@progbits
	.p2align	6, 0x0
	.amdhsa_kernel _ZN7rocprim17ROCPRIM_400000_NS6detail17trampoline_kernelINS0_14default_configENS1_20scan_config_selectorIdEEZZNS1_9scan_implILNS1_25lookback_scan_determinismE0ELb0ELb0ES3_N6thrust23THRUST_200600_302600_NS6detail15normal_iteratorINS9_10device_ptrIdEEEENS9_16discard_iteratorINS9_11use_defaultEEEdNS9_4plusIvEEdEEDaPvRmT3_T4_T5_mT6_P12ihipStream_tbENKUlT_T0_E_clISt17integral_constantIbLb1EESW_IbLb0EEEEDaSS_ST_EUlSS_E0_NS1_11comp_targetILNS1_3genE9ELNS1_11target_archE1100ELNS1_3gpuE3ELNS1_3repE0EEENS1_30default_config_static_selectorELNS0_4arch9wavefront6targetE1EEEvT1_
		.amdhsa_group_segment_fixed_size 0
		.amdhsa_private_segment_fixed_size 0
		.amdhsa_kernarg_size 48
		.amdhsa_user_sgpr_count 6
		.amdhsa_user_sgpr_private_segment_buffer 1
		.amdhsa_user_sgpr_dispatch_ptr 0
		.amdhsa_user_sgpr_queue_ptr 0
		.amdhsa_user_sgpr_kernarg_segment_ptr 1
		.amdhsa_user_sgpr_dispatch_id 0
		.amdhsa_user_sgpr_flat_scratch_init 0
		.amdhsa_user_sgpr_kernarg_preload_length 0
		.amdhsa_user_sgpr_kernarg_preload_offset 0
		.amdhsa_user_sgpr_private_segment_size 0
		.amdhsa_uses_dynamic_stack 0
		.amdhsa_system_sgpr_private_segment_wavefront_offset 0
		.amdhsa_system_sgpr_workgroup_id_x 1
		.amdhsa_system_sgpr_workgroup_id_y 0
		.amdhsa_system_sgpr_workgroup_id_z 0
		.amdhsa_system_sgpr_workgroup_info 0
		.amdhsa_system_vgpr_workitem_id 0
		.amdhsa_next_free_vgpr 1
		.amdhsa_next_free_sgpr 0
		.amdhsa_accum_offset 4
		.amdhsa_reserve_vcc 0
		.amdhsa_reserve_flat_scratch 0
		.amdhsa_float_round_mode_32 0
		.amdhsa_float_round_mode_16_64 0
		.amdhsa_float_denorm_mode_32 3
		.amdhsa_float_denorm_mode_16_64 3
		.amdhsa_dx10_clamp 1
		.amdhsa_ieee_mode 1
		.amdhsa_fp16_overflow 0
		.amdhsa_tg_split 0
		.amdhsa_exception_fp_ieee_invalid_op 0
		.amdhsa_exception_fp_denorm_src 0
		.amdhsa_exception_fp_ieee_div_zero 0
		.amdhsa_exception_fp_ieee_overflow 0
		.amdhsa_exception_fp_ieee_underflow 0
		.amdhsa_exception_fp_ieee_inexact 0
		.amdhsa_exception_int_div_zero 0
	.end_amdhsa_kernel
	.section	.text._ZN7rocprim17ROCPRIM_400000_NS6detail17trampoline_kernelINS0_14default_configENS1_20scan_config_selectorIdEEZZNS1_9scan_implILNS1_25lookback_scan_determinismE0ELb0ELb0ES3_N6thrust23THRUST_200600_302600_NS6detail15normal_iteratorINS9_10device_ptrIdEEEENS9_16discard_iteratorINS9_11use_defaultEEEdNS9_4plusIvEEdEEDaPvRmT3_T4_T5_mT6_P12ihipStream_tbENKUlT_T0_E_clISt17integral_constantIbLb1EESW_IbLb0EEEEDaSS_ST_EUlSS_E0_NS1_11comp_targetILNS1_3genE9ELNS1_11target_archE1100ELNS1_3gpuE3ELNS1_3repE0EEENS1_30default_config_static_selectorELNS0_4arch9wavefront6targetE1EEEvT1_,"axG",@progbits,_ZN7rocprim17ROCPRIM_400000_NS6detail17trampoline_kernelINS0_14default_configENS1_20scan_config_selectorIdEEZZNS1_9scan_implILNS1_25lookback_scan_determinismE0ELb0ELb0ES3_N6thrust23THRUST_200600_302600_NS6detail15normal_iteratorINS9_10device_ptrIdEEEENS9_16discard_iteratorINS9_11use_defaultEEEdNS9_4plusIvEEdEEDaPvRmT3_T4_T5_mT6_P12ihipStream_tbENKUlT_T0_E_clISt17integral_constantIbLb1EESW_IbLb0EEEEDaSS_ST_EUlSS_E0_NS1_11comp_targetILNS1_3genE9ELNS1_11target_archE1100ELNS1_3gpuE3ELNS1_3repE0EEENS1_30default_config_static_selectorELNS0_4arch9wavefront6targetE1EEEvT1_,comdat
.Lfunc_end4914:
	.size	_ZN7rocprim17ROCPRIM_400000_NS6detail17trampoline_kernelINS0_14default_configENS1_20scan_config_selectorIdEEZZNS1_9scan_implILNS1_25lookback_scan_determinismE0ELb0ELb0ES3_N6thrust23THRUST_200600_302600_NS6detail15normal_iteratorINS9_10device_ptrIdEEEENS9_16discard_iteratorINS9_11use_defaultEEEdNS9_4plusIvEEdEEDaPvRmT3_T4_T5_mT6_P12ihipStream_tbENKUlT_T0_E_clISt17integral_constantIbLb1EESW_IbLb0EEEEDaSS_ST_EUlSS_E0_NS1_11comp_targetILNS1_3genE9ELNS1_11target_archE1100ELNS1_3gpuE3ELNS1_3repE0EEENS1_30default_config_static_selectorELNS0_4arch9wavefront6targetE1EEEvT1_, .Lfunc_end4914-_ZN7rocprim17ROCPRIM_400000_NS6detail17trampoline_kernelINS0_14default_configENS1_20scan_config_selectorIdEEZZNS1_9scan_implILNS1_25lookback_scan_determinismE0ELb0ELb0ES3_N6thrust23THRUST_200600_302600_NS6detail15normal_iteratorINS9_10device_ptrIdEEEENS9_16discard_iteratorINS9_11use_defaultEEEdNS9_4plusIvEEdEEDaPvRmT3_T4_T5_mT6_P12ihipStream_tbENKUlT_T0_E_clISt17integral_constantIbLb1EESW_IbLb0EEEEDaSS_ST_EUlSS_E0_NS1_11comp_targetILNS1_3genE9ELNS1_11target_archE1100ELNS1_3gpuE3ELNS1_3repE0EEENS1_30default_config_static_selectorELNS0_4arch9wavefront6targetE1EEEvT1_
                                        ; -- End function
	.section	.AMDGPU.csdata,"",@progbits
; Kernel info:
; codeLenInByte = 0
; NumSgprs: 4
; NumVgprs: 0
; NumAgprs: 0
; TotalNumVgprs: 0
; ScratchSize: 0
; MemoryBound: 0
; FloatMode: 240
; IeeeMode: 1
; LDSByteSize: 0 bytes/workgroup (compile time only)
; SGPRBlocks: 0
; VGPRBlocks: 0
; NumSGPRsForWavesPerEU: 4
; NumVGPRsForWavesPerEU: 1
; AccumOffset: 4
; Occupancy: 8
; WaveLimiterHint : 0
; COMPUTE_PGM_RSRC2:SCRATCH_EN: 0
; COMPUTE_PGM_RSRC2:USER_SGPR: 6
; COMPUTE_PGM_RSRC2:TRAP_HANDLER: 0
; COMPUTE_PGM_RSRC2:TGID_X_EN: 1
; COMPUTE_PGM_RSRC2:TGID_Y_EN: 0
; COMPUTE_PGM_RSRC2:TGID_Z_EN: 0
; COMPUTE_PGM_RSRC2:TIDIG_COMP_CNT: 0
; COMPUTE_PGM_RSRC3_GFX90A:ACCUM_OFFSET: 0
; COMPUTE_PGM_RSRC3_GFX90A:TG_SPLIT: 0
	.section	.text._ZN7rocprim17ROCPRIM_400000_NS6detail17trampoline_kernelINS0_14default_configENS1_20scan_config_selectorIdEEZZNS1_9scan_implILNS1_25lookback_scan_determinismE0ELb0ELb0ES3_N6thrust23THRUST_200600_302600_NS6detail15normal_iteratorINS9_10device_ptrIdEEEENS9_16discard_iteratorINS9_11use_defaultEEEdNS9_4plusIvEEdEEDaPvRmT3_T4_T5_mT6_P12ihipStream_tbENKUlT_T0_E_clISt17integral_constantIbLb1EESW_IbLb0EEEEDaSS_ST_EUlSS_E0_NS1_11comp_targetILNS1_3genE8ELNS1_11target_archE1030ELNS1_3gpuE2ELNS1_3repE0EEENS1_30default_config_static_selectorELNS0_4arch9wavefront6targetE1EEEvT1_,"axG",@progbits,_ZN7rocprim17ROCPRIM_400000_NS6detail17trampoline_kernelINS0_14default_configENS1_20scan_config_selectorIdEEZZNS1_9scan_implILNS1_25lookback_scan_determinismE0ELb0ELb0ES3_N6thrust23THRUST_200600_302600_NS6detail15normal_iteratorINS9_10device_ptrIdEEEENS9_16discard_iteratorINS9_11use_defaultEEEdNS9_4plusIvEEdEEDaPvRmT3_T4_T5_mT6_P12ihipStream_tbENKUlT_T0_E_clISt17integral_constantIbLb1EESW_IbLb0EEEEDaSS_ST_EUlSS_E0_NS1_11comp_targetILNS1_3genE8ELNS1_11target_archE1030ELNS1_3gpuE2ELNS1_3repE0EEENS1_30default_config_static_selectorELNS0_4arch9wavefront6targetE1EEEvT1_,comdat
	.protected	_ZN7rocprim17ROCPRIM_400000_NS6detail17trampoline_kernelINS0_14default_configENS1_20scan_config_selectorIdEEZZNS1_9scan_implILNS1_25lookback_scan_determinismE0ELb0ELb0ES3_N6thrust23THRUST_200600_302600_NS6detail15normal_iteratorINS9_10device_ptrIdEEEENS9_16discard_iteratorINS9_11use_defaultEEEdNS9_4plusIvEEdEEDaPvRmT3_T4_T5_mT6_P12ihipStream_tbENKUlT_T0_E_clISt17integral_constantIbLb1EESW_IbLb0EEEEDaSS_ST_EUlSS_E0_NS1_11comp_targetILNS1_3genE8ELNS1_11target_archE1030ELNS1_3gpuE2ELNS1_3repE0EEENS1_30default_config_static_selectorELNS0_4arch9wavefront6targetE1EEEvT1_ ; -- Begin function _ZN7rocprim17ROCPRIM_400000_NS6detail17trampoline_kernelINS0_14default_configENS1_20scan_config_selectorIdEEZZNS1_9scan_implILNS1_25lookback_scan_determinismE0ELb0ELb0ES3_N6thrust23THRUST_200600_302600_NS6detail15normal_iteratorINS9_10device_ptrIdEEEENS9_16discard_iteratorINS9_11use_defaultEEEdNS9_4plusIvEEdEEDaPvRmT3_T4_T5_mT6_P12ihipStream_tbENKUlT_T0_E_clISt17integral_constantIbLb1EESW_IbLb0EEEEDaSS_ST_EUlSS_E0_NS1_11comp_targetILNS1_3genE8ELNS1_11target_archE1030ELNS1_3gpuE2ELNS1_3repE0EEENS1_30default_config_static_selectorELNS0_4arch9wavefront6targetE1EEEvT1_
	.globl	_ZN7rocprim17ROCPRIM_400000_NS6detail17trampoline_kernelINS0_14default_configENS1_20scan_config_selectorIdEEZZNS1_9scan_implILNS1_25lookback_scan_determinismE0ELb0ELb0ES3_N6thrust23THRUST_200600_302600_NS6detail15normal_iteratorINS9_10device_ptrIdEEEENS9_16discard_iteratorINS9_11use_defaultEEEdNS9_4plusIvEEdEEDaPvRmT3_T4_T5_mT6_P12ihipStream_tbENKUlT_T0_E_clISt17integral_constantIbLb1EESW_IbLb0EEEEDaSS_ST_EUlSS_E0_NS1_11comp_targetILNS1_3genE8ELNS1_11target_archE1030ELNS1_3gpuE2ELNS1_3repE0EEENS1_30default_config_static_selectorELNS0_4arch9wavefront6targetE1EEEvT1_
	.p2align	8
	.type	_ZN7rocprim17ROCPRIM_400000_NS6detail17trampoline_kernelINS0_14default_configENS1_20scan_config_selectorIdEEZZNS1_9scan_implILNS1_25lookback_scan_determinismE0ELb0ELb0ES3_N6thrust23THRUST_200600_302600_NS6detail15normal_iteratorINS9_10device_ptrIdEEEENS9_16discard_iteratorINS9_11use_defaultEEEdNS9_4plusIvEEdEEDaPvRmT3_T4_T5_mT6_P12ihipStream_tbENKUlT_T0_E_clISt17integral_constantIbLb1EESW_IbLb0EEEEDaSS_ST_EUlSS_E0_NS1_11comp_targetILNS1_3genE8ELNS1_11target_archE1030ELNS1_3gpuE2ELNS1_3repE0EEENS1_30default_config_static_selectorELNS0_4arch9wavefront6targetE1EEEvT1_,@function
_ZN7rocprim17ROCPRIM_400000_NS6detail17trampoline_kernelINS0_14default_configENS1_20scan_config_selectorIdEEZZNS1_9scan_implILNS1_25lookback_scan_determinismE0ELb0ELb0ES3_N6thrust23THRUST_200600_302600_NS6detail15normal_iteratorINS9_10device_ptrIdEEEENS9_16discard_iteratorINS9_11use_defaultEEEdNS9_4plusIvEEdEEDaPvRmT3_T4_T5_mT6_P12ihipStream_tbENKUlT_T0_E_clISt17integral_constantIbLb1EESW_IbLb0EEEEDaSS_ST_EUlSS_E0_NS1_11comp_targetILNS1_3genE8ELNS1_11target_archE1030ELNS1_3gpuE2ELNS1_3repE0EEENS1_30default_config_static_selectorELNS0_4arch9wavefront6targetE1EEEvT1_: ; @_ZN7rocprim17ROCPRIM_400000_NS6detail17trampoline_kernelINS0_14default_configENS1_20scan_config_selectorIdEEZZNS1_9scan_implILNS1_25lookback_scan_determinismE0ELb0ELb0ES3_N6thrust23THRUST_200600_302600_NS6detail15normal_iteratorINS9_10device_ptrIdEEEENS9_16discard_iteratorINS9_11use_defaultEEEdNS9_4plusIvEEdEEDaPvRmT3_T4_T5_mT6_P12ihipStream_tbENKUlT_T0_E_clISt17integral_constantIbLb1EESW_IbLb0EEEEDaSS_ST_EUlSS_E0_NS1_11comp_targetILNS1_3genE8ELNS1_11target_archE1030ELNS1_3gpuE2ELNS1_3repE0EEENS1_30default_config_static_selectorELNS0_4arch9wavefront6targetE1EEEvT1_
; %bb.0:
	.section	.rodata,"a",@progbits
	.p2align	6, 0x0
	.amdhsa_kernel _ZN7rocprim17ROCPRIM_400000_NS6detail17trampoline_kernelINS0_14default_configENS1_20scan_config_selectorIdEEZZNS1_9scan_implILNS1_25lookback_scan_determinismE0ELb0ELb0ES3_N6thrust23THRUST_200600_302600_NS6detail15normal_iteratorINS9_10device_ptrIdEEEENS9_16discard_iteratorINS9_11use_defaultEEEdNS9_4plusIvEEdEEDaPvRmT3_T4_T5_mT6_P12ihipStream_tbENKUlT_T0_E_clISt17integral_constantIbLb1EESW_IbLb0EEEEDaSS_ST_EUlSS_E0_NS1_11comp_targetILNS1_3genE8ELNS1_11target_archE1030ELNS1_3gpuE2ELNS1_3repE0EEENS1_30default_config_static_selectorELNS0_4arch9wavefront6targetE1EEEvT1_
		.amdhsa_group_segment_fixed_size 0
		.amdhsa_private_segment_fixed_size 0
		.amdhsa_kernarg_size 48
		.amdhsa_user_sgpr_count 6
		.amdhsa_user_sgpr_private_segment_buffer 1
		.amdhsa_user_sgpr_dispatch_ptr 0
		.amdhsa_user_sgpr_queue_ptr 0
		.amdhsa_user_sgpr_kernarg_segment_ptr 1
		.amdhsa_user_sgpr_dispatch_id 0
		.amdhsa_user_sgpr_flat_scratch_init 0
		.amdhsa_user_sgpr_kernarg_preload_length 0
		.amdhsa_user_sgpr_kernarg_preload_offset 0
		.amdhsa_user_sgpr_private_segment_size 0
		.amdhsa_uses_dynamic_stack 0
		.amdhsa_system_sgpr_private_segment_wavefront_offset 0
		.amdhsa_system_sgpr_workgroup_id_x 1
		.amdhsa_system_sgpr_workgroup_id_y 0
		.amdhsa_system_sgpr_workgroup_id_z 0
		.amdhsa_system_sgpr_workgroup_info 0
		.amdhsa_system_vgpr_workitem_id 0
		.amdhsa_next_free_vgpr 1
		.amdhsa_next_free_sgpr 0
		.amdhsa_accum_offset 4
		.amdhsa_reserve_vcc 0
		.amdhsa_reserve_flat_scratch 0
		.amdhsa_float_round_mode_32 0
		.amdhsa_float_round_mode_16_64 0
		.amdhsa_float_denorm_mode_32 3
		.amdhsa_float_denorm_mode_16_64 3
		.amdhsa_dx10_clamp 1
		.amdhsa_ieee_mode 1
		.amdhsa_fp16_overflow 0
		.amdhsa_tg_split 0
		.amdhsa_exception_fp_ieee_invalid_op 0
		.amdhsa_exception_fp_denorm_src 0
		.amdhsa_exception_fp_ieee_div_zero 0
		.amdhsa_exception_fp_ieee_overflow 0
		.amdhsa_exception_fp_ieee_underflow 0
		.amdhsa_exception_fp_ieee_inexact 0
		.amdhsa_exception_int_div_zero 0
	.end_amdhsa_kernel
	.section	.text._ZN7rocprim17ROCPRIM_400000_NS6detail17trampoline_kernelINS0_14default_configENS1_20scan_config_selectorIdEEZZNS1_9scan_implILNS1_25lookback_scan_determinismE0ELb0ELb0ES3_N6thrust23THRUST_200600_302600_NS6detail15normal_iteratorINS9_10device_ptrIdEEEENS9_16discard_iteratorINS9_11use_defaultEEEdNS9_4plusIvEEdEEDaPvRmT3_T4_T5_mT6_P12ihipStream_tbENKUlT_T0_E_clISt17integral_constantIbLb1EESW_IbLb0EEEEDaSS_ST_EUlSS_E0_NS1_11comp_targetILNS1_3genE8ELNS1_11target_archE1030ELNS1_3gpuE2ELNS1_3repE0EEENS1_30default_config_static_selectorELNS0_4arch9wavefront6targetE1EEEvT1_,"axG",@progbits,_ZN7rocprim17ROCPRIM_400000_NS6detail17trampoline_kernelINS0_14default_configENS1_20scan_config_selectorIdEEZZNS1_9scan_implILNS1_25lookback_scan_determinismE0ELb0ELb0ES3_N6thrust23THRUST_200600_302600_NS6detail15normal_iteratorINS9_10device_ptrIdEEEENS9_16discard_iteratorINS9_11use_defaultEEEdNS9_4plusIvEEdEEDaPvRmT3_T4_T5_mT6_P12ihipStream_tbENKUlT_T0_E_clISt17integral_constantIbLb1EESW_IbLb0EEEEDaSS_ST_EUlSS_E0_NS1_11comp_targetILNS1_3genE8ELNS1_11target_archE1030ELNS1_3gpuE2ELNS1_3repE0EEENS1_30default_config_static_selectorELNS0_4arch9wavefront6targetE1EEEvT1_,comdat
.Lfunc_end4915:
	.size	_ZN7rocprim17ROCPRIM_400000_NS6detail17trampoline_kernelINS0_14default_configENS1_20scan_config_selectorIdEEZZNS1_9scan_implILNS1_25lookback_scan_determinismE0ELb0ELb0ES3_N6thrust23THRUST_200600_302600_NS6detail15normal_iteratorINS9_10device_ptrIdEEEENS9_16discard_iteratorINS9_11use_defaultEEEdNS9_4plusIvEEdEEDaPvRmT3_T4_T5_mT6_P12ihipStream_tbENKUlT_T0_E_clISt17integral_constantIbLb1EESW_IbLb0EEEEDaSS_ST_EUlSS_E0_NS1_11comp_targetILNS1_3genE8ELNS1_11target_archE1030ELNS1_3gpuE2ELNS1_3repE0EEENS1_30default_config_static_selectorELNS0_4arch9wavefront6targetE1EEEvT1_, .Lfunc_end4915-_ZN7rocprim17ROCPRIM_400000_NS6detail17trampoline_kernelINS0_14default_configENS1_20scan_config_selectorIdEEZZNS1_9scan_implILNS1_25lookback_scan_determinismE0ELb0ELb0ES3_N6thrust23THRUST_200600_302600_NS6detail15normal_iteratorINS9_10device_ptrIdEEEENS9_16discard_iteratorINS9_11use_defaultEEEdNS9_4plusIvEEdEEDaPvRmT3_T4_T5_mT6_P12ihipStream_tbENKUlT_T0_E_clISt17integral_constantIbLb1EESW_IbLb0EEEEDaSS_ST_EUlSS_E0_NS1_11comp_targetILNS1_3genE8ELNS1_11target_archE1030ELNS1_3gpuE2ELNS1_3repE0EEENS1_30default_config_static_selectorELNS0_4arch9wavefront6targetE1EEEvT1_
                                        ; -- End function
	.section	.AMDGPU.csdata,"",@progbits
; Kernel info:
; codeLenInByte = 0
; NumSgprs: 4
; NumVgprs: 0
; NumAgprs: 0
; TotalNumVgprs: 0
; ScratchSize: 0
; MemoryBound: 0
; FloatMode: 240
; IeeeMode: 1
; LDSByteSize: 0 bytes/workgroup (compile time only)
; SGPRBlocks: 0
; VGPRBlocks: 0
; NumSGPRsForWavesPerEU: 4
; NumVGPRsForWavesPerEU: 1
; AccumOffset: 4
; Occupancy: 8
; WaveLimiterHint : 0
; COMPUTE_PGM_RSRC2:SCRATCH_EN: 0
; COMPUTE_PGM_RSRC2:USER_SGPR: 6
; COMPUTE_PGM_RSRC2:TRAP_HANDLER: 0
; COMPUTE_PGM_RSRC2:TGID_X_EN: 1
; COMPUTE_PGM_RSRC2:TGID_Y_EN: 0
; COMPUTE_PGM_RSRC2:TGID_Z_EN: 0
; COMPUTE_PGM_RSRC2:TIDIG_COMP_CNT: 0
; COMPUTE_PGM_RSRC3_GFX90A:ACCUM_OFFSET: 0
; COMPUTE_PGM_RSRC3_GFX90A:TG_SPLIT: 0
	.section	.text._ZN7rocprim17ROCPRIM_400000_NS6detail17trampoline_kernelINS0_14default_configENS1_20scan_config_selectorIdEEZZNS1_9scan_implILNS1_25lookback_scan_determinismE0ELb0ELb0ES3_N6thrust23THRUST_200600_302600_NS6detail15normal_iteratorINS9_10device_ptrIdEEEENS9_16discard_iteratorINS9_11use_defaultEEEdNS9_4plusIvEEdEEDaPvRmT3_T4_T5_mT6_P12ihipStream_tbENKUlT_T0_E_clISt17integral_constantIbLb0EESW_IbLb1EEEEDaSS_ST_EUlSS_E_NS1_11comp_targetILNS1_3genE0ELNS1_11target_archE4294967295ELNS1_3gpuE0ELNS1_3repE0EEENS1_30default_config_static_selectorELNS0_4arch9wavefront6targetE1EEEvT1_,"axG",@progbits,_ZN7rocprim17ROCPRIM_400000_NS6detail17trampoline_kernelINS0_14default_configENS1_20scan_config_selectorIdEEZZNS1_9scan_implILNS1_25lookback_scan_determinismE0ELb0ELb0ES3_N6thrust23THRUST_200600_302600_NS6detail15normal_iteratorINS9_10device_ptrIdEEEENS9_16discard_iteratorINS9_11use_defaultEEEdNS9_4plusIvEEdEEDaPvRmT3_T4_T5_mT6_P12ihipStream_tbENKUlT_T0_E_clISt17integral_constantIbLb0EESW_IbLb1EEEEDaSS_ST_EUlSS_E_NS1_11comp_targetILNS1_3genE0ELNS1_11target_archE4294967295ELNS1_3gpuE0ELNS1_3repE0EEENS1_30default_config_static_selectorELNS0_4arch9wavefront6targetE1EEEvT1_,comdat
	.protected	_ZN7rocprim17ROCPRIM_400000_NS6detail17trampoline_kernelINS0_14default_configENS1_20scan_config_selectorIdEEZZNS1_9scan_implILNS1_25lookback_scan_determinismE0ELb0ELb0ES3_N6thrust23THRUST_200600_302600_NS6detail15normal_iteratorINS9_10device_ptrIdEEEENS9_16discard_iteratorINS9_11use_defaultEEEdNS9_4plusIvEEdEEDaPvRmT3_T4_T5_mT6_P12ihipStream_tbENKUlT_T0_E_clISt17integral_constantIbLb0EESW_IbLb1EEEEDaSS_ST_EUlSS_E_NS1_11comp_targetILNS1_3genE0ELNS1_11target_archE4294967295ELNS1_3gpuE0ELNS1_3repE0EEENS1_30default_config_static_selectorELNS0_4arch9wavefront6targetE1EEEvT1_ ; -- Begin function _ZN7rocprim17ROCPRIM_400000_NS6detail17trampoline_kernelINS0_14default_configENS1_20scan_config_selectorIdEEZZNS1_9scan_implILNS1_25lookback_scan_determinismE0ELb0ELb0ES3_N6thrust23THRUST_200600_302600_NS6detail15normal_iteratorINS9_10device_ptrIdEEEENS9_16discard_iteratorINS9_11use_defaultEEEdNS9_4plusIvEEdEEDaPvRmT3_T4_T5_mT6_P12ihipStream_tbENKUlT_T0_E_clISt17integral_constantIbLb0EESW_IbLb1EEEEDaSS_ST_EUlSS_E_NS1_11comp_targetILNS1_3genE0ELNS1_11target_archE4294967295ELNS1_3gpuE0ELNS1_3repE0EEENS1_30default_config_static_selectorELNS0_4arch9wavefront6targetE1EEEvT1_
	.globl	_ZN7rocprim17ROCPRIM_400000_NS6detail17trampoline_kernelINS0_14default_configENS1_20scan_config_selectorIdEEZZNS1_9scan_implILNS1_25lookback_scan_determinismE0ELb0ELb0ES3_N6thrust23THRUST_200600_302600_NS6detail15normal_iteratorINS9_10device_ptrIdEEEENS9_16discard_iteratorINS9_11use_defaultEEEdNS9_4plusIvEEdEEDaPvRmT3_T4_T5_mT6_P12ihipStream_tbENKUlT_T0_E_clISt17integral_constantIbLb0EESW_IbLb1EEEEDaSS_ST_EUlSS_E_NS1_11comp_targetILNS1_3genE0ELNS1_11target_archE4294967295ELNS1_3gpuE0ELNS1_3repE0EEENS1_30default_config_static_selectorELNS0_4arch9wavefront6targetE1EEEvT1_
	.p2align	8
	.type	_ZN7rocprim17ROCPRIM_400000_NS6detail17trampoline_kernelINS0_14default_configENS1_20scan_config_selectorIdEEZZNS1_9scan_implILNS1_25lookback_scan_determinismE0ELb0ELb0ES3_N6thrust23THRUST_200600_302600_NS6detail15normal_iteratorINS9_10device_ptrIdEEEENS9_16discard_iteratorINS9_11use_defaultEEEdNS9_4plusIvEEdEEDaPvRmT3_T4_T5_mT6_P12ihipStream_tbENKUlT_T0_E_clISt17integral_constantIbLb0EESW_IbLb1EEEEDaSS_ST_EUlSS_E_NS1_11comp_targetILNS1_3genE0ELNS1_11target_archE4294967295ELNS1_3gpuE0ELNS1_3repE0EEENS1_30default_config_static_selectorELNS0_4arch9wavefront6targetE1EEEvT1_,@function
_ZN7rocprim17ROCPRIM_400000_NS6detail17trampoline_kernelINS0_14default_configENS1_20scan_config_selectorIdEEZZNS1_9scan_implILNS1_25lookback_scan_determinismE0ELb0ELb0ES3_N6thrust23THRUST_200600_302600_NS6detail15normal_iteratorINS9_10device_ptrIdEEEENS9_16discard_iteratorINS9_11use_defaultEEEdNS9_4plusIvEEdEEDaPvRmT3_T4_T5_mT6_P12ihipStream_tbENKUlT_T0_E_clISt17integral_constantIbLb0EESW_IbLb1EEEEDaSS_ST_EUlSS_E_NS1_11comp_targetILNS1_3genE0ELNS1_11target_archE4294967295ELNS1_3gpuE0ELNS1_3repE0EEENS1_30default_config_static_selectorELNS0_4arch9wavefront6targetE1EEEvT1_: ; @_ZN7rocprim17ROCPRIM_400000_NS6detail17trampoline_kernelINS0_14default_configENS1_20scan_config_selectorIdEEZZNS1_9scan_implILNS1_25lookback_scan_determinismE0ELb0ELb0ES3_N6thrust23THRUST_200600_302600_NS6detail15normal_iteratorINS9_10device_ptrIdEEEENS9_16discard_iteratorINS9_11use_defaultEEEdNS9_4plusIvEEdEEDaPvRmT3_T4_T5_mT6_P12ihipStream_tbENKUlT_T0_E_clISt17integral_constantIbLb0EESW_IbLb1EEEEDaSS_ST_EUlSS_E_NS1_11comp_targetILNS1_3genE0ELNS1_11target_archE4294967295ELNS1_3gpuE0ELNS1_3repE0EEENS1_30default_config_static_selectorELNS0_4arch9wavefront6targetE1EEEvT1_
; %bb.0:
	.section	.rodata,"a",@progbits
	.p2align	6, 0x0
	.amdhsa_kernel _ZN7rocprim17ROCPRIM_400000_NS6detail17trampoline_kernelINS0_14default_configENS1_20scan_config_selectorIdEEZZNS1_9scan_implILNS1_25lookback_scan_determinismE0ELb0ELb0ES3_N6thrust23THRUST_200600_302600_NS6detail15normal_iteratorINS9_10device_ptrIdEEEENS9_16discard_iteratorINS9_11use_defaultEEEdNS9_4plusIvEEdEEDaPvRmT3_T4_T5_mT6_P12ihipStream_tbENKUlT_T0_E_clISt17integral_constantIbLb0EESW_IbLb1EEEEDaSS_ST_EUlSS_E_NS1_11comp_targetILNS1_3genE0ELNS1_11target_archE4294967295ELNS1_3gpuE0ELNS1_3repE0EEENS1_30default_config_static_selectorELNS0_4arch9wavefront6targetE1EEEvT1_
		.amdhsa_group_segment_fixed_size 0
		.amdhsa_private_segment_fixed_size 0
		.amdhsa_kernarg_size 112
		.amdhsa_user_sgpr_count 6
		.amdhsa_user_sgpr_private_segment_buffer 1
		.amdhsa_user_sgpr_dispatch_ptr 0
		.amdhsa_user_sgpr_queue_ptr 0
		.amdhsa_user_sgpr_kernarg_segment_ptr 1
		.amdhsa_user_sgpr_dispatch_id 0
		.amdhsa_user_sgpr_flat_scratch_init 0
		.amdhsa_user_sgpr_kernarg_preload_length 0
		.amdhsa_user_sgpr_kernarg_preload_offset 0
		.amdhsa_user_sgpr_private_segment_size 0
		.amdhsa_uses_dynamic_stack 0
		.amdhsa_system_sgpr_private_segment_wavefront_offset 0
		.amdhsa_system_sgpr_workgroup_id_x 1
		.amdhsa_system_sgpr_workgroup_id_y 0
		.amdhsa_system_sgpr_workgroup_id_z 0
		.amdhsa_system_sgpr_workgroup_info 0
		.amdhsa_system_vgpr_workitem_id 0
		.amdhsa_next_free_vgpr 1
		.amdhsa_next_free_sgpr 0
		.amdhsa_accum_offset 4
		.amdhsa_reserve_vcc 0
		.amdhsa_reserve_flat_scratch 0
		.amdhsa_float_round_mode_32 0
		.amdhsa_float_round_mode_16_64 0
		.amdhsa_float_denorm_mode_32 3
		.amdhsa_float_denorm_mode_16_64 3
		.amdhsa_dx10_clamp 1
		.amdhsa_ieee_mode 1
		.amdhsa_fp16_overflow 0
		.amdhsa_tg_split 0
		.amdhsa_exception_fp_ieee_invalid_op 0
		.amdhsa_exception_fp_denorm_src 0
		.amdhsa_exception_fp_ieee_div_zero 0
		.amdhsa_exception_fp_ieee_overflow 0
		.amdhsa_exception_fp_ieee_underflow 0
		.amdhsa_exception_fp_ieee_inexact 0
		.amdhsa_exception_int_div_zero 0
	.end_amdhsa_kernel
	.section	.text._ZN7rocprim17ROCPRIM_400000_NS6detail17trampoline_kernelINS0_14default_configENS1_20scan_config_selectorIdEEZZNS1_9scan_implILNS1_25lookback_scan_determinismE0ELb0ELb0ES3_N6thrust23THRUST_200600_302600_NS6detail15normal_iteratorINS9_10device_ptrIdEEEENS9_16discard_iteratorINS9_11use_defaultEEEdNS9_4plusIvEEdEEDaPvRmT3_T4_T5_mT6_P12ihipStream_tbENKUlT_T0_E_clISt17integral_constantIbLb0EESW_IbLb1EEEEDaSS_ST_EUlSS_E_NS1_11comp_targetILNS1_3genE0ELNS1_11target_archE4294967295ELNS1_3gpuE0ELNS1_3repE0EEENS1_30default_config_static_selectorELNS0_4arch9wavefront6targetE1EEEvT1_,"axG",@progbits,_ZN7rocprim17ROCPRIM_400000_NS6detail17trampoline_kernelINS0_14default_configENS1_20scan_config_selectorIdEEZZNS1_9scan_implILNS1_25lookback_scan_determinismE0ELb0ELb0ES3_N6thrust23THRUST_200600_302600_NS6detail15normal_iteratorINS9_10device_ptrIdEEEENS9_16discard_iteratorINS9_11use_defaultEEEdNS9_4plusIvEEdEEDaPvRmT3_T4_T5_mT6_P12ihipStream_tbENKUlT_T0_E_clISt17integral_constantIbLb0EESW_IbLb1EEEEDaSS_ST_EUlSS_E_NS1_11comp_targetILNS1_3genE0ELNS1_11target_archE4294967295ELNS1_3gpuE0ELNS1_3repE0EEENS1_30default_config_static_selectorELNS0_4arch9wavefront6targetE1EEEvT1_,comdat
.Lfunc_end4916:
	.size	_ZN7rocprim17ROCPRIM_400000_NS6detail17trampoline_kernelINS0_14default_configENS1_20scan_config_selectorIdEEZZNS1_9scan_implILNS1_25lookback_scan_determinismE0ELb0ELb0ES3_N6thrust23THRUST_200600_302600_NS6detail15normal_iteratorINS9_10device_ptrIdEEEENS9_16discard_iteratorINS9_11use_defaultEEEdNS9_4plusIvEEdEEDaPvRmT3_T4_T5_mT6_P12ihipStream_tbENKUlT_T0_E_clISt17integral_constantIbLb0EESW_IbLb1EEEEDaSS_ST_EUlSS_E_NS1_11comp_targetILNS1_3genE0ELNS1_11target_archE4294967295ELNS1_3gpuE0ELNS1_3repE0EEENS1_30default_config_static_selectorELNS0_4arch9wavefront6targetE1EEEvT1_, .Lfunc_end4916-_ZN7rocprim17ROCPRIM_400000_NS6detail17trampoline_kernelINS0_14default_configENS1_20scan_config_selectorIdEEZZNS1_9scan_implILNS1_25lookback_scan_determinismE0ELb0ELb0ES3_N6thrust23THRUST_200600_302600_NS6detail15normal_iteratorINS9_10device_ptrIdEEEENS9_16discard_iteratorINS9_11use_defaultEEEdNS9_4plusIvEEdEEDaPvRmT3_T4_T5_mT6_P12ihipStream_tbENKUlT_T0_E_clISt17integral_constantIbLb0EESW_IbLb1EEEEDaSS_ST_EUlSS_E_NS1_11comp_targetILNS1_3genE0ELNS1_11target_archE4294967295ELNS1_3gpuE0ELNS1_3repE0EEENS1_30default_config_static_selectorELNS0_4arch9wavefront6targetE1EEEvT1_
                                        ; -- End function
	.section	.AMDGPU.csdata,"",@progbits
; Kernel info:
; codeLenInByte = 0
; NumSgprs: 4
; NumVgprs: 0
; NumAgprs: 0
; TotalNumVgprs: 0
; ScratchSize: 0
; MemoryBound: 0
; FloatMode: 240
; IeeeMode: 1
; LDSByteSize: 0 bytes/workgroup (compile time only)
; SGPRBlocks: 0
; VGPRBlocks: 0
; NumSGPRsForWavesPerEU: 4
; NumVGPRsForWavesPerEU: 1
; AccumOffset: 4
; Occupancy: 8
; WaveLimiterHint : 0
; COMPUTE_PGM_RSRC2:SCRATCH_EN: 0
; COMPUTE_PGM_RSRC2:USER_SGPR: 6
; COMPUTE_PGM_RSRC2:TRAP_HANDLER: 0
; COMPUTE_PGM_RSRC2:TGID_X_EN: 1
; COMPUTE_PGM_RSRC2:TGID_Y_EN: 0
; COMPUTE_PGM_RSRC2:TGID_Z_EN: 0
; COMPUTE_PGM_RSRC2:TIDIG_COMP_CNT: 0
; COMPUTE_PGM_RSRC3_GFX90A:ACCUM_OFFSET: 0
; COMPUTE_PGM_RSRC3_GFX90A:TG_SPLIT: 0
	.section	.text._ZN7rocprim17ROCPRIM_400000_NS6detail17trampoline_kernelINS0_14default_configENS1_20scan_config_selectorIdEEZZNS1_9scan_implILNS1_25lookback_scan_determinismE0ELb0ELb0ES3_N6thrust23THRUST_200600_302600_NS6detail15normal_iteratorINS9_10device_ptrIdEEEENS9_16discard_iteratorINS9_11use_defaultEEEdNS9_4plusIvEEdEEDaPvRmT3_T4_T5_mT6_P12ihipStream_tbENKUlT_T0_E_clISt17integral_constantIbLb0EESW_IbLb1EEEEDaSS_ST_EUlSS_E_NS1_11comp_targetILNS1_3genE5ELNS1_11target_archE942ELNS1_3gpuE9ELNS1_3repE0EEENS1_30default_config_static_selectorELNS0_4arch9wavefront6targetE1EEEvT1_,"axG",@progbits,_ZN7rocprim17ROCPRIM_400000_NS6detail17trampoline_kernelINS0_14default_configENS1_20scan_config_selectorIdEEZZNS1_9scan_implILNS1_25lookback_scan_determinismE0ELb0ELb0ES3_N6thrust23THRUST_200600_302600_NS6detail15normal_iteratorINS9_10device_ptrIdEEEENS9_16discard_iteratorINS9_11use_defaultEEEdNS9_4plusIvEEdEEDaPvRmT3_T4_T5_mT6_P12ihipStream_tbENKUlT_T0_E_clISt17integral_constantIbLb0EESW_IbLb1EEEEDaSS_ST_EUlSS_E_NS1_11comp_targetILNS1_3genE5ELNS1_11target_archE942ELNS1_3gpuE9ELNS1_3repE0EEENS1_30default_config_static_selectorELNS0_4arch9wavefront6targetE1EEEvT1_,comdat
	.protected	_ZN7rocprim17ROCPRIM_400000_NS6detail17trampoline_kernelINS0_14default_configENS1_20scan_config_selectorIdEEZZNS1_9scan_implILNS1_25lookback_scan_determinismE0ELb0ELb0ES3_N6thrust23THRUST_200600_302600_NS6detail15normal_iteratorINS9_10device_ptrIdEEEENS9_16discard_iteratorINS9_11use_defaultEEEdNS9_4plusIvEEdEEDaPvRmT3_T4_T5_mT6_P12ihipStream_tbENKUlT_T0_E_clISt17integral_constantIbLb0EESW_IbLb1EEEEDaSS_ST_EUlSS_E_NS1_11comp_targetILNS1_3genE5ELNS1_11target_archE942ELNS1_3gpuE9ELNS1_3repE0EEENS1_30default_config_static_selectorELNS0_4arch9wavefront6targetE1EEEvT1_ ; -- Begin function _ZN7rocprim17ROCPRIM_400000_NS6detail17trampoline_kernelINS0_14default_configENS1_20scan_config_selectorIdEEZZNS1_9scan_implILNS1_25lookback_scan_determinismE0ELb0ELb0ES3_N6thrust23THRUST_200600_302600_NS6detail15normal_iteratorINS9_10device_ptrIdEEEENS9_16discard_iteratorINS9_11use_defaultEEEdNS9_4plusIvEEdEEDaPvRmT3_T4_T5_mT6_P12ihipStream_tbENKUlT_T0_E_clISt17integral_constantIbLb0EESW_IbLb1EEEEDaSS_ST_EUlSS_E_NS1_11comp_targetILNS1_3genE5ELNS1_11target_archE942ELNS1_3gpuE9ELNS1_3repE0EEENS1_30default_config_static_selectorELNS0_4arch9wavefront6targetE1EEEvT1_
	.globl	_ZN7rocprim17ROCPRIM_400000_NS6detail17trampoline_kernelINS0_14default_configENS1_20scan_config_selectorIdEEZZNS1_9scan_implILNS1_25lookback_scan_determinismE0ELb0ELb0ES3_N6thrust23THRUST_200600_302600_NS6detail15normal_iteratorINS9_10device_ptrIdEEEENS9_16discard_iteratorINS9_11use_defaultEEEdNS9_4plusIvEEdEEDaPvRmT3_T4_T5_mT6_P12ihipStream_tbENKUlT_T0_E_clISt17integral_constantIbLb0EESW_IbLb1EEEEDaSS_ST_EUlSS_E_NS1_11comp_targetILNS1_3genE5ELNS1_11target_archE942ELNS1_3gpuE9ELNS1_3repE0EEENS1_30default_config_static_selectorELNS0_4arch9wavefront6targetE1EEEvT1_
	.p2align	8
	.type	_ZN7rocprim17ROCPRIM_400000_NS6detail17trampoline_kernelINS0_14default_configENS1_20scan_config_selectorIdEEZZNS1_9scan_implILNS1_25lookback_scan_determinismE0ELb0ELb0ES3_N6thrust23THRUST_200600_302600_NS6detail15normal_iteratorINS9_10device_ptrIdEEEENS9_16discard_iteratorINS9_11use_defaultEEEdNS9_4plusIvEEdEEDaPvRmT3_T4_T5_mT6_P12ihipStream_tbENKUlT_T0_E_clISt17integral_constantIbLb0EESW_IbLb1EEEEDaSS_ST_EUlSS_E_NS1_11comp_targetILNS1_3genE5ELNS1_11target_archE942ELNS1_3gpuE9ELNS1_3repE0EEENS1_30default_config_static_selectorELNS0_4arch9wavefront6targetE1EEEvT1_,@function
_ZN7rocprim17ROCPRIM_400000_NS6detail17trampoline_kernelINS0_14default_configENS1_20scan_config_selectorIdEEZZNS1_9scan_implILNS1_25lookback_scan_determinismE0ELb0ELb0ES3_N6thrust23THRUST_200600_302600_NS6detail15normal_iteratorINS9_10device_ptrIdEEEENS9_16discard_iteratorINS9_11use_defaultEEEdNS9_4plusIvEEdEEDaPvRmT3_T4_T5_mT6_P12ihipStream_tbENKUlT_T0_E_clISt17integral_constantIbLb0EESW_IbLb1EEEEDaSS_ST_EUlSS_E_NS1_11comp_targetILNS1_3genE5ELNS1_11target_archE942ELNS1_3gpuE9ELNS1_3repE0EEENS1_30default_config_static_selectorELNS0_4arch9wavefront6targetE1EEEvT1_: ; @_ZN7rocprim17ROCPRIM_400000_NS6detail17trampoline_kernelINS0_14default_configENS1_20scan_config_selectorIdEEZZNS1_9scan_implILNS1_25lookback_scan_determinismE0ELb0ELb0ES3_N6thrust23THRUST_200600_302600_NS6detail15normal_iteratorINS9_10device_ptrIdEEEENS9_16discard_iteratorINS9_11use_defaultEEEdNS9_4plusIvEEdEEDaPvRmT3_T4_T5_mT6_P12ihipStream_tbENKUlT_T0_E_clISt17integral_constantIbLb0EESW_IbLb1EEEEDaSS_ST_EUlSS_E_NS1_11comp_targetILNS1_3genE5ELNS1_11target_archE942ELNS1_3gpuE9ELNS1_3repE0EEENS1_30default_config_static_selectorELNS0_4arch9wavefront6targetE1EEEvT1_
; %bb.0:
	.section	.rodata,"a",@progbits
	.p2align	6, 0x0
	.amdhsa_kernel _ZN7rocprim17ROCPRIM_400000_NS6detail17trampoline_kernelINS0_14default_configENS1_20scan_config_selectorIdEEZZNS1_9scan_implILNS1_25lookback_scan_determinismE0ELb0ELb0ES3_N6thrust23THRUST_200600_302600_NS6detail15normal_iteratorINS9_10device_ptrIdEEEENS9_16discard_iteratorINS9_11use_defaultEEEdNS9_4plusIvEEdEEDaPvRmT3_T4_T5_mT6_P12ihipStream_tbENKUlT_T0_E_clISt17integral_constantIbLb0EESW_IbLb1EEEEDaSS_ST_EUlSS_E_NS1_11comp_targetILNS1_3genE5ELNS1_11target_archE942ELNS1_3gpuE9ELNS1_3repE0EEENS1_30default_config_static_selectorELNS0_4arch9wavefront6targetE1EEEvT1_
		.amdhsa_group_segment_fixed_size 0
		.amdhsa_private_segment_fixed_size 0
		.amdhsa_kernarg_size 112
		.amdhsa_user_sgpr_count 6
		.amdhsa_user_sgpr_private_segment_buffer 1
		.amdhsa_user_sgpr_dispatch_ptr 0
		.amdhsa_user_sgpr_queue_ptr 0
		.amdhsa_user_sgpr_kernarg_segment_ptr 1
		.amdhsa_user_sgpr_dispatch_id 0
		.amdhsa_user_sgpr_flat_scratch_init 0
		.amdhsa_user_sgpr_kernarg_preload_length 0
		.amdhsa_user_sgpr_kernarg_preload_offset 0
		.amdhsa_user_sgpr_private_segment_size 0
		.amdhsa_uses_dynamic_stack 0
		.amdhsa_system_sgpr_private_segment_wavefront_offset 0
		.amdhsa_system_sgpr_workgroup_id_x 1
		.amdhsa_system_sgpr_workgroup_id_y 0
		.amdhsa_system_sgpr_workgroup_id_z 0
		.amdhsa_system_sgpr_workgroup_info 0
		.amdhsa_system_vgpr_workitem_id 0
		.amdhsa_next_free_vgpr 1
		.amdhsa_next_free_sgpr 0
		.amdhsa_accum_offset 4
		.amdhsa_reserve_vcc 0
		.amdhsa_reserve_flat_scratch 0
		.amdhsa_float_round_mode_32 0
		.amdhsa_float_round_mode_16_64 0
		.amdhsa_float_denorm_mode_32 3
		.amdhsa_float_denorm_mode_16_64 3
		.amdhsa_dx10_clamp 1
		.amdhsa_ieee_mode 1
		.amdhsa_fp16_overflow 0
		.amdhsa_tg_split 0
		.amdhsa_exception_fp_ieee_invalid_op 0
		.amdhsa_exception_fp_denorm_src 0
		.amdhsa_exception_fp_ieee_div_zero 0
		.amdhsa_exception_fp_ieee_overflow 0
		.amdhsa_exception_fp_ieee_underflow 0
		.amdhsa_exception_fp_ieee_inexact 0
		.amdhsa_exception_int_div_zero 0
	.end_amdhsa_kernel
	.section	.text._ZN7rocprim17ROCPRIM_400000_NS6detail17trampoline_kernelINS0_14default_configENS1_20scan_config_selectorIdEEZZNS1_9scan_implILNS1_25lookback_scan_determinismE0ELb0ELb0ES3_N6thrust23THRUST_200600_302600_NS6detail15normal_iteratorINS9_10device_ptrIdEEEENS9_16discard_iteratorINS9_11use_defaultEEEdNS9_4plusIvEEdEEDaPvRmT3_T4_T5_mT6_P12ihipStream_tbENKUlT_T0_E_clISt17integral_constantIbLb0EESW_IbLb1EEEEDaSS_ST_EUlSS_E_NS1_11comp_targetILNS1_3genE5ELNS1_11target_archE942ELNS1_3gpuE9ELNS1_3repE0EEENS1_30default_config_static_selectorELNS0_4arch9wavefront6targetE1EEEvT1_,"axG",@progbits,_ZN7rocprim17ROCPRIM_400000_NS6detail17trampoline_kernelINS0_14default_configENS1_20scan_config_selectorIdEEZZNS1_9scan_implILNS1_25lookback_scan_determinismE0ELb0ELb0ES3_N6thrust23THRUST_200600_302600_NS6detail15normal_iteratorINS9_10device_ptrIdEEEENS9_16discard_iteratorINS9_11use_defaultEEEdNS9_4plusIvEEdEEDaPvRmT3_T4_T5_mT6_P12ihipStream_tbENKUlT_T0_E_clISt17integral_constantIbLb0EESW_IbLb1EEEEDaSS_ST_EUlSS_E_NS1_11comp_targetILNS1_3genE5ELNS1_11target_archE942ELNS1_3gpuE9ELNS1_3repE0EEENS1_30default_config_static_selectorELNS0_4arch9wavefront6targetE1EEEvT1_,comdat
.Lfunc_end4917:
	.size	_ZN7rocprim17ROCPRIM_400000_NS6detail17trampoline_kernelINS0_14default_configENS1_20scan_config_selectorIdEEZZNS1_9scan_implILNS1_25lookback_scan_determinismE0ELb0ELb0ES3_N6thrust23THRUST_200600_302600_NS6detail15normal_iteratorINS9_10device_ptrIdEEEENS9_16discard_iteratorINS9_11use_defaultEEEdNS9_4plusIvEEdEEDaPvRmT3_T4_T5_mT6_P12ihipStream_tbENKUlT_T0_E_clISt17integral_constantIbLb0EESW_IbLb1EEEEDaSS_ST_EUlSS_E_NS1_11comp_targetILNS1_3genE5ELNS1_11target_archE942ELNS1_3gpuE9ELNS1_3repE0EEENS1_30default_config_static_selectorELNS0_4arch9wavefront6targetE1EEEvT1_, .Lfunc_end4917-_ZN7rocprim17ROCPRIM_400000_NS6detail17trampoline_kernelINS0_14default_configENS1_20scan_config_selectorIdEEZZNS1_9scan_implILNS1_25lookback_scan_determinismE0ELb0ELb0ES3_N6thrust23THRUST_200600_302600_NS6detail15normal_iteratorINS9_10device_ptrIdEEEENS9_16discard_iteratorINS9_11use_defaultEEEdNS9_4plusIvEEdEEDaPvRmT3_T4_T5_mT6_P12ihipStream_tbENKUlT_T0_E_clISt17integral_constantIbLb0EESW_IbLb1EEEEDaSS_ST_EUlSS_E_NS1_11comp_targetILNS1_3genE5ELNS1_11target_archE942ELNS1_3gpuE9ELNS1_3repE0EEENS1_30default_config_static_selectorELNS0_4arch9wavefront6targetE1EEEvT1_
                                        ; -- End function
	.section	.AMDGPU.csdata,"",@progbits
; Kernel info:
; codeLenInByte = 0
; NumSgprs: 4
; NumVgprs: 0
; NumAgprs: 0
; TotalNumVgprs: 0
; ScratchSize: 0
; MemoryBound: 0
; FloatMode: 240
; IeeeMode: 1
; LDSByteSize: 0 bytes/workgroup (compile time only)
; SGPRBlocks: 0
; VGPRBlocks: 0
; NumSGPRsForWavesPerEU: 4
; NumVGPRsForWavesPerEU: 1
; AccumOffset: 4
; Occupancy: 8
; WaveLimiterHint : 0
; COMPUTE_PGM_RSRC2:SCRATCH_EN: 0
; COMPUTE_PGM_RSRC2:USER_SGPR: 6
; COMPUTE_PGM_RSRC2:TRAP_HANDLER: 0
; COMPUTE_PGM_RSRC2:TGID_X_EN: 1
; COMPUTE_PGM_RSRC2:TGID_Y_EN: 0
; COMPUTE_PGM_RSRC2:TGID_Z_EN: 0
; COMPUTE_PGM_RSRC2:TIDIG_COMP_CNT: 0
; COMPUTE_PGM_RSRC3_GFX90A:ACCUM_OFFSET: 0
; COMPUTE_PGM_RSRC3_GFX90A:TG_SPLIT: 0
	.section	.text._ZN7rocprim17ROCPRIM_400000_NS6detail17trampoline_kernelINS0_14default_configENS1_20scan_config_selectorIdEEZZNS1_9scan_implILNS1_25lookback_scan_determinismE0ELb0ELb0ES3_N6thrust23THRUST_200600_302600_NS6detail15normal_iteratorINS9_10device_ptrIdEEEENS9_16discard_iteratorINS9_11use_defaultEEEdNS9_4plusIvEEdEEDaPvRmT3_T4_T5_mT6_P12ihipStream_tbENKUlT_T0_E_clISt17integral_constantIbLb0EESW_IbLb1EEEEDaSS_ST_EUlSS_E_NS1_11comp_targetILNS1_3genE4ELNS1_11target_archE910ELNS1_3gpuE8ELNS1_3repE0EEENS1_30default_config_static_selectorELNS0_4arch9wavefront6targetE1EEEvT1_,"axG",@progbits,_ZN7rocprim17ROCPRIM_400000_NS6detail17trampoline_kernelINS0_14default_configENS1_20scan_config_selectorIdEEZZNS1_9scan_implILNS1_25lookback_scan_determinismE0ELb0ELb0ES3_N6thrust23THRUST_200600_302600_NS6detail15normal_iteratorINS9_10device_ptrIdEEEENS9_16discard_iteratorINS9_11use_defaultEEEdNS9_4plusIvEEdEEDaPvRmT3_T4_T5_mT6_P12ihipStream_tbENKUlT_T0_E_clISt17integral_constantIbLb0EESW_IbLb1EEEEDaSS_ST_EUlSS_E_NS1_11comp_targetILNS1_3genE4ELNS1_11target_archE910ELNS1_3gpuE8ELNS1_3repE0EEENS1_30default_config_static_selectorELNS0_4arch9wavefront6targetE1EEEvT1_,comdat
	.protected	_ZN7rocprim17ROCPRIM_400000_NS6detail17trampoline_kernelINS0_14default_configENS1_20scan_config_selectorIdEEZZNS1_9scan_implILNS1_25lookback_scan_determinismE0ELb0ELb0ES3_N6thrust23THRUST_200600_302600_NS6detail15normal_iteratorINS9_10device_ptrIdEEEENS9_16discard_iteratorINS9_11use_defaultEEEdNS9_4plusIvEEdEEDaPvRmT3_T4_T5_mT6_P12ihipStream_tbENKUlT_T0_E_clISt17integral_constantIbLb0EESW_IbLb1EEEEDaSS_ST_EUlSS_E_NS1_11comp_targetILNS1_3genE4ELNS1_11target_archE910ELNS1_3gpuE8ELNS1_3repE0EEENS1_30default_config_static_selectorELNS0_4arch9wavefront6targetE1EEEvT1_ ; -- Begin function _ZN7rocprim17ROCPRIM_400000_NS6detail17trampoline_kernelINS0_14default_configENS1_20scan_config_selectorIdEEZZNS1_9scan_implILNS1_25lookback_scan_determinismE0ELb0ELb0ES3_N6thrust23THRUST_200600_302600_NS6detail15normal_iteratorINS9_10device_ptrIdEEEENS9_16discard_iteratorINS9_11use_defaultEEEdNS9_4plusIvEEdEEDaPvRmT3_T4_T5_mT6_P12ihipStream_tbENKUlT_T0_E_clISt17integral_constantIbLb0EESW_IbLb1EEEEDaSS_ST_EUlSS_E_NS1_11comp_targetILNS1_3genE4ELNS1_11target_archE910ELNS1_3gpuE8ELNS1_3repE0EEENS1_30default_config_static_selectorELNS0_4arch9wavefront6targetE1EEEvT1_
	.globl	_ZN7rocprim17ROCPRIM_400000_NS6detail17trampoline_kernelINS0_14default_configENS1_20scan_config_selectorIdEEZZNS1_9scan_implILNS1_25lookback_scan_determinismE0ELb0ELb0ES3_N6thrust23THRUST_200600_302600_NS6detail15normal_iteratorINS9_10device_ptrIdEEEENS9_16discard_iteratorINS9_11use_defaultEEEdNS9_4plusIvEEdEEDaPvRmT3_T4_T5_mT6_P12ihipStream_tbENKUlT_T0_E_clISt17integral_constantIbLb0EESW_IbLb1EEEEDaSS_ST_EUlSS_E_NS1_11comp_targetILNS1_3genE4ELNS1_11target_archE910ELNS1_3gpuE8ELNS1_3repE0EEENS1_30default_config_static_selectorELNS0_4arch9wavefront6targetE1EEEvT1_
	.p2align	8
	.type	_ZN7rocprim17ROCPRIM_400000_NS6detail17trampoline_kernelINS0_14default_configENS1_20scan_config_selectorIdEEZZNS1_9scan_implILNS1_25lookback_scan_determinismE0ELb0ELb0ES3_N6thrust23THRUST_200600_302600_NS6detail15normal_iteratorINS9_10device_ptrIdEEEENS9_16discard_iteratorINS9_11use_defaultEEEdNS9_4plusIvEEdEEDaPvRmT3_T4_T5_mT6_P12ihipStream_tbENKUlT_T0_E_clISt17integral_constantIbLb0EESW_IbLb1EEEEDaSS_ST_EUlSS_E_NS1_11comp_targetILNS1_3genE4ELNS1_11target_archE910ELNS1_3gpuE8ELNS1_3repE0EEENS1_30default_config_static_selectorELNS0_4arch9wavefront6targetE1EEEvT1_,@function
_ZN7rocprim17ROCPRIM_400000_NS6detail17trampoline_kernelINS0_14default_configENS1_20scan_config_selectorIdEEZZNS1_9scan_implILNS1_25lookback_scan_determinismE0ELb0ELb0ES3_N6thrust23THRUST_200600_302600_NS6detail15normal_iteratorINS9_10device_ptrIdEEEENS9_16discard_iteratorINS9_11use_defaultEEEdNS9_4plusIvEEdEEDaPvRmT3_T4_T5_mT6_P12ihipStream_tbENKUlT_T0_E_clISt17integral_constantIbLb0EESW_IbLb1EEEEDaSS_ST_EUlSS_E_NS1_11comp_targetILNS1_3genE4ELNS1_11target_archE910ELNS1_3gpuE8ELNS1_3repE0EEENS1_30default_config_static_selectorELNS0_4arch9wavefront6targetE1EEEvT1_: ; @_ZN7rocprim17ROCPRIM_400000_NS6detail17trampoline_kernelINS0_14default_configENS1_20scan_config_selectorIdEEZZNS1_9scan_implILNS1_25lookback_scan_determinismE0ELb0ELb0ES3_N6thrust23THRUST_200600_302600_NS6detail15normal_iteratorINS9_10device_ptrIdEEEENS9_16discard_iteratorINS9_11use_defaultEEEdNS9_4plusIvEEdEEDaPvRmT3_T4_T5_mT6_P12ihipStream_tbENKUlT_T0_E_clISt17integral_constantIbLb0EESW_IbLb1EEEEDaSS_ST_EUlSS_E_NS1_11comp_targetILNS1_3genE4ELNS1_11target_archE910ELNS1_3gpuE8ELNS1_3repE0EEENS1_30default_config_static_selectorELNS0_4arch9wavefront6targetE1EEEvT1_
; %bb.0:
	s_load_dwordx2 s[6:7], s[4:5], 0x20
	s_load_dwordx2 s[24:25], s[4:5], 0x38
	v_cmp_ne_u32_e64 s[0:1], 0, v0
	v_cmp_eq_u32_e64 s[2:3], 0, v0
	s_and_saveexec_b64 s[8:9], s[2:3]
	s_cbranch_execz .LBB4918_4
; %bb.1:
	s_mov_b64 s[12:13], exec
	v_mbcnt_lo_u32_b32 v1, s12, 0
	v_mbcnt_hi_u32_b32 v1, s13, v1
	v_cmp_eq_u32_e32 vcc, 0, v1
                                        ; implicit-def: $vgpr2
	s_and_saveexec_b64 s[10:11], vcc
	s_cbranch_execz .LBB4918_3
; %bb.2:
	s_load_dwordx2 s[14:15], s[4:5], 0x68
	s_bcnt1_i32_b64 s12, s[12:13]
	v_mov_b32_e32 v2, 0
	v_mov_b32_e32 v3, s12
	s_waitcnt lgkmcnt(0)
	global_atomic_add v2, v2, v3, s[14:15] glc
.LBB4918_3:
	s_or_b64 exec, exec, s[10:11]
	s_waitcnt vmcnt(0)
	v_readfirstlane_b32 s10, v2
	v_add_u32_e32 v1, s10, v1
	v_mov_b32_e32 v2, 0
	ds_write_b32 v2, v1
.LBB4918_4:
	s_or_b64 exec, exec, s[8:9]
	v_mov_b32_e32 v3, 0
	s_load_dwordx4 s[8:11], s[4:5], 0x0
	s_load_dword s12, s[4:5], 0x40
	s_load_dwordx8 s[16:23], s[4:5], 0x48
	s_waitcnt lgkmcnt(0)
	s_barrier
	ds_read_b32 v1, v3
	s_lshl_b64 s[4:5], s[10:11], 3
	s_add_u32 s4, s8, s4
	s_movk_i32 s8, 0x500
	s_addc_u32 s5, s9, s5
	s_waitcnt lgkmcnt(0)
	v_mul_lo_u32 v2, v1, s8
	s_add_i32 s8, s12, -1
	s_mul_i32 s9, s8, 0x500
	s_sub_u32 s28, s6, s9
	v_readfirstlane_b32 s30, v1
	s_subb_u32 s29, s7, 0
	v_lshlrev_b64 v[2:3], 3, v[2:3]
	s_cmp_lg_u32 s30, s8
	v_mov_b32_e32 v1, s5
	v_add_co_u32_e32 v36, vcc, s4, v2
	s_cselect_b64 s[14:15], -1, 0
	v_addc_co_u32_e32 v37, vcc, v1, v3, vcc
	s_mov_b64 s[4:5], -1
	s_and_b64 vcc, exec, s[14:15]
	s_barrier
	s_cbranch_vccz .LBB4918_6
; %bb.5:
	v_lshlrev_b32_e32 v1, 3, v0
	v_add_co_u32_e32 v2, vcc, v36, v1
	v_addc_co_u32_e32 v3, vcc, 0, v37, vcc
	v_add_co_u32_e32 v12, vcc, 0x1000, v2
	v_addc_co_u32_e32 v13, vcc, 0, v3, vcc
	flat_load_dwordx2 v[4:5], v[2:3]
	flat_load_dwordx2 v[6:7], v[2:3] offset:1024
	flat_load_dwordx2 v[8:9], v[2:3] offset:2048
	;; [unrolled: 1-line block ×3, first 2 shown]
	v_add_co_u32_e32 v2, vcc, 0x2000, v2
	v_addc_co_u32_e32 v3, vcc, 0, v3, vcc
	flat_load_dwordx2 v[14:15], v[12:13]
	flat_load_dwordx2 v[16:17], v[12:13] offset:1024
	flat_load_dwordx2 v[18:19], v[12:13] offset:2048
	;; [unrolled: 1-line block ×3, first 2 shown]
	s_nop 0
	flat_load_dwordx2 v[12:13], v[2:3]
	flat_load_dwordx2 v[22:23], v[2:3] offset:1024
	s_mov_b64 s[4:5], 0
	s_waitcnt vmcnt(0) lgkmcnt(0)
	ds_write2st64_b64 v1, v[4:5], v[6:7] offset1:2
	ds_write2st64_b64 v1, v[8:9], v[10:11] offset0:4 offset1:6
	ds_write2st64_b64 v1, v[14:15], v[16:17] offset0:8 offset1:10
	;; [unrolled: 1-line block ×4, first 2 shown]
	s_waitcnt lgkmcnt(0)
	s_barrier
.LBB4918_6:
	s_andn2_b64 vcc, exec, s[4:5]
	s_cbranch_vccnz .LBB4918_28
; %bb.7:
	flat_load_dwordx2 v[2:3], v[36:37]
	v_cmp_gt_u32_e32 vcc, s28, v0
	s_waitcnt vmcnt(0) lgkmcnt(0)
	v_mov_b32_e32 v4, v2
	v_mov_b32_e32 v5, v3
	;; [unrolled: 1-line block ×16, first 2 shown]
	v_pk_mov_b32 v[34:35], v[30:31], v[30:31] op_sel:[0,1]
	v_pk_mov_b32 v[32:33], v[28:29], v[28:29] op_sel:[0,1]
	v_pk_mov_b32 v[30:31], v[26:27], v[26:27] op_sel:[0,1]
	v_pk_mov_b32 v[28:29], v[24:25], v[24:25] op_sel:[0,1]
	v_pk_mov_b32 v[26:27], v[22:23], v[22:23] op_sel:[0,1]
	v_pk_mov_b32 v[24:25], v[20:21], v[20:21] op_sel:[0,1]
	v_pk_mov_b32 v[22:23], v[18:19], v[18:19] op_sel:[0,1]
	v_pk_mov_b32 v[20:21], v[16:17], v[16:17] op_sel:[0,1]
	v_pk_mov_b32 v[18:19], v[14:15], v[14:15] op_sel:[0,1]
	v_pk_mov_b32 v[16:17], v[12:13], v[12:13] op_sel:[0,1]
	v_pk_mov_b32 v[14:15], v[10:11], v[10:11] op_sel:[0,1]
	v_pk_mov_b32 v[12:13], v[8:9], v[8:9] op_sel:[0,1]
	v_pk_mov_b32 v[10:11], v[6:7], v[6:7] op_sel:[0,1]
	v_pk_mov_b32 v[8:9], v[4:5], v[4:5] op_sel:[0,1]
	v_pk_mov_b32 v[6:7], v[2:3], v[2:3] op_sel:[0,1]
	v_pk_mov_b32 v[4:5], v[0:1], v[0:1] op_sel:[0,1]
	s_and_saveexec_b64 s[4:5], vcc
	s_cbranch_execz .LBB4918_9
; %bb.8:
	v_lshlrev_b32_e32 v1, 3, v0
	v_add_co_u32_e32 v4, vcc, v36, v1
	v_addc_co_u32_e32 v5, vcc, 0, v37, vcc
	flat_load_dwordx2 v[38:39], v[4:5]
	v_mov_b32_e32 v4, v2
	v_mov_b32_e32 v5, v3
	;; [unrolled: 1-line block ×16, first 2 shown]
	v_pk_mov_b32 v[34:35], v[30:31], v[30:31] op_sel:[0,1]
	v_pk_mov_b32 v[32:33], v[28:29], v[28:29] op_sel:[0,1]
	;; [unrolled: 1-line block ×16, first 2 shown]
	s_waitcnt vmcnt(0) lgkmcnt(0)
	v_pk_mov_b32 v[2:3], v[38:39], v[38:39] op_sel:[0,1]
.LBB4918_9:
	s_or_b64 exec, exec, s[4:5]
	v_or_b32_e32 v1, 0x80, v0
	v_cmp_gt_u32_e32 vcc, s28, v1
	s_and_saveexec_b64 s[4:5], vcc
	s_cbranch_execz .LBB4918_11
; %bb.10:
	v_lshlrev_b32_e32 v1, 3, v0
	v_add_co_u32_e32 v4, vcc, v36, v1
	v_addc_co_u32_e32 v5, vcc, 0, v37, vcc
	flat_load_dwordx2 v[6:7], v[4:5] offset:1024
.LBB4918_11:
	s_or_b64 exec, exec, s[4:5]
	v_or_b32_e32 v1, 0x100, v0
	v_cmp_gt_u32_e32 vcc, s28, v1
	s_and_saveexec_b64 s[4:5], vcc
	s_cbranch_execz .LBB4918_13
; %bb.12:
	v_lshlrev_b32_e32 v1, 3, v0
	v_add_co_u32_e32 v4, vcc, v36, v1
	v_addc_co_u32_e32 v5, vcc, 0, v37, vcc
	flat_load_dwordx2 v[8:9], v[4:5] offset:2048
.LBB4918_13:
	;; [unrolled: 11-line block ×3, first 2 shown]
	s_or_b64 exec, exec, s[4:5]
	v_or_b32_e32 v1, 0x200, v0
	v_cmp_gt_u32_e32 vcc, s28, v1
	s_and_saveexec_b64 s[4:5], vcc
	s_cbranch_execz .LBB4918_17
; %bb.16:
	v_lshlrev_b32_e32 v1, 3, v1
	v_add_co_u32_e32 v4, vcc, v36, v1
	v_addc_co_u32_e32 v5, vcc, 0, v37, vcc
	flat_load_dwordx2 v[12:13], v[4:5]
.LBB4918_17:
	s_or_b64 exec, exec, s[4:5]
	v_or_b32_e32 v1, 0x280, v0
	v_cmp_gt_u32_e32 vcc, s28, v1
	s_and_saveexec_b64 s[4:5], vcc
	s_cbranch_execz .LBB4918_19
; %bb.18:
	v_lshlrev_b32_e32 v1, 3, v1
	v_add_co_u32_e32 v4, vcc, v36, v1
	v_addc_co_u32_e32 v5, vcc, 0, v37, vcc
	flat_load_dwordx2 v[14:15], v[4:5]
.LBB4918_19:
	;; [unrolled: 11-line block ×6, first 2 shown]
	s_or_b64 exec, exec, s[4:5]
	v_lshlrev_b32_e32 v1, 3, v0
	s_waitcnt vmcnt(0) lgkmcnt(0)
	ds_write2st64_b64 v1, v[2:3], v[6:7] offset1:2
	ds_write2st64_b64 v1, v[8:9], v[10:11] offset0:4 offset1:6
	ds_write2st64_b64 v1, v[12:13], v[14:15] offset0:8 offset1:10
	;; [unrolled: 1-line block ×4, first 2 shown]
	s_waitcnt lgkmcnt(0)
	s_barrier
.LBB4918_28:
	v_mul_u32_u24_e32 v48, 10, v0
	v_lshlrev_b32_e32 v49, 3, v48
	ds_read_b128 v[2:5], v49
	ds_read_b128 v[14:17], v49 offset:16
	ds_read_b128 v[10:13], v49 offset:32
	;; [unrolled: 1-line block ×4, first 2 shown]
	s_cmp_lg_u32 s30, 0
	v_mbcnt_lo_u32_b32 v1, -1, 0
	s_waitcnt lgkmcnt(0)
	s_barrier
	s_cbranch_scc0 .LBB4918_57
; %bb.29:
	v_add_f64 v[22:23], v[2:3], v[4:5]
	v_add_f64 v[22:23], v[14:15], v[22:23]
	;; [unrolled: 1-line block ×9, first 2 shown]
	v_mbcnt_hi_u32_b32 v33, -1, v1
	v_and_b32_e32 v28, 15, v33
	v_mov_b32_dpp v24, v22 row_shr:1 row_mask:0xf bank_mask:0xf
	v_mov_b32_dpp v25, v23 row_shr:1 row_mask:0xf bank_mask:0xf
	v_add_f64 v[24:25], v[22:23], v[24:25]
	v_cmp_eq_u32_e32 vcc, 0, v28
	v_cndmask_b32_e32 v24, v24, v22, vcc
	v_cndmask_b32_e32 v25, v25, v23, vcc
	v_cmp_lt_u32_e32 vcc, 1, v28
	v_mov_b32_dpp v26, v24 row_shr:2 row_mask:0xf bank_mask:0xf
	v_mov_b32_dpp v27, v25 row_shr:2 row_mask:0xf bank_mask:0xf
	v_add_f64 v[26:27], v[24:25], v[26:27]
	v_cndmask_b32_e32 v24, v24, v26, vcc
	v_cndmask_b32_e32 v25, v25, v27, vcc
	v_cmp_lt_u32_e32 vcc, 3, v28
	v_mov_b32_dpp v26, v24 row_shr:4 row_mask:0xf bank_mask:0xf
	v_mov_b32_dpp v27, v25 row_shr:4 row_mask:0xf bank_mask:0xf
	v_add_f64 v[26:27], v[24:25], v[26:27]
	;; [unrolled: 6-line block ×3, first 2 shown]
	v_cndmask_b32_e32 v24, v24, v26, vcc
	v_cndmask_b32_e32 v25, v25, v27, vcc
	v_and_b32_e32 v30, 16, v33
	v_mov_b32_dpp v26, v24 row_bcast:15 row_mask:0xf bank_mask:0xf
	v_mov_b32_dpp v27, v25 row_bcast:15 row_mask:0xf bank_mask:0xf
	v_add_f64 v[28:29], v[24:25], v[26:27]
	v_cmp_eq_u32_e32 vcc, 0, v30
	v_cndmask_b32_e32 v27, v29, v25, vcc
	v_cndmask_b32_e32 v26, v28, v24, vcc
	v_cmp_eq_u32_e64 s[4:5], 0, v33
	v_mov_b32_dpp v27, v27 row_bcast:31 row_mask:0xf bank_mask:0xf
	v_mov_b32_dpp v26, v26 row_bcast:31 row_mask:0xf bank_mask:0xf
	v_cmp_ne_u32_e64 s[6:7], 0, v33
	s_and_saveexec_b64 s[8:9], s[6:7]
; %bb.30:
	v_cndmask_b32_e32 v23, v29, v25, vcc
	v_cndmask_b32_e32 v22, v28, v24, vcc
	v_add_f64 v[24:25], v[22:23], v[26:27]
	v_cmp_lt_u32_e32 vcc, 31, v33
	v_cndmask_b32_e32 v23, v23, v25, vcc
	v_cndmask_b32_e32 v22, v22, v24, vcc
; %bb.31:
	s_or_b64 exec, exec, s[8:9]
	v_or_b32_e32 v25, 63, v0
	v_lshrrev_b32_e32 v24, 6, v0
	v_cmp_eq_u32_e32 vcc, v25, v0
	s_and_saveexec_b64 s[6:7], vcc
	s_cbranch_execz .LBB4918_33
; %bb.32:
	v_lshlrev_b32_e32 v25, 3, v24
	ds_write_b64 v25, v[22:23]
.LBB4918_33:
	s_or_b64 exec, exec, s[6:7]
	v_cmp_gt_u32_e32 vcc, 2, v0
	s_waitcnt lgkmcnt(0)
	s_barrier
	s_and_saveexec_b64 s[6:7], vcc
	s_cbranch_execz .LBB4918_35
; %bb.34:
	v_lshlrev_b32_e32 v25, 3, v0
	ds_read_b64 v[26:27], v25
	v_and_b32_e32 v30, 1, v33
	v_cmp_eq_u32_e32 vcc, 0, v30
	s_waitcnt lgkmcnt(0)
	v_mov_b32_dpp v28, v26 row_shr:1 row_mask:0xf bank_mask:0xf
	v_mov_b32_dpp v29, v27 row_shr:1 row_mask:0xf bank_mask:0xf
	v_add_f64 v[28:29], v[26:27], v[28:29]
	v_cndmask_b32_e32 v27, v29, v27, vcc
	v_cndmask_b32_e32 v26, v28, v26, vcc
	ds_write_b64 v25, v[26:27]
.LBB4918_35:
	s_or_b64 exec, exec, s[6:7]
	v_cmp_gt_u32_e32 vcc, 64, v0
	v_cmp_lt_u32_e64 s[6:7], 63, v0
	s_waitcnt lgkmcnt(0)
	s_barrier
	s_waitcnt lgkmcnt(0)
                                        ; implicit-def: $vgpr30_vgpr31
	s_and_saveexec_b64 s[8:9], s[6:7]
	s_cbranch_execz .LBB4918_37
; %bb.36:
	v_lshl_add_u32 v24, v24, 3, -8
	ds_read_b64 v[30:31], v24
	s_waitcnt lgkmcnt(0)
	v_add_f64 v[22:23], v[22:23], v[30:31]
.LBB4918_37:
	s_or_b64 exec, exec, s[8:9]
	v_add_u32_e32 v24, -1, v33
	v_and_b32_e32 v25, 64, v33
	v_cmp_lt_i32_e64 s[6:7], v24, v25
	v_cndmask_b32_e64 v24, v24, v33, s[6:7]
	v_lshlrev_b32_e32 v24, 2, v24
	ds_bpermute_b32 v38, v24, v22
	ds_bpermute_b32 v39, v24, v23
	s_and_saveexec_b64 s[26:27], vcc
	s_cbranch_execz .LBB4918_56
; %bb.38:
	v_mov_b32_e32 v25, 0
	ds_read_b64 v[22:23], v25 offset:8
	s_and_saveexec_b64 s[6:7], s[4:5]
	s_cbranch_execz .LBB4918_40
; %bb.39:
	s_add_i32 s8, s30, 64
	s_mov_b32 s9, 0
	s_lshl_b64 s[8:9], s[8:9], 4
	s_add_u32 s8, s24, s8
	s_addc_u32 s9, s25, s9
	v_mov_b32_e32 v24, 1
	v_pk_mov_b32 v[26:27], s[8:9], s[8:9] op_sel:[0,1]
	s_waitcnt lgkmcnt(0)
	;;#ASMSTART
	global_store_dwordx4 v[26:27], v[22:25] off	
s_waitcnt vmcnt(0)
	;;#ASMEND
.LBB4918_40:
	s_or_b64 exec, exec, s[6:7]
	v_xad_u32 v32, v33, -1, s30
	v_add_u32_e32 v24, 64, v32
	v_lshlrev_b64 v[26:27], 4, v[24:25]
	v_mov_b32_e32 v24, s25
	v_add_co_u32_e32 v34, vcc, s24, v26
	v_addc_co_u32_e32 v35, vcc, v24, v27, vcc
	;;#ASMSTART
	global_load_dwordx4 v[26:29], v[34:35] off glc	
s_waitcnt vmcnt(0)
	;;#ASMEND
	v_and_b32_e32 v24, 0xff, v27
	v_and_b32_e32 v29, 0xff00, v27
	v_or3_b32 v24, 0, v24, v29
	v_or3_b32 v26, v26, 0, 0
	v_and_b32_e32 v29, 0xff000000, v27
	v_and_b32_e32 v27, 0xff0000, v27
	v_or3_b32 v27, v24, v27, v29
	v_or3_b32 v26, v26, 0, 0
	v_cmp_eq_u16_sdwa s[8:9], v28, v25 src0_sel:BYTE_0 src1_sel:DWORD
	s_and_saveexec_b64 s[6:7], s[8:9]
	s_cbranch_execz .LBB4918_44
; %bb.41:
	s_mov_b64 s[8:9], 0
	v_mov_b32_e32 v24, 0
.LBB4918_42:                            ; =>This Inner Loop Header: Depth=1
	;;#ASMSTART
	global_load_dwordx4 v[26:29], v[34:35] off glc	
s_waitcnt vmcnt(0)
	;;#ASMEND
	v_cmp_ne_u16_sdwa s[10:11], v28, v24 src0_sel:BYTE_0 src1_sel:DWORD
	s_or_b64 s[8:9], s[10:11], s[8:9]
	s_andn2_b64 exec, exec, s[8:9]
	s_cbranch_execnz .LBB4918_42
; %bb.43:
	s_or_b64 exec, exec, s[8:9]
.LBB4918_44:
	s_or_b64 exec, exec, s[6:7]
	v_and_b32_e32 v41, 63, v33
	v_cmp_ne_u32_e32 vcc, 63, v41
	v_mov_b32_e32 v40, 2
	v_addc_co_u32_e32 v34, vcc, 0, v33, vcc
	v_cmp_eq_u16_sdwa s[6:7], v28, v40 src0_sel:BYTE_0 src1_sel:DWORD
	v_lshlrev_b64 v[24:25], v33, -1
	v_lshlrev_b32_e32 v42, 2, v34
	v_and_b32_e32 v29, s7, v25
	ds_bpermute_b32 v34, v42, v26
	ds_bpermute_b32 v35, v42, v27
	v_or_b32_e32 v29, 0x80000000, v29
	v_and_b32_e32 v36, s6, v24
	v_ffbl_b32_e32 v29, v29
	v_add_u32_e32 v29, 32, v29
	v_ffbl_b32_e32 v36, v36
	v_cmp_gt_u32_e64 s[6:7], 62, v41
	v_min_u32_e32 v29, v36, v29
	v_cndmask_b32_e64 v36, 0, 1, s[6:7]
	s_waitcnt lgkmcnt(0)
	v_add_f64 v[34:35], v[26:27], v[34:35]
	v_cmp_lt_u32_e32 vcc, v41, v29
	v_lshlrev_b32_e32 v36, 1, v36
	v_cndmask_b32_e32 v34, v26, v34, vcc
	v_cndmask_b32_e32 v35, v27, v35, vcc
	v_add_lshl_u32 v43, v36, v33, 2
	ds_bpermute_b32 v36, v43, v34
	ds_bpermute_b32 v37, v43, v35
	v_add_u32_e32 v44, 2, v41
	v_cmp_gt_u32_e64 s[6:7], v44, v29
	v_cmp_gt_u32_e64 s[8:9], 56, v41
	v_add_u32_e32 v46, 4, v41
	s_waitcnt lgkmcnt(0)
	v_add_f64 v[36:37], v[34:35], v[36:37]
	v_cndmask_b32_e64 v34, v36, v34, s[6:7]
	v_cndmask_b32_e64 v35, v37, v35, s[6:7]
	v_cmp_gt_u32_e64 s[6:7], 60, v41
	v_cndmask_b32_e64 v36, 0, 1, s[6:7]
	v_lshlrev_b32_e32 v36, 2, v36
	v_add_lshl_u32 v45, v36, v33, 2
	ds_bpermute_b32 v36, v45, v34
	ds_bpermute_b32 v37, v45, v35
	v_cndmask_b32_e64 v47, 0, 1, s[8:9]
	v_cmp_gt_u32_e64 s[6:7], v46, v29
	v_lshlrev_b32_e32 v47, 3, v47
	v_add_lshl_u32 v47, v47, v33, 2
	s_waitcnt lgkmcnt(0)
	v_add_f64 v[36:37], v[34:35], v[36:37]
	v_cndmask_b32_e64 v52, v36, v34, s[6:7]
	v_cndmask_b32_e64 v53, v37, v35, s[6:7]
	ds_bpermute_b32 v54, v47, v52
	ds_bpermute_b32 v55, v47, v53
	v_cmp_gt_u32_e64 s[10:11], 48, v41
	v_add_u32_e32 v50, 8, v41
	v_cndmask_b32_e64 v51, 0, 1, s[10:11]
	v_cmp_gt_u32_e64 s[8:9], v50, v29
	s_waitcnt lgkmcnt(0)
	v_add_f64 v[56:57], v[52:53], v[54:55]
	v_lshlrev_b32_e32 v51, 4, v51
	v_cndmask_b32_e64 v54, v56, v52, s[8:9]
	v_cndmask_b32_e64 v55, v57, v53, s[8:9]
	v_add_lshl_u32 v51, v51, v33, 2
	ds_bpermute_b32 v58, v51, v54
	ds_bpermute_b32 v59, v51, v55
	v_cmp_gt_u32_e64 s[12:13], 32, v41
	v_add_u32_e32 v52, 16, v41
	v_cndmask_b32_e64 v53, 0, 1, s[12:13]
	v_cmp_gt_u32_e64 s[10:11], v52, v29
	s_waitcnt lgkmcnt(0)
	v_add_f64 v[58:59], v[54:55], v[58:59]
	v_lshlrev_b32_e32 v53, 5, v53
	v_cndmask_b32_e64 v60, v58, v54, s[10:11]
	v_add_lshl_u32 v53, v53, v33, 2
	v_cndmask_b32_e64 v61, v59, v55, s[10:11]
	ds_bpermute_b32 v62, v53, v60
	ds_bpermute_b32 v63, v53, v61
	v_cndmask_b32_e32 v27, v27, v35, vcc
	v_cndmask_b32_e32 v26, v26, v34, vcc
	v_cndmask_b32_e64 v26, v36, v26, s[6:7]
	v_cndmask_b32_e64 v27, v37, v27, s[6:7]
	v_add_u32_e32 v54, 32, v41
	v_cndmask_b32_e64 v27, v57, v27, s[8:9]
	v_cndmask_b32_e64 v26, v56, v26, s[8:9]
	s_waitcnt lgkmcnt(0)
	v_add_f64 v[60:61], v[60:61], v[62:63]
	v_cndmask_b32_e64 v26, v58, v26, s[10:11]
	v_cndmask_b32_e64 v27, v59, v27, s[10:11]
	v_cmp_gt_u32_e32 vcc, v54, v29
	v_cndmask_b32_e32 v27, v61, v27, vcc
	v_cndmask_b32_e32 v26, v60, v26, vcc
	v_mov_b32_e32 v33, 0
	s_branch .LBB4918_46
.LBB4918_45:                            ;   in Loop: Header=BB4918_46 Depth=1
	s_or_b64 exec, exec, s[6:7]
	v_cmp_eq_u16_sdwa s[6:7], v28, v40 src0_sel:BYTE_0 src1_sel:DWORD
	v_and_b32_e32 v29, s7, v25
	ds_bpermute_b32 v36, v42, v26
	ds_bpermute_b32 v37, v42, v27
	v_or_b32_e32 v29, 0x80000000, v29
	v_and_b32_e32 v55, s6, v24
	v_ffbl_b32_e32 v29, v29
	v_add_u32_e32 v29, 32, v29
	v_ffbl_b32_e32 v55, v55
	v_min_u32_e32 v29, v55, v29
	s_waitcnt lgkmcnt(0)
	v_add_f64 v[36:37], v[26:27], v[36:37]
	v_cmp_lt_u32_e32 vcc, v41, v29
	v_cndmask_b32_e32 v36, v26, v36, vcc
	v_cndmask_b32_e32 v37, v27, v37, vcc
	ds_bpermute_b32 v56, v43, v36
	ds_bpermute_b32 v57, v43, v37
	v_cmp_gt_u32_e64 s[6:7], v44, v29
	v_cmp_gt_u32_e64 s[8:9], v50, v29
	;; [unrolled: 1-line block ×3, first 2 shown]
	v_subrev_u32_e32 v32, 64, v32
	s_waitcnt lgkmcnt(0)
	v_add_f64 v[56:57], v[36:37], v[56:57]
	v_cndmask_b32_e64 v36, v56, v36, s[6:7]
	v_cndmask_b32_e64 v37, v57, v37, s[6:7]
	ds_bpermute_b32 v56, v45, v36
	ds_bpermute_b32 v57, v45, v37
	v_cmp_gt_u32_e64 s[6:7], v46, v29
	v_cndmask_b32_e32 v27, v27, v37, vcc
	v_cndmask_b32_e32 v26, v26, v36, vcc
	v_cmp_gt_u32_e32 vcc, v54, v29
	s_waitcnt lgkmcnt(0)
	v_add_f64 v[56:57], v[36:37], v[56:57]
	v_cndmask_b32_e64 v58, v56, v36, s[6:7]
	v_cndmask_b32_e64 v59, v57, v37, s[6:7]
	ds_bpermute_b32 v60, v47, v58
	ds_bpermute_b32 v61, v47, v59
	v_cndmask_b32_e64 v26, v56, v26, s[6:7]
	v_cndmask_b32_e64 v27, v57, v27, s[6:7]
	s_waitcnt lgkmcnt(0)
	v_add_f64 v[60:61], v[58:59], v[60:61]
	v_cndmask_b32_e64 v58, v60, v58, s[8:9]
	v_cndmask_b32_e64 v59, v61, v59, s[8:9]
	ds_bpermute_b32 v62, v51, v58
	ds_bpermute_b32 v63, v51, v59
	v_cndmask_b32_e64 v27, v61, v27, s[8:9]
	v_cndmask_b32_e64 v26, v60, v26, s[8:9]
	;; [unrolled: 8-line block ×3, first 2 shown]
	s_waitcnt lgkmcnt(0)
	v_add_f64 v[58:59], v[58:59], v[64:65]
	v_cndmask_b32_e32 v27, v59, v27, vcc
	v_cndmask_b32_e32 v26, v58, v26, vcc
	v_add_f64 v[26:27], v[34:35], v[26:27]
.LBB4918_46:                            ; =>This Loop Header: Depth=1
                                        ;     Child Loop BB4918_49 Depth 2
	v_cmp_ne_u16_sdwa s[6:7], v28, v40 src0_sel:BYTE_0 src1_sel:DWORD
	v_cndmask_b32_e64 v28, 0, 1, s[6:7]
	;;#ASMSTART
	;;#ASMEND
	v_cmp_ne_u32_e32 vcc, 0, v28
	s_cmp_lg_u64 vcc, exec
	v_pk_mov_b32 v[34:35], v[26:27], v[26:27] op_sel:[0,1]
	s_cbranch_scc1 .LBB4918_51
; %bb.47:                               ;   in Loop: Header=BB4918_46 Depth=1
	v_lshlrev_b64 v[26:27], 4, v[32:33]
	v_mov_b32_e32 v28, s25
	v_add_co_u32_e32 v36, vcc, s24, v26
	v_addc_co_u32_e32 v37, vcc, v28, v27, vcc
	;;#ASMSTART
	global_load_dwordx4 v[26:29], v[36:37] off glc	
s_waitcnt vmcnt(0)
	;;#ASMEND
	v_and_b32_e32 v29, 0xff, v27
	v_and_b32_e32 v55, 0xff00, v27
	v_or3_b32 v29, 0, v29, v55
	v_or3_b32 v26, v26, 0, 0
	v_and_b32_e32 v55, 0xff000000, v27
	v_and_b32_e32 v27, 0xff0000, v27
	v_or3_b32 v27, v29, v27, v55
	v_or3_b32 v26, v26, 0, 0
	v_cmp_eq_u16_sdwa s[8:9], v28, v33 src0_sel:BYTE_0 src1_sel:DWORD
	s_and_saveexec_b64 s[6:7], s[8:9]
	s_cbranch_execz .LBB4918_45
; %bb.48:                               ;   in Loop: Header=BB4918_46 Depth=1
	s_mov_b64 s[8:9], 0
.LBB4918_49:                            ;   Parent Loop BB4918_46 Depth=1
                                        ; =>  This Inner Loop Header: Depth=2
	;;#ASMSTART
	global_load_dwordx4 v[26:29], v[36:37] off glc	
s_waitcnt vmcnt(0)
	;;#ASMEND
	v_cmp_ne_u16_sdwa s[10:11], v28, v33 src0_sel:BYTE_0 src1_sel:DWORD
	s_or_b64 s[8:9], s[10:11], s[8:9]
	s_andn2_b64 exec, exec, s[8:9]
	s_cbranch_execnz .LBB4918_49
; %bb.50:                               ;   in Loop: Header=BB4918_46 Depth=1
	s_or_b64 exec, exec, s[8:9]
	s_branch .LBB4918_45
.LBB4918_51:                            ;   in Loop: Header=BB4918_46 Depth=1
                                        ; implicit-def: $vgpr26_vgpr27
                                        ; implicit-def: $vgpr28
	s_cbranch_execz .LBB4918_46
; %bb.52:
	s_and_saveexec_b64 s[6:7], s[4:5]
	s_cbranch_execz .LBB4918_54
; %bb.53:
	s_add_i32 s8, s30, 64
	s_mov_b32 s9, 0
	s_lshl_b64 s[8:9], s[8:9], 4
	s_add_u32 s8, s24, s8
	s_addc_u32 s9, s25, s9
	v_add_f64 v[22:23], v[22:23], v[34:35]
	v_mov_b32_e32 v24, 2
	v_mov_b32_e32 v25, 0
	v_pk_mov_b32 v[26:27], s[8:9], s[8:9] op_sel:[0,1]
	;;#ASMSTART
	global_store_dwordx4 v[26:27], v[22:25] off	
s_waitcnt vmcnt(0)
	;;#ASMEND
.LBB4918_54:
	s_or_b64 exec, exec, s[6:7]
	s_and_b64 exec, exec, s[2:3]
	s_cbranch_execz .LBB4918_56
; %bb.55:
	v_mov_b32_e32 v22, 0
	ds_write_b64 v22, v[34:35] offset:8
.LBB4918_56:
	s_or_b64 exec, exec, s[26:27]
	v_mov_b32_e32 v22, 0
	s_waitcnt lgkmcnt(0)
	s_barrier
	ds_read_b64 v[24:25], v22 offset:8
	v_cndmask_b32_e64 v23, v39, v31, s[4:5]
	v_cndmask_b32_e64 v22, v38, v30, s[4:5]
	v_add_f64 v[22:23], v[2:3], v[22:23]
	v_cndmask_b32_e64 v23, v23, v3, s[2:3]
	v_cndmask_b32_e64 v22, v22, v2, s[2:3]
	s_waitcnt lgkmcnt(0)
	v_add_f64 v[38:39], v[22:23], v[24:25]
	v_add_f64 v[40:41], v[4:5], v[38:39]
	;; [unrolled: 1-line block ×10, first 2 shown]
	s_branch .LBB4918_73
.LBB4918_57:
                                        ; implicit-def: $vgpr24_vgpr25
                                        ; implicit-def: $vgpr28_vgpr29
                                        ; implicit-def: $vgpr32_vgpr33
                                        ; implicit-def: $vgpr36_vgpr37
                                        ; implicit-def: $vgpr40_vgpr41
	s_cbranch_execz .LBB4918_73
; %bb.58:
	s_cmp_lg_u64 s[20:21], 0
	s_cselect_b64 s[4:5], -1, 0
	s_and_b64 s[4:5], s[2:3], s[4:5]
	s_and_saveexec_b64 s[2:3], s[4:5]
	s_cbranch_execz .LBB4918_60
; %bb.59:
	v_mov_b32_e32 v22, 0
	global_load_dwordx2 v[22:23], v22, s[16:17]
	s_waitcnt vmcnt(0)
	v_add_f64 v[2:3], v[2:3], v[22:23]
.LBB4918_60:
	s_or_b64 exec, exec, s[2:3]
	v_add_f64 v[40:41], v[2:3], v[4:5]
	v_add_f64 v[34:35], v[14:15], v[40:41]
	;; [unrolled: 1-line block ×9, first 2 shown]
	v_mbcnt_hi_u32_b32 v1, -1, v1
	v_and_b32_e32 v44, 15, v1
	v_mov_b32_dpp v38, v24 row_shr:1 row_mask:0xf bank_mask:0xf
	v_mov_b32_dpp v39, v25 row_shr:1 row_mask:0xf bank_mask:0xf
	v_add_f64 v[38:39], v[24:25], v[38:39]
	v_cmp_eq_u32_e32 vcc, 0, v44
	v_cndmask_b32_e32 v38, v38, v24, vcc
	v_cndmask_b32_e32 v39, v39, v25, vcc
	v_cmp_lt_u32_e32 vcc, 1, v44
	v_mov_b32_dpp v42, v38 row_shr:2 row_mask:0xf bank_mask:0xf
	v_mov_b32_dpp v43, v39 row_shr:2 row_mask:0xf bank_mask:0xf
	v_add_f64 v[42:43], v[38:39], v[42:43]
	v_cndmask_b32_e32 v38, v38, v42, vcc
	v_cndmask_b32_e32 v39, v39, v43, vcc
	v_cmp_lt_u32_e32 vcc, 3, v44
	v_mov_b32_dpp v42, v38 row_shr:4 row_mask:0xf bank_mask:0xf
	v_mov_b32_dpp v43, v39 row_shr:4 row_mask:0xf bank_mask:0xf
	v_add_f64 v[42:43], v[38:39], v[42:43]
	;; [unrolled: 6-line block ×3, first 2 shown]
	v_cndmask_b32_e32 v42, v38, v42, vcc
	v_cndmask_b32_e32 v43, v39, v43, vcc
	v_and_b32_e32 v44, 16, v1
	v_mov_b32_dpp v38, v42 row_bcast:15 row_mask:0xf bank_mask:0xf
	v_mov_b32_dpp v39, v43 row_bcast:15 row_mask:0xf bank_mask:0xf
	v_add_f64 v[46:47], v[42:43], v[38:39]
	v_cmp_eq_u32_e64 s[2:3], 0, v44
	v_cndmask_b32_e64 v38, v47, v43, s[2:3]
	v_cndmask_b32_e64 v39, v46, v42, s[2:3]
	v_cmp_eq_u32_e32 vcc, 0, v1
	v_mov_b32_dpp v45, v38 row_bcast:31 row_mask:0xf bank_mask:0xf
	v_mov_b32_dpp v44, v39 row_bcast:31 row_mask:0xf bank_mask:0xf
	v_cmp_ne_u32_e64 s[4:5], 0, v1
	v_pk_mov_b32 v[38:39], v[24:25], v[24:25] op_sel:[0,1]
	s_and_saveexec_b64 s[6:7], s[4:5]
; %bb.61:
	v_cndmask_b32_e64 v39, v47, v43, s[2:3]
	v_cndmask_b32_e64 v38, v46, v42, s[2:3]
	v_add_f64 v[42:43], v[38:39], v[44:45]
	v_cmp_lt_u32_e64 s[2:3], 31, v1
	v_cndmask_b32_e64 v39, v39, v43, s[2:3]
	v_cndmask_b32_e64 v38, v38, v42, s[2:3]
; %bb.62:
	s_or_b64 exec, exec, s[6:7]
	v_or_b32_e32 v42, 63, v0
	v_lshrrev_b32_e32 v44, 6, v0
	v_cmp_eq_u32_e64 s[2:3], v42, v0
	s_and_saveexec_b64 s[4:5], s[2:3]
	s_cbranch_execz .LBB4918_64
; %bb.63:
	v_lshlrev_b32_e32 v42, 3, v44
	ds_write_b64 v42, v[38:39]
.LBB4918_64:
	s_or_b64 exec, exec, s[4:5]
	v_cmp_gt_u32_e64 s[2:3], 2, v0
	s_waitcnt lgkmcnt(0)
	s_barrier
	s_and_saveexec_b64 s[4:5], s[2:3]
	s_cbranch_execz .LBB4918_66
; %bb.65:
	s_movk_i32 s2, 0xffb8
	v_mad_i32_i24 v45, v0, s2, v49
	ds_read_b64 v[42:43], v45
	v_and_b32_e32 v50, 1, v1
	v_cmp_eq_u32_e64 s[2:3], 0, v50
	s_waitcnt lgkmcnt(0)
	v_mov_b32_dpp v46, v42 row_shr:1 row_mask:0xf bank_mask:0xf
	v_mov_b32_dpp v47, v43 row_shr:1 row_mask:0xf bank_mask:0xf
	v_add_f64 v[46:47], v[42:43], v[46:47]
	v_cndmask_b32_e64 v43, v47, v43, s[2:3]
	v_cndmask_b32_e64 v42, v46, v42, s[2:3]
	ds_write_b64 v45, v[42:43]
.LBB4918_66:
	s_or_b64 exec, exec, s[4:5]
	v_cmp_lt_u32_e64 s[2:3], 63, v0
	s_waitcnt lgkmcnt(0)
	s_barrier
	s_waitcnt lgkmcnt(0)
                                        ; implicit-def: $vgpr42_vgpr43
	s_and_saveexec_b64 s[4:5], s[2:3]
	s_cbranch_execz .LBB4918_68
; %bb.67:
	v_lshl_add_u32 v42, v44, 3, -8
	ds_read_b64 v[42:43], v42
	s_waitcnt lgkmcnt(0)
	v_add_f64 v[38:39], v[38:39], v[42:43]
.LBB4918_68:
	s_or_b64 exec, exec, s[4:5]
	v_add_u32_e32 v44, -1, v1
	v_and_b32_e32 v45, 64, v1
	v_cmp_lt_i32_e64 s[2:3], v44, v45
	v_cndmask_b32_e64 v1, v44, v1, s[2:3]
	v_lshlrev_b32_e32 v44, 2, v1
	ds_bpermute_b32 v1, v44, v38
	ds_bpermute_b32 v38, v44, v39
	s_and_saveexec_b64 s[2:3], s[0:1]
	s_cbranch_execz .LBB4918_70
; %bb.69:
	s_waitcnt lgkmcnt(0)
	v_cndmask_b32_e32 v23, v38, v43, vcc
	v_cndmask_b32_e32 v22, v1, v42, vcc
	v_add_f64 v[2:3], v[2:3], v[22:23]
	v_add_f64 v[40:41], v[4:5], v[2:3]
	;; [unrolled: 1-line block ×10, first 2 shown]
	;;#ASMSTART
	;;#ASMEND
.LBB4918_70:
	s_or_b64 exec, exec, s[2:3]
	s_movk_i32 s0, 0x7f
	v_cmp_eq_u32_e32 vcc, s0, v0
	s_and_saveexec_b64 s[0:1], vcc
	s_cbranch_execz .LBB4918_72
; %bb.71:
	s_add_u32 s2, s24, 0x400
	s_addc_u32 s3, s25, 0
	v_mov_b32_e32 v6, 2
	v_mov_b32_e32 v7, 0
	;; [unrolled: 1-line block ×4, first 2 shown]
	v_pk_mov_b32 v[8:9], s[2:3], s[2:3] op_sel:[0,1]
	;;#ASMSTART
	global_store_dwordx4 v[8:9], v[4:7] off	
s_waitcnt vmcnt(0)
	;;#ASMEND
.LBB4918_72:
	s_or_b64 exec, exec, s[0:1]
	s_waitcnt lgkmcnt(0)
	v_pk_mov_b32 v[38:39], v[2:3], v[2:3] op_sel:[0,1]
.LBB4918_73:
	s_mov_b64 s[0:1], -1
	s_and_b64 vcc, exec, s[14:15]
	s_barrier
	ds_write_b128 v49, v[38:41]
	ds_write_b128 v49, v[34:37] offset:16
	ds_write_b128 v49, v[30:33] offset:32
	;; [unrolled: 1-line block ×4, first 2 shown]
	s_waitcnt lgkmcnt(0)
	s_cbranch_vccz .LBB4918_75
; %bb.74:
	s_barrier
	s_mov_b64 s[0:1], 0
.LBB4918_75:
	s_andn2_b64 vcc, exec, s[0:1]
	s_cbranch_vccnz .LBB4918_111
; %bb.76:
	v_cmp_lt_u64_e64 s[0:1], s[22:23], 2
	s_and_b64 vcc, exec, s[0:1]
	s_barrier
	s_cbranch_vccnz .LBB4918_111
; %bb.77:
	s_add_u32 s0, s28, -1
	s_addc_u32 s1, s29, -1
	s_add_u32 s2, 0, 0x99986000
	s_addc_u32 s3, 0, 0x59
	s_add_i32 s3, s3, 0x19999940
	s_mul_hi_u32 s7, s2, -10
	s_sub_i32 s7, s7, s2
	s_mul_i32 s8, s3, -10
	s_mul_i32 s4, s2, -10
	s_add_i32 s7, s7, s8
	s_mul_hi_u32 s5, s3, s4
	s_mul_i32 s6, s3, s4
	s_mul_i32 s9, s2, s7
	s_mul_hi_u32 s4, s2, s4
	s_mul_hi_u32 s8, s2, s7
	s_add_u32 s4, s4, s9
	s_addc_u32 s8, 0, s8
	s_add_u32 s4, s4, s6
	s_mul_hi_u32 s9, s3, s7
	s_addc_u32 s4, s8, s5
	s_addc_u32 s5, s9, 0
	s_mul_i32 s6, s3, s7
	s_add_u32 s4, s4, s6
	v_mov_b32_e32 v2, s4
	s_addc_u32 s5, 0, s5
	v_add_co_u32_e32 v2, vcc, s2, v2
	s_cmp_lg_u64 vcc, 0
	s_addc_u32 s2, s3, s5
	v_readfirstlane_b32 s5, v2
	s_mul_i32 s4, s0, s2
	s_mul_hi_u32 s6, s0, s5
	s_mul_hi_u32 s3, s0, s2
	s_add_u32 s4, s6, s4
	s_addc_u32 s3, 0, s3
	s_mul_hi_u32 s7, s1, s5
	s_mul_i32 s5, s1, s5
	s_add_u32 s4, s4, s5
	s_mul_hi_u32 s6, s1, s2
	s_addc_u32 s3, s3, s7
	s_addc_u32 s4, s6, 0
	s_mul_i32 s2, s1, s2
	s_add_u32 s2, s3, s2
	s_addc_u32 s3, 0, s4
	s_add_u32 s4, s2, 1
	s_addc_u32 s5, s3, 0
	s_add_u32 s6, s2, 2
	s_mul_i32 s8, s3, 10
	s_mul_hi_u32 s9, s2, 10
	s_addc_u32 s7, s3, 0
	s_add_i32 s9, s9, s8
	s_mul_i32 s8, s2, 10
	v_mov_b32_e32 v2, s8
	v_sub_co_u32_e32 v2, vcc, s0, v2
	s_cmp_lg_u64 vcc, 0
	s_subb_u32 s8, s1, s9
	v_subrev_co_u32_e32 v3, vcc, 10, v2
	s_cmp_lg_u64 vcc, 0
	s_subb_u32 s9, s8, 0
	v_readfirstlane_b32 s10, v3
	s_cmp_gt_u32 s10, 9
	s_cselect_b32 s10, -1, 0
	s_cmp_eq_u32 s9, 0
	s_cselect_b32 s9, s10, -1
	s_cmp_lg_u32 s9, 0
	s_cselect_b32 s4, s6, s4
	v_readfirstlane_b32 s6, v2
	s_cselect_b32 s5, s7, s5
	s_cmp_gt_u32 s6, 9
	s_cselect_b32 s6, -1, 0
	s_cmp_eq_u32 s8, 0
	s_cselect_b32 s6, s6, -1
	s_cmp_lg_u32 s6, 0
	v_mov_b32_e32 v1, 0
	s_cselect_b32 s3, s5, s3
	s_cselect_b32 s2, s4, s2
	v_cmp_eq_u64_e32 vcc, s[2:3], v[0:1]
	s_and_saveexec_b64 s[2:3], vcc
	s_cbranch_execz .LBB4918_111
; %bb.78:
	s_movk_i32 s2, 0xffb8
	v_mad_i32_i24 v2, v0, s2, v49
	v_mul_hi_u32_u24_e32 v1, 10, v0
	v_mov_b32_e32 v3, s1
	v_sub_co_u32_e32 v0, vcc, s0, v48
	v_subb_co_u32_e32 v1, vcc, v3, v1, vcc
	v_cmp_lt_i64_e32 vcc, 4, v[0:1]
	s_and_saveexec_b64 s[0:1], vcc
	s_xor_b64 s[0:1], exec, s[0:1]
	s_cbranch_execz .LBB4918_96
; %bb.79:
	v_cmp_lt_i64_e32 vcc, 6, v[0:1]
	s_and_saveexec_b64 s[2:3], vcc
	s_xor_b64 s[2:3], exec, s[2:3]
	s_cbranch_execz .LBB4918_89
; %bb.80:
	;; [unrolled: 5-line block ×4, first 2 shown]
	ds_read_b64 v[0:1], v2 offset:9216
	v_mov_b32_e32 v2, 0
	s_waitcnt lgkmcnt(0)
	global_store_dwordx2 v2, v[0:1], s[18:19]
                                        ; implicit-def: $vgpr2
.LBB4918_83:
	s_andn2_saveexec_b64 s[6:7], s[6:7]
	s_cbranch_execz .LBB4918_85
; %bb.84:
	ds_read_b64 v[0:1], v2 offset:8192
	v_mov_b32_e32 v2, 0
	s_waitcnt lgkmcnt(0)
	global_store_dwordx2 v2, v[0:1], s[18:19]
.LBB4918_85:
	s_or_b64 exec, exec, s[6:7]
                                        ; implicit-def: $vgpr2
.LBB4918_86:
	s_andn2_saveexec_b64 s[4:5], s[4:5]
	s_cbranch_execz .LBB4918_88
; %bb.87:
	ds_read_b64 v[0:1], v2 offset:7168
	v_mov_b32_e32 v2, 0
	s_waitcnt lgkmcnt(0)
	global_store_dwordx2 v2, v[0:1], s[18:19]
.LBB4918_88:
	s_or_b64 exec, exec, s[4:5]
                                        ; implicit-def: $vgpr2
                                        ; implicit-def: $vgpr0_vgpr1
.LBB4918_89:
	s_andn2_saveexec_b64 s[2:3], s[2:3]
	s_cbranch_execz .LBB4918_95
; %bb.90:
	v_cmp_lt_i64_e32 vcc, 5, v[0:1]
	s_and_saveexec_b64 s[4:5], vcc
	s_xor_b64 s[4:5], exec, s[4:5]
	s_cbranch_execz .LBB4918_92
; %bb.91:
	ds_read_b64 v[0:1], v2 offset:6144
	v_mov_b32_e32 v2, 0
	s_waitcnt lgkmcnt(0)
	global_store_dwordx2 v2, v[0:1], s[18:19]
                                        ; implicit-def: $vgpr2
.LBB4918_92:
	s_andn2_saveexec_b64 s[4:5], s[4:5]
	s_cbranch_execz .LBB4918_94
; %bb.93:
	ds_read_b64 v[0:1], v2 offset:5120
	v_mov_b32_e32 v2, 0
	s_waitcnt lgkmcnt(0)
	global_store_dwordx2 v2, v[0:1], s[18:19]
.LBB4918_94:
	s_or_b64 exec, exec, s[4:5]
.LBB4918_95:
	s_or_b64 exec, exec, s[2:3]
                                        ; implicit-def: $vgpr0_vgpr1
                                        ; implicit-def: $vgpr2
.LBB4918_96:
	s_andn2_saveexec_b64 s[0:1], s[0:1]
	s_cbranch_execz .LBB4918_111
; %bb.97:
	v_cmp_lt_i64_e32 vcc, 2, v[0:1]
	s_and_saveexec_b64 s[0:1], vcc
	s_xor_b64 s[0:1], exec, s[0:1]
	s_cbranch_execz .LBB4918_103
; %bb.98:
	v_cmp_lt_i64_e32 vcc, 3, v[0:1]
	s_and_saveexec_b64 s[2:3], vcc
	s_xor_b64 s[2:3], exec, s[2:3]
	s_cbranch_execz .LBB4918_100
; %bb.99:
	ds_read_b64 v[0:1], v2 offset:4096
	v_mov_b32_e32 v2, 0
	s_waitcnt lgkmcnt(0)
	global_store_dwordx2 v2, v[0:1], s[18:19]
                                        ; implicit-def: $vgpr2
.LBB4918_100:
	s_andn2_saveexec_b64 s[2:3], s[2:3]
	s_cbranch_execz .LBB4918_102
; %bb.101:
	ds_read_b64 v[0:1], v2 offset:3072
	v_mov_b32_e32 v2, 0
	s_waitcnt lgkmcnt(0)
	global_store_dwordx2 v2, v[0:1], s[18:19]
.LBB4918_102:
	s_or_b64 exec, exec, s[2:3]
                                        ; implicit-def: $vgpr0_vgpr1
                                        ; implicit-def: $vgpr2
.LBB4918_103:
	s_andn2_saveexec_b64 s[0:1], s[0:1]
	s_cbranch_execz .LBB4918_111
; %bb.104:
	v_cmp_lt_i64_e32 vcc, 1, v[0:1]
	s_and_saveexec_b64 s[0:1], vcc
	s_xor_b64 s[0:1], exec, s[0:1]
	s_cbranch_execz .LBB4918_106
; %bb.105:
	ds_read_b64 v[0:1], v2 offset:2048
	v_mov_b32_e32 v2, 0
	s_waitcnt lgkmcnt(0)
	global_store_dwordx2 v2, v[0:1], s[18:19]
                                        ; implicit-def: $vgpr2
                                        ; implicit-def: $vgpr0_vgpr1
.LBB4918_106:
	s_andn2_saveexec_b64 s[0:1], s[0:1]
	s_cbranch_execz .LBB4918_111
; %bb.107:
	v_cmp_ne_u64_e32 vcc, 1, v[0:1]
	s_and_saveexec_b64 s[0:1], vcc
	s_xor_b64 s[0:1], exec, s[0:1]
	s_cbranch_execz .LBB4918_109
; %bb.108:
	ds_read_b64 v[0:1], v2
	v_mov_b32_e32 v2, 0
	s_waitcnt lgkmcnt(0)
	global_store_dwordx2 v2, v[0:1], s[18:19]
                                        ; implicit-def: $vgpr2
.LBB4918_109:
	s_andn2_saveexec_b64 s[0:1], s[0:1]
	s_cbranch_execz .LBB4918_111
; %bb.110:
	ds_read_b64 v[0:1], v2 offset:1024
	v_mov_b32_e32 v2, 0
	s_waitcnt lgkmcnt(0)
	global_store_dwordx2 v2, v[0:1], s[18:19]
.LBB4918_111:
	s_endpgm
	.section	.rodata,"a",@progbits
	.p2align	6, 0x0
	.amdhsa_kernel _ZN7rocprim17ROCPRIM_400000_NS6detail17trampoline_kernelINS0_14default_configENS1_20scan_config_selectorIdEEZZNS1_9scan_implILNS1_25lookback_scan_determinismE0ELb0ELb0ES3_N6thrust23THRUST_200600_302600_NS6detail15normal_iteratorINS9_10device_ptrIdEEEENS9_16discard_iteratorINS9_11use_defaultEEEdNS9_4plusIvEEdEEDaPvRmT3_T4_T5_mT6_P12ihipStream_tbENKUlT_T0_E_clISt17integral_constantIbLb0EESW_IbLb1EEEEDaSS_ST_EUlSS_E_NS1_11comp_targetILNS1_3genE4ELNS1_11target_archE910ELNS1_3gpuE8ELNS1_3repE0EEENS1_30default_config_static_selectorELNS0_4arch9wavefront6targetE1EEEvT1_
		.amdhsa_group_segment_fixed_size 10240
		.amdhsa_private_segment_fixed_size 0
		.amdhsa_kernarg_size 112
		.amdhsa_user_sgpr_count 6
		.amdhsa_user_sgpr_private_segment_buffer 1
		.amdhsa_user_sgpr_dispatch_ptr 0
		.amdhsa_user_sgpr_queue_ptr 0
		.amdhsa_user_sgpr_kernarg_segment_ptr 1
		.amdhsa_user_sgpr_dispatch_id 0
		.amdhsa_user_sgpr_flat_scratch_init 0
		.amdhsa_user_sgpr_kernarg_preload_length 0
		.amdhsa_user_sgpr_kernarg_preload_offset 0
		.amdhsa_user_sgpr_private_segment_size 0
		.amdhsa_uses_dynamic_stack 0
		.amdhsa_system_sgpr_private_segment_wavefront_offset 0
		.amdhsa_system_sgpr_workgroup_id_x 1
		.amdhsa_system_sgpr_workgroup_id_y 0
		.amdhsa_system_sgpr_workgroup_id_z 0
		.amdhsa_system_sgpr_workgroup_info 0
		.amdhsa_system_vgpr_workitem_id 0
		.amdhsa_next_free_vgpr 66
		.amdhsa_next_free_sgpr 31
		.amdhsa_accum_offset 68
		.amdhsa_reserve_vcc 1
		.amdhsa_reserve_flat_scratch 0
		.amdhsa_float_round_mode_32 0
		.amdhsa_float_round_mode_16_64 0
		.amdhsa_float_denorm_mode_32 3
		.amdhsa_float_denorm_mode_16_64 3
		.amdhsa_dx10_clamp 1
		.amdhsa_ieee_mode 1
		.amdhsa_fp16_overflow 0
		.amdhsa_tg_split 0
		.amdhsa_exception_fp_ieee_invalid_op 0
		.amdhsa_exception_fp_denorm_src 0
		.amdhsa_exception_fp_ieee_div_zero 0
		.amdhsa_exception_fp_ieee_overflow 0
		.amdhsa_exception_fp_ieee_underflow 0
		.amdhsa_exception_fp_ieee_inexact 0
		.amdhsa_exception_int_div_zero 0
	.end_amdhsa_kernel
	.section	.text._ZN7rocprim17ROCPRIM_400000_NS6detail17trampoline_kernelINS0_14default_configENS1_20scan_config_selectorIdEEZZNS1_9scan_implILNS1_25lookback_scan_determinismE0ELb0ELb0ES3_N6thrust23THRUST_200600_302600_NS6detail15normal_iteratorINS9_10device_ptrIdEEEENS9_16discard_iteratorINS9_11use_defaultEEEdNS9_4plusIvEEdEEDaPvRmT3_T4_T5_mT6_P12ihipStream_tbENKUlT_T0_E_clISt17integral_constantIbLb0EESW_IbLb1EEEEDaSS_ST_EUlSS_E_NS1_11comp_targetILNS1_3genE4ELNS1_11target_archE910ELNS1_3gpuE8ELNS1_3repE0EEENS1_30default_config_static_selectorELNS0_4arch9wavefront6targetE1EEEvT1_,"axG",@progbits,_ZN7rocprim17ROCPRIM_400000_NS6detail17trampoline_kernelINS0_14default_configENS1_20scan_config_selectorIdEEZZNS1_9scan_implILNS1_25lookback_scan_determinismE0ELb0ELb0ES3_N6thrust23THRUST_200600_302600_NS6detail15normal_iteratorINS9_10device_ptrIdEEEENS9_16discard_iteratorINS9_11use_defaultEEEdNS9_4plusIvEEdEEDaPvRmT3_T4_T5_mT6_P12ihipStream_tbENKUlT_T0_E_clISt17integral_constantIbLb0EESW_IbLb1EEEEDaSS_ST_EUlSS_E_NS1_11comp_targetILNS1_3genE4ELNS1_11target_archE910ELNS1_3gpuE8ELNS1_3repE0EEENS1_30default_config_static_selectorELNS0_4arch9wavefront6targetE1EEEvT1_,comdat
.Lfunc_end4918:
	.size	_ZN7rocprim17ROCPRIM_400000_NS6detail17trampoline_kernelINS0_14default_configENS1_20scan_config_selectorIdEEZZNS1_9scan_implILNS1_25lookback_scan_determinismE0ELb0ELb0ES3_N6thrust23THRUST_200600_302600_NS6detail15normal_iteratorINS9_10device_ptrIdEEEENS9_16discard_iteratorINS9_11use_defaultEEEdNS9_4plusIvEEdEEDaPvRmT3_T4_T5_mT6_P12ihipStream_tbENKUlT_T0_E_clISt17integral_constantIbLb0EESW_IbLb1EEEEDaSS_ST_EUlSS_E_NS1_11comp_targetILNS1_3genE4ELNS1_11target_archE910ELNS1_3gpuE8ELNS1_3repE0EEENS1_30default_config_static_selectorELNS0_4arch9wavefront6targetE1EEEvT1_, .Lfunc_end4918-_ZN7rocprim17ROCPRIM_400000_NS6detail17trampoline_kernelINS0_14default_configENS1_20scan_config_selectorIdEEZZNS1_9scan_implILNS1_25lookback_scan_determinismE0ELb0ELb0ES3_N6thrust23THRUST_200600_302600_NS6detail15normal_iteratorINS9_10device_ptrIdEEEENS9_16discard_iteratorINS9_11use_defaultEEEdNS9_4plusIvEEdEEDaPvRmT3_T4_T5_mT6_P12ihipStream_tbENKUlT_T0_E_clISt17integral_constantIbLb0EESW_IbLb1EEEEDaSS_ST_EUlSS_E_NS1_11comp_targetILNS1_3genE4ELNS1_11target_archE910ELNS1_3gpuE8ELNS1_3repE0EEENS1_30default_config_static_selectorELNS0_4arch9wavefront6targetE1EEEvT1_
                                        ; -- End function
	.section	.AMDGPU.csdata,"",@progbits
; Kernel info:
; codeLenInByte = 5484
; NumSgprs: 35
; NumVgprs: 66
; NumAgprs: 0
; TotalNumVgprs: 66
; ScratchSize: 0
; MemoryBound: 0
; FloatMode: 240
; IeeeMode: 1
; LDSByteSize: 10240 bytes/workgroup (compile time only)
; SGPRBlocks: 4
; VGPRBlocks: 8
; NumSGPRsForWavesPerEU: 35
; NumVGPRsForWavesPerEU: 66
; AccumOffset: 68
; Occupancy: 3
; WaveLimiterHint : 1
; COMPUTE_PGM_RSRC2:SCRATCH_EN: 0
; COMPUTE_PGM_RSRC2:USER_SGPR: 6
; COMPUTE_PGM_RSRC2:TRAP_HANDLER: 0
; COMPUTE_PGM_RSRC2:TGID_X_EN: 1
; COMPUTE_PGM_RSRC2:TGID_Y_EN: 0
; COMPUTE_PGM_RSRC2:TGID_Z_EN: 0
; COMPUTE_PGM_RSRC2:TIDIG_COMP_CNT: 0
; COMPUTE_PGM_RSRC3_GFX90A:ACCUM_OFFSET: 16
; COMPUTE_PGM_RSRC3_GFX90A:TG_SPLIT: 0
	.section	.text._ZN7rocprim17ROCPRIM_400000_NS6detail17trampoline_kernelINS0_14default_configENS1_20scan_config_selectorIdEEZZNS1_9scan_implILNS1_25lookback_scan_determinismE0ELb0ELb0ES3_N6thrust23THRUST_200600_302600_NS6detail15normal_iteratorINS9_10device_ptrIdEEEENS9_16discard_iteratorINS9_11use_defaultEEEdNS9_4plusIvEEdEEDaPvRmT3_T4_T5_mT6_P12ihipStream_tbENKUlT_T0_E_clISt17integral_constantIbLb0EESW_IbLb1EEEEDaSS_ST_EUlSS_E_NS1_11comp_targetILNS1_3genE3ELNS1_11target_archE908ELNS1_3gpuE7ELNS1_3repE0EEENS1_30default_config_static_selectorELNS0_4arch9wavefront6targetE1EEEvT1_,"axG",@progbits,_ZN7rocprim17ROCPRIM_400000_NS6detail17trampoline_kernelINS0_14default_configENS1_20scan_config_selectorIdEEZZNS1_9scan_implILNS1_25lookback_scan_determinismE0ELb0ELb0ES3_N6thrust23THRUST_200600_302600_NS6detail15normal_iteratorINS9_10device_ptrIdEEEENS9_16discard_iteratorINS9_11use_defaultEEEdNS9_4plusIvEEdEEDaPvRmT3_T4_T5_mT6_P12ihipStream_tbENKUlT_T0_E_clISt17integral_constantIbLb0EESW_IbLb1EEEEDaSS_ST_EUlSS_E_NS1_11comp_targetILNS1_3genE3ELNS1_11target_archE908ELNS1_3gpuE7ELNS1_3repE0EEENS1_30default_config_static_selectorELNS0_4arch9wavefront6targetE1EEEvT1_,comdat
	.protected	_ZN7rocprim17ROCPRIM_400000_NS6detail17trampoline_kernelINS0_14default_configENS1_20scan_config_selectorIdEEZZNS1_9scan_implILNS1_25lookback_scan_determinismE0ELb0ELb0ES3_N6thrust23THRUST_200600_302600_NS6detail15normal_iteratorINS9_10device_ptrIdEEEENS9_16discard_iteratorINS9_11use_defaultEEEdNS9_4plusIvEEdEEDaPvRmT3_T4_T5_mT6_P12ihipStream_tbENKUlT_T0_E_clISt17integral_constantIbLb0EESW_IbLb1EEEEDaSS_ST_EUlSS_E_NS1_11comp_targetILNS1_3genE3ELNS1_11target_archE908ELNS1_3gpuE7ELNS1_3repE0EEENS1_30default_config_static_selectorELNS0_4arch9wavefront6targetE1EEEvT1_ ; -- Begin function _ZN7rocprim17ROCPRIM_400000_NS6detail17trampoline_kernelINS0_14default_configENS1_20scan_config_selectorIdEEZZNS1_9scan_implILNS1_25lookback_scan_determinismE0ELb0ELb0ES3_N6thrust23THRUST_200600_302600_NS6detail15normal_iteratorINS9_10device_ptrIdEEEENS9_16discard_iteratorINS9_11use_defaultEEEdNS9_4plusIvEEdEEDaPvRmT3_T4_T5_mT6_P12ihipStream_tbENKUlT_T0_E_clISt17integral_constantIbLb0EESW_IbLb1EEEEDaSS_ST_EUlSS_E_NS1_11comp_targetILNS1_3genE3ELNS1_11target_archE908ELNS1_3gpuE7ELNS1_3repE0EEENS1_30default_config_static_selectorELNS0_4arch9wavefront6targetE1EEEvT1_
	.globl	_ZN7rocprim17ROCPRIM_400000_NS6detail17trampoline_kernelINS0_14default_configENS1_20scan_config_selectorIdEEZZNS1_9scan_implILNS1_25lookback_scan_determinismE0ELb0ELb0ES3_N6thrust23THRUST_200600_302600_NS6detail15normal_iteratorINS9_10device_ptrIdEEEENS9_16discard_iteratorINS9_11use_defaultEEEdNS9_4plusIvEEdEEDaPvRmT3_T4_T5_mT6_P12ihipStream_tbENKUlT_T0_E_clISt17integral_constantIbLb0EESW_IbLb1EEEEDaSS_ST_EUlSS_E_NS1_11comp_targetILNS1_3genE3ELNS1_11target_archE908ELNS1_3gpuE7ELNS1_3repE0EEENS1_30default_config_static_selectorELNS0_4arch9wavefront6targetE1EEEvT1_
	.p2align	8
	.type	_ZN7rocprim17ROCPRIM_400000_NS6detail17trampoline_kernelINS0_14default_configENS1_20scan_config_selectorIdEEZZNS1_9scan_implILNS1_25lookback_scan_determinismE0ELb0ELb0ES3_N6thrust23THRUST_200600_302600_NS6detail15normal_iteratorINS9_10device_ptrIdEEEENS9_16discard_iteratorINS9_11use_defaultEEEdNS9_4plusIvEEdEEDaPvRmT3_T4_T5_mT6_P12ihipStream_tbENKUlT_T0_E_clISt17integral_constantIbLb0EESW_IbLb1EEEEDaSS_ST_EUlSS_E_NS1_11comp_targetILNS1_3genE3ELNS1_11target_archE908ELNS1_3gpuE7ELNS1_3repE0EEENS1_30default_config_static_selectorELNS0_4arch9wavefront6targetE1EEEvT1_,@function
_ZN7rocprim17ROCPRIM_400000_NS6detail17trampoline_kernelINS0_14default_configENS1_20scan_config_selectorIdEEZZNS1_9scan_implILNS1_25lookback_scan_determinismE0ELb0ELb0ES3_N6thrust23THRUST_200600_302600_NS6detail15normal_iteratorINS9_10device_ptrIdEEEENS9_16discard_iteratorINS9_11use_defaultEEEdNS9_4plusIvEEdEEDaPvRmT3_T4_T5_mT6_P12ihipStream_tbENKUlT_T0_E_clISt17integral_constantIbLb0EESW_IbLb1EEEEDaSS_ST_EUlSS_E_NS1_11comp_targetILNS1_3genE3ELNS1_11target_archE908ELNS1_3gpuE7ELNS1_3repE0EEENS1_30default_config_static_selectorELNS0_4arch9wavefront6targetE1EEEvT1_: ; @_ZN7rocprim17ROCPRIM_400000_NS6detail17trampoline_kernelINS0_14default_configENS1_20scan_config_selectorIdEEZZNS1_9scan_implILNS1_25lookback_scan_determinismE0ELb0ELb0ES3_N6thrust23THRUST_200600_302600_NS6detail15normal_iteratorINS9_10device_ptrIdEEEENS9_16discard_iteratorINS9_11use_defaultEEEdNS9_4plusIvEEdEEDaPvRmT3_T4_T5_mT6_P12ihipStream_tbENKUlT_T0_E_clISt17integral_constantIbLb0EESW_IbLb1EEEEDaSS_ST_EUlSS_E_NS1_11comp_targetILNS1_3genE3ELNS1_11target_archE908ELNS1_3gpuE7ELNS1_3repE0EEENS1_30default_config_static_selectorELNS0_4arch9wavefront6targetE1EEEvT1_
; %bb.0:
	.section	.rodata,"a",@progbits
	.p2align	6, 0x0
	.amdhsa_kernel _ZN7rocprim17ROCPRIM_400000_NS6detail17trampoline_kernelINS0_14default_configENS1_20scan_config_selectorIdEEZZNS1_9scan_implILNS1_25lookback_scan_determinismE0ELb0ELb0ES3_N6thrust23THRUST_200600_302600_NS6detail15normal_iteratorINS9_10device_ptrIdEEEENS9_16discard_iteratorINS9_11use_defaultEEEdNS9_4plusIvEEdEEDaPvRmT3_T4_T5_mT6_P12ihipStream_tbENKUlT_T0_E_clISt17integral_constantIbLb0EESW_IbLb1EEEEDaSS_ST_EUlSS_E_NS1_11comp_targetILNS1_3genE3ELNS1_11target_archE908ELNS1_3gpuE7ELNS1_3repE0EEENS1_30default_config_static_selectorELNS0_4arch9wavefront6targetE1EEEvT1_
		.amdhsa_group_segment_fixed_size 0
		.amdhsa_private_segment_fixed_size 0
		.amdhsa_kernarg_size 112
		.amdhsa_user_sgpr_count 6
		.amdhsa_user_sgpr_private_segment_buffer 1
		.amdhsa_user_sgpr_dispatch_ptr 0
		.amdhsa_user_sgpr_queue_ptr 0
		.amdhsa_user_sgpr_kernarg_segment_ptr 1
		.amdhsa_user_sgpr_dispatch_id 0
		.amdhsa_user_sgpr_flat_scratch_init 0
		.amdhsa_user_sgpr_kernarg_preload_length 0
		.amdhsa_user_sgpr_kernarg_preload_offset 0
		.amdhsa_user_sgpr_private_segment_size 0
		.amdhsa_uses_dynamic_stack 0
		.amdhsa_system_sgpr_private_segment_wavefront_offset 0
		.amdhsa_system_sgpr_workgroup_id_x 1
		.amdhsa_system_sgpr_workgroup_id_y 0
		.amdhsa_system_sgpr_workgroup_id_z 0
		.amdhsa_system_sgpr_workgroup_info 0
		.amdhsa_system_vgpr_workitem_id 0
		.amdhsa_next_free_vgpr 1
		.amdhsa_next_free_sgpr 0
		.amdhsa_accum_offset 4
		.amdhsa_reserve_vcc 0
		.amdhsa_reserve_flat_scratch 0
		.amdhsa_float_round_mode_32 0
		.amdhsa_float_round_mode_16_64 0
		.amdhsa_float_denorm_mode_32 3
		.amdhsa_float_denorm_mode_16_64 3
		.amdhsa_dx10_clamp 1
		.amdhsa_ieee_mode 1
		.amdhsa_fp16_overflow 0
		.amdhsa_tg_split 0
		.amdhsa_exception_fp_ieee_invalid_op 0
		.amdhsa_exception_fp_denorm_src 0
		.amdhsa_exception_fp_ieee_div_zero 0
		.amdhsa_exception_fp_ieee_overflow 0
		.amdhsa_exception_fp_ieee_underflow 0
		.amdhsa_exception_fp_ieee_inexact 0
		.amdhsa_exception_int_div_zero 0
	.end_amdhsa_kernel
	.section	.text._ZN7rocprim17ROCPRIM_400000_NS6detail17trampoline_kernelINS0_14default_configENS1_20scan_config_selectorIdEEZZNS1_9scan_implILNS1_25lookback_scan_determinismE0ELb0ELb0ES3_N6thrust23THRUST_200600_302600_NS6detail15normal_iteratorINS9_10device_ptrIdEEEENS9_16discard_iteratorINS9_11use_defaultEEEdNS9_4plusIvEEdEEDaPvRmT3_T4_T5_mT6_P12ihipStream_tbENKUlT_T0_E_clISt17integral_constantIbLb0EESW_IbLb1EEEEDaSS_ST_EUlSS_E_NS1_11comp_targetILNS1_3genE3ELNS1_11target_archE908ELNS1_3gpuE7ELNS1_3repE0EEENS1_30default_config_static_selectorELNS0_4arch9wavefront6targetE1EEEvT1_,"axG",@progbits,_ZN7rocprim17ROCPRIM_400000_NS6detail17trampoline_kernelINS0_14default_configENS1_20scan_config_selectorIdEEZZNS1_9scan_implILNS1_25lookback_scan_determinismE0ELb0ELb0ES3_N6thrust23THRUST_200600_302600_NS6detail15normal_iteratorINS9_10device_ptrIdEEEENS9_16discard_iteratorINS9_11use_defaultEEEdNS9_4plusIvEEdEEDaPvRmT3_T4_T5_mT6_P12ihipStream_tbENKUlT_T0_E_clISt17integral_constantIbLb0EESW_IbLb1EEEEDaSS_ST_EUlSS_E_NS1_11comp_targetILNS1_3genE3ELNS1_11target_archE908ELNS1_3gpuE7ELNS1_3repE0EEENS1_30default_config_static_selectorELNS0_4arch9wavefront6targetE1EEEvT1_,comdat
.Lfunc_end4919:
	.size	_ZN7rocprim17ROCPRIM_400000_NS6detail17trampoline_kernelINS0_14default_configENS1_20scan_config_selectorIdEEZZNS1_9scan_implILNS1_25lookback_scan_determinismE0ELb0ELb0ES3_N6thrust23THRUST_200600_302600_NS6detail15normal_iteratorINS9_10device_ptrIdEEEENS9_16discard_iteratorINS9_11use_defaultEEEdNS9_4plusIvEEdEEDaPvRmT3_T4_T5_mT6_P12ihipStream_tbENKUlT_T0_E_clISt17integral_constantIbLb0EESW_IbLb1EEEEDaSS_ST_EUlSS_E_NS1_11comp_targetILNS1_3genE3ELNS1_11target_archE908ELNS1_3gpuE7ELNS1_3repE0EEENS1_30default_config_static_selectorELNS0_4arch9wavefront6targetE1EEEvT1_, .Lfunc_end4919-_ZN7rocprim17ROCPRIM_400000_NS6detail17trampoline_kernelINS0_14default_configENS1_20scan_config_selectorIdEEZZNS1_9scan_implILNS1_25lookback_scan_determinismE0ELb0ELb0ES3_N6thrust23THRUST_200600_302600_NS6detail15normal_iteratorINS9_10device_ptrIdEEEENS9_16discard_iteratorINS9_11use_defaultEEEdNS9_4plusIvEEdEEDaPvRmT3_T4_T5_mT6_P12ihipStream_tbENKUlT_T0_E_clISt17integral_constantIbLb0EESW_IbLb1EEEEDaSS_ST_EUlSS_E_NS1_11comp_targetILNS1_3genE3ELNS1_11target_archE908ELNS1_3gpuE7ELNS1_3repE0EEENS1_30default_config_static_selectorELNS0_4arch9wavefront6targetE1EEEvT1_
                                        ; -- End function
	.section	.AMDGPU.csdata,"",@progbits
; Kernel info:
; codeLenInByte = 0
; NumSgprs: 4
; NumVgprs: 0
; NumAgprs: 0
; TotalNumVgprs: 0
; ScratchSize: 0
; MemoryBound: 0
; FloatMode: 240
; IeeeMode: 1
; LDSByteSize: 0 bytes/workgroup (compile time only)
; SGPRBlocks: 0
; VGPRBlocks: 0
; NumSGPRsForWavesPerEU: 4
; NumVGPRsForWavesPerEU: 1
; AccumOffset: 4
; Occupancy: 8
; WaveLimiterHint : 0
; COMPUTE_PGM_RSRC2:SCRATCH_EN: 0
; COMPUTE_PGM_RSRC2:USER_SGPR: 6
; COMPUTE_PGM_RSRC2:TRAP_HANDLER: 0
; COMPUTE_PGM_RSRC2:TGID_X_EN: 1
; COMPUTE_PGM_RSRC2:TGID_Y_EN: 0
; COMPUTE_PGM_RSRC2:TGID_Z_EN: 0
; COMPUTE_PGM_RSRC2:TIDIG_COMP_CNT: 0
; COMPUTE_PGM_RSRC3_GFX90A:ACCUM_OFFSET: 0
; COMPUTE_PGM_RSRC3_GFX90A:TG_SPLIT: 0
	.section	.text._ZN7rocprim17ROCPRIM_400000_NS6detail17trampoline_kernelINS0_14default_configENS1_20scan_config_selectorIdEEZZNS1_9scan_implILNS1_25lookback_scan_determinismE0ELb0ELb0ES3_N6thrust23THRUST_200600_302600_NS6detail15normal_iteratorINS9_10device_ptrIdEEEENS9_16discard_iteratorINS9_11use_defaultEEEdNS9_4plusIvEEdEEDaPvRmT3_T4_T5_mT6_P12ihipStream_tbENKUlT_T0_E_clISt17integral_constantIbLb0EESW_IbLb1EEEEDaSS_ST_EUlSS_E_NS1_11comp_targetILNS1_3genE2ELNS1_11target_archE906ELNS1_3gpuE6ELNS1_3repE0EEENS1_30default_config_static_selectorELNS0_4arch9wavefront6targetE1EEEvT1_,"axG",@progbits,_ZN7rocprim17ROCPRIM_400000_NS6detail17trampoline_kernelINS0_14default_configENS1_20scan_config_selectorIdEEZZNS1_9scan_implILNS1_25lookback_scan_determinismE0ELb0ELb0ES3_N6thrust23THRUST_200600_302600_NS6detail15normal_iteratorINS9_10device_ptrIdEEEENS9_16discard_iteratorINS9_11use_defaultEEEdNS9_4plusIvEEdEEDaPvRmT3_T4_T5_mT6_P12ihipStream_tbENKUlT_T0_E_clISt17integral_constantIbLb0EESW_IbLb1EEEEDaSS_ST_EUlSS_E_NS1_11comp_targetILNS1_3genE2ELNS1_11target_archE906ELNS1_3gpuE6ELNS1_3repE0EEENS1_30default_config_static_selectorELNS0_4arch9wavefront6targetE1EEEvT1_,comdat
	.protected	_ZN7rocprim17ROCPRIM_400000_NS6detail17trampoline_kernelINS0_14default_configENS1_20scan_config_selectorIdEEZZNS1_9scan_implILNS1_25lookback_scan_determinismE0ELb0ELb0ES3_N6thrust23THRUST_200600_302600_NS6detail15normal_iteratorINS9_10device_ptrIdEEEENS9_16discard_iteratorINS9_11use_defaultEEEdNS9_4plusIvEEdEEDaPvRmT3_T4_T5_mT6_P12ihipStream_tbENKUlT_T0_E_clISt17integral_constantIbLb0EESW_IbLb1EEEEDaSS_ST_EUlSS_E_NS1_11comp_targetILNS1_3genE2ELNS1_11target_archE906ELNS1_3gpuE6ELNS1_3repE0EEENS1_30default_config_static_selectorELNS0_4arch9wavefront6targetE1EEEvT1_ ; -- Begin function _ZN7rocprim17ROCPRIM_400000_NS6detail17trampoline_kernelINS0_14default_configENS1_20scan_config_selectorIdEEZZNS1_9scan_implILNS1_25lookback_scan_determinismE0ELb0ELb0ES3_N6thrust23THRUST_200600_302600_NS6detail15normal_iteratorINS9_10device_ptrIdEEEENS9_16discard_iteratorINS9_11use_defaultEEEdNS9_4plusIvEEdEEDaPvRmT3_T4_T5_mT6_P12ihipStream_tbENKUlT_T0_E_clISt17integral_constantIbLb0EESW_IbLb1EEEEDaSS_ST_EUlSS_E_NS1_11comp_targetILNS1_3genE2ELNS1_11target_archE906ELNS1_3gpuE6ELNS1_3repE0EEENS1_30default_config_static_selectorELNS0_4arch9wavefront6targetE1EEEvT1_
	.globl	_ZN7rocprim17ROCPRIM_400000_NS6detail17trampoline_kernelINS0_14default_configENS1_20scan_config_selectorIdEEZZNS1_9scan_implILNS1_25lookback_scan_determinismE0ELb0ELb0ES3_N6thrust23THRUST_200600_302600_NS6detail15normal_iteratorINS9_10device_ptrIdEEEENS9_16discard_iteratorINS9_11use_defaultEEEdNS9_4plusIvEEdEEDaPvRmT3_T4_T5_mT6_P12ihipStream_tbENKUlT_T0_E_clISt17integral_constantIbLb0EESW_IbLb1EEEEDaSS_ST_EUlSS_E_NS1_11comp_targetILNS1_3genE2ELNS1_11target_archE906ELNS1_3gpuE6ELNS1_3repE0EEENS1_30default_config_static_selectorELNS0_4arch9wavefront6targetE1EEEvT1_
	.p2align	8
	.type	_ZN7rocprim17ROCPRIM_400000_NS6detail17trampoline_kernelINS0_14default_configENS1_20scan_config_selectorIdEEZZNS1_9scan_implILNS1_25lookback_scan_determinismE0ELb0ELb0ES3_N6thrust23THRUST_200600_302600_NS6detail15normal_iteratorINS9_10device_ptrIdEEEENS9_16discard_iteratorINS9_11use_defaultEEEdNS9_4plusIvEEdEEDaPvRmT3_T4_T5_mT6_P12ihipStream_tbENKUlT_T0_E_clISt17integral_constantIbLb0EESW_IbLb1EEEEDaSS_ST_EUlSS_E_NS1_11comp_targetILNS1_3genE2ELNS1_11target_archE906ELNS1_3gpuE6ELNS1_3repE0EEENS1_30default_config_static_selectorELNS0_4arch9wavefront6targetE1EEEvT1_,@function
_ZN7rocprim17ROCPRIM_400000_NS6detail17trampoline_kernelINS0_14default_configENS1_20scan_config_selectorIdEEZZNS1_9scan_implILNS1_25lookback_scan_determinismE0ELb0ELb0ES3_N6thrust23THRUST_200600_302600_NS6detail15normal_iteratorINS9_10device_ptrIdEEEENS9_16discard_iteratorINS9_11use_defaultEEEdNS9_4plusIvEEdEEDaPvRmT3_T4_T5_mT6_P12ihipStream_tbENKUlT_T0_E_clISt17integral_constantIbLb0EESW_IbLb1EEEEDaSS_ST_EUlSS_E_NS1_11comp_targetILNS1_3genE2ELNS1_11target_archE906ELNS1_3gpuE6ELNS1_3repE0EEENS1_30default_config_static_selectorELNS0_4arch9wavefront6targetE1EEEvT1_: ; @_ZN7rocprim17ROCPRIM_400000_NS6detail17trampoline_kernelINS0_14default_configENS1_20scan_config_selectorIdEEZZNS1_9scan_implILNS1_25lookback_scan_determinismE0ELb0ELb0ES3_N6thrust23THRUST_200600_302600_NS6detail15normal_iteratorINS9_10device_ptrIdEEEENS9_16discard_iteratorINS9_11use_defaultEEEdNS9_4plusIvEEdEEDaPvRmT3_T4_T5_mT6_P12ihipStream_tbENKUlT_T0_E_clISt17integral_constantIbLb0EESW_IbLb1EEEEDaSS_ST_EUlSS_E_NS1_11comp_targetILNS1_3genE2ELNS1_11target_archE906ELNS1_3gpuE6ELNS1_3repE0EEENS1_30default_config_static_selectorELNS0_4arch9wavefront6targetE1EEEvT1_
; %bb.0:
	.section	.rodata,"a",@progbits
	.p2align	6, 0x0
	.amdhsa_kernel _ZN7rocprim17ROCPRIM_400000_NS6detail17trampoline_kernelINS0_14default_configENS1_20scan_config_selectorIdEEZZNS1_9scan_implILNS1_25lookback_scan_determinismE0ELb0ELb0ES3_N6thrust23THRUST_200600_302600_NS6detail15normal_iteratorINS9_10device_ptrIdEEEENS9_16discard_iteratorINS9_11use_defaultEEEdNS9_4plusIvEEdEEDaPvRmT3_T4_T5_mT6_P12ihipStream_tbENKUlT_T0_E_clISt17integral_constantIbLb0EESW_IbLb1EEEEDaSS_ST_EUlSS_E_NS1_11comp_targetILNS1_3genE2ELNS1_11target_archE906ELNS1_3gpuE6ELNS1_3repE0EEENS1_30default_config_static_selectorELNS0_4arch9wavefront6targetE1EEEvT1_
		.amdhsa_group_segment_fixed_size 0
		.amdhsa_private_segment_fixed_size 0
		.amdhsa_kernarg_size 112
		.amdhsa_user_sgpr_count 6
		.amdhsa_user_sgpr_private_segment_buffer 1
		.amdhsa_user_sgpr_dispatch_ptr 0
		.amdhsa_user_sgpr_queue_ptr 0
		.amdhsa_user_sgpr_kernarg_segment_ptr 1
		.amdhsa_user_sgpr_dispatch_id 0
		.amdhsa_user_sgpr_flat_scratch_init 0
		.amdhsa_user_sgpr_kernarg_preload_length 0
		.amdhsa_user_sgpr_kernarg_preload_offset 0
		.amdhsa_user_sgpr_private_segment_size 0
		.amdhsa_uses_dynamic_stack 0
		.amdhsa_system_sgpr_private_segment_wavefront_offset 0
		.amdhsa_system_sgpr_workgroup_id_x 1
		.amdhsa_system_sgpr_workgroup_id_y 0
		.amdhsa_system_sgpr_workgroup_id_z 0
		.amdhsa_system_sgpr_workgroup_info 0
		.amdhsa_system_vgpr_workitem_id 0
		.amdhsa_next_free_vgpr 1
		.amdhsa_next_free_sgpr 0
		.amdhsa_accum_offset 4
		.amdhsa_reserve_vcc 0
		.amdhsa_reserve_flat_scratch 0
		.amdhsa_float_round_mode_32 0
		.amdhsa_float_round_mode_16_64 0
		.amdhsa_float_denorm_mode_32 3
		.amdhsa_float_denorm_mode_16_64 3
		.amdhsa_dx10_clamp 1
		.amdhsa_ieee_mode 1
		.amdhsa_fp16_overflow 0
		.amdhsa_tg_split 0
		.amdhsa_exception_fp_ieee_invalid_op 0
		.amdhsa_exception_fp_denorm_src 0
		.amdhsa_exception_fp_ieee_div_zero 0
		.amdhsa_exception_fp_ieee_overflow 0
		.amdhsa_exception_fp_ieee_underflow 0
		.amdhsa_exception_fp_ieee_inexact 0
		.amdhsa_exception_int_div_zero 0
	.end_amdhsa_kernel
	.section	.text._ZN7rocprim17ROCPRIM_400000_NS6detail17trampoline_kernelINS0_14default_configENS1_20scan_config_selectorIdEEZZNS1_9scan_implILNS1_25lookback_scan_determinismE0ELb0ELb0ES3_N6thrust23THRUST_200600_302600_NS6detail15normal_iteratorINS9_10device_ptrIdEEEENS9_16discard_iteratorINS9_11use_defaultEEEdNS9_4plusIvEEdEEDaPvRmT3_T4_T5_mT6_P12ihipStream_tbENKUlT_T0_E_clISt17integral_constantIbLb0EESW_IbLb1EEEEDaSS_ST_EUlSS_E_NS1_11comp_targetILNS1_3genE2ELNS1_11target_archE906ELNS1_3gpuE6ELNS1_3repE0EEENS1_30default_config_static_selectorELNS0_4arch9wavefront6targetE1EEEvT1_,"axG",@progbits,_ZN7rocprim17ROCPRIM_400000_NS6detail17trampoline_kernelINS0_14default_configENS1_20scan_config_selectorIdEEZZNS1_9scan_implILNS1_25lookback_scan_determinismE0ELb0ELb0ES3_N6thrust23THRUST_200600_302600_NS6detail15normal_iteratorINS9_10device_ptrIdEEEENS9_16discard_iteratorINS9_11use_defaultEEEdNS9_4plusIvEEdEEDaPvRmT3_T4_T5_mT6_P12ihipStream_tbENKUlT_T0_E_clISt17integral_constantIbLb0EESW_IbLb1EEEEDaSS_ST_EUlSS_E_NS1_11comp_targetILNS1_3genE2ELNS1_11target_archE906ELNS1_3gpuE6ELNS1_3repE0EEENS1_30default_config_static_selectorELNS0_4arch9wavefront6targetE1EEEvT1_,comdat
.Lfunc_end4920:
	.size	_ZN7rocprim17ROCPRIM_400000_NS6detail17trampoline_kernelINS0_14default_configENS1_20scan_config_selectorIdEEZZNS1_9scan_implILNS1_25lookback_scan_determinismE0ELb0ELb0ES3_N6thrust23THRUST_200600_302600_NS6detail15normal_iteratorINS9_10device_ptrIdEEEENS9_16discard_iteratorINS9_11use_defaultEEEdNS9_4plusIvEEdEEDaPvRmT3_T4_T5_mT6_P12ihipStream_tbENKUlT_T0_E_clISt17integral_constantIbLb0EESW_IbLb1EEEEDaSS_ST_EUlSS_E_NS1_11comp_targetILNS1_3genE2ELNS1_11target_archE906ELNS1_3gpuE6ELNS1_3repE0EEENS1_30default_config_static_selectorELNS0_4arch9wavefront6targetE1EEEvT1_, .Lfunc_end4920-_ZN7rocprim17ROCPRIM_400000_NS6detail17trampoline_kernelINS0_14default_configENS1_20scan_config_selectorIdEEZZNS1_9scan_implILNS1_25lookback_scan_determinismE0ELb0ELb0ES3_N6thrust23THRUST_200600_302600_NS6detail15normal_iteratorINS9_10device_ptrIdEEEENS9_16discard_iteratorINS9_11use_defaultEEEdNS9_4plusIvEEdEEDaPvRmT3_T4_T5_mT6_P12ihipStream_tbENKUlT_T0_E_clISt17integral_constantIbLb0EESW_IbLb1EEEEDaSS_ST_EUlSS_E_NS1_11comp_targetILNS1_3genE2ELNS1_11target_archE906ELNS1_3gpuE6ELNS1_3repE0EEENS1_30default_config_static_selectorELNS0_4arch9wavefront6targetE1EEEvT1_
                                        ; -- End function
	.section	.AMDGPU.csdata,"",@progbits
; Kernel info:
; codeLenInByte = 0
; NumSgprs: 4
; NumVgprs: 0
; NumAgprs: 0
; TotalNumVgprs: 0
; ScratchSize: 0
; MemoryBound: 0
; FloatMode: 240
; IeeeMode: 1
; LDSByteSize: 0 bytes/workgroup (compile time only)
; SGPRBlocks: 0
; VGPRBlocks: 0
; NumSGPRsForWavesPerEU: 4
; NumVGPRsForWavesPerEU: 1
; AccumOffset: 4
; Occupancy: 8
; WaveLimiterHint : 0
; COMPUTE_PGM_RSRC2:SCRATCH_EN: 0
; COMPUTE_PGM_RSRC2:USER_SGPR: 6
; COMPUTE_PGM_RSRC2:TRAP_HANDLER: 0
; COMPUTE_PGM_RSRC2:TGID_X_EN: 1
; COMPUTE_PGM_RSRC2:TGID_Y_EN: 0
; COMPUTE_PGM_RSRC2:TGID_Z_EN: 0
; COMPUTE_PGM_RSRC2:TIDIG_COMP_CNT: 0
; COMPUTE_PGM_RSRC3_GFX90A:ACCUM_OFFSET: 0
; COMPUTE_PGM_RSRC3_GFX90A:TG_SPLIT: 0
	.section	.text._ZN7rocprim17ROCPRIM_400000_NS6detail17trampoline_kernelINS0_14default_configENS1_20scan_config_selectorIdEEZZNS1_9scan_implILNS1_25lookback_scan_determinismE0ELb0ELb0ES3_N6thrust23THRUST_200600_302600_NS6detail15normal_iteratorINS9_10device_ptrIdEEEENS9_16discard_iteratorINS9_11use_defaultEEEdNS9_4plusIvEEdEEDaPvRmT3_T4_T5_mT6_P12ihipStream_tbENKUlT_T0_E_clISt17integral_constantIbLb0EESW_IbLb1EEEEDaSS_ST_EUlSS_E_NS1_11comp_targetILNS1_3genE10ELNS1_11target_archE1201ELNS1_3gpuE5ELNS1_3repE0EEENS1_30default_config_static_selectorELNS0_4arch9wavefront6targetE1EEEvT1_,"axG",@progbits,_ZN7rocprim17ROCPRIM_400000_NS6detail17trampoline_kernelINS0_14default_configENS1_20scan_config_selectorIdEEZZNS1_9scan_implILNS1_25lookback_scan_determinismE0ELb0ELb0ES3_N6thrust23THRUST_200600_302600_NS6detail15normal_iteratorINS9_10device_ptrIdEEEENS9_16discard_iteratorINS9_11use_defaultEEEdNS9_4plusIvEEdEEDaPvRmT3_T4_T5_mT6_P12ihipStream_tbENKUlT_T0_E_clISt17integral_constantIbLb0EESW_IbLb1EEEEDaSS_ST_EUlSS_E_NS1_11comp_targetILNS1_3genE10ELNS1_11target_archE1201ELNS1_3gpuE5ELNS1_3repE0EEENS1_30default_config_static_selectorELNS0_4arch9wavefront6targetE1EEEvT1_,comdat
	.protected	_ZN7rocprim17ROCPRIM_400000_NS6detail17trampoline_kernelINS0_14default_configENS1_20scan_config_selectorIdEEZZNS1_9scan_implILNS1_25lookback_scan_determinismE0ELb0ELb0ES3_N6thrust23THRUST_200600_302600_NS6detail15normal_iteratorINS9_10device_ptrIdEEEENS9_16discard_iteratorINS9_11use_defaultEEEdNS9_4plusIvEEdEEDaPvRmT3_T4_T5_mT6_P12ihipStream_tbENKUlT_T0_E_clISt17integral_constantIbLb0EESW_IbLb1EEEEDaSS_ST_EUlSS_E_NS1_11comp_targetILNS1_3genE10ELNS1_11target_archE1201ELNS1_3gpuE5ELNS1_3repE0EEENS1_30default_config_static_selectorELNS0_4arch9wavefront6targetE1EEEvT1_ ; -- Begin function _ZN7rocprim17ROCPRIM_400000_NS6detail17trampoline_kernelINS0_14default_configENS1_20scan_config_selectorIdEEZZNS1_9scan_implILNS1_25lookback_scan_determinismE0ELb0ELb0ES3_N6thrust23THRUST_200600_302600_NS6detail15normal_iteratorINS9_10device_ptrIdEEEENS9_16discard_iteratorINS9_11use_defaultEEEdNS9_4plusIvEEdEEDaPvRmT3_T4_T5_mT6_P12ihipStream_tbENKUlT_T0_E_clISt17integral_constantIbLb0EESW_IbLb1EEEEDaSS_ST_EUlSS_E_NS1_11comp_targetILNS1_3genE10ELNS1_11target_archE1201ELNS1_3gpuE5ELNS1_3repE0EEENS1_30default_config_static_selectorELNS0_4arch9wavefront6targetE1EEEvT1_
	.globl	_ZN7rocprim17ROCPRIM_400000_NS6detail17trampoline_kernelINS0_14default_configENS1_20scan_config_selectorIdEEZZNS1_9scan_implILNS1_25lookback_scan_determinismE0ELb0ELb0ES3_N6thrust23THRUST_200600_302600_NS6detail15normal_iteratorINS9_10device_ptrIdEEEENS9_16discard_iteratorINS9_11use_defaultEEEdNS9_4plusIvEEdEEDaPvRmT3_T4_T5_mT6_P12ihipStream_tbENKUlT_T0_E_clISt17integral_constantIbLb0EESW_IbLb1EEEEDaSS_ST_EUlSS_E_NS1_11comp_targetILNS1_3genE10ELNS1_11target_archE1201ELNS1_3gpuE5ELNS1_3repE0EEENS1_30default_config_static_selectorELNS0_4arch9wavefront6targetE1EEEvT1_
	.p2align	8
	.type	_ZN7rocprim17ROCPRIM_400000_NS6detail17trampoline_kernelINS0_14default_configENS1_20scan_config_selectorIdEEZZNS1_9scan_implILNS1_25lookback_scan_determinismE0ELb0ELb0ES3_N6thrust23THRUST_200600_302600_NS6detail15normal_iteratorINS9_10device_ptrIdEEEENS9_16discard_iteratorINS9_11use_defaultEEEdNS9_4plusIvEEdEEDaPvRmT3_T4_T5_mT6_P12ihipStream_tbENKUlT_T0_E_clISt17integral_constantIbLb0EESW_IbLb1EEEEDaSS_ST_EUlSS_E_NS1_11comp_targetILNS1_3genE10ELNS1_11target_archE1201ELNS1_3gpuE5ELNS1_3repE0EEENS1_30default_config_static_selectorELNS0_4arch9wavefront6targetE1EEEvT1_,@function
_ZN7rocprim17ROCPRIM_400000_NS6detail17trampoline_kernelINS0_14default_configENS1_20scan_config_selectorIdEEZZNS1_9scan_implILNS1_25lookback_scan_determinismE0ELb0ELb0ES3_N6thrust23THRUST_200600_302600_NS6detail15normal_iteratorINS9_10device_ptrIdEEEENS9_16discard_iteratorINS9_11use_defaultEEEdNS9_4plusIvEEdEEDaPvRmT3_T4_T5_mT6_P12ihipStream_tbENKUlT_T0_E_clISt17integral_constantIbLb0EESW_IbLb1EEEEDaSS_ST_EUlSS_E_NS1_11comp_targetILNS1_3genE10ELNS1_11target_archE1201ELNS1_3gpuE5ELNS1_3repE0EEENS1_30default_config_static_selectorELNS0_4arch9wavefront6targetE1EEEvT1_: ; @_ZN7rocprim17ROCPRIM_400000_NS6detail17trampoline_kernelINS0_14default_configENS1_20scan_config_selectorIdEEZZNS1_9scan_implILNS1_25lookback_scan_determinismE0ELb0ELb0ES3_N6thrust23THRUST_200600_302600_NS6detail15normal_iteratorINS9_10device_ptrIdEEEENS9_16discard_iteratorINS9_11use_defaultEEEdNS9_4plusIvEEdEEDaPvRmT3_T4_T5_mT6_P12ihipStream_tbENKUlT_T0_E_clISt17integral_constantIbLb0EESW_IbLb1EEEEDaSS_ST_EUlSS_E_NS1_11comp_targetILNS1_3genE10ELNS1_11target_archE1201ELNS1_3gpuE5ELNS1_3repE0EEENS1_30default_config_static_selectorELNS0_4arch9wavefront6targetE1EEEvT1_
; %bb.0:
	.section	.rodata,"a",@progbits
	.p2align	6, 0x0
	.amdhsa_kernel _ZN7rocprim17ROCPRIM_400000_NS6detail17trampoline_kernelINS0_14default_configENS1_20scan_config_selectorIdEEZZNS1_9scan_implILNS1_25lookback_scan_determinismE0ELb0ELb0ES3_N6thrust23THRUST_200600_302600_NS6detail15normal_iteratorINS9_10device_ptrIdEEEENS9_16discard_iteratorINS9_11use_defaultEEEdNS9_4plusIvEEdEEDaPvRmT3_T4_T5_mT6_P12ihipStream_tbENKUlT_T0_E_clISt17integral_constantIbLb0EESW_IbLb1EEEEDaSS_ST_EUlSS_E_NS1_11comp_targetILNS1_3genE10ELNS1_11target_archE1201ELNS1_3gpuE5ELNS1_3repE0EEENS1_30default_config_static_selectorELNS0_4arch9wavefront6targetE1EEEvT1_
		.amdhsa_group_segment_fixed_size 0
		.amdhsa_private_segment_fixed_size 0
		.amdhsa_kernarg_size 112
		.amdhsa_user_sgpr_count 6
		.amdhsa_user_sgpr_private_segment_buffer 1
		.amdhsa_user_sgpr_dispatch_ptr 0
		.amdhsa_user_sgpr_queue_ptr 0
		.amdhsa_user_sgpr_kernarg_segment_ptr 1
		.amdhsa_user_sgpr_dispatch_id 0
		.amdhsa_user_sgpr_flat_scratch_init 0
		.amdhsa_user_sgpr_kernarg_preload_length 0
		.amdhsa_user_sgpr_kernarg_preload_offset 0
		.amdhsa_user_sgpr_private_segment_size 0
		.amdhsa_uses_dynamic_stack 0
		.amdhsa_system_sgpr_private_segment_wavefront_offset 0
		.amdhsa_system_sgpr_workgroup_id_x 1
		.amdhsa_system_sgpr_workgroup_id_y 0
		.amdhsa_system_sgpr_workgroup_id_z 0
		.amdhsa_system_sgpr_workgroup_info 0
		.amdhsa_system_vgpr_workitem_id 0
		.amdhsa_next_free_vgpr 1
		.amdhsa_next_free_sgpr 0
		.amdhsa_accum_offset 4
		.amdhsa_reserve_vcc 0
		.amdhsa_reserve_flat_scratch 0
		.amdhsa_float_round_mode_32 0
		.amdhsa_float_round_mode_16_64 0
		.amdhsa_float_denorm_mode_32 3
		.amdhsa_float_denorm_mode_16_64 3
		.amdhsa_dx10_clamp 1
		.amdhsa_ieee_mode 1
		.amdhsa_fp16_overflow 0
		.amdhsa_tg_split 0
		.amdhsa_exception_fp_ieee_invalid_op 0
		.amdhsa_exception_fp_denorm_src 0
		.amdhsa_exception_fp_ieee_div_zero 0
		.amdhsa_exception_fp_ieee_overflow 0
		.amdhsa_exception_fp_ieee_underflow 0
		.amdhsa_exception_fp_ieee_inexact 0
		.amdhsa_exception_int_div_zero 0
	.end_amdhsa_kernel
	.section	.text._ZN7rocprim17ROCPRIM_400000_NS6detail17trampoline_kernelINS0_14default_configENS1_20scan_config_selectorIdEEZZNS1_9scan_implILNS1_25lookback_scan_determinismE0ELb0ELb0ES3_N6thrust23THRUST_200600_302600_NS6detail15normal_iteratorINS9_10device_ptrIdEEEENS9_16discard_iteratorINS9_11use_defaultEEEdNS9_4plusIvEEdEEDaPvRmT3_T4_T5_mT6_P12ihipStream_tbENKUlT_T0_E_clISt17integral_constantIbLb0EESW_IbLb1EEEEDaSS_ST_EUlSS_E_NS1_11comp_targetILNS1_3genE10ELNS1_11target_archE1201ELNS1_3gpuE5ELNS1_3repE0EEENS1_30default_config_static_selectorELNS0_4arch9wavefront6targetE1EEEvT1_,"axG",@progbits,_ZN7rocprim17ROCPRIM_400000_NS6detail17trampoline_kernelINS0_14default_configENS1_20scan_config_selectorIdEEZZNS1_9scan_implILNS1_25lookback_scan_determinismE0ELb0ELb0ES3_N6thrust23THRUST_200600_302600_NS6detail15normal_iteratorINS9_10device_ptrIdEEEENS9_16discard_iteratorINS9_11use_defaultEEEdNS9_4plusIvEEdEEDaPvRmT3_T4_T5_mT6_P12ihipStream_tbENKUlT_T0_E_clISt17integral_constantIbLb0EESW_IbLb1EEEEDaSS_ST_EUlSS_E_NS1_11comp_targetILNS1_3genE10ELNS1_11target_archE1201ELNS1_3gpuE5ELNS1_3repE0EEENS1_30default_config_static_selectorELNS0_4arch9wavefront6targetE1EEEvT1_,comdat
.Lfunc_end4921:
	.size	_ZN7rocprim17ROCPRIM_400000_NS6detail17trampoline_kernelINS0_14default_configENS1_20scan_config_selectorIdEEZZNS1_9scan_implILNS1_25lookback_scan_determinismE0ELb0ELb0ES3_N6thrust23THRUST_200600_302600_NS6detail15normal_iteratorINS9_10device_ptrIdEEEENS9_16discard_iteratorINS9_11use_defaultEEEdNS9_4plusIvEEdEEDaPvRmT3_T4_T5_mT6_P12ihipStream_tbENKUlT_T0_E_clISt17integral_constantIbLb0EESW_IbLb1EEEEDaSS_ST_EUlSS_E_NS1_11comp_targetILNS1_3genE10ELNS1_11target_archE1201ELNS1_3gpuE5ELNS1_3repE0EEENS1_30default_config_static_selectorELNS0_4arch9wavefront6targetE1EEEvT1_, .Lfunc_end4921-_ZN7rocprim17ROCPRIM_400000_NS6detail17trampoline_kernelINS0_14default_configENS1_20scan_config_selectorIdEEZZNS1_9scan_implILNS1_25lookback_scan_determinismE0ELb0ELb0ES3_N6thrust23THRUST_200600_302600_NS6detail15normal_iteratorINS9_10device_ptrIdEEEENS9_16discard_iteratorINS9_11use_defaultEEEdNS9_4plusIvEEdEEDaPvRmT3_T4_T5_mT6_P12ihipStream_tbENKUlT_T0_E_clISt17integral_constantIbLb0EESW_IbLb1EEEEDaSS_ST_EUlSS_E_NS1_11comp_targetILNS1_3genE10ELNS1_11target_archE1201ELNS1_3gpuE5ELNS1_3repE0EEENS1_30default_config_static_selectorELNS0_4arch9wavefront6targetE1EEEvT1_
                                        ; -- End function
	.section	.AMDGPU.csdata,"",@progbits
; Kernel info:
; codeLenInByte = 0
; NumSgprs: 4
; NumVgprs: 0
; NumAgprs: 0
; TotalNumVgprs: 0
; ScratchSize: 0
; MemoryBound: 0
; FloatMode: 240
; IeeeMode: 1
; LDSByteSize: 0 bytes/workgroup (compile time only)
; SGPRBlocks: 0
; VGPRBlocks: 0
; NumSGPRsForWavesPerEU: 4
; NumVGPRsForWavesPerEU: 1
; AccumOffset: 4
; Occupancy: 8
; WaveLimiterHint : 0
; COMPUTE_PGM_RSRC2:SCRATCH_EN: 0
; COMPUTE_PGM_RSRC2:USER_SGPR: 6
; COMPUTE_PGM_RSRC2:TRAP_HANDLER: 0
; COMPUTE_PGM_RSRC2:TGID_X_EN: 1
; COMPUTE_PGM_RSRC2:TGID_Y_EN: 0
; COMPUTE_PGM_RSRC2:TGID_Z_EN: 0
; COMPUTE_PGM_RSRC2:TIDIG_COMP_CNT: 0
; COMPUTE_PGM_RSRC3_GFX90A:ACCUM_OFFSET: 0
; COMPUTE_PGM_RSRC3_GFX90A:TG_SPLIT: 0
	.section	.text._ZN7rocprim17ROCPRIM_400000_NS6detail17trampoline_kernelINS0_14default_configENS1_20scan_config_selectorIdEEZZNS1_9scan_implILNS1_25lookback_scan_determinismE0ELb0ELb0ES3_N6thrust23THRUST_200600_302600_NS6detail15normal_iteratorINS9_10device_ptrIdEEEENS9_16discard_iteratorINS9_11use_defaultEEEdNS9_4plusIvEEdEEDaPvRmT3_T4_T5_mT6_P12ihipStream_tbENKUlT_T0_E_clISt17integral_constantIbLb0EESW_IbLb1EEEEDaSS_ST_EUlSS_E_NS1_11comp_targetILNS1_3genE10ELNS1_11target_archE1200ELNS1_3gpuE4ELNS1_3repE0EEENS1_30default_config_static_selectorELNS0_4arch9wavefront6targetE1EEEvT1_,"axG",@progbits,_ZN7rocprim17ROCPRIM_400000_NS6detail17trampoline_kernelINS0_14default_configENS1_20scan_config_selectorIdEEZZNS1_9scan_implILNS1_25lookback_scan_determinismE0ELb0ELb0ES3_N6thrust23THRUST_200600_302600_NS6detail15normal_iteratorINS9_10device_ptrIdEEEENS9_16discard_iteratorINS9_11use_defaultEEEdNS9_4plusIvEEdEEDaPvRmT3_T4_T5_mT6_P12ihipStream_tbENKUlT_T0_E_clISt17integral_constantIbLb0EESW_IbLb1EEEEDaSS_ST_EUlSS_E_NS1_11comp_targetILNS1_3genE10ELNS1_11target_archE1200ELNS1_3gpuE4ELNS1_3repE0EEENS1_30default_config_static_selectorELNS0_4arch9wavefront6targetE1EEEvT1_,comdat
	.protected	_ZN7rocprim17ROCPRIM_400000_NS6detail17trampoline_kernelINS0_14default_configENS1_20scan_config_selectorIdEEZZNS1_9scan_implILNS1_25lookback_scan_determinismE0ELb0ELb0ES3_N6thrust23THRUST_200600_302600_NS6detail15normal_iteratorINS9_10device_ptrIdEEEENS9_16discard_iteratorINS9_11use_defaultEEEdNS9_4plusIvEEdEEDaPvRmT3_T4_T5_mT6_P12ihipStream_tbENKUlT_T0_E_clISt17integral_constantIbLb0EESW_IbLb1EEEEDaSS_ST_EUlSS_E_NS1_11comp_targetILNS1_3genE10ELNS1_11target_archE1200ELNS1_3gpuE4ELNS1_3repE0EEENS1_30default_config_static_selectorELNS0_4arch9wavefront6targetE1EEEvT1_ ; -- Begin function _ZN7rocprim17ROCPRIM_400000_NS6detail17trampoline_kernelINS0_14default_configENS1_20scan_config_selectorIdEEZZNS1_9scan_implILNS1_25lookback_scan_determinismE0ELb0ELb0ES3_N6thrust23THRUST_200600_302600_NS6detail15normal_iteratorINS9_10device_ptrIdEEEENS9_16discard_iteratorINS9_11use_defaultEEEdNS9_4plusIvEEdEEDaPvRmT3_T4_T5_mT6_P12ihipStream_tbENKUlT_T0_E_clISt17integral_constantIbLb0EESW_IbLb1EEEEDaSS_ST_EUlSS_E_NS1_11comp_targetILNS1_3genE10ELNS1_11target_archE1200ELNS1_3gpuE4ELNS1_3repE0EEENS1_30default_config_static_selectorELNS0_4arch9wavefront6targetE1EEEvT1_
	.globl	_ZN7rocprim17ROCPRIM_400000_NS6detail17trampoline_kernelINS0_14default_configENS1_20scan_config_selectorIdEEZZNS1_9scan_implILNS1_25lookback_scan_determinismE0ELb0ELb0ES3_N6thrust23THRUST_200600_302600_NS6detail15normal_iteratorINS9_10device_ptrIdEEEENS9_16discard_iteratorINS9_11use_defaultEEEdNS9_4plusIvEEdEEDaPvRmT3_T4_T5_mT6_P12ihipStream_tbENKUlT_T0_E_clISt17integral_constantIbLb0EESW_IbLb1EEEEDaSS_ST_EUlSS_E_NS1_11comp_targetILNS1_3genE10ELNS1_11target_archE1200ELNS1_3gpuE4ELNS1_3repE0EEENS1_30default_config_static_selectorELNS0_4arch9wavefront6targetE1EEEvT1_
	.p2align	8
	.type	_ZN7rocprim17ROCPRIM_400000_NS6detail17trampoline_kernelINS0_14default_configENS1_20scan_config_selectorIdEEZZNS1_9scan_implILNS1_25lookback_scan_determinismE0ELb0ELb0ES3_N6thrust23THRUST_200600_302600_NS6detail15normal_iteratorINS9_10device_ptrIdEEEENS9_16discard_iteratorINS9_11use_defaultEEEdNS9_4plusIvEEdEEDaPvRmT3_T4_T5_mT6_P12ihipStream_tbENKUlT_T0_E_clISt17integral_constantIbLb0EESW_IbLb1EEEEDaSS_ST_EUlSS_E_NS1_11comp_targetILNS1_3genE10ELNS1_11target_archE1200ELNS1_3gpuE4ELNS1_3repE0EEENS1_30default_config_static_selectorELNS0_4arch9wavefront6targetE1EEEvT1_,@function
_ZN7rocprim17ROCPRIM_400000_NS6detail17trampoline_kernelINS0_14default_configENS1_20scan_config_selectorIdEEZZNS1_9scan_implILNS1_25lookback_scan_determinismE0ELb0ELb0ES3_N6thrust23THRUST_200600_302600_NS6detail15normal_iteratorINS9_10device_ptrIdEEEENS9_16discard_iteratorINS9_11use_defaultEEEdNS9_4plusIvEEdEEDaPvRmT3_T4_T5_mT6_P12ihipStream_tbENKUlT_T0_E_clISt17integral_constantIbLb0EESW_IbLb1EEEEDaSS_ST_EUlSS_E_NS1_11comp_targetILNS1_3genE10ELNS1_11target_archE1200ELNS1_3gpuE4ELNS1_3repE0EEENS1_30default_config_static_selectorELNS0_4arch9wavefront6targetE1EEEvT1_: ; @_ZN7rocprim17ROCPRIM_400000_NS6detail17trampoline_kernelINS0_14default_configENS1_20scan_config_selectorIdEEZZNS1_9scan_implILNS1_25lookback_scan_determinismE0ELb0ELb0ES3_N6thrust23THRUST_200600_302600_NS6detail15normal_iteratorINS9_10device_ptrIdEEEENS9_16discard_iteratorINS9_11use_defaultEEEdNS9_4plusIvEEdEEDaPvRmT3_T4_T5_mT6_P12ihipStream_tbENKUlT_T0_E_clISt17integral_constantIbLb0EESW_IbLb1EEEEDaSS_ST_EUlSS_E_NS1_11comp_targetILNS1_3genE10ELNS1_11target_archE1200ELNS1_3gpuE4ELNS1_3repE0EEENS1_30default_config_static_selectorELNS0_4arch9wavefront6targetE1EEEvT1_
; %bb.0:
	.section	.rodata,"a",@progbits
	.p2align	6, 0x0
	.amdhsa_kernel _ZN7rocprim17ROCPRIM_400000_NS6detail17trampoline_kernelINS0_14default_configENS1_20scan_config_selectorIdEEZZNS1_9scan_implILNS1_25lookback_scan_determinismE0ELb0ELb0ES3_N6thrust23THRUST_200600_302600_NS6detail15normal_iteratorINS9_10device_ptrIdEEEENS9_16discard_iteratorINS9_11use_defaultEEEdNS9_4plusIvEEdEEDaPvRmT3_T4_T5_mT6_P12ihipStream_tbENKUlT_T0_E_clISt17integral_constantIbLb0EESW_IbLb1EEEEDaSS_ST_EUlSS_E_NS1_11comp_targetILNS1_3genE10ELNS1_11target_archE1200ELNS1_3gpuE4ELNS1_3repE0EEENS1_30default_config_static_selectorELNS0_4arch9wavefront6targetE1EEEvT1_
		.amdhsa_group_segment_fixed_size 0
		.amdhsa_private_segment_fixed_size 0
		.amdhsa_kernarg_size 112
		.amdhsa_user_sgpr_count 6
		.amdhsa_user_sgpr_private_segment_buffer 1
		.amdhsa_user_sgpr_dispatch_ptr 0
		.amdhsa_user_sgpr_queue_ptr 0
		.amdhsa_user_sgpr_kernarg_segment_ptr 1
		.amdhsa_user_sgpr_dispatch_id 0
		.amdhsa_user_sgpr_flat_scratch_init 0
		.amdhsa_user_sgpr_kernarg_preload_length 0
		.amdhsa_user_sgpr_kernarg_preload_offset 0
		.amdhsa_user_sgpr_private_segment_size 0
		.amdhsa_uses_dynamic_stack 0
		.amdhsa_system_sgpr_private_segment_wavefront_offset 0
		.amdhsa_system_sgpr_workgroup_id_x 1
		.amdhsa_system_sgpr_workgroup_id_y 0
		.amdhsa_system_sgpr_workgroup_id_z 0
		.amdhsa_system_sgpr_workgroup_info 0
		.amdhsa_system_vgpr_workitem_id 0
		.amdhsa_next_free_vgpr 1
		.amdhsa_next_free_sgpr 0
		.amdhsa_accum_offset 4
		.amdhsa_reserve_vcc 0
		.amdhsa_reserve_flat_scratch 0
		.amdhsa_float_round_mode_32 0
		.amdhsa_float_round_mode_16_64 0
		.amdhsa_float_denorm_mode_32 3
		.amdhsa_float_denorm_mode_16_64 3
		.amdhsa_dx10_clamp 1
		.amdhsa_ieee_mode 1
		.amdhsa_fp16_overflow 0
		.amdhsa_tg_split 0
		.amdhsa_exception_fp_ieee_invalid_op 0
		.amdhsa_exception_fp_denorm_src 0
		.amdhsa_exception_fp_ieee_div_zero 0
		.amdhsa_exception_fp_ieee_overflow 0
		.amdhsa_exception_fp_ieee_underflow 0
		.amdhsa_exception_fp_ieee_inexact 0
		.amdhsa_exception_int_div_zero 0
	.end_amdhsa_kernel
	.section	.text._ZN7rocprim17ROCPRIM_400000_NS6detail17trampoline_kernelINS0_14default_configENS1_20scan_config_selectorIdEEZZNS1_9scan_implILNS1_25lookback_scan_determinismE0ELb0ELb0ES3_N6thrust23THRUST_200600_302600_NS6detail15normal_iteratorINS9_10device_ptrIdEEEENS9_16discard_iteratorINS9_11use_defaultEEEdNS9_4plusIvEEdEEDaPvRmT3_T4_T5_mT6_P12ihipStream_tbENKUlT_T0_E_clISt17integral_constantIbLb0EESW_IbLb1EEEEDaSS_ST_EUlSS_E_NS1_11comp_targetILNS1_3genE10ELNS1_11target_archE1200ELNS1_3gpuE4ELNS1_3repE0EEENS1_30default_config_static_selectorELNS0_4arch9wavefront6targetE1EEEvT1_,"axG",@progbits,_ZN7rocprim17ROCPRIM_400000_NS6detail17trampoline_kernelINS0_14default_configENS1_20scan_config_selectorIdEEZZNS1_9scan_implILNS1_25lookback_scan_determinismE0ELb0ELb0ES3_N6thrust23THRUST_200600_302600_NS6detail15normal_iteratorINS9_10device_ptrIdEEEENS9_16discard_iteratorINS9_11use_defaultEEEdNS9_4plusIvEEdEEDaPvRmT3_T4_T5_mT6_P12ihipStream_tbENKUlT_T0_E_clISt17integral_constantIbLb0EESW_IbLb1EEEEDaSS_ST_EUlSS_E_NS1_11comp_targetILNS1_3genE10ELNS1_11target_archE1200ELNS1_3gpuE4ELNS1_3repE0EEENS1_30default_config_static_selectorELNS0_4arch9wavefront6targetE1EEEvT1_,comdat
.Lfunc_end4922:
	.size	_ZN7rocprim17ROCPRIM_400000_NS6detail17trampoline_kernelINS0_14default_configENS1_20scan_config_selectorIdEEZZNS1_9scan_implILNS1_25lookback_scan_determinismE0ELb0ELb0ES3_N6thrust23THRUST_200600_302600_NS6detail15normal_iteratorINS9_10device_ptrIdEEEENS9_16discard_iteratorINS9_11use_defaultEEEdNS9_4plusIvEEdEEDaPvRmT3_T4_T5_mT6_P12ihipStream_tbENKUlT_T0_E_clISt17integral_constantIbLb0EESW_IbLb1EEEEDaSS_ST_EUlSS_E_NS1_11comp_targetILNS1_3genE10ELNS1_11target_archE1200ELNS1_3gpuE4ELNS1_3repE0EEENS1_30default_config_static_selectorELNS0_4arch9wavefront6targetE1EEEvT1_, .Lfunc_end4922-_ZN7rocprim17ROCPRIM_400000_NS6detail17trampoline_kernelINS0_14default_configENS1_20scan_config_selectorIdEEZZNS1_9scan_implILNS1_25lookback_scan_determinismE0ELb0ELb0ES3_N6thrust23THRUST_200600_302600_NS6detail15normal_iteratorINS9_10device_ptrIdEEEENS9_16discard_iteratorINS9_11use_defaultEEEdNS9_4plusIvEEdEEDaPvRmT3_T4_T5_mT6_P12ihipStream_tbENKUlT_T0_E_clISt17integral_constantIbLb0EESW_IbLb1EEEEDaSS_ST_EUlSS_E_NS1_11comp_targetILNS1_3genE10ELNS1_11target_archE1200ELNS1_3gpuE4ELNS1_3repE0EEENS1_30default_config_static_selectorELNS0_4arch9wavefront6targetE1EEEvT1_
                                        ; -- End function
	.section	.AMDGPU.csdata,"",@progbits
; Kernel info:
; codeLenInByte = 0
; NumSgprs: 4
; NumVgprs: 0
; NumAgprs: 0
; TotalNumVgprs: 0
; ScratchSize: 0
; MemoryBound: 0
; FloatMode: 240
; IeeeMode: 1
; LDSByteSize: 0 bytes/workgroup (compile time only)
; SGPRBlocks: 0
; VGPRBlocks: 0
; NumSGPRsForWavesPerEU: 4
; NumVGPRsForWavesPerEU: 1
; AccumOffset: 4
; Occupancy: 8
; WaveLimiterHint : 0
; COMPUTE_PGM_RSRC2:SCRATCH_EN: 0
; COMPUTE_PGM_RSRC2:USER_SGPR: 6
; COMPUTE_PGM_RSRC2:TRAP_HANDLER: 0
; COMPUTE_PGM_RSRC2:TGID_X_EN: 1
; COMPUTE_PGM_RSRC2:TGID_Y_EN: 0
; COMPUTE_PGM_RSRC2:TGID_Z_EN: 0
; COMPUTE_PGM_RSRC2:TIDIG_COMP_CNT: 0
; COMPUTE_PGM_RSRC3_GFX90A:ACCUM_OFFSET: 0
; COMPUTE_PGM_RSRC3_GFX90A:TG_SPLIT: 0
	.section	.text._ZN7rocprim17ROCPRIM_400000_NS6detail17trampoline_kernelINS0_14default_configENS1_20scan_config_selectorIdEEZZNS1_9scan_implILNS1_25lookback_scan_determinismE0ELb0ELb0ES3_N6thrust23THRUST_200600_302600_NS6detail15normal_iteratorINS9_10device_ptrIdEEEENS9_16discard_iteratorINS9_11use_defaultEEEdNS9_4plusIvEEdEEDaPvRmT3_T4_T5_mT6_P12ihipStream_tbENKUlT_T0_E_clISt17integral_constantIbLb0EESW_IbLb1EEEEDaSS_ST_EUlSS_E_NS1_11comp_targetILNS1_3genE9ELNS1_11target_archE1100ELNS1_3gpuE3ELNS1_3repE0EEENS1_30default_config_static_selectorELNS0_4arch9wavefront6targetE1EEEvT1_,"axG",@progbits,_ZN7rocprim17ROCPRIM_400000_NS6detail17trampoline_kernelINS0_14default_configENS1_20scan_config_selectorIdEEZZNS1_9scan_implILNS1_25lookback_scan_determinismE0ELb0ELb0ES3_N6thrust23THRUST_200600_302600_NS6detail15normal_iteratorINS9_10device_ptrIdEEEENS9_16discard_iteratorINS9_11use_defaultEEEdNS9_4plusIvEEdEEDaPvRmT3_T4_T5_mT6_P12ihipStream_tbENKUlT_T0_E_clISt17integral_constantIbLb0EESW_IbLb1EEEEDaSS_ST_EUlSS_E_NS1_11comp_targetILNS1_3genE9ELNS1_11target_archE1100ELNS1_3gpuE3ELNS1_3repE0EEENS1_30default_config_static_selectorELNS0_4arch9wavefront6targetE1EEEvT1_,comdat
	.protected	_ZN7rocprim17ROCPRIM_400000_NS6detail17trampoline_kernelINS0_14default_configENS1_20scan_config_selectorIdEEZZNS1_9scan_implILNS1_25lookback_scan_determinismE0ELb0ELb0ES3_N6thrust23THRUST_200600_302600_NS6detail15normal_iteratorINS9_10device_ptrIdEEEENS9_16discard_iteratorINS9_11use_defaultEEEdNS9_4plusIvEEdEEDaPvRmT3_T4_T5_mT6_P12ihipStream_tbENKUlT_T0_E_clISt17integral_constantIbLb0EESW_IbLb1EEEEDaSS_ST_EUlSS_E_NS1_11comp_targetILNS1_3genE9ELNS1_11target_archE1100ELNS1_3gpuE3ELNS1_3repE0EEENS1_30default_config_static_selectorELNS0_4arch9wavefront6targetE1EEEvT1_ ; -- Begin function _ZN7rocprim17ROCPRIM_400000_NS6detail17trampoline_kernelINS0_14default_configENS1_20scan_config_selectorIdEEZZNS1_9scan_implILNS1_25lookback_scan_determinismE0ELb0ELb0ES3_N6thrust23THRUST_200600_302600_NS6detail15normal_iteratorINS9_10device_ptrIdEEEENS9_16discard_iteratorINS9_11use_defaultEEEdNS9_4plusIvEEdEEDaPvRmT3_T4_T5_mT6_P12ihipStream_tbENKUlT_T0_E_clISt17integral_constantIbLb0EESW_IbLb1EEEEDaSS_ST_EUlSS_E_NS1_11comp_targetILNS1_3genE9ELNS1_11target_archE1100ELNS1_3gpuE3ELNS1_3repE0EEENS1_30default_config_static_selectorELNS0_4arch9wavefront6targetE1EEEvT1_
	.globl	_ZN7rocprim17ROCPRIM_400000_NS6detail17trampoline_kernelINS0_14default_configENS1_20scan_config_selectorIdEEZZNS1_9scan_implILNS1_25lookback_scan_determinismE0ELb0ELb0ES3_N6thrust23THRUST_200600_302600_NS6detail15normal_iteratorINS9_10device_ptrIdEEEENS9_16discard_iteratorINS9_11use_defaultEEEdNS9_4plusIvEEdEEDaPvRmT3_T4_T5_mT6_P12ihipStream_tbENKUlT_T0_E_clISt17integral_constantIbLb0EESW_IbLb1EEEEDaSS_ST_EUlSS_E_NS1_11comp_targetILNS1_3genE9ELNS1_11target_archE1100ELNS1_3gpuE3ELNS1_3repE0EEENS1_30default_config_static_selectorELNS0_4arch9wavefront6targetE1EEEvT1_
	.p2align	8
	.type	_ZN7rocprim17ROCPRIM_400000_NS6detail17trampoline_kernelINS0_14default_configENS1_20scan_config_selectorIdEEZZNS1_9scan_implILNS1_25lookback_scan_determinismE0ELb0ELb0ES3_N6thrust23THRUST_200600_302600_NS6detail15normal_iteratorINS9_10device_ptrIdEEEENS9_16discard_iteratorINS9_11use_defaultEEEdNS9_4plusIvEEdEEDaPvRmT3_T4_T5_mT6_P12ihipStream_tbENKUlT_T0_E_clISt17integral_constantIbLb0EESW_IbLb1EEEEDaSS_ST_EUlSS_E_NS1_11comp_targetILNS1_3genE9ELNS1_11target_archE1100ELNS1_3gpuE3ELNS1_3repE0EEENS1_30default_config_static_selectorELNS0_4arch9wavefront6targetE1EEEvT1_,@function
_ZN7rocprim17ROCPRIM_400000_NS6detail17trampoline_kernelINS0_14default_configENS1_20scan_config_selectorIdEEZZNS1_9scan_implILNS1_25lookback_scan_determinismE0ELb0ELb0ES3_N6thrust23THRUST_200600_302600_NS6detail15normal_iteratorINS9_10device_ptrIdEEEENS9_16discard_iteratorINS9_11use_defaultEEEdNS9_4plusIvEEdEEDaPvRmT3_T4_T5_mT6_P12ihipStream_tbENKUlT_T0_E_clISt17integral_constantIbLb0EESW_IbLb1EEEEDaSS_ST_EUlSS_E_NS1_11comp_targetILNS1_3genE9ELNS1_11target_archE1100ELNS1_3gpuE3ELNS1_3repE0EEENS1_30default_config_static_selectorELNS0_4arch9wavefront6targetE1EEEvT1_: ; @_ZN7rocprim17ROCPRIM_400000_NS6detail17trampoline_kernelINS0_14default_configENS1_20scan_config_selectorIdEEZZNS1_9scan_implILNS1_25lookback_scan_determinismE0ELb0ELb0ES3_N6thrust23THRUST_200600_302600_NS6detail15normal_iteratorINS9_10device_ptrIdEEEENS9_16discard_iteratorINS9_11use_defaultEEEdNS9_4plusIvEEdEEDaPvRmT3_T4_T5_mT6_P12ihipStream_tbENKUlT_T0_E_clISt17integral_constantIbLb0EESW_IbLb1EEEEDaSS_ST_EUlSS_E_NS1_11comp_targetILNS1_3genE9ELNS1_11target_archE1100ELNS1_3gpuE3ELNS1_3repE0EEENS1_30default_config_static_selectorELNS0_4arch9wavefront6targetE1EEEvT1_
; %bb.0:
	.section	.rodata,"a",@progbits
	.p2align	6, 0x0
	.amdhsa_kernel _ZN7rocprim17ROCPRIM_400000_NS6detail17trampoline_kernelINS0_14default_configENS1_20scan_config_selectorIdEEZZNS1_9scan_implILNS1_25lookback_scan_determinismE0ELb0ELb0ES3_N6thrust23THRUST_200600_302600_NS6detail15normal_iteratorINS9_10device_ptrIdEEEENS9_16discard_iteratorINS9_11use_defaultEEEdNS9_4plusIvEEdEEDaPvRmT3_T4_T5_mT6_P12ihipStream_tbENKUlT_T0_E_clISt17integral_constantIbLb0EESW_IbLb1EEEEDaSS_ST_EUlSS_E_NS1_11comp_targetILNS1_3genE9ELNS1_11target_archE1100ELNS1_3gpuE3ELNS1_3repE0EEENS1_30default_config_static_selectorELNS0_4arch9wavefront6targetE1EEEvT1_
		.amdhsa_group_segment_fixed_size 0
		.amdhsa_private_segment_fixed_size 0
		.amdhsa_kernarg_size 112
		.amdhsa_user_sgpr_count 6
		.amdhsa_user_sgpr_private_segment_buffer 1
		.amdhsa_user_sgpr_dispatch_ptr 0
		.amdhsa_user_sgpr_queue_ptr 0
		.amdhsa_user_sgpr_kernarg_segment_ptr 1
		.amdhsa_user_sgpr_dispatch_id 0
		.amdhsa_user_sgpr_flat_scratch_init 0
		.amdhsa_user_sgpr_kernarg_preload_length 0
		.amdhsa_user_sgpr_kernarg_preload_offset 0
		.amdhsa_user_sgpr_private_segment_size 0
		.amdhsa_uses_dynamic_stack 0
		.amdhsa_system_sgpr_private_segment_wavefront_offset 0
		.amdhsa_system_sgpr_workgroup_id_x 1
		.amdhsa_system_sgpr_workgroup_id_y 0
		.amdhsa_system_sgpr_workgroup_id_z 0
		.amdhsa_system_sgpr_workgroup_info 0
		.amdhsa_system_vgpr_workitem_id 0
		.amdhsa_next_free_vgpr 1
		.amdhsa_next_free_sgpr 0
		.amdhsa_accum_offset 4
		.amdhsa_reserve_vcc 0
		.amdhsa_reserve_flat_scratch 0
		.amdhsa_float_round_mode_32 0
		.amdhsa_float_round_mode_16_64 0
		.amdhsa_float_denorm_mode_32 3
		.amdhsa_float_denorm_mode_16_64 3
		.amdhsa_dx10_clamp 1
		.amdhsa_ieee_mode 1
		.amdhsa_fp16_overflow 0
		.amdhsa_tg_split 0
		.amdhsa_exception_fp_ieee_invalid_op 0
		.amdhsa_exception_fp_denorm_src 0
		.amdhsa_exception_fp_ieee_div_zero 0
		.amdhsa_exception_fp_ieee_overflow 0
		.amdhsa_exception_fp_ieee_underflow 0
		.amdhsa_exception_fp_ieee_inexact 0
		.amdhsa_exception_int_div_zero 0
	.end_amdhsa_kernel
	.section	.text._ZN7rocprim17ROCPRIM_400000_NS6detail17trampoline_kernelINS0_14default_configENS1_20scan_config_selectorIdEEZZNS1_9scan_implILNS1_25lookback_scan_determinismE0ELb0ELb0ES3_N6thrust23THRUST_200600_302600_NS6detail15normal_iteratorINS9_10device_ptrIdEEEENS9_16discard_iteratorINS9_11use_defaultEEEdNS9_4plusIvEEdEEDaPvRmT3_T4_T5_mT6_P12ihipStream_tbENKUlT_T0_E_clISt17integral_constantIbLb0EESW_IbLb1EEEEDaSS_ST_EUlSS_E_NS1_11comp_targetILNS1_3genE9ELNS1_11target_archE1100ELNS1_3gpuE3ELNS1_3repE0EEENS1_30default_config_static_selectorELNS0_4arch9wavefront6targetE1EEEvT1_,"axG",@progbits,_ZN7rocprim17ROCPRIM_400000_NS6detail17trampoline_kernelINS0_14default_configENS1_20scan_config_selectorIdEEZZNS1_9scan_implILNS1_25lookback_scan_determinismE0ELb0ELb0ES3_N6thrust23THRUST_200600_302600_NS6detail15normal_iteratorINS9_10device_ptrIdEEEENS9_16discard_iteratorINS9_11use_defaultEEEdNS9_4plusIvEEdEEDaPvRmT3_T4_T5_mT6_P12ihipStream_tbENKUlT_T0_E_clISt17integral_constantIbLb0EESW_IbLb1EEEEDaSS_ST_EUlSS_E_NS1_11comp_targetILNS1_3genE9ELNS1_11target_archE1100ELNS1_3gpuE3ELNS1_3repE0EEENS1_30default_config_static_selectorELNS0_4arch9wavefront6targetE1EEEvT1_,comdat
.Lfunc_end4923:
	.size	_ZN7rocprim17ROCPRIM_400000_NS6detail17trampoline_kernelINS0_14default_configENS1_20scan_config_selectorIdEEZZNS1_9scan_implILNS1_25lookback_scan_determinismE0ELb0ELb0ES3_N6thrust23THRUST_200600_302600_NS6detail15normal_iteratorINS9_10device_ptrIdEEEENS9_16discard_iteratorINS9_11use_defaultEEEdNS9_4plusIvEEdEEDaPvRmT3_T4_T5_mT6_P12ihipStream_tbENKUlT_T0_E_clISt17integral_constantIbLb0EESW_IbLb1EEEEDaSS_ST_EUlSS_E_NS1_11comp_targetILNS1_3genE9ELNS1_11target_archE1100ELNS1_3gpuE3ELNS1_3repE0EEENS1_30default_config_static_selectorELNS0_4arch9wavefront6targetE1EEEvT1_, .Lfunc_end4923-_ZN7rocprim17ROCPRIM_400000_NS6detail17trampoline_kernelINS0_14default_configENS1_20scan_config_selectorIdEEZZNS1_9scan_implILNS1_25lookback_scan_determinismE0ELb0ELb0ES3_N6thrust23THRUST_200600_302600_NS6detail15normal_iteratorINS9_10device_ptrIdEEEENS9_16discard_iteratorINS9_11use_defaultEEEdNS9_4plusIvEEdEEDaPvRmT3_T4_T5_mT6_P12ihipStream_tbENKUlT_T0_E_clISt17integral_constantIbLb0EESW_IbLb1EEEEDaSS_ST_EUlSS_E_NS1_11comp_targetILNS1_3genE9ELNS1_11target_archE1100ELNS1_3gpuE3ELNS1_3repE0EEENS1_30default_config_static_selectorELNS0_4arch9wavefront6targetE1EEEvT1_
                                        ; -- End function
	.section	.AMDGPU.csdata,"",@progbits
; Kernel info:
; codeLenInByte = 0
; NumSgprs: 4
; NumVgprs: 0
; NumAgprs: 0
; TotalNumVgprs: 0
; ScratchSize: 0
; MemoryBound: 0
; FloatMode: 240
; IeeeMode: 1
; LDSByteSize: 0 bytes/workgroup (compile time only)
; SGPRBlocks: 0
; VGPRBlocks: 0
; NumSGPRsForWavesPerEU: 4
; NumVGPRsForWavesPerEU: 1
; AccumOffset: 4
; Occupancy: 8
; WaveLimiterHint : 0
; COMPUTE_PGM_RSRC2:SCRATCH_EN: 0
; COMPUTE_PGM_RSRC2:USER_SGPR: 6
; COMPUTE_PGM_RSRC2:TRAP_HANDLER: 0
; COMPUTE_PGM_RSRC2:TGID_X_EN: 1
; COMPUTE_PGM_RSRC2:TGID_Y_EN: 0
; COMPUTE_PGM_RSRC2:TGID_Z_EN: 0
; COMPUTE_PGM_RSRC2:TIDIG_COMP_CNT: 0
; COMPUTE_PGM_RSRC3_GFX90A:ACCUM_OFFSET: 0
; COMPUTE_PGM_RSRC3_GFX90A:TG_SPLIT: 0
	.section	.text._ZN7rocprim17ROCPRIM_400000_NS6detail17trampoline_kernelINS0_14default_configENS1_20scan_config_selectorIdEEZZNS1_9scan_implILNS1_25lookback_scan_determinismE0ELb0ELb0ES3_N6thrust23THRUST_200600_302600_NS6detail15normal_iteratorINS9_10device_ptrIdEEEENS9_16discard_iteratorINS9_11use_defaultEEEdNS9_4plusIvEEdEEDaPvRmT3_T4_T5_mT6_P12ihipStream_tbENKUlT_T0_E_clISt17integral_constantIbLb0EESW_IbLb1EEEEDaSS_ST_EUlSS_E_NS1_11comp_targetILNS1_3genE8ELNS1_11target_archE1030ELNS1_3gpuE2ELNS1_3repE0EEENS1_30default_config_static_selectorELNS0_4arch9wavefront6targetE1EEEvT1_,"axG",@progbits,_ZN7rocprim17ROCPRIM_400000_NS6detail17trampoline_kernelINS0_14default_configENS1_20scan_config_selectorIdEEZZNS1_9scan_implILNS1_25lookback_scan_determinismE0ELb0ELb0ES3_N6thrust23THRUST_200600_302600_NS6detail15normal_iteratorINS9_10device_ptrIdEEEENS9_16discard_iteratorINS9_11use_defaultEEEdNS9_4plusIvEEdEEDaPvRmT3_T4_T5_mT6_P12ihipStream_tbENKUlT_T0_E_clISt17integral_constantIbLb0EESW_IbLb1EEEEDaSS_ST_EUlSS_E_NS1_11comp_targetILNS1_3genE8ELNS1_11target_archE1030ELNS1_3gpuE2ELNS1_3repE0EEENS1_30default_config_static_selectorELNS0_4arch9wavefront6targetE1EEEvT1_,comdat
	.protected	_ZN7rocprim17ROCPRIM_400000_NS6detail17trampoline_kernelINS0_14default_configENS1_20scan_config_selectorIdEEZZNS1_9scan_implILNS1_25lookback_scan_determinismE0ELb0ELb0ES3_N6thrust23THRUST_200600_302600_NS6detail15normal_iteratorINS9_10device_ptrIdEEEENS9_16discard_iteratorINS9_11use_defaultEEEdNS9_4plusIvEEdEEDaPvRmT3_T4_T5_mT6_P12ihipStream_tbENKUlT_T0_E_clISt17integral_constantIbLb0EESW_IbLb1EEEEDaSS_ST_EUlSS_E_NS1_11comp_targetILNS1_3genE8ELNS1_11target_archE1030ELNS1_3gpuE2ELNS1_3repE0EEENS1_30default_config_static_selectorELNS0_4arch9wavefront6targetE1EEEvT1_ ; -- Begin function _ZN7rocprim17ROCPRIM_400000_NS6detail17trampoline_kernelINS0_14default_configENS1_20scan_config_selectorIdEEZZNS1_9scan_implILNS1_25lookback_scan_determinismE0ELb0ELb0ES3_N6thrust23THRUST_200600_302600_NS6detail15normal_iteratorINS9_10device_ptrIdEEEENS9_16discard_iteratorINS9_11use_defaultEEEdNS9_4plusIvEEdEEDaPvRmT3_T4_T5_mT6_P12ihipStream_tbENKUlT_T0_E_clISt17integral_constantIbLb0EESW_IbLb1EEEEDaSS_ST_EUlSS_E_NS1_11comp_targetILNS1_3genE8ELNS1_11target_archE1030ELNS1_3gpuE2ELNS1_3repE0EEENS1_30default_config_static_selectorELNS0_4arch9wavefront6targetE1EEEvT1_
	.globl	_ZN7rocprim17ROCPRIM_400000_NS6detail17trampoline_kernelINS0_14default_configENS1_20scan_config_selectorIdEEZZNS1_9scan_implILNS1_25lookback_scan_determinismE0ELb0ELb0ES3_N6thrust23THRUST_200600_302600_NS6detail15normal_iteratorINS9_10device_ptrIdEEEENS9_16discard_iteratorINS9_11use_defaultEEEdNS9_4plusIvEEdEEDaPvRmT3_T4_T5_mT6_P12ihipStream_tbENKUlT_T0_E_clISt17integral_constantIbLb0EESW_IbLb1EEEEDaSS_ST_EUlSS_E_NS1_11comp_targetILNS1_3genE8ELNS1_11target_archE1030ELNS1_3gpuE2ELNS1_3repE0EEENS1_30default_config_static_selectorELNS0_4arch9wavefront6targetE1EEEvT1_
	.p2align	8
	.type	_ZN7rocprim17ROCPRIM_400000_NS6detail17trampoline_kernelINS0_14default_configENS1_20scan_config_selectorIdEEZZNS1_9scan_implILNS1_25lookback_scan_determinismE0ELb0ELb0ES3_N6thrust23THRUST_200600_302600_NS6detail15normal_iteratorINS9_10device_ptrIdEEEENS9_16discard_iteratorINS9_11use_defaultEEEdNS9_4plusIvEEdEEDaPvRmT3_T4_T5_mT6_P12ihipStream_tbENKUlT_T0_E_clISt17integral_constantIbLb0EESW_IbLb1EEEEDaSS_ST_EUlSS_E_NS1_11comp_targetILNS1_3genE8ELNS1_11target_archE1030ELNS1_3gpuE2ELNS1_3repE0EEENS1_30default_config_static_selectorELNS0_4arch9wavefront6targetE1EEEvT1_,@function
_ZN7rocprim17ROCPRIM_400000_NS6detail17trampoline_kernelINS0_14default_configENS1_20scan_config_selectorIdEEZZNS1_9scan_implILNS1_25lookback_scan_determinismE0ELb0ELb0ES3_N6thrust23THRUST_200600_302600_NS6detail15normal_iteratorINS9_10device_ptrIdEEEENS9_16discard_iteratorINS9_11use_defaultEEEdNS9_4plusIvEEdEEDaPvRmT3_T4_T5_mT6_P12ihipStream_tbENKUlT_T0_E_clISt17integral_constantIbLb0EESW_IbLb1EEEEDaSS_ST_EUlSS_E_NS1_11comp_targetILNS1_3genE8ELNS1_11target_archE1030ELNS1_3gpuE2ELNS1_3repE0EEENS1_30default_config_static_selectorELNS0_4arch9wavefront6targetE1EEEvT1_: ; @_ZN7rocprim17ROCPRIM_400000_NS6detail17trampoline_kernelINS0_14default_configENS1_20scan_config_selectorIdEEZZNS1_9scan_implILNS1_25lookback_scan_determinismE0ELb0ELb0ES3_N6thrust23THRUST_200600_302600_NS6detail15normal_iteratorINS9_10device_ptrIdEEEENS9_16discard_iteratorINS9_11use_defaultEEEdNS9_4plusIvEEdEEDaPvRmT3_T4_T5_mT6_P12ihipStream_tbENKUlT_T0_E_clISt17integral_constantIbLb0EESW_IbLb1EEEEDaSS_ST_EUlSS_E_NS1_11comp_targetILNS1_3genE8ELNS1_11target_archE1030ELNS1_3gpuE2ELNS1_3repE0EEENS1_30default_config_static_selectorELNS0_4arch9wavefront6targetE1EEEvT1_
; %bb.0:
	.section	.rodata,"a",@progbits
	.p2align	6, 0x0
	.amdhsa_kernel _ZN7rocprim17ROCPRIM_400000_NS6detail17trampoline_kernelINS0_14default_configENS1_20scan_config_selectorIdEEZZNS1_9scan_implILNS1_25lookback_scan_determinismE0ELb0ELb0ES3_N6thrust23THRUST_200600_302600_NS6detail15normal_iteratorINS9_10device_ptrIdEEEENS9_16discard_iteratorINS9_11use_defaultEEEdNS9_4plusIvEEdEEDaPvRmT3_T4_T5_mT6_P12ihipStream_tbENKUlT_T0_E_clISt17integral_constantIbLb0EESW_IbLb1EEEEDaSS_ST_EUlSS_E_NS1_11comp_targetILNS1_3genE8ELNS1_11target_archE1030ELNS1_3gpuE2ELNS1_3repE0EEENS1_30default_config_static_selectorELNS0_4arch9wavefront6targetE1EEEvT1_
		.amdhsa_group_segment_fixed_size 0
		.amdhsa_private_segment_fixed_size 0
		.amdhsa_kernarg_size 112
		.amdhsa_user_sgpr_count 6
		.amdhsa_user_sgpr_private_segment_buffer 1
		.amdhsa_user_sgpr_dispatch_ptr 0
		.amdhsa_user_sgpr_queue_ptr 0
		.amdhsa_user_sgpr_kernarg_segment_ptr 1
		.amdhsa_user_sgpr_dispatch_id 0
		.amdhsa_user_sgpr_flat_scratch_init 0
		.amdhsa_user_sgpr_kernarg_preload_length 0
		.amdhsa_user_sgpr_kernarg_preload_offset 0
		.amdhsa_user_sgpr_private_segment_size 0
		.amdhsa_uses_dynamic_stack 0
		.amdhsa_system_sgpr_private_segment_wavefront_offset 0
		.amdhsa_system_sgpr_workgroup_id_x 1
		.amdhsa_system_sgpr_workgroup_id_y 0
		.amdhsa_system_sgpr_workgroup_id_z 0
		.amdhsa_system_sgpr_workgroup_info 0
		.amdhsa_system_vgpr_workitem_id 0
		.amdhsa_next_free_vgpr 1
		.amdhsa_next_free_sgpr 0
		.amdhsa_accum_offset 4
		.amdhsa_reserve_vcc 0
		.amdhsa_reserve_flat_scratch 0
		.amdhsa_float_round_mode_32 0
		.amdhsa_float_round_mode_16_64 0
		.amdhsa_float_denorm_mode_32 3
		.amdhsa_float_denorm_mode_16_64 3
		.amdhsa_dx10_clamp 1
		.amdhsa_ieee_mode 1
		.amdhsa_fp16_overflow 0
		.amdhsa_tg_split 0
		.amdhsa_exception_fp_ieee_invalid_op 0
		.amdhsa_exception_fp_denorm_src 0
		.amdhsa_exception_fp_ieee_div_zero 0
		.amdhsa_exception_fp_ieee_overflow 0
		.amdhsa_exception_fp_ieee_underflow 0
		.amdhsa_exception_fp_ieee_inexact 0
		.amdhsa_exception_int_div_zero 0
	.end_amdhsa_kernel
	.section	.text._ZN7rocprim17ROCPRIM_400000_NS6detail17trampoline_kernelINS0_14default_configENS1_20scan_config_selectorIdEEZZNS1_9scan_implILNS1_25lookback_scan_determinismE0ELb0ELb0ES3_N6thrust23THRUST_200600_302600_NS6detail15normal_iteratorINS9_10device_ptrIdEEEENS9_16discard_iteratorINS9_11use_defaultEEEdNS9_4plusIvEEdEEDaPvRmT3_T4_T5_mT6_P12ihipStream_tbENKUlT_T0_E_clISt17integral_constantIbLb0EESW_IbLb1EEEEDaSS_ST_EUlSS_E_NS1_11comp_targetILNS1_3genE8ELNS1_11target_archE1030ELNS1_3gpuE2ELNS1_3repE0EEENS1_30default_config_static_selectorELNS0_4arch9wavefront6targetE1EEEvT1_,"axG",@progbits,_ZN7rocprim17ROCPRIM_400000_NS6detail17trampoline_kernelINS0_14default_configENS1_20scan_config_selectorIdEEZZNS1_9scan_implILNS1_25lookback_scan_determinismE0ELb0ELb0ES3_N6thrust23THRUST_200600_302600_NS6detail15normal_iteratorINS9_10device_ptrIdEEEENS9_16discard_iteratorINS9_11use_defaultEEEdNS9_4plusIvEEdEEDaPvRmT3_T4_T5_mT6_P12ihipStream_tbENKUlT_T0_E_clISt17integral_constantIbLb0EESW_IbLb1EEEEDaSS_ST_EUlSS_E_NS1_11comp_targetILNS1_3genE8ELNS1_11target_archE1030ELNS1_3gpuE2ELNS1_3repE0EEENS1_30default_config_static_selectorELNS0_4arch9wavefront6targetE1EEEvT1_,comdat
.Lfunc_end4924:
	.size	_ZN7rocprim17ROCPRIM_400000_NS6detail17trampoline_kernelINS0_14default_configENS1_20scan_config_selectorIdEEZZNS1_9scan_implILNS1_25lookback_scan_determinismE0ELb0ELb0ES3_N6thrust23THRUST_200600_302600_NS6detail15normal_iteratorINS9_10device_ptrIdEEEENS9_16discard_iteratorINS9_11use_defaultEEEdNS9_4plusIvEEdEEDaPvRmT3_T4_T5_mT6_P12ihipStream_tbENKUlT_T0_E_clISt17integral_constantIbLb0EESW_IbLb1EEEEDaSS_ST_EUlSS_E_NS1_11comp_targetILNS1_3genE8ELNS1_11target_archE1030ELNS1_3gpuE2ELNS1_3repE0EEENS1_30default_config_static_selectorELNS0_4arch9wavefront6targetE1EEEvT1_, .Lfunc_end4924-_ZN7rocprim17ROCPRIM_400000_NS6detail17trampoline_kernelINS0_14default_configENS1_20scan_config_selectorIdEEZZNS1_9scan_implILNS1_25lookback_scan_determinismE0ELb0ELb0ES3_N6thrust23THRUST_200600_302600_NS6detail15normal_iteratorINS9_10device_ptrIdEEEENS9_16discard_iteratorINS9_11use_defaultEEEdNS9_4plusIvEEdEEDaPvRmT3_T4_T5_mT6_P12ihipStream_tbENKUlT_T0_E_clISt17integral_constantIbLb0EESW_IbLb1EEEEDaSS_ST_EUlSS_E_NS1_11comp_targetILNS1_3genE8ELNS1_11target_archE1030ELNS1_3gpuE2ELNS1_3repE0EEENS1_30default_config_static_selectorELNS0_4arch9wavefront6targetE1EEEvT1_
                                        ; -- End function
	.section	.AMDGPU.csdata,"",@progbits
; Kernel info:
; codeLenInByte = 0
; NumSgprs: 4
; NumVgprs: 0
; NumAgprs: 0
; TotalNumVgprs: 0
; ScratchSize: 0
; MemoryBound: 0
; FloatMode: 240
; IeeeMode: 1
; LDSByteSize: 0 bytes/workgroup (compile time only)
; SGPRBlocks: 0
; VGPRBlocks: 0
; NumSGPRsForWavesPerEU: 4
; NumVGPRsForWavesPerEU: 1
; AccumOffset: 4
; Occupancy: 8
; WaveLimiterHint : 0
; COMPUTE_PGM_RSRC2:SCRATCH_EN: 0
; COMPUTE_PGM_RSRC2:USER_SGPR: 6
; COMPUTE_PGM_RSRC2:TRAP_HANDLER: 0
; COMPUTE_PGM_RSRC2:TGID_X_EN: 1
; COMPUTE_PGM_RSRC2:TGID_Y_EN: 0
; COMPUTE_PGM_RSRC2:TGID_Z_EN: 0
; COMPUTE_PGM_RSRC2:TIDIG_COMP_CNT: 0
; COMPUTE_PGM_RSRC3_GFX90A:ACCUM_OFFSET: 0
; COMPUTE_PGM_RSRC3_GFX90A:TG_SPLIT: 0
	.section	.text._ZN7rocprim17ROCPRIM_400000_NS6detail17trampoline_kernelINS0_14default_configENS1_20scan_config_selectorIdEEZZNS1_9scan_implILNS1_25lookback_scan_determinismE0ELb0ELb0ES3_N6thrust23THRUST_200600_302600_NS6detail15normal_iteratorINS9_10device_ptrIdEEEENS9_16discard_iteratorINS9_11use_defaultEEEdNS9_4plusIvEEdEEDaPvRmT3_T4_T5_mT6_P12ihipStream_tbENKUlT_T0_E_clISt17integral_constantIbLb0EESW_IbLb1EEEEDaSS_ST_EUlSS_E0_NS1_11comp_targetILNS1_3genE0ELNS1_11target_archE4294967295ELNS1_3gpuE0ELNS1_3repE0EEENS1_30default_config_static_selectorELNS0_4arch9wavefront6targetE1EEEvT1_,"axG",@progbits,_ZN7rocprim17ROCPRIM_400000_NS6detail17trampoline_kernelINS0_14default_configENS1_20scan_config_selectorIdEEZZNS1_9scan_implILNS1_25lookback_scan_determinismE0ELb0ELb0ES3_N6thrust23THRUST_200600_302600_NS6detail15normal_iteratorINS9_10device_ptrIdEEEENS9_16discard_iteratorINS9_11use_defaultEEEdNS9_4plusIvEEdEEDaPvRmT3_T4_T5_mT6_P12ihipStream_tbENKUlT_T0_E_clISt17integral_constantIbLb0EESW_IbLb1EEEEDaSS_ST_EUlSS_E0_NS1_11comp_targetILNS1_3genE0ELNS1_11target_archE4294967295ELNS1_3gpuE0ELNS1_3repE0EEENS1_30default_config_static_selectorELNS0_4arch9wavefront6targetE1EEEvT1_,comdat
	.protected	_ZN7rocprim17ROCPRIM_400000_NS6detail17trampoline_kernelINS0_14default_configENS1_20scan_config_selectorIdEEZZNS1_9scan_implILNS1_25lookback_scan_determinismE0ELb0ELb0ES3_N6thrust23THRUST_200600_302600_NS6detail15normal_iteratorINS9_10device_ptrIdEEEENS9_16discard_iteratorINS9_11use_defaultEEEdNS9_4plusIvEEdEEDaPvRmT3_T4_T5_mT6_P12ihipStream_tbENKUlT_T0_E_clISt17integral_constantIbLb0EESW_IbLb1EEEEDaSS_ST_EUlSS_E0_NS1_11comp_targetILNS1_3genE0ELNS1_11target_archE4294967295ELNS1_3gpuE0ELNS1_3repE0EEENS1_30default_config_static_selectorELNS0_4arch9wavefront6targetE1EEEvT1_ ; -- Begin function _ZN7rocprim17ROCPRIM_400000_NS6detail17trampoline_kernelINS0_14default_configENS1_20scan_config_selectorIdEEZZNS1_9scan_implILNS1_25lookback_scan_determinismE0ELb0ELb0ES3_N6thrust23THRUST_200600_302600_NS6detail15normal_iteratorINS9_10device_ptrIdEEEENS9_16discard_iteratorINS9_11use_defaultEEEdNS9_4plusIvEEdEEDaPvRmT3_T4_T5_mT6_P12ihipStream_tbENKUlT_T0_E_clISt17integral_constantIbLb0EESW_IbLb1EEEEDaSS_ST_EUlSS_E0_NS1_11comp_targetILNS1_3genE0ELNS1_11target_archE4294967295ELNS1_3gpuE0ELNS1_3repE0EEENS1_30default_config_static_selectorELNS0_4arch9wavefront6targetE1EEEvT1_
	.globl	_ZN7rocprim17ROCPRIM_400000_NS6detail17trampoline_kernelINS0_14default_configENS1_20scan_config_selectorIdEEZZNS1_9scan_implILNS1_25lookback_scan_determinismE0ELb0ELb0ES3_N6thrust23THRUST_200600_302600_NS6detail15normal_iteratorINS9_10device_ptrIdEEEENS9_16discard_iteratorINS9_11use_defaultEEEdNS9_4plusIvEEdEEDaPvRmT3_T4_T5_mT6_P12ihipStream_tbENKUlT_T0_E_clISt17integral_constantIbLb0EESW_IbLb1EEEEDaSS_ST_EUlSS_E0_NS1_11comp_targetILNS1_3genE0ELNS1_11target_archE4294967295ELNS1_3gpuE0ELNS1_3repE0EEENS1_30default_config_static_selectorELNS0_4arch9wavefront6targetE1EEEvT1_
	.p2align	8
	.type	_ZN7rocprim17ROCPRIM_400000_NS6detail17trampoline_kernelINS0_14default_configENS1_20scan_config_selectorIdEEZZNS1_9scan_implILNS1_25lookback_scan_determinismE0ELb0ELb0ES3_N6thrust23THRUST_200600_302600_NS6detail15normal_iteratorINS9_10device_ptrIdEEEENS9_16discard_iteratorINS9_11use_defaultEEEdNS9_4plusIvEEdEEDaPvRmT3_T4_T5_mT6_P12ihipStream_tbENKUlT_T0_E_clISt17integral_constantIbLb0EESW_IbLb1EEEEDaSS_ST_EUlSS_E0_NS1_11comp_targetILNS1_3genE0ELNS1_11target_archE4294967295ELNS1_3gpuE0ELNS1_3repE0EEENS1_30default_config_static_selectorELNS0_4arch9wavefront6targetE1EEEvT1_,@function
_ZN7rocprim17ROCPRIM_400000_NS6detail17trampoline_kernelINS0_14default_configENS1_20scan_config_selectorIdEEZZNS1_9scan_implILNS1_25lookback_scan_determinismE0ELb0ELb0ES3_N6thrust23THRUST_200600_302600_NS6detail15normal_iteratorINS9_10device_ptrIdEEEENS9_16discard_iteratorINS9_11use_defaultEEEdNS9_4plusIvEEdEEDaPvRmT3_T4_T5_mT6_P12ihipStream_tbENKUlT_T0_E_clISt17integral_constantIbLb0EESW_IbLb1EEEEDaSS_ST_EUlSS_E0_NS1_11comp_targetILNS1_3genE0ELNS1_11target_archE4294967295ELNS1_3gpuE0ELNS1_3repE0EEENS1_30default_config_static_selectorELNS0_4arch9wavefront6targetE1EEEvT1_: ; @_ZN7rocprim17ROCPRIM_400000_NS6detail17trampoline_kernelINS0_14default_configENS1_20scan_config_selectorIdEEZZNS1_9scan_implILNS1_25lookback_scan_determinismE0ELb0ELb0ES3_N6thrust23THRUST_200600_302600_NS6detail15normal_iteratorINS9_10device_ptrIdEEEENS9_16discard_iteratorINS9_11use_defaultEEEdNS9_4plusIvEEdEEDaPvRmT3_T4_T5_mT6_P12ihipStream_tbENKUlT_T0_E_clISt17integral_constantIbLb0EESW_IbLb1EEEEDaSS_ST_EUlSS_E0_NS1_11comp_targetILNS1_3genE0ELNS1_11target_archE4294967295ELNS1_3gpuE0ELNS1_3repE0EEENS1_30default_config_static_selectorELNS0_4arch9wavefront6targetE1EEEvT1_
; %bb.0:
	.section	.rodata,"a",@progbits
	.p2align	6, 0x0
	.amdhsa_kernel _ZN7rocprim17ROCPRIM_400000_NS6detail17trampoline_kernelINS0_14default_configENS1_20scan_config_selectorIdEEZZNS1_9scan_implILNS1_25lookback_scan_determinismE0ELb0ELb0ES3_N6thrust23THRUST_200600_302600_NS6detail15normal_iteratorINS9_10device_ptrIdEEEENS9_16discard_iteratorINS9_11use_defaultEEEdNS9_4plusIvEEdEEDaPvRmT3_T4_T5_mT6_P12ihipStream_tbENKUlT_T0_E_clISt17integral_constantIbLb0EESW_IbLb1EEEEDaSS_ST_EUlSS_E0_NS1_11comp_targetILNS1_3genE0ELNS1_11target_archE4294967295ELNS1_3gpuE0ELNS1_3repE0EEENS1_30default_config_static_selectorELNS0_4arch9wavefront6targetE1EEEvT1_
		.amdhsa_group_segment_fixed_size 0
		.amdhsa_private_segment_fixed_size 0
		.amdhsa_kernarg_size 48
		.amdhsa_user_sgpr_count 6
		.amdhsa_user_sgpr_private_segment_buffer 1
		.amdhsa_user_sgpr_dispatch_ptr 0
		.amdhsa_user_sgpr_queue_ptr 0
		.amdhsa_user_sgpr_kernarg_segment_ptr 1
		.amdhsa_user_sgpr_dispatch_id 0
		.amdhsa_user_sgpr_flat_scratch_init 0
		.amdhsa_user_sgpr_kernarg_preload_length 0
		.amdhsa_user_sgpr_kernarg_preload_offset 0
		.amdhsa_user_sgpr_private_segment_size 0
		.amdhsa_uses_dynamic_stack 0
		.amdhsa_system_sgpr_private_segment_wavefront_offset 0
		.amdhsa_system_sgpr_workgroup_id_x 1
		.amdhsa_system_sgpr_workgroup_id_y 0
		.amdhsa_system_sgpr_workgroup_id_z 0
		.amdhsa_system_sgpr_workgroup_info 0
		.amdhsa_system_vgpr_workitem_id 0
		.amdhsa_next_free_vgpr 1
		.amdhsa_next_free_sgpr 0
		.amdhsa_accum_offset 4
		.amdhsa_reserve_vcc 0
		.amdhsa_reserve_flat_scratch 0
		.amdhsa_float_round_mode_32 0
		.amdhsa_float_round_mode_16_64 0
		.amdhsa_float_denorm_mode_32 3
		.amdhsa_float_denorm_mode_16_64 3
		.amdhsa_dx10_clamp 1
		.amdhsa_ieee_mode 1
		.amdhsa_fp16_overflow 0
		.amdhsa_tg_split 0
		.amdhsa_exception_fp_ieee_invalid_op 0
		.amdhsa_exception_fp_denorm_src 0
		.amdhsa_exception_fp_ieee_div_zero 0
		.amdhsa_exception_fp_ieee_overflow 0
		.amdhsa_exception_fp_ieee_underflow 0
		.amdhsa_exception_fp_ieee_inexact 0
		.amdhsa_exception_int_div_zero 0
	.end_amdhsa_kernel
	.section	.text._ZN7rocprim17ROCPRIM_400000_NS6detail17trampoline_kernelINS0_14default_configENS1_20scan_config_selectorIdEEZZNS1_9scan_implILNS1_25lookback_scan_determinismE0ELb0ELb0ES3_N6thrust23THRUST_200600_302600_NS6detail15normal_iteratorINS9_10device_ptrIdEEEENS9_16discard_iteratorINS9_11use_defaultEEEdNS9_4plusIvEEdEEDaPvRmT3_T4_T5_mT6_P12ihipStream_tbENKUlT_T0_E_clISt17integral_constantIbLb0EESW_IbLb1EEEEDaSS_ST_EUlSS_E0_NS1_11comp_targetILNS1_3genE0ELNS1_11target_archE4294967295ELNS1_3gpuE0ELNS1_3repE0EEENS1_30default_config_static_selectorELNS0_4arch9wavefront6targetE1EEEvT1_,"axG",@progbits,_ZN7rocprim17ROCPRIM_400000_NS6detail17trampoline_kernelINS0_14default_configENS1_20scan_config_selectorIdEEZZNS1_9scan_implILNS1_25lookback_scan_determinismE0ELb0ELb0ES3_N6thrust23THRUST_200600_302600_NS6detail15normal_iteratorINS9_10device_ptrIdEEEENS9_16discard_iteratorINS9_11use_defaultEEEdNS9_4plusIvEEdEEDaPvRmT3_T4_T5_mT6_P12ihipStream_tbENKUlT_T0_E_clISt17integral_constantIbLb0EESW_IbLb1EEEEDaSS_ST_EUlSS_E0_NS1_11comp_targetILNS1_3genE0ELNS1_11target_archE4294967295ELNS1_3gpuE0ELNS1_3repE0EEENS1_30default_config_static_selectorELNS0_4arch9wavefront6targetE1EEEvT1_,comdat
.Lfunc_end4925:
	.size	_ZN7rocprim17ROCPRIM_400000_NS6detail17trampoline_kernelINS0_14default_configENS1_20scan_config_selectorIdEEZZNS1_9scan_implILNS1_25lookback_scan_determinismE0ELb0ELb0ES3_N6thrust23THRUST_200600_302600_NS6detail15normal_iteratorINS9_10device_ptrIdEEEENS9_16discard_iteratorINS9_11use_defaultEEEdNS9_4plusIvEEdEEDaPvRmT3_T4_T5_mT6_P12ihipStream_tbENKUlT_T0_E_clISt17integral_constantIbLb0EESW_IbLb1EEEEDaSS_ST_EUlSS_E0_NS1_11comp_targetILNS1_3genE0ELNS1_11target_archE4294967295ELNS1_3gpuE0ELNS1_3repE0EEENS1_30default_config_static_selectorELNS0_4arch9wavefront6targetE1EEEvT1_, .Lfunc_end4925-_ZN7rocprim17ROCPRIM_400000_NS6detail17trampoline_kernelINS0_14default_configENS1_20scan_config_selectorIdEEZZNS1_9scan_implILNS1_25lookback_scan_determinismE0ELb0ELb0ES3_N6thrust23THRUST_200600_302600_NS6detail15normal_iteratorINS9_10device_ptrIdEEEENS9_16discard_iteratorINS9_11use_defaultEEEdNS9_4plusIvEEdEEDaPvRmT3_T4_T5_mT6_P12ihipStream_tbENKUlT_T0_E_clISt17integral_constantIbLb0EESW_IbLb1EEEEDaSS_ST_EUlSS_E0_NS1_11comp_targetILNS1_3genE0ELNS1_11target_archE4294967295ELNS1_3gpuE0ELNS1_3repE0EEENS1_30default_config_static_selectorELNS0_4arch9wavefront6targetE1EEEvT1_
                                        ; -- End function
	.section	.AMDGPU.csdata,"",@progbits
; Kernel info:
; codeLenInByte = 0
; NumSgprs: 4
; NumVgprs: 0
; NumAgprs: 0
; TotalNumVgprs: 0
; ScratchSize: 0
; MemoryBound: 0
; FloatMode: 240
; IeeeMode: 1
; LDSByteSize: 0 bytes/workgroup (compile time only)
; SGPRBlocks: 0
; VGPRBlocks: 0
; NumSGPRsForWavesPerEU: 4
; NumVGPRsForWavesPerEU: 1
; AccumOffset: 4
; Occupancy: 8
; WaveLimiterHint : 0
; COMPUTE_PGM_RSRC2:SCRATCH_EN: 0
; COMPUTE_PGM_RSRC2:USER_SGPR: 6
; COMPUTE_PGM_RSRC2:TRAP_HANDLER: 0
; COMPUTE_PGM_RSRC2:TGID_X_EN: 1
; COMPUTE_PGM_RSRC2:TGID_Y_EN: 0
; COMPUTE_PGM_RSRC2:TGID_Z_EN: 0
; COMPUTE_PGM_RSRC2:TIDIG_COMP_CNT: 0
; COMPUTE_PGM_RSRC3_GFX90A:ACCUM_OFFSET: 0
; COMPUTE_PGM_RSRC3_GFX90A:TG_SPLIT: 0
	.section	.text._ZN7rocprim17ROCPRIM_400000_NS6detail17trampoline_kernelINS0_14default_configENS1_20scan_config_selectorIdEEZZNS1_9scan_implILNS1_25lookback_scan_determinismE0ELb0ELb0ES3_N6thrust23THRUST_200600_302600_NS6detail15normal_iteratorINS9_10device_ptrIdEEEENS9_16discard_iteratorINS9_11use_defaultEEEdNS9_4plusIvEEdEEDaPvRmT3_T4_T5_mT6_P12ihipStream_tbENKUlT_T0_E_clISt17integral_constantIbLb0EESW_IbLb1EEEEDaSS_ST_EUlSS_E0_NS1_11comp_targetILNS1_3genE5ELNS1_11target_archE942ELNS1_3gpuE9ELNS1_3repE0EEENS1_30default_config_static_selectorELNS0_4arch9wavefront6targetE1EEEvT1_,"axG",@progbits,_ZN7rocprim17ROCPRIM_400000_NS6detail17trampoline_kernelINS0_14default_configENS1_20scan_config_selectorIdEEZZNS1_9scan_implILNS1_25lookback_scan_determinismE0ELb0ELb0ES3_N6thrust23THRUST_200600_302600_NS6detail15normal_iteratorINS9_10device_ptrIdEEEENS9_16discard_iteratorINS9_11use_defaultEEEdNS9_4plusIvEEdEEDaPvRmT3_T4_T5_mT6_P12ihipStream_tbENKUlT_T0_E_clISt17integral_constantIbLb0EESW_IbLb1EEEEDaSS_ST_EUlSS_E0_NS1_11comp_targetILNS1_3genE5ELNS1_11target_archE942ELNS1_3gpuE9ELNS1_3repE0EEENS1_30default_config_static_selectorELNS0_4arch9wavefront6targetE1EEEvT1_,comdat
	.protected	_ZN7rocprim17ROCPRIM_400000_NS6detail17trampoline_kernelINS0_14default_configENS1_20scan_config_selectorIdEEZZNS1_9scan_implILNS1_25lookback_scan_determinismE0ELb0ELb0ES3_N6thrust23THRUST_200600_302600_NS6detail15normal_iteratorINS9_10device_ptrIdEEEENS9_16discard_iteratorINS9_11use_defaultEEEdNS9_4plusIvEEdEEDaPvRmT3_T4_T5_mT6_P12ihipStream_tbENKUlT_T0_E_clISt17integral_constantIbLb0EESW_IbLb1EEEEDaSS_ST_EUlSS_E0_NS1_11comp_targetILNS1_3genE5ELNS1_11target_archE942ELNS1_3gpuE9ELNS1_3repE0EEENS1_30default_config_static_selectorELNS0_4arch9wavefront6targetE1EEEvT1_ ; -- Begin function _ZN7rocprim17ROCPRIM_400000_NS6detail17trampoline_kernelINS0_14default_configENS1_20scan_config_selectorIdEEZZNS1_9scan_implILNS1_25lookback_scan_determinismE0ELb0ELb0ES3_N6thrust23THRUST_200600_302600_NS6detail15normal_iteratorINS9_10device_ptrIdEEEENS9_16discard_iteratorINS9_11use_defaultEEEdNS9_4plusIvEEdEEDaPvRmT3_T4_T5_mT6_P12ihipStream_tbENKUlT_T0_E_clISt17integral_constantIbLb0EESW_IbLb1EEEEDaSS_ST_EUlSS_E0_NS1_11comp_targetILNS1_3genE5ELNS1_11target_archE942ELNS1_3gpuE9ELNS1_3repE0EEENS1_30default_config_static_selectorELNS0_4arch9wavefront6targetE1EEEvT1_
	.globl	_ZN7rocprim17ROCPRIM_400000_NS6detail17trampoline_kernelINS0_14default_configENS1_20scan_config_selectorIdEEZZNS1_9scan_implILNS1_25lookback_scan_determinismE0ELb0ELb0ES3_N6thrust23THRUST_200600_302600_NS6detail15normal_iteratorINS9_10device_ptrIdEEEENS9_16discard_iteratorINS9_11use_defaultEEEdNS9_4plusIvEEdEEDaPvRmT3_T4_T5_mT6_P12ihipStream_tbENKUlT_T0_E_clISt17integral_constantIbLb0EESW_IbLb1EEEEDaSS_ST_EUlSS_E0_NS1_11comp_targetILNS1_3genE5ELNS1_11target_archE942ELNS1_3gpuE9ELNS1_3repE0EEENS1_30default_config_static_selectorELNS0_4arch9wavefront6targetE1EEEvT1_
	.p2align	8
	.type	_ZN7rocprim17ROCPRIM_400000_NS6detail17trampoline_kernelINS0_14default_configENS1_20scan_config_selectorIdEEZZNS1_9scan_implILNS1_25lookback_scan_determinismE0ELb0ELb0ES3_N6thrust23THRUST_200600_302600_NS6detail15normal_iteratorINS9_10device_ptrIdEEEENS9_16discard_iteratorINS9_11use_defaultEEEdNS9_4plusIvEEdEEDaPvRmT3_T4_T5_mT6_P12ihipStream_tbENKUlT_T0_E_clISt17integral_constantIbLb0EESW_IbLb1EEEEDaSS_ST_EUlSS_E0_NS1_11comp_targetILNS1_3genE5ELNS1_11target_archE942ELNS1_3gpuE9ELNS1_3repE0EEENS1_30default_config_static_selectorELNS0_4arch9wavefront6targetE1EEEvT1_,@function
_ZN7rocprim17ROCPRIM_400000_NS6detail17trampoline_kernelINS0_14default_configENS1_20scan_config_selectorIdEEZZNS1_9scan_implILNS1_25lookback_scan_determinismE0ELb0ELb0ES3_N6thrust23THRUST_200600_302600_NS6detail15normal_iteratorINS9_10device_ptrIdEEEENS9_16discard_iteratorINS9_11use_defaultEEEdNS9_4plusIvEEdEEDaPvRmT3_T4_T5_mT6_P12ihipStream_tbENKUlT_T0_E_clISt17integral_constantIbLb0EESW_IbLb1EEEEDaSS_ST_EUlSS_E0_NS1_11comp_targetILNS1_3genE5ELNS1_11target_archE942ELNS1_3gpuE9ELNS1_3repE0EEENS1_30default_config_static_selectorELNS0_4arch9wavefront6targetE1EEEvT1_: ; @_ZN7rocprim17ROCPRIM_400000_NS6detail17trampoline_kernelINS0_14default_configENS1_20scan_config_selectorIdEEZZNS1_9scan_implILNS1_25lookback_scan_determinismE0ELb0ELb0ES3_N6thrust23THRUST_200600_302600_NS6detail15normal_iteratorINS9_10device_ptrIdEEEENS9_16discard_iteratorINS9_11use_defaultEEEdNS9_4plusIvEEdEEDaPvRmT3_T4_T5_mT6_P12ihipStream_tbENKUlT_T0_E_clISt17integral_constantIbLb0EESW_IbLb1EEEEDaSS_ST_EUlSS_E0_NS1_11comp_targetILNS1_3genE5ELNS1_11target_archE942ELNS1_3gpuE9ELNS1_3repE0EEENS1_30default_config_static_selectorELNS0_4arch9wavefront6targetE1EEEvT1_
; %bb.0:
	.section	.rodata,"a",@progbits
	.p2align	6, 0x0
	.amdhsa_kernel _ZN7rocprim17ROCPRIM_400000_NS6detail17trampoline_kernelINS0_14default_configENS1_20scan_config_selectorIdEEZZNS1_9scan_implILNS1_25lookback_scan_determinismE0ELb0ELb0ES3_N6thrust23THRUST_200600_302600_NS6detail15normal_iteratorINS9_10device_ptrIdEEEENS9_16discard_iteratorINS9_11use_defaultEEEdNS9_4plusIvEEdEEDaPvRmT3_T4_T5_mT6_P12ihipStream_tbENKUlT_T0_E_clISt17integral_constantIbLb0EESW_IbLb1EEEEDaSS_ST_EUlSS_E0_NS1_11comp_targetILNS1_3genE5ELNS1_11target_archE942ELNS1_3gpuE9ELNS1_3repE0EEENS1_30default_config_static_selectorELNS0_4arch9wavefront6targetE1EEEvT1_
		.amdhsa_group_segment_fixed_size 0
		.amdhsa_private_segment_fixed_size 0
		.amdhsa_kernarg_size 48
		.amdhsa_user_sgpr_count 6
		.amdhsa_user_sgpr_private_segment_buffer 1
		.amdhsa_user_sgpr_dispatch_ptr 0
		.amdhsa_user_sgpr_queue_ptr 0
		.amdhsa_user_sgpr_kernarg_segment_ptr 1
		.amdhsa_user_sgpr_dispatch_id 0
		.amdhsa_user_sgpr_flat_scratch_init 0
		.amdhsa_user_sgpr_kernarg_preload_length 0
		.amdhsa_user_sgpr_kernarg_preload_offset 0
		.amdhsa_user_sgpr_private_segment_size 0
		.amdhsa_uses_dynamic_stack 0
		.amdhsa_system_sgpr_private_segment_wavefront_offset 0
		.amdhsa_system_sgpr_workgroup_id_x 1
		.amdhsa_system_sgpr_workgroup_id_y 0
		.amdhsa_system_sgpr_workgroup_id_z 0
		.amdhsa_system_sgpr_workgroup_info 0
		.amdhsa_system_vgpr_workitem_id 0
		.amdhsa_next_free_vgpr 1
		.amdhsa_next_free_sgpr 0
		.amdhsa_accum_offset 4
		.amdhsa_reserve_vcc 0
		.amdhsa_reserve_flat_scratch 0
		.amdhsa_float_round_mode_32 0
		.amdhsa_float_round_mode_16_64 0
		.amdhsa_float_denorm_mode_32 3
		.amdhsa_float_denorm_mode_16_64 3
		.amdhsa_dx10_clamp 1
		.amdhsa_ieee_mode 1
		.amdhsa_fp16_overflow 0
		.amdhsa_tg_split 0
		.amdhsa_exception_fp_ieee_invalid_op 0
		.amdhsa_exception_fp_denorm_src 0
		.amdhsa_exception_fp_ieee_div_zero 0
		.amdhsa_exception_fp_ieee_overflow 0
		.amdhsa_exception_fp_ieee_underflow 0
		.amdhsa_exception_fp_ieee_inexact 0
		.amdhsa_exception_int_div_zero 0
	.end_amdhsa_kernel
	.section	.text._ZN7rocprim17ROCPRIM_400000_NS6detail17trampoline_kernelINS0_14default_configENS1_20scan_config_selectorIdEEZZNS1_9scan_implILNS1_25lookback_scan_determinismE0ELb0ELb0ES3_N6thrust23THRUST_200600_302600_NS6detail15normal_iteratorINS9_10device_ptrIdEEEENS9_16discard_iteratorINS9_11use_defaultEEEdNS9_4plusIvEEdEEDaPvRmT3_T4_T5_mT6_P12ihipStream_tbENKUlT_T0_E_clISt17integral_constantIbLb0EESW_IbLb1EEEEDaSS_ST_EUlSS_E0_NS1_11comp_targetILNS1_3genE5ELNS1_11target_archE942ELNS1_3gpuE9ELNS1_3repE0EEENS1_30default_config_static_selectorELNS0_4arch9wavefront6targetE1EEEvT1_,"axG",@progbits,_ZN7rocprim17ROCPRIM_400000_NS6detail17trampoline_kernelINS0_14default_configENS1_20scan_config_selectorIdEEZZNS1_9scan_implILNS1_25lookback_scan_determinismE0ELb0ELb0ES3_N6thrust23THRUST_200600_302600_NS6detail15normal_iteratorINS9_10device_ptrIdEEEENS9_16discard_iteratorINS9_11use_defaultEEEdNS9_4plusIvEEdEEDaPvRmT3_T4_T5_mT6_P12ihipStream_tbENKUlT_T0_E_clISt17integral_constantIbLb0EESW_IbLb1EEEEDaSS_ST_EUlSS_E0_NS1_11comp_targetILNS1_3genE5ELNS1_11target_archE942ELNS1_3gpuE9ELNS1_3repE0EEENS1_30default_config_static_selectorELNS0_4arch9wavefront6targetE1EEEvT1_,comdat
.Lfunc_end4926:
	.size	_ZN7rocprim17ROCPRIM_400000_NS6detail17trampoline_kernelINS0_14default_configENS1_20scan_config_selectorIdEEZZNS1_9scan_implILNS1_25lookback_scan_determinismE0ELb0ELb0ES3_N6thrust23THRUST_200600_302600_NS6detail15normal_iteratorINS9_10device_ptrIdEEEENS9_16discard_iteratorINS9_11use_defaultEEEdNS9_4plusIvEEdEEDaPvRmT3_T4_T5_mT6_P12ihipStream_tbENKUlT_T0_E_clISt17integral_constantIbLb0EESW_IbLb1EEEEDaSS_ST_EUlSS_E0_NS1_11comp_targetILNS1_3genE5ELNS1_11target_archE942ELNS1_3gpuE9ELNS1_3repE0EEENS1_30default_config_static_selectorELNS0_4arch9wavefront6targetE1EEEvT1_, .Lfunc_end4926-_ZN7rocprim17ROCPRIM_400000_NS6detail17trampoline_kernelINS0_14default_configENS1_20scan_config_selectorIdEEZZNS1_9scan_implILNS1_25lookback_scan_determinismE0ELb0ELb0ES3_N6thrust23THRUST_200600_302600_NS6detail15normal_iteratorINS9_10device_ptrIdEEEENS9_16discard_iteratorINS9_11use_defaultEEEdNS9_4plusIvEEdEEDaPvRmT3_T4_T5_mT6_P12ihipStream_tbENKUlT_T0_E_clISt17integral_constantIbLb0EESW_IbLb1EEEEDaSS_ST_EUlSS_E0_NS1_11comp_targetILNS1_3genE5ELNS1_11target_archE942ELNS1_3gpuE9ELNS1_3repE0EEENS1_30default_config_static_selectorELNS0_4arch9wavefront6targetE1EEEvT1_
                                        ; -- End function
	.section	.AMDGPU.csdata,"",@progbits
; Kernel info:
; codeLenInByte = 0
; NumSgprs: 4
; NumVgprs: 0
; NumAgprs: 0
; TotalNumVgprs: 0
; ScratchSize: 0
; MemoryBound: 0
; FloatMode: 240
; IeeeMode: 1
; LDSByteSize: 0 bytes/workgroup (compile time only)
; SGPRBlocks: 0
; VGPRBlocks: 0
; NumSGPRsForWavesPerEU: 4
; NumVGPRsForWavesPerEU: 1
; AccumOffset: 4
; Occupancy: 8
; WaveLimiterHint : 0
; COMPUTE_PGM_RSRC2:SCRATCH_EN: 0
; COMPUTE_PGM_RSRC2:USER_SGPR: 6
; COMPUTE_PGM_RSRC2:TRAP_HANDLER: 0
; COMPUTE_PGM_RSRC2:TGID_X_EN: 1
; COMPUTE_PGM_RSRC2:TGID_Y_EN: 0
; COMPUTE_PGM_RSRC2:TGID_Z_EN: 0
; COMPUTE_PGM_RSRC2:TIDIG_COMP_CNT: 0
; COMPUTE_PGM_RSRC3_GFX90A:ACCUM_OFFSET: 0
; COMPUTE_PGM_RSRC3_GFX90A:TG_SPLIT: 0
	.section	.text._ZN7rocprim17ROCPRIM_400000_NS6detail17trampoline_kernelINS0_14default_configENS1_20scan_config_selectorIdEEZZNS1_9scan_implILNS1_25lookback_scan_determinismE0ELb0ELb0ES3_N6thrust23THRUST_200600_302600_NS6detail15normal_iteratorINS9_10device_ptrIdEEEENS9_16discard_iteratorINS9_11use_defaultEEEdNS9_4plusIvEEdEEDaPvRmT3_T4_T5_mT6_P12ihipStream_tbENKUlT_T0_E_clISt17integral_constantIbLb0EESW_IbLb1EEEEDaSS_ST_EUlSS_E0_NS1_11comp_targetILNS1_3genE4ELNS1_11target_archE910ELNS1_3gpuE8ELNS1_3repE0EEENS1_30default_config_static_selectorELNS0_4arch9wavefront6targetE1EEEvT1_,"axG",@progbits,_ZN7rocprim17ROCPRIM_400000_NS6detail17trampoline_kernelINS0_14default_configENS1_20scan_config_selectorIdEEZZNS1_9scan_implILNS1_25lookback_scan_determinismE0ELb0ELb0ES3_N6thrust23THRUST_200600_302600_NS6detail15normal_iteratorINS9_10device_ptrIdEEEENS9_16discard_iteratorINS9_11use_defaultEEEdNS9_4plusIvEEdEEDaPvRmT3_T4_T5_mT6_P12ihipStream_tbENKUlT_T0_E_clISt17integral_constantIbLb0EESW_IbLb1EEEEDaSS_ST_EUlSS_E0_NS1_11comp_targetILNS1_3genE4ELNS1_11target_archE910ELNS1_3gpuE8ELNS1_3repE0EEENS1_30default_config_static_selectorELNS0_4arch9wavefront6targetE1EEEvT1_,comdat
	.protected	_ZN7rocprim17ROCPRIM_400000_NS6detail17trampoline_kernelINS0_14default_configENS1_20scan_config_selectorIdEEZZNS1_9scan_implILNS1_25lookback_scan_determinismE0ELb0ELb0ES3_N6thrust23THRUST_200600_302600_NS6detail15normal_iteratorINS9_10device_ptrIdEEEENS9_16discard_iteratorINS9_11use_defaultEEEdNS9_4plusIvEEdEEDaPvRmT3_T4_T5_mT6_P12ihipStream_tbENKUlT_T0_E_clISt17integral_constantIbLb0EESW_IbLb1EEEEDaSS_ST_EUlSS_E0_NS1_11comp_targetILNS1_3genE4ELNS1_11target_archE910ELNS1_3gpuE8ELNS1_3repE0EEENS1_30default_config_static_selectorELNS0_4arch9wavefront6targetE1EEEvT1_ ; -- Begin function _ZN7rocprim17ROCPRIM_400000_NS6detail17trampoline_kernelINS0_14default_configENS1_20scan_config_selectorIdEEZZNS1_9scan_implILNS1_25lookback_scan_determinismE0ELb0ELb0ES3_N6thrust23THRUST_200600_302600_NS6detail15normal_iteratorINS9_10device_ptrIdEEEENS9_16discard_iteratorINS9_11use_defaultEEEdNS9_4plusIvEEdEEDaPvRmT3_T4_T5_mT6_P12ihipStream_tbENKUlT_T0_E_clISt17integral_constantIbLb0EESW_IbLb1EEEEDaSS_ST_EUlSS_E0_NS1_11comp_targetILNS1_3genE4ELNS1_11target_archE910ELNS1_3gpuE8ELNS1_3repE0EEENS1_30default_config_static_selectorELNS0_4arch9wavefront6targetE1EEEvT1_
	.globl	_ZN7rocprim17ROCPRIM_400000_NS6detail17trampoline_kernelINS0_14default_configENS1_20scan_config_selectorIdEEZZNS1_9scan_implILNS1_25lookback_scan_determinismE0ELb0ELb0ES3_N6thrust23THRUST_200600_302600_NS6detail15normal_iteratorINS9_10device_ptrIdEEEENS9_16discard_iteratorINS9_11use_defaultEEEdNS9_4plusIvEEdEEDaPvRmT3_T4_T5_mT6_P12ihipStream_tbENKUlT_T0_E_clISt17integral_constantIbLb0EESW_IbLb1EEEEDaSS_ST_EUlSS_E0_NS1_11comp_targetILNS1_3genE4ELNS1_11target_archE910ELNS1_3gpuE8ELNS1_3repE0EEENS1_30default_config_static_selectorELNS0_4arch9wavefront6targetE1EEEvT1_
	.p2align	8
	.type	_ZN7rocprim17ROCPRIM_400000_NS6detail17trampoline_kernelINS0_14default_configENS1_20scan_config_selectorIdEEZZNS1_9scan_implILNS1_25lookback_scan_determinismE0ELb0ELb0ES3_N6thrust23THRUST_200600_302600_NS6detail15normal_iteratorINS9_10device_ptrIdEEEENS9_16discard_iteratorINS9_11use_defaultEEEdNS9_4plusIvEEdEEDaPvRmT3_T4_T5_mT6_P12ihipStream_tbENKUlT_T0_E_clISt17integral_constantIbLb0EESW_IbLb1EEEEDaSS_ST_EUlSS_E0_NS1_11comp_targetILNS1_3genE4ELNS1_11target_archE910ELNS1_3gpuE8ELNS1_3repE0EEENS1_30default_config_static_selectorELNS0_4arch9wavefront6targetE1EEEvT1_,@function
_ZN7rocprim17ROCPRIM_400000_NS6detail17trampoline_kernelINS0_14default_configENS1_20scan_config_selectorIdEEZZNS1_9scan_implILNS1_25lookback_scan_determinismE0ELb0ELb0ES3_N6thrust23THRUST_200600_302600_NS6detail15normal_iteratorINS9_10device_ptrIdEEEENS9_16discard_iteratorINS9_11use_defaultEEEdNS9_4plusIvEEdEEDaPvRmT3_T4_T5_mT6_P12ihipStream_tbENKUlT_T0_E_clISt17integral_constantIbLb0EESW_IbLb1EEEEDaSS_ST_EUlSS_E0_NS1_11comp_targetILNS1_3genE4ELNS1_11target_archE910ELNS1_3gpuE8ELNS1_3repE0EEENS1_30default_config_static_selectorELNS0_4arch9wavefront6targetE1EEEvT1_: ; @_ZN7rocprim17ROCPRIM_400000_NS6detail17trampoline_kernelINS0_14default_configENS1_20scan_config_selectorIdEEZZNS1_9scan_implILNS1_25lookback_scan_determinismE0ELb0ELb0ES3_N6thrust23THRUST_200600_302600_NS6detail15normal_iteratorINS9_10device_ptrIdEEEENS9_16discard_iteratorINS9_11use_defaultEEEdNS9_4plusIvEEdEEDaPvRmT3_T4_T5_mT6_P12ihipStream_tbENKUlT_T0_E_clISt17integral_constantIbLb0EESW_IbLb1EEEEDaSS_ST_EUlSS_E0_NS1_11comp_targetILNS1_3genE4ELNS1_11target_archE910ELNS1_3gpuE8ELNS1_3repE0EEENS1_30default_config_static_selectorELNS0_4arch9wavefront6targetE1EEEvT1_
; %bb.0:
	s_load_dwordx4 s[0:3], s[4:5], 0x0
	v_lshlrev_b32_e32 v1, 3, v0
	s_waitcnt lgkmcnt(0)
	s_load_dwordx2 s[4:5], s[0:1], 0x0
	v_cmp_gt_u32_e32 vcc, s2, v0
	s_waitcnt lgkmcnt(0)
	v_pk_mov_b32 v[2:3], s[4:5], s[4:5] op_sel:[0,1]
	s_and_saveexec_b64 s[6:7], vcc
	s_cbranch_execz .LBB4927_2
; %bb.1:
	global_load_dwordx2 v[2:3], v1, s[0:1]
.LBB4927_2:
	s_or_b64 exec, exec, s[6:7]
	v_or_b32_e32 v4, 0x80, v0
	v_cmp_gt_u32_e32 vcc, s2, v4
	v_pk_mov_b32 v[4:5], s[4:5], s[4:5] op_sel:[0,1]
	s_and_saveexec_b64 s[6:7], vcc
	s_cbranch_execz .LBB4927_4
; %bb.3:
	global_load_dwordx2 v[4:5], v1, s[0:1] offset:1024
.LBB4927_4:
	s_or_b64 exec, exec, s[6:7]
	v_or_b32_e32 v6, 0x100, v0
	v_cmp_gt_u32_e32 vcc, s2, v6
	v_pk_mov_b32 v[6:7], s[4:5], s[4:5] op_sel:[0,1]
	s_and_saveexec_b64 s[6:7], vcc
	s_cbranch_execz .LBB4927_6
; %bb.5:
	global_load_dwordx2 v[6:7], v1, s[0:1] offset:2048
.LBB4927_6:
	;; [unrolled: 9-line block ×3, first 2 shown]
	s_or_b64 exec, exec, s[6:7]
	v_or_b32_e32 v12, 0x200, v0
	v_cmp_gt_u32_e32 vcc, s2, v12
	v_pk_mov_b32 v[10:11], s[4:5], s[4:5] op_sel:[0,1]
	s_and_saveexec_b64 s[6:7], vcc
	s_cbranch_execz .LBB4927_10
; %bb.9:
	v_lshlrev_b32_e32 v10, 3, v12
	global_load_dwordx2 v[10:11], v10, s[0:1]
.LBB4927_10:
	s_or_b64 exec, exec, s[6:7]
	v_or_b32_e32 v14, 0x280, v0
	v_cmp_gt_u32_e32 vcc, s2, v14
	v_pk_mov_b32 v[12:13], s[4:5], s[4:5] op_sel:[0,1]
	s_and_saveexec_b64 s[6:7], vcc
	s_cbranch_execz .LBB4927_12
; %bb.11:
	v_lshlrev_b32_e32 v12, 3, v14
	global_load_dwordx2 v[12:13], v12, s[0:1]
.LBB4927_12:
	;; [unrolled: 10-line block ×6, first 2 shown]
	s_or_b64 exec, exec, s[2:3]
	s_movk_i32 s0, 0x48
	s_waitcnt vmcnt(0)
	ds_write2st64_b64 v1, v[2:3], v[4:5] offset1:2
	ds_write2st64_b64 v1, v[6:7], v[8:9] offset0:4 offset1:6
	ds_write2st64_b64 v1, v[10:11], v[12:13] offset0:8 offset1:10
	;; [unrolled: 1-line block ×4, first 2 shown]
	v_mad_u32_u24 v6, v0, s0, v1
	s_waitcnt lgkmcnt(0)
	s_barrier
	ds_read_b128 v[2:5], v6
	ds_read_b128 v[22:25], v6 offset:16
	ds_read_b128 v[18:21], v6 offset:32
	;; [unrolled: 1-line block ×4, first 2 shown]
	s_waitcnt lgkmcnt(4)
	v_add_f64 v[38:39], v[2:3], v[4:5]
	s_waitcnt lgkmcnt(3)
	v_add_f64 v[30:31], v[38:39], v[22:23]
	v_add_f64 v[32:33], v[30:31], v[24:25]
	s_waitcnt lgkmcnt(2)
	v_add_f64 v[26:27], v[32:33], v[18:19]
	;; [unrolled: 3-line block ×4, first 2 shown]
	v_mbcnt_lo_u32_b32 v40, -1, 0
	v_add_f64 v[8:9], v[6:7], v[36:37]
	v_mbcnt_hi_u32_b32 v48, -1, v40
	v_and_b32_e32 v44, 15, v48
	v_mov_b32_dpp v40, v8 row_shr:1 row_mask:0xf bank_mask:0xf
	v_mov_b32_dpp v41, v9 row_shr:1 row_mask:0xf bank_mask:0xf
	v_add_f64 v[40:41], v[8:9], v[40:41]
	v_cmp_eq_u32_e32 vcc, 0, v44
	v_cndmask_b32_e32 v40, v40, v8, vcc
	v_cndmask_b32_e32 v41, v41, v9, vcc
	v_cmp_lt_u32_e32 vcc, 1, v44
	v_mov_b32_dpp v42, v40 row_shr:2 row_mask:0xf bank_mask:0xf
	v_mov_b32_dpp v43, v41 row_shr:2 row_mask:0xf bank_mask:0xf
	v_add_f64 v[42:43], v[40:41], v[42:43]
	v_cndmask_b32_e32 v40, v40, v42, vcc
	v_cndmask_b32_e32 v41, v41, v43, vcc
	v_cmp_lt_u32_e32 vcc, 3, v44
	v_mov_b32_dpp v42, v40 row_shr:4 row_mask:0xf bank_mask:0xf
	v_mov_b32_dpp v43, v41 row_shr:4 row_mask:0xf bank_mask:0xf
	v_add_f64 v[42:43], v[40:41], v[42:43]
	;; [unrolled: 6-line block ×3, first 2 shown]
	v_cndmask_b32_e32 v42, v40, v42, vcc
	v_cndmask_b32_e32 v43, v41, v43, vcc
	v_and_b32_e32 v44, 16, v48
	v_mov_b32_dpp v40, v42 row_bcast:15 row_mask:0xf bank_mask:0xf
	v_mov_b32_dpp v41, v43 row_bcast:15 row_mask:0xf bank_mask:0xf
	v_add_f64 v[46:47], v[42:43], v[40:41]
	v_cmp_eq_u32_e64 s[0:1], 0, v44
	v_cndmask_b32_e64 v40, v47, v43, s[0:1]
	v_cndmask_b32_e64 v41, v46, v42, s[0:1]
	v_cmp_eq_u32_e32 vcc, 0, v48
	v_mov_b32_dpp v45, v40 row_bcast:31 row_mask:0xf bank_mask:0xf
	v_mov_b32_dpp v44, v41 row_bcast:31 row_mask:0xf bank_mask:0xf
	v_cmp_ne_u32_e64 s[2:3], 0, v48
	v_pk_mov_b32 v[40:41], v[8:9], v[8:9] op_sel:[0,1]
	s_barrier
	s_and_saveexec_b64 s[4:5], s[2:3]
; %bb.21:
	v_cndmask_b32_e64 v41, v47, v43, s[0:1]
	v_cndmask_b32_e64 v40, v46, v42, s[0:1]
	v_add_f64 v[42:43], v[40:41], v[44:45]
	v_cmp_lt_u32_e64 s[0:1], 31, v48
	v_cndmask_b32_e64 v41, v41, v43, s[0:1]
	v_cndmask_b32_e64 v40, v40, v42, s[0:1]
; %bb.22:
	s_or_b64 exec, exec, s[4:5]
	v_or_b32_e32 v42, 63, v0
	v_lshrrev_b32_e32 v44, 6, v0
	v_cmp_eq_u32_e64 s[0:1], v42, v0
	s_and_saveexec_b64 s[2:3], s[0:1]
	s_cbranch_execz .LBB4927_24
; %bb.23:
	v_lshlrev_b32_e32 v42, 3, v44
	ds_write_b64 v42, v[40:41]
.LBB4927_24:
	s_or_b64 exec, exec, s[2:3]
	v_cmp_gt_u32_e64 s[0:1], 2, v0
	s_waitcnt lgkmcnt(0)
	s_barrier
	s_and_saveexec_b64 s[2:3], s[0:1]
	s_cbranch_execz .LBB4927_26
; %bb.25:
	ds_read_b64 v[42:43], v1
	v_and_b32_e32 v45, 1, v48
	v_cmp_eq_u32_e64 s[0:1], 0, v45
	s_waitcnt lgkmcnt(0)
	v_mov_b32_dpp v46, v42 row_shr:1 row_mask:0xf bank_mask:0xf
	v_mov_b32_dpp v47, v43 row_shr:1 row_mask:0xf bank_mask:0xf
	v_add_f64 v[46:47], v[42:43], v[46:47]
	v_cndmask_b32_e64 v43, v47, v43, s[0:1]
	v_cndmask_b32_e64 v42, v46, v42, s[0:1]
	ds_write_b64 v1, v[42:43]
.LBB4927_26:
	s_or_b64 exec, exec, s[2:3]
	v_cmp_lt_u32_e64 s[0:1], 63, v0
	s_waitcnt lgkmcnt(0)
	s_barrier
	s_waitcnt lgkmcnt(0)
                                        ; implicit-def: $vgpr42_vgpr43
	s_and_saveexec_b64 s[2:3], s[0:1]
	s_cbranch_execz .LBB4927_28
; %bb.27:
	v_lshl_add_u32 v42, v44, 3, -8
	ds_read_b64 v[42:43], v42
	s_waitcnt lgkmcnt(0)
	v_add_f64 v[40:41], v[40:41], v[42:43]
.LBB4927_28:
	s_or_b64 exec, exec, s[2:3]
	v_add_u32_e32 v44, -1, v48
	v_and_b32_e32 v45, 64, v48
	v_cmp_lt_i32_e64 s[0:1], v44, v45
	v_cndmask_b32_e64 v44, v44, v48, s[0:1]
	v_lshlrev_b32_e32 v45, 2, v44
	ds_bpermute_b32 v44, v45, v40
	ds_bpermute_b32 v41, v45, v41
	v_mul_u32_u24_e32 v40, 0x48, v0
	v_cmp_ne_u32_e64 s[0:1], 0, v0
	s_and_saveexec_b64 s[2:3], s[0:1]
	s_cbranch_execz .LBB4927_30
; %bb.29:
	s_waitcnt lgkmcnt(0)
	v_cndmask_b32_e32 v7, v41, v43, vcc
	v_cndmask_b32_e32 v6, v44, v42, vcc
	v_add_f64 v[2:3], v[2:3], v[6:7]
	v_add_f64 v[38:39], v[4:5], v[2:3]
	;; [unrolled: 1-line block ×10, first 2 shown]
	;;#ASMSTART
	;;#ASMEND
.LBB4927_30:
	s_or_b64 exec, exec, s[2:3]
	v_add_u32_e32 v0, v1, v40
	v_mov_b32_e32 v4, v38
	v_mov_b32_e32 v5, v39
	s_waitcnt lgkmcnt(0)
	s_barrier
	ds_write_b128 v0, v[2:5]
	ds_write_b128 v0, v[30:33] offset:16
	ds_write_b128 v0, v[26:29] offset:32
	;; [unrolled: 1-line block ×4, first 2 shown]
	s_waitcnt lgkmcnt(0)
	s_barrier
	s_endpgm
	.section	.rodata,"a",@progbits
	.p2align	6, 0x0
	.amdhsa_kernel _ZN7rocprim17ROCPRIM_400000_NS6detail17trampoline_kernelINS0_14default_configENS1_20scan_config_selectorIdEEZZNS1_9scan_implILNS1_25lookback_scan_determinismE0ELb0ELb0ES3_N6thrust23THRUST_200600_302600_NS6detail15normal_iteratorINS9_10device_ptrIdEEEENS9_16discard_iteratorINS9_11use_defaultEEEdNS9_4plusIvEEdEEDaPvRmT3_T4_T5_mT6_P12ihipStream_tbENKUlT_T0_E_clISt17integral_constantIbLb0EESW_IbLb1EEEEDaSS_ST_EUlSS_E0_NS1_11comp_targetILNS1_3genE4ELNS1_11target_archE910ELNS1_3gpuE8ELNS1_3repE0EEENS1_30default_config_static_selectorELNS0_4arch9wavefront6targetE1EEEvT1_
		.amdhsa_group_segment_fixed_size 10240
		.amdhsa_private_segment_fixed_size 0
		.amdhsa_kernarg_size 48
		.amdhsa_user_sgpr_count 6
		.amdhsa_user_sgpr_private_segment_buffer 1
		.amdhsa_user_sgpr_dispatch_ptr 0
		.amdhsa_user_sgpr_queue_ptr 0
		.amdhsa_user_sgpr_kernarg_segment_ptr 1
		.amdhsa_user_sgpr_dispatch_id 0
		.amdhsa_user_sgpr_flat_scratch_init 0
		.amdhsa_user_sgpr_kernarg_preload_length 0
		.amdhsa_user_sgpr_kernarg_preload_offset 0
		.amdhsa_user_sgpr_private_segment_size 0
		.amdhsa_uses_dynamic_stack 0
		.amdhsa_system_sgpr_private_segment_wavefront_offset 0
		.amdhsa_system_sgpr_workgroup_id_x 1
		.amdhsa_system_sgpr_workgroup_id_y 0
		.amdhsa_system_sgpr_workgroup_id_z 0
		.amdhsa_system_sgpr_workgroup_info 0
		.amdhsa_system_vgpr_workitem_id 0
		.amdhsa_next_free_vgpr 49
		.amdhsa_next_free_sgpr 8
		.amdhsa_accum_offset 52
		.amdhsa_reserve_vcc 1
		.amdhsa_reserve_flat_scratch 0
		.amdhsa_float_round_mode_32 0
		.amdhsa_float_round_mode_16_64 0
		.amdhsa_float_denorm_mode_32 3
		.amdhsa_float_denorm_mode_16_64 3
		.amdhsa_dx10_clamp 1
		.amdhsa_ieee_mode 1
		.amdhsa_fp16_overflow 0
		.amdhsa_tg_split 0
		.amdhsa_exception_fp_ieee_invalid_op 0
		.amdhsa_exception_fp_denorm_src 0
		.amdhsa_exception_fp_ieee_div_zero 0
		.amdhsa_exception_fp_ieee_overflow 0
		.amdhsa_exception_fp_ieee_underflow 0
		.amdhsa_exception_fp_ieee_inexact 0
		.amdhsa_exception_int_div_zero 0
	.end_amdhsa_kernel
	.section	.text._ZN7rocprim17ROCPRIM_400000_NS6detail17trampoline_kernelINS0_14default_configENS1_20scan_config_selectorIdEEZZNS1_9scan_implILNS1_25lookback_scan_determinismE0ELb0ELb0ES3_N6thrust23THRUST_200600_302600_NS6detail15normal_iteratorINS9_10device_ptrIdEEEENS9_16discard_iteratorINS9_11use_defaultEEEdNS9_4plusIvEEdEEDaPvRmT3_T4_T5_mT6_P12ihipStream_tbENKUlT_T0_E_clISt17integral_constantIbLb0EESW_IbLb1EEEEDaSS_ST_EUlSS_E0_NS1_11comp_targetILNS1_3genE4ELNS1_11target_archE910ELNS1_3gpuE8ELNS1_3repE0EEENS1_30default_config_static_selectorELNS0_4arch9wavefront6targetE1EEEvT1_,"axG",@progbits,_ZN7rocprim17ROCPRIM_400000_NS6detail17trampoline_kernelINS0_14default_configENS1_20scan_config_selectorIdEEZZNS1_9scan_implILNS1_25lookback_scan_determinismE0ELb0ELb0ES3_N6thrust23THRUST_200600_302600_NS6detail15normal_iteratorINS9_10device_ptrIdEEEENS9_16discard_iteratorINS9_11use_defaultEEEdNS9_4plusIvEEdEEDaPvRmT3_T4_T5_mT6_P12ihipStream_tbENKUlT_T0_E_clISt17integral_constantIbLb0EESW_IbLb1EEEEDaSS_ST_EUlSS_E0_NS1_11comp_targetILNS1_3genE4ELNS1_11target_archE910ELNS1_3gpuE8ELNS1_3repE0EEENS1_30default_config_static_selectorELNS0_4arch9wavefront6targetE1EEEvT1_,comdat
.Lfunc_end4927:
	.size	_ZN7rocprim17ROCPRIM_400000_NS6detail17trampoline_kernelINS0_14default_configENS1_20scan_config_selectorIdEEZZNS1_9scan_implILNS1_25lookback_scan_determinismE0ELb0ELb0ES3_N6thrust23THRUST_200600_302600_NS6detail15normal_iteratorINS9_10device_ptrIdEEEENS9_16discard_iteratorINS9_11use_defaultEEEdNS9_4plusIvEEdEEDaPvRmT3_T4_T5_mT6_P12ihipStream_tbENKUlT_T0_E_clISt17integral_constantIbLb0EESW_IbLb1EEEEDaSS_ST_EUlSS_E0_NS1_11comp_targetILNS1_3genE4ELNS1_11target_archE910ELNS1_3gpuE8ELNS1_3repE0EEENS1_30default_config_static_selectorELNS0_4arch9wavefront6targetE1EEEvT1_, .Lfunc_end4927-_ZN7rocprim17ROCPRIM_400000_NS6detail17trampoline_kernelINS0_14default_configENS1_20scan_config_selectorIdEEZZNS1_9scan_implILNS1_25lookback_scan_determinismE0ELb0ELb0ES3_N6thrust23THRUST_200600_302600_NS6detail15normal_iteratorINS9_10device_ptrIdEEEENS9_16discard_iteratorINS9_11use_defaultEEEdNS9_4plusIvEEdEEDaPvRmT3_T4_T5_mT6_P12ihipStream_tbENKUlT_T0_E_clISt17integral_constantIbLb0EESW_IbLb1EEEEDaSS_ST_EUlSS_E0_NS1_11comp_targetILNS1_3genE4ELNS1_11target_archE910ELNS1_3gpuE8ELNS1_3repE0EEENS1_30default_config_static_selectorELNS0_4arch9wavefront6targetE1EEEvT1_
                                        ; -- End function
	.section	.AMDGPU.csdata,"",@progbits
; Kernel info:
; codeLenInByte = 1388
; NumSgprs: 12
; NumVgprs: 49
; NumAgprs: 0
; TotalNumVgprs: 49
; ScratchSize: 0
; MemoryBound: 0
; FloatMode: 240
; IeeeMode: 1
; LDSByteSize: 10240 bytes/workgroup (compile time only)
; SGPRBlocks: 1
; VGPRBlocks: 6
; NumSGPRsForWavesPerEU: 12
; NumVGPRsForWavesPerEU: 49
; AccumOffset: 52
; Occupancy: 3
; WaveLimiterHint : 0
; COMPUTE_PGM_RSRC2:SCRATCH_EN: 0
; COMPUTE_PGM_RSRC2:USER_SGPR: 6
; COMPUTE_PGM_RSRC2:TRAP_HANDLER: 0
; COMPUTE_PGM_RSRC2:TGID_X_EN: 1
; COMPUTE_PGM_RSRC2:TGID_Y_EN: 0
; COMPUTE_PGM_RSRC2:TGID_Z_EN: 0
; COMPUTE_PGM_RSRC2:TIDIG_COMP_CNT: 0
; COMPUTE_PGM_RSRC3_GFX90A:ACCUM_OFFSET: 12
; COMPUTE_PGM_RSRC3_GFX90A:TG_SPLIT: 0
	.section	.text._ZN7rocprim17ROCPRIM_400000_NS6detail17trampoline_kernelINS0_14default_configENS1_20scan_config_selectorIdEEZZNS1_9scan_implILNS1_25lookback_scan_determinismE0ELb0ELb0ES3_N6thrust23THRUST_200600_302600_NS6detail15normal_iteratorINS9_10device_ptrIdEEEENS9_16discard_iteratorINS9_11use_defaultEEEdNS9_4plusIvEEdEEDaPvRmT3_T4_T5_mT6_P12ihipStream_tbENKUlT_T0_E_clISt17integral_constantIbLb0EESW_IbLb1EEEEDaSS_ST_EUlSS_E0_NS1_11comp_targetILNS1_3genE3ELNS1_11target_archE908ELNS1_3gpuE7ELNS1_3repE0EEENS1_30default_config_static_selectorELNS0_4arch9wavefront6targetE1EEEvT1_,"axG",@progbits,_ZN7rocprim17ROCPRIM_400000_NS6detail17trampoline_kernelINS0_14default_configENS1_20scan_config_selectorIdEEZZNS1_9scan_implILNS1_25lookback_scan_determinismE0ELb0ELb0ES3_N6thrust23THRUST_200600_302600_NS6detail15normal_iteratorINS9_10device_ptrIdEEEENS9_16discard_iteratorINS9_11use_defaultEEEdNS9_4plusIvEEdEEDaPvRmT3_T4_T5_mT6_P12ihipStream_tbENKUlT_T0_E_clISt17integral_constantIbLb0EESW_IbLb1EEEEDaSS_ST_EUlSS_E0_NS1_11comp_targetILNS1_3genE3ELNS1_11target_archE908ELNS1_3gpuE7ELNS1_3repE0EEENS1_30default_config_static_selectorELNS0_4arch9wavefront6targetE1EEEvT1_,comdat
	.protected	_ZN7rocprim17ROCPRIM_400000_NS6detail17trampoline_kernelINS0_14default_configENS1_20scan_config_selectorIdEEZZNS1_9scan_implILNS1_25lookback_scan_determinismE0ELb0ELb0ES3_N6thrust23THRUST_200600_302600_NS6detail15normal_iteratorINS9_10device_ptrIdEEEENS9_16discard_iteratorINS9_11use_defaultEEEdNS9_4plusIvEEdEEDaPvRmT3_T4_T5_mT6_P12ihipStream_tbENKUlT_T0_E_clISt17integral_constantIbLb0EESW_IbLb1EEEEDaSS_ST_EUlSS_E0_NS1_11comp_targetILNS1_3genE3ELNS1_11target_archE908ELNS1_3gpuE7ELNS1_3repE0EEENS1_30default_config_static_selectorELNS0_4arch9wavefront6targetE1EEEvT1_ ; -- Begin function _ZN7rocprim17ROCPRIM_400000_NS6detail17trampoline_kernelINS0_14default_configENS1_20scan_config_selectorIdEEZZNS1_9scan_implILNS1_25lookback_scan_determinismE0ELb0ELb0ES3_N6thrust23THRUST_200600_302600_NS6detail15normal_iteratorINS9_10device_ptrIdEEEENS9_16discard_iteratorINS9_11use_defaultEEEdNS9_4plusIvEEdEEDaPvRmT3_T4_T5_mT6_P12ihipStream_tbENKUlT_T0_E_clISt17integral_constantIbLb0EESW_IbLb1EEEEDaSS_ST_EUlSS_E0_NS1_11comp_targetILNS1_3genE3ELNS1_11target_archE908ELNS1_3gpuE7ELNS1_3repE0EEENS1_30default_config_static_selectorELNS0_4arch9wavefront6targetE1EEEvT1_
	.globl	_ZN7rocprim17ROCPRIM_400000_NS6detail17trampoline_kernelINS0_14default_configENS1_20scan_config_selectorIdEEZZNS1_9scan_implILNS1_25lookback_scan_determinismE0ELb0ELb0ES3_N6thrust23THRUST_200600_302600_NS6detail15normal_iteratorINS9_10device_ptrIdEEEENS9_16discard_iteratorINS9_11use_defaultEEEdNS9_4plusIvEEdEEDaPvRmT3_T4_T5_mT6_P12ihipStream_tbENKUlT_T0_E_clISt17integral_constantIbLb0EESW_IbLb1EEEEDaSS_ST_EUlSS_E0_NS1_11comp_targetILNS1_3genE3ELNS1_11target_archE908ELNS1_3gpuE7ELNS1_3repE0EEENS1_30default_config_static_selectorELNS0_4arch9wavefront6targetE1EEEvT1_
	.p2align	8
	.type	_ZN7rocprim17ROCPRIM_400000_NS6detail17trampoline_kernelINS0_14default_configENS1_20scan_config_selectorIdEEZZNS1_9scan_implILNS1_25lookback_scan_determinismE0ELb0ELb0ES3_N6thrust23THRUST_200600_302600_NS6detail15normal_iteratorINS9_10device_ptrIdEEEENS9_16discard_iteratorINS9_11use_defaultEEEdNS9_4plusIvEEdEEDaPvRmT3_T4_T5_mT6_P12ihipStream_tbENKUlT_T0_E_clISt17integral_constantIbLb0EESW_IbLb1EEEEDaSS_ST_EUlSS_E0_NS1_11comp_targetILNS1_3genE3ELNS1_11target_archE908ELNS1_3gpuE7ELNS1_3repE0EEENS1_30default_config_static_selectorELNS0_4arch9wavefront6targetE1EEEvT1_,@function
_ZN7rocprim17ROCPRIM_400000_NS6detail17trampoline_kernelINS0_14default_configENS1_20scan_config_selectorIdEEZZNS1_9scan_implILNS1_25lookback_scan_determinismE0ELb0ELb0ES3_N6thrust23THRUST_200600_302600_NS6detail15normal_iteratorINS9_10device_ptrIdEEEENS9_16discard_iteratorINS9_11use_defaultEEEdNS9_4plusIvEEdEEDaPvRmT3_T4_T5_mT6_P12ihipStream_tbENKUlT_T0_E_clISt17integral_constantIbLb0EESW_IbLb1EEEEDaSS_ST_EUlSS_E0_NS1_11comp_targetILNS1_3genE3ELNS1_11target_archE908ELNS1_3gpuE7ELNS1_3repE0EEENS1_30default_config_static_selectorELNS0_4arch9wavefront6targetE1EEEvT1_: ; @_ZN7rocprim17ROCPRIM_400000_NS6detail17trampoline_kernelINS0_14default_configENS1_20scan_config_selectorIdEEZZNS1_9scan_implILNS1_25lookback_scan_determinismE0ELb0ELb0ES3_N6thrust23THRUST_200600_302600_NS6detail15normal_iteratorINS9_10device_ptrIdEEEENS9_16discard_iteratorINS9_11use_defaultEEEdNS9_4plusIvEEdEEDaPvRmT3_T4_T5_mT6_P12ihipStream_tbENKUlT_T0_E_clISt17integral_constantIbLb0EESW_IbLb1EEEEDaSS_ST_EUlSS_E0_NS1_11comp_targetILNS1_3genE3ELNS1_11target_archE908ELNS1_3gpuE7ELNS1_3repE0EEENS1_30default_config_static_selectorELNS0_4arch9wavefront6targetE1EEEvT1_
; %bb.0:
	.section	.rodata,"a",@progbits
	.p2align	6, 0x0
	.amdhsa_kernel _ZN7rocprim17ROCPRIM_400000_NS6detail17trampoline_kernelINS0_14default_configENS1_20scan_config_selectorIdEEZZNS1_9scan_implILNS1_25lookback_scan_determinismE0ELb0ELb0ES3_N6thrust23THRUST_200600_302600_NS6detail15normal_iteratorINS9_10device_ptrIdEEEENS9_16discard_iteratorINS9_11use_defaultEEEdNS9_4plusIvEEdEEDaPvRmT3_T4_T5_mT6_P12ihipStream_tbENKUlT_T0_E_clISt17integral_constantIbLb0EESW_IbLb1EEEEDaSS_ST_EUlSS_E0_NS1_11comp_targetILNS1_3genE3ELNS1_11target_archE908ELNS1_3gpuE7ELNS1_3repE0EEENS1_30default_config_static_selectorELNS0_4arch9wavefront6targetE1EEEvT1_
		.amdhsa_group_segment_fixed_size 0
		.amdhsa_private_segment_fixed_size 0
		.amdhsa_kernarg_size 48
		.amdhsa_user_sgpr_count 6
		.amdhsa_user_sgpr_private_segment_buffer 1
		.amdhsa_user_sgpr_dispatch_ptr 0
		.amdhsa_user_sgpr_queue_ptr 0
		.amdhsa_user_sgpr_kernarg_segment_ptr 1
		.amdhsa_user_sgpr_dispatch_id 0
		.amdhsa_user_sgpr_flat_scratch_init 0
		.amdhsa_user_sgpr_kernarg_preload_length 0
		.amdhsa_user_sgpr_kernarg_preload_offset 0
		.amdhsa_user_sgpr_private_segment_size 0
		.amdhsa_uses_dynamic_stack 0
		.amdhsa_system_sgpr_private_segment_wavefront_offset 0
		.amdhsa_system_sgpr_workgroup_id_x 1
		.amdhsa_system_sgpr_workgroup_id_y 0
		.amdhsa_system_sgpr_workgroup_id_z 0
		.amdhsa_system_sgpr_workgroup_info 0
		.amdhsa_system_vgpr_workitem_id 0
		.amdhsa_next_free_vgpr 1
		.amdhsa_next_free_sgpr 0
		.amdhsa_accum_offset 4
		.amdhsa_reserve_vcc 0
		.amdhsa_reserve_flat_scratch 0
		.amdhsa_float_round_mode_32 0
		.amdhsa_float_round_mode_16_64 0
		.amdhsa_float_denorm_mode_32 3
		.amdhsa_float_denorm_mode_16_64 3
		.amdhsa_dx10_clamp 1
		.amdhsa_ieee_mode 1
		.amdhsa_fp16_overflow 0
		.amdhsa_tg_split 0
		.amdhsa_exception_fp_ieee_invalid_op 0
		.amdhsa_exception_fp_denorm_src 0
		.amdhsa_exception_fp_ieee_div_zero 0
		.amdhsa_exception_fp_ieee_overflow 0
		.amdhsa_exception_fp_ieee_underflow 0
		.amdhsa_exception_fp_ieee_inexact 0
		.amdhsa_exception_int_div_zero 0
	.end_amdhsa_kernel
	.section	.text._ZN7rocprim17ROCPRIM_400000_NS6detail17trampoline_kernelINS0_14default_configENS1_20scan_config_selectorIdEEZZNS1_9scan_implILNS1_25lookback_scan_determinismE0ELb0ELb0ES3_N6thrust23THRUST_200600_302600_NS6detail15normal_iteratorINS9_10device_ptrIdEEEENS9_16discard_iteratorINS9_11use_defaultEEEdNS9_4plusIvEEdEEDaPvRmT3_T4_T5_mT6_P12ihipStream_tbENKUlT_T0_E_clISt17integral_constantIbLb0EESW_IbLb1EEEEDaSS_ST_EUlSS_E0_NS1_11comp_targetILNS1_3genE3ELNS1_11target_archE908ELNS1_3gpuE7ELNS1_3repE0EEENS1_30default_config_static_selectorELNS0_4arch9wavefront6targetE1EEEvT1_,"axG",@progbits,_ZN7rocprim17ROCPRIM_400000_NS6detail17trampoline_kernelINS0_14default_configENS1_20scan_config_selectorIdEEZZNS1_9scan_implILNS1_25lookback_scan_determinismE0ELb0ELb0ES3_N6thrust23THRUST_200600_302600_NS6detail15normal_iteratorINS9_10device_ptrIdEEEENS9_16discard_iteratorINS9_11use_defaultEEEdNS9_4plusIvEEdEEDaPvRmT3_T4_T5_mT6_P12ihipStream_tbENKUlT_T0_E_clISt17integral_constantIbLb0EESW_IbLb1EEEEDaSS_ST_EUlSS_E0_NS1_11comp_targetILNS1_3genE3ELNS1_11target_archE908ELNS1_3gpuE7ELNS1_3repE0EEENS1_30default_config_static_selectorELNS0_4arch9wavefront6targetE1EEEvT1_,comdat
.Lfunc_end4928:
	.size	_ZN7rocprim17ROCPRIM_400000_NS6detail17trampoline_kernelINS0_14default_configENS1_20scan_config_selectorIdEEZZNS1_9scan_implILNS1_25lookback_scan_determinismE0ELb0ELb0ES3_N6thrust23THRUST_200600_302600_NS6detail15normal_iteratorINS9_10device_ptrIdEEEENS9_16discard_iteratorINS9_11use_defaultEEEdNS9_4plusIvEEdEEDaPvRmT3_T4_T5_mT6_P12ihipStream_tbENKUlT_T0_E_clISt17integral_constantIbLb0EESW_IbLb1EEEEDaSS_ST_EUlSS_E0_NS1_11comp_targetILNS1_3genE3ELNS1_11target_archE908ELNS1_3gpuE7ELNS1_3repE0EEENS1_30default_config_static_selectorELNS0_4arch9wavefront6targetE1EEEvT1_, .Lfunc_end4928-_ZN7rocprim17ROCPRIM_400000_NS6detail17trampoline_kernelINS0_14default_configENS1_20scan_config_selectorIdEEZZNS1_9scan_implILNS1_25lookback_scan_determinismE0ELb0ELb0ES3_N6thrust23THRUST_200600_302600_NS6detail15normal_iteratorINS9_10device_ptrIdEEEENS9_16discard_iteratorINS9_11use_defaultEEEdNS9_4plusIvEEdEEDaPvRmT3_T4_T5_mT6_P12ihipStream_tbENKUlT_T0_E_clISt17integral_constantIbLb0EESW_IbLb1EEEEDaSS_ST_EUlSS_E0_NS1_11comp_targetILNS1_3genE3ELNS1_11target_archE908ELNS1_3gpuE7ELNS1_3repE0EEENS1_30default_config_static_selectorELNS0_4arch9wavefront6targetE1EEEvT1_
                                        ; -- End function
	.section	.AMDGPU.csdata,"",@progbits
; Kernel info:
; codeLenInByte = 0
; NumSgprs: 4
; NumVgprs: 0
; NumAgprs: 0
; TotalNumVgprs: 0
; ScratchSize: 0
; MemoryBound: 0
; FloatMode: 240
; IeeeMode: 1
; LDSByteSize: 0 bytes/workgroup (compile time only)
; SGPRBlocks: 0
; VGPRBlocks: 0
; NumSGPRsForWavesPerEU: 4
; NumVGPRsForWavesPerEU: 1
; AccumOffset: 4
; Occupancy: 8
; WaveLimiterHint : 0
; COMPUTE_PGM_RSRC2:SCRATCH_EN: 0
; COMPUTE_PGM_RSRC2:USER_SGPR: 6
; COMPUTE_PGM_RSRC2:TRAP_HANDLER: 0
; COMPUTE_PGM_RSRC2:TGID_X_EN: 1
; COMPUTE_PGM_RSRC2:TGID_Y_EN: 0
; COMPUTE_PGM_RSRC2:TGID_Z_EN: 0
; COMPUTE_PGM_RSRC2:TIDIG_COMP_CNT: 0
; COMPUTE_PGM_RSRC3_GFX90A:ACCUM_OFFSET: 0
; COMPUTE_PGM_RSRC3_GFX90A:TG_SPLIT: 0
	.section	.text._ZN7rocprim17ROCPRIM_400000_NS6detail17trampoline_kernelINS0_14default_configENS1_20scan_config_selectorIdEEZZNS1_9scan_implILNS1_25lookback_scan_determinismE0ELb0ELb0ES3_N6thrust23THRUST_200600_302600_NS6detail15normal_iteratorINS9_10device_ptrIdEEEENS9_16discard_iteratorINS9_11use_defaultEEEdNS9_4plusIvEEdEEDaPvRmT3_T4_T5_mT6_P12ihipStream_tbENKUlT_T0_E_clISt17integral_constantIbLb0EESW_IbLb1EEEEDaSS_ST_EUlSS_E0_NS1_11comp_targetILNS1_3genE2ELNS1_11target_archE906ELNS1_3gpuE6ELNS1_3repE0EEENS1_30default_config_static_selectorELNS0_4arch9wavefront6targetE1EEEvT1_,"axG",@progbits,_ZN7rocprim17ROCPRIM_400000_NS6detail17trampoline_kernelINS0_14default_configENS1_20scan_config_selectorIdEEZZNS1_9scan_implILNS1_25lookback_scan_determinismE0ELb0ELb0ES3_N6thrust23THRUST_200600_302600_NS6detail15normal_iteratorINS9_10device_ptrIdEEEENS9_16discard_iteratorINS9_11use_defaultEEEdNS9_4plusIvEEdEEDaPvRmT3_T4_T5_mT6_P12ihipStream_tbENKUlT_T0_E_clISt17integral_constantIbLb0EESW_IbLb1EEEEDaSS_ST_EUlSS_E0_NS1_11comp_targetILNS1_3genE2ELNS1_11target_archE906ELNS1_3gpuE6ELNS1_3repE0EEENS1_30default_config_static_selectorELNS0_4arch9wavefront6targetE1EEEvT1_,comdat
	.protected	_ZN7rocprim17ROCPRIM_400000_NS6detail17trampoline_kernelINS0_14default_configENS1_20scan_config_selectorIdEEZZNS1_9scan_implILNS1_25lookback_scan_determinismE0ELb0ELb0ES3_N6thrust23THRUST_200600_302600_NS6detail15normal_iteratorINS9_10device_ptrIdEEEENS9_16discard_iteratorINS9_11use_defaultEEEdNS9_4plusIvEEdEEDaPvRmT3_T4_T5_mT6_P12ihipStream_tbENKUlT_T0_E_clISt17integral_constantIbLb0EESW_IbLb1EEEEDaSS_ST_EUlSS_E0_NS1_11comp_targetILNS1_3genE2ELNS1_11target_archE906ELNS1_3gpuE6ELNS1_3repE0EEENS1_30default_config_static_selectorELNS0_4arch9wavefront6targetE1EEEvT1_ ; -- Begin function _ZN7rocprim17ROCPRIM_400000_NS6detail17trampoline_kernelINS0_14default_configENS1_20scan_config_selectorIdEEZZNS1_9scan_implILNS1_25lookback_scan_determinismE0ELb0ELb0ES3_N6thrust23THRUST_200600_302600_NS6detail15normal_iteratorINS9_10device_ptrIdEEEENS9_16discard_iteratorINS9_11use_defaultEEEdNS9_4plusIvEEdEEDaPvRmT3_T4_T5_mT6_P12ihipStream_tbENKUlT_T0_E_clISt17integral_constantIbLb0EESW_IbLb1EEEEDaSS_ST_EUlSS_E0_NS1_11comp_targetILNS1_3genE2ELNS1_11target_archE906ELNS1_3gpuE6ELNS1_3repE0EEENS1_30default_config_static_selectorELNS0_4arch9wavefront6targetE1EEEvT1_
	.globl	_ZN7rocprim17ROCPRIM_400000_NS6detail17trampoline_kernelINS0_14default_configENS1_20scan_config_selectorIdEEZZNS1_9scan_implILNS1_25lookback_scan_determinismE0ELb0ELb0ES3_N6thrust23THRUST_200600_302600_NS6detail15normal_iteratorINS9_10device_ptrIdEEEENS9_16discard_iteratorINS9_11use_defaultEEEdNS9_4plusIvEEdEEDaPvRmT3_T4_T5_mT6_P12ihipStream_tbENKUlT_T0_E_clISt17integral_constantIbLb0EESW_IbLb1EEEEDaSS_ST_EUlSS_E0_NS1_11comp_targetILNS1_3genE2ELNS1_11target_archE906ELNS1_3gpuE6ELNS1_3repE0EEENS1_30default_config_static_selectorELNS0_4arch9wavefront6targetE1EEEvT1_
	.p2align	8
	.type	_ZN7rocprim17ROCPRIM_400000_NS6detail17trampoline_kernelINS0_14default_configENS1_20scan_config_selectorIdEEZZNS1_9scan_implILNS1_25lookback_scan_determinismE0ELb0ELb0ES3_N6thrust23THRUST_200600_302600_NS6detail15normal_iteratorINS9_10device_ptrIdEEEENS9_16discard_iteratorINS9_11use_defaultEEEdNS9_4plusIvEEdEEDaPvRmT3_T4_T5_mT6_P12ihipStream_tbENKUlT_T0_E_clISt17integral_constantIbLb0EESW_IbLb1EEEEDaSS_ST_EUlSS_E0_NS1_11comp_targetILNS1_3genE2ELNS1_11target_archE906ELNS1_3gpuE6ELNS1_3repE0EEENS1_30default_config_static_selectorELNS0_4arch9wavefront6targetE1EEEvT1_,@function
_ZN7rocprim17ROCPRIM_400000_NS6detail17trampoline_kernelINS0_14default_configENS1_20scan_config_selectorIdEEZZNS1_9scan_implILNS1_25lookback_scan_determinismE0ELb0ELb0ES3_N6thrust23THRUST_200600_302600_NS6detail15normal_iteratorINS9_10device_ptrIdEEEENS9_16discard_iteratorINS9_11use_defaultEEEdNS9_4plusIvEEdEEDaPvRmT3_T4_T5_mT6_P12ihipStream_tbENKUlT_T0_E_clISt17integral_constantIbLb0EESW_IbLb1EEEEDaSS_ST_EUlSS_E0_NS1_11comp_targetILNS1_3genE2ELNS1_11target_archE906ELNS1_3gpuE6ELNS1_3repE0EEENS1_30default_config_static_selectorELNS0_4arch9wavefront6targetE1EEEvT1_: ; @_ZN7rocprim17ROCPRIM_400000_NS6detail17trampoline_kernelINS0_14default_configENS1_20scan_config_selectorIdEEZZNS1_9scan_implILNS1_25lookback_scan_determinismE0ELb0ELb0ES3_N6thrust23THRUST_200600_302600_NS6detail15normal_iteratorINS9_10device_ptrIdEEEENS9_16discard_iteratorINS9_11use_defaultEEEdNS9_4plusIvEEdEEDaPvRmT3_T4_T5_mT6_P12ihipStream_tbENKUlT_T0_E_clISt17integral_constantIbLb0EESW_IbLb1EEEEDaSS_ST_EUlSS_E0_NS1_11comp_targetILNS1_3genE2ELNS1_11target_archE906ELNS1_3gpuE6ELNS1_3repE0EEENS1_30default_config_static_selectorELNS0_4arch9wavefront6targetE1EEEvT1_
; %bb.0:
	.section	.rodata,"a",@progbits
	.p2align	6, 0x0
	.amdhsa_kernel _ZN7rocprim17ROCPRIM_400000_NS6detail17trampoline_kernelINS0_14default_configENS1_20scan_config_selectorIdEEZZNS1_9scan_implILNS1_25lookback_scan_determinismE0ELb0ELb0ES3_N6thrust23THRUST_200600_302600_NS6detail15normal_iteratorINS9_10device_ptrIdEEEENS9_16discard_iteratorINS9_11use_defaultEEEdNS9_4plusIvEEdEEDaPvRmT3_T4_T5_mT6_P12ihipStream_tbENKUlT_T0_E_clISt17integral_constantIbLb0EESW_IbLb1EEEEDaSS_ST_EUlSS_E0_NS1_11comp_targetILNS1_3genE2ELNS1_11target_archE906ELNS1_3gpuE6ELNS1_3repE0EEENS1_30default_config_static_selectorELNS0_4arch9wavefront6targetE1EEEvT1_
		.amdhsa_group_segment_fixed_size 0
		.amdhsa_private_segment_fixed_size 0
		.amdhsa_kernarg_size 48
		.amdhsa_user_sgpr_count 6
		.amdhsa_user_sgpr_private_segment_buffer 1
		.amdhsa_user_sgpr_dispatch_ptr 0
		.amdhsa_user_sgpr_queue_ptr 0
		.amdhsa_user_sgpr_kernarg_segment_ptr 1
		.amdhsa_user_sgpr_dispatch_id 0
		.amdhsa_user_sgpr_flat_scratch_init 0
		.amdhsa_user_sgpr_kernarg_preload_length 0
		.amdhsa_user_sgpr_kernarg_preload_offset 0
		.amdhsa_user_sgpr_private_segment_size 0
		.amdhsa_uses_dynamic_stack 0
		.amdhsa_system_sgpr_private_segment_wavefront_offset 0
		.amdhsa_system_sgpr_workgroup_id_x 1
		.amdhsa_system_sgpr_workgroup_id_y 0
		.amdhsa_system_sgpr_workgroup_id_z 0
		.amdhsa_system_sgpr_workgroup_info 0
		.amdhsa_system_vgpr_workitem_id 0
		.amdhsa_next_free_vgpr 1
		.amdhsa_next_free_sgpr 0
		.amdhsa_accum_offset 4
		.amdhsa_reserve_vcc 0
		.amdhsa_reserve_flat_scratch 0
		.amdhsa_float_round_mode_32 0
		.amdhsa_float_round_mode_16_64 0
		.amdhsa_float_denorm_mode_32 3
		.amdhsa_float_denorm_mode_16_64 3
		.amdhsa_dx10_clamp 1
		.amdhsa_ieee_mode 1
		.amdhsa_fp16_overflow 0
		.amdhsa_tg_split 0
		.amdhsa_exception_fp_ieee_invalid_op 0
		.amdhsa_exception_fp_denorm_src 0
		.amdhsa_exception_fp_ieee_div_zero 0
		.amdhsa_exception_fp_ieee_overflow 0
		.amdhsa_exception_fp_ieee_underflow 0
		.amdhsa_exception_fp_ieee_inexact 0
		.amdhsa_exception_int_div_zero 0
	.end_amdhsa_kernel
	.section	.text._ZN7rocprim17ROCPRIM_400000_NS6detail17trampoline_kernelINS0_14default_configENS1_20scan_config_selectorIdEEZZNS1_9scan_implILNS1_25lookback_scan_determinismE0ELb0ELb0ES3_N6thrust23THRUST_200600_302600_NS6detail15normal_iteratorINS9_10device_ptrIdEEEENS9_16discard_iteratorINS9_11use_defaultEEEdNS9_4plusIvEEdEEDaPvRmT3_T4_T5_mT6_P12ihipStream_tbENKUlT_T0_E_clISt17integral_constantIbLb0EESW_IbLb1EEEEDaSS_ST_EUlSS_E0_NS1_11comp_targetILNS1_3genE2ELNS1_11target_archE906ELNS1_3gpuE6ELNS1_3repE0EEENS1_30default_config_static_selectorELNS0_4arch9wavefront6targetE1EEEvT1_,"axG",@progbits,_ZN7rocprim17ROCPRIM_400000_NS6detail17trampoline_kernelINS0_14default_configENS1_20scan_config_selectorIdEEZZNS1_9scan_implILNS1_25lookback_scan_determinismE0ELb0ELb0ES3_N6thrust23THRUST_200600_302600_NS6detail15normal_iteratorINS9_10device_ptrIdEEEENS9_16discard_iteratorINS9_11use_defaultEEEdNS9_4plusIvEEdEEDaPvRmT3_T4_T5_mT6_P12ihipStream_tbENKUlT_T0_E_clISt17integral_constantIbLb0EESW_IbLb1EEEEDaSS_ST_EUlSS_E0_NS1_11comp_targetILNS1_3genE2ELNS1_11target_archE906ELNS1_3gpuE6ELNS1_3repE0EEENS1_30default_config_static_selectorELNS0_4arch9wavefront6targetE1EEEvT1_,comdat
.Lfunc_end4929:
	.size	_ZN7rocprim17ROCPRIM_400000_NS6detail17trampoline_kernelINS0_14default_configENS1_20scan_config_selectorIdEEZZNS1_9scan_implILNS1_25lookback_scan_determinismE0ELb0ELb0ES3_N6thrust23THRUST_200600_302600_NS6detail15normal_iteratorINS9_10device_ptrIdEEEENS9_16discard_iteratorINS9_11use_defaultEEEdNS9_4plusIvEEdEEDaPvRmT3_T4_T5_mT6_P12ihipStream_tbENKUlT_T0_E_clISt17integral_constantIbLb0EESW_IbLb1EEEEDaSS_ST_EUlSS_E0_NS1_11comp_targetILNS1_3genE2ELNS1_11target_archE906ELNS1_3gpuE6ELNS1_3repE0EEENS1_30default_config_static_selectorELNS0_4arch9wavefront6targetE1EEEvT1_, .Lfunc_end4929-_ZN7rocprim17ROCPRIM_400000_NS6detail17trampoline_kernelINS0_14default_configENS1_20scan_config_selectorIdEEZZNS1_9scan_implILNS1_25lookback_scan_determinismE0ELb0ELb0ES3_N6thrust23THRUST_200600_302600_NS6detail15normal_iteratorINS9_10device_ptrIdEEEENS9_16discard_iteratorINS9_11use_defaultEEEdNS9_4plusIvEEdEEDaPvRmT3_T4_T5_mT6_P12ihipStream_tbENKUlT_T0_E_clISt17integral_constantIbLb0EESW_IbLb1EEEEDaSS_ST_EUlSS_E0_NS1_11comp_targetILNS1_3genE2ELNS1_11target_archE906ELNS1_3gpuE6ELNS1_3repE0EEENS1_30default_config_static_selectorELNS0_4arch9wavefront6targetE1EEEvT1_
                                        ; -- End function
	.section	.AMDGPU.csdata,"",@progbits
; Kernel info:
; codeLenInByte = 0
; NumSgprs: 4
; NumVgprs: 0
; NumAgprs: 0
; TotalNumVgprs: 0
; ScratchSize: 0
; MemoryBound: 0
; FloatMode: 240
; IeeeMode: 1
; LDSByteSize: 0 bytes/workgroup (compile time only)
; SGPRBlocks: 0
; VGPRBlocks: 0
; NumSGPRsForWavesPerEU: 4
; NumVGPRsForWavesPerEU: 1
; AccumOffset: 4
; Occupancy: 8
; WaveLimiterHint : 0
; COMPUTE_PGM_RSRC2:SCRATCH_EN: 0
; COMPUTE_PGM_RSRC2:USER_SGPR: 6
; COMPUTE_PGM_RSRC2:TRAP_HANDLER: 0
; COMPUTE_PGM_RSRC2:TGID_X_EN: 1
; COMPUTE_PGM_RSRC2:TGID_Y_EN: 0
; COMPUTE_PGM_RSRC2:TGID_Z_EN: 0
; COMPUTE_PGM_RSRC2:TIDIG_COMP_CNT: 0
; COMPUTE_PGM_RSRC3_GFX90A:ACCUM_OFFSET: 0
; COMPUTE_PGM_RSRC3_GFX90A:TG_SPLIT: 0
	.section	.text._ZN7rocprim17ROCPRIM_400000_NS6detail17trampoline_kernelINS0_14default_configENS1_20scan_config_selectorIdEEZZNS1_9scan_implILNS1_25lookback_scan_determinismE0ELb0ELb0ES3_N6thrust23THRUST_200600_302600_NS6detail15normal_iteratorINS9_10device_ptrIdEEEENS9_16discard_iteratorINS9_11use_defaultEEEdNS9_4plusIvEEdEEDaPvRmT3_T4_T5_mT6_P12ihipStream_tbENKUlT_T0_E_clISt17integral_constantIbLb0EESW_IbLb1EEEEDaSS_ST_EUlSS_E0_NS1_11comp_targetILNS1_3genE10ELNS1_11target_archE1201ELNS1_3gpuE5ELNS1_3repE0EEENS1_30default_config_static_selectorELNS0_4arch9wavefront6targetE1EEEvT1_,"axG",@progbits,_ZN7rocprim17ROCPRIM_400000_NS6detail17trampoline_kernelINS0_14default_configENS1_20scan_config_selectorIdEEZZNS1_9scan_implILNS1_25lookback_scan_determinismE0ELb0ELb0ES3_N6thrust23THRUST_200600_302600_NS6detail15normal_iteratorINS9_10device_ptrIdEEEENS9_16discard_iteratorINS9_11use_defaultEEEdNS9_4plusIvEEdEEDaPvRmT3_T4_T5_mT6_P12ihipStream_tbENKUlT_T0_E_clISt17integral_constantIbLb0EESW_IbLb1EEEEDaSS_ST_EUlSS_E0_NS1_11comp_targetILNS1_3genE10ELNS1_11target_archE1201ELNS1_3gpuE5ELNS1_3repE0EEENS1_30default_config_static_selectorELNS0_4arch9wavefront6targetE1EEEvT1_,comdat
	.protected	_ZN7rocprim17ROCPRIM_400000_NS6detail17trampoline_kernelINS0_14default_configENS1_20scan_config_selectorIdEEZZNS1_9scan_implILNS1_25lookback_scan_determinismE0ELb0ELb0ES3_N6thrust23THRUST_200600_302600_NS6detail15normal_iteratorINS9_10device_ptrIdEEEENS9_16discard_iteratorINS9_11use_defaultEEEdNS9_4plusIvEEdEEDaPvRmT3_T4_T5_mT6_P12ihipStream_tbENKUlT_T0_E_clISt17integral_constantIbLb0EESW_IbLb1EEEEDaSS_ST_EUlSS_E0_NS1_11comp_targetILNS1_3genE10ELNS1_11target_archE1201ELNS1_3gpuE5ELNS1_3repE0EEENS1_30default_config_static_selectorELNS0_4arch9wavefront6targetE1EEEvT1_ ; -- Begin function _ZN7rocprim17ROCPRIM_400000_NS6detail17trampoline_kernelINS0_14default_configENS1_20scan_config_selectorIdEEZZNS1_9scan_implILNS1_25lookback_scan_determinismE0ELb0ELb0ES3_N6thrust23THRUST_200600_302600_NS6detail15normal_iteratorINS9_10device_ptrIdEEEENS9_16discard_iteratorINS9_11use_defaultEEEdNS9_4plusIvEEdEEDaPvRmT3_T4_T5_mT6_P12ihipStream_tbENKUlT_T0_E_clISt17integral_constantIbLb0EESW_IbLb1EEEEDaSS_ST_EUlSS_E0_NS1_11comp_targetILNS1_3genE10ELNS1_11target_archE1201ELNS1_3gpuE5ELNS1_3repE0EEENS1_30default_config_static_selectorELNS0_4arch9wavefront6targetE1EEEvT1_
	.globl	_ZN7rocprim17ROCPRIM_400000_NS6detail17trampoline_kernelINS0_14default_configENS1_20scan_config_selectorIdEEZZNS1_9scan_implILNS1_25lookback_scan_determinismE0ELb0ELb0ES3_N6thrust23THRUST_200600_302600_NS6detail15normal_iteratorINS9_10device_ptrIdEEEENS9_16discard_iteratorINS9_11use_defaultEEEdNS9_4plusIvEEdEEDaPvRmT3_T4_T5_mT6_P12ihipStream_tbENKUlT_T0_E_clISt17integral_constantIbLb0EESW_IbLb1EEEEDaSS_ST_EUlSS_E0_NS1_11comp_targetILNS1_3genE10ELNS1_11target_archE1201ELNS1_3gpuE5ELNS1_3repE0EEENS1_30default_config_static_selectorELNS0_4arch9wavefront6targetE1EEEvT1_
	.p2align	8
	.type	_ZN7rocprim17ROCPRIM_400000_NS6detail17trampoline_kernelINS0_14default_configENS1_20scan_config_selectorIdEEZZNS1_9scan_implILNS1_25lookback_scan_determinismE0ELb0ELb0ES3_N6thrust23THRUST_200600_302600_NS6detail15normal_iteratorINS9_10device_ptrIdEEEENS9_16discard_iteratorINS9_11use_defaultEEEdNS9_4plusIvEEdEEDaPvRmT3_T4_T5_mT6_P12ihipStream_tbENKUlT_T0_E_clISt17integral_constantIbLb0EESW_IbLb1EEEEDaSS_ST_EUlSS_E0_NS1_11comp_targetILNS1_3genE10ELNS1_11target_archE1201ELNS1_3gpuE5ELNS1_3repE0EEENS1_30default_config_static_selectorELNS0_4arch9wavefront6targetE1EEEvT1_,@function
_ZN7rocprim17ROCPRIM_400000_NS6detail17trampoline_kernelINS0_14default_configENS1_20scan_config_selectorIdEEZZNS1_9scan_implILNS1_25lookback_scan_determinismE0ELb0ELb0ES3_N6thrust23THRUST_200600_302600_NS6detail15normal_iteratorINS9_10device_ptrIdEEEENS9_16discard_iteratorINS9_11use_defaultEEEdNS9_4plusIvEEdEEDaPvRmT3_T4_T5_mT6_P12ihipStream_tbENKUlT_T0_E_clISt17integral_constantIbLb0EESW_IbLb1EEEEDaSS_ST_EUlSS_E0_NS1_11comp_targetILNS1_3genE10ELNS1_11target_archE1201ELNS1_3gpuE5ELNS1_3repE0EEENS1_30default_config_static_selectorELNS0_4arch9wavefront6targetE1EEEvT1_: ; @_ZN7rocprim17ROCPRIM_400000_NS6detail17trampoline_kernelINS0_14default_configENS1_20scan_config_selectorIdEEZZNS1_9scan_implILNS1_25lookback_scan_determinismE0ELb0ELb0ES3_N6thrust23THRUST_200600_302600_NS6detail15normal_iteratorINS9_10device_ptrIdEEEENS9_16discard_iteratorINS9_11use_defaultEEEdNS9_4plusIvEEdEEDaPvRmT3_T4_T5_mT6_P12ihipStream_tbENKUlT_T0_E_clISt17integral_constantIbLb0EESW_IbLb1EEEEDaSS_ST_EUlSS_E0_NS1_11comp_targetILNS1_3genE10ELNS1_11target_archE1201ELNS1_3gpuE5ELNS1_3repE0EEENS1_30default_config_static_selectorELNS0_4arch9wavefront6targetE1EEEvT1_
; %bb.0:
	.section	.rodata,"a",@progbits
	.p2align	6, 0x0
	.amdhsa_kernel _ZN7rocprim17ROCPRIM_400000_NS6detail17trampoline_kernelINS0_14default_configENS1_20scan_config_selectorIdEEZZNS1_9scan_implILNS1_25lookback_scan_determinismE0ELb0ELb0ES3_N6thrust23THRUST_200600_302600_NS6detail15normal_iteratorINS9_10device_ptrIdEEEENS9_16discard_iteratorINS9_11use_defaultEEEdNS9_4plusIvEEdEEDaPvRmT3_T4_T5_mT6_P12ihipStream_tbENKUlT_T0_E_clISt17integral_constantIbLb0EESW_IbLb1EEEEDaSS_ST_EUlSS_E0_NS1_11comp_targetILNS1_3genE10ELNS1_11target_archE1201ELNS1_3gpuE5ELNS1_3repE0EEENS1_30default_config_static_selectorELNS0_4arch9wavefront6targetE1EEEvT1_
		.amdhsa_group_segment_fixed_size 0
		.amdhsa_private_segment_fixed_size 0
		.amdhsa_kernarg_size 48
		.amdhsa_user_sgpr_count 6
		.amdhsa_user_sgpr_private_segment_buffer 1
		.amdhsa_user_sgpr_dispatch_ptr 0
		.amdhsa_user_sgpr_queue_ptr 0
		.amdhsa_user_sgpr_kernarg_segment_ptr 1
		.amdhsa_user_sgpr_dispatch_id 0
		.amdhsa_user_sgpr_flat_scratch_init 0
		.amdhsa_user_sgpr_kernarg_preload_length 0
		.amdhsa_user_sgpr_kernarg_preload_offset 0
		.amdhsa_user_sgpr_private_segment_size 0
		.amdhsa_uses_dynamic_stack 0
		.amdhsa_system_sgpr_private_segment_wavefront_offset 0
		.amdhsa_system_sgpr_workgroup_id_x 1
		.amdhsa_system_sgpr_workgroup_id_y 0
		.amdhsa_system_sgpr_workgroup_id_z 0
		.amdhsa_system_sgpr_workgroup_info 0
		.amdhsa_system_vgpr_workitem_id 0
		.amdhsa_next_free_vgpr 1
		.amdhsa_next_free_sgpr 0
		.amdhsa_accum_offset 4
		.amdhsa_reserve_vcc 0
		.amdhsa_reserve_flat_scratch 0
		.amdhsa_float_round_mode_32 0
		.amdhsa_float_round_mode_16_64 0
		.amdhsa_float_denorm_mode_32 3
		.amdhsa_float_denorm_mode_16_64 3
		.amdhsa_dx10_clamp 1
		.amdhsa_ieee_mode 1
		.amdhsa_fp16_overflow 0
		.amdhsa_tg_split 0
		.amdhsa_exception_fp_ieee_invalid_op 0
		.amdhsa_exception_fp_denorm_src 0
		.amdhsa_exception_fp_ieee_div_zero 0
		.amdhsa_exception_fp_ieee_overflow 0
		.amdhsa_exception_fp_ieee_underflow 0
		.amdhsa_exception_fp_ieee_inexact 0
		.amdhsa_exception_int_div_zero 0
	.end_amdhsa_kernel
	.section	.text._ZN7rocprim17ROCPRIM_400000_NS6detail17trampoline_kernelINS0_14default_configENS1_20scan_config_selectorIdEEZZNS1_9scan_implILNS1_25lookback_scan_determinismE0ELb0ELb0ES3_N6thrust23THRUST_200600_302600_NS6detail15normal_iteratorINS9_10device_ptrIdEEEENS9_16discard_iteratorINS9_11use_defaultEEEdNS9_4plusIvEEdEEDaPvRmT3_T4_T5_mT6_P12ihipStream_tbENKUlT_T0_E_clISt17integral_constantIbLb0EESW_IbLb1EEEEDaSS_ST_EUlSS_E0_NS1_11comp_targetILNS1_3genE10ELNS1_11target_archE1201ELNS1_3gpuE5ELNS1_3repE0EEENS1_30default_config_static_selectorELNS0_4arch9wavefront6targetE1EEEvT1_,"axG",@progbits,_ZN7rocprim17ROCPRIM_400000_NS6detail17trampoline_kernelINS0_14default_configENS1_20scan_config_selectorIdEEZZNS1_9scan_implILNS1_25lookback_scan_determinismE0ELb0ELb0ES3_N6thrust23THRUST_200600_302600_NS6detail15normal_iteratorINS9_10device_ptrIdEEEENS9_16discard_iteratorINS9_11use_defaultEEEdNS9_4plusIvEEdEEDaPvRmT3_T4_T5_mT6_P12ihipStream_tbENKUlT_T0_E_clISt17integral_constantIbLb0EESW_IbLb1EEEEDaSS_ST_EUlSS_E0_NS1_11comp_targetILNS1_3genE10ELNS1_11target_archE1201ELNS1_3gpuE5ELNS1_3repE0EEENS1_30default_config_static_selectorELNS0_4arch9wavefront6targetE1EEEvT1_,comdat
.Lfunc_end4930:
	.size	_ZN7rocprim17ROCPRIM_400000_NS6detail17trampoline_kernelINS0_14default_configENS1_20scan_config_selectorIdEEZZNS1_9scan_implILNS1_25lookback_scan_determinismE0ELb0ELb0ES3_N6thrust23THRUST_200600_302600_NS6detail15normal_iteratorINS9_10device_ptrIdEEEENS9_16discard_iteratorINS9_11use_defaultEEEdNS9_4plusIvEEdEEDaPvRmT3_T4_T5_mT6_P12ihipStream_tbENKUlT_T0_E_clISt17integral_constantIbLb0EESW_IbLb1EEEEDaSS_ST_EUlSS_E0_NS1_11comp_targetILNS1_3genE10ELNS1_11target_archE1201ELNS1_3gpuE5ELNS1_3repE0EEENS1_30default_config_static_selectorELNS0_4arch9wavefront6targetE1EEEvT1_, .Lfunc_end4930-_ZN7rocprim17ROCPRIM_400000_NS6detail17trampoline_kernelINS0_14default_configENS1_20scan_config_selectorIdEEZZNS1_9scan_implILNS1_25lookback_scan_determinismE0ELb0ELb0ES3_N6thrust23THRUST_200600_302600_NS6detail15normal_iteratorINS9_10device_ptrIdEEEENS9_16discard_iteratorINS9_11use_defaultEEEdNS9_4plusIvEEdEEDaPvRmT3_T4_T5_mT6_P12ihipStream_tbENKUlT_T0_E_clISt17integral_constantIbLb0EESW_IbLb1EEEEDaSS_ST_EUlSS_E0_NS1_11comp_targetILNS1_3genE10ELNS1_11target_archE1201ELNS1_3gpuE5ELNS1_3repE0EEENS1_30default_config_static_selectorELNS0_4arch9wavefront6targetE1EEEvT1_
                                        ; -- End function
	.section	.AMDGPU.csdata,"",@progbits
; Kernel info:
; codeLenInByte = 0
; NumSgprs: 4
; NumVgprs: 0
; NumAgprs: 0
; TotalNumVgprs: 0
; ScratchSize: 0
; MemoryBound: 0
; FloatMode: 240
; IeeeMode: 1
; LDSByteSize: 0 bytes/workgroup (compile time only)
; SGPRBlocks: 0
; VGPRBlocks: 0
; NumSGPRsForWavesPerEU: 4
; NumVGPRsForWavesPerEU: 1
; AccumOffset: 4
; Occupancy: 8
; WaveLimiterHint : 0
; COMPUTE_PGM_RSRC2:SCRATCH_EN: 0
; COMPUTE_PGM_RSRC2:USER_SGPR: 6
; COMPUTE_PGM_RSRC2:TRAP_HANDLER: 0
; COMPUTE_PGM_RSRC2:TGID_X_EN: 1
; COMPUTE_PGM_RSRC2:TGID_Y_EN: 0
; COMPUTE_PGM_RSRC2:TGID_Z_EN: 0
; COMPUTE_PGM_RSRC2:TIDIG_COMP_CNT: 0
; COMPUTE_PGM_RSRC3_GFX90A:ACCUM_OFFSET: 0
; COMPUTE_PGM_RSRC3_GFX90A:TG_SPLIT: 0
	.section	.text._ZN7rocprim17ROCPRIM_400000_NS6detail17trampoline_kernelINS0_14default_configENS1_20scan_config_selectorIdEEZZNS1_9scan_implILNS1_25lookback_scan_determinismE0ELb0ELb0ES3_N6thrust23THRUST_200600_302600_NS6detail15normal_iteratorINS9_10device_ptrIdEEEENS9_16discard_iteratorINS9_11use_defaultEEEdNS9_4plusIvEEdEEDaPvRmT3_T4_T5_mT6_P12ihipStream_tbENKUlT_T0_E_clISt17integral_constantIbLb0EESW_IbLb1EEEEDaSS_ST_EUlSS_E0_NS1_11comp_targetILNS1_3genE10ELNS1_11target_archE1200ELNS1_3gpuE4ELNS1_3repE0EEENS1_30default_config_static_selectorELNS0_4arch9wavefront6targetE1EEEvT1_,"axG",@progbits,_ZN7rocprim17ROCPRIM_400000_NS6detail17trampoline_kernelINS0_14default_configENS1_20scan_config_selectorIdEEZZNS1_9scan_implILNS1_25lookback_scan_determinismE0ELb0ELb0ES3_N6thrust23THRUST_200600_302600_NS6detail15normal_iteratorINS9_10device_ptrIdEEEENS9_16discard_iteratorINS9_11use_defaultEEEdNS9_4plusIvEEdEEDaPvRmT3_T4_T5_mT6_P12ihipStream_tbENKUlT_T0_E_clISt17integral_constantIbLb0EESW_IbLb1EEEEDaSS_ST_EUlSS_E0_NS1_11comp_targetILNS1_3genE10ELNS1_11target_archE1200ELNS1_3gpuE4ELNS1_3repE0EEENS1_30default_config_static_selectorELNS0_4arch9wavefront6targetE1EEEvT1_,comdat
	.protected	_ZN7rocprim17ROCPRIM_400000_NS6detail17trampoline_kernelINS0_14default_configENS1_20scan_config_selectorIdEEZZNS1_9scan_implILNS1_25lookback_scan_determinismE0ELb0ELb0ES3_N6thrust23THRUST_200600_302600_NS6detail15normal_iteratorINS9_10device_ptrIdEEEENS9_16discard_iteratorINS9_11use_defaultEEEdNS9_4plusIvEEdEEDaPvRmT3_T4_T5_mT6_P12ihipStream_tbENKUlT_T0_E_clISt17integral_constantIbLb0EESW_IbLb1EEEEDaSS_ST_EUlSS_E0_NS1_11comp_targetILNS1_3genE10ELNS1_11target_archE1200ELNS1_3gpuE4ELNS1_3repE0EEENS1_30default_config_static_selectorELNS0_4arch9wavefront6targetE1EEEvT1_ ; -- Begin function _ZN7rocprim17ROCPRIM_400000_NS6detail17trampoline_kernelINS0_14default_configENS1_20scan_config_selectorIdEEZZNS1_9scan_implILNS1_25lookback_scan_determinismE0ELb0ELb0ES3_N6thrust23THRUST_200600_302600_NS6detail15normal_iteratorINS9_10device_ptrIdEEEENS9_16discard_iteratorINS9_11use_defaultEEEdNS9_4plusIvEEdEEDaPvRmT3_T4_T5_mT6_P12ihipStream_tbENKUlT_T0_E_clISt17integral_constantIbLb0EESW_IbLb1EEEEDaSS_ST_EUlSS_E0_NS1_11comp_targetILNS1_3genE10ELNS1_11target_archE1200ELNS1_3gpuE4ELNS1_3repE0EEENS1_30default_config_static_selectorELNS0_4arch9wavefront6targetE1EEEvT1_
	.globl	_ZN7rocprim17ROCPRIM_400000_NS6detail17trampoline_kernelINS0_14default_configENS1_20scan_config_selectorIdEEZZNS1_9scan_implILNS1_25lookback_scan_determinismE0ELb0ELb0ES3_N6thrust23THRUST_200600_302600_NS6detail15normal_iteratorINS9_10device_ptrIdEEEENS9_16discard_iteratorINS9_11use_defaultEEEdNS9_4plusIvEEdEEDaPvRmT3_T4_T5_mT6_P12ihipStream_tbENKUlT_T0_E_clISt17integral_constantIbLb0EESW_IbLb1EEEEDaSS_ST_EUlSS_E0_NS1_11comp_targetILNS1_3genE10ELNS1_11target_archE1200ELNS1_3gpuE4ELNS1_3repE0EEENS1_30default_config_static_selectorELNS0_4arch9wavefront6targetE1EEEvT1_
	.p2align	8
	.type	_ZN7rocprim17ROCPRIM_400000_NS6detail17trampoline_kernelINS0_14default_configENS1_20scan_config_selectorIdEEZZNS1_9scan_implILNS1_25lookback_scan_determinismE0ELb0ELb0ES3_N6thrust23THRUST_200600_302600_NS6detail15normal_iteratorINS9_10device_ptrIdEEEENS9_16discard_iteratorINS9_11use_defaultEEEdNS9_4plusIvEEdEEDaPvRmT3_T4_T5_mT6_P12ihipStream_tbENKUlT_T0_E_clISt17integral_constantIbLb0EESW_IbLb1EEEEDaSS_ST_EUlSS_E0_NS1_11comp_targetILNS1_3genE10ELNS1_11target_archE1200ELNS1_3gpuE4ELNS1_3repE0EEENS1_30default_config_static_selectorELNS0_4arch9wavefront6targetE1EEEvT1_,@function
_ZN7rocprim17ROCPRIM_400000_NS6detail17trampoline_kernelINS0_14default_configENS1_20scan_config_selectorIdEEZZNS1_9scan_implILNS1_25lookback_scan_determinismE0ELb0ELb0ES3_N6thrust23THRUST_200600_302600_NS6detail15normal_iteratorINS9_10device_ptrIdEEEENS9_16discard_iteratorINS9_11use_defaultEEEdNS9_4plusIvEEdEEDaPvRmT3_T4_T5_mT6_P12ihipStream_tbENKUlT_T0_E_clISt17integral_constantIbLb0EESW_IbLb1EEEEDaSS_ST_EUlSS_E0_NS1_11comp_targetILNS1_3genE10ELNS1_11target_archE1200ELNS1_3gpuE4ELNS1_3repE0EEENS1_30default_config_static_selectorELNS0_4arch9wavefront6targetE1EEEvT1_: ; @_ZN7rocprim17ROCPRIM_400000_NS6detail17trampoline_kernelINS0_14default_configENS1_20scan_config_selectorIdEEZZNS1_9scan_implILNS1_25lookback_scan_determinismE0ELb0ELb0ES3_N6thrust23THRUST_200600_302600_NS6detail15normal_iteratorINS9_10device_ptrIdEEEENS9_16discard_iteratorINS9_11use_defaultEEEdNS9_4plusIvEEdEEDaPvRmT3_T4_T5_mT6_P12ihipStream_tbENKUlT_T0_E_clISt17integral_constantIbLb0EESW_IbLb1EEEEDaSS_ST_EUlSS_E0_NS1_11comp_targetILNS1_3genE10ELNS1_11target_archE1200ELNS1_3gpuE4ELNS1_3repE0EEENS1_30default_config_static_selectorELNS0_4arch9wavefront6targetE1EEEvT1_
; %bb.0:
	.section	.rodata,"a",@progbits
	.p2align	6, 0x0
	.amdhsa_kernel _ZN7rocprim17ROCPRIM_400000_NS6detail17trampoline_kernelINS0_14default_configENS1_20scan_config_selectorIdEEZZNS1_9scan_implILNS1_25lookback_scan_determinismE0ELb0ELb0ES3_N6thrust23THRUST_200600_302600_NS6detail15normal_iteratorINS9_10device_ptrIdEEEENS9_16discard_iteratorINS9_11use_defaultEEEdNS9_4plusIvEEdEEDaPvRmT3_T4_T5_mT6_P12ihipStream_tbENKUlT_T0_E_clISt17integral_constantIbLb0EESW_IbLb1EEEEDaSS_ST_EUlSS_E0_NS1_11comp_targetILNS1_3genE10ELNS1_11target_archE1200ELNS1_3gpuE4ELNS1_3repE0EEENS1_30default_config_static_selectorELNS0_4arch9wavefront6targetE1EEEvT1_
		.amdhsa_group_segment_fixed_size 0
		.amdhsa_private_segment_fixed_size 0
		.amdhsa_kernarg_size 48
		.amdhsa_user_sgpr_count 6
		.amdhsa_user_sgpr_private_segment_buffer 1
		.amdhsa_user_sgpr_dispatch_ptr 0
		.amdhsa_user_sgpr_queue_ptr 0
		.amdhsa_user_sgpr_kernarg_segment_ptr 1
		.amdhsa_user_sgpr_dispatch_id 0
		.amdhsa_user_sgpr_flat_scratch_init 0
		.amdhsa_user_sgpr_kernarg_preload_length 0
		.amdhsa_user_sgpr_kernarg_preload_offset 0
		.amdhsa_user_sgpr_private_segment_size 0
		.amdhsa_uses_dynamic_stack 0
		.amdhsa_system_sgpr_private_segment_wavefront_offset 0
		.amdhsa_system_sgpr_workgroup_id_x 1
		.amdhsa_system_sgpr_workgroup_id_y 0
		.amdhsa_system_sgpr_workgroup_id_z 0
		.amdhsa_system_sgpr_workgroup_info 0
		.amdhsa_system_vgpr_workitem_id 0
		.amdhsa_next_free_vgpr 1
		.amdhsa_next_free_sgpr 0
		.amdhsa_accum_offset 4
		.amdhsa_reserve_vcc 0
		.amdhsa_reserve_flat_scratch 0
		.amdhsa_float_round_mode_32 0
		.amdhsa_float_round_mode_16_64 0
		.amdhsa_float_denorm_mode_32 3
		.amdhsa_float_denorm_mode_16_64 3
		.amdhsa_dx10_clamp 1
		.amdhsa_ieee_mode 1
		.amdhsa_fp16_overflow 0
		.amdhsa_tg_split 0
		.amdhsa_exception_fp_ieee_invalid_op 0
		.amdhsa_exception_fp_denorm_src 0
		.amdhsa_exception_fp_ieee_div_zero 0
		.amdhsa_exception_fp_ieee_overflow 0
		.amdhsa_exception_fp_ieee_underflow 0
		.amdhsa_exception_fp_ieee_inexact 0
		.amdhsa_exception_int_div_zero 0
	.end_amdhsa_kernel
	.section	.text._ZN7rocprim17ROCPRIM_400000_NS6detail17trampoline_kernelINS0_14default_configENS1_20scan_config_selectorIdEEZZNS1_9scan_implILNS1_25lookback_scan_determinismE0ELb0ELb0ES3_N6thrust23THRUST_200600_302600_NS6detail15normal_iteratorINS9_10device_ptrIdEEEENS9_16discard_iteratorINS9_11use_defaultEEEdNS9_4plusIvEEdEEDaPvRmT3_T4_T5_mT6_P12ihipStream_tbENKUlT_T0_E_clISt17integral_constantIbLb0EESW_IbLb1EEEEDaSS_ST_EUlSS_E0_NS1_11comp_targetILNS1_3genE10ELNS1_11target_archE1200ELNS1_3gpuE4ELNS1_3repE0EEENS1_30default_config_static_selectorELNS0_4arch9wavefront6targetE1EEEvT1_,"axG",@progbits,_ZN7rocprim17ROCPRIM_400000_NS6detail17trampoline_kernelINS0_14default_configENS1_20scan_config_selectorIdEEZZNS1_9scan_implILNS1_25lookback_scan_determinismE0ELb0ELb0ES3_N6thrust23THRUST_200600_302600_NS6detail15normal_iteratorINS9_10device_ptrIdEEEENS9_16discard_iteratorINS9_11use_defaultEEEdNS9_4plusIvEEdEEDaPvRmT3_T4_T5_mT6_P12ihipStream_tbENKUlT_T0_E_clISt17integral_constantIbLb0EESW_IbLb1EEEEDaSS_ST_EUlSS_E0_NS1_11comp_targetILNS1_3genE10ELNS1_11target_archE1200ELNS1_3gpuE4ELNS1_3repE0EEENS1_30default_config_static_selectorELNS0_4arch9wavefront6targetE1EEEvT1_,comdat
.Lfunc_end4931:
	.size	_ZN7rocprim17ROCPRIM_400000_NS6detail17trampoline_kernelINS0_14default_configENS1_20scan_config_selectorIdEEZZNS1_9scan_implILNS1_25lookback_scan_determinismE0ELb0ELb0ES3_N6thrust23THRUST_200600_302600_NS6detail15normal_iteratorINS9_10device_ptrIdEEEENS9_16discard_iteratorINS9_11use_defaultEEEdNS9_4plusIvEEdEEDaPvRmT3_T4_T5_mT6_P12ihipStream_tbENKUlT_T0_E_clISt17integral_constantIbLb0EESW_IbLb1EEEEDaSS_ST_EUlSS_E0_NS1_11comp_targetILNS1_3genE10ELNS1_11target_archE1200ELNS1_3gpuE4ELNS1_3repE0EEENS1_30default_config_static_selectorELNS0_4arch9wavefront6targetE1EEEvT1_, .Lfunc_end4931-_ZN7rocprim17ROCPRIM_400000_NS6detail17trampoline_kernelINS0_14default_configENS1_20scan_config_selectorIdEEZZNS1_9scan_implILNS1_25lookback_scan_determinismE0ELb0ELb0ES3_N6thrust23THRUST_200600_302600_NS6detail15normal_iteratorINS9_10device_ptrIdEEEENS9_16discard_iteratorINS9_11use_defaultEEEdNS9_4plusIvEEdEEDaPvRmT3_T4_T5_mT6_P12ihipStream_tbENKUlT_T0_E_clISt17integral_constantIbLb0EESW_IbLb1EEEEDaSS_ST_EUlSS_E0_NS1_11comp_targetILNS1_3genE10ELNS1_11target_archE1200ELNS1_3gpuE4ELNS1_3repE0EEENS1_30default_config_static_selectorELNS0_4arch9wavefront6targetE1EEEvT1_
                                        ; -- End function
	.section	.AMDGPU.csdata,"",@progbits
; Kernel info:
; codeLenInByte = 0
; NumSgprs: 4
; NumVgprs: 0
; NumAgprs: 0
; TotalNumVgprs: 0
; ScratchSize: 0
; MemoryBound: 0
; FloatMode: 240
; IeeeMode: 1
; LDSByteSize: 0 bytes/workgroup (compile time only)
; SGPRBlocks: 0
; VGPRBlocks: 0
; NumSGPRsForWavesPerEU: 4
; NumVGPRsForWavesPerEU: 1
; AccumOffset: 4
; Occupancy: 8
; WaveLimiterHint : 0
; COMPUTE_PGM_RSRC2:SCRATCH_EN: 0
; COMPUTE_PGM_RSRC2:USER_SGPR: 6
; COMPUTE_PGM_RSRC2:TRAP_HANDLER: 0
; COMPUTE_PGM_RSRC2:TGID_X_EN: 1
; COMPUTE_PGM_RSRC2:TGID_Y_EN: 0
; COMPUTE_PGM_RSRC2:TGID_Z_EN: 0
; COMPUTE_PGM_RSRC2:TIDIG_COMP_CNT: 0
; COMPUTE_PGM_RSRC3_GFX90A:ACCUM_OFFSET: 0
; COMPUTE_PGM_RSRC3_GFX90A:TG_SPLIT: 0
	.section	.text._ZN7rocprim17ROCPRIM_400000_NS6detail17trampoline_kernelINS0_14default_configENS1_20scan_config_selectorIdEEZZNS1_9scan_implILNS1_25lookback_scan_determinismE0ELb0ELb0ES3_N6thrust23THRUST_200600_302600_NS6detail15normal_iteratorINS9_10device_ptrIdEEEENS9_16discard_iteratorINS9_11use_defaultEEEdNS9_4plusIvEEdEEDaPvRmT3_T4_T5_mT6_P12ihipStream_tbENKUlT_T0_E_clISt17integral_constantIbLb0EESW_IbLb1EEEEDaSS_ST_EUlSS_E0_NS1_11comp_targetILNS1_3genE9ELNS1_11target_archE1100ELNS1_3gpuE3ELNS1_3repE0EEENS1_30default_config_static_selectorELNS0_4arch9wavefront6targetE1EEEvT1_,"axG",@progbits,_ZN7rocprim17ROCPRIM_400000_NS6detail17trampoline_kernelINS0_14default_configENS1_20scan_config_selectorIdEEZZNS1_9scan_implILNS1_25lookback_scan_determinismE0ELb0ELb0ES3_N6thrust23THRUST_200600_302600_NS6detail15normal_iteratorINS9_10device_ptrIdEEEENS9_16discard_iteratorINS9_11use_defaultEEEdNS9_4plusIvEEdEEDaPvRmT3_T4_T5_mT6_P12ihipStream_tbENKUlT_T0_E_clISt17integral_constantIbLb0EESW_IbLb1EEEEDaSS_ST_EUlSS_E0_NS1_11comp_targetILNS1_3genE9ELNS1_11target_archE1100ELNS1_3gpuE3ELNS1_3repE0EEENS1_30default_config_static_selectorELNS0_4arch9wavefront6targetE1EEEvT1_,comdat
	.protected	_ZN7rocprim17ROCPRIM_400000_NS6detail17trampoline_kernelINS0_14default_configENS1_20scan_config_selectorIdEEZZNS1_9scan_implILNS1_25lookback_scan_determinismE0ELb0ELb0ES3_N6thrust23THRUST_200600_302600_NS6detail15normal_iteratorINS9_10device_ptrIdEEEENS9_16discard_iteratorINS9_11use_defaultEEEdNS9_4plusIvEEdEEDaPvRmT3_T4_T5_mT6_P12ihipStream_tbENKUlT_T0_E_clISt17integral_constantIbLb0EESW_IbLb1EEEEDaSS_ST_EUlSS_E0_NS1_11comp_targetILNS1_3genE9ELNS1_11target_archE1100ELNS1_3gpuE3ELNS1_3repE0EEENS1_30default_config_static_selectorELNS0_4arch9wavefront6targetE1EEEvT1_ ; -- Begin function _ZN7rocprim17ROCPRIM_400000_NS6detail17trampoline_kernelINS0_14default_configENS1_20scan_config_selectorIdEEZZNS1_9scan_implILNS1_25lookback_scan_determinismE0ELb0ELb0ES3_N6thrust23THRUST_200600_302600_NS6detail15normal_iteratorINS9_10device_ptrIdEEEENS9_16discard_iteratorINS9_11use_defaultEEEdNS9_4plusIvEEdEEDaPvRmT3_T4_T5_mT6_P12ihipStream_tbENKUlT_T0_E_clISt17integral_constantIbLb0EESW_IbLb1EEEEDaSS_ST_EUlSS_E0_NS1_11comp_targetILNS1_3genE9ELNS1_11target_archE1100ELNS1_3gpuE3ELNS1_3repE0EEENS1_30default_config_static_selectorELNS0_4arch9wavefront6targetE1EEEvT1_
	.globl	_ZN7rocprim17ROCPRIM_400000_NS6detail17trampoline_kernelINS0_14default_configENS1_20scan_config_selectorIdEEZZNS1_9scan_implILNS1_25lookback_scan_determinismE0ELb0ELb0ES3_N6thrust23THRUST_200600_302600_NS6detail15normal_iteratorINS9_10device_ptrIdEEEENS9_16discard_iteratorINS9_11use_defaultEEEdNS9_4plusIvEEdEEDaPvRmT3_T4_T5_mT6_P12ihipStream_tbENKUlT_T0_E_clISt17integral_constantIbLb0EESW_IbLb1EEEEDaSS_ST_EUlSS_E0_NS1_11comp_targetILNS1_3genE9ELNS1_11target_archE1100ELNS1_3gpuE3ELNS1_3repE0EEENS1_30default_config_static_selectorELNS0_4arch9wavefront6targetE1EEEvT1_
	.p2align	8
	.type	_ZN7rocprim17ROCPRIM_400000_NS6detail17trampoline_kernelINS0_14default_configENS1_20scan_config_selectorIdEEZZNS1_9scan_implILNS1_25lookback_scan_determinismE0ELb0ELb0ES3_N6thrust23THRUST_200600_302600_NS6detail15normal_iteratorINS9_10device_ptrIdEEEENS9_16discard_iteratorINS9_11use_defaultEEEdNS9_4plusIvEEdEEDaPvRmT3_T4_T5_mT6_P12ihipStream_tbENKUlT_T0_E_clISt17integral_constantIbLb0EESW_IbLb1EEEEDaSS_ST_EUlSS_E0_NS1_11comp_targetILNS1_3genE9ELNS1_11target_archE1100ELNS1_3gpuE3ELNS1_3repE0EEENS1_30default_config_static_selectorELNS0_4arch9wavefront6targetE1EEEvT1_,@function
_ZN7rocprim17ROCPRIM_400000_NS6detail17trampoline_kernelINS0_14default_configENS1_20scan_config_selectorIdEEZZNS1_9scan_implILNS1_25lookback_scan_determinismE0ELb0ELb0ES3_N6thrust23THRUST_200600_302600_NS6detail15normal_iteratorINS9_10device_ptrIdEEEENS9_16discard_iteratorINS9_11use_defaultEEEdNS9_4plusIvEEdEEDaPvRmT3_T4_T5_mT6_P12ihipStream_tbENKUlT_T0_E_clISt17integral_constantIbLb0EESW_IbLb1EEEEDaSS_ST_EUlSS_E0_NS1_11comp_targetILNS1_3genE9ELNS1_11target_archE1100ELNS1_3gpuE3ELNS1_3repE0EEENS1_30default_config_static_selectorELNS0_4arch9wavefront6targetE1EEEvT1_: ; @_ZN7rocprim17ROCPRIM_400000_NS6detail17trampoline_kernelINS0_14default_configENS1_20scan_config_selectorIdEEZZNS1_9scan_implILNS1_25lookback_scan_determinismE0ELb0ELb0ES3_N6thrust23THRUST_200600_302600_NS6detail15normal_iteratorINS9_10device_ptrIdEEEENS9_16discard_iteratorINS9_11use_defaultEEEdNS9_4plusIvEEdEEDaPvRmT3_T4_T5_mT6_P12ihipStream_tbENKUlT_T0_E_clISt17integral_constantIbLb0EESW_IbLb1EEEEDaSS_ST_EUlSS_E0_NS1_11comp_targetILNS1_3genE9ELNS1_11target_archE1100ELNS1_3gpuE3ELNS1_3repE0EEENS1_30default_config_static_selectorELNS0_4arch9wavefront6targetE1EEEvT1_
; %bb.0:
	.section	.rodata,"a",@progbits
	.p2align	6, 0x0
	.amdhsa_kernel _ZN7rocprim17ROCPRIM_400000_NS6detail17trampoline_kernelINS0_14default_configENS1_20scan_config_selectorIdEEZZNS1_9scan_implILNS1_25lookback_scan_determinismE0ELb0ELb0ES3_N6thrust23THRUST_200600_302600_NS6detail15normal_iteratorINS9_10device_ptrIdEEEENS9_16discard_iteratorINS9_11use_defaultEEEdNS9_4plusIvEEdEEDaPvRmT3_T4_T5_mT6_P12ihipStream_tbENKUlT_T0_E_clISt17integral_constantIbLb0EESW_IbLb1EEEEDaSS_ST_EUlSS_E0_NS1_11comp_targetILNS1_3genE9ELNS1_11target_archE1100ELNS1_3gpuE3ELNS1_3repE0EEENS1_30default_config_static_selectorELNS0_4arch9wavefront6targetE1EEEvT1_
		.amdhsa_group_segment_fixed_size 0
		.amdhsa_private_segment_fixed_size 0
		.amdhsa_kernarg_size 48
		.amdhsa_user_sgpr_count 6
		.amdhsa_user_sgpr_private_segment_buffer 1
		.amdhsa_user_sgpr_dispatch_ptr 0
		.amdhsa_user_sgpr_queue_ptr 0
		.amdhsa_user_sgpr_kernarg_segment_ptr 1
		.amdhsa_user_sgpr_dispatch_id 0
		.amdhsa_user_sgpr_flat_scratch_init 0
		.amdhsa_user_sgpr_kernarg_preload_length 0
		.amdhsa_user_sgpr_kernarg_preload_offset 0
		.amdhsa_user_sgpr_private_segment_size 0
		.amdhsa_uses_dynamic_stack 0
		.amdhsa_system_sgpr_private_segment_wavefront_offset 0
		.amdhsa_system_sgpr_workgroup_id_x 1
		.amdhsa_system_sgpr_workgroup_id_y 0
		.amdhsa_system_sgpr_workgroup_id_z 0
		.amdhsa_system_sgpr_workgroup_info 0
		.amdhsa_system_vgpr_workitem_id 0
		.amdhsa_next_free_vgpr 1
		.amdhsa_next_free_sgpr 0
		.amdhsa_accum_offset 4
		.amdhsa_reserve_vcc 0
		.amdhsa_reserve_flat_scratch 0
		.amdhsa_float_round_mode_32 0
		.amdhsa_float_round_mode_16_64 0
		.amdhsa_float_denorm_mode_32 3
		.amdhsa_float_denorm_mode_16_64 3
		.amdhsa_dx10_clamp 1
		.amdhsa_ieee_mode 1
		.amdhsa_fp16_overflow 0
		.amdhsa_tg_split 0
		.amdhsa_exception_fp_ieee_invalid_op 0
		.amdhsa_exception_fp_denorm_src 0
		.amdhsa_exception_fp_ieee_div_zero 0
		.amdhsa_exception_fp_ieee_overflow 0
		.amdhsa_exception_fp_ieee_underflow 0
		.amdhsa_exception_fp_ieee_inexact 0
		.amdhsa_exception_int_div_zero 0
	.end_amdhsa_kernel
	.section	.text._ZN7rocprim17ROCPRIM_400000_NS6detail17trampoline_kernelINS0_14default_configENS1_20scan_config_selectorIdEEZZNS1_9scan_implILNS1_25lookback_scan_determinismE0ELb0ELb0ES3_N6thrust23THRUST_200600_302600_NS6detail15normal_iteratorINS9_10device_ptrIdEEEENS9_16discard_iteratorINS9_11use_defaultEEEdNS9_4plusIvEEdEEDaPvRmT3_T4_T5_mT6_P12ihipStream_tbENKUlT_T0_E_clISt17integral_constantIbLb0EESW_IbLb1EEEEDaSS_ST_EUlSS_E0_NS1_11comp_targetILNS1_3genE9ELNS1_11target_archE1100ELNS1_3gpuE3ELNS1_3repE0EEENS1_30default_config_static_selectorELNS0_4arch9wavefront6targetE1EEEvT1_,"axG",@progbits,_ZN7rocprim17ROCPRIM_400000_NS6detail17trampoline_kernelINS0_14default_configENS1_20scan_config_selectorIdEEZZNS1_9scan_implILNS1_25lookback_scan_determinismE0ELb0ELb0ES3_N6thrust23THRUST_200600_302600_NS6detail15normal_iteratorINS9_10device_ptrIdEEEENS9_16discard_iteratorINS9_11use_defaultEEEdNS9_4plusIvEEdEEDaPvRmT3_T4_T5_mT6_P12ihipStream_tbENKUlT_T0_E_clISt17integral_constantIbLb0EESW_IbLb1EEEEDaSS_ST_EUlSS_E0_NS1_11comp_targetILNS1_3genE9ELNS1_11target_archE1100ELNS1_3gpuE3ELNS1_3repE0EEENS1_30default_config_static_selectorELNS0_4arch9wavefront6targetE1EEEvT1_,comdat
.Lfunc_end4932:
	.size	_ZN7rocprim17ROCPRIM_400000_NS6detail17trampoline_kernelINS0_14default_configENS1_20scan_config_selectorIdEEZZNS1_9scan_implILNS1_25lookback_scan_determinismE0ELb0ELb0ES3_N6thrust23THRUST_200600_302600_NS6detail15normal_iteratorINS9_10device_ptrIdEEEENS9_16discard_iteratorINS9_11use_defaultEEEdNS9_4plusIvEEdEEDaPvRmT3_T4_T5_mT6_P12ihipStream_tbENKUlT_T0_E_clISt17integral_constantIbLb0EESW_IbLb1EEEEDaSS_ST_EUlSS_E0_NS1_11comp_targetILNS1_3genE9ELNS1_11target_archE1100ELNS1_3gpuE3ELNS1_3repE0EEENS1_30default_config_static_selectorELNS0_4arch9wavefront6targetE1EEEvT1_, .Lfunc_end4932-_ZN7rocprim17ROCPRIM_400000_NS6detail17trampoline_kernelINS0_14default_configENS1_20scan_config_selectorIdEEZZNS1_9scan_implILNS1_25lookback_scan_determinismE0ELb0ELb0ES3_N6thrust23THRUST_200600_302600_NS6detail15normal_iteratorINS9_10device_ptrIdEEEENS9_16discard_iteratorINS9_11use_defaultEEEdNS9_4plusIvEEdEEDaPvRmT3_T4_T5_mT6_P12ihipStream_tbENKUlT_T0_E_clISt17integral_constantIbLb0EESW_IbLb1EEEEDaSS_ST_EUlSS_E0_NS1_11comp_targetILNS1_3genE9ELNS1_11target_archE1100ELNS1_3gpuE3ELNS1_3repE0EEENS1_30default_config_static_selectorELNS0_4arch9wavefront6targetE1EEEvT1_
                                        ; -- End function
	.section	.AMDGPU.csdata,"",@progbits
; Kernel info:
; codeLenInByte = 0
; NumSgprs: 4
; NumVgprs: 0
; NumAgprs: 0
; TotalNumVgprs: 0
; ScratchSize: 0
; MemoryBound: 0
; FloatMode: 240
; IeeeMode: 1
; LDSByteSize: 0 bytes/workgroup (compile time only)
; SGPRBlocks: 0
; VGPRBlocks: 0
; NumSGPRsForWavesPerEU: 4
; NumVGPRsForWavesPerEU: 1
; AccumOffset: 4
; Occupancy: 8
; WaveLimiterHint : 0
; COMPUTE_PGM_RSRC2:SCRATCH_EN: 0
; COMPUTE_PGM_RSRC2:USER_SGPR: 6
; COMPUTE_PGM_RSRC2:TRAP_HANDLER: 0
; COMPUTE_PGM_RSRC2:TGID_X_EN: 1
; COMPUTE_PGM_RSRC2:TGID_Y_EN: 0
; COMPUTE_PGM_RSRC2:TGID_Z_EN: 0
; COMPUTE_PGM_RSRC2:TIDIG_COMP_CNT: 0
; COMPUTE_PGM_RSRC3_GFX90A:ACCUM_OFFSET: 0
; COMPUTE_PGM_RSRC3_GFX90A:TG_SPLIT: 0
	.section	.text._ZN7rocprim17ROCPRIM_400000_NS6detail17trampoline_kernelINS0_14default_configENS1_20scan_config_selectorIdEEZZNS1_9scan_implILNS1_25lookback_scan_determinismE0ELb0ELb0ES3_N6thrust23THRUST_200600_302600_NS6detail15normal_iteratorINS9_10device_ptrIdEEEENS9_16discard_iteratorINS9_11use_defaultEEEdNS9_4plusIvEEdEEDaPvRmT3_T4_T5_mT6_P12ihipStream_tbENKUlT_T0_E_clISt17integral_constantIbLb0EESW_IbLb1EEEEDaSS_ST_EUlSS_E0_NS1_11comp_targetILNS1_3genE8ELNS1_11target_archE1030ELNS1_3gpuE2ELNS1_3repE0EEENS1_30default_config_static_selectorELNS0_4arch9wavefront6targetE1EEEvT1_,"axG",@progbits,_ZN7rocprim17ROCPRIM_400000_NS6detail17trampoline_kernelINS0_14default_configENS1_20scan_config_selectorIdEEZZNS1_9scan_implILNS1_25lookback_scan_determinismE0ELb0ELb0ES3_N6thrust23THRUST_200600_302600_NS6detail15normal_iteratorINS9_10device_ptrIdEEEENS9_16discard_iteratorINS9_11use_defaultEEEdNS9_4plusIvEEdEEDaPvRmT3_T4_T5_mT6_P12ihipStream_tbENKUlT_T0_E_clISt17integral_constantIbLb0EESW_IbLb1EEEEDaSS_ST_EUlSS_E0_NS1_11comp_targetILNS1_3genE8ELNS1_11target_archE1030ELNS1_3gpuE2ELNS1_3repE0EEENS1_30default_config_static_selectorELNS0_4arch9wavefront6targetE1EEEvT1_,comdat
	.protected	_ZN7rocprim17ROCPRIM_400000_NS6detail17trampoline_kernelINS0_14default_configENS1_20scan_config_selectorIdEEZZNS1_9scan_implILNS1_25lookback_scan_determinismE0ELb0ELb0ES3_N6thrust23THRUST_200600_302600_NS6detail15normal_iteratorINS9_10device_ptrIdEEEENS9_16discard_iteratorINS9_11use_defaultEEEdNS9_4plusIvEEdEEDaPvRmT3_T4_T5_mT6_P12ihipStream_tbENKUlT_T0_E_clISt17integral_constantIbLb0EESW_IbLb1EEEEDaSS_ST_EUlSS_E0_NS1_11comp_targetILNS1_3genE8ELNS1_11target_archE1030ELNS1_3gpuE2ELNS1_3repE0EEENS1_30default_config_static_selectorELNS0_4arch9wavefront6targetE1EEEvT1_ ; -- Begin function _ZN7rocprim17ROCPRIM_400000_NS6detail17trampoline_kernelINS0_14default_configENS1_20scan_config_selectorIdEEZZNS1_9scan_implILNS1_25lookback_scan_determinismE0ELb0ELb0ES3_N6thrust23THRUST_200600_302600_NS6detail15normal_iteratorINS9_10device_ptrIdEEEENS9_16discard_iteratorINS9_11use_defaultEEEdNS9_4plusIvEEdEEDaPvRmT3_T4_T5_mT6_P12ihipStream_tbENKUlT_T0_E_clISt17integral_constantIbLb0EESW_IbLb1EEEEDaSS_ST_EUlSS_E0_NS1_11comp_targetILNS1_3genE8ELNS1_11target_archE1030ELNS1_3gpuE2ELNS1_3repE0EEENS1_30default_config_static_selectorELNS0_4arch9wavefront6targetE1EEEvT1_
	.globl	_ZN7rocprim17ROCPRIM_400000_NS6detail17trampoline_kernelINS0_14default_configENS1_20scan_config_selectorIdEEZZNS1_9scan_implILNS1_25lookback_scan_determinismE0ELb0ELb0ES3_N6thrust23THRUST_200600_302600_NS6detail15normal_iteratorINS9_10device_ptrIdEEEENS9_16discard_iteratorINS9_11use_defaultEEEdNS9_4plusIvEEdEEDaPvRmT3_T4_T5_mT6_P12ihipStream_tbENKUlT_T0_E_clISt17integral_constantIbLb0EESW_IbLb1EEEEDaSS_ST_EUlSS_E0_NS1_11comp_targetILNS1_3genE8ELNS1_11target_archE1030ELNS1_3gpuE2ELNS1_3repE0EEENS1_30default_config_static_selectorELNS0_4arch9wavefront6targetE1EEEvT1_
	.p2align	8
	.type	_ZN7rocprim17ROCPRIM_400000_NS6detail17trampoline_kernelINS0_14default_configENS1_20scan_config_selectorIdEEZZNS1_9scan_implILNS1_25lookback_scan_determinismE0ELb0ELb0ES3_N6thrust23THRUST_200600_302600_NS6detail15normal_iteratorINS9_10device_ptrIdEEEENS9_16discard_iteratorINS9_11use_defaultEEEdNS9_4plusIvEEdEEDaPvRmT3_T4_T5_mT6_P12ihipStream_tbENKUlT_T0_E_clISt17integral_constantIbLb0EESW_IbLb1EEEEDaSS_ST_EUlSS_E0_NS1_11comp_targetILNS1_3genE8ELNS1_11target_archE1030ELNS1_3gpuE2ELNS1_3repE0EEENS1_30default_config_static_selectorELNS0_4arch9wavefront6targetE1EEEvT1_,@function
_ZN7rocprim17ROCPRIM_400000_NS6detail17trampoline_kernelINS0_14default_configENS1_20scan_config_selectorIdEEZZNS1_9scan_implILNS1_25lookback_scan_determinismE0ELb0ELb0ES3_N6thrust23THRUST_200600_302600_NS6detail15normal_iteratorINS9_10device_ptrIdEEEENS9_16discard_iteratorINS9_11use_defaultEEEdNS9_4plusIvEEdEEDaPvRmT3_T4_T5_mT6_P12ihipStream_tbENKUlT_T0_E_clISt17integral_constantIbLb0EESW_IbLb1EEEEDaSS_ST_EUlSS_E0_NS1_11comp_targetILNS1_3genE8ELNS1_11target_archE1030ELNS1_3gpuE2ELNS1_3repE0EEENS1_30default_config_static_selectorELNS0_4arch9wavefront6targetE1EEEvT1_: ; @_ZN7rocprim17ROCPRIM_400000_NS6detail17trampoline_kernelINS0_14default_configENS1_20scan_config_selectorIdEEZZNS1_9scan_implILNS1_25lookback_scan_determinismE0ELb0ELb0ES3_N6thrust23THRUST_200600_302600_NS6detail15normal_iteratorINS9_10device_ptrIdEEEENS9_16discard_iteratorINS9_11use_defaultEEEdNS9_4plusIvEEdEEDaPvRmT3_T4_T5_mT6_P12ihipStream_tbENKUlT_T0_E_clISt17integral_constantIbLb0EESW_IbLb1EEEEDaSS_ST_EUlSS_E0_NS1_11comp_targetILNS1_3genE8ELNS1_11target_archE1030ELNS1_3gpuE2ELNS1_3repE0EEENS1_30default_config_static_selectorELNS0_4arch9wavefront6targetE1EEEvT1_
; %bb.0:
	.section	.rodata,"a",@progbits
	.p2align	6, 0x0
	.amdhsa_kernel _ZN7rocprim17ROCPRIM_400000_NS6detail17trampoline_kernelINS0_14default_configENS1_20scan_config_selectorIdEEZZNS1_9scan_implILNS1_25lookback_scan_determinismE0ELb0ELb0ES3_N6thrust23THRUST_200600_302600_NS6detail15normal_iteratorINS9_10device_ptrIdEEEENS9_16discard_iteratorINS9_11use_defaultEEEdNS9_4plusIvEEdEEDaPvRmT3_T4_T5_mT6_P12ihipStream_tbENKUlT_T0_E_clISt17integral_constantIbLb0EESW_IbLb1EEEEDaSS_ST_EUlSS_E0_NS1_11comp_targetILNS1_3genE8ELNS1_11target_archE1030ELNS1_3gpuE2ELNS1_3repE0EEENS1_30default_config_static_selectorELNS0_4arch9wavefront6targetE1EEEvT1_
		.amdhsa_group_segment_fixed_size 0
		.amdhsa_private_segment_fixed_size 0
		.amdhsa_kernarg_size 48
		.amdhsa_user_sgpr_count 6
		.amdhsa_user_sgpr_private_segment_buffer 1
		.amdhsa_user_sgpr_dispatch_ptr 0
		.amdhsa_user_sgpr_queue_ptr 0
		.amdhsa_user_sgpr_kernarg_segment_ptr 1
		.amdhsa_user_sgpr_dispatch_id 0
		.amdhsa_user_sgpr_flat_scratch_init 0
		.amdhsa_user_sgpr_kernarg_preload_length 0
		.amdhsa_user_sgpr_kernarg_preload_offset 0
		.amdhsa_user_sgpr_private_segment_size 0
		.amdhsa_uses_dynamic_stack 0
		.amdhsa_system_sgpr_private_segment_wavefront_offset 0
		.amdhsa_system_sgpr_workgroup_id_x 1
		.amdhsa_system_sgpr_workgroup_id_y 0
		.amdhsa_system_sgpr_workgroup_id_z 0
		.amdhsa_system_sgpr_workgroup_info 0
		.amdhsa_system_vgpr_workitem_id 0
		.amdhsa_next_free_vgpr 1
		.amdhsa_next_free_sgpr 0
		.amdhsa_accum_offset 4
		.amdhsa_reserve_vcc 0
		.amdhsa_reserve_flat_scratch 0
		.amdhsa_float_round_mode_32 0
		.amdhsa_float_round_mode_16_64 0
		.amdhsa_float_denorm_mode_32 3
		.amdhsa_float_denorm_mode_16_64 3
		.amdhsa_dx10_clamp 1
		.amdhsa_ieee_mode 1
		.amdhsa_fp16_overflow 0
		.amdhsa_tg_split 0
		.amdhsa_exception_fp_ieee_invalid_op 0
		.amdhsa_exception_fp_denorm_src 0
		.amdhsa_exception_fp_ieee_div_zero 0
		.amdhsa_exception_fp_ieee_overflow 0
		.amdhsa_exception_fp_ieee_underflow 0
		.amdhsa_exception_fp_ieee_inexact 0
		.amdhsa_exception_int_div_zero 0
	.end_amdhsa_kernel
	.section	.text._ZN7rocprim17ROCPRIM_400000_NS6detail17trampoline_kernelINS0_14default_configENS1_20scan_config_selectorIdEEZZNS1_9scan_implILNS1_25lookback_scan_determinismE0ELb0ELb0ES3_N6thrust23THRUST_200600_302600_NS6detail15normal_iteratorINS9_10device_ptrIdEEEENS9_16discard_iteratorINS9_11use_defaultEEEdNS9_4plusIvEEdEEDaPvRmT3_T4_T5_mT6_P12ihipStream_tbENKUlT_T0_E_clISt17integral_constantIbLb0EESW_IbLb1EEEEDaSS_ST_EUlSS_E0_NS1_11comp_targetILNS1_3genE8ELNS1_11target_archE1030ELNS1_3gpuE2ELNS1_3repE0EEENS1_30default_config_static_selectorELNS0_4arch9wavefront6targetE1EEEvT1_,"axG",@progbits,_ZN7rocprim17ROCPRIM_400000_NS6detail17trampoline_kernelINS0_14default_configENS1_20scan_config_selectorIdEEZZNS1_9scan_implILNS1_25lookback_scan_determinismE0ELb0ELb0ES3_N6thrust23THRUST_200600_302600_NS6detail15normal_iteratorINS9_10device_ptrIdEEEENS9_16discard_iteratorINS9_11use_defaultEEEdNS9_4plusIvEEdEEDaPvRmT3_T4_T5_mT6_P12ihipStream_tbENKUlT_T0_E_clISt17integral_constantIbLb0EESW_IbLb1EEEEDaSS_ST_EUlSS_E0_NS1_11comp_targetILNS1_3genE8ELNS1_11target_archE1030ELNS1_3gpuE2ELNS1_3repE0EEENS1_30default_config_static_selectorELNS0_4arch9wavefront6targetE1EEEvT1_,comdat
.Lfunc_end4933:
	.size	_ZN7rocprim17ROCPRIM_400000_NS6detail17trampoline_kernelINS0_14default_configENS1_20scan_config_selectorIdEEZZNS1_9scan_implILNS1_25lookback_scan_determinismE0ELb0ELb0ES3_N6thrust23THRUST_200600_302600_NS6detail15normal_iteratorINS9_10device_ptrIdEEEENS9_16discard_iteratorINS9_11use_defaultEEEdNS9_4plusIvEEdEEDaPvRmT3_T4_T5_mT6_P12ihipStream_tbENKUlT_T0_E_clISt17integral_constantIbLb0EESW_IbLb1EEEEDaSS_ST_EUlSS_E0_NS1_11comp_targetILNS1_3genE8ELNS1_11target_archE1030ELNS1_3gpuE2ELNS1_3repE0EEENS1_30default_config_static_selectorELNS0_4arch9wavefront6targetE1EEEvT1_, .Lfunc_end4933-_ZN7rocprim17ROCPRIM_400000_NS6detail17trampoline_kernelINS0_14default_configENS1_20scan_config_selectorIdEEZZNS1_9scan_implILNS1_25lookback_scan_determinismE0ELb0ELb0ES3_N6thrust23THRUST_200600_302600_NS6detail15normal_iteratorINS9_10device_ptrIdEEEENS9_16discard_iteratorINS9_11use_defaultEEEdNS9_4plusIvEEdEEDaPvRmT3_T4_T5_mT6_P12ihipStream_tbENKUlT_T0_E_clISt17integral_constantIbLb0EESW_IbLb1EEEEDaSS_ST_EUlSS_E0_NS1_11comp_targetILNS1_3genE8ELNS1_11target_archE1030ELNS1_3gpuE2ELNS1_3repE0EEENS1_30default_config_static_selectorELNS0_4arch9wavefront6targetE1EEEvT1_
                                        ; -- End function
	.section	.AMDGPU.csdata,"",@progbits
; Kernel info:
; codeLenInByte = 0
; NumSgprs: 4
; NumVgprs: 0
; NumAgprs: 0
; TotalNumVgprs: 0
; ScratchSize: 0
; MemoryBound: 0
; FloatMode: 240
; IeeeMode: 1
; LDSByteSize: 0 bytes/workgroup (compile time only)
; SGPRBlocks: 0
; VGPRBlocks: 0
; NumSGPRsForWavesPerEU: 4
; NumVGPRsForWavesPerEU: 1
; AccumOffset: 4
; Occupancy: 8
; WaveLimiterHint : 0
; COMPUTE_PGM_RSRC2:SCRATCH_EN: 0
; COMPUTE_PGM_RSRC2:USER_SGPR: 6
; COMPUTE_PGM_RSRC2:TRAP_HANDLER: 0
; COMPUTE_PGM_RSRC2:TGID_X_EN: 1
; COMPUTE_PGM_RSRC2:TGID_Y_EN: 0
; COMPUTE_PGM_RSRC2:TGID_Z_EN: 0
; COMPUTE_PGM_RSRC2:TIDIG_COMP_CNT: 0
; COMPUTE_PGM_RSRC3_GFX90A:ACCUM_OFFSET: 0
; COMPUTE_PGM_RSRC3_GFX90A:TG_SPLIT: 0
	.section	.text._ZN7rocprim17ROCPRIM_400000_NS6detail17trampoline_kernelINS0_14default_configENS1_20scan_config_selectorIdEEZZNS1_9scan_implILNS1_25lookback_scan_determinismE0ELb1ELb1ES3_N6thrust23THRUST_200600_302600_NS6detail15normal_iteratorINS9_10device_ptrIdEEEENS9_16discard_iteratorINS9_11use_defaultEEEdNS9_4plusIvEEdEEDaPvRmT3_T4_T5_mT6_P12ihipStream_tbENKUlT_T0_E_clISt17integral_constantIbLb0EESX_EEDaSS_ST_EUlSS_E_NS1_11comp_targetILNS1_3genE0ELNS1_11target_archE4294967295ELNS1_3gpuE0ELNS1_3repE0EEENS1_30default_config_static_selectorELNS0_4arch9wavefront6targetE1EEEvT1_,"axG",@progbits,_ZN7rocprim17ROCPRIM_400000_NS6detail17trampoline_kernelINS0_14default_configENS1_20scan_config_selectorIdEEZZNS1_9scan_implILNS1_25lookback_scan_determinismE0ELb1ELb1ES3_N6thrust23THRUST_200600_302600_NS6detail15normal_iteratorINS9_10device_ptrIdEEEENS9_16discard_iteratorINS9_11use_defaultEEEdNS9_4plusIvEEdEEDaPvRmT3_T4_T5_mT6_P12ihipStream_tbENKUlT_T0_E_clISt17integral_constantIbLb0EESX_EEDaSS_ST_EUlSS_E_NS1_11comp_targetILNS1_3genE0ELNS1_11target_archE4294967295ELNS1_3gpuE0ELNS1_3repE0EEENS1_30default_config_static_selectorELNS0_4arch9wavefront6targetE1EEEvT1_,comdat
	.protected	_ZN7rocprim17ROCPRIM_400000_NS6detail17trampoline_kernelINS0_14default_configENS1_20scan_config_selectorIdEEZZNS1_9scan_implILNS1_25lookback_scan_determinismE0ELb1ELb1ES3_N6thrust23THRUST_200600_302600_NS6detail15normal_iteratorINS9_10device_ptrIdEEEENS9_16discard_iteratorINS9_11use_defaultEEEdNS9_4plusIvEEdEEDaPvRmT3_T4_T5_mT6_P12ihipStream_tbENKUlT_T0_E_clISt17integral_constantIbLb0EESX_EEDaSS_ST_EUlSS_E_NS1_11comp_targetILNS1_3genE0ELNS1_11target_archE4294967295ELNS1_3gpuE0ELNS1_3repE0EEENS1_30default_config_static_selectorELNS0_4arch9wavefront6targetE1EEEvT1_ ; -- Begin function _ZN7rocprim17ROCPRIM_400000_NS6detail17trampoline_kernelINS0_14default_configENS1_20scan_config_selectorIdEEZZNS1_9scan_implILNS1_25lookback_scan_determinismE0ELb1ELb1ES3_N6thrust23THRUST_200600_302600_NS6detail15normal_iteratorINS9_10device_ptrIdEEEENS9_16discard_iteratorINS9_11use_defaultEEEdNS9_4plusIvEEdEEDaPvRmT3_T4_T5_mT6_P12ihipStream_tbENKUlT_T0_E_clISt17integral_constantIbLb0EESX_EEDaSS_ST_EUlSS_E_NS1_11comp_targetILNS1_3genE0ELNS1_11target_archE4294967295ELNS1_3gpuE0ELNS1_3repE0EEENS1_30default_config_static_selectorELNS0_4arch9wavefront6targetE1EEEvT1_
	.globl	_ZN7rocprim17ROCPRIM_400000_NS6detail17trampoline_kernelINS0_14default_configENS1_20scan_config_selectorIdEEZZNS1_9scan_implILNS1_25lookback_scan_determinismE0ELb1ELb1ES3_N6thrust23THRUST_200600_302600_NS6detail15normal_iteratorINS9_10device_ptrIdEEEENS9_16discard_iteratorINS9_11use_defaultEEEdNS9_4plusIvEEdEEDaPvRmT3_T4_T5_mT6_P12ihipStream_tbENKUlT_T0_E_clISt17integral_constantIbLb0EESX_EEDaSS_ST_EUlSS_E_NS1_11comp_targetILNS1_3genE0ELNS1_11target_archE4294967295ELNS1_3gpuE0ELNS1_3repE0EEENS1_30default_config_static_selectorELNS0_4arch9wavefront6targetE1EEEvT1_
	.p2align	8
	.type	_ZN7rocprim17ROCPRIM_400000_NS6detail17trampoline_kernelINS0_14default_configENS1_20scan_config_selectorIdEEZZNS1_9scan_implILNS1_25lookback_scan_determinismE0ELb1ELb1ES3_N6thrust23THRUST_200600_302600_NS6detail15normal_iteratorINS9_10device_ptrIdEEEENS9_16discard_iteratorINS9_11use_defaultEEEdNS9_4plusIvEEdEEDaPvRmT3_T4_T5_mT6_P12ihipStream_tbENKUlT_T0_E_clISt17integral_constantIbLb0EESX_EEDaSS_ST_EUlSS_E_NS1_11comp_targetILNS1_3genE0ELNS1_11target_archE4294967295ELNS1_3gpuE0ELNS1_3repE0EEENS1_30default_config_static_selectorELNS0_4arch9wavefront6targetE1EEEvT1_,@function
_ZN7rocprim17ROCPRIM_400000_NS6detail17trampoline_kernelINS0_14default_configENS1_20scan_config_selectorIdEEZZNS1_9scan_implILNS1_25lookback_scan_determinismE0ELb1ELb1ES3_N6thrust23THRUST_200600_302600_NS6detail15normal_iteratorINS9_10device_ptrIdEEEENS9_16discard_iteratorINS9_11use_defaultEEEdNS9_4plusIvEEdEEDaPvRmT3_T4_T5_mT6_P12ihipStream_tbENKUlT_T0_E_clISt17integral_constantIbLb0EESX_EEDaSS_ST_EUlSS_E_NS1_11comp_targetILNS1_3genE0ELNS1_11target_archE4294967295ELNS1_3gpuE0ELNS1_3repE0EEENS1_30default_config_static_selectorELNS0_4arch9wavefront6targetE1EEEvT1_: ; @_ZN7rocprim17ROCPRIM_400000_NS6detail17trampoline_kernelINS0_14default_configENS1_20scan_config_selectorIdEEZZNS1_9scan_implILNS1_25lookback_scan_determinismE0ELb1ELb1ES3_N6thrust23THRUST_200600_302600_NS6detail15normal_iteratorINS9_10device_ptrIdEEEENS9_16discard_iteratorINS9_11use_defaultEEEdNS9_4plusIvEEdEEDaPvRmT3_T4_T5_mT6_P12ihipStream_tbENKUlT_T0_E_clISt17integral_constantIbLb0EESX_EEDaSS_ST_EUlSS_E_NS1_11comp_targetILNS1_3genE0ELNS1_11target_archE4294967295ELNS1_3gpuE0ELNS1_3repE0EEENS1_30default_config_static_selectorELNS0_4arch9wavefront6targetE1EEEvT1_
; %bb.0:
	.section	.rodata,"a",@progbits
	.p2align	6, 0x0
	.amdhsa_kernel _ZN7rocprim17ROCPRIM_400000_NS6detail17trampoline_kernelINS0_14default_configENS1_20scan_config_selectorIdEEZZNS1_9scan_implILNS1_25lookback_scan_determinismE0ELb1ELb1ES3_N6thrust23THRUST_200600_302600_NS6detail15normal_iteratorINS9_10device_ptrIdEEEENS9_16discard_iteratorINS9_11use_defaultEEEdNS9_4plusIvEEdEEDaPvRmT3_T4_T5_mT6_P12ihipStream_tbENKUlT_T0_E_clISt17integral_constantIbLb0EESX_EEDaSS_ST_EUlSS_E_NS1_11comp_targetILNS1_3genE0ELNS1_11target_archE4294967295ELNS1_3gpuE0ELNS1_3repE0EEENS1_30default_config_static_selectorELNS0_4arch9wavefront6targetE1EEEvT1_
		.amdhsa_group_segment_fixed_size 0
		.amdhsa_private_segment_fixed_size 0
		.amdhsa_kernarg_size 112
		.amdhsa_user_sgpr_count 6
		.amdhsa_user_sgpr_private_segment_buffer 1
		.amdhsa_user_sgpr_dispatch_ptr 0
		.amdhsa_user_sgpr_queue_ptr 0
		.amdhsa_user_sgpr_kernarg_segment_ptr 1
		.amdhsa_user_sgpr_dispatch_id 0
		.amdhsa_user_sgpr_flat_scratch_init 0
		.amdhsa_user_sgpr_kernarg_preload_length 0
		.amdhsa_user_sgpr_kernarg_preload_offset 0
		.amdhsa_user_sgpr_private_segment_size 0
		.amdhsa_uses_dynamic_stack 0
		.amdhsa_system_sgpr_private_segment_wavefront_offset 0
		.amdhsa_system_sgpr_workgroup_id_x 1
		.amdhsa_system_sgpr_workgroup_id_y 0
		.amdhsa_system_sgpr_workgroup_id_z 0
		.amdhsa_system_sgpr_workgroup_info 0
		.amdhsa_system_vgpr_workitem_id 0
		.amdhsa_next_free_vgpr 1
		.amdhsa_next_free_sgpr 0
		.amdhsa_accum_offset 4
		.amdhsa_reserve_vcc 0
		.amdhsa_reserve_flat_scratch 0
		.amdhsa_float_round_mode_32 0
		.amdhsa_float_round_mode_16_64 0
		.amdhsa_float_denorm_mode_32 3
		.amdhsa_float_denorm_mode_16_64 3
		.amdhsa_dx10_clamp 1
		.amdhsa_ieee_mode 1
		.amdhsa_fp16_overflow 0
		.amdhsa_tg_split 0
		.amdhsa_exception_fp_ieee_invalid_op 0
		.amdhsa_exception_fp_denorm_src 0
		.amdhsa_exception_fp_ieee_div_zero 0
		.amdhsa_exception_fp_ieee_overflow 0
		.amdhsa_exception_fp_ieee_underflow 0
		.amdhsa_exception_fp_ieee_inexact 0
		.amdhsa_exception_int_div_zero 0
	.end_amdhsa_kernel
	.section	.text._ZN7rocprim17ROCPRIM_400000_NS6detail17trampoline_kernelINS0_14default_configENS1_20scan_config_selectorIdEEZZNS1_9scan_implILNS1_25lookback_scan_determinismE0ELb1ELb1ES3_N6thrust23THRUST_200600_302600_NS6detail15normal_iteratorINS9_10device_ptrIdEEEENS9_16discard_iteratorINS9_11use_defaultEEEdNS9_4plusIvEEdEEDaPvRmT3_T4_T5_mT6_P12ihipStream_tbENKUlT_T0_E_clISt17integral_constantIbLb0EESX_EEDaSS_ST_EUlSS_E_NS1_11comp_targetILNS1_3genE0ELNS1_11target_archE4294967295ELNS1_3gpuE0ELNS1_3repE0EEENS1_30default_config_static_selectorELNS0_4arch9wavefront6targetE1EEEvT1_,"axG",@progbits,_ZN7rocprim17ROCPRIM_400000_NS6detail17trampoline_kernelINS0_14default_configENS1_20scan_config_selectorIdEEZZNS1_9scan_implILNS1_25lookback_scan_determinismE0ELb1ELb1ES3_N6thrust23THRUST_200600_302600_NS6detail15normal_iteratorINS9_10device_ptrIdEEEENS9_16discard_iteratorINS9_11use_defaultEEEdNS9_4plusIvEEdEEDaPvRmT3_T4_T5_mT6_P12ihipStream_tbENKUlT_T0_E_clISt17integral_constantIbLb0EESX_EEDaSS_ST_EUlSS_E_NS1_11comp_targetILNS1_3genE0ELNS1_11target_archE4294967295ELNS1_3gpuE0ELNS1_3repE0EEENS1_30default_config_static_selectorELNS0_4arch9wavefront6targetE1EEEvT1_,comdat
.Lfunc_end4934:
	.size	_ZN7rocprim17ROCPRIM_400000_NS6detail17trampoline_kernelINS0_14default_configENS1_20scan_config_selectorIdEEZZNS1_9scan_implILNS1_25lookback_scan_determinismE0ELb1ELb1ES3_N6thrust23THRUST_200600_302600_NS6detail15normal_iteratorINS9_10device_ptrIdEEEENS9_16discard_iteratorINS9_11use_defaultEEEdNS9_4plusIvEEdEEDaPvRmT3_T4_T5_mT6_P12ihipStream_tbENKUlT_T0_E_clISt17integral_constantIbLb0EESX_EEDaSS_ST_EUlSS_E_NS1_11comp_targetILNS1_3genE0ELNS1_11target_archE4294967295ELNS1_3gpuE0ELNS1_3repE0EEENS1_30default_config_static_selectorELNS0_4arch9wavefront6targetE1EEEvT1_, .Lfunc_end4934-_ZN7rocprim17ROCPRIM_400000_NS6detail17trampoline_kernelINS0_14default_configENS1_20scan_config_selectorIdEEZZNS1_9scan_implILNS1_25lookback_scan_determinismE0ELb1ELb1ES3_N6thrust23THRUST_200600_302600_NS6detail15normal_iteratorINS9_10device_ptrIdEEEENS9_16discard_iteratorINS9_11use_defaultEEEdNS9_4plusIvEEdEEDaPvRmT3_T4_T5_mT6_P12ihipStream_tbENKUlT_T0_E_clISt17integral_constantIbLb0EESX_EEDaSS_ST_EUlSS_E_NS1_11comp_targetILNS1_3genE0ELNS1_11target_archE4294967295ELNS1_3gpuE0ELNS1_3repE0EEENS1_30default_config_static_selectorELNS0_4arch9wavefront6targetE1EEEvT1_
                                        ; -- End function
	.section	.AMDGPU.csdata,"",@progbits
; Kernel info:
; codeLenInByte = 0
; NumSgprs: 4
; NumVgprs: 0
; NumAgprs: 0
; TotalNumVgprs: 0
; ScratchSize: 0
; MemoryBound: 0
; FloatMode: 240
; IeeeMode: 1
; LDSByteSize: 0 bytes/workgroup (compile time only)
; SGPRBlocks: 0
; VGPRBlocks: 0
; NumSGPRsForWavesPerEU: 4
; NumVGPRsForWavesPerEU: 1
; AccumOffset: 4
; Occupancy: 8
; WaveLimiterHint : 0
; COMPUTE_PGM_RSRC2:SCRATCH_EN: 0
; COMPUTE_PGM_RSRC2:USER_SGPR: 6
; COMPUTE_PGM_RSRC2:TRAP_HANDLER: 0
; COMPUTE_PGM_RSRC2:TGID_X_EN: 1
; COMPUTE_PGM_RSRC2:TGID_Y_EN: 0
; COMPUTE_PGM_RSRC2:TGID_Z_EN: 0
; COMPUTE_PGM_RSRC2:TIDIG_COMP_CNT: 0
; COMPUTE_PGM_RSRC3_GFX90A:ACCUM_OFFSET: 0
; COMPUTE_PGM_RSRC3_GFX90A:TG_SPLIT: 0
	.section	.text._ZN7rocprim17ROCPRIM_400000_NS6detail17trampoline_kernelINS0_14default_configENS1_20scan_config_selectorIdEEZZNS1_9scan_implILNS1_25lookback_scan_determinismE0ELb1ELb1ES3_N6thrust23THRUST_200600_302600_NS6detail15normal_iteratorINS9_10device_ptrIdEEEENS9_16discard_iteratorINS9_11use_defaultEEEdNS9_4plusIvEEdEEDaPvRmT3_T4_T5_mT6_P12ihipStream_tbENKUlT_T0_E_clISt17integral_constantIbLb0EESX_EEDaSS_ST_EUlSS_E_NS1_11comp_targetILNS1_3genE5ELNS1_11target_archE942ELNS1_3gpuE9ELNS1_3repE0EEENS1_30default_config_static_selectorELNS0_4arch9wavefront6targetE1EEEvT1_,"axG",@progbits,_ZN7rocprim17ROCPRIM_400000_NS6detail17trampoline_kernelINS0_14default_configENS1_20scan_config_selectorIdEEZZNS1_9scan_implILNS1_25lookback_scan_determinismE0ELb1ELb1ES3_N6thrust23THRUST_200600_302600_NS6detail15normal_iteratorINS9_10device_ptrIdEEEENS9_16discard_iteratorINS9_11use_defaultEEEdNS9_4plusIvEEdEEDaPvRmT3_T4_T5_mT6_P12ihipStream_tbENKUlT_T0_E_clISt17integral_constantIbLb0EESX_EEDaSS_ST_EUlSS_E_NS1_11comp_targetILNS1_3genE5ELNS1_11target_archE942ELNS1_3gpuE9ELNS1_3repE0EEENS1_30default_config_static_selectorELNS0_4arch9wavefront6targetE1EEEvT1_,comdat
	.protected	_ZN7rocprim17ROCPRIM_400000_NS6detail17trampoline_kernelINS0_14default_configENS1_20scan_config_selectorIdEEZZNS1_9scan_implILNS1_25lookback_scan_determinismE0ELb1ELb1ES3_N6thrust23THRUST_200600_302600_NS6detail15normal_iteratorINS9_10device_ptrIdEEEENS9_16discard_iteratorINS9_11use_defaultEEEdNS9_4plusIvEEdEEDaPvRmT3_T4_T5_mT6_P12ihipStream_tbENKUlT_T0_E_clISt17integral_constantIbLb0EESX_EEDaSS_ST_EUlSS_E_NS1_11comp_targetILNS1_3genE5ELNS1_11target_archE942ELNS1_3gpuE9ELNS1_3repE0EEENS1_30default_config_static_selectorELNS0_4arch9wavefront6targetE1EEEvT1_ ; -- Begin function _ZN7rocprim17ROCPRIM_400000_NS6detail17trampoline_kernelINS0_14default_configENS1_20scan_config_selectorIdEEZZNS1_9scan_implILNS1_25lookback_scan_determinismE0ELb1ELb1ES3_N6thrust23THRUST_200600_302600_NS6detail15normal_iteratorINS9_10device_ptrIdEEEENS9_16discard_iteratorINS9_11use_defaultEEEdNS9_4plusIvEEdEEDaPvRmT3_T4_T5_mT6_P12ihipStream_tbENKUlT_T0_E_clISt17integral_constantIbLb0EESX_EEDaSS_ST_EUlSS_E_NS1_11comp_targetILNS1_3genE5ELNS1_11target_archE942ELNS1_3gpuE9ELNS1_3repE0EEENS1_30default_config_static_selectorELNS0_4arch9wavefront6targetE1EEEvT1_
	.globl	_ZN7rocprim17ROCPRIM_400000_NS6detail17trampoline_kernelINS0_14default_configENS1_20scan_config_selectorIdEEZZNS1_9scan_implILNS1_25lookback_scan_determinismE0ELb1ELb1ES3_N6thrust23THRUST_200600_302600_NS6detail15normal_iteratorINS9_10device_ptrIdEEEENS9_16discard_iteratorINS9_11use_defaultEEEdNS9_4plusIvEEdEEDaPvRmT3_T4_T5_mT6_P12ihipStream_tbENKUlT_T0_E_clISt17integral_constantIbLb0EESX_EEDaSS_ST_EUlSS_E_NS1_11comp_targetILNS1_3genE5ELNS1_11target_archE942ELNS1_3gpuE9ELNS1_3repE0EEENS1_30default_config_static_selectorELNS0_4arch9wavefront6targetE1EEEvT1_
	.p2align	8
	.type	_ZN7rocprim17ROCPRIM_400000_NS6detail17trampoline_kernelINS0_14default_configENS1_20scan_config_selectorIdEEZZNS1_9scan_implILNS1_25lookback_scan_determinismE0ELb1ELb1ES3_N6thrust23THRUST_200600_302600_NS6detail15normal_iteratorINS9_10device_ptrIdEEEENS9_16discard_iteratorINS9_11use_defaultEEEdNS9_4plusIvEEdEEDaPvRmT3_T4_T5_mT6_P12ihipStream_tbENKUlT_T0_E_clISt17integral_constantIbLb0EESX_EEDaSS_ST_EUlSS_E_NS1_11comp_targetILNS1_3genE5ELNS1_11target_archE942ELNS1_3gpuE9ELNS1_3repE0EEENS1_30default_config_static_selectorELNS0_4arch9wavefront6targetE1EEEvT1_,@function
_ZN7rocprim17ROCPRIM_400000_NS6detail17trampoline_kernelINS0_14default_configENS1_20scan_config_selectorIdEEZZNS1_9scan_implILNS1_25lookback_scan_determinismE0ELb1ELb1ES3_N6thrust23THRUST_200600_302600_NS6detail15normal_iteratorINS9_10device_ptrIdEEEENS9_16discard_iteratorINS9_11use_defaultEEEdNS9_4plusIvEEdEEDaPvRmT3_T4_T5_mT6_P12ihipStream_tbENKUlT_T0_E_clISt17integral_constantIbLb0EESX_EEDaSS_ST_EUlSS_E_NS1_11comp_targetILNS1_3genE5ELNS1_11target_archE942ELNS1_3gpuE9ELNS1_3repE0EEENS1_30default_config_static_selectorELNS0_4arch9wavefront6targetE1EEEvT1_: ; @_ZN7rocprim17ROCPRIM_400000_NS6detail17trampoline_kernelINS0_14default_configENS1_20scan_config_selectorIdEEZZNS1_9scan_implILNS1_25lookback_scan_determinismE0ELb1ELb1ES3_N6thrust23THRUST_200600_302600_NS6detail15normal_iteratorINS9_10device_ptrIdEEEENS9_16discard_iteratorINS9_11use_defaultEEEdNS9_4plusIvEEdEEDaPvRmT3_T4_T5_mT6_P12ihipStream_tbENKUlT_T0_E_clISt17integral_constantIbLb0EESX_EEDaSS_ST_EUlSS_E_NS1_11comp_targetILNS1_3genE5ELNS1_11target_archE942ELNS1_3gpuE9ELNS1_3repE0EEENS1_30default_config_static_selectorELNS0_4arch9wavefront6targetE1EEEvT1_
; %bb.0:
	.section	.rodata,"a",@progbits
	.p2align	6, 0x0
	.amdhsa_kernel _ZN7rocprim17ROCPRIM_400000_NS6detail17trampoline_kernelINS0_14default_configENS1_20scan_config_selectorIdEEZZNS1_9scan_implILNS1_25lookback_scan_determinismE0ELb1ELb1ES3_N6thrust23THRUST_200600_302600_NS6detail15normal_iteratorINS9_10device_ptrIdEEEENS9_16discard_iteratorINS9_11use_defaultEEEdNS9_4plusIvEEdEEDaPvRmT3_T4_T5_mT6_P12ihipStream_tbENKUlT_T0_E_clISt17integral_constantIbLb0EESX_EEDaSS_ST_EUlSS_E_NS1_11comp_targetILNS1_3genE5ELNS1_11target_archE942ELNS1_3gpuE9ELNS1_3repE0EEENS1_30default_config_static_selectorELNS0_4arch9wavefront6targetE1EEEvT1_
		.amdhsa_group_segment_fixed_size 0
		.amdhsa_private_segment_fixed_size 0
		.amdhsa_kernarg_size 112
		.amdhsa_user_sgpr_count 6
		.amdhsa_user_sgpr_private_segment_buffer 1
		.amdhsa_user_sgpr_dispatch_ptr 0
		.amdhsa_user_sgpr_queue_ptr 0
		.amdhsa_user_sgpr_kernarg_segment_ptr 1
		.amdhsa_user_sgpr_dispatch_id 0
		.amdhsa_user_sgpr_flat_scratch_init 0
		.amdhsa_user_sgpr_kernarg_preload_length 0
		.amdhsa_user_sgpr_kernarg_preload_offset 0
		.amdhsa_user_sgpr_private_segment_size 0
		.amdhsa_uses_dynamic_stack 0
		.amdhsa_system_sgpr_private_segment_wavefront_offset 0
		.amdhsa_system_sgpr_workgroup_id_x 1
		.amdhsa_system_sgpr_workgroup_id_y 0
		.amdhsa_system_sgpr_workgroup_id_z 0
		.amdhsa_system_sgpr_workgroup_info 0
		.amdhsa_system_vgpr_workitem_id 0
		.amdhsa_next_free_vgpr 1
		.amdhsa_next_free_sgpr 0
		.amdhsa_accum_offset 4
		.amdhsa_reserve_vcc 0
		.amdhsa_reserve_flat_scratch 0
		.amdhsa_float_round_mode_32 0
		.amdhsa_float_round_mode_16_64 0
		.amdhsa_float_denorm_mode_32 3
		.amdhsa_float_denorm_mode_16_64 3
		.amdhsa_dx10_clamp 1
		.amdhsa_ieee_mode 1
		.amdhsa_fp16_overflow 0
		.amdhsa_tg_split 0
		.amdhsa_exception_fp_ieee_invalid_op 0
		.amdhsa_exception_fp_denorm_src 0
		.amdhsa_exception_fp_ieee_div_zero 0
		.amdhsa_exception_fp_ieee_overflow 0
		.amdhsa_exception_fp_ieee_underflow 0
		.amdhsa_exception_fp_ieee_inexact 0
		.amdhsa_exception_int_div_zero 0
	.end_amdhsa_kernel
	.section	.text._ZN7rocprim17ROCPRIM_400000_NS6detail17trampoline_kernelINS0_14default_configENS1_20scan_config_selectorIdEEZZNS1_9scan_implILNS1_25lookback_scan_determinismE0ELb1ELb1ES3_N6thrust23THRUST_200600_302600_NS6detail15normal_iteratorINS9_10device_ptrIdEEEENS9_16discard_iteratorINS9_11use_defaultEEEdNS9_4plusIvEEdEEDaPvRmT3_T4_T5_mT6_P12ihipStream_tbENKUlT_T0_E_clISt17integral_constantIbLb0EESX_EEDaSS_ST_EUlSS_E_NS1_11comp_targetILNS1_3genE5ELNS1_11target_archE942ELNS1_3gpuE9ELNS1_3repE0EEENS1_30default_config_static_selectorELNS0_4arch9wavefront6targetE1EEEvT1_,"axG",@progbits,_ZN7rocprim17ROCPRIM_400000_NS6detail17trampoline_kernelINS0_14default_configENS1_20scan_config_selectorIdEEZZNS1_9scan_implILNS1_25lookback_scan_determinismE0ELb1ELb1ES3_N6thrust23THRUST_200600_302600_NS6detail15normal_iteratorINS9_10device_ptrIdEEEENS9_16discard_iteratorINS9_11use_defaultEEEdNS9_4plusIvEEdEEDaPvRmT3_T4_T5_mT6_P12ihipStream_tbENKUlT_T0_E_clISt17integral_constantIbLb0EESX_EEDaSS_ST_EUlSS_E_NS1_11comp_targetILNS1_3genE5ELNS1_11target_archE942ELNS1_3gpuE9ELNS1_3repE0EEENS1_30default_config_static_selectorELNS0_4arch9wavefront6targetE1EEEvT1_,comdat
.Lfunc_end4935:
	.size	_ZN7rocprim17ROCPRIM_400000_NS6detail17trampoline_kernelINS0_14default_configENS1_20scan_config_selectorIdEEZZNS1_9scan_implILNS1_25lookback_scan_determinismE0ELb1ELb1ES3_N6thrust23THRUST_200600_302600_NS6detail15normal_iteratorINS9_10device_ptrIdEEEENS9_16discard_iteratorINS9_11use_defaultEEEdNS9_4plusIvEEdEEDaPvRmT3_T4_T5_mT6_P12ihipStream_tbENKUlT_T0_E_clISt17integral_constantIbLb0EESX_EEDaSS_ST_EUlSS_E_NS1_11comp_targetILNS1_3genE5ELNS1_11target_archE942ELNS1_3gpuE9ELNS1_3repE0EEENS1_30default_config_static_selectorELNS0_4arch9wavefront6targetE1EEEvT1_, .Lfunc_end4935-_ZN7rocprim17ROCPRIM_400000_NS6detail17trampoline_kernelINS0_14default_configENS1_20scan_config_selectorIdEEZZNS1_9scan_implILNS1_25lookback_scan_determinismE0ELb1ELb1ES3_N6thrust23THRUST_200600_302600_NS6detail15normal_iteratorINS9_10device_ptrIdEEEENS9_16discard_iteratorINS9_11use_defaultEEEdNS9_4plusIvEEdEEDaPvRmT3_T4_T5_mT6_P12ihipStream_tbENKUlT_T0_E_clISt17integral_constantIbLb0EESX_EEDaSS_ST_EUlSS_E_NS1_11comp_targetILNS1_3genE5ELNS1_11target_archE942ELNS1_3gpuE9ELNS1_3repE0EEENS1_30default_config_static_selectorELNS0_4arch9wavefront6targetE1EEEvT1_
                                        ; -- End function
	.section	.AMDGPU.csdata,"",@progbits
; Kernel info:
; codeLenInByte = 0
; NumSgprs: 4
; NumVgprs: 0
; NumAgprs: 0
; TotalNumVgprs: 0
; ScratchSize: 0
; MemoryBound: 0
; FloatMode: 240
; IeeeMode: 1
; LDSByteSize: 0 bytes/workgroup (compile time only)
; SGPRBlocks: 0
; VGPRBlocks: 0
; NumSGPRsForWavesPerEU: 4
; NumVGPRsForWavesPerEU: 1
; AccumOffset: 4
; Occupancy: 8
; WaveLimiterHint : 0
; COMPUTE_PGM_RSRC2:SCRATCH_EN: 0
; COMPUTE_PGM_RSRC2:USER_SGPR: 6
; COMPUTE_PGM_RSRC2:TRAP_HANDLER: 0
; COMPUTE_PGM_RSRC2:TGID_X_EN: 1
; COMPUTE_PGM_RSRC2:TGID_Y_EN: 0
; COMPUTE_PGM_RSRC2:TGID_Z_EN: 0
; COMPUTE_PGM_RSRC2:TIDIG_COMP_CNT: 0
; COMPUTE_PGM_RSRC3_GFX90A:ACCUM_OFFSET: 0
; COMPUTE_PGM_RSRC3_GFX90A:TG_SPLIT: 0
	.section	.text._ZN7rocprim17ROCPRIM_400000_NS6detail17trampoline_kernelINS0_14default_configENS1_20scan_config_selectorIdEEZZNS1_9scan_implILNS1_25lookback_scan_determinismE0ELb1ELb1ES3_N6thrust23THRUST_200600_302600_NS6detail15normal_iteratorINS9_10device_ptrIdEEEENS9_16discard_iteratorINS9_11use_defaultEEEdNS9_4plusIvEEdEEDaPvRmT3_T4_T5_mT6_P12ihipStream_tbENKUlT_T0_E_clISt17integral_constantIbLb0EESX_EEDaSS_ST_EUlSS_E_NS1_11comp_targetILNS1_3genE4ELNS1_11target_archE910ELNS1_3gpuE8ELNS1_3repE0EEENS1_30default_config_static_selectorELNS0_4arch9wavefront6targetE1EEEvT1_,"axG",@progbits,_ZN7rocprim17ROCPRIM_400000_NS6detail17trampoline_kernelINS0_14default_configENS1_20scan_config_selectorIdEEZZNS1_9scan_implILNS1_25lookback_scan_determinismE0ELb1ELb1ES3_N6thrust23THRUST_200600_302600_NS6detail15normal_iteratorINS9_10device_ptrIdEEEENS9_16discard_iteratorINS9_11use_defaultEEEdNS9_4plusIvEEdEEDaPvRmT3_T4_T5_mT6_P12ihipStream_tbENKUlT_T0_E_clISt17integral_constantIbLb0EESX_EEDaSS_ST_EUlSS_E_NS1_11comp_targetILNS1_3genE4ELNS1_11target_archE910ELNS1_3gpuE8ELNS1_3repE0EEENS1_30default_config_static_selectorELNS0_4arch9wavefront6targetE1EEEvT1_,comdat
	.protected	_ZN7rocprim17ROCPRIM_400000_NS6detail17trampoline_kernelINS0_14default_configENS1_20scan_config_selectorIdEEZZNS1_9scan_implILNS1_25lookback_scan_determinismE0ELb1ELb1ES3_N6thrust23THRUST_200600_302600_NS6detail15normal_iteratorINS9_10device_ptrIdEEEENS9_16discard_iteratorINS9_11use_defaultEEEdNS9_4plusIvEEdEEDaPvRmT3_T4_T5_mT6_P12ihipStream_tbENKUlT_T0_E_clISt17integral_constantIbLb0EESX_EEDaSS_ST_EUlSS_E_NS1_11comp_targetILNS1_3genE4ELNS1_11target_archE910ELNS1_3gpuE8ELNS1_3repE0EEENS1_30default_config_static_selectorELNS0_4arch9wavefront6targetE1EEEvT1_ ; -- Begin function _ZN7rocprim17ROCPRIM_400000_NS6detail17trampoline_kernelINS0_14default_configENS1_20scan_config_selectorIdEEZZNS1_9scan_implILNS1_25lookback_scan_determinismE0ELb1ELb1ES3_N6thrust23THRUST_200600_302600_NS6detail15normal_iteratorINS9_10device_ptrIdEEEENS9_16discard_iteratorINS9_11use_defaultEEEdNS9_4plusIvEEdEEDaPvRmT3_T4_T5_mT6_P12ihipStream_tbENKUlT_T0_E_clISt17integral_constantIbLb0EESX_EEDaSS_ST_EUlSS_E_NS1_11comp_targetILNS1_3genE4ELNS1_11target_archE910ELNS1_3gpuE8ELNS1_3repE0EEENS1_30default_config_static_selectorELNS0_4arch9wavefront6targetE1EEEvT1_
	.globl	_ZN7rocprim17ROCPRIM_400000_NS6detail17trampoline_kernelINS0_14default_configENS1_20scan_config_selectorIdEEZZNS1_9scan_implILNS1_25lookback_scan_determinismE0ELb1ELb1ES3_N6thrust23THRUST_200600_302600_NS6detail15normal_iteratorINS9_10device_ptrIdEEEENS9_16discard_iteratorINS9_11use_defaultEEEdNS9_4plusIvEEdEEDaPvRmT3_T4_T5_mT6_P12ihipStream_tbENKUlT_T0_E_clISt17integral_constantIbLb0EESX_EEDaSS_ST_EUlSS_E_NS1_11comp_targetILNS1_3genE4ELNS1_11target_archE910ELNS1_3gpuE8ELNS1_3repE0EEENS1_30default_config_static_selectorELNS0_4arch9wavefront6targetE1EEEvT1_
	.p2align	8
	.type	_ZN7rocprim17ROCPRIM_400000_NS6detail17trampoline_kernelINS0_14default_configENS1_20scan_config_selectorIdEEZZNS1_9scan_implILNS1_25lookback_scan_determinismE0ELb1ELb1ES3_N6thrust23THRUST_200600_302600_NS6detail15normal_iteratorINS9_10device_ptrIdEEEENS9_16discard_iteratorINS9_11use_defaultEEEdNS9_4plusIvEEdEEDaPvRmT3_T4_T5_mT6_P12ihipStream_tbENKUlT_T0_E_clISt17integral_constantIbLb0EESX_EEDaSS_ST_EUlSS_E_NS1_11comp_targetILNS1_3genE4ELNS1_11target_archE910ELNS1_3gpuE8ELNS1_3repE0EEENS1_30default_config_static_selectorELNS0_4arch9wavefront6targetE1EEEvT1_,@function
_ZN7rocprim17ROCPRIM_400000_NS6detail17trampoline_kernelINS0_14default_configENS1_20scan_config_selectorIdEEZZNS1_9scan_implILNS1_25lookback_scan_determinismE0ELb1ELb1ES3_N6thrust23THRUST_200600_302600_NS6detail15normal_iteratorINS9_10device_ptrIdEEEENS9_16discard_iteratorINS9_11use_defaultEEEdNS9_4plusIvEEdEEDaPvRmT3_T4_T5_mT6_P12ihipStream_tbENKUlT_T0_E_clISt17integral_constantIbLb0EESX_EEDaSS_ST_EUlSS_E_NS1_11comp_targetILNS1_3genE4ELNS1_11target_archE910ELNS1_3gpuE8ELNS1_3repE0EEENS1_30default_config_static_selectorELNS0_4arch9wavefront6targetE1EEEvT1_: ; @_ZN7rocprim17ROCPRIM_400000_NS6detail17trampoline_kernelINS0_14default_configENS1_20scan_config_selectorIdEEZZNS1_9scan_implILNS1_25lookback_scan_determinismE0ELb1ELb1ES3_N6thrust23THRUST_200600_302600_NS6detail15normal_iteratorINS9_10device_ptrIdEEEENS9_16discard_iteratorINS9_11use_defaultEEEdNS9_4plusIvEEdEEDaPvRmT3_T4_T5_mT6_P12ihipStream_tbENKUlT_T0_E_clISt17integral_constantIbLb0EESX_EEDaSS_ST_EUlSS_E_NS1_11comp_targetILNS1_3genE4ELNS1_11target_archE910ELNS1_3gpuE8ELNS1_3repE0EEENS1_30default_config_static_selectorELNS0_4arch9wavefront6targetE1EEEvT1_
; %bb.0:
	s_load_dwordx4 s[0:3], s[4:5], 0x0
	s_load_dwordx4 s[12:15], s[4:5], 0x20
	s_load_dword s7, s[4:5], 0x40
	s_waitcnt lgkmcnt(0)
	s_lshl_b64 s[2:3], s[2:3], 3
	s_add_u32 s24, s0, s2
	s_addc_u32 s25, s1, s3
	s_add_i32 s2, s7, -1
	s_mul_i32 s3, s2, 0x500
	s_sub_u32 s22, s12, s3
	s_subb_u32 s23, s13, 0
	s_mul_i32 s0, s6, 0x500
	s_mov_b32 s1, 0
	s_cmp_lg_u32 s6, s2
	s_cselect_b64 s[16:17], -1, 0
	s_lshl_b64 s[0:1], s[0:1], 3
	s_add_u32 s0, s24, s0
	s_addc_u32 s1, s25, s1
	s_mov_b64 s[2:3], -1
	s_and_b64 vcc, exec, s[16:17]
	s_cbranch_vccz .LBB4936_2
; %bb.1:
	v_lshlrev_b32_e32 v1, 3, v0
	v_mov_b32_e32 v3, s1
	v_add_co_u32_e32 v2, vcc, s0, v1
	v_addc_co_u32_e32 v3, vcc, 0, v3, vcc
	v_add_co_u32_e32 v12, vcc, 0x1000, v2
	v_addc_co_u32_e32 v13, vcc, 0, v3, vcc
	flat_load_dwordx2 v[4:5], v[2:3]
	flat_load_dwordx2 v[6:7], v[2:3] offset:1024
	flat_load_dwordx2 v[8:9], v[2:3] offset:2048
	;; [unrolled: 1-line block ×3, first 2 shown]
	v_add_co_u32_e32 v2, vcc, 0x2000, v2
	v_addc_co_u32_e32 v3, vcc, 0, v3, vcc
	flat_load_dwordx2 v[14:15], v[12:13]
	flat_load_dwordx2 v[16:17], v[12:13] offset:1024
	flat_load_dwordx2 v[18:19], v[12:13] offset:2048
	flat_load_dwordx2 v[20:21], v[12:13] offset:3072
	s_nop 0
	flat_load_dwordx2 v[12:13], v[2:3]
	flat_load_dwordx2 v[22:23], v[2:3] offset:1024
	s_mov_b64 s[2:3], 0
	s_waitcnt vmcnt(0) lgkmcnt(0)
	ds_write2st64_b64 v1, v[4:5], v[6:7] offset1:2
	ds_write2st64_b64 v1, v[8:9], v[10:11] offset0:4 offset1:6
	ds_write2st64_b64 v1, v[14:15], v[16:17] offset0:8 offset1:10
	;; [unrolled: 1-line block ×4, first 2 shown]
	s_waitcnt lgkmcnt(0)
	s_barrier
.LBB4936_2:
	s_load_dwordx2 s[18:19], s[4:5], 0x38
	s_andn2_b64 vcc, exec, s[2:3]
	s_cbranch_vccnz .LBB4936_24
; %bb.3:
	v_pk_mov_b32 v[2:3], s[0:1], s[0:1] op_sel:[0,1]
	flat_load_dwordx2 v[2:3], v[2:3]
	v_cmp_gt_u32_e32 vcc, s22, v0
	s_waitcnt vmcnt(0) lgkmcnt(0)
	v_mov_b32_e32 v4, v2
	v_mov_b32_e32 v5, v3
	;; [unrolled: 1-line block ×16, first 2 shown]
	v_pk_mov_b32 v[34:35], v[30:31], v[30:31] op_sel:[0,1]
	v_pk_mov_b32 v[32:33], v[28:29], v[28:29] op_sel:[0,1]
	;; [unrolled: 1-line block ×16, first 2 shown]
	s_and_saveexec_b64 s[2:3], vcc
	s_cbranch_execz .LBB4936_5
; %bb.4:
	v_lshlrev_b32_e32 v1, 3, v0
	v_mov_b32_e32 v5, s1
	v_add_co_u32_e32 v4, vcc, s0, v1
	v_addc_co_u32_e32 v5, vcc, 0, v5, vcc
	flat_load_dwordx2 v[36:37], v[4:5]
	v_mov_b32_e32 v4, v2
	v_mov_b32_e32 v5, v3
	;; [unrolled: 1-line block ×16, first 2 shown]
	v_pk_mov_b32 v[34:35], v[30:31], v[30:31] op_sel:[0,1]
	v_pk_mov_b32 v[32:33], v[28:29], v[28:29] op_sel:[0,1]
	;; [unrolled: 1-line block ×16, first 2 shown]
	s_waitcnt vmcnt(0) lgkmcnt(0)
	v_pk_mov_b32 v[2:3], v[36:37], v[36:37] op_sel:[0,1]
.LBB4936_5:
	s_or_b64 exec, exec, s[2:3]
	v_or_b32_e32 v1, 0x80, v0
	v_cmp_gt_u32_e32 vcc, s22, v1
	s_and_saveexec_b64 s[2:3], vcc
	s_cbranch_execz .LBB4936_7
; %bb.6:
	v_lshlrev_b32_e32 v1, 3, v0
	v_mov_b32_e32 v5, s1
	v_add_co_u32_e32 v4, vcc, s0, v1
	v_addc_co_u32_e32 v5, vcc, 0, v5, vcc
	flat_load_dwordx2 v[6:7], v[4:5] offset:1024
.LBB4936_7:
	s_or_b64 exec, exec, s[2:3]
	v_or_b32_e32 v1, 0x100, v0
	v_cmp_gt_u32_e32 vcc, s22, v1
	s_and_saveexec_b64 s[2:3], vcc
	s_cbranch_execz .LBB4936_9
; %bb.8:
	v_lshlrev_b32_e32 v1, 3, v0
	v_mov_b32_e32 v5, s1
	v_add_co_u32_e32 v4, vcc, s0, v1
	v_addc_co_u32_e32 v5, vcc, 0, v5, vcc
	flat_load_dwordx2 v[8:9], v[4:5] offset:2048
.LBB4936_9:
	;; [unrolled: 12-line block ×3, first 2 shown]
	s_or_b64 exec, exec, s[2:3]
	v_or_b32_e32 v1, 0x200, v0
	v_cmp_gt_u32_e32 vcc, s22, v1
	s_and_saveexec_b64 s[2:3], vcc
	s_cbranch_execz .LBB4936_13
; %bb.12:
	v_lshlrev_b32_e32 v1, 3, v1
	v_mov_b32_e32 v5, s1
	v_add_co_u32_e32 v4, vcc, s0, v1
	v_addc_co_u32_e32 v5, vcc, 0, v5, vcc
	flat_load_dwordx2 v[12:13], v[4:5]
.LBB4936_13:
	s_or_b64 exec, exec, s[2:3]
	v_or_b32_e32 v1, 0x280, v0
	v_cmp_gt_u32_e32 vcc, s22, v1
	s_and_saveexec_b64 s[2:3], vcc
	s_cbranch_execz .LBB4936_15
; %bb.14:
	v_lshlrev_b32_e32 v1, 3, v1
	v_mov_b32_e32 v5, s1
	v_add_co_u32_e32 v4, vcc, s0, v1
	v_addc_co_u32_e32 v5, vcc, 0, v5, vcc
	flat_load_dwordx2 v[14:15], v[4:5]
.LBB4936_15:
	;; [unrolled: 12-line block ×6, first 2 shown]
	s_or_b64 exec, exec, s[2:3]
	v_lshlrev_b32_e32 v1, 3, v0
	s_waitcnt vmcnt(0) lgkmcnt(0)
	ds_write2st64_b64 v1, v[2:3], v[6:7] offset1:2
	ds_write2st64_b64 v1, v[8:9], v[10:11] offset0:4 offset1:6
	ds_write2st64_b64 v1, v[12:13], v[14:15] offset0:8 offset1:10
	;; [unrolled: 1-line block ×4, first 2 shown]
	s_waitcnt lgkmcnt(0)
	s_barrier
.LBB4936_24:
	v_mul_u32_u24_e32 v44, 10, v0
	v_lshlrev_b32_e32 v45, 3, v44
	s_waitcnt lgkmcnt(0)
	ds_read_b128 v[14:17], v45
	ds_read_b128 v[10:13], v45 offset:16
	ds_read_b128 v[6:9], v45 offset:32
	;; [unrolled: 1-line block ×4, first 2 shown]
	s_waitcnt lgkmcnt(4)
	v_add_f64 v[22:23], v[14:15], v[16:17]
	s_cmp_lg_u32 s6, 0
	s_waitcnt lgkmcnt(3)
	v_add_f64 v[42:43], v[10:11], v[22:23]
	v_mbcnt_lo_u32_b32 v1, -1, 0
	s_waitcnt lgkmcnt(0)
	s_barrier
	s_cbranch_scc0 .LBB4936_53
; %bb.25:
	v_add_f64 v[22:23], v[12:13], v[42:43]
	v_add_f64 v[22:23], v[6:7], v[22:23]
	;; [unrolled: 1-line block ×7, first 2 shown]
	v_mbcnt_hi_u32_b32 v33, -1, v1
	v_and_b32_e32 v28, 15, v33
	v_mov_b32_dpp v24, v22 row_shr:1 row_mask:0xf bank_mask:0xf
	v_mov_b32_dpp v25, v23 row_shr:1 row_mask:0xf bank_mask:0xf
	v_add_f64 v[24:25], v[22:23], v[24:25]
	v_cmp_eq_u32_e32 vcc, 0, v28
	v_cndmask_b32_e32 v24, v24, v22, vcc
	v_cndmask_b32_e32 v25, v25, v23, vcc
	v_cmp_lt_u32_e32 vcc, 1, v28
	v_mov_b32_dpp v26, v24 row_shr:2 row_mask:0xf bank_mask:0xf
	v_mov_b32_dpp v27, v25 row_shr:2 row_mask:0xf bank_mask:0xf
	v_add_f64 v[26:27], v[24:25], v[26:27]
	v_cndmask_b32_e32 v24, v24, v26, vcc
	v_cndmask_b32_e32 v25, v25, v27, vcc
	v_cmp_lt_u32_e32 vcc, 3, v28
	v_mov_b32_dpp v26, v24 row_shr:4 row_mask:0xf bank_mask:0xf
	v_mov_b32_dpp v27, v25 row_shr:4 row_mask:0xf bank_mask:0xf
	v_add_f64 v[26:27], v[24:25], v[26:27]
	;; [unrolled: 6-line block ×3, first 2 shown]
	v_cndmask_b32_e32 v24, v24, v26, vcc
	v_cndmask_b32_e32 v25, v25, v27, vcc
	v_and_b32_e32 v30, 16, v33
	v_mov_b32_dpp v26, v24 row_bcast:15 row_mask:0xf bank_mask:0xf
	v_mov_b32_dpp v27, v25 row_bcast:15 row_mask:0xf bank_mask:0xf
	v_add_f64 v[28:29], v[24:25], v[26:27]
	v_cmp_eq_u32_e32 vcc, 0, v30
	v_cndmask_b32_e32 v27, v29, v25, vcc
	v_cndmask_b32_e32 v26, v28, v24, vcc
	v_cmp_eq_u32_e64 s[0:1], 0, v33
	v_mov_b32_dpp v27, v27 row_bcast:31 row_mask:0xf bank_mask:0xf
	v_mov_b32_dpp v26, v26 row_bcast:31 row_mask:0xf bank_mask:0xf
	v_cmp_ne_u32_e64 s[2:3], 0, v33
	s_and_saveexec_b64 s[8:9], s[2:3]
; %bb.26:
	v_cndmask_b32_e32 v23, v29, v25, vcc
	v_cndmask_b32_e32 v22, v28, v24, vcc
	v_add_f64 v[24:25], v[22:23], v[26:27]
	v_cmp_lt_u32_e32 vcc, 31, v33
	v_cndmask_b32_e32 v23, v23, v25, vcc
	v_cndmask_b32_e32 v22, v22, v24, vcc
; %bb.27:
	s_or_b64 exec, exec, s[8:9]
	v_or_b32_e32 v25, 63, v0
	v_lshrrev_b32_e32 v24, 6, v0
	v_cmp_eq_u32_e32 vcc, v25, v0
	s_and_saveexec_b64 s[2:3], vcc
	s_cbranch_execz .LBB4936_29
; %bb.28:
	v_lshlrev_b32_e32 v25, 3, v24
	ds_write_b64 v25, v[22:23]
.LBB4936_29:
	s_or_b64 exec, exec, s[2:3]
	v_cmp_gt_u32_e32 vcc, 2, v0
	s_waitcnt lgkmcnt(0)
	s_barrier
	s_and_saveexec_b64 s[2:3], vcc
	s_cbranch_execz .LBB4936_31
; %bb.30:
	v_lshlrev_b32_e32 v25, 3, v0
	ds_read_b64 v[26:27], v25
	v_and_b32_e32 v30, 1, v33
	v_cmp_eq_u32_e32 vcc, 0, v30
	s_waitcnt lgkmcnt(0)
	v_mov_b32_dpp v28, v26 row_shr:1 row_mask:0xf bank_mask:0xf
	v_mov_b32_dpp v29, v27 row_shr:1 row_mask:0xf bank_mask:0xf
	v_add_f64 v[28:29], v[26:27], v[28:29]
	v_cndmask_b32_e32 v27, v29, v27, vcc
	v_cndmask_b32_e32 v26, v28, v26, vcc
	ds_write_b64 v25, v[26:27]
.LBB4936_31:
	s_or_b64 exec, exec, s[2:3]
	v_cmp_gt_u32_e32 vcc, 64, v0
	v_cmp_lt_u32_e64 s[2:3], 63, v0
	s_waitcnt lgkmcnt(0)
	s_barrier
	s_waitcnt lgkmcnt(0)
                                        ; implicit-def: $vgpr30_vgpr31
	s_and_saveexec_b64 s[8:9], s[2:3]
	s_cbranch_execz .LBB4936_33
; %bb.32:
	v_lshl_add_u32 v24, v24, 3, -8
	ds_read_b64 v[30:31], v24
	s_waitcnt lgkmcnt(0)
	v_add_f64 v[22:23], v[22:23], v[30:31]
.LBB4936_33:
	s_or_b64 exec, exec, s[8:9]
	v_add_u32_e32 v24, -1, v33
	v_and_b32_e32 v25, 64, v33
	v_cmp_lt_i32_e64 s[2:3], v24, v25
	v_cndmask_b32_e64 v24, v24, v33, s[2:3]
	v_lshlrev_b32_e32 v24, 2, v24
	ds_bpermute_b32 v38, v24, v22
	ds_bpermute_b32 v39, v24, v23
	s_and_saveexec_b64 s[20:21], vcc
	s_cbranch_execz .LBB4936_52
; %bb.34:
	v_mov_b32_e32 v25, 0
	ds_read_b64 v[22:23], v25 offset:8
	s_and_saveexec_b64 s[2:3], s[0:1]
	s_cbranch_execz .LBB4936_36
; %bb.35:
	s_add_i32 s8, s6, 64
	s_mov_b32 s9, 0
	s_lshl_b64 s[8:9], s[8:9], 4
	s_add_u32 s8, s18, s8
	s_addc_u32 s9, s19, s9
	v_mov_b32_e32 v24, 1
	v_pk_mov_b32 v[26:27], s[8:9], s[8:9] op_sel:[0,1]
	s_waitcnt lgkmcnt(0)
	;;#ASMSTART
	global_store_dwordx4 v[26:27], v[22:25] off	
s_waitcnt vmcnt(0)
	;;#ASMEND
.LBB4936_36:
	s_or_b64 exec, exec, s[2:3]
	v_xad_u32 v32, v33, -1, s6
	v_add_u32_e32 v24, 64, v32
	v_lshlrev_b64 v[26:27], 4, v[24:25]
	v_mov_b32_e32 v24, s19
	v_add_co_u32_e32 v34, vcc, s18, v26
	v_addc_co_u32_e32 v35, vcc, v24, v27, vcc
	;;#ASMSTART
	global_load_dwordx4 v[26:29], v[34:35] off glc	
s_waitcnt vmcnt(0)
	;;#ASMEND
	v_and_b32_e32 v24, 0xff, v27
	v_and_b32_e32 v29, 0xff00, v27
	v_or3_b32 v24, 0, v24, v29
	v_or3_b32 v26, v26, 0, 0
	v_and_b32_e32 v29, 0xff000000, v27
	v_and_b32_e32 v27, 0xff0000, v27
	v_or3_b32 v27, v24, v27, v29
	v_or3_b32 v26, v26, 0, 0
	v_cmp_eq_u16_sdwa s[8:9], v28, v25 src0_sel:BYTE_0 src1_sel:DWORD
	s_and_saveexec_b64 s[2:3], s[8:9]
	s_cbranch_execz .LBB4936_40
; %bb.37:
	s_mov_b64 s[8:9], 0
	v_mov_b32_e32 v24, 0
.LBB4936_38:                            ; =>This Inner Loop Header: Depth=1
	;;#ASMSTART
	global_load_dwordx4 v[26:29], v[34:35] off glc	
s_waitcnt vmcnt(0)
	;;#ASMEND
	v_cmp_ne_u16_sdwa s[10:11], v28, v24 src0_sel:BYTE_0 src1_sel:DWORD
	s_or_b64 s[8:9], s[10:11], s[8:9]
	s_andn2_b64 exec, exec, s[8:9]
	s_cbranch_execnz .LBB4936_38
; %bb.39:
	s_or_b64 exec, exec, s[8:9]
.LBB4936_40:
	s_or_b64 exec, exec, s[2:3]
	v_and_b32_e32 v41, 63, v33
	v_cmp_ne_u32_e32 vcc, 63, v41
	v_mov_b32_e32 v40, 2
	v_addc_co_u32_e32 v34, vcc, 0, v33, vcc
	v_cmp_eq_u16_sdwa s[2:3], v28, v40 src0_sel:BYTE_0 src1_sel:DWORD
	v_lshlrev_b64 v[24:25], v33, -1
	v_lshlrev_b32_e32 v46, 2, v34
	v_and_b32_e32 v29, s3, v25
	ds_bpermute_b32 v34, v46, v26
	ds_bpermute_b32 v35, v46, v27
	v_or_b32_e32 v29, 0x80000000, v29
	v_and_b32_e32 v36, s2, v24
	v_ffbl_b32_e32 v29, v29
	v_add_u32_e32 v29, 32, v29
	v_ffbl_b32_e32 v36, v36
	v_cmp_gt_u32_e64 s[2:3], 62, v41
	v_min_u32_e32 v29, v36, v29
	v_cndmask_b32_e64 v36, 0, 1, s[2:3]
	s_waitcnt lgkmcnt(0)
	v_add_f64 v[34:35], v[26:27], v[34:35]
	v_cmp_lt_u32_e32 vcc, v41, v29
	v_lshlrev_b32_e32 v36, 1, v36
	v_cndmask_b32_e32 v34, v26, v34, vcc
	v_cndmask_b32_e32 v35, v27, v35, vcc
	v_add_lshl_u32 v47, v36, v33, 2
	ds_bpermute_b32 v36, v47, v34
	ds_bpermute_b32 v37, v47, v35
	v_add_u32_e32 v48, 2, v41
	v_cmp_gt_u32_e64 s[2:3], v48, v29
	v_cmp_gt_u32_e64 s[8:9], 56, v41
	v_add_u32_e32 v50, 4, v41
	s_waitcnt lgkmcnt(0)
	v_add_f64 v[36:37], v[34:35], v[36:37]
	v_cndmask_b32_e64 v34, v36, v34, s[2:3]
	v_cndmask_b32_e64 v35, v37, v35, s[2:3]
	v_cmp_gt_u32_e64 s[2:3], 60, v41
	v_cndmask_b32_e64 v36, 0, 1, s[2:3]
	v_lshlrev_b32_e32 v36, 2, v36
	v_add_lshl_u32 v49, v36, v33, 2
	ds_bpermute_b32 v36, v49, v34
	ds_bpermute_b32 v37, v49, v35
	v_cndmask_b32_e64 v51, 0, 1, s[8:9]
	v_cmp_gt_u32_e64 s[2:3], v50, v29
	v_lshlrev_b32_e32 v51, 3, v51
	v_add_lshl_u32 v51, v51, v33, 2
	s_waitcnt lgkmcnt(0)
	v_add_f64 v[36:37], v[34:35], v[36:37]
	v_cndmask_b32_e64 v54, v36, v34, s[2:3]
	v_cndmask_b32_e64 v55, v37, v35, s[2:3]
	ds_bpermute_b32 v56, v51, v54
	ds_bpermute_b32 v57, v51, v55
	v_cmp_gt_u32_e64 s[10:11], 48, v41
	v_add_u32_e32 v52, 8, v41
	v_cndmask_b32_e64 v53, 0, 1, s[10:11]
	v_cmp_gt_u32_e64 s[8:9], v52, v29
	s_waitcnt lgkmcnt(0)
	v_add_f64 v[58:59], v[54:55], v[56:57]
	v_lshlrev_b32_e32 v53, 4, v53
	v_cndmask_b32_e64 v56, v58, v54, s[8:9]
	v_cndmask_b32_e64 v57, v59, v55, s[8:9]
	v_add_lshl_u32 v53, v53, v33, 2
	ds_bpermute_b32 v60, v53, v56
	ds_bpermute_b32 v61, v53, v57
	v_cmp_gt_u32_e64 s[12:13], 32, v41
	v_add_u32_e32 v54, 16, v41
	v_cndmask_b32_e64 v55, 0, 1, s[12:13]
	v_cmp_gt_u32_e64 s[10:11], v54, v29
	s_waitcnt lgkmcnt(0)
	v_add_f64 v[60:61], v[56:57], v[60:61]
	v_lshlrev_b32_e32 v55, 5, v55
	v_cndmask_b32_e64 v62, v60, v56, s[10:11]
	v_add_lshl_u32 v55, v55, v33, 2
	v_cndmask_b32_e64 v63, v61, v57, s[10:11]
	ds_bpermute_b32 v64, v55, v62
	ds_bpermute_b32 v65, v55, v63
	v_cndmask_b32_e32 v27, v27, v35, vcc
	v_cndmask_b32_e32 v26, v26, v34, vcc
	v_cndmask_b32_e64 v26, v36, v26, s[2:3]
	v_cndmask_b32_e64 v27, v37, v27, s[2:3]
	v_add_u32_e32 v56, 32, v41
	v_cndmask_b32_e64 v27, v59, v27, s[8:9]
	v_cndmask_b32_e64 v26, v58, v26, s[8:9]
	s_waitcnt lgkmcnt(0)
	v_add_f64 v[62:63], v[62:63], v[64:65]
	v_cndmask_b32_e64 v26, v60, v26, s[10:11]
	v_cndmask_b32_e64 v27, v61, v27, s[10:11]
	v_cmp_gt_u32_e32 vcc, v56, v29
	v_cndmask_b32_e32 v27, v63, v27, vcc
	v_cndmask_b32_e32 v26, v62, v26, vcc
	v_mov_b32_e32 v33, 0
	s_branch .LBB4936_42
.LBB4936_41:                            ;   in Loop: Header=BB4936_42 Depth=1
	s_or_b64 exec, exec, s[2:3]
	v_cmp_eq_u16_sdwa s[2:3], v28, v40 src0_sel:BYTE_0 src1_sel:DWORD
	v_and_b32_e32 v29, s3, v25
	ds_bpermute_b32 v36, v46, v26
	ds_bpermute_b32 v37, v46, v27
	v_or_b32_e32 v29, 0x80000000, v29
	v_and_b32_e32 v57, s2, v24
	v_ffbl_b32_e32 v29, v29
	v_add_u32_e32 v29, 32, v29
	v_ffbl_b32_e32 v57, v57
	v_min_u32_e32 v29, v57, v29
	s_waitcnt lgkmcnt(0)
	v_add_f64 v[36:37], v[26:27], v[36:37]
	v_cmp_lt_u32_e32 vcc, v41, v29
	v_cndmask_b32_e32 v36, v26, v36, vcc
	v_cndmask_b32_e32 v37, v27, v37, vcc
	ds_bpermute_b32 v58, v47, v36
	ds_bpermute_b32 v59, v47, v37
	v_cmp_gt_u32_e64 s[2:3], v48, v29
	v_cmp_gt_u32_e64 s[8:9], v52, v29
	;; [unrolled: 1-line block ×3, first 2 shown]
	v_subrev_u32_e32 v32, 64, v32
	s_waitcnt lgkmcnt(0)
	v_add_f64 v[58:59], v[36:37], v[58:59]
	v_cndmask_b32_e64 v36, v58, v36, s[2:3]
	v_cndmask_b32_e64 v37, v59, v37, s[2:3]
	ds_bpermute_b32 v58, v49, v36
	ds_bpermute_b32 v59, v49, v37
	v_cmp_gt_u32_e64 s[2:3], v50, v29
	v_cndmask_b32_e32 v27, v27, v37, vcc
	v_cndmask_b32_e32 v26, v26, v36, vcc
	v_cmp_gt_u32_e32 vcc, v56, v29
	s_waitcnt lgkmcnt(0)
	v_add_f64 v[58:59], v[36:37], v[58:59]
	v_cndmask_b32_e64 v60, v58, v36, s[2:3]
	v_cndmask_b32_e64 v61, v59, v37, s[2:3]
	ds_bpermute_b32 v62, v51, v60
	ds_bpermute_b32 v63, v51, v61
	v_cndmask_b32_e64 v26, v58, v26, s[2:3]
	v_cndmask_b32_e64 v27, v59, v27, s[2:3]
	s_waitcnt lgkmcnt(0)
	v_add_f64 v[62:63], v[60:61], v[62:63]
	v_cndmask_b32_e64 v60, v62, v60, s[8:9]
	v_cndmask_b32_e64 v61, v63, v61, s[8:9]
	ds_bpermute_b32 v64, v53, v60
	ds_bpermute_b32 v65, v53, v61
	v_cndmask_b32_e64 v27, v63, v27, s[8:9]
	v_cndmask_b32_e64 v26, v62, v26, s[8:9]
	;; [unrolled: 8-line block ×3, first 2 shown]
	s_waitcnt lgkmcnt(0)
	v_add_f64 v[60:61], v[60:61], v[66:67]
	v_cndmask_b32_e32 v27, v61, v27, vcc
	v_cndmask_b32_e32 v26, v60, v26, vcc
	v_add_f64 v[26:27], v[34:35], v[26:27]
.LBB4936_42:                            ; =>This Loop Header: Depth=1
                                        ;     Child Loop BB4936_45 Depth 2
	v_cmp_ne_u16_sdwa s[2:3], v28, v40 src0_sel:BYTE_0 src1_sel:DWORD
	v_cndmask_b32_e64 v28, 0, 1, s[2:3]
	;;#ASMSTART
	;;#ASMEND
	v_cmp_ne_u32_e32 vcc, 0, v28
	s_cmp_lg_u64 vcc, exec
	v_pk_mov_b32 v[34:35], v[26:27], v[26:27] op_sel:[0,1]
	s_cbranch_scc1 .LBB4936_47
; %bb.43:                               ;   in Loop: Header=BB4936_42 Depth=1
	v_lshlrev_b64 v[26:27], 4, v[32:33]
	v_mov_b32_e32 v28, s19
	v_add_co_u32_e32 v36, vcc, s18, v26
	v_addc_co_u32_e32 v37, vcc, v28, v27, vcc
	;;#ASMSTART
	global_load_dwordx4 v[26:29], v[36:37] off glc	
s_waitcnt vmcnt(0)
	;;#ASMEND
	v_and_b32_e32 v29, 0xff, v27
	v_and_b32_e32 v57, 0xff00, v27
	v_or3_b32 v29, 0, v29, v57
	v_or3_b32 v26, v26, 0, 0
	v_and_b32_e32 v57, 0xff000000, v27
	v_and_b32_e32 v27, 0xff0000, v27
	v_or3_b32 v27, v29, v27, v57
	v_or3_b32 v26, v26, 0, 0
	v_cmp_eq_u16_sdwa s[8:9], v28, v33 src0_sel:BYTE_0 src1_sel:DWORD
	s_and_saveexec_b64 s[2:3], s[8:9]
	s_cbranch_execz .LBB4936_41
; %bb.44:                               ;   in Loop: Header=BB4936_42 Depth=1
	s_mov_b64 s[8:9], 0
.LBB4936_45:                            ;   Parent Loop BB4936_42 Depth=1
                                        ; =>  This Inner Loop Header: Depth=2
	;;#ASMSTART
	global_load_dwordx4 v[26:29], v[36:37] off glc	
s_waitcnt vmcnt(0)
	;;#ASMEND
	v_cmp_ne_u16_sdwa s[10:11], v28, v33 src0_sel:BYTE_0 src1_sel:DWORD
	s_or_b64 s[8:9], s[10:11], s[8:9]
	s_andn2_b64 exec, exec, s[8:9]
	s_cbranch_execnz .LBB4936_45
; %bb.46:                               ;   in Loop: Header=BB4936_42 Depth=1
	s_or_b64 exec, exec, s[8:9]
	s_branch .LBB4936_41
.LBB4936_47:                            ;   in Loop: Header=BB4936_42 Depth=1
                                        ; implicit-def: $vgpr26_vgpr27
                                        ; implicit-def: $vgpr28
	s_cbranch_execz .LBB4936_42
; %bb.48:
	s_and_saveexec_b64 s[2:3], s[0:1]
	s_cbranch_execz .LBB4936_50
; %bb.49:
	s_add_i32 s6, s6, 64
	s_mov_b32 s7, 0
	s_lshl_b64 s[6:7], s[6:7], 4
	s_add_u32 s6, s18, s6
	s_addc_u32 s7, s19, s7
	v_add_f64 v[22:23], v[22:23], v[34:35]
	v_mov_b32_e32 v24, 2
	v_mov_b32_e32 v25, 0
	v_pk_mov_b32 v[26:27], s[6:7], s[6:7] op_sel:[0,1]
	;;#ASMSTART
	global_store_dwordx4 v[26:27], v[22:25] off	
s_waitcnt vmcnt(0)
	;;#ASMEND
.LBB4936_50:
	s_or_b64 exec, exec, s[2:3]
	v_cmp_eq_u32_e32 vcc, 0, v0
	s_and_b64 exec, exec, vcc
	s_cbranch_execz .LBB4936_52
; %bb.51:
	v_mov_b32_e32 v22, 0
	ds_write_b64 v22, v[34:35] offset:8
.LBB4936_52:
	s_or_b64 exec, exec, s[20:21]
	v_mov_b32_e32 v22, 0
	s_waitcnt lgkmcnt(0)
	s_barrier
	ds_read_b64 v[22:23], v22 offset:8
	v_cndmask_b32_e64 v25, v39, v31, s[0:1]
	v_cndmask_b32_e64 v24, v38, v30, s[0:1]
	v_cmp_eq_u32_e32 vcc, 0, v0
	s_waitcnt lgkmcnt(0)
	v_add_f64 v[24:25], v[24:25], v[22:23]
	v_cndmask_b32_e32 v31, v25, v23, vcc
	v_cndmask_b32_e32 v30, v24, v22, vcc
	v_add_f64 v[32:33], v[14:15], v[30:31]
	v_add_f64 v[38:39], v[16:17], v[32:33]
	;; [unrolled: 1-line block ×9, first 2 shown]
	s_load_dwordx8 s[4:11], s[4:5], 0x48
	s_branch .LBB4936_67
.LBB4936_53:
                                        ; implicit-def: $vgpr24_vgpr25
                                        ; implicit-def: $vgpr28_vgpr29
                                        ; implicit-def: $vgpr36_vgpr37
                                        ; implicit-def: $vgpr40_vgpr41
                                        ; implicit-def: $vgpr32_vgpr33
	s_load_dwordx8 s[4:11], s[4:5], 0x48
	s_cbranch_execz .LBB4936_67
; %bb.54:
	s_waitcnt lgkmcnt(0)
	s_cmp_eq_u64 s[8:9], 0
	v_pk_mov_b32 v[24:25], s[14:15], s[14:15] op_sel:[0,1]
	s_cbranch_scc1 .LBB4936_56
; %bb.55:
	v_mov_b32_e32 v23, s25
	v_add_co_u32_e64 v22, vcc, -8, s24
	v_addc_co_u32_e32 v23, vcc, -1, v23, vcc
	v_mov_b32_e32 v28, 0
	flat_load_dwordx2 v[24:25], v[22:23]
	global_load_dwordx2 v[26:27], v28, s[4:5]
	s_waitcnt vmcnt(0) lgkmcnt(0)
	v_add_f64 v[24:25], v[24:25], v[26:27]
.LBB4936_56:
	v_add_f64 v[22:23], v[12:13], v[42:43]
	v_add_f64 v[22:23], v[6:7], v[22:23]
	;; [unrolled: 1-line block ×7, first 2 shown]
	v_mbcnt_hi_u32_b32 v1, -1, v1
	v_and_b32_e32 v28, 15, v1
	v_mov_b32_dpp v22, v20 row_shr:1 row_mask:0xf bank_mask:0xf
	v_mov_b32_dpp v23, v21 row_shr:1 row_mask:0xf bank_mask:0xf
	v_add_f64 v[22:23], v[20:21], v[22:23]
	v_cmp_eq_u32_e32 vcc, 0, v28
	v_cndmask_b32_e32 v22, v22, v20, vcc
	v_cndmask_b32_e32 v23, v23, v21, vcc
	v_cmp_lt_u32_e32 vcc, 1, v28
	v_mov_b32_dpp v26, v22 row_shr:2 row_mask:0xf bank_mask:0xf
	v_mov_b32_dpp v27, v23 row_shr:2 row_mask:0xf bank_mask:0xf
	v_add_f64 v[26:27], v[22:23], v[26:27]
	v_cndmask_b32_e32 v22, v22, v26, vcc
	v_cndmask_b32_e32 v23, v23, v27, vcc
	v_cmp_lt_u32_e32 vcc, 3, v28
	v_mov_b32_dpp v26, v22 row_shr:4 row_mask:0xf bank_mask:0xf
	v_mov_b32_dpp v27, v23 row_shr:4 row_mask:0xf bank_mask:0xf
	v_add_f64 v[26:27], v[22:23], v[26:27]
	;; [unrolled: 6-line block ×3, first 2 shown]
	v_cndmask_b32_e32 v22, v22, v26, vcc
	v_cndmask_b32_e32 v23, v23, v27, vcc
	v_and_b32_e32 v30, 16, v1
	v_mov_b32_dpp v26, v22 row_bcast:15 row_mask:0xf bank_mask:0xf
	v_mov_b32_dpp v27, v23 row_bcast:15 row_mask:0xf bank_mask:0xf
	v_add_f64 v[28:29], v[22:23], v[26:27]
	v_cmp_eq_u32_e64 s[0:1], 0, v30
	v_cndmask_b32_e64 v27, v29, v23, s[0:1]
	v_cndmask_b32_e64 v26, v28, v22, s[0:1]
	v_cmp_eq_u32_e32 vcc, 0, v1
	v_mov_b32_dpp v27, v27 row_bcast:31 row_mask:0xf bank_mask:0xf
	v_mov_b32_dpp v26, v26 row_bcast:31 row_mask:0xf bank_mask:0xf
	v_cmp_ne_u32_e64 s[2:3], 0, v1
	s_and_saveexec_b64 s[4:5], s[2:3]
; %bb.57:
	v_cndmask_b32_e64 v21, v29, v23, s[0:1]
	v_cndmask_b32_e64 v20, v28, v22, s[0:1]
	v_add_f64 v[22:23], v[20:21], v[26:27]
	v_cmp_lt_u32_e64 s[0:1], 31, v1
	v_cndmask_b32_e64 v21, v21, v23, s[0:1]
	v_cndmask_b32_e64 v20, v20, v22, s[0:1]
; %bb.58:
	s_or_b64 exec, exec, s[4:5]
	v_or_b32_e32 v22, 63, v0
	v_lshrrev_b32_e32 v26, 6, v0
	v_cmp_eq_u32_e64 s[0:1], v22, v0
	s_and_saveexec_b64 s[2:3], s[0:1]
	s_cbranch_execz .LBB4936_60
; %bb.59:
	v_lshlrev_b32_e32 v22, 3, v26
	ds_write_b64 v22, v[20:21]
.LBB4936_60:
	s_or_b64 exec, exec, s[2:3]
	v_cmp_gt_u32_e64 s[0:1], 2, v0
	s_waitcnt lgkmcnt(0)
	s_barrier
	s_and_saveexec_b64 s[2:3], s[0:1]
	s_cbranch_execz .LBB4936_62
; %bb.61:
	s_movk_i32 s0, 0xffb8
	v_mad_i32_i24 v27, v0, s0, v45
	ds_read_b64 v[22:23], v27
	v_and_b32_e32 v30, 1, v1
	v_cmp_eq_u32_e64 s[0:1], 0, v30
	s_waitcnt lgkmcnt(0)
	v_mov_b32_dpp v28, v22 row_shr:1 row_mask:0xf bank_mask:0xf
	v_mov_b32_dpp v29, v23 row_shr:1 row_mask:0xf bank_mask:0xf
	v_add_f64 v[28:29], v[22:23], v[28:29]
	v_cndmask_b32_e64 v23, v29, v23, s[0:1]
	v_cndmask_b32_e64 v22, v28, v22, s[0:1]
	ds_write_b64 v27, v[22:23]
.LBB4936_62:
	s_or_b64 exec, exec, s[2:3]
	v_cmp_lt_u32_e64 s[0:1], 63, v0
	v_pk_mov_b32 v[22:23], v[24:25], v[24:25] op_sel:[0,1]
	s_waitcnt lgkmcnt(0)
	s_barrier
	s_and_saveexec_b64 s[2:3], s[0:1]
	s_cbranch_execz .LBB4936_64
; %bb.63:
	v_lshl_add_u32 v22, v26, 3, -8
	ds_read_b64 v[22:23], v22
	s_waitcnt lgkmcnt(0)
	v_add_f64 v[22:23], v[24:25], v[22:23]
.LBB4936_64:
	s_or_b64 exec, exec, s[2:3]
	v_add_u32_e32 v26, -1, v1
	v_and_b32_e32 v27, 64, v1
	v_cmp_lt_i32_e64 s[0:1], v26, v27
	v_cndmask_b32_e64 v1, v26, v1, s[0:1]
	v_add_f64 v[20:21], v[20:21], v[22:23]
	v_lshlrev_b32_e32 v1, 2, v1
	ds_bpermute_b32 v20, v1, v20
	ds_bpermute_b32 v1, v1, v21
	s_waitcnt lgkmcnt(1)
	v_cndmask_b32_e32 v20, v20, v22, vcc
	s_waitcnt lgkmcnt(0)
	v_cndmask_b32_e32 v1, v1, v23, vcc
	v_cmp_eq_u32_e32 vcc, 0, v0
	v_cndmask_b32_e32 v31, v1, v25, vcc
	v_cndmask_b32_e32 v30, v20, v24, vcc
	v_add_f64 v[32:33], v[14:15], v[30:31]
	v_add_f64 v[38:39], v[16:17], v[32:33]
	;; [unrolled: 1-line block ×8, first 2 shown]
	s_and_saveexec_b64 s[0:1], vcc
	s_cbranch_execz .LBB4936_66
; %bb.65:
	v_mov_b32_e32 v5, 0
	ds_read_b64 v[2:3], v5 offset:8
	s_add_u32 s2, s18, 0x400
	s_addc_u32 s3, s19, 0
	v_mov_b32_e32 v4, 2
	v_pk_mov_b32 v[6:7], s[2:3], s[2:3] op_sel:[0,1]
	s_waitcnt lgkmcnt(0)
	v_add_f64 v[2:3], v[24:25], v[2:3]
	;;#ASMSTART
	global_store_dwordx4 v[6:7], v[2:5] off	
s_waitcnt vmcnt(0)
	;;#ASMEND
.LBB4936_66:
	s_or_b64 exec, exec, s[0:1]
	v_add_f64 v[24:25], v[18:19], v[22:23]
.LBB4936_67:
	s_mov_b64 s[0:1], -1
	s_and_b64 vcc, exec, s[16:17]
	s_waitcnt lgkmcnt(0)
	s_barrier
	ds_write_b128 v45, v[30:33]
	ds_write_b128 v45, v[38:41] offset:16
	ds_write_b128 v45, v[34:37] offset:32
	;; [unrolled: 1-line block ×4, first 2 shown]
	s_waitcnt lgkmcnt(0)
	s_cbranch_vccz .LBB4936_69
; %bb.68:
	s_barrier
	s_mov_b64 s[0:1], 0
.LBB4936_69:
	s_andn2_b64 vcc, exec, s[0:1]
	s_cbranch_vccnz .LBB4936_105
; %bb.70:
	v_cmp_lt_u64_e64 s[0:1], s[10:11], 2
	s_and_b64 vcc, exec, s[0:1]
	s_barrier
	s_cbranch_vccnz .LBB4936_105
; %bb.71:
	s_add_u32 s0, s22, -1
	s_addc_u32 s1, s23, -1
	s_add_u32 s2, 0, 0x99986000
	s_addc_u32 s3, 0, 0x59
	s_add_i32 s3, s3, 0x19999940
	s_mul_hi_u32 s9, s2, -10
	s_sub_i32 s9, s9, s2
	s_mul_i32 s10, s3, -10
	s_mul_i32 s4, s2, -10
	s_add_i32 s9, s9, s10
	s_mul_hi_u32 s5, s3, s4
	s_mul_i32 s8, s3, s4
	s_mul_i32 s11, s2, s9
	s_mul_hi_u32 s4, s2, s4
	s_mul_hi_u32 s10, s2, s9
	s_add_u32 s4, s4, s11
	s_addc_u32 s10, 0, s10
	s_add_u32 s4, s4, s8
	s_mul_hi_u32 s11, s3, s9
	s_addc_u32 s4, s10, s5
	s_addc_u32 s5, s11, 0
	s_mul_i32 s8, s3, s9
	s_add_u32 s4, s4, s8
	v_mov_b32_e32 v2, s4
	s_addc_u32 s5, 0, s5
	v_add_co_u32_e32 v2, vcc, s2, v2
	s_cmp_lg_u64 vcc, 0
	s_addc_u32 s2, s3, s5
	v_readfirstlane_b32 s5, v2
	s_mul_i32 s4, s0, s2
	s_mul_hi_u32 s8, s0, s5
	s_mul_hi_u32 s3, s0, s2
	s_add_u32 s4, s8, s4
	s_addc_u32 s3, 0, s3
	s_mul_hi_u32 s9, s1, s5
	s_mul_i32 s5, s1, s5
	s_add_u32 s4, s4, s5
	s_mul_hi_u32 s8, s1, s2
	s_addc_u32 s3, s3, s9
	s_addc_u32 s4, s8, 0
	s_mul_i32 s2, s1, s2
	s_add_u32 s2, s3, s2
	s_addc_u32 s3, 0, s4
	s_add_u32 s4, s2, 1
	s_addc_u32 s5, s3, 0
	s_add_u32 s8, s2, 2
	s_mul_i32 s10, s3, 10
	s_mul_hi_u32 s11, s2, 10
	s_addc_u32 s9, s3, 0
	s_add_i32 s11, s11, s10
	s_mul_i32 s10, s2, 10
	v_mov_b32_e32 v2, s10
	v_sub_co_u32_e32 v2, vcc, s0, v2
	s_cmp_lg_u64 vcc, 0
	s_subb_u32 s10, s1, s11
	v_subrev_co_u32_e32 v3, vcc, 10, v2
	s_cmp_lg_u64 vcc, 0
	s_subb_u32 s11, s10, 0
	v_readfirstlane_b32 s12, v3
	s_cmp_gt_u32 s12, 9
	s_cselect_b32 s12, -1, 0
	s_cmp_eq_u32 s11, 0
	s_cselect_b32 s11, s12, -1
	s_cmp_lg_u32 s11, 0
	s_cselect_b32 s4, s8, s4
	v_readfirstlane_b32 s8, v2
	s_cselect_b32 s5, s9, s5
	s_cmp_gt_u32 s8, 9
	s_cselect_b32 s8, -1, 0
	s_cmp_eq_u32 s10, 0
	s_cselect_b32 s8, s8, -1
	s_cmp_lg_u32 s8, 0
	v_mov_b32_e32 v1, 0
	s_cselect_b32 s3, s5, s3
	s_cselect_b32 s2, s4, s2
	v_cmp_eq_u64_e32 vcc, s[2:3], v[0:1]
	s_and_saveexec_b64 s[2:3], vcc
	s_cbranch_execz .LBB4936_105
; %bb.72:
	s_movk_i32 s2, 0xffb8
	v_mad_i32_i24 v2, v0, s2, v45
	v_mul_hi_u32_u24_e32 v1, 10, v0
	v_mov_b32_e32 v3, s1
	v_sub_co_u32_e32 v0, vcc, s0, v44
	v_subb_co_u32_e32 v1, vcc, v3, v1, vcc
	v_cmp_lt_i64_e32 vcc, 4, v[0:1]
	s_and_saveexec_b64 s[0:1], vcc
	s_xor_b64 s[0:1], exec, s[0:1]
	s_cbranch_execz .LBB4936_90
; %bb.73:
	v_cmp_lt_i64_e32 vcc, 6, v[0:1]
	s_and_saveexec_b64 s[2:3], vcc
	s_xor_b64 s[2:3], exec, s[2:3]
	s_cbranch_execz .LBB4936_83
; %bb.74:
	;; [unrolled: 5-line block ×4, first 2 shown]
	ds_read_b64 v[0:1], v2 offset:9216
	v_mov_b32_e32 v2, 0
	s_waitcnt lgkmcnt(0)
	global_store_dwordx2 v2, v[0:1], s[6:7]
                                        ; implicit-def: $vgpr2
.LBB4936_77:
	s_andn2_saveexec_b64 s[8:9], s[8:9]
	s_cbranch_execz .LBB4936_79
; %bb.78:
	ds_read_b64 v[0:1], v2 offset:8192
	v_mov_b32_e32 v2, 0
	s_waitcnt lgkmcnt(0)
	global_store_dwordx2 v2, v[0:1], s[6:7]
.LBB4936_79:
	s_or_b64 exec, exec, s[8:9]
                                        ; implicit-def: $vgpr2
.LBB4936_80:
	s_andn2_saveexec_b64 s[4:5], s[4:5]
	s_cbranch_execz .LBB4936_82
; %bb.81:
	ds_read_b64 v[0:1], v2 offset:7168
	v_mov_b32_e32 v2, 0
	s_waitcnt lgkmcnt(0)
	global_store_dwordx2 v2, v[0:1], s[6:7]
.LBB4936_82:
	s_or_b64 exec, exec, s[4:5]
                                        ; implicit-def: $vgpr2
                                        ; implicit-def: $vgpr0_vgpr1
.LBB4936_83:
	s_andn2_saveexec_b64 s[2:3], s[2:3]
	s_cbranch_execz .LBB4936_89
; %bb.84:
	v_cmp_lt_i64_e32 vcc, 5, v[0:1]
	s_and_saveexec_b64 s[4:5], vcc
	s_xor_b64 s[4:5], exec, s[4:5]
	s_cbranch_execz .LBB4936_86
; %bb.85:
	ds_read_b64 v[0:1], v2 offset:6144
	v_mov_b32_e32 v2, 0
	s_waitcnt lgkmcnt(0)
	global_store_dwordx2 v2, v[0:1], s[6:7]
                                        ; implicit-def: $vgpr2
.LBB4936_86:
	s_andn2_saveexec_b64 s[4:5], s[4:5]
	s_cbranch_execz .LBB4936_88
; %bb.87:
	ds_read_b64 v[0:1], v2 offset:5120
	v_mov_b32_e32 v2, 0
	s_waitcnt lgkmcnt(0)
	global_store_dwordx2 v2, v[0:1], s[6:7]
.LBB4936_88:
	s_or_b64 exec, exec, s[4:5]
.LBB4936_89:
	s_or_b64 exec, exec, s[2:3]
                                        ; implicit-def: $vgpr0_vgpr1
                                        ; implicit-def: $vgpr2
.LBB4936_90:
	s_andn2_saveexec_b64 s[0:1], s[0:1]
	s_cbranch_execz .LBB4936_105
; %bb.91:
	v_cmp_lt_i64_e32 vcc, 2, v[0:1]
	s_and_saveexec_b64 s[0:1], vcc
	s_xor_b64 s[0:1], exec, s[0:1]
	s_cbranch_execz .LBB4936_97
; %bb.92:
	v_cmp_lt_i64_e32 vcc, 3, v[0:1]
	s_and_saveexec_b64 s[2:3], vcc
	s_xor_b64 s[2:3], exec, s[2:3]
	s_cbranch_execz .LBB4936_94
; %bb.93:
	ds_read_b64 v[0:1], v2 offset:4096
	v_mov_b32_e32 v2, 0
	s_waitcnt lgkmcnt(0)
	global_store_dwordx2 v2, v[0:1], s[6:7]
                                        ; implicit-def: $vgpr2
.LBB4936_94:
	s_andn2_saveexec_b64 s[2:3], s[2:3]
	s_cbranch_execz .LBB4936_96
; %bb.95:
	ds_read_b64 v[0:1], v2 offset:3072
	v_mov_b32_e32 v2, 0
	s_waitcnt lgkmcnt(0)
	global_store_dwordx2 v2, v[0:1], s[6:7]
.LBB4936_96:
	s_or_b64 exec, exec, s[2:3]
                                        ; implicit-def: $vgpr0_vgpr1
                                        ; implicit-def: $vgpr2
.LBB4936_97:
	s_andn2_saveexec_b64 s[0:1], s[0:1]
	s_cbranch_execz .LBB4936_105
; %bb.98:
	v_cmp_lt_i64_e32 vcc, 1, v[0:1]
	s_and_saveexec_b64 s[0:1], vcc
	s_xor_b64 s[0:1], exec, s[0:1]
	s_cbranch_execz .LBB4936_100
; %bb.99:
	ds_read_b64 v[0:1], v2 offset:2048
	v_mov_b32_e32 v2, 0
	s_waitcnt lgkmcnt(0)
	global_store_dwordx2 v2, v[0:1], s[6:7]
                                        ; implicit-def: $vgpr2
                                        ; implicit-def: $vgpr0_vgpr1
.LBB4936_100:
	s_andn2_saveexec_b64 s[0:1], s[0:1]
	s_cbranch_execz .LBB4936_105
; %bb.101:
	v_cmp_ne_u64_e32 vcc, 1, v[0:1]
	s_and_saveexec_b64 s[0:1], vcc
	s_xor_b64 s[0:1], exec, s[0:1]
	s_cbranch_execz .LBB4936_103
; %bb.102:
	ds_read_b64 v[0:1], v2
	v_mov_b32_e32 v2, 0
	s_waitcnt lgkmcnt(0)
	global_store_dwordx2 v2, v[0:1], s[6:7]
                                        ; implicit-def: $vgpr2
.LBB4936_103:
	s_andn2_saveexec_b64 s[0:1], s[0:1]
	s_cbranch_execz .LBB4936_105
; %bb.104:
	ds_read_b64 v[0:1], v2 offset:1024
	v_mov_b32_e32 v2, 0
	s_waitcnt lgkmcnt(0)
	global_store_dwordx2 v2, v[0:1], s[6:7]
.LBB4936_105:
	s_endpgm
	.section	.rodata,"a",@progbits
	.p2align	6, 0x0
	.amdhsa_kernel _ZN7rocprim17ROCPRIM_400000_NS6detail17trampoline_kernelINS0_14default_configENS1_20scan_config_selectorIdEEZZNS1_9scan_implILNS1_25lookback_scan_determinismE0ELb1ELb1ES3_N6thrust23THRUST_200600_302600_NS6detail15normal_iteratorINS9_10device_ptrIdEEEENS9_16discard_iteratorINS9_11use_defaultEEEdNS9_4plusIvEEdEEDaPvRmT3_T4_T5_mT6_P12ihipStream_tbENKUlT_T0_E_clISt17integral_constantIbLb0EESX_EEDaSS_ST_EUlSS_E_NS1_11comp_targetILNS1_3genE4ELNS1_11target_archE910ELNS1_3gpuE8ELNS1_3repE0EEENS1_30default_config_static_selectorELNS0_4arch9wavefront6targetE1EEEvT1_
		.amdhsa_group_segment_fixed_size 10240
		.amdhsa_private_segment_fixed_size 0
		.amdhsa_kernarg_size 112
		.amdhsa_user_sgpr_count 6
		.amdhsa_user_sgpr_private_segment_buffer 1
		.amdhsa_user_sgpr_dispatch_ptr 0
		.amdhsa_user_sgpr_queue_ptr 0
		.amdhsa_user_sgpr_kernarg_segment_ptr 1
		.amdhsa_user_sgpr_dispatch_id 0
		.amdhsa_user_sgpr_flat_scratch_init 0
		.amdhsa_user_sgpr_kernarg_preload_length 0
		.amdhsa_user_sgpr_kernarg_preload_offset 0
		.amdhsa_user_sgpr_private_segment_size 0
		.amdhsa_uses_dynamic_stack 0
		.amdhsa_system_sgpr_private_segment_wavefront_offset 0
		.amdhsa_system_sgpr_workgroup_id_x 1
		.amdhsa_system_sgpr_workgroup_id_y 0
		.amdhsa_system_sgpr_workgroup_id_z 0
		.amdhsa_system_sgpr_workgroup_info 0
		.amdhsa_system_vgpr_workitem_id 0
		.amdhsa_next_free_vgpr 68
		.amdhsa_next_free_sgpr 26
		.amdhsa_accum_offset 68
		.amdhsa_reserve_vcc 1
		.amdhsa_reserve_flat_scratch 0
		.amdhsa_float_round_mode_32 0
		.amdhsa_float_round_mode_16_64 0
		.amdhsa_float_denorm_mode_32 3
		.amdhsa_float_denorm_mode_16_64 3
		.amdhsa_dx10_clamp 1
		.amdhsa_ieee_mode 1
		.amdhsa_fp16_overflow 0
		.amdhsa_tg_split 0
		.amdhsa_exception_fp_ieee_invalid_op 0
		.amdhsa_exception_fp_denorm_src 0
		.amdhsa_exception_fp_ieee_div_zero 0
		.amdhsa_exception_fp_ieee_overflow 0
		.amdhsa_exception_fp_ieee_underflow 0
		.amdhsa_exception_fp_ieee_inexact 0
		.amdhsa_exception_int_div_zero 0
	.end_amdhsa_kernel
	.section	.text._ZN7rocprim17ROCPRIM_400000_NS6detail17trampoline_kernelINS0_14default_configENS1_20scan_config_selectorIdEEZZNS1_9scan_implILNS1_25lookback_scan_determinismE0ELb1ELb1ES3_N6thrust23THRUST_200600_302600_NS6detail15normal_iteratorINS9_10device_ptrIdEEEENS9_16discard_iteratorINS9_11use_defaultEEEdNS9_4plusIvEEdEEDaPvRmT3_T4_T5_mT6_P12ihipStream_tbENKUlT_T0_E_clISt17integral_constantIbLb0EESX_EEDaSS_ST_EUlSS_E_NS1_11comp_targetILNS1_3genE4ELNS1_11target_archE910ELNS1_3gpuE8ELNS1_3repE0EEENS1_30default_config_static_selectorELNS0_4arch9wavefront6targetE1EEEvT1_,"axG",@progbits,_ZN7rocprim17ROCPRIM_400000_NS6detail17trampoline_kernelINS0_14default_configENS1_20scan_config_selectorIdEEZZNS1_9scan_implILNS1_25lookback_scan_determinismE0ELb1ELb1ES3_N6thrust23THRUST_200600_302600_NS6detail15normal_iteratorINS9_10device_ptrIdEEEENS9_16discard_iteratorINS9_11use_defaultEEEdNS9_4plusIvEEdEEDaPvRmT3_T4_T5_mT6_P12ihipStream_tbENKUlT_T0_E_clISt17integral_constantIbLb0EESX_EEDaSS_ST_EUlSS_E_NS1_11comp_targetILNS1_3genE4ELNS1_11target_archE910ELNS1_3gpuE8ELNS1_3repE0EEENS1_30default_config_static_selectorELNS0_4arch9wavefront6targetE1EEEvT1_,comdat
.Lfunc_end4936:
	.size	_ZN7rocprim17ROCPRIM_400000_NS6detail17trampoline_kernelINS0_14default_configENS1_20scan_config_selectorIdEEZZNS1_9scan_implILNS1_25lookback_scan_determinismE0ELb1ELb1ES3_N6thrust23THRUST_200600_302600_NS6detail15normal_iteratorINS9_10device_ptrIdEEEENS9_16discard_iteratorINS9_11use_defaultEEEdNS9_4plusIvEEdEEDaPvRmT3_T4_T5_mT6_P12ihipStream_tbENKUlT_T0_E_clISt17integral_constantIbLb0EESX_EEDaSS_ST_EUlSS_E_NS1_11comp_targetILNS1_3genE4ELNS1_11target_archE910ELNS1_3gpuE8ELNS1_3repE0EEENS1_30default_config_static_selectorELNS0_4arch9wavefront6targetE1EEEvT1_, .Lfunc_end4936-_ZN7rocprim17ROCPRIM_400000_NS6detail17trampoline_kernelINS0_14default_configENS1_20scan_config_selectorIdEEZZNS1_9scan_implILNS1_25lookback_scan_determinismE0ELb1ELb1ES3_N6thrust23THRUST_200600_302600_NS6detail15normal_iteratorINS9_10device_ptrIdEEEENS9_16discard_iteratorINS9_11use_defaultEEEdNS9_4plusIvEEdEEDaPvRmT3_T4_T5_mT6_P12ihipStream_tbENKUlT_T0_E_clISt17integral_constantIbLb0EESX_EEDaSS_ST_EUlSS_E_NS1_11comp_targetILNS1_3genE4ELNS1_11target_archE910ELNS1_3gpuE8ELNS1_3repE0EEENS1_30default_config_static_selectorELNS0_4arch9wavefront6targetE1EEEvT1_
                                        ; -- End function
	.section	.AMDGPU.csdata,"",@progbits
; Kernel info:
; codeLenInByte = 5392
; NumSgprs: 30
; NumVgprs: 68
; NumAgprs: 0
; TotalNumVgprs: 68
; ScratchSize: 0
; MemoryBound: 0
; FloatMode: 240
; IeeeMode: 1
; LDSByteSize: 10240 bytes/workgroup (compile time only)
; SGPRBlocks: 3
; VGPRBlocks: 8
; NumSGPRsForWavesPerEU: 30
; NumVGPRsForWavesPerEU: 68
; AccumOffset: 68
; Occupancy: 3
; WaveLimiterHint : 1
; COMPUTE_PGM_RSRC2:SCRATCH_EN: 0
; COMPUTE_PGM_RSRC2:USER_SGPR: 6
; COMPUTE_PGM_RSRC2:TRAP_HANDLER: 0
; COMPUTE_PGM_RSRC2:TGID_X_EN: 1
; COMPUTE_PGM_RSRC2:TGID_Y_EN: 0
; COMPUTE_PGM_RSRC2:TGID_Z_EN: 0
; COMPUTE_PGM_RSRC2:TIDIG_COMP_CNT: 0
; COMPUTE_PGM_RSRC3_GFX90A:ACCUM_OFFSET: 16
; COMPUTE_PGM_RSRC3_GFX90A:TG_SPLIT: 0
	.section	.text._ZN7rocprim17ROCPRIM_400000_NS6detail17trampoline_kernelINS0_14default_configENS1_20scan_config_selectorIdEEZZNS1_9scan_implILNS1_25lookback_scan_determinismE0ELb1ELb1ES3_N6thrust23THRUST_200600_302600_NS6detail15normal_iteratorINS9_10device_ptrIdEEEENS9_16discard_iteratorINS9_11use_defaultEEEdNS9_4plusIvEEdEEDaPvRmT3_T4_T5_mT6_P12ihipStream_tbENKUlT_T0_E_clISt17integral_constantIbLb0EESX_EEDaSS_ST_EUlSS_E_NS1_11comp_targetILNS1_3genE3ELNS1_11target_archE908ELNS1_3gpuE7ELNS1_3repE0EEENS1_30default_config_static_selectorELNS0_4arch9wavefront6targetE1EEEvT1_,"axG",@progbits,_ZN7rocprim17ROCPRIM_400000_NS6detail17trampoline_kernelINS0_14default_configENS1_20scan_config_selectorIdEEZZNS1_9scan_implILNS1_25lookback_scan_determinismE0ELb1ELb1ES3_N6thrust23THRUST_200600_302600_NS6detail15normal_iteratorINS9_10device_ptrIdEEEENS9_16discard_iteratorINS9_11use_defaultEEEdNS9_4plusIvEEdEEDaPvRmT3_T4_T5_mT6_P12ihipStream_tbENKUlT_T0_E_clISt17integral_constantIbLb0EESX_EEDaSS_ST_EUlSS_E_NS1_11comp_targetILNS1_3genE3ELNS1_11target_archE908ELNS1_3gpuE7ELNS1_3repE0EEENS1_30default_config_static_selectorELNS0_4arch9wavefront6targetE1EEEvT1_,comdat
	.protected	_ZN7rocprim17ROCPRIM_400000_NS6detail17trampoline_kernelINS0_14default_configENS1_20scan_config_selectorIdEEZZNS1_9scan_implILNS1_25lookback_scan_determinismE0ELb1ELb1ES3_N6thrust23THRUST_200600_302600_NS6detail15normal_iteratorINS9_10device_ptrIdEEEENS9_16discard_iteratorINS9_11use_defaultEEEdNS9_4plusIvEEdEEDaPvRmT3_T4_T5_mT6_P12ihipStream_tbENKUlT_T0_E_clISt17integral_constantIbLb0EESX_EEDaSS_ST_EUlSS_E_NS1_11comp_targetILNS1_3genE3ELNS1_11target_archE908ELNS1_3gpuE7ELNS1_3repE0EEENS1_30default_config_static_selectorELNS0_4arch9wavefront6targetE1EEEvT1_ ; -- Begin function _ZN7rocprim17ROCPRIM_400000_NS6detail17trampoline_kernelINS0_14default_configENS1_20scan_config_selectorIdEEZZNS1_9scan_implILNS1_25lookback_scan_determinismE0ELb1ELb1ES3_N6thrust23THRUST_200600_302600_NS6detail15normal_iteratorINS9_10device_ptrIdEEEENS9_16discard_iteratorINS9_11use_defaultEEEdNS9_4plusIvEEdEEDaPvRmT3_T4_T5_mT6_P12ihipStream_tbENKUlT_T0_E_clISt17integral_constantIbLb0EESX_EEDaSS_ST_EUlSS_E_NS1_11comp_targetILNS1_3genE3ELNS1_11target_archE908ELNS1_3gpuE7ELNS1_3repE0EEENS1_30default_config_static_selectorELNS0_4arch9wavefront6targetE1EEEvT1_
	.globl	_ZN7rocprim17ROCPRIM_400000_NS6detail17trampoline_kernelINS0_14default_configENS1_20scan_config_selectorIdEEZZNS1_9scan_implILNS1_25lookback_scan_determinismE0ELb1ELb1ES3_N6thrust23THRUST_200600_302600_NS6detail15normal_iteratorINS9_10device_ptrIdEEEENS9_16discard_iteratorINS9_11use_defaultEEEdNS9_4plusIvEEdEEDaPvRmT3_T4_T5_mT6_P12ihipStream_tbENKUlT_T0_E_clISt17integral_constantIbLb0EESX_EEDaSS_ST_EUlSS_E_NS1_11comp_targetILNS1_3genE3ELNS1_11target_archE908ELNS1_3gpuE7ELNS1_3repE0EEENS1_30default_config_static_selectorELNS0_4arch9wavefront6targetE1EEEvT1_
	.p2align	8
	.type	_ZN7rocprim17ROCPRIM_400000_NS6detail17trampoline_kernelINS0_14default_configENS1_20scan_config_selectorIdEEZZNS1_9scan_implILNS1_25lookback_scan_determinismE0ELb1ELb1ES3_N6thrust23THRUST_200600_302600_NS6detail15normal_iteratorINS9_10device_ptrIdEEEENS9_16discard_iteratorINS9_11use_defaultEEEdNS9_4plusIvEEdEEDaPvRmT3_T4_T5_mT6_P12ihipStream_tbENKUlT_T0_E_clISt17integral_constantIbLb0EESX_EEDaSS_ST_EUlSS_E_NS1_11comp_targetILNS1_3genE3ELNS1_11target_archE908ELNS1_3gpuE7ELNS1_3repE0EEENS1_30default_config_static_selectorELNS0_4arch9wavefront6targetE1EEEvT1_,@function
_ZN7rocprim17ROCPRIM_400000_NS6detail17trampoline_kernelINS0_14default_configENS1_20scan_config_selectorIdEEZZNS1_9scan_implILNS1_25lookback_scan_determinismE0ELb1ELb1ES3_N6thrust23THRUST_200600_302600_NS6detail15normal_iteratorINS9_10device_ptrIdEEEENS9_16discard_iteratorINS9_11use_defaultEEEdNS9_4plusIvEEdEEDaPvRmT3_T4_T5_mT6_P12ihipStream_tbENKUlT_T0_E_clISt17integral_constantIbLb0EESX_EEDaSS_ST_EUlSS_E_NS1_11comp_targetILNS1_3genE3ELNS1_11target_archE908ELNS1_3gpuE7ELNS1_3repE0EEENS1_30default_config_static_selectorELNS0_4arch9wavefront6targetE1EEEvT1_: ; @_ZN7rocprim17ROCPRIM_400000_NS6detail17trampoline_kernelINS0_14default_configENS1_20scan_config_selectorIdEEZZNS1_9scan_implILNS1_25lookback_scan_determinismE0ELb1ELb1ES3_N6thrust23THRUST_200600_302600_NS6detail15normal_iteratorINS9_10device_ptrIdEEEENS9_16discard_iteratorINS9_11use_defaultEEEdNS9_4plusIvEEdEEDaPvRmT3_T4_T5_mT6_P12ihipStream_tbENKUlT_T0_E_clISt17integral_constantIbLb0EESX_EEDaSS_ST_EUlSS_E_NS1_11comp_targetILNS1_3genE3ELNS1_11target_archE908ELNS1_3gpuE7ELNS1_3repE0EEENS1_30default_config_static_selectorELNS0_4arch9wavefront6targetE1EEEvT1_
; %bb.0:
	.section	.rodata,"a",@progbits
	.p2align	6, 0x0
	.amdhsa_kernel _ZN7rocprim17ROCPRIM_400000_NS6detail17trampoline_kernelINS0_14default_configENS1_20scan_config_selectorIdEEZZNS1_9scan_implILNS1_25lookback_scan_determinismE0ELb1ELb1ES3_N6thrust23THRUST_200600_302600_NS6detail15normal_iteratorINS9_10device_ptrIdEEEENS9_16discard_iteratorINS9_11use_defaultEEEdNS9_4plusIvEEdEEDaPvRmT3_T4_T5_mT6_P12ihipStream_tbENKUlT_T0_E_clISt17integral_constantIbLb0EESX_EEDaSS_ST_EUlSS_E_NS1_11comp_targetILNS1_3genE3ELNS1_11target_archE908ELNS1_3gpuE7ELNS1_3repE0EEENS1_30default_config_static_selectorELNS0_4arch9wavefront6targetE1EEEvT1_
		.amdhsa_group_segment_fixed_size 0
		.amdhsa_private_segment_fixed_size 0
		.amdhsa_kernarg_size 112
		.amdhsa_user_sgpr_count 6
		.amdhsa_user_sgpr_private_segment_buffer 1
		.amdhsa_user_sgpr_dispatch_ptr 0
		.amdhsa_user_sgpr_queue_ptr 0
		.amdhsa_user_sgpr_kernarg_segment_ptr 1
		.amdhsa_user_sgpr_dispatch_id 0
		.amdhsa_user_sgpr_flat_scratch_init 0
		.amdhsa_user_sgpr_kernarg_preload_length 0
		.amdhsa_user_sgpr_kernarg_preload_offset 0
		.amdhsa_user_sgpr_private_segment_size 0
		.amdhsa_uses_dynamic_stack 0
		.amdhsa_system_sgpr_private_segment_wavefront_offset 0
		.amdhsa_system_sgpr_workgroup_id_x 1
		.amdhsa_system_sgpr_workgroup_id_y 0
		.amdhsa_system_sgpr_workgroup_id_z 0
		.amdhsa_system_sgpr_workgroup_info 0
		.amdhsa_system_vgpr_workitem_id 0
		.amdhsa_next_free_vgpr 1
		.amdhsa_next_free_sgpr 0
		.amdhsa_accum_offset 4
		.amdhsa_reserve_vcc 0
		.amdhsa_reserve_flat_scratch 0
		.amdhsa_float_round_mode_32 0
		.amdhsa_float_round_mode_16_64 0
		.amdhsa_float_denorm_mode_32 3
		.amdhsa_float_denorm_mode_16_64 3
		.amdhsa_dx10_clamp 1
		.amdhsa_ieee_mode 1
		.amdhsa_fp16_overflow 0
		.amdhsa_tg_split 0
		.amdhsa_exception_fp_ieee_invalid_op 0
		.amdhsa_exception_fp_denorm_src 0
		.amdhsa_exception_fp_ieee_div_zero 0
		.amdhsa_exception_fp_ieee_overflow 0
		.amdhsa_exception_fp_ieee_underflow 0
		.amdhsa_exception_fp_ieee_inexact 0
		.amdhsa_exception_int_div_zero 0
	.end_amdhsa_kernel
	.section	.text._ZN7rocprim17ROCPRIM_400000_NS6detail17trampoline_kernelINS0_14default_configENS1_20scan_config_selectorIdEEZZNS1_9scan_implILNS1_25lookback_scan_determinismE0ELb1ELb1ES3_N6thrust23THRUST_200600_302600_NS6detail15normal_iteratorINS9_10device_ptrIdEEEENS9_16discard_iteratorINS9_11use_defaultEEEdNS9_4plusIvEEdEEDaPvRmT3_T4_T5_mT6_P12ihipStream_tbENKUlT_T0_E_clISt17integral_constantIbLb0EESX_EEDaSS_ST_EUlSS_E_NS1_11comp_targetILNS1_3genE3ELNS1_11target_archE908ELNS1_3gpuE7ELNS1_3repE0EEENS1_30default_config_static_selectorELNS0_4arch9wavefront6targetE1EEEvT1_,"axG",@progbits,_ZN7rocprim17ROCPRIM_400000_NS6detail17trampoline_kernelINS0_14default_configENS1_20scan_config_selectorIdEEZZNS1_9scan_implILNS1_25lookback_scan_determinismE0ELb1ELb1ES3_N6thrust23THRUST_200600_302600_NS6detail15normal_iteratorINS9_10device_ptrIdEEEENS9_16discard_iteratorINS9_11use_defaultEEEdNS9_4plusIvEEdEEDaPvRmT3_T4_T5_mT6_P12ihipStream_tbENKUlT_T0_E_clISt17integral_constantIbLb0EESX_EEDaSS_ST_EUlSS_E_NS1_11comp_targetILNS1_3genE3ELNS1_11target_archE908ELNS1_3gpuE7ELNS1_3repE0EEENS1_30default_config_static_selectorELNS0_4arch9wavefront6targetE1EEEvT1_,comdat
.Lfunc_end4937:
	.size	_ZN7rocprim17ROCPRIM_400000_NS6detail17trampoline_kernelINS0_14default_configENS1_20scan_config_selectorIdEEZZNS1_9scan_implILNS1_25lookback_scan_determinismE0ELb1ELb1ES3_N6thrust23THRUST_200600_302600_NS6detail15normal_iteratorINS9_10device_ptrIdEEEENS9_16discard_iteratorINS9_11use_defaultEEEdNS9_4plusIvEEdEEDaPvRmT3_T4_T5_mT6_P12ihipStream_tbENKUlT_T0_E_clISt17integral_constantIbLb0EESX_EEDaSS_ST_EUlSS_E_NS1_11comp_targetILNS1_3genE3ELNS1_11target_archE908ELNS1_3gpuE7ELNS1_3repE0EEENS1_30default_config_static_selectorELNS0_4arch9wavefront6targetE1EEEvT1_, .Lfunc_end4937-_ZN7rocprim17ROCPRIM_400000_NS6detail17trampoline_kernelINS0_14default_configENS1_20scan_config_selectorIdEEZZNS1_9scan_implILNS1_25lookback_scan_determinismE0ELb1ELb1ES3_N6thrust23THRUST_200600_302600_NS6detail15normal_iteratorINS9_10device_ptrIdEEEENS9_16discard_iteratorINS9_11use_defaultEEEdNS9_4plusIvEEdEEDaPvRmT3_T4_T5_mT6_P12ihipStream_tbENKUlT_T0_E_clISt17integral_constantIbLb0EESX_EEDaSS_ST_EUlSS_E_NS1_11comp_targetILNS1_3genE3ELNS1_11target_archE908ELNS1_3gpuE7ELNS1_3repE0EEENS1_30default_config_static_selectorELNS0_4arch9wavefront6targetE1EEEvT1_
                                        ; -- End function
	.section	.AMDGPU.csdata,"",@progbits
; Kernel info:
; codeLenInByte = 0
; NumSgprs: 4
; NumVgprs: 0
; NumAgprs: 0
; TotalNumVgprs: 0
; ScratchSize: 0
; MemoryBound: 0
; FloatMode: 240
; IeeeMode: 1
; LDSByteSize: 0 bytes/workgroup (compile time only)
; SGPRBlocks: 0
; VGPRBlocks: 0
; NumSGPRsForWavesPerEU: 4
; NumVGPRsForWavesPerEU: 1
; AccumOffset: 4
; Occupancy: 8
; WaveLimiterHint : 0
; COMPUTE_PGM_RSRC2:SCRATCH_EN: 0
; COMPUTE_PGM_RSRC2:USER_SGPR: 6
; COMPUTE_PGM_RSRC2:TRAP_HANDLER: 0
; COMPUTE_PGM_RSRC2:TGID_X_EN: 1
; COMPUTE_PGM_RSRC2:TGID_Y_EN: 0
; COMPUTE_PGM_RSRC2:TGID_Z_EN: 0
; COMPUTE_PGM_RSRC2:TIDIG_COMP_CNT: 0
; COMPUTE_PGM_RSRC3_GFX90A:ACCUM_OFFSET: 0
; COMPUTE_PGM_RSRC3_GFX90A:TG_SPLIT: 0
	.section	.text._ZN7rocprim17ROCPRIM_400000_NS6detail17trampoline_kernelINS0_14default_configENS1_20scan_config_selectorIdEEZZNS1_9scan_implILNS1_25lookback_scan_determinismE0ELb1ELb1ES3_N6thrust23THRUST_200600_302600_NS6detail15normal_iteratorINS9_10device_ptrIdEEEENS9_16discard_iteratorINS9_11use_defaultEEEdNS9_4plusIvEEdEEDaPvRmT3_T4_T5_mT6_P12ihipStream_tbENKUlT_T0_E_clISt17integral_constantIbLb0EESX_EEDaSS_ST_EUlSS_E_NS1_11comp_targetILNS1_3genE2ELNS1_11target_archE906ELNS1_3gpuE6ELNS1_3repE0EEENS1_30default_config_static_selectorELNS0_4arch9wavefront6targetE1EEEvT1_,"axG",@progbits,_ZN7rocprim17ROCPRIM_400000_NS6detail17trampoline_kernelINS0_14default_configENS1_20scan_config_selectorIdEEZZNS1_9scan_implILNS1_25lookback_scan_determinismE0ELb1ELb1ES3_N6thrust23THRUST_200600_302600_NS6detail15normal_iteratorINS9_10device_ptrIdEEEENS9_16discard_iteratorINS9_11use_defaultEEEdNS9_4plusIvEEdEEDaPvRmT3_T4_T5_mT6_P12ihipStream_tbENKUlT_T0_E_clISt17integral_constantIbLb0EESX_EEDaSS_ST_EUlSS_E_NS1_11comp_targetILNS1_3genE2ELNS1_11target_archE906ELNS1_3gpuE6ELNS1_3repE0EEENS1_30default_config_static_selectorELNS0_4arch9wavefront6targetE1EEEvT1_,comdat
	.protected	_ZN7rocprim17ROCPRIM_400000_NS6detail17trampoline_kernelINS0_14default_configENS1_20scan_config_selectorIdEEZZNS1_9scan_implILNS1_25lookback_scan_determinismE0ELb1ELb1ES3_N6thrust23THRUST_200600_302600_NS6detail15normal_iteratorINS9_10device_ptrIdEEEENS9_16discard_iteratorINS9_11use_defaultEEEdNS9_4plusIvEEdEEDaPvRmT3_T4_T5_mT6_P12ihipStream_tbENKUlT_T0_E_clISt17integral_constantIbLb0EESX_EEDaSS_ST_EUlSS_E_NS1_11comp_targetILNS1_3genE2ELNS1_11target_archE906ELNS1_3gpuE6ELNS1_3repE0EEENS1_30default_config_static_selectorELNS0_4arch9wavefront6targetE1EEEvT1_ ; -- Begin function _ZN7rocprim17ROCPRIM_400000_NS6detail17trampoline_kernelINS0_14default_configENS1_20scan_config_selectorIdEEZZNS1_9scan_implILNS1_25lookback_scan_determinismE0ELb1ELb1ES3_N6thrust23THRUST_200600_302600_NS6detail15normal_iteratorINS9_10device_ptrIdEEEENS9_16discard_iteratorINS9_11use_defaultEEEdNS9_4plusIvEEdEEDaPvRmT3_T4_T5_mT6_P12ihipStream_tbENKUlT_T0_E_clISt17integral_constantIbLb0EESX_EEDaSS_ST_EUlSS_E_NS1_11comp_targetILNS1_3genE2ELNS1_11target_archE906ELNS1_3gpuE6ELNS1_3repE0EEENS1_30default_config_static_selectorELNS0_4arch9wavefront6targetE1EEEvT1_
	.globl	_ZN7rocprim17ROCPRIM_400000_NS6detail17trampoline_kernelINS0_14default_configENS1_20scan_config_selectorIdEEZZNS1_9scan_implILNS1_25lookback_scan_determinismE0ELb1ELb1ES3_N6thrust23THRUST_200600_302600_NS6detail15normal_iteratorINS9_10device_ptrIdEEEENS9_16discard_iteratorINS9_11use_defaultEEEdNS9_4plusIvEEdEEDaPvRmT3_T4_T5_mT6_P12ihipStream_tbENKUlT_T0_E_clISt17integral_constantIbLb0EESX_EEDaSS_ST_EUlSS_E_NS1_11comp_targetILNS1_3genE2ELNS1_11target_archE906ELNS1_3gpuE6ELNS1_3repE0EEENS1_30default_config_static_selectorELNS0_4arch9wavefront6targetE1EEEvT1_
	.p2align	8
	.type	_ZN7rocprim17ROCPRIM_400000_NS6detail17trampoline_kernelINS0_14default_configENS1_20scan_config_selectorIdEEZZNS1_9scan_implILNS1_25lookback_scan_determinismE0ELb1ELb1ES3_N6thrust23THRUST_200600_302600_NS6detail15normal_iteratorINS9_10device_ptrIdEEEENS9_16discard_iteratorINS9_11use_defaultEEEdNS9_4plusIvEEdEEDaPvRmT3_T4_T5_mT6_P12ihipStream_tbENKUlT_T0_E_clISt17integral_constantIbLb0EESX_EEDaSS_ST_EUlSS_E_NS1_11comp_targetILNS1_3genE2ELNS1_11target_archE906ELNS1_3gpuE6ELNS1_3repE0EEENS1_30default_config_static_selectorELNS0_4arch9wavefront6targetE1EEEvT1_,@function
_ZN7rocprim17ROCPRIM_400000_NS6detail17trampoline_kernelINS0_14default_configENS1_20scan_config_selectorIdEEZZNS1_9scan_implILNS1_25lookback_scan_determinismE0ELb1ELb1ES3_N6thrust23THRUST_200600_302600_NS6detail15normal_iteratorINS9_10device_ptrIdEEEENS9_16discard_iteratorINS9_11use_defaultEEEdNS9_4plusIvEEdEEDaPvRmT3_T4_T5_mT6_P12ihipStream_tbENKUlT_T0_E_clISt17integral_constantIbLb0EESX_EEDaSS_ST_EUlSS_E_NS1_11comp_targetILNS1_3genE2ELNS1_11target_archE906ELNS1_3gpuE6ELNS1_3repE0EEENS1_30default_config_static_selectorELNS0_4arch9wavefront6targetE1EEEvT1_: ; @_ZN7rocprim17ROCPRIM_400000_NS6detail17trampoline_kernelINS0_14default_configENS1_20scan_config_selectorIdEEZZNS1_9scan_implILNS1_25lookback_scan_determinismE0ELb1ELb1ES3_N6thrust23THRUST_200600_302600_NS6detail15normal_iteratorINS9_10device_ptrIdEEEENS9_16discard_iteratorINS9_11use_defaultEEEdNS9_4plusIvEEdEEDaPvRmT3_T4_T5_mT6_P12ihipStream_tbENKUlT_T0_E_clISt17integral_constantIbLb0EESX_EEDaSS_ST_EUlSS_E_NS1_11comp_targetILNS1_3genE2ELNS1_11target_archE906ELNS1_3gpuE6ELNS1_3repE0EEENS1_30default_config_static_selectorELNS0_4arch9wavefront6targetE1EEEvT1_
; %bb.0:
	.section	.rodata,"a",@progbits
	.p2align	6, 0x0
	.amdhsa_kernel _ZN7rocprim17ROCPRIM_400000_NS6detail17trampoline_kernelINS0_14default_configENS1_20scan_config_selectorIdEEZZNS1_9scan_implILNS1_25lookback_scan_determinismE0ELb1ELb1ES3_N6thrust23THRUST_200600_302600_NS6detail15normal_iteratorINS9_10device_ptrIdEEEENS9_16discard_iteratorINS9_11use_defaultEEEdNS9_4plusIvEEdEEDaPvRmT3_T4_T5_mT6_P12ihipStream_tbENKUlT_T0_E_clISt17integral_constantIbLb0EESX_EEDaSS_ST_EUlSS_E_NS1_11comp_targetILNS1_3genE2ELNS1_11target_archE906ELNS1_3gpuE6ELNS1_3repE0EEENS1_30default_config_static_selectorELNS0_4arch9wavefront6targetE1EEEvT1_
		.amdhsa_group_segment_fixed_size 0
		.amdhsa_private_segment_fixed_size 0
		.amdhsa_kernarg_size 112
		.amdhsa_user_sgpr_count 6
		.amdhsa_user_sgpr_private_segment_buffer 1
		.amdhsa_user_sgpr_dispatch_ptr 0
		.amdhsa_user_sgpr_queue_ptr 0
		.amdhsa_user_sgpr_kernarg_segment_ptr 1
		.amdhsa_user_sgpr_dispatch_id 0
		.amdhsa_user_sgpr_flat_scratch_init 0
		.amdhsa_user_sgpr_kernarg_preload_length 0
		.amdhsa_user_sgpr_kernarg_preload_offset 0
		.amdhsa_user_sgpr_private_segment_size 0
		.amdhsa_uses_dynamic_stack 0
		.amdhsa_system_sgpr_private_segment_wavefront_offset 0
		.amdhsa_system_sgpr_workgroup_id_x 1
		.amdhsa_system_sgpr_workgroup_id_y 0
		.amdhsa_system_sgpr_workgroup_id_z 0
		.amdhsa_system_sgpr_workgroup_info 0
		.amdhsa_system_vgpr_workitem_id 0
		.amdhsa_next_free_vgpr 1
		.amdhsa_next_free_sgpr 0
		.amdhsa_accum_offset 4
		.amdhsa_reserve_vcc 0
		.amdhsa_reserve_flat_scratch 0
		.amdhsa_float_round_mode_32 0
		.amdhsa_float_round_mode_16_64 0
		.amdhsa_float_denorm_mode_32 3
		.amdhsa_float_denorm_mode_16_64 3
		.amdhsa_dx10_clamp 1
		.amdhsa_ieee_mode 1
		.amdhsa_fp16_overflow 0
		.amdhsa_tg_split 0
		.amdhsa_exception_fp_ieee_invalid_op 0
		.amdhsa_exception_fp_denorm_src 0
		.amdhsa_exception_fp_ieee_div_zero 0
		.amdhsa_exception_fp_ieee_overflow 0
		.amdhsa_exception_fp_ieee_underflow 0
		.amdhsa_exception_fp_ieee_inexact 0
		.amdhsa_exception_int_div_zero 0
	.end_amdhsa_kernel
	.section	.text._ZN7rocprim17ROCPRIM_400000_NS6detail17trampoline_kernelINS0_14default_configENS1_20scan_config_selectorIdEEZZNS1_9scan_implILNS1_25lookback_scan_determinismE0ELb1ELb1ES3_N6thrust23THRUST_200600_302600_NS6detail15normal_iteratorINS9_10device_ptrIdEEEENS9_16discard_iteratorINS9_11use_defaultEEEdNS9_4plusIvEEdEEDaPvRmT3_T4_T5_mT6_P12ihipStream_tbENKUlT_T0_E_clISt17integral_constantIbLb0EESX_EEDaSS_ST_EUlSS_E_NS1_11comp_targetILNS1_3genE2ELNS1_11target_archE906ELNS1_3gpuE6ELNS1_3repE0EEENS1_30default_config_static_selectorELNS0_4arch9wavefront6targetE1EEEvT1_,"axG",@progbits,_ZN7rocprim17ROCPRIM_400000_NS6detail17trampoline_kernelINS0_14default_configENS1_20scan_config_selectorIdEEZZNS1_9scan_implILNS1_25lookback_scan_determinismE0ELb1ELb1ES3_N6thrust23THRUST_200600_302600_NS6detail15normal_iteratorINS9_10device_ptrIdEEEENS9_16discard_iteratorINS9_11use_defaultEEEdNS9_4plusIvEEdEEDaPvRmT3_T4_T5_mT6_P12ihipStream_tbENKUlT_T0_E_clISt17integral_constantIbLb0EESX_EEDaSS_ST_EUlSS_E_NS1_11comp_targetILNS1_3genE2ELNS1_11target_archE906ELNS1_3gpuE6ELNS1_3repE0EEENS1_30default_config_static_selectorELNS0_4arch9wavefront6targetE1EEEvT1_,comdat
.Lfunc_end4938:
	.size	_ZN7rocprim17ROCPRIM_400000_NS6detail17trampoline_kernelINS0_14default_configENS1_20scan_config_selectorIdEEZZNS1_9scan_implILNS1_25lookback_scan_determinismE0ELb1ELb1ES3_N6thrust23THRUST_200600_302600_NS6detail15normal_iteratorINS9_10device_ptrIdEEEENS9_16discard_iteratorINS9_11use_defaultEEEdNS9_4plusIvEEdEEDaPvRmT3_T4_T5_mT6_P12ihipStream_tbENKUlT_T0_E_clISt17integral_constantIbLb0EESX_EEDaSS_ST_EUlSS_E_NS1_11comp_targetILNS1_3genE2ELNS1_11target_archE906ELNS1_3gpuE6ELNS1_3repE0EEENS1_30default_config_static_selectorELNS0_4arch9wavefront6targetE1EEEvT1_, .Lfunc_end4938-_ZN7rocprim17ROCPRIM_400000_NS6detail17trampoline_kernelINS0_14default_configENS1_20scan_config_selectorIdEEZZNS1_9scan_implILNS1_25lookback_scan_determinismE0ELb1ELb1ES3_N6thrust23THRUST_200600_302600_NS6detail15normal_iteratorINS9_10device_ptrIdEEEENS9_16discard_iteratorINS9_11use_defaultEEEdNS9_4plusIvEEdEEDaPvRmT3_T4_T5_mT6_P12ihipStream_tbENKUlT_T0_E_clISt17integral_constantIbLb0EESX_EEDaSS_ST_EUlSS_E_NS1_11comp_targetILNS1_3genE2ELNS1_11target_archE906ELNS1_3gpuE6ELNS1_3repE0EEENS1_30default_config_static_selectorELNS0_4arch9wavefront6targetE1EEEvT1_
                                        ; -- End function
	.section	.AMDGPU.csdata,"",@progbits
; Kernel info:
; codeLenInByte = 0
; NumSgprs: 4
; NumVgprs: 0
; NumAgprs: 0
; TotalNumVgprs: 0
; ScratchSize: 0
; MemoryBound: 0
; FloatMode: 240
; IeeeMode: 1
; LDSByteSize: 0 bytes/workgroup (compile time only)
; SGPRBlocks: 0
; VGPRBlocks: 0
; NumSGPRsForWavesPerEU: 4
; NumVGPRsForWavesPerEU: 1
; AccumOffset: 4
; Occupancy: 8
; WaveLimiterHint : 0
; COMPUTE_PGM_RSRC2:SCRATCH_EN: 0
; COMPUTE_PGM_RSRC2:USER_SGPR: 6
; COMPUTE_PGM_RSRC2:TRAP_HANDLER: 0
; COMPUTE_PGM_RSRC2:TGID_X_EN: 1
; COMPUTE_PGM_RSRC2:TGID_Y_EN: 0
; COMPUTE_PGM_RSRC2:TGID_Z_EN: 0
; COMPUTE_PGM_RSRC2:TIDIG_COMP_CNT: 0
; COMPUTE_PGM_RSRC3_GFX90A:ACCUM_OFFSET: 0
; COMPUTE_PGM_RSRC3_GFX90A:TG_SPLIT: 0
	.section	.text._ZN7rocprim17ROCPRIM_400000_NS6detail17trampoline_kernelINS0_14default_configENS1_20scan_config_selectorIdEEZZNS1_9scan_implILNS1_25lookback_scan_determinismE0ELb1ELb1ES3_N6thrust23THRUST_200600_302600_NS6detail15normal_iteratorINS9_10device_ptrIdEEEENS9_16discard_iteratorINS9_11use_defaultEEEdNS9_4plusIvEEdEEDaPvRmT3_T4_T5_mT6_P12ihipStream_tbENKUlT_T0_E_clISt17integral_constantIbLb0EESX_EEDaSS_ST_EUlSS_E_NS1_11comp_targetILNS1_3genE10ELNS1_11target_archE1201ELNS1_3gpuE5ELNS1_3repE0EEENS1_30default_config_static_selectorELNS0_4arch9wavefront6targetE1EEEvT1_,"axG",@progbits,_ZN7rocprim17ROCPRIM_400000_NS6detail17trampoline_kernelINS0_14default_configENS1_20scan_config_selectorIdEEZZNS1_9scan_implILNS1_25lookback_scan_determinismE0ELb1ELb1ES3_N6thrust23THRUST_200600_302600_NS6detail15normal_iteratorINS9_10device_ptrIdEEEENS9_16discard_iteratorINS9_11use_defaultEEEdNS9_4plusIvEEdEEDaPvRmT3_T4_T5_mT6_P12ihipStream_tbENKUlT_T0_E_clISt17integral_constantIbLb0EESX_EEDaSS_ST_EUlSS_E_NS1_11comp_targetILNS1_3genE10ELNS1_11target_archE1201ELNS1_3gpuE5ELNS1_3repE0EEENS1_30default_config_static_selectorELNS0_4arch9wavefront6targetE1EEEvT1_,comdat
	.protected	_ZN7rocprim17ROCPRIM_400000_NS6detail17trampoline_kernelINS0_14default_configENS1_20scan_config_selectorIdEEZZNS1_9scan_implILNS1_25lookback_scan_determinismE0ELb1ELb1ES3_N6thrust23THRUST_200600_302600_NS6detail15normal_iteratorINS9_10device_ptrIdEEEENS9_16discard_iteratorINS9_11use_defaultEEEdNS9_4plusIvEEdEEDaPvRmT3_T4_T5_mT6_P12ihipStream_tbENKUlT_T0_E_clISt17integral_constantIbLb0EESX_EEDaSS_ST_EUlSS_E_NS1_11comp_targetILNS1_3genE10ELNS1_11target_archE1201ELNS1_3gpuE5ELNS1_3repE0EEENS1_30default_config_static_selectorELNS0_4arch9wavefront6targetE1EEEvT1_ ; -- Begin function _ZN7rocprim17ROCPRIM_400000_NS6detail17trampoline_kernelINS0_14default_configENS1_20scan_config_selectorIdEEZZNS1_9scan_implILNS1_25lookback_scan_determinismE0ELb1ELb1ES3_N6thrust23THRUST_200600_302600_NS6detail15normal_iteratorINS9_10device_ptrIdEEEENS9_16discard_iteratorINS9_11use_defaultEEEdNS9_4plusIvEEdEEDaPvRmT3_T4_T5_mT6_P12ihipStream_tbENKUlT_T0_E_clISt17integral_constantIbLb0EESX_EEDaSS_ST_EUlSS_E_NS1_11comp_targetILNS1_3genE10ELNS1_11target_archE1201ELNS1_3gpuE5ELNS1_3repE0EEENS1_30default_config_static_selectorELNS0_4arch9wavefront6targetE1EEEvT1_
	.globl	_ZN7rocprim17ROCPRIM_400000_NS6detail17trampoline_kernelINS0_14default_configENS1_20scan_config_selectorIdEEZZNS1_9scan_implILNS1_25lookback_scan_determinismE0ELb1ELb1ES3_N6thrust23THRUST_200600_302600_NS6detail15normal_iteratorINS9_10device_ptrIdEEEENS9_16discard_iteratorINS9_11use_defaultEEEdNS9_4plusIvEEdEEDaPvRmT3_T4_T5_mT6_P12ihipStream_tbENKUlT_T0_E_clISt17integral_constantIbLb0EESX_EEDaSS_ST_EUlSS_E_NS1_11comp_targetILNS1_3genE10ELNS1_11target_archE1201ELNS1_3gpuE5ELNS1_3repE0EEENS1_30default_config_static_selectorELNS0_4arch9wavefront6targetE1EEEvT1_
	.p2align	8
	.type	_ZN7rocprim17ROCPRIM_400000_NS6detail17trampoline_kernelINS0_14default_configENS1_20scan_config_selectorIdEEZZNS1_9scan_implILNS1_25lookback_scan_determinismE0ELb1ELb1ES3_N6thrust23THRUST_200600_302600_NS6detail15normal_iteratorINS9_10device_ptrIdEEEENS9_16discard_iteratorINS9_11use_defaultEEEdNS9_4plusIvEEdEEDaPvRmT3_T4_T5_mT6_P12ihipStream_tbENKUlT_T0_E_clISt17integral_constantIbLb0EESX_EEDaSS_ST_EUlSS_E_NS1_11comp_targetILNS1_3genE10ELNS1_11target_archE1201ELNS1_3gpuE5ELNS1_3repE0EEENS1_30default_config_static_selectorELNS0_4arch9wavefront6targetE1EEEvT1_,@function
_ZN7rocprim17ROCPRIM_400000_NS6detail17trampoline_kernelINS0_14default_configENS1_20scan_config_selectorIdEEZZNS1_9scan_implILNS1_25lookback_scan_determinismE0ELb1ELb1ES3_N6thrust23THRUST_200600_302600_NS6detail15normal_iteratorINS9_10device_ptrIdEEEENS9_16discard_iteratorINS9_11use_defaultEEEdNS9_4plusIvEEdEEDaPvRmT3_T4_T5_mT6_P12ihipStream_tbENKUlT_T0_E_clISt17integral_constantIbLb0EESX_EEDaSS_ST_EUlSS_E_NS1_11comp_targetILNS1_3genE10ELNS1_11target_archE1201ELNS1_3gpuE5ELNS1_3repE0EEENS1_30default_config_static_selectorELNS0_4arch9wavefront6targetE1EEEvT1_: ; @_ZN7rocprim17ROCPRIM_400000_NS6detail17trampoline_kernelINS0_14default_configENS1_20scan_config_selectorIdEEZZNS1_9scan_implILNS1_25lookback_scan_determinismE0ELb1ELb1ES3_N6thrust23THRUST_200600_302600_NS6detail15normal_iteratorINS9_10device_ptrIdEEEENS9_16discard_iteratorINS9_11use_defaultEEEdNS9_4plusIvEEdEEDaPvRmT3_T4_T5_mT6_P12ihipStream_tbENKUlT_T0_E_clISt17integral_constantIbLb0EESX_EEDaSS_ST_EUlSS_E_NS1_11comp_targetILNS1_3genE10ELNS1_11target_archE1201ELNS1_3gpuE5ELNS1_3repE0EEENS1_30default_config_static_selectorELNS0_4arch9wavefront6targetE1EEEvT1_
; %bb.0:
	.section	.rodata,"a",@progbits
	.p2align	6, 0x0
	.amdhsa_kernel _ZN7rocprim17ROCPRIM_400000_NS6detail17trampoline_kernelINS0_14default_configENS1_20scan_config_selectorIdEEZZNS1_9scan_implILNS1_25lookback_scan_determinismE0ELb1ELb1ES3_N6thrust23THRUST_200600_302600_NS6detail15normal_iteratorINS9_10device_ptrIdEEEENS9_16discard_iteratorINS9_11use_defaultEEEdNS9_4plusIvEEdEEDaPvRmT3_T4_T5_mT6_P12ihipStream_tbENKUlT_T0_E_clISt17integral_constantIbLb0EESX_EEDaSS_ST_EUlSS_E_NS1_11comp_targetILNS1_3genE10ELNS1_11target_archE1201ELNS1_3gpuE5ELNS1_3repE0EEENS1_30default_config_static_selectorELNS0_4arch9wavefront6targetE1EEEvT1_
		.amdhsa_group_segment_fixed_size 0
		.amdhsa_private_segment_fixed_size 0
		.amdhsa_kernarg_size 112
		.amdhsa_user_sgpr_count 6
		.amdhsa_user_sgpr_private_segment_buffer 1
		.amdhsa_user_sgpr_dispatch_ptr 0
		.amdhsa_user_sgpr_queue_ptr 0
		.amdhsa_user_sgpr_kernarg_segment_ptr 1
		.amdhsa_user_sgpr_dispatch_id 0
		.amdhsa_user_sgpr_flat_scratch_init 0
		.amdhsa_user_sgpr_kernarg_preload_length 0
		.amdhsa_user_sgpr_kernarg_preload_offset 0
		.amdhsa_user_sgpr_private_segment_size 0
		.amdhsa_uses_dynamic_stack 0
		.amdhsa_system_sgpr_private_segment_wavefront_offset 0
		.amdhsa_system_sgpr_workgroup_id_x 1
		.amdhsa_system_sgpr_workgroup_id_y 0
		.amdhsa_system_sgpr_workgroup_id_z 0
		.amdhsa_system_sgpr_workgroup_info 0
		.amdhsa_system_vgpr_workitem_id 0
		.amdhsa_next_free_vgpr 1
		.amdhsa_next_free_sgpr 0
		.amdhsa_accum_offset 4
		.amdhsa_reserve_vcc 0
		.amdhsa_reserve_flat_scratch 0
		.amdhsa_float_round_mode_32 0
		.amdhsa_float_round_mode_16_64 0
		.amdhsa_float_denorm_mode_32 3
		.amdhsa_float_denorm_mode_16_64 3
		.amdhsa_dx10_clamp 1
		.amdhsa_ieee_mode 1
		.amdhsa_fp16_overflow 0
		.amdhsa_tg_split 0
		.amdhsa_exception_fp_ieee_invalid_op 0
		.amdhsa_exception_fp_denorm_src 0
		.amdhsa_exception_fp_ieee_div_zero 0
		.amdhsa_exception_fp_ieee_overflow 0
		.amdhsa_exception_fp_ieee_underflow 0
		.amdhsa_exception_fp_ieee_inexact 0
		.amdhsa_exception_int_div_zero 0
	.end_amdhsa_kernel
	.section	.text._ZN7rocprim17ROCPRIM_400000_NS6detail17trampoline_kernelINS0_14default_configENS1_20scan_config_selectorIdEEZZNS1_9scan_implILNS1_25lookback_scan_determinismE0ELb1ELb1ES3_N6thrust23THRUST_200600_302600_NS6detail15normal_iteratorINS9_10device_ptrIdEEEENS9_16discard_iteratorINS9_11use_defaultEEEdNS9_4plusIvEEdEEDaPvRmT3_T4_T5_mT6_P12ihipStream_tbENKUlT_T0_E_clISt17integral_constantIbLb0EESX_EEDaSS_ST_EUlSS_E_NS1_11comp_targetILNS1_3genE10ELNS1_11target_archE1201ELNS1_3gpuE5ELNS1_3repE0EEENS1_30default_config_static_selectorELNS0_4arch9wavefront6targetE1EEEvT1_,"axG",@progbits,_ZN7rocprim17ROCPRIM_400000_NS6detail17trampoline_kernelINS0_14default_configENS1_20scan_config_selectorIdEEZZNS1_9scan_implILNS1_25lookback_scan_determinismE0ELb1ELb1ES3_N6thrust23THRUST_200600_302600_NS6detail15normal_iteratorINS9_10device_ptrIdEEEENS9_16discard_iteratorINS9_11use_defaultEEEdNS9_4plusIvEEdEEDaPvRmT3_T4_T5_mT6_P12ihipStream_tbENKUlT_T0_E_clISt17integral_constantIbLb0EESX_EEDaSS_ST_EUlSS_E_NS1_11comp_targetILNS1_3genE10ELNS1_11target_archE1201ELNS1_3gpuE5ELNS1_3repE0EEENS1_30default_config_static_selectorELNS0_4arch9wavefront6targetE1EEEvT1_,comdat
.Lfunc_end4939:
	.size	_ZN7rocprim17ROCPRIM_400000_NS6detail17trampoline_kernelINS0_14default_configENS1_20scan_config_selectorIdEEZZNS1_9scan_implILNS1_25lookback_scan_determinismE0ELb1ELb1ES3_N6thrust23THRUST_200600_302600_NS6detail15normal_iteratorINS9_10device_ptrIdEEEENS9_16discard_iteratorINS9_11use_defaultEEEdNS9_4plusIvEEdEEDaPvRmT3_T4_T5_mT6_P12ihipStream_tbENKUlT_T0_E_clISt17integral_constantIbLb0EESX_EEDaSS_ST_EUlSS_E_NS1_11comp_targetILNS1_3genE10ELNS1_11target_archE1201ELNS1_3gpuE5ELNS1_3repE0EEENS1_30default_config_static_selectorELNS0_4arch9wavefront6targetE1EEEvT1_, .Lfunc_end4939-_ZN7rocprim17ROCPRIM_400000_NS6detail17trampoline_kernelINS0_14default_configENS1_20scan_config_selectorIdEEZZNS1_9scan_implILNS1_25lookback_scan_determinismE0ELb1ELb1ES3_N6thrust23THRUST_200600_302600_NS6detail15normal_iteratorINS9_10device_ptrIdEEEENS9_16discard_iteratorINS9_11use_defaultEEEdNS9_4plusIvEEdEEDaPvRmT3_T4_T5_mT6_P12ihipStream_tbENKUlT_T0_E_clISt17integral_constantIbLb0EESX_EEDaSS_ST_EUlSS_E_NS1_11comp_targetILNS1_3genE10ELNS1_11target_archE1201ELNS1_3gpuE5ELNS1_3repE0EEENS1_30default_config_static_selectorELNS0_4arch9wavefront6targetE1EEEvT1_
                                        ; -- End function
	.section	.AMDGPU.csdata,"",@progbits
; Kernel info:
; codeLenInByte = 0
; NumSgprs: 4
; NumVgprs: 0
; NumAgprs: 0
; TotalNumVgprs: 0
; ScratchSize: 0
; MemoryBound: 0
; FloatMode: 240
; IeeeMode: 1
; LDSByteSize: 0 bytes/workgroup (compile time only)
; SGPRBlocks: 0
; VGPRBlocks: 0
; NumSGPRsForWavesPerEU: 4
; NumVGPRsForWavesPerEU: 1
; AccumOffset: 4
; Occupancy: 8
; WaveLimiterHint : 0
; COMPUTE_PGM_RSRC2:SCRATCH_EN: 0
; COMPUTE_PGM_RSRC2:USER_SGPR: 6
; COMPUTE_PGM_RSRC2:TRAP_HANDLER: 0
; COMPUTE_PGM_RSRC2:TGID_X_EN: 1
; COMPUTE_PGM_RSRC2:TGID_Y_EN: 0
; COMPUTE_PGM_RSRC2:TGID_Z_EN: 0
; COMPUTE_PGM_RSRC2:TIDIG_COMP_CNT: 0
; COMPUTE_PGM_RSRC3_GFX90A:ACCUM_OFFSET: 0
; COMPUTE_PGM_RSRC3_GFX90A:TG_SPLIT: 0
	.section	.text._ZN7rocprim17ROCPRIM_400000_NS6detail17trampoline_kernelINS0_14default_configENS1_20scan_config_selectorIdEEZZNS1_9scan_implILNS1_25lookback_scan_determinismE0ELb1ELb1ES3_N6thrust23THRUST_200600_302600_NS6detail15normal_iteratorINS9_10device_ptrIdEEEENS9_16discard_iteratorINS9_11use_defaultEEEdNS9_4plusIvEEdEEDaPvRmT3_T4_T5_mT6_P12ihipStream_tbENKUlT_T0_E_clISt17integral_constantIbLb0EESX_EEDaSS_ST_EUlSS_E_NS1_11comp_targetILNS1_3genE10ELNS1_11target_archE1200ELNS1_3gpuE4ELNS1_3repE0EEENS1_30default_config_static_selectorELNS0_4arch9wavefront6targetE1EEEvT1_,"axG",@progbits,_ZN7rocprim17ROCPRIM_400000_NS6detail17trampoline_kernelINS0_14default_configENS1_20scan_config_selectorIdEEZZNS1_9scan_implILNS1_25lookback_scan_determinismE0ELb1ELb1ES3_N6thrust23THRUST_200600_302600_NS6detail15normal_iteratorINS9_10device_ptrIdEEEENS9_16discard_iteratorINS9_11use_defaultEEEdNS9_4plusIvEEdEEDaPvRmT3_T4_T5_mT6_P12ihipStream_tbENKUlT_T0_E_clISt17integral_constantIbLb0EESX_EEDaSS_ST_EUlSS_E_NS1_11comp_targetILNS1_3genE10ELNS1_11target_archE1200ELNS1_3gpuE4ELNS1_3repE0EEENS1_30default_config_static_selectorELNS0_4arch9wavefront6targetE1EEEvT1_,comdat
	.protected	_ZN7rocprim17ROCPRIM_400000_NS6detail17trampoline_kernelINS0_14default_configENS1_20scan_config_selectorIdEEZZNS1_9scan_implILNS1_25lookback_scan_determinismE0ELb1ELb1ES3_N6thrust23THRUST_200600_302600_NS6detail15normal_iteratorINS9_10device_ptrIdEEEENS9_16discard_iteratorINS9_11use_defaultEEEdNS9_4plusIvEEdEEDaPvRmT3_T4_T5_mT6_P12ihipStream_tbENKUlT_T0_E_clISt17integral_constantIbLb0EESX_EEDaSS_ST_EUlSS_E_NS1_11comp_targetILNS1_3genE10ELNS1_11target_archE1200ELNS1_3gpuE4ELNS1_3repE0EEENS1_30default_config_static_selectorELNS0_4arch9wavefront6targetE1EEEvT1_ ; -- Begin function _ZN7rocprim17ROCPRIM_400000_NS6detail17trampoline_kernelINS0_14default_configENS1_20scan_config_selectorIdEEZZNS1_9scan_implILNS1_25lookback_scan_determinismE0ELb1ELb1ES3_N6thrust23THRUST_200600_302600_NS6detail15normal_iteratorINS9_10device_ptrIdEEEENS9_16discard_iteratorINS9_11use_defaultEEEdNS9_4plusIvEEdEEDaPvRmT3_T4_T5_mT6_P12ihipStream_tbENKUlT_T0_E_clISt17integral_constantIbLb0EESX_EEDaSS_ST_EUlSS_E_NS1_11comp_targetILNS1_3genE10ELNS1_11target_archE1200ELNS1_3gpuE4ELNS1_3repE0EEENS1_30default_config_static_selectorELNS0_4arch9wavefront6targetE1EEEvT1_
	.globl	_ZN7rocprim17ROCPRIM_400000_NS6detail17trampoline_kernelINS0_14default_configENS1_20scan_config_selectorIdEEZZNS1_9scan_implILNS1_25lookback_scan_determinismE0ELb1ELb1ES3_N6thrust23THRUST_200600_302600_NS6detail15normal_iteratorINS9_10device_ptrIdEEEENS9_16discard_iteratorINS9_11use_defaultEEEdNS9_4plusIvEEdEEDaPvRmT3_T4_T5_mT6_P12ihipStream_tbENKUlT_T0_E_clISt17integral_constantIbLb0EESX_EEDaSS_ST_EUlSS_E_NS1_11comp_targetILNS1_3genE10ELNS1_11target_archE1200ELNS1_3gpuE4ELNS1_3repE0EEENS1_30default_config_static_selectorELNS0_4arch9wavefront6targetE1EEEvT1_
	.p2align	8
	.type	_ZN7rocprim17ROCPRIM_400000_NS6detail17trampoline_kernelINS0_14default_configENS1_20scan_config_selectorIdEEZZNS1_9scan_implILNS1_25lookback_scan_determinismE0ELb1ELb1ES3_N6thrust23THRUST_200600_302600_NS6detail15normal_iteratorINS9_10device_ptrIdEEEENS9_16discard_iteratorINS9_11use_defaultEEEdNS9_4plusIvEEdEEDaPvRmT3_T4_T5_mT6_P12ihipStream_tbENKUlT_T0_E_clISt17integral_constantIbLb0EESX_EEDaSS_ST_EUlSS_E_NS1_11comp_targetILNS1_3genE10ELNS1_11target_archE1200ELNS1_3gpuE4ELNS1_3repE0EEENS1_30default_config_static_selectorELNS0_4arch9wavefront6targetE1EEEvT1_,@function
_ZN7rocprim17ROCPRIM_400000_NS6detail17trampoline_kernelINS0_14default_configENS1_20scan_config_selectorIdEEZZNS1_9scan_implILNS1_25lookback_scan_determinismE0ELb1ELb1ES3_N6thrust23THRUST_200600_302600_NS6detail15normal_iteratorINS9_10device_ptrIdEEEENS9_16discard_iteratorINS9_11use_defaultEEEdNS9_4plusIvEEdEEDaPvRmT3_T4_T5_mT6_P12ihipStream_tbENKUlT_T0_E_clISt17integral_constantIbLb0EESX_EEDaSS_ST_EUlSS_E_NS1_11comp_targetILNS1_3genE10ELNS1_11target_archE1200ELNS1_3gpuE4ELNS1_3repE0EEENS1_30default_config_static_selectorELNS0_4arch9wavefront6targetE1EEEvT1_: ; @_ZN7rocprim17ROCPRIM_400000_NS6detail17trampoline_kernelINS0_14default_configENS1_20scan_config_selectorIdEEZZNS1_9scan_implILNS1_25lookback_scan_determinismE0ELb1ELb1ES3_N6thrust23THRUST_200600_302600_NS6detail15normal_iteratorINS9_10device_ptrIdEEEENS9_16discard_iteratorINS9_11use_defaultEEEdNS9_4plusIvEEdEEDaPvRmT3_T4_T5_mT6_P12ihipStream_tbENKUlT_T0_E_clISt17integral_constantIbLb0EESX_EEDaSS_ST_EUlSS_E_NS1_11comp_targetILNS1_3genE10ELNS1_11target_archE1200ELNS1_3gpuE4ELNS1_3repE0EEENS1_30default_config_static_selectorELNS0_4arch9wavefront6targetE1EEEvT1_
; %bb.0:
	.section	.rodata,"a",@progbits
	.p2align	6, 0x0
	.amdhsa_kernel _ZN7rocprim17ROCPRIM_400000_NS6detail17trampoline_kernelINS0_14default_configENS1_20scan_config_selectorIdEEZZNS1_9scan_implILNS1_25lookback_scan_determinismE0ELb1ELb1ES3_N6thrust23THRUST_200600_302600_NS6detail15normal_iteratorINS9_10device_ptrIdEEEENS9_16discard_iteratorINS9_11use_defaultEEEdNS9_4plusIvEEdEEDaPvRmT3_T4_T5_mT6_P12ihipStream_tbENKUlT_T0_E_clISt17integral_constantIbLb0EESX_EEDaSS_ST_EUlSS_E_NS1_11comp_targetILNS1_3genE10ELNS1_11target_archE1200ELNS1_3gpuE4ELNS1_3repE0EEENS1_30default_config_static_selectorELNS0_4arch9wavefront6targetE1EEEvT1_
		.amdhsa_group_segment_fixed_size 0
		.amdhsa_private_segment_fixed_size 0
		.amdhsa_kernarg_size 112
		.amdhsa_user_sgpr_count 6
		.amdhsa_user_sgpr_private_segment_buffer 1
		.amdhsa_user_sgpr_dispatch_ptr 0
		.amdhsa_user_sgpr_queue_ptr 0
		.amdhsa_user_sgpr_kernarg_segment_ptr 1
		.amdhsa_user_sgpr_dispatch_id 0
		.amdhsa_user_sgpr_flat_scratch_init 0
		.amdhsa_user_sgpr_kernarg_preload_length 0
		.amdhsa_user_sgpr_kernarg_preload_offset 0
		.amdhsa_user_sgpr_private_segment_size 0
		.amdhsa_uses_dynamic_stack 0
		.amdhsa_system_sgpr_private_segment_wavefront_offset 0
		.amdhsa_system_sgpr_workgroup_id_x 1
		.amdhsa_system_sgpr_workgroup_id_y 0
		.amdhsa_system_sgpr_workgroup_id_z 0
		.amdhsa_system_sgpr_workgroup_info 0
		.amdhsa_system_vgpr_workitem_id 0
		.amdhsa_next_free_vgpr 1
		.amdhsa_next_free_sgpr 0
		.amdhsa_accum_offset 4
		.amdhsa_reserve_vcc 0
		.amdhsa_reserve_flat_scratch 0
		.amdhsa_float_round_mode_32 0
		.amdhsa_float_round_mode_16_64 0
		.amdhsa_float_denorm_mode_32 3
		.amdhsa_float_denorm_mode_16_64 3
		.amdhsa_dx10_clamp 1
		.amdhsa_ieee_mode 1
		.amdhsa_fp16_overflow 0
		.amdhsa_tg_split 0
		.amdhsa_exception_fp_ieee_invalid_op 0
		.amdhsa_exception_fp_denorm_src 0
		.amdhsa_exception_fp_ieee_div_zero 0
		.amdhsa_exception_fp_ieee_overflow 0
		.amdhsa_exception_fp_ieee_underflow 0
		.amdhsa_exception_fp_ieee_inexact 0
		.amdhsa_exception_int_div_zero 0
	.end_amdhsa_kernel
	.section	.text._ZN7rocprim17ROCPRIM_400000_NS6detail17trampoline_kernelINS0_14default_configENS1_20scan_config_selectorIdEEZZNS1_9scan_implILNS1_25lookback_scan_determinismE0ELb1ELb1ES3_N6thrust23THRUST_200600_302600_NS6detail15normal_iteratorINS9_10device_ptrIdEEEENS9_16discard_iteratorINS9_11use_defaultEEEdNS9_4plusIvEEdEEDaPvRmT3_T4_T5_mT6_P12ihipStream_tbENKUlT_T0_E_clISt17integral_constantIbLb0EESX_EEDaSS_ST_EUlSS_E_NS1_11comp_targetILNS1_3genE10ELNS1_11target_archE1200ELNS1_3gpuE4ELNS1_3repE0EEENS1_30default_config_static_selectorELNS0_4arch9wavefront6targetE1EEEvT1_,"axG",@progbits,_ZN7rocprim17ROCPRIM_400000_NS6detail17trampoline_kernelINS0_14default_configENS1_20scan_config_selectorIdEEZZNS1_9scan_implILNS1_25lookback_scan_determinismE0ELb1ELb1ES3_N6thrust23THRUST_200600_302600_NS6detail15normal_iteratorINS9_10device_ptrIdEEEENS9_16discard_iteratorINS9_11use_defaultEEEdNS9_4plusIvEEdEEDaPvRmT3_T4_T5_mT6_P12ihipStream_tbENKUlT_T0_E_clISt17integral_constantIbLb0EESX_EEDaSS_ST_EUlSS_E_NS1_11comp_targetILNS1_3genE10ELNS1_11target_archE1200ELNS1_3gpuE4ELNS1_3repE0EEENS1_30default_config_static_selectorELNS0_4arch9wavefront6targetE1EEEvT1_,comdat
.Lfunc_end4940:
	.size	_ZN7rocprim17ROCPRIM_400000_NS6detail17trampoline_kernelINS0_14default_configENS1_20scan_config_selectorIdEEZZNS1_9scan_implILNS1_25lookback_scan_determinismE0ELb1ELb1ES3_N6thrust23THRUST_200600_302600_NS6detail15normal_iteratorINS9_10device_ptrIdEEEENS9_16discard_iteratorINS9_11use_defaultEEEdNS9_4plusIvEEdEEDaPvRmT3_T4_T5_mT6_P12ihipStream_tbENKUlT_T0_E_clISt17integral_constantIbLb0EESX_EEDaSS_ST_EUlSS_E_NS1_11comp_targetILNS1_3genE10ELNS1_11target_archE1200ELNS1_3gpuE4ELNS1_3repE0EEENS1_30default_config_static_selectorELNS0_4arch9wavefront6targetE1EEEvT1_, .Lfunc_end4940-_ZN7rocprim17ROCPRIM_400000_NS6detail17trampoline_kernelINS0_14default_configENS1_20scan_config_selectorIdEEZZNS1_9scan_implILNS1_25lookback_scan_determinismE0ELb1ELb1ES3_N6thrust23THRUST_200600_302600_NS6detail15normal_iteratorINS9_10device_ptrIdEEEENS9_16discard_iteratorINS9_11use_defaultEEEdNS9_4plusIvEEdEEDaPvRmT3_T4_T5_mT6_P12ihipStream_tbENKUlT_T0_E_clISt17integral_constantIbLb0EESX_EEDaSS_ST_EUlSS_E_NS1_11comp_targetILNS1_3genE10ELNS1_11target_archE1200ELNS1_3gpuE4ELNS1_3repE0EEENS1_30default_config_static_selectorELNS0_4arch9wavefront6targetE1EEEvT1_
                                        ; -- End function
	.section	.AMDGPU.csdata,"",@progbits
; Kernel info:
; codeLenInByte = 0
; NumSgprs: 4
; NumVgprs: 0
; NumAgprs: 0
; TotalNumVgprs: 0
; ScratchSize: 0
; MemoryBound: 0
; FloatMode: 240
; IeeeMode: 1
; LDSByteSize: 0 bytes/workgroup (compile time only)
; SGPRBlocks: 0
; VGPRBlocks: 0
; NumSGPRsForWavesPerEU: 4
; NumVGPRsForWavesPerEU: 1
; AccumOffset: 4
; Occupancy: 8
; WaveLimiterHint : 0
; COMPUTE_PGM_RSRC2:SCRATCH_EN: 0
; COMPUTE_PGM_RSRC2:USER_SGPR: 6
; COMPUTE_PGM_RSRC2:TRAP_HANDLER: 0
; COMPUTE_PGM_RSRC2:TGID_X_EN: 1
; COMPUTE_PGM_RSRC2:TGID_Y_EN: 0
; COMPUTE_PGM_RSRC2:TGID_Z_EN: 0
; COMPUTE_PGM_RSRC2:TIDIG_COMP_CNT: 0
; COMPUTE_PGM_RSRC3_GFX90A:ACCUM_OFFSET: 0
; COMPUTE_PGM_RSRC3_GFX90A:TG_SPLIT: 0
	.section	.text._ZN7rocprim17ROCPRIM_400000_NS6detail17trampoline_kernelINS0_14default_configENS1_20scan_config_selectorIdEEZZNS1_9scan_implILNS1_25lookback_scan_determinismE0ELb1ELb1ES3_N6thrust23THRUST_200600_302600_NS6detail15normal_iteratorINS9_10device_ptrIdEEEENS9_16discard_iteratorINS9_11use_defaultEEEdNS9_4plusIvEEdEEDaPvRmT3_T4_T5_mT6_P12ihipStream_tbENKUlT_T0_E_clISt17integral_constantIbLb0EESX_EEDaSS_ST_EUlSS_E_NS1_11comp_targetILNS1_3genE9ELNS1_11target_archE1100ELNS1_3gpuE3ELNS1_3repE0EEENS1_30default_config_static_selectorELNS0_4arch9wavefront6targetE1EEEvT1_,"axG",@progbits,_ZN7rocprim17ROCPRIM_400000_NS6detail17trampoline_kernelINS0_14default_configENS1_20scan_config_selectorIdEEZZNS1_9scan_implILNS1_25lookback_scan_determinismE0ELb1ELb1ES3_N6thrust23THRUST_200600_302600_NS6detail15normal_iteratorINS9_10device_ptrIdEEEENS9_16discard_iteratorINS9_11use_defaultEEEdNS9_4plusIvEEdEEDaPvRmT3_T4_T5_mT6_P12ihipStream_tbENKUlT_T0_E_clISt17integral_constantIbLb0EESX_EEDaSS_ST_EUlSS_E_NS1_11comp_targetILNS1_3genE9ELNS1_11target_archE1100ELNS1_3gpuE3ELNS1_3repE0EEENS1_30default_config_static_selectorELNS0_4arch9wavefront6targetE1EEEvT1_,comdat
	.protected	_ZN7rocprim17ROCPRIM_400000_NS6detail17trampoline_kernelINS0_14default_configENS1_20scan_config_selectorIdEEZZNS1_9scan_implILNS1_25lookback_scan_determinismE0ELb1ELb1ES3_N6thrust23THRUST_200600_302600_NS6detail15normal_iteratorINS9_10device_ptrIdEEEENS9_16discard_iteratorINS9_11use_defaultEEEdNS9_4plusIvEEdEEDaPvRmT3_T4_T5_mT6_P12ihipStream_tbENKUlT_T0_E_clISt17integral_constantIbLb0EESX_EEDaSS_ST_EUlSS_E_NS1_11comp_targetILNS1_3genE9ELNS1_11target_archE1100ELNS1_3gpuE3ELNS1_3repE0EEENS1_30default_config_static_selectorELNS0_4arch9wavefront6targetE1EEEvT1_ ; -- Begin function _ZN7rocprim17ROCPRIM_400000_NS6detail17trampoline_kernelINS0_14default_configENS1_20scan_config_selectorIdEEZZNS1_9scan_implILNS1_25lookback_scan_determinismE0ELb1ELb1ES3_N6thrust23THRUST_200600_302600_NS6detail15normal_iteratorINS9_10device_ptrIdEEEENS9_16discard_iteratorINS9_11use_defaultEEEdNS9_4plusIvEEdEEDaPvRmT3_T4_T5_mT6_P12ihipStream_tbENKUlT_T0_E_clISt17integral_constantIbLb0EESX_EEDaSS_ST_EUlSS_E_NS1_11comp_targetILNS1_3genE9ELNS1_11target_archE1100ELNS1_3gpuE3ELNS1_3repE0EEENS1_30default_config_static_selectorELNS0_4arch9wavefront6targetE1EEEvT1_
	.globl	_ZN7rocprim17ROCPRIM_400000_NS6detail17trampoline_kernelINS0_14default_configENS1_20scan_config_selectorIdEEZZNS1_9scan_implILNS1_25lookback_scan_determinismE0ELb1ELb1ES3_N6thrust23THRUST_200600_302600_NS6detail15normal_iteratorINS9_10device_ptrIdEEEENS9_16discard_iteratorINS9_11use_defaultEEEdNS9_4plusIvEEdEEDaPvRmT3_T4_T5_mT6_P12ihipStream_tbENKUlT_T0_E_clISt17integral_constantIbLb0EESX_EEDaSS_ST_EUlSS_E_NS1_11comp_targetILNS1_3genE9ELNS1_11target_archE1100ELNS1_3gpuE3ELNS1_3repE0EEENS1_30default_config_static_selectorELNS0_4arch9wavefront6targetE1EEEvT1_
	.p2align	8
	.type	_ZN7rocprim17ROCPRIM_400000_NS6detail17trampoline_kernelINS0_14default_configENS1_20scan_config_selectorIdEEZZNS1_9scan_implILNS1_25lookback_scan_determinismE0ELb1ELb1ES3_N6thrust23THRUST_200600_302600_NS6detail15normal_iteratorINS9_10device_ptrIdEEEENS9_16discard_iteratorINS9_11use_defaultEEEdNS9_4plusIvEEdEEDaPvRmT3_T4_T5_mT6_P12ihipStream_tbENKUlT_T0_E_clISt17integral_constantIbLb0EESX_EEDaSS_ST_EUlSS_E_NS1_11comp_targetILNS1_3genE9ELNS1_11target_archE1100ELNS1_3gpuE3ELNS1_3repE0EEENS1_30default_config_static_selectorELNS0_4arch9wavefront6targetE1EEEvT1_,@function
_ZN7rocprim17ROCPRIM_400000_NS6detail17trampoline_kernelINS0_14default_configENS1_20scan_config_selectorIdEEZZNS1_9scan_implILNS1_25lookback_scan_determinismE0ELb1ELb1ES3_N6thrust23THRUST_200600_302600_NS6detail15normal_iteratorINS9_10device_ptrIdEEEENS9_16discard_iteratorINS9_11use_defaultEEEdNS9_4plusIvEEdEEDaPvRmT3_T4_T5_mT6_P12ihipStream_tbENKUlT_T0_E_clISt17integral_constantIbLb0EESX_EEDaSS_ST_EUlSS_E_NS1_11comp_targetILNS1_3genE9ELNS1_11target_archE1100ELNS1_3gpuE3ELNS1_3repE0EEENS1_30default_config_static_selectorELNS0_4arch9wavefront6targetE1EEEvT1_: ; @_ZN7rocprim17ROCPRIM_400000_NS6detail17trampoline_kernelINS0_14default_configENS1_20scan_config_selectorIdEEZZNS1_9scan_implILNS1_25lookback_scan_determinismE0ELb1ELb1ES3_N6thrust23THRUST_200600_302600_NS6detail15normal_iteratorINS9_10device_ptrIdEEEENS9_16discard_iteratorINS9_11use_defaultEEEdNS9_4plusIvEEdEEDaPvRmT3_T4_T5_mT6_P12ihipStream_tbENKUlT_T0_E_clISt17integral_constantIbLb0EESX_EEDaSS_ST_EUlSS_E_NS1_11comp_targetILNS1_3genE9ELNS1_11target_archE1100ELNS1_3gpuE3ELNS1_3repE0EEENS1_30default_config_static_selectorELNS0_4arch9wavefront6targetE1EEEvT1_
; %bb.0:
	.section	.rodata,"a",@progbits
	.p2align	6, 0x0
	.amdhsa_kernel _ZN7rocprim17ROCPRIM_400000_NS6detail17trampoline_kernelINS0_14default_configENS1_20scan_config_selectorIdEEZZNS1_9scan_implILNS1_25lookback_scan_determinismE0ELb1ELb1ES3_N6thrust23THRUST_200600_302600_NS6detail15normal_iteratorINS9_10device_ptrIdEEEENS9_16discard_iteratorINS9_11use_defaultEEEdNS9_4plusIvEEdEEDaPvRmT3_T4_T5_mT6_P12ihipStream_tbENKUlT_T0_E_clISt17integral_constantIbLb0EESX_EEDaSS_ST_EUlSS_E_NS1_11comp_targetILNS1_3genE9ELNS1_11target_archE1100ELNS1_3gpuE3ELNS1_3repE0EEENS1_30default_config_static_selectorELNS0_4arch9wavefront6targetE1EEEvT1_
		.amdhsa_group_segment_fixed_size 0
		.amdhsa_private_segment_fixed_size 0
		.amdhsa_kernarg_size 112
		.amdhsa_user_sgpr_count 6
		.amdhsa_user_sgpr_private_segment_buffer 1
		.amdhsa_user_sgpr_dispatch_ptr 0
		.amdhsa_user_sgpr_queue_ptr 0
		.amdhsa_user_sgpr_kernarg_segment_ptr 1
		.amdhsa_user_sgpr_dispatch_id 0
		.amdhsa_user_sgpr_flat_scratch_init 0
		.amdhsa_user_sgpr_kernarg_preload_length 0
		.amdhsa_user_sgpr_kernarg_preload_offset 0
		.amdhsa_user_sgpr_private_segment_size 0
		.amdhsa_uses_dynamic_stack 0
		.amdhsa_system_sgpr_private_segment_wavefront_offset 0
		.amdhsa_system_sgpr_workgroup_id_x 1
		.amdhsa_system_sgpr_workgroup_id_y 0
		.amdhsa_system_sgpr_workgroup_id_z 0
		.amdhsa_system_sgpr_workgroup_info 0
		.amdhsa_system_vgpr_workitem_id 0
		.amdhsa_next_free_vgpr 1
		.amdhsa_next_free_sgpr 0
		.amdhsa_accum_offset 4
		.amdhsa_reserve_vcc 0
		.amdhsa_reserve_flat_scratch 0
		.amdhsa_float_round_mode_32 0
		.amdhsa_float_round_mode_16_64 0
		.amdhsa_float_denorm_mode_32 3
		.amdhsa_float_denorm_mode_16_64 3
		.amdhsa_dx10_clamp 1
		.amdhsa_ieee_mode 1
		.amdhsa_fp16_overflow 0
		.amdhsa_tg_split 0
		.amdhsa_exception_fp_ieee_invalid_op 0
		.amdhsa_exception_fp_denorm_src 0
		.amdhsa_exception_fp_ieee_div_zero 0
		.amdhsa_exception_fp_ieee_overflow 0
		.amdhsa_exception_fp_ieee_underflow 0
		.amdhsa_exception_fp_ieee_inexact 0
		.amdhsa_exception_int_div_zero 0
	.end_amdhsa_kernel
	.section	.text._ZN7rocprim17ROCPRIM_400000_NS6detail17trampoline_kernelINS0_14default_configENS1_20scan_config_selectorIdEEZZNS1_9scan_implILNS1_25lookback_scan_determinismE0ELb1ELb1ES3_N6thrust23THRUST_200600_302600_NS6detail15normal_iteratorINS9_10device_ptrIdEEEENS9_16discard_iteratorINS9_11use_defaultEEEdNS9_4plusIvEEdEEDaPvRmT3_T4_T5_mT6_P12ihipStream_tbENKUlT_T0_E_clISt17integral_constantIbLb0EESX_EEDaSS_ST_EUlSS_E_NS1_11comp_targetILNS1_3genE9ELNS1_11target_archE1100ELNS1_3gpuE3ELNS1_3repE0EEENS1_30default_config_static_selectorELNS0_4arch9wavefront6targetE1EEEvT1_,"axG",@progbits,_ZN7rocprim17ROCPRIM_400000_NS6detail17trampoline_kernelINS0_14default_configENS1_20scan_config_selectorIdEEZZNS1_9scan_implILNS1_25lookback_scan_determinismE0ELb1ELb1ES3_N6thrust23THRUST_200600_302600_NS6detail15normal_iteratorINS9_10device_ptrIdEEEENS9_16discard_iteratorINS9_11use_defaultEEEdNS9_4plusIvEEdEEDaPvRmT3_T4_T5_mT6_P12ihipStream_tbENKUlT_T0_E_clISt17integral_constantIbLb0EESX_EEDaSS_ST_EUlSS_E_NS1_11comp_targetILNS1_3genE9ELNS1_11target_archE1100ELNS1_3gpuE3ELNS1_3repE0EEENS1_30default_config_static_selectorELNS0_4arch9wavefront6targetE1EEEvT1_,comdat
.Lfunc_end4941:
	.size	_ZN7rocprim17ROCPRIM_400000_NS6detail17trampoline_kernelINS0_14default_configENS1_20scan_config_selectorIdEEZZNS1_9scan_implILNS1_25lookback_scan_determinismE0ELb1ELb1ES3_N6thrust23THRUST_200600_302600_NS6detail15normal_iteratorINS9_10device_ptrIdEEEENS9_16discard_iteratorINS9_11use_defaultEEEdNS9_4plusIvEEdEEDaPvRmT3_T4_T5_mT6_P12ihipStream_tbENKUlT_T0_E_clISt17integral_constantIbLb0EESX_EEDaSS_ST_EUlSS_E_NS1_11comp_targetILNS1_3genE9ELNS1_11target_archE1100ELNS1_3gpuE3ELNS1_3repE0EEENS1_30default_config_static_selectorELNS0_4arch9wavefront6targetE1EEEvT1_, .Lfunc_end4941-_ZN7rocprim17ROCPRIM_400000_NS6detail17trampoline_kernelINS0_14default_configENS1_20scan_config_selectorIdEEZZNS1_9scan_implILNS1_25lookback_scan_determinismE0ELb1ELb1ES3_N6thrust23THRUST_200600_302600_NS6detail15normal_iteratorINS9_10device_ptrIdEEEENS9_16discard_iteratorINS9_11use_defaultEEEdNS9_4plusIvEEdEEDaPvRmT3_T4_T5_mT6_P12ihipStream_tbENKUlT_T0_E_clISt17integral_constantIbLb0EESX_EEDaSS_ST_EUlSS_E_NS1_11comp_targetILNS1_3genE9ELNS1_11target_archE1100ELNS1_3gpuE3ELNS1_3repE0EEENS1_30default_config_static_selectorELNS0_4arch9wavefront6targetE1EEEvT1_
                                        ; -- End function
	.section	.AMDGPU.csdata,"",@progbits
; Kernel info:
; codeLenInByte = 0
; NumSgprs: 4
; NumVgprs: 0
; NumAgprs: 0
; TotalNumVgprs: 0
; ScratchSize: 0
; MemoryBound: 0
; FloatMode: 240
; IeeeMode: 1
; LDSByteSize: 0 bytes/workgroup (compile time only)
; SGPRBlocks: 0
; VGPRBlocks: 0
; NumSGPRsForWavesPerEU: 4
; NumVGPRsForWavesPerEU: 1
; AccumOffset: 4
; Occupancy: 8
; WaveLimiterHint : 0
; COMPUTE_PGM_RSRC2:SCRATCH_EN: 0
; COMPUTE_PGM_RSRC2:USER_SGPR: 6
; COMPUTE_PGM_RSRC2:TRAP_HANDLER: 0
; COMPUTE_PGM_RSRC2:TGID_X_EN: 1
; COMPUTE_PGM_RSRC2:TGID_Y_EN: 0
; COMPUTE_PGM_RSRC2:TGID_Z_EN: 0
; COMPUTE_PGM_RSRC2:TIDIG_COMP_CNT: 0
; COMPUTE_PGM_RSRC3_GFX90A:ACCUM_OFFSET: 0
; COMPUTE_PGM_RSRC3_GFX90A:TG_SPLIT: 0
	.section	.text._ZN7rocprim17ROCPRIM_400000_NS6detail17trampoline_kernelINS0_14default_configENS1_20scan_config_selectorIdEEZZNS1_9scan_implILNS1_25lookback_scan_determinismE0ELb1ELb1ES3_N6thrust23THRUST_200600_302600_NS6detail15normal_iteratorINS9_10device_ptrIdEEEENS9_16discard_iteratorINS9_11use_defaultEEEdNS9_4plusIvEEdEEDaPvRmT3_T4_T5_mT6_P12ihipStream_tbENKUlT_T0_E_clISt17integral_constantIbLb0EESX_EEDaSS_ST_EUlSS_E_NS1_11comp_targetILNS1_3genE8ELNS1_11target_archE1030ELNS1_3gpuE2ELNS1_3repE0EEENS1_30default_config_static_selectorELNS0_4arch9wavefront6targetE1EEEvT1_,"axG",@progbits,_ZN7rocprim17ROCPRIM_400000_NS6detail17trampoline_kernelINS0_14default_configENS1_20scan_config_selectorIdEEZZNS1_9scan_implILNS1_25lookback_scan_determinismE0ELb1ELb1ES3_N6thrust23THRUST_200600_302600_NS6detail15normal_iteratorINS9_10device_ptrIdEEEENS9_16discard_iteratorINS9_11use_defaultEEEdNS9_4plusIvEEdEEDaPvRmT3_T4_T5_mT6_P12ihipStream_tbENKUlT_T0_E_clISt17integral_constantIbLb0EESX_EEDaSS_ST_EUlSS_E_NS1_11comp_targetILNS1_3genE8ELNS1_11target_archE1030ELNS1_3gpuE2ELNS1_3repE0EEENS1_30default_config_static_selectorELNS0_4arch9wavefront6targetE1EEEvT1_,comdat
	.protected	_ZN7rocprim17ROCPRIM_400000_NS6detail17trampoline_kernelINS0_14default_configENS1_20scan_config_selectorIdEEZZNS1_9scan_implILNS1_25lookback_scan_determinismE0ELb1ELb1ES3_N6thrust23THRUST_200600_302600_NS6detail15normal_iteratorINS9_10device_ptrIdEEEENS9_16discard_iteratorINS9_11use_defaultEEEdNS9_4plusIvEEdEEDaPvRmT3_T4_T5_mT6_P12ihipStream_tbENKUlT_T0_E_clISt17integral_constantIbLb0EESX_EEDaSS_ST_EUlSS_E_NS1_11comp_targetILNS1_3genE8ELNS1_11target_archE1030ELNS1_3gpuE2ELNS1_3repE0EEENS1_30default_config_static_selectorELNS0_4arch9wavefront6targetE1EEEvT1_ ; -- Begin function _ZN7rocprim17ROCPRIM_400000_NS6detail17trampoline_kernelINS0_14default_configENS1_20scan_config_selectorIdEEZZNS1_9scan_implILNS1_25lookback_scan_determinismE0ELb1ELb1ES3_N6thrust23THRUST_200600_302600_NS6detail15normal_iteratorINS9_10device_ptrIdEEEENS9_16discard_iteratorINS9_11use_defaultEEEdNS9_4plusIvEEdEEDaPvRmT3_T4_T5_mT6_P12ihipStream_tbENKUlT_T0_E_clISt17integral_constantIbLb0EESX_EEDaSS_ST_EUlSS_E_NS1_11comp_targetILNS1_3genE8ELNS1_11target_archE1030ELNS1_3gpuE2ELNS1_3repE0EEENS1_30default_config_static_selectorELNS0_4arch9wavefront6targetE1EEEvT1_
	.globl	_ZN7rocprim17ROCPRIM_400000_NS6detail17trampoline_kernelINS0_14default_configENS1_20scan_config_selectorIdEEZZNS1_9scan_implILNS1_25lookback_scan_determinismE0ELb1ELb1ES3_N6thrust23THRUST_200600_302600_NS6detail15normal_iteratorINS9_10device_ptrIdEEEENS9_16discard_iteratorINS9_11use_defaultEEEdNS9_4plusIvEEdEEDaPvRmT3_T4_T5_mT6_P12ihipStream_tbENKUlT_T0_E_clISt17integral_constantIbLb0EESX_EEDaSS_ST_EUlSS_E_NS1_11comp_targetILNS1_3genE8ELNS1_11target_archE1030ELNS1_3gpuE2ELNS1_3repE0EEENS1_30default_config_static_selectorELNS0_4arch9wavefront6targetE1EEEvT1_
	.p2align	8
	.type	_ZN7rocprim17ROCPRIM_400000_NS6detail17trampoline_kernelINS0_14default_configENS1_20scan_config_selectorIdEEZZNS1_9scan_implILNS1_25lookback_scan_determinismE0ELb1ELb1ES3_N6thrust23THRUST_200600_302600_NS6detail15normal_iteratorINS9_10device_ptrIdEEEENS9_16discard_iteratorINS9_11use_defaultEEEdNS9_4plusIvEEdEEDaPvRmT3_T4_T5_mT6_P12ihipStream_tbENKUlT_T0_E_clISt17integral_constantIbLb0EESX_EEDaSS_ST_EUlSS_E_NS1_11comp_targetILNS1_3genE8ELNS1_11target_archE1030ELNS1_3gpuE2ELNS1_3repE0EEENS1_30default_config_static_selectorELNS0_4arch9wavefront6targetE1EEEvT1_,@function
_ZN7rocprim17ROCPRIM_400000_NS6detail17trampoline_kernelINS0_14default_configENS1_20scan_config_selectorIdEEZZNS1_9scan_implILNS1_25lookback_scan_determinismE0ELb1ELb1ES3_N6thrust23THRUST_200600_302600_NS6detail15normal_iteratorINS9_10device_ptrIdEEEENS9_16discard_iteratorINS9_11use_defaultEEEdNS9_4plusIvEEdEEDaPvRmT3_T4_T5_mT6_P12ihipStream_tbENKUlT_T0_E_clISt17integral_constantIbLb0EESX_EEDaSS_ST_EUlSS_E_NS1_11comp_targetILNS1_3genE8ELNS1_11target_archE1030ELNS1_3gpuE2ELNS1_3repE0EEENS1_30default_config_static_selectorELNS0_4arch9wavefront6targetE1EEEvT1_: ; @_ZN7rocprim17ROCPRIM_400000_NS6detail17trampoline_kernelINS0_14default_configENS1_20scan_config_selectorIdEEZZNS1_9scan_implILNS1_25lookback_scan_determinismE0ELb1ELb1ES3_N6thrust23THRUST_200600_302600_NS6detail15normal_iteratorINS9_10device_ptrIdEEEENS9_16discard_iteratorINS9_11use_defaultEEEdNS9_4plusIvEEdEEDaPvRmT3_T4_T5_mT6_P12ihipStream_tbENKUlT_T0_E_clISt17integral_constantIbLb0EESX_EEDaSS_ST_EUlSS_E_NS1_11comp_targetILNS1_3genE8ELNS1_11target_archE1030ELNS1_3gpuE2ELNS1_3repE0EEENS1_30default_config_static_selectorELNS0_4arch9wavefront6targetE1EEEvT1_
; %bb.0:
	.section	.rodata,"a",@progbits
	.p2align	6, 0x0
	.amdhsa_kernel _ZN7rocprim17ROCPRIM_400000_NS6detail17trampoline_kernelINS0_14default_configENS1_20scan_config_selectorIdEEZZNS1_9scan_implILNS1_25lookback_scan_determinismE0ELb1ELb1ES3_N6thrust23THRUST_200600_302600_NS6detail15normal_iteratorINS9_10device_ptrIdEEEENS9_16discard_iteratorINS9_11use_defaultEEEdNS9_4plusIvEEdEEDaPvRmT3_T4_T5_mT6_P12ihipStream_tbENKUlT_T0_E_clISt17integral_constantIbLb0EESX_EEDaSS_ST_EUlSS_E_NS1_11comp_targetILNS1_3genE8ELNS1_11target_archE1030ELNS1_3gpuE2ELNS1_3repE0EEENS1_30default_config_static_selectorELNS0_4arch9wavefront6targetE1EEEvT1_
		.amdhsa_group_segment_fixed_size 0
		.amdhsa_private_segment_fixed_size 0
		.amdhsa_kernarg_size 112
		.amdhsa_user_sgpr_count 6
		.amdhsa_user_sgpr_private_segment_buffer 1
		.amdhsa_user_sgpr_dispatch_ptr 0
		.amdhsa_user_sgpr_queue_ptr 0
		.amdhsa_user_sgpr_kernarg_segment_ptr 1
		.amdhsa_user_sgpr_dispatch_id 0
		.amdhsa_user_sgpr_flat_scratch_init 0
		.amdhsa_user_sgpr_kernarg_preload_length 0
		.amdhsa_user_sgpr_kernarg_preload_offset 0
		.amdhsa_user_sgpr_private_segment_size 0
		.amdhsa_uses_dynamic_stack 0
		.amdhsa_system_sgpr_private_segment_wavefront_offset 0
		.amdhsa_system_sgpr_workgroup_id_x 1
		.amdhsa_system_sgpr_workgroup_id_y 0
		.amdhsa_system_sgpr_workgroup_id_z 0
		.amdhsa_system_sgpr_workgroup_info 0
		.amdhsa_system_vgpr_workitem_id 0
		.amdhsa_next_free_vgpr 1
		.amdhsa_next_free_sgpr 0
		.amdhsa_accum_offset 4
		.amdhsa_reserve_vcc 0
		.amdhsa_reserve_flat_scratch 0
		.amdhsa_float_round_mode_32 0
		.amdhsa_float_round_mode_16_64 0
		.amdhsa_float_denorm_mode_32 3
		.amdhsa_float_denorm_mode_16_64 3
		.amdhsa_dx10_clamp 1
		.amdhsa_ieee_mode 1
		.amdhsa_fp16_overflow 0
		.amdhsa_tg_split 0
		.amdhsa_exception_fp_ieee_invalid_op 0
		.amdhsa_exception_fp_denorm_src 0
		.amdhsa_exception_fp_ieee_div_zero 0
		.amdhsa_exception_fp_ieee_overflow 0
		.amdhsa_exception_fp_ieee_underflow 0
		.amdhsa_exception_fp_ieee_inexact 0
		.amdhsa_exception_int_div_zero 0
	.end_amdhsa_kernel
	.section	.text._ZN7rocprim17ROCPRIM_400000_NS6detail17trampoline_kernelINS0_14default_configENS1_20scan_config_selectorIdEEZZNS1_9scan_implILNS1_25lookback_scan_determinismE0ELb1ELb1ES3_N6thrust23THRUST_200600_302600_NS6detail15normal_iteratorINS9_10device_ptrIdEEEENS9_16discard_iteratorINS9_11use_defaultEEEdNS9_4plusIvEEdEEDaPvRmT3_T4_T5_mT6_P12ihipStream_tbENKUlT_T0_E_clISt17integral_constantIbLb0EESX_EEDaSS_ST_EUlSS_E_NS1_11comp_targetILNS1_3genE8ELNS1_11target_archE1030ELNS1_3gpuE2ELNS1_3repE0EEENS1_30default_config_static_selectorELNS0_4arch9wavefront6targetE1EEEvT1_,"axG",@progbits,_ZN7rocprim17ROCPRIM_400000_NS6detail17trampoline_kernelINS0_14default_configENS1_20scan_config_selectorIdEEZZNS1_9scan_implILNS1_25lookback_scan_determinismE0ELb1ELb1ES3_N6thrust23THRUST_200600_302600_NS6detail15normal_iteratorINS9_10device_ptrIdEEEENS9_16discard_iteratorINS9_11use_defaultEEEdNS9_4plusIvEEdEEDaPvRmT3_T4_T5_mT6_P12ihipStream_tbENKUlT_T0_E_clISt17integral_constantIbLb0EESX_EEDaSS_ST_EUlSS_E_NS1_11comp_targetILNS1_3genE8ELNS1_11target_archE1030ELNS1_3gpuE2ELNS1_3repE0EEENS1_30default_config_static_selectorELNS0_4arch9wavefront6targetE1EEEvT1_,comdat
.Lfunc_end4942:
	.size	_ZN7rocprim17ROCPRIM_400000_NS6detail17trampoline_kernelINS0_14default_configENS1_20scan_config_selectorIdEEZZNS1_9scan_implILNS1_25lookback_scan_determinismE0ELb1ELb1ES3_N6thrust23THRUST_200600_302600_NS6detail15normal_iteratorINS9_10device_ptrIdEEEENS9_16discard_iteratorINS9_11use_defaultEEEdNS9_4plusIvEEdEEDaPvRmT3_T4_T5_mT6_P12ihipStream_tbENKUlT_T0_E_clISt17integral_constantIbLb0EESX_EEDaSS_ST_EUlSS_E_NS1_11comp_targetILNS1_3genE8ELNS1_11target_archE1030ELNS1_3gpuE2ELNS1_3repE0EEENS1_30default_config_static_selectorELNS0_4arch9wavefront6targetE1EEEvT1_, .Lfunc_end4942-_ZN7rocprim17ROCPRIM_400000_NS6detail17trampoline_kernelINS0_14default_configENS1_20scan_config_selectorIdEEZZNS1_9scan_implILNS1_25lookback_scan_determinismE0ELb1ELb1ES3_N6thrust23THRUST_200600_302600_NS6detail15normal_iteratorINS9_10device_ptrIdEEEENS9_16discard_iteratorINS9_11use_defaultEEEdNS9_4plusIvEEdEEDaPvRmT3_T4_T5_mT6_P12ihipStream_tbENKUlT_T0_E_clISt17integral_constantIbLb0EESX_EEDaSS_ST_EUlSS_E_NS1_11comp_targetILNS1_3genE8ELNS1_11target_archE1030ELNS1_3gpuE2ELNS1_3repE0EEENS1_30default_config_static_selectorELNS0_4arch9wavefront6targetE1EEEvT1_
                                        ; -- End function
	.section	.AMDGPU.csdata,"",@progbits
; Kernel info:
; codeLenInByte = 0
; NumSgprs: 4
; NumVgprs: 0
; NumAgprs: 0
; TotalNumVgprs: 0
; ScratchSize: 0
; MemoryBound: 0
; FloatMode: 240
; IeeeMode: 1
; LDSByteSize: 0 bytes/workgroup (compile time only)
; SGPRBlocks: 0
; VGPRBlocks: 0
; NumSGPRsForWavesPerEU: 4
; NumVGPRsForWavesPerEU: 1
; AccumOffset: 4
; Occupancy: 8
; WaveLimiterHint : 0
; COMPUTE_PGM_RSRC2:SCRATCH_EN: 0
; COMPUTE_PGM_RSRC2:USER_SGPR: 6
; COMPUTE_PGM_RSRC2:TRAP_HANDLER: 0
; COMPUTE_PGM_RSRC2:TGID_X_EN: 1
; COMPUTE_PGM_RSRC2:TGID_Y_EN: 0
; COMPUTE_PGM_RSRC2:TGID_Z_EN: 0
; COMPUTE_PGM_RSRC2:TIDIG_COMP_CNT: 0
; COMPUTE_PGM_RSRC3_GFX90A:ACCUM_OFFSET: 0
; COMPUTE_PGM_RSRC3_GFX90A:TG_SPLIT: 0
	.section	.text._ZN7rocprim17ROCPRIM_400000_NS6detail17trampoline_kernelINS0_14default_configENS1_20scan_config_selectorIdEEZZNS1_9scan_implILNS1_25lookback_scan_determinismE0ELb1ELb1ES3_N6thrust23THRUST_200600_302600_NS6detail15normal_iteratorINS9_10device_ptrIdEEEENS9_16discard_iteratorINS9_11use_defaultEEEdNS9_4plusIvEEdEEDaPvRmT3_T4_T5_mT6_P12ihipStream_tbENKUlT_T0_E_clISt17integral_constantIbLb0EESX_EEDaSS_ST_EUlSS_E0_NS1_11comp_targetILNS1_3genE0ELNS1_11target_archE4294967295ELNS1_3gpuE0ELNS1_3repE0EEENS1_30default_config_static_selectorELNS0_4arch9wavefront6targetE1EEEvT1_,"axG",@progbits,_ZN7rocprim17ROCPRIM_400000_NS6detail17trampoline_kernelINS0_14default_configENS1_20scan_config_selectorIdEEZZNS1_9scan_implILNS1_25lookback_scan_determinismE0ELb1ELb1ES3_N6thrust23THRUST_200600_302600_NS6detail15normal_iteratorINS9_10device_ptrIdEEEENS9_16discard_iteratorINS9_11use_defaultEEEdNS9_4plusIvEEdEEDaPvRmT3_T4_T5_mT6_P12ihipStream_tbENKUlT_T0_E_clISt17integral_constantIbLb0EESX_EEDaSS_ST_EUlSS_E0_NS1_11comp_targetILNS1_3genE0ELNS1_11target_archE4294967295ELNS1_3gpuE0ELNS1_3repE0EEENS1_30default_config_static_selectorELNS0_4arch9wavefront6targetE1EEEvT1_,comdat
	.protected	_ZN7rocprim17ROCPRIM_400000_NS6detail17trampoline_kernelINS0_14default_configENS1_20scan_config_selectorIdEEZZNS1_9scan_implILNS1_25lookback_scan_determinismE0ELb1ELb1ES3_N6thrust23THRUST_200600_302600_NS6detail15normal_iteratorINS9_10device_ptrIdEEEENS9_16discard_iteratorINS9_11use_defaultEEEdNS9_4plusIvEEdEEDaPvRmT3_T4_T5_mT6_P12ihipStream_tbENKUlT_T0_E_clISt17integral_constantIbLb0EESX_EEDaSS_ST_EUlSS_E0_NS1_11comp_targetILNS1_3genE0ELNS1_11target_archE4294967295ELNS1_3gpuE0ELNS1_3repE0EEENS1_30default_config_static_selectorELNS0_4arch9wavefront6targetE1EEEvT1_ ; -- Begin function _ZN7rocprim17ROCPRIM_400000_NS6detail17trampoline_kernelINS0_14default_configENS1_20scan_config_selectorIdEEZZNS1_9scan_implILNS1_25lookback_scan_determinismE0ELb1ELb1ES3_N6thrust23THRUST_200600_302600_NS6detail15normal_iteratorINS9_10device_ptrIdEEEENS9_16discard_iteratorINS9_11use_defaultEEEdNS9_4plusIvEEdEEDaPvRmT3_T4_T5_mT6_P12ihipStream_tbENKUlT_T0_E_clISt17integral_constantIbLb0EESX_EEDaSS_ST_EUlSS_E0_NS1_11comp_targetILNS1_3genE0ELNS1_11target_archE4294967295ELNS1_3gpuE0ELNS1_3repE0EEENS1_30default_config_static_selectorELNS0_4arch9wavefront6targetE1EEEvT1_
	.globl	_ZN7rocprim17ROCPRIM_400000_NS6detail17trampoline_kernelINS0_14default_configENS1_20scan_config_selectorIdEEZZNS1_9scan_implILNS1_25lookback_scan_determinismE0ELb1ELb1ES3_N6thrust23THRUST_200600_302600_NS6detail15normal_iteratorINS9_10device_ptrIdEEEENS9_16discard_iteratorINS9_11use_defaultEEEdNS9_4plusIvEEdEEDaPvRmT3_T4_T5_mT6_P12ihipStream_tbENKUlT_T0_E_clISt17integral_constantIbLb0EESX_EEDaSS_ST_EUlSS_E0_NS1_11comp_targetILNS1_3genE0ELNS1_11target_archE4294967295ELNS1_3gpuE0ELNS1_3repE0EEENS1_30default_config_static_selectorELNS0_4arch9wavefront6targetE1EEEvT1_
	.p2align	8
	.type	_ZN7rocprim17ROCPRIM_400000_NS6detail17trampoline_kernelINS0_14default_configENS1_20scan_config_selectorIdEEZZNS1_9scan_implILNS1_25lookback_scan_determinismE0ELb1ELb1ES3_N6thrust23THRUST_200600_302600_NS6detail15normal_iteratorINS9_10device_ptrIdEEEENS9_16discard_iteratorINS9_11use_defaultEEEdNS9_4plusIvEEdEEDaPvRmT3_T4_T5_mT6_P12ihipStream_tbENKUlT_T0_E_clISt17integral_constantIbLb0EESX_EEDaSS_ST_EUlSS_E0_NS1_11comp_targetILNS1_3genE0ELNS1_11target_archE4294967295ELNS1_3gpuE0ELNS1_3repE0EEENS1_30default_config_static_selectorELNS0_4arch9wavefront6targetE1EEEvT1_,@function
_ZN7rocprim17ROCPRIM_400000_NS6detail17trampoline_kernelINS0_14default_configENS1_20scan_config_selectorIdEEZZNS1_9scan_implILNS1_25lookback_scan_determinismE0ELb1ELb1ES3_N6thrust23THRUST_200600_302600_NS6detail15normal_iteratorINS9_10device_ptrIdEEEENS9_16discard_iteratorINS9_11use_defaultEEEdNS9_4plusIvEEdEEDaPvRmT3_T4_T5_mT6_P12ihipStream_tbENKUlT_T0_E_clISt17integral_constantIbLb0EESX_EEDaSS_ST_EUlSS_E0_NS1_11comp_targetILNS1_3genE0ELNS1_11target_archE4294967295ELNS1_3gpuE0ELNS1_3repE0EEENS1_30default_config_static_selectorELNS0_4arch9wavefront6targetE1EEEvT1_: ; @_ZN7rocprim17ROCPRIM_400000_NS6detail17trampoline_kernelINS0_14default_configENS1_20scan_config_selectorIdEEZZNS1_9scan_implILNS1_25lookback_scan_determinismE0ELb1ELb1ES3_N6thrust23THRUST_200600_302600_NS6detail15normal_iteratorINS9_10device_ptrIdEEEENS9_16discard_iteratorINS9_11use_defaultEEEdNS9_4plusIvEEdEEDaPvRmT3_T4_T5_mT6_P12ihipStream_tbENKUlT_T0_E_clISt17integral_constantIbLb0EESX_EEDaSS_ST_EUlSS_E0_NS1_11comp_targetILNS1_3genE0ELNS1_11target_archE4294967295ELNS1_3gpuE0ELNS1_3repE0EEENS1_30default_config_static_selectorELNS0_4arch9wavefront6targetE1EEEvT1_
; %bb.0:
	.section	.rodata,"a",@progbits
	.p2align	6, 0x0
	.amdhsa_kernel _ZN7rocprim17ROCPRIM_400000_NS6detail17trampoline_kernelINS0_14default_configENS1_20scan_config_selectorIdEEZZNS1_9scan_implILNS1_25lookback_scan_determinismE0ELb1ELb1ES3_N6thrust23THRUST_200600_302600_NS6detail15normal_iteratorINS9_10device_ptrIdEEEENS9_16discard_iteratorINS9_11use_defaultEEEdNS9_4plusIvEEdEEDaPvRmT3_T4_T5_mT6_P12ihipStream_tbENKUlT_T0_E_clISt17integral_constantIbLb0EESX_EEDaSS_ST_EUlSS_E0_NS1_11comp_targetILNS1_3genE0ELNS1_11target_archE4294967295ELNS1_3gpuE0ELNS1_3repE0EEENS1_30default_config_static_selectorELNS0_4arch9wavefront6targetE1EEEvT1_
		.amdhsa_group_segment_fixed_size 0
		.amdhsa_private_segment_fixed_size 0
		.amdhsa_kernarg_size 48
		.amdhsa_user_sgpr_count 6
		.amdhsa_user_sgpr_private_segment_buffer 1
		.amdhsa_user_sgpr_dispatch_ptr 0
		.amdhsa_user_sgpr_queue_ptr 0
		.amdhsa_user_sgpr_kernarg_segment_ptr 1
		.amdhsa_user_sgpr_dispatch_id 0
		.amdhsa_user_sgpr_flat_scratch_init 0
		.amdhsa_user_sgpr_kernarg_preload_length 0
		.amdhsa_user_sgpr_kernarg_preload_offset 0
		.amdhsa_user_sgpr_private_segment_size 0
		.amdhsa_uses_dynamic_stack 0
		.amdhsa_system_sgpr_private_segment_wavefront_offset 0
		.amdhsa_system_sgpr_workgroup_id_x 1
		.amdhsa_system_sgpr_workgroup_id_y 0
		.amdhsa_system_sgpr_workgroup_id_z 0
		.amdhsa_system_sgpr_workgroup_info 0
		.amdhsa_system_vgpr_workitem_id 0
		.amdhsa_next_free_vgpr 1
		.amdhsa_next_free_sgpr 0
		.amdhsa_accum_offset 4
		.amdhsa_reserve_vcc 0
		.amdhsa_reserve_flat_scratch 0
		.amdhsa_float_round_mode_32 0
		.amdhsa_float_round_mode_16_64 0
		.amdhsa_float_denorm_mode_32 3
		.amdhsa_float_denorm_mode_16_64 3
		.amdhsa_dx10_clamp 1
		.amdhsa_ieee_mode 1
		.amdhsa_fp16_overflow 0
		.amdhsa_tg_split 0
		.amdhsa_exception_fp_ieee_invalid_op 0
		.amdhsa_exception_fp_denorm_src 0
		.amdhsa_exception_fp_ieee_div_zero 0
		.amdhsa_exception_fp_ieee_overflow 0
		.amdhsa_exception_fp_ieee_underflow 0
		.amdhsa_exception_fp_ieee_inexact 0
		.amdhsa_exception_int_div_zero 0
	.end_amdhsa_kernel
	.section	.text._ZN7rocprim17ROCPRIM_400000_NS6detail17trampoline_kernelINS0_14default_configENS1_20scan_config_selectorIdEEZZNS1_9scan_implILNS1_25lookback_scan_determinismE0ELb1ELb1ES3_N6thrust23THRUST_200600_302600_NS6detail15normal_iteratorINS9_10device_ptrIdEEEENS9_16discard_iteratorINS9_11use_defaultEEEdNS9_4plusIvEEdEEDaPvRmT3_T4_T5_mT6_P12ihipStream_tbENKUlT_T0_E_clISt17integral_constantIbLb0EESX_EEDaSS_ST_EUlSS_E0_NS1_11comp_targetILNS1_3genE0ELNS1_11target_archE4294967295ELNS1_3gpuE0ELNS1_3repE0EEENS1_30default_config_static_selectorELNS0_4arch9wavefront6targetE1EEEvT1_,"axG",@progbits,_ZN7rocprim17ROCPRIM_400000_NS6detail17trampoline_kernelINS0_14default_configENS1_20scan_config_selectorIdEEZZNS1_9scan_implILNS1_25lookback_scan_determinismE0ELb1ELb1ES3_N6thrust23THRUST_200600_302600_NS6detail15normal_iteratorINS9_10device_ptrIdEEEENS9_16discard_iteratorINS9_11use_defaultEEEdNS9_4plusIvEEdEEDaPvRmT3_T4_T5_mT6_P12ihipStream_tbENKUlT_T0_E_clISt17integral_constantIbLb0EESX_EEDaSS_ST_EUlSS_E0_NS1_11comp_targetILNS1_3genE0ELNS1_11target_archE4294967295ELNS1_3gpuE0ELNS1_3repE0EEENS1_30default_config_static_selectorELNS0_4arch9wavefront6targetE1EEEvT1_,comdat
.Lfunc_end4943:
	.size	_ZN7rocprim17ROCPRIM_400000_NS6detail17trampoline_kernelINS0_14default_configENS1_20scan_config_selectorIdEEZZNS1_9scan_implILNS1_25lookback_scan_determinismE0ELb1ELb1ES3_N6thrust23THRUST_200600_302600_NS6detail15normal_iteratorINS9_10device_ptrIdEEEENS9_16discard_iteratorINS9_11use_defaultEEEdNS9_4plusIvEEdEEDaPvRmT3_T4_T5_mT6_P12ihipStream_tbENKUlT_T0_E_clISt17integral_constantIbLb0EESX_EEDaSS_ST_EUlSS_E0_NS1_11comp_targetILNS1_3genE0ELNS1_11target_archE4294967295ELNS1_3gpuE0ELNS1_3repE0EEENS1_30default_config_static_selectorELNS0_4arch9wavefront6targetE1EEEvT1_, .Lfunc_end4943-_ZN7rocprim17ROCPRIM_400000_NS6detail17trampoline_kernelINS0_14default_configENS1_20scan_config_selectorIdEEZZNS1_9scan_implILNS1_25lookback_scan_determinismE0ELb1ELb1ES3_N6thrust23THRUST_200600_302600_NS6detail15normal_iteratorINS9_10device_ptrIdEEEENS9_16discard_iteratorINS9_11use_defaultEEEdNS9_4plusIvEEdEEDaPvRmT3_T4_T5_mT6_P12ihipStream_tbENKUlT_T0_E_clISt17integral_constantIbLb0EESX_EEDaSS_ST_EUlSS_E0_NS1_11comp_targetILNS1_3genE0ELNS1_11target_archE4294967295ELNS1_3gpuE0ELNS1_3repE0EEENS1_30default_config_static_selectorELNS0_4arch9wavefront6targetE1EEEvT1_
                                        ; -- End function
	.section	.AMDGPU.csdata,"",@progbits
; Kernel info:
; codeLenInByte = 0
; NumSgprs: 4
; NumVgprs: 0
; NumAgprs: 0
; TotalNumVgprs: 0
; ScratchSize: 0
; MemoryBound: 0
; FloatMode: 240
; IeeeMode: 1
; LDSByteSize: 0 bytes/workgroup (compile time only)
; SGPRBlocks: 0
; VGPRBlocks: 0
; NumSGPRsForWavesPerEU: 4
; NumVGPRsForWavesPerEU: 1
; AccumOffset: 4
; Occupancy: 8
; WaveLimiterHint : 0
; COMPUTE_PGM_RSRC2:SCRATCH_EN: 0
; COMPUTE_PGM_RSRC2:USER_SGPR: 6
; COMPUTE_PGM_RSRC2:TRAP_HANDLER: 0
; COMPUTE_PGM_RSRC2:TGID_X_EN: 1
; COMPUTE_PGM_RSRC2:TGID_Y_EN: 0
; COMPUTE_PGM_RSRC2:TGID_Z_EN: 0
; COMPUTE_PGM_RSRC2:TIDIG_COMP_CNT: 0
; COMPUTE_PGM_RSRC3_GFX90A:ACCUM_OFFSET: 0
; COMPUTE_PGM_RSRC3_GFX90A:TG_SPLIT: 0
	.section	.text._ZN7rocprim17ROCPRIM_400000_NS6detail17trampoline_kernelINS0_14default_configENS1_20scan_config_selectorIdEEZZNS1_9scan_implILNS1_25lookback_scan_determinismE0ELb1ELb1ES3_N6thrust23THRUST_200600_302600_NS6detail15normal_iteratorINS9_10device_ptrIdEEEENS9_16discard_iteratorINS9_11use_defaultEEEdNS9_4plusIvEEdEEDaPvRmT3_T4_T5_mT6_P12ihipStream_tbENKUlT_T0_E_clISt17integral_constantIbLb0EESX_EEDaSS_ST_EUlSS_E0_NS1_11comp_targetILNS1_3genE5ELNS1_11target_archE942ELNS1_3gpuE9ELNS1_3repE0EEENS1_30default_config_static_selectorELNS0_4arch9wavefront6targetE1EEEvT1_,"axG",@progbits,_ZN7rocprim17ROCPRIM_400000_NS6detail17trampoline_kernelINS0_14default_configENS1_20scan_config_selectorIdEEZZNS1_9scan_implILNS1_25lookback_scan_determinismE0ELb1ELb1ES3_N6thrust23THRUST_200600_302600_NS6detail15normal_iteratorINS9_10device_ptrIdEEEENS9_16discard_iteratorINS9_11use_defaultEEEdNS9_4plusIvEEdEEDaPvRmT3_T4_T5_mT6_P12ihipStream_tbENKUlT_T0_E_clISt17integral_constantIbLb0EESX_EEDaSS_ST_EUlSS_E0_NS1_11comp_targetILNS1_3genE5ELNS1_11target_archE942ELNS1_3gpuE9ELNS1_3repE0EEENS1_30default_config_static_selectorELNS0_4arch9wavefront6targetE1EEEvT1_,comdat
	.protected	_ZN7rocprim17ROCPRIM_400000_NS6detail17trampoline_kernelINS0_14default_configENS1_20scan_config_selectorIdEEZZNS1_9scan_implILNS1_25lookback_scan_determinismE0ELb1ELb1ES3_N6thrust23THRUST_200600_302600_NS6detail15normal_iteratorINS9_10device_ptrIdEEEENS9_16discard_iteratorINS9_11use_defaultEEEdNS9_4plusIvEEdEEDaPvRmT3_T4_T5_mT6_P12ihipStream_tbENKUlT_T0_E_clISt17integral_constantIbLb0EESX_EEDaSS_ST_EUlSS_E0_NS1_11comp_targetILNS1_3genE5ELNS1_11target_archE942ELNS1_3gpuE9ELNS1_3repE0EEENS1_30default_config_static_selectorELNS0_4arch9wavefront6targetE1EEEvT1_ ; -- Begin function _ZN7rocprim17ROCPRIM_400000_NS6detail17trampoline_kernelINS0_14default_configENS1_20scan_config_selectorIdEEZZNS1_9scan_implILNS1_25lookback_scan_determinismE0ELb1ELb1ES3_N6thrust23THRUST_200600_302600_NS6detail15normal_iteratorINS9_10device_ptrIdEEEENS9_16discard_iteratorINS9_11use_defaultEEEdNS9_4plusIvEEdEEDaPvRmT3_T4_T5_mT6_P12ihipStream_tbENKUlT_T0_E_clISt17integral_constantIbLb0EESX_EEDaSS_ST_EUlSS_E0_NS1_11comp_targetILNS1_3genE5ELNS1_11target_archE942ELNS1_3gpuE9ELNS1_3repE0EEENS1_30default_config_static_selectorELNS0_4arch9wavefront6targetE1EEEvT1_
	.globl	_ZN7rocprim17ROCPRIM_400000_NS6detail17trampoline_kernelINS0_14default_configENS1_20scan_config_selectorIdEEZZNS1_9scan_implILNS1_25lookback_scan_determinismE0ELb1ELb1ES3_N6thrust23THRUST_200600_302600_NS6detail15normal_iteratorINS9_10device_ptrIdEEEENS9_16discard_iteratorINS9_11use_defaultEEEdNS9_4plusIvEEdEEDaPvRmT3_T4_T5_mT6_P12ihipStream_tbENKUlT_T0_E_clISt17integral_constantIbLb0EESX_EEDaSS_ST_EUlSS_E0_NS1_11comp_targetILNS1_3genE5ELNS1_11target_archE942ELNS1_3gpuE9ELNS1_3repE0EEENS1_30default_config_static_selectorELNS0_4arch9wavefront6targetE1EEEvT1_
	.p2align	8
	.type	_ZN7rocprim17ROCPRIM_400000_NS6detail17trampoline_kernelINS0_14default_configENS1_20scan_config_selectorIdEEZZNS1_9scan_implILNS1_25lookback_scan_determinismE0ELb1ELb1ES3_N6thrust23THRUST_200600_302600_NS6detail15normal_iteratorINS9_10device_ptrIdEEEENS9_16discard_iteratorINS9_11use_defaultEEEdNS9_4plusIvEEdEEDaPvRmT3_T4_T5_mT6_P12ihipStream_tbENKUlT_T0_E_clISt17integral_constantIbLb0EESX_EEDaSS_ST_EUlSS_E0_NS1_11comp_targetILNS1_3genE5ELNS1_11target_archE942ELNS1_3gpuE9ELNS1_3repE0EEENS1_30default_config_static_selectorELNS0_4arch9wavefront6targetE1EEEvT1_,@function
_ZN7rocprim17ROCPRIM_400000_NS6detail17trampoline_kernelINS0_14default_configENS1_20scan_config_selectorIdEEZZNS1_9scan_implILNS1_25lookback_scan_determinismE0ELb1ELb1ES3_N6thrust23THRUST_200600_302600_NS6detail15normal_iteratorINS9_10device_ptrIdEEEENS9_16discard_iteratorINS9_11use_defaultEEEdNS9_4plusIvEEdEEDaPvRmT3_T4_T5_mT6_P12ihipStream_tbENKUlT_T0_E_clISt17integral_constantIbLb0EESX_EEDaSS_ST_EUlSS_E0_NS1_11comp_targetILNS1_3genE5ELNS1_11target_archE942ELNS1_3gpuE9ELNS1_3repE0EEENS1_30default_config_static_selectorELNS0_4arch9wavefront6targetE1EEEvT1_: ; @_ZN7rocprim17ROCPRIM_400000_NS6detail17trampoline_kernelINS0_14default_configENS1_20scan_config_selectorIdEEZZNS1_9scan_implILNS1_25lookback_scan_determinismE0ELb1ELb1ES3_N6thrust23THRUST_200600_302600_NS6detail15normal_iteratorINS9_10device_ptrIdEEEENS9_16discard_iteratorINS9_11use_defaultEEEdNS9_4plusIvEEdEEDaPvRmT3_T4_T5_mT6_P12ihipStream_tbENKUlT_T0_E_clISt17integral_constantIbLb0EESX_EEDaSS_ST_EUlSS_E0_NS1_11comp_targetILNS1_3genE5ELNS1_11target_archE942ELNS1_3gpuE9ELNS1_3repE0EEENS1_30default_config_static_selectorELNS0_4arch9wavefront6targetE1EEEvT1_
; %bb.0:
	.section	.rodata,"a",@progbits
	.p2align	6, 0x0
	.amdhsa_kernel _ZN7rocprim17ROCPRIM_400000_NS6detail17trampoline_kernelINS0_14default_configENS1_20scan_config_selectorIdEEZZNS1_9scan_implILNS1_25lookback_scan_determinismE0ELb1ELb1ES3_N6thrust23THRUST_200600_302600_NS6detail15normal_iteratorINS9_10device_ptrIdEEEENS9_16discard_iteratorINS9_11use_defaultEEEdNS9_4plusIvEEdEEDaPvRmT3_T4_T5_mT6_P12ihipStream_tbENKUlT_T0_E_clISt17integral_constantIbLb0EESX_EEDaSS_ST_EUlSS_E0_NS1_11comp_targetILNS1_3genE5ELNS1_11target_archE942ELNS1_3gpuE9ELNS1_3repE0EEENS1_30default_config_static_selectorELNS0_4arch9wavefront6targetE1EEEvT1_
		.amdhsa_group_segment_fixed_size 0
		.amdhsa_private_segment_fixed_size 0
		.amdhsa_kernarg_size 48
		.amdhsa_user_sgpr_count 6
		.amdhsa_user_sgpr_private_segment_buffer 1
		.amdhsa_user_sgpr_dispatch_ptr 0
		.amdhsa_user_sgpr_queue_ptr 0
		.amdhsa_user_sgpr_kernarg_segment_ptr 1
		.amdhsa_user_sgpr_dispatch_id 0
		.amdhsa_user_sgpr_flat_scratch_init 0
		.amdhsa_user_sgpr_kernarg_preload_length 0
		.amdhsa_user_sgpr_kernarg_preload_offset 0
		.amdhsa_user_sgpr_private_segment_size 0
		.amdhsa_uses_dynamic_stack 0
		.amdhsa_system_sgpr_private_segment_wavefront_offset 0
		.amdhsa_system_sgpr_workgroup_id_x 1
		.amdhsa_system_sgpr_workgroup_id_y 0
		.amdhsa_system_sgpr_workgroup_id_z 0
		.amdhsa_system_sgpr_workgroup_info 0
		.amdhsa_system_vgpr_workitem_id 0
		.amdhsa_next_free_vgpr 1
		.amdhsa_next_free_sgpr 0
		.amdhsa_accum_offset 4
		.amdhsa_reserve_vcc 0
		.amdhsa_reserve_flat_scratch 0
		.amdhsa_float_round_mode_32 0
		.amdhsa_float_round_mode_16_64 0
		.amdhsa_float_denorm_mode_32 3
		.amdhsa_float_denorm_mode_16_64 3
		.amdhsa_dx10_clamp 1
		.amdhsa_ieee_mode 1
		.amdhsa_fp16_overflow 0
		.amdhsa_tg_split 0
		.amdhsa_exception_fp_ieee_invalid_op 0
		.amdhsa_exception_fp_denorm_src 0
		.amdhsa_exception_fp_ieee_div_zero 0
		.amdhsa_exception_fp_ieee_overflow 0
		.amdhsa_exception_fp_ieee_underflow 0
		.amdhsa_exception_fp_ieee_inexact 0
		.amdhsa_exception_int_div_zero 0
	.end_amdhsa_kernel
	.section	.text._ZN7rocprim17ROCPRIM_400000_NS6detail17trampoline_kernelINS0_14default_configENS1_20scan_config_selectorIdEEZZNS1_9scan_implILNS1_25lookback_scan_determinismE0ELb1ELb1ES3_N6thrust23THRUST_200600_302600_NS6detail15normal_iteratorINS9_10device_ptrIdEEEENS9_16discard_iteratorINS9_11use_defaultEEEdNS9_4plusIvEEdEEDaPvRmT3_T4_T5_mT6_P12ihipStream_tbENKUlT_T0_E_clISt17integral_constantIbLb0EESX_EEDaSS_ST_EUlSS_E0_NS1_11comp_targetILNS1_3genE5ELNS1_11target_archE942ELNS1_3gpuE9ELNS1_3repE0EEENS1_30default_config_static_selectorELNS0_4arch9wavefront6targetE1EEEvT1_,"axG",@progbits,_ZN7rocprim17ROCPRIM_400000_NS6detail17trampoline_kernelINS0_14default_configENS1_20scan_config_selectorIdEEZZNS1_9scan_implILNS1_25lookback_scan_determinismE0ELb1ELb1ES3_N6thrust23THRUST_200600_302600_NS6detail15normal_iteratorINS9_10device_ptrIdEEEENS9_16discard_iteratorINS9_11use_defaultEEEdNS9_4plusIvEEdEEDaPvRmT3_T4_T5_mT6_P12ihipStream_tbENKUlT_T0_E_clISt17integral_constantIbLb0EESX_EEDaSS_ST_EUlSS_E0_NS1_11comp_targetILNS1_3genE5ELNS1_11target_archE942ELNS1_3gpuE9ELNS1_3repE0EEENS1_30default_config_static_selectorELNS0_4arch9wavefront6targetE1EEEvT1_,comdat
.Lfunc_end4944:
	.size	_ZN7rocprim17ROCPRIM_400000_NS6detail17trampoline_kernelINS0_14default_configENS1_20scan_config_selectorIdEEZZNS1_9scan_implILNS1_25lookback_scan_determinismE0ELb1ELb1ES3_N6thrust23THRUST_200600_302600_NS6detail15normal_iteratorINS9_10device_ptrIdEEEENS9_16discard_iteratorINS9_11use_defaultEEEdNS9_4plusIvEEdEEDaPvRmT3_T4_T5_mT6_P12ihipStream_tbENKUlT_T0_E_clISt17integral_constantIbLb0EESX_EEDaSS_ST_EUlSS_E0_NS1_11comp_targetILNS1_3genE5ELNS1_11target_archE942ELNS1_3gpuE9ELNS1_3repE0EEENS1_30default_config_static_selectorELNS0_4arch9wavefront6targetE1EEEvT1_, .Lfunc_end4944-_ZN7rocprim17ROCPRIM_400000_NS6detail17trampoline_kernelINS0_14default_configENS1_20scan_config_selectorIdEEZZNS1_9scan_implILNS1_25lookback_scan_determinismE0ELb1ELb1ES3_N6thrust23THRUST_200600_302600_NS6detail15normal_iteratorINS9_10device_ptrIdEEEENS9_16discard_iteratorINS9_11use_defaultEEEdNS9_4plusIvEEdEEDaPvRmT3_T4_T5_mT6_P12ihipStream_tbENKUlT_T0_E_clISt17integral_constantIbLb0EESX_EEDaSS_ST_EUlSS_E0_NS1_11comp_targetILNS1_3genE5ELNS1_11target_archE942ELNS1_3gpuE9ELNS1_3repE0EEENS1_30default_config_static_selectorELNS0_4arch9wavefront6targetE1EEEvT1_
                                        ; -- End function
	.section	.AMDGPU.csdata,"",@progbits
; Kernel info:
; codeLenInByte = 0
; NumSgprs: 4
; NumVgprs: 0
; NumAgprs: 0
; TotalNumVgprs: 0
; ScratchSize: 0
; MemoryBound: 0
; FloatMode: 240
; IeeeMode: 1
; LDSByteSize: 0 bytes/workgroup (compile time only)
; SGPRBlocks: 0
; VGPRBlocks: 0
; NumSGPRsForWavesPerEU: 4
; NumVGPRsForWavesPerEU: 1
; AccumOffset: 4
; Occupancy: 8
; WaveLimiterHint : 0
; COMPUTE_PGM_RSRC2:SCRATCH_EN: 0
; COMPUTE_PGM_RSRC2:USER_SGPR: 6
; COMPUTE_PGM_RSRC2:TRAP_HANDLER: 0
; COMPUTE_PGM_RSRC2:TGID_X_EN: 1
; COMPUTE_PGM_RSRC2:TGID_Y_EN: 0
; COMPUTE_PGM_RSRC2:TGID_Z_EN: 0
; COMPUTE_PGM_RSRC2:TIDIG_COMP_CNT: 0
; COMPUTE_PGM_RSRC3_GFX90A:ACCUM_OFFSET: 0
; COMPUTE_PGM_RSRC3_GFX90A:TG_SPLIT: 0
	.section	.text._ZN7rocprim17ROCPRIM_400000_NS6detail17trampoline_kernelINS0_14default_configENS1_20scan_config_selectorIdEEZZNS1_9scan_implILNS1_25lookback_scan_determinismE0ELb1ELb1ES3_N6thrust23THRUST_200600_302600_NS6detail15normal_iteratorINS9_10device_ptrIdEEEENS9_16discard_iteratorINS9_11use_defaultEEEdNS9_4plusIvEEdEEDaPvRmT3_T4_T5_mT6_P12ihipStream_tbENKUlT_T0_E_clISt17integral_constantIbLb0EESX_EEDaSS_ST_EUlSS_E0_NS1_11comp_targetILNS1_3genE4ELNS1_11target_archE910ELNS1_3gpuE8ELNS1_3repE0EEENS1_30default_config_static_selectorELNS0_4arch9wavefront6targetE1EEEvT1_,"axG",@progbits,_ZN7rocprim17ROCPRIM_400000_NS6detail17trampoline_kernelINS0_14default_configENS1_20scan_config_selectorIdEEZZNS1_9scan_implILNS1_25lookback_scan_determinismE0ELb1ELb1ES3_N6thrust23THRUST_200600_302600_NS6detail15normal_iteratorINS9_10device_ptrIdEEEENS9_16discard_iteratorINS9_11use_defaultEEEdNS9_4plusIvEEdEEDaPvRmT3_T4_T5_mT6_P12ihipStream_tbENKUlT_T0_E_clISt17integral_constantIbLb0EESX_EEDaSS_ST_EUlSS_E0_NS1_11comp_targetILNS1_3genE4ELNS1_11target_archE910ELNS1_3gpuE8ELNS1_3repE0EEENS1_30default_config_static_selectorELNS0_4arch9wavefront6targetE1EEEvT1_,comdat
	.protected	_ZN7rocprim17ROCPRIM_400000_NS6detail17trampoline_kernelINS0_14default_configENS1_20scan_config_selectorIdEEZZNS1_9scan_implILNS1_25lookback_scan_determinismE0ELb1ELb1ES3_N6thrust23THRUST_200600_302600_NS6detail15normal_iteratorINS9_10device_ptrIdEEEENS9_16discard_iteratorINS9_11use_defaultEEEdNS9_4plusIvEEdEEDaPvRmT3_T4_T5_mT6_P12ihipStream_tbENKUlT_T0_E_clISt17integral_constantIbLb0EESX_EEDaSS_ST_EUlSS_E0_NS1_11comp_targetILNS1_3genE4ELNS1_11target_archE910ELNS1_3gpuE8ELNS1_3repE0EEENS1_30default_config_static_selectorELNS0_4arch9wavefront6targetE1EEEvT1_ ; -- Begin function _ZN7rocprim17ROCPRIM_400000_NS6detail17trampoline_kernelINS0_14default_configENS1_20scan_config_selectorIdEEZZNS1_9scan_implILNS1_25lookback_scan_determinismE0ELb1ELb1ES3_N6thrust23THRUST_200600_302600_NS6detail15normal_iteratorINS9_10device_ptrIdEEEENS9_16discard_iteratorINS9_11use_defaultEEEdNS9_4plusIvEEdEEDaPvRmT3_T4_T5_mT6_P12ihipStream_tbENKUlT_T0_E_clISt17integral_constantIbLb0EESX_EEDaSS_ST_EUlSS_E0_NS1_11comp_targetILNS1_3genE4ELNS1_11target_archE910ELNS1_3gpuE8ELNS1_3repE0EEENS1_30default_config_static_selectorELNS0_4arch9wavefront6targetE1EEEvT1_
	.globl	_ZN7rocprim17ROCPRIM_400000_NS6detail17trampoline_kernelINS0_14default_configENS1_20scan_config_selectorIdEEZZNS1_9scan_implILNS1_25lookback_scan_determinismE0ELb1ELb1ES3_N6thrust23THRUST_200600_302600_NS6detail15normal_iteratorINS9_10device_ptrIdEEEENS9_16discard_iteratorINS9_11use_defaultEEEdNS9_4plusIvEEdEEDaPvRmT3_T4_T5_mT6_P12ihipStream_tbENKUlT_T0_E_clISt17integral_constantIbLb0EESX_EEDaSS_ST_EUlSS_E0_NS1_11comp_targetILNS1_3genE4ELNS1_11target_archE910ELNS1_3gpuE8ELNS1_3repE0EEENS1_30default_config_static_selectorELNS0_4arch9wavefront6targetE1EEEvT1_
	.p2align	8
	.type	_ZN7rocprim17ROCPRIM_400000_NS6detail17trampoline_kernelINS0_14default_configENS1_20scan_config_selectorIdEEZZNS1_9scan_implILNS1_25lookback_scan_determinismE0ELb1ELb1ES3_N6thrust23THRUST_200600_302600_NS6detail15normal_iteratorINS9_10device_ptrIdEEEENS9_16discard_iteratorINS9_11use_defaultEEEdNS9_4plusIvEEdEEDaPvRmT3_T4_T5_mT6_P12ihipStream_tbENKUlT_T0_E_clISt17integral_constantIbLb0EESX_EEDaSS_ST_EUlSS_E0_NS1_11comp_targetILNS1_3genE4ELNS1_11target_archE910ELNS1_3gpuE8ELNS1_3repE0EEENS1_30default_config_static_selectorELNS0_4arch9wavefront6targetE1EEEvT1_,@function
_ZN7rocprim17ROCPRIM_400000_NS6detail17trampoline_kernelINS0_14default_configENS1_20scan_config_selectorIdEEZZNS1_9scan_implILNS1_25lookback_scan_determinismE0ELb1ELb1ES3_N6thrust23THRUST_200600_302600_NS6detail15normal_iteratorINS9_10device_ptrIdEEEENS9_16discard_iteratorINS9_11use_defaultEEEdNS9_4plusIvEEdEEDaPvRmT3_T4_T5_mT6_P12ihipStream_tbENKUlT_T0_E_clISt17integral_constantIbLb0EESX_EEDaSS_ST_EUlSS_E0_NS1_11comp_targetILNS1_3genE4ELNS1_11target_archE910ELNS1_3gpuE8ELNS1_3repE0EEENS1_30default_config_static_selectorELNS0_4arch9wavefront6targetE1EEEvT1_: ; @_ZN7rocprim17ROCPRIM_400000_NS6detail17trampoline_kernelINS0_14default_configENS1_20scan_config_selectorIdEEZZNS1_9scan_implILNS1_25lookback_scan_determinismE0ELb1ELb1ES3_N6thrust23THRUST_200600_302600_NS6detail15normal_iteratorINS9_10device_ptrIdEEEENS9_16discard_iteratorINS9_11use_defaultEEEdNS9_4plusIvEEdEEDaPvRmT3_T4_T5_mT6_P12ihipStream_tbENKUlT_T0_E_clISt17integral_constantIbLb0EESX_EEDaSS_ST_EUlSS_E0_NS1_11comp_targetILNS1_3genE4ELNS1_11target_archE910ELNS1_3gpuE8ELNS1_3repE0EEENS1_30default_config_static_selectorELNS0_4arch9wavefront6targetE1EEEvT1_
; %bb.0:
	s_load_dwordx4 s[0:3], s[4:5], 0x0
	v_lshlrev_b32_e32 v1, 3, v0
	s_waitcnt lgkmcnt(0)
	s_load_dwordx2 s[6:7], s[0:1], 0x0
	v_cmp_gt_u32_e32 vcc, s2, v0
	s_waitcnt lgkmcnt(0)
	v_pk_mov_b32 v[2:3], s[6:7], s[6:7] op_sel:[0,1]
	s_and_saveexec_b64 s[8:9], vcc
	s_cbranch_execz .LBB4945_2
; %bb.1:
	global_load_dwordx2 v[2:3], v1, s[0:1]
.LBB4945_2:
	s_or_b64 exec, exec, s[8:9]
	v_or_b32_e32 v4, 0x80, v0
	v_cmp_gt_u32_e32 vcc, s2, v4
	v_pk_mov_b32 v[4:5], s[6:7], s[6:7] op_sel:[0,1]
	s_and_saveexec_b64 s[8:9], vcc
	s_cbranch_execz .LBB4945_4
; %bb.3:
	global_load_dwordx2 v[4:5], v1, s[0:1] offset:1024
.LBB4945_4:
	s_or_b64 exec, exec, s[8:9]
	v_or_b32_e32 v6, 0x100, v0
	v_cmp_gt_u32_e32 vcc, s2, v6
	v_pk_mov_b32 v[6:7], s[6:7], s[6:7] op_sel:[0,1]
	s_and_saveexec_b64 s[8:9], vcc
	s_cbranch_execz .LBB4945_6
; %bb.5:
	global_load_dwordx2 v[6:7], v1, s[0:1] offset:2048
.LBB4945_6:
	;; [unrolled: 9-line block ×3, first 2 shown]
	s_or_b64 exec, exec, s[8:9]
	v_or_b32_e32 v12, 0x200, v0
	v_cmp_gt_u32_e32 vcc, s2, v12
	v_pk_mov_b32 v[10:11], s[6:7], s[6:7] op_sel:[0,1]
	s_and_saveexec_b64 s[8:9], vcc
	s_cbranch_execz .LBB4945_10
; %bb.9:
	v_lshlrev_b32_e32 v10, 3, v12
	global_load_dwordx2 v[10:11], v10, s[0:1]
.LBB4945_10:
	s_or_b64 exec, exec, s[8:9]
	v_or_b32_e32 v14, 0x280, v0
	v_cmp_gt_u32_e32 vcc, s2, v14
	v_pk_mov_b32 v[12:13], s[6:7], s[6:7] op_sel:[0,1]
	s_and_saveexec_b64 s[8:9], vcc
	s_cbranch_execz .LBB4945_12
; %bb.11:
	v_lshlrev_b32_e32 v12, 3, v14
	global_load_dwordx2 v[12:13], v12, s[0:1]
.LBB4945_12:
	;; [unrolled: 10-line block ×6, first 2 shown]
	s_or_b64 exec, exec, s[2:3]
	s_movk_i32 s0, 0x48
	s_waitcnt vmcnt(0)
	ds_write2st64_b64 v1, v[2:3], v[4:5] offset1:2
	ds_write2st64_b64 v1, v[6:7], v[8:9] offset0:4 offset1:6
	ds_write2st64_b64 v1, v[10:11], v[12:13] offset0:8 offset1:10
	;; [unrolled: 1-line block ×4, first 2 shown]
	v_mad_u32_u24 v18, v0, s0, v1
	s_waitcnt lgkmcnt(0)
	s_barrier
	ds_read_b128 v[14:17], v18
	ds_read_b128 v[10:13], v18 offset:16
	ds_read_b128 v[6:9], v18 offset:32
	;; [unrolled: 1-line block ×4, first 2 shown]
	s_waitcnt lgkmcnt(4)
	v_add_f64 v[22:23], v[14:15], v[16:17]
	s_waitcnt lgkmcnt(3)
	v_add_f64 v[22:23], v[22:23], v[10:11]
	v_add_f64 v[22:23], v[22:23], v[12:13]
	s_waitcnt lgkmcnt(2)
	v_add_f64 v[22:23], v[22:23], v[6:7]
	;; [unrolled: 3-line block ×4, first 2 shown]
	v_add_f64 v[20:21], v[22:23], v[20:21]
	v_mbcnt_lo_u32_b32 v22, -1, 0
	v_mbcnt_hi_u32_b32 v28, -1, v22
	v_and_b32_e32 v26, 15, v28
	v_mov_b32_dpp v22, v20 row_shr:1 row_mask:0xf bank_mask:0xf
	v_mov_b32_dpp v23, v21 row_shr:1 row_mask:0xf bank_mask:0xf
	v_add_f64 v[22:23], v[20:21], v[22:23]
	v_cmp_eq_u32_e32 vcc, 0, v26
	v_cndmask_b32_e32 v22, v22, v20, vcc
	v_cndmask_b32_e32 v23, v23, v21, vcc
	v_cmp_lt_u32_e32 vcc, 1, v26
	v_mov_b32_dpp v24, v22 row_shr:2 row_mask:0xf bank_mask:0xf
	v_mov_b32_dpp v25, v23 row_shr:2 row_mask:0xf bank_mask:0xf
	v_add_f64 v[24:25], v[22:23], v[24:25]
	v_cndmask_b32_e32 v22, v22, v24, vcc
	v_cndmask_b32_e32 v23, v23, v25, vcc
	v_cmp_lt_u32_e32 vcc, 3, v26
	v_mov_b32_dpp v24, v22 row_shr:4 row_mask:0xf bank_mask:0xf
	v_mov_b32_dpp v25, v23 row_shr:4 row_mask:0xf bank_mask:0xf
	v_add_f64 v[24:25], v[22:23], v[24:25]
	;; [unrolled: 6-line block ×3, first 2 shown]
	s_load_dwordx2 s[4:5], s[4:5], 0x10
	v_cndmask_b32_e32 v22, v22, v24, vcc
	v_cndmask_b32_e32 v23, v23, v25, vcc
	v_and_b32_e32 v29, 16, v28
	v_mov_b32_dpp v24, v22 row_bcast:15 row_mask:0xf bank_mask:0xf
	v_mov_b32_dpp v25, v23 row_bcast:15 row_mask:0xf bank_mask:0xf
	v_add_f64 v[26:27], v[22:23], v[24:25]
	v_cmp_eq_u32_e64 s[0:1], 0, v29
	v_cndmask_b32_e64 v25, v27, v23, s[0:1]
	v_cndmask_b32_e64 v24, v26, v22, s[0:1]
	v_cmp_eq_u32_e32 vcc, 0, v28
	v_mov_b32_dpp v25, v25 row_bcast:31 row_mask:0xf bank_mask:0xf
	v_mov_b32_dpp v24, v24 row_bcast:31 row_mask:0xf bank_mask:0xf
	v_cmp_ne_u32_e64 s[2:3], 0, v28
	s_waitcnt lgkmcnt(0)
	s_barrier
	s_and_saveexec_b64 s[6:7], s[2:3]
; %bb.21:
	v_cndmask_b32_e64 v21, v27, v23, s[0:1]
	v_cndmask_b32_e64 v20, v26, v22, s[0:1]
	v_add_f64 v[22:23], v[20:21], v[24:25]
	v_cmp_lt_u32_e64 s[0:1], 31, v28
	v_cndmask_b32_e64 v21, v21, v23, s[0:1]
	v_cndmask_b32_e64 v20, v20, v22, s[0:1]
; %bb.22:
	s_or_b64 exec, exec, s[6:7]
	v_or_b32_e32 v22, 63, v0
	v_lshrrev_b32_e32 v25, 6, v0
	v_cmp_eq_u32_e64 s[0:1], v22, v0
	s_and_saveexec_b64 s[2:3], s[0:1]
	s_cbranch_execz .LBB4945_24
; %bb.23:
	v_lshlrev_b32_e32 v22, 3, v25
	ds_write_b64 v22, v[20:21]
.LBB4945_24:
	s_or_b64 exec, exec, s[2:3]
	v_cmp_gt_u32_e64 s[0:1], 2, v0
	s_waitcnt lgkmcnt(0)
	s_barrier
	s_and_saveexec_b64 s[2:3], s[0:1]
	s_cbranch_execz .LBB4945_26
; %bb.25:
	ds_read_b64 v[22:23], v1
	v_and_b32_e32 v24, 1, v28
	v_cmp_eq_u32_e64 s[0:1], 0, v24
	s_waitcnt lgkmcnt(0)
	v_mov_b32_dpp v26, v22 row_shr:1 row_mask:0xf bank_mask:0xf
	v_mov_b32_dpp v27, v23 row_shr:1 row_mask:0xf bank_mask:0xf
	v_add_f64 v[26:27], v[22:23], v[26:27]
	v_cndmask_b32_e64 v23, v27, v23, s[0:1]
	v_cndmask_b32_e64 v22, v26, v22, s[0:1]
	ds_write_b64 v1, v[22:23]
.LBB4945_26:
	s_or_b64 exec, exec, s[2:3]
	v_mul_u32_u24_e32 v24, 0x48, v0
	v_cmp_lt_u32_e64 s[0:1], 63, v0
	v_pk_mov_b32 v[22:23], s[4:5], s[4:5] op_sel:[0,1]
	s_waitcnt lgkmcnt(0)
	s_barrier
	s_and_saveexec_b64 s[2:3], s[0:1]
	s_cbranch_execz .LBB4945_28
; %bb.27:
	v_lshl_add_u32 v22, v25, 3, -8
	ds_read_b64 v[22:23], v22
	s_waitcnt lgkmcnt(0)
	v_add_f64 v[22:23], s[4:5], v[22:23]
.LBB4945_28:
	s_or_b64 exec, exec, s[2:3]
	v_add_u32_e32 v25, -1, v28
	v_and_b32_e32 v26, 64, v28
	v_cmp_lt_i32_e64 s[0:1], v25, v26
	v_cndmask_b32_e64 v25, v25, v28, s[0:1]
	v_add_f64 v[20:21], v[20:21], v[22:23]
	v_lshlrev_b32_e32 v25, 2, v25
	ds_bpermute_b32 v20, v25, v20
	ds_bpermute_b32 v21, v25, v21
	s_waitcnt lgkmcnt(0)
	s_barrier
	v_cndmask_b32_e32 v20, v20, v22, vcc
	v_cndmask_b32_e32 v21, v21, v23, vcc
	v_mov_b32_e32 v22, s5
	v_cmp_eq_u32_e32 vcc, 0, v0
	v_mov_b32_e32 v0, s4
	v_cndmask_b32_e32 v21, v21, v22, vcc
	v_cndmask_b32_e32 v20, v20, v0, vcc
	v_add_f64 v[22:23], v[14:15], v[20:21]
	v_add_f64 v[14:15], v[16:17], v[22:23]
	v_add_f64 v[16:17], v[10:11], v[14:15]
	v_add_f64 v[10:11], v[12:13], v[16:17]
	v_add_f64 v[12:13], v[6:7], v[10:11]
	v_add_f64 v[6:7], v[8:9], v[12:13]
	v_add_f64 v[8:9], v[2:3], v[6:7]
	v_add_f64 v[2:3], v[4:5], v[8:9]
	v_add_u32_e32 v0, v1, v24
	v_add_f64 v[4:5], v[18:19], v[2:3]
	ds_write_b128 v0, v[20:23]
	ds_write_b128 v0, v[14:17] offset:16
	ds_write_b128 v0, v[10:13] offset:32
	ds_write_b128 v0, v[6:9] offset:48
	ds_write_b128 v0, v[2:5] offset:64
	s_waitcnt lgkmcnt(0)
	s_barrier
	s_endpgm
	.section	.rodata,"a",@progbits
	.p2align	6, 0x0
	.amdhsa_kernel _ZN7rocprim17ROCPRIM_400000_NS6detail17trampoline_kernelINS0_14default_configENS1_20scan_config_selectorIdEEZZNS1_9scan_implILNS1_25lookback_scan_determinismE0ELb1ELb1ES3_N6thrust23THRUST_200600_302600_NS6detail15normal_iteratorINS9_10device_ptrIdEEEENS9_16discard_iteratorINS9_11use_defaultEEEdNS9_4plusIvEEdEEDaPvRmT3_T4_T5_mT6_P12ihipStream_tbENKUlT_T0_E_clISt17integral_constantIbLb0EESX_EEDaSS_ST_EUlSS_E0_NS1_11comp_targetILNS1_3genE4ELNS1_11target_archE910ELNS1_3gpuE8ELNS1_3repE0EEENS1_30default_config_static_selectorELNS0_4arch9wavefront6targetE1EEEvT1_
		.amdhsa_group_segment_fixed_size 10240
		.amdhsa_private_segment_fixed_size 0
		.amdhsa_kernarg_size 48
		.amdhsa_user_sgpr_count 6
		.amdhsa_user_sgpr_private_segment_buffer 1
		.amdhsa_user_sgpr_dispatch_ptr 0
		.amdhsa_user_sgpr_queue_ptr 0
		.amdhsa_user_sgpr_kernarg_segment_ptr 1
		.amdhsa_user_sgpr_dispatch_id 0
		.amdhsa_user_sgpr_flat_scratch_init 0
		.amdhsa_user_sgpr_kernarg_preload_length 0
		.amdhsa_user_sgpr_kernarg_preload_offset 0
		.amdhsa_user_sgpr_private_segment_size 0
		.amdhsa_uses_dynamic_stack 0
		.amdhsa_system_sgpr_private_segment_wavefront_offset 0
		.amdhsa_system_sgpr_workgroup_id_x 1
		.amdhsa_system_sgpr_workgroup_id_y 0
		.amdhsa_system_sgpr_workgroup_id_z 0
		.amdhsa_system_sgpr_workgroup_info 0
		.amdhsa_system_vgpr_workitem_id 0
		.amdhsa_next_free_vgpr 30
		.amdhsa_next_free_sgpr 10
		.amdhsa_accum_offset 32
		.amdhsa_reserve_vcc 1
		.amdhsa_reserve_flat_scratch 0
		.amdhsa_float_round_mode_32 0
		.amdhsa_float_round_mode_16_64 0
		.amdhsa_float_denorm_mode_32 3
		.amdhsa_float_denorm_mode_16_64 3
		.amdhsa_dx10_clamp 1
		.amdhsa_ieee_mode 1
		.amdhsa_fp16_overflow 0
		.amdhsa_tg_split 0
		.amdhsa_exception_fp_ieee_invalid_op 0
		.amdhsa_exception_fp_denorm_src 0
		.amdhsa_exception_fp_ieee_div_zero 0
		.amdhsa_exception_fp_ieee_overflow 0
		.amdhsa_exception_fp_ieee_underflow 0
		.amdhsa_exception_fp_ieee_inexact 0
		.amdhsa_exception_int_div_zero 0
	.end_amdhsa_kernel
	.section	.text._ZN7rocprim17ROCPRIM_400000_NS6detail17trampoline_kernelINS0_14default_configENS1_20scan_config_selectorIdEEZZNS1_9scan_implILNS1_25lookback_scan_determinismE0ELb1ELb1ES3_N6thrust23THRUST_200600_302600_NS6detail15normal_iteratorINS9_10device_ptrIdEEEENS9_16discard_iteratorINS9_11use_defaultEEEdNS9_4plusIvEEdEEDaPvRmT3_T4_T5_mT6_P12ihipStream_tbENKUlT_T0_E_clISt17integral_constantIbLb0EESX_EEDaSS_ST_EUlSS_E0_NS1_11comp_targetILNS1_3genE4ELNS1_11target_archE910ELNS1_3gpuE8ELNS1_3repE0EEENS1_30default_config_static_selectorELNS0_4arch9wavefront6targetE1EEEvT1_,"axG",@progbits,_ZN7rocprim17ROCPRIM_400000_NS6detail17trampoline_kernelINS0_14default_configENS1_20scan_config_selectorIdEEZZNS1_9scan_implILNS1_25lookback_scan_determinismE0ELb1ELb1ES3_N6thrust23THRUST_200600_302600_NS6detail15normal_iteratorINS9_10device_ptrIdEEEENS9_16discard_iteratorINS9_11use_defaultEEEdNS9_4plusIvEEdEEDaPvRmT3_T4_T5_mT6_P12ihipStream_tbENKUlT_T0_E_clISt17integral_constantIbLb0EESX_EEDaSS_ST_EUlSS_E0_NS1_11comp_targetILNS1_3genE4ELNS1_11target_archE910ELNS1_3gpuE8ELNS1_3repE0EEENS1_30default_config_static_selectorELNS0_4arch9wavefront6targetE1EEEvT1_,comdat
.Lfunc_end4945:
	.size	_ZN7rocprim17ROCPRIM_400000_NS6detail17trampoline_kernelINS0_14default_configENS1_20scan_config_selectorIdEEZZNS1_9scan_implILNS1_25lookback_scan_determinismE0ELb1ELb1ES3_N6thrust23THRUST_200600_302600_NS6detail15normal_iteratorINS9_10device_ptrIdEEEENS9_16discard_iteratorINS9_11use_defaultEEEdNS9_4plusIvEEdEEDaPvRmT3_T4_T5_mT6_P12ihipStream_tbENKUlT_T0_E_clISt17integral_constantIbLb0EESX_EEDaSS_ST_EUlSS_E0_NS1_11comp_targetILNS1_3genE4ELNS1_11target_archE910ELNS1_3gpuE8ELNS1_3repE0EEENS1_30default_config_static_selectorELNS0_4arch9wavefront6targetE1EEEvT1_, .Lfunc_end4945-_ZN7rocprim17ROCPRIM_400000_NS6detail17trampoline_kernelINS0_14default_configENS1_20scan_config_selectorIdEEZZNS1_9scan_implILNS1_25lookback_scan_determinismE0ELb1ELb1ES3_N6thrust23THRUST_200600_302600_NS6detail15normal_iteratorINS9_10device_ptrIdEEEENS9_16discard_iteratorINS9_11use_defaultEEEdNS9_4plusIvEEdEEDaPvRmT3_T4_T5_mT6_P12ihipStream_tbENKUlT_T0_E_clISt17integral_constantIbLb0EESX_EEDaSS_ST_EUlSS_E0_NS1_11comp_targetILNS1_3genE4ELNS1_11target_archE910ELNS1_3gpuE8ELNS1_3repE0EEENS1_30default_config_static_selectorELNS0_4arch9wavefront6targetE1EEEvT1_
                                        ; -- End function
	.section	.AMDGPU.csdata,"",@progbits
; Kernel info:
; codeLenInByte = 1384
; NumSgprs: 14
; NumVgprs: 30
; NumAgprs: 0
; TotalNumVgprs: 30
; ScratchSize: 0
; MemoryBound: 0
; FloatMode: 240
; IeeeMode: 1
; LDSByteSize: 10240 bytes/workgroup (compile time only)
; SGPRBlocks: 1
; VGPRBlocks: 3
; NumSGPRsForWavesPerEU: 14
; NumVGPRsForWavesPerEU: 30
; AccumOffset: 32
; Occupancy: 3
; WaveLimiterHint : 0
; COMPUTE_PGM_RSRC2:SCRATCH_EN: 0
; COMPUTE_PGM_RSRC2:USER_SGPR: 6
; COMPUTE_PGM_RSRC2:TRAP_HANDLER: 0
; COMPUTE_PGM_RSRC2:TGID_X_EN: 1
; COMPUTE_PGM_RSRC2:TGID_Y_EN: 0
; COMPUTE_PGM_RSRC2:TGID_Z_EN: 0
; COMPUTE_PGM_RSRC2:TIDIG_COMP_CNT: 0
; COMPUTE_PGM_RSRC3_GFX90A:ACCUM_OFFSET: 7
; COMPUTE_PGM_RSRC3_GFX90A:TG_SPLIT: 0
	.section	.text._ZN7rocprim17ROCPRIM_400000_NS6detail17trampoline_kernelINS0_14default_configENS1_20scan_config_selectorIdEEZZNS1_9scan_implILNS1_25lookback_scan_determinismE0ELb1ELb1ES3_N6thrust23THRUST_200600_302600_NS6detail15normal_iteratorINS9_10device_ptrIdEEEENS9_16discard_iteratorINS9_11use_defaultEEEdNS9_4plusIvEEdEEDaPvRmT3_T4_T5_mT6_P12ihipStream_tbENKUlT_T0_E_clISt17integral_constantIbLb0EESX_EEDaSS_ST_EUlSS_E0_NS1_11comp_targetILNS1_3genE3ELNS1_11target_archE908ELNS1_3gpuE7ELNS1_3repE0EEENS1_30default_config_static_selectorELNS0_4arch9wavefront6targetE1EEEvT1_,"axG",@progbits,_ZN7rocprim17ROCPRIM_400000_NS6detail17trampoline_kernelINS0_14default_configENS1_20scan_config_selectorIdEEZZNS1_9scan_implILNS1_25lookback_scan_determinismE0ELb1ELb1ES3_N6thrust23THRUST_200600_302600_NS6detail15normal_iteratorINS9_10device_ptrIdEEEENS9_16discard_iteratorINS9_11use_defaultEEEdNS9_4plusIvEEdEEDaPvRmT3_T4_T5_mT6_P12ihipStream_tbENKUlT_T0_E_clISt17integral_constantIbLb0EESX_EEDaSS_ST_EUlSS_E0_NS1_11comp_targetILNS1_3genE3ELNS1_11target_archE908ELNS1_3gpuE7ELNS1_3repE0EEENS1_30default_config_static_selectorELNS0_4arch9wavefront6targetE1EEEvT1_,comdat
	.protected	_ZN7rocprim17ROCPRIM_400000_NS6detail17trampoline_kernelINS0_14default_configENS1_20scan_config_selectorIdEEZZNS1_9scan_implILNS1_25lookback_scan_determinismE0ELb1ELb1ES3_N6thrust23THRUST_200600_302600_NS6detail15normal_iteratorINS9_10device_ptrIdEEEENS9_16discard_iteratorINS9_11use_defaultEEEdNS9_4plusIvEEdEEDaPvRmT3_T4_T5_mT6_P12ihipStream_tbENKUlT_T0_E_clISt17integral_constantIbLb0EESX_EEDaSS_ST_EUlSS_E0_NS1_11comp_targetILNS1_3genE3ELNS1_11target_archE908ELNS1_3gpuE7ELNS1_3repE0EEENS1_30default_config_static_selectorELNS0_4arch9wavefront6targetE1EEEvT1_ ; -- Begin function _ZN7rocprim17ROCPRIM_400000_NS6detail17trampoline_kernelINS0_14default_configENS1_20scan_config_selectorIdEEZZNS1_9scan_implILNS1_25lookback_scan_determinismE0ELb1ELb1ES3_N6thrust23THRUST_200600_302600_NS6detail15normal_iteratorINS9_10device_ptrIdEEEENS9_16discard_iteratorINS9_11use_defaultEEEdNS9_4plusIvEEdEEDaPvRmT3_T4_T5_mT6_P12ihipStream_tbENKUlT_T0_E_clISt17integral_constantIbLb0EESX_EEDaSS_ST_EUlSS_E0_NS1_11comp_targetILNS1_3genE3ELNS1_11target_archE908ELNS1_3gpuE7ELNS1_3repE0EEENS1_30default_config_static_selectorELNS0_4arch9wavefront6targetE1EEEvT1_
	.globl	_ZN7rocprim17ROCPRIM_400000_NS6detail17trampoline_kernelINS0_14default_configENS1_20scan_config_selectorIdEEZZNS1_9scan_implILNS1_25lookback_scan_determinismE0ELb1ELb1ES3_N6thrust23THRUST_200600_302600_NS6detail15normal_iteratorINS9_10device_ptrIdEEEENS9_16discard_iteratorINS9_11use_defaultEEEdNS9_4plusIvEEdEEDaPvRmT3_T4_T5_mT6_P12ihipStream_tbENKUlT_T0_E_clISt17integral_constantIbLb0EESX_EEDaSS_ST_EUlSS_E0_NS1_11comp_targetILNS1_3genE3ELNS1_11target_archE908ELNS1_3gpuE7ELNS1_3repE0EEENS1_30default_config_static_selectorELNS0_4arch9wavefront6targetE1EEEvT1_
	.p2align	8
	.type	_ZN7rocprim17ROCPRIM_400000_NS6detail17trampoline_kernelINS0_14default_configENS1_20scan_config_selectorIdEEZZNS1_9scan_implILNS1_25lookback_scan_determinismE0ELb1ELb1ES3_N6thrust23THRUST_200600_302600_NS6detail15normal_iteratorINS9_10device_ptrIdEEEENS9_16discard_iteratorINS9_11use_defaultEEEdNS9_4plusIvEEdEEDaPvRmT3_T4_T5_mT6_P12ihipStream_tbENKUlT_T0_E_clISt17integral_constantIbLb0EESX_EEDaSS_ST_EUlSS_E0_NS1_11comp_targetILNS1_3genE3ELNS1_11target_archE908ELNS1_3gpuE7ELNS1_3repE0EEENS1_30default_config_static_selectorELNS0_4arch9wavefront6targetE1EEEvT1_,@function
_ZN7rocprim17ROCPRIM_400000_NS6detail17trampoline_kernelINS0_14default_configENS1_20scan_config_selectorIdEEZZNS1_9scan_implILNS1_25lookback_scan_determinismE0ELb1ELb1ES3_N6thrust23THRUST_200600_302600_NS6detail15normal_iteratorINS9_10device_ptrIdEEEENS9_16discard_iteratorINS9_11use_defaultEEEdNS9_4plusIvEEdEEDaPvRmT3_T4_T5_mT6_P12ihipStream_tbENKUlT_T0_E_clISt17integral_constantIbLb0EESX_EEDaSS_ST_EUlSS_E0_NS1_11comp_targetILNS1_3genE3ELNS1_11target_archE908ELNS1_3gpuE7ELNS1_3repE0EEENS1_30default_config_static_selectorELNS0_4arch9wavefront6targetE1EEEvT1_: ; @_ZN7rocprim17ROCPRIM_400000_NS6detail17trampoline_kernelINS0_14default_configENS1_20scan_config_selectorIdEEZZNS1_9scan_implILNS1_25lookback_scan_determinismE0ELb1ELb1ES3_N6thrust23THRUST_200600_302600_NS6detail15normal_iteratorINS9_10device_ptrIdEEEENS9_16discard_iteratorINS9_11use_defaultEEEdNS9_4plusIvEEdEEDaPvRmT3_T4_T5_mT6_P12ihipStream_tbENKUlT_T0_E_clISt17integral_constantIbLb0EESX_EEDaSS_ST_EUlSS_E0_NS1_11comp_targetILNS1_3genE3ELNS1_11target_archE908ELNS1_3gpuE7ELNS1_3repE0EEENS1_30default_config_static_selectorELNS0_4arch9wavefront6targetE1EEEvT1_
; %bb.0:
	.section	.rodata,"a",@progbits
	.p2align	6, 0x0
	.amdhsa_kernel _ZN7rocprim17ROCPRIM_400000_NS6detail17trampoline_kernelINS0_14default_configENS1_20scan_config_selectorIdEEZZNS1_9scan_implILNS1_25lookback_scan_determinismE0ELb1ELb1ES3_N6thrust23THRUST_200600_302600_NS6detail15normal_iteratorINS9_10device_ptrIdEEEENS9_16discard_iteratorINS9_11use_defaultEEEdNS9_4plusIvEEdEEDaPvRmT3_T4_T5_mT6_P12ihipStream_tbENKUlT_T0_E_clISt17integral_constantIbLb0EESX_EEDaSS_ST_EUlSS_E0_NS1_11comp_targetILNS1_3genE3ELNS1_11target_archE908ELNS1_3gpuE7ELNS1_3repE0EEENS1_30default_config_static_selectorELNS0_4arch9wavefront6targetE1EEEvT1_
		.amdhsa_group_segment_fixed_size 0
		.amdhsa_private_segment_fixed_size 0
		.amdhsa_kernarg_size 48
		.amdhsa_user_sgpr_count 6
		.amdhsa_user_sgpr_private_segment_buffer 1
		.amdhsa_user_sgpr_dispatch_ptr 0
		.amdhsa_user_sgpr_queue_ptr 0
		.amdhsa_user_sgpr_kernarg_segment_ptr 1
		.amdhsa_user_sgpr_dispatch_id 0
		.amdhsa_user_sgpr_flat_scratch_init 0
		.amdhsa_user_sgpr_kernarg_preload_length 0
		.amdhsa_user_sgpr_kernarg_preload_offset 0
		.amdhsa_user_sgpr_private_segment_size 0
		.amdhsa_uses_dynamic_stack 0
		.amdhsa_system_sgpr_private_segment_wavefront_offset 0
		.amdhsa_system_sgpr_workgroup_id_x 1
		.amdhsa_system_sgpr_workgroup_id_y 0
		.amdhsa_system_sgpr_workgroup_id_z 0
		.amdhsa_system_sgpr_workgroup_info 0
		.amdhsa_system_vgpr_workitem_id 0
		.amdhsa_next_free_vgpr 1
		.amdhsa_next_free_sgpr 0
		.amdhsa_accum_offset 4
		.amdhsa_reserve_vcc 0
		.amdhsa_reserve_flat_scratch 0
		.amdhsa_float_round_mode_32 0
		.amdhsa_float_round_mode_16_64 0
		.amdhsa_float_denorm_mode_32 3
		.amdhsa_float_denorm_mode_16_64 3
		.amdhsa_dx10_clamp 1
		.amdhsa_ieee_mode 1
		.amdhsa_fp16_overflow 0
		.amdhsa_tg_split 0
		.amdhsa_exception_fp_ieee_invalid_op 0
		.amdhsa_exception_fp_denorm_src 0
		.amdhsa_exception_fp_ieee_div_zero 0
		.amdhsa_exception_fp_ieee_overflow 0
		.amdhsa_exception_fp_ieee_underflow 0
		.amdhsa_exception_fp_ieee_inexact 0
		.amdhsa_exception_int_div_zero 0
	.end_amdhsa_kernel
	.section	.text._ZN7rocprim17ROCPRIM_400000_NS6detail17trampoline_kernelINS0_14default_configENS1_20scan_config_selectorIdEEZZNS1_9scan_implILNS1_25lookback_scan_determinismE0ELb1ELb1ES3_N6thrust23THRUST_200600_302600_NS6detail15normal_iteratorINS9_10device_ptrIdEEEENS9_16discard_iteratorINS9_11use_defaultEEEdNS9_4plusIvEEdEEDaPvRmT3_T4_T5_mT6_P12ihipStream_tbENKUlT_T0_E_clISt17integral_constantIbLb0EESX_EEDaSS_ST_EUlSS_E0_NS1_11comp_targetILNS1_3genE3ELNS1_11target_archE908ELNS1_3gpuE7ELNS1_3repE0EEENS1_30default_config_static_selectorELNS0_4arch9wavefront6targetE1EEEvT1_,"axG",@progbits,_ZN7rocprim17ROCPRIM_400000_NS6detail17trampoline_kernelINS0_14default_configENS1_20scan_config_selectorIdEEZZNS1_9scan_implILNS1_25lookback_scan_determinismE0ELb1ELb1ES3_N6thrust23THRUST_200600_302600_NS6detail15normal_iteratorINS9_10device_ptrIdEEEENS9_16discard_iteratorINS9_11use_defaultEEEdNS9_4plusIvEEdEEDaPvRmT3_T4_T5_mT6_P12ihipStream_tbENKUlT_T0_E_clISt17integral_constantIbLb0EESX_EEDaSS_ST_EUlSS_E0_NS1_11comp_targetILNS1_3genE3ELNS1_11target_archE908ELNS1_3gpuE7ELNS1_3repE0EEENS1_30default_config_static_selectorELNS0_4arch9wavefront6targetE1EEEvT1_,comdat
.Lfunc_end4946:
	.size	_ZN7rocprim17ROCPRIM_400000_NS6detail17trampoline_kernelINS0_14default_configENS1_20scan_config_selectorIdEEZZNS1_9scan_implILNS1_25lookback_scan_determinismE0ELb1ELb1ES3_N6thrust23THRUST_200600_302600_NS6detail15normal_iteratorINS9_10device_ptrIdEEEENS9_16discard_iteratorINS9_11use_defaultEEEdNS9_4plusIvEEdEEDaPvRmT3_T4_T5_mT6_P12ihipStream_tbENKUlT_T0_E_clISt17integral_constantIbLb0EESX_EEDaSS_ST_EUlSS_E0_NS1_11comp_targetILNS1_3genE3ELNS1_11target_archE908ELNS1_3gpuE7ELNS1_3repE0EEENS1_30default_config_static_selectorELNS0_4arch9wavefront6targetE1EEEvT1_, .Lfunc_end4946-_ZN7rocprim17ROCPRIM_400000_NS6detail17trampoline_kernelINS0_14default_configENS1_20scan_config_selectorIdEEZZNS1_9scan_implILNS1_25lookback_scan_determinismE0ELb1ELb1ES3_N6thrust23THRUST_200600_302600_NS6detail15normal_iteratorINS9_10device_ptrIdEEEENS9_16discard_iteratorINS9_11use_defaultEEEdNS9_4plusIvEEdEEDaPvRmT3_T4_T5_mT6_P12ihipStream_tbENKUlT_T0_E_clISt17integral_constantIbLb0EESX_EEDaSS_ST_EUlSS_E0_NS1_11comp_targetILNS1_3genE3ELNS1_11target_archE908ELNS1_3gpuE7ELNS1_3repE0EEENS1_30default_config_static_selectorELNS0_4arch9wavefront6targetE1EEEvT1_
                                        ; -- End function
	.section	.AMDGPU.csdata,"",@progbits
; Kernel info:
; codeLenInByte = 0
; NumSgprs: 4
; NumVgprs: 0
; NumAgprs: 0
; TotalNumVgprs: 0
; ScratchSize: 0
; MemoryBound: 0
; FloatMode: 240
; IeeeMode: 1
; LDSByteSize: 0 bytes/workgroup (compile time only)
; SGPRBlocks: 0
; VGPRBlocks: 0
; NumSGPRsForWavesPerEU: 4
; NumVGPRsForWavesPerEU: 1
; AccumOffset: 4
; Occupancy: 8
; WaveLimiterHint : 0
; COMPUTE_PGM_RSRC2:SCRATCH_EN: 0
; COMPUTE_PGM_RSRC2:USER_SGPR: 6
; COMPUTE_PGM_RSRC2:TRAP_HANDLER: 0
; COMPUTE_PGM_RSRC2:TGID_X_EN: 1
; COMPUTE_PGM_RSRC2:TGID_Y_EN: 0
; COMPUTE_PGM_RSRC2:TGID_Z_EN: 0
; COMPUTE_PGM_RSRC2:TIDIG_COMP_CNT: 0
; COMPUTE_PGM_RSRC3_GFX90A:ACCUM_OFFSET: 0
; COMPUTE_PGM_RSRC3_GFX90A:TG_SPLIT: 0
	.section	.text._ZN7rocprim17ROCPRIM_400000_NS6detail17trampoline_kernelINS0_14default_configENS1_20scan_config_selectorIdEEZZNS1_9scan_implILNS1_25lookback_scan_determinismE0ELb1ELb1ES3_N6thrust23THRUST_200600_302600_NS6detail15normal_iteratorINS9_10device_ptrIdEEEENS9_16discard_iteratorINS9_11use_defaultEEEdNS9_4plusIvEEdEEDaPvRmT3_T4_T5_mT6_P12ihipStream_tbENKUlT_T0_E_clISt17integral_constantIbLb0EESX_EEDaSS_ST_EUlSS_E0_NS1_11comp_targetILNS1_3genE2ELNS1_11target_archE906ELNS1_3gpuE6ELNS1_3repE0EEENS1_30default_config_static_selectorELNS0_4arch9wavefront6targetE1EEEvT1_,"axG",@progbits,_ZN7rocprim17ROCPRIM_400000_NS6detail17trampoline_kernelINS0_14default_configENS1_20scan_config_selectorIdEEZZNS1_9scan_implILNS1_25lookback_scan_determinismE0ELb1ELb1ES3_N6thrust23THRUST_200600_302600_NS6detail15normal_iteratorINS9_10device_ptrIdEEEENS9_16discard_iteratorINS9_11use_defaultEEEdNS9_4plusIvEEdEEDaPvRmT3_T4_T5_mT6_P12ihipStream_tbENKUlT_T0_E_clISt17integral_constantIbLb0EESX_EEDaSS_ST_EUlSS_E0_NS1_11comp_targetILNS1_3genE2ELNS1_11target_archE906ELNS1_3gpuE6ELNS1_3repE0EEENS1_30default_config_static_selectorELNS0_4arch9wavefront6targetE1EEEvT1_,comdat
	.protected	_ZN7rocprim17ROCPRIM_400000_NS6detail17trampoline_kernelINS0_14default_configENS1_20scan_config_selectorIdEEZZNS1_9scan_implILNS1_25lookback_scan_determinismE0ELb1ELb1ES3_N6thrust23THRUST_200600_302600_NS6detail15normal_iteratorINS9_10device_ptrIdEEEENS9_16discard_iteratorINS9_11use_defaultEEEdNS9_4plusIvEEdEEDaPvRmT3_T4_T5_mT6_P12ihipStream_tbENKUlT_T0_E_clISt17integral_constantIbLb0EESX_EEDaSS_ST_EUlSS_E0_NS1_11comp_targetILNS1_3genE2ELNS1_11target_archE906ELNS1_3gpuE6ELNS1_3repE0EEENS1_30default_config_static_selectorELNS0_4arch9wavefront6targetE1EEEvT1_ ; -- Begin function _ZN7rocprim17ROCPRIM_400000_NS6detail17trampoline_kernelINS0_14default_configENS1_20scan_config_selectorIdEEZZNS1_9scan_implILNS1_25lookback_scan_determinismE0ELb1ELb1ES3_N6thrust23THRUST_200600_302600_NS6detail15normal_iteratorINS9_10device_ptrIdEEEENS9_16discard_iteratorINS9_11use_defaultEEEdNS9_4plusIvEEdEEDaPvRmT3_T4_T5_mT6_P12ihipStream_tbENKUlT_T0_E_clISt17integral_constantIbLb0EESX_EEDaSS_ST_EUlSS_E0_NS1_11comp_targetILNS1_3genE2ELNS1_11target_archE906ELNS1_3gpuE6ELNS1_3repE0EEENS1_30default_config_static_selectorELNS0_4arch9wavefront6targetE1EEEvT1_
	.globl	_ZN7rocprim17ROCPRIM_400000_NS6detail17trampoline_kernelINS0_14default_configENS1_20scan_config_selectorIdEEZZNS1_9scan_implILNS1_25lookback_scan_determinismE0ELb1ELb1ES3_N6thrust23THRUST_200600_302600_NS6detail15normal_iteratorINS9_10device_ptrIdEEEENS9_16discard_iteratorINS9_11use_defaultEEEdNS9_4plusIvEEdEEDaPvRmT3_T4_T5_mT6_P12ihipStream_tbENKUlT_T0_E_clISt17integral_constantIbLb0EESX_EEDaSS_ST_EUlSS_E0_NS1_11comp_targetILNS1_3genE2ELNS1_11target_archE906ELNS1_3gpuE6ELNS1_3repE0EEENS1_30default_config_static_selectorELNS0_4arch9wavefront6targetE1EEEvT1_
	.p2align	8
	.type	_ZN7rocprim17ROCPRIM_400000_NS6detail17trampoline_kernelINS0_14default_configENS1_20scan_config_selectorIdEEZZNS1_9scan_implILNS1_25lookback_scan_determinismE0ELb1ELb1ES3_N6thrust23THRUST_200600_302600_NS6detail15normal_iteratorINS9_10device_ptrIdEEEENS9_16discard_iteratorINS9_11use_defaultEEEdNS9_4plusIvEEdEEDaPvRmT3_T4_T5_mT6_P12ihipStream_tbENKUlT_T0_E_clISt17integral_constantIbLb0EESX_EEDaSS_ST_EUlSS_E0_NS1_11comp_targetILNS1_3genE2ELNS1_11target_archE906ELNS1_3gpuE6ELNS1_3repE0EEENS1_30default_config_static_selectorELNS0_4arch9wavefront6targetE1EEEvT1_,@function
_ZN7rocprim17ROCPRIM_400000_NS6detail17trampoline_kernelINS0_14default_configENS1_20scan_config_selectorIdEEZZNS1_9scan_implILNS1_25lookback_scan_determinismE0ELb1ELb1ES3_N6thrust23THRUST_200600_302600_NS6detail15normal_iteratorINS9_10device_ptrIdEEEENS9_16discard_iteratorINS9_11use_defaultEEEdNS9_4plusIvEEdEEDaPvRmT3_T4_T5_mT6_P12ihipStream_tbENKUlT_T0_E_clISt17integral_constantIbLb0EESX_EEDaSS_ST_EUlSS_E0_NS1_11comp_targetILNS1_3genE2ELNS1_11target_archE906ELNS1_3gpuE6ELNS1_3repE0EEENS1_30default_config_static_selectorELNS0_4arch9wavefront6targetE1EEEvT1_: ; @_ZN7rocprim17ROCPRIM_400000_NS6detail17trampoline_kernelINS0_14default_configENS1_20scan_config_selectorIdEEZZNS1_9scan_implILNS1_25lookback_scan_determinismE0ELb1ELb1ES3_N6thrust23THRUST_200600_302600_NS6detail15normal_iteratorINS9_10device_ptrIdEEEENS9_16discard_iteratorINS9_11use_defaultEEEdNS9_4plusIvEEdEEDaPvRmT3_T4_T5_mT6_P12ihipStream_tbENKUlT_T0_E_clISt17integral_constantIbLb0EESX_EEDaSS_ST_EUlSS_E0_NS1_11comp_targetILNS1_3genE2ELNS1_11target_archE906ELNS1_3gpuE6ELNS1_3repE0EEENS1_30default_config_static_selectorELNS0_4arch9wavefront6targetE1EEEvT1_
; %bb.0:
	.section	.rodata,"a",@progbits
	.p2align	6, 0x0
	.amdhsa_kernel _ZN7rocprim17ROCPRIM_400000_NS6detail17trampoline_kernelINS0_14default_configENS1_20scan_config_selectorIdEEZZNS1_9scan_implILNS1_25lookback_scan_determinismE0ELb1ELb1ES3_N6thrust23THRUST_200600_302600_NS6detail15normal_iteratorINS9_10device_ptrIdEEEENS9_16discard_iteratorINS9_11use_defaultEEEdNS9_4plusIvEEdEEDaPvRmT3_T4_T5_mT6_P12ihipStream_tbENKUlT_T0_E_clISt17integral_constantIbLb0EESX_EEDaSS_ST_EUlSS_E0_NS1_11comp_targetILNS1_3genE2ELNS1_11target_archE906ELNS1_3gpuE6ELNS1_3repE0EEENS1_30default_config_static_selectorELNS0_4arch9wavefront6targetE1EEEvT1_
		.amdhsa_group_segment_fixed_size 0
		.amdhsa_private_segment_fixed_size 0
		.amdhsa_kernarg_size 48
		.amdhsa_user_sgpr_count 6
		.amdhsa_user_sgpr_private_segment_buffer 1
		.amdhsa_user_sgpr_dispatch_ptr 0
		.amdhsa_user_sgpr_queue_ptr 0
		.amdhsa_user_sgpr_kernarg_segment_ptr 1
		.amdhsa_user_sgpr_dispatch_id 0
		.amdhsa_user_sgpr_flat_scratch_init 0
		.amdhsa_user_sgpr_kernarg_preload_length 0
		.amdhsa_user_sgpr_kernarg_preload_offset 0
		.amdhsa_user_sgpr_private_segment_size 0
		.amdhsa_uses_dynamic_stack 0
		.amdhsa_system_sgpr_private_segment_wavefront_offset 0
		.amdhsa_system_sgpr_workgroup_id_x 1
		.amdhsa_system_sgpr_workgroup_id_y 0
		.amdhsa_system_sgpr_workgroup_id_z 0
		.amdhsa_system_sgpr_workgroup_info 0
		.amdhsa_system_vgpr_workitem_id 0
		.amdhsa_next_free_vgpr 1
		.amdhsa_next_free_sgpr 0
		.amdhsa_accum_offset 4
		.amdhsa_reserve_vcc 0
		.amdhsa_reserve_flat_scratch 0
		.amdhsa_float_round_mode_32 0
		.amdhsa_float_round_mode_16_64 0
		.amdhsa_float_denorm_mode_32 3
		.amdhsa_float_denorm_mode_16_64 3
		.amdhsa_dx10_clamp 1
		.amdhsa_ieee_mode 1
		.amdhsa_fp16_overflow 0
		.amdhsa_tg_split 0
		.amdhsa_exception_fp_ieee_invalid_op 0
		.amdhsa_exception_fp_denorm_src 0
		.amdhsa_exception_fp_ieee_div_zero 0
		.amdhsa_exception_fp_ieee_overflow 0
		.amdhsa_exception_fp_ieee_underflow 0
		.amdhsa_exception_fp_ieee_inexact 0
		.amdhsa_exception_int_div_zero 0
	.end_amdhsa_kernel
	.section	.text._ZN7rocprim17ROCPRIM_400000_NS6detail17trampoline_kernelINS0_14default_configENS1_20scan_config_selectorIdEEZZNS1_9scan_implILNS1_25lookback_scan_determinismE0ELb1ELb1ES3_N6thrust23THRUST_200600_302600_NS6detail15normal_iteratorINS9_10device_ptrIdEEEENS9_16discard_iteratorINS9_11use_defaultEEEdNS9_4plusIvEEdEEDaPvRmT3_T4_T5_mT6_P12ihipStream_tbENKUlT_T0_E_clISt17integral_constantIbLb0EESX_EEDaSS_ST_EUlSS_E0_NS1_11comp_targetILNS1_3genE2ELNS1_11target_archE906ELNS1_3gpuE6ELNS1_3repE0EEENS1_30default_config_static_selectorELNS0_4arch9wavefront6targetE1EEEvT1_,"axG",@progbits,_ZN7rocprim17ROCPRIM_400000_NS6detail17trampoline_kernelINS0_14default_configENS1_20scan_config_selectorIdEEZZNS1_9scan_implILNS1_25lookback_scan_determinismE0ELb1ELb1ES3_N6thrust23THRUST_200600_302600_NS6detail15normal_iteratorINS9_10device_ptrIdEEEENS9_16discard_iteratorINS9_11use_defaultEEEdNS9_4plusIvEEdEEDaPvRmT3_T4_T5_mT6_P12ihipStream_tbENKUlT_T0_E_clISt17integral_constantIbLb0EESX_EEDaSS_ST_EUlSS_E0_NS1_11comp_targetILNS1_3genE2ELNS1_11target_archE906ELNS1_3gpuE6ELNS1_3repE0EEENS1_30default_config_static_selectorELNS0_4arch9wavefront6targetE1EEEvT1_,comdat
.Lfunc_end4947:
	.size	_ZN7rocprim17ROCPRIM_400000_NS6detail17trampoline_kernelINS0_14default_configENS1_20scan_config_selectorIdEEZZNS1_9scan_implILNS1_25lookback_scan_determinismE0ELb1ELb1ES3_N6thrust23THRUST_200600_302600_NS6detail15normal_iteratorINS9_10device_ptrIdEEEENS9_16discard_iteratorINS9_11use_defaultEEEdNS9_4plusIvEEdEEDaPvRmT3_T4_T5_mT6_P12ihipStream_tbENKUlT_T0_E_clISt17integral_constantIbLb0EESX_EEDaSS_ST_EUlSS_E0_NS1_11comp_targetILNS1_3genE2ELNS1_11target_archE906ELNS1_3gpuE6ELNS1_3repE0EEENS1_30default_config_static_selectorELNS0_4arch9wavefront6targetE1EEEvT1_, .Lfunc_end4947-_ZN7rocprim17ROCPRIM_400000_NS6detail17trampoline_kernelINS0_14default_configENS1_20scan_config_selectorIdEEZZNS1_9scan_implILNS1_25lookback_scan_determinismE0ELb1ELb1ES3_N6thrust23THRUST_200600_302600_NS6detail15normal_iteratorINS9_10device_ptrIdEEEENS9_16discard_iteratorINS9_11use_defaultEEEdNS9_4plusIvEEdEEDaPvRmT3_T4_T5_mT6_P12ihipStream_tbENKUlT_T0_E_clISt17integral_constantIbLb0EESX_EEDaSS_ST_EUlSS_E0_NS1_11comp_targetILNS1_3genE2ELNS1_11target_archE906ELNS1_3gpuE6ELNS1_3repE0EEENS1_30default_config_static_selectorELNS0_4arch9wavefront6targetE1EEEvT1_
                                        ; -- End function
	.section	.AMDGPU.csdata,"",@progbits
; Kernel info:
; codeLenInByte = 0
; NumSgprs: 4
; NumVgprs: 0
; NumAgprs: 0
; TotalNumVgprs: 0
; ScratchSize: 0
; MemoryBound: 0
; FloatMode: 240
; IeeeMode: 1
; LDSByteSize: 0 bytes/workgroup (compile time only)
; SGPRBlocks: 0
; VGPRBlocks: 0
; NumSGPRsForWavesPerEU: 4
; NumVGPRsForWavesPerEU: 1
; AccumOffset: 4
; Occupancy: 8
; WaveLimiterHint : 0
; COMPUTE_PGM_RSRC2:SCRATCH_EN: 0
; COMPUTE_PGM_RSRC2:USER_SGPR: 6
; COMPUTE_PGM_RSRC2:TRAP_HANDLER: 0
; COMPUTE_PGM_RSRC2:TGID_X_EN: 1
; COMPUTE_PGM_RSRC2:TGID_Y_EN: 0
; COMPUTE_PGM_RSRC2:TGID_Z_EN: 0
; COMPUTE_PGM_RSRC2:TIDIG_COMP_CNT: 0
; COMPUTE_PGM_RSRC3_GFX90A:ACCUM_OFFSET: 0
; COMPUTE_PGM_RSRC3_GFX90A:TG_SPLIT: 0
	.section	.text._ZN7rocprim17ROCPRIM_400000_NS6detail17trampoline_kernelINS0_14default_configENS1_20scan_config_selectorIdEEZZNS1_9scan_implILNS1_25lookback_scan_determinismE0ELb1ELb1ES3_N6thrust23THRUST_200600_302600_NS6detail15normal_iteratorINS9_10device_ptrIdEEEENS9_16discard_iteratorINS9_11use_defaultEEEdNS9_4plusIvEEdEEDaPvRmT3_T4_T5_mT6_P12ihipStream_tbENKUlT_T0_E_clISt17integral_constantIbLb0EESX_EEDaSS_ST_EUlSS_E0_NS1_11comp_targetILNS1_3genE10ELNS1_11target_archE1201ELNS1_3gpuE5ELNS1_3repE0EEENS1_30default_config_static_selectorELNS0_4arch9wavefront6targetE1EEEvT1_,"axG",@progbits,_ZN7rocprim17ROCPRIM_400000_NS6detail17trampoline_kernelINS0_14default_configENS1_20scan_config_selectorIdEEZZNS1_9scan_implILNS1_25lookback_scan_determinismE0ELb1ELb1ES3_N6thrust23THRUST_200600_302600_NS6detail15normal_iteratorINS9_10device_ptrIdEEEENS9_16discard_iteratorINS9_11use_defaultEEEdNS9_4plusIvEEdEEDaPvRmT3_T4_T5_mT6_P12ihipStream_tbENKUlT_T0_E_clISt17integral_constantIbLb0EESX_EEDaSS_ST_EUlSS_E0_NS1_11comp_targetILNS1_3genE10ELNS1_11target_archE1201ELNS1_3gpuE5ELNS1_3repE0EEENS1_30default_config_static_selectorELNS0_4arch9wavefront6targetE1EEEvT1_,comdat
	.protected	_ZN7rocprim17ROCPRIM_400000_NS6detail17trampoline_kernelINS0_14default_configENS1_20scan_config_selectorIdEEZZNS1_9scan_implILNS1_25lookback_scan_determinismE0ELb1ELb1ES3_N6thrust23THRUST_200600_302600_NS6detail15normal_iteratorINS9_10device_ptrIdEEEENS9_16discard_iteratorINS9_11use_defaultEEEdNS9_4plusIvEEdEEDaPvRmT3_T4_T5_mT6_P12ihipStream_tbENKUlT_T0_E_clISt17integral_constantIbLb0EESX_EEDaSS_ST_EUlSS_E0_NS1_11comp_targetILNS1_3genE10ELNS1_11target_archE1201ELNS1_3gpuE5ELNS1_3repE0EEENS1_30default_config_static_selectorELNS0_4arch9wavefront6targetE1EEEvT1_ ; -- Begin function _ZN7rocprim17ROCPRIM_400000_NS6detail17trampoline_kernelINS0_14default_configENS1_20scan_config_selectorIdEEZZNS1_9scan_implILNS1_25lookback_scan_determinismE0ELb1ELb1ES3_N6thrust23THRUST_200600_302600_NS6detail15normal_iteratorINS9_10device_ptrIdEEEENS9_16discard_iteratorINS9_11use_defaultEEEdNS9_4plusIvEEdEEDaPvRmT3_T4_T5_mT6_P12ihipStream_tbENKUlT_T0_E_clISt17integral_constantIbLb0EESX_EEDaSS_ST_EUlSS_E0_NS1_11comp_targetILNS1_3genE10ELNS1_11target_archE1201ELNS1_3gpuE5ELNS1_3repE0EEENS1_30default_config_static_selectorELNS0_4arch9wavefront6targetE1EEEvT1_
	.globl	_ZN7rocprim17ROCPRIM_400000_NS6detail17trampoline_kernelINS0_14default_configENS1_20scan_config_selectorIdEEZZNS1_9scan_implILNS1_25lookback_scan_determinismE0ELb1ELb1ES3_N6thrust23THRUST_200600_302600_NS6detail15normal_iteratorINS9_10device_ptrIdEEEENS9_16discard_iteratorINS9_11use_defaultEEEdNS9_4plusIvEEdEEDaPvRmT3_T4_T5_mT6_P12ihipStream_tbENKUlT_T0_E_clISt17integral_constantIbLb0EESX_EEDaSS_ST_EUlSS_E0_NS1_11comp_targetILNS1_3genE10ELNS1_11target_archE1201ELNS1_3gpuE5ELNS1_3repE0EEENS1_30default_config_static_selectorELNS0_4arch9wavefront6targetE1EEEvT1_
	.p2align	8
	.type	_ZN7rocprim17ROCPRIM_400000_NS6detail17trampoline_kernelINS0_14default_configENS1_20scan_config_selectorIdEEZZNS1_9scan_implILNS1_25lookback_scan_determinismE0ELb1ELb1ES3_N6thrust23THRUST_200600_302600_NS6detail15normal_iteratorINS9_10device_ptrIdEEEENS9_16discard_iteratorINS9_11use_defaultEEEdNS9_4plusIvEEdEEDaPvRmT3_T4_T5_mT6_P12ihipStream_tbENKUlT_T0_E_clISt17integral_constantIbLb0EESX_EEDaSS_ST_EUlSS_E0_NS1_11comp_targetILNS1_3genE10ELNS1_11target_archE1201ELNS1_3gpuE5ELNS1_3repE0EEENS1_30default_config_static_selectorELNS0_4arch9wavefront6targetE1EEEvT1_,@function
_ZN7rocprim17ROCPRIM_400000_NS6detail17trampoline_kernelINS0_14default_configENS1_20scan_config_selectorIdEEZZNS1_9scan_implILNS1_25lookback_scan_determinismE0ELb1ELb1ES3_N6thrust23THRUST_200600_302600_NS6detail15normal_iteratorINS9_10device_ptrIdEEEENS9_16discard_iteratorINS9_11use_defaultEEEdNS9_4plusIvEEdEEDaPvRmT3_T4_T5_mT6_P12ihipStream_tbENKUlT_T0_E_clISt17integral_constantIbLb0EESX_EEDaSS_ST_EUlSS_E0_NS1_11comp_targetILNS1_3genE10ELNS1_11target_archE1201ELNS1_3gpuE5ELNS1_3repE0EEENS1_30default_config_static_selectorELNS0_4arch9wavefront6targetE1EEEvT1_: ; @_ZN7rocprim17ROCPRIM_400000_NS6detail17trampoline_kernelINS0_14default_configENS1_20scan_config_selectorIdEEZZNS1_9scan_implILNS1_25lookback_scan_determinismE0ELb1ELb1ES3_N6thrust23THRUST_200600_302600_NS6detail15normal_iteratorINS9_10device_ptrIdEEEENS9_16discard_iteratorINS9_11use_defaultEEEdNS9_4plusIvEEdEEDaPvRmT3_T4_T5_mT6_P12ihipStream_tbENKUlT_T0_E_clISt17integral_constantIbLb0EESX_EEDaSS_ST_EUlSS_E0_NS1_11comp_targetILNS1_3genE10ELNS1_11target_archE1201ELNS1_3gpuE5ELNS1_3repE0EEENS1_30default_config_static_selectorELNS0_4arch9wavefront6targetE1EEEvT1_
; %bb.0:
	.section	.rodata,"a",@progbits
	.p2align	6, 0x0
	.amdhsa_kernel _ZN7rocprim17ROCPRIM_400000_NS6detail17trampoline_kernelINS0_14default_configENS1_20scan_config_selectorIdEEZZNS1_9scan_implILNS1_25lookback_scan_determinismE0ELb1ELb1ES3_N6thrust23THRUST_200600_302600_NS6detail15normal_iteratorINS9_10device_ptrIdEEEENS9_16discard_iteratorINS9_11use_defaultEEEdNS9_4plusIvEEdEEDaPvRmT3_T4_T5_mT6_P12ihipStream_tbENKUlT_T0_E_clISt17integral_constantIbLb0EESX_EEDaSS_ST_EUlSS_E0_NS1_11comp_targetILNS1_3genE10ELNS1_11target_archE1201ELNS1_3gpuE5ELNS1_3repE0EEENS1_30default_config_static_selectorELNS0_4arch9wavefront6targetE1EEEvT1_
		.amdhsa_group_segment_fixed_size 0
		.amdhsa_private_segment_fixed_size 0
		.amdhsa_kernarg_size 48
		.amdhsa_user_sgpr_count 6
		.amdhsa_user_sgpr_private_segment_buffer 1
		.amdhsa_user_sgpr_dispatch_ptr 0
		.amdhsa_user_sgpr_queue_ptr 0
		.amdhsa_user_sgpr_kernarg_segment_ptr 1
		.amdhsa_user_sgpr_dispatch_id 0
		.amdhsa_user_sgpr_flat_scratch_init 0
		.amdhsa_user_sgpr_kernarg_preload_length 0
		.amdhsa_user_sgpr_kernarg_preload_offset 0
		.amdhsa_user_sgpr_private_segment_size 0
		.amdhsa_uses_dynamic_stack 0
		.amdhsa_system_sgpr_private_segment_wavefront_offset 0
		.amdhsa_system_sgpr_workgroup_id_x 1
		.amdhsa_system_sgpr_workgroup_id_y 0
		.amdhsa_system_sgpr_workgroup_id_z 0
		.amdhsa_system_sgpr_workgroup_info 0
		.amdhsa_system_vgpr_workitem_id 0
		.amdhsa_next_free_vgpr 1
		.amdhsa_next_free_sgpr 0
		.amdhsa_accum_offset 4
		.amdhsa_reserve_vcc 0
		.amdhsa_reserve_flat_scratch 0
		.amdhsa_float_round_mode_32 0
		.amdhsa_float_round_mode_16_64 0
		.amdhsa_float_denorm_mode_32 3
		.amdhsa_float_denorm_mode_16_64 3
		.amdhsa_dx10_clamp 1
		.amdhsa_ieee_mode 1
		.amdhsa_fp16_overflow 0
		.amdhsa_tg_split 0
		.amdhsa_exception_fp_ieee_invalid_op 0
		.amdhsa_exception_fp_denorm_src 0
		.amdhsa_exception_fp_ieee_div_zero 0
		.amdhsa_exception_fp_ieee_overflow 0
		.amdhsa_exception_fp_ieee_underflow 0
		.amdhsa_exception_fp_ieee_inexact 0
		.amdhsa_exception_int_div_zero 0
	.end_amdhsa_kernel
	.section	.text._ZN7rocprim17ROCPRIM_400000_NS6detail17trampoline_kernelINS0_14default_configENS1_20scan_config_selectorIdEEZZNS1_9scan_implILNS1_25lookback_scan_determinismE0ELb1ELb1ES3_N6thrust23THRUST_200600_302600_NS6detail15normal_iteratorINS9_10device_ptrIdEEEENS9_16discard_iteratorINS9_11use_defaultEEEdNS9_4plusIvEEdEEDaPvRmT3_T4_T5_mT6_P12ihipStream_tbENKUlT_T0_E_clISt17integral_constantIbLb0EESX_EEDaSS_ST_EUlSS_E0_NS1_11comp_targetILNS1_3genE10ELNS1_11target_archE1201ELNS1_3gpuE5ELNS1_3repE0EEENS1_30default_config_static_selectorELNS0_4arch9wavefront6targetE1EEEvT1_,"axG",@progbits,_ZN7rocprim17ROCPRIM_400000_NS6detail17trampoline_kernelINS0_14default_configENS1_20scan_config_selectorIdEEZZNS1_9scan_implILNS1_25lookback_scan_determinismE0ELb1ELb1ES3_N6thrust23THRUST_200600_302600_NS6detail15normal_iteratorINS9_10device_ptrIdEEEENS9_16discard_iteratorINS9_11use_defaultEEEdNS9_4plusIvEEdEEDaPvRmT3_T4_T5_mT6_P12ihipStream_tbENKUlT_T0_E_clISt17integral_constantIbLb0EESX_EEDaSS_ST_EUlSS_E0_NS1_11comp_targetILNS1_3genE10ELNS1_11target_archE1201ELNS1_3gpuE5ELNS1_3repE0EEENS1_30default_config_static_selectorELNS0_4arch9wavefront6targetE1EEEvT1_,comdat
.Lfunc_end4948:
	.size	_ZN7rocprim17ROCPRIM_400000_NS6detail17trampoline_kernelINS0_14default_configENS1_20scan_config_selectorIdEEZZNS1_9scan_implILNS1_25lookback_scan_determinismE0ELb1ELb1ES3_N6thrust23THRUST_200600_302600_NS6detail15normal_iteratorINS9_10device_ptrIdEEEENS9_16discard_iteratorINS9_11use_defaultEEEdNS9_4plusIvEEdEEDaPvRmT3_T4_T5_mT6_P12ihipStream_tbENKUlT_T0_E_clISt17integral_constantIbLb0EESX_EEDaSS_ST_EUlSS_E0_NS1_11comp_targetILNS1_3genE10ELNS1_11target_archE1201ELNS1_3gpuE5ELNS1_3repE0EEENS1_30default_config_static_selectorELNS0_4arch9wavefront6targetE1EEEvT1_, .Lfunc_end4948-_ZN7rocprim17ROCPRIM_400000_NS6detail17trampoline_kernelINS0_14default_configENS1_20scan_config_selectorIdEEZZNS1_9scan_implILNS1_25lookback_scan_determinismE0ELb1ELb1ES3_N6thrust23THRUST_200600_302600_NS6detail15normal_iteratorINS9_10device_ptrIdEEEENS9_16discard_iteratorINS9_11use_defaultEEEdNS9_4plusIvEEdEEDaPvRmT3_T4_T5_mT6_P12ihipStream_tbENKUlT_T0_E_clISt17integral_constantIbLb0EESX_EEDaSS_ST_EUlSS_E0_NS1_11comp_targetILNS1_3genE10ELNS1_11target_archE1201ELNS1_3gpuE5ELNS1_3repE0EEENS1_30default_config_static_selectorELNS0_4arch9wavefront6targetE1EEEvT1_
                                        ; -- End function
	.section	.AMDGPU.csdata,"",@progbits
; Kernel info:
; codeLenInByte = 0
; NumSgprs: 4
; NumVgprs: 0
; NumAgprs: 0
; TotalNumVgprs: 0
; ScratchSize: 0
; MemoryBound: 0
; FloatMode: 240
; IeeeMode: 1
; LDSByteSize: 0 bytes/workgroup (compile time only)
; SGPRBlocks: 0
; VGPRBlocks: 0
; NumSGPRsForWavesPerEU: 4
; NumVGPRsForWavesPerEU: 1
; AccumOffset: 4
; Occupancy: 8
; WaveLimiterHint : 0
; COMPUTE_PGM_RSRC2:SCRATCH_EN: 0
; COMPUTE_PGM_RSRC2:USER_SGPR: 6
; COMPUTE_PGM_RSRC2:TRAP_HANDLER: 0
; COMPUTE_PGM_RSRC2:TGID_X_EN: 1
; COMPUTE_PGM_RSRC2:TGID_Y_EN: 0
; COMPUTE_PGM_RSRC2:TGID_Z_EN: 0
; COMPUTE_PGM_RSRC2:TIDIG_COMP_CNT: 0
; COMPUTE_PGM_RSRC3_GFX90A:ACCUM_OFFSET: 0
; COMPUTE_PGM_RSRC3_GFX90A:TG_SPLIT: 0
	.section	.text._ZN7rocprim17ROCPRIM_400000_NS6detail17trampoline_kernelINS0_14default_configENS1_20scan_config_selectorIdEEZZNS1_9scan_implILNS1_25lookback_scan_determinismE0ELb1ELb1ES3_N6thrust23THRUST_200600_302600_NS6detail15normal_iteratorINS9_10device_ptrIdEEEENS9_16discard_iteratorINS9_11use_defaultEEEdNS9_4plusIvEEdEEDaPvRmT3_T4_T5_mT6_P12ihipStream_tbENKUlT_T0_E_clISt17integral_constantIbLb0EESX_EEDaSS_ST_EUlSS_E0_NS1_11comp_targetILNS1_3genE10ELNS1_11target_archE1200ELNS1_3gpuE4ELNS1_3repE0EEENS1_30default_config_static_selectorELNS0_4arch9wavefront6targetE1EEEvT1_,"axG",@progbits,_ZN7rocprim17ROCPRIM_400000_NS6detail17trampoline_kernelINS0_14default_configENS1_20scan_config_selectorIdEEZZNS1_9scan_implILNS1_25lookback_scan_determinismE0ELb1ELb1ES3_N6thrust23THRUST_200600_302600_NS6detail15normal_iteratorINS9_10device_ptrIdEEEENS9_16discard_iteratorINS9_11use_defaultEEEdNS9_4plusIvEEdEEDaPvRmT3_T4_T5_mT6_P12ihipStream_tbENKUlT_T0_E_clISt17integral_constantIbLb0EESX_EEDaSS_ST_EUlSS_E0_NS1_11comp_targetILNS1_3genE10ELNS1_11target_archE1200ELNS1_3gpuE4ELNS1_3repE0EEENS1_30default_config_static_selectorELNS0_4arch9wavefront6targetE1EEEvT1_,comdat
	.protected	_ZN7rocprim17ROCPRIM_400000_NS6detail17trampoline_kernelINS0_14default_configENS1_20scan_config_selectorIdEEZZNS1_9scan_implILNS1_25lookback_scan_determinismE0ELb1ELb1ES3_N6thrust23THRUST_200600_302600_NS6detail15normal_iteratorINS9_10device_ptrIdEEEENS9_16discard_iteratorINS9_11use_defaultEEEdNS9_4plusIvEEdEEDaPvRmT3_T4_T5_mT6_P12ihipStream_tbENKUlT_T0_E_clISt17integral_constantIbLb0EESX_EEDaSS_ST_EUlSS_E0_NS1_11comp_targetILNS1_3genE10ELNS1_11target_archE1200ELNS1_3gpuE4ELNS1_3repE0EEENS1_30default_config_static_selectorELNS0_4arch9wavefront6targetE1EEEvT1_ ; -- Begin function _ZN7rocprim17ROCPRIM_400000_NS6detail17trampoline_kernelINS0_14default_configENS1_20scan_config_selectorIdEEZZNS1_9scan_implILNS1_25lookback_scan_determinismE0ELb1ELb1ES3_N6thrust23THRUST_200600_302600_NS6detail15normal_iteratorINS9_10device_ptrIdEEEENS9_16discard_iteratorINS9_11use_defaultEEEdNS9_4plusIvEEdEEDaPvRmT3_T4_T5_mT6_P12ihipStream_tbENKUlT_T0_E_clISt17integral_constantIbLb0EESX_EEDaSS_ST_EUlSS_E0_NS1_11comp_targetILNS1_3genE10ELNS1_11target_archE1200ELNS1_3gpuE4ELNS1_3repE0EEENS1_30default_config_static_selectorELNS0_4arch9wavefront6targetE1EEEvT1_
	.globl	_ZN7rocprim17ROCPRIM_400000_NS6detail17trampoline_kernelINS0_14default_configENS1_20scan_config_selectorIdEEZZNS1_9scan_implILNS1_25lookback_scan_determinismE0ELb1ELb1ES3_N6thrust23THRUST_200600_302600_NS6detail15normal_iteratorINS9_10device_ptrIdEEEENS9_16discard_iteratorINS9_11use_defaultEEEdNS9_4plusIvEEdEEDaPvRmT3_T4_T5_mT6_P12ihipStream_tbENKUlT_T0_E_clISt17integral_constantIbLb0EESX_EEDaSS_ST_EUlSS_E0_NS1_11comp_targetILNS1_3genE10ELNS1_11target_archE1200ELNS1_3gpuE4ELNS1_3repE0EEENS1_30default_config_static_selectorELNS0_4arch9wavefront6targetE1EEEvT1_
	.p2align	8
	.type	_ZN7rocprim17ROCPRIM_400000_NS6detail17trampoline_kernelINS0_14default_configENS1_20scan_config_selectorIdEEZZNS1_9scan_implILNS1_25lookback_scan_determinismE0ELb1ELb1ES3_N6thrust23THRUST_200600_302600_NS6detail15normal_iteratorINS9_10device_ptrIdEEEENS9_16discard_iteratorINS9_11use_defaultEEEdNS9_4plusIvEEdEEDaPvRmT3_T4_T5_mT6_P12ihipStream_tbENKUlT_T0_E_clISt17integral_constantIbLb0EESX_EEDaSS_ST_EUlSS_E0_NS1_11comp_targetILNS1_3genE10ELNS1_11target_archE1200ELNS1_3gpuE4ELNS1_3repE0EEENS1_30default_config_static_selectorELNS0_4arch9wavefront6targetE1EEEvT1_,@function
_ZN7rocprim17ROCPRIM_400000_NS6detail17trampoline_kernelINS0_14default_configENS1_20scan_config_selectorIdEEZZNS1_9scan_implILNS1_25lookback_scan_determinismE0ELb1ELb1ES3_N6thrust23THRUST_200600_302600_NS6detail15normal_iteratorINS9_10device_ptrIdEEEENS9_16discard_iteratorINS9_11use_defaultEEEdNS9_4plusIvEEdEEDaPvRmT3_T4_T5_mT6_P12ihipStream_tbENKUlT_T0_E_clISt17integral_constantIbLb0EESX_EEDaSS_ST_EUlSS_E0_NS1_11comp_targetILNS1_3genE10ELNS1_11target_archE1200ELNS1_3gpuE4ELNS1_3repE0EEENS1_30default_config_static_selectorELNS0_4arch9wavefront6targetE1EEEvT1_: ; @_ZN7rocprim17ROCPRIM_400000_NS6detail17trampoline_kernelINS0_14default_configENS1_20scan_config_selectorIdEEZZNS1_9scan_implILNS1_25lookback_scan_determinismE0ELb1ELb1ES3_N6thrust23THRUST_200600_302600_NS6detail15normal_iteratorINS9_10device_ptrIdEEEENS9_16discard_iteratorINS9_11use_defaultEEEdNS9_4plusIvEEdEEDaPvRmT3_T4_T5_mT6_P12ihipStream_tbENKUlT_T0_E_clISt17integral_constantIbLb0EESX_EEDaSS_ST_EUlSS_E0_NS1_11comp_targetILNS1_3genE10ELNS1_11target_archE1200ELNS1_3gpuE4ELNS1_3repE0EEENS1_30default_config_static_selectorELNS0_4arch9wavefront6targetE1EEEvT1_
; %bb.0:
	.section	.rodata,"a",@progbits
	.p2align	6, 0x0
	.amdhsa_kernel _ZN7rocprim17ROCPRIM_400000_NS6detail17trampoline_kernelINS0_14default_configENS1_20scan_config_selectorIdEEZZNS1_9scan_implILNS1_25lookback_scan_determinismE0ELb1ELb1ES3_N6thrust23THRUST_200600_302600_NS6detail15normal_iteratorINS9_10device_ptrIdEEEENS9_16discard_iteratorINS9_11use_defaultEEEdNS9_4plusIvEEdEEDaPvRmT3_T4_T5_mT6_P12ihipStream_tbENKUlT_T0_E_clISt17integral_constantIbLb0EESX_EEDaSS_ST_EUlSS_E0_NS1_11comp_targetILNS1_3genE10ELNS1_11target_archE1200ELNS1_3gpuE4ELNS1_3repE0EEENS1_30default_config_static_selectorELNS0_4arch9wavefront6targetE1EEEvT1_
		.amdhsa_group_segment_fixed_size 0
		.amdhsa_private_segment_fixed_size 0
		.amdhsa_kernarg_size 48
		.amdhsa_user_sgpr_count 6
		.amdhsa_user_sgpr_private_segment_buffer 1
		.amdhsa_user_sgpr_dispatch_ptr 0
		.amdhsa_user_sgpr_queue_ptr 0
		.amdhsa_user_sgpr_kernarg_segment_ptr 1
		.amdhsa_user_sgpr_dispatch_id 0
		.amdhsa_user_sgpr_flat_scratch_init 0
		.amdhsa_user_sgpr_kernarg_preload_length 0
		.amdhsa_user_sgpr_kernarg_preload_offset 0
		.amdhsa_user_sgpr_private_segment_size 0
		.amdhsa_uses_dynamic_stack 0
		.amdhsa_system_sgpr_private_segment_wavefront_offset 0
		.amdhsa_system_sgpr_workgroup_id_x 1
		.amdhsa_system_sgpr_workgroup_id_y 0
		.amdhsa_system_sgpr_workgroup_id_z 0
		.amdhsa_system_sgpr_workgroup_info 0
		.amdhsa_system_vgpr_workitem_id 0
		.amdhsa_next_free_vgpr 1
		.amdhsa_next_free_sgpr 0
		.amdhsa_accum_offset 4
		.amdhsa_reserve_vcc 0
		.amdhsa_reserve_flat_scratch 0
		.amdhsa_float_round_mode_32 0
		.amdhsa_float_round_mode_16_64 0
		.amdhsa_float_denorm_mode_32 3
		.amdhsa_float_denorm_mode_16_64 3
		.amdhsa_dx10_clamp 1
		.amdhsa_ieee_mode 1
		.amdhsa_fp16_overflow 0
		.amdhsa_tg_split 0
		.amdhsa_exception_fp_ieee_invalid_op 0
		.amdhsa_exception_fp_denorm_src 0
		.amdhsa_exception_fp_ieee_div_zero 0
		.amdhsa_exception_fp_ieee_overflow 0
		.amdhsa_exception_fp_ieee_underflow 0
		.amdhsa_exception_fp_ieee_inexact 0
		.amdhsa_exception_int_div_zero 0
	.end_amdhsa_kernel
	.section	.text._ZN7rocprim17ROCPRIM_400000_NS6detail17trampoline_kernelINS0_14default_configENS1_20scan_config_selectorIdEEZZNS1_9scan_implILNS1_25lookback_scan_determinismE0ELb1ELb1ES3_N6thrust23THRUST_200600_302600_NS6detail15normal_iteratorINS9_10device_ptrIdEEEENS9_16discard_iteratorINS9_11use_defaultEEEdNS9_4plusIvEEdEEDaPvRmT3_T4_T5_mT6_P12ihipStream_tbENKUlT_T0_E_clISt17integral_constantIbLb0EESX_EEDaSS_ST_EUlSS_E0_NS1_11comp_targetILNS1_3genE10ELNS1_11target_archE1200ELNS1_3gpuE4ELNS1_3repE0EEENS1_30default_config_static_selectorELNS0_4arch9wavefront6targetE1EEEvT1_,"axG",@progbits,_ZN7rocprim17ROCPRIM_400000_NS6detail17trampoline_kernelINS0_14default_configENS1_20scan_config_selectorIdEEZZNS1_9scan_implILNS1_25lookback_scan_determinismE0ELb1ELb1ES3_N6thrust23THRUST_200600_302600_NS6detail15normal_iteratorINS9_10device_ptrIdEEEENS9_16discard_iteratorINS9_11use_defaultEEEdNS9_4plusIvEEdEEDaPvRmT3_T4_T5_mT6_P12ihipStream_tbENKUlT_T0_E_clISt17integral_constantIbLb0EESX_EEDaSS_ST_EUlSS_E0_NS1_11comp_targetILNS1_3genE10ELNS1_11target_archE1200ELNS1_3gpuE4ELNS1_3repE0EEENS1_30default_config_static_selectorELNS0_4arch9wavefront6targetE1EEEvT1_,comdat
.Lfunc_end4949:
	.size	_ZN7rocprim17ROCPRIM_400000_NS6detail17trampoline_kernelINS0_14default_configENS1_20scan_config_selectorIdEEZZNS1_9scan_implILNS1_25lookback_scan_determinismE0ELb1ELb1ES3_N6thrust23THRUST_200600_302600_NS6detail15normal_iteratorINS9_10device_ptrIdEEEENS9_16discard_iteratorINS9_11use_defaultEEEdNS9_4plusIvEEdEEDaPvRmT3_T4_T5_mT6_P12ihipStream_tbENKUlT_T0_E_clISt17integral_constantIbLb0EESX_EEDaSS_ST_EUlSS_E0_NS1_11comp_targetILNS1_3genE10ELNS1_11target_archE1200ELNS1_3gpuE4ELNS1_3repE0EEENS1_30default_config_static_selectorELNS0_4arch9wavefront6targetE1EEEvT1_, .Lfunc_end4949-_ZN7rocprim17ROCPRIM_400000_NS6detail17trampoline_kernelINS0_14default_configENS1_20scan_config_selectorIdEEZZNS1_9scan_implILNS1_25lookback_scan_determinismE0ELb1ELb1ES3_N6thrust23THRUST_200600_302600_NS6detail15normal_iteratorINS9_10device_ptrIdEEEENS9_16discard_iteratorINS9_11use_defaultEEEdNS9_4plusIvEEdEEDaPvRmT3_T4_T5_mT6_P12ihipStream_tbENKUlT_T0_E_clISt17integral_constantIbLb0EESX_EEDaSS_ST_EUlSS_E0_NS1_11comp_targetILNS1_3genE10ELNS1_11target_archE1200ELNS1_3gpuE4ELNS1_3repE0EEENS1_30default_config_static_selectorELNS0_4arch9wavefront6targetE1EEEvT1_
                                        ; -- End function
	.section	.AMDGPU.csdata,"",@progbits
; Kernel info:
; codeLenInByte = 0
; NumSgprs: 4
; NumVgprs: 0
; NumAgprs: 0
; TotalNumVgprs: 0
; ScratchSize: 0
; MemoryBound: 0
; FloatMode: 240
; IeeeMode: 1
; LDSByteSize: 0 bytes/workgroup (compile time only)
; SGPRBlocks: 0
; VGPRBlocks: 0
; NumSGPRsForWavesPerEU: 4
; NumVGPRsForWavesPerEU: 1
; AccumOffset: 4
; Occupancy: 8
; WaveLimiterHint : 0
; COMPUTE_PGM_RSRC2:SCRATCH_EN: 0
; COMPUTE_PGM_RSRC2:USER_SGPR: 6
; COMPUTE_PGM_RSRC2:TRAP_HANDLER: 0
; COMPUTE_PGM_RSRC2:TGID_X_EN: 1
; COMPUTE_PGM_RSRC2:TGID_Y_EN: 0
; COMPUTE_PGM_RSRC2:TGID_Z_EN: 0
; COMPUTE_PGM_RSRC2:TIDIG_COMP_CNT: 0
; COMPUTE_PGM_RSRC3_GFX90A:ACCUM_OFFSET: 0
; COMPUTE_PGM_RSRC3_GFX90A:TG_SPLIT: 0
	.section	.text._ZN7rocprim17ROCPRIM_400000_NS6detail17trampoline_kernelINS0_14default_configENS1_20scan_config_selectorIdEEZZNS1_9scan_implILNS1_25lookback_scan_determinismE0ELb1ELb1ES3_N6thrust23THRUST_200600_302600_NS6detail15normal_iteratorINS9_10device_ptrIdEEEENS9_16discard_iteratorINS9_11use_defaultEEEdNS9_4plusIvEEdEEDaPvRmT3_T4_T5_mT6_P12ihipStream_tbENKUlT_T0_E_clISt17integral_constantIbLb0EESX_EEDaSS_ST_EUlSS_E0_NS1_11comp_targetILNS1_3genE9ELNS1_11target_archE1100ELNS1_3gpuE3ELNS1_3repE0EEENS1_30default_config_static_selectorELNS0_4arch9wavefront6targetE1EEEvT1_,"axG",@progbits,_ZN7rocprim17ROCPRIM_400000_NS6detail17trampoline_kernelINS0_14default_configENS1_20scan_config_selectorIdEEZZNS1_9scan_implILNS1_25lookback_scan_determinismE0ELb1ELb1ES3_N6thrust23THRUST_200600_302600_NS6detail15normal_iteratorINS9_10device_ptrIdEEEENS9_16discard_iteratorINS9_11use_defaultEEEdNS9_4plusIvEEdEEDaPvRmT3_T4_T5_mT6_P12ihipStream_tbENKUlT_T0_E_clISt17integral_constantIbLb0EESX_EEDaSS_ST_EUlSS_E0_NS1_11comp_targetILNS1_3genE9ELNS1_11target_archE1100ELNS1_3gpuE3ELNS1_3repE0EEENS1_30default_config_static_selectorELNS0_4arch9wavefront6targetE1EEEvT1_,comdat
	.protected	_ZN7rocprim17ROCPRIM_400000_NS6detail17trampoline_kernelINS0_14default_configENS1_20scan_config_selectorIdEEZZNS1_9scan_implILNS1_25lookback_scan_determinismE0ELb1ELb1ES3_N6thrust23THRUST_200600_302600_NS6detail15normal_iteratorINS9_10device_ptrIdEEEENS9_16discard_iteratorINS9_11use_defaultEEEdNS9_4plusIvEEdEEDaPvRmT3_T4_T5_mT6_P12ihipStream_tbENKUlT_T0_E_clISt17integral_constantIbLb0EESX_EEDaSS_ST_EUlSS_E0_NS1_11comp_targetILNS1_3genE9ELNS1_11target_archE1100ELNS1_3gpuE3ELNS1_3repE0EEENS1_30default_config_static_selectorELNS0_4arch9wavefront6targetE1EEEvT1_ ; -- Begin function _ZN7rocprim17ROCPRIM_400000_NS6detail17trampoline_kernelINS0_14default_configENS1_20scan_config_selectorIdEEZZNS1_9scan_implILNS1_25lookback_scan_determinismE0ELb1ELb1ES3_N6thrust23THRUST_200600_302600_NS6detail15normal_iteratorINS9_10device_ptrIdEEEENS9_16discard_iteratorINS9_11use_defaultEEEdNS9_4plusIvEEdEEDaPvRmT3_T4_T5_mT6_P12ihipStream_tbENKUlT_T0_E_clISt17integral_constantIbLb0EESX_EEDaSS_ST_EUlSS_E0_NS1_11comp_targetILNS1_3genE9ELNS1_11target_archE1100ELNS1_3gpuE3ELNS1_3repE0EEENS1_30default_config_static_selectorELNS0_4arch9wavefront6targetE1EEEvT1_
	.globl	_ZN7rocprim17ROCPRIM_400000_NS6detail17trampoline_kernelINS0_14default_configENS1_20scan_config_selectorIdEEZZNS1_9scan_implILNS1_25lookback_scan_determinismE0ELb1ELb1ES3_N6thrust23THRUST_200600_302600_NS6detail15normal_iteratorINS9_10device_ptrIdEEEENS9_16discard_iteratorINS9_11use_defaultEEEdNS9_4plusIvEEdEEDaPvRmT3_T4_T5_mT6_P12ihipStream_tbENKUlT_T0_E_clISt17integral_constantIbLb0EESX_EEDaSS_ST_EUlSS_E0_NS1_11comp_targetILNS1_3genE9ELNS1_11target_archE1100ELNS1_3gpuE3ELNS1_3repE0EEENS1_30default_config_static_selectorELNS0_4arch9wavefront6targetE1EEEvT1_
	.p2align	8
	.type	_ZN7rocprim17ROCPRIM_400000_NS6detail17trampoline_kernelINS0_14default_configENS1_20scan_config_selectorIdEEZZNS1_9scan_implILNS1_25lookback_scan_determinismE0ELb1ELb1ES3_N6thrust23THRUST_200600_302600_NS6detail15normal_iteratorINS9_10device_ptrIdEEEENS9_16discard_iteratorINS9_11use_defaultEEEdNS9_4plusIvEEdEEDaPvRmT3_T4_T5_mT6_P12ihipStream_tbENKUlT_T0_E_clISt17integral_constantIbLb0EESX_EEDaSS_ST_EUlSS_E0_NS1_11comp_targetILNS1_3genE9ELNS1_11target_archE1100ELNS1_3gpuE3ELNS1_3repE0EEENS1_30default_config_static_selectorELNS0_4arch9wavefront6targetE1EEEvT1_,@function
_ZN7rocprim17ROCPRIM_400000_NS6detail17trampoline_kernelINS0_14default_configENS1_20scan_config_selectorIdEEZZNS1_9scan_implILNS1_25lookback_scan_determinismE0ELb1ELb1ES3_N6thrust23THRUST_200600_302600_NS6detail15normal_iteratorINS9_10device_ptrIdEEEENS9_16discard_iteratorINS9_11use_defaultEEEdNS9_4plusIvEEdEEDaPvRmT3_T4_T5_mT6_P12ihipStream_tbENKUlT_T0_E_clISt17integral_constantIbLb0EESX_EEDaSS_ST_EUlSS_E0_NS1_11comp_targetILNS1_3genE9ELNS1_11target_archE1100ELNS1_3gpuE3ELNS1_3repE0EEENS1_30default_config_static_selectorELNS0_4arch9wavefront6targetE1EEEvT1_: ; @_ZN7rocprim17ROCPRIM_400000_NS6detail17trampoline_kernelINS0_14default_configENS1_20scan_config_selectorIdEEZZNS1_9scan_implILNS1_25lookback_scan_determinismE0ELb1ELb1ES3_N6thrust23THRUST_200600_302600_NS6detail15normal_iteratorINS9_10device_ptrIdEEEENS9_16discard_iteratorINS9_11use_defaultEEEdNS9_4plusIvEEdEEDaPvRmT3_T4_T5_mT6_P12ihipStream_tbENKUlT_T0_E_clISt17integral_constantIbLb0EESX_EEDaSS_ST_EUlSS_E0_NS1_11comp_targetILNS1_3genE9ELNS1_11target_archE1100ELNS1_3gpuE3ELNS1_3repE0EEENS1_30default_config_static_selectorELNS0_4arch9wavefront6targetE1EEEvT1_
; %bb.0:
	.section	.rodata,"a",@progbits
	.p2align	6, 0x0
	.amdhsa_kernel _ZN7rocprim17ROCPRIM_400000_NS6detail17trampoline_kernelINS0_14default_configENS1_20scan_config_selectorIdEEZZNS1_9scan_implILNS1_25lookback_scan_determinismE0ELb1ELb1ES3_N6thrust23THRUST_200600_302600_NS6detail15normal_iteratorINS9_10device_ptrIdEEEENS9_16discard_iteratorINS9_11use_defaultEEEdNS9_4plusIvEEdEEDaPvRmT3_T4_T5_mT6_P12ihipStream_tbENKUlT_T0_E_clISt17integral_constantIbLb0EESX_EEDaSS_ST_EUlSS_E0_NS1_11comp_targetILNS1_3genE9ELNS1_11target_archE1100ELNS1_3gpuE3ELNS1_3repE0EEENS1_30default_config_static_selectorELNS0_4arch9wavefront6targetE1EEEvT1_
		.amdhsa_group_segment_fixed_size 0
		.amdhsa_private_segment_fixed_size 0
		.amdhsa_kernarg_size 48
		.amdhsa_user_sgpr_count 6
		.amdhsa_user_sgpr_private_segment_buffer 1
		.amdhsa_user_sgpr_dispatch_ptr 0
		.amdhsa_user_sgpr_queue_ptr 0
		.amdhsa_user_sgpr_kernarg_segment_ptr 1
		.amdhsa_user_sgpr_dispatch_id 0
		.amdhsa_user_sgpr_flat_scratch_init 0
		.amdhsa_user_sgpr_kernarg_preload_length 0
		.amdhsa_user_sgpr_kernarg_preload_offset 0
		.amdhsa_user_sgpr_private_segment_size 0
		.amdhsa_uses_dynamic_stack 0
		.amdhsa_system_sgpr_private_segment_wavefront_offset 0
		.amdhsa_system_sgpr_workgroup_id_x 1
		.amdhsa_system_sgpr_workgroup_id_y 0
		.amdhsa_system_sgpr_workgroup_id_z 0
		.amdhsa_system_sgpr_workgroup_info 0
		.amdhsa_system_vgpr_workitem_id 0
		.amdhsa_next_free_vgpr 1
		.amdhsa_next_free_sgpr 0
		.amdhsa_accum_offset 4
		.amdhsa_reserve_vcc 0
		.amdhsa_reserve_flat_scratch 0
		.amdhsa_float_round_mode_32 0
		.amdhsa_float_round_mode_16_64 0
		.amdhsa_float_denorm_mode_32 3
		.amdhsa_float_denorm_mode_16_64 3
		.amdhsa_dx10_clamp 1
		.amdhsa_ieee_mode 1
		.amdhsa_fp16_overflow 0
		.amdhsa_tg_split 0
		.amdhsa_exception_fp_ieee_invalid_op 0
		.amdhsa_exception_fp_denorm_src 0
		.amdhsa_exception_fp_ieee_div_zero 0
		.amdhsa_exception_fp_ieee_overflow 0
		.amdhsa_exception_fp_ieee_underflow 0
		.amdhsa_exception_fp_ieee_inexact 0
		.amdhsa_exception_int_div_zero 0
	.end_amdhsa_kernel
	.section	.text._ZN7rocprim17ROCPRIM_400000_NS6detail17trampoline_kernelINS0_14default_configENS1_20scan_config_selectorIdEEZZNS1_9scan_implILNS1_25lookback_scan_determinismE0ELb1ELb1ES3_N6thrust23THRUST_200600_302600_NS6detail15normal_iteratorINS9_10device_ptrIdEEEENS9_16discard_iteratorINS9_11use_defaultEEEdNS9_4plusIvEEdEEDaPvRmT3_T4_T5_mT6_P12ihipStream_tbENKUlT_T0_E_clISt17integral_constantIbLb0EESX_EEDaSS_ST_EUlSS_E0_NS1_11comp_targetILNS1_3genE9ELNS1_11target_archE1100ELNS1_3gpuE3ELNS1_3repE0EEENS1_30default_config_static_selectorELNS0_4arch9wavefront6targetE1EEEvT1_,"axG",@progbits,_ZN7rocprim17ROCPRIM_400000_NS6detail17trampoline_kernelINS0_14default_configENS1_20scan_config_selectorIdEEZZNS1_9scan_implILNS1_25lookback_scan_determinismE0ELb1ELb1ES3_N6thrust23THRUST_200600_302600_NS6detail15normal_iteratorINS9_10device_ptrIdEEEENS9_16discard_iteratorINS9_11use_defaultEEEdNS9_4plusIvEEdEEDaPvRmT3_T4_T5_mT6_P12ihipStream_tbENKUlT_T0_E_clISt17integral_constantIbLb0EESX_EEDaSS_ST_EUlSS_E0_NS1_11comp_targetILNS1_3genE9ELNS1_11target_archE1100ELNS1_3gpuE3ELNS1_3repE0EEENS1_30default_config_static_selectorELNS0_4arch9wavefront6targetE1EEEvT1_,comdat
.Lfunc_end4950:
	.size	_ZN7rocprim17ROCPRIM_400000_NS6detail17trampoline_kernelINS0_14default_configENS1_20scan_config_selectorIdEEZZNS1_9scan_implILNS1_25lookback_scan_determinismE0ELb1ELb1ES3_N6thrust23THRUST_200600_302600_NS6detail15normal_iteratorINS9_10device_ptrIdEEEENS9_16discard_iteratorINS9_11use_defaultEEEdNS9_4plusIvEEdEEDaPvRmT3_T4_T5_mT6_P12ihipStream_tbENKUlT_T0_E_clISt17integral_constantIbLb0EESX_EEDaSS_ST_EUlSS_E0_NS1_11comp_targetILNS1_3genE9ELNS1_11target_archE1100ELNS1_3gpuE3ELNS1_3repE0EEENS1_30default_config_static_selectorELNS0_4arch9wavefront6targetE1EEEvT1_, .Lfunc_end4950-_ZN7rocprim17ROCPRIM_400000_NS6detail17trampoline_kernelINS0_14default_configENS1_20scan_config_selectorIdEEZZNS1_9scan_implILNS1_25lookback_scan_determinismE0ELb1ELb1ES3_N6thrust23THRUST_200600_302600_NS6detail15normal_iteratorINS9_10device_ptrIdEEEENS9_16discard_iteratorINS9_11use_defaultEEEdNS9_4plusIvEEdEEDaPvRmT3_T4_T5_mT6_P12ihipStream_tbENKUlT_T0_E_clISt17integral_constantIbLb0EESX_EEDaSS_ST_EUlSS_E0_NS1_11comp_targetILNS1_3genE9ELNS1_11target_archE1100ELNS1_3gpuE3ELNS1_3repE0EEENS1_30default_config_static_selectorELNS0_4arch9wavefront6targetE1EEEvT1_
                                        ; -- End function
	.section	.AMDGPU.csdata,"",@progbits
; Kernel info:
; codeLenInByte = 0
; NumSgprs: 4
; NumVgprs: 0
; NumAgprs: 0
; TotalNumVgprs: 0
; ScratchSize: 0
; MemoryBound: 0
; FloatMode: 240
; IeeeMode: 1
; LDSByteSize: 0 bytes/workgroup (compile time only)
; SGPRBlocks: 0
; VGPRBlocks: 0
; NumSGPRsForWavesPerEU: 4
; NumVGPRsForWavesPerEU: 1
; AccumOffset: 4
; Occupancy: 8
; WaveLimiterHint : 0
; COMPUTE_PGM_RSRC2:SCRATCH_EN: 0
; COMPUTE_PGM_RSRC2:USER_SGPR: 6
; COMPUTE_PGM_RSRC2:TRAP_HANDLER: 0
; COMPUTE_PGM_RSRC2:TGID_X_EN: 1
; COMPUTE_PGM_RSRC2:TGID_Y_EN: 0
; COMPUTE_PGM_RSRC2:TGID_Z_EN: 0
; COMPUTE_PGM_RSRC2:TIDIG_COMP_CNT: 0
; COMPUTE_PGM_RSRC3_GFX90A:ACCUM_OFFSET: 0
; COMPUTE_PGM_RSRC3_GFX90A:TG_SPLIT: 0
	.section	.text._ZN7rocprim17ROCPRIM_400000_NS6detail17trampoline_kernelINS0_14default_configENS1_20scan_config_selectorIdEEZZNS1_9scan_implILNS1_25lookback_scan_determinismE0ELb1ELb1ES3_N6thrust23THRUST_200600_302600_NS6detail15normal_iteratorINS9_10device_ptrIdEEEENS9_16discard_iteratorINS9_11use_defaultEEEdNS9_4plusIvEEdEEDaPvRmT3_T4_T5_mT6_P12ihipStream_tbENKUlT_T0_E_clISt17integral_constantIbLb0EESX_EEDaSS_ST_EUlSS_E0_NS1_11comp_targetILNS1_3genE8ELNS1_11target_archE1030ELNS1_3gpuE2ELNS1_3repE0EEENS1_30default_config_static_selectorELNS0_4arch9wavefront6targetE1EEEvT1_,"axG",@progbits,_ZN7rocprim17ROCPRIM_400000_NS6detail17trampoline_kernelINS0_14default_configENS1_20scan_config_selectorIdEEZZNS1_9scan_implILNS1_25lookback_scan_determinismE0ELb1ELb1ES3_N6thrust23THRUST_200600_302600_NS6detail15normal_iteratorINS9_10device_ptrIdEEEENS9_16discard_iteratorINS9_11use_defaultEEEdNS9_4plusIvEEdEEDaPvRmT3_T4_T5_mT6_P12ihipStream_tbENKUlT_T0_E_clISt17integral_constantIbLb0EESX_EEDaSS_ST_EUlSS_E0_NS1_11comp_targetILNS1_3genE8ELNS1_11target_archE1030ELNS1_3gpuE2ELNS1_3repE0EEENS1_30default_config_static_selectorELNS0_4arch9wavefront6targetE1EEEvT1_,comdat
	.protected	_ZN7rocprim17ROCPRIM_400000_NS6detail17trampoline_kernelINS0_14default_configENS1_20scan_config_selectorIdEEZZNS1_9scan_implILNS1_25lookback_scan_determinismE0ELb1ELb1ES3_N6thrust23THRUST_200600_302600_NS6detail15normal_iteratorINS9_10device_ptrIdEEEENS9_16discard_iteratorINS9_11use_defaultEEEdNS9_4plusIvEEdEEDaPvRmT3_T4_T5_mT6_P12ihipStream_tbENKUlT_T0_E_clISt17integral_constantIbLb0EESX_EEDaSS_ST_EUlSS_E0_NS1_11comp_targetILNS1_3genE8ELNS1_11target_archE1030ELNS1_3gpuE2ELNS1_3repE0EEENS1_30default_config_static_selectorELNS0_4arch9wavefront6targetE1EEEvT1_ ; -- Begin function _ZN7rocprim17ROCPRIM_400000_NS6detail17trampoline_kernelINS0_14default_configENS1_20scan_config_selectorIdEEZZNS1_9scan_implILNS1_25lookback_scan_determinismE0ELb1ELb1ES3_N6thrust23THRUST_200600_302600_NS6detail15normal_iteratorINS9_10device_ptrIdEEEENS9_16discard_iteratorINS9_11use_defaultEEEdNS9_4plusIvEEdEEDaPvRmT3_T4_T5_mT6_P12ihipStream_tbENKUlT_T0_E_clISt17integral_constantIbLb0EESX_EEDaSS_ST_EUlSS_E0_NS1_11comp_targetILNS1_3genE8ELNS1_11target_archE1030ELNS1_3gpuE2ELNS1_3repE0EEENS1_30default_config_static_selectorELNS0_4arch9wavefront6targetE1EEEvT1_
	.globl	_ZN7rocprim17ROCPRIM_400000_NS6detail17trampoline_kernelINS0_14default_configENS1_20scan_config_selectorIdEEZZNS1_9scan_implILNS1_25lookback_scan_determinismE0ELb1ELb1ES3_N6thrust23THRUST_200600_302600_NS6detail15normal_iteratorINS9_10device_ptrIdEEEENS9_16discard_iteratorINS9_11use_defaultEEEdNS9_4plusIvEEdEEDaPvRmT3_T4_T5_mT6_P12ihipStream_tbENKUlT_T0_E_clISt17integral_constantIbLb0EESX_EEDaSS_ST_EUlSS_E0_NS1_11comp_targetILNS1_3genE8ELNS1_11target_archE1030ELNS1_3gpuE2ELNS1_3repE0EEENS1_30default_config_static_selectorELNS0_4arch9wavefront6targetE1EEEvT1_
	.p2align	8
	.type	_ZN7rocprim17ROCPRIM_400000_NS6detail17trampoline_kernelINS0_14default_configENS1_20scan_config_selectorIdEEZZNS1_9scan_implILNS1_25lookback_scan_determinismE0ELb1ELb1ES3_N6thrust23THRUST_200600_302600_NS6detail15normal_iteratorINS9_10device_ptrIdEEEENS9_16discard_iteratorINS9_11use_defaultEEEdNS9_4plusIvEEdEEDaPvRmT3_T4_T5_mT6_P12ihipStream_tbENKUlT_T0_E_clISt17integral_constantIbLb0EESX_EEDaSS_ST_EUlSS_E0_NS1_11comp_targetILNS1_3genE8ELNS1_11target_archE1030ELNS1_3gpuE2ELNS1_3repE0EEENS1_30default_config_static_selectorELNS0_4arch9wavefront6targetE1EEEvT1_,@function
_ZN7rocprim17ROCPRIM_400000_NS6detail17trampoline_kernelINS0_14default_configENS1_20scan_config_selectorIdEEZZNS1_9scan_implILNS1_25lookback_scan_determinismE0ELb1ELb1ES3_N6thrust23THRUST_200600_302600_NS6detail15normal_iteratorINS9_10device_ptrIdEEEENS9_16discard_iteratorINS9_11use_defaultEEEdNS9_4plusIvEEdEEDaPvRmT3_T4_T5_mT6_P12ihipStream_tbENKUlT_T0_E_clISt17integral_constantIbLb0EESX_EEDaSS_ST_EUlSS_E0_NS1_11comp_targetILNS1_3genE8ELNS1_11target_archE1030ELNS1_3gpuE2ELNS1_3repE0EEENS1_30default_config_static_selectorELNS0_4arch9wavefront6targetE1EEEvT1_: ; @_ZN7rocprim17ROCPRIM_400000_NS6detail17trampoline_kernelINS0_14default_configENS1_20scan_config_selectorIdEEZZNS1_9scan_implILNS1_25lookback_scan_determinismE0ELb1ELb1ES3_N6thrust23THRUST_200600_302600_NS6detail15normal_iteratorINS9_10device_ptrIdEEEENS9_16discard_iteratorINS9_11use_defaultEEEdNS9_4plusIvEEdEEDaPvRmT3_T4_T5_mT6_P12ihipStream_tbENKUlT_T0_E_clISt17integral_constantIbLb0EESX_EEDaSS_ST_EUlSS_E0_NS1_11comp_targetILNS1_3genE8ELNS1_11target_archE1030ELNS1_3gpuE2ELNS1_3repE0EEENS1_30default_config_static_selectorELNS0_4arch9wavefront6targetE1EEEvT1_
; %bb.0:
	.section	.rodata,"a",@progbits
	.p2align	6, 0x0
	.amdhsa_kernel _ZN7rocprim17ROCPRIM_400000_NS6detail17trampoline_kernelINS0_14default_configENS1_20scan_config_selectorIdEEZZNS1_9scan_implILNS1_25lookback_scan_determinismE0ELb1ELb1ES3_N6thrust23THRUST_200600_302600_NS6detail15normal_iteratorINS9_10device_ptrIdEEEENS9_16discard_iteratorINS9_11use_defaultEEEdNS9_4plusIvEEdEEDaPvRmT3_T4_T5_mT6_P12ihipStream_tbENKUlT_T0_E_clISt17integral_constantIbLb0EESX_EEDaSS_ST_EUlSS_E0_NS1_11comp_targetILNS1_3genE8ELNS1_11target_archE1030ELNS1_3gpuE2ELNS1_3repE0EEENS1_30default_config_static_selectorELNS0_4arch9wavefront6targetE1EEEvT1_
		.amdhsa_group_segment_fixed_size 0
		.amdhsa_private_segment_fixed_size 0
		.amdhsa_kernarg_size 48
		.amdhsa_user_sgpr_count 6
		.amdhsa_user_sgpr_private_segment_buffer 1
		.amdhsa_user_sgpr_dispatch_ptr 0
		.amdhsa_user_sgpr_queue_ptr 0
		.amdhsa_user_sgpr_kernarg_segment_ptr 1
		.amdhsa_user_sgpr_dispatch_id 0
		.amdhsa_user_sgpr_flat_scratch_init 0
		.amdhsa_user_sgpr_kernarg_preload_length 0
		.amdhsa_user_sgpr_kernarg_preload_offset 0
		.amdhsa_user_sgpr_private_segment_size 0
		.amdhsa_uses_dynamic_stack 0
		.amdhsa_system_sgpr_private_segment_wavefront_offset 0
		.amdhsa_system_sgpr_workgroup_id_x 1
		.amdhsa_system_sgpr_workgroup_id_y 0
		.amdhsa_system_sgpr_workgroup_id_z 0
		.amdhsa_system_sgpr_workgroup_info 0
		.amdhsa_system_vgpr_workitem_id 0
		.amdhsa_next_free_vgpr 1
		.amdhsa_next_free_sgpr 0
		.amdhsa_accum_offset 4
		.amdhsa_reserve_vcc 0
		.amdhsa_reserve_flat_scratch 0
		.amdhsa_float_round_mode_32 0
		.amdhsa_float_round_mode_16_64 0
		.amdhsa_float_denorm_mode_32 3
		.amdhsa_float_denorm_mode_16_64 3
		.amdhsa_dx10_clamp 1
		.amdhsa_ieee_mode 1
		.amdhsa_fp16_overflow 0
		.amdhsa_tg_split 0
		.amdhsa_exception_fp_ieee_invalid_op 0
		.amdhsa_exception_fp_denorm_src 0
		.amdhsa_exception_fp_ieee_div_zero 0
		.amdhsa_exception_fp_ieee_overflow 0
		.amdhsa_exception_fp_ieee_underflow 0
		.amdhsa_exception_fp_ieee_inexact 0
		.amdhsa_exception_int_div_zero 0
	.end_amdhsa_kernel
	.section	.text._ZN7rocprim17ROCPRIM_400000_NS6detail17trampoline_kernelINS0_14default_configENS1_20scan_config_selectorIdEEZZNS1_9scan_implILNS1_25lookback_scan_determinismE0ELb1ELb1ES3_N6thrust23THRUST_200600_302600_NS6detail15normal_iteratorINS9_10device_ptrIdEEEENS9_16discard_iteratorINS9_11use_defaultEEEdNS9_4plusIvEEdEEDaPvRmT3_T4_T5_mT6_P12ihipStream_tbENKUlT_T0_E_clISt17integral_constantIbLb0EESX_EEDaSS_ST_EUlSS_E0_NS1_11comp_targetILNS1_3genE8ELNS1_11target_archE1030ELNS1_3gpuE2ELNS1_3repE0EEENS1_30default_config_static_selectorELNS0_4arch9wavefront6targetE1EEEvT1_,"axG",@progbits,_ZN7rocprim17ROCPRIM_400000_NS6detail17trampoline_kernelINS0_14default_configENS1_20scan_config_selectorIdEEZZNS1_9scan_implILNS1_25lookback_scan_determinismE0ELb1ELb1ES3_N6thrust23THRUST_200600_302600_NS6detail15normal_iteratorINS9_10device_ptrIdEEEENS9_16discard_iteratorINS9_11use_defaultEEEdNS9_4plusIvEEdEEDaPvRmT3_T4_T5_mT6_P12ihipStream_tbENKUlT_T0_E_clISt17integral_constantIbLb0EESX_EEDaSS_ST_EUlSS_E0_NS1_11comp_targetILNS1_3genE8ELNS1_11target_archE1030ELNS1_3gpuE2ELNS1_3repE0EEENS1_30default_config_static_selectorELNS0_4arch9wavefront6targetE1EEEvT1_,comdat
.Lfunc_end4951:
	.size	_ZN7rocprim17ROCPRIM_400000_NS6detail17trampoline_kernelINS0_14default_configENS1_20scan_config_selectorIdEEZZNS1_9scan_implILNS1_25lookback_scan_determinismE0ELb1ELb1ES3_N6thrust23THRUST_200600_302600_NS6detail15normal_iteratorINS9_10device_ptrIdEEEENS9_16discard_iteratorINS9_11use_defaultEEEdNS9_4plusIvEEdEEDaPvRmT3_T4_T5_mT6_P12ihipStream_tbENKUlT_T0_E_clISt17integral_constantIbLb0EESX_EEDaSS_ST_EUlSS_E0_NS1_11comp_targetILNS1_3genE8ELNS1_11target_archE1030ELNS1_3gpuE2ELNS1_3repE0EEENS1_30default_config_static_selectorELNS0_4arch9wavefront6targetE1EEEvT1_, .Lfunc_end4951-_ZN7rocprim17ROCPRIM_400000_NS6detail17trampoline_kernelINS0_14default_configENS1_20scan_config_selectorIdEEZZNS1_9scan_implILNS1_25lookback_scan_determinismE0ELb1ELb1ES3_N6thrust23THRUST_200600_302600_NS6detail15normal_iteratorINS9_10device_ptrIdEEEENS9_16discard_iteratorINS9_11use_defaultEEEdNS9_4plusIvEEdEEDaPvRmT3_T4_T5_mT6_P12ihipStream_tbENKUlT_T0_E_clISt17integral_constantIbLb0EESX_EEDaSS_ST_EUlSS_E0_NS1_11comp_targetILNS1_3genE8ELNS1_11target_archE1030ELNS1_3gpuE2ELNS1_3repE0EEENS1_30default_config_static_selectorELNS0_4arch9wavefront6targetE1EEEvT1_
                                        ; -- End function
	.section	.AMDGPU.csdata,"",@progbits
; Kernel info:
; codeLenInByte = 0
; NumSgprs: 4
; NumVgprs: 0
; NumAgprs: 0
; TotalNumVgprs: 0
; ScratchSize: 0
; MemoryBound: 0
; FloatMode: 240
; IeeeMode: 1
; LDSByteSize: 0 bytes/workgroup (compile time only)
; SGPRBlocks: 0
; VGPRBlocks: 0
; NumSGPRsForWavesPerEU: 4
; NumVGPRsForWavesPerEU: 1
; AccumOffset: 4
; Occupancy: 8
; WaveLimiterHint : 0
; COMPUTE_PGM_RSRC2:SCRATCH_EN: 0
; COMPUTE_PGM_RSRC2:USER_SGPR: 6
; COMPUTE_PGM_RSRC2:TRAP_HANDLER: 0
; COMPUTE_PGM_RSRC2:TGID_X_EN: 1
; COMPUTE_PGM_RSRC2:TGID_Y_EN: 0
; COMPUTE_PGM_RSRC2:TGID_Z_EN: 0
; COMPUTE_PGM_RSRC2:TIDIG_COMP_CNT: 0
; COMPUTE_PGM_RSRC3_GFX90A:ACCUM_OFFSET: 0
; COMPUTE_PGM_RSRC3_GFX90A:TG_SPLIT: 0
	.section	.text._ZN7rocprim17ROCPRIM_400000_NS6detail17trampoline_kernelINS0_14default_configENS1_20scan_config_selectorIdEEZZNS1_9scan_implILNS1_25lookback_scan_determinismE0ELb1ELb1ES3_N6thrust23THRUST_200600_302600_NS6detail15normal_iteratorINS9_10device_ptrIdEEEENS9_16discard_iteratorINS9_11use_defaultEEEdNS9_4plusIvEEdEEDaPvRmT3_T4_T5_mT6_P12ihipStream_tbENKUlT_T0_E_clISt17integral_constantIbLb1EESX_EEDaSS_ST_EUlSS_E_NS1_11comp_targetILNS1_3genE0ELNS1_11target_archE4294967295ELNS1_3gpuE0ELNS1_3repE0EEENS1_30default_config_static_selectorELNS0_4arch9wavefront6targetE1EEEvT1_,"axG",@progbits,_ZN7rocprim17ROCPRIM_400000_NS6detail17trampoline_kernelINS0_14default_configENS1_20scan_config_selectorIdEEZZNS1_9scan_implILNS1_25lookback_scan_determinismE0ELb1ELb1ES3_N6thrust23THRUST_200600_302600_NS6detail15normal_iteratorINS9_10device_ptrIdEEEENS9_16discard_iteratorINS9_11use_defaultEEEdNS9_4plusIvEEdEEDaPvRmT3_T4_T5_mT6_P12ihipStream_tbENKUlT_T0_E_clISt17integral_constantIbLb1EESX_EEDaSS_ST_EUlSS_E_NS1_11comp_targetILNS1_3genE0ELNS1_11target_archE4294967295ELNS1_3gpuE0ELNS1_3repE0EEENS1_30default_config_static_selectorELNS0_4arch9wavefront6targetE1EEEvT1_,comdat
	.protected	_ZN7rocprim17ROCPRIM_400000_NS6detail17trampoline_kernelINS0_14default_configENS1_20scan_config_selectorIdEEZZNS1_9scan_implILNS1_25lookback_scan_determinismE0ELb1ELb1ES3_N6thrust23THRUST_200600_302600_NS6detail15normal_iteratorINS9_10device_ptrIdEEEENS9_16discard_iteratorINS9_11use_defaultEEEdNS9_4plusIvEEdEEDaPvRmT3_T4_T5_mT6_P12ihipStream_tbENKUlT_T0_E_clISt17integral_constantIbLb1EESX_EEDaSS_ST_EUlSS_E_NS1_11comp_targetILNS1_3genE0ELNS1_11target_archE4294967295ELNS1_3gpuE0ELNS1_3repE0EEENS1_30default_config_static_selectorELNS0_4arch9wavefront6targetE1EEEvT1_ ; -- Begin function _ZN7rocprim17ROCPRIM_400000_NS6detail17trampoline_kernelINS0_14default_configENS1_20scan_config_selectorIdEEZZNS1_9scan_implILNS1_25lookback_scan_determinismE0ELb1ELb1ES3_N6thrust23THRUST_200600_302600_NS6detail15normal_iteratorINS9_10device_ptrIdEEEENS9_16discard_iteratorINS9_11use_defaultEEEdNS9_4plusIvEEdEEDaPvRmT3_T4_T5_mT6_P12ihipStream_tbENKUlT_T0_E_clISt17integral_constantIbLb1EESX_EEDaSS_ST_EUlSS_E_NS1_11comp_targetILNS1_3genE0ELNS1_11target_archE4294967295ELNS1_3gpuE0ELNS1_3repE0EEENS1_30default_config_static_selectorELNS0_4arch9wavefront6targetE1EEEvT1_
	.globl	_ZN7rocprim17ROCPRIM_400000_NS6detail17trampoline_kernelINS0_14default_configENS1_20scan_config_selectorIdEEZZNS1_9scan_implILNS1_25lookback_scan_determinismE0ELb1ELb1ES3_N6thrust23THRUST_200600_302600_NS6detail15normal_iteratorINS9_10device_ptrIdEEEENS9_16discard_iteratorINS9_11use_defaultEEEdNS9_4plusIvEEdEEDaPvRmT3_T4_T5_mT6_P12ihipStream_tbENKUlT_T0_E_clISt17integral_constantIbLb1EESX_EEDaSS_ST_EUlSS_E_NS1_11comp_targetILNS1_3genE0ELNS1_11target_archE4294967295ELNS1_3gpuE0ELNS1_3repE0EEENS1_30default_config_static_selectorELNS0_4arch9wavefront6targetE1EEEvT1_
	.p2align	8
	.type	_ZN7rocprim17ROCPRIM_400000_NS6detail17trampoline_kernelINS0_14default_configENS1_20scan_config_selectorIdEEZZNS1_9scan_implILNS1_25lookback_scan_determinismE0ELb1ELb1ES3_N6thrust23THRUST_200600_302600_NS6detail15normal_iteratorINS9_10device_ptrIdEEEENS9_16discard_iteratorINS9_11use_defaultEEEdNS9_4plusIvEEdEEDaPvRmT3_T4_T5_mT6_P12ihipStream_tbENKUlT_T0_E_clISt17integral_constantIbLb1EESX_EEDaSS_ST_EUlSS_E_NS1_11comp_targetILNS1_3genE0ELNS1_11target_archE4294967295ELNS1_3gpuE0ELNS1_3repE0EEENS1_30default_config_static_selectorELNS0_4arch9wavefront6targetE1EEEvT1_,@function
_ZN7rocprim17ROCPRIM_400000_NS6detail17trampoline_kernelINS0_14default_configENS1_20scan_config_selectorIdEEZZNS1_9scan_implILNS1_25lookback_scan_determinismE0ELb1ELb1ES3_N6thrust23THRUST_200600_302600_NS6detail15normal_iteratorINS9_10device_ptrIdEEEENS9_16discard_iteratorINS9_11use_defaultEEEdNS9_4plusIvEEdEEDaPvRmT3_T4_T5_mT6_P12ihipStream_tbENKUlT_T0_E_clISt17integral_constantIbLb1EESX_EEDaSS_ST_EUlSS_E_NS1_11comp_targetILNS1_3genE0ELNS1_11target_archE4294967295ELNS1_3gpuE0ELNS1_3repE0EEENS1_30default_config_static_selectorELNS0_4arch9wavefront6targetE1EEEvT1_: ; @_ZN7rocprim17ROCPRIM_400000_NS6detail17trampoline_kernelINS0_14default_configENS1_20scan_config_selectorIdEEZZNS1_9scan_implILNS1_25lookback_scan_determinismE0ELb1ELb1ES3_N6thrust23THRUST_200600_302600_NS6detail15normal_iteratorINS9_10device_ptrIdEEEENS9_16discard_iteratorINS9_11use_defaultEEEdNS9_4plusIvEEdEEDaPvRmT3_T4_T5_mT6_P12ihipStream_tbENKUlT_T0_E_clISt17integral_constantIbLb1EESX_EEDaSS_ST_EUlSS_E_NS1_11comp_targetILNS1_3genE0ELNS1_11target_archE4294967295ELNS1_3gpuE0ELNS1_3repE0EEENS1_30default_config_static_selectorELNS0_4arch9wavefront6targetE1EEEvT1_
; %bb.0:
	.section	.rodata,"a",@progbits
	.p2align	6, 0x0
	.amdhsa_kernel _ZN7rocprim17ROCPRIM_400000_NS6detail17trampoline_kernelINS0_14default_configENS1_20scan_config_selectorIdEEZZNS1_9scan_implILNS1_25lookback_scan_determinismE0ELb1ELb1ES3_N6thrust23THRUST_200600_302600_NS6detail15normal_iteratorINS9_10device_ptrIdEEEENS9_16discard_iteratorINS9_11use_defaultEEEdNS9_4plusIvEEdEEDaPvRmT3_T4_T5_mT6_P12ihipStream_tbENKUlT_T0_E_clISt17integral_constantIbLb1EESX_EEDaSS_ST_EUlSS_E_NS1_11comp_targetILNS1_3genE0ELNS1_11target_archE4294967295ELNS1_3gpuE0ELNS1_3repE0EEENS1_30default_config_static_selectorELNS0_4arch9wavefront6targetE1EEEvT1_
		.amdhsa_group_segment_fixed_size 0
		.amdhsa_private_segment_fixed_size 0
		.amdhsa_kernarg_size 112
		.amdhsa_user_sgpr_count 6
		.amdhsa_user_sgpr_private_segment_buffer 1
		.amdhsa_user_sgpr_dispatch_ptr 0
		.amdhsa_user_sgpr_queue_ptr 0
		.amdhsa_user_sgpr_kernarg_segment_ptr 1
		.amdhsa_user_sgpr_dispatch_id 0
		.amdhsa_user_sgpr_flat_scratch_init 0
		.amdhsa_user_sgpr_kernarg_preload_length 0
		.amdhsa_user_sgpr_kernarg_preload_offset 0
		.amdhsa_user_sgpr_private_segment_size 0
		.amdhsa_uses_dynamic_stack 0
		.amdhsa_system_sgpr_private_segment_wavefront_offset 0
		.amdhsa_system_sgpr_workgroup_id_x 1
		.amdhsa_system_sgpr_workgroup_id_y 0
		.amdhsa_system_sgpr_workgroup_id_z 0
		.amdhsa_system_sgpr_workgroup_info 0
		.amdhsa_system_vgpr_workitem_id 0
		.amdhsa_next_free_vgpr 1
		.amdhsa_next_free_sgpr 0
		.amdhsa_accum_offset 4
		.amdhsa_reserve_vcc 0
		.amdhsa_reserve_flat_scratch 0
		.amdhsa_float_round_mode_32 0
		.amdhsa_float_round_mode_16_64 0
		.amdhsa_float_denorm_mode_32 3
		.amdhsa_float_denorm_mode_16_64 3
		.amdhsa_dx10_clamp 1
		.amdhsa_ieee_mode 1
		.amdhsa_fp16_overflow 0
		.amdhsa_tg_split 0
		.amdhsa_exception_fp_ieee_invalid_op 0
		.amdhsa_exception_fp_denorm_src 0
		.amdhsa_exception_fp_ieee_div_zero 0
		.amdhsa_exception_fp_ieee_overflow 0
		.amdhsa_exception_fp_ieee_underflow 0
		.amdhsa_exception_fp_ieee_inexact 0
		.amdhsa_exception_int_div_zero 0
	.end_amdhsa_kernel
	.section	.text._ZN7rocprim17ROCPRIM_400000_NS6detail17trampoline_kernelINS0_14default_configENS1_20scan_config_selectorIdEEZZNS1_9scan_implILNS1_25lookback_scan_determinismE0ELb1ELb1ES3_N6thrust23THRUST_200600_302600_NS6detail15normal_iteratorINS9_10device_ptrIdEEEENS9_16discard_iteratorINS9_11use_defaultEEEdNS9_4plusIvEEdEEDaPvRmT3_T4_T5_mT6_P12ihipStream_tbENKUlT_T0_E_clISt17integral_constantIbLb1EESX_EEDaSS_ST_EUlSS_E_NS1_11comp_targetILNS1_3genE0ELNS1_11target_archE4294967295ELNS1_3gpuE0ELNS1_3repE0EEENS1_30default_config_static_selectorELNS0_4arch9wavefront6targetE1EEEvT1_,"axG",@progbits,_ZN7rocprim17ROCPRIM_400000_NS6detail17trampoline_kernelINS0_14default_configENS1_20scan_config_selectorIdEEZZNS1_9scan_implILNS1_25lookback_scan_determinismE0ELb1ELb1ES3_N6thrust23THRUST_200600_302600_NS6detail15normal_iteratorINS9_10device_ptrIdEEEENS9_16discard_iteratorINS9_11use_defaultEEEdNS9_4plusIvEEdEEDaPvRmT3_T4_T5_mT6_P12ihipStream_tbENKUlT_T0_E_clISt17integral_constantIbLb1EESX_EEDaSS_ST_EUlSS_E_NS1_11comp_targetILNS1_3genE0ELNS1_11target_archE4294967295ELNS1_3gpuE0ELNS1_3repE0EEENS1_30default_config_static_selectorELNS0_4arch9wavefront6targetE1EEEvT1_,comdat
.Lfunc_end4952:
	.size	_ZN7rocprim17ROCPRIM_400000_NS6detail17trampoline_kernelINS0_14default_configENS1_20scan_config_selectorIdEEZZNS1_9scan_implILNS1_25lookback_scan_determinismE0ELb1ELb1ES3_N6thrust23THRUST_200600_302600_NS6detail15normal_iteratorINS9_10device_ptrIdEEEENS9_16discard_iteratorINS9_11use_defaultEEEdNS9_4plusIvEEdEEDaPvRmT3_T4_T5_mT6_P12ihipStream_tbENKUlT_T0_E_clISt17integral_constantIbLb1EESX_EEDaSS_ST_EUlSS_E_NS1_11comp_targetILNS1_3genE0ELNS1_11target_archE4294967295ELNS1_3gpuE0ELNS1_3repE0EEENS1_30default_config_static_selectorELNS0_4arch9wavefront6targetE1EEEvT1_, .Lfunc_end4952-_ZN7rocprim17ROCPRIM_400000_NS6detail17trampoline_kernelINS0_14default_configENS1_20scan_config_selectorIdEEZZNS1_9scan_implILNS1_25lookback_scan_determinismE0ELb1ELb1ES3_N6thrust23THRUST_200600_302600_NS6detail15normal_iteratorINS9_10device_ptrIdEEEENS9_16discard_iteratorINS9_11use_defaultEEEdNS9_4plusIvEEdEEDaPvRmT3_T4_T5_mT6_P12ihipStream_tbENKUlT_T0_E_clISt17integral_constantIbLb1EESX_EEDaSS_ST_EUlSS_E_NS1_11comp_targetILNS1_3genE0ELNS1_11target_archE4294967295ELNS1_3gpuE0ELNS1_3repE0EEENS1_30default_config_static_selectorELNS0_4arch9wavefront6targetE1EEEvT1_
                                        ; -- End function
	.section	.AMDGPU.csdata,"",@progbits
; Kernel info:
; codeLenInByte = 0
; NumSgprs: 4
; NumVgprs: 0
; NumAgprs: 0
; TotalNumVgprs: 0
; ScratchSize: 0
; MemoryBound: 0
; FloatMode: 240
; IeeeMode: 1
; LDSByteSize: 0 bytes/workgroup (compile time only)
; SGPRBlocks: 0
; VGPRBlocks: 0
; NumSGPRsForWavesPerEU: 4
; NumVGPRsForWavesPerEU: 1
; AccumOffset: 4
; Occupancy: 8
; WaveLimiterHint : 0
; COMPUTE_PGM_RSRC2:SCRATCH_EN: 0
; COMPUTE_PGM_RSRC2:USER_SGPR: 6
; COMPUTE_PGM_RSRC2:TRAP_HANDLER: 0
; COMPUTE_PGM_RSRC2:TGID_X_EN: 1
; COMPUTE_PGM_RSRC2:TGID_Y_EN: 0
; COMPUTE_PGM_RSRC2:TGID_Z_EN: 0
; COMPUTE_PGM_RSRC2:TIDIG_COMP_CNT: 0
; COMPUTE_PGM_RSRC3_GFX90A:ACCUM_OFFSET: 0
; COMPUTE_PGM_RSRC3_GFX90A:TG_SPLIT: 0
	.section	.text._ZN7rocprim17ROCPRIM_400000_NS6detail17trampoline_kernelINS0_14default_configENS1_20scan_config_selectorIdEEZZNS1_9scan_implILNS1_25lookback_scan_determinismE0ELb1ELb1ES3_N6thrust23THRUST_200600_302600_NS6detail15normal_iteratorINS9_10device_ptrIdEEEENS9_16discard_iteratorINS9_11use_defaultEEEdNS9_4plusIvEEdEEDaPvRmT3_T4_T5_mT6_P12ihipStream_tbENKUlT_T0_E_clISt17integral_constantIbLb1EESX_EEDaSS_ST_EUlSS_E_NS1_11comp_targetILNS1_3genE5ELNS1_11target_archE942ELNS1_3gpuE9ELNS1_3repE0EEENS1_30default_config_static_selectorELNS0_4arch9wavefront6targetE1EEEvT1_,"axG",@progbits,_ZN7rocprim17ROCPRIM_400000_NS6detail17trampoline_kernelINS0_14default_configENS1_20scan_config_selectorIdEEZZNS1_9scan_implILNS1_25lookback_scan_determinismE0ELb1ELb1ES3_N6thrust23THRUST_200600_302600_NS6detail15normal_iteratorINS9_10device_ptrIdEEEENS9_16discard_iteratorINS9_11use_defaultEEEdNS9_4plusIvEEdEEDaPvRmT3_T4_T5_mT6_P12ihipStream_tbENKUlT_T0_E_clISt17integral_constantIbLb1EESX_EEDaSS_ST_EUlSS_E_NS1_11comp_targetILNS1_3genE5ELNS1_11target_archE942ELNS1_3gpuE9ELNS1_3repE0EEENS1_30default_config_static_selectorELNS0_4arch9wavefront6targetE1EEEvT1_,comdat
	.protected	_ZN7rocprim17ROCPRIM_400000_NS6detail17trampoline_kernelINS0_14default_configENS1_20scan_config_selectorIdEEZZNS1_9scan_implILNS1_25lookback_scan_determinismE0ELb1ELb1ES3_N6thrust23THRUST_200600_302600_NS6detail15normal_iteratorINS9_10device_ptrIdEEEENS9_16discard_iteratorINS9_11use_defaultEEEdNS9_4plusIvEEdEEDaPvRmT3_T4_T5_mT6_P12ihipStream_tbENKUlT_T0_E_clISt17integral_constantIbLb1EESX_EEDaSS_ST_EUlSS_E_NS1_11comp_targetILNS1_3genE5ELNS1_11target_archE942ELNS1_3gpuE9ELNS1_3repE0EEENS1_30default_config_static_selectorELNS0_4arch9wavefront6targetE1EEEvT1_ ; -- Begin function _ZN7rocprim17ROCPRIM_400000_NS6detail17trampoline_kernelINS0_14default_configENS1_20scan_config_selectorIdEEZZNS1_9scan_implILNS1_25lookback_scan_determinismE0ELb1ELb1ES3_N6thrust23THRUST_200600_302600_NS6detail15normal_iteratorINS9_10device_ptrIdEEEENS9_16discard_iteratorINS9_11use_defaultEEEdNS9_4plusIvEEdEEDaPvRmT3_T4_T5_mT6_P12ihipStream_tbENKUlT_T0_E_clISt17integral_constantIbLb1EESX_EEDaSS_ST_EUlSS_E_NS1_11comp_targetILNS1_3genE5ELNS1_11target_archE942ELNS1_3gpuE9ELNS1_3repE0EEENS1_30default_config_static_selectorELNS0_4arch9wavefront6targetE1EEEvT1_
	.globl	_ZN7rocprim17ROCPRIM_400000_NS6detail17trampoline_kernelINS0_14default_configENS1_20scan_config_selectorIdEEZZNS1_9scan_implILNS1_25lookback_scan_determinismE0ELb1ELb1ES3_N6thrust23THRUST_200600_302600_NS6detail15normal_iteratorINS9_10device_ptrIdEEEENS9_16discard_iteratorINS9_11use_defaultEEEdNS9_4plusIvEEdEEDaPvRmT3_T4_T5_mT6_P12ihipStream_tbENKUlT_T0_E_clISt17integral_constantIbLb1EESX_EEDaSS_ST_EUlSS_E_NS1_11comp_targetILNS1_3genE5ELNS1_11target_archE942ELNS1_3gpuE9ELNS1_3repE0EEENS1_30default_config_static_selectorELNS0_4arch9wavefront6targetE1EEEvT1_
	.p2align	8
	.type	_ZN7rocprim17ROCPRIM_400000_NS6detail17trampoline_kernelINS0_14default_configENS1_20scan_config_selectorIdEEZZNS1_9scan_implILNS1_25lookback_scan_determinismE0ELb1ELb1ES3_N6thrust23THRUST_200600_302600_NS6detail15normal_iteratorINS9_10device_ptrIdEEEENS9_16discard_iteratorINS9_11use_defaultEEEdNS9_4plusIvEEdEEDaPvRmT3_T4_T5_mT6_P12ihipStream_tbENKUlT_T0_E_clISt17integral_constantIbLb1EESX_EEDaSS_ST_EUlSS_E_NS1_11comp_targetILNS1_3genE5ELNS1_11target_archE942ELNS1_3gpuE9ELNS1_3repE0EEENS1_30default_config_static_selectorELNS0_4arch9wavefront6targetE1EEEvT1_,@function
_ZN7rocprim17ROCPRIM_400000_NS6detail17trampoline_kernelINS0_14default_configENS1_20scan_config_selectorIdEEZZNS1_9scan_implILNS1_25lookback_scan_determinismE0ELb1ELb1ES3_N6thrust23THRUST_200600_302600_NS6detail15normal_iteratorINS9_10device_ptrIdEEEENS9_16discard_iteratorINS9_11use_defaultEEEdNS9_4plusIvEEdEEDaPvRmT3_T4_T5_mT6_P12ihipStream_tbENKUlT_T0_E_clISt17integral_constantIbLb1EESX_EEDaSS_ST_EUlSS_E_NS1_11comp_targetILNS1_3genE5ELNS1_11target_archE942ELNS1_3gpuE9ELNS1_3repE0EEENS1_30default_config_static_selectorELNS0_4arch9wavefront6targetE1EEEvT1_: ; @_ZN7rocprim17ROCPRIM_400000_NS6detail17trampoline_kernelINS0_14default_configENS1_20scan_config_selectorIdEEZZNS1_9scan_implILNS1_25lookback_scan_determinismE0ELb1ELb1ES3_N6thrust23THRUST_200600_302600_NS6detail15normal_iteratorINS9_10device_ptrIdEEEENS9_16discard_iteratorINS9_11use_defaultEEEdNS9_4plusIvEEdEEDaPvRmT3_T4_T5_mT6_P12ihipStream_tbENKUlT_T0_E_clISt17integral_constantIbLb1EESX_EEDaSS_ST_EUlSS_E_NS1_11comp_targetILNS1_3genE5ELNS1_11target_archE942ELNS1_3gpuE9ELNS1_3repE0EEENS1_30default_config_static_selectorELNS0_4arch9wavefront6targetE1EEEvT1_
; %bb.0:
	.section	.rodata,"a",@progbits
	.p2align	6, 0x0
	.amdhsa_kernel _ZN7rocprim17ROCPRIM_400000_NS6detail17trampoline_kernelINS0_14default_configENS1_20scan_config_selectorIdEEZZNS1_9scan_implILNS1_25lookback_scan_determinismE0ELb1ELb1ES3_N6thrust23THRUST_200600_302600_NS6detail15normal_iteratorINS9_10device_ptrIdEEEENS9_16discard_iteratorINS9_11use_defaultEEEdNS9_4plusIvEEdEEDaPvRmT3_T4_T5_mT6_P12ihipStream_tbENKUlT_T0_E_clISt17integral_constantIbLb1EESX_EEDaSS_ST_EUlSS_E_NS1_11comp_targetILNS1_3genE5ELNS1_11target_archE942ELNS1_3gpuE9ELNS1_3repE0EEENS1_30default_config_static_selectorELNS0_4arch9wavefront6targetE1EEEvT1_
		.amdhsa_group_segment_fixed_size 0
		.amdhsa_private_segment_fixed_size 0
		.amdhsa_kernarg_size 112
		.amdhsa_user_sgpr_count 6
		.amdhsa_user_sgpr_private_segment_buffer 1
		.amdhsa_user_sgpr_dispatch_ptr 0
		.amdhsa_user_sgpr_queue_ptr 0
		.amdhsa_user_sgpr_kernarg_segment_ptr 1
		.amdhsa_user_sgpr_dispatch_id 0
		.amdhsa_user_sgpr_flat_scratch_init 0
		.amdhsa_user_sgpr_kernarg_preload_length 0
		.amdhsa_user_sgpr_kernarg_preload_offset 0
		.amdhsa_user_sgpr_private_segment_size 0
		.amdhsa_uses_dynamic_stack 0
		.amdhsa_system_sgpr_private_segment_wavefront_offset 0
		.amdhsa_system_sgpr_workgroup_id_x 1
		.amdhsa_system_sgpr_workgroup_id_y 0
		.amdhsa_system_sgpr_workgroup_id_z 0
		.amdhsa_system_sgpr_workgroup_info 0
		.amdhsa_system_vgpr_workitem_id 0
		.amdhsa_next_free_vgpr 1
		.amdhsa_next_free_sgpr 0
		.amdhsa_accum_offset 4
		.amdhsa_reserve_vcc 0
		.amdhsa_reserve_flat_scratch 0
		.amdhsa_float_round_mode_32 0
		.amdhsa_float_round_mode_16_64 0
		.amdhsa_float_denorm_mode_32 3
		.amdhsa_float_denorm_mode_16_64 3
		.amdhsa_dx10_clamp 1
		.amdhsa_ieee_mode 1
		.amdhsa_fp16_overflow 0
		.amdhsa_tg_split 0
		.amdhsa_exception_fp_ieee_invalid_op 0
		.amdhsa_exception_fp_denorm_src 0
		.amdhsa_exception_fp_ieee_div_zero 0
		.amdhsa_exception_fp_ieee_overflow 0
		.amdhsa_exception_fp_ieee_underflow 0
		.amdhsa_exception_fp_ieee_inexact 0
		.amdhsa_exception_int_div_zero 0
	.end_amdhsa_kernel
	.section	.text._ZN7rocprim17ROCPRIM_400000_NS6detail17trampoline_kernelINS0_14default_configENS1_20scan_config_selectorIdEEZZNS1_9scan_implILNS1_25lookback_scan_determinismE0ELb1ELb1ES3_N6thrust23THRUST_200600_302600_NS6detail15normal_iteratorINS9_10device_ptrIdEEEENS9_16discard_iteratorINS9_11use_defaultEEEdNS9_4plusIvEEdEEDaPvRmT3_T4_T5_mT6_P12ihipStream_tbENKUlT_T0_E_clISt17integral_constantIbLb1EESX_EEDaSS_ST_EUlSS_E_NS1_11comp_targetILNS1_3genE5ELNS1_11target_archE942ELNS1_3gpuE9ELNS1_3repE0EEENS1_30default_config_static_selectorELNS0_4arch9wavefront6targetE1EEEvT1_,"axG",@progbits,_ZN7rocprim17ROCPRIM_400000_NS6detail17trampoline_kernelINS0_14default_configENS1_20scan_config_selectorIdEEZZNS1_9scan_implILNS1_25lookback_scan_determinismE0ELb1ELb1ES3_N6thrust23THRUST_200600_302600_NS6detail15normal_iteratorINS9_10device_ptrIdEEEENS9_16discard_iteratorINS9_11use_defaultEEEdNS9_4plusIvEEdEEDaPvRmT3_T4_T5_mT6_P12ihipStream_tbENKUlT_T0_E_clISt17integral_constantIbLb1EESX_EEDaSS_ST_EUlSS_E_NS1_11comp_targetILNS1_3genE5ELNS1_11target_archE942ELNS1_3gpuE9ELNS1_3repE0EEENS1_30default_config_static_selectorELNS0_4arch9wavefront6targetE1EEEvT1_,comdat
.Lfunc_end4953:
	.size	_ZN7rocprim17ROCPRIM_400000_NS6detail17trampoline_kernelINS0_14default_configENS1_20scan_config_selectorIdEEZZNS1_9scan_implILNS1_25lookback_scan_determinismE0ELb1ELb1ES3_N6thrust23THRUST_200600_302600_NS6detail15normal_iteratorINS9_10device_ptrIdEEEENS9_16discard_iteratorINS9_11use_defaultEEEdNS9_4plusIvEEdEEDaPvRmT3_T4_T5_mT6_P12ihipStream_tbENKUlT_T0_E_clISt17integral_constantIbLb1EESX_EEDaSS_ST_EUlSS_E_NS1_11comp_targetILNS1_3genE5ELNS1_11target_archE942ELNS1_3gpuE9ELNS1_3repE0EEENS1_30default_config_static_selectorELNS0_4arch9wavefront6targetE1EEEvT1_, .Lfunc_end4953-_ZN7rocprim17ROCPRIM_400000_NS6detail17trampoline_kernelINS0_14default_configENS1_20scan_config_selectorIdEEZZNS1_9scan_implILNS1_25lookback_scan_determinismE0ELb1ELb1ES3_N6thrust23THRUST_200600_302600_NS6detail15normal_iteratorINS9_10device_ptrIdEEEENS9_16discard_iteratorINS9_11use_defaultEEEdNS9_4plusIvEEdEEDaPvRmT3_T4_T5_mT6_P12ihipStream_tbENKUlT_T0_E_clISt17integral_constantIbLb1EESX_EEDaSS_ST_EUlSS_E_NS1_11comp_targetILNS1_3genE5ELNS1_11target_archE942ELNS1_3gpuE9ELNS1_3repE0EEENS1_30default_config_static_selectorELNS0_4arch9wavefront6targetE1EEEvT1_
                                        ; -- End function
	.section	.AMDGPU.csdata,"",@progbits
; Kernel info:
; codeLenInByte = 0
; NumSgprs: 4
; NumVgprs: 0
; NumAgprs: 0
; TotalNumVgprs: 0
; ScratchSize: 0
; MemoryBound: 0
; FloatMode: 240
; IeeeMode: 1
; LDSByteSize: 0 bytes/workgroup (compile time only)
; SGPRBlocks: 0
; VGPRBlocks: 0
; NumSGPRsForWavesPerEU: 4
; NumVGPRsForWavesPerEU: 1
; AccumOffset: 4
; Occupancy: 8
; WaveLimiterHint : 0
; COMPUTE_PGM_RSRC2:SCRATCH_EN: 0
; COMPUTE_PGM_RSRC2:USER_SGPR: 6
; COMPUTE_PGM_RSRC2:TRAP_HANDLER: 0
; COMPUTE_PGM_RSRC2:TGID_X_EN: 1
; COMPUTE_PGM_RSRC2:TGID_Y_EN: 0
; COMPUTE_PGM_RSRC2:TGID_Z_EN: 0
; COMPUTE_PGM_RSRC2:TIDIG_COMP_CNT: 0
; COMPUTE_PGM_RSRC3_GFX90A:ACCUM_OFFSET: 0
; COMPUTE_PGM_RSRC3_GFX90A:TG_SPLIT: 0
	.section	.text._ZN7rocprim17ROCPRIM_400000_NS6detail17trampoline_kernelINS0_14default_configENS1_20scan_config_selectorIdEEZZNS1_9scan_implILNS1_25lookback_scan_determinismE0ELb1ELb1ES3_N6thrust23THRUST_200600_302600_NS6detail15normal_iteratorINS9_10device_ptrIdEEEENS9_16discard_iteratorINS9_11use_defaultEEEdNS9_4plusIvEEdEEDaPvRmT3_T4_T5_mT6_P12ihipStream_tbENKUlT_T0_E_clISt17integral_constantIbLb1EESX_EEDaSS_ST_EUlSS_E_NS1_11comp_targetILNS1_3genE4ELNS1_11target_archE910ELNS1_3gpuE8ELNS1_3repE0EEENS1_30default_config_static_selectorELNS0_4arch9wavefront6targetE1EEEvT1_,"axG",@progbits,_ZN7rocprim17ROCPRIM_400000_NS6detail17trampoline_kernelINS0_14default_configENS1_20scan_config_selectorIdEEZZNS1_9scan_implILNS1_25lookback_scan_determinismE0ELb1ELb1ES3_N6thrust23THRUST_200600_302600_NS6detail15normal_iteratorINS9_10device_ptrIdEEEENS9_16discard_iteratorINS9_11use_defaultEEEdNS9_4plusIvEEdEEDaPvRmT3_T4_T5_mT6_P12ihipStream_tbENKUlT_T0_E_clISt17integral_constantIbLb1EESX_EEDaSS_ST_EUlSS_E_NS1_11comp_targetILNS1_3genE4ELNS1_11target_archE910ELNS1_3gpuE8ELNS1_3repE0EEENS1_30default_config_static_selectorELNS0_4arch9wavefront6targetE1EEEvT1_,comdat
	.protected	_ZN7rocprim17ROCPRIM_400000_NS6detail17trampoline_kernelINS0_14default_configENS1_20scan_config_selectorIdEEZZNS1_9scan_implILNS1_25lookback_scan_determinismE0ELb1ELb1ES3_N6thrust23THRUST_200600_302600_NS6detail15normal_iteratorINS9_10device_ptrIdEEEENS9_16discard_iteratorINS9_11use_defaultEEEdNS9_4plusIvEEdEEDaPvRmT3_T4_T5_mT6_P12ihipStream_tbENKUlT_T0_E_clISt17integral_constantIbLb1EESX_EEDaSS_ST_EUlSS_E_NS1_11comp_targetILNS1_3genE4ELNS1_11target_archE910ELNS1_3gpuE8ELNS1_3repE0EEENS1_30default_config_static_selectorELNS0_4arch9wavefront6targetE1EEEvT1_ ; -- Begin function _ZN7rocprim17ROCPRIM_400000_NS6detail17trampoline_kernelINS0_14default_configENS1_20scan_config_selectorIdEEZZNS1_9scan_implILNS1_25lookback_scan_determinismE0ELb1ELb1ES3_N6thrust23THRUST_200600_302600_NS6detail15normal_iteratorINS9_10device_ptrIdEEEENS9_16discard_iteratorINS9_11use_defaultEEEdNS9_4plusIvEEdEEDaPvRmT3_T4_T5_mT6_P12ihipStream_tbENKUlT_T0_E_clISt17integral_constantIbLb1EESX_EEDaSS_ST_EUlSS_E_NS1_11comp_targetILNS1_3genE4ELNS1_11target_archE910ELNS1_3gpuE8ELNS1_3repE0EEENS1_30default_config_static_selectorELNS0_4arch9wavefront6targetE1EEEvT1_
	.globl	_ZN7rocprim17ROCPRIM_400000_NS6detail17trampoline_kernelINS0_14default_configENS1_20scan_config_selectorIdEEZZNS1_9scan_implILNS1_25lookback_scan_determinismE0ELb1ELb1ES3_N6thrust23THRUST_200600_302600_NS6detail15normal_iteratorINS9_10device_ptrIdEEEENS9_16discard_iteratorINS9_11use_defaultEEEdNS9_4plusIvEEdEEDaPvRmT3_T4_T5_mT6_P12ihipStream_tbENKUlT_T0_E_clISt17integral_constantIbLb1EESX_EEDaSS_ST_EUlSS_E_NS1_11comp_targetILNS1_3genE4ELNS1_11target_archE910ELNS1_3gpuE8ELNS1_3repE0EEENS1_30default_config_static_selectorELNS0_4arch9wavefront6targetE1EEEvT1_
	.p2align	8
	.type	_ZN7rocprim17ROCPRIM_400000_NS6detail17trampoline_kernelINS0_14default_configENS1_20scan_config_selectorIdEEZZNS1_9scan_implILNS1_25lookback_scan_determinismE0ELb1ELb1ES3_N6thrust23THRUST_200600_302600_NS6detail15normal_iteratorINS9_10device_ptrIdEEEENS9_16discard_iteratorINS9_11use_defaultEEEdNS9_4plusIvEEdEEDaPvRmT3_T4_T5_mT6_P12ihipStream_tbENKUlT_T0_E_clISt17integral_constantIbLb1EESX_EEDaSS_ST_EUlSS_E_NS1_11comp_targetILNS1_3genE4ELNS1_11target_archE910ELNS1_3gpuE8ELNS1_3repE0EEENS1_30default_config_static_selectorELNS0_4arch9wavefront6targetE1EEEvT1_,@function
_ZN7rocprim17ROCPRIM_400000_NS6detail17trampoline_kernelINS0_14default_configENS1_20scan_config_selectorIdEEZZNS1_9scan_implILNS1_25lookback_scan_determinismE0ELb1ELb1ES3_N6thrust23THRUST_200600_302600_NS6detail15normal_iteratorINS9_10device_ptrIdEEEENS9_16discard_iteratorINS9_11use_defaultEEEdNS9_4plusIvEEdEEDaPvRmT3_T4_T5_mT6_P12ihipStream_tbENKUlT_T0_E_clISt17integral_constantIbLb1EESX_EEDaSS_ST_EUlSS_E_NS1_11comp_targetILNS1_3genE4ELNS1_11target_archE910ELNS1_3gpuE8ELNS1_3repE0EEENS1_30default_config_static_selectorELNS0_4arch9wavefront6targetE1EEEvT1_: ; @_ZN7rocprim17ROCPRIM_400000_NS6detail17trampoline_kernelINS0_14default_configENS1_20scan_config_selectorIdEEZZNS1_9scan_implILNS1_25lookback_scan_determinismE0ELb1ELb1ES3_N6thrust23THRUST_200600_302600_NS6detail15normal_iteratorINS9_10device_ptrIdEEEENS9_16discard_iteratorINS9_11use_defaultEEEdNS9_4plusIvEEdEEDaPvRmT3_T4_T5_mT6_P12ihipStream_tbENKUlT_T0_E_clISt17integral_constantIbLb1EESX_EEDaSS_ST_EUlSS_E_NS1_11comp_targetILNS1_3genE4ELNS1_11target_archE910ELNS1_3gpuE8ELNS1_3repE0EEENS1_30default_config_static_selectorELNS0_4arch9wavefront6targetE1EEEvT1_
; %bb.0:
	s_load_dwordx2 s[24:25], s[4:5], 0x38
	v_cmp_eq_u32_e64 s[0:1], 0, v0
	s_and_saveexec_b64 s[2:3], s[0:1]
	s_cbranch_execz .LBB4954_4
; %bb.1:
	s_mov_b64 s[8:9], exec
	v_mbcnt_lo_u32_b32 v1, s8, 0
	v_mbcnt_hi_u32_b32 v1, s9, v1
	v_cmp_eq_u32_e32 vcc, 0, v1
                                        ; implicit-def: $vgpr2
	s_and_saveexec_b64 s[6:7], vcc
	s_cbranch_execz .LBB4954_3
; %bb.2:
	s_load_dwordx2 s[10:11], s[4:5], 0x68
	s_bcnt1_i32_b64 s8, s[8:9]
	v_mov_b32_e32 v2, 0
	v_mov_b32_e32 v3, s8
	s_waitcnt lgkmcnt(0)
	global_atomic_add v2, v2, v3, s[10:11] glc
.LBB4954_3:
	s_or_b64 exec, exec, s[6:7]
	s_waitcnt vmcnt(0)
	v_readfirstlane_b32 s6, v2
	v_add_u32_e32 v1, s6, v1
	v_mov_b32_e32 v2, 0
	ds_write_b32 v2, v1
.LBB4954_4:
	s_or_b64 exec, exec, s[2:3]
	v_mov_b32_e32 v3, 0
	s_load_dwordx4 s[8:11], s[4:5], 0x0
	s_load_dwordx4 s[20:23], s[4:5], 0x20
	s_load_dword s2, s[4:5], 0x40
	s_load_dwordx8 s[12:19], s[4:5], 0x48
	s_waitcnt lgkmcnt(0)
	s_barrier
	ds_read_b32 v1, v3
	s_lshl_b64 s[4:5], s[10:11], 3
	s_add_u32 s30, s8, s4
	s_addc_u32 s31, s9, s5
	s_movk_i32 s3, 0x500
	s_add_i32 s2, s2, -1
	s_waitcnt lgkmcnt(0)
	v_mul_lo_u32 v2, v1, s3
	s_mul_i32 s3, s2, 0x500
	s_sub_u32 s28, s20, s3
	v_readfirstlane_b32 s33, v1
	s_subb_u32 s29, s21, 0
	v_lshlrev_b64 v[2:3], 3, v[2:3]
	s_cmp_lg_u32 s33, s2
	v_mov_b32_e32 v1, s31
	v_add_co_u32_e32 v36, vcc, s30, v2
	s_cselect_b64 s[20:21], -1, 0
	v_addc_co_u32_e32 v37, vcc, v1, v3, vcc
	s_mov_b64 s[2:3], -1
	s_and_b64 vcc, exec, s[20:21]
	s_barrier
	s_cbranch_vccz .LBB4954_6
; %bb.5:
	v_lshlrev_b32_e32 v1, 3, v0
	v_add_co_u32_e32 v2, vcc, v36, v1
	v_addc_co_u32_e32 v3, vcc, 0, v37, vcc
	v_add_co_u32_e32 v12, vcc, 0x1000, v2
	v_addc_co_u32_e32 v13, vcc, 0, v3, vcc
	flat_load_dwordx2 v[4:5], v[2:3]
	flat_load_dwordx2 v[6:7], v[2:3] offset:1024
	flat_load_dwordx2 v[8:9], v[2:3] offset:2048
	;; [unrolled: 1-line block ×3, first 2 shown]
	v_add_co_u32_e32 v2, vcc, 0x2000, v2
	v_addc_co_u32_e32 v3, vcc, 0, v3, vcc
	flat_load_dwordx2 v[14:15], v[12:13]
	flat_load_dwordx2 v[16:17], v[12:13] offset:1024
	flat_load_dwordx2 v[18:19], v[12:13] offset:2048
	;; [unrolled: 1-line block ×3, first 2 shown]
	s_nop 0
	flat_load_dwordx2 v[12:13], v[2:3]
	flat_load_dwordx2 v[22:23], v[2:3] offset:1024
	s_mov_b64 s[2:3], 0
	s_waitcnt vmcnt(0) lgkmcnt(0)
	ds_write2st64_b64 v1, v[4:5], v[6:7] offset1:2
	ds_write2st64_b64 v1, v[8:9], v[10:11] offset0:4 offset1:6
	ds_write2st64_b64 v1, v[14:15], v[16:17] offset0:8 offset1:10
	;; [unrolled: 1-line block ×4, first 2 shown]
	s_waitcnt lgkmcnt(0)
	s_barrier
.LBB4954_6:
	s_andn2_b64 vcc, exec, s[2:3]
	s_cbranch_vccnz .LBB4954_28
; %bb.7:
	flat_load_dwordx2 v[2:3], v[36:37]
	v_cmp_gt_u32_e32 vcc, s28, v0
	s_waitcnt vmcnt(0) lgkmcnt(0)
	v_mov_b32_e32 v4, v2
	v_mov_b32_e32 v5, v3
	;; [unrolled: 1-line block ×16, first 2 shown]
	v_pk_mov_b32 v[34:35], v[30:31], v[30:31] op_sel:[0,1]
	v_pk_mov_b32 v[32:33], v[28:29], v[28:29] op_sel:[0,1]
	;; [unrolled: 1-line block ×16, first 2 shown]
	s_and_saveexec_b64 s[2:3], vcc
	s_cbranch_execz .LBB4954_9
; %bb.8:
	v_lshlrev_b32_e32 v1, 3, v0
	v_add_co_u32_e32 v4, vcc, v36, v1
	v_addc_co_u32_e32 v5, vcc, 0, v37, vcc
	flat_load_dwordx2 v[38:39], v[4:5]
	v_mov_b32_e32 v4, v2
	v_mov_b32_e32 v5, v3
	;; [unrolled: 1-line block ×16, first 2 shown]
	v_pk_mov_b32 v[34:35], v[30:31], v[30:31] op_sel:[0,1]
	v_pk_mov_b32 v[32:33], v[28:29], v[28:29] op_sel:[0,1]
	;; [unrolled: 1-line block ×16, first 2 shown]
	s_waitcnt vmcnt(0) lgkmcnt(0)
	v_pk_mov_b32 v[2:3], v[38:39], v[38:39] op_sel:[0,1]
.LBB4954_9:
	s_or_b64 exec, exec, s[2:3]
	v_or_b32_e32 v1, 0x80, v0
	v_cmp_gt_u32_e32 vcc, s28, v1
	s_and_saveexec_b64 s[2:3], vcc
	s_cbranch_execz .LBB4954_11
; %bb.10:
	v_lshlrev_b32_e32 v1, 3, v0
	v_add_co_u32_e32 v4, vcc, v36, v1
	v_addc_co_u32_e32 v5, vcc, 0, v37, vcc
	flat_load_dwordx2 v[6:7], v[4:5] offset:1024
.LBB4954_11:
	s_or_b64 exec, exec, s[2:3]
	v_or_b32_e32 v1, 0x100, v0
	v_cmp_gt_u32_e32 vcc, s28, v1
	s_and_saveexec_b64 s[2:3], vcc
	s_cbranch_execz .LBB4954_13
; %bb.12:
	v_lshlrev_b32_e32 v1, 3, v0
	v_add_co_u32_e32 v4, vcc, v36, v1
	v_addc_co_u32_e32 v5, vcc, 0, v37, vcc
	flat_load_dwordx2 v[8:9], v[4:5] offset:2048
.LBB4954_13:
	;; [unrolled: 11-line block ×3, first 2 shown]
	s_or_b64 exec, exec, s[2:3]
	v_or_b32_e32 v1, 0x200, v0
	v_cmp_gt_u32_e32 vcc, s28, v1
	s_and_saveexec_b64 s[2:3], vcc
	s_cbranch_execz .LBB4954_17
; %bb.16:
	v_lshlrev_b32_e32 v1, 3, v1
	v_add_co_u32_e32 v4, vcc, v36, v1
	v_addc_co_u32_e32 v5, vcc, 0, v37, vcc
	flat_load_dwordx2 v[12:13], v[4:5]
.LBB4954_17:
	s_or_b64 exec, exec, s[2:3]
	v_or_b32_e32 v1, 0x280, v0
	v_cmp_gt_u32_e32 vcc, s28, v1
	s_and_saveexec_b64 s[2:3], vcc
	s_cbranch_execz .LBB4954_19
; %bb.18:
	v_lshlrev_b32_e32 v1, 3, v1
	v_add_co_u32_e32 v4, vcc, v36, v1
	v_addc_co_u32_e32 v5, vcc, 0, v37, vcc
	flat_load_dwordx2 v[14:15], v[4:5]
.LBB4954_19:
	s_or_b64 exec, exec, s[2:3]
	v_or_b32_e32 v1, 0x300, v0
	v_cmp_gt_u32_e32 vcc, s28, v1
	s_and_saveexec_b64 s[2:3], vcc
	s_cbranch_execz .LBB4954_21
; %bb.20:
	v_lshlrev_b32_e32 v1, 3, v1
	v_add_co_u32_e32 v4, vcc, v36, v1
	v_addc_co_u32_e32 v5, vcc, 0, v37, vcc
	flat_load_dwordx2 v[16:17], v[4:5]
.LBB4954_21:
	s_or_b64 exec, exec, s[2:3]
	v_or_b32_e32 v1, 0x380, v0
	v_cmp_gt_u32_e32 vcc, s28, v1
	s_and_saveexec_b64 s[2:3], vcc
	s_cbranch_execz .LBB4954_23
; %bb.22:
	v_lshlrev_b32_e32 v1, 3, v1
	v_add_co_u32_e32 v4, vcc, v36, v1
	v_addc_co_u32_e32 v5, vcc, 0, v37, vcc
	flat_load_dwordx2 v[18:19], v[4:5]
.LBB4954_23:
	s_or_b64 exec, exec, s[2:3]
	v_or_b32_e32 v1, 0x400, v0
	v_cmp_gt_u32_e32 vcc, s28, v1
	s_and_saveexec_b64 s[2:3], vcc
	s_cbranch_execz .LBB4954_25
; %bb.24:
	v_lshlrev_b32_e32 v1, 3, v1
	v_add_co_u32_e32 v4, vcc, v36, v1
	v_addc_co_u32_e32 v5, vcc, 0, v37, vcc
	flat_load_dwordx2 v[20:21], v[4:5]
.LBB4954_25:
	s_or_b64 exec, exec, s[2:3]
	v_or_b32_e32 v1, 0x480, v0
	v_cmp_gt_u32_e32 vcc, s28, v1
	s_and_saveexec_b64 s[2:3], vcc
	s_cbranch_execz .LBB4954_27
; %bb.26:
	v_lshlrev_b32_e32 v1, 3, v1
	v_add_co_u32_e32 v4, vcc, v36, v1
	v_addc_co_u32_e32 v5, vcc, 0, v37, vcc
	flat_load_dwordx2 v[22:23], v[4:5]
.LBB4954_27:
	s_or_b64 exec, exec, s[2:3]
	v_lshlrev_b32_e32 v1, 3, v0
	s_waitcnt vmcnt(0) lgkmcnt(0)
	ds_write2st64_b64 v1, v[2:3], v[6:7] offset1:2
	ds_write2st64_b64 v1, v[8:9], v[10:11] offset0:4 offset1:6
	ds_write2st64_b64 v1, v[12:13], v[14:15] offset0:8 offset1:10
	;; [unrolled: 1-line block ×4, first 2 shown]
	s_waitcnt lgkmcnt(0)
	s_barrier
.LBB4954_28:
	v_mul_u32_u24_e32 v44, 10, v0
	v_lshlrev_b32_e32 v45, 3, v44
	ds_read_b128 v[14:17], v45
	ds_read_b128 v[10:13], v45 offset:16
	ds_read_b128 v[6:9], v45 offset:32
	;; [unrolled: 1-line block ×4, first 2 shown]
	s_waitcnt lgkmcnt(4)
	v_add_f64 v[22:23], v[14:15], v[16:17]
	s_cmp_lg_u32 s33, 0
	s_waitcnt lgkmcnt(3)
	v_add_f64 v[42:43], v[10:11], v[22:23]
	v_mbcnt_lo_u32_b32 v1, -1, 0
	s_waitcnt lgkmcnt(0)
	s_barrier
	s_cbranch_scc0 .LBB4954_61
; %bb.29:
	v_add_f64 v[22:23], v[12:13], v[42:43]
	v_add_f64 v[22:23], v[6:7], v[22:23]
	;; [unrolled: 1-line block ×7, first 2 shown]
	v_mbcnt_hi_u32_b32 v33, -1, v1
	v_and_b32_e32 v28, 15, v33
	v_mov_b32_dpp v24, v22 row_shr:1 row_mask:0xf bank_mask:0xf
	v_mov_b32_dpp v25, v23 row_shr:1 row_mask:0xf bank_mask:0xf
	v_add_f64 v[24:25], v[22:23], v[24:25]
	v_cmp_eq_u32_e32 vcc, 0, v28
	v_cndmask_b32_e32 v24, v24, v22, vcc
	v_cndmask_b32_e32 v25, v25, v23, vcc
	v_cmp_lt_u32_e32 vcc, 1, v28
	v_mov_b32_dpp v26, v24 row_shr:2 row_mask:0xf bank_mask:0xf
	v_mov_b32_dpp v27, v25 row_shr:2 row_mask:0xf bank_mask:0xf
	v_add_f64 v[26:27], v[24:25], v[26:27]
	v_cndmask_b32_e32 v24, v24, v26, vcc
	v_cndmask_b32_e32 v25, v25, v27, vcc
	v_cmp_lt_u32_e32 vcc, 3, v28
	v_mov_b32_dpp v26, v24 row_shr:4 row_mask:0xf bank_mask:0xf
	v_mov_b32_dpp v27, v25 row_shr:4 row_mask:0xf bank_mask:0xf
	v_add_f64 v[26:27], v[24:25], v[26:27]
	;; [unrolled: 6-line block ×3, first 2 shown]
	v_cndmask_b32_e32 v24, v24, v26, vcc
	v_cndmask_b32_e32 v25, v25, v27, vcc
	v_and_b32_e32 v30, 16, v33
	v_mov_b32_dpp v26, v24 row_bcast:15 row_mask:0xf bank_mask:0xf
	v_mov_b32_dpp v27, v25 row_bcast:15 row_mask:0xf bank_mask:0xf
	v_add_f64 v[28:29], v[24:25], v[26:27]
	v_cmp_eq_u32_e32 vcc, 0, v30
	v_cndmask_b32_e32 v27, v29, v25, vcc
	v_cndmask_b32_e32 v26, v28, v24, vcc
	v_cmp_eq_u32_e64 s[2:3], 0, v33
	v_mov_b32_dpp v27, v27 row_bcast:31 row_mask:0xf bank_mask:0xf
	v_mov_b32_dpp v26, v26 row_bcast:31 row_mask:0xf bank_mask:0xf
	v_cmp_ne_u32_e64 s[4:5], 0, v33
	s_and_saveexec_b64 s[6:7], s[4:5]
; %bb.30:
	v_cndmask_b32_e32 v23, v29, v25, vcc
	v_cndmask_b32_e32 v22, v28, v24, vcc
	v_add_f64 v[24:25], v[22:23], v[26:27]
	v_cmp_lt_u32_e32 vcc, 31, v33
	v_cndmask_b32_e32 v23, v23, v25, vcc
	v_cndmask_b32_e32 v22, v22, v24, vcc
; %bb.31:
	s_or_b64 exec, exec, s[6:7]
	v_or_b32_e32 v25, 63, v0
	v_lshrrev_b32_e32 v24, 6, v0
	v_cmp_eq_u32_e32 vcc, v25, v0
	s_and_saveexec_b64 s[4:5], vcc
	s_cbranch_execz .LBB4954_33
; %bb.32:
	v_lshlrev_b32_e32 v25, 3, v24
	ds_write_b64 v25, v[22:23]
.LBB4954_33:
	s_or_b64 exec, exec, s[4:5]
	v_cmp_gt_u32_e32 vcc, 2, v0
	s_waitcnt lgkmcnt(0)
	s_barrier
	s_and_saveexec_b64 s[4:5], vcc
	s_cbranch_execz .LBB4954_35
; %bb.34:
	v_lshlrev_b32_e32 v25, 3, v0
	ds_read_b64 v[26:27], v25
	v_and_b32_e32 v30, 1, v33
	v_cmp_eq_u32_e32 vcc, 0, v30
	s_waitcnt lgkmcnt(0)
	v_mov_b32_dpp v28, v26 row_shr:1 row_mask:0xf bank_mask:0xf
	v_mov_b32_dpp v29, v27 row_shr:1 row_mask:0xf bank_mask:0xf
	v_add_f64 v[28:29], v[26:27], v[28:29]
	v_cndmask_b32_e32 v27, v29, v27, vcc
	v_cndmask_b32_e32 v26, v28, v26, vcc
	ds_write_b64 v25, v[26:27]
.LBB4954_35:
	s_or_b64 exec, exec, s[4:5]
	v_cmp_gt_u32_e32 vcc, 64, v0
	v_cmp_lt_u32_e64 s[4:5], 63, v0
	s_waitcnt lgkmcnt(0)
	s_barrier
	s_waitcnt lgkmcnt(0)
                                        ; implicit-def: $vgpr30_vgpr31
	s_and_saveexec_b64 s[6:7], s[4:5]
	s_cbranch_execz .LBB4954_37
; %bb.36:
	v_lshl_add_u32 v24, v24, 3, -8
	ds_read_b64 v[30:31], v24
	s_waitcnt lgkmcnt(0)
	v_add_f64 v[22:23], v[22:23], v[30:31]
.LBB4954_37:
	s_or_b64 exec, exec, s[6:7]
	v_add_u32_e32 v24, -1, v33
	v_and_b32_e32 v25, 64, v33
	v_cmp_lt_i32_e64 s[4:5], v24, v25
	v_cndmask_b32_e64 v24, v24, v33, s[4:5]
	v_lshlrev_b32_e32 v24, 2, v24
	ds_bpermute_b32 v38, v24, v22
	ds_bpermute_b32 v39, v24, v23
	s_and_saveexec_b64 s[26:27], vcc
	s_cbranch_execz .LBB4954_60
; %bb.38:
	v_mov_b32_e32 v25, 0
	ds_read_b64 v[22:23], v25 offset:8
	s_and_saveexec_b64 s[4:5], s[2:3]
	s_cbranch_execz .LBB4954_40
; %bb.39:
	s_add_i32 s6, s33, 64
	s_mov_b32 s7, 0
	s_lshl_b64 s[6:7], s[6:7], 4
	s_add_u32 s6, s24, s6
	s_addc_u32 s7, s25, s7
	v_mov_b32_e32 v24, 1
	v_pk_mov_b32 v[26:27], s[6:7], s[6:7] op_sel:[0,1]
	s_waitcnt lgkmcnt(0)
	;;#ASMSTART
	global_store_dwordx4 v[26:27], v[22:25] off	
s_waitcnt vmcnt(0)
	;;#ASMEND
.LBB4954_40:
	s_or_b64 exec, exec, s[4:5]
	v_xad_u32 v32, v33, -1, s33
	v_add_u32_e32 v24, 64, v32
	v_lshlrev_b64 v[26:27], 4, v[24:25]
	v_mov_b32_e32 v24, s25
	v_add_co_u32_e32 v34, vcc, s24, v26
	v_addc_co_u32_e32 v35, vcc, v24, v27, vcc
	;;#ASMSTART
	global_load_dwordx4 v[26:29], v[34:35] off glc	
s_waitcnt vmcnt(0)
	;;#ASMEND
	v_and_b32_e32 v24, 0xff, v27
	v_and_b32_e32 v29, 0xff00, v27
	v_or3_b32 v24, 0, v24, v29
	v_or3_b32 v26, v26, 0, 0
	v_and_b32_e32 v29, 0xff000000, v27
	v_and_b32_e32 v27, 0xff0000, v27
	v_or3_b32 v27, v24, v27, v29
	v_or3_b32 v26, v26, 0, 0
	v_cmp_eq_u16_sdwa s[6:7], v28, v25 src0_sel:BYTE_0 src1_sel:DWORD
	s_and_saveexec_b64 s[4:5], s[6:7]
	s_cbranch_execz .LBB4954_46
; %bb.41:
	s_mov_b32 s8, 1
	s_mov_b64 s[6:7], 0
	v_mov_b32_e32 v24, 0
.LBB4954_42:                            ; =>This Loop Header: Depth=1
                                        ;     Child Loop BB4954_43 Depth 2
	s_max_u32 s9, s8, 1
.LBB4954_43:                            ;   Parent Loop BB4954_42 Depth=1
                                        ; =>  This Inner Loop Header: Depth=2
	s_add_i32 s9, s9, -1
	s_cmp_eq_u32 s9, 0
	s_sleep 1
	s_cbranch_scc0 .LBB4954_43
; %bb.44:                               ;   in Loop: Header=BB4954_42 Depth=1
	s_cmp_lt_u32 s8, 32
	s_cselect_b64 s[10:11], -1, 0
	s_cmp_lg_u64 s[10:11], 0
	s_addc_u32 s8, s8, 0
	;;#ASMSTART
	global_load_dwordx4 v[26:29], v[34:35] off glc	
s_waitcnt vmcnt(0)
	;;#ASMEND
	v_cmp_ne_u16_sdwa s[10:11], v28, v24 src0_sel:BYTE_0 src1_sel:DWORD
	s_or_b64 s[6:7], s[10:11], s[6:7]
	s_andn2_b64 exec, exec, s[6:7]
	s_cbranch_execnz .LBB4954_42
; %bb.45:
	s_or_b64 exec, exec, s[6:7]
.LBB4954_46:
	s_or_b64 exec, exec, s[4:5]
	v_and_b32_e32 v41, 63, v33
	v_cmp_ne_u32_e32 vcc, 63, v41
	v_mov_b32_e32 v40, 2
	v_addc_co_u32_e32 v34, vcc, 0, v33, vcc
	v_cmp_eq_u16_sdwa s[4:5], v28, v40 src0_sel:BYTE_0 src1_sel:DWORD
	v_lshlrev_b64 v[24:25], v33, -1
	v_lshlrev_b32_e32 v46, 2, v34
	v_and_b32_e32 v29, s5, v25
	ds_bpermute_b32 v34, v46, v26
	ds_bpermute_b32 v35, v46, v27
	v_or_b32_e32 v29, 0x80000000, v29
	v_and_b32_e32 v36, s4, v24
	v_ffbl_b32_e32 v29, v29
	v_add_u32_e32 v29, 32, v29
	v_ffbl_b32_e32 v36, v36
	v_cmp_gt_u32_e64 s[4:5], 62, v41
	v_min_u32_e32 v29, v36, v29
	v_cndmask_b32_e64 v36, 0, 1, s[4:5]
	s_waitcnt lgkmcnt(0)
	v_add_f64 v[34:35], v[26:27], v[34:35]
	v_cmp_lt_u32_e32 vcc, v41, v29
	v_lshlrev_b32_e32 v36, 1, v36
	v_cndmask_b32_e32 v34, v26, v34, vcc
	v_cndmask_b32_e32 v35, v27, v35, vcc
	v_add_lshl_u32 v47, v36, v33, 2
	ds_bpermute_b32 v36, v47, v34
	ds_bpermute_b32 v37, v47, v35
	v_add_u32_e32 v48, 2, v41
	v_cmp_gt_u32_e64 s[4:5], v48, v29
	v_cmp_gt_u32_e64 s[6:7], 56, v41
	v_add_u32_e32 v50, 4, v41
	s_waitcnt lgkmcnt(0)
	v_add_f64 v[36:37], v[34:35], v[36:37]
	v_cndmask_b32_e64 v34, v36, v34, s[4:5]
	v_cndmask_b32_e64 v35, v37, v35, s[4:5]
	v_cmp_gt_u32_e64 s[4:5], 60, v41
	v_cndmask_b32_e64 v36, 0, 1, s[4:5]
	v_lshlrev_b32_e32 v36, 2, v36
	v_add_lshl_u32 v49, v36, v33, 2
	ds_bpermute_b32 v36, v49, v34
	ds_bpermute_b32 v37, v49, v35
	v_cndmask_b32_e64 v51, 0, 1, s[6:7]
	v_cmp_gt_u32_e64 s[4:5], v50, v29
	v_lshlrev_b32_e32 v51, 3, v51
	v_add_lshl_u32 v51, v51, v33, 2
	s_waitcnt lgkmcnt(0)
	v_add_f64 v[36:37], v[34:35], v[36:37]
	v_cndmask_b32_e64 v54, v36, v34, s[4:5]
	v_cndmask_b32_e64 v55, v37, v35, s[4:5]
	ds_bpermute_b32 v56, v51, v54
	ds_bpermute_b32 v57, v51, v55
	v_cmp_gt_u32_e64 s[8:9], 48, v41
	v_add_u32_e32 v52, 8, v41
	v_cndmask_b32_e64 v53, 0, 1, s[8:9]
	v_cmp_gt_u32_e64 s[6:7], v52, v29
	s_waitcnt lgkmcnt(0)
	v_add_f64 v[58:59], v[54:55], v[56:57]
	v_lshlrev_b32_e32 v53, 4, v53
	v_cndmask_b32_e64 v56, v58, v54, s[6:7]
	v_cndmask_b32_e64 v57, v59, v55, s[6:7]
	v_add_lshl_u32 v53, v53, v33, 2
	ds_bpermute_b32 v60, v53, v56
	ds_bpermute_b32 v61, v53, v57
	v_cmp_gt_u32_e64 s[10:11], 32, v41
	v_add_u32_e32 v54, 16, v41
	v_cndmask_b32_e64 v55, 0, 1, s[10:11]
	v_cmp_gt_u32_e64 s[8:9], v54, v29
	s_waitcnt lgkmcnt(0)
	v_add_f64 v[60:61], v[56:57], v[60:61]
	v_lshlrev_b32_e32 v55, 5, v55
	v_cndmask_b32_e64 v62, v60, v56, s[8:9]
	v_add_lshl_u32 v55, v55, v33, 2
	v_cndmask_b32_e64 v63, v61, v57, s[8:9]
	ds_bpermute_b32 v64, v55, v62
	ds_bpermute_b32 v65, v55, v63
	v_cndmask_b32_e32 v27, v27, v35, vcc
	v_cndmask_b32_e32 v26, v26, v34, vcc
	v_cndmask_b32_e64 v26, v36, v26, s[4:5]
	v_cndmask_b32_e64 v27, v37, v27, s[4:5]
	v_add_u32_e32 v56, 32, v41
	v_cndmask_b32_e64 v27, v59, v27, s[6:7]
	v_cndmask_b32_e64 v26, v58, v26, s[6:7]
	s_waitcnt lgkmcnt(0)
	v_add_f64 v[62:63], v[62:63], v[64:65]
	v_cndmask_b32_e64 v26, v60, v26, s[8:9]
	v_cndmask_b32_e64 v27, v61, v27, s[8:9]
	v_cmp_gt_u32_e32 vcc, v56, v29
	v_cndmask_b32_e32 v27, v63, v27, vcc
	v_cndmask_b32_e32 v26, v62, v26, vcc
	v_mov_b32_e32 v33, 0
	s_branch .LBB4954_48
.LBB4954_47:                            ;   in Loop: Header=BB4954_48 Depth=1
	s_or_b64 exec, exec, s[4:5]
	v_cmp_eq_u16_sdwa s[4:5], v28, v40 src0_sel:BYTE_0 src1_sel:DWORD
	v_and_b32_e32 v29, s5, v25
	ds_bpermute_b32 v36, v46, v26
	ds_bpermute_b32 v37, v46, v27
	v_or_b32_e32 v29, 0x80000000, v29
	v_and_b32_e32 v57, s4, v24
	v_ffbl_b32_e32 v29, v29
	v_add_u32_e32 v29, 32, v29
	v_ffbl_b32_e32 v57, v57
	v_min_u32_e32 v29, v57, v29
	s_waitcnt lgkmcnt(0)
	v_add_f64 v[36:37], v[26:27], v[36:37]
	v_cmp_lt_u32_e32 vcc, v41, v29
	v_cndmask_b32_e32 v36, v26, v36, vcc
	v_cndmask_b32_e32 v37, v27, v37, vcc
	ds_bpermute_b32 v58, v47, v36
	ds_bpermute_b32 v59, v47, v37
	v_cmp_gt_u32_e64 s[4:5], v48, v29
	v_cmp_gt_u32_e64 s[6:7], v52, v29
	;; [unrolled: 1-line block ×3, first 2 shown]
	v_subrev_u32_e32 v32, 64, v32
	s_waitcnt lgkmcnt(0)
	v_add_f64 v[58:59], v[36:37], v[58:59]
	v_cndmask_b32_e64 v36, v58, v36, s[4:5]
	v_cndmask_b32_e64 v37, v59, v37, s[4:5]
	ds_bpermute_b32 v58, v49, v36
	ds_bpermute_b32 v59, v49, v37
	v_cmp_gt_u32_e64 s[4:5], v50, v29
	v_cndmask_b32_e32 v27, v27, v37, vcc
	v_cndmask_b32_e32 v26, v26, v36, vcc
	v_cmp_gt_u32_e32 vcc, v56, v29
	s_waitcnt lgkmcnt(0)
	v_add_f64 v[58:59], v[36:37], v[58:59]
	v_cndmask_b32_e64 v60, v58, v36, s[4:5]
	v_cndmask_b32_e64 v61, v59, v37, s[4:5]
	ds_bpermute_b32 v62, v51, v60
	ds_bpermute_b32 v63, v51, v61
	v_cndmask_b32_e64 v26, v58, v26, s[4:5]
	v_cndmask_b32_e64 v27, v59, v27, s[4:5]
	s_waitcnt lgkmcnt(0)
	v_add_f64 v[62:63], v[60:61], v[62:63]
	v_cndmask_b32_e64 v60, v62, v60, s[6:7]
	v_cndmask_b32_e64 v61, v63, v61, s[6:7]
	ds_bpermute_b32 v64, v53, v60
	ds_bpermute_b32 v65, v53, v61
	v_cndmask_b32_e64 v27, v63, v27, s[6:7]
	v_cndmask_b32_e64 v26, v62, v26, s[6:7]
	;; [unrolled: 8-line block ×3, first 2 shown]
	s_waitcnt lgkmcnt(0)
	v_add_f64 v[60:61], v[60:61], v[66:67]
	v_cndmask_b32_e32 v27, v61, v27, vcc
	v_cndmask_b32_e32 v26, v60, v26, vcc
	v_add_f64 v[26:27], v[34:35], v[26:27]
.LBB4954_48:                            ; =>This Loop Header: Depth=1
                                        ;     Child Loop BB4954_51 Depth 2
                                        ;       Child Loop BB4954_52 Depth 3
	v_cmp_ne_u16_sdwa s[4:5], v28, v40 src0_sel:BYTE_0 src1_sel:DWORD
	v_cndmask_b32_e64 v28, 0, 1, s[4:5]
	;;#ASMSTART
	;;#ASMEND
	v_cmp_ne_u32_e32 vcc, 0, v28
	s_cmp_lg_u64 vcc, exec
	v_pk_mov_b32 v[34:35], v[26:27], v[26:27] op_sel:[0,1]
	s_cbranch_scc1 .LBB4954_55
; %bb.49:                               ;   in Loop: Header=BB4954_48 Depth=1
	v_lshlrev_b64 v[26:27], 4, v[32:33]
	v_mov_b32_e32 v28, s25
	v_add_co_u32_e32 v36, vcc, s24, v26
	v_addc_co_u32_e32 v37, vcc, v28, v27, vcc
	;;#ASMSTART
	global_load_dwordx4 v[26:29], v[36:37] off glc	
s_waitcnt vmcnt(0)
	;;#ASMEND
	v_and_b32_e32 v29, 0xff, v27
	v_and_b32_e32 v57, 0xff00, v27
	v_or3_b32 v29, 0, v29, v57
	v_or3_b32 v26, v26, 0, 0
	v_and_b32_e32 v57, 0xff000000, v27
	v_and_b32_e32 v27, 0xff0000, v27
	v_or3_b32 v27, v29, v27, v57
	v_or3_b32 v26, v26, 0, 0
	v_cmp_eq_u16_sdwa s[6:7], v28, v33 src0_sel:BYTE_0 src1_sel:DWORD
	s_and_saveexec_b64 s[4:5], s[6:7]
	s_cbranch_execz .LBB4954_47
; %bb.50:                               ;   in Loop: Header=BB4954_48 Depth=1
	s_mov_b32 s8, 1
	s_mov_b64 s[6:7], 0
.LBB4954_51:                            ;   Parent Loop BB4954_48 Depth=1
                                        ; =>  This Loop Header: Depth=2
                                        ;       Child Loop BB4954_52 Depth 3
	s_max_u32 s9, s8, 1
.LBB4954_52:                            ;   Parent Loop BB4954_48 Depth=1
                                        ;     Parent Loop BB4954_51 Depth=2
                                        ; =>    This Inner Loop Header: Depth=3
	s_add_i32 s9, s9, -1
	s_cmp_eq_u32 s9, 0
	s_sleep 1
	s_cbranch_scc0 .LBB4954_52
; %bb.53:                               ;   in Loop: Header=BB4954_51 Depth=2
	s_cmp_lt_u32 s8, 32
	s_cselect_b64 s[10:11], -1, 0
	s_cmp_lg_u64 s[10:11], 0
	s_addc_u32 s8, s8, 0
	;;#ASMSTART
	global_load_dwordx4 v[26:29], v[36:37] off glc	
s_waitcnt vmcnt(0)
	;;#ASMEND
	v_cmp_ne_u16_sdwa s[10:11], v28, v33 src0_sel:BYTE_0 src1_sel:DWORD
	s_or_b64 s[6:7], s[10:11], s[6:7]
	s_andn2_b64 exec, exec, s[6:7]
	s_cbranch_execnz .LBB4954_51
; %bb.54:                               ;   in Loop: Header=BB4954_48 Depth=1
	s_or_b64 exec, exec, s[6:7]
	s_branch .LBB4954_47
.LBB4954_55:                            ;   in Loop: Header=BB4954_48 Depth=1
                                        ; implicit-def: $vgpr26_vgpr27
                                        ; implicit-def: $vgpr28
	s_cbranch_execz .LBB4954_48
; %bb.56:
	s_and_saveexec_b64 s[4:5], s[2:3]
	s_cbranch_execz .LBB4954_58
; %bb.57:
	s_add_i32 s6, s33, 64
	s_mov_b32 s7, 0
	s_lshl_b64 s[6:7], s[6:7], 4
	s_add_u32 s6, s24, s6
	s_addc_u32 s7, s25, s7
	v_add_f64 v[22:23], v[22:23], v[34:35]
	v_mov_b32_e32 v24, 2
	v_mov_b32_e32 v25, 0
	v_pk_mov_b32 v[26:27], s[6:7], s[6:7] op_sel:[0,1]
	;;#ASMSTART
	global_store_dwordx4 v[26:27], v[22:25] off	
s_waitcnt vmcnt(0)
	;;#ASMEND
.LBB4954_58:
	s_or_b64 exec, exec, s[4:5]
	s_and_b64 exec, exec, s[0:1]
	s_cbranch_execz .LBB4954_60
; %bb.59:
	v_mov_b32_e32 v22, 0
	ds_write_b64 v22, v[34:35] offset:8
.LBB4954_60:
	s_or_b64 exec, exec, s[26:27]
	v_mov_b32_e32 v22, 0
	s_waitcnt lgkmcnt(0)
	s_barrier
	ds_read_b64 v[22:23], v22 offset:8
	v_cndmask_b32_e64 v25, v39, v31, s[2:3]
	v_cndmask_b32_e64 v24, v38, v30, s[2:3]
	s_waitcnt lgkmcnt(0)
	v_add_f64 v[24:25], v[24:25], v[22:23]
	v_cndmask_b32_e64 v31, v25, v23, s[0:1]
	v_cndmask_b32_e64 v30, v24, v22, s[0:1]
	v_add_f64 v[32:33], v[14:15], v[30:31]
	v_add_f64 v[38:39], v[16:17], v[32:33]
	;; [unrolled: 1-line block ×9, first 2 shown]
	s_branch .LBB4954_75
.LBB4954_61:
                                        ; implicit-def: $vgpr24_vgpr25
                                        ; implicit-def: $vgpr28_vgpr29
                                        ; implicit-def: $vgpr36_vgpr37
                                        ; implicit-def: $vgpr40_vgpr41
                                        ; implicit-def: $vgpr32_vgpr33
	s_cbranch_execz .LBB4954_75
; %bb.62:
	s_cmp_eq_u64 s[16:17], 0
	v_pk_mov_b32 v[24:25], s[22:23], s[22:23] op_sel:[0,1]
	s_cbranch_scc1 .LBB4954_64
; %bb.63:
	v_mov_b32_e32 v23, s31
	v_add_co_u32_e64 v22, vcc, -8, s30
	v_addc_co_u32_e32 v23, vcc, -1, v23, vcc
	v_mov_b32_e32 v28, 0
	flat_load_dwordx2 v[24:25], v[22:23]
	global_load_dwordx2 v[26:27], v28, s[12:13]
	s_waitcnt vmcnt(0) lgkmcnt(0)
	v_add_f64 v[24:25], v[24:25], v[26:27]
.LBB4954_64:
	v_add_f64 v[22:23], v[12:13], v[42:43]
	v_add_f64 v[22:23], v[6:7], v[22:23]
	;; [unrolled: 1-line block ×7, first 2 shown]
	v_mbcnt_hi_u32_b32 v1, -1, v1
	v_and_b32_e32 v28, 15, v1
	v_mov_b32_dpp v22, v20 row_shr:1 row_mask:0xf bank_mask:0xf
	v_mov_b32_dpp v23, v21 row_shr:1 row_mask:0xf bank_mask:0xf
	v_add_f64 v[22:23], v[20:21], v[22:23]
	v_cmp_eq_u32_e32 vcc, 0, v28
	v_cndmask_b32_e32 v22, v22, v20, vcc
	v_cndmask_b32_e32 v23, v23, v21, vcc
	v_cmp_lt_u32_e32 vcc, 1, v28
	v_mov_b32_dpp v26, v22 row_shr:2 row_mask:0xf bank_mask:0xf
	v_mov_b32_dpp v27, v23 row_shr:2 row_mask:0xf bank_mask:0xf
	v_add_f64 v[26:27], v[22:23], v[26:27]
	v_cndmask_b32_e32 v22, v22, v26, vcc
	v_cndmask_b32_e32 v23, v23, v27, vcc
	v_cmp_lt_u32_e32 vcc, 3, v28
	v_mov_b32_dpp v26, v22 row_shr:4 row_mask:0xf bank_mask:0xf
	v_mov_b32_dpp v27, v23 row_shr:4 row_mask:0xf bank_mask:0xf
	v_add_f64 v[26:27], v[22:23], v[26:27]
	;; [unrolled: 6-line block ×3, first 2 shown]
	v_cndmask_b32_e32 v22, v22, v26, vcc
	v_cndmask_b32_e32 v23, v23, v27, vcc
	v_and_b32_e32 v30, 16, v1
	v_mov_b32_dpp v26, v22 row_bcast:15 row_mask:0xf bank_mask:0xf
	v_mov_b32_dpp v27, v23 row_bcast:15 row_mask:0xf bank_mask:0xf
	v_add_f64 v[28:29], v[22:23], v[26:27]
	v_cmp_eq_u32_e64 s[2:3], 0, v30
	v_cndmask_b32_e64 v27, v29, v23, s[2:3]
	v_cndmask_b32_e64 v26, v28, v22, s[2:3]
	v_cmp_eq_u32_e32 vcc, 0, v1
	v_mov_b32_dpp v27, v27 row_bcast:31 row_mask:0xf bank_mask:0xf
	v_mov_b32_dpp v26, v26 row_bcast:31 row_mask:0xf bank_mask:0xf
	v_cmp_ne_u32_e64 s[4:5], 0, v1
	s_and_saveexec_b64 s[6:7], s[4:5]
; %bb.65:
	v_cndmask_b32_e64 v21, v29, v23, s[2:3]
	v_cndmask_b32_e64 v20, v28, v22, s[2:3]
	v_add_f64 v[22:23], v[20:21], v[26:27]
	v_cmp_lt_u32_e64 s[2:3], 31, v1
	v_cndmask_b32_e64 v21, v21, v23, s[2:3]
	v_cndmask_b32_e64 v20, v20, v22, s[2:3]
; %bb.66:
	s_or_b64 exec, exec, s[6:7]
	v_or_b32_e32 v22, 63, v0
	v_lshrrev_b32_e32 v26, 6, v0
	v_cmp_eq_u32_e64 s[2:3], v22, v0
	s_and_saveexec_b64 s[4:5], s[2:3]
	s_cbranch_execz .LBB4954_68
; %bb.67:
	v_lshlrev_b32_e32 v22, 3, v26
	ds_write_b64 v22, v[20:21]
.LBB4954_68:
	s_or_b64 exec, exec, s[4:5]
	v_cmp_gt_u32_e64 s[2:3], 2, v0
	s_waitcnt lgkmcnt(0)
	s_barrier
	s_and_saveexec_b64 s[4:5], s[2:3]
	s_cbranch_execz .LBB4954_70
; %bb.69:
	s_movk_i32 s2, 0xffb8
	v_mad_i32_i24 v27, v0, s2, v45
	ds_read_b64 v[22:23], v27
	v_and_b32_e32 v30, 1, v1
	v_cmp_eq_u32_e64 s[2:3], 0, v30
	s_waitcnt lgkmcnt(0)
	v_mov_b32_dpp v28, v22 row_shr:1 row_mask:0xf bank_mask:0xf
	v_mov_b32_dpp v29, v23 row_shr:1 row_mask:0xf bank_mask:0xf
	v_add_f64 v[28:29], v[22:23], v[28:29]
	v_cndmask_b32_e64 v23, v29, v23, s[2:3]
	v_cndmask_b32_e64 v22, v28, v22, s[2:3]
	ds_write_b64 v27, v[22:23]
.LBB4954_70:
	s_or_b64 exec, exec, s[4:5]
	v_cmp_lt_u32_e64 s[2:3], 63, v0
	v_pk_mov_b32 v[22:23], v[24:25], v[24:25] op_sel:[0,1]
	s_waitcnt lgkmcnt(0)
	s_barrier
	s_and_saveexec_b64 s[4:5], s[2:3]
	s_cbranch_execz .LBB4954_72
; %bb.71:
	v_lshl_add_u32 v22, v26, 3, -8
	ds_read_b64 v[22:23], v22
	s_waitcnt lgkmcnt(0)
	v_add_f64 v[22:23], v[24:25], v[22:23]
.LBB4954_72:
	s_or_b64 exec, exec, s[4:5]
	v_add_u32_e32 v26, -1, v1
	v_and_b32_e32 v27, 64, v1
	v_cmp_lt_i32_e64 s[2:3], v26, v27
	v_cndmask_b32_e64 v1, v26, v1, s[2:3]
	v_add_f64 v[20:21], v[20:21], v[22:23]
	v_lshlrev_b32_e32 v1, 2, v1
	ds_bpermute_b32 v20, v1, v20
	ds_bpermute_b32 v1, v1, v21
	s_waitcnt lgkmcnt(1)
	v_cndmask_b32_e32 v20, v20, v22, vcc
	s_waitcnt lgkmcnt(0)
	v_cndmask_b32_e32 v1, v1, v23, vcc
	v_cndmask_b32_e64 v31, v1, v25, s[0:1]
	v_cndmask_b32_e64 v30, v20, v24, s[0:1]
	v_add_f64 v[32:33], v[14:15], v[30:31]
	v_add_f64 v[38:39], v[16:17], v[32:33]
	;; [unrolled: 1-line block ×8, first 2 shown]
	s_and_saveexec_b64 s[2:3], s[0:1]
	s_cbranch_execz .LBB4954_74
; %bb.73:
	v_mov_b32_e32 v5, 0
	ds_read_b64 v[2:3], v5 offset:8
	s_add_u32 s0, s24, 0x400
	s_addc_u32 s1, s25, 0
	v_mov_b32_e32 v4, 2
	v_pk_mov_b32 v[6:7], s[0:1], s[0:1] op_sel:[0,1]
	s_waitcnt lgkmcnt(0)
	v_add_f64 v[2:3], v[24:25], v[2:3]
	;;#ASMSTART
	global_store_dwordx4 v[6:7], v[2:5] off	
s_waitcnt vmcnt(0)
	;;#ASMEND
.LBB4954_74:
	s_or_b64 exec, exec, s[2:3]
	v_add_f64 v[24:25], v[18:19], v[22:23]
.LBB4954_75:
	s_mov_b64 s[0:1], -1
	s_and_b64 vcc, exec, s[20:21]
	s_barrier
	ds_write_b128 v45, v[30:33]
	ds_write_b128 v45, v[38:41] offset:16
	ds_write_b128 v45, v[34:37] offset:32
	;; [unrolled: 1-line block ×4, first 2 shown]
	s_waitcnt lgkmcnt(0)
	s_cbranch_vccz .LBB4954_77
; %bb.76:
	s_barrier
	s_mov_b64 s[0:1], 0
.LBB4954_77:
	s_andn2_b64 vcc, exec, s[0:1]
	s_cbranch_vccnz .LBB4954_113
; %bb.78:
	v_cmp_lt_u64_e64 s[0:1], s[18:19], 2
	s_and_b64 vcc, exec, s[0:1]
	s_barrier
	s_cbranch_vccnz .LBB4954_113
; %bb.79:
	s_add_u32 s0, s28, -1
	s_addc_u32 s1, s29, -1
	s_add_u32 s2, 0, 0x99986000
	s_addc_u32 s3, 0, 0x59
	s_add_i32 s3, s3, 0x19999940
	s_mul_hi_u32 s7, s2, -10
	s_sub_i32 s7, s7, s2
	s_mul_i32 s8, s3, -10
	s_mul_i32 s4, s2, -10
	s_add_i32 s7, s7, s8
	s_mul_hi_u32 s5, s3, s4
	s_mul_i32 s6, s3, s4
	s_mul_i32 s9, s2, s7
	s_mul_hi_u32 s4, s2, s4
	s_mul_hi_u32 s8, s2, s7
	s_add_u32 s4, s4, s9
	s_addc_u32 s8, 0, s8
	s_add_u32 s4, s4, s6
	s_mul_hi_u32 s9, s3, s7
	s_addc_u32 s4, s8, s5
	s_addc_u32 s5, s9, 0
	s_mul_i32 s6, s3, s7
	s_add_u32 s4, s4, s6
	v_mov_b32_e32 v2, s4
	s_addc_u32 s5, 0, s5
	v_add_co_u32_e32 v2, vcc, s2, v2
	s_cmp_lg_u64 vcc, 0
	s_addc_u32 s2, s3, s5
	v_readfirstlane_b32 s5, v2
	s_mul_i32 s4, s0, s2
	s_mul_hi_u32 s6, s0, s5
	s_mul_hi_u32 s3, s0, s2
	s_add_u32 s4, s6, s4
	s_addc_u32 s3, 0, s3
	s_mul_hi_u32 s7, s1, s5
	s_mul_i32 s5, s1, s5
	s_add_u32 s4, s4, s5
	s_mul_hi_u32 s6, s1, s2
	s_addc_u32 s3, s3, s7
	s_addc_u32 s4, s6, 0
	s_mul_i32 s2, s1, s2
	s_add_u32 s2, s3, s2
	s_addc_u32 s3, 0, s4
	s_add_u32 s4, s2, 1
	s_addc_u32 s5, s3, 0
	s_add_u32 s6, s2, 2
	s_mul_i32 s8, s3, 10
	s_mul_hi_u32 s9, s2, 10
	s_addc_u32 s7, s3, 0
	s_add_i32 s9, s9, s8
	s_mul_i32 s8, s2, 10
	v_mov_b32_e32 v2, s8
	v_sub_co_u32_e32 v2, vcc, s0, v2
	s_cmp_lg_u64 vcc, 0
	s_subb_u32 s8, s1, s9
	v_subrev_co_u32_e32 v3, vcc, 10, v2
	s_cmp_lg_u64 vcc, 0
	s_subb_u32 s9, s8, 0
	v_readfirstlane_b32 s10, v3
	s_cmp_gt_u32 s10, 9
	s_cselect_b32 s10, -1, 0
	s_cmp_eq_u32 s9, 0
	s_cselect_b32 s9, s10, -1
	s_cmp_lg_u32 s9, 0
	s_cselect_b32 s4, s6, s4
	v_readfirstlane_b32 s6, v2
	s_cselect_b32 s5, s7, s5
	s_cmp_gt_u32 s6, 9
	s_cselect_b32 s6, -1, 0
	s_cmp_eq_u32 s8, 0
	s_cselect_b32 s6, s6, -1
	s_cmp_lg_u32 s6, 0
	v_mov_b32_e32 v1, 0
	s_cselect_b32 s3, s5, s3
	s_cselect_b32 s2, s4, s2
	v_cmp_eq_u64_e32 vcc, s[2:3], v[0:1]
	s_and_saveexec_b64 s[2:3], vcc
	s_cbranch_execz .LBB4954_113
; %bb.80:
	s_movk_i32 s2, 0xffb8
	v_mad_i32_i24 v2, v0, s2, v45
	v_mul_hi_u32_u24_e32 v1, 10, v0
	v_mov_b32_e32 v3, s1
	v_sub_co_u32_e32 v0, vcc, s0, v44
	v_subb_co_u32_e32 v1, vcc, v3, v1, vcc
	v_cmp_lt_i64_e32 vcc, 4, v[0:1]
	s_and_saveexec_b64 s[0:1], vcc
	s_xor_b64 s[0:1], exec, s[0:1]
	s_cbranch_execz .LBB4954_98
; %bb.81:
	v_cmp_lt_i64_e32 vcc, 6, v[0:1]
	s_and_saveexec_b64 s[2:3], vcc
	s_xor_b64 s[2:3], exec, s[2:3]
	s_cbranch_execz .LBB4954_91
; %bb.82:
	;; [unrolled: 5-line block ×4, first 2 shown]
	ds_read_b64 v[0:1], v2 offset:9216
	v_mov_b32_e32 v2, 0
	s_waitcnt lgkmcnt(0)
	global_store_dwordx2 v2, v[0:1], s[14:15]
                                        ; implicit-def: $vgpr2
.LBB4954_85:
	s_andn2_saveexec_b64 s[6:7], s[6:7]
	s_cbranch_execz .LBB4954_87
; %bb.86:
	ds_read_b64 v[0:1], v2 offset:8192
	v_mov_b32_e32 v2, 0
	s_waitcnt lgkmcnt(0)
	global_store_dwordx2 v2, v[0:1], s[14:15]
.LBB4954_87:
	s_or_b64 exec, exec, s[6:7]
                                        ; implicit-def: $vgpr2
.LBB4954_88:
	s_andn2_saveexec_b64 s[4:5], s[4:5]
	s_cbranch_execz .LBB4954_90
; %bb.89:
	ds_read_b64 v[0:1], v2 offset:7168
	v_mov_b32_e32 v2, 0
	s_waitcnt lgkmcnt(0)
	global_store_dwordx2 v2, v[0:1], s[14:15]
.LBB4954_90:
	s_or_b64 exec, exec, s[4:5]
                                        ; implicit-def: $vgpr2
                                        ; implicit-def: $vgpr0_vgpr1
.LBB4954_91:
	s_andn2_saveexec_b64 s[2:3], s[2:3]
	s_cbranch_execz .LBB4954_97
; %bb.92:
	v_cmp_lt_i64_e32 vcc, 5, v[0:1]
	s_and_saveexec_b64 s[4:5], vcc
	s_xor_b64 s[4:5], exec, s[4:5]
	s_cbranch_execz .LBB4954_94
; %bb.93:
	ds_read_b64 v[0:1], v2 offset:6144
	v_mov_b32_e32 v2, 0
	s_waitcnt lgkmcnt(0)
	global_store_dwordx2 v2, v[0:1], s[14:15]
                                        ; implicit-def: $vgpr2
.LBB4954_94:
	s_andn2_saveexec_b64 s[4:5], s[4:5]
	s_cbranch_execz .LBB4954_96
; %bb.95:
	ds_read_b64 v[0:1], v2 offset:5120
	v_mov_b32_e32 v2, 0
	s_waitcnt lgkmcnt(0)
	global_store_dwordx2 v2, v[0:1], s[14:15]
.LBB4954_96:
	s_or_b64 exec, exec, s[4:5]
.LBB4954_97:
	s_or_b64 exec, exec, s[2:3]
                                        ; implicit-def: $vgpr0_vgpr1
                                        ; implicit-def: $vgpr2
.LBB4954_98:
	s_andn2_saveexec_b64 s[0:1], s[0:1]
	s_cbranch_execz .LBB4954_113
; %bb.99:
	v_cmp_lt_i64_e32 vcc, 2, v[0:1]
	s_and_saveexec_b64 s[0:1], vcc
	s_xor_b64 s[0:1], exec, s[0:1]
	s_cbranch_execz .LBB4954_105
; %bb.100:
	v_cmp_lt_i64_e32 vcc, 3, v[0:1]
	s_and_saveexec_b64 s[2:3], vcc
	s_xor_b64 s[2:3], exec, s[2:3]
	s_cbranch_execz .LBB4954_102
; %bb.101:
	ds_read_b64 v[0:1], v2 offset:4096
	v_mov_b32_e32 v2, 0
	s_waitcnt lgkmcnt(0)
	global_store_dwordx2 v2, v[0:1], s[14:15]
                                        ; implicit-def: $vgpr2
.LBB4954_102:
	s_andn2_saveexec_b64 s[2:3], s[2:3]
	s_cbranch_execz .LBB4954_104
; %bb.103:
	ds_read_b64 v[0:1], v2 offset:3072
	v_mov_b32_e32 v2, 0
	s_waitcnt lgkmcnt(0)
	global_store_dwordx2 v2, v[0:1], s[14:15]
.LBB4954_104:
	s_or_b64 exec, exec, s[2:3]
                                        ; implicit-def: $vgpr0_vgpr1
                                        ; implicit-def: $vgpr2
.LBB4954_105:
	s_andn2_saveexec_b64 s[0:1], s[0:1]
	s_cbranch_execz .LBB4954_113
; %bb.106:
	v_cmp_lt_i64_e32 vcc, 1, v[0:1]
	s_and_saveexec_b64 s[0:1], vcc
	s_xor_b64 s[0:1], exec, s[0:1]
	s_cbranch_execz .LBB4954_108
; %bb.107:
	ds_read_b64 v[0:1], v2 offset:2048
	v_mov_b32_e32 v2, 0
	s_waitcnt lgkmcnt(0)
	global_store_dwordx2 v2, v[0:1], s[14:15]
                                        ; implicit-def: $vgpr2
                                        ; implicit-def: $vgpr0_vgpr1
.LBB4954_108:
	s_andn2_saveexec_b64 s[0:1], s[0:1]
	s_cbranch_execz .LBB4954_113
; %bb.109:
	v_cmp_ne_u64_e32 vcc, 1, v[0:1]
	s_and_saveexec_b64 s[0:1], vcc
	s_xor_b64 s[0:1], exec, s[0:1]
	s_cbranch_execz .LBB4954_111
; %bb.110:
	ds_read_b64 v[0:1], v2
	v_mov_b32_e32 v2, 0
	s_waitcnt lgkmcnt(0)
	global_store_dwordx2 v2, v[0:1], s[14:15]
                                        ; implicit-def: $vgpr2
.LBB4954_111:
	s_andn2_saveexec_b64 s[0:1], s[0:1]
	s_cbranch_execz .LBB4954_113
; %bb.112:
	ds_read_b64 v[0:1], v2 offset:1024
	v_mov_b32_e32 v2, 0
	s_waitcnt lgkmcnt(0)
	global_store_dwordx2 v2, v[0:1], s[14:15]
.LBB4954_113:
	s_endpgm
	.section	.rodata,"a",@progbits
	.p2align	6, 0x0
	.amdhsa_kernel _ZN7rocprim17ROCPRIM_400000_NS6detail17trampoline_kernelINS0_14default_configENS1_20scan_config_selectorIdEEZZNS1_9scan_implILNS1_25lookback_scan_determinismE0ELb1ELb1ES3_N6thrust23THRUST_200600_302600_NS6detail15normal_iteratorINS9_10device_ptrIdEEEENS9_16discard_iteratorINS9_11use_defaultEEEdNS9_4plusIvEEdEEDaPvRmT3_T4_T5_mT6_P12ihipStream_tbENKUlT_T0_E_clISt17integral_constantIbLb1EESX_EEDaSS_ST_EUlSS_E_NS1_11comp_targetILNS1_3genE4ELNS1_11target_archE910ELNS1_3gpuE8ELNS1_3repE0EEENS1_30default_config_static_selectorELNS0_4arch9wavefront6targetE1EEEvT1_
		.amdhsa_group_segment_fixed_size 10240
		.amdhsa_private_segment_fixed_size 0
		.amdhsa_kernarg_size 112
		.amdhsa_user_sgpr_count 6
		.amdhsa_user_sgpr_private_segment_buffer 1
		.amdhsa_user_sgpr_dispatch_ptr 0
		.amdhsa_user_sgpr_queue_ptr 0
		.amdhsa_user_sgpr_kernarg_segment_ptr 1
		.amdhsa_user_sgpr_dispatch_id 0
		.amdhsa_user_sgpr_flat_scratch_init 0
		.amdhsa_user_sgpr_kernarg_preload_length 0
		.amdhsa_user_sgpr_kernarg_preload_offset 0
		.amdhsa_user_sgpr_private_segment_size 0
		.amdhsa_uses_dynamic_stack 0
		.amdhsa_system_sgpr_private_segment_wavefront_offset 0
		.amdhsa_system_sgpr_workgroup_id_x 1
		.amdhsa_system_sgpr_workgroup_id_y 0
		.amdhsa_system_sgpr_workgroup_id_z 0
		.amdhsa_system_sgpr_workgroup_info 0
		.amdhsa_system_vgpr_workitem_id 0
		.amdhsa_next_free_vgpr 68
		.amdhsa_next_free_sgpr 34
		.amdhsa_accum_offset 68
		.amdhsa_reserve_vcc 1
		.amdhsa_reserve_flat_scratch 0
		.amdhsa_float_round_mode_32 0
		.amdhsa_float_round_mode_16_64 0
		.amdhsa_float_denorm_mode_32 3
		.amdhsa_float_denorm_mode_16_64 3
		.amdhsa_dx10_clamp 1
		.amdhsa_ieee_mode 1
		.amdhsa_fp16_overflow 0
		.amdhsa_tg_split 0
		.amdhsa_exception_fp_ieee_invalid_op 0
		.amdhsa_exception_fp_denorm_src 0
		.amdhsa_exception_fp_ieee_div_zero 0
		.amdhsa_exception_fp_ieee_overflow 0
		.amdhsa_exception_fp_ieee_underflow 0
		.amdhsa_exception_fp_ieee_inexact 0
		.amdhsa_exception_int_div_zero 0
	.end_amdhsa_kernel
	.section	.text._ZN7rocprim17ROCPRIM_400000_NS6detail17trampoline_kernelINS0_14default_configENS1_20scan_config_selectorIdEEZZNS1_9scan_implILNS1_25lookback_scan_determinismE0ELb1ELb1ES3_N6thrust23THRUST_200600_302600_NS6detail15normal_iteratorINS9_10device_ptrIdEEEENS9_16discard_iteratorINS9_11use_defaultEEEdNS9_4plusIvEEdEEDaPvRmT3_T4_T5_mT6_P12ihipStream_tbENKUlT_T0_E_clISt17integral_constantIbLb1EESX_EEDaSS_ST_EUlSS_E_NS1_11comp_targetILNS1_3genE4ELNS1_11target_archE910ELNS1_3gpuE8ELNS1_3repE0EEENS1_30default_config_static_selectorELNS0_4arch9wavefront6targetE1EEEvT1_,"axG",@progbits,_ZN7rocprim17ROCPRIM_400000_NS6detail17trampoline_kernelINS0_14default_configENS1_20scan_config_selectorIdEEZZNS1_9scan_implILNS1_25lookback_scan_determinismE0ELb1ELb1ES3_N6thrust23THRUST_200600_302600_NS6detail15normal_iteratorINS9_10device_ptrIdEEEENS9_16discard_iteratorINS9_11use_defaultEEEdNS9_4plusIvEEdEEDaPvRmT3_T4_T5_mT6_P12ihipStream_tbENKUlT_T0_E_clISt17integral_constantIbLb1EESX_EEDaSS_ST_EUlSS_E_NS1_11comp_targetILNS1_3genE4ELNS1_11target_archE910ELNS1_3gpuE8ELNS1_3repE0EEENS1_30default_config_static_selectorELNS0_4arch9wavefront6targetE1EEEvT1_,comdat
.Lfunc_end4954:
	.size	_ZN7rocprim17ROCPRIM_400000_NS6detail17trampoline_kernelINS0_14default_configENS1_20scan_config_selectorIdEEZZNS1_9scan_implILNS1_25lookback_scan_determinismE0ELb1ELb1ES3_N6thrust23THRUST_200600_302600_NS6detail15normal_iteratorINS9_10device_ptrIdEEEENS9_16discard_iteratorINS9_11use_defaultEEEdNS9_4plusIvEEdEEDaPvRmT3_T4_T5_mT6_P12ihipStream_tbENKUlT_T0_E_clISt17integral_constantIbLb1EESX_EEDaSS_ST_EUlSS_E_NS1_11comp_targetILNS1_3genE4ELNS1_11target_archE910ELNS1_3gpuE8ELNS1_3repE0EEENS1_30default_config_static_selectorELNS0_4arch9wavefront6targetE1EEEvT1_, .Lfunc_end4954-_ZN7rocprim17ROCPRIM_400000_NS6detail17trampoline_kernelINS0_14default_configENS1_20scan_config_selectorIdEEZZNS1_9scan_implILNS1_25lookback_scan_determinismE0ELb1ELb1ES3_N6thrust23THRUST_200600_302600_NS6detail15normal_iteratorINS9_10device_ptrIdEEEENS9_16discard_iteratorINS9_11use_defaultEEEdNS9_4plusIvEEdEEDaPvRmT3_T4_T5_mT6_P12ihipStream_tbENKUlT_T0_E_clISt17integral_constantIbLb1EESX_EEDaSS_ST_EUlSS_E_NS1_11comp_targetILNS1_3genE4ELNS1_11target_archE910ELNS1_3gpuE8ELNS1_3repE0EEENS1_30default_config_static_selectorELNS0_4arch9wavefront6targetE1EEEvT1_
                                        ; -- End function
	.section	.AMDGPU.csdata,"",@progbits
; Kernel info:
; codeLenInByte = 5552
; NumSgprs: 38
; NumVgprs: 68
; NumAgprs: 0
; TotalNumVgprs: 68
; ScratchSize: 0
; MemoryBound: 0
; FloatMode: 240
; IeeeMode: 1
; LDSByteSize: 10240 bytes/workgroup (compile time only)
; SGPRBlocks: 4
; VGPRBlocks: 8
; NumSGPRsForWavesPerEU: 38
; NumVGPRsForWavesPerEU: 68
; AccumOffset: 68
; Occupancy: 3
; WaveLimiterHint : 1
; COMPUTE_PGM_RSRC2:SCRATCH_EN: 0
; COMPUTE_PGM_RSRC2:USER_SGPR: 6
; COMPUTE_PGM_RSRC2:TRAP_HANDLER: 0
; COMPUTE_PGM_RSRC2:TGID_X_EN: 1
; COMPUTE_PGM_RSRC2:TGID_Y_EN: 0
; COMPUTE_PGM_RSRC2:TGID_Z_EN: 0
; COMPUTE_PGM_RSRC2:TIDIG_COMP_CNT: 0
; COMPUTE_PGM_RSRC3_GFX90A:ACCUM_OFFSET: 16
; COMPUTE_PGM_RSRC3_GFX90A:TG_SPLIT: 0
	.section	.text._ZN7rocprim17ROCPRIM_400000_NS6detail17trampoline_kernelINS0_14default_configENS1_20scan_config_selectorIdEEZZNS1_9scan_implILNS1_25lookback_scan_determinismE0ELb1ELb1ES3_N6thrust23THRUST_200600_302600_NS6detail15normal_iteratorINS9_10device_ptrIdEEEENS9_16discard_iteratorINS9_11use_defaultEEEdNS9_4plusIvEEdEEDaPvRmT3_T4_T5_mT6_P12ihipStream_tbENKUlT_T0_E_clISt17integral_constantIbLb1EESX_EEDaSS_ST_EUlSS_E_NS1_11comp_targetILNS1_3genE3ELNS1_11target_archE908ELNS1_3gpuE7ELNS1_3repE0EEENS1_30default_config_static_selectorELNS0_4arch9wavefront6targetE1EEEvT1_,"axG",@progbits,_ZN7rocprim17ROCPRIM_400000_NS6detail17trampoline_kernelINS0_14default_configENS1_20scan_config_selectorIdEEZZNS1_9scan_implILNS1_25lookback_scan_determinismE0ELb1ELb1ES3_N6thrust23THRUST_200600_302600_NS6detail15normal_iteratorINS9_10device_ptrIdEEEENS9_16discard_iteratorINS9_11use_defaultEEEdNS9_4plusIvEEdEEDaPvRmT3_T4_T5_mT6_P12ihipStream_tbENKUlT_T0_E_clISt17integral_constantIbLb1EESX_EEDaSS_ST_EUlSS_E_NS1_11comp_targetILNS1_3genE3ELNS1_11target_archE908ELNS1_3gpuE7ELNS1_3repE0EEENS1_30default_config_static_selectorELNS0_4arch9wavefront6targetE1EEEvT1_,comdat
	.protected	_ZN7rocprim17ROCPRIM_400000_NS6detail17trampoline_kernelINS0_14default_configENS1_20scan_config_selectorIdEEZZNS1_9scan_implILNS1_25lookback_scan_determinismE0ELb1ELb1ES3_N6thrust23THRUST_200600_302600_NS6detail15normal_iteratorINS9_10device_ptrIdEEEENS9_16discard_iteratorINS9_11use_defaultEEEdNS9_4plusIvEEdEEDaPvRmT3_T4_T5_mT6_P12ihipStream_tbENKUlT_T0_E_clISt17integral_constantIbLb1EESX_EEDaSS_ST_EUlSS_E_NS1_11comp_targetILNS1_3genE3ELNS1_11target_archE908ELNS1_3gpuE7ELNS1_3repE0EEENS1_30default_config_static_selectorELNS0_4arch9wavefront6targetE1EEEvT1_ ; -- Begin function _ZN7rocprim17ROCPRIM_400000_NS6detail17trampoline_kernelINS0_14default_configENS1_20scan_config_selectorIdEEZZNS1_9scan_implILNS1_25lookback_scan_determinismE0ELb1ELb1ES3_N6thrust23THRUST_200600_302600_NS6detail15normal_iteratorINS9_10device_ptrIdEEEENS9_16discard_iteratorINS9_11use_defaultEEEdNS9_4plusIvEEdEEDaPvRmT3_T4_T5_mT6_P12ihipStream_tbENKUlT_T0_E_clISt17integral_constantIbLb1EESX_EEDaSS_ST_EUlSS_E_NS1_11comp_targetILNS1_3genE3ELNS1_11target_archE908ELNS1_3gpuE7ELNS1_3repE0EEENS1_30default_config_static_selectorELNS0_4arch9wavefront6targetE1EEEvT1_
	.globl	_ZN7rocprim17ROCPRIM_400000_NS6detail17trampoline_kernelINS0_14default_configENS1_20scan_config_selectorIdEEZZNS1_9scan_implILNS1_25lookback_scan_determinismE0ELb1ELb1ES3_N6thrust23THRUST_200600_302600_NS6detail15normal_iteratorINS9_10device_ptrIdEEEENS9_16discard_iteratorINS9_11use_defaultEEEdNS9_4plusIvEEdEEDaPvRmT3_T4_T5_mT6_P12ihipStream_tbENKUlT_T0_E_clISt17integral_constantIbLb1EESX_EEDaSS_ST_EUlSS_E_NS1_11comp_targetILNS1_3genE3ELNS1_11target_archE908ELNS1_3gpuE7ELNS1_3repE0EEENS1_30default_config_static_selectorELNS0_4arch9wavefront6targetE1EEEvT1_
	.p2align	8
	.type	_ZN7rocprim17ROCPRIM_400000_NS6detail17trampoline_kernelINS0_14default_configENS1_20scan_config_selectorIdEEZZNS1_9scan_implILNS1_25lookback_scan_determinismE0ELb1ELb1ES3_N6thrust23THRUST_200600_302600_NS6detail15normal_iteratorINS9_10device_ptrIdEEEENS9_16discard_iteratorINS9_11use_defaultEEEdNS9_4plusIvEEdEEDaPvRmT3_T4_T5_mT6_P12ihipStream_tbENKUlT_T0_E_clISt17integral_constantIbLb1EESX_EEDaSS_ST_EUlSS_E_NS1_11comp_targetILNS1_3genE3ELNS1_11target_archE908ELNS1_3gpuE7ELNS1_3repE0EEENS1_30default_config_static_selectorELNS0_4arch9wavefront6targetE1EEEvT1_,@function
_ZN7rocprim17ROCPRIM_400000_NS6detail17trampoline_kernelINS0_14default_configENS1_20scan_config_selectorIdEEZZNS1_9scan_implILNS1_25lookback_scan_determinismE0ELb1ELb1ES3_N6thrust23THRUST_200600_302600_NS6detail15normal_iteratorINS9_10device_ptrIdEEEENS9_16discard_iteratorINS9_11use_defaultEEEdNS9_4plusIvEEdEEDaPvRmT3_T4_T5_mT6_P12ihipStream_tbENKUlT_T0_E_clISt17integral_constantIbLb1EESX_EEDaSS_ST_EUlSS_E_NS1_11comp_targetILNS1_3genE3ELNS1_11target_archE908ELNS1_3gpuE7ELNS1_3repE0EEENS1_30default_config_static_selectorELNS0_4arch9wavefront6targetE1EEEvT1_: ; @_ZN7rocprim17ROCPRIM_400000_NS6detail17trampoline_kernelINS0_14default_configENS1_20scan_config_selectorIdEEZZNS1_9scan_implILNS1_25lookback_scan_determinismE0ELb1ELb1ES3_N6thrust23THRUST_200600_302600_NS6detail15normal_iteratorINS9_10device_ptrIdEEEENS9_16discard_iteratorINS9_11use_defaultEEEdNS9_4plusIvEEdEEDaPvRmT3_T4_T5_mT6_P12ihipStream_tbENKUlT_T0_E_clISt17integral_constantIbLb1EESX_EEDaSS_ST_EUlSS_E_NS1_11comp_targetILNS1_3genE3ELNS1_11target_archE908ELNS1_3gpuE7ELNS1_3repE0EEENS1_30default_config_static_selectorELNS0_4arch9wavefront6targetE1EEEvT1_
; %bb.0:
	.section	.rodata,"a",@progbits
	.p2align	6, 0x0
	.amdhsa_kernel _ZN7rocprim17ROCPRIM_400000_NS6detail17trampoline_kernelINS0_14default_configENS1_20scan_config_selectorIdEEZZNS1_9scan_implILNS1_25lookback_scan_determinismE0ELb1ELb1ES3_N6thrust23THRUST_200600_302600_NS6detail15normal_iteratorINS9_10device_ptrIdEEEENS9_16discard_iteratorINS9_11use_defaultEEEdNS9_4plusIvEEdEEDaPvRmT3_T4_T5_mT6_P12ihipStream_tbENKUlT_T0_E_clISt17integral_constantIbLb1EESX_EEDaSS_ST_EUlSS_E_NS1_11comp_targetILNS1_3genE3ELNS1_11target_archE908ELNS1_3gpuE7ELNS1_3repE0EEENS1_30default_config_static_selectorELNS0_4arch9wavefront6targetE1EEEvT1_
		.amdhsa_group_segment_fixed_size 0
		.amdhsa_private_segment_fixed_size 0
		.amdhsa_kernarg_size 112
		.amdhsa_user_sgpr_count 6
		.amdhsa_user_sgpr_private_segment_buffer 1
		.amdhsa_user_sgpr_dispatch_ptr 0
		.amdhsa_user_sgpr_queue_ptr 0
		.amdhsa_user_sgpr_kernarg_segment_ptr 1
		.amdhsa_user_sgpr_dispatch_id 0
		.amdhsa_user_sgpr_flat_scratch_init 0
		.amdhsa_user_sgpr_kernarg_preload_length 0
		.amdhsa_user_sgpr_kernarg_preload_offset 0
		.amdhsa_user_sgpr_private_segment_size 0
		.amdhsa_uses_dynamic_stack 0
		.amdhsa_system_sgpr_private_segment_wavefront_offset 0
		.amdhsa_system_sgpr_workgroup_id_x 1
		.amdhsa_system_sgpr_workgroup_id_y 0
		.amdhsa_system_sgpr_workgroup_id_z 0
		.amdhsa_system_sgpr_workgroup_info 0
		.amdhsa_system_vgpr_workitem_id 0
		.amdhsa_next_free_vgpr 1
		.amdhsa_next_free_sgpr 0
		.amdhsa_accum_offset 4
		.amdhsa_reserve_vcc 0
		.amdhsa_reserve_flat_scratch 0
		.amdhsa_float_round_mode_32 0
		.amdhsa_float_round_mode_16_64 0
		.amdhsa_float_denorm_mode_32 3
		.amdhsa_float_denorm_mode_16_64 3
		.amdhsa_dx10_clamp 1
		.amdhsa_ieee_mode 1
		.amdhsa_fp16_overflow 0
		.amdhsa_tg_split 0
		.amdhsa_exception_fp_ieee_invalid_op 0
		.amdhsa_exception_fp_denorm_src 0
		.amdhsa_exception_fp_ieee_div_zero 0
		.amdhsa_exception_fp_ieee_overflow 0
		.amdhsa_exception_fp_ieee_underflow 0
		.amdhsa_exception_fp_ieee_inexact 0
		.amdhsa_exception_int_div_zero 0
	.end_amdhsa_kernel
	.section	.text._ZN7rocprim17ROCPRIM_400000_NS6detail17trampoline_kernelINS0_14default_configENS1_20scan_config_selectorIdEEZZNS1_9scan_implILNS1_25lookback_scan_determinismE0ELb1ELb1ES3_N6thrust23THRUST_200600_302600_NS6detail15normal_iteratorINS9_10device_ptrIdEEEENS9_16discard_iteratorINS9_11use_defaultEEEdNS9_4plusIvEEdEEDaPvRmT3_T4_T5_mT6_P12ihipStream_tbENKUlT_T0_E_clISt17integral_constantIbLb1EESX_EEDaSS_ST_EUlSS_E_NS1_11comp_targetILNS1_3genE3ELNS1_11target_archE908ELNS1_3gpuE7ELNS1_3repE0EEENS1_30default_config_static_selectorELNS0_4arch9wavefront6targetE1EEEvT1_,"axG",@progbits,_ZN7rocprim17ROCPRIM_400000_NS6detail17trampoline_kernelINS0_14default_configENS1_20scan_config_selectorIdEEZZNS1_9scan_implILNS1_25lookback_scan_determinismE0ELb1ELb1ES3_N6thrust23THRUST_200600_302600_NS6detail15normal_iteratorINS9_10device_ptrIdEEEENS9_16discard_iteratorINS9_11use_defaultEEEdNS9_4plusIvEEdEEDaPvRmT3_T4_T5_mT6_P12ihipStream_tbENKUlT_T0_E_clISt17integral_constantIbLb1EESX_EEDaSS_ST_EUlSS_E_NS1_11comp_targetILNS1_3genE3ELNS1_11target_archE908ELNS1_3gpuE7ELNS1_3repE0EEENS1_30default_config_static_selectorELNS0_4arch9wavefront6targetE1EEEvT1_,comdat
.Lfunc_end4955:
	.size	_ZN7rocprim17ROCPRIM_400000_NS6detail17trampoline_kernelINS0_14default_configENS1_20scan_config_selectorIdEEZZNS1_9scan_implILNS1_25lookback_scan_determinismE0ELb1ELb1ES3_N6thrust23THRUST_200600_302600_NS6detail15normal_iteratorINS9_10device_ptrIdEEEENS9_16discard_iteratorINS9_11use_defaultEEEdNS9_4plusIvEEdEEDaPvRmT3_T4_T5_mT6_P12ihipStream_tbENKUlT_T0_E_clISt17integral_constantIbLb1EESX_EEDaSS_ST_EUlSS_E_NS1_11comp_targetILNS1_3genE3ELNS1_11target_archE908ELNS1_3gpuE7ELNS1_3repE0EEENS1_30default_config_static_selectorELNS0_4arch9wavefront6targetE1EEEvT1_, .Lfunc_end4955-_ZN7rocprim17ROCPRIM_400000_NS6detail17trampoline_kernelINS0_14default_configENS1_20scan_config_selectorIdEEZZNS1_9scan_implILNS1_25lookback_scan_determinismE0ELb1ELb1ES3_N6thrust23THRUST_200600_302600_NS6detail15normal_iteratorINS9_10device_ptrIdEEEENS9_16discard_iteratorINS9_11use_defaultEEEdNS9_4plusIvEEdEEDaPvRmT3_T4_T5_mT6_P12ihipStream_tbENKUlT_T0_E_clISt17integral_constantIbLb1EESX_EEDaSS_ST_EUlSS_E_NS1_11comp_targetILNS1_3genE3ELNS1_11target_archE908ELNS1_3gpuE7ELNS1_3repE0EEENS1_30default_config_static_selectorELNS0_4arch9wavefront6targetE1EEEvT1_
                                        ; -- End function
	.section	.AMDGPU.csdata,"",@progbits
; Kernel info:
; codeLenInByte = 0
; NumSgprs: 4
; NumVgprs: 0
; NumAgprs: 0
; TotalNumVgprs: 0
; ScratchSize: 0
; MemoryBound: 0
; FloatMode: 240
; IeeeMode: 1
; LDSByteSize: 0 bytes/workgroup (compile time only)
; SGPRBlocks: 0
; VGPRBlocks: 0
; NumSGPRsForWavesPerEU: 4
; NumVGPRsForWavesPerEU: 1
; AccumOffset: 4
; Occupancy: 8
; WaveLimiterHint : 0
; COMPUTE_PGM_RSRC2:SCRATCH_EN: 0
; COMPUTE_PGM_RSRC2:USER_SGPR: 6
; COMPUTE_PGM_RSRC2:TRAP_HANDLER: 0
; COMPUTE_PGM_RSRC2:TGID_X_EN: 1
; COMPUTE_PGM_RSRC2:TGID_Y_EN: 0
; COMPUTE_PGM_RSRC2:TGID_Z_EN: 0
; COMPUTE_PGM_RSRC2:TIDIG_COMP_CNT: 0
; COMPUTE_PGM_RSRC3_GFX90A:ACCUM_OFFSET: 0
; COMPUTE_PGM_RSRC3_GFX90A:TG_SPLIT: 0
	.section	.text._ZN7rocprim17ROCPRIM_400000_NS6detail17trampoline_kernelINS0_14default_configENS1_20scan_config_selectorIdEEZZNS1_9scan_implILNS1_25lookback_scan_determinismE0ELb1ELb1ES3_N6thrust23THRUST_200600_302600_NS6detail15normal_iteratorINS9_10device_ptrIdEEEENS9_16discard_iteratorINS9_11use_defaultEEEdNS9_4plusIvEEdEEDaPvRmT3_T4_T5_mT6_P12ihipStream_tbENKUlT_T0_E_clISt17integral_constantIbLb1EESX_EEDaSS_ST_EUlSS_E_NS1_11comp_targetILNS1_3genE2ELNS1_11target_archE906ELNS1_3gpuE6ELNS1_3repE0EEENS1_30default_config_static_selectorELNS0_4arch9wavefront6targetE1EEEvT1_,"axG",@progbits,_ZN7rocprim17ROCPRIM_400000_NS6detail17trampoline_kernelINS0_14default_configENS1_20scan_config_selectorIdEEZZNS1_9scan_implILNS1_25lookback_scan_determinismE0ELb1ELb1ES3_N6thrust23THRUST_200600_302600_NS6detail15normal_iteratorINS9_10device_ptrIdEEEENS9_16discard_iteratorINS9_11use_defaultEEEdNS9_4plusIvEEdEEDaPvRmT3_T4_T5_mT6_P12ihipStream_tbENKUlT_T0_E_clISt17integral_constantIbLb1EESX_EEDaSS_ST_EUlSS_E_NS1_11comp_targetILNS1_3genE2ELNS1_11target_archE906ELNS1_3gpuE6ELNS1_3repE0EEENS1_30default_config_static_selectorELNS0_4arch9wavefront6targetE1EEEvT1_,comdat
	.protected	_ZN7rocprim17ROCPRIM_400000_NS6detail17trampoline_kernelINS0_14default_configENS1_20scan_config_selectorIdEEZZNS1_9scan_implILNS1_25lookback_scan_determinismE0ELb1ELb1ES3_N6thrust23THRUST_200600_302600_NS6detail15normal_iteratorINS9_10device_ptrIdEEEENS9_16discard_iteratorINS9_11use_defaultEEEdNS9_4plusIvEEdEEDaPvRmT3_T4_T5_mT6_P12ihipStream_tbENKUlT_T0_E_clISt17integral_constantIbLb1EESX_EEDaSS_ST_EUlSS_E_NS1_11comp_targetILNS1_3genE2ELNS1_11target_archE906ELNS1_3gpuE6ELNS1_3repE0EEENS1_30default_config_static_selectorELNS0_4arch9wavefront6targetE1EEEvT1_ ; -- Begin function _ZN7rocprim17ROCPRIM_400000_NS6detail17trampoline_kernelINS0_14default_configENS1_20scan_config_selectorIdEEZZNS1_9scan_implILNS1_25lookback_scan_determinismE0ELb1ELb1ES3_N6thrust23THRUST_200600_302600_NS6detail15normal_iteratorINS9_10device_ptrIdEEEENS9_16discard_iteratorINS9_11use_defaultEEEdNS9_4plusIvEEdEEDaPvRmT3_T4_T5_mT6_P12ihipStream_tbENKUlT_T0_E_clISt17integral_constantIbLb1EESX_EEDaSS_ST_EUlSS_E_NS1_11comp_targetILNS1_3genE2ELNS1_11target_archE906ELNS1_3gpuE6ELNS1_3repE0EEENS1_30default_config_static_selectorELNS0_4arch9wavefront6targetE1EEEvT1_
	.globl	_ZN7rocprim17ROCPRIM_400000_NS6detail17trampoline_kernelINS0_14default_configENS1_20scan_config_selectorIdEEZZNS1_9scan_implILNS1_25lookback_scan_determinismE0ELb1ELb1ES3_N6thrust23THRUST_200600_302600_NS6detail15normal_iteratorINS9_10device_ptrIdEEEENS9_16discard_iteratorINS9_11use_defaultEEEdNS9_4plusIvEEdEEDaPvRmT3_T4_T5_mT6_P12ihipStream_tbENKUlT_T0_E_clISt17integral_constantIbLb1EESX_EEDaSS_ST_EUlSS_E_NS1_11comp_targetILNS1_3genE2ELNS1_11target_archE906ELNS1_3gpuE6ELNS1_3repE0EEENS1_30default_config_static_selectorELNS0_4arch9wavefront6targetE1EEEvT1_
	.p2align	8
	.type	_ZN7rocprim17ROCPRIM_400000_NS6detail17trampoline_kernelINS0_14default_configENS1_20scan_config_selectorIdEEZZNS1_9scan_implILNS1_25lookback_scan_determinismE0ELb1ELb1ES3_N6thrust23THRUST_200600_302600_NS6detail15normal_iteratorINS9_10device_ptrIdEEEENS9_16discard_iteratorINS9_11use_defaultEEEdNS9_4plusIvEEdEEDaPvRmT3_T4_T5_mT6_P12ihipStream_tbENKUlT_T0_E_clISt17integral_constantIbLb1EESX_EEDaSS_ST_EUlSS_E_NS1_11comp_targetILNS1_3genE2ELNS1_11target_archE906ELNS1_3gpuE6ELNS1_3repE0EEENS1_30default_config_static_selectorELNS0_4arch9wavefront6targetE1EEEvT1_,@function
_ZN7rocprim17ROCPRIM_400000_NS6detail17trampoline_kernelINS0_14default_configENS1_20scan_config_selectorIdEEZZNS1_9scan_implILNS1_25lookback_scan_determinismE0ELb1ELb1ES3_N6thrust23THRUST_200600_302600_NS6detail15normal_iteratorINS9_10device_ptrIdEEEENS9_16discard_iteratorINS9_11use_defaultEEEdNS9_4plusIvEEdEEDaPvRmT3_T4_T5_mT6_P12ihipStream_tbENKUlT_T0_E_clISt17integral_constantIbLb1EESX_EEDaSS_ST_EUlSS_E_NS1_11comp_targetILNS1_3genE2ELNS1_11target_archE906ELNS1_3gpuE6ELNS1_3repE0EEENS1_30default_config_static_selectorELNS0_4arch9wavefront6targetE1EEEvT1_: ; @_ZN7rocprim17ROCPRIM_400000_NS6detail17trampoline_kernelINS0_14default_configENS1_20scan_config_selectorIdEEZZNS1_9scan_implILNS1_25lookback_scan_determinismE0ELb1ELb1ES3_N6thrust23THRUST_200600_302600_NS6detail15normal_iteratorINS9_10device_ptrIdEEEENS9_16discard_iteratorINS9_11use_defaultEEEdNS9_4plusIvEEdEEDaPvRmT3_T4_T5_mT6_P12ihipStream_tbENKUlT_T0_E_clISt17integral_constantIbLb1EESX_EEDaSS_ST_EUlSS_E_NS1_11comp_targetILNS1_3genE2ELNS1_11target_archE906ELNS1_3gpuE6ELNS1_3repE0EEENS1_30default_config_static_selectorELNS0_4arch9wavefront6targetE1EEEvT1_
; %bb.0:
	.section	.rodata,"a",@progbits
	.p2align	6, 0x0
	.amdhsa_kernel _ZN7rocprim17ROCPRIM_400000_NS6detail17trampoline_kernelINS0_14default_configENS1_20scan_config_selectorIdEEZZNS1_9scan_implILNS1_25lookback_scan_determinismE0ELb1ELb1ES3_N6thrust23THRUST_200600_302600_NS6detail15normal_iteratorINS9_10device_ptrIdEEEENS9_16discard_iteratorINS9_11use_defaultEEEdNS9_4plusIvEEdEEDaPvRmT3_T4_T5_mT6_P12ihipStream_tbENKUlT_T0_E_clISt17integral_constantIbLb1EESX_EEDaSS_ST_EUlSS_E_NS1_11comp_targetILNS1_3genE2ELNS1_11target_archE906ELNS1_3gpuE6ELNS1_3repE0EEENS1_30default_config_static_selectorELNS0_4arch9wavefront6targetE1EEEvT1_
		.amdhsa_group_segment_fixed_size 0
		.amdhsa_private_segment_fixed_size 0
		.amdhsa_kernarg_size 112
		.amdhsa_user_sgpr_count 6
		.amdhsa_user_sgpr_private_segment_buffer 1
		.amdhsa_user_sgpr_dispatch_ptr 0
		.amdhsa_user_sgpr_queue_ptr 0
		.amdhsa_user_sgpr_kernarg_segment_ptr 1
		.amdhsa_user_sgpr_dispatch_id 0
		.amdhsa_user_sgpr_flat_scratch_init 0
		.amdhsa_user_sgpr_kernarg_preload_length 0
		.amdhsa_user_sgpr_kernarg_preload_offset 0
		.amdhsa_user_sgpr_private_segment_size 0
		.amdhsa_uses_dynamic_stack 0
		.amdhsa_system_sgpr_private_segment_wavefront_offset 0
		.amdhsa_system_sgpr_workgroup_id_x 1
		.amdhsa_system_sgpr_workgroup_id_y 0
		.amdhsa_system_sgpr_workgroup_id_z 0
		.amdhsa_system_sgpr_workgroup_info 0
		.amdhsa_system_vgpr_workitem_id 0
		.amdhsa_next_free_vgpr 1
		.amdhsa_next_free_sgpr 0
		.amdhsa_accum_offset 4
		.amdhsa_reserve_vcc 0
		.amdhsa_reserve_flat_scratch 0
		.amdhsa_float_round_mode_32 0
		.amdhsa_float_round_mode_16_64 0
		.amdhsa_float_denorm_mode_32 3
		.amdhsa_float_denorm_mode_16_64 3
		.amdhsa_dx10_clamp 1
		.amdhsa_ieee_mode 1
		.amdhsa_fp16_overflow 0
		.amdhsa_tg_split 0
		.amdhsa_exception_fp_ieee_invalid_op 0
		.amdhsa_exception_fp_denorm_src 0
		.amdhsa_exception_fp_ieee_div_zero 0
		.amdhsa_exception_fp_ieee_overflow 0
		.amdhsa_exception_fp_ieee_underflow 0
		.amdhsa_exception_fp_ieee_inexact 0
		.amdhsa_exception_int_div_zero 0
	.end_amdhsa_kernel
	.section	.text._ZN7rocprim17ROCPRIM_400000_NS6detail17trampoline_kernelINS0_14default_configENS1_20scan_config_selectorIdEEZZNS1_9scan_implILNS1_25lookback_scan_determinismE0ELb1ELb1ES3_N6thrust23THRUST_200600_302600_NS6detail15normal_iteratorINS9_10device_ptrIdEEEENS9_16discard_iteratorINS9_11use_defaultEEEdNS9_4plusIvEEdEEDaPvRmT3_T4_T5_mT6_P12ihipStream_tbENKUlT_T0_E_clISt17integral_constantIbLb1EESX_EEDaSS_ST_EUlSS_E_NS1_11comp_targetILNS1_3genE2ELNS1_11target_archE906ELNS1_3gpuE6ELNS1_3repE0EEENS1_30default_config_static_selectorELNS0_4arch9wavefront6targetE1EEEvT1_,"axG",@progbits,_ZN7rocprim17ROCPRIM_400000_NS6detail17trampoline_kernelINS0_14default_configENS1_20scan_config_selectorIdEEZZNS1_9scan_implILNS1_25lookback_scan_determinismE0ELb1ELb1ES3_N6thrust23THRUST_200600_302600_NS6detail15normal_iteratorINS9_10device_ptrIdEEEENS9_16discard_iteratorINS9_11use_defaultEEEdNS9_4plusIvEEdEEDaPvRmT3_T4_T5_mT6_P12ihipStream_tbENKUlT_T0_E_clISt17integral_constantIbLb1EESX_EEDaSS_ST_EUlSS_E_NS1_11comp_targetILNS1_3genE2ELNS1_11target_archE906ELNS1_3gpuE6ELNS1_3repE0EEENS1_30default_config_static_selectorELNS0_4arch9wavefront6targetE1EEEvT1_,comdat
.Lfunc_end4956:
	.size	_ZN7rocprim17ROCPRIM_400000_NS6detail17trampoline_kernelINS0_14default_configENS1_20scan_config_selectorIdEEZZNS1_9scan_implILNS1_25lookback_scan_determinismE0ELb1ELb1ES3_N6thrust23THRUST_200600_302600_NS6detail15normal_iteratorINS9_10device_ptrIdEEEENS9_16discard_iteratorINS9_11use_defaultEEEdNS9_4plusIvEEdEEDaPvRmT3_T4_T5_mT6_P12ihipStream_tbENKUlT_T0_E_clISt17integral_constantIbLb1EESX_EEDaSS_ST_EUlSS_E_NS1_11comp_targetILNS1_3genE2ELNS1_11target_archE906ELNS1_3gpuE6ELNS1_3repE0EEENS1_30default_config_static_selectorELNS0_4arch9wavefront6targetE1EEEvT1_, .Lfunc_end4956-_ZN7rocprim17ROCPRIM_400000_NS6detail17trampoline_kernelINS0_14default_configENS1_20scan_config_selectorIdEEZZNS1_9scan_implILNS1_25lookback_scan_determinismE0ELb1ELb1ES3_N6thrust23THRUST_200600_302600_NS6detail15normal_iteratorINS9_10device_ptrIdEEEENS9_16discard_iteratorINS9_11use_defaultEEEdNS9_4plusIvEEdEEDaPvRmT3_T4_T5_mT6_P12ihipStream_tbENKUlT_T0_E_clISt17integral_constantIbLb1EESX_EEDaSS_ST_EUlSS_E_NS1_11comp_targetILNS1_3genE2ELNS1_11target_archE906ELNS1_3gpuE6ELNS1_3repE0EEENS1_30default_config_static_selectorELNS0_4arch9wavefront6targetE1EEEvT1_
                                        ; -- End function
	.section	.AMDGPU.csdata,"",@progbits
; Kernel info:
; codeLenInByte = 0
; NumSgprs: 4
; NumVgprs: 0
; NumAgprs: 0
; TotalNumVgprs: 0
; ScratchSize: 0
; MemoryBound: 0
; FloatMode: 240
; IeeeMode: 1
; LDSByteSize: 0 bytes/workgroup (compile time only)
; SGPRBlocks: 0
; VGPRBlocks: 0
; NumSGPRsForWavesPerEU: 4
; NumVGPRsForWavesPerEU: 1
; AccumOffset: 4
; Occupancy: 8
; WaveLimiterHint : 0
; COMPUTE_PGM_RSRC2:SCRATCH_EN: 0
; COMPUTE_PGM_RSRC2:USER_SGPR: 6
; COMPUTE_PGM_RSRC2:TRAP_HANDLER: 0
; COMPUTE_PGM_RSRC2:TGID_X_EN: 1
; COMPUTE_PGM_RSRC2:TGID_Y_EN: 0
; COMPUTE_PGM_RSRC2:TGID_Z_EN: 0
; COMPUTE_PGM_RSRC2:TIDIG_COMP_CNT: 0
; COMPUTE_PGM_RSRC3_GFX90A:ACCUM_OFFSET: 0
; COMPUTE_PGM_RSRC3_GFX90A:TG_SPLIT: 0
	.section	.text._ZN7rocprim17ROCPRIM_400000_NS6detail17trampoline_kernelINS0_14default_configENS1_20scan_config_selectorIdEEZZNS1_9scan_implILNS1_25lookback_scan_determinismE0ELb1ELb1ES3_N6thrust23THRUST_200600_302600_NS6detail15normal_iteratorINS9_10device_ptrIdEEEENS9_16discard_iteratorINS9_11use_defaultEEEdNS9_4plusIvEEdEEDaPvRmT3_T4_T5_mT6_P12ihipStream_tbENKUlT_T0_E_clISt17integral_constantIbLb1EESX_EEDaSS_ST_EUlSS_E_NS1_11comp_targetILNS1_3genE10ELNS1_11target_archE1201ELNS1_3gpuE5ELNS1_3repE0EEENS1_30default_config_static_selectorELNS0_4arch9wavefront6targetE1EEEvT1_,"axG",@progbits,_ZN7rocprim17ROCPRIM_400000_NS6detail17trampoline_kernelINS0_14default_configENS1_20scan_config_selectorIdEEZZNS1_9scan_implILNS1_25lookback_scan_determinismE0ELb1ELb1ES3_N6thrust23THRUST_200600_302600_NS6detail15normal_iteratorINS9_10device_ptrIdEEEENS9_16discard_iteratorINS9_11use_defaultEEEdNS9_4plusIvEEdEEDaPvRmT3_T4_T5_mT6_P12ihipStream_tbENKUlT_T0_E_clISt17integral_constantIbLb1EESX_EEDaSS_ST_EUlSS_E_NS1_11comp_targetILNS1_3genE10ELNS1_11target_archE1201ELNS1_3gpuE5ELNS1_3repE0EEENS1_30default_config_static_selectorELNS0_4arch9wavefront6targetE1EEEvT1_,comdat
	.protected	_ZN7rocprim17ROCPRIM_400000_NS6detail17trampoline_kernelINS0_14default_configENS1_20scan_config_selectorIdEEZZNS1_9scan_implILNS1_25lookback_scan_determinismE0ELb1ELb1ES3_N6thrust23THRUST_200600_302600_NS6detail15normal_iteratorINS9_10device_ptrIdEEEENS9_16discard_iteratorINS9_11use_defaultEEEdNS9_4plusIvEEdEEDaPvRmT3_T4_T5_mT6_P12ihipStream_tbENKUlT_T0_E_clISt17integral_constantIbLb1EESX_EEDaSS_ST_EUlSS_E_NS1_11comp_targetILNS1_3genE10ELNS1_11target_archE1201ELNS1_3gpuE5ELNS1_3repE0EEENS1_30default_config_static_selectorELNS0_4arch9wavefront6targetE1EEEvT1_ ; -- Begin function _ZN7rocprim17ROCPRIM_400000_NS6detail17trampoline_kernelINS0_14default_configENS1_20scan_config_selectorIdEEZZNS1_9scan_implILNS1_25lookback_scan_determinismE0ELb1ELb1ES3_N6thrust23THRUST_200600_302600_NS6detail15normal_iteratorINS9_10device_ptrIdEEEENS9_16discard_iteratorINS9_11use_defaultEEEdNS9_4plusIvEEdEEDaPvRmT3_T4_T5_mT6_P12ihipStream_tbENKUlT_T0_E_clISt17integral_constantIbLb1EESX_EEDaSS_ST_EUlSS_E_NS1_11comp_targetILNS1_3genE10ELNS1_11target_archE1201ELNS1_3gpuE5ELNS1_3repE0EEENS1_30default_config_static_selectorELNS0_4arch9wavefront6targetE1EEEvT1_
	.globl	_ZN7rocprim17ROCPRIM_400000_NS6detail17trampoline_kernelINS0_14default_configENS1_20scan_config_selectorIdEEZZNS1_9scan_implILNS1_25lookback_scan_determinismE0ELb1ELb1ES3_N6thrust23THRUST_200600_302600_NS6detail15normal_iteratorINS9_10device_ptrIdEEEENS9_16discard_iteratorINS9_11use_defaultEEEdNS9_4plusIvEEdEEDaPvRmT3_T4_T5_mT6_P12ihipStream_tbENKUlT_T0_E_clISt17integral_constantIbLb1EESX_EEDaSS_ST_EUlSS_E_NS1_11comp_targetILNS1_3genE10ELNS1_11target_archE1201ELNS1_3gpuE5ELNS1_3repE0EEENS1_30default_config_static_selectorELNS0_4arch9wavefront6targetE1EEEvT1_
	.p2align	8
	.type	_ZN7rocprim17ROCPRIM_400000_NS6detail17trampoline_kernelINS0_14default_configENS1_20scan_config_selectorIdEEZZNS1_9scan_implILNS1_25lookback_scan_determinismE0ELb1ELb1ES3_N6thrust23THRUST_200600_302600_NS6detail15normal_iteratorINS9_10device_ptrIdEEEENS9_16discard_iteratorINS9_11use_defaultEEEdNS9_4plusIvEEdEEDaPvRmT3_T4_T5_mT6_P12ihipStream_tbENKUlT_T0_E_clISt17integral_constantIbLb1EESX_EEDaSS_ST_EUlSS_E_NS1_11comp_targetILNS1_3genE10ELNS1_11target_archE1201ELNS1_3gpuE5ELNS1_3repE0EEENS1_30default_config_static_selectorELNS0_4arch9wavefront6targetE1EEEvT1_,@function
_ZN7rocprim17ROCPRIM_400000_NS6detail17trampoline_kernelINS0_14default_configENS1_20scan_config_selectorIdEEZZNS1_9scan_implILNS1_25lookback_scan_determinismE0ELb1ELb1ES3_N6thrust23THRUST_200600_302600_NS6detail15normal_iteratorINS9_10device_ptrIdEEEENS9_16discard_iteratorINS9_11use_defaultEEEdNS9_4plusIvEEdEEDaPvRmT3_T4_T5_mT6_P12ihipStream_tbENKUlT_T0_E_clISt17integral_constantIbLb1EESX_EEDaSS_ST_EUlSS_E_NS1_11comp_targetILNS1_3genE10ELNS1_11target_archE1201ELNS1_3gpuE5ELNS1_3repE0EEENS1_30default_config_static_selectorELNS0_4arch9wavefront6targetE1EEEvT1_: ; @_ZN7rocprim17ROCPRIM_400000_NS6detail17trampoline_kernelINS0_14default_configENS1_20scan_config_selectorIdEEZZNS1_9scan_implILNS1_25lookback_scan_determinismE0ELb1ELb1ES3_N6thrust23THRUST_200600_302600_NS6detail15normal_iteratorINS9_10device_ptrIdEEEENS9_16discard_iteratorINS9_11use_defaultEEEdNS9_4plusIvEEdEEDaPvRmT3_T4_T5_mT6_P12ihipStream_tbENKUlT_T0_E_clISt17integral_constantIbLb1EESX_EEDaSS_ST_EUlSS_E_NS1_11comp_targetILNS1_3genE10ELNS1_11target_archE1201ELNS1_3gpuE5ELNS1_3repE0EEENS1_30default_config_static_selectorELNS0_4arch9wavefront6targetE1EEEvT1_
; %bb.0:
	.section	.rodata,"a",@progbits
	.p2align	6, 0x0
	.amdhsa_kernel _ZN7rocprim17ROCPRIM_400000_NS6detail17trampoline_kernelINS0_14default_configENS1_20scan_config_selectorIdEEZZNS1_9scan_implILNS1_25lookback_scan_determinismE0ELb1ELb1ES3_N6thrust23THRUST_200600_302600_NS6detail15normal_iteratorINS9_10device_ptrIdEEEENS9_16discard_iteratorINS9_11use_defaultEEEdNS9_4plusIvEEdEEDaPvRmT3_T4_T5_mT6_P12ihipStream_tbENKUlT_T0_E_clISt17integral_constantIbLb1EESX_EEDaSS_ST_EUlSS_E_NS1_11comp_targetILNS1_3genE10ELNS1_11target_archE1201ELNS1_3gpuE5ELNS1_3repE0EEENS1_30default_config_static_selectorELNS0_4arch9wavefront6targetE1EEEvT1_
		.amdhsa_group_segment_fixed_size 0
		.amdhsa_private_segment_fixed_size 0
		.amdhsa_kernarg_size 112
		.amdhsa_user_sgpr_count 6
		.amdhsa_user_sgpr_private_segment_buffer 1
		.amdhsa_user_sgpr_dispatch_ptr 0
		.amdhsa_user_sgpr_queue_ptr 0
		.amdhsa_user_sgpr_kernarg_segment_ptr 1
		.amdhsa_user_sgpr_dispatch_id 0
		.amdhsa_user_sgpr_flat_scratch_init 0
		.amdhsa_user_sgpr_kernarg_preload_length 0
		.amdhsa_user_sgpr_kernarg_preload_offset 0
		.amdhsa_user_sgpr_private_segment_size 0
		.amdhsa_uses_dynamic_stack 0
		.amdhsa_system_sgpr_private_segment_wavefront_offset 0
		.amdhsa_system_sgpr_workgroup_id_x 1
		.amdhsa_system_sgpr_workgroup_id_y 0
		.amdhsa_system_sgpr_workgroup_id_z 0
		.amdhsa_system_sgpr_workgroup_info 0
		.amdhsa_system_vgpr_workitem_id 0
		.amdhsa_next_free_vgpr 1
		.amdhsa_next_free_sgpr 0
		.amdhsa_accum_offset 4
		.amdhsa_reserve_vcc 0
		.amdhsa_reserve_flat_scratch 0
		.amdhsa_float_round_mode_32 0
		.amdhsa_float_round_mode_16_64 0
		.amdhsa_float_denorm_mode_32 3
		.amdhsa_float_denorm_mode_16_64 3
		.amdhsa_dx10_clamp 1
		.amdhsa_ieee_mode 1
		.amdhsa_fp16_overflow 0
		.amdhsa_tg_split 0
		.amdhsa_exception_fp_ieee_invalid_op 0
		.amdhsa_exception_fp_denorm_src 0
		.amdhsa_exception_fp_ieee_div_zero 0
		.amdhsa_exception_fp_ieee_overflow 0
		.amdhsa_exception_fp_ieee_underflow 0
		.amdhsa_exception_fp_ieee_inexact 0
		.amdhsa_exception_int_div_zero 0
	.end_amdhsa_kernel
	.section	.text._ZN7rocprim17ROCPRIM_400000_NS6detail17trampoline_kernelINS0_14default_configENS1_20scan_config_selectorIdEEZZNS1_9scan_implILNS1_25lookback_scan_determinismE0ELb1ELb1ES3_N6thrust23THRUST_200600_302600_NS6detail15normal_iteratorINS9_10device_ptrIdEEEENS9_16discard_iteratorINS9_11use_defaultEEEdNS9_4plusIvEEdEEDaPvRmT3_T4_T5_mT6_P12ihipStream_tbENKUlT_T0_E_clISt17integral_constantIbLb1EESX_EEDaSS_ST_EUlSS_E_NS1_11comp_targetILNS1_3genE10ELNS1_11target_archE1201ELNS1_3gpuE5ELNS1_3repE0EEENS1_30default_config_static_selectorELNS0_4arch9wavefront6targetE1EEEvT1_,"axG",@progbits,_ZN7rocprim17ROCPRIM_400000_NS6detail17trampoline_kernelINS0_14default_configENS1_20scan_config_selectorIdEEZZNS1_9scan_implILNS1_25lookback_scan_determinismE0ELb1ELb1ES3_N6thrust23THRUST_200600_302600_NS6detail15normal_iteratorINS9_10device_ptrIdEEEENS9_16discard_iteratorINS9_11use_defaultEEEdNS9_4plusIvEEdEEDaPvRmT3_T4_T5_mT6_P12ihipStream_tbENKUlT_T0_E_clISt17integral_constantIbLb1EESX_EEDaSS_ST_EUlSS_E_NS1_11comp_targetILNS1_3genE10ELNS1_11target_archE1201ELNS1_3gpuE5ELNS1_3repE0EEENS1_30default_config_static_selectorELNS0_4arch9wavefront6targetE1EEEvT1_,comdat
.Lfunc_end4957:
	.size	_ZN7rocprim17ROCPRIM_400000_NS6detail17trampoline_kernelINS0_14default_configENS1_20scan_config_selectorIdEEZZNS1_9scan_implILNS1_25lookback_scan_determinismE0ELb1ELb1ES3_N6thrust23THRUST_200600_302600_NS6detail15normal_iteratorINS9_10device_ptrIdEEEENS9_16discard_iteratorINS9_11use_defaultEEEdNS9_4plusIvEEdEEDaPvRmT3_T4_T5_mT6_P12ihipStream_tbENKUlT_T0_E_clISt17integral_constantIbLb1EESX_EEDaSS_ST_EUlSS_E_NS1_11comp_targetILNS1_3genE10ELNS1_11target_archE1201ELNS1_3gpuE5ELNS1_3repE0EEENS1_30default_config_static_selectorELNS0_4arch9wavefront6targetE1EEEvT1_, .Lfunc_end4957-_ZN7rocprim17ROCPRIM_400000_NS6detail17trampoline_kernelINS0_14default_configENS1_20scan_config_selectorIdEEZZNS1_9scan_implILNS1_25lookback_scan_determinismE0ELb1ELb1ES3_N6thrust23THRUST_200600_302600_NS6detail15normal_iteratorINS9_10device_ptrIdEEEENS9_16discard_iteratorINS9_11use_defaultEEEdNS9_4plusIvEEdEEDaPvRmT3_T4_T5_mT6_P12ihipStream_tbENKUlT_T0_E_clISt17integral_constantIbLb1EESX_EEDaSS_ST_EUlSS_E_NS1_11comp_targetILNS1_3genE10ELNS1_11target_archE1201ELNS1_3gpuE5ELNS1_3repE0EEENS1_30default_config_static_selectorELNS0_4arch9wavefront6targetE1EEEvT1_
                                        ; -- End function
	.section	.AMDGPU.csdata,"",@progbits
; Kernel info:
; codeLenInByte = 0
; NumSgprs: 4
; NumVgprs: 0
; NumAgprs: 0
; TotalNumVgprs: 0
; ScratchSize: 0
; MemoryBound: 0
; FloatMode: 240
; IeeeMode: 1
; LDSByteSize: 0 bytes/workgroup (compile time only)
; SGPRBlocks: 0
; VGPRBlocks: 0
; NumSGPRsForWavesPerEU: 4
; NumVGPRsForWavesPerEU: 1
; AccumOffset: 4
; Occupancy: 8
; WaveLimiterHint : 0
; COMPUTE_PGM_RSRC2:SCRATCH_EN: 0
; COMPUTE_PGM_RSRC2:USER_SGPR: 6
; COMPUTE_PGM_RSRC2:TRAP_HANDLER: 0
; COMPUTE_PGM_RSRC2:TGID_X_EN: 1
; COMPUTE_PGM_RSRC2:TGID_Y_EN: 0
; COMPUTE_PGM_RSRC2:TGID_Z_EN: 0
; COMPUTE_PGM_RSRC2:TIDIG_COMP_CNT: 0
; COMPUTE_PGM_RSRC3_GFX90A:ACCUM_OFFSET: 0
; COMPUTE_PGM_RSRC3_GFX90A:TG_SPLIT: 0
	.section	.text._ZN7rocprim17ROCPRIM_400000_NS6detail17trampoline_kernelINS0_14default_configENS1_20scan_config_selectorIdEEZZNS1_9scan_implILNS1_25lookback_scan_determinismE0ELb1ELb1ES3_N6thrust23THRUST_200600_302600_NS6detail15normal_iteratorINS9_10device_ptrIdEEEENS9_16discard_iteratorINS9_11use_defaultEEEdNS9_4plusIvEEdEEDaPvRmT3_T4_T5_mT6_P12ihipStream_tbENKUlT_T0_E_clISt17integral_constantIbLb1EESX_EEDaSS_ST_EUlSS_E_NS1_11comp_targetILNS1_3genE10ELNS1_11target_archE1200ELNS1_3gpuE4ELNS1_3repE0EEENS1_30default_config_static_selectorELNS0_4arch9wavefront6targetE1EEEvT1_,"axG",@progbits,_ZN7rocprim17ROCPRIM_400000_NS6detail17trampoline_kernelINS0_14default_configENS1_20scan_config_selectorIdEEZZNS1_9scan_implILNS1_25lookback_scan_determinismE0ELb1ELb1ES3_N6thrust23THRUST_200600_302600_NS6detail15normal_iteratorINS9_10device_ptrIdEEEENS9_16discard_iteratorINS9_11use_defaultEEEdNS9_4plusIvEEdEEDaPvRmT3_T4_T5_mT6_P12ihipStream_tbENKUlT_T0_E_clISt17integral_constantIbLb1EESX_EEDaSS_ST_EUlSS_E_NS1_11comp_targetILNS1_3genE10ELNS1_11target_archE1200ELNS1_3gpuE4ELNS1_3repE0EEENS1_30default_config_static_selectorELNS0_4arch9wavefront6targetE1EEEvT1_,comdat
	.protected	_ZN7rocprim17ROCPRIM_400000_NS6detail17trampoline_kernelINS0_14default_configENS1_20scan_config_selectorIdEEZZNS1_9scan_implILNS1_25lookback_scan_determinismE0ELb1ELb1ES3_N6thrust23THRUST_200600_302600_NS6detail15normal_iteratorINS9_10device_ptrIdEEEENS9_16discard_iteratorINS9_11use_defaultEEEdNS9_4plusIvEEdEEDaPvRmT3_T4_T5_mT6_P12ihipStream_tbENKUlT_T0_E_clISt17integral_constantIbLb1EESX_EEDaSS_ST_EUlSS_E_NS1_11comp_targetILNS1_3genE10ELNS1_11target_archE1200ELNS1_3gpuE4ELNS1_3repE0EEENS1_30default_config_static_selectorELNS0_4arch9wavefront6targetE1EEEvT1_ ; -- Begin function _ZN7rocprim17ROCPRIM_400000_NS6detail17trampoline_kernelINS0_14default_configENS1_20scan_config_selectorIdEEZZNS1_9scan_implILNS1_25lookback_scan_determinismE0ELb1ELb1ES3_N6thrust23THRUST_200600_302600_NS6detail15normal_iteratorINS9_10device_ptrIdEEEENS9_16discard_iteratorINS9_11use_defaultEEEdNS9_4plusIvEEdEEDaPvRmT3_T4_T5_mT6_P12ihipStream_tbENKUlT_T0_E_clISt17integral_constantIbLb1EESX_EEDaSS_ST_EUlSS_E_NS1_11comp_targetILNS1_3genE10ELNS1_11target_archE1200ELNS1_3gpuE4ELNS1_3repE0EEENS1_30default_config_static_selectorELNS0_4arch9wavefront6targetE1EEEvT1_
	.globl	_ZN7rocprim17ROCPRIM_400000_NS6detail17trampoline_kernelINS0_14default_configENS1_20scan_config_selectorIdEEZZNS1_9scan_implILNS1_25lookback_scan_determinismE0ELb1ELb1ES3_N6thrust23THRUST_200600_302600_NS6detail15normal_iteratorINS9_10device_ptrIdEEEENS9_16discard_iteratorINS9_11use_defaultEEEdNS9_4plusIvEEdEEDaPvRmT3_T4_T5_mT6_P12ihipStream_tbENKUlT_T0_E_clISt17integral_constantIbLb1EESX_EEDaSS_ST_EUlSS_E_NS1_11comp_targetILNS1_3genE10ELNS1_11target_archE1200ELNS1_3gpuE4ELNS1_3repE0EEENS1_30default_config_static_selectorELNS0_4arch9wavefront6targetE1EEEvT1_
	.p2align	8
	.type	_ZN7rocprim17ROCPRIM_400000_NS6detail17trampoline_kernelINS0_14default_configENS1_20scan_config_selectorIdEEZZNS1_9scan_implILNS1_25lookback_scan_determinismE0ELb1ELb1ES3_N6thrust23THRUST_200600_302600_NS6detail15normal_iteratorINS9_10device_ptrIdEEEENS9_16discard_iteratorINS9_11use_defaultEEEdNS9_4plusIvEEdEEDaPvRmT3_T4_T5_mT6_P12ihipStream_tbENKUlT_T0_E_clISt17integral_constantIbLb1EESX_EEDaSS_ST_EUlSS_E_NS1_11comp_targetILNS1_3genE10ELNS1_11target_archE1200ELNS1_3gpuE4ELNS1_3repE0EEENS1_30default_config_static_selectorELNS0_4arch9wavefront6targetE1EEEvT1_,@function
_ZN7rocprim17ROCPRIM_400000_NS6detail17trampoline_kernelINS0_14default_configENS1_20scan_config_selectorIdEEZZNS1_9scan_implILNS1_25lookback_scan_determinismE0ELb1ELb1ES3_N6thrust23THRUST_200600_302600_NS6detail15normal_iteratorINS9_10device_ptrIdEEEENS9_16discard_iteratorINS9_11use_defaultEEEdNS9_4plusIvEEdEEDaPvRmT3_T4_T5_mT6_P12ihipStream_tbENKUlT_T0_E_clISt17integral_constantIbLb1EESX_EEDaSS_ST_EUlSS_E_NS1_11comp_targetILNS1_3genE10ELNS1_11target_archE1200ELNS1_3gpuE4ELNS1_3repE0EEENS1_30default_config_static_selectorELNS0_4arch9wavefront6targetE1EEEvT1_: ; @_ZN7rocprim17ROCPRIM_400000_NS6detail17trampoline_kernelINS0_14default_configENS1_20scan_config_selectorIdEEZZNS1_9scan_implILNS1_25lookback_scan_determinismE0ELb1ELb1ES3_N6thrust23THRUST_200600_302600_NS6detail15normal_iteratorINS9_10device_ptrIdEEEENS9_16discard_iteratorINS9_11use_defaultEEEdNS9_4plusIvEEdEEDaPvRmT3_T4_T5_mT6_P12ihipStream_tbENKUlT_T0_E_clISt17integral_constantIbLb1EESX_EEDaSS_ST_EUlSS_E_NS1_11comp_targetILNS1_3genE10ELNS1_11target_archE1200ELNS1_3gpuE4ELNS1_3repE0EEENS1_30default_config_static_selectorELNS0_4arch9wavefront6targetE1EEEvT1_
; %bb.0:
	.section	.rodata,"a",@progbits
	.p2align	6, 0x0
	.amdhsa_kernel _ZN7rocprim17ROCPRIM_400000_NS6detail17trampoline_kernelINS0_14default_configENS1_20scan_config_selectorIdEEZZNS1_9scan_implILNS1_25lookback_scan_determinismE0ELb1ELb1ES3_N6thrust23THRUST_200600_302600_NS6detail15normal_iteratorINS9_10device_ptrIdEEEENS9_16discard_iteratorINS9_11use_defaultEEEdNS9_4plusIvEEdEEDaPvRmT3_T4_T5_mT6_P12ihipStream_tbENKUlT_T0_E_clISt17integral_constantIbLb1EESX_EEDaSS_ST_EUlSS_E_NS1_11comp_targetILNS1_3genE10ELNS1_11target_archE1200ELNS1_3gpuE4ELNS1_3repE0EEENS1_30default_config_static_selectorELNS0_4arch9wavefront6targetE1EEEvT1_
		.amdhsa_group_segment_fixed_size 0
		.amdhsa_private_segment_fixed_size 0
		.amdhsa_kernarg_size 112
		.amdhsa_user_sgpr_count 6
		.amdhsa_user_sgpr_private_segment_buffer 1
		.amdhsa_user_sgpr_dispatch_ptr 0
		.amdhsa_user_sgpr_queue_ptr 0
		.amdhsa_user_sgpr_kernarg_segment_ptr 1
		.amdhsa_user_sgpr_dispatch_id 0
		.amdhsa_user_sgpr_flat_scratch_init 0
		.amdhsa_user_sgpr_kernarg_preload_length 0
		.amdhsa_user_sgpr_kernarg_preload_offset 0
		.amdhsa_user_sgpr_private_segment_size 0
		.amdhsa_uses_dynamic_stack 0
		.amdhsa_system_sgpr_private_segment_wavefront_offset 0
		.amdhsa_system_sgpr_workgroup_id_x 1
		.amdhsa_system_sgpr_workgroup_id_y 0
		.amdhsa_system_sgpr_workgroup_id_z 0
		.amdhsa_system_sgpr_workgroup_info 0
		.amdhsa_system_vgpr_workitem_id 0
		.amdhsa_next_free_vgpr 1
		.amdhsa_next_free_sgpr 0
		.amdhsa_accum_offset 4
		.amdhsa_reserve_vcc 0
		.amdhsa_reserve_flat_scratch 0
		.amdhsa_float_round_mode_32 0
		.amdhsa_float_round_mode_16_64 0
		.amdhsa_float_denorm_mode_32 3
		.amdhsa_float_denorm_mode_16_64 3
		.amdhsa_dx10_clamp 1
		.amdhsa_ieee_mode 1
		.amdhsa_fp16_overflow 0
		.amdhsa_tg_split 0
		.amdhsa_exception_fp_ieee_invalid_op 0
		.amdhsa_exception_fp_denorm_src 0
		.amdhsa_exception_fp_ieee_div_zero 0
		.amdhsa_exception_fp_ieee_overflow 0
		.amdhsa_exception_fp_ieee_underflow 0
		.amdhsa_exception_fp_ieee_inexact 0
		.amdhsa_exception_int_div_zero 0
	.end_amdhsa_kernel
	.section	.text._ZN7rocprim17ROCPRIM_400000_NS6detail17trampoline_kernelINS0_14default_configENS1_20scan_config_selectorIdEEZZNS1_9scan_implILNS1_25lookback_scan_determinismE0ELb1ELb1ES3_N6thrust23THRUST_200600_302600_NS6detail15normal_iteratorINS9_10device_ptrIdEEEENS9_16discard_iteratorINS9_11use_defaultEEEdNS9_4plusIvEEdEEDaPvRmT3_T4_T5_mT6_P12ihipStream_tbENKUlT_T0_E_clISt17integral_constantIbLb1EESX_EEDaSS_ST_EUlSS_E_NS1_11comp_targetILNS1_3genE10ELNS1_11target_archE1200ELNS1_3gpuE4ELNS1_3repE0EEENS1_30default_config_static_selectorELNS0_4arch9wavefront6targetE1EEEvT1_,"axG",@progbits,_ZN7rocprim17ROCPRIM_400000_NS6detail17trampoline_kernelINS0_14default_configENS1_20scan_config_selectorIdEEZZNS1_9scan_implILNS1_25lookback_scan_determinismE0ELb1ELb1ES3_N6thrust23THRUST_200600_302600_NS6detail15normal_iteratorINS9_10device_ptrIdEEEENS9_16discard_iteratorINS9_11use_defaultEEEdNS9_4plusIvEEdEEDaPvRmT3_T4_T5_mT6_P12ihipStream_tbENKUlT_T0_E_clISt17integral_constantIbLb1EESX_EEDaSS_ST_EUlSS_E_NS1_11comp_targetILNS1_3genE10ELNS1_11target_archE1200ELNS1_3gpuE4ELNS1_3repE0EEENS1_30default_config_static_selectorELNS0_4arch9wavefront6targetE1EEEvT1_,comdat
.Lfunc_end4958:
	.size	_ZN7rocprim17ROCPRIM_400000_NS6detail17trampoline_kernelINS0_14default_configENS1_20scan_config_selectorIdEEZZNS1_9scan_implILNS1_25lookback_scan_determinismE0ELb1ELb1ES3_N6thrust23THRUST_200600_302600_NS6detail15normal_iteratorINS9_10device_ptrIdEEEENS9_16discard_iteratorINS9_11use_defaultEEEdNS9_4plusIvEEdEEDaPvRmT3_T4_T5_mT6_P12ihipStream_tbENKUlT_T0_E_clISt17integral_constantIbLb1EESX_EEDaSS_ST_EUlSS_E_NS1_11comp_targetILNS1_3genE10ELNS1_11target_archE1200ELNS1_3gpuE4ELNS1_3repE0EEENS1_30default_config_static_selectorELNS0_4arch9wavefront6targetE1EEEvT1_, .Lfunc_end4958-_ZN7rocprim17ROCPRIM_400000_NS6detail17trampoline_kernelINS0_14default_configENS1_20scan_config_selectorIdEEZZNS1_9scan_implILNS1_25lookback_scan_determinismE0ELb1ELb1ES3_N6thrust23THRUST_200600_302600_NS6detail15normal_iteratorINS9_10device_ptrIdEEEENS9_16discard_iteratorINS9_11use_defaultEEEdNS9_4plusIvEEdEEDaPvRmT3_T4_T5_mT6_P12ihipStream_tbENKUlT_T0_E_clISt17integral_constantIbLb1EESX_EEDaSS_ST_EUlSS_E_NS1_11comp_targetILNS1_3genE10ELNS1_11target_archE1200ELNS1_3gpuE4ELNS1_3repE0EEENS1_30default_config_static_selectorELNS0_4arch9wavefront6targetE1EEEvT1_
                                        ; -- End function
	.section	.AMDGPU.csdata,"",@progbits
; Kernel info:
; codeLenInByte = 0
; NumSgprs: 4
; NumVgprs: 0
; NumAgprs: 0
; TotalNumVgprs: 0
; ScratchSize: 0
; MemoryBound: 0
; FloatMode: 240
; IeeeMode: 1
; LDSByteSize: 0 bytes/workgroup (compile time only)
; SGPRBlocks: 0
; VGPRBlocks: 0
; NumSGPRsForWavesPerEU: 4
; NumVGPRsForWavesPerEU: 1
; AccumOffset: 4
; Occupancy: 8
; WaveLimiterHint : 0
; COMPUTE_PGM_RSRC2:SCRATCH_EN: 0
; COMPUTE_PGM_RSRC2:USER_SGPR: 6
; COMPUTE_PGM_RSRC2:TRAP_HANDLER: 0
; COMPUTE_PGM_RSRC2:TGID_X_EN: 1
; COMPUTE_PGM_RSRC2:TGID_Y_EN: 0
; COMPUTE_PGM_RSRC2:TGID_Z_EN: 0
; COMPUTE_PGM_RSRC2:TIDIG_COMP_CNT: 0
; COMPUTE_PGM_RSRC3_GFX90A:ACCUM_OFFSET: 0
; COMPUTE_PGM_RSRC3_GFX90A:TG_SPLIT: 0
	.section	.text._ZN7rocprim17ROCPRIM_400000_NS6detail17trampoline_kernelINS0_14default_configENS1_20scan_config_selectorIdEEZZNS1_9scan_implILNS1_25lookback_scan_determinismE0ELb1ELb1ES3_N6thrust23THRUST_200600_302600_NS6detail15normal_iteratorINS9_10device_ptrIdEEEENS9_16discard_iteratorINS9_11use_defaultEEEdNS9_4plusIvEEdEEDaPvRmT3_T4_T5_mT6_P12ihipStream_tbENKUlT_T0_E_clISt17integral_constantIbLb1EESX_EEDaSS_ST_EUlSS_E_NS1_11comp_targetILNS1_3genE9ELNS1_11target_archE1100ELNS1_3gpuE3ELNS1_3repE0EEENS1_30default_config_static_selectorELNS0_4arch9wavefront6targetE1EEEvT1_,"axG",@progbits,_ZN7rocprim17ROCPRIM_400000_NS6detail17trampoline_kernelINS0_14default_configENS1_20scan_config_selectorIdEEZZNS1_9scan_implILNS1_25lookback_scan_determinismE0ELb1ELb1ES3_N6thrust23THRUST_200600_302600_NS6detail15normal_iteratorINS9_10device_ptrIdEEEENS9_16discard_iteratorINS9_11use_defaultEEEdNS9_4plusIvEEdEEDaPvRmT3_T4_T5_mT6_P12ihipStream_tbENKUlT_T0_E_clISt17integral_constantIbLb1EESX_EEDaSS_ST_EUlSS_E_NS1_11comp_targetILNS1_3genE9ELNS1_11target_archE1100ELNS1_3gpuE3ELNS1_3repE0EEENS1_30default_config_static_selectorELNS0_4arch9wavefront6targetE1EEEvT1_,comdat
	.protected	_ZN7rocprim17ROCPRIM_400000_NS6detail17trampoline_kernelINS0_14default_configENS1_20scan_config_selectorIdEEZZNS1_9scan_implILNS1_25lookback_scan_determinismE0ELb1ELb1ES3_N6thrust23THRUST_200600_302600_NS6detail15normal_iteratorINS9_10device_ptrIdEEEENS9_16discard_iteratorINS9_11use_defaultEEEdNS9_4plusIvEEdEEDaPvRmT3_T4_T5_mT6_P12ihipStream_tbENKUlT_T0_E_clISt17integral_constantIbLb1EESX_EEDaSS_ST_EUlSS_E_NS1_11comp_targetILNS1_3genE9ELNS1_11target_archE1100ELNS1_3gpuE3ELNS1_3repE0EEENS1_30default_config_static_selectorELNS0_4arch9wavefront6targetE1EEEvT1_ ; -- Begin function _ZN7rocprim17ROCPRIM_400000_NS6detail17trampoline_kernelINS0_14default_configENS1_20scan_config_selectorIdEEZZNS1_9scan_implILNS1_25lookback_scan_determinismE0ELb1ELb1ES3_N6thrust23THRUST_200600_302600_NS6detail15normal_iteratorINS9_10device_ptrIdEEEENS9_16discard_iteratorINS9_11use_defaultEEEdNS9_4plusIvEEdEEDaPvRmT3_T4_T5_mT6_P12ihipStream_tbENKUlT_T0_E_clISt17integral_constantIbLb1EESX_EEDaSS_ST_EUlSS_E_NS1_11comp_targetILNS1_3genE9ELNS1_11target_archE1100ELNS1_3gpuE3ELNS1_3repE0EEENS1_30default_config_static_selectorELNS0_4arch9wavefront6targetE1EEEvT1_
	.globl	_ZN7rocprim17ROCPRIM_400000_NS6detail17trampoline_kernelINS0_14default_configENS1_20scan_config_selectorIdEEZZNS1_9scan_implILNS1_25lookback_scan_determinismE0ELb1ELb1ES3_N6thrust23THRUST_200600_302600_NS6detail15normal_iteratorINS9_10device_ptrIdEEEENS9_16discard_iteratorINS9_11use_defaultEEEdNS9_4plusIvEEdEEDaPvRmT3_T4_T5_mT6_P12ihipStream_tbENKUlT_T0_E_clISt17integral_constantIbLb1EESX_EEDaSS_ST_EUlSS_E_NS1_11comp_targetILNS1_3genE9ELNS1_11target_archE1100ELNS1_3gpuE3ELNS1_3repE0EEENS1_30default_config_static_selectorELNS0_4arch9wavefront6targetE1EEEvT1_
	.p2align	8
	.type	_ZN7rocprim17ROCPRIM_400000_NS6detail17trampoline_kernelINS0_14default_configENS1_20scan_config_selectorIdEEZZNS1_9scan_implILNS1_25lookback_scan_determinismE0ELb1ELb1ES3_N6thrust23THRUST_200600_302600_NS6detail15normal_iteratorINS9_10device_ptrIdEEEENS9_16discard_iteratorINS9_11use_defaultEEEdNS9_4plusIvEEdEEDaPvRmT3_T4_T5_mT6_P12ihipStream_tbENKUlT_T0_E_clISt17integral_constantIbLb1EESX_EEDaSS_ST_EUlSS_E_NS1_11comp_targetILNS1_3genE9ELNS1_11target_archE1100ELNS1_3gpuE3ELNS1_3repE0EEENS1_30default_config_static_selectorELNS0_4arch9wavefront6targetE1EEEvT1_,@function
_ZN7rocprim17ROCPRIM_400000_NS6detail17trampoline_kernelINS0_14default_configENS1_20scan_config_selectorIdEEZZNS1_9scan_implILNS1_25lookback_scan_determinismE0ELb1ELb1ES3_N6thrust23THRUST_200600_302600_NS6detail15normal_iteratorINS9_10device_ptrIdEEEENS9_16discard_iteratorINS9_11use_defaultEEEdNS9_4plusIvEEdEEDaPvRmT3_T4_T5_mT6_P12ihipStream_tbENKUlT_T0_E_clISt17integral_constantIbLb1EESX_EEDaSS_ST_EUlSS_E_NS1_11comp_targetILNS1_3genE9ELNS1_11target_archE1100ELNS1_3gpuE3ELNS1_3repE0EEENS1_30default_config_static_selectorELNS0_4arch9wavefront6targetE1EEEvT1_: ; @_ZN7rocprim17ROCPRIM_400000_NS6detail17trampoline_kernelINS0_14default_configENS1_20scan_config_selectorIdEEZZNS1_9scan_implILNS1_25lookback_scan_determinismE0ELb1ELb1ES3_N6thrust23THRUST_200600_302600_NS6detail15normal_iteratorINS9_10device_ptrIdEEEENS9_16discard_iteratorINS9_11use_defaultEEEdNS9_4plusIvEEdEEDaPvRmT3_T4_T5_mT6_P12ihipStream_tbENKUlT_T0_E_clISt17integral_constantIbLb1EESX_EEDaSS_ST_EUlSS_E_NS1_11comp_targetILNS1_3genE9ELNS1_11target_archE1100ELNS1_3gpuE3ELNS1_3repE0EEENS1_30default_config_static_selectorELNS0_4arch9wavefront6targetE1EEEvT1_
; %bb.0:
	.section	.rodata,"a",@progbits
	.p2align	6, 0x0
	.amdhsa_kernel _ZN7rocprim17ROCPRIM_400000_NS6detail17trampoline_kernelINS0_14default_configENS1_20scan_config_selectorIdEEZZNS1_9scan_implILNS1_25lookback_scan_determinismE0ELb1ELb1ES3_N6thrust23THRUST_200600_302600_NS6detail15normal_iteratorINS9_10device_ptrIdEEEENS9_16discard_iteratorINS9_11use_defaultEEEdNS9_4plusIvEEdEEDaPvRmT3_T4_T5_mT6_P12ihipStream_tbENKUlT_T0_E_clISt17integral_constantIbLb1EESX_EEDaSS_ST_EUlSS_E_NS1_11comp_targetILNS1_3genE9ELNS1_11target_archE1100ELNS1_3gpuE3ELNS1_3repE0EEENS1_30default_config_static_selectorELNS0_4arch9wavefront6targetE1EEEvT1_
		.amdhsa_group_segment_fixed_size 0
		.amdhsa_private_segment_fixed_size 0
		.amdhsa_kernarg_size 112
		.amdhsa_user_sgpr_count 6
		.amdhsa_user_sgpr_private_segment_buffer 1
		.amdhsa_user_sgpr_dispatch_ptr 0
		.amdhsa_user_sgpr_queue_ptr 0
		.amdhsa_user_sgpr_kernarg_segment_ptr 1
		.amdhsa_user_sgpr_dispatch_id 0
		.amdhsa_user_sgpr_flat_scratch_init 0
		.amdhsa_user_sgpr_kernarg_preload_length 0
		.amdhsa_user_sgpr_kernarg_preload_offset 0
		.amdhsa_user_sgpr_private_segment_size 0
		.amdhsa_uses_dynamic_stack 0
		.amdhsa_system_sgpr_private_segment_wavefront_offset 0
		.amdhsa_system_sgpr_workgroup_id_x 1
		.amdhsa_system_sgpr_workgroup_id_y 0
		.amdhsa_system_sgpr_workgroup_id_z 0
		.amdhsa_system_sgpr_workgroup_info 0
		.amdhsa_system_vgpr_workitem_id 0
		.amdhsa_next_free_vgpr 1
		.amdhsa_next_free_sgpr 0
		.amdhsa_accum_offset 4
		.amdhsa_reserve_vcc 0
		.amdhsa_reserve_flat_scratch 0
		.amdhsa_float_round_mode_32 0
		.amdhsa_float_round_mode_16_64 0
		.amdhsa_float_denorm_mode_32 3
		.amdhsa_float_denorm_mode_16_64 3
		.amdhsa_dx10_clamp 1
		.amdhsa_ieee_mode 1
		.amdhsa_fp16_overflow 0
		.amdhsa_tg_split 0
		.amdhsa_exception_fp_ieee_invalid_op 0
		.amdhsa_exception_fp_denorm_src 0
		.amdhsa_exception_fp_ieee_div_zero 0
		.amdhsa_exception_fp_ieee_overflow 0
		.amdhsa_exception_fp_ieee_underflow 0
		.amdhsa_exception_fp_ieee_inexact 0
		.amdhsa_exception_int_div_zero 0
	.end_amdhsa_kernel
	.section	.text._ZN7rocprim17ROCPRIM_400000_NS6detail17trampoline_kernelINS0_14default_configENS1_20scan_config_selectorIdEEZZNS1_9scan_implILNS1_25lookback_scan_determinismE0ELb1ELb1ES3_N6thrust23THRUST_200600_302600_NS6detail15normal_iteratorINS9_10device_ptrIdEEEENS9_16discard_iteratorINS9_11use_defaultEEEdNS9_4plusIvEEdEEDaPvRmT3_T4_T5_mT6_P12ihipStream_tbENKUlT_T0_E_clISt17integral_constantIbLb1EESX_EEDaSS_ST_EUlSS_E_NS1_11comp_targetILNS1_3genE9ELNS1_11target_archE1100ELNS1_3gpuE3ELNS1_3repE0EEENS1_30default_config_static_selectorELNS0_4arch9wavefront6targetE1EEEvT1_,"axG",@progbits,_ZN7rocprim17ROCPRIM_400000_NS6detail17trampoline_kernelINS0_14default_configENS1_20scan_config_selectorIdEEZZNS1_9scan_implILNS1_25lookback_scan_determinismE0ELb1ELb1ES3_N6thrust23THRUST_200600_302600_NS6detail15normal_iteratorINS9_10device_ptrIdEEEENS9_16discard_iteratorINS9_11use_defaultEEEdNS9_4plusIvEEdEEDaPvRmT3_T4_T5_mT6_P12ihipStream_tbENKUlT_T0_E_clISt17integral_constantIbLb1EESX_EEDaSS_ST_EUlSS_E_NS1_11comp_targetILNS1_3genE9ELNS1_11target_archE1100ELNS1_3gpuE3ELNS1_3repE0EEENS1_30default_config_static_selectorELNS0_4arch9wavefront6targetE1EEEvT1_,comdat
.Lfunc_end4959:
	.size	_ZN7rocprim17ROCPRIM_400000_NS6detail17trampoline_kernelINS0_14default_configENS1_20scan_config_selectorIdEEZZNS1_9scan_implILNS1_25lookback_scan_determinismE0ELb1ELb1ES3_N6thrust23THRUST_200600_302600_NS6detail15normal_iteratorINS9_10device_ptrIdEEEENS9_16discard_iteratorINS9_11use_defaultEEEdNS9_4plusIvEEdEEDaPvRmT3_T4_T5_mT6_P12ihipStream_tbENKUlT_T0_E_clISt17integral_constantIbLb1EESX_EEDaSS_ST_EUlSS_E_NS1_11comp_targetILNS1_3genE9ELNS1_11target_archE1100ELNS1_3gpuE3ELNS1_3repE0EEENS1_30default_config_static_selectorELNS0_4arch9wavefront6targetE1EEEvT1_, .Lfunc_end4959-_ZN7rocprim17ROCPRIM_400000_NS6detail17trampoline_kernelINS0_14default_configENS1_20scan_config_selectorIdEEZZNS1_9scan_implILNS1_25lookback_scan_determinismE0ELb1ELb1ES3_N6thrust23THRUST_200600_302600_NS6detail15normal_iteratorINS9_10device_ptrIdEEEENS9_16discard_iteratorINS9_11use_defaultEEEdNS9_4plusIvEEdEEDaPvRmT3_T4_T5_mT6_P12ihipStream_tbENKUlT_T0_E_clISt17integral_constantIbLb1EESX_EEDaSS_ST_EUlSS_E_NS1_11comp_targetILNS1_3genE9ELNS1_11target_archE1100ELNS1_3gpuE3ELNS1_3repE0EEENS1_30default_config_static_selectorELNS0_4arch9wavefront6targetE1EEEvT1_
                                        ; -- End function
	.section	.AMDGPU.csdata,"",@progbits
; Kernel info:
; codeLenInByte = 0
; NumSgprs: 4
; NumVgprs: 0
; NumAgprs: 0
; TotalNumVgprs: 0
; ScratchSize: 0
; MemoryBound: 0
; FloatMode: 240
; IeeeMode: 1
; LDSByteSize: 0 bytes/workgroup (compile time only)
; SGPRBlocks: 0
; VGPRBlocks: 0
; NumSGPRsForWavesPerEU: 4
; NumVGPRsForWavesPerEU: 1
; AccumOffset: 4
; Occupancy: 8
; WaveLimiterHint : 0
; COMPUTE_PGM_RSRC2:SCRATCH_EN: 0
; COMPUTE_PGM_RSRC2:USER_SGPR: 6
; COMPUTE_PGM_RSRC2:TRAP_HANDLER: 0
; COMPUTE_PGM_RSRC2:TGID_X_EN: 1
; COMPUTE_PGM_RSRC2:TGID_Y_EN: 0
; COMPUTE_PGM_RSRC2:TGID_Z_EN: 0
; COMPUTE_PGM_RSRC2:TIDIG_COMP_CNT: 0
; COMPUTE_PGM_RSRC3_GFX90A:ACCUM_OFFSET: 0
; COMPUTE_PGM_RSRC3_GFX90A:TG_SPLIT: 0
	.section	.text._ZN7rocprim17ROCPRIM_400000_NS6detail17trampoline_kernelINS0_14default_configENS1_20scan_config_selectorIdEEZZNS1_9scan_implILNS1_25lookback_scan_determinismE0ELb1ELb1ES3_N6thrust23THRUST_200600_302600_NS6detail15normal_iteratorINS9_10device_ptrIdEEEENS9_16discard_iteratorINS9_11use_defaultEEEdNS9_4plusIvEEdEEDaPvRmT3_T4_T5_mT6_P12ihipStream_tbENKUlT_T0_E_clISt17integral_constantIbLb1EESX_EEDaSS_ST_EUlSS_E_NS1_11comp_targetILNS1_3genE8ELNS1_11target_archE1030ELNS1_3gpuE2ELNS1_3repE0EEENS1_30default_config_static_selectorELNS0_4arch9wavefront6targetE1EEEvT1_,"axG",@progbits,_ZN7rocprim17ROCPRIM_400000_NS6detail17trampoline_kernelINS0_14default_configENS1_20scan_config_selectorIdEEZZNS1_9scan_implILNS1_25lookback_scan_determinismE0ELb1ELb1ES3_N6thrust23THRUST_200600_302600_NS6detail15normal_iteratorINS9_10device_ptrIdEEEENS9_16discard_iteratorINS9_11use_defaultEEEdNS9_4plusIvEEdEEDaPvRmT3_T4_T5_mT6_P12ihipStream_tbENKUlT_T0_E_clISt17integral_constantIbLb1EESX_EEDaSS_ST_EUlSS_E_NS1_11comp_targetILNS1_3genE8ELNS1_11target_archE1030ELNS1_3gpuE2ELNS1_3repE0EEENS1_30default_config_static_selectorELNS0_4arch9wavefront6targetE1EEEvT1_,comdat
	.protected	_ZN7rocprim17ROCPRIM_400000_NS6detail17trampoline_kernelINS0_14default_configENS1_20scan_config_selectorIdEEZZNS1_9scan_implILNS1_25lookback_scan_determinismE0ELb1ELb1ES3_N6thrust23THRUST_200600_302600_NS6detail15normal_iteratorINS9_10device_ptrIdEEEENS9_16discard_iteratorINS9_11use_defaultEEEdNS9_4plusIvEEdEEDaPvRmT3_T4_T5_mT6_P12ihipStream_tbENKUlT_T0_E_clISt17integral_constantIbLb1EESX_EEDaSS_ST_EUlSS_E_NS1_11comp_targetILNS1_3genE8ELNS1_11target_archE1030ELNS1_3gpuE2ELNS1_3repE0EEENS1_30default_config_static_selectorELNS0_4arch9wavefront6targetE1EEEvT1_ ; -- Begin function _ZN7rocprim17ROCPRIM_400000_NS6detail17trampoline_kernelINS0_14default_configENS1_20scan_config_selectorIdEEZZNS1_9scan_implILNS1_25lookback_scan_determinismE0ELb1ELb1ES3_N6thrust23THRUST_200600_302600_NS6detail15normal_iteratorINS9_10device_ptrIdEEEENS9_16discard_iteratorINS9_11use_defaultEEEdNS9_4plusIvEEdEEDaPvRmT3_T4_T5_mT6_P12ihipStream_tbENKUlT_T0_E_clISt17integral_constantIbLb1EESX_EEDaSS_ST_EUlSS_E_NS1_11comp_targetILNS1_3genE8ELNS1_11target_archE1030ELNS1_3gpuE2ELNS1_3repE0EEENS1_30default_config_static_selectorELNS0_4arch9wavefront6targetE1EEEvT1_
	.globl	_ZN7rocprim17ROCPRIM_400000_NS6detail17trampoline_kernelINS0_14default_configENS1_20scan_config_selectorIdEEZZNS1_9scan_implILNS1_25lookback_scan_determinismE0ELb1ELb1ES3_N6thrust23THRUST_200600_302600_NS6detail15normal_iteratorINS9_10device_ptrIdEEEENS9_16discard_iteratorINS9_11use_defaultEEEdNS9_4plusIvEEdEEDaPvRmT3_T4_T5_mT6_P12ihipStream_tbENKUlT_T0_E_clISt17integral_constantIbLb1EESX_EEDaSS_ST_EUlSS_E_NS1_11comp_targetILNS1_3genE8ELNS1_11target_archE1030ELNS1_3gpuE2ELNS1_3repE0EEENS1_30default_config_static_selectorELNS0_4arch9wavefront6targetE1EEEvT1_
	.p2align	8
	.type	_ZN7rocprim17ROCPRIM_400000_NS6detail17trampoline_kernelINS0_14default_configENS1_20scan_config_selectorIdEEZZNS1_9scan_implILNS1_25lookback_scan_determinismE0ELb1ELb1ES3_N6thrust23THRUST_200600_302600_NS6detail15normal_iteratorINS9_10device_ptrIdEEEENS9_16discard_iteratorINS9_11use_defaultEEEdNS9_4plusIvEEdEEDaPvRmT3_T4_T5_mT6_P12ihipStream_tbENKUlT_T0_E_clISt17integral_constantIbLb1EESX_EEDaSS_ST_EUlSS_E_NS1_11comp_targetILNS1_3genE8ELNS1_11target_archE1030ELNS1_3gpuE2ELNS1_3repE0EEENS1_30default_config_static_selectorELNS0_4arch9wavefront6targetE1EEEvT1_,@function
_ZN7rocprim17ROCPRIM_400000_NS6detail17trampoline_kernelINS0_14default_configENS1_20scan_config_selectorIdEEZZNS1_9scan_implILNS1_25lookback_scan_determinismE0ELb1ELb1ES3_N6thrust23THRUST_200600_302600_NS6detail15normal_iteratorINS9_10device_ptrIdEEEENS9_16discard_iteratorINS9_11use_defaultEEEdNS9_4plusIvEEdEEDaPvRmT3_T4_T5_mT6_P12ihipStream_tbENKUlT_T0_E_clISt17integral_constantIbLb1EESX_EEDaSS_ST_EUlSS_E_NS1_11comp_targetILNS1_3genE8ELNS1_11target_archE1030ELNS1_3gpuE2ELNS1_3repE0EEENS1_30default_config_static_selectorELNS0_4arch9wavefront6targetE1EEEvT1_: ; @_ZN7rocprim17ROCPRIM_400000_NS6detail17trampoline_kernelINS0_14default_configENS1_20scan_config_selectorIdEEZZNS1_9scan_implILNS1_25lookback_scan_determinismE0ELb1ELb1ES3_N6thrust23THRUST_200600_302600_NS6detail15normal_iteratorINS9_10device_ptrIdEEEENS9_16discard_iteratorINS9_11use_defaultEEEdNS9_4plusIvEEdEEDaPvRmT3_T4_T5_mT6_P12ihipStream_tbENKUlT_T0_E_clISt17integral_constantIbLb1EESX_EEDaSS_ST_EUlSS_E_NS1_11comp_targetILNS1_3genE8ELNS1_11target_archE1030ELNS1_3gpuE2ELNS1_3repE0EEENS1_30default_config_static_selectorELNS0_4arch9wavefront6targetE1EEEvT1_
; %bb.0:
	.section	.rodata,"a",@progbits
	.p2align	6, 0x0
	.amdhsa_kernel _ZN7rocprim17ROCPRIM_400000_NS6detail17trampoline_kernelINS0_14default_configENS1_20scan_config_selectorIdEEZZNS1_9scan_implILNS1_25lookback_scan_determinismE0ELb1ELb1ES3_N6thrust23THRUST_200600_302600_NS6detail15normal_iteratorINS9_10device_ptrIdEEEENS9_16discard_iteratorINS9_11use_defaultEEEdNS9_4plusIvEEdEEDaPvRmT3_T4_T5_mT6_P12ihipStream_tbENKUlT_T0_E_clISt17integral_constantIbLb1EESX_EEDaSS_ST_EUlSS_E_NS1_11comp_targetILNS1_3genE8ELNS1_11target_archE1030ELNS1_3gpuE2ELNS1_3repE0EEENS1_30default_config_static_selectorELNS0_4arch9wavefront6targetE1EEEvT1_
		.amdhsa_group_segment_fixed_size 0
		.amdhsa_private_segment_fixed_size 0
		.amdhsa_kernarg_size 112
		.amdhsa_user_sgpr_count 6
		.amdhsa_user_sgpr_private_segment_buffer 1
		.amdhsa_user_sgpr_dispatch_ptr 0
		.amdhsa_user_sgpr_queue_ptr 0
		.amdhsa_user_sgpr_kernarg_segment_ptr 1
		.amdhsa_user_sgpr_dispatch_id 0
		.amdhsa_user_sgpr_flat_scratch_init 0
		.amdhsa_user_sgpr_kernarg_preload_length 0
		.amdhsa_user_sgpr_kernarg_preload_offset 0
		.amdhsa_user_sgpr_private_segment_size 0
		.amdhsa_uses_dynamic_stack 0
		.amdhsa_system_sgpr_private_segment_wavefront_offset 0
		.amdhsa_system_sgpr_workgroup_id_x 1
		.amdhsa_system_sgpr_workgroup_id_y 0
		.amdhsa_system_sgpr_workgroup_id_z 0
		.amdhsa_system_sgpr_workgroup_info 0
		.amdhsa_system_vgpr_workitem_id 0
		.amdhsa_next_free_vgpr 1
		.amdhsa_next_free_sgpr 0
		.amdhsa_accum_offset 4
		.amdhsa_reserve_vcc 0
		.amdhsa_reserve_flat_scratch 0
		.amdhsa_float_round_mode_32 0
		.amdhsa_float_round_mode_16_64 0
		.amdhsa_float_denorm_mode_32 3
		.amdhsa_float_denorm_mode_16_64 3
		.amdhsa_dx10_clamp 1
		.amdhsa_ieee_mode 1
		.amdhsa_fp16_overflow 0
		.amdhsa_tg_split 0
		.amdhsa_exception_fp_ieee_invalid_op 0
		.amdhsa_exception_fp_denorm_src 0
		.amdhsa_exception_fp_ieee_div_zero 0
		.amdhsa_exception_fp_ieee_overflow 0
		.amdhsa_exception_fp_ieee_underflow 0
		.amdhsa_exception_fp_ieee_inexact 0
		.amdhsa_exception_int_div_zero 0
	.end_amdhsa_kernel
	.section	.text._ZN7rocprim17ROCPRIM_400000_NS6detail17trampoline_kernelINS0_14default_configENS1_20scan_config_selectorIdEEZZNS1_9scan_implILNS1_25lookback_scan_determinismE0ELb1ELb1ES3_N6thrust23THRUST_200600_302600_NS6detail15normal_iteratorINS9_10device_ptrIdEEEENS9_16discard_iteratorINS9_11use_defaultEEEdNS9_4plusIvEEdEEDaPvRmT3_T4_T5_mT6_P12ihipStream_tbENKUlT_T0_E_clISt17integral_constantIbLb1EESX_EEDaSS_ST_EUlSS_E_NS1_11comp_targetILNS1_3genE8ELNS1_11target_archE1030ELNS1_3gpuE2ELNS1_3repE0EEENS1_30default_config_static_selectorELNS0_4arch9wavefront6targetE1EEEvT1_,"axG",@progbits,_ZN7rocprim17ROCPRIM_400000_NS6detail17trampoline_kernelINS0_14default_configENS1_20scan_config_selectorIdEEZZNS1_9scan_implILNS1_25lookback_scan_determinismE0ELb1ELb1ES3_N6thrust23THRUST_200600_302600_NS6detail15normal_iteratorINS9_10device_ptrIdEEEENS9_16discard_iteratorINS9_11use_defaultEEEdNS9_4plusIvEEdEEDaPvRmT3_T4_T5_mT6_P12ihipStream_tbENKUlT_T0_E_clISt17integral_constantIbLb1EESX_EEDaSS_ST_EUlSS_E_NS1_11comp_targetILNS1_3genE8ELNS1_11target_archE1030ELNS1_3gpuE2ELNS1_3repE0EEENS1_30default_config_static_selectorELNS0_4arch9wavefront6targetE1EEEvT1_,comdat
.Lfunc_end4960:
	.size	_ZN7rocprim17ROCPRIM_400000_NS6detail17trampoline_kernelINS0_14default_configENS1_20scan_config_selectorIdEEZZNS1_9scan_implILNS1_25lookback_scan_determinismE0ELb1ELb1ES3_N6thrust23THRUST_200600_302600_NS6detail15normal_iteratorINS9_10device_ptrIdEEEENS9_16discard_iteratorINS9_11use_defaultEEEdNS9_4plusIvEEdEEDaPvRmT3_T4_T5_mT6_P12ihipStream_tbENKUlT_T0_E_clISt17integral_constantIbLb1EESX_EEDaSS_ST_EUlSS_E_NS1_11comp_targetILNS1_3genE8ELNS1_11target_archE1030ELNS1_3gpuE2ELNS1_3repE0EEENS1_30default_config_static_selectorELNS0_4arch9wavefront6targetE1EEEvT1_, .Lfunc_end4960-_ZN7rocprim17ROCPRIM_400000_NS6detail17trampoline_kernelINS0_14default_configENS1_20scan_config_selectorIdEEZZNS1_9scan_implILNS1_25lookback_scan_determinismE0ELb1ELb1ES3_N6thrust23THRUST_200600_302600_NS6detail15normal_iteratorINS9_10device_ptrIdEEEENS9_16discard_iteratorINS9_11use_defaultEEEdNS9_4plusIvEEdEEDaPvRmT3_T4_T5_mT6_P12ihipStream_tbENKUlT_T0_E_clISt17integral_constantIbLb1EESX_EEDaSS_ST_EUlSS_E_NS1_11comp_targetILNS1_3genE8ELNS1_11target_archE1030ELNS1_3gpuE2ELNS1_3repE0EEENS1_30default_config_static_selectorELNS0_4arch9wavefront6targetE1EEEvT1_
                                        ; -- End function
	.section	.AMDGPU.csdata,"",@progbits
; Kernel info:
; codeLenInByte = 0
; NumSgprs: 4
; NumVgprs: 0
; NumAgprs: 0
; TotalNumVgprs: 0
; ScratchSize: 0
; MemoryBound: 0
; FloatMode: 240
; IeeeMode: 1
; LDSByteSize: 0 bytes/workgroup (compile time only)
; SGPRBlocks: 0
; VGPRBlocks: 0
; NumSGPRsForWavesPerEU: 4
; NumVGPRsForWavesPerEU: 1
; AccumOffset: 4
; Occupancy: 8
; WaveLimiterHint : 0
; COMPUTE_PGM_RSRC2:SCRATCH_EN: 0
; COMPUTE_PGM_RSRC2:USER_SGPR: 6
; COMPUTE_PGM_RSRC2:TRAP_HANDLER: 0
; COMPUTE_PGM_RSRC2:TGID_X_EN: 1
; COMPUTE_PGM_RSRC2:TGID_Y_EN: 0
; COMPUTE_PGM_RSRC2:TGID_Z_EN: 0
; COMPUTE_PGM_RSRC2:TIDIG_COMP_CNT: 0
; COMPUTE_PGM_RSRC3_GFX90A:ACCUM_OFFSET: 0
; COMPUTE_PGM_RSRC3_GFX90A:TG_SPLIT: 0
	.section	.text._ZN7rocprim17ROCPRIM_400000_NS6detail17trampoline_kernelINS0_14default_configENS1_20scan_config_selectorIdEEZZNS1_9scan_implILNS1_25lookback_scan_determinismE0ELb1ELb1ES3_N6thrust23THRUST_200600_302600_NS6detail15normal_iteratorINS9_10device_ptrIdEEEENS9_16discard_iteratorINS9_11use_defaultEEEdNS9_4plusIvEEdEEDaPvRmT3_T4_T5_mT6_P12ihipStream_tbENKUlT_T0_E_clISt17integral_constantIbLb1EESX_EEDaSS_ST_EUlSS_E0_NS1_11comp_targetILNS1_3genE0ELNS1_11target_archE4294967295ELNS1_3gpuE0ELNS1_3repE0EEENS1_30default_config_static_selectorELNS0_4arch9wavefront6targetE1EEEvT1_,"axG",@progbits,_ZN7rocprim17ROCPRIM_400000_NS6detail17trampoline_kernelINS0_14default_configENS1_20scan_config_selectorIdEEZZNS1_9scan_implILNS1_25lookback_scan_determinismE0ELb1ELb1ES3_N6thrust23THRUST_200600_302600_NS6detail15normal_iteratorINS9_10device_ptrIdEEEENS9_16discard_iteratorINS9_11use_defaultEEEdNS9_4plusIvEEdEEDaPvRmT3_T4_T5_mT6_P12ihipStream_tbENKUlT_T0_E_clISt17integral_constantIbLb1EESX_EEDaSS_ST_EUlSS_E0_NS1_11comp_targetILNS1_3genE0ELNS1_11target_archE4294967295ELNS1_3gpuE0ELNS1_3repE0EEENS1_30default_config_static_selectorELNS0_4arch9wavefront6targetE1EEEvT1_,comdat
	.protected	_ZN7rocprim17ROCPRIM_400000_NS6detail17trampoline_kernelINS0_14default_configENS1_20scan_config_selectorIdEEZZNS1_9scan_implILNS1_25lookback_scan_determinismE0ELb1ELb1ES3_N6thrust23THRUST_200600_302600_NS6detail15normal_iteratorINS9_10device_ptrIdEEEENS9_16discard_iteratorINS9_11use_defaultEEEdNS9_4plusIvEEdEEDaPvRmT3_T4_T5_mT6_P12ihipStream_tbENKUlT_T0_E_clISt17integral_constantIbLb1EESX_EEDaSS_ST_EUlSS_E0_NS1_11comp_targetILNS1_3genE0ELNS1_11target_archE4294967295ELNS1_3gpuE0ELNS1_3repE0EEENS1_30default_config_static_selectorELNS0_4arch9wavefront6targetE1EEEvT1_ ; -- Begin function _ZN7rocprim17ROCPRIM_400000_NS6detail17trampoline_kernelINS0_14default_configENS1_20scan_config_selectorIdEEZZNS1_9scan_implILNS1_25lookback_scan_determinismE0ELb1ELb1ES3_N6thrust23THRUST_200600_302600_NS6detail15normal_iteratorINS9_10device_ptrIdEEEENS9_16discard_iteratorINS9_11use_defaultEEEdNS9_4plusIvEEdEEDaPvRmT3_T4_T5_mT6_P12ihipStream_tbENKUlT_T0_E_clISt17integral_constantIbLb1EESX_EEDaSS_ST_EUlSS_E0_NS1_11comp_targetILNS1_3genE0ELNS1_11target_archE4294967295ELNS1_3gpuE0ELNS1_3repE0EEENS1_30default_config_static_selectorELNS0_4arch9wavefront6targetE1EEEvT1_
	.globl	_ZN7rocprim17ROCPRIM_400000_NS6detail17trampoline_kernelINS0_14default_configENS1_20scan_config_selectorIdEEZZNS1_9scan_implILNS1_25lookback_scan_determinismE0ELb1ELb1ES3_N6thrust23THRUST_200600_302600_NS6detail15normal_iteratorINS9_10device_ptrIdEEEENS9_16discard_iteratorINS9_11use_defaultEEEdNS9_4plusIvEEdEEDaPvRmT3_T4_T5_mT6_P12ihipStream_tbENKUlT_T0_E_clISt17integral_constantIbLb1EESX_EEDaSS_ST_EUlSS_E0_NS1_11comp_targetILNS1_3genE0ELNS1_11target_archE4294967295ELNS1_3gpuE0ELNS1_3repE0EEENS1_30default_config_static_selectorELNS0_4arch9wavefront6targetE1EEEvT1_
	.p2align	8
	.type	_ZN7rocprim17ROCPRIM_400000_NS6detail17trampoline_kernelINS0_14default_configENS1_20scan_config_selectorIdEEZZNS1_9scan_implILNS1_25lookback_scan_determinismE0ELb1ELb1ES3_N6thrust23THRUST_200600_302600_NS6detail15normal_iteratorINS9_10device_ptrIdEEEENS9_16discard_iteratorINS9_11use_defaultEEEdNS9_4plusIvEEdEEDaPvRmT3_T4_T5_mT6_P12ihipStream_tbENKUlT_T0_E_clISt17integral_constantIbLb1EESX_EEDaSS_ST_EUlSS_E0_NS1_11comp_targetILNS1_3genE0ELNS1_11target_archE4294967295ELNS1_3gpuE0ELNS1_3repE0EEENS1_30default_config_static_selectorELNS0_4arch9wavefront6targetE1EEEvT1_,@function
_ZN7rocprim17ROCPRIM_400000_NS6detail17trampoline_kernelINS0_14default_configENS1_20scan_config_selectorIdEEZZNS1_9scan_implILNS1_25lookback_scan_determinismE0ELb1ELb1ES3_N6thrust23THRUST_200600_302600_NS6detail15normal_iteratorINS9_10device_ptrIdEEEENS9_16discard_iteratorINS9_11use_defaultEEEdNS9_4plusIvEEdEEDaPvRmT3_T4_T5_mT6_P12ihipStream_tbENKUlT_T0_E_clISt17integral_constantIbLb1EESX_EEDaSS_ST_EUlSS_E0_NS1_11comp_targetILNS1_3genE0ELNS1_11target_archE4294967295ELNS1_3gpuE0ELNS1_3repE0EEENS1_30default_config_static_selectorELNS0_4arch9wavefront6targetE1EEEvT1_: ; @_ZN7rocprim17ROCPRIM_400000_NS6detail17trampoline_kernelINS0_14default_configENS1_20scan_config_selectorIdEEZZNS1_9scan_implILNS1_25lookback_scan_determinismE0ELb1ELb1ES3_N6thrust23THRUST_200600_302600_NS6detail15normal_iteratorINS9_10device_ptrIdEEEENS9_16discard_iteratorINS9_11use_defaultEEEdNS9_4plusIvEEdEEDaPvRmT3_T4_T5_mT6_P12ihipStream_tbENKUlT_T0_E_clISt17integral_constantIbLb1EESX_EEDaSS_ST_EUlSS_E0_NS1_11comp_targetILNS1_3genE0ELNS1_11target_archE4294967295ELNS1_3gpuE0ELNS1_3repE0EEENS1_30default_config_static_selectorELNS0_4arch9wavefront6targetE1EEEvT1_
; %bb.0:
	.section	.rodata,"a",@progbits
	.p2align	6, 0x0
	.amdhsa_kernel _ZN7rocprim17ROCPRIM_400000_NS6detail17trampoline_kernelINS0_14default_configENS1_20scan_config_selectorIdEEZZNS1_9scan_implILNS1_25lookback_scan_determinismE0ELb1ELb1ES3_N6thrust23THRUST_200600_302600_NS6detail15normal_iteratorINS9_10device_ptrIdEEEENS9_16discard_iteratorINS9_11use_defaultEEEdNS9_4plusIvEEdEEDaPvRmT3_T4_T5_mT6_P12ihipStream_tbENKUlT_T0_E_clISt17integral_constantIbLb1EESX_EEDaSS_ST_EUlSS_E0_NS1_11comp_targetILNS1_3genE0ELNS1_11target_archE4294967295ELNS1_3gpuE0ELNS1_3repE0EEENS1_30default_config_static_selectorELNS0_4arch9wavefront6targetE1EEEvT1_
		.amdhsa_group_segment_fixed_size 0
		.amdhsa_private_segment_fixed_size 0
		.amdhsa_kernarg_size 48
		.amdhsa_user_sgpr_count 6
		.amdhsa_user_sgpr_private_segment_buffer 1
		.amdhsa_user_sgpr_dispatch_ptr 0
		.amdhsa_user_sgpr_queue_ptr 0
		.amdhsa_user_sgpr_kernarg_segment_ptr 1
		.amdhsa_user_sgpr_dispatch_id 0
		.amdhsa_user_sgpr_flat_scratch_init 0
		.amdhsa_user_sgpr_kernarg_preload_length 0
		.amdhsa_user_sgpr_kernarg_preload_offset 0
		.amdhsa_user_sgpr_private_segment_size 0
		.amdhsa_uses_dynamic_stack 0
		.amdhsa_system_sgpr_private_segment_wavefront_offset 0
		.amdhsa_system_sgpr_workgroup_id_x 1
		.amdhsa_system_sgpr_workgroup_id_y 0
		.amdhsa_system_sgpr_workgroup_id_z 0
		.amdhsa_system_sgpr_workgroup_info 0
		.amdhsa_system_vgpr_workitem_id 0
		.amdhsa_next_free_vgpr 1
		.amdhsa_next_free_sgpr 0
		.amdhsa_accum_offset 4
		.amdhsa_reserve_vcc 0
		.amdhsa_reserve_flat_scratch 0
		.amdhsa_float_round_mode_32 0
		.amdhsa_float_round_mode_16_64 0
		.amdhsa_float_denorm_mode_32 3
		.amdhsa_float_denorm_mode_16_64 3
		.amdhsa_dx10_clamp 1
		.amdhsa_ieee_mode 1
		.amdhsa_fp16_overflow 0
		.amdhsa_tg_split 0
		.amdhsa_exception_fp_ieee_invalid_op 0
		.amdhsa_exception_fp_denorm_src 0
		.amdhsa_exception_fp_ieee_div_zero 0
		.amdhsa_exception_fp_ieee_overflow 0
		.amdhsa_exception_fp_ieee_underflow 0
		.amdhsa_exception_fp_ieee_inexact 0
		.amdhsa_exception_int_div_zero 0
	.end_amdhsa_kernel
	.section	.text._ZN7rocprim17ROCPRIM_400000_NS6detail17trampoline_kernelINS0_14default_configENS1_20scan_config_selectorIdEEZZNS1_9scan_implILNS1_25lookback_scan_determinismE0ELb1ELb1ES3_N6thrust23THRUST_200600_302600_NS6detail15normal_iteratorINS9_10device_ptrIdEEEENS9_16discard_iteratorINS9_11use_defaultEEEdNS9_4plusIvEEdEEDaPvRmT3_T4_T5_mT6_P12ihipStream_tbENKUlT_T0_E_clISt17integral_constantIbLb1EESX_EEDaSS_ST_EUlSS_E0_NS1_11comp_targetILNS1_3genE0ELNS1_11target_archE4294967295ELNS1_3gpuE0ELNS1_3repE0EEENS1_30default_config_static_selectorELNS0_4arch9wavefront6targetE1EEEvT1_,"axG",@progbits,_ZN7rocprim17ROCPRIM_400000_NS6detail17trampoline_kernelINS0_14default_configENS1_20scan_config_selectorIdEEZZNS1_9scan_implILNS1_25lookback_scan_determinismE0ELb1ELb1ES3_N6thrust23THRUST_200600_302600_NS6detail15normal_iteratorINS9_10device_ptrIdEEEENS9_16discard_iteratorINS9_11use_defaultEEEdNS9_4plusIvEEdEEDaPvRmT3_T4_T5_mT6_P12ihipStream_tbENKUlT_T0_E_clISt17integral_constantIbLb1EESX_EEDaSS_ST_EUlSS_E0_NS1_11comp_targetILNS1_3genE0ELNS1_11target_archE4294967295ELNS1_3gpuE0ELNS1_3repE0EEENS1_30default_config_static_selectorELNS0_4arch9wavefront6targetE1EEEvT1_,comdat
.Lfunc_end4961:
	.size	_ZN7rocprim17ROCPRIM_400000_NS6detail17trampoline_kernelINS0_14default_configENS1_20scan_config_selectorIdEEZZNS1_9scan_implILNS1_25lookback_scan_determinismE0ELb1ELb1ES3_N6thrust23THRUST_200600_302600_NS6detail15normal_iteratorINS9_10device_ptrIdEEEENS9_16discard_iteratorINS9_11use_defaultEEEdNS9_4plusIvEEdEEDaPvRmT3_T4_T5_mT6_P12ihipStream_tbENKUlT_T0_E_clISt17integral_constantIbLb1EESX_EEDaSS_ST_EUlSS_E0_NS1_11comp_targetILNS1_3genE0ELNS1_11target_archE4294967295ELNS1_3gpuE0ELNS1_3repE0EEENS1_30default_config_static_selectorELNS0_4arch9wavefront6targetE1EEEvT1_, .Lfunc_end4961-_ZN7rocprim17ROCPRIM_400000_NS6detail17trampoline_kernelINS0_14default_configENS1_20scan_config_selectorIdEEZZNS1_9scan_implILNS1_25lookback_scan_determinismE0ELb1ELb1ES3_N6thrust23THRUST_200600_302600_NS6detail15normal_iteratorINS9_10device_ptrIdEEEENS9_16discard_iteratorINS9_11use_defaultEEEdNS9_4plusIvEEdEEDaPvRmT3_T4_T5_mT6_P12ihipStream_tbENKUlT_T0_E_clISt17integral_constantIbLb1EESX_EEDaSS_ST_EUlSS_E0_NS1_11comp_targetILNS1_3genE0ELNS1_11target_archE4294967295ELNS1_3gpuE0ELNS1_3repE0EEENS1_30default_config_static_selectorELNS0_4arch9wavefront6targetE1EEEvT1_
                                        ; -- End function
	.section	.AMDGPU.csdata,"",@progbits
; Kernel info:
; codeLenInByte = 0
; NumSgprs: 4
; NumVgprs: 0
; NumAgprs: 0
; TotalNumVgprs: 0
; ScratchSize: 0
; MemoryBound: 0
; FloatMode: 240
; IeeeMode: 1
; LDSByteSize: 0 bytes/workgroup (compile time only)
; SGPRBlocks: 0
; VGPRBlocks: 0
; NumSGPRsForWavesPerEU: 4
; NumVGPRsForWavesPerEU: 1
; AccumOffset: 4
; Occupancy: 8
; WaveLimiterHint : 0
; COMPUTE_PGM_RSRC2:SCRATCH_EN: 0
; COMPUTE_PGM_RSRC2:USER_SGPR: 6
; COMPUTE_PGM_RSRC2:TRAP_HANDLER: 0
; COMPUTE_PGM_RSRC2:TGID_X_EN: 1
; COMPUTE_PGM_RSRC2:TGID_Y_EN: 0
; COMPUTE_PGM_RSRC2:TGID_Z_EN: 0
; COMPUTE_PGM_RSRC2:TIDIG_COMP_CNT: 0
; COMPUTE_PGM_RSRC3_GFX90A:ACCUM_OFFSET: 0
; COMPUTE_PGM_RSRC3_GFX90A:TG_SPLIT: 0
	.section	.text._ZN7rocprim17ROCPRIM_400000_NS6detail17trampoline_kernelINS0_14default_configENS1_20scan_config_selectorIdEEZZNS1_9scan_implILNS1_25lookback_scan_determinismE0ELb1ELb1ES3_N6thrust23THRUST_200600_302600_NS6detail15normal_iteratorINS9_10device_ptrIdEEEENS9_16discard_iteratorINS9_11use_defaultEEEdNS9_4plusIvEEdEEDaPvRmT3_T4_T5_mT6_P12ihipStream_tbENKUlT_T0_E_clISt17integral_constantIbLb1EESX_EEDaSS_ST_EUlSS_E0_NS1_11comp_targetILNS1_3genE5ELNS1_11target_archE942ELNS1_3gpuE9ELNS1_3repE0EEENS1_30default_config_static_selectorELNS0_4arch9wavefront6targetE1EEEvT1_,"axG",@progbits,_ZN7rocprim17ROCPRIM_400000_NS6detail17trampoline_kernelINS0_14default_configENS1_20scan_config_selectorIdEEZZNS1_9scan_implILNS1_25lookback_scan_determinismE0ELb1ELb1ES3_N6thrust23THRUST_200600_302600_NS6detail15normal_iteratorINS9_10device_ptrIdEEEENS9_16discard_iteratorINS9_11use_defaultEEEdNS9_4plusIvEEdEEDaPvRmT3_T4_T5_mT6_P12ihipStream_tbENKUlT_T0_E_clISt17integral_constantIbLb1EESX_EEDaSS_ST_EUlSS_E0_NS1_11comp_targetILNS1_3genE5ELNS1_11target_archE942ELNS1_3gpuE9ELNS1_3repE0EEENS1_30default_config_static_selectorELNS0_4arch9wavefront6targetE1EEEvT1_,comdat
	.protected	_ZN7rocprim17ROCPRIM_400000_NS6detail17trampoline_kernelINS0_14default_configENS1_20scan_config_selectorIdEEZZNS1_9scan_implILNS1_25lookback_scan_determinismE0ELb1ELb1ES3_N6thrust23THRUST_200600_302600_NS6detail15normal_iteratorINS9_10device_ptrIdEEEENS9_16discard_iteratorINS9_11use_defaultEEEdNS9_4plusIvEEdEEDaPvRmT3_T4_T5_mT6_P12ihipStream_tbENKUlT_T0_E_clISt17integral_constantIbLb1EESX_EEDaSS_ST_EUlSS_E0_NS1_11comp_targetILNS1_3genE5ELNS1_11target_archE942ELNS1_3gpuE9ELNS1_3repE0EEENS1_30default_config_static_selectorELNS0_4arch9wavefront6targetE1EEEvT1_ ; -- Begin function _ZN7rocprim17ROCPRIM_400000_NS6detail17trampoline_kernelINS0_14default_configENS1_20scan_config_selectorIdEEZZNS1_9scan_implILNS1_25lookback_scan_determinismE0ELb1ELb1ES3_N6thrust23THRUST_200600_302600_NS6detail15normal_iteratorINS9_10device_ptrIdEEEENS9_16discard_iteratorINS9_11use_defaultEEEdNS9_4plusIvEEdEEDaPvRmT3_T4_T5_mT6_P12ihipStream_tbENKUlT_T0_E_clISt17integral_constantIbLb1EESX_EEDaSS_ST_EUlSS_E0_NS1_11comp_targetILNS1_3genE5ELNS1_11target_archE942ELNS1_3gpuE9ELNS1_3repE0EEENS1_30default_config_static_selectorELNS0_4arch9wavefront6targetE1EEEvT1_
	.globl	_ZN7rocprim17ROCPRIM_400000_NS6detail17trampoline_kernelINS0_14default_configENS1_20scan_config_selectorIdEEZZNS1_9scan_implILNS1_25lookback_scan_determinismE0ELb1ELb1ES3_N6thrust23THRUST_200600_302600_NS6detail15normal_iteratorINS9_10device_ptrIdEEEENS9_16discard_iteratorINS9_11use_defaultEEEdNS9_4plusIvEEdEEDaPvRmT3_T4_T5_mT6_P12ihipStream_tbENKUlT_T0_E_clISt17integral_constantIbLb1EESX_EEDaSS_ST_EUlSS_E0_NS1_11comp_targetILNS1_3genE5ELNS1_11target_archE942ELNS1_3gpuE9ELNS1_3repE0EEENS1_30default_config_static_selectorELNS0_4arch9wavefront6targetE1EEEvT1_
	.p2align	8
	.type	_ZN7rocprim17ROCPRIM_400000_NS6detail17trampoline_kernelINS0_14default_configENS1_20scan_config_selectorIdEEZZNS1_9scan_implILNS1_25lookback_scan_determinismE0ELb1ELb1ES3_N6thrust23THRUST_200600_302600_NS6detail15normal_iteratorINS9_10device_ptrIdEEEENS9_16discard_iteratorINS9_11use_defaultEEEdNS9_4plusIvEEdEEDaPvRmT3_T4_T5_mT6_P12ihipStream_tbENKUlT_T0_E_clISt17integral_constantIbLb1EESX_EEDaSS_ST_EUlSS_E0_NS1_11comp_targetILNS1_3genE5ELNS1_11target_archE942ELNS1_3gpuE9ELNS1_3repE0EEENS1_30default_config_static_selectorELNS0_4arch9wavefront6targetE1EEEvT1_,@function
_ZN7rocprim17ROCPRIM_400000_NS6detail17trampoline_kernelINS0_14default_configENS1_20scan_config_selectorIdEEZZNS1_9scan_implILNS1_25lookback_scan_determinismE0ELb1ELb1ES3_N6thrust23THRUST_200600_302600_NS6detail15normal_iteratorINS9_10device_ptrIdEEEENS9_16discard_iteratorINS9_11use_defaultEEEdNS9_4plusIvEEdEEDaPvRmT3_T4_T5_mT6_P12ihipStream_tbENKUlT_T0_E_clISt17integral_constantIbLb1EESX_EEDaSS_ST_EUlSS_E0_NS1_11comp_targetILNS1_3genE5ELNS1_11target_archE942ELNS1_3gpuE9ELNS1_3repE0EEENS1_30default_config_static_selectorELNS0_4arch9wavefront6targetE1EEEvT1_: ; @_ZN7rocprim17ROCPRIM_400000_NS6detail17trampoline_kernelINS0_14default_configENS1_20scan_config_selectorIdEEZZNS1_9scan_implILNS1_25lookback_scan_determinismE0ELb1ELb1ES3_N6thrust23THRUST_200600_302600_NS6detail15normal_iteratorINS9_10device_ptrIdEEEENS9_16discard_iteratorINS9_11use_defaultEEEdNS9_4plusIvEEdEEDaPvRmT3_T4_T5_mT6_P12ihipStream_tbENKUlT_T0_E_clISt17integral_constantIbLb1EESX_EEDaSS_ST_EUlSS_E0_NS1_11comp_targetILNS1_3genE5ELNS1_11target_archE942ELNS1_3gpuE9ELNS1_3repE0EEENS1_30default_config_static_selectorELNS0_4arch9wavefront6targetE1EEEvT1_
; %bb.0:
	.section	.rodata,"a",@progbits
	.p2align	6, 0x0
	.amdhsa_kernel _ZN7rocprim17ROCPRIM_400000_NS6detail17trampoline_kernelINS0_14default_configENS1_20scan_config_selectorIdEEZZNS1_9scan_implILNS1_25lookback_scan_determinismE0ELb1ELb1ES3_N6thrust23THRUST_200600_302600_NS6detail15normal_iteratorINS9_10device_ptrIdEEEENS9_16discard_iteratorINS9_11use_defaultEEEdNS9_4plusIvEEdEEDaPvRmT3_T4_T5_mT6_P12ihipStream_tbENKUlT_T0_E_clISt17integral_constantIbLb1EESX_EEDaSS_ST_EUlSS_E0_NS1_11comp_targetILNS1_3genE5ELNS1_11target_archE942ELNS1_3gpuE9ELNS1_3repE0EEENS1_30default_config_static_selectorELNS0_4arch9wavefront6targetE1EEEvT1_
		.amdhsa_group_segment_fixed_size 0
		.amdhsa_private_segment_fixed_size 0
		.amdhsa_kernarg_size 48
		.amdhsa_user_sgpr_count 6
		.amdhsa_user_sgpr_private_segment_buffer 1
		.amdhsa_user_sgpr_dispatch_ptr 0
		.amdhsa_user_sgpr_queue_ptr 0
		.amdhsa_user_sgpr_kernarg_segment_ptr 1
		.amdhsa_user_sgpr_dispatch_id 0
		.amdhsa_user_sgpr_flat_scratch_init 0
		.amdhsa_user_sgpr_kernarg_preload_length 0
		.amdhsa_user_sgpr_kernarg_preload_offset 0
		.amdhsa_user_sgpr_private_segment_size 0
		.amdhsa_uses_dynamic_stack 0
		.amdhsa_system_sgpr_private_segment_wavefront_offset 0
		.amdhsa_system_sgpr_workgroup_id_x 1
		.amdhsa_system_sgpr_workgroup_id_y 0
		.amdhsa_system_sgpr_workgroup_id_z 0
		.amdhsa_system_sgpr_workgroup_info 0
		.amdhsa_system_vgpr_workitem_id 0
		.amdhsa_next_free_vgpr 1
		.amdhsa_next_free_sgpr 0
		.amdhsa_accum_offset 4
		.amdhsa_reserve_vcc 0
		.amdhsa_reserve_flat_scratch 0
		.amdhsa_float_round_mode_32 0
		.amdhsa_float_round_mode_16_64 0
		.amdhsa_float_denorm_mode_32 3
		.amdhsa_float_denorm_mode_16_64 3
		.amdhsa_dx10_clamp 1
		.amdhsa_ieee_mode 1
		.amdhsa_fp16_overflow 0
		.amdhsa_tg_split 0
		.amdhsa_exception_fp_ieee_invalid_op 0
		.amdhsa_exception_fp_denorm_src 0
		.amdhsa_exception_fp_ieee_div_zero 0
		.amdhsa_exception_fp_ieee_overflow 0
		.amdhsa_exception_fp_ieee_underflow 0
		.amdhsa_exception_fp_ieee_inexact 0
		.amdhsa_exception_int_div_zero 0
	.end_amdhsa_kernel
	.section	.text._ZN7rocprim17ROCPRIM_400000_NS6detail17trampoline_kernelINS0_14default_configENS1_20scan_config_selectorIdEEZZNS1_9scan_implILNS1_25lookback_scan_determinismE0ELb1ELb1ES3_N6thrust23THRUST_200600_302600_NS6detail15normal_iteratorINS9_10device_ptrIdEEEENS9_16discard_iteratorINS9_11use_defaultEEEdNS9_4plusIvEEdEEDaPvRmT3_T4_T5_mT6_P12ihipStream_tbENKUlT_T0_E_clISt17integral_constantIbLb1EESX_EEDaSS_ST_EUlSS_E0_NS1_11comp_targetILNS1_3genE5ELNS1_11target_archE942ELNS1_3gpuE9ELNS1_3repE0EEENS1_30default_config_static_selectorELNS0_4arch9wavefront6targetE1EEEvT1_,"axG",@progbits,_ZN7rocprim17ROCPRIM_400000_NS6detail17trampoline_kernelINS0_14default_configENS1_20scan_config_selectorIdEEZZNS1_9scan_implILNS1_25lookback_scan_determinismE0ELb1ELb1ES3_N6thrust23THRUST_200600_302600_NS6detail15normal_iteratorINS9_10device_ptrIdEEEENS9_16discard_iteratorINS9_11use_defaultEEEdNS9_4plusIvEEdEEDaPvRmT3_T4_T5_mT6_P12ihipStream_tbENKUlT_T0_E_clISt17integral_constantIbLb1EESX_EEDaSS_ST_EUlSS_E0_NS1_11comp_targetILNS1_3genE5ELNS1_11target_archE942ELNS1_3gpuE9ELNS1_3repE0EEENS1_30default_config_static_selectorELNS0_4arch9wavefront6targetE1EEEvT1_,comdat
.Lfunc_end4962:
	.size	_ZN7rocprim17ROCPRIM_400000_NS6detail17trampoline_kernelINS0_14default_configENS1_20scan_config_selectorIdEEZZNS1_9scan_implILNS1_25lookback_scan_determinismE0ELb1ELb1ES3_N6thrust23THRUST_200600_302600_NS6detail15normal_iteratorINS9_10device_ptrIdEEEENS9_16discard_iteratorINS9_11use_defaultEEEdNS9_4plusIvEEdEEDaPvRmT3_T4_T5_mT6_P12ihipStream_tbENKUlT_T0_E_clISt17integral_constantIbLb1EESX_EEDaSS_ST_EUlSS_E0_NS1_11comp_targetILNS1_3genE5ELNS1_11target_archE942ELNS1_3gpuE9ELNS1_3repE0EEENS1_30default_config_static_selectorELNS0_4arch9wavefront6targetE1EEEvT1_, .Lfunc_end4962-_ZN7rocprim17ROCPRIM_400000_NS6detail17trampoline_kernelINS0_14default_configENS1_20scan_config_selectorIdEEZZNS1_9scan_implILNS1_25lookback_scan_determinismE0ELb1ELb1ES3_N6thrust23THRUST_200600_302600_NS6detail15normal_iteratorINS9_10device_ptrIdEEEENS9_16discard_iteratorINS9_11use_defaultEEEdNS9_4plusIvEEdEEDaPvRmT3_T4_T5_mT6_P12ihipStream_tbENKUlT_T0_E_clISt17integral_constantIbLb1EESX_EEDaSS_ST_EUlSS_E0_NS1_11comp_targetILNS1_3genE5ELNS1_11target_archE942ELNS1_3gpuE9ELNS1_3repE0EEENS1_30default_config_static_selectorELNS0_4arch9wavefront6targetE1EEEvT1_
                                        ; -- End function
	.section	.AMDGPU.csdata,"",@progbits
; Kernel info:
; codeLenInByte = 0
; NumSgprs: 4
; NumVgprs: 0
; NumAgprs: 0
; TotalNumVgprs: 0
; ScratchSize: 0
; MemoryBound: 0
; FloatMode: 240
; IeeeMode: 1
; LDSByteSize: 0 bytes/workgroup (compile time only)
; SGPRBlocks: 0
; VGPRBlocks: 0
; NumSGPRsForWavesPerEU: 4
; NumVGPRsForWavesPerEU: 1
; AccumOffset: 4
; Occupancy: 8
; WaveLimiterHint : 0
; COMPUTE_PGM_RSRC2:SCRATCH_EN: 0
; COMPUTE_PGM_RSRC2:USER_SGPR: 6
; COMPUTE_PGM_RSRC2:TRAP_HANDLER: 0
; COMPUTE_PGM_RSRC2:TGID_X_EN: 1
; COMPUTE_PGM_RSRC2:TGID_Y_EN: 0
; COMPUTE_PGM_RSRC2:TGID_Z_EN: 0
; COMPUTE_PGM_RSRC2:TIDIG_COMP_CNT: 0
; COMPUTE_PGM_RSRC3_GFX90A:ACCUM_OFFSET: 0
; COMPUTE_PGM_RSRC3_GFX90A:TG_SPLIT: 0
	.section	.text._ZN7rocprim17ROCPRIM_400000_NS6detail17trampoline_kernelINS0_14default_configENS1_20scan_config_selectorIdEEZZNS1_9scan_implILNS1_25lookback_scan_determinismE0ELb1ELb1ES3_N6thrust23THRUST_200600_302600_NS6detail15normal_iteratorINS9_10device_ptrIdEEEENS9_16discard_iteratorINS9_11use_defaultEEEdNS9_4plusIvEEdEEDaPvRmT3_T4_T5_mT6_P12ihipStream_tbENKUlT_T0_E_clISt17integral_constantIbLb1EESX_EEDaSS_ST_EUlSS_E0_NS1_11comp_targetILNS1_3genE4ELNS1_11target_archE910ELNS1_3gpuE8ELNS1_3repE0EEENS1_30default_config_static_selectorELNS0_4arch9wavefront6targetE1EEEvT1_,"axG",@progbits,_ZN7rocprim17ROCPRIM_400000_NS6detail17trampoline_kernelINS0_14default_configENS1_20scan_config_selectorIdEEZZNS1_9scan_implILNS1_25lookback_scan_determinismE0ELb1ELb1ES3_N6thrust23THRUST_200600_302600_NS6detail15normal_iteratorINS9_10device_ptrIdEEEENS9_16discard_iteratorINS9_11use_defaultEEEdNS9_4plusIvEEdEEDaPvRmT3_T4_T5_mT6_P12ihipStream_tbENKUlT_T0_E_clISt17integral_constantIbLb1EESX_EEDaSS_ST_EUlSS_E0_NS1_11comp_targetILNS1_3genE4ELNS1_11target_archE910ELNS1_3gpuE8ELNS1_3repE0EEENS1_30default_config_static_selectorELNS0_4arch9wavefront6targetE1EEEvT1_,comdat
	.protected	_ZN7rocprim17ROCPRIM_400000_NS6detail17trampoline_kernelINS0_14default_configENS1_20scan_config_selectorIdEEZZNS1_9scan_implILNS1_25lookback_scan_determinismE0ELb1ELb1ES3_N6thrust23THRUST_200600_302600_NS6detail15normal_iteratorINS9_10device_ptrIdEEEENS9_16discard_iteratorINS9_11use_defaultEEEdNS9_4plusIvEEdEEDaPvRmT3_T4_T5_mT6_P12ihipStream_tbENKUlT_T0_E_clISt17integral_constantIbLb1EESX_EEDaSS_ST_EUlSS_E0_NS1_11comp_targetILNS1_3genE4ELNS1_11target_archE910ELNS1_3gpuE8ELNS1_3repE0EEENS1_30default_config_static_selectorELNS0_4arch9wavefront6targetE1EEEvT1_ ; -- Begin function _ZN7rocprim17ROCPRIM_400000_NS6detail17trampoline_kernelINS0_14default_configENS1_20scan_config_selectorIdEEZZNS1_9scan_implILNS1_25lookback_scan_determinismE0ELb1ELb1ES3_N6thrust23THRUST_200600_302600_NS6detail15normal_iteratorINS9_10device_ptrIdEEEENS9_16discard_iteratorINS9_11use_defaultEEEdNS9_4plusIvEEdEEDaPvRmT3_T4_T5_mT6_P12ihipStream_tbENKUlT_T0_E_clISt17integral_constantIbLb1EESX_EEDaSS_ST_EUlSS_E0_NS1_11comp_targetILNS1_3genE4ELNS1_11target_archE910ELNS1_3gpuE8ELNS1_3repE0EEENS1_30default_config_static_selectorELNS0_4arch9wavefront6targetE1EEEvT1_
	.globl	_ZN7rocprim17ROCPRIM_400000_NS6detail17trampoline_kernelINS0_14default_configENS1_20scan_config_selectorIdEEZZNS1_9scan_implILNS1_25lookback_scan_determinismE0ELb1ELb1ES3_N6thrust23THRUST_200600_302600_NS6detail15normal_iteratorINS9_10device_ptrIdEEEENS9_16discard_iteratorINS9_11use_defaultEEEdNS9_4plusIvEEdEEDaPvRmT3_T4_T5_mT6_P12ihipStream_tbENKUlT_T0_E_clISt17integral_constantIbLb1EESX_EEDaSS_ST_EUlSS_E0_NS1_11comp_targetILNS1_3genE4ELNS1_11target_archE910ELNS1_3gpuE8ELNS1_3repE0EEENS1_30default_config_static_selectorELNS0_4arch9wavefront6targetE1EEEvT1_
	.p2align	8
	.type	_ZN7rocprim17ROCPRIM_400000_NS6detail17trampoline_kernelINS0_14default_configENS1_20scan_config_selectorIdEEZZNS1_9scan_implILNS1_25lookback_scan_determinismE0ELb1ELb1ES3_N6thrust23THRUST_200600_302600_NS6detail15normal_iteratorINS9_10device_ptrIdEEEENS9_16discard_iteratorINS9_11use_defaultEEEdNS9_4plusIvEEdEEDaPvRmT3_T4_T5_mT6_P12ihipStream_tbENKUlT_T0_E_clISt17integral_constantIbLb1EESX_EEDaSS_ST_EUlSS_E0_NS1_11comp_targetILNS1_3genE4ELNS1_11target_archE910ELNS1_3gpuE8ELNS1_3repE0EEENS1_30default_config_static_selectorELNS0_4arch9wavefront6targetE1EEEvT1_,@function
_ZN7rocprim17ROCPRIM_400000_NS6detail17trampoline_kernelINS0_14default_configENS1_20scan_config_selectorIdEEZZNS1_9scan_implILNS1_25lookback_scan_determinismE0ELb1ELb1ES3_N6thrust23THRUST_200600_302600_NS6detail15normal_iteratorINS9_10device_ptrIdEEEENS9_16discard_iteratorINS9_11use_defaultEEEdNS9_4plusIvEEdEEDaPvRmT3_T4_T5_mT6_P12ihipStream_tbENKUlT_T0_E_clISt17integral_constantIbLb1EESX_EEDaSS_ST_EUlSS_E0_NS1_11comp_targetILNS1_3genE4ELNS1_11target_archE910ELNS1_3gpuE8ELNS1_3repE0EEENS1_30default_config_static_selectorELNS0_4arch9wavefront6targetE1EEEvT1_: ; @_ZN7rocprim17ROCPRIM_400000_NS6detail17trampoline_kernelINS0_14default_configENS1_20scan_config_selectorIdEEZZNS1_9scan_implILNS1_25lookback_scan_determinismE0ELb1ELb1ES3_N6thrust23THRUST_200600_302600_NS6detail15normal_iteratorINS9_10device_ptrIdEEEENS9_16discard_iteratorINS9_11use_defaultEEEdNS9_4plusIvEEdEEDaPvRmT3_T4_T5_mT6_P12ihipStream_tbENKUlT_T0_E_clISt17integral_constantIbLb1EESX_EEDaSS_ST_EUlSS_E0_NS1_11comp_targetILNS1_3genE4ELNS1_11target_archE910ELNS1_3gpuE8ELNS1_3repE0EEENS1_30default_config_static_selectorELNS0_4arch9wavefront6targetE1EEEvT1_
; %bb.0:
	s_load_dwordx4 s[0:3], s[4:5], 0x0
	v_lshlrev_b32_e32 v1, 3, v0
	s_waitcnt lgkmcnt(0)
	s_load_dwordx2 s[6:7], s[0:1], 0x0
	v_cmp_gt_u32_e32 vcc, s2, v0
	s_waitcnt lgkmcnt(0)
	v_pk_mov_b32 v[2:3], s[6:7], s[6:7] op_sel:[0,1]
	s_and_saveexec_b64 s[8:9], vcc
	s_cbranch_execz .LBB4963_2
; %bb.1:
	global_load_dwordx2 v[2:3], v1, s[0:1]
.LBB4963_2:
	s_or_b64 exec, exec, s[8:9]
	v_or_b32_e32 v4, 0x80, v0
	v_cmp_gt_u32_e32 vcc, s2, v4
	v_pk_mov_b32 v[4:5], s[6:7], s[6:7] op_sel:[0,1]
	s_and_saveexec_b64 s[8:9], vcc
	s_cbranch_execz .LBB4963_4
; %bb.3:
	global_load_dwordx2 v[4:5], v1, s[0:1] offset:1024
.LBB4963_4:
	s_or_b64 exec, exec, s[8:9]
	v_or_b32_e32 v6, 0x100, v0
	v_cmp_gt_u32_e32 vcc, s2, v6
	v_pk_mov_b32 v[6:7], s[6:7], s[6:7] op_sel:[0,1]
	s_and_saveexec_b64 s[8:9], vcc
	s_cbranch_execz .LBB4963_6
; %bb.5:
	global_load_dwordx2 v[6:7], v1, s[0:1] offset:2048
.LBB4963_6:
	;; [unrolled: 9-line block ×3, first 2 shown]
	s_or_b64 exec, exec, s[8:9]
	v_or_b32_e32 v12, 0x200, v0
	v_cmp_gt_u32_e32 vcc, s2, v12
	v_pk_mov_b32 v[10:11], s[6:7], s[6:7] op_sel:[0,1]
	s_and_saveexec_b64 s[8:9], vcc
	s_cbranch_execz .LBB4963_10
; %bb.9:
	v_lshlrev_b32_e32 v10, 3, v12
	global_load_dwordx2 v[10:11], v10, s[0:1]
.LBB4963_10:
	s_or_b64 exec, exec, s[8:9]
	v_or_b32_e32 v14, 0x280, v0
	v_cmp_gt_u32_e32 vcc, s2, v14
	v_pk_mov_b32 v[12:13], s[6:7], s[6:7] op_sel:[0,1]
	s_and_saveexec_b64 s[8:9], vcc
	s_cbranch_execz .LBB4963_12
; %bb.11:
	v_lshlrev_b32_e32 v12, 3, v14
	global_load_dwordx2 v[12:13], v12, s[0:1]
.LBB4963_12:
	;; [unrolled: 10-line block ×6, first 2 shown]
	s_or_b64 exec, exec, s[2:3]
	s_movk_i32 s0, 0x48
	s_waitcnt vmcnt(0)
	ds_write2st64_b64 v1, v[2:3], v[4:5] offset1:2
	ds_write2st64_b64 v1, v[6:7], v[8:9] offset0:4 offset1:6
	ds_write2st64_b64 v1, v[10:11], v[12:13] offset0:8 offset1:10
	ds_write2st64_b64 v1, v[14:15], v[16:17] offset0:12 offset1:14
	ds_write2st64_b64 v1, v[18:19], v[20:21] offset0:16 offset1:18
	v_mad_u32_u24 v18, v0, s0, v1
	s_waitcnt lgkmcnt(0)
	s_barrier
	ds_read_b128 v[14:17], v18
	ds_read_b128 v[10:13], v18 offset:16
	ds_read_b128 v[6:9], v18 offset:32
	;; [unrolled: 1-line block ×4, first 2 shown]
	s_waitcnt lgkmcnt(4)
	v_add_f64 v[22:23], v[14:15], v[16:17]
	s_waitcnt lgkmcnt(3)
	v_add_f64 v[22:23], v[22:23], v[10:11]
	v_add_f64 v[22:23], v[22:23], v[12:13]
	s_waitcnt lgkmcnt(2)
	v_add_f64 v[22:23], v[22:23], v[6:7]
	;; [unrolled: 3-line block ×4, first 2 shown]
	v_add_f64 v[20:21], v[22:23], v[20:21]
	v_mbcnt_lo_u32_b32 v22, -1, 0
	v_mbcnt_hi_u32_b32 v28, -1, v22
	v_and_b32_e32 v26, 15, v28
	v_mov_b32_dpp v22, v20 row_shr:1 row_mask:0xf bank_mask:0xf
	v_mov_b32_dpp v23, v21 row_shr:1 row_mask:0xf bank_mask:0xf
	v_add_f64 v[22:23], v[20:21], v[22:23]
	v_cmp_eq_u32_e32 vcc, 0, v26
	v_cndmask_b32_e32 v22, v22, v20, vcc
	v_cndmask_b32_e32 v23, v23, v21, vcc
	v_cmp_lt_u32_e32 vcc, 1, v26
	v_mov_b32_dpp v24, v22 row_shr:2 row_mask:0xf bank_mask:0xf
	v_mov_b32_dpp v25, v23 row_shr:2 row_mask:0xf bank_mask:0xf
	v_add_f64 v[24:25], v[22:23], v[24:25]
	v_cndmask_b32_e32 v22, v22, v24, vcc
	v_cndmask_b32_e32 v23, v23, v25, vcc
	v_cmp_lt_u32_e32 vcc, 3, v26
	v_mov_b32_dpp v24, v22 row_shr:4 row_mask:0xf bank_mask:0xf
	v_mov_b32_dpp v25, v23 row_shr:4 row_mask:0xf bank_mask:0xf
	v_add_f64 v[24:25], v[22:23], v[24:25]
	;; [unrolled: 6-line block ×3, first 2 shown]
	s_load_dwordx2 s[4:5], s[4:5], 0x10
	v_cndmask_b32_e32 v22, v22, v24, vcc
	v_cndmask_b32_e32 v23, v23, v25, vcc
	v_and_b32_e32 v29, 16, v28
	v_mov_b32_dpp v24, v22 row_bcast:15 row_mask:0xf bank_mask:0xf
	v_mov_b32_dpp v25, v23 row_bcast:15 row_mask:0xf bank_mask:0xf
	v_add_f64 v[26:27], v[22:23], v[24:25]
	v_cmp_eq_u32_e64 s[0:1], 0, v29
	v_cndmask_b32_e64 v25, v27, v23, s[0:1]
	v_cndmask_b32_e64 v24, v26, v22, s[0:1]
	v_cmp_eq_u32_e32 vcc, 0, v28
	v_mov_b32_dpp v25, v25 row_bcast:31 row_mask:0xf bank_mask:0xf
	v_mov_b32_dpp v24, v24 row_bcast:31 row_mask:0xf bank_mask:0xf
	v_cmp_ne_u32_e64 s[2:3], 0, v28
	s_waitcnt lgkmcnt(0)
	s_barrier
	s_and_saveexec_b64 s[6:7], s[2:3]
; %bb.21:
	v_cndmask_b32_e64 v21, v27, v23, s[0:1]
	v_cndmask_b32_e64 v20, v26, v22, s[0:1]
	v_add_f64 v[22:23], v[20:21], v[24:25]
	v_cmp_lt_u32_e64 s[0:1], 31, v28
	v_cndmask_b32_e64 v21, v21, v23, s[0:1]
	v_cndmask_b32_e64 v20, v20, v22, s[0:1]
; %bb.22:
	s_or_b64 exec, exec, s[6:7]
	v_or_b32_e32 v22, 63, v0
	v_lshrrev_b32_e32 v25, 6, v0
	v_cmp_eq_u32_e64 s[0:1], v22, v0
	s_and_saveexec_b64 s[2:3], s[0:1]
	s_cbranch_execz .LBB4963_24
; %bb.23:
	v_lshlrev_b32_e32 v22, 3, v25
	ds_write_b64 v22, v[20:21]
.LBB4963_24:
	s_or_b64 exec, exec, s[2:3]
	v_cmp_gt_u32_e64 s[0:1], 2, v0
	s_waitcnt lgkmcnt(0)
	s_barrier
	s_and_saveexec_b64 s[2:3], s[0:1]
	s_cbranch_execz .LBB4963_26
; %bb.25:
	ds_read_b64 v[22:23], v1
	v_and_b32_e32 v24, 1, v28
	v_cmp_eq_u32_e64 s[0:1], 0, v24
	s_waitcnt lgkmcnt(0)
	v_mov_b32_dpp v26, v22 row_shr:1 row_mask:0xf bank_mask:0xf
	v_mov_b32_dpp v27, v23 row_shr:1 row_mask:0xf bank_mask:0xf
	v_add_f64 v[26:27], v[22:23], v[26:27]
	v_cndmask_b32_e64 v23, v27, v23, s[0:1]
	v_cndmask_b32_e64 v22, v26, v22, s[0:1]
	ds_write_b64 v1, v[22:23]
.LBB4963_26:
	s_or_b64 exec, exec, s[2:3]
	v_mul_u32_u24_e32 v24, 0x48, v0
	v_cmp_lt_u32_e64 s[0:1], 63, v0
	v_pk_mov_b32 v[22:23], s[4:5], s[4:5] op_sel:[0,1]
	s_waitcnt lgkmcnt(0)
	s_barrier
	s_and_saveexec_b64 s[2:3], s[0:1]
	s_cbranch_execz .LBB4963_28
; %bb.27:
	v_lshl_add_u32 v22, v25, 3, -8
	ds_read_b64 v[22:23], v22
	s_waitcnt lgkmcnt(0)
	v_add_f64 v[22:23], s[4:5], v[22:23]
.LBB4963_28:
	s_or_b64 exec, exec, s[2:3]
	v_add_u32_e32 v25, -1, v28
	v_and_b32_e32 v26, 64, v28
	v_cmp_lt_i32_e64 s[0:1], v25, v26
	v_cndmask_b32_e64 v25, v25, v28, s[0:1]
	v_add_f64 v[20:21], v[20:21], v[22:23]
	v_lshlrev_b32_e32 v25, 2, v25
	ds_bpermute_b32 v20, v25, v20
	ds_bpermute_b32 v21, v25, v21
	s_waitcnt lgkmcnt(0)
	s_barrier
	v_cndmask_b32_e32 v20, v20, v22, vcc
	v_cndmask_b32_e32 v21, v21, v23, vcc
	v_mov_b32_e32 v22, s5
	v_cmp_eq_u32_e32 vcc, 0, v0
	v_mov_b32_e32 v0, s4
	v_cndmask_b32_e32 v21, v21, v22, vcc
	v_cndmask_b32_e32 v20, v20, v0, vcc
	v_add_f64 v[22:23], v[14:15], v[20:21]
	v_add_f64 v[14:15], v[16:17], v[22:23]
	;; [unrolled: 1-line block ×8, first 2 shown]
	v_add_u32_e32 v0, v1, v24
	v_add_f64 v[4:5], v[18:19], v[2:3]
	ds_write_b128 v0, v[20:23]
	ds_write_b128 v0, v[14:17] offset:16
	ds_write_b128 v0, v[10:13] offset:32
	;; [unrolled: 1-line block ×4, first 2 shown]
	s_waitcnt lgkmcnt(0)
	s_barrier
	s_endpgm
	.section	.rodata,"a",@progbits
	.p2align	6, 0x0
	.amdhsa_kernel _ZN7rocprim17ROCPRIM_400000_NS6detail17trampoline_kernelINS0_14default_configENS1_20scan_config_selectorIdEEZZNS1_9scan_implILNS1_25lookback_scan_determinismE0ELb1ELb1ES3_N6thrust23THRUST_200600_302600_NS6detail15normal_iteratorINS9_10device_ptrIdEEEENS9_16discard_iteratorINS9_11use_defaultEEEdNS9_4plusIvEEdEEDaPvRmT3_T4_T5_mT6_P12ihipStream_tbENKUlT_T0_E_clISt17integral_constantIbLb1EESX_EEDaSS_ST_EUlSS_E0_NS1_11comp_targetILNS1_3genE4ELNS1_11target_archE910ELNS1_3gpuE8ELNS1_3repE0EEENS1_30default_config_static_selectorELNS0_4arch9wavefront6targetE1EEEvT1_
		.amdhsa_group_segment_fixed_size 10240
		.amdhsa_private_segment_fixed_size 0
		.amdhsa_kernarg_size 48
		.amdhsa_user_sgpr_count 6
		.amdhsa_user_sgpr_private_segment_buffer 1
		.amdhsa_user_sgpr_dispatch_ptr 0
		.amdhsa_user_sgpr_queue_ptr 0
		.amdhsa_user_sgpr_kernarg_segment_ptr 1
		.amdhsa_user_sgpr_dispatch_id 0
		.amdhsa_user_sgpr_flat_scratch_init 0
		.amdhsa_user_sgpr_kernarg_preload_length 0
		.amdhsa_user_sgpr_kernarg_preload_offset 0
		.amdhsa_user_sgpr_private_segment_size 0
		.amdhsa_uses_dynamic_stack 0
		.amdhsa_system_sgpr_private_segment_wavefront_offset 0
		.amdhsa_system_sgpr_workgroup_id_x 1
		.amdhsa_system_sgpr_workgroup_id_y 0
		.amdhsa_system_sgpr_workgroup_id_z 0
		.amdhsa_system_sgpr_workgroup_info 0
		.amdhsa_system_vgpr_workitem_id 0
		.amdhsa_next_free_vgpr 30
		.amdhsa_next_free_sgpr 10
		.amdhsa_accum_offset 32
		.amdhsa_reserve_vcc 1
		.amdhsa_reserve_flat_scratch 0
		.amdhsa_float_round_mode_32 0
		.amdhsa_float_round_mode_16_64 0
		.amdhsa_float_denorm_mode_32 3
		.amdhsa_float_denorm_mode_16_64 3
		.amdhsa_dx10_clamp 1
		.amdhsa_ieee_mode 1
		.amdhsa_fp16_overflow 0
		.amdhsa_tg_split 0
		.amdhsa_exception_fp_ieee_invalid_op 0
		.amdhsa_exception_fp_denorm_src 0
		.amdhsa_exception_fp_ieee_div_zero 0
		.amdhsa_exception_fp_ieee_overflow 0
		.amdhsa_exception_fp_ieee_underflow 0
		.amdhsa_exception_fp_ieee_inexact 0
		.amdhsa_exception_int_div_zero 0
	.end_amdhsa_kernel
	.section	.text._ZN7rocprim17ROCPRIM_400000_NS6detail17trampoline_kernelINS0_14default_configENS1_20scan_config_selectorIdEEZZNS1_9scan_implILNS1_25lookback_scan_determinismE0ELb1ELb1ES3_N6thrust23THRUST_200600_302600_NS6detail15normal_iteratorINS9_10device_ptrIdEEEENS9_16discard_iteratorINS9_11use_defaultEEEdNS9_4plusIvEEdEEDaPvRmT3_T4_T5_mT6_P12ihipStream_tbENKUlT_T0_E_clISt17integral_constantIbLb1EESX_EEDaSS_ST_EUlSS_E0_NS1_11comp_targetILNS1_3genE4ELNS1_11target_archE910ELNS1_3gpuE8ELNS1_3repE0EEENS1_30default_config_static_selectorELNS0_4arch9wavefront6targetE1EEEvT1_,"axG",@progbits,_ZN7rocprim17ROCPRIM_400000_NS6detail17trampoline_kernelINS0_14default_configENS1_20scan_config_selectorIdEEZZNS1_9scan_implILNS1_25lookback_scan_determinismE0ELb1ELb1ES3_N6thrust23THRUST_200600_302600_NS6detail15normal_iteratorINS9_10device_ptrIdEEEENS9_16discard_iteratorINS9_11use_defaultEEEdNS9_4plusIvEEdEEDaPvRmT3_T4_T5_mT6_P12ihipStream_tbENKUlT_T0_E_clISt17integral_constantIbLb1EESX_EEDaSS_ST_EUlSS_E0_NS1_11comp_targetILNS1_3genE4ELNS1_11target_archE910ELNS1_3gpuE8ELNS1_3repE0EEENS1_30default_config_static_selectorELNS0_4arch9wavefront6targetE1EEEvT1_,comdat
.Lfunc_end4963:
	.size	_ZN7rocprim17ROCPRIM_400000_NS6detail17trampoline_kernelINS0_14default_configENS1_20scan_config_selectorIdEEZZNS1_9scan_implILNS1_25lookback_scan_determinismE0ELb1ELb1ES3_N6thrust23THRUST_200600_302600_NS6detail15normal_iteratorINS9_10device_ptrIdEEEENS9_16discard_iteratorINS9_11use_defaultEEEdNS9_4plusIvEEdEEDaPvRmT3_T4_T5_mT6_P12ihipStream_tbENKUlT_T0_E_clISt17integral_constantIbLb1EESX_EEDaSS_ST_EUlSS_E0_NS1_11comp_targetILNS1_3genE4ELNS1_11target_archE910ELNS1_3gpuE8ELNS1_3repE0EEENS1_30default_config_static_selectorELNS0_4arch9wavefront6targetE1EEEvT1_, .Lfunc_end4963-_ZN7rocprim17ROCPRIM_400000_NS6detail17trampoline_kernelINS0_14default_configENS1_20scan_config_selectorIdEEZZNS1_9scan_implILNS1_25lookback_scan_determinismE0ELb1ELb1ES3_N6thrust23THRUST_200600_302600_NS6detail15normal_iteratorINS9_10device_ptrIdEEEENS9_16discard_iteratorINS9_11use_defaultEEEdNS9_4plusIvEEdEEDaPvRmT3_T4_T5_mT6_P12ihipStream_tbENKUlT_T0_E_clISt17integral_constantIbLb1EESX_EEDaSS_ST_EUlSS_E0_NS1_11comp_targetILNS1_3genE4ELNS1_11target_archE910ELNS1_3gpuE8ELNS1_3repE0EEENS1_30default_config_static_selectorELNS0_4arch9wavefront6targetE1EEEvT1_
                                        ; -- End function
	.section	.AMDGPU.csdata,"",@progbits
; Kernel info:
; codeLenInByte = 1384
; NumSgprs: 14
; NumVgprs: 30
; NumAgprs: 0
; TotalNumVgprs: 30
; ScratchSize: 0
; MemoryBound: 0
; FloatMode: 240
; IeeeMode: 1
; LDSByteSize: 10240 bytes/workgroup (compile time only)
; SGPRBlocks: 1
; VGPRBlocks: 3
; NumSGPRsForWavesPerEU: 14
; NumVGPRsForWavesPerEU: 30
; AccumOffset: 32
; Occupancy: 3
; WaveLimiterHint : 0
; COMPUTE_PGM_RSRC2:SCRATCH_EN: 0
; COMPUTE_PGM_RSRC2:USER_SGPR: 6
; COMPUTE_PGM_RSRC2:TRAP_HANDLER: 0
; COMPUTE_PGM_RSRC2:TGID_X_EN: 1
; COMPUTE_PGM_RSRC2:TGID_Y_EN: 0
; COMPUTE_PGM_RSRC2:TGID_Z_EN: 0
; COMPUTE_PGM_RSRC2:TIDIG_COMP_CNT: 0
; COMPUTE_PGM_RSRC3_GFX90A:ACCUM_OFFSET: 7
; COMPUTE_PGM_RSRC3_GFX90A:TG_SPLIT: 0
	.section	.text._ZN7rocprim17ROCPRIM_400000_NS6detail17trampoline_kernelINS0_14default_configENS1_20scan_config_selectorIdEEZZNS1_9scan_implILNS1_25lookback_scan_determinismE0ELb1ELb1ES3_N6thrust23THRUST_200600_302600_NS6detail15normal_iteratorINS9_10device_ptrIdEEEENS9_16discard_iteratorINS9_11use_defaultEEEdNS9_4plusIvEEdEEDaPvRmT3_T4_T5_mT6_P12ihipStream_tbENKUlT_T0_E_clISt17integral_constantIbLb1EESX_EEDaSS_ST_EUlSS_E0_NS1_11comp_targetILNS1_3genE3ELNS1_11target_archE908ELNS1_3gpuE7ELNS1_3repE0EEENS1_30default_config_static_selectorELNS0_4arch9wavefront6targetE1EEEvT1_,"axG",@progbits,_ZN7rocprim17ROCPRIM_400000_NS6detail17trampoline_kernelINS0_14default_configENS1_20scan_config_selectorIdEEZZNS1_9scan_implILNS1_25lookback_scan_determinismE0ELb1ELb1ES3_N6thrust23THRUST_200600_302600_NS6detail15normal_iteratorINS9_10device_ptrIdEEEENS9_16discard_iteratorINS9_11use_defaultEEEdNS9_4plusIvEEdEEDaPvRmT3_T4_T5_mT6_P12ihipStream_tbENKUlT_T0_E_clISt17integral_constantIbLb1EESX_EEDaSS_ST_EUlSS_E0_NS1_11comp_targetILNS1_3genE3ELNS1_11target_archE908ELNS1_3gpuE7ELNS1_3repE0EEENS1_30default_config_static_selectorELNS0_4arch9wavefront6targetE1EEEvT1_,comdat
	.protected	_ZN7rocprim17ROCPRIM_400000_NS6detail17trampoline_kernelINS0_14default_configENS1_20scan_config_selectorIdEEZZNS1_9scan_implILNS1_25lookback_scan_determinismE0ELb1ELb1ES3_N6thrust23THRUST_200600_302600_NS6detail15normal_iteratorINS9_10device_ptrIdEEEENS9_16discard_iteratorINS9_11use_defaultEEEdNS9_4plusIvEEdEEDaPvRmT3_T4_T5_mT6_P12ihipStream_tbENKUlT_T0_E_clISt17integral_constantIbLb1EESX_EEDaSS_ST_EUlSS_E0_NS1_11comp_targetILNS1_3genE3ELNS1_11target_archE908ELNS1_3gpuE7ELNS1_3repE0EEENS1_30default_config_static_selectorELNS0_4arch9wavefront6targetE1EEEvT1_ ; -- Begin function _ZN7rocprim17ROCPRIM_400000_NS6detail17trampoline_kernelINS0_14default_configENS1_20scan_config_selectorIdEEZZNS1_9scan_implILNS1_25lookback_scan_determinismE0ELb1ELb1ES3_N6thrust23THRUST_200600_302600_NS6detail15normal_iteratorINS9_10device_ptrIdEEEENS9_16discard_iteratorINS9_11use_defaultEEEdNS9_4plusIvEEdEEDaPvRmT3_T4_T5_mT6_P12ihipStream_tbENKUlT_T0_E_clISt17integral_constantIbLb1EESX_EEDaSS_ST_EUlSS_E0_NS1_11comp_targetILNS1_3genE3ELNS1_11target_archE908ELNS1_3gpuE7ELNS1_3repE0EEENS1_30default_config_static_selectorELNS0_4arch9wavefront6targetE1EEEvT1_
	.globl	_ZN7rocprim17ROCPRIM_400000_NS6detail17trampoline_kernelINS0_14default_configENS1_20scan_config_selectorIdEEZZNS1_9scan_implILNS1_25lookback_scan_determinismE0ELb1ELb1ES3_N6thrust23THRUST_200600_302600_NS6detail15normal_iteratorINS9_10device_ptrIdEEEENS9_16discard_iteratorINS9_11use_defaultEEEdNS9_4plusIvEEdEEDaPvRmT3_T4_T5_mT6_P12ihipStream_tbENKUlT_T0_E_clISt17integral_constantIbLb1EESX_EEDaSS_ST_EUlSS_E0_NS1_11comp_targetILNS1_3genE3ELNS1_11target_archE908ELNS1_3gpuE7ELNS1_3repE0EEENS1_30default_config_static_selectorELNS0_4arch9wavefront6targetE1EEEvT1_
	.p2align	8
	.type	_ZN7rocprim17ROCPRIM_400000_NS6detail17trampoline_kernelINS0_14default_configENS1_20scan_config_selectorIdEEZZNS1_9scan_implILNS1_25lookback_scan_determinismE0ELb1ELb1ES3_N6thrust23THRUST_200600_302600_NS6detail15normal_iteratorINS9_10device_ptrIdEEEENS9_16discard_iteratorINS9_11use_defaultEEEdNS9_4plusIvEEdEEDaPvRmT3_T4_T5_mT6_P12ihipStream_tbENKUlT_T0_E_clISt17integral_constantIbLb1EESX_EEDaSS_ST_EUlSS_E0_NS1_11comp_targetILNS1_3genE3ELNS1_11target_archE908ELNS1_3gpuE7ELNS1_3repE0EEENS1_30default_config_static_selectorELNS0_4arch9wavefront6targetE1EEEvT1_,@function
_ZN7rocprim17ROCPRIM_400000_NS6detail17trampoline_kernelINS0_14default_configENS1_20scan_config_selectorIdEEZZNS1_9scan_implILNS1_25lookback_scan_determinismE0ELb1ELb1ES3_N6thrust23THRUST_200600_302600_NS6detail15normal_iteratorINS9_10device_ptrIdEEEENS9_16discard_iteratorINS9_11use_defaultEEEdNS9_4plusIvEEdEEDaPvRmT3_T4_T5_mT6_P12ihipStream_tbENKUlT_T0_E_clISt17integral_constantIbLb1EESX_EEDaSS_ST_EUlSS_E0_NS1_11comp_targetILNS1_3genE3ELNS1_11target_archE908ELNS1_3gpuE7ELNS1_3repE0EEENS1_30default_config_static_selectorELNS0_4arch9wavefront6targetE1EEEvT1_: ; @_ZN7rocprim17ROCPRIM_400000_NS6detail17trampoline_kernelINS0_14default_configENS1_20scan_config_selectorIdEEZZNS1_9scan_implILNS1_25lookback_scan_determinismE0ELb1ELb1ES3_N6thrust23THRUST_200600_302600_NS6detail15normal_iteratorINS9_10device_ptrIdEEEENS9_16discard_iteratorINS9_11use_defaultEEEdNS9_4plusIvEEdEEDaPvRmT3_T4_T5_mT6_P12ihipStream_tbENKUlT_T0_E_clISt17integral_constantIbLb1EESX_EEDaSS_ST_EUlSS_E0_NS1_11comp_targetILNS1_3genE3ELNS1_11target_archE908ELNS1_3gpuE7ELNS1_3repE0EEENS1_30default_config_static_selectorELNS0_4arch9wavefront6targetE1EEEvT1_
; %bb.0:
	.section	.rodata,"a",@progbits
	.p2align	6, 0x0
	.amdhsa_kernel _ZN7rocprim17ROCPRIM_400000_NS6detail17trampoline_kernelINS0_14default_configENS1_20scan_config_selectorIdEEZZNS1_9scan_implILNS1_25lookback_scan_determinismE0ELb1ELb1ES3_N6thrust23THRUST_200600_302600_NS6detail15normal_iteratorINS9_10device_ptrIdEEEENS9_16discard_iteratorINS9_11use_defaultEEEdNS9_4plusIvEEdEEDaPvRmT3_T4_T5_mT6_P12ihipStream_tbENKUlT_T0_E_clISt17integral_constantIbLb1EESX_EEDaSS_ST_EUlSS_E0_NS1_11comp_targetILNS1_3genE3ELNS1_11target_archE908ELNS1_3gpuE7ELNS1_3repE0EEENS1_30default_config_static_selectorELNS0_4arch9wavefront6targetE1EEEvT1_
		.amdhsa_group_segment_fixed_size 0
		.amdhsa_private_segment_fixed_size 0
		.amdhsa_kernarg_size 48
		.amdhsa_user_sgpr_count 6
		.amdhsa_user_sgpr_private_segment_buffer 1
		.amdhsa_user_sgpr_dispatch_ptr 0
		.amdhsa_user_sgpr_queue_ptr 0
		.amdhsa_user_sgpr_kernarg_segment_ptr 1
		.amdhsa_user_sgpr_dispatch_id 0
		.amdhsa_user_sgpr_flat_scratch_init 0
		.amdhsa_user_sgpr_kernarg_preload_length 0
		.amdhsa_user_sgpr_kernarg_preload_offset 0
		.amdhsa_user_sgpr_private_segment_size 0
		.amdhsa_uses_dynamic_stack 0
		.amdhsa_system_sgpr_private_segment_wavefront_offset 0
		.amdhsa_system_sgpr_workgroup_id_x 1
		.amdhsa_system_sgpr_workgroup_id_y 0
		.amdhsa_system_sgpr_workgroup_id_z 0
		.amdhsa_system_sgpr_workgroup_info 0
		.amdhsa_system_vgpr_workitem_id 0
		.amdhsa_next_free_vgpr 1
		.amdhsa_next_free_sgpr 0
		.amdhsa_accum_offset 4
		.amdhsa_reserve_vcc 0
		.amdhsa_reserve_flat_scratch 0
		.amdhsa_float_round_mode_32 0
		.amdhsa_float_round_mode_16_64 0
		.amdhsa_float_denorm_mode_32 3
		.amdhsa_float_denorm_mode_16_64 3
		.amdhsa_dx10_clamp 1
		.amdhsa_ieee_mode 1
		.amdhsa_fp16_overflow 0
		.amdhsa_tg_split 0
		.amdhsa_exception_fp_ieee_invalid_op 0
		.amdhsa_exception_fp_denorm_src 0
		.amdhsa_exception_fp_ieee_div_zero 0
		.amdhsa_exception_fp_ieee_overflow 0
		.amdhsa_exception_fp_ieee_underflow 0
		.amdhsa_exception_fp_ieee_inexact 0
		.amdhsa_exception_int_div_zero 0
	.end_amdhsa_kernel
	.section	.text._ZN7rocprim17ROCPRIM_400000_NS6detail17trampoline_kernelINS0_14default_configENS1_20scan_config_selectorIdEEZZNS1_9scan_implILNS1_25lookback_scan_determinismE0ELb1ELb1ES3_N6thrust23THRUST_200600_302600_NS6detail15normal_iteratorINS9_10device_ptrIdEEEENS9_16discard_iteratorINS9_11use_defaultEEEdNS9_4plusIvEEdEEDaPvRmT3_T4_T5_mT6_P12ihipStream_tbENKUlT_T0_E_clISt17integral_constantIbLb1EESX_EEDaSS_ST_EUlSS_E0_NS1_11comp_targetILNS1_3genE3ELNS1_11target_archE908ELNS1_3gpuE7ELNS1_3repE0EEENS1_30default_config_static_selectorELNS0_4arch9wavefront6targetE1EEEvT1_,"axG",@progbits,_ZN7rocprim17ROCPRIM_400000_NS6detail17trampoline_kernelINS0_14default_configENS1_20scan_config_selectorIdEEZZNS1_9scan_implILNS1_25lookback_scan_determinismE0ELb1ELb1ES3_N6thrust23THRUST_200600_302600_NS6detail15normal_iteratorINS9_10device_ptrIdEEEENS9_16discard_iteratorINS9_11use_defaultEEEdNS9_4plusIvEEdEEDaPvRmT3_T4_T5_mT6_P12ihipStream_tbENKUlT_T0_E_clISt17integral_constantIbLb1EESX_EEDaSS_ST_EUlSS_E0_NS1_11comp_targetILNS1_3genE3ELNS1_11target_archE908ELNS1_3gpuE7ELNS1_3repE0EEENS1_30default_config_static_selectorELNS0_4arch9wavefront6targetE1EEEvT1_,comdat
.Lfunc_end4964:
	.size	_ZN7rocprim17ROCPRIM_400000_NS6detail17trampoline_kernelINS0_14default_configENS1_20scan_config_selectorIdEEZZNS1_9scan_implILNS1_25lookback_scan_determinismE0ELb1ELb1ES3_N6thrust23THRUST_200600_302600_NS6detail15normal_iteratorINS9_10device_ptrIdEEEENS9_16discard_iteratorINS9_11use_defaultEEEdNS9_4plusIvEEdEEDaPvRmT3_T4_T5_mT6_P12ihipStream_tbENKUlT_T0_E_clISt17integral_constantIbLb1EESX_EEDaSS_ST_EUlSS_E0_NS1_11comp_targetILNS1_3genE3ELNS1_11target_archE908ELNS1_3gpuE7ELNS1_3repE0EEENS1_30default_config_static_selectorELNS0_4arch9wavefront6targetE1EEEvT1_, .Lfunc_end4964-_ZN7rocprim17ROCPRIM_400000_NS6detail17trampoline_kernelINS0_14default_configENS1_20scan_config_selectorIdEEZZNS1_9scan_implILNS1_25lookback_scan_determinismE0ELb1ELb1ES3_N6thrust23THRUST_200600_302600_NS6detail15normal_iteratorINS9_10device_ptrIdEEEENS9_16discard_iteratorINS9_11use_defaultEEEdNS9_4plusIvEEdEEDaPvRmT3_T4_T5_mT6_P12ihipStream_tbENKUlT_T0_E_clISt17integral_constantIbLb1EESX_EEDaSS_ST_EUlSS_E0_NS1_11comp_targetILNS1_3genE3ELNS1_11target_archE908ELNS1_3gpuE7ELNS1_3repE0EEENS1_30default_config_static_selectorELNS0_4arch9wavefront6targetE1EEEvT1_
                                        ; -- End function
	.section	.AMDGPU.csdata,"",@progbits
; Kernel info:
; codeLenInByte = 0
; NumSgprs: 4
; NumVgprs: 0
; NumAgprs: 0
; TotalNumVgprs: 0
; ScratchSize: 0
; MemoryBound: 0
; FloatMode: 240
; IeeeMode: 1
; LDSByteSize: 0 bytes/workgroup (compile time only)
; SGPRBlocks: 0
; VGPRBlocks: 0
; NumSGPRsForWavesPerEU: 4
; NumVGPRsForWavesPerEU: 1
; AccumOffset: 4
; Occupancy: 8
; WaveLimiterHint : 0
; COMPUTE_PGM_RSRC2:SCRATCH_EN: 0
; COMPUTE_PGM_RSRC2:USER_SGPR: 6
; COMPUTE_PGM_RSRC2:TRAP_HANDLER: 0
; COMPUTE_PGM_RSRC2:TGID_X_EN: 1
; COMPUTE_PGM_RSRC2:TGID_Y_EN: 0
; COMPUTE_PGM_RSRC2:TGID_Z_EN: 0
; COMPUTE_PGM_RSRC2:TIDIG_COMP_CNT: 0
; COMPUTE_PGM_RSRC3_GFX90A:ACCUM_OFFSET: 0
; COMPUTE_PGM_RSRC3_GFX90A:TG_SPLIT: 0
	.section	.text._ZN7rocprim17ROCPRIM_400000_NS6detail17trampoline_kernelINS0_14default_configENS1_20scan_config_selectorIdEEZZNS1_9scan_implILNS1_25lookback_scan_determinismE0ELb1ELb1ES3_N6thrust23THRUST_200600_302600_NS6detail15normal_iteratorINS9_10device_ptrIdEEEENS9_16discard_iteratorINS9_11use_defaultEEEdNS9_4plusIvEEdEEDaPvRmT3_T4_T5_mT6_P12ihipStream_tbENKUlT_T0_E_clISt17integral_constantIbLb1EESX_EEDaSS_ST_EUlSS_E0_NS1_11comp_targetILNS1_3genE2ELNS1_11target_archE906ELNS1_3gpuE6ELNS1_3repE0EEENS1_30default_config_static_selectorELNS0_4arch9wavefront6targetE1EEEvT1_,"axG",@progbits,_ZN7rocprim17ROCPRIM_400000_NS6detail17trampoline_kernelINS0_14default_configENS1_20scan_config_selectorIdEEZZNS1_9scan_implILNS1_25lookback_scan_determinismE0ELb1ELb1ES3_N6thrust23THRUST_200600_302600_NS6detail15normal_iteratorINS9_10device_ptrIdEEEENS9_16discard_iteratorINS9_11use_defaultEEEdNS9_4plusIvEEdEEDaPvRmT3_T4_T5_mT6_P12ihipStream_tbENKUlT_T0_E_clISt17integral_constantIbLb1EESX_EEDaSS_ST_EUlSS_E0_NS1_11comp_targetILNS1_3genE2ELNS1_11target_archE906ELNS1_3gpuE6ELNS1_3repE0EEENS1_30default_config_static_selectorELNS0_4arch9wavefront6targetE1EEEvT1_,comdat
	.protected	_ZN7rocprim17ROCPRIM_400000_NS6detail17trampoline_kernelINS0_14default_configENS1_20scan_config_selectorIdEEZZNS1_9scan_implILNS1_25lookback_scan_determinismE0ELb1ELb1ES3_N6thrust23THRUST_200600_302600_NS6detail15normal_iteratorINS9_10device_ptrIdEEEENS9_16discard_iteratorINS9_11use_defaultEEEdNS9_4plusIvEEdEEDaPvRmT3_T4_T5_mT6_P12ihipStream_tbENKUlT_T0_E_clISt17integral_constantIbLb1EESX_EEDaSS_ST_EUlSS_E0_NS1_11comp_targetILNS1_3genE2ELNS1_11target_archE906ELNS1_3gpuE6ELNS1_3repE0EEENS1_30default_config_static_selectorELNS0_4arch9wavefront6targetE1EEEvT1_ ; -- Begin function _ZN7rocprim17ROCPRIM_400000_NS6detail17trampoline_kernelINS0_14default_configENS1_20scan_config_selectorIdEEZZNS1_9scan_implILNS1_25lookback_scan_determinismE0ELb1ELb1ES3_N6thrust23THRUST_200600_302600_NS6detail15normal_iteratorINS9_10device_ptrIdEEEENS9_16discard_iteratorINS9_11use_defaultEEEdNS9_4plusIvEEdEEDaPvRmT3_T4_T5_mT6_P12ihipStream_tbENKUlT_T0_E_clISt17integral_constantIbLb1EESX_EEDaSS_ST_EUlSS_E0_NS1_11comp_targetILNS1_3genE2ELNS1_11target_archE906ELNS1_3gpuE6ELNS1_3repE0EEENS1_30default_config_static_selectorELNS0_4arch9wavefront6targetE1EEEvT1_
	.globl	_ZN7rocprim17ROCPRIM_400000_NS6detail17trampoline_kernelINS0_14default_configENS1_20scan_config_selectorIdEEZZNS1_9scan_implILNS1_25lookback_scan_determinismE0ELb1ELb1ES3_N6thrust23THRUST_200600_302600_NS6detail15normal_iteratorINS9_10device_ptrIdEEEENS9_16discard_iteratorINS9_11use_defaultEEEdNS9_4plusIvEEdEEDaPvRmT3_T4_T5_mT6_P12ihipStream_tbENKUlT_T0_E_clISt17integral_constantIbLb1EESX_EEDaSS_ST_EUlSS_E0_NS1_11comp_targetILNS1_3genE2ELNS1_11target_archE906ELNS1_3gpuE6ELNS1_3repE0EEENS1_30default_config_static_selectorELNS0_4arch9wavefront6targetE1EEEvT1_
	.p2align	8
	.type	_ZN7rocprim17ROCPRIM_400000_NS6detail17trampoline_kernelINS0_14default_configENS1_20scan_config_selectorIdEEZZNS1_9scan_implILNS1_25lookback_scan_determinismE0ELb1ELb1ES3_N6thrust23THRUST_200600_302600_NS6detail15normal_iteratorINS9_10device_ptrIdEEEENS9_16discard_iteratorINS9_11use_defaultEEEdNS9_4plusIvEEdEEDaPvRmT3_T4_T5_mT6_P12ihipStream_tbENKUlT_T0_E_clISt17integral_constantIbLb1EESX_EEDaSS_ST_EUlSS_E0_NS1_11comp_targetILNS1_3genE2ELNS1_11target_archE906ELNS1_3gpuE6ELNS1_3repE0EEENS1_30default_config_static_selectorELNS0_4arch9wavefront6targetE1EEEvT1_,@function
_ZN7rocprim17ROCPRIM_400000_NS6detail17trampoline_kernelINS0_14default_configENS1_20scan_config_selectorIdEEZZNS1_9scan_implILNS1_25lookback_scan_determinismE0ELb1ELb1ES3_N6thrust23THRUST_200600_302600_NS6detail15normal_iteratorINS9_10device_ptrIdEEEENS9_16discard_iteratorINS9_11use_defaultEEEdNS9_4plusIvEEdEEDaPvRmT3_T4_T5_mT6_P12ihipStream_tbENKUlT_T0_E_clISt17integral_constantIbLb1EESX_EEDaSS_ST_EUlSS_E0_NS1_11comp_targetILNS1_3genE2ELNS1_11target_archE906ELNS1_3gpuE6ELNS1_3repE0EEENS1_30default_config_static_selectorELNS0_4arch9wavefront6targetE1EEEvT1_: ; @_ZN7rocprim17ROCPRIM_400000_NS6detail17trampoline_kernelINS0_14default_configENS1_20scan_config_selectorIdEEZZNS1_9scan_implILNS1_25lookback_scan_determinismE0ELb1ELb1ES3_N6thrust23THRUST_200600_302600_NS6detail15normal_iteratorINS9_10device_ptrIdEEEENS9_16discard_iteratorINS9_11use_defaultEEEdNS9_4plusIvEEdEEDaPvRmT3_T4_T5_mT6_P12ihipStream_tbENKUlT_T0_E_clISt17integral_constantIbLb1EESX_EEDaSS_ST_EUlSS_E0_NS1_11comp_targetILNS1_3genE2ELNS1_11target_archE906ELNS1_3gpuE6ELNS1_3repE0EEENS1_30default_config_static_selectorELNS0_4arch9wavefront6targetE1EEEvT1_
; %bb.0:
	.section	.rodata,"a",@progbits
	.p2align	6, 0x0
	.amdhsa_kernel _ZN7rocprim17ROCPRIM_400000_NS6detail17trampoline_kernelINS0_14default_configENS1_20scan_config_selectorIdEEZZNS1_9scan_implILNS1_25lookback_scan_determinismE0ELb1ELb1ES3_N6thrust23THRUST_200600_302600_NS6detail15normal_iteratorINS9_10device_ptrIdEEEENS9_16discard_iteratorINS9_11use_defaultEEEdNS9_4plusIvEEdEEDaPvRmT3_T4_T5_mT6_P12ihipStream_tbENKUlT_T0_E_clISt17integral_constantIbLb1EESX_EEDaSS_ST_EUlSS_E0_NS1_11comp_targetILNS1_3genE2ELNS1_11target_archE906ELNS1_3gpuE6ELNS1_3repE0EEENS1_30default_config_static_selectorELNS0_4arch9wavefront6targetE1EEEvT1_
		.amdhsa_group_segment_fixed_size 0
		.amdhsa_private_segment_fixed_size 0
		.amdhsa_kernarg_size 48
		.amdhsa_user_sgpr_count 6
		.amdhsa_user_sgpr_private_segment_buffer 1
		.amdhsa_user_sgpr_dispatch_ptr 0
		.amdhsa_user_sgpr_queue_ptr 0
		.amdhsa_user_sgpr_kernarg_segment_ptr 1
		.amdhsa_user_sgpr_dispatch_id 0
		.amdhsa_user_sgpr_flat_scratch_init 0
		.amdhsa_user_sgpr_kernarg_preload_length 0
		.amdhsa_user_sgpr_kernarg_preload_offset 0
		.amdhsa_user_sgpr_private_segment_size 0
		.amdhsa_uses_dynamic_stack 0
		.amdhsa_system_sgpr_private_segment_wavefront_offset 0
		.amdhsa_system_sgpr_workgroup_id_x 1
		.amdhsa_system_sgpr_workgroup_id_y 0
		.amdhsa_system_sgpr_workgroup_id_z 0
		.amdhsa_system_sgpr_workgroup_info 0
		.amdhsa_system_vgpr_workitem_id 0
		.amdhsa_next_free_vgpr 1
		.amdhsa_next_free_sgpr 0
		.amdhsa_accum_offset 4
		.amdhsa_reserve_vcc 0
		.amdhsa_reserve_flat_scratch 0
		.amdhsa_float_round_mode_32 0
		.amdhsa_float_round_mode_16_64 0
		.amdhsa_float_denorm_mode_32 3
		.amdhsa_float_denorm_mode_16_64 3
		.amdhsa_dx10_clamp 1
		.amdhsa_ieee_mode 1
		.amdhsa_fp16_overflow 0
		.amdhsa_tg_split 0
		.amdhsa_exception_fp_ieee_invalid_op 0
		.amdhsa_exception_fp_denorm_src 0
		.amdhsa_exception_fp_ieee_div_zero 0
		.amdhsa_exception_fp_ieee_overflow 0
		.amdhsa_exception_fp_ieee_underflow 0
		.amdhsa_exception_fp_ieee_inexact 0
		.amdhsa_exception_int_div_zero 0
	.end_amdhsa_kernel
	.section	.text._ZN7rocprim17ROCPRIM_400000_NS6detail17trampoline_kernelINS0_14default_configENS1_20scan_config_selectorIdEEZZNS1_9scan_implILNS1_25lookback_scan_determinismE0ELb1ELb1ES3_N6thrust23THRUST_200600_302600_NS6detail15normal_iteratorINS9_10device_ptrIdEEEENS9_16discard_iteratorINS9_11use_defaultEEEdNS9_4plusIvEEdEEDaPvRmT3_T4_T5_mT6_P12ihipStream_tbENKUlT_T0_E_clISt17integral_constantIbLb1EESX_EEDaSS_ST_EUlSS_E0_NS1_11comp_targetILNS1_3genE2ELNS1_11target_archE906ELNS1_3gpuE6ELNS1_3repE0EEENS1_30default_config_static_selectorELNS0_4arch9wavefront6targetE1EEEvT1_,"axG",@progbits,_ZN7rocprim17ROCPRIM_400000_NS6detail17trampoline_kernelINS0_14default_configENS1_20scan_config_selectorIdEEZZNS1_9scan_implILNS1_25lookback_scan_determinismE0ELb1ELb1ES3_N6thrust23THRUST_200600_302600_NS6detail15normal_iteratorINS9_10device_ptrIdEEEENS9_16discard_iteratorINS9_11use_defaultEEEdNS9_4plusIvEEdEEDaPvRmT3_T4_T5_mT6_P12ihipStream_tbENKUlT_T0_E_clISt17integral_constantIbLb1EESX_EEDaSS_ST_EUlSS_E0_NS1_11comp_targetILNS1_3genE2ELNS1_11target_archE906ELNS1_3gpuE6ELNS1_3repE0EEENS1_30default_config_static_selectorELNS0_4arch9wavefront6targetE1EEEvT1_,comdat
.Lfunc_end4965:
	.size	_ZN7rocprim17ROCPRIM_400000_NS6detail17trampoline_kernelINS0_14default_configENS1_20scan_config_selectorIdEEZZNS1_9scan_implILNS1_25lookback_scan_determinismE0ELb1ELb1ES3_N6thrust23THRUST_200600_302600_NS6detail15normal_iteratorINS9_10device_ptrIdEEEENS9_16discard_iteratorINS9_11use_defaultEEEdNS9_4plusIvEEdEEDaPvRmT3_T4_T5_mT6_P12ihipStream_tbENKUlT_T0_E_clISt17integral_constantIbLb1EESX_EEDaSS_ST_EUlSS_E0_NS1_11comp_targetILNS1_3genE2ELNS1_11target_archE906ELNS1_3gpuE6ELNS1_3repE0EEENS1_30default_config_static_selectorELNS0_4arch9wavefront6targetE1EEEvT1_, .Lfunc_end4965-_ZN7rocprim17ROCPRIM_400000_NS6detail17trampoline_kernelINS0_14default_configENS1_20scan_config_selectorIdEEZZNS1_9scan_implILNS1_25lookback_scan_determinismE0ELb1ELb1ES3_N6thrust23THRUST_200600_302600_NS6detail15normal_iteratorINS9_10device_ptrIdEEEENS9_16discard_iteratorINS9_11use_defaultEEEdNS9_4plusIvEEdEEDaPvRmT3_T4_T5_mT6_P12ihipStream_tbENKUlT_T0_E_clISt17integral_constantIbLb1EESX_EEDaSS_ST_EUlSS_E0_NS1_11comp_targetILNS1_3genE2ELNS1_11target_archE906ELNS1_3gpuE6ELNS1_3repE0EEENS1_30default_config_static_selectorELNS0_4arch9wavefront6targetE1EEEvT1_
                                        ; -- End function
	.section	.AMDGPU.csdata,"",@progbits
; Kernel info:
; codeLenInByte = 0
; NumSgprs: 4
; NumVgprs: 0
; NumAgprs: 0
; TotalNumVgprs: 0
; ScratchSize: 0
; MemoryBound: 0
; FloatMode: 240
; IeeeMode: 1
; LDSByteSize: 0 bytes/workgroup (compile time only)
; SGPRBlocks: 0
; VGPRBlocks: 0
; NumSGPRsForWavesPerEU: 4
; NumVGPRsForWavesPerEU: 1
; AccumOffset: 4
; Occupancy: 8
; WaveLimiterHint : 0
; COMPUTE_PGM_RSRC2:SCRATCH_EN: 0
; COMPUTE_PGM_RSRC2:USER_SGPR: 6
; COMPUTE_PGM_RSRC2:TRAP_HANDLER: 0
; COMPUTE_PGM_RSRC2:TGID_X_EN: 1
; COMPUTE_PGM_RSRC2:TGID_Y_EN: 0
; COMPUTE_PGM_RSRC2:TGID_Z_EN: 0
; COMPUTE_PGM_RSRC2:TIDIG_COMP_CNT: 0
; COMPUTE_PGM_RSRC3_GFX90A:ACCUM_OFFSET: 0
; COMPUTE_PGM_RSRC3_GFX90A:TG_SPLIT: 0
	.section	.text._ZN7rocprim17ROCPRIM_400000_NS6detail17trampoline_kernelINS0_14default_configENS1_20scan_config_selectorIdEEZZNS1_9scan_implILNS1_25lookback_scan_determinismE0ELb1ELb1ES3_N6thrust23THRUST_200600_302600_NS6detail15normal_iteratorINS9_10device_ptrIdEEEENS9_16discard_iteratorINS9_11use_defaultEEEdNS9_4plusIvEEdEEDaPvRmT3_T4_T5_mT6_P12ihipStream_tbENKUlT_T0_E_clISt17integral_constantIbLb1EESX_EEDaSS_ST_EUlSS_E0_NS1_11comp_targetILNS1_3genE10ELNS1_11target_archE1201ELNS1_3gpuE5ELNS1_3repE0EEENS1_30default_config_static_selectorELNS0_4arch9wavefront6targetE1EEEvT1_,"axG",@progbits,_ZN7rocprim17ROCPRIM_400000_NS6detail17trampoline_kernelINS0_14default_configENS1_20scan_config_selectorIdEEZZNS1_9scan_implILNS1_25lookback_scan_determinismE0ELb1ELb1ES3_N6thrust23THRUST_200600_302600_NS6detail15normal_iteratorINS9_10device_ptrIdEEEENS9_16discard_iteratorINS9_11use_defaultEEEdNS9_4plusIvEEdEEDaPvRmT3_T4_T5_mT6_P12ihipStream_tbENKUlT_T0_E_clISt17integral_constantIbLb1EESX_EEDaSS_ST_EUlSS_E0_NS1_11comp_targetILNS1_3genE10ELNS1_11target_archE1201ELNS1_3gpuE5ELNS1_3repE0EEENS1_30default_config_static_selectorELNS0_4arch9wavefront6targetE1EEEvT1_,comdat
	.protected	_ZN7rocprim17ROCPRIM_400000_NS6detail17trampoline_kernelINS0_14default_configENS1_20scan_config_selectorIdEEZZNS1_9scan_implILNS1_25lookback_scan_determinismE0ELb1ELb1ES3_N6thrust23THRUST_200600_302600_NS6detail15normal_iteratorINS9_10device_ptrIdEEEENS9_16discard_iteratorINS9_11use_defaultEEEdNS9_4plusIvEEdEEDaPvRmT3_T4_T5_mT6_P12ihipStream_tbENKUlT_T0_E_clISt17integral_constantIbLb1EESX_EEDaSS_ST_EUlSS_E0_NS1_11comp_targetILNS1_3genE10ELNS1_11target_archE1201ELNS1_3gpuE5ELNS1_3repE0EEENS1_30default_config_static_selectorELNS0_4arch9wavefront6targetE1EEEvT1_ ; -- Begin function _ZN7rocprim17ROCPRIM_400000_NS6detail17trampoline_kernelINS0_14default_configENS1_20scan_config_selectorIdEEZZNS1_9scan_implILNS1_25lookback_scan_determinismE0ELb1ELb1ES3_N6thrust23THRUST_200600_302600_NS6detail15normal_iteratorINS9_10device_ptrIdEEEENS9_16discard_iteratorINS9_11use_defaultEEEdNS9_4plusIvEEdEEDaPvRmT3_T4_T5_mT6_P12ihipStream_tbENKUlT_T0_E_clISt17integral_constantIbLb1EESX_EEDaSS_ST_EUlSS_E0_NS1_11comp_targetILNS1_3genE10ELNS1_11target_archE1201ELNS1_3gpuE5ELNS1_3repE0EEENS1_30default_config_static_selectorELNS0_4arch9wavefront6targetE1EEEvT1_
	.globl	_ZN7rocprim17ROCPRIM_400000_NS6detail17trampoline_kernelINS0_14default_configENS1_20scan_config_selectorIdEEZZNS1_9scan_implILNS1_25lookback_scan_determinismE0ELb1ELb1ES3_N6thrust23THRUST_200600_302600_NS6detail15normal_iteratorINS9_10device_ptrIdEEEENS9_16discard_iteratorINS9_11use_defaultEEEdNS9_4plusIvEEdEEDaPvRmT3_T4_T5_mT6_P12ihipStream_tbENKUlT_T0_E_clISt17integral_constantIbLb1EESX_EEDaSS_ST_EUlSS_E0_NS1_11comp_targetILNS1_3genE10ELNS1_11target_archE1201ELNS1_3gpuE5ELNS1_3repE0EEENS1_30default_config_static_selectorELNS0_4arch9wavefront6targetE1EEEvT1_
	.p2align	8
	.type	_ZN7rocprim17ROCPRIM_400000_NS6detail17trampoline_kernelINS0_14default_configENS1_20scan_config_selectorIdEEZZNS1_9scan_implILNS1_25lookback_scan_determinismE0ELb1ELb1ES3_N6thrust23THRUST_200600_302600_NS6detail15normal_iteratorINS9_10device_ptrIdEEEENS9_16discard_iteratorINS9_11use_defaultEEEdNS9_4plusIvEEdEEDaPvRmT3_T4_T5_mT6_P12ihipStream_tbENKUlT_T0_E_clISt17integral_constantIbLb1EESX_EEDaSS_ST_EUlSS_E0_NS1_11comp_targetILNS1_3genE10ELNS1_11target_archE1201ELNS1_3gpuE5ELNS1_3repE0EEENS1_30default_config_static_selectorELNS0_4arch9wavefront6targetE1EEEvT1_,@function
_ZN7rocprim17ROCPRIM_400000_NS6detail17trampoline_kernelINS0_14default_configENS1_20scan_config_selectorIdEEZZNS1_9scan_implILNS1_25lookback_scan_determinismE0ELb1ELb1ES3_N6thrust23THRUST_200600_302600_NS6detail15normal_iteratorINS9_10device_ptrIdEEEENS9_16discard_iteratorINS9_11use_defaultEEEdNS9_4plusIvEEdEEDaPvRmT3_T4_T5_mT6_P12ihipStream_tbENKUlT_T0_E_clISt17integral_constantIbLb1EESX_EEDaSS_ST_EUlSS_E0_NS1_11comp_targetILNS1_3genE10ELNS1_11target_archE1201ELNS1_3gpuE5ELNS1_3repE0EEENS1_30default_config_static_selectorELNS0_4arch9wavefront6targetE1EEEvT1_: ; @_ZN7rocprim17ROCPRIM_400000_NS6detail17trampoline_kernelINS0_14default_configENS1_20scan_config_selectorIdEEZZNS1_9scan_implILNS1_25lookback_scan_determinismE0ELb1ELb1ES3_N6thrust23THRUST_200600_302600_NS6detail15normal_iteratorINS9_10device_ptrIdEEEENS9_16discard_iteratorINS9_11use_defaultEEEdNS9_4plusIvEEdEEDaPvRmT3_T4_T5_mT6_P12ihipStream_tbENKUlT_T0_E_clISt17integral_constantIbLb1EESX_EEDaSS_ST_EUlSS_E0_NS1_11comp_targetILNS1_3genE10ELNS1_11target_archE1201ELNS1_3gpuE5ELNS1_3repE0EEENS1_30default_config_static_selectorELNS0_4arch9wavefront6targetE1EEEvT1_
; %bb.0:
	.section	.rodata,"a",@progbits
	.p2align	6, 0x0
	.amdhsa_kernel _ZN7rocprim17ROCPRIM_400000_NS6detail17trampoline_kernelINS0_14default_configENS1_20scan_config_selectorIdEEZZNS1_9scan_implILNS1_25lookback_scan_determinismE0ELb1ELb1ES3_N6thrust23THRUST_200600_302600_NS6detail15normal_iteratorINS9_10device_ptrIdEEEENS9_16discard_iteratorINS9_11use_defaultEEEdNS9_4plusIvEEdEEDaPvRmT3_T4_T5_mT6_P12ihipStream_tbENKUlT_T0_E_clISt17integral_constantIbLb1EESX_EEDaSS_ST_EUlSS_E0_NS1_11comp_targetILNS1_3genE10ELNS1_11target_archE1201ELNS1_3gpuE5ELNS1_3repE0EEENS1_30default_config_static_selectorELNS0_4arch9wavefront6targetE1EEEvT1_
		.amdhsa_group_segment_fixed_size 0
		.amdhsa_private_segment_fixed_size 0
		.amdhsa_kernarg_size 48
		.amdhsa_user_sgpr_count 6
		.amdhsa_user_sgpr_private_segment_buffer 1
		.amdhsa_user_sgpr_dispatch_ptr 0
		.amdhsa_user_sgpr_queue_ptr 0
		.amdhsa_user_sgpr_kernarg_segment_ptr 1
		.amdhsa_user_sgpr_dispatch_id 0
		.amdhsa_user_sgpr_flat_scratch_init 0
		.amdhsa_user_sgpr_kernarg_preload_length 0
		.amdhsa_user_sgpr_kernarg_preload_offset 0
		.amdhsa_user_sgpr_private_segment_size 0
		.amdhsa_uses_dynamic_stack 0
		.amdhsa_system_sgpr_private_segment_wavefront_offset 0
		.amdhsa_system_sgpr_workgroup_id_x 1
		.amdhsa_system_sgpr_workgroup_id_y 0
		.amdhsa_system_sgpr_workgroup_id_z 0
		.amdhsa_system_sgpr_workgroup_info 0
		.amdhsa_system_vgpr_workitem_id 0
		.amdhsa_next_free_vgpr 1
		.amdhsa_next_free_sgpr 0
		.amdhsa_accum_offset 4
		.amdhsa_reserve_vcc 0
		.amdhsa_reserve_flat_scratch 0
		.amdhsa_float_round_mode_32 0
		.amdhsa_float_round_mode_16_64 0
		.amdhsa_float_denorm_mode_32 3
		.amdhsa_float_denorm_mode_16_64 3
		.amdhsa_dx10_clamp 1
		.amdhsa_ieee_mode 1
		.amdhsa_fp16_overflow 0
		.amdhsa_tg_split 0
		.amdhsa_exception_fp_ieee_invalid_op 0
		.amdhsa_exception_fp_denorm_src 0
		.amdhsa_exception_fp_ieee_div_zero 0
		.amdhsa_exception_fp_ieee_overflow 0
		.amdhsa_exception_fp_ieee_underflow 0
		.amdhsa_exception_fp_ieee_inexact 0
		.amdhsa_exception_int_div_zero 0
	.end_amdhsa_kernel
	.section	.text._ZN7rocprim17ROCPRIM_400000_NS6detail17trampoline_kernelINS0_14default_configENS1_20scan_config_selectorIdEEZZNS1_9scan_implILNS1_25lookback_scan_determinismE0ELb1ELb1ES3_N6thrust23THRUST_200600_302600_NS6detail15normal_iteratorINS9_10device_ptrIdEEEENS9_16discard_iteratorINS9_11use_defaultEEEdNS9_4plusIvEEdEEDaPvRmT3_T4_T5_mT6_P12ihipStream_tbENKUlT_T0_E_clISt17integral_constantIbLb1EESX_EEDaSS_ST_EUlSS_E0_NS1_11comp_targetILNS1_3genE10ELNS1_11target_archE1201ELNS1_3gpuE5ELNS1_3repE0EEENS1_30default_config_static_selectorELNS0_4arch9wavefront6targetE1EEEvT1_,"axG",@progbits,_ZN7rocprim17ROCPRIM_400000_NS6detail17trampoline_kernelINS0_14default_configENS1_20scan_config_selectorIdEEZZNS1_9scan_implILNS1_25lookback_scan_determinismE0ELb1ELb1ES3_N6thrust23THRUST_200600_302600_NS6detail15normal_iteratorINS9_10device_ptrIdEEEENS9_16discard_iteratorINS9_11use_defaultEEEdNS9_4plusIvEEdEEDaPvRmT3_T4_T5_mT6_P12ihipStream_tbENKUlT_T0_E_clISt17integral_constantIbLb1EESX_EEDaSS_ST_EUlSS_E0_NS1_11comp_targetILNS1_3genE10ELNS1_11target_archE1201ELNS1_3gpuE5ELNS1_3repE0EEENS1_30default_config_static_selectorELNS0_4arch9wavefront6targetE1EEEvT1_,comdat
.Lfunc_end4966:
	.size	_ZN7rocprim17ROCPRIM_400000_NS6detail17trampoline_kernelINS0_14default_configENS1_20scan_config_selectorIdEEZZNS1_9scan_implILNS1_25lookback_scan_determinismE0ELb1ELb1ES3_N6thrust23THRUST_200600_302600_NS6detail15normal_iteratorINS9_10device_ptrIdEEEENS9_16discard_iteratorINS9_11use_defaultEEEdNS9_4plusIvEEdEEDaPvRmT3_T4_T5_mT6_P12ihipStream_tbENKUlT_T0_E_clISt17integral_constantIbLb1EESX_EEDaSS_ST_EUlSS_E0_NS1_11comp_targetILNS1_3genE10ELNS1_11target_archE1201ELNS1_3gpuE5ELNS1_3repE0EEENS1_30default_config_static_selectorELNS0_4arch9wavefront6targetE1EEEvT1_, .Lfunc_end4966-_ZN7rocprim17ROCPRIM_400000_NS6detail17trampoline_kernelINS0_14default_configENS1_20scan_config_selectorIdEEZZNS1_9scan_implILNS1_25lookback_scan_determinismE0ELb1ELb1ES3_N6thrust23THRUST_200600_302600_NS6detail15normal_iteratorINS9_10device_ptrIdEEEENS9_16discard_iteratorINS9_11use_defaultEEEdNS9_4plusIvEEdEEDaPvRmT3_T4_T5_mT6_P12ihipStream_tbENKUlT_T0_E_clISt17integral_constantIbLb1EESX_EEDaSS_ST_EUlSS_E0_NS1_11comp_targetILNS1_3genE10ELNS1_11target_archE1201ELNS1_3gpuE5ELNS1_3repE0EEENS1_30default_config_static_selectorELNS0_4arch9wavefront6targetE1EEEvT1_
                                        ; -- End function
	.section	.AMDGPU.csdata,"",@progbits
; Kernel info:
; codeLenInByte = 0
; NumSgprs: 4
; NumVgprs: 0
; NumAgprs: 0
; TotalNumVgprs: 0
; ScratchSize: 0
; MemoryBound: 0
; FloatMode: 240
; IeeeMode: 1
; LDSByteSize: 0 bytes/workgroup (compile time only)
; SGPRBlocks: 0
; VGPRBlocks: 0
; NumSGPRsForWavesPerEU: 4
; NumVGPRsForWavesPerEU: 1
; AccumOffset: 4
; Occupancy: 8
; WaveLimiterHint : 0
; COMPUTE_PGM_RSRC2:SCRATCH_EN: 0
; COMPUTE_PGM_RSRC2:USER_SGPR: 6
; COMPUTE_PGM_RSRC2:TRAP_HANDLER: 0
; COMPUTE_PGM_RSRC2:TGID_X_EN: 1
; COMPUTE_PGM_RSRC2:TGID_Y_EN: 0
; COMPUTE_PGM_RSRC2:TGID_Z_EN: 0
; COMPUTE_PGM_RSRC2:TIDIG_COMP_CNT: 0
; COMPUTE_PGM_RSRC3_GFX90A:ACCUM_OFFSET: 0
; COMPUTE_PGM_RSRC3_GFX90A:TG_SPLIT: 0
	.section	.text._ZN7rocprim17ROCPRIM_400000_NS6detail17trampoline_kernelINS0_14default_configENS1_20scan_config_selectorIdEEZZNS1_9scan_implILNS1_25lookback_scan_determinismE0ELb1ELb1ES3_N6thrust23THRUST_200600_302600_NS6detail15normal_iteratorINS9_10device_ptrIdEEEENS9_16discard_iteratorINS9_11use_defaultEEEdNS9_4plusIvEEdEEDaPvRmT3_T4_T5_mT6_P12ihipStream_tbENKUlT_T0_E_clISt17integral_constantIbLb1EESX_EEDaSS_ST_EUlSS_E0_NS1_11comp_targetILNS1_3genE10ELNS1_11target_archE1200ELNS1_3gpuE4ELNS1_3repE0EEENS1_30default_config_static_selectorELNS0_4arch9wavefront6targetE1EEEvT1_,"axG",@progbits,_ZN7rocprim17ROCPRIM_400000_NS6detail17trampoline_kernelINS0_14default_configENS1_20scan_config_selectorIdEEZZNS1_9scan_implILNS1_25lookback_scan_determinismE0ELb1ELb1ES3_N6thrust23THRUST_200600_302600_NS6detail15normal_iteratorINS9_10device_ptrIdEEEENS9_16discard_iteratorINS9_11use_defaultEEEdNS9_4plusIvEEdEEDaPvRmT3_T4_T5_mT6_P12ihipStream_tbENKUlT_T0_E_clISt17integral_constantIbLb1EESX_EEDaSS_ST_EUlSS_E0_NS1_11comp_targetILNS1_3genE10ELNS1_11target_archE1200ELNS1_3gpuE4ELNS1_3repE0EEENS1_30default_config_static_selectorELNS0_4arch9wavefront6targetE1EEEvT1_,comdat
	.protected	_ZN7rocprim17ROCPRIM_400000_NS6detail17trampoline_kernelINS0_14default_configENS1_20scan_config_selectorIdEEZZNS1_9scan_implILNS1_25lookback_scan_determinismE0ELb1ELb1ES3_N6thrust23THRUST_200600_302600_NS6detail15normal_iteratorINS9_10device_ptrIdEEEENS9_16discard_iteratorINS9_11use_defaultEEEdNS9_4plusIvEEdEEDaPvRmT3_T4_T5_mT6_P12ihipStream_tbENKUlT_T0_E_clISt17integral_constantIbLb1EESX_EEDaSS_ST_EUlSS_E0_NS1_11comp_targetILNS1_3genE10ELNS1_11target_archE1200ELNS1_3gpuE4ELNS1_3repE0EEENS1_30default_config_static_selectorELNS0_4arch9wavefront6targetE1EEEvT1_ ; -- Begin function _ZN7rocprim17ROCPRIM_400000_NS6detail17trampoline_kernelINS0_14default_configENS1_20scan_config_selectorIdEEZZNS1_9scan_implILNS1_25lookback_scan_determinismE0ELb1ELb1ES3_N6thrust23THRUST_200600_302600_NS6detail15normal_iteratorINS9_10device_ptrIdEEEENS9_16discard_iteratorINS9_11use_defaultEEEdNS9_4plusIvEEdEEDaPvRmT3_T4_T5_mT6_P12ihipStream_tbENKUlT_T0_E_clISt17integral_constantIbLb1EESX_EEDaSS_ST_EUlSS_E0_NS1_11comp_targetILNS1_3genE10ELNS1_11target_archE1200ELNS1_3gpuE4ELNS1_3repE0EEENS1_30default_config_static_selectorELNS0_4arch9wavefront6targetE1EEEvT1_
	.globl	_ZN7rocprim17ROCPRIM_400000_NS6detail17trampoline_kernelINS0_14default_configENS1_20scan_config_selectorIdEEZZNS1_9scan_implILNS1_25lookback_scan_determinismE0ELb1ELb1ES3_N6thrust23THRUST_200600_302600_NS6detail15normal_iteratorINS9_10device_ptrIdEEEENS9_16discard_iteratorINS9_11use_defaultEEEdNS9_4plusIvEEdEEDaPvRmT3_T4_T5_mT6_P12ihipStream_tbENKUlT_T0_E_clISt17integral_constantIbLb1EESX_EEDaSS_ST_EUlSS_E0_NS1_11comp_targetILNS1_3genE10ELNS1_11target_archE1200ELNS1_3gpuE4ELNS1_3repE0EEENS1_30default_config_static_selectorELNS0_4arch9wavefront6targetE1EEEvT1_
	.p2align	8
	.type	_ZN7rocprim17ROCPRIM_400000_NS6detail17trampoline_kernelINS0_14default_configENS1_20scan_config_selectorIdEEZZNS1_9scan_implILNS1_25lookback_scan_determinismE0ELb1ELb1ES3_N6thrust23THRUST_200600_302600_NS6detail15normal_iteratorINS9_10device_ptrIdEEEENS9_16discard_iteratorINS9_11use_defaultEEEdNS9_4plusIvEEdEEDaPvRmT3_T4_T5_mT6_P12ihipStream_tbENKUlT_T0_E_clISt17integral_constantIbLb1EESX_EEDaSS_ST_EUlSS_E0_NS1_11comp_targetILNS1_3genE10ELNS1_11target_archE1200ELNS1_3gpuE4ELNS1_3repE0EEENS1_30default_config_static_selectorELNS0_4arch9wavefront6targetE1EEEvT1_,@function
_ZN7rocprim17ROCPRIM_400000_NS6detail17trampoline_kernelINS0_14default_configENS1_20scan_config_selectorIdEEZZNS1_9scan_implILNS1_25lookback_scan_determinismE0ELb1ELb1ES3_N6thrust23THRUST_200600_302600_NS6detail15normal_iteratorINS9_10device_ptrIdEEEENS9_16discard_iteratorINS9_11use_defaultEEEdNS9_4plusIvEEdEEDaPvRmT3_T4_T5_mT6_P12ihipStream_tbENKUlT_T0_E_clISt17integral_constantIbLb1EESX_EEDaSS_ST_EUlSS_E0_NS1_11comp_targetILNS1_3genE10ELNS1_11target_archE1200ELNS1_3gpuE4ELNS1_3repE0EEENS1_30default_config_static_selectorELNS0_4arch9wavefront6targetE1EEEvT1_: ; @_ZN7rocprim17ROCPRIM_400000_NS6detail17trampoline_kernelINS0_14default_configENS1_20scan_config_selectorIdEEZZNS1_9scan_implILNS1_25lookback_scan_determinismE0ELb1ELb1ES3_N6thrust23THRUST_200600_302600_NS6detail15normal_iteratorINS9_10device_ptrIdEEEENS9_16discard_iteratorINS9_11use_defaultEEEdNS9_4plusIvEEdEEDaPvRmT3_T4_T5_mT6_P12ihipStream_tbENKUlT_T0_E_clISt17integral_constantIbLb1EESX_EEDaSS_ST_EUlSS_E0_NS1_11comp_targetILNS1_3genE10ELNS1_11target_archE1200ELNS1_3gpuE4ELNS1_3repE0EEENS1_30default_config_static_selectorELNS0_4arch9wavefront6targetE1EEEvT1_
; %bb.0:
	.section	.rodata,"a",@progbits
	.p2align	6, 0x0
	.amdhsa_kernel _ZN7rocprim17ROCPRIM_400000_NS6detail17trampoline_kernelINS0_14default_configENS1_20scan_config_selectorIdEEZZNS1_9scan_implILNS1_25lookback_scan_determinismE0ELb1ELb1ES3_N6thrust23THRUST_200600_302600_NS6detail15normal_iteratorINS9_10device_ptrIdEEEENS9_16discard_iteratorINS9_11use_defaultEEEdNS9_4plusIvEEdEEDaPvRmT3_T4_T5_mT6_P12ihipStream_tbENKUlT_T0_E_clISt17integral_constantIbLb1EESX_EEDaSS_ST_EUlSS_E0_NS1_11comp_targetILNS1_3genE10ELNS1_11target_archE1200ELNS1_3gpuE4ELNS1_3repE0EEENS1_30default_config_static_selectorELNS0_4arch9wavefront6targetE1EEEvT1_
		.amdhsa_group_segment_fixed_size 0
		.amdhsa_private_segment_fixed_size 0
		.amdhsa_kernarg_size 48
		.amdhsa_user_sgpr_count 6
		.amdhsa_user_sgpr_private_segment_buffer 1
		.amdhsa_user_sgpr_dispatch_ptr 0
		.amdhsa_user_sgpr_queue_ptr 0
		.amdhsa_user_sgpr_kernarg_segment_ptr 1
		.amdhsa_user_sgpr_dispatch_id 0
		.amdhsa_user_sgpr_flat_scratch_init 0
		.amdhsa_user_sgpr_kernarg_preload_length 0
		.amdhsa_user_sgpr_kernarg_preload_offset 0
		.amdhsa_user_sgpr_private_segment_size 0
		.amdhsa_uses_dynamic_stack 0
		.amdhsa_system_sgpr_private_segment_wavefront_offset 0
		.amdhsa_system_sgpr_workgroup_id_x 1
		.amdhsa_system_sgpr_workgroup_id_y 0
		.amdhsa_system_sgpr_workgroup_id_z 0
		.amdhsa_system_sgpr_workgroup_info 0
		.amdhsa_system_vgpr_workitem_id 0
		.amdhsa_next_free_vgpr 1
		.amdhsa_next_free_sgpr 0
		.amdhsa_accum_offset 4
		.amdhsa_reserve_vcc 0
		.amdhsa_reserve_flat_scratch 0
		.amdhsa_float_round_mode_32 0
		.amdhsa_float_round_mode_16_64 0
		.amdhsa_float_denorm_mode_32 3
		.amdhsa_float_denorm_mode_16_64 3
		.amdhsa_dx10_clamp 1
		.amdhsa_ieee_mode 1
		.amdhsa_fp16_overflow 0
		.amdhsa_tg_split 0
		.amdhsa_exception_fp_ieee_invalid_op 0
		.amdhsa_exception_fp_denorm_src 0
		.amdhsa_exception_fp_ieee_div_zero 0
		.amdhsa_exception_fp_ieee_overflow 0
		.amdhsa_exception_fp_ieee_underflow 0
		.amdhsa_exception_fp_ieee_inexact 0
		.amdhsa_exception_int_div_zero 0
	.end_amdhsa_kernel
	.section	.text._ZN7rocprim17ROCPRIM_400000_NS6detail17trampoline_kernelINS0_14default_configENS1_20scan_config_selectorIdEEZZNS1_9scan_implILNS1_25lookback_scan_determinismE0ELb1ELb1ES3_N6thrust23THRUST_200600_302600_NS6detail15normal_iteratorINS9_10device_ptrIdEEEENS9_16discard_iteratorINS9_11use_defaultEEEdNS9_4plusIvEEdEEDaPvRmT3_T4_T5_mT6_P12ihipStream_tbENKUlT_T0_E_clISt17integral_constantIbLb1EESX_EEDaSS_ST_EUlSS_E0_NS1_11comp_targetILNS1_3genE10ELNS1_11target_archE1200ELNS1_3gpuE4ELNS1_3repE0EEENS1_30default_config_static_selectorELNS0_4arch9wavefront6targetE1EEEvT1_,"axG",@progbits,_ZN7rocprim17ROCPRIM_400000_NS6detail17trampoline_kernelINS0_14default_configENS1_20scan_config_selectorIdEEZZNS1_9scan_implILNS1_25lookback_scan_determinismE0ELb1ELb1ES3_N6thrust23THRUST_200600_302600_NS6detail15normal_iteratorINS9_10device_ptrIdEEEENS9_16discard_iteratorINS9_11use_defaultEEEdNS9_4plusIvEEdEEDaPvRmT3_T4_T5_mT6_P12ihipStream_tbENKUlT_T0_E_clISt17integral_constantIbLb1EESX_EEDaSS_ST_EUlSS_E0_NS1_11comp_targetILNS1_3genE10ELNS1_11target_archE1200ELNS1_3gpuE4ELNS1_3repE0EEENS1_30default_config_static_selectorELNS0_4arch9wavefront6targetE1EEEvT1_,comdat
.Lfunc_end4967:
	.size	_ZN7rocprim17ROCPRIM_400000_NS6detail17trampoline_kernelINS0_14default_configENS1_20scan_config_selectorIdEEZZNS1_9scan_implILNS1_25lookback_scan_determinismE0ELb1ELb1ES3_N6thrust23THRUST_200600_302600_NS6detail15normal_iteratorINS9_10device_ptrIdEEEENS9_16discard_iteratorINS9_11use_defaultEEEdNS9_4plusIvEEdEEDaPvRmT3_T4_T5_mT6_P12ihipStream_tbENKUlT_T0_E_clISt17integral_constantIbLb1EESX_EEDaSS_ST_EUlSS_E0_NS1_11comp_targetILNS1_3genE10ELNS1_11target_archE1200ELNS1_3gpuE4ELNS1_3repE0EEENS1_30default_config_static_selectorELNS0_4arch9wavefront6targetE1EEEvT1_, .Lfunc_end4967-_ZN7rocprim17ROCPRIM_400000_NS6detail17trampoline_kernelINS0_14default_configENS1_20scan_config_selectorIdEEZZNS1_9scan_implILNS1_25lookback_scan_determinismE0ELb1ELb1ES3_N6thrust23THRUST_200600_302600_NS6detail15normal_iteratorINS9_10device_ptrIdEEEENS9_16discard_iteratorINS9_11use_defaultEEEdNS9_4plusIvEEdEEDaPvRmT3_T4_T5_mT6_P12ihipStream_tbENKUlT_T0_E_clISt17integral_constantIbLb1EESX_EEDaSS_ST_EUlSS_E0_NS1_11comp_targetILNS1_3genE10ELNS1_11target_archE1200ELNS1_3gpuE4ELNS1_3repE0EEENS1_30default_config_static_selectorELNS0_4arch9wavefront6targetE1EEEvT1_
                                        ; -- End function
	.section	.AMDGPU.csdata,"",@progbits
; Kernel info:
; codeLenInByte = 0
; NumSgprs: 4
; NumVgprs: 0
; NumAgprs: 0
; TotalNumVgprs: 0
; ScratchSize: 0
; MemoryBound: 0
; FloatMode: 240
; IeeeMode: 1
; LDSByteSize: 0 bytes/workgroup (compile time only)
; SGPRBlocks: 0
; VGPRBlocks: 0
; NumSGPRsForWavesPerEU: 4
; NumVGPRsForWavesPerEU: 1
; AccumOffset: 4
; Occupancy: 8
; WaveLimiterHint : 0
; COMPUTE_PGM_RSRC2:SCRATCH_EN: 0
; COMPUTE_PGM_RSRC2:USER_SGPR: 6
; COMPUTE_PGM_RSRC2:TRAP_HANDLER: 0
; COMPUTE_PGM_RSRC2:TGID_X_EN: 1
; COMPUTE_PGM_RSRC2:TGID_Y_EN: 0
; COMPUTE_PGM_RSRC2:TGID_Z_EN: 0
; COMPUTE_PGM_RSRC2:TIDIG_COMP_CNT: 0
; COMPUTE_PGM_RSRC3_GFX90A:ACCUM_OFFSET: 0
; COMPUTE_PGM_RSRC3_GFX90A:TG_SPLIT: 0
	.section	.text._ZN7rocprim17ROCPRIM_400000_NS6detail17trampoline_kernelINS0_14default_configENS1_20scan_config_selectorIdEEZZNS1_9scan_implILNS1_25lookback_scan_determinismE0ELb1ELb1ES3_N6thrust23THRUST_200600_302600_NS6detail15normal_iteratorINS9_10device_ptrIdEEEENS9_16discard_iteratorINS9_11use_defaultEEEdNS9_4plusIvEEdEEDaPvRmT3_T4_T5_mT6_P12ihipStream_tbENKUlT_T0_E_clISt17integral_constantIbLb1EESX_EEDaSS_ST_EUlSS_E0_NS1_11comp_targetILNS1_3genE9ELNS1_11target_archE1100ELNS1_3gpuE3ELNS1_3repE0EEENS1_30default_config_static_selectorELNS0_4arch9wavefront6targetE1EEEvT1_,"axG",@progbits,_ZN7rocprim17ROCPRIM_400000_NS6detail17trampoline_kernelINS0_14default_configENS1_20scan_config_selectorIdEEZZNS1_9scan_implILNS1_25lookback_scan_determinismE0ELb1ELb1ES3_N6thrust23THRUST_200600_302600_NS6detail15normal_iteratorINS9_10device_ptrIdEEEENS9_16discard_iteratorINS9_11use_defaultEEEdNS9_4plusIvEEdEEDaPvRmT3_T4_T5_mT6_P12ihipStream_tbENKUlT_T0_E_clISt17integral_constantIbLb1EESX_EEDaSS_ST_EUlSS_E0_NS1_11comp_targetILNS1_3genE9ELNS1_11target_archE1100ELNS1_3gpuE3ELNS1_3repE0EEENS1_30default_config_static_selectorELNS0_4arch9wavefront6targetE1EEEvT1_,comdat
	.protected	_ZN7rocprim17ROCPRIM_400000_NS6detail17trampoline_kernelINS0_14default_configENS1_20scan_config_selectorIdEEZZNS1_9scan_implILNS1_25lookback_scan_determinismE0ELb1ELb1ES3_N6thrust23THRUST_200600_302600_NS6detail15normal_iteratorINS9_10device_ptrIdEEEENS9_16discard_iteratorINS9_11use_defaultEEEdNS9_4plusIvEEdEEDaPvRmT3_T4_T5_mT6_P12ihipStream_tbENKUlT_T0_E_clISt17integral_constantIbLb1EESX_EEDaSS_ST_EUlSS_E0_NS1_11comp_targetILNS1_3genE9ELNS1_11target_archE1100ELNS1_3gpuE3ELNS1_3repE0EEENS1_30default_config_static_selectorELNS0_4arch9wavefront6targetE1EEEvT1_ ; -- Begin function _ZN7rocprim17ROCPRIM_400000_NS6detail17trampoline_kernelINS0_14default_configENS1_20scan_config_selectorIdEEZZNS1_9scan_implILNS1_25lookback_scan_determinismE0ELb1ELb1ES3_N6thrust23THRUST_200600_302600_NS6detail15normal_iteratorINS9_10device_ptrIdEEEENS9_16discard_iteratorINS9_11use_defaultEEEdNS9_4plusIvEEdEEDaPvRmT3_T4_T5_mT6_P12ihipStream_tbENKUlT_T0_E_clISt17integral_constantIbLb1EESX_EEDaSS_ST_EUlSS_E0_NS1_11comp_targetILNS1_3genE9ELNS1_11target_archE1100ELNS1_3gpuE3ELNS1_3repE0EEENS1_30default_config_static_selectorELNS0_4arch9wavefront6targetE1EEEvT1_
	.globl	_ZN7rocprim17ROCPRIM_400000_NS6detail17trampoline_kernelINS0_14default_configENS1_20scan_config_selectorIdEEZZNS1_9scan_implILNS1_25lookback_scan_determinismE0ELb1ELb1ES3_N6thrust23THRUST_200600_302600_NS6detail15normal_iteratorINS9_10device_ptrIdEEEENS9_16discard_iteratorINS9_11use_defaultEEEdNS9_4plusIvEEdEEDaPvRmT3_T4_T5_mT6_P12ihipStream_tbENKUlT_T0_E_clISt17integral_constantIbLb1EESX_EEDaSS_ST_EUlSS_E0_NS1_11comp_targetILNS1_3genE9ELNS1_11target_archE1100ELNS1_3gpuE3ELNS1_3repE0EEENS1_30default_config_static_selectorELNS0_4arch9wavefront6targetE1EEEvT1_
	.p2align	8
	.type	_ZN7rocprim17ROCPRIM_400000_NS6detail17trampoline_kernelINS0_14default_configENS1_20scan_config_selectorIdEEZZNS1_9scan_implILNS1_25lookback_scan_determinismE0ELb1ELb1ES3_N6thrust23THRUST_200600_302600_NS6detail15normal_iteratorINS9_10device_ptrIdEEEENS9_16discard_iteratorINS9_11use_defaultEEEdNS9_4plusIvEEdEEDaPvRmT3_T4_T5_mT6_P12ihipStream_tbENKUlT_T0_E_clISt17integral_constantIbLb1EESX_EEDaSS_ST_EUlSS_E0_NS1_11comp_targetILNS1_3genE9ELNS1_11target_archE1100ELNS1_3gpuE3ELNS1_3repE0EEENS1_30default_config_static_selectorELNS0_4arch9wavefront6targetE1EEEvT1_,@function
_ZN7rocprim17ROCPRIM_400000_NS6detail17trampoline_kernelINS0_14default_configENS1_20scan_config_selectorIdEEZZNS1_9scan_implILNS1_25lookback_scan_determinismE0ELb1ELb1ES3_N6thrust23THRUST_200600_302600_NS6detail15normal_iteratorINS9_10device_ptrIdEEEENS9_16discard_iteratorINS9_11use_defaultEEEdNS9_4plusIvEEdEEDaPvRmT3_T4_T5_mT6_P12ihipStream_tbENKUlT_T0_E_clISt17integral_constantIbLb1EESX_EEDaSS_ST_EUlSS_E0_NS1_11comp_targetILNS1_3genE9ELNS1_11target_archE1100ELNS1_3gpuE3ELNS1_3repE0EEENS1_30default_config_static_selectorELNS0_4arch9wavefront6targetE1EEEvT1_: ; @_ZN7rocprim17ROCPRIM_400000_NS6detail17trampoline_kernelINS0_14default_configENS1_20scan_config_selectorIdEEZZNS1_9scan_implILNS1_25lookback_scan_determinismE0ELb1ELb1ES3_N6thrust23THRUST_200600_302600_NS6detail15normal_iteratorINS9_10device_ptrIdEEEENS9_16discard_iteratorINS9_11use_defaultEEEdNS9_4plusIvEEdEEDaPvRmT3_T4_T5_mT6_P12ihipStream_tbENKUlT_T0_E_clISt17integral_constantIbLb1EESX_EEDaSS_ST_EUlSS_E0_NS1_11comp_targetILNS1_3genE9ELNS1_11target_archE1100ELNS1_3gpuE3ELNS1_3repE0EEENS1_30default_config_static_selectorELNS0_4arch9wavefront6targetE1EEEvT1_
; %bb.0:
	.section	.rodata,"a",@progbits
	.p2align	6, 0x0
	.amdhsa_kernel _ZN7rocprim17ROCPRIM_400000_NS6detail17trampoline_kernelINS0_14default_configENS1_20scan_config_selectorIdEEZZNS1_9scan_implILNS1_25lookback_scan_determinismE0ELb1ELb1ES3_N6thrust23THRUST_200600_302600_NS6detail15normal_iteratorINS9_10device_ptrIdEEEENS9_16discard_iteratorINS9_11use_defaultEEEdNS9_4plusIvEEdEEDaPvRmT3_T4_T5_mT6_P12ihipStream_tbENKUlT_T0_E_clISt17integral_constantIbLb1EESX_EEDaSS_ST_EUlSS_E0_NS1_11comp_targetILNS1_3genE9ELNS1_11target_archE1100ELNS1_3gpuE3ELNS1_3repE0EEENS1_30default_config_static_selectorELNS0_4arch9wavefront6targetE1EEEvT1_
		.amdhsa_group_segment_fixed_size 0
		.amdhsa_private_segment_fixed_size 0
		.amdhsa_kernarg_size 48
		.amdhsa_user_sgpr_count 6
		.amdhsa_user_sgpr_private_segment_buffer 1
		.amdhsa_user_sgpr_dispatch_ptr 0
		.amdhsa_user_sgpr_queue_ptr 0
		.amdhsa_user_sgpr_kernarg_segment_ptr 1
		.amdhsa_user_sgpr_dispatch_id 0
		.amdhsa_user_sgpr_flat_scratch_init 0
		.amdhsa_user_sgpr_kernarg_preload_length 0
		.amdhsa_user_sgpr_kernarg_preload_offset 0
		.amdhsa_user_sgpr_private_segment_size 0
		.amdhsa_uses_dynamic_stack 0
		.amdhsa_system_sgpr_private_segment_wavefront_offset 0
		.amdhsa_system_sgpr_workgroup_id_x 1
		.amdhsa_system_sgpr_workgroup_id_y 0
		.amdhsa_system_sgpr_workgroup_id_z 0
		.amdhsa_system_sgpr_workgroup_info 0
		.amdhsa_system_vgpr_workitem_id 0
		.amdhsa_next_free_vgpr 1
		.amdhsa_next_free_sgpr 0
		.amdhsa_accum_offset 4
		.amdhsa_reserve_vcc 0
		.amdhsa_reserve_flat_scratch 0
		.amdhsa_float_round_mode_32 0
		.amdhsa_float_round_mode_16_64 0
		.amdhsa_float_denorm_mode_32 3
		.amdhsa_float_denorm_mode_16_64 3
		.amdhsa_dx10_clamp 1
		.amdhsa_ieee_mode 1
		.amdhsa_fp16_overflow 0
		.amdhsa_tg_split 0
		.amdhsa_exception_fp_ieee_invalid_op 0
		.amdhsa_exception_fp_denorm_src 0
		.amdhsa_exception_fp_ieee_div_zero 0
		.amdhsa_exception_fp_ieee_overflow 0
		.amdhsa_exception_fp_ieee_underflow 0
		.amdhsa_exception_fp_ieee_inexact 0
		.amdhsa_exception_int_div_zero 0
	.end_amdhsa_kernel
	.section	.text._ZN7rocprim17ROCPRIM_400000_NS6detail17trampoline_kernelINS0_14default_configENS1_20scan_config_selectorIdEEZZNS1_9scan_implILNS1_25lookback_scan_determinismE0ELb1ELb1ES3_N6thrust23THRUST_200600_302600_NS6detail15normal_iteratorINS9_10device_ptrIdEEEENS9_16discard_iteratorINS9_11use_defaultEEEdNS9_4plusIvEEdEEDaPvRmT3_T4_T5_mT6_P12ihipStream_tbENKUlT_T0_E_clISt17integral_constantIbLb1EESX_EEDaSS_ST_EUlSS_E0_NS1_11comp_targetILNS1_3genE9ELNS1_11target_archE1100ELNS1_3gpuE3ELNS1_3repE0EEENS1_30default_config_static_selectorELNS0_4arch9wavefront6targetE1EEEvT1_,"axG",@progbits,_ZN7rocprim17ROCPRIM_400000_NS6detail17trampoline_kernelINS0_14default_configENS1_20scan_config_selectorIdEEZZNS1_9scan_implILNS1_25lookback_scan_determinismE0ELb1ELb1ES3_N6thrust23THRUST_200600_302600_NS6detail15normal_iteratorINS9_10device_ptrIdEEEENS9_16discard_iteratorINS9_11use_defaultEEEdNS9_4plusIvEEdEEDaPvRmT3_T4_T5_mT6_P12ihipStream_tbENKUlT_T0_E_clISt17integral_constantIbLb1EESX_EEDaSS_ST_EUlSS_E0_NS1_11comp_targetILNS1_3genE9ELNS1_11target_archE1100ELNS1_3gpuE3ELNS1_3repE0EEENS1_30default_config_static_selectorELNS0_4arch9wavefront6targetE1EEEvT1_,comdat
.Lfunc_end4968:
	.size	_ZN7rocprim17ROCPRIM_400000_NS6detail17trampoline_kernelINS0_14default_configENS1_20scan_config_selectorIdEEZZNS1_9scan_implILNS1_25lookback_scan_determinismE0ELb1ELb1ES3_N6thrust23THRUST_200600_302600_NS6detail15normal_iteratorINS9_10device_ptrIdEEEENS9_16discard_iteratorINS9_11use_defaultEEEdNS9_4plusIvEEdEEDaPvRmT3_T4_T5_mT6_P12ihipStream_tbENKUlT_T0_E_clISt17integral_constantIbLb1EESX_EEDaSS_ST_EUlSS_E0_NS1_11comp_targetILNS1_3genE9ELNS1_11target_archE1100ELNS1_3gpuE3ELNS1_3repE0EEENS1_30default_config_static_selectorELNS0_4arch9wavefront6targetE1EEEvT1_, .Lfunc_end4968-_ZN7rocprim17ROCPRIM_400000_NS6detail17trampoline_kernelINS0_14default_configENS1_20scan_config_selectorIdEEZZNS1_9scan_implILNS1_25lookback_scan_determinismE0ELb1ELb1ES3_N6thrust23THRUST_200600_302600_NS6detail15normal_iteratorINS9_10device_ptrIdEEEENS9_16discard_iteratorINS9_11use_defaultEEEdNS9_4plusIvEEdEEDaPvRmT3_T4_T5_mT6_P12ihipStream_tbENKUlT_T0_E_clISt17integral_constantIbLb1EESX_EEDaSS_ST_EUlSS_E0_NS1_11comp_targetILNS1_3genE9ELNS1_11target_archE1100ELNS1_3gpuE3ELNS1_3repE0EEENS1_30default_config_static_selectorELNS0_4arch9wavefront6targetE1EEEvT1_
                                        ; -- End function
	.section	.AMDGPU.csdata,"",@progbits
; Kernel info:
; codeLenInByte = 0
; NumSgprs: 4
; NumVgprs: 0
; NumAgprs: 0
; TotalNumVgprs: 0
; ScratchSize: 0
; MemoryBound: 0
; FloatMode: 240
; IeeeMode: 1
; LDSByteSize: 0 bytes/workgroup (compile time only)
; SGPRBlocks: 0
; VGPRBlocks: 0
; NumSGPRsForWavesPerEU: 4
; NumVGPRsForWavesPerEU: 1
; AccumOffset: 4
; Occupancy: 8
; WaveLimiterHint : 0
; COMPUTE_PGM_RSRC2:SCRATCH_EN: 0
; COMPUTE_PGM_RSRC2:USER_SGPR: 6
; COMPUTE_PGM_RSRC2:TRAP_HANDLER: 0
; COMPUTE_PGM_RSRC2:TGID_X_EN: 1
; COMPUTE_PGM_RSRC2:TGID_Y_EN: 0
; COMPUTE_PGM_RSRC2:TGID_Z_EN: 0
; COMPUTE_PGM_RSRC2:TIDIG_COMP_CNT: 0
; COMPUTE_PGM_RSRC3_GFX90A:ACCUM_OFFSET: 0
; COMPUTE_PGM_RSRC3_GFX90A:TG_SPLIT: 0
	.section	.text._ZN7rocprim17ROCPRIM_400000_NS6detail17trampoline_kernelINS0_14default_configENS1_20scan_config_selectorIdEEZZNS1_9scan_implILNS1_25lookback_scan_determinismE0ELb1ELb1ES3_N6thrust23THRUST_200600_302600_NS6detail15normal_iteratorINS9_10device_ptrIdEEEENS9_16discard_iteratorINS9_11use_defaultEEEdNS9_4plusIvEEdEEDaPvRmT3_T4_T5_mT6_P12ihipStream_tbENKUlT_T0_E_clISt17integral_constantIbLb1EESX_EEDaSS_ST_EUlSS_E0_NS1_11comp_targetILNS1_3genE8ELNS1_11target_archE1030ELNS1_3gpuE2ELNS1_3repE0EEENS1_30default_config_static_selectorELNS0_4arch9wavefront6targetE1EEEvT1_,"axG",@progbits,_ZN7rocprim17ROCPRIM_400000_NS6detail17trampoline_kernelINS0_14default_configENS1_20scan_config_selectorIdEEZZNS1_9scan_implILNS1_25lookback_scan_determinismE0ELb1ELb1ES3_N6thrust23THRUST_200600_302600_NS6detail15normal_iteratorINS9_10device_ptrIdEEEENS9_16discard_iteratorINS9_11use_defaultEEEdNS9_4plusIvEEdEEDaPvRmT3_T4_T5_mT6_P12ihipStream_tbENKUlT_T0_E_clISt17integral_constantIbLb1EESX_EEDaSS_ST_EUlSS_E0_NS1_11comp_targetILNS1_3genE8ELNS1_11target_archE1030ELNS1_3gpuE2ELNS1_3repE0EEENS1_30default_config_static_selectorELNS0_4arch9wavefront6targetE1EEEvT1_,comdat
	.protected	_ZN7rocprim17ROCPRIM_400000_NS6detail17trampoline_kernelINS0_14default_configENS1_20scan_config_selectorIdEEZZNS1_9scan_implILNS1_25lookback_scan_determinismE0ELb1ELb1ES3_N6thrust23THRUST_200600_302600_NS6detail15normal_iteratorINS9_10device_ptrIdEEEENS9_16discard_iteratorINS9_11use_defaultEEEdNS9_4plusIvEEdEEDaPvRmT3_T4_T5_mT6_P12ihipStream_tbENKUlT_T0_E_clISt17integral_constantIbLb1EESX_EEDaSS_ST_EUlSS_E0_NS1_11comp_targetILNS1_3genE8ELNS1_11target_archE1030ELNS1_3gpuE2ELNS1_3repE0EEENS1_30default_config_static_selectorELNS0_4arch9wavefront6targetE1EEEvT1_ ; -- Begin function _ZN7rocprim17ROCPRIM_400000_NS6detail17trampoline_kernelINS0_14default_configENS1_20scan_config_selectorIdEEZZNS1_9scan_implILNS1_25lookback_scan_determinismE0ELb1ELb1ES3_N6thrust23THRUST_200600_302600_NS6detail15normal_iteratorINS9_10device_ptrIdEEEENS9_16discard_iteratorINS9_11use_defaultEEEdNS9_4plusIvEEdEEDaPvRmT3_T4_T5_mT6_P12ihipStream_tbENKUlT_T0_E_clISt17integral_constantIbLb1EESX_EEDaSS_ST_EUlSS_E0_NS1_11comp_targetILNS1_3genE8ELNS1_11target_archE1030ELNS1_3gpuE2ELNS1_3repE0EEENS1_30default_config_static_selectorELNS0_4arch9wavefront6targetE1EEEvT1_
	.globl	_ZN7rocprim17ROCPRIM_400000_NS6detail17trampoline_kernelINS0_14default_configENS1_20scan_config_selectorIdEEZZNS1_9scan_implILNS1_25lookback_scan_determinismE0ELb1ELb1ES3_N6thrust23THRUST_200600_302600_NS6detail15normal_iteratorINS9_10device_ptrIdEEEENS9_16discard_iteratorINS9_11use_defaultEEEdNS9_4plusIvEEdEEDaPvRmT3_T4_T5_mT6_P12ihipStream_tbENKUlT_T0_E_clISt17integral_constantIbLb1EESX_EEDaSS_ST_EUlSS_E0_NS1_11comp_targetILNS1_3genE8ELNS1_11target_archE1030ELNS1_3gpuE2ELNS1_3repE0EEENS1_30default_config_static_selectorELNS0_4arch9wavefront6targetE1EEEvT1_
	.p2align	8
	.type	_ZN7rocprim17ROCPRIM_400000_NS6detail17trampoline_kernelINS0_14default_configENS1_20scan_config_selectorIdEEZZNS1_9scan_implILNS1_25lookback_scan_determinismE0ELb1ELb1ES3_N6thrust23THRUST_200600_302600_NS6detail15normal_iteratorINS9_10device_ptrIdEEEENS9_16discard_iteratorINS9_11use_defaultEEEdNS9_4plusIvEEdEEDaPvRmT3_T4_T5_mT6_P12ihipStream_tbENKUlT_T0_E_clISt17integral_constantIbLb1EESX_EEDaSS_ST_EUlSS_E0_NS1_11comp_targetILNS1_3genE8ELNS1_11target_archE1030ELNS1_3gpuE2ELNS1_3repE0EEENS1_30default_config_static_selectorELNS0_4arch9wavefront6targetE1EEEvT1_,@function
_ZN7rocprim17ROCPRIM_400000_NS6detail17trampoline_kernelINS0_14default_configENS1_20scan_config_selectorIdEEZZNS1_9scan_implILNS1_25lookback_scan_determinismE0ELb1ELb1ES3_N6thrust23THRUST_200600_302600_NS6detail15normal_iteratorINS9_10device_ptrIdEEEENS9_16discard_iteratorINS9_11use_defaultEEEdNS9_4plusIvEEdEEDaPvRmT3_T4_T5_mT6_P12ihipStream_tbENKUlT_T0_E_clISt17integral_constantIbLb1EESX_EEDaSS_ST_EUlSS_E0_NS1_11comp_targetILNS1_3genE8ELNS1_11target_archE1030ELNS1_3gpuE2ELNS1_3repE0EEENS1_30default_config_static_selectorELNS0_4arch9wavefront6targetE1EEEvT1_: ; @_ZN7rocprim17ROCPRIM_400000_NS6detail17trampoline_kernelINS0_14default_configENS1_20scan_config_selectorIdEEZZNS1_9scan_implILNS1_25lookback_scan_determinismE0ELb1ELb1ES3_N6thrust23THRUST_200600_302600_NS6detail15normal_iteratorINS9_10device_ptrIdEEEENS9_16discard_iteratorINS9_11use_defaultEEEdNS9_4plusIvEEdEEDaPvRmT3_T4_T5_mT6_P12ihipStream_tbENKUlT_T0_E_clISt17integral_constantIbLb1EESX_EEDaSS_ST_EUlSS_E0_NS1_11comp_targetILNS1_3genE8ELNS1_11target_archE1030ELNS1_3gpuE2ELNS1_3repE0EEENS1_30default_config_static_selectorELNS0_4arch9wavefront6targetE1EEEvT1_
; %bb.0:
	.section	.rodata,"a",@progbits
	.p2align	6, 0x0
	.amdhsa_kernel _ZN7rocprim17ROCPRIM_400000_NS6detail17trampoline_kernelINS0_14default_configENS1_20scan_config_selectorIdEEZZNS1_9scan_implILNS1_25lookback_scan_determinismE0ELb1ELb1ES3_N6thrust23THRUST_200600_302600_NS6detail15normal_iteratorINS9_10device_ptrIdEEEENS9_16discard_iteratorINS9_11use_defaultEEEdNS9_4plusIvEEdEEDaPvRmT3_T4_T5_mT6_P12ihipStream_tbENKUlT_T0_E_clISt17integral_constantIbLb1EESX_EEDaSS_ST_EUlSS_E0_NS1_11comp_targetILNS1_3genE8ELNS1_11target_archE1030ELNS1_3gpuE2ELNS1_3repE0EEENS1_30default_config_static_selectorELNS0_4arch9wavefront6targetE1EEEvT1_
		.amdhsa_group_segment_fixed_size 0
		.amdhsa_private_segment_fixed_size 0
		.amdhsa_kernarg_size 48
		.amdhsa_user_sgpr_count 6
		.amdhsa_user_sgpr_private_segment_buffer 1
		.amdhsa_user_sgpr_dispatch_ptr 0
		.amdhsa_user_sgpr_queue_ptr 0
		.amdhsa_user_sgpr_kernarg_segment_ptr 1
		.amdhsa_user_sgpr_dispatch_id 0
		.amdhsa_user_sgpr_flat_scratch_init 0
		.amdhsa_user_sgpr_kernarg_preload_length 0
		.amdhsa_user_sgpr_kernarg_preload_offset 0
		.amdhsa_user_sgpr_private_segment_size 0
		.amdhsa_uses_dynamic_stack 0
		.amdhsa_system_sgpr_private_segment_wavefront_offset 0
		.amdhsa_system_sgpr_workgroup_id_x 1
		.amdhsa_system_sgpr_workgroup_id_y 0
		.amdhsa_system_sgpr_workgroup_id_z 0
		.amdhsa_system_sgpr_workgroup_info 0
		.amdhsa_system_vgpr_workitem_id 0
		.amdhsa_next_free_vgpr 1
		.amdhsa_next_free_sgpr 0
		.amdhsa_accum_offset 4
		.amdhsa_reserve_vcc 0
		.amdhsa_reserve_flat_scratch 0
		.amdhsa_float_round_mode_32 0
		.amdhsa_float_round_mode_16_64 0
		.amdhsa_float_denorm_mode_32 3
		.amdhsa_float_denorm_mode_16_64 3
		.amdhsa_dx10_clamp 1
		.amdhsa_ieee_mode 1
		.amdhsa_fp16_overflow 0
		.amdhsa_tg_split 0
		.amdhsa_exception_fp_ieee_invalid_op 0
		.amdhsa_exception_fp_denorm_src 0
		.amdhsa_exception_fp_ieee_div_zero 0
		.amdhsa_exception_fp_ieee_overflow 0
		.amdhsa_exception_fp_ieee_underflow 0
		.amdhsa_exception_fp_ieee_inexact 0
		.amdhsa_exception_int_div_zero 0
	.end_amdhsa_kernel
	.section	.text._ZN7rocprim17ROCPRIM_400000_NS6detail17trampoline_kernelINS0_14default_configENS1_20scan_config_selectorIdEEZZNS1_9scan_implILNS1_25lookback_scan_determinismE0ELb1ELb1ES3_N6thrust23THRUST_200600_302600_NS6detail15normal_iteratorINS9_10device_ptrIdEEEENS9_16discard_iteratorINS9_11use_defaultEEEdNS9_4plusIvEEdEEDaPvRmT3_T4_T5_mT6_P12ihipStream_tbENKUlT_T0_E_clISt17integral_constantIbLb1EESX_EEDaSS_ST_EUlSS_E0_NS1_11comp_targetILNS1_3genE8ELNS1_11target_archE1030ELNS1_3gpuE2ELNS1_3repE0EEENS1_30default_config_static_selectorELNS0_4arch9wavefront6targetE1EEEvT1_,"axG",@progbits,_ZN7rocprim17ROCPRIM_400000_NS6detail17trampoline_kernelINS0_14default_configENS1_20scan_config_selectorIdEEZZNS1_9scan_implILNS1_25lookback_scan_determinismE0ELb1ELb1ES3_N6thrust23THRUST_200600_302600_NS6detail15normal_iteratorINS9_10device_ptrIdEEEENS9_16discard_iteratorINS9_11use_defaultEEEdNS9_4plusIvEEdEEDaPvRmT3_T4_T5_mT6_P12ihipStream_tbENKUlT_T0_E_clISt17integral_constantIbLb1EESX_EEDaSS_ST_EUlSS_E0_NS1_11comp_targetILNS1_3genE8ELNS1_11target_archE1030ELNS1_3gpuE2ELNS1_3repE0EEENS1_30default_config_static_selectorELNS0_4arch9wavefront6targetE1EEEvT1_,comdat
.Lfunc_end4969:
	.size	_ZN7rocprim17ROCPRIM_400000_NS6detail17trampoline_kernelINS0_14default_configENS1_20scan_config_selectorIdEEZZNS1_9scan_implILNS1_25lookback_scan_determinismE0ELb1ELb1ES3_N6thrust23THRUST_200600_302600_NS6detail15normal_iteratorINS9_10device_ptrIdEEEENS9_16discard_iteratorINS9_11use_defaultEEEdNS9_4plusIvEEdEEDaPvRmT3_T4_T5_mT6_P12ihipStream_tbENKUlT_T0_E_clISt17integral_constantIbLb1EESX_EEDaSS_ST_EUlSS_E0_NS1_11comp_targetILNS1_3genE8ELNS1_11target_archE1030ELNS1_3gpuE2ELNS1_3repE0EEENS1_30default_config_static_selectorELNS0_4arch9wavefront6targetE1EEEvT1_, .Lfunc_end4969-_ZN7rocprim17ROCPRIM_400000_NS6detail17trampoline_kernelINS0_14default_configENS1_20scan_config_selectorIdEEZZNS1_9scan_implILNS1_25lookback_scan_determinismE0ELb1ELb1ES3_N6thrust23THRUST_200600_302600_NS6detail15normal_iteratorINS9_10device_ptrIdEEEENS9_16discard_iteratorINS9_11use_defaultEEEdNS9_4plusIvEEdEEDaPvRmT3_T4_T5_mT6_P12ihipStream_tbENKUlT_T0_E_clISt17integral_constantIbLb1EESX_EEDaSS_ST_EUlSS_E0_NS1_11comp_targetILNS1_3genE8ELNS1_11target_archE1030ELNS1_3gpuE2ELNS1_3repE0EEENS1_30default_config_static_selectorELNS0_4arch9wavefront6targetE1EEEvT1_
                                        ; -- End function
	.section	.AMDGPU.csdata,"",@progbits
; Kernel info:
; codeLenInByte = 0
; NumSgprs: 4
; NumVgprs: 0
; NumAgprs: 0
; TotalNumVgprs: 0
; ScratchSize: 0
; MemoryBound: 0
; FloatMode: 240
; IeeeMode: 1
; LDSByteSize: 0 bytes/workgroup (compile time only)
; SGPRBlocks: 0
; VGPRBlocks: 0
; NumSGPRsForWavesPerEU: 4
; NumVGPRsForWavesPerEU: 1
; AccumOffset: 4
; Occupancy: 8
; WaveLimiterHint : 0
; COMPUTE_PGM_RSRC2:SCRATCH_EN: 0
; COMPUTE_PGM_RSRC2:USER_SGPR: 6
; COMPUTE_PGM_RSRC2:TRAP_HANDLER: 0
; COMPUTE_PGM_RSRC2:TGID_X_EN: 1
; COMPUTE_PGM_RSRC2:TGID_Y_EN: 0
; COMPUTE_PGM_RSRC2:TGID_Z_EN: 0
; COMPUTE_PGM_RSRC2:TIDIG_COMP_CNT: 0
; COMPUTE_PGM_RSRC3_GFX90A:ACCUM_OFFSET: 0
; COMPUTE_PGM_RSRC3_GFX90A:TG_SPLIT: 0
	.section	.text._ZN7rocprim17ROCPRIM_400000_NS6detail17trampoline_kernelINS0_14default_configENS1_20scan_config_selectorIdEEZZNS1_9scan_implILNS1_25lookback_scan_determinismE0ELb1ELb1ES3_N6thrust23THRUST_200600_302600_NS6detail15normal_iteratorINS9_10device_ptrIdEEEENS9_16discard_iteratorINS9_11use_defaultEEEdNS9_4plusIvEEdEEDaPvRmT3_T4_T5_mT6_P12ihipStream_tbENKUlT_T0_E_clISt17integral_constantIbLb1EESW_IbLb0EEEEDaSS_ST_EUlSS_E_NS1_11comp_targetILNS1_3genE0ELNS1_11target_archE4294967295ELNS1_3gpuE0ELNS1_3repE0EEENS1_30default_config_static_selectorELNS0_4arch9wavefront6targetE1EEEvT1_,"axG",@progbits,_ZN7rocprim17ROCPRIM_400000_NS6detail17trampoline_kernelINS0_14default_configENS1_20scan_config_selectorIdEEZZNS1_9scan_implILNS1_25lookback_scan_determinismE0ELb1ELb1ES3_N6thrust23THRUST_200600_302600_NS6detail15normal_iteratorINS9_10device_ptrIdEEEENS9_16discard_iteratorINS9_11use_defaultEEEdNS9_4plusIvEEdEEDaPvRmT3_T4_T5_mT6_P12ihipStream_tbENKUlT_T0_E_clISt17integral_constantIbLb1EESW_IbLb0EEEEDaSS_ST_EUlSS_E_NS1_11comp_targetILNS1_3genE0ELNS1_11target_archE4294967295ELNS1_3gpuE0ELNS1_3repE0EEENS1_30default_config_static_selectorELNS0_4arch9wavefront6targetE1EEEvT1_,comdat
	.protected	_ZN7rocprim17ROCPRIM_400000_NS6detail17trampoline_kernelINS0_14default_configENS1_20scan_config_selectorIdEEZZNS1_9scan_implILNS1_25lookback_scan_determinismE0ELb1ELb1ES3_N6thrust23THRUST_200600_302600_NS6detail15normal_iteratorINS9_10device_ptrIdEEEENS9_16discard_iteratorINS9_11use_defaultEEEdNS9_4plusIvEEdEEDaPvRmT3_T4_T5_mT6_P12ihipStream_tbENKUlT_T0_E_clISt17integral_constantIbLb1EESW_IbLb0EEEEDaSS_ST_EUlSS_E_NS1_11comp_targetILNS1_3genE0ELNS1_11target_archE4294967295ELNS1_3gpuE0ELNS1_3repE0EEENS1_30default_config_static_selectorELNS0_4arch9wavefront6targetE1EEEvT1_ ; -- Begin function _ZN7rocprim17ROCPRIM_400000_NS6detail17trampoline_kernelINS0_14default_configENS1_20scan_config_selectorIdEEZZNS1_9scan_implILNS1_25lookback_scan_determinismE0ELb1ELb1ES3_N6thrust23THRUST_200600_302600_NS6detail15normal_iteratorINS9_10device_ptrIdEEEENS9_16discard_iteratorINS9_11use_defaultEEEdNS9_4plusIvEEdEEDaPvRmT3_T4_T5_mT6_P12ihipStream_tbENKUlT_T0_E_clISt17integral_constantIbLb1EESW_IbLb0EEEEDaSS_ST_EUlSS_E_NS1_11comp_targetILNS1_3genE0ELNS1_11target_archE4294967295ELNS1_3gpuE0ELNS1_3repE0EEENS1_30default_config_static_selectorELNS0_4arch9wavefront6targetE1EEEvT1_
	.globl	_ZN7rocprim17ROCPRIM_400000_NS6detail17trampoline_kernelINS0_14default_configENS1_20scan_config_selectorIdEEZZNS1_9scan_implILNS1_25lookback_scan_determinismE0ELb1ELb1ES3_N6thrust23THRUST_200600_302600_NS6detail15normal_iteratorINS9_10device_ptrIdEEEENS9_16discard_iteratorINS9_11use_defaultEEEdNS9_4plusIvEEdEEDaPvRmT3_T4_T5_mT6_P12ihipStream_tbENKUlT_T0_E_clISt17integral_constantIbLb1EESW_IbLb0EEEEDaSS_ST_EUlSS_E_NS1_11comp_targetILNS1_3genE0ELNS1_11target_archE4294967295ELNS1_3gpuE0ELNS1_3repE0EEENS1_30default_config_static_selectorELNS0_4arch9wavefront6targetE1EEEvT1_
	.p2align	8
	.type	_ZN7rocprim17ROCPRIM_400000_NS6detail17trampoline_kernelINS0_14default_configENS1_20scan_config_selectorIdEEZZNS1_9scan_implILNS1_25lookback_scan_determinismE0ELb1ELb1ES3_N6thrust23THRUST_200600_302600_NS6detail15normal_iteratorINS9_10device_ptrIdEEEENS9_16discard_iteratorINS9_11use_defaultEEEdNS9_4plusIvEEdEEDaPvRmT3_T4_T5_mT6_P12ihipStream_tbENKUlT_T0_E_clISt17integral_constantIbLb1EESW_IbLb0EEEEDaSS_ST_EUlSS_E_NS1_11comp_targetILNS1_3genE0ELNS1_11target_archE4294967295ELNS1_3gpuE0ELNS1_3repE0EEENS1_30default_config_static_selectorELNS0_4arch9wavefront6targetE1EEEvT1_,@function
_ZN7rocprim17ROCPRIM_400000_NS6detail17trampoline_kernelINS0_14default_configENS1_20scan_config_selectorIdEEZZNS1_9scan_implILNS1_25lookback_scan_determinismE0ELb1ELb1ES3_N6thrust23THRUST_200600_302600_NS6detail15normal_iteratorINS9_10device_ptrIdEEEENS9_16discard_iteratorINS9_11use_defaultEEEdNS9_4plusIvEEdEEDaPvRmT3_T4_T5_mT6_P12ihipStream_tbENKUlT_T0_E_clISt17integral_constantIbLb1EESW_IbLb0EEEEDaSS_ST_EUlSS_E_NS1_11comp_targetILNS1_3genE0ELNS1_11target_archE4294967295ELNS1_3gpuE0ELNS1_3repE0EEENS1_30default_config_static_selectorELNS0_4arch9wavefront6targetE1EEEvT1_: ; @_ZN7rocprim17ROCPRIM_400000_NS6detail17trampoline_kernelINS0_14default_configENS1_20scan_config_selectorIdEEZZNS1_9scan_implILNS1_25lookback_scan_determinismE0ELb1ELb1ES3_N6thrust23THRUST_200600_302600_NS6detail15normal_iteratorINS9_10device_ptrIdEEEENS9_16discard_iteratorINS9_11use_defaultEEEdNS9_4plusIvEEdEEDaPvRmT3_T4_T5_mT6_P12ihipStream_tbENKUlT_T0_E_clISt17integral_constantIbLb1EESW_IbLb0EEEEDaSS_ST_EUlSS_E_NS1_11comp_targetILNS1_3genE0ELNS1_11target_archE4294967295ELNS1_3gpuE0ELNS1_3repE0EEENS1_30default_config_static_selectorELNS0_4arch9wavefront6targetE1EEEvT1_
; %bb.0:
	.section	.rodata,"a",@progbits
	.p2align	6, 0x0
	.amdhsa_kernel _ZN7rocprim17ROCPRIM_400000_NS6detail17trampoline_kernelINS0_14default_configENS1_20scan_config_selectorIdEEZZNS1_9scan_implILNS1_25lookback_scan_determinismE0ELb1ELb1ES3_N6thrust23THRUST_200600_302600_NS6detail15normal_iteratorINS9_10device_ptrIdEEEENS9_16discard_iteratorINS9_11use_defaultEEEdNS9_4plusIvEEdEEDaPvRmT3_T4_T5_mT6_P12ihipStream_tbENKUlT_T0_E_clISt17integral_constantIbLb1EESW_IbLb0EEEEDaSS_ST_EUlSS_E_NS1_11comp_targetILNS1_3genE0ELNS1_11target_archE4294967295ELNS1_3gpuE0ELNS1_3repE0EEENS1_30default_config_static_selectorELNS0_4arch9wavefront6targetE1EEEvT1_
		.amdhsa_group_segment_fixed_size 0
		.amdhsa_private_segment_fixed_size 0
		.amdhsa_kernarg_size 112
		.amdhsa_user_sgpr_count 6
		.amdhsa_user_sgpr_private_segment_buffer 1
		.amdhsa_user_sgpr_dispatch_ptr 0
		.amdhsa_user_sgpr_queue_ptr 0
		.amdhsa_user_sgpr_kernarg_segment_ptr 1
		.amdhsa_user_sgpr_dispatch_id 0
		.amdhsa_user_sgpr_flat_scratch_init 0
		.amdhsa_user_sgpr_kernarg_preload_length 0
		.amdhsa_user_sgpr_kernarg_preload_offset 0
		.amdhsa_user_sgpr_private_segment_size 0
		.amdhsa_uses_dynamic_stack 0
		.amdhsa_system_sgpr_private_segment_wavefront_offset 0
		.amdhsa_system_sgpr_workgroup_id_x 1
		.amdhsa_system_sgpr_workgroup_id_y 0
		.amdhsa_system_sgpr_workgroup_id_z 0
		.amdhsa_system_sgpr_workgroup_info 0
		.amdhsa_system_vgpr_workitem_id 0
		.amdhsa_next_free_vgpr 1
		.amdhsa_next_free_sgpr 0
		.amdhsa_accum_offset 4
		.amdhsa_reserve_vcc 0
		.amdhsa_reserve_flat_scratch 0
		.amdhsa_float_round_mode_32 0
		.amdhsa_float_round_mode_16_64 0
		.amdhsa_float_denorm_mode_32 3
		.amdhsa_float_denorm_mode_16_64 3
		.amdhsa_dx10_clamp 1
		.amdhsa_ieee_mode 1
		.amdhsa_fp16_overflow 0
		.amdhsa_tg_split 0
		.amdhsa_exception_fp_ieee_invalid_op 0
		.amdhsa_exception_fp_denorm_src 0
		.amdhsa_exception_fp_ieee_div_zero 0
		.amdhsa_exception_fp_ieee_overflow 0
		.amdhsa_exception_fp_ieee_underflow 0
		.amdhsa_exception_fp_ieee_inexact 0
		.amdhsa_exception_int_div_zero 0
	.end_amdhsa_kernel
	.section	.text._ZN7rocprim17ROCPRIM_400000_NS6detail17trampoline_kernelINS0_14default_configENS1_20scan_config_selectorIdEEZZNS1_9scan_implILNS1_25lookback_scan_determinismE0ELb1ELb1ES3_N6thrust23THRUST_200600_302600_NS6detail15normal_iteratorINS9_10device_ptrIdEEEENS9_16discard_iteratorINS9_11use_defaultEEEdNS9_4plusIvEEdEEDaPvRmT3_T4_T5_mT6_P12ihipStream_tbENKUlT_T0_E_clISt17integral_constantIbLb1EESW_IbLb0EEEEDaSS_ST_EUlSS_E_NS1_11comp_targetILNS1_3genE0ELNS1_11target_archE4294967295ELNS1_3gpuE0ELNS1_3repE0EEENS1_30default_config_static_selectorELNS0_4arch9wavefront6targetE1EEEvT1_,"axG",@progbits,_ZN7rocprim17ROCPRIM_400000_NS6detail17trampoline_kernelINS0_14default_configENS1_20scan_config_selectorIdEEZZNS1_9scan_implILNS1_25lookback_scan_determinismE0ELb1ELb1ES3_N6thrust23THRUST_200600_302600_NS6detail15normal_iteratorINS9_10device_ptrIdEEEENS9_16discard_iteratorINS9_11use_defaultEEEdNS9_4plusIvEEdEEDaPvRmT3_T4_T5_mT6_P12ihipStream_tbENKUlT_T0_E_clISt17integral_constantIbLb1EESW_IbLb0EEEEDaSS_ST_EUlSS_E_NS1_11comp_targetILNS1_3genE0ELNS1_11target_archE4294967295ELNS1_3gpuE0ELNS1_3repE0EEENS1_30default_config_static_selectorELNS0_4arch9wavefront6targetE1EEEvT1_,comdat
.Lfunc_end4970:
	.size	_ZN7rocprim17ROCPRIM_400000_NS6detail17trampoline_kernelINS0_14default_configENS1_20scan_config_selectorIdEEZZNS1_9scan_implILNS1_25lookback_scan_determinismE0ELb1ELb1ES3_N6thrust23THRUST_200600_302600_NS6detail15normal_iteratorINS9_10device_ptrIdEEEENS9_16discard_iteratorINS9_11use_defaultEEEdNS9_4plusIvEEdEEDaPvRmT3_T4_T5_mT6_P12ihipStream_tbENKUlT_T0_E_clISt17integral_constantIbLb1EESW_IbLb0EEEEDaSS_ST_EUlSS_E_NS1_11comp_targetILNS1_3genE0ELNS1_11target_archE4294967295ELNS1_3gpuE0ELNS1_3repE0EEENS1_30default_config_static_selectorELNS0_4arch9wavefront6targetE1EEEvT1_, .Lfunc_end4970-_ZN7rocprim17ROCPRIM_400000_NS6detail17trampoline_kernelINS0_14default_configENS1_20scan_config_selectorIdEEZZNS1_9scan_implILNS1_25lookback_scan_determinismE0ELb1ELb1ES3_N6thrust23THRUST_200600_302600_NS6detail15normal_iteratorINS9_10device_ptrIdEEEENS9_16discard_iteratorINS9_11use_defaultEEEdNS9_4plusIvEEdEEDaPvRmT3_T4_T5_mT6_P12ihipStream_tbENKUlT_T0_E_clISt17integral_constantIbLb1EESW_IbLb0EEEEDaSS_ST_EUlSS_E_NS1_11comp_targetILNS1_3genE0ELNS1_11target_archE4294967295ELNS1_3gpuE0ELNS1_3repE0EEENS1_30default_config_static_selectorELNS0_4arch9wavefront6targetE1EEEvT1_
                                        ; -- End function
	.section	.AMDGPU.csdata,"",@progbits
; Kernel info:
; codeLenInByte = 0
; NumSgprs: 4
; NumVgprs: 0
; NumAgprs: 0
; TotalNumVgprs: 0
; ScratchSize: 0
; MemoryBound: 0
; FloatMode: 240
; IeeeMode: 1
; LDSByteSize: 0 bytes/workgroup (compile time only)
; SGPRBlocks: 0
; VGPRBlocks: 0
; NumSGPRsForWavesPerEU: 4
; NumVGPRsForWavesPerEU: 1
; AccumOffset: 4
; Occupancy: 8
; WaveLimiterHint : 0
; COMPUTE_PGM_RSRC2:SCRATCH_EN: 0
; COMPUTE_PGM_RSRC2:USER_SGPR: 6
; COMPUTE_PGM_RSRC2:TRAP_HANDLER: 0
; COMPUTE_PGM_RSRC2:TGID_X_EN: 1
; COMPUTE_PGM_RSRC2:TGID_Y_EN: 0
; COMPUTE_PGM_RSRC2:TGID_Z_EN: 0
; COMPUTE_PGM_RSRC2:TIDIG_COMP_CNT: 0
; COMPUTE_PGM_RSRC3_GFX90A:ACCUM_OFFSET: 0
; COMPUTE_PGM_RSRC3_GFX90A:TG_SPLIT: 0
	.section	.text._ZN7rocprim17ROCPRIM_400000_NS6detail17trampoline_kernelINS0_14default_configENS1_20scan_config_selectorIdEEZZNS1_9scan_implILNS1_25lookback_scan_determinismE0ELb1ELb1ES3_N6thrust23THRUST_200600_302600_NS6detail15normal_iteratorINS9_10device_ptrIdEEEENS9_16discard_iteratorINS9_11use_defaultEEEdNS9_4plusIvEEdEEDaPvRmT3_T4_T5_mT6_P12ihipStream_tbENKUlT_T0_E_clISt17integral_constantIbLb1EESW_IbLb0EEEEDaSS_ST_EUlSS_E_NS1_11comp_targetILNS1_3genE5ELNS1_11target_archE942ELNS1_3gpuE9ELNS1_3repE0EEENS1_30default_config_static_selectorELNS0_4arch9wavefront6targetE1EEEvT1_,"axG",@progbits,_ZN7rocprim17ROCPRIM_400000_NS6detail17trampoline_kernelINS0_14default_configENS1_20scan_config_selectorIdEEZZNS1_9scan_implILNS1_25lookback_scan_determinismE0ELb1ELb1ES3_N6thrust23THRUST_200600_302600_NS6detail15normal_iteratorINS9_10device_ptrIdEEEENS9_16discard_iteratorINS9_11use_defaultEEEdNS9_4plusIvEEdEEDaPvRmT3_T4_T5_mT6_P12ihipStream_tbENKUlT_T0_E_clISt17integral_constantIbLb1EESW_IbLb0EEEEDaSS_ST_EUlSS_E_NS1_11comp_targetILNS1_3genE5ELNS1_11target_archE942ELNS1_3gpuE9ELNS1_3repE0EEENS1_30default_config_static_selectorELNS0_4arch9wavefront6targetE1EEEvT1_,comdat
	.protected	_ZN7rocprim17ROCPRIM_400000_NS6detail17trampoline_kernelINS0_14default_configENS1_20scan_config_selectorIdEEZZNS1_9scan_implILNS1_25lookback_scan_determinismE0ELb1ELb1ES3_N6thrust23THRUST_200600_302600_NS6detail15normal_iteratorINS9_10device_ptrIdEEEENS9_16discard_iteratorINS9_11use_defaultEEEdNS9_4plusIvEEdEEDaPvRmT3_T4_T5_mT6_P12ihipStream_tbENKUlT_T0_E_clISt17integral_constantIbLb1EESW_IbLb0EEEEDaSS_ST_EUlSS_E_NS1_11comp_targetILNS1_3genE5ELNS1_11target_archE942ELNS1_3gpuE9ELNS1_3repE0EEENS1_30default_config_static_selectorELNS0_4arch9wavefront6targetE1EEEvT1_ ; -- Begin function _ZN7rocprim17ROCPRIM_400000_NS6detail17trampoline_kernelINS0_14default_configENS1_20scan_config_selectorIdEEZZNS1_9scan_implILNS1_25lookback_scan_determinismE0ELb1ELb1ES3_N6thrust23THRUST_200600_302600_NS6detail15normal_iteratorINS9_10device_ptrIdEEEENS9_16discard_iteratorINS9_11use_defaultEEEdNS9_4plusIvEEdEEDaPvRmT3_T4_T5_mT6_P12ihipStream_tbENKUlT_T0_E_clISt17integral_constantIbLb1EESW_IbLb0EEEEDaSS_ST_EUlSS_E_NS1_11comp_targetILNS1_3genE5ELNS1_11target_archE942ELNS1_3gpuE9ELNS1_3repE0EEENS1_30default_config_static_selectorELNS0_4arch9wavefront6targetE1EEEvT1_
	.globl	_ZN7rocprim17ROCPRIM_400000_NS6detail17trampoline_kernelINS0_14default_configENS1_20scan_config_selectorIdEEZZNS1_9scan_implILNS1_25lookback_scan_determinismE0ELb1ELb1ES3_N6thrust23THRUST_200600_302600_NS6detail15normal_iteratorINS9_10device_ptrIdEEEENS9_16discard_iteratorINS9_11use_defaultEEEdNS9_4plusIvEEdEEDaPvRmT3_T4_T5_mT6_P12ihipStream_tbENKUlT_T0_E_clISt17integral_constantIbLb1EESW_IbLb0EEEEDaSS_ST_EUlSS_E_NS1_11comp_targetILNS1_3genE5ELNS1_11target_archE942ELNS1_3gpuE9ELNS1_3repE0EEENS1_30default_config_static_selectorELNS0_4arch9wavefront6targetE1EEEvT1_
	.p2align	8
	.type	_ZN7rocprim17ROCPRIM_400000_NS6detail17trampoline_kernelINS0_14default_configENS1_20scan_config_selectorIdEEZZNS1_9scan_implILNS1_25lookback_scan_determinismE0ELb1ELb1ES3_N6thrust23THRUST_200600_302600_NS6detail15normal_iteratorINS9_10device_ptrIdEEEENS9_16discard_iteratorINS9_11use_defaultEEEdNS9_4plusIvEEdEEDaPvRmT3_T4_T5_mT6_P12ihipStream_tbENKUlT_T0_E_clISt17integral_constantIbLb1EESW_IbLb0EEEEDaSS_ST_EUlSS_E_NS1_11comp_targetILNS1_3genE5ELNS1_11target_archE942ELNS1_3gpuE9ELNS1_3repE0EEENS1_30default_config_static_selectorELNS0_4arch9wavefront6targetE1EEEvT1_,@function
_ZN7rocprim17ROCPRIM_400000_NS6detail17trampoline_kernelINS0_14default_configENS1_20scan_config_selectorIdEEZZNS1_9scan_implILNS1_25lookback_scan_determinismE0ELb1ELb1ES3_N6thrust23THRUST_200600_302600_NS6detail15normal_iteratorINS9_10device_ptrIdEEEENS9_16discard_iteratorINS9_11use_defaultEEEdNS9_4plusIvEEdEEDaPvRmT3_T4_T5_mT6_P12ihipStream_tbENKUlT_T0_E_clISt17integral_constantIbLb1EESW_IbLb0EEEEDaSS_ST_EUlSS_E_NS1_11comp_targetILNS1_3genE5ELNS1_11target_archE942ELNS1_3gpuE9ELNS1_3repE0EEENS1_30default_config_static_selectorELNS0_4arch9wavefront6targetE1EEEvT1_: ; @_ZN7rocprim17ROCPRIM_400000_NS6detail17trampoline_kernelINS0_14default_configENS1_20scan_config_selectorIdEEZZNS1_9scan_implILNS1_25lookback_scan_determinismE0ELb1ELb1ES3_N6thrust23THRUST_200600_302600_NS6detail15normal_iteratorINS9_10device_ptrIdEEEENS9_16discard_iteratorINS9_11use_defaultEEEdNS9_4plusIvEEdEEDaPvRmT3_T4_T5_mT6_P12ihipStream_tbENKUlT_T0_E_clISt17integral_constantIbLb1EESW_IbLb0EEEEDaSS_ST_EUlSS_E_NS1_11comp_targetILNS1_3genE5ELNS1_11target_archE942ELNS1_3gpuE9ELNS1_3repE0EEENS1_30default_config_static_selectorELNS0_4arch9wavefront6targetE1EEEvT1_
; %bb.0:
	.section	.rodata,"a",@progbits
	.p2align	6, 0x0
	.amdhsa_kernel _ZN7rocprim17ROCPRIM_400000_NS6detail17trampoline_kernelINS0_14default_configENS1_20scan_config_selectorIdEEZZNS1_9scan_implILNS1_25lookback_scan_determinismE0ELb1ELb1ES3_N6thrust23THRUST_200600_302600_NS6detail15normal_iteratorINS9_10device_ptrIdEEEENS9_16discard_iteratorINS9_11use_defaultEEEdNS9_4plusIvEEdEEDaPvRmT3_T4_T5_mT6_P12ihipStream_tbENKUlT_T0_E_clISt17integral_constantIbLb1EESW_IbLb0EEEEDaSS_ST_EUlSS_E_NS1_11comp_targetILNS1_3genE5ELNS1_11target_archE942ELNS1_3gpuE9ELNS1_3repE0EEENS1_30default_config_static_selectorELNS0_4arch9wavefront6targetE1EEEvT1_
		.amdhsa_group_segment_fixed_size 0
		.amdhsa_private_segment_fixed_size 0
		.amdhsa_kernarg_size 112
		.amdhsa_user_sgpr_count 6
		.amdhsa_user_sgpr_private_segment_buffer 1
		.amdhsa_user_sgpr_dispatch_ptr 0
		.amdhsa_user_sgpr_queue_ptr 0
		.amdhsa_user_sgpr_kernarg_segment_ptr 1
		.amdhsa_user_sgpr_dispatch_id 0
		.amdhsa_user_sgpr_flat_scratch_init 0
		.amdhsa_user_sgpr_kernarg_preload_length 0
		.amdhsa_user_sgpr_kernarg_preload_offset 0
		.amdhsa_user_sgpr_private_segment_size 0
		.amdhsa_uses_dynamic_stack 0
		.amdhsa_system_sgpr_private_segment_wavefront_offset 0
		.amdhsa_system_sgpr_workgroup_id_x 1
		.amdhsa_system_sgpr_workgroup_id_y 0
		.amdhsa_system_sgpr_workgroup_id_z 0
		.amdhsa_system_sgpr_workgroup_info 0
		.amdhsa_system_vgpr_workitem_id 0
		.amdhsa_next_free_vgpr 1
		.amdhsa_next_free_sgpr 0
		.amdhsa_accum_offset 4
		.amdhsa_reserve_vcc 0
		.amdhsa_reserve_flat_scratch 0
		.amdhsa_float_round_mode_32 0
		.amdhsa_float_round_mode_16_64 0
		.amdhsa_float_denorm_mode_32 3
		.amdhsa_float_denorm_mode_16_64 3
		.amdhsa_dx10_clamp 1
		.amdhsa_ieee_mode 1
		.amdhsa_fp16_overflow 0
		.amdhsa_tg_split 0
		.amdhsa_exception_fp_ieee_invalid_op 0
		.amdhsa_exception_fp_denorm_src 0
		.amdhsa_exception_fp_ieee_div_zero 0
		.amdhsa_exception_fp_ieee_overflow 0
		.amdhsa_exception_fp_ieee_underflow 0
		.amdhsa_exception_fp_ieee_inexact 0
		.amdhsa_exception_int_div_zero 0
	.end_amdhsa_kernel
	.section	.text._ZN7rocprim17ROCPRIM_400000_NS6detail17trampoline_kernelINS0_14default_configENS1_20scan_config_selectorIdEEZZNS1_9scan_implILNS1_25lookback_scan_determinismE0ELb1ELb1ES3_N6thrust23THRUST_200600_302600_NS6detail15normal_iteratorINS9_10device_ptrIdEEEENS9_16discard_iteratorINS9_11use_defaultEEEdNS9_4plusIvEEdEEDaPvRmT3_T4_T5_mT6_P12ihipStream_tbENKUlT_T0_E_clISt17integral_constantIbLb1EESW_IbLb0EEEEDaSS_ST_EUlSS_E_NS1_11comp_targetILNS1_3genE5ELNS1_11target_archE942ELNS1_3gpuE9ELNS1_3repE0EEENS1_30default_config_static_selectorELNS0_4arch9wavefront6targetE1EEEvT1_,"axG",@progbits,_ZN7rocprim17ROCPRIM_400000_NS6detail17trampoline_kernelINS0_14default_configENS1_20scan_config_selectorIdEEZZNS1_9scan_implILNS1_25lookback_scan_determinismE0ELb1ELb1ES3_N6thrust23THRUST_200600_302600_NS6detail15normal_iteratorINS9_10device_ptrIdEEEENS9_16discard_iteratorINS9_11use_defaultEEEdNS9_4plusIvEEdEEDaPvRmT3_T4_T5_mT6_P12ihipStream_tbENKUlT_T0_E_clISt17integral_constantIbLb1EESW_IbLb0EEEEDaSS_ST_EUlSS_E_NS1_11comp_targetILNS1_3genE5ELNS1_11target_archE942ELNS1_3gpuE9ELNS1_3repE0EEENS1_30default_config_static_selectorELNS0_4arch9wavefront6targetE1EEEvT1_,comdat
.Lfunc_end4971:
	.size	_ZN7rocprim17ROCPRIM_400000_NS6detail17trampoline_kernelINS0_14default_configENS1_20scan_config_selectorIdEEZZNS1_9scan_implILNS1_25lookback_scan_determinismE0ELb1ELb1ES3_N6thrust23THRUST_200600_302600_NS6detail15normal_iteratorINS9_10device_ptrIdEEEENS9_16discard_iteratorINS9_11use_defaultEEEdNS9_4plusIvEEdEEDaPvRmT3_T4_T5_mT6_P12ihipStream_tbENKUlT_T0_E_clISt17integral_constantIbLb1EESW_IbLb0EEEEDaSS_ST_EUlSS_E_NS1_11comp_targetILNS1_3genE5ELNS1_11target_archE942ELNS1_3gpuE9ELNS1_3repE0EEENS1_30default_config_static_selectorELNS0_4arch9wavefront6targetE1EEEvT1_, .Lfunc_end4971-_ZN7rocprim17ROCPRIM_400000_NS6detail17trampoline_kernelINS0_14default_configENS1_20scan_config_selectorIdEEZZNS1_9scan_implILNS1_25lookback_scan_determinismE0ELb1ELb1ES3_N6thrust23THRUST_200600_302600_NS6detail15normal_iteratorINS9_10device_ptrIdEEEENS9_16discard_iteratorINS9_11use_defaultEEEdNS9_4plusIvEEdEEDaPvRmT3_T4_T5_mT6_P12ihipStream_tbENKUlT_T0_E_clISt17integral_constantIbLb1EESW_IbLb0EEEEDaSS_ST_EUlSS_E_NS1_11comp_targetILNS1_3genE5ELNS1_11target_archE942ELNS1_3gpuE9ELNS1_3repE0EEENS1_30default_config_static_selectorELNS0_4arch9wavefront6targetE1EEEvT1_
                                        ; -- End function
	.section	.AMDGPU.csdata,"",@progbits
; Kernel info:
; codeLenInByte = 0
; NumSgprs: 4
; NumVgprs: 0
; NumAgprs: 0
; TotalNumVgprs: 0
; ScratchSize: 0
; MemoryBound: 0
; FloatMode: 240
; IeeeMode: 1
; LDSByteSize: 0 bytes/workgroup (compile time only)
; SGPRBlocks: 0
; VGPRBlocks: 0
; NumSGPRsForWavesPerEU: 4
; NumVGPRsForWavesPerEU: 1
; AccumOffset: 4
; Occupancy: 8
; WaveLimiterHint : 0
; COMPUTE_PGM_RSRC2:SCRATCH_EN: 0
; COMPUTE_PGM_RSRC2:USER_SGPR: 6
; COMPUTE_PGM_RSRC2:TRAP_HANDLER: 0
; COMPUTE_PGM_RSRC2:TGID_X_EN: 1
; COMPUTE_PGM_RSRC2:TGID_Y_EN: 0
; COMPUTE_PGM_RSRC2:TGID_Z_EN: 0
; COMPUTE_PGM_RSRC2:TIDIG_COMP_CNT: 0
; COMPUTE_PGM_RSRC3_GFX90A:ACCUM_OFFSET: 0
; COMPUTE_PGM_RSRC3_GFX90A:TG_SPLIT: 0
	.section	.text._ZN7rocprim17ROCPRIM_400000_NS6detail17trampoline_kernelINS0_14default_configENS1_20scan_config_selectorIdEEZZNS1_9scan_implILNS1_25lookback_scan_determinismE0ELb1ELb1ES3_N6thrust23THRUST_200600_302600_NS6detail15normal_iteratorINS9_10device_ptrIdEEEENS9_16discard_iteratorINS9_11use_defaultEEEdNS9_4plusIvEEdEEDaPvRmT3_T4_T5_mT6_P12ihipStream_tbENKUlT_T0_E_clISt17integral_constantIbLb1EESW_IbLb0EEEEDaSS_ST_EUlSS_E_NS1_11comp_targetILNS1_3genE4ELNS1_11target_archE910ELNS1_3gpuE8ELNS1_3repE0EEENS1_30default_config_static_selectorELNS0_4arch9wavefront6targetE1EEEvT1_,"axG",@progbits,_ZN7rocprim17ROCPRIM_400000_NS6detail17trampoline_kernelINS0_14default_configENS1_20scan_config_selectorIdEEZZNS1_9scan_implILNS1_25lookback_scan_determinismE0ELb1ELb1ES3_N6thrust23THRUST_200600_302600_NS6detail15normal_iteratorINS9_10device_ptrIdEEEENS9_16discard_iteratorINS9_11use_defaultEEEdNS9_4plusIvEEdEEDaPvRmT3_T4_T5_mT6_P12ihipStream_tbENKUlT_T0_E_clISt17integral_constantIbLb1EESW_IbLb0EEEEDaSS_ST_EUlSS_E_NS1_11comp_targetILNS1_3genE4ELNS1_11target_archE910ELNS1_3gpuE8ELNS1_3repE0EEENS1_30default_config_static_selectorELNS0_4arch9wavefront6targetE1EEEvT1_,comdat
	.protected	_ZN7rocprim17ROCPRIM_400000_NS6detail17trampoline_kernelINS0_14default_configENS1_20scan_config_selectorIdEEZZNS1_9scan_implILNS1_25lookback_scan_determinismE0ELb1ELb1ES3_N6thrust23THRUST_200600_302600_NS6detail15normal_iteratorINS9_10device_ptrIdEEEENS9_16discard_iteratorINS9_11use_defaultEEEdNS9_4plusIvEEdEEDaPvRmT3_T4_T5_mT6_P12ihipStream_tbENKUlT_T0_E_clISt17integral_constantIbLb1EESW_IbLb0EEEEDaSS_ST_EUlSS_E_NS1_11comp_targetILNS1_3genE4ELNS1_11target_archE910ELNS1_3gpuE8ELNS1_3repE0EEENS1_30default_config_static_selectorELNS0_4arch9wavefront6targetE1EEEvT1_ ; -- Begin function _ZN7rocprim17ROCPRIM_400000_NS6detail17trampoline_kernelINS0_14default_configENS1_20scan_config_selectorIdEEZZNS1_9scan_implILNS1_25lookback_scan_determinismE0ELb1ELb1ES3_N6thrust23THRUST_200600_302600_NS6detail15normal_iteratorINS9_10device_ptrIdEEEENS9_16discard_iteratorINS9_11use_defaultEEEdNS9_4plusIvEEdEEDaPvRmT3_T4_T5_mT6_P12ihipStream_tbENKUlT_T0_E_clISt17integral_constantIbLb1EESW_IbLb0EEEEDaSS_ST_EUlSS_E_NS1_11comp_targetILNS1_3genE4ELNS1_11target_archE910ELNS1_3gpuE8ELNS1_3repE0EEENS1_30default_config_static_selectorELNS0_4arch9wavefront6targetE1EEEvT1_
	.globl	_ZN7rocprim17ROCPRIM_400000_NS6detail17trampoline_kernelINS0_14default_configENS1_20scan_config_selectorIdEEZZNS1_9scan_implILNS1_25lookback_scan_determinismE0ELb1ELb1ES3_N6thrust23THRUST_200600_302600_NS6detail15normal_iteratorINS9_10device_ptrIdEEEENS9_16discard_iteratorINS9_11use_defaultEEEdNS9_4plusIvEEdEEDaPvRmT3_T4_T5_mT6_P12ihipStream_tbENKUlT_T0_E_clISt17integral_constantIbLb1EESW_IbLb0EEEEDaSS_ST_EUlSS_E_NS1_11comp_targetILNS1_3genE4ELNS1_11target_archE910ELNS1_3gpuE8ELNS1_3repE0EEENS1_30default_config_static_selectorELNS0_4arch9wavefront6targetE1EEEvT1_
	.p2align	8
	.type	_ZN7rocprim17ROCPRIM_400000_NS6detail17trampoline_kernelINS0_14default_configENS1_20scan_config_selectorIdEEZZNS1_9scan_implILNS1_25lookback_scan_determinismE0ELb1ELb1ES3_N6thrust23THRUST_200600_302600_NS6detail15normal_iteratorINS9_10device_ptrIdEEEENS9_16discard_iteratorINS9_11use_defaultEEEdNS9_4plusIvEEdEEDaPvRmT3_T4_T5_mT6_P12ihipStream_tbENKUlT_T0_E_clISt17integral_constantIbLb1EESW_IbLb0EEEEDaSS_ST_EUlSS_E_NS1_11comp_targetILNS1_3genE4ELNS1_11target_archE910ELNS1_3gpuE8ELNS1_3repE0EEENS1_30default_config_static_selectorELNS0_4arch9wavefront6targetE1EEEvT1_,@function
_ZN7rocprim17ROCPRIM_400000_NS6detail17trampoline_kernelINS0_14default_configENS1_20scan_config_selectorIdEEZZNS1_9scan_implILNS1_25lookback_scan_determinismE0ELb1ELb1ES3_N6thrust23THRUST_200600_302600_NS6detail15normal_iteratorINS9_10device_ptrIdEEEENS9_16discard_iteratorINS9_11use_defaultEEEdNS9_4plusIvEEdEEDaPvRmT3_T4_T5_mT6_P12ihipStream_tbENKUlT_T0_E_clISt17integral_constantIbLb1EESW_IbLb0EEEEDaSS_ST_EUlSS_E_NS1_11comp_targetILNS1_3genE4ELNS1_11target_archE910ELNS1_3gpuE8ELNS1_3repE0EEENS1_30default_config_static_selectorELNS0_4arch9wavefront6targetE1EEEvT1_: ; @_ZN7rocprim17ROCPRIM_400000_NS6detail17trampoline_kernelINS0_14default_configENS1_20scan_config_selectorIdEEZZNS1_9scan_implILNS1_25lookback_scan_determinismE0ELb1ELb1ES3_N6thrust23THRUST_200600_302600_NS6detail15normal_iteratorINS9_10device_ptrIdEEEENS9_16discard_iteratorINS9_11use_defaultEEEdNS9_4plusIvEEdEEDaPvRmT3_T4_T5_mT6_P12ihipStream_tbENKUlT_T0_E_clISt17integral_constantIbLb1EESW_IbLb0EEEEDaSS_ST_EUlSS_E_NS1_11comp_targetILNS1_3genE4ELNS1_11target_archE910ELNS1_3gpuE8ELNS1_3repE0EEENS1_30default_config_static_selectorELNS0_4arch9wavefront6targetE1EEEvT1_
; %bb.0:
	s_load_dwordx4 s[0:3], s[4:5], 0x0
	s_load_dwordx4 s[12:15], s[4:5], 0x20
	s_load_dword s7, s[4:5], 0x40
	s_waitcnt lgkmcnt(0)
	s_lshl_b64 s[2:3], s[2:3], 3
	s_add_u32 s24, s0, s2
	s_addc_u32 s25, s1, s3
	s_add_i32 s2, s7, -1
	s_mul_i32 s3, s2, 0x500
	s_sub_u32 s22, s12, s3
	s_subb_u32 s23, s13, 0
	s_mul_i32 s0, s6, 0x500
	s_mov_b32 s1, 0
	s_cmp_lg_u32 s6, s2
	s_cselect_b64 s[16:17], -1, 0
	s_lshl_b64 s[0:1], s[0:1], 3
	s_add_u32 s0, s24, s0
	s_addc_u32 s1, s25, s1
	s_mov_b64 s[2:3], -1
	s_and_b64 vcc, exec, s[16:17]
	s_cbranch_vccz .LBB4972_2
; %bb.1:
	v_lshlrev_b32_e32 v1, 3, v0
	v_mov_b32_e32 v3, s1
	v_add_co_u32_e32 v2, vcc, s0, v1
	v_addc_co_u32_e32 v3, vcc, 0, v3, vcc
	v_add_co_u32_e32 v12, vcc, 0x1000, v2
	v_addc_co_u32_e32 v13, vcc, 0, v3, vcc
	flat_load_dwordx2 v[4:5], v[2:3]
	flat_load_dwordx2 v[6:7], v[2:3] offset:1024
	flat_load_dwordx2 v[8:9], v[2:3] offset:2048
	;; [unrolled: 1-line block ×3, first 2 shown]
	v_add_co_u32_e32 v2, vcc, 0x2000, v2
	v_addc_co_u32_e32 v3, vcc, 0, v3, vcc
	flat_load_dwordx2 v[14:15], v[12:13]
	flat_load_dwordx2 v[16:17], v[12:13] offset:1024
	flat_load_dwordx2 v[18:19], v[12:13] offset:2048
	;; [unrolled: 1-line block ×3, first 2 shown]
	s_nop 0
	flat_load_dwordx2 v[12:13], v[2:3]
	flat_load_dwordx2 v[22:23], v[2:3] offset:1024
	s_mov_b64 s[2:3], 0
	s_waitcnt vmcnt(0) lgkmcnt(0)
	ds_write2st64_b64 v1, v[4:5], v[6:7] offset1:2
	ds_write2st64_b64 v1, v[8:9], v[10:11] offset0:4 offset1:6
	ds_write2st64_b64 v1, v[14:15], v[16:17] offset0:8 offset1:10
	;; [unrolled: 1-line block ×4, first 2 shown]
	s_waitcnt lgkmcnt(0)
	s_barrier
.LBB4972_2:
	s_load_dwordx2 s[18:19], s[4:5], 0x38
	s_andn2_b64 vcc, exec, s[2:3]
	s_cbranch_vccnz .LBB4972_24
; %bb.3:
	v_pk_mov_b32 v[2:3], s[0:1], s[0:1] op_sel:[0,1]
	flat_load_dwordx2 v[2:3], v[2:3]
	v_cmp_gt_u32_e32 vcc, s22, v0
	s_waitcnt vmcnt(0) lgkmcnt(0)
	v_mov_b32_e32 v4, v2
	v_mov_b32_e32 v5, v3
	;; [unrolled: 1-line block ×16, first 2 shown]
	v_pk_mov_b32 v[34:35], v[30:31], v[30:31] op_sel:[0,1]
	v_pk_mov_b32 v[32:33], v[28:29], v[28:29] op_sel:[0,1]
	;; [unrolled: 1-line block ×16, first 2 shown]
	s_and_saveexec_b64 s[2:3], vcc
	s_cbranch_execz .LBB4972_5
; %bb.4:
	v_lshlrev_b32_e32 v1, 3, v0
	v_mov_b32_e32 v5, s1
	v_add_co_u32_e32 v4, vcc, s0, v1
	v_addc_co_u32_e32 v5, vcc, 0, v5, vcc
	flat_load_dwordx2 v[36:37], v[4:5]
	v_mov_b32_e32 v4, v2
	v_mov_b32_e32 v5, v3
	;; [unrolled: 1-line block ×16, first 2 shown]
	v_pk_mov_b32 v[34:35], v[30:31], v[30:31] op_sel:[0,1]
	v_pk_mov_b32 v[32:33], v[28:29], v[28:29] op_sel:[0,1]
	;; [unrolled: 1-line block ×16, first 2 shown]
	s_waitcnt vmcnt(0) lgkmcnt(0)
	v_pk_mov_b32 v[2:3], v[36:37], v[36:37] op_sel:[0,1]
.LBB4972_5:
	s_or_b64 exec, exec, s[2:3]
	v_or_b32_e32 v1, 0x80, v0
	v_cmp_gt_u32_e32 vcc, s22, v1
	s_and_saveexec_b64 s[2:3], vcc
	s_cbranch_execz .LBB4972_7
; %bb.6:
	v_lshlrev_b32_e32 v1, 3, v0
	v_mov_b32_e32 v5, s1
	v_add_co_u32_e32 v4, vcc, s0, v1
	v_addc_co_u32_e32 v5, vcc, 0, v5, vcc
	flat_load_dwordx2 v[6:7], v[4:5] offset:1024
.LBB4972_7:
	s_or_b64 exec, exec, s[2:3]
	v_or_b32_e32 v1, 0x100, v0
	v_cmp_gt_u32_e32 vcc, s22, v1
	s_and_saveexec_b64 s[2:3], vcc
	s_cbranch_execz .LBB4972_9
; %bb.8:
	v_lshlrev_b32_e32 v1, 3, v0
	v_mov_b32_e32 v5, s1
	v_add_co_u32_e32 v4, vcc, s0, v1
	v_addc_co_u32_e32 v5, vcc, 0, v5, vcc
	flat_load_dwordx2 v[8:9], v[4:5] offset:2048
.LBB4972_9:
	;; [unrolled: 12-line block ×3, first 2 shown]
	s_or_b64 exec, exec, s[2:3]
	v_or_b32_e32 v1, 0x200, v0
	v_cmp_gt_u32_e32 vcc, s22, v1
	s_and_saveexec_b64 s[2:3], vcc
	s_cbranch_execz .LBB4972_13
; %bb.12:
	v_lshlrev_b32_e32 v1, 3, v1
	v_mov_b32_e32 v5, s1
	v_add_co_u32_e32 v4, vcc, s0, v1
	v_addc_co_u32_e32 v5, vcc, 0, v5, vcc
	flat_load_dwordx2 v[12:13], v[4:5]
.LBB4972_13:
	s_or_b64 exec, exec, s[2:3]
	v_or_b32_e32 v1, 0x280, v0
	v_cmp_gt_u32_e32 vcc, s22, v1
	s_and_saveexec_b64 s[2:3], vcc
	s_cbranch_execz .LBB4972_15
; %bb.14:
	v_lshlrev_b32_e32 v1, 3, v1
	v_mov_b32_e32 v5, s1
	v_add_co_u32_e32 v4, vcc, s0, v1
	v_addc_co_u32_e32 v5, vcc, 0, v5, vcc
	flat_load_dwordx2 v[14:15], v[4:5]
.LBB4972_15:
	;; [unrolled: 12-line block ×6, first 2 shown]
	s_or_b64 exec, exec, s[2:3]
	v_lshlrev_b32_e32 v1, 3, v0
	s_waitcnt vmcnt(0) lgkmcnt(0)
	ds_write2st64_b64 v1, v[2:3], v[6:7] offset1:2
	ds_write2st64_b64 v1, v[8:9], v[10:11] offset0:4 offset1:6
	ds_write2st64_b64 v1, v[12:13], v[14:15] offset0:8 offset1:10
	;; [unrolled: 1-line block ×4, first 2 shown]
	s_waitcnt lgkmcnt(0)
	s_barrier
.LBB4972_24:
	v_mul_u32_u24_e32 v44, 10, v0
	v_lshlrev_b32_e32 v45, 3, v44
	s_waitcnt lgkmcnt(0)
	ds_read_b128 v[14:17], v45
	ds_read_b128 v[10:13], v45 offset:16
	ds_read_b128 v[6:9], v45 offset:32
	;; [unrolled: 1-line block ×4, first 2 shown]
	s_waitcnt lgkmcnt(4)
	v_add_f64 v[22:23], v[14:15], v[16:17]
	s_cmp_lg_u32 s6, 0
	s_waitcnt lgkmcnt(3)
	v_add_f64 v[42:43], v[10:11], v[22:23]
	v_mbcnt_lo_u32_b32 v1, -1, 0
	s_waitcnt lgkmcnt(0)
	s_barrier
	s_cbranch_scc0 .LBB4972_57
; %bb.25:
	v_add_f64 v[22:23], v[12:13], v[42:43]
	v_add_f64 v[22:23], v[6:7], v[22:23]
	;; [unrolled: 1-line block ×7, first 2 shown]
	v_mbcnt_hi_u32_b32 v33, -1, v1
	v_and_b32_e32 v28, 15, v33
	v_mov_b32_dpp v24, v22 row_shr:1 row_mask:0xf bank_mask:0xf
	v_mov_b32_dpp v25, v23 row_shr:1 row_mask:0xf bank_mask:0xf
	v_add_f64 v[24:25], v[22:23], v[24:25]
	v_cmp_eq_u32_e32 vcc, 0, v28
	v_cndmask_b32_e32 v24, v24, v22, vcc
	v_cndmask_b32_e32 v25, v25, v23, vcc
	v_cmp_lt_u32_e32 vcc, 1, v28
	v_mov_b32_dpp v26, v24 row_shr:2 row_mask:0xf bank_mask:0xf
	v_mov_b32_dpp v27, v25 row_shr:2 row_mask:0xf bank_mask:0xf
	v_add_f64 v[26:27], v[24:25], v[26:27]
	v_cndmask_b32_e32 v24, v24, v26, vcc
	v_cndmask_b32_e32 v25, v25, v27, vcc
	v_cmp_lt_u32_e32 vcc, 3, v28
	v_mov_b32_dpp v26, v24 row_shr:4 row_mask:0xf bank_mask:0xf
	v_mov_b32_dpp v27, v25 row_shr:4 row_mask:0xf bank_mask:0xf
	v_add_f64 v[26:27], v[24:25], v[26:27]
	;; [unrolled: 6-line block ×3, first 2 shown]
	v_cndmask_b32_e32 v24, v24, v26, vcc
	v_cndmask_b32_e32 v25, v25, v27, vcc
	v_and_b32_e32 v30, 16, v33
	v_mov_b32_dpp v26, v24 row_bcast:15 row_mask:0xf bank_mask:0xf
	v_mov_b32_dpp v27, v25 row_bcast:15 row_mask:0xf bank_mask:0xf
	v_add_f64 v[28:29], v[24:25], v[26:27]
	v_cmp_eq_u32_e32 vcc, 0, v30
	v_cndmask_b32_e32 v27, v29, v25, vcc
	v_cndmask_b32_e32 v26, v28, v24, vcc
	v_cmp_eq_u32_e64 s[0:1], 0, v33
	v_mov_b32_dpp v27, v27 row_bcast:31 row_mask:0xf bank_mask:0xf
	v_mov_b32_dpp v26, v26 row_bcast:31 row_mask:0xf bank_mask:0xf
	v_cmp_ne_u32_e64 s[2:3], 0, v33
	s_and_saveexec_b64 s[8:9], s[2:3]
; %bb.26:
	v_cndmask_b32_e32 v23, v29, v25, vcc
	v_cndmask_b32_e32 v22, v28, v24, vcc
	v_add_f64 v[24:25], v[22:23], v[26:27]
	v_cmp_lt_u32_e32 vcc, 31, v33
	v_cndmask_b32_e32 v23, v23, v25, vcc
	v_cndmask_b32_e32 v22, v22, v24, vcc
; %bb.27:
	s_or_b64 exec, exec, s[8:9]
	v_or_b32_e32 v25, 63, v0
	v_lshrrev_b32_e32 v24, 6, v0
	v_cmp_eq_u32_e32 vcc, v25, v0
	s_and_saveexec_b64 s[2:3], vcc
	s_cbranch_execz .LBB4972_29
; %bb.28:
	v_lshlrev_b32_e32 v25, 3, v24
	ds_write_b64 v25, v[22:23]
.LBB4972_29:
	s_or_b64 exec, exec, s[2:3]
	v_cmp_gt_u32_e32 vcc, 2, v0
	s_waitcnt lgkmcnt(0)
	s_barrier
	s_and_saveexec_b64 s[2:3], vcc
	s_cbranch_execz .LBB4972_31
; %bb.30:
	v_lshlrev_b32_e32 v25, 3, v0
	ds_read_b64 v[26:27], v25
	v_and_b32_e32 v30, 1, v33
	v_cmp_eq_u32_e32 vcc, 0, v30
	s_waitcnt lgkmcnt(0)
	v_mov_b32_dpp v28, v26 row_shr:1 row_mask:0xf bank_mask:0xf
	v_mov_b32_dpp v29, v27 row_shr:1 row_mask:0xf bank_mask:0xf
	v_add_f64 v[28:29], v[26:27], v[28:29]
	v_cndmask_b32_e32 v27, v29, v27, vcc
	v_cndmask_b32_e32 v26, v28, v26, vcc
	ds_write_b64 v25, v[26:27]
.LBB4972_31:
	s_or_b64 exec, exec, s[2:3]
	v_cmp_gt_u32_e32 vcc, 64, v0
	v_cmp_lt_u32_e64 s[2:3], 63, v0
	s_waitcnt lgkmcnt(0)
	s_barrier
	s_waitcnt lgkmcnt(0)
                                        ; implicit-def: $vgpr30_vgpr31
	s_and_saveexec_b64 s[8:9], s[2:3]
	s_cbranch_execz .LBB4972_33
; %bb.32:
	v_lshl_add_u32 v24, v24, 3, -8
	ds_read_b64 v[30:31], v24
	s_waitcnt lgkmcnt(0)
	v_add_f64 v[22:23], v[22:23], v[30:31]
.LBB4972_33:
	s_or_b64 exec, exec, s[8:9]
	v_add_u32_e32 v24, -1, v33
	v_and_b32_e32 v25, 64, v33
	v_cmp_lt_i32_e64 s[2:3], v24, v25
	v_cndmask_b32_e64 v24, v24, v33, s[2:3]
	v_lshlrev_b32_e32 v24, 2, v24
	ds_bpermute_b32 v38, v24, v22
	ds_bpermute_b32 v39, v24, v23
	s_and_saveexec_b64 s[20:21], vcc
	s_cbranch_execz .LBB4972_56
; %bb.34:
	v_mov_b32_e32 v25, 0
	ds_read_b64 v[22:23], v25 offset:8
	s_and_saveexec_b64 s[2:3], s[0:1]
	s_cbranch_execz .LBB4972_36
; %bb.35:
	s_add_i32 s8, s6, 64
	s_mov_b32 s9, 0
	s_lshl_b64 s[8:9], s[8:9], 4
	s_add_u32 s8, s18, s8
	s_addc_u32 s9, s19, s9
	v_mov_b32_e32 v24, 1
	v_pk_mov_b32 v[26:27], s[8:9], s[8:9] op_sel:[0,1]
	s_waitcnt lgkmcnt(0)
	;;#ASMSTART
	global_store_dwordx4 v[26:27], v[22:25] off	
s_waitcnt vmcnt(0)
	;;#ASMEND
.LBB4972_36:
	s_or_b64 exec, exec, s[2:3]
	v_xad_u32 v32, v33, -1, s6
	v_add_u32_e32 v24, 64, v32
	v_lshlrev_b64 v[26:27], 4, v[24:25]
	v_mov_b32_e32 v24, s19
	v_add_co_u32_e32 v34, vcc, s18, v26
	v_addc_co_u32_e32 v35, vcc, v24, v27, vcc
	;;#ASMSTART
	global_load_dwordx4 v[26:29], v[34:35] off glc	
s_waitcnt vmcnt(0)
	;;#ASMEND
	v_and_b32_e32 v24, 0xff, v27
	v_and_b32_e32 v29, 0xff00, v27
	v_or3_b32 v24, 0, v24, v29
	v_or3_b32 v26, v26, 0, 0
	v_and_b32_e32 v29, 0xff000000, v27
	v_and_b32_e32 v27, 0xff0000, v27
	v_or3_b32 v27, v24, v27, v29
	v_or3_b32 v26, v26, 0, 0
	v_cmp_eq_u16_sdwa s[8:9], v28, v25 src0_sel:BYTE_0 src1_sel:DWORD
	s_and_saveexec_b64 s[2:3], s[8:9]
	s_cbranch_execz .LBB4972_42
; %bb.37:
	s_mov_b32 s7, 1
	s_mov_b64 s[8:9], 0
	v_mov_b32_e32 v24, 0
.LBB4972_38:                            ; =>This Loop Header: Depth=1
                                        ;     Child Loop BB4972_39 Depth 2
	s_max_u32 s10, s7, 1
.LBB4972_39:                            ;   Parent Loop BB4972_38 Depth=1
                                        ; =>  This Inner Loop Header: Depth=2
	s_add_i32 s10, s10, -1
	s_cmp_eq_u32 s10, 0
	s_sleep 1
	s_cbranch_scc0 .LBB4972_39
; %bb.40:                               ;   in Loop: Header=BB4972_38 Depth=1
	s_cmp_lt_u32 s7, 32
	s_cselect_b64 s[10:11], -1, 0
	s_cmp_lg_u64 s[10:11], 0
	s_addc_u32 s7, s7, 0
	;;#ASMSTART
	global_load_dwordx4 v[26:29], v[34:35] off glc	
s_waitcnt vmcnt(0)
	;;#ASMEND
	v_cmp_ne_u16_sdwa s[10:11], v28, v24 src0_sel:BYTE_0 src1_sel:DWORD
	s_or_b64 s[8:9], s[10:11], s[8:9]
	s_andn2_b64 exec, exec, s[8:9]
	s_cbranch_execnz .LBB4972_38
; %bb.41:
	s_or_b64 exec, exec, s[8:9]
.LBB4972_42:
	s_or_b64 exec, exec, s[2:3]
	v_and_b32_e32 v41, 63, v33
	v_cmp_ne_u32_e32 vcc, 63, v41
	v_mov_b32_e32 v40, 2
	v_addc_co_u32_e32 v34, vcc, 0, v33, vcc
	v_cmp_eq_u16_sdwa s[2:3], v28, v40 src0_sel:BYTE_0 src1_sel:DWORD
	v_lshlrev_b64 v[24:25], v33, -1
	v_lshlrev_b32_e32 v46, 2, v34
	v_and_b32_e32 v29, s3, v25
	ds_bpermute_b32 v34, v46, v26
	ds_bpermute_b32 v35, v46, v27
	v_or_b32_e32 v29, 0x80000000, v29
	v_and_b32_e32 v36, s2, v24
	v_ffbl_b32_e32 v29, v29
	v_add_u32_e32 v29, 32, v29
	v_ffbl_b32_e32 v36, v36
	v_cmp_gt_u32_e64 s[2:3], 62, v41
	v_min_u32_e32 v29, v36, v29
	v_cndmask_b32_e64 v36, 0, 1, s[2:3]
	s_waitcnt lgkmcnt(0)
	v_add_f64 v[34:35], v[26:27], v[34:35]
	v_cmp_lt_u32_e32 vcc, v41, v29
	v_lshlrev_b32_e32 v36, 1, v36
	v_cndmask_b32_e32 v34, v26, v34, vcc
	v_cndmask_b32_e32 v35, v27, v35, vcc
	v_add_lshl_u32 v47, v36, v33, 2
	ds_bpermute_b32 v36, v47, v34
	ds_bpermute_b32 v37, v47, v35
	v_add_u32_e32 v48, 2, v41
	v_cmp_gt_u32_e64 s[2:3], v48, v29
	v_cmp_gt_u32_e64 s[8:9], 56, v41
	v_add_u32_e32 v50, 4, v41
	s_waitcnt lgkmcnt(0)
	v_add_f64 v[36:37], v[34:35], v[36:37]
	v_cndmask_b32_e64 v34, v36, v34, s[2:3]
	v_cndmask_b32_e64 v35, v37, v35, s[2:3]
	v_cmp_gt_u32_e64 s[2:3], 60, v41
	v_cndmask_b32_e64 v36, 0, 1, s[2:3]
	v_lshlrev_b32_e32 v36, 2, v36
	v_add_lshl_u32 v49, v36, v33, 2
	ds_bpermute_b32 v36, v49, v34
	ds_bpermute_b32 v37, v49, v35
	v_cndmask_b32_e64 v51, 0, 1, s[8:9]
	v_cmp_gt_u32_e64 s[2:3], v50, v29
	v_lshlrev_b32_e32 v51, 3, v51
	v_add_lshl_u32 v51, v51, v33, 2
	s_waitcnt lgkmcnt(0)
	v_add_f64 v[36:37], v[34:35], v[36:37]
	v_cndmask_b32_e64 v54, v36, v34, s[2:3]
	v_cndmask_b32_e64 v55, v37, v35, s[2:3]
	ds_bpermute_b32 v56, v51, v54
	ds_bpermute_b32 v57, v51, v55
	v_cmp_gt_u32_e64 s[10:11], 48, v41
	v_add_u32_e32 v52, 8, v41
	v_cndmask_b32_e64 v53, 0, 1, s[10:11]
	v_cmp_gt_u32_e64 s[8:9], v52, v29
	s_waitcnt lgkmcnt(0)
	v_add_f64 v[58:59], v[54:55], v[56:57]
	v_lshlrev_b32_e32 v53, 4, v53
	v_cndmask_b32_e64 v56, v58, v54, s[8:9]
	v_cndmask_b32_e64 v57, v59, v55, s[8:9]
	v_add_lshl_u32 v53, v53, v33, 2
	ds_bpermute_b32 v60, v53, v56
	ds_bpermute_b32 v61, v53, v57
	v_cmp_gt_u32_e64 s[12:13], 32, v41
	v_add_u32_e32 v54, 16, v41
	v_cndmask_b32_e64 v55, 0, 1, s[12:13]
	v_cmp_gt_u32_e64 s[10:11], v54, v29
	s_waitcnt lgkmcnt(0)
	v_add_f64 v[60:61], v[56:57], v[60:61]
	v_lshlrev_b32_e32 v55, 5, v55
	v_cndmask_b32_e64 v62, v60, v56, s[10:11]
	v_add_lshl_u32 v55, v55, v33, 2
	v_cndmask_b32_e64 v63, v61, v57, s[10:11]
	ds_bpermute_b32 v64, v55, v62
	ds_bpermute_b32 v65, v55, v63
	v_cndmask_b32_e32 v27, v27, v35, vcc
	v_cndmask_b32_e32 v26, v26, v34, vcc
	v_cndmask_b32_e64 v26, v36, v26, s[2:3]
	v_cndmask_b32_e64 v27, v37, v27, s[2:3]
	v_add_u32_e32 v56, 32, v41
	v_cndmask_b32_e64 v27, v59, v27, s[8:9]
	v_cndmask_b32_e64 v26, v58, v26, s[8:9]
	s_waitcnt lgkmcnt(0)
	v_add_f64 v[62:63], v[62:63], v[64:65]
	v_cndmask_b32_e64 v26, v60, v26, s[10:11]
	v_cndmask_b32_e64 v27, v61, v27, s[10:11]
	v_cmp_gt_u32_e32 vcc, v56, v29
	v_cndmask_b32_e32 v27, v63, v27, vcc
	v_cndmask_b32_e32 v26, v62, v26, vcc
	v_mov_b32_e32 v33, 0
	s_branch .LBB4972_44
.LBB4972_43:                            ;   in Loop: Header=BB4972_44 Depth=1
	s_or_b64 exec, exec, s[2:3]
	v_cmp_eq_u16_sdwa s[2:3], v28, v40 src0_sel:BYTE_0 src1_sel:DWORD
	v_and_b32_e32 v29, s3, v25
	ds_bpermute_b32 v36, v46, v26
	ds_bpermute_b32 v37, v46, v27
	v_or_b32_e32 v29, 0x80000000, v29
	v_and_b32_e32 v57, s2, v24
	v_ffbl_b32_e32 v29, v29
	v_add_u32_e32 v29, 32, v29
	v_ffbl_b32_e32 v57, v57
	v_min_u32_e32 v29, v57, v29
	s_waitcnt lgkmcnt(0)
	v_add_f64 v[36:37], v[26:27], v[36:37]
	v_cmp_lt_u32_e32 vcc, v41, v29
	v_cndmask_b32_e32 v36, v26, v36, vcc
	v_cndmask_b32_e32 v37, v27, v37, vcc
	ds_bpermute_b32 v58, v47, v36
	ds_bpermute_b32 v59, v47, v37
	v_cmp_gt_u32_e64 s[2:3], v48, v29
	v_cmp_gt_u32_e64 s[8:9], v52, v29
	;; [unrolled: 1-line block ×3, first 2 shown]
	v_subrev_u32_e32 v32, 64, v32
	s_waitcnt lgkmcnt(0)
	v_add_f64 v[58:59], v[36:37], v[58:59]
	v_cndmask_b32_e64 v36, v58, v36, s[2:3]
	v_cndmask_b32_e64 v37, v59, v37, s[2:3]
	ds_bpermute_b32 v58, v49, v36
	ds_bpermute_b32 v59, v49, v37
	v_cmp_gt_u32_e64 s[2:3], v50, v29
	v_cndmask_b32_e32 v27, v27, v37, vcc
	v_cndmask_b32_e32 v26, v26, v36, vcc
	v_cmp_gt_u32_e32 vcc, v56, v29
	s_waitcnt lgkmcnt(0)
	v_add_f64 v[58:59], v[36:37], v[58:59]
	v_cndmask_b32_e64 v60, v58, v36, s[2:3]
	v_cndmask_b32_e64 v61, v59, v37, s[2:3]
	ds_bpermute_b32 v62, v51, v60
	ds_bpermute_b32 v63, v51, v61
	v_cndmask_b32_e64 v26, v58, v26, s[2:3]
	v_cndmask_b32_e64 v27, v59, v27, s[2:3]
	s_waitcnt lgkmcnt(0)
	v_add_f64 v[62:63], v[60:61], v[62:63]
	v_cndmask_b32_e64 v60, v62, v60, s[8:9]
	v_cndmask_b32_e64 v61, v63, v61, s[8:9]
	ds_bpermute_b32 v64, v53, v60
	ds_bpermute_b32 v65, v53, v61
	v_cndmask_b32_e64 v27, v63, v27, s[8:9]
	v_cndmask_b32_e64 v26, v62, v26, s[8:9]
	;; [unrolled: 8-line block ×3, first 2 shown]
	s_waitcnt lgkmcnt(0)
	v_add_f64 v[60:61], v[60:61], v[66:67]
	v_cndmask_b32_e32 v27, v61, v27, vcc
	v_cndmask_b32_e32 v26, v60, v26, vcc
	v_add_f64 v[26:27], v[34:35], v[26:27]
.LBB4972_44:                            ; =>This Loop Header: Depth=1
                                        ;     Child Loop BB4972_47 Depth 2
                                        ;       Child Loop BB4972_48 Depth 3
	v_cmp_ne_u16_sdwa s[2:3], v28, v40 src0_sel:BYTE_0 src1_sel:DWORD
	v_cndmask_b32_e64 v28, 0, 1, s[2:3]
	;;#ASMSTART
	;;#ASMEND
	v_cmp_ne_u32_e32 vcc, 0, v28
	s_cmp_lg_u64 vcc, exec
	v_pk_mov_b32 v[34:35], v[26:27], v[26:27] op_sel:[0,1]
	s_cbranch_scc1 .LBB4972_51
; %bb.45:                               ;   in Loop: Header=BB4972_44 Depth=1
	v_lshlrev_b64 v[26:27], 4, v[32:33]
	v_mov_b32_e32 v28, s19
	v_add_co_u32_e32 v36, vcc, s18, v26
	v_addc_co_u32_e32 v37, vcc, v28, v27, vcc
	;;#ASMSTART
	global_load_dwordx4 v[26:29], v[36:37] off glc	
s_waitcnt vmcnt(0)
	;;#ASMEND
	v_and_b32_e32 v29, 0xff, v27
	v_and_b32_e32 v57, 0xff00, v27
	v_or3_b32 v29, 0, v29, v57
	v_or3_b32 v26, v26, 0, 0
	v_and_b32_e32 v57, 0xff000000, v27
	v_and_b32_e32 v27, 0xff0000, v27
	v_or3_b32 v27, v29, v27, v57
	v_or3_b32 v26, v26, 0, 0
	v_cmp_eq_u16_sdwa s[8:9], v28, v33 src0_sel:BYTE_0 src1_sel:DWORD
	s_and_saveexec_b64 s[2:3], s[8:9]
	s_cbranch_execz .LBB4972_43
; %bb.46:                               ;   in Loop: Header=BB4972_44 Depth=1
	s_mov_b32 s7, 1
	s_mov_b64 s[8:9], 0
.LBB4972_47:                            ;   Parent Loop BB4972_44 Depth=1
                                        ; =>  This Loop Header: Depth=2
                                        ;       Child Loop BB4972_48 Depth 3
	s_max_u32 s10, s7, 1
.LBB4972_48:                            ;   Parent Loop BB4972_44 Depth=1
                                        ;     Parent Loop BB4972_47 Depth=2
                                        ; =>    This Inner Loop Header: Depth=3
	s_add_i32 s10, s10, -1
	s_cmp_eq_u32 s10, 0
	s_sleep 1
	s_cbranch_scc0 .LBB4972_48
; %bb.49:                               ;   in Loop: Header=BB4972_47 Depth=2
	s_cmp_lt_u32 s7, 32
	s_cselect_b64 s[10:11], -1, 0
	s_cmp_lg_u64 s[10:11], 0
	s_addc_u32 s7, s7, 0
	;;#ASMSTART
	global_load_dwordx4 v[26:29], v[36:37] off glc	
s_waitcnt vmcnt(0)
	;;#ASMEND
	v_cmp_ne_u16_sdwa s[10:11], v28, v33 src0_sel:BYTE_0 src1_sel:DWORD
	s_or_b64 s[8:9], s[10:11], s[8:9]
	s_andn2_b64 exec, exec, s[8:9]
	s_cbranch_execnz .LBB4972_47
; %bb.50:                               ;   in Loop: Header=BB4972_44 Depth=1
	s_or_b64 exec, exec, s[8:9]
	s_branch .LBB4972_43
.LBB4972_51:                            ;   in Loop: Header=BB4972_44 Depth=1
                                        ; implicit-def: $vgpr26_vgpr27
                                        ; implicit-def: $vgpr28
	s_cbranch_execz .LBB4972_44
; %bb.52:
	s_and_saveexec_b64 s[2:3], s[0:1]
	s_cbranch_execz .LBB4972_54
; %bb.53:
	s_add_i32 s6, s6, 64
	s_mov_b32 s7, 0
	s_lshl_b64 s[6:7], s[6:7], 4
	s_add_u32 s6, s18, s6
	s_addc_u32 s7, s19, s7
	v_add_f64 v[22:23], v[22:23], v[34:35]
	v_mov_b32_e32 v24, 2
	v_mov_b32_e32 v25, 0
	v_pk_mov_b32 v[26:27], s[6:7], s[6:7] op_sel:[0,1]
	;;#ASMSTART
	global_store_dwordx4 v[26:27], v[22:25] off	
s_waitcnt vmcnt(0)
	;;#ASMEND
.LBB4972_54:
	s_or_b64 exec, exec, s[2:3]
	v_cmp_eq_u32_e32 vcc, 0, v0
	s_and_b64 exec, exec, vcc
	s_cbranch_execz .LBB4972_56
; %bb.55:
	v_mov_b32_e32 v22, 0
	ds_write_b64 v22, v[34:35] offset:8
.LBB4972_56:
	s_or_b64 exec, exec, s[20:21]
	v_mov_b32_e32 v22, 0
	s_waitcnt lgkmcnt(0)
	s_barrier
	ds_read_b64 v[22:23], v22 offset:8
	v_cndmask_b32_e64 v25, v39, v31, s[0:1]
	v_cndmask_b32_e64 v24, v38, v30, s[0:1]
	v_cmp_eq_u32_e32 vcc, 0, v0
	s_waitcnt lgkmcnt(0)
	v_add_f64 v[24:25], v[24:25], v[22:23]
	v_cndmask_b32_e32 v31, v25, v23, vcc
	v_cndmask_b32_e32 v30, v24, v22, vcc
	v_add_f64 v[32:33], v[14:15], v[30:31]
	v_add_f64 v[38:39], v[16:17], v[32:33]
	v_add_f64 v[40:41], v[10:11], v[38:39]
	v_add_f64 v[34:35], v[12:13], v[40:41]
	v_add_f64 v[36:37], v[6:7], v[34:35]
	v_add_f64 v[26:27], v[8:9], v[36:37]
	v_add_f64 v[28:29], v[2:3], v[26:27]
	v_add_f64 v[22:23], v[4:5], v[28:29]
	v_add_f64 v[24:25], v[18:19], v[22:23]
	s_load_dwordx8 s[4:11], s[4:5], 0x48
	s_branch .LBB4972_71
.LBB4972_57:
                                        ; implicit-def: $vgpr24_vgpr25
                                        ; implicit-def: $vgpr28_vgpr29
                                        ; implicit-def: $vgpr36_vgpr37
                                        ; implicit-def: $vgpr40_vgpr41
                                        ; implicit-def: $vgpr32_vgpr33
	s_load_dwordx8 s[4:11], s[4:5], 0x48
	s_cbranch_execz .LBB4972_71
; %bb.58:
	s_waitcnt lgkmcnt(0)
	s_cmp_eq_u64 s[8:9], 0
	v_pk_mov_b32 v[24:25], s[14:15], s[14:15] op_sel:[0,1]
	s_cbranch_scc1 .LBB4972_60
; %bb.59:
	v_mov_b32_e32 v23, s25
	v_add_co_u32_e64 v22, vcc, -8, s24
	v_addc_co_u32_e32 v23, vcc, -1, v23, vcc
	v_mov_b32_e32 v28, 0
	flat_load_dwordx2 v[24:25], v[22:23]
	global_load_dwordx2 v[26:27], v28, s[4:5]
	s_waitcnt vmcnt(0) lgkmcnt(0)
	v_add_f64 v[24:25], v[24:25], v[26:27]
.LBB4972_60:
	v_add_f64 v[22:23], v[12:13], v[42:43]
	v_add_f64 v[22:23], v[6:7], v[22:23]
	v_add_f64 v[22:23], v[8:9], v[22:23]
	v_add_f64 v[22:23], v[2:3], v[22:23]
	v_add_f64 v[22:23], v[4:5], v[22:23]
	v_add_f64 v[22:23], v[18:19], v[22:23]
	v_add_f64 v[20:21], v[20:21], v[22:23]
	v_mbcnt_hi_u32_b32 v1, -1, v1
	v_and_b32_e32 v28, 15, v1
	v_mov_b32_dpp v22, v20 row_shr:1 row_mask:0xf bank_mask:0xf
	v_mov_b32_dpp v23, v21 row_shr:1 row_mask:0xf bank_mask:0xf
	v_add_f64 v[22:23], v[20:21], v[22:23]
	v_cmp_eq_u32_e32 vcc, 0, v28
	v_cndmask_b32_e32 v22, v22, v20, vcc
	v_cndmask_b32_e32 v23, v23, v21, vcc
	v_cmp_lt_u32_e32 vcc, 1, v28
	v_mov_b32_dpp v26, v22 row_shr:2 row_mask:0xf bank_mask:0xf
	v_mov_b32_dpp v27, v23 row_shr:2 row_mask:0xf bank_mask:0xf
	v_add_f64 v[26:27], v[22:23], v[26:27]
	v_cndmask_b32_e32 v22, v22, v26, vcc
	v_cndmask_b32_e32 v23, v23, v27, vcc
	v_cmp_lt_u32_e32 vcc, 3, v28
	v_mov_b32_dpp v26, v22 row_shr:4 row_mask:0xf bank_mask:0xf
	v_mov_b32_dpp v27, v23 row_shr:4 row_mask:0xf bank_mask:0xf
	v_add_f64 v[26:27], v[22:23], v[26:27]
	v_cndmask_b32_e32 v22, v22, v26, vcc
	v_cndmask_b32_e32 v23, v23, v27, vcc
	v_cmp_lt_u32_e32 vcc, 7, v28
	v_mov_b32_dpp v26, v22 row_shr:8 row_mask:0xf bank_mask:0xf
	v_mov_b32_dpp v27, v23 row_shr:8 row_mask:0xf bank_mask:0xf
	v_add_f64 v[26:27], v[22:23], v[26:27]
	v_cndmask_b32_e32 v22, v22, v26, vcc
	v_cndmask_b32_e32 v23, v23, v27, vcc
	v_and_b32_e32 v30, 16, v1
	v_mov_b32_dpp v26, v22 row_bcast:15 row_mask:0xf bank_mask:0xf
	v_mov_b32_dpp v27, v23 row_bcast:15 row_mask:0xf bank_mask:0xf
	v_add_f64 v[28:29], v[22:23], v[26:27]
	v_cmp_eq_u32_e64 s[0:1], 0, v30
	v_cndmask_b32_e64 v27, v29, v23, s[0:1]
	v_cndmask_b32_e64 v26, v28, v22, s[0:1]
	v_cmp_eq_u32_e32 vcc, 0, v1
	v_mov_b32_dpp v27, v27 row_bcast:31 row_mask:0xf bank_mask:0xf
	v_mov_b32_dpp v26, v26 row_bcast:31 row_mask:0xf bank_mask:0xf
	v_cmp_ne_u32_e64 s[2:3], 0, v1
	s_and_saveexec_b64 s[4:5], s[2:3]
; %bb.61:
	v_cndmask_b32_e64 v21, v29, v23, s[0:1]
	v_cndmask_b32_e64 v20, v28, v22, s[0:1]
	v_add_f64 v[22:23], v[20:21], v[26:27]
	v_cmp_lt_u32_e64 s[0:1], 31, v1
	v_cndmask_b32_e64 v21, v21, v23, s[0:1]
	v_cndmask_b32_e64 v20, v20, v22, s[0:1]
; %bb.62:
	s_or_b64 exec, exec, s[4:5]
	v_or_b32_e32 v22, 63, v0
	v_lshrrev_b32_e32 v26, 6, v0
	v_cmp_eq_u32_e64 s[0:1], v22, v0
	s_and_saveexec_b64 s[2:3], s[0:1]
	s_cbranch_execz .LBB4972_64
; %bb.63:
	v_lshlrev_b32_e32 v22, 3, v26
	ds_write_b64 v22, v[20:21]
.LBB4972_64:
	s_or_b64 exec, exec, s[2:3]
	v_cmp_gt_u32_e64 s[0:1], 2, v0
	s_waitcnt lgkmcnt(0)
	s_barrier
	s_and_saveexec_b64 s[2:3], s[0:1]
	s_cbranch_execz .LBB4972_66
; %bb.65:
	s_movk_i32 s0, 0xffb8
	v_mad_i32_i24 v27, v0, s0, v45
	ds_read_b64 v[22:23], v27
	v_and_b32_e32 v30, 1, v1
	v_cmp_eq_u32_e64 s[0:1], 0, v30
	s_waitcnt lgkmcnt(0)
	v_mov_b32_dpp v28, v22 row_shr:1 row_mask:0xf bank_mask:0xf
	v_mov_b32_dpp v29, v23 row_shr:1 row_mask:0xf bank_mask:0xf
	v_add_f64 v[28:29], v[22:23], v[28:29]
	v_cndmask_b32_e64 v23, v29, v23, s[0:1]
	v_cndmask_b32_e64 v22, v28, v22, s[0:1]
	ds_write_b64 v27, v[22:23]
.LBB4972_66:
	s_or_b64 exec, exec, s[2:3]
	v_cmp_lt_u32_e64 s[0:1], 63, v0
	v_pk_mov_b32 v[22:23], v[24:25], v[24:25] op_sel:[0,1]
	s_waitcnt lgkmcnt(0)
	s_barrier
	s_and_saveexec_b64 s[2:3], s[0:1]
	s_cbranch_execz .LBB4972_68
; %bb.67:
	v_lshl_add_u32 v22, v26, 3, -8
	ds_read_b64 v[22:23], v22
	s_waitcnt lgkmcnt(0)
	v_add_f64 v[22:23], v[24:25], v[22:23]
.LBB4972_68:
	s_or_b64 exec, exec, s[2:3]
	v_add_u32_e32 v26, -1, v1
	v_and_b32_e32 v27, 64, v1
	v_cmp_lt_i32_e64 s[0:1], v26, v27
	v_cndmask_b32_e64 v1, v26, v1, s[0:1]
	v_add_f64 v[20:21], v[20:21], v[22:23]
	v_lshlrev_b32_e32 v1, 2, v1
	ds_bpermute_b32 v20, v1, v20
	ds_bpermute_b32 v1, v1, v21
	s_waitcnt lgkmcnt(1)
	v_cndmask_b32_e32 v20, v20, v22, vcc
	s_waitcnt lgkmcnt(0)
	v_cndmask_b32_e32 v1, v1, v23, vcc
	v_cmp_eq_u32_e32 vcc, 0, v0
	v_cndmask_b32_e32 v31, v1, v25, vcc
	v_cndmask_b32_e32 v30, v20, v24, vcc
	v_add_f64 v[32:33], v[14:15], v[30:31]
	v_add_f64 v[38:39], v[16:17], v[32:33]
	;; [unrolled: 1-line block ×8, first 2 shown]
	s_and_saveexec_b64 s[0:1], vcc
	s_cbranch_execz .LBB4972_70
; %bb.69:
	v_mov_b32_e32 v5, 0
	ds_read_b64 v[2:3], v5 offset:8
	s_add_u32 s2, s18, 0x400
	s_addc_u32 s3, s19, 0
	v_mov_b32_e32 v4, 2
	v_pk_mov_b32 v[6:7], s[2:3], s[2:3] op_sel:[0,1]
	s_waitcnt lgkmcnt(0)
	v_add_f64 v[2:3], v[24:25], v[2:3]
	;;#ASMSTART
	global_store_dwordx4 v[6:7], v[2:5] off	
s_waitcnt vmcnt(0)
	;;#ASMEND
.LBB4972_70:
	s_or_b64 exec, exec, s[0:1]
	v_add_f64 v[24:25], v[18:19], v[22:23]
.LBB4972_71:
	s_mov_b64 s[0:1], -1
	s_and_b64 vcc, exec, s[16:17]
	s_waitcnt lgkmcnt(0)
	s_barrier
	ds_write_b128 v45, v[30:33]
	ds_write_b128 v45, v[38:41] offset:16
	ds_write_b128 v45, v[34:37] offset:32
	;; [unrolled: 1-line block ×4, first 2 shown]
	s_waitcnt lgkmcnt(0)
	s_cbranch_vccz .LBB4972_73
; %bb.72:
	s_barrier
	s_mov_b64 s[0:1], 0
.LBB4972_73:
	s_andn2_b64 vcc, exec, s[0:1]
	s_cbranch_vccnz .LBB4972_109
; %bb.74:
	v_cmp_lt_u64_e64 s[0:1], s[10:11], 2
	s_and_b64 vcc, exec, s[0:1]
	s_barrier
	s_cbranch_vccnz .LBB4972_109
; %bb.75:
	s_add_u32 s0, s22, -1
	s_addc_u32 s1, s23, -1
	s_add_u32 s2, 0, 0x99986000
	s_addc_u32 s3, 0, 0x59
	s_add_i32 s3, s3, 0x19999940
	s_mul_hi_u32 s9, s2, -10
	s_sub_i32 s9, s9, s2
	s_mul_i32 s10, s3, -10
	s_mul_i32 s4, s2, -10
	s_add_i32 s9, s9, s10
	s_mul_hi_u32 s5, s3, s4
	s_mul_i32 s8, s3, s4
	s_mul_i32 s11, s2, s9
	s_mul_hi_u32 s4, s2, s4
	s_mul_hi_u32 s10, s2, s9
	s_add_u32 s4, s4, s11
	s_addc_u32 s10, 0, s10
	s_add_u32 s4, s4, s8
	s_mul_hi_u32 s11, s3, s9
	s_addc_u32 s4, s10, s5
	s_addc_u32 s5, s11, 0
	s_mul_i32 s8, s3, s9
	s_add_u32 s4, s4, s8
	v_mov_b32_e32 v2, s4
	s_addc_u32 s5, 0, s5
	v_add_co_u32_e32 v2, vcc, s2, v2
	s_cmp_lg_u64 vcc, 0
	s_addc_u32 s2, s3, s5
	v_readfirstlane_b32 s5, v2
	s_mul_i32 s4, s0, s2
	s_mul_hi_u32 s8, s0, s5
	s_mul_hi_u32 s3, s0, s2
	s_add_u32 s4, s8, s4
	s_addc_u32 s3, 0, s3
	s_mul_hi_u32 s9, s1, s5
	s_mul_i32 s5, s1, s5
	s_add_u32 s4, s4, s5
	s_mul_hi_u32 s8, s1, s2
	s_addc_u32 s3, s3, s9
	s_addc_u32 s4, s8, 0
	s_mul_i32 s2, s1, s2
	s_add_u32 s2, s3, s2
	s_addc_u32 s3, 0, s4
	s_add_u32 s4, s2, 1
	s_addc_u32 s5, s3, 0
	s_add_u32 s8, s2, 2
	s_mul_i32 s10, s3, 10
	s_mul_hi_u32 s11, s2, 10
	s_addc_u32 s9, s3, 0
	s_add_i32 s11, s11, s10
	s_mul_i32 s10, s2, 10
	v_mov_b32_e32 v2, s10
	v_sub_co_u32_e32 v2, vcc, s0, v2
	s_cmp_lg_u64 vcc, 0
	s_subb_u32 s10, s1, s11
	v_subrev_co_u32_e32 v3, vcc, 10, v2
	s_cmp_lg_u64 vcc, 0
	s_subb_u32 s11, s10, 0
	v_readfirstlane_b32 s12, v3
	s_cmp_gt_u32 s12, 9
	s_cselect_b32 s12, -1, 0
	s_cmp_eq_u32 s11, 0
	s_cselect_b32 s11, s12, -1
	s_cmp_lg_u32 s11, 0
	s_cselect_b32 s4, s8, s4
	v_readfirstlane_b32 s8, v2
	s_cselect_b32 s5, s9, s5
	s_cmp_gt_u32 s8, 9
	s_cselect_b32 s8, -1, 0
	s_cmp_eq_u32 s10, 0
	s_cselect_b32 s8, s8, -1
	s_cmp_lg_u32 s8, 0
	v_mov_b32_e32 v1, 0
	s_cselect_b32 s3, s5, s3
	s_cselect_b32 s2, s4, s2
	v_cmp_eq_u64_e32 vcc, s[2:3], v[0:1]
	s_and_saveexec_b64 s[2:3], vcc
	s_cbranch_execz .LBB4972_109
; %bb.76:
	s_movk_i32 s2, 0xffb8
	v_mad_i32_i24 v2, v0, s2, v45
	v_mul_hi_u32_u24_e32 v1, 10, v0
	v_mov_b32_e32 v3, s1
	v_sub_co_u32_e32 v0, vcc, s0, v44
	v_subb_co_u32_e32 v1, vcc, v3, v1, vcc
	v_cmp_lt_i64_e32 vcc, 4, v[0:1]
	s_and_saveexec_b64 s[0:1], vcc
	s_xor_b64 s[0:1], exec, s[0:1]
	s_cbranch_execz .LBB4972_94
; %bb.77:
	v_cmp_lt_i64_e32 vcc, 6, v[0:1]
	s_and_saveexec_b64 s[2:3], vcc
	s_xor_b64 s[2:3], exec, s[2:3]
	s_cbranch_execz .LBB4972_87
; %bb.78:
	;; [unrolled: 5-line block ×4, first 2 shown]
	ds_read_b64 v[0:1], v2 offset:9216
	v_mov_b32_e32 v2, 0
	s_waitcnt lgkmcnt(0)
	global_store_dwordx2 v2, v[0:1], s[6:7]
                                        ; implicit-def: $vgpr2
.LBB4972_81:
	s_andn2_saveexec_b64 s[8:9], s[8:9]
	s_cbranch_execz .LBB4972_83
; %bb.82:
	ds_read_b64 v[0:1], v2 offset:8192
	v_mov_b32_e32 v2, 0
	s_waitcnt lgkmcnt(0)
	global_store_dwordx2 v2, v[0:1], s[6:7]
.LBB4972_83:
	s_or_b64 exec, exec, s[8:9]
                                        ; implicit-def: $vgpr2
.LBB4972_84:
	s_andn2_saveexec_b64 s[4:5], s[4:5]
	s_cbranch_execz .LBB4972_86
; %bb.85:
	ds_read_b64 v[0:1], v2 offset:7168
	v_mov_b32_e32 v2, 0
	s_waitcnt lgkmcnt(0)
	global_store_dwordx2 v2, v[0:1], s[6:7]
.LBB4972_86:
	s_or_b64 exec, exec, s[4:5]
                                        ; implicit-def: $vgpr2
                                        ; implicit-def: $vgpr0_vgpr1
.LBB4972_87:
	s_andn2_saveexec_b64 s[2:3], s[2:3]
	s_cbranch_execz .LBB4972_93
; %bb.88:
	v_cmp_lt_i64_e32 vcc, 5, v[0:1]
	s_and_saveexec_b64 s[4:5], vcc
	s_xor_b64 s[4:5], exec, s[4:5]
	s_cbranch_execz .LBB4972_90
; %bb.89:
	ds_read_b64 v[0:1], v2 offset:6144
	v_mov_b32_e32 v2, 0
	s_waitcnt lgkmcnt(0)
	global_store_dwordx2 v2, v[0:1], s[6:7]
                                        ; implicit-def: $vgpr2
.LBB4972_90:
	s_andn2_saveexec_b64 s[4:5], s[4:5]
	s_cbranch_execz .LBB4972_92
; %bb.91:
	ds_read_b64 v[0:1], v2 offset:5120
	v_mov_b32_e32 v2, 0
	s_waitcnt lgkmcnt(0)
	global_store_dwordx2 v2, v[0:1], s[6:7]
.LBB4972_92:
	s_or_b64 exec, exec, s[4:5]
.LBB4972_93:
	s_or_b64 exec, exec, s[2:3]
                                        ; implicit-def: $vgpr0_vgpr1
                                        ; implicit-def: $vgpr2
.LBB4972_94:
	s_andn2_saveexec_b64 s[0:1], s[0:1]
	s_cbranch_execz .LBB4972_109
; %bb.95:
	v_cmp_lt_i64_e32 vcc, 2, v[0:1]
	s_and_saveexec_b64 s[0:1], vcc
	s_xor_b64 s[0:1], exec, s[0:1]
	s_cbranch_execz .LBB4972_101
; %bb.96:
	v_cmp_lt_i64_e32 vcc, 3, v[0:1]
	s_and_saveexec_b64 s[2:3], vcc
	s_xor_b64 s[2:3], exec, s[2:3]
	s_cbranch_execz .LBB4972_98
; %bb.97:
	ds_read_b64 v[0:1], v2 offset:4096
	v_mov_b32_e32 v2, 0
	s_waitcnt lgkmcnt(0)
	global_store_dwordx2 v2, v[0:1], s[6:7]
                                        ; implicit-def: $vgpr2
.LBB4972_98:
	s_andn2_saveexec_b64 s[2:3], s[2:3]
	s_cbranch_execz .LBB4972_100
; %bb.99:
	ds_read_b64 v[0:1], v2 offset:3072
	v_mov_b32_e32 v2, 0
	s_waitcnt lgkmcnt(0)
	global_store_dwordx2 v2, v[0:1], s[6:7]
.LBB4972_100:
	s_or_b64 exec, exec, s[2:3]
                                        ; implicit-def: $vgpr0_vgpr1
                                        ; implicit-def: $vgpr2
.LBB4972_101:
	s_andn2_saveexec_b64 s[0:1], s[0:1]
	s_cbranch_execz .LBB4972_109
; %bb.102:
	v_cmp_lt_i64_e32 vcc, 1, v[0:1]
	s_and_saveexec_b64 s[0:1], vcc
	s_xor_b64 s[0:1], exec, s[0:1]
	s_cbranch_execz .LBB4972_104
; %bb.103:
	ds_read_b64 v[0:1], v2 offset:2048
	v_mov_b32_e32 v2, 0
	s_waitcnt lgkmcnt(0)
	global_store_dwordx2 v2, v[0:1], s[6:7]
                                        ; implicit-def: $vgpr2
                                        ; implicit-def: $vgpr0_vgpr1
.LBB4972_104:
	s_andn2_saveexec_b64 s[0:1], s[0:1]
	s_cbranch_execz .LBB4972_109
; %bb.105:
	v_cmp_ne_u64_e32 vcc, 1, v[0:1]
	s_and_saveexec_b64 s[0:1], vcc
	s_xor_b64 s[0:1], exec, s[0:1]
	s_cbranch_execz .LBB4972_107
; %bb.106:
	ds_read_b64 v[0:1], v2
	v_mov_b32_e32 v2, 0
	s_waitcnt lgkmcnt(0)
	global_store_dwordx2 v2, v[0:1], s[6:7]
                                        ; implicit-def: $vgpr2
.LBB4972_107:
	s_andn2_saveexec_b64 s[0:1], s[0:1]
	s_cbranch_execz .LBB4972_109
; %bb.108:
	ds_read_b64 v[0:1], v2 offset:1024
	v_mov_b32_e32 v2, 0
	s_waitcnt lgkmcnt(0)
	global_store_dwordx2 v2, v[0:1], s[6:7]
.LBB4972_109:
	s_endpgm
	.section	.rodata,"a",@progbits
	.p2align	6, 0x0
	.amdhsa_kernel _ZN7rocprim17ROCPRIM_400000_NS6detail17trampoline_kernelINS0_14default_configENS1_20scan_config_selectorIdEEZZNS1_9scan_implILNS1_25lookback_scan_determinismE0ELb1ELb1ES3_N6thrust23THRUST_200600_302600_NS6detail15normal_iteratorINS9_10device_ptrIdEEEENS9_16discard_iteratorINS9_11use_defaultEEEdNS9_4plusIvEEdEEDaPvRmT3_T4_T5_mT6_P12ihipStream_tbENKUlT_T0_E_clISt17integral_constantIbLb1EESW_IbLb0EEEEDaSS_ST_EUlSS_E_NS1_11comp_targetILNS1_3genE4ELNS1_11target_archE910ELNS1_3gpuE8ELNS1_3repE0EEENS1_30default_config_static_selectorELNS0_4arch9wavefront6targetE1EEEvT1_
		.amdhsa_group_segment_fixed_size 10240
		.amdhsa_private_segment_fixed_size 0
		.amdhsa_kernarg_size 112
		.amdhsa_user_sgpr_count 6
		.amdhsa_user_sgpr_private_segment_buffer 1
		.amdhsa_user_sgpr_dispatch_ptr 0
		.amdhsa_user_sgpr_queue_ptr 0
		.amdhsa_user_sgpr_kernarg_segment_ptr 1
		.amdhsa_user_sgpr_dispatch_id 0
		.amdhsa_user_sgpr_flat_scratch_init 0
		.amdhsa_user_sgpr_kernarg_preload_length 0
		.amdhsa_user_sgpr_kernarg_preload_offset 0
		.amdhsa_user_sgpr_private_segment_size 0
		.amdhsa_uses_dynamic_stack 0
		.amdhsa_system_sgpr_private_segment_wavefront_offset 0
		.amdhsa_system_sgpr_workgroup_id_x 1
		.amdhsa_system_sgpr_workgroup_id_y 0
		.amdhsa_system_sgpr_workgroup_id_z 0
		.amdhsa_system_sgpr_workgroup_info 0
		.amdhsa_system_vgpr_workitem_id 0
		.amdhsa_next_free_vgpr 68
		.amdhsa_next_free_sgpr 26
		.amdhsa_accum_offset 68
		.amdhsa_reserve_vcc 1
		.amdhsa_reserve_flat_scratch 0
		.amdhsa_float_round_mode_32 0
		.amdhsa_float_round_mode_16_64 0
		.amdhsa_float_denorm_mode_32 3
		.amdhsa_float_denorm_mode_16_64 3
		.amdhsa_dx10_clamp 1
		.amdhsa_ieee_mode 1
		.amdhsa_fp16_overflow 0
		.amdhsa_tg_split 0
		.amdhsa_exception_fp_ieee_invalid_op 0
		.amdhsa_exception_fp_denorm_src 0
		.amdhsa_exception_fp_ieee_div_zero 0
		.amdhsa_exception_fp_ieee_overflow 0
		.amdhsa_exception_fp_ieee_underflow 0
		.amdhsa_exception_fp_ieee_inexact 0
		.amdhsa_exception_int_div_zero 0
	.end_amdhsa_kernel
	.section	.text._ZN7rocprim17ROCPRIM_400000_NS6detail17trampoline_kernelINS0_14default_configENS1_20scan_config_selectorIdEEZZNS1_9scan_implILNS1_25lookback_scan_determinismE0ELb1ELb1ES3_N6thrust23THRUST_200600_302600_NS6detail15normal_iteratorINS9_10device_ptrIdEEEENS9_16discard_iteratorINS9_11use_defaultEEEdNS9_4plusIvEEdEEDaPvRmT3_T4_T5_mT6_P12ihipStream_tbENKUlT_T0_E_clISt17integral_constantIbLb1EESW_IbLb0EEEEDaSS_ST_EUlSS_E_NS1_11comp_targetILNS1_3genE4ELNS1_11target_archE910ELNS1_3gpuE8ELNS1_3repE0EEENS1_30default_config_static_selectorELNS0_4arch9wavefront6targetE1EEEvT1_,"axG",@progbits,_ZN7rocprim17ROCPRIM_400000_NS6detail17trampoline_kernelINS0_14default_configENS1_20scan_config_selectorIdEEZZNS1_9scan_implILNS1_25lookback_scan_determinismE0ELb1ELb1ES3_N6thrust23THRUST_200600_302600_NS6detail15normal_iteratorINS9_10device_ptrIdEEEENS9_16discard_iteratorINS9_11use_defaultEEEdNS9_4plusIvEEdEEDaPvRmT3_T4_T5_mT6_P12ihipStream_tbENKUlT_T0_E_clISt17integral_constantIbLb1EESW_IbLb0EEEEDaSS_ST_EUlSS_E_NS1_11comp_targetILNS1_3genE4ELNS1_11target_archE910ELNS1_3gpuE8ELNS1_3repE0EEENS1_30default_config_static_selectorELNS0_4arch9wavefront6targetE1EEEvT1_,comdat
.Lfunc_end4972:
	.size	_ZN7rocprim17ROCPRIM_400000_NS6detail17trampoline_kernelINS0_14default_configENS1_20scan_config_selectorIdEEZZNS1_9scan_implILNS1_25lookback_scan_determinismE0ELb1ELb1ES3_N6thrust23THRUST_200600_302600_NS6detail15normal_iteratorINS9_10device_ptrIdEEEENS9_16discard_iteratorINS9_11use_defaultEEEdNS9_4plusIvEEdEEDaPvRmT3_T4_T5_mT6_P12ihipStream_tbENKUlT_T0_E_clISt17integral_constantIbLb1EESW_IbLb0EEEEDaSS_ST_EUlSS_E_NS1_11comp_targetILNS1_3genE4ELNS1_11target_archE910ELNS1_3gpuE8ELNS1_3repE0EEENS1_30default_config_static_selectorELNS0_4arch9wavefront6targetE1EEEvT1_, .Lfunc_end4972-_ZN7rocprim17ROCPRIM_400000_NS6detail17trampoline_kernelINS0_14default_configENS1_20scan_config_selectorIdEEZZNS1_9scan_implILNS1_25lookback_scan_determinismE0ELb1ELb1ES3_N6thrust23THRUST_200600_302600_NS6detail15normal_iteratorINS9_10device_ptrIdEEEENS9_16discard_iteratorINS9_11use_defaultEEEdNS9_4plusIvEEdEEDaPvRmT3_T4_T5_mT6_P12ihipStream_tbENKUlT_T0_E_clISt17integral_constantIbLb1EESW_IbLb0EEEEDaSS_ST_EUlSS_E_NS1_11comp_targetILNS1_3genE4ELNS1_11target_archE910ELNS1_3gpuE8ELNS1_3repE0EEENS1_30default_config_static_selectorELNS0_4arch9wavefront6targetE1EEEvT1_
                                        ; -- End function
	.section	.AMDGPU.csdata,"",@progbits
; Kernel info:
; codeLenInByte = 5472
; NumSgprs: 30
; NumVgprs: 68
; NumAgprs: 0
; TotalNumVgprs: 68
; ScratchSize: 0
; MemoryBound: 0
; FloatMode: 240
; IeeeMode: 1
; LDSByteSize: 10240 bytes/workgroup (compile time only)
; SGPRBlocks: 3
; VGPRBlocks: 8
; NumSGPRsForWavesPerEU: 30
; NumVGPRsForWavesPerEU: 68
; AccumOffset: 68
; Occupancy: 3
; WaveLimiterHint : 1
; COMPUTE_PGM_RSRC2:SCRATCH_EN: 0
; COMPUTE_PGM_RSRC2:USER_SGPR: 6
; COMPUTE_PGM_RSRC2:TRAP_HANDLER: 0
; COMPUTE_PGM_RSRC2:TGID_X_EN: 1
; COMPUTE_PGM_RSRC2:TGID_Y_EN: 0
; COMPUTE_PGM_RSRC2:TGID_Z_EN: 0
; COMPUTE_PGM_RSRC2:TIDIG_COMP_CNT: 0
; COMPUTE_PGM_RSRC3_GFX90A:ACCUM_OFFSET: 16
; COMPUTE_PGM_RSRC3_GFX90A:TG_SPLIT: 0
	.section	.text._ZN7rocprim17ROCPRIM_400000_NS6detail17trampoline_kernelINS0_14default_configENS1_20scan_config_selectorIdEEZZNS1_9scan_implILNS1_25lookback_scan_determinismE0ELb1ELb1ES3_N6thrust23THRUST_200600_302600_NS6detail15normal_iteratorINS9_10device_ptrIdEEEENS9_16discard_iteratorINS9_11use_defaultEEEdNS9_4plusIvEEdEEDaPvRmT3_T4_T5_mT6_P12ihipStream_tbENKUlT_T0_E_clISt17integral_constantIbLb1EESW_IbLb0EEEEDaSS_ST_EUlSS_E_NS1_11comp_targetILNS1_3genE3ELNS1_11target_archE908ELNS1_3gpuE7ELNS1_3repE0EEENS1_30default_config_static_selectorELNS0_4arch9wavefront6targetE1EEEvT1_,"axG",@progbits,_ZN7rocprim17ROCPRIM_400000_NS6detail17trampoline_kernelINS0_14default_configENS1_20scan_config_selectorIdEEZZNS1_9scan_implILNS1_25lookback_scan_determinismE0ELb1ELb1ES3_N6thrust23THRUST_200600_302600_NS6detail15normal_iteratorINS9_10device_ptrIdEEEENS9_16discard_iteratorINS9_11use_defaultEEEdNS9_4plusIvEEdEEDaPvRmT3_T4_T5_mT6_P12ihipStream_tbENKUlT_T0_E_clISt17integral_constantIbLb1EESW_IbLb0EEEEDaSS_ST_EUlSS_E_NS1_11comp_targetILNS1_3genE3ELNS1_11target_archE908ELNS1_3gpuE7ELNS1_3repE0EEENS1_30default_config_static_selectorELNS0_4arch9wavefront6targetE1EEEvT1_,comdat
	.protected	_ZN7rocprim17ROCPRIM_400000_NS6detail17trampoline_kernelINS0_14default_configENS1_20scan_config_selectorIdEEZZNS1_9scan_implILNS1_25lookback_scan_determinismE0ELb1ELb1ES3_N6thrust23THRUST_200600_302600_NS6detail15normal_iteratorINS9_10device_ptrIdEEEENS9_16discard_iteratorINS9_11use_defaultEEEdNS9_4plusIvEEdEEDaPvRmT3_T4_T5_mT6_P12ihipStream_tbENKUlT_T0_E_clISt17integral_constantIbLb1EESW_IbLb0EEEEDaSS_ST_EUlSS_E_NS1_11comp_targetILNS1_3genE3ELNS1_11target_archE908ELNS1_3gpuE7ELNS1_3repE0EEENS1_30default_config_static_selectorELNS0_4arch9wavefront6targetE1EEEvT1_ ; -- Begin function _ZN7rocprim17ROCPRIM_400000_NS6detail17trampoline_kernelINS0_14default_configENS1_20scan_config_selectorIdEEZZNS1_9scan_implILNS1_25lookback_scan_determinismE0ELb1ELb1ES3_N6thrust23THRUST_200600_302600_NS6detail15normal_iteratorINS9_10device_ptrIdEEEENS9_16discard_iteratorINS9_11use_defaultEEEdNS9_4plusIvEEdEEDaPvRmT3_T4_T5_mT6_P12ihipStream_tbENKUlT_T0_E_clISt17integral_constantIbLb1EESW_IbLb0EEEEDaSS_ST_EUlSS_E_NS1_11comp_targetILNS1_3genE3ELNS1_11target_archE908ELNS1_3gpuE7ELNS1_3repE0EEENS1_30default_config_static_selectorELNS0_4arch9wavefront6targetE1EEEvT1_
	.globl	_ZN7rocprim17ROCPRIM_400000_NS6detail17trampoline_kernelINS0_14default_configENS1_20scan_config_selectorIdEEZZNS1_9scan_implILNS1_25lookback_scan_determinismE0ELb1ELb1ES3_N6thrust23THRUST_200600_302600_NS6detail15normal_iteratorINS9_10device_ptrIdEEEENS9_16discard_iteratorINS9_11use_defaultEEEdNS9_4plusIvEEdEEDaPvRmT3_T4_T5_mT6_P12ihipStream_tbENKUlT_T0_E_clISt17integral_constantIbLb1EESW_IbLb0EEEEDaSS_ST_EUlSS_E_NS1_11comp_targetILNS1_3genE3ELNS1_11target_archE908ELNS1_3gpuE7ELNS1_3repE0EEENS1_30default_config_static_selectorELNS0_4arch9wavefront6targetE1EEEvT1_
	.p2align	8
	.type	_ZN7rocprim17ROCPRIM_400000_NS6detail17trampoline_kernelINS0_14default_configENS1_20scan_config_selectorIdEEZZNS1_9scan_implILNS1_25lookback_scan_determinismE0ELb1ELb1ES3_N6thrust23THRUST_200600_302600_NS6detail15normal_iteratorINS9_10device_ptrIdEEEENS9_16discard_iteratorINS9_11use_defaultEEEdNS9_4plusIvEEdEEDaPvRmT3_T4_T5_mT6_P12ihipStream_tbENKUlT_T0_E_clISt17integral_constantIbLb1EESW_IbLb0EEEEDaSS_ST_EUlSS_E_NS1_11comp_targetILNS1_3genE3ELNS1_11target_archE908ELNS1_3gpuE7ELNS1_3repE0EEENS1_30default_config_static_selectorELNS0_4arch9wavefront6targetE1EEEvT1_,@function
_ZN7rocprim17ROCPRIM_400000_NS6detail17trampoline_kernelINS0_14default_configENS1_20scan_config_selectorIdEEZZNS1_9scan_implILNS1_25lookback_scan_determinismE0ELb1ELb1ES3_N6thrust23THRUST_200600_302600_NS6detail15normal_iteratorINS9_10device_ptrIdEEEENS9_16discard_iteratorINS9_11use_defaultEEEdNS9_4plusIvEEdEEDaPvRmT3_T4_T5_mT6_P12ihipStream_tbENKUlT_T0_E_clISt17integral_constantIbLb1EESW_IbLb0EEEEDaSS_ST_EUlSS_E_NS1_11comp_targetILNS1_3genE3ELNS1_11target_archE908ELNS1_3gpuE7ELNS1_3repE0EEENS1_30default_config_static_selectorELNS0_4arch9wavefront6targetE1EEEvT1_: ; @_ZN7rocprim17ROCPRIM_400000_NS6detail17trampoline_kernelINS0_14default_configENS1_20scan_config_selectorIdEEZZNS1_9scan_implILNS1_25lookback_scan_determinismE0ELb1ELb1ES3_N6thrust23THRUST_200600_302600_NS6detail15normal_iteratorINS9_10device_ptrIdEEEENS9_16discard_iteratorINS9_11use_defaultEEEdNS9_4plusIvEEdEEDaPvRmT3_T4_T5_mT6_P12ihipStream_tbENKUlT_T0_E_clISt17integral_constantIbLb1EESW_IbLb0EEEEDaSS_ST_EUlSS_E_NS1_11comp_targetILNS1_3genE3ELNS1_11target_archE908ELNS1_3gpuE7ELNS1_3repE0EEENS1_30default_config_static_selectorELNS0_4arch9wavefront6targetE1EEEvT1_
; %bb.0:
	.section	.rodata,"a",@progbits
	.p2align	6, 0x0
	.amdhsa_kernel _ZN7rocprim17ROCPRIM_400000_NS6detail17trampoline_kernelINS0_14default_configENS1_20scan_config_selectorIdEEZZNS1_9scan_implILNS1_25lookback_scan_determinismE0ELb1ELb1ES3_N6thrust23THRUST_200600_302600_NS6detail15normal_iteratorINS9_10device_ptrIdEEEENS9_16discard_iteratorINS9_11use_defaultEEEdNS9_4plusIvEEdEEDaPvRmT3_T4_T5_mT6_P12ihipStream_tbENKUlT_T0_E_clISt17integral_constantIbLb1EESW_IbLb0EEEEDaSS_ST_EUlSS_E_NS1_11comp_targetILNS1_3genE3ELNS1_11target_archE908ELNS1_3gpuE7ELNS1_3repE0EEENS1_30default_config_static_selectorELNS0_4arch9wavefront6targetE1EEEvT1_
		.amdhsa_group_segment_fixed_size 0
		.amdhsa_private_segment_fixed_size 0
		.amdhsa_kernarg_size 112
		.amdhsa_user_sgpr_count 6
		.amdhsa_user_sgpr_private_segment_buffer 1
		.amdhsa_user_sgpr_dispatch_ptr 0
		.amdhsa_user_sgpr_queue_ptr 0
		.amdhsa_user_sgpr_kernarg_segment_ptr 1
		.amdhsa_user_sgpr_dispatch_id 0
		.amdhsa_user_sgpr_flat_scratch_init 0
		.amdhsa_user_sgpr_kernarg_preload_length 0
		.amdhsa_user_sgpr_kernarg_preload_offset 0
		.amdhsa_user_sgpr_private_segment_size 0
		.amdhsa_uses_dynamic_stack 0
		.amdhsa_system_sgpr_private_segment_wavefront_offset 0
		.amdhsa_system_sgpr_workgroup_id_x 1
		.amdhsa_system_sgpr_workgroup_id_y 0
		.amdhsa_system_sgpr_workgroup_id_z 0
		.amdhsa_system_sgpr_workgroup_info 0
		.amdhsa_system_vgpr_workitem_id 0
		.amdhsa_next_free_vgpr 1
		.amdhsa_next_free_sgpr 0
		.amdhsa_accum_offset 4
		.amdhsa_reserve_vcc 0
		.amdhsa_reserve_flat_scratch 0
		.amdhsa_float_round_mode_32 0
		.amdhsa_float_round_mode_16_64 0
		.amdhsa_float_denorm_mode_32 3
		.amdhsa_float_denorm_mode_16_64 3
		.amdhsa_dx10_clamp 1
		.amdhsa_ieee_mode 1
		.amdhsa_fp16_overflow 0
		.amdhsa_tg_split 0
		.amdhsa_exception_fp_ieee_invalid_op 0
		.amdhsa_exception_fp_denorm_src 0
		.amdhsa_exception_fp_ieee_div_zero 0
		.amdhsa_exception_fp_ieee_overflow 0
		.amdhsa_exception_fp_ieee_underflow 0
		.amdhsa_exception_fp_ieee_inexact 0
		.amdhsa_exception_int_div_zero 0
	.end_amdhsa_kernel
	.section	.text._ZN7rocprim17ROCPRIM_400000_NS6detail17trampoline_kernelINS0_14default_configENS1_20scan_config_selectorIdEEZZNS1_9scan_implILNS1_25lookback_scan_determinismE0ELb1ELb1ES3_N6thrust23THRUST_200600_302600_NS6detail15normal_iteratorINS9_10device_ptrIdEEEENS9_16discard_iteratorINS9_11use_defaultEEEdNS9_4plusIvEEdEEDaPvRmT3_T4_T5_mT6_P12ihipStream_tbENKUlT_T0_E_clISt17integral_constantIbLb1EESW_IbLb0EEEEDaSS_ST_EUlSS_E_NS1_11comp_targetILNS1_3genE3ELNS1_11target_archE908ELNS1_3gpuE7ELNS1_3repE0EEENS1_30default_config_static_selectorELNS0_4arch9wavefront6targetE1EEEvT1_,"axG",@progbits,_ZN7rocprim17ROCPRIM_400000_NS6detail17trampoline_kernelINS0_14default_configENS1_20scan_config_selectorIdEEZZNS1_9scan_implILNS1_25lookback_scan_determinismE0ELb1ELb1ES3_N6thrust23THRUST_200600_302600_NS6detail15normal_iteratorINS9_10device_ptrIdEEEENS9_16discard_iteratorINS9_11use_defaultEEEdNS9_4plusIvEEdEEDaPvRmT3_T4_T5_mT6_P12ihipStream_tbENKUlT_T0_E_clISt17integral_constantIbLb1EESW_IbLb0EEEEDaSS_ST_EUlSS_E_NS1_11comp_targetILNS1_3genE3ELNS1_11target_archE908ELNS1_3gpuE7ELNS1_3repE0EEENS1_30default_config_static_selectorELNS0_4arch9wavefront6targetE1EEEvT1_,comdat
.Lfunc_end4973:
	.size	_ZN7rocprim17ROCPRIM_400000_NS6detail17trampoline_kernelINS0_14default_configENS1_20scan_config_selectorIdEEZZNS1_9scan_implILNS1_25lookback_scan_determinismE0ELb1ELb1ES3_N6thrust23THRUST_200600_302600_NS6detail15normal_iteratorINS9_10device_ptrIdEEEENS9_16discard_iteratorINS9_11use_defaultEEEdNS9_4plusIvEEdEEDaPvRmT3_T4_T5_mT6_P12ihipStream_tbENKUlT_T0_E_clISt17integral_constantIbLb1EESW_IbLb0EEEEDaSS_ST_EUlSS_E_NS1_11comp_targetILNS1_3genE3ELNS1_11target_archE908ELNS1_3gpuE7ELNS1_3repE0EEENS1_30default_config_static_selectorELNS0_4arch9wavefront6targetE1EEEvT1_, .Lfunc_end4973-_ZN7rocprim17ROCPRIM_400000_NS6detail17trampoline_kernelINS0_14default_configENS1_20scan_config_selectorIdEEZZNS1_9scan_implILNS1_25lookback_scan_determinismE0ELb1ELb1ES3_N6thrust23THRUST_200600_302600_NS6detail15normal_iteratorINS9_10device_ptrIdEEEENS9_16discard_iteratorINS9_11use_defaultEEEdNS9_4plusIvEEdEEDaPvRmT3_T4_T5_mT6_P12ihipStream_tbENKUlT_T0_E_clISt17integral_constantIbLb1EESW_IbLb0EEEEDaSS_ST_EUlSS_E_NS1_11comp_targetILNS1_3genE3ELNS1_11target_archE908ELNS1_3gpuE7ELNS1_3repE0EEENS1_30default_config_static_selectorELNS0_4arch9wavefront6targetE1EEEvT1_
                                        ; -- End function
	.section	.AMDGPU.csdata,"",@progbits
; Kernel info:
; codeLenInByte = 0
; NumSgprs: 4
; NumVgprs: 0
; NumAgprs: 0
; TotalNumVgprs: 0
; ScratchSize: 0
; MemoryBound: 0
; FloatMode: 240
; IeeeMode: 1
; LDSByteSize: 0 bytes/workgroup (compile time only)
; SGPRBlocks: 0
; VGPRBlocks: 0
; NumSGPRsForWavesPerEU: 4
; NumVGPRsForWavesPerEU: 1
; AccumOffset: 4
; Occupancy: 8
; WaveLimiterHint : 0
; COMPUTE_PGM_RSRC2:SCRATCH_EN: 0
; COMPUTE_PGM_RSRC2:USER_SGPR: 6
; COMPUTE_PGM_RSRC2:TRAP_HANDLER: 0
; COMPUTE_PGM_RSRC2:TGID_X_EN: 1
; COMPUTE_PGM_RSRC2:TGID_Y_EN: 0
; COMPUTE_PGM_RSRC2:TGID_Z_EN: 0
; COMPUTE_PGM_RSRC2:TIDIG_COMP_CNT: 0
; COMPUTE_PGM_RSRC3_GFX90A:ACCUM_OFFSET: 0
; COMPUTE_PGM_RSRC3_GFX90A:TG_SPLIT: 0
	.section	.text._ZN7rocprim17ROCPRIM_400000_NS6detail17trampoline_kernelINS0_14default_configENS1_20scan_config_selectorIdEEZZNS1_9scan_implILNS1_25lookback_scan_determinismE0ELb1ELb1ES3_N6thrust23THRUST_200600_302600_NS6detail15normal_iteratorINS9_10device_ptrIdEEEENS9_16discard_iteratorINS9_11use_defaultEEEdNS9_4plusIvEEdEEDaPvRmT3_T4_T5_mT6_P12ihipStream_tbENKUlT_T0_E_clISt17integral_constantIbLb1EESW_IbLb0EEEEDaSS_ST_EUlSS_E_NS1_11comp_targetILNS1_3genE2ELNS1_11target_archE906ELNS1_3gpuE6ELNS1_3repE0EEENS1_30default_config_static_selectorELNS0_4arch9wavefront6targetE1EEEvT1_,"axG",@progbits,_ZN7rocprim17ROCPRIM_400000_NS6detail17trampoline_kernelINS0_14default_configENS1_20scan_config_selectorIdEEZZNS1_9scan_implILNS1_25lookback_scan_determinismE0ELb1ELb1ES3_N6thrust23THRUST_200600_302600_NS6detail15normal_iteratorINS9_10device_ptrIdEEEENS9_16discard_iteratorINS9_11use_defaultEEEdNS9_4plusIvEEdEEDaPvRmT3_T4_T5_mT6_P12ihipStream_tbENKUlT_T0_E_clISt17integral_constantIbLb1EESW_IbLb0EEEEDaSS_ST_EUlSS_E_NS1_11comp_targetILNS1_3genE2ELNS1_11target_archE906ELNS1_3gpuE6ELNS1_3repE0EEENS1_30default_config_static_selectorELNS0_4arch9wavefront6targetE1EEEvT1_,comdat
	.protected	_ZN7rocprim17ROCPRIM_400000_NS6detail17trampoline_kernelINS0_14default_configENS1_20scan_config_selectorIdEEZZNS1_9scan_implILNS1_25lookback_scan_determinismE0ELb1ELb1ES3_N6thrust23THRUST_200600_302600_NS6detail15normal_iteratorINS9_10device_ptrIdEEEENS9_16discard_iteratorINS9_11use_defaultEEEdNS9_4plusIvEEdEEDaPvRmT3_T4_T5_mT6_P12ihipStream_tbENKUlT_T0_E_clISt17integral_constantIbLb1EESW_IbLb0EEEEDaSS_ST_EUlSS_E_NS1_11comp_targetILNS1_3genE2ELNS1_11target_archE906ELNS1_3gpuE6ELNS1_3repE0EEENS1_30default_config_static_selectorELNS0_4arch9wavefront6targetE1EEEvT1_ ; -- Begin function _ZN7rocprim17ROCPRIM_400000_NS6detail17trampoline_kernelINS0_14default_configENS1_20scan_config_selectorIdEEZZNS1_9scan_implILNS1_25lookback_scan_determinismE0ELb1ELb1ES3_N6thrust23THRUST_200600_302600_NS6detail15normal_iteratorINS9_10device_ptrIdEEEENS9_16discard_iteratorINS9_11use_defaultEEEdNS9_4plusIvEEdEEDaPvRmT3_T4_T5_mT6_P12ihipStream_tbENKUlT_T0_E_clISt17integral_constantIbLb1EESW_IbLb0EEEEDaSS_ST_EUlSS_E_NS1_11comp_targetILNS1_3genE2ELNS1_11target_archE906ELNS1_3gpuE6ELNS1_3repE0EEENS1_30default_config_static_selectorELNS0_4arch9wavefront6targetE1EEEvT1_
	.globl	_ZN7rocprim17ROCPRIM_400000_NS6detail17trampoline_kernelINS0_14default_configENS1_20scan_config_selectorIdEEZZNS1_9scan_implILNS1_25lookback_scan_determinismE0ELb1ELb1ES3_N6thrust23THRUST_200600_302600_NS6detail15normal_iteratorINS9_10device_ptrIdEEEENS9_16discard_iteratorINS9_11use_defaultEEEdNS9_4plusIvEEdEEDaPvRmT3_T4_T5_mT6_P12ihipStream_tbENKUlT_T0_E_clISt17integral_constantIbLb1EESW_IbLb0EEEEDaSS_ST_EUlSS_E_NS1_11comp_targetILNS1_3genE2ELNS1_11target_archE906ELNS1_3gpuE6ELNS1_3repE0EEENS1_30default_config_static_selectorELNS0_4arch9wavefront6targetE1EEEvT1_
	.p2align	8
	.type	_ZN7rocprim17ROCPRIM_400000_NS6detail17trampoline_kernelINS0_14default_configENS1_20scan_config_selectorIdEEZZNS1_9scan_implILNS1_25lookback_scan_determinismE0ELb1ELb1ES3_N6thrust23THRUST_200600_302600_NS6detail15normal_iteratorINS9_10device_ptrIdEEEENS9_16discard_iteratorINS9_11use_defaultEEEdNS9_4plusIvEEdEEDaPvRmT3_T4_T5_mT6_P12ihipStream_tbENKUlT_T0_E_clISt17integral_constantIbLb1EESW_IbLb0EEEEDaSS_ST_EUlSS_E_NS1_11comp_targetILNS1_3genE2ELNS1_11target_archE906ELNS1_3gpuE6ELNS1_3repE0EEENS1_30default_config_static_selectorELNS0_4arch9wavefront6targetE1EEEvT1_,@function
_ZN7rocprim17ROCPRIM_400000_NS6detail17trampoline_kernelINS0_14default_configENS1_20scan_config_selectorIdEEZZNS1_9scan_implILNS1_25lookback_scan_determinismE0ELb1ELb1ES3_N6thrust23THRUST_200600_302600_NS6detail15normal_iteratorINS9_10device_ptrIdEEEENS9_16discard_iteratorINS9_11use_defaultEEEdNS9_4plusIvEEdEEDaPvRmT3_T4_T5_mT6_P12ihipStream_tbENKUlT_T0_E_clISt17integral_constantIbLb1EESW_IbLb0EEEEDaSS_ST_EUlSS_E_NS1_11comp_targetILNS1_3genE2ELNS1_11target_archE906ELNS1_3gpuE6ELNS1_3repE0EEENS1_30default_config_static_selectorELNS0_4arch9wavefront6targetE1EEEvT1_: ; @_ZN7rocprim17ROCPRIM_400000_NS6detail17trampoline_kernelINS0_14default_configENS1_20scan_config_selectorIdEEZZNS1_9scan_implILNS1_25lookback_scan_determinismE0ELb1ELb1ES3_N6thrust23THRUST_200600_302600_NS6detail15normal_iteratorINS9_10device_ptrIdEEEENS9_16discard_iteratorINS9_11use_defaultEEEdNS9_4plusIvEEdEEDaPvRmT3_T4_T5_mT6_P12ihipStream_tbENKUlT_T0_E_clISt17integral_constantIbLb1EESW_IbLb0EEEEDaSS_ST_EUlSS_E_NS1_11comp_targetILNS1_3genE2ELNS1_11target_archE906ELNS1_3gpuE6ELNS1_3repE0EEENS1_30default_config_static_selectorELNS0_4arch9wavefront6targetE1EEEvT1_
; %bb.0:
	.section	.rodata,"a",@progbits
	.p2align	6, 0x0
	.amdhsa_kernel _ZN7rocprim17ROCPRIM_400000_NS6detail17trampoline_kernelINS0_14default_configENS1_20scan_config_selectorIdEEZZNS1_9scan_implILNS1_25lookback_scan_determinismE0ELb1ELb1ES3_N6thrust23THRUST_200600_302600_NS6detail15normal_iteratorINS9_10device_ptrIdEEEENS9_16discard_iteratorINS9_11use_defaultEEEdNS9_4plusIvEEdEEDaPvRmT3_T4_T5_mT6_P12ihipStream_tbENKUlT_T0_E_clISt17integral_constantIbLb1EESW_IbLb0EEEEDaSS_ST_EUlSS_E_NS1_11comp_targetILNS1_3genE2ELNS1_11target_archE906ELNS1_3gpuE6ELNS1_3repE0EEENS1_30default_config_static_selectorELNS0_4arch9wavefront6targetE1EEEvT1_
		.amdhsa_group_segment_fixed_size 0
		.amdhsa_private_segment_fixed_size 0
		.amdhsa_kernarg_size 112
		.amdhsa_user_sgpr_count 6
		.amdhsa_user_sgpr_private_segment_buffer 1
		.amdhsa_user_sgpr_dispatch_ptr 0
		.amdhsa_user_sgpr_queue_ptr 0
		.amdhsa_user_sgpr_kernarg_segment_ptr 1
		.amdhsa_user_sgpr_dispatch_id 0
		.amdhsa_user_sgpr_flat_scratch_init 0
		.amdhsa_user_sgpr_kernarg_preload_length 0
		.amdhsa_user_sgpr_kernarg_preload_offset 0
		.amdhsa_user_sgpr_private_segment_size 0
		.amdhsa_uses_dynamic_stack 0
		.amdhsa_system_sgpr_private_segment_wavefront_offset 0
		.amdhsa_system_sgpr_workgroup_id_x 1
		.amdhsa_system_sgpr_workgroup_id_y 0
		.amdhsa_system_sgpr_workgroup_id_z 0
		.amdhsa_system_sgpr_workgroup_info 0
		.amdhsa_system_vgpr_workitem_id 0
		.amdhsa_next_free_vgpr 1
		.amdhsa_next_free_sgpr 0
		.amdhsa_accum_offset 4
		.amdhsa_reserve_vcc 0
		.amdhsa_reserve_flat_scratch 0
		.amdhsa_float_round_mode_32 0
		.amdhsa_float_round_mode_16_64 0
		.amdhsa_float_denorm_mode_32 3
		.amdhsa_float_denorm_mode_16_64 3
		.amdhsa_dx10_clamp 1
		.amdhsa_ieee_mode 1
		.amdhsa_fp16_overflow 0
		.amdhsa_tg_split 0
		.amdhsa_exception_fp_ieee_invalid_op 0
		.amdhsa_exception_fp_denorm_src 0
		.amdhsa_exception_fp_ieee_div_zero 0
		.amdhsa_exception_fp_ieee_overflow 0
		.amdhsa_exception_fp_ieee_underflow 0
		.amdhsa_exception_fp_ieee_inexact 0
		.amdhsa_exception_int_div_zero 0
	.end_amdhsa_kernel
	.section	.text._ZN7rocprim17ROCPRIM_400000_NS6detail17trampoline_kernelINS0_14default_configENS1_20scan_config_selectorIdEEZZNS1_9scan_implILNS1_25lookback_scan_determinismE0ELb1ELb1ES3_N6thrust23THRUST_200600_302600_NS6detail15normal_iteratorINS9_10device_ptrIdEEEENS9_16discard_iteratorINS9_11use_defaultEEEdNS9_4plusIvEEdEEDaPvRmT3_T4_T5_mT6_P12ihipStream_tbENKUlT_T0_E_clISt17integral_constantIbLb1EESW_IbLb0EEEEDaSS_ST_EUlSS_E_NS1_11comp_targetILNS1_3genE2ELNS1_11target_archE906ELNS1_3gpuE6ELNS1_3repE0EEENS1_30default_config_static_selectorELNS0_4arch9wavefront6targetE1EEEvT1_,"axG",@progbits,_ZN7rocprim17ROCPRIM_400000_NS6detail17trampoline_kernelINS0_14default_configENS1_20scan_config_selectorIdEEZZNS1_9scan_implILNS1_25lookback_scan_determinismE0ELb1ELb1ES3_N6thrust23THRUST_200600_302600_NS6detail15normal_iteratorINS9_10device_ptrIdEEEENS9_16discard_iteratorINS9_11use_defaultEEEdNS9_4plusIvEEdEEDaPvRmT3_T4_T5_mT6_P12ihipStream_tbENKUlT_T0_E_clISt17integral_constantIbLb1EESW_IbLb0EEEEDaSS_ST_EUlSS_E_NS1_11comp_targetILNS1_3genE2ELNS1_11target_archE906ELNS1_3gpuE6ELNS1_3repE0EEENS1_30default_config_static_selectorELNS0_4arch9wavefront6targetE1EEEvT1_,comdat
.Lfunc_end4974:
	.size	_ZN7rocprim17ROCPRIM_400000_NS6detail17trampoline_kernelINS0_14default_configENS1_20scan_config_selectorIdEEZZNS1_9scan_implILNS1_25lookback_scan_determinismE0ELb1ELb1ES3_N6thrust23THRUST_200600_302600_NS6detail15normal_iteratorINS9_10device_ptrIdEEEENS9_16discard_iteratorINS9_11use_defaultEEEdNS9_4plusIvEEdEEDaPvRmT3_T4_T5_mT6_P12ihipStream_tbENKUlT_T0_E_clISt17integral_constantIbLb1EESW_IbLb0EEEEDaSS_ST_EUlSS_E_NS1_11comp_targetILNS1_3genE2ELNS1_11target_archE906ELNS1_3gpuE6ELNS1_3repE0EEENS1_30default_config_static_selectorELNS0_4arch9wavefront6targetE1EEEvT1_, .Lfunc_end4974-_ZN7rocprim17ROCPRIM_400000_NS6detail17trampoline_kernelINS0_14default_configENS1_20scan_config_selectorIdEEZZNS1_9scan_implILNS1_25lookback_scan_determinismE0ELb1ELb1ES3_N6thrust23THRUST_200600_302600_NS6detail15normal_iteratorINS9_10device_ptrIdEEEENS9_16discard_iteratorINS9_11use_defaultEEEdNS9_4plusIvEEdEEDaPvRmT3_T4_T5_mT6_P12ihipStream_tbENKUlT_T0_E_clISt17integral_constantIbLb1EESW_IbLb0EEEEDaSS_ST_EUlSS_E_NS1_11comp_targetILNS1_3genE2ELNS1_11target_archE906ELNS1_3gpuE6ELNS1_3repE0EEENS1_30default_config_static_selectorELNS0_4arch9wavefront6targetE1EEEvT1_
                                        ; -- End function
	.section	.AMDGPU.csdata,"",@progbits
; Kernel info:
; codeLenInByte = 0
; NumSgprs: 4
; NumVgprs: 0
; NumAgprs: 0
; TotalNumVgprs: 0
; ScratchSize: 0
; MemoryBound: 0
; FloatMode: 240
; IeeeMode: 1
; LDSByteSize: 0 bytes/workgroup (compile time only)
; SGPRBlocks: 0
; VGPRBlocks: 0
; NumSGPRsForWavesPerEU: 4
; NumVGPRsForWavesPerEU: 1
; AccumOffset: 4
; Occupancy: 8
; WaveLimiterHint : 0
; COMPUTE_PGM_RSRC2:SCRATCH_EN: 0
; COMPUTE_PGM_RSRC2:USER_SGPR: 6
; COMPUTE_PGM_RSRC2:TRAP_HANDLER: 0
; COMPUTE_PGM_RSRC2:TGID_X_EN: 1
; COMPUTE_PGM_RSRC2:TGID_Y_EN: 0
; COMPUTE_PGM_RSRC2:TGID_Z_EN: 0
; COMPUTE_PGM_RSRC2:TIDIG_COMP_CNT: 0
; COMPUTE_PGM_RSRC3_GFX90A:ACCUM_OFFSET: 0
; COMPUTE_PGM_RSRC3_GFX90A:TG_SPLIT: 0
	.section	.text._ZN7rocprim17ROCPRIM_400000_NS6detail17trampoline_kernelINS0_14default_configENS1_20scan_config_selectorIdEEZZNS1_9scan_implILNS1_25lookback_scan_determinismE0ELb1ELb1ES3_N6thrust23THRUST_200600_302600_NS6detail15normal_iteratorINS9_10device_ptrIdEEEENS9_16discard_iteratorINS9_11use_defaultEEEdNS9_4plusIvEEdEEDaPvRmT3_T4_T5_mT6_P12ihipStream_tbENKUlT_T0_E_clISt17integral_constantIbLb1EESW_IbLb0EEEEDaSS_ST_EUlSS_E_NS1_11comp_targetILNS1_3genE10ELNS1_11target_archE1201ELNS1_3gpuE5ELNS1_3repE0EEENS1_30default_config_static_selectorELNS0_4arch9wavefront6targetE1EEEvT1_,"axG",@progbits,_ZN7rocprim17ROCPRIM_400000_NS6detail17trampoline_kernelINS0_14default_configENS1_20scan_config_selectorIdEEZZNS1_9scan_implILNS1_25lookback_scan_determinismE0ELb1ELb1ES3_N6thrust23THRUST_200600_302600_NS6detail15normal_iteratorINS9_10device_ptrIdEEEENS9_16discard_iteratorINS9_11use_defaultEEEdNS9_4plusIvEEdEEDaPvRmT3_T4_T5_mT6_P12ihipStream_tbENKUlT_T0_E_clISt17integral_constantIbLb1EESW_IbLb0EEEEDaSS_ST_EUlSS_E_NS1_11comp_targetILNS1_3genE10ELNS1_11target_archE1201ELNS1_3gpuE5ELNS1_3repE0EEENS1_30default_config_static_selectorELNS0_4arch9wavefront6targetE1EEEvT1_,comdat
	.protected	_ZN7rocprim17ROCPRIM_400000_NS6detail17trampoline_kernelINS0_14default_configENS1_20scan_config_selectorIdEEZZNS1_9scan_implILNS1_25lookback_scan_determinismE0ELb1ELb1ES3_N6thrust23THRUST_200600_302600_NS6detail15normal_iteratorINS9_10device_ptrIdEEEENS9_16discard_iteratorINS9_11use_defaultEEEdNS9_4plusIvEEdEEDaPvRmT3_T4_T5_mT6_P12ihipStream_tbENKUlT_T0_E_clISt17integral_constantIbLb1EESW_IbLb0EEEEDaSS_ST_EUlSS_E_NS1_11comp_targetILNS1_3genE10ELNS1_11target_archE1201ELNS1_3gpuE5ELNS1_3repE0EEENS1_30default_config_static_selectorELNS0_4arch9wavefront6targetE1EEEvT1_ ; -- Begin function _ZN7rocprim17ROCPRIM_400000_NS6detail17trampoline_kernelINS0_14default_configENS1_20scan_config_selectorIdEEZZNS1_9scan_implILNS1_25lookback_scan_determinismE0ELb1ELb1ES3_N6thrust23THRUST_200600_302600_NS6detail15normal_iteratorINS9_10device_ptrIdEEEENS9_16discard_iteratorINS9_11use_defaultEEEdNS9_4plusIvEEdEEDaPvRmT3_T4_T5_mT6_P12ihipStream_tbENKUlT_T0_E_clISt17integral_constantIbLb1EESW_IbLb0EEEEDaSS_ST_EUlSS_E_NS1_11comp_targetILNS1_3genE10ELNS1_11target_archE1201ELNS1_3gpuE5ELNS1_3repE0EEENS1_30default_config_static_selectorELNS0_4arch9wavefront6targetE1EEEvT1_
	.globl	_ZN7rocprim17ROCPRIM_400000_NS6detail17trampoline_kernelINS0_14default_configENS1_20scan_config_selectorIdEEZZNS1_9scan_implILNS1_25lookback_scan_determinismE0ELb1ELb1ES3_N6thrust23THRUST_200600_302600_NS6detail15normal_iteratorINS9_10device_ptrIdEEEENS9_16discard_iteratorINS9_11use_defaultEEEdNS9_4plusIvEEdEEDaPvRmT3_T4_T5_mT6_P12ihipStream_tbENKUlT_T0_E_clISt17integral_constantIbLb1EESW_IbLb0EEEEDaSS_ST_EUlSS_E_NS1_11comp_targetILNS1_3genE10ELNS1_11target_archE1201ELNS1_3gpuE5ELNS1_3repE0EEENS1_30default_config_static_selectorELNS0_4arch9wavefront6targetE1EEEvT1_
	.p2align	8
	.type	_ZN7rocprim17ROCPRIM_400000_NS6detail17trampoline_kernelINS0_14default_configENS1_20scan_config_selectorIdEEZZNS1_9scan_implILNS1_25lookback_scan_determinismE0ELb1ELb1ES3_N6thrust23THRUST_200600_302600_NS6detail15normal_iteratorINS9_10device_ptrIdEEEENS9_16discard_iteratorINS9_11use_defaultEEEdNS9_4plusIvEEdEEDaPvRmT3_T4_T5_mT6_P12ihipStream_tbENKUlT_T0_E_clISt17integral_constantIbLb1EESW_IbLb0EEEEDaSS_ST_EUlSS_E_NS1_11comp_targetILNS1_3genE10ELNS1_11target_archE1201ELNS1_3gpuE5ELNS1_3repE0EEENS1_30default_config_static_selectorELNS0_4arch9wavefront6targetE1EEEvT1_,@function
_ZN7rocprim17ROCPRIM_400000_NS6detail17trampoline_kernelINS0_14default_configENS1_20scan_config_selectorIdEEZZNS1_9scan_implILNS1_25lookback_scan_determinismE0ELb1ELb1ES3_N6thrust23THRUST_200600_302600_NS6detail15normal_iteratorINS9_10device_ptrIdEEEENS9_16discard_iteratorINS9_11use_defaultEEEdNS9_4plusIvEEdEEDaPvRmT3_T4_T5_mT6_P12ihipStream_tbENKUlT_T0_E_clISt17integral_constantIbLb1EESW_IbLb0EEEEDaSS_ST_EUlSS_E_NS1_11comp_targetILNS1_3genE10ELNS1_11target_archE1201ELNS1_3gpuE5ELNS1_3repE0EEENS1_30default_config_static_selectorELNS0_4arch9wavefront6targetE1EEEvT1_: ; @_ZN7rocprim17ROCPRIM_400000_NS6detail17trampoline_kernelINS0_14default_configENS1_20scan_config_selectorIdEEZZNS1_9scan_implILNS1_25lookback_scan_determinismE0ELb1ELb1ES3_N6thrust23THRUST_200600_302600_NS6detail15normal_iteratorINS9_10device_ptrIdEEEENS9_16discard_iteratorINS9_11use_defaultEEEdNS9_4plusIvEEdEEDaPvRmT3_T4_T5_mT6_P12ihipStream_tbENKUlT_T0_E_clISt17integral_constantIbLb1EESW_IbLb0EEEEDaSS_ST_EUlSS_E_NS1_11comp_targetILNS1_3genE10ELNS1_11target_archE1201ELNS1_3gpuE5ELNS1_3repE0EEENS1_30default_config_static_selectorELNS0_4arch9wavefront6targetE1EEEvT1_
; %bb.0:
	.section	.rodata,"a",@progbits
	.p2align	6, 0x0
	.amdhsa_kernel _ZN7rocprim17ROCPRIM_400000_NS6detail17trampoline_kernelINS0_14default_configENS1_20scan_config_selectorIdEEZZNS1_9scan_implILNS1_25lookback_scan_determinismE0ELb1ELb1ES3_N6thrust23THRUST_200600_302600_NS6detail15normal_iteratorINS9_10device_ptrIdEEEENS9_16discard_iteratorINS9_11use_defaultEEEdNS9_4plusIvEEdEEDaPvRmT3_T4_T5_mT6_P12ihipStream_tbENKUlT_T0_E_clISt17integral_constantIbLb1EESW_IbLb0EEEEDaSS_ST_EUlSS_E_NS1_11comp_targetILNS1_3genE10ELNS1_11target_archE1201ELNS1_3gpuE5ELNS1_3repE0EEENS1_30default_config_static_selectorELNS0_4arch9wavefront6targetE1EEEvT1_
		.amdhsa_group_segment_fixed_size 0
		.amdhsa_private_segment_fixed_size 0
		.amdhsa_kernarg_size 112
		.amdhsa_user_sgpr_count 6
		.amdhsa_user_sgpr_private_segment_buffer 1
		.amdhsa_user_sgpr_dispatch_ptr 0
		.amdhsa_user_sgpr_queue_ptr 0
		.amdhsa_user_sgpr_kernarg_segment_ptr 1
		.amdhsa_user_sgpr_dispatch_id 0
		.amdhsa_user_sgpr_flat_scratch_init 0
		.amdhsa_user_sgpr_kernarg_preload_length 0
		.amdhsa_user_sgpr_kernarg_preload_offset 0
		.amdhsa_user_sgpr_private_segment_size 0
		.amdhsa_uses_dynamic_stack 0
		.amdhsa_system_sgpr_private_segment_wavefront_offset 0
		.amdhsa_system_sgpr_workgroup_id_x 1
		.amdhsa_system_sgpr_workgroup_id_y 0
		.amdhsa_system_sgpr_workgroup_id_z 0
		.amdhsa_system_sgpr_workgroup_info 0
		.amdhsa_system_vgpr_workitem_id 0
		.amdhsa_next_free_vgpr 1
		.amdhsa_next_free_sgpr 0
		.amdhsa_accum_offset 4
		.amdhsa_reserve_vcc 0
		.amdhsa_reserve_flat_scratch 0
		.amdhsa_float_round_mode_32 0
		.amdhsa_float_round_mode_16_64 0
		.amdhsa_float_denorm_mode_32 3
		.amdhsa_float_denorm_mode_16_64 3
		.amdhsa_dx10_clamp 1
		.amdhsa_ieee_mode 1
		.amdhsa_fp16_overflow 0
		.amdhsa_tg_split 0
		.amdhsa_exception_fp_ieee_invalid_op 0
		.amdhsa_exception_fp_denorm_src 0
		.amdhsa_exception_fp_ieee_div_zero 0
		.amdhsa_exception_fp_ieee_overflow 0
		.amdhsa_exception_fp_ieee_underflow 0
		.amdhsa_exception_fp_ieee_inexact 0
		.amdhsa_exception_int_div_zero 0
	.end_amdhsa_kernel
	.section	.text._ZN7rocprim17ROCPRIM_400000_NS6detail17trampoline_kernelINS0_14default_configENS1_20scan_config_selectorIdEEZZNS1_9scan_implILNS1_25lookback_scan_determinismE0ELb1ELb1ES3_N6thrust23THRUST_200600_302600_NS6detail15normal_iteratorINS9_10device_ptrIdEEEENS9_16discard_iteratorINS9_11use_defaultEEEdNS9_4plusIvEEdEEDaPvRmT3_T4_T5_mT6_P12ihipStream_tbENKUlT_T0_E_clISt17integral_constantIbLb1EESW_IbLb0EEEEDaSS_ST_EUlSS_E_NS1_11comp_targetILNS1_3genE10ELNS1_11target_archE1201ELNS1_3gpuE5ELNS1_3repE0EEENS1_30default_config_static_selectorELNS0_4arch9wavefront6targetE1EEEvT1_,"axG",@progbits,_ZN7rocprim17ROCPRIM_400000_NS6detail17trampoline_kernelINS0_14default_configENS1_20scan_config_selectorIdEEZZNS1_9scan_implILNS1_25lookback_scan_determinismE0ELb1ELb1ES3_N6thrust23THRUST_200600_302600_NS6detail15normal_iteratorINS9_10device_ptrIdEEEENS9_16discard_iteratorINS9_11use_defaultEEEdNS9_4plusIvEEdEEDaPvRmT3_T4_T5_mT6_P12ihipStream_tbENKUlT_T0_E_clISt17integral_constantIbLb1EESW_IbLb0EEEEDaSS_ST_EUlSS_E_NS1_11comp_targetILNS1_3genE10ELNS1_11target_archE1201ELNS1_3gpuE5ELNS1_3repE0EEENS1_30default_config_static_selectorELNS0_4arch9wavefront6targetE1EEEvT1_,comdat
.Lfunc_end4975:
	.size	_ZN7rocprim17ROCPRIM_400000_NS6detail17trampoline_kernelINS0_14default_configENS1_20scan_config_selectorIdEEZZNS1_9scan_implILNS1_25lookback_scan_determinismE0ELb1ELb1ES3_N6thrust23THRUST_200600_302600_NS6detail15normal_iteratorINS9_10device_ptrIdEEEENS9_16discard_iteratorINS9_11use_defaultEEEdNS9_4plusIvEEdEEDaPvRmT3_T4_T5_mT6_P12ihipStream_tbENKUlT_T0_E_clISt17integral_constantIbLb1EESW_IbLb0EEEEDaSS_ST_EUlSS_E_NS1_11comp_targetILNS1_3genE10ELNS1_11target_archE1201ELNS1_3gpuE5ELNS1_3repE0EEENS1_30default_config_static_selectorELNS0_4arch9wavefront6targetE1EEEvT1_, .Lfunc_end4975-_ZN7rocprim17ROCPRIM_400000_NS6detail17trampoline_kernelINS0_14default_configENS1_20scan_config_selectorIdEEZZNS1_9scan_implILNS1_25lookback_scan_determinismE0ELb1ELb1ES3_N6thrust23THRUST_200600_302600_NS6detail15normal_iteratorINS9_10device_ptrIdEEEENS9_16discard_iteratorINS9_11use_defaultEEEdNS9_4plusIvEEdEEDaPvRmT3_T4_T5_mT6_P12ihipStream_tbENKUlT_T0_E_clISt17integral_constantIbLb1EESW_IbLb0EEEEDaSS_ST_EUlSS_E_NS1_11comp_targetILNS1_3genE10ELNS1_11target_archE1201ELNS1_3gpuE5ELNS1_3repE0EEENS1_30default_config_static_selectorELNS0_4arch9wavefront6targetE1EEEvT1_
                                        ; -- End function
	.section	.AMDGPU.csdata,"",@progbits
; Kernel info:
; codeLenInByte = 0
; NumSgprs: 4
; NumVgprs: 0
; NumAgprs: 0
; TotalNumVgprs: 0
; ScratchSize: 0
; MemoryBound: 0
; FloatMode: 240
; IeeeMode: 1
; LDSByteSize: 0 bytes/workgroup (compile time only)
; SGPRBlocks: 0
; VGPRBlocks: 0
; NumSGPRsForWavesPerEU: 4
; NumVGPRsForWavesPerEU: 1
; AccumOffset: 4
; Occupancy: 8
; WaveLimiterHint : 0
; COMPUTE_PGM_RSRC2:SCRATCH_EN: 0
; COMPUTE_PGM_RSRC2:USER_SGPR: 6
; COMPUTE_PGM_RSRC2:TRAP_HANDLER: 0
; COMPUTE_PGM_RSRC2:TGID_X_EN: 1
; COMPUTE_PGM_RSRC2:TGID_Y_EN: 0
; COMPUTE_PGM_RSRC2:TGID_Z_EN: 0
; COMPUTE_PGM_RSRC2:TIDIG_COMP_CNT: 0
; COMPUTE_PGM_RSRC3_GFX90A:ACCUM_OFFSET: 0
; COMPUTE_PGM_RSRC3_GFX90A:TG_SPLIT: 0
	.section	.text._ZN7rocprim17ROCPRIM_400000_NS6detail17trampoline_kernelINS0_14default_configENS1_20scan_config_selectorIdEEZZNS1_9scan_implILNS1_25lookback_scan_determinismE0ELb1ELb1ES3_N6thrust23THRUST_200600_302600_NS6detail15normal_iteratorINS9_10device_ptrIdEEEENS9_16discard_iteratorINS9_11use_defaultEEEdNS9_4plusIvEEdEEDaPvRmT3_T4_T5_mT6_P12ihipStream_tbENKUlT_T0_E_clISt17integral_constantIbLb1EESW_IbLb0EEEEDaSS_ST_EUlSS_E_NS1_11comp_targetILNS1_3genE10ELNS1_11target_archE1200ELNS1_3gpuE4ELNS1_3repE0EEENS1_30default_config_static_selectorELNS0_4arch9wavefront6targetE1EEEvT1_,"axG",@progbits,_ZN7rocprim17ROCPRIM_400000_NS6detail17trampoline_kernelINS0_14default_configENS1_20scan_config_selectorIdEEZZNS1_9scan_implILNS1_25lookback_scan_determinismE0ELb1ELb1ES3_N6thrust23THRUST_200600_302600_NS6detail15normal_iteratorINS9_10device_ptrIdEEEENS9_16discard_iteratorINS9_11use_defaultEEEdNS9_4plusIvEEdEEDaPvRmT3_T4_T5_mT6_P12ihipStream_tbENKUlT_T0_E_clISt17integral_constantIbLb1EESW_IbLb0EEEEDaSS_ST_EUlSS_E_NS1_11comp_targetILNS1_3genE10ELNS1_11target_archE1200ELNS1_3gpuE4ELNS1_3repE0EEENS1_30default_config_static_selectorELNS0_4arch9wavefront6targetE1EEEvT1_,comdat
	.protected	_ZN7rocprim17ROCPRIM_400000_NS6detail17trampoline_kernelINS0_14default_configENS1_20scan_config_selectorIdEEZZNS1_9scan_implILNS1_25lookback_scan_determinismE0ELb1ELb1ES3_N6thrust23THRUST_200600_302600_NS6detail15normal_iteratorINS9_10device_ptrIdEEEENS9_16discard_iteratorINS9_11use_defaultEEEdNS9_4plusIvEEdEEDaPvRmT3_T4_T5_mT6_P12ihipStream_tbENKUlT_T0_E_clISt17integral_constantIbLb1EESW_IbLb0EEEEDaSS_ST_EUlSS_E_NS1_11comp_targetILNS1_3genE10ELNS1_11target_archE1200ELNS1_3gpuE4ELNS1_3repE0EEENS1_30default_config_static_selectorELNS0_4arch9wavefront6targetE1EEEvT1_ ; -- Begin function _ZN7rocprim17ROCPRIM_400000_NS6detail17trampoline_kernelINS0_14default_configENS1_20scan_config_selectorIdEEZZNS1_9scan_implILNS1_25lookback_scan_determinismE0ELb1ELb1ES3_N6thrust23THRUST_200600_302600_NS6detail15normal_iteratorINS9_10device_ptrIdEEEENS9_16discard_iteratorINS9_11use_defaultEEEdNS9_4plusIvEEdEEDaPvRmT3_T4_T5_mT6_P12ihipStream_tbENKUlT_T0_E_clISt17integral_constantIbLb1EESW_IbLb0EEEEDaSS_ST_EUlSS_E_NS1_11comp_targetILNS1_3genE10ELNS1_11target_archE1200ELNS1_3gpuE4ELNS1_3repE0EEENS1_30default_config_static_selectorELNS0_4arch9wavefront6targetE1EEEvT1_
	.globl	_ZN7rocprim17ROCPRIM_400000_NS6detail17trampoline_kernelINS0_14default_configENS1_20scan_config_selectorIdEEZZNS1_9scan_implILNS1_25lookback_scan_determinismE0ELb1ELb1ES3_N6thrust23THRUST_200600_302600_NS6detail15normal_iteratorINS9_10device_ptrIdEEEENS9_16discard_iteratorINS9_11use_defaultEEEdNS9_4plusIvEEdEEDaPvRmT3_T4_T5_mT6_P12ihipStream_tbENKUlT_T0_E_clISt17integral_constantIbLb1EESW_IbLb0EEEEDaSS_ST_EUlSS_E_NS1_11comp_targetILNS1_3genE10ELNS1_11target_archE1200ELNS1_3gpuE4ELNS1_3repE0EEENS1_30default_config_static_selectorELNS0_4arch9wavefront6targetE1EEEvT1_
	.p2align	8
	.type	_ZN7rocprim17ROCPRIM_400000_NS6detail17trampoline_kernelINS0_14default_configENS1_20scan_config_selectorIdEEZZNS1_9scan_implILNS1_25lookback_scan_determinismE0ELb1ELb1ES3_N6thrust23THRUST_200600_302600_NS6detail15normal_iteratorINS9_10device_ptrIdEEEENS9_16discard_iteratorINS9_11use_defaultEEEdNS9_4plusIvEEdEEDaPvRmT3_T4_T5_mT6_P12ihipStream_tbENKUlT_T0_E_clISt17integral_constantIbLb1EESW_IbLb0EEEEDaSS_ST_EUlSS_E_NS1_11comp_targetILNS1_3genE10ELNS1_11target_archE1200ELNS1_3gpuE4ELNS1_3repE0EEENS1_30default_config_static_selectorELNS0_4arch9wavefront6targetE1EEEvT1_,@function
_ZN7rocprim17ROCPRIM_400000_NS6detail17trampoline_kernelINS0_14default_configENS1_20scan_config_selectorIdEEZZNS1_9scan_implILNS1_25lookback_scan_determinismE0ELb1ELb1ES3_N6thrust23THRUST_200600_302600_NS6detail15normal_iteratorINS9_10device_ptrIdEEEENS9_16discard_iteratorINS9_11use_defaultEEEdNS9_4plusIvEEdEEDaPvRmT3_T4_T5_mT6_P12ihipStream_tbENKUlT_T0_E_clISt17integral_constantIbLb1EESW_IbLb0EEEEDaSS_ST_EUlSS_E_NS1_11comp_targetILNS1_3genE10ELNS1_11target_archE1200ELNS1_3gpuE4ELNS1_3repE0EEENS1_30default_config_static_selectorELNS0_4arch9wavefront6targetE1EEEvT1_: ; @_ZN7rocprim17ROCPRIM_400000_NS6detail17trampoline_kernelINS0_14default_configENS1_20scan_config_selectorIdEEZZNS1_9scan_implILNS1_25lookback_scan_determinismE0ELb1ELb1ES3_N6thrust23THRUST_200600_302600_NS6detail15normal_iteratorINS9_10device_ptrIdEEEENS9_16discard_iteratorINS9_11use_defaultEEEdNS9_4plusIvEEdEEDaPvRmT3_T4_T5_mT6_P12ihipStream_tbENKUlT_T0_E_clISt17integral_constantIbLb1EESW_IbLb0EEEEDaSS_ST_EUlSS_E_NS1_11comp_targetILNS1_3genE10ELNS1_11target_archE1200ELNS1_3gpuE4ELNS1_3repE0EEENS1_30default_config_static_selectorELNS0_4arch9wavefront6targetE1EEEvT1_
; %bb.0:
	.section	.rodata,"a",@progbits
	.p2align	6, 0x0
	.amdhsa_kernel _ZN7rocprim17ROCPRIM_400000_NS6detail17trampoline_kernelINS0_14default_configENS1_20scan_config_selectorIdEEZZNS1_9scan_implILNS1_25lookback_scan_determinismE0ELb1ELb1ES3_N6thrust23THRUST_200600_302600_NS6detail15normal_iteratorINS9_10device_ptrIdEEEENS9_16discard_iteratorINS9_11use_defaultEEEdNS9_4plusIvEEdEEDaPvRmT3_T4_T5_mT6_P12ihipStream_tbENKUlT_T0_E_clISt17integral_constantIbLb1EESW_IbLb0EEEEDaSS_ST_EUlSS_E_NS1_11comp_targetILNS1_3genE10ELNS1_11target_archE1200ELNS1_3gpuE4ELNS1_3repE0EEENS1_30default_config_static_selectorELNS0_4arch9wavefront6targetE1EEEvT1_
		.amdhsa_group_segment_fixed_size 0
		.amdhsa_private_segment_fixed_size 0
		.amdhsa_kernarg_size 112
		.amdhsa_user_sgpr_count 6
		.amdhsa_user_sgpr_private_segment_buffer 1
		.amdhsa_user_sgpr_dispatch_ptr 0
		.amdhsa_user_sgpr_queue_ptr 0
		.amdhsa_user_sgpr_kernarg_segment_ptr 1
		.amdhsa_user_sgpr_dispatch_id 0
		.amdhsa_user_sgpr_flat_scratch_init 0
		.amdhsa_user_sgpr_kernarg_preload_length 0
		.amdhsa_user_sgpr_kernarg_preload_offset 0
		.amdhsa_user_sgpr_private_segment_size 0
		.amdhsa_uses_dynamic_stack 0
		.amdhsa_system_sgpr_private_segment_wavefront_offset 0
		.amdhsa_system_sgpr_workgroup_id_x 1
		.amdhsa_system_sgpr_workgroup_id_y 0
		.amdhsa_system_sgpr_workgroup_id_z 0
		.amdhsa_system_sgpr_workgroup_info 0
		.amdhsa_system_vgpr_workitem_id 0
		.amdhsa_next_free_vgpr 1
		.amdhsa_next_free_sgpr 0
		.amdhsa_accum_offset 4
		.amdhsa_reserve_vcc 0
		.amdhsa_reserve_flat_scratch 0
		.amdhsa_float_round_mode_32 0
		.amdhsa_float_round_mode_16_64 0
		.amdhsa_float_denorm_mode_32 3
		.amdhsa_float_denorm_mode_16_64 3
		.amdhsa_dx10_clamp 1
		.amdhsa_ieee_mode 1
		.amdhsa_fp16_overflow 0
		.amdhsa_tg_split 0
		.amdhsa_exception_fp_ieee_invalid_op 0
		.amdhsa_exception_fp_denorm_src 0
		.amdhsa_exception_fp_ieee_div_zero 0
		.amdhsa_exception_fp_ieee_overflow 0
		.amdhsa_exception_fp_ieee_underflow 0
		.amdhsa_exception_fp_ieee_inexact 0
		.amdhsa_exception_int_div_zero 0
	.end_amdhsa_kernel
	.section	.text._ZN7rocprim17ROCPRIM_400000_NS6detail17trampoline_kernelINS0_14default_configENS1_20scan_config_selectorIdEEZZNS1_9scan_implILNS1_25lookback_scan_determinismE0ELb1ELb1ES3_N6thrust23THRUST_200600_302600_NS6detail15normal_iteratorINS9_10device_ptrIdEEEENS9_16discard_iteratorINS9_11use_defaultEEEdNS9_4plusIvEEdEEDaPvRmT3_T4_T5_mT6_P12ihipStream_tbENKUlT_T0_E_clISt17integral_constantIbLb1EESW_IbLb0EEEEDaSS_ST_EUlSS_E_NS1_11comp_targetILNS1_3genE10ELNS1_11target_archE1200ELNS1_3gpuE4ELNS1_3repE0EEENS1_30default_config_static_selectorELNS0_4arch9wavefront6targetE1EEEvT1_,"axG",@progbits,_ZN7rocprim17ROCPRIM_400000_NS6detail17trampoline_kernelINS0_14default_configENS1_20scan_config_selectorIdEEZZNS1_9scan_implILNS1_25lookback_scan_determinismE0ELb1ELb1ES3_N6thrust23THRUST_200600_302600_NS6detail15normal_iteratorINS9_10device_ptrIdEEEENS9_16discard_iteratorINS9_11use_defaultEEEdNS9_4plusIvEEdEEDaPvRmT3_T4_T5_mT6_P12ihipStream_tbENKUlT_T0_E_clISt17integral_constantIbLb1EESW_IbLb0EEEEDaSS_ST_EUlSS_E_NS1_11comp_targetILNS1_3genE10ELNS1_11target_archE1200ELNS1_3gpuE4ELNS1_3repE0EEENS1_30default_config_static_selectorELNS0_4arch9wavefront6targetE1EEEvT1_,comdat
.Lfunc_end4976:
	.size	_ZN7rocprim17ROCPRIM_400000_NS6detail17trampoline_kernelINS0_14default_configENS1_20scan_config_selectorIdEEZZNS1_9scan_implILNS1_25lookback_scan_determinismE0ELb1ELb1ES3_N6thrust23THRUST_200600_302600_NS6detail15normal_iteratorINS9_10device_ptrIdEEEENS9_16discard_iteratorINS9_11use_defaultEEEdNS9_4plusIvEEdEEDaPvRmT3_T4_T5_mT6_P12ihipStream_tbENKUlT_T0_E_clISt17integral_constantIbLb1EESW_IbLb0EEEEDaSS_ST_EUlSS_E_NS1_11comp_targetILNS1_3genE10ELNS1_11target_archE1200ELNS1_3gpuE4ELNS1_3repE0EEENS1_30default_config_static_selectorELNS0_4arch9wavefront6targetE1EEEvT1_, .Lfunc_end4976-_ZN7rocprim17ROCPRIM_400000_NS6detail17trampoline_kernelINS0_14default_configENS1_20scan_config_selectorIdEEZZNS1_9scan_implILNS1_25lookback_scan_determinismE0ELb1ELb1ES3_N6thrust23THRUST_200600_302600_NS6detail15normal_iteratorINS9_10device_ptrIdEEEENS9_16discard_iteratorINS9_11use_defaultEEEdNS9_4plusIvEEdEEDaPvRmT3_T4_T5_mT6_P12ihipStream_tbENKUlT_T0_E_clISt17integral_constantIbLb1EESW_IbLb0EEEEDaSS_ST_EUlSS_E_NS1_11comp_targetILNS1_3genE10ELNS1_11target_archE1200ELNS1_3gpuE4ELNS1_3repE0EEENS1_30default_config_static_selectorELNS0_4arch9wavefront6targetE1EEEvT1_
                                        ; -- End function
	.section	.AMDGPU.csdata,"",@progbits
; Kernel info:
; codeLenInByte = 0
; NumSgprs: 4
; NumVgprs: 0
; NumAgprs: 0
; TotalNumVgprs: 0
; ScratchSize: 0
; MemoryBound: 0
; FloatMode: 240
; IeeeMode: 1
; LDSByteSize: 0 bytes/workgroup (compile time only)
; SGPRBlocks: 0
; VGPRBlocks: 0
; NumSGPRsForWavesPerEU: 4
; NumVGPRsForWavesPerEU: 1
; AccumOffset: 4
; Occupancy: 8
; WaveLimiterHint : 0
; COMPUTE_PGM_RSRC2:SCRATCH_EN: 0
; COMPUTE_PGM_RSRC2:USER_SGPR: 6
; COMPUTE_PGM_RSRC2:TRAP_HANDLER: 0
; COMPUTE_PGM_RSRC2:TGID_X_EN: 1
; COMPUTE_PGM_RSRC2:TGID_Y_EN: 0
; COMPUTE_PGM_RSRC2:TGID_Z_EN: 0
; COMPUTE_PGM_RSRC2:TIDIG_COMP_CNT: 0
; COMPUTE_PGM_RSRC3_GFX90A:ACCUM_OFFSET: 0
; COMPUTE_PGM_RSRC3_GFX90A:TG_SPLIT: 0
	.section	.text._ZN7rocprim17ROCPRIM_400000_NS6detail17trampoline_kernelINS0_14default_configENS1_20scan_config_selectorIdEEZZNS1_9scan_implILNS1_25lookback_scan_determinismE0ELb1ELb1ES3_N6thrust23THRUST_200600_302600_NS6detail15normal_iteratorINS9_10device_ptrIdEEEENS9_16discard_iteratorINS9_11use_defaultEEEdNS9_4plusIvEEdEEDaPvRmT3_T4_T5_mT6_P12ihipStream_tbENKUlT_T0_E_clISt17integral_constantIbLb1EESW_IbLb0EEEEDaSS_ST_EUlSS_E_NS1_11comp_targetILNS1_3genE9ELNS1_11target_archE1100ELNS1_3gpuE3ELNS1_3repE0EEENS1_30default_config_static_selectorELNS0_4arch9wavefront6targetE1EEEvT1_,"axG",@progbits,_ZN7rocprim17ROCPRIM_400000_NS6detail17trampoline_kernelINS0_14default_configENS1_20scan_config_selectorIdEEZZNS1_9scan_implILNS1_25lookback_scan_determinismE0ELb1ELb1ES3_N6thrust23THRUST_200600_302600_NS6detail15normal_iteratorINS9_10device_ptrIdEEEENS9_16discard_iteratorINS9_11use_defaultEEEdNS9_4plusIvEEdEEDaPvRmT3_T4_T5_mT6_P12ihipStream_tbENKUlT_T0_E_clISt17integral_constantIbLb1EESW_IbLb0EEEEDaSS_ST_EUlSS_E_NS1_11comp_targetILNS1_3genE9ELNS1_11target_archE1100ELNS1_3gpuE3ELNS1_3repE0EEENS1_30default_config_static_selectorELNS0_4arch9wavefront6targetE1EEEvT1_,comdat
	.protected	_ZN7rocprim17ROCPRIM_400000_NS6detail17trampoline_kernelINS0_14default_configENS1_20scan_config_selectorIdEEZZNS1_9scan_implILNS1_25lookback_scan_determinismE0ELb1ELb1ES3_N6thrust23THRUST_200600_302600_NS6detail15normal_iteratorINS9_10device_ptrIdEEEENS9_16discard_iteratorINS9_11use_defaultEEEdNS9_4plusIvEEdEEDaPvRmT3_T4_T5_mT6_P12ihipStream_tbENKUlT_T0_E_clISt17integral_constantIbLb1EESW_IbLb0EEEEDaSS_ST_EUlSS_E_NS1_11comp_targetILNS1_3genE9ELNS1_11target_archE1100ELNS1_3gpuE3ELNS1_3repE0EEENS1_30default_config_static_selectorELNS0_4arch9wavefront6targetE1EEEvT1_ ; -- Begin function _ZN7rocprim17ROCPRIM_400000_NS6detail17trampoline_kernelINS0_14default_configENS1_20scan_config_selectorIdEEZZNS1_9scan_implILNS1_25lookback_scan_determinismE0ELb1ELb1ES3_N6thrust23THRUST_200600_302600_NS6detail15normal_iteratorINS9_10device_ptrIdEEEENS9_16discard_iteratorINS9_11use_defaultEEEdNS9_4plusIvEEdEEDaPvRmT3_T4_T5_mT6_P12ihipStream_tbENKUlT_T0_E_clISt17integral_constantIbLb1EESW_IbLb0EEEEDaSS_ST_EUlSS_E_NS1_11comp_targetILNS1_3genE9ELNS1_11target_archE1100ELNS1_3gpuE3ELNS1_3repE0EEENS1_30default_config_static_selectorELNS0_4arch9wavefront6targetE1EEEvT1_
	.globl	_ZN7rocprim17ROCPRIM_400000_NS6detail17trampoline_kernelINS0_14default_configENS1_20scan_config_selectorIdEEZZNS1_9scan_implILNS1_25lookback_scan_determinismE0ELb1ELb1ES3_N6thrust23THRUST_200600_302600_NS6detail15normal_iteratorINS9_10device_ptrIdEEEENS9_16discard_iteratorINS9_11use_defaultEEEdNS9_4plusIvEEdEEDaPvRmT3_T4_T5_mT6_P12ihipStream_tbENKUlT_T0_E_clISt17integral_constantIbLb1EESW_IbLb0EEEEDaSS_ST_EUlSS_E_NS1_11comp_targetILNS1_3genE9ELNS1_11target_archE1100ELNS1_3gpuE3ELNS1_3repE0EEENS1_30default_config_static_selectorELNS0_4arch9wavefront6targetE1EEEvT1_
	.p2align	8
	.type	_ZN7rocprim17ROCPRIM_400000_NS6detail17trampoline_kernelINS0_14default_configENS1_20scan_config_selectorIdEEZZNS1_9scan_implILNS1_25lookback_scan_determinismE0ELb1ELb1ES3_N6thrust23THRUST_200600_302600_NS6detail15normal_iteratorINS9_10device_ptrIdEEEENS9_16discard_iteratorINS9_11use_defaultEEEdNS9_4plusIvEEdEEDaPvRmT3_T4_T5_mT6_P12ihipStream_tbENKUlT_T0_E_clISt17integral_constantIbLb1EESW_IbLb0EEEEDaSS_ST_EUlSS_E_NS1_11comp_targetILNS1_3genE9ELNS1_11target_archE1100ELNS1_3gpuE3ELNS1_3repE0EEENS1_30default_config_static_selectorELNS0_4arch9wavefront6targetE1EEEvT1_,@function
_ZN7rocprim17ROCPRIM_400000_NS6detail17trampoline_kernelINS0_14default_configENS1_20scan_config_selectorIdEEZZNS1_9scan_implILNS1_25lookback_scan_determinismE0ELb1ELb1ES3_N6thrust23THRUST_200600_302600_NS6detail15normal_iteratorINS9_10device_ptrIdEEEENS9_16discard_iteratorINS9_11use_defaultEEEdNS9_4plusIvEEdEEDaPvRmT3_T4_T5_mT6_P12ihipStream_tbENKUlT_T0_E_clISt17integral_constantIbLb1EESW_IbLb0EEEEDaSS_ST_EUlSS_E_NS1_11comp_targetILNS1_3genE9ELNS1_11target_archE1100ELNS1_3gpuE3ELNS1_3repE0EEENS1_30default_config_static_selectorELNS0_4arch9wavefront6targetE1EEEvT1_: ; @_ZN7rocprim17ROCPRIM_400000_NS6detail17trampoline_kernelINS0_14default_configENS1_20scan_config_selectorIdEEZZNS1_9scan_implILNS1_25lookback_scan_determinismE0ELb1ELb1ES3_N6thrust23THRUST_200600_302600_NS6detail15normal_iteratorINS9_10device_ptrIdEEEENS9_16discard_iteratorINS9_11use_defaultEEEdNS9_4plusIvEEdEEDaPvRmT3_T4_T5_mT6_P12ihipStream_tbENKUlT_T0_E_clISt17integral_constantIbLb1EESW_IbLb0EEEEDaSS_ST_EUlSS_E_NS1_11comp_targetILNS1_3genE9ELNS1_11target_archE1100ELNS1_3gpuE3ELNS1_3repE0EEENS1_30default_config_static_selectorELNS0_4arch9wavefront6targetE1EEEvT1_
; %bb.0:
	.section	.rodata,"a",@progbits
	.p2align	6, 0x0
	.amdhsa_kernel _ZN7rocprim17ROCPRIM_400000_NS6detail17trampoline_kernelINS0_14default_configENS1_20scan_config_selectorIdEEZZNS1_9scan_implILNS1_25lookback_scan_determinismE0ELb1ELb1ES3_N6thrust23THRUST_200600_302600_NS6detail15normal_iteratorINS9_10device_ptrIdEEEENS9_16discard_iteratorINS9_11use_defaultEEEdNS9_4plusIvEEdEEDaPvRmT3_T4_T5_mT6_P12ihipStream_tbENKUlT_T0_E_clISt17integral_constantIbLb1EESW_IbLb0EEEEDaSS_ST_EUlSS_E_NS1_11comp_targetILNS1_3genE9ELNS1_11target_archE1100ELNS1_3gpuE3ELNS1_3repE0EEENS1_30default_config_static_selectorELNS0_4arch9wavefront6targetE1EEEvT1_
		.amdhsa_group_segment_fixed_size 0
		.amdhsa_private_segment_fixed_size 0
		.amdhsa_kernarg_size 112
		.amdhsa_user_sgpr_count 6
		.amdhsa_user_sgpr_private_segment_buffer 1
		.amdhsa_user_sgpr_dispatch_ptr 0
		.amdhsa_user_sgpr_queue_ptr 0
		.amdhsa_user_sgpr_kernarg_segment_ptr 1
		.amdhsa_user_sgpr_dispatch_id 0
		.amdhsa_user_sgpr_flat_scratch_init 0
		.amdhsa_user_sgpr_kernarg_preload_length 0
		.amdhsa_user_sgpr_kernarg_preload_offset 0
		.amdhsa_user_sgpr_private_segment_size 0
		.amdhsa_uses_dynamic_stack 0
		.amdhsa_system_sgpr_private_segment_wavefront_offset 0
		.amdhsa_system_sgpr_workgroup_id_x 1
		.amdhsa_system_sgpr_workgroup_id_y 0
		.amdhsa_system_sgpr_workgroup_id_z 0
		.amdhsa_system_sgpr_workgroup_info 0
		.amdhsa_system_vgpr_workitem_id 0
		.amdhsa_next_free_vgpr 1
		.amdhsa_next_free_sgpr 0
		.amdhsa_accum_offset 4
		.amdhsa_reserve_vcc 0
		.amdhsa_reserve_flat_scratch 0
		.amdhsa_float_round_mode_32 0
		.amdhsa_float_round_mode_16_64 0
		.amdhsa_float_denorm_mode_32 3
		.amdhsa_float_denorm_mode_16_64 3
		.amdhsa_dx10_clamp 1
		.amdhsa_ieee_mode 1
		.amdhsa_fp16_overflow 0
		.amdhsa_tg_split 0
		.amdhsa_exception_fp_ieee_invalid_op 0
		.amdhsa_exception_fp_denorm_src 0
		.amdhsa_exception_fp_ieee_div_zero 0
		.amdhsa_exception_fp_ieee_overflow 0
		.amdhsa_exception_fp_ieee_underflow 0
		.amdhsa_exception_fp_ieee_inexact 0
		.amdhsa_exception_int_div_zero 0
	.end_amdhsa_kernel
	.section	.text._ZN7rocprim17ROCPRIM_400000_NS6detail17trampoline_kernelINS0_14default_configENS1_20scan_config_selectorIdEEZZNS1_9scan_implILNS1_25lookback_scan_determinismE0ELb1ELb1ES3_N6thrust23THRUST_200600_302600_NS6detail15normal_iteratorINS9_10device_ptrIdEEEENS9_16discard_iteratorINS9_11use_defaultEEEdNS9_4plusIvEEdEEDaPvRmT3_T4_T5_mT6_P12ihipStream_tbENKUlT_T0_E_clISt17integral_constantIbLb1EESW_IbLb0EEEEDaSS_ST_EUlSS_E_NS1_11comp_targetILNS1_3genE9ELNS1_11target_archE1100ELNS1_3gpuE3ELNS1_3repE0EEENS1_30default_config_static_selectorELNS0_4arch9wavefront6targetE1EEEvT1_,"axG",@progbits,_ZN7rocprim17ROCPRIM_400000_NS6detail17trampoline_kernelINS0_14default_configENS1_20scan_config_selectorIdEEZZNS1_9scan_implILNS1_25lookback_scan_determinismE0ELb1ELb1ES3_N6thrust23THRUST_200600_302600_NS6detail15normal_iteratorINS9_10device_ptrIdEEEENS9_16discard_iteratorINS9_11use_defaultEEEdNS9_4plusIvEEdEEDaPvRmT3_T4_T5_mT6_P12ihipStream_tbENKUlT_T0_E_clISt17integral_constantIbLb1EESW_IbLb0EEEEDaSS_ST_EUlSS_E_NS1_11comp_targetILNS1_3genE9ELNS1_11target_archE1100ELNS1_3gpuE3ELNS1_3repE0EEENS1_30default_config_static_selectorELNS0_4arch9wavefront6targetE1EEEvT1_,comdat
.Lfunc_end4977:
	.size	_ZN7rocprim17ROCPRIM_400000_NS6detail17trampoline_kernelINS0_14default_configENS1_20scan_config_selectorIdEEZZNS1_9scan_implILNS1_25lookback_scan_determinismE0ELb1ELb1ES3_N6thrust23THRUST_200600_302600_NS6detail15normal_iteratorINS9_10device_ptrIdEEEENS9_16discard_iteratorINS9_11use_defaultEEEdNS9_4plusIvEEdEEDaPvRmT3_T4_T5_mT6_P12ihipStream_tbENKUlT_T0_E_clISt17integral_constantIbLb1EESW_IbLb0EEEEDaSS_ST_EUlSS_E_NS1_11comp_targetILNS1_3genE9ELNS1_11target_archE1100ELNS1_3gpuE3ELNS1_3repE0EEENS1_30default_config_static_selectorELNS0_4arch9wavefront6targetE1EEEvT1_, .Lfunc_end4977-_ZN7rocprim17ROCPRIM_400000_NS6detail17trampoline_kernelINS0_14default_configENS1_20scan_config_selectorIdEEZZNS1_9scan_implILNS1_25lookback_scan_determinismE0ELb1ELb1ES3_N6thrust23THRUST_200600_302600_NS6detail15normal_iteratorINS9_10device_ptrIdEEEENS9_16discard_iteratorINS9_11use_defaultEEEdNS9_4plusIvEEdEEDaPvRmT3_T4_T5_mT6_P12ihipStream_tbENKUlT_T0_E_clISt17integral_constantIbLb1EESW_IbLb0EEEEDaSS_ST_EUlSS_E_NS1_11comp_targetILNS1_3genE9ELNS1_11target_archE1100ELNS1_3gpuE3ELNS1_3repE0EEENS1_30default_config_static_selectorELNS0_4arch9wavefront6targetE1EEEvT1_
                                        ; -- End function
	.section	.AMDGPU.csdata,"",@progbits
; Kernel info:
; codeLenInByte = 0
; NumSgprs: 4
; NumVgprs: 0
; NumAgprs: 0
; TotalNumVgprs: 0
; ScratchSize: 0
; MemoryBound: 0
; FloatMode: 240
; IeeeMode: 1
; LDSByteSize: 0 bytes/workgroup (compile time only)
; SGPRBlocks: 0
; VGPRBlocks: 0
; NumSGPRsForWavesPerEU: 4
; NumVGPRsForWavesPerEU: 1
; AccumOffset: 4
; Occupancy: 8
; WaveLimiterHint : 0
; COMPUTE_PGM_RSRC2:SCRATCH_EN: 0
; COMPUTE_PGM_RSRC2:USER_SGPR: 6
; COMPUTE_PGM_RSRC2:TRAP_HANDLER: 0
; COMPUTE_PGM_RSRC2:TGID_X_EN: 1
; COMPUTE_PGM_RSRC2:TGID_Y_EN: 0
; COMPUTE_PGM_RSRC2:TGID_Z_EN: 0
; COMPUTE_PGM_RSRC2:TIDIG_COMP_CNT: 0
; COMPUTE_PGM_RSRC3_GFX90A:ACCUM_OFFSET: 0
; COMPUTE_PGM_RSRC3_GFX90A:TG_SPLIT: 0
	.section	.text._ZN7rocprim17ROCPRIM_400000_NS6detail17trampoline_kernelINS0_14default_configENS1_20scan_config_selectorIdEEZZNS1_9scan_implILNS1_25lookback_scan_determinismE0ELb1ELb1ES3_N6thrust23THRUST_200600_302600_NS6detail15normal_iteratorINS9_10device_ptrIdEEEENS9_16discard_iteratorINS9_11use_defaultEEEdNS9_4plusIvEEdEEDaPvRmT3_T4_T5_mT6_P12ihipStream_tbENKUlT_T0_E_clISt17integral_constantIbLb1EESW_IbLb0EEEEDaSS_ST_EUlSS_E_NS1_11comp_targetILNS1_3genE8ELNS1_11target_archE1030ELNS1_3gpuE2ELNS1_3repE0EEENS1_30default_config_static_selectorELNS0_4arch9wavefront6targetE1EEEvT1_,"axG",@progbits,_ZN7rocprim17ROCPRIM_400000_NS6detail17trampoline_kernelINS0_14default_configENS1_20scan_config_selectorIdEEZZNS1_9scan_implILNS1_25lookback_scan_determinismE0ELb1ELb1ES3_N6thrust23THRUST_200600_302600_NS6detail15normal_iteratorINS9_10device_ptrIdEEEENS9_16discard_iteratorINS9_11use_defaultEEEdNS9_4plusIvEEdEEDaPvRmT3_T4_T5_mT6_P12ihipStream_tbENKUlT_T0_E_clISt17integral_constantIbLb1EESW_IbLb0EEEEDaSS_ST_EUlSS_E_NS1_11comp_targetILNS1_3genE8ELNS1_11target_archE1030ELNS1_3gpuE2ELNS1_3repE0EEENS1_30default_config_static_selectorELNS0_4arch9wavefront6targetE1EEEvT1_,comdat
	.protected	_ZN7rocprim17ROCPRIM_400000_NS6detail17trampoline_kernelINS0_14default_configENS1_20scan_config_selectorIdEEZZNS1_9scan_implILNS1_25lookback_scan_determinismE0ELb1ELb1ES3_N6thrust23THRUST_200600_302600_NS6detail15normal_iteratorINS9_10device_ptrIdEEEENS9_16discard_iteratorINS9_11use_defaultEEEdNS9_4plusIvEEdEEDaPvRmT3_T4_T5_mT6_P12ihipStream_tbENKUlT_T0_E_clISt17integral_constantIbLb1EESW_IbLb0EEEEDaSS_ST_EUlSS_E_NS1_11comp_targetILNS1_3genE8ELNS1_11target_archE1030ELNS1_3gpuE2ELNS1_3repE0EEENS1_30default_config_static_selectorELNS0_4arch9wavefront6targetE1EEEvT1_ ; -- Begin function _ZN7rocprim17ROCPRIM_400000_NS6detail17trampoline_kernelINS0_14default_configENS1_20scan_config_selectorIdEEZZNS1_9scan_implILNS1_25lookback_scan_determinismE0ELb1ELb1ES3_N6thrust23THRUST_200600_302600_NS6detail15normal_iteratorINS9_10device_ptrIdEEEENS9_16discard_iteratorINS9_11use_defaultEEEdNS9_4plusIvEEdEEDaPvRmT3_T4_T5_mT6_P12ihipStream_tbENKUlT_T0_E_clISt17integral_constantIbLb1EESW_IbLb0EEEEDaSS_ST_EUlSS_E_NS1_11comp_targetILNS1_3genE8ELNS1_11target_archE1030ELNS1_3gpuE2ELNS1_3repE0EEENS1_30default_config_static_selectorELNS0_4arch9wavefront6targetE1EEEvT1_
	.globl	_ZN7rocprim17ROCPRIM_400000_NS6detail17trampoline_kernelINS0_14default_configENS1_20scan_config_selectorIdEEZZNS1_9scan_implILNS1_25lookback_scan_determinismE0ELb1ELb1ES3_N6thrust23THRUST_200600_302600_NS6detail15normal_iteratorINS9_10device_ptrIdEEEENS9_16discard_iteratorINS9_11use_defaultEEEdNS9_4plusIvEEdEEDaPvRmT3_T4_T5_mT6_P12ihipStream_tbENKUlT_T0_E_clISt17integral_constantIbLb1EESW_IbLb0EEEEDaSS_ST_EUlSS_E_NS1_11comp_targetILNS1_3genE8ELNS1_11target_archE1030ELNS1_3gpuE2ELNS1_3repE0EEENS1_30default_config_static_selectorELNS0_4arch9wavefront6targetE1EEEvT1_
	.p2align	8
	.type	_ZN7rocprim17ROCPRIM_400000_NS6detail17trampoline_kernelINS0_14default_configENS1_20scan_config_selectorIdEEZZNS1_9scan_implILNS1_25lookback_scan_determinismE0ELb1ELb1ES3_N6thrust23THRUST_200600_302600_NS6detail15normal_iteratorINS9_10device_ptrIdEEEENS9_16discard_iteratorINS9_11use_defaultEEEdNS9_4plusIvEEdEEDaPvRmT3_T4_T5_mT6_P12ihipStream_tbENKUlT_T0_E_clISt17integral_constantIbLb1EESW_IbLb0EEEEDaSS_ST_EUlSS_E_NS1_11comp_targetILNS1_3genE8ELNS1_11target_archE1030ELNS1_3gpuE2ELNS1_3repE0EEENS1_30default_config_static_selectorELNS0_4arch9wavefront6targetE1EEEvT1_,@function
_ZN7rocprim17ROCPRIM_400000_NS6detail17trampoline_kernelINS0_14default_configENS1_20scan_config_selectorIdEEZZNS1_9scan_implILNS1_25lookback_scan_determinismE0ELb1ELb1ES3_N6thrust23THRUST_200600_302600_NS6detail15normal_iteratorINS9_10device_ptrIdEEEENS9_16discard_iteratorINS9_11use_defaultEEEdNS9_4plusIvEEdEEDaPvRmT3_T4_T5_mT6_P12ihipStream_tbENKUlT_T0_E_clISt17integral_constantIbLb1EESW_IbLb0EEEEDaSS_ST_EUlSS_E_NS1_11comp_targetILNS1_3genE8ELNS1_11target_archE1030ELNS1_3gpuE2ELNS1_3repE0EEENS1_30default_config_static_selectorELNS0_4arch9wavefront6targetE1EEEvT1_: ; @_ZN7rocprim17ROCPRIM_400000_NS6detail17trampoline_kernelINS0_14default_configENS1_20scan_config_selectorIdEEZZNS1_9scan_implILNS1_25lookback_scan_determinismE0ELb1ELb1ES3_N6thrust23THRUST_200600_302600_NS6detail15normal_iteratorINS9_10device_ptrIdEEEENS9_16discard_iteratorINS9_11use_defaultEEEdNS9_4plusIvEEdEEDaPvRmT3_T4_T5_mT6_P12ihipStream_tbENKUlT_T0_E_clISt17integral_constantIbLb1EESW_IbLb0EEEEDaSS_ST_EUlSS_E_NS1_11comp_targetILNS1_3genE8ELNS1_11target_archE1030ELNS1_3gpuE2ELNS1_3repE0EEENS1_30default_config_static_selectorELNS0_4arch9wavefront6targetE1EEEvT1_
; %bb.0:
	.section	.rodata,"a",@progbits
	.p2align	6, 0x0
	.amdhsa_kernel _ZN7rocprim17ROCPRIM_400000_NS6detail17trampoline_kernelINS0_14default_configENS1_20scan_config_selectorIdEEZZNS1_9scan_implILNS1_25lookback_scan_determinismE0ELb1ELb1ES3_N6thrust23THRUST_200600_302600_NS6detail15normal_iteratorINS9_10device_ptrIdEEEENS9_16discard_iteratorINS9_11use_defaultEEEdNS9_4plusIvEEdEEDaPvRmT3_T4_T5_mT6_P12ihipStream_tbENKUlT_T0_E_clISt17integral_constantIbLb1EESW_IbLb0EEEEDaSS_ST_EUlSS_E_NS1_11comp_targetILNS1_3genE8ELNS1_11target_archE1030ELNS1_3gpuE2ELNS1_3repE0EEENS1_30default_config_static_selectorELNS0_4arch9wavefront6targetE1EEEvT1_
		.amdhsa_group_segment_fixed_size 0
		.amdhsa_private_segment_fixed_size 0
		.amdhsa_kernarg_size 112
		.amdhsa_user_sgpr_count 6
		.amdhsa_user_sgpr_private_segment_buffer 1
		.amdhsa_user_sgpr_dispatch_ptr 0
		.amdhsa_user_sgpr_queue_ptr 0
		.amdhsa_user_sgpr_kernarg_segment_ptr 1
		.amdhsa_user_sgpr_dispatch_id 0
		.amdhsa_user_sgpr_flat_scratch_init 0
		.amdhsa_user_sgpr_kernarg_preload_length 0
		.amdhsa_user_sgpr_kernarg_preload_offset 0
		.amdhsa_user_sgpr_private_segment_size 0
		.amdhsa_uses_dynamic_stack 0
		.amdhsa_system_sgpr_private_segment_wavefront_offset 0
		.amdhsa_system_sgpr_workgroup_id_x 1
		.amdhsa_system_sgpr_workgroup_id_y 0
		.amdhsa_system_sgpr_workgroup_id_z 0
		.amdhsa_system_sgpr_workgroup_info 0
		.amdhsa_system_vgpr_workitem_id 0
		.amdhsa_next_free_vgpr 1
		.amdhsa_next_free_sgpr 0
		.amdhsa_accum_offset 4
		.amdhsa_reserve_vcc 0
		.amdhsa_reserve_flat_scratch 0
		.amdhsa_float_round_mode_32 0
		.amdhsa_float_round_mode_16_64 0
		.amdhsa_float_denorm_mode_32 3
		.amdhsa_float_denorm_mode_16_64 3
		.amdhsa_dx10_clamp 1
		.amdhsa_ieee_mode 1
		.amdhsa_fp16_overflow 0
		.amdhsa_tg_split 0
		.amdhsa_exception_fp_ieee_invalid_op 0
		.amdhsa_exception_fp_denorm_src 0
		.amdhsa_exception_fp_ieee_div_zero 0
		.amdhsa_exception_fp_ieee_overflow 0
		.amdhsa_exception_fp_ieee_underflow 0
		.amdhsa_exception_fp_ieee_inexact 0
		.amdhsa_exception_int_div_zero 0
	.end_amdhsa_kernel
	.section	.text._ZN7rocprim17ROCPRIM_400000_NS6detail17trampoline_kernelINS0_14default_configENS1_20scan_config_selectorIdEEZZNS1_9scan_implILNS1_25lookback_scan_determinismE0ELb1ELb1ES3_N6thrust23THRUST_200600_302600_NS6detail15normal_iteratorINS9_10device_ptrIdEEEENS9_16discard_iteratorINS9_11use_defaultEEEdNS9_4plusIvEEdEEDaPvRmT3_T4_T5_mT6_P12ihipStream_tbENKUlT_T0_E_clISt17integral_constantIbLb1EESW_IbLb0EEEEDaSS_ST_EUlSS_E_NS1_11comp_targetILNS1_3genE8ELNS1_11target_archE1030ELNS1_3gpuE2ELNS1_3repE0EEENS1_30default_config_static_selectorELNS0_4arch9wavefront6targetE1EEEvT1_,"axG",@progbits,_ZN7rocprim17ROCPRIM_400000_NS6detail17trampoline_kernelINS0_14default_configENS1_20scan_config_selectorIdEEZZNS1_9scan_implILNS1_25lookback_scan_determinismE0ELb1ELb1ES3_N6thrust23THRUST_200600_302600_NS6detail15normal_iteratorINS9_10device_ptrIdEEEENS9_16discard_iteratorINS9_11use_defaultEEEdNS9_4plusIvEEdEEDaPvRmT3_T4_T5_mT6_P12ihipStream_tbENKUlT_T0_E_clISt17integral_constantIbLb1EESW_IbLb0EEEEDaSS_ST_EUlSS_E_NS1_11comp_targetILNS1_3genE8ELNS1_11target_archE1030ELNS1_3gpuE2ELNS1_3repE0EEENS1_30default_config_static_selectorELNS0_4arch9wavefront6targetE1EEEvT1_,comdat
.Lfunc_end4978:
	.size	_ZN7rocprim17ROCPRIM_400000_NS6detail17trampoline_kernelINS0_14default_configENS1_20scan_config_selectorIdEEZZNS1_9scan_implILNS1_25lookback_scan_determinismE0ELb1ELb1ES3_N6thrust23THRUST_200600_302600_NS6detail15normal_iteratorINS9_10device_ptrIdEEEENS9_16discard_iteratorINS9_11use_defaultEEEdNS9_4plusIvEEdEEDaPvRmT3_T4_T5_mT6_P12ihipStream_tbENKUlT_T0_E_clISt17integral_constantIbLb1EESW_IbLb0EEEEDaSS_ST_EUlSS_E_NS1_11comp_targetILNS1_3genE8ELNS1_11target_archE1030ELNS1_3gpuE2ELNS1_3repE0EEENS1_30default_config_static_selectorELNS0_4arch9wavefront6targetE1EEEvT1_, .Lfunc_end4978-_ZN7rocprim17ROCPRIM_400000_NS6detail17trampoline_kernelINS0_14default_configENS1_20scan_config_selectorIdEEZZNS1_9scan_implILNS1_25lookback_scan_determinismE0ELb1ELb1ES3_N6thrust23THRUST_200600_302600_NS6detail15normal_iteratorINS9_10device_ptrIdEEEENS9_16discard_iteratorINS9_11use_defaultEEEdNS9_4plusIvEEdEEDaPvRmT3_T4_T5_mT6_P12ihipStream_tbENKUlT_T0_E_clISt17integral_constantIbLb1EESW_IbLb0EEEEDaSS_ST_EUlSS_E_NS1_11comp_targetILNS1_3genE8ELNS1_11target_archE1030ELNS1_3gpuE2ELNS1_3repE0EEENS1_30default_config_static_selectorELNS0_4arch9wavefront6targetE1EEEvT1_
                                        ; -- End function
	.section	.AMDGPU.csdata,"",@progbits
; Kernel info:
; codeLenInByte = 0
; NumSgprs: 4
; NumVgprs: 0
; NumAgprs: 0
; TotalNumVgprs: 0
; ScratchSize: 0
; MemoryBound: 0
; FloatMode: 240
; IeeeMode: 1
; LDSByteSize: 0 bytes/workgroup (compile time only)
; SGPRBlocks: 0
; VGPRBlocks: 0
; NumSGPRsForWavesPerEU: 4
; NumVGPRsForWavesPerEU: 1
; AccumOffset: 4
; Occupancy: 8
; WaveLimiterHint : 0
; COMPUTE_PGM_RSRC2:SCRATCH_EN: 0
; COMPUTE_PGM_RSRC2:USER_SGPR: 6
; COMPUTE_PGM_RSRC2:TRAP_HANDLER: 0
; COMPUTE_PGM_RSRC2:TGID_X_EN: 1
; COMPUTE_PGM_RSRC2:TGID_Y_EN: 0
; COMPUTE_PGM_RSRC2:TGID_Z_EN: 0
; COMPUTE_PGM_RSRC2:TIDIG_COMP_CNT: 0
; COMPUTE_PGM_RSRC3_GFX90A:ACCUM_OFFSET: 0
; COMPUTE_PGM_RSRC3_GFX90A:TG_SPLIT: 0
	.section	.text._ZN7rocprim17ROCPRIM_400000_NS6detail17trampoline_kernelINS0_14default_configENS1_20scan_config_selectorIdEEZZNS1_9scan_implILNS1_25lookback_scan_determinismE0ELb1ELb1ES3_N6thrust23THRUST_200600_302600_NS6detail15normal_iteratorINS9_10device_ptrIdEEEENS9_16discard_iteratorINS9_11use_defaultEEEdNS9_4plusIvEEdEEDaPvRmT3_T4_T5_mT6_P12ihipStream_tbENKUlT_T0_E_clISt17integral_constantIbLb1EESW_IbLb0EEEEDaSS_ST_EUlSS_E0_NS1_11comp_targetILNS1_3genE0ELNS1_11target_archE4294967295ELNS1_3gpuE0ELNS1_3repE0EEENS1_30default_config_static_selectorELNS0_4arch9wavefront6targetE1EEEvT1_,"axG",@progbits,_ZN7rocprim17ROCPRIM_400000_NS6detail17trampoline_kernelINS0_14default_configENS1_20scan_config_selectorIdEEZZNS1_9scan_implILNS1_25lookback_scan_determinismE0ELb1ELb1ES3_N6thrust23THRUST_200600_302600_NS6detail15normal_iteratorINS9_10device_ptrIdEEEENS9_16discard_iteratorINS9_11use_defaultEEEdNS9_4plusIvEEdEEDaPvRmT3_T4_T5_mT6_P12ihipStream_tbENKUlT_T0_E_clISt17integral_constantIbLb1EESW_IbLb0EEEEDaSS_ST_EUlSS_E0_NS1_11comp_targetILNS1_3genE0ELNS1_11target_archE4294967295ELNS1_3gpuE0ELNS1_3repE0EEENS1_30default_config_static_selectorELNS0_4arch9wavefront6targetE1EEEvT1_,comdat
	.protected	_ZN7rocprim17ROCPRIM_400000_NS6detail17trampoline_kernelINS0_14default_configENS1_20scan_config_selectorIdEEZZNS1_9scan_implILNS1_25lookback_scan_determinismE0ELb1ELb1ES3_N6thrust23THRUST_200600_302600_NS6detail15normal_iteratorINS9_10device_ptrIdEEEENS9_16discard_iteratorINS9_11use_defaultEEEdNS9_4plusIvEEdEEDaPvRmT3_T4_T5_mT6_P12ihipStream_tbENKUlT_T0_E_clISt17integral_constantIbLb1EESW_IbLb0EEEEDaSS_ST_EUlSS_E0_NS1_11comp_targetILNS1_3genE0ELNS1_11target_archE4294967295ELNS1_3gpuE0ELNS1_3repE0EEENS1_30default_config_static_selectorELNS0_4arch9wavefront6targetE1EEEvT1_ ; -- Begin function _ZN7rocprim17ROCPRIM_400000_NS6detail17trampoline_kernelINS0_14default_configENS1_20scan_config_selectorIdEEZZNS1_9scan_implILNS1_25lookback_scan_determinismE0ELb1ELb1ES3_N6thrust23THRUST_200600_302600_NS6detail15normal_iteratorINS9_10device_ptrIdEEEENS9_16discard_iteratorINS9_11use_defaultEEEdNS9_4plusIvEEdEEDaPvRmT3_T4_T5_mT6_P12ihipStream_tbENKUlT_T0_E_clISt17integral_constantIbLb1EESW_IbLb0EEEEDaSS_ST_EUlSS_E0_NS1_11comp_targetILNS1_3genE0ELNS1_11target_archE4294967295ELNS1_3gpuE0ELNS1_3repE0EEENS1_30default_config_static_selectorELNS0_4arch9wavefront6targetE1EEEvT1_
	.globl	_ZN7rocprim17ROCPRIM_400000_NS6detail17trampoline_kernelINS0_14default_configENS1_20scan_config_selectorIdEEZZNS1_9scan_implILNS1_25lookback_scan_determinismE0ELb1ELb1ES3_N6thrust23THRUST_200600_302600_NS6detail15normal_iteratorINS9_10device_ptrIdEEEENS9_16discard_iteratorINS9_11use_defaultEEEdNS9_4plusIvEEdEEDaPvRmT3_T4_T5_mT6_P12ihipStream_tbENKUlT_T0_E_clISt17integral_constantIbLb1EESW_IbLb0EEEEDaSS_ST_EUlSS_E0_NS1_11comp_targetILNS1_3genE0ELNS1_11target_archE4294967295ELNS1_3gpuE0ELNS1_3repE0EEENS1_30default_config_static_selectorELNS0_4arch9wavefront6targetE1EEEvT1_
	.p2align	8
	.type	_ZN7rocprim17ROCPRIM_400000_NS6detail17trampoline_kernelINS0_14default_configENS1_20scan_config_selectorIdEEZZNS1_9scan_implILNS1_25lookback_scan_determinismE0ELb1ELb1ES3_N6thrust23THRUST_200600_302600_NS6detail15normal_iteratorINS9_10device_ptrIdEEEENS9_16discard_iteratorINS9_11use_defaultEEEdNS9_4plusIvEEdEEDaPvRmT3_T4_T5_mT6_P12ihipStream_tbENKUlT_T0_E_clISt17integral_constantIbLb1EESW_IbLb0EEEEDaSS_ST_EUlSS_E0_NS1_11comp_targetILNS1_3genE0ELNS1_11target_archE4294967295ELNS1_3gpuE0ELNS1_3repE0EEENS1_30default_config_static_selectorELNS0_4arch9wavefront6targetE1EEEvT1_,@function
_ZN7rocprim17ROCPRIM_400000_NS6detail17trampoline_kernelINS0_14default_configENS1_20scan_config_selectorIdEEZZNS1_9scan_implILNS1_25lookback_scan_determinismE0ELb1ELb1ES3_N6thrust23THRUST_200600_302600_NS6detail15normal_iteratorINS9_10device_ptrIdEEEENS9_16discard_iteratorINS9_11use_defaultEEEdNS9_4plusIvEEdEEDaPvRmT3_T4_T5_mT6_P12ihipStream_tbENKUlT_T0_E_clISt17integral_constantIbLb1EESW_IbLb0EEEEDaSS_ST_EUlSS_E0_NS1_11comp_targetILNS1_3genE0ELNS1_11target_archE4294967295ELNS1_3gpuE0ELNS1_3repE0EEENS1_30default_config_static_selectorELNS0_4arch9wavefront6targetE1EEEvT1_: ; @_ZN7rocprim17ROCPRIM_400000_NS6detail17trampoline_kernelINS0_14default_configENS1_20scan_config_selectorIdEEZZNS1_9scan_implILNS1_25lookback_scan_determinismE0ELb1ELb1ES3_N6thrust23THRUST_200600_302600_NS6detail15normal_iteratorINS9_10device_ptrIdEEEENS9_16discard_iteratorINS9_11use_defaultEEEdNS9_4plusIvEEdEEDaPvRmT3_T4_T5_mT6_P12ihipStream_tbENKUlT_T0_E_clISt17integral_constantIbLb1EESW_IbLb0EEEEDaSS_ST_EUlSS_E0_NS1_11comp_targetILNS1_3genE0ELNS1_11target_archE4294967295ELNS1_3gpuE0ELNS1_3repE0EEENS1_30default_config_static_selectorELNS0_4arch9wavefront6targetE1EEEvT1_
; %bb.0:
	.section	.rodata,"a",@progbits
	.p2align	6, 0x0
	.amdhsa_kernel _ZN7rocprim17ROCPRIM_400000_NS6detail17trampoline_kernelINS0_14default_configENS1_20scan_config_selectorIdEEZZNS1_9scan_implILNS1_25lookback_scan_determinismE0ELb1ELb1ES3_N6thrust23THRUST_200600_302600_NS6detail15normal_iteratorINS9_10device_ptrIdEEEENS9_16discard_iteratorINS9_11use_defaultEEEdNS9_4plusIvEEdEEDaPvRmT3_T4_T5_mT6_P12ihipStream_tbENKUlT_T0_E_clISt17integral_constantIbLb1EESW_IbLb0EEEEDaSS_ST_EUlSS_E0_NS1_11comp_targetILNS1_3genE0ELNS1_11target_archE4294967295ELNS1_3gpuE0ELNS1_3repE0EEENS1_30default_config_static_selectorELNS0_4arch9wavefront6targetE1EEEvT1_
		.amdhsa_group_segment_fixed_size 0
		.amdhsa_private_segment_fixed_size 0
		.amdhsa_kernarg_size 48
		.amdhsa_user_sgpr_count 6
		.amdhsa_user_sgpr_private_segment_buffer 1
		.amdhsa_user_sgpr_dispatch_ptr 0
		.amdhsa_user_sgpr_queue_ptr 0
		.amdhsa_user_sgpr_kernarg_segment_ptr 1
		.amdhsa_user_sgpr_dispatch_id 0
		.amdhsa_user_sgpr_flat_scratch_init 0
		.amdhsa_user_sgpr_kernarg_preload_length 0
		.amdhsa_user_sgpr_kernarg_preload_offset 0
		.amdhsa_user_sgpr_private_segment_size 0
		.amdhsa_uses_dynamic_stack 0
		.amdhsa_system_sgpr_private_segment_wavefront_offset 0
		.amdhsa_system_sgpr_workgroup_id_x 1
		.amdhsa_system_sgpr_workgroup_id_y 0
		.amdhsa_system_sgpr_workgroup_id_z 0
		.amdhsa_system_sgpr_workgroup_info 0
		.amdhsa_system_vgpr_workitem_id 0
		.amdhsa_next_free_vgpr 1
		.amdhsa_next_free_sgpr 0
		.amdhsa_accum_offset 4
		.amdhsa_reserve_vcc 0
		.amdhsa_reserve_flat_scratch 0
		.amdhsa_float_round_mode_32 0
		.amdhsa_float_round_mode_16_64 0
		.amdhsa_float_denorm_mode_32 3
		.amdhsa_float_denorm_mode_16_64 3
		.amdhsa_dx10_clamp 1
		.amdhsa_ieee_mode 1
		.amdhsa_fp16_overflow 0
		.amdhsa_tg_split 0
		.amdhsa_exception_fp_ieee_invalid_op 0
		.amdhsa_exception_fp_denorm_src 0
		.amdhsa_exception_fp_ieee_div_zero 0
		.amdhsa_exception_fp_ieee_overflow 0
		.amdhsa_exception_fp_ieee_underflow 0
		.amdhsa_exception_fp_ieee_inexact 0
		.amdhsa_exception_int_div_zero 0
	.end_amdhsa_kernel
	.section	.text._ZN7rocprim17ROCPRIM_400000_NS6detail17trampoline_kernelINS0_14default_configENS1_20scan_config_selectorIdEEZZNS1_9scan_implILNS1_25lookback_scan_determinismE0ELb1ELb1ES3_N6thrust23THRUST_200600_302600_NS6detail15normal_iteratorINS9_10device_ptrIdEEEENS9_16discard_iteratorINS9_11use_defaultEEEdNS9_4plusIvEEdEEDaPvRmT3_T4_T5_mT6_P12ihipStream_tbENKUlT_T0_E_clISt17integral_constantIbLb1EESW_IbLb0EEEEDaSS_ST_EUlSS_E0_NS1_11comp_targetILNS1_3genE0ELNS1_11target_archE4294967295ELNS1_3gpuE0ELNS1_3repE0EEENS1_30default_config_static_selectorELNS0_4arch9wavefront6targetE1EEEvT1_,"axG",@progbits,_ZN7rocprim17ROCPRIM_400000_NS6detail17trampoline_kernelINS0_14default_configENS1_20scan_config_selectorIdEEZZNS1_9scan_implILNS1_25lookback_scan_determinismE0ELb1ELb1ES3_N6thrust23THRUST_200600_302600_NS6detail15normal_iteratorINS9_10device_ptrIdEEEENS9_16discard_iteratorINS9_11use_defaultEEEdNS9_4plusIvEEdEEDaPvRmT3_T4_T5_mT6_P12ihipStream_tbENKUlT_T0_E_clISt17integral_constantIbLb1EESW_IbLb0EEEEDaSS_ST_EUlSS_E0_NS1_11comp_targetILNS1_3genE0ELNS1_11target_archE4294967295ELNS1_3gpuE0ELNS1_3repE0EEENS1_30default_config_static_selectorELNS0_4arch9wavefront6targetE1EEEvT1_,comdat
.Lfunc_end4979:
	.size	_ZN7rocprim17ROCPRIM_400000_NS6detail17trampoline_kernelINS0_14default_configENS1_20scan_config_selectorIdEEZZNS1_9scan_implILNS1_25lookback_scan_determinismE0ELb1ELb1ES3_N6thrust23THRUST_200600_302600_NS6detail15normal_iteratorINS9_10device_ptrIdEEEENS9_16discard_iteratorINS9_11use_defaultEEEdNS9_4plusIvEEdEEDaPvRmT3_T4_T5_mT6_P12ihipStream_tbENKUlT_T0_E_clISt17integral_constantIbLb1EESW_IbLb0EEEEDaSS_ST_EUlSS_E0_NS1_11comp_targetILNS1_3genE0ELNS1_11target_archE4294967295ELNS1_3gpuE0ELNS1_3repE0EEENS1_30default_config_static_selectorELNS0_4arch9wavefront6targetE1EEEvT1_, .Lfunc_end4979-_ZN7rocprim17ROCPRIM_400000_NS6detail17trampoline_kernelINS0_14default_configENS1_20scan_config_selectorIdEEZZNS1_9scan_implILNS1_25lookback_scan_determinismE0ELb1ELb1ES3_N6thrust23THRUST_200600_302600_NS6detail15normal_iteratorINS9_10device_ptrIdEEEENS9_16discard_iteratorINS9_11use_defaultEEEdNS9_4plusIvEEdEEDaPvRmT3_T4_T5_mT6_P12ihipStream_tbENKUlT_T0_E_clISt17integral_constantIbLb1EESW_IbLb0EEEEDaSS_ST_EUlSS_E0_NS1_11comp_targetILNS1_3genE0ELNS1_11target_archE4294967295ELNS1_3gpuE0ELNS1_3repE0EEENS1_30default_config_static_selectorELNS0_4arch9wavefront6targetE1EEEvT1_
                                        ; -- End function
	.section	.AMDGPU.csdata,"",@progbits
; Kernel info:
; codeLenInByte = 0
; NumSgprs: 4
; NumVgprs: 0
; NumAgprs: 0
; TotalNumVgprs: 0
; ScratchSize: 0
; MemoryBound: 0
; FloatMode: 240
; IeeeMode: 1
; LDSByteSize: 0 bytes/workgroup (compile time only)
; SGPRBlocks: 0
; VGPRBlocks: 0
; NumSGPRsForWavesPerEU: 4
; NumVGPRsForWavesPerEU: 1
; AccumOffset: 4
; Occupancy: 8
; WaveLimiterHint : 0
; COMPUTE_PGM_RSRC2:SCRATCH_EN: 0
; COMPUTE_PGM_RSRC2:USER_SGPR: 6
; COMPUTE_PGM_RSRC2:TRAP_HANDLER: 0
; COMPUTE_PGM_RSRC2:TGID_X_EN: 1
; COMPUTE_PGM_RSRC2:TGID_Y_EN: 0
; COMPUTE_PGM_RSRC2:TGID_Z_EN: 0
; COMPUTE_PGM_RSRC2:TIDIG_COMP_CNT: 0
; COMPUTE_PGM_RSRC3_GFX90A:ACCUM_OFFSET: 0
; COMPUTE_PGM_RSRC3_GFX90A:TG_SPLIT: 0
	.section	.text._ZN7rocprim17ROCPRIM_400000_NS6detail17trampoline_kernelINS0_14default_configENS1_20scan_config_selectorIdEEZZNS1_9scan_implILNS1_25lookback_scan_determinismE0ELb1ELb1ES3_N6thrust23THRUST_200600_302600_NS6detail15normal_iteratorINS9_10device_ptrIdEEEENS9_16discard_iteratorINS9_11use_defaultEEEdNS9_4plusIvEEdEEDaPvRmT3_T4_T5_mT6_P12ihipStream_tbENKUlT_T0_E_clISt17integral_constantIbLb1EESW_IbLb0EEEEDaSS_ST_EUlSS_E0_NS1_11comp_targetILNS1_3genE5ELNS1_11target_archE942ELNS1_3gpuE9ELNS1_3repE0EEENS1_30default_config_static_selectorELNS0_4arch9wavefront6targetE1EEEvT1_,"axG",@progbits,_ZN7rocprim17ROCPRIM_400000_NS6detail17trampoline_kernelINS0_14default_configENS1_20scan_config_selectorIdEEZZNS1_9scan_implILNS1_25lookback_scan_determinismE0ELb1ELb1ES3_N6thrust23THRUST_200600_302600_NS6detail15normal_iteratorINS9_10device_ptrIdEEEENS9_16discard_iteratorINS9_11use_defaultEEEdNS9_4plusIvEEdEEDaPvRmT3_T4_T5_mT6_P12ihipStream_tbENKUlT_T0_E_clISt17integral_constantIbLb1EESW_IbLb0EEEEDaSS_ST_EUlSS_E0_NS1_11comp_targetILNS1_3genE5ELNS1_11target_archE942ELNS1_3gpuE9ELNS1_3repE0EEENS1_30default_config_static_selectorELNS0_4arch9wavefront6targetE1EEEvT1_,comdat
	.protected	_ZN7rocprim17ROCPRIM_400000_NS6detail17trampoline_kernelINS0_14default_configENS1_20scan_config_selectorIdEEZZNS1_9scan_implILNS1_25lookback_scan_determinismE0ELb1ELb1ES3_N6thrust23THRUST_200600_302600_NS6detail15normal_iteratorINS9_10device_ptrIdEEEENS9_16discard_iteratorINS9_11use_defaultEEEdNS9_4plusIvEEdEEDaPvRmT3_T4_T5_mT6_P12ihipStream_tbENKUlT_T0_E_clISt17integral_constantIbLb1EESW_IbLb0EEEEDaSS_ST_EUlSS_E0_NS1_11comp_targetILNS1_3genE5ELNS1_11target_archE942ELNS1_3gpuE9ELNS1_3repE0EEENS1_30default_config_static_selectorELNS0_4arch9wavefront6targetE1EEEvT1_ ; -- Begin function _ZN7rocprim17ROCPRIM_400000_NS6detail17trampoline_kernelINS0_14default_configENS1_20scan_config_selectorIdEEZZNS1_9scan_implILNS1_25lookback_scan_determinismE0ELb1ELb1ES3_N6thrust23THRUST_200600_302600_NS6detail15normal_iteratorINS9_10device_ptrIdEEEENS9_16discard_iteratorINS9_11use_defaultEEEdNS9_4plusIvEEdEEDaPvRmT3_T4_T5_mT6_P12ihipStream_tbENKUlT_T0_E_clISt17integral_constantIbLb1EESW_IbLb0EEEEDaSS_ST_EUlSS_E0_NS1_11comp_targetILNS1_3genE5ELNS1_11target_archE942ELNS1_3gpuE9ELNS1_3repE0EEENS1_30default_config_static_selectorELNS0_4arch9wavefront6targetE1EEEvT1_
	.globl	_ZN7rocprim17ROCPRIM_400000_NS6detail17trampoline_kernelINS0_14default_configENS1_20scan_config_selectorIdEEZZNS1_9scan_implILNS1_25lookback_scan_determinismE0ELb1ELb1ES3_N6thrust23THRUST_200600_302600_NS6detail15normal_iteratorINS9_10device_ptrIdEEEENS9_16discard_iteratorINS9_11use_defaultEEEdNS9_4plusIvEEdEEDaPvRmT3_T4_T5_mT6_P12ihipStream_tbENKUlT_T0_E_clISt17integral_constantIbLb1EESW_IbLb0EEEEDaSS_ST_EUlSS_E0_NS1_11comp_targetILNS1_3genE5ELNS1_11target_archE942ELNS1_3gpuE9ELNS1_3repE0EEENS1_30default_config_static_selectorELNS0_4arch9wavefront6targetE1EEEvT1_
	.p2align	8
	.type	_ZN7rocprim17ROCPRIM_400000_NS6detail17trampoline_kernelINS0_14default_configENS1_20scan_config_selectorIdEEZZNS1_9scan_implILNS1_25lookback_scan_determinismE0ELb1ELb1ES3_N6thrust23THRUST_200600_302600_NS6detail15normal_iteratorINS9_10device_ptrIdEEEENS9_16discard_iteratorINS9_11use_defaultEEEdNS9_4plusIvEEdEEDaPvRmT3_T4_T5_mT6_P12ihipStream_tbENKUlT_T0_E_clISt17integral_constantIbLb1EESW_IbLb0EEEEDaSS_ST_EUlSS_E0_NS1_11comp_targetILNS1_3genE5ELNS1_11target_archE942ELNS1_3gpuE9ELNS1_3repE0EEENS1_30default_config_static_selectorELNS0_4arch9wavefront6targetE1EEEvT1_,@function
_ZN7rocprim17ROCPRIM_400000_NS6detail17trampoline_kernelINS0_14default_configENS1_20scan_config_selectorIdEEZZNS1_9scan_implILNS1_25lookback_scan_determinismE0ELb1ELb1ES3_N6thrust23THRUST_200600_302600_NS6detail15normal_iteratorINS9_10device_ptrIdEEEENS9_16discard_iteratorINS9_11use_defaultEEEdNS9_4plusIvEEdEEDaPvRmT3_T4_T5_mT6_P12ihipStream_tbENKUlT_T0_E_clISt17integral_constantIbLb1EESW_IbLb0EEEEDaSS_ST_EUlSS_E0_NS1_11comp_targetILNS1_3genE5ELNS1_11target_archE942ELNS1_3gpuE9ELNS1_3repE0EEENS1_30default_config_static_selectorELNS0_4arch9wavefront6targetE1EEEvT1_: ; @_ZN7rocprim17ROCPRIM_400000_NS6detail17trampoline_kernelINS0_14default_configENS1_20scan_config_selectorIdEEZZNS1_9scan_implILNS1_25lookback_scan_determinismE0ELb1ELb1ES3_N6thrust23THRUST_200600_302600_NS6detail15normal_iteratorINS9_10device_ptrIdEEEENS9_16discard_iteratorINS9_11use_defaultEEEdNS9_4plusIvEEdEEDaPvRmT3_T4_T5_mT6_P12ihipStream_tbENKUlT_T0_E_clISt17integral_constantIbLb1EESW_IbLb0EEEEDaSS_ST_EUlSS_E0_NS1_11comp_targetILNS1_3genE5ELNS1_11target_archE942ELNS1_3gpuE9ELNS1_3repE0EEENS1_30default_config_static_selectorELNS0_4arch9wavefront6targetE1EEEvT1_
; %bb.0:
	.section	.rodata,"a",@progbits
	.p2align	6, 0x0
	.amdhsa_kernel _ZN7rocprim17ROCPRIM_400000_NS6detail17trampoline_kernelINS0_14default_configENS1_20scan_config_selectorIdEEZZNS1_9scan_implILNS1_25lookback_scan_determinismE0ELb1ELb1ES3_N6thrust23THRUST_200600_302600_NS6detail15normal_iteratorINS9_10device_ptrIdEEEENS9_16discard_iteratorINS9_11use_defaultEEEdNS9_4plusIvEEdEEDaPvRmT3_T4_T5_mT6_P12ihipStream_tbENKUlT_T0_E_clISt17integral_constantIbLb1EESW_IbLb0EEEEDaSS_ST_EUlSS_E0_NS1_11comp_targetILNS1_3genE5ELNS1_11target_archE942ELNS1_3gpuE9ELNS1_3repE0EEENS1_30default_config_static_selectorELNS0_4arch9wavefront6targetE1EEEvT1_
		.amdhsa_group_segment_fixed_size 0
		.amdhsa_private_segment_fixed_size 0
		.amdhsa_kernarg_size 48
		.amdhsa_user_sgpr_count 6
		.amdhsa_user_sgpr_private_segment_buffer 1
		.amdhsa_user_sgpr_dispatch_ptr 0
		.amdhsa_user_sgpr_queue_ptr 0
		.amdhsa_user_sgpr_kernarg_segment_ptr 1
		.amdhsa_user_sgpr_dispatch_id 0
		.amdhsa_user_sgpr_flat_scratch_init 0
		.amdhsa_user_sgpr_kernarg_preload_length 0
		.amdhsa_user_sgpr_kernarg_preload_offset 0
		.amdhsa_user_sgpr_private_segment_size 0
		.amdhsa_uses_dynamic_stack 0
		.amdhsa_system_sgpr_private_segment_wavefront_offset 0
		.amdhsa_system_sgpr_workgroup_id_x 1
		.amdhsa_system_sgpr_workgroup_id_y 0
		.amdhsa_system_sgpr_workgroup_id_z 0
		.amdhsa_system_sgpr_workgroup_info 0
		.amdhsa_system_vgpr_workitem_id 0
		.amdhsa_next_free_vgpr 1
		.amdhsa_next_free_sgpr 0
		.amdhsa_accum_offset 4
		.amdhsa_reserve_vcc 0
		.amdhsa_reserve_flat_scratch 0
		.amdhsa_float_round_mode_32 0
		.amdhsa_float_round_mode_16_64 0
		.amdhsa_float_denorm_mode_32 3
		.amdhsa_float_denorm_mode_16_64 3
		.amdhsa_dx10_clamp 1
		.amdhsa_ieee_mode 1
		.amdhsa_fp16_overflow 0
		.amdhsa_tg_split 0
		.amdhsa_exception_fp_ieee_invalid_op 0
		.amdhsa_exception_fp_denorm_src 0
		.amdhsa_exception_fp_ieee_div_zero 0
		.amdhsa_exception_fp_ieee_overflow 0
		.amdhsa_exception_fp_ieee_underflow 0
		.amdhsa_exception_fp_ieee_inexact 0
		.amdhsa_exception_int_div_zero 0
	.end_amdhsa_kernel
	.section	.text._ZN7rocprim17ROCPRIM_400000_NS6detail17trampoline_kernelINS0_14default_configENS1_20scan_config_selectorIdEEZZNS1_9scan_implILNS1_25lookback_scan_determinismE0ELb1ELb1ES3_N6thrust23THRUST_200600_302600_NS6detail15normal_iteratorINS9_10device_ptrIdEEEENS9_16discard_iteratorINS9_11use_defaultEEEdNS9_4plusIvEEdEEDaPvRmT3_T4_T5_mT6_P12ihipStream_tbENKUlT_T0_E_clISt17integral_constantIbLb1EESW_IbLb0EEEEDaSS_ST_EUlSS_E0_NS1_11comp_targetILNS1_3genE5ELNS1_11target_archE942ELNS1_3gpuE9ELNS1_3repE0EEENS1_30default_config_static_selectorELNS0_4arch9wavefront6targetE1EEEvT1_,"axG",@progbits,_ZN7rocprim17ROCPRIM_400000_NS6detail17trampoline_kernelINS0_14default_configENS1_20scan_config_selectorIdEEZZNS1_9scan_implILNS1_25lookback_scan_determinismE0ELb1ELb1ES3_N6thrust23THRUST_200600_302600_NS6detail15normal_iteratorINS9_10device_ptrIdEEEENS9_16discard_iteratorINS9_11use_defaultEEEdNS9_4plusIvEEdEEDaPvRmT3_T4_T5_mT6_P12ihipStream_tbENKUlT_T0_E_clISt17integral_constantIbLb1EESW_IbLb0EEEEDaSS_ST_EUlSS_E0_NS1_11comp_targetILNS1_3genE5ELNS1_11target_archE942ELNS1_3gpuE9ELNS1_3repE0EEENS1_30default_config_static_selectorELNS0_4arch9wavefront6targetE1EEEvT1_,comdat
.Lfunc_end4980:
	.size	_ZN7rocprim17ROCPRIM_400000_NS6detail17trampoline_kernelINS0_14default_configENS1_20scan_config_selectorIdEEZZNS1_9scan_implILNS1_25lookback_scan_determinismE0ELb1ELb1ES3_N6thrust23THRUST_200600_302600_NS6detail15normal_iteratorINS9_10device_ptrIdEEEENS9_16discard_iteratorINS9_11use_defaultEEEdNS9_4plusIvEEdEEDaPvRmT3_T4_T5_mT6_P12ihipStream_tbENKUlT_T0_E_clISt17integral_constantIbLb1EESW_IbLb0EEEEDaSS_ST_EUlSS_E0_NS1_11comp_targetILNS1_3genE5ELNS1_11target_archE942ELNS1_3gpuE9ELNS1_3repE0EEENS1_30default_config_static_selectorELNS0_4arch9wavefront6targetE1EEEvT1_, .Lfunc_end4980-_ZN7rocprim17ROCPRIM_400000_NS6detail17trampoline_kernelINS0_14default_configENS1_20scan_config_selectorIdEEZZNS1_9scan_implILNS1_25lookback_scan_determinismE0ELb1ELb1ES3_N6thrust23THRUST_200600_302600_NS6detail15normal_iteratorINS9_10device_ptrIdEEEENS9_16discard_iteratorINS9_11use_defaultEEEdNS9_4plusIvEEdEEDaPvRmT3_T4_T5_mT6_P12ihipStream_tbENKUlT_T0_E_clISt17integral_constantIbLb1EESW_IbLb0EEEEDaSS_ST_EUlSS_E0_NS1_11comp_targetILNS1_3genE5ELNS1_11target_archE942ELNS1_3gpuE9ELNS1_3repE0EEENS1_30default_config_static_selectorELNS0_4arch9wavefront6targetE1EEEvT1_
                                        ; -- End function
	.section	.AMDGPU.csdata,"",@progbits
; Kernel info:
; codeLenInByte = 0
; NumSgprs: 4
; NumVgprs: 0
; NumAgprs: 0
; TotalNumVgprs: 0
; ScratchSize: 0
; MemoryBound: 0
; FloatMode: 240
; IeeeMode: 1
; LDSByteSize: 0 bytes/workgroup (compile time only)
; SGPRBlocks: 0
; VGPRBlocks: 0
; NumSGPRsForWavesPerEU: 4
; NumVGPRsForWavesPerEU: 1
; AccumOffset: 4
; Occupancy: 8
; WaveLimiterHint : 0
; COMPUTE_PGM_RSRC2:SCRATCH_EN: 0
; COMPUTE_PGM_RSRC2:USER_SGPR: 6
; COMPUTE_PGM_RSRC2:TRAP_HANDLER: 0
; COMPUTE_PGM_RSRC2:TGID_X_EN: 1
; COMPUTE_PGM_RSRC2:TGID_Y_EN: 0
; COMPUTE_PGM_RSRC2:TGID_Z_EN: 0
; COMPUTE_PGM_RSRC2:TIDIG_COMP_CNT: 0
; COMPUTE_PGM_RSRC3_GFX90A:ACCUM_OFFSET: 0
; COMPUTE_PGM_RSRC3_GFX90A:TG_SPLIT: 0
	.section	.text._ZN7rocprim17ROCPRIM_400000_NS6detail17trampoline_kernelINS0_14default_configENS1_20scan_config_selectorIdEEZZNS1_9scan_implILNS1_25lookback_scan_determinismE0ELb1ELb1ES3_N6thrust23THRUST_200600_302600_NS6detail15normal_iteratorINS9_10device_ptrIdEEEENS9_16discard_iteratorINS9_11use_defaultEEEdNS9_4plusIvEEdEEDaPvRmT3_T4_T5_mT6_P12ihipStream_tbENKUlT_T0_E_clISt17integral_constantIbLb1EESW_IbLb0EEEEDaSS_ST_EUlSS_E0_NS1_11comp_targetILNS1_3genE4ELNS1_11target_archE910ELNS1_3gpuE8ELNS1_3repE0EEENS1_30default_config_static_selectorELNS0_4arch9wavefront6targetE1EEEvT1_,"axG",@progbits,_ZN7rocprim17ROCPRIM_400000_NS6detail17trampoline_kernelINS0_14default_configENS1_20scan_config_selectorIdEEZZNS1_9scan_implILNS1_25lookback_scan_determinismE0ELb1ELb1ES3_N6thrust23THRUST_200600_302600_NS6detail15normal_iteratorINS9_10device_ptrIdEEEENS9_16discard_iteratorINS9_11use_defaultEEEdNS9_4plusIvEEdEEDaPvRmT3_T4_T5_mT6_P12ihipStream_tbENKUlT_T0_E_clISt17integral_constantIbLb1EESW_IbLb0EEEEDaSS_ST_EUlSS_E0_NS1_11comp_targetILNS1_3genE4ELNS1_11target_archE910ELNS1_3gpuE8ELNS1_3repE0EEENS1_30default_config_static_selectorELNS0_4arch9wavefront6targetE1EEEvT1_,comdat
	.protected	_ZN7rocprim17ROCPRIM_400000_NS6detail17trampoline_kernelINS0_14default_configENS1_20scan_config_selectorIdEEZZNS1_9scan_implILNS1_25lookback_scan_determinismE0ELb1ELb1ES3_N6thrust23THRUST_200600_302600_NS6detail15normal_iteratorINS9_10device_ptrIdEEEENS9_16discard_iteratorINS9_11use_defaultEEEdNS9_4plusIvEEdEEDaPvRmT3_T4_T5_mT6_P12ihipStream_tbENKUlT_T0_E_clISt17integral_constantIbLb1EESW_IbLb0EEEEDaSS_ST_EUlSS_E0_NS1_11comp_targetILNS1_3genE4ELNS1_11target_archE910ELNS1_3gpuE8ELNS1_3repE0EEENS1_30default_config_static_selectorELNS0_4arch9wavefront6targetE1EEEvT1_ ; -- Begin function _ZN7rocprim17ROCPRIM_400000_NS6detail17trampoline_kernelINS0_14default_configENS1_20scan_config_selectorIdEEZZNS1_9scan_implILNS1_25lookback_scan_determinismE0ELb1ELb1ES3_N6thrust23THRUST_200600_302600_NS6detail15normal_iteratorINS9_10device_ptrIdEEEENS9_16discard_iteratorINS9_11use_defaultEEEdNS9_4plusIvEEdEEDaPvRmT3_T4_T5_mT6_P12ihipStream_tbENKUlT_T0_E_clISt17integral_constantIbLb1EESW_IbLb0EEEEDaSS_ST_EUlSS_E0_NS1_11comp_targetILNS1_3genE4ELNS1_11target_archE910ELNS1_3gpuE8ELNS1_3repE0EEENS1_30default_config_static_selectorELNS0_4arch9wavefront6targetE1EEEvT1_
	.globl	_ZN7rocprim17ROCPRIM_400000_NS6detail17trampoline_kernelINS0_14default_configENS1_20scan_config_selectorIdEEZZNS1_9scan_implILNS1_25lookback_scan_determinismE0ELb1ELb1ES3_N6thrust23THRUST_200600_302600_NS6detail15normal_iteratorINS9_10device_ptrIdEEEENS9_16discard_iteratorINS9_11use_defaultEEEdNS9_4plusIvEEdEEDaPvRmT3_T4_T5_mT6_P12ihipStream_tbENKUlT_T0_E_clISt17integral_constantIbLb1EESW_IbLb0EEEEDaSS_ST_EUlSS_E0_NS1_11comp_targetILNS1_3genE4ELNS1_11target_archE910ELNS1_3gpuE8ELNS1_3repE0EEENS1_30default_config_static_selectorELNS0_4arch9wavefront6targetE1EEEvT1_
	.p2align	8
	.type	_ZN7rocprim17ROCPRIM_400000_NS6detail17trampoline_kernelINS0_14default_configENS1_20scan_config_selectorIdEEZZNS1_9scan_implILNS1_25lookback_scan_determinismE0ELb1ELb1ES3_N6thrust23THRUST_200600_302600_NS6detail15normal_iteratorINS9_10device_ptrIdEEEENS9_16discard_iteratorINS9_11use_defaultEEEdNS9_4plusIvEEdEEDaPvRmT3_T4_T5_mT6_P12ihipStream_tbENKUlT_T0_E_clISt17integral_constantIbLb1EESW_IbLb0EEEEDaSS_ST_EUlSS_E0_NS1_11comp_targetILNS1_3genE4ELNS1_11target_archE910ELNS1_3gpuE8ELNS1_3repE0EEENS1_30default_config_static_selectorELNS0_4arch9wavefront6targetE1EEEvT1_,@function
_ZN7rocprim17ROCPRIM_400000_NS6detail17trampoline_kernelINS0_14default_configENS1_20scan_config_selectorIdEEZZNS1_9scan_implILNS1_25lookback_scan_determinismE0ELb1ELb1ES3_N6thrust23THRUST_200600_302600_NS6detail15normal_iteratorINS9_10device_ptrIdEEEENS9_16discard_iteratorINS9_11use_defaultEEEdNS9_4plusIvEEdEEDaPvRmT3_T4_T5_mT6_P12ihipStream_tbENKUlT_T0_E_clISt17integral_constantIbLb1EESW_IbLb0EEEEDaSS_ST_EUlSS_E0_NS1_11comp_targetILNS1_3genE4ELNS1_11target_archE910ELNS1_3gpuE8ELNS1_3repE0EEENS1_30default_config_static_selectorELNS0_4arch9wavefront6targetE1EEEvT1_: ; @_ZN7rocprim17ROCPRIM_400000_NS6detail17trampoline_kernelINS0_14default_configENS1_20scan_config_selectorIdEEZZNS1_9scan_implILNS1_25lookback_scan_determinismE0ELb1ELb1ES3_N6thrust23THRUST_200600_302600_NS6detail15normal_iteratorINS9_10device_ptrIdEEEENS9_16discard_iteratorINS9_11use_defaultEEEdNS9_4plusIvEEdEEDaPvRmT3_T4_T5_mT6_P12ihipStream_tbENKUlT_T0_E_clISt17integral_constantIbLb1EESW_IbLb0EEEEDaSS_ST_EUlSS_E0_NS1_11comp_targetILNS1_3genE4ELNS1_11target_archE910ELNS1_3gpuE8ELNS1_3repE0EEENS1_30default_config_static_selectorELNS0_4arch9wavefront6targetE1EEEvT1_
; %bb.0:
	s_load_dwordx4 s[0:3], s[4:5], 0x0
	v_lshlrev_b32_e32 v1, 3, v0
	s_waitcnt lgkmcnt(0)
	s_load_dwordx2 s[6:7], s[0:1], 0x0
	v_cmp_gt_u32_e32 vcc, s2, v0
	s_waitcnt lgkmcnt(0)
	v_pk_mov_b32 v[2:3], s[6:7], s[6:7] op_sel:[0,1]
	s_and_saveexec_b64 s[8:9], vcc
	s_cbranch_execz .LBB4981_2
; %bb.1:
	global_load_dwordx2 v[2:3], v1, s[0:1]
.LBB4981_2:
	s_or_b64 exec, exec, s[8:9]
	v_or_b32_e32 v4, 0x80, v0
	v_cmp_gt_u32_e32 vcc, s2, v4
	v_pk_mov_b32 v[4:5], s[6:7], s[6:7] op_sel:[0,1]
	s_and_saveexec_b64 s[8:9], vcc
	s_cbranch_execz .LBB4981_4
; %bb.3:
	global_load_dwordx2 v[4:5], v1, s[0:1] offset:1024
.LBB4981_4:
	s_or_b64 exec, exec, s[8:9]
	v_or_b32_e32 v6, 0x100, v0
	v_cmp_gt_u32_e32 vcc, s2, v6
	v_pk_mov_b32 v[6:7], s[6:7], s[6:7] op_sel:[0,1]
	s_and_saveexec_b64 s[8:9], vcc
	s_cbranch_execz .LBB4981_6
; %bb.5:
	global_load_dwordx2 v[6:7], v1, s[0:1] offset:2048
.LBB4981_6:
	;; [unrolled: 9-line block ×3, first 2 shown]
	s_or_b64 exec, exec, s[8:9]
	v_or_b32_e32 v12, 0x200, v0
	v_cmp_gt_u32_e32 vcc, s2, v12
	v_pk_mov_b32 v[10:11], s[6:7], s[6:7] op_sel:[0,1]
	s_and_saveexec_b64 s[8:9], vcc
	s_cbranch_execz .LBB4981_10
; %bb.9:
	v_lshlrev_b32_e32 v10, 3, v12
	global_load_dwordx2 v[10:11], v10, s[0:1]
.LBB4981_10:
	s_or_b64 exec, exec, s[8:9]
	v_or_b32_e32 v14, 0x280, v0
	v_cmp_gt_u32_e32 vcc, s2, v14
	v_pk_mov_b32 v[12:13], s[6:7], s[6:7] op_sel:[0,1]
	s_and_saveexec_b64 s[8:9], vcc
	s_cbranch_execz .LBB4981_12
; %bb.11:
	v_lshlrev_b32_e32 v12, 3, v14
	global_load_dwordx2 v[12:13], v12, s[0:1]
.LBB4981_12:
	;; [unrolled: 10-line block ×6, first 2 shown]
	s_or_b64 exec, exec, s[2:3]
	s_movk_i32 s0, 0x48
	s_waitcnt vmcnt(0)
	ds_write2st64_b64 v1, v[2:3], v[4:5] offset1:2
	ds_write2st64_b64 v1, v[6:7], v[8:9] offset0:4 offset1:6
	ds_write2st64_b64 v1, v[10:11], v[12:13] offset0:8 offset1:10
	;; [unrolled: 1-line block ×4, first 2 shown]
	v_mad_u32_u24 v18, v0, s0, v1
	s_waitcnt lgkmcnt(0)
	s_barrier
	ds_read_b128 v[14:17], v18
	ds_read_b128 v[10:13], v18 offset:16
	ds_read_b128 v[6:9], v18 offset:32
	;; [unrolled: 1-line block ×4, first 2 shown]
	s_waitcnt lgkmcnt(4)
	v_add_f64 v[22:23], v[14:15], v[16:17]
	s_waitcnt lgkmcnt(3)
	v_add_f64 v[22:23], v[22:23], v[10:11]
	v_add_f64 v[22:23], v[22:23], v[12:13]
	s_waitcnt lgkmcnt(2)
	v_add_f64 v[22:23], v[22:23], v[6:7]
	;; [unrolled: 3-line block ×4, first 2 shown]
	v_add_f64 v[20:21], v[22:23], v[20:21]
	v_mbcnt_lo_u32_b32 v22, -1, 0
	v_mbcnt_hi_u32_b32 v28, -1, v22
	v_and_b32_e32 v26, 15, v28
	v_mov_b32_dpp v22, v20 row_shr:1 row_mask:0xf bank_mask:0xf
	v_mov_b32_dpp v23, v21 row_shr:1 row_mask:0xf bank_mask:0xf
	v_add_f64 v[22:23], v[20:21], v[22:23]
	v_cmp_eq_u32_e32 vcc, 0, v26
	v_cndmask_b32_e32 v22, v22, v20, vcc
	v_cndmask_b32_e32 v23, v23, v21, vcc
	v_cmp_lt_u32_e32 vcc, 1, v26
	v_mov_b32_dpp v24, v22 row_shr:2 row_mask:0xf bank_mask:0xf
	v_mov_b32_dpp v25, v23 row_shr:2 row_mask:0xf bank_mask:0xf
	v_add_f64 v[24:25], v[22:23], v[24:25]
	v_cndmask_b32_e32 v22, v22, v24, vcc
	v_cndmask_b32_e32 v23, v23, v25, vcc
	v_cmp_lt_u32_e32 vcc, 3, v26
	v_mov_b32_dpp v24, v22 row_shr:4 row_mask:0xf bank_mask:0xf
	v_mov_b32_dpp v25, v23 row_shr:4 row_mask:0xf bank_mask:0xf
	v_add_f64 v[24:25], v[22:23], v[24:25]
	;; [unrolled: 6-line block ×3, first 2 shown]
	s_load_dwordx2 s[4:5], s[4:5], 0x10
	v_cndmask_b32_e32 v22, v22, v24, vcc
	v_cndmask_b32_e32 v23, v23, v25, vcc
	v_and_b32_e32 v29, 16, v28
	v_mov_b32_dpp v24, v22 row_bcast:15 row_mask:0xf bank_mask:0xf
	v_mov_b32_dpp v25, v23 row_bcast:15 row_mask:0xf bank_mask:0xf
	v_add_f64 v[26:27], v[22:23], v[24:25]
	v_cmp_eq_u32_e64 s[0:1], 0, v29
	v_cndmask_b32_e64 v25, v27, v23, s[0:1]
	v_cndmask_b32_e64 v24, v26, v22, s[0:1]
	v_cmp_eq_u32_e32 vcc, 0, v28
	v_mov_b32_dpp v25, v25 row_bcast:31 row_mask:0xf bank_mask:0xf
	v_mov_b32_dpp v24, v24 row_bcast:31 row_mask:0xf bank_mask:0xf
	v_cmp_ne_u32_e64 s[2:3], 0, v28
	s_waitcnt lgkmcnt(0)
	s_barrier
	s_and_saveexec_b64 s[6:7], s[2:3]
; %bb.21:
	v_cndmask_b32_e64 v21, v27, v23, s[0:1]
	v_cndmask_b32_e64 v20, v26, v22, s[0:1]
	v_add_f64 v[22:23], v[20:21], v[24:25]
	v_cmp_lt_u32_e64 s[0:1], 31, v28
	v_cndmask_b32_e64 v21, v21, v23, s[0:1]
	v_cndmask_b32_e64 v20, v20, v22, s[0:1]
; %bb.22:
	s_or_b64 exec, exec, s[6:7]
	v_or_b32_e32 v22, 63, v0
	v_lshrrev_b32_e32 v25, 6, v0
	v_cmp_eq_u32_e64 s[0:1], v22, v0
	s_and_saveexec_b64 s[2:3], s[0:1]
	s_cbranch_execz .LBB4981_24
; %bb.23:
	v_lshlrev_b32_e32 v22, 3, v25
	ds_write_b64 v22, v[20:21]
.LBB4981_24:
	s_or_b64 exec, exec, s[2:3]
	v_cmp_gt_u32_e64 s[0:1], 2, v0
	s_waitcnt lgkmcnt(0)
	s_barrier
	s_and_saveexec_b64 s[2:3], s[0:1]
	s_cbranch_execz .LBB4981_26
; %bb.25:
	ds_read_b64 v[22:23], v1
	v_and_b32_e32 v24, 1, v28
	v_cmp_eq_u32_e64 s[0:1], 0, v24
	s_waitcnt lgkmcnt(0)
	v_mov_b32_dpp v26, v22 row_shr:1 row_mask:0xf bank_mask:0xf
	v_mov_b32_dpp v27, v23 row_shr:1 row_mask:0xf bank_mask:0xf
	v_add_f64 v[26:27], v[22:23], v[26:27]
	v_cndmask_b32_e64 v23, v27, v23, s[0:1]
	v_cndmask_b32_e64 v22, v26, v22, s[0:1]
	ds_write_b64 v1, v[22:23]
.LBB4981_26:
	s_or_b64 exec, exec, s[2:3]
	v_mul_u32_u24_e32 v24, 0x48, v0
	v_cmp_lt_u32_e64 s[0:1], 63, v0
	v_pk_mov_b32 v[22:23], s[4:5], s[4:5] op_sel:[0,1]
	s_waitcnt lgkmcnt(0)
	s_barrier
	s_and_saveexec_b64 s[2:3], s[0:1]
	s_cbranch_execz .LBB4981_28
; %bb.27:
	v_lshl_add_u32 v22, v25, 3, -8
	ds_read_b64 v[22:23], v22
	s_waitcnt lgkmcnt(0)
	v_add_f64 v[22:23], s[4:5], v[22:23]
.LBB4981_28:
	s_or_b64 exec, exec, s[2:3]
	v_add_u32_e32 v25, -1, v28
	v_and_b32_e32 v26, 64, v28
	v_cmp_lt_i32_e64 s[0:1], v25, v26
	v_cndmask_b32_e64 v25, v25, v28, s[0:1]
	v_add_f64 v[20:21], v[20:21], v[22:23]
	v_lshlrev_b32_e32 v25, 2, v25
	ds_bpermute_b32 v20, v25, v20
	ds_bpermute_b32 v21, v25, v21
	s_waitcnt lgkmcnt(0)
	s_barrier
	v_cndmask_b32_e32 v20, v20, v22, vcc
	v_cndmask_b32_e32 v21, v21, v23, vcc
	v_mov_b32_e32 v22, s5
	v_cmp_eq_u32_e32 vcc, 0, v0
	v_mov_b32_e32 v0, s4
	v_cndmask_b32_e32 v21, v21, v22, vcc
	v_cndmask_b32_e32 v20, v20, v0, vcc
	v_add_f64 v[22:23], v[14:15], v[20:21]
	v_add_f64 v[14:15], v[16:17], v[22:23]
	;; [unrolled: 1-line block ×8, first 2 shown]
	v_add_u32_e32 v0, v1, v24
	v_add_f64 v[4:5], v[18:19], v[2:3]
	ds_write_b128 v0, v[20:23]
	ds_write_b128 v0, v[14:17] offset:16
	ds_write_b128 v0, v[10:13] offset:32
	;; [unrolled: 1-line block ×4, first 2 shown]
	s_waitcnt lgkmcnt(0)
	s_barrier
	s_endpgm
	.section	.rodata,"a",@progbits
	.p2align	6, 0x0
	.amdhsa_kernel _ZN7rocprim17ROCPRIM_400000_NS6detail17trampoline_kernelINS0_14default_configENS1_20scan_config_selectorIdEEZZNS1_9scan_implILNS1_25lookback_scan_determinismE0ELb1ELb1ES3_N6thrust23THRUST_200600_302600_NS6detail15normal_iteratorINS9_10device_ptrIdEEEENS9_16discard_iteratorINS9_11use_defaultEEEdNS9_4plusIvEEdEEDaPvRmT3_T4_T5_mT6_P12ihipStream_tbENKUlT_T0_E_clISt17integral_constantIbLb1EESW_IbLb0EEEEDaSS_ST_EUlSS_E0_NS1_11comp_targetILNS1_3genE4ELNS1_11target_archE910ELNS1_3gpuE8ELNS1_3repE0EEENS1_30default_config_static_selectorELNS0_4arch9wavefront6targetE1EEEvT1_
		.amdhsa_group_segment_fixed_size 10240
		.amdhsa_private_segment_fixed_size 0
		.amdhsa_kernarg_size 48
		.amdhsa_user_sgpr_count 6
		.amdhsa_user_sgpr_private_segment_buffer 1
		.amdhsa_user_sgpr_dispatch_ptr 0
		.amdhsa_user_sgpr_queue_ptr 0
		.amdhsa_user_sgpr_kernarg_segment_ptr 1
		.amdhsa_user_sgpr_dispatch_id 0
		.amdhsa_user_sgpr_flat_scratch_init 0
		.amdhsa_user_sgpr_kernarg_preload_length 0
		.amdhsa_user_sgpr_kernarg_preload_offset 0
		.amdhsa_user_sgpr_private_segment_size 0
		.amdhsa_uses_dynamic_stack 0
		.amdhsa_system_sgpr_private_segment_wavefront_offset 0
		.amdhsa_system_sgpr_workgroup_id_x 1
		.amdhsa_system_sgpr_workgroup_id_y 0
		.amdhsa_system_sgpr_workgroup_id_z 0
		.amdhsa_system_sgpr_workgroup_info 0
		.amdhsa_system_vgpr_workitem_id 0
		.amdhsa_next_free_vgpr 30
		.amdhsa_next_free_sgpr 10
		.amdhsa_accum_offset 32
		.amdhsa_reserve_vcc 1
		.amdhsa_reserve_flat_scratch 0
		.amdhsa_float_round_mode_32 0
		.amdhsa_float_round_mode_16_64 0
		.amdhsa_float_denorm_mode_32 3
		.amdhsa_float_denorm_mode_16_64 3
		.amdhsa_dx10_clamp 1
		.amdhsa_ieee_mode 1
		.amdhsa_fp16_overflow 0
		.amdhsa_tg_split 0
		.amdhsa_exception_fp_ieee_invalid_op 0
		.amdhsa_exception_fp_denorm_src 0
		.amdhsa_exception_fp_ieee_div_zero 0
		.amdhsa_exception_fp_ieee_overflow 0
		.amdhsa_exception_fp_ieee_underflow 0
		.amdhsa_exception_fp_ieee_inexact 0
		.amdhsa_exception_int_div_zero 0
	.end_amdhsa_kernel
	.section	.text._ZN7rocprim17ROCPRIM_400000_NS6detail17trampoline_kernelINS0_14default_configENS1_20scan_config_selectorIdEEZZNS1_9scan_implILNS1_25lookback_scan_determinismE0ELb1ELb1ES3_N6thrust23THRUST_200600_302600_NS6detail15normal_iteratorINS9_10device_ptrIdEEEENS9_16discard_iteratorINS9_11use_defaultEEEdNS9_4plusIvEEdEEDaPvRmT3_T4_T5_mT6_P12ihipStream_tbENKUlT_T0_E_clISt17integral_constantIbLb1EESW_IbLb0EEEEDaSS_ST_EUlSS_E0_NS1_11comp_targetILNS1_3genE4ELNS1_11target_archE910ELNS1_3gpuE8ELNS1_3repE0EEENS1_30default_config_static_selectorELNS0_4arch9wavefront6targetE1EEEvT1_,"axG",@progbits,_ZN7rocprim17ROCPRIM_400000_NS6detail17trampoline_kernelINS0_14default_configENS1_20scan_config_selectorIdEEZZNS1_9scan_implILNS1_25lookback_scan_determinismE0ELb1ELb1ES3_N6thrust23THRUST_200600_302600_NS6detail15normal_iteratorINS9_10device_ptrIdEEEENS9_16discard_iteratorINS9_11use_defaultEEEdNS9_4plusIvEEdEEDaPvRmT3_T4_T5_mT6_P12ihipStream_tbENKUlT_T0_E_clISt17integral_constantIbLb1EESW_IbLb0EEEEDaSS_ST_EUlSS_E0_NS1_11comp_targetILNS1_3genE4ELNS1_11target_archE910ELNS1_3gpuE8ELNS1_3repE0EEENS1_30default_config_static_selectorELNS0_4arch9wavefront6targetE1EEEvT1_,comdat
.Lfunc_end4981:
	.size	_ZN7rocprim17ROCPRIM_400000_NS6detail17trampoline_kernelINS0_14default_configENS1_20scan_config_selectorIdEEZZNS1_9scan_implILNS1_25lookback_scan_determinismE0ELb1ELb1ES3_N6thrust23THRUST_200600_302600_NS6detail15normal_iteratorINS9_10device_ptrIdEEEENS9_16discard_iteratorINS9_11use_defaultEEEdNS9_4plusIvEEdEEDaPvRmT3_T4_T5_mT6_P12ihipStream_tbENKUlT_T0_E_clISt17integral_constantIbLb1EESW_IbLb0EEEEDaSS_ST_EUlSS_E0_NS1_11comp_targetILNS1_3genE4ELNS1_11target_archE910ELNS1_3gpuE8ELNS1_3repE0EEENS1_30default_config_static_selectorELNS0_4arch9wavefront6targetE1EEEvT1_, .Lfunc_end4981-_ZN7rocprim17ROCPRIM_400000_NS6detail17trampoline_kernelINS0_14default_configENS1_20scan_config_selectorIdEEZZNS1_9scan_implILNS1_25lookback_scan_determinismE0ELb1ELb1ES3_N6thrust23THRUST_200600_302600_NS6detail15normal_iteratorINS9_10device_ptrIdEEEENS9_16discard_iteratorINS9_11use_defaultEEEdNS9_4plusIvEEdEEDaPvRmT3_T4_T5_mT6_P12ihipStream_tbENKUlT_T0_E_clISt17integral_constantIbLb1EESW_IbLb0EEEEDaSS_ST_EUlSS_E0_NS1_11comp_targetILNS1_3genE4ELNS1_11target_archE910ELNS1_3gpuE8ELNS1_3repE0EEENS1_30default_config_static_selectorELNS0_4arch9wavefront6targetE1EEEvT1_
                                        ; -- End function
	.section	.AMDGPU.csdata,"",@progbits
; Kernel info:
; codeLenInByte = 1384
; NumSgprs: 14
; NumVgprs: 30
; NumAgprs: 0
; TotalNumVgprs: 30
; ScratchSize: 0
; MemoryBound: 0
; FloatMode: 240
; IeeeMode: 1
; LDSByteSize: 10240 bytes/workgroup (compile time only)
; SGPRBlocks: 1
; VGPRBlocks: 3
; NumSGPRsForWavesPerEU: 14
; NumVGPRsForWavesPerEU: 30
; AccumOffset: 32
; Occupancy: 3
; WaveLimiterHint : 0
; COMPUTE_PGM_RSRC2:SCRATCH_EN: 0
; COMPUTE_PGM_RSRC2:USER_SGPR: 6
; COMPUTE_PGM_RSRC2:TRAP_HANDLER: 0
; COMPUTE_PGM_RSRC2:TGID_X_EN: 1
; COMPUTE_PGM_RSRC2:TGID_Y_EN: 0
; COMPUTE_PGM_RSRC2:TGID_Z_EN: 0
; COMPUTE_PGM_RSRC2:TIDIG_COMP_CNT: 0
; COMPUTE_PGM_RSRC3_GFX90A:ACCUM_OFFSET: 7
; COMPUTE_PGM_RSRC3_GFX90A:TG_SPLIT: 0
	.section	.text._ZN7rocprim17ROCPRIM_400000_NS6detail17trampoline_kernelINS0_14default_configENS1_20scan_config_selectorIdEEZZNS1_9scan_implILNS1_25lookback_scan_determinismE0ELb1ELb1ES3_N6thrust23THRUST_200600_302600_NS6detail15normal_iteratorINS9_10device_ptrIdEEEENS9_16discard_iteratorINS9_11use_defaultEEEdNS9_4plusIvEEdEEDaPvRmT3_T4_T5_mT6_P12ihipStream_tbENKUlT_T0_E_clISt17integral_constantIbLb1EESW_IbLb0EEEEDaSS_ST_EUlSS_E0_NS1_11comp_targetILNS1_3genE3ELNS1_11target_archE908ELNS1_3gpuE7ELNS1_3repE0EEENS1_30default_config_static_selectorELNS0_4arch9wavefront6targetE1EEEvT1_,"axG",@progbits,_ZN7rocprim17ROCPRIM_400000_NS6detail17trampoline_kernelINS0_14default_configENS1_20scan_config_selectorIdEEZZNS1_9scan_implILNS1_25lookback_scan_determinismE0ELb1ELb1ES3_N6thrust23THRUST_200600_302600_NS6detail15normal_iteratorINS9_10device_ptrIdEEEENS9_16discard_iteratorINS9_11use_defaultEEEdNS9_4plusIvEEdEEDaPvRmT3_T4_T5_mT6_P12ihipStream_tbENKUlT_T0_E_clISt17integral_constantIbLb1EESW_IbLb0EEEEDaSS_ST_EUlSS_E0_NS1_11comp_targetILNS1_3genE3ELNS1_11target_archE908ELNS1_3gpuE7ELNS1_3repE0EEENS1_30default_config_static_selectorELNS0_4arch9wavefront6targetE1EEEvT1_,comdat
	.protected	_ZN7rocprim17ROCPRIM_400000_NS6detail17trampoline_kernelINS0_14default_configENS1_20scan_config_selectorIdEEZZNS1_9scan_implILNS1_25lookback_scan_determinismE0ELb1ELb1ES3_N6thrust23THRUST_200600_302600_NS6detail15normal_iteratorINS9_10device_ptrIdEEEENS9_16discard_iteratorINS9_11use_defaultEEEdNS9_4plusIvEEdEEDaPvRmT3_T4_T5_mT6_P12ihipStream_tbENKUlT_T0_E_clISt17integral_constantIbLb1EESW_IbLb0EEEEDaSS_ST_EUlSS_E0_NS1_11comp_targetILNS1_3genE3ELNS1_11target_archE908ELNS1_3gpuE7ELNS1_3repE0EEENS1_30default_config_static_selectorELNS0_4arch9wavefront6targetE1EEEvT1_ ; -- Begin function _ZN7rocprim17ROCPRIM_400000_NS6detail17trampoline_kernelINS0_14default_configENS1_20scan_config_selectorIdEEZZNS1_9scan_implILNS1_25lookback_scan_determinismE0ELb1ELb1ES3_N6thrust23THRUST_200600_302600_NS6detail15normal_iteratorINS9_10device_ptrIdEEEENS9_16discard_iteratorINS9_11use_defaultEEEdNS9_4plusIvEEdEEDaPvRmT3_T4_T5_mT6_P12ihipStream_tbENKUlT_T0_E_clISt17integral_constantIbLb1EESW_IbLb0EEEEDaSS_ST_EUlSS_E0_NS1_11comp_targetILNS1_3genE3ELNS1_11target_archE908ELNS1_3gpuE7ELNS1_3repE0EEENS1_30default_config_static_selectorELNS0_4arch9wavefront6targetE1EEEvT1_
	.globl	_ZN7rocprim17ROCPRIM_400000_NS6detail17trampoline_kernelINS0_14default_configENS1_20scan_config_selectorIdEEZZNS1_9scan_implILNS1_25lookback_scan_determinismE0ELb1ELb1ES3_N6thrust23THRUST_200600_302600_NS6detail15normal_iteratorINS9_10device_ptrIdEEEENS9_16discard_iteratorINS9_11use_defaultEEEdNS9_4plusIvEEdEEDaPvRmT3_T4_T5_mT6_P12ihipStream_tbENKUlT_T0_E_clISt17integral_constantIbLb1EESW_IbLb0EEEEDaSS_ST_EUlSS_E0_NS1_11comp_targetILNS1_3genE3ELNS1_11target_archE908ELNS1_3gpuE7ELNS1_3repE0EEENS1_30default_config_static_selectorELNS0_4arch9wavefront6targetE1EEEvT1_
	.p2align	8
	.type	_ZN7rocprim17ROCPRIM_400000_NS6detail17trampoline_kernelINS0_14default_configENS1_20scan_config_selectorIdEEZZNS1_9scan_implILNS1_25lookback_scan_determinismE0ELb1ELb1ES3_N6thrust23THRUST_200600_302600_NS6detail15normal_iteratorINS9_10device_ptrIdEEEENS9_16discard_iteratorINS9_11use_defaultEEEdNS9_4plusIvEEdEEDaPvRmT3_T4_T5_mT6_P12ihipStream_tbENKUlT_T0_E_clISt17integral_constantIbLb1EESW_IbLb0EEEEDaSS_ST_EUlSS_E0_NS1_11comp_targetILNS1_3genE3ELNS1_11target_archE908ELNS1_3gpuE7ELNS1_3repE0EEENS1_30default_config_static_selectorELNS0_4arch9wavefront6targetE1EEEvT1_,@function
_ZN7rocprim17ROCPRIM_400000_NS6detail17trampoline_kernelINS0_14default_configENS1_20scan_config_selectorIdEEZZNS1_9scan_implILNS1_25lookback_scan_determinismE0ELb1ELb1ES3_N6thrust23THRUST_200600_302600_NS6detail15normal_iteratorINS9_10device_ptrIdEEEENS9_16discard_iteratorINS9_11use_defaultEEEdNS9_4plusIvEEdEEDaPvRmT3_T4_T5_mT6_P12ihipStream_tbENKUlT_T0_E_clISt17integral_constantIbLb1EESW_IbLb0EEEEDaSS_ST_EUlSS_E0_NS1_11comp_targetILNS1_3genE3ELNS1_11target_archE908ELNS1_3gpuE7ELNS1_3repE0EEENS1_30default_config_static_selectorELNS0_4arch9wavefront6targetE1EEEvT1_: ; @_ZN7rocprim17ROCPRIM_400000_NS6detail17trampoline_kernelINS0_14default_configENS1_20scan_config_selectorIdEEZZNS1_9scan_implILNS1_25lookback_scan_determinismE0ELb1ELb1ES3_N6thrust23THRUST_200600_302600_NS6detail15normal_iteratorINS9_10device_ptrIdEEEENS9_16discard_iteratorINS9_11use_defaultEEEdNS9_4plusIvEEdEEDaPvRmT3_T4_T5_mT6_P12ihipStream_tbENKUlT_T0_E_clISt17integral_constantIbLb1EESW_IbLb0EEEEDaSS_ST_EUlSS_E0_NS1_11comp_targetILNS1_3genE3ELNS1_11target_archE908ELNS1_3gpuE7ELNS1_3repE0EEENS1_30default_config_static_selectorELNS0_4arch9wavefront6targetE1EEEvT1_
; %bb.0:
	.section	.rodata,"a",@progbits
	.p2align	6, 0x0
	.amdhsa_kernel _ZN7rocprim17ROCPRIM_400000_NS6detail17trampoline_kernelINS0_14default_configENS1_20scan_config_selectorIdEEZZNS1_9scan_implILNS1_25lookback_scan_determinismE0ELb1ELb1ES3_N6thrust23THRUST_200600_302600_NS6detail15normal_iteratorINS9_10device_ptrIdEEEENS9_16discard_iteratorINS9_11use_defaultEEEdNS9_4plusIvEEdEEDaPvRmT3_T4_T5_mT6_P12ihipStream_tbENKUlT_T0_E_clISt17integral_constantIbLb1EESW_IbLb0EEEEDaSS_ST_EUlSS_E0_NS1_11comp_targetILNS1_3genE3ELNS1_11target_archE908ELNS1_3gpuE7ELNS1_3repE0EEENS1_30default_config_static_selectorELNS0_4arch9wavefront6targetE1EEEvT1_
		.amdhsa_group_segment_fixed_size 0
		.amdhsa_private_segment_fixed_size 0
		.amdhsa_kernarg_size 48
		.amdhsa_user_sgpr_count 6
		.amdhsa_user_sgpr_private_segment_buffer 1
		.amdhsa_user_sgpr_dispatch_ptr 0
		.amdhsa_user_sgpr_queue_ptr 0
		.amdhsa_user_sgpr_kernarg_segment_ptr 1
		.amdhsa_user_sgpr_dispatch_id 0
		.amdhsa_user_sgpr_flat_scratch_init 0
		.amdhsa_user_sgpr_kernarg_preload_length 0
		.amdhsa_user_sgpr_kernarg_preload_offset 0
		.amdhsa_user_sgpr_private_segment_size 0
		.amdhsa_uses_dynamic_stack 0
		.amdhsa_system_sgpr_private_segment_wavefront_offset 0
		.amdhsa_system_sgpr_workgroup_id_x 1
		.amdhsa_system_sgpr_workgroup_id_y 0
		.amdhsa_system_sgpr_workgroup_id_z 0
		.amdhsa_system_sgpr_workgroup_info 0
		.amdhsa_system_vgpr_workitem_id 0
		.amdhsa_next_free_vgpr 1
		.amdhsa_next_free_sgpr 0
		.amdhsa_accum_offset 4
		.amdhsa_reserve_vcc 0
		.amdhsa_reserve_flat_scratch 0
		.amdhsa_float_round_mode_32 0
		.amdhsa_float_round_mode_16_64 0
		.amdhsa_float_denorm_mode_32 3
		.amdhsa_float_denorm_mode_16_64 3
		.amdhsa_dx10_clamp 1
		.amdhsa_ieee_mode 1
		.amdhsa_fp16_overflow 0
		.amdhsa_tg_split 0
		.amdhsa_exception_fp_ieee_invalid_op 0
		.amdhsa_exception_fp_denorm_src 0
		.amdhsa_exception_fp_ieee_div_zero 0
		.amdhsa_exception_fp_ieee_overflow 0
		.amdhsa_exception_fp_ieee_underflow 0
		.amdhsa_exception_fp_ieee_inexact 0
		.amdhsa_exception_int_div_zero 0
	.end_amdhsa_kernel
	.section	.text._ZN7rocprim17ROCPRIM_400000_NS6detail17trampoline_kernelINS0_14default_configENS1_20scan_config_selectorIdEEZZNS1_9scan_implILNS1_25lookback_scan_determinismE0ELb1ELb1ES3_N6thrust23THRUST_200600_302600_NS6detail15normal_iteratorINS9_10device_ptrIdEEEENS9_16discard_iteratorINS9_11use_defaultEEEdNS9_4plusIvEEdEEDaPvRmT3_T4_T5_mT6_P12ihipStream_tbENKUlT_T0_E_clISt17integral_constantIbLb1EESW_IbLb0EEEEDaSS_ST_EUlSS_E0_NS1_11comp_targetILNS1_3genE3ELNS1_11target_archE908ELNS1_3gpuE7ELNS1_3repE0EEENS1_30default_config_static_selectorELNS0_4arch9wavefront6targetE1EEEvT1_,"axG",@progbits,_ZN7rocprim17ROCPRIM_400000_NS6detail17trampoline_kernelINS0_14default_configENS1_20scan_config_selectorIdEEZZNS1_9scan_implILNS1_25lookback_scan_determinismE0ELb1ELb1ES3_N6thrust23THRUST_200600_302600_NS6detail15normal_iteratorINS9_10device_ptrIdEEEENS9_16discard_iteratorINS9_11use_defaultEEEdNS9_4plusIvEEdEEDaPvRmT3_T4_T5_mT6_P12ihipStream_tbENKUlT_T0_E_clISt17integral_constantIbLb1EESW_IbLb0EEEEDaSS_ST_EUlSS_E0_NS1_11comp_targetILNS1_3genE3ELNS1_11target_archE908ELNS1_3gpuE7ELNS1_3repE0EEENS1_30default_config_static_selectorELNS0_4arch9wavefront6targetE1EEEvT1_,comdat
.Lfunc_end4982:
	.size	_ZN7rocprim17ROCPRIM_400000_NS6detail17trampoline_kernelINS0_14default_configENS1_20scan_config_selectorIdEEZZNS1_9scan_implILNS1_25lookback_scan_determinismE0ELb1ELb1ES3_N6thrust23THRUST_200600_302600_NS6detail15normal_iteratorINS9_10device_ptrIdEEEENS9_16discard_iteratorINS9_11use_defaultEEEdNS9_4plusIvEEdEEDaPvRmT3_T4_T5_mT6_P12ihipStream_tbENKUlT_T0_E_clISt17integral_constantIbLb1EESW_IbLb0EEEEDaSS_ST_EUlSS_E0_NS1_11comp_targetILNS1_3genE3ELNS1_11target_archE908ELNS1_3gpuE7ELNS1_3repE0EEENS1_30default_config_static_selectorELNS0_4arch9wavefront6targetE1EEEvT1_, .Lfunc_end4982-_ZN7rocprim17ROCPRIM_400000_NS6detail17trampoline_kernelINS0_14default_configENS1_20scan_config_selectorIdEEZZNS1_9scan_implILNS1_25lookback_scan_determinismE0ELb1ELb1ES3_N6thrust23THRUST_200600_302600_NS6detail15normal_iteratorINS9_10device_ptrIdEEEENS9_16discard_iteratorINS9_11use_defaultEEEdNS9_4plusIvEEdEEDaPvRmT3_T4_T5_mT6_P12ihipStream_tbENKUlT_T0_E_clISt17integral_constantIbLb1EESW_IbLb0EEEEDaSS_ST_EUlSS_E0_NS1_11comp_targetILNS1_3genE3ELNS1_11target_archE908ELNS1_3gpuE7ELNS1_3repE0EEENS1_30default_config_static_selectorELNS0_4arch9wavefront6targetE1EEEvT1_
                                        ; -- End function
	.section	.AMDGPU.csdata,"",@progbits
; Kernel info:
; codeLenInByte = 0
; NumSgprs: 4
; NumVgprs: 0
; NumAgprs: 0
; TotalNumVgprs: 0
; ScratchSize: 0
; MemoryBound: 0
; FloatMode: 240
; IeeeMode: 1
; LDSByteSize: 0 bytes/workgroup (compile time only)
; SGPRBlocks: 0
; VGPRBlocks: 0
; NumSGPRsForWavesPerEU: 4
; NumVGPRsForWavesPerEU: 1
; AccumOffset: 4
; Occupancy: 8
; WaveLimiterHint : 0
; COMPUTE_PGM_RSRC2:SCRATCH_EN: 0
; COMPUTE_PGM_RSRC2:USER_SGPR: 6
; COMPUTE_PGM_RSRC2:TRAP_HANDLER: 0
; COMPUTE_PGM_RSRC2:TGID_X_EN: 1
; COMPUTE_PGM_RSRC2:TGID_Y_EN: 0
; COMPUTE_PGM_RSRC2:TGID_Z_EN: 0
; COMPUTE_PGM_RSRC2:TIDIG_COMP_CNT: 0
; COMPUTE_PGM_RSRC3_GFX90A:ACCUM_OFFSET: 0
; COMPUTE_PGM_RSRC3_GFX90A:TG_SPLIT: 0
	.section	.text._ZN7rocprim17ROCPRIM_400000_NS6detail17trampoline_kernelINS0_14default_configENS1_20scan_config_selectorIdEEZZNS1_9scan_implILNS1_25lookback_scan_determinismE0ELb1ELb1ES3_N6thrust23THRUST_200600_302600_NS6detail15normal_iteratorINS9_10device_ptrIdEEEENS9_16discard_iteratorINS9_11use_defaultEEEdNS9_4plusIvEEdEEDaPvRmT3_T4_T5_mT6_P12ihipStream_tbENKUlT_T0_E_clISt17integral_constantIbLb1EESW_IbLb0EEEEDaSS_ST_EUlSS_E0_NS1_11comp_targetILNS1_3genE2ELNS1_11target_archE906ELNS1_3gpuE6ELNS1_3repE0EEENS1_30default_config_static_selectorELNS0_4arch9wavefront6targetE1EEEvT1_,"axG",@progbits,_ZN7rocprim17ROCPRIM_400000_NS6detail17trampoline_kernelINS0_14default_configENS1_20scan_config_selectorIdEEZZNS1_9scan_implILNS1_25lookback_scan_determinismE0ELb1ELb1ES3_N6thrust23THRUST_200600_302600_NS6detail15normal_iteratorINS9_10device_ptrIdEEEENS9_16discard_iteratorINS9_11use_defaultEEEdNS9_4plusIvEEdEEDaPvRmT3_T4_T5_mT6_P12ihipStream_tbENKUlT_T0_E_clISt17integral_constantIbLb1EESW_IbLb0EEEEDaSS_ST_EUlSS_E0_NS1_11comp_targetILNS1_3genE2ELNS1_11target_archE906ELNS1_3gpuE6ELNS1_3repE0EEENS1_30default_config_static_selectorELNS0_4arch9wavefront6targetE1EEEvT1_,comdat
	.protected	_ZN7rocprim17ROCPRIM_400000_NS6detail17trampoline_kernelINS0_14default_configENS1_20scan_config_selectorIdEEZZNS1_9scan_implILNS1_25lookback_scan_determinismE0ELb1ELb1ES3_N6thrust23THRUST_200600_302600_NS6detail15normal_iteratorINS9_10device_ptrIdEEEENS9_16discard_iteratorINS9_11use_defaultEEEdNS9_4plusIvEEdEEDaPvRmT3_T4_T5_mT6_P12ihipStream_tbENKUlT_T0_E_clISt17integral_constantIbLb1EESW_IbLb0EEEEDaSS_ST_EUlSS_E0_NS1_11comp_targetILNS1_3genE2ELNS1_11target_archE906ELNS1_3gpuE6ELNS1_3repE0EEENS1_30default_config_static_selectorELNS0_4arch9wavefront6targetE1EEEvT1_ ; -- Begin function _ZN7rocprim17ROCPRIM_400000_NS6detail17trampoline_kernelINS0_14default_configENS1_20scan_config_selectorIdEEZZNS1_9scan_implILNS1_25lookback_scan_determinismE0ELb1ELb1ES3_N6thrust23THRUST_200600_302600_NS6detail15normal_iteratorINS9_10device_ptrIdEEEENS9_16discard_iteratorINS9_11use_defaultEEEdNS9_4plusIvEEdEEDaPvRmT3_T4_T5_mT6_P12ihipStream_tbENKUlT_T0_E_clISt17integral_constantIbLb1EESW_IbLb0EEEEDaSS_ST_EUlSS_E0_NS1_11comp_targetILNS1_3genE2ELNS1_11target_archE906ELNS1_3gpuE6ELNS1_3repE0EEENS1_30default_config_static_selectorELNS0_4arch9wavefront6targetE1EEEvT1_
	.globl	_ZN7rocprim17ROCPRIM_400000_NS6detail17trampoline_kernelINS0_14default_configENS1_20scan_config_selectorIdEEZZNS1_9scan_implILNS1_25lookback_scan_determinismE0ELb1ELb1ES3_N6thrust23THRUST_200600_302600_NS6detail15normal_iteratorINS9_10device_ptrIdEEEENS9_16discard_iteratorINS9_11use_defaultEEEdNS9_4plusIvEEdEEDaPvRmT3_T4_T5_mT6_P12ihipStream_tbENKUlT_T0_E_clISt17integral_constantIbLb1EESW_IbLb0EEEEDaSS_ST_EUlSS_E0_NS1_11comp_targetILNS1_3genE2ELNS1_11target_archE906ELNS1_3gpuE6ELNS1_3repE0EEENS1_30default_config_static_selectorELNS0_4arch9wavefront6targetE1EEEvT1_
	.p2align	8
	.type	_ZN7rocprim17ROCPRIM_400000_NS6detail17trampoline_kernelINS0_14default_configENS1_20scan_config_selectorIdEEZZNS1_9scan_implILNS1_25lookback_scan_determinismE0ELb1ELb1ES3_N6thrust23THRUST_200600_302600_NS6detail15normal_iteratorINS9_10device_ptrIdEEEENS9_16discard_iteratorINS9_11use_defaultEEEdNS9_4plusIvEEdEEDaPvRmT3_T4_T5_mT6_P12ihipStream_tbENKUlT_T0_E_clISt17integral_constantIbLb1EESW_IbLb0EEEEDaSS_ST_EUlSS_E0_NS1_11comp_targetILNS1_3genE2ELNS1_11target_archE906ELNS1_3gpuE6ELNS1_3repE0EEENS1_30default_config_static_selectorELNS0_4arch9wavefront6targetE1EEEvT1_,@function
_ZN7rocprim17ROCPRIM_400000_NS6detail17trampoline_kernelINS0_14default_configENS1_20scan_config_selectorIdEEZZNS1_9scan_implILNS1_25lookback_scan_determinismE0ELb1ELb1ES3_N6thrust23THRUST_200600_302600_NS6detail15normal_iteratorINS9_10device_ptrIdEEEENS9_16discard_iteratorINS9_11use_defaultEEEdNS9_4plusIvEEdEEDaPvRmT3_T4_T5_mT6_P12ihipStream_tbENKUlT_T0_E_clISt17integral_constantIbLb1EESW_IbLb0EEEEDaSS_ST_EUlSS_E0_NS1_11comp_targetILNS1_3genE2ELNS1_11target_archE906ELNS1_3gpuE6ELNS1_3repE0EEENS1_30default_config_static_selectorELNS0_4arch9wavefront6targetE1EEEvT1_: ; @_ZN7rocprim17ROCPRIM_400000_NS6detail17trampoline_kernelINS0_14default_configENS1_20scan_config_selectorIdEEZZNS1_9scan_implILNS1_25lookback_scan_determinismE0ELb1ELb1ES3_N6thrust23THRUST_200600_302600_NS6detail15normal_iteratorINS9_10device_ptrIdEEEENS9_16discard_iteratorINS9_11use_defaultEEEdNS9_4plusIvEEdEEDaPvRmT3_T4_T5_mT6_P12ihipStream_tbENKUlT_T0_E_clISt17integral_constantIbLb1EESW_IbLb0EEEEDaSS_ST_EUlSS_E0_NS1_11comp_targetILNS1_3genE2ELNS1_11target_archE906ELNS1_3gpuE6ELNS1_3repE0EEENS1_30default_config_static_selectorELNS0_4arch9wavefront6targetE1EEEvT1_
; %bb.0:
	.section	.rodata,"a",@progbits
	.p2align	6, 0x0
	.amdhsa_kernel _ZN7rocprim17ROCPRIM_400000_NS6detail17trampoline_kernelINS0_14default_configENS1_20scan_config_selectorIdEEZZNS1_9scan_implILNS1_25lookback_scan_determinismE0ELb1ELb1ES3_N6thrust23THRUST_200600_302600_NS6detail15normal_iteratorINS9_10device_ptrIdEEEENS9_16discard_iteratorINS9_11use_defaultEEEdNS9_4plusIvEEdEEDaPvRmT3_T4_T5_mT6_P12ihipStream_tbENKUlT_T0_E_clISt17integral_constantIbLb1EESW_IbLb0EEEEDaSS_ST_EUlSS_E0_NS1_11comp_targetILNS1_3genE2ELNS1_11target_archE906ELNS1_3gpuE6ELNS1_3repE0EEENS1_30default_config_static_selectorELNS0_4arch9wavefront6targetE1EEEvT1_
		.amdhsa_group_segment_fixed_size 0
		.amdhsa_private_segment_fixed_size 0
		.amdhsa_kernarg_size 48
		.amdhsa_user_sgpr_count 6
		.amdhsa_user_sgpr_private_segment_buffer 1
		.amdhsa_user_sgpr_dispatch_ptr 0
		.amdhsa_user_sgpr_queue_ptr 0
		.amdhsa_user_sgpr_kernarg_segment_ptr 1
		.amdhsa_user_sgpr_dispatch_id 0
		.amdhsa_user_sgpr_flat_scratch_init 0
		.amdhsa_user_sgpr_kernarg_preload_length 0
		.amdhsa_user_sgpr_kernarg_preload_offset 0
		.amdhsa_user_sgpr_private_segment_size 0
		.amdhsa_uses_dynamic_stack 0
		.amdhsa_system_sgpr_private_segment_wavefront_offset 0
		.amdhsa_system_sgpr_workgroup_id_x 1
		.amdhsa_system_sgpr_workgroup_id_y 0
		.amdhsa_system_sgpr_workgroup_id_z 0
		.amdhsa_system_sgpr_workgroup_info 0
		.amdhsa_system_vgpr_workitem_id 0
		.amdhsa_next_free_vgpr 1
		.amdhsa_next_free_sgpr 0
		.amdhsa_accum_offset 4
		.amdhsa_reserve_vcc 0
		.amdhsa_reserve_flat_scratch 0
		.amdhsa_float_round_mode_32 0
		.amdhsa_float_round_mode_16_64 0
		.amdhsa_float_denorm_mode_32 3
		.amdhsa_float_denorm_mode_16_64 3
		.amdhsa_dx10_clamp 1
		.amdhsa_ieee_mode 1
		.amdhsa_fp16_overflow 0
		.amdhsa_tg_split 0
		.amdhsa_exception_fp_ieee_invalid_op 0
		.amdhsa_exception_fp_denorm_src 0
		.amdhsa_exception_fp_ieee_div_zero 0
		.amdhsa_exception_fp_ieee_overflow 0
		.amdhsa_exception_fp_ieee_underflow 0
		.amdhsa_exception_fp_ieee_inexact 0
		.amdhsa_exception_int_div_zero 0
	.end_amdhsa_kernel
	.section	.text._ZN7rocprim17ROCPRIM_400000_NS6detail17trampoline_kernelINS0_14default_configENS1_20scan_config_selectorIdEEZZNS1_9scan_implILNS1_25lookback_scan_determinismE0ELb1ELb1ES3_N6thrust23THRUST_200600_302600_NS6detail15normal_iteratorINS9_10device_ptrIdEEEENS9_16discard_iteratorINS9_11use_defaultEEEdNS9_4plusIvEEdEEDaPvRmT3_T4_T5_mT6_P12ihipStream_tbENKUlT_T0_E_clISt17integral_constantIbLb1EESW_IbLb0EEEEDaSS_ST_EUlSS_E0_NS1_11comp_targetILNS1_3genE2ELNS1_11target_archE906ELNS1_3gpuE6ELNS1_3repE0EEENS1_30default_config_static_selectorELNS0_4arch9wavefront6targetE1EEEvT1_,"axG",@progbits,_ZN7rocprim17ROCPRIM_400000_NS6detail17trampoline_kernelINS0_14default_configENS1_20scan_config_selectorIdEEZZNS1_9scan_implILNS1_25lookback_scan_determinismE0ELb1ELb1ES3_N6thrust23THRUST_200600_302600_NS6detail15normal_iteratorINS9_10device_ptrIdEEEENS9_16discard_iteratorINS9_11use_defaultEEEdNS9_4plusIvEEdEEDaPvRmT3_T4_T5_mT6_P12ihipStream_tbENKUlT_T0_E_clISt17integral_constantIbLb1EESW_IbLb0EEEEDaSS_ST_EUlSS_E0_NS1_11comp_targetILNS1_3genE2ELNS1_11target_archE906ELNS1_3gpuE6ELNS1_3repE0EEENS1_30default_config_static_selectorELNS0_4arch9wavefront6targetE1EEEvT1_,comdat
.Lfunc_end4983:
	.size	_ZN7rocprim17ROCPRIM_400000_NS6detail17trampoline_kernelINS0_14default_configENS1_20scan_config_selectorIdEEZZNS1_9scan_implILNS1_25lookback_scan_determinismE0ELb1ELb1ES3_N6thrust23THRUST_200600_302600_NS6detail15normal_iteratorINS9_10device_ptrIdEEEENS9_16discard_iteratorINS9_11use_defaultEEEdNS9_4plusIvEEdEEDaPvRmT3_T4_T5_mT6_P12ihipStream_tbENKUlT_T0_E_clISt17integral_constantIbLb1EESW_IbLb0EEEEDaSS_ST_EUlSS_E0_NS1_11comp_targetILNS1_3genE2ELNS1_11target_archE906ELNS1_3gpuE6ELNS1_3repE0EEENS1_30default_config_static_selectorELNS0_4arch9wavefront6targetE1EEEvT1_, .Lfunc_end4983-_ZN7rocprim17ROCPRIM_400000_NS6detail17trampoline_kernelINS0_14default_configENS1_20scan_config_selectorIdEEZZNS1_9scan_implILNS1_25lookback_scan_determinismE0ELb1ELb1ES3_N6thrust23THRUST_200600_302600_NS6detail15normal_iteratorINS9_10device_ptrIdEEEENS9_16discard_iteratorINS9_11use_defaultEEEdNS9_4plusIvEEdEEDaPvRmT3_T4_T5_mT6_P12ihipStream_tbENKUlT_T0_E_clISt17integral_constantIbLb1EESW_IbLb0EEEEDaSS_ST_EUlSS_E0_NS1_11comp_targetILNS1_3genE2ELNS1_11target_archE906ELNS1_3gpuE6ELNS1_3repE0EEENS1_30default_config_static_selectorELNS0_4arch9wavefront6targetE1EEEvT1_
                                        ; -- End function
	.section	.AMDGPU.csdata,"",@progbits
; Kernel info:
; codeLenInByte = 0
; NumSgprs: 4
; NumVgprs: 0
; NumAgprs: 0
; TotalNumVgprs: 0
; ScratchSize: 0
; MemoryBound: 0
; FloatMode: 240
; IeeeMode: 1
; LDSByteSize: 0 bytes/workgroup (compile time only)
; SGPRBlocks: 0
; VGPRBlocks: 0
; NumSGPRsForWavesPerEU: 4
; NumVGPRsForWavesPerEU: 1
; AccumOffset: 4
; Occupancy: 8
; WaveLimiterHint : 0
; COMPUTE_PGM_RSRC2:SCRATCH_EN: 0
; COMPUTE_PGM_RSRC2:USER_SGPR: 6
; COMPUTE_PGM_RSRC2:TRAP_HANDLER: 0
; COMPUTE_PGM_RSRC2:TGID_X_EN: 1
; COMPUTE_PGM_RSRC2:TGID_Y_EN: 0
; COMPUTE_PGM_RSRC2:TGID_Z_EN: 0
; COMPUTE_PGM_RSRC2:TIDIG_COMP_CNT: 0
; COMPUTE_PGM_RSRC3_GFX90A:ACCUM_OFFSET: 0
; COMPUTE_PGM_RSRC3_GFX90A:TG_SPLIT: 0
	.section	.text._ZN7rocprim17ROCPRIM_400000_NS6detail17trampoline_kernelINS0_14default_configENS1_20scan_config_selectorIdEEZZNS1_9scan_implILNS1_25lookback_scan_determinismE0ELb1ELb1ES3_N6thrust23THRUST_200600_302600_NS6detail15normal_iteratorINS9_10device_ptrIdEEEENS9_16discard_iteratorINS9_11use_defaultEEEdNS9_4plusIvEEdEEDaPvRmT3_T4_T5_mT6_P12ihipStream_tbENKUlT_T0_E_clISt17integral_constantIbLb1EESW_IbLb0EEEEDaSS_ST_EUlSS_E0_NS1_11comp_targetILNS1_3genE10ELNS1_11target_archE1201ELNS1_3gpuE5ELNS1_3repE0EEENS1_30default_config_static_selectorELNS0_4arch9wavefront6targetE1EEEvT1_,"axG",@progbits,_ZN7rocprim17ROCPRIM_400000_NS6detail17trampoline_kernelINS0_14default_configENS1_20scan_config_selectorIdEEZZNS1_9scan_implILNS1_25lookback_scan_determinismE0ELb1ELb1ES3_N6thrust23THRUST_200600_302600_NS6detail15normal_iteratorINS9_10device_ptrIdEEEENS9_16discard_iteratorINS9_11use_defaultEEEdNS9_4plusIvEEdEEDaPvRmT3_T4_T5_mT6_P12ihipStream_tbENKUlT_T0_E_clISt17integral_constantIbLb1EESW_IbLb0EEEEDaSS_ST_EUlSS_E0_NS1_11comp_targetILNS1_3genE10ELNS1_11target_archE1201ELNS1_3gpuE5ELNS1_3repE0EEENS1_30default_config_static_selectorELNS0_4arch9wavefront6targetE1EEEvT1_,comdat
	.protected	_ZN7rocprim17ROCPRIM_400000_NS6detail17trampoline_kernelINS0_14default_configENS1_20scan_config_selectorIdEEZZNS1_9scan_implILNS1_25lookback_scan_determinismE0ELb1ELb1ES3_N6thrust23THRUST_200600_302600_NS6detail15normal_iteratorINS9_10device_ptrIdEEEENS9_16discard_iteratorINS9_11use_defaultEEEdNS9_4plusIvEEdEEDaPvRmT3_T4_T5_mT6_P12ihipStream_tbENKUlT_T0_E_clISt17integral_constantIbLb1EESW_IbLb0EEEEDaSS_ST_EUlSS_E0_NS1_11comp_targetILNS1_3genE10ELNS1_11target_archE1201ELNS1_3gpuE5ELNS1_3repE0EEENS1_30default_config_static_selectorELNS0_4arch9wavefront6targetE1EEEvT1_ ; -- Begin function _ZN7rocprim17ROCPRIM_400000_NS6detail17trampoline_kernelINS0_14default_configENS1_20scan_config_selectorIdEEZZNS1_9scan_implILNS1_25lookback_scan_determinismE0ELb1ELb1ES3_N6thrust23THRUST_200600_302600_NS6detail15normal_iteratorINS9_10device_ptrIdEEEENS9_16discard_iteratorINS9_11use_defaultEEEdNS9_4plusIvEEdEEDaPvRmT3_T4_T5_mT6_P12ihipStream_tbENKUlT_T0_E_clISt17integral_constantIbLb1EESW_IbLb0EEEEDaSS_ST_EUlSS_E0_NS1_11comp_targetILNS1_3genE10ELNS1_11target_archE1201ELNS1_3gpuE5ELNS1_3repE0EEENS1_30default_config_static_selectorELNS0_4arch9wavefront6targetE1EEEvT1_
	.globl	_ZN7rocprim17ROCPRIM_400000_NS6detail17trampoline_kernelINS0_14default_configENS1_20scan_config_selectorIdEEZZNS1_9scan_implILNS1_25lookback_scan_determinismE0ELb1ELb1ES3_N6thrust23THRUST_200600_302600_NS6detail15normal_iteratorINS9_10device_ptrIdEEEENS9_16discard_iteratorINS9_11use_defaultEEEdNS9_4plusIvEEdEEDaPvRmT3_T4_T5_mT6_P12ihipStream_tbENKUlT_T0_E_clISt17integral_constantIbLb1EESW_IbLb0EEEEDaSS_ST_EUlSS_E0_NS1_11comp_targetILNS1_3genE10ELNS1_11target_archE1201ELNS1_3gpuE5ELNS1_3repE0EEENS1_30default_config_static_selectorELNS0_4arch9wavefront6targetE1EEEvT1_
	.p2align	8
	.type	_ZN7rocprim17ROCPRIM_400000_NS6detail17trampoline_kernelINS0_14default_configENS1_20scan_config_selectorIdEEZZNS1_9scan_implILNS1_25lookback_scan_determinismE0ELb1ELb1ES3_N6thrust23THRUST_200600_302600_NS6detail15normal_iteratorINS9_10device_ptrIdEEEENS9_16discard_iteratorINS9_11use_defaultEEEdNS9_4plusIvEEdEEDaPvRmT3_T4_T5_mT6_P12ihipStream_tbENKUlT_T0_E_clISt17integral_constantIbLb1EESW_IbLb0EEEEDaSS_ST_EUlSS_E0_NS1_11comp_targetILNS1_3genE10ELNS1_11target_archE1201ELNS1_3gpuE5ELNS1_3repE0EEENS1_30default_config_static_selectorELNS0_4arch9wavefront6targetE1EEEvT1_,@function
_ZN7rocprim17ROCPRIM_400000_NS6detail17trampoline_kernelINS0_14default_configENS1_20scan_config_selectorIdEEZZNS1_9scan_implILNS1_25lookback_scan_determinismE0ELb1ELb1ES3_N6thrust23THRUST_200600_302600_NS6detail15normal_iteratorINS9_10device_ptrIdEEEENS9_16discard_iteratorINS9_11use_defaultEEEdNS9_4plusIvEEdEEDaPvRmT3_T4_T5_mT6_P12ihipStream_tbENKUlT_T0_E_clISt17integral_constantIbLb1EESW_IbLb0EEEEDaSS_ST_EUlSS_E0_NS1_11comp_targetILNS1_3genE10ELNS1_11target_archE1201ELNS1_3gpuE5ELNS1_3repE0EEENS1_30default_config_static_selectorELNS0_4arch9wavefront6targetE1EEEvT1_: ; @_ZN7rocprim17ROCPRIM_400000_NS6detail17trampoline_kernelINS0_14default_configENS1_20scan_config_selectorIdEEZZNS1_9scan_implILNS1_25lookback_scan_determinismE0ELb1ELb1ES3_N6thrust23THRUST_200600_302600_NS6detail15normal_iteratorINS9_10device_ptrIdEEEENS9_16discard_iteratorINS9_11use_defaultEEEdNS9_4plusIvEEdEEDaPvRmT3_T4_T5_mT6_P12ihipStream_tbENKUlT_T0_E_clISt17integral_constantIbLb1EESW_IbLb0EEEEDaSS_ST_EUlSS_E0_NS1_11comp_targetILNS1_3genE10ELNS1_11target_archE1201ELNS1_3gpuE5ELNS1_3repE0EEENS1_30default_config_static_selectorELNS0_4arch9wavefront6targetE1EEEvT1_
; %bb.0:
	.section	.rodata,"a",@progbits
	.p2align	6, 0x0
	.amdhsa_kernel _ZN7rocprim17ROCPRIM_400000_NS6detail17trampoline_kernelINS0_14default_configENS1_20scan_config_selectorIdEEZZNS1_9scan_implILNS1_25lookback_scan_determinismE0ELb1ELb1ES3_N6thrust23THRUST_200600_302600_NS6detail15normal_iteratorINS9_10device_ptrIdEEEENS9_16discard_iteratorINS9_11use_defaultEEEdNS9_4plusIvEEdEEDaPvRmT3_T4_T5_mT6_P12ihipStream_tbENKUlT_T0_E_clISt17integral_constantIbLb1EESW_IbLb0EEEEDaSS_ST_EUlSS_E0_NS1_11comp_targetILNS1_3genE10ELNS1_11target_archE1201ELNS1_3gpuE5ELNS1_3repE0EEENS1_30default_config_static_selectorELNS0_4arch9wavefront6targetE1EEEvT1_
		.amdhsa_group_segment_fixed_size 0
		.amdhsa_private_segment_fixed_size 0
		.amdhsa_kernarg_size 48
		.amdhsa_user_sgpr_count 6
		.amdhsa_user_sgpr_private_segment_buffer 1
		.amdhsa_user_sgpr_dispatch_ptr 0
		.amdhsa_user_sgpr_queue_ptr 0
		.amdhsa_user_sgpr_kernarg_segment_ptr 1
		.amdhsa_user_sgpr_dispatch_id 0
		.amdhsa_user_sgpr_flat_scratch_init 0
		.amdhsa_user_sgpr_kernarg_preload_length 0
		.amdhsa_user_sgpr_kernarg_preload_offset 0
		.amdhsa_user_sgpr_private_segment_size 0
		.amdhsa_uses_dynamic_stack 0
		.amdhsa_system_sgpr_private_segment_wavefront_offset 0
		.amdhsa_system_sgpr_workgroup_id_x 1
		.amdhsa_system_sgpr_workgroup_id_y 0
		.amdhsa_system_sgpr_workgroup_id_z 0
		.amdhsa_system_sgpr_workgroup_info 0
		.amdhsa_system_vgpr_workitem_id 0
		.amdhsa_next_free_vgpr 1
		.amdhsa_next_free_sgpr 0
		.amdhsa_accum_offset 4
		.amdhsa_reserve_vcc 0
		.amdhsa_reserve_flat_scratch 0
		.amdhsa_float_round_mode_32 0
		.amdhsa_float_round_mode_16_64 0
		.amdhsa_float_denorm_mode_32 3
		.amdhsa_float_denorm_mode_16_64 3
		.amdhsa_dx10_clamp 1
		.amdhsa_ieee_mode 1
		.amdhsa_fp16_overflow 0
		.amdhsa_tg_split 0
		.amdhsa_exception_fp_ieee_invalid_op 0
		.amdhsa_exception_fp_denorm_src 0
		.amdhsa_exception_fp_ieee_div_zero 0
		.amdhsa_exception_fp_ieee_overflow 0
		.amdhsa_exception_fp_ieee_underflow 0
		.amdhsa_exception_fp_ieee_inexact 0
		.amdhsa_exception_int_div_zero 0
	.end_amdhsa_kernel
	.section	.text._ZN7rocprim17ROCPRIM_400000_NS6detail17trampoline_kernelINS0_14default_configENS1_20scan_config_selectorIdEEZZNS1_9scan_implILNS1_25lookback_scan_determinismE0ELb1ELb1ES3_N6thrust23THRUST_200600_302600_NS6detail15normal_iteratorINS9_10device_ptrIdEEEENS9_16discard_iteratorINS9_11use_defaultEEEdNS9_4plusIvEEdEEDaPvRmT3_T4_T5_mT6_P12ihipStream_tbENKUlT_T0_E_clISt17integral_constantIbLb1EESW_IbLb0EEEEDaSS_ST_EUlSS_E0_NS1_11comp_targetILNS1_3genE10ELNS1_11target_archE1201ELNS1_3gpuE5ELNS1_3repE0EEENS1_30default_config_static_selectorELNS0_4arch9wavefront6targetE1EEEvT1_,"axG",@progbits,_ZN7rocprim17ROCPRIM_400000_NS6detail17trampoline_kernelINS0_14default_configENS1_20scan_config_selectorIdEEZZNS1_9scan_implILNS1_25lookback_scan_determinismE0ELb1ELb1ES3_N6thrust23THRUST_200600_302600_NS6detail15normal_iteratorINS9_10device_ptrIdEEEENS9_16discard_iteratorINS9_11use_defaultEEEdNS9_4plusIvEEdEEDaPvRmT3_T4_T5_mT6_P12ihipStream_tbENKUlT_T0_E_clISt17integral_constantIbLb1EESW_IbLb0EEEEDaSS_ST_EUlSS_E0_NS1_11comp_targetILNS1_3genE10ELNS1_11target_archE1201ELNS1_3gpuE5ELNS1_3repE0EEENS1_30default_config_static_selectorELNS0_4arch9wavefront6targetE1EEEvT1_,comdat
.Lfunc_end4984:
	.size	_ZN7rocprim17ROCPRIM_400000_NS6detail17trampoline_kernelINS0_14default_configENS1_20scan_config_selectorIdEEZZNS1_9scan_implILNS1_25lookback_scan_determinismE0ELb1ELb1ES3_N6thrust23THRUST_200600_302600_NS6detail15normal_iteratorINS9_10device_ptrIdEEEENS9_16discard_iteratorINS9_11use_defaultEEEdNS9_4plusIvEEdEEDaPvRmT3_T4_T5_mT6_P12ihipStream_tbENKUlT_T0_E_clISt17integral_constantIbLb1EESW_IbLb0EEEEDaSS_ST_EUlSS_E0_NS1_11comp_targetILNS1_3genE10ELNS1_11target_archE1201ELNS1_3gpuE5ELNS1_3repE0EEENS1_30default_config_static_selectorELNS0_4arch9wavefront6targetE1EEEvT1_, .Lfunc_end4984-_ZN7rocprim17ROCPRIM_400000_NS6detail17trampoline_kernelINS0_14default_configENS1_20scan_config_selectorIdEEZZNS1_9scan_implILNS1_25lookback_scan_determinismE0ELb1ELb1ES3_N6thrust23THRUST_200600_302600_NS6detail15normal_iteratorINS9_10device_ptrIdEEEENS9_16discard_iteratorINS9_11use_defaultEEEdNS9_4plusIvEEdEEDaPvRmT3_T4_T5_mT6_P12ihipStream_tbENKUlT_T0_E_clISt17integral_constantIbLb1EESW_IbLb0EEEEDaSS_ST_EUlSS_E0_NS1_11comp_targetILNS1_3genE10ELNS1_11target_archE1201ELNS1_3gpuE5ELNS1_3repE0EEENS1_30default_config_static_selectorELNS0_4arch9wavefront6targetE1EEEvT1_
                                        ; -- End function
	.section	.AMDGPU.csdata,"",@progbits
; Kernel info:
; codeLenInByte = 0
; NumSgprs: 4
; NumVgprs: 0
; NumAgprs: 0
; TotalNumVgprs: 0
; ScratchSize: 0
; MemoryBound: 0
; FloatMode: 240
; IeeeMode: 1
; LDSByteSize: 0 bytes/workgroup (compile time only)
; SGPRBlocks: 0
; VGPRBlocks: 0
; NumSGPRsForWavesPerEU: 4
; NumVGPRsForWavesPerEU: 1
; AccumOffset: 4
; Occupancy: 8
; WaveLimiterHint : 0
; COMPUTE_PGM_RSRC2:SCRATCH_EN: 0
; COMPUTE_PGM_RSRC2:USER_SGPR: 6
; COMPUTE_PGM_RSRC2:TRAP_HANDLER: 0
; COMPUTE_PGM_RSRC2:TGID_X_EN: 1
; COMPUTE_PGM_RSRC2:TGID_Y_EN: 0
; COMPUTE_PGM_RSRC2:TGID_Z_EN: 0
; COMPUTE_PGM_RSRC2:TIDIG_COMP_CNT: 0
; COMPUTE_PGM_RSRC3_GFX90A:ACCUM_OFFSET: 0
; COMPUTE_PGM_RSRC3_GFX90A:TG_SPLIT: 0
	.section	.text._ZN7rocprim17ROCPRIM_400000_NS6detail17trampoline_kernelINS0_14default_configENS1_20scan_config_selectorIdEEZZNS1_9scan_implILNS1_25lookback_scan_determinismE0ELb1ELb1ES3_N6thrust23THRUST_200600_302600_NS6detail15normal_iteratorINS9_10device_ptrIdEEEENS9_16discard_iteratorINS9_11use_defaultEEEdNS9_4plusIvEEdEEDaPvRmT3_T4_T5_mT6_P12ihipStream_tbENKUlT_T0_E_clISt17integral_constantIbLb1EESW_IbLb0EEEEDaSS_ST_EUlSS_E0_NS1_11comp_targetILNS1_3genE10ELNS1_11target_archE1200ELNS1_3gpuE4ELNS1_3repE0EEENS1_30default_config_static_selectorELNS0_4arch9wavefront6targetE1EEEvT1_,"axG",@progbits,_ZN7rocprim17ROCPRIM_400000_NS6detail17trampoline_kernelINS0_14default_configENS1_20scan_config_selectorIdEEZZNS1_9scan_implILNS1_25lookback_scan_determinismE0ELb1ELb1ES3_N6thrust23THRUST_200600_302600_NS6detail15normal_iteratorINS9_10device_ptrIdEEEENS9_16discard_iteratorINS9_11use_defaultEEEdNS9_4plusIvEEdEEDaPvRmT3_T4_T5_mT6_P12ihipStream_tbENKUlT_T0_E_clISt17integral_constantIbLb1EESW_IbLb0EEEEDaSS_ST_EUlSS_E0_NS1_11comp_targetILNS1_3genE10ELNS1_11target_archE1200ELNS1_3gpuE4ELNS1_3repE0EEENS1_30default_config_static_selectorELNS0_4arch9wavefront6targetE1EEEvT1_,comdat
	.protected	_ZN7rocprim17ROCPRIM_400000_NS6detail17trampoline_kernelINS0_14default_configENS1_20scan_config_selectorIdEEZZNS1_9scan_implILNS1_25lookback_scan_determinismE0ELb1ELb1ES3_N6thrust23THRUST_200600_302600_NS6detail15normal_iteratorINS9_10device_ptrIdEEEENS9_16discard_iteratorINS9_11use_defaultEEEdNS9_4plusIvEEdEEDaPvRmT3_T4_T5_mT6_P12ihipStream_tbENKUlT_T0_E_clISt17integral_constantIbLb1EESW_IbLb0EEEEDaSS_ST_EUlSS_E0_NS1_11comp_targetILNS1_3genE10ELNS1_11target_archE1200ELNS1_3gpuE4ELNS1_3repE0EEENS1_30default_config_static_selectorELNS0_4arch9wavefront6targetE1EEEvT1_ ; -- Begin function _ZN7rocprim17ROCPRIM_400000_NS6detail17trampoline_kernelINS0_14default_configENS1_20scan_config_selectorIdEEZZNS1_9scan_implILNS1_25lookback_scan_determinismE0ELb1ELb1ES3_N6thrust23THRUST_200600_302600_NS6detail15normal_iteratorINS9_10device_ptrIdEEEENS9_16discard_iteratorINS9_11use_defaultEEEdNS9_4plusIvEEdEEDaPvRmT3_T4_T5_mT6_P12ihipStream_tbENKUlT_T0_E_clISt17integral_constantIbLb1EESW_IbLb0EEEEDaSS_ST_EUlSS_E0_NS1_11comp_targetILNS1_3genE10ELNS1_11target_archE1200ELNS1_3gpuE4ELNS1_3repE0EEENS1_30default_config_static_selectorELNS0_4arch9wavefront6targetE1EEEvT1_
	.globl	_ZN7rocprim17ROCPRIM_400000_NS6detail17trampoline_kernelINS0_14default_configENS1_20scan_config_selectorIdEEZZNS1_9scan_implILNS1_25lookback_scan_determinismE0ELb1ELb1ES3_N6thrust23THRUST_200600_302600_NS6detail15normal_iteratorINS9_10device_ptrIdEEEENS9_16discard_iteratorINS9_11use_defaultEEEdNS9_4plusIvEEdEEDaPvRmT3_T4_T5_mT6_P12ihipStream_tbENKUlT_T0_E_clISt17integral_constantIbLb1EESW_IbLb0EEEEDaSS_ST_EUlSS_E0_NS1_11comp_targetILNS1_3genE10ELNS1_11target_archE1200ELNS1_3gpuE4ELNS1_3repE0EEENS1_30default_config_static_selectorELNS0_4arch9wavefront6targetE1EEEvT1_
	.p2align	8
	.type	_ZN7rocprim17ROCPRIM_400000_NS6detail17trampoline_kernelINS0_14default_configENS1_20scan_config_selectorIdEEZZNS1_9scan_implILNS1_25lookback_scan_determinismE0ELb1ELb1ES3_N6thrust23THRUST_200600_302600_NS6detail15normal_iteratorINS9_10device_ptrIdEEEENS9_16discard_iteratorINS9_11use_defaultEEEdNS9_4plusIvEEdEEDaPvRmT3_T4_T5_mT6_P12ihipStream_tbENKUlT_T0_E_clISt17integral_constantIbLb1EESW_IbLb0EEEEDaSS_ST_EUlSS_E0_NS1_11comp_targetILNS1_3genE10ELNS1_11target_archE1200ELNS1_3gpuE4ELNS1_3repE0EEENS1_30default_config_static_selectorELNS0_4arch9wavefront6targetE1EEEvT1_,@function
_ZN7rocprim17ROCPRIM_400000_NS6detail17trampoline_kernelINS0_14default_configENS1_20scan_config_selectorIdEEZZNS1_9scan_implILNS1_25lookback_scan_determinismE0ELb1ELb1ES3_N6thrust23THRUST_200600_302600_NS6detail15normal_iteratorINS9_10device_ptrIdEEEENS9_16discard_iteratorINS9_11use_defaultEEEdNS9_4plusIvEEdEEDaPvRmT3_T4_T5_mT6_P12ihipStream_tbENKUlT_T0_E_clISt17integral_constantIbLb1EESW_IbLb0EEEEDaSS_ST_EUlSS_E0_NS1_11comp_targetILNS1_3genE10ELNS1_11target_archE1200ELNS1_3gpuE4ELNS1_3repE0EEENS1_30default_config_static_selectorELNS0_4arch9wavefront6targetE1EEEvT1_: ; @_ZN7rocprim17ROCPRIM_400000_NS6detail17trampoline_kernelINS0_14default_configENS1_20scan_config_selectorIdEEZZNS1_9scan_implILNS1_25lookback_scan_determinismE0ELb1ELb1ES3_N6thrust23THRUST_200600_302600_NS6detail15normal_iteratorINS9_10device_ptrIdEEEENS9_16discard_iteratorINS9_11use_defaultEEEdNS9_4plusIvEEdEEDaPvRmT3_T4_T5_mT6_P12ihipStream_tbENKUlT_T0_E_clISt17integral_constantIbLb1EESW_IbLb0EEEEDaSS_ST_EUlSS_E0_NS1_11comp_targetILNS1_3genE10ELNS1_11target_archE1200ELNS1_3gpuE4ELNS1_3repE0EEENS1_30default_config_static_selectorELNS0_4arch9wavefront6targetE1EEEvT1_
; %bb.0:
	.section	.rodata,"a",@progbits
	.p2align	6, 0x0
	.amdhsa_kernel _ZN7rocprim17ROCPRIM_400000_NS6detail17trampoline_kernelINS0_14default_configENS1_20scan_config_selectorIdEEZZNS1_9scan_implILNS1_25lookback_scan_determinismE0ELb1ELb1ES3_N6thrust23THRUST_200600_302600_NS6detail15normal_iteratorINS9_10device_ptrIdEEEENS9_16discard_iteratorINS9_11use_defaultEEEdNS9_4plusIvEEdEEDaPvRmT3_T4_T5_mT6_P12ihipStream_tbENKUlT_T0_E_clISt17integral_constantIbLb1EESW_IbLb0EEEEDaSS_ST_EUlSS_E0_NS1_11comp_targetILNS1_3genE10ELNS1_11target_archE1200ELNS1_3gpuE4ELNS1_3repE0EEENS1_30default_config_static_selectorELNS0_4arch9wavefront6targetE1EEEvT1_
		.amdhsa_group_segment_fixed_size 0
		.amdhsa_private_segment_fixed_size 0
		.amdhsa_kernarg_size 48
		.amdhsa_user_sgpr_count 6
		.amdhsa_user_sgpr_private_segment_buffer 1
		.amdhsa_user_sgpr_dispatch_ptr 0
		.amdhsa_user_sgpr_queue_ptr 0
		.amdhsa_user_sgpr_kernarg_segment_ptr 1
		.amdhsa_user_sgpr_dispatch_id 0
		.amdhsa_user_sgpr_flat_scratch_init 0
		.amdhsa_user_sgpr_kernarg_preload_length 0
		.amdhsa_user_sgpr_kernarg_preload_offset 0
		.amdhsa_user_sgpr_private_segment_size 0
		.amdhsa_uses_dynamic_stack 0
		.amdhsa_system_sgpr_private_segment_wavefront_offset 0
		.amdhsa_system_sgpr_workgroup_id_x 1
		.amdhsa_system_sgpr_workgroup_id_y 0
		.amdhsa_system_sgpr_workgroup_id_z 0
		.amdhsa_system_sgpr_workgroup_info 0
		.amdhsa_system_vgpr_workitem_id 0
		.amdhsa_next_free_vgpr 1
		.amdhsa_next_free_sgpr 0
		.amdhsa_accum_offset 4
		.amdhsa_reserve_vcc 0
		.amdhsa_reserve_flat_scratch 0
		.amdhsa_float_round_mode_32 0
		.amdhsa_float_round_mode_16_64 0
		.amdhsa_float_denorm_mode_32 3
		.amdhsa_float_denorm_mode_16_64 3
		.amdhsa_dx10_clamp 1
		.amdhsa_ieee_mode 1
		.amdhsa_fp16_overflow 0
		.amdhsa_tg_split 0
		.amdhsa_exception_fp_ieee_invalid_op 0
		.amdhsa_exception_fp_denorm_src 0
		.amdhsa_exception_fp_ieee_div_zero 0
		.amdhsa_exception_fp_ieee_overflow 0
		.amdhsa_exception_fp_ieee_underflow 0
		.amdhsa_exception_fp_ieee_inexact 0
		.amdhsa_exception_int_div_zero 0
	.end_amdhsa_kernel
	.section	.text._ZN7rocprim17ROCPRIM_400000_NS6detail17trampoline_kernelINS0_14default_configENS1_20scan_config_selectorIdEEZZNS1_9scan_implILNS1_25lookback_scan_determinismE0ELb1ELb1ES3_N6thrust23THRUST_200600_302600_NS6detail15normal_iteratorINS9_10device_ptrIdEEEENS9_16discard_iteratorINS9_11use_defaultEEEdNS9_4plusIvEEdEEDaPvRmT3_T4_T5_mT6_P12ihipStream_tbENKUlT_T0_E_clISt17integral_constantIbLb1EESW_IbLb0EEEEDaSS_ST_EUlSS_E0_NS1_11comp_targetILNS1_3genE10ELNS1_11target_archE1200ELNS1_3gpuE4ELNS1_3repE0EEENS1_30default_config_static_selectorELNS0_4arch9wavefront6targetE1EEEvT1_,"axG",@progbits,_ZN7rocprim17ROCPRIM_400000_NS6detail17trampoline_kernelINS0_14default_configENS1_20scan_config_selectorIdEEZZNS1_9scan_implILNS1_25lookback_scan_determinismE0ELb1ELb1ES3_N6thrust23THRUST_200600_302600_NS6detail15normal_iteratorINS9_10device_ptrIdEEEENS9_16discard_iteratorINS9_11use_defaultEEEdNS9_4plusIvEEdEEDaPvRmT3_T4_T5_mT6_P12ihipStream_tbENKUlT_T0_E_clISt17integral_constantIbLb1EESW_IbLb0EEEEDaSS_ST_EUlSS_E0_NS1_11comp_targetILNS1_3genE10ELNS1_11target_archE1200ELNS1_3gpuE4ELNS1_3repE0EEENS1_30default_config_static_selectorELNS0_4arch9wavefront6targetE1EEEvT1_,comdat
.Lfunc_end4985:
	.size	_ZN7rocprim17ROCPRIM_400000_NS6detail17trampoline_kernelINS0_14default_configENS1_20scan_config_selectorIdEEZZNS1_9scan_implILNS1_25lookback_scan_determinismE0ELb1ELb1ES3_N6thrust23THRUST_200600_302600_NS6detail15normal_iteratorINS9_10device_ptrIdEEEENS9_16discard_iteratorINS9_11use_defaultEEEdNS9_4plusIvEEdEEDaPvRmT3_T4_T5_mT6_P12ihipStream_tbENKUlT_T0_E_clISt17integral_constantIbLb1EESW_IbLb0EEEEDaSS_ST_EUlSS_E0_NS1_11comp_targetILNS1_3genE10ELNS1_11target_archE1200ELNS1_3gpuE4ELNS1_3repE0EEENS1_30default_config_static_selectorELNS0_4arch9wavefront6targetE1EEEvT1_, .Lfunc_end4985-_ZN7rocprim17ROCPRIM_400000_NS6detail17trampoline_kernelINS0_14default_configENS1_20scan_config_selectorIdEEZZNS1_9scan_implILNS1_25lookback_scan_determinismE0ELb1ELb1ES3_N6thrust23THRUST_200600_302600_NS6detail15normal_iteratorINS9_10device_ptrIdEEEENS9_16discard_iteratorINS9_11use_defaultEEEdNS9_4plusIvEEdEEDaPvRmT3_T4_T5_mT6_P12ihipStream_tbENKUlT_T0_E_clISt17integral_constantIbLb1EESW_IbLb0EEEEDaSS_ST_EUlSS_E0_NS1_11comp_targetILNS1_3genE10ELNS1_11target_archE1200ELNS1_3gpuE4ELNS1_3repE0EEENS1_30default_config_static_selectorELNS0_4arch9wavefront6targetE1EEEvT1_
                                        ; -- End function
	.section	.AMDGPU.csdata,"",@progbits
; Kernel info:
; codeLenInByte = 0
; NumSgprs: 4
; NumVgprs: 0
; NumAgprs: 0
; TotalNumVgprs: 0
; ScratchSize: 0
; MemoryBound: 0
; FloatMode: 240
; IeeeMode: 1
; LDSByteSize: 0 bytes/workgroup (compile time only)
; SGPRBlocks: 0
; VGPRBlocks: 0
; NumSGPRsForWavesPerEU: 4
; NumVGPRsForWavesPerEU: 1
; AccumOffset: 4
; Occupancy: 8
; WaveLimiterHint : 0
; COMPUTE_PGM_RSRC2:SCRATCH_EN: 0
; COMPUTE_PGM_RSRC2:USER_SGPR: 6
; COMPUTE_PGM_RSRC2:TRAP_HANDLER: 0
; COMPUTE_PGM_RSRC2:TGID_X_EN: 1
; COMPUTE_PGM_RSRC2:TGID_Y_EN: 0
; COMPUTE_PGM_RSRC2:TGID_Z_EN: 0
; COMPUTE_PGM_RSRC2:TIDIG_COMP_CNT: 0
; COMPUTE_PGM_RSRC3_GFX90A:ACCUM_OFFSET: 0
; COMPUTE_PGM_RSRC3_GFX90A:TG_SPLIT: 0
	.section	.text._ZN7rocprim17ROCPRIM_400000_NS6detail17trampoline_kernelINS0_14default_configENS1_20scan_config_selectorIdEEZZNS1_9scan_implILNS1_25lookback_scan_determinismE0ELb1ELb1ES3_N6thrust23THRUST_200600_302600_NS6detail15normal_iteratorINS9_10device_ptrIdEEEENS9_16discard_iteratorINS9_11use_defaultEEEdNS9_4plusIvEEdEEDaPvRmT3_T4_T5_mT6_P12ihipStream_tbENKUlT_T0_E_clISt17integral_constantIbLb1EESW_IbLb0EEEEDaSS_ST_EUlSS_E0_NS1_11comp_targetILNS1_3genE9ELNS1_11target_archE1100ELNS1_3gpuE3ELNS1_3repE0EEENS1_30default_config_static_selectorELNS0_4arch9wavefront6targetE1EEEvT1_,"axG",@progbits,_ZN7rocprim17ROCPRIM_400000_NS6detail17trampoline_kernelINS0_14default_configENS1_20scan_config_selectorIdEEZZNS1_9scan_implILNS1_25lookback_scan_determinismE0ELb1ELb1ES3_N6thrust23THRUST_200600_302600_NS6detail15normal_iteratorINS9_10device_ptrIdEEEENS9_16discard_iteratorINS9_11use_defaultEEEdNS9_4plusIvEEdEEDaPvRmT3_T4_T5_mT6_P12ihipStream_tbENKUlT_T0_E_clISt17integral_constantIbLb1EESW_IbLb0EEEEDaSS_ST_EUlSS_E0_NS1_11comp_targetILNS1_3genE9ELNS1_11target_archE1100ELNS1_3gpuE3ELNS1_3repE0EEENS1_30default_config_static_selectorELNS0_4arch9wavefront6targetE1EEEvT1_,comdat
	.protected	_ZN7rocprim17ROCPRIM_400000_NS6detail17trampoline_kernelINS0_14default_configENS1_20scan_config_selectorIdEEZZNS1_9scan_implILNS1_25lookback_scan_determinismE0ELb1ELb1ES3_N6thrust23THRUST_200600_302600_NS6detail15normal_iteratorINS9_10device_ptrIdEEEENS9_16discard_iteratorINS9_11use_defaultEEEdNS9_4plusIvEEdEEDaPvRmT3_T4_T5_mT6_P12ihipStream_tbENKUlT_T0_E_clISt17integral_constantIbLb1EESW_IbLb0EEEEDaSS_ST_EUlSS_E0_NS1_11comp_targetILNS1_3genE9ELNS1_11target_archE1100ELNS1_3gpuE3ELNS1_3repE0EEENS1_30default_config_static_selectorELNS0_4arch9wavefront6targetE1EEEvT1_ ; -- Begin function _ZN7rocprim17ROCPRIM_400000_NS6detail17trampoline_kernelINS0_14default_configENS1_20scan_config_selectorIdEEZZNS1_9scan_implILNS1_25lookback_scan_determinismE0ELb1ELb1ES3_N6thrust23THRUST_200600_302600_NS6detail15normal_iteratorINS9_10device_ptrIdEEEENS9_16discard_iteratorINS9_11use_defaultEEEdNS9_4plusIvEEdEEDaPvRmT3_T4_T5_mT6_P12ihipStream_tbENKUlT_T0_E_clISt17integral_constantIbLb1EESW_IbLb0EEEEDaSS_ST_EUlSS_E0_NS1_11comp_targetILNS1_3genE9ELNS1_11target_archE1100ELNS1_3gpuE3ELNS1_3repE0EEENS1_30default_config_static_selectorELNS0_4arch9wavefront6targetE1EEEvT1_
	.globl	_ZN7rocprim17ROCPRIM_400000_NS6detail17trampoline_kernelINS0_14default_configENS1_20scan_config_selectorIdEEZZNS1_9scan_implILNS1_25lookback_scan_determinismE0ELb1ELb1ES3_N6thrust23THRUST_200600_302600_NS6detail15normal_iteratorINS9_10device_ptrIdEEEENS9_16discard_iteratorINS9_11use_defaultEEEdNS9_4plusIvEEdEEDaPvRmT3_T4_T5_mT6_P12ihipStream_tbENKUlT_T0_E_clISt17integral_constantIbLb1EESW_IbLb0EEEEDaSS_ST_EUlSS_E0_NS1_11comp_targetILNS1_3genE9ELNS1_11target_archE1100ELNS1_3gpuE3ELNS1_3repE0EEENS1_30default_config_static_selectorELNS0_4arch9wavefront6targetE1EEEvT1_
	.p2align	8
	.type	_ZN7rocprim17ROCPRIM_400000_NS6detail17trampoline_kernelINS0_14default_configENS1_20scan_config_selectorIdEEZZNS1_9scan_implILNS1_25lookback_scan_determinismE0ELb1ELb1ES3_N6thrust23THRUST_200600_302600_NS6detail15normal_iteratorINS9_10device_ptrIdEEEENS9_16discard_iteratorINS9_11use_defaultEEEdNS9_4plusIvEEdEEDaPvRmT3_T4_T5_mT6_P12ihipStream_tbENKUlT_T0_E_clISt17integral_constantIbLb1EESW_IbLb0EEEEDaSS_ST_EUlSS_E0_NS1_11comp_targetILNS1_3genE9ELNS1_11target_archE1100ELNS1_3gpuE3ELNS1_3repE0EEENS1_30default_config_static_selectorELNS0_4arch9wavefront6targetE1EEEvT1_,@function
_ZN7rocprim17ROCPRIM_400000_NS6detail17trampoline_kernelINS0_14default_configENS1_20scan_config_selectorIdEEZZNS1_9scan_implILNS1_25lookback_scan_determinismE0ELb1ELb1ES3_N6thrust23THRUST_200600_302600_NS6detail15normal_iteratorINS9_10device_ptrIdEEEENS9_16discard_iteratorINS9_11use_defaultEEEdNS9_4plusIvEEdEEDaPvRmT3_T4_T5_mT6_P12ihipStream_tbENKUlT_T0_E_clISt17integral_constantIbLb1EESW_IbLb0EEEEDaSS_ST_EUlSS_E0_NS1_11comp_targetILNS1_3genE9ELNS1_11target_archE1100ELNS1_3gpuE3ELNS1_3repE0EEENS1_30default_config_static_selectorELNS0_4arch9wavefront6targetE1EEEvT1_: ; @_ZN7rocprim17ROCPRIM_400000_NS6detail17trampoline_kernelINS0_14default_configENS1_20scan_config_selectorIdEEZZNS1_9scan_implILNS1_25lookback_scan_determinismE0ELb1ELb1ES3_N6thrust23THRUST_200600_302600_NS6detail15normal_iteratorINS9_10device_ptrIdEEEENS9_16discard_iteratorINS9_11use_defaultEEEdNS9_4plusIvEEdEEDaPvRmT3_T4_T5_mT6_P12ihipStream_tbENKUlT_T0_E_clISt17integral_constantIbLb1EESW_IbLb0EEEEDaSS_ST_EUlSS_E0_NS1_11comp_targetILNS1_3genE9ELNS1_11target_archE1100ELNS1_3gpuE3ELNS1_3repE0EEENS1_30default_config_static_selectorELNS0_4arch9wavefront6targetE1EEEvT1_
; %bb.0:
	.section	.rodata,"a",@progbits
	.p2align	6, 0x0
	.amdhsa_kernel _ZN7rocprim17ROCPRIM_400000_NS6detail17trampoline_kernelINS0_14default_configENS1_20scan_config_selectorIdEEZZNS1_9scan_implILNS1_25lookback_scan_determinismE0ELb1ELb1ES3_N6thrust23THRUST_200600_302600_NS6detail15normal_iteratorINS9_10device_ptrIdEEEENS9_16discard_iteratorINS9_11use_defaultEEEdNS9_4plusIvEEdEEDaPvRmT3_T4_T5_mT6_P12ihipStream_tbENKUlT_T0_E_clISt17integral_constantIbLb1EESW_IbLb0EEEEDaSS_ST_EUlSS_E0_NS1_11comp_targetILNS1_3genE9ELNS1_11target_archE1100ELNS1_3gpuE3ELNS1_3repE0EEENS1_30default_config_static_selectorELNS0_4arch9wavefront6targetE1EEEvT1_
		.amdhsa_group_segment_fixed_size 0
		.amdhsa_private_segment_fixed_size 0
		.amdhsa_kernarg_size 48
		.amdhsa_user_sgpr_count 6
		.amdhsa_user_sgpr_private_segment_buffer 1
		.amdhsa_user_sgpr_dispatch_ptr 0
		.amdhsa_user_sgpr_queue_ptr 0
		.amdhsa_user_sgpr_kernarg_segment_ptr 1
		.amdhsa_user_sgpr_dispatch_id 0
		.amdhsa_user_sgpr_flat_scratch_init 0
		.amdhsa_user_sgpr_kernarg_preload_length 0
		.amdhsa_user_sgpr_kernarg_preload_offset 0
		.amdhsa_user_sgpr_private_segment_size 0
		.amdhsa_uses_dynamic_stack 0
		.amdhsa_system_sgpr_private_segment_wavefront_offset 0
		.amdhsa_system_sgpr_workgroup_id_x 1
		.amdhsa_system_sgpr_workgroup_id_y 0
		.amdhsa_system_sgpr_workgroup_id_z 0
		.amdhsa_system_sgpr_workgroup_info 0
		.amdhsa_system_vgpr_workitem_id 0
		.amdhsa_next_free_vgpr 1
		.amdhsa_next_free_sgpr 0
		.amdhsa_accum_offset 4
		.amdhsa_reserve_vcc 0
		.amdhsa_reserve_flat_scratch 0
		.amdhsa_float_round_mode_32 0
		.amdhsa_float_round_mode_16_64 0
		.amdhsa_float_denorm_mode_32 3
		.amdhsa_float_denorm_mode_16_64 3
		.amdhsa_dx10_clamp 1
		.amdhsa_ieee_mode 1
		.amdhsa_fp16_overflow 0
		.amdhsa_tg_split 0
		.amdhsa_exception_fp_ieee_invalid_op 0
		.amdhsa_exception_fp_denorm_src 0
		.amdhsa_exception_fp_ieee_div_zero 0
		.amdhsa_exception_fp_ieee_overflow 0
		.amdhsa_exception_fp_ieee_underflow 0
		.amdhsa_exception_fp_ieee_inexact 0
		.amdhsa_exception_int_div_zero 0
	.end_amdhsa_kernel
	.section	.text._ZN7rocprim17ROCPRIM_400000_NS6detail17trampoline_kernelINS0_14default_configENS1_20scan_config_selectorIdEEZZNS1_9scan_implILNS1_25lookback_scan_determinismE0ELb1ELb1ES3_N6thrust23THRUST_200600_302600_NS6detail15normal_iteratorINS9_10device_ptrIdEEEENS9_16discard_iteratorINS9_11use_defaultEEEdNS9_4plusIvEEdEEDaPvRmT3_T4_T5_mT6_P12ihipStream_tbENKUlT_T0_E_clISt17integral_constantIbLb1EESW_IbLb0EEEEDaSS_ST_EUlSS_E0_NS1_11comp_targetILNS1_3genE9ELNS1_11target_archE1100ELNS1_3gpuE3ELNS1_3repE0EEENS1_30default_config_static_selectorELNS0_4arch9wavefront6targetE1EEEvT1_,"axG",@progbits,_ZN7rocprim17ROCPRIM_400000_NS6detail17trampoline_kernelINS0_14default_configENS1_20scan_config_selectorIdEEZZNS1_9scan_implILNS1_25lookback_scan_determinismE0ELb1ELb1ES3_N6thrust23THRUST_200600_302600_NS6detail15normal_iteratorINS9_10device_ptrIdEEEENS9_16discard_iteratorINS9_11use_defaultEEEdNS9_4plusIvEEdEEDaPvRmT3_T4_T5_mT6_P12ihipStream_tbENKUlT_T0_E_clISt17integral_constantIbLb1EESW_IbLb0EEEEDaSS_ST_EUlSS_E0_NS1_11comp_targetILNS1_3genE9ELNS1_11target_archE1100ELNS1_3gpuE3ELNS1_3repE0EEENS1_30default_config_static_selectorELNS0_4arch9wavefront6targetE1EEEvT1_,comdat
.Lfunc_end4986:
	.size	_ZN7rocprim17ROCPRIM_400000_NS6detail17trampoline_kernelINS0_14default_configENS1_20scan_config_selectorIdEEZZNS1_9scan_implILNS1_25lookback_scan_determinismE0ELb1ELb1ES3_N6thrust23THRUST_200600_302600_NS6detail15normal_iteratorINS9_10device_ptrIdEEEENS9_16discard_iteratorINS9_11use_defaultEEEdNS9_4plusIvEEdEEDaPvRmT3_T4_T5_mT6_P12ihipStream_tbENKUlT_T0_E_clISt17integral_constantIbLb1EESW_IbLb0EEEEDaSS_ST_EUlSS_E0_NS1_11comp_targetILNS1_3genE9ELNS1_11target_archE1100ELNS1_3gpuE3ELNS1_3repE0EEENS1_30default_config_static_selectorELNS0_4arch9wavefront6targetE1EEEvT1_, .Lfunc_end4986-_ZN7rocprim17ROCPRIM_400000_NS6detail17trampoline_kernelINS0_14default_configENS1_20scan_config_selectorIdEEZZNS1_9scan_implILNS1_25lookback_scan_determinismE0ELb1ELb1ES3_N6thrust23THRUST_200600_302600_NS6detail15normal_iteratorINS9_10device_ptrIdEEEENS9_16discard_iteratorINS9_11use_defaultEEEdNS9_4plusIvEEdEEDaPvRmT3_T4_T5_mT6_P12ihipStream_tbENKUlT_T0_E_clISt17integral_constantIbLb1EESW_IbLb0EEEEDaSS_ST_EUlSS_E0_NS1_11comp_targetILNS1_3genE9ELNS1_11target_archE1100ELNS1_3gpuE3ELNS1_3repE0EEENS1_30default_config_static_selectorELNS0_4arch9wavefront6targetE1EEEvT1_
                                        ; -- End function
	.section	.AMDGPU.csdata,"",@progbits
; Kernel info:
; codeLenInByte = 0
; NumSgprs: 4
; NumVgprs: 0
; NumAgprs: 0
; TotalNumVgprs: 0
; ScratchSize: 0
; MemoryBound: 0
; FloatMode: 240
; IeeeMode: 1
; LDSByteSize: 0 bytes/workgroup (compile time only)
; SGPRBlocks: 0
; VGPRBlocks: 0
; NumSGPRsForWavesPerEU: 4
; NumVGPRsForWavesPerEU: 1
; AccumOffset: 4
; Occupancy: 8
; WaveLimiterHint : 0
; COMPUTE_PGM_RSRC2:SCRATCH_EN: 0
; COMPUTE_PGM_RSRC2:USER_SGPR: 6
; COMPUTE_PGM_RSRC2:TRAP_HANDLER: 0
; COMPUTE_PGM_RSRC2:TGID_X_EN: 1
; COMPUTE_PGM_RSRC2:TGID_Y_EN: 0
; COMPUTE_PGM_RSRC2:TGID_Z_EN: 0
; COMPUTE_PGM_RSRC2:TIDIG_COMP_CNT: 0
; COMPUTE_PGM_RSRC3_GFX90A:ACCUM_OFFSET: 0
; COMPUTE_PGM_RSRC3_GFX90A:TG_SPLIT: 0
	.section	.text._ZN7rocprim17ROCPRIM_400000_NS6detail17trampoline_kernelINS0_14default_configENS1_20scan_config_selectorIdEEZZNS1_9scan_implILNS1_25lookback_scan_determinismE0ELb1ELb1ES3_N6thrust23THRUST_200600_302600_NS6detail15normal_iteratorINS9_10device_ptrIdEEEENS9_16discard_iteratorINS9_11use_defaultEEEdNS9_4plusIvEEdEEDaPvRmT3_T4_T5_mT6_P12ihipStream_tbENKUlT_T0_E_clISt17integral_constantIbLb1EESW_IbLb0EEEEDaSS_ST_EUlSS_E0_NS1_11comp_targetILNS1_3genE8ELNS1_11target_archE1030ELNS1_3gpuE2ELNS1_3repE0EEENS1_30default_config_static_selectorELNS0_4arch9wavefront6targetE1EEEvT1_,"axG",@progbits,_ZN7rocprim17ROCPRIM_400000_NS6detail17trampoline_kernelINS0_14default_configENS1_20scan_config_selectorIdEEZZNS1_9scan_implILNS1_25lookback_scan_determinismE0ELb1ELb1ES3_N6thrust23THRUST_200600_302600_NS6detail15normal_iteratorINS9_10device_ptrIdEEEENS9_16discard_iteratorINS9_11use_defaultEEEdNS9_4plusIvEEdEEDaPvRmT3_T4_T5_mT6_P12ihipStream_tbENKUlT_T0_E_clISt17integral_constantIbLb1EESW_IbLb0EEEEDaSS_ST_EUlSS_E0_NS1_11comp_targetILNS1_3genE8ELNS1_11target_archE1030ELNS1_3gpuE2ELNS1_3repE0EEENS1_30default_config_static_selectorELNS0_4arch9wavefront6targetE1EEEvT1_,comdat
	.protected	_ZN7rocprim17ROCPRIM_400000_NS6detail17trampoline_kernelINS0_14default_configENS1_20scan_config_selectorIdEEZZNS1_9scan_implILNS1_25lookback_scan_determinismE0ELb1ELb1ES3_N6thrust23THRUST_200600_302600_NS6detail15normal_iteratorINS9_10device_ptrIdEEEENS9_16discard_iteratorINS9_11use_defaultEEEdNS9_4plusIvEEdEEDaPvRmT3_T4_T5_mT6_P12ihipStream_tbENKUlT_T0_E_clISt17integral_constantIbLb1EESW_IbLb0EEEEDaSS_ST_EUlSS_E0_NS1_11comp_targetILNS1_3genE8ELNS1_11target_archE1030ELNS1_3gpuE2ELNS1_3repE0EEENS1_30default_config_static_selectorELNS0_4arch9wavefront6targetE1EEEvT1_ ; -- Begin function _ZN7rocprim17ROCPRIM_400000_NS6detail17trampoline_kernelINS0_14default_configENS1_20scan_config_selectorIdEEZZNS1_9scan_implILNS1_25lookback_scan_determinismE0ELb1ELb1ES3_N6thrust23THRUST_200600_302600_NS6detail15normal_iteratorINS9_10device_ptrIdEEEENS9_16discard_iteratorINS9_11use_defaultEEEdNS9_4plusIvEEdEEDaPvRmT3_T4_T5_mT6_P12ihipStream_tbENKUlT_T0_E_clISt17integral_constantIbLb1EESW_IbLb0EEEEDaSS_ST_EUlSS_E0_NS1_11comp_targetILNS1_3genE8ELNS1_11target_archE1030ELNS1_3gpuE2ELNS1_3repE0EEENS1_30default_config_static_selectorELNS0_4arch9wavefront6targetE1EEEvT1_
	.globl	_ZN7rocprim17ROCPRIM_400000_NS6detail17trampoline_kernelINS0_14default_configENS1_20scan_config_selectorIdEEZZNS1_9scan_implILNS1_25lookback_scan_determinismE0ELb1ELb1ES3_N6thrust23THRUST_200600_302600_NS6detail15normal_iteratorINS9_10device_ptrIdEEEENS9_16discard_iteratorINS9_11use_defaultEEEdNS9_4plusIvEEdEEDaPvRmT3_T4_T5_mT6_P12ihipStream_tbENKUlT_T0_E_clISt17integral_constantIbLb1EESW_IbLb0EEEEDaSS_ST_EUlSS_E0_NS1_11comp_targetILNS1_3genE8ELNS1_11target_archE1030ELNS1_3gpuE2ELNS1_3repE0EEENS1_30default_config_static_selectorELNS0_4arch9wavefront6targetE1EEEvT1_
	.p2align	8
	.type	_ZN7rocprim17ROCPRIM_400000_NS6detail17trampoline_kernelINS0_14default_configENS1_20scan_config_selectorIdEEZZNS1_9scan_implILNS1_25lookback_scan_determinismE0ELb1ELb1ES3_N6thrust23THRUST_200600_302600_NS6detail15normal_iteratorINS9_10device_ptrIdEEEENS9_16discard_iteratorINS9_11use_defaultEEEdNS9_4plusIvEEdEEDaPvRmT3_T4_T5_mT6_P12ihipStream_tbENKUlT_T0_E_clISt17integral_constantIbLb1EESW_IbLb0EEEEDaSS_ST_EUlSS_E0_NS1_11comp_targetILNS1_3genE8ELNS1_11target_archE1030ELNS1_3gpuE2ELNS1_3repE0EEENS1_30default_config_static_selectorELNS0_4arch9wavefront6targetE1EEEvT1_,@function
_ZN7rocprim17ROCPRIM_400000_NS6detail17trampoline_kernelINS0_14default_configENS1_20scan_config_selectorIdEEZZNS1_9scan_implILNS1_25lookback_scan_determinismE0ELb1ELb1ES3_N6thrust23THRUST_200600_302600_NS6detail15normal_iteratorINS9_10device_ptrIdEEEENS9_16discard_iteratorINS9_11use_defaultEEEdNS9_4plusIvEEdEEDaPvRmT3_T4_T5_mT6_P12ihipStream_tbENKUlT_T0_E_clISt17integral_constantIbLb1EESW_IbLb0EEEEDaSS_ST_EUlSS_E0_NS1_11comp_targetILNS1_3genE8ELNS1_11target_archE1030ELNS1_3gpuE2ELNS1_3repE0EEENS1_30default_config_static_selectorELNS0_4arch9wavefront6targetE1EEEvT1_: ; @_ZN7rocprim17ROCPRIM_400000_NS6detail17trampoline_kernelINS0_14default_configENS1_20scan_config_selectorIdEEZZNS1_9scan_implILNS1_25lookback_scan_determinismE0ELb1ELb1ES3_N6thrust23THRUST_200600_302600_NS6detail15normal_iteratorINS9_10device_ptrIdEEEENS9_16discard_iteratorINS9_11use_defaultEEEdNS9_4plusIvEEdEEDaPvRmT3_T4_T5_mT6_P12ihipStream_tbENKUlT_T0_E_clISt17integral_constantIbLb1EESW_IbLb0EEEEDaSS_ST_EUlSS_E0_NS1_11comp_targetILNS1_3genE8ELNS1_11target_archE1030ELNS1_3gpuE2ELNS1_3repE0EEENS1_30default_config_static_selectorELNS0_4arch9wavefront6targetE1EEEvT1_
; %bb.0:
	.section	.rodata,"a",@progbits
	.p2align	6, 0x0
	.amdhsa_kernel _ZN7rocprim17ROCPRIM_400000_NS6detail17trampoline_kernelINS0_14default_configENS1_20scan_config_selectorIdEEZZNS1_9scan_implILNS1_25lookback_scan_determinismE0ELb1ELb1ES3_N6thrust23THRUST_200600_302600_NS6detail15normal_iteratorINS9_10device_ptrIdEEEENS9_16discard_iteratorINS9_11use_defaultEEEdNS9_4plusIvEEdEEDaPvRmT3_T4_T5_mT6_P12ihipStream_tbENKUlT_T0_E_clISt17integral_constantIbLb1EESW_IbLb0EEEEDaSS_ST_EUlSS_E0_NS1_11comp_targetILNS1_3genE8ELNS1_11target_archE1030ELNS1_3gpuE2ELNS1_3repE0EEENS1_30default_config_static_selectorELNS0_4arch9wavefront6targetE1EEEvT1_
		.amdhsa_group_segment_fixed_size 0
		.amdhsa_private_segment_fixed_size 0
		.amdhsa_kernarg_size 48
		.amdhsa_user_sgpr_count 6
		.amdhsa_user_sgpr_private_segment_buffer 1
		.amdhsa_user_sgpr_dispatch_ptr 0
		.amdhsa_user_sgpr_queue_ptr 0
		.amdhsa_user_sgpr_kernarg_segment_ptr 1
		.amdhsa_user_sgpr_dispatch_id 0
		.amdhsa_user_sgpr_flat_scratch_init 0
		.amdhsa_user_sgpr_kernarg_preload_length 0
		.amdhsa_user_sgpr_kernarg_preload_offset 0
		.amdhsa_user_sgpr_private_segment_size 0
		.amdhsa_uses_dynamic_stack 0
		.amdhsa_system_sgpr_private_segment_wavefront_offset 0
		.amdhsa_system_sgpr_workgroup_id_x 1
		.amdhsa_system_sgpr_workgroup_id_y 0
		.amdhsa_system_sgpr_workgroup_id_z 0
		.amdhsa_system_sgpr_workgroup_info 0
		.amdhsa_system_vgpr_workitem_id 0
		.amdhsa_next_free_vgpr 1
		.amdhsa_next_free_sgpr 0
		.amdhsa_accum_offset 4
		.amdhsa_reserve_vcc 0
		.amdhsa_reserve_flat_scratch 0
		.amdhsa_float_round_mode_32 0
		.amdhsa_float_round_mode_16_64 0
		.amdhsa_float_denorm_mode_32 3
		.amdhsa_float_denorm_mode_16_64 3
		.amdhsa_dx10_clamp 1
		.amdhsa_ieee_mode 1
		.amdhsa_fp16_overflow 0
		.amdhsa_tg_split 0
		.amdhsa_exception_fp_ieee_invalid_op 0
		.amdhsa_exception_fp_denorm_src 0
		.amdhsa_exception_fp_ieee_div_zero 0
		.amdhsa_exception_fp_ieee_overflow 0
		.amdhsa_exception_fp_ieee_underflow 0
		.amdhsa_exception_fp_ieee_inexact 0
		.amdhsa_exception_int_div_zero 0
	.end_amdhsa_kernel
	.section	.text._ZN7rocprim17ROCPRIM_400000_NS6detail17trampoline_kernelINS0_14default_configENS1_20scan_config_selectorIdEEZZNS1_9scan_implILNS1_25lookback_scan_determinismE0ELb1ELb1ES3_N6thrust23THRUST_200600_302600_NS6detail15normal_iteratorINS9_10device_ptrIdEEEENS9_16discard_iteratorINS9_11use_defaultEEEdNS9_4plusIvEEdEEDaPvRmT3_T4_T5_mT6_P12ihipStream_tbENKUlT_T0_E_clISt17integral_constantIbLb1EESW_IbLb0EEEEDaSS_ST_EUlSS_E0_NS1_11comp_targetILNS1_3genE8ELNS1_11target_archE1030ELNS1_3gpuE2ELNS1_3repE0EEENS1_30default_config_static_selectorELNS0_4arch9wavefront6targetE1EEEvT1_,"axG",@progbits,_ZN7rocprim17ROCPRIM_400000_NS6detail17trampoline_kernelINS0_14default_configENS1_20scan_config_selectorIdEEZZNS1_9scan_implILNS1_25lookback_scan_determinismE0ELb1ELb1ES3_N6thrust23THRUST_200600_302600_NS6detail15normal_iteratorINS9_10device_ptrIdEEEENS9_16discard_iteratorINS9_11use_defaultEEEdNS9_4plusIvEEdEEDaPvRmT3_T4_T5_mT6_P12ihipStream_tbENKUlT_T0_E_clISt17integral_constantIbLb1EESW_IbLb0EEEEDaSS_ST_EUlSS_E0_NS1_11comp_targetILNS1_3genE8ELNS1_11target_archE1030ELNS1_3gpuE2ELNS1_3repE0EEENS1_30default_config_static_selectorELNS0_4arch9wavefront6targetE1EEEvT1_,comdat
.Lfunc_end4987:
	.size	_ZN7rocprim17ROCPRIM_400000_NS6detail17trampoline_kernelINS0_14default_configENS1_20scan_config_selectorIdEEZZNS1_9scan_implILNS1_25lookback_scan_determinismE0ELb1ELb1ES3_N6thrust23THRUST_200600_302600_NS6detail15normal_iteratorINS9_10device_ptrIdEEEENS9_16discard_iteratorINS9_11use_defaultEEEdNS9_4plusIvEEdEEDaPvRmT3_T4_T5_mT6_P12ihipStream_tbENKUlT_T0_E_clISt17integral_constantIbLb1EESW_IbLb0EEEEDaSS_ST_EUlSS_E0_NS1_11comp_targetILNS1_3genE8ELNS1_11target_archE1030ELNS1_3gpuE2ELNS1_3repE0EEENS1_30default_config_static_selectorELNS0_4arch9wavefront6targetE1EEEvT1_, .Lfunc_end4987-_ZN7rocprim17ROCPRIM_400000_NS6detail17trampoline_kernelINS0_14default_configENS1_20scan_config_selectorIdEEZZNS1_9scan_implILNS1_25lookback_scan_determinismE0ELb1ELb1ES3_N6thrust23THRUST_200600_302600_NS6detail15normal_iteratorINS9_10device_ptrIdEEEENS9_16discard_iteratorINS9_11use_defaultEEEdNS9_4plusIvEEdEEDaPvRmT3_T4_T5_mT6_P12ihipStream_tbENKUlT_T0_E_clISt17integral_constantIbLb1EESW_IbLb0EEEEDaSS_ST_EUlSS_E0_NS1_11comp_targetILNS1_3genE8ELNS1_11target_archE1030ELNS1_3gpuE2ELNS1_3repE0EEENS1_30default_config_static_selectorELNS0_4arch9wavefront6targetE1EEEvT1_
                                        ; -- End function
	.section	.AMDGPU.csdata,"",@progbits
; Kernel info:
; codeLenInByte = 0
; NumSgprs: 4
; NumVgprs: 0
; NumAgprs: 0
; TotalNumVgprs: 0
; ScratchSize: 0
; MemoryBound: 0
; FloatMode: 240
; IeeeMode: 1
; LDSByteSize: 0 bytes/workgroup (compile time only)
; SGPRBlocks: 0
; VGPRBlocks: 0
; NumSGPRsForWavesPerEU: 4
; NumVGPRsForWavesPerEU: 1
; AccumOffset: 4
; Occupancy: 8
; WaveLimiterHint : 0
; COMPUTE_PGM_RSRC2:SCRATCH_EN: 0
; COMPUTE_PGM_RSRC2:USER_SGPR: 6
; COMPUTE_PGM_RSRC2:TRAP_HANDLER: 0
; COMPUTE_PGM_RSRC2:TGID_X_EN: 1
; COMPUTE_PGM_RSRC2:TGID_Y_EN: 0
; COMPUTE_PGM_RSRC2:TGID_Z_EN: 0
; COMPUTE_PGM_RSRC2:TIDIG_COMP_CNT: 0
; COMPUTE_PGM_RSRC3_GFX90A:ACCUM_OFFSET: 0
; COMPUTE_PGM_RSRC3_GFX90A:TG_SPLIT: 0
	.section	.text._ZN7rocprim17ROCPRIM_400000_NS6detail17trampoline_kernelINS0_14default_configENS1_20scan_config_selectorIdEEZZNS1_9scan_implILNS1_25lookback_scan_determinismE0ELb1ELb1ES3_N6thrust23THRUST_200600_302600_NS6detail15normal_iteratorINS9_10device_ptrIdEEEENS9_16discard_iteratorINS9_11use_defaultEEEdNS9_4plusIvEEdEEDaPvRmT3_T4_T5_mT6_P12ihipStream_tbENKUlT_T0_E_clISt17integral_constantIbLb0EESW_IbLb1EEEEDaSS_ST_EUlSS_E_NS1_11comp_targetILNS1_3genE0ELNS1_11target_archE4294967295ELNS1_3gpuE0ELNS1_3repE0EEENS1_30default_config_static_selectorELNS0_4arch9wavefront6targetE1EEEvT1_,"axG",@progbits,_ZN7rocprim17ROCPRIM_400000_NS6detail17trampoline_kernelINS0_14default_configENS1_20scan_config_selectorIdEEZZNS1_9scan_implILNS1_25lookback_scan_determinismE0ELb1ELb1ES3_N6thrust23THRUST_200600_302600_NS6detail15normal_iteratorINS9_10device_ptrIdEEEENS9_16discard_iteratorINS9_11use_defaultEEEdNS9_4plusIvEEdEEDaPvRmT3_T4_T5_mT6_P12ihipStream_tbENKUlT_T0_E_clISt17integral_constantIbLb0EESW_IbLb1EEEEDaSS_ST_EUlSS_E_NS1_11comp_targetILNS1_3genE0ELNS1_11target_archE4294967295ELNS1_3gpuE0ELNS1_3repE0EEENS1_30default_config_static_selectorELNS0_4arch9wavefront6targetE1EEEvT1_,comdat
	.protected	_ZN7rocprim17ROCPRIM_400000_NS6detail17trampoline_kernelINS0_14default_configENS1_20scan_config_selectorIdEEZZNS1_9scan_implILNS1_25lookback_scan_determinismE0ELb1ELb1ES3_N6thrust23THRUST_200600_302600_NS6detail15normal_iteratorINS9_10device_ptrIdEEEENS9_16discard_iteratorINS9_11use_defaultEEEdNS9_4plusIvEEdEEDaPvRmT3_T4_T5_mT6_P12ihipStream_tbENKUlT_T0_E_clISt17integral_constantIbLb0EESW_IbLb1EEEEDaSS_ST_EUlSS_E_NS1_11comp_targetILNS1_3genE0ELNS1_11target_archE4294967295ELNS1_3gpuE0ELNS1_3repE0EEENS1_30default_config_static_selectorELNS0_4arch9wavefront6targetE1EEEvT1_ ; -- Begin function _ZN7rocprim17ROCPRIM_400000_NS6detail17trampoline_kernelINS0_14default_configENS1_20scan_config_selectorIdEEZZNS1_9scan_implILNS1_25lookback_scan_determinismE0ELb1ELb1ES3_N6thrust23THRUST_200600_302600_NS6detail15normal_iteratorINS9_10device_ptrIdEEEENS9_16discard_iteratorINS9_11use_defaultEEEdNS9_4plusIvEEdEEDaPvRmT3_T4_T5_mT6_P12ihipStream_tbENKUlT_T0_E_clISt17integral_constantIbLb0EESW_IbLb1EEEEDaSS_ST_EUlSS_E_NS1_11comp_targetILNS1_3genE0ELNS1_11target_archE4294967295ELNS1_3gpuE0ELNS1_3repE0EEENS1_30default_config_static_selectorELNS0_4arch9wavefront6targetE1EEEvT1_
	.globl	_ZN7rocprim17ROCPRIM_400000_NS6detail17trampoline_kernelINS0_14default_configENS1_20scan_config_selectorIdEEZZNS1_9scan_implILNS1_25lookback_scan_determinismE0ELb1ELb1ES3_N6thrust23THRUST_200600_302600_NS6detail15normal_iteratorINS9_10device_ptrIdEEEENS9_16discard_iteratorINS9_11use_defaultEEEdNS9_4plusIvEEdEEDaPvRmT3_T4_T5_mT6_P12ihipStream_tbENKUlT_T0_E_clISt17integral_constantIbLb0EESW_IbLb1EEEEDaSS_ST_EUlSS_E_NS1_11comp_targetILNS1_3genE0ELNS1_11target_archE4294967295ELNS1_3gpuE0ELNS1_3repE0EEENS1_30default_config_static_selectorELNS0_4arch9wavefront6targetE1EEEvT1_
	.p2align	8
	.type	_ZN7rocprim17ROCPRIM_400000_NS6detail17trampoline_kernelINS0_14default_configENS1_20scan_config_selectorIdEEZZNS1_9scan_implILNS1_25lookback_scan_determinismE0ELb1ELb1ES3_N6thrust23THRUST_200600_302600_NS6detail15normal_iteratorINS9_10device_ptrIdEEEENS9_16discard_iteratorINS9_11use_defaultEEEdNS9_4plusIvEEdEEDaPvRmT3_T4_T5_mT6_P12ihipStream_tbENKUlT_T0_E_clISt17integral_constantIbLb0EESW_IbLb1EEEEDaSS_ST_EUlSS_E_NS1_11comp_targetILNS1_3genE0ELNS1_11target_archE4294967295ELNS1_3gpuE0ELNS1_3repE0EEENS1_30default_config_static_selectorELNS0_4arch9wavefront6targetE1EEEvT1_,@function
_ZN7rocprim17ROCPRIM_400000_NS6detail17trampoline_kernelINS0_14default_configENS1_20scan_config_selectorIdEEZZNS1_9scan_implILNS1_25lookback_scan_determinismE0ELb1ELb1ES3_N6thrust23THRUST_200600_302600_NS6detail15normal_iteratorINS9_10device_ptrIdEEEENS9_16discard_iteratorINS9_11use_defaultEEEdNS9_4plusIvEEdEEDaPvRmT3_T4_T5_mT6_P12ihipStream_tbENKUlT_T0_E_clISt17integral_constantIbLb0EESW_IbLb1EEEEDaSS_ST_EUlSS_E_NS1_11comp_targetILNS1_3genE0ELNS1_11target_archE4294967295ELNS1_3gpuE0ELNS1_3repE0EEENS1_30default_config_static_selectorELNS0_4arch9wavefront6targetE1EEEvT1_: ; @_ZN7rocprim17ROCPRIM_400000_NS6detail17trampoline_kernelINS0_14default_configENS1_20scan_config_selectorIdEEZZNS1_9scan_implILNS1_25lookback_scan_determinismE0ELb1ELb1ES3_N6thrust23THRUST_200600_302600_NS6detail15normal_iteratorINS9_10device_ptrIdEEEENS9_16discard_iteratorINS9_11use_defaultEEEdNS9_4plusIvEEdEEDaPvRmT3_T4_T5_mT6_P12ihipStream_tbENKUlT_T0_E_clISt17integral_constantIbLb0EESW_IbLb1EEEEDaSS_ST_EUlSS_E_NS1_11comp_targetILNS1_3genE0ELNS1_11target_archE4294967295ELNS1_3gpuE0ELNS1_3repE0EEENS1_30default_config_static_selectorELNS0_4arch9wavefront6targetE1EEEvT1_
; %bb.0:
	.section	.rodata,"a",@progbits
	.p2align	6, 0x0
	.amdhsa_kernel _ZN7rocprim17ROCPRIM_400000_NS6detail17trampoline_kernelINS0_14default_configENS1_20scan_config_selectorIdEEZZNS1_9scan_implILNS1_25lookback_scan_determinismE0ELb1ELb1ES3_N6thrust23THRUST_200600_302600_NS6detail15normal_iteratorINS9_10device_ptrIdEEEENS9_16discard_iteratorINS9_11use_defaultEEEdNS9_4plusIvEEdEEDaPvRmT3_T4_T5_mT6_P12ihipStream_tbENKUlT_T0_E_clISt17integral_constantIbLb0EESW_IbLb1EEEEDaSS_ST_EUlSS_E_NS1_11comp_targetILNS1_3genE0ELNS1_11target_archE4294967295ELNS1_3gpuE0ELNS1_3repE0EEENS1_30default_config_static_selectorELNS0_4arch9wavefront6targetE1EEEvT1_
		.amdhsa_group_segment_fixed_size 0
		.amdhsa_private_segment_fixed_size 0
		.amdhsa_kernarg_size 112
		.amdhsa_user_sgpr_count 6
		.amdhsa_user_sgpr_private_segment_buffer 1
		.amdhsa_user_sgpr_dispatch_ptr 0
		.amdhsa_user_sgpr_queue_ptr 0
		.amdhsa_user_sgpr_kernarg_segment_ptr 1
		.amdhsa_user_sgpr_dispatch_id 0
		.amdhsa_user_sgpr_flat_scratch_init 0
		.amdhsa_user_sgpr_kernarg_preload_length 0
		.amdhsa_user_sgpr_kernarg_preload_offset 0
		.amdhsa_user_sgpr_private_segment_size 0
		.amdhsa_uses_dynamic_stack 0
		.amdhsa_system_sgpr_private_segment_wavefront_offset 0
		.amdhsa_system_sgpr_workgroup_id_x 1
		.amdhsa_system_sgpr_workgroup_id_y 0
		.amdhsa_system_sgpr_workgroup_id_z 0
		.amdhsa_system_sgpr_workgroup_info 0
		.amdhsa_system_vgpr_workitem_id 0
		.amdhsa_next_free_vgpr 1
		.amdhsa_next_free_sgpr 0
		.amdhsa_accum_offset 4
		.amdhsa_reserve_vcc 0
		.amdhsa_reserve_flat_scratch 0
		.amdhsa_float_round_mode_32 0
		.amdhsa_float_round_mode_16_64 0
		.amdhsa_float_denorm_mode_32 3
		.amdhsa_float_denorm_mode_16_64 3
		.amdhsa_dx10_clamp 1
		.amdhsa_ieee_mode 1
		.amdhsa_fp16_overflow 0
		.amdhsa_tg_split 0
		.amdhsa_exception_fp_ieee_invalid_op 0
		.amdhsa_exception_fp_denorm_src 0
		.amdhsa_exception_fp_ieee_div_zero 0
		.amdhsa_exception_fp_ieee_overflow 0
		.amdhsa_exception_fp_ieee_underflow 0
		.amdhsa_exception_fp_ieee_inexact 0
		.amdhsa_exception_int_div_zero 0
	.end_amdhsa_kernel
	.section	.text._ZN7rocprim17ROCPRIM_400000_NS6detail17trampoline_kernelINS0_14default_configENS1_20scan_config_selectorIdEEZZNS1_9scan_implILNS1_25lookback_scan_determinismE0ELb1ELb1ES3_N6thrust23THRUST_200600_302600_NS6detail15normal_iteratorINS9_10device_ptrIdEEEENS9_16discard_iteratorINS9_11use_defaultEEEdNS9_4plusIvEEdEEDaPvRmT3_T4_T5_mT6_P12ihipStream_tbENKUlT_T0_E_clISt17integral_constantIbLb0EESW_IbLb1EEEEDaSS_ST_EUlSS_E_NS1_11comp_targetILNS1_3genE0ELNS1_11target_archE4294967295ELNS1_3gpuE0ELNS1_3repE0EEENS1_30default_config_static_selectorELNS0_4arch9wavefront6targetE1EEEvT1_,"axG",@progbits,_ZN7rocprim17ROCPRIM_400000_NS6detail17trampoline_kernelINS0_14default_configENS1_20scan_config_selectorIdEEZZNS1_9scan_implILNS1_25lookback_scan_determinismE0ELb1ELb1ES3_N6thrust23THRUST_200600_302600_NS6detail15normal_iteratorINS9_10device_ptrIdEEEENS9_16discard_iteratorINS9_11use_defaultEEEdNS9_4plusIvEEdEEDaPvRmT3_T4_T5_mT6_P12ihipStream_tbENKUlT_T0_E_clISt17integral_constantIbLb0EESW_IbLb1EEEEDaSS_ST_EUlSS_E_NS1_11comp_targetILNS1_3genE0ELNS1_11target_archE4294967295ELNS1_3gpuE0ELNS1_3repE0EEENS1_30default_config_static_selectorELNS0_4arch9wavefront6targetE1EEEvT1_,comdat
.Lfunc_end4988:
	.size	_ZN7rocprim17ROCPRIM_400000_NS6detail17trampoline_kernelINS0_14default_configENS1_20scan_config_selectorIdEEZZNS1_9scan_implILNS1_25lookback_scan_determinismE0ELb1ELb1ES3_N6thrust23THRUST_200600_302600_NS6detail15normal_iteratorINS9_10device_ptrIdEEEENS9_16discard_iteratorINS9_11use_defaultEEEdNS9_4plusIvEEdEEDaPvRmT3_T4_T5_mT6_P12ihipStream_tbENKUlT_T0_E_clISt17integral_constantIbLb0EESW_IbLb1EEEEDaSS_ST_EUlSS_E_NS1_11comp_targetILNS1_3genE0ELNS1_11target_archE4294967295ELNS1_3gpuE0ELNS1_3repE0EEENS1_30default_config_static_selectorELNS0_4arch9wavefront6targetE1EEEvT1_, .Lfunc_end4988-_ZN7rocprim17ROCPRIM_400000_NS6detail17trampoline_kernelINS0_14default_configENS1_20scan_config_selectorIdEEZZNS1_9scan_implILNS1_25lookback_scan_determinismE0ELb1ELb1ES3_N6thrust23THRUST_200600_302600_NS6detail15normal_iteratorINS9_10device_ptrIdEEEENS9_16discard_iteratorINS9_11use_defaultEEEdNS9_4plusIvEEdEEDaPvRmT3_T4_T5_mT6_P12ihipStream_tbENKUlT_T0_E_clISt17integral_constantIbLb0EESW_IbLb1EEEEDaSS_ST_EUlSS_E_NS1_11comp_targetILNS1_3genE0ELNS1_11target_archE4294967295ELNS1_3gpuE0ELNS1_3repE0EEENS1_30default_config_static_selectorELNS0_4arch9wavefront6targetE1EEEvT1_
                                        ; -- End function
	.section	.AMDGPU.csdata,"",@progbits
; Kernel info:
; codeLenInByte = 0
; NumSgprs: 4
; NumVgprs: 0
; NumAgprs: 0
; TotalNumVgprs: 0
; ScratchSize: 0
; MemoryBound: 0
; FloatMode: 240
; IeeeMode: 1
; LDSByteSize: 0 bytes/workgroup (compile time only)
; SGPRBlocks: 0
; VGPRBlocks: 0
; NumSGPRsForWavesPerEU: 4
; NumVGPRsForWavesPerEU: 1
; AccumOffset: 4
; Occupancy: 8
; WaveLimiterHint : 0
; COMPUTE_PGM_RSRC2:SCRATCH_EN: 0
; COMPUTE_PGM_RSRC2:USER_SGPR: 6
; COMPUTE_PGM_RSRC2:TRAP_HANDLER: 0
; COMPUTE_PGM_RSRC2:TGID_X_EN: 1
; COMPUTE_PGM_RSRC2:TGID_Y_EN: 0
; COMPUTE_PGM_RSRC2:TGID_Z_EN: 0
; COMPUTE_PGM_RSRC2:TIDIG_COMP_CNT: 0
; COMPUTE_PGM_RSRC3_GFX90A:ACCUM_OFFSET: 0
; COMPUTE_PGM_RSRC3_GFX90A:TG_SPLIT: 0
	.section	.text._ZN7rocprim17ROCPRIM_400000_NS6detail17trampoline_kernelINS0_14default_configENS1_20scan_config_selectorIdEEZZNS1_9scan_implILNS1_25lookback_scan_determinismE0ELb1ELb1ES3_N6thrust23THRUST_200600_302600_NS6detail15normal_iteratorINS9_10device_ptrIdEEEENS9_16discard_iteratorINS9_11use_defaultEEEdNS9_4plusIvEEdEEDaPvRmT3_T4_T5_mT6_P12ihipStream_tbENKUlT_T0_E_clISt17integral_constantIbLb0EESW_IbLb1EEEEDaSS_ST_EUlSS_E_NS1_11comp_targetILNS1_3genE5ELNS1_11target_archE942ELNS1_3gpuE9ELNS1_3repE0EEENS1_30default_config_static_selectorELNS0_4arch9wavefront6targetE1EEEvT1_,"axG",@progbits,_ZN7rocprim17ROCPRIM_400000_NS6detail17trampoline_kernelINS0_14default_configENS1_20scan_config_selectorIdEEZZNS1_9scan_implILNS1_25lookback_scan_determinismE0ELb1ELb1ES3_N6thrust23THRUST_200600_302600_NS6detail15normal_iteratorINS9_10device_ptrIdEEEENS9_16discard_iteratorINS9_11use_defaultEEEdNS9_4plusIvEEdEEDaPvRmT3_T4_T5_mT6_P12ihipStream_tbENKUlT_T0_E_clISt17integral_constantIbLb0EESW_IbLb1EEEEDaSS_ST_EUlSS_E_NS1_11comp_targetILNS1_3genE5ELNS1_11target_archE942ELNS1_3gpuE9ELNS1_3repE0EEENS1_30default_config_static_selectorELNS0_4arch9wavefront6targetE1EEEvT1_,comdat
	.protected	_ZN7rocprim17ROCPRIM_400000_NS6detail17trampoline_kernelINS0_14default_configENS1_20scan_config_selectorIdEEZZNS1_9scan_implILNS1_25lookback_scan_determinismE0ELb1ELb1ES3_N6thrust23THRUST_200600_302600_NS6detail15normal_iteratorINS9_10device_ptrIdEEEENS9_16discard_iteratorINS9_11use_defaultEEEdNS9_4plusIvEEdEEDaPvRmT3_T4_T5_mT6_P12ihipStream_tbENKUlT_T0_E_clISt17integral_constantIbLb0EESW_IbLb1EEEEDaSS_ST_EUlSS_E_NS1_11comp_targetILNS1_3genE5ELNS1_11target_archE942ELNS1_3gpuE9ELNS1_3repE0EEENS1_30default_config_static_selectorELNS0_4arch9wavefront6targetE1EEEvT1_ ; -- Begin function _ZN7rocprim17ROCPRIM_400000_NS6detail17trampoline_kernelINS0_14default_configENS1_20scan_config_selectorIdEEZZNS1_9scan_implILNS1_25lookback_scan_determinismE0ELb1ELb1ES3_N6thrust23THRUST_200600_302600_NS6detail15normal_iteratorINS9_10device_ptrIdEEEENS9_16discard_iteratorINS9_11use_defaultEEEdNS9_4plusIvEEdEEDaPvRmT3_T4_T5_mT6_P12ihipStream_tbENKUlT_T0_E_clISt17integral_constantIbLb0EESW_IbLb1EEEEDaSS_ST_EUlSS_E_NS1_11comp_targetILNS1_3genE5ELNS1_11target_archE942ELNS1_3gpuE9ELNS1_3repE0EEENS1_30default_config_static_selectorELNS0_4arch9wavefront6targetE1EEEvT1_
	.globl	_ZN7rocprim17ROCPRIM_400000_NS6detail17trampoline_kernelINS0_14default_configENS1_20scan_config_selectorIdEEZZNS1_9scan_implILNS1_25lookback_scan_determinismE0ELb1ELb1ES3_N6thrust23THRUST_200600_302600_NS6detail15normal_iteratorINS9_10device_ptrIdEEEENS9_16discard_iteratorINS9_11use_defaultEEEdNS9_4plusIvEEdEEDaPvRmT3_T4_T5_mT6_P12ihipStream_tbENKUlT_T0_E_clISt17integral_constantIbLb0EESW_IbLb1EEEEDaSS_ST_EUlSS_E_NS1_11comp_targetILNS1_3genE5ELNS1_11target_archE942ELNS1_3gpuE9ELNS1_3repE0EEENS1_30default_config_static_selectorELNS0_4arch9wavefront6targetE1EEEvT1_
	.p2align	8
	.type	_ZN7rocprim17ROCPRIM_400000_NS6detail17trampoline_kernelINS0_14default_configENS1_20scan_config_selectorIdEEZZNS1_9scan_implILNS1_25lookback_scan_determinismE0ELb1ELb1ES3_N6thrust23THRUST_200600_302600_NS6detail15normal_iteratorINS9_10device_ptrIdEEEENS9_16discard_iteratorINS9_11use_defaultEEEdNS9_4plusIvEEdEEDaPvRmT3_T4_T5_mT6_P12ihipStream_tbENKUlT_T0_E_clISt17integral_constantIbLb0EESW_IbLb1EEEEDaSS_ST_EUlSS_E_NS1_11comp_targetILNS1_3genE5ELNS1_11target_archE942ELNS1_3gpuE9ELNS1_3repE0EEENS1_30default_config_static_selectorELNS0_4arch9wavefront6targetE1EEEvT1_,@function
_ZN7rocprim17ROCPRIM_400000_NS6detail17trampoline_kernelINS0_14default_configENS1_20scan_config_selectorIdEEZZNS1_9scan_implILNS1_25lookback_scan_determinismE0ELb1ELb1ES3_N6thrust23THRUST_200600_302600_NS6detail15normal_iteratorINS9_10device_ptrIdEEEENS9_16discard_iteratorINS9_11use_defaultEEEdNS9_4plusIvEEdEEDaPvRmT3_T4_T5_mT6_P12ihipStream_tbENKUlT_T0_E_clISt17integral_constantIbLb0EESW_IbLb1EEEEDaSS_ST_EUlSS_E_NS1_11comp_targetILNS1_3genE5ELNS1_11target_archE942ELNS1_3gpuE9ELNS1_3repE0EEENS1_30default_config_static_selectorELNS0_4arch9wavefront6targetE1EEEvT1_: ; @_ZN7rocprim17ROCPRIM_400000_NS6detail17trampoline_kernelINS0_14default_configENS1_20scan_config_selectorIdEEZZNS1_9scan_implILNS1_25lookback_scan_determinismE0ELb1ELb1ES3_N6thrust23THRUST_200600_302600_NS6detail15normal_iteratorINS9_10device_ptrIdEEEENS9_16discard_iteratorINS9_11use_defaultEEEdNS9_4plusIvEEdEEDaPvRmT3_T4_T5_mT6_P12ihipStream_tbENKUlT_T0_E_clISt17integral_constantIbLb0EESW_IbLb1EEEEDaSS_ST_EUlSS_E_NS1_11comp_targetILNS1_3genE5ELNS1_11target_archE942ELNS1_3gpuE9ELNS1_3repE0EEENS1_30default_config_static_selectorELNS0_4arch9wavefront6targetE1EEEvT1_
; %bb.0:
	.section	.rodata,"a",@progbits
	.p2align	6, 0x0
	.amdhsa_kernel _ZN7rocprim17ROCPRIM_400000_NS6detail17trampoline_kernelINS0_14default_configENS1_20scan_config_selectorIdEEZZNS1_9scan_implILNS1_25lookback_scan_determinismE0ELb1ELb1ES3_N6thrust23THRUST_200600_302600_NS6detail15normal_iteratorINS9_10device_ptrIdEEEENS9_16discard_iteratorINS9_11use_defaultEEEdNS9_4plusIvEEdEEDaPvRmT3_T4_T5_mT6_P12ihipStream_tbENKUlT_T0_E_clISt17integral_constantIbLb0EESW_IbLb1EEEEDaSS_ST_EUlSS_E_NS1_11comp_targetILNS1_3genE5ELNS1_11target_archE942ELNS1_3gpuE9ELNS1_3repE0EEENS1_30default_config_static_selectorELNS0_4arch9wavefront6targetE1EEEvT1_
		.amdhsa_group_segment_fixed_size 0
		.amdhsa_private_segment_fixed_size 0
		.amdhsa_kernarg_size 112
		.amdhsa_user_sgpr_count 6
		.amdhsa_user_sgpr_private_segment_buffer 1
		.amdhsa_user_sgpr_dispatch_ptr 0
		.amdhsa_user_sgpr_queue_ptr 0
		.amdhsa_user_sgpr_kernarg_segment_ptr 1
		.amdhsa_user_sgpr_dispatch_id 0
		.amdhsa_user_sgpr_flat_scratch_init 0
		.amdhsa_user_sgpr_kernarg_preload_length 0
		.amdhsa_user_sgpr_kernarg_preload_offset 0
		.amdhsa_user_sgpr_private_segment_size 0
		.amdhsa_uses_dynamic_stack 0
		.amdhsa_system_sgpr_private_segment_wavefront_offset 0
		.amdhsa_system_sgpr_workgroup_id_x 1
		.amdhsa_system_sgpr_workgroup_id_y 0
		.amdhsa_system_sgpr_workgroup_id_z 0
		.amdhsa_system_sgpr_workgroup_info 0
		.amdhsa_system_vgpr_workitem_id 0
		.amdhsa_next_free_vgpr 1
		.amdhsa_next_free_sgpr 0
		.amdhsa_accum_offset 4
		.amdhsa_reserve_vcc 0
		.amdhsa_reserve_flat_scratch 0
		.amdhsa_float_round_mode_32 0
		.amdhsa_float_round_mode_16_64 0
		.amdhsa_float_denorm_mode_32 3
		.amdhsa_float_denorm_mode_16_64 3
		.amdhsa_dx10_clamp 1
		.amdhsa_ieee_mode 1
		.amdhsa_fp16_overflow 0
		.amdhsa_tg_split 0
		.amdhsa_exception_fp_ieee_invalid_op 0
		.amdhsa_exception_fp_denorm_src 0
		.amdhsa_exception_fp_ieee_div_zero 0
		.amdhsa_exception_fp_ieee_overflow 0
		.amdhsa_exception_fp_ieee_underflow 0
		.amdhsa_exception_fp_ieee_inexact 0
		.amdhsa_exception_int_div_zero 0
	.end_amdhsa_kernel
	.section	.text._ZN7rocprim17ROCPRIM_400000_NS6detail17trampoline_kernelINS0_14default_configENS1_20scan_config_selectorIdEEZZNS1_9scan_implILNS1_25lookback_scan_determinismE0ELb1ELb1ES3_N6thrust23THRUST_200600_302600_NS6detail15normal_iteratorINS9_10device_ptrIdEEEENS9_16discard_iteratorINS9_11use_defaultEEEdNS9_4plusIvEEdEEDaPvRmT3_T4_T5_mT6_P12ihipStream_tbENKUlT_T0_E_clISt17integral_constantIbLb0EESW_IbLb1EEEEDaSS_ST_EUlSS_E_NS1_11comp_targetILNS1_3genE5ELNS1_11target_archE942ELNS1_3gpuE9ELNS1_3repE0EEENS1_30default_config_static_selectorELNS0_4arch9wavefront6targetE1EEEvT1_,"axG",@progbits,_ZN7rocprim17ROCPRIM_400000_NS6detail17trampoline_kernelINS0_14default_configENS1_20scan_config_selectorIdEEZZNS1_9scan_implILNS1_25lookback_scan_determinismE0ELb1ELb1ES3_N6thrust23THRUST_200600_302600_NS6detail15normal_iteratorINS9_10device_ptrIdEEEENS9_16discard_iteratorINS9_11use_defaultEEEdNS9_4plusIvEEdEEDaPvRmT3_T4_T5_mT6_P12ihipStream_tbENKUlT_T0_E_clISt17integral_constantIbLb0EESW_IbLb1EEEEDaSS_ST_EUlSS_E_NS1_11comp_targetILNS1_3genE5ELNS1_11target_archE942ELNS1_3gpuE9ELNS1_3repE0EEENS1_30default_config_static_selectorELNS0_4arch9wavefront6targetE1EEEvT1_,comdat
.Lfunc_end4989:
	.size	_ZN7rocprim17ROCPRIM_400000_NS6detail17trampoline_kernelINS0_14default_configENS1_20scan_config_selectorIdEEZZNS1_9scan_implILNS1_25lookback_scan_determinismE0ELb1ELb1ES3_N6thrust23THRUST_200600_302600_NS6detail15normal_iteratorINS9_10device_ptrIdEEEENS9_16discard_iteratorINS9_11use_defaultEEEdNS9_4plusIvEEdEEDaPvRmT3_T4_T5_mT6_P12ihipStream_tbENKUlT_T0_E_clISt17integral_constantIbLb0EESW_IbLb1EEEEDaSS_ST_EUlSS_E_NS1_11comp_targetILNS1_3genE5ELNS1_11target_archE942ELNS1_3gpuE9ELNS1_3repE0EEENS1_30default_config_static_selectorELNS0_4arch9wavefront6targetE1EEEvT1_, .Lfunc_end4989-_ZN7rocprim17ROCPRIM_400000_NS6detail17trampoline_kernelINS0_14default_configENS1_20scan_config_selectorIdEEZZNS1_9scan_implILNS1_25lookback_scan_determinismE0ELb1ELb1ES3_N6thrust23THRUST_200600_302600_NS6detail15normal_iteratorINS9_10device_ptrIdEEEENS9_16discard_iteratorINS9_11use_defaultEEEdNS9_4plusIvEEdEEDaPvRmT3_T4_T5_mT6_P12ihipStream_tbENKUlT_T0_E_clISt17integral_constantIbLb0EESW_IbLb1EEEEDaSS_ST_EUlSS_E_NS1_11comp_targetILNS1_3genE5ELNS1_11target_archE942ELNS1_3gpuE9ELNS1_3repE0EEENS1_30default_config_static_selectorELNS0_4arch9wavefront6targetE1EEEvT1_
                                        ; -- End function
	.section	.AMDGPU.csdata,"",@progbits
; Kernel info:
; codeLenInByte = 0
; NumSgprs: 4
; NumVgprs: 0
; NumAgprs: 0
; TotalNumVgprs: 0
; ScratchSize: 0
; MemoryBound: 0
; FloatMode: 240
; IeeeMode: 1
; LDSByteSize: 0 bytes/workgroup (compile time only)
; SGPRBlocks: 0
; VGPRBlocks: 0
; NumSGPRsForWavesPerEU: 4
; NumVGPRsForWavesPerEU: 1
; AccumOffset: 4
; Occupancy: 8
; WaveLimiterHint : 0
; COMPUTE_PGM_RSRC2:SCRATCH_EN: 0
; COMPUTE_PGM_RSRC2:USER_SGPR: 6
; COMPUTE_PGM_RSRC2:TRAP_HANDLER: 0
; COMPUTE_PGM_RSRC2:TGID_X_EN: 1
; COMPUTE_PGM_RSRC2:TGID_Y_EN: 0
; COMPUTE_PGM_RSRC2:TGID_Z_EN: 0
; COMPUTE_PGM_RSRC2:TIDIG_COMP_CNT: 0
; COMPUTE_PGM_RSRC3_GFX90A:ACCUM_OFFSET: 0
; COMPUTE_PGM_RSRC3_GFX90A:TG_SPLIT: 0
	.section	.text._ZN7rocprim17ROCPRIM_400000_NS6detail17trampoline_kernelINS0_14default_configENS1_20scan_config_selectorIdEEZZNS1_9scan_implILNS1_25lookback_scan_determinismE0ELb1ELb1ES3_N6thrust23THRUST_200600_302600_NS6detail15normal_iteratorINS9_10device_ptrIdEEEENS9_16discard_iteratorINS9_11use_defaultEEEdNS9_4plusIvEEdEEDaPvRmT3_T4_T5_mT6_P12ihipStream_tbENKUlT_T0_E_clISt17integral_constantIbLb0EESW_IbLb1EEEEDaSS_ST_EUlSS_E_NS1_11comp_targetILNS1_3genE4ELNS1_11target_archE910ELNS1_3gpuE8ELNS1_3repE0EEENS1_30default_config_static_selectorELNS0_4arch9wavefront6targetE1EEEvT1_,"axG",@progbits,_ZN7rocprim17ROCPRIM_400000_NS6detail17trampoline_kernelINS0_14default_configENS1_20scan_config_selectorIdEEZZNS1_9scan_implILNS1_25lookback_scan_determinismE0ELb1ELb1ES3_N6thrust23THRUST_200600_302600_NS6detail15normal_iteratorINS9_10device_ptrIdEEEENS9_16discard_iteratorINS9_11use_defaultEEEdNS9_4plusIvEEdEEDaPvRmT3_T4_T5_mT6_P12ihipStream_tbENKUlT_T0_E_clISt17integral_constantIbLb0EESW_IbLb1EEEEDaSS_ST_EUlSS_E_NS1_11comp_targetILNS1_3genE4ELNS1_11target_archE910ELNS1_3gpuE8ELNS1_3repE0EEENS1_30default_config_static_selectorELNS0_4arch9wavefront6targetE1EEEvT1_,comdat
	.protected	_ZN7rocprim17ROCPRIM_400000_NS6detail17trampoline_kernelINS0_14default_configENS1_20scan_config_selectorIdEEZZNS1_9scan_implILNS1_25lookback_scan_determinismE0ELb1ELb1ES3_N6thrust23THRUST_200600_302600_NS6detail15normal_iteratorINS9_10device_ptrIdEEEENS9_16discard_iteratorINS9_11use_defaultEEEdNS9_4plusIvEEdEEDaPvRmT3_T4_T5_mT6_P12ihipStream_tbENKUlT_T0_E_clISt17integral_constantIbLb0EESW_IbLb1EEEEDaSS_ST_EUlSS_E_NS1_11comp_targetILNS1_3genE4ELNS1_11target_archE910ELNS1_3gpuE8ELNS1_3repE0EEENS1_30default_config_static_selectorELNS0_4arch9wavefront6targetE1EEEvT1_ ; -- Begin function _ZN7rocprim17ROCPRIM_400000_NS6detail17trampoline_kernelINS0_14default_configENS1_20scan_config_selectorIdEEZZNS1_9scan_implILNS1_25lookback_scan_determinismE0ELb1ELb1ES3_N6thrust23THRUST_200600_302600_NS6detail15normal_iteratorINS9_10device_ptrIdEEEENS9_16discard_iteratorINS9_11use_defaultEEEdNS9_4plusIvEEdEEDaPvRmT3_T4_T5_mT6_P12ihipStream_tbENKUlT_T0_E_clISt17integral_constantIbLb0EESW_IbLb1EEEEDaSS_ST_EUlSS_E_NS1_11comp_targetILNS1_3genE4ELNS1_11target_archE910ELNS1_3gpuE8ELNS1_3repE0EEENS1_30default_config_static_selectorELNS0_4arch9wavefront6targetE1EEEvT1_
	.globl	_ZN7rocprim17ROCPRIM_400000_NS6detail17trampoline_kernelINS0_14default_configENS1_20scan_config_selectorIdEEZZNS1_9scan_implILNS1_25lookback_scan_determinismE0ELb1ELb1ES3_N6thrust23THRUST_200600_302600_NS6detail15normal_iteratorINS9_10device_ptrIdEEEENS9_16discard_iteratorINS9_11use_defaultEEEdNS9_4plusIvEEdEEDaPvRmT3_T4_T5_mT6_P12ihipStream_tbENKUlT_T0_E_clISt17integral_constantIbLb0EESW_IbLb1EEEEDaSS_ST_EUlSS_E_NS1_11comp_targetILNS1_3genE4ELNS1_11target_archE910ELNS1_3gpuE8ELNS1_3repE0EEENS1_30default_config_static_selectorELNS0_4arch9wavefront6targetE1EEEvT1_
	.p2align	8
	.type	_ZN7rocprim17ROCPRIM_400000_NS6detail17trampoline_kernelINS0_14default_configENS1_20scan_config_selectorIdEEZZNS1_9scan_implILNS1_25lookback_scan_determinismE0ELb1ELb1ES3_N6thrust23THRUST_200600_302600_NS6detail15normal_iteratorINS9_10device_ptrIdEEEENS9_16discard_iteratorINS9_11use_defaultEEEdNS9_4plusIvEEdEEDaPvRmT3_T4_T5_mT6_P12ihipStream_tbENKUlT_T0_E_clISt17integral_constantIbLb0EESW_IbLb1EEEEDaSS_ST_EUlSS_E_NS1_11comp_targetILNS1_3genE4ELNS1_11target_archE910ELNS1_3gpuE8ELNS1_3repE0EEENS1_30default_config_static_selectorELNS0_4arch9wavefront6targetE1EEEvT1_,@function
_ZN7rocprim17ROCPRIM_400000_NS6detail17trampoline_kernelINS0_14default_configENS1_20scan_config_selectorIdEEZZNS1_9scan_implILNS1_25lookback_scan_determinismE0ELb1ELb1ES3_N6thrust23THRUST_200600_302600_NS6detail15normal_iteratorINS9_10device_ptrIdEEEENS9_16discard_iteratorINS9_11use_defaultEEEdNS9_4plusIvEEdEEDaPvRmT3_T4_T5_mT6_P12ihipStream_tbENKUlT_T0_E_clISt17integral_constantIbLb0EESW_IbLb1EEEEDaSS_ST_EUlSS_E_NS1_11comp_targetILNS1_3genE4ELNS1_11target_archE910ELNS1_3gpuE8ELNS1_3repE0EEENS1_30default_config_static_selectorELNS0_4arch9wavefront6targetE1EEEvT1_: ; @_ZN7rocprim17ROCPRIM_400000_NS6detail17trampoline_kernelINS0_14default_configENS1_20scan_config_selectorIdEEZZNS1_9scan_implILNS1_25lookback_scan_determinismE0ELb1ELb1ES3_N6thrust23THRUST_200600_302600_NS6detail15normal_iteratorINS9_10device_ptrIdEEEENS9_16discard_iteratorINS9_11use_defaultEEEdNS9_4plusIvEEdEEDaPvRmT3_T4_T5_mT6_P12ihipStream_tbENKUlT_T0_E_clISt17integral_constantIbLb0EESW_IbLb1EEEEDaSS_ST_EUlSS_E_NS1_11comp_targetILNS1_3genE4ELNS1_11target_archE910ELNS1_3gpuE8ELNS1_3repE0EEENS1_30default_config_static_selectorELNS0_4arch9wavefront6targetE1EEEvT1_
; %bb.0:
	s_load_dwordx2 s[24:25], s[4:5], 0x38
	v_cmp_eq_u32_e64 s[0:1], 0, v0
	s_and_saveexec_b64 s[2:3], s[0:1]
	s_cbranch_execz .LBB4990_4
; %bb.1:
	s_mov_b64 s[8:9], exec
	v_mbcnt_lo_u32_b32 v1, s8, 0
	v_mbcnt_hi_u32_b32 v1, s9, v1
	v_cmp_eq_u32_e32 vcc, 0, v1
                                        ; implicit-def: $vgpr2
	s_and_saveexec_b64 s[6:7], vcc
	s_cbranch_execz .LBB4990_3
; %bb.2:
	s_load_dwordx2 s[10:11], s[4:5], 0x68
	s_bcnt1_i32_b64 s8, s[8:9]
	v_mov_b32_e32 v2, 0
	v_mov_b32_e32 v3, s8
	s_waitcnt lgkmcnt(0)
	global_atomic_add v2, v2, v3, s[10:11] glc
.LBB4990_3:
	s_or_b64 exec, exec, s[6:7]
	s_waitcnt vmcnt(0)
	v_readfirstlane_b32 s6, v2
	v_add_u32_e32 v1, s6, v1
	v_mov_b32_e32 v2, 0
	ds_write_b32 v2, v1
.LBB4990_4:
	s_or_b64 exec, exec, s[2:3]
	v_mov_b32_e32 v3, 0
	s_load_dwordx4 s[8:11], s[4:5], 0x0
	s_load_dwordx4 s[20:23], s[4:5], 0x20
	s_load_dword s2, s[4:5], 0x40
	s_load_dwordx8 s[12:19], s[4:5], 0x48
	s_waitcnt lgkmcnt(0)
	s_barrier
	ds_read_b32 v1, v3
	s_lshl_b64 s[4:5], s[10:11], 3
	s_add_u32 s30, s8, s4
	s_addc_u32 s31, s9, s5
	s_movk_i32 s3, 0x500
	s_add_i32 s2, s2, -1
	s_waitcnt lgkmcnt(0)
	v_mul_lo_u32 v2, v1, s3
	s_mul_i32 s3, s2, 0x500
	s_sub_u32 s28, s20, s3
	v_readfirstlane_b32 s33, v1
	s_subb_u32 s29, s21, 0
	v_lshlrev_b64 v[2:3], 3, v[2:3]
	s_cmp_lg_u32 s33, s2
	v_mov_b32_e32 v1, s31
	v_add_co_u32_e32 v36, vcc, s30, v2
	s_cselect_b64 s[20:21], -1, 0
	v_addc_co_u32_e32 v37, vcc, v1, v3, vcc
	s_mov_b64 s[2:3], -1
	s_and_b64 vcc, exec, s[20:21]
	s_barrier
	s_cbranch_vccz .LBB4990_6
; %bb.5:
	v_lshlrev_b32_e32 v1, 3, v0
	v_add_co_u32_e32 v2, vcc, v36, v1
	v_addc_co_u32_e32 v3, vcc, 0, v37, vcc
	v_add_co_u32_e32 v12, vcc, 0x1000, v2
	v_addc_co_u32_e32 v13, vcc, 0, v3, vcc
	flat_load_dwordx2 v[4:5], v[2:3]
	flat_load_dwordx2 v[6:7], v[2:3] offset:1024
	flat_load_dwordx2 v[8:9], v[2:3] offset:2048
	;; [unrolled: 1-line block ×3, first 2 shown]
	v_add_co_u32_e32 v2, vcc, 0x2000, v2
	v_addc_co_u32_e32 v3, vcc, 0, v3, vcc
	flat_load_dwordx2 v[14:15], v[12:13]
	flat_load_dwordx2 v[16:17], v[12:13] offset:1024
	flat_load_dwordx2 v[18:19], v[12:13] offset:2048
	;; [unrolled: 1-line block ×3, first 2 shown]
	s_nop 0
	flat_load_dwordx2 v[12:13], v[2:3]
	flat_load_dwordx2 v[22:23], v[2:3] offset:1024
	s_mov_b64 s[2:3], 0
	s_waitcnt vmcnt(0) lgkmcnt(0)
	ds_write2st64_b64 v1, v[4:5], v[6:7] offset1:2
	ds_write2st64_b64 v1, v[8:9], v[10:11] offset0:4 offset1:6
	ds_write2st64_b64 v1, v[14:15], v[16:17] offset0:8 offset1:10
	;; [unrolled: 1-line block ×4, first 2 shown]
	s_waitcnt lgkmcnt(0)
	s_barrier
.LBB4990_6:
	s_andn2_b64 vcc, exec, s[2:3]
	s_cbranch_vccnz .LBB4990_28
; %bb.7:
	flat_load_dwordx2 v[2:3], v[36:37]
	v_cmp_gt_u32_e32 vcc, s28, v0
	s_waitcnt vmcnt(0) lgkmcnt(0)
	v_mov_b32_e32 v4, v2
	v_mov_b32_e32 v5, v3
	;; [unrolled: 1-line block ×16, first 2 shown]
	v_pk_mov_b32 v[34:35], v[30:31], v[30:31] op_sel:[0,1]
	v_pk_mov_b32 v[32:33], v[28:29], v[28:29] op_sel:[0,1]
	;; [unrolled: 1-line block ×16, first 2 shown]
	s_and_saveexec_b64 s[2:3], vcc
	s_cbranch_execz .LBB4990_9
; %bb.8:
	v_lshlrev_b32_e32 v1, 3, v0
	v_add_co_u32_e32 v4, vcc, v36, v1
	v_addc_co_u32_e32 v5, vcc, 0, v37, vcc
	flat_load_dwordx2 v[38:39], v[4:5]
	v_mov_b32_e32 v4, v2
	v_mov_b32_e32 v5, v3
	v_mov_b32_e32 v6, v2
	v_mov_b32_e32 v7, v3
	v_mov_b32_e32 v8, v2
	v_mov_b32_e32 v9, v3
	v_mov_b32_e32 v10, v2
	v_mov_b32_e32 v11, v3
	v_mov_b32_e32 v12, v2
	v_mov_b32_e32 v13, v3
	v_mov_b32_e32 v14, v2
	v_mov_b32_e32 v15, v3
	v_mov_b32_e32 v16, v2
	v_mov_b32_e32 v17, v3
	v_mov_b32_e32 v18, v2
	v_mov_b32_e32 v19, v3
	v_pk_mov_b32 v[34:35], v[30:31], v[30:31] op_sel:[0,1]
	v_pk_mov_b32 v[32:33], v[28:29], v[28:29] op_sel:[0,1]
	;; [unrolled: 1-line block ×16, first 2 shown]
	s_waitcnt vmcnt(0) lgkmcnt(0)
	v_pk_mov_b32 v[2:3], v[38:39], v[38:39] op_sel:[0,1]
.LBB4990_9:
	s_or_b64 exec, exec, s[2:3]
	v_or_b32_e32 v1, 0x80, v0
	v_cmp_gt_u32_e32 vcc, s28, v1
	s_and_saveexec_b64 s[2:3], vcc
	s_cbranch_execz .LBB4990_11
; %bb.10:
	v_lshlrev_b32_e32 v1, 3, v0
	v_add_co_u32_e32 v4, vcc, v36, v1
	v_addc_co_u32_e32 v5, vcc, 0, v37, vcc
	flat_load_dwordx2 v[6:7], v[4:5] offset:1024
.LBB4990_11:
	s_or_b64 exec, exec, s[2:3]
	v_or_b32_e32 v1, 0x100, v0
	v_cmp_gt_u32_e32 vcc, s28, v1
	s_and_saveexec_b64 s[2:3], vcc
	s_cbranch_execz .LBB4990_13
; %bb.12:
	v_lshlrev_b32_e32 v1, 3, v0
	v_add_co_u32_e32 v4, vcc, v36, v1
	v_addc_co_u32_e32 v5, vcc, 0, v37, vcc
	flat_load_dwordx2 v[8:9], v[4:5] offset:2048
.LBB4990_13:
	;; [unrolled: 11-line block ×3, first 2 shown]
	s_or_b64 exec, exec, s[2:3]
	v_or_b32_e32 v1, 0x200, v0
	v_cmp_gt_u32_e32 vcc, s28, v1
	s_and_saveexec_b64 s[2:3], vcc
	s_cbranch_execz .LBB4990_17
; %bb.16:
	v_lshlrev_b32_e32 v1, 3, v1
	v_add_co_u32_e32 v4, vcc, v36, v1
	v_addc_co_u32_e32 v5, vcc, 0, v37, vcc
	flat_load_dwordx2 v[12:13], v[4:5]
.LBB4990_17:
	s_or_b64 exec, exec, s[2:3]
	v_or_b32_e32 v1, 0x280, v0
	v_cmp_gt_u32_e32 vcc, s28, v1
	s_and_saveexec_b64 s[2:3], vcc
	s_cbranch_execz .LBB4990_19
; %bb.18:
	v_lshlrev_b32_e32 v1, 3, v1
	v_add_co_u32_e32 v4, vcc, v36, v1
	v_addc_co_u32_e32 v5, vcc, 0, v37, vcc
	flat_load_dwordx2 v[14:15], v[4:5]
.LBB4990_19:
	;; [unrolled: 11-line block ×6, first 2 shown]
	s_or_b64 exec, exec, s[2:3]
	v_lshlrev_b32_e32 v1, 3, v0
	s_waitcnt vmcnt(0) lgkmcnt(0)
	ds_write2st64_b64 v1, v[2:3], v[6:7] offset1:2
	ds_write2st64_b64 v1, v[8:9], v[10:11] offset0:4 offset1:6
	ds_write2st64_b64 v1, v[12:13], v[14:15] offset0:8 offset1:10
	;; [unrolled: 1-line block ×4, first 2 shown]
	s_waitcnt lgkmcnt(0)
	s_barrier
.LBB4990_28:
	v_mul_u32_u24_e32 v44, 10, v0
	v_lshlrev_b32_e32 v45, 3, v44
	ds_read_b128 v[14:17], v45
	ds_read_b128 v[10:13], v45 offset:16
	ds_read_b128 v[6:9], v45 offset:32
	;; [unrolled: 1-line block ×4, first 2 shown]
	s_waitcnt lgkmcnt(4)
	v_add_f64 v[22:23], v[14:15], v[16:17]
	s_cmp_lg_u32 s33, 0
	s_waitcnt lgkmcnt(3)
	v_add_f64 v[42:43], v[10:11], v[22:23]
	v_mbcnt_lo_u32_b32 v1, -1, 0
	s_waitcnt lgkmcnt(0)
	s_barrier
	s_cbranch_scc0 .LBB4990_57
; %bb.29:
	v_add_f64 v[22:23], v[12:13], v[42:43]
	v_add_f64 v[22:23], v[6:7], v[22:23]
	;; [unrolled: 1-line block ×7, first 2 shown]
	v_mbcnt_hi_u32_b32 v33, -1, v1
	v_and_b32_e32 v28, 15, v33
	v_mov_b32_dpp v24, v22 row_shr:1 row_mask:0xf bank_mask:0xf
	v_mov_b32_dpp v25, v23 row_shr:1 row_mask:0xf bank_mask:0xf
	v_add_f64 v[24:25], v[22:23], v[24:25]
	v_cmp_eq_u32_e32 vcc, 0, v28
	v_cndmask_b32_e32 v24, v24, v22, vcc
	v_cndmask_b32_e32 v25, v25, v23, vcc
	v_cmp_lt_u32_e32 vcc, 1, v28
	v_mov_b32_dpp v26, v24 row_shr:2 row_mask:0xf bank_mask:0xf
	v_mov_b32_dpp v27, v25 row_shr:2 row_mask:0xf bank_mask:0xf
	v_add_f64 v[26:27], v[24:25], v[26:27]
	v_cndmask_b32_e32 v24, v24, v26, vcc
	v_cndmask_b32_e32 v25, v25, v27, vcc
	v_cmp_lt_u32_e32 vcc, 3, v28
	v_mov_b32_dpp v26, v24 row_shr:4 row_mask:0xf bank_mask:0xf
	v_mov_b32_dpp v27, v25 row_shr:4 row_mask:0xf bank_mask:0xf
	v_add_f64 v[26:27], v[24:25], v[26:27]
	;; [unrolled: 6-line block ×3, first 2 shown]
	v_cndmask_b32_e32 v24, v24, v26, vcc
	v_cndmask_b32_e32 v25, v25, v27, vcc
	v_and_b32_e32 v30, 16, v33
	v_mov_b32_dpp v26, v24 row_bcast:15 row_mask:0xf bank_mask:0xf
	v_mov_b32_dpp v27, v25 row_bcast:15 row_mask:0xf bank_mask:0xf
	v_add_f64 v[28:29], v[24:25], v[26:27]
	v_cmp_eq_u32_e32 vcc, 0, v30
	v_cndmask_b32_e32 v27, v29, v25, vcc
	v_cndmask_b32_e32 v26, v28, v24, vcc
	v_cmp_eq_u32_e64 s[2:3], 0, v33
	v_mov_b32_dpp v27, v27 row_bcast:31 row_mask:0xf bank_mask:0xf
	v_mov_b32_dpp v26, v26 row_bcast:31 row_mask:0xf bank_mask:0xf
	v_cmp_ne_u32_e64 s[4:5], 0, v33
	s_and_saveexec_b64 s[6:7], s[4:5]
; %bb.30:
	v_cndmask_b32_e32 v23, v29, v25, vcc
	v_cndmask_b32_e32 v22, v28, v24, vcc
	v_add_f64 v[24:25], v[22:23], v[26:27]
	v_cmp_lt_u32_e32 vcc, 31, v33
	v_cndmask_b32_e32 v23, v23, v25, vcc
	v_cndmask_b32_e32 v22, v22, v24, vcc
; %bb.31:
	s_or_b64 exec, exec, s[6:7]
	v_or_b32_e32 v25, 63, v0
	v_lshrrev_b32_e32 v24, 6, v0
	v_cmp_eq_u32_e32 vcc, v25, v0
	s_and_saveexec_b64 s[4:5], vcc
	s_cbranch_execz .LBB4990_33
; %bb.32:
	v_lshlrev_b32_e32 v25, 3, v24
	ds_write_b64 v25, v[22:23]
.LBB4990_33:
	s_or_b64 exec, exec, s[4:5]
	v_cmp_gt_u32_e32 vcc, 2, v0
	s_waitcnt lgkmcnt(0)
	s_barrier
	s_and_saveexec_b64 s[4:5], vcc
	s_cbranch_execz .LBB4990_35
; %bb.34:
	v_lshlrev_b32_e32 v25, 3, v0
	ds_read_b64 v[26:27], v25
	v_and_b32_e32 v30, 1, v33
	v_cmp_eq_u32_e32 vcc, 0, v30
	s_waitcnt lgkmcnt(0)
	v_mov_b32_dpp v28, v26 row_shr:1 row_mask:0xf bank_mask:0xf
	v_mov_b32_dpp v29, v27 row_shr:1 row_mask:0xf bank_mask:0xf
	v_add_f64 v[28:29], v[26:27], v[28:29]
	v_cndmask_b32_e32 v27, v29, v27, vcc
	v_cndmask_b32_e32 v26, v28, v26, vcc
	ds_write_b64 v25, v[26:27]
.LBB4990_35:
	s_or_b64 exec, exec, s[4:5]
	v_cmp_gt_u32_e32 vcc, 64, v0
	v_cmp_lt_u32_e64 s[4:5], 63, v0
	s_waitcnt lgkmcnt(0)
	s_barrier
	s_waitcnt lgkmcnt(0)
                                        ; implicit-def: $vgpr30_vgpr31
	s_and_saveexec_b64 s[6:7], s[4:5]
	s_cbranch_execz .LBB4990_37
; %bb.36:
	v_lshl_add_u32 v24, v24, 3, -8
	ds_read_b64 v[30:31], v24
	s_waitcnt lgkmcnt(0)
	v_add_f64 v[22:23], v[22:23], v[30:31]
.LBB4990_37:
	s_or_b64 exec, exec, s[6:7]
	v_add_u32_e32 v24, -1, v33
	v_and_b32_e32 v25, 64, v33
	v_cmp_lt_i32_e64 s[4:5], v24, v25
	v_cndmask_b32_e64 v24, v24, v33, s[4:5]
	v_lshlrev_b32_e32 v24, 2, v24
	ds_bpermute_b32 v38, v24, v22
	ds_bpermute_b32 v39, v24, v23
	s_and_saveexec_b64 s[26:27], vcc
	s_cbranch_execz .LBB4990_56
; %bb.38:
	v_mov_b32_e32 v25, 0
	ds_read_b64 v[22:23], v25 offset:8
	s_and_saveexec_b64 s[4:5], s[2:3]
	s_cbranch_execz .LBB4990_40
; %bb.39:
	s_add_i32 s6, s33, 64
	s_mov_b32 s7, 0
	s_lshl_b64 s[6:7], s[6:7], 4
	s_add_u32 s6, s24, s6
	s_addc_u32 s7, s25, s7
	v_mov_b32_e32 v24, 1
	v_pk_mov_b32 v[26:27], s[6:7], s[6:7] op_sel:[0,1]
	s_waitcnt lgkmcnt(0)
	;;#ASMSTART
	global_store_dwordx4 v[26:27], v[22:25] off	
s_waitcnt vmcnt(0)
	;;#ASMEND
.LBB4990_40:
	s_or_b64 exec, exec, s[4:5]
	v_xad_u32 v32, v33, -1, s33
	v_add_u32_e32 v24, 64, v32
	v_lshlrev_b64 v[26:27], 4, v[24:25]
	v_mov_b32_e32 v24, s25
	v_add_co_u32_e32 v34, vcc, s24, v26
	v_addc_co_u32_e32 v35, vcc, v24, v27, vcc
	;;#ASMSTART
	global_load_dwordx4 v[26:29], v[34:35] off glc	
s_waitcnt vmcnt(0)
	;;#ASMEND
	v_and_b32_e32 v24, 0xff, v27
	v_and_b32_e32 v29, 0xff00, v27
	v_or3_b32 v24, 0, v24, v29
	v_or3_b32 v26, v26, 0, 0
	v_and_b32_e32 v29, 0xff000000, v27
	v_and_b32_e32 v27, 0xff0000, v27
	v_or3_b32 v27, v24, v27, v29
	v_or3_b32 v26, v26, 0, 0
	v_cmp_eq_u16_sdwa s[6:7], v28, v25 src0_sel:BYTE_0 src1_sel:DWORD
	s_and_saveexec_b64 s[4:5], s[6:7]
	s_cbranch_execz .LBB4990_44
; %bb.41:
	s_mov_b64 s[6:7], 0
	v_mov_b32_e32 v24, 0
.LBB4990_42:                            ; =>This Inner Loop Header: Depth=1
	;;#ASMSTART
	global_load_dwordx4 v[26:29], v[34:35] off glc	
s_waitcnt vmcnt(0)
	;;#ASMEND
	v_cmp_ne_u16_sdwa s[8:9], v28, v24 src0_sel:BYTE_0 src1_sel:DWORD
	s_or_b64 s[6:7], s[8:9], s[6:7]
	s_andn2_b64 exec, exec, s[6:7]
	s_cbranch_execnz .LBB4990_42
; %bb.43:
	s_or_b64 exec, exec, s[6:7]
.LBB4990_44:
	s_or_b64 exec, exec, s[4:5]
	v_and_b32_e32 v41, 63, v33
	v_cmp_ne_u32_e32 vcc, 63, v41
	v_mov_b32_e32 v40, 2
	v_addc_co_u32_e32 v34, vcc, 0, v33, vcc
	v_cmp_eq_u16_sdwa s[4:5], v28, v40 src0_sel:BYTE_0 src1_sel:DWORD
	v_lshlrev_b64 v[24:25], v33, -1
	v_lshlrev_b32_e32 v46, 2, v34
	v_and_b32_e32 v29, s5, v25
	ds_bpermute_b32 v34, v46, v26
	ds_bpermute_b32 v35, v46, v27
	v_or_b32_e32 v29, 0x80000000, v29
	v_and_b32_e32 v36, s4, v24
	v_ffbl_b32_e32 v29, v29
	v_add_u32_e32 v29, 32, v29
	v_ffbl_b32_e32 v36, v36
	v_cmp_gt_u32_e64 s[4:5], 62, v41
	v_min_u32_e32 v29, v36, v29
	v_cndmask_b32_e64 v36, 0, 1, s[4:5]
	s_waitcnt lgkmcnt(0)
	v_add_f64 v[34:35], v[26:27], v[34:35]
	v_cmp_lt_u32_e32 vcc, v41, v29
	v_lshlrev_b32_e32 v36, 1, v36
	v_cndmask_b32_e32 v34, v26, v34, vcc
	v_cndmask_b32_e32 v35, v27, v35, vcc
	v_add_lshl_u32 v47, v36, v33, 2
	ds_bpermute_b32 v36, v47, v34
	ds_bpermute_b32 v37, v47, v35
	v_add_u32_e32 v48, 2, v41
	v_cmp_gt_u32_e64 s[4:5], v48, v29
	v_cmp_gt_u32_e64 s[6:7], 56, v41
	v_add_u32_e32 v50, 4, v41
	s_waitcnt lgkmcnt(0)
	v_add_f64 v[36:37], v[34:35], v[36:37]
	v_cndmask_b32_e64 v34, v36, v34, s[4:5]
	v_cndmask_b32_e64 v35, v37, v35, s[4:5]
	v_cmp_gt_u32_e64 s[4:5], 60, v41
	v_cndmask_b32_e64 v36, 0, 1, s[4:5]
	v_lshlrev_b32_e32 v36, 2, v36
	v_add_lshl_u32 v49, v36, v33, 2
	ds_bpermute_b32 v36, v49, v34
	ds_bpermute_b32 v37, v49, v35
	v_cndmask_b32_e64 v51, 0, 1, s[6:7]
	v_cmp_gt_u32_e64 s[4:5], v50, v29
	v_lshlrev_b32_e32 v51, 3, v51
	v_add_lshl_u32 v51, v51, v33, 2
	s_waitcnt lgkmcnt(0)
	v_add_f64 v[36:37], v[34:35], v[36:37]
	v_cndmask_b32_e64 v54, v36, v34, s[4:5]
	v_cndmask_b32_e64 v55, v37, v35, s[4:5]
	ds_bpermute_b32 v56, v51, v54
	ds_bpermute_b32 v57, v51, v55
	v_cmp_gt_u32_e64 s[8:9], 48, v41
	v_add_u32_e32 v52, 8, v41
	v_cndmask_b32_e64 v53, 0, 1, s[8:9]
	v_cmp_gt_u32_e64 s[6:7], v52, v29
	s_waitcnt lgkmcnt(0)
	v_add_f64 v[58:59], v[54:55], v[56:57]
	v_lshlrev_b32_e32 v53, 4, v53
	v_cndmask_b32_e64 v56, v58, v54, s[6:7]
	v_cndmask_b32_e64 v57, v59, v55, s[6:7]
	v_add_lshl_u32 v53, v53, v33, 2
	ds_bpermute_b32 v60, v53, v56
	ds_bpermute_b32 v61, v53, v57
	v_cmp_gt_u32_e64 s[10:11], 32, v41
	v_add_u32_e32 v54, 16, v41
	v_cndmask_b32_e64 v55, 0, 1, s[10:11]
	v_cmp_gt_u32_e64 s[8:9], v54, v29
	s_waitcnt lgkmcnt(0)
	v_add_f64 v[60:61], v[56:57], v[60:61]
	v_lshlrev_b32_e32 v55, 5, v55
	v_cndmask_b32_e64 v62, v60, v56, s[8:9]
	v_add_lshl_u32 v55, v55, v33, 2
	v_cndmask_b32_e64 v63, v61, v57, s[8:9]
	ds_bpermute_b32 v64, v55, v62
	ds_bpermute_b32 v65, v55, v63
	v_cndmask_b32_e32 v27, v27, v35, vcc
	v_cndmask_b32_e32 v26, v26, v34, vcc
	v_cndmask_b32_e64 v26, v36, v26, s[4:5]
	v_cndmask_b32_e64 v27, v37, v27, s[4:5]
	v_add_u32_e32 v56, 32, v41
	v_cndmask_b32_e64 v27, v59, v27, s[6:7]
	v_cndmask_b32_e64 v26, v58, v26, s[6:7]
	s_waitcnt lgkmcnt(0)
	v_add_f64 v[62:63], v[62:63], v[64:65]
	v_cndmask_b32_e64 v26, v60, v26, s[8:9]
	v_cndmask_b32_e64 v27, v61, v27, s[8:9]
	v_cmp_gt_u32_e32 vcc, v56, v29
	v_cndmask_b32_e32 v27, v63, v27, vcc
	v_cndmask_b32_e32 v26, v62, v26, vcc
	v_mov_b32_e32 v33, 0
	s_branch .LBB4990_46
.LBB4990_45:                            ;   in Loop: Header=BB4990_46 Depth=1
	s_or_b64 exec, exec, s[4:5]
	v_cmp_eq_u16_sdwa s[4:5], v28, v40 src0_sel:BYTE_0 src1_sel:DWORD
	v_and_b32_e32 v29, s5, v25
	ds_bpermute_b32 v36, v46, v26
	ds_bpermute_b32 v37, v46, v27
	v_or_b32_e32 v29, 0x80000000, v29
	v_and_b32_e32 v57, s4, v24
	v_ffbl_b32_e32 v29, v29
	v_add_u32_e32 v29, 32, v29
	v_ffbl_b32_e32 v57, v57
	v_min_u32_e32 v29, v57, v29
	s_waitcnt lgkmcnt(0)
	v_add_f64 v[36:37], v[26:27], v[36:37]
	v_cmp_lt_u32_e32 vcc, v41, v29
	v_cndmask_b32_e32 v36, v26, v36, vcc
	v_cndmask_b32_e32 v37, v27, v37, vcc
	ds_bpermute_b32 v58, v47, v36
	ds_bpermute_b32 v59, v47, v37
	v_cmp_gt_u32_e64 s[4:5], v48, v29
	v_cmp_gt_u32_e64 s[6:7], v52, v29
	;; [unrolled: 1-line block ×3, first 2 shown]
	v_subrev_u32_e32 v32, 64, v32
	s_waitcnt lgkmcnt(0)
	v_add_f64 v[58:59], v[36:37], v[58:59]
	v_cndmask_b32_e64 v36, v58, v36, s[4:5]
	v_cndmask_b32_e64 v37, v59, v37, s[4:5]
	ds_bpermute_b32 v58, v49, v36
	ds_bpermute_b32 v59, v49, v37
	v_cmp_gt_u32_e64 s[4:5], v50, v29
	v_cndmask_b32_e32 v27, v27, v37, vcc
	v_cndmask_b32_e32 v26, v26, v36, vcc
	v_cmp_gt_u32_e32 vcc, v56, v29
	s_waitcnt lgkmcnt(0)
	v_add_f64 v[58:59], v[36:37], v[58:59]
	v_cndmask_b32_e64 v60, v58, v36, s[4:5]
	v_cndmask_b32_e64 v61, v59, v37, s[4:5]
	ds_bpermute_b32 v62, v51, v60
	ds_bpermute_b32 v63, v51, v61
	v_cndmask_b32_e64 v26, v58, v26, s[4:5]
	v_cndmask_b32_e64 v27, v59, v27, s[4:5]
	s_waitcnt lgkmcnt(0)
	v_add_f64 v[62:63], v[60:61], v[62:63]
	v_cndmask_b32_e64 v60, v62, v60, s[6:7]
	v_cndmask_b32_e64 v61, v63, v61, s[6:7]
	ds_bpermute_b32 v64, v53, v60
	ds_bpermute_b32 v65, v53, v61
	v_cndmask_b32_e64 v27, v63, v27, s[6:7]
	v_cndmask_b32_e64 v26, v62, v26, s[6:7]
	;; [unrolled: 8-line block ×3, first 2 shown]
	s_waitcnt lgkmcnt(0)
	v_add_f64 v[60:61], v[60:61], v[66:67]
	v_cndmask_b32_e32 v27, v61, v27, vcc
	v_cndmask_b32_e32 v26, v60, v26, vcc
	v_add_f64 v[26:27], v[34:35], v[26:27]
.LBB4990_46:                            ; =>This Loop Header: Depth=1
                                        ;     Child Loop BB4990_49 Depth 2
	v_cmp_ne_u16_sdwa s[4:5], v28, v40 src0_sel:BYTE_0 src1_sel:DWORD
	v_cndmask_b32_e64 v28, 0, 1, s[4:5]
	;;#ASMSTART
	;;#ASMEND
	v_cmp_ne_u32_e32 vcc, 0, v28
	s_cmp_lg_u64 vcc, exec
	v_pk_mov_b32 v[34:35], v[26:27], v[26:27] op_sel:[0,1]
	s_cbranch_scc1 .LBB4990_51
; %bb.47:                               ;   in Loop: Header=BB4990_46 Depth=1
	v_lshlrev_b64 v[26:27], 4, v[32:33]
	v_mov_b32_e32 v28, s25
	v_add_co_u32_e32 v36, vcc, s24, v26
	v_addc_co_u32_e32 v37, vcc, v28, v27, vcc
	;;#ASMSTART
	global_load_dwordx4 v[26:29], v[36:37] off glc	
s_waitcnt vmcnt(0)
	;;#ASMEND
	v_and_b32_e32 v29, 0xff, v27
	v_and_b32_e32 v57, 0xff00, v27
	v_or3_b32 v29, 0, v29, v57
	v_or3_b32 v26, v26, 0, 0
	v_and_b32_e32 v57, 0xff000000, v27
	v_and_b32_e32 v27, 0xff0000, v27
	v_or3_b32 v27, v29, v27, v57
	v_or3_b32 v26, v26, 0, 0
	v_cmp_eq_u16_sdwa s[6:7], v28, v33 src0_sel:BYTE_0 src1_sel:DWORD
	s_and_saveexec_b64 s[4:5], s[6:7]
	s_cbranch_execz .LBB4990_45
; %bb.48:                               ;   in Loop: Header=BB4990_46 Depth=1
	s_mov_b64 s[6:7], 0
.LBB4990_49:                            ;   Parent Loop BB4990_46 Depth=1
                                        ; =>  This Inner Loop Header: Depth=2
	;;#ASMSTART
	global_load_dwordx4 v[26:29], v[36:37] off glc	
s_waitcnt vmcnt(0)
	;;#ASMEND
	v_cmp_ne_u16_sdwa s[8:9], v28, v33 src0_sel:BYTE_0 src1_sel:DWORD
	s_or_b64 s[6:7], s[8:9], s[6:7]
	s_andn2_b64 exec, exec, s[6:7]
	s_cbranch_execnz .LBB4990_49
; %bb.50:                               ;   in Loop: Header=BB4990_46 Depth=1
	s_or_b64 exec, exec, s[6:7]
	s_branch .LBB4990_45
.LBB4990_51:                            ;   in Loop: Header=BB4990_46 Depth=1
                                        ; implicit-def: $vgpr26_vgpr27
                                        ; implicit-def: $vgpr28
	s_cbranch_execz .LBB4990_46
; %bb.52:
	s_and_saveexec_b64 s[4:5], s[2:3]
	s_cbranch_execz .LBB4990_54
; %bb.53:
	s_add_i32 s6, s33, 64
	s_mov_b32 s7, 0
	s_lshl_b64 s[6:7], s[6:7], 4
	s_add_u32 s6, s24, s6
	s_addc_u32 s7, s25, s7
	v_add_f64 v[22:23], v[22:23], v[34:35]
	v_mov_b32_e32 v24, 2
	v_mov_b32_e32 v25, 0
	v_pk_mov_b32 v[26:27], s[6:7], s[6:7] op_sel:[0,1]
	;;#ASMSTART
	global_store_dwordx4 v[26:27], v[22:25] off	
s_waitcnt vmcnt(0)
	;;#ASMEND
.LBB4990_54:
	s_or_b64 exec, exec, s[4:5]
	s_and_b64 exec, exec, s[0:1]
	s_cbranch_execz .LBB4990_56
; %bb.55:
	v_mov_b32_e32 v22, 0
	ds_write_b64 v22, v[34:35] offset:8
.LBB4990_56:
	s_or_b64 exec, exec, s[26:27]
	v_mov_b32_e32 v22, 0
	s_waitcnt lgkmcnt(0)
	s_barrier
	ds_read_b64 v[22:23], v22 offset:8
	v_cndmask_b32_e64 v25, v39, v31, s[2:3]
	v_cndmask_b32_e64 v24, v38, v30, s[2:3]
	s_waitcnt lgkmcnt(0)
	v_add_f64 v[24:25], v[24:25], v[22:23]
	v_cndmask_b32_e64 v31, v25, v23, s[0:1]
	v_cndmask_b32_e64 v30, v24, v22, s[0:1]
	v_add_f64 v[32:33], v[14:15], v[30:31]
	v_add_f64 v[38:39], v[16:17], v[32:33]
	;; [unrolled: 1-line block ×9, first 2 shown]
	s_branch .LBB4990_71
.LBB4990_57:
                                        ; implicit-def: $vgpr24_vgpr25
                                        ; implicit-def: $vgpr28_vgpr29
                                        ; implicit-def: $vgpr36_vgpr37
                                        ; implicit-def: $vgpr40_vgpr41
                                        ; implicit-def: $vgpr32_vgpr33
	s_cbranch_execz .LBB4990_71
; %bb.58:
	s_cmp_eq_u64 s[16:17], 0
	v_pk_mov_b32 v[24:25], s[22:23], s[22:23] op_sel:[0,1]
	s_cbranch_scc1 .LBB4990_60
; %bb.59:
	v_mov_b32_e32 v23, s31
	v_add_co_u32_e64 v22, vcc, -8, s30
	v_addc_co_u32_e32 v23, vcc, -1, v23, vcc
	v_mov_b32_e32 v28, 0
	flat_load_dwordx2 v[24:25], v[22:23]
	global_load_dwordx2 v[26:27], v28, s[12:13]
	s_waitcnt vmcnt(0) lgkmcnt(0)
	v_add_f64 v[24:25], v[24:25], v[26:27]
.LBB4990_60:
	v_add_f64 v[22:23], v[12:13], v[42:43]
	v_add_f64 v[22:23], v[6:7], v[22:23]
	;; [unrolled: 1-line block ×7, first 2 shown]
	v_mbcnt_hi_u32_b32 v1, -1, v1
	v_and_b32_e32 v28, 15, v1
	v_mov_b32_dpp v22, v20 row_shr:1 row_mask:0xf bank_mask:0xf
	v_mov_b32_dpp v23, v21 row_shr:1 row_mask:0xf bank_mask:0xf
	v_add_f64 v[22:23], v[20:21], v[22:23]
	v_cmp_eq_u32_e32 vcc, 0, v28
	v_cndmask_b32_e32 v22, v22, v20, vcc
	v_cndmask_b32_e32 v23, v23, v21, vcc
	v_cmp_lt_u32_e32 vcc, 1, v28
	v_mov_b32_dpp v26, v22 row_shr:2 row_mask:0xf bank_mask:0xf
	v_mov_b32_dpp v27, v23 row_shr:2 row_mask:0xf bank_mask:0xf
	v_add_f64 v[26:27], v[22:23], v[26:27]
	v_cndmask_b32_e32 v22, v22, v26, vcc
	v_cndmask_b32_e32 v23, v23, v27, vcc
	v_cmp_lt_u32_e32 vcc, 3, v28
	v_mov_b32_dpp v26, v22 row_shr:4 row_mask:0xf bank_mask:0xf
	v_mov_b32_dpp v27, v23 row_shr:4 row_mask:0xf bank_mask:0xf
	v_add_f64 v[26:27], v[22:23], v[26:27]
	;; [unrolled: 6-line block ×3, first 2 shown]
	v_cndmask_b32_e32 v22, v22, v26, vcc
	v_cndmask_b32_e32 v23, v23, v27, vcc
	v_and_b32_e32 v30, 16, v1
	v_mov_b32_dpp v26, v22 row_bcast:15 row_mask:0xf bank_mask:0xf
	v_mov_b32_dpp v27, v23 row_bcast:15 row_mask:0xf bank_mask:0xf
	v_add_f64 v[28:29], v[22:23], v[26:27]
	v_cmp_eq_u32_e64 s[2:3], 0, v30
	v_cndmask_b32_e64 v27, v29, v23, s[2:3]
	v_cndmask_b32_e64 v26, v28, v22, s[2:3]
	v_cmp_eq_u32_e32 vcc, 0, v1
	v_mov_b32_dpp v27, v27 row_bcast:31 row_mask:0xf bank_mask:0xf
	v_mov_b32_dpp v26, v26 row_bcast:31 row_mask:0xf bank_mask:0xf
	v_cmp_ne_u32_e64 s[4:5], 0, v1
	s_and_saveexec_b64 s[6:7], s[4:5]
; %bb.61:
	v_cndmask_b32_e64 v21, v29, v23, s[2:3]
	v_cndmask_b32_e64 v20, v28, v22, s[2:3]
	v_add_f64 v[22:23], v[20:21], v[26:27]
	v_cmp_lt_u32_e64 s[2:3], 31, v1
	v_cndmask_b32_e64 v21, v21, v23, s[2:3]
	v_cndmask_b32_e64 v20, v20, v22, s[2:3]
; %bb.62:
	s_or_b64 exec, exec, s[6:7]
	v_or_b32_e32 v22, 63, v0
	v_lshrrev_b32_e32 v26, 6, v0
	v_cmp_eq_u32_e64 s[2:3], v22, v0
	s_and_saveexec_b64 s[4:5], s[2:3]
	s_cbranch_execz .LBB4990_64
; %bb.63:
	v_lshlrev_b32_e32 v22, 3, v26
	ds_write_b64 v22, v[20:21]
.LBB4990_64:
	s_or_b64 exec, exec, s[4:5]
	v_cmp_gt_u32_e64 s[2:3], 2, v0
	s_waitcnt lgkmcnt(0)
	s_barrier
	s_and_saveexec_b64 s[4:5], s[2:3]
	s_cbranch_execz .LBB4990_66
; %bb.65:
	s_movk_i32 s2, 0xffb8
	v_mad_i32_i24 v27, v0, s2, v45
	ds_read_b64 v[22:23], v27
	v_and_b32_e32 v30, 1, v1
	v_cmp_eq_u32_e64 s[2:3], 0, v30
	s_waitcnt lgkmcnt(0)
	v_mov_b32_dpp v28, v22 row_shr:1 row_mask:0xf bank_mask:0xf
	v_mov_b32_dpp v29, v23 row_shr:1 row_mask:0xf bank_mask:0xf
	v_add_f64 v[28:29], v[22:23], v[28:29]
	v_cndmask_b32_e64 v23, v29, v23, s[2:3]
	v_cndmask_b32_e64 v22, v28, v22, s[2:3]
	ds_write_b64 v27, v[22:23]
.LBB4990_66:
	s_or_b64 exec, exec, s[4:5]
	v_cmp_lt_u32_e64 s[2:3], 63, v0
	v_pk_mov_b32 v[22:23], v[24:25], v[24:25] op_sel:[0,1]
	s_waitcnt lgkmcnt(0)
	s_barrier
	s_and_saveexec_b64 s[4:5], s[2:3]
	s_cbranch_execz .LBB4990_68
; %bb.67:
	v_lshl_add_u32 v22, v26, 3, -8
	ds_read_b64 v[22:23], v22
	s_waitcnt lgkmcnt(0)
	v_add_f64 v[22:23], v[24:25], v[22:23]
.LBB4990_68:
	s_or_b64 exec, exec, s[4:5]
	v_add_u32_e32 v26, -1, v1
	v_and_b32_e32 v27, 64, v1
	v_cmp_lt_i32_e64 s[2:3], v26, v27
	v_cndmask_b32_e64 v1, v26, v1, s[2:3]
	v_add_f64 v[20:21], v[20:21], v[22:23]
	v_lshlrev_b32_e32 v1, 2, v1
	ds_bpermute_b32 v20, v1, v20
	ds_bpermute_b32 v1, v1, v21
	s_waitcnt lgkmcnt(1)
	v_cndmask_b32_e32 v20, v20, v22, vcc
	s_waitcnt lgkmcnt(0)
	v_cndmask_b32_e32 v1, v1, v23, vcc
	v_cndmask_b32_e64 v31, v1, v25, s[0:1]
	v_cndmask_b32_e64 v30, v20, v24, s[0:1]
	v_add_f64 v[32:33], v[14:15], v[30:31]
	v_add_f64 v[38:39], v[16:17], v[32:33]
	;; [unrolled: 1-line block ×8, first 2 shown]
	s_and_saveexec_b64 s[2:3], s[0:1]
	s_cbranch_execz .LBB4990_70
; %bb.69:
	v_mov_b32_e32 v5, 0
	ds_read_b64 v[2:3], v5 offset:8
	s_add_u32 s0, s24, 0x400
	s_addc_u32 s1, s25, 0
	v_mov_b32_e32 v4, 2
	v_pk_mov_b32 v[6:7], s[0:1], s[0:1] op_sel:[0,1]
	s_waitcnt lgkmcnt(0)
	v_add_f64 v[2:3], v[24:25], v[2:3]
	;;#ASMSTART
	global_store_dwordx4 v[6:7], v[2:5] off	
s_waitcnt vmcnt(0)
	;;#ASMEND
.LBB4990_70:
	s_or_b64 exec, exec, s[2:3]
	v_add_f64 v[24:25], v[18:19], v[22:23]
.LBB4990_71:
	s_mov_b64 s[0:1], -1
	s_and_b64 vcc, exec, s[20:21]
	s_barrier
	ds_write_b128 v45, v[30:33]
	ds_write_b128 v45, v[38:41] offset:16
	ds_write_b128 v45, v[34:37] offset:32
	;; [unrolled: 1-line block ×4, first 2 shown]
	s_waitcnt lgkmcnt(0)
	s_cbranch_vccz .LBB4990_73
; %bb.72:
	s_barrier
	s_mov_b64 s[0:1], 0
.LBB4990_73:
	s_andn2_b64 vcc, exec, s[0:1]
	s_cbranch_vccnz .LBB4990_109
; %bb.74:
	v_cmp_lt_u64_e64 s[0:1], s[18:19], 2
	s_and_b64 vcc, exec, s[0:1]
	s_barrier
	s_cbranch_vccnz .LBB4990_109
; %bb.75:
	s_add_u32 s0, s28, -1
	s_addc_u32 s1, s29, -1
	s_add_u32 s2, 0, 0x99986000
	s_addc_u32 s3, 0, 0x59
	s_add_i32 s3, s3, 0x19999940
	s_mul_hi_u32 s7, s2, -10
	s_sub_i32 s7, s7, s2
	s_mul_i32 s8, s3, -10
	s_mul_i32 s4, s2, -10
	s_add_i32 s7, s7, s8
	s_mul_hi_u32 s5, s3, s4
	s_mul_i32 s6, s3, s4
	s_mul_i32 s9, s2, s7
	s_mul_hi_u32 s4, s2, s4
	s_mul_hi_u32 s8, s2, s7
	s_add_u32 s4, s4, s9
	s_addc_u32 s8, 0, s8
	s_add_u32 s4, s4, s6
	s_mul_hi_u32 s9, s3, s7
	s_addc_u32 s4, s8, s5
	s_addc_u32 s5, s9, 0
	s_mul_i32 s6, s3, s7
	s_add_u32 s4, s4, s6
	v_mov_b32_e32 v2, s4
	s_addc_u32 s5, 0, s5
	v_add_co_u32_e32 v2, vcc, s2, v2
	s_cmp_lg_u64 vcc, 0
	s_addc_u32 s2, s3, s5
	v_readfirstlane_b32 s5, v2
	s_mul_i32 s4, s0, s2
	s_mul_hi_u32 s6, s0, s5
	s_mul_hi_u32 s3, s0, s2
	s_add_u32 s4, s6, s4
	s_addc_u32 s3, 0, s3
	s_mul_hi_u32 s7, s1, s5
	s_mul_i32 s5, s1, s5
	s_add_u32 s4, s4, s5
	s_mul_hi_u32 s6, s1, s2
	s_addc_u32 s3, s3, s7
	s_addc_u32 s4, s6, 0
	s_mul_i32 s2, s1, s2
	s_add_u32 s2, s3, s2
	s_addc_u32 s3, 0, s4
	s_add_u32 s4, s2, 1
	s_addc_u32 s5, s3, 0
	s_add_u32 s6, s2, 2
	s_mul_i32 s8, s3, 10
	s_mul_hi_u32 s9, s2, 10
	s_addc_u32 s7, s3, 0
	s_add_i32 s9, s9, s8
	s_mul_i32 s8, s2, 10
	v_mov_b32_e32 v2, s8
	v_sub_co_u32_e32 v2, vcc, s0, v2
	s_cmp_lg_u64 vcc, 0
	s_subb_u32 s8, s1, s9
	v_subrev_co_u32_e32 v3, vcc, 10, v2
	s_cmp_lg_u64 vcc, 0
	s_subb_u32 s9, s8, 0
	v_readfirstlane_b32 s10, v3
	s_cmp_gt_u32 s10, 9
	s_cselect_b32 s10, -1, 0
	s_cmp_eq_u32 s9, 0
	s_cselect_b32 s9, s10, -1
	s_cmp_lg_u32 s9, 0
	s_cselect_b32 s4, s6, s4
	v_readfirstlane_b32 s6, v2
	s_cselect_b32 s5, s7, s5
	s_cmp_gt_u32 s6, 9
	s_cselect_b32 s6, -1, 0
	s_cmp_eq_u32 s8, 0
	s_cselect_b32 s6, s6, -1
	s_cmp_lg_u32 s6, 0
	v_mov_b32_e32 v1, 0
	s_cselect_b32 s3, s5, s3
	s_cselect_b32 s2, s4, s2
	v_cmp_eq_u64_e32 vcc, s[2:3], v[0:1]
	s_and_saveexec_b64 s[2:3], vcc
	s_cbranch_execz .LBB4990_109
; %bb.76:
	s_movk_i32 s2, 0xffb8
	v_mad_i32_i24 v2, v0, s2, v45
	v_mul_hi_u32_u24_e32 v1, 10, v0
	v_mov_b32_e32 v3, s1
	v_sub_co_u32_e32 v0, vcc, s0, v44
	v_subb_co_u32_e32 v1, vcc, v3, v1, vcc
	v_cmp_lt_i64_e32 vcc, 4, v[0:1]
	s_and_saveexec_b64 s[0:1], vcc
	s_xor_b64 s[0:1], exec, s[0:1]
	s_cbranch_execz .LBB4990_94
; %bb.77:
	v_cmp_lt_i64_e32 vcc, 6, v[0:1]
	s_and_saveexec_b64 s[2:3], vcc
	s_xor_b64 s[2:3], exec, s[2:3]
	s_cbranch_execz .LBB4990_87
; %bb.78:
	;; [unrolled: 5-line block ×4, first 2 shown]
	ds_read_b64 v[0:1], v2 offset:9216
	v_mov_b32_e32 v2, 0
	s_waitcnt lgkmcnt(0)
	global_store_dwordx2 v2, v[0:1], s[14:15]
                                        ; implicit-def: $vgpr2
.LBB4990_81:
	s_andn2_saveexec_b64 s[6:7], s[6:7]
	s_cbranch_execz .LBB4990_83
; %bb.82:
	ds_read_b64 v[0:1], v2 offset:8192
	v_mov_b32_e32 v2, 0
	s_waitcnt lgkmcnt(0)
	global_store_dwordx2 v2, v[0:1], s[14:15]
.LBB4990_83:
	s_or_b64 exec, exec, s[6:7]
                                        ; implicit-def: $vgpr2
.LBB4990_84:
	s_andn2_saveexec_b64 s[4:5], s[4:5]
	s_cbranch_execz .LBB4990_86
; %bb.85:
	ds_read_b64 v[0:1], v2 offset:7168
	v_mov_b32_e32 v2, 0
	s_waitcnt lgkmcnt(0)
	global_store_dwordx2 v2, v[0:1], s[14:15]
.LBB4990_86:
	s_or_b64 exec, exec, s[4:5]
                                        ; implicit-def: $vgpr2
                                        ; implicit-def: $vgpr0_vgpr1
.LBB4990_87:
	s_andn2_saveexec_b64 s[2:3], s[2:3]
	s_cbranch_execz .LBB4990_93
; %bb.88:
	v_cmp_lt_i64_e32 vcc, 5, v[0:1]
	s_and_saveexec_b64 s[4:5], vcc
	s_xor_b64 s[4:5], exec, s[4:5]
	s_cbranch_execz .LBB4990_90
; %bb.89:
	ds_read_b64 v[0:1], v2 offset:6144
	v_mov_b32_e32 v2, 0
	s_waitcnt lgkmcnt(0)
	global_store_dwordx2 v2, v[0:1], s[14:15]
                                        ; implicit-def: $vgpr2
.LBB4990_90:
	s_andn2_saveexec_b64 s[4:5], s[4:5]
	s_cbranch_execz .LBB4990_92
; %bb.91:
	ds_read_b64 v[0:1], v2 offset:5120
	v_mov_b32_e32 v2, 0
	s_waitcnt lgkmcnt(0)
	global_store_dwordx2 v2, v[0:1], s[14:15]
.LBB4990_92:
	s_or_b64 exec, exec, s[4:5]
.LBB4990_93:
	s_or_b64 exec, exec, s[2:3]
                                        ; implicit-def: $vgpr0_vgpr1
                                        ; implicit-def: $vgpr2
.LBB4990_94:
	s_andn2_saveexec_b64 s[0:1], s[0:1]
	s_cbranch_execz .LBB4990_109
; %bb.95:
	v_cmp_lt_i64_e32 vcc, 2, v[0:1]
	s_and_saveexec_b64 s[0:1], vcc
	s_xor_b64 s[0:1], exec, s[0:1]
	s_cbranch_execz .LBB4990_101
; %bb.96:
	v_cmp_lt_i64_e32 vcc, 3, v[0:1]
	s_and_saveexec_b64 s[2:3], vcc
	s_xor_b64 s[2:3], exec, s[2:3]
	s_cbranch_execz .LBB4990_98
; %bb.97:
	ds_read_b64 v[0:1], v2 offset:4096
	v_mov_b32_e32 v2, 0
	s_waitcnt lgkmcnt(0)
	global_store_dwordx2 v2, v[0:1], s[14:15]
                                        ; implicit-def: $vgpr2
.LBB4990_98:
	s_andn2_saveexec_b64 s[2:3], s[2:3]
	s_cbranch_execz .LBB4990_100
; %bb.99:
	ds_read_b64 v[0:1], v2 offset:3072
	v_mov_b32_e32 v2, 0
	s_waitcnt lgkmcnt(0)
	global_store_dwordx2 v2, v[0:1], s[14:15]
.LBB4990_100:
	s_or_b64 exec, exec, s[2:3]
                                        ; implicit-def: $vgpr0_vgpr1
                                        ; implicit-def: $vgpr2
.LBB4990_101:
	s_andn2_saveexec_b64 s[0:1], s[0:1]
	s_cbranch_execz .LBB4990_109
; %bb.102:
	v_cmp_lt_i64_e32 vcc, 1, v[0:1]
	s_and_saveexec_b64 s[0:1], vcc
	s_xor_b64 s[0:1], exec, s[0:1]
	s_cbranch_execz .LBB4990_104
; %bb.103:
	ds_read_b64 v[0:1], v2 offset:2048
	v_mov_b32_e32 v2, 0
	s_waitcnt lgkmcnt(0)
	global_store_dwordx2 v2, v[0:1], s[14:15]
                                        ; implicit-def: $vgpr2
                                        ; implicit-def: $vgpr0_vgpr1
.LBB4990_104:
	s_andn2_saveexec_b64 s[0:1], s[0:1]
	s_cbranch_execz .LBB4990_109
; %bb.105:
	v_cmp_ne_u64_e32 vcc, 1, v[0:1]
	s_and_saveexec_b64 s[0:1], vcc
	s_xor_b64 s[0:1], exec, s[0:1]
	s_cbranch_execz .LBB4990_107
; %bb.106:
	ds_read_b64 v[0:1], v2
	v_mov_b32_e32 v2, 0
	s_waitcnt lgkmcnt(0)
	global_store_dwordx2 v2, v[0:1], s[14:15]
                                        ; implicit-def: $vgpr2
.LBB4990_107:
	s_andn2_saveexec_b64 s[0:1], s[0:1]
	s_cbranch_execz .LBB4990_109
; %bb.108:
	ds_read_b64 v[0:1], v2 offset:1024
	v_mov_b32_e32 v2, 0
	s_waitcnt lgkmcnt(0)
	global_store_dwordx2 v2, v[0:1], s[14:15]
.LBB4990_109:
	s_endpgm
	.section	.rodata,"a",@progbits
	.p2align	6, 0x0
	.amdhsa_kernel _ZN7rocprim17ROCPRIM_400000_NS6detail17trampoline_kernelINS0_14default_configENS1_20scan_config_selectorIdEEZZNS1_9scan_implILNS1_25lookback_scan_determinismE0ELb1ELb1ES3_N6thrust23THRUST_200600_302600_NS6detail15normal_iteratorINS9_10device_ptrIdEEEENS9_16discard_iteratorINS9_11use_defaultEEEdNS9_4plusIvEEdEEDaPvRmT3_T4_T5_mT6_P12ihipStream_tbENKUlT_T0_E_clISt17integral_constantIbLb0EESW_IbLb1EEEEDaSS_ST_EUlSS_E_NS1_11comp_targetILNS1_3genE4ELNS1_11target_archE910ELNS1_3gpuE8ELNS1_3repE0EEENS1_30default_config_static_selectorELNS0_4arch9wavefront6targetE1EEEvT1_
		.amdhsa_group_segment_fixed_size 10240
		.amdhsa_private_segment_fixed_size 0
		.amdhsa_kernarg_size 112
		.amdhsa_user_sgpr_count 6
		.amdhsa_user_sgpr_private_segment_buffer 1
		.amdhsa_user_sgpr_dispatch_ptr 0
		.amdhsa_user_sgpr_queue_ptr 0
		.amdhsa_user_sgpr_kernarg_segment_ptr 1
		.amdhsa_user_sgpr_dispatch_id 0
		.amdhsa_user_sgpr_flat_scratch_init 0
		.amdhsa_user_sgpr_kernarg_preload_length 0
		.amdhsa_user_sgpr_kernarg_preload_offset 0
		.amdhsa_user_sgpr_private_segment_size 0
		.amdhsa_uses_dynamic_stack 0
		.amdhsa_system_sgpr_private_segment_wavefront_offset 0
		.amdhsa_system_sgpr_workgroup_id_x 1
		.amdhsa_system_sgpr_workgroup_id_y 0
		.amdhsa_system_sgpr_workgroup_id_z 0
		.amdhsa_system_sgpr_workgroup_info 0
		.amdhsa_system_vgpr_workitem_id 0
		.amdhsa_next_free_vgpr 68
		.amdhsa_next_free_sgpr 34
		.amdhsa_accum_offset 68
		.amdhsa_reserve_vcc 1
		.amdhsa_reserve_flat_scratch 0
		.amdhsa_float_round_mode_32 0
		.amdhsa_float_round_mode_16_64 0
		.amdhsa_float_denorm_mode_32 3
		.amdhsa_float_denorm_mode_16_64 3
		.amdhsa_dx10_clamp 1
		.amdhsa_ieee_mode 1
		.amdhsa_fp16_overflow 0
		.amdhsa_tg_split 0
		.amdhsa_exception_fp_ieee_invalid_op 0
		.amdhsa_exception_fp_denorm_src 0
		.amdhsa_exception_fp_ieee_div_zero 0
		.amdhsa_exception_fp_ieee_overflow 0
		.amdhsa_exception_fp_ieee_underflow 0
		.amdhsa_exception_fp_ieee_inexact 0
		.amdhsa_exception_int_div_zero 0
	.end_amdhsa_kernel
	.section	.text._ZN7rocprim17ROCPRIM_400000_NS6detail17trampoline_kernelINS0_14default_configENS1_20scan_config_selectorIdEEZZNS1_9scan_implILNS1_25lookback_scan_determinismE0ELb1ELb1ES3_N6thrust23THRUST_200600_302600_NS6detail15normal_iteratorINS9_10device_ptrIdEEEENS9_16discard_iteratorINS9_11use_defaultEEEdNS9_4plusIvEEdEEDaPvRmT3_T4_T5_mT6_P12ihipStream_tbENKUlT_T0_E_clISt17integral_constantIbLb0EESW_IbLb1EEEEDaSS_ST_EUlSS_E_NS1_11comp_targetILNS1_3genE4ELNS1_11target_archE910ELNS1_3gpuE8ELNS1_3repE0EEENS1_30default_config_static_selectorELNS0_4arch9wavefront6targetE1EEEvT1_,"axG",@progbits,_ZN7rocprim17ROCPRIM_400000_NS6detail17trampoline_kernelINS0_14default_configENS1_20scan_config_selectorIdEEZZNS1_9scan_implILNS1_25lookback_scan_determinismE0ELb1ELb1ES3_N6thrust23THRUST_200600_302600_NS6detail15normal_iteratorINS9_10device_ptrIdEEEENS9_16discard_iteratorINS9_11use_defaultEEEdNS9_4plusIvEEdEEDaPvRmT3_T4_T5_mT6_P12ihipStream_tbENKUlT_T0_E_clISt17integral_constantIbLb0EESW_IbLb1EEEEDaSS_ST_EUlSS_E_NS1_11comp_targetILNS1_3genE4ELNS1_11target_archE910ELNS1_3gpuE8ELNS1_3repE0EEENS1_30default_config_static_selectorELNS0_4arch9wavefront6targetE1EEEvT1_,comdat
.Lfunc_end4990:
	.size	_ZN7rocprim17ROCPRIM_400000_NS6detail17trampoline_kernelINS0_14default_configENS1_20scan_config_selectorIdEEZZNS1_9scan_implILNS1_25lookback_scan_determinismE0ELb1ELb1ES3_N6thrust23THRUST_200600_302600_NS6detail15normal_iteratorINS9_10device_ptrIdEEEENS9_16discard_iteratorINS9_11use_defaultEEEdNS9_4plusIvEEdEEDaPvRmT3_T4_T5_mT6_P12ihipStream_tbENKUlT_T0_E_clISt17integral_constantIbLb0EESW_IbLb1EEEEDaSS_ST_EUlSS_E_NS1_11comp_targetILNS1_3genE4ELNS1_11target_archE910ELNS1_3gpuE8ELNS1_3repE0EEENS1_30default_config_static_selectorELNS0_4arch9wavefront6targetE1EEEvT1_, .Lfunc_end4990-_ZN7rocprim17ROCPRIM_400000_NS6detail17trampoline_kernelINS0_14default_configENS1_20scan_config_selectorIdEEZZNS1_9scan_implILNS1_25lookback_scan_determinismE0ELb1ELb1ES3_N6thrust23THRUST_200600_302600_NS6detail15normal_iteratorINS9_10device_ptrIdEEEENS9_16discard_iteratorINS9_11use_defaultEEEdNS9_4plusIvEEdEEDaPvRmT3_T4_T5_mT6_P12ihipStream_tbENKUlT_T0_E_clISt17integral_constantIbLb0EESW_IbLb1EEEEDaSS_ST_EUlSS_E_NS1_11comp_targetILNS1_3genE4ELNS1_11target_archE910ELNS1_3gpuE8ELNS1_3repE0EEENS1_30default_config_static_selectorELNS0_4arch9wavefront6targetE1EEEvT1_
                                        ; -- End function
	.section	.AMDGPU.csdata,"",@progbits
; Kernel info:
; codeLenInByte = 5472
; NumSgprs: 38
; NumVgprs: 68
; NumAgprs: 0
; TotalNumVgprs: 68
; ScratchSize: 0
; MemoryBound: 0
; FloatMode: 240
; IeeeMode: 1
; LDSByteSize: 10240 bytes/workgroup (compile time only)
; SGPRBlocks: 4
; VGPRBlocks: 8
; NumSGPRsForWavesPerEU: 38
; NumVGPRsForWavesPerEU: 68
; AccumOffset: 68
; Occupancy: 3
; WaveLimiterHint : 1
; COMPUTE_PGM_RSRC2:SCRATCH_EN: 0
; COMPUTE_PGM_RSRC2:USER_SGPR: 6
; COMPUTE_PGM_RSRC2:TRAP_HANDLER: 0
; COMPUTE_PGM_RSRC2:TGID_X_EN: 1
; COMPUTE_PGM_RSRC2:TGID_Y_EN: 0
; COMPUTE_PGM_RSRC2:TGID_Z_EN: 0
; COMPUTE_PGM_RSRC2:TIDIG_COMP_CNT: 0
; COMPUTE_PGM_RSRC3_GFX90A:ACCUM_OFFSET: 16
; COMPUTE_PGM_RSRC3_GFX90A:TG_SPLIT: 0
	.section	.text._ZN7rocprim17ROCPRIM_400000_NS6detail17trampoline_kernelINS0_14default_configENS1_20scan_config_selectorIdEEZZNS1_9scan_implILNS1_25lookback_scan_determinismE0ELb1ELb1ES3_N6thrust23THRUST_200600_302600_NS6detail15normal_iteratorINS9_10device_ptrIdEEEENS9_16discard_iteratorINS9_11use_defaultEEEdNS9_4plusIvEEdEEDaPvRmT3_T4_T5_mT6_P12ihipStream_tbENKUlT_T0_E_clISt17integral_constantIbLb0EESW_IbLb1EEEEDaSS_ST_EUlSS_E_NS1_11comp_targetILNS1_3genE3ELNS1_11target_archE908ELNS1_3gpuE7ELNS1_3repE0EEENS1_30default_config_static_selectorELNS0_4arch9wavefront6targetE1EEEvT1_,"axG",@progbits,_ZN7rocprim17ROCPRIM_400000_NS6detail17trampoline_kernelINS0_14default_configENS1_20scan_config_selectorIdEEZZNS1_9scan_implILNS1_25lookback_scan_determinismE0ELb1ELb1ES3_N6thrust23THRUST_200600_302600_NS6detail15normal_iteratorINS9_10device_ptrIdEEEENS9_16discard_iteratorINS9_11use_defaultEEEdNS9_4plusIvEEdEEDaPvRmT3_T4_T5_mT6_P12ihipStream_tbENKUlT_T0_E_clISt17integral_constantIbLb0EESW_IbLb1EEEEDaSS_ST_EUlSS_E_NS1_11comp_targetILNS1_3genE3ELNS1_11target_archE908ELNS1_3gpuE7ELNS1_3repE0EEENS1_30default_config_static_selectorELNS0_4arch9wavefront6targetE1EEEvT1_,comdat
	.protected	_ZN7rocprim17ROCPRIM_400000_NS6detail17trampoline_kernelINS0_14default_configENS1_20scan_config_selectorIdEEZZNS1_9scan_implILNS1_25lookback_scan_determinismE0ELb1ELb1ES3_N6thrust23THRUST_200600_302600_NS6detail15normal_iteratorINS9_10device_ptrIdEEEENS9_16discard_iteratorINS9_11use_defaultEEEdNS9_4plusIvEEdEEDaPvRmT3_T4_T5_mT6_P12ihipStream_tbENKUlT_T0_E_clISt17integral_constantIbLb0EESW_IbLb1EEEEDaSS_ST_EUlSS_E_NS1_11comp_targetILNS1_3genE3ELNS1_11target_archE908ELNS1_3gpuE7ELNS1_3repE0EEENS1_30default_config_static_selectorELNS0_4arch9wavefront6targetE1EEEvT1_ ; -- Begin function _ZN7rocprim17ROCPRIM_400000_NS6detail17trampoline_kernelINS0_14default_configENS1_20scan_config_selectorIdEEZZNS1_9scan_implILNS1_25lookback_scan_determinismE0ELb1ELb1ES3_N6thrust23THRUST_200600_302600_NS6detail15normal_iteratorINS9_10device_ptrIdEEEENS9_16discard_iteratorINS9_11use_defaultEEEdNS9_4plusIvEEdEEDaPvRmT3_T4_T5_mT6_P12ihipStream_tbENKUlT_T0_E_clISt17integral_constantIbLb0EESW_IbLb1EEEEDaSS_ST_EUlSS_E_NS1_11comp_targetILNS1_3genE3ELNS1_11target_archE908ELNS1_3gpuE7ELNS1_3repE0EEENS1_30default_config_static_selectorELNS0_4arch9wavefront6targetE1EEEvT1_
	.globl	_ZN7rocprim17ROCPRIM_400000_NS6detail17trampoline_kernelINS0_14default_configENS1_20scan_config_selectorIdEEZZNS1_9scan_implILNS1_25lookback_scan_determinismE0ELb1ELb1ES3_N6thrust23THRUST_200600_302600_NS6detail15normal_iteratorINS9_10device_ptrIdEEEENS9_16discard_iteratorINS9_11use_defaultEEEdNS9_4plusIvEEdEEDaPvRmT3_T4_T5_mT6_P12ihipStream_tbENKUlT_T0_E_clISt17integral_constantIbLb0EESW_IbLb1EEEEDaSS_ST_EUlSS_E_NS1_11comp_targetILNS1_3genE3ELNS1_11target_archE908ELNS1_3gpuE7ELNS1_3repE0EEENS1_30default_config_static_selectorELNS0_4arch9wavefront6targetE1EEEvT1_
	.p2align	8
	.type	_ZN7rocprim17ROCPRIM_400000_NS6detail17trampoline_kernelINS0_14default_configENS1_20scan_config_selectorIdEEZZNS1_9scan_implILNS1_25lookback_scan_determinismE0ELb1ELb1ES3_N6thrust23THRUST_200600_302600_NS6detail15normal_iteratorINS9_10device_ptrIdEEEENS9_16discard_iteratorINS9_11use_defaultEEEdNS9_4plusIvEEdEEDaPvRmT3_T4_T5_mT6_P12ihipStream_tbENKUlT_T0_E_clISt17integral_constantIbLb0EESW_IbLb1EEEEDaSS_ST_EUlSS_E_NS1_11comp_targetILNS1_3genE3ELNS1_11target_archE908ELNS1_3gpuE7ELNS1_3repE0EEENS1_30default_config_static_selectorELNS0_4arch9wavefront6targetE1EEEvT1_,@function
_ZN7rocprim17ROCPRIM_400000_NS6detail17trampoline_kernelINS0_14default_configENS1_20scan_config_selectorIdEEZZNS1_9scan_implILNS1_25lookback_scan_determinismE0ELb1ELb1ES3_N6thrust23THRUST_200600_302600_NS6detail15normal_iteratorINS9_10device_ptrIdEEEENS9_16discard_iteratorINS9_11use_defaultEEEdNS9_4plusIvEEdEEDaPvRmT3_T4_T5_mT6_P12ihipStream_tbENKUlT_T0_E_clISt17integral_constantIbLb0EESW_IbLb1EEEEDaSS_ST_EUlSS_E_NS1_11comp_targetILNS1_3genE3ELNS1_11target_archE908ELNS1_3gpuE7ELNS1_3repE0EEENS1_30default_config_static_selectorELNS0_4arch9wavefront6targetE1EEEvT1_: ; @_ZN7rocprim17ROCPRIM_400000_NS6detail17trampoline_kernelINS0_14default_configENS1_20scan_config_selectorIdEEZZNS1_9scan_implILNS1_25lookback_scan_determinismE0ELb1ELb1ES3_N6thrust23THRUST_200600_302600_NS6detail15normal_iteratorINS9_10device_ptrIdEEEENS9_16discard_iteratorINS9_11use_defaultEEEdNS9_4plusIvEEdEEDaPvRmT3_T4_T5_mT6_P12ihipStream_tbENKUlT_T0_E_clISt17integral_constantIbLb0EESW_IbLb1EEEEDaSS_ST_EUlSS_E_NS1_11comp_targetILNS1_3genE3ELNS1_11target_archE908ELNS1_3gpuE7ELNS1_3repE0EEENS1_30default_config_static_selectorELNS0_4arch9wavefront6targetE1EEEvT1_
; %bb.0:
	.section	.rodata,"a",@progbits
	.p2align	6, 0x0
	.amdhsa_kernel _ZN7rocprim17ROCPRIM_400000_NS6detail17trampoline_kernelINS0_14default_configENS1_20scan_config_selectorIdEEZZNS1_9scan_implILNS1_25lookback_scan_determinismE0ELb1ELb1ES3_N6thrust23THRUST_200600_302600_NS6detail15normal_iteratorINS9_10device_ptrIdEEEENS9_16discard_iteratorINS9_11use_defaultEEEdNS9_4plusIvEEdEEDaPvRmT3_T4_T5_mT6_P12ihipStream_tbENKUlT_T0_E_clISt17integral_constantIbLb0EESW_IbLb1EEEEDaSS_ST_EUlSS_E_NS1_11comp_targetILNS1_3genE3ELNS1_11target_archE908ELNS1_3gpuE7ELNS1_3repE0EEENS1_30default_config_static_selectorELNS0_4arch9wavefront6targetE1EEEvT1_
		.amdhsa_group_segment_fixed_size 0
		.amdhsa_private_segment_fixed_size 0
		.amdhsa_kernarg_size 112
		.amdhsa_user_sgpr_count 6
		.amdhsa_user_sgpr_private_segment_buffer 1
		.amdhsa_user_sgpr_dispatch_ptr 0
		.amdhsa_user_sgpr_queue_ptr 0
		.amdhsa_user_sgpr_kernarg_segment_ptr 1
		.amdhsa_user_sgpr_dispatch_id 0
		.amdhsa_user_sgpr_flat_scratch_init 0
		.amdhsa_user_sgpr_kernarg_preload_length 0
		.amdhsa_user_sgpr_kernarg_preload_offset 0
		.amdhsa_user_sgpr_private_segment_size 0
		.amdhsa_uses_dynamic_stack 0
		.amdhsa_system_sgpr_private_segment_wavefront_offset 0
		.amdhsa_system_sgpr_workgroup_id_x 1
		.amdhsa_system_sgpr_workgroup_id_y 0
		.amdhsa_system_sgpr_workgroup_id_z 0
		.amdhsa_system_sgpr_workgroup_info 0
		.amdhsa_system_vgpr_workitem_id 0
		.amdhsa_next_free_vgpr 1
		.amdhsa_next_free_sgpr 0
		.amdhsa_accum_offset 4
		.amdhsa_reserve_vcc 0
		.amdhsa_reserve_flat_scratch 0
		.amdhsa_float_round_mode_32 0
		.amdhsa_float_round_mode_16_64 0
		.amdhsa_float_denorm_mode_32 3
		.amdhsa_float_denorm_mode_16_64 3
		.amdhsa_dx10_clamp 1
		.amdhsa_ieee_mode 1
		.amdhsa_fp16_overflow 0
		.amdhsa_tg_split 0
		.amdhsa_exception_fp_ieee_invalid_op 0
		.amdhsa_exception_fp_denorm_src 0
		.amdhsa_exception_fp_ieee_div_zero 0
		.amdhsa_exception_fp_ieee_overflow 0
		.amdhsa_exception_fp_ieee_underflow 0
		.amdhsa_exception_fp_ieee_inexact 0
		.amdhsa_exception_int_div_zero 0
	.end_amdhsa_kernel
	.section	.text._ZN7rocprim17ROCPRIM_400000_NS6detail17trampoline_kernelINS0_14default_configENS1_20scan_config_selectorIdEEZZNS1_9scan_implILNS1_25lookback_scan_determinismE0ELb1ELb1ES3_N6thrust23THRUST_200600_302600_NS6detail15normal_iteratorINS9_10device_ptrIdEEEENS9_16discard_iteratorINS9_11use_defaultEEEdNS9_4plusIvEEdEEDaPvRmT3_T4_T5_mT6_P12ihipStream_tbENKUlT_T0_E_clISt17integral_constantIbLb0EESW_IbLb1EEEEDaSS_ST_EUlSS_E_NS1_11comp_targetILNS1_3genE3ELNS1_11target_archE908ELNS1_3gpuE7ELNS1_3repE0EEENS1_30default_config_static_selectorELNS0_4arch9wavefront6targetE1EEEvT1_,"axG",@progbits,_ZN7rocprim17ROCPRIM_400000_NS6detail17trampoline_kernelINS0_14default_configENS1_20scan_config_selectorIdEEZZNS1_9scan_implILNS1_25lookback_scan_determinismE0ELb1ELb1ES3_N6thrust23THRUST_200600_302600_NS6detail15normal_iteratorINS9_10device_ptrIdEEEENS9_16discard_iteratorINS9_11use_defaultEEEdNS9_4plusIvEEdEEDaPvRmT3_T4_T5_mT6_P12ihipStream_tbENKUlT_T0_E_clISt17integral_constantIbLb0EESW_IbLb1EEEEDaSS_ST_EUlSS_E_NS1_11comp_targetILNS1_3genE3ELNS1_11target_archE908ELNS1_3gpuE7ELNS1_3repE0EEENS1_30default_config_static_selectorELNS0_4arch9wavefront6targetE1EEEvT1_,comdat
.Lfunc_end4991:
	.size	_ZN7rocprim17ROCPRIM_400000_NS6detail17trampoline_kernelINS0_14default_configENS1_20scan_config_selectorIdEEZZNS1_9scan_implILNS1_25lookback_scan_determinismE0ELb1ELb1ES3_N6thrust23THRUST_200600_302600_NS6detail15normal_iteratorINS9_10device_ptrIdEEEENS9_16discard_iteratorINS9_11use_defaultEEEdNS9_4plusIvEEdEEDaPvRmT3_T4_T5_mT6_P12ihipStream_tbENKUlT_T0_E_clISt17integral_constantIbLb0EESW_IbLb1EEEEDaSS_ST_EUlSS_E_NS1_11comp_targetILNS1_3genE3ELNS1_11target_archE908ELNS1_3gpuE7ELNS1_3repE0EEENS1_30default_config_static_selectorELNS0_4arch9wavefront6targetE1EEEvT1_, .Lfunc_end4991-_ZN7rocprim17ROCPRIM_400000_NS6detail17trampoline_kernelINS0_14default_configENS1_20scan_config_selectorIdEEZZNS1_9scan_implILNS1_25lookback_scan_determinismE0ELb1ELb1ES3_N6thrust23THRUST_200600_302600_NS6detail15normal_iteratorINS9_10device_ptrIdEEEENS9_16discard_iteratorINS9_11use_defaultEEEdNS9_4plusIvEEdEEDaPvRmT3_T4_T5_mT6_P12ihipStream_tbENKUlT_T0_E_clISt17integral_constantIbLb0EESW_IbLb1EEEEDaSS_ST_EUlSS_E_NS1_11comp_targetILNS1_3genE3ELNS1_11target_archE908ELNS1_3gpuE7ELNS1_3repE0EEENS1_30default_config_static_selectorELNS0_4arch9wavefront6targetE1EEEvT1_
                                        ; -- End function
	.section	.AMDGPU.csdata,"",@progbits
; Kernel info:
; codeLenInByte = 0
; NumSgprs: 4
; NumVgprs: 0
; NumAgprs: 0
; TotalNumVgprs: 0
; ScratchSize: 0
; MemoryBound: 0
; FloatMode: 240
; IeeeMode: 1
; LDSByteSize: 0 bytes/workgroup (compile time only)
; SGPRBlocks: 0
; VGPRBlocks: 0
; NumSGPRsForWavesPerEU: 4
; NumVGPRsForWavesPerEU: 1
; AccumOffset: 4
; Occupancy: 8
; WaveLimiterHint : 0
; COMPUTE_PGM_RSRC2:SCRATCH_EN: 0
; COMPUTE_PGM_RSRC2:USER_SGPR: 6
; COMPUTE_PGM_RSRC2:TRAP_HANDLER: 0
; COMPUTE_PGM_RSRC2:TGID_X_EN: 1
; COMPUTE_PGM_RSRC2:TGID_Y_EN: 0
; COMPUTE_PGM_RSRC2:TGID_Z_EN: 0
; COMPUTE_PGM_RSRC2:TIDIG_COMP_CNT: 0
; COMPUTE_PGM_RSRC3_GFX90A:ACCUM_OFFSET: 0
; COMPUTE_PGM_RSRC3_GFX90A:TG_SPLIT: 0
	.section	.text._ZN7rocprim17ROCPRIM_400000_NS6detail17trampoline_kernelINS0_14default_configENS1_20scan_config_selectorIdEEZZNS1_9scan_implILNS1_25lookback_scan_determinismE0ELb1ELb1ES3_N6thrust23THRUST_200600_302600_NS6detail15normal_iteratorINS9_10device_ptrIdEEEENS9_16discard_iteratorINS9_11use_defaultEEEdNS9_4plusIvEEdEEDaPvRmT3_T4_T5_mT6_P12ihipStream_tbENKUlT_T0_E_clISt17integral_constantIbLb0EESW_IbLb1EEEEDaSS_ST_EUlSS_E_NS1_11comp_targetILNS1_3genE2ELNS1_11target_archE906ELNS1_3gpuE6ELNS1_3repE0EEENS1_30default_config_static_selectorELNS0_4arch9wavefront6targetE1EEEvT1_,"axG",@progbits,_ZN7rocprim17ROCPRIM_400000_NS6detail17trampoline_kernelINS0_14default_configENS1_20scan_config_selectorIdEEZZNS1_9scan_implILNS1_25lookback_scan_determinismE0ELb1ELb1ES3_N6thrust23THRUST_200600_302600_NS6detail15normal_iteratorINS9_10device_ptrIdEEEENS9_16discard_iteratorINS9_11use_defaultEEEdNS9_4plusIvEEdEEDaPvRmT3_T4_T5_mT6_P12ihipStream_tbENKUlT_T0_E_clISt17integral_constantIbLb0EESW_IbLb1EEEEDaSS_ST_EUlSS_E_NS1_11comp_targetILNS1_3genE2ELNS1_11target_archE906ELNS1_3gpuE6ELNS1_3repE0EEENS1_30default_config_static_selectorELNS0_4arch9wavefront6targetE1EEEvT1_,comdat
	.protected	_ZN7rocprim17ROCPRIM_400000_NS6detail17trampoline_kernelINS0_14default_configENS1_20scan_config_selectorIdEEZZNS1_9scan_implILNS1_25lookback_scan_determinismE0ELb1ELb1ES3_N6thrust23THRUST_200600_302600_NS6detail15normal_iteratorINS9_10device_ptrIdEEEENS9_16discard_iteratorINS9_11use_defaultEEEdNS9_4plusIvEEdEEDaPvRmT3_T4_T5_mT6_P12ihipStream_tbENKUlT_T0_E_clISt17integral_constantIbLb0EESW_IbLb1EEEEDaSS_ST_EUlSS_E_NS1_11comp_targetILNS1_3genE2ELNS1_11target_archE906ELNS1_3gpuE6ELNS1_3repE0EEENS1_30default_config_static_selectorELNS0_4arch9wavefront6targetE1EEEvT1_ ; -- Begin function _ZN7rocprim17ROCPRIM_400000_NS6detail17trampoline_kernelINS0_14default_configENS1_20scan_config_selectorIdEEZZNS1_9scan_implILNS1_25lookback_scan_determinismE0ELb1ELb1ES3_N6thrust23THRUST_200600_302600_NS6detail15normal_iteratorINS9_10device_ptrIdEEEENS9_16discard_iteratorINS9_11use_defaultEEEdNS9_4plusIvEEdEEDaPvRmT3_T4_T5_mT6_P12ihipStream_tbENKUlT_T0_E_clISt17integral_constantIbLb0EESW_IbLb1EEEEDaSS_ST_EUlSS_E_NS1_11comp_targetILNS1_3genE2ELNS1_11target_archE906ELNS1_3gpuE6ELNS1_3repE0EEENS1_30default_config_static_selectorELNS0_4arch9wavefront6targetE1EEEvT1_
	.globl	_ZN7rocprim17ROCPRIM_400000_NS6detail17trampoline_kernelINS0_14default_configENS1_20scan_config_selectorIdEEZZNS1_9scan_implILNS1_25lookback_scan_determinismE0ELb1ELb1ES3_N6thrust23THRUST_200600_302600_NS6detail15normal_iteratorINS9_10device_ptrIdEEEENS9_16discard_iteratorINS9_11use_defaultEEEdNS9_4plusIvEEdEEDaPvRmT3_T4_T5_mT6_P12ihipStream_tbENKUlT_T0_E_clISt17integral_constantIbLb0EESW_IbLb1EEEEDaSS_ST_EUlSS_E_NS1_11comp_targetILNS1_3genE2ELNS1_11target_archE906ELNS1_3gpuE6ELNS1_3repE0EEENS1_30default_config_static_selectorELNS0_4arch9wavefront6targetE1EEEvT1_
	.p2align	8
	.type	_ZN7rocprim17ROCPRIM_400000_NS6detail17trampoline_kernelINS0_14default_configENS1_20scan_config_selectorIdEEZZNS1_9scan_implILNS1_25lookback_scan_determinismE0ELb1ELb1ES3_N6thrust23THRUST_200600_302600_NS6detail15normal_iteratorINS9_10device_ptrIdEEEENS9_16discard_iteratorINS9_11use_defaultEEEdNS9_4plusIvEEdEEDaPvRmT3_T4_T5_mT6_P12ihipStream_tbENKUlT_T0_E_clISt17integral_constantIbLb0EESW_IbLb1EEEEDaSS_ST_EUlSS_E_NS1_11comp_targetILNS1_3genE2ELNS1_11target_archE906ELNS1_3gpuE6ELNS1_3repE0EEENS1_30default_config_static_selectorELNS0_4arch9wavefront6targetE1EEEvT1_,@function
_ZN7rocprim17ROCPRIM_400000_NS6detail17trampoline_kernelINS0_14default_configENS1_20scan_config_selectorIdEEZZNS1_9scan_implILNS1_25lookback_scan_determinismE0ELb1ELb1ES3_N6thrust23THRUST_200600_302600_NS6detail15normal_iteratorINS9_10device_ptrIdEEEENS9_16discard_iteratorINS9_11use_defaultEEEdNS9_4plusIvEEdEEDaPvRmT3_T4_T5_mT6_P12ihipStream_tbENKUlT_T0_E_clISt17integral_constantIbLb0EESW_IbLb1EEEEDaSS_ST_EUlSS_E_NS1_11comp_targetILNS1_3genE2ELNS1_11target_archE906ELNS1_3gpuE6ELNS1_3repE0EEENS1_30default_config_static_selectorELNS0_4arch9wavefront6targetE1EEEvT1_: ; @_ZN7rocprim17ROCPRIM_400000_NS6detail17trampoline_kernelINS0_14default_configENS1_20scan_config_selectorIdEEZZNS1_9scan_implILNS1_25lookback_scan_determinismE0ELb1ELb1ES3_N6thrust23THRUST_200600_302600_NS6detail15normal_iteratorINS9_10device_ptrIdEEEENS9_16discard_iteratorINS9_11use_defaultEEEdNS9_4plusIvEEdEEDaPvRmT3_T4_T5_mT6_P12ihipStream_tbENKUlT_T0_E_clISt17integral_constantIbLb0EESW_IbLb1EEEEDaSS_ST_EUlSS_E_NS1_11comp_targetILNS1_3genE2ELNS1_11target_archE906ELNS1_3gpuE6ELNS1_3repE0EEENS1_30default_config_static_selectorELNS0_4arch9wavefront6targetE1EEEvT1_
; %bb.0:
	.section	.rodata,"a",@progbits
	.p2align	6, 0x0
	.amdhsa_kernel _ZN7rocprim17ROCPRIM_400000_NS6detail17trampoline_kernelINS0_14default_configENS1_20scan_config_selectorIdEEZZNS1_9scan_implILNS1_25lookback_scan_determinismE0ELb1ELb1ES3_N6thrust23THRUST_200600_302600_NS6detail15normal_iteratorINS9_10device_ptrIdEEEENS9_16discard_iteratorINS9_11use_defaultEEEdNS9_4plusIvEEdEEDaPvRmT3_T4_T5_mT6_P12ihipStream_tbENKUlT_T0_E_clISt17integral_constantIbLb0EESW_IbLb1EEEEDaSS_ST_EUlSS_E_NS1_11comp_targetILNS1_3genE2ELNS1_11target_archE906ELNS1_3gpuE6ELNS1_3repE0EEENS1_30default_config_static_selectorELNS0_4arch9wavefront6targetE1EEEvT1_
		.amdhsa_group_segment_fixed_size 0
		.amdhsa_private_segment_fixed_size 0
		.amdhsa_kernarg_size 112
		.amdhsa_user_sgpr_count 6
		.amdhsa_user_sgpr_private_segment_buffer 1
		.amdhsa_user_sgpr_dispatch_ptr 0
		.amdhsa_user_sgpr_queue_ptr 0
		.amdhsa_user_sgpr_kernarg_segment_ptr 1
		.amdhsa_user_sgpr_dispatch_id 0
		.amdhsa_user_sgpr_flat_scratch_init 0
		.amdhsa_user_sgpr_kernarg_preload_length 0
		.amdhsa_user_sgpr_kernarg_preload_offset 0
		.amdhsa_user_sgpr_private_segment_size 0
		.amdhsa_uses_dynamic_stack 0
		.amdhsa_system_sgpr_private_segment_wavefront_offset 0
		.amdhsa_system_sgpr_workgroup_id_x 1
		.amdhsa_system_sgpr_workgroup_id_y 0
		.amdhsa_system_sgpr_workgroup_id_z 0
		.amdhsa_system_sgpr_workgroup_info 0
		.amdhsa_system_vgpr_workitem_id 0
		.amdhsa_next_free_vgpr 1
		.amdhsa_next_free_sgpr 0
		.amdhsa_accum_offset 4
		.amdhsa_reserve_vcc 0
		.amdhsa_reserve_flat_scratch 0
		.amdhsa_float_round_mode_32 0
		.amdhsa_float_round_mode_16_64 0
		.amdhsa_float_denorm_mode_32 3
		.amdhsa_float_denorm_mode_16_64 3
		.amdhsa_dx10_clamp 1
		.amdhsa_ieee_mode 1
		.amdhsa_fp16_overflow 0
		.amdhsa_tg_split 0
		.amdhsa_exception_fp_ieee_invalid_op 0
		.amdhsa_exception_fp_denorm_src 0
		.amdhsa_exception_fp_ieee_div_zero 0
		.amdhsa_exception_fp_ieee_overflow 0
		.amdhsa_exception_fp_ieee_underflow 0
		.amdhsa_exception_fp_ieee_inexact 0
		.amdhsa_exception_int_div_zero 0
	.end_amdhsa_kernel
	.section	.text._ZN7rocprim17ROCPRIM_400000_NS6detail17trampoline_kernelINS0_14default_configENS1_20scan_config_selectorIdEEZZNS1_9scan_implILNS1_25lookback_scan_determinismE0ELb1ELb1ES3_N6thrust23THRUST_200600_302600_NS6detail15normal_iteratorINS9_10device_ptrIdEEEENS9_16discard_iteratorINS9_11use_defaultEEEdNS9_4plusIvEEdEEDaPvRmT3_T4_T5_mT6_P12ihipStream_tbENKUlT_T0_E_clISt17integral_constantIbLb0EESW_IbLb1EEEEDaSS_ST_EUlSS_E_NS1_11comp_targetILNS1_3genE2ELNS1_11target_archE906ELNS1_3gpuE6ELNS1_3repE0EEENS1_30default_config_static_selectorELNS0_4arch9wavefront6targetE1EEEvT1_,"axG",@progbits,_ZN7rocprim17ROCPRIM_400000_NS6detail17trampoline_kernelINS0_14default_configENS1_20scan_config_selectorIdEEZZNS1_9scan_implILNS1_25lookback_scan_determinismE0ELb1ELb1ES3_N6thrust23THRUST_200600_302600_NS6detail15normal_iteratorINS9_10device_ptrIdEEEENS9_16discard_iteratorINS9_11use_defaultEEEdNS9_4plusIvEEdEEDaPvRmT3_T4_T5_mT6_P12ihipStream_tbENKUlT_T0_E_clISt17integral_constantIbLb0EESW_IbLb1EEEEDaSS_ST_EUlSS_E_NS1_11comp_targetILNS1_3genE2ELNS1_11target_archE906ELNS1_3gpuE6ELNS1_3repE0EEENS1_30default_config_static_selectorELNS0_4arch9wavefront6targetE1EEEvT1_,comdat
.Lfunc_end4992:
	.size	_ZN7rocprim17ROCPRIM_400000_NS6detail17trampoline_kernelINS0_14default_configENS1_20scan_config_selectorIdEEZZNS1_9scan_implILNS1_25lookback_scan_determinismE0ELb1ELb1ES3_N6thrust23THRUST_200600_302600_NS6detail15normal_iteratorINS9_10device_ptrIdEEEENS9_16discard_iteratorINS9_11use_defaultEEEdNS9_4plusIvEEdEEDaPvRmT3_T4_T5_mT6_P12ihipStream_tbENKUlT_T0_E_clISt17integral_constantIbLb0EESW_IbLb1EEEEDaSS_ST_EUlSS_E_NS1_11comp_targetILNS1_3genE2ELNS1_11target_archE906ELNS1_3gpuE6ELNS1_3repE0EEENS1_30default_config_static_selectorELNS0_4arch9wavefront6targetE1EEEvT1_, .Lfunc_end4992-_ZN7rocprim17ROCPRIM_400000_NS6detail17trampoline_kernelINS0_14default_configENS1_20scan_config_selectorIdEEZZNS1_9scan_implILNS1_25lookback_scan_determinismE0ELb1ELb1ES3_N6thrust23THRUST_200600_302600_NS6detail15normal_iteratorINS9_10device_ptrIdEEEENS9_16discard_iteratorINS9_11use_defaultEEEdNS9_4plusIvEEdEEDaPvRmT3_T4_T5_mT6_P12ihipStream_tbENKUlT_T0_E_clISt17integral_constantIbLb0EESW_IbLb1EEEEDaSS_ST_EUlSS_E_NS1_11comp_targetILNS1_3genE2ELNS1_11target_archE906ELNS1_3gpuE6ELNS1_3repE0EEENS1_30default_config_static_selectorELNS0_4arch9wavefront6targetE1EEEvT1_
                                        ; -- End function
	.section	.AMDGPU.csdata,"",@progbits
; Kernel info:
; codeLenInByte = 0
; NumSgprs: 4
; NumVgprs: 0
; NumAgprs: 0
; TotalNumVgprs: 0
; ScratchSize: 0
; MemoryBound: 0
; FloatMode: 240
; IeeeMode: 1
; LDSByteSize: 0 bytes/workgroup (compile time only)
; SGPRBlocks: 0
; VGPRBlocks: 0
; NumSGPRsForWavesPerEU: 4
; NumVGPRsForWavesPerEU: 1
; AccumOffset: 4
; Occupancy: 8
; WaveLimiterHint : 0
; COMPUTE_PGM_RSRC2:SCRATCH_EN: 0
; COMPUTE_PGM_RSRC2:USER_SGPR: 6
; COMPUTE_PGM_RSRC2:TRAP_HANDLER: 0
; COMPUTE_PGM_RSRC2:TGID_X_EN: 1
; COMPUTE_PGM_RSRC2:TGID_Y_EN: 0
; COMPUTE_PGM_RSRC2:TGID_Z_EN: 0
; COMPUTE_PGM_RSRC2:TIDIG_COMP_CNT: 0
; COMPUTE_PGM_RSRC3_GFX90A:ACCUM_OFFSET: 0
; COMPUTE_PGM_RSRC3_GFX90A:TG_SPLIT: 0
	.section	.text._ZN7rocprim17ROCPRIM_400000_NS6detail17trampoline_kernelINS0_14default_configENS1_20scan_config_selectorIdEEZZNS1_9scan_implILNS1_25lookback_scan_determinismE0ELb1ELb1ES3_N6thrust23THRUST_200600_302600_NS6detail15normal_iteratorINS9_10device_ptrIdEEEENS9_16discard_iteratorINS9_11use_defaultEEEdNS9_4plusIvEEdEEDaPvRmT3_T4_T5_mT6_P12ihipStream_tbENKUlT_T0_E_clISt17integral_constantIbLb0EESW_IbLb1EEEEDaSS_ST_EUlSS_E_NS1_11comp_targetILNS1_3genE10ELNS1_11target_archE1201ELNS1_3gpuE5ELNS1_3repE0EEENS1_30default_config_static_selectorELNS0_4arch9wavefront6targetE1EEEvT1_,"axG",@progbits,_ZN7rocprim17ROCPRIM_400000_NS6detail17trampoline_kernelINS0_14default_configENS1_20scan_config_selectorIdEEZZNS1_9scan_implILNS1_25lookback_scan_determinismE0ELb1ELb1ES3_N6thrust23THRUST_200600_302600_NS6detail15normal_iteratorINS9_10device_ptrIdEEEENS9_16discard_iteratorINS9_11use_defaultEEEdNS9_4plusIvEEdEEDaPvRmT3_T4_T5_mT6_P12ihipStream_tbENKUlT_T0_E_clISt17integral_constantIbLb0EESW_IbLb1EEEEDaSS_ST_EUlSS_E_NS1_11comp_targetILNS1_3genE10ELNS1_11target_archE1201ELNS1_3gpuE5ELNS1_3repE0EEENS1_30default_config_static_selectorELNS0_4arch9wavefront6targetE1EEEvT1_,comdat
	.protected	_ZN7rocprim17ROCPRIM_400000_NS6detail17trampoline_kernelINS0_14default_configENS1_20scan_config_selectorIdEEZZNS1_9scan_implILNS1_25lookback_scan_determinismE0ELb1ELb1ES3_N6thrust23THRUST_200600_302600_NS6detail15normal_iteratorINS9_10device_ptrIdEEEENS9_16discard_iteratorINS9_11use_defaultEEEdNS9_4plusIvEEdEEDaPvRmT3_T4_T5_mT6_P12ihipStream_tbENKUlT_T0_E_clISt17integral_constantIbLb0EESW_IbLb1EEEEDaSS_ST_EUlSS_E_NS1_11comp_targetILNS1_3genE10ELNS1_11target_archE1201ELNS1_3gpuE5ELNS1_3repE0EEENS1_30default_config_static_selectorELNS0_4arch9wavefront6targetE1EEEvT1_ ; -- Begin function _ZN7rocprim17ROCPRIM_400000_NS6detail17trampoline_kernelINS0_14default_configENS1_20scan_config_selectorIdEEZZNS1_9scan_implILNS1_25lookback_scan_determinismE0ELb1ELb1ES3_N6thrust23THRUST_200600_302600_NS6detail15normal_iteratorINS9_10device_ptrIdEEEENS9_16discard_iteratorINS9_11use_defaultEEEdNS9_4plusIvEEdEEDaPvRmT3_T4_T5_mT6_P12ihipStream_tbENKUlT_T0_E_clISt17integral_constantIbLb0EESW_IbLb1EEEEDaSS_ST_EUlSS_E_NS1_11comp_targetILNS1_3genE10ELNS1_11target_archE1201ELNS1_3gpuE5ELNS1_3repE0EEENS1_30default_config_static_selectorELNS0_4arch9wavefront6targetE1EEEvT1_
	.globl	_ZN7rocprim17ROCPRIM_400000_NS6detail17trampoline_kernelINS0_14default_configENS1_20scan_config_selectorIdEEZZNS1_9scan_implILNS1_25lookback_scan_determinismE0ELb1ELb1ES3_N6thrust23THRUST_200600_302600_NS6detail15normal_iteratorINS9_10device_ptrIdEEEENS9_16discard_iteratorINS9_11use_defaultEEEdNS9_4plusIvEEdEEDaPvRmT3_T4_T5_mT6_P12ihipStream_tbENKUlT_T0_E_clISt17integral_constantIbLb0EESW_IbLb1EEEEDaSS_ST_EUlSS_E_NS1_11comp_targetILNS1_3genE10ELNS1_11target_archE1201ELNS1_3gpuE5ELNS1_3repE0EEENS1_30default_config_static_selectorELNS0_4arch9wavefront6targetE1EEEvT1_
	.p2align	8
	.type	_ZN7rocprim17ROCPRIM_400000_NS6detail17trampoline_kernelINS0_14default_configENS1_20scan_config_selectorIdEEZZNS1_9scan_implILNS1_25lookback_scan_determinismE0ELb1ELb1ES3_N6thrust23THRUST_200600_302600_NS6detail15normal_iteratorINS9_10device_ptrIdEEEENS9_16discard_iteratorINS9_11use_defaultEEEdNS9_4plusIvEEdEEDaPvRmT3_T4_T5_mT6_P12ihipStream_tbENKUlT_T0_E_clISt17integral_constantIbLb0EESW_IbLb1EEEEDaSS_ST_EUlSS_E_NS1_11comp_targetILNS1_3genE10ELNS1_11target_archE1201ELNS1_3gpuE5ELNS1_3repE0EEENS1_30default_config_static_selectorELNS0_4arch9wavefront6targetE1EEEvT1_,@function
_ZN7rocprim17ROCPRIM_400000_NS6detail17trampoline_kernelINS0_14default_configENS1_20scan_config_selectorIdEEZZNS1_9scan_implILNS1_25lookback_scan_determinismE0ELb1ELb1ES3_N6thrust23THRUST_200600_302600_NS6detail15normal_iteratorINS9_10device_ptrIdEEEENS9_16discard_iteratorINS9_11use_defaultEEEdNS9_4plusIvEEdEEDaPvRmT3_T4_T5_mT6_P12ihipStream_tbENKUlT_T0_E_clISt17integral_constantIbLb0EESW_IbLb1EEEEDaSS_ST_EUlSS_E_NS1_11comp_targetILNS1_3genE10ELNS1_11target_archE1201ELNS1_3gpuE5ELNS1_3repE0EEENS1_30default_config_static_selectorELNS0_4arch9wavefront6targetE1EEEvT1_: ; @_ZN7rocprim17ROCPRIM_400000_NS6detail17trampoline_kernelINS0_14default_configENS1_20scan_config_selectorIdEEZZNS1_9scan_implILNS1_25lookback_scan_determinismE0ELb1ELb1ES3_N6thrust23THRUST_200600_302600_NS6detail15normal_iteratorINS9_10device_ptrIdEEEENS9_16discard_iteratorINS9_11use_defaultEEEdNS9_4plusIvEEdEEDaPvRmT3_T4_T5_mT6_P12ihipStream_tbENKUlT_T0_E_clISt17integral_constantIbLb0EESW_IbLb1EEEEDaSS_ST_EUlSS_E_NS1_11comp_targetILNS1_3genE10ELNS1_11target_archE1201ELNS1_3gpuE5ELNS1_3repE0EEENS1_30default_config_static_selectorELNS0_4arch9wavefront6targetE1EEEvT1_
; %bb.0:
	.section	.rodata,"a",@progbits
	.p2align	6, 0x0
	.amdhsa_kernel _ZN7rocprim17ROCPRIM_400000_NS6detail17trampoline_kernelINS0_14default_configENS1_20scan_config_selectorIdEEZZNS1_9scan_implILNS1_25lookback_scan_determinismE0ELb1ELb1ES3_N6thrust23THRUST_200600_302600_NS6detail15normal_iteratorINS9_10device_ptrIdEEEENS9_16discard_iteratorINS9_11use_defaultEEEdNS9_4plusIvEEdEEDaPvRmT3_T4_T5_mT6_P12ihipStream_tbENKUlT_T0_E_clISt17integral_constantIbLb0EESW_IbLb1EEEEDaSS_ST_EUlSS_E_NS1_11comp_targetILNS1_3genE10ELNS1_11target_archE1201ELNS1_3gpuE5ELNS1_3repE0EEENS1_30default_config_static_selectorELNS0_4arch9wavefront6targetE1EEEvT1_
		.amdhsa_group_segment_fixed_size 0
		.amdhsa_private_segment_fixed_size 0
		.amdhsa_kernarg_size 112
		.amdhsa_user_sgpr_count 6
		.amdhsa_user_sgpr_private_segment_buffer 1
		.amdhsa_user_sgpr_dispatch_ptr 0
		.amdhsa_user_sgpr_queue_ptr 0
		.amdhsa_user_sgpr_kernarg_segment_ptr 1
		.amdhsa_user_sgpr_dispatch_id 0
		.amdhsa_user_sgpr_flat_scratch_init 0
		.amdhsa_user_sgpr_kernarg_preload_length 0
		.amdhsa_user_sgpr_kernarg_preload_offset 0
		.amdhsa_user_sgpr_private_segment_size 0
		.amdhsa_uses_dynamic_stack 0
		.amdhsa_system_sgpr_private_segment_wavefront_offset 0
		.amdhsa_system_sgpr_workgroup_id_x 1
		.amdhsa_system_sgpr_workgroup_id_y 0
		.amdhsa_system_sgpr_workgroup_id_z 0
		.amdhsa_system_sgpr_workgroup_info 0
		.amdhsa_system_vgpr_workitem_id 0
		.amdhsa_next_free_vgpr 1
		.amdhsa_next_free_sgpr 0
		.amdhsa_accum_offset 4
		.amdhsa_reserve_vcc 0
		.amdhsa_reserve_flat_scratch 0
		.amdhsa_float_round_mode_32 0
		.amdhsa_float_round_mode_16_64 0
		.amdhsa_float_denorm_mode_32 3
		.amdhsa_float_denorm_mode_16_64 3
		.amdhsa_dx10_clamp 1
		.amdhsa_ieee_mode 1
		.amdhsa_fp16_overflow 0
		.amdhsa_tg_split 0
		.amdhsa_exception_fp_ieee_invalid_op 0
		.amdhsa_exception_fp_denorm_src 0
		.amdhsa_exception_fp_ieee_div_zero 0
		.amdhsa_exception_fp_ieee_overflow 0
		.amdhsa_exception_fp_ieee_underflow 0
		.amdhsa_exception_fp_ieee_inexact 0
		.amdhsa_exception_int_div_zero 0
	.end_amdhsa_kernel
	.section	.text._ZN7rocprim17ROCPRIM_400000_NS6detail17trampoline_kernelINS0_14default_configENS1_20scan_config_selectorIdEEZZNS1_9scan_implILNS1_25lookback_scan_determinismE0ELb1ELb1ES3_N6thrust23THRUST_200600_302600_NS6detail15normal_iteratorINS9_10device_ptrIdEEEENS9_16discard_iteratorINS9_11use_defaultEEEdNS9_4plusIvEEdEEDaPvRmT3_T4_T5_mT6_P12ihipStream_tbENKUlT_T0_E_clISt17integral_constantIbLb0EESW_IbLb1EEEEDaSS_ST_EUlSS_E_NS1_11comp_targetILNS1_3genE10ELNS1_11target_archE1201ELNS1_3gpuE5ELNS1_3repE0EEENS1_30default_config_static_selectorELNS0_4arch9wavefront6targetE1EEEvT1_,"axG",@progbits,_ZN7rocprim17ROCPRIM_400000_NS6detail17trampoline_kernelINS0_14default_configENS1_20scan_config_selectorIdEEZZNS1_9scan_implILNS1_25lookback_scan_determinismE0ELb1ELb1ES3_N6thrust23THRUST_200600_302600_NS6detail15normal_iteratorINS9_10device_ptrIdEEEENS9_16discard_iteratorINS9_11use_defaultEEEdNS9_4plusIvEEdEEDaPvRmT3_T4_T5_mT6_P12ihipStream_tbENKUlT_T0_E_clISt17integral_constantIbLb0EESW_IbLb1EEEEDaSS_ST_EUlSS_E_NS1_11comp_targetILNS1_3genE10ELNS1_11target_archE1201ELNS1_3gpuE5ELNS1_3repE0EEENS1_30default_config_static_selectorELNS0_4arch9wavefront6targetE1EEEvT1_,comdat
.Lfunc_end4993:
	.size	_ZN7rocprim17ROCPRIM_400000_NS6detail17trampoline_kernelINS0_14default_configENS1_20scan_config_selectorIdEEZZNS1_9scan_implILNS1_25lookback_scan_determinismE0ELb1ELb1ES3_N6thrust23THRUST_200600_302600_NS6detail15normal_iteratorINS9_10device_ptrIdEEEENS9_16discard_iteratorINS9_11use_defaultEEEdNS9_4plusIvEEdEEDaPvRmT3_T4_T5_mT6_P12ihipStream_tbENKUlT_T0_E_clISt17integral_constantIbLb0EESW_IbLb1EEEEDaSS_ST_EUlSS_E_NS1_11comp_targetILNS1_3genE10ELNS1_11target_archE1201ELNS1_3gpuE5ELNS1_3repE0EEENS1_30default_config_static_selectorELNS0_4arch9wavefront6targetE1EEEvT1_, .Lfunc_end4993-_ZN7rocprim17ROCPRIM_400000_NS6detail17trampoline_kernelINS0_14default_configENS1_20scan_config_selectorIdEEZZNS1_9scan_implILNS1_25lookback_scan_determinismE0ELb1ELb1ES3_N6thrust23THRUST_200600_302600_NS6detail15normal_iteratorINS9_10device_ptrIdEEEENS9_16discard_iteratorINS9_11use_defaultEEEdNS9_4plusIvEEdEEDaPvRmT3_T4_T5_mT6_P12ihipStream_tbENKUlT_T0_E_clISt17integral_constantIbLb0EESW_IbLb1EEEEDaSS_ST_EUlSS_E_NS1_11comp_targetILNS1_3genE10ELNS1_11target_archE1201ELNS1_3gpuE5ELNS1_3repE0EEENS1_30default_config_static_selectorELNS0_4arch9wavefront6targetE1EEEvT1_
                                        ; -- End function
	.section	.AMDGPU.csdata,"",@progbits
; Kernel info:
; codeLenInByte = 0
; NumSgprs: 4
; NumVgprs: 0
; NumAgprs: 0
; TotalNumVgprs: 0
; ScratchSize: 0
; MemoryBound: 0
; FloatMode: 240
; IeeeMode: 1
; LDSByteSize: 0 bytes/workgroup (compile time only)
; SGPRBlocks: 0
; VGPRBlocks: 0
; NumSGPRsForWavesPerEU: 4
; NumVGPRsForWavesPerEU: 1
; AccumOffset: 4
; Occupancy: 8
; WaveLimiterHint : 0
; COMPUTE_PGM_RSRC2:SCRATCH_EN: 0
; COMPUTE_PGM_RSRC2:USER_SGPR: 6
; COMPUTE_PGM_RSRC2:TRAP_HANDLER: 0
; COMPUTE_PGM_RSRC2:TGID_X_EN: 1
; COMPUTE_PGM_RSRC2:TGID_Y_EN: 0
; COMPUTE_PGM_RSRC2:TGID_Z_EN: 0
; COMPUTE_PGM_RSRC2:TIDIG_COMP_CNT: 0
; COMPUTE_PGM_RSRC3_GFX90A:ACCUM_OFFSET: 0
; COMPUTE_PGM_RSRC3_GFX90A:TG_SPLIT: 0
	.section	.text._ZN7rocprim17ROCPRIM_400000_NS6detail17trampoline_kernelINS0_14default_configENS1_20scan_config_selectorIdEEZZNS1_9scan_implILNS1_25lookback_scan_determinismE0ELb1ELb1ES3_N6thrust23THRUST_200600_302600_NS6detail15normal_iteratorINS9_10device_ptrIdEEEENS9_16discard_iteratorINS9_11use_defaultEEEdNS9_4plusIvEEdEEDaPvRmT3_T4_T5_mT6_P12ihipStream_tbENKUlT_T0_E_clISt17integral_constantIbLb0EESW_IbLb1EEEEDaSS_ST_EUlSS_E_NS1_11comp_targetILNS1_3genE10ELNS1_11target_archE1200ELNS1_3gpuE4ELNS1_3repE0EEENS1_30default_config_static_selectorELNS0_4arch9wavefront6targetE1EEEvT1_,"axG",@progbits,_ZN7rocprim17ROCPRIM_400000_NS6detail17trampoline_kernelINS0_14default_configENS1_20scan_config_selectorIdEEZZNS1_9scan_implILNS1_25lookback_scan_determinismE0ELb1ELb1ES3_N6thrust23THRUST_200600_302600_NS6detail15normal_iteratorINS9_10device_ptrIdEEEENS9_16discard_iteratorINS9_11use_defaultEEEdNS9_4plusIvEEdEEDaPvRmT3_T4_T5_mT6_P12ihipStream_tbENKUlT_T0_E_clISt17integral_constantIbLb0EESW_IbLb1EEEEDaSS_ST_EUlSS_E_NS1_11comp_targetILNS1_3genE10ELNS1_11target_archE1200ELNS1_3gpuE4ELNS1_3repE0EEENS1_30default_config_static_selectorELNS0_4arch9wavefront6targetE1EEEvT1_,comdat
	.protected	_ZN7rocprim17ROCPRIM_400000_NS6detail17trampoline_kernelINS0_14default_configENS1_20scan_config_selectorIdEEZZNS1_9scan_implILNS1_25lookback_scan_determinismE0ELb1ELb1ES3_N6thrust23THRUST_200600_302600_NS6detail15normal_iteratorINS9_10device_ptrIdEEEENS9_16discard_iteratorINS9_11use_defaultEEEdNS9_4plusIvEEdEEDaPvRmT3_T4_T5_mT6_P12ihipStream_tbENKUlT_T0_E_clISt17integral_constantIbLb0EESW_IbLb1EEEEDaSS_ST_EUlSS_E_NS1_11comp_targetILNS1_3genE10ELNS1_11target_archE1200ELNS1_3gpuE4ELNS1_3repE0EEENS1_30default_config_static_selectorELNS0_4arch9wavefront6targetE1EEEvT1_ ; -- Begin function _ZN7rocprim17ROCPRIM_400000_NS6detail17trampoline_kernelINS0_14default_configENS1_20scan_config_selectorIdEEZZNS1_9scan_implILNS1_25lookback_scan_determinismE0ELb1ELb1ES3_N6thrust23THRUST_200600_302600_NS6detail15normal_iteratorINS9_10device_ptrIdEEEENS9_16discard_iteratorINS9_11use_defaultEEEdNS9_4plusIvEEdEEDaPvRmT3_T4_T5_mT6_P12ihipStream_tbENKUlT_T0_E_clISt17integral_constantIbLb0EESW_IbLb1EEEEDaSS_ST_EUlSS_E_NS1_11comp_targetILNS1_3genE10ELNS1_11target_archE1200ELNS1_3gpuE4ELNS1_3repE0EEENS1_30default_config_static_selectorELNS0_4arch9wavefront6targetE1EEEvT1_
	.globl	_ZN7rocprim17ROCPRIM_400000_NS6detail17trampoline_kernelINS0_14default_configENS1_20scan_config_selectorIdEEZZNS1_9scan_implILNS1_25lookback_scan_determinismE0ELb1ELb1ES3_N6thrust23THRUST_200600_302600_NS6detail15normal_iteratorINS9_10device_ptrIdEEEENS9_16discard_iteratorINS9_11use_defaultEEEdNS9_4plusIvEEdEEDaPvRmT3_T4_T5_mT6_P12ihipStream_tbENKUlT_T0_E_clISt17integral_constantIbLb0EESW_IbLb1EEEEDaSS_ST_EUlSS_E_NS1_11comp_targetILNS1_3genE10ELNS1_11target_archE1200ELNS1_3gpuE4ELNS1_3repE0EEENS1_30default_config_static_selectorELNS0_4arch9wavefront6targetE1EEEvT1_
	.p2align	8
	.type	_ZN7rocprim17ROCPRIM_400000_NS6detail17trampoline_kernelINS0_14default_configENS1_20scan_config_selectorIdEEZZNS1_9scan_implILNS1_25lookback_scan_determinismE0ELb1ELb1ES3_N6thrust23THRUST_200600_302600_NS6detail15normal_iteratorINS9_10device_ptrIdEEEENS9_16discard_iteratorINS9_11use_defaultEEEdNS9_4plusIvEEdEEDaPvRmT3_T4_T5_mT6_P12ihipStream_tbENKUlT_T0_E_clISt17integral_constantIbLb0EESW_IbLb1EEEEDaSS_ST_EUlSS_E_NS1_11comp_targetILNS1_3genE10ELNS1_11target_archE1200ELNS1_3gpuE4ELNS1_3repE0EEENS1_30default_config_static_selectorELNS0_4arch9wavefront6targetE1EEEvT1_,@function
_ZN7rocprim17ROCPRIM_400000_NS6detail17trampoline_kernelINS0_14default_configENS1_20scan_config_selectorIdEEZZNS1_9scan_implILNS1_25lookback_scan_determinismE0ELb1ELb1ES3_N6thrust23THRUST_200600_302600_NS6detail15normal_iteratorINS9_10device_ptrIdEEEENS9_16discard_iteratorINS9_11use_defaultEEEdNS9_4plusIvEEdEEDaPvRmT3_T4_T5_mT6_P12ihipStream_tbENKUlT_T0_E_clISt17integral_constantIbLb0EESW_IbLb1EEEEDaSS_ST_EUlSS_E_NS1_11comp_targetILNS1_3genE10ELNS1_11target_archE1200ELNS1_3gpuE4ELNS1_3repE0EEENS1_30default_config_static_selectorELNS0_4arch9wavefront6targetE1EEEvT1_: ; @_ZN7rocprim17ROCPRIM_400000_NS6detail17trampoline_kernelINS0_14default_configENS1_20scan_config_selectorIdEEZZNS1_9scan_implILNS1_25lookback_scan_determinismE0ELb1ELb1ES3_N6thrust23THRUST_200600_302600_NS6detail15normal_iteratorINS9_10device_ptrIdEEEENS9_16discard_iteratorINS9_11use_defaultEEEdNS9_4plusIvEEdEEDaPvRmT3_T4_T5_mT6_P12ihipStream_tbENKUlT_T0_E_clISt17integral_constantIbLb0EESW_IbLb1EEEEDaSS_ST_EUlSS_E_NS1_11comp_targetILNS1_3genE10ELNS1_11target_archE1200ELNS1_3gpuE4ELNS1_3repE0EEENS1_30default_config_static_selectorELNS0_4arch9wavefront6targetE1EEEvT1_
; %bb.0:
	.section	.rodata,"a",@progbits
	.p2align	6, 0x0
	.amdhsa_kernel _ZN7rocprim17ROCPRIM_400000_NS6detail17trampoline_kernelINS0_14default_configENS1_20scan_config_selectorIdEEZZNS1_9scan_implILNS1_25lookback_scan_determinismE0ELb1ELb1ES3_N6thrust23THRUST_200600_302600_NS6detail15normal_iteratorINS9_10device_ptrIdEEEENS9_16discard_iteratorINS9_11use_defaultEEEdNS9_4plusIvEEdEEDaPvRmT3_T4_T5_mT6_P12ihipStream_tbENKUlT_T0_E_clISt17integral_constantIbLb0EESW_IbLb1EEEEDaSS_ST_EUlSS_E_NS1_11comp_targetILNS1_3genE10ELNS1_11target_archE1200ELNS1_3gpuE4ELNS1_3repE0EEENS1_30default_config_static_selectorELNS0_4arch9wavefront6targetE1EEEvT1_
		.amdhsa_group_segment_fixed_size 0
		.amdhsa_private_segment_fixed_size 0
		.amdhsa_kernarg_size 112
		.amdhsa_user_sgpr_count 6
		.amdhsa_user_sgpr_private_segment_buffer 1
		.amdhsa_user_sgpr_dispatch_ptr 0
		.amdhsa_user_sgpr_queue_ptr 0
		.amdhsa_user_sgpr_kernarg_segment_ptr 1
		.amdhsa_user_sgpr_dispatch_id 0
		.amdhsa_user_sgpr_flat_scratch_init 0
		.amdhsa_user_sgpr_kernarg_preload_length 0
		.amdhsa_user_sgpr_kernarg_preload_offset 0
		.amdhsa_user_sgpr_private_segment_size 0
		.amdhsa_uses_dynamic_stack 0
		.amdhsa_system_sgpr_private_segment_wavefront_offset 0
		.amdhsa_system_sgpr_workgroup_id_x 1
		.amdhsa_system_sgpr_workgroup_id_y 0
		.amdhsa_system_sgpr_workgroup_id_z 0
		.amdhsa_system_sgpr_workgroup_info 0
		.amdhsa_system_vgpr_workitem_id 0
		.amdhsa_next_free_vgpr 1
		.amdhsa_next_free_sgpr 0
		.amdhsa_accum_offset 4
		.amdhsa_reserve_vcc 0
		.amdhsa_reserve_flat_scratch 0
		.amdhsa_float_round_mode_32 0
		.amdhsa_float_round_mode_16_64 0
		.amdhsa_float_denorm_mode_32 3
		.amdhsa_float_denorm_mode_16_64 3
		.amdhsa_dx10_clamp 1
		.amdhsa_ieee_mode 1
		.amdhsa_fp16_overflow 0
		.amdhsa_tg_split 0
		.amdhsa_exception_fp_ieee_invalid_op 0
		.amdhsa_exception_fp_denorm_src 0
		.amdhsa_exception_fp_ieee_div_zero 0
		.amdhsa_exception_fp_ieee_overflow 0
		.amdhsa_exception_fp_ieee_underflow 0
		.amdhsa_exception_fp_ieee_inexact 0
		.amdhsa_exception_int_div_zero 0
	.end_amdhsa_kernel
	.section	.text._ZN7rocprim17ROCPRIM_400000_NS6detail17trampoline_kernelINS0_14default_configENS1_20scan_config_selectorIdEEZZNS1_9scan_implILNS1_25lookback_scan_determinismE0ELb1ELb1ES3_N6thrust23THRUST_200600_302600_NS6detail15normal_iteratorINS9_10device_ptrIdEEEENS9_16discard_iteratorINS9_11use_defaultEEEdNS9_4plusIvEEdEEDaPvRmT3_T4_T5_mT6_P12ihipStream_tbENKUlT_T0_E_clISt17integral_constantIbLb0EESW_IbLb1EEEEDaSS_ST_EUlSS_E_NS1_11comp_targetILNS1_3genE10ELNS1_11target_archE1200ELNS1_3gpuE4ELNS1_3repE0EEENS1_30default_config_static_selectorELNS0_4arch9wavefront6targetE1EEEvT1_,"axG",@progbits,_ZN7rocprim17ROCPRIM_400000_NS6detail17trampoline_kernelINS0_14default_configENS1_20scan_config_selectorIdEEZZNS1_9scan_implILNS1_25lookback_scan_determinismE0ELb1ELb1ES3_N6thrust23THRUST_200600_302600_NS6detail15normal_iteratorINS9_10device_ptrIdEEEENS9_16discard_iteratorINS9_11use_defaultEEEdNS9_4plusIvEEdEEDaPvRmT3_T4_T5_mT6_P12ihipStream_tbENKUlT_T0_E_clISt17integral_constantIbLb0EESW_IbLb1EEEEDaSS_ST_EUlSS_E_NS1_11comp_targetILNS1_3genE10ELNS1_11target_archE1200ELNS1_3gpuE4ELNS1_3repE0EEENS1_30default_config_static_selectorELNS0_4arch9wavefront6targetE1EEEvT1_,comdat
.Lfunc_end4994:
	.size	_ZN7rocprim17ROCPRIM_400000_NS6detail17trampoline_kernelINS0_14default_configENS1_20scan_config_selectorIdEEZZNS1_9scan_implILNS1_25lookback_scan_determinismE0ELb1ELb1ES3_N6thrust23THRUST_200600_302600_NS6detail15normal_iteratorINS9_10device_ptrIdEEEENS9_16discard_iteratorINS9_11use_defaultEEEdNS9_4plusIvEEdEEDaPvRmT3_T4_T5_mT6_P12ihipStream_tbENKUlT_T0_E_clISt17integral_constantIbLb0EESW_IbLb1EEEEDaSS_ST_EUlSS_E_NS1_11comp_targetILNS1_3genE10ELNS1_11target_archE1200ELNS1_3gpuE4ELNS1_3repE0EEENS1_30default_config_static_selectorELNS0_4arch9wavefront6targetE1EEEvT1_, .Lfunc_end4994-_ZN7rocprim17ROCPRIM_400000_NS6detail17trampoline_kernelINS0_14default_configENS1_20scan_config_selectorIdEEZZNS1_9scan_implILNS1_25lookback_scan_determinismE0ELb1ELb1ES3_N6thrust23THRUST_200600_302600_NS6detail15normal_iteratorINS9_10device_ptrIdEEEENS9_16discard_iteratorINS9_11use_defaultEEEdNS9_4plusIvEEdEEDaPvRmT3_T4_T5_mT6_P12ihipStream_tbENKUlT_T0_E_clISt17integral_constantIbLb0EESW_IbLb1EEEEDaSS_ST_EUlSS_E_NS1_11comp_targetILNS1_3genE10ELNS1_11target_archE1200ELNS1_3gpuE4ELNS1_3repE0EEENS1_30default_config_static_selectorELNS0_4arch9wavefront6targetE1EEEvT1_
                                        ; -- End function
	.section	.AMDGPU.csdata,"",@progbits
; Kernel info:
; codeLenInByte = 0
; NumSgprs: 4
; NumVgprs: 0
; NumAgprs: 0
; TotalNumVgprs: 0
; ScratchSize: 0
; MemoryBound: 0
; FloatMode: 240
; IeeeMode: 1
; LDSByteSize: 0 bytes/workgroup (compile time only)
; SGPRBlocks: 0
; VGPRBlocks: 0
; NumSGPRsForWavesPerEU: 4
; NumVGPRsForWavesPerEU: 1
; AccumOffset: 4
; Occupancy: 8
; WaveLimiterHint : 0
; COMPUTE_PGM_RSRC2:SCRATCH_EN: 0
; COMPUTE_PGM_RSRC2:USER_SGPR: 6
; COMPUTE_PGM_RSRC2:TRAP_HANDLER: 0
; COMPUTE_PGM_RSRC2:TGID_X_EN: 1
; COMPUTE_PGM_RSRC2:TGID_Y_EN: 0
; COMPUTE_PGM_RSRC2:TGID_Z_EN: 0
; COMPUTE_PGM_RSRC2:TIDIG_COMP_CNT: 0
; COMPUTE_PGM_RSRC3_GFX90A:ACCUM_OFFSET: 0
; COMPUTE_PGM_RSRC3_GFX90A:TG_SPLIT: 0
	.section	.text._ZN7rocprim17ROCPRIM_400000_NS6detail17trampoline_kernelINS0_14default_configENS1_20scan_config_selectorIdEEZZNS1_9scan_implILNS1_25lookback_scan_determinismE0ELb1ELb1ES3_N6thrust23THRUST_200600_302600_NS6detail15normal_iteratorINS9_10device_ptrIdEEEENS9_16discard_iteratorINS9_11use_defaultEEEdNS9_4plusIvEEdEEDaPvRmT3_T4_T5_mT6_P12ihipStream_tbENKUlT_T0_E_clISt17integral_constantIbLb0EESW_IbLb1EEEEDaSS_ST_EUlSS_E_NS1_11comp_targetILNS1_3genE9ELNS1_11target_archE1100ELNS1_3gpuE3ELNS1_3repE0EEENS1_30default_config_static_selectorELNS0_4arch9wavefront6targetE1EEEvT1_,"axG",@progbits,_ZN7rocprim17ROCPRIM_400000_NS6detail17trampoline_kernelINS0_14default_configENS1_20scan_config_selectorIdEEZZNS1_9scan_implILNS1_25lookback_scan_determinismE0ELb1ELb1ES3_N6thrust23THRUST_200600_302600_NS6detail15normal_iteratorINS9_10device_ptrIdEEEENS9_16discard_iteratorINS9_11use_defaultEEEdNS9_4plusIvEEdEEDaPvRmT3_T4_T5_mT6_P12ihipStream_tbENKUlT_T0_E_clISt17integral_constantIbLb0EESW_IbLb1EEEEDaSS_ST_EUlSS_E_NS1_11comp_targetILNS1_3genE9ELNS1_11target_archE1100ELNS1_3gpuE3ELNS1_3repE0EEENS1_30default_config_static_selectorELNS0_4arch9wavefront6targetE1EEEvT1_,comdat
	.protected	_ZN7rocprim17ROCPRIM_400000_NS6detail17trampoline_kernelINS0_14default_configENS1_20scan_config_selectorIdEEZZNS1_9scan_implILNS1_25lookback_scan_determinismE0ELb1ELb1ES3_N6thrust23THRUST_200600_302600_NS6detail15normal_iteratorINS9_10device_ptrIdEEEENS9_16discard_iteratorINS9_11use_defaultEEEdNS9_4plusIvEEdEEDaPvRmT3_T4_T5_mT6_P12ihipStream_tbENKUlT_T0_E_clISt17integral_constantIbLb0EESW_IbLb1EEEEDaSS_ST_EUlSS_E_NS1_11comp_targetILNS1_3genE9ELNS1_11target_archE1100ELNS1_3gpuE3ELNS1_3repE0EEENS1_30default_config_static_selectorELNS0_4arch9wavefront6targetE1EEEvT1_ ; -- Begin function _ZN7rocprim17ROCPRIM_400000_NS6detail17trampoline_kernelINS0_14default_configENS1_20scan_config_selectorIdEEZZNS1_9scan_implILNS1_25lookback_scan_determinismE0ELb1ELb1ES3_N6thrust23THRUST_200600_302600_NS6detail15normal_iteratorINS9_10device_ptrIdEEEENS9_16discard_iteratorINS9_11use_defaultEEEdNS9_4plusIvEEdEEDaPvRmT3_T4_T5_mT6_P12ihipStream_tbENKUlT_T0_E_clISt17integral_constantIbLb0EESW_IbLb1EEEEDaSS_ST_EUlSS_E_NS1_11comp_targetILNS1_3genE9ELNS1_11target_archE1100ELNS1_3gpuE3ELNS1_3repE0EEENS1_30default_config_static_selectorELNS0_4arch9wavefront6targetE1EEEvT1_
	.globl	_ZN7rocprim17ROCPRIM_400000_NS6detail17trampoline_kernelINS0_14default_configENS1_20scan_config_selectorIdEEZZNS1_9scan_implILNS1_25lookback_scan_determinismE0ELb1ELb1ES3_N6thrust23THRUST_200600_302600_NS6detail15normal_iteratorINS9_10device_ptrIdEEEENS9_16discard_iteratorINS9_11use_defaultEEEdNS9_4plusIvEEdEEDaPvRmT3_T4_T5_mT6_P12ihipStream_tbENKUlT_T0_E_clISt17integral_constantIbLb0EESW_IbLb1EEEEDaSS_ST_EUlSS_E_NS1_11comp_targetILNS1_3genE9ELNS1_11target_archE1100ELNS1_3gpuE3ELNS1_3repE0EEENS1_30default_config_static_selectorELNS0_4arch9wavefront6targetE1EEEvT1_
	.p2align	8
	.type	_ZN7rocprim17ROCPRIM_400000_NS6detail17trampoline_kernelINS0_14default_configENS1_20scan_config_selectorIdEEZZNS1_9scan_implILNS1_25lookback_scan_determinismE0ELb1ELb1ES3_N6thrust23THRUST_200600_302600_NS6detail15normal_iteratorINS9_10device_ptrIdEEEENS9_16discard_iteratorINS9_11use_defaultEEEdNS9_4plusIvEEdEEDaPvRmT3_T4_T5_mT6_P12ihipStream_tbENKUlT_T0_E_clISt17integral_constantIbLb0EESW_IbLb1EEEEDaSS_ST_EUlSS_E_NS1_11comp_targetILNS1_3genE9ELNS1_11target_archE1100ELNS1_3gpuE3ELNS1_3repE0EEENS1_30default_config_static_selectorELNS0_4arch9wavefront6targetE1EEEvT1_,@function
_ZN7rocprim17ROCPRIM_400000_NS6detail17trampoline_kernelINS0_14default_configENS1_20scan_config_selectorIdEEZZNS1_9scan_implILNS1_25lookback_scan_determinismE0ELb1ELb1ES3_N6thrust23THRUST_200600_302600_NS6detail15normal_iteratorINS9_10device_ptrIdEEEENS9_16discard_iteratorINS9_11use_defaultEEEdNS9_4plusIvEEdEEDaPvRmT3_T4_T5_mT6_P12ihipStream_tbENKUlT_T0_E_clISt17integral_constantIbLb0EESW_IbLb1EEEEDaSS_ST_EUlSS_E_NS1_11comp_targetILNS1_3genE9ELNS1_11target_archE1100ELNS1_3gpuE3ELNS1_3repE0EEENS1_30default_config_static_selectorELNS0_4arch9wavefront6targetE1EEEvT1_: ; @_ZN7rocprim17ROCPRIM_400000_NS6detail17trampoline_kernelINS0_14default_configENS1_20scan_config_selectorIdEEZZNS1_9scan_implILNS1_25lookback_scan_determinismE0ELb1ELb1ES3_N6thrust23THRUST_200600_302600_NS6detail15normal_iteratorINS9_10device_ptrIdEEEENS9_16discard_iteratorINS9_11use_defaultEEEdNS9_4plusIvEEdEEDaPvRmT3_T4_T5_mT6_P12ihipStream_tbENKUlT_T0_E_clISt17integral_constantIbLb0EESW_IbLb1EEEEDaSS_ST_EUlSS_E_NS1_11comp_targetILNS1_3genE9ELNS1_11target_archE1100ELNS1_3gpuE3ELNS1_3repE0EEENS1_30default_config_static_selectorELNS0_4arch9wavefront6targetE1EEEvT1_
; %bb.0:
	.section	.rodata,"a",@progbits
	.p2align	6, 0x0
	.amdhsa_kernel _ZN7rocprim17ROCPRIM_400000_NS6detail17trampoline_kernelINS0_14default_configENS1_20scan_config_selectorIdEEZZNS1_9scan_implILNS1_25lookback_scan_determinismE0ELb1ELb1ES3_N6thrust23THRUST_200600_302600_NS6detail15normal_iteratorINS9_10device_ptrIdEEEENS9_16discard_iteratorINS9_11use_defaultEEEdNS9_4plusIvEEdEEDaPvRmT3_T4_T5_mT6_P12ihipStream_tbENKUlT_T0_E_clISt17integral_constantIbLb0EESW_IbLb1EEEEDaSS_ST_EUlSS_E_NS1_11comp_targetILNS1_3genE9ELNS1_11target_archE1100ELNS1_3gpuE3ELNS1_3repE0EEENS1_30default_config_static_selectorELNS0_4arch9wavefront6targetE1EEEvT1_
		.amdhsa_group_segment_fixed_size 0
		.amdhsa_private_segment_fixed_size 0
		.amdhsa_kernarg_size 112
		.amdhsa_user_sgpr_count 6
		.amdhsa_user_sgpr_private_segment_buffer 1
		.amdhsa_user_sgpr_dispatch_ptr 0
		.amdhsa_user_sgpr_queue_ptr 0
		.amdhsa_user_sgpr_kernarg_segment_ptr 1
		.amdhsa_user_sgpr_dispatch_id 0
		.amdhsa_user_sgpr_flat_scratch_init 0
		.amdhsa_user_sgpr_kernarg_preload_length 0
		.amdhsa_user_sgpr_kernarg_preload_offset 0
		.amdhsa_user_sgpr_private_segment_size 0
		.amdhsa_uses_dynamic_stack 0
		.amdhsa_system_sgpr_private_segment_wavefront_offset 0
		.amdhsa_system_sgpr_workgroup_id_x 1
		.amdhsa_system_sgpr_workgroup_id_y 0
		.amdhsa_system_sgpr_workgroup_id_z 0
		.amdhsa_system_sgpr_workgroup_info 0
		.amdhsa_system_vgpr_workitem_id 0
		.amdhsa_next_free_vgpr 1
		.amdhsa_next_free_sgpr 0
		.amdhsa_accum_offset 4
		.amdhsa_reserve_vcc 0
		.amdhsa_reserve_flat_scratch 0
		.amdhsa_float_round_mode_32 0
		.amdhsa_float_round_mode_16_64 0
		.amdhsa_float_denorm_mode_32 3
		.amdhsa_float_denorm_mode_16_64 3
		.amdhsa_dx10_clamp 1
		.amdhsa_ieee_mode 1
		.amdhsa_fp16_overflow 0
		.amdhsa_tg_split 0
		.amdhsa_exception_fp_ieee_invalid_op 0
		.amdhsa_exception_fp_denorm_src 0
		.amdhsa_exception_fp_ieee_div_zero 0
		.amdhsa_exception_fp_ieee_overflow 0
		.amdhsa_exception_fp_ieee_underflow 0
		.amdhsa_exception_fp_ieee_inexact 0
		.amdhsa_exception_int_div_zero 0
	.end_amdhsa_kernel
	.section	.text._ZN7rocprim17ROCPRIM_400000_NS6detail17trampoline_kernelINS0_14default_configENS1_20scan_config_selectorIdEEZZNS1_9scan_implILNS1_25lookback_scan_determinismE0ELb1ELb1ES3_N6thrust23THRUST_200600_302600_NS6detail15normal_iteratorINS9_10device_ptrIdEEEENS9_16discard_iteratorINS9_11use_defaultEEEdNS9_4plusIvEEdEEDaPvRmT3_T4_T5_mT6_P12ihipStream_tbENKUlT_T0_E_clISt17integral_constantIbLb0EESW_IbLb1EEEEDaSS_ST_EUlSS_E_NS1_11comp_targetILNS1_3genE9ELNS1_11target_archE1100ELNS1_3gpuE3ELNS1_3repE0EEENS1_30default_config_static_selectorELNS0_4arch9wavefront6targetE1EEEvT1_,"axG",@progbits,_ZN7rocprim17ROCPRIM_400000_NS6detail17trampoline_kernelINS0_14default_configENS1_20scan_config_selectorIdEEZZNS1_9scan_implILNS1_25lookback_scan_determinismE0ELb1ELb1ES3_N6thrust23THRUST_200600_302600_NS6detail15normal_iteratorINS9_10device_ptrIdEEEENS9_16discard_iteratorINS9_11use_defaultEEEdNS9_4plusIvEEdEEDaPvRmT3_T4_T5_mT6_P12ihipStream_tbENKUlT_T0_E_clISt17integral_constantIbLb0EESW_IbLb1EEEEDaSS_ST_EUlSS_E_NS1_11comp_targetILNS1_3genE9ELNS1_11target_archE1100ELNS1_3gpuE3ELNS1_3repE0EEENS1_30default_config_static_selectorELNS0_4arch9wavefront6targetE1EEEvT1_,comdat
.Lfunc_end4995:
	.size	_ZN7rocprim17ROCPRIM_400000_NS6detail17trampoline_kernelINS0_14default_configENS1_20scan_config_selectorIdEEZZNS1_9scan_implILNS1_25lookback_scan_determinismE0ELb1ELb1ES3_N6thrust23THRUST_200600_302600_NS6detail15normal_iteratorINS9_10device_ptrIdEEEENS9_16discard_iteratorINS9_11use_defaultEEEdNS9_4plusIvEEdEEDaPvRmT3_T4_T5_mT6_P12ihipStream_tbENKUlT_T0_E_clISt17integral_constantIbLb0EESW_IbLb1EEEEDaSS_ST_EUlSS_E_NS1_11comp_targetILNS1_3genE9ELNS1_11target_archE1100ELNS1_3gpuE3ELNS1_3repE0EEENS1_30default_config_static_selectorELNS0_4arch9wavefront6targetE1EEEvT1_, .Lfunc_end4995-_ZN7rocprim17ROCPRIM_400000_NS6detail17trampoline_kernelINS0_14default_configENS1_20scan_config_selectorIdEEZZNS1_9scan_implILNS1_25lookback_scan_determinismE0ELb1ELb1ES3_N6thrust23THRUST_200600_302600_NS6detail15normal_iteratorINS9_10device_ptrIdEEEENS9_16discard_iteratorINS9_11use_defaultEEEdNS9_4plusIvEEdEEDaPvRmT3_T4_T5_mT6_P12ihipStream_tbENKUlT_T0_E_clISt17integral_constantIbLb0EESW_IbLb1EEEEDaSS_ST_EUlSS_E_NS1_11comp_targetILNS1_3genE9ELNS1_11target_archE1100ELNS1_3gpuE3ELNS1_3repE0EEENS1_30default_config_static_selectorELNS0_4arch9wavefront6targetE1EEEvT1_
                                        ; -- End function
	.section	.AMDGPU.csdata,"",@progbits
; Kernel info:
; codeLenInByte = 0
; NumSgprs: 4
; NumVgprs: 0
; NumAgprs: 0
; TotalNumVgprs: 0
; ScratchSize: 0
; MemoryBound: 0
; FloatMode: 240
; IeeeMode: 1
; LDSByteSize: 0 bytes/workgroup (compile time only)
; SGPRBlocks: 0
; VGPRBlocks: 0
; NumSGPRsForWavesPerEU: 4
; NumVGPRsForWavesPerEU: 1
; AccumOffset: 4
; Occupancy: 8
; WaveLimiterHint : 0
; COMPUTE_PGM_RSRC2:SCRATCH_EN: 0
; COMPUTE_PGM_RSRC2:USER_SGPR: 6
; COMPUTE_PGM_RSRC2:TRAP_HANDLER: 0
; COMPUTE_PGM_RSRC2:TGID_X_EN: 1
; COMPUTE_PGM_RSRC2:TGID_Y_EN: 0
; COMPUTE_PGM_RSRC2:TGID_Z_EN: 0
; COMPUTE_PGM_RSRC2:TIDIG_COMP_CNT: 0
; COMPUTE_PGM_RSRC3_GFX90A:ACCUM_OFFSET: 0
; COMPUTE_PGM_RSRC3_GFX90A:TG_SPLIT: 0
	.section	.text._ZN7rocprim17ROCPRIM_400000_NS6detail17trampoline_kernelINS0_14default_configENS1_20scan_config_selectorIdEEZZNS1_9scan_implILNS1_25lookback_scan_determinismE0ELb1ELb1ES3_N6thrust23THRUST_200600_302600_NS6detail15normal_iteratorINS9_10device_ptrIdEEEENS9_16discard_iteratorINS9_11use_defaultEEEdNS9_4plusIvEEdEEDaPvRmT3_T4_T5_mT6_P12ihipStream_tbENKUlT_T0_E_clISt17integral_constantIbLb0EESW_IbLb1EEEEDaSS_ST_EUlSS_E_NS1_11comp_targetILNS1_3genE8ELNS1_11target_archE1030ELNS1_3gpuE2ELNS1_3repE0EEENS1_30default_config_static_selectorELNS0_4arch9wavefront6targetE1EEEvT1_,"axG",@progbits,_ZN7rocprim17ROCPRIM_400000_NS6detail17trampoline_kernelINS0_14default_configENS1_20scan_config_selectorIdEEZZNS1_9scan_implILNS1_25lookback_scan_determinismE0ELb1ELb1ES3_N6thrust23THRUST_200600_302600_NS6detail15normal_iteratorINS9_10device_ptrIdEEEENS9_16discard_iteratorINS9_11use_defaultEEEdNS9_4plusIvEEdEEDaPvRmT3_T4_T5_mT6_P12ihipStream_tbENKUlT_T0_E_clISt17integral_constantIbLb0EESW_IbLb1EEEEDaSS_ST_EUlSS_E_NS1_11comp_targetILNS1_3genE8ELNS1_11target_archE1030ELNS1_3gpuE2ELNS1_3repE0EEENS1_30default_config_static_selectorELNS0_4arch9wavefront6targetE1EEEvT1_,comdat
	.protected	_ZN7rocprim17ROCPRIM_400000_NS6detail17trampoline_kernelINS0_14default_configENS1_20scan_config_selectorIdEEZZNS1_9scan_implILNS1_25lookback_scan_determinismE0ELb1ELb1ES3_N6thrust23THRUST_200600_302600_NS6detail15normal_iteratorINS9_10device_ptrIdEEEENS9_16discard_iteratorINS9_11use_defaultEEEdNS9_4plusIvEEdEEDaPvRmT3_T4_T5_mT6_P12ihipStream_tbENKUlT_T0_E_clISt17integral_constantIbLb0EESW_IbLb1EEEEDaSS_ST_EUlSS_E_NS1_11comp_targetILNS1_3genE8ELNS1_11target_archE1030ELNS1_3gpuE2ELNS1_3repE0EEENS1_30default_config_static_selectorELNS0_4arch9wavefront6targetE1EEEvT1_ ; -- Begin function _ZN7rocprim17ROCPRIM_400000_NS6detail17trampoline_kernelINS0_14default_configENS1_20scan_config_selectorIdEEZZNS1_9scan_implILNS1_25lookback_scan_determinismE0ELb1ELb1ES3_N6thrust23THRUST_200600_302600_NS6detail15normal_iteratorINS9_10device_ptrIdEEEENS9_16discard_iteratorINS9_11use_defaultEEEdNS9_4plusIvEEdEEDaPvRmT3_T4_T5_mT6_P12ihipStream_tbENKUlT_T0_E_clISt17integral_constantIbLb0EESW_IbLb1EEEEDaSS_ST_EUlSS_E_NS1_11comp_targetILNS1_3genE8ELNS1_11target_archE1030ELNS1_3gpuE2ELNS1_3repE0EEENS1_30default_config_static_selectorELNS0_4arch9wavefront6targetE1EEEvT1_
	.globl	_ZN7rocprim17ROCPRIM_400000_NS6detail17trampoline_kernelINS0_14default_configENS1_20scan_config_selectorIdEEZZNS1_9scan_implILNS1_25lookback_scan_determinismE0ELb1ELb1ES3_N6thrust23THRUST_200600_302600_NS6detail15normal_iteratorINS9_10device_ptrIdEEEENS9_16discard_iteratorINS9_11use_defaultEEEdNS9_4plusIvEEdEEDaPvRmT3_T4_T5_mT6_P12ihipStream_tbENKUlT_T0_E_clISt17integral_constantIbLb0EESW_IbLb1EEEEDaSS_ST_EUlSS_E_NS1_11comp_targetILNS1_3genE8ELNS1_11target_archE1030ELNS1_3gpuE2ELNS1_3repE0EEENS1_30default_config_static_selectorELNS0_4arch9wavefront6targetE1EEEvT1_
	.p2align	8
	.type	_ZN7rocprim17ROCPRIM_400000_NS6detail17trampoline_kernelINS0_14default_configENS1_20scan_config_selectorIdEEZZNS1_9scan_implILNS1_25lookback_scan_determinismE0ELb1ELb1ES3_N6thrust23THRUST_200600_302600_NS6detail15normal_iteratorINS9_10device_ptrIdEEEENS9_16discard_iteratorINS9_11use_defaultEEEdNS9_4plusIvEEdEEDaPvRmT3_T4_T5_mT6_P12ihipStream_tbENKUlT_T0_E_clISt17integral_constantIbLb0EESW_IbLb1EEEEDaSS_ST_EUlSS_E_NS1_11comp_targetILNS1_3genE8ELNS1_11target_archE1030ELNS1_3gpuE2ELNS1_3repE0EEENS1_30default_config_static_selectorELNS0_4arch9wavefront6targetE1EEEvT1_,@function
_ZN7rocprim17ROCPRIM_400000_NS6detail17trampoline_kernelINS0_14default_configENS1_20scan_config_selectorIdEEZZNS1_9scan_implILNS1_25lookback_scan_determinismE0ELb1ELb1ES3_N6thrust23THRUST_200600_302600_NS6detail15normal_iteratorINS9_10device_ptrIdEEEENS9_16discard_iteratorINS9_11use_defaultEEEdNS9_4plusIvEEdEEDaPvRmT3_T4_T5_mT6_P12ihipStream_tbENKUlT_T0_E_clISt17integral_constantIbLb0EESW_IbLb1EEEEDaSS_ST_EUlSS_E_NS1_11comp_targetILNS1_3genE8ELNS1_11target_archE1030ELNS1_3gpuE2ELNS1_3repE0EEENS1_30default_config_static_selectorELNS0_4arch9wavefront6targetE1EEEvT1_: ; @_ZN7rocprim17ROCPRIM_400000_NS6detail17trampoline_kernelINS0_14default_configENS1_20scan_config_selectorIdEEZZNS1_9scan_implILNS1_25lookback_scan_determinismE0ELb1ELb1ES3_N6thrust23THRUST_200600_302600_NS6detail15normal_iteratorINS9_10device_ptrIdEEEENS9_16discard_iteratorINS9_11use_defaultEEEdNS9_4plusIvEEdEEDaPvRmT3_T4_T5_mT6_P12ihipStream_tbENKUlT_T0_E_clISt17integral_constantIbLb0EESW_IbLb1EEEEDaSS_ST_EUlSS_E_NS1_11comp_targetILNS1_3genE8ELNS1_11target_archE1030ELNS1_3gpuE2ELNS1_3repE0EEENS1_30default_config_static_selectorELNS0_4arch9wavefront6targetE1EEEvT1_
; %bb.0:
	.section	.rodata,"a",@progbits
	.p2align	6, 0x0
	.amdhsa_kernel _ZN7rocprim17ROCPRIM_400000_NS6detail17trampoline_kernelINS0_14default_configENS1_20scan_config_selectorIdEEZZNS1_9scan_implILNS1_25lookback_scan_determinismE0ELb1ELb1ES3_N6thrust23THRUST_200600_302600_NS6detail15normal_iteratorINS9_10device_ptrIdEEEENS9_16discard_iteratorINS9_11use_defaultEEEdNS9_4plusIvEEdEEDaPvRmT3_T4_T5_mT6_P12ihipStream_tbENKUlT_T0_E_clISt17integral_constantIbLb0EESW_IbLb1EEEEDaSS_ST_EUlSS_E_NS1_11comp_targetILNS1_3genE8ELNS1_11target_archE1030ELNS1_3gpuE2ELNS1_3repE0EEENS1_30default_config_static_selectorELNS0_4arch9wavefront6targetE1EEEvT1_
		.amdhsa_group_segment_fixed_size 0
		.amdhsa_private_segment_fixed_size 0
		.amdhsa_kernarg_size 112
		.amdhsa_user_sgpr_count 6
		.amdhsa_user_sgpr_private_segment_buffer 1
		.amdhsa_user_sgpr_dispatch_ptr 0
		.amdhsa_user_sgpr_queue_ptr 0
		.amdhsa_user_sgpr_kernarg_segment_ptr 1
		.amdhsa_user_sgpr_dispatch_id 0
		.amdhsa_user_sgpr_flat_scratch_init 0
		.amdhsa_user_sgpr_kernarg_preload_length 0
		.amdhsa_user_sgpr_kernarg_preload_offset 0
		.amdhsa_user_sgpr_private_segment_size 0
		.amdhsa_uses_dynamic_stack 0
		.amdhsa_system_sgpr_private_segment_wavefront_offset 0
		.amdhsa_system_sgpr_workgroup_id_x 1
		.amdhsa_system_sgpr_workgroup_id_y 0
		.amdhsa_system_sgpr_workgroup_id_z 0
		.amdhsa_system_sgpr_workgroup_info 0
		.amdhsa_system_vgpr_workitem_id 0
		.amdhsa_next_free_vgpr 1
		.amdhsa_next_free_sgpr 0
		.amdhsa_accum_offset 4
		.amdhsa_reserve_vcc 0
		.amdhsa_reserve_flat_scratch 0
		.amdhsa_float_round_mode_32 0
		.amdhsa_float_round_mode_16_64 0
		.amdhsa_float_denorm_mode_32 3
		.amdhsa_float_denorm_mode_16_64 3
		.amdhsa_dx10_clamp 1
		.amdhsa_ieee_mode 1
		.amdhsa_fp16_overflow 0
		.amdhsa_tg_split 0
		.amdhsa_exception_fp_ieee_invalid_op 0
		.amdhsa_exception_fp_denorm_src 0
		.amdhsa_exception_fp_ieee_div_zero 0
		.amdhsa_exception_fp_ieee_overflow 0
		.amdhsa_exception_fp_ieee_underflow 0
		.amdhsa_exception_fp_ieee_inexact 0
		.amdhsa_exception_int_div_zero 0
	.end_amdhsa_kernel
	.section	.text._ZN7rocprim17ROCPRIM_400000_NS6detail17trampoline_kernelINS0_14default_configENS1_20scan_config_selectorIdEEZZNS1_9scan_implILNS1_25lookback_scan_determinismE0ELb1ELb1ES3_N6thrust23THRUST_200600_302600_NS6detail15normal_iteratorINS9_10device_ptrIdEEEENS9_16discard_iteratorINS9_11use_defaultEEEdNS9_4plusIvEEdEEDaPvRmT3_T4_T5_mT6_P12ihipStream_tbENKUlT_T0_E_clISt17integral_constantIbLb0EESW_IbLb1EEEEDaSS_ST_EUlSS_E_NS1_11comp_targetILNS1_3genE8ELNS1_11target_archE1030ELNS1_3gpuE2ELNS1_3repE0EEENS1_30default_config_static_selectorELNS0_4arch9wavefront6targetE1EEEvT1_,"axG",@progbits,_ZN7rocprim17ROCPRIM_400000_NS6detail17trampoline_kernelINS0_14default_configENS1_20scan_config_selectorIdEEZZNS1_9scan_implILNS1_25lookback_scan_determinismE0ELb1ELb1ES3_N6thrust23THRUST_200600_302600_NS6detail15normal_iteratorINS9_10device_ptrIdEEEENS9_16discard_iteratorINS9_11use_defaultEEEdNS9_4plusIvEEdEEDaPvRmT3_T4_T5_mT6_P12ihipStream_tbENKUlT_T0_E_clISt17integral_constantIbLb0EESW_IbLb1EEEEDaSS_ST_EUlSS_E_NS1_11comp_targetILNS1_3genE8ELNS1_11target_archE1030ELNS1_3gpuE2ELNS1_3repE0EEENS1_30default_config_static_selectorELNS0_4arch9wavefront6targetE1EEEvT1_,comdat
.Lfunc_end4996:
	.size	_ZN7rocprim17ROCPRIM_400000_NS6detail17trampoline_kernelINS0_14default_configENS1_20scan_config_selectorIdEEZZNS1_9scan_implILNS1_25lookback_scan_determinismE0ELb1ELb1ES3_N6thrust23THRUST_200600_302600_NS6detail15normal_iteratorINS9_10device_ptrIdEEEENS9_16discard_iteratorINS9_11use_defaultEEEdNS9_4plusIvEEdEEDaPvRmT3_T4_T5_mT6_P12ihipStream_tbENKUlT_T0_E_clISt17integral_constantIbLb0EESW_IbLb1EEEEDaSS_ST_EUlSS_E_NS1_11comp_targetILNS1_3genE8ELNS1_11target_archE1030ELNS1_3gpuE2ELNS1_3repE0EEENS1_30default_config_static_selectorELNS0_4arch9wavefront6targetE1EEEvT1_, .Lfunc_end4996-_ZN7rocprim17ROCPRIM_400000_NS6detail17trampoline_kernelINS0_14default_configENS1_20scan_config_selectorIdEEZZNS1_9scan_implILNS1_25lookback_scan_determinismE0ELb1ELb1ES3_N6thrust23THRUST_200600_302600_NS6detail15normal_iteratorINS9_10device_ptrIdEEEENS9_16discard_iteratorINS9_11use_defaultEEEdNS9_4plusIvEEdEEDaPvRmT3_T4_T5_mT6_P12ihipStream_tbENKUlT_T0_E_clISt17integral_constantIbLb0EESW_IbLb1EEEEDaSS_ST_EUlSS_E_NS1_11comp_targetILNS1_3genE8ELNS1_11target_archE1030ELNS1_3gpuE2ELNS1_3repE0EEENS1_30default_config_static_selectorELNS0_4arch9wavefront6targetE1EEEvT1_
                                        ; -- End function
	.section	.AMDGPU.csdata,"",@progbits
; Kernel info:
; codeLenInByte = 0
; NumSgprs: 4
; NumVgprs: 0
; NumAgprs: 0
; TotalNumVgprs: 0
; ScratchSize: 0
; MemoryBound: 0
; FloatMode: 240
; IeeeMode: 1
; LDSByteSize: 0 bytes/workgroup (compile time only)
; SGPRBlocks: 0
; VGPRBlocks: 0
; NumSGPRsForWavesPerEU: 4
; NumVGPRsForWavesPerEU: 1
; AccumOffset: 4
; Occupancy: 8
; WaveLimiterHint : 0
; COMPUTE_PGM_RSRC2:SCRATCH_EN: 0
; COMPUTE_PGM_RSRC2:USER_SGPR: 6
; COMPUTE_PGM_RSRC2:TRAP_HANDLER: 0
; COMPUTE_PGM_RSRC2:TGID_X_EN: 1
; COMPUTE_PGM_RSRC2:TGID_Y_EN: 0
; COMPUTE_PGM_RSRC2:TGID_Z_EN: 0
; COMPUTE_PGM_RSRC2:TIDIG_COMP_CNT: 0
; COMPUTE_PGM_RSRC3_GFX90A:ACCUM_OFFSET: 0
; COMPUTE_PGM_RSRC3_GFX90A:TG_SPLIT: 0
	.section	.text._ZN7rocprim17ROCPRIM_400000_NS6detail17trampoline_kernelINS0_14default_configENS1_20scan_config_selectorIdEEZZNS1_9scan_implILNS1_25lookback_scan_determinismE0ELb1ELb1ES3_N6thrust23THRUST_200600_302600_NS6detail15normal_iteratorINS9_10device_ptrIdEEEENS9_16discard_iteratorINS9_11use_defaultEEEdNS9_4plusIvEEdEEDaPvRmT3_T4_T5_mT6_P12ihipStream_tbENKUlT_T0_E_clISt17integral_constantIbLb0EESW_IbLb1EEEEDaSS_ST_EUlSS_E0_NS1_11comp_targetILNS1_3genE0ELNS1_11target_archE4294967295ELNS1_3gpuE0ELNS1_3repE0EEENS1_30default_config_static_selectorELNS0_4arch9wavefront6targetE1EEEvT1_,"axG",@progbits,_ZN7rocprim17ROCPRIM_400000_NS6detail17trampoline_kernelINS0_14default_configENS1_20scan_config_selectorIdEEZZNS1_9scan_implILNS1_25lookback_scan_determinismE0ELb1ELb1ES3_N6thrust23THRUST_200600_302600_NS6detail15normal_iteratorINS9_10device_ptrIdEEEENS9_16discard_iteratorINS9_11use_defaultEEEdNS9_4plusIvEEdEEDaPvRmT3_T4_T5_mT6_P12ihipStream_tbENKUlT_T0_E_clISt17integral_constantIbLb0EESW_IbLb1EEEEDaSS_ST_EUlSS_E0_NS1_11comp_targetILNS1_3genE0ELNS1_11target_archE4294967295ELNS1_3gpuE0ELNS1_3repE0EEENS1_30default_config_static_selectorELNS0_4arch9wavefront6targetE1EEEvT1_,comdat
	.protected	_ZN7rocprim17ROCPRIM_400000_NS6detail17trampoline_kernelINS0_14default_configENS1_20scan_config_selectorIdEEZZNS1_9scan_implILNS1_25lookback_scan_determinismE0ELb1ELb1ES3_N6thrust23THRUST_200600_302600_NS6detail15normal_iteratorINS9_10device_ptrIdEEEENS9_16discard_iteratorINS9_11use_defaultEEEdNS9_4plusIvEEdEEDaPvRmT3_T4_T5_mT6_P12ihipStream_tbENKUlT_T0_E_clISt17integral_constantIbLb0EESW_IbLb1EEEEDaSS_ST_EUlSS_E0_NS1_11comp_targetILNS1_3genE0ELNS1_11target_archE4294967295ELNS1_3gpuE0ELNS1_3repE0EEENS1_30default_config_static_selectorELNS0_4arch9wavefront6targetE1EEEvT1_ ; -- Begin function _ZN7rocprim17ROCPRIM_400000_NS6detail17trampoline_kernelINS0_14default_configENS1_20scan_config_selectorIdEEZZNS1_9scan_implILNS1_25lookback_scan_determinismE0ELb1ELb1ES3_N6thrust23THRUST_200600_302600_NS6detail15normal_iteratorINS9_10device_ptrIdEEEENS9_16discard_iteratorINS9_11use_defaultEEEdNS9_4plusIvEEdEEDaPvRmT3_T4_T5_mT6_P12ihipStream_tbENKUlT_T0_E_clISt17integral_constantIbLb0EESW_IbLb1EEEEDaSS_ST_EUlSS_E0_NS1_11comp_targetILNS1_3genE0ELNS1_11target_archE4294967295ELNS1_3gpuE0ELNS1_3repE0EEENS1_30default_config_static_selectorELNS0_4arch9wavefront6targetE1EEEvT1_
	.globl	_ZN7rocprim17ROCPRIM_400000_NS6detail17trampoline_kernelINS0_14default_configENS1_20scan_config_selectorIdEEZZNS1_9scan_implILNS1_25lookback_scan_determinismE0ELb1ELb1ES3_N6thrust23THRUST_200600_302600_NS6detail15normal_iteratorINS9_10device_ptrIdEEEENS9_16discard_iteratorINS9_11use_defaultEEEdNS9_4plusIvEEdEEDaPvRmT3_T4_T5_mT6_P12ihipStream_tbENKUlT_T0_E_clISt17integral_constantIbLb0EESW_IbLb1EEEEDaSS_ST_EUlSS_E0_NS1_11comp_targetILNS1_3genE0ELNS1_11target_archE4294967295ELNS1_3gpuE0ELNS1_3repE0EEENS1_30default_config_static_selectorELNS0_4arch9wavefront6targetE1EEEvT1_
	.p2align	8
	.type	_ZN7rocprim17ROCPRIM_400000_NS6detail17trampoline_kernelINS0_14default_configENS1_20scan_config_selectorIdEEZZNS1_9scan_implILNS1_25lookback_scan_determinismE0ELb1ELb1ES3_N6thrust23THRUST_200600_302600_NS6detail15normal_iteratorINS9_10device_ptrIdEEEENS9_16discard_iteratorINS9_11use_defaultEEEdNS9_4plusIvEEdEEDaPvRmT3_T4_T5_mT6_P12ihipStream_tbENKUlT_T0_E_clISt17integral_constantIbLb0EESW_IbLb1EEEEDaSS_ST_EUlSS_E0_NS1_11comp_targetILNS1_3genE0ELNS1_11target_archE4294967295ELNS1_3gpuE0ELNS1_3repE0EEENS1_30default_config_static_selectorELNS0_4arch9wavefront6targetE1EEEvT1_,@function
_ZN7rocprim17ROCPRIM_400000_NS6detail17trampoline_kernelINS0_14default_configENS1_20scan_config_selectorIdEEZZNS1_9scan_implILNS1_25lookback_scan_determinismE0ELb1ELb1ES3_N6thrust23THRUST_200600_302600_NS6detail15normal_iteratorINS9_10device_ptrIdEEEENS9_16discard_iteratorINS9_11use_defaultEEEdNS9_4plusIvEEdEEDaPvRmT3_T4_T5_mT6_P12ihipStream_tbENKUlT_T0_E_clISt17integral_constantIbLb0EESW_IbLb1EEEEDaSS_ST_EUlSS_E0_NS1_11comp_targetILNS1_3genE0ELNS1_11target_archE4294967295ELNS1_3gpuE0ELNS1_3repE0EEENS1_30default_config_static_selectorELNS0_4arch9wavefront6targetE1EEEvT1_: ; @_ZN7rocprim17ROCPRIM_400000_NS6detail17trampoline_kernelINS0_14default_configENS1_20scan_config_selectorIdEEZZNS1_9scan_implILNS1_25lookback_scan_determinismE0ELb1ELb1ES3_N6thrust23THRUST_200600_302600_NS6detail15normal_iteratorINS9_10device_ptrIdEEEENS9_16discard_iteratorINS9_11use_defaultEEEdNS9_4plusIvEEdEEDaPvRmT3_T4_T5_mT6_P12ihipStream_tbENKUlT_T0_E_clISt17integral_constantIbLb0EESW_IbLb1EEEEDaSS_ST_EUlSS_E0_NS1_11comp_targetILNS1_3genE0ELNS1_11target_archE4294967295ELNS1_3gpuE0ELNS1_3repE0EEENS1_30default_config_static_selectorELNS0_4arch9wavefront6targetE1EEEvT1_
; %bb.0:
	.section	.rodata,"a",@progbits
	.p2align	6, 0x0
	.amdhsa_kernel _ZN7rocprim17ROCPRIM_400000_NS6detail17trampoline_kernelINS0_14default_configENS1_20scan_config_selectorIdEEZZNS1_9scan_implILNS1_25lookback_scan_determinismE0ELb1ELb1ES3_N6thrust23THRUST_200600_302600_NS6detail15normal_iteratorINS9_10device_ptrIdEEEENS9_16discard_iteratorINS9_11use_defaultEEEdNS9_4plusIvEEdEEDaPvRmT3_T4_T5_mT6_P12ihipStream_tbENKUlT_T0_E_clISt17integral_constantIbLb0EESW_IbLb1EEEEDaSS_ST_EUlSS_E0_NS1_11comp_targetILNS1_3genE0ELNS1_11target_archE4294967295ELNS1_3gpuE0ELNS1_3repE0EEENS1_30default_config_static_selectorELNS0_4arch9wavefront6targetE1EEEvT1_
		.amdhsa_group_segment_fixed_size 0
		.amdhsa_private_segment_fixed_size 0
		.amdhsa_kernarg_size 48
		.amdhsa_user_sgpr_count 6
		.amdhsa_user_sgpr_private_segment_buffer 1
		.amdhsa_user_sgpr_dispatch_ptr 0
		.amdhsa_user_sgpr_queue_ptr 0
		.amdhsa_user_sgpr_kernarg_segment_ptr 1
		.amdhsa_user_sgpr_dispatch_id 0
		.amdhsa_user_sgpr_flat_scratch_init 0
		.amdhsa_user_sgpr_kernarg_preload_length 0
		.amdhsa_user_sgpr_kernarg_preload_offset 0
		.amdhsa_user_sgpr_private_segment_size 0
		.amdhsa_uses_dynamic_stack 0
		.amdhsa_system_sgpr_private_segment_wavefront_offset 0
		.amdhsa_system_sgpr_workgroup_id_x 1
		.amdhsa_system_sgpr_workgroup_id_y 0
		.amdhsa_system_sgpr_workgroup_id_z 0
		.amdhsa_system_sgpr_workgroup_info 0
		.amdhsa_system_vgpr_workitem_id 0
		.amdhsa_next_free_vgpr 1
		.amdhsa_next_free_sgpr 0
		.amdhsa_accum_offset 4
		.amdhsa_reserve_vcc 0
		.amdhsa_reserve_flat_scratch 0
		.amdhsa_float_round_mode_32 0
		.amdhsa_float_round_mode_16_64 0
		.amdhsa_float_denorm_mode_32 3
		.amdhsa_float_denorm_mode_16_64 3
		.amdhsa_dx10_clamp 1
		.amdhsa_ieee_mode 1
		.amdhsa_fp16_overflow 0
		.amdhsa_tg_split 0
		.amdhsa_exception_fp_ieee_invalid_op 0
		.amdhsa_exception_fp_denorm_src 0
		.amdhsa_exception_fp_ieee_div_zero 0
		.amdhsa_exception_fp_ieee_overflow 0
		.amdhsa_exception_fp_ieee_underflow 0
		.amdhsa_exception_fp_ieee_inexact 0
		.amdhsa_exception_int_div_zero 0
	.end_amdhsa_kernel
	.section	.text._ZN7rocprim17ROCPRIM_400000_NS6detail17trampoline_kernelINS0_14default_configENS1_20scan_config_selectorIdEEZZNS1_9scan_implILNS1_25lookback_scan_determinismE0ELb1ELb1ES3_N6thrust23THRUST_200600_302600_NS6detail15normal_iteratorINS9_10device_ptrIdEEEENS9_16discard_iteratorINS9_11use_defaultEEEdNS9_4plusIvEEdEEDaPvRmT3_T4_T5_mT6_P12ihipStream_tbENKUlT_T0_E_clISt17integral_constantIbLb0EESW_IbLb1EEEEDaSS_ST_EUlSS_E0_NS1_11comp_targetILNS1_3genE0ELNS1_11target_archE4294967295ELNS1_3gpuE0ELNS1_3repE0EEENS1_30default_config_static_selectorELNS0_4arch9wavefront6targetE1EEEvT1_,"axG",@progbits,_ZN7rocprim17ROCPRIM_400000_NS6detail17trampoline_kernelINS0_14default_configENS1_20scan_config_selectorIdEEZZNS1_9scan_implILNS1_25lookback_scan_determinismE0ELb1ELb1ES3_N6thrust23THRUST_200600_302600_NS6detail15normal_iteratorINS9_10device_ptrIdEEEENS9_16discard_iteratorINS9_11use_defaultEEEdNS9_4plusIvEEdEEDaPvRmT3_T4_T5_mT6_P12ihipStream_tbENKUlT_T0_E_clISt17integral_constantIbLb0EESW_IbLb1EEEEDaSS_ST_EUlSS_E0_NS1_11comp_targetILNS1_3genE0ELNS1_11target_archE4294967295ELNS1_3gpuE0ELNS1_3repE0EEENS1_30default_config_static_selectorELNS0_4arch9wavefront6targetE1EEEvT1_,comdat
.Lfunc_end4997:
	.size	_ZN7rocprim17ROCPRIM_400000_NS6detail17trampoline_kernelINS0_14default_configENS1_20scan_config_selectorIdEEZZNS1_9scan_implILNS1_25lookback_scan_determinismE0ELb1ELb1ES3_N6thrust23THRUST_200600_302600_NS6detail15normal_iteratorINS9_10device_ptrIdEEEENS9_16discard_iteratorINS9_11use_defaultEEEdNS9_4plusIvEEdEEDaPvRmT3_T4_T5_mT6_P12ihipStream_tbENKUlT_T0_E_clISt17integral_constantIbLb0EESW_IbLb1EEEEDaSS_ST_EUlSS_E0_NS1_11comp_targetILNS1_3genE0ELNS1_11target_archE4294967295ELNS1_3gpuE0ELNS1_3repE0EEENS1_30default_config_static_selectorELNS0_4arch9wavefront6targetE1EEEvT1_, .Lfunc_end4997-_ZN7rocprim17ROCPRIM_400000_NS6detail17trampoline_kernelINS0_14default_configENS1_20scan_config_selectorIdEEZZNS1_9scan_implILNS1_25lookback_scan_determinismE0ELb1ELb1ES3_N6thrust23THRUST_200600_302600_NS6detail15normal_iteratorINS9_10device_ptrIdEEEENS9_16discard_iteratorINS9_11use_defaultEEEdNS9_4plusIvEEdEEDaPvRmT3_T4_T5_mT6_P12ihipStream_tbENKUlT_T0_E_clISt17integral_constantIbLb0EESW_IbLb1EEEEDaSS_ST_EUlSS_E0_NS1_11comp_targetILNS1_3genE0ELNS1_11target_archE4294967295ELNS1_3gpuE0ELNS1_3repE0EEENS1_30default_config_static_selectorELNS0_4arch9wavefront6targetE1EEEvT1_
                                        ; -- End function
	.section	.AMDGPU.csdata,"",@progbits
; Kernel info:
; codeLenInByte = 0
; NumSgprs: 4
; NumVgprs: 0
; NumAgprs: 0
; TotalNumVgprs: 0
; ScratchSize: 0
; MemoryBound: 0
; FloatMode: 240
; IeeeMode: 1
; LDSByteSize: 0 bytes/workgroup (compile time only)
; SGPRBlocks: 0
; VGPRBlocks: 0
; NumSGPRsForWavesPerEU: 4
; NumVGPRsForWavesPerEU: 1
; AccumOffset: 4
; Occupancy: 8
; WaveLimiterHint : 0
; COMPUTE_PGM_RSRC2:SCRATCH_EN: 0
; COMPUTE_PGM_RSRC2:USER_SGPR: 6
; COMPUTE_PGM_RSRC2:TRAP_HANDLER: 0
; COMPUTE_PGM_RSRC2:TGID_X_EN: 1
; COMPUTE_PGM_RSRC2:TGID_Y_EN: 0
; COMPUTE_PGM_RSRC2:TGID_Z_EN: 0
; COMPUTE_PGM_RSRC2:TIDIG_COMP_CNT: 0
; COMPUTE_PGM_RSRC3_GFX90A:ACCUM_OFFSET: 0
; COMPUTE_PGM_RSRC3_GFX90A:TG_SPLIT: 0
	.section	.text._ZN7rocprim17ROCPRIM_400000_NS6detail17trampoline_kernelINS0_14default_configENS1_20scan_config_selectorIdEEZZNS1_9scan_implILNS1_25lookback_scan_determinismE0ELb1ELb1ES3_N6thrust23THRUST_200600_302600_NS6detail15normal_iteratorINS9_10device_ptrIdEEEENS9_16discard_iteratorINS9_11use_defaultEEEdNS9_4plusIvEEdEEDaPvRmT3_T4_T5_mT6_P12ihipStream_tbENKUlT_T0_E_clISt17integral_constantIbLb0EESW_IbLb1EEEEDaSS_ST_EUlSS_E0_NS1_11comp_targetILNS1_3genE5ELNS1_11target_archE942ELNS1_3gpuE9ELNS1_3repE0EEENS1_30default_config_static_selectorELNS0_4arch9wavefront6targetE1EEEvT1_,"axG",@progbits,_ZN7rocprim17ROCPRIM_400000_NS6detail17trampoline_kernelINS0_14default_configENS1_20scan_config_selectorIdEEZZNS1_9scan_implILNS1_25lookback_scan_determinismE0ELb1ELb1ES3_N6thrust23THRUST_200600_302600_NS6detail15normal_iteratorINS9_10device_ptrIdEEEENS9_16discard_iteratorINS9_11use_defaultEEEdNS9_4plusIvEEdEEDaPvRmT3_T4_T5_mT6_P12ihipStream_tbENKUlT_T0_E_clISt17integral_constantIbLb0EESW_IbLb1EEEEDaSS_ST_EUlSS_E0_NS1_11comp_targetILNS1_3genE5ELNS1_11target_archE942ELNS1_3gpuE9ELNS1_3repE0EEENS1_30default_config_static_selectorELNS0_4arch9wavefront6targetE1EEEvT1_,comdat
	.protected	_ZN7rocprim17ROCPRIM_400000_NS6detail17trampoline_kernelINS0_14default_configENS1_20scan_config_selectorIdEEZZNS1_9scan_implILNS1_25lookback_scan_determinismE0ELb1ELb1ES3_N6thrust23THRUST_200600_302600_NS6detail15normal_iteratorINS9_10device_ptrIdEEEENS9_16discard_iteratorINS9_11use_defaultEEEdNS9_4plusIvEEdEEDaPvRmT3_T4_T5_mT6_P12ihipStream_tbENKUlT_T0_E_clISt17integral_constantIbLb0EESW_IbLb1EEEEDaSS_ST_EUlSS_E0_NS1_11comp_targetILNS1_3genE5ELNS1_11target_archE942ELNS1_3gpuE9ELNS1_3repE0EEENS1_30default_config_static_selectorELNS0_4arch9wavefront6targetE1EEEvT1_ ; -- Begin function _ZN7rocprim17ROCPRIM_400000_NS6detail17trampoline_kernelINS0_14default_configENS1_20scan_config_selectorIdEEZZNS1_9scan_implILNS1_25lookback_scan_determinismE0ELb1ELb1ES3_N6thrust23THRUST_200600_302600_NS6detail15normal_iteratorINS9_10device_ptrIdEEEENS9_16discard_iteratorINS9_11use_defaultEEEdNS9_4plusIvEEdEEDaPvRmT3_T4_T5_mT6_P12ihipStream_tbENKUlT_T0_E_clISt17integral_constantIbLb0EESW_IbLb1EEEEDaSS_ST_EUlSS_E0_NS1_11comp_targetILNS1_3genE5ELNS1_11target_archE942ELNS1_3gpuE9ELNS1_3repE0EEENS1_30default_config_static_selectorELNS0_4arch9wavefront6targetE1EEEvT1_
	.globl	_ZN7rocprim17ROCPRIM_400000_NS6detail17trampoline_kernelINS0_14default_configENS1_20scan_config_selectorIdEEZZNS1_9scan_implILNS1_25lookback_scan_determinismE0ELb1ELb1ES3_N6thrust23THRUST_200600_302600_NS6detail15normal_iteratorINS9_10device_ptrIdEEEENS9_16discard_iteratorINS9_11use_defaultEEEdNS9_4plusIvEEdEEDaPvRmT3_T4_T5_mT6_P12ihipStream_tbENKUlT_T0_E_clISt17integral_constantIbLb0EESW_IbLb1EEEEDaSS_ST_EUlSS_E0_NS1_11comp_targetILNS1_3genE5ELNS1_11target_archE942ELNS1_3gpuE9ELNS1_3repE0EEENS1_30default_config_static_selectorELNS0_4arch9wavefront6targetE1EEEvT1_
	.p2align	8
	.type	_ZN7rocprim17ROCPRIM_400000_NS6detail17trampoline_kernelINS0_14default_configENS1_20scan_config_selectorIdEEZZNS1_9scan_implILNS1_25lookback_scan_determinismE0ELb1ELb1ES3_N6thrust23THRUST_200600_302600_NS6detail15normal_iteratorINS9_10device_ptrIdEEEENS9_16discard_iteratorINS9_11use_defaultEEEdNS9_4plusIvEEdEEDaPvRmT3_T4_T5_mT6_P12ihipStream_tbENKUlT_T0_E_clISt17integral_constantIbLb0EESW_IbLb1EEEEDaSS_ST_EUlSS_E0_NS1_11comp_targetILNS1_3genE5ELNS1_11target_archE942ELNS1_3gpuE9ELNS1_3repE0EEENS1_30default_config_static_selectorELNS0_4arch9wavefront6targetE1EEEvT1_,@function
_ZN7rocprim17ROCPRIM_400000_NS6detail17trampoline_kernelINS0_14default_configENS1_20scan_config_selectorIdEEZZNS1_9scan_implILNS1_25lookback_scan_determinismE0ELb1ELb1ES3_N6thrust23THRUST_200600_302600_NS6detail15normal_iteratorINS9_10device_ptrIdEEEENS9_16discard_iteratorINS9_11use_defaultEEEdNS9_4plusIvEEdEEDaPvRmT3_T4_T5_mT6_P12ihipStream_tbENKUlT_T0_E_clISt17integral_constantIbLb0EESW_IbLb1EEEEDaSS_ST_EUlSS_E0_NS1_11comp_targetILNS1_3genE5ELNS1_11target_archE942ELNS1_3gpuE9ELNS1_3repE0EEENS1_30default_config_static_selectorELNS0_4arch9wavefront6targetE1EEEvT1_: ; @_ZN7rocprim17ROCPRIM_400000_NS6detail17trampoline_kernelINS0_14default_configENS1_20scan_config_selectorIdEEZZNS1_9scan_implILNS1_25lookback_scan_determinismE0ELb1ELb1ES3_N6thrust23THRUST_200600_302600_NS6detail15normal_iteratorINS9_10device_ptrIdEEEENS9_16discard_iteratorINS9_11use_defaultEEEdNS9_4plusIvEEdEEDaPvRmT3_T4_T5_mT6_P12ihipStream_tbENKUlT_T0_E_clISt17integral_constantIbLb0EESW_IbLb1EEEEDaSS_ST_EUlSS_E0_NS1_11comp_targetILNS1_3genE5ELNS1_11target_archE942ELNS1_3gpuE9ELNS1_3repE0EEENS1_30default_config_static_selectorELNS0_4arch9wavefront6targetE1EEEvT1_
; %bb.0:
	.section	.rodata,"a",@progbits
	.p2align	6, 0x0
	.amdhsa_kernel _ZN7rocprim17ROCPRIM_400000_NS6detail17trampoline_kernelINS0_14default_configENS1_20scan_config_selectorIdEEZZNS1_9scan_implILNS1_25lookback_scan_determinismE0ELb1ELb1ES3_N6thrust23THRUST_200600_302600_NS6detail15normal_iteratorINS9_10device_ptrIdEEEENS9_16discard_iteratorINS9_11use_defaultEEEdNS9_4plusIvEEdEEDaPvRmT3_T4_T5_mT6_P12ihipStream_tbENKUlT_T0_E_clISt17integral_constantIbLb0EESW_IbLb1EEEEDaSS_ST_EUlSS_E0_NS1_11comp_targetILNS1_3genE5ELNS1_11target_archE942ELNS1_3gpuE9ELNS1_3repE0EEENS1_30default_config_static_selectorELNS0_4arch9wavefront6targetE1EEEvT1_
		.amdhsa_group_segment_fixed_size 0
		.amdhsa_private_segment_fixed_size 0
		.amdhsa_kernarg_size 48
		.amdhsa_user_sgpr_count 6
		.amdhsa_user_sgpr_private_segment_buffer 1
		.amdhsa_user_sgpr_dispatch_ptr 0
		.amdhsa_user_sgpr_queue_ptr 0
		.amdhsa_user_sgpr_kernarg_segment_ptr 1
		.amdhsa_user_sgpr_dispatch_id 0
		.amdhsa_user_sgpr_flat_scratch_init 0
		.amdhsa_user_sgpr_kernarg_preload_length 0
		.amdhsa_user_sgpr_kernarg_preload_offset 0
		.amdhsa_user_sgpr_private_segment_size 0
		.amdhsa_uses_dynamic_stack 0
		.amdhsa_system_sgpr_private_segment_wavefront_offset 0
		.amdhsa_system_sgpr_workgroup_id_x 1
		.amdhsa_system_sgpr_workgroup_id_y 0
		.amdhsa_system_sgpr_workgroup_id_z 0
		.amdhsa_system_sgpr_workgroup_info 0
		.amdhsa_system_vgpr_workitem_id 0
		.amdhsa_next_free_vgpr 1
		.amdhsa_next_free_sgpr 0
		.amdhsa_accum_offset 4
		.amdhsa_reserve_vcc 0
		.amdhsa_reserve_flat_scratch 0
		.amdhsa_float_round_mode_32 0
		.amdhsa_float_round_mode_16_64 0
		.amdhsa_float_denorm_mode_32 3
		.amdhsa_float_denorm_mode_16_64 3
		.amdhsa_dx10_clamp 1
		.amdhsa_ieee_mode 1
		.amdhsa_fp16_overflow 0
		.amdhsa_tg_split 0
		.amdhsa_exception_fp_ieee_invalid_op 0
		.amdhsa_exception_fp_denorm_src 0
		.amdhsa_exception_fp_ieee_div_zero 0
		.amdhsa_exception_fp_ieee_overflow 0
		.amdhsa_exception_fp_ieee_underflow 0
		.amdhsa_exception_fp_ieee_inexact 0
		.amdhsa_exception_int_div_zero 0
	.end_amdhsa_kernel
	.section	.text._ZN7rocprim17ROCPRIM_400000_NS6detail17trampoline_kernelINS0_14default_configENS1_20scan_config_selectorIdEEZZNS1_9scan_implILNS1_25lookback_scan_determinismE0ELb1ELb1ES3_N6thrust23THRUST_200600_302600_NS6detail15normal_iteratorINS9_10device_ptrIdEEEENS9_16discard_iteratorINS9_11use_defaultEEEdNS9_4plusIvEEdEEDaPvRmT3_T4_T5_mT6_P12ihipStream_tbENKUlT_T0_E_clISt17integral_constantIbLb0EESW_IbLb1EEEEDaSS_ST_EUlSS_E0_NS1_11comp_targetILNS1_3genE5ELNS1_11target_archE942ELNS1_3gpuE9ELNS1_3repE0EEENS1_30default_config_static_selectorELNS0_4arch9wavefront6targetE1EEEvT1_,"axG",@progbits,_ZN7rocprim17ROCPRIM_400000_NS6detail17trampoline_kernelINS0_14default_configENS1_20scan_config_selectorIdEEZZNS1_9scan_implILNS1_25lookback_scan_determinismE0ELb1ELb1ES3_N6thrust23THRUST_200600_302600_NS6detail15normal_iteratorINS9_10device_ptrIdEEEENS9_16discard_iteratorINS9_11use_defaultEEEdNS9_4plusIvEEdEEDaPvRmT3_T4_T5_mT6_P12ihipStream_tbENKUlT_T0_E_clISt17integral_constantIbLb0EESW_IbLb1EEEEDaSS_ST_EUlSS_E0_NS1_11comp_targetILNS1_3genE5ELNS1_11target_archE942ELNS1_3gpuE9ELNS1_3repE0EEENS1_30default_config_static_selectorELNS0_4arch9wavefront6targetE1EEEvT1_,comdat
.Lfunc_end4998:
	.size	_ZN7rocprim17ROCPRIM_400000_NS6detail17trampoline_kernelINS0_14default_configENS1_20scan_config_selectorIdEEZZNS1_9scan_implILNS1_25lookback_scan_determinismE0ELb1ELb1ES3_N6thrust23THRUST_200600_302600_NS6detail15normal_iteratorINS9_10device_ptrIdEEEENS9_16discard_iteratorINS9_11use_defaultEEEdNS9_4plusIvEEdEEDaPvRmT3_T4_T5_mT6_P12ihipStream_tbENKUlT_T0_E_clISt17integral_constantIbLb0EESW_IbLb1EEEEDaSS_ST_EUlSS_E0_NS1_11comp_targetILNS1_3genE5ELNS1_11target_archE942ELNS1_3gpuE9ELNS1_3repE0EEENS1_30default_config_static_selectorELNS0_4arch9wavefront6targetE1EEEvT1_, .Lfunc_end4998-_ZN7rocprim17ROCPRIM_400000_NS6detail17trampoline_kernelINS0_14default_configENS1_20scan_config_selectorIdEEZZNS1_9scan_implILNS1_25lookback_scan_determinismE0ELb1ELb1ES3_N6thrust23THRUST_200600_302600_NS6detail15normal_iteratorINS9_10device_ptrIdEEEENS9_16discard_iteratorINS9_11use_defaultEEEdNS9_4plusIvEEdEEDaPvRmT3_T4_T5_mT6_P12ihipStream_tbENKUlT_T0_E_clISt17integral_constantIbLb0EESW_IbLb1EEEEDaSS_ST_EUlSS_E0_NS1_11comp_targetILNS1_3genE5ELNS1_11target_archE942ELNS1_3gpuE9ELNS1_3repE0EEENS1_30default_config_static_selectorELNS0_4arch9wavefront6targetE1EEEvT1_
                                        ; -- End function
	.section	.AMDGPU.csdata,"",@progbits
; Kernel info:
; codeLenInByte = 0
; NumSgprs: 4
; NumVgprs: 0
; NumAgprs: 0
; TotalNumVgprs: 0
; ScratchSize: 0
; MemoryBound: 0
; FloatMode: 240
; IeeeMode: 1
; LDSByteSize: 0 bytes/workgroup (compile time only)
; SGPRBlocks: 0
; VGPRBlocks: 0
; NumSGPRsForWavesPerEU: 4
; NumVGPRsForWavesPerEU: 1
; AccumOffset: 4
; Occupancy: 8
; WaveLimiterHint : 0
; COMPUTE_PGM_RSRC2:SCRATCH_EN: 0
; COMPUTE_PGM_RSRC2:USER_SGPR: 6
; COMPUTE_PGM_RSRC2:TRAP_HANDLER: 0
; COMPUTE_PGM_RSRC2:TGID_X_EN: 1
; COMPUTE_PGM_RSRC2:TGID_Y_EN: 0
; COMPUTE_PGM_RSRC2:TGID_Z_EN: 0
; COMPUTE_PGM_RSRC2:TIDIG_COMP_CNT: 0
; COMPUTE_PGM_RSRC3_GFX90A:ACCUM_OFFSET: 0
; COMPUTE_PGM_RSRC3_GFX90A:TG_SPLIT: 0
	.section	.text._ZN7rocprim17ROCPRIM_400000_NS6detail17trampoline_kernelINS0_14default_configENS1_20scan_config_selectorIdEEZZNS1_9scan_implILNS1_25lookback_scan_determinismE0ELb1ELb1ES3_N6thrust23THRUST_200600_302600_NS6detail15normal_iteratorINS9_10device_ptrIdEEEENS9_16discard_iteratorINS9_11use_defaultEEEdNS9_4plusIvEEdEEDaPvRmT3_T4_T5_mT6_P12ihipStream_tbENKUlT_T0_E_clISt17integral_constantIbLb0EESW_IbLb1EEEEDaSS_ST_EUlSS_E0_NS1_11comp_targetILNS1_3genE4ELNS1_11target_archE910ELNS1_3gpuE8ELNS1_3repE0EEENS1_30default_config_static_selectorELNS0_4arch9wavefront6targetE1EEEvT1_,"axG",@progbits,_ZN7rocprim17ROCPRIM_400000_NS6detail17trampoline_kernelINS0_14default_configENS1_20scan_config_selectorIdEEZZNS1_9scan_implILNS1_25lookback_scan_determinismE0ELb1ELb1ES3_N6thrust23THRUST_200600_302600_NS6detail15normal_iteratorINS9_10device_ptrIdEEEENS9_16discard_iteratorINS9_11use_defaultEEEdNS9_4plusIvEEdEEDaPvRmT3_T4_T5_mT6_P12ihipStream_tbENKUlT_T0_E_clISt17integral_constantIbLb0EESW_IbLb1EEEEDaSS_ST_EUlSS_E0_NS1_11comp_targetILNS1_3genE4ELNS1_11target_archE910ELNS1_3gpuE8ELNS1_3repE0EEENS1_30default_config_static_selectorELNS0_4arch9wavefront6targetE1EEEvT1_,comdat
	.protected	_ZN7rocprim17ROCPRIM_400000_NS6detail17trampoline_kernelINS0_14default_configENS1_20scan_config_selectorIdEEZZNS1_9scan_implILNS1_25lookback_scan_determinismE0ELb1ELb1ES3_N6thrust23THRUST_200600_302600_NS6detail15normal_iteratorINS9_10device_ptrIdEEEENS9_16discard_iteratorINS9_11use_defaultEEEdNS9_4plusIvEEdEEDaPvRmT3_T4_T5_mT6_P12ihipStream_tbENKUlT_T0_E_clISt17integral_constantIbLb0EESW_IbLb1EEEEDaSS_ST_EUlSS_E0_NS1_11comp_targetILNS1_3genE4ELNS1_11target_archE910ELNS1_3gpuE8ELNS1_3repE0EEENS1_30default_config_static_selectorELNS0_4arch9wavefront6targetE1EEEvT1_ ; -- Begin function _ZN7rocprim17ROCPRIM_400000_NS6detail17trampoline_kernelINS0_14default_configENS1_20scan_config_selectorIdEEZZNS1_9scan_implILNS1_25lookback_scan_determinismE0ELb1ELb1ES3_N6thrust23THRUST_200600_302600_NS6detail15normal_iteratorINS9_10device_ptrIdEEEENS9_16discard_iteratorINS9_11use_defaultEEEdNS9_4plusIvEEdEEDaPvRmT3_T4_T5_mT6_P12ihipStream_tbENKUlT_T0_E_clISt17integral_constantIbLb0EESW_IbLb1EEEEDaSS_ST_EUlSS_E0_NS1_11comp_targetILNS1_3genE4ELNS1_11target_archE910ELNS1_3gpuE8ELNS1_3repE0EEENS1_30default_config_static_selectorELNS0_4arch9wavefront6targetE1EEEvT1_
	.globl	_ZN7rocprim17ROCPRIM_400000_NS6detail17trampoline_kernelINS0_14default_configENS1_20scan_config_selectorIdEEZZNS1_9scan_implILNS1_25lookback_scan_determinismE0ELb1ELb1ES3_N6thrust23THRUST_200600_302600_NS6detail15normal_iteratorINS9_10device_ptrIdEEEENS9_16discard_iteratorINS9_11use_defaultEEEdNS9_4plusIvEEdEEDaPvRmT3_T4_T5_mT6_P12ihipStream_tbENKUlT_T0_E_clISt17integral_constantIbLb0EESW_IbLb1EEEEDaSS_ST_EUlSS_E0_NS1_11comp_targetILNS1_3genE4ELNS1_11target_archE910ELNS1_3gpuE8ELNS1_3repE0EEENS1_30default_config_static_selectorELNS0_4arch9wavefront6targetE1EEEvT1_
	.p2align	8
	.type	_ZN7rocprim17ROCPRIM_400000_NS6detail17trampoline_kernelINS0_14default_configENS1_20scan_config_selectorIdEEZZNS1_9scan_implILNS1_25lookback_scan_determinismE0ELb1ELb1ES3_N6thrust23THRUST_200600_302600_NS6detail15normal_iteratorINS9_10device_ptrIdEEEENS9_16discard_iteratorINS9_11use_defaultEEEdNS9_4plusIvEEdEEDaPvRmT3_T4_T5_mT6_P12ihipStream_tbENKUlT_T0_E_clISt17integral_constantIbLb0EESW_IbLb1EEEEDaSS_ST_EUlSS_E0_NS1_11comp_targetILNS1_3genE4ELNS1_11target_archE910ELNS1_3gpuE8ELNS1_3repE0EEENS1_30default_config_static_selectorELNS0_4arch9wavefront6targetE1EEEvT1_,@function
_ZN7rocprim17ROCPRIM_400000_NS6detail17trampoline_kernelINS0_14default_configENS1_20scan_config_selectorIdEEZZNS1_9scan_implILNS1_25lookback_scan_determinismE0ELb1ELb1ES3_N6thrust23THRUST_200600_302600_NS6detail15normal_iteratorINS9_10device_ptrIdEEEENS9_16discard_iteratorINS9_11use_defaultEEEdNS9_4plusIvEEdEEDaPvRmT3_T4_T5_mT6_P12ihipStream_tbENKUlT_T0_E_clISt17integral_constantIbLb0EESW_IbLb1EEEEDaSS_ST_EUlSS_E0_NS1_11comp_targetILNS1_3genE4ELNS1_11target_archE910ELNS1_3gpuE8ELNS1_3repE0EEENS1_30default_config_static_selectorELNS0_4arch9wavefront6targetE1EEEvT1_: ; @_ZN7rocprim17ROCPRIM_400000_NS6detail17trampoline_kernelINS0_14default_configENS1_20scan_config_selectorIdEEZZNS1_9scan_implILNS1_25lookback_scan_determinismE0ELb1ELb1ES3_N6thrust23THRUST_200600_302600_NS6detail15normal_iteratorINS9_10device_ptrIdEEEENS9_16discard_iteratorINS9_11use_defaultEEEdNS9_4plusIvEEdEEDaPvRmT3_T4_T5_mT6_P12ihipStream_tbENKUlT_T0_E_clISt17integral_constantIbLb0EESW_IbLb1EEEEDaSS_ST_EUlSS_E0_NS1_11comp_targetILNS1_3genE4ELNS1_11target_archE910ELNS1_3gpuE8ELNS1_3repE0EEENS1_30default_config_static_selectorELNS0_4arch9wavefront6targetE1EEEvT1_
; %bb.0:
	s_load_dwordx4 s[0:3], s[4:5], 0x0
	v_lshlrev_b32_e32 v1, 3, v0
	s_waitcnt lgkmcnt(0)
	s_load_dwordx2 s[6:7], s[0:1], 0x0
	v_cmp_gt_u32_e32 vcc, s2, v0
	s_waitcnt lgkmcnt(0)
	v_pk_mov_b32 v[2:3], s[6:7], s[6:7] op_sel:[0,1]
	s_and_saveexec_b64 s[8:9], vcc
	s_cbranch_execz .LBB4999_2
; %bb.1:
	global_load_dwordx2 v[2:3], v1, s[0:1]
.LBB4999_2:
	s_or_b64 exec, exec, s[8:9]
	v_or_b32_e32 v4, 0x80, v0
	v_cmp_gt_u32_e32 vcc, s2, v4
	v_pk_mov_b32 v[4:5], s[6:7], s[6:7] op_sel:[0,1]
	s_and_saveexec_b64 s[8:9], vcc
	s_cbranch_execz .LBB4999_4
; %bb.3:
	global_load_dwordx2 v[4:5], v1, s[0:1] offset:1024
.LBB4999_4:
	s_or_b64 exec, exec, s[8:9]
	v_or_b32_e32 v6, 0x100, v0
	v_cmp_gt_u32_e32 vcc, s2, v6
	v_pk_mov_b32 v[6:7], s[6:7], s[6:7] op_sel:[0,1]
	s_and_saveexec_b64 s[8:9], vcc
	s_cbranch_execz .LBB4999_6
; %bb.5:
	global_load_dwordx2 v[6:7], v1, s[0:1] offset:2048
.LBB4999_6:
	;; [unrolled: 9-line block ×3, first 2 shown]
	s_or_b64 exec, exec, s[8:9]
	v_or_b32_e32 v12, 0x200, v0
	v_cmp_gt_u32_e32 vcc, s2, v12
	v_pk_mov_b32 v[10:11], s[6:7], s[6:7] op_sel:[0,1]
	s_and_saveexec_b64 s[8:9], vcc
	s_cbranch_execz .LBB4999_10
; %bb.9:
	v_lshlrev_b32_e32 v10, 3, v12
	global_load_dwordx2 v[10:11], v10, s[0:1]
.LBB4999_10:
	s_or_b64 exec, exec, s[8:9]
	v_or_b32_e32 v14, 0x280, v0
	v_cmp_gt_u32_e32 vcc, s2, v14
	v_pk_mov_b32 v[12:13], s[6:7], s[6:7] op_sel:[0,1]
	s_and_saveexec_b64 s[8:9], vcc
	s_cbranch_execz .LBB4999_12
; %bb.11:
	v_lshlrev_b32_e32 v12, 3, v14
	global_load_dwordx2 v[12:13], v12, s[0:1]
.LBB4999_12:
	;; [unrolled: 10-line block ×6, first 2 shown]
	s_or_b64 exec, exec, s[2:3]
	s_movk_i32 s0, 0x48
	s_waitcnt vmcnt(0)
	ds_write2st64_b64 v1, v[2:3], v[4:5] offset1:2
	ds_write2st64_b64 v1, v[6:7], v[8:9] offset0:4 offset1:6
	ds_write2st64_b64 v1, v[10:11], v[12:13] offset0:8 offset1:10
	;; [unrolled: 1-line block ×4, first 2 shown]
	v_mad_u32_u24 v18, v0, s0, v1
	s_waitcnt lgkmcnt(0)
	s_barrier
	ds_read_b128 v[14:17], v18
	ds_read_b128 v[10:13], v18 offset:16
	ds_read_b128 v[6:9], v18 offset:32
	;; [unrolled: 1-line block ×4, first 2 shown]
	s_waitcnt lgkmcnt(4)
	v_add_f64 v[22:23], v[14:15], v[16:17]
	s_waitcnt lgkmcnt(3)
	v_add_f64 v[22:23], v[22:23], v[10:11]
	v_add_f64 v[22:23], v[22:23], v[12:13]
	s_waitcnt lgkmcnt(2)
	v_add_f64 v[22:23], v[22:23], v[6:7]
	;; [unrolled: 3-line block ×4, first 2 shown]
	v_add_f64 v[20:21], v[22:23], v[20:21]
	v_mbcnt_lo_u32_b32 v22, -1, 0
	v_mbcnt_hi_u32_b32 v28, -1, v22
	v_and_b32_e32 v26, 15, v28
	v_mov_b32_dpp v22, v20 row_shr:1 row_mask:0xf bank_mask:0xf
	v_mov_b32_dpp v23, v21 row_shr:1 row_mask:0xf bank_mask:0xf
	v_add_f64 v[22:23], v[20:21], v[22:23]
	v_cmp_eq_u32_e32 vcc, 0, v26
	v_cndmask_b32_e32 v22, v22, v20, vcc
	v_cndmask_b32_e32 v23, v23, v21, vcc
	v_cmp_lt_u32_e32 vcc, 1, v26
	v_mov_b32_dpp v24, v22 row_shr:2 row_mask:0xf bank_mask:0xf
	v_mov_b32_dpp v25, v23 row_shr:2 row_mask:0xf bank_mask:0xf
	v_add_f64 v[24:25], v[22:23], v[24:25]
	v_cndmask_b32_e32 v22, v22, v24, vcc
	v_cndmask_b32_e32 v23, v23, v25, vcc
	v_cmp_lt_u32_e32 vcc, 3, v26
	v_mov_b32_dpp v24, v22 row_shr:4 row_mask:0xf bank_mask:0xf
	v_mov_b32_dpp v25, v23 row_shr:4 row_mask:0xf bank_mask:0xf
	v_add_f64 v[24:25], v[22:23], v[24:25]
	;; [unrolled: 6-line block ×3, first 2 shown]
	s_load_dwordx2 s[4:5], s[4:5], 0x10
	v_cndmask_b32_e32 v22, v22, v24, vcc
	v_cndmask_b32_e32 v23, v23, v25, vcc
	v_and_b32_e32 v29, 16, v28
	v_mov_b32_dpp v24, v22 row_bcast:15 row_mask:0xf bank_mask:0xf
	v_mov_b32_dpp v25, v23 row_bcast:15 row_mask:0xf bank_mask:0xf
	v_add_f64 v[26:27], v[22:23], v[24:25]
	v_cmp_eq_u32_e64 s[0:1], 0, v29
	v_cndmask_b32_e64 v25, v27, v23, s[0:1]
	v_cndmask_b32_e64 v24, v26, v22, s[0:1]
	v_cmp_eq_u32_e32 vcc, 0, v28
	v_mov_b32_dpp v25, v25 row_bcast:31 row_mask:0xf bank_mask:0xf
	v_mov_b32_dpp v24, v24 row_bcast:31 row_mask:0xf bank_mask:0xf
	v_cmp_ne_u32_e64 s[2:3], 0, v28
	s_waitcnt lgkmcnt(0)
	s_barrier
	s_and_saveexec_b64 s[6:7], s[2:3]
; %bb.21:
	v_cndmask_b32_e64 v21, v27, v23, s[0:1]
	v_cndmask_b32_e64 v20, v26, v22, s[0:1]
	v_add_f64 v[22:23], v[20:21], v[24:25]
	v_cmp_lt_u32_e64 s[0:1], 31, v28
	v_cndmask_b32_e64 v21, v21, v23, s[0:1]
	v_cndmask_b32_e64 v20, v20, v22, s[0:1]
; %bb.22:
	s_or_b64 exec, exec, s[6:7]
	v_or_b32_e32 v22, 63, v0
	v_lshrrev_b32_e32 v25, 6, v0
	v_cmp_eq_u32_e64 s[0:1], v22, v0
	s_and_saveexec_b64 s[2:3], s[0:1]
	s_cbranch_execz .LBB4999_24
; %bb.23:
	v_lshlrev_b32_e32 v22, 3, v25
	ds_write_b64 v22, v[20:21]
.LBB4999_24:
	s_or_b64 exec, exec, s[2:3]
	v_cmp_gt_u32_e64 s[0:1], 2, v0
	s_waitcnt lgkmcnt(0)
	s_barrier
	s_and_saveexec_b64 s[2:3], s[0:1]
	s_cbranch_execz .LBB4999_26
; %bb.25:
	ds_read_b64 v[22:23], v1
	v_and_b32_e32 v24, 1, v28
	v_cmp_eq_u32_e64 s[0:1], 0, v24
	s_waitcnt lgkmcnt(0)
	v_mov_b32_dpp v26, v22 row_shr:1 row_mask:0xf bank_mask:0xf
	v_mov_b32_dpp v27, v23 row_shr:1 row_mask:0xf bank_mask:0xf
	v_add_f64 v[26:27], v[22:23], v[26:27]
	v_cndmask_b32_e64 v23, v27, v23, s[0:1]
	v_cndmask_b32_e64 v22, v26, v22, s[0:1]
	ds_write_b64 v1, v[22:23]
.LBB4999_26:
	s_or_b64 exec, exec, s[2:3]
	v_mul_u32_u24_e32 v24, 0x48, v0
	v_cmp_lt_u32_e64 s[0:1], 63, v0
	v_pk_mov_b32 v[22:23], s[4:5], s[4:5] op_sel:[0,1]
	s_waitcnt lgkmcnt(0)
	s_barrier
	s_and_saveexec_b64 s[2:3], s[0:1]
	s_cbranch_execz .LBB4999_28
; %bb.27:
	v_lshl_add_u32 v22, v25, 3, -8
	ds_read_b64 v[22:23], v22
	s_waitcnt lgkmcnt(0)
	v_add_f64 v[22:23], s[4:5], v[22:23]
.LBB4999_28:
	s_or_b64 exec, exec, s[2:3]
	v_add_u32_e32 v25, -1, v28
	v_and_b32_e32 v26, 64, v28
	v_cmp_lt_i32_e64 s[0:1], v25, v26
	v_cndmask_b32_e64 v25, v25, v28, s[0:1]
	v_add_f64 v[20:21], v[20:21], v[22:23]
	v_lshlrev_b32_e32 v25, 2, v25
	ds_bpermute_b32 v20, v25, v20
	ds_bpermute_b32 v21, v25, v21
	s_waitcnt lgkmcnt(0)
	s_barrier
	v_cndmask_b32_e32 v20, v20, v22, vcc
	v_cndmask_b32_e32 v21, v21, v23, vcc
	v_mov_b32_e32 v22, s5
	v_cmp_eq_u32_e32 vcc, 0, v0
	v_mov_b32_e32 v0, s4
	v_cndmask_b32_e32 v21, v21, v22, vcc
	v_cndmask_b32_e32 v20, v20, v0, vcc
	v_add_f64 v[22:23], v[14:15], v[20:21]
	v_add_f64 v[14:15], v[16:17], v[22:23]
	;; [unrolled: 1-line block ×8, first 2 shown]
	v_add_u32_e32 v0, v1, v24
	v_add_f64 v[4:5], v[18:19], v[2:3]
	ds_write_b128 v0, v[20:23]
	ds_write_b128 v0, v[14:17] offset:16
	ds_write_b128 v0, v[10:13] offset:32
	;; [unrolled: 1-line block ×4, first 2 shown]
	s_waitcnt lgkmcnt(0)
	s_barrier
	s_endpgm
	.section	.rodata,"a",@progbits
	.p2align	6, 0x0
	.amdhsa_kernel _ZN7rocprim17ROCPRIM_400000_NS6detail17trampoline_kernelINS0_14default_configENS1_20scan_config_selectorIdEEZZNS1_9scan_implILNS1_25lookback_scan_determinismE0ELb1ELb1ES3_N6thrust23THRUST_200600_302600_NS6detail15normal_iteratorINS9_10device_ptrIdEEEENS9_16discard_iteratorINS9_11use_defaultEEEdNS9_4plusIvEEdEEDaPvRmT3_T4_T5_mT6_P12ihipStream_tbENKUlT_T0_E_clISt17integral_constantIbLb0EESW_IbLb1EEEEDaSS_ST_EUlSS_E0_NS1_11comp_targetILNS1_3genE4ELNS1_11target_archE910ELNS1_3gpuE8ELNS1_3repE0EEENS1_30default_config_static_selectorELNS0_4arch9wavefront6targetE1EEEvT1_
		.amdhsa_group_segment_fixed_size 10240
		.amdhsa_private_segment_fixed_size 0
		.amdhsa_kernarg_size 48
		.amdhsa_user_sgpr_count 6
		.amdhsa_user_sgpr_private_segment_buffer 1
		.amdhsa_user_sgpr_dispatch_ptr 0
		.amdhsa_user_sgpr_queue_ptr 0
		.amdhsa_user_sgpr_kernarg_segment_ptr 1
		.amdhsa_user_sgpr_dispatch_id 0
		.amdhsa_user_sgpr_flat_scratch_init 0
		.amdhsa_user_sgpr_kernarg_preload_length 0
		.amdhsa_user_sgpr_kernarg_preload_offset 0
		.amdhsa_user_sgpr_private_segment_size 0
		.amdhsa_uses_dynamic_stack 0
		.amdhsa_system_sgpr_private_segment_wavefront_offset 0
		.amdhsa_system_sgpr_workgroup_id_x 1
		.amdhsa_system_sgpr_workgroup_id_y 0
		.amdhsa_system_sgpr_workgroup_id_z 0
		.amdhsa_system_sgpr_workgroup_info 0
		.amdhsa_system_vgpr_workitem_id 0
		.amdhsa_next_free_vgpr 30
		.amdhsa_next_free_sgpr 10
		.amdhsa_accum_offset 32
		.amdhsa_reserve_vcc 1
		.amdhsa_reserve_flat_scratch 0
		.amdhsa_float_round_mode_32 0
		.amdhsa_float_round_mode_16_64 0
		.amdhsa_float_denorm_mode_32 3
		.amdhsa_float_denorm_mode_16_64 3
		.amdhsa_dx10_clamp 1
		.amdhsa_ieee_mode 1
		.amdhsa_fp16_overflow 0
		.amdhsa_tg_split 0
		.amdhsa_exception_fp_ieee_invalid_op 0
		.amdhsa_exception_fp_denorm_src 0
		.amdhsa_exception_fp_ieee_div_zero 0
		.amdhsa_exception_fp_ieee_overflow 0
		.amdhsa_exception_fp_ieee_underflow 0
		.amdhsa_exception_fp_ieee_inexact 0
		.amdhsa_exception_int_div_zero 0
	.end_amdhsa_kernel
	.section	.text._ZN7rocprim17ROCPRIM_400000_NS6detail17trampoline_kernelINS0_14default_configENS1_20scan_config_selectorIdEEZZNS1_9scan_implILNS1_25lookback_scan_determinismE0ELb1ELb1ES3_N6thrust23THRUST_200600_302600_NS6detail15normal_iteratorINS9_10device_ptrIdEEEENS9_16discard_iteratorINS9_11use_defaultEEEdNS9_4plusIvEEdEEDaPvRmT3_T4_T5_mT6_P12ihipStream_tbENKUlT_T0_E_clISt17integral_constantIbLb0EESW_IbLb1EEEEDaSS_ST_EUlSS_E0_NS1_11comp_targetILNS1_3genE4ELNS1_11target_archE910ELNS1_3gpuE8ELNS1_3repE0EEENS1_30default_config_static_selectorELNS0_4arch9wavefront6targetE1EEEvT1_,"axG",@progbits,_ZN7rocprim17ROCPRIM_400000_NS6detail17trampoline_kernelINS0_14default_configENS1_20scan_config_selectorIdEEZZNS1_9scan_implILNS1_25lookback_scan_determinismE0ELb1ELb1ES3_N6thrust23THRUST_200600_302600_NS6detail15normal_iteratorINS9_10device_ptrIdEEEENS9_16discard_iteratorINS9_11use_defaultEEEdNS9_4plusIvEEdEEDaPvRmT3_T4_T5_mT6_P12ihipStream_tbENKUlT_T0_E_clISt17integral_constantIbLb0EESW_IbLb1EEEEDaSS_ST_EUlSS_E0_NS1_11comp_targetILNS1_3genE4ELNS1_11target_archE910ELNS1_3gpuE8ELNS1_3repE0EEENS1_30default_config_static_selectorELNS0_4arch9wavefront6targetE1EEEvT1_,comdat
.Lfunc_end4999:
	.size	_ZN7rocprim17ROCPRIM_400000_NS6detail17trampoline_kernelINS0_14default_configENS1_20scan_config_selectorIdEEZZNS1_9scan_implILNS1_25lookback_scan_determinismE0ELb1ELb1ES3_N6thrust23THRUST_200600_302600_NS6detail15normal_iteratorINS9_10device_ptrIdEEEENS9_16discard_iteratorINS9_11use_defaultEEEdNS9_4plusIvEEdEEDaPvRmT3_T4_T5_mT6_P12ihipStream_tbENKUlT_T0_E_clISt17integral_constantIbLb0EESW_IbLb1EEEEDaSS_ST_EUlSS_E0_NS1_11comp_targetILNS1_3genE4ELNS1_11target_archE910ELNS1_3gpuE8ELNS1_3repE0EEENS1_30default_config_static_selectorELNS0_4arch9wavefront6targetE1EEEvT1_, .Lfunc_end4999-_ZN7rocprim17ROCPRIM_400000_NS6detail17trampoline_kernelINS0_14default_configENS1_20scan_config_selectorIdEEZZNS1_9scan_implILNS1_25lookback_scan_determinismE0ELb1ELb1ES3_N6thrust23THRUST_200600_302600_NS6detail15normal_iteratorINS9_10device_ptrIdEEEENS9_16discard_iteratorINS9_11use_defaultEEEdNS9_4plusIvEEdEEDaPvRmT3_T4_T5_mT6_P12ihipStream_tbENKUlT_T0_E_clISt17integral_constantIbLb0EESW_IbLb1EEEEDaSS_ST_EUlSS_E0_NS1_11comp_targetILNS1_3genE4ELNS1_11target_archE910ELNS1_3gpuE8ELNS1_3repE0EEENS1_30default_config_static_selectorELNS0_4arch9wavefront6targetE1EEEvT1_
                                        ; -- End function
	.section	.AMDGPU.csdata,"",@progbits
; Kernel info:
; codeLenInByte = 1384
; NumSgprs: 14
; NumVgprs: 30
; NumAgprs: 0
; TotalNumVgprs: 30
; ScratchSize: 0
; MemoryBound: 0
; FloatMode: 240
; IeeeMode: 1
; LDSByteSize: 10240 bytes/workgroup (compile time only)
; SGPRBlocks: 1
; VGPRBlocks: 3
; NumSGPRsForWavesPerEU: 14
; NumVGPRsForWavesPerEU: 30
; AccumOffset: 32
; Occupancy: 3
; WaveLimiterHint : 0
; COMPUTE_PGM_RSRC2:SCRATCH_EN: 0
; COMPUTE_PGM_RSRC2:USER_SGPR: 6
; COMPUTE_PGM_RSRC2:TRAP_HANDLER: 0
; COMPUTE_PGM_RSRC2:TGID_X_EN: 1
; COMPUTE_PGM_RSRC2:TGID_Y_EN: 0
; COMPUTE_PGM_RSRC2:TGID_Z_EN: 0
; COMPUTE_PGM_RSRC2:TIDIG_COMP_CNT: 0
; COMPUTE_PGM_RSRC3_GFX90A:ACCUM_OFFSET: 7
; COMPUTE_PGM_RSRC3_GFX90A:TG_SPLIT: 0
	.section	.text._ZN7rocprim17ROCPRIM_400000_NS6detail17trampoline_kernelINS0_14default_configENS1_20scan_config_selectorIdEEZZNS1_9scan_implILNS1_25lookback_scan_determinismE0ELb1ELb1ES3_N6thrust23THRUST_200600_302600_NS6detail15normal_iteratorINS9_10device_ptrIdEEEENS9_16discard_iteratorINS9_11use_defaultEEEdNS9_4plusIvEEdEEDaPvRmT3_T4_T5_mT6_P12ihipStream_tbENKUlT_T0_E_clISt17integral_constantIbLb0EESW_IbLb1EEEEDaSS_ST_EUlSS_E0_NS1_11comp_targetILNS1_3genE3ELNS1_11target_archE908ELNS1_3gpuE7ELNS1_3repE0EEENS1_30default_config_static_selectorELNS0_4arch9wavefront6targetE1EEEvT1_,"axG",@progbits,_ZN7rocprim17ROCPRIM_400000_NS6detail17trampoline_kernelINS0_14default_configENS1_20scan_config_selectorIdEEZZNS1_9scan_implILNS1_25lookback_scan_determinismE0ELb1ELb1ES3_N6thrust23THRUST_200600_302600_NS6detail15normal_iteratorINS9_10device_ptrIdEEEENS9_16discard_iteratorINS9_11use_defaultEEEdNS9_4plusIvEEdEEDaPvRmT3_T4_T5_mT6_P12ihipStream_tbENKUlT_T0_E_clISt17integral_constantIbLb0EESW_IbLb1EEEEDaSS_ST_EUlSS_E0_NS1_11comp_targetILNS1_3genE3ELNS1_11target_archE908ELNS1_3gpuE7ELNS1_3repE0EEENS1_30default_config_static_selectorELNS0_4arch9wavefront6targetE1EEEvT1_,comdat
	.protected	_ZN7rocprim17ROCPRIM_400000_NS6detail17trampoline_kernelINS0_14default_configENS1_20scan_config_selectorIdEEZZNS1_9scan_implILNS1_25lookback_scan_determinismE0ELb1ELb1ES3_N6thrust23THRUST_200600_302600_NS6detail15normal_iteratorINS9_10device_ptrIdEEEENS9_16discard_iteratorINS9_11use_defaultEEEdNS9_4plusIvEEdEEDaPvRmT3_T4_T5_mT6_P12ihipStream_tbENKUlT_T0_E_clISt17integral_constantIbLb0EESW_IbLb1EEEEDaSS_ST_EUlSS_E0_NS1_11comp_targetILNS1_3genE3ELNS1_11target_archE908ELNS1_3gpuE7ELNS1_3repE0EEENS1_30default_config_static_selectorELNS0_4arch9wavefront6targetE1EEEvT1_ ; -- Begin function _ZN7rocprim17ROCPRIM_400000_NS6detail17trampoline_kernelINS0_14default_configENS1_20scan_config_selectorIdEEZZNS1_9scan_implILNS1_25lookback_scan_determinismE0ELb1ELb1ES3_N6thrust23THRUST_200600_302600_NS6detail15normal_iteratorINS9_10device_ptrIdEEEENS9_16discard_iteratorINS9_11use_defaultEEEdNS9_4plusIvEEdEEDaPvRmT3_T4_T5_mT6_P12ihipStream_tbENKUlT_T0_E_clISt17integral_constantIbLb0EESW_IbLb1EEEEDaSS_ST_EUlSS_E0_NS1_11comp_targetILNS1_3genE3ELNS1_11target_archE908ELNS1_3gpuE7ELNS1_3repE0EEENS1_30default_config_static_selectorELNS0_4arch9wavefront6targetE1EEEvT1_
	.globl	_ZN7rocprim17ROCPRIM_400000_NS6detail17trampoline_kernelINS0_14default_configENS1_20scan_config_selectorIdEEZZNS1_9scan_implILNS1_25lookback_scan_determinismE0ELb1ELb1ES3_N6thrust23THRUST_200600_302600_NS6detail15normal_iteratorINS9_10device_ptrIdEEEENS9_16discard_iteratorINS9_11use_defaultEEEdNS9_4plusIvEEdEEDaPvRmT3_T4_T5_mT6_P12ihipStream_tbENKUlT_T0_E_clISt17integral_constantIbLb0EESW_IbLb1EEEEDaSS_ST_EUlSS_E0_NS1_11comp_targetILNS1_3genE3ELNS1_11target_archE908ELNS1_3gpuE7ELNS1_3repE0EEENS1_30default_config_static_selectorELNS0_4arch9wavefront6targetE1EEEvT1_
	.p2align	8
	.type	_ZN7rocprim17ROCPRIM_400000_NS6detail17trampoline_kernelINS0_14default_configENS1_20scan_config_selectorIdEEZZNS1_9scan_implILNS1_25lookback_scan_determinismE0ELb1ELb1ES3_N6thrust23THRUST_200600_302600_NS6detail15normal_iteratorINS9_10device_ptrIdEEEENS9_16discard_iteratorINS9_11use_defaultEEEdNS9_4plusIvEEdEEDaPvRmT3_T4_T5_mT6_P12ihipStream_tbENKUlT_T0_E_clISt17integral_constantIbLb0EESW_IbLb1EEEEDaSS_ST_EUlSS_E0_NS1_11comp_targetILNS1_3genE3ELNS1_11target_archE908ELNS1_3gpuE7ELNS1_3repE0EEENS1_30default_config_static_selectorELNS0_4arch9wavefront6targetE1EEEvT1_,@function
_ZN7rocprim17ROCPRIM_400000_NS6detail17trampoline_kernelINS0_14default_configENS1_20scan_config_selectorIdEEZZNS1_9scan_implILNS1_25lookback_scan_determinismE0ELb1ELb1ES3_N6thrust23THRUST_200600_302600_NS6detail15normal_iteratorINS9_10device_ptrIdEEEENS9_16discard_iteratorINS9_11use_defaultEEEdNS9_4plusIvEEdEEDaPvRmT3_T4_T5_mT6_P12ihipStream_tbENKUlT_T0_E_clISt17integral_constantIbLb0EESW_IbLb1EEEEDaSS_ST_EUlSS_E0_NS1_11comp_targetILNS1_3genE3ELNS1_11target_archE908ELNS1_3gpuE7ELNS1_3repE0EEENS1_30default_config_static_selectorELNS0_4arch9wavefront6targetE1EEEvT1_: ; @_ZN7rocprim17ROCPRIM_400000_NS6detail17trampoline_kernelINS0_14default_configENS1_20scan_config_selectorIdEEZZNS1_9scan_implILNS1_25lookback_scan_determinismE0ELb1ELb1ES3_N6thrust23THRUST_200600_302600_NS6detail15normal_iteratorINS9_10device_ptrIdEEEENS9_16discard_iteratorINS9_11use_defaultEEEdNS9_4plusIvEEdEEDaPvRmT3_T4_T5_mT6_P12ihipStream_tbENKUlT_T0_E_clISt17integral_constantIbLb0EESW_IbLb1EEEEDaSS_ST_EUlSS_E0_NS1_11comp_targetILNS1_3genE3ELNS1_11target_archE908ELNS1_3gpuE7ELNS1_3repE0EEENS1_30default_config_static_selectorELNS0_4arch9wavefront6targetE1EEEvT1_
; %bb.0:
	.section	.rodata,"a",@progbits
	.p2align	6, 0x0
	.amdhsa_kernel _ZN7rocprim17ROCPRIM_400000_NS6detail17trampoline_kernelINS0_14default_configENS1_20scan_config_selectorIdEEZZNS1_9scan_implILNS1_25lookback_scan_determinismE0ELb1ELb1ES3_N6thrust23THRUST_200600_302600_NS6detail15normal_iteratorINS9_10device_ptrIdEEEENS9_16discard_iteratorINS9_11use_defaultEEEdNS9_4plusIvEEdEEDaPvRmT3_T4_T5_mT6_P12ihipStream_tbENKUlT_T0_E_clISt17integral_constantIbLb0EESW_IbLb1EEEEDaSS_ST_EUlSS_E0_NS1_11comp_targetILNS1_3genE3ELNS1_11target_archE908ELNS1_3gpuE7ELNS1_3repE0EEENS1_30default_config_static_selectorELNS0_4arch9wavefront6targetE1EEEvT1_
		.amdhsa_group_segment_fixed_size 0
		.amdhsa_private_segment_fixed_size 0
		.amdhsa_kernarg_size 48
		.amdhsa_user_sgpr_count 6
		.amdhsa_user_sgpr_private_segment_buffer 1
		.amdhsa_user_sgpr_dispatch_ptr 0
		.amdhsa_user_sgpr_queue_ptr 0
		.amdhsa_user_sgpr_kernarg_segment_ptr 1
		.amdhsa_user_sgpr_dispatch_id 0
		.amdhsa_user_sgpr_flat_scratch_init 0
		.amdhsa_user_sgpr_kernarg_preload_length 0
		.amdhsa_user_sgpr_kernarg_preload_offset 0
		.amdhsa_user_sgpr_private_segment_size 0
		.amdhsa_uses_dynamic_stack 0
		.amdhsa_system_sgpr_private_segment_wavefront_offset 0
		.amdhsa_system_sgpr_workgroup_id_x 1
		.amdhsa_system_sgpr_workgroup_id_y 0
		.amdhsa_system_sgpr_workgroup_id_z 0
		.amdhsa_system_sgpr_workgroup_info 0
		.amdhsa_system_vgpr_workitem_id 0
		.amdhsa_next_free_vgpr 1
		.amdhsa_next_free_sgpr 0
		.amdhsa_accum_offset 4
		.amdhsa_reserve_vcc 0
		.amdhsa_reserve_flat_scratch 0
		.amdhsa_float_round_mode_32 0
		.amdhsa_float_round_mode_16_64 0
		.amdhsa_float_denorm_mode_32 3
		.amdhsa_float_denorm_mode_16_64 3
		.amdhsa_dx10_clamp 1
		.amdhsa_ieee_mode 1
		.amdhsa_fp16_overflow 0
		.amdhsa_tg_split 0
		.amdhsa_exception_fp_ieee_invalid_op 0
		.amdhsa_exception_fp_denorm_src 0
		.amdhsa_exception_fp_ieee_div_zero 0
		.amdhsa_exception_fp_ieee_overflow 0
		.amdhsa_exception_fp_ieee_underflow 0
		.amdhsa_exception_fp_ieee_inexact 0
		.amdhsa_exception_int_div_zero 0
	.end_amdhsa_kernel
	.section	.text._ZN7rocprim17ROCPRIM_400000_NS6detail17trampoline_kernelINS0_14default_configENS1_20scan_config_selectorIdEEZZNS1_9scan_implILNS1_25lookback_scan_determinismE0ELb1ELb1ES3_N6thrust23THRUST_200600_302600_NS6detail15normal_iteratorINS9_10device_ptrIdEEEENS9_16discard_iteratorINS9_11use_defaultEEEdNS9_4plusIvEEdEEDaPvRmT3_T4_T5_mT6_P12ihipStream_tbENKUlT_T0_E_clISt17integral_constantIbLb0EESW_IbLb1EEEEDaSS_ST_EUlSS_E0_NS1_11comp_targetILNS1_3genE3ELNS1_11target_archE908ELNS1_3gpuE7ELNS1_3repE0EEENS1_30default_config_static_selectorELNS0_4arch9wavefront6targetE1EEEvT1_,"axG",@progbits,_ZN7rocprim17ROCPRIM_400000_NS6detail17trampoline_kernelINS0_14default_configENS1_20scan_config_selectorIdEEZZNS1_9scan_implILNS1_25lookback_scan_determinismE0ELb1ELb1ES3_N6thrust23THRUST_200600_302600_NS6detail15normal_iteratorINS9_10device_ptrIdEEEENS9_16discard_iteratorINS9_11use_defaultEEEdNS9_4plusIvEEdEEDaPvRmT3_T4_T5_mT6_P12ihipStream_tbENKUlT_T0_E_clISt17integral_constantIbLb0EESW_IbLb1EEEEDaSS_ST_EUlSS_E0_NS1_11comp_targetILNS1_3genE3ELNS1_11target_archE908ELNS1_3gpuE7ELNS1_3repE0EEENS1_30default_config_static_selectorELNS0_4arch9wavefront6targetE1EEEvT1_,comdat
.Lfunc_end5000:
	.size	_ZN7rocprim17ROCPRIM_400000_NS6detail17trampoline_kernelINS0_14default_configENS1_20scan_config_selectorIdEEZZNS1_9scan_implILNS1_25lookback_scan_determinismE0ELb1ELb1ES3_N6thrust23THRUST_200600_302600_NS6detail15normal_iteratorINS9_10device_ptrIdEEEENS9_16discard_iteratorINS9_11use_defaultEEEdNS9_4plusIvEEdEEDaPvRmT3_T4_T5_mT6_P12ihipStream_tbENKUlT_T0_E_clISt17integral_constantIbLb0EESW_IbLb1EEEEDaSS_ST_EUlSS_E0_NS1_11comp_targetILNS1_3genE3ELNS1_11target_archE908ELNS1_3gpuE7ELNS1_3repE0EEENS1_30default_config_static_selectorELNS0_4arch9wavefront6targetE1EEEvT1_, .Lfunc_end5000-_ZN7rocprim17ROCPRIM_400000_NS6detail17trampoline_kernelINS0_14default_configENS1_20scan_config_selectorIdEEZZNS1_9scan_implILNS1_25lookback_scan_determinismE0ELb1ELb1ES3_N6thrust23THRUST_200600_302600_NS6detail15normal_iteratorINS9_10device_ptrIdEEEENS9_16discard_iteratorINS9_11use_defaultEEEdNS9_4plusIvEEdEEDaPvRmT3_T4_T5_mT6_P12ihipStream_tbENKUlT_T0_E_clISt17integral_constantIbLb0EESW_IbLb1EEEEDaSS_ST_EUlSS_E0_NS1_11comp_targetILNS1_3genE3ELNS1_11target_archE908ELNS1_3gpuE7ELNS1_3repE0EEENS1_30default_config_static_selectorELNS0_4arch9wavefront6targetE1EEEvT1_
                                        ; -- End function
	.section	.AMDGPU.csdata,"",@progbits
; Kernel info:
; codeLenInByte = 0
; NumSgprs: 4
; NumVgprs: 0
; NumAgprs: 0
; TotalNumVgprs: 0
; ScratchSize: 0
; MemoryBound: 0
; FloatMode: 240
; IeeeMode: 1
; LDSByteSize: 0 bytes/workgroup (compile time only)
; SGPRBlocks: 0
; VGPRBlocks: 0
; NumSGPRsForWavesPerEU: 4
; NumVGPRsForWavesPerEU: 1
; AccumOffset: 4
; Occupancy: 8
; WaveLimiterHint : 0
; COMPUTE_PGM_RSRC2:SCRATCH_EN: 0
; COMPUTE_PGM_RSRC2:USER_SGPR: 6
; COMPUTE_PGM_RSRC2:TRAP_HANDLER: 0
; COMPUTE_PGM_RSRC2:TGID_X_EN: 1
; COMPUTE_PGM_RSRC2:TGID_Y_EN: 0
; COMPUTE_PGM_RSRC2:TGID_Z_EN: 0
; COMPUTE_PGM_RSRC2:TIDIG_COMP_CNT: 0
; COMPUTE_PGM_RSRC3_GFX90A:ACCUM_OFFSET: 0
; COMPUTE_PGM_RSRC3_GFX90A:TG_SPLIT: 0
	.section	.text._ZN7rocprim17ROCPRIM_400000_NS6detail17trampoline_kernelINS0_14default_configENS1_20scan_config_selectorIdEEZZNS1_9scan_implILNS1_25lookback_scan_determinismE0ELb1ELb1ES3_N6thrust23THRUST_200600_302600_NS6detail15normal_iteratorINS9_10device_ptrIdEEEENS9_16discard_iteratorINS9_11use_defaultEEEdNS9_4plusIvEEdEEDaPvRmT3_T4_T5_mT6_P12ihipStream_tbENKUlT_T0_E_clISt17integral_constantIbLb0EESW_IbLb1EEEEDaSS_ST_EUlSS_E0_NS1_11comp_targetILNS1_3genE2ELNS1_11target_archE906ELNS1_3gpuE6ELNS1_3repE0EEENS1_30default_config_static_selectorELNS0_4arch9wavefront6targetE1EEEvT1_,"axG",@progbits,_ZN7rocprim17ROCPRIM_400000_NS6detail17trampoline_kernelINS0_14default_configENS1_20scan_config_selectorIdEEZZNS1_9scan_implILNS1_25lookback_scan_determinismE0ELb1ELb1ES3_N6thrust23THRUST_200600_302600_NS6detail15normal_iteratorINS9_10device_ptrIdEEEENS9_16discard_iteratorINS9_11use_defaultEEEdNS9_4plusIvEEdEEDaPvRmT3_T4_T5_mT6_P12ihipStream_tbENKUlT_T0_E_clISt17integral_constantIbLb0EESW_IbLb1EEEEDaSS_ST_EUlSS_E0_NS1_11comp_targetILNS1_3genE2ELNS1_11target_archE906ELNS1_3gpuE6ELNS1_3repE0EEENS1_30default_config_static_selectorELNS0_4arch9wavefront6targetE1EEEvT1_,comdat
	.protected	_ZN7rocprim17ROCPRIM_400000_NS6detail17trampoline_kernelINS0_14default_configENS1_20scan_config_selectorIdEEZZNS1_9scan_implILNS1_25lookback_scan_determinismE0ELb1ELb1ES3_N6thrust23THRUST_200600_302600_NS6detail15normal_iteratorINS9_10device_ptrIdEEEENS9_16discard_iteratorINS9_11use_defaultEEEdNS9_4plusIvEEdEEDaPvRmT3_T4_T5_mT6_P12ihipStream_tbENKUlT_T0_E_clISt17integral_constantIbLb0EESW_IbLb1EEEEDaSS_ST_EUlSS_E0_NS1_11comp_targetILNS1_3genE2ELNS1_11target_archE906ELNS1_3gpuE6ELNS1_3repE0EEENS1_30default_config_static_selectorELNS0_4arch9wavefront6targetE1EEEvT1_ ; -- Begin function _ZN7rocprim17ROCPRIM_400000_NS6detail17trampoline_kernelINS0_14default_configENS1_20scan_config_selectorIdEEZZNS1_9scan_implILNS1_25lookback_scan_determinismE0ELb1ELb1ES3_N6thrust23THRUST_200600_302600_NS6detail15normal_iteratorINS9_10device_ptrIdEEEENS9_16discard_iteratorINS9_11use_defaultEEEdNS9_4plusIvEEdEEDaPvRmT3_T4_T5_mT6_P12ihipStream_tbENKUlT_T0_E_clISt17integral_constantIbLb0EESW_IbLb1EEEEDaSS_ST_EUlSS_E0_NS1_11comp_targetILNS1_3genE2ELNS1_11target_archE906ELNS1_3gpuE6ELNS1_3repE0EEENS1_30default_config_static_selectorELNS0_4arch9wavefront6targetE1EEEvT1_
	.globl	_ZN7rocprim17ROCPRIM_400000_NS6detail17trampoline_kernelINS0_14default_configENS1_20scan_config_selectorIdEEZZNS1_9scan_implILNS1_25lookback_scan_determinismE0ELb1ELb1ES3_N6thrust23THRUST_200600_302600_NS6detail15normal_iteratorINS9_10device_ptrIdEEEENS9_16discard_iteratorINS9_11use_defaultEEEdNS9_4plusIvEEdEEDaPvRmT3_T4_T5_mT6_P12ihipStream_tbENKUlT_T0_E_clISt17integral_constantIbLb0EESW_IbLb1EEEEDaSS_ST_EUlSS_E0_NS1_11comp_targetILNS1_3genE2ELNS1_11target_archE906ELNS1_3gpuE6ELNS1_3repE0EEENS1_30default_config_static_selectorELNS0_4arch9wavefront6targetE1EEEvT1_
	.p2align	8
	.type	_ZN7rocprim17ROCPRIM_400000_NS6detail17trampoline_kernelINS0_14default_configENS1_20scan_config_selectorIdEEZZNS1_9scan_implILNS1_25lookback_scan_determinismE0ELb1ELb1ES3_N6thrust23THRUST_200600_302600_NS6detail15normal_iteratorINS9_10device_ptrIdEEEENS9_16discard_iteratorINS9_11use_defaultEEEdNS9_4plusIvEEdEEDaPvRmT3_T4_T5_mT6_P12ihipStream_tbENKUlT_T0_E_clISt17integral_constantIbLb0EESW_IbLb1EEEEDaSS_ST_EUlSS_E0_NS1_11comp_targetILNS1_3genE2ELNS1_11target_archE906ELNS1_3gpuE6ELNS1_3repE0EEENS1_30default_config_static_selectorELNS0_4arch9wavefront6targetE1EEEvT1_,@function
_ZN7rocprim17ROCPRIM_400000_NS6detail17trampoline_kernelINS0_14default_configENS1_20scan_config_selectorIdEEZZNS1_9scan_implILNS1_25lookback_scan_determinismE0ELb1ELb1ES3_N6thrust23THRUST_200600_302600_NS6detail15normal_iteratorINS9_10device_ptrIdEEEENS9_16discard_iteratorINS9_11use_defaultEEEdNS9_4plusIvEEdEEDaPvRmT3_T4_T5_mT6_P12ihipStream_tbENKUlT_T0_E_clISt17integral_constantIbLb0EESW_IbLb1EEEEDaSS_ST_EUlSS_E0_NS1_11comp_targetILNS1_3genE2ELNS1_11target_archE906ELNS1_3gpuE6ELNS1_3repE0EEENS1_30default_config_static_selectorELNS0_4arch9wavefront6targetE1EEEvT1_: ; @_ZN7rocprim17ROCPRIM_400000_NS6detail17trampoline_kernelINS0_14default_configENS1_20scan_config_selectorIdEEZZNS1_9scan_implILNS1_25lookback_scan_determinismE0ELb1ELb1ES3_N6thrust23THRUST_200600_302600_NS6detail15normal_iteratorINS9_10device_ptrIdEEEENS9_16discard_iteratorINS9_11use_defaultEEEdNS9_4plusIvEEdEEDaPvRmT3_T4_T5_mT6_P12ihipStream_tbENKUlT_T0_E_clISt17integral_constantIbLb0EESW_IbLb1EEEEDaSS_ST_EUlSS_E0_NS1_11comp_targetILNS1_3genE2ELNS1_11target_archE906ELNS1_3gpuE6ELNS1_3repE0EEENS1_30default_config_static_selectorELNS0_4arch9wavefront6targetE1EEEvT1_
; %bb.0:
	.section	.rodata,"a",@progbits
	.p2align	6, 0x0
	.amdhsa_kernel _ZN7rocprim17ROCPRIM_400000_NS6detail17trampoline_kernelINS0_14default_configENS1_20scan_config_selectorIdEEZZNS1_9scan_implILNS1_25lookback_scan_determinismE0ELb1ELb1ES3_N6thrust23THRUST_200600_302600_NS6detail15normal_iteratorINS9_10device_ptrIdEEEENS9_16discard_iteratorINS9_11use_defaultEEEdNS9_4plusIvEEdEEDaPvRmT3_T4_T5_mT6_P12ihipStream_tbENKUlT_T0_E_clISt17integral_constantIbLb0EESW_IbLb1EEEEDaSS_ST_EUlSS_E0_NS1_11comp_targetILNS1_3genE2ELNS1_11target_archE906ELNS1_3gpuE6ELNS1_3repE0EEENS1_30default_config_static_selectorELNS0_4arch9wavefront6targetE1EEEvT1_
		.amdhsa_group_segment_fixed_size 0
		.amdhsa_private_segment_fixed_size 0
		.amdhsa_kernarg_size 48
		.amdhsa_user_sgpr_count 6
		.amdhsa_user_sgpr_private_segment_buffer 1
		.amdhsa_user_sgpr_dispatch_ptr 0
		.amdhsa_user_sgpr_queue_ptr 0
		.amdhsa_user_sgpr_kernarg_segment_ptr 1
		.amdhsa_user_sgpr_dispatch_id 0
		.amdhsa_user_sgpr_flat_scratch_init 0
		.amdhsa_user_sgpr_kernarg_preload_length 0
		.amdhsa_user_sgpr_kernarg_preload_offset 0
		.amdhsa_user_sgpr_private_segment_size 0
		.amdhsa_uses_dynamic_stack 0
		.amdhsa_system_sgpr_private_segment_wavefront_offset 0
		.amdhsa_system_sgpr_workgroup_id_x 1
		.amdhsa_system_sgpr_workgroup_id_y 0
		.amdhsa_system_sgpr_workgroup_id_z 0
		.amdhsa_system_sgpr_workgroup_info 0
		.amdhsa_system_vgpr_workitem_id 0
		.amdhsa_next_free_vgpr 1
		.amdhsa_next_free_sgpr 0
		.amdhsa_accum_offset 4
		.amdhsa_reserve_vcc 0
		.amdhsa_reserve_flat_scratch 0
		.amdhsa_float_round_mode_32 0
		.amdhsa_float_round_mode_16_64 0
		.amdhsa_float_denorm_mode_32 3
		.amdhsa_float_denorm_mode_16_64 3
		.amdhsa_dx10_clamp 1
		.amdhsa_ieee_mode 1
		.amdhsa_fp16_overflow 0
		.amdhsa_tg_split 0
		.amdhsa_exception_fp_ieee_invalid_op 0
		.amdhsa_exception_fp_denorm_src 0
		.amdhsa_exception_fp_ieee_div_zero 0
		.amdhsa_exception_fp_ieee_overflow 0
		.amdhsa_exception_fp_ieee_underflow 0
		.amdhsa_exception_fp_ieee_inexact 0
		.amdhsa_exception_int_div_zero 0
	.end_amdhsa_kernel
	.section	.text._ZN7rocprim17ROCPRIM_400000_NS6detail17trampoline_kernelINS0_14default_configENS1_20scan_config_selectorIdEEZZNS1_9scan_implILNS1_25lookback_scan_determinismE0ELb1ELb1ES3_N6thrust23THRUST_200600_302600_NS6detail15normal_iteratorINS9_10device_ptrIdEEEENS9_16discard_iteratorINS9_11use_defaultEEEdNS9_4plusIvEEdEEDaPvRmT3_T4_T5_mT6_P12ihipStream_tbENKUlT_T0_E_clISt17integral_constantIbLb0EESW_IbLb1EEEEDaSS_ST_EUlSS_E0_NS1_11comp_targetILNS1_3genE2ELNS1_11target_archE906ELNS1_3gpuE6ELNS1_3repE0EEENS1_30default_config_static_selectorELNS0_4arch9wavefront6targetE1EEEvT1_,"axG",@progbits,_ZN7rocprim17ROCPRIM_400000_NS6detail17trampoline_kernelINS0_14default_configENS1_20scan_config_selectorIdEEZZNS1_9scan_implILNS1_25lookback_scan_determinismE0ELb1ELb1ES3_N6thrust23THRUST_200600_302600_NS6detail15normal_iteratorINS9_10device_ptrIdEEEENS9_16discard_iteratorINS9_11use_defaultEEEdNS9_4plusIvEEdEEDaPvRmT3_T4_T5_mT6_P12ihipStream_tbENKUlT_T0_E_clISt17integral_constantIbLb0EESW_IbLb1EEEEDaSS_ST_EUlSS_E0_NS1_11comp_targetILNS1_3genE2ELNS1_11target_archE906ELNS1_3gpuE6ELNS1_3repE0EEENS1_30default_config_static_selectorELNS0_4arch9wavefront6targetE1EEEvT1_,comdat
.Lfunc_end5001:
	.size	_ZN7rocprim17ROCPRIM_400000_NS6detail17trampoline_kernelINS0_14default_configENS1_20scan_config_selectorIdEEZZNS1_9scan_implILNS1_25lookback_scan_determinismE0ELb1ELb1ES3_N6thrust23THRUST_200600_302600_NS6detail15normal_iteratorINS9_10device_ptrIdEEEENS9_16discard_iteratorINS9_11use_defaultEEEdNS9_4plusIvEEdEEDaPvRmT3_T4_T5_mT6_P12ihipStream_tbENKUlT_T0_E_clISt17integral_constantIbLb0EESW_IbLb1EEEEDaSS_ST_EUlSS_E0_NS1_11comp_targetILNS1_3genE2ELNS1_11target_archE906ELNS1_3gpuE6ELNS1_3repE0EEENS1_30default_config_static_selectorELNS0_4arch9wavefront6targetE1EEEvT1_, .Lfunc_end5001-_ZN7rocprim17ROCPRIM_400000_NS6detail17trampoline_kernelINS0_14default_configENS1_20scan_config_selectorIdEEZZNS1_9scan_implILNS1_25lookback_scan_determinismE0ELb1ELb1ES3_N6thrust23THRUST_200600_302600_NS6detail15normal_iteratorINS9_10device_ptrIdEEEENS9_16discard_iteratorINS9_11use_defaultEEEdNS9_4plusIvEEdEEDaPvRmT3_T4_T5_mT6_P12ihipStream_tbENKUlT_T0_E_clISt17integral_constantIbLb0EESW_IbLb1EEEEDaSS_ST_EUlSS_E0_NS1_11comp_targetILNS1_3genE2ELNS1_11target_archE906ELNS1_3gpuE6ELNS1_3repE0EEENS1_30default_config_static_selectorELNS0_4arch9wavefront6targetE1EEEvT1_
                                        ; -- End function
	.section	.AMDGPU.csdata,"",@progbits
; Kernel info:
; codeLenInByte = 0
; NumSgprs: 4
; NumVgprs: 0
; NumAgprs: 0
; TotalNumVgprs: 0
; ScratchSize: 0
; MemoryBound: 0
; FloatMode: 240
; IeeeMode: 1
; LDSByteSize: 0 bytes/workgroup (compile time only)
; SGPRBlocks: 0
; VGPRBlocks: 0
; NumSGPRsForWavesPerEU: 4
; NumVGPRsForWavesPerEU: 1
; AccumOffset: 4
; Occupancy: 8
; WaveLimiterHint : 0
; COMPUTE_PGM_RSRC2:SCRATCH_EN: 0
; COMPUTE_PGM_RSRC2:USER_SGPR: 6
; COMPUTE_PGM_RSRC2:TRAP_HANDLER: 0
; COMPUTE_PGM_RSRC2:TGID_X_EN: 1
; COMPUTE_PGM_RSRC2:TGID_Y_EN: 0
; COMPUTE_PGM_RSRC2:TGID_Z_EN: 0
; COMPUTE_PGM_RSRC2:TIDIG_COMP_CNT: 0
; COMPUTE_PGM_RSRC3_GFX90A:ACCUM_OFFSET: 0
; COMPUTE_PGM_RSRC3_GFX90A:TG_SPLIT: 0
	.section	.text._ZN7rocprim17ROCPRIM_400000_NS6detail17trampoline_kernelINS0_14default_configENS1_20scan_config_selectorIdEEZZNS1_9scan_implILNS1_25lookback_scan_determinismE0ELb1ELb1ES3_N6thrust23THRUST_200600_302600_NS6detail15normal_iteratorINS9_10device_ptrIdEEEENS9_16discard_iteratorINS9_11use_defaultEEEdNS9_4plusIvEEdEEDaPvRmT3_T4_T5_mT6_P12ihipStream_tbENKUlT_T0_E_clISt17integral_constantIbLb0EESW_IbLb1EEEEDaSS_ST_EUlSS_E0_NS1_11comp_targetILNS1_3genE10ELNS1_11target_archE1201ELNS1_3gpuE5ELNS1_3repE0EEENS1_30default_config_static_selectorELNS0_4arch9wavefront6targetE1EEEvT1_,"axG",@progbits,_ZN7rocprim17ROCPRIM_400000_NS6detail17trampoline_kernelINS0_14default_configENS1_20scan_config_selectorIdEEZZNS1_9scan_implILNS1_25lookback_scan_determinismE0ELb1ELb1ES3_N6thrust23THRUST_200600_302600_NS6detail15normal_iteratorINS9_10device_ptrIdEEEENS9_16discard_iteratorINS9_11use_defaultEEEdNS9_4plusIvEEdEEDaPvRmT3_T4_T5_mT6_P12ihipStream_tbENKUlT_T0_E_clISt17integral_constantIbLb0EESW_IbLb1EEEEDaSS_ST_EUlSS_E0_NS1_11comp_targetILNS1_3genE10ELNS1_11target_archE1201ELNS1_3gpuE5ELNS1_3repE0EEENS1_30default_config_static_selectorELNS0_4arch9wavefront6targetE1EEEvT1_,comdat
	.protected	_ZN7rocprim17ROCPRIM_400000_NS6detail17trampoline_kernelINS0_14default_configENS1_20scan_config_selectorIdEEZZNS1_9scan_implILNS1_25lookback_scan_determinismE0ELb1ELb1ES3_N6thrust23THRUST_200600_302600_NS6detail15normal_iteratorINS9_10device_ptrIdEEEENS9_16discard_iteratorINS9_11use_defaultEEEdNS9_4plusIvEEdEEDaPvRmT3_T4_T5_mT6_P12ihipStream_tbENKUlT_T0_E_clISt17integral_constantIbLb0EESW_IbLb1EEEEDaSS_ST_EUlSS_E0_NS1_11comp_targetILNS1_3genE10ELNS1_11target_archE1201ELNS1_3gpuE5ELNS1_3repE0EEENS1_30default_config_static_selectorELNS0_4arch9wavefront6targetE1EEEvT1_ ; -- Begin function _ZN7rocprim17ROCPRIM_400000_NS6detail17trampoline_kernelINS0_14default_configENS1_20scan_config_selectorIdEEZZNS1_9scan_implILNS1_25lookback_scan_determinismE0ELb1ELb1ES3_N6thrust23THRUST_200600_302600_NS6detail15normal_iteratorINS9_10device_ptrIdEEEENS9_16discard_iteratorINS9_11use_defaultEEEdNS9_4plusIvEEdEEDaPvRmT3_T4_T5_mT6_P12ihipStream_tbENKUlT_T0_E_clISt17integral_constantIbLb0EESW_IbLb1EEEEDaSS_ST_EUlSS_E0_NS1_11comp_targetILNS1_3genE10ELNS1_11target_archE1201ELNS1_3gpuE5ELNS1_3repE0EEENS1_30default_config_static_selectorELNS0_4arch9wavefront6targetE1EEEvT1_
	.globl	_ZN7rocprim17ROCPRIM_400000_NS6detail17trampoline_kernelINS0_14default_configENS1_20scan_config_selectorIdEEZZNS1_9scan_implILNS1_25lookback_scan_determinismE0ELb1ELb1ES3_N6thrust23THRUST_200600_302600_NS6detail15normal_iteratorINS9_10device_ptrIdEEEENS9_16discard_iteratorINS9_11use_defaultEEEdNS9_4plusIvEEdEEDaPvRmT3_T4_T5_mT6_P12ihipStream_tbENKUlT_T0_E_clISt17integral_constantIbLb0EESW_IbLb1EEEEDaSS_ST_EUlSS_E0_NS1_11comp_targetILNS1_3genE10ELNS1_11target_archE1201ELNS1_3gpuE5ELNS1_3repE0EEENS1_30default_config_static_selectorELNS0_4arch9wavefront6targetE1EEEvT1_
	.p2align	8
	.type	_ZN7rocprim17ROCPRIM_400000_NS6detail17trampoline_kernelINS0_14default_configENS1_20scan_config_selectorIdEEZZNS1_9scan_implILNS1_25lookback_scan_determinismE0ELb1ELb1ES3_N6thrust23THRUST_200600_302600_NS6detail15normal_iteratorINS9_10device_ptrIdEEEENS9_16discard_iteratorINS9_11use_defaultEEEdNS9_4plusIvEEdEEDaPvRmT3_T4_T5_mT6_P12ihipStream_tbENKUlT_T0_E_clISt17integral_constantIbLb0EESW_IbLb1EEEEDaSS_ST_EUlSS_E0_NS1_11comp_targetILNS1_3genE10ELNS1_11target_archE1201ELNS1_3gpuE5ELNS1_3repE0EEENS1_30default_config_static_selectorELNS0_4arch9wavefront6targetE1EEEvT1_,@function
_ZN7rocprim17ROCPRIM_400000_NS6detail17trampoline_kernelINS0_14default_configENS1_20scan_config_selectorIdEEZZNS1_9scan_implILNS1_25lookback_scan_determinismE0ELb1ELb1ES3_N6thrust23THRUST_200600_302600_NS6detail15normal_iteratorINS9_10device_ptrIdEEEENS9_16discard_iteratorINS9_11use_defaultEEEdNS9_4plusIvEEdEEDaPvRmT3_T4_T5_mT6_P12ihipStream_tbENKUlT_T0_E_clISt17integral_constantIbLb0EESW_IbLb1EEEEDaSS_ST_EUlSS_E0_NS1_11comp_targetILNS1_3genE10ELNS1_11target_archE1201ELNS1_3gpuE5ELNS1_3repE0EEENS1_30default_config_static_selectorELNS0_4arch9wavefront6targetE1EEEvT1_: ; @_ZN7rocprim17ROCPRIM_400000_NS6detail17trampoline_kernelINS0_14default_configENS1_20scan_config_selectorIdEEZZNS1_9scan_implILNS1_25lookback_scan_determinismE0ELb1ELb1ES3_N6thrust23THRUST_200600_302600_NS6detail15normal_iteratorINS9_10device_ptrIdEEEENS9_16discard_iteratorINS9_11use_defaultEEEdNS9_4plusIvEEdEEDaPvRmT3_T4_T5_mT6_P12ihipStream_tbENKUlT_T0_E_clISt17integral_constantIbLb0EESW_IbLb1EEEEDaSS_ST_EUlSS_E0_NS1_11comp_targetILNS1_3genE10ELNS1_11target_archE1201ELNS1_3gpuE5ELNS1_3repE0EEENS1_30default_config_static_selectorELNS0_4arch9wavefront6targetE1EEEvT1_
; %bb.0:
	.section	.rodata,"a",@progbits
	.p2align	6, 0x0
	.amdhsa_kernel _ZN7rocprim17ROCPRIM_400000_NS6detail17trampoline_kernelINS0_14default_configENS1_20scan_config_selectorIdEEZZNS1_9scan_implILNS1_25lookback_scan_determinismE0ELb1ELb1ES3_N6thrust23THRUST_200600_302600_NS6detail15normal_iteratorINS9_10device_ptrIdEEEENS9_16discard_iteratorINS9_11use_defaultEEEdNS9_4plusIvEEdEEDaPvRmT3_T4_T5_mT6_P12ihipStream_tbENKUlT_T0_E_clISt17integral_constantIbLb0EESW_IbLb1EEEEDaSS_ST_EUlSS_E0_NS1_11comp_targetILNS1_3genE10ELNS1_11target_archE1201ELNS1_3gpuE5ELNS1_3repE0EEENS1_30default_config_static_selectorELNS0_4arch9wavefront6targetE1EEEvT1_
		.amdhsa_group_segment_fixed_size 0
		.amdhsa_private_segment_fixed_size 0
		.amdhsa_kernarg_size 48
		.amdhsa_user_sgpr_count 6
		.amdhsa_user_sgpr_private_segment_buffer 1
		.amdhsa_user_sgpr_dispatch_ptr 0
		.amdhsa_user_sgpr_queue_ptr 0
		.amdhsa_user_sgpr_kernarg_segment_ptr 1
		.amdhsa_user_sgpr_dispatch_id 0
		.amdhsa_user_sgpr_flat_scratch_init 0
		.amdhsa_user_sgpr_kernarg_preload_length 0
		.amdhsa_user_sgpr_kernarg_preload_offset 0
		.amdhsa_user_sgpr_private_segment_size 0
		.amdhsa_uses_dynamic_stack 0
		.amdhsa_system_sgpr_private_segment_wavefront_offset 0
		.amdhsa_system_sgpr_workgroup_id_x 1
		.amdhsa_system_sgpr_workgroup_id_y 0
		.amdhsa_system_sgpr_workgroup_id_z 0
		.amdhsa_system_sgpr_workgroup_info 0
		.amdhsa_system_vgpr_workitem_id 0
		.amdhsa_next_free_vgpr 1
		.amdhsa_next_free_sgpr 0
		.amdhsa_accum_offset 4
		.amdhsa_reserve_vcc 0
		.amdhsa_reserve_flat_scratch 0
		.amdhsa_float_round_mode_32 0
		.amdhsa_float_round_mode_16_64 0
		.amdhsa_float_denorm_mode_32 3
		.amdhsa_float_denorm_mode_16_64 3
		.amdhsa_dx10_clamp 1
		.amdhsa_ieee_mode 1
		.amdhsa_fp16_overflow 0
		.amdhsa_tg_split 0
		.amdhsa_exception_fp_ieee_invalid_op 0
		.amdhsa_exception_fp_denorm_src 0
		.amdhsa_exception_fp_ieee_div_zero 0
		.amdhsa_exception_fp_ieee_overflow 0
		.amdhsa_exception_fp_ieee_underflow 0
		.amdhsa_exception_fp_ieee_inexact 0
		.amdhsa_exception_int_div_zero 0
	.end_amdhsa_kernel
	.section	.text._ZN7rocprim17ROCPRIM_400000_NS6detail17trampoline_kernelINS0_14default_configENS1_20scan_config_selectorIdEEZZNS1_9scan_implILNS1_25lookback_scan_determinismE0ELb1ELb1ES3_N6thrust23THRUST_200600_302600_NS6detail15normal_iteratorINS9_10device_ptrIdEEEENS9_16discard_iteratorINS9_11use_defaultEEEdNS9_4plusIvEEdEEDaPvRmT3_T4_T5_mT6_P12ihipStream_tbENKUlT_T0_E_clISt17integral_constantIbLb0EESW_IbLb1EEEEDaSS_ST_EUlSS_E0_NS1_11comp_targetILNS1_3genE10ELNS1_11target_archE1201ELNS1_3gpuE5ELNS1_3repE0EEENS1_30default_config_static_selectorELNS0_4arch9wavefront6targetE1EEEvT1_,"axG",@progbits,_ZN7rocprim17ROCPRIM_400000_NS6detail17trampoline_kernelINS0_14default_configENS1_20scan_config_selectorIdEEZZNS1_9scan_implILNS1_25lookback_scan_determinismE0ELb1ELb1ES3_N6thrust23THRUST_200600_302600_NS6detail15normal_iteratorINS9_10device_ptrIdEEEENS9_16discard_iteratorINS9_11use_defaultEEEdNS9_4plusIvEEdEEDaPvRmT3_T4_T5_mT6_P12ihipStream_tbENKUlT_T0_E_clISt17integral_constantIbLb0EESW_IbLb1EEEEDaSS_ST_EUlSS_E0_NS1_11comp_targetILNS1_3genE10ELNS1_11target_archE1201ELNS1_3gpuE5ELNS1_3repE0EEENS1_30default_config_static_selectorELNS0_4arch9wavefront6targetE1EEEvT1_,comdat
.Lfunc_end5002:
	.size	_ZN7rocprim17ROCPRIM_400000_NS6detail17trampoline_kernelINS0_14default_configENS1_20scan_config_selectorIdEEZZNS1_9scan_implILNS1_25lookback_scan_determinismE0ELb1ELb1ES3_N6thrust23THRUST_200600_302600_NS6detail15normal_iteratorINS9_10device_ptrIdEEEENS9_16discard_iteratorINS9_11use_defaultEEEdNS9_4plusIvEEdEEDaPvRmT3_T4_T5_mT6_P12ihipStream_tbENKUlT_T0_E_clISt17integral_constantIbLb0EESW_IbLb1EEEEDaSS_ST_EUlSS_E0_NS1_11comp_targetILNS1_3genE10ELNS1_11target_archE1201ELNS1_3gpuE5ELNS1_3repE0EEENS1_30default_config_static_selectorELNS0_4arch9wavefront6targetE1EEEvT1_, .Lfunc_end5002-_ZN7rocprim17ROCPRIM_400000_NS6detail17trampoline_kernelINS0_14default_configENS1_20scan_config_selectorIdEEZZNS1_9scan_implILNS1_25lookback_scan_determinismE0ELb1ELb1ES3_N6thrust23THRUST_200600_302600_NS6detail15normal_iteratorINS9_10device_ptrIdEEEENS9_16discard_iteratorINS9_11use_defaultEEEdNS9_4plusIvEEdEEDaPvRmT3_T4_T5_mT6_P12ihipStream_tbENKUlT_T0_E_clISt17integral_constantIbLb0EESW_IbLb1EEEEDaSS_ST_EUlSS_E0_NS1_11comp_targetILNS1_3genE10ELNS1_11target_archE1201ELNS1_3gpuE5ELNS1_3repE0EEENS1_30default_config_static_selectorELNS0_4arch9wavefront6targetE1EEEvT1_
                                        ; -- End function
	.section	.AMDGPU.csdata,"",@progbits
; Kernel info:
; codeLenInByte = 0
; NumSgprs: 4
; NumVgprs: 0
; NumAgprs: 0
; TotalNumVgprs: 0
; ScratchSize: 0
; MemoryBound: 0
; FloatMode: 240
; IeeeMode: 1
; LDSByteSize: 0 bytes/workgroup (compile time only)
; SGPRBlocks: 0
; VGPRBlocks: 0
; NumSGPRsForWavesPerEU: 4
; NumVGPRsForWavesPerEU: 1
; AccumOffset: 4
; Occupancy: 8
; WaveLimiterHint : 0
; COMPUTE_PGM_RSRC2:SCRATCH_EN: 0
; COMPUTE_PGM_RSRC2:USER_SGPR: 6
; COMPUTE_PGM_RSRC2:TRAP_HANDLER: 0
; COMPUTE_PGM_RSRC2:TGID_X_EN: 1
; COMPUTE_PGM_RSRC2:TGID_Y_EN: 0
; COMPUTE_PGM_RSRC2:TGID_Z_EN: 0
; COMPUTE_PGM_RSRC2:TIDIG_COMP_CNT: 0
; COMPUTE_PGM_RSRC3_GFX90A:ACCUM_OFFSET: 0
; COMPUTE_PGM_RSRC3_GFX90A:TG_SPLIT: 0
	.section	.text._ZN7rocprim17ROCPRIM_400000_NS6detail17trampoline_kernelINS0_14default_configENS1_20scan_config_selectorIdEEZZNS1_9scan_implILNS1_25lookback_scan_determinismE0ELb1ELb1ES3_N6thrust23THRUST_200600_302600_NS6detail15normal_iteratorINS9_10device_ptrIdEEEENS9_16discard_iteratorINS9_11use_defaultEEEdNS9_4plusIvEEdEEDaPvRmT3_T4_T5_mT6_P12ihipStream_tbENKUlT_T0_E_clISt17integral_constantIbLb0EESW_IbLb1EEEEDaSS_ST_EUlSS_E0_NS1_11comp_targetILNS1_3genE10ELNS1_11target_archE1200ELNS1_3gpuE4ELNS1_3repE0EEENS1_30default_config_static_selectorELNS0_4arch9wavefront6targetE1EEEvT1_,"axG",@progbits,_ZN7rocprim17ROCPRIM_400000_NS6detail17trampoline_kernelINS0_14default_configENS1_20scan_config_selectorIdEEZZNS1_9scan_implILNS1_25lookback_scan_determinismE0ELb1ELb1ES3_N6thrust23THRUST_200600_302600_NS6detail15normal_iteratorINS9_10device_ptrIdEEEENS9_16discard_iteratorINS9_11use_defaultEEEdNS9_4plusIvEEdEEDaPvRmT3_T4_T5_mT6_P12ihipStream_tbENKUlT_T0_E_clISt17integral_constantIbLb0EESW_IbLb1EEEEDaSS_ST_EUlSS_E0_NS1_11comp_targetILNS1_3genE10ELNS1_11target_archE1200ELNS1_3gpuE4ELNS1_3repE0EEENS1_30default_config_static_selectorELNS0_4arch9wavefront6targetE1EEEvT1_,comdat
	.protected	_ZN7rocprim17ROCPRIM_400000_NS6detail17trampoline_kernelINS0_14default_configENS1_20scan_config_selectorIdEEZZNS1_9scan_implILNS1_25lookback_scan_determinismE0ELb1ELb1ES3_N6thrust23THRUST_200600_302600_NS6detail15normal_iteratorINS9_10device_ptrIdEEEENS9_16discard_iteratorINS9_11use_defaultEEEdNS9_4plusIvEEdEEDaPvRmT3_T4_T5_mT6_P12ihipStream_tbENKUlT_T0_E_clISt17integral_constantIbLb0EESW_IbLb1EEEEDaSS_ST_EUlSS_E0_NS1_11comp_targetILNS1_3genE10ELNS1_11target_archE1200ELNS1_3gpuE4ELNS1_3repE0EEENS1_30default_config_static_selectorELNS0_4arch9wavefront6targetE1EEEvT1_ ; -- Begin function _ZN7rocprim17ROCPRIM_400000_NS6detail17trampoline_kernelINS0_14default_configENS1_20scan_config_selectorIdEEZZNS1_9scan_implILNS1_25lookback_scan_determinismE0ELb1ELb1ES3_N6thrust23THRUST_200600_302600_NS6detail15normal_iteratorINS9_10device_ptrIdEEEENS9_16discard_iteratorINS9_11use_defaultEEEdNS9_4plusIvEEdEEDaPvRmT3_T4_T5_mT6_P12ihipStream_tbENKUlT_T0_E_clISt17integral_constantIbLb0EESW_IbLb1EEEEDaSS_ST_EUlSS_E0_NS1_11comp_targetILNS1_3genE10ELNS1_11target_archE1200ELNS1_3gpuE4ELNS1_3repE0EEENS1_30default_config_static_selectorELNS0_4arch9wavefront6targetE1EEEvT1_
	.globl	_ZN7rocprim17ROCPRIM_400000_NS6detail17trampoline_kernelINS0_14default_configENS1_20scan_config_selectorIdEEZZNS1_9scan_implILNS1_25lookback_scan_determinismE0ELb1ELb1ES3_N6thrust23THRUST_200600_302600_NS6detail15normal_iteratorINS9_10device_ptrIdEEEENS9_16discard_iteratorINS9_11use_defaultEEEdNS9_4plusIvEEdEEDaPvRmT3_T4_T5_mT6_P12ihipStream_tbENKUlT_T0_E_clISt17integral_constantIbLb0EESW_IbLb1EEEEDaSS_ST_EUlSS_E0_NS1_11comp_targetILNS1_3genE10ELNS1_11target_archE1200ELNS1_3gpuE4ELNS1_3repE0EEENS1_30default_config_static_selectorELNS0_4arch9wavefront6targetE1EEEvT1_
	.p2align	8
	.type	_ZN7rocprim17ROCPRIM_400000_NS6detail17trampoline_kernelINS0_14default_configENS1_20scan_config_selectorIdEEZZNS1_9scan_implILNS1_25lookback_scan_determinismE0ELb1ELb1ES3_N6thrust23THRUST_200600_302600_NS6detail15normal_iteratorINS9_10device_ptrIdEEEENS9_16discard_iteratorINS9_11use_defaultEEEdNS9_4plusIvEEdEEDaPvRmT3_T4_T5_mT6_P12ihipStream_tbENKUlT_T0_E_clISt17integral_constantIbLb0EESW_IbLb1EEEEDaSS_ST_EUlSS_E0_NS1_11comp_targetILNS1_3genE10ELNS1_11target_archE1200ELNS1_3gpuE4ELNS1_3repE0EEENS1_30default_config_static_selectorELNS0_4arch9wavefront6targetE1EEEvT1_,@function
_ZN7rocprim17ROCPRIM_400000_NS6detail17trampoline_kernelINS0_14default_configENS1_20scan_config_selectorIdEEZZNS1_9scan_implILNS1_25lookback_scan_determinismE0ELb1ELb1ES3_N6thrust23THRUST_200600_302600_NS6detail15normal_iteratorINS9_10device_ptrIdEEEENS9_16discard_iteratorINS9_11use_defaultEEEdNS9_4plusIvEEdEEDaPvRmT3_T4_T5_mT6_P12ihipStream_tbENKUlT_T0_E_clISt17integral_constantIbLb0EESW_IbLb1EEEEDaSS_ST_EUlSS_E0_NS1_11comp_targetILNS1_3genE10ELNS1_11target_archE1200ELNS1_3gpuE4ELNS1_3repE0EEENS1_30default_config_static_selectorELNS0_4arch9wavefront6targetE1EEEvT1_: ; @_ZN7rocprim17ROCPRIM_400000_NS6detail17trampoline_kernelINS0_14default_configENS1_20scan_config_selectorIdEEZZNS1_9scan_implILNS1_25lookback_scan_determinismE0ELb1ELb1ES3_N6thrust23THRUST_200600_302600_NS6detail15normal_iteratorINS9_10device_ptrIdEEEENS9_16discard_iteratorINS9_11use_defaultEEEdNS9_4plusIvEEdEEDaPvRmT3_T4_T5_mT6_P12ihipStream_tbENKUlT_T0_E_clISt17integral_constantIbLb0EESW_IbLb1EEEEDaSS_ST_EUlSS_E0_NS1_11comp_targetILNS1_3genE10ELNS1_11target_archE1200ELNS1_3gpuE4ELNS1_3repE0EEENS1_30default_config_static_selectorELNS0_4arch9wavefront6targetE1EEEvT1_
; %bb.0:
	.section	.rodata,"a",@progbits
	.p2align	6, 0x0
	.amdhsa_kernel _ZN7rocprim17ROCPRIM_400000_NS6detail17trampoline_kernelINS0_14default_configENS1_20scan_config_selectorIdEEZZNS1_9scan_implILNS1_25lookback_scan_determinismE0ELb1ELb1ES3_N6thrust23THRUST_200600_302600_NS6detail15normal_iteratorINS9_10device_ptrIdEEEENS9_16discard_iteratorINS9_11use_defaultEEEdNS9_4plusIvEEdEEDaPvRmT3_T4_T5_mT6_P12ihipStream_tbENKUlT_T0_E_clISt17integral_constantIbLb0EESW_IbLb1EEEEDaSS_ST_EUlSS_E0_NS1_11comp_targetILNS1_3genE10ELNS1_11target_archE1200ELNS1_3gpuE4ELNS1_3repE0EEENS1_30default_config_static_selectorELNS0_4arch9wavefront6targetE1EEEvT1_
		.amdhsa_group_segment_fixed_size 0
		.amdhsa_private_segment_fixed_size 0
		.amdhsa_kernarg_size 48
		.amdhsa_user_sgpr_count 6
		.amdhsa_user_sgpr_private_segment_buffer 1
		.amdhsa_user_sgpr_dispatch_ptr 0
		.amdhsa_user_sgpr_queue_ptr 0
		.amdhsa_user_sgpr_kernarg_segment_ptr 1
		.amdhsa_user_sgpr_dispatch_id 0
		.amdhsa_user_sgpr_flat_scratch_init 0
		.amdhsa_user_sgpr_kernarg_preload_length 0
		.amdhsa_user_sgpr_kernarg_preload_offset 0
		.amdhsa_user_sgpr_private_segment_size 0
		.amdhsa_uses_dynamic_stack 0
		.amdhsa_system_sgpr_private_segment_wavefront_offset 0
		.amdhsa_system_sgpr_workgroup_id_x 1
		.amdhsa_system_sgpr_workgroup_id_y 0
		.amdhsa_system_sgpr_workgroup_id_z 0
		.amdhsa_system_sgpr_workgroup_info 0
		.amdhsa_system_vgpr_workitem_id 0
		.amdhsa_next_free_vgpr 1
		.amdhsa_next_free_sgpr 0
		.amdhsa_accum_offset 4
		.amdhsa_reserve_vcc 0
		.amdhsa_reserve_flat_scratch 0
		.amdhsa_float_round_mode_32 0
		.amdhsa_float_round_mode_16_64 0
		.amdhsa_float_denorm_mode_32 3
		.amdhsa_float_denorm_mode_16_64 3
		.amdhsa_dx10_clamp 1
		.amdhsa_ieee_mode 1
		.amdhsa_fp16_overflow 0
		.amdhsa_tg_split 0
		.amdhsa_exception_fp_ieee_invalid_op 0
		.amdhsa_exception_fp_denorm_src 0
		.amdhsa_exception_fp_ieee_div_zero 0
		.amdhsa_exception_fp_ieee_overflow 0
		.amdhsa_exception_fp_ieee_underflow 0
		.amdhsa_exception_fp_ieee_inexact 0
		.amdhsa_exception_int_div_zero 0
	.end_amdhsa_kernel
	.section	.text._ZN7rocprim17ROCPRIM_400000_NS6detail17trampoline_kernelINS0_14default_configENS1_20scan_config_selectorIdEEZZNS1_9scan_implILNS1_25lookback_scan_determinismE0ELb1ELb1ES3_N6thrust23THRUST_200600_302600_NS6detail15normal_iteratorINS9_10device_ptrIdEEEENS9_16discard_iteratorINS9_11use_defaultEEEdNS9_4plusIvEEdEEDaPvRmT3_T4_T5_mT6_P12ihipStream_tbENKUlT_T0_E_clISt17integral_constantIbLb0EESW_IbLb1EEEEDaSS_ST_EUlSS_E0_NS1_11comp_targetILNS1_3genE10ELNS1_11target_archE1200ELNS1_3gpuE4ELNS1_3repE0EEENS1_30default_config_static_selectorELNS0_4arch9wavefront6targetE1EEEvT1_,"axG",@progbits,_ZN7rocprim17ROCPRIM_400000_NS6detail17trampoline_kernelINS0_14default_configENS1_20scan_config_selectorIdEEZZNS1_9scan_implILNS1_25lookback_scan_determinismE0ELb1ELb1ES3_N6thrust23THRUST_200600_302600_NS6detail15normal_iteratorINS9_10device_ptrIdEEEENS9_16discard_iteratorINS9_11use_defaultEEEdNS9_4plusIvEEdEEDaPvRmT3_T4_T5_mT6_P12ihipStream_tbENKUlT_T0_E_clISt17integral_constantIbLb0EESW_IbLb1EEEEDaSS_ST_EUlSS_E0_NS1_11comp_targetILNS1_3genE10ELNS1_11target_archE1200ELNS1_3gpuE4ELNS1_3repE0EEENS1_30default_config_static_selectorELNS0_4arch9wavefront6targetE1EEEvT1_,comdat
.Lfunc_end5003:
	.size	_ZN7rocprim17ROCPRIM_400000_NS6detail17trampoline_kernelINS0_14default_configENS1_20scan_config_selectorIdEEZZNS1_9scan_implILNS1_25lookback_scan_determinismE0ELb1ELb1ES3_N6thrust23THRUST_200600_302600_NS6detail15normal_iteratorINS9_10device_ptrIdEEEENS9_16discard_iteratorINS9_11use_defaultEEEdNS9_4plusIvEEdEEDaPvRmT3_T4_T5_mT6_P12ihipStream_tbENKUlT_T0_E_clISt17integral_constantIbLb0EESW_IbLb1EEEEDaSS_ST_EUlSS_E0_NS1_11comp_targetILNS1_3genE10ELNS1_11target_archE1200ELNS1_3gpuE4ELNS1_3repE0EEENS1_30default_config_static_selectorELNS0_4arch9wavefront6targetE1EEEvT1_, .Lfunc_end5003-_ZN7rocprim17ROCPRIM_400000_NS6detail17trampoline_kernelINS0_14default_configENS1_20scan_config_selectorIdEEZZNS1_9scan_implILNS1_25lookback_scan_determinismE0ELb1ELb1ES3_N6thrust23THRUST_200600_302600_NS6detail15normal_iteratorINS9_10device_ptrIdEEEENS9_16discard_iteratorINS9_11use_defaultEEEdNS9_4plusIvEEdEEDaPvRmT3_T4_T5_mT6_P12ihipStream_tbENKUlT_T0_E_clISt17integral_constantIbLb0EESW_IbLb1EEEEDaSS_ST_EUlSS_E0_NS1_11comp_targetILNS1_3genE10ELNS1_11target_archE1200ELNS1_3gpuE4ELNS1_3repE0EEENS1_30default_config_static_selectorELNS0_4arch9wavefront6targetE1EEEvT1_
                                        ; -- End function
	.section	.AMDGPU.csdata,"",@progbits
; Kernel info:
; codeLenInByte = 0
; NumSgprs: 4
; NumVgprs: 0
; NumAgprs: 0
; TotalNumVgprs: 0
; ScratchSize: 0
; MemoryBound: 0
; FloatMode: 240
; IeeeMode: 1
; LDSByteSize: 0 bytes/workgroup (compile time only)
; SGPRBlocks: 0
; VGPRBlocks: 0
; NumSGPRsForWavesPerEU: 4
; NumVGPRsForWavesPerEU: 1
; AccumOffset: 4
; Occupancy: 8
; WaveLimiterHint : 0
; COMPUTE_PGM_RSRC2:SCRATCH_EN: 0
; COMPUTE_PGM_RSRC2:USER_SGPR: 6
; COMPUTE_PGM_RSRC2:TRAP_HANDLER: 0
; COMPUTE_PGM_RSRC2:TGID_X_EN: 1
; COMPUTE_PGM_RSRC2:TGID_Y_EN: 0
; COMPUTE_PGM_RSRC2:TGID_Z_EN: 0
; COMPUTE_PGM_RSRC2:TIDIG_COMP_CNT: 0
; COMPUTE_PGM_RSRC3_GFX90A:ACCUM_OFFSET: 0
; COMPUTE_PGM_RSRC3_GFX90A:TG_SPLIT: 0
	.section	.text._ZN7rocprim17ROCPRIM_400000_NS6detail17trampoline_kernelINS0_14default_configENS1_20scan_config_selectorIdEEZZNS1_9scan_implILNS1_25lookback_scan_determinismE0ELb1ELb1ES3_N6thrust23THRUST_200600_302600_NS6detail15normal_iteratorINS9_10device_ptrIdEEEENS9_16discard_iteratorINS9_11use_defaultEEEdNS9_4plusIvEEdEEDaPvRmT3_T4_T5_mT6_P12ihipStream_tbENKUlT_T0_E_clISt17integral_constantIbLb0EESW_IbLb1EEEEDaSS_ST_EUlSS_E0_NS1_11comp_targetILNS1_3genE9ELNS1_11target_archE1100ELNS1_3gpuE3ELNS1_3repE0EEENS1_30default_config_static_selectorELNS0_4arch9wavefront6targetE1EEEvT1_,"axG",@progbits,_ZN7rocprim17ROCPRIM_400000_NS6detail17trampoline_kernelINS0_14default_configENS1_20scan_config_selectorIdEEZZNS1_9scan_implILNS1_25lookback_scan_determinismE0ELb1ELb1ES3_N6thrust23THRUST_200600_302600_NS6detail15normal_iteratorINS9_10device_ptrIdEEEENS9_16discard_iteratorINS9_11use_defaultEEEdNS9_4plusIvEEdEEDaPvRmT3_T4_T5_mT6_P12ihipStream_tbENKUlT_T0_E_clISt17integral_constantIbLb0EESW_IbLb1EEEEDaSS_ST_EUlSS_E0_NS1_11comp_targetILNS1_3genE9ELNS1_11target_archE1100ELNS1_3gpuE3ELNS1_3repE0EEENS1_30default_config_static_selectorELNS0_4arch9wavefront6targetE1EEEvT1_,comdat
	.protected	_ZN7rocprim17ROCPRIM_400000_NS6detail17trampoline_kernelINS0_14default_configENS1_20scan_config_selectorIdEEZZNS1_9scan_implILNS1_25lookback_scan_determinismE0ELb1ELb1ES3_N6thrust23THRUST_200600_302600_NS6detail15normal_iteratorINS9_10device_ptrIdEEEENS9_16discard_iteratorINS9_11use_defaultEEEdNS9_4plusIvEEdEEDaPvRmT3_T4_T5_mT6_P12ihipStream_tbENKUlT_T0_E_clISt17integral_constantIbLb0EESW_IbLb1EEEEDaSS_ST_EUlSS_E0_NS1_11comp_targetILNS1_3genE9ELNS1_11target_archE1100ELNS1_3gpuE3ELNS1_3repE0EEENS1_30default_config_static_selectorELNS0_4arch9wavefront6targetE1EEEvT1_ ; -- Begin function _ZN7rocprim17ROCPRIM_400000_NS6detail17trampoline_kernelINS0_14default_configENS1_20scan_config_selectorIdEEZZNS1_9scan_implILNS1_25lookback_scan_determinismE0ELb1ELb1ES3_N6thrust23THRUST_200600_302600_NS6detail15normal_iteratorINS9_10device_ptrIdEEEENS9_16discard_iteratorINS9_11use_defaultEEEdNS9_4plusIvEEdEEDaPvRmT3_T4_T5_mT6_P12ihipStream_tbENKUlT_T0_E_clISt17integral_constantIbLb0EESW_IbLb1EEEEDaSS_ST_EUlSS_E0_NS1_11comp_targetILNS1_3genE9ELNS1_11target_archE1100ELNS1_3gpuE3ELNS1_3repE0EEENS1_30default_config_static_selectorELNS0_4arch9wavefront6targetE1EEEvT1_
	.globl	_ZN7rocprim17ROCPRIM_400000_NS6detail17trampoline_kernelINS0_14default_configENS1_20scan_config_selectorIdEEZZNS1_9scan_implILNS1_25lookback_scan_determinismE0ELb1ELb1ES3_N6thrust23THRUST_200600_302600_NS6detail15normal_iteratorINS9_10device_ptrIdEEEENS9_16discard_iteratorINS9_11use_defaultEEEdNS9_4plusIvEEdEEDaPvRmT3_T4_T5_mT6_P12ihipStream_tbENKUlT_T0_E_clISt17integral_constantIbLb0EESW_IbLb1EEEEDaSS_ST_EUlSS_E0_NS1_11comp_targetILNS1_3genE9ELNS1_11target_archE1100ELNS1_3gpuE3ELNS1_3repE0EEENS1_30default_config_static_selectorELNS0_4arch9wavefront6targetE1EEEvT1_
	.p2align	8
	.type	_ZN7rocprim17ROCPRIM_400000_NS6detail17trampoline_kernelINS0_14default_configENS1_20scan_config_selectorIdEEZZNS1_9scan_implILNS1_25lookback_scan_determinismE0ELb1ELb1ES3_N6thrust23THRUST_200600_302600_NS6detail15normal_iteratorINS9_10device_ptrIdEEEENS9_16discard_iteratorINS9_11use_defaultEEEdNS9_4plusIvEEdEEDaPvRmT3_T4_T5_mT6_P12ihipStream_tbENKUlT_T0_E_clISt17integral_constantIbLb0EESW_IbLb1EEEEDaSS_ST_EUlSS_E0_NS1_11comp_targetILNS1_3genE9ELNS1_11target_archE1100ELNS1_3gpuE3ELNS1_3repE0EEENS1_30default_config_static_selectorELNS0_4arch9wavefront6targetE1EEEvT1_,@function
_ZN7rocprim17ROCPRIM_400000_NS6detail17trampoline_kernelINS0_14default_configENS1_20scan_config_selectorIdEEZZNS1_9scan_implILNS1_25lookback_scan_determinismE0ELb1ELb1ES3_N6thrust23THRUST_200600_302600_NS6detail15normal_iteratorINS9_10device_ptrIdEEEENS9_16discard_iteratorINS9_11use_defaultEEEdNS9_4plusIvEEdEEDaPvRmT3_T4_T5_mT6_P12ihipStream_tbENKUlT_T0_E_clISt17integral_constantIbLb0EESW_IbLb1EEEEDaSS_ST_EUlSS_E0_NS1_11comp_targetILNS1_3genE9ELNS1_11target_archE1100ELNS1_3gpuE3ELNS1_3repE0EEENS1_30default_config_static_selectorELNS0_4arch9wavefront6targetE1EEEvT1_: ; @_ZN7rocprim17ROCPRIM_400000_NS6detail17trampoline_kernelINS0_14default_configENS1_20scan_config_selectorIdEEZZNS1_9scan_implILNS1_25lookback_scan_determinismE0ELb1ELb1ES3_N6thrust23THRUST_200600_302600_NS6detail15normal_iteratorINS9_10device_ptrIdEEEENS9_16discard_iteratorINS9_11use_defaultEEEdNS9_4plusIvEEdEEDaPvRmT3_T4_T5_mT6_P12ihipStream_tbENKUlT_T0_E_clISt17integral_constantIbLb0EESW_IbLb1EEEEDaSS_ST_EUlSS_E0_NS1_11comp_targetILNS1_3genE9ELNS1_11target_archE1100ELNS1_3gpuE3ELNS1_3repE0EEENS1_30default_config_static_selectorELNS0_4arch9wavefront6targetE1EEEvT1_
; %bb.0:
	.section	.rodata,"a",@progbits
	.p2align	6, 0x0
	.amdhsa_kernel _ZN7rocprim17ROCPRIM_400000_NS6detail17trampoline_kernelINS0_14default_configENS1_20scan_config_selectorIdEEZZNS1_9scan_implILNS1_25lookback_scan_determinismE0ELb1ELb1ES3_N6thrust23THRUST_200600_302600_NS6detail15normal_iteratorINS9_10device_ptrIdEEEENS9_16discard_iteratorINS9_11use_defaultEEEdNS9_4plusIvEEdEEDaPvRmT3_T4_T5_mT6_P12ihipStream_tbENKUlT_T0_E_clISt17integral_constantIbLb0EESW_IbLb1EEEEDaSS_ST_EUlSS_E0_NS1_11comp_targetILNS1_3genE9ELNS1_11target_archE1100ELNS1_3gpuE3ELNS1_3repE0EEENS1_30default_config_static_selectorELNS0_4arch9wavefront6targetE1EEEvT1_
		.amdhsa_group_segment_fixed_size 0
		.amdhsa_private_segment_fixed_size 0
		.amdhsa_kernarg_size 48
		.amdhsa_user_sgpr_count 6
		.amdhsa_user_sgpr_private_segment_buffer 1
		.amdhsa_user_sgpr_dispatch_ptr 0
		.amdhsa_user_sgpr_queue_ptr 0
		.amdhsa_user_sgpr_kernarg_segment_ptr 1
		.amdhsa_user_sgpr_dispatch_id 0
		.amdhsa_user_sgpr_flat_scratch_init 0
		.amdhsa_user_sgpr_kernarg_preload_length 0
		.amdhsa_user_sgpr_kernarg_preload_offset 0
		.amdhsa_user_sgpr_private_segment_size 0
		.amdhsa_uses_dynamic_stack 0
		.amdhsa_system_sgpr_private_segment_wavefront_offset 0
		.amdhsa_system_sgpr_workgroup_id_x 1
		.amdhsa_system_sgpr_workgroup_id_y 0
		.amdhsa_system_sgpr_workgroup_id_z 0
		.amdhsa_system_sgpr_workgroup_info 0
		.amdhsa_system_vgpr_workitem_id 0
		.amdhsa_next_free_vgpr 1
		.amdhsa_next_free_sgpr 0
		.amdhsa_accum_offset 4
		.amdhsa_reserve_vcc 0
		.amdhsa_reserve_flat_scratch 0
		.amdhsa_float_round_mode_32 0
		.amdhsa_float_round_mode_16_64 0
		.amdhsa_float_denorm_mode_32 3
		.amdhsa_float_denorm_mode_16_64 3
		.amdhsa_dx10_clamp 1
		.amdhsa_ieee_mode 1
		.amdhsa_fp16_overflow 0
		.amdhsa_tg_split 0
		.amdhsa_exception_fp_ieee_invalid_op 0
		.amdhsa_exception_fp_denorm_src 0
		.amdhsa_exception_fp_ieee_div_zero 0
		.amdhsa_exception_fp_ieee_overflow 0
		.amdhsa_exception_fp_ieee_underflow 0
		.amdhsa_exception_fp_ieee_inexact 0
		.amdhsa_exception_int_div_zero 0
	.end_amdhsa_kernel
	.section	.text._ZN7rocprim17ROCPRIM_400000_NS6detail17trampoline_kernelINS0_14default_configENS1_20scan_config_selectorIdEEZZNS1_9scan_implILNS1_25lookback_scan_determinismE0ELb1ELb1ES3_N6thrust23THRUST_200600_302600_NS6detail15normal_iteratorINS9_10device_ptrIdEEEENS9_16discard_iteratorINS9_11use_defaultEEEdNS9_4plusIvEEdEEDaPvRmT3_T4_T5_mT6_P12ihipStream_tbENKUlT_T0_E_clISt17integral_constantIbLb0EESW_IbLb1EEEEDaSS_ST_EUlSS_E0_NS1_11comp_targetILNS1_3genE9ELNS1_11target_archE1100ELNS1_3gpuE3ELNS1_3repE0EEENS1_30default_config_static_selectorELNS0_4arch9wavefront6targetE1EEEvT1_,"axG",@progbits,_ZN7rocprim17ROCPRIM_400000_NS6detail17trampoline_kernelINS0_14default_configENS1_20scan_config_selectorIdEEZZNS1_9scan_implILNS1_25lookback_scan_determinismE0ELb1ELb1ES3_N6thrust23THRUST_200600_302600_NS6detail15normal_iteratorINS9_10device_ptrIdEEEENS9_16discard_iteratorINS9_11use_defaultEEEdNS9_4plusIvEEdEEDaPvRmT3_T4_T5_mT6_P12ihipStream_tbENKUlT_T0_E_clISt17integral_constantIbLb0EESW_IbLb1EEEEDaSS_ST_EUlSS_E0_NS1_11comp_targetILNS1_3genE9ELNS1_11target_archE1100ELNS1_3gpuE3ELNS1_3repE0EEENS1_30default_config_static_selectorELNS0_4arch9wavefront6targetE1EEEvT1_,comdat
.Lfunc_end5004:
	.size	_ZN7rocprim17ROCPRIM_400000_NS6detail17trampoline_kernelINS0_14default_configENS1_20scan_config_selectorIdEEZZNS1_9scan_implILNS1_25lookback_scan_determinismE0ELb1ELb1ES3_N6thrust23THRUST_200600_302600_NS6detail15normal_iteratorINS9_10device_ptrIdEEEENS9_16discard_iteratorINS9_11use_defaultEEEdNS9_4plusIvEEdEEDaPvRmT3_T4_T5_mT6_P12ihipStream_tbENKUlT_T0_E_clISt17integral_constantIbLb0EESW_IbLb1EEEEDaSS_ST_EUlSS_E0_NS1_11comp_targetILNS1_3genE9ELNS1_11target_archE1100ELNS1_3gpuE3ELNS1_3repE0EEENS1_30default_config_static_selectorELNS0_4arch9wavefront6targetE1EEEvT1_, .Lfunc_end5004-_ZN7rocprim17ROCPRIM_400000_NS6detail17trampoline_kernelINS0_14default_configENS1_20scan_config_selectorIdEEZZNS1_9scan_implILNS1_25lookback_scan_determinismE0ELb1ELb1ES3_N6thrust23THRUST_200600_302600_NS6detail15normal_iteratorINS9_10device_ptrIdEEEENS9_16discard_iteratorINS9_11use_defaultEEEdNS9_4plusIvEEdEEDaPvRmT3_T4_T5_mT6_P12ihipStream_tbENKUlT_T0_E_clISt17integral_constantIbLb0EESW_IbLb1EEEEDaSS_ST_EUlSS_E0_NS1_11comp_targetILNS1_3genE9ELNS1_11target_archE1100ELNS1_3gpuE3ELNS1_3repE0EEENS1_30default_config_static_selectorELNS0_4arch9wavefront6targetE1EEEvT1_
                                        ; -- End function
	.section	.AMDGPU.csdata,"",@progbits
; Kernel info:
; codeLenInByte = 0
; NumSgprs: 4
; NumVgprs: 0
; NumAgprs: 0
; TotalNumVgprs: 0
; ScratchSize: 0
; MemoryBound: 0
; FloatMode: 240
; IeeeMode: 1
; LDSByteSize: 0 bytes/workgroup (compile time only)
; SGPRBlocks: 0
; VGPRBlocks: 0
; NumSGPRsForWavesPerEU: 4
; NumVGPRsForWavesPerEU: 1
; AccumOffset: 4
; Occupancy: 8
; WaveLimiterHint : 0
; COMPUTE_PGM_RSRC2:SCRATCH_EN: 0
; COMPUTE_PGM_RSRC2:USER_SGPR: 6
; COMPUTE_PGM_RSRC2:TRAP_HANDLER: 0
; COMPUTE_PGM_RSRC2:TGID_X_EN: 1
; COMPUTE_PGM_RSRC2:TGID_Y_EN: 0
; COMPUTE_PGM_RSRC2:TGID_Z_EN: 0
; COMPUTE_PGM_RSRC2:TIDIG_COMP_CNT: 0
; COMPUTE_PGM_RSRC3_GFX90A:ACCUM_OFFSET: 0
; COMPUTE_PGM_RSRC3_GFX90A:TG_SPLIT: 0
	.section	.text._ZN7rocprim17ROCPRIM_400000_NS6detail17trampoline_kernelINS0_14default_configENS1_20scan_config_selectorIdEEZZNS1_9scan_implILNS1_25lookback_scan_determinismE0ELb1ELb1ES3_N6thrust23THRUST_200600_302600_NS6detail15normal_iteratorINS9_10device_ptrIdEEEENS9_16discard_iteratorINS9_11use_defaultEEEdNS9_4plusIvEEdEEDaPvRmT3_T4_T5_mT6_P12ihipStream_tbENKUlT_T0_E_clISt17integral_constantIbLb0EESW_IbLb1EEEEDaSS_ST_EUlSS_E0_NS1_11comp_targetILNS1_3genE8ELNS1_11target_archE1030ELNS1_3gpuE2ELNS1_3repE0EEENS1_30default_config_static_selectorELNS0_4arch9wavefront6targetE1EEEvT1_,"axG",@progbits,_ZN7rocprim17ROCPRIM_400000_NS6detail17trampoline_kernelINS0_14default_configENS1_20scan_config_selectorIdEEZZNS1_9scan_implILNS1_25lookback_scan_determinismE0ELb1ELb1ES3_N6thrust23THRUST_200600_302600_NS6detail15normal_iteratorINS9_10device_ptrIdEEEENS9_16discard_iteratorINS9_11use_defaultEEEdNS9_4plusIvEEdEEDaPvRmT3_T4_T5_mT6_P12ihipStream_tbENKUlT_T0_E_clISt17integral_constantIbLb0EESW_IbLb1EEEEDaSS_ST_EUlSS_E0_NS1_11comp_targetILNS1_3genE8ELNS1_11target_archE1030ELNS1_3gpuE2ELNS1_3repE0EEENS1_30default_config_static_selectorELNS0_4arch9wavefront6targetE1EEEvT1_,comdat
	.protected	_ZN7rocprim17ROCPRIM_400000_NS6detail17trampoline_kernelINS0_14default_configENS1_20scan_config_selectorIdEEZZNS1_9scan_implILNS1_25lookback_scan_determinismE0ELb1ELb1ES3_N6thrust23THRUST_200600_302600_NS6detail15normal_iteratorINS9_10device_ptrIdEEEENS9_16discard_iteratorINS9_11use_defaultEEEdNS9_4plusIvEEdEEDaPvRmT3_T4_T5_mT6_P12ihipStream_tbENKUlT_T0_E_clISt17integral_constantIbLb0EESW_IbLb1EEEEDaSS_ST_EUlSS_E0_NS1_11comp_targetILNS1_3genE8ELNS1_11target_archE1030ELNS1_3gpuE2ELNS1_3repE0EEENS1_30default_config_static_selectorELNS0_4arch9wavefront6targetE1EEEvT1_ ; -- Begin function _ZN7rocprim17ROCPRIM_400000_NS6detail17trampoline_kernelINS0_14default_configENS1_20scan_config_selectorIdEEZZNS1_9scan_implILNS1_25lookback_scan_determinismE0ELb1ELb1ES3_N6thrust23THRUST_200600_302600_NS6detail15normal_iteratorINS9_10device_ptrIdEEEENS9_16discard_iteratorINS9_11use_defaultEEEdNS9_4plusIvEEdEEDaPvRmT3_T4_T5_mT6_P12ihipStream_tbENKUlT_T0_E_clISt17integral_constantIbLb0EESW_IbLb1EEEEDaSS_ST_EUlSS_E0_NS1_11comp_targetILNS1_3genE8ELNS1_11target_archE1030ELNS1_3gpuE2ELNS1_3repE0EEENS1_30default_config_static_selectorELNS0_4arch9wavefront6targetE1EEEvT1_
	.globl	_ZN7rocprim17ROCPRIM_400000_NS6detail17trampoline_kernelINS0_14default_configENS1_20scan_config_selectorIdEEZZNS1_9scan_implILNS1_25lookback_scan_determinismE0ELb1ELb1ES3_N6thrust23THRUST_200600_302600_NS6detail15normal_iteratorINS9_10device_ptrIdEEEENS9_16discard_iteratorINS9_11use_defaultEEEdNS9_4plusIvEEdEEDaPvRmT3_T4_T5_mT6_P12ihipStream_tbENKUlT_T0_E_clISt17integral_constantIbLb0EESW_IbLb1EEEEDaSS_ST_EUlSS_E0_NS1_11comp_targetILNS1_3genE8ELNS1_11target_archE1030ELNS1_3gpuE2ELNS1_3repE0EEENS1_30default_config_static_selectorELNS0_4arch9wavefront6targetE1EEEvT1_
	.p2align	8
	.type	_ZN7rocprim17ROCPRIM_400000_NS6detail17trampoline_kernelINS0_14default_configENS1_20scan_config_selectorIdEEZZNS1_9scan_implILNS1_25lookback_scan_determinismE0ELb1ELb1ES3_N6thrust23THRUST_200600_302600_NS6detail15normal_iteratorINS9_10device_ptrIdEEEENS9_16discard_iteratorINS9_11use_defaultEEEdNS9_4plusIvEEdEEDaPvRmT3_T4_T5_mT6_P12ihipStream_tbENKUlT_T0_E_clISt17integral_constantIbLb0EESW_IbLb1EEEEDaSS_ST_EUlSS_E0_NS1_11comp_targetILNS1_3genE8ELNS1_11target_archE1030ELNS1_3gpuE2ELNS1_3repE0EEENS1_30default_config_static_selectorELNS0_4arch9wavefront6targetE1EEEvT1_,@function
_ZN7rocprim17ROCPRIM_400000_NS6detail17trampoline_kernelINS0_14default_configENS1_20scan_config_selectorIdEEZZNS1_9scan_implILNS1_25lookback_scan_determinismE0ELb1ELb1ES3_N6thrust23THRUST_200600_302600_NS6detail15normal_iteratorINS9_10device_ptrIdEEEENS9_16discard_iteratorINS9_11use_defaultEEEdNS9_4plusIvEEdEEDaPvRmT3_T4_T5_mT6_P12ihipStream_tbENKUlT_T0_E_clISt17integral_constantIbLb0EESW_IbLb1EEEEDaSS_ST_EUlSS_E0_NS1_11comp_targetILNS1_3genE8ELNS1_11target_archE1030ELNS1_3gpuE2ELNS1_3repE0EEENS1_30default_config_static_selectorELNS0_4arch9wavefront6targetE1EEEvT1_: ; @_ZN7rocprim17ROCPRIM_400000_NS6detail17trampoline_kernelINS0_14default_configENS1_20scan_config_selectorIdEEZZNS1_9scan_implILNS1_25lookback_scan_determinismE0ELb1ELb1ES3_N6thrust23THRUST_200600_302600_NS6detail15normal_iteratorINS9_10device_ptrIdEEEENS9_16discard_iteratorINS9_11use_defaultEEEdNS9_4plusIvEEdEEDaPvRmT3_T4_T5_mT6_P12ihipStream_tbENKUlT_T0_E_clISt17integral_constantIbLb0EESW_IbLb1EEEEDaSS_ST_EUlSS_E0_NS1_11comp_targetILNS1_3genE8ELNS1_11target_archE1030ELNS1_3gpuE2ELNS1_3repE0EEENS1_30default_config_static_selectorELNS0_4arch9wavefront6targetE1EEEvT1_
; %bb.0:
	.section	.rodata,"a",@progbits
	.p2align	6, 0x0
	.amdhsa_kernel _ZN7rocprim17ROCPRIM_400000_NS6detail17trampoline_kernelINS0_14default_configENS1_20scan_config_selectorIdEEZZNS1_9scan_implILNS1_25lookback_scan_determinismE0ELb1ELb1ES3_N6thrust23THRUST_200600_302600_NS6detail15normal_iteratorINS9_10device_ptrIdEEEENS9_16discard_iteratorINS9_11use_defaultEEEdNS9_4plusIvEEdEEDaPvRmT3_T4_T5_mT6_P12ihipStream_tbENKUlT_T0_E_clISt17integral_constantIbLb0EESW_IbLb1EEEEDaSS_ST_EUlSS_E0_NS1_11comp_targetILNS1_3genE8ELNS1_11target_archE1030ELNS1_3gpuE2ELNS1_3repE0EEENS1_30default_config_static_selectorELNS0_4arch9wavefront6targetE1EEEvT1_
		.amdhsa_group_segment_fixed_size 0
		.amdhsa_private_segment_fixed_size 0
		.amdhsa_kernarg_size 48
		.amdhsa_user_sgpr_count 6
		.amdhsa_user_sgpr_private_segment_buffer 1
		.amdhsa_user_sgpr_dispatch_ptr 0
		.amdhsa_user_sgpr_queue_ptr 0
		.amdhsa_user_sgpr_kernarg_segment_ptr 1
		.amdhsa_user_sgpr_dispatch_id 0
		.amdhsa_user_sgpr_flat_scratch_init 0
		.amdhsa_user_sgpr_kernarg_preload_length 0
		.amdhsa_user_sgpr_kernarg_preload_offset 0
		.amdhsa_user_sgpr_private_segment_size 0
		.amdhsa_uses_dynamic_stack 0
		.amdhsa_system_sgpr_private_segment_wavefront_offset 0
		.amdhsa_system_sgpr_workgroup_id_x 1
		.amdhsa_system_sgpr_workgroup_id_y 0
		.amdhsa_system_sgpr_workgroup_id_z 0
		.amdhsa_system_sgpr_workgroup_info 0
		.amdhsa_system_vgpr_workitem_id 0
		.amdhsa_next_free_vgpr 1
		.amdhsa_next_free_sgpr 0
		.amdhsa_accum_offset 4
		.amdhsa_reserve_vcc 0
		.amdhsa_reserve_flat_scratch 0
		.amdhsa_float_round_mode_32 0
		.amdhsa_float_round_mode_16_64 0
		.amdhsa_float_denorm_mode_32 3
		.amdhsa_float_denorm_mode_16_64 3
		.amdhsa_dx10_clamp 1
		.amdhsa_ieee_mode 1
		.amdhsa_fp16_overflow 0
		.amdhsa_tg_split 0
		.amdhsa_exception_fp_ieee_invalid_op 0
		.amdhsa_exception_fp_denorm_src 0
		.amdhsa_exception_fp_ieee_div_zero 0
		.amdhsa_exception_fp_ieee_overflow 0
		.amdhsa_exception_fp_ieee_underflow 0
		.amdhsa_exception_fp_ieee_inexact 0
		.amdhsa_exception_int_div_zero 0
	.end_amdhsa_kernel
	.section	.text._ZN7rocprim17ROCPRIM_400000_NS6detail17trampoline_kernelINS0_14default_configENS1_20scan_config_selectorIdEEZZNS1_9scan_implILNS1_25lookback_scan_determinismE0ELb1ELb1ES3_N6thrust23THRUST_200600_302600_NS6detail15normal_iteratorINS9_10device_ptrIdEEEENS9_16discard_iteratorINS9_11use_defaultEEEdNS9_4plusIvEEdEEDaPvRmT3_T4_T5_mT6_P12ihipStream_tbENKUlT_T0_E_clISt17integral_constantIbLb0EESW_IbLb1EEEEDaSS_ST_EUlSS_E0_NS1_11comp_targetILNS1_3genE8ELNS1_11target_archE1030ELNS1_3gpuE2ELNS1_3repE0EEENS1_30default_config_static_selectorELNS0_4arch9wavefront6targetE1EEEvT1_,"axG",@progbits,_ZN7rocprim17ROCPRIM_400000_NS6detail17trampoline_kernelINS0_14default_configENS1_20scan_config_selectorIdEEZZNS1_9scan_implILNS1_25lookback_scan_determinismE0ELb1ELb1ES3_N6thrust23THRUST_200600_302600_NS6detail15normal_iteratorINS9_10device_ptrIdEEEENS9_16discard_iteratorINS9_11use_defaultEEEdNS9_4plusIvEEdEEDaPvRmT3_T4_T5_mT6_P12ihipStream_tbENKUlT_T0_E_clISt17integral_constantIbLb0EESW_IbLb1EEEEDaSS_ST_EUlSS_E0_NS1_11comp_targetILNS1_3genE8ELNS1_11target_archE1030ELNS1_3gpuE2ELNS1_3repE0EEENS1_30default_config_static_selectorELNS0_4arch9wavefront6targetE1EEEvT1_,comdat
.Lfunc_end5005:
	.size	_ZN7rocprim17ROCPRIM_400000_NS6detail17trampoline_kernelINS0_14default_configENS1_20scan_config_selectorIdEEZZNS1_9scan_implILNS1_25lookback_scan_determinismE0ELb1ELb1ES3_N6thrust23THRUST_200600_302600_NS6detail15normal_iteratorINS9_10device_ptrIdEEEENS9_16discard_iteratorINS9_11use_defaultEEEdNS9_4plusIvEEdEEDaPvRmT3_T4_T5_mT6_P12ihipStream_tbENKUlT_T0_E_clISt17integral_constantIbLb0EESW_IbLb1EEEEDaSS_ST_EUlSS_E0_NS1_11comp_targetILNS1_3genE8ELNS1_11target_archE1030ELNS1_3gpuE2ELNS1_3repE0EEENS1_30default_config_static_selectorELNS0_4arch9wavefront6targetE1EEEvT1_, .Lfunc_end5005-_ZN7rocprim17ROCPRIM_400000_NS6detail17trampoline_kernelINS0_14default_configENS1_20scan_config_selectorIdEEZZNS1_9scan_implILNS1_25lookback_scan_determinismE0ELb1ELb1ES3_N6thrust23THRUST_200600_302600_NS6detail15normal_iteratorINS9_10device_ptrIdEEEENS9_16discard_iteratorINS9_11use_defaultEEEdNS9_4plusIvEEdEEDaPvRmT3_T4_T5_mT6_P12ihipStream_tbENKUlT_T0_E_clISt17integral_constantIbLb0EESW_IbLb1EEEEDaSS_ST_EUlSS_E0_NS1_11comp_targetILNS1_3genE8ELNS1_11target_archE1030ELNS1_3gpuE2ELNS1_3repE0EEENS1_30default_config_static_selectorELNS0_4arch9wavefront6targetE1EEEvT1_
                                        ; -- End function
	.section	.AMDGPU.csdata,"",@progbits
; Kernel info:
; codeLenInByte = 0
; NumSgprs: 4
; NumVgprs: 0
; NumAgprs: 0
; TotalNumVgprs: 0
; ScratchSize: 0
; MemoryBound: 0
; FloatMode: 240
; IeeeMode: 1
; LDSByteSize: 0 bytes/workgroup (compile time only)
; SGPRBlocks: 0
; VGPRBlocks: 0
; NumSGPRsForWavesPerEU: 4
; NumVGPRsForWavesPerEU: 1
; AccumOffset: 4
; Occupancy: 8
; WaveLimiterHint : 0
; COMPUTE_PGM_RSRC2:SCRATCH_EN: 0
; COMPUTE_PGM_RSRC2:USER_SGPR: 6
; COMPUTE_PGM_RSRC2:TRAP_HANDLER: 0
; COMPUTE_PGM_RSRC2:TGID_X_EN: 1
; COMPUTE_PGM_RSRC2:TGID_Y_EN: 0
; COMPUTE_PGM_RSRC2:TGID_Z_EN: 0
; COMPUTE_PGM_RSRC2:TIDIG_COMP_CNT: 0
; COMPUTE_PGM_RSRC3_GFX90A:ACCUM_OFFSET: 0
; COMPUTE_PGM_RSRC3_GFX90A:TG_SPLIT: 0
	.section	.text._ZN7rocprim17ROCPRIM_400000_NS6detail17trampoline_kernelINS0_14default_configENS1_20scan_config_selectorIfEEZZNS1_9scan_implILNS1_25lookback_scan_determinismE0ELb0ELb0ES3_N6thrust23THRUST_200600_302600_NS6detail15normal_iteratorINS9_10device_ptrIfEEEENS9_16discard_iteratorINS9_11use_defaultEEEfNS9_4plusIvEEfEEDaPvRmT3_T4_T5_mT6_P12ihipStream_tbENKUlT_T0_E_clISt17integral_constantIbLb0EESX_EEDaSS_ST_EUlSS_E_NS1_11comp_targetILNS1_3genE0ELNS1_11target_archE4294967295ELNS1_3gpuE0ELNS1_3repE0EEENS1_30default_config_static_selectorELNS0_4arch9wavefront6targetE1EEEvT1_,"axG",@progbits,_ZN7rocprim17ROCPRIM_400000_NS6detail17trampoline_kernelINS0_14default_configENS1_20scan_config_selectorIfEEZZNS1_9scan_implILNS1_25lookback_scan_determinismE0ELb0ELb0ES3_N6thrust23THRUST_200600_302600_NS6detail15normal_iteratorINS9_10device_ptrIfEEEENS9_16discard_iteratorINS9_11use_defaultEEEfNS9_4plusIvEEfEEDaPvRmT3_T4_T5_mT6_P12ihipStream_tbENKUlT_T0_E_clISt17integral_constantIbLb0EESX_EEDaSS_ST_EUlSS_E_NS1_11comp_targetILNS1_3genE0ELNS1_11target_archE4294967295ELNS1_3gpuE0ELNS1_3repE0EEENS1_30default_config_static_selectorELNS0_4arch9wavefront6targetE1EEEvT1_,comdat
	.protected	_ZN7rocprim17ROCPRIM_400000_NS6detail17trampoline_kernelINS0_14default_configENS1_20scan_config_selectorIfEEZZNS1_9scan_implILNS1_25lookback_scan_determinismE0ELb0ELb0ES3_N6thrust23THRUST_200600_302600_NS6detail15normal_iteratorINS9_10device_ptrIfEEEENS9_16discard_iteratorINS9_11use_defaultEEEfNS9_4plusIvEEfEEDaPvRmT3_T4_T5_mT6_P12ihipStream_tbENKUlT_T0_E_clISt17integral_constantIbLb0EESX_EEDaSS_ST_EUlSS_E_NS1_11comp_targetILNS1_3genE0ELNS1_11target_archE4294967295ELNS1_3gpuE0ELNS1_3repE0EEENS1_30default_config_static_selectorELNS0_4arch9wavefront6targetE1EEEvT1_ ; -- Begin function _ZN7rocprim17ROCPRIM_400000_NS6detail17trampoline_kernelINS0_14default_configENS1_20scan_config_selectorIfEEZZNS1_9scan_implILNS1_25lookback_scan_determinismE0ELb0ELb0ES3_N6thrust23THRUST_200600_302600_NS6detail15normal_iteratorINS9_10device_ptrIfEEEENS9_16discard_iteratorINS9_11use_defaultEEEfNS9_4plusIvEEfEEDaPvRmT3_T4_T5_mT6_P12ihipStream_tbENKUlT_T0_E_clISt17integral_constantIbLb0EESX_EEDaSS_ST_EUlSS_E_NS1_11comp_targetILNS1_3genE0ELNS1_11target_archE4294967295ELNS1_3gpuE0ELNS1_3repE0EEENS1_30default_config_static_selectorELNS0_4arch9wavefront6targetE1EEEvT1_
	.globl	_ZN7rocprim17ROCPRIM_400000_NS6detail17trampoline_kernelINS0_14default_configENS1_20scan_config_selectorIfEEZZNS1_9scan_implILNS1_25lookback_scan_determinismE0ELb0ELb0ES3_N6thrust23THRUST_200600_302600_NS6detail15normal_iteratorINS9_10device_ptrIfEEEENS9_16discard_iteratorINS9_11use_defaultEEEfNS9_4plusIvEEfEEDaPvRmT3_T4_T5_mT6_P12ihipStream_tbENKUlT_T0_E_clISt17integral_constantIbLb0EESX_EEDaSS_ST_EUlSS_E_NS1_11comp_targetILNS1_3genE0ELNS1_11target_archE4294967295ELNS1_3gpuE0ELNS1_3repE0EEENS1_30default_config_static_selectorELNS0_4arch9wavefront6targetE1EEEvT1_
	.p2align	8
	.type	_ZN7rocprim17ROCPRIM_400000_NS6detail17trampoline_kernelINS0_14default_configENS1_20scan_config_selectorIfEEZZNS1_9scan_implILNS1_25lookback_scan_determinismE0ELb0ELb0ES3_N6thrust23THRUST_200600_302600_NS6detail15normal_iteratorINS9_10device_ptrIfEEEENS9_16discard_iteratorINS9_11use_defaultEEEfNS9_4plusIvEEfEEDaPvRmT3_T4_T5_mT6_P12ihipStream_tbENKUlT_T0_E_clISt17integral_constantIbLb0EESX_EEDaSS_ST_EUlSS_E_NS1_11comp_targetILNS1_3genE0ELNS1_11target_archE4294967295ELNS1_3gpuE0ELNS1_3repE0EEENS1_30default_config_static_selectorELNS0_4arch9wavefront6targetE1EEEvT1_,@function
_ZN7rocprim17ROCPRIM_400000_NS6detail17trampoline_kernelINS0_14default_configENS1_20scan_config_selectorIfEEZZNS1_9scan_implILNS1_25lookback_scan_determinismE0ELb0ELb0ES3_N6thrust23THRUST_200600_302600_NS6detail15normal_iteratorINS9_10device_ptrIfEEEENS9_16discard_iteratorINS9_11use_defaultEEEfNS9_4plusIvEEfEEDaPvRmT3_T4_T5_mT6_P12ihipStream_tbENKUlT_T0_E_clISt17integral_constantIbLb0EESX_EEDaSS_ST_EUlSS_E_NS1_11comp_targetILNS1_3genE0ELNS1_11target_archE4294967295ELNS1_3gpuE0ELNS1_3repE0EEENS1_30default_config_static_selectorELNS0_4arch9wavefront6targetE1EEEvT1_: ; @_ZN7rocprim17ROCPRIM_400000_NS6detail17trampoline_kernelINS0_14default_configENS1_20scan_config_selectorIfEEZZNS1_9scan_implILNS1_25lookback_scan_determinismE0ELb0ELb0ES3_N6thrust23THRUST_200600_302600_NS6detail15normal_iteratorINS9_10device_ptrIfEEEENS9_16discard_iteratorINS9_11use_defaultEEEfNS9_4plusIvEEfEEDaPvRmT3_T4_T5_mT6_P12ihipStream_tbENKUlT_T0_E_clISt17integral_constantIbLb0EESX_EEDaSS_ST_EUlSS_E_NS1_11comp_targetILNS1_3genE0ELNS1_11target_archE4294967295ELNS1_3gpuE0ELNS1_3repE0EEENS1_30default_config_static_selectorELNS0_4arch9wavefront6targetE1EEEvT1_
; %bb.0:
	.section	.rodata,"a",@progbits
	.p2align	6, 0x0
	.amdhsa_kernel _ZN7rocprim17ROCPRIM_400000_NS6detail17trampoline_kernelINS0_14default_configENS1_20scan_config_selectorIfEEZZNS1_9scan_implILNS1_25lookback_scan_determinismE0ELb0ELb0ES3_N6thrust23THRUST_200600_302600_NS6detail15normal_iteratorINS9_10device_ptrIfEEEENS9_16discard_iteratorINS9_11use_defaultEEEfNS9_4plusIvEEfEEDaPvRmT3_T4_T5_mT6_P12ihipStream_tbENKUlT_T0_E_clISt17integral_constantIbLb0EESX_EEDaSS_ST_EUlSS_E_NS1_11comp_targetILNS1_3genE0ELNS1_11target_archE4294967295ELNS1_3gpuE0ELNS1_3repE0EEENS1_30default_config_static_selectorELNS0_4arch9wavefront6targetE1EEEvT1_
		.amdhsa_group_segment_fixed_size 0
		.amdhsa_private_segment_fixed_size 0
		.amdhsa_kernarg_size 104
		.amdhsa_user_sgpr_count 6
		.amdhsa_user_sgpr_private_segment_buffer 1
		.amdhsa_user_sgpr_dispatch_ptr 0
		.amdhsa_user_sgpr_queue_ptr 0
		.amdhsa_user_sgpr_kernarg_segment_ptr 1
		.amdhsa_user_sgpr_dispatch_id 0
		.amdhsa_user_sgpr_flat_scratch_init 0
		.amdhsa_user_sgpr_kernarg_preload_length 0
		.amdhsa_user_sgpr_kernarg_preload_offset 0
		.amdhsa_user_sgpr_private_segment_size 0
		.amdhsa_uses_dynamic_stack 0
		.amdhsa_system_sgpr_private_segment_wavefront_offset 0
		.amdhsa_system_sgpr_workgroup_id_x 1
		.amdhsa_system_sgpr_workgroup_id_y 0
		.amdhsa_system_sgpr_workgroup_id_z 0
		.amdhsa_system_sgpr_workgroup_info 0
		.amdhsa_system_vgpr_workitem_id 0
		.amdhsa_next_free_vgpr 1
		.amdhsa_next_free_sgpr 0
		.amdhsa_accum_offset 4
		.amdhsa_reserve_vcc 0
		.amdhsa_reserve_flat_scratch 0
		.amdhsa_float_round_mode_32 0
		.amdhsa_float_round_mode_16_64 0
		.amdhsa_float_denorm_mode_32 3
		.amdhsa_float_denorm_mode_16_64 3
		.amdhsa_dx10_clamp 1
		.amdhsa_ieee_mode 1
		.amdhsa_fp16_overflow 0
		.amdhsa_tg_split 0
		.amdhsa_exception_fp_ieee_invalid_op 0
		.amdhsa_exception_fp_denorm_src 0
		.amdhsa_exception_fp_ieee_div_zero 0
		.amdhsa_exception_fp_ieee_overflow 0
		.amdhsa_exception_fp_ieee_underflow 0
		.amdhsa_exception_fp_ieee_inexact 0
		.amdhsa_exception_int_div_zero 0
	.end_amdhsa_kernel
	.section	.text._ZN7rocprim17ROCPRIM_400000_NS6detail17trampoline_kernelINS0_14default_configENS1_20scan_config_selectorIfEEZZNS1_9scan_implILNS1_25lookback_scan_determinismE0ELb0ELb0ES3_N6thrust23THRUST_200600_302600_NS6detail15normal_iteratorINS9_10device_ptrIfEEEENS9_16discard_iteratorINS9_11use_defaultEEEfNS9_4plusIvEEfEEDaPvRmT3_T4_T5_mT6_P12ihipStream_tbENKUlT_T0_E_clISt17integral_constantIbLb0EESX_EEDaSS_ST_EUlSS_E_NS1_11comp_targetILNS1_3genE0ELNS1_11target_archE4294967295ELNS1_3gpuE0ELNS1_3repE0EEENS1_30default_config_static_selectorELNS0_4arch9wavefront6targetE1EEEvT1_,"axG",@progbits,_ZN7rocprim17ROCPRIM_400000_NS6detail17trampoline_kernelINS0_14default_configENS1_20scan_config_selectorIfEEZZNS1_9scan_implILNS1_25lookback_scan_determinismE0ELb0ELb0ES3_N6thrust23THRUST_200600_302600_NS6detail15normal_iteratorINS9_10device_ptrIfEEEENS9_16discard_iteratorINS9_11use_defaultEEEfNS9_4plusIvEEfEEDaPvRmT3_T4_T5_mT6_P12ihipStream_tbENKUlT_T0_E_clISt17integral_constantIbLb0EESX_EEDaSS_ST_EUlSS_E_NS1_11comp_targetILNS1_3genE0ELNS1_11target_archE4294967295ELNS1_3gpuE0ELNS1_3repE0EEENS1_30default_config_static_selectorELNS0_4arch9wavefront6targetE1EEEvT1_,comdat
.Lfunc_end5006:
	.size	_ZN7rocprim17ROCPRIM_400000_NS6detail17trampoline_kernelINS0_14default_configENS1_20scan_config_selectorIfEEZZNS1_9scan_implILNS1_25lookback_scan_determinismE0ELb0ELb0ES3_N6thrust23THRUST_200600_302600_NS6detail15normal_iteratorINS9_10device_ptrIfEEEENS9_16discard_iteratorINS9_11use_defaultEEEfNS9_4plusIvEEfEEDaPvRmT3_T4_T5_mT6_P12ihipStream_tbENKUlT_T0_E_clISt17integral_constantIbLb0EESX_EEDaSS_ST_EUlSS_E_NS1_11comp_targetILNS1_3genE0ELNS1_11target_archE4294967295ELNS1_3gpuE0ELNS1_3repE0EEENS1_30default_config_static_selectorELNS0_4arch9wavefront6targetE1EEEvT1_, .Lfunc_end5006-_ZN7rocprim17ROCPRIM_400000_NS6detail17trampoline_kernelINS0_14default_configENS1_20scan_config_selectorIfEEZZNS1_9scan_implILNS1_25lookback_scan_determinismE0ELb0ELb0ES3_N6thrust23THRUST_200600_302600_NS6detail15normal_iteratorINS9_10device_ptrIfEEEENS9_16discard_iteratorINS9_11use_defaultEEEfNS9_4plusIvEEfEEDaPvRmT3_T4_T5_mT6_P12ihipStream_tbENKUlT_T0_E_clISt17integral_constantIbLb0EESX_EEDaSS_ST_EUlSS_E_NS1_11comp_targetILNS1_3genE0ELNS1_11target_archE4294967295ELNS1_3gpuE0ELNS1_3repE0EEENS1_30default_config_static_selectorELNS0_4arch9wavefront6targetE1EEEvT1_
                                        ; -- End function
	.section	.AMDGPU.csdata,"",@progbits
; Kernel info:
; codeLenInByte = 0
; NumSgprs: 4
; NumVgprs: 0
; NumAgprs: 0
; TotalNumVgprs: 0
; ScratchSize: 0
; MemoryBound: 0
; FloatMode: 240
; IeeeMode: 1
; LDSByteSize: 0 bytes/workgroup (compile time only)
; SGPRBlocks: 0
; VGPRBlocks: 0
; NumSGPRsForWavesPerEU: 4
; NumVGPRsForWavesPerEU: 1
; AccumOffset: 4
; Occupancy: 8
; WaveLimiterHint : 0
; COMPUTE_PGM_RSRC2:SCRATCH_EN: 0
; COMPUTE_PGM_RSRC2:USER_SGPR: 6
; COMPUTE_PGM_RSRC2:TRAP_HANDLER: 0
; COMPUTE_PGM_RSRC2:TGID_X_EN: 1
; COMPUTE_PGM_RSRC2:TGID_Y_EN: 0
; COMPUTE_PGM_RSRC2:TGID_Z_EN: 0
; COMPUTE_PGM_RSRC2:TIDIG_COMP_CNT: 0
; COMPUTE_PGM_RSRC3_GFX90A:ACCUM_OFFSET: 0
; COMPUTE_PGM_RSRC3_GFX90A:TG_SPLIT: 0
	.section	.text._ZN7rocprim17ROCPRIM_400000_NS6detail17trampoline_kernelINS0_14default_configENS1_20scan_config_selectorIfEEZZNS1_9scan_implILNS1_25lookback_scan_determinismE0ELb0ELb0ES3_N6thrust23THRUST_200600_302600_NS6detail15normal_iteratorINS9_10device_ptrIfEEEENS9_16discard_iteratorINS9_11use_defaultEEEfNS9_4plusIvEEfEEDaPvRmT3_T4_T5_mT6_P12ihipStream_tbENKUlT_T0_E_clISt17integral_constantIbLb0EESX_EEDaSS_ST_EUlSS_E_NS1_11comp_targetILNS1_3genE5ELNS1_11target_archE942ELNS1_3gpuE9ELNS1_3repE0EEENS1_30default_config_static_selectorELNS0_4arch9wavefront6targetE1EEEvT1_,"axG",@progbits,_ZN7rocprim17ROCPRIM_400000_NS6detail17trampoline_kernelINS0_14default_configENS1_20scan_config_selectorIfEEZZNS1_9scan_implILNS1_25lookback_scan_determinismE0ELb0ELb0ES3_N6thrust23THRUST_200600_302600_NS6detail15normal_iteratorINS9_10device_ptrIfEEEENS9_16discard_iteratorINS9_11use_defaultEEEfNS9_4plusIvEEfEEDaPvRmT3_T4_T5_mT6_P12ihipStream_tbENKUlT_T0_E_clISt17integral_constantIbLb0EESX_EEDaSS_ST_EUlSS_E_NS1_11comp_targetILNS1_3genE5ELNS1_11target_archE942ELNS1_3gpuE9ELNS1_3repE0EEENS1_30default_config_static_selectorELNS0_4arch9wavefront6targetE1EEEvT1_,comdat
	.protected	_ZN7rocprim17ROCPRIM_400000_NS6detail17trampoline_kernelINS0_14default_configENS1_20scan_config_selectorIfEEZZNS1_9scan_implILNS1_25lookback_scan_determinismE0ELb0ELb0ES3_N6thrust23THRUST_200600_302600_NS6detail15normal_iteratorINS9_10device_ptrIfEEEENS9_16discard_iteratorINS9_11use_defaultEEEfNS9_4plusIvEEfEEDaPvRmT3_T4_T5_mT6_P12ihipStream_tbENKUlT_T0_E_clISt17integral_constantIbLb0EESX_EEDaSS_ST_EUlSS_E_NS1_11comp_targetILNS1_3genE5ELNS1_11target_archE942ELNS1_3gpuE9ELNS1_3repE0EEENS1_30default_config_static_selectorELNS0_4arch9wavefront6targetE1EEEvT1_ ; -- Begin function _ZN7rocprim17ROCPRIM_400000_NS6detail17trampoline_kernelINS0_14default_configENS1_20scan_config_selectorIfEEZZNS1_9scan_implILNS1_25lookback_scan_determinismE0ELb0ELb0ES3_N6thrust23THRUST_200600_302600_NS6detail15normal_iteratorINS9_10device_ptrIfEEEENS9_16discard_iteratorINS9_11use_defaultEEEfNS9_4plusIvEEfEEDaPvRmT3_T4_T5_mT6_P12ihipStream_tbENKUlT_T0_E_clISt17integral_constantIbLb0EESX_EEDaSS_ST_EUlSS_E_NS1_11comp_targetILNS1_3genE5ELNS1_11target_archE942ELNS1_3gpuE9ELNS1_3repE0EEENS1_30default_config_static_selectorELNS0_4arch9wavefront6targetE1EEEvT1_
	.globl	_ZN7rocprim17ROCPRIM_400000_NS6detail17trampoline_kernelINS0_14default_configENS1_20scan_config_selectorIfEEZZNS1_9scan_implILNS1_25lookback_scan_determinismE0ELb0ELb0ES3_N6thrust23THRUST_200600_302600_NS6detail15normal_iteratorINS9_10device_ptrIfEEEENS9_16discard_iteratorINS9_11use_defaultEEEfNS9_4plusIvEEfEEDaPvRmT3_T4_T5_mT6_P12ihipStream_tbENKUlT_T0_E_clISt17integral_constantIbLb0EESX_EEDaSS_ST_EUlSS_E_NS1_11comp_targetILNS1_3genE5ELNS1_11target_archE942ELNS1_3gpuE9ELNS1_3repE0EEENS1_30default_config_static_selectorELNS0_4arch9wavefront6targetE1EEEvT1_
	.p2align	8
	.type	_ZN7rocprim17ROCPRIM_400000_NS6detail17trampoline_kernelINS0_14default_configENS1_20scan_config_selectorIfEEZZNS1_9scan_implILNS1_25lookback_scan_determinismE0ELb0ELb0ES3_N6thrust23THRUST_200600_302600_NS6detail15normal_iteratorINS9_10device_ptrIfEEEENS9_16discard_iteratorINS9_11use_defaultEEEfNS9_4plusIvEEfEEDaPvRmT3_T4_T5_mT6_P12ihipStream_tbENKUlT_T0_E_clISt17integral_constantIbLb0EESX_EEDaSS_ST_EUlSS_E_NS1_11comp_targetILNS1_3genE5ELNS1_11target_archE942ELNS1_3gpuE9ELNS1_3repE0EEENS1_30default_config_static_selectorELNS0_4arch9wavefront6targetE1EEEvT1_,@function
_ZN7rocprim17ROCPRIM_400000_NS6detail17trampoline_kernelINS0_14default_configENS1_20scan_config_selectorIfEEZZNS1_9scan_implILNS1_25lookback_scan_determinismE0ELb0ELb0ES3_N6thrust23THRUST_200600_302600_NS6detail15normal_iteratorINS9_10device_ptrIfEEEENS9_16discard_iteratorINS9_11use_defaultEEEfNS9_4plusIvEEfEEDaPvRmT3_T4_T5_mT6_P12ihipStream_tbENKUlT_T0_E_clISt17integral_constantIbLb0EESX_EEDaSS_ST_EUlSS_E_NS1_11comp_targetILNS1_3genE5ELNS1_11target_archE942ELNS1_3gpuE9ELNS1_3repE0EEENS1_30default_config_static_selectorELNS0_4arch9wavefront6targetE1EEEvT1_: ; @_ZN7rocprim17ROCPRIM_400000_NS6detail17trampoline_kernelINS0_14default_configENS1_20scan_config_selectorIfEEZZNS1_9scan_implILNS1_25lookback_scan_determinismE0ELb0ELb0ES3_N6thrust23THRUST_200600_302600_NS6detail15normal_iteratorINS9_10device_ptrIfEEEENS9_16discard_iteratorINS9_11use_defaultEEEfNS9_4plusIvEEfEEDaPvRmT3_T4_T5_mT6_P12ihipStream_tbENKUlT_T0_E_clISt17integral_constantIbLb0EESX_EEDaSS_ST_EUlSS_E_NS1_11comp_targetILNS1_3genE5ELNS1_11target_archE942ELNS1_3gpuE9ELNS1_3repE0EEENS1_30default_config_static_selectorELNS0_4arch9wavefront6targetE1EEEvT1_
; %bb.0:
	.section	.rodata,"a",@progbits
	.p2align	6, 0x0
	.amdhsa_kernel _ZN7rocprim17ROCPRIM_400000_NS6detail17trampoline_kernelINS0_14default_configENS1_20scan_config_selectorIfEEZZNS1_9scan_implILNS1_25lookback_scan_determinismE0ELb0ELb0ES3_N6thrust23THRUST_200600_302600_NS6detail15normal_iteratorINS9_10device_ptrIfEEEENS9_16discard_iteratorINS9_11use_defaultEEEfNS9_4plusIvEEfEEDaPvRmT3_T4_T5_mT6_P12ihipStream_tbENKUlT_T0_E_clISt17integral_constantIbLb0EESX_EEDaSS_ST_EUlSS_E_NS1_11comp_targetILNS1_3genE5ELNS1_11target_archE942ELNS1_3gpuE9ELNS1_3repE0EEENS1_30default_config_static_selectorELNS0_4arch9wavefront6targetE1EEEvT1_
		.amdhsa_group_segment_fixed_size 0
		.amdhsa_private_segment_fixed_size 0
		.amdhsa_kernarg_size 104
		.amdhsa_user_sgpr_count 6
		.amdhsa_user_sgpr_private_segment_buffer 1
		.amdhsa_user_sgpr_dispatch_ptr 0
		.amdhsa_user_sgpr_queue_ptr 0
		.amdhsa_user_sgpr_kernarg_segment_ptr 1
		.amdhsa_user_sgpr_dispatch_id 0
		.amdhsa_user_sgpr_flat_scratch_init 0
		.amdhsa_user_sgpr_kernarg_preload_length 0
		.amdhsa_user_sgpr_kernarg_preload_offset 0
		.amdhsa_user_sgpr_private_segment_size 0
		.amdhsa_uses_dynamic_stack 0
		.amdhsa_system_sgpr_private_segment_wavefront_offset 0
		.amdhsa_system_sgpr_workgroup_id_x 1
		.amdhsa_system_sgpr_workgroup_id_y 0
		.amdhsa_system_sgpr_workgroup_id_z 0
		.amdhsa_system_sgpr_workgroup_info 0
		.amdhsa_system_vgpr_workitem_id 0
		.amdhsa_next_free_vgpr 1
		.amdhsa_next_free_sgpr 0
		.amdhsa_accum_offset 4
		.amdhsa_reserve_vcc 0
		.amdhsa_reserve_flat_scratch 0
		.amdhsa_float_round_mode_32 0
		.amdhsa_float_round_mode_16_64 0
		.amdhsa_float_denorm_mode_32 3
		.amdhsa_float_denorm_mode_16_64 3
		.amdhsa_dx10_clamp 1
		.amdhsa_ieee_mode 1
		.amdhsa_fp16_overflow 0
		.amdhsa_tg_split 0
		.amdhsa_exception_fp_ieee_invalid_op 0
		.amdhsa_exception_fp_denorm_src 0
		.amdhsa_exception_fp_ieee_div_zero 0
		.amdhsa_exception_fp_ieee_overflow 0
		.amdhsa_exception_fp_ieee_underflow 0
		.amdhsa_exception_fp_ieee_inexact 0
		.amdhsa_exception_int_div_zero 0
	.end_amdhsa_kernel
	.section	.text._ZN7rocprim17ROCPRIM_400000_NS6detail17trampoline_kernelINS0_14default_configENS1_20scan_config_selectorIfEEZZNS1_9scan_implILNS1_25lookback_scan_determinismE0ELb0ELb0ES3_N6thrust23THRUST_200600_302600_NS6detail15normal_iteratorINS9_10device_ptrIfEEEENS9_16discard_iteratorINS9_11use_defaultEEEfNS9_4plusIvEEfEEDaPvRmT3_T4_T5_mT6_P12ihipStream_tbENKUlT_T0_E_clISt17integral_constantIbLb0EESX_EEDaSS_ST_EUlSS_E_NS1_11comp_targetILNS1_3genE5ELNS1_11target_archE942ELNS1_3gpuE9ELNS1_3repE0EEENS1_30default_config_static_selectorELNS0_4arch9wavefront6targetE1EEEvT1_,"axG",@progbits,_ZN7rocprim17ROCPRIM_400000_NS6detail17trampoline_kernelINS0_14default_configENS1_20scan_config_selectorIfEEZZNS1_9scan_implILNS1_25lookback_scan_determinismE0ELb0ELb0ES3_N6thrust23THRUST_200600_302600_NS6detail15normal_iteratorINS9_10device_ptrIfEEEENS9_16discard_iteratorINS9_11use_defaultEEEfNS9_4plusIvEEfEEDaPvRmT3_T4_T5_mT6_P12ihipStream_tbENKUlT_T0_E_clISt17integral_constantIbLb0EESX_EEDaSS_ST_EUlSS_E_NS1_11comp_targetILNS1_3genE5ELNS1_11target_archE942ELNS1_3gpuE9ELNS1_3repE0EEENS1_30default_config_static_selectorELNS0_4arch9wavefront6targetE1EEEvT1_,comdat
.Lfunc_end5007:
	.size	_ZN7rocprim17ROCPRIM_400000_NS6detail17trampoline_kernelINS0_14default_configENS1_20scan_config_selectorIfEEZZNS1_9scan_implILNS1_25lookback_scan_determinismE0ELb0ELb0ES3_N6thrust23THRUST_200600_302600_NS6detail15normal_iteratorINS9_10device_ptrIfEEEENS9_16discard_iteratorINS9_11use_defaultEEEfNS9_4plusIvEEfEEDaPvRmT3_T4_T5_mT6_P12ihipStream_tbENKUlT_T0_E_clISt17integral_constantIbLb0EESX_EEDaSS_ST_EUlSS_E_NS1_11comp_targetILNS1_3genE5ELNS1_11target_archE942ELNS1_3gpuE9ELNS1_3repE0EEENS1_30default_config_static_selectorELNS0_4arch9wavefront6targetE1EEEvT1_, .Lfunc_end5007-_ZN7rocprim17ROCPRIM_400000_NS6detail17trampoline_kernelINS0_14default_configENS1_20scan_config_selectorIfEEZZNS1_9scan_implILNS1_25lookback_scan_determinismE0ELb0ELb0ES3_N6thrust23THRUST_200600_302600_NS6detail15normal_iteratorINS9_10device_ptrIfEEEENS9_16discard_iteratorINS9_11use_defaultEEEfNS9_4plusIvEEfEEDaPvRmT3_T4_T5_mT6_P12ihipStream_tbENKUlT_T0_E_clISt17integral_constantIbLb0EESX_EEDaSS_ST_EUlSS_E_NS1_11comp_targetILNS1_3genE5ELNS1_11target_archE942ELNS1_3gpuE9ELNS1_3repE0EEENS1_30default_config_static_selectorELNS0_4arch9wavefront6targetE1EEEvT1_
                                        ; -- End function
	.section	.AMDGPU.csdata,"",@progbits
; Kernel info:
; codeLenInByte = 0
; NumSgprs: 4
; NumVgprs: 0
; NumAgprs: 0
; TotalNumVgprs: 0
; ScratchSize: 0
; MemoryBound: 0
; FloatMode: 240
; IeeeMode: 1
; LDSByteSize: 0 bytes/workgroup (compile time only)
; SGPRBlocks: 0
; VGPRBlocks: 0
; NumSGPRsForWavesPerEU: 4
; NumVGPRsForWavesPerEU: 1
; AccumOffset: 4
; Occupancy: 8
; WaveLimiterHint : 0
; COMPUTE_PGM_RSRC2:SCRATCH_EN: 0
; COMPUTE_PGM_RSRC2:USER_SGPR: 6
; COMPUTE_PGM_RSRC2:TRAP_HANDLER: 0
; COMPUTE_PGM_RSRC2:TGID_X_EN: 1
; COMPUTE_PGM_RSRC2:TGID_Y_EN: 0
; COMPUTE_PGM_RSRC2:TGID_Z_EN: 0
; COMPUTE_PGM_RSRC2:TIDIG_COMP_CNT: 0
; COMPUTE_PGM_RSRC3_GFX90A:ACCUM_OFFSET: 0
; COMPUTE_PGM_RSRC3_GFX90A:TG_SPLIT: 0
	.section	.text._ZN7rocprim17ROCPRIM_400000_NS6detail17trampoline_kernelINS0_14default_configENS1_20scan_config_selectorIfEEZZNS1_9scan_implILNS1_25lookback_scan_determinismE0ELb0ELb0ES3_N6thrust23THRUST_200600_302600_NS6detail15normal_iteratorINS9_10device_ptrIfEEEENS9_16discard_iteratorINS9_11use_defaultEEEfNS9_4plusIvEEfEEDaPvRmT3_T4_T5_mT6_P12ihipStream_tbENKUlT_T0_E_clISt17integral_constantIbLb0EESX_EEDaSS_ST_EUlSS_E_NS1_11comp_targetILNS1_3genE4ELNS1_11target_archE910ELNS1_3gpuE8ELNS1_3repE0EEENS1_30default_config_static_selectorELNS0_4arch9wavefront6targetE1EEEvT1_,"axG",@progbits,_ZN7rocprim17ROCPRIM_400000_NS6detail17trampoline_kernelINS0_14default_configENS1_20scan_config_selectorIfEEZZNS1_9scan_implILNS1_25lookback_scan_determinismE0ELb0ELb0ES3_N6thrust23THRUST_200600_302600_NS6detail15normal_iteratorINS9_10device_ptrIfEEEENS9_16discard_iteratorINS9_11use_defaultEEEfNS9_4plusIvEEfEEDaPvRmT3_T4_T5_mT6_P12ihipStream_tbENKUlT_T0_E_clISt17integral_constantIbLb0EESX_EEDaSS_ST_EUlSS_E_NS1_11comp_targetILNS1_3genE4ELNS1_11target_archE910ELNS1_3gpuE8ELNS1_3repE0EEENS1_30default_config_static_selectorELNS0_4arch9wavefront6targetE1EEEvT1_,comdat
	.protected	_ZN7rocprim17ROCPRIM_400000_NS6detail17trampoline_kernelINS0_14default_configENS1_20scan_config_selectorIfEEZZNS1_9scan_implILNS1_25lookback_scan_determinismE0ELb0ELb0ES3_N6thrust23THRUST_200600_302600_NS6detail15normal_iteratorINS9_10device_ptrIfEEEENS9_16discard_iteratorINS9_11use_defaultEEEfNS9_4plusIvEEfEEDaPvRmT3_T4_T5_mT6_P12ihipStream_tbENKUlT_T0_E_clISt17integral_constantIbLb0EESX_EEDaSS_ST_EUlSS_E_NS1_11comp_targetILNS1_3genE4ELNS1_11target_archE910ELNS1_3gpuE8ELNS1_3repE0EEENS1_30default_config_static_selectorELNS0_4arch9wavefront6targetE1EEEvT1_ ; -- Begin function _ZN7rocprim17ROCPRIM_400000_NS6detail17trampoline_kernelINS0_14default_configENS1_20scan_config_selectorIfEEZZNS1_9scan_implILNS1_25lookback_scan_determinismE0ELb0ELb0ES3_N6thrust23THRUST_200600_302600_NS6detail15normal_iteratorINS9_10device_ptrIfEEEENS9_16discard_iteratorINS9_11use_defaultEEEfNS9_4plusIvEEfEEDaPvRmT3_T4_T5_mT6_P12ihipStream_tbENKUlT_T0_E_clISt17integral_constantIbLb0EESX_EEDaSS_ST_EUlSS_E_NS1_11comp_targetILNS1_3genE4ELNS1_11target_archE910ELNS1_3gpuE8ELNS1_3repE0EEENS1_30default_config_static_selectorELNS0_4arch9wavefront6targetE1EEEvT1_
	.globl	_ZN7rocprim17ROCPRIM_400000_NS6detail17trampoline_kernelINS0_14default_configENS1_20scan_config_selectorIfEEZZNS1_9scan_implILNS1_25lookback_scan_determinismE0ELb0ELb0ES3_N6thrust23THRUST_200600_302600_NS6detail15normal_iteratorINS9_10device_ptrIfEEEENS9_16discard_iteratorINS9_11use_defaultEEEfNS9_4plusIvEEfEEDaPvRmT3_T4_T5_mT6_P12ihipStream_tbENKUlT_T0_E_clISt17integral_constantIbLb0EESX_EEDaSS_ST_EUlSS_E_NS1_11comp_targetILNS1_3genE4ELNS1_11target_archE910ELNS1_3gpuE8ELNS1_3repE0EEENS1_30default_config_static_selectorELNS0_4arch9wavefront6targetE1EEEvT1_
	.p2align	8
	.type	_ZN7rocprim17ROCPRIM_400000_NS6detail17trampoline_kernelINS0_14default_configENS1_20scan_config_selectorIfEEZZNS1_9scan_implILNS1_25lookback_scan_determinismE0ELb0ELb0ES3_N6thrust23THRUST_200600_302600_NS6detail15normal_iteratorINS9_10device_ptrIfEEEENS9_16discard_iteratorINS9_11use_defaultEEEfNS9_4plusIvEEfEEDaPvRmT3_T4_T5_mT6_P12ihipStream_tbENKUlT_T0_E_clISt17integral_constantIbLb0EESX_EEDaSS_ST_EUlSS_E_NS1_11comp_targetILNS1_3genE4ELNS1_11target_archE910ELNS1_3gpuE8ELNS1_3repE0EEENS1_30default_config_static_selectorELNS0_4arch9wavefront6targetE1EEEvT1_,@function
_ZN7rocprim17ROCPRIM_400000_NS6detail17trampoline_kernelINS0_14default_configENS1_20scan_config_selectorIfEEZZNS1_9scan_implILNS1_25lookback_scan_determinismE0ELb0ELb0ES3_N6thrust23THRUST_200600_302600_NS6detail15normal_iteratorINS9_10device_ptrIfEEEENS9_16discard_iteratorINS9_11use_defaultEEEfNS9_4plusIvEEfEEDaPvRmT3_T4_T5_mT6_P12ihipStream_tbENKUlT_T0_E_clISt17integral_constantIbLb0EESX_EEDaSS_ST_EUlSS_E_NS1_11comp_targetILNS1_3genE4ELNS1_11target_archE910ELNS1_3gpuE8ELNS1_3repE0EEENS1_30default_config_static_selectorELNS0_4arch9wavefront6targetE1EEEvT1_: ; @_ZN7rocprim17ROCPRIM_400000_NS6detail17trampoline_kernelINS0_14default_configENS1_20scan_config_selectorIfEEZZNS1_9scan_implILNS1_25lookback_scan_determinismE0ELb0ELb0ES3_N6thrust23THRUST_200600_302600_NS6detail15normal_iteratorINS9_10device_ptrIfEEEENS9_16discard_iteratorINS9_11use_defaultEEEfNS9_4plusIvEEfEEDaPvRmT3_T4_T5_mT6_P12ihipStream_tbENKUlT_T0_E_clISt17integral_constantIbLb0EESX_EEDaSS_ST_EUlSS_E_NS1_11comp_targetILNS1_3genE4ELNS1_11target_archE910ELNS1_3gpuE8ELNS1_3repE0EEENS1_30default_config_static_selectorELNS0_4arch9wavefront6targetE1EEEvT1_
; %bb.0:
	s_load_dwordx4 s[0:3], s[4:5], 0x0
	s_load_dwordx2 s[8:9], s[4:5], 0x20
	s_load_dword s7, s[4:5], 0x38
	v_lshlrev_b32_e32 v18, 2, v0
	s_waitcnt lgkmcnt(0)
	s_lshl_b64 s[2:3], s[2:3], 2
	s_add_u32 s2, s0, s2
	s_addc_u32 s3, s1, s3
	s_add_i32 s7, s7, -1
	s_mul_i32 s10, s7, 0x700
	s_sub_u32 s22, s8, s10
	s_subb_u32 s23, s9, 0
	s_mul_i32 s0, s6, 0x700
	s_mov_b32 s1, 0
	s_cmp_lg_u32 s6, s7
	s_cselect_b64 s[16:17], -1, 0
	s_lshl_b64 s[0:1], s[0:1], 2
	s_add_u32 s0, s2, s0
	s_addc_u32 s1, s3, s1
	s_mov_b64 s[2:3], -1
	s_and_b64 vcc, exec, s[16:17]
	s_cbranch_vccz .LBB5008_2
; %bb.1:
	v_mov_b32_e32 v1, s1
	v_add_co_u32_e32 v2, vcc, s0, v18
	v_addc_co_u32_e32 v3, vcc, 0, v1, vcc
	flat_load_dword v1, v[2:3]
	flat_load_dword v4, v[2:3] offset:512
	flat_load_dword v5, v[2:3] offset:1024
	;; [unrolled: 1-line block ×7, first 2 shown]
	v_add_co_u32_e32 v2, vcc, 0x1000, v2
	v_addc_co_u32_e32 v3, vcc, 0, v3, vcc
	flat_load_dword v11, v[2:3]
	flat_load_dword v12, v[2:3] offset:512
	flat_load_dword v13, v[2:3] offset:1024
	;; [unrolled: 1-line block ×5, first 2 shown]
	s_mov_b64 s[2:3], 0
	s_waitcnt vmcnt(0) lgkmcnt(0)
	ds_write2st64_b32 v18, v1, v4 offset1:2
	ds_write2st64_b32 v18, v5, v6 offset0:4 offset1:6
	ds_write2st64_b32 v18, v7, v8 offset0:8 offset1:10
	;; [unrolled: 1-line block ×6, first 2 shown]
	s_waitcnt lgkmcnt(0)
	s_barrier
.LBB5008_2:
	s_load_dwordx2 s[18:19], s[4:5], 0x30
	s_andn2_b64 vcc, exec, s[2:3]
	s_cbranch_vccnz .LBB5008_32
; %bb.3:
	v_pk_mov_b32 v[2:3], s[0:1], s[0:1] op_sel:[0,1]
	flat_load_dword v1, v[2:3]
	v_cmp_gt_u32_e32 vcc, s22, v0
	s_waitcnt vmcnt(0) lgkmcnt(0)
	v_mov_b32_e32 v2, v1
	v_mov_b32_e32 v3, v1
	v_mov_b32_e32 v4, v1
	v_mov_b32_e32 v5, v1
	v_mov_b32_e32 v6, v1
	v_mov_b32_e32 v7, v1
	v_mov_b32_e32 v8, v1
	v_mov_b32_e32 v9, v1
	v_mov_b32_e32 v10, v1
	v_mov_b32_e32 v11, v1
	v_mov_b32_e32 v12, v1
	v_mov_b32_e32 v13, v1
	v_pk_mov_b32 v[16:17], v[14:15], v[14:15] op_sel:[0,1]
	v_pk_mov_b32 v[14:15], v[12:13], v[12:13] op_sel:[0,1]
	;; [unrolled: 1-line block ×8, first 2 shown]
	s_and_saveexec_b64 s[2:3], vcc
	s_cbranch_execz .LBB5008_5
; %bb.4:
	v_mov_b32_e32 v3, s1
	v_add_co_u32_e32 v2, vcc, s0, v18
	v_addc_co_u32_e32 v3, vcc, 0, v3, vcc
	flat_load_dword v19, v[2:3]
	v_mov_b32_e32 v2, v1
	v_mov_b32_e32 v3, v1
	;; [unrolled: 1-line block ×12, first 2 shown]
	v_pk_mov_b32 v[16:17], v[14:15], v[14:15] op_sel:[0,1]
	v_pk_mov_b32 v[14:15], v[12:13], v[12:13] op_sel:[0,1]
	;; [unrolled: 1-line block ×8, first 2 shown]
	s_waitcnt vmcnt(0) lgkmcnt(0)
	v_mov_b32_e32 v1, v19
.LBB5008_5:
	s_or_b64 exec, exec, s[2:3]
	v_or_b32_e32 v2, 0x80, v0
	v_cmp_gt_u32_e32 vcc, s22, v2
	s_and_saveexec_b64 s[2:3], vcc
	s_cbranch_execz .LBB5008_7
; %bb.6:
	v_mov_b32_e32 v3, s1
	v_add_co_u32_e32 v2, vcc, s0, v18
	v_addc_co_u32_e32 v3, vcc, 0, v3, vcc
	flat_load_dword v3, v[2:3] offset:512
.LBB5008_7:
	s_or_b64 exec, exec, s[2:3]
	v_or_b32_e32 v2, 0x100, v0
	v_cmp_gt_u32_e32 vcc, s22, v2
	s_and_saveexec_b64 s[2:3], vcc
	s_cbranch_execz .LBB5008_9
; %bb.8:
	v_mov_b32_e32 v2, s1
	v_add_co_u32_e32 v16, vcc, s0, v18
	v_addc_co_u32_e32 v17, vcc, 0, v2, vcc
	flat_load_dword v4, v[16:17] offset:1024
.LBB5008_9:
	;; [unrolled: 11-line block ×7, first 2 shown]
	s_or_b64 exec, exec, s[2:3]
	v_or_b32_e32 v2, 0x400, v0
	v_cmp_gt_u32_e32 vcc, s22, v2
	s_and_saveexec_b64 s[2:3], vcc
	s_cbranch_execz .LBB5008_21
; %bb.20:
	v_lshlrev_b32_e32 v2, 2, v2
	v_mov_b32_e32 v10, s1
	v_add_co_u32_e32 v16, vcc, s0, v2
	v_addc_co_u32_e32 v17, vcc, 0, v10, vcc
	flat_load_dword v10, v[16:17]
.LBB5008_21:
	s_or_b64 exec, exec, s[2:3]
	v_or_b32_e32 v2, 0x480, v0
	v_cmp_gt_u32_e32 vcc, s22, v2
	s_and_saveexec_b64 s[2:3], vcc
	s_cbranch_execz .LBB5008_23
; %bb.22:
	v_lshlrev_b32_e32 v2, 2, v2
	v_mov_b32_e32 v11, s1
	v_add_co_u32_e32 v16, vcc, s0, v2
	v_addc_co_u32_e32 v17, vcc, 0, v11, vcc
	flat_load_dword v11, v[16:17]
.LBB5008_23:
	;; [unrolled: 12-line block ×6, first 2 shown]
	s_or_b64 exec, exec, s[2:3]
	s_waitcnt vmcnt(0) lgkmcnt(0)
	ds_write2st64_b32 v18, v1, v3 offset1:2
	ds_write2st64_b32 v18, v4, v5 offset0:4 offset1:6
	ds_write2st64_b32 v18, v6, v7 offset0:8 offset1:10
	;; [unrolled: 1-line block ×6, first 2 shown]
	s_waitcnt lgkmcnt(0)
	s_barrier
.LBB5008_32:
	v_mul_u32_u24_e32 v32, 14, v0
	v_lshlrev_b32_e32 v33, 2, v32
	s_waitcnt lgkmcnt(0)
	ds_read2_b64 v[2:5], v33 offset1:1
	ds_read2_b64 v[26:29], v33 offset0:2 offset1:3
	ds_read2_b64 v[22:25], v33 offset0:4 offset1:5
	ds_read_b64 v[30:31], v33 offset:48
	s_cmp_lg_u32 s6, 0
	v_lshrrev_b32_e32 v1, 5, v0
	v_cmp_gt_u32_e32 vcc, 64, v0
	s_waitcnt lgkmcnt(0)
	s_barrier
	s_cbranch_scc0 .LBB5008_57
; %bb.33:
	v_add_f32_e32 v6, v2, v3
	v_add_f32_e32 v6, v4, v6
	;; [unrolled: 1-line block ×13, first 2 shown]
	v_add_lshl_u32 v6, v1, v0, 2
	ds_write_b32 v6, v16
	s_waitcnt lgkmcnt(0)
	s_barrier
	s_and_saveexec_b64 s[10:11], vcc
	s_cbranch_execz .LBB5008_35
; %bb.34:
	v_lshlrev_b32_e32 v6, 1, v0
	v_lshrrev_b32_e32 v7, 4, v0
	v_add_lshl_u32 v8, v7, v6, 2
	ds_read2_b32 v[6:7], v8 offset1:1
	v_mbcnt_lo_u32_b32 v9, -1, 0
	v_mbcnt_hi_u32_b32 v9, -1, v9
	v_and_b32_e32 v10, 15, v9
	v_cmp_eq_u32_e64 s[0:1], 0, v10
	s_waitcnt lgkmcnt(0)
	v_add_f32_e32 v7, v6, v7
	v_cmp_lt_u32_e64 s[2:3], 3, v10
	v_cmp_lt_u32_e64 s[8:9], 31, v9
	v_mov_b32_dpp v11, v7 row_shr:1 row_mask:0xf bank_mask:0xf
	v_add_f32_e32 v11, v7, v11
	v_cndmask_b32_e64 v7, v11, v7, s[0:1]
	v_cmp_lt_u32_e64 s[0:1], 1, v10
	s_nop 0
	v_mov_b32_dpp v11, v7 row_shr:2 row_mask:0xf bank_mask:0xf
	v_add_f32_e32 v11, v7, v11
	v_cndmask_b32_e64 v11, v7, v11, s[0:1]
	; wave barrier
	s_nop 1
	v_mov_b32_dpp v12, v11 row_shr:4 row_mask:0xf bank_mask:0xf
	v_add_f32_e32 v12, v11, v12
	v_cndmask_b32_e64 v11, v11, v12, s[2:3]
	v_cmp_lt_u32_e64 s[2:3], 7, v10
	s_nop 0
	v_mov_b32_dpp v12, v11 row_shr:8 row_mask:0xf bank_mask:0xf
	v_add_f32_e32 v12, v11, v12
	v_cndmask_b32_e64 v10, v11, v12, s[2:3]
	v_and_b32_e32 v12, 16, v9
	v_cmp_eq_u32_e64 s[2:3], 0, v12
	v_mov_b32_dpp v11, v10 row_bcast:15 row_mask:0xf bank_mask:0xf
	v_add_f32_e32 v11, v10, v11
	v_cndmask_b32_e64 v10, v11, v10, s[2:3]
	v_cmp_lt_u32_e64 s[2:3], 15, v9
	s_or_b64 s[0:1], s[2:3], s[0:1]
	v_mov_b32_dpp v11, v10 row_bcast:31 row_mask:0xf bank_mask:0xf
	v_add_f32_e32 v11, v10, v11
	v_cndmask_b32_e64 v10, v10, v11, s[8:9]
	v_cndmask_b32_e64 v7, v7, v10, s[0:1]
	v_add_u32_e32 v10, -1, v9
	v_and_b32_e32 v11, 64, v9
	v_cmp_lt_i32_e64 s[0:1], v10, v11
	v_cndmask_b32_e64 v9, v10, v9, s[0:1]
	v_lshlrev_b32_e32 v9, 2, v9
	ds_bpermute_b32 v7, v9, v7
	v_cmp_eq_u32_e64 s[0:1], 0, v0
	s_waitcnt lgkmcnt(0)
	v_add_f32_e32 v6, v6, v7
	v_cndmask_b32_e64 v6, v6, v16, s[0:1]
	ds_write_b32 v8, v6
	; wave barrier
	ds_read_b32 v7, v8 offset:4
	s_waitcnt lgkmcnt(0)
	v_add_f32_e32 v6, v6, v7
	ds_write_b32 v8, v6 offset:4
.LBB5008_35:
	s_or_b64 exec, exec, s[10:11]
	v_cmp_eq_u32_e64 s[0:1], 0, v0
	v_cmp_ne_u32_e64 s[2:3], 0, v0
	s_waitcnt lgkmcnt(0)
	s_barrier
	s_and_saveexec_b64 s[8:9], s[2:3]
	s_cbranch_execz .LBB5008_37
; %bb.36:
	v_add_u32_e32 v6, -1, v0
	v_lshrrev_b32_e32 v7, 5, v6
	v_add_lshl_u32 v6, v7, v6, 2
	ds_read_b32 v16, v6
.LBB5008_37:
	s_or_b64 exec, exec, s[8:9]
	s_and_saveexec_b64 s[20:21], vcc
	s_cbranch_execz .LBB5008_56
; %bb.38:
	v_mov_b32_e32 v13, 0
	ds_read_b32 v6, v13 offset:520
	v_mbcnt_lo_u32_b32 v7, -1, 0
	v_mbcnt_hi_u32_b32 v9, -1, v7
	s_mov_b32 s11, 0
	v_cmp_eq_u32_e64 s[2:3], 0, v9
	s_and_saveexec_b64 s[8:9], s[2:3]
	s_cbranch_execz .LBB5008_40
; %bb.39:
	s_add_i32 s10, s6, 64
	s_lshl_b64 s[10:11], s[10:11], 3
	s_add_u32 s10, s18, s10
	v_mov_b32_e32 v7, 1
	s_addc_u32 s11, s19, s11
	s_waitcnt lgkmcnt(0)
	global_store_dwordx2 v13, v[6:7], s[10:11]
.LBB5008_40:
	s_or_b64 exec, exec, s[8:9]
	v_xad_u32 v8, v9, -1, s6
	v_add_u32_e32 v12, 64, v8
	v_lshlrev_b64 v[10:11], 3, v[12:13]
	v_mov_b32_e32 v7, s19
	v_add_co_u32_e32 v14, vcc, s18, v10
	v_addc_co_u32_e32 v15, vcc, v7, v11, vcc
	global_load_dwordx2 v[10:11], v[14:15], off glc
	s_waitcnt vmcnt(0)
	v_cmp_eq_u16_sdwa s[10:11], v11, v13 src0_sel:BYTE_0 src1_sel:DWORD
	s_and_saveexec_b64 s[8:9], s[10:11]
	s_cbranch_execz .LBB5008_44
; %bb.41:
	s_mov_b64 s[10:11], 0
	v_mov_b32_e32 v7, 0
.LBB5008_42:                            ; =>This Inner Loop Header: Depth=1
	global_load_dwordx2 v[10:11], v[14:15], off glc
	s_waitcnt vmcnt(0)
	v_cmp_ne_u16_sdwa s[12:13], v11, v7 src0_sel:BYTE_0 src1_sel:DWORD
	s_or_b64 s[10:11], s[12:13], s[10:11]
	s_andn2_b64 exec, exec, s[10:11]
	s_cbranch_execnz .LBB5008_42
; %bb.43:
	s_or_b64 exec, exec, s[10:11]
.LBB5008_44:
	s_or_b64 exec, exec, s[8:9]
	v_and_b32_e32 v17, 63, v9
	v_cmp_ne_u32_e32 vcc, 63, v17
	v_addc_co_u32_e32 v18, vcc, 0, v9, vcc
	v_mov_b32_e32 v7, 2
	v_lshlrev_b32_e32 v18, 2, v18
	v_cmp_eq_u16_sdwa s[8:9], v11, v7 src0_sel:BYTE_0 src1_sel:DWORD
	v_lshlrev_b64 v[12:13], v9, -1
	ds_bpermute_b32 v19, v18, v10
	v_and_b32_e32 v14, s9, v13
	v_or_b32_e32 v14, 0x80000000, v14
	v_and_b32_e32 v15, s8, v12
	v_ffbl_b32_e32 v14, v14
	v_add_u32_e32 v14, 32, v14
	v_ffbl_b32_e32 v15, v15
	v_cmp_gt_u32_e64 s[8:9], 62, v17
	v_min_u32_e32 v14, v15, v14
	s_waitcnt lgkmcnt(0)
	v_add_f32_e32 v15, v10, v19
	v_cndmask_b32_e64 v19, 0, 1, s[8:9]
	v_cmp_lt_u32_e32 vcc, v17, v14
	v_lshlrev_b32_e32 v19, 1, v19
	v_cndmask_b32_e32 v15, v10, v15, vcc
	v_add_lshl_u32 v19, v19, v9, 2
	ds_bpermute_b32 v21, v19, v15
	v_add_u32_e32 v20, 2, v17
	v_cmp_gt_u32_e64 s[8:9], v20, v14
	v_cmp_gt_u32_e64 s[10:11], 56, v17
	v_add_u32_e32 v34, 4, v17
	s_waitcnt lgkmcnt(0)
	v_add_f32_e32 v21, v15, v21
	v_cndmask_b32_e64 v15, v21, v15, s[8:9]
	v_cmp_gt_u32_e64 s[8:9], 60, v17
	v_cndmask_b32_e64 v21, 0, 1, s[8:9]
	v_lshlrev_b32_e32 v21, 2, v21
	v_add_lshl_u32 v21, v21, v9, 2
	ds_bpermute_b32 v35, v21, v15
	v_cmp_gt_u32_e64 s[8:9], v34, v14
	v_add_u32_e32 v36, 8, v17
	v_cmp_gt_u32_e64 s[12:13], 48, v17
	v_cmp_gt_u32_e64 s[14:15], 32, v17
	s_waitcnt lgkmcnt(0)
	v_add_f32_e32 v39, v15, v35
	v_cndmask_b32_e64 v35, 0, 1, s[10:11]
	v_lshlrev_b32_e32 v35, 3, v35
	v_cndmask_b32_e64 v37, v39, v15, s[8:9]
	v_add_lshl_u32 v35, v35, v9, 2
	ds_bpermute_b32 v38, v35, v37
	v_cmp_gt_u32_e64 s[10:11], v36, v14
	v_cndmask_b32_e32 v10, v10, v15, vcc
	v_cndmask_b32_e64 v10, v39, v10, s[8:9]
	s_waitcnt lgkmcnt(0)
	v_add_f32_e32 v42, v37, v38
	v_cndmask_b32_e64 v40, v42, v37, s[10:11]
	v_cndmask_b32_e64 v37, 0, 1, s[12:13]
	v_lshlrev_b32_e32 v37, 4, v37
	v_add_lshl_u32 v37, v37, v9, 2
	ds_bpermute_b32 v41, v37, v40
	v_add_u32_e32 v38, 16, v17
	v_cmp_gt_u32_e64 s[12:13], v38, v14
	v_cndmask_b32_e64 v10, v42, v10, s[10:11]
	s_waitcnt lgkmcnt(0)
	v_add_f32_e32 v43, v40, v41
	v_cndmask_b32_e64 v44, v43, v40, s[12:13]
	v_cndmask_b32_e64 v40, 0, 1, s[14:15]
	v_lshlrev_b32_e32 v40, 5, v40
	v_add_lshl_u32 v40, v40, v9, 2
	ds_bpermute_b32 v9, v40, v44
	v_add_u32_e32 v41, 32, v17
	v_cndmask_b32_e64 v10, v43, v10, s[12:13]
	v_cmp_gt_u32_e32 vcc, v41, v14
	s_waitcnt lgkmcnt(0)
	v_add_f32_e32 v9, v44, v9
	v_cndmask_b32_e32 v10, v9, v10, vcc
	v_mov_b32_e32 v9, 0
	s_branch .LBB5008_46
.LBB5008_45:                            ;   in Loop: Header=BB5008_46 Depth=1
	s_or_b64 exec, exec, s[8:9]
	v_cmp_eq_u16_sdwa s[8:9], v11, v7 src0_sel:BYTE_0 src1_sel:DWORD
	v_and_b32_e32 v14, s9, v13
	ds_bpermute_b32 v42, v18, v10
	v_or_b32_e32 v14, 0x80000000, v14
	v_and_b32_e32 v15, s8, v12
	v_ffbl_b32_e32 v14, v14
	v_add_u32_e32 v14, 32, v14
	v_ffbl_b32_e32 v15, v15
	v_min_u32_e32 v14, v15, v14
	s_waitcnt lgkmcnt(0)
	v_add_f32_e32 v15, v10, v42
	v_cmp_lt_u32_e32 vcc, v17, v14
	v_cndmask_b32_e32 v15, v10, v15, vcc
	ds_bpermute_b32 v42, v19, v15
	v_cmp_gt_u32_e64 s[8:9], v20, v14
	v_cmp_gt_u32_e64 s[10:11], v36, v14
	;; [unrolled: 1-line block ×3, first 2 shown]
	v_subrev_u32_e32 v8, 64, v8
	s_waitcnt lgkmcnt(0)
	v_add_f32_e32 v42, v15, v42
	v_cndmask_b32_e64 v15, v42, v15, s[8:9]
	ds_bpermute_b32 v42, v21, v15
	v_cmp_gt_u32_e64 s[8:9], v34, v14
	v_cndmask_b32_e32 v10, v10, v15, vcc
	v_cmp_gt_u32_e32 vcc, v41, v14
	s_waitcnt lgkmcnt(0)
	v_add_f32_e32 v42, v15, v42
	v_cndmask_b32_e64 v43, v42, v15, s[8:9]
	ds_bpermute_b32 v44, v35, v43
	v_cndmask_b32_e64 v10, v42, v10, s[8:9]
	s_waitcnt lgkmcnt(0)
	v_add_f32_e32 v44, v43, v44
	v_cndmask_b32_e64 v43, v44, v43, s[10:11]
	ds_bpermute_b32 v45, v37, v43
	v_cndmask_b32_e64 v10, v44, v10, s[10:11]
	;; [unrolled: 5-line block ×3, first 2 shown]
	s_waitcnt lgkmcnt(0)
	v_add_f32_e32 v15, v43, v46
	v_cndmask_b32_e32 v10, v15, v10, vcc
	v_add_f32_e32 v10, v39, v10
.LBB5008_46:                            ; =>This Loop Header: Depth=1
                                        ;     Child Loop BB5008_49 Depth 2
	v_cmp_ne_u16_sdwa s[8:9], v11, v7 src0_sel:BYTE_0 src1_sel:DWORD
	v_cndmask_b32_e64 v11, 0, 1, s[8:9]
	;;#ASMSTART
	;;#ASMEND
	v_cmp_ne_u32_e32 vcc, 0, v11
	s_cmp_lg_u64 vcc, exec
	v_mov_b32_e32 v39, v10
	s_cbranch_scc1 .LBB5008_51
; %bb.47:                               ;   in Loop: Header=BB5008_46 Depth=1
	v_lshlrev_b64 v[10:11], 3, v[8:9]
	v_mov_b32_e32 v15, s19
	v_add_co_u32_e32 v14, vcc, s18, v10
	v_addc_co_u32_e32 v15, vcc, v15, v11, vcc
	global_load_dwordx2 v[10:11], v[14:15], off glc
	s_waitcnt vmcnt(0)
	v_cmp_eq_u16_sdwa s[10:11], v11, v9 src0_sel:BYTE_0 src1_sel:DWORD
	s_and_saveexec_b64 s[8:9], s[10:11]
	s_cbranch_execz .LBB5008_45
; %bb.48:                               ;   in Loop: Header=BB5008_46 Depth=1
	s_mov_b64 s[10:11], 0
.LBB5008_49:                            ;   Parent Loop BB5008_46 Depth=1
                                        ; =>  This Inner Loop Header: Depth=2
	global_load_dwordx2 v[10:11], v[14:15], off glc
	s_waitcnt vmcnt(0)
	v_cmp_ne_u16_sdwa s[12:13], v11, v9 src0_sel:BYTE_0 src1_sel:DWORD
	s_or_b64 s[10:11], s[12:13], s[10:11]
	s_andn2_b64 exec, exec, s[10:11]
	s_cbranch_execnz .LBB5008_49
; %bb.50:                               ;   in Loop: Header=BB5008_46 Depth=1
	s_or_b64 exec, exec, s[10:11]
	s_branch .LBB5008_45
.LBB5008_51:                            ;   in Loop: Header=BB5008_46 Depth=1
                                        ; implicit-def: $vgpr10
                                        ; implicit-def: $vgpr11
	s_cbranch_execz .LBB5008_46
; %bb.52:
	s_and_saveexec_b64 s[8:9], s[2:3]
	s_cbranch_execz .LBB5008_54
; %bb.53:
	s_add_i32 s2, s6, 64
	s_mov_b32 s3, 0
	s_lshl_b64 s[2:3], s[2:3], 3
	s_add_u32 s2, s18, s2
	v_add_f32_e32 v6, v6, v39
	v_mov_b32_e32 v7, 2
	s_addc_u32 s3, s19, s3
	v_mov_b32_e32 v8, 0
	global_store_dwordx2 v8, v[6:7], s[2:3]
.LBB5008_54:
	s_or_b64 exec, exec, s[8:9]
	s_and_b64 exec, exec, s[0:1]
	s_cbranch_execz .LBB5008_56
; %bb.55:
	v_mov_b32_e32 v6, 0
	ds_write_b32 v6, v39
.LBB5008_56:
	s_or_b64 exec, exec, s[20:21]
	v_mov_b32_e32 v6, 0
	s_waitcnt lgkmcnt(0)
	s_barrier
	ds_read_b32 v6, v6
	v_add_f32_e32 v7, v2, v16
	v_cndmask_b32_e64 v7, v7, v2, s[0:1]
	s_waitcnt lgkmcnt(0)
	v_add_f32_e32 v6, v7, v6
	v_add_f32_e32 v7, v3, v6
	;; [unrolled: 1-line block ×14, first 2 shown]
	s_load_dwordx8 s[8:15], s[4:5], 0x40
	s_branch .LBB5008_69
.LBB5008_57:
                                        ; implicit-def: $vgpr6_vgpr7_vgpr8_vgpr9_vgpr10_vgpr11_vgpr12_vgpr13_vgpr14_vgpr15_vgpr16_vgpr17_vgpr18_vgpr19_vgpr20_vgpr21
	s_load_dwordx8 s[8:15], s[4:5], 0x40
	s_cbranch_execz .LBB5008_69
; %bb.58:
	s_waitcnt lgkmcnt(0)
	s_cmp_lg_u64 s[12:13], 0
	s_cselect_b64 s[2:3], -1, 0
	v_cmp_eq_u32_e64 s[0:1], 0, v0
	v_cmp_ne_u32_e32 vcc, 0, v0
	s_and_b64 s[4:5], s[0:1], s[2:3]
	s_and_saveexec_b64 s[2:3], s[4:5]
	s_cbranch_execz .LBB5008_60
; %bb.59:
	v_mov_b32_e32 v6, 0
	global_load_dword v6, v6, s[8:9]
	s_waitcnt vmcnt(0)
	v_add_f32_e32 v2, v2, v6
.LBB5008_60:
	s_or_b64 exec, exec, s[2:3]
	v_add_f32_e32 v16, v2, v3
	v_add_f32_e32 v17, v4, v16
	;; [unrolled: 1-line block ×13, first 2 shown]
	v_add_lshl_u32 v1, v1, v0, 2
	v_cmp_gt_u32_e64 s[2:3], 64, v0
	ds_write_b32 v1, v15
	s_waitcnt lgkmcnt(0)
	s_barrier
	s_and_saveexec_b64 s[8:9], s[2:3]
	s_cbranch_execz .LBB5008_62
; %bb.61:
	v_lshlrev_b32_e32 v1, 1, v0
	v_lshrrev_b32_e32 v19, 4, v0
	v_add_lshl_u32 v1, v19, v1, 2
	ds_read2_b32 v[20:21], v1 offset1:1
	v_mbcnt_lo_u32_b32 v19, -1, 0
	v_mbcnt_hi_u32_b32 v19, -1, v19
	v_and_b32_e32 v34, 15, v19
	v_cmp_eq_u32_e64 s[2:3], 0, v34
	s_waitcnt lgkmcnt(0)
	v_add_f32_e32 v21, v20, v21
	v_cmp_lt_u32_e64 s[4:5], 3, v34
	v_cmp_lt_u32_e64 s[6:7], 31, v19
	v_mov_b32_dpp v35, v21 row_shr:1 row_mask:0xf bank_mask:0xf
	v_add_f32_e32 v35, v21, v35
	v_cndmask_b32_e64 v21, v35, v21, s[2:3]
	v_cmp_lt_u32_e64 s[2:3], 1, v34
	s_nop 0
	v_mov_b32_dpp v35, v21 row_shr:2 row_mask:0xf bank_mask:0xf
	v_add_f32_e32 v35, v21, v35
	v_cndmask_b32_e64 v35, v21, v35, s[2:3]
	; wave barrier
	s_nop 1
	v_mov_b32_dpp v36, v35 row_shr:4 row_mask:0xf bank_mask:0xf
	v_add_f32_e32 v36, v35, v36
	v_cndmask_b32_e64 v35, v35, v36, s[4:5]
	v_cmp_lt_u32_e64 s[4:5], 7, v34
	s_nop 0
	v_mov_b32_dpp v36, v35 row_shr:8 row_mask:0xf bank_mask:0xf
	v_add_f32_e32 v36, v35, v36
	v_cndmask_b32_e64 v34, v35, v36, s[4:5]
	v_and_b32_e32 v36, 16, v19
	v_cmp_eq_u32_e64 s[4:5], 0, v36
	v_mov_b32_dpp v35, v34 row_bcast:15 row_mask:0xf bank_mask:0xf
	v_add_f32_e32 v35, v34, v35
	v_cndmask_b32_e64 v34, v35, v34, s[4:5]
	v_cmp_lt_u32_e64 s[4:5], 15, v19
	s_or_b64 s[2:3], s[4:5], s[2:3]
	v_mov_b32_dpp v35, v34 row_bcast:31 row_mask:0xf bank_mask:0xf
	v_add_f32_e32 v35, v34, v35
	v_cndmask_b32_e64 v34, v34, v35, s[6:7]
	v_cndmask_b32_e64 v21, v21, v34, s[2:3]
	v_add_u32_e32 v34, -1, v19
	v_and_b32_e32 v35, 64, v19
	v_cmp_lt_i32_e64 s[2:3], v34, v35
	v_cndmask_b32_e64 v19, v34, v19, s[2:3]
	v_lshlrev_b32_e32 v19, 2, v19
	ds_bpermute_b32 v19, v19, v21
	s_waitcnt lgkmcnt(0)
	v_add_f32_e32 v19, v20, v19
	v_cndmask_b32_e64 v19, v19, v15, s[0:1]
	ds_write_b32 v1, v19
	; wave barrier
	ds_read_b32 v20, v1 offset:4
	s_waitcnt lgkmcnt(0)
	v_add_f32_e32 v19, v19, v20
	ds_write_b32 v1, v19 offset:4
.LBB5008_62:
	s_or_b64 exec, exec, s[8:9]
	v_mov_b32_e32 v1, v15
	s_waitcnt lgkmcnt(0)
	s_barrier
	s_and_saveexec_b64 s[0:1], vcc
	s_cbranch_execz .LBB5008_64
; %bb.63:
	v_add_u32_e32 v1, -1, v0
	v_lshrrev_b32_e32 v19, 5, v1
	v_add_lshl_u32 v1, v19, v1, 2
	ds_read_b32 v1, v1
.LBB5008_64:
	s_or_b64 exec, exec, s[0:1]
	s_and_saveexec_b64 s[0:1], vcc
	s_cbranch_execz .LBB5008_66
; %bb.65:
	s_waitcnt lgkmcnt(0)
	v_add_f32_e32 v2, v2, v1
	v_add_f32_e32 v16, v3, v2
	;; [unrolled: 1-line block ×14, first 2 shown]
	;;#ASMSTART
	;;#ASMEND
.LBB5008_66:
	s_or_b64 exec, exec, s[0:1]
	s_movk_i32 s0, 0x7f
	v_cmp_eq_u32_e32 vcc, s0, v0
	s_and_saveexec_b64 s[0:1], vcc
	s_cbranch_execz .LBB5008_68
; %bb.67:
	s_waitcnt lgkmcnt(0)
	v_mov_b32_e32 v1, 0
	v_mov_b32_e32 v5, 2
	;; [unrolled: 1-line block ×3, first 2 shown]
	global_store_dwordx2 v1, v[4:5], s[18:19] offset:512
.LBB5008_68:
	s_or_b64 exec, exec, s[0:1]
	v_mov_b32_e32 v3, v16
	v_mov_b32_e32 v4, v17
	;; [unrolled: 1-line block ×3, first 2 shown]
	v_pk_mov_b32 v[20:21], v[16:17], v[16:17] op_sel:[0,1]
	v_pk_mov_b32 v[18:19], v[14:15], v[14:15] op_sel:[0,1]
	;; [unrolled: 1-line block ×8, first 2 shown]
.LBB5008_69:
	s_mov_b64 s[0:1], -1
	s_and_b64 vcc, exec, s[16:17]
	s_waitcnt lgkmcnt(0)
	s_barrier
	ds_write2_b64 v33, v[6:7], v[8:9] offset1:1
	ds_write2_b64 v33, v[10:11], v[12:13] offset0:2 offset1:3
	ds_write2_b64 v33, v[14:15], v[16:17] offset0:4 offset1:5
	ds_write_b64 v33, v[18:19] offset:48
	s_waitcnt lgkmcnt(0)
	s_cbranch_vccz .LBB5008_71
; %bb.70:
	s_barrier
	s_mov_b64 s[0:1], 0
.LBB5008_71:
	s_andn2_b64 vcc, exec, s[0:1]
	s_cbranch_vccnz .LBB5008_123
; %bb.72:
	v_cmp_lt_u64_e64 s[0:1], s[14:15], 2
	s_and_b64 vcc, exec, s[0:1]
	s_barrier
	s_cbranch_vccnz .LBB5008_123
; %bb.73:
	s_add_u32 s0, s22, -1
	s_addc_u32 s1, s23, -1
	s_add_u32 s2, 0, 0x49240800
	s_addc_u32 s3, 0, 50
	s_add_i32 s3, s3, 0x12492460
	s_mul_hi_u32 s7, s2, -14
	s_sub_i32 s7, s7, s2
	s_mul_i32 s8, s3, -14
	s_mul_i32 s4, s2, -14
	s_add_i32 s7, s7, s8
	s_mul_hi_u32 s5, s3, s4
	s_mul_i32 s6, s3, s4
	s_mul_i32 s9, s2, s7
	s_mul_hi_u32 s4, s2, s4
	s_mul_hi_u32 s8, s2, s7
	s_add_u32 s4, s4, s9
	s_addc_u32 s8, 0, s8
	s_add_u32 s4, s4, s6
	s_mul_hi_u32 s9, s3, s7
	s_addc_u32 s4, s8, s5
	s_addc_u32 s5, s9, 0
	s_mul_i32 s6, s3, s7
	s_add_u32 s4, s4, s6
	v_mov_b32_e32 v2, s4
	s_addc_u32 s5, 0, s5
	v_add_co_u32_e32 v2, vcc, s2, v2
	s_cmp_lg_u64 vcc, 0
	s_addc_u32 s2, s3, s5
	v_readfirstlane_b32 s5, v2
	s_mul_i32 s4, s0, s2
	s_mul_hi_u32 s6, s0, s5
	s_mul_hi_u32 s3, s0, s2
	s_add_u32 s4, s6, s4
	s_addc_u32 s3, 0, s3
	s_mul_hi_u32 s7, s1, s5
	s_mul_i32 s5, s1, s5
	s_add_u32 s4, s4, s5
	s_mul_hi_u32 s6, s1, s2
	s_addc_u32 s3, s3, s7
	s_addc_u32 s4, s6, 0
	s_mul_i32 s2, s1, s2
	s_add_u32 s2, s3, s2
	s_addc_u32 s3, 0, s4
	s_add_u32 s4, s2, 1
	s_addc_u32 s5, s3, 0
	s_add_u32 s6, s2, 2
	s_mul_i32 s8, s3, 14
	s_mul_hi_u32 s9, s2, 14
	s_addc_u32 s7, s3, 0
	s_add_i32 s9, s9, s8
	s_mul_i32 s8, s2, 14
	v_mov_b32_e32 v2, s8
	v_sub_co_u32_e32 v2, vcc, s0, v2
	s_cmp_lg_u64 vcc, 0
	s_subb_u32 s8, s1, s9
	v_subrev_co_u32_e32 v3, vcc, 14, v2
	s_cmp_lg_u64 vcc, 0
	s_subb_u32 s9, s8, 0
	v_readfirstlane_b32 s12, v3
	s_cmp_gt_u32 s12, 13
	s_cselect_b32 s12, -1, 0
	s_cmp_eq_u32 s9, 0
	s_cselect_b32 s9, s12, -1
	s_cmp_lg_u32 s9, 0
	s_cselect_b32 s4, s6, s4
	v_readfirstlane_b32 s6, v2
	s_cselect_b32 s5, s7, s5
	s_cmp_gt_u32 s6, 13
	s_cselect_b32 s6, -1, 0
	s_cmp_eq_u32 s8, 0
	s_cselect_b32 s6, s6, -1
	s_cmp_lg_u32 s6, 0
	v_mov_b32_e32 v1, 0
	s_cselect_b32 s3, s5, s3
	s_cselect_b32 s2, s4, s2
	v_cmp_eq_u64_e32 vcc, s[2:3], v[0:1]
	s_and_saveexec_b64 s[2:3], vcc
	s_cbranch_execz .LBB5008_123
; %bb.74:
	s_movk_i32 s2, 0xffcc
	v_mad_i32_i24 v2, v0, s2, v33
	v_mul_hi_u32_u24_e32 v1, 14, v0
	v_mov_b32_e32 v3, s1
	v_sub_co_u32_e32 v0, vcc, s0, v32
	v_subb_co_u32_e32 v1, vcc, v3, v1, vcc
	v_cmp_lt_i64_e32 vcc, 6, v[0:1]
	s_and_saveexec_b64 s[0:1], vcc
	s_xor_b64 s[0:1], exec, s[0:1]
	s_cbranch_execz .LBB5008_100
; %bb.75:
	v_cmp_lt_i64_e32 vcc, 9, v[0:1]
	s_and_saveexec_b64 s[2:3], vcc
	s_xor_b64 s[2:3], exec, s[2:3]
	s_cbranch_execz .LBB5008_89
; %bb.76:
	;; [unrolled: 5-line block ×4, first 2 shown]
	ds_read_b32 v0, v2 offset:6656
	v_mov_b32_e32 v1, 0
                                        ; implicit-def: $vgpr2
	s_waitcnt lgkmcnt(0)
	global_store_dword v1, v0, s[10:11]
.LBB5008_79:
	s_andn2_saveexec_b64 s[6:7], s[6:7]
	s_cbranch_execz .LBB5008_81
; %bb.80:
	ds_read_b32 v0, v2 offset:6144
	v_mov_b32_e32 v1, 0
	s_waitcnt lgkmcnt(0)
	global_store_dword v1, v0, s[10:11]
.LBB5008_81:
	s_or_b64 exec, exec, s[6:7]
                                        ; implicit-def: $vgpr2
                                        ; implicit-def: $vgpr0_vgpr1
.LBB5008_82:
	s_andn2_saveexec_b64 s[4:5], s[4:5]
	s_cbranch_execz .LBB5008_88
; %bb.83:
	v_cmp_lt_i64_e32 vcc, 10, v[0:1]
	s_and_saveexec_b64 s[6:7], vcc
	s_xor_b64 s[6:7], exec, s[6:7]
	s_cbranch_execz .LBB5008_85
; %bb.84:
	ds_read_b32 v0, v2 offset:5632
	v_mov_b32_e32 v1, 0
                                        ; implicit-def: $vgpr2
	s_waitcnt lgkmcnt(0)
	global_store_dword v1, v0, s[10:11]
.LBB5008_85:
	s_andn2_saveexec_b64 s[6:7], s[6:7]
	s_cbranch_execz .LBB5008_87
; %bb.86:
	ds_read_b32 v0, v2 offset:5120
	v_mov_b32_e32 v1, 0
	s_waitcnt lgkmcnt(0)
	global_store_dword v1, v0, s[10:11]
.LBB5008_87:
	s_or_b64 exec, exec, s[6:7]
.LBB5008_88:
	s_or_b64 exec, exec, s[4:5]
                                        ; implicit-def: $vgpr2
                                        ; implicit-def: $vgpr0_vgpr1
.LBB5008_89:
	s_andn2_saveexec_b64 s[2:3], s[2:3]
	s_cbranch_execz .LBB5008_99
; %bb.90:
	v_cmp_lt_i64_e32 vcc, 7, v[0:1]
	s_and_saveexec_b64 s[4:5], vcc
	s_xor_b64 s[4:5], exec, s[4:5]
	s_cbranch_execz .LBB5008_96
; %bb.91:
	v_cmp_lt_i64_e32 vcc, 8, v[0:1]
	s_and_saveexec_b64 s[6:7], vcc
	s_xor_b64 s[6:7], exec, s[6:7]
	s_cbranch_execz .LBB5008_93
; %bb.92:
	ds_read_b32 v0, v2 offset:4608
	v_mov_b32_e32 v1, 0
                                        ; implicit-def: $vgpr2
	s_waitcnt lgkmcnt(0)
	global_store_dword v1, v0, s[10:11]
.LBB5008_93:
	s_andn2_saveexec_b64 s[6:7], s[6:7]
	s_cbranch_execz .LBB5008_95
; %bb.94:
	ds_read_b32 v0, v2 offset:4096
	v_mov_b32_e32 v1, 0
	s_waitcnt lgkmcnt(0)
	global_store_dword v1, v0, s[10:11]
.LBB5008_95:
	s_or_b64 exec, exec, s[6:7]
                                        ; implicit-def: $vgpr2
.LBB5008_96:
	s_andn2_saveexec_b64 s[4:5], s[4:5]
	s_cbranch_execz .LBB5008_98
; %bb.97:
	ds_read_b32 v0, v2 offset:3584
	v_mov_b32_e32 v1, 0
	s_waitcnt lgkmcnt(0)
	global_store_dword v1, v0, s[10:11]
.LBB5008_98:
	s_or_b64 exec, exec, s[4:5]
.LBB5008_99:
	s_or_b64 exec, exec, s[2:3]
                                        ; implicit-def: $vgpr0_vgpr1
                                        ; implicit-def: $vgpr2
.LBB5008_100:
	s_andn2_saveexec_b64 s[0:1], s[0:1]
	s_cbranch_execz .LBB5008_123
; %bb.101:
	v_cmp_lt_i64_e32 vcc, 3, v[0:1]
	s_and_saveexec_b64 s[0:1], vcc
	s_xor_b64 s[0:1], exec, s[0:1]
	s_cbranch_execz .LBB5008_111
; %bb.102:
	v_cmp_lt_i64_e32 vcc, 4, v[0:1]
	s_and_saveexec_b64 s[2:3], vcc
	s_xor_b64 s[2:3], exec, s[2:3]
	;; [unrolled: 5-line block ×3, first 2 shown]
	s_cbranch_execz .LBB5008_105
; %bb.104:
	ds_read_b32 v0, v2 offset:3072
	v_mov_b32_e32 v1, 0
                                        ; implicit-def: $vgpr2
	s_waitcnt lgkmcnt(0)
	global_store_dword v1, v0, s[10:11]
.LBB5008_105:
	s_andn2_saveexec_b64 s[4:5], s[4:5]
	s_cbranch_execz .LBB5008_107
; %bb.106:
	ds_read_b32 v0, v2 offset:2560
	v_mov_b32_e32 v1, 0
	s_waitcnt lgkmcnt(0)
	global_store_dword v1, v0, s[10:11]
.LBB5008_107:
	s_or_b64 exec, exec, s[4:5]
                                        ; implicit-def: $vgpr2
.LBB5008_108:
	s_andn2_saveexec_b64 s[2:3], s[2:3]
	s_cbranch_execz .LBB5008_110
; %bb.109:
	ds_read_b32 v0, v2 offset:2048
	v_mov_b32_e32 v1, 0
	s_waitcnt lgkmcnt(0)
	global_store_dword v1, v0, s[10:11]
.LBB5008_110:
	s_or_b64 exec, exec, s[2:3]
                                        ; implicit-def: $vgpr0_vgpr1
                                        ; implicit-def: $vgpr2
.LBB5008_111:
	s_andn2_saveexec_b64 s[0:1], s[0:1]
	s_cbranch_execz .LBB5008_123
; %bb.112:
	v_cmp_lt_i64_e32 vcc, 1, v[0:1]
	s_and_saveexec_b64 s[0:1], vcc
	s_xor_b64 s[0:1], exec, s[0:1]
	s_cbranch_execz .LBB5008_118
; %bb.113:
	v_cmp_lt_i64_e32 vcc, 2, v[0:1]
	s_and_saveexec_b64 s[2:3], vcc
	s_xor_b64 s[2:3], exec, s[2:3]
	s_cbranch_execz .LBB5008_115
; %bb.114:
	ds_read_b32 v0, v2 offset:1536
	v_mov_b32_e32 v1, 0
                                        ; implicit-def: $vgpr2
	s_waitcnt lgkmcnt(0)
	global_store_dword v1, v0, s[10:11]
.LBB5008_115:
	s_andn2_saveexec_b64 s[2:3], s[2:3]
	s_cbranch_execz .LBB5008_117
; %bb.116:
	ds_read_b32 v0, v2 offset:1024
	v_mov_b32_e32 v1, 0
	s_waitcnt lgkmcnt(0)
	global_store_dword v1, v0, s[10:11]
.LBB5008_117:
	s_or_b64 exec, exec, s[2:3]
                                        ; implicit-def: $vgpr2
                                        ; implicit-def: $vgpr0_vgpr1
.LBB5008_118:
	s_andn2_saveexec_b64 s[0:1], s[0:1]
	s_cbranch_execz .LBB5008_123
; %bb.119:
	v_cmp_ne_u64_e32 vcc, 1, v[0:1]
	s_and_saveexec_b64 s[0:1], vcc
	s_xor_b64 s[0:1], exec, s[0:1]
	s_cbranch_execz .LBB5008_121
; %bb.120:
	ds_read_b32 v0, v2
	v_mov_b32_e32 v1, 0
                                        ; implicit-def: $vgpr2
	s_waitcnt lgkmcnt(0)
	global_store_dword v1, v0, s[10:11]
.LBB5008_121:
	s_andn2_saveexec_b64 s[0:1], s[0:1]
	s_cbranch_execz .LBB5008_123
; %bb.122:
	ds_read_b32 v0, v2 offset:512
	v_mov_b32_e32 v1, 0
	s_waitcnt lgkmcnt(0)
	global_store_dword v1, v0, s[10:11]
.LBB5008_123:
	s_endpgm
	.section	.rodata,"a",@progbits
	.p2align	6, 0x0
	.amdhsa_kernel _ZN7rocprim17ROCPRIM_400000_NS6detail17trampoline_kernelINS0_14default_configENS1_20scan_config_selectorIfEEZZNS1_9scan_implILNS1_25lookback_scan_determinismE0ELb0ELb0ES3_N6thrust23THRUST_200600_302600_NS6detail15normal_iteratorINS9_10device_ptrIfEEEENS9_16discard_iteratorINS9_11use_defaultEEEfNS9_4plusIvEEfEEDaPvRmT3_T4_T5_mT6_P12ihipStream_tbENKUlT_T0_E_clISt17integral_constantIbLb0EESX_EEDaSS_ST_EUlSS_E_NS1_11comp_targetILNS1_3genE4ELNS1_11target_archE910ELNS1_3gpuE8ELNS1_3repE0EEENS1_30default_config_static_selectorELNS0_4arch9wavefront6targetE1EEEvT1_
		.amdhsa_group_segment_fixed_size 7168
		.amdhsa_private_segment_fixed_size 0
		.amdhsa_kernarg_size 104
		.amdhsa_user_sgpr_count 6
		.amdhsa_user_sgpr_private_segment_buffer 1
		.amdhsa_user_sgpr_dispatch_ptr 0
		.amdhsa_user_sgpr_queue_ptr 0
		.amdhsa_user_sgpr_kernarg_segment_ptr 1
		.amdhsa_user_sgpr_dispatch_id 0
		.amdhsa_user_sgpr_flat_scratch_init 0
		.amdhsa_user_sgpr_kernarg_preload_length 0
		.amdhsa_user_sgpr_kernarg_preload_offset 0
		.amdhsa_user_sgpr_private_segment_size 0
		.amdhsa_uses_dynamic_stack 0
		.amdhsa_system_sgpr_private_segment_wavefront_offset 0
		.amdhsa_system_sgpr_workgroup_id_x 1
		.amdhsa_system_sgpr_workgroup_id_y 0
		.amdhsa_system_sgpr_workgroup_id_z 0
		.amdhsa_system_sgpr_workgroup_info 0
		.amdhsa_system_vgpr_workitem_id 0
		.amdhsa_next_free_vgpr 47
		.amdhsa_next_free_sgpr 24
		.amdhsa_accum_offset 48
		.amdhsa_reserve_vcc 1
		.amdhsa_reserve_flat_scratch 0
		.amdhsa_float_round_mode_32 0
		.amdhsa_float_round_mode_16_64 0
		.amdhsa_float_denorm_mode_32 3
		.amdhsa_float_denorm_mode_16_64 3
		.amdhsa_dx10_clamp 1
		.amdhsa_ieee_mode 1
		.amdhsa_fp16_overflow 0
		.amdhsa_tg_split 0
		.amdhsa_exception_fp_ieee_invalid_op 0
		.amdhsa_exception_fp_denorm_src 0
		.amdhsa_exception_fp_ieee_div_zero 0
		.amdhsa_exception_fp_ieee_overflow 0
		.amdhsa_exception_fp_ieee_underflow 0
		.amdhsa_exception_fp_ieee_inexact 0
		.amdhsa_exception_int_div_zero 0
	.end_amdhsa_kernel
	.section	.text._ZN7rocprim17ROCPRIM_400000_NS6detail17trampoline_kernelINS0_14default_configENS1_20scan_config_selectorIfEEZZNS1_9scan_implILNS1_25lookback_scan_determinismE0ELb0ELb0ES3_N6thrust23THRUST_200600_302600_NS6detail15normal_iteratorINS9_10device_ptrIfEEEENS9_16discard_iteratorINS9_11use_defaultEEEfNS9_4plusIvEEfEEDaPvRmT3_T4_T5_mT6_P12ihipStream_tbENKUlT_T0_E_clISt17integral_constantIbLb0EESX_EEDaSS_ST_EUlSS_E_NS1_11comp_targetILNS1_3genE4ELNS1_11target_archE910ELNS1_3gpuE8ELNS1_3repE0EEENS1_30default_config_static_selectorELNS0_4arch9wavefront6targetE1EEEvT1_,"axG",@progbits,_ZN7rocprim17ROCPRIM_400000_NS6detail17trampoline_kernelINS0_14default_configENS1_20scan_config_selectorIfEEZZNS1_9scan_implILNS1_25lookback_scan_determinismE0ELb0ELb0ES3_N6thrust23THRUST_200600_302600_NS6detail15normal_iteratorINS9_10device_ptrIfEEEENS9_16discard_iteratorINS9_11use_defaultEEEfNS9_4plusIvEEfEEDaPvRmT3_T4_T5_mT6_P12ihipStream_tbENKUlT_T0_E_clISt17integral_constantIbLb0EESX_EEDaSS_ST_EUlSS_E_NS1_11comp_targetILNS1_3genE4ELNS1_11target_archE910ELNS1_3gpuE8ELNS1_3repE0EEENS1_30default_config_static_selectorELNS0_4arch9wavefront6targetE1EEEvT1_,comdat
.Lfunc_end5008:
	.size	_ZN7rocprim17ROCPRIM_400000_NS6detail17trampoline_kernelINS0_14default_configENS1_20scan_config_selectorIfEEZZNS1_9scan_implILNS1_25lookback_scan_determinismE0ELb0ELb0ES3_N6thrust23THRUST_200600_302600_NS6detail15normal_iteratorINS9_10device_ptrIfEEEENS9_16discard_iteratorINS9_11use_defaultEEEfNS9_4plusIvEEfEEDaPvRmT3_T4_T5_mT6_P12ihipStream_tbENKUlT_T0_E_clISt17integral_constantIbLb0EESX_EEDaSS_ST_EUlSS_E_NS1_11comp_targetILNS1_3genE4ELNS1_11target_archE910ELNS1_3gpuE8ELNS1_3repE0EEENS1_30default_config_static_selectorELNS0_4arch9wavefront6targetE1EEEvT1_, .Lfunc_end5008-_ZN7rocprim17ROCPRIM_400000_NS6detail17trampoline_kernelINS0_14default_configENS1_20scan_config_selectorIfEEZZNS1_9scan_implILNS1_25lookback_scan_determinismE0ELb0ELb0ES3_N6thrust23THRUST_200600_302600_NS6detail15normal_iteratorINS9_10device_ptrIfEEEENS9_16discard_iteratorINS9_11use_defaultEEEfNS9_4plusIvEEfEEDaPvRmT3_T4_T5_mT6_P12ihipStream_tbENKUlT_T0_E_clISt17integral_constantIbLb0EESX_EEDaSS_ST_EUlSS_E_NS1_11comp_targetILNS1_3genE4ELNS1_11target_archE910ELNS1_3gpuE8ELNS1_3repE0EEENS1_30default_config_static_selectorELNS0_4arch9wavefront6targetE1EEEvT1_
                                        ; -- End function
	.section	.AMDGPU.csdata,"",@progbits
; Kernel info:
; codeLenInByte = 4928
; NumSgprs: 28
; NumVgprs: 47
; NumAgprs: 0
; TotalNumVgprs: 47
; ScratchSize: 0
; MemoryBound: 0
; FloatMode: 240
; IeeeMode: 1
; LDSByteSize: 7168 bytes/workgroup (compile time only)
; SGPRBlocks: 3
; VGPRBlocks: 5
; NumSGPRsForWavesPerEU: 28
; NumVGPRsForWavesPerEU: 47
; AccumOffset: 48
; Occupancy: 5
; WaveLimiterHint : 1
; COMPUTE_PGM_RSRC2:SCRATCH_EN: 0
; COMPUTE_PGM_RSRC2:USER_SGPR: 6
; COMPUTE_PGM_RSRC2:TRAP_HANDLER: 0
; COMPUTE_PGM_RSRC2:TGID_X_EN: 1
; COMPUTE_PGM_RSRC2:TGID_Y_EN: 0
; COMPUTE_PGM_RSRC2:TGID_Z_EN: 0
; COMPUTE_PGM_RSRC2:TIDIG_COMP_CNT: 0
; COMPUTE_PGM_RSRC3_GFX90A:ACCUM_OFFSET: 11
; COMPUTE_PGM_RSRC3_GFX90A:TG_SPLIT: 0
	.section	.text._ZN7rocprim17ROCPRIM_400000_NS6detail17trampoline_kernelINS0_14default_configENS1_20scan_config_selectorIfEEZZNS1_9scan_implILNS1_25lookback_scan_determinismE0ELb0ELb0ES3_N6thrust23THRUST_200600_302600_NS6detail15normal_iteratorINS9_10device_ptrIfEEEENS9_16discard_iteratorINS9_11use_defaultEEEfNS9_4plusIvEEfEEDaPvRmT3_T4_T5_mT6_P12ihipStream_tbENKUlT_T0_E_clISt17integral_constantIbLb0EESX_EEDaSS_ST_EUlSS_E_NS1_11comp_targetILNS1_3genE3ELNS1_11target_archE908ELNS1_3gpuE7ELNS1_3repE0EEENS1_30default_config_static_selectorELNS0_4arch9wavefront6targetE1EEEvT1_,"axG",@progbits,_ZN7rocprim17ROCPRIM_400000_NS6detail17trampoline_kernelINS0_14default_configENS1_20scan_config_selectorIfEEZZNS1_9scan_implILNS1_25lookback_scan_determinismE0ELb0ELb0ES3_N6thrust23THRUST_200600_302600_NS6detail15normal_iteratorINS9_10device_ptrIfEEEENS9_16discard_iteratorINS9_11use_defaultEEEfNS9_4plusIvEEfEEDaPvRmT3_T4_T5_mT6_P12ihipStream_tbENKUlT_T0_E_clISt17integral_constantIbLb0EESX_EEDaSS_ST_EUlSS_E_NS1_11comp_targetILNS1_3genE3ELNS1_11target_archE908ELNS1_3gpuE7ELNS1_3repE0EEENS1_30default_config_static_selectorELNS0_4arch9wavefront6targetE1EEEvT1_,comdat
	.protected	_ZN7rocprim17ROCPRIM_400000_NS6detail17trampoline_kernelINS0_14default_configENS1_20scan_config_selectorIfEEZZNS1_9scan_implILNS1_25lookback_scan_determinismE0ELb0ELb0ES3_N6thrust23THRUST_200600_302600_NS6detail15normal_iteratorINS9_10device_ptrIfEEEENS9_16discard_iteratorINS9_11use_defaultEEEfNS9_4plusIvEEfEEDaPvRmT3_T4_T5_mT6_P12ihipStream_tbENKUlT_T0_E_clISt17integral_constantIbLb0EESX_EEDaSS_ST_EUlSS_E_NS1_11comp_targetILNS1_3genE3ELNS1_11target_archE908ELNS1_3gpuE7ELNS1_3repE0EEENS1_30default_config_static_selectorELNS0_4arch9wavefront6targetE1EEEvT1_ ; -- Begin function _ZN7rocprim17ROCPRIM_400000_NS6detail17trampoline_kernelINS0_14default_configENS1_20scan_config_selectorIfEEZZNS1_9scan_implILNS1_25lookback_scan_determinismE0ELb0ELb0ES3_N6thrust23THRUST_200600_302600_NS6detail15normal_iteratorINS9_10device_ptrIfEEEENS9_16discard_iteratorINS9_11use_defaultEEEfNS9_4plusIvEEfEEDaPvRmT3_T4_T5_mT6_P12ihipStream_tbENKUlT_T0_E_clISt17integral_constantIbLb0EESX_EEDaSS_ST_EUlSS_E_NS1_11comp_targetILNS1_3genE3ELNS1_11target_archE908ELNS1_3gpuE7ELNS1_3repE0EEENS1_30default_config_static_selectorELNS0_4arch9wavefront6targetE1EEEvT1_
	.globl	_ZN7rocprim17ROCPRIM_400000_NS6detail17trampoline_kernelINS0_14default_configENS1_20scan_config_selectorIfEEZZNS1_9scan_implILNS1_25lookback_scan_determinismE0ELb0ELb0ES3_N6thrust23THRUST_200600_302600_NS6detail15normal_iteratorINS9_10device_ptrIfEEEENS9_16discard_iteratorINS9_11use_defaultEEEfNS9_4plusIvEEfEEDaPvRmT3_T4_T5_mT6_P12ihipStream_tbENKUlT_T0_E_clISt17integral_constantIbLb0EESX_EEDaSS_ST_EUlSS_E_NS1_11comp_targetILNS1_3genE3ELNS1_11target_archE908ELNS1_3gpuE7ELNS1_3repE0EEENS1_30default_config_static_selectorELNS0_4arch9wavefront6targetE1EEEvT1_
	.p2align	8
	.type	_ZN7rocprim17ROCPRIM_400000_NS6detail17trampoline_kernelINS0_14default_configENS1_20scan_config_selectorIfEEZZNS1_9scan_implILNS1_25lookback_scan_determinismE0ELb0ELb0ES3_N6thrust23THRUST_200600_302600_NS6detail15normal_iteratorINS9_10device_ptrIfEEEENS9_16discard_iteratorINS9_11use_defaultEEEfNS9_4plusIvEEfEEDaPvRmT3_T4_T5_mT6_P12ihipStream_tbENKUlT_T0_E_clISt17integral_constantIbLb0EESX_EEDaSS_ST_EUlSS_E_NS1_11comp_targetILNS1_3genE3ELNS1_11target_archE908ELNS1_3gpuE7ELNS1_3repE0EEENS1_30default_config_static_selectorELNS0_4arch9wavefront6targetE1EEEvT1_,@function
_ZN7rocprim17ROCPRIM_400000_NS6detail17trampoline_kernelINS0_14default_configENS1_20scan_config_selectorIfEEZZNS1_9scan_implILNS1_25lookback_scan_determinismE0ELb0ELb0ES3_N6thrust23THRUST_200600_302600_NS6detail15normal_iteratorINS9_10device_ptrIfEEEENS9_16discard_iteratorINS9_11use_defaultEEEfNS9_4plusIvEEfEEDaPvRmT3_T4_T5_mT6_P12ihipStream_tbENKUlT_T0_E_clISt17integral_constantIbLb0EESX_EEDaSS_ST_EUlSS_E_NS1_11comp_targetILNS1_3genE3ELNS1_11target_archE908ELNS1_3gpuE7ELNS1_3repE0EEENS1_30default_config_static_selectorELNS0_4arch9wavefront6targetE1EEEvT1_: ; @_ZN7rocprim17ROCPRIM_400000_NS6detail17trampoline_kernelINS0_14default_configENS1_20scan_config_selectorIfEEZZNS1_9scan_implILNS1_25lookback_scan_determinismE0ELb0ELb0ES3_N6thrust23THRUST_200600_302600_NS6detail15normal_iteratorINS9_10device_ptrIfEEEENS9_16discard_iteratorINS9_11use_defaultEEEfNS9_4plusIvEEfEEDaPvRmT3_T4_T5_mT6_P12ihipStream_tbENKUlT_T0_E_clISt17integral_constantIbLb0EESX_EEDaSS_ST_EUlSS_E_NS1_11comp_targetILNS1_3genE3ELNS1_11target_archE908ELNS1_3gpuE7ELNS1_3repE0EEENS1_30default_config_static_selectorELNS0_4arch9wavefront6targetE1EEEvT1_
; %bb.0:
	.section	.rodata,"a",@progbits
	.p2align	6, 0x0
	.amdhsa_kernel _ZN7rocprim17ROCPRIM_400000_NS6detail17trampoline_kernelINS0_14default_configENS1_20scan_config_selectorIfEEZZNS1_9scan_implILNS1_25lookback_scan_determinismE0ELb0ELb0ES3_N6thrust23THRUST_200600_302600_NS6detail15normal_iteratorINS9_10device_ptrIfEEEENS9_16discard_iteratorINS9_11use_defaultEEEfNS9_4plusIvEEfEEDaPvRmT3_T4_T5_mT6_P12ihipStream_tbENKUlT_T0_E_clISt17integral_constantIbLb0EESX_EEDaSS_ST_EUlSS_E_NS1_11comp_targetILNS1_3genE3ELNS1_11target_archE908ELNS1_3gpuE7ELNS1_3repE0EEENS1_30default_config_static_selectorELNS0_4arch9wavefront6targetE1EEEvT1_
		.amdhsa_group_segment_fixed_size 0
		.amdhsa_private_segment_fixed_size 0
		.amdhsa_kernarg_size 104
		.amdhsa_user_sgpr_count 6
		.amdhsa_user_sgpr_private_segment_buffer 1
		.amdhsa_user_sgpr_dispatch_ptr 0
		.amdhsa_user_sgpr_queue_ptr 0
		.amdhsa_user_sgpr_kernarg_segment_ptr 1
		.amdhsa_user_sgpr_dispatch_id 0
		.amdhsa_user_sgpr_flat_scratch_init 0
		.amdhsa_user_sgpr_kernarg_preload_length 0
		.amdhsa_user_sgpr_kernarg_preload_offset 0
		.amdhsa_user_sgpr_private_segment_size 0
		.amdhsa_uses_dynamic_stack 0
		.amdhsa_system_sgpr_private_segment_wavefront_offset 0
		.amdhsa_system_sgpr_workgroup_id_x 1
		.amdhsa_system_sgpr_workgroup_id_y 0
		.amdhsa_system_sgpr_workgroup_id_z 0
		.amdhsa_system_sgpr_workgroup_info 0
		.amdhsa_system_vgpr_workitem_id 0
		.amdhsa_next_free_vgpr 1
		.amdhsa_next_free_sgpr 0
		.amdhsa_accum_offset 4
		.amdhsa_reserve_vcc 0
		.amdhsa_reserve_flat_scratch 0
		.amdhsa_float_round_mode_32 0
		.amdhsa_float_round_mode_16_64 0
		.amdhsa_float_denorm_mode_32 3
		.amdhsa_float_denorm_mode_16_64 3
		.amdhsa_dx10_clamp 1
		.amdhsa_ieee_mode 1
		.amdhsa_fp16_overflow 0
		.amdhsa_tg_split 0
		.amdhsa_exception_fp_ieee_invalid_op 0
		.amdhsa_exception_fp_denorm_src 0
		.amdhsa_exception_fp_ieee_div_zero 0
		.amdhsa_exception_fp_ieee_overflow 0
		.amdhsa_exception_fp_ieee_underflow 0
		.amdhsa_exception_fp_ieee_inexact 0
		.amdhsa_exception_int_div_zero 0
	.end_amdhsa_kernel
	.section	.text._ZN7rocprim17ROCPRIM_400000_NS6detail17trampoline_kernelINS0_14default_configENS1_20scan_config_selectorIfEEZZNS1_9scan_implILNS1_25lookback_scan_determinismE0ELb0ELb0ES3_N6thrust23THRUST_200600_302600_NS6detail15normal_iteratorINS9_10device_ptrIfEEEENS9_16discard_iteratorINS9_11use_defaultEEEfNS9_4plusIvEEfEEDaPvRmT3_T4_T5_mT6_P12ihipStream_tbENKUlT_T0_E_clISt17integral_constantIbLb0EESX_EEDaSS_ST_EUlSS_E_NS1_11comp_targetILNS1_3genE3ELNS1_11target_archE908ELNS1_3gpuE7ELNS1_3repE0EEENS1_30default_config_static_selectorELNS0_4arch9wavefront6targetE1EEEvT1_,"axG",@progbits,_ZN7rocprim17ROCPRIM_400000_NS6detail17trampoline_kernelINS0_14default_configENS1_20scan_config_selectorIfEEZZNS1_9scan_implILNS1_25lookback_scan_determinismE0ELb0ELb0ES3_N6thrust23THRUST_200600_302600_NS6detail15normal_iteratorINS9_10device_ptrIfEEEENS9_16discard_iteratorINS9_11use_defaultEEEfNS9_4plusIvEEfEEDaPvRmT3_T4_T5_mT6_P12ihipStream_tbENKUlT_T0_E_clISt17integral_constantIbLb0EESX_EEDaSS_ST_EUlSS_E_NS1_11comp_targetILNS1_3genE3ELNS1_11target_archE908ELNS1_3gpuE7ELNS1_3repE0EEENS1_30default_config_static_selectorELNS0_4arch9wavefront6targetE1EEEvT1_,comdat
.Lfunc_end5009:
	.size	_ZN7rocprim17ROCPRIM_400000_NS6detail17trampoline_kernelINS0_14default_configENS1_20scan_config_selectorIfEEZZNS1_9scan_implILNS1_25lookback_scan_determinismE0ELb0ELb0ES3_N6thrust23THRUST_200600_302600_NS6detail15normal_iteratorINS9_10device_ptrIfEEEENS9_16discard_iteratorINS9_11use_defaultEEEfNS9_4plusIvEEfEEDaPvRmT3_T4_T5_mT6_P12ihipStream_tbENKUlT_T0_E_clISt17integral_constantIbLb0EESX_EEDaSS_ST_EUlSS_E_NS1_11comp_targetILNS1_3genE3ELNS1_11target_archE908ELNS1_3gpuE7ELNS1_3repE0EEENS1_30default_config_static_selectorELNS0_4arch9wavefront6targetE1EEEvT1_, .Lfunc_end5009-_ZN7rocprim17ROCPRIM_400000_NS6detail17trampoline_kernelINS0_14default_configENS1_20scan_config_selectorIfEEZZNS1_9scan_implILNS1_25lookback_scan_determinismE0ELb0ELb0ES3_N6thrust23THRUST_200600_302600_NS6detail15normal_iteratorINS9_10device_ptrIfEEEENS9_16discard_iteratorINS9_11use_defaultEEEfNS9_4plusIvEEfEEDaPvRmT3_T4_T5_mT6_P12ihipStream_tbENKUlT_T0_E_clISt17integral_constantIbLb0EESX_EEDaSS_ST_EUlSS_E_NS1_11comp_targetILNS1_3genE3ELNS1_11target_archE908ELNS1_3gpuE7ELNS1_3repE0EEENS1_30default_config_static_selectorELNS0_4arch9wavefront6targetE1EEEvT1_
                                        ; -- End function
	.section	.AMDGPU.csdata,"",@progbits
; Kernel info:
; codeLenInByte = 0
; NumSgprs: 4
; NumVgprs: 0
; NumAgprs: 0
; TotalNumVgprs: 0
; ScratchSize: 0
; MemoryBound: 0
; FloatMode: 240
; IeeeMode: 1
; LDSByteSize: 0 bytes/workgroup (compile time only)
; SGPRBlocks: 0
; VGPRBlocks: 0
; NumSGPRsForWavesPerEU: 4
; NumVGPRsForWavesPerEU: 1
; AccumOffset: 4
; Occupancy: 8
; WaveLimiterHint : 0
; COMPUTE_PGM_RSRC2:SCRATCH_EN: 0
; COMPUTE_PGM_RSRC2:USER_SGPR: 6
; COMPUTE_PGM_RSRC2:TRAP_HANDLER: 0
; COMPUTE_PGM_RSRC2:TGID_X_EN: 1
; COMPUTE_PGM_RSRC2:TGID_Y_EN: 0
; COMPUTE_PGM_RSRC2:TGID_Z_EN: 0
; COMPUTE_PGM_RSRC2:TIDIG_COMP_CNT: 0
; COMPUTE_PGM_RSRC3_GFX90A:ACCUM_OFFSET: 0
; COMPUTE_PGM_RSRC3_GFX90A:TG_SPLIT: 0
	.section	.text._ZN7rocprim17ROCPRIM_400000_NS6detail17trampoline_kernelINS0_14default_configENS1_20scan_config_selectorIfEEZZNS1_9scan_implILNS1_25lookback_scan_determinismE0ELb0ELb0ES3_N6thrust23THRUST_200600_302600_NS6detail15normal_iteratorINS9_10device_ptrIfEEEENS9_16discard_iteratorINS9_11use_defaultEEEfNS9_4plusIvEEfEEDaPvRmT3_T4_T5_mT6_P12ihipStream_tbENKUlT_T0_E_clISt17integral_constantIbLb0EESX_EEDaSS_ST_EUlSS_E_NS1_11comp_targetILNS1_3genE2ELNS1_11target_archE906ELNS1_3gpuE6ELNS1_3repE0EEENS1_30default_config_static_selectorELNS0_4arch9wavefront6targetE1EEEvT1_,"axG",@progbits,_ZN7rocprim17ROCPRIM_400000_NS6detail17trampoline_kernelINS0_14default_configENS1_20scan_config_selectorIfEEZZNS1_9scan_implILNS1_25lookback_scan_determinismE0ELb0ELb0ES3_N6thrust23THRUST_200600_302600_NS6detail15normal_iteratorINS9_10device_ptrIfEEEENS9_16discard_iteratorINS9_11use_defaultEEEfNS9_4plusIvEEfEEDaPvRmT3_T4_T5_mT6_P12ihipStream_tbENKUlT_T0_E_clISt17integral_constantIbLb0EESX_EEDaSS_ST_EUlSS_E_NS1_11comp_targetILNS1_3genE2ELNS1_11target_archE906ELNS1_3gpuE6ELNS1_3repE0EEENS1_30default_config_static_selectorELNS0_4arch9wavefront6targetE1EEEvT1_,comdat
	.protected	_ZN7rocprim17ROCPRIM_400000_NS6detail17trampoline_kernelINS0_14default_configENS1_20scan_config_selectorIfEEZZNS1_9scan_implILNS1_25lookback_scan_determinismE0ELb0ELb0ES3_N6thrust23THRUST_200600_302600_NS6detail15normal_iteratorINS9_10device_ptrIfEEEENS9_16discard_iteratorINS9_11use_defaultEEEfNS9_4plusIvEEfEEDaPvRmT3_T4_T5_mT6_P12ihipStream_tbENKUlT_T0_E_clISt17integral_constantIbLb0EESX_EEDaSS_ST_EUlSS_E_NS1_11comp_targetILNS1_3genE2ELNS1_11target_archE906ELNS1_3gpuE6ELNS1_3repE0EEENS1_30default_config_static_selectorELNS0_4arch9wavefront6targetE1EEEvT1_ ; -- Begin function _ZN7rocprim17ROCPRIM_400000_NS6detail17trampoline_kernelINS0_14default_configENS1_20scan_config_selectorIfEEZZNS1_9scan_implILNS1_25lookback_scan_determinismE0ELb0ELb0ES3_N6thrust23THRUST_200600_302600_NS6detail15normal_iteratorINS9_10device_ptrIfEEEENS9_16discard_iteratorINS9_11use_defaultEEEfNS9_4plusIvEEfEEDaPvRmT3_T4_T5_mT6_P12ihipStream_tbENKUlT_T0_E_clISt17integral_constantIbLb0EESX_EEDaSS_ST_EUlSS_E_NS1_11comp_targetILNS1_3genE2ELNS1_11target_archE906ELNS1_3gpuE6ELNS1_3repE0EEENS1_30default_config_static_selectorELNS0_4arch9wavefront6targetE1EEEvT1_
	.globl	_ZN7rocprim17ROCPRIM_400000_NS6detail17trampoline_kernelINS0_14default_configENS1_20scan_config_selectorIfEEZZNS1_9scan_implILNS1_25lookback_scan_determinismE0ELb0ELb0ES3_N6thrust23THRUST_200600_302600_NS6detail15normal_iteratorINS9_10device_ptrIfEEEENS9_16discard_iteratorINS9_11use_defaultEEEfNS9_4plusIvEEfEEDaPvRmT3_T4_T5_mT6_P12ihipStream_tbENKUlT_T0_E_clISt17integral_constantIbLb0EESX_EEDaSS_ST_EUlSS_E_NS1_11comp_targetILNS1_3genE2ELNS1_11target_archE906ELNS1_3gpuE6ELNS1_3repE0EEENS1_30default_config_static_selectorELNS0_4arch9wavefront6targetE1EEEvT1_
	.p2align	8
	.type	_ZN7rocprim17ROCPRIM_400000_NS6detail17trampoline_kernelINS0_14default_configENS1_20scan_config_selectorIfEEZZNS1_9scan_implILNS1_25lookback_scan_determinismE0ELb0ELb0ES3_N6thrust23THRUST_200600_302600_NS6detail15normal_iteratorINS9_10device_ptrIfEEEENS9_16discard_iteratorINS9_11use_defaultEEEfNS9_4plusIvEEfEEDaPvRmT3_T4_T5_mT6_P12ihipStream_tbENKUlT_T0_E_clISt17integral_constantIbLb0EESX_EEDaSS_ST_EUlSS_E_NS1_11comp_targetILNS1_3genE2ELNS1_11target_archE906ELNS1_3gpuE6ELNS1_3repE0EEENS1_30default_config_static_selectorELNS0_4arch9wavefront6targetE1EEEvT1_,@function
_ZN7rocprim17ROCPRIM_400000_NS6detail17trampoline_kernelINS0_14default_configENS1_20scan_config_selectorIfEEZZNS1_9scan_implILNS1_25lookback_scan_determinismE0ELb0ELb0ES3_N6thrust23THRUST_200600_302600_NS6detail15normal_iteratorINS9_10device_ptrIfEEEENS9_16discard_iteratorINS9_11use_defaultEEEfNS9_4plusIvEEfEEDaPvRmT3_T4_T5_mT6_P12ihipStream_tbENKUlT_T0_E_clISt17integral_constantIbLb0EESX_EEDaSS_ST_EUlSS_E_NS1_11comp_targetILNS1_3genE2ELNS1_11target_archE906ELNS1_3gpuE6ELNS1_3repE0EEENS1_30default_config_static_selectorELNS0_4arch9wavefront6targetE1EEEvT1_: ; @_ZN7rocprim17ROCPRIM_400000_NS6detail17trampoline_kernelINS0_14default_configENS1_20scan_config_selectorIfEEZZNS1_9scan_implILNS1_25lookback_scan_determinismE0ELb0ELb0ES3_N6thrust23THRUST_200600_302600_NS6detail15normal_iteratorINS9_10device_ptrIfEEEENS9_16discard_iteratorINS9_11use_defaultEEEfNS9_4plusIvEEfEEDaPvRmT3_T4_T5_mT6_P12ihipStream_tbENKUlT_T0_E_clISt17integral_constantIbLb0EESX_EEDaSS_ST_EUlSS_E_NS1_11comp_targetILNS1_3genE2ELNS1_11target_archE906ELNS1_3gpuE6ELNS1_3repE0EEENS1_30default_config_static_selectorELNS0_4arch9wavefront6targetE1EEEvT1_
; %bb.0:
	.section	.rodata,"a",@progbits
	.p2align	6, 0x0
	.amdhsa_kernel _ZN7rocprim17ROCPRIM_400000_NS6detail17trampoline_kernelINS0_14default_configENS1_20scan_config_selectorIfEEZZNS1_9scan_implILNS1_25lookback_scan_determinismE0ELb0ELb0ES3_N6thrust23THRUST_200600_302600_NS6detail15normal_iteratorINS9_10device_ptrIfEEEENS9_16discard_iteratorINS9_11use_defaultEEEfNS9_4plusIvEEfEEDaPvRmT3_T4_T5_mT6_P12ihipStream_tbENKUlT_T0_E_clISt17integral_constantIbLb0EESX_EEDaSS_ST_EUlSS_E_NS1_11comp_targetILNS1_3genE2ELNS1_11target_archE906ELNS1_3gpuE6ELNS1_3repE0EEENS1_30default_config_static_selectorELNS0_4arch9wavefront6targetE1EEEvT1_
		.amdhsa_group_segment_fixed_size 0
		.amdhsa_private_segment_fixed_size 0
		.amdhsa_kernarg_size 104
		.amdhsa_user_sgpr_count 6
		.amdhsa_user_sgpr_private_segment_buffer 1
		.amdhsa_user_sgpr_dispatch_ptr 0
		.amdhsa_user_sgpr_queue_ptr 0
		.amdhsa_user_sgpr_kernarg_segment_ptr 1
		.amdhsa_user_sgpr_dispatch_id 0
		.amdhsa_user_sgpr_flat_scratch_init 0
		.amdhsa_user_sgpr_kernarg_preload_length 0
		.amdhsa_user_sgpr_kernarg_preload_offset 0
		.amdhsa_user_sgpr_private_segment_size 0
		.amdhsa_uses_dynamic_stack 0
		.amdhsa_system_sgpr_private_segment_wavefront_offset 0
		.amdhsa_system_sgpr_workgroup_id_x 1
		.amdhsa_system_sgpr_workgroup_id_y 0
		.amdhsa_system_sgpr_workgroup_id_z 0
		.amdhsa_system_sgpr_workgroup_info 0
		.amdhsa_system_vgpr_workitem_id 0
		.amdhsa_next_free_vgpr 1
		.amdhsa_next_free_sgpr 0
		.amdhsa_accum_offset 4
		.amdhsa_reserve_vcc 0
		.amdhsa_reserve_flat_scratch 0
		.amdhsa_float_round_mode_32 0
		.amdhsa_float_round_mode_16_64 0
		.amdhsa_float_denorm_mode_32 3
		.amdhsa_float_denorm_mode_16_64 3
		.amdhsa_dx10_clamp 1
		.amdhsa_ieee_mode 1
		.amdhsa_fp16_overflow 0
		.amdhsa_tg_split 0
		.amdhsa_exception_fp_ieee_invalid_op 0
		.amdhsa_exception_fp_denorm_src 0
		.amdhsa_exception_fp_ieee_div_zero 0
		.amdhsa_exception_fp_ieee_overflow 0
		.amdhsa_exception_fp_ieee_underflow 0
		.amdhsa_exception_fp_ieee_inexact 0
		.amdhsa_exception_int_div_zero 0
	.end_amdhsa_kernel
	.section	.text._ZN7rocprim17ROCPRIM_400000_NS6detail17trampoline_kernelINS0_14default_configENS1_20scan_config_selectorIfEEZZNS1_9scan_implILNS1_25lookback_scan_determinismE0ELb0ELb0ES3_N6thrust23THRUST_200600_302600_NS6detail15normal_iteratorINS9_10device_ptrIfEEEENS9_16discard_iteratorINS9_11use_defaultEEEfNS9_4plusIvEEfEEDaPvRmT3_T4_T5_mT6_P12ihipStream_tbENKUlT_T0_E_clISt17integral_constantIbLb0EESX_EEDaSS_ST_EUlSS_E_NS1_11comp_targetILNS1_3genE2ELNS1_11target_archE906ELNS1_3gpuE6ELNS1_3repE0EEENS1_30default_config_static_selectorELNS0_4arch9wavefront6targetE1EEEvT1_,"axG",@progbits,_ZN7rocprim17ROCPRIM_400000_NS6detail17trampoline_kernelINS0_14default_configENS1_20scan_config_selectorIfEEZZNS1_9scan_implILNS1_25lookback_scan_determinismE0ELb0ELb0ES3_N6thrust23THRUST_200600_302600_NS6detail15normal_iteratorINS9_10device_ptrIfEEEENS9_16discard_iteratorINS9_11use_defaultEEEfNS9_4plusIvEEfEEDaPvRmT3_T4_T5_mT6_P12ihipStream_tbENKUlT_T0_E_clISt17integral_constantIbLb0EESX_EEDaSS_ST_EUlSS_E_NS1_11comp_targetILNS1_3genE2ELNS1_11target_archE906ELNS1_3gpuE6ELNS1_3repE0EEENS1_30default_config_static_selectorELNS0_4arch9wavefront6targetE1EEEvT1_,comdat
.Lfunc_end5010:
	.size	_ZN7rocprim17ROCPRIM_400000_NS6detail17trampoline_kernelINS0_14default_configENS1_20scan_config_selectorIfEEZZNS1_9scan_implILNS1_25lookback_scan_determinismE0ELb0ELb0ES3_N6thrust23THRUST_200600_302600_NS6detail15normal_iteratorINS9_10device_ptrIfEEEENS9_16discard_iteratorINS9_11use_defaultEEEfNS9_4plusIvEEfEEDaPvRmT3_T4_T5_mT6_P12ihipStream_tbENKUlT_T0_E_clISt17integral_constantIbLb0EESX_EEDaSS_ST_EUlSS_E_NS1_11comp_targetILNS1_3genE2ELNS1_11target_archE906ELNS1_3gpuE6ELNS1_3repE0EEENS1_30default_config_static_selectorELNS0_4arch9wavefront6targetE1EEEvT1_, .Lfunc_end5010-_ZN7rocprim17ROCPRIM_400000_NS6detail17trampoline_kernelINS0_14default_configENS1_20scan_config_selectorIfEEZZNS1_9scan_implILNS1_25lookback_scan_determinismE0ELb0ELb0ES3_N6thrust23THRUST_200600_302600_NS6detail15normal_iteratorINS9_10device_ptrIfEEEENS9_16discard_iteratorINS9_11use_defaultEEEfNS9_4plusIvEEfEEDaPvRmT3_T4_T5_mT6_P12ihipStream_tbENKUlT_T0_E_clISt17integral_constantIbLb0EESX_EEDaSS_ST_EUlSS_E_NS1_11comp_targetILNS1_3genE2ELNS1_11target_archE906ELNS1_3gpuE6ELNS1_3repE0EEENS1_30default_config_static_selectorELNS0_4arch9wavefront6targetE1EEEvT1_
                                        ; -- End function
	.section	.AMDGPU.csdata,"",@progbits
; Kernel info:
; codeLenInByte = 0
; NumSgprs: 4
; NumVgprs: 0
; NumAgprs: 0
; TotalNumVgprs: 0
; ScratchSize: 0
; MemoryBound: 0
; FloatMode: 240
; IeeeMode: 1
; LDSByteSize: 0 bytes/workgroup (compile time only)
; SGPRBlocks: 0
; VGPRBlocks: 0
; NumSGPRsForWavesPerEU: 4
; NumVGPRsForWavesPerEU: 1
; AccumOffset: 4
; Occupancy: 8
; WaveLimiterHint : 0
; COMPUTE_PGM_RSRC2:SCRATCH_EN: 0
; COMPUTE_PGM_RSRC2:USER_SGPR: 6
; COMPUTE_PGM_RSRC2:TRAP_HANDLER: 0
; COMPUTE_PGM_RSRC2:TGID_X_EN: 1
; COMPUTE_PGM_RSRC2:TGID_Y_EN: 0
; COMPUTE_PGM_RSRC2:TGID_Z_EN: 0
; COMPUTE_PGM_RSRC2:TIDIG_COMP_CNT: 0
; COMPUTE_PGM_RSRC3_GFX90A:ACCUM_OFFSET: 0
; COMPUTE_PGM_RSRC3_GFX90A:TG_SPLIT: 0
	.section	.text._ZN7rocprim17ROCPRIM_400000_NS6detail17trampoline_kernelINS0_14default_configENS1_20scan_config_selectorIfEEZZNS1_9scan_implILNS1_25lookback_scan_determinismE0ELb0ELb0ES3_N6thrust23THRUST_200600_302600_NS6detail15normal_iteratorINS9_10device_ptrIfEEEENS9_16discard_iteratorINS9_11use_defaultEEEfNS9_4plusIvEEfEEDaPvRmT3_T4_T5_mT6_P12ihipStream_tbENKUlT_T0_E_clISt17integral_constantIbLb0EESX_EEDaSS_ST_EUlSS_E_NS1_11comp_targetILNS1_3genE10ELNS1_11target_archE1201ELNS1_3gpuE5ELNS1_3repE0EEENS1_30default_config_static_selectorELNS0_4arch9wavefront6targetE1EEEvT1_,"axG",@progbits,_ZN7rocprim17ROCPRIM_400000_NS6detail17trampoline_kernelINS0_14default_configENS1_20scan_config_selectorIfEEZZNS1_9scan_implILNS1_25lookback_scan_determinismE0ELb0ELb0ES3_N6thrust23THRUST_200600_302600_NS6detail15normal_iteratorINS9_10device_ptrIfEEEENS9_16discard_iteratorINS9_11use_defaultEEEfNS9_4plusIvEEfEEDaPvRmT3_T4_T5_mT6_P12ihipStream_tbENKUlT_T0_E_clISt17integral_constantIbLb0EESX_EEDaSS_ST_EUlSS_E_NS1_11comp_targetILNS1_3genE10ELNS1_11target_archE1201ELNS1_3gpuE5ELNS1_3repE0EEENS1_30default_config_static_selectorELNS0_4arch9wavefront6targetE1EEEvT1_,comdat
	.protected	_ZN7rocprim17ROCPRIM_400000_NS6detail17trampoline_kernelINS0_14default_configENS1_20scan_config_selectorIfEEZZNS1_9scan_implILNS1_25lookback_scan_determinismE0ELb0ELb0ES3_N6thrust23THRUST_200600_302600_NS6detail15normal_iteratorINS9_10device_ptrIfEEEENS9_16discard_iteratorINS9_11use_defaultEEEfNS9_4plusIvEEfEEDaPvRmT3_T4_T5_mT6_P12ihipStream_tbENKUlT_T0_E_clISt17integral_constantIbLb0EESX_EEDaSS_ST_EUlSS_E_NS1_11comp_targetILNS1_3genE10ELNS1_11target_archE1201ELNS1_3gpuE5ELNS1_3repE0EEENS1_30default_config_static_selectorELNS0_4arch9wavefront6targetE1EEEvT1_ ; -- Begin function _ZN7rocprim17ROCPRIM_400000_NS6detail17trampoline_kernelINS0_14default_configENS1_20scan_config_selectorIfEEZZNS1_9scan_implILNS1_25lookback_scan_determinismE0ELb0ELb0ES3_N6thrust23THRUST_200600_302600_NS6detail15normal_iteratorINS9_10device_ptrIfEEEENS9_16discard_iteratorINS9_11use_defaultEEEfNS9_4plusIvEEfEEDaPvRmT3_T4_T5_mT6_P12ihipStream_tbENKUlT_T0_E_clISt17integral_constantIbLb0EESX_EEDaSS_ST_EUlSS_E_NS1_11comp_targetILNS1_3genE10ELNS1_11target_archE1201ELNS1_3gpuE5ELNS1_3repE0EEENS1_30default_config_static_selectorELNS0_4arch9wavefront6targetE1EEEvT1_
	.globl	_ZN7rocprim17ROCPRIM_400000_NS6detail17trampoline_kernelINS0_14default_configENS1_20scan_config_selectorIfEEZZNS1_9scan_implILNS1_25lookback_scan_determinismE0ELb0ELb0ES3_N6thrust23THRUST_200600_302600_NS6detail15normal_iteratorINS9_10device_ptrIfEEEENS9_16discard_iteratorINS9_11use_defaultEEEfNS9_4plusIvEEfEEDaPvRmT3_T4_T5_mT6_P12ihipStream_tbENKUlT_T0_E_clISt17integral_constantIbLb0EESX_EEDaSS_ST_EUlSS_E_NS1_11comp_targetILNS1_3genE10ELNS1_11target_archE1201ELNS1_3gpuE5ELNS1_3repE0EEENS1_30default_config_static_selectorELNS0_4arch9wavefront6targetE1EEEvT1_
	.p2align	8
	.type	_ZN7rocprim17ROCPRIM_400000_NS6detail17trampoline_kernelINS0_14default_configENS1_20scan_config_selectorIfEEZZNS1_9scan_implILNS1_25lookback_scan_determinismE0ELb0ELb0ES3_N6thrust23THRUST_200600_302600_NS6detail15normal_iteratorINS9_10device_ptrIfEEEENS9_16discard_iteratorINS9_11use_defaultEEEfNS9_4plusIvEEfEEDaPvRmT3_T4_T5_mT6_P12ihipStream_tbENKUlT_T0_E_clISt17integral_constantIbLb0EESX_EEDaSS_ST_EUlSS_E_NS1_11comp_targetILNS1_3genE10ELNS1_11target_archE1201ELNS1_3gpuE5ELNS1_3repE0EEENS1_30default_config_static_selectorELNS0_4arch9wavefront6targetE1EEEvT1_,@function
_ZN7rocprim17ROCPRIM_400000_NS6detail17trampoline_kernelINS0_14default_configENS1_20scan_config_selectorIfEEZZNS1_9scan_implILNS1_25lookback_scan_determinismE0ELb0ELb0ES3_N6thrust23THRUST_200600_302600_NS6detail15normal_iteratorINS9_10device_ptrIfEEEENS9_16discard_iteratorINS9_11use_defaultEEEfNS9_4plusIvEEfEEDaPvRmT3_T4_T5_mT6_P12ihipStream_tbENKUlT_T0_E_clISt17integral_constantIbLb0EESX_EEDaSS_ST_EUlSS_E_NS1_11comp_targetILNS1_3genE10ELNS1_11target_archE1201ELNS1_3gpuE5ELNS1_3repE0EEENS1_30default_config_static_selectorELNS0_4arch9wavefront6targetE1EEEvT1_: ; @_ZN7rocprim17ROCPRIM_400000_NS6detail17trampoline_kernelINS0_14default_configENS1_20scan_config_selectorIfEEZZNS1_9scan_implILNS1_25lookback_scan_determinismE0ELb0ELb0ES3_N6thrust23THRUST_200600_302600_NS6detail15normal_iteratorINS9_10device_ptrIfEEEENS9_16discard_iteratorINS9_11use_defaultEEEfNS9_4plusIvEEfEEDaPvRmT3_T4_T5_mT6_P12ihipStream_tbENKUlT_T0_E_clISt17integral_constantIbLb0EESX_EEDaSS_ST_EUlSS_E_NS1_11comp_targetILNS1_3genE10ELNS1_11target_archE1201ELNS1_3gpuE5ELNS1_3repE0EEENS1_30default_config_static_selectorELNS0_4arch9wavefront6targetE1EEEvT1_
; %bb.0:
	.section	.rodata,"a",@progbits
	.p2align	6, 0x0
	.amdhsa_kernel _ZN7rocprim17ROCPRIM_400000_NS6detail17trampoline_kernelINS0_14default_configENS1_20scan_config_selectorIfEEZZNS1_9scan_implILNS1_25lookback_scan_determinismE0ELb0ELb0ES3_N6thrust23THRUST_200600_302600_NS6detail15normal_iteratorINS9_10device_ptrIfEEEENS9_16discard_iteratorINS9_11use_defaultEEEfNS9_4plusIvEEfEEDaPvRmT3_T4_T5_mT6_P12ihipStream_tbENKUlT_T0_E_clISt17integral_constantIbLb0EESX_EEDaSS_ST_EUlSS_E_NS1_11comp_targetILNS1_3genE10ELNS1_11target_archE1201ELNS1_3gpuE5ELNS1_3repE0EEENS1_30default_config_static_selectorELNS0_4arch9wavefront6targetE1EEEvT1_
		.amdhsa_group_segment_fixed_size 0
		.amdhsa_private_segment_fixed_size 0
		.amdhsa_kernarg_size 104
		.amdhsa_user_sgpr_count 6
		.amdhsa_user_sgpr_private_segment_buffer 1
		.amdhsa_user_sgpr_dispatch_ptr 0
		.amdhsa_user_sgpr_queue_ptr 0
		.amdhsa_user_sgpr_kernarg_segment_ptr 1
		.amdhsa_user_sgpr_dispatch_id 0
		.amdhsa_user_sgpr_flat_scratch_init 0
		.amdhsa_user_sgpr_kernarg_preload_length 0
		.amdhsa_user_sgpr_kernarg_preload_offset 0
		.amdhsa_user_sgpr_private_segment_size 0
		.amdhsa_uses_dynamic_stack 0
		.amdhsa_system_sgpr_private_segment_wavefront_offset 0
		.amdhsa_system_sgpr_workgroup_id_x 1
		.amdhsa_system_sgpr_workgroup_id_y 0
		.amdhsa_system_sgpr_workgroup_id_z 0
		.amdhsa_system_sgpr_workgroup_info 0
		.amdhsa_system_vgpr_workitem_id 0
		.amdhsa_next_free_vgpr 1
		.amdhsa_next_free_sgpr 0
		.amdhsa_accum_offset 4
		.amdhsa_reserve_vcc 0
		.amdhsa_reserve_flat_scratch 0
		.amdhsa_float_round_mode_32 0
		.amdhsa_float_round_mode_16_64 0
		.amdhsa_float_denorm_mode_32 3
		.amdhsa_float_denorm_mode_16_64 3
		.amdhsa_dx10_clamp 1
		.amdhsa_ieee_mode 1
		.amdhsa_fp16_overflow 0
		.amdhsa_tg_split 0
		.amdhsa_exception_fp_ieee_invalid_op 0
		.amdhsa_exception_fp_denorm_src 0
		.amdhsa_exception_fp_ieee_div_zero 0
		.amdhsa_exception_fp_ieee_overflow 0
		.amdhsa_exception_fp_ieee_underflow 0
		.amdhsa_exception_fp_ieee_inexact 0
		.amdhsa_exception_int_div_zero 0
	.end_amdhsa_kernel
	.section	.text._ZN7rocprim17ROCPRIM_400000_NS6detail17trampoline_kernelINS0_14default_configENS1_20scan_config_selectorIfEEZZNS1_9scan_implILNS1_25lookback_scan_determinismE0ELb0ELb0ES3_N6thrust23THRUST_200600_302600_NS6detail15normal_iteratorINS9_10device_ptrIfEEEENS9_16discard_iteratorINS9_11use_defaultEEEfNS9_4plusIvEEfEEDaPvRmT3_T4_T5_mT6_P12ihipStream_tbENKUlT_T0_E_clISt17integral_constantIbLb0EESX_EEDaSS_ST_EUlSS_E_NS1_11comp_targetILNS1_3genE10ELNS1_11target_archE1201ELNS1_3gpuE5ELNS1_3repE0EEENS1_30default_config_static_selectorELNS0_4arch9wavefront6targetE1EEEvT1_,"axG",@progbits,_ZN7rocprim17ROCPRIM_400000_NS6detail17trampoline_kernelINS0_14default_configENS1_20scan_config_selectorIfEEZZNS1_9scan_implILNS1_25lookback_scan_determinismE0ELb0ELb0ES3_N6thrust23THRUST_200600_302600_NS6detail15normal_iteratorINS9_10device_ptrIfEEEENS9_16discard_iteratorINS9_11use_defaultEEEfNS9_4plusIvEEfEEDaPvRmT3_T4_T5_mT6_P12ihipStream_tbENKUlT_T0_E_clISt17integral_constantIbLb0EESX_EEDaSS_ST_EUlSS_E_NS1_11comp_targetILNS1_3genE10ELNS1_11target_archE1201ELNS1_3gpuE5ELNS1_3repE0EEENS1_30default_config_static_selectorELNS0_4arch9wavefront6targetE1EEEvT1_,comdat
.Lfunc_end5011:
	.size	_ZN7rocprim17ROCPRIM_400000_NS6detail17trampoline_kernelINS0_14default_configENS1_20scan_config_selectorIfEEZZNS1_9scan_implILNS1_25lookback_scan_determinismE0ELb0ELb0ES3_N6thrust23THRUST_200600_302600_NS6detail15normal_iteratorINS9_10device_ptrIfEEEENS9_16discard_iteratorINS9_11use_defaultEEEfNS9_4plusIvEEfEEDaPvRmT3_T4_T5_mT6_P12ihipStream_tbENKUlT_T0_E_clISt17integral_constantIbLb0EESX_EEDaSS_ST_EUlSS_E_NS1_11comp_targetILNS1_3genE10ELNS1_11target_archE1201ELNS1_3gpuE5ELNS1_3repE0EEENS1_30default_config_static_selectorELNS0_4arch9wavefront6targetE1EEEvT1_, .Lfunc_end5011-_ZN7rocprim17ROCPRIM_400000_NS6detail17trampoline_kernelINS0_14default_configENS1_20scan_config_selectorIfEEZZNS1_9scan_implILNS1_25lookback_scan_determinismE0ELb0ELb0ES3_N6thrust23THRUST_200600_302600_NS6detail15normal_iteratorINS9_10device_ptrIfEEEENS9_16discard_iteratorINS9_11use_defaultEEEfNS9_4plusIvEEfEEDaPvRmT3_T4_T5_mT6_P12ihipStream_tbENKUlT_T0_E_clISt17integral_constantIbLb0EESX_EEDaSS_ST_EUlSS_E_NS1_11comp_targetILNS1_3genE10ELNS1_11target_archE1201ELNS1_3gpuE5ELNS1_3repE0EEENS1_30default_config_static_selectorELNS0_4arch9wavefront6targetE1EEEvT1_
                                        ; -- End function
	.section	.AMDGPU.csdata,"",@progbits
; Kernel info:
; codeLenInByte = 0
; NumSgprs: 4
; NumVgprs: 0
; NumAgprs: 0
; TotalNumVgprs: 0
; ScratchSize: 0
; MemoryBound: 0
; FloatMode: 240
; IeeeMode: 1
; LDSByteSize: 0 bytes/workgroup (compile time only)
; SGPRBlocks: 0
; VGPRBlocks: 0
; NumSGPRsForWavesPerEU: 4
; NumVGPRsForWavesPerEU: 1
; AccumOffset: 4
; Occupancy: 8
; WaveLimiterHint : 0
; COMPUTE_PGM_RSRC2:SCRATCH_EN: 0
; COMPUTE_PGM_RSRC2:USER_SGPR: 6
; COMPUTE_PGM_RSRC2:TRAP_HANDLER: 0
; COMPUTE_PGM_RSRC2:TGID_X_EN: 1
; COMPUTE_PGM_RSRC2:TGID_Y_EN: 0
; COMPUTE_PGM_RSRC2:TGID_Z_EN: 0
; COMPUTE_PGM_RSRC2:TIDIG_COMP_CNT: 0
; COMPUTE_PGM_RSRC3_GFX90A:ACCUM_OFFSET: 0
; COMPUTE_PGM_RSRC3_GFX90A:TG_SPLIT: 0
	.section	.text._ZN7rocprim17ROCPRIM_400000_NS6detail17trampoline_kernelINS0_14default_configENS1_20scan_config_selectorIfEEZZNS1_9scan_implILNS1_25lookback_scan_determinismE0ELb0ELb0ES3_N6thrust23THRUST_200600_302600_NS6detail15normal_iteratorINS9_10device_ptrIfEEEENS9_16discard_iteratorINS9_11use_defaultEEEfNS9_4plusIvEEfEEDaPvRmT3_T4_T5_mT6_P12ihipStream_tbENKUlT_T0_E_clISt17integral_constantIbLb0EESX_EEDaSS_ST_EUlSS_E_NS1_11comp_targetILNS1_3genE10ELNS1_11target_archE1200ELNS1_3gpuE4ELNS1_3repE0EEENS1_30default_config_static_selectorELNS0_4arch9wavefront6targetE1EEEvT1_,"axG",@progbits,_ZN7rocprim17ROCPRIM_400000_NS6detail17trampoline_kernelINS0_14default_configENS1_20scan_config_selectorIfEEZZNS1_9scan_implILNS1_25lookback_scan_determinismE0ELb0ELb0ES3_N6thrust23THRUST_200600_302600_NS6detail15normal_iteratorINS9_10device_ptrIfEEEENS9_16discard_iteratorINS9_11use_defaultEEEfNS9_4plusIvEEfEEDaPvRmT3_T4_T5_mT6_P12ihipStream_tbENKUlT_T0_E_clISt17integral_constantIbLb0EESX_EEDaSS_ST_EUlSS_E_NS1_11comp_targetILNS1_3genE10ELNS1_11target_archE1200ELNS1_3gpuE4ELNS1_3repE0EEENS1_30default_config_static_selectorELNS0_4arch9wavefront6targetE1EEEvT1_,comdat
	.protected	_ZN7rocprim17ROCPRIM_400000_NS6detail17trampoline_kernelINS0_14default_configENS1_20scan_config_selectorIfEEZZNS1_9scan_implILNS1_25lookback_scan_determinismE0ELb0ELb0ES3_N6thrust23THRUST_200600_302600_NS6detail15normal_iteratorINS9_10device_ptrIfEEEENS9_16discard_iteratorINS9_11use_defaultEEEfNS9_4plusIvEEfEEDaPvRmT3_T4_T5_mT6_P12ihipStream_tbENKUlT_T0_E_clISt17integral_constantIbLb0EESX_EEDaSS_ST_EUlSS_E_NS1_11comp_targetILNS1_3genE10ELNS1_11target_archE1200ELNS1_3gpuE4ELNS1_3repE0EEENS1_30default_config_static_selectorELNS0_4arch9wavefront6targetE1EEEvT1_ ; -- Begin function _ZN7rocprim17ROCPRIM_400000_NS6detail17trampoline_kernelINS0_14default_configENS1_20scan_config_selectorIfEEZZNS1_9scan_implILNS1_25lookback_scan_determinismE0ELb0ELb0ES3_N6thrust23THRUST_200600_302600_NS6detail15normal_iteratorINS9_10device_ptrIfEEEENS9_16discard_iteratorINS9_11use_defaultEEEfNS9_4plusIvEEfEEDaPvRmT3_T4_T5_mT6_P12ihipStream_tbENKUlT_T0_E_clISt17integral_constantIbLb0EESX_EEDaSS_ST_EUlSS_E_NS1_11comp_targetILNS1_3genE10ELNS1_11target_archE1200ELNS1_3gpuE4ELNS1_3repE0EEENS1_30default_config_static_selectorELNS0_4arch9wavefront6targetE1EEEvT1_
	.globl	_ZN7rocprim17ROCPRIM_400000_NS6detail17trampoline_kernelINS0_14default_configENS1_20scan_config_selectorIfEEZZNS1_9scan_implILNS1_25lookback_scan_determinismE0ELb0ELb0ES3_N6thrust23THRUST_200600_302600_NS6detail15normal_iteratorINS9_10device_ptrIfEEEENS9_16discard_iteratorINS9_11use_defaultEEEfNS9_4plusIvEEfEEDaPvRmT3_T4_T5_mT6_P12ihipStream_tbENKUlT_T0_E_clISt17integral_constantIbLb0EESX_EEDaSS_ST_EUlSS_E_NS1_11comp_targetILNS1_3genE10ELNS1_11target_archE1200ELNS1_3gpuE4ELNS1_3repE0EEENS1_30default_config_static_selectorELNS0_4arch9wavefront6targetE1EEEvT1_
	.p2align	8
	.type	_ZN7rocprim17ROCPRIM_400000_NS6detail17trampoline_kernelINS0_14default_configENS1_20scan_config_selectorIfEEZZNS1_9scan_implILNS1_25lookback_scan_determinismE0ELb0ELb0ES3_N6thrust23THRUST_200600_302600_NS6detail15normal_iteratorINS9_10device_ptrIfEEEENS9_16discard_iteratorINS9_11use_defaultEEEfNS9_4plusIvEEfEEDaPvRmT3_T4_T5_mT6_P12ihipStream_tbENKUlT_T0_E_clISt17integral_constantIbLb0EESX_EEDaSS_ST_EUlSS_E_NS1_11comp_targetILNS1_3genE10ELNS1_11target_archE1200ELNS1_3gpuE4ELNS1_3repE0EEENS1_30default_config_static_selectorELNS0_4arch9wavefront6targetE1EEEvT1_,@function
_ZN7rocprim17ROCPRIM_400000_NS6detail17trampoline_kernelINS0_14default_configENS1_20scan_config_selectorIfEEZZNS1_9scan_implILNS1_25lookback_scan_determinismE0ELb0ELb0ES3_N6thrust23THRUST_200600_302600_NS6detail15normal_iteratorINS9_10device_ptrIfEEEENS9_16discard_iteratorINS9_11use_defaultEEEfNS9_4plusIvEEfEEDaPvRmT3_T4_T5_mT6_P12ihipStream_tbENKUlT_T0_E_clISt17integral_constantIbLb0EESX_EEDaSS_ST_EUlSS_E_NS1_11comp_targetILNS1_3genE10ELNS1_11target_archE1200ELNS1_3gpuE4ELNS1_3repE0EEENS1_30default_config_static_selectorELNS0_4arch9wavefront6targetE1EEEvT1_: ; @_ZN7rocprim17ROCPRIM_400000_NS6detail17trampoline_kernelINS0_14default_configENS1_20scan_config_selectorIfEEZZNS1_9scan_implILNS1_25lookback_scan_determinismE0ELb0ELb0ES3_N6thrust23THRUST_200600_302600_NS6detail15normal_iteratorINS9_10device_ptrIfEEEENS9_16discard_iteratorINS9_11use_defaultEEEfNS9_4plusIvEEfEEDaPvRmT3_T4_T5_mT6_P12ihipStream_tbENKUlT_T0_E_clISt17integral_constantIbLb0EESX_EEDaSS_ST_EUlSS_E_NS1_11comp_targetILNS1_3genE10ELNS1_11target_archE1200ELNS1_3gpuE4ELNS1_3repE0EEENS1_30default_config_static_selectorELNS0_4arch9wavefront6targetE1EEEvT1_
; %bb.0:
	.section	.rodata,"a",@progbits
	.p2align	6, 0x0
	.amdhsa_kernel _ZN7rocprim17ROCPRIM_400000_NS6detail17trampoline_kernelINS0_14default_configENS1_20scan_config_selectorIfEEZZNS1_9scan_implILNS1_25lookback_scan_determinismE0ELb0ELb0ES3_N6thrust23THRUST_200600_302600_NS6detail15normal_iteratorINS9_10device_ptrIfEEEENS9_16discard_iteratorINS9_11use_defaultEEEfNS9_4plusIvEEfEEDaPvRmT3_T4_T5_mT6_P12ihipStream_tbENKUlT_T0_E_clISt17integral_constantIbLb0EESX_EEDaSS_ST_EUlSS_E_NS1_11comp_targetILNS1_3genE10ELNS1_11target_archE1200ELNS1_3gpuE4ELNS1_3repE0EEENS1_30default_config_static_selectorELNS0_4arch9wavefront6targetE1EEEvT1_
		.amdhsa_group_segment_fixed_size 0
		.amdhsa_private_segment_fixed_size 0
		.amdhsa_kernarg_size 104
		.amdhsa_user_sgpr_count 6
		.amdhsa_user_sgpr_private_segment_buffer 1
		.amdhsa_user_sgpr_dispatch_ptr 0
		.amdhsa_user_sgpr_queue_ptr 0
		.amdhsa_user_sgpr_kernarg_segment_ptr 1
		.amdhsa_user_sgpr_dispatch_id 0
		.amdhsa_user_sgpr_flat_scratch_init 0
		.amdhsa_user_sgpr_kernarg_preload_length 0
		.amdhsa_user_sgpr_kernarg_preload_offset 0
		.amdhsa_user_sgpr_private_segment_size 0
		.amdhsa_uses_dynamic_stack 0
		.amdhsa_system_sgpr_private_segment_wavefront_offset 0
		.amdhsa_system_sgpr_workgroup_id_x 1
		.amdhsa_system_sgpr_workgroup_id_y 0
		.amdhsa_system_sgpr_workgroup_id_z 0
		.amdhsa_system_sgpr_workgroup_info 0
		.amdhsa_system_vgpr_workitem_id 0
		.amdhsa_next_free_vgpr 1
		.amdhsa_next_free_sgpr 0
		.amdhsa_accum_offset 4
		.amdhsa_reserve_vcc 0
		.amdhsa_reserve_flat_scratch 0
		.amdhsa_float_round_mode_32 0
		.amdhsa_float_round_mode_16_64 0
		.amdhsa_float_denorm_mode_32 3
		.amdhsa_float_denorm_mode_16_64 3
		.amdhsa_dx10_clamp 1
		.amdhsa_ieee_mode 1
		.amdhsa_fp16_overflow 0
		.amdhsa_tg_split 0
		.amdhsa_exception_fp_ieee_invalid_op 0
		.amdhsa_exception_fp_denorm_src 0
		.amdhsa_exception_fp_ieee_div_zero 0
		.amdhsa_exception_fp_ieee_overflow 0
		.amdhsa_exception_fp_ieee_underflow 0
		.amdhsa_exception_fp_ieee_inexact 0
		.amdhsa_exception_int_div_zero 0
	.end_amdhsa_kernel
	.section	.text._ZN7rocprim17ROCPRIM_400000_NS6detail17trampoline_kernelINS0_14default_configENS1_20scan_config_selectorIfEEZZNS1_9scan_implILNS1_25lookback_scan_determinismE0ELb0ELb0ES3_N6thrust23THRUST_200600_302600_NS6detail15normal_iteratorINS9_10device_ptrIfEEEENS9_16discard_iteratorINS9_11use_defaultEEEfNS9_4plusIvEEfEEDaPvRmT3_T4_T5_mT6_P12ihipStream_tbENKUlT_T0_E_clISt17integral_constantIbLb0EESX_EEDaSS_ST_EUlSS_E_NS1_11comp_targetILNS1_3genE10ELNS1_11target_archE1200ELNS1_3gpuE4ELNS1_3repE0EEENS1_30default_config_static_selectorELNS0_4arch9wavefront6targetE1EEEvT1_,"axG",@progbits,_ZN7rocprim17ROCPRIM_400000_NS6detail17trampoline_kernelINS0_14default_configENS1_20scan_config_selectorIfEEZZNS1_9scan_implILNS1_25lookback_scan_determinismE0ELb0ELb0ES3_N6thrust23THRUST_200600_302600_NS6detail15normal_iteratorINS9_10device_ptrIfEEEENS9_16discard_iteratorINS9_11use_defaultEEEfNS9_4plusIvEEfEEDaPvRmT3_T4_T5_mT6_P12ihipStream_tbENKUlT_T0_E_clISt17integral_constantIbLb0EESX_EEDaSS_ST_EUlSS_E_NS1_11comp_targetILNS1_3genE10ELNS1_11target_archE1200ELNS1_3gpuE4ELNS1_3repE0EEENS1_30default_config_static_selectorELNS0_4arch9wavefront6targetE1EEEvT1_,comdat
.Lfunc_end5012:
	.size	_ZN7rocprim17ROCPRIM_400000_NS6detail17trampoline_kernelINS0_14default_configENS1_20scan_config_selectorIfEEZZNS1_9scan_implILNS1_25lookback_scan_determinismE0ELb0ELb0ES3_N6thrust23THRUST_200600_302600_NS6detail15normal_iteratorINS9_10device_ptrIfEEEENS9_16discard_iteratorINS9_11use_defaultEEEfNS9_4plusIvEEfEEDaPvRmT3_T4_T5_mT6_P12ihipStream_tbENKUlT_T0_E_clISt17integral_constantIbLb0EESX_EEDaSS_ST_EUlSS_E_NS1_11comp_targetILNS1_3genE10ELNS1_11target_archE1200ELNS1_3gpuE4ELNS1_3repE0EEENS1_30default_config_static_selectorELNS0_4arch9wavefront6targetE1EEEvT1_, .Lfunc_end5012-_ZN7rocprim17ROCPRIM_400000_NS6detail17trampoline_kernelINS0_14default_configENS1_20scan_config_selectorIfEEZZNS1_9scan_implILNS1_25lookback_scan_determinismE0ELb0ELb0ES3_N6thrust23THRUST_200600_302600_NS6detail15normal_iteratorINS9_10device_ptrIfEEEENS9_16discard_iteratorINS9_11use_defaultEEEfNS9_4plusIvEEfEEDaPvRmT3_T4_T5_mT6_P12ihipStream_tbENKUlT_T0_E_clISt17integral_constantIbLb0EESX_EEDaSS_ST_EUlSS_E_NS1_11comp_targetILNS1_3genE10ELNS1_11target_archE1200ELNS1_3gpuE4ELNS1_3repE0EEENS1_30default_config_static_selectorELNS0_4arch9wavefront6targetE1EEEvT1_
                                        ; -- End function
	.section	.AMDGPU.csdata,"",@progbits
; Kernel info:
; codeLenInByte = 0
; NumSgprs: 4
; NumVgprs: 0
; NumAgprs: 0
; TotalNumVgprs: 0
; ScratchSize: 0
; MemoryBound: 0
; FloatMode: 240
; IeeeMode: 1
; LDSByteSize: 0 bytes/workgroup (compile time only)
; SGPRBlocks: 0
; VGPRBlocks: 0
; NumSGPRsForWavesPerEU: 4
; NumVGPRsForWavesPerEU: 1
; AccumOffset: 4
; Occupancy: 8
; WaveLimiterHint : 0
; COMPUTE_PGM_RSRC2:SCRATCH_EN: 0
; COMPUTE_PGM_RSRC2:USER_SGPR: 6
; COMPUTE_PGM_RSRC2:TRAP_HANDLER: 0
; COMPUTE_PGM_RSRC2:TGID_X_EN: 1
; COMPUTE_PGM_RSRC2:TGID_Y_EN: 0
; COMPUTE_PGM_RSRC2:TGID_Z_EN: 0
; COMPUTE_PGM_RSRC2:TIDIG_COMP_CNT: 0
; COMPUTE_PGM_RSRC3_GFX90A:ACCUM_OFFSET: 0
; COMPUTE_PGM_RSRC3_GFX90A:TG_SPLIT: 0
	.section	.text._ZN7rocprim17ROCPRIM_400000_NS6detail17trampoline_kernelINS0_14default_configENS1_20scan_config_selectorIfEEZZNS1_9scan_implILNS1_25lookback_scan_determinismE0ELb0ELb0ES3_N6thrust23THRUST_200600_302600_NS6detail15normal_iteratorINS9_10device_ptrIfEEEENS9_16discard_iteratorINS9_11use_defaultEEEfNS9_4plusIvEEfEEDaPvRmT3_T4_T5_mT6_P12ihipStream_tbENKUlT_T0_E_clISt17integral_constantIbLb0EESX_EEDaSS_ST_EUlSS_E_NS1_11comp_targetILNS1_3genE9ELNS1_11target_archE1100ELNS1_3gpuE3ELNS1_3repE0EEENS1_30default_config_static_selectorELNS0_4arch9wavefront6targetE1EEEvT1_,"axG",@progbits,_ZN7rocprim17ROCPRIM_400000_NS6detail17trampoline_kernelINS0_14default_configENS1_20scan_config_selectorIfEEZZNS1_9scan_implILNS1_25lookback_scan_determinismE0ELb0ELb0ES3_N6thrust23THRUST_200600_302600_NS6detail15normal_iteratorINS9_10device_ptrIfEEEENS9_16discard_iteratorINS9_11use_defaultEEEfNS9_4plusIvEEfEEDaPvRmT3_T4_T5_mT6_P12ihipStream_tbENKUlT_T0_E_clISt17integral_constantIbLb0EESX_EEDaSS_ST_EUlSS_E_NS1_11comp_targetILNS1_3genE9ELNS1_11target_archE1100ELNS1_3gpuE3ELNS1_3repE0EEENS1_30default_config_static_selectorELNS0_4arch9wavefront6targetE1EEEvT1_,comdat
	.protected	_ZN7rocprim17ROCPRIM_400000_NS6detail17trampoline_kernelINS0_14default_configENS1_20scan_config_selectorIfEEZZNS1_9scan_implILNS1_25lookback_scan_determinismE0ELb0ELb0ES3_N6thrust23THRUST_200600_302600_NS6detail15normal_iteratorINS9_10device_ptrIfEEEENS9_16discard_iteratorINS9_11use_defaultEEEfNS9_4plusIvEEfEEDaPvRmT3_T4_T5_mT6_P12ihipStream_tbENKUlT_T0_E_clISt17integral_constantIbLb0EESX_EEDaSS_ST_EUlSS_E_NS1_11comp_targetILNS1_3genE9ELNS1_11target_archE1100ELNS1_3gpuE3ELNS1_3repE0EEENS1_30default_config_static_selectorELNS0_4arch9wavefront6targetE1EEEvT1_ ; -- Begin function _ZN7rocprim17ROCPRIM_400000_NS6detail17trampoline_kernelINS0_14default_configENS1_20scan_config_selectorIfEEZZNS1_9scan_implILNS1_25lookback_scan_determinismE0ELb0ELb0ES3_N6thrust23THRUST_200600_302600_NS6detail15normal_iteratorINS9_10device_ptrIfEEEENS9_16discard_iteratorINS9_11use_defaultEEEfNS9_4plusIvEEfEEDaPvRmT3_T4_T5_mT6_P12ihipStream_tbENKUlT_T0_E_clISt17integral_constantIbLb0EESX_EEDaSS_ST_EUlSS_E_NS1_11comp_targetILNS1_3genE9ELNS1_11target_archE1100ELNS1_3gpuE3ELNS1_3repE0EEENS1_30default_config_static_selectorELNS0_4arch9wavefront6targetE1EEEvT1_
	.globl	_ZN7rocprim17ROCPRIM_400000_NS6detail17trampoline_kernelINS0_14default_configENS1_20scan_config_selectorIfEEZZNS1_9scan_implILNS1_25lookback_scan_determinismE0ELb0ELb0ES3_N6thrust23THRUST_200600_302600_NS6detail15normal_iteratorINS9_10device_ptrIfEEEENS9_16discard_iteratorINS9_11use_defaultEEEfNS9_4plusIvEEfEEDaPvRmT3_T4_T5_mT6_P12ihipStream_tbENKUlT_T0_E_clISt17integral_constantIbLb0EESX_EEDaSS_ST_EUlSS_E_NS1_11comp_targetILNS1_3genE9ELNS1_11target_archE1100ELNS1_3gpuE3ELNS1_3repE0EEENS1_30default_config_static_selectorELNS0_4arch9wavefront6targetE1EEEvT1_
	.p2align	8
	.type	_ZN7rocprim17ROCPRIM_400000_NS6detail17trampoline_kernelINS0_14default_configENS1_20scan_config_selectorIfEEZZNS1_9scan_implILNS1_25lookback_scan_determinismE0ELb0ELb0ES3_N6thrust23THRUST_200600_302600_NS6detail15normal_iteratorINS9_10device_ptrIfEEEENS9_16discard_iteratorINS9_11use_defaultEEEfNS9_4plusIvEEfEEDaPvRmT3_T4_T5_mT6_P12ihipStream_tbENKUlT_T0_E_clISt17integral_constantIbLb0EESX_EEDaSS_ST_EUlSS_E_NS1_11comp_targetILNS1_3genE9ELNS1_11target_archE1100ELNS1_3gpuE3ELNS1_3repE0EEENS1_30default_config_static_selectorELNS0_4arch9wavefront6targetE1EEEvT1_,@function
_ZN7rocprim17ROCPRIM_400000_NS6detail17trampoline_kernelINS0_14default_configENS1_20scan_config_selectorIfEEZZNS1_9scan_implILNS1_25lookback_scan_determinismE0ELb0ELb0ES3_N6thrust23THRUST_200600_302600_NS6detail15normal_iteratorINS9_10device_ptrIfEEEENS9_16discard_iteratorINS9_11use_defaultEEEfNS9_4plusIvEEfEEDaPvRmT3_T4_T5_mT6_P12ihipStream_tbENKUlT_T0_E_clISt17integral_constantIbLb0EESX_EEDaSS_ST_EUlSS_E_NS1_11comp_targetILNS1_3genE9ELNS1_11target_archE1100ELNS1_3gpuE3ELNS1_3repE0EEENS1_30default_config_static_selectorELNS0_4arch9wavefront6targetE1EEEvT1_: ; @_ZN7rocprim17ROCPRIM_400000_NS6detail17trampoline_kernelINS0_14default_configENS1_20scan_config_selectorIfEEZZNS1_9scan_implILNS1_25lookback_scan_determinismE0ELb0ELb0ES3_N6thrust23THRUST_200600_302600_NS6detail15normal_iteratorINS9_10device_ptrIfEEEENS9_16discard_iteratorINS9_11use_defaultEEEfNS9_4plusIvEEfEEDaPvRmT3_T4_T5_mT6_P12ihipStream_tbENKUlT_T0_E_clISt17integral_constantIbLb0EESX_EEDaSS_ST_EUlSS_E_NS1_11comp_targetILNS1_3genE9ELNS1_11target_archE1100ELNS1_3gpuE3ELNS1_3repE0EEENS1_30default_config_static_selectorELNS0_4arch9wavefront6targetE1EEEvT1_
; %bb.0:
	.section	.rodata,"a",@progbits
	.p2align	6, 0x0
	.amdhsa_kernel _ZN7rocprim17ROCPRIM_400000_NS6detail17trampoline_kernelINS0_14default_configENS1_20scan_config_selectorIfEEZZNS1_9scan_implILNS1_25lookback_scan_determinismE0ELb0ELb0ES3_N6thrust23THRUST_200600_302600_NS6detail15normal_iteratorINS9_10device_ptrIfEEEENS9_16discard_iteratorINS9_11use_defaultEEEfNS9_4plusIvEEfEEDaPvRmT3_T4_T5_mT6_P12ihipStream_tbENKUlT_T0_E_clISt17integral_constantIbLb0EESX_EEDaSS_ST_EUlSS_E_NS1_11comp_targetILNS1_3genE9ELNS1_11target_archE1100ELNS1_3gpuE3ELNS1_3repE0EEENS1_30default_config_static_selectorELNS0_4arch9wavefront6targetE1EEEvT1_
		.amdhsa_group_segment_fixed_size 0
		.amdhsa_private_segment_fixed_size 0
		.amdhsa_kernarg_size 104
		.amdhsa_user_sgpr_count 6
		.amdhsa_user_sgpr_private_segment_buffer 1
		.amdhsa_user_sgpr_dispatch_ptr 0
		.amdhsa_user_sgpr_queue_ptr 0
		.amdhsa_user_sgpr_kernarg_segment_ptr 1
		.amdhsa_user_sgpr_dispatch_id 0
		.amdhsa_user_sgpr_flat_scratch_init 0
		.amdhsa_user_sgpr_kernarg_preload_length 0
		.amdhsa_user_sgpr_kernarg_preload_offset 0
		.amdhsa_user_sgpr_private_segment_size 0
		.amdhsa_uses_dynamic_stack 0
		.amdhsa_system_sgpr_private_segment_wavefront_offset 0
		.amdhsa_system_sgpr_workgroup_id_x 1
		.amdhsa_system_sgpr_workgroup_id_y 0
		.amdhsa_system_sgpr_workgroup_id_z 0
		.amdhsa_system_sgpr_workgroup_info 0
		.amdhsa_system_vgpr_workitem_id 0
		.amdhsa_next_free_vgpr 1
		.amdhsa_next_free_sgpr 0
		.amdhsa_accum_offset 4
		.amdhsa_reserve_vcc 0
		.amdhsa_reserve_flat_scratch 0
		.amdhsa_float_round_mode_32 0
		.amdhsa_float_round_mode_16_64 0
		.amdhsa_float_denorm_mode_32 3
		.amdhsa_float_denorm_mode_16_64 3
		.amdhsa_dx10_clamp 1
		.amdhsa_ieee_mode 1
		.amdhsa_fp16_overflow 0
		.amdhsa_tg_split 0
		.amdhsa_exception_fp_ieee_invalid_op 0
		.amdhsa_exception_fp_denorm_src 0
		.amdhsa_exception_fp_ieee_div_zero 0
		.amdhsa_exception_fp_ieee_overflow 0
		.amdhsa_exception_fp_ieee_underflow 0
		.amdhsa_exception_fp_ieee_inexact 0
		.amdhsa_exception_int_div_zero 0
	.end_amdhsa_kernel
	.section	.text._ZN7rocprim17ROCPRIM_400000_NS6detail17trampoline_kernelINS0_14default_configENS1_20scan_config_selectorIfEEZZNS1_9scan_implILNS1_25lookback_scan_determinismE0ELb0ELb0ES3_N6thrust23THRUST_200600_302600_NS6detail15normal_iteratorINS9_10device_ptrIfEEEENS9_16discard_iteratorINS9_11use_defaultEEEfNS9_4plusIvEEfEEDaPvRmT3_T4_T5_mT6_P12ihipStream_tbENKUlT_T0_E_clISt17integral_constantIbLb0EESX_EEDaSS_ST_EUlSS_E_NS1_11comp_targetILNS1_3genE9ELNS1_11target_archE1100ELNS1_3gpuE3ELNS1_3repE0EEENS1_30default_config_static_selectorELNS0_4arch9wavefront6targetE1EEEvT1_,"axG",@progbits,_ZN7rocprim17ROCPRIM_400000_NS6detail17trampoline_kernelINS0_14default_configENS1_20scan_config_selectorIfEEZZNS1_9scan_implILNS1_25lookback_scan_determinismE0ELb0ELb0ES3_N6thrust23THRUST_200600_302600_NS6detail15normal_iteratorINS9_10device_ptrIfEEEENS9_16discard_iteratorINS9_11use_defaultEEEfNS9_4plusIvEEfEEDaPvRmT3_T4_T5_mT6_P12ihipStream_tbENKUlT_T0_E_clISt17integral_constantIbLb0EESX_EEDaSS_ST_EUlSS_E_NS1_11comp_targetILNS1_3genE9ELNS1_11target_archE1100ELNS1_3gpuE3ELNS1_3repE0EEENS1_30default_config_static_selectorELNS0_4arch9wavefront6targetE1EEEvT1_,comdat
.Lfunc_end5013:
	.size	_ZN7rocprim17ROCPRIM_400000_NS6detail17trampoline_kernelINS0_14default_configENS1_20scan_config_selectorIfEEZZNS1_9scan_implILNS1_25lookback_scan_determinismE0ELb0ELb0ES3_N6thrust23THRUST_200600_302600_NS6detail15normal_iteratorINS9_10device_ptrIfEEEENS9_16discard_iteratorINS9_11use_defaultEEEfNS9_4plusIvEEfEEDaPvRmT3_T4_T5_mT6_P12ihipStream_tbENKUlT_T0_E_clISt17integral_constantIbLb0EESX_EEDaSS_ST_EUlSS_E_NS1_11comp_targetILNS1_3genE9ELNS1_11target_archE1100ELNS1_3gpuE3ELNS1_3repE0EEENS1_30default_config_static_selectorELNS0_4arch9wavefront6targetE1EEEvT1_, .Lfunc_end5013-_ZN7rocprim17ROCPRIM_400000_NS6detail17trampoline_kernelINS0_14default_configENS1_20scan_config_selectorIfEEZZNS1_9scan_implILNS1_25lookback_scan_determinismE0ELb0ELb0ES3_N6thrust23THRUST_200600_302600_NS6detail15normal_iteratorINS9_10device_ptrIfEEEENS9_16discard_iteratorINS9_11use_defaultEEEfNS9_4plusIvEEfEEDaPvRmT3_T4_T5_mT6_P12ihipStream_tbENKUlT_T0_E_clISt17integral_constantIbLb0EESX_EEDaSS_ST_EUlSS_E_NS1_11comp_targetILNS1_3genE9ELNS1_11target_archE1100ELNS1_3gpuE3ELNS1_3repE0EEENS1_30default_config_static_selectorELNS0_4arch9wavefront6targetE1EEEvT1_
                                        ; -- End function
	.section	.AMDGPU.csdata,"",@progbits
; Kernel info:
; codeLenInByte = 0
; NumSgprs: 4
; NumVgprs: 0
; NumAgprs: 0
; TotalNumVgprs: 0
; ScratchSize: 0
; MemoryBound: 0
; FloatMode: 240
; IeeeMode: 1
; LDSByteSize: 0 bytes/workgroup (compile time only)
; SGPRBlocks: 0
; VGPRBlocks: 0
; NumSGPRsForWavesPerEU: 4
; NumVGPRsForWavesPerEU: 1
; AccumOffset: 4
; Occupancy: 8
; WaveLimiterHint : 0
; COMPUTE_PGM_RSRC2:SCRATCH_EN: 0
; COMPUTE_PGM_RSRC2:USER_SGPR: 6
; COMPUTE_PGM_RSRC2:TRAP_HANDLER: 0
; COMPUTE_PGM_RSRC2:TGID_X_EN: 1
; COMPUTE_PGM_RSRC2:TGID_Y_EN: 0
; COMPUTE_PGM_RSRC2:TGID_Z_EN: 0
; COMPUTE_PGM_RSRC2:TIDIG_COMP_CNT: 0
; COMPUTE_PGM_RSRC3_GFX90A:ACCUM_OFFSET: 0
; COMPUTE_PGM_RSRC3_GFX90A:TG_SPLIT: 0
	.section	.text._ZN7rocprim17ROCPRIM_400000_NS6detail17trampoline_kernelINS0_14default_configENS1_20scan_config_selectorIfEEZZNS1_9scan_implILNS1_25lookback_scan_determinismE0ELb0ELb0ES3_N6thrust23THRUST_200600_302600_NS6detail15normal_iteratorINS9_10device_ptrIfEEEENS9_16discard_iteratorINS9_11use_defaultEEEfNS9_4plusIvEEfEEDaPvRmT3_T4_T5_mT6_P12ihipStream_tbENKUlT_T0_E_clISt17integral_constantIbLb0EESX_EEDaSS_ST_EUlSS_E_NS1_11comp_targetILNS1_3genE8ELNS1_11target_archE1030ELNS1_3gpuE2ELNS1_3repE0EEENS1_30default_config_static_selectorELNS0_4arch9wavefront6targetE1EEEvT1_,"axG",@progbits,_ZN7rocprim17ROCPRIM_400000_NS6detail17trampoline_kernelINS0_14default_configENS1_20scan_config_selectorIfEEZZNS1_9scan_implILNS1_25lookback_scan_determinismE0ELb0ELb0ES3_N6thrust23THRUST_200600_302600_NS6detail15normal_iteratorINS9_10device_ptrIfEEEENS9_16discard_iteratorINS9_11use_defaultEEEfNS9_4plusIvEEfEEDaPvRmT3_T4_T5_mT6_P12ihipStream_tbENKUlT_T0_E_clISt17integral_constantIbLb0EESX_EEDaSS_ST_EUlSS_E_NS1_11comp_targetILNS1_3genE8ELNS1_11target_archE1030ELNS1_3gpuE2ELNS1_3repE0EEENS1_30default_config_static_selectorELNS0_4arch9wavefront6targetE1EEEvT1_,comdat
	.protected	_ZN7rocprim17ROCPRIM_400000_NS6detail17trampoline_kernelINS0_14default_configENS1_20scan_config_selectorIfEEZZNS1_9scan_implILNS1_25lookback_scan_determinismE0ELb0ELb0ES3_N6thrust23THRUST_200600_302600_NS6detail15normal_iteratorINS9_10device_ptrIfEEEENS9_16discard_iteratorINS9_11use_defaultEEEfNS9_4plusIvEEfEEDaPvRmT3_T4_T5_mT6_P12ihipStream_tbENKUlT_T0_E_clISt17integral_constantIbLb0EESX_EEDaSS_ST_EUlSS_E_NS1_11comp_targetILNS1_3genE8ELNS1_11target_archE1030ELNS1_3gpuE2ELNS1_3repE0EEENS1_30default_config_static_selectorELNS0_4arch9wavefront6targetE1EEEvT1_ ; -- Begin function _ZN7rocprim17ROCPRIM_400000_NS6detail17trampoline_kernelINS0_14default_configENS1_20scan_config_selectorIfEEZZNS1_9scan_implILNS1_25lookback_scan_determinismE0ELb0ELb0ES3_N6thrust23THRUST_200600_302600_NS6detail15normal_iteratorINS9_10device_ptrIfEEEENS9_16discard_iteratorINS9_11use_defaultEEEfNS9_4plusIvEEfEEDaPvRmT3_T4_T5_mT6_P12ihipStream_tbENKUlT_T0_E_clISt17integral_constantIbLb0EESX_EEDaSS_ST_EUlSS_E_NS1_11comp_targetILNS1_3genE8ELNS1_11target_archE1030ELNS1_3gpuE2ELNS1_3repE0EEENS1_30default_config_static_selectorELNS0_4arch9wavefront6targetE1EEEvT1_
	.globl	_ZN7rocprim17ROCPRIM_400000_NS6detail17trampoline_kernelINS0_14default_configENS1_20scan_config_selectorIfEEZZNS1_9scan_implILNS1_25lookback_scan_determinismE0ELb0ELb0ES3_N6thrust23THRUST_200600_302600_NS6detail15normal_iteratorINS9_10device_ptrIfEEEENS9_16discard_iteratorINS9_11use_defaultEEEfNS9_4plusIvEEfEEDaPvRmT3_T4_T5_mT6_P12ihipStream_tbENKUlT_T0_E_clISt17integral_constantIbLb0EESX_EEDaSS_ST_EUlSS_E_NS1_11comp_targetILNS1_3genE8ELNS1_11target_archE1030ELNS1_3gpuE2ELNS1_3repE0EEENS1_30default_config_static_selectorELNS0_4arch9wavefront6targetE1EEEvT1_
	.p2align	8
	.type	_ZN7rocprim17ROCPRIM_400000_NS6detail17trampoline_kernelINS0_14default_configENS1_20scan_config_selectorIfEEZZNS1_9scan_implILNS1_25lookback_scan_determinismE0ELb0ELb0ES3_N6thrust23THRUST_200600_302600_NS6detail15normal_iteratorINS9_10device_ptrIfEEEENS9_16discard_iteratorINS9_11use_defaultEEEfNS9_4plusIvEEfEEDaPvRmT3_T4_T5_mT6_P12ihipStream_tbENKUlT_T0_E_clISt17integral_constantIbLb0EESX_EEDaSS_ST_EUlSS_E_NS1_11comp_targetILNS1_3genE8ELNS1_11target_archE1030ELNS1_3gpuE2ELNS1_3repE0EEENS1_30default_config_static_selectorELNS0_4arch9wavefront6targetE1EEEvT1_,@function
_ZN7rocprim17ROCPRIM_400000_NS6detail17trampoline_kernelINS0_14default_configENS1_20scan_config_selectorIfEEZZNS1_9scan_implILNS1_25lookback_scan_determinismE0ELb0ELb0ES3_N6thrust23THRUST_200600_302600_NS6detail15normal_iteratorINS9_10device_ptrIfEEEENS9_16discard_iteratorINS9_11use_defaultEEEfNS9_4plusIvEEfEEDaPvRmT3_T4_T5_mT6_P12ihipStream_tbENKUlT_T0_E_clISt17integral_constantIbLb0EESX_EEDaSS_ST_EUlSS_E_NS1_11comp_targetILNS1_3genE8ELNS1_11target_archE1030ELNS1_3gpuE2ELNS1_3repE0EEENS1_30default_config_static_selectorELNS0_4arch9wavefront6targetE1EEEvT1_: ; @_ZN7rocprim17ROCPRIM_400000_NS6detail17trampoline_kernelINS0_14default_configENS1_20scan_config_selectorIfEEZZNS1_9scan_implILNS1_25lookback_scan_determinismE0ELb0ELb0ES3_N6thrust23THRUST_200600_302600_NS6detail15normal_iteratorINS9_10device_ptrIfEEEENS9_16discard_iteratorINS9_11use_defaultEEEfNS9_4plusIvEEfEEDaPvRmT3_T4_T5_mT6_P12ihipStream_tbENKUlT_T0_E_clISt17integral_constantIbLb0EESX_EEDaSS_ST_EUlSS_E_NS1_11comp_targetILNS1_3genE8ELNS1_11target_archE1030ELNS1_3gpuE2ELNS1_3repE0EEENS1_30default_config_static_selectorELNS0_4arch9wavefront6targetE1EEEvT1_
; %bb.0:
	.section	.rodata,"a",@progbits
	.p2align	6, 0x0
	.amdhsa_kernel _ZN7rocprim17ROCPRIM_400000_NS6detail17trampoline_kernelINS0_14default_configENS1_20scan_config_selectorIfEEZZNS1_9scan_implILNS1_25lookback_scan_determinismE0ELb0ELb0ES3_N6thrust23THRUST_200600_302600_NS6detail15normal_iteratorINS9_10device_ptrIfEEEENS9_16discard_iteratorINS9_11use_defaultEEEfNS9_4plusIvEEfEEDaPvRmT3_T4_T5_mT6_P12ihipStream_tbENKUlT_T0_E_clISt17integral_constantIbLb0EESX_EEDaSS_ST_EUlSS_E_NS1_11comp_targetILNS1_3genE8ELNS1_11target_archE1030ELNS1_3gpuE2ELNS1_3repE0EEENS1_30default_config_static_selectorELNS0_4arch9wavefront6targetE1EEEvT1_
		.amdhsa_group_segment_fixed_size 0
		.amdhsa_private_segment_fixed_size 0
		.amdhsa_kernarg_size 104
		.amdhsa_user_sgpr_count 6
		.amdhsa_user_sgpr_private_segment_buffer 1
		.amdhsa_user_sgpr_dispatch_ptr 0
		.amdhsa_user_sgpr_queue_ptr 0
		.amdhsa_user_sgpr_kernarg_segment_ptr 1
		.amdhsa_user_sgpr_dispatch_id 0
		.amdhsa_user_sgpr_flat_scratch_init 0
		.amdhsa_user_sgpr_kernarg_preload_length 0
		.amdhsa_user_sgpr_kernarg_preload_offset 0
		.amdhsa_user_sgpr_private_segment_size 0
		.amdhsa_uses_dynamic_stack 0
		.amdhsa_system_sgpr_private_segment_wavefront_offset 0
		.amdhsa_system_sgpr_workgroup_id_x 1
		.amdhsa_system_sgpr_workgroup_id_y 0
		.amdhsa_system_sgpr_workgroup_id_z 0
		.amdhsa_system_sgpr_workgroup_info 0
		.amdhsa_system_vgpr_workitem_id 0
		.amdhsa_next_free_vgpr 1
		.amdhsa_next_free_sgpr 0
		.amdhsa_accum_offset 4
		.amdhsa_reserve_vcc 0
		.amdhsa_reserve_flat_scratch 0
		.amdhsa_float_round_mode_32 0
		.amdhsa_float_round_mode_16_64 0
		.amdhsa_float_denorm_mode_32 3
		.amdhsa_float_denorm_mode_16_64 3
		.amdhsa_dx10_clamp 1
		.amdhsa_ieee_mode 1
		.amdhsa_fp16_overflow 0
		.amdhsa_tg_split 0
		.amdhsa_exception_fp_ieee_invalid_op 0
		.amdhsa_exception_fp_denorm_src 0
		.amdhsa_exception_fp_ieee_div_zero 0
		.amdhsa_exception_fp_ieee_overflow 0
		.amdhsa_exception_fp_ieee_underflow 0
		.amdhsa_exception_fp_ieee_inexact 0
		.amdhsa_exception_int_div_zero 0
	.end_amdhsa_kernel
	.section	.text._ZN7rocprim17ROCPRIM_400000_NS6detail17trampoline_kernelINS0_14default_configENS1_20scan_config_selectorIfEEZZNS1_9scan_implILNS1_25lookback_scan_determinismE0ELb0ELb0ES3_N6thrust23THRUST_200600_302600_NS6detail15normal_iteratorINS9_10device_ptrIfEEEENS9_16discard_iteratorINS9_11use_defaultEEEfNS9_4plusIvEEfEEDaPvRmT3_T4_T5_mT6_P12ihipStream_tbENKUlT_T0_E_clISt17integral_constantIbLb0EESX_EEDaSS_ST_EUlSS_E_NS1_11comp_targetILNS1_3genE8ELNS1_11target_archE1030ELNS1_3gpuE2ELNS1_3repE0EEENS1_30default_config_static_selectorELNS0_4arch9wavefront6targetE1EEEvT1_,"axG",@progbits,_ZN7rocprim17ROCPRIM_400000_NS6detail17trampoline_kernelINS0_14default_configENS1_20scan_config_selectorIfEEZZNS1_9scan_implILNS1_25lookback_scan_determinismE0ELb0ELb0ES3_N6thrust23THRUST_200600_302600_NS6detail15normal_iteratorINS9_10device_ptrIfEEEENS9_16discard_iteratorINS9_11use_defaultEEEfNS9_4plusIvEEfEEDaPvRmT3_T4_T5_mT6_P12ihipStream_tbENKUlT_T0_E_clISt17integral_constantIbLb0EESX_EEDaSS_ST_EUlSS_E_NS1_11comp_targetILNS1_3genE8ELNS1_11target_archE1030ELNS1_3gpuE2ELNS1_3repE0EEENS1_30default_config_static_selectorELNS0_4arch9wavefront6targetE1EEEvT1_,comdat
.Lfunc_end5014:
	.size	_ZN7rocprim17ROCPRIM_400000_NS6detail17trampoline_kernelINS0_14default_configENS1_20scan_config_selectorIfEEZZNS1_9scan_implILNS1_25lookback_scan_determinismE0ELb0ELb0ES3_N6thrust23THRUST_200600_302600_NS6detail15normal_iteratorINS9_10device_ptrIfEEEENS9_16discard_iteratorINS9_11use_defaultEEEfNS9_4plusIvEEfEEDaPvRmT3_T4_T5_mT6_P12ihipStream_tbENKUlT_T0_E_clISt17integral_constantIbLb0EESX_EEDaSS_ST_EUlSS_E_NS1_11comp_targetILNS1_3genE8ELNS1_11target_archE1030ELNS1_3gpuE2ELNS1_3repE0EEENS1_30default_config_static_selectorELNS0_4arch9wavefront6targetE1EEEvT1_, .Lfunc_end5014-_ZN7rocprim17ROCPRIM_400000_NS6detail17trampoline_kernelINS0_14default_configENS1_20scan_config_selectorIfEEZZNS1_9scan_implILNS1_25lookback_scan_determinismE0ELb0ELb0ES3_N6thrust23THRUST_200600_302600_NS6detail15normal_iteratorINS9_10device_ptrIfEEEENS9_16discard_iteratorINS9_11use_defaultEEEfNS9_4plusIvEEfEEDaPvRmT3_T4_T5_mT6_P12ihipStream_tbENKUlT_T0_E_clISt17integral_constantIbLb0EESX_EEDaSS_ST_EUlSS_E_NS1_11comp_targetILNS1_3genE8ELNS1_11target_archE1030ELNS1_3gpuE2ELNS1_3repE0EEENS1_30default_config_static_selectorELNS0_4arch9wavefront6targetE1EEEvT1_
                                        ; -- End function
	.section	.AMDGPU.csdata,"",@progbits
; Kernel info:
; codeLenInByte = 0
; NumSgprs: 4
; NumVgprs: 0
; NumAgprs: 0
; TotalNumVgprs: 0
; ScratchSize: 0
; MemoryBound: 0
; FloatMode: 240
; IeeeMode: 1
; LDSByteSize: 0 bytes/workgroup (compile time only)
; SGPRBlocks: 0
; VGPRBlocks: 0
; NumSGPRsForWavesPerEU: 4
; NumVGPRsForWavesPerEU: 1
; AccumOffset: 4
; Occupancy: 8
; WaveLimiterHint : 0
; COMPUTE_PGM_RSRC2:SCRATCH_EN: 0
; COMPUTE_PGM_RSRC2:USER_SGPR: 6
; COMPUTE_PGM_RSRC2:TRAP_HANDLER: 0
; COMPUTE_PGM_RSRC2:TGID_X_EN: 1
; COMPUTE_PGM_RSRC2:TGID_Y_EN: 0
; COMPUTE_PGM_RSRC2:TGID_Z_EN: 0
; COMPUTE_PGM_RSRC2:TIDIG_COMP_CNT: 0
; COMPUTE_PGM_RSRC3_GFX90A:ACCUM_OFFSET: 0
; COMPUTE_PGM_RSRC3_GFX90A:TG_SPLIT: 0
	.section	.text._ZN7rocprim17ROCPRIM_400000_NS6detail17trampoline_kernelINS0_14default_configENS1_20scan_config_selectorIfEEZZNS1_9scan_implILNS1_25lookback_scan_determinismE0ELb0ELb0ES3_N6thrust23THRUST_200600_302600_NS6detail15normal_iteratorINS9_10device_ptrIfEEEENS9_16discard_iteratorINS9_11use_defaultEEEfNS9_4plusIvEEfEEDaPvRmT3_T4_T5_mT6_P12ihipStream_tbENKUlT_T0_E_clISt17integral_constantIbLb0EESX_EEDaSS_ST_EUlSS_E0_NS1_11comp_targetILNS1_3genE0ELNS1_11target_archE4294967295ELNS1_3gpuE0ELNS1_3repE0EEENS1_30default_config_static_selectorELNS0_4arch9wavefront6targetE1EEEvT1_,"axG",@progbits,_ZN7rocprim17ROCPRIM_400000_NS6detail17trampoline_kernelINS0_14default_configENS1_20scan_config_selectorIfEEZZNS1_9scan_implILNS1_25lookback_scan_determinismE0ELb0ELb0ES3_N6thrust23THRUST_200600_302600_NS6detail15normal_iteratorINS9_10device_ptrIfEEEENS9_16discard_iteratorINS9_11use_defaultEEEfNS9_4plusIvEEfEEDaPvRmT3_T4_T5_mT6_P12ihipStream_tbENKUlT_T0_E_clISt17integral_constantIbLb0EESX_EEDaSS_ST_EUlSS_E0_NS1_11comp_targetILNS1_3genE0ELNS1_11target_archE4294967295ELNS1_3gpuE0ELNS1_3repE0EEENS1_30default_config_static_selectorELNS0_4arch9wavefront6targetE1EEEvT1_,comdat
	.protected	_ZN7rocprim17ROCPRIM_400000_NS6detail17trampoline_kernelINS0_14default_configENS1_20scan_config_selectorIfEEZZNS1_9scan_implILNS1_25lookback_scan_determinismE0ELb0ELb0ES3_N6thrust23THRUST_200600_302600_NS6detail15normal_iteratorINS9_10device_ptrIfEEEENS9_16discard_iteratorINS9_11use_defaultEEEfNS9_4plusIvEEfEEDaPvRmT3_T4_T5_mT6_P12ihipStream_tbENKUlT_T0_E_clISt17integral_constantIbLb0EESX_EEDaSS_ST_EUlSS_E0_NS1_11comp_targetILNS1_3genE0ELNS1_11target_archE4294967295ELNS1_3gpuE0ELNS1_3repE0EEENS1_30default_config_static_selectorELNS0_4arch9wavefront6targetE1EEEvT1_ ; -- Begin function _ZN7rocprim17ROCPRIM_400000_NS6detail17trampoline_kernelINS0_14default_configENS1_20scan_config_selectorIfEEZZNS1_9scan_implILNS1_25lookback_scan_determinismE0ELb0ELb0ES3_N6thrust23THRUST_200600_302600_NS6detail15normal_iteratorINS9_10device_ptrIfEEEENS9_16discard_iteratorINS9_11use_defaultEEEfNS9_4plusIvEEfEEDaPvRmT3_T4_T5_mT6_P12ihipStream_tbENKUlT_T0_E_clISt17integral_constantIbLb0EESX_EEDaSS_ST_EUlSS_E0_NS1_11comp_targetILNS1_3genE0ELNS1_11target_archE4294967295ELNS1_3gpuE0ELNS1_3repE0EEENS1_30default_config_static_selectorELNS0_4arch9wavefront6targetE1EEEvT1_
	.globl	_ZN7rocprim17ROCPRIM_400000_NS6detail17trampoline_kernelINS0_14default_configENS1_20scan_config_selectorIfEEZZNS1_9scan_implILNS1_25lookback_scan_determinismE0ELb0ELb0ES3_N6thrust23THRUST_200600_302600_NS6detail15normal_iteratorINS9_10device_ptrIfEEEENS9_16discard_iteratorINS9_11use_defaultEEEfNS9_4plusIvEEfEEDaPvRmT3_T4_T5_mT6_P12ihipStream_tbENKUlT_T0_E_clISt17integral_constantIbLb0EESX_EEDaSS_ST_EUlSS_E0_NS1_11comp_targetILNS1_3genE0ELNS1_11target_archE4294967295ELNS1_3gpuE0ELNS1_3repE0EEENS1_30default_config_static_selectorELNS0_4arch9wavefront6targetE1EEEvT1_
	.p2align	8
	.type	_ZN7rocprim17ROCPRIM_400000_NS6detail17trampoline_kernelINS0_14default_configENS1_20scan_config_selectorIfEEZZNS1_9scan_implILNS1_25lookback_scan_determinismE0ELb0ELb0ES3_N6thrust23THRUST_200600_302600_NS6detail15normal_iteratorINS9_10device_ptrIfEEEENS9_16discard_iteratorINS9_11use_defaultEEEfNS9_4plusIvEEfEEDaPvRmT3_T4_T5_mT6_P12ihipStream_tbENKUlT_T0_E_clISt17integral_constantIbLb0EESX_EEDaSS_ST_EUlSS_E0_NS1_11comp_targetILNS1_3genE0ELNS1_11target_archE4294967295ELNS1_3gpuE0ELNS1_3repE0EEENS1_30default_config_static_selectorELNS0_4arch9wavefront6targetE1EEEvT1_,@function
_ZN7rocprim17ROCPRIM_400000_NS6detail17trampoline_kernelINS0_14default_configENS1_20scan_config_selectorIfEEZZNS1_9scan_implILNS1_25lookback_scan_determinismE0ELb0ELb0ES3_N6thrust23THRUST_200600_302600_NS6detail15normal_iteratorINS9_10device_ptrIfEEEENS9_16discard_iteratorINS9_11use_defaultEEEfNS9_4plusIvEEfEEDaPvRmT3_T4_T5_mT6_P12ihipStream_tbENKUlT_T0_E_clISt17integral_constantIbLb0EESX_EEDaSS_ST_EUlSS_E0_NS1_11comp_targetILNS1_3genE0ELNS1_11target_archE4294967295ELNS1_3gpuE0ELNS1_3repE0EEENS1_30default_config_static_selectorELNS0_4arch9wavefront6targetE1EEEvT1_: ; @_ZN7rocprim17ROCPRIM_400000_NS6detail17trampoline_kernelINS0_14default_configENS1_20scan_config_selectorIfEEZZNS1_9scan_implILNS1_25lookback_scan_determinismE0ELb0ELb0ES3_N6thrust23THRUST_200600_302600_NS6detail15normal_iteratorINS9_10device_ptrIfEEEENS9_16discard_iteratorINS9_11use_defaultEEEfNS9_4plusIvEEfEEDaPvRmT3_T4_T5_mT6_P12ihipStream_tbENKUlT_T0_E_clISt17integral_constantIbLb0EESX_EEDaSS_ST_EUlSS_E0_NS1_11comp_targetILNS1_3genE0ELNS1_11target_archE4294967295ELNS1_3gpuE0ELNS1_3repE0EEENS1_30default_config_static_selectorELNS0_4arch9wavefront6targetE1EEEvT1_
; %bb.0:
	.section	.rodata,"a",@progbits
	.p2align	6, 0x0
	.amdhsa_kernel _ZN7rocprim17ROCPRIM_400000_NS6detail17trampoline_kernelINS0_14default_configENS1_20scan_config_selectorIfEEZZNS1_9scan_implILNS1_25lookback_scan_determinismE0ELb0ELb0ES3_N6thrust23THRUST_200600_302600_NS6detail15normal_iteratorINS9_10device_ptrIfEEEENS9_16discard_iteratorINS9_11use_defaultEEEfNS9_4plusIvEEfEEDaPvRmT3_T4_T5_mT6_P12ihipStream_tbENKUlT_T0_E_clISt17integral_constantIbLb0EESX_EEDaSS_ST_EUlSS_E0_NS1_11comp_targetILNS1_3genE0ELNS1_11target_archE4294967295ELNS1_3gpuE0ELNS1_3repE0EEENS1_30default_config_static_selectorELNS0_4arch9wavefront6targetE1EEEvT1_
		.amdhsa_group_segment_fixed_size 0
		.amdhsa_private_segment_fixed_size 0
		.amdhsa_kernarg_size 40
		.amdhsa_user_sgpr_count 6
		.amdhsa_user_sgpr_private_segment_buffer 1
		.amdhsa_user_sgpr_dispatch_ptr 0
		.amdhsa_user_sgpr_queue_ptr 0
		.amdhsa_user_sgpr_kernarg_segment_ptr 1
		.amdhsa_user_sgpr_dispatch_id 0
		.amdhsa_user_sgpr_flat_scratch_init 0
		.amdhsa_user_sgpr_kernarg_preload_length 0
		.amdhsa_user_sgpr_kernarg_preload_offset 0
		.amdhsa_user_sgpr_private_segment_size 0
		.amdhsa_uses_dynamic_stack 0
		.amdhsa_system_sgpr_private_segment_wavefront_offset 0
		.amdhsa_system_sgpr_workgroup_id_x 1
		.amdhsa_system_sgpr_workgroup_id_y 0
		.amdhsa_system_sgpr_workgroup_id_z 0
		.amdhsa_system_sgpr_workgroup_info 0
		.amdhsa_system_vgpr_workitem_id 0
		.amdhsa_next_free_vgpr 1
		.amdhsa_next_free_sgpr 0
		.amdhsa_accum_offset 4
		.amdhsa_reserve_vcc 0
		.amdhsa_reserve_flat_scratch 0
		.amdhsa_float_round_mode_32 0
		.amdhsa_float_round_mode_16_64 0
		.amdhsa_float_denorm_mode_32 3
		.amdhsa_float_denorm_mode_16_64 3
		.amdhsa_dx10_clamp 1
		.amdhsa_ieee_mode 1
		.amdhsa_fp16_overflow 0
		.amdhsa_tg_split 0
		.amdhsa_exception_fp_ieee_invalid_op 0
		.amdhsa_exception_fp_denorm_src 0
		.amdhsa_exception_fp_ieee_div_zero 0
		.amdhsa_exception_fp_ieee_overflow 0
		.amdhsa_exception_fp_ieee_underflow 0
		.amdhsa_exception_fp_ieee_inexact 0
		.amdhsa_exception_int_div_zero 0
	.end_amdhsa_kernel
	.section	.text._ZN7rocprim17ROCPRIM_400000_NS6detail17trampoline_kernelINS0_14default_configENS1_20scan_config_selectorIfEEZZNS1_9scan_implILNS1_25lookback_scan_determinismE0ELb0ELb0ES3_N6thrust23THRUST_200600_302600_NS6detail15normal_iteratorINS9_10device_ptrIfEEEENS9_16discard_iteratorINS9_11use_defaultEEEfNS9_4plusIvEEfEEDaPvRmT3_T4_T5_mT6_P12ihipStream_tbENKUlT_T0_E_clISt17integral_constantIbLb0EESX_EEDaSS_ST_EUlSS_E0_NS1_11comp_targetILNS1_3genE0ELNS1_11target_archE4294967295ELNS1_3gpuE0ELNS1_3repE0EEENS1_30default_config_static_selectorELNS0_4arch9wavefront6targetE1EEEvT1_,"axG",@progbits,_ZN7rocprim17ROCPRIM_400000_NS6detail17trampoline_kernelINS0_14default_configENS1_20scan_config_selectorIfEEZZNS1_9scan_implILNS1_25lookback_scan_determinismE0ELb0ELb0ES3_N6thrust23THRUST_200600_302600_NS6detail15normal_iteratorINS9_10device_ptrIfEEEENS9_16discard_iteratorINS9_11use_defaultEEEfNS9_4plusIvEEfEEDaPvRmT3_T4_T5_mT6_P12ihipStream_tbENKUlT_T0_E_clISt17integral_constantIbLb0EESX_EEDaSS_ST_EUlSS_E0_NS1_11comp_targetILNS1_3genE0ELNS1_11target_archE4294967295ELNS1_3gpuE0ELNS1_3repE0EEENS1_30default_config_static_selectorELNS0_4arch9wavefront6targetE1EEEvT1_,comdat
.Lfunc_end5015:
	.size	_ZN7rocprim17ROCPRIM_400000_NS6detail17trampoline_kernelINS0_14default_configENS1_20scan_config_selectorIfEEZZNS1_9scan_implILNS1_25lookback_scan_determinismE0ELb0ELb0ES3_N6thrust23THRUST_200600_302600_NS6detail15normal_iteratorINS9_10device_ptrIfEEEENS9_16discard_iteratorINS9_11use_defaultEEEfNS9_4plusIvEEfEEDaPvRmT3_T4_T5_mT6_P12ihipStream_tbENKUlT_T0_E_clISt17integral_constantIbLb0EESX_EEDaSS_ST_EUlSS_E0_NS1_11comp_targetILNS1_3genE0ELNS1_11target_archE4294967295ELNS1_3gpuE0ELNS1_3repE0EEENS1_30default_config_static_selectorELNS0_4arch9wavefront6targetE1EEEvT1_, .Lfunc_end5015-_ZN7rocprim17ROCPRIM_400000_NS6detail17trampoline_kernelINS0_14default_configENS1_20scan_config_selectorIfEEZZNS1_9scan_implILNS1_25lookback_scan_determinismE0ELb0ELb0ES3_N6thrust23THRUST_200600_302600_NS6detail15normal_iteratorINS9_10device_ptrIfEEEENS9_16discard_iteratorINS9_11use_defaultEEEfNS9_4plusIvEEfEEDaPvRmT3_T4_T5_mT6_P12ihipStream_tbENKUlT_T0_E_clISt17integral_constantIbLb0EESX_EEDaSS_ST_EUlSS_E0_NS1_11comp_targetILNS1_3genE0ELNS1_11target_archE4294967295ELNS1_3gpuE0ELNS1_3repE0EEENS1_30default_config_static_selectorELNS0_4arch9wavefront6targetE1EEEvT1_
                                        ; -- End function
	.section	.AMDGPU.csdata,"",@progbits
; Kernel info:
; codeLenInByte = 0
; NumSgprs: 4
; NumVgprs: 0
; NumAgprs: 0
; TotalNumVgprs: 0
; ScratchSize: 0
; MemoryBound: 0
; FloatMode: 240
; IeeeMode: 1
; LDSByteSize: 0 bytes/workgroup (compile time only)
; SGPRBlocks: 0
; VGPRBlocks: 0
; NumSGPRsForWavesPerEU: 4
; NumVGPRsForWavesPerEU: 1
; AccumOffset: 4
; Occupancy: 8
; WaveLimiterHint : 0
; COMPUTE_PGM_RSRC2:SCRATCH_EN: 0
; COMPUTE_PGM_RSRC2:USER_SGPR: 6
; COMPUTE_PGM_RSRC2:TRAP_HANDLER: 0
; COMPUTE_PGM_RSRC2:TGID_X_EN: 1
; COMPUTE_PGM_RSRC2:TGID_Y_EN: 0
; COMPUTE_PGM_RSRC2:TGID_Z_EN: 0
; COMPUTE_PGM_RSRC2:TIDIG_COMP_CNT: 0
; COMPUTE_PGM_RSRC3_GFX90A:ACCUM_OFFSET: 0
; COMPUTE_PGM_RSRC3_GFX90A:TG_SPLIT: 0
	.section	.text._ZN7rocprim17ROCPRIM_400000_NS6detail17trampoline_kernelINS0_14default_configENS1_20scan_config_selectorIfEEZZNS1_9scan_implILNS1_25lookback_scan_determinismE0ELb0ELb0ES3_N6thrust23THRUST_200600_302600_NS6detail15normal_iteratorINS9_10device_ptrIfEEEENS9_16discard_iteratorINS9_11use_defaultEEEfNS9_4plusIvEEfEEDaPvRmT3_T4_T5_mT6_P12ihipStream_tbENKUlT_T0_E_clISt17integral_constantIbLb0EESX_EEDaSS_ST_EUlSS_E0_NS1_11comp_targetILNS1_3genE5ELNS1_11target_archE942ELNS1_3gpuE9ELNS1_3repE0EEENS1_30default_config_static_selectorELNS0_4arch9wavefront6targetE1EEEvT1_,"axG",@progbits,_ZN7rocprim17ROCPRIM_400000_NS6detail17trampoline_kernelINS0_14default_configENS1_20scan_config_selectorIfEEZZNS1_9scan_implILNS1_25lookback_scan_determinismE0ELb0ELb0ES3_N6thrust23THRUST_200600_302600_NS6detail15normal_iteratorINS9_10device_ptrIfEEEENS9_16discard_iteratorINS9_11use_defaultEEEfNS9_4plusIvEEfEEDaPvRmT3_T4_T5_mT6_P12ihipStream_tbENKUlT_T0_E_clISt17integral_constantIbLb0EESX_EEDaSS_ST_EUlSS_E0_NS1_11comp_targetILNS1_3genE5ELNS1_11target_archE942ELNS1_3gpuE9ELNS1_3repE0EEENS1_30default_config_static_selectorELNS0_4arch9wavefront6targetE1EEEvT1_,comdat
	.protected	_ZN7rocprim17ROCPRIM_400000_NS6detail17trampoline_kernelINS0_14default_configENS1_20scan_config_selectorIfEEZZNS1_9scan_implILNS1_25lookback_scan_determinismE0ELb0ELb0ES3_N6thrust23THRUST_200600_302600_NS6detail15normal_iteratorINS9_10device_ptrIfEEEENS9_16discard_iteratorINS9_11use_defaultEEEfNS9_4plusIvEEfEEDaPvRmT3_T4_T5_mT6_P12ihipStream_tbENKUlT_T0_E_clISt17integral_constantIbLb0EESX_EEDaSS_ST_EUlSS_E0_NS1_11comp_targetILNS1_3genE5ELNS1_11target_archE942ELNS1_3gpuE9ELNS1_3repE0EEENS1_30default_config_static_selectorELNS0_4arch9wavefront6targetE1EEEvT1_ ; -- Begin function _ZN7rocprim17ROCPRIM_400000_NS6detail17trampoline_kernelINS0_14default_configENS1_20scan_config_selectorIfEEZZNS1_9scan_implILNS1_25lookback_scan_determinismE0ELb0ELb0ES3_N6thrust23THRUST_200600_302600_NS6detail15normal_iteratorINS9_10device_ptrIfEEEENS9_16discard_iteratorINS9_11use_defaultEEEfNS9_4plusIvEEfEEDaPvRmT3_T4_T5_mT6_P12ihipStream_tbENKUlT_T0_E_clISt17integral_constantIbLb0EESX_EEDaSS_ST_EUlSS_E0_NS1_11comp_targetILNS1_3genE5ELNS1_11target_archE942ELNS1_3gpuE9ELNS1_3repE0EEENS1_30default_config_static_selectorELNS0_4arch9wavefront6targetE1EEEvT1_
	.globl	_ZN7rocprim17ROCPRIM_400000_NS6detail17trampoline_kernelINS0_14default_configENS1_20scan_config_selectorIfEEZZNS1_9scan_implILNS1_25lookback_scan_determinismE0ELb0ELb0ES3_N6thrust23THRUST_200600_302600_NS6detail15normal_iteratorINS9_10device_ptrIfEEEENS9_16discard_iteratorINS9_11use_defaultEEEfNS9_4plusIvEEfEEDaPvRmT3_T4_T5_mT6_P12ihipStream_tbENKUlT_T0_E_clISt17integral_constantIbLb0EESX_EEDaSS_ST_EUlSS_E0_NS1_11comp_targetILNS1_3genE5ELNS1_11target_archE942ELNS1_3gpuE9ELNS1_3repE0EEENS1_30default_config_static_selectorELNS0_4arch9wavefront6targetE1EEEvT1_
	.p2align	8
	.type	_ZN7rocprim17ROCPRIM_400000_NS6detail17trampoline_kernelINS0_14default_configENS1_20scan_config_selectorIfEEZZNS1_9scan_implILNS1_25lookback_scan_determinismE0ELb0ELb0ES3_N6thrust23THRUST_200600_302600_NS6detail15normal_iteratorINS9_10device_ptrIfEEEENS9_16discard_iteratorINS9_11use_defaultEEEfNS9_4plusIvEEfEEDaPvRmT3_T4_T5_mT6_P12ihipStream_tbENKUlT_T0_E_clISt17integral_constantIbLb0EESX_EEDaSS_ST_EUlSS_E0_NS1_11comp_targetILNS1_3genE5ELNS1_11target_archE942ELNS1_3gpuE9ELNS1_3repE0EEENS1_30default_config_static_selectorELNS0_4arch9wavefront6targetE1EEEvT1_,@function
_ZN7rocprim17ROCPRIM_400000_NS6detail17trampoline_kernelINS0_14default_configENS1_20scan_config_selectorIfEEZZNS1_9scan_implILNS1_25lookback_scan_determinismE0ELb0ELb0ES3_N6thrust23THRUST_200600_302600_NS6detail15normal_iteratorINS9_10device_ptrIfEEEENS9_16discard_iteratorINS9_11use_defaultEEEfNS9_4plusIvEEfEEDaPvRmT3_T4_T5_mT6_P12ihipStream_tbENKUlT_T0_E_clISt17integral_constantIbLb0EESX_EEDaSS_ST_EUlSS_E0_NS1_11comp_targetILNS1_3genE5ELNS1_11target_archE942ELNS1_3gpuE9ELNS1_3repE0EEENS1_30default_config_static_selectorELNS0_4arch9wavefront6targetE1EEEvT1_: ; @_ZN7rocprim17ROCPRIM_400000_NS6detail17trampoline_kernelINS0_14default_configENS1_20scan_config_selectorIfEEZZNS1_9scan_implILNS1_25lookback_scan_determinismE0ELb0ELb0ES3_N6thrust23THRUST_200600_302600_NS6detail15normal_iteratorINS9_10device_ptrIfEEEENS9_16discard_iteratorINS9_11use_defaultEEEfNS9_4plusIvEEfEEDaPvRmT3_T4_T5_mT6_P12ihipStream_tbENKUlT_T0_E_clISt17integral_constantIbLb0EESX_EEDaSS_ST_EUlSS_E0_NS1_11comp_targetILNS1_3genE5ELNS1_11target_archE942ELNS1_3gpuE9ELNS1_3repE0EEENS1_30default_config_static_selectorELNS0_4arch9wavefront6targetE1EEEvT1_
; %bb.0:
	.section	.rodata,"a",@progbits
	.p2align	6, 0x0
	.amdhsa_kernel _ZN7rocprim17ROCPRIM_400000_NS6detail17trampoline_kernelINS0_14default_configENS1_20scan_config_selectorIfEEZZNS1_9scan_implILNS1_25lookback_scan_determinismE0ELb0ELb0ES3_N6thrust23THRUST_200600_302600_NS6detail15normal_iteratorINS9_10device_ptrIfEEEENS9_16discard_iteratorINS9_11use_defaultEEEfNS9_4plusIvEEfEEDaPvRmT3_T4_T5_mT6_P12ihipStream_tbENKUlT_T0_E_clISt17integral_constantIbLb0EESX_EEDaSS_ST_EUlSS_E0_NS1_11comp_targetILNS1_3genE5ELNS1_11target_archE942ELNS1_3gpuE9ELNS1_3repE0EEENS1_30default_config_static_selectorELNS0_4arch9wavefront6targetE1EEEvT1_
		.amdhsa_group_segment_fixed_size 0
		.amdhsa_private_segment_fixed_size 0
		.amdhsa_kernarg_size 40
		.amdhsa_user_sgpr_count 6
		.amdhsa_user_sgpr_private_segment_buffer 1
		.amdhsa_user_sgpr_dispatch_ptr 0
		.amdhsa_user_sgpr_queue_ptr 0
		.amdhsa_user_sgpr_kernarg_segment_ptr 1
		.amdhsa_user_sgpr_dispatch_id 0
		.amdhsa_user_sgpr_flat_scratch_init 0
		.amdhsa_user_sgpr_kernarg_preload_length 0
		.amdhsa_user_sgpr_kernarg_preload_offset 0
		.amdhsa_user_sgpr_private_segment_size 0
		.amdhsa_uses_dynamic_stack 0
		.amdhsa_system_sgpr_private_segment_wavefront_offset 0
		.amdhsa_system_sgpr_workgroup_id_x 1
		.amdhsa_system_sgpr_workgroup_id_y 0
		.amdhsa_system_sgpr_workgroup_id_z 0
		.amdhsa_system_sgpr_workgroup_info 0
		.amdhsa_system_vgpr_workitem_id 0
		.amdhsa_next_free_vgpr 1
		.amdhsa_next_free_sgpr 0
		.amdhsa_accum_offset 4
		.amdhsa_reserve_vcc 0
		.amdhsa_reserve_flat_scratch 0
		.amdhsa_float_round_mode_32 0
		.amdhsa_float_round_mode_16_64 0
		.amdhsa_float_denorm_mode_32 3
		.amdhsa_float_denorm_mode_16_64 3
		.amdhsa_dx10_clamp 1
		.amdhsa_ieee_mode 1
		.amdhsa_fp16_overflow 0
		.amdhsa_tg_split 0
		.amdhsa_exception_fp_ieee_invalid_op 0
		.amdhsa_exception_fp_denorm_src 0
		.amdhsa_exception_fp_ieee_div_zero 0
		.amdhsa_exception_fp_ieee_overflow 0
		.amdhsa_exception_fp_ieee_underflow 0
		.amdhsa_exception_fp_ieee_inexact 0
		.amdhsa_exception_int_div_zero 0
	.end_amdhsa_kernel
	.section	.text._ZN7rocprim17ROCPRIM_400000_NS6detail17trampoline_kernelINS0_14default_configENS1_20scan_config_selectorIfEEZZNS1_9scan_implILNS1_25lookback_scan_determinismE0ELb0ELb0ES3_N6thrust23THRUST_200600_302600_NS6detail15normal_iteratorINS9_10device_ptrIfEEEENS9_16discard_iteratorINS9_11use_defaultEEEfNS9_4plusIvEEfEEDaPvRmT3_T4_T5_mT6_P12ihipStream_tbENKUlT_T0_E_clISt17integral_constantIbLb0EESX_EEDaSS_ST_EUlSS_E0_NS1_11comp_targetILNS1_3genE5ELNS1_11target_archE942ELNS1_3gpuE9ELNS1_3repE0EEENS1_30default_config_static_selectorELNS0_4arch9wavefront6targetE1EEEvT1_,"axG",@progbits,_ZN7rocprim17ROCPRIM_400000_NS6detail17trampoline_kernelINS0_14default_configENS1_20scan_config_selectorIfEEZZNS1_9scan_implILNS1_25lookback_scan_determinismE0ELb0ELb0ES3_N6thrust23THRUST_200600_302600_NS6detail15normal_iteratorINS9_10device_ptrIfEEEENS9_16discard_iteratorINS9_11use_defaultEEEfNS9_4plusIvEEfEEDaPvRmT3_T4_T5_mT6_P12ihipStream_tbENKUlT_T0_E_clISt17integral_constantIbLb0EESX_EEDaSS_ST_EUlSS_E0_NS1_11comp_targetILNS1_3genE5ELNS1_11target_archE942ELNS1_3gpuE9ELNS1_3repE0EEENS1_30default_config_static_selectorELNS0_4arch9wavefront6targetE1EEEvT1_,comdat
.Lfunc_end5016:
	.size	_ZN7rocprim17ROCPRIM_400000_NS6detail17trampoline_kernelINS0_14default_configENS1_20scan_config_selectorIfEEZZNS1_9scan_implILNS1_25lookback_scan_determinismE0ELb0ELb0ES3_N6thrust23THRUST_200600_302600_NS6detail15normal_iteratorINS9_10device_ptrIfEEEENS9_16discard_iteratorINS9_11use_defaultEEEfNS9_4plusIvEEfEEDaPvRmT3_T4_T5_mT6_P12ihipStream_tbENKUlT_T0_E_clISt17integral_constantIbLb0EESX_EEDaSS_ST_EUlSS_E0_NS1_11comp_targetILNS1_3genE5ELNS1_11target_archE942ELNS1_3gpuE9ELNS1_3repE0EEENS1_30default_config_static_selectorELNS0_4arch9wavefront6targetE1EEEvT1_, .Lfunc_end5016-_ZN7rocprim17ROCPRIM_400000_NS6detail17trampoline_kernelINS0_14default_configENS1_20scan_config_selectorIfEEZZNS1_9scan_implILNS1_25lookback_scan_determinismE0ELb0ELb0ES3_N6thrust23THRUST_200600_302600_NS6detail15normal_iteratorINS9_10device_ptrIfEEEENS9_16discard_iteratorINS9_11use_defaultEEEfNS9_4plusIvEEfEEDaPvRmT3_T4_T5_mT6_P12ihipStream_tbENKUlT_T0_E_clISt17integral_constantIbLb0EESX_EEDaSS_ST_EUlSS_E0_NS1_11comp_targetILNS1_3genE5ELNS1_11target_archE942ELNS1_3gpuE9ELNS1_3repE0EEENS1_30default_config_static_selectorELNS0_4arch9wavefront6targetE1EEEvT1_
                                        ; -- End function
	.section	.AMDGPU.csdata,"",@progbits
; Kernel info:
; codeLenInByte = 0
; NumSgprs: 4
; NumVgprs: 0
; NumAgprs: 0
; TotalNumVgprs: 0
; ScratchSize: 0
; MemoryBound: 0
; FloatMode: 240
; IeeeMode: 1
; LDSByteSize: 0 bytes/workgroup (compile time only)
; SGPRBlocks: 0
; VGPRBlocks: 0
; NumSGPRsForWavesPerEU: 4
; NumVGPRsForWavesPerEU: 1
; AccumOffset: 4
; Occupancy: 8
; WaveLimiterHint : 0
; COMPUTE_PGM_RSRC2:SCRATCH_EN: 0
; COMPUTE_PGM_RSRC2:USER_SGPR: 6
; COMPUTE_PGM_RSRC2:TRAP_HANDLER: 0
; COMPUTE_PGM_RSRC2:TGID_X_EN: 1
; COMPUTE_PGM_RSRC2:TGID_Y_EN: 0
; COMPUTE_PGM_RSRC2:TGID_Z_EN: 0
; COMPUTE_PGM_RSRC2:TIDIG_COMP_CNT: 0
; COMPUTE_PGM_RSRC3_GFX90A:ACCUM_OFFSET: 0
; COMPUTE_PGM_RSRC3_GFX90A:TG_SPLIT: 0
	.section	.text._ZN7rocprim17ROCPRIM_400000_NS6detail17trampoline_kernelINS0_14default_configENS1_20scan_config_selectorIfEEZZNS1_9scan_implILNS1_25lookback_scan_determinismE0ELb0ELb0ES3_N6thrust23THRUST_200600_302600_NS6detail15normal_iteratorINS9_10device_ptrIfEEEENS9_16discard_iteratorINS9_11use_defaultEEEfNS9_4plusIvEEfEEDaPvRmT3_T4_T5_mT6_P12ihipStream_tbENKUlT_T0_E_clISt17integral_constantIbLb0EESX_EEDaSS_ST_EUlSS_E0_NS1_11comp_targetILNS1_3genE4ELNS1_11target_archE910ELNS1_3gpuE8ELNS1_3repE0EEENS1_30default_config_static_selectorELNS0_4arch9wavefront6targetE1EEEvT1_,"axG",@progbits,_ZN7rocprim17ROCPRIM_400000_NS6detail17trampoline_kernelINS0_14default_configENS1_20scan_config_selectorIfEEZZNS1_9scan_implILNS1_25lookback_scan_determinismE0ELb0ELb0ES3_N6thrust23THRUST_200600_302600_NS6detail15normal_iteratorINS9_10device_ptrIfEEEENS9_16discard_iteratorINS9_11use_defaultEEEfNS9_4plusIvEEfEEDaPvRmT3_T4_T5_mT6_P12ihipStream_tbENKUlT_T0_E_clISt17integral_constantIbLb0EESX_EEDaSS_ST_EUlSS_E0_NS1_11comp_targetILNS1_3genE4ELNS1_11target_archE910ELNS1_3gpuE8ELNS1_3repE0EEENS1_30default_config_static_selectorELNS0_4arch9wavefront6targetE1EEEvT1_,comdat
	.protected	_ZN7rocprim17ROCPRIM_400000_NS6detail17trampoline_kernelINS0_14default_configENS1_20scan_config_selectorIfEEZZNS1_9scan_implILNS1_25lookback_scan_determinismE0ELb0ELb0ES3_N6thrust23THRUST_200600_302600_NS6detail15normal_iteratorINS9_10device_ptrIfEEEENS9_16discard_iteratorINS9_11use_defaultEEEfNS9_4plusIvEEfEEDaPvRmT3_T4_T5_mT6_P12ihipStream_tbENKUlT_T0_E_clISt17integral_constantIbLb0EESX_EEDaSS_ST_EUlSS_E0_NS1_11comp_targetILNS1_3genE4ELNS1_11target_archE910ELNS1_3gpuE8ELNS1_3repE0EEENS1_30default_config_static_selectorELNS0_4arch9wavefront6targetE1EEEvT1_ ; -- Begin function _ZN7rocprim17ROCPRIM_400000_NS6detail17trampoline_kernelINS0_14default_configENS1_20scan_config_selectorIfEEZZNS1_9scan_implILNS1_25lookback_scan_determinismE0ELb0ELb0ES3_N6thrust23THRUST_200600_302600_NS6detail15normal_iteratorINS9_10device_ptrIfEEEENS9_16discard_iteratorINS9_11use_defaultEEEfNS9_4plusIvEEfEEDaPvRmT3_T4_T5_mT6_P12ihipStream_tbENKUlT_T0_E_clISt17integral_constantIbLb0EESX_EEDaSS_ST_EUlSS_E0_NS1_11comp_targetILNS1_3genE4ELNS1_11target_archE910ELNS1_3gpuE8ELNS1_3repE0EEENS1_30default_config_static_selectorELNS0_4arch9wavefront6targetE1EEEvT1_
	.globl	_ZN7rocprim17ROCPRIM_400000_NS6detail17trampoline_kernelINS0_14default_configENS1_20scan_config_selectorIfEEZZNS1_9scan_implILNS1_25lookback_scan_determinismE0ELb0ELb0ES3_N6thrust23THRUST_200600_302600_NS6detail15normal_iteratorINS9_10device_ptrIfEEEENS9_16discard_iteratorINS9_11use_defaultEEEfNS9_4plusIvEEfEEDaPvRmT3_T4_T5_mT6_P12ihipStream_tbENKUlT_T0_E_clISt17integral_constantIbLb0EESX_EEDaSS_ST_EUlSS_E0_NS1_11comp_targetILNS1_3genE4ELNS1_11target_archE910ELNS1_3gpuE8ELNS1_3repE0EEENS1_30default_config_static_selectorELNS0_4arch9wavefront6targetE1EEEvT1_
	.p2align	8
	.type	_ZN7rocprim17ROCPRIM_400000_NS6detail17trampoline_kernelINS0_14default_configENS1_20scan_config_selectorIfEEZZNS1_9scan_implILNS1_25lookback_scan_determinismE0ELb0ELb0ES3_N6thrust23THRUST_200600_302600_NS6detail15normal_iteratorINS9_10device_ptrIfEEEENS9_16discard_iteratorINS9_11use_defaultEEEfNS9_4plusIvEEfEEDaPvRmT3_T4_T5_mT6_P12ihipStream_tbENKUlT_T0_E_clISt17integral_constantIbLb0EESX_EEDaSS_ST_EUlSS_E0_NS1_11comp_targetILNS1_3genE4ELNS1_11target_archE910ELNS1_3gpuE8ELNS1_3repE0EEENS1_30default_config_static_selectorELNS0_4arch9wavefront6targetE1EEEvT1_,@function
_ZN7rocprim17ROCPRIM_400000_NS6detail17trampoline_kernelINS0_14default_configENS1_20scan_config_selectorIfEEZZNS1_9scan_implILNS1_25lookback_scan_determinismE0ELb0ELb0ES3_N6thrust23THRUST_200600_302600_NS6detail15normal_iteratorINS9_10device_ptrIfEEEENS9_16discard_iteratorINS9_11use_defaultEEEfNS9_4plusIvEEfEEDaPvRmT3_T4_T5_mT6_P12ihipStream_tbENKUlT_T0_E_clISt17integral_constantIbLb0EESX_EEDaSS_ST_EUlSS_E0_NS1_11comp_targetILNS1_3genE4ELNS1_11target_archE910ELNS1_3gpuE8ELNS1_3repE0EEENS1_30default_config_static_selectorELNS0_4arch9wavefront6targetE1EEEvT1_: ; @_ZN7rocprim17ROCPRIM_400000_NS6detail17trampoline_kernelINS0_14default_configENS1_20scan_config_selectorIfEEZZNS1_9scan_implILNS1_25lookback_scan_determinismE0ELb0ELb0ES3_N6thrust23THRUST_200600_302600_NS6detail15normal_iteratorINS9_10device_ptrIfEEEENS9_16discard_iteratorINS9_11use_defaultEEEfNS9_4plusIvEEfEEDaPvRmT3_T4_T5_mT6_P12ihipStream_tbENKUlT_T0_E_clISt17integral_constantIbLb0EESX_EEDaSS_ST_EUlSS_E0_NS1_11comp_targetILNS1_3genE4ELNS1_11target_archE910ELNS1_3gpuE8ELNS1_3repE0EEENS1_30default_config_static_selectorELNS0_4arch9wavefront6targetE1EEEvT1_
; %bb.0:
	s_load_dwordx4 s[0:3], s[4:5], 0x0
	v_lshlrev_b32_e32 v28, 2, v0
	s_waitcnt lgkmcnt(0)
	s_load_dword s3, s[0:1], 0x0
	v_cmp_gt_u32_e32 vcc, s2, v0
	s_waitcnt lgkmcnt(0)
	v_mov_b32_e32 v1, s3
	s_and_saveexec_b64 s[4:5], vcc
	s_cbranch_execz .LBB5017_2
; %bb.1:
	global_load_dword v1, v28, s[0:1]
.LBB5017_2:
	s_or_b64 exec, exec, s[4:5]
	v_or_b32_e32 v2, 0x80, v0
	v_cmp_gt_u32_e32 vcc, s2, v2
	v_mov_b32_e32 v2, s3
	s_and_saveexec_b64 s[4:5], vcc
	s_cbranch_execz .LBB5017_4
; %bb.3:
	global_load_dword v2, v28, s[0:1] offset:512
.LBB5017_4:
	s_or_b64 exec, exec, s[4:5]
	v_or_b32_e32 v3, 0x100, v0
	v_cmp_gt_u32_e32 vcc, s2, v3
	v_mov_b32_e32 v3, s3
	s_and_saveexec_b64 s[4:5], vcc
	s_cbranch_execz .LBB5017_6
; %bb.5:
	global_load_dword v3, v28, s[0:1] offset:1024
.LBB5017_6:
	s_or_b64 exec, exec, s[4:5]
	v_or_b32_e32 v4, 0x180, v0
	v_cmp_gt_u32_e32 vcc, s2, v4
	v_mov_b32_e32 v4, s3
	s_and_saveexec_b64 s[4:5], vcc
	s_cbranch_execz .LBB5017_8
; %bb.7:
	global_load_dword v4, v28, s[0:1] offset:1536
.LBB5017_8:
	s_or_b64 exec, exec, s[4:5]
	v_or_b32_e32 v5, 0x200, v0
	v_cmp_gt_u32_e32 vcc, s2, v5
	v_mov_b32_e32 v5, s3
	s_and_saveexec_b64 s[4:5], vcc
	s_cbranch_execz .LBB5017_10
; %bb.9:
	global_load_dword v5, v28, s[0:1] offset:2048
.LBB5017_10:
	s_or_b64 exec, exec, s[4:5]
	v_or_b32_e32 v6, 0x280, v0
	v_cmp_gt_u32_e32 vcc, s2, v6
	v_mov_b32_e32 v6, s3
	s_and_saveexec_b64 s[4:5], vcc
	s_cbranch_execz .LBB5017_12
; %bb.11:
	global_load_dword v6, v28, s[0:1] offset:2560
.LBB5017_12:
	s_or_b64 exec, exec, s[4:5]
	v_or_b32_e32 v7, 0x300, v0
	v_cmp_gt_u32_e32 vcc, s2, v7
	v_mov_b32_e32 v7, s3
	s_and_saveexec_b64 s[4:5], vcc
	s_cbranch_execz .LBB5017_14
; %bb.13:
	global_load_dword v7, v28, s[0:1] offset:3072
.LBB5017_14:
	s_or_b64 exec, exec, s[4:5]
	v_or_b32_e32 v8, 0x380, v0
	v_cmp_gt_u32_e32 vcc, s2, v8
	v_mov_b32_e32 v8, s3
	s_and_saveexec_b64 s[4:5], vcc
	s_cbranch_execz .LBB5017_16
; %bb.15:
	global_load_dword v8, v28, s[0:1] offset:3584
.LBB5017_16:
	s_or_b64 exec, exec, s[4:5]
	v_or_b32_e32 v10, 0x400, v0
	v_cmp_gt_u32_e32 vcc, s2, v10
	v_mov_b32_e32 v9, s3
	s_and_saveexec_b64 s[4:5], vcc
	s_cbranch_execz .LBB5017_18
; %bb.17:
	v_lshlrev_b32_e32 v9, 2, v10
	global_load_dword v9, v9, s[0:1]
.LBB5017_18:
	s_or_b64 exec, exec, s[4:5]
	v_or_b32_e32 v11, 0x480, v0
	v_cmp_gt_u32_e32 vcc, s2, v11
	v_mov_b32_e32 v10, s3
	s_and_saveexec_b64 s[4:5], vcc
	s_cbranch_execz .LBB5017_20
; %bb.19:
	v_lshlrev_b32_e32 v10, 2, v11
	global_load_dword v10, v10, s[0:1]
.LBB5017_20:
	;; [unrolled: 10-line block ×6, first 2 shown]
	s_or_b64 exec, exec, s[2:3]
	s_waitcnt vmcnt(0)
	ds_write2st64_b32 v28, v1, v2 offset1:2
	ds_write2st64_b32 v28, v3, v4 offset0:4 offset1:6
	ds_write2st64_b32 v28, v5, v6 offset0:8 offset1:10
	;; [unrolled: 1-line block ×6, first 2 shown]
	v_mad_u32_u24 v1, v0, 52, v28
	s_waitcnt lgkmcnt(0)
	s_barrier
	ds_read2_b64 v[10:13], v1 offset1:1
	ds_read2_b64 v[6:9], v1 offset0:2 offset1:3
	ds_read2_b64 v[2:5], v1 offset0:4 offset1:5
	ds_read_b64 v[26:27], v1 offset:48
	v_lshrrev_b32_e32 v29, 3, v0
	s_waitcnt lgkmcnt(3)
	v_add_f32_e32 v1, v10, v11
	v_add_f32_e32 v22, v1, v12
	v_add_f32_e32 v23, v22, v13
	s_waitcnt lgkmcnt(2)
	v_add_f32_e32 v16, v23, v6
	v_add_f32_e32 v17, v16, v7
	v_add_f32_e32 v20, v17, v8
	v_add_f32_e32 v21, v20, v9
	s_waitcnt lgkmcnt(1)
	v_add_f32_e32 v14, v21, v2
	;; [unrolled: 5-line block ×3, first 2 shown]
	v_and_b32_e32 v29, 12, v29
	v_add_f32_e32 v25, v24, v27
	v_add_u32_e32 v29, v28, v29
	v_cmp_gt_u32_e32 vcc, 64, v0
	s_barrier
	ds_write_b32 v29, v25
	s_waitcnt lgkmcnt(0)
	s_barrier
	s_and_saveexec_b64 s[4:5], vcc
	s_cbranch_execz .LBB5017_30
; %bb.29:
	v_lshlrev_b32_e32 v29, 1, v0
	v_lshrrev_b32_e32 v30, 4, v0
	v_add_lshl_u32 v29, v30, v29, 2
	ds_read2_b32 v[30:31], v29 offset1:1
	v_mbcnt_lo_u32_b32 v32, -1, 0
	v_mbcnt_hi_u32_b32 v32, -1, v32
	v_and_b32_e32 v33, 15, v32
	v_cmp_eq_u32_e32 vcc, 0, v33
	s_waitcnt lgkmcnt(0)
	v_add_f32_e32 v31, v30, v31
	v_cmp_lt_u32_e64 s[0:1], 3, v33
	v_cmp_lt_u32_e64 s[2:3], 31, v32
	v_mov_b32_dpp v34, v31 row_shr:1 row_mask:0xf bank_mask:0xf
	v_add_f32_e32 v34, v31, v34
	v_cndmask_b32_e32 v31, v34, v31, vcc
	v_cmp_lt_u32_e32 vcc, 1, v33
	s_nop 0
	v_mov_b32_dpp v34, v31 row_shr:2 row_mask:0xf bank_mask:0xf
	v_add_f32_e32 v34, v31, v34
	v_cndmask_b32_e32 v34, v31, v34, vcc
	; wave barrier
	s_nop 1
	v_mov_b32_dpp v35, v34 row_shr:4 row_mask:0xf bank_mask:0xf
	v_add_f32_e32 v35, v34, v35
	v_cndmask_b32_e64 v34, v34, v35, s[0:1]
	v_cmp_lt_u32_e64 s[0:1], 7, v33
	s_nop 0
	v_mov_b32_dpp v35, v34 row_shr:8 row_mask:0xf bank_mask:0xf
	v_add_f32_e32 v35, v34, v35
	v_cndmask_b32_e64 v33, v34, v35, s[0:1]
	v_and_b32_e32 v35, 16, v32
	v_cmp_eq_u32_e64 s[0:1], 0, v35
	v_mov_b32_dpp v34, v33 row_bcast:15 row_mask:0xf bank_mask:0xf
	v_add_f32_e32 v34, v33, v34
	v_cndmask_b32_e64 v33, v34, v33, s[0:1]
	v_cmp_lt_u32_e64 s[0:1], 15, v32
	s_or_b64 vcc, s[0:1], vcc
	v_mov_b32_dpp v34, v33 row_bcast:31 row_mask:0xf bank_mask:0xf
	v_add_f32_e32 v34, v33, v34
	v_cndmask_b32_e64 v33, v33, v34, s[2:3]
	v_cndmask_b32_e32 v31, v31, v33, vcc
	v_add_u32_e32 v33, -1, v32
	v_and_b32_e32 v34, 64, v32
	v_cmp_lt_i32_e32 vcc, v33, v34
	v_cndmask_b32_e32 v32, v33, v32, vcc
	v_lshlrev_b32_e32 v32, 2, v32
	ds_bpermute_b32 v31, v32, v31
	v_cmp_eq_u32_e32 vcc, 0, v0
	s_waitcnt lgkmcnt(0)
	v_add_f32_e32 v30, v30, v31
	v_cndmask_b32_e32 v30, v30, v25, vcc
	ds_write_b32 v29, v30
	; wave barrier
	ds_read_b32 v31, v29 offset:4
	s_waitcnt lgkmcnt(0)
	v_add_f32_e32 v30, v30, v31
	ds_write_b32 v29, v30 offset:4
.LBB5017_30:
	s_or_b64 exec, exec, s[4:5]
	v_cmp_ne_u32_e32 vcc, 0, v0
	v_mov_b32_e32 v30, v25
	s_waitcnt lgkmcnt(0)
	s_barrier
	s_and_saveexec_b64 s[0:1], vcc
	s_cbranch_execz .LBB5017_32
; %bb.31:
	v_add_u32_e32 v29, -1, v0
	v_lshrrev_b32_e32 v30, 5, v29
	v_add_lshl_u32 v29, v30, v29, 2
	ds_read_b32 v30, v29
.LBB5017_32:
	s_or_b64 exec, exec, s[0:1]
	v_mul_u32_u24_e32 v29, 52, v0
	v_mov_b32_e32 v0, v10
	s_and_saveexec_b64 s[0:1], vcc
	s_cbranch_execz .LBB5017_34
; %bb.33:
	s_waitcnt lgkmcnt(0)
	v_add_f32_e32 v0, v10, v30
	v_add_f32_e32 v1, v11, v0
	;; [unrolled: 1-line block ×14, first 2 shown]
	;;#ASMSTART
	;;#ASMEND
.LBB5017_34:
	s_or_b64 exec, exec, s[0:1]
	v_add_u32_e32 v2, v28, v29
	s_waitcnt lgkmcnt(0)
	s_barrier
	ds_write2_b64 v2, v[0:1], v[22:23] offset1:1
	ds_write2_b64 v2, v[16:17], v[20:21] offset0:2 offset1:3
	ds_write2_b64 v2, v[14:15], v[18:19] offset0:4 offset1:5
	ds_write_b64 v2, v[24:25] offset:48
	s_waitcnt lgkmcnt(0)
	s_barrier
	s_endpgm
	.section	.rodata,"a",@progbits
	.p2align	6, 0x0
	.amdhsa_kernel _ZN7rocprim17ROCPRIM_400000_NS6detail17trampoline_kernelINS0_14default_configENS1_20scan_config_selectorIfEEZZNS1_9scan_implILNS1_25lookback_scan_determinismE0ELb0ELb0ES3_N6thrust23THRUST_200600_302600_NS6detail15normal_iteratorINS9_10device_ptrIfEEEENS9_16discard_iteratorINS9_11use_defaultEEEfNS9_4plusIvEEfEEDaPvRmT3_T4_T5_mT6_P12ihipStream_tbENKUlT_T0_E_clISt17integral_constantIbLb0EESX_EEDaSS_ST_EUlSS_E0_NS1_11comp_targetILNS1_3genE4ELNS1_11target_archE910ELNS1_3gpuE8ELNS1_3repE0EEENS1_30default_config_static_selectorELNS0_4arch9wavefront6targetE1EEEvT1_
		.amdhsa_group_segment_fixed_size 7168
		.amdhsa_private_segment_fixed_size 0
		.amdhsa_kernarg_size 40
		.amdhsa_user_sgpr_count 6
		.amdhsa_user_sgpr_private_segment_buffer 1
		.amdhsa_user_sgpr_dispatch_ptr 0
		.amdhsa_user_sgpr_queue_ptr 0
		.amdhsa_user_sgpr_kernarg_segment_ptr 1
		.amdhsa_user_sgpr_dispatch_id 0
		.amdhsa_user_sgpr_flat_scratch_init 0
		.amdhsa_user_sgpr_kernarg_preload_length 0
		.amdhsa_user_sgpr_kernarg_preload_offset 0
		.amdhsa_user_sgpr_private_segment_size 0
		.amdhsa_uses_dynamic_stack 0
		.amdhsa_system_sgpr_private_segment_wavefront_offset 0
		.amdhsa_system_sgpr_workgroup_id_x 1
		.amdhsa_system_sgpr_workgroup_id_y 0
		.amdhsa_system_sgpr_workgroup_id_z 0
		.amdhsa_system_sgpr_workgroup_info 0
		.amdhsa_system_vgpr_workitem_id 0
		.amdhsa_next_free_vgpr 36
		.amdhsa_next_free_sgpr 6
		.amdhsa_accum_offset 36
		.amdhsa_reserve_vcc 1
		.amdhsa_reserve_flat_scratch 0
		.amdhsa_float_round_mode_32 0
		.amdhsa_float_round_mode_16_64 0
		.amdhsa_float_denorm_mode_32 3
		.amdhsa_float_denorm_mode_16_64 3
		.amdhsa_dx10_clamp 1
		.amdhsa_ieee_mode 1
		.amdhsa_fp16_overflow 0
		.amdhsa_tg_split 0
		.amdhsa_exception_fp_ieee_invalid_op 0
		.amdhsa_exception_fp_denorm_src 0
		.amdhsa_exception_fp_ieee_div_zero 0
		.amdhsa_exception_fp_ieee_overflow 0
		.amdhsa_exception_fp_ieee_underflow 0
		.amdhsa_exception_fp_ieee_inexact 0
		.amdhsa_exception_int_div_zero 0
	.end_amdhsa_kernel
	.section	.text._ZN7rocprim17ROCPRIM_400000_NS6detail17trampoline_kernelINS0_14default_configENS1_20scan_config_selectorIfEEZZNS1_9scan_implILNS1_25lookback_scan_determinismE0ELb0ELb0ES3_N6thrust23THRUST_200600_302600_NS6detail15normal_iteratorINS9_10device_ptrIfEEEENS9_16discard_iteratorINS9_11use_defaultEEEfNS9_4plusIvEEfEEDaPvRmT3_T4_T5_mT6_P12ihipStream_tbENKUlT_T0_E_clISt17integral_constantIbLb0EESX_EEDaSS_ST_EUlSS_E0_NS1_11comp_targetILNS1_3genE4ELNS1_11target_archE910ELNS1_3gpuE8ELNS1_3repE0EEENS1_30default_config_static_selectorELNS0_4arch9wavefront6targetE1EEEvT1_,"axG",@progbits,_ZN7rocprim17ROCPRIM_400000_NS6detail17trampoline_kernelINS0_14default_configENS1_20scan_config_selectorIfEEZZNS1_9scan_implILNS1_25lookback_scan_determinismE0ELb0ELb0ES3_N6thrust23THRUST_200600_302600_NS6detail15normal_iteratorINS9_10device_ptrIfEEEENS9_16discard_iteratorINS9_11use_defaultEEEfNS9_4plusIvEEfEEDaPvRmT3_T4_T5_mT6_P12ihipStream_tbENKUlT_T0_E_clISt17integral_constantIbLb0EESX_EEDaSS_ST_EUlSS_E0_NS1_11comp_targetILNS1_3genE4ELNS1_11target_archE910ELNS1_3gpuE8ELNS1_3repE0EEENS1_30default_config_static_selectorELNS0_4arch9wavefront6targetE1EEEvT1_,comdat
.Lfunc_end5017:
	.size	_ZN7rocprim17ROCPRIM_400000_NS6detail17trampoline_kernelINS0_14default_configENS1_20scan_config_selectorIfEEZZNS1_9scan_implILNS1_25lookback_scan_determinismE0ELb0ELb0ES3_N6thrust23THRUST_200600_302600_NS6detail15normal_iteratorINS9_10device_ptrIfEEEENS9_16discard_iteratorINS9_11use_defaultEEEfNS9_4plusIvEEfEEDaPvRmT3_T4_T5_mT6_P12ihipStream_tbENKUlT_T0_E_clISt17integral_constantIbLb0EESX_EEDaSS_ST_EUlSS_E0_NS1_11comp_targetILNS1_3genE4ELNS1_11target_archE910ELNS1_3gpuE8ELNS1_3repE0EEENS1_30default_config_static_selectorELNS0_4arch9wavefront6targetE1EEEvT1_, .Lfunc_end5017-_ZN7rocprim17ROCPRIM_400000_NS6detail17trampoline_kernelINS0_14default_configENS1_20scan_config_selectorIfEEZZNS1_9scan_implILNS1_25lookback_scan_determinismE0ELb0ELb0ES3_N6thrust23THRUST_200600_302600_NS6detail15normal_iteratorINS9_10device_ptrIfEEEENS9_16discard_iteratorINS9_11use_defaultEEEfNS9_4plusIvEEfEEDaPvRmT3_T4_T5_mT6_P12ihipStream_tbENKUlT_T0_E_clISt17integral_constantIbLb0EESX_EEDaSS_ST_EUlSS_E0_NS1_11comp_targetILNS1_3genE4ELNS1_11target_archE910ELNS1_3gpuE8ELNS1_3repE0EEENS1_30default_config_static_selectorELNS0_4arch9wavefront6targetE1EEEvT1_
                                        ; -- End function
	.section	.AMDGPU.csdata,"",@progbits
; Kernel info:
; codeLenInByte = 1272
; NumSgprs: 10
; NumVgprs: 36
; NumAgprs: 0
; TotalNumVgprs: 36
; ScratchSize: 0
; MemoryBound: 0
; FloatMode: 240
; IeeeMode: 1
; LDSByteSize: 7168 bytes/workgroup (compile time only)
; SGPRBlocks: 1
; VGPRBlocks: 4
; NumSGPRsForWavesPerEU: 10
; NumVGPRsForWavesPerEU: 36
; AccumOffset: 36
; Occupancy: 5
; WaveLimiterHint : 0
; COMPUTE_PGM_RSRC2:SCRATCH_EN: 0
; COMPUTE_PGM_RSRC2:USER_SGPR: 6
; COMPUTE_PGM_RSRC2:TRAP_HANDLER: 0
; COMPUTE_PGM_RSRC2:TGID_X_EN: 1
; COMPUTE_PGM_RSRC2:TGID_Y_EN: 0
; COMPUTE_PGM_RSRC2:TGID_Z_EN: 0
; COMPUTE_PGM_RSRC2:TIDIG_COMP_CNT: 0
; COMPUTE_PGM_RSRC3_GFX90A:ACCUM_OFFSET: 8
; COMPUTE_PGM_RSRC3_GFX90A:TG_SPLIT: 0
	.section	.text._ZN7rocprim17ROCPRIM_400000_NS6detail17trampoline_kernelINS0_14default_configENS1_20scan_config_selectorIfEEZZNS1_9scan_implILNS1_25lookback_scan_determinismE0ELb0ELb0ES3_N6thrust23THRUST_200600_302600_NS6detail15normal_iteratorINS9_10device_ptrIfEEEENS9_16discard_iteratorINS9_11use_defaultEEEfNS9_4plusIvEEfEEDaPvRmT3_T4_T5_mT6_P12ihipStream_tbENKUlT_T0_E_clISt17integral_constantIbLb0EESX_EEDaSS_ST_EUlSS_E0_NS1_11comp_targetILNS1_3genE3ELNS1_11target_archE908ELNS1_3gpuE7ELNS1_3repE0EEENS1_30default_config_static_selectorELNS0_4arch9wavefront6targetE1EEEvT1_,"axG",@progbits,_ZN7rocprim17ROCPRIM_400000_NS6detail17trampoline_kernelINS0_14default_configENS1_20scan_config_selectorIfEEZZNS1_9scan_implILNS1_25lookback_scan_determinismE0ELb0ELb0ES3_N6thrust23THRUST_200600_302600_NS6detail15normal_iteratorINS9_10device_ptrIfEEEENS9_16discard_iteratorINS9_11use_defaultEEEfNS9_4plusIvEEfEEDaPvRmT3_T4_T5_mT6_P12ihipStream_tbENKUlT_T0_E_clISt17integral_constantIbLb0EESX_EEDaSS_ST_EUlSS_E0_NS1_11comp_targetILNS1_3genE3ELNS1_11target_archE908ELNS1_3gpuE7ELNS1_3repE0EEENS1_30default_config_static_selectorELNS0_4arch9wavefront6targetE1EEEvT1_,comdat
	.protected	_ZN7rocprim17ROCPRIM_400000_NS6detail17trampoline_kernelINS0_14default_configENS1_20scan_config_selectorIfEEZZNS1_9scan_implILNS1_25lookback_scan_determinismE0ELb0ELb0ES3_N6thrust23THRUST_200600_302600_NS6detail15normal_iteratorINS9_10device_ptrIfEEEENS9_16discard_iteratorINS9_11use_defaultEEEfNS9_4plusIvEEfEEDaPvRmT3_T4_T5_mT6_P12ihipStream_tbENKUlT_T0_E_clISt17integral_constantIbLb0EESX_EEDaSS_ST_EUlSS_E0_NS1_11comp_targetILNS1_3genE3ELNS1_11target_archE908ELNS1_3gpuE7ELNS1_3repE0EEENS1_30default_config_static_selectorELNS0_4arch9wavefront6targetE1EEEvT1_ ; -- Begin function _ZN7rocprim17ROCPRIM_400000_NS6detail17trampoline_kernelINS0_14default_configENS1_20scan_config_selectorIfEEZZNS1_9scan_implILNS1_25lookback_scan_determinismE0ELb0ELb0ES3_N6thrust23THRUST_200600_302600_NS6detail15normal_iteratorINS9_10device_ptrIfEEEENS9_16discard_iteratorINS9_11use_defaultEEEfNS9_4plusIvEEfEEDaPvRmT3_T4_T5_mT6_P12ihipStream_tbENKUlT_T0_E_clISt17integral_constantIbLb0EESX_EEDaSS_ST_EUlSS_E0_NS1_11comp_targetILNS1_3genE3ELNS1_11target_archE908ELNS1_3gpuE7ELNS1_3repE0EEENS1_30default_config_static_selectorELNS0_4arch9wavefront6targetE1EEEvT1_
	.globl	_ZN7rocprim17ROCPRIM_400000_NS6detail17trampoline_kernelINS0_14default_configENS1_20scan_config_selectorIfEEZZNS1_9scan_implILNS1_25lookback_scan_determinismE0ELb0ELb0ES3_N6thrust23THRUST_200600_302600_NS6detail15normal_iteratorINS9_10device_ptrIfEEEENS9_16discard_iteratorINS9_11use_defaultEEEfNS9_4plusIvEEfEEDaPvRmT3_T4_T5_mT6_P12ihipStream_tbENKUlT_T0_E_clISt17integral_constantIbLb0EESX_EEDaSS_ST_EUlSS_E0_NS1_11comp_targetILNS1_3genE3ELNS1_11target_archE908ELNS1_3gpuE7ELNS1_3repE0EEENS1_30default_config_static_selectorELNS0_4arch9wavefront6targetE1EEEvT1_
	.p2align	8
	.type	_ZN7rocprim17ROCPRIM_400000_NS6detail17trampoline_kernelINS0_14default_configENS1_20scan_config_selectorIfEEZZNS1_9scan_implILNS1_25lookback_scan_determinismE0ELb0ELb0ES3_N6thrust23THRUST_200600_302600_NS6detail15normal_iteratorINS9_10device_ptrIfEEEENS9_16discard_iteratorINS9_11use_defaultEEEfNS9_4plusIvEEfEEDaPvRmT3_T4_T5_mT6_P12ihipStream_tbENKUlT_T0_E_clISt17integral_constantIbLb0EESX_EEDaSS_ST_EUlSS_E0_NS1_11comp_targetILNS1_3genE3ELNS1_11target_archE908ELNS1_3gpuE7ELNS1_3repE0EEENS1_30default_config_static_selectorELNS0_4arch9wavefront6targetE1EEEvT1_,@function
_ZN7rocprim17ROCPRIM_400000_NS6detail17trampoline_kernelINS0_14default_configENS1_20scan_config_selectorIfEEZZNS1_9scan_implILNS1_25lookback_scan_determinismE0ELb0ELb0ES3_N6thrust23THRUST_200600_302600_NS6detail15normal_iteratorINS9_10device_ptrIfEEEENS9_16discard_iteratorINS9_11use_defaultEEEfNS9_4plusIvEEfEEDaPvRmT3_T4_T5_mT6_P12ihipStream_tbENKUlT_T0_E_clISt17integral_constantIbLb0EESX_EEDaSS_ST_EUlSS_E0_NS1_11comp_targetILNS1_3genE3ELNS1_11target_archE908ELNS1_3gpuE7ELNS1_3repE0EEENS1_30default_config_static_selectorELNS0_4arch9wavefront6targetE1EEEvT1_: ; @_ZN7rocprim17ROCPRIM_400000_NS6detail17trampoline_kernelINS0_14default_configENS1_20scan_config_selectorIfEEZZNS1_9scan_implILNS1_25lookback_scan_determinismE0ELb0ELb0ES3_N6thrust23THRUST_200600_302600_NS6detail15normal_iteratorINS9_10device_ptrIfEEEENS9_16discard_iteratorINS9_11use_defaultEEEfNS9_4plusIvEEfEEDaPvRmT3_T4_T5_mT6_P12ihipStream_tbENKUlT_T0_E_clISt17integral_constantIbLb0EESX_EEDaSS_ST_EUlSS_E0_NS1_11comp_targetILNS1_3genE3ELNS1_11target_archE908ELNS1_3gpuE7ELNS1_3repE0EEENS1_30default_config_static_selectorELNS0_4arch9wavefront6targetE1EEEvT1_
; %bb.0:
	.section	.rodata,"a",@progbits
	.p2align	6, 0x0
	.amdhsa_kernel _ZN7rocprim17ROCPRIM_400000_NS6detail17trampoline_kernelINS0_14default_configENS1_20scan_config_selectorIfEEZZNS1_9scan_implILNS1_25lookback_scan_determinismE0ELb0ELb0ES3_N6thrust23THRUST_200600_302600_NS6detail15normal_iteratorINS9_10device_ptrIfEEEENS9_16discard_iteratorINS9_11use_defaultEEEfNS9_4plusIvEEfEEDaPvRmT3_T4_T5_mT6_P12ihipStream_tbENKUlT_T0_E_clISt17integral_constantIbLb0EESX_EEDaSS_ST_EUlSS_E0_NS1_11comp_targetILNS1_3genE3ELNS1_11target_archE908ELNS1_3gpuE7ELNS1_3repE0EEENS1_30default_config_static_selectorELNS0_4arch9wavefront6targetE1EEEvT1_
		.amdhsa_group_segment_fixed_size 0
		.amdhsa_private_segment_fixed_size 0
		.amdhsa_kernarg_size 40
		.amdhsa_user_sgpr_count 6
		.amdhsa_user_sgpr_private_segment_buffer 1
		.amdhsa_user_sgpr_dispatch_ptr 0
		.amdhsa_user_sgpr_queue_ptr 0
		.amdhsa_user_sgpr_kernarg_segment_ptr 1
		.amdhsa_user_sgpr_dispatch_id 0
		.amdhsa_user_sgpr_flat_scratch_init 0
		.amdhsa_user_sgpr_kernarg_preload_length 0
		.amdhsa_user_sgpr_kernarg_preload_offset 0
		.amdhsa_user_sgpr_private_segment_size 0
		.amdhsa_uses_dynamic_stack 0
		.amdhsa_system_sgpr_private_segment_wavefront_offset 0
		.amdhsa_system_sgpr_workgroup_id_x 1
		.amdhsa_system_sgpr_workgroup_id_y 0
		.amdhsa_system_sgpr_workgroup_id_z 0
		.amdhsa_system_sgpr_workgroup_info 0
		.amdhsa_system_vgpr_workitem_id 0
		.amdhsa_next_free_vgpr 1
		.amdhsa_next_free_sgpr 0
		.amdhsa_accum_offset 4
		.amdhsa_reserve_vcc 0
		.amdhsa_reserve_flat_scratch 0
		.amdhsa_float_round_mode_32 0
		.amdhsa_float_round_mode_16_64 0
		.amdhsa_float_denorm_mode_32 3
		.amdhsa_float_denorm_mode_16_64 3
		.amdhsa_dx10_clamp 1
		.amdhsa_ieee_mode 1
		.amdhsa_fp16_overflow 0
		.amdhsa_tg_split 0
		.amdhsa_exception_fp_ieee_invalid_op 0
		.amdhsa_exception_fp_denorm_src 0
		.amdhsa_exception_fp_ieee_div_zero 0
		.amdhsa_exception_fp_ieee_overflow 0
		.amdhsa_exception_fp_ieee_underflow 0
		.amdhsa_exception_fp_ieee_inexact 0
		.amdhsa_exception_int_div_zero 0
	.end_amdhsa_kernel
	.section	.text._ZN7rocprim17ROCPRIM_400000_NS6detail17trampoline_kernelINS0_14default_configENS1_20scan_config_selectorIfEEZZNS1_9scan_implILNS1_25lookback_scan_determinismE0ELb0ELb0ES3_N6thrust23THRUST_200600_302600_NS6detail15normal_iteratorINS9_10device_ptrIfEEEENS9_16discard_iteratorINS9_11use_defaultEEEfNS9_4plusIvEEfEEDaPvRmT3_T4_T5_mT6_P12ihipStream_tbENKUlT_T0_E_clISt17integral_constantIbLb0EESX_EEDaSS_ST_EUlSS_E0_NS1_11comp_targetILNS1_3genE3ELNS1_11target_archE908ELNS1_3gpuE7ELNS1_3repE0EEENS1_30default_config_static_selectorELNS0_4arch9wavefront6targetE1EEEvT1_,"axG",@progbits,_ZN7rocprim17ROCPRIM_400000_NS6detail17trampoline_kernelINS0_14default_configENS1_20scan_config_selectorIfEEZZNS1_9scan_implILNS1_25lookback_scan_determinismE0ELb0ELb0ES3_N6thrust23THRUST_200600_302600_NS6detail15normal_iteratorINS9_10device_ptrIfEEEENS9_16discard_iteratorINS9_11use_defaultEEEfNS9_4plusIvEEfEEDaPvRmT3_T4_T5_mT6_P12ihipStream_tbENKUlT_T0_E_clISt17integral_constantIbLb0EESX_EEDaSS_ST_EUlSS_E0_NS1_11comp_targetILNS1_3genE3ELNS1_11target_archE908ELNS1_3gpuE7ELNS1_3repE0EEENS1_30default_config_static_selectorELNS0_4arch9wavefront6targetE1EEEvT1_,comdat
.Lfunc_end5018:
	.size	_ZN7rocprim17ROCPRIM_400000_NS6detail17trampoline_kernelINS0_14default_configENS1_20scan_config_selectorIfEEZZNS1_9scan_implILNS1_25lookback_scan_determinismE0ELb0ELb0ES3_N6thrust23THRUST_200600_302600_NS6detail15normal_iteratorINS9_10device_ptrIfEEEENS9_16discard_iteratorINS9_11use_defaultEEEfNS9_4plusIvEEfEEDaPvRmT3_T4_T5_mT6_P12ihipStream_tbENKUlT_T0_E_clISt17integral_constantIbLb0EESX_EEDaSS_ST_EUlSS_E0_NS1_11comp_targetILNS1_3genE3ELNS1_11target_archE908ELNS1_3gpuE7ELNS1_3repE0EEENS1_30default_config_static_selectorELNS0_4arch9wavefront6targetE1EEEvT1_, .Lfunc_end5018-_ZN7rocprim17ROCPRIM_400000_NS6detail17trampoline_kernelINS0_14default_configENS1_20scan_config_selectorIfEEZZNS1_9scan_implILNS1_25lookback_scan_determinismE0ELb0ELb0ES3_N6thrust23THRUST_200600_302600_NS6detail15normal_iteratorINS9_10device_ptrIfEEEENS9_16discard_iteratorINS9_11use_defaultEEEfNS9_4plusIvEEfEEDaPvRmT3_T4_T5_mT6_P12ihipStream_tbENKUlT_T0_E_clISt17integral_constantIbLb0EESX_EEDaSS_ST_EUlSS_E0_NS1_11comp_targetILNS1_3genE3ELNS1_11target_archE908ELNS1_3gpuE7ELNS1_3repE0EEENS1_30default_config_static_selectorELNS0_4arch9wavefront6targetE1EEEvT1_
                                        ; -- End function
	.section	.AMDGPU.csdata,"",@progbits
; Kernel info:
; codeLenInByte = 0
; NumSgprs: 4
; NumVgprs: 0
; NumAgprs: 0
; TotalNumVgprs: 0
; ScratchSize: 0
; MemoryBound: 0
; FloatMode: 240
; IeeeMode: 1
; LDSByteSize: 0 bytes/workgroup (compile time only)
; SGPRBlocks: 0
; VGPRBlocks: 0
; NumSGPRsForWavesPerEU: 4
; NumVGPRsForWavesPerEU: 1
; AccumOffset: 4
; Occupancy: 8
; WaveLimiterHint : 0
; COMPUTE_PGM_RSRC2:SCRATCH_EN: 0
; COMPUTE_PGM_RSRC2:USER_SGPR: 6
; COMPUTE_PGM_RSRC2:TRAP_HANDLER: 0
; COMPUTE_PGM_RSRC2:TGID_X_EN: 1
; COMPUTE_PGM_RSRC2:TGID_Y_EN: 0
; COMPUTE_PGM_RSRC2:TGID_Z_EN: 0
; COMPUTE_PGM_RSRC2:TIDIG_COMP_CNT: 0
; COMPUTE_PGM_RSRC3_GFX90A:ACCUM_OFFSET: 0
; COMPUTE_PGM_RSRC3_GFX90A:TG_SPLIT: 0
	.section	.text._ZN7rocprim17ROCPRIM_400000_NS6detail17trampoline_kernelINS0_14default_configENS1_20scan_config_selectorIfEEZZNS1_9scan_implILNS1_25lookback_scan_determinismE0ELb0ELb0ES3_N6thrust23THRUST_200600_302600_NS6detail15normal_iteratorINS9_10device_ptrIfEEEENS9_16discard_iteratorINS9_11use_defaultEEEfNS9_4plusIvEEfEEDaPvRmT3_T4_T5_mT6_P12ihipStream_tbENKUlT_T0_E_clISt17integral_constantIbLb0EESX_EEDaSS_ST_EUlSS_E0_NS1_11comp_targetILNS1_3genE2ELNS1_11target_archE906ELNS1_3gpuE6ELNS1_3repE0EEENS1_30default_config_static_selectorELNS0_4arch9wavefront6targetE1EEEvT1_,"axG",@progbits,_ZN7rocprim17ROCPRIM_400000_NS6detail17trampoline_kernelINS0_14default_configENS1_20scan_config_selectorIfEEZZNS1_9scan_implILNS1_25lookback_scan_determinismE0ELb0ELb0ES3_N6thrust23THRUST_200600_302600_NS6detail15normal_iteratorINS9_10device_ptrIfEEEENS9_16discard_iteratorINS9_11use_defaultEEEfNS9_4plusIvEEfEEDaPvRmT3_T4_T5_mT6_P12ihipStream_tbENKUlT_T0_E_clISt17integral_constantIbLb0EESX_EEDaSS_ST_EUlSS_E0_NS1_11comp_targetILNS1_3genE2ELNS1_11target_archE906ELNS1_3gpuE6ELNS1_3repE0EEENS1_30default_config_static_selectorELNS0_4arch9wavefront6targetE1EEEvT1_,comdat
	.protected	_ZN7rocprim17ROCPRIM_400000_NS6detail17trampoline_kernelINS0_14default_configENS1_20scan_config_selectorIfEEZZNS1_9scan_implILNS1_25lookback_scan_determinismE0ELb0ELb0ES3_N6thrust23THRUST_200600_302600_NS6detail15normal_iteratorINS9_10device_ptrIfEEEENS9_16discard_iteratorINS9_11use_defaultEEEfNS9_4plusIvEEfEEDaPvRmT3_T4_T5_mT6_P12ihipStream_tbENKUlT_T0_E_clISt17integral_constantIbLb0EESX_EEDaSS_ST_EUlSS_E0_NS1_11comp_targetILNS1_3genE2ELNS1_11target_archE906ELNS1_3gpuE6ELNS1_3repE0EEENS1_30default_config_static_selectorELNS0_4arch9wavefront6targetE1EEEvT1_ ; -- Begin function _ZN7rocprim17ROCPRIM_400000_NS6detail17trampoline_kernelINS0_14default_configENS1_20scan_config_selectorIfEEZZNS1_9scan_implILNS1_25lookback_scan_determinismE0ELb0ELb0ES3_N6thrust23THRUST_200600_302600_NS6detail15normal_iteratorINS9_10device_ptrIfEEEENS9_16discard_iteratorINS9_11use_defaultEEEfNS9_4plusIvEEfEEDaPvRmT3_T4_T5_mT6_P12ihipStream_tbENKUlT_T0_E_clISt17integral_constantIbLb0EESX_EEDaSS_ST_EUlSS_E0_NS1_11comp_targetILNS1_3genE2ELNS1_11target_archE906ELNS1_3gpuE6ELNS1_3repE0EEENS1_30default_config_static_selectorELNS0_4arch9wavefront6targetE1EEEvT1_
	.globl	_ZN7rocprim17ROCPRIM_400000_NS6detail17trampoline_kernelINS0_14default_configENS1_20scan_config_selectorIfEEZZNS1_9scan_implILNS1_25lookback_scan_determinismE0ELb0ELb0ES3_N6thrust23THRUST_200600_302600_NS6detail15normal_iteratorINS9_10device_ptrIfEEEENS9_16discard_iteratorINS9_11use_defaultEEEfNS9_4plusIvEEfEEDaPvRmT3_T4_T5_mT6_P12ihipStream_tbENKUlT_T0_E_clISt17integral_constantIbLb0EESX_EEDaSS_ST_EUlSS_E0_NS1_11comp_targetILNS1_3genE2ELNS1_11target_archE906ELNS1_3gpuE6ELNS1_3repE0EEENS1_30default_config_static_selectorELNS0_4arch9wavefront6targetE1EEEvT1_
	.p2align	8
	.type	_ZN7rocprim17ROCPRIM_400000_NS6detail17trampoline_kernelINS0_14default_configENS1_20scan_config_selectorIfEEZZNS1_9scan_implILNS1_25lookback_scan_determinismE0ELb0ELb0ES3_N6thrust23THRUST_200600_302600_NS6detail15normal_iteratorINS9_10device_ptrIfEEEENS9_16discard_iteratorINS9_11use_defaultEEEfNS9_4plusIvEEfEEDaPvRmT3_T4_T5_mT6_P12ihipStream_tbENKUlT_T0_E_clISt17integral_constantIbLb0EESX_EEDaSS_ST_EUlSS_E0_NS1_11comp_targetILNS1_3genE2ELNS1_11target_archE906ELNS1_3gpuE6ELNS1_3repE0EEENS1_30default_config_static_selectorELNS0_4arch9wavefront6targetE1EEEvT1_,@function
_ZN7rocprim17ROCPRIM_400000_NS6detail17trampoline_kernelINS0_14default_configENS1_20scan_config_selectorIfEEZZNS1_9scan_implILNS1_25lookback_scan_determinismE0ELb0ELb0ES3_N6thrust23THRUST_200600_302600_NS6detail15normal_iteratorINS9_10device_ptrIfEEEENS9_16discard_iteratorINS9_11use_defaultEEEfNS9_4plusIvEEfEEDaPvRmT3_T4_T5_mT6_P12ihipStream_tbENKUlT_T0_E_clISt17integral_constantIbLb0EESX_EEDaSS_ST_EUlSS_E0_NS1_11comp_targetILNS1_3genE2ELNS1_11target_archE906ELNS1_3gpuE6ELNS1_3repE0EEENS1_30default_config_static_selectorELNS0_4arch9wavefront6targetE1EEEvT1_: ; @_ZN7rocprim17ROCPRIM_400000_NS6detail17trampoline_kernelINS0_14default_configENS1_20scan_config_selectorIfEEZZNS1_9scan_implILNS1_25lookback_scan_determinismE0ELb0ELb0ES3_N6thrust23THRUST_200600_302600_NS6detail15normal_iteratorINS9_10device_ptrIfEEEENS9_16discard_iteratorINS9_11use_defaultEEEfNS9_4plusIvEEfEEDaPvRmT3_T4_T5_mT6_P12ihipStream_tbENKUlT_T0_E_clISt17integral_constantIbLb0EESX_EEDaSS_ST_EUlSS_E0_NS1_11comp_targetILNS1_3genE2ELNS1_11target_archE906ELNS1_3gpuE6ELNS1_3repE0EEENS1_30default_config_static_selectorELNS0_4arch9wavefront6targetE1EEEvT1_
; %bb.0:
	.section	.rodata,"a",@progbits
	.p2align	6, 0x0
	.amdhsa_kernel _ZN7rocprim17ROCPRIM_400000_NS6detail17trampoline_kernelINS0_14default_configENS1_20scan_config_selectorIfEEZZNS1_9scan_implILNS1_25lookback_scan_determinismE0ELb0ELb0ES3_N6thrust23THRUST_200600_302600_NS6detail15normal_iteratorINS9_10device_ptrIfEEEENS9_16discard_iteratorINS9_11use_defaultEEEfNS9_4plusIvEEfEEDaPvRmT3_T4_T5_mT6_P12ihipStream_tbENKUlT_T0_E_clISt17integral_constantIbLb0EESX_EEDaSS_ST_EUlSS_E0_NS1_11comp_targetILNS1_3genE2ELNS1_11target_archE906ELNS1_3gpuE6ELNS1_3repE0EEENS1_30default_config_static_selectorELNS0_4arch9wavefront6targetE1EEEvT1_
		.amdhsa_group_segment_fixed_size 0
		.amdhsa_private_segment_fixed_size 0
		.amdhsa_kernarg_size 40
		.amdhsa_user_sgpr_count 6
		.amdhsa_user_sgpr_private_segment_buffer 1
		.amdhsa_user_sgpr_dispatch_ptr 0
		.amdhsa_user_sgpr_queue_ptr 0
		.amdhsa_user_sgpr_kernarg_segment_ptr 1
		.amdhsa_user_sgpr_dispatch_id 0
		.amdhsa_user_sgpr_flat_scratch_init 0
		.amdhsa_user_sgpr_kernarg_preload_length 0
		.amdhsa_user_sgpr_kernarg_preload_offset 0
		.amdhsa_user_sgpr_private_segment_size 0
		.amdhsa_uses_dynamic_stack 0
		.amdhsa_system_sgpr_private_segment_wavefront_offset 0
		.amdhsa_system_sgpr_workgroup_id_x 1
		.amdhsa_system_sgpr_workgroup_id_y 0
		.amdhsa_system_sgpr_workgroup_id_z 0
		.amdhsa_system_sgpr_workgroup_info 0
		.amdhsa_system_vgpr_workitem_id 0
		.amdhsa_next_free_vgpr 1
		.amdhsa_next_free_sgpr 0
		.amdhsa_accum_offset 4
		.amdhsa_reserve_vcc 0
		.amdhsa_reserve_flat_scratch 0
		.amdhsa_float_round_mode_32 0
		.amdhsa_float_round_mode_16_64 0
		.amdhsa_float_denorm_mode_32 3
		.amdhsa_float_denorm_mode_16_64 3
		.amdhsa_dx10_clamp 1
		.amdhsa_ieee_mode 1
		.amdhsa_fp16_overflow 0
		.amdhsa_tg_split 0
		.amdhsa_exception_fp_ieee_invalid_op 0
		.amdhsa_exception_fp_denorm_src 0
		.amdhsa_exception_fp_ieee_div_zero 0
		.amdhsa_exception_fp_ieee_overflow 0
		.amdhsa_exception_fp_ieee_underflow 0
		.amdhsa_exception_fp_ieee_inexact 0
		.amdhsa_exception_int_div_zero 0
	.end_amdhsa_kernel
	.section	.text._ZN7rocprim17ROCPRIM_400000_NS6detail17trampoline_kernelINS0_14default_configENS1_20scan_config_selectorIfEEZZNS1_9scan_implILNS1_25lookback_scan_determinismE0ELb0ELb0ES3_N6thrust23THRUST_200600_302600_NS6detail15normal_iteratorINS9_10device_ptrIfEEEENS9_16discard_iteratorINS9_11use_defaultEEEfNS9_4plusIvEEfEEDaPvRmT3_T4_T5_mT6_P12ihipStream_tbENKUlT_T0_E_clISt17integral_constantIbLb0EESX_EEDaSS_ST_EUlSS_E0_NS1_11comp_targetILNS1_3genE2ELNS1_11target_archE906ELNS1_3gpuE6ELNS1_3repE0EEENS1_30default_config_static_selectorELNS0_4arch9wavefront6targetE1EEEvT1_,"axG",@progbits,_ZN7rocprim17ROCPRIM_400000_NS6detail17trampoline_kernelINS0_14default_configENS1_20scan_config_selectorIfEEZZNS1_9scan_implILNS1_25lookback_scan_determinismE0ELb0ELb0ES3_N6thrust23THRUST_200600_302600_NS6detail15normal_iteratorINS9_10device_ptrIfEEEENS9_16discard_iteratorINS9_11use_defaultEEEfNS9_4plusIvEEfEEDaPvRmT3_T4_T5_mT6_P12ihipStream_tbENKUlT_T0_E_clISt17integral_constantIbLb0EESX_EEDaSS_ST_EUlSS_E0_NS1_11comp_targetILNS1_3genE2ELNS1_11target_archE906ELNS1_3gpuE6ELNS1_3repE0EEENS1_30default_config_static_selectorELNS0_4arch9wavefront6targetE1EEEvT1_,comdat
.Lfunc_end5019:
	.size	_ZN7rocprim17ROCPRIM_400000_NS6detail17trampoline_kernelINS0_14default_configENS1_20scan_config_selectorIfEEZZNS1_9scan_implILNS1_25lookback_scan_determinismE0ELb0ELb0ES3_N6thrust23THRUST_200600_302600_NS6detail15normal_iteratorINS9_10device_ptrIfEEEENS9_16discard_iteratorINS9_11use_defaultEEEfNS9_4plusIvEEfEEDaPvRmT3_T4_T5_mT6_P12ihipStream_tbENKUlT_T0_E_clISt17integral_constantIbLb0EESX_EEDaSS_ST_EUlSS_E0_NS1_11comp_targetILNS1_3genE2ELNS1_11target_archE906ELNS1_3gpuE6ELNS1_3repE0EEENS1_30default_config_static_selectorELNS0_4arch9wavefront6targetE1EEEvT1_, .Lfunc_end5019-_ZN7rocprim17ROCPRIM_400000_NS6detail17trampoline_kernelINS0_14default_configENS1_20scan_config_selectorIfEEZZNS1_9scan_implILNS1_25lookback_scan_determinismE0ELb0ELb0ES3_N6thrust23THRUST_200600_302600_NS6detail15normal_iteratorINS9_10device_ptrIfEEEENS9_16discard_iteratorINS9_11use_defaultEEEfNS9_4plusIvEEfEEDaPvRmT3_T4_T5_mT6_P12ihipStream_tbENKUlT_T0_E_clISt17integral_constantIbLb0EESX_EEDaSS_ST_EUlSS_E0_NS1_11comp_targetILNS1_3genE2ELNS1_11target_archE906ELNS1_3gpuE6ELNS1_3repE0EEENS1_30default_config_static_selectorELNS0_4arch9wavefront6targetE1EEEvT1_
                                        ; -- End function
	.section	.AMDGPU.csdata,"",@progbits
; Kernel info:
; codeLenInByte = 0
; NumSgprs: 4
; NumVgprs: 0
; NumAgprs: 0
; TotalNumVgprs: 0
; ScratchSize: 0
; MemoryBound: 0
; FloatMode: 240
; IeeeMode: 1
; LDSByteSize: 0 bytes/workgroup (compile time only)
; SGPRBlocks: 0
; VGPRBlocks: 0
; NumSGPRsForWavesPerEU: 4
; NumVGPRsForWavesPerEU: 1
; AccumOffset: 4
; Occupancy: 8
; WaveLimiterHint : 0
; COMPUTE_PGM_RSRC2:SCRATCH_EN: 0
; COMPUTE_PGM_RSRC2:USER_SGPR: 6
; COMPUTE_PGM_RSRC2:TRAP_HANDLER: 0
; COMPUTE_PGM_RSRC2:TGID_X_EN: 1
; COMPUTE_PGM_RSRC2:TGID_Y_EN: 0
; COMPUTE_PGM_RSRC2:TGID_Z_EN: 0
; COMPUTE_PGM_RSRC2:TIDIG_COMP_CNT: 0
; COMPUTE_PGM_RSRC3_GFX90A:ACCUM_OFFSET: 0
; COMPUTE_PGM_RSRC3_GFX90A:TG_SPLIT: 0
	.section	.text._ZN7rocprim17ROCPRIM_400000_NS6detail17trampoline_kernelINS0_14default_configENS1_20scan_config_selectorIfEEZZNS1_9scan_implILNS1_25lookback_scan_determinismE0ELb0ELb0ES3_N6thrust23THRUST_200600_302600_NS6detail15normal_iteratorINS9_10device_ptrIfEEEENS9_16discard_iteratorINS9_11use_defaultEEEfNS9_4plusIvEEfEEDaPvRmT3_T4_T5_mT6_P12ihipStream_tbENKUlT_T0_E_clISt17integral_constantIbLb0EESX_EEDaSS_ST_EUlSS_E0_NS1_11comp_targetILNS1_3genE10ELNS1_11target_archE1201ELNS1_3gpuE5ELNS1_3repE0EEENS1_30default_config_static_selectorELNS0_4arch9wavefront6targetE1EEEvT1_,"axG",@progbits,_ZN7rocprim17ROCPRIM_400000_NS6detail17trampoline_kernelINS0_14default_configENS1_20scan_config_selectorIfEEZZNS1_9scan_implILNS1_25lookback_scan_determinismE0ELb0ELb0ES3_N6thrust23THRUST_200600_302600_NS6detail15normal_iteratorINS9_10device_ptrIfEEEENS9_16discard_iteratorINS9_11use_defaultEEEfNS9_4plusIvEEfEEDaPvRmT3_T4_T5_mT6_P12ihipStream_tbENKUlT_T0_E_clISt17integral_constantIbLb0EESX_EEDaSS_ST_EUlSS_E0_NS1_11comp_targetILNS1_3genE10ELNS1_11target_archE1201ELNS1_3gpuE5ELNS1_3repE0EEENS1_30default_config_static_selectorELNS0_4arch9wavefront6targetE1EEEvT1_,comdat
	.protected	_ZN7rocprim17ROCPRIM_400000_NS6detail17trampoline_kernelINS0_14default_configENS1_20scan_config_selectorIfEEZZNS1_9scan_implILNS1_25lookback_scan_determinismE0ELb0ELb0ES3_N6thrust23THRUST_200600_302600_NS6detail15normal_iteratorINS9_10device_ptrIfEEEENS9_16discard_iteratorINS9_11use_defaultEEEfNS9_4plusIvEEfEEDaPvRmT3_T4_T5_mT6_P12ihipStream_tbENKUlT_T0_E_clISt17integral_constantIbLb0EESX_EEDaSS_ST_EUlSS_E0_NS1_11comp_targetILNS1_3genE10ELNS1_11target_archE1201ELNS1_3gpuE5ELNS1_3repE0EEENS1_30default_config_static_selectorELNS0_4arch9wavefront6targetE1EEEvT1_ ; -- Begin function _ZN7rocprim17ROCPRIM_400000_NS6detail17trampoline_kernelINS0_14default_configENS1_20scan_config_selectorIfEEZZNS1_9scan_implILNS1_25lookback_scan_determinismE0ELb0ELb0ES3_N6thrust23THRUST_200600_302600_NS6detail15normal_iteratorINS9_10device_ptrIfEEEENS9_16discard_iteratorINS9_11use_defaultEEEfNS9_4plusIvEEfEEDaPvRmT3_T4_T5_mT6_P12ihipStream_tbENKUlT_T0_E_clISt17integral_constantIbLb0EESX_EEDaSS_ST_EUlSS_E0_NS1_11comp_targetILNS1_3genE10ELNS1_11target_archE1201ELNS1_3gpuE5ELNS1_3repE0EEENS1_30default_config_static_selectorELNS0_4arch9wavefront6targetE1EEEvT1_
	.globl	_ZN7rocprim17ROCPRIM_400000_NS6detail17trampoline_kernelINS0_14default_configENS1_20scan_config_selectorIfEEZZNS1_9scan_implILNS1_25lookback_scan_determinismE0ELb0ELb0ES3_N6thrust23THRUST_200600_302600_NS6detail15normal_iteratorINS9_10device_ptrIfEEEENS9_16discard_iteratorINS9_11use_defaultEEEfNS9_4plusIvEEfEEDaPvRmT3_T4_T5_mT6_P12ihipStream_tbENKUlT_T0_E_clISt17integral_constantIbLb0EESX_EEDaSS_ST_EUlSS_E0_NS1_11comp_targetILNS1_3genE10ELNS1_11target_archE1201ELNS1_3gpuE5ELNS1_3repE0EEENS1_30default_config_static_selectorELNS0_4arch9wavefront6targetE1EEEvT1_
	.p2align	8
	.type	_ZN7rocprim17ROCPRIM_400000_NS6detail17trampoline_kernelINS0_14default_configENS1_20scan_config_selectorIfEEZZNS1_9scan_implILNS1_25lookback_scan_determinismE0ELb0ELb0ES3_N6thrust23THRUST_200600_302600_NS6detail15normal_iteratorINS9_10device_ptrIfEEEENS9_16discard_iteratorINS9_11use_defaultEEEfNS9_4plusIvEEfEEDaPvRmT3_T4_T5_mT6_P12ihipStream_tbENKUlT_T0_E_clISt17integral_constantIbLb0EESX_EEDaSS_ST_EUlSS_E0_NS1_11comp_targetILNS1_3genE10ELNS1_11target_archE1201ELNS1_3gpuE5ELNS1_3repE0EEENS1_30default_config_static_selectorELNS0_4arch9wavefront6targetE1EEEvT1_,@function
_ZN7rocprim17ROCPRIM_400000_NS6detail17trampoline_kernelINS0_14default_configENS1_20scan_config_selectorIfEEZZNS1_9scan_implILNS1_25lookback_scan_determinismE0ELb0ELb0ES3_N6thrust23THRUST_200600_302600_NS6detail15normal_iteratorINS9_10device_ptrIfEEEENS9_16discard_iteratorINS9_11use_defaultEEEfNS9_4plusIvEEfEEDaPvRmT3_T4_T5_mT6_P12ihipStream_tbENKUlT_T0_E_clISt17integral_constantIbLb0EESX_EEDaSS_ST_EUlSS_E0_NS1_11comp_targetILNS1_3genE10ELNS1_11target_archE1201ELNS1_3gpuE5ELNS1_3repE0EEENS1_30default_config_static_selectorELNS0_4arch9wavefront6targetE1EEEvT1_: ; @_ZN7rocprim17ROCPRIM_400000_NS6detail17trampoline_kernelINS0_14default_configENS1_20scan_config_selectorIfEEZZNS1_9scan_implILNS1_25lookback_scan_determinismE0ELb0ELb0ES3_N6thrust23THRUST_200600_302600_NS6detail15normal_iteratorINS9_10device_ptrIfEEEENS9_16discard_iteratorINS9_11use_defaultEEEfNS9_4plusIvEEfEEDaPvRmT3_T4_T5_mT6_P12ihipStream_tbENKUlT_T0_E_clISt17integral_constantIbLb0EESX_EEDaSS_ST_EUlSS_E0_NS1_11comp_targetILNS1_3genE10ELNS1_11target_archE1201ELNS1_3gpuE5ELNS1_3repE0EEENS1_30default_config_static_selectorELNS0_4arch9wavefront6targetE1EEEvT1_
; %bb.0:
	.section	.rodata,"a",@progbits
	.p2align	6, 0x0
	.amdhsa_kernel _ZN7rocprim17ROCPRIM_400000_NS6detail17trampoline_kernelINS0_14default_configENS1_20scan_config_selectorIfEEZZNS1_9scan_implILNS1_25lookback_scan_determinismE0ELb0ELb0ES3_N6thrust23THRUST_200600_302600_NS6detail15normal_iteratorINS9_10device_ptrIfEEEENS9_16discard_iteratorINS9_11use_defaultEEEfNS9_4plusIvEEfEEDaPvRmT3_T4_T5_mT6_P12ihipStream_tbENKUlT_T0_E_clISt17integral_constantIbLb0EESX_EEDaSS_ST_EUlSS_E0_NS1_11comp_targetILNS1_3genE10ELNS1_11target_archE1201ELNS1_3gpuE5ELNS1_3repE0EEENS1_30default_config_static_selectorELNS0_4arch9wavefront6targetE1EEEvT1_
		.amdhsa_group_segment_fixed_size 0
		.amdhsa_private_segment_fixed_size 0
		.amdhsa_kernarg_size 40
		.amdhsa_user_sgpr_count 6
		.amdhsa_user_sgpr_private_segment_buffer 1
		.amdhsa_user_sgpr_dispatch_ptr 0
		.amdhsa_user_sgpr_queue_ptr 0
		.amdhsa_user_sgpr_kernarg_segment_ptr 1
		.amdhsa_user_sgpr_dispatch_id 0
		.amdhsa_user_sgpr_flat_scratch_init 0
		.amdhsa_user_sgpr_kernarg_preload_length 0
		.amdhsa_user_sgpr_kernarg_preload_offset 0
		.amdhsa_user_sgpr_private_segment_size 0
		.amdhsa_uses_dynamic_stack 0
		.amdhsa_system_sgpr_private_segment_wavefront_offset 0
		.amdhsa_system_sgpr_workgroup_id_x 1
		.amdhsa_system_sgpr_workgroup_id_y 0
		.amdhsa_system_sgpr_workgroup_id_z 0
		.amdhsa_system_sgpr_workgroup_info 0
		.amdhsa_system_vgpr_workitem_id 0
		.amdhsa_next_free_vgpr 1
		.amdhsa_next_free_sgpr 0
		.amdhsa_accum_offset 4
		.amdhsa_reserve_vcc 0
		.amdhsa_reserve_flat_scratch 0
		.amdhsa_float_round_mode_32 0
		.amdhsa_float_round_mode_16_64 0
		.amdhsa_float_denorm_mode_32 3
		.amdhsa_float_denorm_mode_16_64 3
		.amdhsa_dx10_clamp 1
		.amdhsa_ieee_mode 1
		.amdhsa_fp16_overflow 0
		.amdhsa_tg_split 0
		.amdhsa_exception_fp_ieee_invalid_op 0
		.amdhsa_exception_fp_denorm_src 0
		.amdhsa_exception_fp_ieee_div_zero 0
		.amdhsa_exception_fp_ieee_overflow 0
		.amdhsa_exception_fp_ieee_underflow 0
		.amdhsa_exception_fp_ieee_inexact 0
		.amdhsa_exception_int_div_zero 0
	.end_amdhsa_kernel
	.section	.text._ZN7rocprim17ROCPRIM_400000_NS6detail17trampoline_kernelINS0_14default_configENS1_20scan_config_selectorIfEEZZNS1_9scan_implILNS1_25lookback_scan_determinismE0ELb0ELb0ES3_N6thrust23THRUST_200600_302600_NS6detail15normal_iteratorINS9_10device_ptrIfEEEENS9_16discard_iteratorINS9_11use_defaultEEEfNS9_4plusIvEEfEEDaPvRmT3_T4_T5_mT6_P12ihipStream_tbENKUlT_T0_E_clISt17integral_constantIbLb0EESX_EEDaSS_ST_EUlSS_E0_NS1_11comp_targetILNS1_3genE10ELNS1_11target_archE1201ELNS1_3gpuE5ELNS1_3repE0EEENS1_30default_config_static_selectorELNS0_4arch9wavefront6targetE1EEEvT1_,"axG",@progbits,_ZN7rocprim17ROCPRIM_400000_NS6detail17trampoline_kernelINS0_14default_configENS1_20scan_config_selectorIfEEZZNS1_9scan_implILNS1_25lookback_scan_determinismE0ELb0ELb0ES3_N6thrust23THRUST_200600_302600_NS6detail15normal_iteratorINS9_10device_ptrIfEEEENS9_16discard_iteratorINS9_11use_defaultEEEfNS9_4plusIvEEfEEDaPvRmT3_T4_T5_mT6_P12ihipStream_tbENKUlT_T0_E_clISt17integral_constantIbLb0EESX_EEDaSS_ST_EUlSS_E0_NS1_11comp_targetILNS1_3genE10ELNS1_11target_archE1201ELNS1_3gpuE5ELNS1_3repE0EEENS1_30default_config_static_selectorELNS0_4arch9wavefront6targetE1EEEvT1_,comdat
.Lfunc_end5020:
	.size	_ZN7rocprim17ROCPRIM_400000_NS6detail17trampoline_kernelINS0_14default_configENS1_20scan_config_selectorIfEEZZNS1_9scan_implILNS1_25lookback_scan_determinismE0ELb0ELb0ES3_N6thrust23THRUST_200600_302600_NS6detail15normal_iteratorINS9_10device_ptrIfEEEENS9_16discard_iteratorINS9_11use_defaultEEEfNS9_4plusIvEEfEEDaPvRmT3_T4_T5_mT6_P12ihipStream_tbENKUlT_T0_E_clISt17integral_constantIbLb0EESX_EEDaSS_ST_EUlSS_E0_NS1_11comp_targetILNS1_3genE10ELNS1_11target_archE1201ELNS1_3gpuE5ELNS1_3repE0EEENS1_30default_config_static_selectorELNS0_4arch9wavefront6targetE1EEEvT1_, .Lfunc_end5020-_ZN7rocprim17ROCPRIM_400000_NS6detail17trampoline_kernelINS0_14default_configENS1_20scan_config_selectorIfEEZZNS1_9scan_implILNS1_25lookback_scan_determinismE0ELb0ELb0ES3_N6thrust23THRUST_200600_302600_NS6detail15normal_iteratorINS9_10device_ptrIfEEEENS9_16discard_iteratorINS9_11use_defaultEEEfNS9_4plusIvEEfEEDaPvRmT3_T4_T5_mT6_P12ihipStream_tbENKUlT_T0_E_clISt17integral_constantIbLb0EESX_EEDaSS_ST_EUlSS_E0_NS1_11comp_targetILNS1_3genE10ELNS1_11target_archE1201ELNS1_3gpuE5ELNS1_3repE0EEENS1_30default_config_static_selectorELNS0_4arch9wavefront6targetE1EEEvT1_
                                        ; -- End function
	.section	.AMDGPU.csdata,"",@progbits
; Kernel info:
; codeLenInByte = 0
; NumSgprs: 4
; NumVgprs: 0
; NumAgprs: 0
; TotalNumVgprs: 0
; ScratchSize: 0
; MemoryBound: 0
; FloatMode: 240
; IeeeMode: 1
; LDSByteSize: 0 bytes/workgroup (compile time only)
; SGPRBlocks: 0
; VGPRBlocks: 0
; NumSGPRsForWavesPerEU: 4
; NumVGPRsForWavesPerEU: 1
; AccumOffset: 4
; Occupancy: 8
; WaveLimiterHint : 0
; COMPUTE_PGM_RSRC2:SCRATCH_EN: 0
; COMPUTE_PGM_RSRC2:USER_SGPR: 6
; COMPUTE_PGM_RSRC2:TRAP_HANDLER: 0
; COMPUTE_PGM_RSRC2:TGID_X_EN: 1
; COMPUTE_PGM_RSRC2:TGID_Y_EN: 0
; COMPUTE_PGM_RSRC2:TGID_Z_EN: 0
; COMPUTE_PGM_RSRC2:TIDIG_COMP_CNT: 0
; COMPUTE_PGM_RSRC3_GFX90A:ACCUM_OFFSET: 0
; COMPUTE_PGM_RSRC3_GFX90A:TG_SPLIT: 0
	.section	.text._ZN7rocprim17ROCPRIM_400000_NS6detail17trampoline_kernelINS0_14default_configENS1_20scan_config_selectorIfEEZZNS1_9scan_implILNS1_25lookback_scan_determinismE0ELb0ELb0ES3_N6thrust23THRUST_200600_302600_NS6detail15normal_iteratorINS9_10device_ptrIfEEEENS9_16discard_iteratorINS9_11use_defaultEEEfNS9_4plusIvEEfEEDaPvRmT3_T4_T5_mT6_P12ihipStream_tbENKUlT_T0_E_clISt17integral_constantIbLb0EESX_EEDaSS_ST_EUlSS_E0_NS1_11comp_targetILNS1_3genE10ELNS1_11target_archE1200ELNS1_3gpuE4ELNS1_3repE0EEENS1_30default_config_static_selectorELNS0_4arch9wavefront6targetE1EEEvT1_,"axG",@progbits,_ZN7rocprim17ROCPRIM_400000_NS6detail17trampoline_kernelINS0_14default_configENS1_20scan_config_selectorIfEEZZNS1_9scan_implILNS1_25lookback_scan_determinismE0ELb0ELb0ES3_N6thrust23THRUST_200600_302600_NS6detail15normal_iteratorINS9_10device_ptrIfEEEENS9_16discard_iteratorINS9_11use_defaultEEEfNS9_4plusIvEEfEEDaPvRmT3_T4_T5_mT6_P12ihipStream_tbENKUlT_T0_E_clISt17integral_constantIbLb0EESX_EEDaSS_ST_EUlSS_E0_NS1_11comp_targetILNS1_3genE10ELNS1_11target_archE1200ELNS1_3gpuE4ELNS1_3repE0EEENS1_30default_config_static_selectorELNS0_4arch9wavefront6targetE1EEEvT1_,comdat
	.protected	_ZN7rocprim17ROCPRIM_400000_NS6detail17trampoline_kernelINS0_14default_configENS1_20scan_config_selectorIfEEZZNS1_9scan_implILNS1_25lookback_scan_determinismE0ELb0ELb0ES3_N6thrust23THRUST_200600_302600_NS6detail15normal_iteratorINS9_10device_ptrIfEEEENS9_16discard_iteratorINS9_11use_defaultEEEfNS9_4plusIvEEfEEDaPvRmT3_T4_T5_mT6_P12ihipStream_tbENKUlT_T0_E_clISt17integral_constantIbLb0EESX_EEDaSS_ST_EUlSS_E0_NS1_11comp_targetILNS1_3genE10ELNS1_11target_archE1200ELNS1_3gpuE4ELNS1_3repE0EEENS1_30default_config_static_selectorELNS0_4arch9wavefront6targetE1EEEvT1_ ; -- Begin function _ZN7rocprim17ROCPRIM_400000_NS6detail17trampoline_kernelINS0_14default_configENS1_20scan_config_selectorIfEEZZNS1_9scan_implILNS1_25lookback_scan_determinismE0ELb0ELb0ES3_N6thrust23THRUST_200600_302600_NS6detail15normal_iteratorINS9_10device_ptrIfEEEENS9_16discard_iteratorINS9_11use_defaultEEEfNS9_4plusIvEEfEEDaPvRmT3_T4_T5_mT6_P12ihipStream_tbENKUlT_T0_E_clISt17integral_constantIbLb0EESX_EEDaSS_ST_EUlSS_E0_NS1_11comp_targetILNS1_3genE10ELNS1_11target_archE1200ELNS1_3gpuE4ELNS1_3repE0EEENS1_30default_config_static_selectorELNS0_4arch9wavefront6targetE1EEEvT1_
	.globl	_ZN7rocprim17ROCPRIM_400000_NS6detail17trampoline_kernelINS0_14default_configENS1_20scan_config_selectorIfEEZZNS1_9scan_implILNS1_25lookback_scan_determinismE0ELb0ELb0ES3_N6thrust23THRUST_200600_302600_NS6detail15normal_iteratorINS9_10device_ptrIfEEEENS9_16discard_iteratorINS9_11use_defaultEEEfNS9_4plusIvEEfEEDaPvRmT3_T4_T5_mT6_P12ihipStream_tbENKUlT_T0_E_clISt17integral_constantIbLb0EESX_EEDaSS_ST_EUlSS_E0_NS1_11comp_targetILNS1_3genE10ELNS1_11target_archE1200ELNS1_3gpuE4ELNS1_3repE0EEENS1_30default_config_static_selectorELNS0_4arch9wavefront6targetE1EEEvT1_
	.p2align	8
	.type	_ZN7rocprim17ROCPRIM_400000_NS6detail17trampoline_kernelINS0_14default_configENS1_20scan_config_selectorIfEEZZNS1_9scan_implILNS1_25lookback_scan_determinismE0ELb0ELb0ES3_N6thrust23THRUST_200600_302600_NS6detail15normal_iteratorINS9_10device_ptrIfEEEENS9_16discard_iteratorINS9_11use_defaultEEEfNS9_4plusIvEEfEEDaPvRmT3_T4_T5_mT6_P12ihipStream_tbENKUlT_T0_E_clISt17integral_constantIbLb0EESX_EEDaSS_ST_EUlSS_E0_NS1_11comp_targetILNS1_3genE10ELNS1_11target_archE1200ELNS1_3gpuE4ELNS1_3repE0EEENS1_30default_config_static_selectorELNS0_4arch9wavefront6targetE1EEEvT1_,@function
_ZN7rocprim17ROCPRIM_400000_NS6detail17trampoline_kernelINS0_14default_configENS1_20scan_config_selectorIfEEZZNS1_9scan_implILNS1_25lookback_scan_determinismE0ELb0ELb0ES3_N6thrust23THRUST_200600_302600_NS6detail15normal_iteratorINS9_10device_ptrIfEEEENS9_16discard_iteratorINS9_11use_defaultEEEfNS9_4plusIvEEfEEDaPvRmT3_T4_T5_mT6_P12ihipStream_tbENKUlT_T0_E_clISt17integral_constantIbLb0EESX_EEDaSS_ST_EUlSS_E0_NS1_11comp_targetILNS1_3genE10ELNS1_11target_archE1200ELNS1_3gpuE4ELNS1_3repE0EEENS1_30default_config_static_selectorELNS0_4arch9wavefront6targetE1EEEvT1_: ; @_ZN7rocprim17ROCPRIM_400000_NS6detail17trampoline_kernelINS0_14default_configENS1_20scan_config_selectorIfEEZZNS1_9scan_implILNS1_25lookback_scan_determinismE0ELb0ELb0ES3_N6thrust23THRUST_200600_302600_NS6detail15normal_iteratorINS9_10device_ptrIfEEEENS9_16discard_iteratorINS9_11use_defaultEEEfNS9_4plusIvEEfEEDaPvRmT3_T4_T5_mT6_P12ihipStream_tbENKUlT_T0_E_clISt17integral_constantIbLb0EESX_EEDaSS_ST_EUlSS_E0_NS1_11comp_targetILNS1_3genE10ELNS1_11target_archE1200ELNS1_3gpuE4ELNS1_3repE0EEENS1_30default_config_static_selectorELNS0_4arch9wavefront6targetE1EEEvT1_
; %bb.0:
	.section	.rodata,"a",@progbits
	.p2align	6, 0x0
	.amdhsa_kernel _ZN7rocprim17ROCPRIM_400000_NS6detail17trampoline_kernelINS0_14default_configENS1_20scan_config_selectorIfEEZZNS1_9scan_implILNS1_25lookback_scan_determinismE0ELb0ELb0ES3_N6thrust23THRUST_200600_302600_NS6detail15normal_iteratorINS9_10device_ptrIfEEEENS9_16discard_iteratorINS9_11use_defaultEEEfNS9_4plusIvEEfEEDaPvRmT3_T4_T5_mT6_P12ihipStream_tbENKUlT_T0_E_clISt17integral_constantIbLb0EESX_EEDaSS_ST_EUlSS_E0_NS1_11comp_targetILNS1_3genE10ELNS1_11target_archE1200ELNS1_3gpuE4ELNS1_3repE0EEENS1_30default_config_static_selectorELNS0_4arch9wavefront6targetE1EEEvT1_
		.amdhsa_group_segment_fixed_size 0
		.amdhsa_private_segment_fixed_size 0
		.amdhsa_kernarg_size 40
		.amdhsa_user_sgpr_count 6
		.amdhsa_user_sgpr_private_segment_buffer 1
		.amdhsa_user_sgpr_dispatch_ptr 0
		.amdhsa_user_sgpr_queue_ptr 0
		.amdhsa_user_sgpr_kernarg_segment_ptr 1
		.amdhsa_user_sgpr_dispatch_id 0
		.amdhsa_user_sgpr_flat_scratch_init 0
		.amdhsa_user_sgpr_kernarg_preload_length 0
		.amdhsa_user_sgpr_kernarg_preload_offset 0
		.amdhsa_user_sgpr_private_segment_size 0
		.amdhsa_uses_dynamic_stack 0
		.amdhsa_system_sgpr_private_segment_wavefront_offset 0
		.amdhsa_system_sgpr_workgroup_id_x 1
		.amdhsa_system_sgpr_workgroup_id_y 0
		.amdhsa_system_sgpr_workgroup_id_z 0
		.amdhsa_system_sgpr_workgroup_info 0
		.amdhsa_system_vgpr_workitem_id 0
		.amdhsa_next_free_vgpr 1
		.amdhsa_next_free_sgpr 0
		.amdhsa_accum_offset 4
		.amdhsa_reserve_vcc 0
		.amdhsa_reserve_flat_scratch 0
		.amdhsa_float_round_mode_32 0
		.amdhsa_float_round_mode_16_64 0
		.amdhsa_float_denorm_mode_32 3
		.amdhsa_float_denorm_mode_16_64 3
		.amdhsa_dx10_clamp 1
		.amdhsa_ieee_mode 1
		.amdhsa_fp16_overflow 0
		.amdhsa_tg_split 0
		.amdhsa_exception_fp_ieee_invalid_op 0
		.amdhsa_exception_fp_denorm_src 0
		.amdhsa_exception_fp_ieee_div_zero 0
		.amdhsa_exception_fp_ieee_overflow 0
		.amdhsa_exception_fp_ieee_underflow 0
		.amdhsa_exception_fp_ieee_inexact 0
		.amdhsa_exception_int_div_zero 0
	.end_amdhsa_kernel
	.section	.text._ZN7rocprim17ROCPRIM_400000_NS6detail17trampoline_kernelINS0_14default_configENS1_20scan_config_selectorIfEEZZNS1_9scan_implILNS1_25lookback_scan_determinismE0ELb0ELb0ES3_N6thrust23THRUST_200600_302600_NS6detail15normal_iteratorINS9_10device_ptrIfEEEENS9_16discard_iteratorINS9_11use_defaultEEEfNS9_4plusIvEEfEEDaPvRmT3_T4_T5_mT6_P12ihipStream_tbENKUlT_T0_E_clISt17integral_constantIbLb0EESX_EEDaSS_ST_EUlSS_E0_NS1_11comp_targetILNS1_3genE10ELNS1_11target_archE1200ELNS1_3gpuE4ELNS1_3repE0EEENS1_30default_config_static_selectorELNS0_4arch9wavefront6targetE1EEEvT1_,"axG",@progbits,_ZN7rocprim17ROCPRIM_400000_NS6detail17trampoline_kernelINS0_14default_configENS1_20scan_config_selectorIfEEZZNS1_9scan_implILNS1_25lookback_scan_determinismE0ELb0ELb0ES3_N6thrust23THRUST_200600_302600_NS6detail15normal_iteratorINS9_10device_ptrIfEEEENS9_16discard_iteratorINS9_11use_defaultEEEfNS9_4plusIvEEfEEDaPvRmT3_T4_T5_mT6_P12ihipStream_tbENKUlT_T0_E_clISt17integral_constantIbLb0EESX_EEDaSS_ST_EUlSS_E0_NS1_11comp_targetILNS1_3genE10ELNS1_11target_archE1200ELNS1_3gpuE4ELNS1_3repE0EEENS1_30default_config_static_selectorELNS0_4arch9wavefront6targetE1EEEvT1_,comdat
.Lfunc_end5021:
	.size	_ZN7rocprim17ROCPRIM_400000_NS6detail17trampoline_kernelINS0_14default_configENS1_20scan_config_selectorIfEEZZNS1_9scan_implILNS1_25lookback_scan_determinismE0ELb0ELb0ES3_N6thrust23THRUST_200600_302600_NS6detail15normal_iteratorINS9_10device_ptrIfEEEENS9_16discard_iteratorINS9_11use_defaultEEEfNS9_4plusIvEEfEEDaPvRmT3_T4_T5_mT6_P12ihipStream_tbENKUlT_T0_E_clISt17integral_constantIbLb0EESX_EEDaSS_ST_EUlSS_E0_NS1_11comp_targetILNS1_3genE10ELNS1_11target_archE1200ELNS1_3gpuE4ELNS1_3repE0EEENS1_30default_config_static_selectorELNS0_4arch9wavefront6targetE1EEEvT1_, .Lfunc_end5021-_ZN7rocprim17ROCPRIM_400000_NS6detail17trampoline_kernelINS0_14default_configENS1_20scan_config_selectorIfEEZZNS1_9scan_implILNS1_25lookback_scan_determinismE0ELb0ELb0ES3_N6thrust23THRUST_200600_302600_NS6detail15normal_iteratorINS9_10device_ptrIfEEEENS9_16discard_iteratorINS9_11use_defaultEEEfNS9_4plusIvEEfEEDaPvRmT3_T4_T5_mT6_P12ihipStream_tbENKUlT_T0_E_clISt17integral_constantIbLb0EESX_EEDaSS_ST_EUlSS_E0_NS1_11comp_targetILNS1_3genE10ELNS1_11target_archE1200ELNS1_3gpuE4ELNS1_3repE0EEENS1_30default_config_static_selectorELNS0_4arch9wavefront6targetE1EEEvT1_
                                        ; -- End function
	.section	.AMDGPU.csdata,"",@progbits
; Kernel info:
; codeLenInByte = 0
; NumSgprs: 4
; NumVgprs: 0
; NumAgprs: 0
; TotalNumVgprs: 0
; ScratchSize: 0
; MemoryBound: 0
; FloatMode: 240
; IeeeMode: 1
; LDSByteSize: 0 bytes/workgroup (compile time only)
; SGPRBlocks: 0
; VGPRBlocks: 0
; NumSGPRsForWavesPerEU: 4
; NumVGPRsForWavesPerEU: 1
; AccumOffset: 4
; Occupancy: 8
; WaveLimiterHint : 0
; COMPUTE_PGM_RSRC2:SCRATCH_EN: 0
; COMPUTE_PGM_RSRC2:USER_SGPR: 6
; COMPUTE_PGM_RSRC2:TRAP_HANDLER: 0
; COMPUTE_PGM_RSRC2:TGID_X_EN: 1
; COMPUTE_PGM_RSRC2:TGID_Y_EN: 0
; COMPUTE_PGM_RSRC2:TGID_Z_EN: 0
; COMPUTE_PGM_RSRC2:TIDIG_COMP_CNT: 0
; COMPUTE_PGM_RSRC3_GFX90A:ACCUM_OFFSET: 0
; COMPUTE_PGM_RSRC3_GFX90A:TG_SPLIT: 0
	.section	.text._ZN7rocprim17ROCPRIM_400000_NS6detail17trampoline_kernelINS0_14default_configENS1_20scan_config_selectorIfEEZZNS1_9scan_implILNS1_25lookback_scan_determinismE0ELb0ELb0ES3_N6thrust23THRUST_200600_302600_NS6detail15normal_iteratorINS9_10device_ptrIfEEEENS9_16discard_iteratorINS9_11use_defaultEEEfNS9_4plusIvEEfEEDaPvRmT3_T4_T5_mT6_P12ihipStream_tbENKUlT_T0_E_clISt17integral_constantIbLb0EESX_EEDaSS_ST_EUlSS_E0_NS1_11comp_targetILNS1_3genE9ELNS1_11target_archE1100ELNS1_3gpuE3ELNS1_3repE0EEENS1_30default_config_static_selectorELNS0_4arch9wavefront6targetE1EEEvT1_,"axG",@progbits,_ZN7rocprim17ROCPRIM_400000_NS6detail17trampoline_kernelINS0_14default_configENS1_20scan_config_selectorIfEEZZNS1_9scan_implILNS1_25lookback_scan_determinismE0ELb0ELb0ES3_N6thrust23THRUST_200600_302600_NS6detail15normal_iteratorINS9_10device_ptrIfEEEENS9_16discard_iteratorINS9_11use_defaultEEEfNS9_4plusIvEEfEEDaPvRmT3_T4_T5_mT6_P12ihipStream_tbENKUlT_T0_E_clISt17integral_constantIbLb0EESX_EEDaSS_ST_EUlSS_E0_NS1_11comp_targetILNS1_3genE9ELNS1_11target_archE1100ELNS1_3gpuE3ELNS1_3repE0EEENS1_30default_config_static_selectorELNS0_4arch9wavefront6targetE1EEEvT1_,comdat
	.protected	_ZN7rocprim17ROCPRIM_400000_NS6detail17trampoline_kernelINS0_14default_configENS1_20scan_config_selectorIfEEZZNS1_9scan_implILNS1_25lookback_scan_determinismE0ELb0ELb0ES3_N6thrust23THRUST_200600_302600_NS6detail15normal_iteratorINS9_10device_ptrIfEEEENS9_16discard_iteratorINS9_11use_defaultEEEfNS9_4plusIvEEfEEDaPvRmT3_T4_T5_mT6_P12ihipStream_tbENKUlT_T0_E_clISt17integral_constantIbLb0EESX_EEDaSS_ST_EUlSS_E0_NS1_11comp_targetILNS1_3genE9ELNS1_11target_archE1100ELNS1_3gpuE3ELNS1_3repE0EEENS1_30default_config_static_selectorELNS0_4arch9wavefront6targetE1EEEvT1_ ; -- Begin function _ZN7rocprim17ROCPRIM_400000_NS6detail17trampoline_kernelINS0_14default_configENS1_20scan_config_selectorIfEEZZNS1_9scan_implILNS1_25lookback_scan_determinismE0ELb0ELb0ES3_N6thrust23THRUST_200600_302600_NS6detail15normal_iteratorINS9_10device_ptrIfEEEENS9_16discard_iteratorINS9_11use_defaultEEEfNS9_4plusIvEEfEEDaPvRmT3_T4_T5_mT6_P12ihipStream_tbENKUlT_T0_E_clISt17integral_constantIbLb0EESX_EEDaSS_ST_EUlSS_E0_NS1_11comp_targetILNS1_3genE9ELNS1_11target_archE1100ELNS1_3gpuE3ELNS1_3repE0EEENS1_30default_config_static_selectorELNS0_4arch9wavefront6targetE1EEEvT1_
	.globl	_ZN7rocprim17ROCPRIM_400000_NS6detail17trampoline_kernelINS0_14default_configENS1_20scan_config_selectorIfEEZZNS1_9scan_implILNS1_25lookback_scan_determinismE0ELb0ELb0ES3_N6thrust23THRUST_200600_302600_NS6detail15normal_iteratorINS9_10device_ptrIfEEEENS9_16discard_iteratorINS9_11use_defaultEEEfNS9_4plusIvEEfEEDaPvRmT3_T4_T5_mT6_P12ihipStream_tbENKUlT_T0_E_clISt17integral_constantIbLb0EESX_EEDaSS_ST_EUlSS_E0_NS1_11comp_targetILNS1_3genE9ELNS1_11target_archE1100ELNS1_3gpuE3ELNS1_3repE0EEENS1_30default_config_static_selectorELNS0_4arch9wavefront6targetE1EEEvT1_
	.p2align	8
	.type	_ZN7rocprim17ROCPRIM_400000_NS6detail17trampoline_kernelINS0_14default_configENS1_20scan_config_selectorIfEEZZNS1_9scan_implILNS1_25lookback_scan_determinismE0ELb0ELb0ES3_N6thrust23THRUST_200600_302600_NS6detail15normal_iteratorINS9_10device_ptrIfEEEENS9_16discard_iteratorINS9_11use_defaultEEEfNS9_4plusIvEEfEEDaPvRmT3_T4_T5_mT6_P12ihipStream_tbENKUlT_T0_E_clISt17integral_constantIbLb0EESX_EEDaSS_ST_EUlSS_E0_NS1_11comp_targetILNS1_3genE9ELNS1_11target_archE1100ELNS1_3gpuE3ELNS1_3repE0EEENS1_30default_config_static_selectorELNS0_4arch9wavefront6targetE1EEEvT1_,@function
_ZN7rocprim17ROCPRIM_400000_NS6detail17trampoline_kernelINS0_14default_configENS1_20scan_config_selectorIfEEZZNS1_9scan_implILNS1_25lookback_scan_determinismE0ELb0ELb0ES3_N6thrust23THRUST_200600_302600_NS6detail15normal_iteratorINS9_10device_ptrIfEEEENS9_16discard_iteratorINS9_11use_defaultEEEfNS9_4plusIvEEfEEDaPvRmT3_T4_T5_mT6_P12ihipStream_tbENKUlT_T0_E_clISt17integral_constantIbLb0EESX_EEDaSS_ST_EUlSS_E0_NS1_11comp_targetILNS1_3genE9ELNS1_11target_archE1100ELNS1_3gpuE3ELNS1_3repE0EEENS1_30default_config_static_selectorELNS0_4arch9wavefront6targetE1EEEvT1_: ; @_ZN7rocprim17ROCPRIM_400000_NS6detail17trampoline_kernelINS0_14default_configENS1_20scan_config_selectorIfEEZZNS1_9scan_implILNS1_25lookback_scan_determinismE0ELb0ELb0ES3_N6thrust23THRUST_200600_302600_NS6detail15normal_iteratorINS9_10device_ptrIfEEEENS9_16discard_iteratorINS9_11use_defaultEEEfNS9_4plusIvEEfEEDaPvRmT3_T4_T5_mT6_P12ihipStream_tbENKUlT_T0_E_clISt17integral_constantIbLb0EESX_EEDaSS_ST_EUlSS_E0_NS1_11comp_targetILNS1_3genE9ELNS1_11target_archE1100ELNS1_3gpuE3ELNS1_3repE0EEENS1_30default_config_static_selectorELNS0_4arch9wavefront6targetE1EEEvT1_
; %bb.0:
	.section	.rodata,"a",@progbits
	.p2align	6, 0x0
	.amdhsa_kernel _ZN7rocprim17ROCPRIM_400000_NS6detail17trampoline_kernelINS0_14default_configENS1_20scan_config_selectorIfEEZZNS1_9scan_implILNS1_25lookback_scan_determinismE0ELb0ELb0ES3_N6thrust23THRUST_200600_302600_NS6detail15normal_iteratorINS9_10device_ptrIfEEEENS9_16discard_iteratorINS9_11use_defaultEEEfNS9_4plusIvEEfEEDaPvRmT3_T4_T5_mT6_P12ihipStream_tbENKUlT_T0_E_clISt17integral_constantIbLb0EESX_EEDaSS_ST_EUlSS_E0_NS1_11comp_targetILNS1_3genE9ELNS1_11target_archE1100ELNS1_3gpuE3ELNS1_3repE0EEENS1_30default_config_static_selectorELNS0_4arch9wavefront6targetE1EEEvT1_
		.amdhsa_group_segment_fixed_size 0
		.amdhsa_private_segment_fixed_size 0
		.amdhsa_kernarg_size 40
		.amdhsa_user_sgpr_count 6
		.amdhsa_user_sgpr_private_segment_buffer 1
		.amdhsa_user_sgpr_dispatch_ptr 0
		.amdhsa_user_sgpr_queue_ptr 0
		.amdhsa_user_sgpr_kernarg_segment_ptr 1
		.amdhsa_user_sgpr_dispatch_id 0
		.amdhsa_user_sgpr_flat_scratch_init 0
		.amdhsa_user_sgpr_kernarg_preload_length 0
		.amdhsa_user_sgpr_kernarg_preload_offset 0
		.amdhsa_user_sgpr_private_segment_size 0
		.amdhsa_uses_dynamic_stack 0
		.amdhsa_system_sgpr_private_segment_wavefront_offset 0
		.amdhsa_system_sgpr_workgroup_id_x 1
		.amdhsa_system_sgpr_workgroup_id_y 0
		.amdhsa_system_sgpr_workgroup_id_z 0
		.amdhsa_system_sgpr_workgroup_info 0
		.amdhsa_system_vgpr_workitem_id 0
		.amdhsa_next_free_vgpr 1
		.amdhsa_next_free_sgpr 0
		.amdhsa_accum_offset 4
		.amdhsa_reserve_vcc 0
		.amdhsa_reserve_flat_scratch 0
		.amdhsa_float_round_mode_32 0
		.amdhsa_float_round_mode_16_64 0
		.amdhsa_float_denorm_mode_32 3
		.amdhsa_float_denorm_mode_16_64 3
		.amdhsa_dx10_clamp 1
		.amdhsa_ieee_mode 1
		.amdhsa_fp16_overflow 0
		.amdhsa_tg_split 0
		.amdhsa_exception_fp_ieee_invalid_op 0
		.amdhsa_exception_fp_denorm_src 0
		.amdhsa_exception_fp_ieee_div_zero 0
		.amdhsa_exception_fp_ieee_overflow 0
		.amdhsa_exception_fp_ieee_underflow 0
		.amdhsa_exception_fp_ieee_inexact 0
		.amdhsa_exception_int_div_zero 0
	.end_amdhsa_kernel
	.section	.text._ZN7rocprim17ROCPRIM_400000_NS6detail17trampoline_kernelINS0_14default_configENS1_20scan_config_selectorIfEEZZNS1_9scan_implILNS1_25lookback_scan_determinismE0ELb0ELb0ES3_N6thrust23THRUST_200600_302600_NS6detail15normal_iteratorINS9_10device_ptrIfEEEENS9_16discard_iteratorINS9_11use_defaultEEEfNS9_4plusIvEEfEEDaPvRmT3_T4_T5_mT6_P12ihipStream_tbENKUlT_T0_E_clISt17integral_constantIbLb0EESX_EEDaSS_ST_EUlSS_E0_NS1_11comp_targetILNS1_3genE9ELNS1_11target_archE1100ELNS1_3gpuE3ELNS1_3repE0EEENS1_30default_config_static_selectorELNS0_4arch9wavefront6targetE1EEEvT1_,"axG",@progbits,_ZN7rocprim17ROCPRIM_400000_NS6detail17trampoline_kernelINS0_14default_configENS1_20scan_config_selectorIfEEZZNS1_9scan_implILNS1_25lookback_scan_determinismE0ELb0ELb0ES3_N6thrust23THRUST_200600_302600_NS6detail15normal_iteratorINS9_10device_ptrIfEEEENS9_16discard_iteratorINS9_11use_defaultEEEfNS9_4plusIvEEfEEDaPvRmT3_T4_T5_mT6_P12ihipStream_tbENKUlT_T0_E_clISt17integral_constantIbLb0EESX_EEDaSS_ST_EUlSS_E0_NS1_11comp_targetILNS1_3genE9ELNS1_11target_archE1100ELNS1_3gpuE3ELNS1_3repE0EEENS1_30default_config_static_selectorELNS0_4arch9wavefront6targetE1EEEvT1_,comdat
.Lfunc_end5022:
	.size	_ZN7rocprim17ROCPRIM_400000_NS6detail17trampoline_kernelINS0_14default_configENS1_20scan_config_selectorIfEEZZNS1_9scan_implILNS1_25lookback_scan_determinismE0ELb0ELb0ES3_N6thrust23THRUST_200600_302600_NS6detail15normal_iteratorINS9_10device_ptrIfEEEENS9_16discard_iteratorINS9_11use_defaultEEEfNS9_4plusIvEEfEEDaPvRmT3_T4_T5_mT6_P12ihipStream_tbENKUlT_T0_E_clISt17integral_constantIbLb0EESX_EEDaSS_ST_EUlSS_E0_NS1_11comp_targetILNS1_3genE9ELNS1_11target_archE1100ELNS1_3gpuE3ELNS1_3repE0EEENS1_30default_config_static_selectorELNS0_4arch9wavefront6targetE1EEEvT1_, .Lfunc_end5022-_ZN7rocprim17ROCPRIM_400000_NS6detail17trampoline_kernelINS0_14default_configENS1_20scan_config_selectorIfEEZZNS1_9scan_implILNS1_25lookback_scan_determinismE0ELb0ELb0ES3_N6thrust23THRUST_200600_302600_NS6detail15normal_iteratorINS9_10device_ptrIfEEEENS9_16discard_iteratorINS9_11use_defaultEEEfNS9_4plusIvEEfEEDaPvRmT3_T4_T5_mT6_P12ihipStream_tbENKUlT_T0_E_clISt17integral_constantIbLb0EESX_EEDaSS_ST_EUlSS_E0_NS1_11comp_targetILNS1_3genE9ELNS1_11target_archE1100ELNS1_3gpuE3ELNS1_3repE0EEENS1_30default_config_static_selectorELNS0_4arch9wavefront6targetE1EEEvT1_
                                        ; -- End function
	.section	.AMDGPU.csdata,"",@progbits
; Kernel info:
; codeLenInByte = 0
; NumSgprs: 4
; NumVgprs: 0
; NumAgprs: 0
; TotalNumVgprs: 0
; ScratchSize: 0
; MemoryBound: 0
; FloatMode: 240
; IeeeMode: 1
; LDSByteSize: 0 bytes/workgroup (compile time only)
; SGPRBlocks: 0
; VGPRBlocks: 0
; NumSGPRsForWavesPerEU: 4
; NumVGPRsForWavesPerEU: 1
; AccumOffset: 4
; Occupancy: 8
; WaveLimiterHint : 0
; COMPUTE_PGM_RSRC2:SCRATCH_EN: 0
; COMPUTE_PGM_RSRC2:USER_SGPR: 6
; COMPUTE_PGM_RSRC2:TRAP_HANDLER: 0
; COMPUTE_PGM_RSRC2:TGID_X_EN: 1
; COMPUTE_PGM_RSRC2:TGID_Y_EN: 0
; COMPUTE_PGM_RSRC2:TGID_Z_EN: 0
; COMPUTE_PGM_RSRC2:TIDIG_COMP_CNT: 0
; COMPUTE_PGM_RSRC3_GFX90A:ACCUM_OFFSET: 0
; COMPUTE_PGM_RSRC3_GFX90A:TG_SPLIT: 0
	.section	.text._ZN7rocprim17ROCPRIM_400000_NS6detail17trampoline_kernelINS0_14default_configENS1_20scan_config_selectorIfEEZZNS1_9scan_implILNS1_25lookback_scan_determinismE0ELb0ELb0ES3_N6thrust23THRUST_200600_302600_NS6detail15normal_iteratorINS9_10device_ptrIfEEEENS9_16discard_iteratorINS9_11use_defaultEEEfNS9_4plusIvEEfEEDaPvRmT3_T4_T5_mT6_P12ihipStream_tbENKUlT_T0_E_clISt17integral_constantIbLb0EESX_EEDaSS_ST_EUlSS_E0_NS1_11comp_targetILNS1_3genE8ELNS1_11target_archE1030ELNS1_3gpuE2ELNS1_3repE0EEENS1_30default_config_static_selectorELNS0_4arch9wavefront6targetE1EEEvT1_,"axG",@progbits,_ZN7rocprim17ROCPRIM_400000_NS6detail17trampoline_kernelINS0_14default_configENS1_20scan_config_selectorIfEEZZNS1_9scan_implILNS1_25lookback_scan_determinismE0ELb0ELb0ES3_N6thrust23THRUST_200600_302600_NS6detail15normal_iteratorINS9_10device_ptrIfEEEENS9_16discard_iteratorINS9_11use_defaultEEEfNS9_4plusIvEEfEEDaPvRmT3_T4_T5_mT6_P12ihipStream_tbENKUlT_T0_E_clISt17integral_constantIbLb0EESX_EEDaSS_ST_EUlSS_E0_NS1_11comp_targetILNS1_3genE8ELNS1_11target_archE1030ELNS1_3gpuE2ELNS1_3repE0EEENS1_30default_config_static_selectorELNS0_4arch9wavefront6targetE1EEEvT1_,comdat
	.protected	_ZN7rocprim17ROCPRIM_400000_NS6detail17trampoline_kernelINS0_14default_configENS1_20scan_config_selectorIfEEZZNS1_9scan_implILNS1_25lookback_scan_determinismE0ELb0ELb0ES3_N6thrust23THRUST_200600_302600_NS6detail15normal_iteratorINS9_10device_ptrIfEEEENS9_16discard_iteratorINS9_11use_defaultEEEfNS9_4plusIvEEfEEDaPvRmT3_T4_T5_mT6_P12ihipStream_tbENKUlT_T0_E_clISt17integral_constantIbLb0EESX_EEDaSS_ST_EUlSS_E0_NS1_11comp_targetILNS1_3genE8ELNS1_11target_archE1030ELNS1_3gpuE2ELNS1_3repE0EEENS1_30default_config_static_selectorELNS0_4arch9wavefront6targetE1EEEvT1_ ; -- Begin function _ZN7rocprim17ROCPRIM_400000_NS6detail17trampoline_kernelINS0_14default_configENS1_20scan_config_selectorIfEEZZNS1_9scan_implILNS1_25lookback_scan_determinismE0ELb0ELb0ES3_N6thrust23THRUST_200600_302600_NS6detail15normal_iteratorINS9_10device_ptrIfEEEENS9_16discard_iteratorINS9_11use_defaultEEEfNS9_4plusIvEEfEEDaPvRmT3_T4_T5_mT6_P12ihipStream_tbENKUlT_T0_E_clISt17integral_constantIbLb0EESX_EEDaSS_ST_EUlSS_E0_NS1_11comp_targetILNS1_3genE8ELNS1_11target_archE1030ELNS1_3gpuE2ELNS1_3repE0EEENS1_30default_config_static_selectorELNS0_4arch9wavefront6targetE1EEEvT1_
	.globl	_ZN7rocprim17ROCPRIM_400000_NS6detail17trampoline_kernelINS0_14default_configENS1_20scan_config_selectorIfEEZZNS1_9scan_implILNS1_25lookback_scan_determinismE0ELb0ELb0ES3_N6thrust23THRUST_200600_302600_NS6detail15normal_iteratorINS9_10device_ptrIfEEEENS9_16discard_iteratorINS9_11use_defaultEEEfNS9_4plusIvEEfEEDaPvRmT3_T4_T5_mT6_P12ihipStream_tbENKUlT_T0_E_clISt17integral_constantIbLb0EESX_EEDaSS_ST_EUlSS_E0_NS1_11comp_targetILNS1_3genE8ELNS1_11target_archE1030ELNS1_3gpuE2ELNS1_3repE0EEENS1_30default_config_static_selectorELNS0_4arch9wavefront6targetE1EEEvT1_
	.p2align	8
	.type	_ZN7rocprim17ROCPRIM_400000_NS6detail17trampoline_kernelINS0_14default_configENS1_20scan_config_selectorIfEEZZNS1_9scan_implILNS1_25lookback_scan_determinismE0ELb0ELb0ES3_N6thrust23THRUST_200600_302600_NS6detail15normal_iteratorINS9_10device_ptrIfEEEENS9_16discard_iteratorINS9_11use_defaultEEEfNS9_4plusIvEEfEEDaPvRmT3_T4_T5_mT6_P12ihipStream_tbENKUlT_T0_E_clISt17integral_constantIbLb0EESX_EEDaSS_ST_EUlSS_E0_NS1_11comp_targetILNS1_3genE8ELNS1_11target_archE1030ELNS1_3gpuE2ELNS1_3repE0EEENS1_30default_config_static_selectorELNS0_4arch9wavefront6targetE1EEEvT1_,@function
_ZN7rocprim17ROCPRIM_400000_NS6detail17trampoline_kernelINS0_14default_configENS1_20scan_config_selectorIfEEZZNS1_9scan_implILNS1_25lookback_scan_determinismE0ELb0ELb0ES3_N6thrust23THRUST_200600_302600_NS6detail15normal_iteratorINS9_10device_ptrIfEEEENS9_16discard_iteratorINS9_11use_defaultEEEfNS9_4plusIvEEfEEDaPvRmT3_T4_T5_mT6_P12ihipStream_tbENKUlT_T0_E_clISt17integral_constantIbLb0EESX_EEDaSS_ST_EUlSS_E0_NS1_11comp_targetILNS1_3genE8ELNS1_11target_archE1030ELNS1_3gpuE2ELNS1_3repE0EEENS1_30default_config_static_selectorELNS0_4arch9wavefront6targetE1EEEvT1_: ; @_ZN7rocprim17ROCPRIM_400000_NS6detail17trampoline_kernelINS0_14default_configENS1_20scan_config_selectorIfEEZZNS1_9scan_implILNS1_25lookback_scan_determinismE0ELb0ELb0ES3_N6thrust23THRUST_200600_302600_NS6detail15normal_iteratorINS9_10device_ptrIfEEEENS9_16discard_iteratorINS9_11use_defaultEEEfNS9_4plusIvEEfEEDaPvRmT3_T4_T5_mT6_P12ihipStream_tbENKUlT_T0_E_clISt17integral_constantIbLb0EESX_EEDaSS_ST_EUlSS_E0_NS1_11comp_targetILNS1_3genE8ELNS1_11target_archE1030ELNS1_3gpuE2ELNS1_3repE0EEENS1_30default_config_static_selectorELNS0_4arch9wavefront6targetE1EEEvT1_
; %bb.0:
	.section	.rodata,"a",@progbits
	.p2align	6, 0x0
	.amdhsa_kernel _ZN7rocprim17ROCPRIM_400000_NS6detail17trampoline_kernelINS0_14default_configENS1_20scan_config_selectorIfEEZZNS1_9scan_implILNS1_25lookback_scan_determinismE0ELb0ELb0ES3_N6thrust23THRUST_200600_302600_NS6detail15normal_iteratorINS9_10device_ptrIfEEEENS9_16discard_iteratorINS9_11use_defaultEEEfNS9_4plusIvEEfEEDaPvRmT3_T4_T5_mT6_P12ihipStream_tbENKUlT_T0_E_clISt17integral_constantIbLb0EESX_EEDaSS_ST_EUlSS_E0_NS1_11comp_targetILNS1_3genE8ELNS1_11target_archE1030ELNS1_3gpuE2ELNS1_3repE0EEENS1_30default_config_static_selectorELNS0_4arch9wavefront6targetE1EEEvT1_
		.amdhsa_group_segment_fixed_size 0
		.amdhsa_private_segment_fixed_size 0
		.amdhsa_kernarg_size 40
		.amdhsa_user_sgpr_count 6
		.amdhsa_user_sgpr_private_segment_buffer 1
		.amdhsa_user_sgpr_dispatch_ptr 0
		.amdhsa_user_sgpr_queue_ptr 0
		.amdhsa_user_sgpr_kernarg_segment_ptr 1
		.amdhsa_user_sgpr_dispatch_id 0
		.amdhsa_user_sgpr_flat_scratch_init 0
		.amdhsa_user_sgpr_kernarg_preload_length 0
		.amdhsa_user_sgpr_kernarg_preload_offset 0
		.amdhsa_user_sgpr_private_segment_size 0
		.amdhsa_uses_dynamic_stack 0
		.amdhsa_system_sgpr_private_segment_wavefront_offset 0
		.amdhsa_system_sgpr_workgroup_id_x 1
		.amdhsa_system_sgpr_workgroup_id_y 0
		.amdhsa_system_sgpr_workgroup_id_z 0
		.amdhsa_system_sgpr_workgroup_info 0
		.amdhsa_system_vgpr_workitem_id 0
		.amdhsa_next_free_vgpr 1
		.amdhsa_next_free_sgpr 0
		.amdhsa_accum_offset 4
		.amdhsa_reserve_vcc 0
		.amdhsa_reserve_flat_scratch 0
		.amdhsa_float_round_mode_32 0
		.amdhsa_float_round_mode_16_64 0
		.amdhsa_float_denorm_mode_32 3
		.amdhsa_float_denorm_mode_16_64 3
		.amdhsa_dx10_clamp 1
		.amdhsa_ieee_mode 1
		.amdhsa_fp16_overflow 0
		.amdhsa_tg_split 0
		.amdhsa_exception_fp_ieee_invalid_op 0
		.amdhsa_exception_fp_denorm_src 0
		.amdhsa_exception_fp_ieee_div_zero 0
		.amdhsa_exception_fp_ieee_overflow 0
		.amdhsa_exception_fp_ieee_underflow 0
		.amdhsa_exception_fp_ieee_inexact 0
		.amdhsa_exception_int_div_zero 0
	.end_amdhsa_kernel
	.section	.text._ZN7rocprim17ROCPRIM_400000_NS6detail17trampoline_kernelINS0_14default_configENS1_20scan_config_selectorIfEEZZNS1_9scan_implILNS1_25lookback_scan_determinismE0ELb0ELb0ES3_N6thrust23THRUST_200600_302600_NS6detail15normal_iteratorINS9_10device_ptrIfEEEENS9_16discard_iteratorINS9_11use_defaultEEEfNS9_4plusIvEEfEEDaPvRmT3_T4_T5_mT6_P12ihipStream_tbENKUlT_T0_E_clISt17integral_constantIbLb0EESX_EEDaSS_ST_EUlSS_E0_NS1_11comp_targetILNS1_3genE8ELNS1_11target_archE1030ELNS1_3gpuE2ELNS1_3repE0EEENS1_30default_config_static_selectorELNS0_4arch9wavefront6targetE1EEEvT1_,"axG",@progbits,_ZN7rocprim17ROCPRIM_400000_NS6detail17trampoline_kernelINS0_14default_configENS1_20scan_config_selectorIfEEZZNS1_9scan_implILNS1_25lookback_scan_determinismE0ELb0ELb0ES3_N6thrust23THRUST_200600_302600_NS6detail15normal_iteratorINS9_10device_ptrIfEEEENS9_16discard_iteratorINS9_11use_defaultEEEfNS9_4plusIvEEfEEDaPvRmT3_T4_T5_mT6_P12ihipStream_tbENKUlT_T0_E_clISt17integral_constantIbLb0EESX_EEDaSS_ST_EUlSS_E0_NS1_11comp_targetILNS1_3genE8ELNS1_11target_archE1030ELNS1_3gpuE2ELNS1_3repE0EEENS1_30default_config_static_selectorELNS0_4arch9wavefront6targetE1EEEvT1_,comdat
.Lfunc_end5023:
	.size	_ZN7rocprim17ROCPRIM_400000_NS6detail17trampoline_kernelINS0_14default_configENS1_20scan_config_selectorIfEEZZNS1_9scan_implILNS1_25lookback_scan_determinismE0ELb0ELb0ES3_N6thrust23THRUST_200600_302600_NS6detail15normal_iteratorINS9_10device_ptrIfEEEENS9_16discard_iteratorINS9_11use_defaultEEEfNS9_4plusIvEEfEEDaPvRmT3_T4_T5_mT6_P12ihipStream_tbENKUlT_T0_E_clISt17integral_constantIbLb0EESX_EEDaSS_ST_EUlSS_E0_NS1_11comp_targetILNS1_3genE8ELNS1_11target_archE1030ELNS1_3gpuE2ELNS1_3repE0EEENS1_30default_config_static_selectorELNS0_4arch9wavefront6targetE1EEEvT1_, .Lfunc_end5023-_ZN7rocprim17ROCPRIM_400000_NS6detail17trampoline_kernelINS0_14default_configENS1_20scan_config_selectorIfEEZZNS1_9scan_implILNS1_25lookback_scan_determinismE0ELb0ELb0ES3_N6thrust23THRUST_200600_302600_NS6detail15normal_iteratorINS9_10device_ptrIfEEEENS9_16discard_iteratorINS9_11use_defaultEEEfNS9_4plusIvEEfEEDaPvRmT3_T4_T5_mT6_P12ihipStream_tbENKUlT_T0_E_clISt17integral_constantIbLb0EESX_EEDaSS_ST_EUlSS_E0_NS1_11comp_targetILNS1_3genE8ELNS1_11target_archE1030ELNS1_3gpuE2ELNS1_3repE0EEENS1_30default_config_static_selectorELNS0_4arch9wavefront6targetE1EEEvT1_
                                        ; -- End function
	.section	.AMDGPU.csdata,"",@progbits
; Kernel info:
; codeLenInByte = 0
; NumSgprs: 4
; NumVgprs: 0
; NumAgprs: 0
; TotalNumVgprs: 0
; ScratchSize: 0
; MemoryBound: 0
; FloatMode: 240
; IeeeMode: 1
; LDSByteSize: 0 bytes/workgroup (compile time only)
; SGPRBlocks: 0
; VGPRBlocks: 0
; NumSGPRsForWavesPerEU: 4
; NumVGPRsForWavesPerEU: 1
; AccumOffset: 4
; Occupancy: 8
; WaveLimiterHint : 0
; COMPUTE_PGM_RSRC2:SCRATCH_EN: 0
; COMPUTE_PGM_RSRC2:USER_SGPR: 6
; COMPUTE_PGM_RSRC2:TRAP_HANDLER: 0
; COMPUTE_PGM_RSRC2:TGID_X_EN: 1
; COMPUTE_PGM_RSRC2:TGID_Y_EN: 0
; COMPUTE_PGM_RSRC2:TGID_Z_EN: 0
; COMPUTE_PGM_RSRC2:TIDIG_COMP_CNT: 0
; COMPUTE_PGM_RSRC3_GFX90A:ACCUM_OFFSET: 0
; COMPUTE_PGM_RSRC3_GFX90A:TG_SPLIT: 0
	.section	.text._ZN7rocprim17ROCPRIM_400000_NS6detail17trampoline_kernelINS0_14default_configENS1_20scan_config_selectorIfEEZZNS1_9scan_implILNS1_25lookback_scan_determinismE0ELb0ELb0ES3_N6thrust23THRUST_200600_302600_NS6detail15normal_iteratorINS9_10device_ptrIfEEEENS9_16discard_iteratorINS9_11use_defaultEEEfNS9_4plusIvEEfEEDaPvRmT3_T4_T5_mT6_P12ihipStream_tbENKUlT_T0_E_clISt17integral_constantIbLb1EESX_EEDaSS_ST_EUlSS_E_NS1_11comp_targetILNS1_3genE0ELNS1_11target_archE4294967295ELNS1_3gpuE0ELNS1_3repE0EEENS1_30default_config_static_selectorELNS0_4arch9wavefront6targetE1EEEvT1_,"axG",@progbits,_ZN7rocprim17ROCPRIM_400000_NS6detail17trampoline_kernelINS0_14default_configENS1_20scan_config_selectorIfEEZZNS1_9scan_implILNS1_25lookback_scan_determinismE0ELb0ELb0ES3_N6thrust23THRUST_200600_302600_NS6detail15normal_iteratorINS9_10device_ptrIfEEEENS9_16discard_iteratorINS9_11use_defaultEEEfNS9_4plusIvEEfEEDaPvRmT3_T4_T5_mT6_P12ihipStream_tbENKUlT_T0_E_clISt17integral_constantIbLb1EESX_EEDaSS_ST_EUlSS_E_NS1_11comp_targetILNS1_3genE0ELNS1_11target_archE4294967295ELNS1_3gpuE0ELNS1_3repE0EEENS1_30default_config_static_selectorELNS0_4arch9wavefront6targetE1EEEvT1_,comdat
	.protected	_ZN7rocprim17ROCPRIM_400000_NS6detail17trampoline_kernelINS0_14default_configENS1_20scan_config_selectorIfEEZZNS1_9scan_implILNS1_25lookback_scan_determinismE0ELb0ELb0ES3_N6thrust23THRUST_200600_302600_NS6detail15normal_iteratorINS9_10device_ptrIfEEEENS9_16discard_iteratorINS9_11use_defaultEEEfNS9_4plusIvEEfEEDaPvRmT3_T4_T5_mT6_P12ihipStream_tbENKUlT_T0_E_clISt17integral_constantIbLb1EESX_EEDaSS_ST_EUlSS_E_NS1_11comp_targetILNS1_3genE0ELNS1_11target_archE4294967295ELNS1_3gpuE0ELNS1_3repE0EEENS1_30default_config_static_selectorELNS0_4arch9wavefront6targetE1EEEvT1_ ; -- Begin function _ZN7rocprim17ROCPRIM_400000_NS6detail17trampoline_kernelINS0_14default_configENS1_20scan_config_selectorIfEEZZNS1_9scan_implILNS1_25lookback_scan_determinismE0ELb0ELb0ES3_N6thrust23THRUST_200600_302600_NS6detail15normal_iteratorINS9_10device_ptrIfEEEENS9_16discard_iteratorINS9_11use_defaultEEEfNS9_4plusIvEEfEEDaPvRmT3_T4_T5_mT6_P12ihipStream_tbENKUlT_T0_E_clISt17integral_constantIbLb1EESX_EEDaSS_ST_EUlSS_E_NS1_11comp_targetILNS1_3genE0ELNS1_11target_archE4294967295ELNS1_3gpuE0ELNS1_3repE0EEENS1_30default_config_static_selectorELNS0_4arch9wavefront6targetE1EEEvT1_
	.globl	_ZN7rocprim17ROCPRIM_400000_NS6detail17trampoline_kernelINS0_14default_configENS1_20scan_config_selectorIfEEZZNS1_9scan_implILNS1_25lookback_scan_determinismE0ELb0ELb0ES3_N6thrust23THRUST_200600_302600_NS6detail15normal_iteratorINS9_10device_ptrIfEEEENS9_16discard_iteratorINS9_11use_defaultEEEfNS9_4plusIvEEfEEDaPvRmT3_T4_T5_mT6_P12ihipStream_tbENKUlT_T0_E_clISt17integral_constantIbLb1EESX_EEDaSS_ST_EUlSS_E_NS1_11comp_targetILNS1_3genE0ELNS1_11target_archE4294967295ELNS1_3gpuE0ELNS1_3repE0EEENS1_30default_config_static_selectorELNS0_4arch9wavefront6targetE1EEEvT1_
	.p2align	8
	.type	_ZN7rocprim17ROCPRIM_400000_NS6detail17trampoline_kernelINS0_14default_configENS1_20scan_config_selectorIfEEZZNS1_9scan_implILNS1_25lookback_scan_determinismE0ELb0ELb0ES3_N6thrust23THRUST_200600_302600_NS6detail15normal_iteratorINS9_10device_ptrIfEEEENS9_16discard_iteratorINS9_11use_defaultEEEfNS9_4plusIvEEfEEDaPvRmT3_T4_T5_mT6_P12ihipStream_tbENKUlT_T0_E_clISt17integral_constantIbLb1EESX_EEDaSS_ST_EUlSS_E_NS1_11comp_targetILNS1_3genE0ELNS1_11target_archE4294967295ELNS1_3gpuE0ELNS1_3repE0EEENS1_30default_config_static_selectorELNS0_4arch9wavefront6targetE1EEEvT1_,@function
_ZN7rocprim17ROCPRIM_400000_NS6detail17trampoline_kernelINS0_14default_configENS1_20scan_config_selectorIfEEZZNS1_9scan_implILNS1_25lookback_scan_determinismE0ELb0ELb0ES3_N6thrust23THRUST_200600_302600_NS6detail15normal_iteratorINS9_10device_ptrIfEEEENS9_16discard_iteratorINS9_11use_defaultEEEfNS9_4plusIvEEfEEDaPvRmT3_T4_T5_mT6_P12ihipStream_tbENKUlT_T0_E_clISt17integral_constantIbLb1EESX_EEDaSS_ST_EUlSS_E_NS1_11comp_targetILNS1_3genE0ELNS1_11target_archE4294967295ELNS1_3gpuE0ELNS1_3repE0EEENS1_30default_config_static_selectorELNS0_4arch9wavefront6targetE1EEEvT1_: ; @_ZN7rocprim17ROCPRIM_400000_NS6detail17trampoline_kernelINS0_14default_configENS1_20scan_config_selectorIfEEZZNS1_9scan_implILNS1_25lookback_scan_determinismE0ELb0ELb0ES3_N6thrust23THRUST_200600_302600_NS6detail15normal_iteratorINS9_10device_ptrIfEEEENS9_16discard_iteratorINS9_11use_defaultEEEfNS9_4plusIvEEfEEDaPvRmT3_T4_T5_mT6_P12ihipStream_tbENKUlT_T0_E_clISt17integral_constantIbLb1EESX_EEDaSS_ST_EUlSS_E_NS1_11comp_targetILNS1_3genE0ELNS1_11target_archE4294967295ELNS1_3gpuE0ELNS1_3repE0EEENS1_30default_config_static_selectorELNS0_4arch9wavefront6targetE1EEEvT1_
; %bb.0:
	.section	.rodata,"a",@progbits
	.p2align	6, 0x0
	.amdhsa_kernel _ZN7rocprim17ROCPRIM_400000_NS6detail17trampoline_kernelINS0_14default_configENS1_20scan_config_selectorIfEEZZNS1_9scan_implILNS1_25lookback_scan_determinismE0ELb0ELb0ES3_N6thrust23THRUST_200600_302600_NS6detail15normal_iteratorINS9_10device_ptrIfEEEENS9_16discard_iteratorINS9_11use_defaultEEEfNS9_4plusIvEEfEEDaPvRmT3_T4_T5_mT6_P12ihipStream_tbENKUlT_T0_E_clISt17integral_constantIbLb1EESX_EEDaSS_ST_EUlSS_E_NS1_11comp_targetILNS1_3genE0ELNS1_11target_archE4294967295ELNS1_3gpuE0ELNS1_3repE0EEENS1_30default_config_static_selectorELNS0_4arch9wavefront6targetE1EEEvT1_
		.amdhsa_group_segment_fixed_size 0
		.amdhsa_private_segment_fixed_size 0
		.amdhsa_kernarg_size 104
		.amdhsa_user_sgpr_count 6
		.amdhsa_user_sgpr_private_segment_buffer 1
		.amdhsa_user_sgpr_dispatch_ptr 0
		.amdhsa_user_sgpr_queue_ptr 0
		.amdhsa_user_sgpr_kernarg_segment_ptr 1
		.amdhsa_user_sgpr_dispatch_id 0
		.amdhsa_user_sgpr_flat_scratch_init 0
		.amdhsa_user_sgpr_kernarg_preload_length 0
		.amdhsa_user_sgpr_kernarg_preload_offset 0
		.amdhsa_user_sgpr_private_segment_size 0
		.amdhsa_uses_dynamic_stack 0
		.amdhsa_system_sgpr_private_segment_wavefront_offset 0
		.amdhsa_system_sgpr_workgroup_id_x 1
		.amdhsa_system_sgpr_workgroup_id_y 0
		.amdhsa_system_sgpr_workgroup_id_z 0
		.amdhsa_system_sgpr_workgroup_info 0
		.amdhsa_system_vgpr_workitem_id 0
		.amdhsa_next_free_vgpr 1
		.amdhsa_next_free_sgpr 0
		.amdhsa_accum_offset 4
		.amdhsa_reserve_vcc 0
		.amdhsa_reserve_flat_scratch 0
		.amdhsa_float_round_mode_32 0
		.amdhsa_float_round_mode_16_64 0
		.amdhsa_float_denorm_mode_32 3
		.amdhsa_float_denorm_mode_16_64 3
		.amdhsa_dx10_clamp 1
		.amdhsa_ieee_mode 1
		.amdhsa_fp16_overflow 0
		.amdhsa_tg_split 0
		.amdhsa_exception_fp_ieee_invalid_op 0
		.amdhsa_exception_fp_denorm_src 0
		.amdhsa_exception_fp_ieee_div_zero 0
		.amdhsa_exception_fp_ieee_overflow 0
		.amdhsa_exception_fp_ieee_underflow 0
		.amdhsa_exception_fp_ieee_inexact 0
		.amdhsa_exception_int_div_zero 0
	.end_amdhsa_kernel
	.section	.text._ZN7rocprim17ROCPRIM_400000_NS6detail17trampoline_kernelINS0_14default_configENS1_20scan_config_selectorIfEEZZNS1_9scan_implILNS1_25lookback_scan_determinismE0ELb0ELb0ES3_N6thrust23THRUST_200600_302600_NS6detail15normal_iteratorINS9_10device_ptrIfEEEENS9_16discard_iteratorINS9_11use_defaultEEEfNS9_4plusIvEEfEEDaPvRmT3_T4_T5_mT6_P12ihipStream_tbENKUlT_T0_E_clISt17integral_constantIbLb1EESX_EEDaSS_ST_EUlSS_E_NS1_11comp_targetILNS1_3genE0ELNS1_11target_archE4294967295ELNS1_3gpuE0ELNS1_3repE0EEENS1_30default_config_static_selectorELNS0_4arch9wavefront6targetE1EEEvT1_,"axG",@progbits,_ZN7rocprim17ROCPRIM_400000_NS6detail17trampoline_kernelINS0_14default_configENS1_20scan_config_selectorIfEEZZNS1_9scan_implILNS1_25lookback_scan_determinismE0ELb0ELb0ES3_N6thrust23THRUST_200600_302600_NS6detail15normal_iteratorINS9_10device_ptrIfEEEENS9_16discard_iteratorINS9_11use_defaultEEEfNS9_4plusIvEEfEEDaPvRmT3_T4_T5_mT6_P12ihipStream_tbENKUlT_T0_E_clISt17integral_constantIbLb1EESX_EEDaSS_ST_EUlSS_E_NS1_11comp_targetILNS1_3genE0ELNS1_11target_archE4294967295ELNS1_3gpuE0ELNS1_3repE0EEENS1_30default_config_static_selectorELNS0_4arch9wavefront6targetE1EEEvT1_,comdat
.Lfunc_end5024:
	.size	_ZN7rocprim17ROCPRIM_400000_NS6detail17trampoline_kernelINS0_14default_configENS1_20scan_config_selectorIfEEZZNS1_9scan_implILNS1_25lookback_scan_determinismE0ELb0ELb0ES3_N6thrust23THRUST_200600_302600_NS6detail15normal_iteratorINS9_10device_ptrIfEEEENS9_16discard_iteratorINS9_11use_defaultEEEfNS9_4plusIvEEfEEDaPvRmT3_T4_T5_mT6_P12ihipStream_tbENKUlT_T0_E_clISt17integral_constantIbLb1EESX_EEDaSS_ST_EUlSS_E_NS1_11comp_targetILNS1_3genE0ELNS1_11target_archE4294967295ELNS1_3gpuE0ELNS1_3repE0EEENS1_30default_config_static_selectorELNS0_4arch9wavefront6targetE1EEEvT1_, .Lfunc_end5024-_ZN7rocprim17ROCPRIM_400000_NS6detail17trampoline_kernelINS0_14default_configENS1_20scan_config_selectorIfEEZZNS1_9scan_implILNS1_25lookback_scan_determinismE0ELb0ELb0ES3_N6thrust23THRUST_200600_302600_NS6detail15normal_iteratorINS9_10device_ptrIfEEEENS9_16discard_iteratorINS9_11use_defaultEEEfNS9_4plusIvEEfEEDaPvRmT3_T4_T5_mT6_P12ihipStream_tbENKUlT_T0_E_clISt17integral_constantIbLb1EESX_EEDaSS_ST_EUlSS_E_NS1_11comp_targetILNS1_3genE0ELNS1_11target_archE4294967295ELNS1_3gpuE0ELNS1_3repE0EEENS1_30default_config_static_selectorELNS0_4arch9wavefront6targetE1EEEvT1_
                                        ; -- End function
	.section	.AMDGPU.csdata,"",@progbits
; Kernel info:
; codeLenInByte = 0
; NumSgprs: 4
; NumVgprs: 0
; NumAgprs: 0
; TotalNumVgprs: 0
; ScratchSize: 0
; MemoryBound: 0
; FloatMode: 240
; IeeeMode: 1
; LDSByteSize: 0 bytes/workgroup (compile time only)
; SGPRBlocks: 0
; VGPRBlocks: 0
; NumSGPRsForWavesPerEU: 4
; NumVGPRsForWavesPerEU: 1
; AccumOffset: 4
; Occupancy: 8
; WaveLimiterHint : 0
; COMPUTE_PGM_RSRC2:SCRATCH_EN: 0
; COMPUTE_PGM_RSRC2:USER_SGPR: 6
; COMPUTE_PGM_RSRC2:TRAP_HANDLER: 0
; COMPUTE_PGM_RSRC2:TGID_X_EN: 1
; COMPUTE_PGM_RSRC2:TGID_Y_EN: 0
; COMPUTE_PGM_RSRC2:TGID_Z_EN: 0
; COMPUTE_PGM_RSRC2:TIDIG_COMP_CNT: 0
; COMPUTE_PGM_RSRC3_GFX90A:ACCUM_OFFSET: 0
; COMPUTE_PGM_RSRC3_GFX90A:TG_SPLIT: 0
	.section	.text._ZN7rocprim17ROCPRIM_400000_NS6detail17trampoline_kernelINS0_14default_configENS1_20scan_config_selectorIfEEZZNS1_9scan_implILNS1_25lookback_scan_determinismE0ELb0ELb0ES3_N6thrust23THRUST_200600_302600_NS6detail15normal_iteratorINS9_10device_ptrIfEEEENS9_16discard_iteratorINS9_11use_defaultEEEfNS9_4plusIvEEfEEDaPvRmT3_T4_T5_mT6_P12ihipStream_tbENKUlT_T0_E_clISt17integral_constantIbLb1EESX_EEDaSS_ST_EUlSS_E_NS1_11comp_targetILNS1_3genE5ELNS1_11target_archE942ELNS1_3gpuE9ELNS1_3repE0EEENS1_30default_config_static_selectorELNS0_4arch9wavefront6targetE1EEEvT1_,"axG",@progbits,_ZN7rocprim17ROCPRIM_400000_NS6detail17trampoline_kernelINS0_14default_configENS1_20scan_config_selectorIfEEZZNS1_9scan_implILNS1_25lookback_scan_determinismE0ELb0ELb0ES3_N6thrust23THRUST_200600_302600_NS6detail15normal_iteratorINS9_10device_ptrIfEEEENS9_16discard_iteratorINS9_11use_defaultEEEfNS9_4plusIvEEfEEDaPvRmT3_T4_T5_mT6_P12ihipStream_tbENKUlT_T0_E_clISt17integral_constantIbLb1EESX_EEDaSS_ST_EUlSS_E_NS1_11comp_targetILNS1_3genE5ELNS1_11target_archE942ELNS1_3gpuE9ELNS1_3repE0EEENS1_30default_config_static_selectorELNS0_4arch9wavefront6targetE1EEEvT1_,comdat
	.protected	_ZN7rocprim17ROCPRIM_400000_NS6detail17trampoline_kernelINS0_14default_configENS1_20scan_config_selectorIfEEZZNS1_9scan_implILNS1_25lookback_scan_determinismE0ELb0ELb0ES3_N6thrust23THRUST_200600_302600_NS6detail15normal_iteratorINS9_10device_ptrIfEEEENS9_16discard_iteratorINS9_11use_defaultEEEfNS9_4plusIvEEfEEDaPvRmT3_T4_T5_mT6_P12ihipStream_tbENKUlT_T0_E_clISt17integral_constantIbLb1EESX_EEDaSS_ST_EUlSS_E_NS1_11comp_targetILNS1_3genE5ELNS1_11target_archE942ELNS1_3gpuE9ELNS1_3repE0EEENS1_30default_config_static_selectorELNS0_4arch9wavefront6targetE1EEEvT1_ ; -- Begin function _ZN7rocprim17ROCPRIM_400000_NS6detail17trampoline_kernelINS0_14default_configENS1_20scan_config_selectorIfEEZZNS1_9scan_implILNS1_25lookback_scan_determinismE0ELb0ELb0ES3_N6thrust23THRUST_200600_302600_NS6detail15normal_iteratorINS9_10device_ptrIfEEEENS9_16discard_iteratorINS9_11use_defaultEEEfNS9_4plusIvEEfEEDaPvRmT3_T4_T5_mT6_P12ihipStream_tbENKUlT_T0_E_clISt17integral_constantIbLb1EESX_EEDaSS_ST_EUlSS_E_NS1_11comp_targetILNS1_3genE5ELNS1_11target_archE942ELNS1_3gpuE9ELNS1_3repE0EEENS1_30default_config_static_selectorELNS0_4arch9wavefront6targetE1EEEvT1_
	.globl	_ZN7rocprim17ROCPRIM_400000_NS6detail17trampoline_kernelINS0_14default_configENS1_20scan_config_selectorIfEEZZNS1_9scan_implILNS1_25lookback_scan_determinismE0ELb0ELb0ES3_N6thrust23THRUST_200600_302600_NS6detail15normal_iteratorINS9_10device_ptrIfEEEENS9_16discard_iteratorINS9_11use_defaultEEEfNS9_4plusIvEEfEEDaPvRmT3_T4_T5_mT6_P12ihipStream_tbENKUlT_T0_E_clISt17integral_constantIbLb1EESX_EEDaSS_ST_EUlSS_E_NS1_11comp_targetILNS1_3genE5ELNS1_11target_archE942ELNS1_3gpuE9ELNS1_3repE0EEENS1_30default_config_static_selectorELNS0_4arch9wavefront6targetE1EEEvT1_
	.p2align	8
	.type	_ZN7rocprim17ROCPRIM_400000_NS6detail17trampoline_kernelINS0_14default_configENS1_20scan_config_selectorIfEEZZNS1_9scan_implILNS1_25lookback_scan_determinismE0ELb0ELb0ES3_N6thrust23THRUST_200600_302600_NS6detail15normal_iteratorINS9_10device_ptrIfEEEENS9_16discard_iteratorINS9_11use_defaultEEEfNS9_4plusIvEEfEEDaPvRmT3_T4_T5_mT6_P12ihipStream_tbENKUlT_T0_E_clISt17integral_constantIbLb1EESX_EEDaSS_ST_EUlSS_E_NS1_11comp_targetILNS1_3genE5ELNS1_11target_archE942ELNS1_3gpuE9ELNS1_3repE0EEENS1_30default_config_static_selectorELNS0_4arch9wavefront6targetE1EEEvT1_,@function
_ZN7rocprim17ROCPRIM_400000_NS6detail17trampoline_kernelINS0_14default_configENS1_20scan_config_selectorIfEEZZNS1_9scan_implILNS1_25lookback_scan_determinismE0ELb0ELb0ES3_N6thrust23THRUST_200600_302600_NS6detail15normal_iteratorINS9_10device_ptrIfEEEENS9_16discard_iteratorINS9_11use_defaultEEEfNS9_4plusIvEEfEEDaPvRmT3_T4_T5_mT6_P12ihipStream_tbENKUlT_T0_E_clISt17integral_constantIbLb1EESX_EEDaSS_ST_EUlSS_E_NS1_11comp_targetILNS1_3genE5ELNS1_11target_archE942ELNS1_3gpuE9ELNS1_3repE0EEENS1_30default_config_static_selectorELNS0_4arch9wavefront6targetE1EEEvT1_: ; @_ZN7rocprim17ROCPRIM_400000_NS6detail17trampoline_kernelINS0_14default_configENS1_20scan_config_selectorIfEEZZNS1_9scan_implILNS1_25lookback_scan_determinismE0ELb0ELb0ES3_N6thrust23THRUST_200600_302600_NS6detail15normal_iteratorINS9_10device_ptrIfEEEENS9_16discard_iteratorINS9_11use_defaultEEEfNS9_4plusIvEEfEEDaPvRmT3_T4_T5_mT6_P12ihipStream_tbENKUlT_T0_E_clISt17integral_constantIbLb1EESX_EEDaSS_ST_EUlSS_E_NS1_11comp_targetILNS1_3genE5ELNS1_11target_archE942ELNS1_3gpuE9ELNS1_3repE0EEENS1_30default_config_static_selectorELNS0_4arch9wavefront6targetE1EEEvT1_
; %bb.0:
	.section	.rodata,"a",@progbits
	.p2align	6, 0x0
	.amdhsa_kernel _ZN7rocprim17ROCPRIM_400000_NS6detail17trampoline_kernelINS0_14default_configENS1_20scan_config_selectorIfEEZZNS1_9scan_implILNS1_25lookback_scan_determinismE0ELb0ELb0ES3_N6thrust23THRUST_200600_302600_NS6detail15normal_iteratorINS9_10device_ptrIfEEEENS9_16discard_iteratorINS9_11use_defaultEEEfNS9_4plusIvEEfEEDaPvRmT3_T4_T5_mT6_P12ihipStream_tbENKUlT_T0_E_clISt17integral_constantIbLb1EESX_EEDaSS_ST_EUlSS_E_NS1_11comp_targetILNS1_3genE5ELNS1_11target_archE942ELNS1_3gpuE9ELNS1_3repE0EEENS1_30default_config_static_selectorELNS0_4arch9wavefront6targetE1EEEvT1_
		.amdhsa_group_segment_fixed_size 0
		.amdhsa_private_segment_fixed_size 0
		.amdhsa_kernarg_size 104
		.amdhsa_user_sgpr_count 6
		.amdhsa_user_sgpr_private_segment_buffer 1
		.amdhsa_user_sgpr_dispatch_ptr 0
		.amdhsa_user_sgpr_queue_ptr 0
		.amdhsa_user_sgpr_kernarg_segment_ptr 1
		.amdhsa_user_sgpr_dispatch_id 0
		.amdhsa_user_sgpr_flat_scratch_init 0
		.amdhsa_user_sgpr_kernarg_preload_length 0
		.amdhsa_user_sgpr_kernarg_preload_offset 0
		.amdhsa_user_sgpr_private_segment_size 0
		.amdhsa_uses_dynamic_stack 0
		.amdhsa_system_sgpr_private_segment_wavefront_offset 0
		.amdhsa_system_sgpr_workgroup_id_x 1
		.amdhsa_system_sgpr_workgroup_id_y 0
		.amdhsa_system_sgpr_workgroup_id_z 0
		.amdhsa_system_sgpr_workgroup_info 0
		.amdhsa_system_vgpr_workitem_id 0
		.amdhsa_next_free_vgpr 1
		.amdhsa_next_free_sgpr 0
		.amdhsa_accum_offset 4
		.amdhsa_reserve_vcc 0
		.amdhsa_reserve_flat_scratch 0
		.amdhsa_float_round_mode_32 0
		.amdhsa_float_round_mode_16_64 0
		.amdhsa_float_denorm_mode_32 3
		.amdhsa_float_denorm_mode_16_64 3
		.amdhsa_dx10_clamp 1
		.amdhsa_ieee_mode 1
		.amdhsa_fp16_overflow 0
		.amdhsa_tg_split 0
		.amdhsa_exception_fp_ieee_invalid_op 0
		.amdhsa_exception_fp_denorm_src 0
		.amdhsa_exception_fp_ieee_div_zero 0
		.amdhsa_exception_fp_ieee_overflow 0
		.amdhsa_exception_fp_ieee_underflow 0
		.amdhsa_exception_fp_ieee_inexact 0
		.amdhsa_exception_int_div_zero 0
	.end_amdhsa_kernel
	.section	.text._ZN7rocprim17ROCPRIM_400000_NS6detail17trampoline_kernelINS0_14default_configENS1_20scan_config_selectorIfEEZZNS1_9scan_implILNS1_25lookback_scan_determinismE0ELb0ELb0ES3_N6thrust23THRUST_200600_302600_NS6detail15normal_iteratorINS9_10device_ptrIfEEEENS9_16discard_iteratorINS9_11use_defaultEEEfNS9_4plusIvEEfEEDaPvRmT3_T4_T5_mT6_P12ihipStream_tbENKUlT_T0_E_clISt17integral_constantIbLb1EESX_EEDaSS_ST_EUlSS_E_NS1_11comp_targetILNS1_3genE5ELNS1_11target_archE942ELNS1_3gpuE9ELNS1_3repE0EEENS1_30default_config_static_selectorELNS0_4arch9wavefront6targetE1EEEvT1_,"axG",@progbits,_ZN7rocprim17ROCPRIM_400000_NS6detail17trampoline_kernelINS0_14default_configENS1_20scan_config_selectorIfEEZZNS1_9scan_implILNS1_25lookback_scan_determinismE0ELb0ELb0ES3_N6thrust23THRUST_200600_302600_NS6detail15normal_iteratorINS9_10device_ptrIfEEEENS9_16discard_iteratorINS9_11use_defaultEEEfNS9_4plusIvEEfEEDaPvRmT3_T4_T5_mT6_P12ihipStream_tbENKUlT_T0_E_clISt17integral_constantIbLb1EESX_EEDaSS_ST_EUlSS_E_NS1_11comp_targetILNS1_3genE5ELNS1_11target_archE942ELNS1_3gpuE9ELNS1_3repE0EEENS1_30default_config_static_selectorELNS0_4arch9wavefront6targetE1EEEvT1_,comdat
.Lfunc_end5025:
	.size	_ZN7rocprim17ROCPRIM_400000_NS6detail17trampoline_kernelINS0_14default_configENS1_20scan_config_selectorIfEEZZNS1_9scan_implILNS1_25lookback_scan_determinismE0ELb0ELb0ES3_N6thrust23THRUST_200600_302600_NS6detail15normal_iteratorINS9_10device_ptrIfEEEENS9_16discard_iteratorINS9_11use_defaultEEEfNS9_4plusIvEEfEEDaPvRmT3_T4_T5_mT6_P12ihipStream_tbENKUlT_T0_E_clISt17integral_constantIbLb1EESX_EEDaSS_ST_EUlSS_E_NS1_11comp_targetILNS1_3genE5ELNS1_11target_archE942ELNS1_3gpuE9ELNS1_3repE0EEENS1_30default_config_static_selectorELNS0_4arch9wavefront6targetE1EEEvT1_, .Lfunc_end5025-_ZN7rocprim17ROCPRIM_400000_NS6detail17trampoline_kernelINS0_14default_configENS1_20scan_config_selectorIfEEZZNS1_9scan_implILNS1_25lookback_scan_determinismE0ELb0ELb0ES3_N6thrust23THRUST_200600_302600_NS6detail15normal_iteratorINS9_10device_ptrIfEEEENS9_16discard_iteratorINS9_11use_defaultEEEfNS9_4plusIvEEfEEDaPvRmT3_T4_T5_mT6_P12ihipStream_tbENKUlT_T0_E_clISt17integral_constantIbLb1EESX_EEDaSS_ST_EUlSS_E_NS1_11comp_targetILNS1_3genE5ELNS1_11target_archE942ELNS1_3gpuE9ELNS1_3repE0EEENS1_30default_config_static_selectorELNS0_4arch9wavefront6targetE1EEEvT1_
                                        ; -- End function
	.section	.AMDGPU.csdata,"",@progbits
; Kernel info:
; codeLenInByte = 0
; NumSgprs: 4
; NumVgprs: 0
; NumAgprs: 0
; TotalNumVgprs: 0
; ScratchSize: 0
; MemoryBound: 0
; FloatMode: 240
; IeeeMode: 1
; LDSByteSize: 0 bytes/workgroup (compile time only)
; SGPRBlocks: 0
; VGPRBlocks: 0
; NumSGPRsForWavesPerEU: 4
; NumVGPRsForWavesPerEU: 1
; AccumOffset: 4
; Occupancy: 8
; WaveLimiterHint : 0
; COMPUTE_PGM_RSRC2:SCRATCH_EN: 0
; COMPUTE_PGM_RSRC2:USER_SGPR: 6
; COMPUTE_PGM_RSRC2:TRAP_HANDLER: 0
; COMPUTE_PGM_RSRC2:TGID_X_EN: 1
; COMPUTE_PGM_RSRC2:TGID_Y_EN: 0
; COMPUTE_PGM_RSRC2:TGID_Z_EN: 0
; COMPUTE_PGM_RSRC2:TIDIG_COMP_CNT: 0
; COMPUTE_PGM_RSRC3_GFX90A:ACCUM_OFFSET: 0
; COMPUTE_PGM_RSRC3_GFX90A:TG_SPLIT: 0
	.section	.text._ZN7rocprim17ROCPRIM_400000_NS6detail17trampoline_kernelINS0_14default_configENS1_20scan_config_selectorIfEEZZNS1_9scan_implILNS1_25lookback_scan_determinismE0ELb0ELb0ES3_N6thrust23THRUST_200600_302600_NS6detail15normal_iteratorINS9_10device_ptrIfEEEENS9_16discard_iteratorINS9_11use_defaultEEEfNS9_4plusIvEEfEEDaPvRmT3_T4_T5_mT6_P12ihipStream_tbENKUlT_T0_E_clISt17integral_constantIbLb1EESX_EEDaSS_ST_EUlSS_E_NS1_11comp_targetILNS1_3genE4ELNS1_11target_archE910ELNS1_3gpuE8ELNS1_3repE0EEENS1_30default_config_static_selectorELNS0_4arch9wavefront6targetE1EEEvT1_,"axG",@progbits,_ZN7rocprim17ROCPRIM_400000_NS6detail17trampoline_kernelINS0_14default_configENS1_20scan_config_selectorIfEEZZNS1_9scan_implILNS1_25lookback_scan_determinismE0ELb0ELb0ES3_N6thrust23THRUST_200600_302600_NS6detail15normal_iteratorINS9_10device_ptrIfEEEENS9_16discard_iteratorINS9_11use_defaultEEEfNS9_4plusIvEEfEEDaPvRmT3_T4_T5_mT6_P12ihipStream_tbENKUlT_T0_E_clISt17integral_constantIbLb1EESX_EEDaSS_ST_EUlSS_E_NS1_11comp_targetILNS1_3genE4ELNS1_11target_archE910ELNS1_3gpuE8ELNS1_3repE0EEENS1_30default_config_static_selectorELNS0_4arch9wavefront6targetE1EEEvT1_,comdat
	.protected	_ZN7rocprim17ROCPRIM_400000_NS6detail17trampoline_kernelINS0_14default_configENS1_20scan_config_selectorIfEEZZNS1_9scan_implILNS1_25lookback_scan_determinismE0ELb0ELb0ES3_N6thrust23THRUST_200600_302600_NS6detail15normal_iteratorINS9_10device_ptrIfEEEENS9_16discard_iteratorINS9_11use_defaultEEEfNS9_4plusIvEEfEEDaPvRmT3_T4_T5_mT6_P12ihipStream_tbENKUlT_T0_E_clISt17integral_constantIbLb1EESX_EEDaSS_ST_EUlSS_E_NS1_11comp_targetILNS1_3genE4ELNS1_11target_archE910ELNS1_3gpuE8ELNS1_3repE0EEENS1_30default_config_static_selectorELNS0_4arch9wavefront6targetE1EEEvT1_ ; -- Begin function _ZN7rocprim17ROCPRIM_400000_NS6detail17trampoline_kernelINS0_14default_configENS1_20scan_config_selectorIfEEZZNS1_9scan_implILNS1_25lookback_scan_determinismE0ELb0ELb0ES3_N6thrust23THRUST_200600_302600_NS6detail15normal_iteratorINS9_10device_ptrIfEEEENS9_16discard_iteratorINS9_11use_defaultEEEfNS9_4plusIvEEfEEDaPvRmT3_T4_T5_mT6_P12ihipStream_tbENKUlT_T0_E_clISt17integral_constantIbLb1EESX_EEDaSS_ST_EUlSS_E_NS1_11comp_targetILNS1_3genE4ELNS1_11target_archE910ELNS1_3gpuE8ELNS1_3repE0EEENS1_30default_config_static_selectorELNS0_4arch9wavefront6targetE1EEEvT1_
	.globl	_ZN7rocprim17ROCPRIM_400000_NS6detail17trampoline_kernelINS0_14default_configENS1_20scan_config_selectorIfEEZZNS1_9scan_implILNS1_25lookback_scan_determinismE0ELb0ELb0ES3_N6thrust23THRUST_200600_302600_NS6detail15normal_iteratorINS9_10device_ptrIfEEEENS9_16discard_iteratorINS9_11use_defaultEEEfNS9_4plusIvEEfEEDaPvRmT3_T4_T5_mT6_P12ihipStream_tbENKUlT_T0_E_clISt17integral_constantIbLb1EESX_EEDaSS_ST_EUlSS_E_NS1_11comp_targetILNS1_3genE4ELNS1_11target_archE910ELNS1_3gpuE8ELNS1_3repE0EEENS1_30default_config_static_selectorELNS0_4arch9wavefront6targetE1EEEvT1_
	.p2align	8
	.type	_ZN7rocprim17ROCPRIM_400000_NS6detail17trampoline_kernelINS0_14default_configENS1_20scan_config_selectorIfEEZZNS1_9scan_implILNS1_25lookback_scan_determinismE0ELb0ELb0ES3_N6thrust23THRUST_200600_302600_NS6detail15normal_iteratorINS9_10device_ptrIfEEEENS9_16discard_iteratorINS9_11use_defaultEEEfNS9_4plusIvEEfEEDaPvRmT3_T4_T5_mT6_P12ihipStream_tbENKUlT_T0_E_clISt17integral_constantIbLb1EESX_EEDaSS_ST_EUlSS_E_NS1_11comp_targetILNS1_3genE4ELNS1_11target_archE910ELNS1_3gpuE8ELNS1_3repE0EEENS1_30default_config_static_selectorELNS0_4arch9wavefront6targetE1EEEvT1_,@function
_ZN7rocprim17ROCPRIM_400000_NS6detail17trampoline_kernelINS0_14default_configENS1_20scan_config_selectorIfEEZZNS1_9scan_implILNS1_25lookback_scan_determinismE0ELb0ELb0ES3_N6thrust23THRUST_200600_302600_NS6detail15normal_iteratorINS9_10device_ptrIfEEEENS9_16discard_iteratorINS9_11use_defaultEEEfNS9_4plusIvEEfEEDaPvRmT3_T4_T5_mT6_P12ihipStream_tbENKUlT_T0_E_clISt17integral_constantIbLb1EESX_EEDaSS_ST_EUlSS_E_NS1_11comp_targetILNS1_3genE4ELNS1_11target_archE910ELNS1_3gpuE8ELNS1_3repE0EEENS1_30default_config_static_selectorELNS0_4arch9wavefront6targetE1EEEvT1_: ; @_ZN7rocprim17ROCPRIM_400000_NS6detail17trampoline_kernelINS0_14default_configENS1_20scan_config_selectorIfEEZZNS1_9scan_implILNS1_25lookback_scan_determinismE0ELb0ELb0ES3_N6thrust23THRUST_200600_302600_NS6detail15normal_iteratorINS9_10device_ptrIfEEEENS9_16discard_iteratorINS9_11use_defaultEEEfNS9_4plusIvEEfEEDaPvRmT3_T4_T5_mT6_P12ihipStream_tbENKUlT_T0_E_clISt17integral_constantIbLb1EESX_EEDaSS_ST_EUlSS_E_NS1_11comp_targetILNS1_3genE4ELNS1_11target_archE910ELNS1_3gpuE8ELNS1_3repE0EEENS1_30default_config_static_selectorELNS0_4arch9wavefront6targetE1EEEvT1_
; %bb.0:
	s_load_dwordx2 s[6:7], s[4:5], 0x20
	s_load_dwordx2 s[14:15], s[4:5], 0x30
	v_cmp_ne_u32_e64 s[0:1], 0, v0
	v_cmp_eq_u32_e64 s[2:3], 0, v0
	s_and_saveexec_b64 s[8:9], s[2:3]
	s_cbranch_execz .LBB5026_4
; %bb.1:
	s_mov_b64 s[12:13], exec
	v_mbcnt_lo_u32_b32 v1, s12, 0
	v_mbcnt_hi_u32_b32 v1, s13, v1
	v_cmp_eq_u32_e32 vcc, 0, v1
                                        ; implicit-def: $vgpr2
	s_and_saveexec_b64 s[10:11], vcc
	s_cbranch_execz .LBB5026_3
; %bb.2:
	s_load_dwordx2 s[16:17], s[4:5], 0x60
	s_bcnt1_i32_b64 s12, s[12:13]
	v_mov_b32_e32 v2, 0
	v_mov_b32_e32 v3, s12
	s_waitcnt lgkmcnt(0)
	global_atomic_add v2, v2, v3, s[16:17] glc
.LBB5026_3:
	s_or_b64 exec, exec, s[10:11]
	s_waitcnt vmcnt(0)
	v_readfirstlane_b32 s10, v2
	v_add_u32_e32 v1, s10, v1
	v_mov_b32_e32 v2, 0
	ds_write_b32 v2, v1
.LBB5026_4:
	s_or_b64 exec, exec, s[8:9]
	v_mov_b32_e32 v3, 0
	s_load_dwordx4 s[8:11], s[4:5], 0x0
	s_load_dword s12, s[4:5], 0x38
	s_load_dwordx8 s[16:23], s[4:5], 0x40
	s_waitcnt lgkmcnt(0)
	s_barrier
	ds_read_b32 v1, v3
	s_lshl_b64 s[4:5], s[10:11], 2
	s_add_u32 s4, s8, s4
	s_movk_i32 s8, 0x700
	s_addc_u32 s5, s9, s5
	s_waitcnt lgkmcnt(0)
	v_mul_lo_u32 v2, v1, s8
	s_add_i32 s8, s12, -1
	s_mul_i32 s9, s8, 0x700
	s_sub_u32 s28, s6, s9
	v_readfirstlane_b32 s30, v1
	s_subb_u32 s29, s7, 0
	v_lshlrev_b64 v[2:3], 2, v[2:3]
	s_cmp_lg_u32 s30, s8
	v_mov_b32_e32 v1, s5
	v_add_co_u32_e32 v18, vcc, s4, v2
	s_cselect_b64 s[24:25], -1, 0
	v_addc_co_u32_e32 v19, vcc, v1, v3, vcc
	s_mov_b64 s[4:5], -1
	s_and_b64 vcc, exec, s[24:25]
	v_lshlrev_b32_e32 v20, 2, v0
	s_barrier
	s_cbranch_vccz .LBB5026_6
; %bb.5:
	v_add_co_u32_e32 v2, vcc, v18, v20
	v_addc_co_u32_e32 v3, vcc, 0, v19, vcc
	flat_load_dword v1, v[2:3]
	flat_load_dword v4, v[2:3] offset:512
	flat_load_dword v5, v[2:3] offset:1024
	;; [unrolled: 1-line block ×7, first 2 shown]
	v_add_co_u32_e32 v2, vcc, 0x1000, v2
	v_addc_co_u32_e32 v3, vcc, 0, v3, vcc
	flat_load_dword v11, v[2:3]
	flat_load_dword v12, v[2:3] offset:512
	flat_load_dword v13, v[2:3] offset:1024
	;; [unrolled: 1-line block ×5, first 2 shown]
	s_mov_b64 s[4:5], 0
	s_waitcnt vmcnt(0) lgkmcnt(0)
	ds_write2st64_b32 v20, v1, v4 offset1:2
	ds_write2st64_b32 v20, v5, v6 offset0:4 offset1:6
	ds_write2st64_b32 v20, v7, v8 offset0:8 offset1:10
	;; [unrolled: 1-line block ×6, first 2 shown]
	s_waitcnt lgkmcnt(0)
	s_barrier
.LBB5026_6:
	s_andn2_b64 vcc, exec, s[4:5]
	s_cbranch_vccnz .LBB5026_36
; %bb.7:
	flat_load_dword v1, v[18:19]
	v_cmp_gt_u32_e32 vcc, s28, v0
	s_waitcnt vmcnt(0) lgkmcnt(0)
	v_mov_b32_e32 v2, v1
	v_mov_b32_e32 v3, v1
	;; [unrolled: 1-line block ×12, first 2 shown]
	v_pk_mov_b32 v[16:17], v[14:15], v[14:15] op_sel:[0,1]
	v_pk_mov_b32 v[14:15], v[12:13], v[12:13] op_sel:[0,1]
	;; [unrolled: 1-line block ×8, first 2 shown]
	s_and_saveexec_b64 s[4:5], vcc
	s_cbranch_execz .LBB5026_9
; %bb.8:
	v_add_co_u32_e32 v2, vcc, v18, v20
	v_addc_co_u32_e32 v3, vcc, 0, v19, vcc
	flat_load_dword v21, v[2:3]
	v_mov_b32_e32 v2, v1
	v_mov_b32_e32 v3, v1
	;; [unrolled: 1-line block ×12, first 2 shown]
	v_pk_mov_b32 v[16:17], v[14:15], v[14:15] op_sel:[0,1]
	v_pk_mov_b32 v[14:15], v[12:13], v[12:13] op_sel:[0,1]
	;; [unrolled: 1-line block ×8, first 2 shown]
	s_waitcnt vmcnt(0) lgkmcnt(0)
	v_mov_b32_e32 v1, v21
.LBB5026_9:
	s_or_b64 exec, exec, s[4:5]
	v_or_b32_e32 v2, 0x80, v0
	v_cmp_gt_u32_e32 vcc, s28, v2
	s_and_saveexec_b64 s[4:5], vcc
	s_cbranch_execz .LBB5026_11
; %bb.10:
	v_add_co_u32_e32 v2, vcc, v18, v20
	v_addc_co_u32_e32 v3, vcc, 0, v19, vcc
	flat_load_dword v3, v[2:3] offset:512
.LBB5026_11:
	s_or_b64 exec, exec, s[4:5]
	v_or_b32_e32 v2, 0x100, v0
	v_cmp_gt_u32_e32 vcc, s28, v2
	s_and_saveexec_b64 s[4:5], vcc
	s_cbranch_execz .LBB5026_13
; %bb.12:
	v_add_co_u32_e32 v16, vcc, v18, v20
	v_addc_co_u32_e32 v17, vcc, 0, v19, vcc
	flat_load_dword v4, v[16:17] offset:1024
.LBB5026_13:
	;; [unrolled: 10-line block ×7, first 2 shown]
	s_or_b64 exec, exec, s[4:5]
	v_or_b32_e32 v2, 0x400, v0
	v_cmp_gt_u32_e32 vcc, s28, v2
	s_and_saveexec_b64 s[4:5], vcc
	s_cbranch_execz .LBB5026_25
; %bb.24:
	v_lshlrev_b32_e32 v2, 2, v2
	v_add_co_u32_e32 v16, vcc, v18, v2
	v_addc_co_u32_e32 v17, vcc, 0, v19, vcc
	flat_load_dword v10, v[16:17]
.LBB5026_25:
	s_or_b64 exec, exec, s[4:5]
	v_or_b32_e32 v2, 0x480, v0
	v_cmp_gt_u32_e32 vcc, s28, v2
	s_and_saveexec_b64 s[4:5], vcc
	s_cbranch_execz .LBB5026_27
; %bb.26:
	v_lshlrev_b32_e32 v2, 2, v2
	v_add_co_u32_e32 v16, vcc, v18, v2
	v_addc_co_u32_e32 v17, vcc, 0, v19, vcc
	flat_load_dword v11, v[16:17]
.LBB5026_27:
	;; [unrolled: 11-line block ×6, first 2 shown]
	s_or_b64 exec, exec, s[4:5]
	s_waitcnt vmcnt(0) lgkmcnt(0)
	ds_write2st64_b32 v20, v1, v3 offset1:2
	ds_write2st64_b32 v20, v4, v5 offset0:4 offset1:6
	ds_write2st64_b32 v20, v6, v7 offset0:8 offset1:10
	;; [unrolled: 1-line block ×6, first 2 shown]
	s_waitcnt lgkmcnt(0)
	s_barrier
.LBB5026_36:
	v_mul_u32_u24_e32 v32, 14, v0
	v_lshlrev_b32_e32 v33, 2, v32
	ds_read2_b64 v[2:5], v33 offset1:1
	ds_read2_b64 v[26:29], v33 offset0:2 offset1:3
	ds_read2_b64 v[22:25], v33 offset0:4 offset1:5
	ds_read_b64 v[30:31], v33 offset:48
	s_cmp_lg_u32 s30, 0
	v_lshrrev_b32_e32 v1, 5, v0
	v_cmp_gt_u32_e32 vcc, 64, v0
	s_waitcnt lgkmcnt(0)
	s_barrier
	s_cbranch_scc0 .LBB5026_65
; %bb.37:
	v_add_f32_e32 v6, v2, v3
	v_add_f32_e32 v6, v4, v6
	;; [unrolled: 1-line block ×13, first 2 shown]
	v_add_lshl_u32 v6, v1, v0, 2
	ds_write_b32 v6, v16
	s_waitcnt lgkmcnt(0)
	s_barrier
	s_and_saveexec_b64 s[10:11], vcc
	s_cbranch_execz .LBB5026_39
; %bb.38:
	v_lshlrev_b32_e32 v6, 1, v0
	v_lshrrev_b32_e32 v7, 4, v0
	v_add_lshl_u32 v8, v7, v6, 2
	ds_read2_b32 v[6:7], v8 offset1:1
	v_mbcnt_lo_u32_b32 v9, -1, 0
	v_mbcnt_hi_u32_b32 v9, -1, v9
	v_and_b32_e32 v10, 15, v9
	v_cmp_eq_u32_e64 s[4:5], 0, v10
	s_waitcnt lgkmcnt(0)
	v_add_f32_e32 v7, v6, v7
	v_cmp_lt_u32_e64 s[6:7], 3, v10
	v_cmp_lt_u32_e64 s[8:9], 31, v9
	v_mov_b32_dpp v11, v7 row_shr:1 row_mask:0xf bank_mask:0xf
	v_add_f32_e32 v11, v7, v11
	v_cndmask_b32_e64 v7, v11, v7, s[4:5]
	v_cmp_lt_u32_e64 s[4:5], 1, v10
	s_nop 0
	v_mov_b32_dpp v11, v7 row_shr:2 row_mask:0xf bank_mask:0xf
	v_add_f32_e32 v11, v7, v11
	v_cndmask_b32_e64 v11, v7, v11, s[4:5]
	; wave barrier
	s_nop 1
	v_mov_b32_dpp v12, v11 row_shr:4 row_mask:0xf bank_mask:0xf
	v_add_f32_e32 v12, v11, v12
	v_cndmask_b32_e64 v11, v11, v12, s[6:7]
	v_cmp_lt_u32_e64 s[6:7], 7, v10
	s_nop 0
	v_mov_b32_dpp v12, v11 row_shr:8 row_mask:0xf bank_mask:0xf
	v_add_f32_e32 v12, v11, v12
	v_cndmask_b32_e64 v10, v11, v12, s[6:7]
	v_and_b32_e32 v12, 16, v9
	v_cmp_eq_u32_e64 s[6:7], 0, v12
	v_mov_b32_dpp v11, v10 row_bcast:15 row_mask:0xf bank_mask:0xf
	v_add_f32_e32 v11, v10, v11
	v_cndmask_b32_e64 v10, v11, v10, s[6:7]
	v_cmp_lt_u32_e64 s[6:7], 15, v9
	s_or_b64 s[4:5], s[6:7], s[4:5]
	v_mov_b32_dpp v11, v10 row_bcast:31 row_mask:0xf bank_mask:0xf
	v_add_f32_e32 v11, v10, v11
	v_cndmask_b32_e64 v10, v10, v11, s[8:9]
	v_cndmask_b32_e64 v7, v7, v10, s[4:5]
	v_add_u32_e32 v10, -1, v9
	v_and_b32_e32 v11, 64, v9
	v_cmp_lt_i32_e64 s[4:5], v10, v11
	v_cndmask_b32_e64 v9, v10, v9, s[4:5]
	v_lshlrev_b32_e32 v9, 2, v9
	ds_bpermute_b32 v7, v9, v7
	s_waitcnt lgkmcnt(0)
	v_add_f32_e32 v6, v6, v7
	v_cndmask_b32_e64 v6, v6, v16, s[2:3]
	ds_write_b32 v8, v6
	; wave barrier
	ds_read_b32 v7, v8 offset:4
	s_waitcnt lgkmcnt(0)
	v_add_f32_e32 v6, v6, v7
	ds_write_b32 v8, v6 offset:4
.LBB5026_39:
	s_or_b64 exec, exec, s[10:11]
	s_waitcnt lgkmcnt(0)
	s_barrier
	s_and_saveexec_b64 s[4:5], s[0:1]
	s_cbranch_execz .LBB5026_41
; %bb.40:
	v_add_u32_e32 v6, -1, v0
	v_lshrrev_b32_e32 v7, 5, v6
	v_add_lshl_u32 v6, v7, v6, 2
	ds_read_b32 v16, v6
.LBB5026_41:
	s_or_b64 exec, exec, s[4:5]
	s_and_saveexec_b64 s[26:27], vcc
	s_cbranch_execz .LBB5026_64
; %bb.42:
	v_mov_b32_e32 v15, 0
	ds_read_b32 v6, v15 offset:520
	v_mbcnt_lo_u32_b32 v7, -1, 0
	v_mbcnt_hi_u32_b32 v9, -1, v7
	s_mov_b32 s9, 0
	v_cmp_eq_u32_e64 s[4:5], 0, v9
	s_and_saveexec_b64 s[6:7], s[4:5]
	s_cbranch_execz .LBB5026_44
; %bb.43:
	s_add_i32 s8, s30, 64
	s_lshl_b64 s[8:9], s[8:9], 3
	s_add_u32 s8, s14, s8
	v_mov_b32_e32 v7, 1
	s_addc_u32 s9, s15, s9
	s_waitcnt lgkmcnt(0)
	global_store_dwordx2 v15, v[6:7], s[8:9]
.LBB5026_44:
	s_or_b64 exec, exec, s[6:7]
	v_xad_u32 v8, v9, -1, s30
	v_add_u32_e32 v14, 64, v8
	v_lshlrev_b64 v[10:11], 3, v[14:15]
	v_mov_b32_e32 v7, s15
	v_add_co_u32_e32 v10, vcc, s14, v10
	v_addc_co_u32_e32 v11, vcc, v7, v11, vcc
	global_load_dwordx2 v[12:13], v[10:11], off glc
	s_waitcnt vmcnt(0)
	v_cmp_eq_u16_sdwa s[8:9], v13, v15 src0_sel:BYTE_0 src1_sel:DWORD
	s_and_saveexec_b64 s[6:7], s[8:9]
	s_cbranch_execz .LBB5026_50
; %bb.45:
	s_mov_b32 s10, 1
	s_mov_b64 s[8:9], 0
	v_mov_b32_e32 v7, 0
.LBB5026_46:                            ; =>This Loop Header: Depth=1
                                        ;     Child Loop BB5026_47 Depth 2
	s_max_u32 s11, s10, 1
.LBB5026_47:                            ;   Parent Loop BB5026_46 Depth=1
                                        ; =>  This Inner Loop Header: Depth=2
	s_add_i32 s11, s11, -1
	s_cmp_eq_u32 s11, 0
	s_sleep 1
	s_cbranch_scc0 .LBB5026_47
; %bb.48:                               ;   in Loop: Header=BB5026_46 Depth=1
	global_load_dwordx2 v[12:13], v[10:11], off glc
	s_cmp_lt_u32 s10, 32
	s_cselect_b64 s[12:13], -1, 0
	s_cmp_lg_u64 s[12:13], 0
	s_addc_u32 s10, s10, 0
	s_waitcnt vmcnt(0)
	v_cmp_ne_u16_sdwa s[12:13], v13, v7 src0_sel:BYTE_0 src1_sel:DWORD
	s_or_b64 s[8:9], s[12:13], s[8:9]
	s_andn2_b64 exec, exec, s[8:9]
	s_cbranch_execnz .LBB5026_46
; %bb.49:
	s_or_b64 exec, exec, s[8:9]
.LBB5026_50:
	s_or_b64 exec, exec, s[6:7]
	v_and_b32_e32 v17, 63, v9
	v_cmp_ne_u32_e32 vcc, 63, v17
	v_addc_co_u32_e32 v18, vcc, 0, v9, vcc
	v_mov_b32_e32 v7, 2
	v_lshlrev_b32_e32 v18, 2, v18
	v_cmp_eq_u16_sdwa s[6:7], v13, v7 src0_sel:BYTE_0 src1_sel:DWORD
	v_lshlrev_b64 v[10:11], v9, -1
	ds_bpermute_b32 v19, v18, v12
	v_and_b32_e32 v14, s7, v11
	v_or_b32_e32 v14, 0x80000000, v14
	v_and_b32_e32 v15, s6, v10
	v_ffbl_b32_e32 v14, v14
	v_add_u32_e32 v14, 32, v14
	v_ffbl_b32_e32 v15, v15
	v_cmp_gt_u32_e64 s[6:7], 62, v17
	v_min_u32_e32 v14, v15, v14
	s_waitcnt lgkmcnt(0)
	v_add_f32_e32 v15, v12, v19
	v_cndmask_b32_e64 v19, 0, 1, s[6:7]
	v_cmp_lt_u32_e32 vcc, v17, v14
	v_lshlrev_b32_e32 v19, 1, v19
	v_cndmask_b32_e32 v15, v12, v15, vcc
	v_add_lshl_u32 v19, v19, v9, 2
	ds_bpermute_b32 v21, v19, v15
	v_add_u32_e32 v20, 2, v17
	v_cmp_gt_u32_e64 s[6:7], v20, v14
	v_cmp_gt_u32_e64 s[8:9], 56, v17
	v_add_u32_e32 v34, 4, v17
	s_waitcnt lgkmcnt(0)
	v_add_f32_e32 v21, v15, v21
	v_cndmask_b32_e64 v15, v21, v15, s[6:7]
	v_cmp_gt_u32_e64 s[6:7], 60, v17
	v_cndmask_b32_e64 v21, 0, 1, s[6:7]
	v_lshlrev_b32_e32 v21, 2, v21
	v_add_lshl_u32 v21, v21, v9, 2
	ds_bpermute_b32 v35, v21, v15
	v_cmp_gt_u32_e64 s[6:7], v34, v14
	v_add_u32_e32 v36, 8, v17
	v_cmp_gt_u32_e64 s[10:11], 48, v17
	v_cmp_gt_u32_e64 s[12:13], 32, v17
	s_waitcnt lgkmcnt(0)
	v_add_f32_e32 v39, v15, v35
	v_cndmask_b32_e64 v35, 0, 1, s[8:9]
	v_lshlrev_b32_e32 v35, 3, v35
	v_cndmask_b32_e64 v37, v39, v15, s[6:7]
	v_add_lshl_u32 v35, v35, v9, 2
	ds_bpermute_b32 v38, v35, v37
	v_cmp_gt_u32_e64 s[8:9], v36, v14
	v_cndmask_b32_e32 v12, v12, v15, vcc
	v_cndmask_b32_e64 v12, v39, v12, s[6:7]
	s_waitcnt lgkmcnt(0)
	v_add_f32_e32 v42, v37, v38
	v_cndmask_b32_e64 v40, v42, v37, s[8:9]
	v_cndmask_b32_e64 v37, 0, 1, s[10:11]
	v_lshlrev_b32_e32 v37, 4, v37
	v_add_lshl_u32 v37, v37, v9, 2
	ds_bpermute_b32 v41, v37, v40
	v_add_u32_e32 v38, 16, v17
	v_cmp_gt_u32_e64 s[10:11], v38, v14
	v_cndmask_b32_e64 v12, v42, v12, s[8:9]
	s_waitcnt lgkmcnt(0)
	v_add_f32_e32 v43, v40, v41
	v_cndmask_b32_e64 v44, v43, v40, s[10:11]
	v_cndmask_b32_e64 v40, 0, 1, s[12:13]
	v_lshlrev_b32_e32 v40, 5, v40
	v_add_lshl_u32 v40, v40, v9, 2
	ds_bpermute_b32 v9, v40, v44
	v_add_u32_e32 v41, 32, v17
	v_cndmask_b32_e64 v12, v43, v12, s[10:11]
	v_cmp_gt_u32_e32 vcc, v41, v14
	s_waitcnt lgkmcnt(0)
	v_add_f32_e32 v9, v44, v9
	v_cndmask_b32_e32 v12, v9, v12, vcc
	v_mov_b32_e32 v9, 0
	s_branch .LBB5026_52
.LBB5026_51:                            ;   in Loop: Header=BB5026_52 Depth=1
	s_or_b64 exec, exec, s[6:7]
	v_cmp_eq_u16_sdwa s[6:7], v13, v7 src0_sel:BYTE_0 src1_sel:DWORD
	v_and_b32_e32 v14, s7, v11
	ds_bpermute_b32 v42, v18, v12
	v_or_b32_e32 v14, 0x80000000, v14
	v_and_b32_e32 v15, s6, v10
	v_ffbl_b32_e32 v14, v14
	v_add_u32_e32 v14, 32, v14
	v_ffbl_b32_e32 v15, v15
	v_min_u32_e32 v14, v15, v14
	s_waitcnt lgkmcnt(0)
	v_add_f32_e32 v15, v12, v42
	v_cmp_lt_u32_e32 vcc, v17, v14
	v_cndmask_b32_e32 v15, v12, v15, vcc
	ds_bpermute_b32 v42, v19, v15
	v_cmp_gt_u32_e64 s[6:7], v20, v14
	v_cmp_gt_u32_e64 s[8:9], v36, v14
	;; [unrolled: 1-line block ×3, first 2 shown]
	v_subrev_u32_e32 v8, 64, v8
	s_waitcnt lgkmcnt(0)
	v_add_f32_e32 v42, v15, v42
	v_cndmask_b32_e64 v15, v42, v15, s[6:7]
	ds_bpermute_b32 v42, v21, v15
	v_cmp_gt_u32_e64 s[6:7], v34, v14
	v_cndmask_b32_e32 v12, v12, v15, vcc
	v_cmp_gt_u32_e32 vcc, v41, v14
	s_waitcnt lgkmcnt(0)
	v_add_f32_e32 v42, v15, v42
	v_cndmask_b32_e64 v43, v42, v15, s[6:7]
	ds_bpermute_b32 v44, v35, v43
	v_cndmask_b32_e64 v12, v42, v12, s[6:7]
	s_waitcnt lgkmcnt(0)
	v_add_f32_e32 v44, v43, v44
	v_cndmask_b32_e64 v43, v44, v43, s[8:9]
	ds_bpermute_b32 v45, v37, v43
	v_cndmask_b32_e64 v12, v44, v12, s[8:9]
	;; [unrolled: 5-line block ×3, first 2 shown]
	s_waitcnt lgkmcnt(0)
	v_add_f32_e32 v15, v43, v46
	v_cndmask_b32_e32 v12, v15, v12, vcc
	v_add_f32_e32 v12, v39, v12
.LBB5026_52:                            ; =>This Loop Header: Depth=1
                                        ;     Child Loop BB5026_55 Depth 2
                                        ;       Child Loop BB5026_56 Depth 3
	v_cmp_ne_u16_sdwa s[6:7], v13, v7 src0_sel:BYTE_0 src1_sel:DWORD
	v_cndmask_b32_e64 v13, 0, 1, s[6:7]
	;;#ASMSTART
	;;#ASMEND
	v_cmp_ne_u32_e32 vcc, 0, v13
	s_cmp_lg_u64 vcc, exec
	v_mov_b32_e32 v39, v12
	s_cbranch_scc1 .LBB5026_59
; %bb.53:                               ;   in Loop: Header=BB5026_52 Depth=1
	v_lshlrev_b64 v[12:13], 3, v[8:9]
	v_mov_b32_e32 v15, s15
	v_add_co_u32_e32 v14, vcc, s14, v12
	v_addc_co_u32_e32 v15, vcc, v15, v13, vcc
	global_load_dwordx2 v[12:13], v[14:15], off glc
	s_waitcnt vmcnt(0)
	v_cmp_eq_u16_sdwa s[8:9], v13, v9 src0_sel:BYTE_0 src1_sel:DWORD
	s_and_saveexec_b64 s[6:7], s[8:9]
	s_cbranch_execz .LBB5026_51
; %bb.54:                               ;   in Loop: Header=BB5026_52 Depth=1
	s_mov_b32 s10, 1
	s_mov_b64 s[8:9], 0
.LBB5026_55:                            ;   Parent Loop BB5026_52 Depth=1
                                        ; =>  This Loop Header: Depth=2
                                        ;       Child Loop BB5026_56 Depth 3
	s_max_u32 s11, s10, 1
.LBB5026_56:                            ;   Parent Loop BB5026_52 Depth=1
                                        ;     Parent Loop BB5026_55 Depth=2
                                        ; =>    This Inner Loop Header: Depth=3
	s_add_i32 s11, s11, -1
	s_cmp_eq_u32 s11, 0
	s_sleep 1
	s_cbranch_scc0 .LBB5026_56
; %bb.57:                               ;   in Loop: Header=BB5026_55 Depth=2
	global_load_dwordx2 v[12:13], v[14:15], off glc
	s_cmp_lt_u32 s10, 32
	s_cselect_b64 s[12:13], -1, 0
	s_cmp_lg_u64 s[12:13], 0
	s_addc_u32 s10, s10, 0
	s_waitcnt vmcnt(0)
	v_cmp_ne_u16_sdwa s[12:13], v13, v9 src0_sel:BYTE_0 src1_sel:DWORD
	s_or_b64 s[8:9], s[12:13], s[8:9]
	s_andn2_b64 exec, exec, s[8:9]
	s_cbranch_execnz .LBB5026_55
; %bb.58:                               ;   in Loop: Header=BB5026_52 Depth=1
	s_or_b64 exec, exec, s[8:9]
	s_branch .LBB5026_51
.LBB5026_59:                            ;   in Loop: Header=BB5026_52 Depth=1
                                        ; implicit-def: $vgpr12
                                        ; implicit-def: $vgpr13
	s_cbranch_execz .LBB5026_52
; %bb.60:
	s_and_saveexec_b64 s[6:7], s[4:5]
	s_cbranch_execz .LBB5026_62
; %bb.61:
	s_add_i32 s4, s30, 64
	s_mov_b32 s5, 0
	s_lshl_b64 s[4:5], s[4:5], 3
	s_add_u32 s4, s14, s4
	v_add_f32_e32 v6, v6, v39
	v_mov_b32_e32 v7, 2
	s_addc_u32 s5, s15, s5
	v_mov_b32_e32 v8, 0
	global_store_dwordx2 v8, v[6:7], s[4:5]
.LBB5026_62:
	s_or_b64 exec, exec, s[6:7]
	s_and_b64 exec, exec, s[2:3]
	s_cbranch_execz .LBB5026_64
; %bb.63:
	v_mov_b32_e32 v6, 0
	ds_write_b32 v6, v39
.LBB5026_64:
	s_or_b64 exec, exec, s[26:27]
	v_mov_b32_e32 v6, 0
	s_waitcnt lgkmcnt(0)
	s_barrier
	ds_read_b32 v6, v6
	v_add_f32_e32 v7, v2, v16
	v_cndmask_b32_e64 v7, v7, v2, s[2:3]
	s_waitcnt lgkmcnt(0)
	v_add_f32_e32 v6, v7, v6
	v_add_f32_e32 v7, v3, v6
	;; [unrolled: 1-line block ×14, first 2 shown]
	s_branch .LBB5026_77
.LBB5026_65:
                                        ; implicit-def: $vgpr6_vgpr7_vgpr8_vgpr9_vgpr10_vgpr11_vgpr12_vgpr13_vgpr14_vgpr15_vgpr16_vgpr17_vgpr18_vgpr19_vgpr20_vgpr21
	s_cbranch_execz .LBB5026_77
; %bb.66:
	s_cmp_lg_u64 s[20:21], 0
	s_cselect_b64 s[4:5], -1, 0
	s_and_b64 s[6:7], s[2:3], s[4:5]
	s_and_saveexec_b64 s[4:5], s[6:7]
	s_cbranch_execz .LBB5026_68
; %bb.67:
	v_mov_b32_e32 v6, 0
	global_load_dword v6, v6, s[16:17]
	s_waitcnt vmcnt(0)
	v_add_f32_e32 v2, v2, v6
.LBB5026_68:
	s_or_b64 exec, exec, s[4:5]
	v_add_f32_e32 v16, v2, v3
	v_add_f32_e32 v17, v4, v16
	v_add_f32_e32 v18, v5, v17
	v_add_f32_e32 v6, v26, v18
	v_add_f32_e32 v7, v27, v6
	v_add_f32_e32 v8, v28, v7
	v_add_f32_e32 v9, v29, v8
	v_add_f32_e32 v10, v22, v9
	v_add_f32_e32 v11, v23, v10
	v_add_f32_e32 v12, v24, v11
	v_add_f32_e32 v13, v25, v12
	v_add_f32_e32 v14, v30, v13
	v_add_f32_e32 v15, v31, v14
	v_add_lshl_u32 v1, v1, v0, 2
	v_cmp_gt_u32_e32 vcc, 64, v0
	ds_write_b32 v1, v15
	s_waitcnt lgkmcnt(0)
	s_barrier
	s_and_saveexec_b64 s[8:9], vcc
	s_cbranch_execz .LBB5026_70
; %bb.69:
	v_lshlrev_b32_e32 v1, 1, v0
	v_lshrrev_b32_e32 v19, 4, v0
	v_add_lshl_u32 v1, v19, v1, 2
	ds_read2_b32 v[20:21], v1 offset1:1
	v_mbcnt_lo_u32_b32 v19, -1, 0
	v_mbcnt_hi_u32_b32 v19, -1, v19
	v_and_b32_e32 v34, 15, v19
	v_cmp_eq_u32_e32 vcc, 0, v34
	s_waitcnt lgkmcnt(0)
	v_add_f32_e32 v21, v20, v21
	v_cmp_lt_u32_e64 s[4:5], 3, v34
	v_cmp_lt_u32_e64 s[6:7], 31, v19
	v_mov_b32_dpp v35, v21 row_shr:1 row_mask:0xf bank_mask:0xf
	v_add_f32_e32 v35, v21, v35
	v_cndmask_b32_e32 v21, v35, v21, vcc
	v_cmp_lt_u32_e32 vcc, 1, v34
	s_nop 0
	v_mov_b32_dpp v35, v21 row_shr:2 row_mask:0xf bank_mask:0xf
	v_add_f32_e32 v35, v21, v35
	v_cndmask_b32_e32 v35, v21, v35, vcc
	; wave barrier
	s_nop 1
	v_mov_b32_dpp v36, v35 row_shr:4 row_mask:0xf bank_mask:0xf
	v_add_f32_e32 v36, v35, v36
	v_cndmask_b32_e64 v35, v35, v36, s[4:5]
	v_cmp_lt_u32_e64 s[4:5], 7, v34
	s_nop 0
	v_mov_b32_dpp v36, v35 row_shr:8 row_mask:0xf bank_mask:0xf
	v_add_f32_e32 v36, v35, v36
	v_cndmask_b32_e64 v34, v35, v36, s[4:5]
	v_and_b32_e32 v36, 16, v19
	v_cmp_eq_u32_e64 s[4:5], 0, v36
	v_mov_b32_dpp v35, v34 row_bcast:15 row_mask:0xf bank_mask:0xf
	v_add_f32_e32 v35, v34, v35
	v_cndmask_b32_e64 v34, v35, v34, s[4:5]
	v_cmp_lt_u32_e64 s[4:5], 15, v19
	s_or_b64 vcc, s[4:5], vcc
	v_mov_b32_dpp v35, v34 row_bcast:31 row_mask:0xf bank_mask:0xf
	v_add_f32_e32 v35, v34, v35
	v_cndmask_b32_e64 v34, v34, v35, s[6:7]
	v_cndmask_b32_e32 v21, v21, v34, vcc
	v_add_u32_e32 v34, -1, v19
	v_and_b32_e32 v35, 64, v19
	v_cmp_lt_i32_e32 vcc, v34, v35
	v_cndmask_b32_e32 v19, v34, v19, vcc
	v_lshlrev_b32_e32 v19, 2, v19
	ds_bpermute_b32 v19, v19, v21
	s_waitcnt lgkmcnt(0)
	v_add_f32_e32 v19, v20, v19
	v_cndmask_b32_e64 v19, v19, v15, s[2:3]
	ds_write_b32 v1, v19
	; wave barrier
	ds_read_b32 v20, v1 offset:4
	s_waitcnt lgkmcnt(0)
	v_add_f32_e32 v19, v19, v20
	ds_write_b32 v1, v19 offset:4
.LBB5026_70:
	s_or_b64 exec, exec, s[8:9]
	v_mov_b32_e32 v1, v15
	s_waitcnt lgkmcnt(0)
	s_barrier
	s_and_saveexec_b64 s[2:3], s[0:1]
	s_cbranch_execz .LBB5026_72
; %bb.71:
	v_add_u32_e32 v1, -1, v0
	v_lshrrev_b32_e32 v19, 5, v1
	v_add_lshl_u32 v1, v19, v1, 2
	ds_read_b32 v1, v1
.LBB5026_72:
	s_or_b64 exec, exec, s[2:3]
	s_and_saveexec_b64 s[2:3], s[0:1]
	s_cbranch_execz .LBB5026_74
; %bb.73:
	s_waitcnt lgkmcnt(0)
	v_add_f32_e32 v2, v2, v1
	v_add_f32_e32 v16, v3, v2
	;; [unrolled: 1-line block ×14, first 2 shown]
	;;#ASMSTART
	;;#ASMEND
.LBB5026_74:
	s_or_b64 exec, exec, s[2:3]
	s_movk_i32 s0, 0x7f
	v_cmp_eq_u32_e32 vcc, s0, v0
	s_and_saveexec_b64 s[0:1], vcc
	s_cbranch_execz .LBB5026_76
; %bb.75:
	s_waitcnt lgkmcnt(0)
	v_mov_b32_e32 v1, 0
	v_mov_b32_e32 v5, 2
	v_mov_b32_e32 v4, v15
	global_store_dwordx2 v1, v[4:5], s[14:15] offset:512
.LBB5026_76:
	s_or_b64 exec, exec, s[0:1]
	v_mov_b32_e32 v3, v16
	v_mov_b32_e32 v4, v17
	;; [unrolled: 1-line block ×3, first 2 shown]
	v_pk_mov_b32 v[20:21], v[16:17], v[16:17] op_sel:[0,1]
	v_pk_mov_b32 v[18:19], v[14:15], v[14:15] op_sel:[0,1]
	;; [unrolled: 1-line block ×8, first 2 shown]
.LBB5026_77:
	s_mov_b64 s[0:1], -1
	s_and_b64 vcc, exec, s[24:25]
	s_waitcnt lgkmcnt(0)
	s_barrier
	ds_write2_b64 v33, v[6:7], v[8:9] offset1:1
	ds_write2_b64 v33, v[10:11], v[12:13] offset0:2 offset1:3
	ds_write2_b64 v33, v[14:15], v[16:17] offset0:4 offset1:5
	ds_write_b64 v33, v[18:19] offset:48
	s_waitcnt lgkmcnt(0)
	s_cbranch_vccz .LBB5026_79
; %bb.78:
	s_barrier
	s_mov_b64 s[0:1], 0
.LBB5026_79:
	s_andn2_b64 vcc, exec, s[0:1]
	s_cbranch_vccnz .LBB5026_131
; %bb.80:
	v_cmp_lt_u64_e64 s[0:1], s[22:23], 2
	s_and_b64 vcc, exec, s[0:1]
	s_barrier
	s_cbranch_vccnz .LBB5026_131
; %bb.81:
	s_add_u32 s0, s28, -1
	s_addc_u32 s1, s29, -1
	s_add_u32 s2, 0, 0x49240800
	s_addc_u32 s3, 0, 50
	s_add_i32 s3, s3, 0x12492460
	s_mul_hi_u32 s7, s2, -14
	s_sub_i32 s7, s7, s2
	s_mul_i32 s8, s3, -14
	s_mul_i32 s4, s2, -14
	s_add_i32 s7, s7, s8
	s_mul_hi_u32 s5, s3, s4
	s_mul_i32 s6, s3, s4
	s_mul_i32 s9, s2, s7
	s_mul_hi_u32 s4, s2, s4
	s_mul_hi_u32 s8, s2, s7
	s_add_u32 s4, s4, s9
	s_addc_u32 s8, 0, s8
	s_add_u32 s4, s4, s6
	s_mul_hi_u32 s9, s3, s7
	s_addc_u32 s4, s8, s5
	s_addc_u32 s5, s9, 0
	s_mul_i32 s6, s3, s7
	s_add_u32 s4, s4, s6
	v_mov_b32_e32 v2, s4
	s_addc_u32 s5, 0, s5
	v_add_co_u32_e32 v2, vcc, s2, v2
	s_cmp_lg_u64 vcc, 0
	s_addc_u32 s2, s3, s5
	v_readfirstlane_b32 s5, v2
	s_mul_i32 s4, s0, s2
	s_mul_hi_u32 s6, s0, s5
	s_mul_hi_u32 s3, s0, s2
	s_add_u32 s4, s6, s4
	s_addc_u32 s3, 0, s3
	s_mul_hi_u32 s7, s1, s5
	s_mul_i32 s5, s1, s5
	s_add_u32 s4, s4, s5
	s_mul_hi_u32 s6, s1, s2
	s_addc_u32 s3, s3, s7
	s_addc_u32 s4, s6, 0
	s_mul_i32 s2, s1, s2
	s_add_u32 s2, s3, s2
	s_addc_u32 s3, 0, s4
	s_add_u32 s4, s2, 1
	s_addc_u32 s5, s3, 0
	s_add_u32 s6, s2, 2
	s_mul_i32 s8, s3, 14
	s_mul_hi_u32 s9, s2, 14
	s_addc_u32 s7, s3, 0
	s_add_i32 s9, s9, s8
	s_mul_i32 s8, s2, 14
	v_mov_b32_e32 v2, s8
	v_sub_co_u32_e32 v2, vcc, s0, v2
	s_cmp_lg_u64 vcc, 0
	s_subb_u32 s8, s1, s9
	v_subrev_co_u32_e32 v3, vcc, 14, v2
	s_cmp_lg_u64 vcc, 0
	s_subb_u32 s9, s8, 0
	v_readfirstlane_b32 s10, v3
	s_cmp_gt_u32 s10, 13
	s_cselect_b32 s10, -1, 0
	s_cmp_eq_u32 s9, 0
	s_cselect_b32 s9, s10, -1
	s_cmp_lg_u32 s9, 0
	s_cselect_b32 s4, s6, s4
	v_readfirstlane_b32 s6, v2
	s_cselect_b32 s5, s7, s5
	s_cmp_gt_u32 s6, 13
	s_cselect_b32 s6, -1, 0
	s_cmp_eq_u32 s8, 0
	s_cselect_b32 s6, s6, -1
	s_cmp_lg_u32 s6, 0
	v_mov_b32_e32 v1, 0
	s_cselect_b32 s3, s5, s3
	s_cselect_b32 s2, s4, s2
	v_cmp_eq_u64_e32 vcc, s[2:3], v[0:1]
	s_and_saveexec_b64 s[2:3], vcc
	s_cbranch_execz .LBB5026_131
; %bb.82:
	s_movk_i32 s2, 0xffcc
	v_mad_i32_i24 v2, v0, s2, v33
	v_mul_hi_u32_u24_e32 v1, 14, v0
	v_mov_b32_e32 v3, s1
	v_sub_co_u32_e32 v0, vcc, s0, v32
	v_subb_co_u32_e32 v1, vcc, v3, v1, vcc
	v_cmp_lt_i64_e32 vcc, 6, v[0:1]
	s_and_saveexec_b64 s[0:1], vcc
	s_xor_b64 s[0:1], exec, s[0:1]
	s_cbranch_execz .LBB5026_108
; %bb.83:
	v_cmp_lt_i64_e32 vcc, 9, v[0:1]
	s_and_saveexec_b64 s[2:3], vcc
	s_xor_b64 s[2:3], exec, s[2:3]
	s_cbranch_execz .LBB5026_97
; %bb.84:
	;; [unrolled: 5-line block ×4, first 2 shown]
	ds_read_b32 v0, v2 offset:6656
	v_mov_b32_e32 v1, 0
                                        ; implicit-def: $vgpr2
	s_waitcnt lgkmcnt(0)
	global_store_dword v1, v0, s[18:19]
.LBB5026_87:
	s_andn2_saveexec_b64 s[6:7], s[6:7]
	s_cbranch_execz .LBB5026_89
; %bb.88:
	ds_read_b32 v0, v2 offset:6144
	v_mov_b32_e32 v1, 0
	s_waitcnt lgkmcnt(0)
	global_store_dword v1, v0, s[18:19]
.LBB5026_89:
	s_or_b64 exec, exec, s[6:7]
                                        ; implicit-def: $vgpr2
                                        ; implicit-def: $vgpr0_vgpr1
.LBB5026_90:
	s_andn2_saveexec_b64 s[4:5], s[4:5]
	s_cbranch_execz .LBB5026_96
; %bb.91:
	v_cmp_lt_i64_e32 vcc, 10, v[0:1]
	s_and_saveexec_b64 s[6:7], vcc
	s_xor_b64 s[6:7], exec, s[6:7]
	s_cbranch_execz .LBB5026_93
; %bb.92:
	ds_read_b32 v0, v2 offset:5632
	v_mov_b32_e32 v1, 0
                                        ; implicit-def: $vgpr2
	s_waitcnt lgkmcnt(0)
	global_store_dword v1, v0, s[18:19]
.LBB5026_93:
	s_andn2_saveexec_b64 s[6:7], s[6:7]
	s_cbranch_execz .LBB5026_95
; %bb.94:
	ds_read_b32 v0, v2 offset:5120
	v_mov_b32_e32 v1, 0
	s_waitcnt lgkmcnt(0)
	global_store_dword v1, v0, s[18:19]
.LBB5026_95:
	s_or_b64 exec, exec, s[6:7]
.LBB5026_96:
	s_or_b64 exec, exec, s[4:5]
                                        ; implicit-def: $vgpr2
                                        ; implicit-def: $vgpr0_vgpr1
.LBB5026_97:
	s_andn2_saveexec_b64 s[2:3], s[2:3]
	s_cbranch_execz .LBB5026_107
; %bb.98:
	v_cmp_lt_i64_e32 vcc, 7, v[0:1]
	s_and_saveexec_b64 s[4:5], vcc
	s_xor_b64 s[4:5], exec, s[4:5]
	s_cbranch_execz .LBB5026_104
; %bb.99:
	v_cmp_lt_i64_e32 vcc, 8, v[0:1]
	s_and_saveexec_b64 s[6:7], vcc
	s_xor_b64 s[6:7], exec, s[6:7]
	s_cbranch_execz .LBB5026_101
; %bb.100:
	ds_read_b32 v0, v2 offset:4608
	v_mov_b32_e32 v1, 0
                                        ; implicit-def: $vgpr2
	s_waitcnt lgkmcnt(0)
	global_store_dword v1, v0, s[18:19]
.LBB5026_101:
	s_andn2_saveexec_b64 s[6:7], s[6:7]
	s_cbranch_execz .LBB5026_103
; %bb.102:
	ds_read_b32 v0, v2 offset:4096
	v_mov_b32_e32 v1, 0
	s_waitcnt lgkmcnt(0)
	global_store_dword v1, v0, s[18:19]
.LBB5026_103:
	s_or_b64 exec, exec, s[6:7]
                                        ; implicit-def: $vgpr2
.LBB5026_104:
	s_andn2_saveexec_b64 s[4:5], s[4:5]
	s_cbranch_execz .LBB5026_106
; %bb.105:
	ds_read_b32 v0, v2 offset:3584
	v_mov_b32_e32 v1, 0
	s_waitcnt lgkmcnt(0)
	global_store_dword v1, v0, s[18:19]
.LBB5026_106:
	s_or_b64 exec, exec, s[4:5]
.LBB5026_107:
	s_or_b64 exec, exec, s[2:3]
                                        ; implicit-def: $vgpr0_vgpr1
                                        ; implicit-def: $vgpr2
.LBB5026_108:
	s_andn2_saveexec_b64 s[0:1], s[0:1]
	s_cbranch_execz .LBB5026_131
; %bb.109:
	v_cmp_lt_i64_e32 vcc, 3, v[0:1]
	s_and_saveexec_b64 s[0:1], vcc
	s_xor_b64 s[0:1], exec, s[0:1]
	s_cbranch_execz .LBB5026_119
; %bb.110:
	v_cmp_lt_i64_e32 vcc, 4, v[0:1]
	s_and_saveexec_b64 s[2:3], vcc
	s_xor_b64 s[2:3], exec, s[2:3]
	;; [unrolled: 5-line block ×3, first 2 shown]
	s_cbranch_execz .LBB5026_113
; %bb.112:
	ds_read_b32 v0, v2 offset:3072
	v_mov_b32_e32 v1, 0
                                        ; implicit-def: $vgpr2
	s_waitcnt lgkmcnt(0)
	global_store_dword v1, v0, s[18:19]
.LBB5026_113:
	s_andn2_saveexec_b64 s[4:5], s[4:5]
	s_cbranch_execz .LBB5026_115
; %bb.114:
	ds_read_b32 v0, v2 offset:2560
	v_mov_b32_e32 v1, 0
	s_waitcnt lgkmcnt(0)
	global_store_dword v1, v0, s[18:19]
.LBB5026_115:
	s_or_b64 exec, exec, s[4:5]
                                        ; implicit-def: $vgpr2
.LBB5026_116:
	s_andn2_saveexec_b64 s[2:3], s[2:3]
	s_cbranch_execz .LBB5026_118
; %bb.117:
	ds_read_b32 v0, v2 offset:2048
	v_mov_b32_e32 v1, 0
	s_waitcnt lgkmcnt(0)
	global_store_dword v1, v0, s[18:19]
.LBB5026_118:
	s_or_b64 exec, exec, s[2:3]
                                        ; implicit-def: $vgpr0_vgpr1
                                        ; implicit-def: $vgpr2
.LBB5026_119:
	s_andn2_saveexec_b64 s[0:1], s[0:1]
	s_cbranch_execz .LBB5026_131
; %bb.120:
	v_cmp_lt_i64_e32 vcc, 1, v[0:1]
	s_and_saveexec_b64 s[0:1], vcc
	s_xor_b64 s[0:1], exec, s[0:1]
	s_cbranch_execz .LBB5026_126
; %bb.121:
	v_cmp_lt_i64_e32 vcc, 2, v[0:1]
	s_and_saveexec_b64 s[2:3], vcc
	s_xor_b64 s[2:3], exec, s[2:3]
	s_cbranch_execz .LBB5026_123
; %bb.122:
	ds_read_b32 v0, v2 offset:1536
	v_mov_b32_e32 v1, 0
                                        ; implicit-def: $vgpr2
	s_waitcnt lgkmcnt(0)
	global_store_dword v1, v0, s[18:19]
.LBB5026_123:
	s_andn2_saveexec_b64 s[2:3], s[2:3]
	s_cbranch_execz .LBB5026_125
; %bb.124:
	ds_read_b32 v0, v2 offset:1024
	v_mov_b32_e32 v1, 0
	s_waitcnt lgkmcnt(0)
	global_store_dword v1, v0, s[18:19]
.LBB5026_125:
	s_or_b64 exec, exec, s[2:3]
                                        ; implicit-def: $vgpr2
                                        ; implicit-def: $vgpr0_vgpr1
.LBB5026_126:
	s_andn2_saveexec_b64 s[0:1], s[0:1]
	s_cbranch_execz .LBB5026_131
; %bb.127:
	v_cmp_ne_u64_e32 vcc, 1, v[0:1]
	s_and_saveexec_b64 s[0:1], vcc
	s_xor_b64 s[0:1], exec, s[0:1]
	s_cbranch_execz .LBB5026_129
; %bb.128:
	ds_read_b32 v0, v2
	v_mov_b32_e32 v1, 0
                                        ; implicit-def: $vgpr2
	s_waitcnt lgkmcnt(0)
	global_store_dword v1, v0, s[18:19]
.LBB5026_129:
	s_andn2_saveexec_b64 s[0:1], s[0:1]
	s_cbranch_execz .LBB5026_131
; %bb.130:
	ds_read_b32 v0, v2 offset:512
	v_mov_b32_e32 v1, 0
	s_waitcnt lgkmcnt(0)
	global_store_dword v1, v0, s[18:19]
.LBB5026_131:
	s_endpgm
	.section	.rodata,"a",@progbits
	.p2align	6, 0x0
	.amdhsa_kernel _ZN7rocprim17ROCPRIM_400000_NS6detail17trampoline_kernelINS0_14default_configENS1_20scan_config_selectorIfEEZZNS1_9scan_implILNS1_25lookback_scan_determinismE0ELb0ELb0ES3_N6thrust23THRUST_200600_302600_NS6detail15normal_iteratorINS9_10device_ptrIfEEEENS9_16discard_iteratorINS9_11use_defaultEEEfNS9_4plusIvEEfEEDaPvRmT3_T4_T5_mT6_P12ihipStream_tbENKUlT_T0_E_clISt17integral_constantIbLb1EESX_EEDaSS_ST_EUlSS_E_NS1_11comp_targetILNS1_3genE4ELNS1_11target_archE910ELNS1_3gpuE8ELNS1_3repE0EEENS1_30default_config_static_selectorELNS0_4arch9wavefront6targetE1EEEvT1_
		.amdhsa_group_segment_fixed_size 7168
		.amdhsa_private_segment_fixed_size 0
		.amdhsa_kernarg_size 104
		.amdhsa_user_sgpr_count 6
		.amdhsa_user_sgpr_private_segment_buffer 1
		.amdhsa_user_sgpr_dispatch_ptr 0
		.amdhsa_user_sgpr_queue_ptr 0
		.amdhsa_user_sgpr_kernarg_segment_ptr 1
		.amdhsa_user_sgpr_dispatch_id 0
		.amdhsa_user_sgpr_flat_scratch_init 0
		.amdhsa_user_sgpr_kernarg_preload_length 0
		.amdhsa_user_sgpr_kernarg_preload_offset 0
		.amdhsa_user_sgpr_private_segment_size 0
		.amdhsa_uses_dynamic_stack 0
		.amdhsa_system_sgpr_private_segment_wavefront_offset 0
		.amdhsa_system_sgpr_workgroup_id_x 1
		.amdhsa_system_sgpr_workgroup_id_y 0
		.amdhsa_system_sgpr_workgroup_id_z 0
		.amdhsa_system_sgpr_workgroup_info 0
		.amdhsa_system_vgpr_workitem_id 0
		.amdhsa_next_free_vgpr 47
		.amdhsa_next_free_sgpr 31
		.amdhsa_accum_offset 48
		.amdhsa_reserve_vcc 1
		.amdhsa_reserve_flat_scratch 0
		.amdhsa_float_round_mode_32 0
		.amdhsa_float_round_mode_16_64 0
		.amdhsa_float_denorm_mode_32 3
		.amdhsa_float_denorm_mode_16_64 3
		.amdhsa_dx10_clamp 1
		.amdhsa_ieee_mode 1
		.amdhsa_fp16_overflow 0
		.amdhsa_tg_split 0
		.amdhsa_exception_fp_ieee_invalid_op 0
		.amdhsa_exception_fp_denorm_src 0
		.amdhsa_exception_fp_ieee_div_zero 0
		.amdhsa_exception_fp_ieee_overflow 0
		.amdhsa_exception_fp_ieee_underflow 0
		.amdhsa_exception_fp_ieee_inexact 0
		.amdhsa_exception_int_div_zero 0
	.end_amdhsa_kernel
	.section	.text._ZN7rocprim17ROCPRIM_400000_NS6detail17trampoline_kernelINS0_14default_configENS1_20scan_config_selectorIfEEZZNS1_9scan_implILNS1_25lookback_scan_determinismE0ELb0ELb0ES3_N6thrust23THRUST_200600_302600_NS6detail15normal_iteratorINS9_10device_ptrIfEEEENS9_16discard_iteratorINS9_11use_defaultEEEfNS9_4plusIvEEfEEDaPvRmT3_T4_T5_mT6_P12ihipStream_tbENKUlT_T0_E_clISt17integral_constantIbLb1EESX_EEDaSS_ST_EUlSS_E_NS1_11comp_targetILNS1_3genE4ELNS1_11target_archE910ELNS1_3gpuE8ELNS1_3repE0EEENS1_30default_config_static_selectorELNS0_4arch9wavefront6targetE1EEEvT1_,"axG",@progbits,_ZN7rocprim17ROCPRIM_400000_NS6detail17trampoline_kernelINS0_14default_configENS1_20scan_config_selectorIfEEZZNS1_9scan_implILNS1_25lookback_scan_determinismE0ELb0ELb0ES3_N6thrust23THRUST_200600_302600_NS6detail15normal_iteratorINS9_10device_ptrIfEEEENS9_16discard_iteratorINS9_11use_defaultEEEfNS9_4plusIvEEfEEDaPvRmT3_T4_T5_mT6_P12ihipStream_tbENKUlT_T0_E_clISt17integral_constantIbLb1EESX_EEDaSS_ST_EUlSS_E_NS1_11comp_targetILNS1_3genE4ELNS1_11target_archE910ELNS1_3gpuE8ELNS1_3repE0EEENS1_30default_config_static_selectorELNS0_4arch9wavefront6targetE1EEEvT1_,comdat
.Lfunc_end5026:
	.size	_ZN7rocprim17ROCPRIM_400000_NS6detail17trampoline_kernelINS0_14default_configENS1_20scan_config_selectorIfEEZZNS1_9scan_implILNS1_25lookback_scan_determinismE0ELb0ELb0ES3_N6thrust23THRUST_200600_302600_NS6detail15normal_iteratorINS9_10device_ptrIfEEEENS9_16discard_iteratorINS9_11use_defaultEEEfNS9_4plusIvEEfEEDaPvRmT3_T4_T5_mT6_P12ihipStream_tbENKUlT_T0_E_clISt17integral_constantIbLb1EESX_EEDaSS_ST_EUlSS_E_NS1_11comp_targetILNS1_3genE4ELNS1_11target_archE910ELNS1_3gpuE8ELNS1_3repE0EEENS1_30default_config_static_selectorELNS0_4arch9wavefront6targetE1EEEvT1_, .Lfunc_end5026-_ZN7rocprim17ROCPRIM_400000_NS6detail17trampoline_kernelINS0_14default_configENS1_20scan_config_selectorIfEEZZNS1_9scan_implILNS1_25lookback_scan_determinismE0ELb0ELb0ES3_N6thrust23THRUST_200600_302600_NS6detail15normal_iteratorINS9_10device_ptrIfEEEENS9_16discard_iteratorINS9_11use_defaultEEEfNS9_4plusIvEEfEEDaPvRmT3_T4_T5_mT6_P12ihipStream_tbENKUlT_T0_E_clISt17integral_constantIbLb1EESX_EEDaSS_ST_EUlSS_E_NS1_11comp_targetILNS1_3genE4ELNS1_11target_archE910ELNS1_3gpuE8ELNS1_3repE0EEENS1_30default_config_static_selectorELNS0_4arch9wavefront6targetE1EEEvT1_
                                        ; -- End function
	.section	.AMDGPU.csdata,"",@progbits
; Kernel info:
; codeLenInByte = 5012
; NumSgprs: 35
; NumVgprs: 47
; NumAgprs: 0
; TotalNumVgprs: 47
; ScratchSize: 0
; MemoryBound: 0
; FloatMode: 240
; IeeeMode: 1
; LDSByteSize: 7168 bytes/workgroup (compile time only)
; SGPRBlocks: 4
; VGPRBlocks: 5
; NumSGPRsForWavesPerEU: 35
; NumVGPRsForWavesPerEU: 47
; AccumOffset: 48
; Occupancy: 5
; WaveLimiterHint : 1
; COMPUTE_PGM_RSRC2:SCRATCH_EN: 0
; COMPUTE_PGM_RSRC2:USER_SGPR: 6
; COMPUTE_PGM_RSRC2:TRAP_HANDLER: 0
; COMPUTE_PGM_RSRC2:TGID_X_EN: 1
; COMPUTE_PGM_RSRC2:TGID_Y_EN: 0
; COMPUTE_PGM_RSRC2:TGID_Z_EN: 0
; COMPUTE_PGM_RSRC2:TIDIG_COMP_CNT: 0
; COMPUTE_PGM_RSRC3_GFX90A:ACCUM_OFFSET: 11
; COMPUTE_PGM_RSRC3_GFX90A:TG_SPLIT: 0
	.section	.text._ZN7rocprim17ROCPRIM_400000_NS6detail17trampoline_kernelINS0_14default_configENS1_20scan_config_selectorIfEEZZNS1_9scan_implILNS1_25lookback_scan_determinismE0ELb0ELb0ES3_N6thrust23THRUST_200600_302600_NS6detail15normal_iteratorINS9_10device_ptrIfEEEENS9_16discard_iteratorINS9_11use_defaultEEEfNS9_4plusIvEEfEEDaPvRmT3_T4_T5_mT6_P12ihipStream_tbENKUlT_T0_E_clISt17integral_constantIbLb1EESX_EEDaSS_ST_EUlSS_E_NS1_11comp_targetILNS1_3genE3ELNS1_11target_archE908ELNS1_3gpuE7ELNS1_3repE0EEENS1_30default_config_static_selectorELNS0_4arch9wavefront6targetE1EEEvT1_,"axG",@progbits,_ZN7rocprim17ROCPRIM_400000_NS6detail17trampoline_kernelINS0_14default_configENS1_20scan_config_selectorIfEEZZNS1_9scan_implILNS1_25lookback_scan_determinismE0ELb0ELb0ES3_N6thrust23THRUST_200600_302600_NS6detail15normal_iteratorINS9_10device_ptrIfEEEENS9_16discard_iteratorINS9_11use_defaultEEEfNS9_4plusIvEEfEEDaPvRmT3_T4_T5_mT6_P12ihipStream_tbENKUlT_T0_E_clISt17integral_constantIbLb1EESX_EEDaSS_ST_EUlSS_E_NS1_11comp_targetILNS1_3genE3ELNS1_11target_archE908ELNS1_3gpuE7ELNS1_3repE0EEENS1_30default_config_static_selectorELNS0_4arch9wavefront6targetE1EEEvT1_,comdat
	.protected	_ZN7rocprim17ROCPRIM_400000_NS6detail17trampoline_kernelINS0_14default_configENS1_20scan_config_selectorIfEEZZNS1_9scan_implILNS1_25lookback_scan_determinismE0ELb0ELb0ES3_N6thrust23THRUST_200600_302600_NS6detail15normal_iteratorINS9_10device_ptrIfEEEENS9_16discard_iteratorINS9_11use_defaultEEEfNS9_4plusIvEEfEEDaPvRmT3_T4_T5_mT6_P12ihipStream_tbENKUlT_T0_E_clISt17integral_constantIbLb1EESX_EEDaSS_ST_EUlSS_E_NS1_11comp_targetILNS1_3genE3ELNS1_11target_archE908ELNS1_3gpuE7ELNS1_3repE0EEENS1_30default_config_static_selectorELNS0_4arch9wavefront6targetE1EEEvT1_ ; -- Begin function _ZN7rocprim17ROCPRIM_400000_NS6detail17trampoline_kernelINS0_14default_configENS1_20scan_config_selectorIfEEZZNS1_9scan_implILNS1_25lookback_scan_determinismE0ELb0ELb0ES3_N6thrust23THRUST_200600_302600_NS6detail15normal_iteratorINS9_10device_ptrIfEEEENS9_16discard_iteratorINS9_11use_defaultEEEfNS9_4plusIvEEfEEDaPvRmT3_T4_T5_mT6_P12ihipStream_tbENKUlT_T0_E_clISt17integral_constantIbLb1EESX_EEDaSS_ST_EUlSS_E_NS1_11comp_targetILNS1_3genE3ELNS1_11target_archE908ELNS1_3gpuE7ELNS1_3repE0EEENS1_30default_config_static_selectorELNS0_4arch9wavefront6targetE1EEEvT1_
	.globl	_ZN7rocprim17ROCPRIM_400000_NS6detail17trampoline_kernelINS0_14default_configENS1_20scan_config_selectorIfEEZZNS1_9scan_implILNS1_25lookback_scan_determinismE0ELb0ELb0ES3_N6thrust23THRUST_200600_302600_NS6detail15normal_iteratorINS9_10device_ptrIfEEEENS9_16discard_iteratorINS9_11use_defaultEEEfNS9_4plusIvEEfEEDaPvRmT3_T4_T5_mT6_P12ihipStream_tbENKUlT_T0_E_clISt17integral_constantIbLb1EESX_EEDaSS_ST_EUlSS_E_NS1_11comp_targetILNS1_3genE3ELNS1_11target_archE908ELNS1_3gpuE7ELNS1_3repE0EEENS1_30default_config_static_selectorELNS0_4arch9wavefront6targetE1EEEvT1_
	.p2align	8
	.type	_ZN7rocprim17ROCPRIM_400000_NS6detail17trampoline_kernelINS0_14default_configENS1_20scan_config_selectorIfEEZZNS1_9scan_implILNS1_25lookback_scan_determinismE0ELb0ELb0ES3_N6thrust23THRUST_200600_302600_NS6detail15normal_iteratorINS9_10device_ptrIfEEEENS9_16discard_iteratorINS9_11use_defaultEEEfNS9_4plusIvEEfEEDaPvRmT3_T4_T5_mT6_P12ihipStream_tbENKUlT_T0_E_clISt17integral_constantIbLb1EESX_EEDaSS_ST_EUlSS_E_NS1_11comp_targetILNS1_3genE3ELNS1_11target_archE908ELNS1_3gpuE7ELNS1_3repE0EEENS1_30default_config_static_selectorELNS0_4arch9wavefront6targetE1EEEvT1_,@function
_ZN7rocprim17ROCPRIM_400000_NS6detail17trampoline_kernelINS0_14default_configENS1_20scan_config_selectorIfEEZZNS1_9scan_implILNS1_25lookback_scan_determinismE0ELb0ELb0ES3_N6thrust23THRUST_200600_302600_NS6detail15normal_iteratorINS9_10device_ptrIfEEEENS9_16discard_iteratorINS9_11use_defaultEEEfNS9_4plusIvEEfEEDaPvRmT3_T4_T5_mT6_P12ihipStream_tbENKUlT_T0_E_clISt17integral_constantIbLb1EESX_EEDaSS_ST_EUlSS_E_NS1_11comp_targetILNS1_3genE3ELNS1_11target_archE908ELNS1_3gpuE7ELNS1_3repE0EEENS1_30default_config_static_selectorELNS0_4arch9wavefront6targetE1EEEvT1_: ; @_ZN7rocprim17ROCPRIM_400000_NS6detail17trampoline_kernelINS0_14default_configENS1_20scan_config_selectorIfEEZZNS1_9scan_implILNS1_25lookback_scan_determinismE0ELb0ELb0ES3_N6thrust23THRUST_200600_302600_NS6detail15normal_iteratorINS9_10device_ptrIfEEEENS9_16discard_iteratorINS9_11use_defaultEEEfNS9_4plusIvEEfEEDaPvRmT3_T4_T5_mT6_P12ihipStream_tbENKUlT_T0_E_clISt17integral_constantIbLb1EESX_EEDaSS_ST_EUlSS_E_NS1_11comp_targetILNS1_3genE3ELNS1_11target_archE908ELNS1_3gpuE7ELNS1_3repE0EEENS1_30default_config_static_selectorELNS0_4arch9wavefront6targetE1EEEvT1_
; %bb.0:
	.section	.rodata,"a",@progbits
	.p2align	6, 0x0
	.amdhsa_kernel _ZN7rocprim17ROCPRIM_400000_NS6detail17trampoline_kernelINS0_14default_configENS1_20scan_config_selectorIfEEZZNS1_9scan_implILNS1_25lookback_scan_determinismE0ELb0ELb0ES3_N6thrust23THRUST_200600_302600_NS6detail15normal_iteratorINS9_10device_ptrIfEEEENS9_16discard_iteratorINS9_11use_defaultEEEfNS9_4plusIvEEfEEDaPvRmT3_T4_T5_mT6_P12ihipStream_tbENKUlT_T0_E_clISt17integral_constantIbLb1EESX_EEDaSS_ST_EUlSS_E_NS1_11comp_targetILNS1_3genE3ELNS1_11target_archE908ELNS1_3gpuE7ELNS1_3repE0EEENS1_30default_config_static_selectorELNS0_4arch9wavefront6targetE1EEEvT1_
		.amdhsa_group_segment_fixed_size 0
		.amdhsa_private_segment_fixed_size 0
		.amdhsa_kernarg_size 104
		.amdhsa_user_sgpr_count 6
		.amdhsa_user_sgpr_private_segment_buffer 1
		.amdhsa_user_sgpr_dispatch_ptr 0
		.amdhsa_user_sgpr_queue_ptr 0
		.amdhsa_user_sgpr_kernarg_segment_ptr 1
		.amdhsa_user_sgpr_dispatch_id 0
		.amdhsa_user_sgpr_flat_scratch_init 0
		.amdhsa_user_sgpr_kernarg_preload_length 0
		.amdhsa_user_sgpr_kernarg_preload_offset 0
		.amdhsa_user_sgpr_private_segment_size 0
		.amdhsa_uses_dynamic_stack 0
		.amdhsa_system_sgpr_private_segment_wavefront_offset 0
		.amdhsa_system_sgpr_workgroup_id_x 1
		.amdhsa_system_sgpr_workgroup_id_y 0
		.amdhsa_system_sgpr_workgroup_id_z 0
		.amdhsa_system_sgpr_workgroup_info 0
		.amdhsa_system_vgpr_workitem_id 0
		.amdhsa_next_free_vgpr 1
		.amdhsa_next_free_sgpr 0
		.amdhsa_accum_offset 4
		.amdhsa_reserve_vcc 0
		.amdhsa_reserve_flat_scratch 0
		.amdhsa_float_round_mode_32 0
		.amdhsa_float_round_mode_16_64 0
		.amdhsa_float_denorm_mode_32 3
		.amdhsa_float_denorm_mode_16_64 3
		.amdhsa_dx10_clamp 1
		.amdhsa_ieee_mode 1
		.amdhsa_fp16_overflow 0
		.amdhsa_tg_split 0
		.amdhsa_exception_fp_ieee_invalid_op 0
		.amdhsa_exception_fp_denorm_src 0
		.amdhsa_exception_fp_ieee_div_zero 0
		.amdhsa_exception_fp_ieee_overflow 0
		.amdhsa_exception_fp_ieee_underflow 0
		.amdhsa_exception_fp_ieee_inexact 0
		.amdhsa_exception_int_div_zero 0
	.end_amdhsa_kernel
	.section	.text._ZN7rocprim17ROCPRIM_400000_NS6detail17trampoline_kernelINS0_14default_configENS1_20scan_config_selectorIfEEZZNS1_9scan_implILNS1_25lookback_scan_determinismE0ELb0ELb0ES3_N6thrust23THRUST_200600_302600_NS6detail15normal_iteratorINS9_10device_ptrIfEEEENS9_16discard_iteratorINS9_11use_defaultEEEfNS9_4plusIvEEfEEDaPvRmT3_T4_T5_mT6_P12ihipStream_tbENKUlT_T0_E_clISt17integral_constantIbLb1EESX_EEDaSS_ST_EUlSS_E_NS1_11comp_targetILNS1_3genE3ELNS1_11target_archE908ELNS1_3gpuE7ELNS1_3repE0EEENS1_30default_config_static_selectorELNS0_4arch9wavefront6targetE1EEEvT1_,"axG",@progbits,_ZN7rocprim17ROCPRIM_400000_NS6detail17trampoline_kernelINS0_14default_configENS1_20scan_config_selectorIfEEZZNS1_9scan_implILNS1_25lookback_scan_determinismE0ELb0ELb0ES3_N6thrust23THRUST_200600_302600_NS6detail15normal_iteratorINS9_10device_ptrIfEEEENS9_16discard_iteratorINS9_11use_defaultEEEfNS9_4plusIvEEfEEDaPvRmT3_T4_T5_mT6_P12ihipStream_tbENKUlT_T0_E_clISt17integral_constantIbLb1EESX_EEDaSS_ST_EUlSS_E_NS1_11comp_targetILNS1_3genE3ELNS1_11target_archE908ELNS1_3gpuE7ELNS1_3repE0EEENS1_30default_config_static_selectorELNS0_4arch9wavefront6targetE1EEEvT1_,comdat
.Lfunc_end5027:
	.size	_ZN7rocprim17ROCPRIM_400000_NS6detail17trampoline_kernelINS0_14default_configENS1_20scan_config_selectorIfEEZZNS1_9scan_implILNS1_25lookback_scan_determinismE0ELb0ELb0ES3_N6thrust23THRUST_200600_302600_NS6detail15normal_iteratorINS9_10device_ptrIfEEEENS9_16discard_iteratorINS9_11use_defaultEEEfNS9_4plusIvEEfEEDaPvRmT3_T4_T5_mT6_P12ihipStream_tbENKUlT_T0_E_clISt17integral_constantIbLb1EESX_EEDaSS_ST_EUlSS_E_NS1_11comp_targetILNS1_3genE3ELNS1_11target_archE908ELNS1_3gpuE7ELNS1_3repE0EEENS1_30default_config_static_selectorELNS0_4arch9wavefront6targetE1EEEvT1_, .Lfunc_end5027-_ZN7rocprim17ROCPRIM_400000_NS6detail17trampoline_kernelINS0_14default_configENS1_20scan_config_selectorIfEEZZNS1_9scan_implILNS1_25lookback_scan_determinismE0ELb0ELb0ES3_N6thrust23THRUST_200600_302600_NS6detail15normal_iteratorINS9_10device_ptrIfEEEENS9_16discard_iteratorINS9_11use_defaultEEEfNS9_4plusIvEEfEEDaPvRmT3_T4_T5_mT6_P12ihipStream_tbENKUlT_T0_E_clISt17integral_constantIbLb1EESX_EEDaSS_ST_EUlSS_E_NS1_11comp_targetILNS1_3genE3ELNS1_11target_archE908ELNS1_3gpuE7ELNS1_3repE0EEENS1_30default_config_static_selectorELNS0_4arch9wavefront6targetE1EEEvT1_
                                        ; -- End function
	.section	.AMDGPU.csdata,"",@progbits
; Kernel info:
; codeLenInByte = 0
; NumSgprs: 4
; NumVgprs: 0
; NumAgprs: 0
; TotalNumVgprs: 0
; ScratchSize: 0
; MemoryBound: 0
; FloatMode: 240
; IeeeMode: 1
; LDSByteSize: 0 bytes/workgroup (compile time only)
; SGPRBlocks: 0
; VGPRBlocks: 0
; NumSGPRsForWavesPerEU: 4
; NumVGPRsForWavesPerEU: 1
; AccumOffset: 4
; Occupancy: 8
; WaveLimiterHint : 0
; COMPUTE_PGM_RSRC2:SCRATCH_EN: 0
; COMPUTE_PGM_RSRC2:USER_SGPR: 6
; COMPUTE_PGM_RSRC2:TRAP_HANDLER: 0
; COMPUTE_PGM_RSRC2:TGID_X_EN: 1
; COMPUTE_PGM_RSRC2:TGID_Y_EN: 0
; COMPUTE_PGM_RSRC2:TGID_Z_EN: 0
; COMPUTE_PGM_RSRC2:TIDIG_COMP_CNT: 0
; COMPUTE_PGM_RSRC3_GFX90A:ACCUM_OFFSET: 0
; COMPUTE_PGM_RSRC3_GFX90A:TG_SPLIT: 0
	.section	.text._ZN7rocprim17ROCPRIM_400000_NS6detail17trampoline_kernelINS0_14default_configENS1_20scan_config_selectorIfEEZZNS1_9scan_implILNS1_25lookback_scan_determinismE0ELb0ELb0ES3_N6thrust23THRUST_200600_302600_NS6detail15normal_iteratorINS9_10device_ptrIfEEEENS9_16discard_iteratorINS9_11use_defaultEEEfNS9_4plusIvEEfEEDaPvRmT3_T4_T5_mT6_P12ihipStream_tbENKUlT_T0_E_clISt17integral_constantIbLb1EESX_EEDaSS_ST_EUlSS_E_NS1_11comp_targetILNS1_3genE2ELNS1_11target_archE906ELNS1_3gpuE6ELNS1_3repE0EEENS1_30default_config_static_selectorELNS0_4arch9wavefront6targetE1EEEvT1_,"axG",@progbits,_ZN7rocprim17ROCPRIM_400000_NS6detail17trampoline_kernelINS0_14default_configENS1_20scan_config_selectorIfEEZZNS1_9scan_implILNS1_25lookback_scan_determinismE0ELb0ELb0ES3_N6thrust23THRUST_200600_302600_NS6detail15normal_iteratorINS9_10device_ptrIfEEEENS9_16discard_iteratorINS9_11use_defaultEEEfNS9_4plusIvEEfEEDaPvRmT3_T4_T5_mT6_P12ihipStream_tbENKUlT_T0_E_clISt17integral_constantIbLb1EESX_EEDaSS_ST_EUlSS_E_NS1_11comp_targetILNS1_3genE2ELNS1_11target_archE906ELNS1_3gpuE6ELNS1_3repE0EEENS1_30default_config_static_selectorELNS0_4arch9wavefront6targetE1EEEvT1_,comdat
	.protected	_ZN7rocprim17ROCPRIM_400000_NS6detail17trampoline_kernelINS0_14default_configENS1_20scan_config_selectorIfEEZZNS1_9scan_implILNS1_25lookback_scan_determinismE0ELb0ELb0ES3_N6thrust23THRUST_200600_302600_NS6detail15normal_iteratorINS9_10device_ptrIfEEEENS9_16discard_iteratorINS9_11use_defaultEEEfNS9_4plusIvEEfEEDaPvRmT3_T4_T5_mT6_P12ihipStream_tbENKUlT_T0_E_clISt17integral_constantIbLb1EESX_EEDaSS_ST_EUlSS_E_NS1_11comp_targetILNS1_3genE2ELNS1_11target_archE906ELNS1_3gpuE6ELNS1_3repE0EEENS1_30default_config_static_selectorELNS0_4arch9wavefront6targetE1EEEvT1_ ; -- Begin function _ZN7rocprim17ROCPRIM_400000_NS6detail17trampoline_kernelINS0_14default_configENS1_20scan_config_selectorIfEEZZNS1_9scan_implILNS1_25lookback_scan_determinismE0ELb0ELb0ES3_N6thrust23THRUST_200600_302600_NS6detail15normal_iteratorINS9_10device_ptrIfEEEENS9_16discard_iteratorINS9_11use_defaultEEEfNS9_4plusIvEEfEEDaPvRmT3_T4_T5_mT6_P12ihipStream_tbENKUlT_T0_E_clISt17integral_constantIbLb1EESX_EEDaSS_ST_EUlSS_E_NS1_11comp_targetILNS1_3genE2ELNS1_11target_archE906ELNS1_3gpuE6ELNS1_3repE0EEENS1_30default_config_static_selectorELNS0_4arch9wavefront6targetE1EEEvT1_
	.globl	_ZN7rocprim17ROCPRIM_400000_NS6detail17trampoline_kernelINS0_14default_configENS1_20scan_config_selectorIfEEZZNS1_9scan_implILNS1_25lookback_scan_determinismE0ELb0ELb0ES3_N6thrust23THRUST_200600_302600_NS6detail15normal_iteratorINS9_10device_ptrIfEEEENS9_16discard_iteratorINS9_11use_defaultEEEfNS9_4plusIvEEfEEDaPvRmT3_T4_T5_mT6_P12ihipStream_tbENKUlT_T0_E_clISt17integral_constantIbLb1EESX_EEDaSS_ST_EUlSS_E_NS1_11comp_targetILNS1_3genE2ELNS1_11target_archE906ELNS1_3gpuE6ELNS1_3repE0EEENS1_30default_config_static_selectorELNS0_4arch9wavefront6targetE1EEEvT1_
	.p2align	8
	.type	_ZN7rocprim17ROCPRIM_400000_NS6detail17trampoline_kernelINS0_14default_configENS1_20scan_config_selectorIfEEZZNS1_9scan_implILNS1_25lookback_scan_determinismE0ELb0ELb0ES3_N6thrust23THRUST_200600_302600_NS6detail15normal_iteratorINS9_10device_ptrIfEEEENS9_16discard_iteratorINS9_11use_defaultEEEfNS9_4plusIvEEfEEDaPvRmT3_T4_T5_mT6_P12ihipStream_tbENKUlT_T0_E_clISt17integral_constantIbLb1EESX_EEDaSS_ST_EUlSS_E_NS1_11comp_targetILNS1_3genE2ELNS1_11target_archE906ELNS1_3gpuE6ELNS1_3repE0EEENS1_30default_config_static_selectorELNS0_4arch9wavefront6targetE1EEEvT1_,@function
_ZN7rocprim17ROCPRIM_400000_NS6detail17trampoline_kernelINS0_14default_configENS1_20scan_config_selectorIfEEZZNS1_9scan_implILNS1_25lookback_scan_determinismE0ELb0ELb0ES3_N6thrust23THRUST_200600_302600_NS6detail15normal_iteratorINS9_10device_ptrIfEEEENS9_16discard_iteratorINS9_11use_defaultEEEfNS9_4plusIvEEfEEDaPvRmT3_T4_T5_mT6_P12ihipStream_tbENKUlT_T0_E_clISt17integral_constantIbLb1EESX_EEDaSS_ST_EUlSS_E_NS1_11comp_targetILNS1_3genE2ELNS1_11target_archE906ELNS1_3gpuE6ELNS1_3repE0EEENS1_30default_config_static_selectorELNS0_4arch9wavefront6targetE1EEEvT1_: ; @_ZN7rocprim17ROCPRIM_400000_NS6detail17trampoline_kernelINS0_14default_configENS1_20scan_config_selectorIfEEZZNS1_9scan_implILNS1_25lookback_scan_determinismE0ELb0ELb0ES3_N6thrust23THRUST_200600_302600_NS6detail15normal_iteratorINS9_10device_ptrIfEEEENS9_16discard_iteratorINS9_11use_defaultEEEfNS9_4plusIvEEfEEDaPvRmT3_T4_T5_mT6_P12ihipStream_tbENKUlT_T0_E_clISt17integral_constantIbLb1EESX_EEDaSS_ST_EUlSS_E_NS1_11comp_targetILNS1_3genE2ELNS1_11target_archE906ELNS1_3gpuE6ELNS1_3repE0EEENS1_30default_config_static_selectorELNS0_4arch9wavefront6targetE1EEEvT1_
; %bb.0:
	.section	.rodata,"a",@progbits
	.p2align	6, 0x0
	.amdhsa_kernel _ZN7rocprim17ROCPRIM_400000_NS6detail17trampoline_kernelINS0_14default_configENS1_20scan_config_selectorIfEEZZNS1_9scan_implILNS1_25lookback_scan_determinismE0ELb0ELb0ES3_N6thrust23THRUST_200600_302600_NS6detail15normal_iteratorINS9_10device_ptrIfEEEENS9_16discard_iteratorINS9_11use_defaultEEEfNS9_4plusIvEEfEEDaPvRmT3_T4_T5_mT6_P12ihipStream_tbENKUlT_T0_E_clISt17integral_constantIbLb1EESX_EEDaSS_ST_EUlSS_E_NS1_11comp_targetILNS1_3genE2ELNS1_11target_archE906ELNS1_3gpuE6ELNS1_3repE0EEENS1_30default_config_static_selectorELNS0_4arch9wavefront6targetE1EEEvT1_
		.amdhsa_group_segment_fixed_size 0
		.amdhsa_private_segment_fixed_size 0
		.amdhsa_kernarg_size 104
		.amdhsa_user_sgpr_count 6
		.amdhsa_user_sgpr_private_segment_buffer 1
		.amdhsa_user_sgpr_dispatch_ptr 0
		.amdhsa_user_sgpr_queue_ptr 0
		.amdhsa_user_sgpr_kernarg_segment_ptr 1
		.amdhsa_user_sgpr_dispatch_id 0
		.amdhsa_user_sgpr_flat_scratch_init 0
		.amdhsa_user_sgpr_kernarg_preload_length 0
		.amdhsa_user_sgpr_kernarg_preload_offset 0
		.amdhsa_user_sgpr_private_segment_size 0
		.amdhsa_uses_dynamic_stack 0
		.amdhsa_system_sgpr_private_segment_wavefront_offset 0
		.amdhsa_system_sgpr_workgroup_id_x 1
		.amdhsa_system_sgpr_workgroup_id_y 0
		.amdhsa_system_sgpr_workgroup_id_z 0
		.amdhsa_system_sgpr_workgroup_info 0
		.amdhsa_system_vgpr_workitem_id 0
		.amdhsa_next_free_vgpr 1
		.amdhsa_next_free_sgpr 0
		.amdhsa_accum_offset 4
		.amdhsa_reserve_vcc 0
		.amdhsa_reserve_flat_scratch 0
		.amdhsa_float_round_mode_32 0
		.amdhsa_float_round_mode_16_64 0
		.amdhsa_float_denorm_mode_32 3
		.amdhsa_float_denorm_mode_16_64 3
		.amdhsa_dx10_clamp 1
		.amdhsa_ieee_mode 1
		.amdhsa_fp16_overflow 0
		.amdhsa_tg_split 0
		.amdhsa_exception_fp_ieee_invalid_op 0
		.amdhsa_exception_fp_denorm_src 0
		.amdhsa_exception_fp_ieee_div_zero 0
		.amdhsa_exception_fp_ieee_overflow 0
		.amdhsa_exception_fp_ieee_underflow 0
		.amdhsa_exception_fp_ieee_inexact 0
		.amdhsa_exception_int_div_zero 0
	.end_amdhsa_kernel
	.section	.text._ZN7rocprim17ROCPRIM_400000_NS6detail17trampoline_kernelINS0_14default_configENS1_20scan_config_selectorIfEEZZNS1_9scan_implILNS1_25lookback_scan_determinismE0ELb0ELb0ES3_N6thrust23THRUST_200600_302600_NS6detail15normal_iteratorINS9_10device_ptrIfEEEENS9_16discard_iteratorINS9_11use_defaultEEEfNS9_4plusIvEEfEEDaPvRmT3_T4_T5_mT6_P12ihipStream_tbENKUlT_T0_E_clISt17integral_constantIbLb1EESX_EEDaSS_ST_EUlSS_E_NS1_11comp_targetILNS1_3genE2ELNS1_11target_archE906ELNS1_3gpuE6ELNS1_3repE0EEENS1_30default_config_static_selectorELNS0_4arch9wavefront6targetE1EEEvT1_,"axG",@progbits,_ZN7rocprim17ROCPRIM_400000_NS6detail17trampoline_kernelINS0_14default_configENS1_20scan_config_selectorIfEEZZNS1_9scan_implILNS1_25lookback_scan_determinismE0ELb0ELb0ES3_N6thrust23THRUST_200600_302600_NS6detail15normal_iteratorINS9_10device_ptrIfEEEENS9_16discard_iteratorINS9_11use_defaultEEEfNS9_4plusIvEEfEEDaPvRmT3_T4_T5_mT6_P12ihipStream_tbENKUlT_T0_E_clISt17integral_constantIbLb1EESX_EEDaSS_ST_EUlSS_E_NS1_11comp_targetILNS1_3genE2ELNS1_11target_archE906ELNS1_3gpuE6ELNS1_3repE0EEENS1_30default_config_static_selectorELNS0_4arch9wavefront6targetE1EEEvT1_,comdat
.Lfunc_end5028:
	.size	_ZN7rocprim17ROCPRIM_400000_NS6detail17trampoline_kernelINS0_14default_configENS1_20scan_config_selectorIfEEZZNS1_9scan_implILNS1_25lookback_scan_determinismE0ELb0ELb0ES3_N6thrust23THRUST_200600_302600_NS6detail15normal_iteratorINS9_10device_ptrIfEEEENS9_16discard_iteratorINS9_11use_defaultEEEfNS9_4plusIvEEfEEDaPvRmT3_T4_T5_mT6_P12ihipStream_tbENKUlT_T0_E_clISt17integral_constantIbLb1EESX_EEDaSS_ST_EUlSS_E_NS1_11comp_targetILNS1_3genE2ELNS1_11target_archE906ELNS1_3gpuE6ELNS1_3repE0EEENS1_30default_config_static_selectorELNS0_4arch9wavefront6targetE1EEEvT1_, .Lfunc_end5028-_ZN7rocprim17ROCPRIM_400000_NS6detail17trampoline_kernelINS0_14default_configENS1_20scan_config_selectorIfEEZZNS1_9scan_implILNS1_25lookback_scan_determinismE0ELb0ELb0ES3_N6thrust23THRUST_200600_302600_NS6detail15normal_iteratorINS9_10device_ptrIfEEEENS9_16discard_iteratorINS9_11use_defaultEEEfNS9_4plusIvEEfEEDaPvRmT3_T4_T5_mT6_P12ihipStream_tbENKUlT_T0_E_clISt17integral_constantIbLb1EESX_EEDaSS_ST_EUlSS_E_NS1_11comp_targetILNS1_3genE2ELNS1_11target_archE906ELNS1_3gpuE6ELNS1_3repE0EEENS1_30default_config_static_selectorELNS0_4arch9wavefront6targetE1EEEvT1_
                                        ; -- End function
	.section	.AMDGPU.csdata,"",@progbits
; Kernel info:
; codeLenInByte = 0
; NumSgprs: 4
; NumVgprs: 0
; NumAgprs: 0
; TotalNumVgprs: 0
; ScratchSize: 0
; MemoryBound: 0
; FloatMode: 240
; IeeeMode: 1
; LDSByteSize: 0 bytes/workgroup (compile time only)
; SGPRBlocks: 0
; VGPRBlocks: 0
; NumSGPRsForWavesPerEU: 4
; NumVGPRsForWavesPerEU: 1
; AccumOffset: 4
; Occupancy: 8
; WaveLimiterHint : 0
; COMPUTE_PGM_RSRC2:SCRATCH_EN: 0
; COMPUTE_PGM_RSRC2:USER_SGPR: 6
; COMPUTE_PGM_RSRC2:TRAP_HANDLER: 0
; COMPUTE_PGM_RSRC2:TGID_X_EN: 1
; COMPUTE_PGM_RSRC2:TGID_Y_EN: 0
; COMPUTE_PGM_RSRC2:TGID_Z_EN: 0
; COMPUTE_PGM_RSRC2:TIDIG_COMP_CNT: 0
; COMPUTE_PGM_RSRC3_GFX90A:ACCUM_OFFSET: 0
; COMPUTE_PGM_RSRC3_GFX90A:TG_SPLIT: 0
	.section	.text._ZN7rocprim17ROCPRIM_400000_NS6detail17trampoline_kernelINS0_14default_configENS1_20scan_config_selectorIfEEZZNS1_9scan_implILNS1_25lookback_scan_determinismE0ELb0ELb0ES3_N6thrust23THRUST_200600_302600_NS6detail15normal_iteratorINS9_10device_ptrIfEEEENS9_16discard_iteratorINS9_11use_defaultEEEfNS9_4plusIvEEfEEDaPvRmT3_T4_T5_mT6_P12ihipStream_tbENKUlT_T0_E_clISt17integral_constantIbLb1EESX_EEDaSS_ST_EUlSS_E_NS1_11comp_targetILNS1_3genE10ELNS1_11target_archE1201ELNS1_3gpuE5ELNS1_3repE0EEENS1_30default_config_static_selectorELNS0_4arch9wavefront6targetE1EEEvT1_,"axG",@progbits,_ZN7rocprim17ROCPRIM_400000_NS6detail17trampoline_kernelINS0_14default_configENS1_20scan_config_selectorIfEEZZNS1_9scan_implILNS1_25lookback_scan_determinismE0ELb0ELb0ES3_N6thrust23THRUST_200600_302600_NS6detail15normal_iteratorINS9_10device_ptrIfEEEENS9_16discard_iteratorINS9_11use_defaultEEEfNS9_4plusIvEEfEEDaPvRmT3_T4_T5_mT6_P12ihipStream_tbENKUlT_T0_E_clISt17integral_constantIbLb1EESX_EEDaSS_ST_EUlSS_E_NS1_11comp_targetILNS1_3genE10ELNS1_11target_archE1201ELNS1_3gpuE5ELNS1_3repE0EEENS1_30default_config_static_selectorELNS0_4arch9wavefront6targetE1EEEvT1_,comdat
	.protected	_ZN7rocprim17ROCPRIM_400000_NS6detail17trampoline_kernelINS0_14default_configENS1_20scan_config_selectorIfEEZZNS1_9scan_implILNS1_25lookback_scan_determinismE0ELb0ELb0ES3_N6thrust23THRUST_200600_302600_NS6detail15normal_iteratorINS9_10device_ptrIfEEEENS9_16discard_iteratorINS9_11use_defaultEEEfNS9_4plusIvEEfEEDaPvRmT3_T4_T5_mT6_P12ihipStream_tbENKUlT_T0_E_clISt17integral_constantIbLb1EESX_EEDaSS_ST_EUlSS_E_NS1_11comp_targetILNS1_3genE10ELNS1_11target_archE1201ELNS1_3gpuE5ELNS1_3repE0EEENS1_30default_config_static_selectorELNS0_4arch9wavefront6targetE1EEEvT1_ ; -- Begin function _ZN7rocprim17ROCPRIM_400000_NS6detail17trampoline_kernelINS0_14default_configENS1_20scan_config_selectorIfEEZZNS1_9scan_implILNS1_25lookback_scan_determinismE0ELb0ELb0ES3_N6thrust23THRUST_200600_302600_NS6detail15normal_iteratorINS9_10device_ptrIfEEEENS9_16discard_iteratorINS9_11use_defaultEEEfNS9_4plusIvEEfEEDaPvRmT3_T4_T5_mT6_P12ihipStream_tbENKUlT_T0_E_clISt17integral_constantIbLb1EESX_EEDaSS_ST_EUlSS_E_NS1_11comp_targetILNS1_3genE10ELNS1_11target_archE1201ELNS1_3gpuE5ELNS1_3repE0EEENS1_30default_config_static_selectorELNS0_4arch9wavefront6targetE1EEEvT1_
	.globl	_ZN7rocprim17ROCPRIM_400000_NS6detail17trampoline_kernelINS0_14default_configENS1_20scan_config_selectorIfEEZZNS1_9scan_implILNS1_25lookback_scan_determinismE0ELb0ELb0ES3_N6thrust23THRUST_200600_302600_NS6detail15normal_iteratorINS9_10device_ptrIfEEEENS9_16discard_iteratorINS9_11use_defaultEEEfNS9_4plusIvEEfEEDaPvRmT3_T4_T5_mT6_P12ihipStream_tbENKUlT_T0_E_clISt17integral_constantIbLb1EESX_EEDaSS_ST_EUlSS_E_NS1_11comp_targetILNS1_3genE10ELNS1_11target_archE1201ELNS1_3gpuE5ELNS1_3repE0EEENS1_30default_config_static_selectorELNS0_4arch9wavefront6targetE1EEEvT1_
	.p2align	8
	.type	_ZN7rocprim17ROCPRIM_400000_NS6detail17trampoline_kernelINS0_14default_configENS1_20scan_config_selectorIfEEZZNS1_9scan_implILNS1_25lookback_scan_determinismE0ELb0ELb0ES3_N6thrust23THRUST_200600_302600_NS6detail15normal_iteratorINS9_10device_ptrIfEEEENS9_16discard_iteratorINS9_11use_defaultEEEfNS9_4plusIvEEfEEDaPvRmT3_T4_T5_mT6_P12ihipStream_tbENKUlT_T0_E_clISt17integral_constantIbLb1EESX_EEDaSS_ST_EUlSS_E_NS1_11comp_targetILNS1_3genE10ELNS1_11target_archE1201ELNS1_3gpuE5ELNS1_3repE0EEENS1_30default_config_static_selectorELNS0_4arch9wavefront6targetE1EEEvT1_,@function
_ZN7rocprim17ROCPRIM_400000_NS6detail17trampoline_kernelINS0_14default_configENS1_20scan_config_selectorIfEEZZNS1_9scan_implILNS1_25lookback_scan_determinismE0ELb0ELb0ES3_N6thrust23THRUST_200600_302600_NS6detail15normal_iteratorINS9_10device_ptrIfEEEENS9_16discard_iteratorINS9_11use_defaultEEEfNS9_4plusIvEEfEEDaPvRmT3_T4_T5_mT6_P12ihipStream_tbENKUlT_T0_E_clISt17integral_constantIbLb1EESX_EEDaSS_ST_EUlSS_E_NS1_11comp_targetILNS1_3genE10ELNS1_11target_archE1201ELNS1_3gpuE5ELNS1_3repE0EEENS1_30default_config_static_selectorELNS0_4arch9wavefront6targetE1EEEvT1_: ; @_ZN7rocprim17ROCPRIM_400000_NS6detail17trampoline_kernelINS0_14default_configENS1_20scan_config_selectorIfEEZZNS1_9scan_implILNS1_25lookback_scan_determinismE0ELb0ELb0ES3_N6thrust23THRUST_200600_302600_NS6detail15normal_iteratorINS9_10device_ptrIfEEEENS9_16discard_iteratorINS9_11use_defaultEEEfNS9_4plusIvEEfEEDaPvRmT3_T4_T5_mT6_P12ihipStream_tbENKUlT_T0_E_clISt17integral_constantIbLb1EESX_EEDaSS_ST_EUlSS_E_NS1_11comp_targetILNS1_3genE10ELNS1_11target_archE1201ELNS1_3gpuE5ELNS1_3repE0EEENS1_30default_config_static_selectorELNS0_4arch9wavefront6targetE1EEEvT1_
; %bb.0:
	.section	.rodata,"a",@progbits
	.p2align	6, 0x0
	.amdhsa_kernel _ZN7rocprim17ROCPRIM_400000_NS6detail17trampoline_kernelINS0_14default_configENS1_20scan_config_selectorIfEEZZNS1_9scan_implILNS1_25lookback_scan_determinismE0ELb0ELb0ES3_N6thrust23THRUST_200600_302600_NS6detail15normal_iteratorINS9_10device_ptrIfEEEENS9_16discard_iteratorINS9_11use_defaultEEEfNS9_4plusIvEEfEEDaPvRmT3_T4_T5_mT6_P12ihipStream_tbENKUlT_T0_E_clISt17integral_constantIbLb1EESX_EEDaSS_ST_EUlSS_E_NS1_11comp_targetILNS1_3genE10ELNS1_11target_archE1201ELNS1_3gpuE5ELNS1_3repE0EEENS1_30default_config_static_selectorELNS0_4arch9wavefront6targetE1EEEvT1_
		.amdhsa_group_segment_fixed_size 0
		.amdhsa_private_segment_fixed_size 0
		.amdhsa_kernarg_size 104
		.amdhsa_user_sgpr_count 6
		.amdhsa_user_sgpr_private_segment_buffer 1
		.amdhsa_user_sgpr_dispatch_ptr 0
		.amdhsa_user_sgpr_queue_ptr 0
		.amdhsa_user_sgpr_kernarg_segment_ptr 1
		.amdhsa_user_sgpr_dispatch_id 0
		.amdhsa_user_sgpr_flat_scratch_init 0
		.amdhsa_user_sgpr_kernarg_preload_length 0
		.amdhsa_user_sgpr_kernarg_preload_offset 0
		.amdhsa_user_sgpr_private_segment_size 0
		.amdhsa_uses_dynamic_stack 0
		.amdhsa_system_sgpr_private_segment_wavefront_offset 0
		.amdhsa_system_sgpr_workgroup_id_x 1
		.amdhsa_system_sgpr_workgroup_id_y 0
		.amdhsa_system_sgpr_workgroup_id_z 0
		.amdhsa_system_sgpr_workgroup_info 0
		.amdhsa_system_vgpr_workitem_id 0
		.amdhsa_next_free_vgpr 1
		.amdhsa_next_free_sgpr 0
		.amdhsa_accum_offset 4
		.amdhsa_reserve_vcc 0
		.amdhsa_reserve_flat_scratch 0
		.amdhsa_float_round_mode_32 0
		.amdhsa_float_round_mode_16_64 0
		.amdhsa_float_denorm_mode_32 3
		.amdhsa_float_denorm_mode_16_64 3
		.amdhsa_dx10_clamp 1
		.amdhsa_ieee_mode 1
		.amdhsa_fp16_overflow 0
		.amdhsa_tg_split 0
		.amdhsa_exception_fp_ieee_invalid_op 0
		.amdhsa_exception_fp_denorm_src 0
		.amdhsa_exception_fp_ieee_div_zero 0
		.amdhsa_exception_fp_ieee_overflow 0
		.amdhsa_exception_fp_ieee_underflow 0
		.amdhsa_exception_fp_ieee_inexact 0
		.amdhsa_exception_int_div_zero 0
	.end_amdhsa_kernel
	.section	.text._ZN7rocprim17ROCPRIM_400000_NS6detail17trampoline_kernelINS0_14default_configENS1_20scan_config_selectorIfEEZZNS1_9scan_implILNS1_25lookback_scan_determinismE0ELb0ELb0ES3_N6thrust23THRUST_200600_302600_NS6detail15normal_iteratorINS9_10device_ptrIfEEEENS9_16discard_iteratorINS9_11use_defaultEEEfNS9_4plusIvEEfEEDaPvRmT3_T4_T5_mT6_P12ihipStream_tbENKUlT_T0_E_clISt17integral_constantIbLb1EESX_EEDaSS_ST_EUlSS_E_NS1_11comp_targetILNS1_3genE10ELNS1_11target_archE1201ELNS1_3gpuE5ELNS1_3repE0EEENS1_30default_config_static_selectorELNS0_4arch9wavefront6targetE1EEEvT1_,"axG",@progbits,_ZN7rocprim17ROCPRIM_400000_NS6detail17trampoline_kernelINS0_14default_configENS1_20scan_config_selectorIfEEZZNS1_9scan_implILNS1_25lookback_scan_determinismE0ELb0ELb0ES3_N6thrust23THRUST_200600_302600_NS6detail15normal_iteratorINS9_10device_ptrIfEEEENS9_16discard_iteratorINS9_11use_defaultEEEfNS9_4plusIvEEfEEDaPvRmT3_T4_T5_mT6_P12ihipStream_tbENKUlT_T0_E_clISt17integral_constantIbLb1EESX_EEDaSS_ST_EUlSS_E_NS1_11comp_targetILNS1_3genE10ELNS1_11target_archE1201ELNS1_3gpuE5ELNS1_3repE0EEENS1_30default_config_static_selectorELNS0_4arch9wavefront6targetE1EEEvT1_,comdat
.Lfunc_end5029:
	.size	_ZN7rocprim17ROCPRIM_400000_NS6detail17trampoline_kernelINS0_14default_configENS1_20scan_config_selectorIfEEZZNS1_9scan_implILNS1_25lookback_scan_determinismE0ELb0ELb0ES3_N6thrust23THRUST_200600_302600_NS6detail15normal_iteratorINS9_10device_ptrIfEEEENS9_16discard_iteratorINS9_11use_defaultEEEfNS9_4plusIvEEfEEDaPvRmT3_T4_T5_mT6_P12ihipStream_tbENKUlT_T0_E_clISt17integral_constantIbLb1EESX_EEDaSS_ST_EUlSS_E_NS1_11comp_targetILNS1_3genE10ELNS1_11target_archE1201ELNS1_3gpuE5ELNS1_3repE0EEENS1_30default_config_static_selectorELNS0_4arch9wavefront6targetE1EEEvT1_, .Lfunc_end5029-_ZN7rocprim17ROCPRIM_400000_NS6detail17trampoline_kernelINS0_14default_configENS1_20scan_config_selectorIfEEZZNS1_9scan_implILNS1_25lookback_scan_determinismE0ELb0ELb0ES3_N6thrust23THRUST_200600_302600_NS6detail15normal_iteratorINS9_10device_ptrIfEEEENS9_16discard_iteratorINS9_11use_defaultEEEfNS9_4plusIvEEfEEDaPvRmT3_T4_T5_mT6_P12ihipStream_tbENKUlT_T0_E_clISt17integral_constantIbLb1EESX_EEDaSS_ST_EUlSS_E_NS1_11comp_targetILNS1_3genE10ELNS1_11target_archE1201ELNS1_3gpuE5ELNS1_3repE0EEENS1_30default_config_static_selectorELNS0_4arch9wavefront6targetE1EEEvT1_
                                        ; -- End function
	.section	.AMDGPU.csdata,"",@progbits
; Kernel info:
; codeLenInByte = 0
; NumSgprs: 4
; NumVgprs: 0
; NumAgprs: 0
; TotalNumVgprs: 0
; ScratchSize: 0
; MemoryBound: 0
; FloatMode: 240
; IeeeMode: 1
; LDSByteSize: 0 bytes/workgroup (compile time only)
; SGPRBlocks: 0
; VGPRBlocks: 0
; NumSGPRsForWavesPerEU: 4
; NumVGPRsForWavesPerEU: 1
; AccumOffset: 4
; Occupancy: 8
; WaveLimiterHint : 0
; COMPUTE_PGM_RSRC2:SCRATCH_EN: 0
; COMPUTE_PGM_RSRC2:USER_SGPR: 6
; COMPUTE_PGM_RSRC2:TRAP_HANDLER: 0
; COMPUTE_PGM_RSRC2:TGID_X_EN: 1
; COMPUTE_PGM_RSRC2:TGID_Y_EN: 0
; COMPUTE_PGM_RSRC2:TGID_Z_EN: 0
; COMPUTE_PGM_RSRC2:TIDIG_COMP_CNT: 0
; COMPUTE_PGM_RSRC3_GFX90A:ACCUM_OFFSET: 0
; COMPUTE_PGM_RSRC3_GFX90A:TG_SPLIT: 0
	.section	.text._ZN7rocprim17ROCPRIM_400000_NS6detail17trampoline_kernelINS0_14default_configENS1_20scan_config_selectorIfEEZZNS1_9scan_implILNS1_25lookback_scan_determinismE0ELb0ELb0ES3_N6thrust23THRUST_200600_302600_NS6detail15normal_iteratorINS9_10device_ptrIfEEEENS9_16discard_iteratorINS9_11use_defaultEEEfNS9_4plusIvEEfEEDaPvRmT3_T4_T5_mT6_P12ihipStream_tbENKUlT_T0_E_clISt17integral_constantIbLb1EESX_EEDaSS_ST_EUlSS_E_NS1_11comp_targetILNS1_3genE10ELNS1_11target_archE1200ELNS1_3gpuE4ELNS1_3repE0EEENS1_30default_config_static_selectorELNS0_4arch9wavefront6targetE1EEEvT1_,"axG",@progbits,_ZN7rocprim17ROCPRIM_400000_NS6detail17trampoline_kernelINS0_14default_configENS1_20scan_config_selectorIfEEZZNS1_9scan_implILNS1_25lookback_scan_determinismE0ELb0ELb0ES3_N6thrust23THRUST_200600_302600_NS6detail15normal_iteratorINS9_10device_ptrIfEEEENS9_16discard_iteratorINS9_11use_defaultEEEfNS9_4plusIvEEfEEDaPvRmT3_T4_T5_mT6_P12ihipStream_tbENKUlT_T0_E_clISt17integral_constantIbLb1EESX_EEDaSS_ST_EUlSS_E_NS1_11comp_targetILNS1_3genE10ELNS1_11target_archE1200ELNS1_3gpuE4ELNS1_3repE0EEENS1_30default_config_static_selectorELNS0_4arch9wavefront6targetE1EEEvT1_,comdat
	.protected	_ZN7rocprim17ROCPRIM_400000_NS6detail17trampoline_kernelINS0_14default_configENS1_20scan_config_selectorIfEEZZNS1_9scan_implILNS1_25lookback_scan_determinismE0ELb0ELb0ES3_N6thrust23THRUST_200600_302600_NS6detail15normal_iteratorINS9_10device_ptrIfEEEENS9_16discard_iteratorINS9_11use_defaultEEEfNS9_4plusIvEEfEEDaPvRmT3_T4_T5_mT6_P12ihipStream_tbENKUlT_T0_E_clISt17integral_constantIbLb1EESX_EEDaSS_ST_EUlSS_E_NS1_11comp_targetILNS1_3genE10ELNS1_11target_archE1200ELNS1_3gpuE4ELNS1_3repE0EEENS1_30default_config_static_selectorELNS0_4arch9wavefront6targetE1EEEvT1_ ; -- Begin function _ZN7rocprim17ROCPRIM_400000_NS6detail17trampoline_kernelINS0_14default_configENS1_20scan_config_selectorIfEEZZNS1_9scan_implILNS1_25lookback_scan_determinismE0ELb0ELb0ES3_N6thrust23THRUST_200600_302600_NS6detail15normal_iteratorINS9_10device_ptrIfEEEENS9_16discard_iteratorINS9_11use_defaultEEEfNS9_4plusIvEEfEEDaPvRmT3_T4_T5_mT6_P12ihipStream_tbENKUlT_T0_E_clISt17integral_constantIbLb1EESX_EEDaSS_ST_EUlSS_E_NS1_11comp_targetILNS1_3genE10ELNS1_11target_archE1200ELNS1_3gpuE4ELNS1_3repE0EEENS1_30default_config_static_selectorELNS0_4arch9wavefront6targetE1EEEvT1_
	.globl	_ZN7rocprim17ROCPRIM_400000_NS6detail17trampoline_kernelINS0_14default_configENS1_20scan_config_selectorIfEEZZNS1_9scan_implILNS1_25lookback_scan_determinismE0ELb0ELb0ES3_N6thrust23THRUST_200600_302600_NS6detail15normal_iteratorINS9_10device_ptrIfEEEENS9_16discard_iteratorINS9_11use_defaultEEEfNS9_4plusIvEEfEEDaPvRmT3_T4_T5_mT6_P12ihipStream_tbENKUlT_T0_E_clISt17integral_constantIbLb1EESX_EEDaSS_ST_EUlSS_E_NS1_11comp_targetILNS1_3genE10ELNS1_11target_archE1200ELNS1_3gpuE4ELNS1_3repE0EEENS1_30default_config_static_selectorELNS0_4arch9wavefront6targetE1EEEvT1_
	.p2align	8
	.type	_ZN7rocprim17ROCPRIM_400000_NS6detail17trampoline_kernelINS0_14default_configENS1_20scan_config_selectorIfEEZZNS1_9scan_implILNS1_25lookback_scan_determinismE0ELb0ELb0ES3_N6thrust23THRUST_200600_302600_NS6detail15normal_iteratorINS9_10device_ptrIfEEEENS9_16discard_iteratorINS9_11use_defaultEEEfNS9_4plusIvEEfEEDaPvRmT3_T4_T5_mT6_P12ihipStream_tbENKUlT_T0_E_clISt17integral_constantIbLb1EESX_EEDaSS_ST_EUlSS_E_NS1_11comp_targetILNS1_3genE10ELNS1_11target_archE1200ELNS1_3gpuE4ELNS1_3repE0EEENS1_30default_config_static_selectorELNS0_4arch9wavefront6targetE1EEEvT1_,@function
_ZN7rocprim17ROCPRIM_400000_NS6detail17trampoline_kernelINS0_14default_configENS1_20scan_config_selectorIfEEZZNS1_9scan_implILNS1_25lookback_scan_determinismE0ELb0ELb0ES3_N6thrust23THRUST_200600_302600_NS6detail15normal_iteratorINS9_10device_ptrIfEEEENS9_16discard_iteratorINS9_11use_defaultEEEfNS9_4plusIvEEfEEDaPvRmT3_T4_T5_mT6_P12ihipStream_tbENKUlT_T0_E_clISt17integral_constantIbLb1EESX_EEDaSS_ST_EUlSS_E_NS1_11comp_targetILNS1_3genE10ELNS1_11target_archE1200ELNS1_3gpuE4ELNS1_3repE0EEENS1_30default_config_static_selectorELNS0_4arch9wavefront6targetE1EEEvT1_: ; @_ZN7rocprim17ROCPRIM_400000_NS6detail17trampoline_kernelINS0_14default_configENS1_20scan_config_selectorIfEEZZNS1_9scan_implILNS1_25lookback_scan_determinismE0ELb0ELb0ES3_N6thrust23THRUST_200600_302600_NS6detail15normal_iteratorINS9_10device_ptrIfEEEENS9_16discard_iteratorINS9_11use_defaultEEEfNS9_4plusIvEEfEEDaPvRmT3_T4_T5_mT6_P12ihipStream_tbENKUlT_T0_E_clISt17integral_constantIbLb1EESX_EEDaSS_ST_EUlSS_E_NS1_11comp_targetILNS1_3genE10ELNS1_11target_archE1200ELNS1_3gpuE4ELNS1_3repE0EEENS1_30default_config_static_selectorELNS0_4arch9wavefront6targetE1EEEvT1_
; %bb.0:
	.section	.rodata,"a",@progbits
	.p2align	6, 0x0
	.amdhsa_kernel _ZN7rocprim17ROCPRIM_400000_NS6detail17trampoline_kernelINS0_14default_configENS1_20scan_config_selectorIfEEZZNS1_9scan_implILNS1_25lookback_scan_determinismE0ELb0ELb0ES3_N6thrust23THRUST_200600_302600_NS6detail15normal_iteratorINS9_10device_ptrIfEEEENS9_16discard_iteratorINS9_11use_defaultEEEfNS9_4plusIvEEfEEDaPvRmT3_T4_T5_mT6_P12ihipStream_tbENKUlT_T0_E_clISt17integral_constantIbLb1EESX_EEDaSS_ST_EUlSS_E_NS1_11comp_targetILNS1_3genE10ELNS1_11target_archE1200ELNS1_3gpuE4ELNS1_3repE0EEENS1_30default_config_static_selectorELNS0_4arch9wavefront6targetE1EEEvT1_
		.amdhsa_group_segment_fixed_size 0
		.amdhsa_private_segment_fixed_size 0
		.amdhsa_kernarg_size 104
		.amdhsa_user_sgpr_count 6
		.amdhsa_user_sgpr_private_segment_buffer 1
		.amdhsa_user_sgpr_dispatch_ptr 0
		.amdhsa_user_sgpr_queue_ptr 0
		.amdhsa_user_sgpr_kernarg_segment_ptr 1
		.amdhsa_user_sgpr_dispatch_id 0
		.amdhsa_user_sgpr_flat_scratch_init 0
		.amdhsa_user_sgpr_kernarg_preload_length 0
		.amdhsa_user_sgpr_kernarg_preload_offset 0
		.amdhsa_user_sgpr_private_segment_size 0
		.amdhsa_uses_dynamic_stack 0
		.amdhsa_system_sgpr_private_segment_wavefront_offset 0
		.amdhsa_system_sgpr_workgroup_id_x 1
		.amdhsa_system_sgpr_workgroup_id_y 0
		.amdhsa_system_sgpr_workgroup_id_z 0
		.amdhsa_system_sgpr_workgroup_info 0
		.amdhsa_system_vgpr_workitem_id 0
		.amdhsa_next_free_vgpr 1
		.amdhsa_next_free_sgpr 0
		.amdhsa_accum_offset 4
		.amdhsa_reserve_vcc 0
		.amdhsa_reserve_flat_scratch 0
		.amdhsa_float_round_mode_32 0
		.amdhsa_float_round_mode_16_64 0
		.amdhsa_float_denorm_mode_32 3
		.amdhsa_float_denorm_mode_16_64 3
		.amdhsa_dx10_clamp 1
		.amdhsa_ieee_mode 1
		.amdhsa_fp16_overflow 0
		.amdhsa_tg_split 0
		.amdhsa_exception_fp_ieee_invalid_op 0
		.amdhsa_exception_fp_denorm_src 0
		.amdhsa_exception_fp_ieee_div_zero 0
		.amdhsa_exception_fp_ieee_overflow 0
		.amdhsa_exception_fp_ieee_underflow 0
		.amdhsa_exception_fp_ieee_inexact 0
		.amdhsa_exception_int_div_zero 0
	.end_amdhsa_kernel
	.section	.text._ZN7rocprim17ROCPRIM_400000_NS6detail17trampoline_kernelINS0_14default_configENS1_20scan_config_selectorIfEEZZNS1_9scan_implILNS1_25lookback_scan_determinismE0ELb0ELb0ES3_N6thrust23THRUST_200600_302600_NS6detail15normal_iteratorINS9_10device_ptrIfEEEENS9_16discard_iteratorINS9_11use_defaultEEEfNS9_4plusIvEEfEEDaPvRmT3_T4_T5_mT6_P12ihipStream_tbENKUlT_T0_E_clISt17integral_constantIbLb1EESX_EEDaSS_ST_EUlSS_E_NS1_11comp_targetILNS1_3genE10ELNS1_11target_archE1200ELNS1_3gpuE4ELNS1_3repE0EEENS1_30default_config_static_selectorELNS0_4arch9wavefront6targetE1EEEvT1_,"axG",@progbits,_ZN7rocprim17ROCPRIM_400000_NS6detail17trampoline_kernelINS0_14default_configENS1_20scan_config_selectorIfEEZZNS1_9scan_implILNS1_25lookback_scan_determinismE0ELb0ELb0ES3_N6thrust23THRUST_200600_302600_NS6detail15normal_iteratorINS9_10device_ptrIfEEEENS9_16discard_iteratorINS9_11use_defaultEEEfNS9_4plusIvEEfEEDaPvRmT3_T4_T5_mT6_P12ihipStream_tbENKUlT_T0_E_clISt17integral_constantIbLb1EESX_EEDaSS_ST_EUlSS_E_NS1_11comp_targetILNS1_3genE10ELNS1_11target_archE1200ELNS1_3gpuE4ELNS1_3repE0EEENS1_30default_config_static_selectorELNS0_4arch9wavefront6targetE1EEEvT1_,comdat
.Lfunc_end5030:
	.size	_ZN7rocprim17ROCPRIM_400000_NS6detail17trampoline_kernelINS0_14default_configENS1_20scan_config_selectorIfEEZZNS1_9scan_implILNS1_25lookback_scan_determinismE0ELb0ELb0ES3_N6thrust23THRUST_200600_302600_NS6detail15normal_iteratorINS9_10device_ptrIfEEEENS9_16discard_iteratorINS9_11use_defaultEEEfNS9_4plusIvEEfEEDaPvRmT3_T4_T5_mT6_P12ihipStream_tbENKUlT_T0_E_clISt17integral_constantIbLb1EESX_EEDaSS_ST_EUlSS_E_NS1_11comp_targetILNS1_3genE10ELNS1_11target_archE1200ELNS1_3gpuE4ELNS1_3repE0EEENS1_30default_config_static_selectorELNS0_4arch9wavefront6targetE1EEEvT1_, .Lfunc_end5030-_ZN7rocprim17ROCPRIM_400000_NS6detail17trampoline_kernelINS0_14default_configENS1_20scan_config_selectorIfEEZZNS1_9scan_implILNS1_25lookback_scan_determinismE0ELb0ELb0ES3_N6thrust23THRUST_200600_302600_NS6detail15normal_iteratorINS9_10device_ptrIfEEEENS9_16discard_iteratorINS9_11use_defaultEEEfNS9_4plusIvEEfEEDaPvRmT3_T4_T5_mT6_P12ihipStream_tbENKUlT_T0_E_clISt17integral_constantIbLb1EESX_EEDaSS_ST_EUlSS_E_NS1_11comp_targetILNS1_3genE10ELNS1_11target_archE1200ELNS1_3gpuE4ELNS1_3repE0EEENS1_30default_config_static_selectorELNS0_4arch9wavefront6targetE1EEEvT1_
                                        ; -- End function
	.section	.AMDGPU.csdata,"",@progbits
; Kernel info:
; codeLenInByte = 0
; NumSgprs: 4
; NumVgprs: 0
; NumAgprs: 0
; TotalNumVgprs: 0
; ScratchSize: 0
; MemoryBound: 0
; FloatMode: 240
; IeeeMode: 1
; LDSByteSize: 0 bytes/workgroup (compile time only)
; SGPRBlocks: 0
; VGPRBlocks: 0
; NumSGPRsForWavesPerEU: 4
; NumVGPRsForWavesPerEU: 1
; AccumOffset: 4
; Occupancy: 8
; WaveLimiterHint : 0
; COMPUTE_PGM_RSRC2:SCRATCH_EN: 0
; COMPUTE_PGM_RSRC2:USER_SGPR: 6
; COMPUTE_PGM_RSRC2:TRAP_HANDLER: 0
; COMPUTE_PGM_RSRC2:TGID_X_EN: 1
; COMPUTE_PGM_RSRC2:TGID_Y_EN: 0
; COMPUTE_PGM_RSRC2:TGID_Z_EN: 0
; COMPUTE_PGM_RSRC2:TIDIG_COMP_CNT: 0
; COMPUTE_PGM_RSRC3_GFX90A:ACCUM_OFFSET: 0
; COMPUTE_PGM_RSRC3_GFX90A:TG_SPLIT: 0
	.section	.text._ZN7rocprim17ROCPRIM_400000_NS6detail17trampoline_kernelINS0_14default_configENS1_20scan_config_selectorIfEEZZNS1_9scan_implILNS1_25lookback_scan_determinismE0ELb0ELb0ES3_N6thrust23THRUST_200600_302600_NS6detail15normal_iteratorINS9_10device_ptrIfEEEENS9_16discard_iteratorINS9_11use_defaultEEEfNS9_4plusIvEEfEEDaPvRmT3_T4_T5_mT6_P12ihipStream_tbENKUlT_T0_E_clISt17integral_constantIbLb1EESX_EEDaSS_ST_EUlSS_E_NS1_11comp_targetILNS1_3genE9ELNS1_11target_archE1100ELNS1_3gpuE3ELNS1_3repE0EEENS1_30default_config_static_selectorELNS0_4arch9wavefront6targetE1EEEvT1_,"axG",@progbits,_ZN7rocprim17ROCPRIM_400000_NS6detail17trampoline_kernelINS0_14default_configENS1_20scan_config_selectorIfEEZZNS1_9scan_implILNS1_25lookback_scan_determinismE0ELb0ELb0ES3_N6thrust23THRUST_200600_302600_NS6detail15normal_iteratorINS9_10device_ptrIfEEEENS9_16discard_iteratorINS9_11use_defaultEEEfNS9_4plusIvEEfEEDaPvRmT3_T4_T5_mT6_P12ihipStream_tbENKUlT_T0_E_clISt17integral_constantIbLb1EESX_EEDaSS_ST_EUlSS_E_NS1_11comp_targetILNS1_3genE9ELNS1_11target_archE1100ELNS1_3gpuE3ELNS1_3repE0EEENS1_30default_config_static_selectorELNS0_4arch9wavefront6targetE1EEEvT1_,comdat
	.protected	_ZN7rocprim17ROCPRIM_400000_NS6detail17trampoline_kernelINS0_14default_configENS1_20scan_config_selectorIfEEZZNS1_9scan_implILNS1_25lookback_scan_determinismE0ELb0ELb0ES3_N6thrust23THRUST_200600_302600_NS6detail15normal_iteratorINS9_10device_ptrIfEEEENS9_16discard_iteratorINS9_11use_defaultEEEfNS9_4plusIvEEfEEDaPvRmT3_T4_T5_mT6_P12ihipStream_tbENKUlT_T0_E_clISt17integral_constantIbLb1EESX_EEDaSS_ST_EUlSS_E_NS1_11comp_targetILNS1_3genE9ELNS1_11target_archE1100ELNS1_3gpuE3ELNS1_3repE0EEENS1_30default_config_static_selectorELNS0_4arch9wavefront6targetE1EEEvT1_ ; -- Begin function _ZN7rocprim17ROCPRIM_400000_NS6detail17trampoline_kernelINS0_14default_configENS1_20scan_config_selectorIfEEZZNS1_9scan_implILNS1_25lookback_scan_determinismE0ELb0ELb0ES3_N6thrust23THRUST_200600_302600_NS6detail15normal_iteratorINS9_10device_ptrIfEEEENS9_16discard_iteratorINS9_11use_defaultEEEfNS9_4plusIvEEfEEDaPvRmT3_T4_T5_mT6_P12ihipStream_tbENKUlT_T0_E_clISt17integral_constantIbLb1EESX_EEDaSS_ST_EUlSS_E_NS1_11comp_targetILNS1_3genE9ELNS1_11target_archE1100ELNS1_3gpuE3ELNS1_3repE0EEENS1_30default_config_static_selectorELNS0_4arch9wavefront6targetE1EEEvT1_
	.globl	_ZN7rocprim17ROCPRIM_400000_NS6detail17trampoline_kernelINS0_14default_configENS1_20scan_config_selectorIfEEZZNS1_9scan_implILNS1_25lookback_scan_determinismE0ELb0ELb0ES3_N6thrust23THRUST_200600_302600_NS6detail15normal_iteratorINS9_10device_ptrIfEEEENS9_16discard_iteratorINS9_11use_defaultEEEfNS9_4plusIvEEfEEDaPvRmT3_T4_T5_mT6_P12ihipStream_tbENKUlT_T0_E_clISt17integral_constantIbLb1EESX_EEDaSS_ST_EUlSS_E_NS1_11comp_targetILNS1_3genE9ELNS1_11target_archE1100ELNS1_3gpuE3ELNS1_3repE0EEENS1_30default_config_static_selectorELNS0_4arch9wavefront6targetE1EEEvT1_
	.p2align	8
	.type	_ZN7rocprim17ROCPRIM_400000_NS6detail17trampoline_kernelINS0_14default_configENS1_20scan_config_selectorIfEEZZNS1_9scan_implILNS1_25lookback_scan_determinismE0ELb0ELb0ES3_N6thrust23THRUST_200600_302600_NS6detail15normal_iteratorINS9_10device_ptrIfEEEENS9_16discard_iteratorINS9_11use_defaultEEEfNS9_4plusIvEEfEEDaPvRmT3_T4_T5_mT6_P12ihipStream_tbENKUlT_T0_E_clISt17integral_constantIbLb1EESX_EEDaSS_ST_EUlSS_E_NS1_11comp_targetILNS1_3genE9ELNS1_11target_archE1100ELNS1_3gpuE3ELNS1_3repE0EEENS1_30default_config_static_selectorELNS0_4arch9wavefront6targetE1EEEvT1_,@function
_ZN7rocprim17ROCPRIM_400000_NS6detail17trampoline_kernelINS0_14default_configENS1_20scan_config_selectorIfEEZZNS1_9scan_implILNS1_25lookback_scan_determinismE0ELb0ELb0ES3_N6thrust23THRUST_200600_302600_NS6detail15normal_iteratorINS9_10device_ptrIfEEEENS9_16discard_iteratorINS9_11use_defaultEEEfNS9_4plusIvEEfEEDaPvRmT3_T4_T5_mT6_P12ihipStream_tbENKUlT_T0_E_clISt17integral_constantIbLb1EESX_EEDaSS_ST_EUlSS_E_NS1_11comp_targetILNS1_3genE9ELNS1_11target_archE1100ELNS1_3gpuE3ELNS1_3repE0EEENS1_30default_config_static_selectorELNS0_4arch9wavefront6targetE1EEEvT1_: ; @_ZN7rocprim17ROCPRIM_400000_NS6detail17trampoline_kernelINS0_14default_configENS1_20scan_config_selectorIfEEZZNS1_9scan_implILNS1_25lookback_scan_determinismE0ELb0ELb0ES3_N6thrust23THRUST_200600_302600_NS6detail15normal_iteratorINS9_10device_ptrIfEEEENS9_16discard_iteratorINS9_11use_defaultEEEfNS9_4plusIvEEfEEDaPvRmT3_T4_T5_mT6_P12ihipStream_tbENKUlT_T0_E_clISt17integral_constantIbLb1EESX_EEDaSS_ST_EUlSS_E_NS1_11comp_targetILNS1_3genE9ELNS1_11target_archE1100ELNS1_3gpuE3ELNS1_3repE0EEENS1_30default_config_static_selectorELNS0_4arch9wavefront6targetE1EEEvT1_
; %bb.0:
	.section	.rodata,"a",@progbits
	.p2align	6, 0x0
	.amdhsa_kernel _ZN7rocprim17ROCPRIM_400000_NS6detail17trampoline_kernelINS0_14default_configENS1_20scan_config_selectorIfEEZZNS1_9scan_implILNS1_25lookback_scan_determinismE0ELb0ELb0ES3_N6thrust23THRUST_200600_302600_NS6detail15normal_iteratorINS9_10device_ptrIfEEEENS9_16discard_iteratorINS9_11use_defaultEEEfNS9_4plusIvEEfEEDaPvRmT3_T4_T5_mT6_P12ihipStream_tbENKUlT_T0_E_clISt17integral_constantIbLb1EESX_EEDaSS_ST_EUlSS_E_NS1_11comp_targetILNS1_3genE9ELNS1_11target_archE1100ELNS1_3gpuE3ELNS1_3repE0EEENS1_30default_config_static_selectorELNS0_4arch9wavefront6targetE1EEEvT1_
		.amdhsa_group_segment_fixed_size 0
		.amdhsa_private_segment_fixed_size 0
		.amdhsa_kernarg_size 104
		.amdhsa_user_sgpr_count 6
		.amdhsa_user_sgpr_private_segment_buffer 1
		.amdhsa_user_sgpr_dispatch_ptr 0
		.amdhsa_user_sgpr_queue_ptr 0
		.amdhsa_user_sgpr_kernarg_segment_ptr 1
		.amdhsa_user_sgpr_dispatch_id 0
		.amdhsa_user_sgpr_flat_scratch_init 0
		.amdhsa_user_sgpr_kernarg_preload_length 0
		.amdhsa_user_sgpr_kernarg_preload_offset 0
		.amdhsa_user_sgpr_private_segment_size 0
		.amdhsa_uses_dynamic_stack 0
		.amdhsa_system_sgpr_private_segment_wavefront_offset 0
		.amdhsa_system_sgpr_workgroup_id_x 1
		.amdhsa_system_sgpr_workgroup_id_y 0
		.amdhsa_system_sgpr_workgroup_id_z 0
		.amdhsa_system_sgpr_workgroup_info 0
		.amdhsa_system_vgpr_workitem_id 0
		.amdhsa_next_free_vgpr 1
		.amdhsa_next_free_sgpr 0
		.amdhsa_accum_offset 4
		.amdhsa_reserve_vcc 0
		.amdhsa_reserve_flat_scratch 0
		.amdhsa_float_round_mode_32 0
		.amdhsa_float_round_mode_16_64 0
		.amdhsa_float_denorm_mode_32 3
		.amdhsa_float_denorm_mode_16_64 3
		.amdhsa_dx10_clamp 1
		.amdhsa_ieee_mode 1
		.amdhsa_fp16_overflow 0
		.amdhsa_tg_split 0
		.amdhsa_exception_fp_ieee_invalid_op 0
		.amdhsa_exception_fp_denorm_src 0
		.amdhsa_exception_fp_ieee_div_zero 0
		.amdhsa_exception_fp_ieee_overflow 0
		.amdhsa_exception_fp_ieee_underflow 0
		.amdhsa_exception_fp_ieee_inexact 0
		.amdhsa_exception_int_div_zero 0
	.end_amdhsa_kernel
	.section	.text._ZN7rocprim17ROCPRIM_400000_NS6detail17trampoline_kernelINS0_14default_configENS1_20scan_config_selectorIfEEZZNS1_9scan_implILNS1_25lookback_scan_determinismE0ELb0ELb0ES3_N6thrust23THRUST_200600_302600_NS6detail15normal_iteratorINS9_10device_ptrIfEEEENS9_16discard_iteratorINS9_11use_defaultEEEfNS9_4plusIvEEfEEDaPvRmT3_T4_T5_mT6_P12ihipStream_tbENKUlT_T0_E_clISt17integral_constantIbLb1EESX_EEDaSS_ST_EUlSS_E_NS1_11comp_targetILNS1_3genE9ELNS1_11target_archE1100ELNS1_3gpuE3ELNS1_3repE0EEENS1_30default_config_static_selectorELNS0_4arch9wavefront6targetE1EEEvT1_,"axG",@progbits,_ZN7rocprim17ROCPRIM_400000_NS6detail17trampoline_kernelINS0_14default_configENS1_20scan_config_selectorIfEEZZNS1_9scan_implILNS1_25lookback_scan_determinismE0ELb0ELb0ES3_N6thrust23THRUST_200600_302600_NS6detail15normal_iteratorINS9_10device_ptrIfEEEENS9_16discard_iteratorINS9_11use_defaultEEEfNS9_4plusIvEEfEEDaPvRmT3_T4_T5_mT6_P12ihipStream_tbENKUlT_T0_E_clISt17integral_constantIbLb1EESX_EEDaSS_ST_EUlSS_E_NS1_11comp_targetILNS1_3genE9ELNS1_11target_archE1100ELNS1_3gpuE3ELNS1_3repE0EEENS1_30default_config_static_selectorELNS0_4arch9wavefront6targetE1EEEvT1_,comdat
.Lfunc_end5031:
	.size	_ZN7rocprim17ROCPRIM_400000_NS6detail17trampoline_kernelINS0_14default_configENS1_20scan_config_selectorIfEEZZNS1_9scan_implILNS1_25lookback_scan_determinismE0ELb0ELb0ES3_N6thrust23THRUST_200600_302600_NS6detail15normal_iteratorINS9_10device_ptrIfEEEENS9_16discard_iteratorINS9_11use_defaultEEEfNS9_4plusIvEEfEEDaPvRmT3_T4_T5_mT6_P12ihipStream_tbENKUlT_T0_E_clISt17integral_constantIbLb1EESX_EEDaSS_ST_EUlSS_E_NS1_11comp_targetILNS1_3genE9ELNS1_11target_archE1100ELNS1_3gpuE3ELNS1_3repE0EEENS1_30default_config_static_selectorELNS0_4arch9wavefront6targetE1EEEvT1_, .Lfunc_end5031-_ZN7rocprim17ROCPRIM_400000_NS6detail17trampoline_kernelINS0_14default_configENS1_20scan_config_selectorIfEEZZNS1_9scan_implILNS1_25lookback_scan_determinismE0ELb0ELb0ES3_N6thrust23THRUST_200600_302600_NS6detail15normal_iteratorINS9_10device_ptrIfEEEENS9_16discard_iteratorINS9_11use_defaultEEEfNS9_4plusIvEEfEEDaPvRmT3_T4_T5_mT6_P12ihipStream_tbENKUlT_T0_E_clISt17integral_constantIbLb1EESX_EEDaSS_ST_EUlSS_E_NS1_11comp_targetILNS1_3genE9ELNS1_11target_archE1100ELNS1_3gpuE3ELNS1_3repE0EEENS1_30default_config_static_selectorELNS0_4arch9wavefront6targetE1EEEvT1_
                                        ; -- End function
	.section	.AMDGPU.csdata,"",@progbits
; Kernel info:
; codeLenInByte = 0
; NumSgprs: 4
; NumVgprs: 0
; NumAgprs: 0
; TotalNumVgprs: 0
; ScratchSize: 0
; MemoryBound: 0
; FloatMode: 240
; IeeeMode: 1
; LDSByteSize: 0 bytes/workgroup (compile time only)
; SGPRBlocks: 0
; VGPRBlocks: 0
; NumSGPRsForWavesPerEU: 4
; NumVGPRsForWavesPerEU: 1
; AccumOffset: 4
; Occupancy: 8
; WaveLimiterHint : 0
; COMPUTE_PGM_RSRC2:SCRATCH_EN: 0
; COMPUTE_PGM_RSRC2:USER_SGPR: 6
; COMPUTE_PGM_RSRC2:TRAP_HANDLER: 0
; COMPUTE_PGM_RSRC2:TGID_X_EN: 1
; COMPUTE_PGM_RSRC2:TGID_Y_EN: 0
; COMPUTE_PGM_RSRC2:TGID_Z_EN: 0
; COMPUTE_PGM_RSRC2:TIDIG_COMP_CNT: 0
; COMPUTE_PGM_RSRC3_GFX90A:ACCUM_OFFSET: 0
; COMPUTE_PGM_RSRC3_GFX90A:TG_SPLIT: 0
	.section	.text._ZN7rocprim17ROCPRIM_400000_NS6detail17trampoline_kernelINS0_14default_configENS1_20scan_config_selectorIfEEZZNS1_9scan_implILNS1_25lookback_scan_determinismE0ELb0ELb0ES3_N6thrust23THRUST_200600_302600_NS6detail15normal_iteratorINS9_10device_ptrIfEEEENS9_16discard_iteratorINS9_11use_defaultEEEfNS9_4plusIvEEfEEDaPvRmT3_T4_T5_mT6_P12ihipStream_tbENKUlT_T0_E_clISt17integral_constantIbLb1EESX_EEDaSS_ST_EUlSS_E_NS1_11comp_targetILNS1_3genE8ELNS1_11target_archE1030ELNS1_3gpuE2ELNS1_3repE0EEENS1_30default_config_static_selectorELNS0_4arch9wavefront6targetE1EEEvT1_,"axG",@progbits,_ZN7rocprim17ROCPRIM_400000_NS6detail17trampoline_kernelINS0_14default_configENS1_20scan_config_selectorIfEEZZNS1_9scan_implILNS1_25lookback_scan_determinismE0ELb0ELb0ES3_N6thrust23THRUST_200600_302600_NS6detail15normal_iteratorINS9_10device_ptrIfEEEENS9_16discard_iteratorINS9_11use_defaultEEEfNS9_4plusIvEEfEEDaPvRmT3_T4_T5_mT6_P12ihipStream_tbENKUlT_T0_E_clISt17integral_constantIbLb1EESX_EEDaSS_ST_EUlSS_E_NS1_11comp_targetILNS1_3genE8ELNS1_11target_archE1030ELNS1_3gpuE2ELNS1_3repE0EEENS1_30default_config_static_selectorELNS0_4arch9wavefront6targetE1EEEvT1_,comdat
	.protected	_ZN7rocprim17ROCPRIM_400000_NS6detail17trampoline_kernelINS0_14default_configENS1_20scan_config_selectorIfEEZZNS1_9scan_implILNS1_25lookback_scan_determinismE0ELb0ELb0ES3_N6thrust23THRUST_200600_302600_NS6detail15normal_iteratorINS9_10device_ptrIfEEEENS9_16discard_iteratorINS9_11use_defaultEEEfNS9_4plusIvEEfEEDaPvRmT3_T4_T5_mT6_P12ihipStream_tbENKUlT_T0_E_clISt17integral_constantIbLb1EESX_EEDaSS_ST_EUlSS_E_NS1_11comp_targetILNS1_3genE8ELNS1_11target_archE1030ELNS1_3gpuE2ELNS1_3repE0EEENS1_30default_config_static_selectorELNS0_4arch9wavefront6targetE1EEEvT1_ ; -- Begin function _ZN7rocprim17ROCPRIM_400000_NS6detail17trampoline_kernelINS0_14default_configENS1_20scan_config_selectorIfEEZZNS1_9scan_implILNS1_25lookback_scan_determinismE0ELb0ELb0ES3_N6thrust23THRUST_200600_302600_NS6detail15normal_iteratorINS9_10device_ptrIfEEEENS9_16discard_iteratorINS9_11use_defaultEEEfNS9_4plusIvEEfEEDaPvRmT3_T4_T5_mT6_P12ihipStream_tbENKUlT_T0_E_clISt17integral_constantIbLb1EESX_EEDaSS_ST_EUlSS_E_NS1_11comp_targetILNS1_3genE8ELNS1_11target_archE1030ELNS1_3gpuE2ELNS1_3repE0EEENS1_30default_config_static_selectorELNS0_4arch9wavefront6targetE1EEEvT1_
	.globl	_ZN7rocprim17ROCPRIM_400000_NS6detail17trampoline_kernelINS0_14default_configENS1_20scan_config_selectorIfEEZZNS1_9scan_implILNS1_25lookback_scan_determinismE0ELb0ELb0ES3_N6thrust23THRUST_200600_302600_NS6detail15normal_iteratorINS9_10device_ptrIfEEEENS9_16discard_iteratorINS9_11use_defaultEEEfNS9_4plusIvEEfEEDaPvRmT3_T4_T5_mT6_P12ihipStream_tbENKUlT_T0_E_clISt17integral_constantIbLb1EESX_EEDaSS_ST_EUlSS_E_NS1_11comp_targetILNS1_3genE8ELNS1_11target_archE1030ELNS1_3gpuE2ELNS1_3repE0EEENS1_30default_config_static_selectorELNS0_4arch9wavefront6targetE1EEEvT1_
	.p2align	8
	.type	_ZN7rocprim17ROCPRIM_400000_NS6detail17trampoline_kernelINS0_14default_configENS1_20scan_config_selectorIfEEZZNS1_9scan_implILNS1_25lookback_scan_determinismE0ELb0ELb0ES3_N6thrust23THRUST_200600_302600_NS6detail15normal_iteratorINS9_10device_ptrIfEEEENS9_16discard_iteratorINS9_11use_defaultEEEfNS9_4plusIvEEfEEDaPvRmT3_T4_T5_mT6_P12ihipStream_tbENKUlT_T0_E_clISt17integral_constantIbLb1EESX_EEDaSS_ST_EUlSS_E_NS1_11comp_targetILNS1_3genE8ELNS1_11target_archE1030ELNS1_3gpuE2ELNS1_3repE0EEENS1_30default_config_static_selectorELNS0_4arch9wavefront6targetE1EEEvT1_,@function
_ZN7rocprim17ROCPRIM_400000_NS6detail17trampoline_kernelINS0_14default_configENS1_20scan_config_selectorIfEEZZNS1_9scan_implILNS1_25lookback_scan_determinismE0ELb0ELb0ES3_N6thrust23THRUST_200600_302600_NS6detail15normal_iteratorINS9_10device_ptrIfEEEENS9_16discard_iteratorINS9_11use_defaultEEEfNS9_4plusIvEEfEEDaPvRmT3_T4_T5_mT6_P12ihipStream_tbENKUlT_T0_E_clISt17integral_constantIbLb1EESX_EEDaSS_ST_EUlSS_E_NS1_11comp_targetILNS1_3genE8ELNS1_11target_archE1030ELNS1_3gpuE2ELNS1_3repE0EEENS1_30default_config_static_selectorELNS0_4arch9wavefront6targetE1EEEvT1_: ; @_ZN7rocprim17ROCPRIM_400000_NS6detail17trampoline_kernelINS0_14default_configENS1_20scan_config_selectorIfEEZZNS1_9scan_implILNS1_25lookback_scan_determinismE0ELb0ELb0ES3_N6thrust23THRUST_200600_302600_NS6detail15normal_iteratorINS9_10device_ptrIfEEEENS9_16discard_iteratorINS9_11use_defaultEEEfNS9_4plusIvEEfEEDaPvRmT3_T4_T5_mT6_P12ihipStream_tbENKUlT_T0_E_clISt17integral_constantIbLb1EESX_EEDaSS_ST_EUlSS_E_NS1_11comp_targetILNS1_3genE8ELNS1_11target_archE1030ELNS1_3gpuE2ELNS1_3repE0EEENS1_30default_config_static_selectorELNS0_4arch9wavefront6targetE1EEEvT1_
; %bb.0:
	.section	.rodata,"a",@progbits
	.p2align	6, 0x0
	.amdhsa_kernel _ZN7rocprim17ROCPRIM_400000_NS6detail17trampoline_kernelINS0_14default_configENS1_20scan_config_selectorIfEEZZNS1_9scan_implILNS1_25lookback_scan_determinismE0ELb0ELb0ES3_N6thrust23THRUST_200600_302600_NS6detail15normal_iteratorINS9_10device_ptrIfEEEENS9_16discard_iteratorINS9_11use_defaultEEEfNS9_4plusIvEEfEEDaPvRmT3_T4_T5_mT6_P12ihipStream_tbENKUlT_T0_E_clISt17integral_constantIbLb1EESX_EEDaSS_ST_EUlSS_E_NS1_11comp_targetILNS1_3genE8ELNS1_11target_archE1030ELNS1_3gpuE2ELNS1_3repE0EEENS1_30default_config_static_selectorELNS0_4arch9wavefront6targetE1EEEvT1_
		.amdhsa_group_segment_fixed_size 0
		.amdhsa_private_segment_fixed_size 0
		.amdhsa_kernarg_size 104
		.amdhsa_user_sgpr_count 6
		.amdhsa_user_sgpr_private_segment_buffer 1
		.amdhsa_user_sgpr_dispatch_ptr 0
		.amdhsa_user_sgpr_queue_ptr 0
		.amdhsa_user_sgpr_kernarg_segment_ptr 1
		.amdhsa_user_sgpr_dispatch_id 0
		.amdhsa_user_sgpr_flat_scratch_init 0
		.amdhsa_user_sgpr_kernarg_preload_length 0
		.amdhsa_user_sgpr_kernarg_preload_offset 0
		.amdhsa_user_sgpr_private_segment_size 0
		.amdhsa_uses_dynamic_stack 0
		.amdhsa_system_sgpr_private_segment_wavefront_offset 0
		.amdhsa_system_sgpr_workgroup_id_x 1
		.amdhsa_system_sgpr_workgroup_id_y 0
		.amdhsa_system_sgpr_workgroup_id_z 0
		.amdhsa_system_sgpr_workgroup_info 0
		.amdhsa_system_vgpr_workitem_id 0
		.amdhsa_next_free_vgpr 1
		.amdhsa_next_free_sgpr 0
		.amdhsa_accum_offset 4
		.amdhsa_reserve_vcc 0
		.amdhsa_reserve_flat_scratch 0
		.amdhsa_float_round_mode_32 0
		.amdhsa_float_round_mode_16_64 0
		.amdhsa_float_denorm_mode_32 3
		.amdhsa_float_denorm_mode_16_64 3
		.amdhsa_dx10_clamp 1
		.amdhsa_ieee_mode 1
		.amdhsa_fp16_overflow 0
		.amdhsa_tg_split 0
		.amdhsa_exception_fp_ieee_invalid_op 0
		.amdhsa_exception_fp_denorm_src 0
		.amdhsa_exception_fp_ieee_div_zero 0
		.amdhsa_exception_fp_ieee_overflow 0
		.amdhsa_exception_fp_ieee_underflow 0
		.amdhsa_exception_fp_ieee_inexact 0
		.amdhsa_exception_int_div_zero 0
	.end_amdhsa_kernel
	.section	.text._ZN7rocprim17ROCPRIM_400000_NS6detail17trampoline_kernelINS0_14default_configENS1_20scan_config_selectorIfEEZZNS1_9scan_implILNS1_25lookback_scan_determinismE0ELb0ELb0ES3_N6thrust23THRUST_200600_302600_NS6detail15normal_iteratorINS9_10device_ptrIfEEEENS9_16discard_iteratorINS9_11use_defaultEEEfNS9_4plusIvEEfEEDaPvRmT3_T4_T5_mT6_P12ihipStream_tbENKUlT_T0_E_clISt17integral_constantIbLb1EESX_EEDaSS_ST_EUlSS_E_NS1_11comp_targetILNS1_3genE8ELNS1_11target_archE1030ELNS1_3gpuE2ELNS1_3repE0EEENS1_30default_config_static_selectorELNS0_4arch9wavefront6targetE1EEEvT1_,"axG",@progbits,_ZN7rocprim17ROCPRIM_400000_NS6detail17trampoline_kernelINS0_14default_configENS1_20scan_config_selectorIfEEZZNS1_9scan_implILNS1_25lookback_scan_determinismE0ELb0ELb0ES3_N6thrust23THRUST_200600_302600_NS6detail15normal_iteratorINS9_10device_ptrIfEEEENS9_16discard_iteratorINS9_11use_defaultEEEfNS9_4plusIvEEfEEDaPvRmT3_T4_T5_mT6_P12ihipStream_tbENKUlT_T0_E_clISt17integral_constantIbLb1EESX_EEDaSS_ST_EUlSS_E_NS1_11comp_targetILNS1_3genE8ELNS1_11target_archE1030ELNS1_3gpuE2ELNS1_3repE0EEENS1_30default_config_static_selectorELNS0_4arch9wavefront6targetE1EEEvT1_,comdat
.Lfunc_end5032:
	.size	_ZN7rocprim17ROCPRIM_400000_NS6detail17trampoline_kernelINS0_14default_configENS1_20scan_config_selectorIfEEZZNS1_9scan_implILNS1_25lookback_scan_determinismE0ELb0ELb0ES3_N6thrust23THRUST_200600_302600_NS6detail15normal_iteratorINS9_10device_ptrIfEEEENS9_16discard_iteratorINS9_11use_defaultEEEfNS9_4plusIvEEfEEDaPvRmT3_T4_T5_mT6_P12ihipStream_tbENKUlT_T0_E_clISt17integral_constantIbLb1EESX_EEDaSS_ST_EUlSS_E_NS1_11comp_targetILNS1_3genE8ELNS1_11target_archE1030ELNS1_3gpuE2ELNS1_3repE0EEENS1_30default_config_static_selectorELNS0_4arch9wavefront6targetE1EEEvT1_, .Lfunc_end5032-_ZN7rocprim17ROCPRIM_400000_NS6detail17trampoline_kernelINS0_14default_configENS1_20scan_config_selectorIfEEZZNS1_9scan_implILNS1_25lookback_scan_determinismE0ELb0ELb0ES3_N6thrust23THRUST_200600_302600_NS6detail15normal_iteratorINS9_10device_ptrIfEEEENS9_16discard_iteratorINS9_11use_defaultEEEfNS9_4plusIvEEfEEDaPvRmT3_T4_T5_mT6_P12ihipStream_tbENKUlT_T0_E_clISt17integral_constantIbLb1EESX_EEDaSS_ST_EUlSS_E_NS1_11comp_targetILNS1_3genE8ELNS1_11target_archE1030ELNS1_3gpuE2ELNS1_3repE0EEENS1_30default_config_static_selectorELNS0_4arch9wavefront6targetE1EEEvT1_
                                        ; -- End function
	.section	.AMDGPU.csdata,"",@progbits
; Kernel info:
; codeLenInByte = 0
; NumSgprs: 4
; NumVgprs: 0
; NumAgprs: 0
; TotalNumVgprs: 0
; ScratchSize: 0
; MemoryBound: 0
; FloatMode: 240
; IeeeMode: 1
; LDSByteSize: 0 bytes/workgroup (compile time only)
; SGPRBlocks: 0
; VGPRBlocks: 0
; NumSGPRsForWavesPerEU: 4
; NumVGPRsForWavesPerEU: 1
; AccumOffset: 4
; Occupancy: 8
; WaveLimiterHint : 0
; COMPUTE_PGM_RSRC2:SCRATCH_EN: 0
; COMPUTE_PGM_RSRC2:USER_SGPR: 6
; COMPUTE_PGM_RSRC2:TRAP_HANDLER: 0
; COMPUTE_PGM_RSRC2:TGID_X_EN: 1
; COMPUTE_PGM_RSRC2:TGID_Y_EN: 0
; COMPUTE_PGM_RSRC2:TGID_Z_EN: 0
; COMPUTE_PGM_RSRC2:TIDIG_COMP_CNT: 0
; COMPUTE_PGM_RSRC3_GFX90A:ACCUM_OFFSET: 0
; COMPUTE_PGM_RSRC3_GFX90A:TG_SPLIT: 0
	.section	.text._ZN7rocprim17ROCPRIM_400000_NS6detail17trampoline_kernelINS0_14default_configENS1_20scan_config_selectorIfEEZZNS1_9scan_implILNS1_25lookback_scan_determinismE0ELb0ELb0ES3_N6thrust23THRUST_200600_302600_NS6detail15normal_iteratorINS9_10device_ptrIfEEEENS9_16discard_iteratorINS9_11use_defaultEEEfNS9_4plusIvEEfEEDaPvRmT3_T4_T5_mT6_P12ihipStream_tbENKUlT_T0_E_clISt17integral_constantIbLb1EESX_EEDaSS_ST_EUlSS_E0_NS1_11comp_targetILNS1_3genE0ELNS1_11target_archE4294967295ELNS1_3gpuE0ELNS1_3repE0EEENS1_30default_config_static_selectorELNS0_4arch9wavefront6targetE1EEEvT1_,"axG",@progbits,_ZN7rocprim17ROCPRIM_400000_NS6detail17trampoline_kernelINS0_14default_configENS1_20scan_config_selectorIfEEZZNS1_9scan_implILNS1_25lookback_scan_determinismE0ELb0ELb0ES3_N6thrust23THRUST_200600_302600_NS6detail15normal_iteratorINS9_10device_ptrIfEEEENS9_16discard_iteratorINS9_11use_defaultEEEfNS9_4plusIvEEfEEDaPvRmT3_T4_T5_mT6_P12ihipStream_tbENKUlT_T0_E_clISt17integral_constantIbLb1EESX_EEDaSS_ST_EUlSS_E0_NS1_11comp_targetILNS1_3genE0ELNS1_11target_archE4294967295ELNS1_3gpuE0ELNS1_3repE0EEENS1_30default_config_static_selectorELNS0_4arch9wavefront6targetE1EEEvT1_,comdat
	.protected	_ZN7rocprim17ROCPRIM_400000_NS6detail17trampoline_kernelINS0_14default_configENS1_20scan_config_selectorIfEEZZNS1_9scan_implILNS1_25lookback_scan_determinismE0ELb0ELb0ES3_N6thrust23THRUST_200600_302600_NS6detail15normal_iteratorINS9_10device_ptrIfEEEENS9_16discard_iteratorINS9_11use_defaultEEEfNS9_4plusIvEEfEEDaPvRmT3_T4_T5_mT6_P12ihipStream_tbENKUlT_T0_E_clISt17integral_constantIbLb1EESX_EEDaSS_ST_EUlSS_E0_NS1_11comp_targetILNS1_3genE0ELNS1_11target_archE4294967295ELNS1_3gpuE0ELNS1_3repE0EEENS1_30default_config_static_selectorELNS0_4arch9wavefront6targetE1EEEvT1_ ; -- Begin function _ZN7rocprim17ROCPRIM_400000_NS6detail17trampoline_kernelINS0_14default_configENS1_20scan_config_selectorIfEEZZNS1_9scan_implILNS1_25lookback_scan_determinismE0ELb0ELb0ES3_N6thrust23THRUST_200600_302600_NS6detail15normal_iteratorINS9_10device_ptrIfEEEENS9_16discard_iteratorINS9_11use_defaultEEEfNS9_4plusIvEEfEEDaPvRmT3_T4_T5_mT6_P12ihipStream_tbENKUlT_T0_E_clISt17integral_constantIbLb1EESX_EEDaSS_ST_EUlSS_E0_NS1_11comp_targetILNS1_3genE0ELNS1_11target_archE4294967295ELNS1_3gpuE0ELNS1_3repE0EEENS1_30default_config_static_selectorELNS0_4arch9wavefront6targetE1EEEvT1_
	.globl	_ZN7rocprim17ROCPRIM_400000_NS6detail17trampoline_kernelINS0_14default_configENS1_20scan_config_selectorIfEEZZNS1_9scan_implILNS1_25lookback_scan_determinismE0ELb0ELb0ES3_N6thrust23THRUST_200600_302600_NS6detail15normal_iteratorINS9_10device_ptrIfEEEENS9_16discard_iteratorINS9_11use_defaultEEEfNS9_4plusIvEEfEEDaPvRmT3_T4_T5_mT6_P12ihipStream_tbENKUlT_T0_E_clISt17integral_constantIbLb1EESX_EEDaSS_ST_EUlSS_E0_NS1_11comp_targetILNS1_3genE0ELNS1_11target_archE4294967295ELNS1_3gpuE0ELNS1_3repE0EEENS1_30default_config_static_selectorELNS0_4arch9wavefront6targetE1EEEvT1_
	.p2align	8
	.type	_ZN7rocprim17ROCPRIM_400000_NS6detail17trampoline_kernelINS0_14default_configENS1_20scan_config_selectorIfEEZZNS1_9scan_implILNS1_25lookback_scan_determinismE0ELb0ELb0ES3_N6thrust23THRUST_200600_302600_NS6detail15normal_iteratorINS9_10device_ptrIfEEEENS9_16discard_iteratorINS9_11use_defaultEEEfNS9_4plusIvEEfEEDaPvRmT3_T4_T5_mT6_P12ihipStream_tbENKUlT_T0_E_clISt17integral_constantIbLb1EESX_EEDaSS_ST_EUlSS_E0_NS1_11comp_targetILNS1_3genE0ELNS1_11target_archE4294967295ELNS1_3gpuE0ELNS1_3repE0EEENS1_30default_config_static_selectorELNS0_4arch9wavefront6targetE1EEEvT1_,@function
_ZN7rocprim17ROCPRIM_400000_NS6detail17trampoline_kernelINS0_14default_configENS1_20scan_config_selectorIfEEZZNS1_9scan_implILNS1_25lookback_scan_determinismE0ELb0ELb0ES3_N6thrust23THRUST_200600_302600_NS6detail15normal_iteratorINS9_10device_ptrIfEEEENS9_16discard_iteratorINS9_11use_defaultEEEfNS9_4plusIvEEfEEDaPvRmT3_T4_T5_mT6_P12ihipStream_tbENKUlT_T0_E_clISt17integral_constantIbLb1EESX_EEDaSS_ST_EUlSS_E0_NS1_11comp_targetILNS1_3genE0ELNS1_11target_archE4294967295ELNS1_3gpuE0ELNS1_3repE0EEENS1_30default_config_static_selectorELNS0_4arch9wavefront6targetE1EEEvT1_: ; @_ZN7rocprim17ROCPRIM_400000_NS6detail17trampoline_kernelINS0_14default_configENS1_20scan_config_selectorIfEEZZNS1_9scan_implILNS1_25lookback_scan_determinismE0ELb0ELb0ES3_N6thrust23THRUST_200600_302600_NS6detail15normal_iteratorINS9_10device_ptrIfEEEENS9_16discard_iteratorINS9_11use_defaultEEEfNS9_4plusIvEEfEEDaPvRmT3_T4_T5_mT6_P12ihipStream_tbENKUlT_T0_E_clISt17integral_constantIbLb1EESX_EEDaSS_ST_EUlSS_E0_NS1_11comp_targetILNS1_3genE0ELNS1_11target_archE4294967295ELNS1_3gpuE0ELNS1_3repE0EEENS1_30default_config_static_selectorELNS0_4arch9wavefront6targetE1EEEvT1_
; %bb.0:
	.section	.rodata,"a",@progbits
	.p2align	6, 0x0
	.amdhsa_kernel _ZN7rocprim17ROCPRIM_400000_NS6detail17trampoline_kernelINS0_14default_configENS1_20scan_config_selectorIfEEZZNS1_9scan_implILNS1_25lookback_scan_determinismE0ELb0ELb0ES3_N6thrust23THRUST_200600_302600_NS6detail15normal_iteratorINS9_10device_ptrIfEEEENS9_16discard_iteratorINS9_11use_defaultEEEfNS9_4plusIvEEfEEDaPvRmT3_T4_T5_mT6_P12ihipStream_tbENKUlT_T0_E_clISt17integral_constantIbLb1EESX_EEDaSS_ST_EUlSS_E0_NS1_11comp_targetILNS1_3genE0ELNS1_11target_archE4294967295ELNS1_3gpuE0ELNS1_3repE0EEENS1_30default_config_static_selectorELNS0_4arch9wavefront6targetE1EEEvT1_
		.amdhsa_group_segment_fixed_size 0
		.amdhsa_private_segment_fixed_size 0
		.amdhsa_kernarg_size 40
		.amdhsa_user_sgpr_count 6
		.amdhsa_user_sgpr_private_segment_buffer 1
		.amdhsa_user_sgpr_dispatch_ptr 0
		.amdhsa_user_sgpr_queue_ptr 0
		.amdhsa_user_sgpr_kernarg_segment_ptr 1
		.amdhsa_user_sgpr_dispatch_id 0
		.amdhsa_user_sgpr_flat_scratch_init 0
		.amdhsa_user_sgpr_kernarg_preload_length 0
		.amdhsa_user_sgpr_kernarg_preload_offset 0
		.amdhsa_user_sgpr_private_segment_size 0
		.amdhsa_uses_dynamic_stack 0
		.amdhsa_system_sgpr_private_segment_wavefront_offset 0
		.amdhsa_system_sgpr_workgroup_id_x 1
		.amdhsa_system_sgpr_workgroup_id_y 0
		.amdhsa_system_sgpr_workgroup_id_z 0
		.amdhsa_system_sgpr_workgroup_info 0
		.amdhsa_system_vgpr_workitem_id 0
		.amdhsa_next_free_vgpr 1
		.amdhsa_next_free_sgpr 0
		.amdhsa_accum_offset 4
		.amdhsa_reserve_vcc 0
		.amdhsa_reserve_flat_scratch 0
		.amdhsa_float_round_mode_32 0
		.amdhsa_float_round_mode_16_64 0
		.amdhsa_float_denorm_mode_32 3
		.amdhsa_float_denorm_mode_16_64 3
		.amdhsa_dx10_clamp 1
		.amdhsa_ieee_mode 1
		.amdhsa_fp16_overflow 0
		.amdhsa_tg_split 0
		.amdhsa_exception_fp_ieee_invalid_op 0
		.amdhsa_exception_fp_denorm_src 0
		.amdhsa_exception_fp_ieee_div_zero 0
		.amdhsa_exception_fp_ieee_overflow 0
		.amdhsa_exception_fp_ieee_underflow 0
		.amdhsa_exception_fp_ieee_inexact 0
		.amdhsa_exception_int_div_zero 0
	.end_amdhsa_kernel
	.section	.text._ZN7rocprim17ROCPRIM_400000_NS6detail17trampoline_kernelINS0_14default_configENS1_20scan_config_selectorIfEEZZNS1_9scan_implILNS1_25lookback_scan_determinismE0ELb0ELb0ES3_N6thrust23THRUST_200600_302600_NS6detail15normal_iteratorINS9_10device_ptrIfEEEENS9_16discard_iteratorINS9_11use_defaultEEEfNS9_4plusIvEEfEEDaPvRmT3_T4_T5_mT6_P12ihipStream_tbENKUlT_T0_E_clISt17integral_constantIbLb1EESX_EEDaSS_ST_EUlSS_E0_NS1_11comp_targetILNS1_3genE0ELNS1_11target_archE4294967295ELNS1_3gpuE0ELNS1_3repE0EEENS1_30default_config_static_selectorELNS0_4arch9wavefront6targetE1EEEvT1_,"axG",@progbits,_ZN7rocprim17ROCPRIM_400000_NS6detail17trampoline_kernelINS0_14default_configENS1_20scan_config_selectorIfEEZZNS1_9scan_implILNS1_25lookback_scan_determinismE0ELb0ELb0ES3_N6thrust23THRUST_200600_302600_NS6detail15normal_iteratorINS9_10device_ptrIfEEEENS9_16discard_iteratorINS9_11use_defaultEEEfNS9_4plusIvEEfEEDaPvRmT3_T4_T5_mT6_P12ihipStream_tbENKUlT_T0_E_clISt17integral_constantIbLb1EESX_EEDaSS_ST_EUlSS_E0_NS1_11comp_targetILNS1_3genE0ELNS1_11target_archE4294967295ELNS1_3gpuE0ELNS1_3repE0EEENS1_30default_config_static_selectorELNS0_4arch9wavefront6targetE1EEEvT1_,comdat
.Lfunc_end5033:
	.size	_ZN7rocprim17ROCPRIM_400000_NS6detail17trampoline_kernelINS0_14default_configENS1_20scan_config_selectorIfEEZZNS1_9scan_implILNS1_25lookback_scan_determinismE0ELb0ELb0ES3_N6thrust23THRUST_200600_302600_NS6detail15normal_iteratorINS9_10device_ptrIfEEEENS9_16discard_iteratorINS9_11use_defaultEEEfNS9_4plusIvEEfEEDaPvRmT3_T4_T5_mT6_P12ihipStream_tbENKUlT_T0_E_clISt17integral_constantIbLb1EESX_EEDaSS_ST_EUlSS_E0_NS1_11comp_targetILNS1_3genE0ELNS1_11target_archE4294967295ELNS1_3gpuE0ELNS1_3repE0EEENS1_30default_config_static_selectorELNS0_4arch9wavefront6targetE1EEEvT1_, .Lfunc_end5033-_ZN7rocprim17ROCPRIM_400000_NS6detail17trampoline_kernelINS0_14default_configENS1_20scan_config_selectorIfEEZZNS1_9scan_implILNS1_25lookback_scan_determinismE0ELb0ELb0ES3_N6thrust23THRUST_200600_302600_NS6detail15normal_iteratorINS9_10device_ptrIfEEEENS9_16discard_iteratorINS9_11use_defaultEEEfNS9_4plusIvEEfEEDaPvRmT3_T4_T5_mT6_P12ihipStream_tbENKUlT_T0_E_clISt17integral_constantIbLb1EESX_EEDaSS_ST_EUlSS_E0_NS1_11comp_targetILNS1_3genE0ELNS1_11target_archE4294967295ELNS1_3gpuE0ELNS1_3repE0EEENS1_30default_config_static_selectorELNS0_4arch9wavefront6targetE1EEEvT1_
                                        ; -- End function
	.section	.AMDGPU.csdata,"",@progbits
; Kernel info:
; codeLenInByte = 0
; NumSgprs: 4
; NumVgprs: 0
; NumAgprs: 0
; TotalNumVgprs: 0
; ScratchSize: 0
; MemoryBound: 0
; FloatMode: 240
; IeeeMode: 1
; LDSByteSize: 0 bytes/workgroup (compile time only)
; SGPRBlocks: 0
; VGPRBlocks: 0
; NumSGPRsForWavesPerEU: 4
; NumVGPRsForWavesPerEU: 1
; AccumOffset: 4
; Occupancy: 8
; WaveLimiterHint : 0
; COMPUTE_PGM_RSRC2:SCRATCH_EN: 0
; COMPUTE_PGM_RSRC2:USER_SGPR: 6
; COMPUTE_PGM_RSRC2:TRAP_HANDLER: 0
; COMPUTE_PGM_RSRC2:TGID_X_EN: 1
; COMPUTE_PGM_RSRC2:TGID_Y_EN: 0
; COMPUTE_PGM_RSRC2:TGID_Z_EN: 0
; COMPUTE_PGM_RSRC2:TIDIG_COMP_CNT: 0
; COMPUTE_PGM_RSRC3_GFX90A:ACCUM_OFFSET: 0
; COMPUTE_PGM_RSRC3_GFX90A:TG_SPLIT: 0
	.section	.text._ZN7rocprim17ROCPRIM_400000_NS6detail17trampoline_kernelINS0_14default_configENS1_20scan_config_selectorIfEEZZNS1_9scan_implILNS1_25lookback_scan_determinismE0ELb0ELb0ES3_N6thrust23THRUST_200600_302600_NS6detail15normal_iteratorINS9_10device_ptrIfEEEENS9_16discard_iteratorINS9_11use_defaultEEEfNS9_4plusIvEEfEEDaPvRmT3_T4_T5_mT6_P12ihipStream_tbENKUlT_T0_E_clISt17integral_constantIbLb1EESX_EEDaSS_ST_EUlSS_E0_NS1_11comp_targetILNS1_3genE5ELNS1_11target_archE942ELNS1_3gpuE9ELNS1_3repE0EEENS1_30default_config_static_selectorELNS0_4arch9wavefront6targetE1EEEvT1_,"axG",@progbits,_ZN7rocprim17ROCPRIM_400000_NS6detail17trampoline_kernelINS0_14default_configENS1_20scan_config_selectorIfEEZZNS1_9scan_implILNS1_25lookback_scan_determinismE0ELb0ELb0ES3_N6thrust23THRUST_200600_302600_NS6detail15normal_iteratorINS9_10device_ptrIfEEEENS9_16discard_iteratorINS9_11use_defaultEEEfNS9_4plusIvEEfEEDaPvRmT3_T4_T5_mT6_P12ihipStream_tbENKUlT_T0_E_clISt17integral_constantIbLb1EESX_EEDaSS_ST_EUlSS_E0_NS1_11comp_targetILNS1_3genE5ELNS1_11target_archE942ELNS1_3gpuE9ELNS1_3repE0EEENS1_30default_config_static_selectorELNS0_4arch9wavefront6targetE1EEEvT1_,comdat
	.protected	_ZN7rocprim17ROCPRIM_400000_NS6detail17trampoline_kernelINS0_14default_configENS1_20scan_config_selectorIfEEZZNS1_9scan_implILNS1_25lookback_scan_determinismE0ELb0ELb0ES3_N6thrust23THRUST_200600_302600_NS6detail15normal_iteratorINS9_10device_ptrIfEEEENS9_16discard_iteratorINS9_11use_defaultEEEfNS9_4plusIvEEfEEDaPvRmT3_T4_T5_mT6_P12ihipStream_tbENKUlT_T0_E_clISt17integral_constantIbLb1EESX_EEDaSS_ST_EUlSS_E0_NS1_11comp_targetILNS1_3genE5ELNS1_11target_archE942ELNS1_3gpuE9ELNS1_3repE0EEENS1_30default_config_static_selectorELNS0_4arch9wavefront6targetE1EEEvT1_ ; -- Begin function _ZN7rocprim17ROCPRIM_400000_NS6detail17trampoline_kernelINS0_14default_configENS1_20scan_config_selectorIfEEZZNS1_9scan_implILNS1_25lookback_scan_determinismE0ELb0ELb0ES3_N6thrust23THRUST_200600_302600_NS6detail15normal_iteratorINS9_10device_ptrIfEEEENS9_16discard_iteratorINS9_11use_defaultEEEfNS9_4plusIvEEfEEDaPvRmT3_T4_T5_mT6_P12ihipStream_tbENKUlT_T0_E_clISt17integral_constantIbLb1EESX_EEDaSS_ST_EUlSS_E0_NS1_11comp_targetILNS1_3genE5ELNS1_11target_archE942ELNS1_3gpuE9ELNS1_3repE0EEENS1_30default_config_static_selectorELNS0_4arch9wavefront6targetE1EEEvT1_
	.globl	_ZN7rocprim17ROCPRIM_400000_NS6detail17trampoline_kernelINS0_14default_configENS1_20scan_config_selectorIfEEZZNS1_9scan_implILNS1_25lookback_scan_determinismE0ELb0ELb0ES3_N6thrust23THRUST_200600_302600_NS6detail15normal_iteratorINS9_10device_ptrIfEEEENS9_16discard_iteratorINS9_11use_defaultEEEfNS9_4plusIvEEfEEDaPvRmT3_T4_T5_mT6_P12ihipStream_tbENKUlT_T0_E_clISt17integral_constantIbLb1EESX_EEDaSS_ST_EUlSS_E0_NS1_11comp_targetILNS1_3genE5ELNS1_11target_archE942ELNS1_3gpuE9ELNS1_3repE0EEENS1_30default_config_static_selectorELNS0_4arch9wavefront6targetE1EEEvT1_
	.p2align	8
	.type	_ZN7rocprim17ROCPRIM_400000_NS6detail17trampoline_kernelINS0_14default_configENS1_20scan_config_selectorIfEEZZNS1_9scan_implILNS1_25lookback_scan_determinismE0ELb0ELb0ES3_N6thrust23THRUST_200600_302600_NS6detail15normal_iteratorINS9_10device_ptrIfEEEENS9_16discard_iteratorINS9_11use_defaultEEEfNS9_4plusIvEEfEEDaPvRmT3_T4_T5_mT6_P12ihipStream_tbENKUlT_T0_E_clISt17integral_constantIbLb1EESX_EEDaSS_ST_EUlSS_E0_NS1_11comp_targetILNS1_3genE5ELNS1_11target_archE942ELNS1_3gpuE9ELNS1_3repE0EEENS1_30default_config_static_selectorELNS0_4arch9wavefront6targetE1EEEvT1_,@function
_ZN7rocprim17ROCPRIM_400000_NS6detail17trampoline_kernelINS0_14default_configENS1_20scan_config_selectorIfEEZZNS1_9scan_implILNS1_25lookback_scan_determinismE0ELb0ELb0ES3_N6thrust23THRUST_200600_302600_NS6detail15normal_iteratorINS9_10device_ptrIfEEEENS9_16discard_iteratorINS9_11use_defaultEEEfNS9_4plusIvEEfEEDaPvRmT3_T4_T5_mT6_P12ihipStream_tbENKUlT_T0_E_clISt17integral_constantIbLb1EESX_EEDaSS_ST_EUlSS_E0_NS1_11comp_targetILNS1_3genE5ELNS1_11target_archE942ELNS1_3gpuE9ELNS1_3repE0EEENS1_30default_config_static_selectorELNS0_4arch9wavefront6targetE1EEEvT1_: ; @_ZN7rocprim17ROCPRIM_400000_NS6detail17trampoline_kernelINS0_14default_configENS1_20scan_config_selectorIfEEZZNS1_9scan_implILNS1_25lookback_scan_determinismE0ELb0ELb0ES3_N6thrust23THRUST_200600_302600_NS6detail15normal_iteratorINS9_10device_ptrIfEEEENS9_16discard_iteratorINS9_11use_defaultEEEfNS9_4plusIvEEfEEDaPvRmT3_T4_T5_mT6_P12ihipStream_tbENKUlT_T0_E_clISt17integral_constantIbLb1EESX_EEDaSS_ST_EUlSS_E0_NS1_11comp_targetILNS1_3genE5ELNS1_11target_archE942ELNS1_3gpuE9ELNS1_3repE0EEENS1_30default_config_static_selectorELNS0_4arch9wavefront6targetE1EEEvT1_
; %bb.0:
	.section	.rodata,"a",@progbits
	.p2align	6, 0x0
	.amdhsa_kernel _ZN7rocprim17ROCPRIM_400000_NS6detail17trampoline_kernelINS0_14default_configENS1_20scan_config_selectorIfEEZZNS1_9scan_implILNS1_25lookback_scan_determinismE0ELb0ELb0ES3_N6thrust23THRUST_200600_302600_NS6detail15normal_iteratorINS9_10device_ptrIfEEEENS9_16discard_iteratorINS9_11use_defaultEEEfNS9_4plusIvEEfEEDaPvRmT3_T4_T5_mT6_P12ihipStream_tbENKUlT_T0_E_clISt17integral_constantIbLb1EESX_EEDaSS_ST_EUlSS_E0_NS1_11comp_targetILNS1_3genE5ELNS1_11target_archE942ELNS1_3gpuE9ELNS1_3repE0EEENS1_30default_config_static_selectorELNS0_4arch9wavefront6targetE1EEEvT1_
		.amdhsa_group_segment_fixed_size 0
		.amdhsa_private_segment_fixed_size 0
		.amdhsa_kernarg_size 40
		.amdhsa_user_sgpr_count 6
		.amdhsa_user_sgpr_private_segment_buffer 1
		.amdhsa_user_sgpr_dispatch_ptr 0
		.amdhsa_user_sgpr_queue_ptr 0
		.amdhsa_user_sgpr_kernarg_segment_ptr 1
		.amdhsa_user_sgpr_dispatch_id 0
		.amdhsa_user_sgpr_flat_scratch_init 0
		.amdhsa_user_sgpr_kernarg_preload_length 0
		.amdhsa_user_sgpr_kernarg_preload_offset 0
		.amdhsa_user_sgpr_private_segment_size 0
		.amdhsa_uses_dynamic_stack 0
		.amdhsa_system_sgpr_private_segment_wavefront_offset 0
		.amdhsa_system_sgpr_workgroup_id_x 1
		.amdhsa_system_sgpr_workgroup_id_y 0
		.amdhsa_system_sgpr_workgroup_id_z 0
		.amdhsa_system_sgpr_workgroup_info 0
		.amdhsa_system_vgpr_workitem_id 0
		.amdhsa_next_free_vgpr 1
		.amdhsa_next_free_sgpr 0
		.amdhsa_accum_offset 4
		.amdhsa_reserve_vcc 0
		.amdhsa_reserve_flat_scratch 0
		.amdhsa_float_round_mode_32 0
		.amdhsa_float_round_mode_16_64 0
		.amdhsa_float_denorm_mode_32 3
		.amdhsa_float_denorm_mode_16_64 3
		.amdhsa_dx10_clamp 1
		.amdhsa_ieee_mode 1
		.amdhsa_fp16_overflow 0
		.amdhsa_tg_split 0
		.amdhsa_exception_fp_ieee_invalid_op 0
		.amdhsa_exception_fp_denorm_src 0
		.amdhsa_exception_fp_ieee_div_zero 0
		.amdhsa_exception_fp_ieee_overflow 0
		.amdhsa_exception_fp_ieee_underflow 0
		.amdhsa_exception_fp_ieee_inexact 0
		.amdhsa_exception_int_div_zero 0
	.end_amdhsa_kernel
	.section	.text._ZN7rocprim17ROCPRIM_400000_NS6detail17trampoline_kernelINS0_14default_configENS1_20scan_config_selectorIfEEZZNS1_9scan_implILNS1_25lookback_scan_determinismE0ELb0ELb0ES3_N6thrust23THRUST_200600_302600_NS6detail15normal_iteratorINS9_10device_ptrIfEEEENS9_16discard_iteratorINS9_11use_defaultEEEfNS9_4plusIvEEfEEDaPvRmT3_T4_T5_mT6_P12ihipStream_tbENKUlT_T0_E_clISt17integral_constantIbLb1EESX_EEDaSS_ST_EUlSS_E0_NS1_11comp_targetILNS1_3genE5ELNS1_11target_archE942ELNS1_3gpuE9ELNS1_3repE0EEENS1_30default_config_static_selectorELNS0_4arch9wavefront6targetE1EEEvT1_,"axG",@progbits,_ZN7rocprim17ROCPRIM_400000_NS6detail17trampoline_kernelINS0_14default_configENS1_20scan_config_selectorIfEEZZNS1_9scan_implILNS1_25lookback_scan_determinismE0ELb0ELb0ES3_N6thrust23THRUST_200600_302600_NS6detail15normal_iteratorINS9_10device_ptrIfEEEENS9_16discard_iteratorINS9_11use_defaultEEEfNS9_4plusIvEEfEEDaPvRmT3_T4_T5_mT6_P12ihipStream_tbENKUlT_T0_E_clISt17integral_constantIbLb1EESX_EEDaSS_ST_EUlSS_E0_NS1_11comp_targetILNS1_3genE5ELNS1_11target_archE942ELNS1_3gpuE9ELNS1_3repE0EEENS1_30default_config_static_selectorELNS0_4arch9wavefront6targetE1EEEvT1_,comdat
.Lfunc_end5034:
	.size	_ZN7rocprim17ROCPRIM_400000_NS6detail17trampoline_kernelINS0_14default_configENS1_20scan_config_selectorIfEEZZNS1_9scan_implILNS1_25lookback_scan_determinismE0ELb0ELb0ES3_N6thrust23THRUST_200600_302600_NS6detail15normal_iteratorINS9_10device_ptrIfEEEENS9_16discard_iteratorINS9_11use_defaultEEEfNS9_4plusIvEEfEEDaPvRmT3_T4_T5_mT6_P12ihipStream_tbENKUlT_T0_E_clISt17integral_constantIbLb1EESX_EEDaSS_ST_EUlSS_E0_NS1_11comp_targetILNS1_3genE5ELNS1_11target_archE942ELNS1_3gpuE9ELNS1_3repE0EEENS1_30default_config_static_selectorELNS0_4arch9wavefront6targetE1EEEvT1_, .Lfunc_end5034-_ZN7rocprim17ROCPRIM_400000_NS6detail17trampoline_kernelINS0_14default_configENS1_20scan_config_selectorIfEEZZNS1_9scan_implILNS1_25lookback_scan_determinismE0ELb0ELb0ES3_N6thrust23THRUST_200600_302600_NS6detail15normal_iteratorINS9_10device_ptrIfEEEENS9_16discard_iteratorINS9_11use_defaultEEEfNS9_4plusIvEEfEEDaPvRmT3_T4_T5_mT6_P12ihipStream_tbENKUlT_T0_E_clISt17integral_constantIbLb1EESX_EEDaSS_ST_EUlSS_E0_NS1_11comp_targetILNS1_3genE5ELNS1_11target_archE942ELNS1_3gpuE9ELNS1_3repE0EEENS1_30default_config_static_selectorELNS0_4arch9wavefront6targetE1EEEvT1_
                                        ; -- End function
	.section	.AMDGPU.csdata,"",@progbits
; Kernel info:
; codeLenInByte = 0
; NumSgprs: 4
; NumVgprs: 0
; NumAgprs: 0
; TotalNumVgprs: 0
; ScratchSize: 0
; MemoryBound: 0
; FloatMode: 240
; IeeeMode: 1
; LDSByteSize: 0 bytes/workgroup (compile time only)
; SGPRBlocks: 0
; VGPRBlocks: 0
; NumSGPRsForWavesPerEU: 4
; NumVGPRsForWavesPerEU: 1
; AccumOffset: 4
; Occupancy: 8
; WaveLimiterHint : 0
; COMPUTE_PGM_RSRC2:SCRATCH_EN: 0
; COMPUTE_PGM_RSRC2:USER_SGPR: 6
; COMPUTE_PGM_RSRC2:TRAP_HANDLER: 0
; COMPUTE_PGM_RSRC2:TGID_X_EN: 1
; COMPUTE_PGM_RSRC2:TGID_Y_EN: 0
; COMPUTE_PGM_RSRC2:TGID_Z_EN: 0
; COMPUTE_PGM_RSRC2:TIDIG_COMP_CNT: 0
; COMPUTE_PGM_RSRC3_GFX90A:ACCUM_OFFSET: 0
; COMPUTE_PGM_RSRC3_GFX90A:TG_SPLIT: 0
	.section	.text._ZN7rocprim17ROCPRIM_400000_NS6detail17trampoline_kernelINS0_14default_configENS1_20scan_config_selectorIfEEZZNS1_9scan_implILNS1_25lookback_scan_determinismE0ELb0ELb0ES3_N6thrust23THRUST_200600_302600_NS6detail15normal_iteratorINS9_10device_ptrIfEEEENS9_16discard_iteratorINS9_11use_defaultEEEfNS9_4plusIvEEfEEDaPvRmT3_T4_T5_mT6_P12ihipStream_tbENKUlT_T0_E_clISt17integral_constantIbLb1EESX_EEDaSS_ST_EUlSS_E0_NS1_11comp_targetILNS1_3genE4ELNS1_11target_archE910ELNS1_3gpuE8ELNS1_3repE0EEENS1_30default_config_static_selectorELNS0_4arch9wavefront6targetE1EEEvT1_,"axG",@progbits,_ZN7rocprim17ROCPRIM_400000_NS6detail17trampoline_kernelINS0_14default_configENS1_20scan_config_selectorIfEEZZNS1_9scan_implILNS1_25lookback_scan_determinismE0ELb0ELb0ES3_N6thrust23THRUST_200600_302600_NS6detail15normal_iteratorINS9_10device_ptrIfEEEENS9_16discard_iteratorINS9_11use_defaultEEEfNS9_4plusIvEEfEEDaPvRmT3_T4_T5_mT6_P12ihipStream_tbENKUlT_T0_E_clISt17integral_constantIbLb1EESX_EEDaSS_ST_EUlSS_E0_NS1_11comp_targetILNS1_3genE4ELNS1_11target_archE910ELNS1_3gpuE8ELNS1_3repE0EEENS1_30default_config_static_selectorELNS0_4arch9wavefront6targetE1EEEvT1_,comdat
	.protected	_ZN7rocprim17ROCPRIM_400000_NS6detail17trampoline_kernelINS0_14default_configENS1_20scan_config_selectorIfEEZZNS1_9scan_implILNS1_25lookback_scan_determinismE0ELb0ELb0ES3_N6thrust23THRUST_200600_302600_NS6detail15normal_iteratorINS9_10device_ptrIfEEEENS9_16discard_iteratorINS9_11use_defaultEEEfNS9_4plusIvEEfEEDaPvRmT3_T4_T5_mT6_P12ihipStream_tbENKUlT_T0_E_clISt17integral_constantIbLb1EESX_EEDaSS_ST_EUlSS_E0_NS1_11comp_targetILNS1_3genE4ELNS1_11target_archE910ELNS1_3gpuE8ELNS1_3repE0EEENS1_30default_config_static_selectorELNS0_4arch9wavefront6targetE1EEEvT1_ ; -- Begin function _ZN7rocprim17ROCPRIM_400000_NS6detail17trampoline_kernelINS0_14default_configENS1_20scan_config_selectorIfEEZZNS1_9scan_implILNS1_25lookback_scan_determinismE0ELb0ELb0ES3_N6thrust23THRUST_200600_302600_NS6detail15normal_iteratorINS9_10device_ptrIfEEEENS9_16discard_iteratorINS9_11use_defaultEEEfNS9_4plusIvEEfEEDaPvRmT3_T4_T5_mT6_P12ihipStream_tbENKUlT_T0_E_clISt17integral_constantIbLb1EESX_EEDaSS_ST_EUlSS_E0_NS1_11comp_targetILNS1_3genE4ELNS1_11target_archE910ELNS1_3gpuE8ELNS1_3repE0EEENS1_30default_config_static_selectorELNS0_4arch9wavefront6targetE1EEEvT1_
	.globl	_ZN7rocprim17ROCPRIM_400000_NS6detail17trampoline_kernelINS0_14default_configENS1_20scan_config_selectorIfEEZZNS1_9scan_implILNS1_25lookback_scan_determinismE0ELb0ELb0ES3_N6thrust23THRUST_200600_302600_NS6detail15normal_iteratorINS9_10device_ptrIfEEEENS9_16discard_iteratorINS9_11use_defaultEEEfNS9_4plusIvEEfEEDaPvRmT3_T4_T5_mT6_P12ihipStream_tbENKUlT_T0_E_clISt17integral_constantIbLb1EESX_EEDaSS_ST_EUlSS_E0_NS1_11comp_targetILNS1_3genE4ELNS1_11target_archE910ELNS1_3gpuE8ELNS1_3repE0EEENS1_30default_config_static_selectorELNS0_4arch9wavefront6targetE1EEEvT1_
	.p2align	8
	.type	_ZN7rocprim17ROCPRIM_400000_NS6detail17trampoline_kernelINS0_14default_configENS1_20scan_config_selectorIfEEZZNS1_9scan_implILNS1_25lookback_scan_determinismE0ELb0ELb0ES3_N6thrust23THRUST_200600_302600_NS6detail15normal_iteratorINS9_10device_ptrIfEEEENS9_16discard_iteratorINS9_11use_defaultEEEfNS9_4plusIvEEfEEDaPvRmT3_T4_T5_mT6_P12ihipStream_tbENKUlT_T0_E_clISt17integral_constantIbLb1EESX_EEDaSS_ST_EUlSS_E0_NS1_11comp_targetILNS1_3genE4ELNS1_11target_archE910ELNS1_3gpuE8ELNS1_3repE0EEENS1_30default_config_static_selectorELNS0_4arch9wavefront6targetE1EEEvT1_,@function
_ZN7rocprim17ROCPRIM_400000_NS6detail17trampoline_kernelINS0_14default_configENS1_20scan_config_selectorIfEEZZNS1_9scan_implILNS1_25lookback_scan_determinismE0ELb0ELb0ES3_N6thrust23THRUST_200600_302600_NS6detail15normal_iteratorINS9_10device_ptrIfEEEENS9_16discard_iteratorINS9_11use_defaultEEEfNS9_4plusIvEEfEEDaPvRmT3_T4_T5_mT6_P12ihipStream_tbENKUlT_T0_E_clISt17integral_constantIbLb1EESX_EEDaSS_ST_EUlSS_E0_NS1_11comp_targetILNS1_3genE4ELNS1_11target_archE910ELNS1_3gpuE8ELNS1_3repE0EEENS1_30default_config_static_selectorELNS0_4arch9wavefront6targetE1EEEvT1_: ; @_ZN7rocprim17ROCPRIM_400000_NS6detail17trampoline_kernelINS0_14default_configENS1_20scan_config_selectorIfEEZZNS1_9scan_implILNS1_25lookback_scan_determinismE0ELb0ELb0ES3_N6thrust23THRUST_200600_302600_NS6detail15normal_iteratorINS9_10device_ptrIfEEEENS9_16discard_iteratorINS9_11use_defaultEEEfNS9_4plusIvEEfEEDaPvRmT3_T4_T5_mT6_P12ihipStream_tbENKUlT_T0_E_clISt17integral_constantIbLb1EESX_EEDaSS_ST_EUlSS_E0_NS1_11comp_targetILNS1_3genE4ELNS1_11target_archE910ELNS1_3gpuE8ELNS1_3repE0EEENS1_30default_config_static_selectorELNS0_4arch9wavefront6targetE1EEEvT1_
; %bb.0:
	s_load_dwordx4 s[0:3], s[4:5], 0x0
	v_lshlrev_b32_e32 v28, 2, v0
	s_waitcnt lgkmcnt(0)
	s_load_dword s3, s[0:1], 0x0
	v_cmp_gt_u32_e32 vcc, s2, v0
	s_waitcnt lgkmcnt(0)
	v_mov_b32_e32 v1, s3
	s_and_saveexec_b64 s[4:5], vcc
	s_cbranch_execz .LBB5035_2
; %bb.1:
	global_load_dword v1, v28, s[0:1]
.LBB5035_2:
	s_or_b64 exec, exec, s[4:5]
	v_or_b32_e32 v2, 0x80, v0
	v_cmp_gt_u32_e32 vcc, s2, v2
	v_mov_b32_e32 v2, s3
	s_and_saveexec_b64 s[4:5], vcc
	s_cbranch_execz .LBB5035_4
; %bb.3:
	global_load_dword v2, v28, s[0:1] offset:512
.LBB5035_4:
	s_or_b64 exec, exec, s[4:5]
	v_or_b32_e32 v3, 0x100, v0
	v_cmp_gt_u32_e32 vcc, s2, v3
	v_mov_b32_e32 v3, s3
	s_and_saveexec_b64 s[4:5], vcc
	s_cbranch_execz .LBB5035_6
; %bb.5:
	global_load_dword v3, v28, s[0:1] offset:1024
.LBB5035_6:
	;; [unrolled: 9-line block ×7, first 2 shown]
	s_or_b64 exec, exec, s[4:5]
	v_or_b32_e32 v10, 0x400, v0
	v_cmp_gt_u32_e32 vcc, s2, v10
	v_mov_b32_e32 v9, s3
	s_and_saveexec_b64 s[4:5], vcc
	s_cbranch_execz .LBB5035_18
; %bb.17:
	v_lshlrev_b32_e32 v9, 2, v10
	global_load_dword v9, v9, s[0:1]
.LBB5035_18:
	s_or_b64 exec, exec, s[4:5]
	v_or_b32_e32 v11, 0x480, v0
	v_cmp_gt_u32_e32 vcc, s2, v11
	v_mov_b32_e32 v10, s3
	s_and_saveexec_b64 s[4:5], vcc
	s_cbranch_execz .LBB5035_20
; %bb.19:
	v_lshlrev_b32_e32 v10, 2, v11
	global_load_dword v10, v10, s[0:1]
.LBB5035_20:
	s_or_b64 exec, exec, s[4:5]
	v_or_b32_e32 v12, 0x500, v0
	v_cmp_gt_u32_e32 vcc, s2, v12
	v_mov_b32_e32 v11, s3
	s_and_saveexec_b64 s[4:5], vcc
	s_cbranch_execz .LBB5035_22
; %bb.21:
	v_lshlrev_b32_e32 v11, 2, v12
	global_load_dword v11, v11, s[0:1]
.LBB5035_22:
	s_or_b64 exec, exec, s[4:5]
	v_or_b32_e32 v13, 0x580, v0
	v_cmp_gt_u32_e32 vcc, s2, v13
	v_mov_b32_e32 v12, s3
	s_and_saveexec_b64 s[4:5], vcc
	s_cbranch_execz .LBB5035_24
; %bb.23:
	v_lshlrev_b32_e32 v12, 2, v13
	global_load_dword v12, v12, s[0:1]
.LBB5035_24:
	s_or_b64 exec, exec, s[4:5]
	v_or_b32_e32 v14, 0x600, v0
	v_cmp_gt_u32_e32 vcc, s2, v14
	v_mov_b32_e32 v13, s3
	s_and_saveexec_b64 s[4:5], vcc
	s_cbranch_execz .LBB5035_26
; %bb.25:
	v_lshlrev_b32_e32 v13, 2, v14
	global_load_dword v13, v13, s[0:1]
.LBB5035_26:
	s_or_b64 exec, exec, s[4:5]
	v_or_b32_e32 v15, 0x680, v0
	v_cmp_gt_u32_e32 vcc, s2, v15
	v_mov_b32_e32 v14, s3
	s_and_saveexec_b64 s[2:3], vcc
	s_cbranch_execz .LBB5035_28
; %bb.27:
	v_lshlrev_b32_e32 v14, 2, v15
	global_load_dword v14, v14, s[0:1]
.LBB5035_28:
	s_or_b64 exec, exec, s[2:3]
	s_waitcnt vmcnt(0)
	ds_write2st64_b32 v28, v1, v2 offset1:2
	ds_write2st64_b32 v28, v3, v4 offset0:4 offset1:6
	ds_write2st64_b32 v28, v5, v6 offset0:8 offset1:10
	;; [unrolled: 1-line block ×6, first 2 shown]
	v_mad_u32_u24 v1, v0, 52, v28
	s_waitcnt lgkmcnt(0)
	s_barrier
	ds_read2_b64 v[10:13], v1 offset1:1
	ds_read2_b64 v[6:9], v1 offset0:2 offset1:3
	ds_read2_b64 v[2:5], v1 offset0:4 offset1:5
	ds_read_b64 v[26:27], v1 offset:48
	v_lshrrev_b32_e32 v29, 3, v0
	s_waitcnt lgkmcnt(3)
	v_add_f32_e32 v1, v10, v11
	v_add_f32_e32 v22, v1, v12
	v_add_f32_e32 v23, v22, v13
	s_waitcnt lgkmcnt(2)
	v_add_f32_e32 v16, v23, v6
	v_add_f32_e32 v17, v16, v7
	v_add_f32_e32 v20, v17, v8
	v_add_f32_e32 v21, v20, v9
	s_waitcnt lgkmcnt(1)
	v_add_f32_e32 v14, v21, v2
	;; [unrolled: 5-line block ×3, first 2 shown]
	v_and_b32_e32 v29, 12, v29
	v_add_f32_e32 v25, v24, v27
	v_add_u32_e32 v29, v28, v29
	v_cmp_gt_u32_e32 vcc, 64, v0
	s_barrier
	ds_write_b32 v29, v25
	s_waitcnt lgkmcnt(0)
	s_barrier
	s_and_saveexec_b64 s[4:5], vcc
	s_cbranch_execz .LBB5035_30
; %bb.29:
	v_lshlrev_b32_e32 v29, 1, v0
	v_lshrrev_b32_e32 v30, 4, v0
	v_add_lshl_u32 v29, v30, v29, 2
	ds_read2_b32 v[30:31], v29 offset1:1
	v_mbcnt_lo_u32_b32 v32, -1, 0
	v_mbcnt_hi_u32_b32 v32, -1, v32
	v_and_b32_e32 v33, 15, v32
	v_cmp_eq_u32_e32 vcc, 0, v33
	s_waitcnt lgkmcnt(0)
	v_add_f32_e32 v31, v30, v31
	v_cmp_lt_u32_e64 s[0:1], 3, v33
	v_cmp_lt_u32_e64 s[2:3], 31, v32
	v_mov_b32_dpp v34, v31 row_shr:1 row_mask:0xf bank_mask:0xf
	v_add_f32_e32 v34, v31, v34
	v_cndmask_b32_e32 v31, v34, v31, vcc
	v_cmp_lt_u32_e32 vcc, 1, v33
	s_nop 0
	v_mov_b32_dpp v34, v31 row_shr:2 row_mask:0xf bank_mask:0xf
	v_add_f32_e32 v34, v31, v34
	v_cndmask_b32_e32 v34, v31, v34, vcc
	; wave barrier
	s_nop 1
	v_mov_b32_dpp v35, v34 row_shr:4 row_mask:0xf bank_mask:0xf
	v_add_f32_e32 v35, v34, v35
	v_cndmask_b32_e64 v34, v34, v35, s[0:1]
	v_cmp_lt_u32_e64 s[0:1], 7, v33
	s_nop 0
	v_mov_b32_dpp v35, v34 row_shr:8 row_mask:0xf bank_mask:0xf
	v_add_f32_e32 v35, v34, v35
	v_cndmask_b32_e64 v33, v34, v35, s[0:1]
	v_and_b32_e32 v35, 16, v32
	v_cmp_eq_u32_e64 s[0:1], 0, v35
	v_mov_b32_dpp v34, v33 row_bcast:15 row_mask:0xf bank_mask:0xf
	v_add_f32_e32 v34, v33, v34
	v_cndmask_b32_e64 v33, v34, v33, s[0:1]
	v_cmp_lt_u32_e64 s[0:1], 15, v32
	s_or_b64 vcc, s[0:1], vcc
	v_mov_b32_dpp v34, v33 row_bcast:31 row_mask:0xf bank_mask:0xf
	v_add_f32_e32 v34, v33, v34
	v_cndmask_b32_e64 v33, v33, v34, s[2:3]
	v_cndmask_b32_e32 v31, v31, v33, vcc
	v_add_u32_e32 v33, -1, v32
	v_and_b32_e32 v34, 64, v32
	v_cmp_lt_i32_e32 vcc, v33, v34
	v_cndmask_b32_e32 v32, v33, v32, vcc
	v_lshlrev_b32_e32 v32, 2, v32
	ds_bpermute_b32 v31, v32, v31
	v_cmp_eq_u32_e32 vcc, 0, v0
	s_waitcnt lgkmcnt(0)
	v_add_f32_e32 v30, v30, v31
	v_cndmask_b32_e32 v30, v30, v25, vcc
	ds_write_b32 v29, v30
	; wave barrier
	ds_read_b32 v31, v29 offset:4
	s_waitcnt lgkmcnt(0)
	v_add_f32_e32 v30, v30, v31
	ds_write_b32 v29, v30 offset:4
.LBB5035_30:
	s_or_b64 exec, exec, s[4:5]
	v_cmp_ne_u32_e32 vcc, 0, v0
	v_mov_b32_e32 v30, v25
	s_waitcnt lgkmcnt(0)
	s_barrier
	s_and_saveexec_b64 s[0:1], vcc
	s_cbranch_execz .LBB5035_32
; %bb.31:
	v_add_u32_e32 v29, -1, v0
	v_lshrrev_b32_e32 v30, 5, v29
	v_add_lshl_u32 v29, v30, v29, 2
	ds_read_b32 v30, v29
.LBB5035_32:
	s_or_b64 exec, exec, s[0:1]
	v_mul_u32_u24_e32 v29, 52, v0
	v_mov_b32_e32 v0, v10
	s_and_saveexec_b64 s[0:1], vcc
	s_cbranch_execz .LBB5035_34
; %bb.33:
	s_waitcnt lgkmcnt(0)
	v_add_f32_e32 v0, v10, v30
	v_add_f32_e32 v1, v11, v0
	;; [unrolled: 1-line block ×14, first 2 shown]
	;;#ASMSTART
	;;#ASMEND
.LBB5035_34:
	s_or_b64 exec, exec, s[0:1]
	v_add_u32_e32 v2, v28, v29
	s_waitcnt lgkmcnt(0)
	s_barrier
	ds_write2_b64 v2, v[0:1], v[22:23] offset1:1
	ds_write2_b64 v2, v[16:17], v[20:21] offset0:2 offset1:3
	ds_write2_b64 v2, v[14:15], v[18:19] offset0:4 offset1:5
	ds_write_b64 v2, v[24:25] offset:48
	s_waitcnt lgkmcnt(0)
	s_barrier
	s_endpgm
	.section	.rodata,"a",@progbits
	.p2align	6, 0x0
	.amdhsa_kernel _ZN7rocprim17ROCPRIM_400000_NS6detail17trampoline_kernelINS0_14default_configENS1_20scan_config_selectorIfEEZZNS1_9scan_implILNS1_25lookback_scan_determinismE0ELb0ELb0ES3_N6thrust23THRUST_200600_302600_NS6detail15normal_iteratorINS9_10device_ptrIfEEEENS9_16discard_iteratorINS9_11use_defaultEEEfNS9_4plusIvEEfEEDaPvRmT3_T4_T5_mT6_P12ihipStream_tbENKUlT_T0_E_clISt17integral_constantIbLb1EESX_EEDaSS_ST_EUlSS_E0_NS1_11comp_targetILNS1_3genE4ELNS1_11target_archE910ELNS1_3gpuE8ELNS1_3repE0EEENS1_30default_config_static_selectorELNS0_4arch9wavefront6targetE1EEEvT1_
		.amdhsa_group_segment_fixed_size 7168
		.amdhsa_private_segment_fixed_size 0
		.amdhsa_kernarg_size 40
		.amdhsa_user_sgpr_count 6
		.amdhsa_user_sgpr_private_segment_buffer 1
		.amdhsa_user_sgpr_dispatch_ptr 0
		.amdhsa_user_sgpr_queue_ptr 0
		.amdhsa_user_sgpr_kernarg_segment_ptr 1
		.amdhsa_user_sgpr_dispatch_id 0
		.amdhsa_user_sgpr_flat_scratch_init 0
		.amdhsa_user_sgpr_kernarg_preload_length 0
		.amdhsa_user_sgpr_kernarg_preload_offset 0
		.amdhsa_user_sgpr_private_segment_size 0
		.amdhsa_uses_dynamic_stack 0
		.amdhsa_system_sgpr_private_segment_wavefront_offset 0
		.amdhsa_system_sgpr_workgroup_id_x 1
		.amdhsa_system_sgpr_workgroup_id_y 0
		.amdhsa_system_sgpr_workgroup_id_z 0
		.amdhsa_system_sgpr_workgroup_info 0
		.amdhsa_system_vgpr_workitem_id 0
		.amdhsa_next_free_vgpr 36
		.amdhsa_next_free_sgpr 6
		.amdhsa_accum_offset 36
		.amdhsa_reserve_vcc 1
		.amdhsa_reserve_flat_scratch 0
		.amdhsa_float_round_mode_32 0
		.amdhsa_float_round_mode_16_64 0
		.amdhsa_float_denorm_mode_32 3
		.amdhsa_float_denorm_mode_16_64 3
		.amdhsa_dx10_clamp 1
		.amdhsa_ieee_mode 1
		.amdhsa_fp16_overflow 0
		.amdhsa_tg_split 0
		.amdhsa_exception_fp_ieee_invalid_op 0
		.amdhsa_exception_fp_denorm_src 0
		.amdhsa_exception_fp_ieee_div_zero 0
		.amdhsa_exception_fp_ieee_overflow 0
		.amdhsa_exception_fp_ieee_underflow 0
		.amdhsa_exception_fp_ieee_inexact 0
		.amdhsa_exception_int_div_zero 0
	.end_amdhsa_kernel
	.section	.text._ZN7rocprim17ROCPRIM_400000_NS6detail17trampoline_kernelINS0_14default_configENS1_20scan_config_selectorIfEEZZNS1_9scan_implILNS1_25lookback_scan_determinismE0ELb0ELb0ES3_N6thrust23THRUST_200600_302600_NS6detail15normal_iteratorINS9_10device_ptrIfEEEENS9_16discard_iteratorINS9_11use_defaultEEEfNS9_4plusIvEEfEEDaPvRmT3_T4_T5_mT6_P12ihipStream_tbENKUlT_T0_E_clISt17integral_constantIbLb1EESX_EEDaSS_ST_EUlSS_E0_NS1_11comp_targetILNS1_3genE4ELNS1_11target_archE910ELNS1_3gpuE8ELNS1_3repE0EEENS1_30default_config_static_selectorELNS0_4arch9wavefront6targetE1EEEvT1_,"axG",@progbits,_ZN7rocprim17ROCPRIM_400000_NS6detail17trampoline_kernelINS0_14default_configENS1_20scan_config_selectorIfEEZZNS1_9scan_implILNS1_25lookback_scan_determinismE0ELb0ELb0ES3_N6thrust23THRUST_200600_302600_NS6detail15normal_iteratorINS9_10device_ptrIfEEEENS9_16discard_iteratorINS9_11use_defaultEEEfNS9_4plusIvEEfEEDaPvRmT3_T4_T5_mT6_P12ihipStream_tbENKUlT_T0_E_clISt17integral_constantIbLb1EESX_EEDaSS_ST_EUlSS_E0_NS1_11comp_targetILNS1_3genE4ELNS1_11target_archE910ELNS1_3gpuE8ELNS1_3repE0EEENS1_30default_config_static_selectorELNS0_4arch9wavefront6targetE1EEEvT1_,comdat
.Lfunc_end5035:
	.size	_ZN7rocprim17ROCPRIM_400000_NS6detail17trampoline_kernelINS0_14default_configENS1_20scan_config_selectorIfEEZZNS1_9scan_implILNS1_25lookback_scan_determinismE0ELb0ELb0ES3_N6thrust23THRUST_200600_302600_NS6detail15normal_iteratorINS9_10device_ptrIfEEEENS9_16discard_iteratorINS9_11use_defaultEEEfNS9_4plusIvEEfEEDaPvRmT3_T4_T5_mT6_P12ihipStream_tbENKUlT_T0_E_clISt17integral_constantIbLb1EESX_EEDaSS_ST_EUlSS_E0_NS1_11comp_targetILNS1_3genE4ELNS1_11target_archE910ELNS1_3gpuE8ELNS1_3repE0EEENS1_30default_config_static_selectorELNS0_4arch9wavefront6targetE1EEEvT1_, .Lfunc_end5035-_ZN7rocprim17ROCPRIM_400000_NS6detail17trampoline_kernelINS0_14default_configENS1_20scan_config_selectorIfEEZZNS1_9scan_implILNS1_25lookback_scan_determinismE0ELb0ELb0ES3_N6thrust23THRUST_200600_302600_NS6detail15normal_iteratorINS9_10device_ptrIfEEEENS9_16discard_iteratorINS9_11use_defaultEEEfNS9_4plusIvEEfEEDaPvRmT3_T4_T5_mT6_P12ihipStream_tbENKUlT_T0_E_clISt17integral_constantIbLb1EESX_EEDaSS_ST_EUlSS_E0_NS1_11comp_targetILNS1_3genE4ELNS1_11target_archE910ELNS1_3gpuE8ELNS1_3repE0EEENS1_30default_config_static_selectorELNS0_4arch9wavefront6targetE1EEEvT1_
                                        ; -- End function
	.section	.AMDGPU.csdata,"",@progbits
; Kernel info:
; codeLenInByte = 1272
; NumSgprs: 10
; NumVgprs: 36
; NumAgprs: 0
; TotalNumVgprs: 36
; ScratchSize: 0
; MemoryBound: 0
; FloatMode: 240
; IeeeMode: 1
; LDSByteSize: 7168 bytes/workgroup (compile time only)
; SGPRBlocks: 1
; VGPRBlocks: 4
; NumSGPRsForWavesPerEU: 10
; NumVGPRsForWavesPerEU: 36
; AccumOffset: 36
; Occupancy: 5
; WaveLimiterHint : 0
; COMPUTE_PGM_RSRC2:SCRATCH_EN: 0
; COMPUTE_PGM_RSRC2:USER_SGPR: 6
; COMPUTE_PGM_RSRC2:TRAP_HANDLER: 0
; COMPUTE_PGM_RSRC2:TGID_X_EN: 1
; COMPUTE_PGM_RSRC2:TGID_Y_EN: 0
; COMPUTE_PGM_RSRC2:TGID_Z_EN: 0
; COMPUTE_PGM_RSRC2:TIDIG_COMP_CNT: 0
; COMPUTE_PGM_RSRC3_GFX90A:ACCUM_OFFSET: 8
; COMPUTE_PGM_RSRC3_GFX90A:TG_SPLIT: 0
	.section	.text._ZN7rocprim17ROCPRIM_400000_NS6detail17trampoline_kernelINS0_14default_configENS1_20scan_config_selectorIfEEZZNS1_9scan_implILNS1_25lookback_scan_determinismE0ELb0ELb0ES3_N6thrust23THRUST_200600_302600_NS6detail15normal_iteratorINS9_10device_ptrIfEEEENS9_16discard_iteratorINS9_11use_defaultEEEfNS9_4plusIvEEfEEDaPvRmT3_T4_T5_mT6_P12ihipStream_tbENKUlT_T0_E_clISt17integral_constantIbLb1EESX_EEDaSS_ST_EUlSS_E0_NS1_11comp_targetILNS1_3genE3ELNS1_11target_archE908ELNS1_3gpuE7ELNS1_3repE0EEENS1_30default_config_static_selectorELNS0_4arch9wavefront6targetE1EEEvT1_,"axG",@progbits,_ZN7rocprim17ROCPRIM_400000_NS6detail17trampoline_kernelINS0_14default_configENS1_20scan_config_selectorIfEEZZNS1_9scan_implILNS1_25lookback_scan_determinismE0ELb0ELb0ES3_N6thrust23THRUST_200600_302600_NS6detail15normal_iteratorINS9_10device_ptrIfEEEENS9_16discard_iteratorINS9_11use_defaultEEEfNS9_4plusIvEEfEEDaPvRmT3_T4_T5_mT6_P12ihipStream_tbENKUlT_T0_E_clISt17integral_constantIbLb1EESX_EEDaSS_ST_EUlSS_E0_NS1_11comp_targetILNS1_3genE3ELNS1_11target_archE908ELNS1_3gpuE7ELNS1_3repE0EEENS1_30default_config_static_selectorELNS0_4arch9wavefront6targetE1EEEvT1_,comdat
	.protected	_ZN7rocprim17ROCPRIM_400000_NS6detail17trampoline_kernelINS0_14default_configENS1_20scan_config_selectorIfEEZZNS1_9scan_implILNS1_25lookback_scan_determinismE0ELb0ELb0ES3_N6thrust23THRUST_200600_302600_NS6detail15normal_iteratorINS9_10device_ptrIfEEEENS9_16discard_iteratorINS9_11use_defaultEEEfNS9_4plusIvEEfEEDaPvRmT3_T4_T5_mT6_P12ihipStream_tbENKUlT_T0_E_clISt17integral_constantIbLb1EESX_EEDaSS_ST_EUlSS_E0_NS1_11comp_targetILNS1_3genE3ELNS1_11target_archE908ELNS1_3gpuE7ELNS1_3repE0EEENS1_30default_config_static_selectorELNS0_4arch9wavefront6targetE1EEEvT1_ ; -- Begin function _ZN7rocprim17ROCPRIM_400000_NS6detail17trampoline_kernelINS0_14default_configENS1_20scan_config_selectorIfEEZZNS1_9scan_implILNS1_25lookback_scan_determinismE0ELb0ELb0ES3_N6thrust23THRUST_200600_302600_NS6detail15normal_iteratorINS9_10device_ptrIfEEEENS9_16discard_iteratorINS9_11use_defaultEEEfNS9_4plusIvEEfEEDaPvRmT3_T4_T5_mT6_P12ihipStream_tbENKUlT_T0_E_clISt17integral_constantIbLb1EESX_EEDaSS_ST_EUlSS_E0_NS1_11comp_targetILNS1_3genE3ELNS1_11target_archE908ELNS1_3gpuE7ELNS1_3repE0EEENS1_30default_config_static_selectorELNS0_4arch9wavefront6targetE1EEEvT1_
	.globl	_ZN7rocprim17ROCPRIM_400000_NS6detail17trampoline_kernelINS0_14default_configENS1_20scan_config_selectorIfEEZZNS1_9scan_implILNS1_25lookback_scan_determinismE0ELb0ELb0ES3_N6thrust23THRUST_200600_302600_NS6detail15normal_iteratorINS9_10device_ptrIfEEEENS9_16discard_iteratorINS9_11use_defaultEEEfNS9_4plusIvEEfEEDaPvRmT3_T4_T5_mT6_P12ihipStream_tbENKUlT_T0_E_clISt17integral_constantIbLb1EESX_EEDaSS_ST_EUlSS_E0_NS1_11comp_targetILNS1_3genE3ELNS1_11target_archE908ELNS1_3gpuE7ELNS1_3repE0EEENS1_30default_config_static_selectorELNS0_4arch9wavefront6targetE1EEEvT1_
	.p2align	8
	.type	_ZN7rocprim17ROCPRIM_400000_NS6detail17trampoline_kernelINS0_14default_configENS1_20scan_config_selectorIfEEZZNS1_9scan_implILNS1_25lookback_scan_determinismE0ELb0ELb0ES3_N6thrust23THRUST_200600_302600_NS6detail15normal_iteratorINS9_10device_ptrIfEEEENS9_16discard_iteratorINS9_11use_defaultEEEfNS9_4plusIvEEfEEDaPvRmT3_T4_T5_mT6_P12ihipStream_tbENKUlT_T0_E_clISt17integral_constantIbLb1EESX_EEDaSS_ST_EUlSS_E0_NS1_11comp_targetILNS1_3genE3ELNS1_11target_archE908ELNS1_3gpuE7ELNS1_3repE0EEENS1_30default_config_static_selectorELNS0_4arch9wavefront6targetE1EEEvT1_,@function
_ZN7rocprim17ROCPRIM_400000_NS6detail17trampoline_kernelINS0_14default_configENS1_20scan_config_selectorIfEEZZNS1_9scan_implILNS1_25lookback_scan_determinismE0ELb0ELb0ES3_N6thrust23THRUST_200600_302600_NS6detail15normal_iteratorINS9_10device_ptrIfEEEENS9_16discard_iteratorINS9_11use_defaultEEEfNS9_4plusIvEEfEEDaPvRmT3_T4_T5_mT6_P12ihipStream_tbENKUlT_T0_E_clISt17integral_constantIbLb1EESX_EEDaSS_ST_EUlSS_E0_NS1_11comp_targetILNS1_3genE3ELNS1_11target_archE908ELNS1_3gpuE7ELNS1_3repE0EEENS1_30default_config_static_selectorELNS0_4arch9wavefront6targetE1EEEvT1_: ; @_ZN7rocprim17ROCPRIM_400000_NS6detail17trampoline_kernelINS0_14default_configENS1_20scan_config_selectorIfEEZZNS1_9scan_implILNS1_25lookback_scan_determinismE0ELb0ELb0ES3_N6thrust23THRUST_200600_302600_NS6detail15normal_iteratorINS9_10device_ptrIfEEEENS9_16discard_iteratorINS9_11use_defaultEEEfNS9_4plusIvEEfEEDaPvRmT3_T4_T5_mT6_P12ihipStream_tbENKUlT_T0_E_clISt17integral_constantIbLb1EESX_EEDaSS_ST_EUlSS_E0_NS1_11comp_targetILNS1_3genE3ELNS1_11target_archE908ELNS1_3gpuE7ELNS1_3repE0EEENS1_30default_config_static_selectorELNS0_4arch9wavefront6targetE1EEEvT1_
; %bb.0:
	.section	.rodata,"a",@progbits
	.p2align	6, 0x0
	.amdhsa_kernel _ZN7rocprim17ROCPRIM_400000_NS6detail17trampoline_kernelINS0_14default_configENS1_20scan_config_selectorIfEEZZNS1_9scan_implILNS1_25lookback_scan_determinismE0ELb0ELb0ES3_N6thrust23THRUST_200600_302600_NS6detail15normal_iteratorINS9_10device_ptrIfEEEENS9_16discard_iteratorINS9_11use_defaultEEEfNS9_4plusIvEEfEEDaPvRmT3_T4_T5_mT6_P12ihipStream_tbENKUlT_T0_E_clISt17integral_constantIbLb1EESX_EEDaSS_ST_EUlSS_E0_NS1_11comp_targetILNS1_3genE3ELNS1_11target_archE908ELNS1_3gpuE7ELNS1_3repE0EEENS1_30default_config_static_selectorELNS0_4arch9wavefront6targetE1EEEvT1_
		.amdhsa_group_segment_fixed_size 0
		.amdhsa_private_segment_fixed_size 0
		.amdhsa_kernarg_size 40
		.amdhsa_user_sgpr_count 6
		.amdhsa_user_sgpr_private_segment_buffer 1
		.amdhsa_user_sgpr_dispatch_ptr 0
		.amdhsa_user_sgpr_queue_ptr 0
		.amdhsa_user_sgpr_kernarg_segment_ptr 1
		.amdhsa_user_sgpr_dispatch_id 0
		.amdhsa_user_sgpr_flat_scratch_init 0
		.amdhsa_user_sgpr_kernarg_preload_length 0
		.amdhsa_user_sgpr_kernarg_preload_offset 0
		.amdhsa_user_sgpr_private_segment_size 0
		.amdhsa_uses_dynamic_stack 0
		.amdhsa_system_sgpr_private_segment_wavefront_offset 0
		.amdhsa_system_sgpr_workgroup_id_x 1
		.amdhsa_system_sgpr_workgroup_id_y 0
		.amdhsa_system_sgpr_workgroup_id_z 0
		.amdhsa_system_sgpr_workgroup_info 0
		.amdhsa_system_vgpr_workitem_id 0
		.amdhsa_next_free_vgpr 1
		.amdhsa_next_free_sgpr 0
		.amdhsa_accum_offset 4
		.amdhsa_reserve_vcc 0
		.amdhsa_reserve_flat_scratch 0
		.amdhsa_float_round_mode_32 0
		.amdhsa_float_round_mode_16_64 0
		.amdhsa_float_denorm_mode_32 3
		.amdhsa_float_denorm_mode_16_64 3
		.amdhsa_dx10_clamp 1
		.amdhsa_ieee_mode 1
		.amdhsa_fp16_overflow 0
		.amdhsa_tg_split 0
		.amdhsa_exception_fp_ieee_invalid_op 0
		.amdhsa_exception_fp_denorm_src 0
		.amdhsa_exception_fp_ieee_div_zero 0
		.amdhsa_exception_fp_ieee_overflow 0
		.amdhsa_exception_fp_ieee_underflow 0
		.amdhsa_exception_fp_ieee_inexact 0
		.amdhsa_exception_int_div_zero 0
	.end_amdhsa_kernel
	.section	.text._ZN7rocprim17ROCPRIM_400000_NS6detail17trampoline_kernelINS0_14default_configENS1_20scan_config_selectorIfEEZZNS1_9scan_implILNS1_25lookback_scan_determinismE0ELb0ELb0ES3_N6thrust23THRUST_200600_302600_NS6detail15normal_iteratorINS9_10device_ptrIfEEEENS9_16discard_iteratorINS9_11use_defaultEEEfNS9_4plusIvEEfEEDaPvRmT3_T4_T5_mT6_P12ihipStream_tbENKUlT_T0_E_clISt17integral_constantIbLb1EESX_EEDaSS_ST_EUlSS_E0_NS1_11comp_targetILNS1_3genE3ELNS1_11target_archE908ELNS1_3gpuE7ELNS1_3repE0EEENS1_30default_config_static_selectorELNS0_4arch9wavefront6targetE1EEEvT1_,"axG",@progbits,_ZN7rocprim17ROCPRIM_400000_NS6detail17trampoline_kernelINS0_14default_configENS1_20scan_config_selectorIfEEZZNS1_9scan_implILNS1_25lookback_scan_determinismE0ELb0ELb0ES3_N6thrust23THRUST_200600_302600_NS6detail15normal_iteratorINS9_10device_ptrIfEEEENS9_16discard_iteratorINS9_11use_defaultEEEfNS9_4plusIvEEfEEDaPvRmT3_T4_T5_mT6_P12ihipStream_tbENKUlT_T0_E_clISt17integral_constantIbLb1EESX_EEDaSS_ST_EUlSS_E0_NS1_11comp_targetILNS1_3genE3ELNS1_11target_archE908ELNS1_3gpuE7ELNS1_3repE0EEENS1_30default_config_static_selectorELNS0_4arch9wavefront6targetE1EEEvT1_,comdat
.Lfunc_end5036:
	.size	_ZN7rocprim17ROCPRIM_400000_NS6detail17trampoline_kernelINS0_14default_configENS1_20scan_config_selectorIfEEZZNS1_9scan_implILNS1_25lookback_scan_determinismE0ELb0ELb0ES3_N6thrust23THRUST_200600_302600_NS6detail15normal_iteratorINS9_10device_ptrIfEEEENS9_16discard_iteratorINS9_11use_defaultEEEfNS9_4plusIvEEfEEDaPvRmT3_T4_T5_mT6_P12ihipStream_tbENKUlT_T0_E_clISt17integral_constantIbLb1EESX_EEDaSS_ST_EUlSS_E0_NS1_11comp_targetILNS1_3genE3ELNS1_11target_archE908ELNS1_3gpuE7ELNS1_3repE0EEENS1_30default_config_static_selectorELNS0_4arch9wavefront6targetE1EEEvT1_, .Lfunc_end5036-_ZN7rocprim17ROCPRIM_400000_NS6detail17trampoline_kernelINS0_14default_configENS1_20scan_config_selectorIfEEZZNS1_9scan_implILNS1_25lookback_scan_determinismE0ELb0ELb0ES3_N6thrust23THRUST_200600_302600_NS6detail15normal_iteratorINS9_10device_ptrIfEEEENS9_16discard_iteratorINS9_11use_defaultEEEfNS9_4plusIvEEfEEDaPvRmT3_T4_T5_mT6_P12ihipStream_tbENKUlT_T0_E_clISt17integral_constantIbLb1EESX_EEDaSS_ST_EUlSS_E0_NS1_11comp_targetILNS1_3genE3ELNS1_11target_archE908ELNS1_3gpuE7ELNS1_3repE0EEENS1_30default_config_static_selectorELNS0_4arch9wavefront6targetE1EEEvT1_
                                        ; -- End function
	.section	.AMDGPU.csdata,"",@progbits
; Kernel info:
; codeLenInByte = 0
; NumSgprs: 4
; NumVgprs: 0
; NumAgprs: 0
; TotalNumVgprs: 0
; ScratchSize: 0
; MemoryBound: 0
; FloatMode: 240
; IeeeMode: 1
; LDSByteSize: 0 bytes/workgroup (compile time only)
; SGPRBlocks: 0
; VGPRBlocks: 0
; NumSGPRsForWavesPerEU: 4
; NumVGPRsForWavesPerEU: 1
; AccumOffset: 4
; Occupancy: 8
; WaveLimiterHint : 0
; COMPUTE_PGM_RSRC2:SCRATCH_EN: 0
; COMPUTE_PGM_RSRC2:USER_SGPR: 6
; COMPUTE_PGM_RSRC2:TRAP_HANDLER: 0
; COMPUTE_PGM_RSRC2:TGID_X_EN: 1
; COMPUTE_PGM_RSRC2:TGID_Y_EN: 0
; COMPUTE_PGM_RSRC2:TGID_Z_EN: 0
; COMPUTE_PGM_RSRC2:TIDIG_COMP_CNT: 0
; COMPUTE_PGM_RSRC3_GFX90A:ACCUM_OFFSET: 0
; COMPUTE_PGM_RSRC3_GFX90A:TG_SPLIT: 0
	.section	.text._ZN7rocprim17ROCPRIM_400000_NS6detail17trampoline_kernelINS0_14default_configENS1_20scan_config_selectorIfEEZZNS1_9scan_implILNS1_25lookback_scan_determinismE0ELb0ELb0ES3_N6thrust23THRUST_200600_302600_NS6detail15normal_iteratorINS9_10device_ptrIfEEEENS9_16discard_iteratorINS9_11use_defaultEEEfNS9_4plusIvEEfEEDaPvRmT3_T4_T5_mT6_P12ihipStream_tbENKUlT_T0_E_clISt17integral_constantIbLb1EESX_EEDaSS_ST_EUlSS_E0_NS1_11comp_targetILNS1_3genE2ELNS1_11target_archE906ELNS1_3gpuE6ELNS1_3repE0EEENS1_30default_config_static_selectorELNS0_4arch9wavefront6targetE1EEEvT1_,"axG",@progbits,_ZN7rocprim17ROCPRIM_400000_NS6detail17trampoline_kernelINS0_14default_configENS1_20scan_config_selectorIfEEZZNS1_9scan_implILNS1_25lookback_scan_determinismE0ELb0ELb0ES3_N6thrust23THRUST_200600_302600_NS6detail15normal_iteratorINS9_10device_ptrIfEEEENS9_16discard_iteratorINS9_11use_defaultEEEfNS9_4plusIvEEfEEDaPvRmT3_T4_T5_mT6_P12ihipStream_tbENKUlT_T0_E_clISt17integral_constantIbLb1EESX_EEDaSS_ST_EUlSS_E0_NS1_11comp_targetILNS1_3genE2ELNS1_11target_archE906ELNS1_3gpuE6ELNS1_3repE0EEENS1_30default_config_static_selectorELNS0_4arch9wavefront6targetE1EEEvT1_,comdat
	.protected	_ZN7rocprim17ROCPRIM_400000_NS6detail17trampoline_kernelINS0_14default_configENS1_20scan_config_selectorIfEEZZNS1_9scan_implILNS1_25lookback_scan_determinismE0ELb0ELb0ES3_N6thrust23THRUST_200600_302600_NS6detail15normal_iteratorINS9_10device_ptrIfEEEENS9_16discard_iteratorINS9_11use_defaultEEEfNS9_4plusIvEEfEEDaPvRmT3_T4_T5_mT6_P12ihipStream_tbENKUlT_T0_E_clISt17integral_constantIbLb1EESX_EEDaSS_ST_EUlSS_E0_NS1_11comp_targetILNS1_3genE2ELNS1_11target_archE906ELNS1_3gpuE6ELNS1_3repE0EEENS1_30default_config_static_selectorELNS0_4arch9wavefront6targetE1EEEvT1_ ; -- Begin function _ZN7rocprim17ROCPRIM_400000_NS6detail17trampoline_kernelINS0_14default_configENS1_20scan_config_selectorIfEEZZNS1_9scan_implILNS1_25lookback_scan_determinismE0ELb0ELb0ES3_N6thrust23THRUST_200600_302600_NS6detail15normal_iteratorINS9_10device_ptrIfEEEENS9_16discard_iteratorINS9_11use_defaultEEEfNS9_4plusIvEEfEEDaPvRmT3_T4_T5_mT6_P12ihipStream_tbENKUlT_T0_E_clISt17integral_constantIbLb1EESX_EEDaSS_ST_EUlSS_E0_NS1_11comp_targetILNS1_3genE2ELNS1_11target_archE906ELNS1_3gpuE6ELNS1_3repE0EEENS1_30default_config_static_selectorELNS0_4arch9wavefront6targetE1EEEvT1_
	.globl	_ZN7rocprim17ROCPRIM_400000_NS6detail17trampoline_kernelINS0_14default_configENS1_20scan_config_selectorIfEEZZNS1_9scan_implILNS1_25lookback_scan_determinismE0ELb0ELb0ES3_N6thrust23THRUST_200600_302600_NS6detail15normal_iteratorINS9_10device_ptrIfEEEENS9_16discard_iteratorINS9_11use_defaultEEEfNS9_4plusIvEEfEEDaPvRmT3_T4_T5_mT6_P12ihipStream_tbENKUlT_T0_E_clISt17integral_constantIbLb1EESX_EEDaSS_ST_EUlSS_E0_NS1_11comp_targetILNS1_3genE2ELNS1_11target_archE906ELNS1_3gpuE6ELNS1_3repE0EEENS1_30default_config_static_selectorELNS0_4arch9wavefront6targetE1EEEvT1_
	.p2align	8
	.type	_ZN7rocprim17ROCPRIM_400000_NS6detail17trampoline_kernelINS0_14default_configENS1_20scan_config_selectorIfEEZZNS1_9scan_implILNS1_25lookback_scan_determinismE0ELb0ELb0ES3_N6thrust23THRUST_200600_302600_NS6detail15normal_iteratorINS9_10device_ptrIfEEEENS9_16discard_iteratorINS9_11use_defaultEEEfNS9_4plusIvEEfEEDaPvRmT3_T4_T5_mT6_P12ihipStream_tbENKUlT_T0_E_clISt17integral_constantIbLb1EESX_EEDaSS_ST_EUlSS_E0_NS1_11comp_targetILNS1_3genE2ELNS1_11target_archE906ELNS1_3gpuE6ELNS1_3repE0EEENS1_30default_config_static_selectorELNS0_4arch9wavefront6targetE1EEEvT1_,@function
_ZN7rocprim17ROCPRIM_400000_NS6detail17trampoline_kernelINS0_14default_configENS1_20scan_config_selectorIfEEZZNS1_9scan_implILNS1_25lookback_scan_determinismE0ELb0ELb0ES3_N6thrust23THRUST_200600_302600_NS6detail15normal_iteratorINS9_10device_ptrIfEEEENS9_16discard_iteratorINS9_11use_defaultEEEfNS9_4plusIvEEfEEDaPvRmT3_T4_T5_mT6_P12ihipStream_tbENKUlT_T0_E_clISt17integral_constantIbLb1EESX_EEDaSS_ST_EUlSS_E0_NS1_11comp_targetILNS1_3genE2ELNS1_11target_archE906ELNS1_3gpuE6ELNS1_3repE0EEENS1_30default_config_static_selectorELNS0_4arch9wavefront6targetE1EEEvT1_: ; @_ZN7rocprim17ROCPRIM_400000_NS6detail17trampoline_kernelINS0_14default_configENS1_20scan_config_selectorIfEEZZNS1_9scan_implILNS1_25lookback_scan_determinismE0ELb0ELb0ES3_N6thrust23THRUST_200600_302600_NS6detail15normal_iteratorINS9_10device_ptrIfEEEENS9_16discard_iteratorINS9_11use_defaultEEEfNS9_4plusIvEEfEEDaPvRmT3_T4_T5_mT6_P12ihipStream_tbENKUlT_T0_E_clISt17integral_constantIbLb1EESX_EEDaSS_ST_EUlSS_E0_NS1_11comp_targetILNS1_3genE2ELNS1_11target_archE906ELNS1_3gpuE6ELNS1_3repE0EEENS1_30default_config_static_selectorELNS0_4arch9wavefront6targetE1EEEvT1_
; %bb.0:
	.section	.rodata,"a",@progbits
	.p2align	6, 0x0
	.amdhsa_kernel _ZN7rocprim17ROCPRIM_400000_NS6detail17trampoline_kernelINS0_14default_configENS1_20scan_config_selectorIfEEZZNS1_9scan_implILNS1_25lookback_scan_determinismE0ELb0ELb0ES3_N6thrust23THRUST_200600_302600_NS6detail15normal_iteratorINS9_10device_ptrIfEEEENS9_16discard_iteratorINS9_11use_defaultEEEfNS9_4plusIvEEfEEDaPvRmT3_T4_T5_mT6_P12ihipStream_tbENKUlT_T0_E_clISt17integral_constantIbLb1EESX_EEDaSS_ST_EUlSS_E0_NS1_11comp_targetILNS1_3genE2ELNS1_11target_archE906ELNS1_3gpuE6ELNS1_3repE0EEENS1_30default_config_static_selectorELNS0_4arch9wavefront6targetE1EEEvT1_
		.amdhsa_group_segment_fixed_size 0
		.amdhsa_private_segment_fixed_size 0
		.amdhsa_kernarg_size 40
		.amdhsa_user_sgpr_count 6
		.amdhsa_user_sgpr_private_segment_buffer 1
		.amdhsa_user_sgpr_dispatch_ptr 0
		.amdhsa_user_sgpr_queue_ptr 0
		.amdhsa_user_sgpr_kernarg_segment_ptr 1
		.amdhsa_user_sgpr_dispatch_id 0
		.amdhsa_user_sgpr_flat_scratch_init 0
		.amdhsa_user_sgpr_kernarg_preload_length 0
		.amdhsa_user_sgpr_kernarg_preload_offset 0
		.amdhsa_user_sgpr_private_segment_size 0
		.amdhsa_uses_dynamic_stack 0
		.amdhsa_system_sgpr_private_segment_wavefront_offset 0
		.amdhsa_system_sgpr_workgroup_id_x 1
		.amdhsa_system_sgpr_workgroup_id_y 0
		.amdhsa_system_sgpr_workgroup_id_z 0
		.amdhsa_system_sgpr_workgroup_info 0
		.amdhsa_system_vgpr_workitem_id 0
		.amdhsa_next_free_vgpr 1
		.amdhsa_next_free_sgpr 0
		.amdhsa_accum_offset 4
		.amdhsa_reserve_vcc 0
		.amdhsa_reserve_flat_scratch 0
		.amdhsa_float_round_mode_32 0
		.amdhsa_float_round_mode_16_64 0
		.amdhsa_float_denorm_mode_32 3
		.amdhsa_float_denorm_mode_16_64 3
		.amdhsa_dx10_clamp 1
		.amdhsa_ieee_mode 1
		.amdhsa_fp16_overflow 0
		.amdhsa_tg_split 0
		.amdhsa_exception_fp_ieee_invalid_op 0
		.amdhsa_exception_fp_denorm_src 0
		.amdhsa_exception_fp_ieee_div_zero 0
		.amdhsa_exception_fp_ieee_overflow 0
		.amdhsa_exception_fp_ieee_underflow 0
		.amdhsa_exception_fp_ieee_inexact 0
		.amdhsa_exception_int_div_zero 0
	.end_amdhsa_kernel
	.section	.text._ZN7rocprim17ROCPRIM_400000_NS6detail17trampoline_kernelINS0_14default_configENS1_20scan_config_selectorIfEEZZNS1_9scan_implILNS1_25lookback_scan_determinismE0ELb0ELb0ES3_N6thrust23THRUST_200600_302600_NS6detail15normal_iteratorINS9_10device_ptrIfEEEENS9_16discard_iteratorINS9_11use_defaultEEEfNS9_4plusIvEEfEEDaPvRmT3_T4_T5_mT6_P12ihipStream_tbENKUlT_T0_E_clISt17integral_constantIbLb1EESX_EEDaSS_ST_EUlSS_E0_NS1_11comp_targetILNS1_3genE2ELNS1_11target_archE906ELNS1_3gpuE6ELNS1_3repE0EEENS1_30default_config_static_selectorELNS0_4arch9wavefront6targetE1EEEvT1_,"axG",@progbits,_ZN7rocprim17ROCPRIM_400000_NS6detail17trampoline_kernelINS0_14default_configENS1_20scan_config_selectorIfEEZZNS1_9scan_implILNS1_25lookback_scan_determinismE0ELb0ELb0ES3_N6thrust23THRUST_200600_302600_NS6detail15normal_iteratorINS9_10device_ptrIfEEEENS9_16discard_iteratorINS9_11use_defaultEEEfNS9_4plusIvEEfEEDaPvRmT3_T4_T5_mT6_P12ihipStream_tbENKUlT_T0_E_clISt17integral_constantIbLb1EESX_EEDaSS_ST_EUlSS_E0_NS1_11comp_targetILNS1_3genE2ELNS1_11target_archE906ELNS1_3gpuE6ELNS1_3repE0EEENS1_30default_config_static_selectorELNS0_4arch9wavefront6targetE1EEEvT1_,comdat
.Lfunc_end5037:
	.size	_ZN7rocprim17ROCPRIM_400000_NS6detail17trampoline_kernelINS0_14default_configENS1_20scan_config_selectorIfEEZZNS1_9scan_implILNS1_25lookback_scan_determinismE0ELb0ELb0ES3_N6thrust23THRUST_200600_302600_NS6detail15normal_iteratorINS9_10device_ptrIfEEEENS9_16discard_iteratorINS9_11use_defaultEEEfNS9_4plusIvEEfEEDaPvRmT3_T4_T5_mT6_P12ihipStream_tbENKUlT_T0_E_clISt17integral_constantIbLb1EESX_EEDaSS_ST_EUlSS_E0_NS1_11comp_targetILNS1_3genE2ELNS1_11target_archE906ELNS1_3gpuE6ELNS1_3repE0EEENS1_30default_config_static_selectorELNS0_4arch9wavefront6targetE1EEEvT1_, .Lfunc_end5037-_ZN7rocprim17ROCPRIM_400000_NS6detail17trampoline_kernelINS0_14default_configENS1_20scan_config_selectorIfEEZZNS1_9scan_implILNS1_25lookback_scan_determinismE0ELb0ELb0ES3_N6thrust23THRUST_200600_302600_NS6detail15normal_iteratorINS9_10device_ptrIfEEEENS9_16discard_iteratorINS9_11use_defaultEEEfNS9_4plusIvEEfEEDaPvRmT3_T4_T5_mT6_P12ihipStream_tbENKUlT_T0_E_clISt17integral_constantIbLb1EESX_EEDaSS_ST_EUlSS_E0_NS1_11comp_targetILNS1_3genE2ELNS1_11target_archE906ELNS1_3gpuE6ELNS1_3repE0EEENS1_30default_config_static_selectorELNS0_4arch9wavefront6targetE1EEEvT1_
                                        ; -- End function
	.section	.AMDGPU.csdata,"",@progbits
; Kernel info:
; codeLenInByte = 0
; NumSgprs: 4
; NumVgprs: 0
; NumAgprs: 0
; TotalNumVgprs: 0
; ScratchSize: 0
; MemoryBound: 0
; FloatMode: 240
; IeeeMode: 1
; LDSByteSize: 0 bytes/workgroup (compile time only)
; SGPRBlocks: 0
; VGPRBlocks: 0
; NumSGPRsForWavesPerEU: 4
; NumVGPRsForWavesPerEU: 1
; AccumOffset: 4
; Occupancy: 8
; WaveLimiterHint : 0
; COMPUTE_PGM_RSRC2:SCRATCH_EN: 0
; COMPUTE_PGM_RSRC2:USER_SGPR: 6
; COMPUTE_PGM_RSRC2:TRAP_HANDLER: 0
; COMPUTE_PGM_RSRC2:TGID_X_EN: 1
; COMPUTE_PGM_RSRC2:TGID_Y_EN: 0
; COMPUTE_PGM_RSRC2:TGID_Z_EN: 0
; COMPUTE_PGM_RSRC2:TIDIG_COMP_CNT: 0
; COMPUTE_PGM_RSRC3_GFX90A:ACCUM_OFFSET: 0
; COMPUTE_PGM_RSRC3_GFX90A:TG_SPLIT: 0
	.section	.text._ZN7rocprim17ROCPRIM_400000_NS6detail17trampoline_kernelINS0_14default_configENS1_20scan_config_selectorIfEEZZNS1_9scan_implILNS1_25lookback_scan_determinismE0ELb0ELb0ES3_N6thrust23THRUST_200600_302600_NS6detail15normal_iteratorINS9_10device_ptrIfEEEENS9_16discard_iteratorINS9_11use_defaultEEEfNS9_4plusIvEEfEEDaPvRmT3_T4_T5_mT6_P12ihipStream_tbENKUlT_T0_E_clISt17integral_constantIbLb1EESX_EEDaSS_ST_EUlSS_E0_NS1_11comp_targetILNS1_3genE10ELNS1_11target_archE1201ELNS1_3gpuE5ELNS1_3repE0EEENS1_30default_config_static_selectorELNS0_4arch9wavefront6targetE1EEEvT1_,"axG",@progbits,_ZN7rocprim17ROCPRIM_400000_NS6detail17trampoline_kernelINS0_14default_configENS1_20scan_config_selectorIfEEZZNS1_9scan_implILNS1_25lookback_scan_determinismE0ELb0ELb0ES3_N6thrust23THRUST_200600_302600_NS6detail15normal_iteratorINS9_10device_ptrIfEEEENS9_16discard_iteratorINS9_11use_defaultEEEfNS9_4plusIvEEfEEDaPvRmT3_T4_T5_mT6_P12ihipStream_tbENKUlT_T0_E_clISt17integral_constantIbLb1EESX_EEDaSS_ST_EUlSS_E0_NS1_11comp_targetILNS1_3genE10ELNS1_11target_archE1201ELNS1_3gpuE5ELNS1_3repE0EEENS1_30default_config_static_selectorELNS0_4arch9wavefront6targetE1EEEvT1_,comdat
	.protected	_ZN7rocprim17ROCPRIM_400000_NS6detail17trampoline_kernelINS0_14default_configENS1_20scan_config_selectorIfEEZZNS1_9scan_implILNS1_25lookback_scan_determinismE0ELb0ELb0ES3_N6thrust23THRUST_200600_302600_NS6detail15normal_iteratorINS9_10device_ptrIfEEEENS9_16discard_iteratorINS9_11use_defaultEEEfNS9_4plusIvEEfEEDaPvRmT3_T4_T5_mT6_P12ihipStream_tbENKUlT_T0_E_clISt17integral_constantIbLb1EESX_EEDaSS_ST_EUlSS_E0_NS1_11comp_targetILNS1_3genE10ELNS1_11target_archE1201ELNS1_3gpuE5ELNS1_3repE0EEENS1_30default_config_static_selectorELNS0_4arch9wavefront6targetE1EEEvT1_ ; -- Begin function _ZN7rocprim17ROCPRIM_400000_NS6detail17trampoline_kernelINS0_14default_configENS1_20scan_config_selectorIfEEZZNS1_9scan_implILNS1_25lookback_scan_determinismE0ELb0ELb0ES3_N6thrust23THRUST_200600_302600_NS6detail15normal_iteratorINS9_10device_ptrIfEEEENS9_16discard_iteratorINS9_11use_defaultEEEfNS9_4plusIvEEfEEDaPvRmT3_T4_T5_mT6_P12ihipStream_tbENKUlT_T0_E_clISt17integral_constantIbLb1EESX_EEDaSS_ST_EUlSS_E0_NS1_11comp_targetILNS1_3genE10ELNS1_11target_archE1201ELNS1_3gpuE5ELNS1_3repE0EEENS1_30default_config_static_selectorELNS0_4arch9wavefront6targetE1EEEvT1_
	.globl	_ZN7rocprim17ROCPRIM_400000_NS6detail17trampoline_kernelINS0_14default_configENS1_20scan_config_selectorIfEEZZNS1_9scan_implILNS1_25lookback_scan_determinismE0ELb0ELb0ES3_N6thrust23THRUST_200600_302600_NS6detail15normal_iteratorINS9_10device_ptrIfEEEENS9_16discard_iteratorINS9_11use_defaultEEEfNS9_4plusIvEEfEEDaPvRmT3_T4_T5_mT6_P12ihipStream_tbENKUlT_T0_E_clISt17integral_constantIbLb1EESX_EEDaSS_ST_EUlSS_E0_NS1_11comp_targetILNS1_3genE10ELNS1_11target_archE1201ELNS1_3gpuE5ELNS1_3repE0EEENS1_30default_config_static_selectorELNS0_4arch9wavefront6targetE1EEEvT1_
	.p2align	8
	.type	_ZN7rocprim17ROCPRIM_400000_NS6detail17trampoline_kernelINS0_14default_configENS1_20scan_config_selectorIfEEZZNS1_9scan_implILNS1_25lookback_scan_determinismE0ELb0ELb0ES3_N6thrust23THRUST_200600_302600_NS6detail15normal_iteratorINS9_10device_ptrIfEEEENS9_16discard_iteratorINS9_11use_defaultEEEfNS9_4plusIvEEfEEDaPvRmT3_T4_T5_mT6_P12ihipStream_tbENKUlT_T0_E_clISt17integral_constantIbLb1EESX_EEDaSS_ST_EUlSS_E0_NS1_11comp_targetILNS1_3genE10ELNS1_11target_archE1201ELNS1_3gpuE5ELNS1_3repE0EEENS1_30default_config_static_selectorELNS0_4arch9wavefront6targetE1EEEvT1_,@function
_ZN7rocprim17ROCPRIM_400000_NS6detail17trampoline_kernelINS0_14default_configENS1_20scan_config_selectorIfEEZZNS1_9scan_implILNS1_25lookback_scan_determinismE0ELb0ELb0ES3_N6thrust23THRUST_200600_302600_NS6detail15normal_iteratorINS9_10device_ptrIfEEEENS9_16discard_iteratorINS9_11use_defaultEEEfNS9_4plusIvEEfEEDaPvRmT3_T4_T5_mT6_P12ihipStream_tbENKUlT_T0_E_clISt17integral_constantIbLb1EESX_EEDaSS_ST_EUlSS_E0_NS1_11comp_targetILNS1_3genE10ELNS1_11target_archE1201ELNS1_3gpuE5ELNS1_3repE0EEENS1_30default_config_static_selectorELNS0_4arch9wavefront6targetE1EEEvT1_: ; @_ZN7rocprim17ROCPRIM_400000_NS6detail17trampoline_kernelINS0_14default_configENS1_20scan_config_selectorIfEEZZNS1_9scan_implILNS1_25lookback_scan_determinismE0ELb0ELb0ES3_N6thrust23THRUST_200600_302600_NS6detail15normal_iteratorINS9_10device_ptrIfEEEENS9_16discard_iteratorINS9_11use_defaultEEEfNS9_4plusIvEEfEEDaPvRmT3_T4_T5_mT6_P12ihipStream_tbENKUlT_T0_E_clISt17integral_constantIbLb1EESX_EEDaSS_ST_EUlSS_E0_NS1_11comp_targetILNS1_3genE10ELNS1_11target_archE1201ELNS1_3gpuE5ELNS1_3repE0EEENS1_30default_config_static_selectorELNS0_4arch9wavefront6targetE1EEEvT1_
; %bb.0:
	.section	.rodata,"a",@progbits
	.p2align	6, 0x0
	.amdhsa_kernel _ZN7rocprim17ROCPRIM_400000_NS6detail17trampoline_kernelINS0_14default_configENS1_20scan_config_selectorIfEEZZNS1_9scan_implILNS1_25lookback_scan_determinismE0ELb0ELb0ES3_N6thrust23THRUST_200600_302600_NS6detail15normal_iteratorINS9_10device_ptrIfEEEENS9_16discard_iteratorINS9_11use_defaultEEEfNS9_4plusIvEEfEEDaPvRmT3_T4_T5_mT6_P12ihipStream_tbENKUlT_T0_E_clISt17integral_constantIbLb1EESX_EEDaSS_ST_EUlSS_E0_NS1_11comp_targetILNS1_3genE10ELNS1_11target_archE1201ELNS1_3gpuE5ELNS1_3repE0EEENS1_30default_config_static_selectorELNS0_4arch9wavefront6targetE1EEEvT1_
		.amdhsa_group_segment_fixed_size 0
		.amdhsa_private_segment_fixed_size 0
		.amdhsa_kernarg_size 40
		.amdhsa_user_sgpr_count 6
		.amdhsa_user_sgpr_private_segment_buffer 1
		.amdhsa_user_sgpr_dispatch_ptr 0
		.amdhsa_user_sgpr_queue_ptr 0
		.amdhsa_user_sgpr_kernarg_segment_ptr 1
		.amdhsa_user_sgpr_dispatch_id 0
		.amdhsa_user_sgpr_flat_scratch_init 0
		.amdhsa_user_sgpr_kernarg_preload_length 0
		.amdhsa_user_sgpr_kernarg_preload_offset 0
		.amdhsa_user_sgpr_private_segment_size 0
		.amdhsa_uses_dynamic_stack 0
		.amdhsa_system_sgpr_private_segment_wavefront_offset 0
		.amdhsa_system_sgpr_workgroup_id_x 1
		.amdhsa_system_sgpr_workgroup_id_y 0
		.amdhsa_system_sgpr_workgroup_id_z 0
		.amdhsa_system_sgpr_workgroup_info 0
		.amdhsa_system_vgpr_workitem_id 0
		.amdhsa_next_free_vgpr 1
		.amdhsa_next_free_sgpr 0
		.amdhsa_accum_offset 4
		.amdhsa_reserve_vcc 0
		.amdhsa_reserve_flat_scratch 0
		.amdhsa_float_round_mode_32 0
		.amdhsa_float_round_mode_16_64 0
		.amdhsa_float_denorm_mode_32 3
		.amdhsa_float_denorm_mode_16_64 3
		.amdhsa_dx10_clamp 1
		.amdhsa_ieee_mode 1
		.amdhsa_fp16_overflow 0
		.amdhsa_tg_split 0
		.amdhsa_exception_fp_ieee_invalid_op 0
		.amdhsa_exception_fp_denorm_src 0
		.amdhsa_exception_fp_ieee_div_zero 0
		.amdhsa_exception_fp_ieee_overflow 0
		.amdhsa_exception_fp_ieee_underflow 0
		.amdhsa_exception_fp_ieee_inexact 0
		.amdhsa_exception_int_div_zero 0
	.end_amdhsa_kernel
	.section	.text._ZN7rocprim17ROCPRIM_400000_NS6detail17trampoline_kernelINS0_14default_configENS1_20scan_config_selectorIfEEZZNS1_9scan_implILNS1_25lookback_scan_determinismE0ELb0ELb0ES3_N6thrust23THRUST_200600_302600_NS6detail15normal_iteratorINS9_10device_ptrIfEEEENS9_16discard_iteratorINS9_11use_defaultEEEfNS9_4plusIvEEfEEDaPvRmT3_T4_T5_mT6_P12ihipStream_tbENKUlT_T0_E_clISt17integral_constantIbLb1EESX_EEDaSS_ST_EUlSS_E0_NS1_11comp_targetILNS1_3genE10ELNS1_11target_archE1201ELNS1_3gpuE5ELNS1_3repE0EEENS1_30default_config_static_selectorELNS0_4arch9wavefront6targetE1EEEvT1_,"axG",@progbits,_ZN7rocprim17ROCPRIM_400000_NS6detail17trampoline_kernelINS0_14default_configENS1_20scan_config_selectorIfEEZZNS1_9scan_implILNS1_25lookback_scan_determinismE0ELb0ELb0ES3_N6thrust23THRUST_200600_302600_NS6detail15normal_iteratorINS9_10device_ptrIfEEEENS9_16discard_iteratorINS9_11use_defaultEEEfNS9_4plusIvEEfEEDaPvRmT3_T4_T5_mT6_P12ihipStream_tbENKUlT_T0_E_clISt17integral_constantIbLb1EESX_EEDaSS_ST_EUlSS_E0_NS1_11comp_targetILNS1_3genE10ELNS1_11target_archE1201ELNS1_3gpuE5ELNS1_3repE0EEENS1_30default_config_static_selectorELNS0_4arch9wavefront6targetE1EEEvT1_,comdat
.Lfunc_end5038:
	.size	_ZN7rocprim17ROCPRIM_400000_NS6detail17trampoline_kernelINS0_14default_configENS1_20scan_config_selectorIfEEZZNS1_9scan_implILNS1_25lookback_scan_determinismE0ELb0ELb0ES3_N6thrust23THRUST_200600_302600_NS6detail15normal_iteratorINS9_10device_ptrIfEEEENS9_16discard_iteratorINS9_11use_defaultEEEfNS9_4plusIvEEfEEDaPvRmT3_T4_T5_mT6_P12ihipStream_tbENKUlT_T0_E_clISt17integral_constantIbLb1EESX_EEDaSS_ST_EUlSS_E0_NS1_11comp_targetILNS1_3genE10ELNS1_11target_archE1201ELNS1_3gpuE5ELNS1_3repE0EEENS1_30default_config_static_selectorELNS0_4arch9wavefront6targetE1EEEvT1_, .Lfunc_end5038-_ZN7rocprim17ROCPRIM_400000_NS6detail17trampoline_kernelINS0_14default_configENS1_20scan_config_selectorIfEEZZNS1_9scan_implILNS1_25lookback_scan_determinismE0ELb0ELb0ES3_N6thrust23THRUST_200600_302600_NS6detail15normal_iteratorINS9_10device_ptrIfEEEENS9_16discard_iteratorINS9_11use_defaultEEEfNS9_4plusIvEEfEEDaPvRmT3_T4_T5_mT6_P12ihipStream_tbENKUlT_T0_E_clISt17integral_constantIbLb1EESX_EEDaSS_ST_EUlSS_E0_NS1_11comp_targetILNS1_3genE10ELNS1_11target_archE1201ELNS1_3gpuE5ELNS1_3repE0EEENS1_30default_config_static_selectorELNS0_4arch9wavefront6targetE1EEEvT1_
                                        ; -- End function
	.section	.AMDGPU.csdata,"",@progbits
; Kernel info:
; codeLenInByte = 0
; NumSgprs: 4
; NumVgprs: 0
; NumAgprs: 0
; TotalNumVgprs: 0
; ScratchSize: 0
; MemoryBound: 0
; FloatMode: 240
; IeeeMode: 1
; LDSByteSize: 0 bytes/workgroup (compile time only)
; SGPRBlocks: 0
; VGPRBlocks: 0
; NumSGPRsForWavesPerEU: 4
; NumVGPRsForWavesPerEU: 1
; AccumOffset: 4
; Occupancy: 8
; WaveLimiterHint : 0
; COMPUTE_PGM_RSRC2:SCRATCH_EN: 0
; COMPUTE_PGM_RSRC2:USER_SGPR: 6
; COMPUTE_PGM_RSRC2:TRAP_HANDLER: 0
; COMPUTE_PGM_RSRC2:TGID_X_EN: 1
; COMPUTE_PGM_RSRC2:TGID_Y_EN: 0
; COMPUTE_PGM_RSRC2:TGID_Z_EN: 0
; COMPUTE_PGM_RSRC2:TIDIG_COMP_CNT: 0
; COMPUTE_PGM_RSRC3_GFX90A:ACCUM_OFFSET: 0
; COMPUTE_PGM_RSRC3_GFX90A:TG_SPLIT: 0
	.section	.text._ZN7rocprim17ROCPRIM_400000_NS6detail17trampoline_kernelINS0_14default_configENS1_20scan_config_selectorIfEEZZNS1_9scan_implILNS1_25lookback_scan_determinismE0ELb0ELb0ES3_N6thrust23THRUST_200600_302600_NS6detail15normal_iteratorINS9_10device_ptrIfEEEENS9_16discard_iteratorINS9_11use_defaultEEEfNS9_4plusIvEEfEEDaPvRmT3_T4_T5_mT6_P12ihipStream_tbENKUlT_T0_E_clISt17integral_constantIbLb1EESX_EEDaSS_ST_EUlSS_E0_NS1_11comp_targetILNS1_3genE10ELNS1_11target_archE1200ELNS1_3gpuE4ELNS1_3repE0EEENS1_30default_config_static_selectorELNS0_4arch9wavefront6targetE1EEEvT1_,"axG",@progbits,_ZN7rocprim17ROCPRIM_400000_NS6detail17trampoline_kernelINS0_14default_configENS1_20scan_config_selectorIfEEZZNS1_9scan_implILNS1_25lookback_scan_determinismE0ELb0ELb0ES3_N6thrust23THRUST_200600_302600_NS6detail15normal_iteratorINS9_10device_ptrIfEEEENS9_16discard_iteratorINS9_11use_defaultEEEfNS9_4plusIvEEfEEDaPvRmT3_T4_T5_mT6_P12ihipStream_tbENKUlT_T0_E_clISt17integral_constantIbLb1EESX_EEDaSS_ST_EUlSS_E0_NS1_11comp_targetILNS1_3genE10ELNS1_11target_archE1200ELNS1_3gpuE4ELNS1_3repE0EEENS1_30default_config_static_selectorELNS0_4arch9wavefront6targetE1EEEvT1_,comdat
	.protected	_ZN7rocprim17ROCPRIM_400000_NS6detail17trampoline_kernelINS0_14default_configENS1_20scan_config_selectorIfEEZZNS1_9scan_implILNS1_25lookback_scan_determinismE0ELb0ELb0ES3_N6thrust23THRUST_200600_302600_NS6detail15normal_iteratorINS9_10device_ptrIfEEEENS9_16discard_iteratorINS9_11use_defaultEEEfNS9_4plusIvEEfEEDaPvRmT3_T4_T5_mT6_P12ihipStream_tbENKUlT_T0_E_clISt17integral_constantIbLb1EESX_EEDaSS_ST_EUlSS_E0_NS1_11comp_targetILNS1_3genE10ELNS1_11target_archE1200ELNS1_3gpuE4ELNS1_3repE0EEENS1_30default_config_static_selectorELNS0_4arch9wavefront6targetE1EEEvT1_ ; -- Begin function _ZN7rocprim17ROCPRIM_400000_NS6detail17trampoline_kernelINS0_14default_configENS1_20scan_config_selectorIfEEZZNS1_9scan_implILNS1_25lookback_scan_determinismE0ELb0ELb0ES3_N6thrust23THRUST_200600_302600_NS6detail15normal_iteratorINS9_10device_ptrIfEEEENS9_16discard_iteratorINS9_11use_defaultEEEfNS9_4plusIvEEfEEDaPvRmT3_T4_T5_mT6_P12ihipStream_tbENKUlT_T0_E_clISt17integral_constantIbLb1EESX_EEDaSS_ST_EUlSS_E0_NS1_11comp_targetILNS1_3genE10ELNS1_11target_archE1200ELNS1_3gpuE4ELNS1_3repE0EEENS1_30default_config_static_selectorELNS0_4arch9wavefront6targetE1EEEvT1_
	.globl	_ZN7rocprim17ROCPRIM_400000_NS6detail17trampoline_kernelINS0_14default_configENS1_20scan_config_selectorIfEEZZNS1_9scan_implILNS1_25lookback_scan_determinismE0ELb0ELb0ES3_N6thrust23THRUST_200600_302600_NS6detail15normal_iteratorINS9_10device_ptrIfEEEENS9_16discard_iteratorINS9_11use_defaultEEEfNS9_4plusIvEEfEEDaPvRmT3_T4_T5_mT6_P12ihipStream_tbENKUlT_T0_E_clISt17integral_constantIbLb1EESX_EEDaSS_ST_EUlSS_E0_NS1_11comp_targetILNS1_3genE10ELNS1_11target_archE1200ELNS1_3gpuE4ELNS1_3repE0EEENS1_30default_config_static_selectorELNS0_4arch9wavefront6targetE1EEEvT1_
	.p2align	8
	.type	_ZN7rocprim17ROCPRIM_400000_NS6detail17trampoline_kernelINS0_14default_configENS1_20scan_config_selectorIfEEZZNS1_9scan_implILNS1_25lookback_scan_determinismE0ELb0ELb0ES3_N6thrust23THRUST_200600_302600_NS6detail15normal_iteratorINS9_10device_ptrIfEEEENS9_16discard_iteratorINS9_11use_defaultEEEfNS9_4plusIvEEfEEDaPvRmT3_T4_T5_mT6_P12ihipStream_tbENKUlT_T0_E_clISt17integral_constantIbLb1EESX_EEDaSS_ST_EUlSS_E0_NS1_11comp_targetILNS1_3genE10ELNS1_11target_archE1200ELNS1_3gpuE4ELNS1_3repE0EEENS1_30default_config_static_selectorELNS0_4arch9wavefront6targetE1EEEvT1_,@function
_ZN7rocprim17ROCPRIM_400000_NS6detail17trampoline_kernelINS0_14default_configENS1_20scan_config_selectorIfEEZZNS1_9scan_implILNS1_25lookback_scan_determinismE0ELb0ELb0ES3_N6thrust23THRUST_200600_302600_NS6detail15normal_iteratorINS9_10device_ptrIfEEEENS9_16discard_iteratorINS9_11use_defaultEEEfNS9_4plusIvEEfEEDaPvRmT3_T4_T5_mT6_P12ihipStream_tbENKUlT_T0_E_clISt17integral_constantIbLb1EESX_EEDaSS_ST_EUlSS_E0_NS1_11comp_targetILNS1_3genE10ELNS1_11target_archE1200ELNS1_3gpuE4ELNS1_3repE0EEENS1_30default_config_static_selectorELNS0_4arch9wavefront6targetE1EEEvT1_: ; @_ZN7rocprim17ROCPRIM_400000_NS6detail17trampoline_kernelINS0_14default_configENS1_20scan_config_selectorIfEEZZNS1_9scan_implILNS1_25lookback_scan_determinismE0ELb0ELb0ES3_N6thrust23THRUST_200600_302600_NS6detail15normal_iteratorINS9_10device_ptrIfEEEENS9_16discard_iteratorINS9_11use_defaultEEEfNS9_4plusIvEEfEEDaPvRmT3_T4_T5_mT6_P12ihipStream_tbENKUlT_T0_E_clISt17integral_constantIbLb1EESX_EEDaSS_ST_EUlSS_E0_NS1_11comp_targetILNS1_3genE10ELNS1_11target_archE1200ELNS1_3gpuE4ELNS1_3repE0EEENS1_30default_config_static_selectorELNS0_4arch9wavefront6targetE1EEEvT1_
; %bb.0:
	.section	.rodata,"a",@progbits
	.p2align	6, 0x0
	.amdhsa_kernel _ZN7rocprim17ROCPRIM_400000_NS6detail17trampoline_kernelINS0_14default_configENS1_20scan_config_selectorIfEEZZNS1_9scan_implILNS1_25lookback_scan_determinismE0ELb0ELb0ES3_N6thrust23THRUST_200600_302600_NS6detail15normal_iteratorINS9_10device_ptrIfEEEENS9_16discard_iteratorINS9_11use_defaultEEEfNS9_4plusIvEEfEEDaPvRmT3_T4_T5_mT6_P12ihipStream_tbENKUlT_T0_E_clISt17integral_constantIbLb1EESX_EEDaSS_ST_EUlSS_E0_NS1_11comp_targetILNS1_3genE10ELNS1_11target_archE1200ELNS1_3gpuE4ELNS1_3repE0EEENS1_30default_config_static_selectorELNS0_4arch9wavefront6targetE1EEEvT1_
		.amdhsa_group_segment_fixed_size 0
		.amdhsa_private_segment_fixed_size 0
		.amdhsa_kernarg_size 40
		.amdhsa_user_sgpr_count 6
		.amdhsa_user_sgpr_private_segment_buffer 1
		.amdhsa_user_sgpr_dispatch_ptr 0
		.amdhsa_user_sgpr_queue_ptr 0
		.amdhsa_user_sgpr_kernarg_segment_ptr 1
		.amdhsa_user_sgpr_dispatch_id 0
		.amdhsa_user_sgpr_flat_scratch_init 0
		.amdhsa_user_sgpr_kernarg_preload_length 0
		.amdhsa_user_sgpr_kernarg_preload_offset 0
		.amdhsa_user_sgpr_private_segment_size 0
		.amdhsa_uses_dynamic_stack 0
		.amdhsa_system_sgpr_private_segment_wavefront_offset 0
		.amdhsa_system_sgpr_workgroup_id_x 1
		.amdhsa_system_sgpr_workgroup_id_y 0
		.amdhsa_system_sgpr_workgroup_id_z 0
		.amdhsa_system_sgpr_workgroup_info 0
		.amdhsa_system_vgpr_workitem_id 0
		.amdhsa_next_free_vgpr 1
		.amdhsa_next_free_sgpr 0
		.amdhsa_accum_offset 4
		.amdhsa_reserve_vcc 0
		.amdhsa_reserve_flat_scratch 0
		.amdhsa_float_round_mode_32 0
		.amdhsa_float_round_mode_16_64 0
		.amdhsa_float_denorm_mode_32 3
		.amdhsa_float_denorm_mode_16_64 3
		.amdhsa_dx10_clamp 1
		.amdhsa_ieee_mode 1
		.amdhsa_fp16_overflow 0
		.amdhsa_tg_split 0
		.amdhsa_exception_fp_ieee_invalid_op 0
		.amdhsa_exception_fp_denorm_src 0
		.amdhsa_exception_fp_ieee_div_zero 0
		.amdhsa_exception_fp_ieee_overflow 0
		.amdhsa_exception_fp_ieee_underflow 0
		.amdhsa_exception_fp_ieee_inexact 0
		.amdhsa_exception_int_div_zero 0
	.end_amdhsa_kernel
	.section	.text._ZN7rocprim17ROCPRIM_400000_NS6detail17trampoline_kernelINS0_14default_configENS1_20scan_config_selectorIfEEZZNS1_9scan_implILNS1_25lookback_scan_determinismE0ELb0ELb0ES3_N6thrust23THRUST_200600_302600_NS6detail15normal_iteratorINS9_10device_ptrIfEEEENS9_16discard_iteratorINS9_11use_defaultEEEfNS9_4plusIvEEfEEDaPvRmT3_T4_T5_mT6_P12ihipStream_tbENKUlT_T0_E_clISt17integral_constantIbLb1EESX_EEDaSS_ST_EUlSS_E0_NS1_11comp_targetILNS1_3genE10ELNS1_11target_archE1200ELNS1_3gpuE4ELNS1_3repE0EEENS1_30default_config_static_selectorELNS0_4arch9wavefront6targetE1EEEvT1_,"axG",@progbits,_ZN7rocprim17ROCPRIM_400000_NS6detail17trampoline_kernelINS0_14default_configENS1_20scan_config_selectorIfEEZZNS1_9scan_implILNS1_25lookback_scan_determinismE0ELb0ELb0ES3_N6thrust23THRUST_200600_302600_NS6detail15normal_iteratorINS9_10device_ptrIfEEEENS9_16discard_iteratorINS9_11use_defaultEEEfNS9_4plusIvEEfEEDaPvRmT3_T4_T5_mT6_P12ihipStream_tbENKUlT_T0_E_clISt17integral_constantIbLb1EESX_EEDaSS_ST_EUlSS_E0_NS1_11comp_targetILNS1_3genE10ELNS1_11target_archE1200ELNS1_3gpuE4ELNS1_3repE0EEENS1_30default_config_static_selectorELNS0_4arch9wavefront6targetE1EEEvT1_,comdat
.Lfunc_end5039:
	.size	_ZN7rocprim17ROCPRIM_400000_NS6detail17trampoline_kernelINS0_14default_configENS1_20scan_config_selectorIfEEZZNS1_9scan_implILNS1_25lookback_scan_determinismE0ELb0ELb0ES3_N6thrust23THRUST_200600_302600_NS6detail15normal_iteratorINS9_10device_ptrIfEEEENS9_16discard_iteratorINS9_11use_defaultEEEfNS9_4plusIvEEfEEDaPvRmT3_T4_T5_mT6_P12ihipStream_tbENKUlT_T0_E_clISt17integral_constantIbLb1EESX_EEDaSS_ST_EUlSS_E0_NS1_11comp_targetILNS1_3genE10ELNS1_11target_archE1200ELNS1_3gpuE4ELNS1_3repE0EEENS1_30default_config_static_selectorELNS0_4arch9wavefront6targetE1EEEvT1_, .Lfunc_end5039-_ZN7rocprim17ROCPRIM_400000_NS6detail17trampoline_kernelINS0_14default_configENS1_20scan_config_selectorIfEEZZNS1_9scan_implILNS1_25lookback_scan_determinismE0ELb0ELb0ES3_N6thrust23THRUST_200600_302600_NS6detail15normal_iteratorINS9_10device_ptrIfEEEENS9_16discard_iteratorINS9_11use_defaultEEEfNS9_4plusIvEEfEEDaPvRmT3_T4_T5_mT6_P12ihipStream_tbENKUlT_T0_E_clISt17integral_constantIbLb1EESX_EEDaSS_ST_EUlSS_E0_NS1_11comp_targetILNS1_3genE10ELNS1_11target_archE1200ELNS1_3gpuE4ELNS1_3repE0EEENS1_30default_config_static_selectorELNS0_4arch9wavefront6targetE1EEEvT1_
                                        ; -- End function
	.section	.AMDGPU.csdata,"",@progbits
; Kernel info:
; codeLenInByte = 0
; NumSgprs: 4
; NumVgprs: 0
; NumAgprs: 0
; TotalNumVgprs: 0
; ScratchSize: 0
; MemoryBound: 0
; FloatMode: 240
; IeeeMode: 1
; LDSByteSize: 0 bytes/workgroup (compile time only)
; SGPRBlocks: 0
; VGPRBlocks: 0
; NumSGPRsForWavesPerEU: 4
; NumVGPRsForWavesPerEU: 1
; AccumOffset: 4
; Occupancy: 8
; WaveLimiterHint : 0
; COMPUTE_PGM_RSRC2:SCRATCH_EN: 0
; COMPUTE_PGM_RSRC2:USER_SGPR: 6
; COMPUTE_PGM_RSRC2:TRAP_HANDLER: 0
; COMPUTE_PGM_RSRC2:TGID_X_EN: 1
; COMPUTE_PGM_RSRC2:TGID_Y_EN: 0
; COMPUTE_PGM_RSRC2:TGID_Z_EN: 0
; COMPUTE_PGM_RSRC2:TIDIG_COMP_CNT: 0
; COMPUTE_PGM_RSRC3_GFX90A:ACCUM_OFFSET: 0
; COMPUTE_PGM_RSRC3_GFX90A:TG_SPLIT: 0
	.section	.text._ZN7rocprim17ROCPRIM_400000_NS6detail17trampoline_kernelINS0_14default_configENS1_20scan_config_selectorIfEEZZNS1_9scan_implILNS1_25lookback_scan_determinismE0ELb0ELb0ES3_N6thrust23THRUST_200600_302600_NS6detail15normal_iteratorINS9_10device_ptrIfEEEENS9_16discard_iteratorINS9_11use_defaultEEEfNS9_4plusIvEEfEEDaPvRmT3_T4_T5_mT6_P12ihipStream_tbENKUlT_T0_E_clISt17integral_constantIbLb1EESX_EEDaSS_ST_EUlSS_E0_NS1_11comp_targetILNS1_3genE9ELNS1_11target_archE1100ELNS1_3gpuE3ELNS1_3repE0EEENS1_30default_config_static_selectorELNS0_4arch9wavefront6targetE1EEEvT1_,"axG",@progbits,_ZN7rocprim17ROCPRIM_400000_NS6detail17trampoline_kernelINS0_14default_configENS1_20scan_config_selectorIfEEZZNS1_9scan_implILNS1_25lookback_scan_determinismE0ELb0ELb0ES3_N6thrust23THRUST_200600_302600_NS6detail15normal_iteratorINS9_10device_ptrIfEEEENS9_16discard_iteratorINS9_11use_defaultEEEfNS9_4plusIvEEfEEDaPvRmT3_T4_T5_mT6_P12ihipStream_tbENKUlT_T0_E_clISt17integral_constantIbLb1EESX_EEDaSS_ST_EUlSS_E0_NS1_11comp_targetILNS1_3genE9ELNS1_11target_archE1100ELNS1_3gpuE3ELNS1_3repE0EEENS1_30default_config_static_selectorELNS0_4arch9wavefront6targetE1EEEvT1_,comdat
	.protected	_ZN7rocprim17ROCPRIM_400000_NS6detail17trampoline_kernelINS0_14default_configENS1_20scan_config_selectorIfEEZZNS1_9scan_implILNS1_25lookback_scan_determinismE0ELb0ELb0ES3_N6thrust23THRUST_200600_302600_NS6detail15normal_iteratorINS9_10device_ptrIfEEEENS9_16discard_iteratorINS9_11use_defaultEEEfNS9_4plusIvEEfEEDaPvRmT3_T4_T5_mT6_P12ihipStream_tbENKUlT_T0_E_clISt17integral_constantIbLb1EESX_EEDaSS_ST_EUlSS_E0_NS1_11comp_targetILNS1_3genE9ELNS1_11target_archE1100ELNS1_3gpuE3ELNS1_3repE0EEENS1_30default_config_static_selectorELNS0_4arch9wavefront6targetE1EEEvT1_ ; -- Begin function _ZN7rocprim17ROCPRIM_400000_NS6detail17trampoline_kernelINS0_14default_configENS1_20scan_config_selectorIfEEZZNS1_9scan_implILNS1_25lookback_scan_determinismE0ELb0ELb0ES3_N6thrust23THRUST_200600_302600_NS6detail15normal_iteratorINS9_10device_ptrIfEEEENS9_16discard_iteratorINS9_11use_defaultEEEfNS9_4plusIvEEfEEDaPvRmT3_T4_T5_mT6_P12ihipStream_tbENKUlT_T0_E_clISt17integral_constantIbLb1EESX_EEDaSS_ST_EUlSS_E0_NS1_11comp_targetILNS1_3genE9ELNS1_11target_archE1100ELNS1_3gpuE3ELNS1_3repE0EEENS1_30default_config_static_selectorELNS0_4arch9wavefront6targetE1EEEvT1_
	.globl	_ZN7rocprim17ROCPRIM_400000_NS6detail17trampoline_kernelINS0_14default_configENS1_20scan_config_selectorIfEEZZNS1_9scan_implILNS1_25lookback_scan_determinismE0ELb0ELb0ES3_N6thrust23THRUST_200600_302600_NS6detail15normal_iteratorINS9_10device_ptrIfEEEENS9_16discard_iteratorINS9_11use_defaultEEEfNS9_4plusIvEEfEEDaPvRmT3_T4_T5_mT6_P12ihipStream_tbENKUlT_T0_E_clISt17integral_constantIbLb1EESX_EEDaSS_ST_EUlSS_E0_NS1_11comp_targetILNS1_3genE9ELNS1_11target_archE1100ELNS1_3gpuE3ELNS1_3repE0EEENS1_30default_config_static_selectorELNS0_4arch9wavefront6targetE1EEEvT1_
	.p2align	8
	.type	_ZN7rocprim17ROCPRIM_400000_NS6detail17trampoline_kernelINS0_14default_configENS1_20scan_config_selectorIfEEZZNS1_9scan_implILNS1_25lookback_scan_determinismE0ELb0ELb0ES3_N6thrust23THRUST_200600_302600_NS6detail15normal_iteratorINS9_10device_ptrIfEEEENS9_16discard_iteratorINS9_11use_defaultEEEfNS9_4plusIvEEfEEDaPvRmT3_T4_T5_mT6_P12ihipStream_tbENKUlT_T0_E_clISt17integral_constantIbLb1EESX_EEDaSS_ST_EUlSS_E0_NS1_11comp_targetILNS1_3genE9ELNS1_11target_archE1100ELNS1_3gpuE3ELNS1_3repE0EEENS1_30default_config_static_selectorELNS0_4arch9wavefront6targetE1EEEvT1_,@function
_ZN7rocprim17ROCPRIM_400000_NS6detail17trampoline_kernelINS0_14default_configENS1_20scan_config_selectorIfEEZZNS1_9scan_implILNS1_25lookback_scan_determinismE0ELb0ELb0ES3_N6thrust23THRUST_200600_302600_NS6detail15normal_iteratorINS9_10device_ptrIfEEEENS9_16discard_iteratorINS9_11use_defaultEEEfNS9_4plusIvEEfEEDaPvRmT3_T4_T5_mT6_P12ihipStream_tbENKUlT_T0_E_clISt17integral_constantIbLb1EESX_EEDaSS_ST_EUlSS_E0_NS1_11comp_targetILNS1_3genE9ELNS1_11target_archE1100ELNS1_3gpuE3ELNS1_3repE0EEENS1_30default_config_static_selectorELNS0_4arch9wavefront6targetE1EEEvT1_: ; @_ZN7rocprim17ROCPRIM_400000_NS6detail17trampoline_kernelINS0_14default_configENS1_20scan_config_selectorIfEEZZNS1_9scan_implILNS1_25lookback_scan_determinismE0ELb0ELb0ES3_N6thrust23THRUST_200600_302600_NS6detail15normal_iteratorINS9_10device_ptrIfEEEENS9_16discard_iteratorINS9_11use_defaultEEEfNS9_4plusIvEEfEEDaPvRmT3_T4_T5_mT6_P12ihipStream_tbENKUlT_T0_E_clISt17integral_constantIbLb1EESX_EEDaSS_ST_EUlSS_E0_NS1_11comp_targetILNS1_3genE9ELNS1_11target_archE1100ELNS1_3gpuE3ELNS1_3repE0EEENS1_30default_config_static_selectorELNS0_4arch9wavefront6targetE1EEEvT1_
; %bb.0:
	.section	.rodata,"a",@progbits
	.p2align	6, 0x0
	.amdhsa_kernel _ZN7rocprim17ROCPRIM_400000_NS6detail17trampoline_kernelINS0_14default_configENS1_20scan_config_selectorIfEEZZNS1_9scan_implILNS1_25lookback_scan_determinismE0ELb0ELb0ES3_N6thrust23THRUST_200600_302600_NS6detail15normal_iteratorINS9_10device_ptrIfEEEENS9_16discard_iteratorINS9_11use_defaultEEEfNS9_4plusIvEEfEEDaPvRmT3_T4_T5_mT6_P12ihipStream_tbENKUlT_T0_E_clISt17integral_constantIbLb1EESX_EEDaSS_ST_EUlSS_E0_NS1_11comp_targetILNS1_3genE9ELNS1_11target_archE1100ELNS1_3gpuE3ELNS1_3repE0EEENS1_30default_config_static_selectorELNS0_4arch9wavefront6targetE1EEEvT1_
		.amdhsa_group_segment_fixed_size 0
		.amdhsa_private_segment_fixed_size 0
		.amdhsa_kernarg_size 40
		.amdhsa_user_sgpr_count 6
		.amdhsa_user_sgpr_private_segment_buffer 1
		.amdhsa_user_sgpr_dispatch_ptr 0
		.amdhsa_user_sgpr_queue_ptr 0
		.amdhsa_user_sgpr_kernarg_segment_ptr 1
		.amdhsa_user_sgpr_dispatch_id 0
		.amdhsa_user_sgpr_flat_scratch_init 0
		.amdhsa_user_sgpr_kernarg_preload_length 0
		.amdhsa_user_sgpr_kernarg_preload_offset 0
		.amdhsa_user_sgpr_private_segment_size 0
		.amdhsa_uses_dynamic_stack 0
		.amdhsa_system_sgpr_private_segment_wavefront_offset 0
		.amdhsa_system_sgpr_workgroup_id_x 1
		.amdhsa_system_sgpr_workgroup_id_y 0
		.amdhsa_system_sgpr_workgroup_id_z 0
		.amdhsa_system_sgpr_workgroup_info 0
		.amdhsa_system_vgpr_workitem_id 0
		.amdhsa_next_free_vgpr 1
		.amdhsa_next_free_sgpr 0
		.amdhsa_accum_offset 4
		.amdhsa_reserve_vcc 0
		.amdhsa_reserve_flat_scratch 0
		.amdhsa_float_round_mode_32 0
		.amdhsa_float_round_mode_16_64 0
		.amdhsa_float_denorm_mode_32 3
		.amdhsa_float_denorm_mode_16_64 3
		.amdhsa_dx10_clamp 1
		.amdhsa_ieee_mode 1
		.amdhsa_fp16_overflow 0
		.amdhsa_tg_split 0
		.amdhsa_exception_fp_ieee_invalid_op 0
		.amdhsa_exception_fp_denorm_src 0
		.amdhsa_exception_fp_ieee_div_zero 0
		.amdhsa_exception_fp_ieee_overflow 0
		.amdhsa_exception_fp_ieee_underflow 0
		.amdhsa_exception_fp_ieee_inexact 0
		.amdhsa_exception_int_div_zero 0
	.end_amdhsa_kernel
	.section	.text._ZN7rocprim17ROCPRIM_400000_NS6detail17trampoline_kernelINS0_14default_configENS1_20scan_config_selectorIfEEZZNS1_9scan_implILNS1_25lookback_scan_determinismE0ELb0ELb0ES3_N6thrust23THRUST_200600_302600_NS6detail15normal_iteratorINS9_10device_ptrIfEEEENS9_16discard_iteratorINS9_11use_defaultEEEfNS9_4plusIvEEfEEDaPvRmT3_T4_T5_mT6_P12ihipStream_tbENKUlT_T0_E_clISt17integral_constantIbLb1EESX_EEDaSS_ST_EUlSS_E0_NS1_11comp_targetILNS1_3genE9ELNS1_11target_archE1100ELNS1_3gpuE3ELNS1_3repE0EEENS1_30default_config_static_selectorELNS0_4arch9wavefront6targetE1EEEvT1_,"axG",@progbits,_ZN7rocprim17ROCPRIM_400000_NS6detail17trampoline_kernelINS0_14default_configENS1_20scan_config_selectorIfEEZZNS1_9scan_implILNS1_25lookback_scan_determinismE0ELb0ELb0ES3_N6thrust23THRUST_200600_302600_NS6detail15normal_iteratorINS9_10device_ptrIfEEEENS9_16discard_iteratorINS9_11use_defaultEEEfNS9_4plusIvEEfEEDaPvRmT3_T4_T5_mT6_P12ihipStream_tbENKUlT_T0_E_clISt17integral_constantIbLb1EESX_EEDaSS_ST_EUlSS_E0_NS1_11comp_targetILNS1_3genE9ELNS1_11target_archE1100ELNS1_3gpuE3ELNS1_3repE0EEENS1_30default_config_static_selectorELNS0_4arch9wavefront6targetE1EEEvT1_,comdat
.Lfunc_end5040:
	.size	_ZN7rocprim17ROCPRIM_400000_NS6detail17trampoline_kernelINS0_14default_configENS1_20scan_config_selectorIfEEZZNS1_9scan_implILNS1_25lookback_scan_determinismE0ELb0ELb0ES3_N6thrust23THRUST_200600_302600_NS6detail15normal_iteratorINS9_10device_ptrIfEEEENS9_16discard_iteratorINS9_11use_defaultEEEfNS9_4plusIvEEfEEDaPvRmT3_T4_T5_mT6_P12ihipStream_tbENKUlT_T0_E_clISt17integral_constantIbLb1EESX_EEDaSS_ST_EUlSS_E0_NS1_11comp_targetILNS1_3genE9ELNS1_11target_archE1100ELNS1_3gpuE3ELNS1_3repE0EEENS1_30default_config_static_selectorELNS0_4arch9wavefront6targetE1EEEvT1_, .Lfunc_end5040-_ZN7rocprim17ROCPRIM_400000_NS6detail17trampoline_kernelINS0_14default_configENS1_20scan_config_selectorIfEEZZNS1_9scan_implILNS1_25lookback_scan_determinismE0ELb0ELb0ES3_N6thrust23THRUST_200600_302600_NS6detail15normal_iteratorINS9_10device_ptrIfEEEENS9_16discard_iteratorINS9_11use_defaultEEEfNS9_4plusIvEEfEEDaPvRmT3_T4_T5_mT6_P12ihipStream_tbENKUlT_T0_E_clISt17integral_constantIbLb1EESX_EEDaSS_ST_EUlSS_E0_NS1_11comp_targetILNS1_3genE9ELNS1_11target_archE1100ELNS1_3gpuE3ELNS1_3repE0EEENS1_30default_config_static_selectorELNS0_4arch9wavefront6targetE1EEEvT1_
                                        ; -- End function
	.section	.AMDGPU.csdata,"",@progbits
; Kernel info:
; codeLenInByte = 0
; NumSgprs: 4
; NumVgprs: 0
; NumAgprs: 0
; TotalNumVgprs: 0
; ScratchSize: 0
; MemoryBound: 0
; FloatMode: 240
; IeeeMode: 1
; LDSByteSize: 0 bytes/workgroup (compile time only)
; SGPRBlocks: 0
; VGPRBlocks: 0
; NumSGPRsForWavesPerEU: 4
; NumVGPRsForWavesPerEU: 1
; AccumOffset: 4
; Occupancy: 8
; WaveLimiterHint : 0
; COMPUTE_PGM_RSRC2:SCRATCH_EN: 0
; COMPUTE_PGM_RSRC2:USER_SGPR: 6
; COMPUTE_PGM_RSRC2:TRAP_HANDLER: 0
; COMPUTE_PGM_RSRC2:TGID_X_EN: 1
; COMPUTE_PGM_RSRC2:TGID_Y_EN: 0
; COMPUTE_PGM_RSRC2:TGID_Z_EN: 0
; COMPUTE_PGM_RSRC2:TIDIG_COMP_CNT: 0
; COMPUTE_PGM_RSRC3_GFX90A:ACCUM_OFFSET: 0
; COMPUTE_PGM_RSRC3_GFX90A:TG_SPLIT: 0
	.section	.text._ZN7rocprim17ROCPRIM_400000_NS6detail17trampoline_kernelINS0_14default_configENS1_20scan_config_selectorIfEEZZNS1_9scan_implILNS1_25lookback_scan_determinismE0ELb0ELb0ES3_N6thrust23THRUST_200600_302600_NS6detail15normal_iteratorINS9_10device_ptrIfEEEENS9_16discard_iteratorINS9_11use_defaultEEEfNS9_4plusIvEEfEEDaPvRmT3_T4_T5_mT6_P12ihipStream_tbENKUlT_T0_E_clISt17integral_constantIbLb1EESX_EEDaSS_ST_EUlSS_E0_NS1_11comp_targetILNS1_3genE8ELNS1_11target_archE1030ELNS1_3gpuE2ELNS1_3repE0EEENS1_30default_config_static_selectorELNS0_4arch9wavefront6targetE1EEEvT1_,"axG",@progbits,_ZN7rocprim17ROCPRIM_400000_NS6detail17trampoline_kernelINS0_14default_configENS1_20scan_config_selectorIfEEZZNS1_9scan_implILNS1_25lookback_scan_determinismE0ELb0ELb0ES3_N6thrust23THRUST_200600_302600_NS6detail15normal_iteratorINS9_10device_ptrIfEEEENS9_16discard_iteratorINS9_11use_defaultEEEfNS9_4plusIvEEfEEDaPvRmT3_T4_T5_mT6_P12ihipStream_tbENKUlT_T0_E_clISt17integral_constantIbLb1EESX_EEDaSS_ST_EUlSS_E0_NS1_11comp_targetILNS1_3genE8ELNS1_11target_archE1030ELNS1_3gpuE2ELNS1_3repE0EEENS1_30default_config_static_selectorELNS0_4arch9wavefront6targetE1EEEvT1_,comdat
	.protected	_ZN7rocprim17ROCPRIM_400000_NS6detail17trampoline_kernelINS0_14default_configENS1_20scan_config_selectorIfEEZZNS1_9scan_implILNS1_25lookback_scan_determinismE0ELb0ELb0ES3_N6thrust23THRUST_200600_302600_NS6detail15normal_iteratorINS9_10device_ptrIfEEEENS9_16discard_iteratorINS9_11use_defaultEEEfNS9_4plusIvEEfEEDaPvRmT3_T4_T5_mT6_P12ihipStream_tbENKUlT_T0_E_clISt17integral_constantIbLb1EESX_EEDaSS_ST_EUlSS_E0_NS1_11comp_targetILNS1_3genE8ELNS1_11target_archE1030ELNS1_3gpuE2ELNS1_3repE0EEENS1_30default_config_static_selectorELNS0_4arch9wavefront6targetE1EEEvT1_ ; -- Begin function _ZN7rocprim17ROCPRIM_400000_NS6detail17trampoline_kernelINS0_14default_configENS1_20scan_config_selectorIfEEZZNS1_9scan_implILNS1_25lookback_scan_determinismE0ELb0ELb0ES3_N6thrust23THRUST_200600_302600_NS6detail15normal_iteratorINS9_10device_ptrIfEEEENS9_16discard_iteratorINS9_11use_defaultEEEfNS9_4plusIvEEfEEDaPvRmT3_T4_T5_mT6_P12ihipStream_tbENKUlT_T0_E_clISt17integral_constantIbLb1EESX_EEDaSS_ST_EUlSS_E0_NS1_11comp_targetILNS1_3genE8ELNS1_11target_archE1030ELNS1_3gpuE2ELNS1_3repE0EEENS1_30default_config_static_selectorELNS0_4arch9wavefront6targetE1EEEvT1_
	.globl	_ZN7rocprim17ROCPRIM_400000_NS6detail17trampoline_kernelINS0_14default_configENS1_20scan_config_selectorIfEEZZNS1_9scan_implILNS1_25lookback_scan_determinismE0ELb0ELb0ES3_N6thrust23THRUST_200600_302600_NS6detail15normal_iteratorINS9_10device_ptrIfEEEENS9_16discard_iteratorINS9_11use_defaultEEEfNS9_4plusIvEEfEEDaPvRmT3_T4_T5_mT6_P12ihipStream_tbENKUlT_T0_E_clISt17integral_constantIbLb1EESX_EEDaSS_ST_EUlSS_E0_NS1_11comp_targetILNS1_3genE8ELNS1_11target_archE1030ELNS1_3gpuE2ELNS1_3repE0EEENS1_30default_config_static_selectorELNS0_4arch9wavefront6targetE1EEEvT1_
	.p2align	8
	.type	_ZN7rocprim17ROCPRIM_400000_NS6detail17trampoline_kernelINS0_14default_configENS1_20scan_config_selectorIfEEZZNS1_9scan_implILNS1_25lookback_scan_determinismE0ELb0ELb0ES3_N6thrust23THRUST_200600_302600_NS6detail15normal_iteratorINS9_10device_ptrIfEEEENS9_16discard_iteratorINS9_11use_defaultEEEfNS9_4plusIvEEfEEDaPvRmT3_T4_T5_mT6_P12ihipStream_tbENKUlT_T0_E_clISt17integral_constantIbLb1EESX_EEDaSS_ST_EUlSS_E0_NS1_11comp_targetILNS1_3genE8ELNS1_11target_archE1030ELNS1_3gpuE2ELNS1_3repE0EEENS1_30default_config_static_selectorELNS0_4arch9wavefront6targetE1EEEvT1_,@function
_ZN7rocprim17ROCPRIM_400000_NS6detail17trampoline_kernelINS0_14default_configENS1_20scan_config_selectorIfEEZZNS1_9scan_implILNS1_25lookback_scan_determinismE0ELb0ELb0ES3_N6thrust23THRUST_200600_302600_NS6detail15normal_iteratorINS9_10device_ptrIfEEEENS9_16discard_iteratorINS9_11use_defaultEEEfNS9_4plusIvEEfEEDaPvRmT3_T4_T5_mT6_P12ihipStream_tbENKUlT_T0_E_clISt17integral_constantIbLb1EESX_EEDaSS_ST_EUlSS_E0_NS1_11comp_targetILNS1_3genE8ELNS1_11target_archE1030ELNS1_3gpuE2ELNS1_3repE0EEENS1_30default_config_static_selectorELNS0_4arch9wavefront6targetE1EEEvT1_: ; @_ZN7rocprim17ROCPRIM_400000_NS6detail17trampoline_kernelINS0_14default_configENS1_20scan_config_selectorIfEEZZNS1_9scan_implILNS1_25lookback_scan_determinismE0ELb0ELb0ES3_N6thrust23THRUST_200600_302600_NS6detail15normal_iteratorINS9_10device_ptrIfEEEENS9_16discard_iteratorINS9_11use_defaultEEEfNS9_4plusIvEEfEEDaPvRmT3_T4_T5_mT6_P12ihipStream_tbENKUlT_T0_E_clISt17integral_constantIbLb1EESX_EEDaSS_ST_EUlSS_E0_NS1_11comp_targetILNS1_3genE8ELNS1_11target_archE1030ELNS1_3gpuE2ELNS1_3repE0EEENS1_30default_config_static_selectorELNS0_4arch9wavefront6targetE1EEEvT1_
; %bb.0:
	.section	.rodata,"a",@progbits
	.p2align	6, 0x0
	.amdhsa_kernel _ZN7rocprim17ROCPRIM_400000_NS6detail17trampoline_kernelINS0_14default_configENS1_20scan_config_selectorIfEEZZNS1_9scan_implILNS1_25lookback_scan_determinismE0ELb0ELb0ES3_N6thrust23THRUST_200600_302600_NS6detail15normal_iteratorINS9_10device_ptrIfEEEENS9_16discard_iteratorINS9_11use_defaultEEEfNS9_4plusIvEEfEEDaPvRmT3_T4_T5_mT6_P12ihipStream_tbENKUlT_T0_E_clISt17integral_constantIbLb1EESX_EEDaSS_ST_EUlSS_E0_NS1_11comp_targetILNS1_3genE8ELNS1_11target_archE1030ELNS1_3gpuE2ELNS1_3repE0EEENS1_30default_config_static_selectorELNS0_4arch9wavefront6targetE1EEEvT1_
		.amdhsa_group_segment_fixed_size 0
		.amdhsa_private_segment_fixed_size 0
		.amdhsa_kernarg_size 40
		.amdhsa_user_sgpr_count 6
		.amdhsa_user_sgpr_private_segment_buffer 1
		.amdhsa_user_sgpr_dispatch_ptr 0
		.amdhsa_user_sgpr_queue_ptr 0
		.amdhsa_user_sgpr_kernarg_segment_ptr 1
		.amdhsa_user_sgpr_dispatch_id 0
		.amdhsa_user_sgpr_flat_scratch_init 0
		.amdhsa_user_sgpr_kernarg_preload_length 0
		.amdhsa_user_sgpr_kernarg_preload_offset 0
		.amdhsa_user_sgpr_private_segment_size 0
		.amdhsa_uses_dynamic_stack 0
		.amdhsa_system_sgpr_private_segment_wavefront_offset 0
		.amdhsa_system_sgpr_workgroup_id_x 1
		.amdhsa_system_sgpr_workgroup_id_y 0
		.amdhsa_system_sgpr_workgroup_id_z 0
		.amdhsa_system_sgpr_workgroup_info 0
		.amdhsa_system_vgpr_workitem_id 0
		.amdhsa_next_free_vgpr 1
		.amdhsa_next_free_sgpr 0
		.amdhsa_accum_offset 4
		.amdhsa_reserve_vcc 0
		.amdhsa_reserve_flat_scratch 0
		.amdhsa_float_round_mode_32 0
		.amdhsa_float_round_mode_16_64 0
		.amdhsa_float_denorm_mode_32 3
		.amdhsa_float_denorm_mode_16_64 3
		.amdhsa_dx10_clamp 1
		.amdhsa_ieee_mode 1
		.amdhsa_fp16_overflow 0
		.amdhsa_tg_split 0
		.amdhsa_exception_fp_ieee_invalid_op 0
		.amdhsa_exception_fp_denorm_src 0
		.amdhsa_exception_fp_ieee_div_zero 0
		.amdhsa_exception_fp_ieee_overflow 0
		.amdhsa_exception_fp_ieee_underflow 0
		.amdhsa_exception_fp_ieee_inexact 0
		.amdhsa_exception_int_div_zero 0
	.end_amdhsa_kernel
	.section	.text._ZN7rocprim17ROCPRIM_400000_NS6detail17trampoline_kernelINS0_14default_configENS1_20scan_config_selectorIfEEZZNS1_9scan_implILNS1_25lookback_scan_determinismE0ELb0ELb0ES3_N6thrust23THRUST_200600_302600_NS6detail15normal_iteratorINS9_10device_ptrIfEEEENS9_16discard_iteratorINS9_11use_defaultEEEfNS9_4plusIvEEfEEDaPvRmT3_T4_T5_mT6_P12ihipStream_tbENKUlT_T0_E_clISt17integral_constantIbLb1EESX_EEDaSS_ST_EUlSS_E0_NS1_11comp_targetILNS1_3genE8ELNS1_11target_archE1030ELNS1_3gpuE2ELNS1_3repE0EEENS1_30default_config_static_selectorELNS0_4arch9wavefront6targetE1EEEvT1_,"axG",@progbits,_ZN7rocprim17ROCPRIM_400000_NS6detail17trampoline_kernelINS0_14default_configENS1_20scan_config_selectorIfEEZZNS1_9scan_implILNS1_25lookback_scan_determinismE0ELb0ELb0ES3_N6thrust23THRUST_200600_302600_NS6detail15normal_iteratorINS9_10device_ptrIfEEEENS9_16discard_iteratorINS9_11use_defaultEEEfNS9_4plusIvEEfEEDaPvRmT3_T4_T5_mT6_P12ihipStream_tbENKUlT_T0_E_clISt17integral_constantIbLb1EESX_EEDaSS_ST_EUlSS_E0_NS1_11comp_targetILNS1_3genE8ELNS1_11target_archE1030ELNS1_3gpuE2ELNS1_3repE0EEENS1_30default_config_static_selectorELNS0_4arch9wavefront6targetE1EEEvT1_,comdat
.Lfunc_end5041:
	.size	_ZN7rocprim17ROCPRIM_400000_NS6detail17trampoline_kernelINS0_14default_configENS1_20scan_config_selectorIfEEZZNS1_9scan_implILNS1_25lookback_scan_determinismE0ELb0ELb0ES3_N6thrust23THRUST_200600_302600_NS6detail15normal_iteratorINS9_10device_ptrIfEEEENS9_16discard_iteratorINS9_11use_defaultEEEfNS9_4plusIvEEfEEDaPvRmT3_T4_T5_mT6_P12ihipStream_tbENKUlT_T0_E_clISt17integral_constantIbLb1EESX_EEDaSS_ST_EUlSS_E0_NS1_11comp_targetILNS1_3genE8ELNS1_11target_archE1030ELNS1_3gpuE2ELNS1_3repE0EEENS1_30default_config_static_selectorELNS0_4arch9wavefront6targetE1EEEvT1_, .Lfunc_end5041-_ZN7rocprim17ROCPRIM_400000_NS6detail17trampoline_kernelINS0_14default_configENS1_20scan_config_selectorIfEEZZNS1_9scan_implILNS1_25lookback_scan_determinismE0ELb0ELb0ES3_N6thrust23THRUST_200600_302600_NS6detail15normal_iteratorINS9_10device_ptrIfEEEENS9_16discard_iteratorINS9_11use_defaultEEEfNS9_4plusIvEEfEEDaPvRmT3_T4_T5_mT6_P12ihipStream_tbENKUlT_T0_E_clISt17integral_constantIbLb1EESX_EEDaSS_ST_EUlSS_E0_NS1_11comp_targetILNS1_3genE8ELNS1_11target_archE1030ELNS1_3gpuE2ELNS1_3repE0EEENS1_30default_config_static_selectorELNS0_4arch9wavefront6targetE1EEEvT1_
                                        ; -- End function
	.section	.AMDGPU.csdata,"",@progbits
; Kernel info:
; codeLenInByte = 0
; NumSgprs: 4
; NumVgprs: 0
; NumAgprs: 0
; TotalNumVgprs: 0
; ScratchSize: 0
; MemoryBound: 0
; FloatMode: 240
; IeeeMode: 1
; LDSByteSize: 0 bytes/workgroup (compile time only)
; SGPRBlocks: 0
; VGPRBlocks: 0
; NumSGPRsForWavesPerEU: 4
; NumVGPRsForWavesPerEU: 1
; AccumOffset: 4
; Occupancy: 8
; WaveLimiterHint : 0
; COMPUTE_PGM_RSRC2:SCRATCH_EN: 0
; COMPUTE_PGM_RSRC2:USER_SGPR: 6
; COMPUTE_PGM_RSRC2:TRAP_HANDLER: 0
; COMPUTE_PGM_RSRC2:TGID_X_EN: 1
; COMPUTE_PGM_RSRC2:TGID_Y_EN: 0
; COMPUTE_PGM_RSRC2:TGID_Z_EN: 0
; COMPUTE_PGM_RSRC2:TIDIG_COMP_CNT: 0
; COMPUTE_PGM_RSRC3_GFX90A:ACCUM_OFFSET: 0
; COMPUTE_PGM_RSRC3_GFX90A:TG_SPLIT: 0
	.section	.text._ZN7rocprim17ROCPRIM_400000_NS6detail17trampoline_kernelINS0_14default_configENS1_20scan_config_selectorIfEEZZNS1_9scan_implILNS1_25lookback_scan_determinismE0ELb0ELb0ES3_N6thrust23THRUST_200600_302600_NS6detail15normal_iteratorINS9_10device_ptrIfEEEENS9_16discard_iteratorINS9_11use_defaultEEEfNS9_4plusIvEEfEEDaPvRmT3_T4_T5_mT6_P12ihipStream_tbENKUlT_T0_E_clISt17integral_constantIbLb1EESW_IbLb0EEEEDaSS_ST_EUlSS_E_NS1_11comp_targetILNS1_3genE0ELNS1_11target_archE4294967295ELNS1_3gpuE0ELNS1_3repE0EEENS1_30default_config_static_selectorELNS0_4arch9wavefront6targetE1EEEvT1_,"axG",@progbits,_ZN7rocprim17ROCPRIM_400000_NS6detail17trampoline_kernelINS0_14default_configENS1_20scan_config_selectorIfEEZZNS1_9scan_implILNS1_25lookback_scan_determinismE0ELb0ELb0ES3_N6thrust23THRUST_200600_302600_NS6detail15normal_iteratorINS9_10device_ptrIfEEEENS9_16discard_iteratorINS9_11use_defaultEEEfNS9_4plusIvEEfEEDaPvRmT3_T4_T5_mT6_P12ihipStream_tbENKUlT_T0_E_clISt17integral_constantIbLb1EESW_IbLb0EEEEDaSS_ST_EUlSS_E_NS1_11comp_targetILNS1_3genE0ELNS1_11target_archE4294967295ELNS1_3gpuE0ELNS1_3repE0EEENS1_30default_config_static_selectorELNS0_4arch9wavefront6targetE1EEEvT1_,comdat
	.protected	_ZN7rocprim17ROCPRIM_400000_NS6detail17trampoline_kernelINS0_14default_configENS1_20scan_config_selectorIfEEZZNS1_9scan_implILNS1_25lookback_scan_determinismE0ELb0ELb0ES3_N6thrust23THRUST_200600_302600_NS6detail15normal_iteratorINS9_10device_ptrIfEEEENS9_16discard_iteratorINS9_11use_defaultEEEfNS9_4plusIvEEfEEDaPvRmT3_T4_T5_mT6_P12ihipStream_tbENKUlT_T0_E_clISt17integral_constantIbLb1EESW_IbLb0EEEEDaSS_ST_EUlSS_E_NS1_11comp_targetILNS1_3genE0ELNS1_11target_archE4294967295ELNS1_3gpuE0ELNS1_3repE0EEENS1_30default_config_static_selectorELNS0_4arch9wavefront6targetE1EEEvT1_ ; -- Begin function _ZN7rocprim17ROCPRIM_400000_NS6detail17trampoline_kernelINS0_14default_configENS1_20scan_config_selectorIfEEZZNS1_9scan_implILNS1_25lookback_scan_determinismE0ELb0ELb0ES3_N6thrust23THRUST_200600_302600_NS6detail15normal_iteratorINS9_10device_ptrIfEEEENS9_16discard_iteratorINS9_11use_defaultEEEfNS9_4plusIvEEfEEDaPvRmT3_T4_T5_mT6_P12ihipStream_tbENKUlT_T0_E_clISt17integral_constantIbLb1EESW_IbLb0EEEEDaSS_ST_EUlSS_E_NS1_11comp_targetILNS1_3genE0ELNS1_11target_archE4294967295ELNS1_3gpuE0ELNS1_3repE0EEENS1_30default_config_static_selectorELNS0_4arch9wavefront6targetE1EEEvT1_
	.globl	_ZN7rocprim17ROCPRIM_400000_NS6detail17trampoline_kernelINS0_14default_configENS1_20scan_config_selectorIfEEZZNS1_9scan_implILNS1_25lookback_scan_determinismE0ELb0ELb0ES3_N6thrust23THRUST_200600_302600_NS6detail15normal_iteratorINS9_10device_ptrIfEEEENS9_16discard_iteratorINS9_11use_defaultEEEfNS9_4plusIvEEfEEDaPvRmT3_T4_T5_mT6_P12ihipStream_tbENKUlT_T0_E_clISt17integral_constantIbLb1EESW_IbLb0EEEEDaSS_ST_EUlSS_E_NS1_11comp_targetILNS1_3genE0ELNS1_11target_archE4294967295ELNS1_3gpuE0ELNS1_3repE0EEENS1_30default_config_static_selectorELNS0_4arch9wavefront6targetE1EEEvT1_
	.p2align	8
	.type	_ZN7rocprim17ROCPRIM_400000_NS6detail17trampoline_kernelINS0_14default_configENS1_20scan_config_selectorIfEEZZNS1_9scan_implILNS1_25lookback_scan_determinismE0ELb0ELb0ES3_N6thrust23THRUST_200600_302600_NS6detail15normal_iteratorINS9_10device_ptrIfEEEENS9_16discard_iteratorINS9_11use_defaultEEEfNS9_4plusIvEEfEEDaPvRmT3_T4_T5_mT6_P12ihipStream_tbENKUlT_T0_E_clISt17integral_constantIbLb1EESW_IbLb0EEEEDaSS_ST_EUlSS_E_NS1_11comp_targetILNS1_3genE0ELNS1_11target_archE4294967295ELNS1_3gpuE0ELNS1_3repE0EEENS1_30default_config_static_selectorELNS0_4arch9wavefront6targetE1EEEvT1_,@function
_ZN7rocprim17ROCPRIM_400000_NS6detail17trampoline_kernelINS0_14default_configENS1_20scan_config_selectorIfEEZZNS1_9scan_implILNS1_25lookback_scan_determinismE0ELb0ELb0ES3_N6thrust23THRUST_200600_302600_NS6detail15normal_iteratorINS9_10device_ptrIfEEEENS9_16discard_iteratorINS9_11use_defaultEEEfNS9_4plusIvEEfEEDaPvRmT3_T4_T5_mT6_P12ihipStream_tbENKUlT_T0_E_clISt17integral_constantIbLb1EESW_IbLb0EEEEDaSS_ST_EUlSS_E_NS1_11comp_targetILNS1_3genE0ELNS1_11target_archE4294967295ELNS1_3gpuE0ELNS1_3repE0EEENS1_30default_config_static_selectorELNS0_4arch9wavefront6targetE1EEEvT1_: ; @_ZN7rocprim17ROCPRIM_400000_NS6detail17trampoline_kernelINS0_14default_configENS1_20scan_config_selectorIfEEZZNS1_9scan_implILNS1_25lookback_scan_determinismE0ELb0ELb0ES3_N6thrust23THRUST_200600_302600_NS6detail15normal_iteratorINS9_10device_ptrIfEEEENS9_16discard_iteratorINS9_11use_defaultEEEfNS9_4plusIvEEfEEDaPvRmT3_T4_T5_mT6_P12ihipStream_tbENKUlT_T0_E_clISt17integral_constantIbLb1EESW_IbLb0EEEEDaSS_ST_EUlSS_E_NS1_11comp_targetILNS1_3genE0ELNS1_11target_archE4294967295ELNS1_3gpuE0ELNS1_3repE0EEENS1_30default_config_static_selectorELNS0_4arch9wavefront6targetE1EEEvT1_
; %bb.0:
	.section	.rodata,"a",@progbits
	.p2align	6, 0x0
	.amdhsa_kernel _ZN7rocprim17ROCPRIM_400000_NS6detail17trampoline_kernelINS0_14default_configENS1_20scan_config_selectorIfEEZZNS1_9scan_implILNS1_25lookback_scan_determinismE0ELb0ELb0ES3_N6thrust23THRUST_200600_302600_NS6detail15normal_iteratorINS9_10device_ptrIfEEEENS9_16discard_iteratorINS9_11use_defaultEEEfNS9_4plusIvEEfEEDaPvRmT3_T4_T5_mT6_P12ihipStream_tbENKUlT_T0_E_clISt17integral_constantIbLb1EESW_IbLb0EEEEDaSS_ST_EUlSS_E_NS1_11comp_targetILNS1_3genE0ELNS1_11target_archE4294967295ELNS1_3gpuE0ELNS1_3repE0EEENS1_30default_config_static_selectorELNS0_4arch9wavefront6targetE1EEEvT1_
		.amdhsa_group_segment_fixed_size 0
		.amdhsa_private_segment_fixed_size 0
		.amdhsa_kernarg_size 104
		.amdhsa_user_sgpr_count 6
		.amdhsa_user_sgpr_private_segment_buffer 1
		.amdhsa_user_sgpr_dispatch_ptr 0
		.amdhsa_user_sgpr_queue_ptr 0
		.amdhsa_user_sgpr_kernarg_segment_ptr 1
		.amdhsa_user_sgpr_dispatch_id 0
		.amdhsa_user_sgpr_flat_scratch_init 0
		.amdhsa_user_sgpr_kernarg_preload_length 0
		.amdhsa_user_sgpr_kernarg_preload_offset 0
		.amdhsa_user_sgpr_private_segment_size 0
		.amdhsa_uses_dynamic_stack 0
		.amdhsa_system_sgpr_private_segment_wavefront_offset 0
		.amdhsa_system_sgpr_workgroup_id_x 1
		.amdhsa_system_sgpr_workgroup_id_y 0
		.amdhsa_system_sgpr_workgroup_id_z 0
		.amdhsa_system_sgpr_workgroup_info 0
		.amdhsa_system_vgpr_workitem_id 0
		.amdhsa_next_free_vgpr 1
		.amdhsa_next_free_sgpr 0
		.amdhsa_accum_offset 4
		.amdhsa_reserve_vcc 0
		.amdhsa_reserve_flat_scratch 0
		.amdhsa_float_round_mode_32 0
		.amdhsa_float_round_mode_16_64 0
		.amdhsa_float_denorm_mode_32 3
		.amdhsa_float_denorm_mode_16_64 3
		.amdhsa_dx10_clamp 1
		.amdhsa_ieee_mode 1
		.amdhsa_fp16_overflow 0
		.amdhsa_tg_split 0
		.amdhsa_exception_fp_ieee_invalid_op 0
		.amdhsa_exception_fp_denorm_src 0
		.amdhsa_exception_fp_ieee_div_zero 0
		.amdhsa_exception_fp_ieee_overflow 0
		.amdhsa_exception_fp_ieee_underflow 0
		.amdhsa_exception_fp_ieee_inexact 0
		.amdhsa_exception_int_div_zero 0
	.end_amdhsa_kernel
	.section	.text._ZN7rocprim17ROCPRIM_400000_NS6detail17trampoline_kernelINS0_14default_configENS1_20scan_config_selectorIfEEZZNS1_9scan_implILNS1_25lookback_scan_determinismE0ELb0ELb0ES3_N6thrust23THRUST_200600_302600_NS6detail15normal_iteratorINS9_10device_ptrIfEEEENS9_16discard_iteratorINS9_11use_defaultEEEfNS9_4plusIvEEfEEDaPvRmT3_T4_T5_mT6_P12ihipStream_tbENKUlT_T0_E_clISt17integral_constantIbLb1EESW_IbLb0EEEEDaSS_ST_EUlSS_E_NS1_11comp_targetILNS1_3genE0ELNS1_11target_archE4294967295ELNS1_3gpuE0ELNS1_3repE0EEENS1_30default_config_static_selectorELNS0_4arch9wavefront6targetE1EEEvT1_,"axG",@progbits,_ZN7rocprim17ROCPRIM_400000_NS6detail17trampoline_kernelINS0_14default_configENS1_20scan_config_selectorIfEEZZNS1_9scan_implILNS1_25lookback_scan_determinismE0ELb0ELb0ES3_N6thrust23THRUST_200600_302600_NS6detail15normal_iteratorINS9_10device_ptrIfEEEENS9_16discard_iteratorINS9_11use_defaultEEEfNS9_4plusIvEEfEEDaPvRmT3_T4_T5_mT6_P12ihipStream_tbENKUlT_T0_E_clISt17integral_constantIbLb1EESW_IbLb0EEEEDaSS_ST_EUlSS_E_NS1_11comp_targetILNS1_3genE0ELNS1_11target_archE4294967295ELNS1_3gpuE0ELNS1_3repE0EEENS1_30default_config_static_selectorELNS0_4arch9wavefront6targetE1EEEvT1_,comdat
.Lfunc_end5042:
	.size	_ZN7rocprim17ROCPRIM_400000_NS6detail17trampoline_kernelINS0_14default_configENS1_20scan_config_selectorIfEEZZNS1_9scan_implILNS1_25lookback_scan_determinismE0ELb0ELb0ES3_N6thrust23THRUST_200600_302600_NS6detail15normal_iteratorINS9_10device_ptrIfEEEENS9_16discard_iteratorINS9_11use_defaultEEEfNS9_4plusIvEEfEEDaPvRmT3_T4_T5_mT6_P12ihipStream_tbENKUlT_T0_E_clISt17integral_constantIbLb1EESW_IbLb0EEEEDaSS_ST_EUlSS_E_NS1_11comp_targetILNS1_3genE0ELNS1_11target_archE4294967295ELNS1_3gpuE0ELNS1_3repE0EEENS1_30default_config_static_selectorELNS0_4arch9wavefront6targetE1EEEvT1_, .Lfunc_end5042-_ZN7rocprim17ROCPRIM_400000_NS6detail17trampoline_kernelINS0_14default_configENS1_20scan_config_selectorIfEEZZNS1_9scan_implILNS1_25lookback_scan_determinismE0ELb0ELb0ES3_N6thrust23THRUST_200600_302600_NS6detail15normal_iteratorINS9_10device_ptrIfEEEENS9_16discard_iteratorINS9_11use_defaultEEEfNS9_4plusIvEEfEEDaPvRmT3_T4_T5_mT6_P12ihipStream_tbENKUlT_T0_E_clISt17integral_constantIbLb1EESW_IbLb0EEEEDaSS_ST_EUlSS_E_NS1_11comp_targetILNS1_3genE0ELNS1_11target_archE4294967295ELNS1_3gpuE0ELNS1_3repE0EEENS1_30default_config_static_selectorELNS0_4arch9wavefront6targetE1EEEvT1_
                                        ; -- End function
	.section	.AMDGPU.csdata,"",@progbits
; Kernel info:
; codeLenInByte = 0
; NumSgprs: 4
; NumVgprs: 0
; NumAgprs: 0
; TotalNumVgprs: 0
; ScratchSize: 0
; MemoryBound: 0
; FloatMode: 240
; IeeeMode: 1
; LDSByteSize: 0 bytes/workgroup (compile time only)
; SGPRBlocks: 0
; VGPRBlocks: 0
; NumSGPRsForWavesPerEU: 4
; NumVGPRsForWavesPerEU: 1
; AccumOffset: 4
; Occupancy: 8
; WaveLimiterHint : 0
; COMPUTE_PGM_RSRC2:SCRATCH_EN: 0
; COMPUTE_PGM_RSRC2:USER_SGPR: 6
; COMPUTE_PGM_RSRC2:TRAP_HANDLER: 0
; COMPUTE_PGM_RSRC2:TGID_X_EN: 1
; COMPUTE_PGM_RSRC2:TGID_Y_EN: 0
; COMPUTE_PGM_RSRC2:TGID_Z_EN: 0
; COMPUTE_PGM_RSRC2:TIDIG_COMP_CNT: 0
; COMPUTE_PGM_RSRC3_GFX90A:ACCUM_OFFSET: 0
; COMPUTE_PGM_RSRC3_GFX90A:TG_SPLIT: 0
	.section	.text._ZN7rocprim17ROCPRIM_400000_NS6detail17trampoline_kernelINS0_14default_configENS1_20scan_config_selectorIfEEZZNS1_9scan_implILNS1_25lookback_scan_determinismE0ELb0ELb0ES3_N6thrust23THRUST_200600_302600_NS6detail15normal_iteratorINS9_10device_ptrIfEEEENS9_16discard_iteratorINS9_11use_defaultEEEfNS9_4plusIvEEfEEDaPvRmT3_T4_T5_mT6_P12ihipStream_tbENKUlT_T0_E_clISt17integral_constantIbLb1EESW_IbLb0EEEEDaSS_ST_EUlSS_E_NS1_11comp_targetILNS1_3genE5ELNS1_11target_archE942ELNS1_3gpuE9ELNS1_3repE0EEENS1_30default_config_static_selectorELNS0_4arch9wavefront6targetE1EEEvT1_,"axG",@progbits,_ZN7rocprim17ROCPRIM_400000_NS6detail17trampoline_kernelINS0_14default_configENS1_20scan_config_selectorIfEEZZNS1_9scan_implILNS1_25lookback_scan_determinismE0ELb0ELb0ES3_N6thrust23THRUST_200600_302600_NS6detail15normal_iteratorINS9_10device_ptrIfEEEENS9_16discard_iteratorINS9_11use_defaultEEEfNS9_4plusIvEEfEEDaPvRmT3_T4_T5_mT6_P12ihipStream_tbENKUlT_T0_E_clISt17integral_constantIbLb1EESW_IbLb0EEEEDaSS_ST_EUlSS_E_NS1_11comp_targetILNS1_3genE5ELNS1_11target_archE942ELNS1_3gpuE9ELNS1_3repE0EEENS1_30default_config_static_selectorELNS0_4arch9wavefront6targetE1EEEvT1_,comdat
	.protected	_ZN7rocprim17ROCPRIM_400000_NS6detail17trampoline_kernelINS0_14default_configENS1_20scan_config_selectorIfEEZZNS1_9scan_implILNS1_25lookback_scan_determinismE0ELb0ELb0ES3_N6thrust23THRUST_200600_302600_NS6detail15normal_iteratorINS9_10device_ptrIfEEEENS9_16discard_iteratorINS9_11use_defaultEEEfNS9_4plusIvEEfEEDaPvRmT3_T4_T5_mT6_P12ihipStream_tbENKUlT_T0_E_clISt17integral_constantIbLb1EESW_IbLb0EEEEDaSS_ST_EUlSS_E_NS1_11comp_targetILNS1_3genE5ELNS1_11target_archE942ELNS1_3gpuE9ELNS1_3repE0EEENS1_30default_config_static_selectorELNS0_4arch9wavefront6targetE1EEEvT1_ ; -- Begin function _ZN7rocprim17ROCPRIM_400000_NS6detail17trampoline_kernelINS0_14default_configENS1_20scan_config_selectorIfEEZZNS1_9scan_implILNS1_25lookback_scan_determinismE0ELb0ELb0ES3_N6thrust23THRUST_200600_302600_NS6detail15normal_iteratorINS9_10device_ptrIfEEEENS9_16discard_iteratorINS9_11use_defaultEEEfNS9_4plusIvEEfEEDaPvRmT3_T4_T5_mT6_P12ihipStream_tbENKUlT_T0_E_clISt17integral_constantIbLb1EESW_IbLb0EEEEDaSS_ST_EUlSS_E_NS1_11comp_targetILNS1_3genE5ELNS1_11target_archE942ELNS1_3gpuE9ELNS1_3repE0EEENS1_30default_config_static_selectorELNS0_4arch9wavefront6targetE1EEEvT1_
	.globl	_ZN7rocprim17ROCPRIM_400000_NS6detail17trampoline_kernelINS0_14default_configENS1_20scan_config_selectorIfEEZZNS1_9scan_implILNS1_25lookback_scan_determinismE0ELb0ELb0ES3_N6thrust23THRUST_200600_302600_NS6detail15normal_iteratorINS9_10device_ptrIfEEEENS9_16discard_iteratorINS9_11use_defaultEEEfNS9_4plusIvEEfEEDaPvRmT3_T4_T5_mT6_P12ihipStream_tbENKUlT_T0_E_clISt17integral_constantIbLb1EESW_IbLb0EEEEDaSS_ST_EUlSS_E_NS1_11comp_targetILNS1_3genE5ELNS1_11target_archE942ELNS1_3gpuE9ELNS1_3repE0EEENS1_30default_config_static_selectorELNS0_4arch9wavefront6targetE1EEEvT1_
	.p2align	8
	.type	_ZN7rocprim17ROCPRIM_400000_NS6detail17trampoline_kernelINS0_14default_configENS1_20scan_config_selectorIfEEZZNS1_9scan_implILNS1_25lookback_scan_determinismE0ELb0ELb0ES3_N6thrust23THRUST_200600_302600_NS6detail15normal_iteratorINS9_10device_ptrIfEEEENS9_16discard_iteratorINS9_11use_defaultEEEfNS9_4plusIvEEfEEDaPvRmT3_T4_T5_mT6_P12ihipStream_tbENKUlT_T0_E_clISt17integral_constantIbLb1EESW_IbLb0EEEEDaSS_ST_EUlSS_E_NS1_11comp_targetILNS1_3genE5ELNS1_11target_archE942ELNS1_3gpuE9ELNS1_3repE0EEENS1_30default_config_static_selectorELNS0_4arch9wavefront6targetE1EEEvT1_,@function
_ZN7rocprim17ROCPRIM_400000_NS6detail17trampoline_kernelINS0_14default_configENS1_20scan_config_selectorIfEEZZNS1_9scan_implILNS1_25lookback_scan_determinismE0ELb0ELb0ES3_N6thrust23THRUST_200600_302600_NS6detail15normal_iteratorINS9_10device_ptrIfEEEENS9_16discard_iteratorINS9_11use_defaultEEEfNS9_4plusIvEEfEEDaPvRmT3_T4_T5_mT6_P12ihipStream_tbENKUlT_T0_E_clISt17integral_constantIbLb1EESW_IbLb0EEEEDaSS_ST_EUlSS_E_NS1_11comp_targetILNS1_3genE5ELNS1_11target_archE942ELNS1_3gpuE9ELNS1_3repE0EEENS1_30default_config_static_selectorELNS0_4arch9wavefront6targetE1EEEvT1_: ; @_ZN7rocprim17ROCPRIM_400000_NS6detail17trampoline_kernelINS0_14default_configENS1_20scan_config_selectorIfEEZZNS1_9scan_implILNS1_25lookback_scan_determinismE0ELb0ELb0ES3_N6thrust23THRUST_200600_302600_NS6detail15normal_iteratorINS9_10device_ptrIfEEEENS9_16discard_iteratorINS9_11use_defaultEEEfNS9_4plusIvEEfEEDaPvRmT3_T4_T5_mT6_P12ihipStream_tbENKUlT_T0_E_clISt17integral_constantIbLb1EESW_IbLb0EEEEDaSS_ST_EUlSS_E_NS1_11comp_targetILNS1_3genE5ELNS1_11target_archE942ELNS1_3gpuE9ELNS1_3repE0EEENS1_30default_config_static_selectorELNS0_4arch9wavefront6targetE1EEEvT1_
; %bb.0:
	.section	.rodata,"a",@progbits
	.p2align	6, 0x0
	.amdhsa_kernel _ZN7rocprim17ROCPRIM_400000_NS6detail17trampoline_kernelINS0_14default_configENS1_20scan_config_selectorIfEEZZNS1_9scan_implILNS1_25lookback_scan_determinismE0ELb0ELb0ES3_N6thrust23THRUST_200600_302600_NS6detail15normal_iteratorINS9_10device_ptrIfEEEENS9_16discard_iteratorINS9_11use_defaultEEEfNS9_4plusIvEEfEEDaPvRmT3_T4_T5_mT6_P12ihipStream_tbENKUlT_T0_E_clISt17integral_constantIbLb1EESW_IbLb0EEEEDaSS_ST_EUlSS_E_NS1_11comp_targetILNS1_3genE5ELNS1_11target_archE942ELNS1_3gpuE9ELNS1_3repE0EEENS1_30default_config_static_selectorELNS0_4arch9wavefront6targetE1EEEvT1_
		.amdhsa_group_segment_fixed_size 0
		.amdhsa_private_segment_fixed_size 0
		.amdhsa_kernarg_size 104
		.amdhsa_user_sgpr_count 6
		.amdhsa_user_sgpr_private_segment_buffer 1
		.amdhsa_user_sgpr_dispatch_ptr 0
		.amdhsa_user_sgpr_queue_ptr 0
		.amdhsa_user_sgpr_kernarg_segment_ptr 1
		.amdhsa_user_sgpr_dispatch_id 0
		.amdhsa_user_sgpr_flat_scratch_init 0
		.amdhsa_user_sgpr_kernarg_preload_length 0
		.amdhsa_user_sgpr_kernarg_preload_offset 0
		.amdhsa_user_sgpr_private_segment_size 0
		.amdhsa_uses_dynamic_stack 0
		.amdhsa_system_sgpr_private_segment_wavefront_offset 0
		.amdhsa_system_sgpr_workgroup_id_x 1
		.amdhsa_system_sgpr_workgroup_id_y 0
		.amdhsa_system_sgpr_workgroup_id_z 0
		.amdhsa_system_sgpr_workgroup_info 0
		.amdhsa_system_vgpr_workitem_id 0
		.amdhsa_next_free_vgpr 1
		.amdhsa_next_free_sgpr 0
		.amdhsa_accum_offset 4
		.amdhsa_reserve_vcc 0
		.amdhsa_reserve_flat_scratch 0
		.amdhsa_float_round_mode_32 0
		.amdhsa_float_round_mode_16_64 0
		.amdhsa_float_denorm_mode_32 3
		.amdhsa_float_denorm_mode_16_64 3
		.amdhsa_dx10_clamp 1
		.amdhsa_ieee_mode 1
		.amdhsa_fp16_overflow 0
		.amdhsa_tg_split 0
		.amdhsa_exception_fp_ieee_invalid_op 0
		.amdhsa_exception_fp_denorm_src 0
		.amdhsa_exception_fp_ieee_div_zero 0
		.amdhsa_exception_fp_ieee_overflow 0
		.amdhsa_exception_fp_ieee_underflow 0
		.amdhsa_exception_fp_ieee_inexact 0
		.amdhsa_exception_int_div_zero 0
	.end_amdhsa_kernel
	.section	.text._ZN7rocprim17ROCPRIM_400000_NS6detail17trampoline_kernelINS0_14default_configENS1_20scan_config_selectorIfEEZZNS1_9scan_implILNS1_25lookback_scan_determinismE0ELb0ELb0ES3_N6thrust23THRUST_200600_302600_NS6detail15normal_iteratorINS9_10device_ptrIfEEEENS9_16discard_iteratorINS9_11use_defaultEEEfNS9_4plusIvEEfEEDaPvRmT3_T4_T5_mT6_P12ihipStream_tbENKUlT_T0_E_clISt17integral_constantIbLb1EESW_IbLb0EEEEDaSS_ST_EUlSS_E_NS1_11comp_targetILNS1_3genE5ELNS1_11target_archE942ELNS1_3gpuE9ELNS1_3repE0EEENS1_30default_config_static_selectorELNS0_4arch9wavefront6targetE1EEEvT1_,"axG",@progbits,_ZN7rocprim17ROCPRIM_400000_NS6detail17trampoline_kernelINS0_14default_configENS1_20scan_config_selectorIfEEZZNS1_9scan_implILNS1_25lookback_scan_determinismE0ELb0ELb0ES3_N6thrust23THRUST_200600_302600_NS6detail15normal_iteratorINS9_10device_ptrIfEEEENS9_16discard_iteratorINS9_11use_defaultEEEfNS9_4plusIvEEfEEDaPvRmT3_T4_T5_mT6_P12ihipStream_tbENKUlT_T0_E_clISt17integral_constantIbLb1EESW_IbLb0EEEEDaSS_ST_EUlSS_E_NS1_11comp_targetILNS1_3genE5ELNS1_11target_archE942ELNS1_3gpuE9ELNS1_3repE0EEENS1_30default_config_static_selectorELNS0_4arch9wavefront6targetE1EEEvT1_,comdat
.Lfunc_end5043:
	.size	_ZN7rocprim17ROCPRIM_400000_NS6detail17trampoline_kernelINS0_14default_configENS1_20scan_config_selectorIfEEZZNS1_9scan_implILNS1_25lookback_scan_determinismE0ELb0ELb0ES3_N6thrust23THRUST_200600_302600_NS6detail15normal_iteratorINS9_10device_ptrIfEEEENS9_16discard_iteratorINS9_11use_defaultEEEfNS9_4plusIvEEfEEDaPvRmT3_T4_T5_mT6_P12ihipStream_tbENKUlT_T0_E_clISt17integral_constantIbLb1EESW_IbLb0EEEEDaSS_ST_EUlSS_E_NS1_11comp_targetILNS1_3genE5ELNS1_11target_archE942ELNS1_3gpuE9ELNS1_3repE0EEENS1_30default_config_static_selectorELNS0_4arch9wavefront6targetE1EEEvT1_, .Lfunc_end5043-_ZN7rocprim17ROCPRIM_400000_NS6detail17trampoline_kernelINS0_14default_configENS1_20scan_config_selectorIfEEZZNS1_9scan_implILNS1_25lookback_scan_determinismE0ELb0ELb0ES3_N6thrust23THRUST_200600_302600_NS6detail15normal_iteratorINS9_10device_ptrIfEEEENS9_16discard_iteratorINS9_11use_defaultEEEfNS9_4plusIvEEfEEDaPvRmT3_T4_T5_mT6_P12ihipStream_tbENKUlT_T0_E_clISt17integral_constantIbLb1EESW_IbLb0EEEEDaSS_ST_EUlSS_E_NS1_11comp_targetILNS1_3genE5ELNS1_11target_archE942ELNS1_3gpuE9ELNS1_3repE0EEENS1_30default_config_static_selectorELNS0_4arch9wavefront6targetE1EEEvT1_
                                        ; -- End function
	.section	.AMDGPU.csdata,"",@progbits
; Kernel info:
; codeLenInByte = 0
; NumSgprs: 4
; NumVgprs: 0
; NumAgprs: 0
; TotalNumVgprs: 0
; ScratchSize: 0
; MemoryBound: 0
; FloatMode: 240
; IeeeMode: 1
; LDSByteSize: 0 bytes/workgroup (compile time only)
; SGPRBlocks: 0
; VGPRBlocks: 0
; NumSGPRsForWavesPerEU: 4
; NumVGPRsForWavesPerEU: 1
; AccumOffset: 4
; Occupancy: 8
; WaveLimiterHint : 0
; COMPUTE_PGM_RSRC2:SCRATCH_EN: 0
; COMPUTE_PGM_RSRC2:USER_SGPR: 6
; COMPUTE_PGM_RSRC2:TRAP_HANDLER: 0
; COMPUTE_PGM_RSRC2:TGID_X_EN: 1
; COMPUTE_PGM_RSRC2:TGID_Y_EN: 0
; COMPUTE_PGM_RSRC2:TGID_Z_EN: 0
; COMPUTE_PGM_RSRC2:TIDIG_COMP_CNT: 0
; COMPUTE_PGM_RSRC3_GFX90A:ACCUM_OFFSET: 0
; COMPUTE_PGM_RSRC3_GFX90A:TG_SPLIT: 0
	.section	.text._ZN7rocprim17ROCPRIM_400000_NS6detail17trampoline_kernelINS0_14default_configENS1_20scan_config_selectorIfEEZZNS1_9scan_implILNS1_25lookback_scan_determinismE0ELb0ELb0ES3_N6thrust23THRUST_200600_302600_NS6detail15normal_iteratorINS9_10device_ptrIfEEEENS9_16discard_iteratorINS9_11use_defaultEEEfNS9_4plusIvEEfEEDaPvRmT3_T4_T5_mT6_P12ihipStream_tbENKUlT_T0_E_clISt17integral_constantIbLb1EESW_IbLb0EEEEDaSS_ST_EUlSS_E_NS1_11comp_targetILNS1_3genE4ELNS1_11target_archE910ELNS1_3gpuE8ELNS1_3repE0EEENS1_30default_config_static_selectorELNS0_4arch9wavefront6targetE1EEEvT1_,"axG",@progbits,_ZN7rocprim17ROCPRIM_400000_NS6detail17trampoline_kernelINS0_14default_configENS1_20scan_config_selectorIfEEZZNS1_9scan_implILNS1_25lookback_scan_determinismE0ELb0ELb0ES3_N6thrust23THRUST_200600_302600_NS6detail15normal_iteratorINS9_10device_ptrIfEEEENS9_16discard_iteratorINS9_11use_defaultEEEfNS9_4plusIvEEfEEDaPvRmT3_T4_T5_mT6_P12ihipStream_tbENKUlT_T0_E_clISt17integral_constantIbLb1EESW_IbLb0EEEEDaSS_ST_EUlSS_E_NS1_11comp_targetILNS1_3genE4ELNS1_11target_archE910ELNS1_3gpuE8ELNS1_3repE0EEENS1_30default_config_static_selectorELNS0_4arch9wavefront6targetE1EEEvT1_,comdat
	.protected	_ZN7rocprim17ROCPRIM_400000_NS6detail17trampoline_kernelINS0_14default_configENS1_20scan_config_selectorIfEEZZNS1_9scan_implILNS1_25lookback_scan_determinismE0ELb0ELb0ES3_N6thrust23THRUST_200600_302600_NS6detail15normal_iteratorINS9_10device_ptrIfEEEENS9_16discard_iteratorINS9_11use_defaultEEEfNS9_4plusIvEEfEEDaPvRmT3_T4_T5_mT6_P12ihipStream_tbENKUlT_T0_E_clISt17integral_constantIbLb1EESW_IbLb0EEEEDaSS_ST_EUlSS_E_NS1_11comp_targetILNS1_3genE4ELNS1_11target_archE910ELNS1_3gpuE8ELNS1_3repE0EEENS1_30default_config_static_selectorELNS0_4arch9wavefront6targetE1EEEvT1_ ; -- Begin function _ZN7rocprim17ROCPRIM_400000_NS6detail17trampoline_kernelINS0_14default_configENS1_20scan_config_selectorIfEEZZNS1_9scan_implILNS1_25lookback_scan_determinismE0ELb0ELb0ES3_N6thrust23THRUST_200600_302600_NS6detail15normal_iteratorINS9_10device_ptrIfEEEENS9_16discard_iteratorINS9_11use_defaultEEEfNS9_4plusIvEEfEEDaPvRmT3_T4_T5_mT6_P12ihipStream_tbENKUlT_T0_E_clISt17integral_constantIbLb1EESW_IbLb0EEEEDaSS_ST_EUlSS_E_NS1_11comp_targetILNS1_3genE4ELNS1_11target_archE910ELNS1_3gpuE8ELNS1_3repE0EEENS1_30default_config_static_selectorELNS0_4arch9wavefront6targetE1EEEvT1_
	.globl	_ZN7rocprim17ROCPRIM_400000_NS6detail17trampoline_kernelINS0_14default_configENS1_20scan_config_selectorIfEEZZNS1_9scan_implILNS1_25lookback_scan_determinismE0ELb0ELb0ES3_N6thrust23THRUST_200600_302600_NS6detail15normal_iteratorINS9_10device_ptrIfEEEENS9_16discard_iteratorINS9_11use_defaultEEEfNS9_4plusIvEEfEEDaPvRmT3_T4_T5_mT6_P12ihipStream_tbENKUlT_T0_E_clISt17integral_constantIbLb1EESW_IbLb0EEEEDaSS_ST_EUlSS_E_NS1_11comp_targetILNS1_3genE4ELNS1_11target_archE910ELNS1_3gpuE8ELNS1_3repE0EEENS1_30default_config_static_selectorELNS0_4arch9wavefront6targetE1EEEvT1_
	.p2align	8
	.type	_ZN7rocprim17ROCPRIM_400000_NS6detail17trampoline_kernelINS0_14default_configENS1_20scan_config_selectorIfEEZZNS1_9scan_implILNS1_25lookback_scan_determinismE0ELb0ELb0ES3_N6thrust23THRUST_200600_302600_NS6detail15normal_iteratorINS9_10device_ptrIfEEEENS9_16discard_iteratorINS9_11use_defaultEEEfNS9_4plusIvEEfEEDaPvRmT3_T4_T5_mT6_P12ihipStream_tbENKUlT_T0_E_clISt17integral_constantIbLb1EESW_IbLb0EEEEDaSS_ST_EUlSS_E_NS1_11comp_targetILNS1_3genE4ELNS1_11target_archE910ELNS1_3gpuE8ELNS1_3repE0EEENS1_30default_config_static_selectorELNS0_4arch9wavefront6targetE1EEEvT1_,@function
_ZN7rocprim17ROCPRIM_400000_NS6detail17trampoline_kernelINS0_14default_configENS1_20scan_config_selectorIfEEZZNS1_9scan_implILNS1_25lookback_scan_determinismE0ELb0ELb0ES3_N6thrust23THRUST_200600_302600_NS6detail15normal_iteratorINS9_10device_ptrIfEEEENS9_16discard_iteratorINS9_11use_defaultEEEfNS9_4plusIvEEfEEDaPvRmT3_T4_T5_mT6_P12ihipStream_tbENKUlT_T0_E_clISt17integral_constantIbLb1EESW_IbLb0EEEEDaSS_ST_EUlSS_E_NS1_11comp_targetILNS1_3genE4ELNS1_11target_archE910ELNS1_3gpuE8ELNS1_3repE0EEENS1_30default_config_static_selectorELNS0_4arch9wavefront6targetE1EEEvT1_: ; @_ZN7rocprim17ROCPRIM_400000_NS6detail17trampoline_kernelINS0_14default_configENS1_20scan_config_selectorIfEEZZNS1_9scan_implILNS1_25lookback_scan_determinismE0ELb0ELb0ES3_N6thrust23THRUST_200600_302600_NS6detail15normal_iteratorINS9_10device_ptrIfEEEENS9_16discard_iteratorINS9_11use_defaultEEEfNS9_4plusIvEEfEEDaPvRmT3_T4_T5_mT6_P12ihipStream_tbENKUlT_T0_E_clISt17integral_constantIbLb1EESW_IbLb0EEEEDaSS_ST_EUlSS_E_NS1_11comp_targetILNS1_3genE4ELNS1_11target_archE910ELNS1_3gpuE8ELNS1_3repE0EEENS1_30default_config_static_selectorELNS0_4arch9wavefront6targetE1EEEvT1_
; %bb.0:
	s_load_dwordx4 s[0:3], s[4:5], 0x0
	s_load_dwordx2 s[8:9], s[4:5], 0x20
	s_load_dword s7, s[4:5], 0x38
	v_lshlrev_b32_e32 v18, 2, v0
	s_waitcnt lgkmcnt(0)
	s_lshl_b64 s[2:3], s[2:3], 2
	s_add_u32 s2, s0, s2
	s_addc_u32 s3, s1, s3
	s_add_i32 s7, s7, -1
	s_mul_i32 s10, s7, 0x700
	s_sub_u32 s22, s8, s10
	s_subb_u32 s23, s9, 0
	s_mul_i32 s0, s6, 0x700
	s_mov_b32 s1, 0
	s_cmp_lg_u32 s6, s7
	s_cselect_b64 s[16:17], -1, 0
	s_lshl_b64 s[0:1], s[0:1], 2
	s_add_u32 s0, s2, s0
	s_addc_u32 s1, s3, s1
	s_mov_b64 s[2:3], -1
	s_and_b64 vcc, exec, s[16:17]
	s_cbranch_vccz .LBB5044_2
; %bb.1:
	v_mov_b32_e32 v1, s1
	v_add_co_u32_e32 v2, vcc, s0, v18
	v_addc_co_u32_e32 v3, vcc, 0, v1, vcc
	flat_load_dword v1, v[2:3]
	flat_load_dword v4, v[2:3] offset:512
	flat_load_dword v5, v[2:3] offset:1024
	;; [unrolled: 1-line block ×7, first 2 shown]
	v_add_co_u32_e32 v2, vcc, 0x1000, v2
	v_addc_co_u32_e32 v3, vcc, 0, v3, vcc
	flat_load_dword v11, v[2:3]
	flat_load_dword v12, v[2:3] offset:512
	flat_load_dword v13, v[2:3] offset:1024
	;; [unrolled: 1-line block ×5, first 2 shown]
	s_mov_b64 s[2:3], 0
	s_waitcnt vmcnt(0) lgkmcnt(0)
	ds_write2st64_b32 v18, v1, v4 offset1:2
	ds_write2st64_b32 v18, v5, v6 offset0:4 offset1:6
	ds_write2st64_b32 v18, v7, v8 offset0:8 offset1:10
	;; [unrolled: 1-line block ×6, first 2 shown]
	s_waitcnt lgkmcnt(0)
	s_barrier
.LBB5044_2:
	s_load_dwordx2 s[18:19], s[4:5], 0x30
	s_andn2_b64 vcc, exec, s[2:3]
	s_cbranch_vccnz .LBB5044_32
; %bb.3:
	v_pk_mov_b32 v[2:3], s[0:1], s[0:1] op_sel:[0,1]
	flat_load_dword v1, v[2:3]
	v_cmp_gt_u32_e32 vcc, s22, v0
	s_waitcnt vmcnt(0) lgkmcnt(0)
	v_mov_b32_e32 v2, v1
	v_mov_b32_e32 v3, v1
	;; [unrolled: 1-line block ×12, first 2 shown]
	v_pk_mov_b32 v[16:17], v[14:15], v[14:15] op_sel:[0,1]
	v_pk_mov_b32 v[14:15], v[12:13], v[12:13] op_sel:[0,1]
	v_pk_mov_b32 v[12:13], v[10:11], v[10:11] op_sel:[0,1]
	v_pk_mov_b32 v[10:11], v[8:9], v[8:9] op_sel:[0,1]
	v_pk_mov_b32 v[8:9], v[6:7], v[6:7] op_sel:[0,1]
	v_pk_mov_b32 v[6:7], v[4:5], v[4:5] op_sel:[0,1]
	v_pk_mov_b32 v[4:5], v[2:3], v[2:3] op_sel:[0,1]
	v_pk_mov_b32 v[2:3], v[0:1], v[0:1] op_sel:[0,1]
	s_and_saveexec_b64 s[2:3], vcc
	s_cbranch_execz .LBB5044_5
; %bb.4:
	v_mov_b32_e32 v3, s1
	v_add_co_u32_e32 v2, vcc, s0, v18
	v_addc_co_u32_e32 v3, vcc, 0, v3, vcc
	flat_load_dword v19, v[2:3]
	v_mov_b32_e32 v2, v1
	v_mov_b32_e32 v3, v1
	;; [unrolled: 1-line block ×12, first 2 shown]
	v_pk_mov_b32 v[16:17], v[14:15], v[14:15] op_sel:[0,1]
	v_pk_mov_b32 v[14:15], v[12:13], v[12:13] op_sel:[0,1]
	;; [unrolled: 1-line block ×8, first 2 shown]
	s_waitcnt vmcnt(0) lgkmcnt(0)
	v_mov_b32_e32 v1, v19
.LBB5044_5:
	s_or_b64 exec, exec, s[2:3]
	v_or_b32_e32 v2, 0x80, v0
	v_cmp_gt_u32_e32 vcc, s22, v2
	s_and_saveexec_b64 s[2:3], vcc
	s_cbranch_execz .LBB5044_7
; %bb.6:
	v_mov_b32_e32 v3, s1
	v_add_co_u32_e32 v2, vcc, s0, v18
	v_addc_co_u32_e32 v3, vcc, 0, v3, vcc
	flat_load_dword v3, v[2:3] offset:512
.LBB5044_7:
	s_or_b64 exec, exec, s[2:3]
	v_or_b32_e32 v2, 0x100, v0
	v_cmp_gt_u32_e32 vcc, s22, v2
	s_and_saveexec_b64 s[2:3], vcc
	s_cbranch_execz .LBB5044_9
; %bb.8:
	v_mov_b32_e32 v2, s1
	v_add_co_u32_e32 v16, vcc, s0, v18
	v_addc_co_u32_e32 v17, vcc, 0, v2, vcc
	flat_load_dword v4, v[16:17] offset:1024
.LBB5044_9:
	s_or_b64 exec, exec, s[2:3]
	v_or_b32_e32 v2, 0x180, v0
	v_cmp_gt_u32_e32 vcc, s22, v2
	s_and_saveexec_b64 s[2:3], vcc
	s_cbranch_execz .LBB5044_11
; %bb.10:
	v_mov_b32_e32 v2, s1
	v_add_co_u32_e32 v16, vcc, s0, v18
	v_addc_co_u32_e32 v17, vcc, 0, v2, vcc
	flat_load_dword v5, v[16:17] offset:1536
.LBB5044_11:
	s_or_b64 exec, exec, s[2:3]
	v_or_b32_e32 v2, 0x200, v0
	v_cmp_gt_u32_e32 vcc, s22, v2
	s_and_saveexec_b64 s[2:3], vcc
	s_cbranch_execz .LBB5044_13
; %bb.12:
	v_mov_b32_e32 v2, s1
	v_add_co_u32_e32 v16, vcc, s0, v18
	v_addc_co_u32_e32 v17, vcc, 0, v2, vcc
	flat_load_dword v6, v[16:17] offset:2048
.LBB5044_13:
	s_or_b64 exec, exec, s[2:3]
	v_or_b32_e32 v2, 0x280, v0
	v_cmp_gt_u32_e32 vcc, s22, v2
	s_and_saveexec_b64 s[2:3], vcc
	s_cbranch_execz .LBB5044_15
; %bb.14:
	v_mov_b32_e32 v2, s1
	v_add_co_u32_e32 v16, vcc, s0, v18
	v_addc_co_u32_e32 v17, vcc, 0, v2, vcc
	flat_load_dword v7, v[16:17] offset:2560
.LBB5044_15:
	s_or_b64 exec, exec, s[2:3]
	v_or_b32_e32 v2, 0x300, v0
	v_cmp_gt_u32_e32 vcc, s22, v2
	s_and_saveexec_b64 s[2:3], vcc
	s_cbranch_execz .LBB5044_17
; %bb.16:
	v_mov_b32_e32 v2, s1
	v_add_co_u32_e32 v16, vcc, s0, v18
	v_addc_co_u32_e32 v17, vcc, 0, v2, vcc
	flat_load_dword v8, v[16:17] offset:3072
.LBB5044_17:
	s_or_b64 exec, exec, s[2:3]
	v_or_b32_e32 v2, 0x380, v0
	v_cmp_gt_u32_e32 vcc, s22, v2
	s_and_saveexec_b64 s[2:3], vcc
	s_cbranch_execz .LBB5044_19
; %bb.18:
	v_mov_b32_e32 v2, s1
	v_add_co_u32_e32 v16, vcc, s0, v18
	v_addc_co_u32_e32 v17, vcc, 0, v2, vcc
	flat_load_dword v9, v[16:17] offset:3584
.LBB5044_19:
	s_or_b64 exec, exec, s[2:3]
	v_or_b32_e32 v2, 0x400, v0
	v_cmp_gt_u32_e32 vcc, s22, v2
	s_and_saveexec_b64 s[2:3], vcc
	s_cbranch_execz .LBB5044_21
; %bb.20:
	v_lshlrev_b32_e32 v2, 2, v2
	v_mov_b32_e32 v10, s1
	v_add_co_u32_e32 v16, vcc, s0, v2
	v_addc_co_u32_e32 v17, vcc, 0, v10, vcc
	flat_load_dword v10, v[16:17]
.LBB5044_21:
	s_or_b64 exec, exec, s[2:3]
	v_or_b32_e32 v2, 0x480, v0
	v_cmp_gt_u32_e32 vcc, s22, v2
	s_and_saveexec_b64 s[2:3], vcc
	s_cbranch_execz .LBB5044_23
; %bb.22:
	v_lshlrev_b32_e32 v2, 2, v2
	v_mov_b32_e32 v11, s1
	v_add_co_u32_e32 v16, vcc, s0, v2
	v_addc_co_u32_e32 v17, vcc, 0, v11, vcc
	flat_load_dword v11, v[16:17]
.LBB5044_23:
	;; [unrolled: 12-line block ×6, first 2 shown]
	s_or_b64 exec, exec, s[2:3]
	s_waitcnt vmcnt(0) lgkmcnt(0)
	ds_write2st64_b32 v18, v1, v3 offset1:2
	ds_write2st64_b32 v18, v4, v5 offset0:4 offset1:6
	ds_write2st64_b32 v18, v6, v7 offset0:8 offset1:10
	;; [unrolled: 1-line block ×6, first 2 shown]
	s_waitcnt lgkmcnt(0)
	s_barrier
.LBB5044_32:
	v_mul_u32_u24_e32 v32, 14, v0
	v_lshlrev_b32_e32 v33, 2, v32
	s_waitcnt lgkmcnt(0)
	ds_read2_b64 v[2:5], v33 offset1:1
	ds_read2_b64 v[26:29], v33 offset0:2 offset1:3
	ds_read2_b64 v[22:25], v33 offset0:4 offset1:5
	ds_read_b64 v[30:31], v33 offset:48
	s_cmp_lg_u32 s6, 0
	v_lshrrev_b32_e32 v1, 5, v0
	v_cmp_gt_u32_e32 vcc, 64, v0
	s_waitcnt lgkmcnt(0)
	s_barrier
	s_cbranch_scc0 .LBB5044_61
; %bb.33:
	v_add_f32_e32 v6, v2, v3
	v_add_f32_e32 v6, v4, v6
	v_add_f32_e32 v6, v5, v6
	v_add_f32_e32 v6, v26, v6
	v_add_f32_e32 v6, v27, v6
	v_add_f32_e32 v6, v28, v6
	v_add_f32_e32 v6, v29, v6
	v_add_f32_e32 v6, v22, v6
	v_add_f32_e32 v6, v23, v6
	v_add_f32_e32 v6, v24, v6
	v_add_f32_e32 v6, v25, v6
	v_add_f32_e32 v6, v30, v6
	v_add_f32_e32 v16, v31, v6
	v_add_lshl_u32 v6, v1, v0, 2
	ds_write_b32 v6, v16
	s_waitcnt lgkmcnt(0)
	s_barrier
	s_and_saveexec_b64 s[10:11], vcc
	s_cbranch_execz .LBB5044_35
; %bb.34:
	v_lshlrev_b32_e32 v6, 1, v0
	v_lshrrev_b32_e32 v7, 4, v0
	v_add_lshl_u32 v8, v7, v6, 2
	ds_read2_b32 v[6:7], v8 offset1:1
	v_mbcnt_lo_u32_b32 v9, -1, 0
	v_mbcnt_hi_u32_b32 v9, -1, v9
	v_and_b32_e32 v10, 15, v9
	v_cmp_eq_u32_e64 s[0:1], 0, v10
	s_waitcnt lgkmcnt(0)
	v_add_f32_e32 v7, v6, v7
	v_cmp_lt_u32_e64 s[2:3], 3, v10
	v_cmp_lt_u32_e64 s[8:9], 31, v9
	v_mov_b32_dpp v11, v7 row_shr:1 row_mask:0xf bank_mask:0xf
	v_add_f32_e32 v11, v7, v11
	v_cndmask_b32_e64 v7, v11, v7, s[0:1]
	v_cmp_lt_u32_e64 s[0:1], 1, v10
	s_nop 0
	v_mov_b32_dpp v11, v7 row_shr:2 row_mask:0xf bank_mask:0xf
	v_add_f32_e32 v11, v7, v11
	v_cndmask_b32_e64 v11, v7, v11, s[0:1]
	; wave barrier
	s_nop 1
	v_mov_b32_dpp v12, v11 row_shr:4 row_mask:0xf bank_mask:0xf
	v_add_f32_e32 v12, v11, v12
	v_cndmask_b32_e64 v11, v11, v12, s[2:3]
	v_cmp_lt_u32_e64 s[2:3], 7, v10
	s_nop 0
	v_mov_b32_dpp v12, v11 row_shr:8 row_mask:0xf bank_mask:0xf
	v_add_f32_e32 v12, v11, v12
	v_cndmask_b32_e64 v10, v11, v12, s[2:3]
	v_and_b32_e32 v12, 16, v9
	v_cmp_eq_u32_e64 s[2:3], 0, v12
	v_mov_b32_dpp v11, v10 row_bcast:15 row_mask:0xf bank_mask:0xf
	v_add_f32_e32 v11, v10, v11
	v_cndmask_b32_e64 v10, v11, v10, s[2:3]
	v_cmp_lt_u32_e64 s[2:3], 15, v9
	s_or_b64 s[0:1], s[2:3], s[0:1]
	v_mov_b32_dpp v11, v10 row_bcast:31 row_mask:0xf bank_mask:0xf
	v_add_f32_e32 v11, v10, v11
	v_cndmask_b32_e64 v10, v10, v11, s[8:9]
	v_cndmask_b32_e64 v7, v7, v10, s[0:1]
	v_add_u32_e32 v10, -1, v9
	v_and_b32_e32 v11, 64, v9
	v_cmp_lt_i32_e64 s[0:1], v10, v11
	v_cndmask_b32_e64 v9, v10, v9, s[0:1]
	v_lshlrev_b32_e32 v9, 2, v9
	ds_bpermute_b32 v7, v9, v7
	v_cmp_eq_u32_e64 s[0:1], 0, v0
	s_waitcnt lgkmcnt(0)
	v_add_f32_e32 v6, v6, v7
	v_cndmask_b32_e64 v6, v6, v16, s[0:1]
	ds_write_b32 v8, v6
	; wave barrier
	ds_read_b32 v7, v8 offset:4
	s_waitcnt lgkmcnt(0)
	v_add_f32_e32 v6, v6, v7
	ds_write_b32 v8, v6 offset:4
.LBB5044_35:
	s_or_b64 exec, exec, s[10:11]
	v_cmp_eq_u32_e64 s[0:1], 0, v0
	v_cmp_ne_u32_e64 s[2:3], 0, v0
	s_waitcnt lgkmcnt(0)
	s_barrier
	s_and_saveexec_b64 s[8:9], s[2:3]
	s_cbranch_execz .LBB5044_37
; %bb.36:
	v_add_u32_e32 v6, -1, v0
	v_lshrrev_b32_e32 v7, 5, v6
	v_add_lshl_u32 v6, v7, v6, 2
	ds_read_b32 v16, v6
.LBB5044_37:
	s_or_b64 exec, exec, s[8:9]
	s_and_saveexec_b64 s[20:21], vcc
	s_cbranch_execz .LBB5044_60
; %bb.38:
	v_mov_b32_e32 v15, 0
	ds_read_b32 v6, v15 offset:520
	v_mbcnt_lo_u32_b32 v7, -1, 0
	v_mbcnt_hi_u32_b32 v9, -1, v7
	s_mov_b32 s11, 0
	v_cmp_eq_u32_e64 s[2:3], 0, v9
	s_and_saveexec_b64 s[8:9], s[2:3]
	s_cbranch_execz .LBB5044_40
; %bb.39:
	s_add_i32 s10, s6, 64
	s_lshl_b64 s[10:11], s[10:11], 3
	s_add_u32 s10, s18, s10
	v_mov_b32_e32 v7, 1
	s_addc_u32 s11, s19, s11
	s_waitcnt lgkmcnt(0)
	global_store_dwordx2 v15, v[6:7], s[10:11]
.LBB5044_40:
	s_or_b64 exec, exec, s[8:9]
	v_xad_u32 v8, v9, -1, s6
	v_add_u32_e32 v14, 64, v8
	v_lshlrev_b64 v[10:11], 3, v[14:15]
	v_mov_b32_e32 v7, s19
	v_add_co_u32_e32 v10, vcc, s18, v10
	v_addc_co_u32_e32 v11, vcc, v7, v11, vcc
	global_load_dwordx2 v[12:13], v[10:11], off glc
	s_waitcnt vmcnt(0)
	v_cmp_eq_u16_sdwa s[10:11], v13, v15 src0_sel:BYTE_0 src1_sel:DWORD
	s_and_saveexec_b64 s[8:9], s[10:11]
	s_cbranch_execz .LBB5044_46
; %bb.41:
	s_mov_b32 s7, 1
	s_mov_b64 s[10:11], 0
	v_mov_b32_e32 v7, 0
.LBB5044_42:                            ; =>This Loop Header: Depth=1
                                        ;     Child Loop BB5044_43 Depth 2
	s_max_u32 s12, s7, 1
.LBB5044_43:                            ;   Parent Loop BB5044_42 Depth=1
                                        ; =>  This Inner Loop Header: Depth=2
	s_add_i32 s12, s12, -1
	s_cmp_eq_u32 s12, 0
	s_sleep 1
	s_cbranch_scc0 .LBB5044_43
; %bb.44:                               ;   in Loop: Header=BB5044_42 Depth=1
	global_load_dwordx2 v[12:13], v[10:11], off glc
	s_cmp_lt_u32 s7, 32
	s_cselect_b64 s[12:13], -1, 0
	s_cmp_lg_u64 s[12:13], 0
	s_addc_u32 s7, s7, 0
	s_waitcnt vmcnt(0)
	v_cmp_ne_u16_sdwa s[12:13], v13, v7 src0_sel:BYTE_0 src1_sel:DWORD
	s_or_b64 s[10:11], s[12:13], s[10:11]
	s_andn2_b64 exec, exec, s[10:11]
	s_cbranch_execnz .LBB5044_42
; %bb.45:
	s_or_b64 exec, exec, s[10:11]
.LBB5044_46:
	s_or_b64 exec, exec, s[8:9]
	v_and_b32_e32 v17, 63, v9
	v_cmp_ne_u32_e32 vcc, 63, v17
	v_addc_co_u32_e32 v18, vcc, 0, v9, vcc
	v_mov_b32_e32 v7, 2
	v_lshlrev_b32_e32 v18, 2, v18
	v_cmp_eq_u16_sdwa s[8:9], v13, v7 src0_sel:BYTE_0 src1_sel:DWORD
	v_lshlrev_b64 v[10:11], v9, -1
	ds_bpermute_b32 v19, v18, v12
	v_and_b32_e32 v14, s9, v11
	v_or_b32_e32 v14, 0x80000000, v14
	v_and_b32_e32 v15, s8, v10
	v_ffbl_b32_e32 v14, v14
	v_add_u32_e32 v14, 32, v14
	v_ffbl_b32_e32 v15, v15
	v_cmp_gt_u32_e64 s[8:9], 62, v17
	v_min_u32_e32 v14, v15, v14
	s_waitcnt lgkmcnt(0)
	v_add_f32_e32 v15, v12, v19
	v_cndmask_b32_e64 v19, 0, 1, s[8:9]
	v_cmp_lt_u32_e32 vcc, v17, v14
	v_lshlrev_b32_e32 v19, 1, v19
	v_cndmask_b32_e32 v15, v12, v15, vcc
	v_add_lshl_u32 v19, v19, v9, 2
	ds_bpermute_b32 v21, v19, v15
	v_add_u32_e32 v20, 2, v17
	v_cmp_gt_u32_e64 s[8:9], v20, v14
	v_cmp_gt_u32_e64 s[10:11], 56, v17
	v_add_u32_e32 v34, 4, v17
	s_waitcnt lgkmcnt(0)
	v_add_f32_e32 v21, v15, v21
	v_cndmask_b32_e64 v15, v21, v15, s[8:9]
	v_cmp_gt_u32_e64 s[8:9], 60, v17
	v_cndmask_b32_e64 v21, 0, 1, s[8:9]
	v_lshlrev_b32_e32 v21, 2, v21
	v_add_lshl_u32 v21, v21, v9, 2
	ds_bpermute_b32 v35, v21, v15
	v_cmp_gt_u32_e64 s[8:9], v34, v14
	v_add_u32_e32 v36, 8, v17
	v_cmp_gt_u32_e64 s[12:13], 48, v17
	v_cmp_gt_u32_e64 s[14:15], 32, v17
	s_waitcnt lgkmcnt(0)
	v_add_f32_e32 v39, v15, v35
	v_cndmask_b32_e64 v35, 0, 1, s[10:11]
	v_lshlrev_b32_e32 v35, 3, v35
	v_cndmask_b32_e64 v37, v39, v15, s[8:9]
	v_add_lshl_u32 v35, v35, v9, 2
	ds_bpermute_b32 v38, v35, v37
	v_cmp_gt_u32_e64 s[10:11], v36, v14
	v_cndmask_b32_e32 v12, v12, v15, vcc
	v_cndmask_b32_e64 v12, v39, v12, s[8:9]
	s_waitcnt lgkmcnt(0)
	v_add_f32_e32 v42, v37, v38
	v_cndmask_b32_e64 v40, v42, v37, s[10:11]
	v_cndmask_b32_e64 v37, 0, 1, s[12:13]
	v_lshlrev_b32_e32 v37, 4, v37
	v_add_lshl_u32 v37, v37, v9, 2
	ds_bpermute_b32 v41, v37, v40
	v_add_u32_e32 v38, 16, v17
	v_cmp_gt_u32_e64 s[12:13], v38, v14
	v_cndmask_b32_e64 v12, v42, v12, s[10:11]
	s_waitcnt lgkmcnt(0)
	v_add_f32_e32 v43, v40, v41
	v_cndmask_b32_e64 v44, v43, v40, s[12:13]
	v_cndmask_b32_e64 v40, 0, 1, s[14:15]
	v_lshlrev_b32_e32 v40, 5, v40
	v_add_lshl_u32 v40, v40, v9, 2
	ds_bpermute_b32 v9, v40, v44
	v_add_u32_e32 v41, 32, v17
	v_cndmask_b32_e64 v12, v43, v12, s[12:13]
	v_cmp_gt_u32_e32 vcc, v41, v14
	s_waitcnt lgkmcnt(0)
	v_add_f32_e32 v9, v44, v9
	v_cndmask_b32_e32 v12, v9, v12, vcc
	v_mov_b32_e32 v9, 0
	s_branch .LBB5044_48
.LBB5044_47:                            ;   in Loop: Header=BB5044_48 Depth=1
	s_or_b64 exec, exec, s[8:9]
	v_cmp_eq_u16_sdwa s[8:9], v13, v7 src0_sel:BYTE_0 src1_sel:DWORD
	v_and_b32_e32 v14, s9, v11
	ds_bpermute_b32 v42, v18, v12
	v_or_b32_e32 v14, 0x80000000, v14
	v_and_b32_e32 v15, s8, v10
	v_ffbl_b32_e32 v14, v14
	v_add_u32_e32 v14, 32, v14
	v_ffbl_b32_e32 v15, v15
	v_min_u32_e32 v14, v15, v14
	s_waitcnt lgkmcnt(0)
	v_add_f32_e32 v15, v12, v42
	v_cmp_lt_u32_e32 vcc, v17, v14
	v_cndmask_b32_e32 v15, v12, v15, vcc
	ds_bpermute_b32 v42, v19, v15
	v_cmp_gt_u32_e64 s[8:9], v20, v14
	v_cmp_gt_u32_e64 s[10:11], v36, v14
	;; [unrolled: 1-line block ×3, first 2 shown]
	v_subrev_u32_e32 v8, 64, v8
	s_waitcnt lgkmcnt(0)
	v_add_f32_e32 v42, v15, v42
	v_cndmask_b32_e64 v15, v42, v15, s[8:9]
	ds_bpermute_b32 v42, v21, v15
	v_cmp_gt_u32_e64 s[8:9], v34, v14
	v_cndmask_b32_e32 v12, v12, v15, vcc
	v_cmp_gt_u32_e32 vcc, v41, v14
	s_waitcnt lgkmcnt(0)
	v_add_f32_e32 v42, v15, v42
	v_cndmask_b32_e64 v43, v42, v15, s[8:9]
	ds_bpermute_b32 v44, v35, v43
	v_cndmask_b32_e64 v12, v42, v12, s[8:9]
	s_waitcnt lgkmcnt(0)
	v_add_f32_e32 v44, v43, v44
	v_cndmask_b32_e64 v43, v44, v43, s[10:11]
	ds_bpermute_b32 v45, v37, v43
	v_cndmask_b32_e64 v12, v44, v12, s[10:11]
	;; [unrolled: 5-line block ×3, first 2 shown]
	s_waitcnt lgkmcnt(0)
	v_add_f32_e32 v15, v43, v46
	v_cndmask_b32_e32 v12, v15, v12, vcc
	v_add_f32_e32 v12, v39, v12
.LBB5044_48:                            ; =>This Loop Header: Depth=1
                                        ;     Child Loop BB5044_51 Depth 2
                                        ;       Child Loop BB5044_52 Depth 3
	v_cmp_ne_u16_sdwa s[8:9], v13, v7 src0_sel:BYTE_0 src1_sel:DWORD
	v_cndmask_b32_e64 v13, 0, 1, s[8:9]
	;;#ASMSTART
	;;#ASMEND
	v_cmp_ne_u32_e32 vcc, 0, v13
	s_cmp_lg_u64 vcc, exec
	v_mov_b32_e32 v39, v12
	s_cbranch_scc1 .LBB5044_55
; %bb.49:                               ;   in Loop: Header=BB5044_48 Depth=1
	v_lshlrev_b64 v[12:13], 3, v[8:9]
	v_mov_b32_e32 v15, s19
	v_add_co_u32_e32 v14, vcc, s18, v12
	v_addc_co_u32_e32 v15, vcc, v15, v13, vcc
	global_load_dwordx2 v[12:13], v[14:15], off glc
	s_waitcnt vmcnt(0)
	v_cmp_eq_u16_sdwa s[10:11], v13, v9 src0_sel:BYTE_0 src1_sel:DWORD
	s_and_saveexec_b64 s[8:9], s[10:11]
	s_cbranch_execz .LBB5044_47
; %bb.50:                               ;   in Loop: Header=BB5044_48 Depth=1
	s_mov_b32 s7, 1
	s_mov_b64 s[10:11], 0
.LBB5044_51:                            ;   Parent Loop BB5044_48 Depth=1
                                        ; =>  This Loop Header: Depth=2
                                        ;       Child Loop BB5044_52 Depth 3
	s_max_u32 s12, s7, 1
.LBB5044_52:                            ;   Parent Loop BB5044_48 Depth=1
                                        ;     Parent Loop BB5044_51 Depth=2
                                        ; =>    This Inner Loop Header: Depth=3
	s_add_i32 s12, s12, -1
	s_cmp_eq_u32 s12, 0
	s_sleep 1
	s_cbranch_scc0 .LBB5044_52
; %bb.53:                               ;   in Loop: Header=BB5044_51 Depth=2
	global_load_dwordx2 v[12:13], v[14:15], off glc
	s_cmp_lt_u32 s7, 32
	s_cselect_b64 s[12:13], -1, 0
	s_cmp_lg_u64 s[12:13], 0
	s_addc_u32 s7, s7, 0
	s_waitcnt vmcnt(0)
	v_cmp_ne_u16_sdwa s[12:13], v13, v9 src0_sel:BYTE_0 src1_sel:DWORD
	s_or_b64 s[10:11], s[12:13], s[10:11]
	s_andn2_b64 exec, exec, s[10:11]
	s_cbranch_execnz .LBB5044_51
; %bb.54:                               ;   in Loop: Header=BB5044_48 Depth=1
	s_or_b64 exec, exec, s[10:11]
	s_branch .LBB5044_47
.LBB5044_55:                            ;   in Loop: Header=BB5044_48 Depth=1
                                        ; implicit-def: $vgpr12
                                        ; implicit-def: $vgpr13
	s_cbranch_execz .LBB5044_48
; %bb.56:
	s_and_saveexec_b64 s[8:9], s[2:3]
	s_cbranch_execz .LBB5044_58
; %bb.57:
	s_add_i32 s2, s6, 64
	s_mov_b32 s3, 0
	s_lshl_b64 s[2:3], s[2:3], 3
	s_add_u32 s2, s18, s2
	v_add_f32_e32 v6, v6, v39
	v_mov_b32_e32 v7, 2
	s_addc_u32 s3, s19, s3
	v_mov_b32_e32 v8, 0
	global_store_dwordx2 v8, v[6:7], s[2:3]
.LBB5044_58:
	s_or_b64 exec, exec, s[8:9]
	s_and_b64 exec, exec, s[0:1]
	s_cbranch_execz .LBB5044_60
; %bb.59:
	v_mov_b32_e32 v6, 0
	ds_write_b32 v6, v39
.LBB5044_60:
	s_or_b64 exec, exec, s[20:21]
	v_mov_b32_e32 v6, 0
	s_waitcnt lgkmcnt(0)
	s_barrier
	ds_read_b32 v6, v6
	v_add_f32_e32 v7, v2, v16
	v_cndmask_b32_e64 v7, v7, v2, s[0:1]
	s_waitcnt lgkmcnt(0)
	v_add_f32_e32 v6, v7, v6
	v_add_f32_e32 v7, v3, v6
	;; [unrolled: 1-line block ×14, first 2 shown]
	s_load_dwordx8 s[8:15], s[4:5], 0x40
	s_branch .LBB5044_73
.LBB5044_61:
                                        ; implicit-def: $vgpr6_vgpr7_vgpr8_vgpr9_vgpr10_vgpr11_vgpr12_vgpr13_vgpr14_vgpr15_vgpr16_vgpr17_vgpr18_vgpr19_vgpr20_vgpr21
	s_load_dwordx8 s[8:15], s[4:5], 0x40
	s_cbranch_execz .LBB5044_73
; %bb.62:
	s_waitcnt lgkmcnt(0)
	s_cmp_lg_u64 s[12:13], 0
	s_cselect_b64 s[2:3], -1, 0
	v_cmp_eq_u32_e64 s[0:1], 0, v0
	v_cmp_ne_u32_e32 vcc, 0, v0
	s_and_b64 s[4:5], s[0:1], s[2:3]
	s_and_saveexec_b64 s[2:3], s[4:5]
	s_cbranch_execz .LBB5044_64
; %bb.63:
	v_mov_b32_e32 v6, 0
	global_load_dword v6, v6, s[8:9]
	s_waitcnt vmcnt(0)
	v_add_f32_e32 v2, v2, v6
.LBB5044_64:
	s_or_b64 exec, exec, s[2:3]
	v_add_f32_e32 v16, v2, v3
	v_add_f32_e32 v17, v4, v16
	;; [unrolled: 1-line block ×13, first 2 shown]
	v_add_lshl_u32 v1, v1, v0, 2
	v_cmp_gt_u32_e64 s[2:3], 64, v0
	ds_write_b32 v1, v15
	s_waitcnt lgkmcnt(0)
	s_barrier
	s_and_saveexec_b64 s[8:9], s[2:3]
	s_cbranch_execz .LBB5044_66
; %bb.65:
	v_lshlrev_b32_e32 v1, 1, v0
	v_lshrrev_b32_e32 v19, 4, v0
	v_add_lshl_u32 v1, v19, v1, 2
	ds_read2_b32 v[20:21], v1 offset1:1
	v_mbcnt_lo_u32_b32 v19, -1, 0
	v_mbcnt_hi_u32_b32 v19, -1, v19
	v_and_b32_e32 v34, 15, v19
	v_cmp_eq_u32_e64 s[2:3], 0, v34
	s_waitcnt lgkmcnt(0)
	v_add_f32_e32 v21, v20, v21
	v_cmp_lt_u32_e64 s[4:5], 3, v34
	v_cmp_lt_u32_e64 s[6:7], 31, v19
	v_mov_b32_dpp v35, v21 row_shr:1 row_mask:0xf bank_mask:0xf
	v_add_f32_e32 v35, v21, v35
	v_cndmask_b32_e64 v21, v35, v21, s[2:3]
	v_cmp_lt_u32_e64 s[2:3], 1, v34
	s_nop 0
	v_mov_b32_dpp v35, v21 row_shr:2 row_mask:0xf bank_mask:0xf
	v_add_f32_e32 v35, v21, v35
	v_cndmask_b32_e64 v35, v21, v35, s[2:3]
	; wave barrier
	s_nop 1
	v_mov_b32_dpp v36, v35 row_shr:4 row_mask:0xf bank_mask:0xf
	v_add_f32_e32 v36, v35, v36
	v_cndmask_b32_e64 v35, v35, v36, s[4:5]
	v_cmp_lt_u32_e64 s[4:5], 7, v34
	s_nop 0
	v_mov_b32_dpp v36, v35 row_shr:8 row_mask:0xf bank_mask:0xf
	v_add_f32_e32 v36, v35, v36
	v_cndmask_b32_e64 v34, v35, v36, s[4:5]
	v_and_b32_e32 v36, 16, v19
	v_cmp_eq_u32_e64 s[4:5], 0, v36
	v_mov_b32_dpp v35, v34 row_bcast:15 row_mask:0xf bank_mask:0xf
	v_add_f32_e32 v35, v34, v35
	v_cndmask_b32_e64 v34, v35, v34, s[4:5]
	v_cmp_lt_u32_e64 s[4:5], 15, v19
	s_or_b64 s[2:3], s[4:5], s[2:3]
	v_mov_b32_dpp v35, v34 row_bcast:31 row_mask:0xf bank_mask:0xf
	v_add_f32_e32 v35, v34, v35
	v_cndmask_b32_e64 v34, v34, v35, s[6:7]
	v_cndmask_b32_e64 v21, v21, v34, s[2:3]
	v_add_u32_e32 v34, -1, v19
	v_and_b32_e32 v35, 64, v19
	v_cmp_lt_i32_e64 s[2:3], v34, v35
	v_cndmask_b32_e64 v19, v34, v19, s[2:3]
	v_lshlrev_b32_e32 v19, 2, v19
	ds_bpermute_b32 v19, v19, v21
	s_waitcnt lgkmcnt(0)
	v_add_f32_e32 v19, v20, v19
	v_cndmask_b32_e64 v19, v19, v15, s[0:1]
	ds_write_b32 v1, v19
	; wave barrier
	ds_read_b32 v20, v1 offset:4
	s_waitcnt lgkmcnt(0)
	v_add_f32_e32 v19, v19, v20
	ds_write_b32 v1, v19 offset:4
.LBB5044_66:
	s_or_b64 exec, exec, s[8:9]
	v_mov_b32_e32 v1, v15
	s_waitcnt lgkmcnt(0)
	s_barrier
	s_and_saveexec_b64 s[0:1], vcc
	s_cbranch_execz .LBB5044_68
; %bb.67:
	v_add_u32_e32 v1, -1, v0
	v_lshrrev_b32_e32 v19, 5, v1
	v_add_lshl_u32 v1, v19, v1, 2
	ds_read_b32 v1, v1
.LBB5044_68:
	s_or_b64 exec, exec, s[0:1]
	s_and_saveexec_b64 s[0:1], vcc
	s_cbranch_execz .LBB5044_70
; %bb.69:
	s_waitcnt lgkmcnt(0)
	v_add_f32_e32 v2, v2, v1
	v_add_f32_e32 v16, v3, v2
	;; [unrolled: 1-line block ×14, first 2 shown]
	;;#ASMSTART
	;;#ASMEND
.LBB5044_70:
	s_or_b64 exec, exec, s[0:1]
	s_movk_i32 s0, 0x7f
	v_cmp_eq_u32_e32 vcc, s0, v0
	s_and_saveexec_b64 s[0:1], vcc
	s_cbranch_execz .LBB5044_72
; %bb.71:
	s_waitcnt lgkmcnt(0)
	v_mov_b32_e32 v1, 0
	v_mov_b32_e32 v5, 2
	;; [unrolled: 1-line block ×3, first 2 shown]
	global_store_dwordx2 v1, v[4:5], s[18:19] offset:512
.LBB5044_72:
	s_or_b64 exec, exec, s[0:1]
	v_mov_b32_e32 v3, v16
	v_mov_b32_e32 v4, v17
	;; [unrolled: 1-line block ×3, first 2 shown]
	v_pk_mov_b32 v[20:21], v[16:17], v[16:17] op_sel:[0,1]
	v_pk_mov_b32 v[18:19], v[14:15], v[14:15] op_sel:[0,1]
	v_pk_mov_b32 v[16:17], v[12:13], v[12:13] op_sel:[0,1]
	v_pk_mov_b32 v[14:15], v[10:11], v[10:11] op_sel:[0,1]
	v_pk_mov_b32 v[12:13], v[8:9], v[8:9] op_sel:[0,1]
	v_pk_mov_b32 v[10:11], v[6:7], v[6:7] op_sel:[0,1]
	v_pk_mov_b32 v[8:9], v[4:5], v[4:5] op_sel:[0,1]
	v_pk_mov_b32 v[6:7], v[2:3], v[2:3] op_sel:[0,1]
.LBB5044_73:
	s_mov_b64 s[0:1], -1
	s_and_b64 vcc, exec, s[16:17]
	s_waitcnt lgkmcnt(0)
	s_barrier
	ds_write2_b64 v33, v[6:7], v[8:9] offset1:1
	ds_write2_b64 v33, v[10:11], v[12:13] offset0:2 offset1:3
	ds_write2_b64 v33, v[14:15], v[16:17] offset0:4 offset1:5
	ds_write_b64 v33, v[18:19] offset:48
	s_waitcnt lgkmcnt(0)
	s_cbranch_vccz .LBB5044_75
; %bb.74:
	s_barrier
	s_mov_b64 s[0:1], 0
.LBB5044_75:
	s_andn2_b64 vcc, exec, s[0:1]
	s_cbranch_vccnz .LBB5044_127
; %bb.76:
	v_cmp_lt_u64_e64 s[0:1], s[14:15], 2
	s_and_b64 vcc, exec, s[0:1]
	s_barrier
	s_cbranch_vccnz .LBB5044_127
; %bb.77:
	s_add_u32 s0, s22, -1
	s_addc_u32 s1, s23, -1
	s_add_u32 s2, 0, 0x49240800
	s_addc_u32 s3, 0, 50
	s_add_i32 s3, s3, 0x12492460
	s_mul_hi_u32 s7, s2, -14
	s_sub_i32 s7, s7, s2
	s_mul_i32 s8, s3, -14
	s_mul_i32 s4, s2, -14
	s_add_i32 s7, s7, s8
	s_mul_hi_u32 s5, s3, s4
	s_mul_i32 s6, s3, s4
	s_mul_i32 s9, s2, s7
	s_mul_hi_u32 s4, s2, s4
	s_mul_hi_u32 s8, s2, s7
	s_add_u32 s4, s4, s9
	s_addc_u32 s8, 0, s8
	s_add_u32 s4, s4, s6
	s_mul_hi_u32 s9, s3, s7
	s_addc_u32 s4, s8, s5
	s_addc_u32 s5, s9, 0
	s_mul_i32 s6, s3, s7
	s_add_u32 s4, s4, s6
	v_mov_b32_e32 v2, s4
	s_addc_u32 s5, 0, s5
	v_add_co_u32_e32 v2, vcc, s2, v2
	s_cmp_lg_u64 vcc, 0
	s_addc_u32 s2, s3, s5
	v_readfirstlane_b32 s5, v2
	s_mul_i32 s4, s0, s2
	s_mul_hi_u32 s6, s0, s5
	s_mul_hi_u32 s3, s0, s2
	s_add_u32 s4, s6, s4
	s_addc_u32 s3, 0, s3
	s_mul_hi_u32 s7, s1, s5
	s_mul_i32 s5, s1, s5
	s_add_u32 s4, s4, s5
	s_mul_hi_u32 s6, s1, s2
	s_addc_u32 s3, s3, s7
	s_addc_u32 s4, s6, 0
	s_mul_i32 s2, s1, s2
	s_add_u32 s2, s3, s2
	s_addc_u32 s3, 0, s4
	s_add_u32 s4, s2, 1
	s_addc_u32 s5, s3, 0
	s_add_u32 s6, s2, 2
	s_mul_i32 s8, s3, 14
	s_mul_hi_u32 s9, s2, 14
	s_addc_u32 s7, s3, 0
	s_add_i32 s9, s9, s8
	s_mul_i32 s8, s2, 14
	v_mov_b32_e32 v2, s8
	v_sub_co_u32_e32 v2, vcc, s0, v2
	s_cmp_lg_u64 vcc, 0
	s_subb_u32 s8, s1, s9
	v_subrev_co_u32_e32 v3, vcc, 14, v2
	s_cmp_lg_u64 vcc, 0
	s_subb_u32 s9, s8, 0
	v_readfirstlane_b32 s12, v3
	s_cmp_gt_u32 s12, 13
	s_cselect_b32 s12, -1, 0
	s_cmp_eq_u32 s9, 0
	s_cselect_b32 s9, s12, -1
	s_cmp_lg_u32 s9, 0
	s_cselect_b32 s4, s6, s4
	v_readfirstlane_b32 s6, v2
	s_cselect_b32 s5, s7, s5
	s_cmp_gt_u32 s6, 13
	s_cselect_b32 s6, -1, 0
	s_cmp_eq_u32 s8, 0
	s_cselect_b32 s6, s6, -1
	s_cmp_lg_u32 s6, 0
	v_mov_b32_e32 v1, 0
	s_cselect_b32 s3, s5, s3
	s_cselect_b32 s2, s4, s2
	v_cmp_eq_u64_e32 vcc, s[2:3], v[0:1]
	s_and_saveexec_b64 s[2:3], vcc
	s_cbranch_execz .LBB5044_127
; %bb.78:
	s_movk_i32 s2, 0xffcc
	v_mad_i32_i24 v2, v0, s2, v33
	v_mul_hi_u32_u24_e32 v1, 14, v0
	v_mov_b32_e32 v3, s1
	v_sub_co_u32_e32 v0, vcc, s0, v32
	v_subb_co_u32_e32 v1, vcc, v3, v1, vcc
	v_cmp_lt_i64_e32 vcc, 6, v[0:1]
	s_and_saveexec_b64 s[0:1], vcc
	s_xor_b64 s[0:1], exec, s[0:1]
	s_cbranch_execz .LBB5044_104
; %bb.79:
	v_cmp_lt_i64_e32 vcc, 9, v[0:1]
	s_and_saveexec_b64 s[2:3], vcc
	s_xor_b64 s[2:3], exec, s[2:3]
	s_cbranch_execz .LBB5044_93
; %bb.80:
	;; [unrolled: 5-line block ×4, first 2 shown]
	ds_read_b32 v0, v2 offset:6656
	v_mov_b32_e32 v1, 0
                                        ; implicit-def: $vgpr2
	s_waitcnt lgkmcnt(0)
	global_store_dword v1, v0, s[10:11]
.LBB5044_83:
	s_andn2_saveexec_b64 s[6:7], s[6:7]
	s_cbranch_execz .LBB5044_85
; %bb.84:
	ds_read_b32 v0, v2 offset:6144
	v_mov_b32_e32 v1, 0
	s_waitcnt lgkmcnt(0)
	global_store_dword v1, v0, s[10:11]
.LBB5044_85:
	s_or_b64 exec, exec, s[6:7]
                                        ; implicit-def: $vgpr2
                                        ; implicit-def: $vgpr0_vgpr1
.LBB5044_86:
	s_andn2_saveexec_b64 s[4:5], s[4:5]
	s_cbranch_execz .LBB5044_92
; %bb.87:
	v_cmp_lt_i64_e32 vcc, 10, v[0:1]
	s_and_saveexec_b64 s[6:7], vcc
	s_xor_b64 s[6:7], exec, s[6:7]
	s_cbranch_execz .LBB5044_89
; %bb.88:
	ds_read_b32 v0, v2 offset:5632
	v_mov_b32_e32 v1, 0
                                        ; implicit-def: $vgpr2
	s_waitcnt lgkmcnt(0)
	global_store_dword v1, v0, s[10:11]
.LBB5044_89:
	s_andn2_saveexec_b64 s[6:7], s[6:7]
	s_cbranch_execz .LBB5044_91
; %bb.90:
	ds_read_b32 v0, v2 offset:5120
	v_mov_b32_e32 v1, 0
	s_waitcnt lgkmcnt(0)
	global_store_dword v1, v0, s[10:11]
.LBB5044_91:
	s_or_b64 exec, exec, s[6:7]
.LBB5044_92:
	s_or_b64 exec, exec, s[4:5]
                                        ; implicit-def: $vgpr2
                                        ; implicit-def: $vgpr0_vgpr1
.LBB5044_93:
	s_andn2_saveexec_b64 s[2:3], s[2:3]
	s_cbranch_execz .LBB5044_103
; %bb.94:
	v_cmp_lt_i64_e32 vcc, 7, v[0:1]
	s_and_saveexec_b64 s[4:5], vcc
	s_xor_b64 s[4:5], exec, s[4:5]
	s_cbranch_execz .LBB5044_100
; %bb.95:
	v_cmp_lt_i64_e32 vcc, 8, v[0:1]
	s_and_saveexec_b64 s[6:7], vcc
	s_xor_b64 s[6:7], exec, s[6:7]
	s_cbranch_execz .LBB5044_97
; %bb.96:
	ds_read_b32 v0, v2 offset:4608
	v_mov_b32_e32 v1, 0
                                        ; implicit-def: $vgpr2
	s_waitcnt lgkmcnt(0)
	global_store_dword v1, v0, s[10:11]
.LBB5044_97:
	s_andn2_saveexec_b64 s[6:7], s[6:7]
	s_cbranch_execz .LBB5044_99
; %bb.98:
	ds_read_b32 v0, v2 offset:4096
	v_mov_b32_e32 v1, 0
	s_waitcnt lgkmcnt(0)
	global_store_dword v1, v0, s[10:11]
.LBB5044_99:
	s_or_b64 exec, exec, s[6:7]
                                        ; implicit-def: $vgpr2
.LBB5044_100:
	s_andn2_saveexec_b64 s[4:5], s[4:5]
	s_cbranch_execz .LBB5044_102
; %bb.101:
	ds_read_b32 v0, v2 offset:3584
	v_mov_b32_e32 v1, 0
	s_waitcnt lgkmcnt(0)
	global_store_dword v1, v0, s[10:11]
.LBB5044_102:
	s_or_b64 exec, exec, s[4:5]
.LBB5044_103:
	s_or_b64 exec, exec, s[2:3]
                                        ; implicit-def: $vgpr0_vgpr1
                                        ; implicit-def: $vgpr2
.LBB5044_104:
	s_andn2_saveexec_b64 s[0:1], s[0:1]
	s_cbranch_execz .LBB5044_127
; %bb.105:
	v_cmp_lt_i64_e32 vcc, 3, v[0:1]
	s_and_saveexec_b64 s[0:1], vcc
	s_xor_b64 s[0:1], exec, s[0:1]
	s_cbranch_execz .LBB5044_115
; %bb.106:
	v_cmp_lt_i64_e32 vcc, 4, v[0:1]
	s_and_saveexec_b64 s[2:3], vcc
	s_xor_b64 s[2:3], exec, s[2:3]
	;; [unrolled: 5-line block ×3, first 2 shown]
	s_cbranch_execz .LBB5044_109
; %bb.108:
	ds_read_b32 v0, v2 offset:3072
	v_mov_b32_e32 v1, 0
                                        ; implicit-def: $vgpr2
	s_waitcnt lgkmcnt(0)
	global_store_dword v1, v0, s[10:11]
.LBB5044_109:
	s_andn2_saveexec_b64 s[4:5], s[4:5]
	s_cbranch_execz .LBB5044_111
; %bb.110:
	ds_read_b32 v0, v2 offset:2560
	v_mov_b32_e32 v1, 0
	s_waitcnt lgkmcnt(0)
	global_store_dword v1, v0, s[10:11]
.LBB5044_111:
	s_or_b64 exec, exec, s[4:5]
                                        ; implicit-def: $vgpr2
.LBB5044_112:
	s_andn2_saveexec_b64 s[2:3], s[2:3]
	s_cbranch_execz .LBB5044_114
; %bb.113:
	ds_read_b32 v0, v2 offset:2048
	v_mov_b32_e32 v1, 0
	s_waitcnt lgkmcnt(0)
	global_store_dword v1, v0, s[10:11]
.LBB5044_114:
	s_or_b64 exec, exec, s[2:3]
                                        ; implicit-def: $vgpr0_vgpr1
                                        ; implicit-def: $vgpr2
.LBB5044_115:
	s_andn2_saveexec_b64 s[0:1], s[0:1]
	s_cbranch_execz .LBB5044_127
; %bb.116:
	v_cmp_lt_i64_e32 vcc, 1, v[0:1]
	s_and_saveexec_b64 s[0:1], vcc
	s_xor_b64 s[0:1], exec, s[0:1]
	s_cbranch_execz .LBB5044_122
; %bb.117:
	v_cmp_lt_i64_e32 vcc, 2, v[0:1]
	s_and_saveexec_b64 s[2:3], vcc
	s_xor_b64 s[2:3], exec, s[2:3]
	s_cbranch_execz .LBB5044_119
; %bb.118:
	ds_read_b32 v0, v2 offset:1536
	v_mov_b32_e32 v1, 0
                                        ; implicit-def: $vgpr2
	s_waitcnt lgkmcnt(0)
	global_store_dword v1, v0, s[10:11]
.LBB5044_119:
	s_andn2_saveexec_b64 s[2:3], s[2:3]
	s_cbranch_execz .LBB5044_121
; %bb.120:
	ds_read_b32 v0, v2 offset:1024
	v_mov_b32_e32 v1, 0
	s_waitcnt lgkmcnt(0)
	global_store_dword v1, v0, s[10:11]
.LBB5044_121:
	s_or_b64 exec, exec, s[2:3]
                                        ; implicit-def: $vgpr2
                                        ; implicit-def: $vgpr0_vgpr1
.LBB5044_122:
	s_andn2_saveexec_b64 s[0:1], s[0:1]
	s_cbranch_execz .LBB5044_127
; %bb.123:
	v_cmp_ne_u64_e32 vcc, 1, v[0:1]
	s_and_saveexec_b64 s[0:1], vcc
	s_xor_b64 s[0:1], exec, s[0:1]
	s_cbranch_execz .LBB5044_125
; %bb.124:
	ds_read_b32 v0, v2
	v_mov_b32_e32 v1, 0
                                        ; implicit-def: $vgpr2
	s_waitcnt lgkmcnt(0)
	global_store_dword v1, v0, s[10:11]
.LBB5044_125:
	s_andn2_saveexec_b64 s[0:1], s[0:1]
	s_cbranch_execz .LBB5044_127
; %bb.126:
	ds_read_b32 v0, v2 offset:512
	v_mov_b32_e32 v1, 0
	s_waitcnt lgkmcnt(0)
	global_store_dword v1, v0, s[10:11]
.LBB5044_127:
	s_endpgm
	.section	.rodata,"a",@progbits
	.p2align	6, 0x0
	.amdhsa_kernel _ZN7rocprim17ROCPRIM_400000_NS6detail17trampoline_kernelINS0_14default_configENS1_20scan_config_selectorIfEEZZNS1_9scan_implILNS1_25lookback_scan_determinismE0ELb0ELb0ES3_N6thrust23THRUST_200600_302600_NS6detail15normal_iteratorINS9_10device_ptrIfEEEENS9_16discard_iteratorINS9_11use_defaultEEEfNS9_4plusIvEEfEEDaPvRmT3_T4_T5_mT6_P12ihipStream_tbENKUlT_T0_E_clISt17integral_constantIbLb1EESW_IbLb0EEEEDaSS_ST_EUlSS_E_NS1_11comp_targetILNS1_3genE4ELNS1_11target_archE910ELNS1_3gpuE8ELNS1_3repE0EEENS1_30default_config_static_selectorELNS0_4arch9wavefront6targetE1EEEvT1_
		.amdhsa_group_segment_fixed_size 7168
		.amdhsa_private_segment_fixed_size 0
		.amdhsa_kernarg_size 104
		.amdhsa_user_sgpr_count 6
		.amdhsa_user_sgpr_private_segment_buffer 1
		.amdhsa_user_sgpr_dispatch_ptr 0
		.amdhsa_user_sgpr_queue_ptr 0
		.amdhsa_user_sgpr_kernarg_segment_ptr 1
		.amdhsa_user_sgpr_dispatch_id 0
		.amdhsa_user_sgpr_flat_scratch_init 0
		.amdhsa_user_sgpr_kernarg_preload_length 0
		.amdhsa_user_sgpr_kernarg_preload_offset 0
		.amdhsa_user_sgpr_private_segment_size 0
		.amdhsa_uses_dynamic_stack 0
		.amdhsa_system_sgpr_private_segment_wavefront_offset 0
		.amdhsa_system_sgpr_workgroup_id_x 1
		.amdhsa_system_sgpr_workgroup_id_y 0
		.amdhsa_system_sgpr_workgroup_id_z 0
		.amdhsa_system_sgpr_workgroup_info 0
		.amdhsa_system_vgpr_workitem_id 0
		.amdhsa_next_free_vgpr 47
		.amdhsa_next_free_sgpr 24
		.amdhsa_accum_offset 48
		.amdhsa_reserve_vcc 1
		.amdhsa_reserve_flat_scratch 0
		.amdhsa_float_round_mode_32 0
		.amdhsa_float_round_mode_16_64 0
		.amdhsa_float_denorm_mode_32 3
		.amdhsa_float_denorm_mode_16_64 3
		.amdhsa_dx10_clamp 1
		.amdhsa_ieee_mode 1
		.amdhsa_fp16_overflow 0
		.amdhsa_tg_split 0
		.amdhsa_exception_fp_ieee_invalid_op 0
		.amdhsa_exception_fp_denorm_src 0
		.amdhsa_exception_fp_ieee_div_zero 0
		.amdhsa_exception_fp_ieee_overflow 0
		.amdhsa_exception_fp_ieee_underflow 0
		.amdhsa_exception_fp_ieee_inexact 0
		.amdhsa_exception_int_div_zero 0
	.end_amdhsa_kernel
	.section	.text._ZN7rocprim17ROCPRIM_400000_NS6detail17trampoline_kernelINS0_14default_configENS1_20scan_config_selectorIfEEZZNS1_9scan_implILNS1_25lookback_scan_determinismE0ELb0ELb0ES3_N6thrust23THRUST_200600_302600_NS6detail15normal_iteratorINS9_10device_ptrIfEEEENS9_16discard_iteratorINS9_11use_defaultEEEfNS9_4plusIvEEfEEDaPvRmT3_T4_T5_mT6_P12ihipStream_tbENKUlT_T0_E_clISt17integral_constantIbLb1EESW_IbLb0EEEEDaSS_ST_EUlSS_E_NS1_11comp_targetILNS1_3genE4ELNS1_11target_archE910ELNS1_3gpuE8ELNS1_3repE0EEENS1_30default_config_static_selectorELNS0_4arch9wavefront6targetE1EEEvT1_,"axG",@progbits,_ZN7rocprim17ROCPRIM_400000_NS6detail17trampoline_kernelINS0_14default_configENS1_20scan_config_selectorIfEEZZNS1_9scan_implILNS1_25lookback_scan_determinismE0ELb0ELb0ES3_N6thrust23THRUST_200600_302600_NS6detail15normal_iteratorINS9_10device_ptrIfEEEENS9_16discard_iteratorINS9_11use_defaultEEEfNS9_4plusIvEEfEEDaPvRmT3_T4_T5_mT6_P12ihipStream_tbENKUlT_T0_E_clISt17integral_constantIbLb1EESW_IbLb0EEEEDaSS_ST_EUlSS_E_NS1_11comp_targetILNS1_3genE4ELNS1_11target_archE910ELNS1_3gpuE8ELNS1_3repE0EEENS1_30default_config_static_selectorELNS0_4arch9wavefront6targetE1EEEvT1_,comdat
.Lfunc_end5044:
	.size	_ZN7rocprim17ROCPRIM_400000_NS6detail17trampoline_kernelINS0_14default_configENS1_20scan_config_selectorIfEEZZNS1_9scan_implILNS1_25lookback_scan_determinismE0ELb0ELb0ES3_N6thrust23THRUST_200600_302600_NS6detail15normal_iteratorINS9_10device_ptrIfEEEENS9_16discard_iteratorINS9_11use_defaultEEEfNS9_4plusIvEEfEEDaPvRmT3_T4_T5_mT6_P12ihipStream_tbENKUlT_T0_E_clISt17integral_constantIbLb1EESW_IbLb0EEEEDaSS_ST_EUlSS_E_NS1_11comp_targetILNS1_3genE4ELNS1_11target_archE910ELNS1_3gpuE8ELNS1_3repE0EEENS1_30default_config_static_selectorELNS0_4arch9wavefront6targetE1EEEvT1_, .Lfunc_end5044-_ZN7rocprim17ROCPRIM_400000_NS6detail17trampoline_kernelINS0_14default_configENS1_20scan_config_selectorIfEEZZNS1_9scan_implILNS1_25lookback_scan_determinismE0ELb0ELb0ES3_N6thrust23THRUST_200600_302600_NS6detail15normal_iteratorINS9_10device_ptrIfEEEENS9_16discard_iteratorINS9_11use_defaultEEEfNS9_4plusIvEEfEEDaPvRmT3_T4_T5_mT6_P12ihipStream_tbENKUlT_T0_E_clISt17integral_constantIbLb1EESW_IbLb0EEEEDaSS_ST_EUlSS_E_NS1_11comp_targetILNS1_3genE4ELNS1_11target_archE910ELNS1_3gpuE8ELNS1_3repE0EEENS1_30default_config_static_selectorELNS0_4arch9wavefront6targetE1EEEvT1_
                                        ; -- End function
	.section	.AMDGPU.csdata,"",@progbits
; Kernel info:
; codeLenInByte = 5008
; NumSgprs: 28
; NumVgprs: 47
; NumAgprs: 0
; TotalNumVgprs: 47
; ScratchSize: 0
; MemoryBound: 0
; FloatMode: 240
; IeeeMode: 1
; LDSByteSize: 7168 bytes/workgroup (compile time only)
; SGPRBlocks: 3
; VGPRBlocks: 5
; NumSGPRsForWavesPerEU: 28
; NumVGPRsForWavesPerEU: 47
; AccumOffset: 48
; Occupancy: 5
; WaveLimiterHint : 1
; COMPUTE_PGM_RSRC2:SCRATCH_EN: 0
; COMPUTE_PGM_RSRC2:USER_SGPR: 6
; COMPUTE_PGM_RSRC2:TRAP_HANDLER: 0
; COMPUTE_PGM_RSRC2:TGID_X_EN: 1
; COMPUTE_PGM_RSRC2:TGID_Y_EN: 0
; COMPUTE_PGM_RSRC2:TGID_Z_EN: 0
; COMPUTE_PGM_RSRC2:TIDIG_COMP_CNT: 0
; COMPUTE_PGM_RSRC3_GFX90A:ACCUM_OFFSET: 11
; COMPUTE_PGM_RSRC3_GFX90A:TG_SPLIT: 0
	.section	.text._ZN7rocprim17ROCPRIM_400000_NS6detail17trampoline_kernelINS0_14default_configENS1_20scan_config_selectorIfEEZZNS1_9scan_implILNS1_25lookback_scan_determinismE0ELb0ELb0ES3_N6thrust23THRUST_200600_302600_NS6detail15normal_iteratorINS9_10device_ptrIfEEEENS9_16discard_iteratorINS9_11use_defaultEEEfNS9_4plusIvEEfEEDaPvRmT3_T4_T5_mT6_P12ihipStream_tbENKUlT_T0_E_clISt17integral_constantIbLb1EESW_IbLb0EEEEDaSS_ST_EUlSS_E_NS1_11comp_targetILNS1_3genE3ELNS1_11target_archE908ELNS1_3gpuE7ELNS1_3repE0EEENS1_30default_config_static_selectorELNS0_4arch9wavefront6targetE1EEEvT1_,"axG",@progbits,_ZN7rocprim17ROCPRIM_400000_NS6detail17trampoline_kernelINS0_14default_configENS1_20scan_config_selectorIfEEZZNS1_9scan_implILNS1_25lookback_scan_determinismE0ELb0ELb0ES3_N6thrust23THRUST_200600_302600_NS6detail15normal_iteratorINS9_10device_ptrIfEEEENS9_16discard_iteratorINS9_11use_defaultEEEfNS9_4plusIvEEfEEDaPvRmT3_T4_T5_mT6_P12ihipStream_tbENKUlT_T0_E_clISt17integral_constantIbLb1EESW_IbLb0EEEEDaSS_ST_EUlSS_E_NS1_11comp_targetILNS1_3genE3ELNS1_11target_archE908ELNS1_3gpuE7ELNS1_3repE0EEENS1_30default_config_static_selectorELNS0_4arch9wavefront6targetE1EEEvT1_,comdat
	.protected	_ZN7rocprim17ROCPRIM_400000_NS6detail17trampoline_kernelINS0_14default_configENS1_20scan_config_selectorIfEEZZNS1_9scan_implILNS1_25lookback_scan_determinismE0ELb0ELb0ES3_N6thrust23THRUST_200600_302600_NS6detail15normal_iteratorINS9_10device_ptrIfEEEENS9_16discard_iteratorINS9_11use_defaultEEEfNS9_4plusIvEEfEEDaPvRmT3_T4_T5_mT6_P12ihipStream_tbENKUlT_T0_E_clISt17integral_constantIbLb1EESW_IbLb0EEEEDaSS_ST_EUlSS_E_NS1_11comp_targetILNS1_3genE3ELNS1_11target_archE908ELNS1_3gpuE7ELNS1_3repE0EEENS1_30default_config_static_selectorELNS0_4arch9wavefront6targetE1EEEvT1_ ; -- Begin function _ZN7rocprim17ROCPRIM_400000_NS6detail17trampoline_kernelINS0_14default_configENS1_20scan_config_selectorIfEEZZNS1_9scan_implILNS1_25lookback_scan_determinismE0ELb0ELb0ES3_N6thrust23THRUST_200600_302600_NS6detail15normal_iteratorINS9_10device_ptrIfEEEENS9_16discard_iteratorINS9_11use_defaultEEEfNS9_4plusIvEEfEEDaPvRmT3_T4_T5_mT6_P12ihipStream_tbENKUlT_T0_E_clISt17integral_constantIbLb1EESW_IbLb0EEEEDaSS_ST_EUlSS_E_NS1_11comp_targetILNS1_3genE3ELNS1_11target_archE908ELNS1_3gpuE7ELNS1_3repE0EEENS1_30default_config_static_selectorELNS0_4arch9wavefront6targetE1EEEvT1_
	.globl	_ZN7rocprim17ROCPRIM_400000_NS6detail17trampoline_kernelINS0_14default_configENS1_20scan_config_selectorIfEEZZNS1_9scan_implILNS1_25lookback_scan_determinismE0ELb0ELb0ES3_N6thrust23THRUST_200600_302600_NS6detail15normal_iteratorINS9_10device_ptrIfEEEENS9_16discard_iteratorINS9_11use_defaultEEEfNS9_4plusIvEEfEEDaPvRmT3_T4_T5_mT6_P12ihipStream_tbENKUlT_T0_E_clISt17integral_constantIbLb1EESW_IbLb0EEEEDaSS_ST_EUlSS_E_NS1_11comp_targetILNS1_3genE3ELNS1_11target_archE908ELNS1_3gpuE7ELNS1_3repE0EEENS1_30default_config_static_selectorELNS0_4arch9wavefront6targetE1EEEvT1_
	.p2align	8
	.type	_ZN7rocprim17ROCPRIM_400000_NS6detail17trampoline_kernelINS0_14default_configENS1_20scan_config_selectorIfEEZZNS1_9scan_implILNS1_25lookback_scan_determinismE0ELb0ELb0ES3_N6thrust23THRUST_200600_302600_NS6detail15normal_iteratorINS9_10device_ptrIfEEEENS9_16discard_iteratorINS9_11use_defaultEEEfNS9_4plusIvEEfEEDaPvRmT3_T4_T5_mT6_P12ihipStream_tbENKUlT_T0_E_clISt17integral_constantIbLb1EESW_IbLb0EEEEDaSS_ST_EUlSS_E_NS1_11comp_targetILNS1_3genE3ELNS1_11target_archE908ELNS1_3gpuE7ELNS1_3repE0EEENS1_30default_config_static_selectorELNS0_4arch9wavefront6targetE1EEEvT1_,@function
_ZN7rocprim17ROCPRIM_400000_NS6detail17trampoline_kernelINS0_14default_configENS1_20scan_config_selectorIfEEZZNS1_9scan_implILNS1_25lookback_scan_determinismE0ELb0ELb0ES3_N6thrust23THRUST_200600_302600_NS6detail15normal_iteratorINS9_10device_ptrIfEEEENS9_16discard_iteratorINS9_11use_defaultEEEfNS9_4plusIvEEfEEDaPvRmT3_T4_T5_mT6_P12ihipStream_tbENKUlT_T0_E_clISt17integral_constantIbLb1EESW_IbLb0EEEEDaSS_ST_EUlSS_E_NS1_11comp_targetILNS1_3genE3ELNS1_11target_archE908ELNS1_3gpuE7ELNS1_3repE0EEENS1_30default_config_static_selectorELNS0_4arch9wavefront6targetE1EEEvT1_: ; @_ZN7rocprim17ROCPRIM_400000_NS6detail17trampoline_kernelINS0_14default_configENS1_20scan_config_selectorIfEEZZNS1_9scan_implILNS1_25lookback_scan_determinismE0ELb0ELb0ES3_N6thrust23THRUST_200600_302600_NS6detail15normal_iteratorINS9_10device_ptrIfEEEENS9_16discard_iteratorINS9_11use_defaultEEEfNS9_4plusIvEEfEEDaPvRmT3_T4_T5_mT6_P12ihipStream_tbENKUlT_T0_E_clISt17integral_constantIbLb1EESW_IbLb0EEEEDaSS_ST_EUlSS_E_NS1_11comp_targetILNS1_3genE3ELNS1_11target_archE908ELNS1_3gpuE7ELNS1_3repE0EEENS1_30default_config_static_selectorELNS0_4arch9wavefront6targetE1EEEvT1_
; %bb.0:
	.section	.rodata,"a",@progbits
	.p2align	6, 0x0
	.amdhsa_kernel _ZN7rocprim17ROCPRIM_400000_NS6detail17trampoline_kernelINS0_14default_configENS1_20scan_config_selectorIfEEZZNS1_9scan_implILNS1_25lookback_scan_determinismE0ELb0ELb0ES3_N6thrust23THRUST_200600_302600_NS6detail15normal_iteratorINS9_10device_ptrIfEEEENS9_16discard_iteratorINS9_11use_defaultEEEfNS9_4plusIvEEfEEDaPvRmT3_T4_T5_mT6_P12ihipStream_tbENKUlT_T0_E_clISt17integral_constantIbLb1EESW_IbLb0EEEEDaSS_ST_EUlSS_E_NS1_11comp_targetILNS1_3genE3ELNS1_11target_archE908ELNS1_3gpuE7ELNS1_3repE0EEENS1_30default_config_static_selectorELNS0_4arch9wavefront6targetE1EEEvT1_
		.amdhsa_group_segment_fixed_size 0
		.amdhsa_private_segment_fixed_size 0
		.amdhsa_kernarg_size 104
		.amdhsa_user_sgpr_count 6
		.amdhsa_user_sgpr_private_segment_buffer 1
		.amdhsa_user_sgpr_dispatch_ptr 0
		.amdhsa_user_sgpr_queue_ptr 0
		.amdhsa_user_sgpr_kernarg_segment_ptr 1
		.amdhsa_user_sgpr_dispatch_id 0
		.amdhsa_user_sgpr_flat_scratch_init 0
		.amdhsa_user_sgpr_kernarg_preload_length 0
		.amdhsa_user_sgpr_kernarg_preload_offset 0
		.amdhsa_user_sgpr_private_segment_size 0
		.amdhsa_uses_dynamic_stack 0
		.amdhsa_system_sgpr_private_segment_wavefront_offset 0
		.amdhsa_system_sgpr_workgroup_id_x 1
		.amdhsa_system_sgpr_workgroup_id_y 0
		.amdhsa_system_sgpr_workgroup_id_z 0
		.amdhsa_system_sgpr_workgroup_info 0
		.amdhsa_system_vgpr_workitem_id 0
		.amdhsa_next_free_vgpr 1
		.amdhsa_next_free_sgpr 0
		.amdhsa_accum_offset 4
		.amdhsa_reserve_vcc 0
		.amdhsa_reserve_flat_scratch 0
		.amdhsa_float_round_mode_32 0
		.amdhsa_float_round_mode_16_64 0
		.amdhsa_float_denorm_mode_32 3
		.amdhsa_float_denorm_mode_16_64 3
		.amdhsa_dx10_clamp 1
		.amdhsa_ieee_mode 1
		.amdhsa_fp16_overflow 0
		.amdhsa_tg_split 0
		.amdhsa_exception_fp_ieee_invalid_op 0
		.amdhsa_exception_fp_denorm_src 0
		.amdhsa_exception_fp_ieee_div_zero 0
		.amdhsa_exception_fp_ieee_overflow 0
		.amdhsa_exception_fp_ieee_underflow 0
		.amdhsa_exception_fp_ieee_inexact 0
		.amdhsa_exception_int_div_zero 0
	.end_amdhsa_kernel
	.section	.text._ZN7rocprim17ROCPRIM_400000_NS6detail17trampoline_kernelINS0_14default_configENS1_20scan_config_selectorIfEEZZNS1_9scan_implILNS1_25lookback_scan_determinismE0ELb0ELb0ES3_N6thrust23THRUST_200600_302600_NS6detail15normal_iteratorINS9_10device_ptrIfEEEENS9_16discard_iteratorINS9_11use_defaultEEEfNS9_4plusIvEEfEEDaPvRmT3_T4_T5_mT6_P12ihipStream_tbENKUlT_T0_E_clISt17integral_constantIbLb1EESW_IbLb0EEEEDaSS_ST_EUlSS_E_NS1_11comp_targetILNS1_3genE3ELNS1_11target_archE908ELNS1_3gpuE7ELNS1_3repE0EEENS1_30default_config_static_selectorELNS0_4arch9wavefront6targetE1EEEvT1_,"axG",@progbits,_ZN7rocprim17ROCPRIM_400000_NS6detail17trampoline_kernelINS0_14default_configENS1_20scan_config_selectorIfEEZZNS1_9scan_implILNS1_25lookback_scan_determinismE0ELb0ELb0ES3_N6thrust23THRUST_200600_302600_NS6detail15normal_iteratorINS9_10device_ptrIfEEEENS9_16discard_iteratorINS9_11use_defaultEEEfNS9_4plusIvEEfEEDaPvRmT3_T4_T5_mT6_P12ihipStream_tbENKUlT_T0_E_clISt17integral_constantIbLb1EESW_IbLb0EEEEDaSS_ST_EUlSS_E_NS1_11comp_targetILNS1_3genE3ELNS1_11target_archE908ELNS1_3gpuE7ELNS1_3repE0EEENS1_30default_config_static_selectorELNS0_4arch9wavefront6targetE1EEEvT1_,comdat
.Lfunc_end5045:
	.size	_ZN7rocprim17ROCPRIM_400000_NS6detail17trampoline_kernelINS0_14default_configENS1_20scan_config_selectorIfEEZZNS1_9scan_implILNS1_25lookback_scan_determinismE0ELb0ELb0ES3_N6thrust23THRUST_200600_302600_NS6detail15normal_iteratorINS9_10device_ptrIfEEEENS9_16discard_iteratorINS9_11use_defaultEEEfNS9_4plusIvEEfEEDaPvRmT3_T4_T5_mT6_P12ihipStream_tbENKUlT_T0_E_clISt17integral_constantIbLb1EESW_IbLb0EEEEDaSS_ST_EUlSS_E_NS1_11comp_targetILNS1_3genE3ELNS1_11target_archE908ELNS1_3gpuE7ELNS1_3repE0EEENS1_30default_config_static_selectorELNS0_4arch9wavefront6targetE1EEEvT1_, .Lfunc_end5045-_ZN7rocprim17ROCPRIM_400000_NS6detail17trampoline_kernelINS0_14default_configENS1_20scan_config_selectorIfEEZZNS1_9scan_implILNS1_25lookback_scan_determinismE0ELb0ELb0ES3_N6thrust23THRUST_200600_302600_NS6detail15normal_iteratorINS9_10device_ptrIfEEEENS9_16discard_iteratorINS9_11use_defaultEEEfNS9_4plusIvEEfEEDaPvRmT3_T4_T5_mT6_P12ihipStream_tbENKUlT_T0_E_clISt17integral_constantIbLb1EESW_IbLb0EEEEDaSS_ST_EUlSS_E_NS1_11comp_targetILNS1_3genE3ELNS1_11target_archE908ELNS1_3gpuE7ELNS1_3repE0EEENS1_30default_config_static_selectorELNS0_4arch9wavefront6targetE1EEEvT1_
                                        ; -- End function
	.section	.AMDGPU.csdata,"",@progbits
; Kernel info:
; codeLenInByte = 0
; NumSgprs: 4
; NumVgprs: 0
; NumAgprs: 0
; TotalNumVgprs: 0
; ScratchSize: 0
; MemoryBound: 0
; FloatMode: 240
; IeeeMode: 1
; LDSByteSize: 0 bytes/workgroup (compile time only)
; SGPRBlocks: 0
; VGPRBlocks: 0
; NumSGPRsForWavesPerEU: 4
; NumVGPRsForWavesPerEU: 1
; AccumOffset: 4
; Occupancy: 8
; WaveLimiterHint : 0
; COMPUTE_PGM_RSRC2:SCRATCH_EN: 0
; COMPUTE_PGM_RSRC2:USER_SGPR: 6
; COMPUTE_PGM_RSRC2:TRAP_HANDLER: 0
; COMPUTE_PGM_RSRC2:TGID_X_EN: 1
; COMPUTE_PGM_RSRC2:TGID_Y_EN: 0
; COMPUTE_PGM_RSRC2:TGID_Z_EN: 0
; COMPUTE_PGM_RSRC2:TIDIG_COMP_CNT: 0
; COMPUTE_PGM_RSRC3_GFX90A:ACCUM_OFFSET: 0
; COMPUTE_PGM_RSRC3_GFX90A:TG_SPLIT: 0
	.section	.text._ZN7rocprim17ROCPRIM_400000_NS6detail17trampoline_kernelINS0_14default_configENS1_20scan_config_selectorIfEEZZNS1_9scan_implILNS1_25lookback_scan_determinismE0ELb0ELb0ES3_N6thrust23THRUST_200600_302600_NS6detail15normal_iteratorINS9_10device_ptrIfEEEENS9_16discard_iteratorINS9_11use_defaultEEEfNS9_4plusIvEEfEEDaPvRmT3_T4_T5_mT6_P12ihipStream_tbENKUlT_T0_E_clISt17integral_constantIbLb1EESW_IbLb0EEEEDaSS_ST_EUlSS_E_NS1_11comp_targetILNS1_3genE2ELNS1_11target_archE906ELNS1_3gpuE6ELNS1_3repE0EEENS1_30default_config_static_selectorELNS0_4arch9wavefront6targetE1EEEvT1_,"axG",@progbits,_ZN7rocprim17ROCPRIM_400000_NS6detail17trampoline_kernelINS0_14default_configENS1_20scan_config_selectorIfEEZZNS1_9scan_implILNS1_25lookback_scan_determinismE0ELb0ELb0ES3_N6thrust23THRUST_200600_302600_NS6detail15normal_iteratorINS9_10device_ptrIfEEEENS9_16discard_iteratorINS9_11use_defaultEEEfNS9_4plusIvEEfEEDaPvRmT3_T4_T5_mT6_P12ihipStream_tbENKUlT_T0_E_clISt17integral_constantIbLb1EESW_IbLb0EEEEDaSS_ST_EUlSS_E_NS1_11comp_targetILNS1_3genE2ELNS1_11target_archE906ELNS1_3gpuE6ELNS1_3repE0EEENS1_30default_config_static_selectorELNS0_4arch9wavefront6targetE1EEEvT1_,comdat
	.protected	_ZN7rocprim17ROCPRIM_400000_NS6detail17trampoline_kernelINS0_14default_configENS1_20scan_config_selectorIfEEZZNS1_9scan_implILNS1_25lookback_scan_determinismE0ELb0ELb0ES3_N6thrust23THRUST_200600_302600_NS6detail15normal_iteratorINS9_10device_ptrIfEEEENS9_16discard_iteratorINS9_11use_defaultEEEfNS9_4plusIvEEfEEDaPvRmT3_T4_T5_mT6_P12ihipStream_tbENKUlT_T0_E_clISt17integral_constantIbLb1EESW_IbLb0EEEEDaSS_ST_EUlSS_E_NS1_11comp_targetILNS1_3genE2ELNS1_11target_archE906ELNS1_3gpuE6ELNS1_3repE0EEENS1_30default_config_static_selectorELNS0_4arch9wavefront6targetE1EEEvT1_ ; -- Begin function _ZN7rocprim17ROCPRIM_400000_NS6detail17trampoline_kernelINS0_14default_configENS1_20scan_config_selectorIfEEZZNS1_9scan_implILNS1_25lookback_scan_determinismE0ELb0ELb0ES3_N6thrust23THRUST_200600_302600_NS6detail15normal_iteratorINS9_10device_ptrIfEEEENS9_16discard_iteratorINS9_11use_defaultEEEfNS9_4plusIvEEfEEDaPvRmT3_T4_T5_mT6_P12ihipStream_tbENKUlT_T0_E_clISt17integral_constantIbLb1EESW_IbLb0EEEEDaSS_ST_EUlSS_E_NS1_11comp_targetILNS1_3genE2ELNS1_11target_archE906ELNS1_3gpuE6ELNS1_3repE0EEENS1_30default_config_static_selectorELNS0_4arch9wavefront6targetE1EEEvT1_
	.globl	_ZN7rocprim17ROCPRIM_400000_NS6detail17trampoline_kernelINS0_14default_configENS1_20scan_config_selectorIfEEZZNS1_9scan_implILNS1_25lookback_scan_determinismE0ELb0ELb0ES3_N6thrust23THRUST_200600_302600_NS6detail15normal_iteratorINS9_10device_ptrIfEEEENS9_16discard_iteratorINS9_11use_defaultEEEfNS9_4plusIvEEfEEDaPvRmT3_T4_T5_mT6_P12ihipStream_tbENKUlT_T0_E_clISt17integral_constantIbLb1EESW_IbLb0EEEEDaSS_ST_EUlSS_E_NS1_11comp_targetILNS1_3genE2ELNS1_11target_archE906ELNS1_3gpuE6ELNS1_3repE0EEENS1_30default_config_static_selectorELNS0_4arch9wavefront6targetE1EEEvT1_
	.p2align	8
	.type	_ZN7rocprim17ROCPRIM_400000_NS6detail17trampoline_kernelINS0_14default_configENS1_20scan_config_selectorIfEEZZNS1_9scan_implILNS1_25lookback_scan_determinismE0ELb0ELb0ES3_N6thrust23THRUST_200600_302600_NS6detail15normal_iteratorINS9_10device_ptrIfEEEENS9_16discard_iteratorINS9_11use_defaultEEEfNS9_4plusIvEEfEEDaPvRmT3_T4_T5_mT6_P12ihipStream_tbENKUlT_T0_E_clISt17integral_constantIbLb1EESW_IbLb0EEEEDaSS_ST_EUlSS_E_NS1_11comp_targetILNS1_3genE2ELNS1_11target_archE906ELNS1_3gpuE6ELNS1_3repE0EEENS1_30default_config_static_selectorELNS0_4arch9wavefront6targetE1EEEvT1_,@function
_ZN7rocprim17ROCPRIM_400000_NS6detail17trampoline_kernelINS0_14default_configENS1_20scan_config_selectorIfEEZZNS1_9scan_implILNS1_25lookback_scan_determinismE0ELb0ELb0ES3_N6thrust23THRUST_200600_302600_NS6detail15normal_iteratorINS9_10device_ptrIfEEEENS9_16discard_iteratorINS9_11use_defaultEEEfNS9_4plusIvEEfEEDaPvRmT3_T4_T5_mT6_P12ihipStream_tbENKUlT_T0_E_clISt17integral_constantIbLb1EESW_IbLb0EEEEDaSS_ST_EUlSS_E_NS1_11comp_targetILNS1_3genE2ELNS1_11target_archE906ELNS1_3gpuE6ELNS1_3repE0EEENS1_30default_config_static_selectorELNS0_4arch9wavefront6targetE1EEEvT1_: ; @_ZN7rocprim17ROCPRIM_400000_NS6detail17trampoline_kernelINS0_14default_configENS1_20scan_config_selectorIfEEZZNS1_9scan_implILNS1_25lookback_scan_determinismE0ELb0ELb0ES3_N6thrust23THRUST_200600_302600_NS6detail15normal_iteratorINS9_10device_ptrIfEEEENS9_16discard_iteratorINS9_11use_defaultEEEfNS9_4plusIvEEfEEDaPvRmT3_T4_T5_mT6_P12ihipStream_tbENKUlT_T0_E_clISt17integral_constantIbLb1EESW_IbLb0EEEEDaSS_ST_EUlSS_E_NS1_11comp_targetILNS1_3genE2ELNS1_11target_archE906ELNS1_3gpuE6ELNS1_3repE0EEENS1_30default_config_static_selectorELNS0_4arch9wavefront6targetE1EEEvT1_
; %bb.0:
	.section	.rodata,"a",@progbits
	.p2align	6, 0x0
	.amdhsa_kernel _ZN7rocprim17ROCPRIM_400000_NS6detail17trampoline_kernelINS0_14default_configENS1_20scan_config_selectorIfEEZZNS1_9scan_implILNS1_25lookback_scan_determinismE0ELb0ELb0ES3_N6thrust23THRUST_200600_302600_NS6detail15normal_iteratorINS9_10device_ptrIfEEEENS9_16discard_iteratorINS9_11use_defaultEEEfNS9_4plusIvEEfEEDaPvRmT3_T4_T5_mT6_P12ihipStream_tbENKUlT_T0_E_clISt17integral_constantIbLb1EESW_IbLb0EEEEDaSS_ST_EUlSS_E_NS1_11comp_targetILNS1_3genE2ELNS1_11target_archE906ELNS1_3gpuE6ELNS1_3repE0EEENS1_30default_config_static_selectorELNS0_4arch9wavefront6targetE1EEEvT1_
		.amdhsa_group_segment_fixed_size 0
		.amdhsa_private_segment_fixed_size 0
		.amdhsa_kernarg_size 104
		.amdhsa_user_sgpr_count 6
		.amdhsa_user_sgpr_private_segment_buffer 1
		.amdhsa_user_sgpr_dispatch_ptr 0
		.amdhsa_user_sgpr_queue_ptr 0
		.amdhsa_user_sgpr_kernarg_segment_ptr 1
		.amdhsa_user_sgpr_dispatch_id 0
		.amdhsa_user_sgpr_flat_scratch_init 0
		.amdhsa_user_sgpr_kernarg_preload_length 0
		.amdhsa_user_sgpr_kernarg_preload_offset 0
		.amdhsa_user_sgpr_private_segment_size 0
		.amdhsa_uses_dynamic_stack 0
		.amdhsa_system_sgpr_private_segment_wavefront_offset 0
		.amdhsa_system_sgpr_workgroup_id_x 1
		.amdhsa_system_sgpr_workgroup_id_y 0
		.amdhsa_system_sgpr_workgroup_id_z 0
		.amdhsa_system_sgpr_workgroup_info 0
		.amdhsa_system_vgpr_workitem_id 0
		.amdhsa_next_free_vgpr 1
		.amdhsa_next_free_sgpr 0
		.amdhsa_accum_offset 4
		.amdhsa_reserve_vcc 0
		.amdhsa_reserve_flat_scratch 0
		.amdhsa_float_round_mode_32 0
		.amdhsa_float_round_mode_16_64 0
		.amdhsa_float_denorm_mode_32 3
		.amdhsa_float_denorm_mode_16_64 3
		.amdhsa_dx10_clamp 1
		.amdhsa_ieee_mode 1
		.amdhsa_fp16_overflow 0
		.amdhsa_tg_split 0
		.amdhsa_exception_fp_ieee_invalid_op 0
		.amdhsa_exception_fp_denorm_src 0
		.amdhsa_exception_fp_ieee_div_zero 0
		.amdhsa_exception_fp_ieee_overflow 0
		.amdhsa_exception_fp_ieee_underflow 0
		.amdhsa_exception_fp_ieee_inexact 0
		.amdhsa_exception_int_div_zero 0
	.end_amdhsa_kernel
	.section	.text._ZN7rocprim17ROCPRIM_400000_NS6detail17trampoline_kernelINS0_14default_configENS1_20scan_config_selectorIfEEZZNS1_9scan_implILNS1_25lookback_scan_determinismE0ELb0ELb0ES3_N6thrust23THRUST_200600_302600_NS6detail15normal_iteratorINS9_10device_ptrIfEEEENS9_16discard_iteratorINS9_11use_defaultEEEfNS9_4plusIvEEfEEDaPvRmT3_T4_T5_mT6_P12ihipStream_tbENKUlT_T0_E_clISt17integral_constantIbLb1EESW_IbLb0EEEEDaSS_ST_EUlSS_E_NS1_11comp_targetILNS1_3genE2ELNS1_11target_archE906ELNS1_3gpuE6ELNS1_3repE0EEENS1_30default_config_static_selectorELNS0_4arch9wavefront6targetE1EEEvT1_,"axG",@progbits,_ZN7rocprim17ROCPRIM_400000_NS6detail17trampoline_kernelINS0_14default_configENS1_20scan_config_selectorIfEEZZNS1_9scan_implILNS1_25lookback_scan_determinismE0ELb0ELb0ES3_N6thrust23THRUST_200600_302600_NS6detail15normal_iteratorINS9_10device_ptrIfEEEENS9_16discard_iteratorINS9_11use_defaultEEEfNS9_4plusIvEEfEEDaPvRmT3_T4_T5_mT6_P12ihipStream_tbENKUlT_T0_E_clISt17integral_constantIbLb1EESW_IbLb0EEEEDaSS_ST_EUlSS_E_NS1_11comp_targetILNS1_3genE2ELNS1_11target_archE906ELNS1_3gpuE6ELNS1_3repE0EEENS1_30default_config_static_selectorELNS0_4arch9wavefront6targetE1EEEvT1_,comdat
.Lfunc_end5046:
	.size	_ZN7rocprim17ROCPRIM_400000_NS6detail17trampoline_kernelINS0_14default_configENS1_20scan_config_selectorIfEEZZNS1_9scan_implILNS1_25lookback_scan_determinismE0ELb0ELb0ES3_N6thrust23THRUST_200600_302600_NS6detail15normal_iteratorINS9_10device_ptrIfEEEENS9_16discard_iteratorINS9_11use_defaultEEEfNS9_4plusIvEEfEEDaPvRmT3_T4_T5_mT6_P12ihipStream_tbENKUlT_T0_E_clISt17integral_constantIbLb1EESW_IbLb0EEEEDaSS_ST_EUlSS_E_NS1_11comp_targetILNS1_3genE2ELNS1_11target_archE906ELNS1_3gpuE6ELNS1_3repE0EEENS1_30default_config_static_selectorELNS0_4arch9wavefront6targetE1EEEvT1_, .Lfunc_end5046-_ZN7rocprim17ROCPRIM_400000_NS6detail17trampoline_kernelINS0_14default_configENS1_20scan_config_selectorIfEEZZNS1_9scan_implILNS1_25lookback_scan_determinismE0ELb0ELb0ES3_N6thrust23THRUST_200600_302600_NS6detail15normal_iteratorINS9_10device_ptrIfEEEENS9_16discard_iteratorINS9_11use_defaultEEEfNS9_4plusIvEEfEEDaPvRmT3_T4_T5_mT6_P12ihipStream_tbENKUlT_T0_E_clISt17integral_constantIbLb1EESW_IbLb0EEEEDaSS_ST_EUlSS_E_NS1_11comp_targetILNS1_3genE2ELNS1_11target_archE906ELNS1_3gpuE6ELNS1_3repE0EEENS1_30default_config_static_selectorELNS0_4arch9wavefront6targetE1EEEvT1_
                                        ; -- End function
	.section	.AMDGPU.csdata,"",@progbits
; Kernel info:
; codeLenInByte = 0
; NumSgprs: 4
; NumVgprs: 0
; NumAgprs: 0
; TotalNumVgprs: 0
; ScratchSize: 0
; MemoryBound: 0
; FloatMode: 240
; IeeeMode: 1
; LDSByteSize: 0 bytes/workgroup (compile time only)
; SGPRBlocks: 0
; VGPRBlocks: 0
; NumSGPRsForWavesPerEU: 4
; NumVGPRsForWavesPerEU: 1
; AccumOffset: 4
; Occupancy: 8
; WaveLimiterHint : 0
; COMPUTE_PGM_RSRC2:SCRATCH_EN: 0
; COMPUTE_PGM_RSRC2:USER_SGPR: 6
; COMPUTE_PGM_RSRC2:TRAP_HANDLER: 0
; COMPUTE_PGM_RSRC2:TGID_X_EN: 1
; COMPUTE_PGM_RSRC2:TGID_Y_EN: 0
; COMPUTE_PGM_RSRC2:TGID_Z_EN: 0
; COMPUTE_PGM_RSRC2:TIDIG_COMP_CNT: 0
; COMPUTE_PGM_RSRC3_GFX90A:ACCUM_OFFSET: 0
; COMPUTE_PGM_RSRC3_GFX90A:TG_SPLIT: 0
	.section	.text._ZN7rocprim17ROCPRIM_400000_NS6detail17trampoline_kernelINS0_14default_configENS1_20scan_config_selectorIfEEZZNS1_9scan_implILNS1_25lookback_scan_determinismE0ELb0ELb0ES3_N6thrust23THRUST_200600_302600_NS6detail15normal_iteratorINS9_10device_ptrIfEEEENS9_16discard_iteratorINS9_11use_defaultEEEfNS9_4plusIvEEfEEDaPvRmT3_T4_T5_mT6_P12ihipStream_tbENKUlT_T0_E_clISt17integral_constantIbLb1EESW_IbLb0EEEEDaSS_ST_EUlSS_E_NS1_11comp_targetILNS1_3genE10ELNS1_11target_archE1201ELNS1_3gpuE5ELNS1_3repE0EEENS1_30default_config_static_selectorELNS0_4arch9wavefront6targetE1EEEvT1_,"axG",@progbits,_ZN7rocprim17ROCPRIM_400000_NS6detail17trampoline_kernelINS0_14default_configENS1_20scan_config_selectorIfEEZZNS1_9scan_implILNS1_25lookback_scan_determinismE0ELb0ELb0ES3_N6thrust23THRUST_200600_302600_NS6detail15normal_iteratorINS9_10device_ptrIfEEEENS9_16discard_iteratorINS9_11use_defaultEEEfNS9_4plusIvEEfEEDaPvRmT3_T4_T5_mT6_P12ihipStream_tbENKUlT_T0_E_clISt17integral_constantIbLb1EESW_IbLb0EEEEDaSS_ST_EUlSS_E_NS1_11comp_targetILNS1_3genE10ELNS1_11target_archE1201ELNS1_3gpuE5ELNS1_3repE0EEENS1_30default_config_static_selectorELNS0_4arch9wavefront6targetE1EEEvT1_,comdat
	.protected	_ZN7rocprim17ROCPRIM_400000_NS6detail17trampoline_kernelINS0_14default_configENS1_20scan_config_selectorIfEEZZNS1_9scan_implILNS1_25lookback_scan_determinismE0ELb0ELb0ES3_N6thrust23THRUST_200600_302600_NS6detail15normal_iteratorINS9_10device_ptrIfEEEENS9_16discard_iteratorINS9_11use_defaultEEEfNS9_4plusIvEEfEEDaPvRmT3_T4_T5_mT6_P12ihipStream_tbENKUlT_T0_E_clISt17integral_constantIbLb1EESW_IbLb0EEEEDaSS_ST_EUlSS_E_NS1_11comp_targetILNS1_3genE10ELNS1_11target_archE1201ELNS1_3gpuE5ELNS1_3repE0EEENS1_30default_config_static_selectorELNS0_4arch9wavefront6targetE1EEEvT1_ ; -- Begin function _ZN7rocprim17ROCPRIM_400000_NS6detail17trampoline_kernelINS0_14default_configENS1_20scan_config_selectorIfEEZZNS1_9scan_implILNS1_25lookback_scan_determinismE0ELb0ELb0ES3_N6thrust23THRUST_200600_302600_NS6detail15normal_iteratorINS9_10device_ptrIfEEEENS9_16discard_iteratorINS9_11use_defaultEEEfNS9_4plusIvEEfEEDaPvRmT3_T4_T5_mT6_P12ihipStream_tbENKUlT_T0_E_clISt17integral_constantIbLb1EESW_IbLb0EEEEDaSS_ST_EUlSS_E_NS1_11comp_targetILNS1_3genE10ELNS1_11target_archE1201ELNS1_3gpuE5ELNS1_3repE0EEENS1_30default_config_static_selectorELNS0_4arch9wavefront6targetE1EEEvT1_
	.globl	_ZN7rocprim17ROCPRIM_400000_NS6detail17trampoline_kernelINS0_14default_configENS1_20scan_config_selectorIfEEZZNS1_9scan_implILNS1_25lookback_scan_determinismE0ELb0ELb0ES3_N6thrust23THRUST_200600_302600_NS6detail15normal_iteratorINS9_10device_ptrIfEEEENS9_16discard_iteratorINS9_11use_defaultEEEfNS9_4plusIvEEfEEDaPvRmT3_T4_T5_mT6_P12ihipStream_tbENKUlT_T0_E_clISt17integral_constantIbLb1EESW_IbLb0EEEEDaSS_ST_EUlSS_E_NS1_11comp_targetILNS1_3genE10ELNS1_11target_archE1201ELNS1_3gpuE5ELNS1_3repE0EEENS1_30default_config_static_selectorELNS0_4arch9wavefront6targetE1EEEvT1_
	.p2align	8
	.type	_ZN7rocprim17ROCPRIM_400000_NS6detail17trampoline_kernelINS0_14default_configENS1_20scan_config_selectorIfEEZZNS1_9scan_implILNS1_25lookback_scan_determinismE0ELb0ELb0ES3_N6thrust23THRUST_200600_302600_NS6detail15normal_iteratorINS9_10device_ptrIfEEEENS9_16discard_iteratorINS9_11use_defaultEEEfNS9_4plusIvEEfEEDaPvRmT3_T4_T5_mT6_P12ihipStream_tbENKUlT_T0_E_clISt17integral_constantIbLb1EESW_IbLb0EEEEDaSS_ST_EUlSS_E_NS1_11comp_targetILNS1_3genE10ELNS1_11target_archE1201ELNS1_3gpuE5ELNS1_3repE0EEENS1_30default_config_static_selectorELNS0_4arch9wavefront6targetE1EEEvT1_,@function
_ZN7rocprim17ROCPRIM_400000_NS6detail17trampoline_kernelINS0_14default_configENS1_20scan_config_selectorIfEEZZNS1_9scan_implILNS1_25lookback_scan_determinismE0ELb0ELb0ES3_N6thrust23THRUST_200600_302600_NS6detail15normal_iteratorINS9_10device_ptrIfEEEENS9_16discard_iteratorINS9_11use_defaultEEEfNS9_4plusIvEEfEEDaPvRmT3_T4_T5_mT6_P12ihipStream_tbENKUlT_T0_E_clISt17integral_constantIbLb1EESW_IbLb0EEEEDaSS_ST_EUlSS_E_NS1_11comp_targetILNS1_3genE10ELNS1_11target_archE1201ELNS1_3gpuE5ELNS1_3repE0EEENS1_30default_config_static_selectorELNS0_4arch9wavefront6targetE1EEEvT1_: ; @_ZN7rocprim17ROCPRIM_400000_NS6detail17trampoline_kernelINS0_14default_configENS1_20scan_config_selectorIfEEZZNS1_9scan_implILNS1_25lookback_scan_determinismE0ELb0ELb0ES3_N6thrust23THRUST_200600_302600_NS6detail15normal_iteratorINS9_10device_ptrIfEEEENS9_16discard_iteratorINS9_11use_defaultEEEfNS9_4plusIvEEfEEDaPvRmT3_T4_T5_mT6_P12ihipStream_tbENKUlT_T0_E_clISt17integral_constantIbLb1EESW_IbLb0EEEEDaSS_ST_EUlSS_E_NS1_11comp_targetILNS1_3genE10ELNS1_11target_archE1201ELNS1_3gpuE5ELNS1_3repE0EEENS1_30default_config_static_selectorELNS0_4arch9wavefront6targetE1EEEvT1_
; %bb.0:
	.section	.rodata,"a",@progbits
	.p2align	6, 0x0
	.amdhsa_kernel _ZN7rocprim17ROCPRIM_400000_NS6detail17trampoline_kernelINS0_14default_configENS1_20scan_config_selectorIfEEZZNS1_9scan_implILNS1_25lookback_scan_determinismE0ELb0ELb0ES3_N6thrust23THRUST_200600_302600_NS6detail15normal_iteratorINS9_10device_ptrIfEEEENS9_16discard_iteratorINS9_11use_defaultEEEfNS9_4plusIvEEfEEDaPvRmT3_T4_T5_mT6_P12ihipStream_tbENKUlT_T0_E_clISt17integral_constantIbLb1EESW_IbLb0EEEEDaSS_ST_EUlSS_E_NS1_11comp_targetILNS1_3genE10ELNS1_11target_archE1201ELNS1_3gpuE5ELNS1_3repE0EEENS1_30default_config_static_selectorELNS0_4arch9wavefront6targetE1EEEvT1_
		.amdhsa_group_segment_fixed_size 0
		.amdhsa_private_segment_fixed_size 0
		.amdhsa_kernarg_size 104
		.amdhsa_user_sgpr_count 6
		.amdhsa_user_sgpr_private_segment_buffer 1
		.amdhsa_user_sgpr_dispatch_ptr 0
		.amdhsa_user_sgpr_queue_ptr 0
		.amdhsa_user_sgpr_kernarg_segment_ptr 1
		.amdhsa_user_sgpr_dispatch_id 0
		.amdhsa_user_sgpr_flat_scratch_init 0
		.amdhsa_user_sgpr_kernarg_preload_length 0
		.amdhsa_user_sgpr_kernarg_preload_offset 0
		.amdhsa_user_sgpr_private_segment_size 0
		.amdhsa_uses_dynamic_stack 0
		.amdhsa_system_sgpr_private_segment_wavefront_offset 0
		.amdhsa_system_sgpr_workgroup_id_x 1
		.amdhsa_system_sgpr_workgroup_id_y 0
		.amdhsa_system_sgpr_workgroup_id_z 0
		.amdhsa_system_sgpr_workgroup_info 0
		.amdhsa_system_vgpr_workitem_id 0
		.amdhsa_next_free_vgpr 1
		.amdhsa_next_free_sgpr 0
		.amdhsa_accum_offset 4
		.amdhsa_reserve_vcc 0
		.amdhsa_reserve_flat_scratch 0
		.amdhsa_float_round_mode_32 0
		.amdhsa_float_round_mode_16_64 0
		.amdhsa_float_denorm_mode_32 3
		.amdhsa_float_denorm_mode_16_64 3
		.amdhsa_dx10_clamp 1
		.amdhsa_ieee_mode 1
		.amdhsa_fp16_overflow 0
		.amdhsa_tg_split 0
		.amdhsa_exception_fp_ieee_invalid_op 0
		.amdhsa_exception_fp_denorm_src 0
		.amdhsa_exception_fp_ieee_div_zero 0
		.amdhsa_exception_fp_ieee_overflow 0
		.amdhsa_exception_fp_ieee_underflow 0
		.amdhsa_exception_fp_ieee_inexact 0
		.amdhsa_exception_int_div_zero 0
	.end_amdhsa_kernel
	.section	.text._ZN7rocprim17ROCPRIM_400000_NS6detail17trampoline_kernelINS0_14default_configENS1_20scan_config_selectorIfEEZZNS1_9scan_implILNS1_25lookback_scan_determinismE0ELb0ELb0ES3_N6thrust23THRUST_200600_302600_NS6detail15normal_iteratorINS9_10device_ptrIfEEEENS9_16discard_iteratorINS9_11use_defaultEEEfNS9_4plusIvEEfEEDaPvRmT3_T4_T5_mT6_P12ihipStream_tbENKUlT_T0_E_clISt17integral_constantIbLb1EESW_IbLb0EEEEDaSS_ST_EUlSS_E_NS1_11comp_targetILNS1_3genE10ELNS1_11target_archE1201ELNS1_3gpuE5ELNS1_3repE0EEENS1_30default_config_static_selectorELNS0_4arch9wavefront6targetE1EEEvT1_,"axG",@progbits,_ZN7rocprim17ROCPRIM_400000_NS6detail17trampoline_kernelINS0_14default_configENS1_20scan_config_selectorIfEEZZNS1_9scan_implILNS1_25lookback_scan_determinismE0ELb0ELb0ES3_N6thrust23THRUST_200600_302600_NS6detail15normal_iteratorINS9_10device_ptrIfEEEENS9_16discard_iteratorINS9_11use_defaultEEEfNS9_4plusIvEEfEEDaPvRmT3_T4_T5_mT6_P12ihipStream_tbENKUlT_T0_E_clISt17integral_constantIbLb1EESW_IbLb0EEEEDaSS_ST_EUlSS_E_NS1_11comp_targetILNS1_3genE10ELNS1_11target_archE1201ELNS1_3gpuE5ELNS1_3repE0EEENS1_30default_config_static_selectorELNS0_4arch9wavefront6targetE1EEEvT1_,comdat
.Lfunc_end5047:
	.size	_ZN7rocprim17ROCPRIM_400000_NS6detail17trampoline_kernelINS0_14default_configENS1_20scan_config_selectorIfEEZZNS1_9scan_implILNS1_25lookback_scan_determinismE0ELb0ELb0ES3_N6thrust23THRUST_200600_302600_NS6detail15normal_iteratorINS9_10device_ptrIfEEEENS9_16discard_iteratorINS9_11use_defaultEEEfNS9_4plusIvEEfEEDaPvRmT3_T4_T5_mT6_P12ihipStream_tbENKUlT_T0_E_clISt17integral_constantIbLb1EESW_IbLb0EEEEDaSS_ST_EUlSS_E_NS1_11comp_targetILNS1_3genE10ELNS1_11target_archE1201ELNS1_3gpuE5ELNS1_3repE0EEENS1_30default_config_static_selectorELNS0_4arch9wavefront6targetE1EEEvT1_, .Lfunc_end5047-_ZN7rocprim17ROCPRIM_400000_NS6detail17trampoline_kernelINS0_14default_configENS1_20scan_config_selectorIfEEZZNS1_9scan_implILNS1_25lookback_scan_determinismE0ELb0ELb0ES3_N6thrust23THRUST_200600_302600_NS6detail15normal_iteratorINS9_10device_ptrIfEEEENS9_16discard_iteratorINS9_11use_defaultEEEfNS9_4plusIvEEfEEDaPvRmT3_T4_T5_mT6_P12ihipStream_tbENKUlT_T0_E_clISt17integral_constantIbLb1EESW_IbLb0EEEEDaSS_ST_EUlSS_E_NS1_11comp_targetILNS1_3genE10ELNS1_11target_archE1201ELNS1_3gpuE5ELNS1_3repE0EEENS1_30default_config_static_selectorELNS0_4arch9wavefront6targetE1EEEvT1_
                                        ; -- End function
	.section	.AMDGPU.csdata,"",@progbits
; Kernel info:
; codeLenInByte = 0
; NumSgprs: 4
; NumVgprs: 0
; NumAgprs: 0
; TotalNumVgprs: 0
; ScratchSize: 0
; MemoryBound: 0
; FloatMode: 240
; IeeeMode: 1
; LDSByteSize: 0 bytes/workgroup (compile time only)
; SGPRBlocks: 0
; VGPRBlocks: 0
; NumSGPRsForWavesPerEU: 4
; NumVGPRsForWavesPerEU: 1
; AccumOffset: 4
; Occupancy: 8
; WaveLimiterHint : 0
; COMPUTE_PGM_RSRC2:SCRATCH_EN: 0
; COMPUTE_PGM_RSRC2:USER_SGPR: 6
; COMPUTE_PGM_RSRC2:TRAP_HANDLER: 0
; COMPUTE_PGM_RSRC2:TGID_X_EN: 1
; COMPUTE_PGM_RSRC2:TGID_Y_EN: 0
; COMPUTE_PGM_RSRC2:TGID_Z_EN: 0
; COMPUTE_PGM_RSRC2:TIDIG_COMP_CNT: 0
; COMPUTE_PGM_RSRC3_GFX90A:ACCUM_OFFSET: 0
; COMPUTE_PGM_RSRC3_GFX90A:TG_SPLIT: 0
	.section	.text._ZN7rocprim17ROCPRIM_400000_NS6detail17trampoline_kernelINS0_14default_configENS1_20scan_config_selectorIfEEZZNS1_9scan_implILNS1_25lookback_scan_determinismE0ELb0ELb0ES3_N6thrust23THRUST_200600_302600_NS6detail15normal_iteratorINS9_10device_ptrIfEEEENS9_16discard_iteratorINS9_11use_defaultEEEfNS9_4plusIvEEfEEDaPvRmT3_T4_T5_mT6_P12ihipStream_tbENKUlT_T0_E_clISt17integral_constantIbLb1EESW_IbLb0EEEEDaSS_ST_EUlSS_E_NS1_11comp_targetILNS1_3genE10ELNS1_11target_archE1200ELNS1_3gpuE4ELNS1_3repE0EEENS1_30default_config_static_selectorELNS0_4arch9wavefront6targetE1EEEvT1_,"axG",@progbits,_ZN7rocprim17ROCPRIM_400000_NS6detail17trampoline_kernelINS0_14default_configENS1_20scan_config_selectorIfEEZZNS1_9scan_implILNS1_25lookback_scan_determinismE0ELb0ELb0ES3_N6thrust23THRUST_200600_302600_NS6detail15normal_iteratorINS9_10device_ptrIfEEEENS9_16discard_iteratorINS9_11use_defaultEEEfNS9_4plusIvEEfEEDaPvRmT3_T4_T5_mT6_P12ihipStream_tbENKUlT_T0_E_clISt17integral_constantIbLb1EESW_IbLb0EEEEDaSS_ST_EUlSS_E_NS1_11comp_targetILNS1_3genE10ELNS1_11target_archE1200ELNS1_3gpuE4ELNS1_3repE0EEENS1_30default_config_static_selectorELNS0_4arch9wavefront6targetE1EEEvT1_,comdat
	.protected	_ZN7rocprim17ROCPRIM_400000_NS6detail17trampoline_kernelINS0_14default_configENS1_20scan_config_selectorIfEEZZNS1_9scan_implILNS1_25lookback_scan_determinismE0ELb0ELb0ES3_N6thrust23THRUST_200600_302600_NS6detail15normal_iteratorINS9_10device_ptrIfEEEENS9_16discard_iteratorINS9_11use_defaultEEEfNS9_4plusIvEEfEEDaPvRmT3_T4_T5_mT6_P12ihipStream_tbENKUlT_T0_E_clISt17integral_constantIbLb1EESW_IbLb0EEEEDaSS_ST_EUlSS_E_NS1_11comp_targetILNS1_3genE10ELNS1_11target_archE1200ELNS1_3gpuE4ELNS1_3repE0EEENS1_30default_config_static_selectorELNS0_4arch9wavefront6targetE1EEEvT1_ ; -- Begin function _ZN7rocprim17ROCPRIM_400000_NS6detail17trampoline_kernelINS0_14default_configENS1_20scan_config_selectorIfEEZZNS1_9scan_implILNS1_25lookback_scan_determinismE0ELb0ELb0ES3_N6thrust23THRUST_200600_302600_NS6detail15normal_iteratorINS9_10device_ptrIfEEEENS9_16discard_iteratorINS9_11use_defaultEEEfNS9_4plusIvEEfEEDaPvRmT3_T4_T5_mT6_P12ihipStream_tbENKUlT_T0_E_clISt17integral_constantIbLb1EESW_IbLb0EEEEDaSS_ST_EUlSS_E_NS1_11comp_targetILNS1_3genE10ELNS1_11target_archE1200ELNS1_3gpuE4ELNS1_3repE0EEENS1_30default_config_static_selectorELNS0_4arch9wavefront6targetE1EEEvT1_
	.globl	_ZN7rocprim17ROCPRIM_400000_NS6detail17trampoline_kernelINS0_14default_configENS1_20scan_config_selectorIfEEZZNS1_9scan_implILNS1_25lookback_scan_determinismE0ELb0ELb0ES3_N6thrust23THRUST_200600_302600_NS6detail15normal_iteratorINS9_10device_ptrIfEEEENS9_16discard_iteratorINS9_11use_defaultEEEfNS9_4plusIvEEfEEDaPvRmT3_T4_T5_mT6_P12ihipStream_tbENKUlT_T0_E_clISt17integral_constantIbLb1EESW_IbLb0EEEEDaSS_ST_EUlSS_E_NS1_11comp_targetILNS1_3genE10ELNS1_11target_archE1200ELNS1_3gpuE4ELNS1_3repE0EEENS1_30default_config_static_selectorELNS0_4arch9wavefront6targetE1EEEvT1_
	.p2align	8
	.type	_ZN7rocprim17ROCPRIM_400000_NS6detail17trampoline_kernelINS0_14default_configENS1_20scan_config_selectorIfEEZZNS1_9scan_implILNS1_25lookback_scan_determinismE0ELb0ELb0ES3_N6thrust23THRUST_200600_302600_NS6detail15normal_iteratorINS9_10device_ptrIfEEEENS9_16discard_iteratorINS9_11use_defaultEEEfNS9_4plusIvEEfEEDaPvRmT3_T4_T5_mT6_P12ihipStream_tbENKUlT_T0_E_clISt17integral_constantIbLb1EESW_IbLb0EEEEDaSS_ST_EUlSS_E_NS1_11comp_targetILNS1_3genE10ELNS1_11target_archE1200ELNS1_3gpuE4ELNS1_3repE0EEENS1_30default_config_static_selectorELNS0_4arch9wavefront6targetE1EEEvT1_,@function
_ZN7rocprim17ROCPRIM_400000_NS6detail17trampoline_kernelINS0_14default_configENS1_20scan_config_selectorIfEEZZNS1_9scan_implILNS1_25lookback_scan_determinismE0ELb0ELb0ES3_N6thrust23THRUST_200600_302600_NS6detail15normal_iteratorINS9_10device_ptrIfEEEENS9_16discard_iteratorINS9_11use_defaultEEEfNS9_4plusIvEEfEEDaPvRmT3_T4_T5_mT6_P12ihipStream_tbENKUlT_T0_E_clISt17integral_constantIbLb1EESW_IbLb0EEEEDaSS_ST_EUlSS_E_NS1_11comp_targetILNS1_3genE10ELNS1_11target_archE1200ELNS1_3gpuE4ELNS1_3repE0EEENS1_30default_config_static_selectorELNS0_4arch9wavefront6targetE1EEEvT1_: ; @_ZN7rocprim17ROCPRIM_400000_NS6detail17trampoline_kernelINS0_14default_configENS1_20scan_config_selectorIfEEZZNS1_9scan_implILNS1_25lookback_scan_determinismE0ELb0ELb0ES3_N6thrust23THRUST_200600_302600_NS6detail15normal_iteratorINS9_10device_ptrIfEEEENS9_16discard_iteratorINS9_11use_defaultEEEfNS9_4plusIvEEfEEDaPvRmT3_T4_T5_mT6_P12ihipStream_tbENKUlT_T0_E_clISt17integral_constantIbLb1EESW_IbLb0EEEEDaSS_ST_EUlSS_E_NS1_11comp_targetILNS1_3genE10ELNS1_11target_archE1200ELNS1_3gpuE4ELNS1_3repE0EEENS1_30default_config_static_selectorELNS0_4arch9wavefront6targetE1EEEvT1_
; %bb.0:
	.section	.rodata,"a",@progbits
	.p2align	6, 0x0
	.amdhsa_kernel _ZN7rocprim17ROCPRIM_400000_NS6detail17trampoline_kernelINS0_14default_configENS1_20scan_config_selectorIfEEZZNS1_9scan_implILNS1_25lookback_scan_determinismE0ELb0ELb0ES3_N6thrust23THRUST_200600_302600_NS6detail15normal_iteratorINS9_10device_ptrIfEEEENS9_16discard_iteratorINS9_11use_defaultEEEfNS9_4plusIvEEfEEDaPvRmT3_T4_T5_mT6_P12ihipStream_tbENKUlT_T0_E_clISt17integral_constantIbLb1EESW_IbLb0EEEEDaSS_ST_EUlSS_E_NS1_11comp_targetILNS1_3genE10ELNS1_11target_archE1200ELNS1_3gpuE4ELNS1_3repE0EEENS1_30default_config_static_selectorELNS0_4arch9wavefront6targetE1EEEvT1_
		.amdhsa_group_segment_fixed_size 0
		.amdhsa_private_segment_fixed_size 0
		.amdhsa_kernarg_size 104
		.amdhsa_user_sgpr_count 6
		.amdhsa_user_sgpr_private_segment_buffer 1
		.amdhsa_user_sgpr_dispatch_ptr 0
		.amdhsa_user_sgpr_queue_ptr 0
		.amdhsa_user_sgpr_kernarg_segment_ptr 1
		.amdhsa_user_sgpr_dispatch_id 0
		.amdhsa_user_sgpr_flat_scratch_init 0
		.amdhsa_user_sgpr_kernarg_preload_length 0
		.amdhsa_user_sgpr_kernarg_preload_offset 0
		.amdhsa_user_sgpr_private_segment_size 0
		.amdhsa_uses_dynamic_stack 0
		.amdhsa_system_sgpr_private_segment_wavefront_offset 0
		.amdhsa_system_sgpr_workgroup_id_x 1
		.amdhsa_system_sgpr_workgroup_id_y 0
		.amdhsa_system_sgpr_workgroup_id_z 0
		.amdhsa_system_sgpr_workgroup_info 0
		.amdhsa_system_vgpr_workitem_id 0
		.amdhsa_next_free_vgpr 1
		.amdhsa_next_free_sgpr 0
		.amdhsa_accum_offset 4
		.amdhsa_reserve_vcc 0
		.amdhsa_reserve_flat_scratch 0
		.amdhsa_float_round_mode_32 0
		.amdhsa_float_round_mode_16_64 0
		.amdhsa_float_denorm_mode_32 3
		.amdhsa_float_denorm_mode_16_64 3
		.amdhsa_dx10_clamp 1
		.amdhsa_ieee_mode 1
		.amdhsa_fp16_overflow 0
		.amdhsa_tg_split 0
		.amdhsa_exception_fp_ieee_invalid_op 0
		.amdhsa_exception_fp_denorm_src 0
		.amdhsa_exception_fp_ieee_div_zero 0
		.amdhsa_exception_fp_ieee_overflow 0
		.amdhsa_exception_fp_ieee_underflow 0
		.amdhsa_exception_fp_ieee_inexact 0
		.amdhsa_exception_int_div_zero 0
	.end_amdhsa_kernel
	.section	.text._ZN7rocprim17ROCPRIM_400000_NS6detail17trampoline_kernelINS0_14default_configENS1_20scan_config_selectorIfEEZZNS1_9scan_implILNS1_25lookback_scan_determinismE0ELb0ELb0ES3_N6thrust23THRUST_200600_302600_NS6detail15normal_iteratorINS9_10device_ptrIfEEEENS9_16discard_iteratorINS9_11use_defaultEEEfNS9_4plusIvEEfEEDaPvRmT3_T4_T5_mT6_P12ihipStream_tbENKUlT_T0_E_clISt17integral_constantIbLb1EESW_IbLb0EEEEDaSS_ST_EUlSS_E_NS1_11comp_targetILNS1_3genE10ELNS1_11target_archE1200ELNS1_3gpuE4ELNS1_3repE0EEENS1_30default_config_static_selectorELNS0_4arch9wavefront6targetE1EEEvT1_,"axG",@progbits,_ZN7rocprim17ROCPRIM_400000_NS6detail17trampoline_kernelINS0_14default_configENS1_20scan_config_selectorIfEEZZNS1_9scan_implILNS1_25lookback_scan_determinismE0ELb0ELb0ES3_N6thrust23THRUST_200600_302600_NS6detail15normal_iteratorINS9_10device_ptrIfEEEENS9_16discard_iteratorINS9_11use_defaultEEEfNS9_4plusIvEEfEEDaPvRmT3_T4_T5_mT6_P12ihipStream_tbENKUlT_T0_E_clISt17integral_constantIbLb1EESW_IbLb0EEEEDaSS_ST_EUlSS_E_NS1_11comp_targetILNS1_3genE10ELNS1_11target_archE1200ELNS1_3gpuE4ELNS1_3repE0EEENS1_30default_config_static_selectorELNS0_4arch9wavefront6targetE1EEEvT1_,comdat
.Lfunc_end5048:
	.size	_ZN7rocprim17ROCPRIM_400000_NS6detail17trampoline_kernelINS0_14default_configENS1_20scan_config_selectorIfEEZZNS1_9scan_implILNS1_25lookback_scan_determinismE0ELb0ELb0ES3_N6thrust23THRUST_200600_302600_NS6detail15normal_iteratorINS9_10device_ptrIfEEEENS9_16discard_iteratorINS9_11use_defaultEEEfNS9_4plusIvEEfEEDaPvRmT3_T4_T5_mT6_P12ihipStream_tbENKUlT_T0_E_clISt17integral_constantIbLb1EESW_IbLb0EEEEDaSS_ST_EUlSS_E_NS1_11comp_targetILNS1_3genE10ELNS1_11target_archE1200ELNS1_3gpuE4ELNS1_3repE0EEENS1_30default_config_static_selectorELNS0_4arch9wavefront6targetE1EEEvT1_, .Lfunc_end5048-_ZN7rocprim17ROCPRIM_400000_NS6detail17trampoline_kernelINS0_14default_configENS1_20scan_config_selectorIfEEZZNS1_9scan_implILNS1_25lookback_scan_determinismE0ELb0ELb0ES3_N6thrust23THRUST_200600_302600_NS6detail15normal_iteratorINS9_10device_ptrIfEEEENS9_16discard_iteratorINS9_11use_defaultEEEfNS9_4plusIvEEfEEDaPvRmT3_T4_T5_mT6_P12ihipStream_tbENKUlT_T0_E_clISt17integral_constantIbLb1EESW_IbLb0EEEEDaSS_ST_EUlSS_E_NS1_11comp_targetILNS1_3genE10ELNS1_11target_archE1200ELNS1_3gpuE4ELNS1_3repE0EEENS1_30default_config_static_selectorELNS0_4arch9wavefront6targetE1EEEvT1_
                                        ; -- End function
	.section	.AMDGPU.csdata,"",@progbits
; Kernel info:
; codeLenInByte = 0
; NumSgprs: 4
; NumVgprs: 0
; NumAgprs: 0
; TotalNumVgprs: 0
; ScratchSize: 0
; MemoryBound: 0
; FloatMode: 240
; IeeeMode: 1
; LDSByteSize: 0 bytes/workgroup (compile time only)
; SGPRBlocks: 0
; VGPRBlocks: 0
; NumSGPRsForWavesPerEU: 4
; NumVGPRsForWavesPerEU: 1
; AccumOffset: 4
; Occupancy: 8
; WaveLimiterHint : 0
; COMPUTE_PGM_RSRC2:SCRATCH_EN: 0
; COMPUTE_PGM_RSRC2:USER_SGPR: 6
; COMPUTE_PGM_RSRC2:TRAP_HANDLER: 0
; COMPUTE_PGM_RSRC2:TGID_X_EN: 1
; COMPUTE_PGM_RSRC2:TGID_Y_EN: 0
; COMPUTE_PGM_RSRC2:TGID_Z_EN: 0
; COMPUTE_PGM_RSRC2:TIDIG_COMP_CNT: 0
; COMPUTE_PGM_RSRC3_GFX90A:ACCUM_OFFSET: 0
; COMPUTE_PGM_RSRC3_GFX90A:TG_SPLIT: 0
	.section	.text._ZN7rocprim17ROCPRIM_400000_NS6detail17trampoline_kernelINS0_14default_configENS1_20scan_config_selectorIfEEZZNS1_9scan_implILNS1_25lookback_scan_determinismE0ELb0ELb0ES3_N6thrust23THRUST_200600_302600_NS6detail15normal_iteratorINS9_10device_ptrIfEEEENS9_16discard_iteratorINS9_11use_defaultEEEfNS9_4plusIvEEfEEDaPvRmT3_T4_T5_mT6_P12ihipStream_tbENKUlT_T0_E_clISt17integral_constantIbLb1EESW_IbLb0EEEEDaSS_ST_EUlSS_E_NS1_11comp_targetILNS1_3genE9ELNS1_11target_archE1100ELNS1_3gpuE3ELNS1_3repE0EEENS1_30default_config_static_selectorELNS0_4arch9wavefront6targetE1EEEvT1_,"axG",@progbits,_ZN7rocprim17ROCPRIM_400000_NS6detail17trampoline_kernelINS0_14default_configENS1_20scan_config_selectorIfEEZZNS1_9scan_implILNS1_25lookback_scan_determinismE0ELb0ELb0ES3_N6thrust23THRUST_200600_302600_NS6detail15normal_iteratorINS9_10device_ptrIfEEEENS9_16discard_iteratorINS9_11use_defaultEEEfNS9_4plusIvEEfEEDaPvRmT3_T4_T5_mT6_P12ihipStream_tbENKUlT_T0_E_clISt17integral_constantIbLb1EESW_IbLb0EEEEDaSS_ST_EUlSS_E_NS1_11comp_targetILNS1_3genE9ELNS1_11target_archE1100ELNS1_3gpuE3ELNS1_3repE0EEENS1_30default_config_static_selectorELNS0_4arch9wavefront6targetE1EEEvT1_,comdat
	.protected	_ZN7rocprim17ROCPRIM_400000_NS6detail17trampoline_kernelINS0_14default_configENS1_20scan_config_selectorIfEEZZNS1_9scan_implILNS1_25lookback_scan_determinismE0ELb0ELb0ES3_N6thrust23THRUST_200600_302600_NS6detail15normal_iteratorINS9_10device_ptrIfEEEENS9_16discard_iteratorINS9_11use_defaultEEEfNS9_4plusIvEEfEEDaPvRmT3_T4_T5_mT6_P12ihipStream_tbENKUlT_T0_E_clISt17integral_constantIbLb1EESW_IbLb0EEEEDaSS_ST_EUlSS_E_NS1_11comp_targetILNS1_3genE9ELNS1_11target_archE1100ELNS1_3gpuE3ELNS1_3repE0EEENS1_30default_config_static_selectorELNS0_4arch9wavefront6targetE1EEEvT1_ ; -- Begin function _ZN7rocprim17ROCPRIM_400000_NS6detail17trampoline_kernelINS0_14default_configENS1_20scan_config_selectorIfEEZZNS1_9scan_implILNS1_25lookback_scan_determinismE0ELb0ELb0ES3_N6thrust23THRUST_200600_302600_NS6detail15normal_iteratorINS9_10device_ptrIfEEEENS9_16discard_iteratorINS9_11use_defaultEEEfNS9_4plusIvEEfEEDaPvRmT3_T4_T5_mT6_P12ihipStream_tbENKUlT_T0_E_clISt17integral_constantIbLb1EESW_IbLb0EEEEDaSS_ST_EUlSS_E_NS1_11comp_targetILNS1_3genE9ELNS1_11target_archE1100ELNS1_3gpuE3ELNS1_3repE0EEENS1_30default_config_static_selectorELNS0_4arch9wavefront6targetE1EEEvT1_
	.globl	_ZN7rocprim17ROCPRIM_400000_NS6detail17trampoline_kernelINS0_14default_configENS1_20scan_config_selectorIfEEZZNS1_9scan_implILNS1_25lookback_scan_determinismE0ELb0ELb0ES3_N6thrust23THRUST_200600_302600_NS6detail15normal_iteratorINS9_10device_ptrIfEEEENS9_16discard_iteratorINS9_11use_defaultEEEfNS9_4plusIvEEfEEDaPvRmT3_T4_T5_mT6_P12ihipStream_tbENKUlT_T0_E_clISt17integral_constantIbLb1EESW_IbLb0EEEEDaSS_ST_EUlSS_E_NS1_11comp_targetILNS1_3genE9ELNS1_11target_archE1100ELNS1_3gpuE3ELNS1_3repE0EEENS1_30default_config_static_selectorELNS0_4arch9wavefront6targetE1EEEvT1_
	.p2align	8
	.type	_ZN7rocprim17ROCPRIM_400000_NS6detail17trampoline_kernelINS0_14default_configENS1_20scan_config_selectorIfEEZZNS1_9scan_implILNS1_25lookback_scan_determinismE0ELb0ELb0ES3_N6thrust23THRUST_200600_302600_NS6detail15normal_iteratorINS9_10device_ptrIfEEEENS9_16discard_iteratorINS9_11use_defaultEEEfNS9_4plusIvEEfEEDaPvRmT3_T4_T5_mT6_P12ihipStream_tbENKUlT_T0_E_clISt17integral_constantIbLb1EESW_IbLb0EEEEDaSS_ST_EUlSS_E_NS1_11comp_targetILNS1_3genE9ELNS1_11target_archE1100ELNS1_3gpuE3ELNS1_3repE0EEENS1_30default_config_static_selectorELNS0_4arch9wavefront6targetE1EEEvT1_,@function
_ZN7rocprim17ROCPRIM_400000_NS6detail17trampoline_kernelINS0_14default_configENS1_20scan_config_selectorIfEEZZNS1_9scan_implILNS1_25lookback_scan_determinismE0ELb0ELb0ES3_N6thrust23THRUST_200600_302600_NS6detail15normal_iteratorINS9_10device_ptrIfEEEENS9_16discard_iteratorINS9_11use_defaultEEEfNS9_4plusIvEEfEEDaPvRmT3_T4_T5_mT6_P12ihipStream_tbENKUlT_T0_E_clISt17integral_constantIbLb1EESW_IbLb0EEEEDaSS_ST_EUlSS_E_NS1_11comp_targetILNS1_3genE9ELNS1_11target_archE1100ELNS1_3gpuE3ELNS1_3repE0EEENS1_30default_config_static_selectorELNS0_4arch9wavefront6targetE1EEEvT1_: ; @_ZN7rocprim17ROCPRIM_400000_NS6detail17trampoline_kernelINS0_14default_configENS1_20scan_config_selectorIfEEZZNS1_9scan_implILNS1_25lookback_scan_determinismE0ELb0ELb0ES3_N6thrust23THRUST_200600_302600_NS6detail15normal_iteratorINS9_10device_ptrIfEEEENS9_16discard_iteratorINS9_11use_defaultEEEfNS9_4plusIvEEfEEDaPvRmT3_T4_T5_mT6_P12ihipStream_tbENKUlT_T0_E_clISt17integral_constantIbLb1EESW_IbLb0EEEEDaSS_ST_EUlSS_E_NS1_11comp_targetILNS1_3genE9ELNS1_11target_archE1100ELNS1_3gpuE3ELNS1_3repE0EEENS1_30default_config_static_selectorELNS0_4arch9wavefront6targetE1EEEvT1_
; %bb.0:
	.section	.rodata,"a",@progbits
	.p2align	6, 0x0
	.amdhsa_kernel _ZN7rocprim17ROCPRIM_400000_NS6detail17trampoline_kernelINS0_14default_configENS1_20scan_config_selectorIfEEZZNS1_9scan_implILNS1_25lookback_scan_determinismE0ELb0ELb0ES3_N6thrust23THRUST_200600_302600_NS6detail15normal_iteratorINS9_10device_ptrIfEEEENS9_16discard_iteratorINS9_11use_defaultEEEfNS9_4plusIvEEfEEDaPvRmT3_T4_T5_mT6_P12ihipStream_tbENKUlT_T0_E_clISt17integral_constantIbLb1EESW_IbLb0EEEEDaSS_ST_EUlSS_E_NS1_11comp_targetILNS1_3genE9ELNS1_11target_archE1100ELNS1_3gpuE3ELNS1_3repE0EEENS1_30default_config_static_selectorELNS0_4arch9wavefront6targetE1EEEvT1_
		.amdhsa_group_segment_fixed_size 0
		.amdhsa_private_segment_fixed_size 0
		.amdhsa_kernarg_size 104
		.amdhsa_user_sgpr_count 6
		.amdhsa_user_sgpr_private_segment_buffer 1
		.amdhsa_user_sgpr_dispatch_ptr 0
		.amdhsa_user_sgpr_queue_ptr 0
		.amdhsa_user_sgpr_kernarg_segment_ptr 1
		.amdhsa_user_sgpr_dispatch_id 0
		.amdhsa_user_sgpr_flat_scratch_init 0
		.amdhsa_user_sgpr_kernarg_preload_length 0
		.amdhsa_user_sgpr_kernarg_preload_offset 0
		.amdhsa_user_sgpr_private_segment_size 0
		.amdhsa_uses_dynamic_stack 0
		.amdhsa_system_sgpr_private_segment_wavefront_offset 0
		.amdhsa_system_sgpr_workgroup_id_x 1
		.amdhsa_system_sgpr_workgroup_id_y 0
		.amdhsa_system_sgpr_workgroup_id_z 0
		.amdhsa_system_sgpr_workgroup_info 0
		.amdhsa_system_vgpr_workitem_id 0
		.amdhsa_next_free_vgpr 1
		.amdhsa_next_free_sgpr 0
		.amdhsa_accum_offset 4
		.amdhsa_reserve_vcc 0
		.amdhsa_reserve_flat_scratch 0
		.amdhsa_float_round_mode_32 0
		.amdhsa_float_round_mode_16_64 0
		.amdhsa_float_denorm_mode_32 3
		.amdhsa_float_denorm_mode_16_64 3
		.amdhsa_dx10_clamp 1
		.amdhsa_ieee_mode 1
		.amdhsa_fp16_overflow 0
		.amdhsa_tg_split 0
		.amdhsa_exception_fp_ieee_invalid_op 0
		.amdhsa_exception_fp_denorm_src 0
		.amdhsa_exception_fp_ieee_div_zero 0
		.amdhsa_exception_fp_ieee_overflow 0
		.amdhsa_exception_fp_ieee_underflow 0
		.amdhsa_exception_fp_ieee_inexact 0
		.amdhsa_exception_int_div_zero 0
	.end_amdhsa_kernel
	.section	.text._ZN7rocprim17ROCPRIM_400000_NS6detail17trampoline_kernelINS0_14default_configENS1_20scan_config_selectorIfEEZZNS1_9scan_implILNS1_25lookback_scan_determinismE0ELb0ELb0ES3_N6thrust23THRUST_200600_302600_NS6detail15normal_iteratorINS9_10device_ptrIfEEEENS9_16discard_iteratorINS9_11use_defaultEEEfNS9_4plusIvEEfEEDaPvRmT3_T4_T5_mT6_P12ihipStream_tbENKUlT_T0_E_clISt17integral_constantIbLb1EESW_IbLb0EEEEDaSS_ST_EUlSS_E_NS1_11comp_targetILNS1_3genE9ELNS1_11target_archE1100ELNS1_3gpuE3ELNS1_3repE0EEENS1_30default_config_static_selectorELNS0_4arch9wavefront6targetE1EEEvT1_,"axG",@progbits,_ZN7rocprim17ROCPRIM_400000_NS6detail17trampoline_kernelINS0_14default_configENS1_20scan_config_selectorIfEEZZNS1_9scan_implILNS1_25lookback_scan_determinismE0ELb0ELb0ES3_N6thrust23THRUST_200600_302600_NS6detail15normal_iteratorINS9_10device_ptrIfEEEENS9_16discard_iteratorINS9_11use_defaultEEEfNS9_4plusIvEEfEEDaPvRmT3_T4_T5_mT6_P12ihipStream_tbENKUlT_T0_E_clISt17integral_constantIbLb1EESW_IbLb0EEEEDaSS_ST_EUlSS_E_NS1_11comp_targetILNS1_3genE9ELNS1_11target_archE1100ELNS1_3gpuE3ELNS1_3repE0EEENS1_30default_config_static_selectorELNS0_4arch9wavefront6targetE1EEEvT1_,comdat
.Lfunc_end5049:
	.size	_ZN7rocprim17ROCPRIM_400000_NS6detail17trampoline_kernelINS0_14default_configENS1_20scan_config_selectorIfEEZZNS1_9scan_implILNS1_25lookback_scan_determinismE0ELb0ELb0ES3_N6thrust23THRUST_200600_302600_NS6detail15normal_iteratorINS9_10device_ptrIfEEEENS9_16discard_iteratorINS9_11use_defaultEEEfNS9_4plusIvEEfEEDaPvRmT3_T4_T5_mT6_P12ihipStream_tbENKUlT_T0_E_clISt17integral_constantIbLb1EESW_IbLb0EEEEDaSS_ST_EUlSS_E_NS1_11comp_targetILNS1_3genE9ELNS1_11target_archE1100ELNS1_3gpuE3ELNS1_3repE0EEENS1_30default_config_static_selectorELNS0_4arch9wavefront6targetE1EEEvT1_, .Lfunc_end5049-_ZN7rocprim17ROCPRIM_400000_NS6detail17trampoline_kernelINS0_14default_configENS1_20scan_config_selectorIfEEZZNS1_9scan_implILNS1_25lookback_scan_determinismE0ELb0ELb0ES3_N6thrust23THRUST_200600_302600_NS6detail15normal_iteratorINS9_10device_ptrIfEEEENS9_16discard_iteratorINS9_11use_defaultEEEfNS9_4plusIvEEfEEDaPvRmT3_T4_T5_mT6_P12ihipStream_tbENKUlT_T0_E_clISt17integral_constantIbLb1EESW_IbLb0EEEEDaSS_ST_EUlSS_E_NS1_11comp_targetILNS1_3genE9ELNS1_11target_archE1100ELNS1_3gpuE3ELNS1_3repE0EEENS1_30default_config_static_selectorELNS0_4arch9wavefront6targetE1EEEvT1_
                                        ; -- End function
	.section	.AMDGPU.csdata,"",@progbits
; Kernel info:
; codeLenInByte = 0
; NumSgprs: 4
; NumVgprs: 0
; NumAgprs: 0
; TotalNumVgprs: 0
; ScratchSize: 0
; MemoryBound: 0
; FloatMode: 240
; IeeeMode: 1
; LDSByteSize: 0 bytes/workgroup (compile time only)
; SGPRBlocks: 0
; VGPRBlocks: 0
; NumSGPRsForWavesPerEU: 4
; NumVGPRsForWavesPerEU: 1
; AccumOffset: 4
; Occupancy: 8
; WaveLimiterHint : 0
; COMPUTE_PGM_RSRC2:SCRATCH_EN: 0
; COMPUTE_PGM_RSRC2:USER_SGPR: 6
; COMPUTE_PGM_RSRC2:TRAP_HANDLER: 0
; COMPUTE_PGM_RSRC2:TGID_X_EN: 1
; COMPUTE_PGM_RSRC2:TGID_Y_EN: 0
; COMPUTE_PGM_RSRC2:TGID_Z_EN: 0
; COMPUTE_PGM_RSRC2:TIDIG_COMP_CNT: 0
; COMPUTE_PGM_RSRC3_GFX90A:ACCUM_OFFSET: 0
; COMPUTE_PGM_RSRC3_GFX90A:TG_SPLIT: 0
	.section	.text._ZN7rocprim17ROCPRIM_400000_NS6detail17trampoline_kernelINS0_14default_configENS1_20scan_config_selectorIfEEZZNS1_9scan_implILNS1_25lookback_scan_determinismE0ELb0ELb0ES3_N6thrust23THRUST_200600_302600_NS6detail15normal_iteratorINS9_10device_ptrIfEEEENS9_16discard_iteratorINS9_11use_defaultEEEfNS9_4plusIvEEfEEDaPvRmT3_T4_T5_mT6_P12ihipStream_tbENKUlT_T0_E_clISt17integral_constantIbLb1EESW_IbLb0EEEEDaSS_ST_EUlSS_E_NS1_11comp_targetILNS1_3genE8ELNS1_11target_archE1030ELNS1_3gpuE2ELNS1_3repE0EEENS1_30default_config_static_selectorELNS0_4arch9wavefront6targetE1EEEvT1_,"axG",@progbits,_ZN7rocprim17ROCPRIM_400000_NS6detail17trampoline_kernelINS0_14default_configENS1_20scan_config_selectorIfEEZZNS1_9scan_implILNS1_25lookback_scan_determinismE0ELb0ELb0ES3_N6thrust23THRUST_200600_302600_NS6detail15normal_iteratorINS9_10device_ptrIfEEEENS9_16discard_iteratorINS9_11use_defaultEEEfNS9_4plusIvEEfEEDaPvRmT3_T4_T5_mT6_P12ihipStream_tbENKUlT_T0_E_clISt17integral_constantIbLb1EESW_IbLb0EEEEDaSS_ST_EUlSS_E_NS1_11comp_targetILNS1_3genE8ELNS1_11target_archE1030ELNS1_3gpuE2ELNS1_3repE0EEENS1_30default_config_static_selectorELNS0_4arch9wavefront6targetE1EEEvT1_,comdat
	.protected	_ZN7rocprim17ROCPRIM_400000_NS6detail17trampoline_kernelINS0_14default_configENS1_20scan_config_selectorIfEEZZNS1_9scan_implILNS1_25lookback_scan_determinismE0ELb0ELb0ES3_N6thrust23THRUST_200600_302600_NS6detail15normal_iteratorINS9_10device_ptrIfEEEENS9_16discard_iteratorINS9_11use_defaultEEEfNS9_4plusIvEEfEEDaPvRmT3_T4_T5_mT6_P12ihipStream_tbENKUlT_T0_E_clISt17integral_constantIbLb1EESW_IbLb0EEEEDaSS_ST_EUlSS_E_NS1_11comp_targetILNS1_3genE8ELNS1_11target_archE1030ELNS1_3gpuE2ELNS1_3repE0EEENS1_30default_config_static_selectorELNS0_4arch9wavefront6targetE1EEEvT1_ ; -- Begin function _ZN7rocprim17ROCPRIM_400000_NS6detail17trampoline_kernelINS0_14default_configENS1_20scan_config_selectorIfEEZZNS1_9scan_implILNS1_25lookback_scan_determinismE0ELb0ELb0ES3_N6thrust23THRUST_200600_302600_NS6detail15normal_iteratorINS9_10device_ptrIfEEEENS9_16discard_iteratorINS9_11use_defaultEEEfNS9_4plusIvEEfEEDaPvRmT3_T4_T5_mT6_P12ihipStream_tbENKUlT_T0_E_clISt17integral_constantIbLb1EESW_IbLb0EEEEDaSS_ST_EUlSS_E_NS1_11comp_targetILNS1_3genE8ELNS1_11target_archE1030ELNS1_3gpuE2ELNS1_3repE0EEENS1_30default_config_static_selectorELNS0_4arch9wavefront6targetE1EEEvT1_
	.globl	_ZN7rocprim17ROCPRIM_400000_NS6detail17trampoline_kernelINS0_14default_configENS1_20scan_config_selectorIfEEZZNS1_9scan_implILNS1_25lookback_scan_determinismE0ELb0ELb0ES3_N6thrust23THRUST_200600_302600_NS6detail15normal_iteratorINS9_10device_ptrIfEEEENS9_16discard_iteratorINS9_11use_defaultEEEfNS9_4plusIvEEfEEDaPvRmT3_T4_T5_mT6_P12ihipStream_tbENKUlT_T0_E_clISt17integral_constantIbLb1EESW_IbLb0EEEEDaSS_ST_EUlSS_E_NS1_11comp_targetILNS1_3genE8ELNS1_11target_archE1030ELNS1_3gpuE2ELNS1_3repE0EEENS1_30default_config_static_selectorELNS0_4arch9wavefront6targetE1EEEvT1_
	.p2align	8
	.type	_ZN7rocprim17ROCPRIM_400000_NS6detail17trampoline_kernelINS0_14default_configENS1_20scan_config_selectorIfEEZZNS1_9scan_implILNS1_25lookback_scan_determinismE0ELb0ELb0ES3_N6thrust23THRUST_200600_302600_NS6detail15normal_iteratorINS9_10device_ptrIfEEEENS9_16discard_iteratorINS9_11use_defaultEEEfNS9_4plusIvEEfEEDaPvRmT3_T4_T5_mT6_P12ihipStream_tbENKUlT_T0_E_clISt17integral_constantIbLb1EESW_IbLb0EEEEDaSS_ST_EUlSS_E_NS1_11comp_targetILNS1_3genE8ELNS1_11target_archE1030ELNS1_3gpuE2ELNS1_3repE0EEENS1_30default_config_static_selectorELNS0_4arch9wavefront6targetE1EEEvT1_,@function
_ZN7rocprim17ROCPRIM_400000_NS6detail17trampoline_kernelINS0_14default_configENS1_20scan_config_selectorIfEEZZNS1_9scan_implILNS1_25lookback_scan_determinismE0ELb0ELb0ES3_N6thrust23THRUST_200600_302600_NS6detail15normal_iteratorINS9_10device_ptrIfEEEENS9_16discard_iteratorINS9_11use_defaultEEEfNS9_4plusIvEEfEEDaPvRmT3_T4_T5_mT6_P12ihipStream_tbENKUlT_T0_E_clISt17integral_constantIbLb1EESW_IbLb0EEEEDaSS_ST_EUlSS_E_NS1_11comp_targetILNS1_3genE8ELNS1_11target_archE1030ELNS1_3gpuE2ELNS1_3repE0EEENS1_30default_config_static_selectorELNS0_4arch9wavefront6targetE1EEEvT1_: ; @_ZN7rocprim17ROCPRIM_400000_NS6detail17trampoline_kernelINS0_14default_configENS1_20scan_config_selectorIfEEZZNS1_9scan_implILNS1_25lookback_scan_determinismE0ELb0ELb0ES3_N6thrust23THRUST_200600_302600_NS6detail15normal_iteratorINS9_10device_ptrIfEEEENS9_16discard_iteratorINS9_11use_defaultEEEfNS9_4plusIvEEfEEDaPvRmT3_T4_T5_mT6_P12ihipStream_tbENKUlT_T0_E_clISt17integral_constantIbLb1EESW_IbLb0EEEEDaSS_ST_EUlSS_E_NS1_11comp_targetILNS1_3genE8ELNS1_11target_archE1030ELNS1_3gpuE2ELNS1_3repE0EEENS1_30default_config_static_selectorELNS0_4arch9wavefront6targetE1EEEvT1_
; %bb.0:
	.section	.rodata,"a",@progbits
	.p2align	6, 0x0
	.amdhsa_kernel _ZN7rocprim17ROCPRIM_400000_NS6detail17trampoline_kernelINS0_14default_configENS1_20scan_config_selectorIfEEZZNS1_9scan_implILNS1_25lookback_scan_determinismE0ELb0ELb0ES3_N6thrust23THRUST_200600_302600_NS6detail15normal_iteratorINS9_10device_ptrIfEEEENS9_16discard_iteratorINS9_11use_defaultEEEfNS9_4plusIvEEfEEDaPvRmT3_T4_T5_mT6_P12ihipStream_tbENKUlT_T0_E_clISt17integral_constantIbLb1EESW_IbLb0EEEEDaSS_ST_EUlSS_E_NS1_11comp_targetILNS1_3genE8ELNS1_11target_archE1030ELNS1_3gpuE2ELNS1_3repE0EEENS1_30default_config_static_selectorELNS0_4arch9wavefront6targetE1EEEvT1_
		.amdhsa_group_segment_fixed_size 0
		.amdhsa_private_segment_fixed_size 0
		.amdhsa_kernarg_size 104
		.amdhsa_user_sgpr_count 6
		.amdhsa_user_sgpr_private_segment_buffer 1
		.amdhsa_user_sgpr_dispatch_ptr 0
		.amdhsa_user_sgpr_queue_ptr 0
		.amdhsa_user_sgpr_kernarg_segment_ptr 1
		.amdhsa_user_sgpr_dispatch_id 0
		.amdhsa_user_sgpr_flat_scratch_init 0
		.amdhsa_user_sgpr_kernarg_preload_length 0
		.amdhsa_user_sgpr_kernarg_preload_offset 0
		.amdhsa_user_sgpr_private_segment_size 0
		.amdhsa_uses_dynamic_stack 0
		.amdhsa_system_sgpr_private_segment_wavefront_offset 0
		.amdhsa_system_sgpr_workgroup_id_x 1
		.amdhsa_system_sgpr_workgroup_id_y 0
		.amdhsa_system_sgpr_workgroup_id_z 0
		.amdhsa_system_sgpr_workgroup_info 0
		.amdhsa_system_vgpr_workitem_id 0
		.amdhsa_next_free_vgpr 1
		.amdhsa_next_free_sgpr 0
		.amdhsa_accum_offset 4
		.amdhsa_reserve_vcc 0
		.amdhsa_reserve_flat_scratch 0
		.amdhsa_float_round_mode_32 0
		.amdhsa_float_round_mode_16_64 0
		.amdhsa_float_denorm_mode_32 3
		.amdhsa_float_denorm_mode_16_64 3
		.amdhsa_dx10_clamp 1
		.amdhsa_ieee_mode 1
		.amdhsa_fp16_overflow 0
		.amdhsa_tg_split 0
		.amdhsa_exception_fp_ieee_invalid_op 0
		.amdhsa_exception_fp_denorm_src 0
		.amdhsa_exception_fp_ieee_div_zero 0
		.amdhsa_exception_fp_ieee_overflow 0
		.amdhsa_exception_fp_ieee_underflow 0
		.amdhsa_exception_fp_ieee_inexact 0
		.amdhsa_exception_int_div_zero 0
	.end_amdhsa_kernel
	.section	.text._ZN7rocprim17ROCPRIM_400000_NS6detail17trampoline_kernelINS0_14default_configENS1_20scan_config_selectorIfEEZZNS1_9scan_implILNS1_25lookback_scan_determinismE0ELb0ELb0ES3_N6thrust23THRUST_200600_302600_NS6detail15normal_iteratorINS9_10device_ptrIfEEEENS9_16discard_iteratorINS9_11use_defaultEEEfNS9_4plusIvEEfEEDaPvRmT3_T4_T5_mT6_P12ihipStream_tbENKUlT_T0_E_clISt17integral_constantIbLb1EESW_IbLb0EEEEDaSS_ST_EUlSS_E_NS1_11comp_targetILNS1_3genE8ELNS1_11target_archE1030ELNS1_3gpuE2ELNS1_3repE0EEENS1_30default_config_static_selectorELNS0_4arch9wavefront6targetE1EEEvT1_,"axG",@progbits,_ZN7rocprim17ROCPRIM_400000_NS6detail17trampoline_kernelINS0_14default_configENS1_20scan_config_selectorIfEEZZNS1_9scan_implILNS1_25lookback_scan_determinismE0ELb0ELb0ES3_N6thrust23THRUST_200600_302600_NS6detail15normal_iteratorINS9_10device_ptrIfEEEENS9_16discard_iteratorINS9_11use_defaultEEEfNS9_4plusIvEEfEEDaPvRmT3_T4_T5_mT6_P12ihipStream_tbENKUlT_T0_E_clISt17integral_constantIbLb1EESW_IbLb0EEEEDaSS_ST_EUlSS_E_NS1_11comp_targetILNS1_3genE8ELNS1_11target_archE1030ELNS1_3gpuE2ELNS1_3repE0EEENS1_30default_config_static_selectorELNS0_4arch9wavefront6targetE1EEEvT1_,comdat
.Lfunc_end5050:
	.size	_ZN7rocprim17ROCPRIM_400000_NS6detail17trampoline_kernelINS0_14default_configENS1_20scan_config_selectorIfEEZZNS1_9scan_implILNS1_25lookback_scan_determinismE0ELb0ELb0ES3_N6thrust23THRUST_200600_302600_NS6detail15normal_iteratorINS9_10device_ptrIfEEEENS9_16discard_iteratorINS9_11use_defaultEEEfNS9_4plusIvEEfEEDaPvRmT3_T4_T5_mT6_P12ihipStream_tbENKUlT_T0_E_clISt17integral_constantIbLb1EESW_IbLb0EEEEDaSS_ST_EUlSS_E_NS1_11comp_targetILNS1_3genE8ELNS1_11target_archE1030ELNS1_3gpuE2ELNS1_3repE0EEENS1_30default_config_static_selectorELNS0_4arch9wavefront6targetE1EEEvT1_, .Lfunc_end5050-_ZN7rocprim17ROCPRIM_400000_NS6detail17trampoline_kernelINS0_14default_configENS1_20scan_config_selectorIfEEZZNS1_9scan_implILNS1_25lookback_scan_determinismE0ELb0ELb0ES3_N6thrust23THRUST_200600_302600_NS6detail15normal_iteratorINS9_10device_ptrIfEEEENS9_16discard_iteratorINS9_11use_defaultEEEfNS9_4plusIvEEfEEDaPvRmT3_T4_T5_mT6_P12ihipStream_tbENKUlT_T0_E_clISt17integral_constantIbLb1EESW_IbLb0EEEEDaSS_ST_EUlSS_E_NS1_11comp_targetILNS1_3genE8ELNS1_11target_archE1030ELNS1_3gpuE2ELNS1_3repE0EEENS1_30default_config_static_selectorELNS0_4arch9wavefront6targetE1EEEvT1_
                                        ; -- End function
	.section	.AMDGPU.csdata,"",@progbits
; Kernel info:
; codeLenInByte = 0
; NumSgprs: 4
; NumVgprs: 0
; NumAgprs: 0
; TotalNumVgprs: 0
; ScratchSize: 0
; MemoryBound: 0
; FloatMode: 240
; IeeeMode: 1
; LDSByteSize: 0 bytes/workgroup (compile time only)
; SGPRBlocks: 0
; VGPRBlocks: 0
; NumSGPRsForWavesPerEU: 4
; NumVGPRsForWavesPerEU: 1
; AccumOffset: 4
; Occupancy: 8
; WaveLimiterHint : 0
; COMPUTE_PGM_RSRC2:SCRATCH_EN: 0
; COMPUTE_PGM_RSRC2:USER_SGPR: 6
; COMPUTE_PGM_RSRC2:TRAP_HANDLER: 0
; COMPUTE_PGM_RSRC2:TGID_X_EN: 1
; COMPUTE_PGM_RSRC2:TGID_Y_EN: 0
; COMPUTE_PGM_RSRC2:TGID_Z_EN: 0
; COMPUTE_PGM_RSRC2:TIDIG_COMP_CNT: 0
; COMPUTE_PGM_RSRC3_GFX90A:ACCUM_OFFSET: 0
; COMPUTE_PGM_RSRC3_GFX90A:TG_SPLIT: 0
	.section	.text._ZN7rocprim17ROCPRIM_400000_NS6detail17trampoline_kernelINS0_14default_configENS1_20scan_config_selectorIfEEZZNS1_9scan_implILNS1_25lookback_scan_determinismE0ELb0ELb0ES3_N6thrust23THRUST_200600_302600_NS6detail15normal_iteratorINS9_10device_ptrIfEEEENS9_16discard_iteratorINS9_11use_defaultEEEfNS9_4plusIvEEfEEDaPvRmT3_T4_T5_mT6_P12ihipStream_tbENKUlT_T0_E_clISt17integral_constantIbLb1EESW_IbLb0EEEEDaSS_ST_EUlSS_E0_NS1_11comp_targetILNS1_3genE0ELNS1_11target_archE4294967295ELNS1_3gpuE0ELNS1_3repE0EEENS1_30default_config_static_selectorELNS0_4arch9wavefront6targetE1EEEvT1_,"axG",@progbits,_ZN7rocprim17ROCPRIM_400000_NS6detail17trampoline_kernelINS0_14default_configENS1_20scan_config_selectorIfEEZZNS1_9scan_implILNS1_25lookback_scan_determinismE0ELb0ELb0ES3_N6thrust23THRUST_200600_302600_NS6detail15normal_iteratorINS9_10device_ptrIfEEEENS9_16discard_iteratorINS9_11use_defaultEEEfNS9_4plusIvEEfEEDaPvRmT3_T4_T5_mT6_P12ihipStream_tbENKUlT_T0_E_clISt17integral_constantIbLb1EESW_IbLb0EEEEDaSS_ST_EUlSS_E0_NS1_11comp_targetILNS1_3genE0ELNS1_11target_archE4294967295ELNS1_3gpuE0ELNS1_3repE0EEENS1_30default_config_static_selectorELNS0_4arch9wavefront6targetE1EEEvT1_,comdat
	.protected	_ZN7rocprim17ROCPRIM_400000_NS6detail17trampoline_kernelINS0_14default_configENS1_20scan_config_selectorIfEEZZNS1_9scan_implILNS1_25lookback_scan_determinismE0ELb0ELb0ES3_N6thrust23THRUST_200600_302600_NS6detail15normal_iteratorINS9_10device_ptrIfEEEENS9_16discard_iteratorINS9_11use_defaultEEEfNS9_4plusIvEEfEEDaPvRmT3_T4_T5_mT6_P12ihipStream_tbENKUlT_T0_E_clISt17integral_constantIbLb1EESW_IbLb0EEEEDaSS_ST_EUlSS_E0_NS1_11comp_targetILNS1_3genE0ELNS1_11target_archE4294967295ELNS1_3gpuE0ELNS1_3repE0EEENS1_30default_config_static_selectorELNS0_4arch9wavefront6targetE1EEEvT1_ ; -- Begin function _ZN7rocprim17ROCPRIM_400000_NS6detail17trampoline_kernelINS0_14default_configENS1_20scan_config_selectorIfEEZZNS1_9scan_implILNS1_25lookback_scan_determinismE0ELb0ELb0ES3_N6thrust23THRUST_200600_302600_NS6detail15normal_iteratorINS9_10device_ptrIfEEEENS9_16discard_iteratorINS9_11use_defaultEEEfNS9_4plusIvEEfEEDaPvRmT3_T4_T5_mT6_P12ihipStream_tbENKUlT_T0_E_clISt17integral_constantIbLb1EESW_IbLb0EEEEDaSS_ST_EUlSS_E0_NS1_11comp_targetILNS1_3genE0ELNS1_11target_archE4294967295ELNS1_3gpuE0ELNS1_3repE0EEENS1_30default_config_static_selectorELNS0_4arch9wavefront6targetE1EEEvT1_
	.globl	_ZN7rocprim17ROCPRIM_400000_NS6detail17trampoline_kernelINS0_14default_configENS1_20scan_config_selectorIfEEZZNS1_9scan_implILNS1_25lookback_scan_determinismE0ELb0ELb0ES3_N6thrust23THRUST_200600_302600_NS6detail15normal_iteratorINS9_10device_ptrIfEEEENS9_16discard_iteratorINS9_11use_defaultEEEfNS9_4plusIvEEfEEDaPvRmT3_T4_T5_mT6_P12ihipStream_tbENKUlT_T0_E_clISt17integral_constantIbLb1EESW_IbLb0EEEEDaSS_ST_EUlSS_E0_NS1_11comp_targetILNS1_3genE0ELNS1_11target_archE4294967295ELNS1_3gpuE0ELNS1_3repE0EEENS1_30default_config_static_selectorELNS0_4arch9wavefront6targetE1EEEvT1_
	.p2align	8
	.type	_ZN7rocprim17ROCPRIM_400000_NS6detail17trampoline_kernelINS0_14default_configENS1_20scan_config_selectorIfEEZZNS1_9scan_implILNS1_25lookback_scan_determinismE0ELb0ELb0ES3_N6thrust23THRUST_200600_302600_NS6detail15normal_iteratorINS9_10device_ptrIfEEEENS9_16discard_iteratorINS9_11use_defaultEEEfNS9_4plusIvEEfEEDaPvRmT3_T4_T5_mT6_P12ihipStream_tbENKUlT_T0_E_clISt17integral_constantIbLb1EESW_IbLb0EEEEDaSS_ST_EUlSS_E0_NS1_11comp_targetILNS1_3genE0ELNS1_11target_archE4294967295ELNS1_3gpuE0ELNS1_3repE0EEENS1_30default_config_static_selectorELNS0_4arch9wavefront6targetE1EEEvT1_,@function
_ZN7rocprim17ROCPRIM_400000_NS6detail17trampoline_kernelINS0_14default_configENS1_20scan_config_selectorIfEEZZNS1_9scan_implILNS1_25lookback_scan_determinismE0ELb0ELb0ES3_N6thrust23THRUST_200600_302600_NS6detail15normal_iteratorINS9_10device_ptrIfEEEENS9_16discard_iteratorINS9_11use_defaultEEEfNS9_4plusIvEEfEEDaPvRmT3_T4_T5_mT6_P12ihipStream_tbENKUlT_T0_E_clISt17integral_constantIbLb1EESW_IbLb0EEEEDaSS_ST_EUlSS_E0_NS1_11comp_targetILNS1_3genE0ELNS1_11target_archE4294967295ELNS1_3gpuE0ELNS1_3repE0EEENS1_30default_config_static_selectorELNS0_4arch9wavefront6targetE1EEEvT1_: ; @_ZN7rocprim17ROCPRIM_400000_NS6detail17trampoline_kernelINS0_14default_configENS1_20scan_config_selectorIfEEZZNS1_9scan_implILNS1_25lookback_scan_determinismE0ELb0ELb0ES3_N6thrust23THRUST_200600_302600_NS6detail15normal_iteratorINS9_10device_ptrIfEEEENS9_16discard_iteratorINS9_11use_defaultEEEfNS9_4plusIvEEfEEDaPvRmT3_T4_T5_mT6_P12ihipStream_tbENKUlT_T0_E_clISt17integral_constantIbLb1EESW_IbLb0EEEEDaSS_ST_EUlSS_E0_NS1_11comp_targetILNS1_3genE0ELNS1_11target_archE4294967295ELNS1_3gpuE0ELNS1_3repE0EEENS1_30default_config_static_selectorELNS0_4arch9wavefront6targetE1EEEvT1_
; %bb.0:
	.section	.rodata,"a",@progbits
	.p2align	6, 0x0
	.amdhsa_kernel _ZN7rocprim17ROCPRIM_400000_NS6detail17trampoline_kernelINS0_14default_configENS1_20scan_config_selectorIfEEZZNS1_9scan_implILNS1_25lookback_scan_determinismE0ELb0ELb0ES3_N6thrust23THRUST_200600_302600_NS6detail15normal_iteratorINS9_10device_ptrIfEEEENS9_16discard_iteratorINS9_11use_defaultEEEfNS9_4plusIvEEfEEDaPvRmT3_T4_T5_mT6_P12ihipStream_tbENKUlT_T0_E_clISt17integral_constantIbLb1EESW_IbLb0EEEEDaSS_ST_EUlSS_E0_NS1_11comp_targetILNS1_3genE0ELNS1_11target_archE4294967295ELNS1_3gpuE0ELNS1_3repE0EEENS1_30default_config_static_selectorELNS0_4arch9wavefront6targetE1EEEvT1_
		.amdhsa_group_segment_fixed_size 0
		.amdhsa_private_segment_fixed_size 0
		.amdhsa_kernarg_size 40
		.amdhsa_user_sgpr_count 6
		.amdhsa_user_sgpr_private_segment_buffer 1
		.amdhsa_user_sgpr_dispatch_ptr 0
		.amdhsa_user_sgpr_queue_ptr 0
		.amdhsa_user_sgpr_kernarg_segment_ptr 1
		.amdhsa_user_sgpr_dispatch_id 0
		.amdhsa_user_sgpr_flat_scratch_init 0
		.amdhsa_user_sgpr_kernarg_preload_length 0
		.amdhsa_user_sgpr_kernarg_preload_offset 0
		.amdhsa_user_sgpr_private_segment_size 0
		.amdhsa_uses_dynamic_stack 0
		.amdhsa_system_sgpr_private_segment_wavefront_offset 0
		.amdhsa_system_sgpr_workgroup_id_x 1
		.amdhsa_system_sgpr_workgroup_id_y 0
		.amdhsa_system_sgpr_workgroup_id_z 0
		.amdhsa_system_sgpr_workgroup_info 0
		.amdhsa_system_vgpr_workitem_id 0
		.amdhsa_next_free_vgpr 1
		.amdhsa_next_free_sgpr 0
		.amdhsa_accum_offset 4
		.amdhsa_reserve_vcc 0
		.amdhsa_reserve_flat_scratch 0
		.amdhsa_float_round_mode_32 0
		.amdhsa_float_round_mode_16_64 0
		.amdhsa_float_denorm_mode_32 3
		.amdhsa_float_denorm_mode_16_64 3
		.amdhsa_dx10_clamp 1
		.amdhsa_ieee_mode 1
		.amdhsa_fp16_overflow 0
		.amdhsa_tg_split 0
		.amdhsa_exception_fp_ieee_invalid_op 0
		.amdhsa_exception_fp_denorm_src 0
		.amdhsa_exception_fp_ieee_div_zero 0
		.amdhsa_exception_fp_ieee_overflow 0
		.amdhsa_exception_fp_ieee_underflow 0
		.amdhsa_exception_fp_ieee_inexact 0
		.amdhsa_exception_int_div_zero 0
	.end_amdhsa_kernel
	.section	.text._ZN7rocprim17ROCPRIM_400000_NS6detail17trampoline_kernelINS0_14default_configENS1_20scan_config_selectorIfEEZZNS1_9scan_implILNS1_25lookback_scan_determinismE0ELb0ELb0ES3_N6thrust23THRUST_200600_302600_NS6detail15normal_iteratorINS9_10device_ptrIfEEEENS9_16discard_iteratorINS9_11use_defaultEEEfNS9_4plusIvEEfEEDaPvRmT3_T4_T5_mT6_P12ihipStream_tbENKUlT_T0_E_clISt17integral_constantIbLb1EESW_IbLb0EEEEDaSS_ST_EUlSS_E0_NS1_11comp_targetILNS1_3genE0ELNS1_11target_archE4294967295ELNS1_3gpuE0ELNS1_3repE0EEENS1_30default_config_static_selectorELNS0_4arch9wavefront6targetE1EEEvT1_,"axG",@progbits,_ZN7rocprim17ROCPRIM_400000_NS6detail17trampoline_kernelINS0_14default_configENS1_20scan_config_selectorIfEEZZNS1_9scan_implILNS1_25lookback_scan_determinismE0ELb0ELb0ES3_N6thrust23THRUST_200600_302600_NS6detail15normal_iteratorINS9_10device_ptrIfEEEENS9_16discard_iteratorINS9_11use_defaultEEEfNS9_4plusIvEEfEEDaPvRmT3_T4_T5_mT6_P12ihipStream_tbENKUlT_T0_E_clISt17integral_constantIbLb1EESW_IbLb0EEEEDaSS_ST_EUlSS_E0_NS1_11comp_targetILNS1_3genE0ELNS1_11target_archE4294967295ELNS1_3gpuE0ELNS1_3repE0EEENS1_30default_config_static_selectorELNS0_4arch9wavefront6targetE1EEEvT1_,comdat
.Lfunc_end5051:
	.size	_ZN7rocprim17ROCPRIM_400000_NS6detail17trampoline_kernelINS0_14default_configENS1_20scan_config_selectorIfEEZZNS1_9scan_implILNS1_25lookback_scan_determinismE0ELb0ELb0ES3_N6thrust23THRUST_200600_302600_NS6detail15normal_iteratorINS9_10device_ptrIfEEEENS9_16discard_iteratorINS9_11use_defaultEEEfNS9_4plusIvEEfEEDaPvRmT3_T4_T5_mT6_P12ihipStream_tbENKUlT_T0_E_clISt17integral_constantIbLb1EESW_IbLb0EEEEDaSS_ST_EUlSS_E0_NS1_11comp_targetILNS1_3genE0ELNS1_11target_archE4294967295ELNS1_3gpuE0ELNS1_3repE0EEENS1_30default_config_static_selectorELNS0_4arch9wavefront6targetE1EEEvT1_, .Lfunc_end5051-_ZN7rocprim17ROCPRIM_400000_NS6detail17trampoline_kernelINS0_14default_configENS1_20scan_config_selectorIfEEZZNS1_9scan_implILNS1_25lookback_scan_determinismE0ELb0ELb0ES3_N6thrust23THRUST_200600_302600_NS6detail15normal_iteratorINS9_10device_ptrIfEEEENS9_16discard_iteratorINS9_11use_defaultEEEfNS9_4plusIvEEfEEDaPvRmT3_T4_T5_mT6_P12ihipStream_tbENKUlT_T0_E_clISt17integral_constantIbLb1EESW_IbLb0EEEEDaSS_ST_EUlSS_E0_NS1_11comp_targetILNS1_3genE0ELNS1_11target_archE4294967295ELNS1_3gpuE0ELNS1_3repE0EEENS1_30default_config_static_selectorELNS0_4arch9wavefront6targetE1EEEvT1_
                                        ; -- End function
	.section	.AMDGPU.csdata,"",@progbits
; Kernel info:
; codeLenInByte = 0
; NumSgprs: 4
; NumVgprs: 0
; NumAgprs: 0
; TotalNumVgprs: 0
; ScratchSize: 0
; MemoryBound: 0
; FloatMode: 240
; IeeeMode: 1
; LDSByteSize: 0 bytes/workgroup (compile time only)
; SGPRBlocks: 0
; VGPRBlocks: 0
; NumSGPRsForWavesPerEU: 4
; NumVGPRsForWavesPerEU: 1
; AccumOffset: 4
; Occupancy: 8
; WaveLimiterHint : 0
; COMPUTE_PGM_RSRC2:SCRATCH_EN: 0
; COMPUTE_PGM_RSRC2:USER_SGPR: 6
; COMPUTE_PGM_RSRC2:TRAP_HANDLER: 0
; COMPUTE_PGM_RSRC2:TGID_X_EN: 1
; COMPUTE_PGM_RSRC2:TGID_Y_EN: 0
; COMPUTE_PGM_RSRC2:TGID_Z_EN: 0
; COMPUTE_PGM_RSRC2:TIDIG_COMP_CNT: 0
; COMPUTE_PGM_RSRC3_GFX90A:ACCUM_OFFSET: 0
; COMPUTE_PGM_RSRC3_GFX90A:TG_SPLIT: 0
	.section	.text._ZN7rocprim17ROCPRIM_400000_NS6detail17trampoline_kernelINS0_14default_configENS1_20scan_config_selectorIfEEZZNS1_9scan_implILNS1_25lookback_scan_determinismE0ELb0ELb0ES3_N6thrust23THRUST_200600_302600_NS6detail15normal_iteratorINS9_10device_ptrIfEEEENS9_16discard_iteratorINS9_11use_defaultEEEfNS9_4plusIvEEfEEDaPvRmT3_T4_T5_mT6_P12ihipStream_tbENKUlT_T0_E_clISt17integral_constantIbLb1EESW_IbLb0EEEEDaSS_ST_EUlSS_E0_NS1_11comp_targetILNS1_3genE5ELNS1_11target_archE942ELNS1_3gpuE9ELNS1_3repE0EEENS1_30default_config_static_selectorELNS0_4arch9wavefront6targetE1EEEvT1_,"axG",@progbits,_ZN7rocprim17ROCPRIM_400000_NS6detail17trampoline_kernelINS0_14default_configENS1_20scan_config_selectorIfEEZZNS1_9scan_implILNS1_25lookback_scan_determinismE0ELb0ELb0ES3_N6thrust23THRUST_200600_302600_NS6detail15normal_iteratorINS9_10device_ptrIfEEEENS9_16discard_iteratorINS9_11use_defaultEEEfNS9_4plusIvEEfEEDaPvRmT3_T4_T5_mT6_P12ihipStream_tbENKUlT_T0_E_clISt17integral_constantIbLb1EESW_IbLb0EEEEDaSS_ST_EUlSS_E0_NS1_11comp_targetILNS1_3genE5ELNS1_11target_archE942ELNS1_3gpuE9ELNS1_3repE0EEENS1_30default_config_static_selectorELNS0_4arch9wavefront6targetE1EEEvT1_,comdat
	.protected	_ZN7rocprim17ROCPRIM_400000_NS6detail17trampoline_kernelINS0_14default_configENS1_20scan_config_selectorIfEEZZNS1_9scan_implILNS1_25lookback_scan_determinismE0ELb0ELb0ES3_N6thrust23THRUST_200600_302600_NS6detail15normal_iteratorINS9_10device_ptrIfEEEENS9_16discard_iteratorINS9_11use_defaultEEEfNS9_4plusIvEEfEEDaPvRmT3_T4_T5_mT6_P12ihipStream_tbENKUlT_T0_E_clISt17integral_constantIbLb1EESW_IbLb0EEEEDaSS_ST_EUlSS_E0_NS1_11comp_targetILNS1_3genE5ELNS1_11target_archE942ELNS1_3gpuE9ELNS1_3repE0EEENS1_30default_config_static_selectorELNS0_4arch9wavefront6targetE1EEEvT1_ ; -- Begin function _ZN7rocprim17ROCPRIM_400000_NS6detail17trampoline_kernelINS0_14default_configENS1_20scan_config_selectorIfEEZZNS1_9scan_implILNS1_25lookback_scan_determinismE0ELb0ELb0ES3_N6thrust23THRUST_200600_302600_NS6detail15normal_iteratorINS9_10device_ptrIfEEEENS9_16discard_iteratorINS9_11use_defaultEEEfNS9_4plusIvEEfEEDaPvRmT3_T4_T5_mT6_P12ihipStream_tbENKUlT_T0_E_clISt17integral_constantIbLb1EESW_IbLb0EEEEDaSS_ST_EUlSS_E0_NS1_11comp_targetILNS1_3genE5ELNS1_11target_archE942ELNS1_3gpuE9ELNS1_3repE0EEENS1_30default_config_static_selectorELNS0_4arch9wavefront6targetE1EEEvT1_
	.globl	_ZN7rocprim17ROCPRIM_400000_NS6detail17trampoline_kernelINS0_14default_configENS1_20scan_config_selectorIfEEZZNS1_9scan_implILNS1_25lookback_scan_determinismE0ELb0ELb0ES3_N6thrust23THRUST_200600_302600_NS6detail15normal_iteratorINS9_10device_ptrIfEEEENS9_16discard_iteratorINS9_11use_defaultEEEfNS9_4plusIvEEfEEDaPvRmT3_T4_T5_mT6_P12ihipStream_tbENKUlT_T0_E_clISt17integral_constantIbLb1EESW_IbLb0EEEEDaSS_ST_EUlSS_E0_NS1_11comp_targetILNS1_3genE5ELNS1_11target_archE942ELNS1_3gpuE9ELNS1_3repE0EEENS1_30default_config_static_selectorELNS0_4arch9wavefront6targetE1EEEvT1_
	.p2align	8
	.type	_ZN7rocprim17ROCPRIM_400000_NS6detail17trampoline_kernelINS0_14default_configENS1_20scan_config_selectorIfEEZZNS1_9scan_implILNS1_25lookback_scan_determinismE0ELb0ELb0ES3_N6thrust23THRUST_200600_302600_NS6detail15normal_iteratorINS9_10device_ptrIfEEEENS9_16discard_iteratorINS9_11use_defaultEEEfNS9_4plusIvEEfEEDaPvRmT3_T4_T5_mT6_P12ihipStream_tbENKUlT_T0_E_clISt17integral_constantIbLb1EESW_IbLb0EEEEDaSS_ST_EUlSS_E0_NS1_11comp_targetILNS1_3genE5ELNS1_11target_archE942ELNS1_3gpuE9ELNS1_3repE0EEENS1_30default_config_static_selectorELNS0_4arch9wavefront6targetE1EEEvT1_,@function
_ZN7rocprim17ROCPRIM_400000_NS6detail17trampoline_kernelINS0_14default_configENS1_20scan_config_selectorIfEEZZNS1_9scan_implILNS1_25lookback_scan_determinismE0ELb0ELb0ES3_N6thrust23THRUST_200600_302600_NS6detail15normal_iteratorINS9_10device_ptrIfEEEENS9_16discard_iteratorINS9_11use_defaultEEEfNS9_4plusIvEEfEEDaPvRmT3_T4_T5_mT6_P12ihipStream_tbENKUlT_T0_E_clISt17integral_constantIbLb1EESW_IbLb0EEEEDaSS_ST_EUlSS_E0_NS1_11comp_targetILNS1_3genE5ELNS1_11target_archE942ELNS1_3gpuE9ELNS1_3repE0EEENS1_30default_config_static_selectorELNS0_4arch9wavefront6targetE1EEEvT1_: ; @_ZN7rocprim17ROCPRIM_400000_NS6detail17trampoline_kernelINS0_14default_configENS1_20scan_config_selectorIfEEZZNS1_9scan_implILNS1_25lookback_scan_determinismE0ELb0ELb0ES3_N6thrust23THRUST_200600_302600_NS6detail15normal_iteratorINS9_10device_ptrIfEEEENS9_16discard_iteratorINS9_11use_defaultEEEfNS9_4plusIvEEfEEDaPvRmT3_T4_T5_mT6_P12ihipStream_tbENKUlT_T0_E_clISt17integral_constantIbLb1EESW_IbLb0EEEEDaSS_ST_EUlSS_E0_NS1_11comp_targetILNS1_3genE5ELNS1_11target_archE942ELNS1_3gpuE9ELNS1_3repE0EEENS1_30default_config_static_selectorELNS0_4arch9wavefront6targetE1EEEvT1_
; %bb.0:
	.section	.rodata,"a",@progbits
	.p2align	6, 0x0
	.amdhsa_kernel _ZN7rocprim17ROCPRIM_400000_NS6detail17trampoline_kernelINS0_14default_configENS1_20scan_config_selectorIfEEZZNS1_9scan_implILNS1_25lookback_scan_determinismE0ELb0ELb0ES3_N6thrust23THRUST_200600_302600_NS6detail15normal_iteratorINS9_10device_ptrIfEEEENS9_16discard_iteratorINS9_11use_defaultEEEfNS9_4plusIvEEfEEDaPvRmT3_T4_T5_mT6_P12ihipStream_tbENKUlT_T0_E_clISt17integral_constantIbLb1EESW_IbLb0EEEEDaSS_ST_EUlSS_E0_NS1_11comp_targetILNS1_3genE5ELNS1_11target_archE942ELNS1_3gpuE9ELNS1_3repE0EEENS1_30default_config_static_selectorELNS0_4arch9wavefront6targetE1EEEvT1_
		.amdhsa_group_segment_fixed_size 0
		.amdhsa_private_segment_fixed_size 0
		.amdhsa_kernarg_size 40
		.amdhsa_user_sgpr_count 6
		.amdhsa_user_sgpr_private_segment_buffer 1
		.amdhsa_user_sgpr_dispatch_ptr 0
		.amdhsa_user_sgpr_queue_ptr 0
		.amdhsa_user_sgpr_kernarg_segment_ptr 1
		.amdhsa_user_sgpr_dispatch_id 0
		.amdhsa_user_sgpr_flat_scratch_init 0
		.amdhsa_user_sgpr_kernarg_preload_length 0
		.amdhsa_user_sgpr_kernarg_preload_offset 0
		.amdhsa_user_sgpr_private_segment_size 0
		.amdhsa_uses_dynamic_stack 0
		.amdhsa_system_sgpr_private_segment_wavefront_offset 0
		.amdhsa_system_sgpr_workgroup_id_x 1
		.amdhsa_system_sgpr_workgroup_id_y 0
		.amdhsa_system_sgpr_workgroup_id_z 0
		.amdhsa_system_sgpr_workgroup_info 0
		.amdhsa_system_vgpr_workitem_id 0
		.amdhsa_next_free_vgpr 1
		.amdhsa_next_free_sgpr 0
		.amdhsa_accum_offset 4
		.amdhsa_reserve_vcc 0
		.amdhsa_reserve_flat_scratch 0
		.amdhsa_float_round_mode_32 0
		.amdhsa_float_round_mode_16_64 0
		.amdhsa_float_denorm_mode_32 3
		.amdhsa_float_denorm_mode_16_64 3
		.amdhsa_dx10_clamp 1
		.amdhsa_ieee_mode 1
		.amdhsa_fp16_overflow 0
		.amdhsa_tg_split 0
		.amdhsa_exception_fp_ieee_invalid_op 0
		.amdhsa_exception_fp_denorm_src 0
		.amdhsa_exception_fp_ieee_div_zero 0
		.amdhsa_exception_fp_ieee_overflow 0
		.amdhsa_exception_fp_ieee_underflow 0
		.amdhsa_exception_fp_ieee_inexact 0
		.amdhsa_exception_int_div_zero 0
	.end_amdhsa_kernel
	.section	.text._ZN7rocprim17ROCPRIM_400000_NS6detail17trampoline_kernelINS0_14default_configENS1_20scan_config_selectorIfEEZZNS1_9scan_implILNS1_25lookback_scan_determinismE0ELb0ELb0ES3_N6thrust23THRUST_200600_302600_NS6detail15normal_iteratorINS9_10device_ptrIfEEEENS9_16discard_iteratorINS9_11use_defaultEEEfNS9_4plusIvEEfEEDaPvRmT3_T4_T5_mT6_P12ihipStream_tbENKUlT_T0_E_clISt17integral_constantIbLb1EESW_IbLb0EEEEDaSS_ST_EUlSS_E0_NS1_11comp_targetILNS1_3genE5ELNS1_11target_archE942ELNS1_3gpuE9ELNS1_3repE0EEENS1_30default_config_static_selectorELNS0_4arch9wavefront6targetE1EEEvT1_,"axG",@progbits,_ZN7rocprim17ROCPRIM_400000_NS6detail17trampoline_kernelINS0_14default_configENS1_20scan_config_selectorIfEEZZNS1_9scan_implILNS1_25lookback_scan_determinismE0ELb0ELb0ES3_N6thrust23THRUST_200600_302600_NS6detail15normal_iteratorINS9_10device_ptrIfEEEENS9_16discard_iteratorINS9_11use_defaultEEEfNS9_4plusIvEEfEEDaPvRmT3_T4_T5_mT6_P12ihipStream_tbENKUlT_T0_E_clISt17integral_constantIbLb1EESW_IbLb0EEEEDaSS_ST_EUlSS_E0_NS1_11comp_targetILNS1_3genE5ELNS1_11target_archE942ELNS1_3gpuE9ELNS1_3repE0EEENS1_30default_config_static_selectorELNS0_4arch9wavefront6targetE1EEEvT1_,comdat
.Lfunc_end5052:
	.size	_ZN7rocprim17ROCPRIM_400000_NS6detail17trampoline_kernelINS0_14default_configENS1_20scan_config_selectorIfEEZZNS1_9scan_implILNS1_25lookback_scan_determinismE0ELb0ELb0ES3_N6thrust23THRUST_200600_302600_NS6detail15normal_iteratorINS9_10device_ptrIfEEEENS9_16discard_iteratorINS9_11use_defaultEEEfNS9_4plusIvEEfEEDaPvRmT3_T4_T5_mT6_P12ihipStream_tbENKUlT_T0_E_clISt17integral_constantIbLb1EESW_IbLb0EEEEDaSS_ST_EUlSS_E0_NS1_11comp_targetILNS1_3genE5ELNS1_11target_archE942ELNS1_3gpuE9ELNS1_3repE0EEENS1_30default_config_static_selectorELNS0_4arch9wavefront6targetE1EEEvT1_, .Lfunc_end5052-_ZN7rocprim17ROCPRIM_400000_NS6detail17trampoline_kernelINS0_14default_configENS1_20scan_config_selectorIfEEZZNS1_9scan_implILNS1_25lookback_scan_determinismE0ELb0ELb0ES3_N6thrust23THRUST_200600_302600_NS6detail15normal_iteratorINS9_10device_ptrIfEEEENS9_16discard_iteratorINS9_11use_defaultEEEfNS9_4plusIvEEfEEDaPvRmT3_T4_T5_mT6_P12ihipStream_tbENKUlT_T0_E_clISt17integral_constantIbLb1EESW_IbLb0EEEEDaSS_ST_EUlSS_E0_NS1_11comp_targetILNS1_3genE5ELNS1_11target_archE942ELNS1_3gpuE9ELNS1_3repE0EEENS1_30default_config_static_selectorELNS0_4arch9wavefront6targetE1EEEvT1_
                                        ; -- End function
	.section	.AMDGPU.csdata,"",@progbits
; Kernel info:
; codeLenInByte = 0
; NumSgprs: 4
; NumVgprs: 0
; NumAgprs: 0
; TotalNumVgprs: 0
; ScratchSize: 0
; MemoryBound: 0
; FloatMode: 240
; IeeeMode: 1
; LDSByteSize: 0 bytes/workgroup (compile time only)
; SGPRBlocks: 0
; VGPRBlocks: 0
; NumSGPRsForWavesPerEU: 4
; NumVGPRsForWavesPerEU: 1
; AccumOffset: 4
; Occupancy: 8
; WaveLimiterHint : 0
; COMPUTE_PGM_RSRC2:SCRATCH_EN: 0
; COMPUTE_PGM_RSRC2:USER_SGPR: 6
; COMPUTE_PGM_RSRC2:TRAP_HANDLER: 0
; COMPUTE_PGM_RSRC2:TGID_X_EN: 1
; COMPUTE_PGM_RSRC2:TGID_Y_EN: 0
; COMPUTE_PGM_RSRC2:TGID_Z_EN: 0
; COMPUTE_PGM_RSRC2:TIDIG_COMP_CNT: 0
; COMPUTE_PGM_RSRC3_GFX90A:ACCUM_OFFSET: 0
; COMPUTE_PGM_RSRC3_GFX90A:TG_SPLIT: 0
	.section	.text._ZN7rocprim17ROCPRIM_400000_NS6detail17trampoline_kernelINS0_14default_configENS1_20scan_config_selectorIfEEZZNS1_9scan_implILNS1_25lookback_scan_determinismE0ELb0ELb0ES3_N6thrust23THRUST_200600_302600_NS6detail15normal_iteratorINS9_10device_ptrIfEEEENS9_16discard_iteratorINS9_11use_defaultEEEfNS9_4plusIvEEfEEDaPvRmT3_T4_T5_mT6_P12ihipStream_tbENKUlT_T0_E_clISt17integral_constantIbLb1EESW_IbLb0EEEEDaSS_ST_EUlSS_E0_NS1_11comp_targetILNS1_3genE4ELNS1_11target_archE910ELNS1_3gpuE8ELNS1_3repE0EEENS1_30default_config_static_selectorELNS0_4arch9wavefront6targetE1EEEvT1_,"axG",@progbits,_ZN7rocprim17ROCPRIM_400000_NS6detail17trampoline_kernelINS0_14default_configENS1_20scan_config_selectorIfEEZZNS1_9scan_implILNS1_25lookback_scan_determinismE0ELb0ELb0ES3_N6thrust23THRUST_200600_302600_NS6detail15normal_iteratorINS9_10device_ptrIfEEEENS9_16discard_iteratorINS9_11use_defaultEEEfNS9_4plusIvEEfEEDaPvRmT3_T4_T5_mT6_P12ihipStream_tbENKUlT_T0_E_clISt17integral_constantIbLb1EESW_IbLb0EEEEDaSS_ST_EUlSS_E0_NS1_11comp_targetILNS1_3genE4ELNS1_11target_archE910ELNS1_3gpuE8ELNS1_3repE0EEENS1_30default_config_static_selectorELNS0_4arch9wavefront6targetE1EEEvT1_,comdat
	.protected	_ZN7rocprim17ROCPRIM_400000_NS6detail17trampoline_kernelINS0_14default_configENS1_20scan_config_selectorIfEEZZNS1_9scan_implILNS1_25lookback_scan_determinismE0ELb0ELb0ES3_N6thrust23THRUST_200600_302600_NS6detail15normal_iteratorINS9_10device_ptrIfEEEENS9_16discard_iteratorINS9_11use_defaultEEEfNS9_4plusIvEEfEEDaPvRmT3_T4_T5_mT6_P12ihipStream_tbENKUlT_T0_E_clISt17integral_constantIbLb1EESW_IbLb0EEEEDaSS_ST_EUlSS_E0_NS1_11comp_targetILNS1_3genE4ELNS1_11target_archE910ELNS1_3gpuE8ELNS1_3repE0EEENS1_30default_config_static_selectorELNS0_4arch9wavefront6targetE1EEEvT1_ ; -- Begin function _ZN7rocprim17ROCPRIM_400000_NS6detail17trampoline_kernelINS0_14default_configENS1_20scan_config_selectorIfEEZZNS1_9scan_implILNS1_25lookback_scan_determinismE0ELb0ELb0ES3_N6thrust23THRUST_200600_302600_NS6detail15normal_iteratorINS9_10device_ptrIfEEEENS9_16discard_iteratorINS9_11use_defaultEEEfNS9_4plusIvEEfEEDaPvRmT3_T4_T5_mT6_P12ihipStream_tbENKUlT_T0_E_clISt17integral_constantIbLb1EESW_IbLb0EEEEDaSS_ST_EUlSS_E0_NS1_11comp_targetILNS1_3genE4ELNS1_11target_archE910ELNS1_3gpuE8ELNS1_3repE0EEENS1_30default_config_static_selectorELNS0_4arch9wavefront6targetE1EEEvT1_
	.globl	_ZN7rocprim17ROCPRIM_400000_NS6detail17trampoline_kernelINS0_14default_configENS1_20scan_config_selectorIfEEZZNS1_9scan_implILNS1_25lookback_scan_determinismE0ELb0ELb0ES3_N6thrust23THRUST_200600_302600_NS6detail15normal_iteratorINS9_10device_ptrIfEEEENS9_16discard_iteratorINS9_11use_defaultEEEfNS9_4plusIvEEfEEDaPvRmT3_T4_T5_mT6_P12ihipStream_tbENKUlT_T0_E_clISt17integral_constantIbLb1EESW_IbLb0EEEEDaSS_ST_EUlSS_E0_NS1_11comp_targetILNS1_3genE4ELNS1_11target_archE910ELNS1_3gpuE8ELNS1_3repE0EEENS1_30default_config_static_selectorELNS0_4arch9wavefront6targetE1EEEvT1_
	.p2align	8
	.type	_ZN7rocprim17ROCPRIM_400000_NS6detail17trampoline_kernelINS0_14default_configENS1_20scan_config_selectorIfEEZZNS1_9scan_implILNS1_25lookback_scan_determinismE0ELb0ELb0ES3_N6thrust23THRUST_200600_302600_NS6detail15normal_iteratorINS9_10device_ptrIfEEEENS9_16discard_iteratorINS9_11use_defaultEEEfNS9_4plusIvEEfEEDaPvRmT3_T4_T5_mT6_P12ihipStream_tbENKUlT_T0_E_clISt17integral_constantIbLb1EESW_IbLb0EEEEDaSS_ST_EUlSS_E0_NS1_11comp_targetILNS1_3genE4ELNS1_11target_archE910ELNS1_3gpuE8ELNS1_3repE0EEENS1_30default_config_static_selectorELNS0_4arch9wavefront6targetE1EEEvT1_,@function
_ZN7rocprim17ROCPRIM_400000_NS6detail17trampoline_kernelINS0_14default_configENS1_20scan_config_selectorIfEEZZNS1_9scan_implILNS1_25lookback_scan_determinismE0ELb0ELb0ES3_N6thrust23THRUST_200600_302600_NS6detail15normal_iteratorINS9_10device_ptrIfEEEENS9_16discard_iteratorINS9_11use_defaultEEEfNS9_4plusIvEEfEEDaPvRmT3_T4_T5_mT6_P12ihipStream_tbENKUlT_T0_E_clISt17integral_constantIbLb1EESW_IbLb0EEEEDaSS_ST_EUlSS_E0_NS1_11comp_targetILNS1_3genE4ELNS1_11target_archE910ELNS1_3gpuE8ELNS1_3repE0EEENS1_30default_config_static_selectorELNS0_4arch9wavefront6targetE1EEEvT1_: ; @_ZN7rocprim17ROCPRIM_400000_NS6detail17trampoline_kernelINS0_14default_configENS1_20scan_config_selectorIfEEZZNS1_9scan_implILNS1_25lookback_scan_determinismE0ELb0ELb0ES3_N6thrust23THRUST_200600_302600_NS6detail15normal_iteratorINS9_10device_ptrIfEEEENS9_16discard_iteratorINS9_11use_defaultEEEfNS9_4plusIvEEfEEDaPvRmT3_T4_T5_mT6_P12ihipStream_tbENKUlT_T0_E_clISt17integral_constantIbLb1EESW_IbLb0EEEEDaSS_ST_EUlSS_E0_NS1_11comp_targetILNS1_3genE4ELNS1_11target_archE910ELNS1_3gpuE8ELNS1_3repE0EEENS1_30default_config_static_selectorELNS0_4arch9wavefront6targetE1EEEvT1_
; %bb.0:
	s_load_dwordx4 s[0:3], s[4:5], 0x0
	v_lshlrev_b32_e32 v28, 2, v0
	s_waitcnt lgkmcnt(0)
	s_load_dword s3, s[0:1], 0x0
	v_cmp_gt_u32_e32 vcc, s2, v0
	s_waitcnt lgkmcnt(0)
	v_mov_b32_e32 v1, s3
	s_and_saveexec_b64 s[4:5], vcc
	s_cbranch_execz .LBB5053_2
; %bb.1:
	global_load_dword v1, v28, s[0:1]
.LBB5053_2:
	s_or_b64 exec, exec, s[4:5]
	v_or_b32_e32 v2, 0x80, v0
	v_cmp_gt_u32_e32 vcc, s2, v2
	v_mov_b32_e32 v2, s3
	s_and_saveexec_b64 s[4:5], vcc
	s_cbranch_execz .LBB5053_4
; %bb.3:
	global_load_dword v2, v28, s[0:1] offset:512
.LBB5053_4:
	s_or_b64 exec, exec, s[4:5]
	v_or_b32_e32 v3, 0x100, v0
	v_cmp_gt_u32_e32 vcc, s2, v3
	v_mov_b32_e32 v3, s3
	s_and_saveexec_b64 s[4:5], vcc
	s_cbranch_execz .LBB5053_6
; %bb.5:
	global_load_dword v3, v28, s[0:1] offset:1024
.LBB5053_6:
	;; [unrolled: 9-line block ×7, first 2 shown]
	s_or_b64 exec, exec, s[4:5]
	v_or_b32_e32 v10, 0x400, v0
	v_cmp_gt_u32_e32 vcc, s2, v10
	v_mov_b32_e32 v9, s3
	s_and_saveexec_b64 s[4:5], vcc
	s_cbranch_execz .LBB5053_18
; %bb.17:
	v_lshlrev_b32_e32 v9, 2, v10
	global_load_dword v9, v9, s[0:1]
.LBB5053_18:
	s_or_b64 exec, exec, s[4:5]
	v_or_b32_e32 v11, 0x480, v0
	v_cmp_gt_u32_e32 vcc, s2, v11
	v_mov_b32_e32 v10, s3
	s_and_saveexec_b64 s[4:5], vcc
	s_cbranch_execz .LBB5053_20
; %bb.19:
	v_lshlrev_b32_e32 v10, 2, v11
	global_load_dword v10, v10, s[0:1]
.LBB5053_20:
	;; [unrolled: 10-line block ×6, first 2 shown]
	s_or_b64 exec, exec, s[2:3]
	s_waitcnt vmcnt(0)
	ds_write2st64_b32 v28, v1, v2 offset1:2
	ds_write2st64_b32 v28, v3, v4 offset0:4 offset1:6
	ds_write2st64_b32 v28, v5, v6 offset0:8 offset1:10
	;; [unrolled: 1-line block ×6, first 2 shown]
	v_mad_u32_u24 v1, v0, 52, v28
	s_waitcnt lgkmcnt(0)
	s_barrier
	ds_read2_b64 v[10:13], v1 offset1:1
	ds_read2_b64 v[6:9], v1 offset0:2 offset1:3
	ds_read2_b64 v[2:5], v1 offset0:4 offset1:5
	ds_read_b64 v[26:27], v1 offset:48
	v_lshrrev_b32_e32 v29, 3, v0
	s_waitcnt lgkmcnt(3)
	v_add_f32_e32 v1, v10, v11
	v_add_f32_e32 v22, v1, v12
	v_add_f32_e32 v23, v22, v13
	s_waitcnt lgkmcnt(2)
	v_add_f32_e32 v16, v23, v6
	v_add_f32_e32 v17, v16, v7
	v_add_f32_e32 v20, v17, v8
	v_add_f32_e32 v21, v20, v9
	s_waitcnt lgkmcnt(1)
	v_add_f32_e32 v14, v21, v2
	;; [unrolled: 5-line block ×3, first 2 shown]
	v_and_b32_e32 v29, 12, v29
	v_add_f32_e32 v25, v24, v27
	v_add_u32_e32 v29, v28, v29
	v_cmp_gt_u32_e32 vcc, 64, v0
	s_barrier
	ds_write_b32 v29, v25
	s_waitcnt lgkmcnt(0)
	s_barrier
	s_and_saveexec_b64 s[4:5], vcc
	s_cbranch_execz .LBB5053_30
; %bb.29:
	v_lshlrev_b32_e32 v29, 1, v0
	v_lshrrev_b32_e32 v30, 4, v0
	v_add_lshl_u32 v29, v30, v29, 2
	ds_read2_b32 v[30:31], v29 offset1:1
	v_mbcnt_lo_u32_b32 v32, -1, 0
	v_mbcnt_hi_u32_b32 v32, -1, v32
	v_and_b32_e32 v33, 15, v32
	v_cmp_eq_u32_e32 vcc, 0, v33
	s_waitcnt lgkmcnt(0)
	v_add_f32_e32 v31, v30, v31
	v_cmp_lt_u32_e64 s[0:1], 3, v33
	v_cmp_lt_u32_e64 s[2:3], 31, v32
	v_mov_b32_dpp v34, v31 row_shr:1 row_mask:0xf bank_mask:0xf
	v_add_f32_e32 v34, v31, v34
	v_cndmask_b32_e32 v31, v34, v31, vcc
	v_cmp_lt_u32_e32 vcc, 1, v33
	s_nop 0
	v_mov_b32_dpp v34, v31 row_shr:2 row_mask:0xf bank_mask:0xf
	v_add_f32_e32 v34, v31, v34
	v_cndmask_b32_e32 v34, v31, v34, vcc
	; wave barrier
	s_nop 1
	v_mov_b32_dpp v35, v34 row_shr:4 row_mask:0xf bank_mask:0xf
	v_add_f32_e32 v35, v34, v35
	v_cndmask_b32_e64 v34, v34, v35, s[0:1]
	v_cmp_lt_u32_e64 s[0:1], 7, v33
	s_nop 0
	v_mov_b32_dpp v35, v34 row_shr:8 row_mask:0xf bank_mask:0xf
	v_add_f32_e32 v35, v34, v35
	v_cndmask_b32_e64 v33, v34, v35, s[0:1]
	v_and_b32_e32 v35, 16, v32
	v_cmp_eq_u32_e64 s[0:1], 0, v35
	v_mov_b32_dpp v34, v33 row_bcast:15 row_mask:0xf bank_mask:0xf
	v_add_f32_e32 v34, v33, v34
	v_cndmask_b32_e64 v33, v34, v33, s[0:1]
	v_cmp_lt_u32_e64 s[0:1], 15, v32
	s_or_b64 vcc, s[0:1], vcc
	v_mov_b32_dpp v34, v33 row_bcast:31 row_mask:0xf bank_mask:0xf
	v_add_f32_e32 v34, v33, v34
	v_cndmask_b32_e64 v33, v33, v34, s[2:3]
	v_cndmask_b32_e32 v31, v31, v33, vcc
	v_add_u32_e32 v33, -1, v32
	v_and_b32_e32 v34, 64, v32
	v_cmp_lt_i32_e32 vcc, v33, v34
	v_cndmask_b32_e32 v32, v33, v32, vcc
	v_lshlrev_b32_e32 v32, 2, v32
	ds_bpermute_b32 v31, v32, v31
	v_cmp_eq_u32_e32 vcc, 0, v0
	s_waitcnt lgkmcnt(0)
	v_add_f32_e32 v30, v30, v31
	v_cndmask_b32_e32 v30, v30, v25, vcc
	ds_write_b32 v29, v30
	; wave barrier
	ds_read_b32 v31, v29 offset:4
	s_waitcnt lgkmcnt(0)
	v_add_f32_e32 v30, v30, v31
	ds_write_b32 v29, v30 offset:4
.LBB5053_30:
	s_or_b64 exec, exec, s[4:5]
	v_cmp_ne_u32_e32 vcc, 0, v0
	v_mov_b32_e32 v30, v25
	s_waitcnt lgkmcnt(0)
	s_barrier
	s_and_saveexec_b64 s[0:1], vcc
	s_cbranch_execz .LBB5053_32
; %bb.31:
	v_add_u32_e32 v29, -1, v0
	v_lshrrev_b32_e32 v30, 5, v29
	v_add_lshl_u32 v29, v30, v29, 2
	ds_read_b32 v30, v29
.LBB5053_32:
	s_or_b64 exec, exec, s[0:1]
	v_mul_u32_u24_e32 v29, 52, v0
	v_mov_b32_e32 v0, v10
	s_and_saveexec_b64 s[0:1], vcc
	s_cbranch_execz .LBB5053_34
; %bb.33:
	s_waitcnt lgkmcnt(0)
	v_add_f32_e32 v0, v10, v30
	v_add_f32_e32 v1, v11, v0
	;; [unrolled: 1-line block ×14, first 2 shown]
	;;#ASMSTART
	;;#ASMEND
.LBB5053_34:
	s_or_b64 exec, exec, s[0:1]
	v_add_u32_e32 v2, v28, v29
	s_waitcnt lgkmcnt(0)
	s_barrier
	ds_write2_b64 v2, v[0:1], v[22:23] offset1:1
	ds_write2_b64 v2, v[16:17], v[20:21] offset0:2 offset1:3
	ds_write2_b64 v2, v[14:15], v[18:19] offset0:4 offset1:5
	ds_write_b64 v2, v[24:25] offset:48
	s_waitcnt lgkmcnt(0)
	s_barrier
	s_endpgm
	.section	.rodata,"a",@progbits
	.p2align	6, 0x0
	.amdhsa_kernel _ZN7rocprim17ROCPRIM_400000_NS6detail17trampoline_kernelINS0_14default_configENS1_20scan_config_selectorIfEEZZNS1_9scan_implILNS1_25lookback_scan_determinismE0ELb0ELb0ES3_N6thrust23THRUST_200600_302600_NS6detail15normal_iteratorINS9_10device_ptrIfEEEENS9_16discard_iteratorINS9_11use_defaultEEEfNS9_4plusIvEEfEEDaPvRmT3_T4_T5_mT6_P12ihipStream_tbENKUlT_T0_E_clISt17integral_constantIbLb1EESW_IbLb0EEEEDaSS_ST_EUlSS_E0_NS1_11comp_targetILNS1_3genE4ELNS1_11target_archE910ELNS1_3gpuE8ELNS1_3repE0EEENS1_30default_config_static_selectorELNS0_4arch9wavefront6targetE1EEEvT1_
		.amdhsa_group_segment_fixed_size 7168
		.amdhsa_private_segment_fixed_size 0
		.amdhsa_kernarg_size 40
		.amdhsa_user_sgpr_count 6
		.amdhsa_user_sgpr_private_segment_buffer 1
		.amdhsa_user_sgpr_dispatch_ptr 0
		.amdhsa_user_sgpr_queue_ptr 0
		.amdhsa_user_sgpr_kernarg_segment_ptr 1
		.amdhsa_user_sgpr_dispatch_id 0
		.amdhsa_user_sgpr_flat_scratch_init 0
		.amdhsa_user_sgpr_kernarg_preload_length 0
		.amdhsa_user_sgpr_kernarg_preload_offset 0
		.amdhsa_user_sgpr_private_segment_size 0
		.amdhsa_uses_dynamic_stack 0
		.amdhsa_system_sgpr_private_segment_wavefront_offset 0
		.amdhsa_system_sgpr_workgroup_id_x 1
		.amdhsa_system_sgpr_workgroup_id_y 0
		.amdhsa_system_sgpr_workgroup_id_z 0
		.amdhsa_system_sgpr_workgroup_info 0
		.amdhsa_system_vgpr_workitem_id 0
		.amdhsa_next_free_vgpr 36
		.amdhsa_next_free_sgpr 6
		.amdhsa_accum_offset 36
		.amdhsa_reserve_vcc 1
		.amdhsa_reserve_flat_scratch 0
		.amdhsa_float_round_mode_32 0
		.amdhsa_float_round_mode_16_64 0
		.amdhsa_float_denorm_mode_32 3
		.amdhsa_float_denorm_mode_16_64 3
		.amdhsa_dx10_clamp 1
		.amdhsa_ieee_mode 1
		.amdhsa_fp16_overflow 0
		.amdhsa_tg_split 0
		.amdhsa_exception_fp_ieee_invalid_op 0
		.amdhsa_exception_fp_denorm_src 0
		.amdhsa_exception_fp_ieee_div_zero 0
		.amdhsa_exception_fp_ieee_overflow 0
		.amdhsa_exception_fp_ieee_underflow 0
		.amdhsa_exception_fp_ieee_inexact 0
		.amdhsa_exception_int_div_zero 0
	.end_amdhsa_kernel
	.section	.text._ZN7rocprim17ROCPRIM_400000_NS6detail17trampoline_kernelINS0_14default_configENS1_20scan_config_selectorIfEEZZNS1_9scan_implILNS1_25lookback_scan_determinismE0ELb0ELb0ES3_N6thrust23THRUST_200600_302600_NS6detail15normal_iteratorINS9_10device_ptrIfEEEENS9_16discard_iteratorINS9_11use_defaultEEEfNS9_4plusIvEEfEEDaPvRmT3_T4_T5_mT6_P12ihipStream_tbENKUlT_T0_E_clISt17integral_constantIbLb1EESW_IbLb0EEEEDaSS_ST_EUlSS_E0_NS1_11comp_targetILNS1_3genE4ELNS1_11target_archE910ELNS1_3gpuE8ELNS1_3repE0EEENS1_30default_config_static_selectorELNS0_4arch9wavefront6targetE1EEEvT1_,"axG",@progbits,_ZN7rocprim17ROCPRIM_400000_NS6detail17trampoline_kernelINS0_14default_configENS1_20scan_config_selectorIfEEZZNS1_9scan_implILNS1_25lookback_scan_determinismE0ELb0ELb0ES3_N6thrust23THRUST_200600_302600_NS6detail15normal_iteratorINS9_10device_ptrIfEEEENS9_16discard_iteratorINS9_11use_defaultEEEfNS9_4plusIvEEfEEDaPvRmT3_T4_T5_mT6_P12ihipStream_tbENKUlT_T0_E_clISt17integral_constantIbLb1EESW_IbLb0EEEEDaSS_ST_EUlSS_E0_NS1_11comp_targetILNS1_3genE4ELNS1_11target_archE910ELNS1_3gpuE8ELNS1_3repE0EEENS1_30default_config_static_selectorELNS0_4arch9wavefront6targetE1EEEvT1_,comdat
.Lfunc_end5053:
	.size	_ZN7rocprim17ROCPRIM_400000_NS6detail17trampoline_kernelINS0_14default_configENS1_20scan_config_selectorIfEEZZNS1_9scan_implILNS1_25lookback_scan_determinismE0ELb0ELb0ES3_N6thrust23THRUST_200600_302600_NS6detail15normal_iteratorINS9_10device_ptrIfEEEENS9_16discard_iteratorINS9_11use_defaultEEEfNS9_4plusIvEEfEEDaPvRmT3_T4_T5_mT6_P12ihipStream_tbENKUlT_T0_E_clISt17integral_constantIbLb1EESW_IbLb0EEEEDaSS_ST_EUlSS_E0_NS1_11comp_targetILNS1_3genE4ELNS1_11target_archE910ELNS1_3gpuE8ELNS1_3repE0EEENS1_30default_config_static_selectorELNS0_4arch9wavefront6targetE1EEEvT1_, .Lfunc_end5053-_ZN7rocprim17ROCPRIM_400000_NS6detail17trampoline_kernelINS0_14default_configENS1_20scan_config_selectorIfEEZZNS1_9scan_implILNS1_25lookback_scan_determinismE0ELb0ELb0ES3_N6thrust23THRUST_200600_302600_NS6detail15normal_iteratorINS9_10device_ptrIfEEEENS9_16discard_iteratorINS9_11use_defaultEEEfNS9_4plusIvEEfEEDaPvRmT3_T4_T5_mT6_P12ihipStream_tbENKUlT_T0_E_clISt17integral_constantIbLb1EESW_IbLb0EEEEDaSS_ST_EUlSS_E0_NS1_11comp_targetILNS1_3genE4ELNS1_11target_archE910ELNS1_3gpuE8ELNS1_3repE0EEENS1_30default_config_static_selectorELNS0_4arch9wavefront6targetE1EEEvT1_
                                        ; -- End function
	.section	.AMDGPU.csdata,"",@progbits
; Kernel info:
; codeLenInByte = 1272
; NumSgprs: 10
; NumVgprs: 36
; NumAgprs: 0
; TotalNumVgprs: 36
; ScratchSize: 0
; MemoryBound: 0
; FloatMode: 240
; IeeeMode: 1
; LDSByteSize: 7168 bytes/workgroup (compile time only)
; SGPRBlocks: 1
; VGPRBlocks: 4
; NumSGPRsForWavesPerEU: 10
; NumVGPRsForWavesPerEU: 36
; AccumOffset: 36
; Occupancy: 5
; WaveLimiterHint : 0
; COMPUTE_PGM_RSRC2:SCRATCH_EN: 0
; COMPUTE_PGM_RSRC2:USER_SGPR: 6
; COMPUTE_PGM_RSRC2:TRAP_HANDLER: 0
; COMPUTE_PGM_RSRC2:TGID_X_EN: 1
; COMPUTE_PGM_RSRC2:TGID_Y_EN: 0
; COMPUTE_PGM_RSRC2:TGID_Z_EN: 0
; COMPUTE_PGM_RSRC2:TIDIG_COMP_CNT: 0
; COMPUTE_PGM_RSRC3_GFX90A:ACCUM_OFFSET: 8
; COMPUTE_PGM_RSRC3_GFX90A:TG_SPLIT: 0
	.section	.text._ZN7rocprim17ROCPRIM_400000_NS6detail17trampoline_kernelINS0_14default_configENS1_20scan_config_selectorIfEEZZNS1_9scan_implILNS1_25lookback_scan_determinismE0ELb0ELb0ES3_N6thrust23THRUST_200600_302600_NS6detail15normal_iteratorINS9_10device_ptrIfEEEENS9_16discard_iteratorINS9_11use_defaultEEEfNS9_4plusIvEEfEEDaPvRmT3_T4_T5_mT6_P12ihipStream_tbENKUlT_T0_E_clISt17integral_constantIbLb1EESW_IbLb0EEEEDaSS_ST_EUlSS_E0_NS1_11comp_targetILNS1_3genE3ELNS1_11target_archE908ELNS1_3gpuE7ELNS1_3repE0EEENS1_30default_config_static_selectorELNS0_4arch9wavefront6targetE1EEEvT1_,"axG",@progbits,_ZN7rocprim17ROCPRIM_400000_NS6detail17trampoline_kernelINS0_14default_configENS1_20scan_config_selectorIfEEZZNS1_9scan_implILNS1_25lookback_scan_determinismE0ELb0ELb0ES3_N6thrust23THRUST_200600_302600_NS6detail15normal_iteratorINS9_10device_ptrIfEEEENS9_16discard_iteratorINS9_11use_defaultEEEfNS9_4plusIvEEfEEDaPvRmT3_T4_T5_mT6_P12ihipStream_tbENKUlT_T0_E_clISt17integral_constantIbLb1EESW_IbLb0EEEEDaSS_ST_EUlSS_E0_NS1_11comp_targetILNS1_3genE3ELNS1_11target_archE908ELNS1_3gpuE7ELNS1_3repE0EEENS1_30default_config_static_selectorELNS0_4arch9wavefront6targetE1EEEvT1_,comdat
	.protected	_ZN7rocprim17ROCPRIM_400000_NS6detail17trampoline_kernelINS0_14default_configENS1_20scan_config_selectorIfEEZZNS1_9scan_implILNS1_25lookback_scan_determinismE0ELb0ELb0ES3_N6thrust23THRUST_200600_302600_NS6detail15normal_iteratorINS9_10device_ptrIfEEEENS9_16discard_iteratorINS9_11use_defaultEEEfNS9_4plusIvEEfEEDaPvRmT3_T4_T5_mT6_P12ihipStream_tbENKUlT_T0_E_clISt17integral_constantIbLb1EESW_IbLb0EEEEDaSS_ST_EUlSS_E0_NS1_11comp_targetILNS1_3genE3ELNS1_11target_archE908ELNS1_3gpuE7ELNS1_3repE0EEENS1_30default_config_static_selectorELNS0_4arch9wavefront6targetE1EEEvT1_ ; -- Begin function _ZN7rocprim17ROCPRIM_400000_NS6detail17trampoline_kernelINS0_14default_configENS1_20scan_config_selectorIfEEZZNS1_9scan_implILNS1_25lookback_scan_determinismE0ELb0ELb0ES3_N6thrust23THRUST_200600_302600_NS6detail15normal_iteratorINS9_10device_ptrIfEEEENS9_16discard_iteratorINS9_11use_defaultEEEfNS9_4plusIvEEfEEDaPvRmT3_T4_T5_mT6_P12ihipStream_tbENKUlT_T0_E_clISt17integral_constantIbLb1EESW_IbLb0EEEEDaSS_ST_EUlSS_E0_NS1_11comp_targetILNS1_3genE3ELNS1_11target_archE908ELNS1_3gpuE7ELNS1_3repE0EEENS1_30default_config_static_selectorELNS0_4arch9wavefront6targetE1EEEvT1_
	.globl	_ZN7rocprim17ROCPRIM_400000_NS6detail17trampoline_kernelINS0_14default_configENS1_20scan_config_selectorIfEEZZNS1_9scan_implILNS1_25lookback_scan_determinismE0ELb0ELb0ES3_N6thrust23THRUST_200600_302600_NS6detail15normal_iteratorINS9_10device_ptrIfEEEENS9_16discard_iteratorINS9_11use_defaultEEEfNS9_4plusIvEEfEEDaPvRmT3_T4_T5_mT6_P12ihipStream_tbENKUlT_T0_E_clISt17integral_constantIbLb1EESW_IbLb0EEEEDaSS_ST_EUlSS_E0_NS1_11comp_targetILNS1_3genE3ELNS1_11target_archE908ELNS1_3gpuE7ELNS1_3repE0EEENS1_30default_config_static_selectorELNS0_4arch9wavefront6targetE1EEEvT1_
	.p2align	8
	.type	_ZN7rocprim17ROCPRIM_400000_NS6detail17trampoline_kernelINS0_14default_configENS1_20scan_config_selectorIfEEZZNS1_9scan_implILNS1_25lookback_scan_determinismE0ELb0ELb0ES3_N6thrust23THRUST_200600_302600_NS6detail15normal_iteratorINS9_10device_ptrIfEEEENS9_16discard_iteratorINS9_11use_defaultEEEfNS9_4plusIvEEfEEDaPvRmT3_T4_T5_mT6_P12ihipStream_tbENKUlT_T0_E_clISt17integral_constantIbLb1EESW_IbLb0EEEEDaSS_ST_EUlSS_E0_NS1_11comp_targetILNS1_3genE3ELNS1_11target_archE908ELNS1_3gpuE7ELNS1_3repE0EEENS1_30default_config_static_selectorELNS0_4arch9wavefront6targetE1EEEvT1_,@function
_ZN7rocprim17ROCPRIM_400000_NS6detail17trampoline_kernelINS0_14default_configENS1_20scan_config_selectorIfEEZZNS1_9scan_implILNS1_25lookback_scan_determinismE0ELb0ELb0ES3_N6thrust23THRUST_200600_302600_NS6detail15normal_iteratorINS9_10device_ptrIfEEEENS9_16discard_iteratorINS9_11use_defaultEEEfNS9_4plusIvEEfEEDaPvRmT3_T4_T5_mT6_P12ihipStream_tbENKUlT_T0_E_clISt17integral_constantIbLb1EESW_IbLb0EEEEDaSS_ST_EUlSS_E0_NS1_11comp_targetILNS1_3genE3ELNS1_11target_archE908ELNS1_3gpuE7ELNS1_3repE0EEENS1_30default_config_static_selectorELNS0_4arch9wavefront6targetE1EEEvT1_: ; @_ZN7rocprim17ROCPRIM_400000_NS6detail17trampoline_kernelINS0_14default_configENS1_20scan_config_selectorIfEEZZNS1_9scan_implILNS1_25lookback_scan_determinismE0ELb0ELb0ES3_N6thrust23THRUST_200600_302600_NS6detail15normal_iteratorINS9_10device_ptrIfEEEENS9_16discard_iteratorINS9_11use_defaultEEEfNS9_4plusIvEEfEEDaPvRmT3_T4_T5_mT6_P12ihipStream_tbENKUlT_T0_E_clISt17integral_constantIbLb1EESW_IbLb0EEEEDaSS_ST_EUlSS_E0_NS1_11comp_targetILNS1_3genE3ELNS1_11target_archE908ELNS1_3gpuE7ELNS1_3repE0EEENS1_30default_config_static_selectorELNS0_4arch9wavefront6targetE1EEEvT1_
; %bb.0:
	.section	.rodata,"a",@progbits
	.p2align	6, 0x0
	.amdhsa_kernel _ZN7rocprim17ROCPRIM_400000_NS6detail17trampoline_kernelINS0_14default_configENS1_20scan_config_selectorIfEEZZNS1_9scan_implILNS1_25lookback_scan_determinismE0ELb0ELb0ES3_N6thrust23THRUST_200600_302600_NS6detail15normal_iteratorINS9_10device_ptrIfEEEENS9_16discard_iteratorINS9_11use_defaultEEEfNS9_4plusIvEEfEEDaPvRmT3_T4_T5_mT6_P12ihipStream_tbENKUlT_T0_E_clISt17integral_constantIbLb1EESW_IbLb0EEEEDaSS_ST_EUlSS_E0_NS1_11comp_targetILNS1_3genE3ELNS1_11target_archE908ELNS1_3gpuE7ELNS1_3repE0EEENS1_30default_config_static_selectorELNS0_4arch9wavefront6targetE1EEEvT1_
		.amdhsa_group_segment_fixed_size 0
		.amdhsa_private_segment_fixed_size 0
		.amdhsa_kernarg_size 40
		.amdhsa_user_sgpr_count 6
		.amdhsa_user_sgpr_private_segment_buffer 1
		.amdhsa_user_sgpr_dispatch_ptr 0
		.amdhsa_user_sgpr_queue_ptr 0
		.amdhsa_user_sgpr_kernarg_segment_ptr 1
		.amdhsa_user_sgpr_dispatch_id 0
		.amdhsa_user_sgpr_flat_scratch_init 0
		.amdhsa_user_sgpr_kernarg_preload_length 0
		.amdhsa_user_sgpr_kernarg_preload_offset 0
		.amdhsa_user_sgpr_private_segment_size 0
		.amdhsa_uses_dynamic_stack 0
		.amdhsa_system_sgpr_private_segment_wavefront_offset 0
		.amdhsa_system_sgpr_workgroup_id_x 1
		.amdhsa_system_sgpr_workgroup_id_y 0
		.amdhsa_system_sgpr_workgroup_id_z 0
		.amdhsa_system_sgpr_workgroup_info 0
		.amdhsa_system_vgpr_workitem_id 0
		.amdhsa_next_free_vgpr 1
		.amdhsa_next_free_sgpr 0
		.amdhsa_accum_offset 4
		.amdhsa_reserve_vcc 0
		.amdhsa_reserve_flat_scratch 0
		.amdhsa_float_round_mode_32 0
		.amdhsa_float_round_mode_16_64 0
		.amdhsa_float_denorm_mode_32 3
		.amdhsa_float_denorm_mode_16_64 3
		.amdhsa_dx10_clamp 1
		.amdhsa_ieee_mode 1
		.amdhsa_fp16_overflow 0
		.amdhsa_tg_split 0
		.amdhsa_exception_fp_ieee_invalid_op 0
		.amdhsa_exception_fp_denorm_src 0
		.amdhsa_exception_fp_ieee_div_zero 0
		.amdhsa_exception_fp_ieee_overflow 0
		.amdhsa_exception_fp_ieee_underflow 0
		.amdhsa_exception_fp_ieee_inexact 0
		.amdhsa_exception_int_div_zero 0
	.end_amdhsa_kernel
	.section	.text._ZN7rocprim17ROCPRIM_400000_NS6detail17trampoline_kernelINS0_14default_configENS1_20scan_config_selectorIfEEZZNS1_9scan_implILNS1_25lookback_scan_determinismE0ELb0ELb0ES3_N6thrust23THRUST_200600_302600_NS6detail15normal_iteratorINS9_10device_ptrIfEEEENS9_16discard_iteratorINS9_11use_defaultEEEfNS9_4plusIvEEfEEDaPvRmT3_T4_T5_mT6_P12ihipStream_tbENKUlT_T0_E_clISt17integral_constantIbLb1EESW_IbLb0EEEEDaSS_ST_EUlSS_E0_NS1_11comp_targetILNS1_3genE3ELNS1_11target_archE908ELNS1_3gpuE7ELNS1_3repE0EEENS1_30default_config_static_selectorELNS0_4arch9wavefront6targetE1EEEvT1_,"axG",@progbits,_ZN7rocprim17ROCPRIM_400000_NS6detail17trampoline_kernelINS0_14default_configENS1_20scan_config_selectorIfEEZZNS1_9scan_implILNS1_25lookback_scan_determinismE0ELb0ELb0ES3_N6thrust23THRUST_200600_302600_NS6detail15normal_iteratorINS9_10device_ptrIfEEEENS9_16discard_iteratorINS9_11use_defaultEEEfNS9_4plusIvEEfEEDaPvRmT3_T4_T5_mT6_P12ihipStream_tbENKUlT_T0_E_clISt17integral_constantIbLb1EESW_IbLb0EEEEDaSS_ST_EUlSS_E0_NS1_11comp_targetILNS1_3genE3ELNS1_11target_archE908ELNS1_3gpuE7ELNS1_3repE0EEENS1_30default_config_static_selectorELNS0_4arch9wavefront6targetE1EEEvT1_,comdat
.Lfunc_end5054:
	.size	_ZN7rocprim17ROCPRIM_400000_NS6detail17trampoline_kernelINS0_14default_configENS1_20scan_config_selectorIfEEZZNS1_9scan_implILNS1_25lookback_scan_determinismE0ELb0ELb0ES3_N6thrust23THRUST_200600_302600_NS6detail15normal_iteratorINS9_10device_ptrIfEEEENS9_16discard_iteratorINS9_11use_defaultEEEfNS9_4plusIvEEfEEDaPvRmT3_T4_T5_mT6_P12ihipStream_tbENKUlT_T0_E_clISt17integral_constantIbLb1EESW_IbLb0EEEEDaSS_ST_EUlSS_E0_NS1_11comp_targetILNS1_3genE3ELNS1_11target_archE908ELNS1_3gpuE7ELNS1_3repE0EEENS1_30default_config_static_selectorELNS0_4arch9wavefront6targetE1EEEvT1_, .Lfunc_end5054-_ZN7rocprim17ROCPRIM_400000_NS6detail17trampoline_kernelINS0_14default_configENS1_20scan_config_selectorIfEEZZNS1_9scan_implILNS1_25lookback_scan_determinismE0ELb0ELb0ES3_N6thrust23THRUST_200600_302600_NS6detail15normal_iteratorINS9_10device_ptrIfEEEENS9_16discard_iteratorINS9_11use_defaultEEEfNS9_4plusIvEEfEEDaPvRmT3_T4_T5_mT6_P12ihipStream_tbENKUlT_T0_E_clISt17integral_constantIbLb1EESW_IbLb0EEEEDaSS_ST_EUlSS_E0_NS1_11comp_targetILNS1_3genE3ELNS1_11target_archE908ELNS1_3gpuE7ELNS1_3repE0EEENS1_30default_config_static_selectorELNS0_4arch9wavefront6targetE1EEEvT1_
                                        ; -- End function
	.section	.AMDGPU.csdata,"",@progbits
; Kernel info:
; codeLenInByte = 0
; NumSgprs: 4
; NumVgprs: 0
; NumAgprs: 0
; TotalNumVgprs: 0
; ScratchSize: 0
; MemoryBound: 0
; FloatMode: 240
; IeeeMode: 1
; LDSByteSize: 0 bytes/workgroup (compile time only)
; SGPRBlocks: 0
; VGPRBlocks: 0
; NumSGPRsForWavesPerEU: 4
; NumVGPRsForWavesPerEU: 1
; AccumOffset: 4
; Occupancy: 8
; WaveLimiterHint : 0
; COMPUTE_PGM_RSRC2:SCRATCH_EN: 0
; COMPUTE_PGM_RSRC2:USER_SGPR: 6
; COMPUTE_PGM_RSRC2:TRAP_HANDLER: 0
; COMPUTE_PGM_RSRC2:TGID_X_EN: 1
; COMPUTE_PGM_RSRC2:TGID_Y_EN: 0
; COMPUTE_PGM_RSRC2:TGID_Z_EN: 0
; COMPUTE_PGM_RSRC2:TIDIG_COMP_CNT: 0
; COMPUTE_PGM_RSRC3_GFX90A:ACCUM_OFFSET: 0
; COMPUTE_PGM_RSRC3_GFX90A:TG_SPLIT: 0
	.section	.text._ZN7rocprim17ROCPRIM_400000_NS6detail17trampoline_kernelINS0_14default_configENS1_20scan_config_selectorIfEEZZNS1_9scan_implILNS1_25lookback_scan_determinismE0ELb0ELb0ES3_N6thrust23THRUST_200600_302600_NS6detail15normal_iteratorINS9_10device_ptrIfEEEENS9_16discard_iteratorINS9_11use_defaultEEEfNS9_4plusIvEEfEEDaPvRmT3_T4_T5_mT6_P12ihipStream_tbENKUlT_T0_E_clISt17integral_constantIbLb1EESW_IbLb0EEEEDaSS_ST_EUlSS_E0_NS1_11comp_targetILNS1_3genE2ELNS1_11target_archE906ELNS1_3gpuE6ELNS1_3repE0EEENS1_30default_config_static_selectorELNS0_4arch9wavefront6targetE1EEEvT1_,"axG",@progbits,_ZN7rocprim17ROCPRIM_400000_NS6detail17trampoline_kernelINS0_14default_configENS1_20scan_config_selectorIfEEZZNS1_9scan_implILNS1_25lookback_scan_determinismE0ELb0ELb0ES3_N6thrust23THRUST_200600_302600_NS6detail15normal_iteratorINS9_10device_ptrIfEEEENS9_16discard_iteratorINS9_11use_defaultEEEfNS9_4plusIvEEfEEDaPvRmT3_T4_T5_mT6_P12ihipStream_tbENKUlT_T0_E_clISt17integral_constantIbLb1EESW_IbLb0EEEEDaSS_ST_EUlSS_E0_NS1_11comp_targetILNS1_3genE2ELNS1_11target_archE906ELNS1_3gpuE6ELNS1_3repE0EEENS1_30default_config_static_selectorELNS0_4arch9wavefront6targetE1EEEvT1_,comdat
	.protected	_ZN7rocprim17ROCPRIM_400000_NS6detail17trampoline_kernelINS0_14default_configENS1_20scan_config_selectorIfEEZZNS1_9scan_implILNS1_25lookback_scan_determinismE0ELb0ELb0ES3_N6thrust23THRUST_200600_302600_NS6detail15normal_iteratorINS9_10device_ptrIfEEEENS9_16discard_iteratorINS9_11use_defaultEEEfNS9_4plusIvEEfEEDaPvRmT3_T4_T5_mT6_P12ihipStream_tbENKUlT_T0_E_clISt17integral_constantIbLb1EESW_IbLb0EEEEDaSS_ST_EUlSS_E0_NS1_11comp_targetILNS1_3genE2ELNS1_11target_archE906ELNS1_3gpuE6ELNS1_3repE0EEENS1_30default_config_static_selectorELNS0_4arch9wavefront6targetE1EEEvT1_ ; -- Begin function _ZN7rocprim17ROCPRIM_400000_NS6detail17trampoline_kernelINS0_14default_configENS1_20scan_config_selectorIfEEZZNS1_9scan_implILNS1_25lookback_scan_determinismE0ELb0ELb0ES3_N6thrust23THRUST_200600_302600_NS6detail15normal_iteratorINS9_10device_ptrIfEEEENS9_16discard_iteratorINS9_11use_defaultEEEfNS9_4plusIvEEfEEDaPvRmT3_T4_T5_mT6_P12ihipStream_tbENKUlT_T0_E_clISt17integral_constantIbLb1EESW_IbLb0EEEEDaSS_ST_EUlSS_E0_NS1_11comp_targetILNS1_3genE2ELNS1_11target_archE906ELNS1_3gpuE6ELNS1_3repE0EEENS1_30default_config_static_selectorELNS0_4arch9wavefront6targetE1EEEvT1_
	.globl	_ZN7rocprim17ROCPRIM_400000_NS6detail17trampoline_kernelINS0_14default_configENS1_20scan_config_selectorIfEEZZNS1_9scan_implILNS1_25lookback_scan_determinismE0ELb0ELb0ES3_N6thrust23THRUST_200600_302600_NS6detail15normal_iteratorINS9_10device_ptrIfEEEENS9_16discard_iteratorINS9_11use_defaultEEEfNS9_4plusIvEEfEEDaPvRmT3_T4_T5_mT6_P12ihipStream_tbENKUlT_T0_E_clISt17integral_constantIbLb1EESW_IbLb0EEEEDaSS_ST_EUlSS_E0_NS1_11comp_targetILNS1_3genE2ELNS1_11target_archE906ELNS1_3gpuE6ELNS1_3repE0EEENS1_30default_config_static_selectorELNS0_4arch9wavefront6targetE1EEEvT1_
	.p2align	8
	.type	_ZN7rocprim17ROCPRIM_400000_NS6detail17trampoline_kernelINS0_14default_configENS1_20scan_config_selectorIfEEZZNS1_9scan_implILNS1_25lookback_scan_determinismE0ELb0ELb0ES3_N6thrust23THRUST_200600_302600_NS6detail15normal_iteratorINS9_10device_ptrIfEEEENS9_16discard_iteratorINS9_11use_defaultEEEfNS9_4plusIvEEfEEDaPvRmT3_T4_T5_mT6_P12ihipStream_tbENKUlT_T0_E_clISt17integral_constantIbLb1EESW_IbLb0EEEEDaSS_ST_EUlSS_E0_NS1_11comp_targetILNS1_3genE2ELNS1_11target_archE906ELNS1_3gpuE6ELNS1_3repE0EEENS1_30default_config_static_selectorELNS0_4arch9wavefront6targetE1EEEvT1_,@function
_ZN7rocprim17ROCPRIM_400000_NS6detail17trampoline_kernelINS0_14default_configENS1_20scan_config_selectorIfEEZZNS1_9scan_implILNS1_25lookback_scan_determinismE0ELb0ELb0ES3_N6thrust23THRUST_200600_302600_NS6detail15normal_iteratorINS9_10device_ptrIfEEEENS9_16discard_iteratorINS9_11use_defaultEEEfNS9_4plusIvEEfEEDaPvRmT3_T4_T5_mT6_P12ihipStream_tbENKUlT_T0_E_clISt17integral_constantIbLb1EESW_IbLb0EEEEDaSS_ST_EUlSS_E0_NS1_11comp_targetILNS1_3genE2ELNS1_11target_archE906ELNS1_3gpuE6ELNS1_3repE0EEENS1_30default_config_static_selectorELNS0_4arch9wavefront6targetE1EEEvT1_: ; @_ZN7rocprim17ROCPRIM_400000_NS6detail17trampoline_kernelINS0_14default_configENS1_20scan_config_selectorIfEEZZNS1_9scan_implILNS1_25lookback_scan_determinismE0ELb0ELb0ES3_N6thrust23THRUST_200600_302600_NS6detail15normal_iteratorINS9_10device_ptrIfEEEENS9_16discard_iteratorINS9_11use_defaultEEEfNS9_4plusIvEEfEEDaPvRmT3_T4_T5_mT6_P12ihipStream_tbENKUlT_T0_E_clISt17integral_constantIbLb1EESW_IbLb0EEEEDaSS_ST_EUlSS_E0_NS1_11comp_targetILNS1_3genE2ELNS1_11target_archE906ELNS1_3gpuE6ELNS1_3repE0EEENS1_30default_config_static_selectorELNS0_4arch9wavefront6targetE1EEEvT1_
; %bb.0:
	.section	.rodata,"a",@progbits
	.p2align	6, 0x0
	.amdhsa_kernel _ZN7rocprim17ROCPRIM_400000_NS6detail17trampoline_kernelINS0_14default_configENS1_20scan_config_selectorIfEEZZNS1_9scan_implILNS1_25lookback_scan_determinismE0ELb0ELb0ES3_N6thrust23THRUST_200600_302600_NS6detail15normal_iteratorINS9_10device_ptrIfEEEENS9_16discard_iteratorINS9_11use_defaultEEEfNS9_4plusIvEEfEEDaPvRmT3_T4_T5_mT6_P12ihipStream_tbENKUlT_T0_E_clISt17integral_constantIbLb1EESW_IbLb0EEEEDaSS_ST_EUlSS_E0_NS1_11comp_targetILNS1_3genE2ELNS1_11target_archE906ELNS1_3gpuE6ELNS1_3repE0EEENS1_30default_config_static_selectorELNS0_4arch9wavefront6targetE1EEEvT1_
		.amdhsa_group_segment_fixed_size 0
		.amdhsa_private_segment_fixed_size 0
		.amdhsa_kernarg_size 40
		.amdhsa_user_sgpr_count 6
		.amdhsa_user_sgpr_private_segment_buffer 1
		.amdhsa_user_sgpr_dispatch_ptr 0
		.amdhsa_user_sgpr_queue_ptr 0
		.amdhsa_user_sgpr_kernarg_segment_ptr 1
		.amdhsa_user_sgpr_dispatch_id 0
		.amdhsa_user_sgpr_flat_scratch_init 0
		.amdhsa_user_sgpr_kernarg_preload_length 0
		.amdhsa_user_sgpr_kernarg_preload_offset 0
		.amdhsa_user_sgpr_private_segment_size 0
		.amdhsa_uses_dynamic_stack 0
		.amdhsa_system_sgpr_private_segment_wavefront_offset 0
		.amdhsa_system_sgpr_workgroup_id_x 1
		.amdhsa_system_sgpr_workgroup_id_y 0
		.amdhsa_system_sgpr_workgroup_id_z 0
		.amdhsa_system_sgpr_workgroup_info 0
		.amdhsa_system_vgpr_workitem_id 0
		.amdhsa_next_free_vgpr 1
		.amdhsa_next_free_sgpr 0
		.amdhsa_accum_offset 4
		.amdhsa_reserve_vcc 0
		.amdhsa_reserve_flat_scratch 0
		.amdhsa_float_round_mode_32 0
		.amdhsa_float_round_mode_16_64 0
		.amdhsa_float_denorm_mode_32 3
		.amdhsa_float_denorm_mode_16_64 3
		.amdhsa_dx10_clamp 1
		.amdhsa_ieee_mode 1
		.amdhsa_fp16_overflow 0
		.amdhsa_tg_split 0
		.amdhsa_exception_fp_ieee_invalid_op 0
		.amdhsa_exception_fp_denorm_src 0
		.amdhsa_exception_fp_ieee_div_zero 0
		.amdhsa_exception_fp_ieee_overflow 0
		.amdhsa_exception_fp_ieee_underflow 0
		.amdhsa_exception_fp_ieee_inexact 0
		.amdhsa_exception_int_div_zero 0
	.end_amdhsa_kernel
	.section	.text._ZN7rocprim17ROCPRIM_400000_NS6detail17trampoline_kernelINS0_14default_configENS1_20scan_config_selectorIfEEZZNS1_9scan_implILNS1_25lookback_scan_determinismE0ELb0ELb0ES3_N6thrust23THRUST_200600_302600_NS6detail15normal_iteratorINS9_10device_ptrIfEEEENS9_16discard_iteratorINS9_11use_defaultEEEfNS9_4plusIvEEfEEDaPvRmT3_T4_T5_mT6_P12ihipStream_tbENKUlT_T0_E_clISt17integral_constantIbLb1EESW_IbLb0EEEEDaSS_ST_EUlSS_E0_NS1_11comp_targetILNS1_3genE2ELNS1_11target_archE906ELNS1_3gpuE6ELNS1_3repE0EEENS1_30default_config_static_selectorELNS0_4arch9wavefront6targetE1EEEvT1_,"axG",@progbits,_ZN7rocprim17ROCPRIM_400000_NS6detail17trampoline_kernelINS0_14default_configENS1_20scan_config_selectorIfEEZZNS1_9scan_implILNS1_25lookback_scan_determinismE0ELb0ELb0ES3_N6thrust23THRUST_200600_302600_NS6detail15normal_iteratorINS9_10device_ptrIfEEEENS9_16discard_iteratorINS9_11use_defaultEEEfNS9_4plusIvEEfEEDaPvRmT3_T4_T5_mT6_P12ihipStream_tbENKUlT_T0_E_clISt17integral_constantIbLb1EESW_IbLb0EEEEDaSS_ST_EUlSS_E0_NS1_11comp_targetILNS1_3genE2ELNS1_11target_archE906ELNS1_3gpuE6ELNS1_3repE0EEENS1_30default_config_static_selectorELNS0_4arch9wavefront6targetE1EEEvT1_,comdat
.Lfunc_end5055:
	.size	_ZN7rocprim17ROCPRIM_400000_NS6detail17trampoline_kernelINS0_14default_configENS1_20scan_config_selectorIfEEZZNS1_9scan_implILNS1_25lookback_scan_determinismE0ELb0ELb0ES3_N6thrust23THRUST_200600_302600_NS6detail15normal_iteratorINS9_10device_ptrIfEEEENS9_16discard_iteratorINS9_11use_defaultEEEfNS9_4plusIvEEfEEDaPvRmT3_T4_T5_mT6_P12ihipStream_tbENKUlT_T0_E_clISt17integral_constantIbLb1EESW_IbLb0EEEEDaSS_ST_EUlSS_E0_NS1_11comp_targetILNS1_3genE2ELNS1_11target_archE906ELNS1_3gpuE6ELNS1_3repE0EEENS1_30default_config_static_selectorELNS0_4arch9wavefront6targetE1EEEvT1_, .Lfunc_end5055-_ZN7rocprim17ROCPRIM_400000_NS6detail17trampoline_kernelINS0_14default_configENS1_20scan_config_selectorIfEEZZNS1_9scan_implILNS1_25lookback_scan_determinismE0ELb0ELb0ES3_N6thrust23THRUST_200600_302600_NS6detail15normal_iteratorINS9_10device_ptrIfEEEENS9_16discard_iteratorINS9_11use_defaultEEEfNS9_4plusIvEEfEEDaPvRmT3_T4_T5_mT6_P12ihipStream_tbENKUlT_T0_E_clISt17integral_constantIbLb1EESW_IbLb0EEEEDaSS_ST_EUlSS_E0_NS1_11comp_targetILNS1_3genE2ELNS1_11target_archE906ELNS1_3gpuE6ELNS1_3repE0EEENS1_30default_config_static_selectorELNS0_4arch9wavefront6targetE1EEEvT1_
                                        ; -- End function
	.section	.AMDGPU.csdata,"",@progbits
; Kernel info:
; codeLenInByte = 0
; NumSgprs: 4
; NumVgprs: 0
; NumAgprs: 0
; TotalNumVgprs: 0
; ScratchSize: 0
; MemoryBound: 0
; FloatMode: 240
; IeeeMode: 1
; LDSByteSize: 0 bytes/workgroup (compile time only)
; SGPRBlocks: 0
; VGPRBlocks: 0
; NumSGPRsForWavesPerEU: 4
; NumVGPRsForWavesPerEU: 1
; AccumOffset: 4
; Occupancy: 8
; WaveLimiterHint : 0
; COMPUTE_PGM_RSRC2:SCRATCH_EN: 0
; COMPUTE_PGM_RSRC2:USER_SGPR: 6
; COMPUTE_PGM_RSRC2:TRAP_HANDLER: 0
; COMPUTE_PGM_RSRC2:TGID_X_EN: 1
; COMPUTE_PGM_RSRC2:TGID_Y_EN: 0
; COMPUTE_PGM_RSRC2:TGID_Z_EN: 0
; COMPUTE_PGM_RSRC2:TIDIG_COMP_CNT: 0
; COMPUTE_PGM_RSRC3_GFX90A:ACCUM_OFFSET: 0
; COMPUTE_PGM_RSRC3_GFX90A:TG_SPLIT: 0
	.section	.text._ZN7rocprim17ROCPRIM_400000_NS6detail17trampoline_kernelINS0_14default_configENS1_20scan_config_selectorIfEEZZNS1_9scan_implILNS1_25lookback_scan_determinismE0ELb0ELb0ES3_N6thrust23THRUST_200600_302600_NS6detail15normal_iteratorINS9_10device_ptrIfEEEENS9_16discard_iteratorINS9_11use_defaultEEEfNS9_4plusIvEEfEEDaPvRmT3_T4_T5_mT6_P12ihipStream_tbENKUlT_T0_E_clISt17integral_constantIbLb1EESW_IbLb0EEEEDaSS_ST_EUlSS_E0_NS1_11comp_targetILNS1_3genE10ELNS1_11target_archE1201ELNS1_3gpuE5ELNS1_3repE0EEENS1_30default_config_static_selectorELNS0_4arch9wavefront6targetE1EEEvT1_,"axG",@progbits,_ZN7rocprim17ROCPRIM_400000_NS6detail17trampoline_kernelINS0_14default_configENS1_20scan_config_selectorIfEEZZNS1_9scan_implILNS1_25lookback_scan_determinismE0ELb0ELb0ES3_N6thrust23THRUST_200600_302600_NS6detail15normal_iteratorINS9_10device_ptrIfEEEENS9_16discard_iteratorINS9_11use_defaultEEEfNS9_4plusIvEEfEEDaPvRmT3_T4_T5_mT6_P12ihipStream_tbENKUlT_T0_E_clISt17integral_constantIbLb1EESW_IbLb0EEEEDaSS_ST_EUlSS_E0_NS1_11comp_targetILNS1_3genE10ELNS1_11target_archE1201ELNS1_3gpuE5ELNS1_3repE0EEENS1_30default_config_static_selectorELNS0_4arch9wavefront6targetE1EEEvT1_,comdat
	.protected	_ZN7rocprim17ROCPRIM_400000_NS6detail17trampoline_kernelINS0_14default_configENS1_20scan_config_selectorIfEEZZNS1_9scan_implILNS1_25lookback_scan_determinismE0ELb0ELb0ES3_N6thrust23THRUST_200600_302600_NS6detail15normal_iteratorINS9_10device_ptrIfEEEENS9_16discard_iteratorINS9_11use_defaultEEEfNS9_4plusIvEEfEEDaPvRmT3_T4_T5_mT6_P12ihipStream_tbENKUlT_T0_E_clISt17integral_constantIbLb1EESW_IbLb0EEEEDaSS_ST_EUlSS_E0_NS1_11comp_targetILNS1_3genE10ELNS1_11target_archE1201ELNS1_3gpuE5ELNS1_3repE0EEENS1_30default_config_static_selectorELNS0_4arch9wavefront6targetE1EEEvT1_ ; -- Begin function _ZN7rocprim17ROCPRIM_400000_NS6detail17trampoline_kernelINS0_14default_configENS1_20scan_config_selectorIfEEZZNS1_9scan_implILNS1_25lookback_scan_determinismE0ELb0ELb0ES3_N6thrust23THRUST_200600_302600_NS6detail15normal_iteratorINS9_10device_ptrIfEEEENS9_16discard_iteratorINS9_11use_defaultEEEfNS9_4plusIvEEfEEDaPvRmT3_T4_T5_mT6_P12ihipStream_tbENKUlT_T0_E_clISt17integral_constantIbLb1EESW_IbLb0EEEEDaSS_ST_EUlSS_E0_NS1_11comp_targetILNS1_3genE10ELNS1_11target_archE1201ELNS1_3gpuE5ELNS1_3repE0EEENS1_30default_config_static_selectorELNS0_4arch9wavefront6targetE1EEEvT1_
	.globl	_ZN7rocprim17ROCPRIM_400000_NS6detail17trampoline_kernelINS0_14default_configENS1_20scan_config_selectorIfEEZZNS1_9scan_implILNS1_25lookback_scan_determinismE0ELb0ELb0ES3_N6thrust23THRUST_200600_302600_NS6detail15normal_iteratorINS9_10device_ptrIfEEEENS9_16discard_iteratorINS9_11use_defaultEEEfNS9_4plusIvEEfEEDaPvRmT3_T4_T5_mT6_P12ihipStream_tbENKUlT_T0_E_clISt17integral_constantIbLb1EESW_IbLb0EEEEDaSS_ST_EUlSS_E0_NS1_11comp_targetILNS1_3genE10ELNS1_11target_archE1201ELNS1_3gpuE5ELNS1_3repE0EEENS1_30default_config_static_selectorELNS0_4arch9wavefront6targetE1EEEvT1_
	.p2align	8
	.type	_ZN7rocprim17ROCPRIM_400000_NS6detail17trampoline_kernelINS0_14default_configENS1_20scan_config_selectorIfEEZZNS1_9scan_implILNS1_25lookback_scan_determinismE0ELb0ELb0ES3_N6thrust23THRUST_200600_302600_NS6detail15normal_iteratorINS9_10device_ptrIfEEEENS9_16discard_iteratorINS9_11use_defaultEEEfNS9_4plusIvEEfEEDaPvRmT3_T4_T5_mT6_P12ihipStream_tbENKUlT_T0_E_clISt17integral_constantIbLb1EESW_IbLb0EEEEDaSS_ST_EUlSS_E0_NS1_11comp_targetILNS1_3genE10ELNS1_11target_archE1201ELNS1_3gpuE5ELNS1_3repE0EEENS1_30default_config_static_selectorELNS0_4arch9wavefront6targetE1EEEvT1_,@function
_ZN7rocprim17ROCPRIM_400000_NS6detail17trampoline_kernelINS0_14default_configENS1_20scan_config_selectorIfEEZZNS1_9scan_implILNS1_25lookback_scan_determinismE0ELb0ELb0ES3_N6thrust23THRUST_200600_302600_NS6detail15normal_iteratorINS9_10device_ptrIfEEEENS9_16discard_iteratorINS9_11use_defaultEEEfNS9_4plusIvEEfEEDaPvRmT3_T4_T5_mT6_P12ihipStream_tbENKUlT_T0_E_clISt17integral_constantIbLb1EESW_IbLb0EEEEDaSS_ST_EUlSS_E0_NS1_11comp_targetILNS1_3genE10ELNS1_11target_archE1201ELNS1_3gpuE5ELNS1_3repE0EEENS1_30default_config_static_selectorELNS0_4arch9wavefront6targetE1EEEvT1_: ; @_ZN7rocprim17ROCPRIM_400000_NS6detail17trampoline_kernelINS0_14default_configENS1_20scan_config_selectorIfEEZZNS1_9scan_implILNS1_25lookback_scan_determinismE0ELb0ELb0ES3_N6thrust23THRUST_200600_302600_NS6detail15normal_iteratorINS9_10device_ptrIfEEEENS9_16discard_iteratorINS9_11use_defaultEEEfNS9_4plusIvEEfEEDaPvRmT3_T4_T5_mT6_P12ihipStream_tbENKUlT_T0_E_clISt17integral_constantIbLb1EESW_IbLb0EEEEDaSS_ST_EUlSS_E0_NS1_11comp_targetILNS1_3genE10ELNS1_11target_archE1201ELNS1_3gpuE5ELNS1_3repE0EEENS1_30default_config_static_selectorELNS0_4arch9wavefront6targetE1EEEvT1_
; %bb.0:
	.section	.rodata,"a",@progbits
	.p2align	6, 0x0
	.amdhsa_kernel _ZN7rocprim17ROCPRIM_400000_NS6detail17trampoline_kernelINS0_14default_configENS1_20scan_config_selectorIfEEZZNS1_9scan_implILNS1_25lookback_scan_determinismE0ELb0ELb0ES3_N6thrust23THRUST_200600_302600_NS6detail15normal_iteratorINS9_10device_ptrIfEEEENS9_16discard_iteratorINS9_11use_defaultEEEfNS9_4plusIvEEfEEDaPvRmT3_T4_T5_mT6_P12ihipStream_tbENKUlT_T0_E_clISt17integral_constantIbLb1EESW_IbLb0EEEEDaSS_ST_EUlSS_E0_NS1_11comp_targetILNS1_3genE10ELNS1_11target_archE1201ELNS1_3gpuE5ELNS1_3repE0EEENS1_30default_config_static_selectorELNS0_4arch9wavefront6targetE1EEEvT1_
		.amdhsa_group_segment_fixed_size 0
		.amdhsa_private_segment_fixed_size 0
		.amdhsa_kernarg_size 40
		.amdhsa_user_sgpr_count 6
		.amdhsa_user_sgpr_private_segment_buffer 1
		.amdhsa_user_sgpr_dispatch_ptr 0
		.amdhsa_user_sgpr_queue_ptr 0
		.amdhsa_user_sgpr_kernarg_segment_ptr 1
		.amdhsa_user_sgpr_dispatch_id 0
		.amdhsa_user_sgpr_flat_scratch_init 0
		.amdhsa_user_sgpr_kernarg_preload_length 0
		.amdhsa_user_sgpr_kernarg_preload_offset 0
		.amdhsa_user_sgpr_private_segment_size 0
		.amdhsa_uses_dynamic_stack 0
		.amdhsa_system_sgpr_private_segment_wavefront_offset 0
		.amdhsa_system_sgpr_workgroup_id_x 1
		.amdhsa_system_sgpr_workgroup_id_y 0
		.amdhsa_system_sgpr_workgroup_id_z 0
		.amdhsa_system_sgpr_workgroup_info 0
		.amdhsa_system_vgpr_workitem_id 0
		.amdhsa_next_free_vgpr 1
		.amdhsa_next_free_sgpr 0
		.amdhsa_accum_offset 4
		.amdhsa_reserve_vcc 0
		.amdhsa_reserve_flat_scratch 0
		.amdhsa_float_round_mode_32 0
		.amdhsa_float_round_mode_16_64 0
		.amdhsa_float_denorm_mode_32 3
		.amdhsa_float_denorm_mode_16_64 3
		.amdhsa_dx10_clamp 1
		.amdhsa_ieee_mode 1
		.amdhsa_fp16_overflow 0
		.amdhsa_tg_split 0
		.amdhsa_exception_fp_ieee_invalid_op 0
		.amdhsa_exception_fp_denorm_src 0
		.amdhsa_exception_fp_ieee_div_zero 0
		.amdhsa_exception_fp_ieee_overflow 0
		.amdhsa_exception_fp_ieee_underflow 0
		.amdhsa_exception_fp_ieee_inexact 0
		.amdhsa_exception_int_div_zero 0
	.end_amdhsa_kernel
	.section	.text._ZN7rocprim17ROCPRIM_400000_NS6detail17trampoline_kernelINS0_14default_configENS1_20scan_config_selectorIfEEZZNS1_9scan_implILNS1_25lookback_scan_determinismE0ELb0ELb0ES3_N6thrust23THRUST_200600_302600_NS6detail15normal_iteratorINS9_10device_ptrIfEEEENS9_16discard_iteratorINS9_11use_defaultEEEfNS9_4plusIvEEfEEDaPvRmT3_T4_T5_mT6_P12ihipStream_tbENKUlT_T0_E_clISt17integral_constantIbLb1EESW_IbLb0EEEEDaSS_ST_EUlSS_E0_NS1_11comp_targetILNS1_3genE10ELNS1_11target_archE1201ELNS1_3gpuE5ELNS1_3repE0EEENS1_30default_config_static_selectorELNS0_4arch9wavefront6targetE1EEEvT1_,"axG",@progbits,_ZN7rocprim17ROCPRIM_400000_NS6detail17trampoline_kernelINS0_14default_configENS1_20scan_config_selectorIfEEZZNS1_9scan_implILNS1_25lookback_scan_determinismE0ELb0ELb0ES3_N6thrust23THRUST_200600_302600_NS6detail15normal_iteratorINS9_10device_ptrIfEEEENS9_16discard_iteratorINS9_11use_defaultEEEfNS9_4plusIvEEfEEDaPvRmT3_T4_T5_mT6_P12ihipStream_tbENKUlT_T0_E_clISt17integral_constantIbLb1EESW_IbLb0EEEEDaSS_ST_EUlSS_E0_NS1_11comp_targetILNS1_3genE10ELNS1_11target_archE1201ELNS1_3gpuE5ELNS1_3repE0EEENS1_30default_config_static_selectorELNS0_4arch9wavefront6targetE1EEEvT1_,comdat
.Lfunc_end5056:
	.size	_ZN7rocprim17ROCPRIM_400000_NS6detail17trampoline_kernelINS0_14default_configENS1_20scan_config_selectorIfEEZZNS1_9scan_implILNS1_25lookback_scan_determinismE0ELb0ELb0ES3_N6thrust23THRUST_200600_302600_NS6detail15normal_iteratorINS9_10device_ptrIfEEEENS9_16discard_iteratorINS9_11use_defaultEEEfNS9_4plusIvEEfEEDaPvRmT3_T4_T5_mT6_P12ihipStream_tbENKUlT_T0_E_clISt17integral_constantIbLb1EESW_IbLb0EEEEDaSS_ST_EUlSS_E0_NS1_11comp_targetILNS1_3genE10ELNS1_11target_archE1201ELNS1_3gpuE5ELNS1_3repE0EEENS1_30default_config_static_selectorELNS0_4arch9wavefront6targetE1EEEvT1_, .Lfunc_end5056-_ZN7rocprim17ROCPRIM_400000_NS6detail17trampoline_kernelINS0_14default_configENS1_20scan_config_selectorIfEEZZNS1_9scan_implILNS1_25lookback_scan_determinismE0ELb0ELb0ES3_N6thrust23THRUST_200600_302600_NS6detail15normal_iteratorINS9_10device_ptrIfEEEENS9_16discard_iteratorINS9_11use_defaultEEEfNS9_4plusIvEEfEEDaPvRmT3_T4_T5_mT6_P12ihipStream_tbENKUlT_T0_E_clISt17integral_constantIbLb1EESW_IbLb0EEEEDaSS_ST_EUlSS_E0_NS1_11comp_targetILNS1_3genE10ELNS1_11target_archE1201ELNS1_3gpuE5ELNS1_3repE0EEENS1_30default_config_static_selectorELNS0_4arch9wavefront6targetE1EEEvT1_
                                        ; -- End function
	.section	.AMDGPU.csdata,"",@progbits
; Kernel info:
; codeLenInByte = 0
; NumSgprs: 4
; NumVgprs: 0
; NumAgprs: 0
; TotalNumVgprs: 0
; ScratchSize: 0
; MemoryBound: 0
; FloatMode: 240
; IeeeMode: 1
; LDSByteSize: 0 bytes/workgroup (compile time only)
; SGPRBlocks: 0
; VGPRBlocks: 0
; NumSGPRsForWavesPerEU: 4
; NumVGPRsForWavesPerEU: 1
; AccumOffset: 4
; Occupancy: 8
; WaveLimiterHint : 0
; COMPUTE_PGM_RSRC2:SCRATCH_EN: 0
; COMPUTE_PGM_RSRC2:USER_SGPR: 6
; COMPUTE_PGM_RSRC2:TRAP_HANDLER: 0
; COMPUTE_PGM_RSRC2:TGID_X_EN: 1
; COMPUTE_PGM_RSRC2:TGID_Y_EN: 0
; COMPUTE_PGM_RSRC2:TGID_Z_EN: 0
; COMPUTE_PGM_RSRC2:TIDIG_COMP_CNT: 0
; COMPUTE_PGM_RSRC3_GFX90A:ACCUM_OFFSET: 0
; COMPUTE_PGM_RSRC3_GFX90A:TG_SPLIT: 0
	.section	.text._ZN7rocprim17ROCPRIM_400000_NS6detail17trampoline_kernelINS0_14default_configENS1_20scan_config_selectorIfEEZZNS1_9scan_implILNS1_25lookback_scan_determinismE0ELb0ELb0ES3_N6thrust23THRUST_200600_302600_NS6detail15normal_iteratorINS9_10device_ptrIfEEEENS9_16discard_iteratorINS9_11use_defaultEEEfNS9_4plusIvEEfEEDaPvRmT3_T4_T5_mT6_P12ihipStream_tbENKUlT_T0_E_clISt17integral_constantIbLb1EESW_IbLb0EEEEDaSS_ST_EUlSS_E0_NS1_11comp_targetILNS1_3genE10ELNS1_11target_archE1200ELNS1_3gpuE4ELNS1_3repE0EEENS1_30default_config_static_selectorELNS0_4arch9wavefront6targetE1EEEvT1_,"axG",@progbits,_ZN7rocprim17ROCPRIM_400000_NS6detail17trampoline_kernelINS0_14default_configENS1_20scan_config_selectorIfEEZZNS1_9scan_implILNS1_25lookback_scan_determinismE0ELb0ELb0ES3_N6thrust23THRUST_200600_302600_NS6detail15normal_iteratorINS9_10device_ptrIfEEEENS9_16discard_iteratorINS9_11use_defaultEEEfNS9_4plusIvEEfEEDaPvRmT3_T4_T5_mT6_P12ihipStream_tbENKUlT_T0_E_clISt17integral_constantIbLb1EESW_IbLb0EEEEDaSS_ST_EUlSS_E0_NS1_11comp_targetILNS1_3genE10ELNS1_11target_archE1200ELNS1_3gpuE4ELNS1_3repE0EEENS1_30default_config_static_selectorELNS0_4arch9wavefront6targetE1EEEvT1_,comdat
	.protected	_ZN7rocprim17ROCPRIM_400000_NS6detail17trampoline_kernelINS0_14default_configENS1_20scan_config_selectorIfEEZZNS1_9scan_implILNS1_25lookback_scan_determinismE0ELb0ELb0ES3_N6thrust23THRUST_200600_302600_NS6detail15normal_iteratorINS9_10device_ptrIfEEEENS9_16discard_iteratorINS9_11use_defaultEEEfNS9_4plusIvEEfEEDaPvRmT3_T4_T5_mT6_P12ihipStream_tbENKUlT_T0_E_clISt17integral_constantIbLb1EESW_IbLb0EEEEDaSS_ST_EUlSS_E0_NS1_11comp_targetILNS1_3genE10ELNS1_11target_archE1200ELNS1_3gpuE4ELNS1_3repE0EEENS1_30default_config_static_selectorELNS0_4arch9wavefront6targetE1EEEvT1_ ; -- Begin function _ZN7rocprim17ROCPRIM_400000_NS6detail17trampoline_kernelINS0_14default_configENS1_20scan_config_selectorIfEEZZNS1_9scan_implILNS1_25lookback_scan_determinismE0ELb0ELb0ES3_N6thrust23THRUST_200600_302600_NS6detail15normal_iteratorINS9_10device_ptrIfEEEENS9_16discard_iteratorINS9_11use_defaultEEEfNS9_4plusIvEEfEEDaPvRmT3_T4_T5_mT6_P12ihipStream_tbENKUlT_T0_E_clISt17integral_constantIbLb1EESW_IbLb0EEEEDaSS_ST_EUlSS_E0_NS1_11comp_targetILNS1_3genE10ELNS1_11target_archE1200ELNS1_3gpuE4ELNS1_3repE0EEENS1_30default_config_static_selectorELNS0_4arch9wavefront6targetE1EEEvT1_
	.globl	_ZN7rocprim17ROCPRIM_400000_NS6detail17trampoline_kernelINS0_14default_configENS1_20scan_config_selectorIfEEZZNS1_9scan_implILNS1_25lookback_scan_determinismE0ELb0ELb0ES3_N6thrust23THRUST_200600_302600_NS6detail15normal_iteratorINS9_10device_ptrIfEEEENS9_16discard_iteratorINS9_11use_defaultEEEfNS9_4plusIvEEfEEDaPvRmT3_T4_T5_mT6_P12ihipStream_tbENKUlT_T0_E_clISt17integral_constantIbLb1EESW_IbLb0EEEEDaSS_ST_EUlSS_E0_NS1_11comp_targetILNS1_3genE10ELNS1_11target_archE1200ELNS1_3gpuE4ELNS1_3repE0EEENS1_30default_config_static_selectorELNS0_4arch9wavefront6targetE1EEEvT1_
	.p2align	8
	.type	_ZN7rocprim17ROCPRIM_400000_NS6detail17trampoline_kernelINS0_14default_configENS1_20scan_config_selectorIfEEZZNS1_9scan_implILNS1_25lookback_scan_determinismE0ELb0ELb0ES3_N6thrust23THRUST_200600_302600_NS6detail15normal_iteratorINS9_10device_ptrIfEEEENS9_16discard_iteratorINS9_11use_defaultEEEfNS9_4plusIvEEfEEDaPvRmT3_T4_T5_mT6_P12ihipStream_tbENKUlT_T0_E_clISt17integral_constantIbLb1EESW_IbLb0EEEEDaSS_ST_EUlSS_E0_NS1_11comp_targetILNS1_3genE10ELNS1_11target_archE1200ELNS1_3gpuE4ELNS1_3repE0EEENS1_30default_config_static_selectorELNS0_4arch9wavefront6targetE1EEEvT1_,@function
_ZN7rocprim17ROCPRIM_400000_NS6detail17trampoline_kernelINS0_14default_configENS1_20scan_config_selectorIfEEZZNS1_9scan_implILNS1_25lookback_scan_determinismE0ELb0ELb0ES3_N6thrust23THRUST_200600_302600_NS6detail15normal_iteratorINS9_10device_ptrIfEEEENS9_16discard_iteratorINS9_11use_defaultEEEfNS9_4plusIvEEfEEDaPvRmT3_T4_T5_mT6_P12ihipStream_tbENKUlT_T0_E_clISt17integral_constantIbLb1EESW_IbLb0EEEEDaSS_ST_EUlSS_E0_NS1_11comp_targetILNS1_3genE10ELNS1_11target_archE1200ELNS1_3gpuE4ELNS1_3repE0EEENS1_30default_config_static_selectorELNS0_4arch9wavefront6targetE1EEEvT1_: ; @_ZN7rocprim17ROCPRIM_400000_NS6detail17trampoline_kernelINS0_14default_configENS1_20scan_config_selectorIfEEZZNS1_9scan_implILNS1_25lookback_scan_determinismE0ELb0ELb0ES3_N6thrust23THRUST_200600_302600_NS6detail15normal_iteratorINS9_10device_ptrIfEEEENS9_16discard_iteratorINS9_11use_defaultEEEfNS9_4plusIvEEfEEDaPvRmT3_T4_T5_mT6_P12ihipStream_tbENKUlT_T0_E_clISt17integral_constantIbLb1EESW_IbLb0EEEEDaSS_ST_EUlSS_E0_NS1_11comp_targetILNS1_3genE10ELNS1_11target_archE1200ELNS1_3gpuE4ELNS1_3repE0EEENS1_30default_config_static_selectorELNS0_4arch9wavefront6targetE1EEEvT1_
; %bb.0:
	.section	.rodata,"a",@progbits
	.p2align	6, 0x0
	.amdhsa_kernel _ZN7rocprim17ROCPRIM_400000_NS6detail17trampoline_kernelINS0_14default_configENS1_20scan_config_selectorIfEEZZNS1_9scan_implILNS1_25lookback_scan_determinismE0ELb0ELb0ES3_N6thrust23THRUST_200600_302600_NS6detail15normal_iteratorINS9_10device_ptrIfEEEENS9_16discard_iteratorINS9_11use_defaultEEEfNS9_4plusIvEEfEEDaPvRmT3_T4_T5_mT6_P12ihipStream_tbENKUlT_T0_E_clISt17integral_constantIbLb1EESW_IbLb0EEEEDaSS_ST_EUlSS_E0_NS1_11comp_targetILNS1_3genE10ELNS1_11target_archE1200ELNS1_3gpuE4ELNS1_3repE0EEENS1_30default_config_static_selectorELNS0_4arch9wavefront6targetE1EEEvT1_
		.amdhsa_group_segment_fixed_size 0
		.amdhsa_private_segment_fixed_size 0
		.amdhsa_kernarg_size 40
		.amdhsa_user_sgpr_count 6
		.amdhsa_user_sgpr_private_segment_buffer 1
		.amdhsa_user_sgpr_dispatch_ptr 0
		.amdhsa_user_sgpr_queue_ptr 0
		.amdhsa_user_sgpr_kernarg_segment_ptr 1
		.amdhsa_user_sgpr_dispatch_id 0
		.amdhsa_user_sgpr_flat_scratch_init 0
		.amdhsa_user_sgpr_kernarg_preload_length 0
		.amdhsa_user_sgpr_kernarg_preload_offset 0
		.amdhsa_user_sgpr_private_segment_size 0
		.amdhsa_uses_dynamic_stack 0
		.amdhsa_system_sgpr_private_segment_wavefront_offset 0
		.amdhsa_system_sgpr_workgroup_id_x 1
		.amdhsa_system_sgpr_workgroup_id_y 0
		.amdhsa_system_sgpr_workgroup_id_z 0
		.amdhsa_system_sgpr_workgroup_info 0
		.amdhsa_system_vgpr_workitem_id 0
		.amdhsa_next_free_vgpr 1
		.amdhsa_next_free_sgpr 0
		.amdhsa_accum_offset 4
		.amdhsa_reserve_vcc 0
		.amdhsa_reserve_flat_scratch 0
		.amdhsa_float_round_mode_32 0
		.amdhsa_float_round_mode_16_64 0
		.amdhsa_float_denorm_mode_32 3
		.amdhsa_float_denorm_mode_16_64 3
		.amdhsa_dx10_clamp 1
		.amdhsa_ieee_mode 1
		.amdhsa_fp16_overflow 0
		.amdhsa_tg_split 0
		.amdhsa_exception_fp_ieee_invalid_op 0
		.amdhsa_exception_fp_denorm_src 0
		.amdhsa_exception_fp_ieee_div_zero 0
		.amdhsa_exception_fp_ieee_overflow 0
		.amdhsa_exception_fp_ieee_underflow 0
		.amdhsa_exception_fp_ieee_inexact 0
		.amdhsa_exception_int_div_zero 0
	.end_amdhsa_kernel
	.section	.text._ZN7rocprim17ROCPRIM_400000_NS6detail17trampoline_kernelINS0_14default_configENS1_20scan_config_selectorIfEEZZNS1_9scan_implILNS1_25lookback_scan_determinismE0ELb0ELb0ES3_N6thrust23THRUST_200600_302600_NS6detail15normal_iteratorINS9_10device_ptrIfEEEENS9_16discard_iteratorINS9_11use_defaultEEEfNS9_4plusIvEEfEEDaPvRmT3_T4_T5_mT6_P12ihipStream_tbENKUlT_T0_E_clISt17integral_constantIbLb1EESW_IbLb0EEEEDaSS_ST_EUlSS_E0_NS1_11comp_targetILNS1_3genE10ELNS1_11target_archE1200ELNS1_3gpuE4ELNS1_3repE0EEENS1_30default_config_static_selectorELNS0_4arch9wavefront6targetE1EEEvT1_,"axG",@progbits,_ZN7rocprim17ROCPRIM_400000_NS6detail17trampoline_kernelINS0_14default_configENS1_20scan_config_selectorIfEEZZNS1_9scan_implILNS1_25lookback_scan_determinismE0ELb0ELb0ES3_N6thrust23THRUST_200600_302600_NS6detail15normal_iteratorINS9_10device_ptrIfEEEENS9_16discard_iteratorINS9_11use_defaultEEEfNS9_4plusIvEEfEEDaPvRmT3_T4_T5_mT6_P12ihipStream_tbENKUlT_T0_E_clISt17integral_constantIbLb1EESW_IbLb0EEEEDaSS_ST_EUlSS_E0_NS1_11comp_targetILNS1_3genE10ELNS1_11target_archE1200ELNS1_3gpuE4ELNS1_3repE0EEENS1_30default_config_static_selectorELNS0_4arch9wavefront6targetE1EEEvT1_,comdat
.Lfunc_end5057:
	.size	_ZN7rocprim17ROCPRIM_400000_NS6detail17trampoline_kernelINS0_14default_configENS1_20scan_config_selectorIfEEZZNS1_9scan_implILNS1_25lookback_scan_determinismE0ELb0ELb0ES3_N6thrust23THRUST_200600_302600_NS6detail15normal_iteratorINS9_10device_ptrIfEEEENS9_16discard_iteratorINS9_11use_defaultEEEfNS9_4plusIvEEfEEDaPvRmT3_T4_T5_mT6_P12ihipStream_tbENKUlT_T0_E_clISt17integral_constantIbLb1EESW_IbLb0EEEEDaSS_ST_EUlSS_E0_NS1_11comp_targetILNS1_3genE10ELNS1_11target_archE1200ELNS1_3gpuE4ELNS1_3repE0EEENS1_30default_config_static_selectorELNS0_4arch9wavefront6targetE1EEEvT1_, .Lfunc_end5057-_ZN7rocprim17ROCPRIM_400000_NS6detail17trampoline_kernelINS0_14default_configENS1_20scan_config_selectorIfEEZZNS1_9scan_implILNS1_25lookback_scan_determinismE0ELb0ELb0ES3_N6thrust23THRUST_200600_302600_NS6detail15normal_iteratorINS9_10device_ptrIfEEEENS9_16discard_iteratorINS9_11use_defaultEEEfNS9_4plusIvEEfEEDaPvRmT3_T4_T5_mT6_P12ihipStream_tbENKUlT_T0_E_clISt17integral_constantIbLb1EESW_IbLb0EEEEDaSS_ST_EUlSS_E0_NS1_11comp_targetILNS1_3genE10ELNS1_11target_archE1200ELNS1_3gpuE4ELNS1_3repE0EEENS1_30default_config_static_selectorELNS0_4arch9wavefront6targetE1EEEvT1_
                                        ; -- End function
	.section	.AMDGPU.csdata,"",@progbits
; Kernel info:
; codeLenInByte = 0
; NumSgprs: 4
; NumVgprs: 0
; NumAgprs: 0
; TotalNumVgprs: 0
; ScratchSize: 0
; MemoryBound: 0
; FloatMode: 240
; IeeeMode: 1
; LDSByteSize: 0 bytes/workgroup (compile time only)
; SGPRBlocks: 0
; VGPRBlocks: 0
; NumSGPRsForWavesPerEU: 4
; NumVGPRsForWavesPerEU: 1
; AccumOffset: 4
; Occupancy: 8
; WaveLimiterHint : 0
; COMPUTE_PGM_RSRC2:SCRATCH_EN: 0
; COMPUTE_PGM_RSRC2:USER_SGPR: 6
; COMPUTE_PGM_RSRC2:TRAP_HANDLER: 0
; COMPUTE_PGM_RSRC2:TGID_X_EN: 1
; COMPUTE_PGM_RSRC2:TGID_Y_EN: 0
; COMPUTE_PGM_RSRC2:TGID_Z_EN: 0
; COMPUTE_PGM_RSRC2:TIDIG_COMP_CNT: 0
; COMPUTE_PGM_RSRC3_GFX90A:ACCUM_OFFSET: 0
; COMPUTE_PGM_RSRC3_GFX90A:TG_SPLIT: 0
	.section	.text._ZN7rocprim17ROCPRIM_400000_NS6detail17trampoline_kernelINS0_14default_configENS1_20scan_config_selectorIfEEZZNS1_9scan_implILNS1_25lookback_scan_determinismE0ELb0ELb0ES3_N6thrust23THRUST_200600_302600_NS6detail15normal_iteratorINS9_10device_ptrIfEEEENS9_16discard_iteratorINS9_11use_defaultEEEfNS9_4plusIvEEfEEDaPvRmT3_T4_T5_mT6_P12ihipStream_tbENKUlT_T0_E_clISt17integral_constantIbLb1EESW_IbLb0EEEEDaSS_ST_EUlSS_E0_NS1_11comp_targetILNS1_3genE9ELNS1_11target_archE1100ELNS1_3gpuE3ELNS1_3repE0EEENS1_30default_config_static_selectorELNS0_4arch9wavefront6targetE1EEEvT1_,"axG",@progbits,_ZN7rocprim17ROCPRIM_400000_NS6detail17trampoline_kernelINS0_14default_configENS1_20scan_config_selectorIfEEZZNS1_9scan_implILNS1_25lookback_scan_determinismE0ELb0ELb0ES3_N6thrust23THRUST_200600_302600_NS6detail15normal_iteratorINS9_10device_ptrIfEEEENS9_16discard_iteratorINS9_11use_defaultEEEfNS9_4plusIvEEfEEDaPvRmT3_T4_T5_mT6_P12ihipStream_tbENKUlT_T0_E_clISt17integral_constantIbLb1EESW_IbLb0EEEEDaSS_ST_EUlSS_E0_NS1_11comp_targetILNS1_3genE9ELNS1_11target_archE1100ELNS1_3gpuE3ELNS1_3repE0EEENS1_30default_config_static_selectorELNS0_4arch9wavefront6targetE1EEEvT1_,comdat
	.protected	_ZN7rocprim17ROCPRIM_400000_NS6detail17trampoline_kernelINS0_14default_configENS1_20scan_config_selectorIfEEZZNS1_9scan_implILNS1_25lookback_scan_determinismE0ELb0ELb0ES3_N6thrust23THRUST_200600_302600_NS6detail15normal_iteratorINS9_10device_ptrIfEEEENS9_16discard_iteratorINS9_11use_defaultEEEfNS9_4plusIvEEfEEDaPvRmT3_T4_T5_mT6_P12ihipStream_tbENKUlT_T0_E_clISt17integral_constantIbLb1EESW_IbLb0EEEEDaSS_ST_EUlSS_E0_NS1_11comp_targetILNS1_3genE9ELNS1_11target_archE1100ELNS1_3gpuE3ELNS1_3repE0EEENS1_30default_config_static_selectorELNS0_4arch9wavefront6targetE1EEEvT1_ ; -- Begin function _ZN7rocprim17ROCPRIM_400000_NS6detail17trampoline_kernelINS0_14default_configENS1_20scan_config_selectorIfEEZZNS1_9scan_implILNS1_25lookback_scan_determinismE0ELb0ELb0ES3_N6thrust23THRUST_200600_302600_NS6detail15normal_iteratorINS9_10device_ptrIfEEEENS9_16discard_iteratorINS9_11use_defaultEEEfNS9_4plusIvEEfEEDaPvRmT3_T4_T5_mT6_P12ihipStream_tbENKUlT_T0_E_clISt17integral_constantIbLb1EESW_IbLb0EEEEDaSS_ST_EUlSS_E0_NS1_11comp_targetILNS1_3genE9ELNS1_11target_archE1100ELNS1_3gpuE3ELNS1_3repE0EEENS1_30default_config_static_selectorELNS0_4arch9wavefront6targetE1EEEvT1_
	.globl	_ZN7rocprim17ROCPRIM_400000_NS6detail17trampoline_kernelINS0_14default_configENS1_20scan_config_selectorIfEEZZNS1_9scan_implILNS1_25lookback_scan_determinismE0ELb0ELb0ES3_N6thrust23THRUST_200600_302600_NS6detail15normal_iteratorINS9_10device_ptrIfEEEENS9_16discard_iteratorINS9_11use_defaultEEEfNS9_4plusIvEEfEEDaPvRmT3_T4_T5_mT6_P12ihipStream_tbENKUlT_T0_E_clISt17integral_constantIbLb1EESW_IbLb0EEEEDaSS_ST_EUlSS_E0_NS1_11comp_targetILNS1_3genE9ELNS1_11target_archE1100ELNS1_3gpuE3ELNS1_3repE0EEENS1_30default_config_static_selectorELNS0_4arch9wavefront6targetE1EEEvT1_
	.p2align	8
	.type	_ZN7rocprim17ROCPRIM_400000_NS6detail17trampoline_kernelINS0_14default_configENS1_20scan_config_selectorIfEEZZNS1_9scan_implILNS1_25lookback_scan_determinismE0ELb0ELb0ES3_N6thrust23THRUST_200600_302600_NS6detail15normal_iteratorINS9_10device_ptrIfEEEENS9_16discard_iteratorINS9_11use_defaultEEEfNS9_4plusIvEEfEEDaPvRmT3_T4_T5_mT6_P12ihipStream_tbENKUlT_T0_E_clISt17integral_constantIbLb1EESW_IbLb0EEEEDaSS_ST_EUlSS_E0_NS1_11comp_targetILNS1_3genE9ELNS1_11target_archE1100ELNS1_3gpuE3ELNS1_3repE0EEENS1_30default_config_static_selectorELNS0_4arch9wavefront6targetE1EEEvT1_,@function
_ZN7rocprim17ROCPRIM_400000_NS6detail17trampoline_kernelINS0_14default_configENS1_20scan_config_selectorIfEEZZNS1_9scan_implILNS1_25lookback_scan_determinismE0ELb0ELb0ES3_N6thrust23THRUST_200600_302600_NS6detail15normal_iteratorINS9_10device_ptrIfEEEENS9_16discard_iteratorINS9_11use_defaultEEEfNS9_4plusIvEEfEEDaPvRmT3_T4_T5_mT6_P12ihipStream_tbENKUlT_T0_E_clISt17integral_constantIbLb1EESW_IbLb0EEEEDaSS_ST_EUlSS_E0_NS1_11comp_targetILNS1_3genE9ELNS1_11target_archE1100ELNS1_3gpuE3ELNS1_3repE0EEENS1_30default_config_static_selectorELNS0_4arch9wavefront6targetE1EEEvT1_: ; @_ZN7rocprim17ROCPRIM_400000_NS6detail17trampoline_kernelINS0_14default_configENS1_20scan_config_selectorIfEEZZNS1_9scan_implILNS1_25lookback_scan_determinismE0ELb0ELb0ES3_N6thrust23THRUST_200600_302600_NS6detail15normal_iteratorINS9_10device_ptrIfEEEENS9_16discard_iteratorINS9_11use_defaultEEEfNS9_4plusIvEEfEEDaPvRmT3_T4_T5_mT6_P12ihipStream_tbENKUlT_T0_E_clISt17integral_constantIbLb1EESW_IbLb0EEEEDaSS_ST_EUlSS_E0_NS1_11comp_targetILNS1_3genE9ELNS1_11target_archE1100ELNS1_3gpuE3ELNS1_3repE0EEENS1_30default_config_static_selectorELNS0_4arch9wavefront6targetE1EEEvT1_
; %bb.0:
	.section	.rodata,"a",@progbits
	.p2align	6, 0x0
	.amdhsa_kernel _ZN7rocprim17ROCPRIM_400000_NS6detail17trampoline_kernelINS0_14default_configENS1_20scan_config_selectorIfEEZZNS1_9scan_implILNS1_25lookback_scan_determinismE0ELb0ELb0ES3_N6thrust23THRUST_200600_302600_NS6detail15normal_iteratorINS9_10device_ptrIfEEEENS9_16discard_iteratorINS9_11use_defaultEEEfNS9_4plusIvEEfEEDaPvRmT3_T4_T5_mT6_P12ihipStream_tbENKUlT_T0_E_clISt17integral_constantIbLb1EESW_IbLb0EEEEDaSS_ST_EUlSS_E0_NS1_11comp_targetILNS1_3genE9ELNS1_11target_archE1100ELNS1_3gpuE3ELNS1_3repE0EEENS1_30default_config_static_selectorELNS0_4arch9wavefront6targetE1EEEvT1_
		.amdhsa_group_segment_fixed_size 0
		.amdhsa_private_segment_fixed_size 0
		.amdhsa_kernarg_size 40
		.amdhsa_user_sgpr_count 6
		.amdhsa_user_sgpr_private_segment_buffer 1
		.amdhsa_user_sgpr_dispatch_ptr 0
		.amdhsa_user_sgpr_queue_ptr 0
		.amdhsa_user_sgpr_kernarg_segment_ptr 1
		.amdhsa_user_sgpr_dispatch_id 0
		.amdhsa_user_sgpr_flat_scratch_init 0
		.amdhsa_user_sgpr_kernarg_preload_length 0
		.amdhsa_user_sgpr_kernarg_preload_offset 0
		.amdhsa_user_sgpr_private_segment_size 0
		.amdhsa_uses_dynamic_stack 0
		.amdhsa_system_sgpr_private_segment_wavefront_offset 0
		.amdhsa_system_sgpr_workgroup_id_x 1
		.amdhsa_system_sgpr_workgroup_id_y 0
		.amdhsa_system_sgpr_workgroup_id_z 0
		.amdhsa_system_sgpr_workgroup_info 0
		.amdhsa_system_vgpr_workitem_id 0
		.amdhsa_next_free_vgpr 1
		.amdhsa_next_free_sgpr 0
		.amdhsa_accum_offset 4
		.amdhsa_reserve_vcc 0
		.amdhsa_reserve_flat_scratch 0
		.amdhsa_float_round_mode_32 0
		.amdhsa_float_round_mode_16_64 0
		.amdhsa_float_denorm_mode_32 3
		.amdhsa_float_denorm_mode_16_64 3
		.amdhsa_dx10_clamp 1
		.amdhsa_ieee_mode 1
		.amdhsa_fp16_overflow 0
		.amdhsa_tg_split 0
		.amdhsa_exception_fp_ieee_invalid_op 0
		.amdhsa_exception_fp_denorm_src 0
		.amdhsa_exception_fp_ieee_div_zero 0
		.amdhsa_exception_fp_ieee_overflow 0
		.amdhsa_exception_fp_ieee_underflow 0
		.amdhsa_exception_fp_ieee_inexact 0
		.amdhsa_exception_int_div_zero 0
	.end_amdhsa_kernel
	.section	.text._ZN7rocprim17ROCPRIM_400000_NS6detail17trampoline_kernelINS0_14default_configENS1_20scan_config_selectorIfEEZZNS1_9scan_implILNS1_25lookback_scan_determinismE0ELb0ELb0ES3_N6thrust23THRUST_200600_302600_NS6detail15normal_iteratorINS9_10device_ptrIfEEEENS9_16discard_iteratorINS9_11use_defaultEEEfNS9_4plusIvEEfEEDaPvRmT3_T4_T5_mT6_P12ihipStream_tbENKUlT_T0_E_clISt17integral_constantIbLb1EESW_IbLb0EEEEDaSS_ST_EUlSS_E0_NS1_11comp_targetILNS1_3genE9ELNS1_11target_archE1100ELNS1_3gpuE3ELNS1_3repE0EEENS1_30default_config_static_selectorELNS0_4arch9wavefront6targetE1EEEvT1_,"axG",@progbits,_ZN7rocprim17ROCPRIM_400000_NS6detail17trampoline_kernelINS0_14default_configENS1_20scan_config_selectorIfEEZZNS1_9scan_implILNS1_25lookback_scan_determinismE0ELb0ELb0ES3_N6thrust23THRUST_200600_302600_NS6detail15normal_iteratorINS9_10device_ptrIfEEEENS9_16discard_iteratorINS9_11use_defaultEEEfNS9_4plusIvEEfEEDaPvRmT3_T4_T5_mT6_P12ihipStream_tbENKUlT_T0_E_clISt17integral_constantIbLb1EESW_IbLb0EEEEDaSS_ST_EUlSS_E0_NS1_11comp_targetILNS1_3genE9ELNS1_11target_archE1100ELNS1_3gpuE3ELNS1_3repE0EEENS1_30default_config_static_selectorELNS0_4arch9wavefront6targetE1EEEvT1_,comdat
.Lfunc_end5058:
	.size	_ZN7rocprim17ROCPRIM_400000_NS6detail17trampoline_kernelINS0_14default_configENS1_20scan_config_selectorIfEEZZNS1_9scan_implILNS1_25lookback_scan_determinismE0ELb0ELb0ES3_N6thrust23THRUST_200600_302600_NS6detail15normal_iteratorINS9_10device_ptrIfEEEENS9_16discard_iteratorINS9_11use_defaultEEEfNS9_4plusIvEEfEEDaPvRmT3_T4_T5_mT6_P12ihipStream_tbENKUlT_T0_E_clISt17integral_constantIbLb1EESW_IbLb0EEEEDaSS_ST_EUlSS_E0_NS1_11comp_targetILNS1_3genE9ELNS1_11target_archE1100ELNS1_3gpuE3ELNS1_3repE0EEENS1_30default_config_static_selectorELNS0_4arch9wavefront6targetE1EEEvT1_, .Lfunc_end5058-_ZN7rocprim17ROCPRIM_400000_NS6detail17trampoline_kernelINS0_14default_configENS1_20scan_config_selectorIfEEZZNS1_9scan_implILNS1_25lookback_scan_determinismE0ELb0ELb0ES3_N6thrust23THRUST_200600_302600_NS6detail15normal_iteratorINS9_10device_ptrIfEEEENS9_16discard_iteratorINS9_11use_defaultEEEfNS9_4plusIvEEfEEDaPvRmT3_T4_T5_mT6_P12ihipStream_tbENKUlT_T0_E_clISt17integral_constantIbLb1EESW_IbLb0EEEEDaSS_ST_EUlSS_E0_NS1_11comp_targetILNS1_3genE9ELNS1_11target_archE1100ELNS1_3gpuE3ELNS1_3repE0EEENS1_30default_config_static_selectorELNS0_4arch9wavefront6targetE1EEEvT1_
                                        ; -- End function
	.section	.AMDGPU.csdata,"",@progbits
; Kernel info:
; codeLenInByte = 0
; NumSgprs: 4
; NumVgprs: 0
; NumAgprs: 0
; TotalNumVgprs: 0
; ScratchSize: 0
; MemoryBound: 0
; FloatMode: 240
; IeeeMode: 1
; LDSByteSize: 0 bytes/workgroup (compile time only)
; SGPRBlocks: 0
; VGPRBlocks: 0
; NumSGPRsForWavesPerEU: 4
; NumVGPRsForWavesPerEU: 1
; AccumOffset: 4
; Occupancy: 8
; WaveLimiterHint : 0
; COMPUTE_PGM_RSRC2:SCRATCH_EN: 0
; COMPUTE_PGM_RSRC2:USER_SGPR: 6
; COMPUTE_PGM_RSRC2:TRAP_HANDLER: 0
; COMPUTE_PGM_RSRC2:TGID_X_EN: 1
; COMPUTE_PGM_RSRC2:TGID_Y_EN: 0
; COMPUTE_PGM_RSRC2:TGID_Z_EN: 0
; COMPUTE_PGM_RSRC2:TIDIG_COMP_CNT: 0
; COMPUTE_PGM_RSRC3_GFX90A:ACCUM_OFFSET: 0
; COMPUTE_PGM_RSRC3_GFX90A:TG_SPLIT: 0
	.section	.text._ZN7rocprim17ROCPRIM_400000_NS6detail17trampoline_kernelINS0_14default_configENS1_20scan_config_selectorIfEEZZNS1_9scan_implILNS1_25lookback_scan_determinismE0ELb0ELb0ES3_N6thrust23THRUST_200600_302600_NS6detail15normal_iteratorINS9_10device_ptrIfEEEENS9_16discard_iteratorINS9_11use_defaultEEEfNS9_4plusIvEEfEEDaPvRmT3_T4_T5_mT6_P12ihipStream_tbENKUlT_T0_E_clISt17integral_constantIbLb1EESW_IbLb0EEEEDaSS_ST_EUlSS_E0_NS1_11comp_targetILNS1_3genE8ELNS1_11target_archE1030ELNS1_3gpuE2ELNS1_3repE0EEENS1_30default_config_static_selectorELNS0_4arch9wavefront6targetE1EEEvT1_,"axG",@progbits,_ZN7rocprim17ROCPRIM_400000_NS6detail17trampoline_kernelINS0_14default_configENS1_20scan_config_selectorIfEEZZNS1_9scan_implILNS1_25lookback_scan_determinismE0ELb0ELb0ES3_N6thrust23THRUST_200600_302600_NS6detail15normal_iteratorINS9_10device_ptrIfEEEENS9_16discard_iteratorINS9_11use_defaultEEEfNS9_4plusIvEEfEEDaPvRmT3_T4_T5_mT6_P12ihipStream_tbENKUlT_T0_E_clISt17integral_constantIbLb1EESW_IbLb0EEEEDaSS_ST_EUlSS_E0_NS1_11comp_targetILNS1_3genE8ELNS1_11target_archE1030ELNS1_3gpuE2ELNS1_3repE0EEENS1_30default_config_static_selectorELNS0_4arch9wavefront6targetE1EEEvT1_,comdat
	.protected	_ZN7rocprim17ROCPRIM_400000_NS6detail17trampoline_kernelINS0_14default_configENS1_20scan_config_selectorIfEEZZNS1_9scan_implILNS1_25lookback_scan_determinismE0ELb0ELb0ES3_N6thrust23THRUST_200600_302600_NS6detail15normal_iteratorINS9_10device_ptrIfEEEENS9_16discard_iteratorINS9_11use_defaultEEEfNS9_4plusIvEEfEEDaPvRmT3_T4_T5_mT6_P12ihipStream_tbENKUlT_T0_E_clISt17integral_constantIbLb1EESW_IbLb0EEEEDaSS_ST_EUlSS_E0_NS1_11comp_targetILNS1_3genE8ELNS1_11target_archE1030ELNS1_3gpuE2ELNS1_3repE0EEENS1_30default_config_static_selectorELNS0_4arch9wavefront6targetE1EEEvT1_ ; -- Begin function _ZN7rocprim17ROCPRIM_400000_NS6detail17trampoline_kernelINS0_14default_configENS1_20scan_config_selectorIfEEZZNS1_9scan_implILNS1_25lookback_scan_determinismE0ELb0ELb0ES3_N6thrust23THRUST_200600_302600_NS6detail15normal_iteratorINS9_10device_ptrIfEEEENS9_16discard_iteratorINS9_11use_defaultEEEfNS9_4plusIvEEfEEDaPvRmT3_T4_T5_mT6_P12ihipStream_tbENKUlT_T0_E_clISt17integral_constantIbLb1EESW_IbLb0EEEEDaSS_ST_EUlSS_E0_NS1_11comp_targetILNS1_3genE8ELNS1_11target_archE1030ELNS1_3gpuE2ELNS1_3repE0EEENS1_30default_config_static_selectorELNS0_4arch9wavefront6targetE1EEEvT1_
	.globl	_ZN7rocprim17ROCPRIM_400000_NS6detail17trampoline_kernelINS0_14default_configENS1_20scan_config_selectorIfEEZZNS1_9scan_implILNS1_25lookback_scan_determinismE0ELb0ELb0ES3_N6thrust23THRUST_200600_302600_NS6detail15normal_iteratorINS9_10device_ptrIfEEEENS9_16discard_iteratorINS9_11use_defaultEEEfNS9_4plusIvEEfEEDaPvRmT3_T4_T5_mT6_P12ihipStream_tbENKUlT_T0_E_clISt17integral_constantIbLb1EESW_IbLb0EEEEDaSS_ST_EUlSS_E0_NS1_11comp_targetILNS1_3genE8ELNS1_11target_archE1030ELNS1_3gpuE2ELNS1_3repE0EEENS1_30default_config_static_selectorELNS0_4arch9wavefront6targetE1EEEvT1_
	.p2align	8
	.type	_ZN7rocprim17ROCPRIM_400000_NS6detail17trampoline_kernelINS0_14default_configENS1_20scan_config_selectorIfEEZZNS1_9scan_implILNS1_25lookback_scan_determinismE0ELb0ELb0ES3_N6thrust23THRUST_200600_302600_NS6detail15normal_iteratorINS9_10device_ptrIfEEEENS9_16discard_iteratorINS9_11use_defaultEEEfNS9_4plusIvEEfEEDaPvRmT3_T4_T5_mT6_P12ihipStream_tbENKUlT_T0_E_clISt17integral_constantIbLb1EESW_IbLb0EEEEDaSS_ST_EUlSS_E0_NS1_11comp_targetILNS1_3genE8ELNS1_11target_archE1030ELNS1_3gpuE2ELNS1_3repE0EEENS1_30default_config_static_selectorELNS0_4arch9wavefront6targetE1EEEvT1_,@function
_ZN7rocprim17ROCPRIM_400000_NS6detail17trampoline_kernelINS0_14default_configENS1_20scan_config_selectorIfEEZZNS1_9scan_implILNS1_25lookback_scan_determinismE0ELb0ELb0ES3_N6thrust23THRUST_200600_302600_NS6detail15normal_iteratorINS9_10device_ptrIfEEEENS9_16discard_iteratorINS9_11use_defaultEEEfNS9_4plusIvEEfEEDaPvRmT3_T4_T5_mT6_P12ihipStream_tbENKUlT_T0_E_clISt17integral_constantIbLb1EESW_IbLb0EEEEDaSS_ST_EUlSS_E0_NS1_11comp_targetILNS1_3genE8ELNS1_11target_archE1030ELNS1_3gpuE2ELNS1_3repE0EEENS1_30default_config_static_selectorELNS0_4arch9wavefront6targetE1EEEvT1_: ; @_ZN7rocprim17ROCPRIM_400000_NS6detail17trampoline_kernelINS0_14default_configENS1_20scan_config_selectorIfEEZZNS1_9scan_implILNS1_25lookback_scan_determinismE0ELb0ELb0ES3_N6thrust23THRUST_200600_302600_NS6detail15normal_iteratorINS9_10device_ptrIfEEEENS9_16discard_iteratorINS9_11use_defaultEEEfNS9_4plusIvEEfEEDaPvRmT3_T4_T5_mT6_P12ihipStream_tbENKUlT_T0_E_clISt17integral_constantIbLb1EESW_IbLb0EEEEDaSS_ST_EUlSS_E0_NS1_11comp_targetILNS1_3genE8ELNS1_11target_archE1030ELNS1_3gpuE2ELNS1_3repE0EEENS1_30default_config_static_selectorELNS0_4arch9wavefront6targetE1EEEvT1_
; %bb.0:
	.section	.rodata,"a",@progbits
	.p2align	6, 0x0
	.amdhsa_kernel _ZN7rocprim17ROCPRIM_400000_NS6detail17trampoline_kernelINS0_14default_configENS1_20scan_config_selectorIfEEZZNS1_9scan_implILNS1_25lookback_scan_determinismE0ELb0ELb0ES3_N6thrust23THRUST_200600_302600_NS6detail15normal_iteratorINS9_10device_ptrIfEEEENS9_16discard_iteratorINS9_11use_defaultEEEfNS9_4plusIvEEfEEDaPvRmT3_T4_T5_mT6_P12ihipStream_tbENKUlT_T0_E_clISt17integral_constantIbLb1EESW_IbLb0EEEEDaSS_ST_EUlSS_E0_NS1_11comp_targetILNS1_3genE8ELNS1_11target_archE1030ELNS1_3gpuE2ELNS1_3repE0EEENS1_30default_config_static_selectorELNS0_4arch9wavefront6targetE1EEEvT1_
		.amdhsa_group_segment_fixed_size 0
		.amdhsa_private_segment_fixed_size 0
		.amdhsa_kernarg_size 40
		.amdhsa_user_sgpr_count 6
		.amdhsa_user_sgpr_private_segment_buffer 1
		.amdhsa_user_sgpr_dispatch_ptr 0
		.amdhsa_user_sgpr_queue_ptr 0
		.amdhsa_user_sgpr_kernarg_segment_ptr 1
		.amdhsa_user_sgpr_dispatch_id 0
		.amdhsa_user_sgpr_flat_scratch_init 0
		.amdhsa_user_sgpr_kernarg_preload_length 0
		.amdhsa_user_sgpr_kernarg_preload_offset 0
		.amdhsa_user_sgpr_private_segment_size 0
		.amdhsa_uses_dynamic_stack 0
		.amdhsa_system_sgpr_private_segment_wavefront_offset 0
		.amdhsa_system_sgpr_workgroup_id_x 1
		.amdhsa_system_sgpr_workgroup_id_y 0
		.amdhsa_system_sgpr_workgroup_id_z 0
		.amdhsa_system_sgpr_workgroup_info 0
		.amdhsa_system_vgpr_workitem_id 0
		.amdhsa_next_free_vgpr 1
		.amdhsa_next_free_sgpr 0
		.amdhsa_accum_offset 4
		.amdhsa_reserve_vcc 0
		.amdhsa_reserve_flat_scratch 0
		.amdhsa_float_round_mode_32 0
		.amdhsa_float_round_mode_16_64 0
		.amdhsa_float_denorm_mode_32 3
		.amdhsa_float_denorm_mode_16_64 3
		.amdhsa_dx10_clamp 1
		.amdhsa_ieee_mode 1
		.amdhsa_fp16_overflow 0
		.amdhsa_tg_split 0
		.amdhsa_exception_fp_ieee_invalid_op 0
		.amdhsa_exception_fp_denorm_src 0
		.amdhsa_exception_fp_ieee_div_zero 0
		.amdhsa_exception_fp_ieee_overflow 0
		.amdhsa_exception_fp_ieee_underflow 0
		.amdhsa_exception_fp_ieee_inexact 0
		.amdhsa_exception_int_div_zero 0
	.end_amdhsa_kernel
	.section	.text._ZN7rocprim17ROCPRIM_400000_NS6detail17trampoline_kernelINS0_14default_configENS1_20scan_config_selectorIfEEZZNS1_9scan_implILNS1_25lookback_scan_determinismE0ELb0ELb0ES3_N6thrust23THRUST_200600_302600_NS6detail15normal_iteratorINS9_10device_ptrIfEEEENS9_16discard_iteratorINS9_11use_defaultEEEfNS9_4plusIvEEfEEDaPvRmT3_T4_T5_mT6_P12ihipStream_tbENKUlT_T0_E_clISt17integral_constantIbLb1EESW_IbLb0EEEEDaSS_ST_EUlSS_E0_NS1_11comp_targetILNS1_3genE8ELNS1_11target_archE1030ELNS1_3gpuE2ELNS1_3repE0EEENS1_30default_config_static_selectorELNS0_4arch9wavefront6targetE1EEEvT1_,"axG",@progbits,_ZN7rocprim17ROCPRIM_400000_NS6detail17trampoline_kernelINS0_14default_configENS1_20scan_config_selectorIfEEZZNS1_9scan_implILNS1_25lookback_scan_determinismE0ELb0ELb0ES3_N6thrust23THRUST_200600_302600_NS6detail15normal_iteratorINS9_10device_ptrIfEEEENS9_16discard_iteratorINS9_11use_defaultEEEfNS9_4plusIvEEfEEDaPvRmT3_T4_T5_mT6_P12ihipStream_tbENKUlT_T0_E_clISt17integral_constantIbLb1EESW_IbLb0EEEEDaSS_ST_EUlSS_E0_NS1_11comp_targetILNS1_3genE8ELNS1_11target_archE1030ELNS1_3gpuE2ELNS1_3repE0EEENS1_30default_config_static_selectorELNS0_4arch9wavefront6targetE1EEEvT1_,comdat
.Lfunc_end5059:
	.size	_ZN7rocprim17ROCPRIM_400000_NS6detail17trampoline_kernelINS0_14default_configENS1_20scan_config_selectorIfEEZZNS1_9scan_implILNS1_25lookback_scan_determinismE0ELb0ELb0ES3_N6thrust23THRUST_200600_302600_NS6detail15normal_iteratorINS9_10device_ptrIfEEEENS9_16discard_iteratorINS9_11use_defaultEEEfNS9_4plusIvEEfEEDaPvRmT3_T4_T5_mT6_P12ihipStream_tbENKUlT_T0_E_clISt17integral_constantIbLb1EESW_IbLb0EEEEDaSS_ST_EUlSS_E0_NS1_11comp_targetILNS1_3genE8ELNS1_11target_archE1030ELNS1_3gpuE2ELNS1_3repE0EEENS1_30default_config_static_selectorELNS0_4arch9wavefront6targetE1EEEvT1_, .Lfunc_end5059-_ZN7rocprim17ROCPRIM_400000_NS6detail17trampoline_kernelINS0_14default_configENS1_20scan_config_selectorIfEEZZNS1_9scan_implILNS1_25lookback_scan_determinismE0ELb0ELb0ES3_N6thrust23THRUST_200600_302600_NS6detail15normal_iteratorINS9_10device_ptrIfEEEENS9_16discard_iteratorINS9_11use_defaultEEEfNS9_4plusIvEEfEEDaPvRmT3_T4_T5_mT6_P12ihipStream_tbENKUlT_T0_E_clISt17integral_constantIbLb1EESW_IbLb0EEEEDaSS_ST_EUlSS_E0_NS1_11comp_targetILNS1_3genE8ELNS1_11target_archE1030ELNS1_3gpuE2ELNS1_3repE0EEENS1_30default_config_static_selectorELNS0_4arch9wavefront6targetE1EEEvT1_
                                        ; -- End function
	.section	.AMDGPU.csdata,"",@progbits
; Kernel info:
; codeLenInByte = 0
; NumSgprs: 4
; NumVgprs: 0
; NumAgprs: 0
; TotalNumVgprs: 0
; ScratchSize: 0
; MemoryBound: 0
; FloatMode: 240
; IeeeMode: 1
; LDSByteSize: 0 bytes/workgroup (compile time only)
; SGPRBlocks: 0
; VGPRBlocks: 0
; NumSGPRsForWavesPerEU: 4
; NumVGPRsForWavesPerEU: 1
; AccumOffset: 4
; Occupancy: 8
; WaveLimiterHint : 0
; COMPUTE_PGM_RSRC2:SCRATCH_EN: 0
; COMPUTE_PGM_RSRC2:USER_SGPR: 6
; COMPUTE_PGM_RSRC2:TRAP_HANDLER: 0
; COMPUTE_PGM_RSRC2:TGID_X_EN: 1
; COMPUTE_PGM_RSRC2:TGID_Y_EN: 0
; COMPUTE_PGM_RSRC2:TGID_Z_EN: 0
; COMPUTE_PGM_RSRC2:TIDIG_COMP_CNT: 0
; COMPUTE_PGM_RSRC3_GFX90A:ACCUM_OFFSET: 0
; COMPUTE_PGM_RSRC3_GFX90A:TG_SPLIT: 0
	.section	.text._ZN7rocprim17ROCPRIM_400000_NS6detail17trampoline_kernelINS0_14default_configENS1_20scan_config_selectorIfEEZZNS1_9scan_implILNS1_25lookback_scan_determinismE0ELb0ELb0ES3_N6thrust23THRUST_200600_302600_NS6detail15normal_iteratorINS9_10device_ptrIfEEEENS9_16discard_iteratorINS9_11use_defaultEEEfNS9_4plusIvEEfEEDaPvRmT3_T4_T5_mT6_P12ihipStream_tbENKUlT_T0_E_clISt17integral_constantIbLb0EESW_IbLb1EEEEDaSS_ST_EUlSS_E_NS1_11comp_targetILNS1_3genE0ELNS1_11target_archE4294967295ELNS1_3gpuE0ELNS1_3repE0EEENS1_30default_config_static_selectorELNS0_4arch9wavefront6targetE1EEEvT1_,"axG",@progbits,_ZN7rocprim17ROCPRIM_400000_NS6detail17trampoline_kernelINS0_14default_configENS1_20scan_config_selectorIfEEZZNS1_9scan_implILNS1_25lookback_scan_determinismE0ELb0ELb0ES3_N6thrust23THRUST_200600_302600_NS6detail15normal_iteratorINS9_10device_ptrIfEEEENS9_16discard_iteratorINS9_11use_defaultEEEfNS9_4plusIvEEfEEDaPvRmT3_T4_T5_mT6_P12ihipStream_tbENKUlT_T0_E_clISt17integral_constantIbLb0EESW_IbLb1EEEEDaSS_ST_EUlSS_E_NS1_11comp_targetILNS1_3genE0ELNS1_11target_archE4294967295ELNS1_3gpuE0ELNS1_3repE0EEENS1_30default_config_static_selectorELNS0_4arch9wavefront6targetE1EEEvT1_,comdat
	.protected	_ZN7rocprim17ROCPRIM_400000_NS6detail17trampoline_kernelINS0_14default_configENS1_20scan_config_selectorIfEEZZNS1_9scan_implILNS1_25lookback_scan_determinismE0ELb0ELb0ES3_N6thrust23THRUST_200600_302600_NS6detail15normal_iteratorINS9_10device_ptrIfEEEENS9_16discard_iteratorINS9_11use_defaultEEEfNS9_4plusIvEEfEEDaPvRmT3_T4_T5_mT6_P12ihipStream_tbENKUlT_T0_E_clISt17integral_constantIbLb0EESW_IbLb1EEEEDaSS_ST_EUlSS_E_NS1_11comp_targetILNS1_3genE0ELNS1_11target_archE4294967295ELNS1_3gpuE0ELNS1_3repE0EEENS1_30default_config_static_selectorELNS0_4arch9wavefront6targetE1EEEvT1_ ; -- Begin function _ZN7rocprim17ROCPRIM_400000_NS6detail17trampoline_kernelINS0_14default_configENS1_20scan_config_selectorIfEEZZNS1_9scan_implILNS1_25lookback_scan_determinismE0ELb0ELb0ES3_N6thrust23THRUST_200600_302600_NS6detail15normal_iteratorINS9_10device_ptrIfEEEENS9_16discard_iteratorINS9_11use_defaultEEEfNS9_4plusIvEEfEEDaPvRmT3_T4_T5_mT6_P12ihipStream_tbENKUlT_T0_E_clISt17integral_constantIbLb0EESW_IbLb1EEEEDaSS_ST_EUlSS_E_NS1_11comp_targetILNS1_3genE0ELNS1_11target_archE4294967295ELNS1_3gpuE0ELNS1_3repE0EEENS1_30default_config_static_selectorELNS0_4arch9wavefront6targetE1EEEvT1_
	.globl	_ZN7rocprim17ROCPRIM_400000_NS6detail17trampoline_kernelINS0_14default_configENS1_20scan_config_selectorIfEEZZNS1_9scan_implILNS1_25lookback_scan_determinismE0ELb0ELb0ES3_N6thrust23THRUST_200600_302600_NS6detail15normal_iteratorINS9_10device_ptrIfEEEENS9_16discard_iteratorINS9_11use_defaultEEEfNS9_4plusIvEEfEEDaPvRmT3_T4_T5_mT6_P12ihipStream_tbENKUlT_T0_E_clISt17integral_constantIbLb0EESW_IbLb1EEEEDaSS_ST_EUlSS_E_NS1_11comp_targetILNS1_3genE0ELNS1_11target_archE4294967295ELNS1_3gpuE0ELNS1_3repE0EEENS1_30default_config_static_selectorELNS0_4arch9wavefront6targetE1EEEvT1_
	.p2align	8
	.type	_ZN7rocprim17ROCPRIM_400000_NS6detail17trampoline_kernelINS0_14default_configENS1_20scan_config_selectorIfEEZZNS1_9scan_implILNS1_25lookback_scan_determinismE0ELb0ELb0ES3_N6thrust23THRUST_200600_302600_NS6detail15normal_iteratorINS9_10device_ptrIfEEEENS9_16discard_iteratorINS9_11use_defaultEEEfNS9_4plusIvEEfEEDaPvRmT3_T4_T5_mT6_P12ihipStream_tbENKUlT_T0_E_clISt17integral_constantIbLb0EESW_IbLb1EEEEDaSS_ST_EUlSS_E_NS1_11comp_targetILNS1_3genE0ELNS1_11target_archE4294967295ELNS1_3gpuE0ELNS1_3repE0EEENS1_30default_config_static_selectorELNS0_4arch9wavefront6targetE1EEEvT1_,@function
_ZN7rocprim17ROCPRIM_400000_NS6detail17trampoline_kernelINS0_14default_configENS1_20scan_config_selectorIfEEZZNS1_9scan_implILNS1_25lookback_scan_determinismE0ELb0ELb0ES3_N6thrust23THRUST_200600_302600_NS6detail15normal_iteratorINS9_10device_ptrIfEEEENS9_16discard_iteratorINS9_11use_defaultEEEfNS9_4plusIvEEfEEDaPvRmT3_T4_T5_mT6_P12ihipStream_tbENKUlT_T0_E_clISt17integral_constantIbLb0EESW_IbLb1EEEEDaSS_ST_EUlSS_E_NS1_11comp_targetILNS1_3genE0ELNS1_11target_archE4294967295ELNS1_3gpuE0ELNS1_3repE0EEENS1_30default_config_static_selectorELNS0_4arch9wavefront6targetE1EEEvT1_: ; @_ZN7rocprim17ROCPRIM_400000_NS6detail17trampoline_kernelINS0_14default_configENS1_20scan_config_selectorIfEEZZNS1_9scan_implILNS1_25lookback_scan_determinismE0ELb0ELb0ES3_N6thrust23THRUST_200600_302600_NS6detail15normal_iteratorINS9_10device_ptrIfEEEENS9_16discard_iteratorINS9_11use_defaultEEEfNS9_4plusIvEEfEEDaPvRmT3_T4_T5_mT6_P12ihipStream_tbENKUlT_T0_E_clISt17integral_constantIbLb0EESW_IbLb1EEEEDaSS_ST_EUlSS_E_NS1_11comp_targetILNS1_3genE0ELNS1_11target_archE4294967295ELNS1_3gpuE0ELNS1_3repE0EEENS1_30default_config_static_selectorELNS0_4arch9wavefront6targetE1EEEvT1_
; %bb.0:
	.section	.rodata,"a",@progbits
	.p2align	6, 0x0
	.amdhsa_kernel _ZN7rocprim17ROCPRIM_400000_NS6detail17trampoline_kernelINS0_14default_configENS1_20scan_config_selectorIfEEZZNS1_9scan_implILNS1_25lookback_scan_determinismE0ELb0ELb0ES3_N6thrust23THRUST_200600_302600_NS6detail15normal_iteratorINS9_10device_ptrIfEEEENS9_16discard_iteratorINS9_11use_defaultEEEfNS9_4plusIvEEfEEDaPvRmT3_T4_T5_mT6_P12ihipStream_tbENKUlT_T0_E_clISt17integral_constantIbLb0EESW_IbLb1EEEEDaSS_ST_EUlSS_E_NS1_11comp_targetILNS1_3genE0ELNS1_11target_archE4294967295ELNS1_3gpuE0ELNS1_3repE0EEENS1_30default_config_static_selectorELNS0_4arch9wavefront6targetE1EEEvT1_
		.amdhsa_group_segment_fixed_size 0
		.amdhsa_private_segment_fixed_size 0
		.amdhsa_kernarg_size 104
		.amdhsa_user_sgpr_count 6
		.amdhsa_user_sgpr_private_segment_buffer 1
		.amdhsa_user_sgpr_dispatch_ptr 0
		.amdhsa_user_sgpr_queue_ptr 0
		.amdhsa_user_sgpr_kernarg_segment_ptr 1
		.amdhsa_user_sgpr_dispatch_id 0
		.amdhsa_user_sgpr_flat_scratch_init 0
		.amdhsa_user_sgpr_kernarg_preload_length 0
		.amdhsa_user_sgpr_kernarg_preload_offset 0
		.amdhsa_user_sgpr_private_segment_size 0
		.amdhsa_uses_dynamic_stack 0
		.amdhsa_system_sgpr_private_segment_wavefront_offset 0
		.amdhsa_system_sgpr_workgroup_id_x 1
		.amdhsa_system_sgpr_workgroup_id_y 0
		.amdhsa_system_sgpr_workgroup_id_z 0
		.amdhsa_system_sgpr_workgroup_info 0
		.amdhsa_system_vgpr_workitem_id 0
		.amdhsa_next_free_vgpr 1
		.amdhsa_next_free_sgpr 0
		.amdhsa_accum_offset 4
		.amdhsa_reserve_vcc 0
		.amdhsa_reserve_flat_scratch 0
		.amdhsa_float_round_mode_32 0
		.amdhsa_float_round_mode_16_64 0
		.amdhsa_float_denorm_mode_32 3
		.amdhsa_float_denorm_mode_16_64 3
		.amdhsa_dx10_clamp 1
		.amdhsa_ieee_mode 1
		.amdhsa_fp16_overflow 0
		.amdhsa_tg_split 0
		.amdhsa_exception_fp_ieee_invalid_op 0
		.amdhsa_exception_fp_denorm_src 0
		.amdhsa_exception_fp_ieee_div_zero 0
		.amdhsa_exception_fp_ieee_overflow 0
		.amdhsa_exception_fp_ieee_underflow 0
		.amdhsa_exception_fp_ieee_inexact 0
		.amdhsa_exception_int_div_zero 0
	.end_amdhsa_kernel
	.section	.text._ZN7rocprim17ROCPRIM_400000_NS6detail17trampoline_kernelINS0_14default_configENS1_20scan_config_selectorIfEEZZNS1_9scan_implILNS1_25lookback_scan_determinismE0ELb0ELb0ES3_N6thrust23THRUST_200600_302600_NS6detail15normal_iteratorINS9_10device_ptrIfEEEENS9_16discard_iteratorINS9_11use_defaultEEEfNS9_4plusIvEEfEEDaPvRmT3_T4_T5_mT6_P12ihipStream_tbENKUlT_T0_E_clISt17integral_constantIbLb0EESW_IbLb1EEEEDaSS_ST_EUlSS_E_NS1_11comp_targetILNS1_3genE0ELNS1_11target_archE4294967295ELNS1_3gpuE0ELNS1_3repE0EEENS1_30default_config_static_selectorELNS0_4arch9wavefront6targetE1EEEvT1_,"axG",@progbits,_ZN7rocprim17ROCPRIM_400000_NS6detail17trampoline_kernelINS0_14default_configENS1_20scan_config_selectorIfEEZZNS1_9scan_implILNS1_25lookback_scan_determinismE0ELb0ELb0ES3_N6thrust23THRUST_200600_302600_NS6detail15normal_iteratorINS9_10device_ptrIfEEEENS9_16discard_iteratorINS9_11use_defaultEEEfNS9_4plusIvEEfEEDaPvRmT3_T4_T5_mT6_P12ihipStream_tbENKUlT_T0_E_clISt17integral_constantIbLb0EESW_IbLb1EEEEDaSS_ST_EUlSS_E_NS1_11comp_targetILNS1_3genE0ELNS1_11target_archE4294967295ELNS1_3gpuE0ELNS1_3repE0EEENS1_30default_config_static_selectorELNS0_4arch9wavefront6targetE1EEEvT1_,comdat
.Lfunc_end5060:
	.size	_ZN7rocprim17ROCPRIM_400000_NS6detail17trampoline_kernelINS0_14default_configENS1_20scan_config_selectorIfEEZZNS1_9scan_implILNS1_25lookback_scan_determinismE0ELb0ELb0ES3_N6thrust23THRUST_200600_302600_NS6detail15normal_iteratorINS9_10device_ptrIfEEEENS9_16discard_iteratorINS9_11use_defaultEEEfNS9_4plusIvEEfEEDaPvRmT3_T4_T5_mT6_P12ihipStream_tbENKUlT_T0_E_clISt17integral_constantIbLb0EESW_IbLb1EEEEDaSS_ST_EUlSS_E_NS1_11comp_targetILNS1_3genE0ELNS1_11target_archE4294967295ELNS1_3gpuE0ELNS1_3repE0EEENS1_30default_config_static_selectorELNS0_4arch9wavefront6targetE1EEEvT1_, .Lfunc_end5060-_ZN7rocprim17ROCPRIM_400000_NS6detail17trampoline_kernelINS0_14default_configENS1_20scan_config_selectorIfEEZZNS1_9scan_implILNS1_25lookback_scan_determinismE0ELb0ELb0ES3_N6thrust23THRUST_200600_302600_NS6detail15normal_iteratorINS9_10device_ptrIfEEEENS9_16discard_iteratorINS9_11use_defaultEEEfNS9_4plusIvEEfEEDaPvRmT3_T4_T5_mT6_P12ihipStream_tbENKUlT_T0_E_clISt17integral_constantIbLb0EESW_IbLb1EEEEDaSS_ST_EUlSS_E_NS1_11comp_targetILNS1_3genE0ELNS1_11target_archE4294967295ELNS1_3gpuE0ELNS1_3repE0EEENS1_30default_config_static_selectorELNS0_4arch9wavefront6targetE1EEEvT1_
                                        ; -- End function
	.section	.AMDGPU.csdata,"",@progbits
; Kernel info:
; codeLenInByte = 0
; NumSgprs: 4
; NumVgprs: 0
; NumAgprs: 0
; TotalNumVgprs: 0
; ScratchSize: 0
; MemoryBound: 0
; FloatMode: 240
; IeeeMode: 1
; LDSByteSize: 0 bytes/workgroup (compile time only)
; SGPRBlocks: 0
; VGPRBlocks: 0
; NumSGPRsForWavesPerEU: 4
; NumVGPRsForWavesPerEU: 1
; AccumOffset: 4
; Occupancy: 8
; WaveLimiterHint : 0
; COMPUTE_PGM_RSRC2:SCRATCH_EN: 0
; COMPUTE_PGM_RSRC2:USER_SGPR: 6
; COMPUTE_PGM_RSRC2:TRAP_HANDLER: 0
; COMPUTE_PGM_RSRC2:TGID_X_EN: 1
; COMPUTE_PGM_RSRC2:TGID_Y_EN: 0
; COMPUTE_PGM_RSRC2:TGID_Z_EN: 0
; COMPUTE_PGM_RSRC2:TIDIG_COMP_CNT: 0
; COMPUTE_PGM_RSRC3_GFX90A:ACCUM_OFFSET: 0
; COMPUTE_PGM_RSRC3_GFX90A:TG_SPLIT: 0
	.section	.text._ZN7rocprim17ROCPRIM_400000_NS6detail17trampoline_kernelINS0_14default_configENS1_20scan_config_selectorIfEEZZNS1_9scan_implILNS1_25lookback_scan_determinismE0ELb0ELb0ES3_N6thrust23THRUST_200600_302600_NS6detail15normal_iteratorINS9_10device_ptrIfEEEENS9_16discard_iteratorINS9_11use_defaultEEEfNS9_4plusIvEEfEEDaPvRmT3_T4_T5_mT6_P12ihipStream_tbENKUlT_T0_E_clISt17integral_constantIbLb0EESW_IbLb1EEEEDaSS_ST_EUlSS_E_NS1_11comp_targetILNS1_3genE5ELNS1_11target_archE942ELNS1_3gpuE9ELNS1_3repE0EEENS1_30default_config_static_selectorELNS0_4arch9wavefront6targetE1EEEvT1_,"axG",@progbits,_ZN7rocprim17ROCPRIM_400000_NS6detail17trampoline_kernelINS0_14default_configENS1_20scan_config_selectorIfEEZZNS1_9scan_implILNS1_25lookback_scan_determinismE0ELb0ELb0ES3_N6thrust23THRUST_200600_302600_NS6detail15normal_iteratorINS9_10device_ptrIfEEEENS9_16discard_iteratorINS9_11use_defaultEEEfNS9_4plusIvEEfEEDaPvRmT3_T4_T5_mT6_P12ihipStream_tbENKUlT_T0_E_clISt17integral_constantIbLb0EESW_IbLb1EEEEDaSS_ST_EUlSS_E_NS1_11comp_targetILNS1_3genE5ELNS1_11target_archE942ELNS1_3gpuE9ELNS1_3repE0EEENS1_30default_config_static_selectorELNS0_4arch9wavefront6targetE1EEEvT1_,comdat
	.protected	_ZN7rocprim17ROCPRIM_400000_NS6detail17trampoline_kernelINS0_14default_configENS1_20scan_config_selectorIfEEZZNS1_9scan_implILNS1_25lookback_scan_determinismE0ELb0ELb0ES3_N6thrust23THRUST_200600_302600_NS6detail15normal_iteratorINS9_10device_ptrIfEEEENS9_16discard_iteratorINS9_11use_defaultEEEfNS9_4plusIvEEfEEDaPvRmT3_T4_T5_mT6_P12ihipStream_tbENKUlT_T0_E_clISt17integral_constantIbLb0EESW_IbLb1EEEEDaSS_ST_EUlSS_E_NS1_11comp_targetILNS1_3genE5ELNS1_11target_archE942ELNS1_3gpuE9ELNS1_3repE0EEENS1_30default_config_static_selectorELNS0_4arch9wavefront6targetE1EEEvT1_ ; -- Begin function _ZN7rocprim17ROCPRIM_400000_NS6detail17trampoline_kernelINS0_14default_configENS1_20scan_config_selectorIfEEZZNS1_9scan_implILNS1_25lookback_scan_determinismE0ELb0ELb0ES3_N6thrust23THRUST_200600_302600_NS6detail15normal_iteratorINS9_10device_ptrIfEEEENS9_16discard_iteratorINS9_11use_defaultEEEfNS9_4plusIvEEfEEDaPvRmT3_T4_T5_mT6_P12ihipStream_tbENKUlT_T0_E_clISt17integral_constantIbLb0EESW_IbLb1EEEEDaSS_ST_EUlSS_E_NS1_11comp_targetILNS1_3genE5ELNS1_11target_archE942ELNS1_3gpuE9ELNS1_3repE0EEENS1_30default_config_static_selectorELNS0_4arch9wavefront6targetE1EEEvT1_
	.globl	_ZN7rocprim17ROCPRIM_400000_NS6detail17trampoline_kernelINS0_14default_configENS1_20scan_config_selectorIfEEZZNS1_9scan_implILNS1_25lookback_scan_determinismE0ELb0ELb0ES3_N6thrust23THRUST_200600_302600_NS6detail15normal_iteratorINS9_10device_ptrIfEEEENS9_16discard_iteratorINS9_11use_defaultEEEfNS9_4plusIvEEfEEDaPvRmT3_T4_T5_mT6_P12ihipStream_tbENKUlT_T0_E_clISt17integral_constantIbLb0EESW_IbLb1EEEEDaSS_ST_EUlSS_E_NS1_11comp_targetILNS1_3genE5ELNS1_11target_archE942ELNS1_3gpuE9ELNS1_3repE0EEENS1_30default_config_static_selectorELNS0_4arch9wavefront6targetE1EEEvT1_
	.p2align	8
	.type	_ZN7rocprim17ROCPRIM_400000_NS6detail17trampoline_kernelINS0_14default_configENS1_20scan_config_selectorIfEEZZNS1_9scan_implILNS1_25lookback_scan_determinismE0ELb0ELb0ES3_N6thrust23THRUST_200600_302600_NS6detail15normal_iteratorINS9_10device_ptrIfEEEENS9_16discard_iteratorINS9_11use_defaultEEEfNS9_4plusIvEEfEEDaPvRmT3_T4_T5_mT6_P12ihipStream_tbENKUlT_T0_E_clISt17integral_constantIbLb0EESW_IbLb1EEEEDaSS_ST_EUlSS_E_NS1_11comp_targetILNS1_3genE5ELNS1_11target_archE942ELNS1_3gpuE9ELNS1_3repE0EEENS1_30default_config_static_selectorELNS0_4arch9wavefront6targetE1EEEvT1_,@function
_ZN7rocprim17ROCPRIM_400000_NS6detail17trampoline_kernelINS0_14default_configENS1_20scan_config_selectorIfEEZZNS1_9scan_implILNS1_25lookback_scan_determinismE0ELb0ELb0ES3_N6thrust23THRUST_200600_302600_NS6detail15normal_iteratorINS9_10device_ptrIfEEEENS9_16discard_iteratorINS9_11use_defaultEEEfNS9_4plusIvEEfEEDaPvRmT3_T4_T5_mT6_P12ihipStream_tbENKUlT_T0_E_clISt17integral_constantIbLb0EESW_IbLb1EEEEDaSS_ST_EUlSS_E_NS1_11comp_targetILNS1_3genE5ELNS1_11target_archE942ELNS1_3gpuE9ELNS1_3repE0EEENS1_30default_config_static_selectorELNS0_4arch9wavefront6targetE1EEEvT1_: ; @_ZN7rocprim17ROCPRIM_400000_NS6detail17trampoline_kernelINS0_14default_configENS1_20scan_config_selectorIfEEZZNS1_9scan_implILNS1_25lookback_scan_determinismE0ELb0ELb0ES3_N6thrust23THRUST_200600_302600_NS6detail15normal_iteratorINS9_10device_ptrIfEEEENS9_16discard_iteratorINS9_11use_defaultEEEfNS9_4plusIvEEfEEDaPvRmT3_T4_T5_mT6_P12ihipStream_tbENKUlT_T0_E_clISt17integral_constantIbLb0EESW_IbLb1EEEEDaSS_ST_EUlSS_E_NS1_11comp_targetILNS1_3genE5ELNS1_11target_archE942ELNS1_3gpuE9ELNS1_3repE0EEENS1_30default_config_static_selectorELNS0_4arch9wavefront6targetE1EEEvT1_
; %bb.0:
	.section	.rodata,"a",@progbits
	.p2align	6, 0x0
	.amdhsa_kernel _ZN7rocprim17ROCPRIM_400000_NS6detail17trampoline_kernelINS0_14default_configENS1_20scan_config_selectorIfEEZZNS1_9scan_implILNS1_25lookback_scan_determinismE0ELb0ELb0ES3_N6thrust23THRUST_200600_302600_NS6detail15normal_iteratorINS9_10device_ptrIfEEEENS9_16discard_iteratorINS9_11use_defaultEEEfNS9_4plusIvEEfEEDaPvRmT3_T4_T5_mT6_P12ihipStream_tbENKUlT_T0_E_clISt17integral_constantIbLb0EESW_IbLb1EEEEDaSS_ST_EUlSS_E_NS1_11comp_targetILNS1_3genE5ELNS1_11target_archE942ELNS1_3gpuE9ELNS1_3repE0EEENS1_30default_config_static_selectorELNS0_4arch9wavefront6targetE1EEEvT1_
		.amdhsa_group_segment_fixed_size 0
		.amdhsa_private_segment_fixed_size 0
		.amdhsa_kernarg_size 104
		.amdhsa_user_sgpr_count 6
		.amdhsa_user_sgpr_private_segment_buffer 1
		.amdhsa_user_sgpr_dispatch_ptr 0
		.amdhsa_user_sgpr_queue_ptr 0
		.amdhsa_user_sgpr_kernarg_segment_ptr 1
		.amdhsa_user_sgpr_dispatch_id 0
		.amdhsa_user_sgpr_flat_scratch_init 0
		.amdhsa_user_sgpr_kernarg_preload_length 0
		.amdhsa_user_sgpr_kernarg_preload_offset 0
		.amdhsa_user_sgpr_private_segment_size 0
		.amdhsa_uses_dynamic_stack 0
		.amdhsa_system_sgpr_private_segment_wavefront_offset 0
		.amdhsa_system_sgpr_workgroup_id_x 1
		.amdhsa_system_sgpr_workgroup_id_y 0
		.amdhsa_system_sgpr_workgroup_id_z 0
		.amdhsa_system_sgpr_workgroup_info 0
		.amdhsa_system_vgpr_workitem_id 0
		.amdhsa_next_free_vgpr 1
		.amdhsa_next_free_sgpr 0
		.amdhsa_accum_offset 4
		.amdhsa_reserve_vcc 0
		.amdhsa_reserve_flat_scratch 0
		.amdhsa_float_round_mode_32 0
		.amdhsa_float_round_mode_16_64 0
		.amdhsa_float_denorm_mode_32 3
		.amdhsa_float_denorm_mode_16_64 3
		.amdhsa_dx10_clamp 1
		.amdhsa_ieee_mode 1
		.amdhsa_fp16_overflow 0
		.amdhsa_tg_split 0
		.amdhsa_exception_fp_ieee_invalid_op 0
		.amdhsa_exception_fp_denorm_src 0
		.amdhsa_exception_fp_ieee_div_zero 0
		.amdhsa_exception_fp_ieee_overflow 0
		.amdhsa_exception_fp_ieee_underflow 0
		.amdhsa_exception_fp_ieee_inexact 0
		.amdhsa_exception_int_div_zero 0
	.end_amdhsa_kernel
	.section	.text._ZN7rocprim17ROCPRIM_400000_NS6detail17trampoline_kernelINS0_14default_configENS1_20scan_config_selectorIfEEZZNS1_9scan_implILNS1_25lookback_scan_determinismE0ELb0ELb0ES3_N6thrust23THRUST_200600_302600_NS6detail15normal_iteratorINS9_10device_ptrIfEEEENS9_16discard_iteratorINS9_11use_defaultEEEfNS9_4plusIvEEfEEDaPvRmT3_T4_T5_mT6_P12ihipStream_tbENKUlT_T0_E_clISt17integral_constantIbLb0EESW_IbLb1EEEEDaSS_ST_EUlSS_E_NS1_11comp_targetILNS1_3genE5ELNS1_11target_archE942ELNS1_3gpuE9ELNS1_3repE0EEENS1_30default_config_static_selectorELNS0_4arch9wavefront6targetE1EEEvT1_,"axG",@progbits,_ZN7rocprim17ROCPRIM_400000_NS6detail17trampoline_kernelINS0_14default_configENS1_20scan_config_selectorIfEEZZNS1_9scan_implILNS1_25lookback_scan_determinismE0ELb0ELb0ES3_N6thrust23THRUST_200600_302600_NS6detail15normal_iteratorINS9_10device_ptrIfEEEENS9_16discard_iteratorINS9_11use_defaultEEEfNS9_4plusIvEEfEEDaPvRmT3_T4_T5_mT6_P12ihipStream_tbENKUlT_T0_E_clISt17integral_constantIbLb0EESW_IbLb1EEEEDaSS_ST_EUlSS_E_NS1_11comp_targetILNS1_3genE5ELNS1_11target_archE942ELNS1_3gpuE9ELNS1_3repE0EEENS1_30default_config_static_selectorELNS0_4arch9wavefront6targetE1EEEvT1_,comdat
.Lfunc_end5061:
	.size	_ZN7rocprim17ROCPRIM_400000_NS6detail17trampoline_kernelINS0_14default_configENS1_20scan_config_selectorIfEEZZNS1_9scan_implILNS1_25lookback_scan_determinismE0ELb0ELb0ES3_N6thrust23THRUST_200600_302600_NS6detail15normal_iteratorINS9_10device_ptrIfEEEENS9_16discard_iteratorINS9_11use_defaultEEEfNS9_4plusIvEEfEEDaPvRmT3_T4_T5_mT6_P12ihipStream_tbENKUlT_T0_E_clISt17integral_constantIbLb0EESW_IbLb1EEEEDaSS_ST_EUlSS_E_NS1_11comp_targetILNS1_3genE5ELNS1_11target_archE942ELNS1_3gpuE9ELNS1_3repE0EEENS1_30default_config_static_selectorELNS0_4arch9wavefront6targetE1EEEvT1_, .Lfunc_end5061-_ZN7rocprim17ROCPRIM_400000_NS6detail17trampoline_kernelINS0_14default_configENS1_20scan_config_selectorIfEEZZNS1_9scan_implILNS1_25lookback_scan_determinismE0ELb0ELb0ES3_N6thrust23THRUST_200600_302600_NS6detail15normal_iteratorINS9_10device_ptrIfEEEENS9_16discard_iteratorINS9_11use_defaultEEEfNS9_4plusIvEEfEEDaPvRmT3_T4_T5_mT6_P12ihipStream_tbENKUlT_T0_E_clISt17integral_constantIbLb0EESW_IbLb1EEEEDaSS_ST_EUlSS_E_NS1_11comp_targetILNS1_3genE5ELNS1_11target_archE942ELNS1_3gpuE9ELNS1_3repE0EEENS1_30default_config_static_selectorELNS0_4arch9wavefront6targetE1EEEvT1_
                                        ; -- End function
	.section	.AMDGPU.csdata,"",@progbits
; Kernel info:
; codeLenInByte = 0
; NumSgprs: 4
; NumVgprs: 0
; NumAgprs: 0
; TotalNumVgprs: 0
; ScratchSize: 0
; MemoryBound: 0
; FloatMode: 240
; IeeeMode: 1
; LDSByteSize: 0 bytes/workgroup (compile time only)
; SGPRBlocks: 0
; VGPRBlocks: 0
; NumSGPRsForWavesPerEU: 4
; NumVGPRsForWavesPerEU: 1
; AccumOffset: 4
; Occupancy: 8
; WaveLimiterHint : 0
; COMPUTE_PGM_RSRC2:SCRATCH_EN: 0
; COMPUTE_PGM_RSRC2:USER_SGPR: 6
; COMPUTE_PGM_RSRC2:TRAP_HANDLER: 0
; COMPUTE_PGM_RSRC2:TGID_X_EN: 1
; COMPUTE_PGM_RSRC2:TGID_Y_EN: 0
; COMPUTE_PGM_RSRC2:TGID_Z_EN: 0
; COMPUTE_PGM_RSRC2:TIDIG_COMP_CNT: 0
; COMPUTE_PGM_RSRC3_GFX90A:ACCUM_OFFSET: 0
; COMPUTE_PGM_RSRC3_GFX90A:TG_SPLIT: 0
	.section	.text._ZN7rocprim17ROCPRIM_400000_NS6detail17trampoline_kernelINS0_14default_configENS1_20scan_config_selectorIfEEZZNS1_9scan_implILNS1_25lookback_scan_determinismE0ELb0ELb0ES3_N6thrust23THRUST_200600_302600_NS6detail15normal_iteratorINS9_10device_ptrIfEEEENS9_16discard_iteratorINS9_11use_defaultEEEfNS9_4plusIvEEfEEDaPvRmT3_T4_T5_mT6_P12ihipStream_tbENKUlT_T0_E_clISt17integral_constantIbLb0EESW_IbLb1EEEEDaSS_ST_EUlSS_E_NS1_11comp_targetILNS1_3genE4ELNS1_11target_archE910ELNS1_3gpuE8ELNS1_3repE0EEENS1_30default_config_static_selectorELNS0_4arch9wavefront6targetE1EEEvT1_,"axG",@progbits,_ZN7rocprim17ROCPRIM_400000_NS6detail17trampoline_kernelINS0_14default_configENS1_20scan_config_selectorIfEEZZNS1_9scan_implILNS1_25lookback_scan_determinismE0ELb0ELb0ES3_N6thrust23THRUST_200600_302600_NS6detail15normal_iteratorINS9_10device_ptrIfEEEENS9_16discard_iteratorINS9_11use_defaultEEEfNS9_4plusIvEEfEEDaPvRmT3_T4_T5_mT6_P12ihipStream_tbENKUlT_T0_E_clISt17integral_constantIbLb0EESW_IbLb1EEEEDaSS_ST_EUlSS_E_NS1_11comp_targetILNS1_3genE4ELNS1_11target_archE910ELNS1_3gpuE8ELNS1_3repE0EEENS1_30default_config_static_selectorELNS0_4arch9wavefront6targetE1EEEvT1_,comdat
	.protected	_ZN7rocprim17ROCPRIM_400000_NS6detail17trampoline_kernelINS0_14default_configENS1_20scan_config_selectorIfEEZZNS1_9scan_implILNS1_25lookback_scan_determinismE0ELb0ELb0ES3_N6thrust23THRUST_200600_302600_NS6detail15normal_iteratorINS9_10device_ptrIfEEEENS9_16discard_iteratorINS9_11use_defaultEEEfNS9_4plusIvEEfEEDaPvRmT3_T4_T5_mT6_P12ihipStream_tbENKUlT_T0_E_clISt17integral_constantIbLb0EESW_IbLb1EEEEDaSS_ST_EUlSS_E_NS1_11comp_targetILNS1_3genE4ELNS1_11target_archE910ELNS1_3gpuE8ELNS1_3repE0EEENS1_30default_config_static_selectorELNS0_4arch9wavefront6targetE1EEEvT1_ ; -- Begin function _ZN7rocprim17ROCPRIM_400000_NS6detail17trampoline_kernelINS0_14default_configENS1_20scan_config_selectorIfEEZZNS1_9scan_implILNS1_25lookback_scan_determinismE0ELb0ELb0ES3_N6thrust23THRUST_200600_302600_NS6detail15normal_iteratorINS9_10device_ptrIfEEEENS9_16discard_iteratorINS9_11use_defaultEEEfNS9_4plusIvEEfEEDaPvRmT3_T4_T5_mT6_P12ihipStream_tbENKUlT_T0_E_clISt17integral_constantIbLb0EESW_IbLb1EEEEDaSS_ST_EUlSS_E_NS1_11comp_targetILNS1_3genE4ELNS1_11target_archE910ELNS1_3gpuE8ELNS1_3repE0EEENS1_30default_config_static_selectorELNS0_4arch9wavefront6targetE1EEEvT1_
	.globl	_ZN7rocprim17ROCPRIM_400000_NS6detail17trampoline_kernelINS0_14default_configENS1_20scan_config_selectorIfEEZZNS1_9scan_implILNS1_25lookback_scan_determinismE0ELb0ELb0ES3_N6thrust23THRUST_200600_302600_NS6detail15normal_iteratorINS9_10device_ptrIfEEEENS9_16discard_iteratorINS9_11use_defaultEEEfNS9_4plusIvEEfEEDaPvRmT3_T4_T5_mT6_P12ihipStream_tbENKUlT_T0_E_clISt17integral_constantIbLb0EESW_IbLb1EEEEDaSS_ST_EUlSS_E_NS1_11comp_targetILNS1_3genE4ELNS1_11target_archE910ELNS1_3gpuE8ELNS1_3repE0EEENS1_30default_config_static_selectorELNS0_4arch9wavefront6targetE1EEEvT1_
	.p2align	8
	.type	_ZN7rocprim17ROCPRIM_400000_NS6detail17trampoline_kernelINS0_14default_configENS1_20scan_config_selectorIfEEZZNS1_9scan_implILNS1_25lookback_scan_determinismE0ELb0ELb0ES3_N6thrust23THRUST_200600_302600_NS6detail15normal_iteratorINS9_10device_ptrIfEEEENS9_16discard_iteratorINS9_11use_defaultEEEfNS9_4plusIvEEfEEDaPvRmT3_T4_T5_mT6_P12ihipStream_tbENKUlT_T0_E_clISt17integral_constantIbLb0EESW_IbLb1EEEEDaSS_ST_EUlSS_E_NS1_11comp_targetILNS1_3genE4ELNS1_11target_archE910ELNS1_3gpuE8ELNS1_3repE0EEENS1_30default_config_static_selectorELNS0_4arch9wavefront6targetE1EEEvT1_,@function
_ZN7rocprim17ROCPRIM_400000_NS6detail17trampoline_kernelINS0_14default_configENS1_20scan_config_selectorIfEEZZNS1_9scan_implILNS1_25lookback_scan_determinismE0ELb0ELb0ES3_N6thrust23THRUST_200600_302600_NS6detail15normal_iteratorINS9_10device_ptrIfEEEENS9_16discard_iteratorINS9_11use_defaultEEEfNS9_4plusIvEEfEEDaPvRmT3_T4_T5_mT6_P12ihipStream_tbENKUlT_T0_E_clISt17integral_constantIbLb0EESW_IbLb1EEEEDaSS_ST_EUlSS_E_NS1_11comp_targetILNS1_3genE4ELNS1_11target_archE910ELNS1_3gpuE8ELNS1_3repE0EEENS1_30default_config_static_selectorELNS0_4arch9wavefront6targetE1EEEvT1_: ; @_ZN7rocprim17ROCPRIM_400000_NS6detail17trampoline_kernelINS0_14default_configENS1_20scan_config_selectorIfEEZZNS1_9scan_implILNS1_25lookback_scan_determinismE0ELb0ELb0ES3_N6thrust23THRUST_200600_302600_NS6detail15normal_iteratorINS9_10device_ptrIfEEEENS9_16discard_iteratorINS9_11use_defaultEEEfNS9_4plusIvEEfEEDaPvRmT3_T4_T5_mT6_P12ihipStream_tbENKUlT_T0_E_clISt17integral_constantIbLb0EESW_IbLb1EEEEDaSS_ST_EUlSS_E_NS1_11comp_targetILNS1_3genE4ELNS1_11target_archE910ELNS1_3gpuE8ELNS1_3repE0EEENS1_30default_config_static_selectorELNS0_4arch9wavefront6targetE1EEEvT1_
; %bb.0:
	s_load_dwordx2 s[6:7], s[4:5], 0x20
	s_load_dwordx2 s[14:15], s[4:5], 0x30
	v_cmp_ne_u32_e64 s[0:1], 0, v0
	v_cmp_eq_u32_e64 s[2:3], 0, v0
	s_and_saveexec_b64 s[8:9], s[2:3]
	s_cbranch_execz .LBB5062_4
; %bb.1:
	s_mov_b64 s[12:13], exec
	v_mbcnt_lo_u32_b32 v1, s12, 0
	v_mbcnt_hi_u32_b32 v1, s13, v1
	v_cmp_eq_u32_e32 vcc, 0, v1
                                        ; implicit-def: $vgpr2
	s_and_saveexec_b64 s[10:11], vcc
	s_cbranch_execz .LBB5062_3
; %bb.2:
	s_load_dwordx2 s[16:17], s[4:5], 0x60
	s_bcnt1_i32_b64 s12, s[12:13]
	v_mov_b32_e32 v2, 0
	v_mov_b32_e32 v3, s12
	s_waitcnt lgkmcnt(0)
	global_atomic_add v2, v2, v3, s[16:17] glc
.LBB5062_3:
	s_or_b64 exec, exec, s[10:11]
	s_waitcnt vmcnt(0)
	v_readfirstlane_b32 s10, v2
	v_add_u32_e32 v1, s10, v1
	v_mov_b32_e32 v2, 0
	ds_write_b32 v2, v1
.LBB5062_4:
	s_or_b64 exec, exec, s[8:9]
	v_mov_b32_e32 v3, 0
	s_load_dwordx4 s[8:11], s[4:5], 0x0
	s_load_dword s12, s[4:5], 0x38
	s_load_dwordx8 s[16:23], s[4:5], 0x40
	s_waitcnt lgkmcnt(0)
	s_barrier
	ds_read_b32 v1, v3
	s_lshl_b64 s[4:5], s[10:11], 2
	s_add_u32 s4, s8, s4
	s_movk_i32 s8, 0x700
	s_addc_u32 s5, s9, s5
	s_waitcnt lgkmcnt(0)
	v_mul_lo_u32 v2, v1, s8
	s_add_i32 s8, s12, -1
	s_mul_i32 s9, s8, 0x700
	s_sub_u32 s28, s6, s9
	v_readfirstlane_b32 s30, v1
	s_subb_u32 s29, s7, 0
	v_lshlrev_b64 v[2:3], 2, v[2:3]
	s_cmp_lg_u32 s30, s8
	v_mov_b32_e32 v1, s5
	v_add_co_u32_e32 v18, vcc, s4, v2
	s_cselect_b64 s[24:25], -1, 0
	v_addc_co_u32_e32 v19, vcc, v1, v3, vcc
	s_mov_b64 s[4:5], -1
	s_and_b64 vcc, exec, s[24:25]
	v_lshlrev_b32_e32 v20, 2, v0
	s_barrier
	s_cbranch_vccz .LBB5062_6
; %bb.5:
	v_add_co_u32_e32 v2, vcc, v18, v20
	v_addc_co_u32_e32 v3, vcc, 0, v19, vcc
	flat_load_dword v1, v[2:3]
	flat_load_dword v4, v[2:3] offset:512
	flat_load_dword v5, v[2:3] offset:1024
	;; [unrolled: 1-line block ×7, first 2 shown]
	v_add_co_u32_e32 v2, vcc, 0x1000, v2
	v_addc_co_u32_e32 v3, vcc, 0, v3, vcc
	flat_load_dword v11, v[2:3]
	flat_load_dword v12, v[2:3] offset:512
	flat_load_dword v13, v[2:3] offset:1024
	;; [unrolled: 1-line block ×5, first 2 shown]
	s_mov_b64 s[4:5], 0
	s_waitcnt vmcnt(0) lgkmcnt(0)
	ds_write2st64_b32 v20, v1, v4 offset1:2
	ds_write2st64_b32 v20, v5, v6 offset0:4 offset1:6
	ds_write2st64_b32 v20, v7, v8 offset0:8 offset1:10
	;; [unrolled: 1-line block ×6, first 2 shown]
	s_waitcnt lgkmcnt(0)
	s_barrier
.LBB5062_6:
	s_andn2_b64 vcc, exec, s[4:5]
	s_cbranch_vccnz .LBB5062_36
; %bb.7:
	flat_load_dword v1, v[18:19]
	v_cmp_gt_u32_e32 vcc, s28, v0
	s_waitcnt vmcnt(0) lgkmcnt(0)
	v_mov_b32_e32 v2, v1
	v_mov_b32_e32 v3, v1
	;; [unrolled: 1-line block ×12, first 2 shown]
	v_pk_mov_b32 v[16:17], v[14:15], v[14:15] op_sel:[0,1]
	v_pk_mov_b32 v[14:15], v[12:13], v[12:13] op_sel:[0,1]
	;; [unrolled: 1-line block ×8, first 2 shown]
	s_and_saveexec_b64 s[4:5], vcc
	s_cbranch_execz .LBB5062_9
; %bb.8:
	v_add_co_u32_e32 v2, vcc, v18, v20
	v_addc_co_u32_e32 v3, vcc, 0, v19, vcc
	flat_load_dword v21, v[2:3]
	v_mov_b32_e32 v2, v1
	v_mov_b32_e32 v3, v1
	;; [unrolled: 1-line block ×12, first 2 shown]
	v_pk_mov_b32 v[16:17], v[14:15], v[14:15] op_sel:[0,1]
	v_pk_mov_b32 v[14:15], v[12:13], v[12:13] op_sel:[0,1]
	;; [unrolled: 1-line block ×8, first 2 shown]
	s_waitcnt vmcnt(0) lgkmcnt(0)
	v_mov_b32_e32 v1, v21
.LBB5062_9:
	s_or_b64 exec, exec, s[4:5]
	v_or_b32_e32 v2, 0x80, v0
	v_cmp_gt_u32_e32 vcc, s28, v2
	s_and_saveexec_b64 s[4:5], vcc
	s_cbranch_execz .LBB5062_11
; %bb.10:
	v_add_co_u32_e32 v2, vcc, v18, v20
	v_addc_co_u32_e32 v3, vcc, 0, v19, vcc
	flat_load_dword v3, v[2:3] offset:512
.LBB5062_11:
	s_or_b64 exec, exec, s[4:5]
	v_or_b32_e32 v2, 0x100, v0
	v_cmp_gt_u32_e32 vcc, s28, v2
	s_and_saveexec_b64 s[4:5], vcc
	s_cbranch_execz .LBB5062_13
; %bb.12:
	v_add_co_u32_e32 v16, vcc, v18, v20
	v_addc_co_u32_e32 v17, vcc, 0, v19, vcc
	flat_load_dword v4, v[16:17] offset:1024
.LBB5062_13:
	;; [unrolled: 10-line block ×7, first 2 shown]
	s_or_b64 exec, exec, s[4:5]
	v_or_b32_e32 v2, 0x400, v0
	v_cmp_gt_u32_e32 vcc, s28, v2
	s_and_saveexec_b64 s[4:5], vcc
	s_cbranch_execz .LBB5062_25
; %bb.24:
	v_lshlrev_b32_e32 v2, 2, v2
	v_add_co_u32_e32 v16, vcc, v18, v2
	v_addc_co_u32_e32 v17, vcc, 0, v19, vcc
	flat_load_dword v10, v[16:17]
.LBB5062_25:
	s_or_b64 exec, exec, s[4:5]
	v_or_b32_e32 v2, 0x480, v0
	v_cmp_gt_u32_e32 vcc, s28, v2
	s_and_saveexec_b64 s[4:5], vcc
	s_cbranch_execz .LBB5062_27
; %bb.26:
	v_lshlrev_b32_e32 v2, 2, v2
	v_add_co_u32_e32 v16, vcc, v18, v2
	v_addc_co_u32_e32 v17, vcc, 0, v19, vcc
	flat_load_dword v11, v[16:17]
.LBB5062_27:
	;; [unrolled: 11-line block ×6, first 2 shown]
	s_or_b64 exec, exec, s[4:5]
	s_waitcnt vmcnt(0) lgkmcnt(0)
	ds_write2st64_b32 v20, v1, v3 offset1:2
	ds_write2st64_b32 v20, v4, v5 offset0:4 offset1:6
	ds_write2st64_b32 v20, v6, v7 offset0:8 offset1:10
	;; [unrolled: 1-line block ×6, first 2 shown]
	s_waitcnt lgkmcnt(0)
	s_barrier
.LBB5062_36:
	v_mul_u32_u24_e32 v32, 14, v0
	v_lshlrev_b32_e32 v33, 2, v32
	ds_read2_b64 v[2:5], v33 offset1:1
	ds_read2_b64 v[26:29], v33 offset0:2 offset1:3
	ds_read2_b64 v[22:25], v33 offset0:4 offset1:5
	ds_read_b64 v[30:31], v33 offset:48
	s_cmp_lg_u32 s30, 0
	v_lshrrev_b32_e32 v1, 5, v0
	v_cmp_gt_u32_e32 vcc, 64, v0
	s_waitcnt lgkmcnt(0)
	s_barrier
	s_cbranch_scc0 .LBB5062_61
; %bb.37:
	v_add_f32_e32 v6, v2, v3
	v_add_f32_e32 v6, v4, v6
	;; [unrolled: 1-line block ×13, first 2 shown]
	v_add_lshl_u32 v6, v1, v0, 2
	ds_write_b32 v6, v16
	s_waitcnt lgkmcnt(0)
	s_barrier
	s_and_saveexec_b64 s[10:11], vcc
	s_cbranch_execz .LBB5062_39
; %bb.38:
	v_lshlrev_b32_e32 v6, 1, v0
	v_lshrrev_b32_e32 v7, 4, v0
	v_add_lshl_u32 v8, v7, v6, 2
	ds_read2_b32 v[6:7], v8 offset1:1
	v_mbcnt_lo_u32_b32 v9, -1, 0
	v_mbcnt_hi_u32_b32 v9, -1, v9
	v_and_b32_e32 v10, 15, v9
	v_cmp_eq_u32_e64 s[4:5], 0, v10
	s_waitcnt lgkmcnt(0)
	v_add_f32_e32 v7, v6, v7
	v_cmp_lt_u32_e64 s[6:7], 3, v10
	v_cmp_lt_u32_e64 s[8:9], 31, v9
	v_mov_b32_dpp v11, v7 row_shr:1 row_mask:0xf bank_mask:0xf
	v_add_f32_e32 v11, v7, v11
	v_cndmask_b32_e64 v7, v11, v7, s[4:5]
	v_cmp_lt_u32_e64 s[4:5], 1, v10
	s_nop 0
	v_mov_b32_dpp v11, v7 row_shr:2 row_mask:0xf bank_mask:0xf
	v_add_f32_e32 v11, v7, v11
	v_cndmask_b32_e64 v11, v7, v11, s[4:5]
	; wave barrier
	s_nop 1
	v_mov_b32_dpp v12, v11 row_shr:4 row_mask:0xf bank_mask:0xf
	v_add_f32_e32 v12, v11, v12
	v_cndmask_b32_e64 v11, v11, v12, s[6:7]
	v_cmp_lt_u32_e64 s[6:7], 7, v10
	s_nop 0
	v_mov_b32_dpp v12, v11 row_shr:8 row_mask:0xf bank_mask:0xf
	v_add_f32_e32 v12, v11, v12
	v_cndmask_b32_e64 v10, v11, v12, s[6:7]
	v_and_b32_e32 v12, 16, v9
	v_cmp_eq_u32_e64 s[6:7], 0, v12
	v_mov_b32_dpp v11, v10 row_bcast:15 row_mask:0xf bank_mask:0xf
	v_add_f32_e32 v11, v10, v11
	v_cndmask_b32_e64 v10, v11, v10, s[6:7]
	v_cmp_lt_u32_e64 s[6:7], 15, v9
	s_or_b64 s[4:5], s[6:7], s[4:5]
	v_mov_b32_dpp v11, v10 row_bcast:31 row_mask:0xf bank_mask:0xf
	v_add_f32_e32 v11, v10, v11
	v_cndmask_b32_e64 v10, v10, v11, s[8:9]
	v_cndmask_b32_e64 v7, v7, v10, s[4:5]
	v_add_u32_e32 v10, -1, v9
	v_and_b32_e32 v11, 64, v9
	v_cmp_lt_i32_e64 s[4:5], v10, v11
	v_cndmask_b32_e64 v9, v10, v9, s[4:5]
	v_lshlrev_b32_e32 v9, 2, v9
	ds_bpermute_b32 v7, v9, v7
	s_waitcnt lgkmcnt(0)
	v_add_f32_e32 v6, v6, v7
	v_cndmask_b32_e64 v6, v6, v16, s[2:3]
	ds_write_b32 v8, v6
	; wave barrier
	ds_read_b32 v7, v8 offset:4
	s_waitcnt lgkmcnt(0)
	v_add_f32_e32 v6, v6, v7
	ds_write_b32 v8, v6 offset:4
.LBB5062_39:
	s_or_b64 exec, exec, s[10:11]
	s_waitcnt lgkmcnt(0)
	s_barrier
	s_and_saveexec_b64 s[4:5], s[0:1]
	s_cbranch_execz .LBB5062_41
; %bb.40:
	v_add_u32_e32 v6, -1, v0
	v_lshrrev_b32_e32 v7, 5, v6
	v_add_lshl_u32 v6, v7, v6, 2
	ds_read_b32 v16, v6
.LBB5062_41:
	s_or_b64 exec, exec, s[4:5]
	s_and_saveexec_b64 s[26:27], vcc
	s_cbranch_execz .LBB5062_60
; %bb.42:
	v_mov_b32_e32 v13, 0
	ds_read_b32 v6, v13 offset:520
	v_mbcnt_lo_u32_b32 v7, -1, 0
	v_mbcnt_hi_u32_b32 v9, -1, v7
	s_mov_b32 s9, 0
	v_cmp_eq_u32_e64 s[4:5], 0, v9
	s_and_saveexec_b64 s[6:7], s[4:5]
	s_cbranch_execz .LBB5062_44
; %bb.43:
	s_add_i32 s8, s30, 64
	s_lshl_b64 s[8:9], s[8:9], 3
	s_add_u32 s8, s14, s8
	v_mov_b32_e32 v7, 1
	s_addc_u32 s9, s15, s9
	s_waitcnt lgkmcnt(0)
	global_store_dwordx2 v13, v[6:7], s[8:9]
.LBB5062_44:
	s_or_b64 exec, exec, s[6:7]
	v_xad_u32 v8, v9, -1, s30
	v_add_u32_e32 v12, 64, v8
	v_lshlrev_b64 v[10:11], 3, v[12:13]
	v_mov_b32_e32 v7, s15
	v_add_co_u32_e32 v14, vcc, s14, v10
	v_addc_co_u32_e32 v15, vcc, v7, v11, vcc
	global_load_dwordx2 v[10:11], v[14:15], off glc
	s_waitcnt vmcnt(0)
	v_cmp_eq_u16_sdwa s[8:9], v11, v13 src0_sel:BYTE_0 src1_sel:DWORD
	s_and_saveexec_b64 s[6:7], s[8:9]
	s_cbranch_execz .LBB5062_48
; %bb.45:
	s_mov_b64 s[8:9], 0
	v_mov_b32_e32 v7, 0
.LBB5062_46:                            ; =>This Inner Loop Header: Depth=1
	global_load_dwordx2 v[10:11], v[14:15], off glc
	s_waitcnt vmcnt(0)
	v_cmp_ne_u16_sdwa s[10:11], v11, v7 src0_sel:BYTE_0 src1_sel:DWORD
	s_or_b64 s[8:9], s[10:11], s[8:9]
	s_andn2_b64 exec, exec, s[8:9]
	s_cbranch_execnz .LBB5062_46
; %bb.47:
	s_or_b64 exec, exec, s[8:9]
.LBB5062_48:
	s_or_b64 exec, exec, s[6:7]
	v_and_b32_e32 v17, 63, v9
	v_cmp_ne_u32_e32 vcc, 63, v17
	v_addc_co_u32_e32 v18, vcc, 0, v9, vcc
	v_mov_b32_e32 v7, 2
	v_lshlrev_b32_e32 v18, 2, v18
	v_cmp_eq_u16_sdwa s[6:7], v11, v7 src0_sel:BYTE_0 src1_sel:DWORD
	v_lshlrev_b64 v[12:13], v9, -1
	ds_bpermute_b32 v19, v18, v10
	v_and_b32_e32 v14, s7, v13
	v_or_b32_e32 v14, 0x80000000, v14
	v_and_b32_e32 v15, s6, v12
	v_ffbl_b32_e32 v14, v14
	v_add_u32_e32 v14, 32, v14
	v_ffbl_b32_e32 v15, v15
	v_cmp_gt_u32_e64 s[6:7], 62, v17
	v_min_u32_e32 v14, v15, v14
	s_waitcnt lgkmcnt(0)
	v_add_f32_e32 v15, v10, v19
	v_cndmask_b32_e64 v19, 0, 1, s[6:7]
	v_cmp_lt_u32_e32 vcc, v17, v14
	v_lshlrev_b32_e32 v19, 1, v19
	v_cndmask_b32_e32 v15, v10, v15, vcc
	v_add_lshl_u32 v19, v19, v9, 2
	ds_bpermute_b32 v21, v19, v15
	v_add_u32_e32 v20, 2, v17
	v_cmp_gt_u32_e64 s[6:7], v20, v14
	v_cmp_gt_u32_e64 s[8:9], 56, v17
	v_add_u32_e32 v34, 4, v17
	s_waitcnt lgkmcnt(0)
	v_add_f32_e32 v21, v15, v21
	v_cndmask_b32_e64 v15, v21, v15, s[6:7]
	v_cmp_gt_u32_e64 s[6:7], 60, v17
	v_cndmask_b32_e64 v21, 0, 1, s[6:7]
	v_lshlrev_b32_e32 v21, 2, v21
	v_add_lshl_u32 v21, v21, v9, 2
	ds_bpermute_b32 v35, v21, v15
	v_cmp_gt_u32_e64 s[6:7], v34, v14
	v_add_u32_e32 v36, 8, v17
	v_cmp_gt_u32_e64 s[10:11], 48, v17
	v_cmp_gt_u32_e64 s[12:13], 32, v17
	s_waitcnt lgkmcnt(0)
	v_add_f32_e32 v39, v15, v35
	v_cndmask_b32_e64 v35, 0, 1, s[8:9]
	v_lshlrev_b32_e32 v35, 3, v35
	v_cndmask_b32_e64 v37, v39, v15, s[6:7]
	v_add_lshl_u32 v35, v35, v9, 2
	ds_bpermute_b32 v38, v35, v37
	v_cmp_gt_u32_e64 s[8:9], v36, v14
	v_cndmask_b32_e32 v10, v10, v15, vcc
	v_cndmask_b32_e64 v10, v39, v10, s[6:7]
	s_waitcnt lgkmcnt(0)
	v_add_f32_e32 v42, v37, v38
	v_cndmask_b32_e64 v40, v42, v37, s[8:9]
	v_cndmask_b32_e64 v37, 0, 1, s[10:11]
	v_lshlrev_b32_e32 v37, 4, v37
	v_add_lshl_u32 v37, v37, v9, 2
	ds_bpermute_b32 v41, v37, v40
	v_add_u32_e32 v38, 16, v17
	v_cmp_gt_u32_e64 s[10:11], v38, v14
	v_cndmask_b32_e64 v10, v42, v10, s[8:9]
	s_waitcnt lgkmcnt(0)
	v_add_f32_e32 v43, v40, v41
	v_cndmask_b32_e64 v44, v43, v40, s[10:11]
	v_cndmask_b32_e64 v40, 0, 1, s[12:13]
	v_lshlrev_b32_e32 v40, 5, v40
	v_add_lshl_u32 v40, v40, v9, 2
	ds_bpermute_b32 v9, v40, v44
	v_add_u32_e32 v41, 32, v17
	v_cndmask_b32_e64 v10, v43, v10, s[10:11]
	v_cmp_gt_u32_e32 vcc, v41, v14
	s_waitcnt lgkmcnt(0)
	v_add_f32_e32 v9, v44, v9
	v_cndmask_b32_e32 v10, v9, v10, vcc
	v_mov_b32_e32 v9, 0
	s_branch .LBB5062_50
.LBB5062_49:                            ;   in Loop: Header=BB5062_50 Depth=1
	s_or_b64 exec, exec, s[6:7]
	v_cmp_eq_u16_sdwa s[6:7], v11, v7 src0_sel:BYTE_0 src1_sel:DWORD
	v_and_b32_e32 v14, s7, v13
	ds_bpermute_b32 v42, v18, v10
	v_or_b32_e32 v14, 0x80000000, v14
	v_and_b32_e32 v15, s6, v12
	v_ffbl_b32_e32 v14, v14
	v_add_u32_e32 v14, 32, v14
	v_ffbl_b32_e32 v15, v15
	v_min_u32_e32 v14, v15, v14
	s_waitcnt lgkmcnt(0)
	v_add_f32_e32 v15, v10, v42
	v_cmp_lt_u32_e32 vcc, v17, v14
	v_cndmask_b32_e32 v15, v10, v15, vcc
	ds_bpermute_b32 v42, v19, v15
	v_cmp_gt_u32_e64 s[6:7], v20, v14
	v_cmp_gt_u32_e64 s[8:9], v36, v14
	v_cmp_gt_u32_e64 s[10:11], v38, v14
	v_subrev_u32_e32 v8, 64, v8
	s_waitcnt lgkmcnt(0)
	v_add_f32_e32 v42, v15, v42
	v_cndmask_b32_e64 v15, v42, v15, s[6:7]
	ds_bpermute_b32 v42, v21, v15
	v_cmp_gt_u32_e64 s[6:7], v34, v14
	v_cndmask_b32_e32 v10, v10, v15, vcc
	v_cmp_gt_u32_e32 vcc, v41, v14
	s_waitcnt lgkmcnt(0)
	v_add_f32_e32 v42, v15, v42
	v_cndmask_b32_e64 v43, v42, v15, s[6:7]
	ds_bpermute_b32 v44, v35, v43
	v_cndmask_b32_e64 v10, v42, v10, s[6:7]
	s_waitcnt lgkmcnt(0)
	v_add_f32_e32 v44, v43, v44
	v_cndmask_b32_e64 v43, v44, v43, s[8:9]
	ds_bpermute_b32 v45, v37, v43
	v_cndmask_b32_e64 v10, v44, v10, s[8:9]
	;; [unrolled: 5-line block ×3, first 2 shown]
	s_waitcnt lgkmcnt(0)
	v_add_f32_e32 v15, v43, v46
	v_cndmask_b32_e32 v10, v15, v10, vcc
	v_add_f32_e32 v10, v39, v10
.LBB5062_50:                            ; =>This Loop Header: Depth=1
                                        ;     Child Loop BB5062_53 Depth 2
	v_cmp_ne_u16_sdwa s[6:7], v11, v7 src0_sel:BYTE_0 src1_sel:DWORD
	v_cndmask_b32_e64 v11, 0, 1, s[6:7]
	;;#ASMSTART
	;;#ASMEND
	v_cmp_ne_u32_e32 vcc, 0, v11
	s_cmp_lg_u64 vcc, exec
	v_mov_b32_e32 v39, v10
	s_cbranch_scc1 .LBB5062_55
; %bb.51:                               ;   in Loop: Header=BB5062_50 Depth=1
	v_lshlrev_b64 v[10:11], 3, v[8:9]
	v_mov_b32_e32 v15, s15
	v_add_co_u32_e32 v14, vcc, s14, v10
	v_addc_co_u32_e32 v15, vcc, v15, v11, vcc
	global_load_dwordx2 v[10:11], v[14:15], off glc
	s_waitcnt vmcnt(0)
	v_cmp_eq_u16_sdwa s[8:9], v11, v9 src0_sel:BYTE_0 src1_sel:DWORD
	s_and_saveexec_b64 s[6:7], s[8:9]
	s_cbranch_execz .LBB5062_49
; %bb.52:                               ;   in Loop: Header=BB5062_50 Depth=1
	s_mov_b64 s[8:9], 0
.LBB5062_53:                            ;   Parent Loop BB5062_50 Depth=1
                                        ; =>  This Inner Loop Header: Depth=2
	global_load_dwordx2 v[10:11], v[14:15], off glc
	s_waitcnt vmcnt(0)
	v_cmp_ne_u16_sdwa s[10:11], v11, v9 src0_sel:BYTE_0 src1_sel:DWORD
	s_or_b64 s[8:9], s[10:11], s[8:9]
	s_andn2_b64 exec, exec, s[8:9]
	s_cbranch_execnz .LBB5062_53
; %bb.54:                               ;   in Loop: Header=BB5062_50 Depth=1
	s_or_b64 exec, exec, s[8:9]
	s_branch .LBB5062_49
.LBB5062_55:                            ;   in Loop: Header=BB5062_50 Depth=1
                                        ; implicit-def: $vgpr10
                                        ; implicit-def: $vgpr11
	s_cbranch_execz .LBB5062_50
; %bb.56:
	s_and_saveexec_b64 s[6:7], s[4:5]
	s_cbranch_execz .LBB5062_58
; %bb.57:
	s_add_i32 s4, s30, 64
	s_mov_b32 s5, 0
	s_lshl_b64 s[4:5], s[4:5], 3
	s_add_u32 s4, s14, s4
	v_add_f32_e32 v6, v6, v39
	v_mov_b32_e32 v7, 2
	s_addc_u32 s5, s15, s5
	v_mov_b32_e32 v8, 0
	global_store_dwordx2 v8, v[6:7], s[4:5]
.LBB5062_58:
	s_or_b64 exec, exec, s[6:7]
	s_and_b64 exec, exec, s[2:3]
	s_cbranch_execz .LBB5062_60
; %bb.59:
	v_mov_b32_e32 v6, 0
	ds_write_b32 v6, v39
.LBB5062_60:
	s_or_b64 exec, exec, s[26:27]
	v_mov_b32_e32 v6, 0
	s_waitcnt lgkmcnt(0)
	s_barrier
	ds_read_b32 v6, v6
	v_add_f32_e32 v7, v2, v16
	v_cndmask_b32_e64 v7, v7, v2, s[2:3]
	s_waitcnt lgkmcnt(0)
	v_add_f32_e32 v6, v7, v6
	v_add_f32_e32 v7, v3, v6
	;; [unrolled: 1-line block ×14, first 2 shown]
	s_branch .LBB5062_73
.LBB5062_61:
                                        ; implicit-def: $vgpr6_vgpr7_vgpr8_vgpr9_vgpr10_vgpr11_vgpr12_vgpr13_vgpr14_vgpr15_vgpr16_vgpr17_vgpr18_vgpr19_vgpr20_vgpr21
	s_cbranch_execz .LBB5062_73
; %bb.62:
	s_cmp_lg_u64 s[20:21], 0
	s_cselect_b64 s[4:5], -1, 0
	s_and_b64 s[6:7], s[2:3], s[4:5]
	s_and_saveexec_b64 s[4:5], s[6:7]
	s_cbranch_execz .LBB5062_64
; %bb.63:
	v_mov_b32_e32 v6, 0
	global_load_dword v6, v6, s[16:17]
	s_waitcnt vmcnt(0)
	v_add_f32_e32 v2, v2, v6
.LBB5062_64:
	s_or_b64 exec, exec, s[4:5]
	v_add_f32_e32 v16, v2, v3
	v_add_f32_e32 v17, v4, v16
	;; [unrolled: 1-line block ×13, first 2 shown]
	v_add_lshl_u32 v1, v1, v0, 2
	v_cmp_gt_u32_e32 vcc, 64, v0
	ds_write_b32 v1, v15
	s_waitcnt lgkmcnt(0)
	s_barrier
	s_and_saveexec_b64 s[8:9], vcc
	s_cbranch_execz .LBB5062_66
; %bb.65:
	v_lshlrev_b32_e32 v1, 1, v0
	v_lshrrev_b32_e32 v19, 4, v0
	v_add_lshl_u32 v1, v19, v1, 2
	ds_read2_b32 v[20:21], v1 offset1:1
	v_mbcnt_lo_u32_b32 v19, -1, 0
	v_mbcnt_hi_u32_b32 v19, -1, v19
	v_and_b32_e32 v34, 15, v19
	v_cmp_eq_u32_e32 vcc, 0, v34
	s_waitcnt lgkmcnt(0)
	v_add_f32_e32 v21, v20, v21
	v_cmp_lt_u32_e64 s[4:5], 3, v34
	v_cmp_lt_u32_e64 s[6:7], 31, v19
	v_mov_b32_dpp v35, v21 row_shr:1 row_mask:0xf bank_mask:0xf
	v_add_f32_e32 v35, v21, v35
	v_cndmask_b32_e32 v21, v35, v21, vcc
	v_cmp_lt_u32_e32 vcc, 1, v34
	s_nop 0
	v_mov_b32_dpp v35, v21 row_shr:2 row_mask:0xf bank_mask:0xf
	v_add_f32_e32 v35, v21, v35
	v_cndmask_b32_e32 v35, v21, v35, vcc
	; wave barrier
	s_nop 1
	v_mov_b32_dpp v36, v35 row_shr:4 row_mask:0xf bank_mask:0xf
	v_add_f32_e32 v36, v35, v36
	v_cndmask_b32_e64 v35, v35, v36, s[4:5]
	v_cmp_lt_u32_e64 s[4:5], 7, v34
	s_nop 0
	v_mov_b32_dpp v36, v35 row_shr:8 row_mask:0xf bank_mask:0xf
	v_add_f32_e32 v36, v35, v36
	v_cndmask_b32_e64 v34, v35, v36, s[4:5]
	v_and_b32_e32 v36, 16, v19
	v_cmp_eq_u32_e64 s[4:5], 0, v36
	v_mov_b32_dpp v35, v34 row_bcast:15 row_mask:0xf bank_mask:0xf
	v_add_f32_e32 v35, v34, v35
	v_cndmask_b32_e64 v34, v35, v34, s[4:5]
	v_cmp_lt_u32_e64 s[4:5], 15, v19
	s_or_b64 vcc, s[4:5], vcc
	v_mov_b32_dpp v35, v34 row_bcast:31 row_mask:0xf bank_mask:0xf
	v_add_f32_e32 v35, v34, v35
	v_cndmask_b32_e64 v34, v34, v35, s[6:7]
	v_cndmask_b32_e32 v21, v21, v34, vcc
	v_add_u32_e32 v34, -1, v19
	v_and_b32_e32 v35, 64, v19
	v_cmp_lt_i32_e32 vcc, v34, v35
	v_cndmask_b32_e32 v19, v34, v19, vcc
	v_lshlrev_b32_e32 v19, 2, v19
	ds_bpermute_b32 v19, v19, v21
	s_waitcnt lgkmcnt(0)
	v_add_f32_e32 v19, v20, v19
	v_cndmask_b32_e64 v19, v19, v15, s[2:3]
	ds_write_b32 v1, v19
	; wave barrier
	ds_read_b32 v20, v1 offset:4
	s_waitcnt lgkmcnt(0)
	v_add_f32_e32 v19, v19, v20
	ds_write_b32 v1, v19 offset:4
.LBB5062_66:
	s_or_b64 exec, exec, s[8:9]
	v_mov_b32_e32 v1, v15
	s_waitcnt lgkmcnt(0)
	s_barrier
	s_and_saveexec_b64 s[2:3], s[0:1]
	s_cbranch_execz .LBB5062_68
; %bb.67:
	v_add_u32_e32 v1, -1, v0
	v_lshrrev_b32_e32 v19, 5, v1
	v_add_lshl_u32 v1, v19, v1, 2
	ds_read_b32 v1, v1
.LBB5062_68:
	s_or_b64 exec, exec, s[2:3]
	s_and_saveexec_b64 s[2:3], s[0:1]
	s_cbranch_execz .LBB5062_70
; %bb.69:
	s_waitcnt lgkmcnt(0)
	v_add_f32_e32 v2, v2, v1
	v_add_f32_e32 v16, v3, v2
	;; [unrolled: 1-line block ×14, first 2 shown]
	;;#ASMSTART
	;;#ASMEND
.LBB5062_70:
	s_or_b64 exec, exec, s[2:3]
	s_movk_i32 s0, 0x7f
	v_cmp_eq_u32_e32 vcc, s0, v0
	s_and_saveexec_b64 s[0:1], vcc
	s_cbranch_execz .LBB5062_72
; %bb.71:
	s_waitcnt lgkmcnt(0)
	v_mov_b32_e32 v1, 0
	v_mov_b32_e32 v5, 2
	;; [unrolled: 1-line block ×3, first 2 shown]
	global_store_dwordx2 v1, v[4:5], s[14:15] offset:512
.LBB5062_72:
	s_or_b64 exec, exec, s[0:1]
	v_mov_b32_e32 v3, v16
	v_mov_b32_e32 v4, v17
	;; [unrolled: 1-line block ×3, first 2 shown]
	v_pk_mov_b32 v[20:21], v[16:17], v[16:17] op_sel:[0,1]
	v_pk_mov_b32 v[18:19], v[14:15], v[14:15] op_sel:[0,1]
	;; [unrolled: 1-line block ×8, first 2 shown]
.LBB5062_73:
	s_mov_b64 s[0:1], -1
	s_and_b64 vcc, exec, s[24:25]
	s_waitcnt lgkmcnt(0)
	s_barrier
	ds_write2_b64 v33, v[6:7], v[8:9] offset1:1
	ds_write2_b64 v33, v[10:11], v[12:13] offset0:2 offset1:3
	ds_write2_b64 v33, v[14:15], v[16:17] offset0:4 offset1:5
	ds_write_b64 v33, v[18:19] offset:48
	s_waitcnt lgkmcnt(0)
	s_cbranch_vccz .LBB5062_75
; %bb.74:
	s_barrier
	s_mov_b64 s[0:1], 0
.LBB5062_75:
	s_andn2_b64 vcc, exec, s[0:1]
	s_cbranch_vccnz .LBB5062_127
; %bb.76:
	v_cmp_lt_u64_e64 s[0:1], s[22:23], 2
	s_and_b64 vcc, exec, s[0:1]
	s_barrier
	s_cbranch_vccnz .LBB5062_127
; %bb.77:
	s_add_u32 s0, s28, -1
	s_addc_u32 s1, s29, -1
	s_add_u32 s2, 0, 0x49240800
	s_addc_u32 s3, 0, 50
	s_add_i32 s3, s3, 0x12492460
	s_mul_hi_u32 s7, s2, -14
	s_sub_i32 s7, s7, s2
	s_mul_i32 s8, s3, -14
	s_mul_i32 s4, s2, -14
	s_add_i32 s7, s7, s8
	s_mul_hi_u32 s5, s3, s4
	s_mul_i32 s6, s3, s4
	s_mul_i32 s9, s2, s7
	s_mul_hi_u32 s4, s2, s4
	s_mul_hi_u32 s8, s2, s7
	s_add_u32 s4, s4, s9
	s_addc_u32 s8, 0, s8
	s_add_u32 s4, s4, s6
	s_mul_hi_u32 s9, s3, s7
	s_addc_u32 s4, s8, s5
	s_addc_u32 s5, s9, 0
	s_mul_i32 s6, s3, s7
	s_add_u32 s4, s4, s6
	v_mov_b32_e32 v2, s4
	s_addc_u32 s5, 0, s5
	v_add_co_u32_e32 v2, vcc, s2, v2
	s_cmp_lg_u64 vcc, 0
	s_addc_u32 s2, s3, s5
	v_readfirstlane_b32 s5, v2
	s_mul_i32 s4, s0, s2
	s_mul_hi_u32 s6, s0, s5
	s_mul_hi_u32 s3, s0, s2
	s_add_u32 s4, s6, s4
	s_addc_u32 s3, 0, s3
	s_mul_hi_u32 s7, s1, s5
	s_mul_i32 s5, s1, s5
	s_add_u32 s4, s4, s5
	s_mul_hi_u32 s6, s1, s2
	s_addc_u32 s3, s3, s7
	s_addc_u32 s4, s6, 0
	s_mul_i32 s2, s1, s2
	s_add_u32 s2, s3, s2
	s_addc_u32 s3, 0, s4
	s_add_u32 s4, s2, 1
	s_addc_u32 s5, s3, 0
	s_add_u32 s6, s2, 2
	s_mul_i32 s8, s3, 14
	s_mul_hi_u32 s9, s2, 14
	s_addc_u32 s7, s3, 0
	s_add_i32 s9, s9, s8
	s_mul_i32 s8, s2, 14
	v_mov_b32_e32 v2, s8
	v_sub_co_u32_e32 v2, vcc, s0, v2
	s_cmp_lg_u64 vcc, 0
	s_subb_u32 s8, s1, s9
	v_subrev_co_u32_e32 v3, vcc, 14, v2
	s_cmp_lg_u64 vcc, 0
	s_subb_u32 s9, s8, 0
	v_readfirstlane_b32 s10, v3
	s_cmp_gt_u32 s10, 13
	s_cselect_b32 s10, -1, 0
	s_cmp_eq_u32 s9, 0
	s_cselect_b32 s9, s10, -1
	s_cmp_lg_u32 s9, 0
	s_cselect_b32 s4, s6, s4
	v_readfirstlane_b32 s6, v2
	s_cselect_b32 s5, s7, s5
	s_cmp_gt_u32 s6, 13
	s_cselect_b32 s6, -1, 0
	s_cmp_eq_u32 s8, 0
	s_cselect_b32 s6, s6, -1
	s_cmp_lg_u32 s6, 0
	v_mov_b32_e32 v1, 0
	s_cselect_b32 s3, s5, s3
	s_cselect_b32 s2, s4, s2
	v_cmp_eq_u64_e32 vcc, s[2:3], v[0:1]
	s_and_saveexec_b64 s[2:3], vcc
	s_cbranch_execz .LBB5062_127
; %bb.78:
	s_movk_i32 s2, 0xffcc
	v_mad_i32_i24 v2, v0, s2, v33
	v_mul_hi_u32_u24_e32 v1, 14, v0
	v_mov_b32_e32 v3, s1
	v_sub_co_u32_e32 v0, vcc, s0, v32
	v_subb_co_u32_e32 v1, vcc, v3, v1, vcc
	v_cmp_lt_i64_e32 vcc, 6, v[0:1]
	s_and_saveexec_b64 s[0:1], vcc
	s_xor_b64 s[0:1], exec, s[0:1]
	s_cbranch_execz .LBB5062_104
; %bb.79:
	v_cmp_lt_i64_e32 vcc, 9, v[0:1]
	s_and_saveexec_b64 s[2:3], vcc
	s_xor_b64 s[2:3], exec, s[2:3]
	s_cbranch_execz .LBB5062_93
; %bb.80:
	;; [unrolled: 5-line block ×4, first 2 shown]
	ds_read_b32 v0, v2 offset:6656
	v_mov_b32_e32 v1, 0
                                        ; implicit-def: $vgpr2
	s_waitcnt lgkmcnt(0)
	global_store_dword v1, v0, s[18:19]
.LBB5062_83:
	s_andn2_saveexec_b64 s[6:7], s[6:7]
	s_cbranch_execz .LBB5062_85
; %bb.84:
	ds_read_b32 v0, v2 offset:6144
	v_mov_b32_e32 v1, 0
	s_waitcnt lgkmcnt(0)
	global_store_dword v1, v0, s[18:19]
.LBB5062_85:
	s_or_b64 exec, exec, s[6:7]
                                        ; implicit-def: $vgpr2
                                        ; implicit-def: $vgpr0_vgpr1
.LBB5062_86:
	s_andn2_saveexec_b64 s[4:5], s[4:5]
	s_cbranch_execz .LBB5062_92
; %bb.87:
	v_cmp_lt_i64_e32 vcc, 10, v[0:1]
	s_and_saveexec_b64 s[6:7], vcc
	s_xor_b64 s[6:7], exec, s[6:7]
	s_cbranch_execz .LBB5062_89
; %bb.88:
	ds_read_b32 v0, v2 offset:5632
	v_mov_b32_e32 v1, 0
                                        ; implicit-def: $vgpr2
	s_waitcnt lgkmcnt(0)
	global_store_dword v1, v0, s[18:19]
.LBB5062_89:
	s_andn2_saveexec_b64 s[6:7], s[6:7]
	s_cbranch_execz .LBB5062_91
; %bb.90:
	ds_read_b32 v0, v2 offset:5120
	v_mov_b32_e32 v1, 0
	s_waitcnt lgkmcnt(0)
	global_store_dword v1, v0, s[18:19]
.LBB5062_91:
	s_or_b64 exec, exec, s[6:7]
.LBB5062_92:
	s_or_b64 exec, exec, s[4:5]
                                        ; implicit-def: $vgpr2
                                        ; implicit-def: $vgpr0_vgpr1
.LBB5062_93:
	s_andn2_saveexec_b64 s[2:3], s[2:3]
	s_cbranch_execz .LBB5062_103
; %bb.94:
	v_cmp_lt_i64_e32 vcc, 7, v[0:1]
	s_and_saveexec_b64 s[4:5], vcc
	s_xor_b64 s[4:5], exec, s[4:5]
	s_cbranch_execz .LBB5062_100
; %bb.95:
	v_cmp_lt_i64_e32 vcc, 8, v[0:1]
	s_and_saveexec_b64 s[6:7], vcc
	s_xor_b64 s[6:7], exec, s[6:7]
	s_cbranch_execz .LBB5062_97
; %bb.96:
	ds_read_b32 v0, v2 offset:4608
	v_mov_b32_e32 v1, 0
                                        ; implicit-def: $vgpr2
	s_waitcnt lgkmcnt(0)
	global_store_dword v1, v0, s[18:19]
.LBB5062_97:
	s_andn2_saveexec_b64 s[6:7], s[6:7]
	s_cbranch_execz .LBB5062_99
; %bb.98:
	ds_read_b32 v0, v2 offset:4096
	v_mov_b32_e32 v1, 0
	s_waitcnt lgkmcnt(0)
	global_store_dword v1, v0, s[18:19]
.LBB5062_99:
	s_or_b64 exec, exec, s[6:7]
                                        ; implicit-def: $vgpr2
.LBB5062_100:
	s_andn2_saveexec_b64 s[4:5], s[4:5]
	s_cbranch_execz .LBB5062_102
; %bb.101:
	ds_read_b32 v0, v2 offset:3584
	v_mov_b32_e32 v1, 0
	s_waitcnt lgkmcnt(0)
	global_store_dword v1, v0, s[18:19]
.LBB5062_102:
	s_or_b64 exec, exec, s[4:5]
.LBB5062_103:
	s_or_b64 exec, exec, s[2:3]
                                        ; implicit-def: $vgpr0_vgpr1
                                        ; implicit-def: $vgpr2
.LBB5062_104:
	s_andn2_saveexec_b64 s[0:1], s[0:1]
	s_cbranch_execz .LBB5062_127
; %bb.105:
	v_cmp_lt_i64_e32 vcc, 3, v[0:1]
	s_and_saveexec_b64 s[0:1], vcc
	s_xor_b64 s[0:1], exec, s[0:1]
	s_cbranch_execz .LBB5062_115
; %bb.106:
	v_cmp_lt_i64_e32 vcc, 4, v[0:1]
	s_and_saveexec_b64 s[2:3], vcc
	s_xor_b64 s[2:3], exec, s[2:3]
	;; [unrolled: 5-line block ×3, first 2 shown]
	s_cbranch_execz .LBB5062_109
; %bb.108:
	ds_read_b32 v0, v2 offset:3072
	v_mov_b32_e32 v1, 0
                                        ; implicit-def: $vgpr2
	s_waitcnt lgkmcnt(0)
	global_store_dword v1, v0, s[18:19]
.LBB5062_109:
	s_andn2_saveexec_b64 s[4:5], s[4:5]
	s_cbranch_execz .LBB5062_111
; %bb.110:
	ds_read_b32 v0, v2 offset:2560
	v_mov_b32_e32 v1, 0
	s_waitcnt lgkmcnt(0)
	global_store_dword v1, v0, s[18:19]
.LBB5062_111:
	s_or_b64 exec, exec, s[4:5]
                                        ; implicit-def: $vgpr2
.LBB5062_112:
	s_andn2_saveexec_b64 s[2:3], s[2:3]
	s_cbranch_execz .LBB5062_114
; %bb.113:
	ds_read_b32 v0, v2 offset:2048
	v_mov_b32_e32 v1, 0
	s_waitcnt lgkmcnt(0)
	global_store_dword v1, v0, s[18:19]
.LBB5062_114:
	s_or_b64 exec, exec, s[2:3]
                                        ; implicit-def: $vgpr0_vgpr1
                                        ; implicit-def: $vgpr2
.LBB5062_115:
	s_andn2_saveexec_b64 s[0:1], s[0:1]
	s_cbranch_execz .LBB5062_127
; %bb.116:
	v_cmp_lt_i64_e32 vcc, 1, v[0:1]
	s_and_saveexec_b64 s[0:1], vcc
	s_xor_b64 s[0:1], exec, s[0:1]
	s_cbranch_execz .LBB5062_122
; %bb.117:
	v_cmp_lt_i64_e32 vcc, 2, v[0:1]
	s_and_saveexec_b64 s[2:3], vcc
	s_xor_b64 s[2:3], exec, s[2:3]
	s_cbranch_execz .LBB5062_119
; %bb.118:
	ds_read_b32 v0, v2 offset:1536
	v_mov_b32_e32 v1, 0
                                        ; implicit-def: $vgpr2
	s_waitcnt lgkmcnt(0)
	global_store_dword v1, v0, s[18:19]
.LBB5062_119:
	s_andn2_saveexec_b64 s[2:3], s[2:3]
	s_cbranch_execz .LBB5062_121
; %bb.120:
	ds_read_b32 v0, v2 offset:1024
	v_mov_b32_e32 v1, 0
	s_waitcnt lgkmcnt(0)
	global_store_dword v1, v0, s[18:19]
.LBB5062_121:
	s_or_b64 exec, exec, s[2:3]
                                        ; implicit-def: $vgpr2
                                        ; implicit-def: $vgpr0_vgpr1
.LBB5062_122:
	s_andn2_saveexec_b64 s[0:1], s[0:1]
	s_cbranch_execz .LBB5062_127
; %bb.123:
	v_cmp_ne_u64_e32 vcc, 1, v[0:1]
	s_and_saveexec_b64 s[0:1], vcc
	s_xor_b64 s[0:1], exec, s[0:1]
	s_cbranch_execz .LBB5062_125
; %bb.124:
	ds_read_b32 v0, v2
	v_mov_b32_e32 v1, 0
                                        ; implicit-def: $vgpr2
	s_waitcnt lgkmcnt(0)
	global_store_dword v1, v0, s[18:19]
.LBB5062_125:
	s_andn2_saveexec_b64 s[0:1], s[0:1]
	s_cbranch_execz .LBB5062_127
; %bb.126:
	ds_read_b32 v0, v2 offset:512
	v_mov_b32_e32 v1, 0
	s_waitcnt lgkmcnt(0)
	global_store_dword v1, v0, s[18:19]
.LBB5062_127:
	s_endpgm
	.section	.rodata,"a",@progbits
	.p2align	6, 0x0
	.amdhsa_kernel _ZN7rocprim17ROCPRIM_400000_NS6detail17trampoline_kernelINS0_14default_configENS1_20scan_config_selectorIfEEZZNS1_9scan_implILNS1_25lookback_scan_determinismE0ELb0ELb0ES3_N6thrust23THRUST_200600_302600_NS6detail15normal_iteratorINS9_10device_ptrIfEEEENS9_16discard_iteratorINS9_11use_defaultEEEfNS9_4plusIvEEfEEDaPvRmT3_T4_T5_mT6_P12ihipStream_tbENKUlT_T0_E_clISt17integral_constantIbLb0EESW_IbLb1EEEEDaSS_ST_EUlSS_E_NS1_11comp_targetILNS1_3genE4ELNS1_11target_archE910ELNS1_3gpuE8ELNS1_3repE0EEENS1_30default_config_static_selectorELNS0_4arch9wavefront6targetE1EEEvT1_
		.amdhsa_group_segment_fixed_size 7168
		.amdhsa_private_segment_fixed_size 0
		.amdhsa_kernarg_size 104
		.amdhsa_user_sgpr_count 6
		.amdhsa_user_sgpr_private_segment_buffer 1
		.amdhsa_user_sgpr_dispatch_ptr 0
		.amdhsa_user_sgpr_queue_ptr 0
		.amdhsa_user_sgpr_kernarg_segment_ptr 1
		.amdhsa_user_sgpr_dispatch_id 0
		.amdhsa_user_sgpr_flat_scratch_init 0
		.amdhsa_user_sgpr_kernarg_preload_length 0
		.amdhsa_user_sgpr_kernarg_preload_offset 0
		.amdhsa_user_sgpr_private_segment_size 0
		.amdhsa_uses_dynamic_stack 0
		.amdhsa_system_sgpr_private_segment_wavefront_offset 0
		.amdhsa_system_sgpr_workgroup_id_x 1
		.amdhsa_system_sgpr_workgroup_id_y 0
		.amdhsa_system_sgpr_workgroup_id_z 0
		.amdhsa_system_sgpr_workgroup_info 0
		.amdhsa_system_vgpr_workitem_id 0
		.amdhsa_next_free_vgpr 47
		.amdhsa_next_free_sgpr 31
		.amdhsa_accum_offset 48
		.amdhsa_reserve_vcc 1
		.amdhsa_reserve_flat_scratch 0
		.amdhsa_float_round_mode_32 0
		.amdhsa_float_round_mode_16_64 0
		.amdhsa_float_denorm_mode_32 3
		.amdhsa_float_denorm_mode_16_64 3
		.amdhsa_dx10_clamp 1
		.amdhsa_ieee_mode 1
		.amdhsa_fp16_overflow 0
		.amdhsa_tg_split 0
		.amdhsa_exception_fp_ieee_invalid_op 0
		.amdhsa_exception_fp_denorm_src 0
		.amdhsa_exception_fp_ieee_div_zero 0
		.amdhsa_exception_fp_ieee_overflow 0
		.amdhsa_exception_fp_ieee_underflow 0
		.amdhsa_exception_fp_ieee_inexact 0
		.amdhsa_exception_int_div_zero 0
	.end_amdhsa_kernel
	.section	.text._ZN7rocprim17ROCPRIM_400000_NS6detail17trampoline_kernelINS0_14default_configENS1_20scan_config_selectorIfEEZZNS1_9scan_implILNS1_25lookback_scan_determinismE0ELb0ELb0ES3_N6thrust23THRUST_200600_302600_NS6detail15normal_iteratorINS9_10device_ptrIfEEEENS9_16discard_iteratorINS9_11use_defaultEEEfNS9_4plusIvEEfEEDaPvRmT3_T4_T5_mT6_P12ihipStream_tbENKUlT_T0_E_clISt17integral_constantIbLb0EESW_IbLb1EEEEDaSS_ST_EUlSS_E_NS1_11comp_targetILNS1_3genE4ELNS1_11target_archE910ELNS1_3gpuE8ELNS1_3repE0EEENS1_30default_config_static_selectorELNS0_4arch9wavefront6targetE1EEEvT1_,"axG",@progbits,_ZN7rocprim17ROCPRIM_400000_NS6detail17trampoline_kernelINS0_14default_configENS1_20scan_config_selectorIfEEZZNS1_9scan_implILNS1_25lookback_scan_determinismE0ELb0ELb0ES3_N6thrust23THRUST_200600_302600_NS6detail15normal_iteratorINS9_10device_ptrIfEEEENS9_16discard_iteratorINS9_11use_defaultEEEfNS9_4plusIvEEfEEDaPvRmT3_T4_T5_mT6_P12ihipStream_tbENKUlT_T0_E_clISt17integral_constantIbLb0EESW_IbLb1EEEEDaSS_ST_EUlSS_E_NS1_11comp_targetILNS1_3genE4ELNS1_11target_archE910ELNS1_3gpuE8ELNS1_3repE0EEENS1_30default_config_static_selectorELNS0_4arch9wavefront6targetE1EEEvT1_,comdat
.Lfunc_end5062:
	.size	_ZN7rocprim17ROCPRIM_400000_NS6detail17trampoline_kernelINS0_14default_configENS1_20scan_config_selectorIfEEZZNS1_9scan_implILNS1_25lookback_scan_determinismE0ELb0ELb0ES3_N6thrust23THRUST_200600_302600_NS6detail15normal_iteratorINS9_10device_ptrIfEEEENS9_16discard_iteratorINS9_11use_defaultEEEfNS9_4plusIvEEfEEDaPvRmT3_T4_T5_mT6_P12ihipStream_tbENKUlT_T0_E_clISt17integral_constantIbLb0EESW_IbLb1EEEEDaSS_ST_EUlSS_E_NS1_11comp_targetILNS1_3genE4ELNS1_11target_archE910ELNS1_3gpuE8ELNS1_3repE0EEENS1_30default_config_static_selectorELNS0_4arch9wavefront6targetE1EEEvT1_, .Lfunc_end5062-_ZN7rocprim17ROCPRIM_400000_NS6detail17trampoline_kernelINS0_14default_configENS1_20scan_config_selectorIfEEZZNS1_9scan_implILNS1_25lookback_scan_determinismE0ELb0ELb0ES3_N6thrust23THRUST_200600_302600_NS6detail15normal_iteratorINS9_10device_ptrIfEEEENS9_16discard_iteratorINS9_11use_defaultEEEfNS9_4plusIvEEfEEDaPvRmT3_T4_T5_mT6_P12ihipStream_tbENKUlT_T0_E_clISt17integral_constantIbLb0EESW_IbLb1EEEEDaSS_ST_EUlSS_E_NS1_11comp_targetILNS1_3genE4ELNS1_11target_archE910ELNS1_3gpuE8ELNS1_3repE0EEENS1_30default_config_static_selectorELNS0_4arch9wavefront6targetE1EEEvT1_
                                        ; -- End function
	.section	.AMDGPU.csdata,"",@progbits
; Kernel info:
; codeLenInByte = 4932
; NumSgprs: 35
; NumVgprs: 47
; NumAgprs: 0
; TotalNumVgprs: 47
; ScratchSize: 0
; MemoryBound: 0
; FloatMode: 240
; IeeeMode: 1
; LDSByteSize: 7168 bytes/workgroup (compile time only)
; SGPRBlocks: 4
; VGPRBlocks: 5
; NumSGPRsForWavesPerEU: 35
; NumVGPRsForWavesPerEU: 47
; AccumOffset: 48
; Occupancy: 5
; WaveLimiterHint : 1
; COMPUTE_PGM_RSRC2:SCRATCH_EN: 0
; COMPUTE_PGM_RSRC2:USER_SGPR: 6
; COMPUTE_PGM_RSRC2:TRAP_HANDLER: 0
; COMPUTE_PGM_RSRC2:TGID_X_EN: 1
; COMPUTE_PGM_RSRC2:TGID_Y_EN: 0
; COMPUTE_PGM_RSRC2:TGID_Z_EN: 0
; COMPUTE_PGM_RSRC2:TIDIG_COMP_CNT: 0
; COMPUTE_PGM_RSRC3_GFX90A:ACCUM_OFFSET: 11
; COMPUTE_PGM_RSRC3_GFX90A:TG_SPLIT: 0
	.section	.text._ZN7rocprim17ROCPRIM_400000_NS6detail17trampoline_kernelINS0_14default_configENS1_20scan_config_selectorIfEEZZNS1_9scan_implILNS1_25lookback_scan_determinismE0ELb0ELb0ES3_N6thrust23THRUST_200600_302600_NS6detail15normal_iteratorINS9_10device_ptrIfEEEENS9_16discard_iteratorINS9_11use_defaultEEEfNS9_4plusIvEEfEEDaPvRmT3_T4_T5_mT6_P12ihipStream_tbENKUlT_T0_E_clISt17integral_constantIbLb0EESW_IbLb1EEEEDaSS_ST_EUlSS_E_NS1_11comp_targetILNS1_3genE3ELNS1_11target_archE908ELNS1_3gpuE7ELNS1_3repE0EEENS1_30default_config_static_selectorELNS0_4arch9wavefront6targetE1EEEvT1_,"axG",@progbits,_ZN7rocprim17ROCPRIM_400000_NS6detail17trampoline_kernelINS0_14default_configENS1_20scan_config_selectorIfEEZZNS1_9scan_implILNS1_25lookback_scan_determinismE0ELb0ELb0ES3_N6thrust23THRUST_200600_302600_NS6detail15normal_iteratorINS9_10device_ptrIfEEEENS9_16discard_iteratorINS9_11use_defaultEEEfNS9_4plusIvEEfEEDaPvRmT3_T4_T5_mT6_P12ihipStream_tbENKUlT_T0_E_clISt17integral_constantIbLb0EESW_IbLb1EEEEDaSS_ST_EUlSS_E_NS1_11comp_targetILNS1_3genE3ELNS1_11target_archE908ELNS1_3gpuE7ELNS1_3repE0EEENS1_30default_config_static_selectorELNS0_4arch9wavefront6targetE1EEEvT1_,comdat
	.protected	_ZN7rocprim17ROCPRIM_400000_NS6detail17trampoline_kernelINS0_14default_configENS1_20scan_config_selectorIfEEZZNS1_9scan_implILNS1_25lookback_scan_determinismE0ELb0ELb0ES3_N6thrust23THRUST_200600_302600_NS6detail15normal_iteratorINS9_10device_ptrIfEEEENS9_16discard_iteratorINS9_11use_defaultEEEfNS9_4plusIvEEfEEDaPvRmT3_T4_T5_mT6_P12ihipStream_tbENKUlT_T0_E_clISt17integral_constantIbLb0EESW_IbLb1EEEEDaSS_ST_EUlSS_E_NS1_11comp_targetILNS1_3genE3ELNS1_11target_archE908ELNS1_3gpuE7ELNS1_3repE0EEENS1_30default_config_static_selectorELNS0_4arch9wavefront6targetE1EEEvT1_ ; -- Begin function _ZN7rocprim17ROCPRIM_400000_NS6detail17trampoline_kernelINS0_14default_configENS1_20scan_config_selectorIfEEZZNS1_9scan_implILNS1_25lookback_scan_determinismE0ELb0ELb0ES3_N6thrust23THRUST_200600_302600_NS6detail15normal_iteratorINS9_10device_ptrIfEEEENS9_16discard_iteratorINS9_11use_defaultEEEfNS9_4plusIvEEfEEDaPvRmT3_T4_T5_mT6_P12ihipStream_tbENKUlT_T0_E_clISt17integral_constantIbLb0EESW_IbLb1EEEEDaSS_ST_EUlSS_E_NS1_11comp_targetILNS1_3genE3ELNS1_11target_archE908ELNS1_3gpuE7ELNS1_3repE0EEENS1_30default_config_static_selectorELNS0_4arch9wavefront6targetE1EEEvT1_
	.globl	_ZN7rocprim17ROCPRIM_400000_NS6detail17trampoline_kernelINS0_14default_configENS1_20scan_config_selectorIfEEZZNS1_9scan_implILNS1_25lookback_scan_determinismE0ELb0ELb0ES3_N6thrust23THRUST_200600_302600_NS6detail15normal_iteratorINS9_10device_ptrIfEEEENS9_16discard_iteratorINS9_11use_defaultEEEfNS9_4plusIvEEfEEDaPvRmT3_T4_T5_mT6_P12ihipStream_tbENKUlT_T0_E_clISt17integral_constantIbLb0EESW_IbLb1EEEEDaSS_ST_EUlSS_E_NS1_11comp_targetILNS1_3genE3ELNS1_11target_archE908ELNS1_3gpuE7ELNS1_3repE0EEENS1_30default_config_static_selectorELNS0_4arch9wavefront6targetE1EEEvT1_
	.p2align	8
	.type	_ZN7rocprim17ROCPRIM_400000_NS6detail17trampoline_kernelINS0_14default_configENS1_20scan_config_selectorIfEEZZNS1_9scan_implILNS1_25lookback_scan_determinismE0ELb0ELb0ES3_N6thrust23THRUST_200600_302600_NS6detail15normal_iteratorINS9_10device_ptrIfEEEENS9_16discard_iteratorINS9_11use_defaultEEEfNS9_4plusIvEEfEEDaPvRmT3_T4_T5_mT6_P12ihipStream_tbENKUlT_T0_E_clISt17integral_constantIbLb0EESW_IbLb1EEEEDaSS_ST_EUlSS_E_NS1_11comp_targetILNS1_3genE3ELNS1_11target_archE908ELNS1_3gpuE7ELNS1_3repE0EEENS1_30default_config_static_selectorELNS0_4arch9wavefront6targetE1EEEvT1_,@function
_ZN7rocprim17ROCPRIM_400000_NS6detail17trampoline_kernelINS0_14default_configENS1_20scan_config_selectorIfEEZZNS1_9scan_implILNS1_25lookback_scan_determinismE0ELb0ELb0ES3_N6thrust23THRUST_200600_302600_NS6detail15normal_iteratorINS9_10device_ptrIfEEEENS9_16discard_iteratorINS9_11use_defaultEEEfNS9_4plusIvEEfEEDaPvRmT3_T4_T5_mT6_P12ihipStream_tbENKUlT_T0_E_clISt17integral_constantIbLb0EESW_IbLb1EEEEDaSS_ST_EUlSS_E_NS1_11comp_targetILNS1_3genE3ELNS1_11target_archE908ELNS1_3gpuE7ELNS1_3repE0EEENS1_30default_config_static_selectorELNS0_4arch9wavefront6targetE1EEEvT1_: ; @_ZN7rocprim17ROCPRIM_400000_NS6detail17trampoline_kernelINS0_14default_configENS1_20scan_config_selectorIfEEZZNS1_9scan_implILNS1_25lookback_scan_determinismE0ELb0ELb0ES3_N6thrust23THRUST_200600_302600_NS6detail15normal_iteratorINS9_10device_ptrIfEEEENS9_16discard_iteratorINS9_11use_defaultEEEfNS9_4plusIvEEfEEDaPvRmT3_T4_T5_mT6_P12ihipStream_tbENKUlT_T0_E_clISt17integral_constantIbLb0EESW_IbLb1EEEEDaSS_ST_EUlSS_E_NS1_11comp_targetILNS1_3genE3ELNS1_11target_archE908ELNS1_3gpuE7ELNS1_3repE0EEENS1_30default_config_static_selectorELNS0_4arch9wavefront6targetE1EEEvT1_
; %bb.0:
	.section	.rodata,"a",@progbits
	.p2align	6, 0x0
	.amdhsa_kernel _ZN7rocprim17ROCPRIM_400000_NS6detail17trampoline_kernelINS0_14default_configENS1_20scan_config_selectorIfEEZZNS1_9scan_implILNS1_25lookback_scan_determinismE0ELb0ELb0ES3_N6thrust23THRUST_200600_302600_NS6detail15normal_iteratorINS9_10device_ptrIfEEEENS9_16discard_iteratorINS9_11use_defaultEEEfNS9_4plusIvEEfEEDaPvRmT3_T4_T5_mT6_P12ihipStream_tbENKUlT_T0_E_clISt17integral_constantIbLb0EESW_IbLb1EEEEDaSS_ST_EUlSS_E_NS1_11comp_targetILNS1_3genE3ELNS1_11target_archE908ELNS1_3gpuE7ELNS1_3repE0EEENS1_30default_config_static_selectorELNS0_4arch9wavefront6targetE1EEEvT1_
		.amdhsa_group_segment_fixed_size 0
		.amdhsa_private_segment_fixed_size 0
		.amdhsa_kernarg_size 104
		.amdhsa_user_sgpr_count 6
		.amdhsa_user_sgpr_private_segment_buffer 1
		.amdhsa_user_sgpr_dispatch_ptr 0
		.amdhsa_user_sgpr_queue_ptr 0
		.amdhsa_user_sgpr_kernarg_segment_ptr 1
		.amdhsa_user_sgpr_dispatch_id 0
		.amdhsa_user_sgpr_flat_scratch_init 0
		.amdhsa_user_sgpr_kernarg_preload_length 0
		.amdhsa_user_sgpr_kernarg_preload_offset 0
		.amdhsa_user_sgpr_private_segment_size 0
		.amdhsa_uses_dynamic_stack 0
		.amdhsa_system_sgpr_private_segment_wavefront_offset 0
		.amdhsa_system_sgpr_workgroup_id_x 1
		.amdhsa_system_sgpr_workgroup_id_y 0
		.amdhsa_system_sgpr_workgroup_id_z 0
		.amdhsa_system_sgpr_workgroup_info 0
		.amdhsa_system_vgpr_workitem_id 0
		.amdhsa_next_free_vgpr 1
		.amdhsa_next_free_sgpr 0
		.amdhsa_accum_offset 4
		.amdhsa_reserve_vcc 0
		.amdhsa_reserve_flat_scratch 0
		.amdhsa_float_round_mode_32 0
		.amdhsa_float_round_mode_16_64 0
		.amdhsa_float_denorm_mode_32 3
		.amdhsa_float_denorm_mode_16_64 3
		.amdhsa_dx10_clamp 1
		.amdhsa_ieee_mode 1
		.amdhsa_fp16_overflow 0
		.amdhsa_tg_split 0
		.amdhsa_exception_fp_ieee_invalid_op 0
		.amdhsa_exception_fp_denorm_src 0
		.amdhsa_exception_fp_ieee_div_zero 0
		.amdhsa_exception_fp_ieee_overflow 0
		.amdhsa_exception_fp_ieee_underflow 0
		.amdhsa_exception_fp_ieee_inexact 0
		.amdhsa_exception_int_div_zero 0
	.end_amdhsa_kernel
	.section	.text._ZN7rocprim17ROCPRIM_400000_NS6detail17trampoline_kernelINS0_14default_configENS1_20scan_config_selectorIfEEZZNS1_9scan_implILNS1_25lookback_scan_determinismE0ELb0ELb0ES3_N6thrust23THRUST_200600_302600_NS6detail15normal_iteratorINS9_10device_ptrIfEEEENS9_16discard_iteratorINS9_11use_defaultEEEfNS9_4plusIvEEfEEDaPvRmT3_T4_T5_mT6_P12ihipStream_tbENKUlT_T0_E_clISt17integral_constantIbLb0EESW_IbLb1EEEEDaSS_ST_EUlSS_E_NS1_11comp_targetILNS1_3genE3ELNS1_11target_archE908ELNS1_3gpuE7ELNS1_3repE0EEENS1_30default_config_static_selectorELNS0_4arch9wavefront6targetE1EEEvT1_,"axG",@progbits,_ZN7rocprim17ROCPRIM_400000_NS6detail17trampoline_kernelINS0_14default_configENS1_20scan_config_selectorIfEEZZNS1_9scan_implILNS1_25lookback_scan_determinismE0ELb0ELb0ES3_N6thrust23THRUST_200600_302600_NS6detail15normal_iteratorINS9_10device_ptrIfEEEENS9_16discard_iteratorINS9_11use_defaultEEEfNS9_4plusIvEEfEEDaPvRmT3_T4_T5_mT6_P12ihipStream_tbENKUlT_T0_E_clISt17integral_constantIbLb0EESW_IbLb1EEEEDaSS_ST_EUlSS_E_NS1_11comp_targetILNS1_3genE3ELNS1_11target_archE908ELNS1_3gpuE7ELNS1_3repE0EEENS1_30default_config_static_selectorELNS0_4arch9wavefront6targetE1EEEvT1_,comdat
.Lfunc_end5063:
	.size	_ZN7rocprim17ROCPRIM_400000_NS6detail17trampoline_kernelINS0_14default_configENS1_20scan_config_selectorIfEEZZNS1_9scan_implILNS1_25lookback_scan_determinismE0ELb0ELb0ES3_N6thrust23THRUST_200600_302600_NS6detail15normal_iteratorINS9_10device_ptrIfEEEENS9_16discard_iteratorINS9_11use_defaultEEEfNS9_4plusIvEEfEEDaPvRmT3_T4_T5_mT6_P12ihipStream_tbENKUlT_T0_E_clISt17integral_constantIbLb0EESW_IbLb1EEEEDaSS_ST_EUlSS_E_NS1_11comp_targetILNS1_3genE3ELNS1_11target_archE908ELNS1_3gpuE7ELNS1_3repE0EEENS1_30default_config_static_selectorELNS0_4arch9wavefront6targetE1EEEvT1_, .Lfunc_end5063-_ZN7rocprim17ROCPRIM_400000_NS6detail17trampoline_kernelINS0_14default_configENS1_20scan_config_selectorIfEEZZNS1_9scan_implILNS1_25lookback_scan_determinismE0ELb0ELb0ES3_N6thrust23THRUST_200600_302600_NS6detail15normal_iteratorINS9_10device_ptrIfEEEENS9_16discard_iteratorINS9_11use_defaultEEEfNS9_4plusIvEEfEEDaPvRmT3_T4_T5_mT6_P12ihipStream_tbENKUlT_T0_E_clISt17integral_constantIbLb0EESW_IbLb1EEEEDaSS_ST_EUlSS_E_NS1_11comp_targetILNS1_3genE3ELNS1_11target_archE908ELNS1_3gpuE7ELNS1_3repE0EEENS1_30default_config_static_selectorELNS0_4arch9wavefront6targetE1EEEvT1_
                                        ; -- End function
	.section	.AMDGPU.csdata,"",@progbits
; Kernel info:
; codeLenInByte = 0
; NumSgprs: 4
; NumVgprs: 0
; NumAgprs: 0
; TotalNumVgprs: 0
; ScratchSize: 0
; MemoryBound: 0
; FloatMode: 240
; IeeeMode: 1
; LDSByteSize: 0 bytes/workgroup (compile time only)
; SGPRBlocks: 0
; VGPRBlocks: 0
; NumSGPRsForWavesPerEU: 4
; NumVGPRsForWavesPerEU: 1
; AccumOffset: 4
; Occupancy: 8
; WaveLimiterHint : 0
; COMPUTE_PGM_RSRC2:SCRATCH_EN: 0
; COMPUTE_PGM_RSRC2:USER_SGPR: 6
; COMPUTE_PGM_RSRC2:TRAP_HANDLER: 0
; COMPUTE_PGM_RSRC2:TGID_X_EN: 1
; COMPUTE_PGM_RSRC2:TGID_Y_EN: 0
; COMPUTE_PGM_RSRC2:TGID_Z_EN: 0
; COMPUTE_PGM_RSRC2:TIDIG_COMP_CNT: 0
; COMPUTE_PGM_RSRC3_GFX90A:ACCUM_OFFSET: 0
; COMPUTE_PGM_RSRC3_GFX90A:TG_SPLIT: 0
	.section	.text._ZN7rocprim17ROCPRIM_400000_NS6detail17trampoline_kernelINS0_14default_configENS1_20scan_config_selectorIfEEZZNS1_9scan_implILNS1_25lookback_scan_determinismE0ELb0ELb0ES3_N6thrust23THRUST_200600_302600_NS6detail15normal_iteratorINS9_10device_ptrIfEEEENS9_16discard_iteratorINS9_11use_defaultEEEfNS9_4plusIvEEfEEDaPvRmT3_T4_T5_mT6_P12ihipStream_tbENKUlT_T0_E_clISt17integral_constantIbLb0EESW_IbLb1EEEEDaSS_ST_EUlSS_E_NS1_11comp_targetILNS1_3genE2ELNS1_11target_archE906ELNS1_3gpuE6ELNS1_3repE0EEENS1_30default_config_static_selectorELNS0_4arch9wavefront6targetE1EEEvT1_,"axG",@progbits,_ZN7rocprim17ROCPRIM_400000_NS6detail17trampoline_kernelINS0_14default_configENS1_20scan_config_selectorIfEEZZNS1_9scan_implILNS1_25lookback_scan_determinismE0ELb0ELb0ES3_N6thrust23THRUST_200600_302600_NS6detail15normal_iteratorINS9_10device_ptrIfEEEENS9_16discard_iteratorINS9_11use_defaultEEEfNS9_4plusIvEEfEEDaPvRmT3_T4_T5_mT6_P12ihipStream_tbENKUlT_T0_E_clISt17integral_constantIbLb0EESW_IbLb1EEEEDaSS_ST_EUlSS_E_NS1_11comp_targetILNS1_3genE2ELNS1_11target_archE906ELNS1_3gpuE6ELNS1_3repE0EEENS1_30default_config_static_selectorELNS0_4arch9wavefront6targetE1EEEvT1_,comdat
	.protected	_ZN7rocprim17ROCPRIM_400000_NS6detail17trampoline_kernelINS0_14default_configENS1_20scan_config_selectorIfEEZZNS1_9scan_implILNS1_25lookback_scan_determinismE0ELb0ELb0ES3_N6thrust23THRUST_200600_302600_NS6detail15normal_iteratorINS9_10device_ptrIfEEEENS9_16discard_iteratorINS9_11use_defaultEEEfNS9_4plusIvEEfEEDaPvRmT3_T4_T5_mT6_P12ihipStream_tbENKUlT_T0_E_clISt17integral_constantIbLb0EESW_IbLb1EEEEDaSS_ST_EUlSS_E_NS1_11comp_targetILNS1_3genE2ELNS1_11target_archE906ELNS1_3gpuE6ELNS1_3repE0EEENS1_30default_config_static_selectorELNS0_4arch9wavefront6targetE1EEEvT1_ ; -- Begin function _ZN7rocprim17ROCPRIM_400000_NS6detail17trampoline_kernelINS0_14default_configENS1_20scan_config_selectorIfEEZZNS1_9scan_implILNS1_25lookback_scan_determinismE0ELb0ELb0ES3_N6thrust23THRUST_200600_302600_NS6detail15normal_iteratorINS9_10device_ptrIfEEEENS9_16discard_iteratorINS9_11use_defaultEEEfNS9_4plusIvEEfEEDaPvRmT3_T4_T5_mT6_P12ihipStream_tbENKUlT_T0_E_clISt17integral_constantIbLb0EESW_IbLb1EEEEDaSS_ST_EUlSS_E_NS1_11comp_targetILNS1_3genE2ELNS1_11target_archE906ELNS1_3gpuE6ELNS1_3repE0EEENS1_30default_config_static_selectorELNS0_4arch9wavefront6targetE1EEEvT1_
	.globl	_ZN7rocprim17ROCPRIM_400000_NS6detail17trampoline_kernelINS0_14default_configENS1_20scan_config_selectorIfEEZZNS1_9scan_implILNS1_25lookback_scan_determinismE0ELb0ELb0ES3_N6thrust23THRUST_200600_302600_NS6detail15normal_iteratorINS9_10device_ptrIfEEEENS9_16discard_iteratorINS9_11use_defaultEEEfNS9_4plusIvEEfEEDaPvRmT3_T4_T5_mT6_P12ihipStream_tbENKUlT_T0_E_clISt17integral_constantIbLb0EESW_IbLb1EEEEDaSS_ST_EUlSS_E_NS1_11comp_targetILNS1_3genE2ELNS1_11target_archE906ELNS1_3gpuE6ELNS1_3repE0EEENS1_30default_config_static_selectorELNS0_4arch9wavefront6targetE1EEEvT1_
	.p2align	8
	.type	_ZN7rocprim17ROCPRIM_400000_NS6detail17trampoline_kernelINS0_14default_configENS1_20scan_config_selectorIfEEZZNS1_9scan_implILNS1_25lookback_scan_determinismE0ELb0ELb0ES3_N6thrust23THRUST_200600_302600_NS6detail15normal_iteratorINS9_10device_ptrIfEEEENS9_16discard_iteratorINS9_11use_defaultEEEfNS9_4plusIvEEfEEDaPvRmT3_T4_T5_mT6_P12ihipStream_tbENKUlT_T0_E_clISt17integral_constantIbLb0EESW_IbLb1EEEEDaSS_ST_EUlSS_E_NS1_11comp_targetILNS1_3genE2ELNS1_11target_archE906ELNS1_3gpuE6ELNS1_3repE0EEENS1_30default_config_static_selectorELNS0_4arch9wavefront6targetE1EEEvT1_,@function
_ZN7rocprim17ROCPRIM_400000_NS6detail17trampoline_kernelINS0_14default_configENS1_20scan_config_selectorIfEEZZNS1_9scan_implILNS1_25lookback_scan_determinismE0ELb0ELb0ES3_N6thrust23THRUST_200600_302600_NS6detail15normal_iteratorINS9_10device_ptrIfEEEENS9_16discard_iteratorINS9_11use_defaultEEEfNS9_4plusIvEEfEEDaPvRmT3_T4_T5_mT6_P12ihipStream_tbENKUlT_T0_E_clISt17integral_constantIbLb0EESW_IbLb1EEEEDaSS_ST_EUlSS_E_NS1_11comp_targetILNS1_3genE2ELNS1_11target_archE906ELNS1_3gpuE6ELNS1_3repE0EEENS1_30default_config_static_selectorELNS0_4arch9wavefront6targetE1EEEvT1_: ; @_ZN7rocprim17ROCPRIM_400000_NS6detail17trampoline_kernelINS0_14default_configENS1_20scan_config_selectorIfEEZZNS1_9scan_implILNS1_25lookback_scan_determinismE0ELb0ELb0ES3_N6thrust23THRUST_200600_302600_NS6detail15normal_iteratorINS9_10device_ptrIfEEEENS9_16discard_iteratorINS9_11use_defaultEEEfNS9_4plusIvEEfEEDaPvRmT3_T4_T5_mT6_P12ihipStream_tbENKUlT_T0_E_clISt17integral_constantIbLb0EESW_IbLb1EEEEDaSS_ST_EUlSS_E_NS1_11comp_targetILNS1_3genE2ELNS1_11target_archE906ELNS1_3gpuE6ELNS1_3repE0EEENS1_30default_config_static_selectorELNS0_4arch9wavefront6targetE1EEEvT1_
; %bb.0:
	.section	.rodata,"a",@progbits
	.p2align	6, 0x0
	.amdhsa_kernel _ZN7rocprim17ROCPRIM_400000_NS6detail17trampoline_kernelINS0_14default_configENS1_20scan_config_selectorIfEEZZNS1_9scan_implILNS1_25lookback_scan_determinismE0ELb0ELb0ES3_N6thrust23THRUST_200600_302600_NS6detail15normal_iteratorINS9_10device_ptrIfEEEENS9_16discard_iteratorINS9_11use_defaultEEEfNS9_4plusIvEEfEEDaPvRmT3_T4_T5_mT6_P12ihipStream_tbENKUlT_T0_E_clISt17integral_constantIbLb0EESW_IbLb1EEEEDaSS_ST_EUlSS_E_NS1_11comp_targetILNS1_3genE2ELNS1_11target_archE906ELNS1_3gpuE6ELNS1_3repE0EEENS1_30default_config_static_selectorELNS0_4arch9wavefront6targetE1EEEvT1_
		.amdhsa_group_segment_fixed_size 0
		.amdhsa_private_segment_fixed_size 0
		.amdhsa_kernarg_size 104
		.amdhsa_user_sgpr_count 6
		.amdhsa_user_sgpr_private_segment_buffer 1
		.amdhsa_user_sgpr_dispatch_ptr 0
		.amdhsa_user_sgpr_queue_ptr 0
		.amdhsa_user_sgpr_kernarg_segment_ptr 1
		.amdhsa_user_sgpr_dispatch_id 0
		.amdhsa_user_sgpr_flat_scratch_init 0
		.amdhsa_user_sgpr_kernarg_preload_length 0
		.amdhsa_user_sgpr_kernarg_preload_offset 0
		.amdhsa_user_sgpr_private_segment_size 0
		.amdhsa_uses_dynamic_stack 0
		.amdhsa_system_sgpr_private_segment_wavefront_offset 0
		.amdhsa_system_sgpr_workgroup_id_x 1
		.amdhsa_system_sgpr_workgroup_id_y 0
		.amdhsa_system_sgpr_workgroup_id_z 0
		.amdhsa_system_sgpr_workgroup_info 0
		.amdhsa_system_vgpr_workitem_id 0
		.amdhsa_next_free_vgpr 1
		.amdhsa_next_free_sgpr 0
		.amdhsa_accum_offset 4
		.amdhsa_reserve_vcc 0
		.amdhsa_reserve_flat_scratch 0
		.amdhsa_float_round_mode_32 0
		.amdhsa_float_round_mode_16_64 0
		.amdhsa_float_denorm_mode_32 3
		.amdhsa_float_denorm_mode_16_64 3
		.amdhsa_dx10_clamp 1
		.amdhsa_ieee_mode 1
		.amdhsa_fp16_overflow 0
		.amdhsa_tg_split 0
		.amdhsa_exception_fp_ieee_invalid_op 0
		.amdhsa_exception_fp_denorm_src 0
		.amdhsa_exception_fp_ieee_div_zero 0
		.amdhsa_exception_fp_ieee_overflow 0
		.amdhsa_exception_fp_ieee_underflow 0
		.amdhsa_exception_fp_ieee_inexact 0
		.amdhsa_exception_int_div_zero 0
	.end_amdhsa_kernel
	.section	.text._ZN7rocprim17ROCPRIM_400000_NS6detail17trampoline_kernelINS0_14default_configENS1_20scan_config_selectorIfEEZZNS1_9scan_implILNS1_25lookback_scan_determinismE0ELb0ELb0ES3_N6thrust23THRUST_200600_302600_NS6detail15normal_iteratorINS9_10device_ptrIfEEEENS9_16discard_iteratorINS9_11use_defaultEEEfNS9_4plusIvEEfEEDaPvRmT3_T4_T5_mT6_P12ihipStream_tbENKUlT_T0_E_clISt17integral_constantIbLb0EESW_IbLb1EEEEDaSS_ST_EUlSS_E_NS1_11comp_targetILNS1_3genE2ELNS1_11target_archE906ELNS1_3gpuE6ELNS1_3repE0EEENS1_30default_config_static_selectorELNS0_4arch9wavefront6targetE1EEEvT1_,"axG",@progbits,_ZN7rocprim17ROCPRIM_400000_NS6detail17trampoline_kernelINS0_14default_configENS1_20scan_config_selectorIfEEZZNS1_9scan_implILNS1_25lookback_scan_determinismE0ELb0ELb0ES3_N6thrust23THRUST_200600_302600_NS6detail15normal_iteratorINS9_10device_ptrIfEEEENS9_16discard_iteratorINS9_11use_defaultEEEfNS9_4plusIvEEfEEDaPvRmT3_T4_T5_mT6_P12ihipStream_tbENKUlT_T0_E_clISt17integral_constantIbLb0EESW_IbLb1EEEEDaSS_ST_EUlSS_E_NS1_11comp_targetILNS1_3genE2ELNS1_11target_archE906ELNS1_3gpuE6ELNS1_3repE0EEENS1_30default_config_static_selectorELNS0_4arch9wavefront6targetE1EEEvT1_,comdat
.Lfunc_end5064:
	.size	_ZN7rocprim17ROCPRIM_400000_NS6detail17trampoline_kernelINS0_14default_configENS1_20scan_config_selectorIfEEZZNS1_9scan_implILNS1_25lookback_scan_determinismE0ELb0ELb0ES3_N6thrust23THRUST_200600_302600_NS6detail15normal_iteratorINS9_10device_ptrIfEEEENS9_16discard_iteratorINS9_11use_defaultEEEfNS9_4plusIvEEfEEDaPvRmT3_T4_T5_mT6_P12ihipStream_tbENKUlT_T0_E_clISt17integral_constantIbLb0EESW_IbLb1EEEEDaSS_ST_EUlSS_E_NS1_11comp_targetILNS1_3genE2ELNS1_11target_archE906ELNS1_3gpuE6ELNS1_3repE0EEENS1_30default_config_static_selectorELNS0_4arch9wavefront6targetE1EEEvT1_, .Lfunc_end5064-_ZN7rocprim17ROCPRIM_400000_NS6detail17trampoline_kernelINS0_14default_configENS1_20scan_config_selectorIfEEZZNS1_9scan_implILNS1_25lookback_scan_determinismE0ELb0ELb0ES3_N6thrust23THRUST_200600_302600_NS6detail15normal_iteratorINS9_10device_ptrIfEEEENS9_16discard_iteratorINS9_11use_defaultEEEfNS9_4plusIvEEfEEDaPvRmT3_T4_T5_mT6_P12ihipStream_tbENKUlT_T0_E_clISt17integral_constantIbLb0EESW_IbLb1EEEEDaSS_ST_EUlSS_E_NS1_11comp_targetILNS1_3genE2ELNS1_11target_archE906ELNS1_3gpuE6ELNS1_3repE0EEENS1_30default_config_static_selectorELNS0_4arch9wavefront6targetE1EEEvT1_
                                        ; -- End function
	.section	.AMDGPU.csdata,"",@progbits
; Kernel info:
; codeLenInByte = 0
; NumSgprs: 4
; NumVgprs: 0
; NumAgprs: 0
; TotalNumVgprs: 0
; ScratchSize: 0
; MemoryBound: 0
; FloatMode: 240
; IeeeMode: 1
; LDSByteSize: 0 bytes/workgroup (compile time only)
; SGPRBlocks: 0
; VGPRBlocks: 0
; NumSGPRsForWavesPerEU: 4
; NumVGPRsForWavesPerEU: 1
; AccumOffset: 4
; Occupancy: 8
; WaveLimiterHint : 0
; COMPUTE_PGM_RSRC2:SCRATCH_EN: 0
; COMPUTE_PGM_RSRC2:USER_SGPR: 6
; COMPUTE_PGM_RSRC2:TRAP_HANDLER: 0
; COMPUTE_PGM_RSRC2:TGID_X_EN: 1
; COMPUTE_PGM_RSRC2:TGID_Y_EN: 0
; COMPUTE_PGM_RSRC2:TGID_Z_EN: 0
; COMPUTE_PGM_RSRC2:TIDIG_COMP_CNT: 0
; COMPUTE_PGM_RSRC3_GFX90A:ACCUM_OFFSET: 0
; COMPUTE_PGM_RSRC3_GFX90A:TG_SPLIT: 0
	.section	.text._ZN7rocprim17ROCPRIM_400000_NS6detail17trampoline_kernelINS0_14default_configENS1_20scan_config_selectorIfEEZZNS1_9scan_implILNS1_25lookback_scan_determinismE0ELb0ELb0ES3_N6thrust23THRUST_200600_302600_NS6detail15normal_iteratorINS9_10device_ptrIfEEEENS9_16discard_iteratorINS9_11use_defaultEEEfNS9_4plusIvEEfEEDaPvRmT3_T4_T5_mT6_P12ihipStream_tbENKUlT_T0_E_clISt17integral_constantIbLb0EESW_IbLb1EEEEDaSS_ST_EUlSS_E_NS1_11comp_targetILNS1_3genE10ELNS1_11target_archE1201ELNS1_3gpuE5ELNS1_3repE0EEENS1_30default_config_static_selectorELNS0_4arch9wavefront6targetE1EEEvT1_,"axG",@progbits,_ZN7rocprim17ROCPRIM_400000_NS6detail17trampoline_kernelINS0_14default_configENS1_20scan_config_selectorIfEEZZNS1_9scan_implILNS1_25lookback_scan_determinismE0ELb0ELb0ES3_N6thrust23THRUST_200600_302600_NS6detail15normal_iteratorINS9_10device_ptrIfEEEENS9_16discard_iteratorINS9_11use_defaultEEEfNS9_4plusIvEEfEEDaPvRmT3_T4_T5_mT6_P12ihipStream_tbENKUlT_T0_E_clISt17integral_constantIbLb0EESW_IbLb1EEEEDaSS_ST_EUlSS_E_NS1_11comp_targetILNS1_3genE10ELNS1_11target_archE1201ELNS1_3gpuE5ELNS1_3repE0EEENS1_30default_config_static_selectorELNS0_4arch9wavefront6targetE1EEEvT1_,comdat
	.protected	_ZN7rocprim17ROCPRIM_400000_NS6detail17trampoline_kernelINS0_14default_configENS1_20scan_config_selectorIfEEZZNS1_9scan_implILNS1_25lookback_scan_determinismE0ELb0ELb0ES3_N6thrust23THRUST_200600_302600_NS6detail15normal_iteratorINS9_10device_ptrIfEEEENS9_16discard_iteratorINS9_11use_defaultEEEfNS9_4plusIvEEfEEDaPvRmT3_T4_T5_mT6_P12ihipStream_tbENKUlT_T0_E_clISt17integral_constantIbLb0EESW_IbLb1EEEEDaSS_ST_EUlSS_E_NS1_11comp_targetILNS1_3genE10ELNS1_11target_archE1201ELNS1_3gpuE5ELNS1_3repE0EEENS1_30default_config_static_selectorELNS0_4arch9wavefront6targetE1EEEvT1_ ; -- Begin function _ZN7rocprim17ROCPRIM_400000_NS6detail17trampoline_kernelINS0_14default_configENS1_20scan_config_selectorIfEEZZNS1_9scan_implILNS1_25lookback_scan_determinismE0ELb0ELb0ES3_N6thrust23THRUST_200600_302600_NS6detail15normal_iteratorINS9_10device_ptrIfEEEENS9_16discard_iteratorINS9_11use_defaultEEEfNS9_4plusIvEEfEEDaPvRmT3_T4_T5_mT6_P12ihipStream_tbENKUlT_T0_E_clISt17integral_constantIbLb0EESW_IbLb1EEEEDaSS_ST_EUlSS_E_NS1_11comp_targetILNS1_3genE10ELNS1_11target_archE1201ELNS1_3gpuE5ELNS1_3repE0EEENS1_30default_config_static_selectorELNS0_4arch9wavefront6targetE1EEEvT1_
	.globl	_ZN7rocprim17ROCPRIM_400000_NS6detail17trampoline_kernelINS0_14default_configENS1_20scan_config_selectorIfEEZZNS1_9scan_implILNS1_25lookback_scan_determinismE0ELb0ELb0ES3_N6thrust23THRUST_200600_302600_NS6detail15normal_iteratorINS9_10device_ptrIfEEEENS9_16discard_iteratorINS9_11use_defaultEEEfNS9_4plusIvEEfEEDaPvRmT3_T4_T5_mT6_P12ihipStream_tbENKUlT_T0_E_clISt17integral_constantIbLb0EESW_IbLb1EEEEDaSS_ST_EUlSS_E_NS1_11comp_targetILNS1_3genE10ELNS1_11target_archE1201ELNS1_3gpuE5ELNS1_3repE0EEENS1_30default_config_static_selectorELNS0_4arch9wavefront6targetE1EEEvT1_
	.p2align	8
	.type	_ZN7rocprim17ROCPRIM_400000_NS6detail17trampoline_kernelINS0_14default_configENS1_20scan_config_selectorIfEEZZNS1_9scan_implILNS1_25lookback_scan_determinismE0ELb0ELb0ES3_N6thrust23THRUST_200600_302600_NS6detail15normal_iteratorINS9_10device_ptrIfEEEENS9_16discard_iteratorINS9_11use_defaultEEEfNS9_4plusIvEEfEEDaPvRmT3_T4_T5_mT6_P12ihipStream_tbENKUlT_T0_E_clISt17integral_constantIbLb0EESW_IbLb1EEEEDaSS_ST_EUlSS_E_NS1_11comp_targetILNS1_3genE10ELNS1_11target_archE1201ELNS1_3gpuE5ELNS1_3repE0EEENS1_30default_config_static_selectorELNS0_4arch9wavefront6targetE1EEEvT1_,@function
_ZN7rocprim17ROCPRIM_400000_NS6detail17trampoline_kernelINS0_14default_configENS1_20scan_config_selectorIfEEZZNS1_9scan_implILNS1_25lookback_scan_determinismE0ELb0ELb0ES3_N6thrust23THRUST_200600_302600_NS6detail15normal_iteratorINS9_10device_ptrIfEEEENS9_16discard_iteratorINS9_11use_defaultEEEfNS9_4plusIvEEfEEDaPvRmT3_T4_T5_mT6_P12ihipStream_tbENKUlT_T0_E_clISt17integral_constantIbLb0EESW_IbLb1EEEEDaSS_ST_EUlSS_E_NS1_11comp_targetILNS1_3genE10ELNS1_11target_archE1201ELNS1_3gpuE5ELNS1_3repE0EEENS1_30default_config_static_selectorELNS0_4arch9wavefront6targetE1EEEvT1_: ; @_ZN7rocprim17ROCPRIM_400000_NS6detail17trampoline_kernelINS0_14default_configENS1_20scan_config_selectorIfEEZZNS1_9scan_implILNS1_25lookback_scan_determinismE0ELb0ELb0ES3_N6thrust23THRUST_200600_302600_NS6detail15normal_iteratorINS9_10device_ptrIfEEEENS9_16discard_iteratorINS9_11use_defaultEEEfNS9_4plusIvEEfEEDaPvRmT3_T4_T5_mT6_P12ihipStream_tbENKUlT_T0_E_clISt17integral_constantIbLb0EESW_IbLb1EEEEDaSS_ST_EUlSS_E_NS1_11comp_targetILNS1_3genE10ELNS1_11target_archE1201ELNS1_3gpuE5ELNS1_3repE0EEENS1_30default_config_static_selectorELNS0_4arch9wavefront6targetE1EEEvT1_
; %bb.0:
	.section	.rodata,"a",@progbits
	.p2align	6, 0x0
	.amdhsa_kernel _ZN7rocprim17ROCPRIM_400000_NS6detail17trampoline_kernelINS0_14default_configENS1_20scan_config_selectorIfEEZZNS1_9scan_implILNS1_25lookback_scan_determinismE0ELb0ELb0ES3_N6thrust23THRUST_200600_302600_NS6detail15normal_iteratorINS9_10device_ptrIfEEEENS9_16discard_iteratorINS9_11use_defaultEEEfNS9_4plusIvEEfEEDaPvRmT3_T4_T5_mT6_P12ihipStream_tbENKUlT_T0_E_clISt17integral_constantIbLb0EESW_IbLb1EEEEDaSS_ST_EUlSS_E_NS1_11comp_targetILNS1_3genE10ELNS1_11target_archE1201ELNS1_3gpuE5ELNS1_3repE0EEENS1_30default_config_static_selectorELNS0_4arch9wavefront6targetE1EEEvT1_
		.amdhsa_group_segment_fixed_size 0
		.amdhsa_private_segment_fixed_size 0
		.amdhsa_kernarg_size 104
		.amdhsa_user_sgpr_count 6
		.amdhsa_user_sgpr_private_segment_buffer 1
		.amdhsa_user_sgpr_dispatch_ptr 0
		.amdhsa_user_sgpr_queue_ptr 0
		.amdhsa_user_sgpr_kernarg_segment_ptr 1
		.amdhsa_user_sgpr_dispatch_id 0
		.amdhsa_user_sgpr_flat_scratch_init 0
		.amdhsa_user_sgpr_kernarg_preload_length 0
		.amdhsa_user_sgpr_kernarg_preload_offset 0
		.amdhsa_user_sgpr_private_segment_size 0
		.amdhsa_uses_dynamic_stack 0
		.amdhsa_system_sgpr_private_segment_wavefront_offset 0
		.amdhsa_system_sgpr_workgroup_id_x 1
		.amdhsa_system_sgpr_workgroup_id_y 0
		.amdhsa_system_sgpr_workgroup_id_z 0
		.amdhsa_system_sgpr_workgroup_info 0
		.amdhsa_system_vgpr_workitem_id 0
		.amdhsa_next_free_vgpr 1
		.amdhsa_next_free_sgpr 0
		.amdhsa_accum_offset 4
		.amdhsa_reserve_vcc 0
		.amdhsa_reserve_flat_scratch 0
		.amdhsa_float_round_mode_32 0
		.amdhsa_float_round_mode_16_64 0
		.amdhsa_float_denorm_mode_32 3
		.amdhsa_float_denorm_mode_16_64 3
		.amdhsa_dx10_clamp 1
		.amdhsa_ieee_mode 1
		.amdhsa_fp16_overflow 0
		.amdhsa_tg_split 0
		.amdhsa_exception_fp_ieee_invalid_op 0
		.amdhsa_exception_fp_denorm_src 0
		.amdhsa_exception_fp_ieee_div_zero 0
		.amdhsa_exception_fp_ieee_overflow 0
		.amdhsa_exception_fp_ieee_underflow 0
		.amdhsa_exception_fp_ieee_inexact 0
		.amdhsa_exception_int_div_zero 0
	.end_amdhsa_kernel
	.section	.text._ZN7rocprim17ROCPRIM_400000_NS6detail17trampoline_kernelINS0_14default_configENS1_20scan_config_selectorIfEEZZNS1_9scan_implILNS1_25lookback_scan_determinismE0ELb0ELb0ES3_N6thrust23THRUST_200600_302600_NS6detail15normal_iteratorINS9_10device_ptrIfEEEENS9_16discard_iteratorINS9_11use_defaultEEEfNS9_4plusIvEEfEEDaPvRmT3_T4_T5_mT6_P12ihipStream_tbENKUlT_T0_E_clISt17integral_constantIbLb0EESW_IbLb1EEEEDaSS_ST_EUlSS_E_NS1_11comp_targetILNS1_3genE10ELNS1_11target_archE1201ELNS1_3gpuE5ELNS1_3repE0EEENS1_30default_config_static_selectorELNS0_4arch9wavefront6targetE1EEEvT1_,"axG",@progbits,_ZN7rocprim17ROCPRIM_400000_NS6detail17trampoline_kernelINS0_14default_configENS1_20scan_config_selectorIfEEZZNS1_9scan_implILNS1_25lookback_scan_determinismE0ELb0ELb0ES3_N6thrust23THRUST_200600_302600_NS6detail15normal_iteratorINS9_10device_ptrIfEEEENS9_16discard_iteratorINS9_11use_defaultEEEfNS9_4plusIvEEfEEDaPvRmT3_T4_T5_mT6_P12ihipStream_tbENKUlT_T0_E_clISt17integral_constantIbLb0EESW_IbLb1EEEEDaSS_ST_EUlSS_E_NS1_11comp_targetILNS1_3genE10ELNS1_11target_archE1201ELNS1_3gpuE5ELNS1_3repE0EEENS1_30default_config_static_selectorELNS0_4arch9wavefront6targetE1EEEvT1_,comdat
.Lfunc_end5065:
	.size	_ZN7rocprim17ROCPRIM_400000_NS6detail17trampoline_kernelINS0_14default_configENS1_20scan_config_selectorIfEEZZNS1_9scan_implILNS1_25lookback_scan_determinismE0ELb0ELb0ES3_N6thrust23THRUST_200600_302600_NS6detail15normal_iteratorINS9_10device_ptrIfEEEENS9_16discard_iteratorINS9_11use_defaultEEEfNS9_4plusIvEEfEEDaPvRmT3_T4_T5_mT6_P12ihipStream_tbENKUlT_T0_E_clISt17integral_constantIbLb0EESW_IbLb1EEEEDaSS_ST_EUlSS_E_NS1_11comp_targetILNS1_3genE10ELNS1_11target_archE1201ELNS1_3gpuE5ELNS1_3repE0EEENS1_30default_config_static_selectorELNS0_4arch9wavefront6targetE1EEEvT1_, .Lfunc_end5065-_ZN7rocprim17ROCPRIM_400000_NS6detail17trampoline_kernelINS0_14default_configENS1_20scan_config_selectorIfEEZZNS1_9scan_implILNS1_25lookback_scan_determinismE0ELb0ELb0ES3_N6thrust23THRUST_200600_302600_NS6detail15normal_iteratorINS9_10device_ptrIfEEEENS9_16discard_iteratorINS9_11use_defaultEEEfNS9_4plusIvEEfEEDaPvRmT3_T4_T5_mT6_P12ihipStream_tbENKUlT_T0_E_clISt17integral_constantIbLb0EESW_IbLb1EEEEDaSS_ST_EUlSS_E_NS1_11comp_targetILNS1_3genE10ELNS1_11target_archE1201ELNS1_3gpuE5ELNS1_3repE0EEENS1_30default_config_static_selectorELNS0_4arch9wavefront6targetE1EEEvT1_
                                        ; -- End function
	.section	.AMDGPU.csdata,"",@progbits
; Kernel info:
; codeLenInByte = 0
; NumSgprs: 4
; NumVgprs: 0
; NumAgprs: 0
; TotalNumVgprs: 0
; ScratchSize: 0
; MemoryBound: 0
; FloatMode: 240
; IeeeMode: 1
; LDSByteSize: 0 bytes/workgroup (compile time only)
; SGPRBlocks: 0
; VGPRBlocks: 0
; NumSGPRsForWavesPerEU: 4
; NumVGPRsForWavesPerEU: 1
; AccumOffset: 4
; Occupancy: 8
; WaveLimiterHint : 0
; COMPUTE_PGM_RSRC2:SCRATCH_EN: 0
; COMPUTE_PGM_RSRC2:USER_SGPR: 6
; COMPUTE_PGM_RSRC2:TRAP_HANDLER: 0
; COMPUTE_PGM_RSRC2:TGID_X_EN: 1
; COMPUTE_PGM_RSRC2:TGID_Y_EN: 0
; COMPUTE_PGM_RSRC2:TGID_Z_EN: 0
; COMPUTE_PGM_RSRC2:TIDIG_COMP_CNT: 0
; COMPUTE_PGM_RSRC3_GFX90A:ACCUM_OFFSET: 0
; COMPUTE_PGM_RSRC3_GFX90A:TG_SPLIT: 0
	.section	.text._ZN7rocprim17ROCPRIM_400000_NS6detail17trampoline_kernelINS0_14default_configENS1_20scan_config_selectorIfEEZZNS1_9scan_implILNS1_25lookback_scan_determinismE0ELb0ELb0ES3_N6thrust23THRUST_200600_302600_NS6detail15normal_iteratorINS9_10device_ptrIfEEEENS9_16discard_iteratorINS9_11use_defaultEEEfNS9_4plusIvEEfEEDaPvRmT3_T4_T5_mT6_P12ihipStream_tbENKUlT_T0_E_clISt17integral_constantIbLb0EESW_IbLb1EEEEDaSS_ST_EUlSS_E_NS1_11comp_targetILNS1_3genE10ELNS1_11target_archE1200ELNS1_3gpuE4ELNS1_3repE0EEENS1_30default_config_static_selectorELNS0_4arch9wavefront6targetE1EEEvT1_,"axG",@progbits,_ZN7rocprim17ROCPRIM_400000_NS6detail17trampoline_kernelINS0_14default_configENS1_20scan_config_selectorIfEEZZNS1_9scan_implILNS1_25lookback_scan_determinismE0ELb0ELb0ES3_N6thrust23THRUST_200600_302600_NS6detail15normal_iteratorINS9_10device_ptrIfEEEENS9_16discard_iteratorINS9_11use_defaultEEEfNS9_4plusIvEEfEEDaPvRmT3_T4_T5_mT6_P12ihipStream_tbENKUlT_T0_E_clISt17integral_constantIbLb0EESW_IbLb1EEEEDaSS_ST_EUlSS_E_NS1_11comp_targetILNS1_3genE10ELNS1_11target_archE1200ELNS1_3gpuE4ELNS1_3repE0EEENS1_30default_config_static_selectorELNS0_4arch9wavefront6targetE1EEEvT1_,comdat
	.protected	_ZN7rocprim17ROCPRIM_400000_NS6detail17trampoline_kernelINS0_14default_configENS1_20scan_config_selectorIfEEZZNS1_9scan_implILNS1_25lookback_scan_determinismE0ELb0ELb0ES3_N6thrust23THRUST_200600_302600_NS6detail15normal_iteratorINS9_10device_ptrIfEEEENS9_16discard_iteratorINS9_11use_defaultEEEfNS9_4plusIvEEfEEDaPvRmT3_T4_T5_mT6_P12ihipStream_tbENKUlT_T0_E_clISt17integral_constantIbLb0EESW_IbLb1EEEEDaSS_ST_EUlSS_E_NS1_11comp_targetILNS1_3genE10ELNS1_11target_archE1200ELNS1_3gpuE4ELNS1_3repE0EEENS1_30default_config_static_selectorELNS0_4arch9wavefront6targetE1EEEvT1_ ; -- Begin function _ZN7rocprim17ROCPRIM_400000_NS6detail17trampoline_kernelINS0_14default_configENS1_20scan_config_selectorIfEEZZNS1_9scan_implILNS1_25lookback_scan_determinismE0ELb0ELb0ES3_N6thrust23THRUST_200600_302600_NS6detail15normal_iteratorINS9_10device_ptrIfEEEENS9_16discard_iteratorINS9_11use_defaultEEEfNS9_4plusIvEEfEEDaPvRmT3_T4_T5_mT6_P12ihipStream_tbENKUlT_T0_E_clISt17integral_constantIbLb0EESW_IbLb1EEEEDaSS_ST_EUlSS_E_NS1_11comp_targetILNS1_3genE10ELNS1_11target_archE1200ELNS1_3gpuE4ELNS1_3repE0EEENS1_30default_config_static_selectorELNS0_4arch9wavefront6targetE1EEEvT1_
	.globl	_ZN7rocprim17ROCPRIM_400000_NS6detail17trampoline_kernelINS0_14default_configENS1_20scan_config_selectorIfEEZZNS1_9scan_implILNS1_25lookback_scan_determinismE0ELb0ELb0ES3_N6thrust23THRUST_200600_302600_NS6detail15normal_iteratorINS9_10device_ptrIfEEEENS9_16discard_iteratorINS9_11use_defaultEEEfNS9_4plusIvEEfEEDaPvRmT3_T4_T5_mT6_P12ihipStream_tbENKUlT_T0_E_clISt17integral_constantIbLb0EESW_IbLb1EEEEDaSS_ST_EUlSS_E_NS1_11comp_targetILNS1_3genE10ELNS1_11target_archE1200ELNS1_3gpuE4ELNS1_3repE0EEENS1_30default_config_static_selectorELNS0_4arch9wavefront6targetE1EEEvT1_
	.p2align	8
	.type	_ZN7rocprim17ROCPRIM_400000_NS6detail17trampoline_kernelINS0_14default_configENS1_20scan_config_selectorIfEEZZNS1_9scan_implILNS1_25lookback_scan_determinismE0ELb0ELb0ES3_N6thrust23THRUST_200600_302600_NS6detail15normal_iteratorINS9_10device_ptrIfEEEENS9_16discard_iteratorINS9_11use_defaultEEEfNS9_4plusIvEEfEEDaPvRmT3_T4_T5_mT6_P12ihipStream_tbENKUlT_T0_E_clISt17integral_constantIbLb0EESW_IbLb1EEEEDaSS_ST_EUlSS_E_NS1_11comp_targetILNS1_3genE10ELNS1_11target_archE1200ELNS1_3gpuE4ELNS1_3repE0EEENS1_30default_config_static_selectorELNS0_4arch9wavefront6targetE1EEEvT1_,@function
_ZN7rocprim17ROCPRIM_400000_NS6detail17trampoline_kernelINS0_14default_configENS1_20scan_config_selectorIfEEZZNS1_9scan_implILNS1_25lookback_scan_determinismE0ELb0ELb0ES3_N6thrust23THRUST_200600_302600_NS6detail15normal_iteratorINS9_10device_ptrIfEEEENS9_16discard_iteratorINS9_11use_defaultEEEfNS9_4plusIvEEfEEDaPvRmT3_T4_T5_mT6_P12ihipStream_tbENKUlT_T0_E_clISt17integral_constantIbLb0EESW_IbLb1EEEEDaSS_ST_EUlSS_E_NS1_11comp_targetILNS1_3genE10ELNS1_11target_archE1200ELNS1_3gpuE4ELNS1_3repE0EEENS1_30default_config_static_selectorELNS0_4arch9wavefront6targetE1EEEvT1_: ; @_ZN7rocprim17ROCPRIM_400000_NS6detail17trampoline_kernelINS0_14default_configENS1_20scan_config_selectorIfEEZZNS1_9scan_implILNS1_25lookback_scan_determinismE0ELb0ELb0ES3_N6thrust23THRUST_200600_302600_NS6detail15normal_iteratorINS9_10device_ptrIfEEEENS9_16discard_iteratorINS9_11use_defaultEEEfNS9_4plusIvEEfEEDaPvRmT3_T4_T5_mT6_P12ihipStream_tbENKUlT_T0_E_clISt17integral_constantIbLb0EESW_IbLb1EEEEDaSS_ST_EUlSS_E_NS1_11comp_targetILNS1_3genE10ELNS1_11target_archE1200ELNS1_3gpuE4ELNS1_3repE0EEENS1_30default_config_static_selectorELNS0_4arch9wavefront6targetE1EEEvT1_
; %bb.0:
	.section	.rodata,"a",@progbits
	.p2align	6, 0x0
	.amdhsa_kernel _ZN7rocprim17ROCPRIM_400000_NS6detail17trampoline_kernelINS0_14default_configENS1_20scan_config_selectorIfEEZZNS1_9scan_implILNS1_25lookback_scan_determinismE0ELb0ELb0ES3_N6thrust23THRUST_200600_302600_NS6detail15normal_iteratorINS9_10device_ptrIfEEEENS9_16discard_iteratorINS9_11use_defaultEEEfNS9_4plusIvEEfEEDaPvRmT3_T4_T5_mT6_P12ihipStream_tbENKUlT_T0_E_clISt17integral_constantIbLb0EESW_IbLb1EEEEDaSS_ST_EUlSS_E_NS1_11comp_targetILNS1_3genE10ELNS1_11target_archE1200ELNS1_3gpuE4ELNS1_3repE0EEENS1_30default_config_static_selectorELNS0_4arch9wavefront6targetE1EEEvT1_
		.amdhsa_group_segment_fixed_size 0
		.amdhsa_private_segment_fixed_size 0
		.amdhsa_kernarg_size 104
		.amdhsa_user_sgpr_count 6
		.amdhsa_user_sgpr_private_segment_buffer 1
		.amdhsa_user_sgpr_dispatch_ptr 0
		.amdhsa_user_sgpr_queue_ptr 0
		.amdhsa_user_sgpr_kernarg_segment_ptr 1
		.amdhsa_user_sgpr_dispatch_id 0
		.amdhsa_user_sgpr_flat_scratch_init 0
		.amdhsa_user_sgpr_kernarg_preload_length 0
		.amdhsa_user_sgpr_kernarg_preload_offset 0
		.amdhsa_user_sgpr_private_segment_size 0
		.amdhsa_uses_dynamic_stack 0
		.amdhsa_system_sgpr_private_segment_wavefront_offset 0
		.amdhsa_system_sgpr_workgroup_id_x 1
		.amdhsa_system_sgpr_workgroup_id_y 0
		.amdhsa_system_sgpr_workgroup_id_z 0
		.amdhsa_system_sgpr_workgroup_info 0
		.amdhsa_system_vgpr_workitem_id 0
		.amdhsa_next_free_vgpr 1
		.amdhsa_next_free_sgpr 0
		.amdhsa_accum_offset 4
		.amdhsa_reserve_vcc 0
		.amdhsa_reserve_flat_scratch 0
		.amdhsa_float_round_mode_32 0
		.amdhsa_float_round_mode_16_64 0
		.amdhsa_float_denorm_mode_32 3
		.amdhsa_float_denorm_mode_16_64 3
		.amdhsa_dx10_clamp 1
		.amdhsa_ieee_mode 1
		.amdhsa_fp16_overflow 0
		.amdhsa_tg_split 0
		.amdhsa_exception_fp_ieee_invalid_op 0
		.amdhsa_exception_fp_denorm_src 0
		.amdhsa_exception_fp_ieee_div_zero 0
		.amdhsa_exception_fp_ieee_overflow 0
		.amdhsa_exception_fp_ieee_underflow 0
		.amdhsa_exception_fp_ieee_inexact 0
		.amdhsa_exception_int_div_zero 0
	.end_amdhsa_kernel
	.section	.text._ZN7rocprim17ROCPRIM_400000_NS6detail17trampoline_kernelINS0_14default_configENS1_20scan_config_selectorIfEEZZNS1_9scan_implILNS1_25lookback_scan_determinismE0ELb0ELb0ES3_N6thrust23THRUST_200600_302600_NS6detail15normal_iteratorINS9_10device_ptrIfEEEENS9_16discard_iteratorINS9_11use_defaultEEEfNS9_4plusIvEEfEEDaPvRmT3_T4_T5_mT6_P12ihipStream_tbENKUlT_T0_E_clISt17integral_constantIbLb0EESW_IbLb1EEEEDaSS_ST_EUlSS_E_NS1_11comp_targetILNS1_3genE10ELNS1_11target_archE1200ELNS1_3gpuE4ELNS1_3repE0EEENS1_30default_config_static_selectorELNS0_4arch9wavefront6targetE1EEEvT1_,"axG",@progbits,_ZN7rocprim17ROCPRIM_400000_NS6detail17trampoline_kernelINS0_14default_configENS1_20scan_config_selectorIfEEZZNS1_9scan_implILNS1_25lookback_scan_determinismE0ELb0ELb0ES3_N6thrust23THRUST_200600_302600_NS6detail15normal_iteratorINS9_10device_ptrIfEEEENS9_16discard_iteratorINS9_11use_defaultEEEfNS9_4plusIvEEfEEDaPvRmT3_T4_T5_mT6_P12ihipStream_tbENKUlT_T0_E_clISt17integral_constantIbLb0EESW_IbLb1EEEEDaSS_ST_EUlSS_E_NS1_11comp_targetILNS1_3genE10ELNS1_11target_archE1200ELNS1_3gpuE4ELNS1_3repE0EEENS1_30default_config_static_selectorELNS0_4arch9wavefront6targetE1EEEvT1_,comdat
.Lfunc_end5066:
	.size	_ZN7rocprim17ROCPRIM_400000_NS6detail17trampoline_kernelINS0_14default_configENS1_20scan_config_selectorIfEEZZNS1_9scan_implILNS1_25lookback_scan_determinismE0ELb0ELb0ES3_N6thrust23THRUST_200600_302600_NS6detail15normal_iteratorINS9_10device_ptrIfEEEENS9_16discard_iteratorINS9_11use_defaultEEEfNS9_4plusIvEEfEEDaPvRmT3_T4_T5_mT6_P12ihipStream_tbENKUlT_T0_E_clISt17integral_constantIbLb0EESW_IbLb1EEEEDaSS_ST_EUlSS_E_NS1_11comp_targetILNS1_3genE10ELNS1_11target_archE1200ELNS1_3gpuE4ELNS1_3repE0EEENS1_30default_config_static_selectorELNS0_4arch9wavefront6targetE1EEEvT1_, .Lfunc_end5066-_ZN7rocprim17ROCPRIM_400000_NS6detail17trampoline_kernelINS0_14default_configENS1_20scan_config_selectorIfEEZZNS1_9scan_implILNS1_25lookback_scan_determinismE0ELb0ELb0ES3_N6thrust23THRUST_200600_302600_NS6detail15normal_iteratorINS9_10device_ptrIfEEEENS9_16discard_iteratorINS9_11use_defaultEEEfNS9_4plusIvEEfEEDaPvRmT3_T4_T5_mT6_P12ihipStream_tbENKUlT_T0_E_clISt17integral_constantIbLb0EESW_IbLb1EEEEDaSS_ST_EUlSS_E_NS1_11comp_targetILNS1_3genE10ELNS1_11target_archE1200ELNS1_3gpuE4ELNS1_3repE0EEENS1_30default_config_static_selectorELNS0_4arch9wavefront6targetE1EEEvT1_
                                        ; -- End function
	.section	.AMDGPU.csdata,"",@progbits
; Kernel info:
; codeLenInByte = 0
; NumSgprs: 4
; NumVgprs: 0
; NumAgprs: 0
; TotalNumVgprs: 0
; ScratchSize: 0
; MemoryBound: 0
; FloatMode: 240
; IeeeMode: 1
; LDSByteSize: 0 bytes/workgroup (compile time only)
; SGPRBlocks: 0
; VGPRBlocks: 0
; NumSGPRsForWavesPerEU: 4
; NumVGPRsForWavesPerEU: 1
; AccumOffset: 4
; Occupancy: 8
; WaveLimiterHint : 0
; COMPUTE_PGM_RSRC2:SCRATCH_EN: 0
; COMPUTE_PGM_RSRC2:USER_SGPR: 6
; COMPUTE_PGM_RSRC2:TRAP_HANDLER: 0
; COMPUTE_PGM_RSRC2:TGID_X_EN: 1
; COMPUTE_PGM_RSRC2:TGID_Y_EN: 0
; COMPUTE_PGM_RSRC2:TGID_Z_EN: 0
; COMPUTE_PGM_RSRC2:TIDIG_COMP_CNT: 0
; COMPUTE_PGM_RSRC3_GFX90A:ACCUM_OFFSET: 0
; COMPUTE_PGM_RSRC3_GFX90A:TG_SPLIT: 0
	.section	.text._ZN7rocprim17ROCPRIM_400000_NS6detail17trampoline_kernelINS0_14default_configENS1_20scan_config_selectorIfEEZZNS1_9scan_implILNS1_25lookback_scan_determinismE0ELb0ELb0ES3_N6thrust23THRUST_200600_302600_NS6detail15normal_iteratorINS9_10device_ptrIfEEEENS9_16discard_iteratorINS9_11use_defaultEEEfNS9_4plusIvEEfEEDaPvRmT3_T4_T5_mT6_P12ihipStream_tbENKUlT_T0_E_clISt17integral_constantIbLb0EESW_IbLb1EEEEDaSS_ST_EUlSS_E_NS1_11comp_targetILNS1_3genE9ELNS1_11target_archE1100ELNS1_3gpuE3ELNS1_3repE0EEENS1_30default_config_static_selectorELNS0_4arch9wavefront6targetE1EEEvT1_,"axG",@progbits,_ZN7rocprim17ROCPRIM_400000_NS6detail17trampoline_kernelINS0_14default_configENS1_20scan_config_selectorIfEEZZNS1_9scan_implILNS1_25lookback_scan_determinismE0ELb0ELb0ES3_N6thrust23THRUST_200600_302600_NS6detail15normal_iteratorINS9_10device_ptrIfEEEENS9_16discard_iteratorINS9_11use_defaultEEEfNS9_4plusIvEEfEEDaPvRmT3_T4_T5_mT6_P12ihipStream_tbENKUlT_T0_E_clISt17integral_constantIbLb0EESW_IbLb1EEEEDaSS_ST_EUlSS_E_NS1_11comp_targetILNS1_3genE9ELNS1_11target_archE1100ELNS1_3gpuE3ELNS1_3repE0EEENS1_30default_config_static_selectorELNS0_4arch9wavefront6targetE1EEEvT1_,comdat
	.protected	_ZN7rocprim17ROCPRIM_400000_NS6detail17trampoline_kernelINS0_14default_configENS1_20scan_config_selectorIfEEZZNS1_9scan_implILNS1_25lookback_scan_determinismE0ELb0ELb0ES3_N6thrust23THRUST_200600_302600_NS6detail15normal_iteratorINS9_10device_ptrIfEEEENS9_16discard_iteratorINS9_11use_defaultEEEfNS9_4plusIvEEfEEDaPvRmT3_T4_T5_mT6_P12ihipStream_tbENKUlT_T0_E_clISt17integral_constantIbLb0EESW_IbLb1EEEEDaSS_ST_EUlSS_E_NS1_11comp_targetILNS1_3genE9ELNS1_11target_archE1100ELNS1_3gpuE3ELNS1_3repE0EEENS1_30default_config_static_selectorELNS0_4arch9wavefront6targetE1EEEvT1_ ; -- Begin function _ZN7rocprim17ROCPRIM_400000_NS6detail17trampoline_kernelINS0_14default_configENS1_20scan_config_selectorIfEEZZNS1_9scan_implILNS1_25lookback_scan_determinismE0ELb0ELb0ES3_N6thrust23THRUST_200600_302600_NS6detail15normal_iteratorINS9_10device_ptrIfEEEENS9_16discard_iteratorINS9_11use_defaultEEEfNS9_4plusIvEEfEEDaPvRmT3_T4_T5_mT6_P12ihipStream_tbENKUlT_T0_E_clISt17integral_constantIbLb0EESW_IbLb1EEEEDaSS_ST_EUlSS_E_NS1_11comp_targetILNS1_3genE9ELNS1_11target_archE1100ELNS1_3gpuE3ELNS1_3repE0EEENS1_30default_config_static_selectorELNS0_4arch9wavefront6targetE1EEEvT1_
	.globl	_ZN7rocprim17ROCPRIM_400000_NS6detail17trampoline_kernelINS0_14default_configENS1_20scan_config_selectorIfEEZZNS1_9scan_implILNS1_25lookback_scan_determinismE0ELb0ELb0ES3_N6thrust23THRUST_200600_302600_NS6detail15normal_iteratorINS9_10device_ptrIfEEEENS9_16discard_iteratorINS9_11use_defaultEEEfNS9_4plusIvEEfEEDaPvRmT3_T4_T5_mT6_P12ihipStream_tbENKUlT_T0_E_clISt17integral_constantIbLb0EESW_IbLb1EEEEDaSS_ST_EUlSS_E_NS1_11comp_targetILNS1_3genE9ELNS1_11target_archE1100ELNS1_3gpuE3ELNS1_3repE0EEENS1_30default_config_static_selectorELNS0_4arch9wavefront6targetE1EEEvT1_
	.p2align	8
	.type	_ZN7rocprim17ROCPRIM_400000_NS6detail17trampoline_kernelINS0_14default_configENS1_20scan_config_selectorIfEEZZNS1_9scan_implILNS1_25lookback_scan_determinismE0ELb0ELb0ES3_N6thrust23THRUST_200600_302600_NS6detail15normal_iteratorINS9_10device_ptrIfEEEENS9_16discard_iteratorINS9_11use_defaultEEEfNS9_4plusIvEEfEEDaPvRmT3_T4_T5_mT6_P12ihipStream_tbENKUlT_T0_E_clISt17integral_constantIbLb0EESW_IbLb1EEEEDaSS_ST_EUlSS_E_NS1_11comp_targetILNS1_3genE9ELNS1_11target_archE1100ELNS1_3gpuE3ELNS1_3repE0EEENS1_30default_config_static_selectorELNS0_4arch9wavefront6targetE1EEEvT1_,@function
_ZN7rocprim17ROCPRIM_400000_NS6detail17trampoline_kernelINS0_14default_configENS1_20scan_config_selectorIfEEZZNS1_9scan_implILNS1_25lookback_scan_determinismE0ELb0ELb0ES3_N6thrust23THRUST_200600_302600_NS6detail15normal_iteratorINS9_10device_ptrIfEEEENS9_16discard_iteratorINS9_11use_defaultEEEfNS9_4plusIvEEfEEDaPvRmT3_T4_T5_mT6_P12ihipStream_tbENKUlT_T0_E_clISt17integral_constantIbLb0EESW_IbLb1EEEEDaSS_ST_EUlSS_E_NS1_11comp_targetILNS1_3genE9ELNS1_11target_archE1100ELNS1_3gpuE3ELNS1_3repE0EEENS1_30default_config_static_selectorELNS0_4arch9wavefront6targetE1EEEvT1_: ; @_ZN7rocprim17ROCPRIM_400000_NS6detail17trampoline_kernelINS0_14default_configENS1_20scan_config_selectorIfEEZZNS1_9scan_implILNS1_25lookback_scan_determinismE0ELb0ELb0ES3_N6thrust23THRUST_200600_302600_NS6detail15normal_iteratorINS9_10device_ptrIfEEEENS9_16discard_iteratorINS9_11use_defaultEEEfNS9_4plusIvEEfEEDaPvRmT3_T4_T5_mT6_P12ihipStream_tbENKUlT_T0_E_clISt17integral_constantIbLb0EESW_IbLb1EEEEDaSS_ST_EUlSS_E_NS1_11comp_targetILNS1_3genE9ELNS1_11target_archE1100ELNS1_3gpuE3ELNS1_3repE0EEENS1_30default_config_static_selectorELNS0_4arch9wavefront6targetE1EEEvT1_
; %bb.0:
	.section	.rodata,"a",@progbits
	.p2align	6, 0x0
	.amdhsa_kernel _ZN7rocprim17ROCPRIM_400000_NS6detail17trampoline_kernelINS0_14default_configENS1_20scan_config_selectorIfEEZZNS1_9scan_implILNS1_25lookback_scan_determinismE0ELb0ELb0ES3_N6thrust23THRUST_200600_302600_NS6detail15normal_iteratorINS9_10device_ptrIfEEEENS9_16discard_iteratorINS9_11use_defaultEEEfNS9_4plusIvEEfEEDaPvRmT3_T4_T5_mT6_P12ihipStream_tbENKUlT_T0_E_clISt17integral_constantIbLb0EESW_IbLb1EEEEDaSS_ST_EUlSS_E_NS1_11comp_targetILNS1_3genE9ELNS1_11target_archE1100ELNS1_3gpuE3ELNS1_3repE0EEENS1_30default_config_static_selectorELNS0_4arch9wavefront6targetE1EEEvT1_
		.amdhsa_group_segment_fixed_size 0
		.amdhsa_private_segment_fixed_size 0
		.amdhsa_kernarg_size 104
		.amdhsa_user_sgpr_count 6
		.amdhsa_user_sgpr_private_segment_buffer 1
		.amdhsa_user_sgpr_dispatch_ptr 0
		.amdhsa_user_sgpr_queue_ptr 0
		.amdhsa_user_sgpr_kernarg_segment_ptr 1
		.amdhsa_user_sgpr_dispatch_id 0
		.amdhsa_user_sgpr_flat_scratch_init 0
		.amdhsa_user_sgpr_kernarg_preload_length 0
		.amdhsa_user_sgpr_kernarg_preload_offset 0
		.amdhsa_user_sgpr_private_segment_size 0
		.amdhsa_uses_dynamic_stack 0
		.amdhsa_system_sgpr_private_segment_wavefront_offset 0
		.amdhsa_system_sgpr_workgroup_id_x 1
		.amdhsa_system_sgpr_workgroup_id_y 0
		.amdhsa_system_sgpr_workgroup_id_z 0
		.amdhsa_system_sgpr_workgroup_info 0
		.amdhsa_system_vgpr_workitem_id 0
		.amdhsa_next_free_vgpr 1
		.amdhsa_next_free_sgpr 0
		.amdhsa_accum_offset 4
		.amdhsa_reserve_vcc 0
		.amdhsa_reserve_flat_scratch 0
		.amdhsa_float_round_mode_32 0
		.amdhsa_float_round_mode_16_64 0
		.amdhsa_float_denorm_mode_32 3
		.amdhsa_float_denorm_mode_16_64 3
		.amdhsa_dx10_clamp 1
		.amdhsa_ieee_mode 1
		.amdhsa_fp16_overflow 0
		.amdhsa_tg_split 0
		.amdhsa_exception_fp_ieee_invalid_op 0
		.amdhsa_exception_fp_denorm_src 0
		.amdhsa_exception_fp_ieee_div_zero 0
		.amdhsa_exception_fp_ieee_overflow 0
		.amdhsa_exception_fp_ieee_underflow 0
		.amdhsa_exception_fp_ieee_inexact 0
		.amdhsa_exception_int_div_zero 0
	.end_amdhsa_kernel
	.section	.text._ZN7rocprim17ROCPRIM_400000_NS6detail17trampoline_kernelINS0_14default_configENS1_20scan_config_selectorIfEEZZNS1_9scan_implILNS1_25lookback_scan_determinismE0ELb0ELb0ES3_N6thrust23THRUST_200600_302600_NS6detail15normal_iteratorINS9_10device_ptrIfEEEENS9_16discard_iteratorINS9_11use_defaultEEEfNS9_4plusIvEEfEEDaPvRmT3_T4_T5_mT6_P12ihipStream_tbENKUlT_T0_E_clISt17integral_constantIbLb0EESW_IbLb1EEEEDaSS_ST_EUlSS_E_NS1_11comp_targetILNS1_3genE9ELNS1_11target_archE1100ELNS1_3gpuE3ELNS1_3repE0EEENS1_30default_config_static_selectorELNS0_4arch9wavefront6targetE1EEEvT1_,"axG",@progbits,_ZN7rocprim17ROCPRIM_400000_NS6detail17trampoline_kernelINS0_14default_configENS1_20scan_config_selectorIfEEZZNS1_9scan_implILNS1_25lookback_scan_determinismE0ELb0ELb0ES3_N6thrust23THRUST_200600_302600_NS6detail15normal_iteratorINS9_10device_ptrIfEEEENS9_16discard_iteratorINS9_11use_defaultEEEfNS9_4plusIvEEfEEDaPvRmT3_T4_T5_mT6_P12ihipStream_tbENKUlT_T0_E_clISt17integral_constantIbLb0EESW_IbLb1EEEEDaSS_ST_EUlSS_E_NS1_11comp_targetILNS1_3genE9ELNS1_11target_archE1100ELNS1_3gpuE3ELNS1_3repE0EEENS1_30default_config_static_selectorELNS0_4arch9wavefront6targetE1EEEvT1_,comdat
.Lfunc_end5067:
	.size	_ZN7rocprim17ROCPRIM_400000_NS6detail17trampoline_kernelINS0_14default_configENS1_20scan_config_selectorIfEEZZNS1_9scan_implILNS1_25lookback_scan_determinismE0ELb0ELb0ES3_N6thrust23THRUST_200600_302600_NS6detail15normal_iteratorINS9_10device_ptrIfEEEENS9_16discard_iteratorINS9_11use_defaultEEEfNS9_4plusIvEEfEEDaPvRmT3_T4_T5_mT6_P12ihipStream_tbENKUlT_T0_E_clISt17integral_constantIbLb0EESW_IbLb1EEEEDaSS_ST_EUlSS_E_NS1_11comp_targetILNS1_3genE9ELNS1_11target_archE1100ELNS1_3gpuE3ELNS1_3repE0EEENS1_30default_config_static_selectorELNS0_4arch9wavefront6targetE1EEEvT1_, .Lfunc_end5067-_ZN7rocprim17ROCPRIM_400000_NS6detail17trampoline_kernelINS0_14default_configENS1_20scan_config_selectorIfEEZZNS1_9scan_implILNS1_25lookback_scan_determinismE0ELb0ELb0ES3_N6thrust23THRUST_200600_302600_NS6detail15normal_iteratorINS9_10device_ptrIfEEEENS9_16discard_iteratorINS9_11use_defaultEEEfNS9_4plusIvEEfEEDaPvRmT3_T4_T5_mT6_P12ihipStream_tbENKUlT_T0_E_clISt17integral_constantIbLb0EESW_IbLb1EEEEDaSS_ST_EUlSS_E_NS1_11comp_targetILNS1_3genE9ELNS1_11target_archE1100ELNS1_3gpuE3ELNS1_3repE0EEENS1_30default_config_static_selectorELNS0_4arch9wavefront6targetE1EEEvT1_
                                        ; -- End function
	.section	.AMDGPU.csdata,"",@progbits
; Kernel info:
; codeLenInByte = 0
; NumSgprs: 4
; NumVgprs: 0
; NumAgprs: 0
; TotalNumVgprs: 0
; ScratchSize: 0
; MemoryBound: 0
; FloatMode: 240
; IeeeMode: 1
; LDSByteSize: 0 bytes/workgroup (compile time only)
; SGPRBlocks: 0
; VGPRBlocks: 0
; NumSGPRsForWavesPerEU: 4
; NumVGPRsForWavesPerEU: 1
; AccumOffset: 4
; Occupancy: 8
; WaveLimiterHint : 0
; COMPUTE_PGM_RSRC2:SCRATCH_EN: 0
; COMPUTE_PGM_RSRC2:USER_SGPR: 6
; COMPUTE_PGM_RSRC2:TRAP_HANDLER: 0
; COMPUTE_PGM_RSRC2:TGID_X_EN: 1
; COMPUTE_PGM_RSRC2:TGID_Y_EN: 0
; COMPUTE_PGM_RSRC2:TGID_Z_EN: 0
; COMPUTE_PGM_RSRC2:TIDIG_COMP_CNT: 0
; COMPUTE_PGM_RSRC3_GFX90A:ACCUM_OFFSET: 0
; COMPUTE_PGM_RSRC3_GFX90A:TG_SPLIT: 0
	.section	.text._ZN7rocprim17ROCPRIM_400000_NS6detail17trampoline_kernelINS0_14default_configENS1_20scan_config_selectorIfEEZZNS1_9scan_implILNS1_25lookback_scan_determinismE0ELb0ELb0ES3_N6thrust23THRUST_200600_302600_NS6detail15normal_iteratorINS9_10device_ptrIfEEEENS9_16discard_iteratorINS9_11use_defaultEEEfNS9_4plusIvEEfEEDaPvRmT3_T4_T5_mT6_P12ihipStream_tbENKUlT_T0_E_clISt17integral_constantIbLb0EESW_IbLb1EEEEDaSS_ST_EUlSS_E_NS1_11comp_targetILNS1_3genE8ELNS1_11target_archE1030ELNS1_3gpuE2ELNS1_3repE0EEENS1_30default_config_static_selectorELNS0_4arch9wavefront6targetE1EEEvT1_,"axG",@progbits,_ZN7rocprim17ROCPRIM_400000_NS6detail17trampoline_kernelINS0_14default_configENS1_20scan_config_selectorIfEEZZNS1_9scan_implILNS1_25lookback_scan_determinismE0ELb0ELb0ES3_N6thrust23THRUST_200600_302600_NS6detail15normal_iteratorINS9_10device_ptrIfEEEENS9_16discard_iteratorINS9_11use_defaultEEEfNS9_4plusIvEEfEEDaPvRmT3_T4_T5_mT6_P12ihipStream_tbENKUlT_T0_E_clISt17integral_constantIbLb0EESW_IbLb1EEEEDaSS_ST_EUlSS_E_NS1_11comp_targetILNS1_3genE8ELNS1_11target_archE1030ELNS1_3gpuE2ELNS1_3repE0EEENS1_30default_config_static_selectorELNS0_4arch9wavefront6targetE1EEEvT1_,comdat
	.protected	_ZN7rocprim17ROCPRIM_400000_NS6detail17trampoline_kernelINS0_14default_configENS1_20scan_config_selectorIfEEZZNS1_9scan_implILNS1_25lookback_scan_determinismE0ELb0ELb0ES3_N6thrust23THRUST_200600_302600_NS6detail15normal_iteratorINS9_10device_ptrIfEEEENS9_16discard_iteratorINS9_11use_defaultEEEfNS9_4plusIvEEfEEDaPvRmT3_T4_T5_mT6_P12ihipStream_tbENKUlT_T0_E_clISt17integral_constantIbLb0EESW_IbLb1EEEEDaSS_ST_EUlSS_E_NS1_11comp_targetILNS1_3genE8ELNS1_11target_archE1030ELNS1_3gpuE2ELNS1_3repE0EEENS1_30default_config_static_selectorELNS0_4arch9wavefront6targetE1EEEvT1_ ; -- Begin function _ZN7rocprim17ROCPRIM_400000_NS6detail17trampoline_kernelINS0_14default_configENS1_20scan_config_selectorIfEEZZNS1_9scan_implILNS1_25lookback_scan_determinismE0ELb0ELb0ES3_N6thrust23THRUST_200600_302600_NS6detail15normal_iteratorINS9_10device_ptrIfEEEENS9_16discard_iteratorINS9_11use_defaultEEEfNS9_4plusIvEEfEEDaPvRmT3_T4_T5_mT6_P12ihipStream_tbENKUlT_T0_E_clISt17integral_constantIbLb0EESW_IbLb1EEEEDaSS_ST_EUlSS_E_NS1_11comp_targetILNS1_3genE8ELNS1_11target_archE1030ELNS1_3gpuE2ELNS1_3repE0EEENS1_30default_config_static_selectorELNS0_4arch9wavefront6targetE1EEEvT1_
	.globl	_ZN7rocprim17ROCPRIM_400000_NS6detail17trampoline_kernelINS0_14default_configENS1_20scan_config_selectorIfEEZZNS1_9scan_implILNS1_25lookback_scan_determinismE0ELb0ELb0ES3_N6thrust23THRUST_200600_302600_NS6detail15normal_iteratorINS9_10device_ptrIfEEEENS9_16discard_iteratorINS9_11use_defaultEEEfNS9_4plusIvEEfEEDaPvRmT3_T4_T5_mT6_P12ihipStream_tbENKUlT_T0_E_clISt17integral_constantIbLb0EESW_IbLb1EEEEDaSS_ST_EUlSS_E_NS1_11comp_targetILNS1_3genE8ELNS1_11target_archE1030ELNS1_3gpuE2ELNS1_3repE0EEENS1_30default_config_static_selectorELNS0_4arch9wavefront6targetE1EEEvT1_
	.p2align	8
	.type	_ZN7rocprim17ROCPRIM_400000_NS6detail17trampoline_kernelINS0_14default_configENS1_20scan_config_selectorIfEEZZNS1_9scan_implILNS1_25lookback_scan_determinismE0ELb0ELb0ES3_N6thrust23THRUST_200600_302600_NS6detail15normal_iteratorINS9_10device_ptrIfEEEENS9_16discard_iteratorINS9_11use_defaultEEEfNS9_4plusIvEEfEEDaPvRmT3_T4_T5_mT6_P12ihipStream_tbENKUlT_T0_E_clISt17integral_constantIbLb0EESW_IbLb1EEEEDaSS_ST_EUlSS_E_NS1_11comp_targetILNS1_3genE8ELNS1_11target_archE1030ELNS1_3gpuE2ELNS1_3repE0EEENS1_30default_config_static_selectorELNS0_4arch9wavefront6targetE1EEEvT1_,@function
_ZN7rocprim17ROCPRIM_400000_NS6detail17trampoline_kernelINS0_14default_configENS1_20scan_config_selectorIfEEZZNS1_9scan_implILNS1_25lookback_scan_determinismE0ELb0ELb0ES3_N6thrust23THRUST_200600_302600_NS6detail15normal_iteratorINS9_10device_ptrIfEEEENS9_16discard_iteratorINS9_11use_defaultEEEfNS9_4plusIvEEfEEDaPvRmT3_T4_T5_mT6_P12ihipStream_tbENKUlT_T0_E_clISt17integral_constantIbLb0EESW_IbLb1EEEEDaSS_ST_EUlSS_E_NS1_11comp_targetILNS1_3genE8ELNS1_11target_archE1030ELNS1_3gpuE2ELNS1_3repE0EEENS1_30default_config_static_selectorELNS0_4arch9wavefront6targetE1EEEvT1_: ; @_ZN7rocprim17ROCPRIM_400000_NS6detail17trampoline_kernelINS0_14default_configENS1_20scan_config_selectorIfEEZZNS1_9scan_implILNS1_25lookback_scan_determinismE0ELb0ELb0ES3_N6thrust23THRUST_200600_302600_NS6detail15normal_iteratorINS9_10device_ptrIfEEEENS9_16discard_iteratorINS9_11use_defaultEEEfNS9_4plusIvEEfEEDaPvRmT3_T4_T5_mT6_P12ihipStream_tbENKUlT_T0_E_clISt17integral_constantIbLb0EESW_IbLb1EEEEDaSS_ST_EUlSS_E_NS1_11comp_targetILNS1_3genE8ELNS1_11target_archE1030ELNS1_3gpuE2ELNS1_3repE0EEENS1_30default_config_static_selectorELNS0_4arch9wavefront6targetE1EEEvT1_
; %bb.0:
	.section	.rodata,"a",@progbits
	.p2align	6, 0x0
	.amdhsa_kernel _ZN7rocprim17ROCPRIM_400000_NS6detail17trampoline_kernelINS0_14default_configENS1_20scan_config_selectorIfEEZZNS1_9scan_implILNS1_25lookback_scan_determinismE0ELb0ELb0ES3_N6thrust23THRUST_200600_302600_NS6detail15normal_iteratorINS9_10device_ptrIfEEEENS9_16discard_iteratorINS9_11use_defaultEEEfNS9_4plusIvEEfEEDaPvRmT3_T4_T5_mT6_P12ihipStream_tbENKUlT_T0_E_clISt17integral_constantIbLb0EESW_IbLb1EEEEDaSS_ST_EUlSS_E_NS1_11comp_targetILNS1_3genE8ELNS1_11target_archE1030ELNS1_3gpuE2ELNS1_3repE0EEENS1_30default_config_static_selectorELNS0_4arch9wavefront6targetE1EEEvT1_
		.amdhsa_group_segment_fixed_size 0
		.amdhsa_private_segment_fixed_size 0
		.amdhsa_kernarg_size 104
		.amdhsa_user_sgpr_count 6
		.amdhsa_user_sgpr_private_segment_buffer 1
		.amdhsa_user_sgpr_dispatch_ptr 0
		.amdhsa_user_sgpr_queue_ptr 0
		.amdhsa_user_sgpr_kernarg_segment_ptr 1
		.amdhsa_user_sgpr_dispatch_id 0
		.amdhsa_user_sgpr_flat_scratch_init 0
		.amdhsa_user_sgpr_kernarg_preload_length 0
		.amdhsa_user_sgpr_kernarg_preload_offset 0
		.amdhsa_user_sgpr_private_segment_size 0
		.amdhsa_uses_dynamic_stack 0
		.amdhsa_system_sgpr_private_segment_wavefront_offset 0
		.amdhsa_system_sgpr_workgroup_id_x 1
		.amdhsa_system_sgpr_workgroup_id_y 0
		.amdhsa_system_sgpr_workgroup_id_z 0
		.amdhsa_system_sgpr_workgroup_info 0
		.amdhsa_system_vgpr_workitem_id 0
		.amdhsa_next_free_vgpr 1
		.amdhsa_next_free_sgpr 0
		.amdhsa_accum_offset 4
		.amdhsa_reserve_vcc 0
		.amdhsa_reserve_flat_scratch 0
		.amdhsa_float_round_mode_32 0
		.amdhsa_float_round_mode_16_64 0
		.amdhsa_float_denorm_mode_32 3
		.amdhsa_float_denorm_mode_16_64 3
		.amdhsa_dx10_clamp 1
		.amdhsa_ieee_mode 1
		.amdhsa_fp16_overflow 0
		.amdhsa_tg_split 0
		.amdhsa_exception_fp_ieee_invalid_op 0
		.amdhsa_exception_fp_denorm_src 0
		.amdhsa_exception_fp_ieee_div_zero 0
		.amdhsa_exception_fp_ieee_overflow 0
		.amdhsa_exception_fp_ieee_underflow 0
		.amdhsa_exception_fp_ieee_inexact 0
		.amdhsa_exception_int_div_zero 0
	.end_amdhsa_kernel
	.section	.text._ZN7rocprim17ROCPRIM_400000_NS6detail17trampoline_kernelINS0_14default_configENS1_20scan_config_selectorIfEEZZNS1_9scan_implILNS1_25lookback_scan_determinismE0ELb0ELb0ES3_N6thrust23THRUST_200600_302600_NS6detail15normal_iteratorINS9_10device_ptrIfEEEENS9_16discard_iteratorINS9_11use_defaultEEEfNS9_4plusIvEEfEEDaPvRmT3_T4_T5_mT6_P12ihipStream_tbENKUlT_T0_E_clISt17integral_constantIbLb0EESW_IbLb1EEEEDaSS_ST_EUlSS_E_NS1_11comp_targetILNS1_3genE8ELNS1_11target_archE1030ELNS1_3gpuE2ELNS1_3repE0EEENS1_30default_config_static_selectorELNS0_4arch9wavefront6targetE1EEEvT1_,"axG",@progbits,_ZN7rocprim17ROCPRIM_400000_NS6detail17trampoline_kernelINS0_14default_configENS1_20scan_config_selectorIfEEZZNS1_9scan_implILNS1_25lookback_scan_determinismE0ELb0ELb0ES3_N6thrust23THRUST_200600_302600_NS6detail15normal_iteratorINS9_10device_ptrIfEEEENS9_16discard_iteratorINS9_11use_defaultEEEfNS9_4plusIvEEfEEDaPvRmT3_T4_T5_mT6_P12ihipStream_tbENKUlT_T0_E_clISt17integral_constantIbLb0EESW_IbLb1EEEEDaSS_ST_EUlSS_E_NS1_11comp_targetILNS1_3genE8ELNS1_11target_archE1030ELNS1_3gpuE2ELNS1_3repE0EEENS1_30default_config_static_selectorELNS0_4arch9wavefront6targetE1EEEvT1_,comdat
.Lfunc_end5068:
	.size	_ZN7rocprim17ROCPRIM_400000_NS6detail17trampoline_kernelINS0_14default_configENS1_20scan_config_selectorIfEEZZNS1_9scan_implILNS1_25lookback_scan_determinismE0ELb0ELb0ES3_N6thrust23THRUST_200600_302600_NS6detail15normal_iteratorINS9_10device_ptrIfEEEENS9_16discard_iteratorINS9_11use_defaultEEEfNS9_4plusIvEEfEEDaPvRmT3_T4_T5_mT6_P12ihipStream_tbENKUlT_T0_E_clISt17integral_constantIbLb0EESW_IbLb1EEEEDaSS_ST_EUlSS_E_NS1_11comp_targetILNS1_3genE8ELNS1_11target_archE1030ELNS1_3gpuE2ELNS1_3repE0EEENS1_30default_config_static_selectorELNS0_4arch9wavefront6targetE1EEEvT1_, .Lfunc_end5068-_ZN7rocprim17ROCPRIM_400000_NS6detail17trampoline_kernelINS0_14default_configENS1_20scan_config_selectorIfEEZZNS1_9scan_implILNS1_25lookback_scan_determinismE0ELb0ELb0ES3_N6thrust23THRUST_200600_302600_NS6detail15normal_iteratorINS9_10device_ptrIfEEEENS9_16discard_iteratorINS9_11use_defaultEEEfNS9_4plusIvEEfEEDaPvRmT3_T4_T5_mT6_P12ihipStream_tbENKUlT_T0_E_clISt17integral_constantIbLb0EESW_IbLb1EEEEDaSS_ST_EUlSS_E_NS1_11comp_targetILNS1_3genE8ELNS1_11target_archE1030ELNS1_3gpuE2ELNS1_3repE0EEENS1_30default_config_static_selectorELNS0_4arch9wavefront6targetE1EEEvT1_
                                        ; -- End function
	.section	.AMDGPU.csdata,"",@progbits
; Kernel info:
; codeLenInByte = 0
; NumSgprs: 4
; NumVgprs: 0
; NumAgprs: 0
; TotalNumVgprs: 0
; ScratchSize: 0
; MemoryBound: 0
; FloatMode: 240
; IeeeMode: 1
; LDSByteSize: 0 bytes/workgroup (compile time only)
; SGPRBlocks: 0
; VGPRBlocks: 0
; NumSGPRsForWavesPerEU: 4
; NumVGPRsForWavesPerEU: 1
; AccumOffset: 4
; Occupancy: 8
; WaveLimiterHint : 0
; COMPUTE_PGM_RSRC2:SCRATCH_EN: 0
; COMPUTE_PGM_RSRC2:USER_SGPR: 6
; COMPUTE_PGM_RSRC2:TRAP_HANDLER: 0
; COMPUTE_PGM_RSRC2:TGID_X_EN: 1
; COMPUTE_PGM_RSRC2:TGID_Y_EN: 0
; COMPUTE_PGM_RSRC2:TGID_Z_EN: 0
; COMPUTE_PGM_RSRC2:TIDIG_COMP_CNT: 0
; COMPUTE_PGM_RSRC3_GFX90A:ACCUM_OFFSET: 0
; COMPUTE_PGM_RSRC3_GFX90A:TG_SPLIT: 0
	.section	.text._ZN7rocprim17ROCPRIM_400000_NS6detail17trampoline_kernelINS0_14default_configENS1_20scan_config_selectorIfEEZZNS1_9scan_implILNS1_25lookback_scan_determinismE0ELb0ELb0ES3_N6thrust23THRUST_200600_302600_NS6detail15normal_iteratorINS9_10device_ptrIfEEEENS9_16discard_iteratorINS9_11use_defaultEEEfNS9_4plusIvEEfEEDaPvRmT3_T4_T5_mT6_P12ihipStream_tbENKUlT_T0_E_clISt17integral_constantIbLb0EESW_IbLb1EEEEDaSS_ST_EUlSS_E0_NS1_11comp_targetILNS1_3genE0ELNS1_11target_archE4294967295ELNS1_3gpuE0ELNS1_3repE0EEENS1_30default_config_static_selectorELNS0_4arch9wavefront6targetE1EEEvT1_,"axG",@progbits,_ZN7rocprim17ROCPRIM_400000_NS6detail17trampoline_kernelINS0_14default_configENS1_20scan_config_selectorIfEEZZNS1_9scan_implILNS1_25lookback_scan_determinismE0ELb0ELb0ES3_N6thrust23THRUST_200600_302600_NS6detail15normal_iteratorINS9_10device_ptrIfEEEENS9_16discard_iteratorINS9_11use_defaultEEEfNS9_4plusIvEEfEEDaPvRmT3_T4_T5_mT6_P12ihipStream_tbENKUlT_T0_E_clISt17integral_constantIbLb0EESW_IbLb1EEEEDaSS_ST_EUlSS_E0_NS1_11comp_targetILNS1_3genE0ELNS1_11target_archE4294967295ELNS1_3gpuE0ELNS1_3repE0EEENS1_30default_config_static_selectorELNS0_4arch9wavefront6targetE1EEEvT1_,comdat
	.protected	_ZN7rocprim17ROCPRIM_400000_NS6detail17trampoline_kernelINS0_14default_configENS1_20scan_config_selectorIfEEZZNS1_9scan_implILNS1_25lookback_scan_determinismE0ELb0ELb0ES3_N6thrust23THRUST_200600_302600_NS6detail15normal_iteratorINS9_10device_ptrIfEEEENS9_16discard_iteratorINS9_11use_defaultEEEfNS9_4plusIvEEfEEDaPvRmT3_T4_T5_mT6_P12ihipStream_tbENKUlT_T0_E_clISt17integral_constantIbLb0EESW_IbLb1EEEEDaSS_ST_EUlSS_E0_NS1_11comp_targetILNS1_3genE0ELNS1_11target_archE4294967295ELNS1_3gpuE0ELNS1_3repE0EEENS1_30default_config_static_selectorELNS0_4arch9wavefront6targetE1EEEvT1_ ; -- Begin function _ZN7rocprim17ROCPRIM_400000_NS6detail17trampoline_kernelINS0_14default_configENS1_20scan_config_selectorIfEEZZNS1_9scan_implILNS1_25lookback_scan_determinismE0ELb0ELb0ES3_N6thrust23THRUST_200600_302600_NS6detail15normal_iteratorINS9_10device_ptrIfEEEENS9_16discard_iteratorINS9_11use_defaultEEEfNS9_4plusIvEEfEEDaPvRmT3_T4_T5_mT6_P12ihipStream_tbENKUlT_T0_E_clISt17integral_constantIbLb0EESW_IbLb1EEEEDaSS_ST_EUlSS_E0_NS1_11comp_targetILNS1_3genE0ELNS1_11target_archE4294967295ELNS1_3gpuE0ELNS1_3repE0EEENS1_30default_config_static_selectorELNS0_4arch9wavefront6targetE1EEEvT1_
	.globl	_ZN7rocprim17ROCPRIM_400000_NS6detail17trampoline_kernelINS0_14default_configENS1_20scan_config_selectorIfEEZZNS1_9scan_implILNS1_25lookback_scan_determinismE0ELb0ELb0ES3_N6thrust23THRUST_200600_302600_NS6detail15normal_iteratorINS9_10device_ptrIfEEEENS9_16discard_iteratorINS9_11use_defaultEEEfNS9_4plusIvEEfEEDaPvRmT3_T4_T5_mT6_P12ihipStream_tbENKUlT_T0_E_clISt17integral_constantIbLb0EESW_IbLb1EEEEDaSS_ST_EUlSS_E0_NS1_11comp_targetILNS1_3genE0ELNS1_11target_archE4294967295ELNS1_3gpuE0ELNS1_3repE0EEENS1_30default_config_static_selectorELNS0_4arch9wavefront6targetE1EEEvT1_
	.p2align	8
	.type	_ZN7rocprim17ROCPRIM_400000_NS6detail17trampoline_kernelINS0_14default_configENS1_20scan_config_selectorIfEEZZNS1_9scan_implILNS1_25lookback_scan_determinismE0ELb0ELb0ES3_N6thrust23THRUST_200600_302600_NS6detail15normal_iteratorINS9_10device_ptrIfEEEENS9_16discard_iteratorINS9_11use_defaultEEEfNS9_4plusIvEEfEEDaPvRmT3_T4_T5_mT6_P12ihipStream_tbENKUlT_T0_E_clISt17integral_constantIbLb0EESW_IbLb1EEEEDaSS_ST_EUlSS_E0_NS1_11comp_targetILNS1_3genE0ELNS1_11target_archE4294967295ELNS1_3gpuE0ELNS1_3repE0EEENS1_30default_config_static_selectorELNS0_4arch9wavefront6targetE1EEEvT1_,@function
_ZN7rocprim17ROCPRIM_400000_NS6detail17trampoline_kernelINS0_14default_configENS1_20scan_config_selectorIfEEZZNS1_9scan_implILNS1_25lookback_scan_determinismE0ELb0ELb0ES3_N6thrust23THRUST_200600_302600_NS6detail15normal_iteratorINS9_10device_ptrIfEEEENS9_16discard_iteratorINS9_11use_defaultEEEfNS9_4plusIvEEfEEDaPvRmT3_T4_T5_mT6_P12ihipStream_tbENKUlT_T0_E_clISt17integral_constantIbLb0EESW_IbLb1EEEEDaSS_ST_EUlSS_E0_NS1_11comp_targetILNS1_3genE0ELNS1_11target_archE4294967295ELNS1_3gpuE0ELNS1_3repE0EEENS1_30default_config_static_selectorELNS0_4arch9wavefront6targetE1EEEvT1_: ; @_ZN7rocprim17ROCPRIM_400000_NS6detail17trampoline_kernelINS0_14default_configENS1_20scan_config_selectorIfEEZZNS1_9scan_implILNS1_25lookback_scan_determinismE0ELb0ELb0ES3_N6thrust23THRUST_200600_302600_NS6detail15normal_iteratorINS9_10device_ptrIfEEEENS9_16discard_iteratorINS9_11use_defaultEEEfNS9_4plusIvEEfEEDaPvRmT3_T4_T5_mT6_P12ihipStream_tbENKUlT_T0_E_clISt17integral_constantIbLb0EESW_IbLb1EEEEDaSS_ST_EUlSS_E0_NS1_11comp_targetILNS1_3genE0ELNS1_11target_archE4294967295ELNS1_3gpuE0ELNS1_3repE0EEENS1_30default_config_static_selectorELNS0_4arch9wavefront6targetE1EEEvT1_
; %bb.0:
	.section	.rodata,"a",@progbits
	.p2align	6, 0x0
	.amdhsa_kernel _ZN7rocprim17ROCPRIM_400000_NS6detail17trampoline_kernelINS0_14default_configENS1_20scan_config_selectorIfEEZZNS1_9scan_implILNS1_25lookback_scan_determinismE0ELb0ELb0ES3_N6thrust23THRUST_200600_302600_NS6detail15normal_iteratorINS9_10device_ptrIfEEEENS9_16discard_iteratorINS9_11use_defaultEEEfNS9_4plusIvEEfEEDaPvRmT3_T4_T5_mT6_P12ihipStream_tbENKUlT_T0_E_clISt17integral_constantIbLb0EESW_IbLb1EEEEDaSS_ST_EUlSS_E0_NS1_11comp_targetILNS1_3genE0ELNS1_11target_archE4294967295ELNS1_3gpuE0ELNS1_3repE0EEENS1_30default_config_static_selectorELNS0_4arch9wavefront6targetE1EEEvT1_
		.amdhsa_group_segment_fixed_size 0
		.amdhsa_private_segment_fixed_size 0
		.amdhsa_kernarg_size 40
		.amdhsa_user_sgpr_count 6
		.amdhsa_user_sgpr_private_segment_buffer 1
		.amdhsa_user_sgpr_dispatch_ptr 0
		.amdhsa_user_sgpr_queue_ptr 0
		.amdhsa_user_sgpr_kernarg_segment_ptr 1
		.amdhsa_user_sgpr_dispatch_id 0
		.amdhsa_user_sgpr_flat_scratch_init 0
		.amdhsa_user_sgpr_kernarg_preload_length 0
		.amdhsa_user_sgpr_kernarg_preload_offset 0
		.amdhsa_user_sgpr_private_segment_size 0
		.amdhsa_uses_dynamic_stack 0
		.amdhsa_system_sgpr_private_segment_wavefront_offset 0
		.amdhsa_system_sgpr_workgroup_id_x 1
		.amdhsa_system_sgpr_workgroup_id_y 0
		.amdhsa_system_sgpr_workgroup_id_z 0
		.amdhsa_system_sgpr_workgroup_info 0
		.amdhsa_system_vgpr_workitem_id 0
		.amdhsa_next_free_vgpr 1
		.amdhsa_next_free_sgpr 0
		.amdhsa_accum_offset 4
		.amdhsa_reserve_vcc 0
		.amdhsa_reserve_flat_scratch 0
		.amdhsa_float_round_mode_32 0
		.amdhsa_float_round_mode_16_64 0
		.amdhsa_float_denorm_mode_32 3
		.amdhsa_float_denorm_mode_16_64 3
		.amdhsa_dx10_clamp 1
		.amdhsa_ieee_mode 1
		.amdhsa_fp16_overflow 0
		.amdhsa_tg_split 0
		.amdhsa_exception_fp_ieee_invalid_op 0
		.amdhsa_exception_fp_denorm_src 0
		.amdhsa_exception_fp_ieee_div_zero 0
		.amdhsa_exception_fp_ieee_overflow 0
		.amdhsa_exception_fp_ieee_underflow 0
		.amdhsa_exception_fp_ieee_inexact 0
		.amdhsa_exception_int_div_zero 0
	.end_amdhsa_kernel
	.section	.text._ZN7rocprim17ROCPRIM_400000_NS6detail17trampoline_kernelINS0_14default_configENS1_20scan_config_selectorIfEEZZNS1_9scan_implILNS1_25lookback_scan_determinismE0ELb0ELb0ES3_N6thrust23THRUST_200600_302600_NS6detail15normal_iteratorINS9_10device_ptrIfEEEENS9_16discard_iteratorINS9_11use_defaultEEEfNS9_4plusIvEEfEEDaPvRmT3_T4_T5_mT6_P12ihipStream_tbENKUlT_T0_E_clISt17integral_constantIbLb0EESW_IbLb1EEEEDaSS_ST_EUlSS_E0_NS1_11comp_targetILNS1_3genE0ELNS1_11target_archE4294967295ELNS1_3gpuE0ELNS1_3repE0EEENS1_30default_config_static_selectorELNS0_4arch9wavefront6targetE1EEEvT1_,"axG",@progbits,_ZN7rocprim17ROCPRIM_400000_NS6detail17trampoline_kernelINS0_14default_configENS1_20scan_config_selectorIfEEZZNS1_9scan_implILNS1_25lookback_scan_determinismE0ELb0ELb0ES3_N6thrust23THRUST_200600_302600_NS6detail15normal_iteratorINS9_10device_ptrIfEEEENS9_16discard_iteratorINS9_11use_defaultEEEfNS9_4plusIvEEfEEDaPvRmT3_T4_T5_mT6_P12ihipStream_tbENKUlT_T0_E_clISt17integral_constantIbLb0EESW_IbLb1EEEEDaSS_ST_EUlSS_E0_NS1_11comp_targetILNS1_3genE0ELNS1_11target_archE4294967295ELNS1_3gpuE0ELNS1_3repE0EEENS1_30default_config_static_selectorELNS0_4arch9wavefront6targetE1EEEvT1_,comdat
.Lfunc_end5069:
	.size	_ZN7rocprim17ROCPRIM_400000_NS6detail17trampoline_kernelINS0_14default_configENS1_20scan_config_selectorIfEEZZNS1_9scan_implILNS1_25lookback_scan_determinismE0ELb0ELb0ES3_N6thrust23THRUST_200600_302600_NS6detail15normal_iteratorINS9_10device_ptrIfEEEENS9_16discard_iteratorINS9_11use_defaultEEEfNS9_4plusIvEEfEEDaPvRmT3_T4_T5_mT6_P12ihipStream_tbENKUlT_T0_E_clISt17integral_constantIbLb0EESW_IbLb1EEEEDaSS_ST_EUlSS_E0_NS1_11comp_targetILNS1_3genE0ELNS1_11target_archE4294967295ELNS1_3gpuE0ELNS1_3repE0EEENS1_30default_config_static_selectorELNS0_4arch9wavefront6targetE1EEEvT1_, .Lfunc_end5069-_ZN7rocprim17ROCPRIM_400000_NS6detail17trampoline_kernelINS0_14default_configENS1_20scan_config_selectorIfEEZZNS1_9scan_implILNS1_25lookback_scan_determinismE0ELb0ELb0ES3_N6thrust23THRUST_200600_302600_NS6detail15normal_iteratorINS9_10device_ptrIfEEEENS9_16discard_iteratorINS9_11use_defaultEEEfNS9_4plusIvEEfEEDaPvRmT3_T4_T5_mT6_P12ihipStream_tbENKUlT_T0_E_clISt17integral_constantIbLb0EESW_IbLb1EEEEDaSS_ST_EUlSS_E0_NS1_11comp_targetILNS1_3genE0ELNS1_11target_archE4294967295ELNS1_3gpuE0ELNS1_3repE0EEENS1_30default_config_static_selectorELNS0_4arch9wavefront6targetE1EEEvT1_
                                        ; -- End function
	.section	.AMDGPU.csdata,"",@progbits
; Kernel info:
; codeLenInByte = 0
; NumSgprs: 4
; NumVgprs: 0
; NumAgprs: 0
; TotalNumVgprs: 0
; ScratchSize: 0
; MemoryBound: 0
; FloatMode: 240
; IeeeMode: 1
; LDSByteSize: 0 bytes/workgroup (compile time only)
; SGPRBlocks: 0
; VGPRBlocks: 0
; NumSGPRsForWavesPerEU: 4
; NumVGPRsForWavesPerEU: 1
; AccumOffset: 4
; Occupancy: 8
; WaveLimiterHint : 0
; COMPUTE_PGM_RSRC2:SCRATCH_EN: 0
; COMPUTE_PGM_RSRC2:USER_SGPR: 6
; COMPUTE_PGM_RSRC2:TRAP_HANDLER: 0
; COMPUTE_PGM_RSRC2:TGID_X_EN: 1
; COMPUTE_PGM_RSRC2:TGID_Y_EN: 0
; COMPUTE_PGM_RSRC2:TGID_Z_EN: 0
; COMPUTE_PGM_RSRC2:TIDIG_COMP_CNT: 0
; COMPUTE_PGM_RSRC3_GFX90A:ACCUM_OFFSET: 0
; COMPUTE_PGM_RSRC3_GFX90A:TG_SPLIT: 0
	.section	.text._ZN7rocprim17ROCPRIM_400000_NS6detail17trampoline_kernelINS0_14default_configENS1_20scan_config_selectorIfEEZZNS1_9scan_implILNS1_25lookback_scan_determinismE0ELb0ELb0ES3_N6thrust23THRUST_200600_302600_NS6detail15normal_iteratorINS9_10device_ptrIfEEEENS9_16discard_iteratorINS9_11use_defaultEEEfNS9_4plusIvEEfEEDaPvRmT3_T4_T5_mT6_P12ihipStream_tbENKUlT_T0_E_clISt17integral_constantIbLb0EESW_IbLb1EEEEDaSS_ST_EUlSS_E0_NS1_11comp_targetILNS1_3genE5ELNS1_11target_archE942ELNS1_3gpuE9ELNS1_3repE0EEENS1_30default_config_static_selectorELNS0_4arch9wavefront6targetE1EEEvT1_,"axG",@progbits,_ZN7rocprim17ROCPRIM_400000_NS6detail17trampoline_kernelINS0_14default_configENS1_20scan_config_selectorIfEEZZNS1_9scan_implILNS1_25lookback_scan_determinismE0ELb0ELb0ES3_N6thrust23THRUST_200600_302600_NS6detail15normal_iteratorINS9_10device_ptrIfEEEENS9_16discard_iteratorINS9_11use_defaultEEEfNS9_4plusIvEEfEEDaPvRmT3_T4_T5_mT6_P12ihipStream_tbENKUlT_T0_E_clISt17integral_constantIbLb0EESW_IbLb1EEEEDaSS_ST_EUlSS_E0_NS1_11comp_targetILNS1_3genE5ELNS1_11target_archE942ELNS1_3gpuE9ELNS1_3repE0EEENS1_30default_config_static_selectorELNS0_4arch9wavefront6targetE1EEEvT1_,comdat
	.protected	_ZN7rocprim17ROCPRIM_400000_NS6detail17trampoline_kernelINS0_14default_configENS1_20scan_config_selectorIfEEZZNS1_9scan_implILNS1_25lookback_scan_determinismE0ELb0ELb0ES3_N6thrust23THRUST_200600_302600_NS6detail15normal_iteratorINS9_10device_ptrIfEEEENS9_16discard_iteratorINS9_11use_defaultEEEfNS9_4plusIvEEfEEDaPvRmT3_T4_T5_mT6_P12ihipStream_tbENKUlT_T0_E_clISt17integral_constantIbLb0EESW_IbLb1EEEEDaSS_ST_EUlSS_E0_NS1_11comp_targetILNS1_3genE5ELNS1_11target_archE942ELNS1_3gpuE9ELNS1_3repE0EEENS1_30default_config_static_selectorELNS0_4arch9wavefront6targetE1EEEvT1_ ; -- Begin function _ZN7rocprim17ROCPRIM_400000_NS6detail17trampoline_kernelINS0_14default_configENS1_20scan_config_selectorIfEEZZNS1_9scan_implILNS1_25lookback_scan_determinismE0ELb0ELb0ES3_N6thrust23THRUST_200600_302600_NS6detail15normal_iteratorINS9_10device_ptrIfEEEENS9_16discard_iteratorINS9_11use_defaultEEEfNS9_4plusIvEEfEEDaPvRmT3_T4_T5_mT6_P12ihipStream_tbENKUlT_T0_E_clISt17integral_constantIbLb0EESW_IbLb1EEEEDaSS_ST_EUlSS_E0_NS1_11comp_targetILNS1_3genE5ELNS1_11target_archE942ELNS1_3gpuE9ELNS1_3repE0EEENS1_30default_config_static_selectorELNS0_4arch9wavefront6targetE1EEEvT1_
	.globl	_ZN7rocprim17ROCPRIM_400000_NS6detail17trampoline_kernelINS0_14default_configENS1_20scan_config_selectorIfEEZZNS1_9scan_implILNS1_25lookback_scan_determinismE0ELb0ELb0ES3_N6thrust23THRUST_200600_302600_NS6detail15normal_iteratorINS9_10device_ptrIfEEEENS9_16discard_iteratorINS9_11use_defaultEEEfNS9_4plusIvEEfEEDaPvRmT3_T4_T5_mT6_P12ihipStream_tbENKUlT_T0_E_clISt17integral_constantIbLb0EESW_IbLb1EEEEDaSS_ST_EUlSS_E0_NS1_11comp_targetILNS1_3genE5ELNS1_11target_archE942ELNS1_3gpuE9ELNS1_3repE0EEENS1_30default_config_static_selectorELNS0_4arch9wavefront6targetE1EEEvT1_
	.p2align	8
	.type	_ZN7rocprim17ROCPRIM_400000_NS6detail17trampoline_kernelINS0_14default_configENS1_20scan_config_selectorIfEEZZNS1_9scan_implILNS1_25lookback_scan_determinismE0ELb0ELb0ES3_N6thrust23THRUST_200600_302600_NS6detail15normal_iteratorINS9_10device_ptrIfEEEENS9_16discard_iteratorINS9_11use_defaultEEEfNS9_4plusIvEEfEEDaPvRmT3_T4_T5_mT6_P12ihipStream_tbENKUlT_T0_E_clISt17integral_constantIbLb0EESW_IbLb1EEEEDaSS_ST_EUlSS_E0_NS1_11comp_targetILNS1_3genE5ELNS1_11target_archE942ELNS1_3gpuE9ELNS1_3repE0EEENS1_30default_config_static_selectorELNS0_4arch9wavefront6targetE1EEEvT1_,@function
_ZN7rocprim17ROCPRIM_400000_NS6detail17trampoline_kernelINS0_14default_configENS1_20scan_config_selectorIfEEZZNS1_9scan_implILNS1_25lookback_scan_determinismE0ELb0ELb0ES3_N6thrust23THRUST_200600_302600_NS6detail15normal_iteratorINS9_10device_ptrIfEEEENS9_16discard_iteratorINS9_11use_defaultEEEfNS9_4plusIvEEfEEDaPvRmT3_T4_T5_mT6_P12ihipStream_tbENKUlT_T0_E_clISt17integral_constantIbLb0EESW_IbLb1EEEEDaSS_ST_EUlSS_E0_NS1_11comp_targetILNS1_3genE5ELNS1_11target_archE942ELNS1_3gpuE9ELNS1_3repE0EEENS1_30default_config_static_selectorELNS0_4arch9wavefront6targetE1EEEvT1_: ; @_ZN7rocprim17ROCPRIM_400000_NS6detail17trampoline_kernelINS0_14default_configENS1_20scan_config_selectorIfEEZZNS1_9scan_implILNS1_25lookback_scan_determinismE0ELb0ELb0ES3_N6thrust23THRUST_200600_302600_NS6detail15normal_iteratorINS9_10device_ptrIfEEEENS9_16discard_iteratorINS9_11use_defaultEEEfNS9_4plusIvEEfEEDaPvRmT3_T4_T5_mT6_P12ihipStream_tbENKUlT_T0_E_clISt17integral_constantIbLb0EESW_IbLb1EEEEDaSS_ST_EUlSS_E0_NS1_11comp_targetILNS1_3genE5ELNS1_11target_archE942ELNS1_3gpuE9ELNS1_3repE0EEENS1_30default_config_static_selectorELNS0_4arch9wavefront6targetE1EEEvT1_
; %bb.0:
	.section	.rodata,"a",@progbits
	.p2align	6, 0x0
	.amdhsa_kernel _ZN7rocprim17ROCPRIM_400000_NS6detail17trampoline_kernelINS0_14default_configENS1_20scan_config_selectorIfEEZZNS1_9scan_implILNS1_25lookback_scan_determinismE0ELb0ELb0ES3_N6thrust23THRUST_200600_302600_NS6detail15normal_iteratorINS9_10device_ptrIfEEEENS9_16discard_iteratorINS9_11use_defaultEEEfNS9_4plusIvEEfEEDaPvRmT3_T4_T5_mT6_P12ihipStream_tbENKUlT_T0_E_clISt17integral_constantIbLb0EESW_IbLb1EEEEDaSS_ST_EUlSS_E0_NS1_11comp_targetILNS1_3genE5ELNS1_11target_archE942ELNS1_3gpuE9ELNS1_3repE0EEENS1_30default_config_static_selectorELNS0_4arch9wavefront6targetE1EEEvT1_
		.amdhsa_group_segment_fixed_size 0
		.amdhsa_private_segment_fixed_size 0
		.amdhsa_kernarg_size 40
		.amdhsa_user_sgpr_count 6
		.amdhsa_user_sgpr_private_segment_buffer 1
		.amdhsa_user_sgpr_dispatch_ptr 0
		.amdhsa_user_sgpr_queue_ptr 0
		.amdhsa_user_sgpr_kernarg_segment_ptr 1
		.amdhsa_user_sgpr_dispatch_id 0
		.amdhsa_user_sgpr_flat_scratch_init 0
		.amdhsa_user_sgpr_kernarg_preload_length 0
		.amdhsa_user_sgpr_kernarg_preload_offset 0
		.amdhsa_user_sgpr_private_segment_size 0
		.amdhsa_uses_dynamic_stack 0
		.amdhsa_system_sgpr_private_segment_wavefront_offset 0
		.amdhsa_system_sgpr_workgroup_id_x 1
		.amdhsa_system_sgpr_workgroup_id_y 0
		.amdhsa_system_sgpr_workgroup_id_z 0
		.amdhsa_system_sgpr_workgroup_info 0
		.amdhsa_system_vgpr_workitem_id 0
		.amdhsa_next_free_vgpr 1
		.amdhsa_next_free_sgpr 0
		.amdhsa_accum_offset 4
		.amdhsa_reserve_vcc 0
		.amdhsa_reserve_flat_scratch 0
		.amdhsa_float_round_mode_32 0
		.amdhsa_float_round_mode_16_64 0
		.amdhsa_float_denorm_mode_32 3
		.amdhsa_float_denorm_mode_16_64 3
		.amdhsa_dx10_clamp 1
		.amdhsa_ieee_mode 1
		.amdhsa_fp16_overflow 0
		.amdhsa_tg_split 0
		.amdhsa_exception_fp_ieee_invalid_op 0
		.amdhsa_exception_fp_denorm_src 0
		.amdhsa_exception_fp_ieee_div_zero 0
		.amdhsa_exception_fp_ieee_overflow 0
		.amdhsa_exception_fp_ieee_underflow 0
		.amdhsa_exception_fp_ieee_inexact 0
		.amdhsa_exception_int_div_zero 0
	.end_amdhsa_kernel
	.section	.text._ZN7rocprim17ROCPRIM_400000_NS6detail17trampoline_kernelINS0_14default_configENS1_20scan_config_selectorIfEEZZNS1_9scan_implILNS1_25lookback_scan_determinismE0ELb0ELb0ES3_N6thrust23THRUST_200600_302600_NS6detail15normal_iteratorINS9_10device_ptrIfEEEENS9_16discard_iteratorINS9_11use_defaultEEEfNS9_4plusIvEEfEEDaPvRmT3_T4_T5_mT6_P12ihipStream_tbENKUlT_T0_E_clISt17integral_constantIbLb0EESW_IbLb1EEEEDaSS_ST_EUlSS_E0_NS1_11comp_targetILNS1_3genE5ELNS1_11target_archE942ELNS1_3gpuE9ELNS1_3repE0EEENS1_30default_config_static_selectorELNS0_4arch9wavefront6targetE1EEEvT1_,"axG",@progbits,_ZN7rocprim17ROCPRIM_400000_NS6detail17trampoline_kernelINS0_14default_configENS1_20scan_config_selectorIfEEZZNS1_9scan_implILNS1_25lookback_scan_determinismE0ELb0ELb0ES3_N6thrust23THRUST_200600_302600_NS6detail15normal_iteratorINS9_10device_ptrIfEEEENS9_16discard_iteratorINS9_11use_defaultEEEfNS9_4plusIvEEfEEDaPvRmT3_T4_T5_mT6_P12ihipStream_tbENKUlT_T0_E_clISt17integral_constantIbLb0EESW_IbLb1EEEEDaSS_ST_EUlSS_E0_NS1_11comp_targetILNS1_3genE5ELNS1_11target_archE942ELNS1_3gpuE9ELNS1_3repE0EEENS1_30default_config_static_selectorELNS0_4arch9wavefront6targetE1EEEvT1_,comdat
.Lfunc_end5070:
	.size	_ZN7rocprim17ROCPRIM_400000_NS6detail17trampoline_kernelINS0_14default_configENS1_20scan_config_selectorIfEEZZNS1_9scan_implILNS1_25lookback_scan_determinismE0ELb0ELb0ES3_N6thrust23THRUST_200600_302600_NS6detail15normal_iteratorINS9_10device_ptrIfEEEENS9_16discard_iteratorINS9_11use_defaultEEEfNS9_4plusIvEEfEEDaPvRmT3_T4_T5_mT6_P12ihipStream_tbENKUlT_T0_E_clISt17integral_constantIbLb0EESW_IbLb1EEEEDaSS_ST_EUlSS_E0_NS1_11comp_targetILNS1_3genE5ELNS1_11target_archE942ELNS1_3gpuE9ELNS1_3repE0EEENS1_30default_config_static_selectorELNS0_4arch9wavefront6targetE1EEEvT1_, .Lfunc_end5070-_ZN7rocprim17ROCPRIM_400000_NS6detail17trampoline_kernelINS0_14default_configENS1_20scan_config_selectorIfEEZZNS1_9scan_implILNS1_25lookback_scan_determinismE0ELb0ELb0ES3_N6thrust23THRUST_200600_302600_NS6detail15normal_iteratorINS9_10device_ptrIfEEEENS9_16discard_iteratorINS9_11use_defaultEEEfNS9_4plusIvEEfEEDaPvRmT3_T4_T5_mT6_P12ihipStream_tbENKUlT_T0_E_clISt17integral_constantIbLb0EESW_IbLb1EEEEDaSS_ST_EUlSS_E0_NS1_11comp_targetILNS1_3genE5ELNS1_11target_archE942ELNS1_3gpuE9ELNS1_3repE0EEENS1_30default_config_static_selectorELNS0_4arch9wavefront6targetE1EEEvT1_
                                        ; -- End function
	.section	.AMDGPU.csdata,"",@progbits
; Kernel info:
; codeLenInByte = 0
; NumSgprs: 4
; NumVgprs: 0
; NumAgprs: 0
; TotalNumVgprs: 0
; ScratchSize: 0
; MemoryBound: 0
; FloatMode: 240
; IeeeMode: 1
; LDSByteSize: 0 bytes/workgroup (compile time only)
; SGPRBlocks: 0
; VGPRBlocks: 0
; NumSGPRsForWavesPerEU: 4
; NumVGPRsForWavesPerEU: 1
; AccumOffset: 4
; Occupancy: 8
; WaveLimiterHint : 0
; COMPUTE_PGM_RSRC2:SCRATCH_EN: 0
; COMPUTE_PGM_RSRC2:USER_SGPR: 6
; COMPUTE_PGM_RSRC2:TRAP_HANDLER: 0
; COMPUTE_PGM_RSRC2:TGID_X_EN: 1
; COMPUTE_PGM_RSRC2:TGID_Y_EN: 0
; COMPUTE_PGM_RSRC2:TGID_Z_EN: 0
; COMPUTE_PGM_RSRC2:TIDIG_COMP_CNT: 0
; COMPUTE_PGM_RSRC3_GFX90A:ACCUM_OFFSET: 0
; COMPUTE_PGM_RSRC3_GFX90A:TG_SPLIT: 0
	.section	.text._ZN7rocprim17ROCPRIM_400000_NS6detail17trampoline_kernelINS0_14default_configENS1_20scan_config_selectorIfEEZZNS1_9scan_implILNS1_25lookback_scan_determinismE0ELb0ELb0ES3_N6thrust23THRUST_200600_302600_NS6detail15normal_iteratorINS9_10device_ptrIfEEEENS9_16discard_iteratorINS9_11use_defaultEEEfNS9_4plusIvEEfEEDaPvRmT3_T4_T5_mT6_P12ihipStream_tbENKUlT_T0_E_clISt17integral_constantIbLb0EESW_IbLb1EEEEDaSS_ST_EUlSS_E0_NS1_11comp_targetILNS1_3genE4ELNS1_11target_archE910ELNS1_3gpuE8ELNS1_3repE0EEENS1_30default_config_static_selectorELNS0_4arch9wavefront6targetE1EEEvT1_,"axG",@progbits,_ZN7rocprim17ROCPRIM_400000_NS6detail17trampoline_kernelINS0_14default_configENS1_20scan_config_selectorIfEEZZNS1_9scan_implILNS1_25lookback_scan_determinismE0ELb0ELb0ES3_N6thrust23THRUST_200600_302600_NS6detail15normal_iteratorINS9_10device_ptrIfEEEENS9_16discard_iteratorINS9_11use_defaultEEEfNS9_4plusIvEEfEEDaPvRmT3_T4_T5_mT6_P12ihipStream_tbENKUlT_T0_E_clISt17integral_constantIbLb0EESW_IbLb1EEEEDaSS_ST_EUlSS_E0_NS1_11comp_targetILNS1_3genE4ELNS1_11target_archE910ELNS1_3gpuE8ELNS1_3repE0EEENS1_30default_config_static_selectorELNS0_4arch9wavefront6targetE1EEEvT1_,comdat
	.protected	_ZN7rocprim17ROCPRIM_400000_NS6detail17trampoline_kernelINS0_14default_configENS1_20scan_config_selectorIfEEZZNS1_9scan_implILNS1_25lookback_scan_determinismE0ELb0ELb0ES3_N6thrust23THRUST_200600_302600_NS6detail15normal_iteratorINS9_10device_ptrIfEEEENS9_16discard_iteratorINS9_11use_defaultEEEfNS9_4plusIvEEfEEDaPvRmT3_T4_T5_mT6_P12ihipStream_tbENKUlT_T0_E_clISt17integral_constantIbLb0EESW_IbLb1EEEEDaSS_ST_EUlSS_E0_NS1_11comp_targetILNS1_3genE4ELNS1_11target_archE910ELNS1_3gpuE8ELNS1_3repE0EEENS1_30default_config_static_selectorELNS0_4arch9wavefront6targetE1EEEvT1_ ; -- Begin function _ZN7rocprim17ROCPRIM_400000_NS6detail17trampoline_kernelINS0_14default_configENS1_20scan_config_selectorIfEEZZNS1_9scan_implILNS1_25lookback_scan_determinismE0ELb0ELb0ES3_N6thrust23THRUST_200600_302600_NS6detail15normal_iteratorINS9_10device_ptrIfEEEENS9_16discard_iteratorINS9_11use_defaultEEEfNS9_4plusIvEEfEEDaPvRmT3_T4_T5_mT6_P12ihipStream_tbENKUlT_T0_E_clISt17integral_constantIbLb0EESW_IbLb1EEEEDaSS_ST_EUlSS_E0_NS1_11comp_targetILNS1_3genE4ELNS1_11target_archE910ELNS1_3gpuE8ELNS1_3repE0EEENS1_30default_config_static_selectorELNS0_4arch9wavefront6targetE1EEEvT1_
	.globl	_ZN7rocprim17ROCPRIM_400000_NS6detail17trampoline_kernelINS0_14default_configENS1_20scan_config_selectorIfEEZZNS1_9scan_implILNS1_25lookback_scan_determinismE0ELb0ELb0ES3_N6thrust23THRUST_200600_302600_NS6detail15normal_iteratorINS9_10device_ptrIfEEEENS9_16discard_iteratorINS9_11use_defaultEEEfNS9_4plusIvEEfEEDaPvRmT3_T4_T5_mT6_P12ihipStream_tbENKUlT_T0_E_clISt17integral_constantIbLb0EESW_IbLb1EEEEDaSS_ST_EUlSS_E0_NS1_11comp_targetILNS1_3genE4ELNS1_11target_archE910ELNS1_3gpuE8ELNS1_3repE0EEENS1_30default_config_static_selectorELNS0_4arch9wavefront6targetE1EEEvT1_
	.p2align	8
	.type	_ZN7rocprim17ROCPRIM_400000_NS6detail17trampoline_kernelINS0_14default_configENS1_20scan_config_selectorIfEEZZNS1_9scan_implILNS1_25lookback_scan_determinismE0ELb0ELb0ES3_N6thrust23THRUST_200600_302600_NS6detail15normal_iteratorINS9_10device_ptrIfEEEENS9_16discard_iteratorINS9_11use_defaultEEEfNS9_4plusIvEEfEEDaPvRmT3_T4_T5_mT6_P12ihipStream_tbENKUlT_T0_E_clISt17integral_constantIbLb0EESW_IbLb1EEEEDaSS_ST_EUlSS_E0_NS1_11comp_targetILNS1_3genE4ELNS1_11target_archE910ELNS1_3gpuE8ELNS1_3repE0EEENS1_30default_config_static_selectorELNS0_4arch9wavefront6targetE1EEEvT1_,@function
_ZN7rocprim17ROCPRIM_400000_NS6detail17trampoline_kernelINS0_14default_configENS1_20scan_config_selectorIfEEZZNS1_9scan_implILNS1_25lookback_scan_determinismE0ELb0ELb0ES3_N6thrust23THRUST_200600_302600_NS6detail15normal_iteratorINS9_10device_ptrIfEEEENS9_16discard_iteratorINS9_11use_defaultEEEfNS9_4plusIvEEfEEDaPvRmT3_T4_T5_mT6_P12ihipStream_tbENKUlT_T0_E_clISt17integral_constantIbLb0EESW_IbLb1EEEEDaSS_ST_EUlSS_E0_NS1_11comp_targetILNS1_3genE4ELNS1_11target_archE910ELNS1_3gpuE8ELNS1_3repE0EEENS1_30default_config_static_selectorELNS0_4arch9wavefront6targetE1EEEvT1_: ; @_ZN7rocprim17ROCPRIM_400000_NS6detail17trampoline_kernelINS0_14default_configENS1_20scan_config_selectorIfEEZZNS1_9scan_implILNS1_25lookback_scan_determinismE0ELb0ELb0ES3_N6thrust23THRUST_200600_302600_NS6detail15normal_iteratorINS9_10device_ptrIfEEEENS9_16discard_iteratorINS9_11use_defaultEEEfNS9_4plusIvEEfEEDaPvRmT3_T4_T5_mT6_P12ihipStream_tbENKUlT_T0_E_clISt17integral_constantIbLb0EESW_IbLb1EEEEDaSS_ST_EUlSS_E0_NS1_11comp_targetILNS1_3genE4ELNS1_11target_archE910ELNS1_3gpuE8ELNS1_3repE0EEENS1_30default_config_static_selectorELNS0_4arch9wavefront6targetE1EEEvT1_
; %bb.0:
	s_load_dwordx4 s[0:3], s[4:5], 0x0
	v_lshlrev_b32_e32 v28, 2, v0
	s_waitcnt lgkmcnt(0)
	s_load_dword s3, s[0:1], 0x0
	v_cmp_gt_u32_e32 vcc, s2, v0
	s_waitcnt lgkmcnt(0)
	v_mov_b32_e32 v1, s3
	s_and_saveexec_b64 s[4:5], vcc
	s_cbranch_execz .LBB5071_2
; %bb.1:
	global_load_dword v1, v28, s[0:1]
.LBB5071_2:
	s_or_b64 exec, exec, s[4:5]
	v_or_b32_e32 v2, 0x80, v0
	v_cmp_gt_u32_e32 vcc, s2, v2
	v_mov_b32_e32 v2, s3
	s_and_saveexec_b64 s[4:5], vcc
	s_cbranch_execz .LBB5071_4
; %bb.3:
	global_load_dword v2, v28, s[0:1] offset:512
.LBB5071_4:
	s_or_b64 exec, exec, s[4:5]
	v_or_b32_e32 v3, 0x100, v0
	v_cmp_gt_u32_e32 vcc, s2, v3
	v_mov_b32_e32 v3, s3
	s_and_saveexec_b64 s[4:5], vcc
	s_cbranch_execz .LBB5071_6
; %bb.5:
	global_load_dword v3, v28, s[0:1] offset:1024
.LBB5071_6:
	;; [unrolled: 9-line block ×7, first 2 shown]
	s_or_b64 exec, exec, s[4:5]
	v_or_b32_e32 v10, 0x400, v0
	v_cmp_gt_u32_e32 vcc, s2, v10
	v_mov_b32_e32 v9, s3
	s_and_saveexec_b64 s[4:5], vcc
	s_cbranch_execz .LBB5071_18
; %bb.17:
	v_lshlrev_b32_e32 v9, 2, v10
	global_load_dword v9, v9, s[0:1]
.LBB5071_18:
	s_or_b64 exec, exec, s[4:5]
	v_or_b32_e32 v11, 0x480, v0
	v_cmp_gt_u32_e32 vcc, s2, v11
	v_mov_b32_e32 v10, s3
	s_and_saveexec_b64 s[4:5], vcc
	s_cbranch_execz .LBB5071_20
; %bb.19:
	v_lshlrev_b32_e32 v10, 2, v11
	global_load_dword v10, v10, s[0:1]
.LBB5071_20:
	s_or_b64 exec, exec, s[4:5]
	v_or_b32_e32 v12, 0x500, v0
	v_cmp_gt_u32_e32 vcc, s2, v12
	v_mov_b32_e32 v11, s3
	s_and_saveexec_b64 s[4:5], vcc
	s_cbranch_execz .LBB5071_22
; %bb.21:
	v_lshlrev_b32_e32 v11, 2, v12
	global_load_dword v11, v11, s[0:1]
.LBB5071_22:
	s_or_b64 exec, exec, s[4:5]
	v_or_b32_e32 v13, 0x580, v0
	v_cmp_gt_u32_e32 vcc, s2, v13
	v_mov_b32_e32 v12, s3
	s_and_saveexec_b64 s[4:5], vcc
	s_cbranch_execz .LBB5071_24
; %bb.23:
	v_lshlrev_b32_e32 v12, 2, v13
	global_load_dword v12, v12, s[0:1]
.LBB5071_24:
	s_or_b64 exec, exec, s[4:5]
	v_or_b32_e32 v14, 0x600, v0
	v_cmp_gt_u32_e32 vcc, s2, v14
	v_mov_b32_e32 v13, s3
	s_and_saveexec_b64 s[4:5], vcc
	s_cbranch_execz .LBB5071_26
; %bb.25:
	v_lshlrev_b32_e32 v13, 2, v14
	global_load_dword v13, v13, s[0:1]
.LBB5071_26:
	s_or_b64 exec, exec, s[4:5]
	v_or_b32_e32 v15, 0x680, v0
	v_cmp_gt_u32_e32 vcc, s2, v15
	v_mov_b32_e32 v14, s3
	s_and_saveexec_b64 s[2:3], vcc
	s_cbranch_execz .LBB5071_28
; %bb.27:
	v_lshlrev_b32_e32 v14, 2, v15
	global_load_dword v14, v14, s[0:1]
.LBB5071_28:
	s_or_b64 exec, exec, s[2:3]
	s_waitcnt vmcnt(0)
	ds_write2st64_b32 v28, v1, v2 offset1:2
	ds_write2st64_b32 v28, v3, v4 offset0:4 offset1:6
	ds_write2st64_b32 v28, v5, v6 offset0:8 offset1:10
	;; [unrolled: 1-line block ×6, first 2 shown]
	v_mad_u32_u24 v1, v0, 52, v28
	s_waitcnt lgkmcnt(0)
	s_barrier
	ds_read2_b64 v[10:13], v1 offset1:1
	ds_read2_b64 v[6:9], v1 offset0:2 offset1:3
	ds_read2_b64 v[2:5], v1 offset0:4 offset1:5
	ds_read_b64 v[26:27], v1 offset:48
	v_lshrrev_b32_e32 v29, 3, v0
	s_waitcnt lgkmcnt(3)
	v_add_f32_e32 v1, v10, v11
	v_add_f32_e32 v22, v1, v12
	v_add_f32_e32 v23, v22, v13
	s_waitcnt lgkmcnt(2)
	v_add_f32_e32 v16, v23, v6
	v_add_f32_e32 v17, v16, v7
	v_add_f32_e32 v20, v17, v8
	v_add_f32_e32 v21, v20, v9
	s_waitcnt lgkmcnt(1)
	v_add_f32_e32 v14, v21, v2
	;; [unrolled: 5-line block ×3, first 2 shown]
	v_and_b32_e32 v29, 12, v29
	v_add_f32_e32 v25, v24, v27
	v_add_u32_e32 v29, v28, v29
	v_cmp_gt_u32_e32 vcc, 64, v0
	s_barrier
	ds_write_b32 v29, v25
	s_waitcnt lgkmcnt(0)
	s_barrier
	s_and_saveexec_b64 s[4:5], vcc
	s_cbranch_execz .LBB5071_30
; %bb.29:
	v_lshlrev_b32_e32 v29, 1, v0
	v_lshrrev_b32_e32 v30, 4, v0
	v_add_lshl_u32 v29, v30, v29, 2
	ds_read2_b32 v[30:31], v29 offset1:1
	v_mbcnt_lo_u32_b32 v32, -1, 0
	v_mbcnt_hi_u32_b32 v32, -1, v32
	v_and_b32_e32 v33, 15, v32
	v_cmp_eq_u32_e32 vcc, 0, v33
	s_waitcnt lgkmcnt(0)
	v_add_f32_e32 v31, v30, v31
	v_cmp_lt_u32_e64 s[0:1], 3, v33
	v_cmp_lt_u32_e64 s[2:3], 31, v32
	v_mov_b32_dpp v34, v31 row_shr:1 row_mask:0xf bank_mask:0xf
	v_add_f32_e32 v34, v31, v34
	v_cndmask_b32_e32 v31, v34, v31, vcc
	v_cmp_lt_u32_e32 vcc, 1, v33
	s_nop 0
	v_mov_b32_dpp v34, v31 row_shr:2 row_mask:0xf bank_mask:0xf
	v_add_f32_e32 v34, v31, v34
	v_cndmask_b32_e32 v34, v31, v34, vcc
	; wave barrier
	s_nop 1
	v_mov_b32_dpp v35, v34 row_shr:4 row_mask:0xf bank_mask:0xf
	v_add_f32_e32 v35, v34, v35
	v_cndmask_b32_e64 v34, v34, v35, s[0:1]
	v_cmp_lt_u32_e64 s[0:1], 7, v33
	s_nop 0
	v_mov_b32_dpp v35, v34 row_shr:8 row_mask:0xf bank_mask:0xf
	v_add_f32_e32 v35, v34, v35
	v_cndmask_b32_e64 v33, v34, v35, s[0:1]
	v_and_b32_e32 v35, 16, v32
	v_cmp_eq_u32_e64 s[0:1], 0, v35
	v_mov_b32_dpp v34, v33 row_bcast:15 row_mask:0xf bank_mask:0xf
	v_add_f32_e32 v34, v33, v34
	v_cndmask_b32_e64 v33, v34, v33, s[0:1]
	v_cmp_lt_u32_e64 s[0:1], 15, v32
	s_or_b64 vcc, s[0:1], vcc
	v_mov_b32_dpp v34, v33 row_bcast:31 row_mask:0xf bank_mask:0xf
	v_add_f32_e32 v34, v33, v34
	v_cndmask_b32_e64 v33, v33, v34, s[2:3]
	v_cndmask_b32_e32 v31, v31, v33, vcc
	v_add_u32_e32 v33, -1, v32
	v_and_b32_e32 v34, 64, v32
	v_cmp_lt_i32_e32 vcc, v33, v34
	v_cndmask_b32_e32 v32, v33, v32, vcc
	v_lshlrev_b32_e32 v32, 2, v32
	ds_bpermute_b32 v31, v32, v31
	v_cmp_eq_u32_e32 vcc, 0, v0
	s_waitcnt lgkmcnt(0)
	v_add_f32_e32 v30, v30, v31
	v_cndmask_b32_e32 v30, v30, v25, vcc
	ds_write_b32 v29, v30
	; wave barrier
	ds_read_b32 v31, v29 offset:4
	s_waitcnt lgkmcnt(0)
	v_add_f32_e32 v30, v30, v31
	ds_write_b32 v29, v30 offset:4
.LBB5071_30:
	s_or_b64 exec, exec, s[4:5]
	v_cmp_ne_u32_e32 vcc, 0, v0
	v_mov_b32_e32 v30, v25
	s_waitcnt lgkmcnt(0)
	s_barrier
	s_and_saveexec_b64 s[0:1], vcc
	s_cbranch_execz .LBB5071_32
; %bb.31:
	v_add_u32_e32 v29, -1, v0
	v_lshrrev_b32_e32 v30, 5, v29
	v_add_lshl_u32 v29, v30, v29, 2
	ds_read_b32 v30, v29
.LBB5071_32:
	s_or_b64 exec, exec, s[0:1]
	v_mul_u32_u24_e32 v29, 52, v0
	v_mov_b32_e32 v0, v10
	s_and_saveexec_b64 s[0:1], vcc
	s_cbranch_execz .LBB5071_34
; %bb.33:
	s_waitcnt lgkmcnt(0)
	v_add_f32_e32 v0, v10, v30
	v_add_f32_e32 v1, v11, v0
	;; [unrolled: 1-line block ×14, first 2 shown]
	;;#ASMSTART
	;;#ASMEND
.LBB5071_34:
	s_or_b64 exec, exec, s[0:1]
	v_add_u32_e32 v2, v28, v29
	s_waitcnt lgkmcnt(0)
	s_barrier
	ds_write2_b64 v2, v[0:1], v[22:23] offset1:1
	ds_write2_b64 v2, v[16:17], v[20:21] offset0:2 offset1:3
	ds_write2_b64 v2, v[14:15], v[18:19] offset0:4 offset1:5
	ds_write_b64 v2, v[24:25] offset:48
	s_waitcnt lgkmcnt(0)
	s_barrier
	s_endpgm
	.section	.rodata,"a",@progbits
	.p2align	6, 0x0
	.amdhsa_kernel _ZN7rocprim17ROCPRIM_400000_NS6detail17trampoline_kernelINS0_14default_configENS1_20scan_config_selectorIfEEZZNS1_9scan_implILNS1_25lookback_scan_determinismE0ELb0ELb0ES3_N6thrust23THRUST_200600_302600_NS6detail15normal_iteratorINS9_10device_ptrIfEEEENS9_16discard_iteratorINS9_11use_defaultEEEfNS9_4plusIvEEfEEDaPvRmT3_T4_T5_mT6_P12ihipStream_tbENKUlT_T0_E_clISt17integral_constantIbLb0EESW_IbLb1EEEEDaSS_ST_EUlSS_E0_NS1_11comp_targetILNS1_3genE4ELNS1_11target_archE910ELNS1_3gpuE8ELNS1_3repE0EEENS1_30default_config_static_selectorELNS0_4arch9wavefront6targetE1EEEvT1_
		.amdhsa_group_segment_fixed_size 7168
		.amdhsa_private_segment_fixed_size 0
		.amdhsa_kernarg_size 40
		.amdhsa_user_sgpr_count 6
		.amdhsa_user_sgpr_private_segment_buffer 1
		.amdhsa_user_sgpr_dispatch_ptr 0
		.amdhsa_user_sgpr_queue_ptr 0
		.amdhsa_user_sgpr_kernarg_segment_ptr 1
		.amdhsa_user_sgpr_dispatch_id 0
		.amdhsa_user_sgpr_flat_scratch_init 0
		.amdhsa_user_sgpr_kernarg_preload_length 0
		.amdhsa_user_sgpr_kernarg_preload_offset 0
		.amdhsa_user_sgpr_private_segment_size 0
		.amdhsa_uses_dynamic_stack 0
		.amdhsa_system_sgpr_private_segment_wavefront_offset 0
		.amdhsa_system_sgpr_workgroup_id_x 1
		.amdhsa_system_sgpr_workgroup_id_y 0
		.amdhsa_system_sgpr_workgroup_id_z 0
		.amdhsa_system_sgpr_workgroup_info 0
		.amdhsa_system_vgpr_workitem_id 0
		.amdhsa_next_free_vgpr 36
		.amdhsa_next_free_sgpr 6
		.amdhsa_accum_offset 36
		.amdhsa_reserve_vcc 1
		.amdhsa_reserve_flat_scratch 0
		.amdhsa_float_round_mode_32 0
		.amdhsa_float_round_mode_16_64 0
		.amdhsa_float_denorm_mode_32 3
		.amdhsa_float_denorm_mode_16_64 3
		.amdhsa_dx10_clamp 1
		.amdhsa_ieee_mode 1
		.amdhsa_fp16_overflow 0
		.amdhsa_tg_split 0
		.amdhsa_exception_fp_ieee_invalid_op 0
		.amdhsa_exception_fp_denorm_src 0
		.amdhsa_exception_fp_ieee_div_zero 0
		.amdhsa_exception_fp_ieee_overflow 0
		.amdhsa_exception_fp_ieee_underflow 0
		.amdhsa_exception_fp_ieee_inexact 0
		.amdhsa_exception_int_div_zero 0
	.end_amdhsa_kernel
	.section	.text._ZN7rocprim17ROCPRIM_400000_NS6detail17trampoline_kernelINS0_14default_configENS1_20scan_config_selectorIfEEZZNS1_9scan_implILNS1_25lookback_scan_determinismE0ELb0ELb0ES3_N6thrust23THRUST_200600_302600_NS6detail15normal_iteratorINS9_10device_ptrIfEEEENS9_16discard_iteratorINS9_11use_defaultEEEfNS9_4plusIvEEfEEDaPvRmT3_T4_T5_mT6_P12ihipStream_tbENKUlT_T0_E_clISt17integral_constantIbLb0EESW_IbLb1EEEEDaSS_ST_EUlSS_E0_NS1_11comp_targetILNS1_3genE4ELNS1_11target_archE910ELNS1_3gpuE8ELNS1_3repE0EEENS1_30default_config_static_selectorELNS0_4arch9wavefront6targetE1EEEvT1_,"axG",@progbits,_ZN7rocprim17ROCPRIM_400000_NS6detail17trampoline_kernelINS0_14default_configENS1_20scan_config_selectorIfEEZZNS1_9scan_implILNS1_25lookback_scan_determinismE0ELb0ELb0ES3_N6thrust23THRUST_200600_302600_NS6detail15normal_iteratorINS9_10device_ptrIfEEEENS9_16discard_iteratorINS9_11use_defaultEEEfNS9_4plusIvEEfEEDaPvRmT3_T4_T5_mT6_P12ihipStream_tbENKUlT_T0_E_clISt17integral_constantIbLb0EESW_IbLb1EEEEDaSS_ST_EUlSS_E0_NS1_11comp_targetILNS1_3genE4ELNS1_11target_archE910ELNS1_3gpuE8ELNS1_3repE0EEENS1_30default_config_static_selectorELNS0_4arch9wavefront6targetE1EEEvT1_,comdat
.Lfunc_end5071:
	.size	_ZN7rocprim17ROCPRIM_400000_NS6detail17trampoline_kernelINS0_14default_configENS1_20scan_config_selectorIfEEZZNS1_9scan_implILNS1_25lookback_scan_determinismE0ELb0ELb0ES3_N6thrust23THRUST_200600_302600_NS6detail15normal_iteratorINS9_10device_ptrIfEEEENS9_16discard_iteratorINS9_11use_defaultEEEfNS9_4plusIvEEfEEDaPvRmT3_T4_T5_mT6_P12ihipStream_tbENKUlT_T0_E_clISt17integral_constantIbLb0EESW_IbLb1EEEEDaSS_ST_EUlSS_E0_NS1_11comp_targetILNS1_3genE4ELNS1_11target_archE910ELNS1_3gpuE8ELNS1_3repE0EEENS1_30default_config_static_selectorELNS0_4arch9wavefront6targetE1EEEvT1_, .Lfunc_end5071-_ZN7rocprim17ROCPRIM_400000_NS6detail17trampoline_kernelINS0_14default_configENS1_20scan_config_selectorIfEEZZNS1_9scan_implILNS1_25lookback_scan_determinismE0ELb0ELb0ES3_N6thrust23THRUST_200600_302600_NS6detail15normal_iteratorINS9_10device_ptrIfEEEENS9_16discard_iteratorINS9_11use_defaultEEEfNS9_4plusIvEEfEEDaPvRmT3_T4_T5_mT6_P12ihipStream_tbENKUlT_T0_E_clISt17integral_constantIbLb0EESW_IbLb1EEEEDaSS_ST_EUlSS_E0_NS1_11comp_targetILNS1_3genE4ELNS1_11target_archE910ELNS1_3gpuE8ELNS1_3repE0EEENS1_30default_config_static_selectorELNS0_4arch9wavefront6targetE1EEEvT1_
                                        ; -- End function
	.section	.AMDGPU.csdata,"",@progbits
; Kernel info:
; codeLenInByte = 1272
; NumSgprs: 10
; NumVgprs: 36
; NumAgprs: 0
; TotalNumVgprs: 36
; ScratchSize: 0
; MemoryBound: 0
; FloatMode: 240
; IeeeMode: 1
; LDSByteSize: 7168 bytes/workgroup (compile time only)
; SGPRBlocks: 1
; VGPRBlocks: 4
; NumSGPRsForWavesPerEU: 10
; NumVGPRsForWavesPerEU: 36
; AccumOffset: 36
; Occupancy: 5
; WaveLimiterHint : 0
; COMPUTE_PGM_RSRC2:SCRATCH_EN: 0
; COMPUTE_PGM_RSRC2:USER_SGPR: 6
; COMPUTE_PGM_RSRC2:TRAP_HANDLER: 0
; COMPUTE_PGM_RSRC2:TGID_X_EN: 1
; COMPUTE_PGM_RSRC2:TGID_Y_EN: 0
; COMPUTE_PGM_RSRC2:TGID_Z_EN: 0
; COMPUTE_PGM_RSRC2:TIDIG_COMP_CNT: 0
; COMPUTE_PGM_RSRC3_GFX90A:ACCUM_OFFSET: 8
; COMPUTE_PGM_RSRC3_GFX90A:TG_SPLIT: 0
	.section	.text._ZN7rocprim17ROCPRIM_400000_NS6detail17trampoline_kernelINS0_14default_configENS1_20scan_config_selectorIfEEZZNS1_9scan_implILNS1_25lookback_scan_determinismE0ELb0ELb0ES3_N6thrust23THRUST_200600_302600_NS6detail15normal_iteratorINS9_10device_ptrIfEEEENS9_16discard_iteratorINS9_11use_defaultEEEfNS9_4plusIvEEfEEDaPvRmT3_T4_T5_mT6_P12ihipStream_tbENKUlT_T0_E_clISt17integral_constantIbLb0EESW_IbLb1EEEEDaSS_ST_EUlSS_E0_NS1_11comp_targetILNS1_3genE3ELNS1_11target_archE908ELNS1_3gpuE7ELNS1_3repE0EEENS1_30default_config_static_selectorELNS0_4arch9wavefront6targetE1EEEvT1_,"axG",@progbits,_ZN7rocprim17ROCPRIM_400000_NS6detail17trampoline_kernelINS0_14default_configENS1_20scan_config_selectorIfEEZZNS1_9scan_implILNS1_25lookback_scan_determinismE0ELb0ELb0ES3_N6thrust23THRUST_200600_302600_NS6detail15normal_iteratorINS9_10device_ptrIfEEEENS9_16discard_iteratorINS9_11use_defaultEEEfNS9_4plusIvEEfEEDaPvRmT3_T4_T5_mT6_P12ihipStream_tbENKUlT_T0_E_clISt17integral_constantIbLb0EESW_IbLb1EEEEDaSS_ST_EUlSS_E0_NS1_11comp_targetILNS1_3genE3ELNS1_11target_archE908ELNS1_3gpuE7ELNS1_3repE0EEENS1_30default_config_static_selectorELNS0_4arch9wavefront6targetE1EEEvT1_,comdat
	.protected	_ZN7rocprim17ROCPRIM_400000_NS6detail17trampoline_kernelINS0_14default_configENS1_20scan_config_selectorIfEEZZNS1_9scan_implILNS1_25lookback_scan_determinismE0ELb0ELb0ES3_N6thrust23THRUST_200600_302600_NS6detail15normal_iteratorINS9_10device_ptrIfEEEENS9_16discard_iteratorINS9_11use_defaultEEEfNS9_4plusIvEEfEEDaPvRmT3_T4_T5_mT6_P12ihipStream_tbENKUlT_T0_E_clISt17integral_constantIbLb0EESW_IbLb1EEEEDaSS_ST_EUlSS_E0_NS1_11comp_targetILNS1_3genE3ELNS1_11target_archE908ELNS1_3gpuE7ELNS1_3repE0EEENS1_30default_config_static_selectorELNS0_4arch9wavefront6targetE1EEEvT1_ ; -- Begin function _ZN7rocprim17ROCPRIM_400000_NS6detail17trampoline_kernelINS0_14default_configENS1_20scan_config_selectorIfEEZZNS1_9scan_implILNS1_25lookback_scan_determinismE0ELb0ELb0ES3_N6thrust23THRUST_200600_302600_NS6detail15normal_iteratorINS9_10device_ptrIfEEEENS9_16discard_iteratorINS9_11use_defaultEEEfNS9_4plusIvEEfEEDaPvRmT3_T4_T5_mT6_P12ihipStream_tbENKUlT_T0_E_clISt17integral_constantIbLb0EESW_IbLb1EEEEDaSS_ST_EUlSS_E0_NS1_11comp_targetILNS1_3genE3ELNS1_11target_archE908ELNS1_3gpuE7ELNS1_3repE0EEENS1_30default_config_static_selectorELNS0_4arch9wavefront6targetE1EEEvT1_
	.globl	_ZN7rocprim17ROCPRIM_400000_NS6detail17trampoline_kernelINS0_14default_configENS1_20scan_config_selectorIfEEZZNS1_9scan_implILNS1_25lookback_scan_determinismE0ELb0ELb0ES3_N6thrust23THRUST_200600_302600_NS6detail15normal_iteratorINS9_10device_ptrIfEEEENS9_16discard_iteratorINS9_11use_defaultEEEfNS9_4plusIvEEfEEDaPvRmT3_T4_T5_mT6_P12ihipStream_tbENKUlT_T0_E_clISt17integral_constantIbLb0EESW_IbLb1EEEEDaSS_ST_EUlSS_E0_NS1_11comp_targetILNS1_3genE3ELNS1_11target_archE908ELNS1_3gpuE7ELNS1_3repE0EEENS1_30default_config_static_selectorELNS0_4arch9wavefront6targetE1EEEvT1_
	.p2align	8
	.type	_ZN7rocprim17ROCPRIM_400000_NS6detail17trampoline_kernelINS0_14default_configENS1_20scan_config_selectorIfEEZZNS1_9scan_implILNS1_25lookback_scan_determinismE0ELb0ELb0ES3_N6thrust23THRUST_200600_302600_NS6detail15normal_iteratorINS9_10device_ptrIfEEEENS9_16discard_iteratorINS9_11use_defaultEEEfNS9_4plusIvEEfEEDaPvRmT3_T4_T5_mT6_P12ihipStream_tbENKUlT_T0_E_clISt17integral_constantIbLb0EESW_IbLb1EEEEDaSS_ST_EUlSS_E0_NS1_11comp_targetILNS1_3genE3ELNS1_11target_archE908ELNS1_3gpuE7ELNS1_3repE0EEENS1_30default_config_static_selectorELNS0_4arch9wavefront6targetE1EEEvT1_,@function
_ZN7rocprim17ROCPRIM_400000_NS6detail17trampoline_kernelINS0_14default_configENS1_20scan_config_selectorIfEEZZNS1_9scan_implILNS1_25lookback_scan_determinismE0ELb0ELb0ES3_N6thrust23THRUST_200600_302600_NS6detail15normal_iteratorINS9_10device_ptrIfEEEENS9_16discard_iteratorINS9_11use_defaultEEEfNS9_4plusIvEEfEEDaPvRmT3_T4_T5_mT6_P12ihipStream_tbENKUlT_T0_E_clISt17integral_constantIbLb0EESW_IbLb1EEEEDaSS_ST_EUlSS_E0_NS1_11comp_targetILNS1_3genE3ELNS1_11target_archE908ELNS1_3gpuE7ELNS1_3repE0EEENS1_30default_config_static_selectorELNS0_4arch9wavefront6targetE1EEEvT1_: ; @_ZN7rocprim17ROCPRIM_400000_NS6detail17trampoline_kernelINS0_14default_configENS1_20scan_config_selectorIfEEZZNS1_9scan_implILNS1_25lookback_scan_determinismE0ELb0ELb0ES3_N6thrust23THRUST_200600_302600_NS6detail15normal_iteratorINS9_10device_ptrIfEEEENS9_16discard_iteratorINS9_11use_defaultEEEfNS9_4plusIvEEfEEDaPvRmT3_T4_T5_mT6_P12ihipStream_tbENKUlT_T0_E_clISt17integral_constantIbLb0EESW_IbLb1EEEEDaSS_ST_EUlSS_E0_NS1_11comp_targetILNS1_3genE3ELNS1_11target_archE908ELNS1_3gpuE7ELNS1_3repE0EEENS1_30default_config_static_selectorELNS0_4arch9wavefront6targetE1EEEvT1_
; %bb.0:
	.section	.rodata,"a",@progbits
	.p2align	6, 0x0
	.amdhsa_kernel _ZN7rocprim17ROCPRIM_400000_NS6detail17trampoline_kernelINS0_14default_configENS1_20scan_config_selectorIfEEZZNS1_9scan_implILNS1_25lookback_scan_determinismE0ELb0ELb0ES3_N6thrust23THRUST_200600_302600_NS6detail15normal_iteratorINS9_10device_ptrIfEEEENS9_16discard_iteratorINS9_11use_defaultEEEfNS9_4plusIvEEfEEDaPvRmT3_T4_T5_mT6_P12ihipStream_tbENKUlT_T0_E_clISt17integral_constantIbLb0EESW_IbLb1EEEEDaSS_ST_EUlSS_E0_NS1_11comp_targetILNS1_3genE3ELNS1_11target_archE908ELNS1_3gpuE7ELNS1_3repE0EEENS1_30default_config_static_selectorELNS0_4arch9wavefront6targetE1EEEvT1_
		.amdhsa_group_segment_fixed_size 0
		.amdhsa_private_segment_fixed_size 0
		.amdhsa_kernarg_size 40
		.amdhsa_user_sgpr_count 6
		.amdhsa_user_sgpr_private_segment_buffer 1
		.amdhsa_user_sgpr_dispatch_ptr 0
		.amdhsa_user_sgpr_queue_ptr 0
		.amdhsa_user_sgpr_kernarg_segment_ptr 1
		.amdhsa_user_sgpr_dispatch_id 0
		.amdhsa_user_sgpr_flat_scratch_init 0
		.amdhsa_user_sgpr_kernarg_preload_length 0
		.amdhsa_user_sgpr_kernarg_preload_offset 0
		.amdhsa_user_sgpr_private_segment_size 0
		.amdhsa_uses_dynamic_stack 0
		.amdhsa_system_sgpr_private_segment_wavefront_offset 0
		.amdhsa_system_sgpr_workgroup_id_x 1
		.amdhsa_system_sgpr_workgroup_id_y 0
		.amdhsa_system_sgpr_workgroup_id_z 0
		.amdhsa_system_sgpr_workgroup_info 0
		.amdhsa_system_vgpr_workitem_id 0
		.amdhsa_next_free_vgpr 1
		.amdhsa_next_free_sgpr 0
		.amdhsa_accum_offset 4
		.amdhsa_reserve_vcc 0
		.amdhsa_reserve_flat_scratch 0
		.amdhsa_float_round_mode_32 0
		.amdhsa_float_round_mode_16_64 0
		.amdhsa_float_denorm_mode_32 3
		.amdhsa_float_denorm_mode_16_64 3
		.amdhsa_dx10_clamp 1
		.amdhsa_ieee_mode 1
		.amdhsa_fp16_overflow 0
		.amdhsa_tg_split 0
		.amdhsa_exception_fp_ieee_invalid_op 0
		.amdhsa_exception_fp_denorm_src 0
		.amdhsa_exception_fp_ieee_div_zero 0
		.amdhsa_exception_fp_ieee_overflow 0
		.amdhsa_exception_fp_ieee_underflow 0
		.amdhsa_exception_fp_ieee_inexact 0
		.amdhsa_exception_int_div_zero 0
	.end_amdhsa_kernel
	.section	.text._ZN7rocprim17ROCPRIM_400000_NS6detail17trampoline_kernelINS0_14default_configENS1_20scan_config_selectorIfEEZZNS1_9scan_implILNS1_25lookback_scan_determinismE0ELb0ELb0ES3_N6thrust23THRUST_200600_302600_NS6detail15normal_iteratorINS9_10device_ptrIfEEEENS9_16discard_iteratorINS9_11use_defaultEEEfNS9_4plusIvEEfEEDaPvRmT3_T4_T5_mT6_P12ihipStream_tbENKUlT_T0_E_clISt17integral_constantIbLb0EESW_IbLb1EEEEDaSS_ST_EUlSS_E0_NS1_11comp_targetILNS1_3genE3ELNS1_11target_archE908ELNS1_3gpuE7ELNS1_3repE0EEENS1_30default_config_static_selectorELNS0_4arch9wavefront6targetE1EEEvT1_,"axG",@progbits,_ZN7rocprim17ROCPRIM_400000_NS6detail17trampoline_kernelINS0_14default_configENS1_20scan_config_selectorIfEEZZNS1_9scan_implILNS1_25lookback_scan_determinismE0ELb0ELb0ES3_N6thrust23THRUST_200600_302600_NS6detail15normal_iteratorINS9_10device_ptrIfEEEENS9_16discard_iteratorINS9_11use_defaultEEEfNS9_4plusIvEEfEEDaPvRmT3_T4_T5_mT6_P12ihipStream_tbENKUlT_T0_E_clISt17integral_constantIbLb0EESW_IbLb1EEEEDaSS_ST_EUlSS_E0_NS1_11comp_targetILNS1_3genE3ELNS1_11target_archE908ELNS1_3gpuE7ELNS1_3repE0EEENS1_30default_config_static_selectorELNS0_4arch9wavefront6targetE1EEEvT1_,comdat
.Lfunc_end5072:
	.size	_ZN7rocprim17ROCPRIM_400000_NS6detail17trampoline_kernelINS0_14default_configENS1_20scan_config_selectorIfEEZZNS1_9scan_implILNS1_25lookback_scan_determinismE0ELb0ELb0ES3_N6thrust23THRUST_200600_302600_NS6detail15normal_iteratorINS9_10device_ptrIfEEEENS9_16discard_iteratorINS9_11use_defaultEEEfNS9_4plusIvEEfEEDaPvRmT3_T4_T5_mT6_P12ihipStream_tbENKUlT_T0_E_clISt17integral_constantIbLb0EESW_IbLb1EEEEDaSS_ST_EUlSS_E0_NS1_11comp_targetILNS1_3genE3ELNS1_11target_archE908ELNS1_3gpuE7ELNS1_3repE0EEENS1_30default_config_static_selectorELNS0_4arch9wavefront6targetE1EEEvT1_, .Lfunc_end5072-_ZN7rocprim17ROCPRIM_400000_NS6detail17trampoline_kernelINS0_14default_configENS1_20scan_config_selectorIfEEZZNS1_9scan_implILNS1_25lookback_scan_determinismE0ELb0ELb0ES3_N6thrust23THRUST_200600_302600_NS6detail15normal_iteratorINS9_10device_ptrIfEEEENS9_16discard_iteratorINS9_11use_defaultEEEfNS9_4plusIvEEfEEDaPvRmT3_T4_T5_mT6_P12ihipStream_tbENKUlT_T0_E_clISt17integral_constantIbLb0EESW_IbLb1EEEEDaSS_ST_EUlSS_E0_NS1_11comp_targetILNS1_3genE3ELNS1_11target_archE908ELNS1_3gpuE7ELNS1_3repE0EEENS1_30default_config_static_selectorELNS0_4arch9wavefront6targetE1EEEvT1_
                                        ; -- End function
	.section	.AMDGPU.csdata,"",@progbits
; Kernel info:
; codeLenInByte = 0
; NumSgprs: 4
; NumVgprs: 0
; NumAgprs: 0
; TotalNumVgprs: 0
; ScratchSize: 0
; MemoryBound: 0
; FloatMode: 240
; IeeeMode: 1
; LDSByteSize: 0 bytes/workgroup (compile time only)
; SGPRBlocks: 0
; VGPRBlocks: 0
; NumSGPRsForWavesPerEU: 4
; NumVGPRsForWavesPerEU: 1
; AccumOffset: 4
; Occupancy: 8
; WaveLimiterHint : 0
; COMPUTE_PGM_RSRC2:SCRATCH_EN: 0
; COMPUTE_PGM_RSRC2:USER_SGPR: 6
; COMPUTE_PGM_RSRC2:TRAP_HANDLER: 0
; COMPUTE_PGM_RSRC2:TGID_X_EN: 1
; COMPUTE_PGM_RSRC2:TGID_Y_EN: 0
; COMPUTE_PGM_RSRC2:TGID_Z_EN: 0
; COMPUTE_PGM_RSRC2:TIDIG_COMP_CNT: 0
; COMPUTE_PGM_RSRC3_GFX90A:ACCUM_OFFSET: 0
; COMPUTE_PGM_RSRC3_GFX90A:TG_SPLIT: 0
	.section	.text._ZN7rocprim17ROCPRIM_400000_NS6detail17trampoline_kernelINS0_14default_configENS1_20scan_config_selectorIfEEZZNS1_9scan_implILNS1_25lookback_scan_determinismE0ELb0ELb0ES3_N6thrust23THRUST_200600_302600_NS6detail15normal_iteratorINS9_10device_ptrIfEEEENS9_16discard_iteratorINS9_11use_defaultEEEfNS9_4plusIvEEfEEDaPvRmT3_T4_T5_mT6_P12ihipStream_tbENKUlT_T0_E_clISt17integral_constantIbLb0EESW_IbLb1EEEEDaSS_ST_EUlSS_E0_NS1_11comp_targetILNS1_3genE2ELNS1_11target_archE906ELNS1_3gpuE6ELNS1_3repE0EEENS1_30default_config_static_selectorELNS0_4arch9wavefront6targetE1EEEvT1_,"axG",@progbits,_ZN7rocprim17ROCPRIM_400000_NS6detail17trampoline_kernelINS0_14default_configENS1_20scan_config_selectorIfEEZZNS1_9scan_implILNS1_25lookback_scan_determinismE0ELb0ELb0ES3_N6thrust23THRUST_200600_302600_NS6detail15normal_iteratorINS9_10device_ptrIfEEEENS9_16discard_iteratorINS9_11use_defaultEEEfNS9_4plusIvEEfEEDaPvRmT3_T4_T5_mT6_P12ihipStream_tbENKUlT_T0_E_clISt17integral_constantIbLb0EESW_IbLb1EEEEDaSS_ST_EUlSS_E0_NS1_11comp_targetILNS1_3genE2ELNS1_11target_archE906ELNS1_3gpuE6ELNS1_3repE0EEENS1_30default_config_static_selectorELNS0_4arch9wavefront6targetE1EEEvT1_,comdat
	.protected	_ZN7rocprim17ROCPRIM_400000_NS6detail17trampoline_kernelINS0_14default_configENS1_20scan_config_selectorIfEEZZNS1_9scan_implILNS1_25lookback_scan_determinismE0ELb0ELb0ES3_N6thrust23THRUST_200600_302600_NS6detail15normal_iteratorINS9_10device_ptrIfEEEENS9_16discard_iteratorINS9_11use_defaultEEEfNS9_4plusIvEEfEEDaPvRmT3_T4_T5_mT6_P12ihipStream_tbENKUlT_T0_E_clISt17integral_constantIbLb0EESW_IbLb1EEEEDaSS_ST_EUlSS_E0_NS1_11comp_targetILNS1_3genE2ELNS1_11target_archE906ELNS1_3gpuE6ELNS1_3repE0EEENS1_30default_config_static_selectorELNS0_4arch9wavefront6targetE1EEEvT1_ ; -- Begin function _ZN7rocprim17ROCPRIM_400000_NS6detail17trampoline_kernelINS0_14default_configENS1_20scan_config_selectorIfEEZZNS1_9scan_implILNS1_25lookback_scan_determinismE0ELb0ELb0ES3_N6thrust23THRUST_200600_302600_NS6detail15normal_iteratorINS9_10device_ptrIfEEEENS9_16discard_iteratorINS9_11use_defaultEEEfNS9_4plusIvEEfEEDaPvRmT3_T4_T5_mT6_P12ihipStream_tbENKUlT_T0_E_clISt17integral_constantIbLb0EESW_IbLb1EEEEDaSS_ST_EUlSS_E0_NS1_11comp_targetILNS1_3genE2ELNS1_11target_archE906ELNS1_3gpuE6ELNS1_3repE0EEENS1_30default_config_static_selectorELNS0_4arch9wavefront6targetE1EEEvT1_
	.globl	_ZN7rocprim17ROCPRIM_400000_NS6detail17trampoline_kernelINS0_14default_configENS1_20scan_config_selectorIfEEZZNS1_9scan_implILNS1_25lookback_scan_determinismE0ELb0ELb0ES3_N6thrust23THRUST_200600_302600_NS6detail15normal_iteratorINS9_10device_ptrIfEEEENS9_16discard_iteratorINS9_11use_defaultEEEfNS9_4plusIvEEfEEDaPvRmT3_T4_T5_mT6_P12ihipStream_tbENKUlT_T0_E_clISt17integral_constantIbLb0EESW_IbLb1EEEEDaSS_ST_EUlSS_E0_NS1_11comp_targetILNS1_3genE2ELNS1_11target_archE906ELNS1_3gpuE6ELNS1_3repE0EEENS1_30default_config_static_selectorELNS0_4arch9wavefront6targetE1EEEvT1_
	.p2align	8
	.type	_ZN7rocprim17ROCPRIM_400000_NS6detail17trampoline_kernelINS0_14default_configENS1_20scan_config_selectorIfEEZZNS1_9scan_implILNS1_25lookback_scan_determinismE0ELb0ELb0ES3_N6thrust23THRUST_200600_302600_NS6detail15normal_iteratorINS9_10device_ptrIfEEEENS9_16discard_iteratorINS9_11use_defaultEEEfNS9_4plusIvEEfEEDaPvRmT3_T4_T5_mT6_P12ihipStream_tbENKUlT_T0_E_clISt17integral_constantIbLb0EESW_IbLb1EEEEDaSS_ST_EUlSS_E0_NS1_11comp_targetILNS1_3genE2ELNS1_11target_archE906ELNS1_3gpuE6ELNS1_3repE0EEENS1_30default_config_static_selectorELNS0_4arch9wavefront6targetE1EEEvT1_,@function
_ZN7rocprim17ROCPRIM_400000_NS6detail17trampoline_kernelINS0_14default_configENS1_20scan_config_selectorIfEEZZNS1_9scan_implILNS1_25lookback_scan_determinismE0ELb0ELb0ES3_N6thrust23THRUST_200600_302600_NS6detail15normal_iteratorINS9_10device_ptrIfEEEENS9_16discard_iteratorINS9_11use_defaultEEEfNS9_4plusIvEEfEEDaPvRmT3_T4_T5_mT6_P12ihipStream_tbENKUlT_T0_E_clISt17integral_constantIbLb0EESW_IbLb1EEEEDaSS_ST_EUlSS_E0_NS1_11comp_targetILNS1_3genE2ELNS1_11target_archE906ELNS1_3gpuE6ELNS1_3repE0EEENS1_30default_config_static_selectorELNS0_4arch9wavefront6targetE1EEEvT1_: ; @_ZN7rocprim17ROCPRIM_400000_NS6detail17trampoline_kernelINS0_14default_configENS1_20scan_config_selectorIfEEZZNS1_9scan_implILNS1_25lookback_scan_determinismE0ELb0ELb0ES3_N6thrust23THRUST_200600_302600_NS6detail15normal_iteratorINS9_10device_ptrIfEEEENS9_16discard_iteratorINS9_11use_defaultEEEfNS9_4plusIvEEfEEDaPvRmT3_T4_T5_mT6_P12ihipStream_tbENKUlT_T0_E_clISt17integral_constantIbLb0EESW_IbLb1EEEEDaSS_ST_EUlSS_E0_NS1_11comp_targetILNS1_3genE2ELNS1_11target_archE906ELNS1_3gpuE6ELNS1_3repE0EEENS1_30default_config_static_selectorELNS0_4arch9wavefront6targetE1EEEvT1_
; %bb.0:
	.section	.rodata,"a",@progbits
	.p2align	6, 0x0
	.amdhsa_kernel _ZN7rocprim17ROCPRIM_400000_NS6detail17trampoline_kernelINS0_14default_configENS1_20scan_config_selectorIfEEZZNS1_9scan_implILNS1_25lookback_scan_determinismE0ELb0ELb0ES3_N6thrust23THRUST_200600_302600_NS6detail15normal_iteratorINS9_10device_ptrIfEEEENS9_16discard_iteratorINS9_11use_defaultEEEfNS9_4plusIvEEfEEDaPvRmT3_T4_T5_mT6_P12ihipStream_tbENKUlT_T0_E_clISt17integral_constantIbLb0EESW_IbLb1EEEEDaSS_ST_EUlSS_E0_NS1_11comp_targetILNS1_3genE2ELNS1_11target_archE906ELNS1_3gpuE6ELNS1_3repE0EEENS1_30default_config_static_selectorELNS0_4arch9wavefront6targetE1EEEvT1_
		.amdhsa_group_segment_fixed_size 0
		.amdhsa_private_segment_fixed_size 0
		.amdhsa_kernarg_size 40
		.amdhsa_user_sgpr_count 6
		.amdhsa_user_sgpr_private_segment_buffer 1
		.amdhsa_user_sgpr_dispatch_ptr 0
		.amdhsa_user_sgpr_queue_ptr 0
		.amdhsa_user_sgpr_kernarg_segment_ptr 1
		.amdhsa_user_sgpr_dispatch_id 0
		.amdhsa_user_sgpr_flat_scratch_init 0
		.amdhsa_user_sgpr_kernarg_preload_length 0
		.amdhsa_user_sgpr_kernarg_preload_offset 0
		.amdhsa_user_sgpr_private_segment_size 0
		.amdhsa_uses_dynamic_stack 0
		.amdhsa_system_sgpr_private_segment_wavefront_offset 0
		.amdhsa_system_sgpr_workgroup_id_x 1
		.amdhsa_system_sgpr_workgroup_id_y 0
		.amdhsa_system_sgpr_workgroup_id_z 0
		.amdhsa_system_sgpr_workgroup_info 0
		.amdhsa_system_vgpr_workitem_id 0
		.amdhsa_next_free_vgpr 1
		.amdhsa_next_free_sgpr 0
		.amdhsa_accum_offset 4
		.amdhsa_reserve_vcc 0
		.amdhsa_reserve_flat_scratch 0
		.amdhsa_float_round_mode_32 0
		.amdhsa_float_round_mode_16_64 0
		.amdhsa_float_denorm_mode_32 3
		.amdhsa_float_denorm_mode_16_64 3
		.amdhsa_dx10_clamp 1
		.amdhsa_ieee_mode 1
		.amdhsa_fp16_overflow 0
		.amdhsa_tg_split 0
		.amdhsa_exception_fp_ieee_invalid_op 0
		.amdhsa_exception_fp_denorm_src 0
		.amdhsa_exception_fp_ieee_div_zero 0
		.amdhsa_exception_fp_ieee_overflow 0
		.amdhsa_exception_fp_ieee_underflow 0
		.amdhsa_exception_fp_ieee_inexact 0
		.amdhsa_exception_int_div_zero 0
	.end_amdhsa_kernel
	.section	.text._ZN7rocprim17ROCPRIM_400000_NS6detail17trampoline_kernelINS0_14default_configENS1_20scan_config_selectorIfEEZZNS1_9scan_implILNS1_25lookback_scan_determinismE0ELb0ELb0ES3_N6thrust23THRUST_200600_302600_NS6detail15normal_iteratorINS9_10device_ptrIfEEEENS9_16discard_iteratorINS9_11use_defaultEEEfNS9_4plusIvEEfEEDaPvRmT3_T4_T5_mT6_P12ihipStream_tbENKUlT_T0_E_clISt17integral_constantIbLb0EESW_IbLb1EEEEDaSS_ST_EUlSS_E0_NS1_11comp_targetILNS1_3genE2ELNS1_11target_archE906ELNS1_3gpuE6ELNS1_3repE0EEENS1_30default_config_static_selectorELNS0_4arch9wavefront6targetE1EEEvT1_,"axG",@progbits,_ZN7rocprim17ROCPRIM_400000_NS6detail17trampoline_kernelINS0_14default_configENS1_20scan_config_selectorIfEEZZNS1_9scan_implILNS1_25lookback_scan_determinismE0ELb0ELb0ES3_N6thrust23THRUST_200600_302600_NS6detail15normal_iteratorINS9_10device_ptrIfEEEENS9_16discard_iteratorINS9_11use_defaultEEEfNS9_4plusIvEEfEEDaPvRmT3_T4_T5_mT6_P12ihipStream_tbENKUlT_T0_E_clISt17integral_constantIbLb0EESW_IbLb1EEEEDaSS_ST_EUlSS_E0_NS1_11comp_targetILNS1_3genE2ELNS1_11target_archE906ELNS1_3gpuE6ELNS1_3repE0EEENS1_30default_config_static_selectorELNS0_4arch9wavefront6targetE1EEEvT1_,comdat
.Lfunc_end5073:
	.size	_ZN7rocprim17ROCPRIM_400000_NS6detail17trampoline_kernelINS0_14default_configENS1_20scan_config_selectorIfEEZZNS1_9scan_implILNS1_25lookback_scan_determinismE0ELb0ELb0ES3_N6thrust23THRUST_200600_302600_NS6detail15normal_iteratorINS9_10device_ptrIfEEEENS9_16discard_iteratorINS9_11use_defaultEEEfNS9_4plusIvEEfEEDaPvRmT3_T4_T5_mT6_P12ihipStream_tbENKUlT_T0_E_clISt17integral_constantIbLb0EESW_IbLb1EEEEDaSS_ST_EUlSS_E0_NS1_11comp_targetILNS1_3genE2ELNS1_11target_archE906ELNS1_3gpuE6ELNS1_3repE0EEENS1_30default_config_static_selectorELNS0_4arch9wavefront6targetE1EEEvT1_, .Lfunc_end5073-_ZN7rocprim17ROCPRIM_400000_NS6detail17trampoline_kernelINS0_14default_configENS1_20scan_config_selectorIfEEZZNS1_9scan_implILNS1_25lookback_scan_determinismE0ELb0ELb0ES3_N6thrust23THRUST_200600_302600_NS6detail15normal_iteratorINS9_10device_ptrIfEEEENS9_16discard_iteratorINS9_11use_defaultEEEfNS9_4plusIvEEfEEDaPvRmT3_T4_T5_mT6_P12ihipStream_tbENKUlT_T0_E_clISt17integral_constantIbLb0EESW_IbLb1EEEEDaSS_ST_EUlSS_E0_NS1_11comp_targetILNS1_3genE2ELNS1_11target_archE906ELNS1_3gpuE6ELNS1_3repE0EEENS1_30default_config_static_selectorELNS0_4arch9wavefront6targetE1EEEvT1_
                                        ; -- End function
	.section	.AMDGPU.csdata,"",@progbits
; Kernel info:
; codeLenInByte = 0
; NumSgprs: 4
; NumVgprs: 0
; NumAgprs: 0
; TotalNumVgprs: 0
; ScratchSize: 0
; MemoryBound: 0
; FloatMode: 240
; IeeeMode: 1
; LDSByteSize: 0 bytes/workgroup (compile time only)
; SGPRBlocks: 0
; VGPRBlocks: 0
; NumSGPRsForWavesPerEU: 4
; NumVGPRsForWavesPerEU: 1
; AccumOffset: 4
; Occupancy: 8
; WaveLimiterHint : 0
; COMPUTE_PGM_RSRC2:SCRATCH_EN: 0
; COMPUTE_PGM_RSRC2:USER_SGPR: 6
; COMPUTE_PGM_RSRC2:TRAP_HANDLER: 0
; COMPUTE_PGM_RSRC2:TGID_X_EN: 1
; COMPUTE_PGM_RSRC2:TGID_Y_EN: 0
; COMPUTE_PGM_RSRC2:TGID_Z_EN: 0
; COMPUTE_PGM_RSRC2:TIDIG_COMP_CNT: 0
; COMPUTE_PGM_RSRC3_GFX90A:ACCUM_OFFSET: 0
; COMPUTE_PGM_RSRC3_GFX90A:TG_SPLIT: 0
	.section	.text._ZN7rocprim17ROCPRIM_400000_NS6detail17trampoline_kernelINS0_14default_configENS1_20scan_config_selectorIfEEZZNS1_9scan_implILNS1_25lookback_scan_determinismE0ELb0ELb0ES3_N6thrust23THRUST_200600_302600_NS6detail15normal_iteratorINS9_10device_ptrIfEEEENS9_16discard_iteratorINS9_11use_defaultEEEfNS9_4plusIvEEfEEDaPvRmT3_T4_T5_mT6_P12ihipStream_tbENKUlT_T0_E_clISt17integral_constantIbLb0EESW_IbLb1EEEEDaSS_ST_EUlSS_E0_NS1_11comp_targetILNS1_3genE10ELNS1_11target_archE1201ELNS1_3gpuE5ELNS1_3repE0EEENS1_30default_config_static_selectorELNS0_4arch9wavefront6targetE1EEEvT1_,"axG",@progbits,_ZN7rocprim17ROCPRIM_400000_NS6detail17trampoline_kernelINS0_14default_configENS1_20scan_config_selectorIfEEZZNS1_9scan_implILNS1_25lookback_scan_determinismE0ELb0ELb0ES3_N6thrust23THRUST_200600_302600_NS6detail15normal_iteratorINS9_10device_ptrIfEEEENS9_16discard_iteratorINS9_11use_defaultEEEfNS9_4plusIvEEfEEDaPvRmT3_T4_T5_mT6_P12ihipStream_tbENKUlT_T0_E_clISt17integral_constantIbLb0EESW_IbLb1EEEEDaSS_ST_EUlSS_E0_NS1_11comp_targetILNS1_3genE10ELNS1_11target_archE1201ELNS1_3gpuE5ELNS1_3repE0EEENS1_30default_config_static_selectorELNS0_4arch9wavefront6targetE1EEEvT1_,comdat
	.protected	_ZN7rocprim17ROCPRIM_400000_NS6detail17trampoline_kernelINS0_14default_configENS1_20scan_config_selectorIfEEZZNS1_9scan_implILNS1_25lookback_scan_determinismE0ELb0ELb0ES3_N6thrust23THRUST_200600_302600_NS6detail15normal_iteratorINS9_10device_ptrIfEEEENS9_16discard_iteratorINS9_11use_defaultEEEfNS9_4plusIvEEfEEDaPvRmT3_T4_T5_mT6_P12ihipStream_tbENKUlT_T0_E_clISt17integral_constantIbLb0EESW_IbLb1EEEEDaSS_ST_EUlSS_E0_NS1_11comp_targetILNS1_3genE10ELNS1_11target_archE1201ELNS1_3gpuE5ELNS1_3repE0EEENS1_30default_config_static_selectorELNS0_4arch9wavefront6targetE1EEEvT1_ ; -- Begin function _ZN7rocprim17ROCPRIM_400000_NS6detail17trampoline_kernelINS0_14default_configENS1_20scan_config_selectorIfEEZZNS1_9scan_implILNS1_25lookback_scan_determinismE0ELb0ELb0ES3_N6thrust23THRUST_200600_302600_NS6detail15normal_iteratorINS9_10device_ptrIfEEEENS9_16discard_iteratorINS9_11use_defaultEEEfNS9_4plusIvEEfEEDaPvRmT3_T4_T5_mT6_P12ihipStream_tbENKUlT_T0_E_clISt17integral_constantIbLb0EESW_IbLb1EEEEDaSS_ST_EUlSS_E0_NS1_11comp_targetILNS1_3genE10ELNS1_11target_archE1201ELNS1_3gpuE5ELNS1_3repE0EEENS1_30default_config_static_selectorELNS0_4arch9wavefront6targetE1EEEvT1_
	.globl	_ZN7rocprim17ROCPRIM_400000_NS6detail17trampoline_kernelINS0_14default_configENS1_20scan_config_selectorIfEEZZNS1_9scan_implILNS1_25lookback_scan_determinismE0ELb0ELb0ES3_N6thrust23THRUST_200600_302600_NS6detail15normal_iteratorINS9_10device_ptrIfEEEENS9_16discard_iteratorINS9_11use_defaultEEEfNS9_4plusIvEEfEEDaPvRmT3_T4_T5_mT6_P12ihipStream_tbENKUlT_T0_E_clISt17integral_constantIbLb0EESW_IbLb1EEEEDaSS_ST_EUlSS_E0_NS1_11comp_targetILNS1_3genE10ELNS1_11target_archE1201ELNS1_3gpuE5ELNS1_3repE0EEENS1_30default_config_static_selectorELNS0_4arch9wavefront6targetE1EEEvT1_
	.p2align	8
	.type	_ZN7rocprim17ROCPRIM_400000_NS6detail17trampoline_kernelINS0_14default_configENS1_20scan_config_selectorIfEEZZNS1_9scan_implILNS1_25lookback_scan_determinismE0ELb0ELb0ES3_N6thrust23THRUST_200600_302600_NS6detail15normal_iteratorINS9_10device_ptrIfEEEENS9_16discard_iteratorINS9_11use_defaultEEEfNS9_4plusIvEEfEEDaPvRmT3_T4_T5_mT6_P12ihipStream_tbENKUlT_T0_E_clISt17integral_constantIbLb0EESW_IbLb1EEEEDaSS_ST_EUlSS_E0_NS1_11comp_targetILNS1_3genE10ELNS1_11target_archE1201ELNS1_3gpuE5ELNS1_3repE0EEENS1_30default_config_static_selectorELNS0_4arch9wavefront6targetE1EEEvT1_,@function
_ZN7rocprim17ROCPRIM_400000_NS6detail17trampoline_kernelINS0_14default_configENS1_20scan_config_selectorIfEEZZNS1_9scan_implILNS1_25lookback_scan_determinismE0ELb0ELb0ES3_N6thrust23THRUST_200600_302600_NS6detail15normal_iteratorINS9_10device_ptrIfEEEENS9_16discard_iteratorINS9_11use_defaultEEEfNS9_4plusIvEEfEEDaPvRmT3_T4_T5_mT6_P12ihipStream_tbENKUlT_T0_E_clISt17integral_constantIbLb0EESW_IbLb1EEEEDaSS_ST_EUlSS_E0_NS1_11comp_targetILNS1_3genE10ELNS1_11target_archE1201ELNS1_3gpuE5ELNS1_3repE0EEENS1_30default_config_static_selectorELNS0_4arch9wavefront6targetE1EEEvT1_: ; @_ZN7rocprim17ROCPRIM_400000_NS6detail17trampoline_kernelINS0_14default_configENS1_20scan_config_selectorIfEEZZNS1_9scan_implILNS1_25lookback_scan_determinismE0ELb0ELb0ES3_N6thrust23THRUST_200600_302600_NS6detail15normal_iteratorINS9_10device_ptrIfEEEENS9_16discard_iteratorINS9_11use_defaultEEEfNS9_4plusIvEEfEEDaPvRmT3_T4_T5_mT6_P12ihipStream_tbENKUlT_T0_E_clISt17integral_constantIbLb0EESW_IbLb1EEEEDaSS_ST_EUlSS_E0_NS1_11comp_targetILNS1_3genE10ELNS1_11target_archE1201ELNS1_3gpuE5ELNS1_3repE0EEENS1_30default_config_static_selectorELNS0_4arch9wavefront6targetE1EEEvT1_
; %bb.0:
	.section	.rodata,"a",@progbits
	.p2align	6, 0x0
	.amdhsa_kernel _ZN7rocprim17ROCPRIM_400000_NS6detail17trampoline_kernelINS0_14default_configENS1_20scan_config_selectorIfEEZZNS1_9scan_implILNS1_25lookback_scan_determinismE0ELb0ELb0ES3_N6thrust23THRUST_200600_302600_NS6detail15normal_iteratorINS9_10device_ptrIfEEEENS9_16discard_iteratorINS9_11use_defaultEEEfNS9_4plusIvEEfEEDaPvRmT3_T4_T5_mT6_P12ihipStream_tbENKUlT_T0_E_clISt17integral_constantIbLb0EESW_IbLb1EEEEDaSS_ST_EUlSS_E0_NS1_11comp_targetILNS1_3genE10ELNS1_11target_archE1201ELNS1_3gpuE5ELNS1_3repE0EEENS1_30default_config_static_selectorELNS0_4arch9wavefront6targetE1EEEvT1_
		.amdhsa_group_segment_fixed_size 0
		.amdhsa_private_segment_fixed_size 0
		.amdhsa_kernarg_size 40
		.amdhsa_user_sgpr_count 6
		.amdhsa_user_sgpr_private_segment_buffer 1
		.amdhsa_user_sgpr_dispatch_ptr 0
		.amdhsa_user_sgpr_queue_ptr 0
		.amdhsa_user_sgpr_kernarg_segment_ptr 1
		.amdhsa_user_sgpr_dispatch_id 0
		.amdhsa_user_sgpr_flat_scratch_init 0
		.amdhsa_user_sgpr_kernarg_preload_length 0
		.amdhsa_user_sgpr_kernarg_preload_offset 0
		.amdhsa_user_sgpr_private_segment_size 0
		.amdhsa_uses_dynamic_stack 0
		.amdhsa_system_sgpr_private_segment_wavefront_offset 0
		.amdhsa_system_sgpr_workgroup_id_x 1
		.amdhsa_system_sgpr_workgroup_id_y 0
		.amdhsa_system_sgpr_workgroup_id_z 0
		.amdhsa_system_sgpr_workgroup_info 0
		.amdhsa_system_vgpr_workitem_id 0
		.amdhsa_next_free_vgpr 1
		.amdhsa_next_free_sgpr 0
		.amdhsa_accum_offset 4
		.amdhsa_reserve_vcc 0
		.amdhsa_reserve_flat_scratch 0
		.amdhsa_float_round_mode_32 0
		.amdhsa_float_round_mode_16_64 0
		.amdhsa_float_denorm_mode_32 3
		.amdhsa_float_denorm_mode_16_64 3
		.amdhsa_dx10_clamp 1
		.amdhsa_ieee_mode 1
		.amdhsa_fp16_overflow 0
		.amdhsa_tg_split 0
		.amdhsa_exception_fp_ieee_invalid_op 0
		.amdhsa_exception_fp_denorm_src 0
		.amdhsa_exception_fp_ieee_div_zero 0
		.amdhsa_exception_fp_ieee_overflow 0
		.amdhsa_exception_fp_ieee_underflow 0
		.amdhsa_exception_fp_ieee_inexact 0
		.amdhsa_exception_int_div_zero 0
	.end_amdhsa_kernel
	.section	.text._ZN7rocprim17ROCPRIM_400000_NS6detail17trampoline_kernelINS0_14default_configENS1_20scan_config_selectorIfEEZZNS1_9scan_implILNS1_25lookback_scan_determinismE0ELb0ELb0ES3_N6thrust23THRUST_200600_302600_NS6detail15normal_iteratorINS9_10device_ptrIfEEEENS9_16discard_iteratorINS9_11use_defaultEEEfNS9_4plusIvEEfEEDaPvRmT3_T4_T5_mT6_P12ihipStream_tbENKUlT_T0_E_clISt17integral_constantIbLb0EESW_IbLb1EEEEDaSS_ST_EUlSS_E0_NS1_11comp_targetILNS1_3genE10ELNS1_11target_archE1201ELNS1_3gpuE5ELNS1_3repE0EEENS1_30default_config_static_selectorELNS0_4arch9wavefront6targetE1EEEvT1_,"axG",@progbits,_ZN7rocprim17ROCPRIM_400000_NS6detail17trampoline_kernelINS0_14default_configENS1_20scan_config_selectorIfEEZZNS1_9scan_implILNS1_25lookback_scan_determinismE0ELb0ELb0ES3_N6thrust23THRUST_200600_302600_NS6detail15normal_iteratorINS9_10device_ptrIfEEEENS9_16discard_iteratorINS9_11use_defaultEEEfNS9_4plusIvEEfEEDaPvRmT3_T4_T5_mT6_P12ihipStream_tbENKUlT_T0_E_clISt17integral_constantIbLb0EESW_IbLb1EEEEDaSS_ST_EUlSS_E0_NS1_11comp_targetILNS1_3genE10ELNS1_11target_archE1201ELNS1_3gpuE5ELNS1_3repE0EEENS1_30default_config_static_selectorELNS0_4arch9wavefront6targetE1EEEvT1_,comdat
.Lfunc_end5074:
	.size	_ZN7rocprim17ROCPRIM_400000_NS6detail17trampoline_kernelINS0_14default_configENS1_20scan_config_selectorIfEEZZNS1_9scan_implILNS1_25lookback_scan_determinismE0ELb0ELb0ES3_N6thrust23THRUST_200600_302600_NS6detail15normal_iteratorINS9_10device_ptrIfEEEENS9_16discard_iteratorINS9_11use_defaultEEEfNS9_4plusIvEEfEEDaPvRmT3_T4_T5_mT6_P12ihipStream_tbENKUlT_T0_E_clISt17integral_constantIbLb0EESW_IbLb1EEEEDaSS_ST_EUlSS_E0_NS1_11comp_targetILNS1_3genE10ELNS1_11target_archE1201ELNS1_3gpuE5ELNS1_3repE0EEENS1_30default_config_static_selectorELNS0_4arch9wavefront6targetE1EEEvT1_, .Lfunc_end5074-_ZN7rocprim17ROCPRIM_400000_NS6detail17trampoline_kernelINS0_14default_configENS1_20scan_config_selectorIfEEZZNS1_9scan_implILNS1_25lookback_scan_determinismE0ELb0ELb0ES3_N6thrust23THRUST_200600_302600_NS6detail15normal_iteratorINS9_10device_ptrIfEEEENS9_16discard_iteratorINS9_11use_defaultEEEfNS9_4plusIvEEfEEDaPvRmT3_T4_T5_mT6_P12ihipStream_tbENKUlT_T0_E_clISt17integral_constantIbLb0EESW_IbLb1EEEEDaSS_ST_EUlSS_E0_NS1_11comp_targetILNS1_3genE10ELNS1_11target_archE1201ELNS1_3gpuE5ELNS1_3repE0EEENS1_30default_config_static_selectorELNS0_4arch9wavefront6targetE1EEEvT1_
                                        ; -- End function
	.section	.AMDGPU.csdata,"",@progbits
; Kernel info:
; codeLenInByte = 0
; NumSgprs: 4
; NumVgprs: 0
; NumAgprs: 0
; TotalNumVgprs: 0
; ScratchSize: 0
; MemoryBound: 0
; FloatMode: 240
; IeeeMode: 1
; LDSByteSize: 0 bytes/workgroup (compile time only)
; SGPRBlocks: 0
; VGPRBlocks: 0
; NumSGPRsForWavesPerEU: 4
; NumVGPRsForWavesPerEU: 1
; AccumOffset: 4
; Occupancy: 8
; WaveLimiterHint : 0
; COMPUTE_PGM_RSRC2:SCRATCH_EN: 0
; COMPUTE_PGM_RSRC2:USER_SGPR: 6
; COMPUTE_PGM_RSRC2:TRAP_HANDLER: 0
; COMPUTE_PGM_RSRC2:TGID_X_EN: 1
; COMPUTE_PGM_RSRC2:TGID_Y_EN: 0
; COMPUTE_PGM_RSRC2:TGID_Z_EN: 0
; COMPUTE_PGM_RSRC2:TIDIG_COMP_CNT: 0
; COMPUTE_PGM_RSRC3_GFX90A:ACCUM_OFFSET: 0
; COMPUTE_PGM_RSRC3_GFX90A:TG_SPLIT: 0
	.section	.text._ZN7rocprim17ROCPRIM_400000_NS6detail17trampoline_kernelINS0_14default_configENS1_20scan_config_selectorIfEEZZNS1_9scan_implILNS1_25lookback_scan_determinismE0ELb0ELb0ES3_N6thrust23THRUST_200600_302600_NS6detail15normal_iteratorINS9_10device_ptrIfEEEENS9_16discard_iteratorINS9_11use_defaultEEEfNS9_4plusIvEEfEEDaPvRmT3_T4_T5_mT6_P12ihipStream_tbENKUlT_T0_E_clISt17integral_constantIbLb0EESW_IbLb1EEEEDaSS_ST_EUlSS_E0_NS1_11comp_targetILNS1_3genE10ELNS1_11target_archE1200ELNS1_3gpuE4ELNS1_3repE0EEENS1_30default_config_static_selectorELNS0_4arch9wavefront6targetE1EEEvT1_,"axG",@progbits,_ZN7rocprim17ROCPRIM_400000_NS6detail17trampoline_kernelINS0_14default_configENS1_20scan_config_selectorIfEEZZNS1_9scan_implILNS1_25lookback_scan_determinismE0ELb0ELb0ES3_N6thrust23THRUST_200600_302600_NS6detail15normal_iteratorINS9_10device_ptrIfEEEENS9_16discard_iteratorINS9_11use_defaultEEEfNS9_4plusIvEEfEEDaPvRmT3_T4_T5_mT6_P12ihipStream_tbENKUlT_T0_E_clISt17integral_constantIbLb0EESW_IbLb1EEEEDaSS_ST_EUlSS_E0_NS1_11comp_targetILNS1_3genE10ELNS1_11target_archE1200ELNS1_3gpuE4ELNS1_3repE0EEENS1_30default_config_static_selectorELNS0_4arch9wavefront6targetE1EEEvT1_,comdat
	.protected	_ZN7rocprim17ROCPRIM_400000_NS6detail17trampoline_kernelINS0_14default_configENS1_20scan_config_selectorIfEEZZNS1_9scan_implILNS1_25lookback_scan_determinismE0ELb0ELb0ES3_N6thrust23THRUST_200600_302600_NS6detail15normal_iteratorINS9_10device_ptrIfEEEENS9_16discard_iteratorINS9_11use_defaultEEEfNS9_4plusIvEEfEEDaPvRmT3_T4_T5_mT6_P12ihipStream_tbENKUlT_T0_E_clISt17integral_constantIbLb0EESW_IbLb1EEEEDaSS_ST_EUlSS_E0_NS1_11comp_targetILNS1_3genE10ELNS1_11target_archE1200ELNS1_3gpuE4ELNS1_3repE0EEENS1_30default_config_static_selectorELNS0_4arch9wavefront6targetE1EEEvT1_ ; -- Begin function _ZN7rocprim17ROCPRIM_400000_NS6detail17trampoline_kernelINS0_14default_configENS1_20scan_config_selectorIfEEZZNS1_9scan_implILNS1_25lookback_scan_determinismE0ELb0ELb0ES3_N6thrust23THRUST_200600_302600_NS6detail15normal_iteratorINS9_10device_ptrIfEEEENS9_16discard_iteratorINS9_11use_defaultEEEfNS9_4plusIvEEfEEDaPvRmT3_T4_T5_mT6_P12ihipStream_tbENKUlT_T0_E_clISt17integral_constantIbLb0EESW_IbLb1EEEEDaSS_ST_EUlSS_E0_NS1_11comp_targetILNS1_3genE10ELNS1_11target_archE1200ELNS1_3gpuE4ELNS1_3repE0EEENS1_30default_config_static_selectorELNS0_4arch9wavefront6targetE1EEEvT1_
	.globl	_ZN7rocprim17ROCPRIM_400000_NS6detail17trampoline_kernelINS0_14default_configENS1_20scan_config_selectorIfEEZZNS1_9scan_implILNS1_25lookback_scan_determinismE0ELb0ELb0ES3_N6thrust23THRUST_200600_302600_NS6detail15normal_iteratorINS9_10device_ptrIfEEEENS9_16discard_iteratorINS9_11use_defaultEEEfNS9_4plusIvEEfEEDaPvRmT3_T4_T5_mT6_P12ihipStream_tbENKUlT_T0_E_clISt17integral_constantIbLb0EESW_IbLb1EEEEDaSS_ST_EUlSS_E0_NS1_11comp_targetILNS1_3genE10ELNS1_11target_archE1200ELNS1_3gpuE4ELNS1_3repE0EEENS1_30default_config_static_selectorELNS0_4arch9wavefront6targetE1EEEvT1_
	.p2align	8
	.type	_ZN7rocprim17ROCPRIM_400000_NS6detail17trampoline_kernelINS0_14default_configENS1_20scan_config_selectorIfEEZZNS1_9scan_implILNS1_25lookback_scan_determinismE0ELb0ELb0ES3_N6thrust23THRUST_200600_302600_NS6detail15normal_iteratorINS9_10device_ptrIfEEEENS9_16discard_iteratorINS9_11use_defaultEEEfNS9_4plusIvEEfEEDaPvRmT3_T4_T5_mT6_P12ihipStream_tbENKUlT_T0_E_clISt17integral_constantIbLb0EESW_IbLb1EEEEDaSS_ST_EUlSS_E0_NS1_11comp_targetILNS1_3genE10ELNS1_11target_archE1200ELNS1_3gpuE4ELNS1_3repE0EEENS1_30default_config_static_selectorELNS0_4arch9wavefront6targetE1EEEvT1_,@function
_ZN7rocprim17ROCPRIM_400000_NS6detail17trampoline_kernelINS0_14default_configENS1_20scan_config_selectorIfEEZZNS1_9scan_implILNS1_25lookback_scan_determinismE0ELb0ELb0ES3_N6thrust23THRUST_200600_302600_NS6detail15normal_iteratorINS9_10device_ptrIfEEEENS9_16discard_iteratorINS9_11use_defaultEEEfNS9_4plusIvEEfEEDaPvRmT3_T4_T5_mT6_P12ihipStream_tbENKUlT_T0_E_clISt17integral_constantIbLb0EESW_IbLb1EEEEDaSS_ST_EUlSS_E0_NS1_11comp_targetILNS1_3genE10ELNS1_11target_archE1200ELNS1_3gpuE4ELNS1_3repE0EEENS1_30default_config_static_selectorELNS0_4arch9wavefront6targetE1EEEvT1_: ; @_ZN7rocprim17ROCPRIM_400000_NS6detail17trampoline_kernelINS0_14default_configENS1_20scan_config_selectorIfEEZZNS1_9scan_implILNS1_25lookback_scan_determinismE0ELb0ELb0ES3_N6thrust23THRUST_200600_302600_NS6detail15normal_iteratorINS9_10device_ptrIfEEEENS9_16discard_iteratorINS9_11use_defaultEEEfNS9_4plusIvEEfEEDaPvRmT3_T4_T5_mT6_P12ihipStream_tbENKUlT_T0_E_clISt17integral_constantIbLb0EESW_IbLb1EEEEDaSS_ST_EUlSS_E0_NS1_11comp_targetILNS1_3genE10ELNS1_11target_archE1200ELNS1_3gpuE4ELNS1_3repE0EEENS1_30default_config_static_selectorELNS0_4arch9wavefront6targetE1EEEvT1_
; %bb.0:
	.section	.rodata,"a",@progbits
	.p2align	6, 0x0
	.amdhsa_kernel _ZN7rocprim17ROCPRIM_400000_NS6detail17trampoline_kernelINS0_14default_configENS1_20scan_config_selectorIfEEZZNS1_9scan_implILNS1_25lookback_scan_determinismE0ELb0ELb0ES3_N6thrust23THRUST_200600_302600_NS6detail15normal_iteratorINS9_10device_ptrIfEEEENS9_16discard_iteratorINS9_11use_defaultEEEfNS9_4plusIvEEfEEDaPvRmT3_T4_T5_mT6_P12ihipStream_tbENKUlT_T0_E_clISt17integral_constantIbLb0EESW_IbLb1EEEEDaSS_ST_EUlSS_E0_NS1_11comp_targetILNS1_3genE10ELNS1_11target_archE1200ELNS1_3gpuE4ELNS1_3repE0EEENS1_30default_config_static_selectorELNS0_4arch9wavefront6targetE1EEEvT1_
		.amdhsa_group_segment_fixed_size 0
		.amdhsa_private_segment_fixed_size 0
		.amdhsa_kernarg_size 40
		.amdhsa_user_sgpr_count 6
		.amdhsa_user_sgpr_private_segment_buffer 1
		.amdhsa_user_sgpr_dispatch_ptr 0
		.amdhsa_user_sgpr_queue_ptr 0
		.amdhsa_user_sgpr_kernarg_segment_ptr 1
		.amdhsa_user_sgpr_dispatch_id 0
		.amdhsa_user_sgpr_flat_scratch_init 0
		.amdhsa_user_sgpr_kernarg_preload_length 0
		.amdhsa_user_sgpr_kernarg_preload_offset 0
		.amdhsa_user_sgpr_private_segment_size 0
		.amdhsa_uses_dynamic_stack 0
		.amdhsa_system_sgpr_private_segment_wavefront_offset 0
		.amdhsa_system_sgpr_workgroup_id_x 1
		.amdhsa_system_sgpr_workgroup_id_y 0
		.amdhsa_system_sgpr_workgroup_id_z 0
		.amdhsa_system_sgpr_workgroup_info 0
		.amdhsa_system_vgpr_workitem_id 0
		.amdhsa_next_free_vgpr 1
		.amdhsa_next_free_sgpr 0
		.amdhsa_accum_offset 4
		.amdhsa_reserve_vcc 0
		.amdhsa_reserve_flat_scratch 0
		.amdhsa_float_round_mode_32 0
		.amdhsa_float_round_mode_16_64 0
		.amdhsa_float_denorm_mode_32 3
		.amdhsa_float_denorm_mode_16_64 3
		.amdhsa_dx10_clamp 1
		.amdhsa_ieee_mode 1
		.amdhsa_fp16_overflow 0
		.amdhsa_tg_split 0
		.amdhsa_exception_fp_ieee_invalid_op 0
		.amdhsa_exception_fp_denorm_src 0
		.amdhsa_exception_fp_ieee_div_zero 0
		.amdhsa_exception_fp_ieee_overflow 0
		.amdhsa_exception_fp_ieee_underflow 0
		.amdhsa_exception_fp_ieee_inexact 0
		.amdhsa_exception_int_div_zero 0
	.end_amdhsa_kernel
	.section	.text._ZN7rocprim17ROCPRIM_400000_NS6detail17trampoline_kernelINS0_14default_configENS1_20scan_config_selectorIfEEZZNS1_9scan_implILNS1_25lookback_scan_determinismE0ELb0ELb0ES3_N6thrust23THRUST_200600_302600_NS6detail15normal_iteratorINS9_10device_ptrIfEEEENS9_16discard_iteratorINS9_11use_defaultEEEfNS9_4plusIvEEfEEDaPvRmT3_T4_T5_mT6_P12ihipStream_tbENKUlT_T0_E_clISt17integral_constantIbLb0EESW_IbLb1EEEEDaSS_ST_EUlSS_E0_NS1_11comp_targetILNS1_3genE10ELNS1_11target_archE1200ELNS1_3gpuE4ELNS1_3repE0EEENS1_30default_config_static_selectorELNS0_4arch9wavefront6targetE1EEEvT1_,"axG",@progbits,_ZN7rocprim17ROCPRIM_400000_NS6detail17trampoline_kernelINS0_14default_configENS1_20scan_config_selectorIfEEZZNS1_9scan_implILNS1_25lookback_scan_determinismE0ELb0ELb0ES3_N6thrust23THRUST_200600_302600_NS6detail15normal_iteratorINS9_10device_ptrIfEEEENS9_16discard_iteratorINS9_11use_defaultEEEfNS9_4plusIvEEfEEDaPvRmT3_T4_T5_mT6_P12ihipStream_tbENKUlT_T0_E_clISt17integral_constantIbLb0EESW_IbLb1EEEEDaSS_ST_EUlSS_E0_NS1_11comp_targetILNS1_3genE10ELNS1_11target_archE1200ELNS1_3gpuE4ELNS1_3repE0EEENS1_30default_config_static_selectorELNS0_4arch9wavefront6targetE1EEEvT1_,comdat
.Lfunc_end5075:
	.size	_ZN7rocprim17ROCPRIM_400000_NS6detail17trampoline_kernelINS0_14default_configENS1_20scan_config_selectorIfEEZZNS1_9scan_implILNS1_25lookback_scan_determinismE0ELb0ELb0ES3_N6thrust23THRUST_200600_302600_NS6detail15normal_iteratorINS9_10device_ptrIfEEEENS9_16discard_iteratorINS9_11use_defaultEEEfNS9_4plusIvEEfEEDaPvRmT3_T4_T5_mT6_P12ihipStream_tbENKUlT_T0_E_clISt17integral_constantIbLb0EESW_IbLb1EEEEDaSS_ST_EUlSS_E0_NS1_11comp_targetILNS1_3genE10ELNS1_11target_archE1200ELNS1_3gpuE4ELNS1_3repE0EEENS1_30default_config_static_selectorELNS0_4arch9wavefront6targetE1EEEvT1_, .Lfunc_end5075-_ZN7rocprim17ROCPRIM_400000_NS6detail17trampoline_kernelINS0_14default_configENS1_20scan_config_selectorIfEEZZNS1_9scan_implILNS1_25lookback_scan_determinismE0ELb0ELb0ES3_N6thrust23THRUST_200600_302600_NS6detail15normal_iteratorINS9_10device_ptrIfEEEENS9_16discard_iteratorINS9_11use_defaultEEEfNS9_4plusIvEEfEEDaPvRmT3_T4_T5_mT6_P12ihipStream_tbENKUlT_T0_E_clISt17integral_constantIbLb0EESW_IbLb1EEEEDaSS_ST_EUlSS_E0_NS1_11comp_targetILNS1_3genE10ELNS1_11target_archE1200ELNS1_3gpuE4ELNS1_3repE0EEENS1_30default_config_static_selectorELNS0_4arch9wavefront6targetE1EEEvT1_
                                        ; -- End function
	.section	.AMDGPU.csdata,"",@progbits
; Kernel info:
; codeLenInByte = 0
; NumSgprs: 4
; NumVgprs: 0
; NumAgprs: 0
; TotalNumVgprs: 0
; ScratchSize: 0
; MemoryBound: 0
; FloatMode: 240
; IeeeMode: 1
; LDSByteSize: 0 bytes/workgroup (compile time only)
; SGPRBlocks: 0
; VGPRBlocks: 0
; NumSGPRsForWavesPerEU: 4
; NumVGPRsForWavesPerEU: 1
; AccumOffset: 4
; Occupancy: 8
; WaveLimiterHint : 0
; COMPUTE_PGM_RSRC2:SCRATCH_EN: 0
; COMPUTE_PGM_RSRC2:USER_SGPR: 6
; COMPUTE_PGM_RSRC2:TRAP_HANDLER: 0
; COMPUTE_PGM_RSRC2:TGID_X_EN: 1
; COMPUTE_PGM_RSRC2:TGID_Y_EN: 0
; COMPUTE_PGM_RSRC2:TGID_Z_EN: 0
; COMPUTE_PGM_RSRC2:TIDIG_COMP_CNT: 0
; COMPUTE_PGM_RSRC3_GFX90A:ACCUM_OFFSET: 0
; COMPUTE_PGM_RSRC3_GFX90A:TG_SPLIT: 0
	.section	.text._ZN7rocprim17ROCPRIM_400000_NS6detail17trampoline_kernelINS0_14default_configENS1_20scan_config_selectorIfEEZZNS1_9scan_implILNS1_25lookback_scan_determinismE0ELb0ELb0ES3_N6thrust23THRUST_200600_302600_NS6detail15normal_iteratorINS9_10device_ptrIfEEEENS9_16discard_iteratorINS9_11use_defaultEEEfNS9_4plusIvEEfEEDaPvRmT3_T4_T5_mT6_P12ihipStream_tbENKUlT_T0_E_clISt17integral_constantIbLb0EESW_IbLb1EEEEDaSS_ST_EUlSS_E0_NS1_11comp_targetILNS1_3genE9ELNS1_11target_archE1100ELNS1_3gpuE3ELNS1_3repE0EEENS1_30default_config_static_selectorELNS0_4arch9wavefront6targetE1EEEvT1_,"axG",@progbits,_ZN7rocprim17ROCPRIM_400000_NS6detail17trampoline_kernelINS0_14default_configENS1_20scan_config_selectorIfEEZZNS1_9scan_implILNS1_25lookback_scan_determinismE0ELb0ELb0ES3_N6thrust23THRUST_200600_302600_NS6detail15normal_iteratorINS9_10device_ptrIfEEEENS9_16discard_iteratorINS9_11use_defaultEEEfNS9_4plusIvEEfEEDaPvRmT3_T4_T5_mT6_P12ihipStream_tbENKUlT_T0_E_clISt17integral_constantIbLb0EESW_IbLb1EEEEDaSS_ST_EUlSS_E0_NS1_11comp_targetILNS1_3genE9ELNS1_11target_archE1100ELNS1_3gpuE3ELNS1_3repE0EEENS1_30default_config_static_selectorELNS0_4arch9wavefront6targetE1EEEvT1_,comdat
	.protected	_ZN7rocprim17ROCPRIM_400000_NS6detail17trampoline_kernelINS0_14default_configENS1_20scan_config_selectorIfEEZZNS1_9scan_implILNS1_25lookback_scan_determinismE0ELb0ELb0ES3_N6thrust23THRUST_200600_302600_NS6detail15normal_iteratorINS9_10device_ptrIfEEEENS9_16discard_iteratorINS9_11use_defaultEEEfNS9_4plusIvEEfEEDaPvRmT3_T4_T5_mT6_P12ihipStream_tbENKUlT_T0_E_clISt17integral_constantIbLb0EESW_IbLb1EEEEDaSS_ST_EUlSS_E0_NS1_11comp_targetILNS1_3genE9ELNS1_11target_archE1100ELNS1_3gpuE3ELNS1_3repE0EEENS1_30default_config_static_selectorELNS0_4arch9wavefront6targetE1EEEvT1_ ; -- Begin function _ZN7rocprim17ROCPRIM_400000_NS6detail17trampoline_kernelINS0_14default_configENS1_20scan_config_selectorIfEEZZNS1_9scan_implILNS1_25lookback_scan_determinismE0ELb0ELb0ES3_N6thrust23THRUST_200600_302600_NS6detail15normal_iteratorINS9_10device_ptrIfEEEENS9_16discard_iteratorINS9_11use_defaultEEEfNS9_4plusIvEEfEEDaPvRmT3_T4_T5_mT6_P12ihipStream_tbENKUlT_T0_E_clISt17integral_constantIbLb0EESW_IbLb1EEEEDaSS_ST_EUlSS_E0_NS1_11comp_targetILNS1_3genE9ELNS1_11target_archE1100ELNS1_3gpuE3ELNS1_3repE0EEENS1_30default_config_static_selectorELNS0_4arch9wavefront6targetE1EEEvT1_
	.globl	_ZN7rocprim17ROCPRIM_400000_NS6detail17trampoline_kernelINS0_14default_configENS1_20scan_config_selectorIfEEZZNS1_9scan_implILNS1_25lookback_scan_determinismE0ELb0ELb0ES3_N6thrust23THRUST_200600_302600_NS6detail15normal_iteratorINS9_10device_ptrIfEEEENS9_16discard_iteratorINS9_11use_defaultEEEfNS9_4plusIvEEfEEDaPvRmT3_T4_T5_mT6_P12ihipStream_tbENKUlT_T0_E_clISt17integral_constantIbLb0EESW_IbLb1EEEEDaSS_ST_EUlSS_E0_NS1_11comp_targetILNS1_3genE9ELNS1_11target_archE1100ELNS1_3gpuE3ELNS1_3repE0EEENS1_30default_config_static_selectorELNS0_4arch9wavefront6targetE1EEEvT1_
	.p2align	8
	.type	_ZN7rocprim17ROCPRIM_400000_NS6detail17trampoline_kernelINS0_14default_configENS1_20scan_config_selectorIfEEZZNS1_9scan_implILNS1_25lookback_scan_determinismE0ELb0ELb0ES3_N6thrust23THRUST_200600_302600_NS6detail15normal_iteratorINS9_10device_ptrIfEEEENS9_16discard_iteratorINS9_11use_defaultEEEfNS9_4plusIvEEfEEDaPvRmT3_T4_T5_mT6_P12ihipStream_tbENKUlT_T0_E_clISt17integral_constantIbLb0EESW_IbLb1EEEEDaSS_ST_EUlSS_E0_NS1_11comp_targetILNS1_3genE9ELNS1_11target_archE1100ELNS1_3gpuE3ELNS1_3repE0EEENS1_30default_config_static_selectorELNS0_4arch9wavefront6targetE1EEEvT1_,@function
_ZN7rocprim17ROCPRIM_400000_NS6detail17trampoline_kernelINS0_14default_configENS1_20scan_config_selectorIfEEZZNS1_9scan_implILNS1_25lookback_scan_determinismE0ELb0ELb0ES3_N6thrust23THRUST_200600_302600_NS6detail15normal_iteratorINS9_10device_ptrIfEEEENS9_16discard_iteratorINS9_11use_defaultEEEfNS9_4plusIvEEfEEDaPvRmT3_T4_T5_mT6_P12ihipStream_tbENKUlT_T0_E_clISt17integral_constantIbLb0EESW_IbLb1EEEEDaSS_ST_EUlSS_E0_NS1_11comp_targetILNS1_3genE9ELNS1_11target_archE1100ELNS1_3gpuE3ELNS1_3repE0EEENS1_30default_config_static_selectorELNS0_4arch9wavefront6targetE1EEEvT1_: ; @_ZN7rocprim17ROCPRIM_400000_NS6detail17trampoline_kernelINS0_14default_configENS1_20scan_config_selectorIfEEZZNS1_9scan_implILNS1_25lookback_scan_determinismE0ELb0ELb0ES3_N6thrust23THRUST_200600_302600_NS6detail15normal_iteratorINS9_10device_ptrIfEEEENS9_16discard_iteratorINS9_11use_defaultEEEfNS9_4plusIvEEfEEDaPvRmT3_T4_T5_mT6_P12ihipStream_tbENKUlT_T0_E_clISt17integral_constantIbLb0EESW_IbLb1EEEEDaSS_ST_EUlSS_E0_NS1_11comp_targetILNS1_3genE9ELNS1_11target_archE1100ELNS1_3gpuE3ELNS1_3repE0EEENS1_30default_config_static_selectorELNS0_4arch9wavefront6targetE1EEEvT1_
; %bb.0:
	.section	.rodata,"a",@progbits
	.p2align	6, 0x0
	.amdhsa_kernel _ZN7rocprim17ROCPRIM_400000_NS6detail17trampoline_kernelINS0_14default_configENS1_20scan_config_selectorIfEEZZNS1_9scan_implILNS1_25lookback_scan_determinismE0ELb0ELb0ES3_N6thrust23THRUST_200600_302600_NS6detail15normal_iteratorINS9_10device_ptrIfEEEENS9_16discard_iteratorINS9_11use_defaultEEEfNS9_4plusIvEEfEEDaPvRmT3_T4_T5_mT6_P12ihipStream_tbENKUlT_T0_E_clISt17integral_constantIbLb0EESW_IbLb1EEEEDaSS_ST_EUlSS_E0_NS1_11comp_targetILNS1_3genE9ELNS1_11target_archE1100ELNS1_3gpuE3ELNS1_3repE0EEENS1_30default_config_static_selectorELNS0_4arch9wavefront6targetE1EEEvT1_
		.amdhsa_group_segment_fixed_size 0
		.amdhsa_private_segment_fixed_size 0
		.amdhsa_kernarg_size 40
		.amdhsa_user_sgpr_count 6
		.amdhsa_user_sgpr_private_segment_buffer 1
		.amdhsa_user_sgpr_dispatch_ptr 0
		.amdhsa_user_sgpr_queue_ptr 0
		.amdhsa_user_sgpr_kernarg_segment_ptr 1
		.amdhsa_user_sgpr_dispatch_id 0
		.amdhsa_user_sgpr_flat_scratch_init 0
		.amdhsa_user_sgpr_kernarg_preload_length 0
		.amdhsa_user_sgpr_kernarg_preload_offset 0
		.amdhsa_user_sgpr_private_segment_size 0
		.amdhsa_uses_dynamic_stack 0
		.amdhsa_system_sgpr_private_segment_wavefront_offset 0
		.amdhsa_system_sgpr_workgroup_id_x 1
		.amdhsa_system_sgpr_workgroup_id_y 0
		.amdhsa_system_sgpr_workgroup_id_z 0
		.amdhsa_system_sgpr_workgroup_info 0
		.amdhsa_system_vgpr_workitem_id 0
		.amdhsa_next_free_vgpr 1
		.amdhsa_next_free_sgpr 0
		.amdhsa_accum_offset 4
		.amdhsa_reserve_vcc 0
		.amdhsa_reserve_flat_scratch 0
		.amdhsa_float_round_mode_32 0
		.amdhsa_float_round_mode_16_64 0
		.amdhsa_float_denorm_mode_32 3
		.amdhsa_float_denorm_mode_16_64 3
		.amdhsa_dx10_clamp 1
		.amdhsa_ieee_mode 1
		.amdhsa_fp16_overflow 0
		.amdhsa_tg_split 0
		.amdhsa_exception_fp_ieee_invalid_op 0
		.amdhsa_exception_fp_denorm_src 0
		.amdhsa_exception_fp_ieee_div_zero 0
		.amdhsa_exception_fp_ieee_overflow 0
		.amdhsa_exception_fp_ieee_underflow 0
		.amdhsa_exception_fp_ieee_inexact 0
		.amdhsa_exception_int_div_zero 0
	.end_amdhsa_kernel
	.section	.text._ZN7rocprim17ROCPRIM_400000_NS6detail17trampoline_kernelINS0_14default_configENS1_20scan_config_selectorIfEEZZNS1_9scan_implILNS1_25lookback_scan_determinismE0ELb0ELb0ES3_N6thrust23THRUST_200600_302600_NS6detail15normal_iteratorINS9_10device_ptrIfEEEENS9_16discard_iteratorINS9_11use_defaultEEEfNS9_4plusIvEEfEEDaPvRmT3_T4_T5_mT6_P12ihipStream_tbENKUlT_T0_E_clISt17integral_constantIbLb0EESW_IbLb1EEEEDaSS_ST_EUlSS_E0_NS1_11comp_targetILNS1_3genE9ELNS1_11target_archE1100ELNS1_3gpuE3ELNS1_3repE0EEENS1_30default_config_static_selectorELNS0_4arch9wavefront6targetE1EEEvT1_,"axG",@progbits,_ZN7rocprim17ROCPRIM_400000_NS6detail17trampoline_kernelINS0_14default_configENS1_20scan_config_selectorIfEEZZNS1_9scan_implILNS1_25lookback_scan_determinismE0ELb0ELb0ES3_N6thrust23THRUST_200600_302600_NS6detail15normal_iteratorINS9_10device_ptrIfEEEENS9_16discard_iteratorINS9_11use_defaultEEEfNS9_4plusIvEEfEEDaPvRmT3_T4_T5_mT6_P12ihipStream_tbENKUlT_T0_E_clISt17integral_constantIbLb0EESW_IbLb1EEEEDaSS_ST_EUlSS_E0_NS1_11comp_targetILNS1_3genE9ELNS1_11target_archE1100ELNS1_3gpuE3ELNS1_3repE0EEENS1_30default_config_static_selectorELNS0_4arch9wavefront6targetE1EEEvT1_,comdat
.Lfunc_end5076:
	.size	_ZN7rocprim17ROCPRIM_400000_NS6detail17trampoline_kernelINS0_14default_configENS1_20scan_config_selectorIfEEZZNS1_9scan_implILNS1_25lookback_scan_determinismE0ELb0ELb0ES3_N6thrust23THRUST_200600_302600_NS6detail15normal_iteratorINS9_10device_ptrIfEEEENS9_16discard_iteratorINS9_11use_defaultEEEfNS9_4plusIvEEfEEDaPvRmT3_T4_T5_mT6_P12ihipStream_tbENKUlT_T0_E_clISt17integral_constantIbLb0EESW_IbLb1EEEEDaSS_ST_EUlSS_E0_NS1_11comp_targetILNS1_3genE9ELNS1_11target_archE1100ELNS1_3gpuE3ELNS1_3repE0EEENS1_30default_config_static_selectorELNS0_4arch9wavefront6targetE1EEEvT1_, .Lfunc_end5076-_ZN7rocprim17ROCPRIM_400000_NS6detail17trampoline_kernelINS0_14default_configENS1_20scan_config_selectorIfEEZZNS1_9scan_implILNS1_25lookback_scan_determinismE0ELb0ELb0ES3_N6thrust23THRUST_200600_302600_NS6detail15normal_iteratorINS9_10device_ptrIfEEEENS9_16discard_iteratorINS9_11use_defaultEEEfNS9_4plusIvEEfEEDaPvRmT3_T4_T5_mT6_P12ihipStream_tbENKUlT_T0_E_clISt17integral_constantIbLb0EESW_IbLb1EEEEDaSS_ST_EUlSS_E0_NS1_11comp_targetILNS1_3genE9ELNS1_11target_archE1100ELNS1_3gpuE3ELNS1_3repE0EEENS1_30default_config_static_selectorELNS0_4arch9wavefront6targetE1EEEvT1_
                                        ; -- End function
	.section	.AMDGPU.csdata,"",@progbits
; Kernel info:
; codeLenInByte = 0
; NumSgprs: 4
; NumVgprs: 0
; NumAgprs: 0
; TotalNumVgprs: 0
; ScratchSize: 0
; MemoryBound: 0
; FloatMode: 240
; IeeeMode: 1
; LDSByteSize: 0 bytes/workgroup (compile time only)
; SGPRBlocks: 0
; VGPRBlocks: 0
; NumSGPRsForWavesPerEU: 4
; NumVGPRsForWavesPerEU: 1
; AccumOffset: 4
; Occupancy: 8
; WaveLimiterHint : 0
; COMPUTE_PGM_RSRC2:SCRATCH_EN: 0
; COMPUTE_PGM_RSRC2:USER_SGPR: 6
; COMPUTE_PGM_RSRC2:TRAP_HANDLER: 0
; COMPUTE_PGM_RSRC2:TGID_X_EN: 1
; COMPUTE_PGM_RSRC2:TGID_Y_EN: 0
; COMPUTE_PGM_RSRC2:TGID_Z_EN: 0
; COMPUTE_PGM_RSRC2:TIDIG_COMP_CNT: 0
; COMPUTE_PGM_RSRC3_GFX90A:ACCUM_OFFSET: 0
; COMPUTE_PGM_RSRC3_GFX90A:TG_SPLIT: 0
	.section	.text._ZN7rocprim17ROCPRIM_400000_NS6detail17trampoline_kernelINS0_14default_configENS1_20scan_config_selectorIfEEZZNS1_9scan_implILNS1_25lookback_scan_determinismE0ELb0ELb0ES3_N6thrust23THRUST_200600_302600_NS6detail15normal_iteratorINS9_10device_ptrIfEEEENS9_16discard_iteratorINS9_11use_defaultEEEfNS9_4plusIvEEfEEDaPvRmT3_T4_T5_mT6_P12ihipStream_tbENKUlT_T0_E_clISt17integral_constantIbLb0EESW_IbLb1EEEEDaSS_ST_EUlSS_E0_NS1_11comp_targetILNS1_3genE8ELNS1_11target_archE1030ELNS1_3gpuE2ELNS1_3repE0EEENS1_30default_config_static_selectorELNS0_4arch9wavefront6targetE1EEEvT1_,"axG",@progbits,_ZN7rocprim17ROCPRIM_400000_NS6detail17trampoline_kernelINS0_14default_configENS1_20scan_config_selectorIfEEZZNS1_9scan_implILNS1_25lookback_scan_determinismE0ELb0ELb0ES3_N6thrust23THRUST_200600_302600_NS6detail15normal_iteratorINS9_10device_ptrIfEEEENS9_16discard_iteratorINS9_11use_defaultEEEfNS9_4plusIvEEfEEDaPvRmT3_T4_T5_mT6_P12ihipStream_tbENKUlT_T0_E_clISt17integral_constantIbLb0EESW_IbLb1EEEEDaSS_ST_EUlSS_E0_NS1_11comp_targetILNS1_3genE8ELNS1_11target_archE1030ELNS1_3gpuE2ELNS1_3repE0EEENS1_30default_config_static_selectorELNS0_4arch9wavefront6targetE1EEEvT1_,comdat
	.protected	_ZN7rocprim17ROCPRIM_400000_NS6detail17trampoline_kernelINS0_14default_configENS1_20scan_config_selectorIfEEZZNS1_9scan_implILNS1_25lookback_scan_determinismE0ELb0ELb0ES3_N6thrust23THRUST_200600_302600_NS6detail15normal_iteratorINS9_10device_ptrIfEEEENS9_16discard_iteratorINS9_11use_defaultEEEfNS9_4plusIvEEfEEDaPvRmT3_T4_T5_mT6_P12ihipStream_tbENKUlT_T0_E_clISt17integral_constantIbLb0EESW_IbLb1EEEEDaSS_ST_EUlSS_E0_NS1_11comp_targetILNS1_3genE8ELNS1_11target_archE1030ELNS1_3gpuE2ELNS1_3repE0EEENS1_30default_config_static_selectorELNS0_4arch9wavefront6targetE1EEEvT1_ ; -- Begin function _ZN7rocprim17ROCPRIM_400000_NS6detail17trampoline_kernelINS0_14default_configENS1_20scan_config_selectorIfEEZZNS1_9scan_implILNS1_25lookback_scan_determinismE0ELb0ELb0ES3_N6thrust23THRUST_200600_302600_NS6detail15normal_iteratorINS9_10device_ptrIfEEEENS9_16discard_iteratorINS9_11use_defaultEEEfNS9_4plusIvEEfEEDaPvRmT3_T4_T5_mT6_P12ihipStream_tbENKUlT_T0_E_clISt17integral_constantIbLb0EESW_IbLb1EEEEDaSS_ST_EUlSS_E0_NS1_11comp_targetILNS1_3genE8ELNS1_11target_archE1030ELNS1_3gpuE2ELNS1_3repE0EEENS1_30default_config_static_selectorELNS0_4arch9wavefront6targetE1EEEvT1_
	.globl	_ZN7rocprim17ROCPRIM_400000_NS6detail17trampoline_kernelINS0_14default_configENS1_20scan_config_selectorIfEEZZNS1_9scan_implILNS1_25lookback_scan_determinismE0ELb0ELb0ES3_N6thrust23THRUST_200600_302600_NS6detail15normal_iteratorINS9_10device_ptrIfEEEENS9_16discard_iteratorINS9_11use_defaultEEEfNS9_4plusIvEEfEEDaPvRmT3_T4_T5_mT6_P12ihipStream_tbENKUlT_T0_E_clISt17integral_constantIbLb0EESW_IbLb1EEEEDaSS_ST_EUlSS_E0_NS1_11comp_targetILNS1_3genE8ELNS1_11target_archE1030ELNS1_3gpuE2ELNS1_3repE0EEENS1_30default_config_static_selectorELNS0_4arch9wavefront6targetE1EEEvT1_
	.p2align	8
	.type	_ZN7rocprim17ROCPRIM_400000_NS6detail17trampoline_kernelINS0_14default_configENS1_20scan_config_selectorIfEEZZNS1_9scan_implILNS1_25lookback_scan_determinismE0ELb0ELb0ES3_N6thrust23THRUST_200600_302600_NS6detail15normal_iteratorINS9_10device_ptrIfEEEENS9_16discard_iteratorINS9_11use_defaultEEEfNS9_4plusIvEEfEEDaPvRmT3_T4_T5_mT6_P12ihipStream_tbENKUlT_T0_E_clISt17integral_constantIbLb0EESW_IbLb1EEEEDaSS_ST_EUlSS_E0_NS1_11comp_targetILNS1_3genE8ELNS1_11target_archE1030ELNS1_3gpuE2ELNS1_3repE0EEENS1_30default_config_static_selectorELNS0_4arch9wavefront6targetE1EEEvT1_,@function
_ZN7rocprim17ROCPRIM_400000_NS6detail17trampoline_kernelINS0_14default_configENS1_20scan_config_selectorIfEEZZNS1_9scan_implILNS1_25lookback_scan_determinismE0ELb0ELb0ES3_N6thrust23THRUST_200600_302600_NS6detail15normal_iteratorINS9_10device_ptrIfEEEENS9_16discard_iteratorINS9_11use_defaultEEEfNS9_4plusIvEEfEEDaPvRmT3_T4_T5_mT6_P12ihipStream_tbENKUlT_T0_E_clISt17integral_constantIbLb0EESW_IbLb1EEEEDaSS_ST_EUlSS_E0_NS1_11comp_targetILNS1_3genE8ELNS1_11target_archE1030ELNS1_3gpuE2ELNS1_3repE0EEENS1_30default_config_static_selectorELNS0_4arch9wavefront6targetE1EEEvT1_: ; @_ZN7rocprim17ROCPRIM_400000_NS6detail17trampoline_kernelINS0_14default_configENS1_20scan_config_selectorIfEEZZNS1_9scan_implILNS1_25lookback_scan_determinismE0ELb0ELb0ES3_N6thrust23THRUST_200600_302600_NS6detail15normal_iteratorINS9_10device_ptrIfEEEENS9_16discard_iteratorINS9_11use_defaultEEEfNS9_4plusIvEEfEEDaPvRmT3_T4_T5_mT6_P12ihipStream_tbENKUlT_T0_E_clISt17integral_constantIbLb0EESW_IbLb1EEEEDaSS_ST_EUlSS_E0_NS1_11comp_targetILNS1_3genE8ELNS1_11target_archE1030ELNS1_3gpuE2ELNS1_3repE0EEENS1_30default_config_static_selectorELNS0_4arch9wavefront6targetE1EEEvT1_
; %bb.0:
	.section	.rodata,"a",@progbits
	.p2align	6, 0x0
	.amdhsa_kernel _ZN7rocprim17ROCPRIM_400000_NS6detail17trampoline_kernelINS0_14default_configENS1_20scan_config_selectorIfEEZZNS1_9scan_implILNS1_25lookback_scan_determinismE0ELb0ELb0ES3_N6thrust23THRUST_200600_302600_NS6detail15normal_iteratorINS9_10device_ptrIfEEEENS9_16discard_iteratorINS9_11use_defaultEEEfNS9_4plusIvEEfEEDaPvRmT3_T4_T5_mT6_P12ihipStream_tbENKUlT_T0_E_clISt17integral_constantIbLb0EESW_IbLb1EEEEDaSS_ST_EUlSS_E0_NS1_11comp_targetILNS1_3genE8ELNS1_11target_archE1030ELNS1_3gpuE2ELNS1_3repE0EEENS1_30default_config_static_selectorELNS0_4arch9wavefront6targetE1EEEvT1_
		.amdhsa_group_segment_fixed_size 0
		.amdhsa_private_segment_fixed_size 0
		.amdhsa_kernarg_size 40
		.amdhsa_user_sgpr_count 6
		.amdhsa_user_sgpr_private_segment_buffer 1
		.amdhsa_user_sgpr_dispatch_ptr 0
		.amdhsa_user_sgpr_queue_ptr 0
		.amdhsa_user_sgpr_kernarg_segment_ptr 1
		.amdhsa_user_sgpr_dispatch_id 0
		.amdhsa_user_sgpr_flat_scratch_init 0
		.amdhsa_user_sgpr_kernarg_preload_length 0
		.amdhsa_user_sgpr_kernarg_preload_offset 0
		.amdhsa_user_sgpr_private_segment_size 0
		.amdhsa_uses_dynamic_stack 0
		.amdhsa_system_sgpr_private_segment_wavefront_offset 0
		.amdhsa_system_sgpr_workgroup_id_x 1
		.amdhsa_system_sgpr_workgroup_id_y 0
		.amdhsa_system_sgpr_workgroup_id_z 0
		.amdhsa_system_sgpr_workgroup_info 0
		.amdhsa_system_vgpr_workitem_id 0
		.amdhsa_next_free_vgpr 1
		.amdhsa_next_free_sgpr 0
		.amdhsa_accum_offset 4
		.amdhsa_reserve_vcc 0
		.amdhsa_reserve_flat_scratch 0
		.amdhsa_float_round_mode_32 0
		.amdhsa_float_round_mode_16_64 0
		.amdhsa_float_denorm_mode_32 3
		.amdhsa_float_denorm_mode_16_64 3
		.amdhsa_dx10_clamp 1
		.amdhsa_ieee_mode 1
		.amdhsa_fp16_overflow 0
		.amdhsa_tg_split 0
		.amdhsa_exception_fp_ieee_invalid_op 0
		.amdhsa_exception_fp_denorm_src 0
		.amdhsa_exception_fp_ieee_div_zero 0
		.amdhsa_exception_fp_ieee_overflow 0
		.amdhsa_exception_fp_ieee_underflow 0
		.amdhsa_exception_fp_ieee_inexact 0
		.amdhsa_exception_int_div_zero 0
	.end_amdhsa_kernel
	.section	.text._ZN7rocprim17ROCPRIM_400000_NS6detail17trampoline_kernelINS0_14default_configENS1_20scan_config_selectorIfEEZZNS1_9scan_implILNS1_25lookback_scan_determinismE0ELb0ELb0ES3_N6thrust23THRUST_200600_302600_NS6detail15normal_iteratorINS9_10device_ptrIfEEEENS9_16discard_iteratorINS9_11use_defaultEEEfNS9_4plusIvEEfEEDaPvRmT3_T4_T5_mT6_P12ihipStream_tbENKUlT_T0_E_clISt17integral_constantIbLb0EESW_IbLb1EEEEDaSS_ST_EUlSS_E0_NS1_11comp_targetILNS1_3genE8ELNS1_11target_archE1030ELNS1_3gpuE2ELNS1_3repE0EEENS1_30default_config_static_selectorELNS0_4arch9wavefront6targetE1EEEvT1_,"axG",@progbits,_ZN7rocprim17ROCPRIM_400000_NS6detail17trampoline_kernelINS0_14default_configENS1_20scan_config_selectorIfEEZZNS1_9scan_implILNS1_25lookback_scan_determinismE0ELb0ELb0ES3_N6thrust23THRUST_200600_302600_NS6detail15normal_iteratorINS9_10device_ptrIfEEEENS9_16discard_iteratorINS9_11use_defaultEEEfNS9_4plusIvEEfEEDaPvRmT3_T4_T5_mT6_P12ihipStream_tbENKUlT_T0_E_clISt17integral_constantIbLb0EESW_IbLb1EEEEDaSS_ST_EUlSS_E0_NS1_11comp_targetILNS1_3genE8ELNS1_11target_archE1030ELNS1_3gpuE2ELNS1_3repE0EEENS1_30default_config_static_selectorELNS0_4arch9wavefront6targetE1EEEvT1_,comdat
.Lfunc_end5077:
	.size	_ZN7rocprim17ROCPRIM_400000_NS6detail17trampoline_kernelINS0_14default_configENS1_20scan_config_selectorIfEEZZNS1_9scan_implILNS1_25lookback_scan_determinismE0ELb0ELb0ES3_N6thrust23THRUST_200600_302600_NS6detail15normal_iteratorINS9_10device_ptrIfEEEENS9_16discard_iteratorINS9_11use_defaultEEEfNS9_4plusIvEEfEEDaPvRmT3_T4_T5_mT6_P12ihipStream_tbENKUlT_T0_E_clISt17integral_constantIbLb0EESW_IbLb1EEEEDaSS_ST_EUlSS_E0_NS1_11comp_targetILNS1_3genE8ELNS1_11target_archE1030ELNS1_3gpuE2ELNS1_3repE0EEENS1_30default_config_static_selectorELNS0_4arch9wavefront6targetE1EEEvT1_, .Lfunc_end5077-_ZN7rocprim17ROCPRIM_400000_NS6detail17trampoline_kernelINS0_14default_configENS1_20scan_config_selectorIfEEZZNS1_9scan_implILNS1_25lookback_scan_determinismE0ELb0ELb0ES3_N6thrust23THRUST_200600_302600_NS6detail15normal_iteratorINS9_10device_ptrIfEEEENS9_16discard_iteratorINS9_11use_defaultEEEfNS9_4plusIvEEfEEDaPvRmT3_T4_T5_mT6_P12ihipStream_tbENKUlT_T0_E_clISt17integral_constantIbLb0EESW_IbLb1EEEEDaSS_ST_EUlSS_E0_NS1_11comp_targetILNS1_3genE8ELNS1_11target_archE1030ELNS1_3gpuE2ELNS1_3repE0EEENS1_30default_config_static_selectorELNS0_4arch9wavefront6targetE1EEEvT1_
                                        ; -- End function
	.section	.AMDGPU.csdata,"",@progbits
; Kernel info:
; codeLenInByte = 0
; NumSgprs: 4
; NumVgprs: 0
; NumAgprs: 0
; TotalNumVgprs: 0
; ScratchSize: 0
; MemoryBound: 0
; FloatMode: 240
; IeeeMode: 1
; LDSByteSize: 0 bytes/workgroup (compile time only)
; SGPRBlocks: 0
; VGPRBlocks: 0
; NumSGPRsForWavesPerEU: 4
; NumVGPRsForWavesPerEU: 1
; AccumOffset: 4
; Occupancy: 8
; WaveLimiterHint : 0
; COMPUTE_PGM_RSRC2:SCRATCH_EN: 0
; COMPUTE_PGM_RSRC2:USER_SGPR: 6
; COMPUTE_PGM_RSRC2:TRAP_HANDLER: 0
; COMPUTE_PGM_RSRC2:TGID_X_EN: 1
; COMPUTE_PGM_RSRC2:TGID_Y_EN: 0
; COMPUTE_PGM_RSRC2:TGID_Z_EN: 0
; COMPUTE_PGM_RSRC2:TIDIG_COMP_CNT: 0
; COMPUTE_PGM_RSRC3_GFX90A:ACCUM_OFFSET: 0
; COMPUTE_PGM_RSRC3_GFX90A:TG_SPLIT: 0
	.section	.text._ZN7rocprim17ROCPRIM_400000_NS6detail17trampoline_kernelINS0_14default_configENS1_20scan_config_selectorIfEEZZNS1_9scan_implILNS1_25lookback_scan_determinismE0ELb1ELb1ES3_N6thrust23THRUST_200600_302600_NS6detail15normal_iteratorINS9_10device_ptrIfEEEENS9_16discard_iteratorINS9_11use_defaultEEEfNS9_4plusIvEEfEEDaPvRmT3_T4_T5_mT6_P12ihipStream_tbENKUlT_T0_E_clISt17integral_constantIbLb0EESX_EEDaSS_ST_EUlSS_E_NS1_11comp_targetILNS1_3genE0ELNS1_11target_archE4294967295ELNS1_3gpuE0ELNS1_3repE0EEENS1_30default_config_static_selectorELNS0_4arch9wavefront6targetE1EEEvT1_,"axG",@progbits,_ZN7rocprim17ROCPRIM_400000_NS6detail17trampoline_kernelINS0_14default_configENS1_20scan_config_selectorIfEEZZNS1_9scan_implILNS1_25lookback_scan_determinismE0ELb1ELb1ES3_N6thrust23THRUST_200600_302600_NS6detail15normal_iteratorINS9_10device_ptrIfEEEENS9_16discard_iteratorINS9_11use_defaultEEEfNS9_4plusIvEEfEEDaPvRmT3_T4_T5_mT6_P12ihipStream_tbENKUlT_T0_E_clISt17integral_constantIbLb0EESX_EEDaSS_ST_EUlSS_E_NS1_11comp_targetILNS1_3genE0ELNS1_11target_archE4294967295ELNS1_3gpuE0ELNS1_3repE0EEENS1_30default_config_static_selectorELNS0_4arch9wavefront6targetE1EEEvT1_,comdat
	.protected	_ZN7rocprim17ROCPRIM_400000_NS6detail17trampoline_kernelINS0_14default_configENS1_20scan_config_selectorIfEEZZNS1_9scan_implILNS1_25lookback_scan_determinismE0ELb1ELb1ES3_N6thrust23THRUST_200600_302600_NS6detail15normal_iteratorINS9_10device_ptrIfEEEENS9_16discard_iteratorINS9_11use_defaultEEEfNS9_4plusIvEEfEEDaPvRmT3_T4_T5_mT6_P12ihipStream_tbENKUlT_T0_E_clISt17integral_constantIbLb0EESX_EEDaSS_ST_EUlSS_E_NS1_11comp_targetILNS1_3genE0ELNS1_11target_archE4294967295ELNS1_3gpuE0ELNS1_3repE0EEENS1_30default_config_static_selectorELNS0_4arch9wavefront6targetE1EEEvT1_ ; -- Begin function _ZN7rocprim17ROCPRIM_400000_NS6detail17trampoline_kernelINS0_14default_configENS1_20scan_config_selectorIfEEZZNS1_9scan_implILNS1_25lookback_scan_determinismE0ELb1ELb1ES3_N6thrust23THRUST_200600_302600_NS6detail15normal_iteratorINS9_10device_ptrIfEEEENS9_16discard_iteratorINS9_11use_defaultEEEfNS9_4plusIvEEfEEDaPvRmT3_T4_T5_mT6_P12ihipStream_tbENKUlT_T0_E_clISt17integral_constantIbLb0EESX_EEDaSS_ST_EUlSS_E_NS1_11comp_targetILNS1_3genE0ELNS1_11target_archE4294967295ELNS1_3gpuE0ELNS1_3repE0EEENS1_30default_config_static_selectorELNS0_4arch9wavefront6targetE1EEEvT1_
	.globl	_ZN7rocprim17ROCPRIM_400000_NS6detail17trampoline_kernelINS0_14default_configENS1_20scan_config_selectorIfEEZZNS1_9scan_implILNS1_25lookback_scan_determinismE0ELb1ELb1ES3_N6thrust23THRUST_200600_302600_NS6detail15normal_iteratorINS9_10device_ptrIfEEEENS9_16discard_iteratorINS9_11use_defaultEEEfNS9_4plusIvEEfEEDaPvRmT3_T4_T5_mT6_P12ihipStream_tbENKUlT_T0_E_clISt17integral_constantIbLb0EESX_EEDaSS_ST_EUlSS_E_NS1_11comp_targetILNS1_3genE0ELNS1_11target_archE4294967295ELNS1_3gpuE0ELNS1_3repE0EEENS1_30default_config_static_selectorELNS0_4arch9wavefront6targetE1EEEvT1_
	.p2align	8
	.type	_ZN7rocprim17ROCPRIM_400000_NS6detail17trampoline_kernelINS0_14default_configENS1_20scan_config_selectorIfEEZZNS1_9scan_implILNS1_25lookback_scan_determinismE0ELb1ELb1ES3_N6thrust23THRUST_200600_302600_NS6detail15normal_iteratorINS9_10device_ptrIfEEEENS9_16discard_iteratorINS9_11use_defaultEEEfNS9_4plusIvEEfEEDaPvRmT3_T4_T5_mT6_P12ihipStream_tbENKUlT_T0_E_clISt17integral_constantIbLb0EESX_EEDaSS_ST_EUlSS_E_NS1_11comp_targetILNS1_3genE0ELNS1_11target_archE4294967295ELNS1_3gpuE0ELNS1_3repE0EEENS1_30default_config_static_selectorELNS0_4arch9wavefront6targetE1EEEvT1_,@function
_ZN7rocprim17ROCPRIM_400000_NS6detail17trampoline_kernelINS0_14default_configENS1_20scan_config_selectorIfEEZZNS1_9scan_implILNS1_25lookback_scan_determinismE0ELb1ELb1ES3_N6thrust23THRUST_200600_302600_NS6detail15normal_iteratorINS9_10device_ptrIfEEEENS9_16discard_iteratorINS9_11use_defaultEEEfNS9_4plusIvEEfEEDaPvRmT3_T4_T5_mT6_P12ihipStream_tbENKUlT_T0_E_clISt17integral_constantIbLb0EESX_EEDaSS_ST_EUlSS_E_NS1_11comp_targetILNS1_3genE0ELNS1_11target_archE4294967295ELNS1_3gpuE0ELNS1_3repE0EEENS1_30default_config_static_selectorELNS0_4arch9wavefront6targetE1EEEvT1_: ; @_ZN7rocprim17ROCPRIM_400000_NS6detail17trampoline_kernelINS0_14default_configENS1_20scan_config_selectorIfEEZZNS1_9scan_implILNS1_25lookback_scan_determinismE0ELb1ELb1ES3_N6thrust23THRUST_200600_302600_NS6detail15normal_iteratorINS9_10device_ptrIfEEEENS9_16discard_iteratorINS9_11use_defaultEEEfNS9_4plusIvEEfEEDaPvRmT3_T4_T5_mT6_P12ihipStream_tbENKUlT_T0_E_clISt17integral_constantIbLb0EESX_EEDaSS_ST_EUlSS_E_NS1_11comp_targetILNS1_3genE0ELNS1_11target_archE4294967295ELNS1_3gpuE0ELNS1_3repE0EEENS1_30default_config_static_selectorELNS0_4arch9wavefront6targetE1EEEvT1_
; %bb.0:
	.section	.rodata,"a",@progbits
	.p2align	6, 0x0
	.amdhsa_kernel _ZN7rocprim17ROCPRIM_400000_NS6detail17trampoline_kernelINS0_14default_configENS1_20scan_config_selectorIfEEZZNS1_9scan_implILNS1_25lookback_scan_determinismE0ELb1ELb1ES3_N6thrust23THRUST_200600_302600_NS6detail15normal_iteratorINS9_10device_ptrIfEEEENS9_16discard_iteratorINS9_11use_defaultEEEfNS9_4plusIvEEfEEDaPvRmT3_T4_T5_mT6_P12ihipStream_tbENKUlT_T0_E_clISt17integral_constantIbLb0EESX_EEDaSS_ST_EUlSS_E_NS1_11comp_targetILNS1_3genE0ELNS1_11target_archE4294967295ELNS1_3gpuE0ELNS1_3repE0EEENS1_30default_config_static_selectorELNS0_4arch9wavefront6targetE1EEEvT1_
		.amdhsa_group_segment_fixed_size 0
		.amdhsa_private_segment_fixed_size 0
		.amdhsa_kernarg_size 104
		.amdhsa_user_sgpr_count 6
		.amdhsa_user_sgpr_private_segment_buffer 1
		.amdhsa_user_sgpr_dispatch_ptr 0
		.amdhsa_user_sgpr_queue_ptr 0
		.amdhsa_user_sgpr_kernarg_segment_ptr 1
		.amdhsa_user_sgpr_dispatch_id 0
		.amdhsa_user_sgpr_flat_scratch_init 0
		.amdhsa_user_sgpr_kernarg_preload_length 0
		.amdhsa_user_sgpr_kernarg_preload_offset 0
		.amdhsa_user_sgpr_private_segment_size 0
		.amdhsa_uses_dynamic_stack 0
		.amdhsa_system_sgpr_private_segment_wavefront_offset 0
		.amdhsa_system_sgpr_workgroup_id_x 1
		.amdhsa_system_sgpr_workgroup_id_y 0
		.amdhsa_system_sgpr_workgroup_id_z 0
		.amdhsa_system_sgpr_workgroup_info 0
		.amdhsa_system_vgpr_workitem_id 0
		.amdhsa_next_free_vgpr 1
		.amdhsa_next_free_sgpr 0
		.amdhsa_accum_offset 4
		.amdhsa_reserve_vcc 0
		.amdhsa_reserve_flat_scratch 0
		.amdhsa_float_round_mode_32 0
		.amdhsa_float_round_mode_16_64 0
		.amdhsa_float_denorm_mode_32 3
		.amdhsa_float_denorm_mode_16_64 3
		.amdhsa_dx10_clamp 1
		.amdhsa_ieee_mode 1
		.amdhsa_fp16_overflow 0
		.amdhsa_tg_split 0
		.amdhsa_exception_fp_ieee_invalid_op 0
		.amdhsa_exception_fp_denorm_src 0
		.amdhsa_exception_fp_ieee_div_zero 0
		.amdhsa_exception_fp_ieee_overflow 0
		.amdhsa_exception_fp_ieee_underflow 0
		.amdhsa_exception_fp_ieee_inexact 0
		.amdhsa_exception_int_div_zero 0
	.end_amdhsa_kernel
	.section	.text._ZN7rocprim17ROCPRIM_400000_NS6detail17trampoline_kernelINS0_14default_configENS1_20scan_config_selectorIfEEZZNS1_9scan_implILNS1_25lookback_scan_determinismE0ELb1ELb1ES3_N6thrust23THRUST_200600_302600_NS6detail15normal_iteratorINS9_10device_ptrIfEEEENS9_16discard_iteratorINS9_11use_defaultEEEfNS9_4plusIvEEfEEDaPvRmT3_T4_T5_mT6_P12ihipStream_tbENKUlT_T0_E_clISt17integral_constantIbLb0EESX_EEDaSS_ST_EUlSS_E_NS1_11comp_targetILNS1_3genE0ELNS1_11target_archE4294967295ELNS1_3gpuE0ELNS1_3repE0EEENS1_30default_config_static_selectorELNS0_4arch9wavefront6targetE1EEEvT1_,"axG",@progbits,_ZN7rocprim17ROCPRIM_400000_NS6detail17trampoline_kernelINS0_14default_configENS1_20scan_config_selectorIfEEZZNS1_9scan_implILNS1_25lookback_scan_determinismE0ELb1ELb1ES3_N6thrust23THRUST_200600_302600_NS6detail15normal_iteratorINS9_10device_ptrIfEEEENS9_16discard_iteratorINS9_11use_defaultEEEfNS9_4plusIvEEfEEDaPvRmT3_T4_T5_mT6_P12ihipStream_tbENKUlT_T0_E_clISt17integral_constantIbLb0EESX_EEDaSS_ST_EUlSS_E_NS1_11comp_targetILNS1_3genE0ELNS1_11target_archE4294967295ELNS1_3gpuE0ELNS1_3repE0EEENS1_30default_config_static_selectorELNS0_4arch9wavefront6targetE1EEEvT1_,comdat
.Lfunc_end5078:
	.size	_ZN7rocprim17ROCPRIM_400000_NS6detail17trampoline_kernelINS0_14default_configENS1_20scan_config_selectorIfEEZZNS1_9scan_implILNS1_25lookback_scan_determinismE0ELb1ELb1ES3_N6thrust23THRUST_200600_302600_NS6detail15normal_iteratorINS9_10device_ptrIfEEEENS9_16discard_iteratorINS9_11use_defaultEEEfNS9_4plusIvEEfEEDaPvRmT3_T4_T5_mT6_P12ihipStream_tbENKUlT_T0_E_clISt17integral_constantIbLb0EESX_EEDaSS_ST_EUlSS_E_NS1_11comp_targetILNS1_3genE0ELNS1_11target_archE4294967295ELNS1_3gpuE0ELNS1_3repE0EEENS1_30default_config_static_selectorELNS0_4arch9wavefront6targetE1EEEvT1_, .Lfunc_end5078-_ZN7rocprim17ROCPRIM_400000_NS6detail17trampoline_kernelINS0_14default_configENS1_20scan_config_selectorIfEEZZNS1_9scan_implILNS1_25lookback_scan_determinismE0ELb1ELb1ES3_N6thrust23THRUST_200600_302600_NS6detail15normal_iteratorINS9_10device_ptrIfEEEENS9_16discard_iteratorINS9_11use_defaultEEEfNS9_4plusIvEEfEEDaPvRmT3_T4_T5_mT6_P12ihipStream_tbENKUlT_T0_E_clISt17integral_constantIbLb0EESX_EEDaSS_ST_EUlSS_E_NS1_11comp_targetILNS1_3genE0ELNS1_11target_archE4294967295ELNS1_3gpuE0ELNS1_3repE0EEENS1_30default_config_static_selectorELNS0_4arch9wavefront6targetE1EEEvT1_
                                        ; -- End function
	.section	.AMDGPU.csdata,"",@progbits
; Kernel info:
; codeLenInByte = 0
; NumSgprs: 4
; NumVgprs: 0
; NumAgprs: 0
; TotalNumVgprs: 0
; ScratchSize: 0
; MemoryBound: 0
; FloatMode: 240
; IeeeMode: 1
; LDSByteSize: 0 bytes/workgroup (compile time only)
; SGPRBlocks: 0
; VGPRBlocks: 0
; NumSGPRsForWavesPerEU: 4
; NumVGPRsForWavesPerEU: 1
; AccumOffset: 4
; Occupancy: 8
; WaveLimiterHint : 0
; COMPUTE_PGM_RSRC2:SCRATCH_EN: 0
; COMPUTE_PGM_RSRC2:USER_SGPR: 6
; COMPUTE_PGM_RSRC2:TRAP_HANDLER: 0
; COMPUTE_PGM_RSRC2:TGID_X_EN: 1
; COMPUTE_PGM_RSRC2:TGID_Y_EN: 0
; COMPUTE_PGM_RSRC2:TGID_Z_EN: 0
; COMPUTE_PGM_RSRC2:TIDIG_COMP_CNT: 0
; COMPUTE_PGM_RSRC3_GFX90A:ACCUM_OFFSET: 0
; COMPUTE_PGM_RSRC3_GFX90A:TG_SPLIT: 0
	.section	.text._ZN7rocprim17ROCPRIM_400000_NS6detail17trampoline_kernelINS0_14default_configENS1_20scan_config_selectorIfEEZZNS1_9scan_implILNS1_25lookback_scan_determinismE0ELb1ELb1ES3_N6thrust23THRUST_200600_302600_NS6detail15normal_iteratorINS9_10device_ptrIfEEEENS9_16discard_iteratorINS9_11use_defaultEEEfNS9_4plusIvEEfEEDaPvRmT3_T4_T5_mT6_P12ihipStream_tbENKUlT_T0_E_clISt17integral_constantIbLb0EESX_EEDaSS_ST_EUlSS_E_NS1_11comp_targetILNS1_3genE5ELNS1_11target_archE942ELNS1_3gpuE9ELNS1_3repE0EEENS1_30default_config_static_selectorELNS0_4arch9wavefront6targetE1EEEvT1_,"axG",@progbits,_ZN7rocprim17ROCPRIM_400000_NS6detail17trampoline_kernelINS0_14default_configENS1_20scan_config_selectorIfEEZZNS1_9scan_implILNS1_25lookback_scan_determinismE0ELb1ELb1ES3_N6thrust23THRUST_200600_302600_NS6detail15normal_iteratorINS9_10device_ptrIfEEEENS9_16discard_iteratorINS9_11use_defaultEEEfNS9_4plusIvEEfEEDaPvRmT3_T4_T5_mT6_P12ihipStream_tbENKUlT_T0_E_clISt17integral_constantIbLb0EESX_EEDaSS_ST_EUlSS_E_NS1_11comp_targetILNS1_3genE5ELNS1_11target_archE942ELNS1_3gpuE9ELNS1_3repE0EEENS1_30default_config_static_selectorELNS0_4arch9wavefront6targetE1EEEvT1_,comdat
	.protected	_ZN7rocprim17ROCPRIM_400000_NS6detail17trampoline_kernelINS0_14default_configENS1_20scan_config_selectorIfEEZZNS1_9scan_implILNS1_25lookback_scan_determinismE0ELb1ELb1ES3_N6thrust23THRUST_200600_302600_NS6detail15normal_iteratorINS9_10device_ptrIfEEEENS9_16discard_iteratorINS9_11use_defaultEEEfNS9_4plusIvEEfEEDaPvRmT3_T4_T5_mT6_P12ihipStream_tbENKUlT_T0_E_clISt17integral_constantIbLb0EESX_EEDaSS_ST_EUlSS_E_NS1_11comp_targetILNS1_3genE5ELNS1_11target_archE942ELNS1_3gpuE9ELNS1_3repE0EEENS1_30default_config_static_selectorELNS0_4arch9wavefront6targetE1EEEvT1_ ; -- Begin function _ZN7rocprim17ROCPRIM_400000_NS6detail17trampoline_kernelINS0_14default_configENS1_20scan_config_selectorIfEEZZNS1_9scan_implILNS1_25lookback_scan_determinismE0ELb1ELb1ES3_N6thrust23THRUST_200600_302600_NS6detail15normal_iteratorINS9_10device_ptrIfEEEENS9_16discard_iteratorINS9_11use_defaultEEEfNS9_4plusIvEEfEEDaPvRmT3_T4_T5_mT6_P12ihipStream_tbENKUlT_T0_E_clISt17integral_constantIbLb0EESX_EEDaSS_ST_EUlSS_E_NS1_11comp_targetILNS1_3genE5ELNS1_11target_archE942ELNS1_3gpuE9ELNS1_3repE0EEENS1_30default_config_static_selectorELNS0_4arch9wavefront6targetE1EEEvT1_
	.globl	_ZN7rocprim17ROCPRIM_400000_NS6detail17trampoline_kernelINS0_14default_configENS1_20scan_config_selectorIfEEZZNS1_9scan_implILNS1_25lookback_scan_determinismE0ELb1ELb1ES3_N6thrust23THRUST_200600_302600_NS6detail15normal_iteratorINS9_10device_ptrIfEEEENS9_16discard_iteratorINS9_11use_defaultEEEfNS9_4plusIvEEfEEDaPvRmT3_T4_T5_mT6_P12ihipStream_tbENKUlT_T0_E_clISt17integral_constantIbLb0EESX_EEDaSS_ST_EUlSS_E_NS1_11comp_targetILNS1_3genE5ELNS1_11target_archE942ELNS1_3gpuE9ELNS1_3repE0EEENS1_30default_config_static_selectorELNS0_4arch9wavefront6targetE1EEEvT1_
	.p2align	8
	.type	_ZN7rocprim17ROCPRIM_400000_NS6detail17trampoline_kernelINS0_14default_configENS1_20scan_config_selectorIfEEZZNS1_9scan_implILNS1_25lookback_scan_determinismE0ELb1ELb1ES3_N6thrust23THRUST_200600_302600_NS6detail15normal_iteratorINS9_10device_ptrIfEEEENS9_16discard_iteratorINS9_11use_defaultEEEfNS9_4plusIvEEfEEDaPvRmT3_T4_T5_mT6_P12ihipStream_tbENKUlT_T0_E_clISt17integral_constantIbLb0EESX_EEDaSS_ST_EUlSS_E_NS1_11comp_targetILNS1_3genE5ELNS1_11target_archE942ELNS1_3gpuE9ELNS1_3repE0EEENS1_30default_config_static_selectorELNS0_4arch9wavefront6targetE1EEEvT1_,@function
_ZN7rocprim17ROCPRIM_400000_NS6detail17trampoline_kernelINS0_14default_configENS1_20scan_config_selectorIfEEZZNS1_9scan_implILNS1_25lookback_scan_determinismE0ELb1ELb1ES3_N6thrust23THRUST_200600_302600_NS6detail15normal_iteratorINS9_10device_ptrIfEEEENS9_16discard_iteratorINS9_11use_defaultEEEfNS9_4plusIvEEfEEDaPvRmT3_T4_T5_mT6_P12ihipStream_tbENKUlT_T0_E_clISt17integral_constantIbLb0EESX_EEDaSS_ST_EUlSS_E_NS1_11comp_targetILNS1_3genE5ELNS1_11target_archE942ELNS1_3gpuE9ELNS1_3repE0EEENS1_30default_config_static_selectorELNS0_4arch9wavefront6targetE1EEEvT1_: ; @_ZN7rocprim17ROCPRIM_400000_NS6detail17trampoline_kernelINS0_14default_configENS1_20scan_config_selectorIfEEZZNS1_9scan_implILNS1_25lookback_scan_determinismE0ELb1ELb1ES3_N6thrust23THRUST_200600_302600_NS6detail15normal_iteratorINS9_10device_ptrIfEEEENS9_16discard_iteratorINS9_11use_defaultEEEfNS9_4plusIvEEfEEDaPvRmT3_T4_T5_mT6_P12ihipStream_tbENKUlT_T0_E_clISt17integral_constantIbLb0EESX_EEDaSS_ST_EUlSS_E_NS1_11comp_targetILNS1_3genE5ELNS1_11target_archE942ELNS1_3gpuE9ELNS1_3repE0EEENS1_30default_config_static_selectorELNS0_4arch9wavefront6targetE1EEEvT1_
; %bb.0:
	.section	.rodata,"a",@progbits
	.p2align	6, 0x0
	.amdhsa_kernel _ZN7rocprim17ROCPRIM_400000_NS6detail17trampoline_kernelINS0_14default_configENS1_20scan_config_selectorIfEEZZNS1_9scan_implILNS1_25lookback_scan_determinismE0ELb1ELb1ES3_N6thrust23THRUST_200600_302600_NS6detail15normal_iteratorINS9_10device_ptrIfEEEENS9_16discard_iteratorINS9_11use_defaultEEEfNS9_4plusIvEEfEEDaPvRmT3_T4_T5_mT6_P12ihipStream_tbENKUlT_T0_E_clISt17integral_constantIbLb0EESX_EEDaSS_ST_EUlSS_E_NS1_11comp_targetILNS1_3genE5ELNS1_11target_archE942ELNS1_3gpuE9ELNS1_3repE0EEENS1_30default_config_static_selectorELNS0_4arch9wavefront6targetE1EEEvT1_
		.amdhsa_group_segment_fixed_size 0
		.amdhsa_private_segment_fixed_size 0
		.amdhsa_kernarg_size 104
		.amdhsa_user_sgpr_count 6
		.amdhsa_user_sgpr_private_segment_buffer 1
		.amdhsa_user_sgpr_dispatch_ptr 0
		.amdhsa_user_sgpr_queue_ptr 0
		.amdhsa_user_sgpr_kernarg_segment_ptr 1
		.amdhsa_user_sgpr_dispatch_id 0
		.amdhsa_user_sgpr_flat_scratch_init 0
		.amdhsa_user_sgpr_kernarg_preload_length 0
		.amdhsa_user_sgpr_kernarg_preload_offset 0
		.amdhsa_user_sgpr_private_segment_size 0
		.amdhsa_uses_dynamic_stack 0
		.amdhsa_system_sgpr_private_segment_wavefront_offset 0
		.amdhsa_system_sgpr_workgroup_id_x 1
		.amdhsa_system_sgpr_workgroup_id_y 0
		.amdhsa_system_sgpr_workgroup_id_z 0
		.amdhsa_system_sgpr_workgroup_info 0
		.amdhsa_system_vgpr_workitem_id 0
		.amdhsa_next_free_vgpr 1
		.amdhsa_next_free_sgpr 0
		.amdhsa_accum_offset 4
		.amdhsa_reserve_vcc 0
		.amdhsa_reserve_flat_scratch 0
		.amdhsa_float_round_mode_32 0
		.amdhsa_float_round_mode_16_64 0
		.amdhsa_float_denorm_mode_32 3
		.amdhsa_float_denorm_mode_16_64 3
		.amdhsa_dx10_clamp 1
		.amdhsa_ieee_mode 1
		.amdhsa_fp16_overflow 0
		.amdhsa_tg_split 0
		.amdhsa_exception_fp_ieee_invalid_op 0
		.amdhsa_exception_fp_denorm_src 0
		.amdhsa_exception_fp_ieee_div_zero 0
		.amdhsa_exception_fp_ieee_overflow 0
		.amdhsa_exception_fp_ieee_underflow 0
		.amdhsa_exception_fp_ieee_inexact 0
		.amdhsa_exception_int_div_zero 0
	.end_amdhsa_kernel
	.section	.text._ZN7rocprim17ROCPRIM_400000_NS6detail17trampoline_kernelINS0_14default_configENS1_20scan_config_selectorIfEEZZNS1_9scan_implILNS1_25lookback_scan_determinismE0ELb1ELb1ES3_N6thrust23THRUST_200600_302600_NS6detail15normal_iteratorINS9_10device_ptrIfEEEENS9_16discard_iteratorINS9_11use_defaultEEEfNS9_4plusIvEEfEEDaPvRmT3_T4_T5_mT6_P12ihipStream_tbENKUlT_T0_E_clISt17integral_constantIbLb0EESX_EEDaSS_ST_EUlSS_E_NS1_11comp_targetILNS1_3genE5ELNS1_11target_archE942ELNS1_3gpuE9ELNS1_3repE0EEENS1_30default_config_static_selectorELNS0_4arch9wavefront6targetE1EEEvT1_,"axG",@progbits,_ZN7rocprim17ROCPRIM_400000_NS6detail17trampoline_kernelINS0_14default_configENS1_20scan_config_selectorIfEEZZNS1_9scan_implILNS1_25lookback_scan_determinismE0ELb1ELb1ES3_N6thrust23THRUST_200600_302600_NS6detail15normal_iteratorINS9_10device_ptrIfEEEENS9_16discard_iteratorINS9_11use_defaultEEEfNS9_4plusIvEEfEEDaPvRmT3_T4_T5_mT6_P12ihipStream_tbENKUlT_T0_E_clISt17integral_constantIbLb0EESX_EEDaSS_ST_EUlSS_E_NS1_11comp_targetILNS1_3genE5ELNS1_11target_archE942ELNS1_3gpuE9ELNS1_3repE0EEENS1_30default_config_static_selectorELNS0_4arch9wavefront6targetE1EEEvT1_,comdat
.Lfunc_end5079:
	.size	_ZN7rocprim17ROCPRIM_400000_NS6detail17trampoline_kernelINS0_14default_configENS1_20scan_config_selectorIfEEZZNS1_9scan_implILNS1_25lookback_scan_determinismE0ELb1ELb1ES3_N6thrust23THRUST_200600_302600_NS6detail15normal_iteratorINS9_10device_ptrIfEEEENS9_16discard_iteratorINS9_11use_defaultEEEfNS9_4plusIvEEfEEDaPvRmT3_T4_T5_mT6_P12ihipStream_tbENKUlT_T0_E_clISt17integral_constantIbLb0EESX_EEDaSS_ST_EUlSS_E_NS1_11comp_targetILNS1_3genE5ELNS1_11target_archE942ELNS1_3gpuE9ELNS1_3repE0EEENS1_30default_config_static_selectorELNS0_4arch9wavefront6targetE1EEEvT1_, .Lfunc_end5079-_ZN7rocprim17ROCPRIM_400000_NS6detail17trampoline_kernelINS0_14default_configENS1_20scan_config_selectorIfEEZZNS1_9scan_implILNS1_25lookback_scan_determinismE0ELb1ELb1ES3_N6thrust23THRUST_200600_302600_NS6detail15normal_iteratorINS9_10device_ptrIfEEEENS9_16discard_iteratorINS9_11use_defaultEEEfNS9_4plusIvEEfEEDaPvRmT3_T4_T5_mT6_P12ihipStream_tbENKUlT_T0_E_clISt17integral_constantIbLb0EESX_EEDaSS_ST_EUlSS_E_NS1_11comp_targetILNS1_3genE5ELNS1_11target_archE942ELNS1_3gpuE9ELNS1_3repE0EEENS1_30default_config_static_selectorELNS0_4arch9wavefront6targetE1EEEvT1_
                                        ; -- End function
	.section	.AMDGPU.csdata,"",@progbits
; Kernel info:
; codeLenInByte = 0
; NumSgprs: 4
; NumVgprs: 0
; NumAgprs: 0
; TotalNumVgprs: 0
; ScratchSize: 0
; MemoryBound: 0
; FloatMode: 240
; IeeeMode: 1
; LDSByteSize: 0 bytes/workgroup (compile time only)
; SGPRBlocks: 0
; VGPRBlocks: 0
; NumSGPRsForWavesPerEU: 4
; NumVGPRsForWavesPerEU: 1
; AccumOffset: 4
; Occupancy: 8
; WaveLimiterHint : 0
; COMPUTE_PGM_RSRC2:SCRATCH_EN: 0
; COMPUTE_PGM_RSRC2:USER_SGPR: 6
; COMPUTE_PGM_RSRC2:TRAP_HANDLER: 0
; COMPUTE_PGM_RSRC2:TGID_X_EN: 1
; COMPUTE_PGM_RSRC2:TGID_Y_EN: 0
; COMPUTE_PGM_RSRC2:TGID_Z_EN: 0
; COMPUTE_PGM_RSRC2:TIDIG_COMP_CNT: 0
; COMPUTE_PGM_RSRC3_GFX90A:ACCUM_OFFSET: 0
; COMPUTE_PGM_RSRC3_GFX90A:TG_SPLIT: 0
	.section	.text._ZN7rocprim17ROCPRIM_400000_NS6detail17trampoline_kernelINS0_14default_configENS1_20scan_config_selectorIfEEZZNS1_9scan_implILNS1_25lookback_scan_determinismE0ELb1ELb1ES3_N6thrust23THRUST_200600_302600_NS6detail15normal_iteratorINS9_10device_ptrIfEEEENS9_16discard_iteratorINS9_11use_defaultEEEfNS9_4plusIvEEfEEDaPvRmT3_T4_T5_mT6_P12ihipStream_tbENKUlT_T0_E_clISt17integral_constantIbLb0EESX_EEDaSS_ST_EUlSS_E_NS1_11comp_targetILNS1_3genE4ELNS1_11target_archE910ELNS1_3gpuE8ELNS1_3repE0EEENS1_30default_config_static_selectorELNS0_4arch9wavefront6targetE1EEEvT1_,"axG",@progbits,_ZN7rocprim17ROCPRIM_400000_NS6detail17trampoline_kernelINS0_14default_configENS1_20scan_config_selectorIfEEZZNS1_9scan_implILNS1_25lookback_scan_determinismE0ELb1ELb1ES3_N6thrust23THRUST_200600_302600_NS6detail15normal_iteratorINS9_10device_ptrIfEEEENS9_16discard_iteratorINS9_11use_defaultEEEfNS9_4plusIvEEfEEDaPvRmT3_T4_T5_mT6_P12ihipStream_tbENKUlT_T0_E_clISt17integral_constantIbLb0EESX_EEDaSS_ST_EUlSS_E_NS1_11comp_targetILNS1_3genE4ELNS1_11target_archE910ELNS1_3gpuE8ELNS1_3repE0EEENS1_30default_config_static_selectorELNS0_4arch9wavefront6targetE1EEEvT1_,comdat
	.protected	_ZN7rocprim17ROCPRIM_400000_NS6detail17trampoline_kernelINS0_14default_configENS1_20scan_config_selectorIfEEZZNS1_9scan_implILNS1_25lookback_scan_determinismE0ELb1ELb1ES3_N6thrust23THRUST_200600_302600_NS6detail15normal_iteratorINS9_10device_ptrIfEEEENS9_16discard_iteratorINS9_11use_defaultEEEfNS9_4plusIvEEfEEDaPvRmT3_T4_T5_mT6_P12ihipStream_tbENKUlT_T0_E_clISt17integral_constantIbLb0EESX_EEDaSS_ST_EUlSS_E_NS1_11comp_targetILNS1_3genE4ELNS1_11target_archE910ELNS1_3gpuE8ELNS1_3repE0EEENS1_30default_config_static_selectorELNS0_4arch9wavefront6targetE1EEEvT1_ ; -- Begin function _ZN7rocprim17ROCPRIM_400000_NS6detail17trampoline_kernelINS0_14default_configENS1_20scan_config_selectorIfEEZZNS1_9scan_implILNS1_25lookback_scan_determinismE0ELb1ELb1ES3_N6thrust23THRUST_200600_302600_NS6detail15normal_iteratorINS9_10device_ptrIfEEEENS9_16discard_iteratorINS9_11use_defaultEEEfNS9_4plusIvEEfEEDaPvRmT3_T4_T5_mT6_P12ihipStream_tbENKUlT_T0_E_clISt17integral_constantIbLb0EESX_EEDaSS_ST_EUlSS_E_NS1_11comp_targetILNS1_3genE4ELNS1_11target_archE910ELNS1_3gpuE8ELNS1_3repE0EEENS1_30default_config_static_selectorELNS0_4arch9wavefront6targetE1EEEvT1_
	.globl	_ZN7rocprim17ROCPRIM_400000_NS6detail17trampoline_kernelINS0_14default_configENS1_20scan_config_selectorIfEEZZNS1_9scan_implILNS1_25lookback_scan_determinismE0ELb1ELb1ES3_N6thrust23THRUST_200600_302600_NS6detail15normal_iteratorINS9_10device_ptrIfEEEENS9_16discard_iteratorINS9_11use_defaultEEEfNS9_4plusIvEEfEEDaPvRmT3_T4_T5_mT6_P12ihipStream_tbENKUlT_T0_E_clISt17integral_constantIbLb0EESX_EEDaSS_ST_EUlSS_E_NS1_11comp_targetILNS1_3genE4ELNS1_11target_archE910ELNS1_3gpuE8ELNS1_3repE0EEENS1_30default_config_static_selectorELNS0_4arch9wavefront6targetE1EEEvT1_
	.p2align	8
	.type	_ZN7rocprim17ROCPRIM_400000_NS6detail17trampoline_kernelINS0_14default_configENS1_20scan_config_selectorIfEEZZNS1_9scan_implILNS1_25lookback_scan_determinismE0ELb1ELb1ES3_N6thrust23THRUST_200600_302600_NS6detail15normal_iteratorINS9_10device_ptrIfEEEENS9_16discard_iteratorINS9_11use_defaultEEEfNS9_4plusIvEEfEEDaPvRmT3_T4_T5_mT6_P12ihipStream_tbENKUlT_T0_E_clISt17integral_constantIbLb0EESX_EEDaSS_ST_EUlSS_E_NS1_11comp_targetILNS1_3genE4ELNS1_11target_archE910ELNS1_3gpuE8ELNS1_3repE0EEENS1_30default_config_static_selectorELNS0_4arch9wavefront6targetE1EEEvT1_,@function
_ZN7rocprim17ROCPRIM_400000_NS6detail17trampoline_kernelINS0_14default_configENS1_20scan_config_selectorIfEEZZNS1_9scan_implILNS1_25lookback_scan_determinismE0ELb1ELb1ES3_N6thrust23THRUST_200600_302600_NS6detail15normal_iteratorINS9_10device_ptrIfEEEENS9_16discard_iteratorINS9_11use_defaultEEEfNS9_4plusIvEEfEEDaPvRmT3_T4_T5_mT6_P12ihipStream_tbENKUlT_T0_E_clISt17integral_constantIbLb0EESX_EEDaSS_ST_EUlSS_E_NS1_11comp_targetILNS1_3genE4ELNS1_11target_archE910ELNS1_3gpuE8ELNS1_3repE0EEENS1_30default_config_static_selectorELNS0_4arch9wavefront6targetE1EEEvT1_: ; @_ZN7rocprim17ROCPRIM_400000_NS6detail17trampoline_kernelINS0_14default_configENS1_20scan_config_selectorIfEEZZNS1_9scan_implILNS1_25lookback_scan_determinismE0ELb1ELb1ES3_N6thrust23THRUST_200600_302600_NS6detail15normal_iteratorINS9_10device_ptrIfEEEENS9_16discard_iteratorINS9_11use_defaultEEEfNS9_4plusIvEEfEEDaPvRmT3_T4_T5_mT6_P12ihipStream_tbENKUlT_T0_E_clISt17integral_constantIbLb0EESX_EEDaSS_ST_EUlSS_E_NS1_11comp_targetILNS1_3genE4ELNS1_11target_archE910ELNS1_3gpuE8ELNS1_3repE0EEENS1_30default_config_static_selectorELNS0_4arch9wavefront6targetE1EEEvT1_
; %bb.0:
	s_load_dwordx4 s[0:3], s[4:5], 0x0
	s_load_dwordx2 s[8:9], s[4:5], 0x20
	s_load_dword s7, s[4:5], 0x38
	v_lshlrev_b32_e32 v18, 2, v0
	s_waitcnt lgkmcnt(0)
	s_lshl_b64 s[2:3], s[2:3], 2
	s_add_u32 s23, s0, s2
	s_addc_u32 s24, s1, s3
	s_add_i32 s2, s7, -1
	s_mul_i32 s3, s2, 0x700
	s_sub_u32 s7, s8, s3
	s_subb_u32 s22, s9, 0
	s_mul_i32 s0, s6, 0x700
	s_mov_b32 s1, 0
	s_cmp_lg_u32 s6, s2
	s_cselect_b64 s[16:17], -1, 0
	s_lshl_b64 s[0:1], s[0:1], 2
	s_add_u32 s0, s23, s0
	s_addc_u32 s1, s24, s1
	s_mov_b64 s[2:3], -1
	s_and_b64 vcc, exec, s[16:17]
	s_cbranch_vccz .LBB5080_2
; %bb.1:
	v_mov_b32_e32 v1, s1
	v_add_co_u32_e32 v2, vcc, s0, v18
	v_addc_co_u32_e32 v3, vcc, 0, v1, vcc
	flat_load_dword v1, v[2:3]
	flat_load_dword v4, v[2:3] offset:512
	flat_load_dword v5, v[2:3] offset:1024
	;; [unrolled: 1-line block ×7, first 2 shown]
	v_add_co_u32_e32 v2, vcc, 0x1000, v2
	v_addc_co_u32_e32 v3, vcc, 0, v3, vcc
	flat_load_dword v11, v[2:3]
	flat_load_dword v12, v[2:3] offset:512
	flat_load_dword v13, v[2:3] offset:1024
	;; [unrolled: 1-line block ×5, first 2 shown]
	s_mov_b64 s[2:3], 0
	s_waitcnt vmcnt(0) lgkmcnt(0)
	ds_write2st64_b32 v18, v1, v4 offset1:2
	ds_write2st64_b32 v18, v5, v6 offset0:4 offset1:6
	ds_write2st64_b32 v18, v7, v8 offset0:8 offset1:10
	;; [unrolled: 1-line block ×6, first 2 shown]
	s_waitcnt lgkmcnt(0)
	s_barrier
.LBB5080_2:
	s_load_dwordx2 s[18:19], s[4:5], 0x30
	s_andn2_b64 vcc, exec, s[2:3]
	s_cbranch_vccnz .LBB5080_32
; %bb.3:
	v_pk_mov_b32 v[2:3], s[0:1], s[0:1] op_sel:[0,1]
	flat_load_dword v1, v[2:3]
	v_cmp_gt_u32_e32 vcc, s7, v0
	s_waitcnt vmcnt(0) lgkmcnt(0)
	v_mov_b32_e32 v2, v1
	v_mov_b32_e32 v3, v1
	;; [unrolled: 1-line block ×12, first 2 shown]
	v_pk_mov_b32 v[16:17], v[14:15], v[14:15] op_sel:[0,1]
	v_pk_mov_b32 v[14:15], v[12:13], v[12:13] op_sel:[0,1]
	;; [unrolled: 1-line block ×8, first 2 shown]
	s_and_saveexec_b64 s[2:3], vcc
	s_cbranch_execz .LBB5080_5
; %bb.4:
	v_mov_b32_e32 v3, s1
	v_add_co_u32_e32 v2, vcc, s0, v18
	v_addc_co_u32_e32 v3, vcc, 0, v3, vcc
	flat_load_dword v19, v[2:3]
	v_mov_b32_e32 v2, v1
	v_mov_b32_e32 v3, v1
	;; [unrolled: 1-line block ×12, first 2 shown]
	v_pk_mov_b32 v[16:17], v[14:15], v[14:15] op_sel:[0,1]
	v_pk_mov_b32 v[14:15], v[12:13], v[12:13] op_sel:[0,1]
	;; [unrolled: 1-line block ×8, first 2 shown]
	s_waitcnt vmcnt(0) lgkmcnt(0)
	v_mov_b32_e32 v1, v19
.LBB5080_5:
	s_or_b64 exec, exec, s[2:3]
	v_or_b32_e32 v2, 0x80, v0
	v_cmp_gt_u32_e32 vcc, s7, v2
	s_and_saveexec_b64 s[2:3], vcc
	s_cbranch_execz .LBB5080_7
; %bb.6:
	v_mov_b32_e32 v3, s1
	v_add_co_u32_e32 v2, vcc, s0, v18
	v_addc_co_u32_e32 v3, vcc, 0, v3, vcc
	flat_load_dword v3, v[2:3] offset:512
.LBB5080_7:
	s_or_b64 exec, exec, s[2:3]
	v_or_b32_e32 v2, 0x100, v0
	v_cmp_gt_u32_e32 vcc, s7, v2
	s_and_saveexec_b64 s[2:3], vcc
	s_cbranch_execz .LBB5080_9
; %bb.8:
	v_mov_b32_e32 v2, s1
	v_add_co_u32_e32 v16, vcc, s0, v18
	v_addc_co_u32_e32 v17, vcc, 0, v2, vcc
	flat_load_dword v4, v[16:17] offset:1024
.LBB5080_9:
	;; [unrolled: 11-line block ×7, first 2 shown]
	s_or_b64 exec, exec, s[2:3]
	v_or_b32_e32 v2, 0x400, v0
	v_cmp_gt_u32_e32 vcc, s7, v2
	s_and_saveexec_b64 s[2:3], vcc
	s_cbranch_execz .LBB5080_21
; %bb.20:
	v_lshlrev_b32_e32 v2, 2, v2
	v_mov_b32_e32 v10, s1
	v_add_co_u32_e32 v16, vcc, s0, v2
	v_addc_co_u32_e32 v17, vcc, 0, v10, vcc
	flat_load_dword v10, v[16:17]
.LBB5080_21:
	s_or_b64 exec, exec, s[2:3]
	v_or_b32_e32 v2, 0x480, v0
	v_cmp_gt_u32_e32 vcc, s7, v2
	s_and_saveexec_b64 s[2:3], vcc
	s_cbranch_execz .LBB5080_23
; %bb.22:
	v_lshlrev_b32_e32 v2, 2, v2
	v_mov_b32_e32 v11, s1
	v_add_co_u32_e32 v16, vcc, s0, v2
	v_addc_co_u32_e32 v17, vcc, 0, v11, vcc
	flat_load_dword v11, v[16:17]
.LBB5080_23:
	;; [unrolled: 12-line block ×6, first 2 shown]
	s_or_b64 exec, exec, s[2:3]
	s_waitcnt vmcnt(0) lgkmcnt(0)
	ds_write2st64_b32 v18, v1, v3 offset1:2
	ds_write2st64_b32 v18, v4, v5 offset0:4 offset1:6
	ds_write2st64_b32 v18, v6, v7 offset0:8 offset1:10
	;; [unrolled: 1-line block ×6, first 2 shown]
	s_waitcnt lgkmcnt(0)
	s_barrier
.LBB5080_32:
	v_mul_u32_u24_e32 v32, 14, v0
	v_lshlrev_b32_e32 v33, 2, v32
	s_waitcnt lgkmcnt(0)
	ds_read2_b64 v[26:29], v33 offset1:1
	ds_read2_b64 v[22:25], v33 offset0:2 offset1:3
	ds_read2_b64 v[18:21], v33 offset0:4 offset1:5
	ds_read_b64 v[30:31], v33 offset:48
	s_cmp_lg_u32 s6, 0
	s_waitcnt lgkmcnt(3)
	v_add_f32_e32 v34, v26, v27
	v_lshrrev_b32_e32 v1, 5, v0
	v_cmp_gt_u32_e32 vcc, 64, v0
	s_waitcnt lgkmcnt(0)
	s_barrier
	s_cbranch_scc0 .LBB5080_57
; %bb.33:
	v_add_f32_e32 v2, v28, v34
	v_add_f32_e32 v2, v29, v2
	;; [unrolled: 1-line block ×12, first 2 shown]
	v_add_lshl_u32 v2, v1, v0, 2
	ds_write_b32 v2, v12
	s_waitcnt lgkmcnt(0)
	s_barrier
	s_and_saveexec_b64 s[10:11], vcc
	s_cbranch_execz .LBB5080_35
; %bb.34:
	v_lshlrev_b32_e32 v2, 1, v0
	v_lshrrev_b32_e32 v3, 4, v0
	v_add_lshl_u32 v4, v3, v2, 2
	ds_read2_b32 v[2:3], v4 offset1:1
	v_mbcnt_lo_u32_b32 v5, -1, 0
	v_mbcnt_hi_u32_b32 v5, -1, v5
	v_and_b32_e32 v6, 15, v5
	v_cmp_eq_u32_e64 s[0:1], 0, v6
	s_waitcnt lgkmcnt(0)
	v_add_f32_e32 v3, v2, v3
	v_cmp_lt_u32_e64 s[2:3], 3, v6
	v_cmp_lt_u32_e64 s[8:9], 31, v5
	v_mov_b32_dpp v7, v3 row_shr:1 row_mask:0xf bank_mask:0xf
	v_add_f32_e32 v7, v3, v7
	v_cndmask_b32_e64 v3, v7, v3, s[0:1]
	v_cmp_lt_u32_e64 s[0:1], 1, v6
	s_nop 0
	v_mov_b32_dpp v7, v3 row_shr:2 row_mask:0xf bank_mask:0xf
	v_add_f32_e32 v7, v3, v7
	v_cndmask_b32_e64 v7, v3, v7, s[0:1]
	; wave barrier
	s_nop 1
	v_mov_b32_dpp v8, v7 row_shr:4 row_mask:0xf bank_mask:0xf
	v_add_f32_e32 v8, v7, v8
	v_cndmask_b32_e64 v7, v7, v8, s[2:3]
	v_cmp_lt_u32_e64 s[2:3], 7, v6
	s_nop 0
	v_mov_b32_dpp v8, v7 row_shr:8 row_mask:0xf bank_mask:0xf
	v_add_f32_e32 v8, v7, v8
	v_cndmask_b32_e64 v6, v7, v8, s[2:3]
	v_and_b32_e32 v8, 16, v5
	v_cmp_eq_u32_e64 s[2:3], 0, v8
	v_mov_b32_dpp v7, v6 row_bcast:15 row_mask:0xf bank_mask:0xf
	v_add_f32_e32 v7, v6, v7
	v_cndmask_b32_e64 v6, v7, v6, s[2:3]
	v_cmp_lt_u32_e64 s[2:3], 15, v5
	s_or_b64 s[0:1], s[2:3], s[0:1]
	v_mov_b32_dpp v7, v6 row_bcast:31 row_mask:0xf bank_mask:0xf
	v_add_f32_e32 v7, v6, v7
	v_cndmask_b32_e64 v6, v6, v7, s[8:9]
	v_cndmask_b32_e64 v3, v3, v6, s[0:1]
	v_add_u32_e32 v6, -1, v5
	v_and_b32_e32 v7, 64, v5
	v_cmp_lt_i32_e64 s[0:1], v6, v7
	v_cndmask_b32_e64 v5, v6, v5, s[0:1]
	v_lshlrev_b32_e32 v5, 2, v5
	ds_bpermute_b32 v3, v5, v3
	v_cmp_eq_u32_e64 s[0:1], 0, v0
	s_waitcnt lgkmcnt(0)
	v_add_f32_e32 v2, v2, v3
	v_cndmask_b32_e64 v2, v2, v12, s[0:1]
	ds_write_b32 v4, v2
	; wave barrier
	ds_read_b32 v3, v4 offset:4
	s_waitcnt lgkmcnt(0)
	v_add_f32_e32 v2, v2, v3
	ds_write_b32 v4, v2 offset:4
.LBB5080_35:
	s_or_b64 exec, exec, s[10:11]
	v_cmp_eq_u32_e64 s[0:1], 0, v0
	v_cmp_ne_u32_e64 s[2:3], 0, v0
	s_waitcnt lgkmcnt(0)
	s_barrier
	s_and_saveexec_b64 s[8:9], s[2:3]
	s_cbranch_execz .LBB5080_37
; %bb.36:
	v_add_u32_e32 v2, -1, v0
	v_lshrrev_b32_e32 v3, 5, v2
	v_add_lshl_u32 v2, v3, v2, 2
	ds_read_b32 v12, v2
.LBB5080_37:
	s_or_b64 exec, exec, s[8:9]
	s_and_saveexec_b64 s[20:21], vcc
	s_cbranch_execz .LBB5080_56
; %bb.38:
	v_mov_b32_e32 v9, 0
	ds_read_b32 v2, v9 offset:520
	v_mbcnt_lo_u32_b32 v3, -1, 0
	v_mbcnt_hi_u32_b32 v5, -1, v3
	s_mov_b32 s11, 0
	v_cmp_eq_u32_e64 s[2:3], 0, v5
	s_and_saveexec_b64 s[8:9], s[2:3]
	s_cbranch_execz .LBB5080_40
; %bb.39:
	s_add_i32 s10, s6, 64
	s_lshl_b64 s[10:11], s[10:11], 3
	s_add_u32 s10, s18, s10
	v_mov_b32_e32 v3, 1
	s_addc_u32 s11, s19, s11
	s_waitcnt lgkmcnt(0)
	global_store_dwordx2 v9, v[2:3], s[10:11]
.LBB5080_40:
	s_or_b64 exec, exec, s[8:9]
	v_xad_u32 v4, v5, -1, s6
	v_add_u32_e32 v8, 64, v4
	v_lshlrev_b64 v[6:7], 3, v[8:9]
	v_mov_b32_e32 v3, s19
	v_add_co_u32_e32 v10, vcc, s18, v6
	v_addc_co_u32_e32 v11, vcc, v3, v7, vcc
	global_load_dwordx2 v[6:7], v[10:11], off glc
	s_waitcnt vmcnt(0)
	v_cmp_eq_u16_sdwa s[10:11], v7, v9 src0_sel:BYTE_0 src1_sel:DWORD
	s_and_saveexec_b64 s[8:9], s[10:11]
	s_cbranch_execz .LBB5080_44
; %bb.41:
	s_mov_b64 s[10:11], 0
	v_mov_b32_e32 v3, 0
.LBB5080_42:                            ; =>This Inner Loop Header: Depth=1
	global_load_dwordx2 v[6:7], v[10:11], off glc
	s_waitcnt vmcnt(0)
	v_cmp_ne_u16_sdwa s[12:13], v7, v3 src0_sel:BYTE_0 src1_sel:DWORD
	s_or_b64 s[10:11], s[12:13], s[10:11]
	s_andn2_b64 exec, exec, s[10:11]
	s_cbranch_execnz .LBB5080_42
; %bb.43:
	s_or_b64 exec, exec, s[10:11]
.LBB5080_44:
	s_or_b64 exec, exec, s[8:9]
	v_and_b32_e32 v13, 63, v5
	v_cmp_ne_u32_e32 vcc, 63, v13
	v_addc_co_u32_e32 v14, vcc, 0, v5, vcc
	v_mov_b32_e32 v3, 2
	v_lshlrev_b32_e32 v14, 2, v14
	v_cmp_eq_u16_sdwa s[8:9], v7, v3 src0_sel:BYTE_0 src1_sel:DWORD
	v_lshlrev_b64 v[8:9], v5, -1
	ds_bpermute_b32 v15, v14, v6
	v_and_b32_e32 v10, s9, v9
	v_or_b32_e32 v10, 0x80000000, v10
	v_and_b32_e32 v11, s8, v8
	v_ffbl_b32_e32 v10, v10
	v_add_u32_e32 v10, 32, v10
	v_ffbl_b32_e32 v11, v11
	v_cmp_gt_u32_e64 s[8:9], 62, v13
	v_min_u32_e32 v10, v11, v10
	s_waitcnt lgkmcnt(0)
	v_add_f32_e32 v11, v6, v15
	v_cndmask_b32_e64 v15, 0, 1, s[8:9]
	v_cmp_lt_u32_e32 vcc, v13, v10
	v_lshlrev_b32_e32 v15, 1, v15
	v_cndmask_b32_e32 v11, v6, v11, vcc
	v_add_lshl_u32 v15, v15, v5, 2
	ds_bpermute_b32 v17, v15, v11
	v_add_u32_e32 v16, 2, v13
	v_cmp_gt_u32_e64 s[8:9], v16, v10
	v_cmp_gt_u32_e64 s[10:11], 56, v13
	v_add_u32_e32 v35, 4, v13
	s_waitcnt lgkmcnt(0)
	v_add_f32_e32 v17, v11, v17
	v_cndmask_b32_e64 v11, v17, v11, s[8:9]
	v_cmp_gt_u32_e64 s[8:9], 60, v13
	v_cndmask_b32_e64 v17, 0, 1, s[8:9]
	v_lshlrev_b32_e32 v17, 2, v17
	v_add_lshl_u32 v17, v17, v5, 2
	ds_bpermute_b32 v36, v17, v11
	v_cmp_gt_u32_e64 s[8:9], v35, v10
	v_add_u32_e32 v37, 8, v13
	v_cmp_gt_u32_e64 s[12:13], 48, v13
	v_cmp_gt_u32_e64 s[14:15], 32, v13
	s_waitcnt lgkmcnt(0)
	v_add_f32_e32 v40, v11, v36
	v_cndmask_b32_e64 v36, 0, 1, s[10:11]
	v_lshlrev_b32_e32 v36, 3, v36
	v_cndmask_b32_e64 v38, v40, v11, s[8:9]
	v_add_lshl_u32 v36, v36, v5, 2
	ds_bpermute_b32 v39, v36, v38
	v_cmp_gt_u32_e64 s[10:11], v37, v10
	v_cndmask_b32_e32 v6, v6, v11, vcc
	v_cndmask_b32_e64 v6, v40, v6, s[8:9]
	s_waitcnt lgkmcnt(0)
	v_add_f32_e32 v43, v38, v39
	v_cndmask_b32_e64 v41, v43, v38, s[10:11]
	v_cndmask_b32_e64 v38, 0, 1, s[12:13]
	v_lshlrev_b32_e32 v38, 4, v38
	v_add_lshl_u32 v38, v38, v5, 2
	ds_bpermute_b32 v42, v38, v41
	v_add_u32_e32 v39, 16, v13
	v_cmp_gt_u32_e64 s[12:13], v39, v10
	v_cndmask_b32_e64 v6, v43, v6, s[10:11]
	s_waitcnt lgkmcnt(0)
	v_add_f32_e32 v44, v41, v42
	v_cndmask_b32_e64 v45, v44, v41, s[12:13]
	v_cndmask_b32_e64 v41, 0, 1, s[14:15]
	v_lshlrev_b32_e32 v41, 5, v41
	v_add_lshl_u32 v41, v41, v5, 2
	ds_bpermute_b32 v5, v41, v45
	v_add_u32_e32 v42, 32, v13
	v_cndmask_b32_e64 v6, v44, v6, s[12:13]
	v_cmp_gt_u32_e32 vcc, v42, v10
	s_waitcnt lgkmcnt(0)
	v_add_f32_e32 v5, v45, v5
	v_cndmask_b32_e32 v6, v5, v6, vcc
	v_mov_b32_e32 v5, 0
	s_branch .LBB5080_46
.LBB5080_45:                            ;   in Loop: Header=BB5080_46 Depth=1
	s_or_b64 exec, exec, s[8:9]
	v_cmp_eq_u16_sdwa s[8:9], v7, v3 src0_sel:BYTE_0 src1_sel:DWORD
	v_and_b32_e32 v10, s9, v9
	ds_bpermute_b32 v43, v14, v6
	v_or_b32_e32 v10, 0x80000000, v10
	v_and_b32_e32 v11, s8, v8
	v_ffbl_b32_e32 v10, v10
	v_add_u32_e32 v10, 32, v10
	v_ffbl_b32_e32 v11, v11
	v_min_u32_e32 v10, v11, v10
	s_waitcnt lgkmcnt(0)
	v_add_f32_e32 v11, v6, v43
	v_cmp_lt_u32_e32 vcc, v13, v10
	v_cndmask_b32_e32 v11, v6, v11, vcc
	ds_bpermute_b32 v43, v15, v11
	v_cmp_gt_u32_e64 s[8:9], v16, v10
	v_cmp_gt_u32_e64 s[10:11], v37, v10
	;; [unrolled: 1-line block ×3, first 2 shown]
	v_subrev_u32_e32 v4, 64, v4
	s_waitcnt lgkmcnt(0)
	v_add_f32_e32 v43, v11, v43
	v_cndmask_b32_e64 v11, v43, v11, s[8:9]
	ds_bpermute_b32 v43, v17, v11
	v_cmp_gt_u32_e64 s[8:9], v35, v10
	v_cndmask_b32_e32 v6, v6, v11, vcc
	v_cmp_gt_u32_e32 vcc, v42, v10
	s_waitcnt lgkmcnt(0)
	v_add_f32_e32 v43, v11, v43
	v_cndmask_b32_e64 v44, v43, v11, s[8:9]
	ds_bpermute_b32 v45, v36, v44
	v_cndmask_b32_e64 v6, v43, v6, s[8:9]
	s_waitcnt lgkmcnt(0)
	v_add_f32_e32 v45, v44, v45
	v_cndmask_b32_e64 v44, v45, v44, s[10:11]
	ds_bpermute_b32 v46, v38, v44
	v_cndmask_b32_e64 v6, v45, v6, s[10:11]
	;; [unrolled: 5-line block ×3, first 2 shown]
	s_waitcnt lgkmcnt(0)
	v_add_f32_e32 v11, v44, v47
	v_cndmask_b32_e32 v6, v11, v6, vcc
	v_add_f32_e32 v6, v40, v6
.LBB5080_46:                            ; =>This Loop Header: Depth=1
                                        ;     Child Loop BB5080_49 Depth 2
	v_cmp_ne_u16_sdwa s[8:9], v7, v3 src0_sel:BYTE_0 src1_sel:DWORD
	v_cndmask_b32_e64 v7, 0, 1, s[8:9]
	;;#ASMSTART
	;;#ASMEND
	v_cmp_ne_u32_e32 vcc, 0, v7
	s_cmp_lg_u64 vcc, exec
	v_mov_b32_e32 v40, v6
	s_cbranch_scc1 .LBB5080_51
; %bb.47:                               ;   in Loop: Header=BB5080_46 Depth=1
	v_lshlrev_b64 v[6:7], 3, v[4:5]
	v_mov_b32_e32 v11, s19
	v_add_co_u32_e32 v10, vcc, s18, v6
	v_addc_co_u32_e32 v11, vcc, v11, v7, vcc
	global_load_dwordx2 v[6:7], v[10:11], off glc
	s_waitcnt vmcnt(0)
	v_cmp_eq_u16_sdwa s[10:11], v7, v5 src0_sel:BYTE_0 src1_sel:DWORD
	s_and_saveexec_b64 s[8:9], s[10:11]
	s_cbranch_execz .LBB5080_45
; %bb.48:                               ;   in Loop: Header=BB5080_46 Depth=1
	s_mov_b64 s[10:11], 0
.LBB5080_49:                            ;   Parent Loop BB5080_46 Depth=1
                                        ; =>  This Inner Loop Header: Depth=2
	global_load_dwordx2 v[6:7], v[10:11], off glc
	s_waitcnt vmcnt(0)
	v_cmp_ne_u16_sdwa s[12:13], v7, v5 src0_sel:BYTE_0 src1_sel:DWORD
	s_or_b64 s[10:11], s[12:13], s[10:11]
	s_andn2_b64 exec, exec, s[10:11]
	s_cbranch_execnz .LBB5080_49
; %bb.50:                               ;   in Loop: Header=BB5080_46 Depth=1
	s_or_b64 exec, exec, s[10:11]
	s_branch .LBB5080_45
.LBB5080_51:                            ;   in Loop: Header=BB5080_46 Depth=1
                                        ; implicit-def: $vgpr6
                                        ; implicit-def: $vgpr7
	s_cbranch_execz .LBB5080_46
; %bb.52:
	s_and_saveexec_b64 s[8:9], s[2:3]
	s_cbranch_execz .LBB5080_54
; %bb.53:
	s_add_i32 s2, s6, 64
	s_mov_b32 s3, 0
	s_lshl_b64 s[2:3], s[2:3], 3
	s_add_u32 s2, s18, s2
	v_add_f32_e32 v2, v2, v40
	v_mov_b32_e32 v3, 2
	s_addc_u32 s3, s19, s3
	v_mov_b32_e32 v4, 0
	global_store_dwordx2 v4, v[2:3], s[2:3]
.LBB5080_54:
	s_or_b64 exec, exec, s[8:9]
	s_and_b64 exec, exec, s[0:1]
	s_cbranch_execz .LBB5080_56
; %bb.55:
	v_mov_b32_e32 v2, 0
	ds_write_b32 v2, v40
.LBB5080_56:
	s_or_b64 exec, exec, s[20:21]
	v_mov_b32_e32 v2, 0
	s_waitcnt lgkmcnt(0)
	s_barrier
	ds_read_b32 v2, v2
	s_waitcnt lgkmcnt(0)
	v_add_f32_e32 v3, v12, v2
	v_cndmask_b32_e64 v2, v3, v2, s[0:1]
	v_add_f32_e32 v3, v26, v2
	v_add_f32_e32 v4, v27, v3
	;; [unrolled: 1-line block ×13, first 2 shown]
	s_load_dwordx8 s[8:15], s[4:5], 0x40
	s_branch .LBB5080_67
.LBB5080_57:
                                        ; implicit-def: $vgpr2_vgpr3_vgpr4_vgpr5_vgpr6_vgpr7_vgpr8_vgpr9_vgpr10_vgpr11_vgpr12_vgpr13_vgpr14_vgpr15_vgpr16_vgpr17
	s_load_dwordx8 s[8:15], s[4:5], 0x40
	s_cbranch_execz .LBB5080_67
; %bb.58:
	s_load_dword s0, s[4:5], 0x28
	s_waitcnt lgkmcnt(0)
	s_cmp_eq_u64 s[12:13], 0
	v_mov_b32_e32 v16, s0
	s_cbranch_scc1 .LBB5080_60
; %bb.59:
	v_mov_b32_e32 v3, s24
	v_add_co_u32_e64 v2, vcc, -4, s23
	v_addc_co_u32_e32 v3, vcc, -1, v3, vcc
	v_mov_b32_e32 v4, 0
	flat_load_dword v5, v[2:3]
	global_load_dword v6, v4, s[8:9]
	s_waitcnt vmcnt(0) lgkmcnt(0)
	v_add_f32_e32 v16, v5, v6
.LBB5080_60:
	v_add_f32_e32 v2, v28, v34
	v_add_f32_e32 v2, v29, v2
	;; [unrolled: 1-line block ×12, first 2 shown]
	v_add_lshl_u32 v1, v1, v0, 2
	v_cmp_gt_u32_e32 vcc, 64, v0
	ds_write_b32 v1, v2
	s_waitcnt lgkmcnt(0)
	s_barrier
	s_and_saveexec_b64 s[4:5], vcc
	s_cbranch_execz .LBB5080_62
; %bb.61:
	v_lshlrev_b32_e32 v1, 1, v0
	v_lshrrev_b32_e32 v3, 4, v0
	v_add_lshl_u32 v1, v3, v1, 2
	ds_read2_b32 v[4:5], v1 offset1:1
	v_mbcnt_lo_u32_b32 v3, -1, 0
	v_mbcnt_hi_u32_b32 v3, -1, v3
	v_and_b32_e32 v6, 15, v3
	v_cmp_eq_u32_e32 vcc, 0, v6
	s_waitcnt lgkmcnt(0)
	v_add_f32_e32 v5, v4, v5
	v_cmp_lt_u32_e64 s[0:1], 3, v6
	v_cmp_lt_u32_e64 s[2:3], 31, v3
	v_mov_b32_dpp v7, v5 row_shr:1 row_mask:0xf bank_mask:0xf
	v_add_f32_e32 v7, v5, v7
	v_cndmask_b32_e32 v5, v7, v5, vcc
	v_cmp_lt_u32_e32 vcc, 1, v6
	s_nop 0
	v_mov_b32_dpp v7, v5 row_shr:2 row_mask:0xf bank_mask:0xf
	v_add_f32_e32 v7, v5, v7
	v_cndmask_b32_e32 v7, v5, v7, vcc
	; wave barrier
	s_nop 1
	v_mov_b32_dpp v8, v7 row_shr:4 row_mask:0xf bank_mask:0xf
	v_add_f32_e32 v8, v7, v8
	v_cndmask_b32_e64 v7, v7, v8, s[0:1]
	v_cmp_lt_u32_e64 s[0:1], 7, v6
	s_nop 0
	v_mov_b32_dpp v8, v7 row_shr:8 row_mask:0xf bank_mask:0xf
	v_add_f32_e32 v8, v7, v8
	v_cndmask_b32_e64 v6, v7, v8, s[0:1]
	v_and_b32_e32 v8, 16, v3
	v_cmp_eq_u32_e64 s[0:1], 0, v8
	v_mov_b32_dpp v7, v6 row_bcast:15 row_mask:0xf bank_mask:0xf
	v_add_f32_e32 v7, v6, v7
	v_cndmask_b32_e64 v6, v7, v6, s[0:1]
	v_cmp_lt_u32_e64 s[0:1], 15, v3
	s_or_b64 vcc, s[0:1], vcc
	v_mov_b32_dpp v7, v6 row_bcast:31 row_mask:0xf bank_mask:0xf
	v_add_f32_e32 v7, v6, v7
	v_cndmask_b32_e64 v6, v6, v7, s[2:3]
	v_cndmask_b32_e32 v5, v5, v6, vcc
	v_add_u32_e32 v6, -1, v3
	v_and_b32_e32 v7, 64, v3
	v_cmp_lt_i32_e32 vcc, v6, v7
	v_cndmask_b32_e32 v3, v6, v3, vcc
	v_lshlrev_b32_e32 v3, 2, v3
	ds_bpermute_b32 v3, v3, v5
	v_cmp_eq_u32_e32 vcc, 0, v0
	s_waitcnt lgkmcnt(0)
	v_add_f32_e32 v3, v4, v3
	v_cndmask_b32_e32 v2, v3, v2, vcc
	ds_write_b32 v1, v2
	; wave barrier
	ds_read_b32 v3, v1 offset:4
	s_waitcnt lgkmcnt(0)
	v_add_f32_e32 v2, v2, v3
	ds_write_b32 v1, v2 offset:4
.LBB5080_62:
	s_or_b64 exec, exec, s[4:5]
	v_cmp_eq_u32_e32 vcc, 0, v0
	v_cmp_ne_u32_e64 s[0:1], 0, v0
	v_mov_b32_e32 v2, v16
	s_waitcnt lgkmcnt(0)
	s_barrier
	s_and_saveexec_b64 s[2:3], s[0:1]
	s_cbranch_execz .LBB5080_64
; %bb.63:
	v_add_u32_e32 v1, -1, v0
	v_lshrrev_b32_e32 v2, 5, v1
	v_add_lshl_u32 v1, v2, v1, 2
	ds_read_b32 v1, v1
	s_waitcnt lgkmcnt(0)
	v_add_f32_e32 v2, v16, v1
.LBB5080_64:
	s_or_b64 exec, exec, s[2:3]
	v_add_f32_e32 v3, v26, v2
	v_add_f32_e32 v4, v27, v3
	;; [unrolled: 1-line block ×13, first 2 shown]
	s_and_saveexec_b64 s[0:1], vcc
	s_cbranch_execz .LBB5080_66
; %bb.65:
	v_mov_b32_e32 v1, 0
	ds_read_b32 v17, v1 offset:520
	s_waitcnt lgkmcnt(0)
	v_add_f32_e32 v16, v16, v17
	v_mov_b32_e32 v17, 2
	global_store_dwordx2 v1, v[16:17], s[18:19] offset:512
.LBB5080_66:
	s_or_b64 exec, exec, s[0:1]
.LBB5080_67:
	s_mov_b64 s[0:1], -1
	s_and_b64 vcc, exec, s[16:17]
	s_waitcnt lgkmcnt(0)
	s_barrier
	ds_write2_b64 v33, v[2:3], v[4:5] offset1:1
	ds_write2_b64 v33, v[6:7], v[8:9] offset0:2 offset1:3
	ds_write2_b64 v33, v[10:11], v[12:13] offset0:4 offset1:5
	ds_write_b64 v33, v[14:15] offset:48
	s_waitcnt lgkmcnt(0)
	s_cbranch_vccz .LBB5080_69
; %bb.68:
	s_barrier
	s_mov_b64 s[0:1], 0
.LBB5080_69:
	s_andn2_b64 vcc, exec, s[0:1]
	s_cbranch_vccnz .LBB5080_121
; %bb.70:
	v_cmp_lt_u64_e64 s[0:1], s[14:15], 2
	s_and_b64 vcc, exec, s[0:1]
	s_barrier
	s_cbranch_vccnz .LBB5080_121
; %bb.71:
	s_add_u32 s0, s7, -1
	s_addc_u32 s1, s22, -1
	s_add_u32 s2, 0, 0x49240800
	s_addc_u32 s3, 0, 50
	s_add_i32 s3, s3, 0x12492460
	s_mul_hi_u32 s7, s2, -14
	s_sub_i32 s7, s7, s2
	s_mul_i32 s8, s3, -14
	s_mul_i32 s4, s2, -14
	s_add_i32 s7, s7, s8
	s_mul_hi_u32 s5, s3, s4
	s_mul_i32 s6, s3, s4
	s_mul_i32 s9, s2, s7
	s_mul_hi_u32 s4, s2, s4
	s_mul_hi_u32 s8, s2, s7
	s_add_u32 s4, s4, s9
	s_addc_u32 s8, 0, s8
	s_add_u32 s4, s4, s6
	s_mul_hi_u32 s9, s3, s7
	s_addc_u32 s4, s8, s5
	s_addc_u32 s5, s9, 0
	s_mul_i32 s6, s3, s7
	s_add_u32 s4, s4, s6
	v_mov_b32_e32 v2, s4
	s_addc_u32 s5, 0, s5
	v_add_co_u32_e32 v2, vcc, s2, v2
	s_cmp_lg_u64 vcc, 0
	s_addc_u32 s2, s3, s5
	v_readfirstlane_b32 s5, v2
	s_mul_i32 s4, s0, s2
	s_mul_hi_u32 s6, s0, s5
	s_mul_hi_u32 s3, s0, s2
	s_add_u32 s4, s6, s4
	s_addc_u32 s3, 0, s3
	s_mul_hi_u32 s7, s1, s5
	s_mul_i32 s5, s1, s5
	s_add_u32 s4, s4, s5
	s_mul_hi_u32 s6, s1, s2
	s_addc_u32 s3, s3, s7
	s_addc_u32 s4, s6, 0
	s_mul_i32 s2, s1, s2
	s_add_u32 s2, s3, s2
	s_addc_u32 s3, 0, s4
	s_add_u32 s4, s2, 1
	s_addc_u32 s5, s3, 0
	s_add_u32 s6, s2, 2
	s_mul_i32 s8, s3, 14
	s_mul_hi_u32 s9, s2, 14
	s_addc_u32 s7, s3, 0
	s_add_i32 s9, s9, s8
	s_mul_i32 s8, s2, 14
	v_mov_b32_e32 v2, s8
	v_sub_co_u32_e32 v2, vcc, s0, v2
	s_cmp_lg_u64 vcc, 0
	s_subb_u32 s8, s1, s9
	v_subrev_co_u32_e32 v3, vcc, 14, v2
	s_cmp_lg_u64 vcc, 0
	s_subb_u32 s9, s8, 0
	v_readfirstlane_b32 s12, v3
	s_cmp_gt_u32 s12, 13
	s_cselect_b32 s12, -1, 0
	s_cmp_eq_u32 s9, 0
	s_cselect_b32 s9, s12, -1
	s_cmp_lg_u32 s9, 0
	s_cselect_b32 s4, s6, s4
	v_readfirstlane_b32 s6, v2
	s_cselect_b32 s5, s7, s5
	s_cmp_gt_u32 s6, 13
	s_cselect_b32 s6, -1, 0
	s_cmp_eq_u32 s8, 0
	s_cselect_b32 s6, s6, -1
	s_cmp_lg_u32 s6, 0
	v_mov_b32_e32 v1, 0
	s_cselect_b32 s3, s5, s3
	s_cselect_b32 s2, s4, s2
	v_cmp_eq_u64_e32 vcc, s[2:3], v[0:1]
	s_and_saveexec_b64 s[2:3], vcc
	s_cbranch_execz .LBB5080_121
; %bb.72:
	s_movk_i32 s2, 0xffcc
	v_mad_i32_i24 v2, v0, s2, v33
	v_mul_hi_u32_u24_e32 v1, 14, v0
	v_mov_b32_e32 v3, s1
	v_sub_co_u32_e32 v0, vcc, s0, v32
	v_subb_co_u32_e32 v1, vcc, v3, v1, vcc
	v_cmp_lt_i64_e32 vcc, 6, v[0:1]
	s_and_saveexec_b64 s[0:1], vcc
	s_xor_b64 s[0:1], exec, s[0:1]
	s_cbranch_execz .LBB5080_98
; %bb.73:
	v_cmp_lt_i64_e32 vcc, 9, v[0:1]
	s_and_saveexec_b64 s[2:3], vcc
	s_xor_b64 s[2:3], exec, s[2:3]
	s_cbranch_execz .LBB5080_87
; %bb.74:
	;; [unrolled: 5-line block ×4, first 2 shown]
	ds_read_b32 v0, v2 offset:6656
	v_mov_b32_e32 v1, 0
                                        ; implicit-def: $vgpr2
	s_waitcnt lgkmcnt(0)
	global_store_dword v1, v0, s[10:11]
.LBB5080_77:
	s_andn2_saveexec_b64 s[6:7], s[6:7]
	s_cbranch_execz .LBB5080_79
; %bb.78:
	ds_read_b32 v0, v2 offset:6144
	v_mov_b32_e32 v1, 0
	s_waitcnt lgkmcnt(0)
	global_store_dword v1, v0, s[10:11]
.LBB5080_79:
	s_or_b64 exec, exec, s[6:7]
                                        ; implicit-def: $vgpr2
                                        ; implicit-def: $vgpr0_vgpr1
.LBB5080_80:
	s_andn2_saveexec_b64 s[4:5], s[4:5]
	s_cbranch_execz .LBB5080_86
; %bb.81:
	v_cmp_lt_i64_e32 vcc, 10, v[0:1]
	s_and_saveexec_b64 s[6:7], vcc
	s_xor_b64 s[6:7], exec, s[6:7]
	s_cbranch_execz .LBB5080_83
; %bb.82:
	ds_read_b32 v0, v2 offset:5632
	v_mov_b32_e32 v1, 0
                                        ; implicit-def: $vgpr2
	s_waitcnt lgkmcnt(0)
	global_store_dword v1, v0, s[10:11]
.LBB5080_83:
	s_andn2_saveexec_b64 s[6:7], s[6:7]
	s_cbranch_execz .LBB5080_85
; %bb.84:
	ds_read_b32 v0, v2 offset:5120
	v_mov_b32_e32 v1, 0
	s_waitcnt lgkmcnt(0)
	global_store_dword v1, v0, s[10:11]
.LBB5080_85:
	s_or_b64 exec, exec, s[6:7]
.LBB5080_86:
	s_or_b64 exec, exec, s[4:5]
                                        ; implicit-def: $vgpr2
                                        ; implicit-def: $vgpr0_vgpr1
.LBB5080_87:
	s_andn2_saveexec_b64 s[2:3], s[2:3]
	s_cbranch_execz .LBB5080_97
; %bb.88:
	v_cmp_lt_i64_e32 vcc, 7, v[0:1]
	s_and_saveexec_b64 s[4:5], vcc
	s_xor_b64 s[4:5], exec, s[4:5]
	s_cbranch_execz .LBB5080_94
; %bb.89:
	v_cmp_lt_i64_e32 vcc, 8, v[0:1]
	s_and_saveexec_b64 s[6:7], vcc
	s_xor_b64 s[6:7], exec, s[6:7]
	s_cbranch_execz .LBB5080_91
; %bb.90:
	ds_read_b32 v0, v2 offset:4608
	v_mov_b32_e32 v1, 0
                                        ; implicit-def: $vgpr2
	s_waitcnt lgkmcnt(0)
	global_store_dword v1, v0, s[10:11]
.LBB5080_91:
	s_andn2_saveexec_b64 s[6:7], s[6:7]
	s_cbranch_execz .LBB5080_93
; %bb.92:
	ds_read_b32 v0, v2 offset:4096
	v_mov_b32_e32 v1, 0
	s_waitcnt lgkmcnt(0)
	global_store_dword v1, v0, s[10:11]
.LBB5080_93:
	s_or_b64 exec, exec, s[6:7]
                                        ; implicit-def: $vgpr2
.LBB5080_94:
	s_andn2_saveexec_b64 s[4:5], s[4:5]
	s_cbranch_execz .LBB5080_96
; %bb.95:
	ds_read_b32 v0, v2 offset:3584
	v_mov_b32_e32 v1, 0
	s_waitcnt lgkmcnt(0)
	global_store_dword v1, v0, s[10:11]
.LBB5080_96:
	s_or_b64 exec, exec, s[4:5]
.LBB5080_97:
	s_or_b64 exec, exec, s[2:3]
                                        ; implicit-def: $vgpr0_vgpr1
                                        ; implicit-def: $vgpr2
.LBB5080_98:
	s_andn2_saveexec_b64 s[0:1], s[0:1]
	s_cbranch_execz .LBB5080_121
; %bb.99:
	v_cmp_lt_i64_e32 vcc, 3, v[0:1]
	s_and_saveexec_b64 s[0:1], vcc
	s_xor_b64 s[0:1], exec, s[0:1]
	s_cbranch_execz .LBB5080_109
; %bb.100:
	v_cmp_lt_i64_e32 vcc, 4, v[0:1]
	s_and_saveexec_b64 s[2:3], vcc
	s_xor_b64 s[2:3], exec, s[2:3]
	;; [unrolled: 5-line block ×3, first 2 shown]
	s_cbranch_execz .LBB5080_103
; %bb.102:
	ds_read_b32 v0, v2 offset:3072
	v_mov_b32_e32 v1, 0
                                        ; implicit-def: $vgpr2
	s_waitcnt lgkmcnt(0)
	global_store_dword v1, v0, s[10:11]
.LBB5080_103:
	s_andn2_saveexec_b64 s[4:5], s[4:5]
	s_cbranch_execz .LBB5080_105
; %bb.104:
	ds_read_b32 v0, v2 offset:2560
	v_mov_b32_e32 v1, 0
	s_waitcnt lgkmcnt(0)
	global_store_dword v1, v0, s[10:11]
.LBB5080_105:
	s_or_b64 exec, exec, s[4:5]
                                        ; implicit-def: $vgpr2
.LBB5080_106:
	s_andn2_saveexec_b64 s[2:3], s[2:3]
	s_cbranch_execz .LBB5080_108
; %bb.107:
	ds_read_b32 v0, v2 offset:2048
	v_mov_b32_e32 v1, 0
	s_waitcnt lgkmcnt(0)
	global_store_dword v1, v0, s[10:11]
.LBB5080_108:
	s_or_b64 exec, exec, s[2:3]
                                        ; implicit-def: $vgpr0_vgpr1
                                        ; implicit-def: $vgpr2
.LBB5080_109:
	s_andn2_saveexec_b64 s[0:1], s[0:1]
	s_cbranch_execz .LBB5080_121
; %bb.110:
	v_cmp_lt_i64_e32 vcc, 1, v[0:1]
	s_and_saveexec_b64 s[0:1], vcc
	s_xor_b64 s[0:1], exec, s[0:1]
	s_cbranch_execz .LBB5080_116
; %bb.111:
	v_cmp_lt_i64_e32 vcc, 2, v[0:1]
	s_and_saveexec_b64 s[2:3], vcc
	s_xor_b64 s[2:3], exec, s[2:3]
	s_cbranch_execz .LBB5080_113
; %bb.112:
	ds_read_b32 v0, v2 offset:1536
	v_mov_b32_e32 v1, 0
                                        ; implicit-def: $vgpr2
	s_waitcnt lgkmcnt(0)
	global_store_dword v1, v0, s[10:11]
.LBB5080_113:
	s_andn2_saveexec_b64 s[2:3], s[2:3]
	s_cbranch_execz .LBB5080_115
; %bb.114:
	ds_read_b32 v0, v2 offset:1024
	v_mov_b32_e32 v1, 0
	s_waitcnt lgkmcnt(0)
	global_store_dword v1, v0, s[10:11]
.LBB5080_115:
	s_or_b64 exec, exec, s[2:3]
                                        ; implicit-def: $vgpr2
                                        ; implicit-def: $vgpr0_vgpr1
.LBB5080_116:
	s_andn2_saveexec_b64 s[0:1], s[0:1]
	s_cbranch_execz .LBB5080_121
; %bb.117:
	v_cmp_ne_u64_e32 vcc, 1, v[0:1]
	s_and_saveexec_b64 s[0:1], vcc
	s_xor_b64 s[0:1], exec, s[0:1]
	s_cbranch_execz .LBB5080_119
; %bb.118:
	ds_read_b32 v0, v2
	v_mov_b32_e32 v1, 0
                                        ; implicit-def: $vgpr2
	s_waitcnt lgkmcnt(0)
	global_store_dword v1, v0, s[10:11]
.LBB5080_119:
	s_andn2_saveexec_b64 s[0:1], s[0:1]
	s_cbranch_execz .LBB5080_121
; %bb.120:
	ds_read_b32 v0, v2 offset:512
	v_mov_b32_e32 v1, 0
	s_waitcnt lgkmcnt(0)
	global_store_dword v1, v0, s[10:11]
.LBB5080_121:
	s_endpgm
	.section	.rodata,"a",@progbits
	.p2align	6, 0x0
	.amdhsa_kernel _ZN7rocprim17ROCPRIM_400000_NS6detail17trampoline_kernelINS0_14default_configENS1_20scan_config_selectorIfEEZZNS1_9scan_implILNS1_25lookback_scan_determinismE0ELb1ELb1ES3_N6thrust23THRUST_200600_302600_NS6detail15normal_iteratorINS9_10device_ptrIfEEEENS9_16discard_iteratorINS9_11use_defaultEEEfNS9_4plusIvEEfEEDaPvRmT3_T4_T5_mT6_P12ihipStream_tbENKUlT_T0_E_clISt17integral_constantIbLb0EESX_EEDaSS_ST_EUlSS_E_NS1_11comp_targetILNS1_3genE4ELNS1_11target_archE910ELNS1_3gpuE8ELNS1_3repE0EEENS1_30default_config_static_selectorELNS0_4arch9wavefront6targetE1EEEvT1_
		.amdhsa_group_segment_fixed_size 7168
		.amdhsa_private_segment_fixed_size 0
		.amdhsa_kernarg_size 104
		.amdhsa_user_sgpr_count 6
		.amdhsa_user_sgpr_private_segment_buffer 1
		.amdhsa_user_sgpr_dispatch_ptr 0
		.amdhsa_user_sgpr_queue_ptr 0
		.amdhsa_user_sgpr_kernarg_segment_ptr 1
		.amdhsa_user_sgpr_dispatch_id 0
		.amdhsa_user_sgpr_flat_scratch_init 0
		.amdhsa_user_sgpr_kernarg_preload_length 0
		.amdhsa_user_sgpr_kernarg_preload_offset 0
		.amdhsa_user_sgpr_private_segment_size 0
		.amdhsa_uses_dynamic_stack 0
		.amdhsa_system_sgpr_private_segment_wavefront_offset 0
		.amdhsa_system_sgpr_workgroup_id_x 1
		.amdhsa_system_sgpr_workgroup_id_y 0
		.amdhsa_system_sgpr_workgroup_id_z 0
		.amdhsa_system_sgpr_workgroup_info 0
		.amdhsa_system_vgpr_workitem_id 0
		.amdhsa_next_free_vgpr 48
		.amdhsa_next_free_sgpr 25
		.amdhsa_accum_offset 48
		.amdhsa_reserve_vcc 1
		.amdhsa_reserve_flat_scratch 0
		.amdhsa_float_round_mode_32 0
		.amdhsa_float_round_mode_16_64 0
		.amdhsa_float_denorm_mode_32 3
		.amdhsa_float_denorm_mode_16_64 3
		.amdhsa_dx10_clamp 1
		.amdhsa_ieee_mode 1
		.amdhsa_fp16_overflow 0
		.amdhsa_tg_split 0
		.amdhsa_exception_fp_ieee_invalid_op 0
		.amdhsa_exception_fp_denorm_src 0
		.amdhsa_exception_fp_ieee_div_zero 0
		.amdhsa_exception_fp_ieee_overflow 0
		.amdhsa_exception_fp_ieee_underflow 0
		.amdhsa_exception_fp_ieee_inexact 0
		.amdhsa_exception_int_div_zero 0
	.end_amdhsa_kernel
	.section	.text._ZN7rocprim17ROCPRIM_400000_NS6detail17trampoline_kernelINS0_14default_configENS1_20scan_config_selectorIfEEZZNS1_9scan_implILNS1_25lookback_scan_determinismE0ELb1ELb1ES3_N6thrust23THRUST_200600_302600_NS6detail15normal_iteratorINS9_10device_ptrIfEEEENS9_16discard_iteratorINS9_11use_defaultEEEfNS9_4plusIvEEfEEDaPvRmT3_T4_T5_mT6_P12ihipStream_tbENKUlT_T0_E_clISt17integral_constantIbLb0EESX_EEDaSS_ST_EUlSS_E_NS1_11comp_targetILNS1_3genE4ELNS1_11target_archE910ELNS1_3gpuE8ELNS1_3repE0EEENS1_30default_config_static_selectorELNS0_4arch9wavefront6targetE1EEEvT1_,"axG",@progbits,_ZN7rocprim17ROCPRIM_400000_NS6detail17trampoline_kernelINS0_14default_configENS1_20scan_config_selectorIfEEZZNS1_9scan_implILNS1_25lookback_scan_determinismE0ELb1ELb1ES3_N6thrust23THRUST_200600_302600_NS6detail15normal_iteratorINS9_10device_ptrIfEEEENS9_16discard_iteratorINS9_11use_defaultEEEfNS9_4plusIvEEfEEDaPvRmT3_T4_T5_mT6_P12ihipStream_tbENKUlT_T0_E_clISt17integral_constantIbLb0EESX_EEDaSS_ST_EUlSS_E_NS1_11comp_targetILNS1_3genE4ELNS1_11target_archE910ELNS1_3gpuE8ELNS1_3repE0EEENS1_30default_config_static_selectorELNS0_4arch9wavefront6targetE1EEEvT1_,comdat
.Lfunc_end5080:
	.size	_ZN7rocprim17ROCPRIM_400000_NS6detail17trampoline_kernelINS0_14default_configENS1_20scan_config_selectorIfEEZZNS1_9scan_implILNS1_25lookback_scan_determinismE0ELb1ELb1ES3_N6thrust23THRUST_200600_302600_NS6detail15normal_iteratorINS9_10device_ptrIfEEEENS9_16discard_iteratorINS9_11use_defaultEEEfNS9_4plusIvEEfEEDaPvRmT3_T4_T5_mT6_P12ihipStream_tbENKUlT_T0_E_clISt17integral_constantIbLb0EESX_EEDaSS_ST_EUlSS_E_NS1_11comp_targetILNS1_3genE4ELNS1_11target_archE910ELNS1_3gpuE8ELNS1_3repE0EEENS1_30default_config_static_selectorELNS0_4arch9wavefront6targetE1EEEvT1_, .Lfunc_end5080-_ZN7rocprim17ROCPRIM_400000_NS6detail17trampoline_kernelINS0_14default_configENS1_20scan_config_selectorIfEEZZNS1_9scan_implILNS1_25lookback_scan_determinismE0ELb1ELb1ES3_N6thrust23THRUST_200600_302600_NS6detail15normal_iteratorINS9_10device_ptrIfEEEENS9_16discard_iteratorINS9_11use_defaultEEEfNS9_4plusIvEEfEEDaPvRmT3_T4_T5_mT6_P12ihipStream_tbENKUlT_T0_E_clISt17integral_constantIbLb0EESX_EEDaSS_ST_EUlSS_E_NS1_11comp_targetILNS1_3genE4ELNS1_11target_archE910ELNS1_3gpuE8ELNS1_3repE0EEENS1_30default_config_static_selectorELNS0_4arch9wavefront6targetE1EEEvT1_
                                        ; -- End function
	.section	.AMDGPU.csdata,"",@progbits
; Kernel info:
; codeLenInByte = 4824
; NumSgprs: 29
; NumVgprs: 48
; NumAgprs: 0
; TotalNumVgprs: 48
; ScratchSize: 0
; MemoryBound: 0
; FloatMode: 240
; IeeeMode: 1
; LDSByteSize: 7168 bytes/workgroup (compile time only)
; SGPRBlocks: 3
; VGPRBlocks: 5
; NumSGPRsForWavesPerEU: 29
; NumVGPRsForWavesPerEU: 48
; AccumOffset: 48
; Occupancy: 5
; WaveLimiterHint : 1
; COMPUTE_PGM_RSRC2:SCRATCH_EN: 0
; COMPUTE_PGM_RSRC2:USER_SGPR: 6
; COMPUTE_PGM_RSRC2:TRAP_HANDLER: 0
; COMPUTE_PGM_RSRC2:TGID_X_EN: 1
; COMPUTE_PGM_RSRC2:TGID_Y_EN: 0
; COMPUTE_PGM_RSRC2:TGID_Z_EN: 0
; COMPUTE_PGM_RSRC2:TIDIG_COMP_CNT: 0
; COMPUTE_PGM_RSRC3_GFX90A:ACCUM_OFFSET: 11
; COMPUTE_PGM_RSRC3_GFX90A:TG_SPLIT: 0
	.section	.text._ZN7rocprim17ROCPRIM_400000_NS6detail17trampoline_kernelINS0_14default_configENS1_20scan_config_selectorIfEEZZNS1_9scan_implILNS1_25lookback_scan_determinismE0ELb1ELb1ES3_N6thrust23THRUST_200600_302600_NS6detail15normal_iteratorINS9_10device_ptrIfEEEENS9_16discard_iteratorINS9_11use_defaultEEEfNS9_4plusIvEEfEEDaPvRmT3_T4_T5_mT6_P12ihipStream_tbENKUlT_T0_E_clISt17integral_constantIbLb0EESX_EEDaSS_ST_EUlSS_E_NS1_11comp_targetILNS1_3genE3ELNS1_11target_archE908ELNS1_3gpuE7ELNS1_3repE0EEENS1_30default_config_static_selectorELNS0_4arch9wavefront6targetE1EEEvT1_,"axG",@progbits,_ZN7rocprim17ROCPRIM_400000_NS6detail17trampoline_kernelINS0_14default_configENS1_20scan_config_selectorIfEEZZNS1_9scan_implILNS1_25lookback_scan_determinismE0ELb1ELb1ES3_N6thrust23THRUST_200600_302600_NS6detail15normal_iteratorINS9_10device_ptrIfEEEENS9_16discard_iteratorINS9_11use_defaultEEEfNS9_4plusIvEEfEEDaPvRmT3_T4_T5_mT6_P12ihipStream_tbENKUlT_T0_E_clISt17integral_constantIbLb0EESX_EEDaSS_ST_EUlSS_E_NS1_11comp_targetILNS1_3genE3ELNS1_11target_archE908ELNS1_3gpuE7ELNS1_3repE0EEENS1_30default_config_static_selectorELNS0_4arch9wavefront6targetE1EEEvT1_,comdat
	.protected	_ZN7rocprim17ROCPRIM_400000_NS6detail17trampoline_kernelINS0_14default_configENS1_20scan_config_selectorIfEEZZNS1_9scan_implILNS1_25lookback_scan_determinismE0ELb1ELb1ES3_N6thrust23THRUST_200600_302600_NS6detail15normal_iteratorINS9_10device_ptrIfEEEENS9_16discard_iteratorINS9_11use_defaultEEEfNS9_4plusIvEEfEEDaPvRmT3_T4_T5_mT6_P12ihipStream_tbENKUlT_T0_E_clISt17integral_constantIbLb0EESX_EEDaSS_ST_EUlSS_E_NS1_11comp_targetILNS1_3genE3ELNS1_11target_archE908ELNS1_3gpuE7ELNS1_3repE0EEENS1_30default_config_static_selectorELNS0_4arch9wavefront6targetE1EEEvT1_ ; -- Begin function _ZN7rocprim17ROCPRIM_400000_NS6detail17trampoline_kernelINS0_14default_configENS1_20scan_config_selectorIfEEZZNS1_9scan_implILNS1_25lookback_scan_determinismE0ELb1ELb1ES3_N6thrust23THRUST_200600_302600_NS6detail15normal_iteratorINS9_10device_ptrIfEEEENS9_16discard_iteratorINS9_11use_defaultEEEfNS9_4plusIvEEfEEDaPvRmT3_T4_T5_mT6_P12ihipStream_tbENKUlT_T0_E_clISt17integral_constantIbLb0EESX_EEDaSS_ST_EUlSS_E_NS1_11comp_targetILNS1_3genE3ELNS1_11target_archE908ELNS1_3gpuE7ELNS1_3repE0EEENS1_30default_config_static_selectorELNS0_4arch9wavefront6targetE1EEEvT1_
	.globl	_ZN7rocprim17ROCPRIM_400000_NS6detail17trampoline_kernelINS0_14default_configENS1_20scan_config_selectorIfEEZZNS1_9scan_implILNS1_25lookback_scan_determinismE0ELb1ELb1ES3_N6thrust23THRUST_200600_302600_NS6detail15normal_iteratorINS9_10device_ptrIfEEEENS9_16discard_iteratorINS9_11use_defaultEEEfNS9_4plusIvEEfEEDaPvRmT3_T4_T5_mT6_P12ihipStream_tbENKUlT_T0_E_clISt17integral_constantIbLb0EESX_EEDaSS_ST_EUlSS_E_NS1_11comp_targetILNS1_3genE3ELNS1_11target_archE908ELNS1_3gpuE7ELNS1_3repE0EEENS1_30default_config_static_selectorELNS0_4arch9wavefront6targetE1EEEvT1_
	.p2align	8
	.type	_ZN7rocprim17ROCPRIM_400000_NS6detail17trampoline_kernelINS0_14default_configENS1_20scan_config_selectorIfEEZZNS1_9scan_implILNS1_25lookback_scan_determinismE0ELb1ELb1ES3_N6thrust23THRUST_200600_302600_NS6detail15normal_iteratorINS9_10device_ptrIfEEEENS9_16discard_iteratorINS9_11use_defaultEEEfNS9_4plusIvEEfEEDaPvRmT3_T4_T5_mT6_P12ihipStream_tbENKUlT_T0_E_clISt17integral_constantIbLb0EESX_EEDaSS_ST_EUlSS_E_NS1_11comp_targetILNS1_3genE3ELNS1_11target_archE908ELNS1_3gpuE7ELNS1_3repE0EEENS1_30default_config_static_selectorELNS0_4arch9wavefront6targetE1EEEvT1_,@function
_ZN7rocprim17ROCPRIM_400000_NS6detail17trampoline_kernelINS0_14default_configENS1_20scan_config_selectorIfEEZZNS1_9scan_implILNS1_25lookback_scan_determinismE0ELb1ELb1ES3_N6thrust23THRUST_200600_302600_NS6detail15normal_iteratorINS9_10device_ptrIfEEEENS9_16discard_iteratorINS9_11use_defaultEEEfNS9_4plusIvEEfEEDaPvRmT3_T4_T5_mT6_P12ihipStream_tbENKUlT_T0_E_clISt17integral_constantIbLb0EESX_EEDaSS_ST_EUlSS_E_NS1_11comp_targetILNS1_3genE3ELNS1_11target_archE908ELNS1_3gpuE7ELNS1_3repE0EEENS1_30default_config_static_selectorELNS0_4arch9wavefront6targetE1EEEvT1_: ; @_ZN7rocprim17ROCPRIM_400000_NS6detail17trampoline_kernelINS0_14default_configENS1_20scan_config_selectorIfEEZZNS1_9scan_implILNS1_25lookback_scan_determinismE0ELb1ELb1ES3_N6thrust23THRUST_200600_302600_NS6detail15normal_iteratorINS9_10device_ptrIfEEEENS9_16discard_iteratorINS9_11use_defaultEEEfNS9_4plusIvEEfEEDaPvRmT3_T4_T5_mT6_P12ihipStream_tbENKUlT_T0_E_clISt17integral_constantIbLb0EESX_EEDaSS_ST_EUlSS_E_NS1_11comp_targetILNS1_3genE3ELNS1_11target_archE908ELNS1_3gpuE7ELNS1_3repE0EEENS1_30default_config_static_selectorELNS0_4arch9wavefront6targetE1EEEvT1_
; %bb.0:
	.section	.rodata,"a",@progbits
	.p2align	6, 0x0
	.amdhsa_kernel _ZN7rocprim17ROCPRIM_400000_NS6detail17trampoline_kernelINS0_14default_configENS1_20scan_config_selectorIfEEZZNS1_9scan_implILNS1_25lookback_scan_determinismE0ELb1ELb1ES3_N6thrust23THRUST_200600_302600_NS6detail15normal_iteratorINS9_10device_ptrIfEEEENS9_16discard_iteratorINS9_11use_defaultEEEfNS9_4plusIvEEfEEDaPvRmT3_T4_T5_mT6_P12ihipStream_tbENKUlT_T0_E_clISt17integral_constantIbLb0EESX_EEDaSS_ST_EUlSS_E_NS1_11comp_targetILNS1_3genE3ELNS1_11target_archE908ELNS1_3gpuE7ELNS1_3repE0EEENS1_30default_config_static_selectorELNS0_4arch9wavefront6targetE1EEEvT1_
		.amdhsa_group_segment_fixed_size 0
		.amdhsa_private_segment_fixed_size 0
		.amdhsa_kernarg_size 104
		.amdhsa_user_sgpr_count 6
		.amdhsa_user_sgpr_private_segment_buffer 1
		.amdhsa_user_sgpr_dispatch_ptr 0
		.amdhsa_user_sgpr_queue_ptr 0
		.amdhsa_user_sgpr_kernarg_segment_ptr 1
		.amdhsa_user_sgpr_dispatch_id 0
		.amdhsa_user_sgpr_flat_scratch_init 0
		.amdhsa_user_sgpr_kernarg_preload_length 0
		.amdhsa_user_sgpr_kernarg_preload_offset 0
		.amdhsa_user_sgpr_private_segment_size 0
		.amdhsa_uses_dynamic_stack 0
		.amdhsa_system_sgpr_private_segment_wavefront_offset 0
		.amdhsa_system_sgpr_workgroup_id_x 1
		.amdhsa_system_sgpr_workgroup_id_y 0
		.amdhsa_system_sgpr_workgroup_id_z 0
		.amdhsa_system_sgpr_workgroup_info 0
		.amdhsa_system_vgpr_workitem_id 0
		.amdhsa_next_free_vgpr 1
		.amdhsa_next_free_sgpr 0
		.amdhsa_accum_offset 4
		.amdhsa_reserve_vcc 0
		.amdhsa_reserve_flat_scratch 0
		.amdhsa_float_round_mode_32 0
		.amdhsa_float_round_mode_16_64 0
		.amdhsa_float_denorm_mode_32 3
		.amdhsa_float_denorm_mode_16_64 3
		.amdhsa_dx10_clamp 1
		.amdhsa_ieee_mode 1
		.amdhsa_fp16_overflow 0
		.amdhsa_tg_split 0
		.amdhsa_exception_fp_ieee_invalid_op 0
		.amdhsa_exception_fp_denorm_src 0
		.amdhsa_exception_fp_ieee_div_zero 0
		.amdhsa_exception_fp_ieee_overflow 0
		.amdhsa_exception_fp_ieee_underflow 0
		.amdhsa_exception_fp_ieee_inexact 0
		.amdhsa_exception_int_div_zero 0
	.end_amdhsa_kernel
	.section	.text._ZN7rocprim17ROCPRIM_400000_NS6detail17trampoline_kernelINS0_14default_configENS1_20scan_config_selectorIfEEZZNS1_9scan_implILNS1_25lookback_scan_determinismE0ELb1ELb1ES3_N6thrust23THRUST_200600_302600_NS6detail15normal_iteratorINS9_10device_ptrIfEEEENS9_16discard_iteratorINS9_11use_defaultEEEfNS9_4plusIvEEfEEDaPvRmT3_T4_T5_mT6_P12ihipStream_tbENKUlT_T0_E_clISt17integral_constantIbLb0EESX_EEDaSS_ST_EUlSS_E_NS1_11comp_targetILNS1_3genE3ELNS1_11target_archE908ELNS1_3gpuE7ELNS1_3repE0EEENS1_30default_config_static_selectorELNS0_4arch9wavefront6targetE1EEEvT1_,"axG",@progbits,_ZN7rocprim17ROCPRIM_400000_NS6detail17trampoline_kernelINS0_14default_configENS1_20scan_config_selectorIfEEZZNS1_9scan_implILNS1_25lookback_scan_determinismE0ELb1ELb1ES3_N6thrust23THRUST_200600_302600_NS6detail15normal_iteratorINS9_10device_ptrIfEEEENS9_16discard_iteratorINS9_11use_defaultEEEfNS9_4plusIvEEfEEDaPvRmT3_T4_T5_mT6_P12ihipStream_tbENKUlT_T0_E_clISt17integral_constantIbLb0EESX_EEDaSS_ST_EUlSS_E_NS1_11comp_targetILNS1_3genE3ELNS1_11target_archE908ELNS1_3gpuE7ELNS1_3repE0EEENS1_30default_config_static_selectorELNS0_4arch9wavefront6targetE1EEEvT1_,comdat
.Lfunc_end5081:
	.size	_ZN7rocprim17ROCPRIM_400000_NS6detail17trampoline_kernelINS0_14default_configENS1_20scan_config_selectorIfEEZZNS1_9scan_implILNS1_25lookback_scan_determinismE0ELb1ELb1ES3_N6thrust23THRUST_200600_302600_NS6detail15normal_iteratorINS9_10device_ptrIfEEEENS9_16discard_iteratorINS9_11use_defaultEEEfNS9_4plusIvEEfEEDaPvRmT3_T4_T5_mT6_P12ihipStream_tbENKUlT_T0_E_clISt17integral_constantIbLb0EESX_EEDaSS_ST_EUlSS_E_NS1_11comp_targetILNS1_3genE3ELNS1_11target_archE908ELNS1_3gpuE7ELNS1_3repE0EEENS1_30default_config_static_selectorELNS0_4arch9wavefront6targetE1EEEvT1_, .Lfunc_end5081-_ZN7rocprim17ROCPRIM_400000_NS6detail17trampoline_kernelINS0_14default_configENS1_20scan_config_selectorIfEEZZNS1_9scan_implILNS1_25lookback_scan_determinismE0ELb1ELb1ES3_N6thrust23THRUST_200600_302600_NS6detail15normal_iteratorINS9_10device_ptrIfEEEENS9_16discard_iteratorINS9_11use_defaultEEEfNS9_4plusIvEEfEEDaPvRmT3_T4_T5_mT6_P12ihipStream_tbENKUlT_T0_E_clISt17integral_constantIbLb0EESX_EEDaSS_ST_EUlSS_E_NS1_11comp_targetILNS1_3genE3ELNS1_11target_archE908ELNS1_3gpuE7ELNS1_3repE0EEENS1_30default_config_static_selectorELNS0_4arch9wavefront6targetE1EEEvT1_
                                        ; -- End function
	.section	.AMDGPU.csdata,"",@progbits
; Kernel info:
; codeLenInByte = 0
; NumSgprs: 4
; NumVgprs: 0
; NumAgprs: 0
; TotalNumVgprs: 0
; ScratchSize: 0
; MemoryBound: 0
; FloatMode: 240
; IeeeMode: 1
; LDSByteSize: 0 bytes/workgroup (compile time only)
; SGPRBlocks: 0
; VGPRBlocks: 0
; NumSGPRsForWavesPerEU: 4
; NumVGPRsForWavesPerEU: 1
; AccumOffset: 4
; Occupancy: 8
; WaveLimiterHint : 0
; COMPUTE_PGM_RSRC2:SCRATCH_EN: 0
; COMPUTE_PGM_RSRC2:USER_SGPR: 6
; COMPUTE_PGM_RSRC2:TRAP_HANDLER: 0
; COMPUTE_PGM_RSRC2:TGID_X_EN: 1
; COMPUTE_PGM_RSRC2:TGID_Y_EN: 0
; COMPUTE_PGM_RSRC2:TGID_Z_EN: 0
; COMPUTE_PGM_RSRC2:TIDIG_COMP_CNT: 0
; COMPUTE_PGM_RSRC3_GFX90A:ACCUM_OFFSET: 0
; COMPUTE_PGM_RSRC3_GFX90A:TG_SPLIT: 0
	.section	.text._ZN7rocprim17ROCPRIM_400000_NS6detail17trampoline_kernelINS0_14default_configENS1_20scan_config_selectorIfEEZZNS1_9scan_implILNS1_25lookback_scan_determinismE0ELb1ELb1ES3_N6thrust23THRUST_200600_302600_NS6detail15normal_iteratorINS9_10device_ptrIfEEEENS9_16discard_iteratorINS9_11use_defaultEEEfNS9_4plusIvEEfEEDaPvRmT3_T4_T5_mT6_P12ihipStream_tbENKUlT_T0_E_clISt17integral_constantIbLb0EESX_EEDaSS_ST_EUlSS_E_NS1_11comp_targetILNS1_3genE2ELNS1_11target_archE906ELNS1_3gpuE6ELNS1_3repE0EEENS1_30default_config_static_selectorELNS0_4arch9wavefront6targetE1EEEvT1_,"axG",@progbits,_ZN7rocprim17ROCPRIM_400000_NS6detail17trampoline_kernelINS0_14default_configENS1_20scan_config_selectorIfEEZZNS1_9scan_implILNS1_25lookback_scan_determinismE0ELb1ELb1ES3_N6thrust23THRUST_200600_302600_NS6detail15normal_iteratorINS9_10device_ptrIfEEEENS9_16discard_iteratorINS9_11use_defaultEEEfNS9_4plusIvEEfEEDaPvRmT3_T4_T5_mT6_P12ihipStream_tbENKUlT_T0_E_clISt17integral_constantIbLb0EESX_EEDaSS_ST_EUlSS_E_NS1_11comp_targetILNS1_3genE2ELNS1_11target_archE906ELNS1_3gpuE6ELNS1_3repE0EEENS1_30default_config_static_selectorELNS0_4arch9wavefront6targetE1EEEvT1_,comdat
	.protected	_ZN7rocprim17ROCPRIM_400000_NS6detail17trampoline_kernelINS0_14default_configENS1_20scan_config_selectorIfEEZZNS1_9scan_implILNS1_25lookback_scan_determinismE0ELb1ELb1ES3_N6thrust23THRUST_200600_302600_NS6detail15normal_iteratorINS9_10device_ptrIfEEEENS9_16discard_iteratorINS9_11use_defaultEEEfNS9_4plusIvEEfEEDaPvRmT3_T4_T5_mT6_P12ihipStream_tbENKUlT_T0_E_clISt17integral_constantIbLb0EESX_EEDaSS_ST_EUlSS_E_NS1_11comp_targetILNS1_3genE2ELNS1_11target_archE906ELNS1_3gpuE6ELNS1_3repE0EEENS1_30default_config_static_selectorELNS0_4arch9wavefront6targetE1EEEvT1_ ; -- Begin function _ZN7rocprim17ROCPRIM_400000_NS6detail17trampoline_kernelINS0_14default_configENS1_20scan_config_selectorIfEEZZNS1_9scan_implILNS1_25lookback_scan_determinismE0ELb1ELb1ES3_N6thrust23THRUST_200600_302600_NS6detail15normal_iteratorINS9_10device_ptrIfEEEENS9_16discard_iteratorINS9_11use_defaultEEEfNS9_4plusIvEEfEEDaPvRmT3_T4_T5_mT6_P12ihipStream_tbENKUlT_T0_E_clISt17integral_constantIbLb0EESX_EEDaSS_ST_EUlSS_E_NS1_11comp_targetILNS1_3genE2ELNS1_11target_archE906ELNS1_3gpuE6ELNS1_3repE0EEENS1_30default_config_static_selectorELNS0_4arch9wavefront6targetE1EEEvT1_
	.globl	_ZN7rocprim17ROCPRIM_400000_NS6detail17trampoline_kernelINS0_14default_configENS1_20scan_config_selectorIfEEZZNS1_9scan_implILNS1_25lookback_scan_determinismE0ELb1ELb1ES3_N6thrust23THRUST_200600_302600_NS6detail15normal_iteratorINS9_10device_ptrIfEEEENS9_16discard_iteratorINS9_11use_defaultEEEfNS9_4plusIvEEfEEDaPvRmT3_T4_T5_mT6_P12ihipStream_tbENKUlT_T0_E_clISt17integral_constantIbLb0EESX_EEDaSS_ST_EUlSS_E_NS1_11comp_targetILNS1_3genE2ELNS1_11target_archE906ELNS1_3gpuE6ELNS1_3repE0EEENS1_30default_config_static_selectorELNS0_4arch9wavefront6targetE1EEEvT1_
	.p2align	8
	.type	_ZN7rocprim17ROCPRIM_400000_NS6detail17trampoline_kernelINS0_14default_configENS1_20scan_config_selectorIfEEZZNS1_9scan_implILNS1_25lookback_scan_determinismE0ELb1ELb1ES3_N6thrust23THRUST_200600_302600_NS6detail15normal_iteratorINS9_10device_ptrIfEEEENS9_16discard_iteratorINS9_11use_defaultEEEfNS9_4plusIvEEfEEDaPvRmT3_T4_T5_mT6_P12ihipStream_tbENKUlT_T0_E_clISt17integral_constantIbLb0EESX_EEDaSS_ST_EUlSS_E_NS1_11comp_targetILNS1_3genE2ELNS1_11target_archE906ELNS1_3gpuE6ELNS1_3repE0EEENS1_30default_config_static_selectorELNS0_4arch9wavefront6targetE1EEEvT1_,@function
_ZN7rocprim17ROCPRIM_400000_NS6detail17trampoline_kernelINS0_14default_configENS1_20scan_config_selectorIfEEZZNS1_9scan_implILNS1_25lookback_scan_determinismE0ELb1ELb1ES3_N6thrust23THRUST_200600_302600_NS6detail15normal_iteratorINS9_10device_ptrIfEEEENS9_16discard_iteratorINS9_11use_defaultEEEfNS9_4plusIvEEfEEDaPvRmT3_T4_T5_mT6_P12ihipStream_tbENKUlT_T0_E_clISt17integral_constantIbLb0EESX_EEDaSS_ST_EUlSS_E_NS1_11comp_targetILNS1_3genE2ELNS1_11target_archE906ELNS1_3gpuE6ELNS1_3repE0EEENS1_30default_config_static_selectorELNS0_4arch9wavefront6targetE1EEEvT1_: ; @_ZN7rocprim17ROCPRIM_400000_NS6detail17trampoline_kernelINS0_14default_configENS1_20scan_config_selectorIfEEZZNS1_9scan_implILNS1_25lookback_scan_determinismE0ELb1ELb1ES3_N6thrust23THRUST_200600_302600_NS6detail15normal_iteratorINS9_10device_ptrIfEEEENS9_16discard_iteratorINS9_11use_defaultEEEfNS9_4plusIvEEfEEDaPvRmT3_T4_T5_mT6_P12ihipStream_tbENKUlT_T0_E_clISt17integral_constantIbLb0EESX_EEDaSS_ST_EUlSS_E_NS1_11comp_targetILNS1_3genE2ELNS1_11target_archE906ELNS1_3gpuE6ELNS1_3repE0EEENS1_30default_config_static_selectorELNS0_4arch9wavefront6targetE1EEEvT1_
; %bb.0:
	.section	.rodata,"a",@progbits
	.p2align	6, 0x0
	.amdhsa_kernel _ZN7rocprim17ROCPRIM_400000_NS6detail17trampoline_kernelINS0_14default_configENS1_20scan_config_selectorIfEEZZNS1_9scan_implILNS1_25lookback_scan_determinismE0ELb1ELb1ES3_N6thrust23THRUST_200600_302600_NS6detail15normal_iteratorINS9_10device_ptrIfEEEENS9_16discard_iteratorINS9_11use_defaultEEEfNS9_4plusIvEEfEEDaPvRmT3_T4_T5_mT6_P12ihipStream_tbENKUlT_T0_E_clISt17integral_constantIbLb0EESX_EEDaSS_ST_EUlSS_E_NS1_11comp_targetILNS1_3genE2ELNS1_11target_archE906ELNS1_3gpuE6ELNS1_3repE0EEENS1_30default_config_static_selectorELNS0_4arch9wavefront6targetE1EEEvT1_
		.amdhsa_group_segment_fixed_size 0
		.amdhsa_private_segment_fixed_size 0
		.amdhsa_kernarg_size 104
		.amdhsa_user_sgpr_count 6
		.amdhsa_user_sgpr_private_segment_buffer 1
		.amdhsa_user_sgpr_dispatch_ptr 0
		.amdhsa_user_sgpr_queue_ptr 0
		.amdhsa_user_sgpr_kernarg_segment_ptr 1
		.amdhsa_user_sgpr_dispatch_id 0
		.amdhsa_user_sgpr_flat_scratch_init 0
		.amdhsa_user_sgpr_kernarg_preload_length 0
		.amdhsa_user_sgpr_kernarg_preload_offset 0
		.amdhsa_user_sgpr_private_segment_size 0
		.amdhsa_uses_dynamic_stack 0
		.amdhsa_system_sgpr_private_segment_wavefront_offset 0
		.amdhsa_system_sgpr_workgroup_id_x 1
		.amdhsa_system_sgpr_workgroup_id_y 0
		.amdhsa_system_sgpr_workgroup_id_z 0
		.amdhsa_system_sgpr_workgroup_info 0
		.amdhsa_system_vgpr_workitem_id 0
		.amdhsa_next_free_vgpr 1
		.amdhsa_next_free_sgpr 0
		.amdhsa_accum_offset 4
		.amdhsa_reserve_vcc 0
		.amdhsa_reserve_flat_scratch 0
		.amdhsa_float_round_mode_32 0
		.amdhsa_float_round_mode_16_64 0
		.amdhsa_float_denorm_mode_32 3
		.amdhsa_float_denorm_mode_16_64 3
		.amdhsa_dx10_clamp 1
		.amdhsa_ieee_mode 1
		.amdhsa_fp16_overflow 0
		.amdhsa_tg_split 0
		.amdhsa_exception_fp_ieee_invalid_op 0
		.amdhsa_exception_fp_denorm_src 0
		.amdhsa_exception_fp_ieee_div_zero 0
		.amdhsa_exception_fp_ieee_overflow 0
		.amdhsa_exception_fp_ieee_underflow 0
		.amdhsa_exception_fp_ieee_inexact 0
		.amdhsa_exception_int_div_zero 0
	.end_amdhsa_kernel
	.section	.text._ZN7rocprim17ROCPRIM_400000_NS6detail17trampoline_kernelINS0_14default_configENS1_20scan_config_selectorIfEEZZNS1_9scan_implILNS1_25lookback_scan_determinismE0ELb1ELb1ES3_N6thrust23THRUST_200600_302600_NS6detail15normal_iteratorINS9_10device_ptrIfEEEENS9_16discard_iteratorINS9_11use_defaultEEEfNS9_4plusIvEEfEEDaPvRmT3_T4_T5_mT6_P12ihipStream_tbENKUlT_T0_E_clISt17integral_constantIbLb0EESX_EEDaSS_ST_EUlSS_E_NS1_11comp_targetILNS1_3genE2ELNS1_11target_archE906ELNS1_3gpuE6ELNS1_3repE0EEENS1_30default_config_static_selectorELNS0_4arch9wavefront6targetE1EEEvT1_,"axG",@progbits,_ZN7rocprim17ROCPRIM_400000_NS6detail17trampoline_kernelINS0_14default_configENS1_20scan_config_selectorIfEEZZNS1_9scan_implILNS1_25lookback_scan_determinismE0ELb1ELb1ES3_N6thrust23THRUST_200600_302600_NS6detail15normal_iteratorINS9_10device_ptrIfEEEENS9_16discard_iteratorINS9_11use_defaultEEEfNS9_4plusIvEEfEEDaPvRmT3_T4_T5_mT6_P12ihipStream_tbENKUlT_T0_E_clISt17integral_constantIbLb0EESX_EEDaSS_ST_EUlSS_E_NS1_11comp_targetILNS1_3genE2ELNS1_11target_archE906ELNS1_3gpuE6ELNS1_3repE0EEENS1_30default_config_static_selectorELNS0_4arch9wavefront6targetE1EEEvT1_,comdat
.Lfunc_end5082:
	.size	_ZN7rocprim17ROCPRIM_400000_NS6detail17trampoline_kernelINS0_14default_configENS1_20scan_config_selectorIfEEZZNS1_9scan_implILNS1_25lookback_scan_determinismE0ELb1ELb1ES3_N6thrust23THRUST_200600_302600_NS6detail15normal_iteratorINS9_10device_ptrIfEEEENS9_16discard_iteratorINS9_11use_defaultEEEfNS9_4plusIvEEfEEDaPvRmT3_T4_T5_mT6_P12ihipStream_tbENKUlT_T0_E_clISt17integral_constantIbLb0EESX_EEDaSS_ST_EUlSS_E_NS1_11comp_targetILNS1_3genE2ELNS1_11target_archE906ELNS1_3gpuE6ELNS1_3repE0EEENS1_30default_config_static_selectorELNS0_4arch9wavefront6targetE1EEEvT1_, .Lfunc_end5082-_ZN7rocprim17ROCPRIM_400000_NS6detail17trampoline_kernelINS0_14default_configENS1_20scan_config_selectorIfEEZZNS1_9scan_implILNS1_25lookback_scan_determinismE0ELb1ELb1ES3_N6thrust23THRUST_200600_302600_NS6detail15normal_iteratorINS9_10device_ptrIfEEEENS9_16discard_iteratorINS9_11use_defaultEEEfNS9_4plusIvEEfEEDaPvRmT3_T4_T5_mT6_P12ihipStream_tbENKUlT_T0_E_clISt17integral_constantIbLb0EESX_EEDaSS_ST_EUlSS_E_NS1_11comp_targetILNS1_3genE2ELNS1_11target_archE906ELNS1_3gpuE6ELNS1_3repE0EEENS1_30default_config_static_selectorELNS0_4arch9wavefront6targetE1EEEvT1_
                                        ; -- End function
	.section	.AMDGPU.csdata,"",@progbits
; Kernel info:
; codeLenInByte = 0
; NumSgprs: 4
; NumVgprs: 0
; NumAgprs: 0
; TotalNumVgprs: 0
; ScratchSize: 0
; MemoryBound: 0
; FloatMode: 240
; IeeeMode: 1
; LDSByteSize: 0 bytes/workgroup (compile time only)
; SGPRBlocks: 0
; VGPRBlocks: 0
; NumSGPRsForWavesPerEU: 4
; NumVGPRsForWavesPerEU: 1
; AccumOffset: 4
; Occupancy: 8
; WaveLimiterHint : 0
; COMPUTE_PGM_RSRC2:SCRATCH_EN: 0
; COMPUTE_PGM_RSRC2:USER_SGPR: 6
; COMPUTE_PGM_RSRC2:TRAP_HANDLER: 0
; COMPUTE_PGM_RSRC2:TGID_X_EN: 1
; COMPUTE_PGM_RSRC2:TGID_Y_EN: 0
; COMPUTE_PGM_RSRC2:TGID_Z_EN: 0
; COMPUTE_PGM_RSRC2:TIDIG_COMP_CNT: 0
; COMPUTE_PGM_RSRC3_GFX90A:ACCUM_OFFSET: 0
; COMPUTE_PGM_RSRC3_GFX90A:TG_SPLIT: 0
	.section	.text._ZN7rocprim17ROCPRIM_400000_NS6detail17trampoline_kernelINS0_14default_configENS1_20scan_config_selectorIfEEZZNS1_9scan_implILNS1_25lookback_scan_determinismE0ELb1ELb1ES3_N6thrust23THRUST_200600_302600_NS6detail15normal_iteratorINS9_10device_ptrIfEEEENS9_16discard_iteratorINS9_11use_defaultEEEfNS9_4plusIvEEfEEDaPvRmT3_T4_T5_mT6_P12ihipStream_tbENKUlT_T0_E_clISt17integral_constantIbLb0EESX_EEDaSS_ST_EUlSS_E_NS1_11comp_targetILNS1_3genE10ELNS1_11target_archE1201ELNS1_3gpuE5ELNS1_3repE0EEENS1_30default_config_static_selectorELNS0_4arch9wavefront6targetE1EEEvT1_,"axG",@progbits,_ZN7rocprim17ROCPRIM_400000_NS6detail17trampoline_kernelINS0_14default_configENS1_20scan_config_selectorIfEEZZNS1_9scan_implILNS1_25lookback_scan_determinismE0ELb1ELb1ES3_N6thrust23THRUST_200600_302600_NS6detail15normal_iteratorINS9_10device_ptrIfEEEENS9_16discard_iteratorINS9_11use_defaultEEEfNS9_4plusIvEEfEEDaPvRmT3_T4_T5_mT6_P12ihipStream_tbENKUlT_T0_E_clISt17integral_constantIbLb0EESX_EEDaSS_ST_EUlSS_E_NS1_11comp_targetILNS1_3genE10ELNS1_11target_archE1201ELNS1_3gpuE5ELNS1_3repE0EEENS1_30default_config_static_selectorELNS0_4arch9wavefront6targetE1EEEvT1_,comdat
	.protected	_ZN7rocprim17ROCPRIM_400000_NS6detail17trampoline_kernelINS0_14default_configENS1_20scan_config_selectorIfEEZZNS1_9scan_implILNS1_25lookback_scan_determinismE0ELb1ELb1ES3_N6thrust23THRUST_200600_302600_NS6detail15normal_iteratorINS9_10device_ptrIfEEEENS9_16discard_iteratorINS9_11use_defaultEEEfNS9_4plusIvEEfEEDaPvRmT3_T4_T5_mT6_P12ihipStream_tbENKUlT_T0_E_clISt17integral_constantIbLb0EESX_EEDaSS_ST_EUlSS_E_NS1_11comp_targetILNS1_3genE10ELNS1_11target_archE1201ELNS1_3gpuE5ELNS1_3repE0EEENS1_30default_config_static_selectorELNS0_4arch9wavefront6targetE1EEEvT1_ ; -- Begin function _ZN7rocprim17ROCPRIM_400000_NS6detail17trampoline_kernelINS0_14default_configENS1_20scan_config_selectorIfEEZZNS1_9scan_implILNS1_25lookback_scan_determinismE0ELb1ELb1ES3_N6thrust23THRUST_200600_302600_NS6detail15normal_iteratorINS9_10device_ptrIfEEEENS9_16discard_iteratorINS9_11use_defaultEEEfNS9_4plusIvEEfEEDaPvRmT3_T4_T5_mT6_P12ihipStream_tbENKUlT_T0_E_clISt17integral_constantIbLb0EESX_EEDaSS_ST_EUlSS_E_NS1_11comp_targetILNS1_3genE10ELNS1_11target_archE1201ELNS1_3gpuE5ELNS1_3repE0EEENS1_30default_config_static_selectorELNS0_4arch9wavefront6targetE1EEEvT1_
	.globl	_ZN7rocprim17ROCPRIM_400000_NS6detail17trampoline_kernelINS0_14default_configENS1_20scan_config_selectorIfEEZZNS1_9scan_implILNS1_25lookback_scan_determinismE0ELb1ELb1ES3_N6thrust23THRUST_200600_302600_NS6detail15normal_iteratorINS9_10device_ptrIfEEEENS9_16discard_iteratorINS9_11use_defaultEEEfNS9_4plusIvEEfEEDaPvRmT3_T4_T5_mT6_P12ihipStream_tbENKUlT_T0_E_clISt17integral_constantIbLb0EESX_EEDaSS_ST_EUlSS_E_NS1_11comp_targetILNS1_3genE10ELNS1_11target_archE1201ELNS1_3gpuE5ELNS1_3repE0EEENS1_30default_config_static_selectorELNS0_4arch9wavefront6targetE1EEEvT1_
	.p2align	8
	.type	_ZN7rocprim17ROCPRIM_400000_NS6detail17trampoline_kernelINS0_14default_configENS1_20scan_config_selectorIfEEZZNS1_9scan_implILNS1_25lookback_scan_determinismE0ELb1ELb1ES3_N6thrust23THRUST_200600_302600_NS6detail15normal_iteratorINS9_10device_ptrIfEEEENS9_16discard_iteratorINS9_11use_defaultEEEfNS9_4plusIvEEfEEDaPvRmT3_T4_T5_mT6_P12ihipStream_tbENKUlT_T0_E_clISt17integral_constantIbLb0EESX_EEDaSS_ST_EUlSS_E_NS1_11comp_targetILNS1_3genE10ELNS1_11target_archE1201ELNS1_3gpuE5ELNS1_3repE0EEENS1_30default_config_static_selectorELNS0_4arch9wavefront6targetE1EEEvT1_,@function
_ZN7rocprim17ROCPRIM_400000_NS6detail17trampoline_kernelINS0_14default_configENS1_20scan_config_selectorIfEEZZNS1_9scan_implILNS1_25lookback_scan_determinismE0ELb1ELb1ES3_N6thrust23THRUST_200600_302600_NS6detail15normal_iteratorINS9_10device_ptrIfEEEENS9_16discard_iteratorINS9_11use_defaultEEEfNS9_4plusIvEEfEEDaPvRmT3_T4_T5_mT6_P12ihipStream_tbENKUlT_T0_E_clISt17integral_constantIbLb0EESX_EEDaSS_ST_EUlSS_E_NS1_11comp_targetILNS1_3genE10ELNS1_11target_archE1201ELNS1_3gpuE5ELNS1_3repE0EEENS1_30default_config_static_selectorELNS0_4arch9wavefront6targetE1EEEvT1_: ; @_ZN7rocprim17ROCPRIM_400000_NS6detail17trampoline_kernelINS0_14default_configENS1_20scan_config_selectorIfEEZZNS1_9scan_implILNS1_25lookback_scan_determinismE0ELb1ELb1ES3_N6thrust23THRUST_200600_302600_NS6detail15normal_iteratorINS9_10device_ptrIfEEEENS9_16discard_iteratorINS9_11use_defaultEEEfNS9_4plusIvEEfEEDaPvRmT3_T4_T5_mT6_P12ihipStream_tbENKUlT_T0_E_clISt17integral_constantIbLb0EESX_EEDaSS_ST_EUlSS_E_NS1_11comp_targetILNS1_3genE10ELNS1_11target_archE1201ELNS1_3gpuE5ELNS1_3repE0EEENS1_30default_config_static_selectorELNS0_4arch9wavefront6targetE1EEEvT1_
; %bb.0:
	.section	.rodata,"a",@progbits
	.p2align	6, 0x0
	.amdhsa_kernel _ZN7rocprim17ROCPRIM_400000_NS6detail17trampoline_kernelINS0_14default_configENS1_20scan_config_selectorIfEEZZNS1_9scan_implILNS1_25lookback_scan_determinismE0ELb1ELb1ES3_N6thrust23THRUST_200600_302600_NS6detail15normal_iteratorINS9_10device_ptrIfEEEENS9_16discard_iteratorINS9_11use_defaultEEEfNS9_4plusIvEEfEEDaPvRmT3_T4_T5_mT6_P12ihipStream_tbENKUlT_T0_E_clISt17integral_constantIbLb0EESX_EEDaSS_ST_EUlSS_E_NS1_11comp_targetILNS1_3genE10ELNS1_11target_archE1201ELNS1_3gpuE5ELNS1_3repE0EEENS1_30default_config_static_selectorELNS0_4arch9wavefront6targetE1EEEvT1_
		.amdhsa_group_segment_fixed_size 0
		.amdhsa_private_segment_fixed_size 0
		.amdhsa_kernarg_size 104
		.amdhsa_user_sgpr_count 6
		.amdhsa_user_sgpr_private_segment_buffer 1
		.amdhsa_user_sgpr_dispatch_ptr 0
		.amdhsa_user_sgpr_queue_ptr 0
		.amdhsa_user_sgpr_kernarg_segment_ptr 1
		.amdhsa_user_sgpr_dispatch_id 0
		.amdhsa_user_sgpr_flat_scratch_init 0
		.amdhsa_user_sgpr_kernarg_preload_length 0
		.amdhsa_user_sgpr_kernarg_preload_offset 0
		.amdhsa_user_sgpr_private_segment_size 0
		.amdhsa_uses_dynamic_stack 0
		.amdhsa_system_sgpr_private_segment_wavefront_offset 0
		.amdhsa_system_sgpr_workgroup_id_x 1
		.amdhsa_system_sgpr_workgroup_id_y 0
		.amdhsa_system_sgpr_workgroup_id_z 0
		.amdhsa_system_sgpr_workgroup_info 0
		.amdhsa_system_vgpr_workitem_id 0
		.amdhsa_next_free_vgpr 1
		.amdhsa_next_free_sgpr 0
		.amdhsa_accum_offset 4
		.amdhsa_reserve_vcc 0
		.amdhsa_reserve_flat_scratch 0
		.amdhsa_float_round_mode_32 0
		.amdhsa_float_round_mode_16_64 0
		.amdhsa_float_denorm_mode_32 3
		.amdhsa_float_denorm_mode_16_64 3
		.amdhsa_dx10_clamp 1
		.amdhsa_ieee_mode 1
		.amdhsa_fp16_overflow 0
		.amdhsa_tg_split 0
		.amdhsa_exception_fp_ieee_invalid_op 0
		.amdhsa_exception_fp_denorm_src 0
		.amdhsa_exception_fp_ieee_div_zero 0
		.amdhsa_exception_fp_ieee_overflow 0
		.amdhsa_exception_fp_ieee_underflow 0
		.amdhsa_exception_fp_ieee_inexact 0
		.amdhsa_exception_int_div_zero 0
	.end_amdhsa_kernel
	.section	.text._ZN7rocprim17ROCPRIM_400000_NS6detail17trampoline_kernelINS0_14default_configENS1_20scan_config_selectorIfEEZZNS1_9scan_implILNS1_25lookback_scan_determinismE0ELb1ELb1ES3_N6thrust23THRUST_200600_302600_NS6detail15normal_iteratorINS9_10device_ptrIfEEEENS9_16discard_iteratorINS9_11use_defaultEEEfNS9_4plusIvEEfEEDaPvRmT3_T4_T5_mT6_P12ihipStream_tbENKUlT_T0_E_clISt17integral_constantIbLb0EESX_EEDaSS_ST_EUlSS_E_NS1_11comp_targetILNS1_3genE10ELNS1_11target_archE1201ELNS1_3gpuE5ELNS1_3repE0EEENS1_30default_config_static_selectorELNS0_4arch9wavefront6targetE1EEEvT1_,"axG",@progbits,_ZN7rocprim17ROCPRIM_400000_NS6detail17trampoline_kernelINS0_14default_configENS1_20scan_config_selectorIfEEZZNS1_9scan_implILNS1_25lookback_scan_determinismE0ELb1ELb1ES3_N6thrust23THRUST_200600_302600_NS6detail15normal_iteratorINS9_10device_ptrIfEEEENS9_16discard_iteratorINS9_11use_defaultEEEfNS9_4plusIvEEfEEDaPvRmT3_T4_T5_mT6_P12ihipStream_tbENKUlT_T0_E_clISt17integral_constantIbLb0EESX_EEDaSS_ST_EUlSS_E_NS1_11comp_targetILNS1_3genE10ELNS1_11target_archE1201ELNS1_3gpuE5ELNS1_3repE0EEENS1_30default_config_static_selectorELNS0_4arch9wavefront6targetE1EEEvT1_,comdat
.Lfunc_end5083:
	.size	_ZN7rocprim17ROCPRIM_400000_NS6detail17trampoline_kernelINS0_14default_configENS1_20scan_config_selectorIfEEZZNS1_9scan_implILNS1_25lookback_scan_determinismE0ELb1ELb1ES3_N6thrust23THRUST_200600_302600_NS6detail15normal_iteratorINS9_10device_ptrIfEEEENS9_16discard_iteratorINS9_11use_defaultEEEfNS9_4plusIvEEfEEDaPvRmT3_T4_T5_mT6_P12ihipStream_tbENKUlT_T0_E_clISt17integral_constantIbLb0EESX_EEDaSS_ST_EUlSS_E_NS1_11comp_targetILNS1_3genE10ELNS1_11target_archE1201ELNS1_3gpuE5ELNS1_3repE0EEENS1_30default_config_static_selectorELNS0_4arch9wavefront6targetE1EEEvT1_, .Lfunc_end5083-_ZN7rocprim17ROCPRIM_400000_NS6detail17trampoline_kernelINS0_14default_configENS1_20scan_config_selectorIfEEZZNS1_9scan_implILNS1_25lookback_scan_determinismE0ELb1ELb1ES3_N6thrust23THRUST_200600_302600_NS6detail15normal_iteratorINS9_10device_ptrIfEEEENS9_16discard_iteratorINS9_11use_defaultEEEfNS9_4plusIvEEfEEDaPvRmT3_T4_T5_mT6_P12ihipStream_tbENKUlT_T0_E_clISt17integral_constantIbLb0EESX_EEDaSS_ST_EUlSS_E_NS1_11comp_targetILNS1_3genE10ELNS1_11target_archE1201ELNS1_3gpuE5ELNS1_3repE0EEENS1_30default_config_static_selectorELNS0_4arch9wavefront6targetE1EEEvT1_
                                        ; -- End function
	.section	.AMDGPU.csdata,"",@progbits
; Kernel info:
; codeLenInByte = 0
; NumSgprs: 4
; NumVgprs: 0
; NumAgprs: 0
; TotalNumVgprs: 0
; ScratchSize: 0
; MemoryBound: 0
; FloatMode: 240
; IeeeMode: 1
; LDSByteSize: 0 bytes/workgroup (compile time only)
; SGPRBlocks: 0
; VGPRBlocks: 0
; NumSGPRsForWavesPerEU: 4
; NumVGPRsForWavesPerEU: 1
; AccumOffset: 4
; Occupancy: 8
; WaveLimiterHint : 0
; COMPUTE_PGM_RSRC2:SCRATCH_EN: 0
; COMPUTE_PGM_RSRC2:USER_SGPR: 6
; COMPUTE_PGM_RSRC2:TRAP_HANDLER: 0
; COMPUTE_PGM_RSRC2:TGID_X_EN: 1
; COMPUTE_PGM_RSRC2:TGID_Y_EN: 0
; COMPUTE_PGM_RSRC2:TGID_Z_EN: 0
; COMPUTE_PGM_RSRC2:TIDIG_COMP_CNT: 0
; COMPUTE_PGM_RSRC3_GFX90A:ACCUM_OFFSET: 0
; COMPUTE_PGM_RSRC3_GFX90A:TG_SPLIT: 0
	.section	.text._ZN7rocprim17ROCPRIM_400000_NS6detail17trampoline_kernelINS0_14default_configENS1_20scan_config_selectorIfEEZZNS1_9scan_implILNS1_25lookback_scan_determinismE0ELb1ELb1ES3_N6thrust23THRUST_200600_302600_NS6detail15normal_iteratorINS9_10device_ptrIfEEEENS9_16discard_iteratorINS9_11use_defaultEEEfNS9_4plusIvEEfEEDaPvRmT3_T4_T5_mT6_P12ihipStream_tbENKUlT_T0_E_clISt17integral_constantIbLb0EESX_EEDaSS_ST_EUlSS_E_NS1_11comp_targetILNS1_3genE10ELNS1_11target_archE1200ELNS1_3gpuE4ELNS1_3repE0EEENS1_30default_config_static_selectorELNS0_4arch9wavefront6targetE1EEEvT1_,"axG",@progbits,_ZN7rocprim17ROCPRIM_400000_NS6detail17trampoline_kernelINS0_14default_configENS1_20scan_config_selectorIfEEZZNS1_9scan_implILNS1_25lookback_scan_determinismE0ELb1ELb1ES3_N6thrust23THRUST_200600_302600_NS6detail15normal_iteratorINS9_10device_ptrIfEEEENS9_16discard_iteratorINS9_11use_defaultEEEfNS9_4plusIvEEfEEDaPvRmT3_T4_T5_mT6_P12ihipStream_tbENKUlT_T0_E_clISt17integral_constantIbLb0EESX_EEDaSS_ST_EUlSS_E_NS1_11comp_targetILNS1_3genE10ELNS1_11target_archE1200ELNS1_3gpuE4ELNS1_3repE0EEENS1_30default_config_static_selectorELNS0_4arch9wavefront6targetE1EEEvT1_,comdat
	.protected	_ZN7rocprim17ROCPRIM_400000_NS6detail17trampoline_kernelINS0_14default_configENS1_20scan_config_selectorIfEEZZNS1_9scan_implILNS1_25lookback_scan_determinismE0ELb1ELb1ES3_N6thrust23THRUST_200600_302600_NS6detail15normal_iteratorINS9_10device_ptrIfEEEENS9_16discard_iteratorINS9_11use_defaultEEEfNS9_4plusIvEEfEEDaPvRmT3_T4_T5_mT6_P12ihipStream_tbENKUlT_T0_E_clISt17integral_constantIbLb0EESX_EEDaSS_ST_EUlSS_E_NS1_11comp_targetILNS1_3genE10ELNS1_11target_archE1200ELNS1_3gpuE4ELNS1_3repE0EEENS1_30default_config_static_selectorELNS0_4arch9wavefront6targetE1EEEvT1_ ; -- Begin function _ZN7rocprim17ROCPRIM_400000_NS6detail17trampoline_kernelINS0_14default_configENS1_20scan_config_selectorIfEEZZNS1_9scan_implILNS1_25lookback_scan_determinismE0ELb1ELb1ES3_N6thrust23THRUST_200600_302600_NS6detail15normal_iteratorINS9_10device_ptrIfEEEENS9_16discard_iteratorINS9_11use_defaultEEEfNS9_4plusIvEEfEEDaPvRmT3_T4_T5_mT6_P12ihipStream_tbENKUlT_T0_E_clISt17integral_constantIbLb0EESX_EEDaSS_ST_EUlSS_E_NS1_11comp_targetILNS1_3genE10ELNS1_11target_archE1200ELNS1_3gpuE4ELNS1_3repE0EEENS1_30default_config_static_selectorELNS0_4arch9wavefront6targetE1EEEvT1_
	.globl	_ZN7rocprim17ROCPRIM_400000_NS6detail17trampoline_kernelINS0_14default_configENS1_20scan_config_selectorIfEEZZNS1_9scan_implILNS1_25lookback_scan_determinismE0ELb1ELb1ES3_N6thrust23THRUST_200600_302600_NS6detail15normal_iteratorINS9_10device_ptrIfEEEENS9_16discard_iteratorINS9_11use_defaultEEEfNS9_4plusIvEEfEEDaPvRmT3_T4_T5_mT6_P12ihipStream_tbENKUlT_T0_E_clISt17integral_constantIbLb0EESX_EEDaSS_ST_EUlSS_E_NS1_11comp_targetILNS1_3genE10ELNS1_11target_archE1200ELNS1_3gpuE4ELNS1_3repE0EEENS1_30default_config_static_selectorELNS0_4arch9wavefront6targetE1EEEvT1_
	.p2align	8
	.type	_ZN7rocprim17ROCPRIM_400000_NS6detail17trampoline_kernelINS0_14default_configENS1_20scan_config_selectorIfEEZZNS1_9scan_implILNS1_25lookback_scan_determinismE0ELb1ELb1ES3_N6thrust23THRUST_200600_302600_NS6detail15normal_iteratorINS9_10device_ptrIfEEEENS9_16discard_iteratorINS9_11use_defaultEEEfNS9_4plusIvEEfEEDaPvRmT3_T4_T5_mT6_P12ihipStream_tbENKUlT_T0_E_clISt17integral_constantIbLb0EESX_EEDaSS_ST_EUlSS_E_NS1_11comp_targetILNS1_3genE10ELNS1_11target_archE1200ELNS1_3gpuE4ELNS1_3repE0EEENS1_30default_config_static_selectorELNS0_4arch9wavefront6targetE1EEEvT1_,@function
_ZN7rocprim17ROCPRIM_400000_NS6detail17trampoline_kernelINS0_14default_configENS1_20scan_config_selectorIfEEZZNS1_9scan_implILNS1_25lookback_scan_determinismE0ELb1ELb1ES3_N6thrust23THRUST_200600_302600_NS6detail15normal_iteratorINS9_10device_ptrIfEEEENS9_16discard_iteratorINS9_11use_defaultEEEfNS9_4plusIvEEfEEDaPvRmT3_T4_T5_mT6_P12ihipStream_tbENKUlT_T0_E_clISt17integral_constantIbLb0EESX_EEDaSS_ST_EUlSS_E_NS1_11comp_targetILNS1_3genE10ELNS1_11target_archE1200ELNS1_3gpuE4ELNS1_3repE0EEENS1_30default_config_static_selectorELNS0_4arch9wavefront6targetE1EEEvT1_: ; @_ZN7rocprim17ROCPRIM_400000_NS6detail17trampoline_kernelINS0_14default_configENS1_20scan_config_selectorIfEEZZNS1_9scan_implILNS1_25lookback_scan_determinismE0ELb1ELb1ES3_N6thrust23THRUST_200600_302600_NS6detail15normal_iteratorINS9_10device_ptrIfEEEENS9_16discard_iteratorINS9_11use_defaultEEEfNS9_4plusIvEEfEEDaPvRmT3_T4_T5_mT6_P12ihipStream_tbENKUlT_T0_E_clISt17integral_constantIbLb0EESX_EEDaSS_ST_EUlSS_E_NS1_11comp_targetILNS1_3genE10ELNS1_11target_archE1200ELNS1_3gpuE4ELNS1_3repE0EEENS1_30default_config_static_selectorELNS0_4arch9wavefront6targetE1EEEvT1_
; %bb.0:
	.section	.rodata,"a",@progbits
	.p2align	6, 0x0
	.amdhsa_kernel _ZN7rocprim17ROCPRIM_400000_NS6detail17trampoline_kernelINS0_14default_configENS1_20scan_config_selectorIfEEZZNS1_9scan_implILNS1_25lookback_scan_determinismE0ELb1ELb1ES3_N6thrust23THRUST_200600_302600_NS6detail15normal_iteratorINS9_10device_ptrIfEEEENS9_16discard_iteratorINS9_11use_defaultEEEfNS9_4plusIvEEfEEDaPvRmT3_T4_T5_mT6_P12ihipStream_tbENKUlT_T0_E_clISt17integral_constantIbLb0EESX_EEDaSS_ST_EUlSS_E_NS1_11comp_targetILNS1_3genE10ELNS1_11target_archE1200ELNS1_3gpuE4ELNS1_3repE0EEENS1_30default_config_static_selectorELNS0_4arch9wavefront6targetE1EEEvT1_
		.amdhsa_group_segment_fixed_size 0
		.amdhsa_private_segment_fixed_size 0
		.amdhsa_kernarg_size 104
		.amdhsa_user_sgpr_count 6
		.amdhsa_user_sgpr_private_segment_buffer 1
		.amdhsa_user_sgpr_dispatch_ptr 0
		.amdhsa_user_sgpr_queue_ptr 0
		.amdhsa_user_sgpr_kernarg_segment_ptr 1
		.amdhsa_user_sgpr_dispatch_id 0
		.amdhsa_user_sgpr_flat_scratch_init 0
		.amdhsa_user_sgpr_kernarg_preload_length 0
		.amdhsa_user_sgpr_kernarg_preload_offset 0
		.amdhsa_user_sgpr_private_segment_size 0
		.amdhsa_uses_dynamic_stack 0
		.amdhsa_system_sgpr_private_segment_wavefront_offset 0
		.amdhsa_system_sgpr_workgroup_id_x 1
		.amdhsa_system_sgpr_workgroup_id_y 0
		.amdhsa_system_sgpr_workgroup_id_z 0
		.amdhsa_system_sgpr_workgroup_info 0
		.amdhsa_system_vgpr_workitem_id 0
		.amdhsa_next_free_vgpr 1
		.amdhsa_next_free_sgpr 0
		.amdhsa_accum_offset 4
		.amdhsa_reserve_vcc 0
		.amdhsa_reserve_flat_scratch 0
		.amdhsa_float_round_mode_32 0
		.amdhsa_float_round_mode_16_64 0
		.amdhsa_float_denorm_mode_32 3
		.amdhsa_float_denorm_mode_16_64 3
		.amdhsa_dx10_clamp 1
		.amdhsa_ieee_mode 1
		.amdhsa_fp16_overflow 0
		.amdhsa_tg_split 0
		.amdhsa_exception_fp_ieee_invalid_op 0
		.amdhsa_exception_fp_denorm_src 0
		.amdhsa_exception_fp_ieee_div_zero 0
		.amdhsa_exception_fp_ieee_overflow 0
		.amdhsa_exception_fp_ieee_underflow 0
		.amdhsa_exception_fp_ieee_inexact 0
		.amdhsa_exception_int_div_zero 0
	.end_amdhsa_kernel
	.section	.text._ZN7rocprim17ROCPRIM_400000_NS6detail17trampoline_kernelINS0_14default_configENS1_20scan_config_selectorIfEEZZNS1_9scan_implILNS1_25lookback_scan_determinismE0ELb1ELb1ES3_N6thrust23THRUST_200600_302600_NS6detail15normal_iteratorINS9_10device_ptrIfEEEENS9_16discard_iteratorINS9_11use_defaultEEEfNS9_4plusIvEEfEEDaPvRmT3_T4_T5_mT6_P12ihipStream_tbENKUlT_T0_E_clISt17integral_constantIbLb0EESX_EEDaSS_ST_EUlSS_E_NS1_11comp_targetILNS1_3genE10ELNS1_11target_archE1200ELNS1_3gpuE4ELNS1_3repE0EEENS1_30default_config_static_selectorELNS0_4arch9wavefront6targetE1EEEvT1_,"axG",@progbits,_ZN7rocprim17ROCPRIM_400000_NS6detail17trampoline_kernelINS0_14default_configENS1_20scan_config_selectorIfEEZZNS1_9scan_implILNS1_25lookback_scan_determinismE0ELb1ELb1ES3_N6thrust23THRUST_200600_302600_NS6detail15normal_iteratorINS9_10device_ptrIfEEEENS9_16discard_iteratorINS9_11use_defaultEEEfNS9_4plusIvEEfEEDaPvRmT3_T4_T5_mT6_P12ihipStream_tbENKUlT_T0_E_clISt17integral_constantIbLb0EESX_EEDaSS_ST_EUlSS_E_NS1_11comp_targetILNS1_3genE10ELNS1_11target_archE1200ELNS1_3gpuE4ELNS1_3repE0EEENS1_30default_config_static_selectorELNS0_4arch9wavefront6targetE1EEEvT1_,comdat
.Lfunc_end5084:
	.size	_ZN7rocprim17ROCPRIM_400000_NS6detail17trampoline_kernelINS0_14default_configENS1_20scan_config_selectorIfEEZZNS1_9scan_implILNS1_25lookback_scan_determinismE0ELb1ELb1ES3_N6thrust23THRUST_200600_302600_NS6detail15normal_iteratorINS9_10device_ptrIfEEEENS9_16discard_iteratorINS9_11use_defaultEEEfNS9_4plusIvEEfEEDaPvRmT3_T4_T5_mT6_P12ihipStream_tbENKUlT_T0_E_clISt17integral_constantIbLb0EESX_EEDaSS_ST_EUlSS_E_NS1_11comp_targetILNS1_3genE10ELNS1_11target_archE1200ELNS1_3gpuE4ELNS1_3repE0EEENS1_30default_config_static_selectorELNS0_4arch9wavefront6targetE1EEEvT1_, .Lfunc_end5084-_ZN7rocprim17ROCPRIM_400000_NS6detail17trampoline_kernelINS0_14default_configENS1_20scan_config_selectorIfEEZZNS1_9scan_implILNS1_25lookback_scan_determinismE0ELb1ELb1ES3_N6thrust23THRUST_200600_302600_NS6detail15normal_iteratorINS9_10device_ptrIfEEEENS9_16discard_iteratorINS9_11use_defaultEEEfNS9_4plusIvEEfEEDaPvRmT3_T4_T5_mT6_P12ihipStream_tbENKUlT_T0_E_clISt17integral_constantIbLb0EESX_EEDaSS_ST_EUlSS_E_NS1_11comp_targetILNS1_3genE10ELNS1_11target_archE1200ELNS1_3gpuE4ELNS1_3repE0EEENS1_30default_config_static_selectorELNS0_4arch9wavefront6targetE1EEEvT1_
                                        ; -- End function
	.section	.AMDGPU.csdata,"",@progbits
; Kernel info:
; codeLenInByte = 0
; NumSgprs: 4
; NumVgprs: 0
; NumAgprs: 0
; TotalNumVgprs: 0
; ScratchSize: 0
; MemoryBound: 0
; FloatMode: 240
; IeeeMode: 1
; LDSByteSize: 0 bytes/workgroup (compile time only)
; SGPRBlocks: 0
; VGPRBlocks: 0
; NumSGPRsForWavesPerEU: 4
; NumVGPRsForWavesPerEU: 1
; AccumOffset: 4
; Occupancy: 8
; WaveLimiterHint : 0
; COMPUTE_PGM_RSRC2:SCRATCH_EN: 0
; COMPUTE_PGM_RSRC2:USER_SGPR: 6
; COMPUTE_PGM_RSRC2:TRAP_HANDLER: 0
; COMPUTE_PGM_RSRC2:TGID_X_EN: 1
; COMPUTE_PGM_RSRC2:TGID_Y_EN: 0
; COMPUTE_PGM_RSRC2:TGID_Z_EN: 0
; COMPUTE_PGM_RSRC2:TIDIG_COMP_CNT: 0
; COMPUTE_PGM_RSRC3_GFX90A:ACCUM_OFFSET: 0
; COMPUTE_PGM_RSRC3_GFX90A:TG_SPLIT: 0
	.section	.text._ZN7rocprim17ROCPRIM_400000_NS6detail17trampoline_kernelINS0_14default_configENS1_20scan_config_selectorIfEEZZNS1_9scan_implILNS1_25lookback_scan_determinismE0ELb1ELb1ES3_N6thrust23THRUST_200600_302600_NS6detail15normal_iteratorINS9_10device_ptrIfEEEENS9_16discard_iteratorINS9_11use_defaultEEEfNS9_4plusIvEEfEEDaPvRmT3_T4_T5_mT6_P12ihipStream_tbENKUlT_T0_E_clISt17integral_constantIbLb0EESX_EEDaSS_ST_EUlSS_E_NS1_11comp_targetILNS1_3genE9ELNS1_11target_archE1100ELNS1_3gpuE3ELNS1_3repE0EEENS1_30default_config_static_selectorELNS0_4arch9wavefront6targetE1EEEvT1_,"axG",@progbits,_ZN7rocprim17ROCPRIM_400000_NS6detail17trampoline_kernelINS0_14default_configENS1_20scan_config_selectorIfEEZZNS1_9scan_implILNS1_25lookback_scan_determinismE0ELb1ELb1ES3_N6thrust23THRUST_200600_302600_NS6detail15normal_iteratorINS9_10device_ptrIfEEEENS9_16discard_iteratorINS9_11use_defaultEEEfNS9_4plusIvEEfEEDaPvRmT3_T4_T5_mT6_P12ihipStream_tbENKUlT_T0_E_clISt17integral_constantIbLb0EESX_EEDaSS_ST_EUlSS_E_NS1_11comp_targetILNS1_3genE9ELNS1_11target_archE1100ELNS1_3gpuE3ELNS1_3repE0EEENS1_30default_config_static_selectorELNS0_4arch9wavefront6targetE1EEEvT1_,comdat
	.protected	_ZN7rocprim17ROCPRIM_400000_NS6detail17trampoline_kernelINS0_14default_configENS1_20scan_config_selectorIfEEZZNS1_9scan_implILNS1_25lookback_scan_determinismE0ELb1ELb1ES3_N6thrust23THRUST_200600_302600_NS6detail15normal_iteratorINS9_10device_ptrIfEEEENS9_16discard_iteratorINS9_11use_defaultEEEfNS9_4plusIvEEfEEDaPvRmT3_T4_T5_mT6_P12ihipStream_tbENKUlT_T0_E_clISt17integral_constantIbLb0EESX_EEDaSS_ST_EUlSS_E_NS1_11comp_targetILNS1_3genE9ELNS1_11target_archE1100ELNS1_3gpuE3ELNS1_3repE0EEENS1_30default_config_static_selectorELNS0_4arch9wavefront6targetE1EEEvT1_ ; -- Begin function _ZN7rocprim17ROCPRIM_400000_NS6detail17trampoline_kernelINS0_14default_configENS1_20scan_config_selectorIfEEZZNS1_9scan_implILNS1_25lookback_scan_determinismE0ELb1ELb1ES3_N6thrust23THRUST_200600_302600_NS6detail15normal_iteratorINS9_10device_ptrIfEEEENS9_16discard_iteratorINS9_11use_defaultEEEfNS9_4plusIvEEfEEDaPvRmT3_T4_T5_mT6_P12ihipStream_tbENKUlT_T0_E_clISt17integral_constantIbLb0EESX_EEDaSS_ST_EUlSS_E_NS1_11comp_targetILNS1_3genE9ELNS1_11target_archE1100ELNS1_3gpuE3ELNS1_3repE0EEENS1_30default_config_static_selectorELNS0_4arch9wavefront6targetE1EEEvT1_
	.globl	_ZN7rocprim17ROCPRIM_400000_NS6detail17trampoline_kernelINS0_14default_configENS1_20scan_config_selectorIfEEZZNS1_9scan_implILNS1_25lookback_scan_determinismE0ELb1ELb1ES3_N6thrust23THRUST_200600_302600_NS6detail15normal_iteratorINS9_10device_ptrIfEEEENS9_16discard_iteratorINS9_11use_defaultEEEfNS9_4plusIvEEfEEDaPvRmT3_T4_T5_mT6_P12ihipStream_tbENKUlT_T0_E_clISt17integral_constantIbLb0EESX_EEDaSS_ST_EUlSS_E_NS1_11comp_targetILNS1_3genE9ELNS1_11target_archE1100ELNS1_3gpuE3ELNS1_3repE0EEENS1_30default_config_static_selectorELNS0_4arch9wavefront6targetE1EEEvT1_
	.p2align	8
	.type	_ZN7rocprim17ROCPRIM_400000_NS6detail17trampoline_kernelINS0_14default_configENS1_20scan_config_selectorIfEEZZNS1_9scan_implILNS1_25lookback_scan_determinismE0ELb1ELb1ES3_N6thrust23THRUST_200600_302600_NS6detail15normal_iteratorINS9_10device_ptrIfEEEENS9_16discard_iteratorINS9_11use_defaultEEEfNS9_4plusIvEEfEEDaPvRmT3_T4_T5_mT6_P12ihipStream_tbENKUlT_T0_E_clISt17integral_constantIbLb0EESX_EEDaSS_ST_EUlSS_E_NS1_11comp_targetILNS1_3genE9ELNS1_11target_archE1100ELNS1_3gpuE3ELNS1_3repE0EEENS1_30default_config_static_selectorELNS0_4arch9wavefront6targetE1EEEvT1_,@function
_ZN7rocprim17ROCPRIM_400000_NS6detail17trampoline_kernelINS0_14default_configENS1_20scan_config_selectorIfEEZZNS1_9scan_implILNS1_25lookback_scan_determinismE0ELb1ELb1ES3_N6thrust23THRUST_200600_302600_NS6detail15normal_iteratorINS9_10device_ptrIfEEEENS9_16discard_iteratorINS9_11use_defaultEEEfNS9_4plusIvEEfEEDaPvRmT3_T4_T5_mT6_P12ihipStream_tbENKUlT_T0_E_clISt17integral_constantIbLb0EESX_EEDaSS_ST_EUlSS_E_NS1_11comp_targetILNS1_3genE9ELNS1_11target_archE1100ELNS1_3gpuE3ELNS1_3repE0EEENS1_30default_config_static_selectorELNS0_4arch9wavefront6targetE1EEEvT1_: ; @_ZN7rocprim17ROCPRIM_400000_NS6detail17trampoline_kernelINS0_14default_configENS1_20scan_config_selectorIfEEZZNS1_9scan_implILNS1_25lookback_scan_determinismE0ELb1ELb1ES3_N6thrust23THRUST_200600_302600_NS6detail15normal_iteratorINS9_10device_ptrIfEEEENS9_16discard_iteratorINS9_11use_defaultEEEfNS9_4plusIvEEfEEDaPvRmT3_T4_T5_mT6_P12ihipStream_tbENKUlT_T0_E_clISt17integral_constantIbLb0EESX_EEDaSS_ST_EUlSS_E_NS1_11comp_targetILNS1_3genE9ELNS1_11target_archE1100ELNS1_3gpuE3ELNS1_3repE0EEENS1_30default_config_static_selectorELNS0_4arch9wavefront6targetE1EEEvT1_
; %bb.0:
	.section	.rodata,"a",@progbits
	.p2align	6, 0x0
	.amdhsa_kernel _ZN7rocprim17ROCPRIM_400000_NS6detail17trampoline_kernelINS0_14default_configENS1_20scan_config_selectorIfEEZZNS1_9scan_implILNS1_25lookback_scan_determinismE0ELb1ELb1ES3_N6thrust23THRUST_200600_302600_NS6detail15normal_iteratorINS9_10device_ptrIfEEEENS9_16discard_iteratorINS9_11use_defaultEEEfNS9_4plusIvEEfEEDaPvRmT3_T4_T5_mT6_P12ihipStream_tbENKUlT_T0_E_clISt17integral_constantIbLb0EESX_EEDaSS_ST_EUlSS_E_NS1_11comp_targetILNS1_3genE9ELNS1_11target_archE1100ELNS1_3gpuE3ELNS1_3repE0EEENS1_30default_config_static_selectorELNS0_4arch9wavefront6targetE1EEEvT1_
		.amdhsa_group_segment_fixed_size 0
		.amdhsa_private_segment_fixed_size 0
		.amdhsa_kernarg_size 104
		.amdhsa_user_sgpr_count 6
		.amdhsa_user_sgpr_private_segment_buffer 1
		.amdhsa_user_sgpr_dispatch_ptr 0
		.amdhsa_user_sgpr_queue_ptr 0
		.amdhsa_user_sgpr_kernarg_segment_ptr 1
		.amdhsa_user_sgpr_dispatch_id 0
		.amdhsa_user_sgpr_flat_scratch_init 0
		.amdhsa_user_sgpr_kernarg_preload_length 0
		.amdhsa_user_sgpr_kernarg_preload_offset 0
		.amdhsa_user_sgpr_private_segment_size 0
		.amdhsa_uses_dynamic_stack 0
		.amdhsa_system_sgpr_private_segment_wavefront_offset 0
		.amdhsa_system_sgpr_workgroup_id_x 1
		.amdhsa_system_sgpr_workgroup_id_y 0
		.amdhsa_system_sgpr_workgroup_id_z 0
		.amdhsa_system_sgpr_workgroup_info 0
		.amdhsa_system_vgpr_workitem_id 0
		.amdhsa_next_free_vgpr 1
		.amdhsa_next_free_sgpr 0
		.amdhsa_accum_offset 4
		.amdhsa_reserve_vcc 0
		.amdhsa_reserve_flat_scratch 0
		.amdhsa_float_round_mode_32 0
		.amdhsa_float_round_mode_16_64 0
		.amdhsa_float_denorm_mode_32 3
		.amdhsa_float_denorm_mode_16_64 3
		.amdhsa_dx10_clamp 1
		.amdhsa_ieee_mode 1
		.amdhsa_fp16_overflow 0
		.amdhsa_tg_split 0
		.amdhsa_exception_fp_ieee_invalid_op 0
		.amdhsa_exception_fp_denorm_src 0
		.amdhsa_exception_fp_ieee_div_zero 0
		.amdhsa_exception_fp_ieee_overflow 0
		.amdhsa_exception_fp_ieee_underflow 0
		.amdhsa_exception_fp_ieee_inexact 0
		.amdhsa_exception_int_div_zero 0
	.end_amdhsa_kernel
	.section	.text._ZN7rocprim17ROCPRIM_400000_NS6detail17trampoline_kernelINS0_14default_configENS1_20scan_config_selectorIfEEZZNS1_9scan_implILNS1_25lookback_scan_determinismE0ELb1ELb1ES3_N6thrust23THRUST_200600_302600_NS6detail15normal_iteratorINS9_10device_ptrIfEEEENS9_16discard_iteratorINS9_11use_defaultEEEfNS9_4plusIvEEfEEDaPvRmT3_T4_T5_mT6_P12ihipStream_tbENKUlT_T0_E_clISt17integral_constantIbLb0EESX_EEDaSS_ST_EUlSS_E_NS1_11comp_targetILNS1_3genE9ELNS1_11target_archE1100ELNS1_3gpuE3ELNS1_3repE0EEENS1_30default_config_static_selectorELNS0_4arch9wavefront6targetE1EEEvT1_,"axG",@progbits,_ZN7rocprim17ROCPRIM_400000_NS6detail17trampoline_kernelINS0_14default_configENS1_20scan_config_selectorIfEEZZNS1_9scan_implILNS1_25lookback_scan_determinismE0ELb1ELb1ES3_N6thrust23THRUST_200600_302600_NS6detail15normal_iteratorINS9_10device_ptrIfEEEENS9_16discard_iteratorINS9_11use_defaultEEEfNS9_4plusIvEEfEEDaPvRmT3_T4_T5_mT6_P12ihipStream_tbENKUlT_T0_E_clISt17integral_constantIbLb0EESX_EEDaSS_ST_EUlSS_E_NS1_11comp_targetILNS1_3genE9ELNS1_11target_archE1100ELNS1_3gpuE3ELNS1_3repE0EEENS1_30default_config_static_selectorELNS0_4arch9wavefront6targetE1EEEvT1_,comdat
.Lfunc_end5085:
	.size	_ZN7rocprim17ROCPRIM_400000_NS6detail17trampoline_kernelINS0_14default_configENS1_20scan_config_selectorIfEEZZNS1_9scan_implILNS1_25lookback_scan_determinismE0ELb1ELb1ES3_N6thrust23THRUST_200600_302600_NS6detail15normal_iteratorINS9_10device_ptrIfEEEENS9_16discard_iteratorINS9_11use_defaultEEEfNS9_4plusIvEEfEEDaPvRmT3_T4_T5_mT6_P12ihipStream_tbENKUlT_T0_E_clISt17integral_constantIbLb0EESX_EEDaSS_ST_EUlSS_E_NS1_11comp_targetILNS1_3genE9ELNS1_11target_archE1100ELNS1_3gpuE3ELNS1_3repE0EEENS1_30default_config_static_selectorELNS0_4arch9wavefront6targetE1EEEvT1_, .Lfunc_end5085-_ZN7rocprim17ROCPRIM_400000_NS6detail17trampoline_kernelINS0_14default_configENS1_20scan_config_selectorIfEEZZNS1_9scan_implILNS1_25lookback_scan_determinismE0ELb1ELb1ES3_N6thrust23THRUST_200600_302600_NS6detail15normal_iteratorINS9_10device_ptrIfEEEENS9_16discard_iteratorINS9_11use_defaultEEEfNS9_4plusIvEEfEEDaPvRmT3_T4_T5_mT6_P12ihipStream_tbENKUlT_T0_E_clISt17integral_constantIbLb0EESX_EEDaSS_ST_EUlSS_E_NS1_11comp_targetILNS1_3genE9ELNS1_11target_archE1100ELNS1_3gpuE3ELNS1_3repE0EEENS1_30default_config_static_selectorELNS0_4arch9wavefront6targetE1EEEvT1_
                                        ; -- End function
	.section	.AMDGPU.csdata,"",@progbits
; Kernel info:
; codeLenInByte = 0
; NumSgprs: 4
; NumVgprs: 0
; NumAgprs: 0
; TotalNumVgprs: 0
; ScratchSize: 0
; MemoryBound: 0
; FloatMode: 240
; IeeeMode: 1
; LDSByteSize: 0 bytes/workgroup (compile time only)
; SGPRBlocks: 0
; VGPRBlocks: 0
; NumSGPRsForWavesPerEU: 4
; NumVGPRsForWavesPerEU: 1
; AccumOffset: 4
; Occupancy: 8
; WaveLimiterHint : 0
; COMPUTE_PGM_RSRC2:SCRATCH_EN: 0
; COMPUTE_PGM_RSRC2:USER_SGPR: 6
; COMPUTE_PGM_RSRC2:TRAP_HANDLER: 0
; COMPUTE_PGM_RSRC2:TGID_X_EN: 1
; COMPUTE_PGM_RSRC2:TGID_Y_EN: 0
; COMPUTE_PGM_RSRC2:TGID_Z_EN: 0
; COMPUTE_PGM_RSRC2:TIDIG_COMP_CNT: 0
; COMPUTE_PGM_RSRC3_GFX90A:ACCUM_OFFSET: 0
; COMPUTE_PGM_RSRC3_GFX90A:TG_SPLIT: 0
	.section	.text._ZN7rocprim17ROCPRIM_400000_NS6detail17trampoline_kernelINS0_14default_configENS1_20scan_config_selectorIfEEZZNS1_9scan_implILNS1_25lookback_scan_determinismE0ELb1ELb1ES3_N6thrust23THRUST_200600_302600_NS6detail15normal_iteratorINS9_10device_ptrIfEEEENS9_16discard_iteratorINS9_11use_defaultEEEfNS9_4plusIvEEfEEDaPvRmT3_T4_T5_mT6_P12ihipStream_tbENKUlT_T0_E_clISt17integral_constantIbLb0EESX_EEDaSS_ST_EUlSS_E_NS1_11comp_targetILNS1_3genE8ELNS1_11target_archE1030ELNS1_3gpuE2ELNS1_3repE0EEENS1_30default_config_static_selectorELNS0_4arch9wavefront6targetE1EEEvT1_,"axG",@progbits,_ZN7rocprim17ROCPRIM_400000_NS6detail17trampoline_kernelINS0_14default_configENS1_20scan_config_selectorIfEEZZNS1_9scan_implILNS1_25lookback_scan_determinismE0ELb1ELb1ES3_N6thrust23THRUST_200600_302600_NS6detail15normal_iteratorINS9_10device_ptrIfEEEENS9_16discard_iteratorINS9_11use_defaultEEEfNS9_4plusIvEEfEEDaPvRmT3_T4_T5_mT6_P12ihipStream_tbENKUlT_T0_E_clISt17integral_constantIbLb0EESX_EEDaSS_ST_EUlSS_E_NS1_11comp_targetILNS1_3genE8ELNS1_11target_archE1030ELNS1_3gpuE2ELNS1_3repE0EEENS1_30default_config_static_selectorELNS0_4arch9wavefront6targetE1EEEvT1_,comdat
	.protected	_ZN7rocprim17ROCPRIM_400000_NS6detail17trampoline_kernelINS0_14default_configENS1_20scan_config_selectorIfEEZZNS1_9scan_implILNS1_25lookback_scan_determinismE0ELb1ELb1ES3_N6thrust23THRUST_200600_302600_NS6detail15normal_iteratorINS9_10device_ptrIfEEEENS9_16discard_iteratorINS9_11use_defaultEEEfNS9_4plusIvEEfEEDaPvRmT3_T4_T5_mT6_P12ihipStream_tbENKUlT_T0_E_clISt17integral_constantIbLb0EESX_EEDaSS_ST_EUlSS_E_NS1_11comp_targetILNS1_3genE8ELNS1_11target_archE1030ELNS1_3gpuE2ELNS1_3repE0EEENS1_30default_config_static_selectorELNS0_4arch9wavefront6targetE1EEEvT1_ ; -- Begin function _ZN7rocprim17ROCPRIM_400000_NS6detail17trampoline_kernelINS0_14default_configENS1_20scan_config_selectorIfEEZZNS1_9scan_implILNS1_25lookback_scan_determinismE0ELb1ELb1ES3_N6thrust23THRUST_200600_302600_NS6detail15normal_iteratorINS9_10device_ptrIfEEEENS9_16discard_iteratorINS9_11use_defaultEEEfNS9_4plusIvEEfEEDaPvRmT3_T4_T5_mT6_P12ihipStream_tbENKUlT_T0_E_clISt17integral_constantIbLb0EESX_EEDaSS_ST_EUlSS_E_NS1_11comp_targetILNS1_3genE8ELNS1_11target_archE1030ELNS1_3gpuE2ELNS1_3repE0EEENS1_30default_config_static_selectorELNS0_4arch9wavefront6targetE1EEEvT1_
	.globl	_ZN7rocprim17ROCPRIM_400000_NS6detail17trampoline_kernelINS0_14default_configENS1_20scan_config_selectorIfEEZZNS1_9scan_implILNS1_25lookback_scan_determinismE0ELb1ELb1ES3_N6thrust23THRUST_200600_302600_NS6detail15normal_iteratorINS9_10device_ptrIfEEEENS9_16discard_iteratorINS9_11use_defaultEEEfNS9_4plusIvEEfEEDaPvRmT3_T4_T5_mT6_P12ihipStream_tbENKUlT_T0_E_clISt17integral_constantIbLb0EESX_EEDaSS_ST_EUlSS_E_NS1_11comp_targetILNS1_3genE8ELNS1_11target_archE1030ELNS1_3gpuE2ELNS1_3repE0EEENS1_30default_config_static_selectorELNS0_4arch9wavefront6targetE1EEEvT1_
	.p2align	8
	.type	_ZN7rocprim17ROCPRIM_400000_NS6detail17trampoline_kernelINS0_14default_configENS1_20scan_config_selectorIfEEZZNS1_9scan_implILNS1_25lookback_scan_determinismE0ELb1ELb1ES3_N6thrust23THRUST_200600_302600_NS6detail15normal_iteratorINS9_10device_ptrIfEEEENS9_16discard_iteratorINS9_11use_defaultEEEfNS9_4plusIvEEfEEDaPvRmT3_T4_T5_mT6_P12ihipStream_tbENKUlT_T0_E_clISt17integral_constantIbLb0EESX_EEDaSS_ST_EUlSS_E_NS1_11comp_targetILNS1_3genE8ELNS1_11target_archE1030ELNS1_3gpuE2ELNS1_3repE0EEENS1_30default_config_static_selectorELNS0_4arch9wavefront6targetE1EEEvT1_,@function
_ZN7rocprim17ROCPRIM_400000_NS6detail17trampoline_kernelINS0_14default_configENS1_20scan_config_selectorIfEEZZNS1_9scan_implILNS1_25lookback_scan_determinismE0ELb1ELb1ES3_N6thrust23THRUST_200600_302600_NS6detail15normal_iteratorINS9_10device_ptrIfEEEENS9_16discard_iteratorINS9_11use_defaultEEEfNS9_4plusIvEEfEEDaPvRmT3_T4_T5_mT6_P12ihipStream_tbENKUlT_T0_E_clISt17integral_constantIbLb0EESX_EEDaSS_ST_EUlSS_E_NS1_11comp_targetILNS1_3genE8ELNS1_11target_archE1030ELNS1_3gpuE2ELNS1_3repE0EEENS1_30default_config_static_selectorELNS0_4arch9wavefront6targetE1EEEvT1_: ; @_ZN7rocprim17ROCPRIM_400000_NS6detail17trampoline_kernelINS0_14default_configENS1_20scan_config_selectorIfEEZZNS1_9scan_implILNS1_25lookback_scan_determinismE0ELb1ELb1ES3_N6thrust23THRUST_200600_302600_NS6detail15normal_iteratorINS9_10device_ptrIfEEEENS9_16discard_iteratorINS9_11use_defaultEEEfNS9_4plusIvEEfEEDaPvRmT3_T4_T5_mT6_P12ihipStream_tbENKUlT_T0_E_clISt17integral_constantIbLb0EESX_EEDaSS_ST_EUlSS_E_NS1_11comp_targetILNS1_3genE8ELNS1_11target_archE1030ELNS1_3gpuE2ELNS1_3repE0EEENS1_30default_config_static_selectorELNS0_4arch9wavefront6targetE1EEEvT1_
; %bb.0:
	.section	.rodata,"a",@progbits
	.p2align	6, 0x0
	.amdhsa_kernel _ZN7rocprim17ROCPRIM_400000_NS6detail17trampoline_kernelINS0_14default_configENS1_20scan_config_selectorIfEEZZNS1_9scan_implILNS1_25lookback_scan_determinismE0ELb1ELb1ES3_N6thrust23THRUST_200600_302600_NS6detail15normal_iteratorINS9_10device_ptrIfEEEENS9_16discard_iteratorINS9_11use_defaultEEEfNS9_4plusIvEEfEEDaPvRmT3_T4_T5_mT6_P12ihipStream_tbENKUlT_T0_E_clISt17integral_constantIbLb0EESX_EEDaSS_ST_EUlSS_E_NS1_11comp_targetILNS1_3genE8ELNS1_11target_archE1030ELNS1_3gpuE2ELNS1_3repE0EEENS1_30default_config_static_selectorELNS0_4arch9wavefront6targetE1EEEvT1_
		.amdhsa_group_segment_fixed_size 0
		.amdhsa_private_segment_fixed_size 0
		.amdhsa_kernarg_size 104
		.amdhsa_user_sgpr_count 6
		.amdhsa_user_sgpr_private_segment_buffer 1
		.amdhsa_user_sgpr_dispatch_ptr 0
		.amdhsa_user_sgpr_queue_ptr 0
		.amdhsa_user_sgpr_kernarg_segment_ptr 1
		.amdhsa_user_sgpr_dispatch_id 0
		.amdhsa_user_sgpr_flat_scratch_init 0
		.amdhsa_user_sgpr_kernarg_preload_length 0
		.amdhsa_user_sgpr_kernarg_preload_offset 0
		.amdhsa_user_sgpr_private_segment_size 0
		.amdhsa_uses_dynamic_stack 0
		.amdhsa_system_sgpr_private_segment_wavefront_offset 0
		.amdhsa_system_sgpr_workgroup_id_x 1
		.amdhsa_system_sgpr_workgroup_id_y 0
		.amdhsa_system_sgpr_workgroup_id_z 0
		.amdhsa_system_sgpr_workgroup_info 0
		.amdhsa_system_vgpr_workitem_id 0
		.amdhsa_next_free_vgpr 1
		.amdhsa_next_free_sgpr 0
		.amdhsa_accum_offset 4
		.amdhsa_reserve_vcc 0
		.amdhsa_reserve_flat_scratch 0
		.amdhsa_float_round_mode_32 0
		.amdhsa_float_round_mode_16_64 0
		.amdhsa_float_denorm_mode_32 3
		.amdhsa_float_denorm_mode_16_64 3
		.amdhsa_dx10_clamp 1
		.amdhsa_ieee_mode 1
		.amdhsa_fp16_overflow 0
		.amdhsa_tg_split 0
		.amdhsa_exception_fp_ieee_invalid_op 0
		.amdhsa_exception_fp_denorm_src 0
		.amdhsa_exception_fp_ieee_div_zero 0
		.amdhsa_exception_fp_ieee_overflow 0
		.amdhsa_exception_fp_ieee_underflow 0
		.amdhsa_exception_fp_ieee_inexact 0
		.amdhsa_exception_int_div_zero 0
	.end_amdhsa_kernel
	.section	.text._ZN7rocprim17ROCPRIM_400000_NS6detail17trampoline_kernelINS0_14default_configENS1_20scan_config_selectorIfEEZZNS1_9scan_implILNS1_25lookback_scan_determinismE0ELb1ELb1ES3_N6thrust23THRUST_200600_302600_NS6detail15normal_iteratorINS9_10device_ptrIfEEEENS9_16discard_iteratorINS9_11use_defaultEEEfNS9_4plusIvEEfEEDaPvRmT3_T4_T5_mT6_P12ihipStream_tbENKUlT_T0_E_clISt17integral_constantIbLb0EESX_EEDaSS_ST_EUlSS_E_NS1_11comp_targetILNS1_3genE8ELNS1_11target_archE1030ELNS1_3gpuE2ELNS1_3repE0EEENS1_30default_config_static_selectorELNS0_4arch9wavefront6targetE1EEEvT1_,"axG",@progbits,_ZN7rocprim17ROCPRIM_400000_NS6detail17trampoline_kernelINS0_14default_configENS1_20scan_config_selectorIfEEZZNS1_9scan_implILNS1_25lookback_scan_determinismE0ELb1ELb1ES3_N6thrust23THRUST_200600_302600_NS6detail15normal_iteratorINS9_10device_ptrIfEEEENS9_16discard_iteratorINS9_11use_defaultEEEfNS9_4plusIvEEfEEDaPvRmT3_T4_T5_mT6_P12ihipStream_tbENKUlT_T0_E_clISt17integral_constantIbLb0EESX_EEDaSS_ST_EUlSS_E_NS1_11comp_targetILNS1_3genE8ELNS1_11target_archE1030ELNS1_3gpuE2ELNS1_3repE0EEENS1_30default_config_static_selectorELNS0_4arch9wavefront6targetE1EEEvT1_,comdat
.Lfunc_end5086:
	.size	_ZN7rocprim17ROCPRIM_400000_NS6detail17trampoline_kernelINS0_14default_configENS1_20scan_config_selectorIfEEZZNS1_9scan_implILNS1_25lookback_scan_determinismE0ELb1ELb1ES3_N6thrust23THRUST_200600_302600_NS6detail15normal_iteratorINS9_10device_ptrIfEEEENS9_16discard_iteratorINS9_11use_defaultEEEfNS9_4plusIvEEfEEDaPvRmT3_T4_T5_mT6_P12ihipStream_tbENKUlT_T0_E_clISt17integral_constantIbLb0EESX_EEDaSS_ST_EUlSS_E_NS1_11comp_targetILNS1_3genE8ELNS1_11target_archE1030ELNS1_3gpuE2ELNS1_3repE0EEENS1_30default_config_static_selectorELNS0_4arch9wavefront6targetE1EEEvT1_, .Lfunc_end5086-_ZN7rocprim17ROCPRIM_400000_NS6detail17trampoline_kernelINS0_14default_configENS1_20scan_config_selectorIfEEZZNS1_9scan_implILNS1_25lookback_scan_determinismE0ELb1ELb1ES3_N6thrust23THRUST_200600_302600_NS6detail15normal_iteratorINS9_10device_ptrIfEEEENS9_16discard_iteratorINS9_11use_defaultEEEfNS9_4plusIvEEfEEDaPvRmT3_T4_T5_mT6_P12ihipStream_tbENKUlT_T0_E_clISt17integral_constantIbLb0EESX_EEDaSS_ST_EUlSS_E_NS1_11comp_targetILNS1_3genE8ELNS1_11target_archE1030ELNS1_3gpuE2ELNS1_3repE0EEENS1_30default_config_static_selectorELNS0_4arch9wavefront6targetE1EEEvT1_
                                        ; -- End function
	.section	.AMDGPU.csdata,"",@progbits
; Kernel info:
; codeLenInByte = 0
; NumSgprs: 4
; NumVgprs: 0
; NumAgprs: 0
; TotalNumVgprs: 0
; ScratchSize: 0
; MemoryBound: 0
; FloatMode: 240
; IeeeMode: 1
; LDSByteSize: 0 bytes/workgroup (compile time only)
; SGPRBlocks: 0
; VGPRBlocks: 0
; NumSGPRsForWavesPerEU: 4
; NumVGPRsForWavesPerEU: 1
; AccumOffset: 4
; Occupancy: 8
; WaveLimiterHint : 0
; COMPUTE_PGM_RSRC2:SCRATCH_EN: 0
; COMPUTE_PGM_RSRC2:USER_SGPR: 6
; COMPUTE_PGM_RSRC2:TRAP_HANDLER: 0
; COMPUTE_PGM_RSRC2:TGID_X_EN: 1
; COMPUTE_PGM_RSRC2:TGID_Y_EN: 0
; COMPUTE_PGM_RSRC2:TGID_Z_EN: 0
; COMPUTE_PGM_RSRC2:TIDIG_COMP_CNT: 0
; COMPUTE_PGM_RSRC3_GFX90A:ACCUM_OFFSET: 0
; COMPUTE_PGM_RSRC3_GFX90A:TG_SPLIT: 0
	.section	.text._ZN7rocprim17ROCPRIM_400000_NS6detail17trampoline_kernelINS0_14default_configENS1_20scan_config_selectorIfEEZZNS1_9scan_implILNS1_25lookback_scan_determinismE0ELb1ELb1ES3_N6thrust23THRUST_200600_302600_NS6detail15normal_iteratorINS9_10device_ptrIfEEEENS9_16discard_iteratorINS9_11use_defaultEEEfNS9_4plusIvEEfEEDaPvRmT3_T4_T5_mT6_P12ihipStream_tbENKUlT_T0_E_clISt17integral_constantIbLb0EESX_EEDaSS_ST_EUlSS_E0_NS1_11comp_targetILNS1_3genE0ELNS1_11target_archE4294967295ELNS1_3gpuE0ELNS1_3repE0EEENS1_30default_config_static_selectorELNS0_4arch9wavefront6targetE1EEEvT1_,"axG",@progbits,_ZN7rocprim17ROCPRIM_400000_NS6detail17trampoline_kernelINS0_14default_configENS1_20scan_config_selectorIfEEZZNS1_9scan_implILNS1_25lookback_scan_determinismE0ELb1ELb1ES3_N6thrust23THRUST_200600_302600_NS6detail15normal_iteratorINS9_10device_ptrIfEEEENS9_16discard_iteratorINS9_11use_defaultEEEfNS9_4plusIvEEfEEDaPvRmT3_T4_T5_mT6_P12ihipStream_tbENKUlT_T0_E_clISt17integral_constantIbLb0EESX_EEDaSS_ST_EUlSS_E0_NS1_11comp_targetILNS1_3genE0ELNS1_11target_archE4294967295ELNS1_3gpuE0ELNS1_3repE0EEENS1_30default_config_static_selectorELNS0_4arch9wavefront6targetE1EEEvT1_,comdat
	.protected	_ZN7rocprim17ROCPRIM_400000_NS6detail17trampoline_kernelINS0_14default_configENS1_20scan_config_selectorIfEEZZNS1_9scan_implILNS1_25lookback_scan_determinismE0ELb1ELb1ES3_N6thrust23THRUST_200600_302600_NS6detail15normal_iteratorINS9_10device_ptrIfEEEENS9_16discard_iteratorINS9_11use_defaultEEEfNS9_4plusIvEEfEEDaPvRmT3_T4_T5_mT6_P12ihipStream_tbENKUlT_T0_E_clISt17integral_constantIbLb0EESX_EEDaSS_ST_EUlSS_E0_NS1_11comp_targetILNS1_3genE0ELNS1_11target_archE4294967295ELNS1_3gpuE0ELNS1_3repE0EEENS1_30default_config_static_selectorELNS0_4arch9wavefront6targetE1EEEvT1_ ; -- Begin function _ZN7rocprim17ROCPRIM_400000_NS6detail17trampoline_kernelINS0_14default_configENS1_20scan_config_selectorIfEEZZNS1_9scan_implILNS1_25lookback_scan_determinismE0ELb1ELb1ES3_N6thrust23THRUST_200600_302600_NS6detail15normal_iteratorINS9_10device_ptrIfEEEENS9_16discard_iteratorINS9_11use_defaultEEEfNS9_4plusIvEEfEEDaPvRmT3_T4_T5_mT6_P12ihipStream_tbENKUlT_T0_E_clISt17integral_constantIbLb0EESX_EEDaSS_ST_EUlSS_E0_NS1_11comp_targetILNS1_3genE0ELNS1_11target_archE4294967295ELNS1_3gpuE0ELNS1_3repE0EEENS1_30default_config_static_selectorELNS0_4arch9wavefront6targetE1EEEvT1_
	.globl	_ZN7rocprim17ROCPRIM_400000_NS6detail17trampoline_kernelINS0_14default_configENS1_20scan_config_selectorIfEEZZNS1_9scan_implILNS1_25lookback_scan_determinismE0ELb1ELb1ES3_N6thrust23THRUST_200600_302600_NS6detail15normal_iteratorINS9_10device_ptrIfEEEENS9_16discard_iteratorINS9_11use_defaultEEEfNS9_4plusIvEEfEEDaPvRmT3_T4_T5_mT6_P12ihipStream_tbENKUlT_T0_E_clISt17integral_constantIbLb0EESX_EEDaSS_ST_EUlSS_E0_NS1_11comp_targetILNS1_3genE0ELNS1_11target_archE4294967295ELNS1_3gpuE0ELNS1_3repE0EEENS1_30default_config_static_selectorELNS0_4arch9wavefront6targetE1EEEvT1_
	.p2align	8
	.type	_ZN7rocprim17ROCPRIM_400000_NS6detail17trampoline_kernelINS0_14default_configENS1_20scan_config_selectorIfEEZZNS1_9scan_implILNS1_25lookback_scan_determinismE0ELb1ELb1ES3_N6thrust23THRUST_200600_302600_NS6detail15normal_iteratorINS9_10device_ptrIfEEEENS9_16discard_iteratorINS9_11use_defaultEEEfNS9_4plusIvEEfEEDaPvRmT3_T4_T5_mT6_P12ihipStream_tbENKUlT_T0_E_clISt17integral_constantIbLb0EESX_EEDaSS_ST_EUlSS_E0_NS1_11comp_targetILNS1_3genE0ELNS1_11target_archE4294967295ELNS1_3gpuE0ELNS1_3repE0EEENS1_30default_config_static_selectorELNS0_4arch9wavefront6targetE1EEEvT1_,@function
_ZN7rocprim17ROCPRIM_400000_NS6detail17trampoline_kernelINS0_14default_configENS1_20scan_config_selectorIfEEZZNS1_9scan_implILNS1_25lookback_scan_determinismE0ELb1ELb1ES3_N6thrust23THRUST_200600_302600_NS6detail15normal_iteratorINS9_10device_ptrIfEEEENS9_16discard_iteratorINS9_11use_defaultEEEfNS9_4plusIvEEfEEDaPvRmT3_T4_T5_mT6_P12ihipStream_tbENKUlT_T0_E_clISt17integral_constantIbLb0EESX_EEDaSS_ST_EUlSS_E0_NS1_11comp_targetILNS1_3genE0ELNS1_11target_archE4294967295ELNS1_3gpuE0ELNS1_3repE0EEENS1_30default_config_static_selectorELNS0_4arch9wavefront6targetE1EEEvT1_: ; @_ZN7rocprim17ROCPRIM_400000_NS6detail17trampoline_kernelINS0_14default_configENS1_20scan_config_selectorIfEEZZNS1_9scan_implILNS1_25lookback_scan_determinismE0ELb1ELb1ES3_N6thrust23THRUST_200600_302600_NS6detail15normal_iteratorINS9_10device_ptrIfEEEENS9_16discard_iteratorINS9_11use_defaultEEEfNS9_4plusIvEEfEEDaPvRmT3_T4_T5_mT6_P12ihipStream_tbENKUlT_T0_E_clISt17integral_constantIbLb0EESX_EEDaSS_ST_EUlSS_E0_NS1_11comp_targetILNS1_3genE0ELNS1_11target_archE4294967295ELNS1_3gpuE0ELNS1_3repE0EEENS1_30default_config_static_selectorELNS0_4arch9wavefront6targetE1EEEvT1_
; %bb.0:
	.section	.rodata,"a",@progbits
	.p2align	6, 0x0
	.amdhsa_kernel _ZN7rocprim17ROCPRIM_400000_NS6detail17trampoline_kernelINS0_14default_configENS1_20scan_config_selectorIfEEZZNS1_9scan_implILNS1_25lookback_scan_determinismE0ELb1ELb1ES3_N6thrust23THRUST_200600_302600_NS6detail15normal_iteratorINS9_10device_ptrIfEEEENS9_16discard_iteratorINS9_11use_defaultEEEfNS9_4plusIvEEfEEDaPvRmT3_T4_T5_mT6_P12ihipStream_tbENKUlT_T0_E_clISt17integral_constantIbLb0EESX_EEDaSS_ST_EUlSS_E0_NS1_11comp_targetILNS1_3genE0ELNS1_11target_archE4294967295ELNS1_3gpuE0ELNS1_3repE0EEENS1_30default_config_static_selectorELNS0_4arch9wavefront6targetE1EEEvT1_
		.amdhsa_group_segment_fixed_size 0
		.amdhsa_private_segment_fixed_size 0
		.amdhsa_kernarg_size 40
		.amdhsa_user_sgpr_count 6
		.amdhsa_user_sgpr_private_segment_buffer 1
		.amdhsa_user_sgpr_dispatch_ptr 0
		.amdhsa_user_sgpr_queue_ptr 0
		.amdhsa_user_sgpr_kernarg_segment_ptr 1
		.amdhsa_user_sgpr_dispatch_id 0
		.amdhsa_user_sgpr_flat_scratch_init 0
		.amdhsa_user_sgpr_kernarg_preload_length 0
		.amdhsa_user_sgpr_kernarg_preload_offset 0
		.amdhsa_user_sgpr_private_segment_size 0
		.amdhsa_uses_dynamic_stack 0
		.amdhsa_system_sgpr_private_segment_wavefront_offset 0
		.amdhsa_system_sgpr_workgroup_id_x 1
		.amdhsa_system_sgpr_workgroup_id_y 0
		.amdhsa_system_sgpr_workgroup_id_z 0
		.amdhsa_system_sgpr_workgroup_info 0
		.amdhsa_system_vgpr_workitem_id 0
		.amdhsa_next_free_vgpr 1
		.amdhsa_next_free_sgpr 0
		.amdhsa_accum_offset 4
		.amdhsa_reserve_vcc 0
		.amdhsa_reserve_flat_scratch 0
		.amdhsa_float_round_mode_32 0
		.amdhsa_float_round_mode_16_64 0
		.amdhsa_float_denorm_mode_32 3
		.amdhsa_float_denorm_mode_16_64 3
		.amdhsa_dx10_clamp 1
		.amdhsa_ieee_mode 1
		.amdhsa_fp16_overflow 0
		.amdhsa_tg_split 0
		.amdhsa_exception_fp_ieee_invalid_op 0
		.amdhsa_exception_fp_denorm_src 0
		.amdhsa_exception_fp_ieee_div_zero 0
		.amdhsa_exception_fp_ieee_overflow 0
		.amdhsa_exception_fp_ieee_underflow 0
		.amdhsa_exception_fp_ieee_inexact 0
		.amdhsa_exception_int_div_zero 0
	.end_amdhsa_kernel
	.section	.text._ZN7rocprim17ROCPRIM_400000_NS6detail17trampoline_kernelINS0_14default_configENS1_20scan_config_selectorIfEEZZNS1_9scan_implILNS1_25lookback_scan_determinismE0ELb1ELb1ES3_N6thrust23THRUST_200600_302600_NS6detail15normal_iteratorINS9_10device_ptrIfEEEENS9_16discard_iteratorINS9_11use_defaultEEEfNS9_4plusIvEEfEEDaPvRmT3_T4_T5_mT6_P12ihipStream_tbENKUlT_T0_E_clISt17integral_constantIbLb0EESX_EEDaSS_ST_EUlSS_E0_NS1_11comp_targetILNS1_3genE0ELNS1_11target_archE4294967295ELNS1_3gpuE0ELNS1_3repE0EEENS1_30default_config_static_selectorELNS0_4arch9wavefront6targetE1EEEvT1_,"axG",@progbits,_ZN7rocprim17ROCPRIM_400000_NS6detail17trampoline_kernelINS0_14default_configENS1_20scan_config_selectorIfEEZZNS1_9scan_implILNS1_25lookback_scan_determinismE0ELb1ELb1ES3_N6thrust23THRUST_200600_302600_NS6detail15normal_iteratorINS9_10device_ptrIfEEEENS9_16discard_iteratorINS9_11use_defaultEEEfNS9_4plusIvEEfEEDaPvRmT3_T4_T5_mT6_P12ihipStream_tbENKUlT_T0_E_clISt17integral_constantIbLb0EESX_EEDaSS_ST_EUlSS_E0_NS1_11comp_targetILNS1_3genE0ELNS1_11target_archE4294967295ELNS1_3gpuE0ELNS1_3repE0EEENS1_30default_config_static_selectorELNS0_4arch9wavefront6targetE1EEEvT1_,comdat
.Lfunc_end5087:
	.size	_ZN7rocprim17ROCPRIM_400000_NS6detail17trampoline_kernelINS0_14default_configENS1_20scan_config_selectorIfEEZZNS1_9scan_implILNS1_25lookback_scan_determinismE0ELb1ELb1ES3_N6thrust23THRUST_200600_302600_NS6detail15normal_iteratorINS9_10device_ptrIfEEEENS9_16discard_iteratorINS9_11use_defaultEEEfNS9_4plusIvEEfEEDaPvRmT3_T4_T5_mT6_P12ihipStream_tbENKUlT_T0_E_clISt17integral_constantIbLb0EESX_EEDaSS_ST_EUlSS_E0_NS1_11comp_targetILNS1_3genE0ELNS1_11target_archE4294967295ELNS1_3gpuE0ELNS1_3repE0EEENS1_30default_config_static_selectorELNS0_4arch9wavefront6targetE1EEEvT1_, .Lfunc_end5087-_ZN7rocprim17ROCPRIM_400000_NS6detail17trampoline_kernelINS0_14default_configENS1_20scan_config_selectorIfEEZZNS1_9scan_implILNS1_25lookback_scan_determinismE0ELb1ELb1ES3_N6thrust23THRUST_200600_302600_NS6detail15normal_iteratorINS9_10device_ptrIfEEEENS9_16discard_iteratorINS9_11use_defaultEEEfNS9_4plusIvEEfEEDaPvRmT3_T4_T5_mT6_P12ihipStream_tbENKUlT_T0_E_clISt17integral_constantIbLb0EESX_EEDaSS_ST_EUlSS_E0_NS1_11comp_targetILNS1_3genE0ELNS1_11target_archE4294967295ELNS1_3gpuE0ELNS1_3repE0EEENS1_30default_config_static_selectorELNS0_4arch9wavefront6targetE1EEEvT1_
                                        ; -- End function
	.section	.AMDGPU.csdata,"",@progbits
; Kernel info:
; codeLenInByte = 0
; NumSgprs: 4
; NumVgprs: 0
; NumAgprs: 0
; TotalNumVgprs: 0
; ScratchSize: 0
; MemoryBound: 0
; FloatMode: 240
; IeeeMode: 1
; LDSByteSize: 0 bytes/workgroup (compile time only)
; SGPRBlocks: 0
; VGPRBlocks: 0
; NumSGPRsForWavesPerEU: 4
; NumVGPRsForWavesPerEU: 1
; AccumOffset: 4
; Occupancy: 8
; WaveLimiterHint : 0
; COMPUTE_PGM_RSRC2:SCRATCH_EN: 0
; COMPUTE_PGM_RSRC2:USER_SGPR: 6
; COMPUTE_PGM_RSRC2:TRAP_HANDLER: 0
; COMPUTE_PGM_RSRC2:TGID_X_EN: 1
; COMPUTE_PGM_RSRC2:TGID_Y_EN: 0
; COMPUTE_PGM_RSRC2:TGID_Z_EN: 0
; COMPUTE_PGM_RSRC2:TIDIG_COMP_CNT: 0
; COMPUTE_PGM_RSRC3_GFX90A:ACCUM_OFFSET: 0
; COMPUTE_PGM_RSRC3_GFX90A:TG_SPLIT: 0
	.section	.text._ZN7rocprim17ROCPRIM_400000_NS6detail17trampoline_kernelINS0_14default_configENS1_20scan_config_selectorIfEEZZNS1_9scan_implILNS1_25lookback_scan_determinismE0ELb1ELb1ES3_N6thrust23THRUST_200600_302600_NS6detail15normal_iteratorINS9_10device_ptrIfEEEENS9_16discard_iteratorINS9_11use_defaultEEEfNS9_4plusIvEEfEEDaPvRmT3_T4_T5_mT6_P12ihipStream_tbENKUlT_T0_E_clISt17integral_constantIbLb0EESX_EEDaSS_ST_EUlSS_E0_NS1_11comp_targetILNS1_3genE5ELNS1_11target_archE942ELNS1_3gpuE9ELNS1_3repE0EEENS1_30default_config_static_selectorELNS0_4arch9wavefront6targetE1EEEvT1_,"axG",@progbits,_ZN7rocprim17ROCPRIM_400000_NS6detail17trampoline_kernelINS0_14default_configENS1_20scan_config_selectorIfEEZZNS1_9scan_implILNS1_25lookback_scan_determinismE0ELb1ELb1ES3_N6thrust23THRUST_200600_302600_NS6detail15normal_iteratorINS9_10device_ptrIfEEEENS9_16discard_iteratorINS9_11use_defaultEEEfNS9_4plusIvEEfEEDaPvRmT3_T4_T5_mT6_P12ihipStream_tbENKUlT_T0_E_clISt17integral_constantIbLb0EESX_EEDaSS_ST_EUlSS_E0_NS1_11comp_targetILNS1_3genE5ELNS1_11target_archE942ELNS1_3gpuE9ELNS1_3repE0EEENS1_30default_config_static_selectorELNS0_4arch9wavefront6targetE1EEEvT1_,comdat
	.protected	_ZN7rocprim17ROCPRIM_400000_NS6detail17trampoline_kernelINS0_14default_configENS1_20scan_config_selectorIfEEZZNS1_9scan_implILNS1_25lookback_scan_determinismE0ELb1ELb1ES3_N6thrust23THRUST_200600_302600_NS6detail15normal_iteratorINS9_10device_ptrIfEEEENS9_16discard_iteratorINS9_11use_defaultEEEfNS9_4plusIvEEfEEDaPvRmT3_T4_T5_mT6_P12ihipStream_tbENKUlT_T0_E_clISt17integral_constantIbLb0EESX_EEDaSS_ST_EUlSS_E0_NS1_11comp_targetILNS1_3genE5ELNS1_11target_archE942ELNS1_3gpuE9ELNS1_3repE0EEENS1_30default_config_static_selectorELNS0_4arch9wavefront6targetE1EEEvT1_ ; -- Begin function _ZN7rocprim17ROCPRIM_400000_NS6detail17trampoline_kernelINS0_14default_configENS1_20scan_config_selectorIfEEZZNS1_9scan_implILNS1_25lookback_scan_determinismE0ELb1ELb1ES3_N6thrust23THRUST_200600_302600_NS6detail15normal_iteratorINS9_10device_ptrIfEEEENS9_16discard_iteratorINS9_11use_defaultEEEfNS9_4plusIvEEfEEDaPvRmT3_T4_T5_mT6_P12ihipStream_tbENKUlT_T0_E_clISt17integral_constantIbLb0EESX_EEDaSS_ST_EUlSS_E0_NS1_11comp_targetILNS1_3genE5ELNS1_11target_archE942ELNS1_3gpuE9ELNS1_3repE0EEENS1_30default_config_static_selectorELNS0_4arch9wavefront6targetE1EEEvT1_
	.globl	_ZN7rocprim17ROCPRIM_400000_NS6detail17trampoline_kernelINS0_14default_configENS1_20scan_config_selectorIfEEZZNS1_9scan_implILNS1_25lookback_scan_determinismE0ELb1ELb1ES3_N6thrust23THRUST_200600_302600_NS6detail15normal_iteratorINS9_10device_ptrIfEEEENS9_16discard_iteratorINS9_11use_defaultEEEfNS9_4plusIvEEfEEDaPvRmT3_T4_T5_mT6_P12ihipStream_tbENKUlT_T0_E_clISt17integral_constantIbLb0EESX_EEDaSS_ST_EUlSS_E0_NS1_11comp_targetILNS1_3genE5ELNS1_11target_archE942ELNS1_3gpuE9ELNS1_3repE0EEENS1_30default_config_static_selectorELNS0_4arch9wavefront6targetE1EEEvT1_
	.p2align	8
	.type	_ZN7rocprim17ROCPRIM_400000_NS6detail17trampoline_kernelINS0_14default_configENS1_20scan_config_selectorIfEEZZNS1_9scan_implILNS1_25lookback_scan_determinismE0ELb1ELb1ES3_N6thrust23THRUST_200600_302600_NS6detail15normal_iteratorINS9_10device_ptrIfEEEENS9_16discard_iteratorINS9_11use_defaultEEEfNS9_4plusIvEEfEEDaPvRmT3_T4_T5_mT6_P12ihipStream_tbENKUlT_T0_E_clISt17integral_constantIbLb0EESX_EEDaSS_ST_EUlSS_E0_NS1_11comp_targetILNS1_3genE5ELNS1_11target_archE942ELNS1_3gpuE9ELNS1_3repE0EEENS1_30default_config_static_selectorELNS0_4arch9wavefront6targetE1EEEvT1_,@function
_ZN7rocprim17ROCPRIM_400000_NS6detail17trampoline_kernelINS0_14default_configENS1_20scan_config_selectorIfEEZZNS1_9scan_implILNS1_25lookback_scan_determinismE0ELb1ELb1ES3_N6thrust23THRUST_200600_302600_NS6detail15normal_iteratorINS9_10device_ptrIfEEEENS9_16discard_iteratorINS9_11use_defaultEEEfNS9_4plusIvEEfEEDaPvRmT3_T4_T5_mT6_P12ihipStream_tbENKUlT_T0_E_clISt17integral_constantIbLb0EESX_EEDaSS_ST_EUlSS_E0_NS1_11comp_targetILNS1_3genE5ELNS1_11target_archE942ELNS1_3gpuE9ELNS1_3repE0EEENS1_30default_config_static_selectorELNS0_4arch9wavefront6targetE1EEEvT1_: ; @_ZN7rocprim17ROCPRIM_400000_NS6detail17trampoline_kernelINS0_14default_configENS1_20scan_config_selectorIfEEZZNS1_9scan_implILNS1_25lookback_scan_determinismE0ELb1ELb1ES3_N6thrust23THRUST_200600_302600_NS6detail15normal_iteratorINS9_10device_ptrIfEEEENS9_16discard_iteratorINS9_11use_defaultEEEfNS9_4plusIvEEfEEDaPvRmT3_T4_T5_mT6_P12ihipStream_tbENKUlT_T0_E_clISt17integral_constantIbLb0EESX_EEDaSS_ST_EUlSS_E0_NS1_11comp_targetILNS1_3genE5ELNS1_11target_archE942ELNS1_3gpuE9ELNS1_3repE0EEENS1_30default_config_static_selectorELNS0_4arch9wavefront6targetE1EEEvT1_
; %bb.0:
	.section	.rodata,"a",@progbits
	.p2align	6, 0x0
	.amdhsa_kernel _ZN7rocprim17ROCPRIM_400000_NS6detail17trampoline_kernelINS0_14default_configENS1_20scan_config_selectorIfEEZZNS1_9scan_implILNS1_25lookback_scan_determinismE0ELb1ELb1ES3_N6thrust23THRUST_200600_302600_NS6detail15normal_iteratorINS9_10device_ptrIfEEEENS9_16discard_iteratorINS9_11use_defaultEEEfNS9_4plusIvEEfEEDaPvRmT3_T4_T5_mT6_P12ihipStream_tbENKUlT_T0_E_clISt17integral_constantIbLb0EESX_EEDaSS_ST_EUlSS_E0_NS1_11comp_targetILNS1_3genE5ELNS1_11target_archE942ELNS1_3gpuE9ELNS1_3repE0EEENS1_30default_config_static_selectorELNS0_4arch9wavefront6targetE1EEEvT1_
		.amdhsa_group_segment_fixed_size 0
		.amdhsa_private_segment_fixed_size 0
		.amdhsa_kernarg_size 40
		.amdhsa_user_sgpr_count 6
		.amdhsa_user_sgpr_private_segment_buffer 1
		.amdhsa_user_sgpr_dispatch_ptr 0
		.amdhsa_user_sgpr_queue_ptr 0
		.amdhsa_user_sgpr_kernarg_segment_ptr 1
		.amdhsa_user_sgpr_dispatch_id 0
		.amdhsa_user_sgpr_flat_scratch_init 0
		.amdhsa_user_sgpr_kernarg_preload_length 0
		.amdhsa_user_sgpr_kernarg_preload_offset 0
		.amdhsa_user_sgpr_private_segment_size 0
		.amdhsa_uses_dynamic_stack 0
		.amdhsa_system_sgpr_private_segment_wavefront_offset 0
		.amdhsa_system_sgpr_workgroup_id_x 1
		.amdhsa_system_sgpr_workgroup_id_y 0
		.amdhsa_system_sgpr_workgroup_id_z 0
		.amdhsa_system_sgpr_workgroup_info 0
		.amdhsa_system_vgpr_workitem_id 0
		.amdhsa_next_free_vgpr 1
		.amdhsa_next_free_sgpr 0
		.amdhsa_accum_offset 4
		.amdhsa_reserve_vcc 0
		.amdhsa_reserve_flat_scratch 0
		.amdhsa_float_round_mode_32 0
		.amdhsa_float_round_mode_16_64 0
		.amdhsa_float_denorm_mode_32 3
		.amdhsa_float_denorm_mode_16_64 3
		.amdhsa_dx10_clamp 1
		.amdhsa_ieee_mode 1
		.amdhsa_fp16_overflow 0
		.amdhsa_tg_split 0
		.amdhsa_exception_fp_ieee_invalid_op 0
		.amdhsa_exception_fp_denorm_src 0
		.amdhsa_exception_fp_ieee_div_zero 0
		.amdhsa_exception_fp_ieee_overflow 0
		.amdhsa_exception_fp_ieee_underflow 0
		.amdhsa_exception_fp_ieee_inexact 0
		.amdhsa_exception_int_div_zero 0
	.end_amdhsa_kernel
	.section	.text._ZN7rocprim17ROCPRIM_400000_NS6detail17trampoline_kernelINS0_14default_configENS1_20scan_config_selectorIfEEZZNS1_9scan_implILNS1_25lookback_scan_determinismE0ELb1ELb1ES3_N6thrust23THRUST_200600_302600_NS6detail15normal_iteratorINS9_10device_ptrIfEEEENS9_16discard_iteratorINS9_11use_defaultEEEfNS9_4plusIvEEfEEDaPvRmT3_T4_T5_mT6_P12ihipStream_tbENKUlT_T0_E_clISt17integral_constantIbLb0EESX_EEDaSS_ST_EUlSS_E0_NS1_11comp_targetILNS1_3genE5ELNS1_11target_archE942ELNS1_3gpuE9ELNS1_3repE0EEENS1_30default_config_static_selectorELNS0_4arch9wavefront6targetE1EEEvT1_,"axG",@progbits,_ZN7rocprim17ROCPRIM_400000_NS6detail17trampoline_kernelINS0_14default_configENS1_20scan_config_selectorIfEEZZNS1_9scan_implILNS1_25lookback_scan_determinismE0ELb1ELb1ES3_N6thrust23THRUST_200600_302600_NS6detail15normal_iteratorINS9_10device_ptrIfEEEENS9_16discard_iteratorINS9_11use_defaultEEEfNS9_4plusIvEEfEEDaPvRmT3_T4_T5_mT6_P12ihipStream_tbENKUlT_T0_E_clISt17integral_constantIbLb0EESX_EEDaSS_ST_EUlSS_E0_NS1_11comp_targetILNS1_3genE5ELNS1_11target_archE942ELNS1_3gpuE9ELNS1_3repE0EEENS1_30default_config_static_selectorELNS0_4arch9wavefront6targetE1EEEvT1_,comdat
.Lfunc_end5088:
	.size	_ZN7rocprim17ROCPRIM_400000_NS6detail17trampoline_kernelINS0_14default_configENS1_20scan_config_selectorIfEEZZNS1_9scan_implILNS1_25lookback_scan_determinismE0ELb1ELb1ES3_N6thrust23THRUST_200600_302600_NS6detail15normal_iteratorINS9_10device_ptrIfEEEENS9_16discard_iteratorINS9_11use_defaultEEEfNS9_4plusIvEEfEEDaPvRmT3_T4_T5_mT6_P12ihipStream_tbENKUlT_T0_E_clISt17integral_constantIbLb0EESX_EEDaSS_ST_EUlSS_E0_NS1_11comp_targetILNS1_3genE5ELNS1_11target_archE942ELNS1_3gpuE9ELNS1_3repE0EEENS1_30default_config_static_selectorELNS0_4arch9wavefront6targetE1EEEvT1_, .Lfunc_end5088-_ZN7rocprim17ROCPRIM_400000_NS6detail17trampoline_kernelINS0_14default_configENS1_20scan_config_selectorIfEEZZNS1_9scan_implILNS1_25lookback_scan_determinismE0ELb1ELb1ES3_N6thrust23THRUST_200600_302600_NS6detail15normal_iteratorINS9_10device_ptrIfEEEENS9_16discard_iteratorINS9_11use_defaultEEEfNS9_4plusIvEEfEEDaPvRmT3_T4_T5_mT6_P12ihipStream_tbENKUlT_T0_E_clISt17integral_constantIbLb0EESX_EEDaSS_ST_EUlSS_E0_NS1_11comp_targetILNS1_3genE5ELNS1_11target_archE942ELNS1_3gpuE9ELNS1_3repE0EEENS1_30default_config_static_selectorELNS0_4arch9wavefront6targetE1EEEvT1_
                                        ; -- End function
	.section	.AMDGPU.csdata,"",@progbits
; Kernel info:
; codeLenInByte = 0
; NumSgprs: 4
; NumVgprs: 0
; NumAgprs: 0
; TotalNumVgprs: 0
; ScratchSize: 0
; MemoryBound: 0
; FloatMode: 240
; IeeeMode: 1
; LDSByteSize: 0 bytes/workgroup (compile time only)
; SGPRBlocks: 0
; VGPRBlocks: 0
; NumSGPRsForWavesPerEU: 4
; NumVGPRsForWavesPerEU: 1
; AccumOffset: 4
; Occupancy: 8
; WaveLimiterHint : 0
; COMPUTE_PGM_RSRC2:SCRATCH_EN: 0
; COMPUTE_PGM_RSRC2:USER_SGPR: 6
; COMPUTE_PGM_RSRC2:TRAP_HANDLER: 0
; COMPUTE_PGM_RSRC2:TGID_X_EN: 1
; COMPUTE_PGM_RSRC2:TGID_Y_EN: 0
; COMPUTE_PGM_RSRC2:TGID_Z_EN: 0
; COMPUTE_PGM_RSRC2:TIDIG_COMP_CNT: 0
; COMPUTE_PGM_RSRC3_GFX90A:ACCUM_OFFSET: 0
; COMPUTE_PGM_RSRC3_GFX90A:TG_SPLIT: 0
	.section	.text._ZN7rocprim17ROCPRIM_400000_NS6detail17trampoline_kernelINS0_14default_configENS1_20scan_config_selectorIfEEZZNS1_9scan_implILNS1_25lookback_scan_determinismE0ELb1ELb1ES3_N6thrust23THRUST_200600_302600_NS6detail15normal_iteratorINS9_10device_ptrIfEEEENS9_16discard_iteratorINS9_11use_defaultEEEfNS9_4plusIvEEfEEDaPvRmT3_T4_T5_mT6_P12ihipStream_tbENKUlT_T0_E_clISt17integral_constantIbLb0EESX_EEDaSS_ST_EUlSS_E0_NS1_11comp_targetILNS1_3genE4ELNS1_11target_archE910ELNS1_3gpuE8ELNS1_3repE0EEENS1_30default_config_static_selectorELNS0_4arch9wavefront6targetE1EEEvT1_,"axG",@progbits,_ZN7rocprim17ROCPRIM_400000_NS6detail17trampoline_kernelINS0_14default_configENS1_20scan_config_selectorIfEEZZNS1_9scan_implILNS1_25lookback_scan_determinismE0ELb1ELb1ES3_N6thrust23THRUST_200600_302600_NS6detail15normal_iteratorINS9_10device_ptrIfEEEENS9_16discard_iteratorINS9_11use_defaultEEEfNS9_4plusIvEEfEEDaPvRmT3_T4_T5_mT6_P12ihipStream_tbENKUlT_T0_E_clISt17integral_constantIbLb0EESX_EEDaSS_ST_EUlSS_E0_NS1_11comp_targetILNS1_3genE4ELNS1_11target_archE910ELNS1_3gpuE8ELNS1_3repE0EEENS1_30default_config_static_selectorELNS0_4arch9wavefront6targetE1EEEvT1_,comdat
	.protected	_ZN7rocprim17ROCPRIM_400000_NS6detail17trampoline_kernelINS0_14default_configENS1_20scan_config_selectorIfEEZZNS1_9scan_implILNS1_25lookback_scan_determinismE0ELb1ELb1ES3_N6thrust23THRUST_200600_302600_NS6detail15normal_iteratorINS9_10device_ptrIfEEEENS9_16discard_iteratorINS9_11use_defaultEEEfNS9_4plusIvEEfEEDaPvRmT3_T4_T5_mT6_P12ihipStream_tbENKUlT_T0_E_clISt17integral_constantIbLb0EESX_EEDaSS_ST_EUlSS_E0_NS1_11comp_targetILNS1_3genE4ELNS1_11target_archE910ELNS1_3gpuE8ELNS1_3repE0EEENS1_30default_config_static_selectorELNS0_4arch9wavefront6targetE1EEEvT1_ ; -- Begin function _ZN7rocprim17ROCPRIM_400000_NS6detail17trampoline_kernelINS0_14default_configENS1_20scan_config_selectorIfEEZZNS1_9scan_implILNS1_25lookback_scan_determinismE0ELb1ELb1ES3_N6thrust23THRUST_200600_302600_NS6detail15normal_iteratorINS9_10device_ptrIfEEEENS9_16discard_iteratorINS9_11use_defaultEEEfNS9_4plusIvEEfEEDaPvRmT3_T4_T5_mT6_P12ihipStream_tbENKUlT_T0_E_clISt17integral_constantIbLb0EESX_EEDaSS_ST_EUlSS_E0_NS1_11comp_targetILNS1_3genE4ELNS1_11target_archE910ELNS1_3gpuE8ELNS1_3repE0EEENS1_30default_config_static_selectorELNS0_4arch9wavefront6targetE1EEEvT1_
	.globl	_ZN7rocprim17ROCPRIM_400000_NS6detail17trampoline_kernelINS0_14default_configENS1_20scan_config_selectorIfEEZZNS1_9scan_implILNS1_25lookback_scan_determinismE0ELb1ELb1ES3_N6thrust23THRUST_200600_302600_NS6detail15normal_iteratorINS9_10device_ptrIfEEEENS9_16discard_iteratorINS9_11use_defaultEEEfNS9_4plusIvEEfEEDaPvRmT3_T4_T5_mT6_P12ihipStream_tbENKUlT_T0_E_clISt17integral_constantIbLb0EESX_EEDaSS_ST_EUlSS_E0_NS1_11comp_targetILNS1_3genE4ELNS1_11target_archE910ELNS1_3gpuE8ELNS1_3repE0EEENS1_30default_config_static_selectorELNS0_4arch9wavefront6targetE1EEEvT1_
	.p2align	8
	.type	_ZN7rocprim17ROCPRIM_400000_NS6detail17trampoline_kernelINS0_14default_configENS1_20scan_config_selectorIfEEZZNS1_9scan_implILNS1_25lookback_scan_determinismE0ELb1ELb1ES3_N6thrust23THRUST_200600_302600_NS6detail15normal_iteratorINS9_10device_ptrIfEEEENS9_16discard_iteratorINS9_11use_defaultEEEfNS9_4plusIvEEfEEDaPvRmT3_T4_T5_mT6_P12ihipStream_tbENKUlT_T0_E_clISt17integral_constantIbLb0EESX_EEDaSS_ST_EUlSS_E0_NS1_11comp_targetILNS1_3genE4ELNS1_11target_archE910ELNS1_3gpuE8ELNS1_3repE0EEENS1_30default_config_static_selectorELNS0_4arch9wavefront6targetE1EEEvT1_,@function
_ZN7rocprim17ROCPRIM_400000_NS6detail17trampoline_kernelINS0_14default_configENS1_20scan_config_selectorIfEEZZNS1_9scan_implILNS1_25lookback_scan_determinismE0ELb1ELb1ES3_N6thrust23THRUST_200600_302600_NS6detail15normal_iteratorINS9_10device_ptrIfEEEENS9_16discard_iteratorINS9_11use_defaultEEEfNS9_4plusIvEEfEEDaPvRmT3_T4_T5_mT6_P12ihipStream_tbENKUlT_T0_E_clISt17integral_constantIbLb0EESX_EEDaSS_ST_EUlSS_E0_NS1_11comp_targetILNS1_3genE4ELNS1_11target_archE910ELNS1_3gpuE8ELNS1_3repE0EEENS1_30default_config_static_selectorELNS0_4arch9wavefront6targetE1EEEvT1_: ; @_ZN7rocprim17ROCPRIM_400000_NS6detail17trampoline_kernelINS0_14default_configENS1_20scan_config_selectorIfEEZZNS1_9scan_implILNS1_25lookback_scan_determinismE0ELb1ELb1ES3_N6thrust23THRUST_200600_302600_NS6detail15normal_iteratorINS9_10device_ptrIfEEEENS9_16discard_iteratorINS9_11use_defaultEEEfNS9_4plusIvEEfEEDaPvRmT3_T4_T5_mT6_P12ihipStream_tbENKUlT_T0_E_clISt17integral_constantIbLb0EESX_EEDaSS_ST_EUlSS_E0_NS1_11comp_targetILNS1_3genE4ELNS1_11target_archE910ELNS1_3gpuE8ELNS1_3repE0EEENS1_30default_config_static_selectorELNS0_4arch9wavefront6targetE1EEEvT1_
; %bb.0:
	s_load_dwordx4 s[0:3], s[4:5], 0x0
	v_lshlrev_b32_e32 v1, 2, v0
	s_waitcnt lgkmcnt(0)
	s_load_dword s3, s[0:1], 0x0
	v_cmp_gt_u32_e32 vcc, s2, v0
	s_waitcnt lgkmcnt(0)
	v_mov_b32_e32 v2, s3
	s_and_saveexec_b64 s[6:7], vcc
	s_cbranch_execz .LBB5089_2
; %bb.1:
	global_load_dword v2, v1, s[0:1]
.LBB5089_2:
	s_or_b64 exec, exec, s[6:7]
	v_or_b32_e32 v3, 0x80, v0
	v_cmp_gt_u32_e32 vcc, s2, v3
	v_mov_b32_e32 v3, s3
	s_and_saveexec_b64 s[6:7], vcc
	s_cbranch_execz .LBB5089_4
; %bb.3:
	global_load_dword v3, v1, s[0:1] offset:512
.LBB5089_4:
	s_or_b64 exec, exec, s[6:7]
	v_or_b32_e32 v4, 0x100, v0
	v_cmp_gt_u32_e32 vcc, s2, v4
	v_mov_b32_e32 v4, s3
	s_and_saveexec_b64 s[6:7], vcc
	s_cbranch_execz .LBB5089_6
; %bb.5:
	global_load_dword v4, v1, s[0:1] offset:1024
.LBB5089_6:
	;; [unrolled: 9-line block ×7, first 2 shown]
	s_or_b64 exec, exec, s[6:7]
	v_or_b32_e32 v11, 0x400, v0
	v_cmp_gt_u32_e32 vcc, s2, v11
	v_mov_b32_e32 v10, s3
	s_and_saveexec_b64 s[6:7], vcc
	s_cbranch_execz .LBB5089_18
; %bb.17:
	v_lshlrev_b32_e32 v10, 2, v11
	global_load_dword v10, v10, s[0:1]
.LBB5089_18:
	s_or_b64 exec, exec, s[6:7]
	v_or_b32_e32 v12, 0x480, v0
	v_cmp_gt_u32_e32 vcc, s2, v12
	v_mov_b32_e32 v11, s3
	s_and_saveexec_b64 s[6:7], vcc
	s_cbranch_execz .LBB5089_20
; %bb.19:
	v_lshlrev_b32_e32 v11, 2, v12
	global_load_dword v11, v11, s[0:1]
.LBB5089_20:
	;; [unrolled: 10-line block ×5, first 2 shown]
	s_or_b64 exec, exec, s[6:7]
	s_load_dword s6, s[4:5], 0x10
	v_or_b32_e32 v16, 0x680, v0
	v_cmp_gt_u32_e32 vcc, s2, v16
	v_mov_b32_e32 v15, s3
	s_and_saveexec_b64 s[2:3], vcc
	s_cbranch_execz .LBB5089_28
; %bb.27:
	v_lshlrev_b32_e32 v15, 2, v16
	global_load_dword v15, v15, s[0:1]
.LBB5089_28:
	s_or_b64 exec, exec, s[2:3]
	s_waitcnt vmcnt(0)
	ds_write2st64_b32 v1, v2, v3 offset1:2
	ds_write2st64_b32 v1, v4, v5 offset0:4 offset1:6
	ds_write2st64_b32 v1, v6, v7 offset0:8 offset1:10
	;; [unrolled: 1-line block ×6, first 2 shown]
	v_mad_u32_u24 v14, v0, 52, v1
	s_waitcnt lgkmcnt(0)
	s_barrier
	ds_read2_b64 v[10:13], v14 offset1:1
	ds_read2_b64 v[6:9], v14 offset0:2 offset1:3
	ds_read2_b64 v[2:5], v14 offset0:4 offset1:5
	ds_read_b64 v[14:15], v14 offset:48
	v_cmp_gt_u32_e32 vcc, 64, v0
	s_waitcnt lgkmcnt(3)
	v_add_f32_e32 v16, v10, v11
	v_add_f32_e32 v16, v16, v12
	v_add_f32_e32 v16, v16, v13
	s_waitcnt lgkmcnt(2)
	v_add_f32_e32 v16, v16, v6
	v_add_f32_e32 v16, v16, v7
	v_add_f32_e32 v16, v16, v8
	v_add_f32_e32 v16, v16, v9
	s_waitcnt lgkmcnt(1)
	v_add_f32_e32 v16, v16, v2
	v_add_f32_e32 v16, v16, v3
	v_add_f32_e32 v16, v16, v4
	v_add_f32_e32 v16, v16, v5
	s_waitcnt lgkmcnt(0)
	v_add_f32_e32 v16, v16, v14
	v_add_f32_e32 v15, v16, v15
	v_lshrrev_b32_e32 v16, 3, v0
	v_and_b32_e32 v16, 12, v16
	v_add_u32_e32 v16, v1, v16
	s_barrier
	ds_write_b32 v16, v15
	s_waitcnt lgkmcnt(0)
	s_barrier
	s_and_saveexec_b64 s[4:5], vcc
	s_cbranch_execz .LBB5089_30
; %bb.29:
	v_lshlrev_b32_e32 v16, 1, v0
	v_lshrrev_b32_e32 v17, 4, v0
	v_add_lshl_u32 v18, v17, v16, 2
	ds_read2_b32 v[16:17], v18 offset1:1
	v_mbcnt_lo_u32_b32 v19, -1, 0
	v_mbcnt_hi_u32_b32 v19, -1, v19
	v_and_b32_e32 v20, 15, v19
	v_cmp_eq_u32_e32 vcc, 0, v20
	s_waitcnt lgkmcnt(0)
	v_add_f32_e32 v17, v16, v17
	v_cmp_lt_u32_e64 s[0:1], 3, v20
	v_cmp_lt_u32_e64 s[2:3], 31, v19
	v_mov_b32_dpp v21, v17 row_shr:1 row_mask:0xf bank_mask:0xf
	v_add_f32_e32 v21, v17, v21
	v_cndmask_b32_e32 v17, v21, v17, vcc
	v_cmp_lt_u32_e32 vcc, 1, v20
	s_nop 0
	v_mov_b32_dpp v21, v17 row_shr:2 row_mask:0xf bank_mask:0xf
	v_add_f32_e32 v21, v17, v21
	v_cndmask_b32_e32 v21, v17, v21, vcc
	; wave barrier
	s_nop 1
	v_mov_b32_dpp v22, v21 row_shr:4 row_mask:0xf bank_mask:0xf
	v_add_f32_e32 v22, v21, v22
	v_cndmask_b32_e64 v21, v21, v22, s[0:1]
	v_cmp_lt_u32_e64 s[0:1], 7, v20
	s_nop 0
	v_mov_b32_dpp v22, v21 row_shr:8 row_mask:0xf bank_mask:0xf
	v_add_f32_e32 v22, v21, v22
	v_cndmask_b32_e64 v20, v21, v22, s[0:1]
	v_and_b32_e32 v22, 16, v19
	v_cmp_eq_u32_e64 s[0:1], 0, v22
	v_mov_b32_dpp v21, v20 row_bcast:15 row_mask:0xf bank_mask:0xf
	v_add_f32_e32 v21, v20, v21
	v_cndmask_b32_e64 v20, v21, v20, s[0:1]
	v_cmp_lt_u32_e64 s[0:1], 15, v19
	s_or_b64 vcc, s[0:1], vcc
	v_mov_b32_dpp v21, v20 row_bcast:31 row_mask:0xf bank_mask:0xf
	v_add_f32_e32 v21, v20, v21
	v_cndmask_b32_e64 v20, v20, v21, s[2:3]
	v_cndmask_b32_e32 v17, v17, v20, vcc
	v_add_u32_e32 v20, -1, v19
	v_and_b32_e32 v21, 64, v19
	v_cmp_lt_i32_e32 vcc, v20, v21
	v_cndmask_b32_e32 v19, v20, v19, vcc
	v_lshlrev_b32_e32 v19, 2, v19
	ds_bpermute_b32 v17, v19, v17
	v_cmp_eq_u32_e32 vcc, 0, v0
	s_waitcnt lgkmcnt(0)
	v_add_f32_e32 v16, v16, v17
	v_cndmask_b32_e32 v15, v16, v15, vcc
	ds_write_b32 v18, v15
	; wave barrier
	ds_read_b32 v16, v18 offset:4
	s_waitcnt lgkmcnt(0)
	v_add_f32_e32 v15, v15, v16
	ds_write_b32 v18, v15 offset:4
.LBB5089_30:
	s_or_b64 exec, exec, s[4:5]
	v_mul_u32_u24_e32 v15, 52, v0
	v_cmp_ne_u32_e32 vcc, 0, v0
	v_mov_b32_e32 v16, s6
	s_waitcnt lgkmcnt(0)
	s_barrier
	s_and_saveexec_b64 s[0:1], vcc
	s_cbranch_execz .LBB5089_32
; %bb.31:
	v_add_u32_e32 v0, -1, v0
	v_lshrrev_b32_e32 v16, 5, v0
	v_add_lshl_u32 v0, v16, v0, 2
	ds_read_b32 v0, v0
	s_waitcnt lgkmcnt(0)
	v_add_f32_e32 v16, s6, v0
.LBB5089_32:
	s_or_b64 exec, exec, s[0:1]
	v_add_f32_e32 v17, v10, v16
	v_add_f32_e32 v10, v11, v17
	;; [unrolled: 1-line block ×12, first 2 shown]
	v_add_u32_e32 v0, v1, v15
	v_add_f32_e32 v5, v14, v4
	s_barrier
	ds_write2_b64 v0, v[16:17], v[10:11] offset1:1
	ds_write2_b64 v0, v[12:13], v[6:7] offset0:2 offset1:3
	ds_write2_b64 v0, v[8:9], v[2:3] offset0:4 offset1:5
	ds_write_b64 v0, v[4:5] offset:48
	s_waitcnt lgkmcnt(0)
	s_barrier
	s_endpgm
	.section	.rodata,"a",@progbits
	.p2align	6, 0x0
	.amdhsa_kernel _ZN7rocprim17ROCPRIM_400000_NS6detail17trampoline_kernelINS0_14default_configENS1_20scan_config_selectorIfEEZZNS1_9scan_implILNS1_25lookback_scan_determinismE0ELb1ELb1ES3_N6thrust23THRUST_200600_302600_NS6detail15normal_iteratorINS9_10device_ptrIfEEEENS9_16discard_iteratorINS9_11use_defaultEEEfNS9_4plusIvEEfEEDaPvRmT3_T4_T5_mT6_P12ihipStream_tbENKUlT_T0_E_clISt17integral_constantIbLb0EESX_EEDaSS_ST_EUlSS_E0_NS1_11comp_targetILNS1_3genE4ELNS1_11target_archE910ELNS1_3gpuE8ELNS1_3repE0EEENS1_30default_config_static_selectorELNS0_4arch9wavefront6targetE1EEEvT1_
		.amdhsa_group_segment_fixed_size 7168
		.amdhsa_private_segment_fixed_size 0
		.amdhsa_kernarg_size 40
		.amdhsa_user_sgpr_count 6
		.amdhsa_user_sgpr_private_segment_buffer 1
		.amdhsa_user_sgpr_dispatch_ptr 0
		.amdhsa_user_sgpr_queue_ptr 0
		.amdhsa_user_sgpr_kernarg_segment_ptr 1
		.amdhsa_user_sgpr_dispatch_id 0
		.amdhsa_user_sgpr_flat_scratch_init 0
		.amdhsa_user_sgpr_kernarg_preload_length 0
		.amdhsa_user_sgpr_kernarg_preload_offset 0
		.amdhsa_user_sgpr_private_segment_size 0
		.amdhsa_uses_dynamic_stack 0
		.amdhsa_system_sgpr_private_segment_wavefront_offset 0
		.amdhsa_system_sgpr_workgroup_id_x 1
		.amdhsa_system_sgpr_workgroup_id_y 0
		.amdhsa_system_sgpr_workgroup_id_z 0
		.amdhsa_system_sgpr_workgroup_info 0
		.amdhsa_system_vgpr_workitem_id 0
		.amdhsa_next_free_vgpr 23
		.amdhsa_next_free_sgpr 8
		.amdhsa_accum_offset 24
		.amdhsa_reserve_vcc 1
		.amdhsa_reserve_flat_scratch 0
		.amdhsa_float_round_mode_32 0
		.amdhsa_float_round_mode_16_64 0
		.amdhsa_float_denorm_mode_32 3
		.amdhsa_float_denorm_mode_16_64 3
		.amdhsa_dx10_clamp 1
		.amdhsa_ieee_mode 1
		.amdhsa_fp16_overflow 0
		.amdhsa_tg_split 0
		.amdhsa_exception_fp_ieee_invalid_op 0
		.amdhsa_exception_fp_denorm_src 0
		.amdhsa_exception_fp_ieee_div_zero 0
		.amdhsa_exception_fp_ieee_overflow 0
		.amdhsa_exception_fp_ieee_underflow 0
		.amdhsa_exception_fp_ieee_inexact 0
		.amdhsa_exception_int_div_zero 0
	.end_amdhsa_kernel
	.section	.text._ZN7rocprim17ROCPRIM_400000_NS6detail17trampoline_kernelINS0_14default_configENS1_20scan_config_selectorIfEEZZNS1_9scan_implILNS1_25lookback_scan_determinismE0ELb1ELb1ES3_N6thrust23THRUST_200600_302600_NS6detail15normal_iteratorINS9_10device_ptrIfEEEENS9_16discard_iteratorINS9_11use_defaultEEEfNS9_4plusIvEEfEEDaPvRmT3_T4_T5_mT6_P12ihipStream_tbENKUlT_T0_E_clISt17integral_constantIbLb0EESX_EEDaSS_ST_EUlSS_E0_NS1_11comp_targetILNS1_3genE4ELNS1_11target_archE910ELNS1_3gpuE8ELNS1_3repE0EEENS1_30default_config_static_selectorELNS0_4arch9wavefront6targetE1EEEvT1_,"axG",@progbits,_ZN7rocprim17ROCPRIM_400000_NS6detail17trampoline_kernelINS0_14default_configENS1_20scan_config_selectorIfEEZZNS1_9scan_implILNS1_25lookback_scan_determinismE0ELb1ELb1ES3_N6thrust23THRUST_200600_302600_NS6detail15normal_iteratorINS9_10device_ptrIfEEEENS9_16discard_iteratorINS9_11use_defaultEEEfNS9_4plusIvEEfEEDaPvRmT3_T4_T5_mT6_P12ihipStream_tbENKUlT_T0_E_clISt17integral_constantIbLb0EESX_EEDaSS_ST_EUlSS_E0_NS1_11comp_targetILNS1_3genE4ELNS1_11target_archE910ELNS1_3gpuE8ELNS1_3repE0EEENS1_30default_config_static_selectorELNS0_4arch9wavefront6targetE1EEEvT1_,comdat
.Lfunc_end5089:
	.size	_ZN7rocprim17ROCPRIM_400000_NS6detail17trampoline_kernelINS0_14default_configENS1_20scan_config_selectorIfEEZZNS1_9scan_implILNS1_25lookback_scan_determinismE0ELb1ELb1ES3_N6thrust23THRUST_200600_302600_NS6detail15normal_iteratorINS9_10device_ptrIfEEEENS9_16discard_iteratorINS9_11use_defaultEEEfNS9_4plusIvEEfEEDaPvRmT3_T4_T5_mT6_P12ihipStream_tbENKUlT_T0_E_clISt17integral_constantIbLb0EESX_EEDaSS_ST_EUlSS_E0_NS1_11comp_targetILNS1_3genE4ELNS1_11target_archE910ELNS1_3gpuE8ELNS1_3repE0EEENS1_30default_config_static_selectorELNS0_4arch9wavefront6targetE1EEEvT1_, .Lfunc_end5089-_ZN7rocprim17ROCPRIM_400000_NS6detail17trampoline_kernelINS0_14default_configENS1_20scan_config_selectorIfEEZZNS1_9scan_implILNS1_25lookback_scan_determinismE0ELb1ELb1ES3_N6thrust23THRUST_200600_302600_NS6detail15normal_iteratorINS9_10device_ptrIfEEEENS9_16discard_iteratorINS9_11use_defaultEEEfNS9_4plusIvEEfEEDaPvRmT3_T4_T5_mT6_P12ihipStream_tbENKUlT_T0_E_clISt17integral_constantIbLb0EESX_EEDaSS_ST_EUlSS_E0_NS1_11comp_targetILNS1_3genE4ELNS1_11target_archE910ELNS1_3gpuE8ELNS1_3repE0EEENS1_30default_config_static_selectorELNS0_4arch9wavefront6targetE1EEEvT1_
                                        ; -- End function
	.section	.AMDGPU.csdata,"",@progbits
; Kernel info:
; codeLenInByte = 1260
; NumSgprs: 12
; NumVgprs: 23
; NumAgprs: 0
; TotalNumVgprs: 23
; ScratchSize: 0
; MemoryBound: 0
; FloatMode: 240
; IeeeMode: 1
; LDSByteSize: 7168 bytes/workgroup (compile time only)
; SGPRBlocks: 1
; VGPRBlocks: 2
; NumSGPRsForWavesPerEU: 12
; NumVGPRsForWavesPerEU: 23
; AccumOffset: 24
; Occupancy: 5
; WaveLimiterHint : 0
; COMPUTE_PGM_RSRC2:SCRATCH_EN: 0
; COMPUTE_PGM_RSRC2:USER_SGPR: 6
; COMPUTE_PGM_RSRC2:TRAP_HANDLER: 0
; COMPUTE_PGM_RSRC2:TGID_X_EN: 1
; COMPUTE_PGM_RSRC2:TGID_Y_EN: 0
; COMPUTE_PGM_RSRC2:TGID_Z_EN: 0
; COMPUTE_PGM_RSRC2:TIDIG_COMP_CNT: 0
; COMPUTE_PGM_RSRC3_GFX90A:ACCUM_OFFSET: 5
; COMPUTE_PGM_RSRC3_GFX90A:TG_SPLIT: 0
	.section	.text._ZN7rocprim17ROCPRIM_400000_NS6detail17trampoline_kernelINS0_14default_configENS1_20scan_config_selectorIfEEZZNS1_9scan_implILNS1_25lookback_scan_determinismE0ELb1ELb1ES3_N6thrust23THRUST_200600_302600_NS6detail15normal_iteratorINS9_10device_ptrIfEEEENS9_16discard_iteratorINS9_11use_defaultEEEfNS9_4plusIvEEfEEDaPvRmT3_T4_T5_mT6_P12ihipStream_tbENKUlT_T0_E_clISt17integral_constantIbLb0EESX_EEDaSS_ST_EUlSS_E0_NS1_11comp_targetILNS1_3genE3ELNS1_11target_archE908ELNS1_3gpuE7ELNS1_3repE0EEENS1_30default_config_static_selectorELNS0_4arch9wavefront6targetE1EEEvT1_,"axG",@progbits,_ZN7rocprim17ROCPRIM_400000_NS6detail17trampoline_kernelINS0_14default_configENS1_20scan_config_selectorIfEEZZNS1_9scan_implILNS1_25lookback_scan_determinismE0ELb1ELb1ES3_N6thrust23THRUST_200600_302600_NS6detail15normal_iteratorINS9_10device_ptrIfEEEENS9_16discard_iteratorINS9_11use_defaultEEEfNS9_4plusIvEEfEEDaPvRmT3_T4_T5_mT6_P12ihipStream_tbENKUlT_T0_E_clISt17integral_constantIbLb0EESX_EEDaSS_ST_EUlSS_E0_NS1_11comp_targetILNS1_3genE3ELNS1_11target_archE908ELNS1_3gpuE7ELNS1_3repE0EEENS1_30default_config_static_selectorELNS0_4arch9wavefront6targetE1EEEvT1_,comdat
	.protected	_ZN7rocprim17ROCPRIM_400000_NS6detail17trampoline_kernelINS0_14default_configENS1_20scan_config_selectorIfEEZZNS1_9scan_implILNS1_25lookback_scan_determinismE0ELb1ELb1ES3_N6thrust23THRUST_200600_302600_NS6detail15normal_iteratorINS9_10device_ptrIfEEEENS9_16discard_iteratorINS9_11use_defaultEEEfNS9_4plusIvEEfEEDaPvRmT3_T4_T5_mT6_P12ihipStream_tbENKUlT_T0_E_clISt17integral_constantIbLb0EESX_EEDaSS_ST_EUlSS_E0_NS1_11comp_targetILNS1_3genE3ELNS1_11target_archE908ELNS1_3gpuE7ELNS1_3repE0EEENS1_30default_config_static_selectorELNS0_4arch9wavefront6targetE1EEEvT1_ ; -- Begin function _ZN7rocprim17ROCPRIM_400000_NS6detail17trampoline_kernelINS0_14default_configENS1_20scan_config_selectorIfEEZZNS1_9scan_implILNS1_25lookback_scan_determinismE0ELb1ELb1ES3_N6thrust23THRUST_200600_302600_NS6detail15normal_iteratorINS9_10device_ptrIfEEEENS9_16discard_iteratorINS9_11use_defaultEEEfNS9_4plusIvEEfEEDaPvRmT3_T4_T5_mT6_P12ihipStream_tbENKUlT_T0_E_clISt17integral_constantIbLb0EESX_EEDaSS_ST_EUlSS_E0_NS1_11comp_targetILNS1_3genE3ELNS1_11target_archE908ELNS1_3gpuE7ELNS1_3repE0EEENS1_30default_config_static_selectorELNS0_4arch9wavefront6targetE1EEEvT1_
	.globl	_ZN7rocprim17ROCPRIM_400000_NS6detail17trampoline_kernelINS0_14default_configENS1_20scan_config_selectorIfEEZZNS1_9scan_implILNS1_25lookback_scan_determinismE0ELb1ELb1ES3_N6thrust23THRUST_200600_302600_NS6detail15normal_iteratorINS9_10device_ptrIfEEEENS9_16discard_iteratorINS9_11use_defaultEEEfNS9_4plusIvEEfEEDaPvRmT3_T4_T5_mT6_P12ihipStream_tbENKUlT_T0_E_clISt17integral_constantIbLb0EESX_EEDaSS_ST_EUlSS_E0_NS1_11comp_targetILNS1_3genE3ELNS1_11target_archE908ELNS1_3gpuE7ELNS1_3repE0EEENS1_30default_config_static_selectorELNS0_4arch9wavefront6targetE1EEEvT1_
	.p2align	8
	.type	_ZN7rocprim17ROCPRIM_400000_NS6detail17trampoline_kernelINS0_14default_configENS1_20scan_config_selectorIfEEZZNS1_9scan_implILNS1_25lookback_scan_determinismE0ELb1ELb1ES3_N6thrust23THRUST_200600_302600_NS6detail15normal_iteratorINS9_10device_ptrIfEEEENS9_16discard_iteratorINS9_11use_defaultEEEfNS9_4plusIvEEfEEDaPvRmT3_T4_T5_mT6_P12ihipStream_tbENKUlT_T0_E_clISt17integral_constantIbLb0EESX_EEDaSS_ST_EUlSS_E0_NS1_11comp_targetILNS1_3genE3ELNS1_11target_archE908ELNS1_3gpuE7ELNS1_3repE0EEENS1_30default_config_static_selectorELNS0_4arch9wavefront6targetE1EEEvT1_,@function
_ZN7rocprim17ROCPRIM_400000_NS6detail17trampoline_kernelINS0_14default_configENS1_20scan_config_selectorIfEEZZNS1_9scan_implILNS1_25lookback_scan_determinismE0ELb1ELb1ES3_N6thrust23THRUST_200600_302600_NS6detail15normal_iteratorINS9_10device_ptrIfEEEENS9_16discard_iteratorINS9_11use_defaultEEEfNS9_4plusIvEEfEEDaPvRmT3_T4_T5_mT6_P12ihipStream_tbENKUlT_T0_E_clISt17integral_constantIbLb0EESX_EEDaSS_ST_EUlSS_E0_NS1_11comp_targetILNS1_3genE3ELNS1_11target_archE908ELNS1_3gpuE7ELNS1_3repE0EEENS1_30default_config_static_selectorELNS0_4arch9wavefront6targetE1EEEvT1_: ; @_ZN7rocprim17ROCPRIM_400000_NS6detail17trampoline_kernelINS0_14default_configENS1_20scan_config_selectorIfEEZZNS1_9scan_implILNS1_25lookback_scan_determinismE0ELb1ELb1ES3_N6thrust23THRUST_200600_302600_NS6detail15normal_iteratorINS9_10device_ptrIfEEEENS9_16discard_iteratorINS9_11use_defaultEEEfNS9_4plusIvEEfEEDaPvRmT3_T4_T5_mT6_P12ihipStream_tbENKUlT_T0_E_clISt17integral_constantIbLb0EESX_EEDaSS_ST_EUlSS_E0_NS1_11comp_targetILNS1_3genE3ELNS1_11target_archE908ELNS1_3gpuE7ELNS1_3repE0EEENS1_30default_config_static_selectorELNS0_4arch9wavefront6targetE1EEEvT1_
; %bb.0:
	.section	.rodata,"a",@progbits
	.p2align	6, 0x0
	.amdhsa_kernel _ZN7rocprim17ROCPRIM_400000_NS6detail17trampoline_kernelINS0_14default_configENS1_20scan_config_selectorIfEEZZNS1_9scan_implILNS1_25lookback_scan_determinismE0ELb1ELb1ES3_N6thrust23THRUST_200600_302600_NS6detail15normal_iteratorINS9_10device_ptrIfEEEENS9_16discard_iteratorINS9_11use_defaultEEEfNS9_4plusIvEEfEEDaPvRmT3_T4_T5_mT6_P12ihipStream_tbENKUlT_T0_E_clISt17integral_constantIbLb0EESX_EEDaSS_ST_EUlSS_E0_NS1_11comp_targetILNS1_3genE3ELNS1_11target_archE908ELNS1_3gpuE7ELNS1_3repE0EEENS1_30default_config_static_selectorELNS0_4arch9wavefront6targetE1EEEvT1_
		.amdhsa_group_segment_fixed_size 0
		.amdhsa_private_segment_fixed_size 0
		.amdhsa_kernarg_size 40
		.amdhsa_user_sgpr_count 6
		.amdhsa_user_sgpr_private_segment_buffer 1
		.amdhsa_user_sgpr_dispatch_ptr 0
		.amdhsa_user_sgpr_queue_ptr 0
		.amdhsa_user_sgpr_kernarg_segment_ptr 1
		.amdhsa_user_sgpr_dispatch_id 0
		.amdhsa_user_sgpr_flat_scratch_init 0
		.amdhsa_user_sgpr_kernarg_preload_length 0
		.amdhsa_user_sgpr_kernarg_preload_offset 0
		.amdhsa_user_sgpr_private_segment_size 0
		.amdhsa_uses_dynamic_stack 0
		.amdhsa_system_sgpr_private_segment_wavefront_offset 0
		.amdhsa_system_sgpr_workgroup_id_x 1
		.amdhsa_system_sgpr_workgroup_id_y 0
		.amdhsa_system_sgpr_workgroup_id_z 0
		.amdhsa_system_sgpr_workgroup_info 0
		.amdhsa_system_vgpr_workitem_id 0
		.amdhsa_next_free_vgpr 1
		.amdhsa_next_free_sgpr 0
		.amdhsa_accum_offset 4
		.amdhsa_reserve_vcc 0
		.amdhsa_reserve_flat_scratch 0
		.amdhsa_float_round_mode_32 0
		.amdhsa_float_round_mode_16_64 0
		.amdhsa_float_denorm_mode_32 3
		.amdhsa_float_denorm_mode_16_64 3
		.amdhsa_dx10_clamp 1
		.amdhsa_ieee_mode 1
		.amdhsa_fp16_overflow 0
		.amdhsa_tg_split 0
		.amdhsa_exception_fp_ieee_invalid_op 0
		.amdhsa_exception_fp_denorm_src 0
		.amdhsa_exception_fp_ieee_div_zero 0
		.amdhsa_exception_fp_ieee_overflow 0
		.amdhsa_exception_fp_ieee_underflow 0
		.amdhsa_exception_fp_ieee_inexact 0
		.amdhsa_exception_int_div_zero 0
	.end_amdhsa_kernel
	.section	.text._ZN7rocprim17ROCPRIM_400000_NS6detail17trampoline_kernelINS0_14default_configENS1_20scan_config_selectorIfEEZZNS1_9scan_implILNS1_25lookback_scan_determinismE0ELb1ELb1ES3_N6thrust23THRUST_200600_302600_NS6detail15normal_iteratorINS9_10device_ptrIfEEEENS9_16discard_iteratorINS9_11use_defaultEEEfNS9_4plusIvEEfEEDaPvRmT3_T4_T5_mT6_P12ihipStream_tbENKUlT_T0_E_clISt17integral_constantIbLb0EESX_EEDaSS_ST_EUlSS_E0_NS1_11comp_targetILNS1_3genE3ELNS1_11target_archE908ELNS1_3gpuE7ELNS1_3repE0EEENS1_30default_config_static_selectorELNS0_4arch9wavefront6targetE1EEEvT1_,"axG",@progbits,_ZN7rocprim17ROCPRIM_400000_NS6detail17trampoline_kernelINS0_14default_configENS1_20scan_config_selectorIfEEZZNS1_9scan_implILNS1_25lookback_scan_determinismE0ELb1ELb1ES3_N6thrust23THRUST_200600_302600_NS6detail15normal_iteratorINS9_10device_ptrIfEEEENS9_16discard_iteratorINS9_11use_defaultEEEfNS9_4plusIvEEfEEDaPvRmT3_T4_T5_mT6_P12ihipStream_tbENKUlT_T0_E_clISt17integral_constantIbLb0EESX_EEDaSS_ST_EUlSS_E0_NS1_11comp_targetILNS1_3genE3ELNS1_11target_archE908ELNS1_3gpuE7ELNS1_3repE0EEENS1_30default_config_static_selectorELNS0_4arch9wavefront6targetE1EEEvT1_,comdat
.Lfunc_end5090:
	.size	_ZN7rocprim17ROCPRIM_400000_NS6detail17trampoline_kernelINS0_14default_configENS1_20scan_config_selectorIfEEZZNS1_9scan_implILNS1_25lookback_scan_determinismE0ELb1ELb1ES3_N6thrust23THRUST_200600_302600_NS6detail15normal_iteratorINS9_10device_ptrIfEEEENS9_16discard_iteratorINS9_11use_defaultEEEfNS9_4plusIvEEfEEDaPvRmT3_T4_T5_mT6_P12ihipStream_tbENKUlT_T0_E_clISt17integral_constantIbLb0EESX_EEDaSS_ST_EUlSS_E0_NS1_11comp_targetILNS1_3genE3ELNS1_11target_archE908ELNS1_3gpuE7ELNS1_3repE0EEENS1_30default_config_static_selectorELNS0_4arch9wavefront6targetE1EEEvT1_, .Lfunc_end5090-_ZN7rocprim17ROCPRIM_400000_NS6detail17trampoline_kernelINS0_14default_configENS1_20scan_config_selectorIfEEZZNS1_9scan_implILNS1_25lookback_scan_determinismE0ELb1ELb1ES3_N6thrust23THRUST_200600_302600_NS6detail15normal_iteratorINS9_10device_ptrIfEEEENS9_16discard_iteratorINS9_11use_defaultEEEfNS9_4plusIvEEfEEDaPvRmT3_T4_T5_mT6_P12ihipStream_tbENKUlT_T0_E_clISt17integral_constantIbLb0EESX_EEDaSS_ST_EUlSS_E0_NS1_11comp_targetILNS1_3genE3ELNS1_11target_archE908ELNS1_3gpuE7ELNS1_3repE0EEENS1_30default_config_static_selectorELNS0_4arch9wavefront6targetE1EEEvT1_
                                        ; -- End function
	.section	.AMDGPU.csdata,"",@progbits
; Kernel info:
; codeLenInByte = 0
; NumSgprs: 4
; NumVgprs: 0
; NumAgprs: 0
; TotalNumVgprs: 0
; ScratchSize: 0
; MemoryBound: 0
; FloatMode: 240
; IeeeMode: 1
; LDSByteSize: 0 bytes/workgroup (compile time only)
; SGPRBlocks: 0
; VGPRBlocks: 0
; NumSGPRsForWavesPerEU: 4
; NumVGPRsForWavesPerEU: 1
; AccumOffset: 4
; Occupancy: 8
; WaveLimiterHint : 0
; COMPUTE_PGM_RSRC2:SCRATCH_EN: 0
; COMPUTE_PGM_RSRC2:USER_SGPR: 6
; COMPUTE_PGM_RSRC2:TRAP_HANDLER: 0
; COMPUTE_PGM_RSRC2:TGID_X_EN: 1
; COMPUTE_PGM_RSRC2:TGID_Y_EN: 0
; COMPUTE_PGM_RSRC2:TGID_Z_EN: 0
; COMPUTE_PGM_RSRC2:TIDIG_COMP_CNT: 0
; COMPUTE_PGM_RSRC3_GFX90A:ACCUM_OFFSET: 0
; COMPUTE_PGM_RSRC3_GFX90A:TG_SPLIT: 0
	.section	.text._ZN7rocprim17ROCPRIM_400000_NS6detail17trampoline_kernelINS0_14default_configENS1_20scan_config_selectorIfEEZZNS1_9scan_implILNS1_25lookback_scan_determinismE0ELb1ELb1ES3_N6thrust23THRUST_200600_302600_NS6detail15normal_iteratorINS9_10device_ptrIfEEEENS9_16discard_iteratorINS9_11use_defaultEEEfNS9_4plusIvEEfEEDaPvRmT3_T4_T5_mT6_P12ihipStream_tbENKUlT_T0_E_clISt17integral_constantIbLb0EESX_EEDaSS_ST_EUlSS_E0_NS1_11comp_targetILNS1_3genE2ELNS1_11target_archE906ELNS1_3gpuE6ELNS1_3repE0EEENS1_30default_config_static_selectorELNS0_4arch9wavefront6targetE1EEEvT1_,"axG",@progbits,_ZN7rocprim17ROCPRIM_400000_NS6detail17trampoline_kernelINS0_14default_configENS1_20scan_config_selectorIfEEZZNS1_9scan_implILNS1_25lookback_scan_determinismE0ELb1ELb1ES3_N6thrust23THRUST_200600_302600_NS6detail15normal_iteratorINS9_10device_ptrIfEEEENS9_16discard_iteratorINS9_11use_defaultEEEfNS9_4plusIvEEfEEDaPvRmT3_T4_T5_mT6_P12ihipStream_tbENKUlT_T0_E_clISt17integral_constantIbLb0EESX_EEDaSS_ST_EUlSS_E0_NS1_11comp_targetILNS1_3genE2ELNS1_11target_archE906ELNS1_3gpuE6ELNS1_3repE0EEENS1_30default_config_static_selectorELNS0_4arch9wavefront6targetE1EEEvT1_,comdat
	.protected	_ZN7rocprim17ROCPRIM_400000_NS6detail17trampoline_kernelINS0_14default_configENS1_20scan_config_selectorIfEEZZNS1_9scan_implILNS1_25lookback_scan_determinismE0ELb1ELb1ES3_N6thrust23THRUST_200600_302600_NS6detail15normal_iteratorINS9_10device_ptrIfEEEENS9_16discard_iteratorINS9_11use_defaultEEEfNS9_4plusIvEEfEEDaPvRmT3_T4_T5_mT6_P12ihipStream_tbENKUlT_T0_E_clISt17integral_constantIbLb0EESX_EEDaSS_ST_EUlSS_E0_NS1_11comp_targetILNS1_3genE2ELNS1_11target_archE906ELNS1_3gpuE6ELNS1_3repE0EEENS1_30default_config_static_selectorELNS0_4arch9wavefront6targetE1EEEvT1_ ; -- Begin function _ZN7rocprim17ROCPRIM_400000_NS6detail17trampoline_kernelINS0_14default_configENS1_20scan_config_selectorIfEEZZNS1_9scan_implILNS1_25lookback_scan_determinismE0ELb1ELb1ES3_N6thrust23THRUST_200600_302600_NS6detail15normal_iteratorINS9_10device_ptrIfEEEENS9_16discard_iteratorINS9_11use_defaultEEEfNS9_4plusIvEEfEEDaPvRmT3_T4_T5_mT6_P12ihipStream_tbENKUlT_T0_E_clISt17integral_constantIbLb0EESX_EEDaSS_ST_EUlSS_E0_NS1_11comp_targetILNS1_3genE2ELNS1_11target_archE906ELNS1_3gpuE6ELNS1_3repE0EEENS1_30default_config_static_selectorELNS0_4arch9wavefront6targetE1EEEvT1_
	.globl	_ZN7rocprim17ROCPRIM_400000_NS6detail17trampoline_kernelINS0_14default_configENS1_20scan_config_selectorIfEEZZNS1_9scan_implILNS1_25lookback_scan_determinismE0ELb1ELb1ES3_N6thrust23THRUST_200600_302600_NS6detail15normal_iteratorINS9_10device_ptrIfEEEENS9_16discard_iteratorINS9_11use_defaultEEEfNS9_4plusIvEEfEEDaPvRmT3_T4_T5_mT6_P12ihipStream_tbENKUlT_T0_E_clISt17integral_constantIbLb0EESX_EEDaSS_ST_EUlSS_E0_NS1_11comp_targetILNS1_3genE2ELNS1_11target_archE906ELNS1_3gpuE6ELNS1_3repE0EEENS1_30default_config_static_selectorELNS0_4arch9wavefront6targetE1EEEvT1_
	.p2align	8
	.type	_ZN7rocprim17ROCPRIM_400000_NS6detail17trampoline_kernelINS0_14default_configENS1_20scan_config_selectorIfEEZZNS1_9scan_implILNS1_25lookback_scan_determinismE0ELb1ELb1ES3_N6thrust23THRUST_200600_302600_NS6detail15normal_iteratorINS9_10device_ptrIfEEEENS9_16discard_iteratorINS9_11use_defaultEEEfNS9_4plusIvEEfEEDaPvRmT3_T4_T5_mT6_P12ihipStream_tbENKUlT_T0_E_clISt17integral_constantIbLb0EESX_EEDaSS_ST_EUlSS_E0_NS1_11comp_targetILNS1_3genE2ELNS1_11target_archE906ELNS1_3gpuE6ELNS1_3repE0EEENS1_30default_config_static_selectorELNS0_4arch9wavefront6targetE1EEEvT1_,@function
_ZN7rocprim17ROCPRIM_400000_NS6detail17trampoline_kernelINS0_14default_configENS1_20scan_config_selectorIfEEZZNS1_9scan_implILNS1_25lookback_scan_determinismE0ELb1ELb1ES3_N6thrust23THRUST_200600_302600_NS6detail15normal_iteratorINS9_10device_ptrIfEEEENS9_16discard_iteratorINS9_11use_defaultEEEfNS9_4plusIvEEfEEDaPvRmT3_T4_T5_mT6_P12ihipStream_tbENKUlT_T0_E_clISt17integral_constantIbLb0EESX_EEDaSS_ST_EUlSS_E0_NS1_11comp_targetILNS1_3genE2ELNS1_11target_archE906ELNS1_3gpuE6ELNS1_3repE0EEENS1_30default_config_static_selectorELNS0_4arch9wavefront6targetE1EEEvT1_: ; @_ZN7rocprim17ROCPRIM_400000_NS6detail17trampoline_kernelINS0_14default_configENS1_20scan_config_selectorIfEEZZNS1_9scan_implILNS1_25lookback_scan_determinismE0ELb1ELb1ES3_N6thrust23THRUST_200600_302600_NS6detail15normal_iteratorINS9_10device_ptrIfEEEENS9_16discard_iteratorINS9_11use_defaultEEEfNS9_4plusIvEEfEEDaPvRmT3_T4_T5_mT6_P12ihipStream_tbENKUlT_T0_E_clISt17integral_constantIbLb0EESX_EEDaSS_ST_EUlSS_E0_NS1_11comp_targetILNS1_3genE2ELNS1_11target_archE906ELNS1_3gpuE6ELNS1_3repE0EEENS1_30default_config_static_selectorELNS0_4arch9wavefront6targetE1EEEvT1_
; %bb.0:
	.section	.rodata,"a",@progbits
	.p2align	6, 0x0
	.amdhsa_kernel _ZN7rocprim17ROCPRIM_400000_NS6detail17trampoline_kernelINS0_14default_configENS1_20scan_config_selectorIfEEZZNS1_9scan_implILNS1_25lookback_scan_determinismE0ELb1ELb1ES3_N6thrust23THRUST_200600_302600_NS6detail15normal_iteratorINS9_10device_ptrIfEEEENS9_16discard_iteratorINS9_11use_defaultEEEfNS9_4plusIvEEfEEDaPvRmT3_T4_T5_mT6_P12ihipStream_tbENKUlT_T0_E_clISt17integral_constantIbLb0EESX_EEDaSS_ST_EUlSS_E0_NS1_11comp_targetILNS1_3genE2ELNS1_11target_archE906ELNS1_3gpuE6ELNS1_3repE0EEENS1_30default_config_static_selectorELNS0_4arch9wavefront6targetE1EEEvT1_
		.amdhsa_group_segment_fixed_size 0
		.amdhsa_private_segment_fixed_size 0
		.amdhsa_kernarg_size 40
		.amdhsa_user_sgpr_count 6
		.amdhsa_user_sgpr_private_segment_buffer 1
		.amdhsa_user_sgpr_dispatch_ptr 0
		.amdhsa_user_sgpr_queue_ptr 0
		.amdhsa_user_sgpr_kernarg_segment_ptr 1
		.amdhsa_user_sgpr_dispatch_id 0
		.amdhsa_user_sgpr_flat_scratch_init 0
		.amdhsa_user_sgpr_kernarg_preload_length 0
		.amdhsa_user_sgpr_kernarg_preload_offset 0
		.amdhsa_user_sgpr_private_segment_size 0
		.amdhsa_uses_dynamic_stack 0
		.amdhsa_system_sgpr_private_segment_wavefront_offset 0
		.amdhsa_system_sgpr_workgroup_id_x 1
		.amdhsa_system_sgpr_workgroup_id_y 0
		.amdhsa_system_sgpr_workgroup_id_z 0
		.amdhsa_system_sgpr_workgroup_info 0
		.amdhsa_system_vgpr_workitem_id 0
		.amdhsa_next_free_vgpr 1
		.amdhsa_next_free_sgpr 0
		.amdhsa_accum_offset 4
		.amdhsa_reserve_vcc 0
		.amdhsa_reserve_flat_scratch 0
		.amdhsa_float_round_mode_32 0
		.amdhsa_float_round_mode_16_64 0
		.amdhsa_float_denorm_mode_32 3
		.amdhsa_float_denorm_mode_16_64 3
		.amdhsa_dx10_clamp 1
		.amdhsa_ieee_mode 1
		.amdhsa_fp16_overflow 0
		.amdhsa_tg_split 0
		.amdhsa_exception_fp_ieee_invalid_op 0
		.amdhsa_exception_fp_denorm_src 0
		.amdhsa_exception_fp_ieee_div_zero 0
		.amdhsa_exception_fp_ieee_overflow 0
		.amdhsa_exception_fp_ieee_underflow 0
		.amdhsa_exception_fp_ieee_inexact 0
		.amdhsa_exception_int_div_zero 0
	.end_amdhsa_kernel
	.section	.text._ZN7rocprim17ROCPRIM_400000_NS6detail17trampoline_kernelINS0_14default_configENS1_20scan_config_selectorIfEEZZNS1_9scan_implILNS1_25lookback_scan_determinismE0ELb1ELb1ES3_N6thrust23THRUST_200600_302600_NS6detail15normal_iteratorINS9_10device_ptrIfEEEENS9_16discard_iteratorINS9_11use_defaultEEEfNS9_4plusIvEEfEEDaPvRmT3_T4_T5_mT6_P12ihipStream_tbENKUlT_T0_E_clISt17integral_constantIbLb0EESX_EEDaSS_ST_EUlSS_E0_NS1_11comp_targetILNS1_3genE2ELNS1_11target_archE906ELNS1_3gpuE6ELNS1_3repE0EEENS1_30default_config_static_selectorELNS0_4arch9wavefront6targetE1EEEvT1_,"axG",@progbits,_ZN7rocprim17ROCPRIM_400000_NS6detail17trampoline_kernelINS0_14default_configENS1_20scan_config_selectorIfEEZZNS1_9scan_implILNS1_25lookback_scan_determinismE0ELb1ELb1ES3_N6thrust23THRUST_200600_302600_NS6detail15normal_iteratorINS9_10device_ptrIfEEEENS9_16discard_iteratorINS9_11use_defaultEEEfNS9_4plusIvEEfEEDaPvRmT3_T4_T5_mT6_P12ihipStream_tbENKUlT_T0_E_clISt17integral_constantIbLb0EESX_EEDaSS_ST_EUlSS_E0_NS1_11comp_targetILNS1_3genE2ELNS1_11target_archE906ELNS1_3gpuE6ELNS1_3repE0EEENS1_30default_config_static_selectorELNS0_4arch9wavefront6targetE1EEEvT1_,comdat
.Lfunc_end5091:
	.size	_ZN7rocprim17ROCPRIM_400000_NS6detail17trampoline_kernelINS0_14default_configENS1_20scan_config_selectorIfEEZZNS1_9scan_implILNS1_25lookback_scan_determinismE0ELb1ELb1ES3_N6thrust23THRUST_200600_302600_NS6detail15normal_iteratorINS9_10device_ptrIfEEEENS9_16discard_iteratorINS9_11use_defaultEEEfNS9_4plusIvEEfEEDaPvRmT3_T4_T5_mT6_P12ihipStream_tbENKUlT_T0_E_clISt17integral_constantIbLb0EESX_EEDaSS_ST_EUlSS_E0_NS1_11comp_targetILNS1_3genE2ELNS1_11target_archE906ELNS1_3gpuE6ELNS1_3repE0EEENS1_30default_config_static_selectorELNS0_4arch9wavefront6targetE1EEEvT1_, .Lfunc_end5091-_ZN7rocprim17ROCPRIM_400000_NS6detail17trampoline_kernelINS0_14default_configENS1_20scan_config_selectorIfEEZZNS1_9scan_implILNS1_25lookback_scan_determinismE0ELb1ELb1ES3_N6thrust23THRUST_200600_302600_NS6detail15normal_iteratorINS9_10device_ptrIfEEEENS9_16discard_iteratorINS9_11use_defaultEEEfNS9_4plusIvEEfEEDaPvRmT3_T4_T5_mT6_P12ihipStream_tbENKUlT_T0_E_clISt17integral_constantIbLb0EESX_EEDaSS_ST_EUlSS_E0_NS1_11comp_targetILNS1_3genE2ELNS1_11target_archE906ELNS1_3gpuE6ELNS1_3repE0EEENS1_30default_config_static_selectorELNS0_4arch9wavefront6targetE1EEEvT1_
                                        ; -- End function
	.section	.AMDGPU.csdata,"",@progbits
; Kernel info:
; codeLenInByte = 0
; NumSgprs: 4
; NumVgprs: 0
; NumAgprs: 0
; TotalNumVgprs: 0
; ScratchSize: 0
; MemoryBound: 0
; FloatMode: 240
; IeeeMode: 1
; LDSByteSize: 0 bytes/workgroup (compile time only)
; SGPRBlocks: 0
; VGPRBlocks: 0
; NumSGPRsForWavesPerEU: 4
; NumVGPRsForWavesPerEU: 1
; AccumOffset: 4
; Occupancy: 8
; WaveLimiterHint : 0
; COMPUTE_PGM_RSRC2:SCRATCH_EN: 0
; COMPUTE_PGM_RSRC2:USER_SGPR: 6
; COMPUTE_PGM_RSRC2:TRAP_HANDLER: 0
; COMPUTE_PGM_RSRC2:TGID_X_EN: 1
; COMPUTE_PGM_RSRC2:TGID_Y_EN: 0
; COMPUTE_PGM_RSRC2:TGID_Z_EN: 0
; COMPUTE_PGM_RSRC2:TIDIG_COMP_CNT: 0
; COMPUTE_PGM_RSRC3_GFX90A:ACCUM_OFFSET: 0
; COMPUTE_PGM_RSRC3_GFX90A:TG_SPLIT: 0
	.section	.text._ZN7rocprim17ROCPRIM_400000_NS6detail17trampoline_kernelINS0_14default_configENS1_20scan_config_selectorIfEEZZNS1_9scan_implILNS1_25lookback_scan_determinismE0ELb1ELb1ES3_N6thrust23THRUST_200600_302600_NS6detail15normal_iteratorINS9_10device_ptrIfEEEENS9_16discard_iteratorINS9_11use_defaultEEEfNS9_4plusIvEEfEEDaPvRmT3_T4_T5_mT6_P12ihipStream_tbENKUlT_T0_E_clISt17integral_constantIbLb0EESX_EEDaSS_ST_EUlSS_E0_NS1_11comp_targetILNS1_3genE10ELNS1_11target_archE1201ELNS1_3gpuE5ELNS1_3repE0EEENS1_30default_config_static_selectorELNS0_4arch9wavefront6targetE1EEEvT1_,"axG",@progbits,_ZN7rocprim17ROCPRIM_400000_NS6detail17trampoline_kernelINS0_14default_configENS1_20scan_config_selectorIfEEZZNS1_9scan_implILNS1_25lookback_scan_determinismE0ELb1ELb1ES3_N6thrust23THRUST_200600_302600_NS6detail15normal_iteratorINS9_10device_ptrIfEEEENS9_16discard_iteratorINS9_11use_defaultEEEfNS9_4plusIvEEfEEDaPvRmT3_T4_T5_mT6_P12ihipStream_tbENKUlT_T0_E_clISt17integral_constantIbLb0EESX_EEDaSS_ST_EUlSS_E0_NS1_11comp_targetILNS1_3genE10ELNS1_11target_archE1201ELNS1_3gpuE5ELNS1_3repE0EEENS1_30default_config_static_selectorELNS0_4arch9wavefront6targetE1EEEvT1_,comdat
	.protected	_ZN7rocprim17ROCPRIM_400000_NS6detail17trampoline_kernelINS0_14default_configENS1_20scan_config_selectorIfEEZZNS1_9scan_implILNS1_25lookback_scan_determinismE0ELb1ELb1ES3_N6thrust23THRUST_200600_302600_NS6detail15normal_iteratorINS9_10device_ptrIfEEEENS9_16discard_iteratorINS9_11use_defaultEEEfNS9_4plusIvEEfEEDaPvRmT3_T4_T5_mT6_P12ihipStream_tbENKUlT_T0_E_clISt17integral_constantIbLb0EESX_EEDaSS_ST_EUlSS_E0_NS1_11comp_targetILNS1_3genE10ELNS1_11target_archE1201ELNS1_3gpuE5ELNS1_3repE0EEENS1_30default_config_static_selectorELNS0_4arch9wavefront6targetE1EEEvT1_ ; -- Begin function _ZN7rocprim17ROCPRIM_400000_NS6detail17trampoline_kernelINS0_14default_configENS1_20scan_config_selectorIfEEZZNS1_9scan_implILNS1_25lookback_scan_determinismE0ELb1ELb1ES3_N6thrust23THRUST_200600_302600_NS6detail15normal_iteratorINS9_10device_ptrIfEEEENS9_16discard_iteratorINS9_11use_defaultEEEfNS9_4plusIvEEfEEDaPvRmT3_T4_T5_mT6_P12ihipStream_tbENKUlT_T0_E_clISt17integral_constantIbLb0EESX_EEDaSS_ST_EUlSS_E0_NS1_11comp_targetILNS1_3genE10ELNS1_11target_archE1201ELNS1_3gpuE5ELNS1_3repE0EEENS1_30default_config_static_selectorELNS0_4arch9wavefront6targetE1EEEvT1_
	.globl	_ZN7rocprim17ROCPRIM_400000_NS6detail17trampoline_kernelINS0_14default_configENS1_20scan_config_selectorIfEEZZNS1_9scan_implILNS1_25lookback_scan_determinismE0ELb1ELb1ES3_N6thrust23THRUST_200600_302600_NS6detail15normal_iteratorINS9_10device_ptrIfEEEENS9_16discard_iteratorINS9_11use_defaultEEEfNS9_4plusIvEEfEEDaPvRmT3_T4_T5_mT6_P12ihipStream_tbENKUlT_T0_E_clISt17integral_constantIbLb0EESX_EEDaSS_ST_EUlSS_E0_NS1_11comp_targetILNS1_3genE10ELNS1_11target_archE1201ELNS1_3gpuE5ELNS1_3repE0EEENS1_30default_config_static_selectorELNS0_4arch9wavefront6targetE1EEEvT1_
	.p2align	8
	.type	_ZN7rocprim17ROCPRIM_400000_NS6detail17trampoline_kernelINS0_14default_configENS1_20scan_config_selectorIfEEZZNS1_9scan_implILNS1_25lookback_scan_determinismE0ELb1ELb1ES3_N6thrust23THRUST_200600_302600_NS6detail15normal_iteratorINS9_10device_ptrIfEEEENS9_16discard_iteratorINS9_11use_defaultEEEfNS9_4plusIvEEfEEDaPvRmT3_T4_T5_mT6_P12ihipStream_tbENKUlT_T0_E_clISt17integral_constantIbLb0EESX_EEDaSS_ST_EUlSS_E0_NS1_11comp_targetILNS1_3genE10ELNS1_11target_archE1201ELNS1_3gpuE5ELNS1_3repE0EEENS1_30default_config_static_selectorELNS0_4arch9wavefront6targetE1EEEvT1_,@function
_ZN7rocprim17ROCPRIM_400000_NS6detail17trampoline_kernelINS0_14default_configENS1_20scan_config_selectorIfEEZZNS1_9scan_implILNS1_25lookback_scan_determinismE0ELb1ELb1ES3_N6thrust23THRUST_200600_302600_NS6detail15normal_iteratorINS9_10device_ptrIfEEEENS9_16discard_iteratorINS9_11use_defaultEEEfNS9_4plusIvEEfEEDaPvRmT3_T4_T5_mT6_P12ihipStream_tbENKUlT_T0_E_clISt17integral_constantIbLb0EESX_EEDaSS_ST_EUlSS_E0_NS1_11comp_targetILNS1_3genE10ELNS1_11target_archE1201ELNS1_3gpuE5ELNS1_3repE0EEENS1_30default_config_static_selectorELNS0_4arch9wavefront6targetE1EEEvT1_: ; @_ZN7rocprim17ROCPRIM_400000_NS6detail17trampoline_kernelINS0_14default_configENS1_20scan_config_selectorIfEEZZNS1_9scan_implILNS1_25lookback_scan_determinismE0ELb1ELb1ES3_N6thrust23THRUST_200600_302600_NS6detail15normal_iteratorINS9_10device_ptrIfEEEENS9_16discard_iteratorINS9_11use_defaultEEEfNS9_4plusIvEEfEEDaPvRmT3_T4_T5_mT6_P12ihipStream_tbENKUlT_T0_E_clISt17integral_constantIbLb0EESX_EEDaSS_ST_EUlSS_E0_NS1_11comp_targetILNS1_3genE10ELNS1_11target_archE1201ELNS1_3gpuE5ELNS1_3repE0EEENS1_30default_config_static_selectorELNS0_4arch9wavefront6targetE1EEEvT1_
; %bb.0:
	.section	.rodata,"a",@progbits
	.p2align	6, 0x0
	.amdhsa_kernel _ZN7rocprim17ROCPRIM_400000_NS6detail17trampoline_kernelINS0_14default_configENS1_20scan_config_selectorIfEEZZNS1_9scan_implILNS1_25lookback_scan_determinismE0ELb1ELb1ES3_N6thrust23THRUST_200600_302600_NS6detail15normal_iteratorINS9_10device_ptrIfEEEENS9_16discard_iteratorINS9_11use_defaultEEEfNS9_4plusIvEEfEEDaPvRmT3_T4_T5_mT6_P12ihipStream_tbENKUlT_T0_E_clISt17integral_constantIbLb0EESX_EEDaSS_ST_EUlSS_E0_NS1_11comp_targetILNS1_3genE10ELNS1_11target_archE1201ELNS1_3gpuE5ELNS1_3repE0EEENS1_30default_config_static_selectorELNS0_4arch9wavefront6targetE1EEEvT1_
		.amdhsa_group_segment_fixed_size 0
		.amdhsa_private_segment_fixed_size 0
		.amdhsa_kernarg_size 40
		.amdhsa_user_sgpr_count 6
		.amdhsa_user_sgpr_private_segment_buffer 1
		.amdhsa_user_sgpr_dispatch_ptr 0
		.amdhsa_user_sgpr_queue_ptr 0
		.amdhsa_user_sgpr_kernarg_segment_ptr 1
		.amdhsa_user_sgpr_dispatch_id 0
		.amdhsa_user_sgpr_flat_scratch_init 0
		.amdhsa_user_sgpr_kernarg_preload_length 0
		.amdhsa_user_sgpr_kernarg_preload_offset 0
		.amdhsa_user_sgpr_private_segment_size 0
		.amdhsa_uses_dynamic_stack 0
		.amdhsa_system_sgpr_private_segment_wavefront_offset 0
		.amdhsa_system_sgpr_workgroup_id_x 1
		.amdhsa_system_sgpr_workgroup_id_y 0
		.amdhsa_system_sgpr_workgroup_id_z 0
		.amdhsa_system_sgpr_workgroup_info 0
		.amdhsa_system_vgpr_workitem_id 0
		.amdhsa_next_free_vgpr 1
		.amdhsa_next_free_sgpr 0
		.amdhsa_accum_offset 4
		.amdhsa_reserve_vcc 0
		.amdhsa_reserve_flat_scratch 0
		.amdhsa_float_round_mode_32 0
		.amdhsa_float_round_mode_16_64 0
		.amdhsa_float_denorm_mode_32 3
		.amdhsa_float_denorm_mode_16_64 3
		.amdhsa_dx10_clamp 1
		.amdhsa_ieee_mode 1
		.amdhsa_fp16_overflow 0
		.amdhsa_tg_split 0
		.amdhsa_exception_fp_ieee_invalid_op 0
		.amdhsa_exception_fp_denorm_src 0
		.amdhsa_exception_fp_ieee_div_zero 0
		.amdhsa_exception_fp_ieee_overflow 0
		.amdhsa_exception_fp_ieee_underflow 0
		.amdhsa_exception_fp_ieee_inexact 0
		.amdhsa_exception_int_div_zero 0
	.end_amdhsa_kernel
	.section	.text._ZN7rocprim17ROCPRIM_400000_NS6detail17trampoline_kernelINS0_14default_configENS1_20scan_config_selectorIfEEZZNS1_9scan_implILNS1_25lookback_scan_determinismE0ELb1ELb1ES3_N6thrust23THRUST_200600_302600_NS6detail15normal_iteratorINS9_10device_ptrIfEEEENS9_16discard_iteratorINS9_11use_defaultEEEfNS9_4plusIvEEfEEDaPvRmT3_T4_T5_mT6_P12ihipStream_tbENKUlT_T0_E_clISt17integral_constantIbLb0EESX_EEDaSS_ST_EUlSS_E0_NS1_11comp_targetILNS1_3genE10ELNS1_11target_archE1201ELNS1_3gpuE5ELNS1_3repE0EEENS1_30default_config_static_selectorELNS0_4arch9wavefront6targetE1EEEvT1_,"axG",@progbits,_ZN7rocprim17ROCPRIM_400000_NS6detail17trampoline_kernelINS0_14default_configENS1_20scan_config_selectorIfEEZZNS1_9scan_implILNS1_25lookback_scan_determinismE0ELb1ELb1ES3_N6thrust23THRUST_200600_302600_NS6detail15normal_iteratorINS9_10device_ptrIfEEEENS9_16discard_iteratorINS9_11use_defaultEEEfNS9_4plusIvEEfEEDaPvRmT3_T4_T5_mT6_P12ihipStream_tbENKUlT_T0_E_clISt17integral_constantIbLb0EESX_EEDaSS_ST_EUlSS_E0_NS1_11comp_targetILNS1_3genE10ELNS1_11target_archE1201ELNS1_3gpuE5ELNS1_3repE0EEENS1_30default_config_static_selectorELNS0_4arch9wavefront6targetE1EEEvT1_,comdat
.Lfunc_end5092:
	.size	_ZN7rocprim17ROCPRIM_400000_NS6detail17trampoline_kernelINS0_14default_configENS1_20scan_config_selectorIfEEZZNS1_9scan_implILNS1_25lookback_scan_determinismE0ELb1ELb1ES3_N6thrust23THRUST_200600_302600_NS6detail15normal_iteratorINS9_10device_ptrIfEEEENS9_16discard_iteratorINS9_11use_defaultEEEfNS9_4plusIvEEfEEDaPvRmT3_T4_T5_mT6_P12ihipStream_tbENKUlT_T0_E_clISt17integral_constantIbLb0EESX_EEDaSS_ST_EUlSS_E0_NS1_11comp_targetILNS1_3genE10ELNS1_11target_archE1201ELNS1_3gpuE5ELNS1_3repE0EEENS1_30default_config_static_selectorELNS0_4arch9wavefront6targetE1EEEvT1_, .Lfunc_end5092-_ZN7rocprim17ROCPRIM_400000_NS6detail17trampoline_kernelINS0_14default_configENS1_20scan_config_selectorIfEEZZNS1_9scan_implILNS1_25lookback_scan_determinismE0ELb1ELb1ES3_N6thrust23THRUST_200600_302600_NS6detail15normal_iteratorINS9_10device_ptrIfEEEENS9_16discard_iteratorINS9_11use_defaultEEEfNS9_4plusIvEEfEEDaPvRmT3_T4_T5_mT6_P12ihipStream_tbENKUlT_T0_E_clISt17integral_constantIbLb0EESX_EEDaSS_ST_EUlSS_E0_NS1_11comp_targetILNS1_3genE10ELNS1_11target_archE1201ELNS1_3gpuE5ELNS1_3repE0EEENS1_30default_config_static_selectorELNS0_4arch9wavefront6targetE1EEEvT1_
                                        ; -- End function
	.section	.AMDGPU.csdata,"",@progbits
; Kernel info:
; codeLenInByte = 0
; NumSgprs: 4
; NumVgprs: 0
; NumAgprs: 0
; TotalNumVgprs: 0
; ScratchSize: 0
; MemoryBound: 0
; FloatMode: 240
; IeeeMode: 1
; LDSByteSize: 0 bytes/workgroup (compile time only)
; SGPRBlocks: 0
; VGPRBlocks: 0
; NumSGPRsForWavesPerEU: 4
; NumVGPRsForWavesPerEU: 1
; AccumOffset: 4
; Occupancy: 8
; WaveLimiterHint : 0
; COMPUTE_PGM_RSRC2:SCRATCH_EN: 0
; COMPUTE_PGM_RSRC2:USER_SGPR: 6
; COMPUTE_PGM_RSRC2:TRAP_HANDLER: 0
; COMPUTE_PGM_RSRC2:TGID_X_EN: 1
; COMPUTE_PGM_RSRC2:TGID_Y_EN: 0
; COMPUTE_PGM_RSRC2:TGID_Z_EN: 0
; COMPUTE_PGM_RSRC2:TIDIG_COMP_CNT: 0
; COMPUTE_PGM_RSRC3_GFX90A:ACCUM_OFFSET: 0
; COMPUTE_PGM_RSRC3_GFX90A:TG_SPLIT: 0
	.section	.text._ZN7rocprim17ROCPRIM_400000_NS6detail17trampoline_kernelINS0_14default_configENS1_20scan_config_selectorIfEEZZNS1_9scan_implILNS1_25lookback_scan_determinismE0ELb1ELb1ES3_N6thrust23THRUST_200600_302600_NS6detail15normal_iteratorINS9_10device_ptrIfEEEENS9_16discard_iteratorINS9_11use_defaultEEEfNS9_4plusIvEEfEEDaPvRmT3_T4_T5_mT6_P12ihipStream_tbENKUlT_T0_E_clISt17integral_constantIbLb0EESX_EEDaSS_ST_EUlSS_E0_NS1_11comp_targetILNS1_3genE10ELNS1_11target_archE1200ELNS1_3gpuE4ELNS1_3repE0EEENS1_30default_config_static_selectorELNS0_4arch9wavefront6targetE1EEEvT1_,"axG",@progbits,_ZN7rocprim17ROCPRIM_400000_NS6detail17trampoline_kernelINS0_14default_configENS1_20scan_config_selectorIfEEZZNS1_9scan_implILNS1_25lookback_scan_determinismE0ELb1ELb1ES3_N6thrust23THRUST_200600_302600_NS6detail15normal_iteratorINS9_10device_ptrIfEEEENS9_16discard_iteratorINS9_11use_defaultEEEfNS9_4plusIvEEfEEDaPvRmT3_T4_T5_mT6_P12ihipStream_tbENKUlT_T0_E_clISt17integral_constantIbLb0EESX_EEDaSS_ST_EUlSS_E0_NS1_11comp_targetILNS1_3genE10ELNS1_11target_archE1200ELNS1_3gpuE4ELNS1_3repE0EEENS1_30default_config_static_selectorELNS0_4arch9wavefront6targetE1EEEvT1_,comdat
	.protected	_ZN7rocprim17ROCPRIM_400000_NS6detail17trampoline_kernelINS0_14default_configENS1_20scan_config_selectorIfEEZZNS1_9scan_implILNS1_25lookback_scan_determinismE0ELb1ELb1ES3_N6thrust23THRUST_200600_302600_NS6detail15normal_iteratorINS9_10device_ptrIfEEEENS9_16discard_iteratorINS9_11use_defaultEEEfNS9_4plusIvEEfEEDaPvRmT3_T4_T5_mT6_P12ihipStream_tbENKUlT_T0_E_clISt17integral_constantIbLb0EESX_EEDaSS_ST_EUlSS_E0_NS1_11comp_targetILNS1_3genE10ELNS1_11target_archE1200ELNS1_3gpuE4ELNS1_3repE0EEENS1_30default_config_static_selectorELNS0_4arch9wavefront6targetE1EEEvT1_ ; -- Begin function _ZN7rocprim17ROCPRIM_400000_NS6detail17trampoline_kernelINS0_14default_configENS1_20scan_config_selectorIfEEZZNS1_9scan_implILNS1_25lookback_scan_determinismE0ELb1ELb1ES3_N6thrust23THRUST_200600_302600_NS6detail15normal_iteratorINS9_10device_ptrIfEEEENS9_16discard_iteratorINS9_11use_defaultEEEfNS9_4plusIvEEfEEDaPvRmT3_T4_T5_mT6_P12ihipStream_tbENKUlT_T0_E_clISt17integral_constantIbLb0EESX_EEDaSS_ST_EUlSS_E0_NS1_11comp_targetILNS1_3genE10ELNS1_11target_archE1200ELNS1_3gpuE4ELNS1_3repE0EEENS1_30default_config_static_selectorELNS0_4arch9wavefront6targetE1EEEvT1_
	.globl	_ZN7rocprim17ROCPRIM_400000_NS6detail17trampoline_kernelINS0_14default_configENS1_20scan_config_selectorIfEEZZNS1_9scan_implILNS1_25lookback_scan_determinismE0ELb1ELb1ES3_N6thrust23THRUST_200600_302600_NS6detail15normal_iteratorINS9_10device_ptrIfEEEENS9_16discard_iteratorINS9_11use_defaultEEEfNS9_4plusIvEEfEEDaPvRmT3_T4_T5_mT6_P12ihipStream_tbENKUlT_T0_E_clISt17integral_constantIbLb0EESX_EEDaSS_ST_EUlSS_E0_NS1_11comp_targetILNS1_3genE10ELNS1_11target_archE1200ELNS1_3gpuE4ELNS1_3repE0EEENS1_30default_config_static_selectorELNS0_4arch9wavefront6targetE1EEEvT1_
	.p2align	8
	.type	_ZN7rocprim17ROCPRIM_400000_NS6detail17trampoline_kernelINS0_14default_configENS1_20scan_config_selectorIfEEZZNS1_9scan_implILNS1_25lookback_scan_determinismE0ELb1ELb1ES3_N6thrust23THRUST_200600_302600_NS6detail15normal_iteratorINS9_10device_ptrIfEEEENS9_16discard_iteratorINS9_11use_defaultEEEfNS9_4plusIvEEfEEDaPvRmT3_T4_T5_mT6_P12ihipStream_tbENKUlT_T0_E_clISt17integral_constantIbLb0EESX_EEDaSS_ST_EUlSS_E0_NS1_11comp_targetILNS1_3genE10ELNS1_11target_archE1200ELNS1_3gpuE4ELNS1_3repE0EEENS1_30default_config_static_selectorELNS0_4arch9wavefront6targetE1EEEvT1_,@function
_ZN7rocprim17ROCPRIM_400000_NS6detail17trampoline_kernelINS0_14default_configENS1_20scan_config_selectorIfEEZZNS1_9scan_implILNS1_25lookback_scan_determinismE0ELb1ELb1ES3_N6thrust23THRUST_200600_302600_NS6detail15normal_iteratorINS9_10device_ptrIfEEEENS9_16discard_iteratorINS9_11use_defaultEEEfNS9_4plusIvEEfEEDaPvRmT3_T4_T5_mT6_P12ihipStream_tbENKUlT_T0_E_clISt17integral_constantIbLb0EESX_EEDaSS_ST_EUlSS_E0_NS1_11comp_targetILNS1_3genE10ELNS1_11target_archE1200ELNS1_3gpuE4ELNS1_3repE0EEENS1_30default_config_static_selectorELNS0_4arch9wavefront6targetE1EEEvT1_: ; @_ZN7rocprim17ROCPRIM_400000_NS6detail17trampoline_kernelINS0_14default_configENS1_20scan_config_selectorIfEEZZNS1_9scan_implILNS1_25lookback_scan_determinismE0ELb1ELb1ES3_N6thrust23THRUST_200600_302600_NS6detail15normal_iteratorINS9_10device_ptrIfEEEENS9_16discard_iteratorINS9_11use_defaultEEEfNS9_4plusIvEEfEEDaPvRmT3_T4_T5_mT6_P12ihipStream_tbENKUlT_T0_E_clISt17integral_constantIbLb0EESX_EEDaSS_ST_EUlSS_E0_NS1_11comp_targetILNS1_3genE10ELNS1_11target_archE1200ELNS1_3gpuE4ELNS1_3repE0EEENS1_30default_config_static_selectorELNS0_4arch9wavefront6targetE1EEEvT1_
; %bb.0:
	.section	.rodata,"a",@progbits
	.p2align	6, 0x0
	.amdhsa_kernel _ZN7rocprim17ROCPRIM_400000_NS6detail17trampoline_kernelINS0_14default_configENS1_20scan_config_selectorIfEEZZNS1_9scan_implILNS1_25lookback_scan_determinismE0ELb1ELb1ES3_N6thrust23THRUST_200600_302600_NS6detail15normal_iteratorINS9_10device_ptrIfEEEENS9_16discard_iteratorINS9_11use_defaultEEEfNS9_4plusIvEEfEEDaPvRmT3_T4_T5_mT6_P12ihipStream_tbENKUlT_T0_E_clISt17integral_constantIbLb0EESX_EEDaSS_ST_EUlSS_E0_NS1_11comp_targetILNS1_3genE10ELNS1_11target_archE1200ELNS1_3gpuE4ELNS1_3repE0EEENS1_30default_config_static_selectorELNS0_4arch9wavefront6targetE1EEEvT1_
		.amdhsa_group_segment_fixed_size 0
		.amdhsa_private_segment_fixed_size 0
		.amdhsa_kernarg_size 40
		.amdhsa_user_sgpr_count 6
		.amdhsa_user_sgpr_private_segment_buffer 1
		.amdhsa_user_sgpr_dispatch_ptr 0
		.amdhsa_user_sgpr_queue_ptr 0
		.amdhsa_user_sgpr_kernarg_segment_ptr 1
		.amdhsa_user_sgpr_dispatch_id 0
		.amdhsa_user_sgpr_flat_scratch_init 0
		.amdhsa_user_sgpr_kernarg_preload_length 0
		.amdhsa_user_sgpr_kernarg_preload_offset 0
		.amdhsa_user_sgpr_private_segment_size 0
		.amdhsa_uses_dynamic_stack 0
		.amdhsa_system_sgpr_private_segment_wavefront_offset 0
		.amdhsa_system_sgpr_workgroup_id_x 1
		.amdhsa_system_sgpr_workgroup_id_y 0
		.amdhsa_system_sgpr_workgroup_id_z 0
		.amdhsa_system_sgpr_workgroup_info 0
		.amdhsa_system_vgpr_workitem_id 0
		.amdhsa_next_free_vgpr 1
		.amdhsa_next_free_sgpr 0
		.amdhsa_accum_offset 4
		.amdhsa_reserve_vcc 0
		.amdhsa_reserve_flat_scratch 0
		.amdhsa_float_round_mode_32 0
		.amdhsa_float_round_mode_16_64 0
		.amdhsa_float_denorm_mode_32 3
		.amdhsa_float_denorm_mode_16_64 3
		.amdhsa_dx10_clamp 1
		.amdhsa_ieee_mode 1
		.amdhsa_fp16_overflow 0
		.amdhsa_tg_split 0
		.amdhsa_exception_fp_ieee_invalid_op 0
		.amdhsa_exception_fp_denorm_src 0
		.amdhsa_exception_fp_ieee_div_zero 0
		.amdhsa_exception_fp_ieee_overflow 0
		.amdhsa_exception_fp_ieee_underflow 0
		.amdhsa_exception_fp_ieee_inexact 0
		.amdhsa_exception_int_div_zero 0
	.end_amdhsa_kernel
	.section	.text._ZN7rocprim17ROCPRIM_400000_NS6detail17trampoline_kernelINS0_14default_configENS1_20scan_config_selectorIfEEZZNS1_9scan_implILNS1_25lookback_scan_determinismE0ELb1ELb1ES3_N6thrust23THRUST_200600_302600_NS6detail15normal_iteratorINS9_10device_ptrIfEEEENS9_16discard_iteratorINS9_11use_defaultEEEfNS9_4plusIvEEfEEDaPvRmT3_T4_T5_mT6_P12ihipStream_tbENKUlT_T0_E_clISt17integral_constantIbLb0EESX_EEDaSS_ST_EUlSS_E0_NS1_11comp_targetILNS1_3genE10ELNS1_11target_archE1200ELNS1_3gpuE4ELNS1_3repE0EEENS1_30default_config_static_selectorELNS0_4arch9wavefront6targetE1EEEvT1_,"axG",@progbits,_ZN7rocprim17ROCPRIM_400000_NS6detail17trampoline_kernelINS0_14default_configENS1_20scan_config_selectorIfEEZZNS1_9scan_implILNS1_25lookback_scan_determinismE0ELb1ELb1ES3_N6thrust23THRUST_200600_302600_NS6detail15normal_iteratorINS9_10device_ptrIfEEEENS9_16discard_iteratorINS9_11use_defaultEEEfNS9_4plusIvEEfEEDaPvRmT3_T4_T5_mT6_P12ihipStream_tbENKUlT_T0_E_clISt17integral_constantIbLb0EESX_EEDaSS_ST_EUlSS_E0_NS1_11comp_targetILNS1_3genE10ELNS1_11target_archE1200ELNS1_3gpuE4ELNS1_3repE0EEENS1_30default_config_static_selectorELNS0_4arch9wavefront6targetE1EEEvT1_,comdat
.Lfunc_end5093:
	.size	_ZN7rocprim17ROCPRIM_400000_NS6detail17trampoline_kernelINS0_14default_configENS1_20scan_config_selectorIfEEZZNS1_9scan_implILNS1_25lookback_scan_determinismE0ELb1ELb1ES3_N6thrust23THRUST_200600_302600_NS6detail15normal_iteratorINS9_10device_ptrIfEEEENS9_16discard_iteratorINS9_11use_defaultEEEfNS9_4plusIvEEfEEDaPvRmT3_T4_T5_mT6_P12ihipStream_tbENKUlT_T0_E_clISt17integral_constantIbLb0EESX_EEDaSS_ST_EUlSS_E0_NS1_11comp_targetILNS1_3genE10ELNS1_11target_archE1200ELNS1_3gpuE4ELNS1_3repE0EEENS1_30default_config_static_selectorELNS0_4arch9wavefront6targetE1EEEvT1_, .Lfunc_end5093-_ZN7rocprim17ROCPRIM_400000_NS6detail17trampoline_kernelINS0_14default_configENS1_20scan_config_selectorIfEEZZNS1_9scan_implILNS1_25lookback_scan_determinismE0ELb1ELb1ES3_N6thrust23THRUST_200600_302600_NS6detail15normal_iteratorINS9_10device_ptrIfEEEENS9_16discard_iteratorINS9_11use_defaultEEEfNS9_4plusIvEEfEEDaPvRmT3_T4_T5_mT6_P12ihipStream_tbENKUlT_T0_E_clISt17integral_constantIbLb0EESX_EEDaSS_ST_EUlSS_E0_NS1_11comp_targetILNS1_3genE10ELNS1_11target_archE1200ELNS1_3gpuE4ELNS1_3repE0EEENS1_30default_config_static_selectorELNS0_4arch9wavefront6targetE1EEEvT1_
                                        ; -- End function
	.section	.AMDGPU.csdata,"",@progbits
; Kernel info:
; codeLenInByte = 0
; NumSgprs: 4
; NumVgprs: 0
; NumAgprs: 0
; TotalNumVgprs: 0
; ScratchSize: 0
; MemoryBound: 0
; FloatMode: 240
; IeeeMode: 1
; LDSByteSize: 0 bytes/workgroup (compile time only)
; SGPRBlocks: 0
; VGPRBlocks: 0
; NumSGPRsForWavesPerEU: 4
; NumVGPRsForWavesPerEU: 1
; AccumOffset: 4
; Occupancy: 8
; WaveLimiterHint : 0
; COMPUTE_PGM_RSRC2:SCRATCH_EN: 0
; COMPUTE_PGM_RSRC2:USER_SGPR: 6
; COMPUTE_PGM_RSRC2:TRAP_HANDLER: 0
; COMPUTE_PGM_RSRC2:TGID_X_EN: 1
; COMPUTE_PGM_RSRC2:TGID_Y_EN: 0
; COMPUTE_PGM_RSRC2:TGID_Z_EN: 0
; COMPUTE_PGM_RSRC2:TIDIG_COMP_CNT: 0
; COMPUTE_PGM_RSRC3_GFX90A:ACCUM_OFFSET: 0
; COMPUTE_PGM_RSRC3_GFX90A:TG_SPLIT: 0
	.section	.text._ZN7rocprim17ROCPRIM_400000_NS6detail17trampoline_kernelINS0_14default_configENS1_20scan_config_selectorIfEEZZNS1_9scan_implILNS1_25lookback_scan_determinismE0ELb1ELb1ES3_N6thrust23THRUST_200600_302600_NS6detail15normal_iteratorINS9_10device_ptrIfEEEENS9_16discard_iteratorINS9_11use_defaultEEEfNS9_4plusIvEEfEEDaPvRmT3_T4_T5_mT6_P12ihipStream_tbENKUlT_T0_E_clISt17integral_constantIbLb0EESX_EEDaSS_ST_EUlSS_E0_NS1_11comp_targetILNS1_3genE9ELNS1_11target_archE1100ELNS1_3gpuE3ELNS1_3repE0EEENS1_30default_config_static_selectorELNS0_4arch9wavefront6targetE1EEEvT1_,"axG",@progbits,_ZN7rocprim17ROCPRIM_400000_NS6detail17trampoline_kernelINS0_14default_configENS1_20scan_config_selectorIfEEZZNS1_9scan_implILNS1_25lookback_scan_determinismE0ELb1ELb1ES3_N6thrust23THRUST_200600_302600_NS6detail15normal_iteratorINS9_10device_ptrIfEEEENS9_16discard_iteratorINS9_11use_defaultEEEfNS9_4plusIvEEfEEDaPvRmT3_T4_T5_mT6_P12ihipStream_tbENKUlT_T0_E_clISt17integral_constantIbLb0EESX_EEDaSS_ST_EUlSS_E0_NS1_11comp_targetILNS1_3genE9ELNS1_11target_archE1100ELNS1_3gpuE3ELNS1_3repE0EEENS1_30default_config_static_selectorELNS0_4arch9wavefront6targetE1EEEvT1_,comdat
	.protected	_ZN7rocprim17ROCPRIM_400000_NS6detail17trampoline_kernelINS0_14default_configENS1_20scan_config_selectorIfEEZZNS1_9scan_implILNS1_25lookback_scan_determinismE0ELb1ELb1ES3_N6thrust23THRUST_200600_302600_NS6detail15normal_iteratorINS9_10device_ptrIfEEEENS9_16discard_iteratorINS9_11use_defaultEEEfNS9_4plusIvEEfEEDaPvRmT3_T4_T5_mT6_P12ihipStream_tbENKUlT_T0_E_clISt17integral_constantIbLb0EESX_EEDaSS_ST_EUlSS_E0_NS1_11comp_targetILNS1_3genE9ELNS1_11target_archE1100ELNS1_3gpuE3ELNS1_3repE0EEENS1_30default_config_static_selectorELNS0_4arch9wavefront6targetE1EEEvT1_ ; -- Begin function _ZN7rocprim17ROCPRIM_400000_NS6detail17trampoline_kernelINS0_14default_configENS1_20scan_config_selectorIfEEZZNS1_9scan_implILNS1_25lookback_scan_determinismE0ELb1ELb1ES3_N6thrust23THRUST_200600_302600_NS6detail15normal_iteratorINS9_10device_ptrIfEEEENS9_16discard_iteratorINS9_11use_defaultEEEfNS9_4plusIvEEfEEDaPvRmT3_T4_T5_mT6_P12ihipStream_tbENKUlT_T0_E_clISt17integral_constantIbLb0EESX_EEDaSS_ST_EUlSS_E0_NS1_11comp_targetILNS1_3genE9ELNS1_11target_archE1100ELNS1_3gpuE3ELNS1_3repE0EEENS1_30default_config_static_selectorELNS0_4arch9wavefront6targetE1EEEvT1_
	.globl	_ZN7rocprim17ROCPRIM_400000_NS6detail17trampoline_kernelINS0_14default_configENS1_20scan_config_selectorIfEEZZNS1_9scan_implILNS1_25lookback_scan_determinismE0ELb1ELb1ES3_N6thrust23THRUST_200600_302600_NS6detail15normal_iteratorINS9_10device_ptrIfEEEENS9_16discard_iteratorINS9_11use_defaultEEEfNS9_4plusIvEEfEEDaPvRmT3_T4_T5_mT6_P12ihipStream_tbENKUlT_T0_E_clISt17integral_constantIbLb0EESX_EEDaSS_ST_EUlSS_E0_NS1_11comp_targetILNS1_3genE9ELNS1_11target_archE1100ELNS1_3gpuE3ELNS1_3repE0EEENS1_30default_config_static_selectorELNS0_4arch9wavefront6targetE1EEEvT1_
	.p2align	8
	.type	_ZN7rocprim17ROCPRIM_400000_NS6detail17trampoline_kernelINS0_14default_configENS1_20scan_config_selectorIfEEZZNS1_9scan_implILNS1_25lookback_scan_determinismE0ELb1ELb1ES3_N6thrust23THRUST_200600_302600_NS6detail15normal_iteratorINS9_10device_ptrIfEEEENS9_16discard_iteratorINS9_11use_defaultEEEfNS9_4plusIvEEfEEDaPvRmT3_T4_T5_mT6_P12ihipStream_tbENKUlT_T0_E_clISt17integral_constantIbLb0EESX_EEDaSS_ST_EUlSS_E0_NS1_11comp_targetILNS1_3genE9ELNS1_11target_archE1100ELNS1_3gpuE3ELNS1_3repE0EEENS1_30default_config_static_selectorELNS0_4arch9wavefront6targetE1EEEvT1_,@function
_ZN7rocprim17ROCPRIM_400000_NS6detail17trampoline_kernelINS0_14default_configENS1_20scan_config_selectorIfEEZZNS1_9scan_implILNS1_25lookback_scan_determinismE0ELb1ELb1ES3_N6thrust23THRUST_200600_302600_NS6detail15normal_iteratorINS9_10device_ptrIfEEEENS9_16discard_iteratorINS9_11use_defaultEEEfNS9_4plusIvEEfEEDaPvRmT3_T4_T5_mT6_P12ihipStream_tbENKUlT_T0_E_clISt17integral_constantIbLb0EESX_EEDaSS_ST_EUlSS_E0_NS1_11comp_targetILNS1_3genE9ELNS1_11target_archE1100ELNS1_3gpuE3ELNS1_3repE0EEENS1_30default_config_static_selectorELNS0_4arch9wavefront6targetE1EEEvT1_: ; @_ZN7rocprim17ROCPRIM_400000_NS6detail17trampoline_kernelINS0_14default_configENS1_20scan_config_selectorIfEEZZNS1_9scan_implILNS1_25lookback_scan_determinismE0ELb1ELb1ES3_N6thrust23THRUST_200600_302600_NS6detail15normal_iteratorINS9_10device_ptrIfEEEENS9_16discard_iteratorINS9_11use_defaultEEEfNS9_4plusIvEEfEEDaPvRmT3_T4_T5_mT6_P12ihipStream_tbENKUlT_T0_E_clISt17integral_constantIbLb0EESX_EEDaSS_ST_EUlSS_E0_NS1_11comp_targetILNS1_3genE9ELNS1_11target_archE1100ELNS1_3gpuE3ELNS1_3repE0EEENS1_30default_config_static_selectorELNS0_4arch9wavefront6targetE1EEEvT1_
; %bb.0:
	.section	.rodata,"a",@progbits
	.p2align	6, 0x0
	.amdhsa_kernel _ZN7rocprim17ROCPRIM_400000_NS6detail17trampoline_kernelINS0_14default_configENS1_20scan_config_selectorIfEEZZNS1_9scan_implILNS1_25lookback_scan_determinismE0ELb1ELb1ES3_N6thrust23THRUST_200600_302600_NS6detail15normal_iteratorINS9_10device_ptrIfEEEENS9_16discard_iteratorINS9_11use_defaultEEEfNS9_4plusIvEEfEEDaPvRmT3_T4_T5_mT6_P12ihipStream_tbENKUlT_T0_E_clISt17integral_constantIbLb0EESX_EEDaSS_ST_EUlSS_E0_NS1_11comp_targetILNS1_3genE9ELNS1_11target_archE1100ELNS1_3gpuE3ELNS1_3repE0EEENS1_30default_config_static_selectorELNS0_4arch9wavefront6targetE1EEEvT1_
		.amdhsa_group_segment_fixed_size 0
		.amdhsa_private_segment_fixed_size 0
		.amdhsa_kernarg_size 40
		.amdhsa_user_sgpr_count 6
		.amdhsa_user_sgpr_private_segment_buffer 1
		.amdhsa_user_sgpr_dispatch_ptr 0
		.amdhsa_user_sgpr_queue_ptr 0
		.amdhsa_user_sgpr_kernarg_segment_ptr 1
		.amdhsa_user_sgpr_dispatch_id 0
		.amdhsa_user_sgpr_flat_scratch_init 0
		.amdhsa_user_sgpr_kernarg_preload_length 0
		.amdhsa_user_sgpr_kernarg_preload_offset 0
		.amdhsa_user_sgpr_private_segment_size 0
		.amdhsa_uses_dynamic_stack 0
		.amdhsa_system_sgpr_private_segment_wavefront_offset 0
		.amdhsa_system_sgpr_workgroup_id_x 1
		.amdhsa_system_sgpr_workgroup_id_y 0
		.amdhsa_system_sgpr_workgroup_id_z 0
		.amdhsa_system_sgpr_workgroup_info 0
		.amdhsa_system_vgpr_workitem_id 0
		.amdhsa_next_free_vgpr 1
		.amdhsa_next_free_sgpr 0
		.amdhsa_accum_offset 4
		.amdhsa_reserve_vcc 0
		.amdhsa_reserve_flat_scratch 0
		.amdhsa_float_round_mode_32 0
		.amdhsa_float_round_mode_16_64 0
		.amdhsa_float_denorm_mode_32 3
		.amdhsa_float_denorm_mode_16_64 3
		.amdhsa_dx10_clamp 1
		.amdhsa_ieee_mode 1
		.amdhsa_fp16_overflow 0
		.amdhsa_tg_split 0
		.amdhsa_exception_fp_ieee_invalid_op 0
		.amdhsa_exception_fp_denorm_src 0
		.amdhsa_exception_fp_ieee_div_zero 0
		.amdhsa_exception_fp_ieee_overflow 0
		.amdhsa_exception_fp_ieee_underflow 0
		.amdhsa_exception_fp_ieee_inexact 0
		.amdhsa_exception_int_div_zero 0
	.end_amdhsa_kernel
	.section	.text._ZN7rocprim17ROCPRIM_400000_NS6detail17trampoline_kernelINS0_14default_configENS1_20scan_config_selectorIfEEZZNS1_9scan_implILNS1_25lookback_scan_determinismE0ELb1ELb1ES3_N6thrust23THRUST_200600_302600_NS6detail15normal_iteratorINS9_10device_ptrIfEEEENS9_16discard_iteratorINS9_11use_defaultEEEfNS9_4plusIvEEfEEDaPvRmT3_T4_T5_mT6_P12ihipStream_tbENKUlT_T0_E_clISt17integral_constantIbLb0EESX_EEDaSS_ST_EUlSS_E0_NS1_11comp_targetILNS1_3genE9ELNS1_11target_archE1100ELNS1_3gpuE3ELNS1_3repE0EEENS1_30default_config_static_selectorELNS0_4arch9wavefront6targetE1EEEvT1_,"axG",@progbits,_ZN7rocprim17ROCPRIM_400000_NS6detail17trampoline_kernelINS0_14default_configENS1_20scan_config_selectorIfEEZZNS1_9scan_implILNS1_25lookback_scan_determinismE0ELb1ELb1ES3_N6thrust23THRUST_200600_302600_NS6detail15normal_iteratorINS9_10device_ptrIfEEEENS9_16discard_iteratorINS9_11use_defaultEEEfNS9_4plusIvEEfEEDaPvRmT3_T4_T5_mT6_P12ihipStream_tbENKUlT_T0_E_clISt17integral_constantIbLb0EESX_EEDaSS_ST_EUlSS_E0_NS1_11comp_targetILNS1_3genE9ELNS1_11target_archE1100ELNS1_3gpuE3ELNS1_3repE0EEENS1_30default_config_static_selectorELNS0_4arch9wavefront6targetE1EEEvT1_,comdat
.Lfunc_end5094:
	.size	_ZN7rocprim17ROCPRIM_400000_NS6detail17trampoline_kernelINS0_14default_configENS1_20scan_config_selectorIfEEZZNS1_9scan_implILNS1_25lookback_scan_determinismE0ELb1ELb1ES3_N6thrust23THRUST_200600_302600_NS6detail15normal_iteratorINS9_10device_ptrIfEEEENS9_16discard_iteratorINS9_11use_defaultEEEfNS9_4plusIvEEfEEDaPvRmT3_T4_T5_mT6_P12ihipStream_tbENKUlT_T0_E_clISt17integral_constantIbLb0EESX_EEDaSS_ST_EUlSS_E0_NS1_11comp_targetILNS1_3genE9ELNS1_11target_archE1100ELNS1_3gpuE3ELNS1_3repE0EEENS1_30default_config_static_selectorELNS0_4arch9wavefront6targetE1EEEvT1_, .Lfunc_end5094-_ZN7rocprim17ROCPRIM_400000_NS6detail17trampoline_kernelINS0_14default_configENS1_20scan_config_selectorIfEEZZNS1_9scan_implILNS1_25lookback_scan_determinismE0ELb1ELb1ES3_N6thrust23THRUST_200600_302600_NS6detail15normal_iteratorINS9_10device_ptrIfEEEENS9_16discard_iteratorINS9_11use_defaultEEEfNS9_4plusIvEEfEEDaPvRmT3_T4_T5_mT6_P12ihipStream_tbENKUlT_T0_E_clISt17integral_constantIbLb0EESX_EEDaSS_ST_EUlSS_E0_NS1_11comp_targetILNS1_3genE9ELNS1_11target_archE1100ELNS1_3gpuE3ELNS1_3repE0EEENS1_30default_config_static_selectorELNS0_4arch9wavefront6targetE1EEEvT1_
                                        ; -- End function
	.section	.AMDGPU.csdata,"",@progbits
; Kernel info:
; codeLenInByte = 0
; NumSgprs: 4
; NumVgprs: 0
; NumAgprs: 0
; TotalNumVgprs: 0
; ScratchSize: 0
; MemoryBound: 0
; FloatMode: 240
; IeeeMode: 1
; LDSByteSize: 0 bytes/workgroup (compile time only)
; SGPRBlocks: 0
; VGPRBlocks: 0
; NumSGPRsForWavesPerEU: 4
; NumVGPRsForWavesPerEU: 1
; AccumOffset: 4
; Occupancy: 8
; WaveLimiterHint : 0
; COMPUTE_PGM_RSRC2:SCRATCH_EN: 0
; COMPUTE_PGM_RSRC2:USER_SGPR: 6
; COMPUTE_PGM_RSRC2:TRAP_HANDLER: 0
; COMPUTE_PGM_RSRC2:TGID_X_EN: 1
; COMPUTE_PGM_RSRC2:TGID_Y_EN: 0
; COMPUTE_PGM_RSRC2:TGID_Z_EN: 0
; COMPUTE_PGM_RSRC2:TIDIG_COMP_CNT: 0
; COMPUTE_PGM_RSRC3_GFX90A:ACCUM_OFFSET: 0
; COMPUTE_PGM_RSRC3_GFX90A:TG_SPLIT: 0
	.section	.text._ZN7rocprim17ROCPRIM_400000_NS6detail17trampoline_kernelINS0_14default_configENS1_20scan_config_selectorIfEEZZNS1_9scan_implILNS1_25lookback_scan_determinismE0ELb1ELb1ES3_N6thrust23THRUST_200600_302600_NS6detail15normal_iteratorINS9_10device_ptrIfEEEENS9_16discard_iteratorINS9_11use_defaultEEEfNS9_4plusIvEEfEEDaPvRmT3_T4_T5_mT6_P12ihipStream_tbENKUlT_T0_E_clISt17integral_constantIbLb0EESX_EEDaSS_ST_EUlSS_E0_NS1_11comp_targetILNS1_3genE8ELNS1_11target_archE1030ELNS1_3gpuE2ELNS1_3repE0EEENS1_30default_config_static_selectorELNS0_4arch9wavefront6targetE1EEEvT1_,"axG",@progbits,_ZN7rocprim17ROCPRIM_400000_NS6detail17trampoline_kernelINS0_14default_configENS1_20scan_config_selectorIfEEZZNS1_9scan_implILNS1_25lookback_scan_determinismE0ELb1ELb1ES3_N6thrust23THRUST_200600_302600_NS6detail15normal_iteratorINS9_10device_ptrIfEEEENS9_16discard_iteratorINS9_11use_defaultEEEfNS9_4plusIvEEfEEDaPvRmT3_T4_T5_mT6_P12ihipStream_tbENKUlT_T0_E_clISt17integral_constantIbLb0EESX_EEDaSS_ST_EUlSS_E0_NS1_11comp_targetILNS1_3genE8ELNS1_11target_archE1030ELNS1_3gpuE2ELNS1_3repE0EEENS1_30default_config_static_selectorELNS0_4arch9wavefront6targetE1EEEvT1_,comdat
	.protected	_ZN7rocprim17ROCPRIM_400000_NS6detail17trampoline_kernelINS0_14default_configENS1_20scan_config_selectorIfEEZZNS1_9scan_implILNS1_25lookback_scan_determinismE0ELb1ELb1ES3_N6thrust23THRUST_200600_302600_NS6detail15normal_iteratorINS9_10device_ptrIfEEEENS9_16discard_iteratorINS9_11use_defaultEEEfNS9_4plusIvEEfEEDaPvRmT3_T4_T5_mT6_P12ihipStream_tbENKUlT_T0_E_clISt17integral_constantIbLb0EESX_EEDaSS_ST_EUlSS_E0_NS1_11comp_targetILNS1_3genE8ELNS1_11target_archE1030ELNS1_3gpuE2ELNS1_3repE0EEENS1_30default_config_static_selectorELNS0_4arch9wavefront6targetE1EEEvT1_ ; -- Begin function _ZN7rocprim17ROCPRIM_400000_NS6detail17trampoline_kernelINS0_14default_configENS1_20scan_config_selectorIfEEZZNS1_9scan_implILNS1_25lookback_scan_determinismE0ELb1ELb1ES3_N6thrust23THRUST_200600_302600_NS6detail15normal_iteratorINS9_10device_ptrIfEEEENS9_16discard_iteratorINS9_11use_defaultEEEfNS9_4plusIvEEfEEDaPvRmT3_T4_T5_mT6_P12ihipStream_tbENKUlT_T0_E_clISt17integral_constantIbLb0EESX_EEDaSS_ST_EUlSS_E0_NS1_11comp_targetILNS1_3genE8ELNS1_11target_archE1030ELNS1_3gpuE2ELNS1_3repE0EEENS1_30default_config_static_selectorELNS0_4arch9wavefront6targetE1EEEvT1_
	.globl	_ZN7rocprim17ROCPRIM_400000_NS6detail17trampoline_kernelINS0_14default_configENS1_20scan_config_selectorIfEEZZNS1_9scan_implILNS1_25lookback_scan_determinismE0ELb1ELb1ES3_N6thrust23THRUST_200600_302600_NS6detail15normal_iteratorINS9_10device_ptrIfEEEENS9_16discard_iteratorINS9_11use_defaultEEEfNS9_4plusIvEEfEEDaPvRmT3_T4_T5_mT6_P12ihipStream_tbENKUlT_T0_E_clISt17integral_constantIbLb0EESX_EEDaSS_ST_EUlSS_E0_NS1_11comp_targetILNS1_3genE8ELNS1_11target_archE1030ELNS1_3gpuE2ELNS1_3repE0EEENS1_30default_config_static_selectorELNS0_4arch9wavefront6targetE1EEEvT1_
	.p2align	8
	.type	_ZN7rocprim17ROCPRIM_400000_NS6detail17trampoline_kernelINS0_14default_configENS1_20scan_config_selectorIfEEZZNS1_9scan_implILNS1_25lookback_scan_determinismE0ELb1ELb1ES3_N6thrust23THRUST_200600_302600_NS6detail15normal_iteratorINS9_10device_ptrIfEEEENS9_16discard_iteratorINS9_11use_defaultEEEfNS9_4plusIvEEfEEDaPvRmT3_T4_T5_mT6_P12ihipStream_tbENKUlT_T0_E_clISt17integral_constantIbLb0EESX_EEDaSS_ST_EUlSS_E0_NS1_11comp_targetILNS1_3genE8ELNS1_11target_archE1030ELNS1_3gpuE2ELNS1_3repE0EEENS1_30default_config_static_selectorELNS0_4arch9wavefront6targetE1EEEvT1_,@function
_ZN7rocprim17ROCPRIM_400000_NS6detail17trampoline_kernelINS0_14default_configENS1_20scan_config_selectorIfEEZZNS1_9scan_implILNS1_25lookback_scan_determinismE0ELb1ELb1ES3_N6thrust23THRUST_200600_302600_NS6detail15normal_iteratorINS9_10device_ptrIfEEEENS9_16discard_iteratorINS9_11use_defaultEEEfNS9_4plusIvEEfEEDaPvRmT3_T4_T5_mT6_P12ihipStream_tbENKUlT_T0_E_clISt17integral_constantIbLb0EESX_EEDaSS_ST_EUlSS_E0_NS1_11comp_targetILNS1_3genE8ELNS1_11target_archE1030ELNS1_3gpuE2ELNS1_3repE0EEENS1_30default_config_static_selectorELNS0_4arch9wavefront6targetE1EEEvT1_: ; @_ZN7rocprim17ROCPRIM_400000_NS6detail17trampoline_kernelINS0_14default_configENS1_20scan_config_selectorIfEEZZNS1_9scan_implILNS1_25lookback_scan_determinismE0ELb1ELb1ES3_N6thrust23THRUST_200600_302600_NS6detail15normal_iteratorINS9_10device_ptrIfEEEENS9_16discard_iteratorINS9_11use_defaultEEEfNS9_4plusIvEEfEEDaPvRmT3_T4_T5_mT6_P12ihipStream_tbENKUlT_T0_E_clISt17integral_constantIbLb0EESX_EEDaSS_ST_EUlSS_E0_NS1_11comp_targetILNS1_3genE8ELNS1_11target_archE1030ELNS1_3gpuE2ELNS1_3repE0EEENS1_30default_config_static_selectorELNS0_4arch9wavefront6targetE1EEEvT1_
; %bb.0:
	.section	.rodata,"a",@progbits
	.p2align	6, 0x0
	.amdhsa_kernel _ZN7rocprim17ROCPRIM_400000_NS6detail17trampoline_kernelINS0_14default_configENS1_20scan_config_selectorIfEEZZNS1_9scan_implILNS1_25lookback_scan_determinismE0ELb1ELb1ES3_N6thrust23THRUST_200600_302600_NS6detail15normal_iteratorINS9_10device_ptrIfEEEENS9_16discard_iteratorINS9_11use_defaultEEEfNS9_4plusIvEEfEEDaPvRmT3_T4_T5_mT6_P12ihipStream_tbENKUlT_T0_E_clISt17integral_constantIbLb0EESX_EEDaSS_ST_EUlSS_E0_NS1_11comp_targetILNS1_3genE8ELNS1_11target_archE1030ELNS1_3gpuE2ELNS1_3repE0EEENS1_30default_config_static_selectorELNS0_4arch9wavefront6targetE1EEEvT1_
		.amdhsa_group_segment_fixed_size 0
		.amdhsa_private_segment_fixed_size 0
		.amdhsa_kernarg_size 40
		.amdhsa_user_sgpr_count 6
		.amdhsa_user_sgpr_private_segment_buffer 1
		.amdhsa_user_sgpr_dispatch_ptr 0
		.amdhsa_user_sgpr_queue_ptr 0
		.amdhsa_user_sgpr_kernarg_segment_ptr 1
		.amdhsa_user_sgpr_dispatch_id 0
		.amdhsa_user_sgpr_flat_scratch_init 0
		.amdhsa_user_sgpr_kernarg_preload_length 0
		.amdhsa_user_sgpr_kernarg_preload_offset 0
		.amdhsa_user_sgpr_private_segment_size 0
		.amdhsa_uses_dynamic_stack 0
		.amdhsa_system_sgpr_private_segment_wavefront_offset 0
		.amdhsa_system_sgpr_workgroup_id_x 1
		.amdhsa_system_sgpr_workgroup_id_y 0
		.amdhsa_system_sgpr_workgroup_id_z 0
		.amdhsa_system_sgpr_workgroup_info 0
		.amdhsa_system_vgpr_workitem_id 0
		.amdhsa_next_free_vgpr 1
		.amdhsa_next_free_sgpr 0
		.amdhsa_accum_offset 4
		.amdhsa_reserve_vcc 0
		.amdhsa_reserve_flat_scratch 0
		.amdhsa_float_round_mode_32 0
		.amdhsa_float_round_mode_16_64 0
		.amdhsa_float_denorm_mode_32 3
		.amdhsa_float_denorm_mode_16_64 3
		.amdhsa_dx10_clamp 1
		.amdhsa_ieee_mode 1
		.amdhsa_fp16_overflow 0
		.amdhsa_tg_split 0
		.amdhsa_exception_fp_ieee_invalid_op 0
		.amdhsa_exception_fp_denorm_src 0
		.amdhsa_exception_fp_ieee_div_zero 0
		.amdhsa_exception_fp_ieee_overflow 0
		.amdhsa_exception_fp_ieee_underflow 0
		.amdhsa_exception_fp_ieee_inexact 0
		.amdhsa_exception_int_div_zero 0
	.end_amdhsa_kernel
	.section	.text._ZN7rocprim17ROCPRIM_400000_NS6detail17trampoline_kernelINS0_14default_configENS1_20scan_config_selectorIfEEZZNS1_9scan_implILNS1_25lookback_scan_determinismE0ELb1ELb1ES3_N6thrust23THRUST_200600_302600_NS6detail15normal_iteratorINS9_10device_ptrIfEEEENS9_16discard_iteratorINS9_11use_defaultEEEfNS9_4plusIvEEfEEDaPvRmT3_T4_T5_mT6_P12ihipStream_tbENKUlT_T0_E_clISt17integral_constantIbLb0EESX_EEDaSS_ST_EUlSS_E0_NS1_11comp_targetILNS1_3genE8ELNS1_11target_archE1030ELNS1_3gpuE2ELNS1_3repE0EEENS1_30default_config_static_selectorELNS0_4arch9wavefront6targetE1EEEvT1_,"axG",@progbits,_ZN7rocprim17ROCPRIM_400000_NS6detail17trampoline_kernelINS0_14default_configENS1_20scan_config_selectorIfEEZZNS1_9scan_implILNS1_25lookback_scan_determinismE0ELb1ELb1ES3_N6thrust23THRUST_200600_302600_NS6detail15normal_iteratorINS9_10device_ptrIfEEEENS9_16discard_iteratorINS9_11use_defaultEEEfNS9_4plusIvEEfEEDaPvRmT3_T4_T5_mT6_P12ihipStream_tbENKUlT_T0_E_clISt17integral_constantIbLb0EESX_EEDaSS_ST_EUlSS_E0_NS1_11comp_targetILNS1_3genE8ELNS1_11target_archE1030ELNS1_3gpuE2ELNS1_3repE0EEENS1_30default_config_static_selectorELNS0_4arch9wavefront6targetE1EEEvT1_,comdat
.Lfunc_end5095:
	.size	_ZN7rocprim17ROCPRIM_400000_NS6detail17trampoline_kernelINS0_14default_configENS1_20scan_config_selectorIfEEZZNS1_9scan_implILNS1_25lookback_scan_determinismE0ELb1ELb1ES3_N6thrust23THRUST_200600_302600_NS6detail15normal_iteratorINS9_10device_ptrIfEEEENS9_16discard_iteratorINS9_11use_defaultEEEfNS9_4plusIvEEfEEDaPvRmT3_T4_T5_mT6_P12ihipStream_tbENKUlT_T0_E_clISt17integral_constantIbLb0EESX_EEDaSS_ST_EUlSS_E0_NS1_11comp_targetILNS1_3genE8ELNS1_11target_archE1030ELNS1_3gpuE2ELNS1_3repE0EEENS1_30default_config_static_selectorELNS0_4arch9wavefront6targetE1EEEvT1_, .Lfunc_end5095-_ZN7rocprim17ROCPRIM_400000_NS6detail17trampoline_kernelINS0_14default_configENS1_20scan_config_selectorIfEEZZNS1_9scan_implILNS1_25lookback_scan_determinismE0ELb1ELb1ES3_N6thrust23THRUST_200600_302600_NS6detail15normal_iteratorINS9_10device_ptrIfEEEENS9_16discard_iteratorINS9_11use_defaultEEEfNS9_4plusIvEEfEEDaPvRmT3_T4_T5_mT6_P12ihipStream_tbENKUlT_T0_E_clISt17integral_constantIbLb0EESX_EEDaSS_ST_EUlSS_E0_NS1_11comp_targetILNS1_3genE8ELNS1_11target_archE1030ELNS1_3gpuE2ELNS1_3repE0EEENS1_30default_config_static_selectorELNS0_4arch9wavefront6targetE1EEEvT1_
                                        ; -- End function
	.section	.AMDGPU.csdata,"",@progbits
; Kernel info:
; codeLenInByte = 0
; NumSgprs: 4
; NumVgprs: 0
; NumAgprs: 0
; TotalNumVgprs: 0
; ScratchSize: 0
; MemoryBound: 0
; FloatMode: 240
; IeeeMode: 1
; LDSByteSize: 0 bytes/workgroup (compile time only)
; SGPRBlocks: 0
; VGPRBlocks: 0
; NumSGPRsForWavesPerEU: 4
; NumVGPRsForWavesPerEU: 1
; AccumOffset: 4
; Occupancy: 8
; WaveLimiterHint : 0
; COMPUTE_PGM_RSRC2:SCRATCH_EN: 0
; COMPUTE_PGM_RSRC2:USER_SGPR: 6
; COMPUTE_PGM_RSRC2:TRAP_HANDLER: 0
; COMPUTE_PGM_RSRC2:TGID_X_EN: 1
; COMPUTE_PGM_RSRC2:TGID_Y_EN: 0
; COMPUTE_PGM_RSRC2:TGID_Z_EN: 0
; COMPUTE_PGM_RSRC2:TIDIG_COMP_CNT: 0
; COMPUTE_PGM_RSRC3_GFX90A:ACCUM_OFFSET: 0
; COMPUTE_PGM_RSRC3_GFX90A:TG_SPLIT: 0
	.section	.text._ZN7rocprim17ROCPRIM_400000_NS6detail17trampoline_kernelINS0_14default_configENS1_20scan_config_selectorIfEEZZNS1_9scan_implILNS1_25lookback_scan_determinismE0ELb1ELb1ES3_N6thrust23THRUST_200600_302600_NS6detail15normal_iteratorINS9_10device_ptrIfEEEENS9_16discard_iteratorINS9_11use_defaultEEEfNS9_4plusIvEEfEEDaPvRmT3_T4_T5_mT6_P12ihipStream_tbENKUlT_T0_E_clISt17integral_constantIbLb1EESX_EEDaSS_ST_EUlSS_E_NS1_11comp_targetILNS1_3genE0ELNS1_11target_archE4294967295ELNS1_3gpuE0ELNS1_3repE0EEENS1_30default_config_static_selectorELNS0_4arch9wavefront6targetE1EEEvT1_,"axG",@progbits,_ZN7rocprim17ROCPRIM_400000_NS6detail17trampoline_kernelINS0_14default_configENS1_20scan_config_selectorIfEEZZNS1_9scan_implILNS1_25lookback_scan_determinismE0ELb1ELb1ES3_N6thrust23THRUST_200600_302600_NS6detail15normal_iteratorINS9_10device_ptrIfEEEENS9_16discard_iteratorINS9_11use_defaultEEEfNS9_4plusIvEEfEEDaPvRmT3_T4_T5_mT6_P12ihipStream_tbENKUlT_T0_E_clISt17integral_constantIbLb1EESX_EEDaSS_ST_EUlSS_E_NS1_11comp_targetILNS1_3genE0ELNS1_11target_archE4294967295ELNS1_3gpuE0ELNS1_3repE0EEENS1_30default_config_static_selectorELNS0_4arch9wavefront6targetE1EEEvT1_,comdat
	.protected	_ZN7rocprim17ROCPRIM_400000_NS6detail17trampoline_kernelINS0_14default_configENS1_20scan_config_selectorIfEEZZNS1_9scan_implILNS1_25lookback_scan_determinismE0ELb1ELb1ES3_N6thrust23THRUST_200600_302600_NS6detail15normal_iteratorINS9_10device_ptrIfEEEENS9_16discard_iteratorINS9_11use_defaultEEEfNS9_4plusIvEEfEEDaPvRmT3_T4_T5_mT6_P12ihipStream_tbENKUlT_T0_E_clISt17integral_constantIbLb1EESX_EEDaSS_ST_EUlSS_E_NS1_11comp_targetILNS1_3genE0ELNS1_11target_archE4294967295ELNS1_3gpuE0ELNS1_3repE0EEENS1_30default_config_static_selectorELNS0_4arch9wavefront6targetE1EEEvT1_ ; -- Begin function _ZN7rocprim17ROCPRIM_400000_NS6detail17trampoline_kernelINS0_14default_configENS1_20scan_config_selectorIfEEZZNS1_9scan_implILNS1_25lookback_scan_determinismE0ELb1ELb1ES3_N6thrust23THRUST_200600_302600_NS6detail15normal_iteratorINS9_10device_ptrIfEEEENS9_16discard_iteratorINS9_11use_defaultEEEfNS9_4plusIvEEfEEDaPvRmT3_T4_T5_mT6_P12ihipStream_tbENKUlT_T0_E_clISt17integral_constantIbLb1EESX_EEDaSS_ST_EUlSS_E_NS1_11comp_targetILNS1_3genE0ELNS1_11target_archE4294967295ELNS1_3gpuE0ELNS1_3repE0EEENS1_30default_config_static_selectorELNS0_4arch9wavefront6targetE1EEEvT1_
	.globl	_ZN7rocprim17ROCPRIM_400000_NS6detail17trampoline_kernelINS0_14default_configENS1_20scan_config_selectorIfEEZZNS1_9scan_implILNS1_25lookback_scan_determinismE0ELb1ELb1ES3_N6thrust23THRUST_200600_302600_NS6detail15normal_iteratorINS9_10device_ptrIfEEEENS9_16discard_iteratorINS9_11use_defaultEEEfNS9_4plusIvEEfEEDaPvRmT3_T4_T5_mT6_P12ihipStream_tbENKUlT_T0_E_clISt17integral_constantIbLb1EESX_EEDaSS_ST_EUlSS_E_NS1_11comp_targetILNS1_3genE0ELNS1_11target_archE4294967295ELNS1_3gpuE0ELNS1_3repE0EEENS1_30default_config_static_selectorELNS0_4arch9wavefront6targetE1EEEvT1_
	.p2align	8
	.type	_ZN7rocprim17ROCPRIM_400000_NS6detail17trampoline_kernelINS0_14default_configENS1_20scan_config_selectorIfEEZZNS1_9scan_implILNS1_25lookback_scan_determinismE0ELb1ELb1ES3_N6thrust23THRUST_200600_302600_NS6detail15normal_iteratorINS9_10device_ptrIfEEEENS9_16discard_iteratorINS9_11use_defaultEEEfNS9_4plusIvEEfEEDaPvRmT3_T4_T5_mT6_P12ihipStream_tbENKUlT_T0_E_clISt17integral_constantIbLb1EESX_EEDaSS_ST_EUlSS_E_NS1_11comp_targetILNS1_3genE0ELNS1_11target_archE4294967295ELNS1_3gpuE0ELNS1_3repE0EEENS1_30default_config_static_selectorELNS0_4arch9wavefront6targetE1EEEvT1_,@function
_ZN7rocprim17ROCPRIM_400000_NS6detail17trampoline_kernelINS0_14default_configENS1_20scan_config_selectorIfEEZZNS1_9scan_implILNS1_25lookback_scan_determinismE0ELb1ELb1ES3_N6thrust23THRUST_200600_302600_NS6detail15normal_iteratorINS9_10device_ptrIfEEEENS9_16discard_iteratorINS9_11use_defaultEEEfNS9_4plusIvEEfEEDaPvRmT3_T4_T5_mT6_P12ihipStream_tbENKUlT_T0_E_clISt17integral_constantIbLb1EESX_EEDaSS_ST_EUlSS_E_NS1_11comp_targetILNS1_3genE0ELNS1_11target_archE4294967295ELNS1_3gpuE0ELNS1_3repE0EEENS1_30default_config_static_selectorELNS0_4arch9wavefront6targetE1EEEvT1_: ; @_ZN7rocprim17ROCPRIM_400000_NS6detail17trampoline_kernelINS0_14default_configENS1_20scan_config_selectorIfEEZZNS1_9scan_implILNS1_25lookback_scan_determinismE0ELb1ELb1ES3_N6thrust23THRUST_200600_302600_NS6detail15normal_iteratorINS9_10device_ptrIfEEEENS9_16discard_iteratorINS9_11use_defaultEEEfNS9_4plusIvEEfEEDaPvRmT3_T4_T5_mT6_P12ihipStream_tbENKUlT_T0_E_clISt17integral_constantIbLb1EESX_EEDaSS_ST_EUlSS_E_NS1_11comp_targetILNS1_3genE0ELNS1_11target_archE4294967295ELNS1_3gpuE0ELNS1_3repE0EEENS1_30default_config_static_selectorELNS0_4arch9wavefront6targetE1EEEvT1_
; %bb.0:
	.section	.rodata,"a",@progbits
	.p2align	6, 0x0
	.amdhsa_kernel _ZN7rocprim17ROCPRIM_400000_NS6detail17trampoline_kernelINS0_14default_configENS1_20scan_config_selectorIfEEZZNS1_9scan_implILNS1_25lookback_scan_determinismE0ELb1ELb1ES3_N6thrust23THRUST_200600_302600_NS6detail15normal_iteratorINS9_10device_ptrIfEEEENS9_16discard_iteratorINS9_11use_defaultEEEfNS9_4plusIvEEfEEDaPvRmT3_T4_T5_mT6_P12ihipStream_tbENKUlT_T0_E_clISt17integral_constantIbLb1EESX_EEDaSS_ST_EUlSS_E_NS1_11comp_targetILNS1_3genE0ELNS1_11target_archE4294967295ELNS1_3gpuE0ELNS1_3repE0EEENS1_30default_config_static_selectorELNS0_4arch9wavefront6targetE1EEEvT1_
		.amdhsa_group_segment_fixed_size 0
		.amdhsa_private_segment_fixed_size 0
		.amdhsa_kernarg_size 104
		.amdhsa_user_sgpr_count 6
		.amdhsa_user_sgpr_private_segment_buffer 1
		.amdhsa_user_sgpr_dispatch_ptr 0
		.amdhsa_user_sgpr_queue_ptr 0
		.amdhsa_user_sgpr_kernarg_segment_ptr 1
		.amdhsa_user_sgpr_dispatch_id 0
		.amdhsa_user_sgpr_flat_scratch_init 0
		.amdhsa_user_sgpr_kernarg_preload_length 0
		.amdhsa_user_sgpr_kernarg_preload_offset 0
		.amdhsa_user_sgpr_private_segment_size 0
		.amdhsa_uses_dynamic_stack 0
		.amdhsa_system_sgpr_private_segment_wavefront_offset 0
		.amdhsa_system_sgpr_workgroup_id_x 1
		.amdhsa_system_sgpr_workgroup_id_y 0
		.amdhsa_system_sgpr_workgroup_id_z 0
		.amdhsa_system_sgpr_workgroup_info 0
		.amdhsa_system_vgpr_workitem_id 0
		.amdhsa_next_free_vgpr 1
		.amdhsa_next_free_sgpr 0
		.amdhsa_accum_offset 4
		.amdhsa_reserve_vcc 0
		.amdhsa_reserve_flat_scratch 0
		.amdhsa_float_round_mode_32 0
		.amdhsa_float_round_mode_16_64 0
		.amdhsa_float_denorm_mode_32 3
		.amdhsa_float_denorm_mode_16_64 3
		.amdhsa_dx10_clamp 1
		.amdhsa_ieee_mode 1
		.amdhsa_fp16_overflow 0
		.amdhsa_tg_split 0
		.amdhsa_exception_fp_ieee_invalid_op 0
		.amdhsa_exception_fp_denorm_src 0
		.amdhsa_exception_fp_ieee_div_zero 0
		.amdhsa_exception_fp_ieee_overflow 0
		.amdhsa_exception_fp_ieee_underflow 0
		.amdhsa_exception_fp_ieee_inexact 0
		.amdhsa_exception_int_div_zero 0
	.end_amdhsa_kernel
	.section	.text._ZN7rocprim17ROCPRIM_400000_NS6detail17trampoline_kernelINS0_14default_configENS1_20scan_config_selectorIfEEZZNS1_9scan_implILNS1_25lookback_scan_determinismE0ELb1ELb1ES3_N6thrust23THRUST_200600_302600_NS6detail15normal_iteratorINS9_10device_ptrIfEEEENS9_16discard_iteratorINS9_11use_defaultEEEfNS9_4plusIvEEfEEDaPvRmT3_T4_T5_mT6_P12ihipStream_tbENKUlT_T0_E_clISt17integral_constantIbLb1EESX_EEDaSS_ST_EUlSS_E_NS1_11comp_targetILNS1_3genE0ELNS1_11target_archE4294967295ELNS1_3gpuE0ELNS1_3repE0EEENS1_30default_config_static_selectorELNS0_4arch9wavefront6targetE1EEEvT1_,"axG",@progbits,_ZN7rocprim17ROCPRIM_400000_NS6detail17trampoline_kernelINS0_14default_configENS1_20scan_config_selectorIfEEZZNS1_9scan_implILNS1_25lookback_scan_determinismE0ELb1ELb1ES3_N6thrust23THRUST_200600_302600_NS6detail15normal_iteratorINS9_10device_ptrIfEEEENS9_16discard_iteratorINS9_11use_defaultEEEfNS9_4plusIvEEfEEDaPvRmT3_T4_T5_mT6_P12ihipStream_tbENKUlT_T0_E_clISt17integral_constantIbLb1EESX_EEDaSS_ST_EUlSS_E_NS1_11comp_targetILNS1_3genE0ELNS1_11target_archE4294967295ELNS1_3gpuE0ELNS1_3repE0EEENS1_30default_config_static_selectorELNS0_4arch9wavefront6targetE1EEEvT1_,comdat
.Lfunc_end5096:
	.size	_ZN7rocprim17ROCPRIM_400000_NS6detail17trampoline_kernelINS0_14default_configENS1_20scan_config_selectorIfEEZZNS1_9scan_implILNS1_25lookback_scan_determinismE0ELb1ELb1ES3_N6thrust23THRUST_200600_302600_NS6detail15normal_iteratorINS9_10device_ptrIfEEEENS9_16discard_iteratorINS9_11use_defaultEEEfNS9_4plusIvEEfEEDaPvRmT3_T4_T5_mT6_P12ihipStream_tbENKUlT_T0_E_clISt17integral_constantIbLb1EESX_EEDaSS_ST_EUlSS_E_NS1_11comp_targetILNS1_3genE0ELNS1_11target_archE4294967295ELNS1_3gpuE0ELNS1_3repE0EEENS1_30default_config_static_selectorELNS0_4arch9wavefront6targetE1EEEvT1_, .Lfunc_end5096-_ZN7rocprim17ROCPRIM_400000_NS6detail17trampoline_kernelINS0_14default_configENS1_20scan_config_selectorIfEEZZNS1_9scan_implILNS1_25lookback_scan_determinismE0ELb1ELb1ES3_N6thrust23THRUST_200600_302600_NS6detail15normal_iteratorINS9_10device_ptrIfEEEENS9_16discard_iteratorINS9_11use_defaultEEEfNS9_4plusIvEEfEEDaPvRmT3_T4_T5_mT6_P12ihipStream_tbENKUlT_T0_E_clISt17integral_constantIbLb1EESX_EEDaSS_ST_EUlSS_E_NS1_11comp_targetILNS1_3genE0ELNS1_11target_archE4294967295ELNS1_3gpuE0ELNS1_3repE0EEENS1_30default_config_static_selectorELNS0_4arch9wavefront6targetE1EEEvT1_
                                        ; -- End function
	.section	.AMDGPU.csdata,"",@progbits
; Kernel info:
; codeLenInByte = 0
; NumSgprs: 4
; NumVgprs: 0
; NumAgprs: 0
; TotalNumVgprs: 0
; ScratchSize: 0
; MemoryBound: 0
; FloatMode: 240
; IeeeMode: 1
; LDSByteSize: 0 bytes/workgroup (compile time only)
; SGPRBlocks: 0
; VGPRBlocks: 0
; NumSGPRsForWavesPerEU: 4
; NumVGPRsForWavesPerEU: 1
; AccumOffset: 4
; Occupancy: 8
; WaveLimiterHint : 0
; COMPUTE_PGM_RSRC2:SCRATCH_EN: 0
; COMPUTE_PGM_RSRC2:USER_SGPR: 6
; COMPUTE_PGM_RSRC2:TRAP_HANDLER: 0
; COMPUTE_PGM_RSRC2:TGID_X_EN: 1
; COMPUTE_PGM_RSRC2:TGID_Y_EN: 0
; COMPUTE_PGM_RSRC2:TGID_Z_EN: 0
; COMPUTE_PGM_RSRC2:TIDIG_COMP_CNT: 0
; COMPUTE_PGM_RSRC3_GFX90A:ACCUM_OFFSET: 0
; COMPUTE_PGM_RSRC3_GFX90A:TG_SPLIT: 0
	.section	.text._ZN7rocprim17ROCPRIM_400000_NS6detail17trampoline_kernelINS0_14default_configENS1_20scan_config_selectorIfEEZZNS1_9scan_implILNS1_25lookback_scan_determinismE0ELb1ELb1ES3_N6thrust23THRUST_200600_302600_NS6detail15normal_iteratorINS9_10device_ptrIfEEEENS9_16discard_iteratorINS9_11use_defaultEEEfNS9_4plusIvEEfEEDaPvRmT3_T4_T5_mT6_P12ihipStream_tbENKUlT_T0_E_clISt17integral_constantIbLb1EESX_EEDaSS_ST_EUlSS_E_NS1_11comp_targetILNS1_3genE5ELNS1_11target_archE942ELNS1_3gpuE9ELNS1_3repE0EEENS1_30default_config_static_selectorELNS0_4arch9wavefront6targetE1EEEvT1_,"axG",@progbits,_ZN7rocprim17ROCPRIM_400000_NS6detail17trampoline_kernelINS0_14default_configENS1_20scan_config_selectorIfEEZZNS1_9scan_implILNS1_25lookback_scan_determinismE0ELb1ELb1ES3_N6thrust23THRUST_200600_302600_NS6detail15normal_iteratorINS9_10device_ptrIfEEEENS9_16discard_iteratorINS9_11use_defaultEEEfNS9_4plusIvEEfEEDaPvRmT3_T4_T5_mT6_P12ihipStream_tbENKUlT_T0_E_clISt17integral_constantIbLb1EESX_EEDaSS_ST_EUlSS_E_NS1_11comp_targetILNS1_3genE5ELNS1_11target_archE942ELNS1_3gpuE9ELNS1_3repE0EEENS1_30default_config_static_selectorELNS0_4arch9wavefront6targetE1EEEvT1_,comdat
	.protected	_ZN7rocprim17ROCPRIM_400000_NS6detail17trampoline_kernelINS0_14default_configENS1_20scan_config_selectorIfEEZZNS1_9scan_implILNS1_25lookback_scan_determinismE0ELb1ELb1ES3_N6thrust23THRUST_200600_302600_NS6detail15normal_iteratorINS9_10device_ptrIfEEEENS9_16discard_iteratorINS9_11use_defaultEEEfNS9_4plusIvEEfEEDaPvRmT3_T4_T5_mT6_P12ihipStream_tbENKUlT_T0_E_clISt17integral_constantIbLb1EESX_EEDaSS_ST_EUlSS_E_NS1_11comp_targetILNS1_3genE5ELNS1_11target_archE942ELNS1_3gpuE9ELNS1_3repE0EEENS1_30default_config_static_selectorELNS0_4arch9wavefront6targetE1EEEvT1_ ; -- Begin function _ZN7rocprim17ROCPRIM_400000_NS6detail17trampoline_kernelINS0_14default_configENS1_20scan_config_selectorIfEEZZNS1_9scan_implILNS1_25lookback_scan_determinismE0ELb1ELb1ES3_N6thrust23THRUST_200600_302600_NS6detail15normal_iteratorINS9_10device_ptrIfEEEENS9_16discard_iteratorINS9_11use_defaultEEEfNS9_4plusIvEEfEEDaPvRmT3_T4_T5_mT6_P12ihipStream_tbENKUlT_T0_E_clISt17integral_constantIbLb1EESX_EEDaSS_ST_EUlSS_E_NS1_11comp_targetILNS1_3genE5ELNS1_11target_archE942ELNS1_3gpuE9ELNS1_3repE0EEENS1_30default_config_static_selectorELNS0_4arch9wavefront6targetE1EEEvT1_
	.globl	_ZN7rocprim17ROCPRIM_400000_NS6detail17trampoline_kernelINS0_14default_configENS1_20scan_config_selectorIfEEZZNS1_9scan_implILNS1_25lookback_scan_determinismE0ELb1ELb1ES3_N6thrust23THRUST_200600_302600_NS6detail15normal_iteratorINS9_10device_ptrIfEEEENS9_16discard_iteratorINS9_11use_defaultEEEfNS9_4plusIvEEfEEDaPvRmT3_T4_T5_mT6_P12ihipStream_tbENKUlT_T0_E_clISt17integral_constantIbLb1EESX_EEDaSS_ST_EUlSS_E_NS1_11comp_targetILNS1_3genE5ELNS1_11target_archE942ELNS1_3gpuE9ELNS1_3repE0EEENS1_30default_config_static_selectorELNS0_4arch9wavefront6targetE1EEEvT1_
	.p2align	8
	.type	_ZN7rocprim17ROCPRIM_400000_NS6detail17trampoline_kernelINS0_14default_configENS1_20scan_config_selectorIfEEZZNS1_9scan_implILNS1_25lookback_scan_determinismE0ELb1ELb1ES3_N6thrust23THRUST_200600_302600_NS6detail15normal_iteratorINS9_10device_ptrIfEEEENS9_16discard_iteratorINS9_11use_defaultEEEfNS9_4plusIvEEfEEDaPvRmT3_T4_T5_mT6_P12ihipStream_tbENKUlT_T0_E_clISt17integral_constantIbLb1EESX_EEDaSS_ST_EUlSS_E_NS1_11comp_targetILNS1_3genE5ELNS1_11target_archE942ELNS1_3gpuE9ELNS1_3repE0EEENS1_30default_config_static_selectorELNS0_4arch9wavefront6targetE1EEEvT1_,@function
_ZN7rocprim17ROCPRIM_400000_NS6detail17trampoline_kernelINS0_14default_configENS1_20scan_config_selectorIfEEZZNS1_9scan_implILNS1_25lookback_scan_determinismE0ELb1ELb1ES3_N6thrust23THRUST_200600_302600_NS6detail15normal_iteratorINS9_10device_ptrIfEEEENS9_16discard_iteratorINS9_11use_defaultEEEfNS9_4plusIvEEfEEDaPvRmT3_T4_T5_mT6_P12ihipStream_tbENKUlT_T0_E_clISt17integral_constantIbLb1EESX_EEDaSS_ST_EUlSS_E_NS1_11comp_targetILNS1_3genE5ELNS1_11target_archE942ELNS1_3gpuE9ELNS1_3repE0EEENS1_30default_config_static_selectorELNS0_4arch9wavefront6targetE1EEEvT1_: ; @_ZN7rocprim17ROCPRIM_400000_NS6detail17trampoline_kernelINS0_14default_configENS1_20scan_config_selectorIfEEZZNS1_9scan_implILNS1_25lookback_scan_determinismE0ELb1ELb1ES3_N6thrust23THRUST_200600_302600_NS6detail15normal_iteratorINS9_10device_ptrIfEEEENS9_16discard_iteratorINS9_11use_defaultEEEfNS9_4plusIvEEfEEDaPvRmT3_T4_T5_mT6_P12ihipStream_tbENKUlT_T0_E_clISt17integral_constantIbLb1EESX_EEDaSS_ST_EUlSS_E_NS1_11comp_targetILNS1_3genE5ELNS1_11target_archE942ELNS1_3gpuE9ELNS1_3repE0EEENS1_30default_config_static_selectorELNS0_4arch9wavefront6targetE1EEEvT1_
; %bb.0:
	.section	.rodata,"a",@progbits
	.p2align	6, 0x0
	.amdhsa_kernel _ZN7rocprim17ROCPRIM_400000_NS6detail17trampoline_kernelINS0_14default_configENS1_20scan_config_selectorIfEEZZNS1_9scan_implILNS1_25lookback_scan_determinismE0ELb1ELb1ES3_N6thrust23THRUST_200600_302600_NS6detail15normal_iteratorINS9_10device_ptrIfEEEENS9_16discard_iteratorINS9_11use_defaultEEEfNS9_4plusIvEEfEEDaPvRmT3_T4_T5_mT6_P12ihipStream_tbENKUlT_T0_E_clISt17integral_constantIbLb1EESX_EEDaSS_ST_EUlSS_E_NS1_11comp_targetILNS1_3genE5ELNS1_11target_archE942ELNS1_3gpuE9ELNS1_3repE0EEENS1_30default_config_static_selectorELNS0_4arch9wavefront6targetE1EEEvT1_
		.amdhsa_group_segment_fixed_size 0
		.amdhsa_private_segment_fixed_size 0
		.amdhsa_kernarg_size 104
		.amdhsa_user_sgpr_count 6
		.amdhsa_user_sgpr_private_segment_buffer 1
		.amdhsa_user_sgpr_dispatch_ptr 0
		.amdhsa_user_sgpr_queue_ptr 0
		.amdhsa_user_sgpr_kernarg_segment_ptr 1
		.amdhsa_user_sgpr_dispatch_id 0
		.amdhsa_user_sgpr_flat_scratch_init 0
		.amdhsa_user_sgpr_kernarg_preload_length 0
		.amdhsa_user_sgpr_kernarg_preload_offset 0
		.amdhsa_user_sgpr_private_segment_size 0
		.amdhsa_uses_dynamic_stack 0
		.amdhsa_system_sgpr_private_segment_wavefront_offset 0
		.amdhsa_system_sgpr_workgroup_id_x 1
		.amdhsa_system_sgpr_workgroup_id_y 0
		.amdhsa_system_sgpr_workgroup_id_z 0
		.amdhsa_system_sgpr_workgroup_info 0
		.amdhsa_system_vgpr_workitem_id 0
		.amdhsa_next_free_vgpr 1
		.amdhsa_next_free_sgpr 0
		.amdhsa_accum_offset 4
		.amdhsa_reserve_vcc 0
		.amdhsa_reserve_flat_scratch 0
		.amdhsa_float_round_mode_32 0
		.amdhsa_float_round_mode_16_64 0
		.amdhsa_float_denorm_mode_32 3
		.amdhsa_float_denorm_mode_16_64 3
		.amdhsa_dx10_clamp 1
		.amdhsa_ieee_mode 1
		.amdhsa_fp16_overflow 0
		.amdhsa_tg_split 0
		.amdhsa_exception_fp_ieee_invalid_op 0
		.amdhsa_exception_fp_denorm_src 0
		.amdhsa_exception_fp_ieee_div_zero 0
		.amdhsa_exception_fp_ieee_overflow 0
		.amdhsa_exception_fp_ieee_underflow 0
		.amdhsa_exception_fp_ieee_inexact 0
		.amdhsa_exception_int_div_zero 0
	.end_amdhsa_kernel
	.section	.text._ZN7rocprim17ROCPRIM_400000_NS6detail17trampoline_kernelINS0_14default_configENS1_20scan_config_selectorIfEEZZNS1_9scan_implILNS1_25lookback_scan_determinismE0ELb1ELb1ES3_N6thrust23THRUST_200600_302600_NS6detail15normal_iteratorINS9_10device_ptrIfEEEENS9_16discard_iteratorINS9_11use_defaultEEEfNS9_4plusIvEEfEEDaPvRmT3_T4_T5_mT6_P12ihipStream_tbENKUlT_T0_E_clISt17integral_constantIbLb1EESX_EEDaSS_ST_EUlSS_E_NS1_11comp_targetILNS1_3genE5ELNS1_11target_archE942ELNS1_3gpuE9ELNS1_3repE0EEENS1_30default_config_static_selectorELNS0_4arch9wavefront6targetE1EEEvT1_,"axG",@progbits,_ZN7rocprim17ROCPRIM_400000_NS6detail17trampoline_kernelINS0_14default_configENS1_20scan_config_selectorIfEEZZNS1_9scan_implILNS1_25lookback_scan_determinismE0ELb1ELb1ES3_N6thrust23THRUST_200600_302600_NS6detail15normal_iteratorINS9_10device_ptrIfEEEENS9_16discard_iteratorINS9_11use_defaultEEEfNS9_4plusIvEEfEEDaPvRmT3_T4_T5_mT6_P12ihipStream_tbENKUlT_T0_E_clISt17integral_constantIbLb1EESX_EEDaSS_ST_EUlSS_E_NS1_11comp_targetILNS1_3genE5ELNS1_11target_archE942ELNS1_3gpuE9ELNS1_3repE0EEENS1_30default_config_static_selectorELNS0_4arch9wavefront6targetE1EEEvT1_,comdat
.Lfunc_end5097:
	.size	_ZN7rocprim17ROCPRIM_400000_NS6detail17trampoline_kernelINS0_14default_configENS1_20scan_config_selectorIfEEZZNS1_9scan_implILNS1_25lookback_scan_determinismE0ELb1ELb1ES3_N6thrust23THRUST_200600_302600_NS6detail15normal_iteratorINS9_10device_ptrIfEEEENS9_16discard_iteratorINS9_11use_defaultEEEfNS9_4plusIvEEfEEDaPvRmT3_T4_T5_mT6_P12ihipStream_tbENKUlT_T0_E_clISt17integral_constantIbLb1EESX_EEDaSS_ST_EUlSS_E_NS1_11comp_targetILNS1_3genE5ELNS1_11target_archE942ELNS1_3gpuE9ELNS1_3repE0EEENS1_30default_config_static_selectorELNS0_4arch9wavefront6targetE1EEEvT1_, .Lfunc_end5097-_ZN7rocprim17ROCPRIM_400000_NS6detail17trampoline_kernelINS0_14default_configENS1_20scan_config_selectorIfEEZZNS1_9scan_implILNS1_25lookback_scan_determinismE0ELb1ELb1ES3_N6thrust23THRUST_200600_302600_NS6detail15normal_iteratorINS9_10device_ptrIfEEEENS9_16discard_iteratorINS9_11use_defaultEEEfNS9_4plusIvEEfEEDaPvRmT3_T4_T5_mT6_P12ihipStream_tbENKUlT_T0_E_clISt17integral_constantIbLb1EESX_EEDaSS_ST_EUlSS_E_NS1_11comp_targetILNS1_3genE5ELNS1_11target_archE942ELNS1_3gpuE9ELNS1_3repE0EEENS1_30default_config_static_selectorELNS0_4arch9wavefront6targetE1EEEvT1_
                                        ; -- End function
	.section	.AMDGPU.csdata,"",@progbits
; Kernel info:
; codeLenInByte = 0
; NumSgprs: 4
; NumVgprs: 0
; NumAgprs: 0
; TotalNumVgprs: 0
; ScratchSize: 0
; MemoryBound: 0
; FloatMode: 240
; IeeeMode: 1
; LDSByteSize: 0 bytes/workgroup (compile time only)
; SGPRBlocks: 0
; VGPRBlocks: 0
; NumSGPRsForWavesPerEU: 4
; NumVGPRsForWavesPerEU: 1
; AccumOffset: 4
; Occupancy: 8
; WaveLimiterHint : 0
; COMPUTE_PGM_RSRC2:SCRATCH_EN: 0
; COMPUTE_PGM_RSRC2:USER_SGPR: 6
; COMPUTE_PGM_RSRC2:TRAP_HANDLER: 0
; COMPUTE_PGM_RSRC2:TGID_X_EN: 1
; COMPUTE_PGM_RSRC2:TGID_Y_EN: 0
; COMPUTE_PGM_RSRC2:TGID_Z_EN: 0
; COMPUTE_PGM_RSRC2:TIDIG_COMP_CNT: 0
; COMPUTE_PGM_RSRC3_GFX90A:ACCUM_OFFSET: 0
; COMPUTE_PGM_RSRC3_GFX90A:TG_SPLIT: 0
	.section	.text._ZN7rocprim17ROCPRIM_400000_NS6detail17trampoline_kernelINS0_14default_configENS1_20scan_config_selectorIfEEZZNS1_9scan_implILNS1_25lookback_scan_determinismE0ELb1ELb1ES3_N6thrust23THRUST_200600_302600_NS6detail15normal_iteratorINS9_10device_ptrIfEEEENS9_16discard_iteratorINS9_11use_defaultEEEfNS9_4plusIvEEfEEDaPvRmT3_T4_T5_mT6_P12ihipStream_tbENKUlT_T0_E_clISt17integral_constantIbLb1EESX_EEDaSS_ST_EUlSS_E_NS1_11comp_targetILNS1_3genE4ELNS1_11target_archE910ELNS1_3gpuE8ELNS1_3repE0EEENS1_30default_config_static_selectorELNS0_4arch9wavefront6targetE1EEEvT1_,"axG",@progbits,_ZN7rocprim17ROCPRIM_400000_NS6detail17trampoline_kernelINS0_14default_configENS1_20scan_config_selectorIfEEZZNS1_9scan_implILNS1_25lookback_scan_determinismE0ELb1ELb1ES3_N6thrust23THRUST_200600_302600_NS6detail15normal_iteratorINS9_10device_ptrIfEEEENS9_16discard_iteratorINS9_11use_defaultEEEfNS9_4plusIvEEfEEDaPvRmT3_T4_T5_mT6_P12ihipStream_tbENKUlT_T0_E_clISt17integral_constantIbLb1EESX_EEDaSS_ST_EUlSS_E_NS1_11comp_targetILNS1_3genE4ELNS1_11target_archE910ELNS1_3gpuE8ELNS1_3repE0EEENS1_30default_config_static_selectorELNS0_4arch9wavefront6targetE1EEEvT1_,comdat
	.protected	_ZN7rocprim17ROCPRIM_400000_NS6detail17trampoline_kernelINS0_14default_configENS1_20scan_config_selectorIfEEZZNS1_9scan_implILNS1_25lookback_scan_determinismE0ELb1ELb1ES3_N6thrust23THRUST_200600_302600_NS6detail15normal_iteratorINS9_10device_ptrIfEEEENS9_16discard_iteratorINS9_11use_defaultEEEfNS9_4plusIvEEfEEDaPvRmT3_T4_T5_mT6_P12ihipStream_tbENKUlT_T0_E_clISt17integral_constantIbLb1EESX_EEDaSS_ST_EUlSS_E_NS1_11comp_targetILNS1_3genE4ELNS1_11target_archE910ELNS1_3gpuE8ELNS1_3repE0EEENS1_30default_config_static_selectorELNS0_4arch9wavefront6targetE1EEEvT1_ ; -- Begin function _ZN7rocprim17ROCPRIM_400000_NS6detail17trampoline_kernelINS0_14default_configENS1_20scan_config_selectorIfEEZZNS1_9scan_implILNS1_25lookback_scan_determinismE0ELb1ELb1ES3_N6thrust23THRUST_200600_302600_NS6detail15normal_iteratorINS9_10device_ptrIfEEEENS9_16discard_iteratorINS9_11use_defaultEEEfNS9_4plusIvEEfEEDaPvRmT3_T4_T5_mT6_P12ihipStream_tbENKUlT_T0_E_clISt17integral_constantIbLb1EESX_EEDaSS_ST_EUlSS_E_NS1_11comp_targetILNS1_3genE4ELNS1_11target_archE910ELNS1_3gpuE8ELNS1_3repE0EEENS1_30default_config_static_selectorELNS0_4arch9wavefront6targetE1EEEvT1_
	.globl	_ZN7rocprim17ROCPRIM_400000_NS6detail17trampoline_kernelINS0_14default_configENS1_20scan_config_selectorIfEEZZNS1_9scan_implILNS1_25lookback_scan_determinismE0ELb1ELb1ES3_N6thrust23THRUST_200600_302600_NS6detail15normal_iteratorINS9_10device_ptrIfEEEENS9_16discard_iteratorINS9_11use_defaultEEEfNS9_4plusIvEEfEEDaPvRmT3_T4_T5_mT6_P12ihipStream_tbENKUlT_T0_E_clISt17integral_constantIbLb1EESX_EEDaSS_ST_EUlSS_E_NS1_11comp_targetILNS1_3genE4ELNS1_11target_archE910ELNS1_3gpuE8ELNS1_3repE0EEENS1_30default_config_static_selectorELNS0_4arch9wavefront6targetE1EEEvT1_
	.p2align	8
	.type	_ZN7rocprim17ROCPRIM_400000_NS6detail17trampoline_kernelINS0_14default_configENS1_20scan_config_selectorIfEEZZNS1_9scan_implILNS1_25lookback_scan_determinismE0ELb1ELb1ES3_N6thrust23THRUST_200600_302600_NS6detail15normal_iteratorINS9_10device_ptrIfEEEENS9_16discard_iteratorINS9_11use_defaultEEEfNS9_4plusIvEEfEEDaPvRmT3_T4_T5_mT6_P12ihipStream_tbENKUlT_T0_E_clISt17integral_constantIbLb1EESX_EEDaSS_ST_EUlSS_E_NS1_11comp_targetILNS1_3genE4ELNS1_11target_archE910ELNS1_3gpuE8ELNS1_3repE0EEENS1_30default_config_static_selectorELNS0_4arch9wavefront6targetE1EEEvT1_,@function
_ZN7rocprim17ROCPRIM_400000_NS6detail17trampoline_kernelINS0_14default_configENS1_20scan_config_selectorIfEEZZNS1_9scan_implILNS1_25lookback_scan_determinismE0ELb1ELb1ES3_N6thrust23THRUST_200600_302600_NS6detail15normal_iteratorINS9_10device_ptrIfEEEENS9_16discard_iteratorINS9_11use_defaultEEEfNS9_4plusIvEEfEEDaPvRmT3_T4_T5_mT6_P12ihipStream_tbENKUlT_T0_E_clISt17integral_constantIbLb1EESX_EEDaSS_ST_EUlSS_E_NS1_11comp_targetILNS1_3genE4ELNS1_11target_archE910ELNS1_3gpuE8ELNS1_3repE0EEENS1_30default_config_static_selectorELNS0_4arch9wavefront6targetE1EEEvT1_: ; @_ZN7rocprim17ROCPRIM_400000_NS6detail17trampoline_kernelINS0_14default_configENS1_20scan_config_selectorIfEEZZNS1_9scan_implILNS1_25lookback_scan_determinismE0ELb1ELb1ES3_N6thrust23THRUST_200600_302600_NS6detail15normal_iteratorINS9_10device_ptrIfEEEENS9_16discard_iteratorINS9_11use_defaultEEEfNS9_4plusIvEEfEEDaPvRmT3_T4_T5_mT6_P12ihipStream_tbENKUlT_T0_E_clISt17integral_constantIbLb1EESX_EEDaSS_ST_EUlSS_E_NS1_11comp_targetILNS1_3genE4ELNS1_11target_archE910ELNS1_3gpuE8ELNS1_3repE0EEENS1_30default_config_static_selectorELNS0_4arch9wavefront6targetE1EEEvT1_
; %bb.0:
	s_load_dwordx2 s[6:7], s[4:5], 0x20
	s_load_dword s30, s[4:5], 0x28
	s_load_dwordx2 s[14:15], s[4:5], 0x30
	v_cmp_ne_u32_e64 s[2:3], 0, v0
	v_cmp_eq_u32_e64 s[0:1], 0, v0
	s_and_saveexec_b64 s[8:9], s[0:1]
	s_cbranch_execz .LBB5098_4
; %bb.1:
	s_mov_b64 s[12:13], exec
	v_mbcnt_lo_u32_b32 v1, s12, 0
	v_mbcnt_hi_u32_b32 v1, s13, v1
	v_cmp_eq_u32_e32 vcc, 0, v1
                                        ; implicit-def: $vgpr2
	s_and_saveexec_b64 s[10:11], vcc
	s_cbranch_execz .LBB5098_3
; %bb.2:
	s_load_dwordx2 s[16:17], s[4:5], 0x60
	s_bcnt1_i32_b64 s12, s[12:13]
	v_mov_b32_e32 v2, 0
	v_mov_b32_e32 v3, s12
	s_waitcnt lgkmcnt(0)
	global_atomic_add v2, v2, v3, s[16:17] glc
.LBB5098_3:
	s_or_b64 exec, exec, s[10:11]
	s_waitcnt vmcnt(0)
	v_readfirstlane_b32 s10, v2
	v_add_u32_e32 v1, s10, v1
	v_mov_b32_e32 v2, 0
	ds_write_b32 v2, v1
.LBB5098_4:
	s_or_b64 exec, exec, s[8:9]
	v_mov_b32_e32 v3, 0
	s_load_dwordx4 s[8:11], s[4:5], 0x0
	s_load_dword s12, s[4:5], 0x38
	s_load_dwordx8 s[16:23], s[4:5], 0x40
	s_waitcnt lgkmcnt(0)
	s_barrier
	ds_read_b32 v1, v3
	s_lshl_b64 s[4:5], s[10:11], 2
	s_add_u32 s31, s8, s4
	s_movk_i32 s4, 0x700
	s_addc_u32 s33, s9, s5
	s_waitcnt lgkmcnt(0)
	v_mul_lo_u32 v2, v1, s4
	s_add_i32 s4, s12, -1
	s_mul_i32 s5, s4, 0x700
	s_sub_u32 s28, s6, s5
	v_readfirstlane_b32 s34, v1
	s_subb_u32 s29, s7, 0
	v_lshlrev_b64 v[2:3], 2, v[2:3]
	s_cmp_lg_u32 s34, s4
	v_mov_b32_e32 v1, s33
	v_add_co_u32_e32 v18, vcc, s31, v2
	s_cselect_b64 s[24:25], -1, 0
	v_addc_co_u32_e32 v19, vcc, v1, v3, vcc
	s_mov_b64 s[4:5], -1
	s_and_b64 vcc, exec, s[24:25]
	v_lshlrev_b32_e32 v20, 2, v0
	s_barrier
	s_cbranch_vccz .LBB5098_6
; %bb.5:
	v_add_co_u32_e32 v2, vcc, v18, v20
	v_addc_co_u32_e32 v3, vcc, 0, v19, vcc
	flat_load_dword v1, v[2:3]
	flat_load_dword v4, v[2:3] offset:512
	flat_load_dword v5, v[2:3] offset:1024
	;; [unrolled: 1-line block ×7, first 2 shown]
	v_add_co_u32_e32 v2, vcc, 0x1000, v2
	v_addc_co_u32_e32 v3, vcc, 0, v3, vcc
	flat_load_dword v11, v[2:3]
	flat_load_dword v12, v[2:3] offset:512
	flat_load_dword v13, v[2:3] offset:1024
	;; [unrolled: 1-line block ×5, first 2 shown]
	s_mov_b64 s[4:5], 0
	s_waitcnt vmcnt(0) lgkmcnt(0)
	ds_write2st64_b32 v20, v1, v4 offset1:2
	ds_write2st64_b32 v20, v5, v6 offset0:4 offset1:6
	ds_write2st64_b32 v20, v7, v8 offset0:8 offset1:10
	;; [unrolled: 1-line block ×6, first 2 shown]
	s_waitcnt lgkmcnt(0)
	s_barrier
.LBB5098_6:
	s_andn2_b64 vcc, exec, s[4:5]
	s_cbranch_vccnz .LBB5098_36
; %bb.7:
	flat_load_dword v1, v[18:19]
	v_cmp_gt_u32_e32 vcc, s28, v0
	s_waitcnt vmcnt(0) lgkmcnt(0)
	v_mov_b32_e32 v2, v1
	v_mov_b32_e32 v3, v1
	;; [unrolled: 1-line block ×12, first 2 shown]
	v_pk_mov_b32 v[16:17], v[14:15], v[14:15] op_sel:[0,1]
	v_pk_mov_b32 v[14:15], v[12:13], v[12:13] op_sel:[0,1]
	;; [unrolled: 1-line block ×8, first 2 shown]
	s_and_saveexec_b64 s[4:5], vcc
	s_cbranch_execz .LBB5098_9
; %bb.8:
	v_add_co_u32_e32 v2, vcc, v18, v20
	v_addc_co_u32_e32 v3, vcc, 0, v19, vcc
	flat_load_dword v21, v[2:3]
	v_mov_b32_e32 v2, v1
	v_mov_b32_e32 v3, v1
	;; [unrolled: 1-line block ×12, first 2 shown]
	v_pk_mov_b32 v[16:17], v[14:15], v[14:15] op_sel:[0,1]
	v_pk_mov_b32 v[14:15], v[12:13], v[12:13] op_sel:[0,1]
	;; [unrolled: 1-line block ×8, first 2 shown]
	s_waitcnt vmcnt(0) lgkmcnt(0)
	v_mov_b32_e32 v1, v21
.LBB5098_9:
	s_or_b64 exec, exec, s[4:5]
	v_or_b32_e32 v2, 0x80, v0
	v_cmp_gt_u32_e32 vcc, s28, v2
	s_and_saveexec_b64 s[4:5], vcc
	s_cbranch_execz .LBB5098_11
; %bb.10:
	v_add_co_u32_e32 v2, vcc, v18, v20
	v_addc_co_u32_e32 v3, vcc, 0, v19, vcc
	flat_load_dword v3, v[2:3] offset:512
.LBB5098_11:
	s_or_b64 exec, exec, s[4:5]
	v_or_b32_e32 v2, 0x100, v0
	v_cmp_gt_u32_e32 vcc, s28, v2
	s_and_saveexec_b64 s[4:5], vcc
	s_cbranch_execz .LBB5098_13
; %bb.12:
	v_add_co_u32_e32 v16, vcc, v18, v20
	v_addc_co_u32_e32 v17, vcc, 0, v19, vcc
	flat_load_dword v4, v[16:17] offset:1024
.LBB5098_13:
	s_or_b64 exec, exec, s[4:5]
	v_or_b32_e32 v2, 0x180, v0
	v_cmp_gt_u32_e32 vcc, s28, v2
	s_and_saveexec_b64 s[4:5], vcc
	s_cbranch_execz .LBB5098_15
; %bb.14:
	v_add_co_u32_e32 v16, vcc, v18, v20
	v_addc_co_u32_e32 v17, vcc, 0, v19, vcc
	flat_load_dword v5, v[16:17] offset:1536
.LBB5098_15:
	s_or_b64 exec, exec, s[4:5]
	v_or_b32_e32 v2, 0x200, v0
	v_cmp_gt_u32_e32 vcc, s28, v2
	s_and_saveexec_b64 s[4:5], vcc
	s_cbranch_execz .LBB5098_17
; %bb.16:
	v_add_co_u32_e32 v16, vcc, v18, v20
	v_addc_co_u32_e32 v17, vcc, 0, v19, vcc
	flat_load_dword v6, v[16:17] offset:2048
.LBB5098_17:
	s_or_b64 exec, exec, s[4:5]
	v_or_b32_e32 v2, 0x280, v0
	v_cmp_gt_u32_e32 vcc, s28, v2
	s_and_saveexec_b64 s[4:5], vcc
	s_cbranch_execz .LBB5098_19
; %bb.18:
	v_add_co_u32_e32 v16, vcc, v18, v20
	v_addc_co_u32_e32 v17, vcc, 0, v19, vcc
	flat_load_dword v7, v[16:17] offset:2560
.LBB5098_19:
	s_or_b64 exec, exec, s[4:5]
	v_or_b32_e32 v2, 0x300, v0
	v_cmp_gt_u32_e32 vcc, s28, v2
	s_and_saveexec_b64 s[4:5], vcc
	s_cbranch_execz .LBB5098_21
; %bb.20:
	v_add_co_u32_e32 v16, vcc, v18, v20
	v_addc_co_u32_e32 v17, vcc, 0, v19, vcc
	flat_load_dword v8, v[16:17] offset:3072
.LBB5098_21:
	s_or_b64 exec, exec, s[4:5]
	v_or_b32_e32 v2, 0x380, v0
	v_cmp_gt_u32_e32 vcc, s28, v2
	s_and_saveexec_b64 s[4:5], vcc
	s_cbranch_execz .LBB5098_23
; %bb.22:
	v_add_co_u32_e32 v16, vcc, v18, v20
	v_addc_co_u32_e32 v17, vcc, 0, v19, vcc
	flat_load_dword v9, v[16:17] offset:3584
.LBB5098_23:
	s_or_b64 exec, exec, s[4:5]
	v_or_b32_e32 v2, 0x400, v0
	v_cmp_gt_u32_e32 vcc, s28, v2
	s_and_saveexec_b64 s[4:5], vcc
	s_cbranch_execz .LBB5098_25
; %bb.24:
	v_lshlrev_b32_e32 v2, 2, v2
	v_add_co_u32_e32 v16, vcc, v18, v2
	v_addc_co_u32_e32 v17, vcc, 0, v19, vcc
	flat_load_dword v10, v[16:17]
.LBB5098_25:
	s_or_b64 exec, exec, s[4:5]
	v_or_b32_e32 v2, 0x480, v0
	v_cmp_gt_u32_e32 vcc, s28, v2
	s_and_saveexec_b64 s[4:5], vcc
	s_cbranch_execz .LBB5098_27
; %bb.26:
	v_lshlrev_b32_e32 v2, 2, v2
	v_add_co_u32_e32 v16, vcc, v18, v2
	v_addc_co_u32_e32 v17, vcc, 0, v19, vcc
	flat_load_dword v11, v[16:17]
.LBB5098_27:
	s_or_b64 exec, exec, s[4:5]
	v_or_b32_e32 v2, 0x500, v0
	v_cmp_gt_u32_e32 vcc, s28, v2
	s_and_saveexec_b64 s[4:5], vcc
	s_cbranch_execz .LBB5098_29
; %bb.28:
	v_lshlrev_b32_e32 v2, 2, v2
	v_add_co_u32_e32 v16, vcc, v18, v2
	v_addc_co_u32_e32 v17, vcc, 0, v19, vcc
	flat_load_dword v12, v[16:17]
.LBB5098_29:
	s_or_b64 exec, exec, s[4:5]
	v_or_b32_e32 v2, 0x580, v0
	v_cmp_gt_u32_e32 vcc, s28, v2
	s_and_saveexec_b64 s[4:5], vcc
	s_cbranch_execz .LBB5098_31
; %bb.30:
	v_lshlrev_b32_e32 v2, 2, v2
	v_add_co_u32_e32 v16, vcc, v18, v2
	v_addc_co_u32_e32 v17, vcc, 0, v19, vcc
	flat_load_dword v13, v[16:17]
.LBB5098_31:
	s_or_b64 exec, exec, s[4:5]
	v_or_b32_e32 v2, 0x600, v0
	v_cmp_gt_u32_e32 vcc, s28, v2
	s_and_saveexec_b64 s[4:5], vcc
	s_cbranch_execz .LBB5098_33
; %bb.32:
	v_lshlrev_b32_e32 v2, 2, v2
	v_add_co_u32_e32 v16, vcc, v18, v2
	v_addc_co_u32_e32 v17, vcc, 0, v19, vcc
	flat_load_dword v14, v[16:17]
.LBB5098_33:
	s_or_b64 exec, exec, s[4:5]
	v_or_b32_e32 v2, 0x680, v0
	v_cmp_gt_u32_e32 vcc, s28, v2
	s_and_saveexec_b64 s[4:5], vcc
	s_cbranch_execz .LBB5098_35
; %bb.34:
	v_lshlrev_b32_e32 v2, 2, v2
	v_add_co_u32_e32 v16, vcc, v18, v2
	v_addc_co_u32_e32 v17, vcc, 0, v19, vcc
	flat_load_dword v15, v[16:17]
.LBB5098_35:
	s_or_b64 exec, exec, s[4:5]
	s_waitcnt vmcnt(0) lgkmcnt(0)
	ds_write2st64_b32 v20, v1, v3 offset1:2
	ds_write2st64_b32 v20, v4, v5 offset0:4 offset1:6
	ds_write2st64_b32 v20, v6, v7 offset0:8 offset1:10
	;; [unrolled: 1-line block ×6, first 2 shown]
	s_waitcnt lgkmcnt(0)
	s_barrier
.LBB5098_36:
	v_mul_u32_u24_e32 v32, 14, v0
	v_lshlrev_b32_e32 v33, 2, v32
	ds_read2_b64 v[26:29], v33 offset1:1
	ds_read2_b64 v[22:25], v33 offset0:2 offset1:3
	ds_read2_b64 v[18:21], v33 offset0:4 offset1:5
	ds_read_b64 v[30:31], v33 offset:48
	s_cmp_lg_u32 s34, 0
	s_waitcnt lgkmcnt(3)
	v_add_f32_e32 v34, v26, v27
	v_lshrrev_b32_e32 v1, 5, v0
	v_cmp_gt_u32_e32 vcc, 64, v0
	s_waitcnt lgkmcnt(0)
	s_barrier
	s_cbranch_scc0 .LBB5098_65
; %bb.37:
	v_add_f32_e32 v2, v28, v34
	v_add_f32_e32 v2, v29, v2
	;; [unrolled: 1-line block ×12, first 2 shown]
	v_add_lshl_u32 v2, v1, v0, 2
	ds_write_b32 v2, v12
	s_waitcnt lgkmcnt(0)
	s_barrier
	s_and_saveexec_b64 s[10:11], vcc
	s_cbranch_execz .LBB5098_39
; %bb.38:
	v_lshlrev_b32_e32 v2, 1, v0
	v_lshrrev_b32_e32 v3, 4, v0
	v_add_lshl_u32 v4, v3, v2, 2
	ds_read2_b32 v[2:3], v4 offset1:1
	v_mbcnt_lo_u32_b32 v5, -1, 0
	v_mbcnt_hi_u32_b32 v5, -1, v5
	v_and_b32_e32 v6, 15, v5
	v_cmp_eq_u32_e64 s[4:5], 0, v6
	s_waitcnt lgkmcnt(0)
	v_add_f32_e32 v3, v2, v3
	v_cmp_lt_u32_e64 s[6:7], 3, v6
	v_cmp_lt_u32_e64 s[8:9], 31, v5
	v_mov_b32_dpp v7, v3 row_shr:1 row_mask:0xf bank_mask:0xf
	v_add_f32_e32 v7, v3, v7
	v_cndmask_b32_e64 v3, v7, v3, s[4:5]
	v_cmp_lt_u32_e64 s[4:5], 1, v6
	s_nop 0
	v_mov_b32_dpp v7, v3 row_shr:2 row_mask:0xf bank_mask:0xf
	v_add_f32_e32 v7, v3, v7
	v_cndmask_b32_e64 v7, v3, v7, s[4:5]
	; wave barrier
	s_nop 1
	v_mov_b32_dpp v8, v7 row_shr:4 row_mask:0xf bank_mask:0xf
	v_add_f32_e32 v8, v7, v8
	v_cndmask_b32_e64 v7, v7, v8, s[6:7]
	v_cmp_lt_u32_e64 s[6:7], 7, v6
	s_nop 0
	v_mov_b32_dpp v8, v7 row_shr:8 row_mask:0xf bank_mask:0xf
	v_add_f32_e32 v8, v7, v8
	v_cndmask_b32_e64 v6, v7, v8, s[6:7]
	v_and_b32_e32 v8, 16, v5
	v_cmp_eq_u32_e64 s[6:7], 0, v8
	v_mov_b32_dpp v7, v6 row_bcast:15 row_mask:0xf bank_mask:0xf
	v_add_f32_e32 v7, v6, v7
	v_cndmask_b32_e64 v6, v7, v6, s[6:7]
	v_cmp_lt_u32_e64 s[6:7], 15, v5
	s_or_b64 s[4:5], s[6:7], s[4:5]
	v_mov_b32_dpp v7, v6 row_bcast:31 row_mask:0xf bank_mask:0xf
	v_add_f32_e32 v7, v6, v7
	v_cndmask_b32_e64 v6, v6, v7, s[8:9]
	v_cndmask_b32_e64 v3, v3, v6, s[4:5]
	v_add_u32_e32 v6, -1, v5
	v_and_b32_e32 v7, 64, v5
	v_cmp_lt_i32_e64 s[4:5], v6, v7
	v_cndmask_b32_e64 v5, v6, v5, s[4:5]
	v_lshlrev_b32_e32 v5, 2, v5
	ds_bpermute_b32 v3, v5, v3
	s_waitcnt lgkmcnt(0)
	v_add_f32_e32 v2, v2, v3
	v_cndmask_b32_e64 v2, v2, v12, s[0:1]
	ds_write_b32 v4, v2
	; wave barrier
	ds_read_b32 v3, v4 offset:4
	s_waitcnt lgkmcnt(0)
	v_add_f32_e32 v2, v2, v3
	ds_write_b32 v4, v2 offset:4
.LBB5098_39:
	s_or_b64 exec, exec, s[10:11]
	s_waitcnt lgkmcnt(0)
	s_barrier
	s_and_saveexec_b64 s[4:5], s[2:3]
	s_cbranch_execz .LBB5098_41
; %bb.40:
	v_add_u32_e32 v2, -1, v0
	v_lshrrev_b32_e32 v3, 5, v2
	v_add_lshl_u32 v2, v3, v2, 2
	ds_read_b32 v12, v2
.LBB5098_41:
	s_or_b64 exec, exec, s[4:5]
	s_and_saveexec_b64 s[26:27], vcc
	s_cbranch_execz .LBB5098_64
; %bb.42:
	v_mov_b32_e32 v11, 0
	ds_read_b32 v2, v11 offset:520
	v_mbcnt_lo_u32_b32 v3, -1, 0
	v_mbcnt_hi_u32_b32 v5, -1, v3
	s_mov_b32 s9, 0
	v_cmp_eq_u32_e64 s[4:5], 0, v5
	s_and_saveexec_b64 s[6:7], s[4:5]
	s_cbranch_execz .LBB5098_44
; %bb.43:
	s_add_i32 s8, s34, 64
	s_lshl_b64 s[8:9], s[8:9], 3
	s_add_u32 s8, s14, s8
	v_mov_b32_e32 v3, 1
	s_addc_u32 s9, s15, s9
	s_waitcnt lgkmcnt(0)
	global_store_dwordx2 v11, v[2:3], s[8:9]
.LBB5098_44:
	s_or_b64 exec, exec, s[6:7]
	v_xad_u32 v4, v5, -1, s34
	v_add_u32_e32 v10, 64, v4
	v_lshlrev_b64 v[6:7], 3, v[10:11]
	v_mov_b32_e32 v3, s15
	v_add_co_u32_e32 v6, vcc, s14, v6
	v_addc_co_u32_e32 v7, vcc, v3, v7, vcc
	global_load_dwordx2 v[8:9], v[6:7], off glc
	s_waitcnt vmcnt(0)
	v_cmp_eq_u16_sdwa s[8:9], v9, v11 src0_sel:BYTE_0 src1_sel:DWORD
	s_and_saveexec_b64 s[6:7], s[8:9]
	s_cbranch_execz .LBB5098_50
; %bb.45:
	s_mov_b32 s10, 1
	s_mov_b64 s[8:9], 0
	v_mov_b32_e32 v3, 0
.LBB5098_46:                            ; =>This Loop Header: Depth=1
                                        ;     Child Loop BB5098_47 Depth 2
	s_max_u32 s11, s10, 1
.LBB5098_47:                            ;   Parent Loop BB5098_46 Depth=1
                                        ; =>  This Inner Loop Header: Depth=2
	s_add_i32 s11, s11, -1
	s_cmp_eq_u32 s11, 0
	s_sleep 1
	s_cbranch_scc0 .LBB5098_47
; %bb.48:                               ;   in Loop: Header=BB5098_46 Depth=1
	global_load_dwordx2 v[8:9], v[6:7], off glc
	s_cmp_lt_u32 s10, 32
	s_cselect_b64 s[12:13], -1, 0
	s_cmp_lg_u64 s[12:13], 0
	s_addc_u32 s10, s10, 0
	s_waitcnt vmcnt(0)
	v_cmp_ne_u16_sdwa s[12:13], v9, v3 src0_sel:BYTE_0 src1_sel:DWORD
	s_or_b64 s[8:9], s[12:13], s[8:9]
	s_andn2_b64 exec, exec, s[8:9]
	s_cbranch_execnz .LBB5098_46
; %bb.49:
	s_or_b64 exec, exec, s[8:9]
.LBB5098_50:
	s_or_b64 exec, exec, s[6:7]
	v_and_b32_e32 v13, 63, v5
	v_cmp_ne_u32_e32 vcc, 63, v13
	v_addc_co_u32_e32 v14, vcc, 0, v5, vcc
	v_mov_b32_e32 v3, 2
	v_lshlrev_b32_e32 v14, 2, v14
	v_cmp_eq_u16_sdwa s[6:7], v9, v3 src0_sel:BYTE_0 src1_sel:DWORD
	v_lshlrev_b64 v[6:7], v5, -1
	ds_bpermute_b32 v15, v14, v8
	v_and_b32_e32 v10, s7, v7
	v_or_b32_e32 v10, 0x80000000, v10
	v_and_b32_e32 v11, s6, v6
	v_ffbl_b32_e32 v10, v10
	v_add_u32_e32 v10, 32, v10
	v_ffbl_b32_e32 v11, v11
	v_cmp_gt_u32_e64 s[6:7], 62, v13
	v_min_u32_e32 v10, v11, v10
	s_waitcnt lgkmcnt(0)
	v_add_f32_e32 v11, v8, v15
	v_cndmask_b32_e64 v15, 0, 1, s[6:7]
	v_cmp_lt_u32_e32 vcc, v13, v10
	v_lshlrev_b32_e32 v15, 1, v15
	v_cndmask_b32_e32 v11, v8, v11, vcc
	v_add_lshl_u32 v15, v15, v5, 2
	ds_bpermute_b32 v17, v15, v11
	v_add_u32_e32 v16, 2, v13
	v_cmp_gt_u32_e64 s[6:7], v16, v10
	v_cmp_gt_u32_e64 s[8:9], 56, v13
	v_add_u32_e32 v35, 4, v13
	s_waitcnt lgkmcnt(0)
	v_add_f32_e32 v17, v11, v17
	v_cndmask_b32_e64 v11, v17, v11, s[6:7]
	v_cmp_gt_u32_e64 s[6:7], 60, v13
	v_cndmask_b32_e64 v17, 0, 1, s[6:7]
	v_lshlrev_b32_e32 v17, 2, v17
	v_add_lshl_u32 v17, v17, v5, 2
	ds_bpermute_b32 v36, v17, v11
	v_cmp_gt_u32_e64 s[6:7], v35, v10
	v_add_u32_e32 v37, 8, v13
	v_cmp_gt_u32_e64 s[10:11], 48, v13
	v_cmp_gt_u32_e64 s[12:13], 32, v13
	s_waitcnt lgkmcnt(0)
	v_add_f32_e32 v40, v11, v36
	v_cndmask_b32_e64 v36, 0, 1, s[8:9]
	v_lshlrev_b32_e32 v36, 3, v36
	v_cndmask_b32_e64 v38, v40, v11, s[6:7]
	v_add_lshl_u32 v36, v36, v5, 2
	ds_bpermute_b32 v39, v36, v38
	v_cmp_gt_u32_e64 s[8:9], v37, v10
	v_cndmask_b32_e32 v8, v8, v11, vcc
	v_cndmask_b32_e64 v8, v40, v8, s[6:7]
	s_waitcnt lgkmcnt(0)
	v_add_f32_e32 v43, v38, v39
	v_cndmask_b32_e64 v41, v43, v38, s[8:9]
	v_cndmask_b32_e64 v38, 0, 1, s[10:11]
	v_lshlrev_b32_e32 v38, 4, v38
	v_add_lshl_u32 v38, v38, v5, 2
	ds_bpermute_b32 v42, v38, v41
	v_add_u32_e32 v39, 16, v13
	v_cmp_gt_u32_e64 s[10:11], v39, v10
	v_cndmask_b32_e64 v8, v43, v8, s[8:9]
	s_waitcnt lgkmcnt(0)
	v_add_f32_e32 v44, v41, v42
	v_cndmask_b32_e64 v45, v44, v41, s[10:11]
	v_cndmask_b32_e64 v41, 0, 1, s[12:13]
	v_lshlrev_b32_e32 v41, 5, v41
	v_add_lshl_u32 v41, v41, v5, 2
	ds_bpermute_b32 v5, v41, v45
	v_add_u32_e32 v42, 32, v13
	v_cndmask_b32_e64 v8, v44, v8, s[10:11]
	v_cmp_gt_u32_e32 vcc, v42, v10
	s_waitcnt lgkmcnt(0)
	v_add_f32_e32 v5, v45, v5
	v_cndmask_b32_e32 v8, v5, v8, vcc
	v_mov_b32_e32 v5, 0
	s_branch .LBB5098_52
.LBB5098_51:                            ;   in Loop: Header=BB5098_52 Depth=1
	s_or_b64 exec, exec, s[6:7]
	v_cmp_eq_u16_sdwa s[6:7], v9, v3 src0_sel:BYTE_0 src1_sel:DWORD
	v_and_b32_e32 v10, s7, v7
	ds_bpermute_b32 v43, v14, v8
	v_or_b32_e32 v10, 0x80000000, v10
	v_and_b32_e32 v11, s6, v6
	v_ffbl_b32_e32 v10, v10
	v_add_u32_e32 v10, 32, v10
	v_ffbl_b32_e32 v11, v11
	v_min_u32_e32 v10, v11, v10
	s_waitcnt lgkmcnt(0)
	v_add_f32_e32 v11, v8, v43
	v_cmp_lt_u32_e32 vcc, v13, v10
	v_cndmask_b32_e32 v11, v8, v11, vcc
	ds_bpermute_b32 v43, v15, v11
	v_cmp_gt_u32_e64 s[6:7], v16, v10
	v_cmp_gt_u32_e64 s[8:9], v37, v10
	;; [unrolled: 1-line block ×3, first 2 shown]
	v_subrev_u32_e32 v4, 64, v4
	s_waitcnt lgkmcnt(0)
	v_add_f32_e32 v43, v11, v43
	v_cndmask_b32_e64 v11, v43, v11, s[6:7]
	ds_bpermute_b32 v43, v17, v11
	v_cmp_gt_u32_e64 s[6:7], v35, v10
	v_cndmask_b32_e32 v8, v8, v11, vcc
	v_cmp_gt_u32_e32 vcc, v42, v10
	s_waitcnt lgkmcnt(0)
	v_add_f32_e32 v43, v11, v43
	v_cndmask_b32_e64 v44, v43, v11, s[6:7]
	ds_bpermute_b32 v45, v36, v44
	v_cndmask_b32_e64 v8, v43, v8, s[6:7]
	s_waitcnt lgkmcnt(0)
	v_add_f32_e32 v45, v44, v45
	v_cndmask_b32_e64 v44, v45, v44, s[8:9]
	ds_bpermute_b32 v46, v38, v44
	v_cndmask_b32_e64 v8, v45, v8, s[8:9]
	s_waitcnt lgkmcnt(0)
	v_add_f32_e32 v46, v44, v46
	v_cndmask_b32_e64 v44, v46, v44, s[10:11]
	ds_bpermute_b32 v47, v41, v44
	v_cndmask_b32_e64 v8, v46, v8, s[10:11]
	s_waitcnt lgkmcnt(0)
	v_add_f32_e32 v11, v44, v47
	v_cndmask_b32_e32 v8, v11, v8, vcc
	v_add_f32_e32 v8, v40, v8
.LBB5098_52:                            ; =>This Loop Header: Depth=1
                                        ;     Child Loop BB5098_55 Depth 2
                                        ;       Child Loop BB5098_56 Depth 3
	v_cmp_ne_u16_sdwa s[6:7], v9, v3 src0_sel:BYTE_0 src1_sel:DWORD
	v_cndmask_b32_e64 v9, 0, 1, s[6:7]
	;;#ASMSTART
	;;#ASMEND
	v_cmp_ne_u32_e32 vcc, 0, v9
	s_cmp_lg_u64 vcc, exec
	v_mov_b32_e32 v40, v8
	s_cbranch_scc1 .LBB5098_59
; %bb.53:                               ;   in Loop: Header=BB5098_52 Depth=1
	v_lshlrev_b64 v[8:9], 3, v[4:5]
	v_mov_b32_e32 v11, s15
	v_add_co_u32_e32 v10, vcc, s14, v8
	v_addc_co_u32_e32 v11, vcc, v11, v9, vcc
	global_load_dwordx2 v[8:9], v[10:11], off glc
	s_waitcnt vmcnt(0)
	v_cmp_eq_u16_sdwa s[8:9], v9, v5 src0_sel:BYTE_0 src1_sel:DWORD
	s_and_saveexec_b64 s[6:7], s[8:9]
	s_cbranch_execz .LBB5098_51
; %bb.54:                               ;   in Loop: Header=BB5098_52 Depth=1
	s_mov_b32 s10, 1
	s_mov_b64 s[8:9], 0
.LBB5098_55:                            ;   Parent Loop BB5098_52 Depth=1
                                        ; =>  This Loop Header: Depth=2
                                        ;       Child Loop BB5098_56 Depth 3
	s_max_u32 s11, s10, 1
.LBB5098_56:                            ;   Parent Loop BB5098_52 Depth=1
                                        ;     Parent Loop BB5098_55 Depth=2
                                        ; =>    This Inner Loop Header: Depth=3
	s_add_i32 s11, s11, -1
	s_cmp_eq_u32 s11, 0
	s_sleep 1
	s_cbranch_scc0 .LBB5098_56
; %bb.57:                               ;   in Loop: Header=BB5098_55 Depth=2
	global_load_dwordx2 v[8:9], v[10:11], off glc
	s_cmp_lt_u32 s10, 32
	s_cselect_b64 s[12:13], -1, 0
	s_cmp_lg_u64 s[12:13], 0
	s_addc_u32 s10, s10, 0
	s_waitcnt vmcnt(0)
	v_cmp_ne_u16_sdwa s[12:13], v9, v5 src0_sel:BYTE_0 src1_sel:DWORD
	s_or_b64 s[8:9], s[12:13], s[8:9]
	s_andn2_b64 exec, exec, s[8:9]
	s_cbranch_execnz .LBB5098_55
; %bb.58:                               ;   in Loop: Header=BB5098_52 Depth=1
	s_or_b64 exec, exec, s[8:9]
	s_branch .LBB5098_51
.LBB5098_59:                            ;   in Loop: Header=BB5098_52 Depth=1
                                        ; implicit-def: $vgpr8
                                        ; implicit-def: $vgpr9
	s_cbranch_execz .LBB5098_52
; %bb.60:
	s_and_saveexec_b64 s[6:7], s[4:5]
	s_cbranch_execz .LBB5098_62
; %bb.61:
	s_add_i32 s4, s34, 64
	s_mov_b32 s5, 0
	s_lshl_b64 s[4:5], s[4:5], 3
	s_add_u32 s4, s14, s4
	v_add_f32_e32 v2, v2, v40
	v_mov_b32_e32 v3, 2
	s_addc_u32 s5, s15, s5
	v_mov_b32_e32 v4, 0
	global_store_dwordx2 v4, v[2:3], s[4:5]
.LBB5098_62:
	s_or_b64 exec, exec, s[6:7]
	s_and_b64 exec, exec, s[0:1]
	s_cbranch_execz .LBB5098_64
; %bb.63:
	v_mov_b32_e32 v2, 0
	ds_write_b32 v2, v40
.LBB5098_64:
	s_or_b64 exec, exec, s[26:27]
	v_mov_b32_e32 v2, 0
	s_waitcnt lgkmcnt(0)
	s_barrier
	ds_read_b32 v2, v2
	s_waitcnt lgkmcnt(0)
	v_add_f32_e32 v3, v12, v2
	v_cndmask_b32_e64 v2, v3, v2, s[0:1]
	v_add_f32_e32 v3, v26, v2
	v_add_f32_e32 v4, v27, v3
	;; [unrolled: 1-line block ×13, first 2 shown]
	s_branch .LBB5098_75
.LBB5098_65:
                                        ; implicit-def: $vgpr2_vgpr3_vgpr4_vgpr5_vgpr6_vgpr7_vgpr8_vgpr9_vgpr10_vgpr11_vgpr12_vgpr13_vgpr14_vgpr15_vgpr16_vgpr17
	s_cbranch_execz .LBB5098_75
; %bb.66:
	s_cmp_eq_u64 s[20:21], 0
	v_mov_b32_e32 v16, s30
	s_cbranch_scc1 .LBB5098_68
; %bb.67:
	v_mov_b32_e32 v3, s33
	v_add_co_u32_e64 v2, vcc, -4, s31
	v_addc_co_u32_e32 v3, vcc, -1, v3, vcc
	v_mov_b32_e32 v4, 0
	flat_load_dword v5, v[2:3]
	global_load_dword v6, v4, s[16:17]
	s_waitcnt vmcnt(0) lgkmcnt(0)
	v_add_f32_e32 v16, v5, v6
.LBB5098_68:
	v_add_f32_e32 v2, v28, v34
	v_add_f32_e32 v2, v29, v2
	;; [unrolled: 1-line block ×12, first 2 shown]
	v_add_lshl_u32 v1, v1, v0, 2
	v_cmp_gt_u32_e32 vcc, 64, v0
	ds_write_b32 v1, v2
	s_waitcnt lgkmcnt(0)
	s_barrier
	s_and_saveexec_b64 s[8:9], vcc
	s_cbranch_execz .LBB5098_70
; %bb.69:
	v_lshlrev_b32_e32 v1, 1, v0
	v_lshrrev_b32_e32 v3, 4, v0
	v_add_lshl_u32 v1, v3, v1, 2
	ds_read2_b32 v[4:5], v1 offset1:1
	v_mbcnt_lo_u32_b32 v3, -1, 0
	v_mbcnt_hi_u32_b32 v3, -1, v3
	v_and_b32_e32 v6, 15, v3
	v_cmp_eq_u32_e32 vcc, 0, v6
	s_waitcnt lgkmcnt(0)
	v_add_f32_e32 v5, v4, v5
	v_cmp_lt_u32_e64 s[4:5], 3, v6
	v_cmp_lt_u32_e64 s[6:7], 31, v3
	v_mov_b32_dpp v7, v5 row_shr:1 row_mask:0xf bank_mask:0xf
	v_add_f32_e32 v7, v5, v7
	v_cndmask_b32_e32 v5, v7, v5, vcc
	v_cmp_lt_u32_e32 vcc, 1, v6
	s_nop 0
	v_mov_b32_dpp v7, v5 row_shr:2 row_mask:0xf bank_mask:0xf
	v_add_f32_e32 v7, v5, v7
	v_cndmask_b32_e32 v7, v5, v7, vcc
	; wave barrier
	s_nop 1
	v_mov_b32_dpp v8, v7 row_shr:4 row_mask:0xf bank_mask:0xf
	v_add_f32_e32 v8, v7, v8
	v_cndmask_b32_e64 v7, v7, v8, s[4:5]
	v_cmp_lt_u32_e64 s[4:5], 7, v6
	s_nop 0
	v_mov_b32_dpp v8, v7 row_shr:8 row_mask:0xf bank_mask:0xf
	v_add_f32_e32 v8, v7, v8
	v_cndmask_b32_e64 v6, v7, v8, s[4:5]
	v_and_b32_e32 v8, 16, v3
	v_cmp_eq_u32_e64 s[4:5], 0, v8
	v_mov_b32_dpp v7, v6 row_bcast:15 row_mask:0xf bank_mask:0xf
	v_add_f32_e32 v7, v6, v7
	v_cndmask_b32_e64 v6, v7, v6, s[4:5]
	v_cmp_lt_u32_e64 s[4:5], 15, v3
	s_or_b64 vcc, s[4:5], vcc
	v_mov_b32_dpp v7, v6 row_bcast:31 row_mask:0xf bank_mask:0xf
	v_add_f32_e32 v7, v6, v7
	v_cndmask_b32_e64 v6, v6, v7, s[6:7]
	v_cndmask_b32_e32 v5, v5, v6, vcc
	v_add_u32_e32 v6, -1, v3
	v_and_b32_e32 v7, 64, v3
	v_cmp_lt_i32_e32 vcc, v6, v7
	v_cndmask_b32_e32 v3, v6, v3, vcc
	v_lshlrev_b32_e32 v3, 2, v3
	ds_bpermute_b32 v3, v3, v5
	s_waitcnt lgkmcnt(0)
	v_add_f32_e32 v3, v4, v3
	v_cndmask_b32_e64 v2, v3, v2, s[0:1]
	ds_write_b32 v1, v2
	; wave barrier
	ds_read_b32 v3, v1 offset:4
	s_waitcnt lgkmcnt(0)
	v_add_f32_e32 v2, v2, v3
	ds_write_b32 v1, v2 offset:4
.LBB5098_70:
	s_or_b64 exec, exec, s[8:9]
	v_mov_b32_e32 v2, v16
	s_waitcnt lgkmcnt(0)
	s_barrier
	s_and_saveexec_b64 s[4:5], s[2:3]
	s_cbranch_execz .LBB5098_72
; %bb.71:
	v_add_u32_e32 v1, -1, v0
	v_lshrrev_b32_e32 v2, 5, v1
	v_add_lshl_u32 v1, v2, v1, 2
	ds_read_b32 v1, v1
	s_waitcnt lgkmcnt(0)
	v_add_f32_e32 v2, v16, v1
.LBB5098_72:
	s_or_b64 exec, exec, s[4:5]
	v_add_f32_e32 v3, v26, v2
	v_add_f32_e32 v4, v27, v3
	;; [unrolled: 1-line block ×13, first 2 shown]
	s_and_saveexec_b64 s[2:3], s[0:1]
	s_cbranch_execz .LBB5098_74
; %bb.73:
	v_mov_b32_e32 v1, 0
	ds_read_b32 v17, v1 offset:520
	s_waitcnt lgkmcnt(0)
	v_add_f32_e32 v16, v16, v17
	v_mov_b32_e32 v17, 2
	global_store_dwordx2 v1, v[16:17], s[14:15] offset:512
.LBB5098_74:
	s_or_b64 exec, exec, s[2:3]
.LBB5098_75:
	s_mov_b64 s[0:1], -1
	s_and_b64 vcc, exec, s[24:25]
	s_barrier
	ds_write2_b64 v33, v[2:3], v[4:5] offset1:1
	ds_write2_b64 v33, v[6:7], v[8:9] offset0:2 offset1:3
	ds_write2_b64 v33, v[10:11], v[12:13] offset0:4 offset1:5
	ds_write_b64 v33, v[14:15] offset:48
	s_waitcnt lgkmcnt(0)
	s_cbranch_vccz .LBB5098_77
; %bb.76:
	s_barrier
	s_mov_b64 s[0:1], 0
.LBB5098_77:
	s_andn2_b64 vcc, exec, s[0:1]
	s_cbranch_vccnz .LBB5098_129
; %bb.78:
	v_cmp_lt_u64_e64 s[0:1], s[22:23], 2
	s_and_b64 vcc, exec, s[0:1]
	s_barrier
	s_cbranch_vccnz .LBB5098_129
; %bb.79:
	s_add_u32 s0, s28, -1
	s_addc_u32 s1, s29, -1
	s_add_u32 s2, 0, 0x49240800
	s_addc_u32 s3, 0, 50
	s_add_i32 s3, s3, 0x12492460
	s_mul_hi_u32 s7, s2, -14
	s_sub_i32 s7, s7, s2
	s_mul_i32 s8, s3, -14
	s_mul_i32 s4, s2, -14
	s_add_i32 s7, s7, s8
	s_mul_hi_u32 s5, s3, s4
	s_mul_i32 s6, s3, s4
	s_mul_i32 s9, s2, s7
	s_mul_hi_u32 s4, s2, s4
	s_mul_hi_u32 s8, s2, s7
	s_add_u32 s4, s4, s9
	s_addc_u32 s8, 0, s8
	s_add_u32 s4, s4, s6
	s_mul_hi_u32 s9, s3, s7
	s_addc_u32 s4, s8, s5
	s_addc_u32 s5, s9, 0
	s_mul_i32 s6, s3, s7
	s_add_u32 s4, s4, s6
	v_mov_b32_e32 v2, s4
	s_addc_u32 s5, 0, s5
	v_add_co_u32_e32 v2, vcc, s2, v2
	s_cmp_lg_u64 vcc, 0
	s_addc_u32 s2, s3, s5
	v_readfirstlane_b32 s5, v2
	s_mul_i32 s4, s0, s2
	s_mul_hi_u32 s6, s0, s5
	s_mul_hi_u32 s3, s0, s2
	s_add_u32 s4, s6, s4
	s_addc_u32 s3, 0, s3
	s_mul_hi_u32 s7, s1, s5
	s_mul_i32 s5, s1, s5
	s_add_u32 s4, s4, s5
	s_mul_hi_u32 s6, s1, s2
	s_addc_u32 s3, s3, s7
	s_addc_u32 s4, s6, 0
	s_mul_i32 s2, s1, s2
	s_add_u32 s2, s3, s2
	s_addc_u32 s3, 0, s4
	s_add_u32 s4, s2, 1
	s_addc_u32 s5, s3, 0
	s_add_u32 s6, s2, 2
	s_mul_i32 s8, s3, 14
	s_mul_hi_u32 s9, s2, 14
	s_addc_u32 s7, s3, 0
	s_add_i32 s9, s9, s8
	s_mul_i32 s8, s2, 14
	v_mov_b32_e32 v2, s8
	v_sub_co_u32_e32 v2, vcc, s0, v2
	s_cmp_lg_u64 vcc, 0
	s_subb_u32 s8, s1, s9
	v_subrev_co_u32_e32 v3, vcc, 14, v2
	s_cmp_lg_u64 vcc, 0
	s_subb_u32 s9, s8, 0
	v_readfirstlane_b32 s10, v3
	s_cmp_gt_u32 s10, 13
	s_cselect_b32 s10, -1, 0
	s_cmp_eq_u32 s9, 0
	s_cselect_b32 s9, s10, -1
	s_cmp_lg_u32 s9, 0
	s_cselect_b32 s4, s6, s4
	v_readfirstlane_b32 s6, v2
	s_cselect_b32 s5, s7, s5
	s_cmp_gt_u32 s6, 13
	s_cselect_b32 s6, -1, 0
	s_cmp_eq_u32 s8, 0
	s_cselect_b32 s6, s6, -1
	s_cmp_lg_u32 s6, 0
	v_mov_b32_e32 v1, 0
	s_cselect_b32 s3, s5, s3
	s_cselect_b32 s2, s4, s2
	v_cmp_eq_u64_e32 vcc, s[2:3], v[0:1]
	s_and_saveexec_b64 s[2:3], vcc
	s_cbranch_execz .LBB5098_129
; %bb.80:
	s_movk_i32 s2, 0xffcc
	v_mad_i32_i24 v2, v0, s2, v33
	v_mul_hi_u32_u24_e32 v1, 14, v0
	v_mov_b32_e32 v3, s1
	v_sub_co_u32_e32 v0, vcc, s0, v32
	v_subb_co_u32_e32 v1, vcc, v3, v1, vcc
	v_cmp_lt_i64_e32 vcc, 6, v[0:1]
	s_and_saveexec_b64 s[0:1], vcc
	s_xor_b64 s[0:1], exec, s[0:1]
	s_cbranch_execz .LBB5098_106
; %bb.81:
	v_cmp_lt_i64_e32 vcc, 9, v[0:1]
	s_and_saveexec_b64 s[2:3], vcc
	s_xor_b64 s[2:3], exec, s[2:3]
	s_cbranch_execz .LBB5098_95
; %bb.82:
	;; [unrolled: 5-line block ×4, first 2 shown]
	ds_read_b32 v0, v2 offset:6656
	v_mov_b32_e32 v1, 0
                                        ; implicit-def: $vgpr2
	s_waitcnt lgkmcnt(0)
	global_store_dword v1, v0, s[18:19]
.LBB5098_85:
	s_andn2_saveexec_b64 s[6:7], s[6:7]
	s_cbranch_execz .LBB5098_87
; %bb.86:
	ds_read_b32 v0, v2 offset:6144
	v_mov_b32_e32 v1, 0
	s_waitcnt lgkmcnt(0)
	global_store_dword v1, v0, s[18:19]
.LBB5098_87:
	s_or_b64 exec, exec, s[6:7]
                                        ; implicit-def: $vgpr2
                                        ; implicit-def: $vgpr0_vgpr1
.LBB5098_88:
	s_andn2_saveexec_b64 s[4:5], s[4:5]
	s_cbranch_execz .LBB5098_94
; %bb.89:
	v_cmp_lt_i64_e32 vcc, 10, v[0:1]
	s_and_saveexec_b64 s[6:7], vcc
	s_xor_b64 s[6:7], exec, s[6:7]
	s_cbranch_execz .LBB5098_91
; %bb.90:
	ds_read_b32 v0, v2 offset:5632
	v_mov_b32_e32 v1, 0
                                        ; implicit-def: $vgpr2
	s_waitcnt lgkmcnt(0)
	global_store_dword v1, v0, s[18:19]
.LBB5098_91:
	s_andn2_saveexec_b64 s[6:7], s[6:7]
	s_cbranch_execz .LBB5098_93
; %bb.92:
	ds_read_b32 v0, v2 offset:5120
	v_mov_b32_e32 v1, 0
	s_waitcnt lgkmcnt(0)
	global_store_dword v1, v0, s[18:19]
.LBB5098_93:
	s_or_b64 exec, exec, s[6:7]
.LBB5098_94:
	s_or_b64 exec, exec, s[4:5]
                                        ; implicit-def: $vgpr2
                                        ; implicit-def: $vgpr0_vgpr1
.LBB5098_95:
	s_andn2_saveexec_b64 s[2:3], s[2:3]
	s_cbranch_execz .LBB5098_105
; %bb.96:
	v_cmp_lt_i64_e32 vcc, 7, v[0:1]
	s_and_saveexec_b64 s[4:5], vcc
	s_xor_b64 s[4:5], exec, s[4:5]
	s_cbranch_execz .LBB5098_102
; %bb.97:
	v_cmp_lt_i64_e32 vcc, 8, v[0:1]
	s_and_saveexec_b64 s[6:7], vcc
	s_xor_b64 s[6:7], exec, s[6:7]
	s_cbranch_execz .LBB5098_99
; %bb.98:
	ds_read_b32 v0, v2 offset:4608
	v_mov_b32_e32 v1, 0
                                        ; implicit-def: $vgpr2
	s_waitcnt lgkmcnt(0)
	global_store_dword v1, v0, s[18:19]
.LBB5098_99:
	s_andn2_saveexec_b64 s[6:7], s[6:7]
	s_cbranch_execz .LBB5098_101
; %bb.100:
	ds_read_b32 v0, v2 offset:4096
	v_mov_b32_e32 v1, 0
	s_waitcnt lgkmcnt(0)
	global_store_dword v1, v0, s[18:19]
.LBB5098_101:
	s_or_b64 exec, exec, s[6:7]
                                        ; implicit-def: $vgpr2
.LBB5098_102:
	s_andn2_saveexec_b64 s[4:5], s[4:5]
	s_cbranch_execz .LBB5098_104
; %bb.103:
	ds_read_b32 v0, v2 offset:3584
	v_mov_b32_e32 v1, 0
	s_waitcnt lgkmcnt(0)
	global_store_dword v1, v0, s[18:19]
.LBB5098_104:
	s_or_b64 exec, exec, s[4:5]
.LBB5098_105:
	s_or_b64 exec, exec, s[2:3]
                                        ; implicit-def: $vgpr0_vgpr1
                                        ; implicit-def: $vgpr2
.LBB5098_106:
	s_andn2_saveexec_b64 s[0:1], s[0:1]
	s_cbranch_execz .LBB5098_129
; %bb.107:
	v_cmp_lt_i64_e32 vcc, 3, v[0:1]
	s_and_saveexec_b64 s[0:1], vcc
	s_xor_b64 s[0:1], exec, s[0:1]
	s_cbranch_execz .LBB5098_117
; %bb.108:
	v_cmp_lt_i64_e32 vcc, 4, v[0:1]
	s_and_saveexec_b64 s[2:3], vcc
	s_xor_b64 s[2:3], exec, s[2:3]
	;; [unrolled: 5-line block ×3, first 2 shown]
	s_cbranch_execz .LBB5098_111
; %bb.110:
	ds_read_b32 v0, v2 offset:3072
	v_mov_b32_e32 v1, 0
                                        ; implicit-def: $vgpr2
	s_waitcnt lgkmcnt(0)
	global_store_dword v1, v0, s[18:19]
.LBB5098_111:
	s_andn2_saveexec_b64 s[4:5], s[4:5]
	s_cbranch_execz .LBB5098_113
; %bb.112:
	ds_read_b32 v0, v2 offset:2560
	v_mov_b32_e32 v1, 0
	s_waitcnt lgkmcnt(0)
	global_store_dword v1, v0, s[18:19]
.LBB5098_113:
	s_or_b64 exec, exec, s[4:5]
                                        ; implicit-def: $vgpr2
.LBB5098_114:
	s_andn2_saveexec_b64 s[2:3], s[2:3]
	s_cbranch_execz .LBB5098_116
; %bb.115:
	ds_read_b32 v0, v2 offset:2048
	v_mov_b32_e32 v1, 0
	s_waitcnt lgkmcnt(0)
	global_store_dword v1, v0, s[18:19]
.LBB5098_116:
	s_or_b64 exec, exec, s[2:3]
                                        ; implicit-def: $vgpr0_vgpr1
                                        ; implicit-def: $vgpr2
.LBB5098_117:
	s_andn2_saveexec_b64 s[0:1], s[0:1]
	s_cbranch_execz .LBB5098_129
; %bb.118:
	v_cmp_lt_i64_e32 vcc, 1, v[0:1]
	s_and_saveexec_b64 s[0:1], vcc
	s_xor_b64 s[0:1], exec, s[0:1]
	s_cbranch_execz .LBB5098_124
; %bb.119:
	v_cmp_lt_i64_e32 vcc, 2, v[0:1]
	s_and_saveexec_b64 s[2:3], vcc
	s_xor_b64 s[2:3], exec, s[2:3]
	s_cbranch_execz .LBB5098_121
; %bb.120:
	ds_read_b32 v0, v2 offset:1536
	v_mov_b32_e32 v1, 0
                                        ; implicit-def: $vgpr2
	s_waitcnt lgkmcnt(0)
	global_store_dword v1, v0, s[18:19]
.LBB5098_121:
	s_andn2_saveexec_b64 s[2:3], s[2:3]
	s_cbranch_execz .LBB5098_123
; %bb.122:
	ds_read_b32 v0, v2 offset:1024
	v_mov_b32_e32 v1, 0
	s_waitcnt lgkmcnt(0)
	global_store_dword v1, v0, s[18:19]
.LBB5098_123:
	s_or_b64 exec, exec, s[2:3]
                                        ; implicit-def: $vgpr2
                                        ; implicit-def: $vgpr0_vgpr1
.LBB5098_124:
	s_andn2_saveexec_b64 s[0:1], s[0:1]
	s_cbranch_execz .LBB5098_129
; %bb.125:
	v_cmp_ne_u64_e32 vcc, 1, v[0:1]
	s_and_saveexec_b64 s[0:1], vcc
	s_xor_b64 s[0:1], exec, s[0:1]
	s_cbranch_execz .LBB5098_127
; %bb.126:
	ds_read_b32 v0, v2
	v_mov_b32_e32 v1, 0
                                        ; implicit-def: $vgpr2
	s_waitcnt lgkmcnt(0)
	global_store_dword v1, v0, s[18:19]
.LBB5098_127:
	s_andn2_saveexec_b64 s[0:1], s[0:1]
	s_cbranch_execz .LBB5098_129
; %bb.128:
	ds_read_b32 v0, v2 offset:512
	v_mov_b32_e32 v1, 0
	s_waitcnt lgkmcnt(0)
	global_store_dword v1, v0, s[18:19]
.LBB5098_129:
	s_endpgm
	.section	.rodata,"a",@progbits
	.p2align	6, 0x0
	.amdhsa_kernel _ZN7rocprim17ROCPRIM_400000_NS6detail17trampoline_kernelINS0_14default_configENS1_20scan_config_selectorIfEEZZNS1_9scan_implILNS1_25lookback_scan_determinismE0ELb1ELb1ES3_N6thrust23THRUST_200600_302600_NS6detail15normal_iteratorINS9_10device_ptrIfEEEENS9_16discard_iteratorINS9_11use_defaultEEEfNS9_4plusIvEEfEEDaPvRmT3_T4_T5_mT6_P12ihipStream_tbENKUlT_T0_E_clISt17integral_constantIbLb1EESX_EEDaSS_ST_EUlSS_E_NS1_11comp_targetILNS1_3genE4ELNS1_11target_archE910ELNS1_3gpuE8ELNS1_3repE0EEENS1_30default_config_static_selectorELNS0_4arch9wavefront6targetE1EEEvT1_
		.amdhsa_group_segment_fixed_size 7168
		.amdhsa_private_segment_fixed_size 0
		.amdhsa_kernarg_size 104
		.amdhsa_user_sgpr_count 6
		.amdhsa_user_sgpr_private_segment_buffer 1
		.amdhsa_user_sgpr_dispatch_ptr 0
		.amdhsa_user_sgpr_queue_ptr 0
		.amdhsa_user_sgpr_kernarg_segment_ptr 1
		.amdhsa_user_sgpr_dispatch_id 0
		.amdhsa_user_sgpr_flat_scratch_init 0
		.amdhsa_user_sgpr_kernarg_preload_length 0
		.amdhsa_user_sgpr_kernarg_preload_offset 0
		.amdhsa_user_sgpr_private_segment_size 0
		.amdhsa_uses_dynamic_stack 0
		.amdhsa_system_sgpr_private_segment_wavefront_offset 0
		.amdhsa_system_sgpr_workgroup_id_x 1
		.amdhsa_system_sgpr_workgroup_id_y 0
		.amdhsa_system_sgpr_workgroup_id_z 0
		.amdhsa_system_sgpr_workgroup_info 0
		.amdhsa_system_vgpr_workitem_id 0
		.amdhsa_next_free_vgpr 48
		.amdhsa_next_free_sgpr 35
		.amdhsa_accum_offset 48
		.amdhsa_reserve_vcc 1
		.amdhsa_reserve_flat_scratch 0
		.amdhsa_float_round_mode_32 0
		.amdhsa_float_round_mode_16_64 0
		.amdhsa_float_denorm_mode_32 3
		.amdhsa_float_denorm_mode_16_64 3
		.amdhsa_dx10_clamp 1
		.amdhsa_ieee_mode 1
		.amdhsa_fp16_overflow 0
		.amdhsa_tg_split 0
		.amdhsa_exception_fp_ieee_invalid_op 0
		.amdhsa_exception_fp_denorm_src 0
		.amdhsa_exception_fp_ieee_div_zero 0
		.amdhsa_exception_fp_ieee_overflow 0
		.amdhsa_exception_fp_ieee_underflow 0
		.amdhsa_exception_fp_ieee_inexact 0
		.amdhsa_exception_int_div_zero 0
	.end_amdhsa_kernel
	.section	.text._ZN7rocprim17ROCPRIM_400000_NS6detail17trampoline_kernelINS0_14default_configENS1_20scan_config_selectorIfEEZZNS1_9scan_implILNS1_25lookback_scan_determinismE0ELb1ELb1ES3_N6thrust23THRUST_200600_302600_NS6detail15normal_iteratorINS9_10device_ptrIfEEEENS9_16discard_iteratorINS9_11use_defaultEEEfNS9_4plusIvEEfEEDaPvRmT3_T4_T5_mT6_P12ihipStream_tbENKUlT_T0_E_clISt17integral_constantIbLb1EESX_EEDaSS_ST_EUlSS_E_NS1_11comp_targetILNS1_3genE4ELNS1_11target_archE910ELNS1_3gpuE8ELNS1_3repE0EEENS1_30default_config_static_selectorELNS0_4arch9wavefront6targetE1EEEvT1_,"axG",@progbits,_ZN7rocprim17ROCPRIM_400000_NS6detail17trampoline_kernelINS0_14default_configENS1_20scan_config_selectorIfEEZZNS1_9scan_implILNS1_25lookback_scan_determinismE0ELb1ELb1ES3_N6thrust23THRUST_200600_302600_NS6detail15normal_iteratorINS9_10device_ptrIfEEEENS9_16discard_iteratorINS9_11use_defaultEEEfNS9_4plusIvEEfEEDaPvRmT3_T4_T5_mT6_P12ihipStream_tbENKUlT_T0_E_clISt17integral_constantIbLb1EESX_EEDaSS_ST_EUlSS_E_NS1_11comp_targetILNS1_3genE4ELNS1_11target_archE910ELNS1_3gpuE8ELNS1_3repE0EEENS1_30default_config_static_selectorELNS0_4arch9wavefront6targetE1EEEvT1_,comdat
.Lfunc_end5098:
	.size	_ZN7rocprim17ROCPRIM_400000_NS6detail17trampoline_kernelINS0_14default_configENS1_20scan_config_selectorIfEEZZNS1_9scan_implILNS1_25lookback_scan_determinismE0ELb1ELb1ES3_N6thrust23THRUST_200600_302600_NS6detail15normal_iteratorINS9_10device_ptrIfEEEENS9_16discard_iteratorINS9_11use_defaultEEEfNS9_4plusIvEEfEEDaPvRmT3_T4_T5_mT6_P12ihipStream_tbENKUlT_T0_E_clISt17integral_constantIbLb1EESX_EEDaSS_ST_EUlSS_E_NS1_11comp_targetILNS1_3genE4ELNS1_11target_archE910ELNS1_3gpuE8ELNS1_3repE0EEENS1_30default_config_static_selectorELNS0_4arch9wavefront6targetE1EEEvT1_, .Lfunc_end5098-_ZN7rocprim17ROCPRIM_400000_NS6detail17trampoline_kernelINS0_14default_configENS1_20scan_config_selectorIfEEZZNS1_9scan_implILNS1_25lookback_scan_determinismE0ELb1ELb1ES3_N6thrust23THRUST_200600_302600_NS6detail15normal_iteratorINS9_10device_ptrIfEEEENS9_16discard_iteratorINS9_11use_defaultEEEfNS9_4plusIvEEfEEDaPvRmT3_T4_T5_mT6_P12ihipStream_tbENKUlT_T0_E_clISt17integral_constantIbLb1EESX_EEDaSS_ST_EUlSS_E_NS1_11comp_targetILNS1_3genE4ELNS1_11target_archE910ELNS1_3gpuE8ELNS1_3repE0EEENS1_30default_config_static_selectorELNS0_4arch9wavefront6targetE1EEEvT1_
                                        ; -- End function
	.section	.AMDGPU.csdata,"",@progbits
; Kernel info:
; codeLenInByte = 4936
; NumSgprs: 39
; NumVgprs: 48
; NumAgprs: 0
; TotalNumVgprs: 48
; ScratchSize: 0
; MemoryBound: 0
; FloatMode: 240
; IeeeMode: 1
; LDSByteSize: 7168 bytes/workgroup (compile time only)
; SGPRBlocks: 4
; VGPRBlocks: 5
; NumSGPRsForWavesPerEU: 39
; NumVGPRsForWavesPerEU: 48
; AccumOffset: 48
; Occupancy: 5
; WaveLimiterHint : 1
; COMPUTE_PGM_RSRC2:SCRATCH_EN: 0
; COMPUTE_PGM_RSRC2:USER_SGPR: 6
; COMPUTE_PGM_RSRC2:TRAP_HANDLER: 0
; COMPUTE_PGM_RSRC2:TGID_X_EN: 1
; COMPUTE_PGM_RSRC2:TGID_Y_EN: 0
; COMPUTE_PGM_RSRC2:TGID_Z_EN: 0
; COMPUTE_PGM_RSRC2:TIDIG_COMP_CNT: 0
; COMPUTE_PGM_RSRC3_GFX90A:ACCUM_OFFSET: 11
; COMPUTE_PGM_RSRC3_GFX90A:TG_SPLIT: 0
	.section	.text._ZN7rocprim17ROCPRIM_400000_NS6detail17trampoline_kernelINS0_14default_configENS1_20scan_config_selectorIfEEZZNS1_9scan_implILNS1_25lookback_scan_determinismE0ELb1ELb1ES3_N6thrust23THRUST_200600_302600_NS6detail15normal_iteratorINS9_10device_ptrIfEEEENS9_16discard_iteratorINS9_11use_defaultEEEfNS9_4plusIvEEfEEDaPvRmT3_T4_T5_mT6_P12ihipStream_tbENKUlT_T0_E_clISt17integral_constantIbLb1EESX_EEDaSS_ST_EUlSS_E_NS1_11comp_targetILNS1_3genE3ELNS1_11target_archE908ELNS1_3gpuE7ELNS1_3repE0EEENS1_30default_config_static_selectorELNS0_4arch9wavefront6targetE1EEEvT1_,"axG",@progbits,_ZN7rocprim17ROCPRIM_400000_NS6detail17trampoline_kernelINS0_14default_configENS1_20scan_config_selectorIfEEZZNS1_9scan_implILNS1_25lookback_scan_determinismE0ELb1ELb1ES3_N6thrust23THRUST_200600_302600_NS6detail15normal_iteratorINS9_10device_ptrIfEEEENS9_16discard_iteratorINS9_11use_defaultEEEfNS9_4plusIvEEfEEDaPvRmT3_T4_T5_mT6_P12ihipStream_tbENKUlT_T0_E_clISt17integral_constantIbLb1EESX_EEDaSS_ST_EUlSS_E_NS1_11comp_targetILNS1_3genE3ELNS1_11target_archE908ELNS1_3gpuE7ELNS1_3repE0EEENS1_30default_config_static_selectorELNS0_4arch9wavefront6targetE1EEEvT1_,comdat
	.protected	_ZN7rocprim17ROCPRIM_400000_NS6detail17trampoline_kernelINS0_14default_configENS1_20scan_config_selectorIfEEZZNS1_9scan_implILNS1_25lookback_scan_determinismE0ELb1ELb1ES3_N6thrust23THRUST_200600_302600_NS6detail15normal_iteratorINS9_10device_ptrIfEEEENS9_16discard_iteratorINS9_11use_defaultEEEfNS9_4plusIvEEfEEDaPvRmT3_T4_T5_mT6_P12ihipStream_tbENKUlT_T0_E_clISt17integral_constantIbLb1EESX_EEDaSS_ST_EUlSS_E_NS1_11comp_targetILNS1_3genE3ELNS1_11target_archE908ELNS1_3gpuE7ELNS1_3repE0EEENS1_30default_config_static_selectorELNS0_4arch9wavefront6targetE1EEEvT1_ ; -- Begin function _ZN7rocprim17ROCPRIM_400000_NS6detail17trampoline_kernelINS0_14default_configENS1_20scan_config_selectorIfEEZZNS1_9scan_implILNS1_25lookback_scan_determinismE0ELb1ELb1ES3_N6thrust23THRUST_200600_302600_NS6detail15normal_iteratorINS9_10device_ptrIfEEEENS9_16discard_iteratorINS9_11use_defaultEEEfNS9_4plusIvEEfEEDaPvRmT3_T4_T5_mT6_P12ihipStream_tbENKUlT_T0_E_clISt17integral_constantIbLb1EESX_EEDaSS_ST_EUlSS_E_NS1_11comp_targetILNS1_3genE3ELNS1_11target_archE908ELNS1_3gpuE7ELNS1_3repE0EEENS1_30default_config_static_selectorELNS0_4arch9wavefront6targetE1EEEvT1_
	.globl	_ZN7rocprim17ROCPRIM_400000_NS6detail17trampoline_kernelINS0_14default_configENS1_20scan_config_selectorIfEEZZNS1_9scan_implILNS1_25lookback_scan_determinismE0ELb1ELb1ES3_N6thrust23THRUST_200600_302600_NS6detail15normal_iteratorINS9_10device_ptrIfEEEENS9_16discard_iteratorINS9_11use_defaultEEEfNS9_4plusIvEEfEEDaPvRmT3_T4_T5_mT6_P12ihipStream_tbENKUlT_T0_E_clISt17integral_constantIbLb1EESX_EEDaSS_ST_EUlSS_E_NS1_11comp_targetILNS1_3genE3ELNS1_11target_archE908ELNS1_3gpuE7ELNS1_3repE0EEENS1_30default_config_static_selectorELNS0_4arch9wavefront6targetE1EEEvT1_
	.p2align	8
	.type	_ZN7rocprim17ROCPRIM_400000_NS6detail17trampoline_kernelINS0_14default_configENS1_20scan_config_selectorIfEEZZNS1_9scan_implILNS1_25lookback_scan_determinismE0ELb1ELb1ES3_N6thrust23THRUST_200600_302600_NS6detail15normal_iteratorINS9_10device_ptrIfEEEENS9_16discard_iteratorINS9_11use_defaultEEEfNS9_4plusIvEEfEEDaPvRmT3_T4_T5_mT6_P12ihipStream_tbENKUlT_T0_E_clISt17integral_constantIbLb1EESX_EEDaSS_ST_EUlSS_E_NS1_11comp_targetILNS1_3genE3ELNS1_11target_archE908ELNS1_3gpuE7ELNS1_3repE0EEENS1_30default_config_static_selectorELNS0_4arch9wavefront6targetE1EEEvT1_,@function
_ZN7rocprim17ROCPRIM_400000_NS6detail17trampoline_kernelINS0_14default_configENS1_20scan_config_selectorIfEEZZNS1_9scan_implILNS1_25lookback_scan_determinismE0ELb1ELb1ES3_N6thrust23THRUST_200600_302600_NS6detail15normal_iteratorINS9_10device_ptrIfEEEENS9_16discard_iteratorINS9_11use_defaultEEEfNS9_4plusIvEEfEEDaPvRmT3_T4_T5_mT6_P12ihipStream_tbENKUlT_T0_E_clISt17integral_constantIbLb1EESX_EEDaSS_ST_EUlSS_E_NS1_11comp_targetILNS1_3genE3ELNS1_11target_archE908ELNS1_3gpuE7ELNS1_3repE0EEENS1_30default_config_static_selectorELNS0_4arch9wavefront6targetE1EEEvT1_: ; @_ZN7rocprim17ROCPRIM_400000_NS6detail17trampoline_kernelINS0_14default_configENS1_20scan_config_selectorIfEEZZNS1_9scan_implILNS1_25lookback_scan_determinismE0ELb1ELb1ES3_N6thrust23THRUST_200600_302600_NS6detail15normal_iteratorINS9_10device_ptrIfEEEENS9_16discard_iteratorINS9_11use_defaultEEEfNS9_4plusIvEEfEEDaPvRmT3_T4_T5_mT6_P12ihipStream_tbENKUlT_T0_E_clISt17integral_constantIbLb1EESX_EEDaSS_ST_EUlSS_E_NS1_11comp_targetILNS1_3genE3ELNS1_11target_archE908ELNS1_3gpuE7ELNS1_3repE0EEENS1_30default_config_static_selectorELNS0_4arch9wavefront6targetE1EEEvT1_
; %bb.0:
	.section	.rodata,"a",@progbits
	.p2align	6, 0x0
	.amdhsa_kernel _ZN7rocprim17ROCPRIM_400000_NS6detail17trampoline_kernelINS0_14default_configENS1_20scan_config_selectorIfEEZZNS1_9scan_implILNS1_25lookback_scan_determinismE0ELb1ELb1ES3_N6thrust23THRUST_200600_302600_NS6detail15normal_iteratorINS9_10device_ptrIfEEEENS9_16discard_iteratorINS9_11use_defaultEEEfNS9_4plusIvEEfEEDaPvRmT3_T4_T5_mT6_P12ihipStream_tbENKUlT_T0_E_clISt17integral_constantIbLb1EESX_EEDaSS_ST_EUlSS_E_NS1_11comp_targetILNS1_3genE3ELNS1_11target_archE908ELNS1_3gpuE7ELNS1_3repE0EEENS1_30default_config_static_selectorELNS0_4arch9wavefront6targetE1EEEvT1_
		.amdhsa_group_segment_fixed_size 0
		.amdhsa_private_segment_fixed_size 0
		.amdhsa_kernarg_size 104
		.amdhsa_user_sgpr_count 6
		.amdhsa_user_sgpr_private_segment_buffer 1
		.amdhsa_user_sgpr_dispatch_ptr 0
		.amdhsa_user_sgpr_queue_ptr 0
		.amdhsa_user_sgpr_kernarg_segment_ptr 1
		.amdhsa_user_sgpr_dispatch_id 0
		.amdhsa_user_sgpr_flat_scratch_init 0
		.amdhsa_user_sgpr_kernarg_preload_length 0
		.amdhsa_user_sgpr_kernarg_preload_offset 0
		.amdhsa_user_sgpr_private_segment_size 0
		.amdhsa_uses_dynamic_stack 0
		.amdhsa_system_sgpr_private_segment_wavefront_offset 0
		.amdhsa_system_sgpr_workgroup_id_x 1
		.amdhsa_system_sgpr_workgroup_id_y 0
		.amdhsa_system_sgpr_workgroup_id_z 0
		.amdhsa_system_sgpr_workgroup_info 0
		.amdhsa_system_vgpr_workitem_id 0
		.amdhsa_next_free_vgpr 1
		.amdhsa_next_free_sgpr 0
		.amdhsa_accum_offset 4
		.amdhsa_reserve_vcc 0
		.amdhsa_reserve_flat_scratch 0
		.amdhsa_float_round_mode_32 0
		.amdhsa_float_round_mode_16_64 0
		.amdhsa_float_denorm_mode_32 3
		.amdhsa_float_denorm_mode_16_64 3
		.amdhsa_dx10_clamp 1
		.amdhsa_ieee_mode 1
		.amdhsa_fp16_overflow 0
		.amdhsa_tg_split 0
		.amdhsa_exception_fp_ieee_invalid_op 0
		.amdhsa_exception_fp_denorm_src 0
		.amdhsa_exception_fp_ieee_div_zero 0
		.amdhsa_exception_fp_ieee_overflow 0
		.amdhsa_exception_fp_ieee_underflow 0
		.amdhsa_exception_fp_ieee_inexact 0
		.amdhsa_exception_int_div_zero 0
	.end_amdhsa_kernel
	.section	.text._ZN7rocprim17ROCPRIM_400000_NS6detail17trampoline_kernelINS0_14default_configENS1_20scan_config_selectorIfEEZZNS1_9scan_implILNS1_25lookback_scan_determinismE0ELb1ELb1ES3_N6thrust23THRUST_200600_302600_NS6detail15normal_iteratorINS9_10device_ptrIfEEEENS9_16discard_iteratorINS9_11use_defaultEEEfNS9_4plusIvEEfEEDaPvRmT3_T4_T5_mT6_P12ihipStream_tbENKUlT_T0_E_clISt17integral_constantIbLb1EESX_EEDaSS_ST_EUlSS_E_NS1_11comp_targetILNS1_3genE3ELNS1_11target_archE908ELNS1_3gpuE7ELNS1_3repE0EEENS1_30default_config_static_selectorELNS0_4arch9wavefront6targetE1EEEvT1_,"axG",@progbits,_ZN7rocprim17ROCPRIM_400000_NS6detail17trampoline_kernelINS0_14default_configENS1_20scan_config_selectorIfEEZZNS1_9scan_implILNS1_25lookback_scan_determinismE0ELb1ELb1ES3_N6thrust23THRUST_200600_302600_NS6detail15normal_iteratorINS9_10device_ptrIfEEEENS9_16discard_iteratorINS9_11use_defaultEEEfNS9_4plusIvEEfEEDaPvRmT3_T4_T5_mT6_P12ihipStream_tbENKUlT_T0_E_clISt17integral_constantIbLb1EESX_EEDaSS_ST_EUlSS_E_NS1_11comp_targetILNS1_3genE3ELNS1_11target_archE908ELNS1_3gpuE7ELNS1_3repE0EEENS1_30default_config_static_selectorELNS0_4arch9wavefront6targetE1EEEvT1_,comdat
.Lfunc_end5099:
	.size	_ZN7rocprim17ROCPRIM_400000_NS6detail17trampoline_kernelINS0_14default_configENS1_20scan_config_selectorIfEEZZNS1_9scan_implILNS1_25lookback_scan_determinismE0ELb1ELb1ES3_N6thrust23THRUST_200600_302600_NS6detail15normal_iteratorINS9_10device_ptrIfEEEENS9_16discard_iteratorINS9_11use_defaultEEEfNS9_4plusIvEEfEEDaPvRmT3_T4_T5_mT6_P12ihipStream_tbENKUlT_T0_E_clISt17integral_constantIbLb1EESX_EEDaSS_ST_EUlSS_E_NS1_11comp_targetILNS1_3genE3ELNS1_11target_archE908ELNS1_3gpuE7ELNS1_3repE0EEENS1_30default_config_static_selectorELNS0_4arch9wavefront6targetE1EEEvT1_, .Lfunc_end5099-_ZN7rocprim17ROCPRIM_400000_NS6detail17trampoline_kernelINS0_14default_configENS1_20scan_config_selectorIfEEZZNS1_9scan_implILNS1_25lookback_scan_determinismE0ELb1ELb1ES3_N6thrust23THRUST_200600_302600_NS6detail15normal_iteratorINS9_10device_ptrIfEEEENS9_16discard_iteratorINS9_11use_defaultEEEfNS9_4plusIvEEfEEDaPvRmT3_T4_T5_mT6_P12ihipStream_tbENKUlT_T0_E_clISt17integral_constantIbLb1EESX_EEDaSS_ST_EUlSS_E_NS1_11comp_targetILNS1_3genE3ELNS1_11target_archE908ELNS1_3gpuE7ELNS1_3repE0EEENS1_30default_config_static_selectorELNS0_4arch9wavefront6targetE1EEEvT1_
                                        ; -- End function
	.section	.AMDGPU.csdata,"",@progbits
; Kernel info:
; codeLenInByte = 0
; NumSgprs: 4
; NumVgprs: 0
; NumAgprs: 0
; TotalNumVgprs: 0
; ScratchSize: 0
; MemoryBound: 0
; FloatMode: 240
; IeeeMode: 1
; LDSByteSize: 0 bytes/workgroup (compile time only)
; SGPRBlocks: 0
; VGPRBlocks: 0
; NumSGPRsForWavesPerEU: 4
; NumVGPRsForWavesPerEU: 1
; AccumOffset: 4
; Occupancy: 8
; WaveLimiterHint : 0
; COMPUTE_PGM_RSRC2:SCRATCH_EN: 0
; COMPUTE_PGM_RSRC2:USER_SGPR: 6
; COMPUTE_PGM_RSRC2:TRAP_HANDLER: 0
; COMPUTE_PGM_RSRC2:TGID_X_EN: 1
; COMPUTE_PGM_RSRC2:TGID_Y_EN: 0
; COMPUTE_PGM_RSRC2:TGID_Z_EN: 0
; COMPUTE_PGM_RSRC2:TIDIG_COMP_CNT: 0
; COMPUTE_PGM_RSRC3_GFX90A:ACCUM_OFFSET: 0
; COMPUTE_PGM_RSRC3_GFX90A:TG_SPLIT: 0
	.section	.text._ZN7rocprim17ROCPRIM_400000_NS6detail17trampoline_kernelINS0_14default_configENS1_20scan_config_selectorIfEEZZNS1_9scan_implILNS1_25lookback_scan_determinismE0ELb1ELb1ES3_N6thrust23THRUST_200600_302600_NS6detail15normal_iteratorINS9_10device_ptrIfEEEENS9_16discard_iteratorINS9_11use_defaultEEEfNS9_4plusIvEEfEEDaPvRmT3_T4_T5_mT6_P12ihipStream_tbENKUlT_T0_E_clISt17integral_constantIbLb1EESX_EEDaSS_ST_EUlSS_E_NS1_11comp_targetILNS1_3genE2ELNS1_11target_archE906ELNS1_3gpuE6ELNS1_3repE0EEENS1_30default_config_static_selectorELNS0_4arch9wavefront6targetE1EEEvT1_,"axG",@progbits,_ZN7rocprim17ROCPRIM_400000_NS6detail17trampoline_kernelINS0_14default_configENS1_20scan_config_selectorIfEEZZNS1_9scan_implILNS1_25lookback_scan_determinismE0ELb1ELb1ES3_N6thrust23THRUST_200600_302600_NS6detail15normal_iteratorINS9_10device_ptrIfEEEENS9_16discard_iteratorINS9_11use_defaultEEEfNS9_4plusIvEEfEEDaPvRmT3_T4_T5_mT6_P12ihipStream_tbENKUlT_T0_E_clISt17integral_constantIbLb1EESX_EEDaSS_ST_EUlSS_E_NS1_11comp_targetILNS1_3genE2ELNS1_11target_archE906ELNS1_3gpuE6ELNS1_3repE0EEENS1_30default_config_static_selectorELNS0_4arch9wavefront6targetE1EEEvT1_,comdat
	.protected	_ZN7rocprim17ROCPRIM_400000_NS6detail17trampoline_kernelINS0_14default_configENS1_20scan_config_selectorIfEEZZNS1_9scan_implILNS1_25lookback_scan_determinismE0ELb1ELb1ES3_N6thrust23THRUST_200600_302600_NS6detail15normal_iteratorINS9_10device_ptrIfEEEENS9_16discard_iteratorINS9_11use_defaultEEEfNS9_4plusIvEEfEEDaPvRmT3_T4_T5_mT6_P12ihipStream_tbENKUlT_T0_E_clISt17integral_constantIbLb1EESX_EEDaSS_ST_EUlSS_E_NS1_11comp_targetILNS1_3genE2ELNS1_11target_archE906ELNS1_3gpuE6ELNS1_3repE0EEENS1_30default_config_static_selectorELNS0_4arch9wavefront6targetE1EEEvT1_ ; -- Begin function _ZN7rocprim17ROCPRIM_400000_NS6detail17trampoline_kernelINS0_14default_configENS1_20scan_config_selectorIfEEZZNS1_9scan_implILNS1_25lookback_scan_determinismE0ELb1ELb1ES3_N6thrust23THRUST_200600_302600_NS6detail15normal_iteratorINS9_10device_ptrIfEEEENS9_16discard_iteratorINS9_11use_defaultEEEfNS9_4plusIvEEfEEDaPvRmT3_T4_T5_mT6_P12ihipStream_tbENKUlT_T0_E_clISt17integral_constantIbLb1EESX_EEDaSS_ST_EUlSS_E_NS1_11comp_targetILNS1_3genE2ELNS1_11target_archE906ELNS1_3gpuE6ELNS1_3repE0EEENS1_30default_config_static_selectorELNS0_4arch9wavefront6targetE1EEEvT1_
	.globl	_ZN7rocprim17ROCPRIM_400000_NS6detail17trampoline_kernelINS0_14default_configENS1_20scan_config_selectorIfEEZZNS1_9scan_implILNS1_25lookback_scan_determinismE0ELb1ELb1ES3_N6thrust23THRUST_200600_302600_NS6detail15normal_iteratorINS9_10device_ptrIfEEEENS9_16discard_iteratorINS9_11use_defaultEEEfNS9_4plusIvEEfEEDaPvRmT3_T4_T5_mT6_P12ihipStream_tbENKUlT_T0_E_clISt17integral_constantIbLb1EESX_EEDaSS_ST_EUlSS_E_NS1_11comp_targetILNS1_3genE2ELNS1_11target_archE906ELNS1_3gpuE6ELNS1_3repE0EEENS1_30default_config_static_selectorELNS0_4arch9wavefront6targetE1EEEvT1_
	.p2align	8
	.type	_ZN7rocprim17ROCPRIM_400000_NS6detail17trampoline_kernelINS0_14default_configENS1_20scan_config_selectorIfEEZZNS1_9scan_implILNS1_25lookback_scan_determinismE0ELb1ELb1ES3_N6thrust23THRUST_200600_302600_NS6detail15normal_iteratorINS9_10device_ptrIfEEEENS9_16discard_iteratorINS9_11use_defaultEEEfNS9_4plusIvEEfEEDaPvRmT3_T4_T5_mT6_P12ihipStream_tbENKUlT_T0_E_clISt17integral_constantIbLb1EESX_EEDaSS_ST_EUlSS_E_NS1_11comp_targetILNS1_3genE2ELNS1_11target_archE906ELNS1_3gpuE6ELNS1_3repE0EEENS1_30default_config_static_selectorELNS0_4arch9wavefront6targetE1EEEvT1_,@function
_ZN7rocprim17ROCPRIM_400000_NS6detail17trampoline_kernelINS0_14default_configENS1_20scan_config_selectorIfEEZZNS1_9scan_implILNS1_25lookback_scan_determinismE0ELb1ELb1ES3_N6thrust23THRUST_200600_302600_NS6detail15normal_iteratorINS9_10device_ptrIfEEEENS9_16discard_iteratorINS9_11use_defaultEEEfNS9_4plusIvEEfEEDaPvRmT3_T4_T5_mT6_P12ihipStream_tbENKUlT_T0_E_clISt17integral_constantIbLb1EESX_EEDaSS_ST_EUlSS_E_NS1_11comp_targetILNS1_3genE2ELNS1_11target_archE906ELNS1_3gpuE6ELNS1_3repE0EEENS1_30default_config_static_selectorELNS0_4arch9wavefront6targetE1EEEvT1_: ; @_ZN7rocprim17ROCPRIM_400000_NS6detail17trampoline_kernelINS0_14default_configENS1_20scan_config_selectorIfEEZZNS1_9scan_implILNS1_25lookback_scan_determinismE0ELb1ELb1ES3_N6thrust23THRUST_200600_302600_NS6detail15normal_iteratorINS9_10device_ptrIfEEEENS9_16discard_iteratorINS9_11use_defaultEEEfNS9_4plusIvEEfEEDaPvRmT3_T4_T5_mT6_P12ihipStream_tbENKUlT_T0_E_clISt17integral_constantIbLb1EESX_EEDaSS_ST_EUlSS_E_NS1_11comp_targetILNS1_3genE2ELNS1_11target_archE906ELNS1_3gpuE6ELNS1_3repE0EEENS1_30default_config_static_selectorELNS0_4arch9wavefront6targetE1EEEvT1_
; %bb.0:
	.section	.rodata,"a",@progbits
	.p2align	6, 0x0
	.amdhsa_kernel _ZN7rocprim17ROCPRIM_400000_NS6detail17trampoline_kernelINS0_14default_configENS1_20scan_config_selectorIfEEZZNS1_9scan_implILNS1_25lookback_scan_determinismE0ELb1ELb1ES3_N6thrust23THRUST_200600_302600_NS6detail15normal_iteratorINS9_10device_ptrIfEEEENS9_16discard_iteratorINS9_11use_defaultEEEfNS9_4plusIvEEfEEDaPvRmT3_T4_T5_mT6_P12ihipStream_tbENKUlT_T0_E_clISt17integral_constantIbLb1EESX_EEDaSS_ST_EUlSS_E_NS1_11comp_targetILNS1_3genE2ELNS1_11target_archE906ELNS1_3gpuE6ELNS1_3repE0EEENS1_30default_config_static_selectorELNS0_4arch9wavefront6targetE1EEEvT1_
		.amdhsa_group_segment_fixed_size 0
		.amdhsa_private_segment_fixed_size 0
		.amdhsa_kernarg_size 104
		.amdhsa_user_sgpr_count 6
		.amdhsa_user_sgpr_private_segment_buffer 1
		.amdhsa_user_sgpr_dispatch_ptr 0
		.amdhsa_user_sgpr_queue_ptr 0
		.amdhsa_user_sgpr_kernarg_segment_ptr 1
		.amdhsa_user_sgpr_dispatch_id 0
		.amdhsa_user_sgpr_flat_scratch_init 0
		.amdhsa_user_sgpr_kernarg_preload_length 0
		.amdhsa_user_sgpr_kernarg_preload_offset 0
		.amdhsa_user_sgpr_private_segment_size 0
		.amdhsa_uses_dynamic_stack 0
		.amdhsa_system_sgpr_private_segment_wavefront_offset 0
		.amdhsa_system_sgpr_workgroup_id_x 1
		.amdhsa_system_sgpr_workgroup_id_y 0
		.amdhsa_system_sgpr_workgroup_id_z 0
		.amdhsa_system_sgpr_workgroup_info 0
		.amdhsa_system_vgpr_workitem_id 0
		.amdhsa_next_free_vgpr 1
		.amdhsa_next_free_sgpr 0
		.amdhsa_accum_offset 4
		.amdhsa_reserve_vcc 0
		.amdhsa_reserve_flat_scratch 0
		.amdhsa_float_round_mode_32 0
		.amdhsa_float_round_mode_16_64 0
		.amdhsa_float_denorm_mode_32 3
		.amdhsa_float_denorm_mode_16_64 3
		.amdhsa_dx10_clamp 1
		.amdhsa_ieee_mode 1
		.amdhsa_fp16_overflow 0
		.amdhsa_tg_split 0
		.amdhsa_exception_fp_ieee_invalid_op 0
		.amdhsa_exception_fp_denorm_src 0
		.amdhsa_exception_fp_ieee_div_zero 0
		.amdhsa_exception_fp_ieee_overflow 0
		.amdhsa_exception_fp_ieee_underflow 0
		.amdhsa_exception_fp_ieee_inexact 0
		.amdhsa_exception_int_div_zero 0
	.end_amdhsa_kernel
	.section	.text._ZN7rocprim17ROCPRIM_400000_NS6detail17trampoline_kernelINS0_14default_configENS1_20scan_config_selectorIfEEZZNS1_9scan_implILNS1_25lookback_scan_determinismE0ELb1ELb1ES3_N6thrust23THRUST_200600_302600_NS6detail15normal_iteratorINS9_10device_ptrIfEEEENS9_16discard_iteratorINS9_11use_defaultEEEfNS9_4plusIvEEfEEDaPvRmT3_T4_T5_mT6_P12ihipStream_tbENKUlT_T0_E_clISt17integral_constantIbLb1EESX_EEDaSS_ST_EUlSS_E_NS1_11comp_targetILNS1_3genE2ELNS1_11target_archE906ELNS1_3gpuE6ELNS1_3repE0EEENS1_30default_config_static_selectorELNS0_4arch9wavefront6targetE1EEEvT1_,"axG",@progbits,_ZN7rocprim17ROCPRIM_400000_NS6detail17trampoline_kernelINS0_14default_configENS1_20scan_config_selectorIfEEZZNS1_9scan_implILNS1_25lookback_scan_determinismE0ELb1ELb1ES3_N6thrust23THRUST_200600_302600_NS6detail15normal_iteratorINS9_10device_ptrIfEEEENS9_16discard_iteratorINS9_11use_defaultEEEfNS9_4plusIvEEfEEDaPvRmT3_T4_T5_mT6_P12ihipStream_tbENKUlT_T0_E_clISt17integral_constantIbLb1EESX_EEDaSS_ST_EUlSS_E_NS1_11comp_targetILNS1_3genE2ELNS1_11target_archE906ELNS1_3gpuE6ELNS1_3repE0EEENS1_30default_config_static_selectorELNS0_4arch9wavefront6targetE1EEEvT1_,comdat
.Lfunc_end5100:
	.size	_ZN7rocprim17ROCPRIM_400000_NS6detail17trampoline_kernelINS0_14default_configENS1_20scan_config_selectorIfEEZZNS1_9scan_implILNS1_25lookback_scan_determinismE0ELb1ELb1ES3_N6thrust23THRUST_200600_302600_NS6detail15normal_iteratorINS9_10device_ptrIfEEEENS9_16discard_iteratorINS9_11use_defaultEEEfNS9_4plusIvEEfEEDaPvRmT3_T4_T5_mT6_P12ihipStream_tbENKUlT_T0_E_clISt17integral_constantIbLb1EESX_EEDaSS_ST_EUlSS_E_NS1_11comp_targetILNS1_3genE2ELNS1_11target_archE906ELNS1_3gpuE6ELNS1_3repE0EEENS1_30default_config_static_selectorELNS0_4arch9wavefront6targetE1EEEvT1_, .Lfunc_end5100-_ZN7rocprim17ROCPRIM_400000_NS6detail17trampoline_kernelINS0_14default_configENS1_20scan_config_selectorIfEEZZNS1_9scan_implILNS1_25lookback_scan_determinismE0ELb1ELb1ES3_N6thrust23THRUST_200600_302600_NS6detail15normal_iteratorINS9_10device_ptrIfEEEENS9_16discard_iteratorINS9_11use_defaultEEEfNS9_4plusIvEEfEEDaPvRmT3_T4_T5_mT6_P12ihipStream_tbENKUlT_T0_E_clISt17integral_constantIbLb1EESX_EEDaSS_ST_EUlSS_E_NS1_11comp_targetILNS1_3genE2ELNS1_11target_archE906ELNS1_3gpuE6ELNS1_3repE0EEENS1_30default_config_static_selectorELNS0_4arch9wavefront6targetE1EEEvT1_
                                        ; -- End function
	.section	.AMDGPU.csdata,"",@progbits
; Kernel info:
; codeLenInByte = 0
; NumSgprs: 4
; NumVgprs: 0
; NumAgprs: 0
; TotalNumVgprs: 0
; ScratchSize: 0
; MemoryBound: 0
; FloatMode: 240
; IeeeMode: 1
; LDSByteSize: 0 bytes/workgroup (compile time only)
; SGPRBlocks: 0
; VGPRBlocks: 0
; NumSGPRsForWavesPerEU: 4
; NumVGPRsForWavesPerEU: 1
; AccumOffset: 4
; Occupancy: 8
; WaveLimiterHint : 0
; COMPUTE_PGM_RSRC2:SCRATCH_EN: 0
; COMPUTE_PGM_RSRC2:USER_SGPR: 6
; COMPUTE_PGM_RSRC2:TRAP_HANDLER: 0
; COMPUTE_PGM_RSRC2:TGID_X_EN: 1
; COMPUTE_PGM_RSRC2:TGID_Y_EN: 0
; COMPUTE_PGM_RSRC2:TGID_Z_EN: 0
; COMPUTE_PGM_RSRC2:TIDIG_COMP_CNT: 0
; COMPUTE_PGM_RSRC3_GFX90A:ACCUM_OFFSET: 0
; COMPUTE_PGM_RSRC3_GFX90A:TG_SPLIT: 0
	.section	.text._ZN7rocprim17ROCPRIM_400000_NS6detail17trampoline_kernelINS0_14default_configENS1_20scan_config_selectorIfEEZZNS1_9scan_implILNS1_25lookback_scan_determinismE0ELb1ELb1ES3_N6thrust23THRUST_200600_302600_NS6detail15normal_iteratorINS9_10device_ptrIfEEEENS9_16discard_iteratorINS9_11use_defaultEEEfNS9_4plusIvEEfEEDaPvRmT3_T4_T5_mT6_P12ihipStream_tbENKUlT_T0_E_clISt17integral_constantIbLb1EESX_EEDaSS_ST_EUlSS_E_NS1_11comp_targetILNS1_3genE10ELNS1_11target_archE1201ELNS1_3gpuE5ELNS1_3repE0EEENS1_30default_config_static_selectorELNS0_4arch9wavefront6targetE1EEEvT1_,"axG",@progbits,_ZN7rocprim17ROCPRIM_400000_NS6detail17trampoline_kernelINS0_14default_configENS1_20scan_config_selectorIfEEZZNS1_9scan_implILNS1_25lookback_scan_determinismE0ELb1ELb1ES3_N6thrust23THRUST_200600_302600_NS6detail15normal_iteratorINS9_10device_ptrIfEEEENS9_16discard_iteratorINS9_11use_defaultEEEfNS9_4plusIvEEfEEDaPvRmT3_T4_T5_mT6_P12ihipStream_tbENKUlT_T0_E_clISt17integral_constantIbLb1EESX_EEDaSS_ST_EUlSS_E_NS1_11comp_targetILNS1_3genE10ELNS1_11target_archE1201ELNS1_3gpuE5ELNS1_3repE0EEENS1_30default_config_static_selectorELNS0_4arch9wavefront6targetE1EEEvT1_,comdat
	.protected	_ZN7rocprim17ROCPRIM_400000_NS6detail17trampoline_kernelINS0_14default_configENS1_20scan_config_selectorIfEEZZNS1_9scan_implILNS1_25lookback_scan_determinismE0ELb1ELb1ES3_N6thrust23THRUST_200600_302600_NS6detail15normal_iteratorINS9_10device_ptrIfEEEENS9_16discard_iteratorINS9_11use_defaultEEEfNS9_4plusIvEEfEEDaPvRmT3_T4_T5_mT6_P12ihipStream_tbENKUlT_T0_E_clISt17integral_constantIbLb1EESX_EEDaSS_ST_EUlSS_E_NS1_11comp_targetILNS1_3genE10ELNS1_11target_archE1201ELNS1_3gpuE5ELNS1_3repE0EEENS1_30default_config_static_selectorELNS0_4arch9wavefront6targetE1EEEvT1_ ; -- Begin function _ZN7rocprim17ROCPRIM_400000_NS6detail17trampoline_kernelINS0_14default_configENS1_20scan_config_selectorIfEEZZNS1_9scan_implILNS1_25lookback_scan_determinismE0ELb1ELb1ES3_N6thrust23THRUST_200600_302600_NS6detail15normal_iteratorINS9_10device_ptrIfEEEENS9_16discard_iteratorINS9_11use_defaultEEEfNS9_4plusIvEEfEEDaPvRmT3_T4_T5_mT6_P12ihipStream_tbENKUlT_T0_E_clISt17integral_constantIbLb1EESX_EEDaSS_ST_EUlSS_E_NS1_11comp_targetILNS1_3genE10ELNS1_11target_archE1201ELNS1_3gpuE5ELNS1_3repE0EEENS1_30default_config_static_selectorELNS0_4arch9wavefront6targetE1EEEvT1_
	.globl	_ZN7rocprim17ROCPRIM_400000_NS6detail17trampoline_kernelINS0_14default_configENS1_20scan_config_selectorIfEEZZNS1_9scan_implILNS1_25lookback_scan_determinismE0ELb1ELb1ES3_N6thrust23THRUST_200600_302600_NS6detail15normal_iteratorINS9_10device_ptrIfEEEENS9_16discard_iteratorINS9_11use_defaultEEEfNS9_4plusIvEEfEEDaPvRmT3_T4_T5_mT6_P12ihipStream_tbENKUlT_T0_E_clISt17integral_constantIbLb1EESX_EEDaSS_ST_EUlSS_E_NS1_11comp_targetILNS1_3genE10ELNS1_11target_archE1201ELNS1_3gpuE5ELNS1_3repE0EEENS1_30default_config_static_selectorELNS0_4arch9wavefront6targetE1EEEvT1_
	.p2align	8
	.type	_ZN7rocprim17ROCPRIM_400000_NS6detail17trampoline_kernelINS0_14default_configENS1_20scan_config_selectorIfEEZZNS1_9scan_implILNS1_25lookback_scan_determinismE0ELb1ELb1ES3_N6thrust23THRUST_200600_302600_NS6detail15normal_iteratorINS9_10device_ptrIfEEEENS9_16discard_iteratorINS9_11use_defaultEEEfNS9_4plusIvEEfEEDaPvRmT3_T4_T5_mT6_P12ihipStream_tbENKUlT_T0_E_clISt17integral_constantIbLb1EESX_EEDaSS_ST_EUlSS_E_NS1_11comp_targetILNS1_3genE10ELNS1_11target_archE1201ELNS1_3gpuE5ELNS1_3repE0EEENS1_30default_config_static_selectorELNS0_4arch9wavefront6targetE1EEEvT1_,@function
_ZN7rocprim17ROCPRIM_400000_NS6detail17trampoline_kernelINS0_14default_configENS1_20scan_config_selectorIfEEZZNS1_9scan_implILNS1_25lookback_scan_determinismE0ELb1ELb1ES3_N6thrust23THRUST_200600_302600_NS6detail15normal_iteratorINS9_10device_ptrIfEEEENS9_16discard_iteratorINS9_11use_defaultEEEfNS9_4plusIvEEfEEDaPvRmT3_T4_T5_mT6_P12ihipStream_tbENKUlT_T0_E_clISt17integral_constantIbLb1EESX_EEDaSS_ST_EUlSS_E_NS1_11comp_targetILNS1_3genE10ELNS1_11target_archE1201ELNS1_3gpuE5ELNS1_3repE0EEENS1_30default_config_static_selectorELNS0_4arch9wavefront6targetE1EEEvT1_: ; @_ZN7rocprim17ROCPRIM_400000_NS6detail17trampoline_kernelINS0_14default_configENS1_20scan_config_selectorIfEEZZNS1_9scan_implILNS1_25lookback_scan_determinismE0ELb1ELb1ES3_N6thrust23THRUST_200600_302600_NS6detail15normal_iteratorINS9_10device_ptrIfEEEENS9_16discard_iteratorINS9_11use_defaultEEEfNS9_4plusIvEEfEEDaPvRmT3_T4_T5_mT6_P12ihipStream_tbENKUlT_T0_E_clISt17integral_constantIbLb1EESX_EEDaSS_ST_EUlSS_E_NS1_11comp_targetILNS1_3genE10ELNS1_11target_archE1201ELNS1_3gpuE5ELNS1_3repE0EEENS1_30default_config_static_selectorELNS0_4arch9wavefront6targetE1EEEvT1_
; %bb.0:
	.section	.rodata,"a",@progbits
	.p2align	6, 0x0
	.amdhsa_kernel _ZN7rocprim17ROCPRIM_400000_NS6detail17trampoline_kernelINS0_14default_configENS1_20scan_config_selectorIfEEZZNS1_9scan_implILNS1_25lookback_scan_determinismE0ELb1ELb1ES3_N6thrust23THRUST_200600_302600_NS6detail15normal_iteratorINS9_10device_ptrIfEEEENS9_16discard_iteratorINS9_11use_defaultEEEfNS9_4plusIvEEfEEDaPvRmT3_T4_T5_mT6_P12ihipStream_tbENKUlT_T0_E_clISt17integral_constantIbLb1EESX_EEDaSS_ST_EUlSS_E_NS1_11comp_targetILNS1_3genE10ELNS1_11target_archE1201ELNS1_3gpuE5ELNS1_3repE0EEENS1_30default_config_static_selectorELNS0_4arch9wavefront6targetE1EEEvT1_
		.amdhsa_group_segment_fixed_size 0
		.amdhsa_private_segment_fixed_size 0
		.amdhsa_kernarg_size 104
		.amdhsa_user_sgpr_count 6
		.amdhsa_user_sgpr_private_segment_buffer 1
		.amdhsa_user_sgpr_dispatch_ptr 0
		.amdhsa_user_sgpr_queue_ptr 0
		.amdhsa_user_sgpr_kernarg_segment_ptr 1
		.amdhsa_user_sgpr_dispatch_id 0
		.amdhsa_user_sgpr_flat_scratch_init 0
		.amdhsa_user_sgpr_kernarg_preload_length 0
		.amdhsa_user_sgpr_kernarg_preload_offset 0
		.amdhsa_user_sgpr_private_segment_size 0
		.amdhsa_uses_dynamic_stack 0
		.amdhsa_system_sgpr_private_segment_wavefront_offset 0
		.amdhsa_system_sgpr_workgroup_id_x 1
		.amdhsa_system_sgpr_workgroup_id_y 0
		.amdhsa_system_sgpr_workgroup_id_z 0
		.amdhsa_system_sgpr_workgroup_info 0
		.amdhsa_system_vgpr_workitem_id 0
		.amdhsa_next_free_vgpr 1
		.amdhsa_next_free_sgpr 0
		.amdhsa_accum_offset 4
		.amdhsa_reserve_vcc 0
		.amdhsa_reserve_flat_scratch 0
		.amdhsa_float_round_mode_32 0
		.amdhsa_float_round_mode_16_64 0
		.amdhsa_float_denorm_mode_32 3
		.amdhsa_float_denorm_mode_16_64 3
		.amdhsa_dx10_clamp 1
		.amdhsa_ieee_mode 1
		.amdhsa_fp16_overflow 0
		.amdhsa_tg_split 0
		.amdhsa_exception_fp_ieee_invalid_op 0
		.amdhsa_exception_fp_denorm_src 0
		.amdhsa_exception_fp_ieee_div_zero 0
		.amdhsa_exception_fp_ieee_overflow 0
		.amdhsa_exception_fp_ieee_underflow 0
		.amdhsa_exception_fp_ieee_inexact 0
		.amdhsa_exception_int_div_zero 0
	.end_amdhsa_kernel
	.section	.text._ZN7rocprim17ROCPRIM_400000_NS6detail17trampoline_kernelINS0_14default_configENS1_20scan_config_selectorIfEEZZNS1_9scan_implILNS1_25lookback_scan_determinismE0ELb1ELb1ES3_N6thrust23THRUST_200600_302600_NS6detail15normal_iteratorINS9_10device_ptrIfEEEENS9_16discard_iteratorINS9_11use_defaultEEEfNS9_4plusIvEEfEEDaPvRmT3_T4_T5_mT6_P12ihipStream_tbENKUlT_T0_E_clISt17integral_constantIbLb1EESX_EEDaSS_ST_EUlSS_E_NS1_11comp_targetILNS1_3genE10ELNS1_11target_archE1201ELNS1_3gpuE5ELNS1_3repE0EEENS1_30default_config_static_selectorELNS0_4arch9wavefront6targetE1EEEvT1_,"axG",@progbits,_ZN7rocprim17ROCPRIM_400000_NS6detail17trampoline_kernelINS0_14default_configENS1_20scan_config_selectorIfEEZZNS1_9scan_implILNS1_25lookback_scan_determinismE0ELb1ELb1ES3_N6thrust23THRUST_200600_302600_NS6detail15normal_iteratorINS9_10device_ptrIfEEEENS9_16discard_iteratorINS9_11use_defaultEEEfNS9_4plusIvEEfEEDaPvRmT3_T4_T5_mT6_P12ihipStream_tbENKUlT_T0_E_clISt17integral_constantIbLb1EESX_EEDaSS_ST_EUlSS_E_NS1_11comp_targetILNS1_3genE10ELNS1_11target_archE1201ELNS1_3gpuE5ELNS1_3repE0EEENS1_30default_config_static_selectorELNS0_4arch9wavefront6targetE1EEEvT1_,comdat
.Lfunc_end5101:
	.size	_ZN7rocprim17ROCPRIM_400000_NS6detail17trampoline_kernelINS0_14default_configENS1_20scan_config_selectorIfEEZZNS1_9scan_implILNS1_25lookback_scan_determinismE0ELb1ELb1ES3_N6thrust23THRUST_200600_302600_NS6detail15normal_iteratorINS9_10device_ptrIfEEEENS9_16discard_iteratorINS9_11use_defaultEEEfNS9_4plusIvEEfEEDaPvRmT3_T4_T5_mT6_P12ihipStream_tbENKUlT_T0_E_clISt17integral_constantIbLb1EESX_EEDaSS_ST_EUlSS_E_NS1_11comp_targetILNS1_3genE10ELNS1_11target_archE1201ELNS1_3gpuE5ELNS1_3repE0EEENS1_30default_config_static_selectorELNS0_4arch9wavefront6targetE1EEEvT1_, .Lfunc_end5101-_ZN7rocprim17ROCPRIM_400000_NS6detail17trampoline_kernelINS0_14default_configENS1_20scan_config_selectorIfEEZZNS1_9scan_implILNS1_25lookback_scan_determinismE0ELb1ELb1ES3_N6thrust23THRUST_200600_302600_NS6detail15normal_iteratorINS9_10device_ptrIfEEEENS9_16discard_iteratorINS9_11use_defaultEEEfNS9_4plusIvEEfEEDaPvRmT3_T4_T5_mT6_P12ihipStream_tbENKUlT_T0_E_clISt17integral_constantIbLb1EESX_EEDaSS_ST_EUlSS_E_NS1_11comp_targetILNS1_3genE10ELNS1_11target_archE1201ELNS1_3gpuE5ELNS1_3repE0EEENS1_30default_config_static_selectorELNS0_4arch9wavefront6targetE1EEEvT1_
                                        ; -- End function
	.section	.AMDGPU.csdata,"",@progbits
; Kernel info:
; codeLenInByte = 0
; NumSgprs: 4
; NumVgprs: 0
; NumAgprs: 0
; TotalNumVgprs: 0
; ScratchSize: 0
; MemoryBound: 0
; FloatMode: 240
; IeeeMode: 1
; LDSByteSize: 0 bytes/workgroup (compile time only)
; SGPRBlocks: 0
; VGPRBlocks: 0
; NumSGPRsForWavesPerEU: 4
; NumVGPRsForWavesPerEU: 1
; AccumOffset: 4
; Occupancy: 8
; WaveLimiterHint : 0
; COMPUTE_PGM_RSRC2:SCRATCH_EN: 0
; COMPUTE_PGM_RSRC2:USER_SGPR: 6
; COMPUTE_PGM_RSRC2:TRAP_HANDLER: 0
; COMPUTE_PGM_RSRC2:TGID_X_EN: 1
; COMPUTE_PGM_RSRC2:TGID_Y_EN: 0
; COMPUTE_PGM_RSRC2:TGID_Z_EN: 0
; COMPUTE_PGM_RSRC2:TIDIG_COMP_CNT: 0
; COMPUTE_PGM_RSRC3_GFX90A:ACCUM_OFFSET: 0
; COMPUTE_PGM_RSRC3_GFX90A:TG_SPLIT: 0
	.section	.text._ZN7rocprim17ROCPRIM_400000_NS6detail17trampoline_kernelINS0_14default_configENS1_20scan_config_selectorIfEEZZNS1_9scan_implILNS1_25lookback_scan_determinismE0ELb1ELb1ES3_N6thrust23THRUST_200600_302600_NS6detail15normal_iteratorINS9_10device_ptrIfEEEENS9_16discard_iteratorINS9_11use_defaultEEEfNS9_4plusIvEEfEEDaPvRmT3_T4_T5_mT6_P12ihipStream_tbENKUlT_T0_E_clISt17integral_constantIbLb1EESX_EEDaSS_ST_EUlSS_E_NS1_11comp_targetILNS1_3genE10ELNS1_11target_archE1200ELNS1_3gpuE4ELNS1_3repE0EEENS1_30default_config_static_selectorELNS0_4arch9wavefront6targetE1EEEvT1_,"axG",@progbits,_ZN7rocprim17ROCPRIM_400000_NS6detail17trampoline_kernelINS0_14default_configENS1_20scan_config_selectorIfEEZZNS1_9scan_implILNS1_25lookback_scan_determinismE0ELb1ELb1ES3_N6thrust23THRUST_200600_302600_NS6detail15normal_iteratorINS9_10device_ptrIfEEEENS9_16discard_iteratorINS9_11use_defaultEEEfNS9_4plusIvEEfEEDaPvRmT3_T4_T5_mT6_P12ihipStream_tbENKUlT_T0_E_clISt17integral_constantIbLb1EESX_EEDaSS_ST_EUlSS_E_NS1_11comp_targetILNS1_3genE10ELNS1_11target_archE1200ELNS1_3gpuE4ELNS1_3repE0EEENS1_30default_config_static_selectorELNS0_4arch9wavefront6targetE1EEEvT1_,comdat
	.protected	_ZN7rocprim17ROCPRIM_400000_NS6detail17trampoline_kernelINS0_14default_configENS1_20scan_config_selectorIfEEZZNS1_9scan_implILNS1_25lookback_scan_determinismE0ELb1ELb1ES3_N6thrust23THRUST_200600_302600_NS6detail15normal_iteratorINS9_10device_ptrIfEEEENS9_16discard_iteratorINS9_11use_defaultEEEfNS9_4plusIvEEfEEDaPvRmT3_T4_T5_mT6_P12ihipStream_tbENKUlT_T0_E_clISt17integral_constantIbLb1EESX_EEDaSS_ST_EUlSS_E_NS1_11comp_targetILNS1_3genE10ELNS1_11target_archE1200ELNS1_3gpuE4ELNS1_3repE0EEENS1_30default_config_static_selectorELNS0_4arch9wavefront6targetE1EEEvT1_ ; -- Begin function _ZN7rocprim17ROCPRIM_400000_NS6detail17trampoline_kernelINS0_14default_configENS1_20scan_config_selectorIfEEZZNS1_9scan_implILNS1_25lookback_scan_determinismE0ELb1ELb1ES3_N6thrust23THRUST_200600_302600_NS6detail15normal_iteratorINS9_10device_ptrIfEEEENS9_16discard_iteratorINS9_11use_defaultEEEfNS9_4plusIvEEfEEDaPvRmT3_T4_T5_mT6_P12ihipStream_tbENKUlT_T0_E_clISt17integral_constantIbLb1EESX_EEDaSS_ST_EUlSS_E_NS1_11comp_targetILNS1_3genE10ELNS1_11target_archE1200ELNS1_3gpuE4ELNS1_3repE0EEENS1_30default_config_static_selectorELNS0_4arch9wavefront6targetE1EEEvT1_
	.globl	_ZN7rocprim17ROCPRIM_400000_NS6detail17trampoline_kernelINS0_14default_configENS1_20scan_config_selectorIfEEZZNS1_9scan_implILNS1_25lookback_scan_determinismE0ELb1ELb1ES3_N6thrust23THRUST_200600_302600_NS6detail15normal_iteratorINS9_10device_ptrIfEEEENS9_16discard_iteratorINS9_11use_defaultEEEfNS9_4plusIvEEfEEDaPvRmT3_T4_T5_mT6_P12ihipStream_tbENKUlT_T0_E_clISt17integral_constantIbLb1EESX_EEDaSS_ST_EUlSS_E_NS1_11comp_targetILNS1_3genE10ELNS1_11target_archE1200ELNS1_3gpuE4ELNS1_3repE0EEENS1_30default_config_static_selectorELNS0_4arch9wavefront6targetE1EEEvT1_
	.p2align	8
	.type	_ZN7rocprim17ROCPRIM_400000_NS6detail17trampoline_kernelINS0_14default_configENS1_20scan_config_selectorIfEEZZNS1_9scan_implILNS1_25lookback_scan_determinismE0ELb1ELb1ES3_N6thrust23THRUST_200600_302600_NS6detail15normal_iteratorINS9_10device_ptrIfEEEENS9_16discard_iteratorINS9_11use_defaultEEEfNS9_4plusIvEEfEEDaPvRmT3_T4_T5_mT6_P12ihipStream_tbENKUlT_T0_E_clISt17integral_constantIbLb1EESX_EEDaSS_ST_EUlSS_E_NS1_11comp_targetILNS1_3genE10ELNS1_11target_archE1200ELNS1_3gpuE4ELNS1_3repE0EEENS1_30default_config_static_selectorELNS0_4arch9wavefront6targetE1EEEvT1_,@function
_ZN7rocprim17ROCPRIM_400000_NS6detail17trampoline_kernelINS0_14default_configENS1_20scan_config_selectorIfEEZZNS1_9scan_implILNS1_25lookback_scan_determinismE0ELb1ELb1ES3_N6thrust23THRUST_200600_302600_NS6detail15normal_iteratorINS9_10device_ptrIfEEEENS9_16discard_iteratorINS9_11use_defaultEEEfNS9_4plusIvEEfEEDaPvRmT3_T4_T5_mT6_P12ihipStream_tbENKUlT_T0_E_clISt17integral_constantIbLb1EESX_EEDaSS_ST_EUlSS_E_NS1_11comp_targetILNS1_3genE10ELNS1_11target_archE1200ELNS1_3gpuE4ELNS1_3repE0EEENS1_30default_config_static_selectorELNS0_4arch9wavefront6targetE1EEEvT1_: ; @_ZN7rocprim17ROCPRIM_400000_NS6detail17trampoline_kernelINS0_14default_configENS1_20scan_config_selectorIfEEZZNS1_9scan_implILNS1_25lookback_scan_determinismE0ELb1ELb1ES3_N6thrust23THRUST_200600_302600_NS6detail15normal_iteratorINS9_10device_ptrIfEEEENS9_16discard_iteratorINS9_11use_defaultEEEfNS9_4plusIvEEfEEDaPvRmT3_T4_T5_mT6_P12ihipStream_tbENKUlT_T0_E_clISt17integral_constantIbLb1EESX_EEDaSS_ST_EUlSS_E_NS1_11comp_targetILNS1_3genE10ELNS1_11target_archE1200ELNS1_3gpuE4ELNS1_3repE0EEENS1_30default_config_static_selectorELNS0_4arch9wavefront6targetE1EEEvT1_
; %bb.0:
	.section	.rodata,"a",@progbits
	.p2align	6, 0x0
	.amdhsa_kernel _ZN7rocprim17ROCPRIM_400000_NS6detail17trampoline_kernelINS0_14default_configENS1_20scan_config_selectorIfEEZZNS1_9scan_implILNS1_25lookback_scan_determinismE0ELb1ELb1ES3_N6thrust23THRUST_200600_302600_NS6detail15normal_iteratorINS9_10device_ptrIfEEEENS9_16discard_iteratorINS9_11use_defaultEEEfNS9_4plusIvEEfEEDaPvRmT3_T4_T5_mT6_P12ihipStream_tbENKUlT_T0_E_clISt17integral_constantIbLb1EESX_EEDaSS_ST_EUlSS_E_NS1_11comp_targetILNS1_3genE10ELNS1_11target_archE1200ELNS1_3gpuE4ELNS1_3repE0EEENS1_30default_config_static_selectorELNS0_4arch9wavefront6targetE1EEEvT1_
		.amdhsa_group_segment_fixed_size 0
		.amdhsa_private_segment_fixed_size 0
		.amdhsa_kernarg_size 104
		.amdhsa_user_sgpr_count 6
		.amdhsa_user_sgpr_private_segment_buffer 1
		.amdhsa_user_sgpr_dispatch_ptr 0
		.amdhsa_user_sgpr_queue_ptr 0
		.amdhsa_user_sgpr_kernarg_segment_ptr 1
		.amdhsa_user_sgpr_dispatch_id 0
		.amdhsa_user_sgpr_flat_scratch_init 0
		.amdhsa_user_sgpr_kernarg_preload_length 0
		.amdhsa_user_sgpr_kernarg_preload_offset 0
		.amdhsa_user_sgpr_private_segment_size 0
		.amdhsa_uses_dynamic_stack 0
		.amdhsa_system_sgpr_private_segment_wavefront_offset 0
		.amdhsa_system_sgpr_workgroup_id_x 1
		.amdhsa_system_sgpr_workgroup_id_y 0
		.amdhsa_system_sgpr_workgroup_id_z 0
		.amdhsa_system_sgpr_workgroup_info 0
		.amdhsa_system_vgpr_workitem_id 0
		.amdhsa_next_free_vgpr 1
		.amdhsa_next_free_sgpr 0
		.amdhsa_accum_offset 4
		.amdhsa_reserve_vcc 0
		.amdhsa_reserve_flat_scratch 0
		.amdhsa_float_round_mode_32 0
		.amdhsa_float_round_mode_16_64 0
		.amdhsa_float_denorm_mode_32 3
		.amdhsa_float_denorm_mode_16_64 3
		.amdhsa_dx10_clamp 1
		.amdhsa_ieee_mode 1
		.amdhsa_fp16_overflow 0
		.amdhsa_tg_split 0
		.amdhsa_exception_fp_ieee_invalid_op 0
		.amdhsa_exception_fp_denorm_src 0
		.amdhsa_exception_fp_ieee_div_zero 0
		.amdhsa_exception_fp_ieee_overflow 0
		.amdhsa_exception_fp_ieee_underflow 0
		.amdhsa_exception_fp_ieee_inexact 0
		.amdhsa_exception_int_div_zero 0
	.end_amdhsa_kernel
	.section	.text._ZN7rocprim17ROCPRIM_400000_NS6detail17trampoline_kernelINS0_14default_configENS1_20scan_config_selectorIfEEZZNS1_9scan_implILNS1_25lookback_scan_determinismE0ELb1ELb1ES3_N6thrust23THRUST_200600_302600_NS6detail15normal_iteratorINS9_10device_ptrIfEEEENS9_16discard_iteratorINS9_11use_defaultEEEfNS9_4plusIvEEfEEDaPvRmT3_T4_T5_mT6_P12ihipStream_tbENKUlT_T0_E_clISt17integral_constantIbLb1EESX_EEDaSS_ST_EUlSS_E_NS1_11comp_targetILNS1_3genE10ELNS1_11target_archE1200ELNS1_3gpuE4ELNS1_3repE0EEENS1_30default_config_static_selectorELNS0_4arch9wavefront6targetE1EEEvT1_,"axG",@progbits,_ZN7rocprim17ROCPRIM_400000_NS6detail17trampoline_kernelINS0_14default_configENS1_20scan_config_selectorIfEEZZNS1_9scan_implILNS1_25lookback_scan_determinismE0ELb1ELb1ES3_N6thrust23THRUST_200600_302600_NS6detail15normal_iteratorINS9_10device_ptrIfEEEENS9_16discard_iteratorINS9_11use_defaultEEEfNS9_4plusIvEEfEEDaPvRmT3_T4_T5_mT6_P12ihipStream_tbENKUlT_T0_E_clISt17integral_constantIbLb1EESX_EEDaSS_ST_EUlSS_E_NS1_11comp_targetILNS1_3genE10ELNS1_11target_archE1200ELNS1_3gpuE4ELNS1_3repE0EEENS1_30default_config_static_selectorELNS0_4arch9wavefront6targetE1EEEvT1_,comdat
.Lfunc_end5102:
	.size	_ZN7rocprim17ROCPRIM_400000_NS6detail17trampoline_kernelINS0_14default_configENS1_20scan_config_selectorIfEEZZNS1_9scan_implILNS1_25lookback_scan_determinismE0ELb1ELb1ES3_N6thrust23THRUST_200600_302600_NS6detail15normal_iteratorINS9_10device_ptrIfEEEENS9_16discard_iteratorINS9_11use_defaultEEEfNS9_4plusIvEEfEEDaPvRmT3_T4_T5_mT6_P12ihipStream_tbENKUlT_T0_E_clISt17integral_constantIbLb1EESX_EEDaSS_ST_EUlSS_E_NS1_11comp_targetILNS1_3genE10ELNS1_11target_archE1200ELNS1_3gpuE4ELNS1_3repE0EEENS1_30default_config_static_selectorELNS0_4arch9wavefront6targetE1EEEvT1_, .Lfunc_end5102-_ZN7rocprim17ROCPRIM_400000_NS6detail17trampoline_kernelINS0_14default_configENS1_20scan_config_selectorIfEEZZNS1_9scan_implILNS1_25lookback_scan_determinismE0ELb1ELb1ES3_N6thrust23THRUST_200600_302600_NS6detail15normal_iteratorINS9_10device_ptrIfEEEENS9_16discard_iteratorINS9_11use_defaultEEEfNS9_4plusIvEEfEEDaPvRmT3_T4_T5_mT6_P12ihipStream_tbENKUlT_T0_E_clISt17integral_constantIbLb1EESX_EEDaSS_ST_EUlSS_E_NS1_11comp_targetILNS1_3genE10ELNS1_11target_archE1200ELNS1_3gpuE4ELNS1_3repE0EEENS1_30default_config_static_selectorELNS0_4arch9wavefront6targetE1EEEvT1_
                                        ; -- End function
	.section	.AMDGPU.csdata,"",@progbits
; Kernel info:
; codeLenInByte = 0
; NumSgprs: 4
; NumVgprs: 0
; NumAgprs: 0
; TotalNumVgprs: 0
; ScratchSize: 0
; MemoryBound: 0
; FloatMode: 240
; IeeeMode: 1
; LDSByteSize: 0 bytes/workgroup (compile time only)
; SGPRBlocks: 0
; VGPRBlocks: 0
; NumSGPRsForWavesPerEU: 4
; NumVGPRsForWavesPerEU: 1
; AccumOffset: 4
; Occupancy: 8
; WaveLimiterHint : 0
; COMPUTE_PGM_RSRC2:SCRATCH_EN: 0
; COMPUTE_PGM_RSRC2:USER_SGPR: 6
; COMPUTE_PGM_RSRC2:TRAP_HANDLER: 0
; COMPUTE_PGM_RSRC2:TGID_X_EN: 1
; COMPUTE_PGM_RSRC2:TGID_Y_EN: 0
; COMPUTE_PGM_RSRC2:TGID_Z_EN: 0
; COMPUTE_PGM_RSRC2:TIDIG_COMP_CNT: 0
; COMPUTE_PGM_RSRC3_GFX90A:ACCUM_OFFSET: 0
; COMPUTE_PGM_RSRC3_GFX90A:TG_SPLIT: 0
	.section	.text._ZN7rocprim17ROCPRIM_400000_NS6detail17trampoline_kernelINS0_14default_configENS1_20scan_config_selectorIfEEZZNS1_9scan_implILNS1_25lookback_scan_determinismE0ELb1ELb1ES3_N6thrust23THRUST_200600_302600_NS6detail15normal_iteratorINS9_10device_ptrIfEEEENS9_16discard_iteratorINS9_11use_defaultEEEfNS9_4plusIvEEfEEDaPvRmT3_T4_T5_mT6_P12ihipStream_tbENKUlT_T0_E_clISt17integral_constantIbLb1EESX_EEDaSS_ST_EUlSS_E_NS1_11comp_targetILNS1_3genE9ELNS1_11target_archE1100ELNS1_3gpuE3ELNS1_3repE0EEENS1_30default_config_static_selectorELNS0_4arch9wavefront6targetE1EEEvT1_,"axG",@progbits,_ZN7rocprim17ROCPRIM_400000_NS6detail17trampoline_kernelINS0_14default_configENS1_20scan_config_selectorIfEEZZNS1_9scan_implILNS1_25lookback_scan_determinismE0ELb1ELb1ES3_N6thrust23THRUST_200600_302600_NS6detail15normal_iteratorINS9_10device_ptrIfEEEENS9_16discard_iteratorINS9_11use_defaultEEEfNS9_4plusIvEEfEEDaPvRmT3_T4_T5_mT6_P12ihipStream_tbENKUlT_T0_E_clISt17integral_constantIbLb1EESX_EEDaSS_ST_EUlSS_E_NS1_11comp_targetILNS1_3genE9ELNS1_11target_archE1100ELNS1_3gpuE3ELNS1_3repE0EEENS1_30default_config_static_selectorELNS0_4arch9wavefront6targetE1EEEvT1_,comdat
	.protected	_ZN7rocprim17ROCPRIM_400000_NS6detail17trampoline_kernelINS0_14default_configENS1_20scan_config_selectorIfEEZZNS1_9scan_implILNS1_25lookback_scan_determinismE0ELb1ELb1ES3_N6thrust23THRUST_200600_302600_NS6detail15normal_iteratorINS9_10device_ptrIfEEEENS9_16discard_iteratorINS9_11use_defaultEEEfNS9_4plusIvEEfEEDaPvRmT3_T4_T5_mT6_P12ihipStream_tbENKUlT_T0_E_clISt17integral_constantIbLb1EESX_EEDaSS_ST_EUlSS_E_NS1_11comp_targetILNS1_3genE9ELNS1_11target_archE1100ELNS1_3gpuE3ELNS1_3repE0EEENS1_30default_config_static_selectorELNS0_4arch9wavefront6targetE1EEEvT1_ ; -- Begin function _ZN7rocprim17ROCPRIM_400000_NS6detail17trampoline_kernelINS0_14default_configENS1_20scan_config_selectorIfEEZZNS1_9scan_implILNS1_25lookback_scan_determinismE0ELb1ELb1ES3_N6thrust23THRUST_200600_302600_NS6detail15normal_iteratorINS9_10device_ptrIfEEEENS9_16discard_iteratorINS9_11use_defaultEEEfNS9_4plusIvEEfEEDaPvRmT3_T4_T5_mT6_P12ihipStream_tbENKUlT_T0_E_clISt17integral_constantIbLb1EESX_EEDaSS_ST_EUlSS_E_NS1_11comp_targetILNS1_3genE9ELNS1_11target_archE1100ELNS1_3gpuE3ELNS1_3repE0EEENS1_30default_config_static_selectorELNS0_4arch9wavefront6targetE1EEEvT1_
	.globl	_ZN7rocprim17ROCPRIM_400000_NS6detail17trampoline_kernelINS0_14default_configENS1_20scan_config_selectorIfEEZZNS1_9scan_implILNS1_25lookback_scan_determinismE0ELb1ELb1ES3_N6thrust23THRUST_200600_302600_NS6detail15normal_iteratorINS9_10device_ptrIfEEEENS9_16discard_iteratorINS9_11use_defaultEEEfNS9_4plusIvEEfEEDaPvRmT3_T4_T5_mT6_P12ihipStream_tbENKUlT_T0_E_clISt17integral_constantIbLb1EESX_EEDaSS_ST_EUlSS_E_NS1_11comp_targetILNS1_3genE9ELNS1_11target_archE1100ELNS1_3gpuE3ELNS1_3repE0EEENS1_30default_config_static_selectorELNS0_4arch9wavefront6targetE1EEEvT1_
	.p2align	8
	.type	_ZN7rocprim17ROCPRIM_400000_NS6detail17trampoline_kernelINS0_14default_configENS1_20scan_config_selectorIfEEZZNS1_9scan_implILNS1_25lookback_scan_determinismE0ELb1ELb1ES3_N6thrust23THRUST_200600_302600_NS6detail15normal_iteratorINS9_10device_ptrIfEEEENS9_16discard_iteratorINS9_11use_defaultEEEfNS9_4plusIvEEfEEDaPvRmT3_T4_T5_mT6_P12ihipStream_tbENKUlT_T0_E_clISt17integral_constantIbLb1EESX_EEDaSS_ST_EUlSS_E_NS1_11comp_targetILNS1_3genE9ELNS1_11target_archE1100ELNS1_3gpuE3ELNS1_3repE0EEENS1_30default_config_static_selectorELNS0_4arch9wavefront6targetE1EEEvT1_,@function
_ZN7rocprim17ROCPRIM_400000_NS6detail17trampoline_kernelINS0_14default_configENS1_20scan_config_selectorIfEEZZNS1_9scan_implILNS1_25lookback_scan_determinismE0ELb1ELb1ES3_N6thrust23THRUST_200600_302600_NS6detail15normal_iteratorINS9_10device_ptrIfEEEENS9_16discard_iteratorINS9_11use_defaultEEEfNS9_4plusIvEEfEEDaPvRmT3_T4_T5_mT6_P12ihipStream_tbENKUlT_T0_E_clISt17integral_constantIbLb1EESX_EEDaSS_ST_EUlSS_E_NS1_11comp_targetILNS1_3genE9ELNS1_11target_archE1100ELNS1_3gpuE3ELNS1_3repE0EEENS1_30default_config_static_selectorELNS0_4arch9wavefront6targetE1EEEvT1_: ; @_ZN7rocprim17ROCPRIM_400000_NS6detail17trampoline_kernelINS0_14default_configENS1_20scan_config_selectorIfEEZZNS1_9scan_implILNS1_25lookback_scan_determinismE0ELb1ELb1ES3_N6thrust23THRUST_200600_302600_NS6detail15normal_iteratorINS9_10device_ptrIfEEEENS9_16discard_iteratorINS9_11use_defaultEEEfNS9_4plusIvEEfEEDaPvRmT3_T4_T5_mT6_P12ihipStream_tbENKUlT_T0_E_clISt17integral_constantIbLb1EESX_EEDaSS_ST_EUlSS_E_NS1_11comp_targetILNS1_3genE9ELNS1_11target_archE1100ELNS1_3gpuE3ELNS1_3repE0EEENS1_30default_config_static_selectorELNS0_4arch9wavefront6targetE1EEEvT1_
; %bb.0:
	.section	.rodata,"a",@progbits
	.p2align	6, 0x0
	.amdhsa_kernel _ZN7rocprim17ROCPRIM_400000_NS6detail17trampoline_kernelINS0_14default_configENS1_20scan_config_selectorIfEEZZNS1_9scan_implILNS1_25lookback_scan_determinismE0ELb1ELb1ES3_N6thrust23THRUST_200600_302600_NS6detail15normal_iteratorINS9_10device_ptrIfEEEENS9_16discard_iteratorINS9_11use_defaultEEEfNS9_4plusIvEEfEEDaPvRmT3_T4_T5_mT6_P12ihipStream_tbENKUlT_T0_E_clISt17integral_constantIbLb1EESX_EEDaSS_ST_EUlSS_E_NS1_11comp_targetILNS1_3genE9ELNS1_11target_archE1100ELNS1_3gpuE3ELNS1_3repE0EEENS1_30default_config_static_selectorELNS0_4arch9wavefront6targetE1EEEvT1_
		.amdhsa_group_segment_fixed_size 0
		.amdhsa_private_segment_fixed_size 0
		.amdhsa_kernarg_size 104
		.amdhsa_user_sgpr_count 6
		.amdhsa_user_sgpr_private_segment_buffer 1
		.amdhsa_user_sgpr_dispatch_ptr 0
		.amdhsa_user_sgpr_queue_ptr 0
		.amdhsa_user_sgpr_kernarg_segment_ptr 1
		.amdhsa_user_sgpr_dispatch_id 0
		.amdhsa_user_sgpr_flat_scratch_init 0
		.amdhsa_user_sgpr_kernarg_preload_length 0
		.amdhsa_user_sgpr_kernarg_preload_offset 0
		.amdhsa_user_sgpr_private_segment_size 0
		.amdhsa_uses_dynamic_stack 0
		.amdhsa_system_sgpr_private_segment_wavefront_offset 0
		.amdhsa_system_sgpr_workgroup_id_x 1
		.amdhsa_system_sgpr_workgroup_id_y 0
		.amdhsa_system_sgpr_workgroup_id_z 0
		.amdhsa_system_sgpr_workgroup_info 0
		.amdhsa_system_vgpr_workitem_id 0
		.amdhsa_next_free_vgpr 1
		.amdhsa_next_free_sgpr 0
		.amdhsa_accum_offset 4
		.amdhsa_reserve_vcc 0
		.amdhsa_reserve_flat_scratch 0
		.amdhsa_float_round_mode_32 0
		.amdhsa_float_round_mode_16_64 0
		.amdhsa_float_denorm_mode_32 3
		.amdhsa_float_denorm_mode_16_64 3
		.amdhsa_dx10_clamp 1
		.amdhsa_ieee_mode 1
		.amdhsa_fp16_overflow 0
		.amdhsa_tg_split 0
		.amdhsa_exception_fp_ieee_invalid_op 0
		.amdhsa_exception_fp_denorm_src 0
		.amdhsa_exception_fp_ieee_div_zero 0
		.amdhsa_exception_fp_ieee_overflow 0
		.amdhsa_exception_fp_ieee_underflow 0
		.amdhsa_exception_fp_ieee_inexact 0
		.amdhsa_exception_int_div_zero 0
	.end_amdhsa_kernel
	.section	.text._ZN7rocprim17ROCPRIM_400000_NS6detail17trampoline_kernelINS0_14default_configENS1_20scan_config_selectorIfEEZZNS1_9scan_implILNS1_25lookback_scan_determinismE0ELb1ELb1ES3_N6thrust23THRUST_200600_302600_NS6detail15normal_iteratorINS9_10device_ptrIfEEEENS9_16discard_iteratorINS9_11use_defaultEEEfNS9_4plusIvEEfEEDaPvRmT3_T4_T5_mT6_P12ihipStream_tbENKUlT_T0_E_clISt17integral_constantIbLb1EESX_EEDaSS_ST_EUlSS_E_NS1_11comp_targetILNS1_3genE9ELNS1_11target_archE1100ELNS1_3gpuE3ELNS1_3repE0EEENS1_30default_config_static_selectorELNS0_4arch9wavefront6targetE1EEEvT1_,"axG",@progbits,_ZN7rocprim17ROCPRIM_400000_NS6detail17trampoline_kernelINS0_14default_configENS1_20scan_config_selectorIfEEZZNS1_9scan_implILNS1_25lookback_scan_determinismE0ELb1ELb1ES3_N6thrust23THRUST_200600_302600_NS6detail15normal_iteratorINS9_10device_ptrIfEEEENS9_16discard_iteratorINS9_11use_defaultEEEfNS9_4plusIvEEfEEDaPvRmT3_T4_T5_mT6_P12ihipStream_tbENKUlT_T0_E_clISt17integral_constantIbLb1EESX_EEDaSS_ST_EUlSS_E_NS1_11comp_targetILNS1_3genE9ELNS1_11target_archE1100ELNS1_3gpuE3ELNS1_3repE0EEENS1_30default_config_static_selectorELNS0_4arch9wavefront6targetE1EEEvT1_,comdat
.Lfunc_end5103:
	.size	_ZN7rocprim17ROCPRIM_400000_NS6detail17trampoline_kernelINS0_14default_configENS1_20scan_config_selectorIfEEZZNS1_9scan_implILNS1_25lookback_scan_determinismE0ELb1ELb1ES3_N6thrust23THRUST_200600_302600_NS6detail15normal_iteratorINS9_10device_ptrIfEEEENS9_16discard_iteratorINS9_11use_defaultEEEfNS9_4plusIvEEfEEDaPvRmT3_T4_T5_mT6_P12ihipStream_tbENKUlT_T0_E_clISt17integral_constantIbLb1EESX_EEDaSS_ST_EUlSS_E_NS1_11comp_targetILNS1_3genE9ELNS1_11target_archE1100ELNS1_3gpuE3ELNS1_3repE0EEENS1_30default_config_static_selectorELNS0_4arch9wavefront6targetE1EEEvT1_, .Lfunc_end5103-_ZN7rocprim17ROCPRIM_400000_NS6detail17trampoline_kernelINS0_14default_configENS1_20scan_config_selectorIfEEZZNS1_9scan_implILNS1_25lookback_scan_determinismE0ELb1ELb1ES3_N6thrust23THRUST_200600_302600_NS6detail15normal_iteratorINS9_10device_ptrIfEEEENS9_16discard_iteratorINS9_11use_defaultEEEfNS9_4plusIvEEfEEDaPvRmT3_T4_T5_mT6_P12ihipStream_tbENKUlT_T0_E_clISt17integral_constantIbLb1EESX_EEDaSS_ST_EUlSS_E_NS1_11comp_targetILNS1_3genE9ELNS1_11target_archE1100ELNS1_3gpuE3ELNS1_3repE0EEENS1_30default_config_static_selectorELNS0_4arch9wavefront6targetE1EEEvT1_
                                        ; -- End function
	.section	.AMDGPU.csdata,"",@progbits
; Kernel info:
; codeLenInByte = 0
; NumSgprs: 4
; NumVgprs: 0
; NumAgprs: 0
; TotalNumVgprs: 0
; ScratchSize: 0
; MemoryBound: 0
; FloatMode: 240
; IeeeMode: 1
; LDSByteSize: 0 bytes/workgroup (compile time only)
; SGPRBlocks: 0
; VGPRBlocks: 0
; NumSGPRsForWavesPerEU: 4
; NumVGPRsForWavesPerEU: 1
; AccumOffset: 4
; Occupancy: 8
; WaveLimiterHint : 0
; COMPUTE_PGM_RSRC2:SCRATCH_EN: 0
; COMPUTE_PGM_RSRC2:USER_SGPR: 6
; COMPUTE_PGM_RSRC2:TRAP_HANDLER: 0
; COMPUTE_PGM_RSRC2:TGID_X_EN: 1
; COMPUTE_PGM_RSRC2:TGID_Y_EN: 0
; COMPUTE_PGM_RSRC2:TGID_Z_EN: 0
; COMPUTE_PGM_RSRC2:TIDIG_COMP_CNT: 0
; COMPUTE_PGM_RSRC3_GFX90A:ACCUM_OFFSET: 0
; COMPUTE_PGM_RSRC3_GFX90A:TG_SPLIT: 0
	.section	.text._ZN7rocprim17ROCPRIM_400000_NS6detail17trampoline_kernelINS0_14default_configENS1_20scan_config_selectorIfEEZZNS1_9scan_implILNS1_25lookback_scan_determinismE0ELb1ELb1ES3_N6thrust23THRUST_200600_302600_NS6detail15normal_iteratorINS9_10device_ptrIfEEEENS9_16discard_iteratorINS9_11use_defaultEEEfNS9_4plusIvEEfEEDaPvRmT3_T4_T5_mT6_P12ihipStream_tbENKUlT_T0_E_clISt17integral_constantIbLb1EESX_EEDaSS_ST_EUlSS_E_NS1_11comp_targetILNS1_3genE8ELNS1_11target_archE1030ELNS1_3gpuE2ELNS1_3repE0EEENS1_30default_config_static_selectorELNS0_4arch9wavefront6targetE1EEEvT1_,"axG",@progbits,_ZN7rocprim17ROCPRIM_400000_NS6detail17trampoline_kernelINS0_14default_configENS1_20scan_config_selectorIfEEZZNS1_9scan_implILNS1_25lookback_scan_determinismE0ELb1ELb1ES3_N6thrust23THRUST_200600_302600_NS6detail15normal_iteratorINS9_10device_ptrIfEEEENS9_16discard_iteratorINS9_11use_defaultEEEfNS9_4plusIvEEfEEDaPvRmT3_T4_T5_mT6_P12ihipStream_tbENKUlT_T0_E_clISt17integral_constantIbLb1EESX_EEDaSS_ST_EUlSS_E_NS1_11comp_targetILNS1_3genE8ELNS1_11target_archE1030ELNS1_3gpuE2ELNS1_3repE0EEENS1_30default_config_static_selectorELNS0_4arch9wavefront6targetE1EEEvT1_,comdat
	.protected	_ZN7rocprim17ROCPRIM_400000_NS6detail17trampoline_kernelINS0_14default_configENS1_20scan_config_selectorIfEEZZNS1_9scan_implILNS1_25lookback_scan_determinismE0ELb1ELb1ES3_N6thrust23THRUST_200600_302600_NS6detail15normal_iteratorINS9_10device_ptrIfEEEENS9_16discard_iteratorINS9_11use_defaultEEEfNS9_4plusIvEEfEEDaPvRmT3_T4_T5_mT6_P12ihipStream_tbENKUlT_T0_E_clISt17integral_constantIbLb1EESX_EEDaSS_ST_EUlSS_E_NS1_11comp_targetILNS1_3genE8ELNS1_11target_archE1030ELNS1_3gpuE2ELNS1_3repE0EEENS1_30default_config_static_selectorELNS0_4arch9wavefront6targetE1EEEvT1_ ; -- Begin function _ZN7rocprim17ROCPRIM_400000_NS6detail17trampoline_kernelINS0_14default_configENS1_20scan_config_selectorIfEEZZNS1_9scan_implILNS1_25lookback_scan_determinismE0ELb1ELb1ES3_N6thrust23THRUST_200600_302600_NS6detail15normal_iteratorINS9_10device_ptrIfEEEENS9_16discard_iteratorINS9_11use_defaultEEEfNS9_4plusIvEEfEEDaPvRmT3_T4_T5_mT6_P12ihipStream_tbENKUlT_T0_E_clISt17integral_constantIbLb1EESX_EEDaSS_ST_EUlSS_E_NS1_11comp_targetILNS1_3genE8ELNS1_11target_archE1030ELNS1_3gpuE2ELNS1_3repE0EEENS1_30default_config_static_selectorELNS0_4arch9wavefront6targetE1EEEvT1_
	.globl	_ZN7rocprim17ROCPRIM_400000_NS6detail17trampoline_kernelINS0_14default_configENS1_20scan_config_selectorIfEEZZNS1_9scan_implILNS1_25lookback_scan_determinismE0ELb1ELb1ES3_N6thrust23THRUST_200600_302600_NS6detail15normal_iteratorINS9_10device_ptrIfEEEENS9_16discard_iteratorINS9_11use_defaultEEEfNS9_4plusIvEEfEEDaPvRmT3_T4_T5_mT6_P12ihipStream_tbENKUlT_T0_E_clISt17integral_constantIbLb1EESX_EEDaSS_ST_EUlSS_E_NS1_11comp_targetILNS1_3genE8ELNS1_11target_archE1030ELNS1_3gpuE2ELNS1_3repE0EEENS1_30default_config_static_selectorELNS0_4arch9wavefront6targetE1EEEvT1_
	.p2align	8
	.type	_ZN7rocprim17ROCPRIM_400000_NS6detail17trampoline_kernelINS0_14default_configENS1_20scan_config_selectorIfEEZZNS1_9scan_implILNS1_25lookback_scan_determinismE0ELb1ELb1ES3_N6thrust23THRUST_200600_302600_NS6detail15normal_iteratorINS9_10device_ptrIfEEEENS9_16discard_iteratorINS9_11use_defaultEEEfNS9_4plusIvEEfEEDaPvRmT3_T4_T5_mT6_P12ihipStream_tbENKUlT_T0_E_clISt17integral_constantIbLb1EESX_EEDaSS_ST_EUlSS_E_NS1_11comp_targetILNS1_3genE8ELNS1_11target_archE1030ELNS1_3gpuE2ELNS1_3repE0EEENS1_30default_config_static_selectorELNS0_4arch9wavefront6targetE1EEEvT1_,@function
_ZN7rocprim17ROCPRIM_400000_NS6detail17trampoline_kernelINS0_14default_configENS1_20scan_config_selectorIfEEZZNS1_9scan_implILNS1_25lookback_scan_determinismE0ELb1ELb1ES3_N6thrust23THRUST_200600_302600_NS6detail15normal_iteratorINS9_10device_ptrIfEEEENS9_16discard_iteratorINS9_11use_defaultEEEfNS9_4plusIvEEfEEDaPvRmT3_T4_T5_mT6_P12ihipStream_tbENKUlT_T0_E_clISt17integral_constantIbLb1EESX_EEDaSS_ST_EUlSS_E_NS1_11comp_targetILNS1_3genE8ELNS1_11target_archE1030ELNS1_3gpuE2ELNS1_3repE0EEENS1_30default_config_static_selectorELNS0_4arch9wavefront6targetE1EEEvT1_: ; @_ZN7rocprim17ROCPRIM_400000_NS6detail17trampoline_kernelINS0_14default_configENS1_20scan_config_selectorIfEEZZNS1_9scan_implILNS1_25lookback_scan_determinismE0ELb1ELb1ES3_N6thrust23THRUST_200600_302600_NS6detail15normal_iteratorINS9_10device_ptrIfEEEENS9_16discard_iteratorINS9_11use_defaultEEEfNS9_4plusIvEEfEEDaPvRmT3_T4_T5_mT6_P12ihipStream_tbENKUlT_T0_E_clISt17integral_constantIbLb1EESX_EEDaSS_ST_EUlSS_E_NS1_11comp_targetILNS1_3genE8ELNS1_11target_archE1030ELNS1_3gpuE2ELNS1_3repE0EEENS1_30default_config_static_selectorELNS0_4arch9wavefront6targetE1EEEvT1_
; %bb.0:
	.section	.rodata,"a",@progbits
	.p2align	6, 0x0
	.amdhsa_kernel _ZN7rocprim17ROCPRIM_400000_NS6detail17trampoline_kernelINS0_14default_configENS1_20scan_config_selectorIfEEZZNS1_9scan_implILNS1_25lookback_scan_determinismE0ELb1ELb1ES3_N6thrust23THRUST_200600_302600_NS6detail15normal_iteratorINS9_10device_ptrIfEEEENS9_16discard_iteratorINS9_11use_defaultEEEfNS9_4plusIvEEfEEDaPvRmT3_T4_T5_mT6_P12ihipStream_tbENKUlT_T0_E_clISt17integral_constantIbLb1EESX_EEDaSS_ST_EUlSS_E_NS1_11comp_targetILNS1_3genE8ELNS1_11target_archE1030ELNS1_3gpuE2ELNS1_3repE0EEENS1_30default_config_static_selectorELNS0_4arch9wavefront6targetE1EEEvT1_
		.amdhsa_group_segment_fixed_size 0
		.amdhsa_private_segment_fixed_size 0
		.amdhsa_kernarg_size 104
		.amdhsa_user_sgpr_count 6
		.amdhsa_user_sgpr_private_segment_buffer 1
		.amdhsa_user_sgpr_dispatch_ptr 0
		.amdhsa_user_sgpr_queue_ptr 0
		.amdhsa_user_sgpr_kernarg_segment_ptr 1
		.amdhsa_user_sgpr_dispatch_id 0
		.amdhsa_user_sgpr_flat_scratch_init 0
		.amdhsa_user_sgpr_kernarg_preload_length 0
		.amdhsa_user_sgpr_kernarg_preload_offset 0
		.amdhsa_user_sgpr_private_segment_size 0
		.amdhsa_uses_dynamic_stack 0
		.amdhsa_system_sgpr_private_segment_wavefront_offset 0
		.amdhsa_system_sgpr_workgroup_id_x 1
		.amdhsa_system_sgpr_workgroup_id_y 0
		.amdhsa_system_sgpr_workgroup_id_z 0
		.amdhsa_system_sgpr_workgroup_info 0
		.amdhsa_system_vgpr_workitem_id 0
		.amdhsa_next_free_vgpr 1
		.amdhsa_next_free_sgpr 0
		.amdhsa_accum_offset 4
		.amdhsa_reserve_vcc 0
		.amdhsa_reserve_flat_scratch 0
		.amdhsa_float_round_mode_32 0
		.amdhsa_float_round_mode_16_64 0
		.amdhsa_float_denorm_mode_32 3
		.amdhsa_float_denorm_mode_16_64 3
		.amdhsa_dx10_clamp 1
		.amdhsa_ieee_mode 1
		.amdhsa_fp16_overflow 0
		.amdhsa_tg_split 0
		.amdhsa_exception_fp_ieee_invalid_op 0
		.amdhsa_exception_fp_denorm_src 0
		.amdhsa_exception_fp_ieee_div_zero 0
		.amdhsa_exception_fp_ieee_overflow 0
		.amdhsa_exception_fp_ieee_underflow 0
		.amdhsa_exception_fp_ieee_inexact 0
		.amdhsa_exception_int_div_zero 0
	.end_amdhsa_kernel
	.section	.text._ZN7rocprim17ROCPRIM_400000_NS6detail17trampoline_kernelINS0_14default_configENS1_20scan_config_selectorIfEEZZNS1_9scan_implILNS1_25lookback_scan_determinismE0ELb1ELb1ES3_N6thrust23THRUST_200600_302600_NS6detail15normal_iteratorINS9_10device_ptrIfEEEENS9_16discard_iteratorINS9_11use_defaultEEEfNS9_4plusIvEEfEEDaPvRmT3_T4_T5_mT6_P12ihipStream_tbENKUlT_T0_E_clISt17integral_constantIbLb1EESX_EEDaSS_ST_EUlSS_E_NS1_11comp_targetILNS1_3genE8ELNS1_11target_archE1030ELNS1_3gpuE2ELNS1_3repE0EEENS1_30default_config_static_selectorELNS0_4arch9wavefront6targetE1EEEvT1_,"axG",@progbits,_ZN7rocprim17ROCPRIM_400000_NS6detail17trampoline_kernelINS0_14default_configENS1_20scan_config_selectorIfEEZZNS1_9scan_implILNS1_25lookback_scan_determinismE0ELb1ELb1ES3_N6thrust23THRUST_200600_302600_NS6detail15normal_iteratorINS9_10device_ptrIfEEEENS9_16discard_iteratorINS9_11use_defaultEEEfNS9_4plusIvEEfEEDaPvRmT3_T4_T5_mT6_P12ihipStream_tbENKUlT_T0_E_clISt17integral_constantIbLb1EESX_EEDaSS_ST_EUlSS_E_NS1_11comp_targetILNS1_3genE8ELNS1_11target_archE1030ELNS1_3gpuE2ELNS1_3repE0EEENS1_30default_config_static_selectorELNS0_4arch9wavefront6targetE1EEEvT1_,comdat
.Lfunc_end5104:
	.size	_ZN7rocprim17ROCPRIM_400000_NS6detail17trampoline_kernelINS0_14default_configENS1_20scan_config_selectorIfEEZZNS1_9scan_implILNS1_25lookback_scan_determinismE0ELb1ELb1ES3_N6thrust23THRUST_200600_302600_NS6detail15normal_iteratorINS9_10device_ptrIfEEEENS9_16discard_iteratorINS9_11use_defaultEEEfNS9_4plusIvEEfEEDaPvRmT3_T4_T5_mT6_P12ihipStream_tbENKUlT_T0_E_clISt17integral_constantIbLb1EESX_EEDaSS_ST_EUlSS_E_NS1_11comp_targetILNS1_3genE8ELNS1_11target_archE1030ELNS1_3gpuE2ELNS1_3repE0EEENS1_30default_config_static_selectorELNS0_4arch9wavefront6targetE1EEEvT1_, .Lfunc_end5104-_ZN7rocprim17ROCPRIM_400000_NS6detail17trampoline_kernelINS0_14default_configENS1_20scan_config_selectorIfEEZZNS1_9scan_implILNS1_25lookback_scan_determinismE0ELb1ELb1ES3_N6thrust23THRUST_200600_302600_NS6detail15normal_iteratorINS9_10device_ptrIfEEEENS9_16discard_iteratorINS9_11use_defaultEEEfNS9_4plusIvEEfEEDaPvRmT3_T4_T5_mT6_P12ihipStream_tbENKUlT_T0_E_clISt17integral_constantIbLb1EESX_EEDaSS_ST_EUlSS_E_NS1_11comp_targetILNS1_3genE8ELNS1_11target_archE1030ELNS1_3gpuE2ELNS1_3repE0EEENS1_30default_config_static_selectorELNS0_4arch9wavefront6targetE1EEEvT1_
                                        ; -- End function
	.section	.AMDGPU.csdata,"",@progbits
; Kernel info:
; codeLenInByte = 0
; NumSgprs: 4
; NumVgprs: 0
; NumAgprs: 0
; TotalNumVgprs: 0
; ScratchSize: 0
; MemoryBound: 0
; FloatMode: 240
; IeeeMode: 1
; LDSByteSize: 0 bytes/workgroup (compile time only)
; SGPRBlocks: 0
; VGPRBlocks: 0
; NumSGPRsForWavesPerEU: 4
; NumVGPRsForWavesPerEU: 1
; AccumOffset: 4
; Occupancy: 8
; WaveLimiterHint : 0
; COMPUTE_PGM_RSRC2:SCRATCH_EN: 0
; COMPUTE_PGM_RSRC2:USER_SGPR: 6
; COMPUTE_PGM_RSRC2:TRAP_HANDLER: 0
; COMPUTE_PGM_RSRC2:TGID_X_EN: 1
; COMPUTE_PGM_RSRC2:TGID_Y_EN: 0
; COMPUTE_PGM_RSRC2:TGID_Z_EN: 0
; COMPUTE_PGM_RSRC2:TIDIG_COMP_CNT: 0
; COMPUTE_PGM_RSRC3_GFX90A:ACCUM_OFFSET: 0
; COMPUTE_PGM_RSRC3_GFX90A:TG_SPLIT: 0
	.section	.text._ZN7rocprim17ROCPRIM_400000_NS6detail17trampoline_kernelINS0_14default_configENS1_20scan_config_selectorIfEEZZNS1_9scan_implILNS1_25lookback_scan_determinismE0ELb1ELb1ES3_N6thrust23THRUST_200600_302600_NS6detail15normal_iteratorINS9_10device_ptrIfEEEENS9_16discard_iteratorINS9_11use_defaultEEEfNS9_4plusIvEEfEEDaPvRmT3_T4_T5_mT6_P12ihipStream_tbENKUlT_T0_E_clISt17integral_constantIbLb1EESX_EEDaSS_ST_EUlSS_E0_NS1_11comp_targetILNS1_3genE0ELNS1_11target_archE4294967295ELNS1_3gpuE0ELNS1_3repE0EEENS1_30default_config_static_selectorELNS0_4arch9wavefront6targetE1EEEvT1_,"axG",@progbits,_ZN7rocprim17ROCPRIM_400000_NS6detail17trampoline_kernelINS0_14default_configENS1_20scan_config_selectorIfEEZZNS1_9scan_implILNS1_25lookback_scan_determinismE0ELb1ELb1ES3_N6thrust23THRUST_200600_302600_NS6detail15normal_iteratorINS9_10device_ptrIfEEEENS9_16discard_iteratorINS9_11use_defaultEEEfNS9_4plusIvEEfEEDaPvRmT3_T4_T5_mT6_P12ihipStream_tbENKUlT_T0_E_clISt17integral_constantIbLb1EESX_EEDaSS_ST_EUlSS_E0_NS1_11comp_targetILNS1_3genE0ELNS1_11target_archE4294967295ELNS1_3gpuE0ELNS1_3repE0EEENS1_30default_config_static_selectorELNS0_4arch9wavefront6targetE1EEEvT1_,comdat
	.protected	_ZN7rocprim17ROCPRIM_400000_NS6detail17trampoline_kernelINS0_14default_configENS1_20scan_config_selectorIfEEZZNS1_9scan_implILNS1_25lookback_scan_determinismE0ELb1ELb1ES3_N6thrust23THRUST_200600_302600_NS6detail15normal_iteratorINS9_10device_ptrIfEEEENS9_16discard_iteratorINS9_11use_defaultEEEfNS9_4plusIvEEfEEDaPvRmT3_T4_T5_mT6_P12ihipStream_tbENKUlT_T0_E_clISt17integral_constantIbLb1EESX_EEDaSS_ST_EUlSS_E0_NS1_11comp_targetILNS1_3genE0ELNS1_11target_archE4294967295ELNS1_3gpuE0ELNS1_3repE0EEENS1_30default_config_static_selectorELNS0_4arch9wavefront6targetE1EEEvT1_ ; -- Begin function _ZN7rocprim17ROCPRIM_400000_NS6detail17trampoline_kernelINS0_14default_configENS1_20scan_config_selectorIfEEZZNS1_9scan_implILNS1_25lookback_scan_determinismE0ELb1ELb1ES3_N6thrust23THRUST_200600_302600_NS6detail15normal_iteratorINS9_10device_ptrIfEEEENS9_16discard_iteratorINS9_11use_defaultEEEfNS9_4plusIvEEfEEDaPvRmT3_T4_T5_mT6_P12ihipStream_tbENKUlT_T0_E_clISt17integral_constantIbLb1EESX_EEDaSS_ST_EUlSS_E0_NS1_11comp_targetILNS1_3genE0ELNS1_11target_archE4294967295ELNS1_3gpuE0ELNS1_3repE0EEENS1_30default_config_static_selectorELNS0_4arch9wavefront6targetE1EEEvT1_
	.globl	_ZN7rocprim17ROCPRIM_400000_NS6detail17trampoline_kernelINS0_14default_configENS1_20scan_config_selectorIfEEZZNS1_9scan_implILNS1_25lookback_scan_determinismE0ELb1ELb1ES3_N6thrust23THRUST_200600_302600_NS6detail15normal_iteratorINS9_10device_ptrIfEEEENS9_16discard_iteratorINS9_11use_defaultEEEfNS9_4plusIvEEfEEDaPvRmT3_T4_T5_mT6_P12ihipStream_tbENKUlT_T0_E_clISt17integral_constantIbLb1EESX_EEDaSS_ST_EUlSS_E0_NS1_11comp_targetILNS1_3genE0ELNS1_11target_archE4294967295ELNS1_3gpuE0ELNS1_3repE0EEENS1_30default_config_static_selectorELNS0_4arch9wavefront6targetE1EEEvT1_
	.p2align	8
	.type	_ZN7rocprim17ROCPRIM_400000_NS6detail17trampoline_kernelINS0_14default_configENS1_20scan_config_selectorIfEEZZNS1_9scan_implILNS1_25lookback_scan_determinismE0ELb1ELb1ES3_N6thrust23THRUST_200600_302600_NS6detail15normal_iteratorINS9_10device_ptrIfEEEENS9_16discard_iteratorINS9_11use_defaultEEEfNS9_4plusIvEEfEEDaPvRmT3_T4_T5_mT6_P12ihipStream_tbENKUlT_T0_E_clISt17integral_constantIbLb1EESX_EEDaSS_ST_EUlSS_E0_NS1_11comp_targetILNS1_3genE0ELNS1_11target_archE4294967295ELNS1_3gpuE0ELNS1_3repE0EEENS1_30default_config_static_selectorELNS0_4arch9wavefront6targetE1EEEvT1_,@function
_ZN7rocprim17ROCPRIM_400000_NS6detail17trampoline_kernelINS0_14default_configENS1_20scan_config_selectorIfEEZZNS1_9scan_implILNS1_25lookback_scan_determinismE0ELb1ELb1ES3_N6thrust23THRUST_200600_302600_NS6detail15normal_iteratorINS9_10device_ptrIfEEEENS9_16discard_iteratorINS9_11use_defaultEEEfNS9_4plusIvEEfEEDaPvRmT3_T4_T5_mT6_P12ihipStream_tbENKUlT_T0_E_clISt17integral_constantIbLb1EESX_EEDaSS_ST_EUlSS_E0_NS1_11comp_targetILNS1_3genE0ELNS1_11target_archE4294967295ELNS1_3gpuE0ELNS1_3repE0EEENS1_30default_config_static_selectorELNS0_4arch9wavefront6targetE1EEEvT1_: ; @_ZN7rocprim17ROCPRIM_400000_NS6detail17trampoline_kernelINS0_14default_configENS1_20scan_config_selectorIfEEZZNS1_9scan_implILNS1_25lookback_scan_determinismE0ELb1ELb1ES3_N6thrust23THRUST_200600_302600_NS6detail15normal_iteratorINS9_10device_ptrIfEEEENS9_16discard_iteratorINS9_11use_defaultEEEfNS9_4plusIvEEfEEDaPvRmT3_T4_T5_mT6_P12ihipStream_tbENKUlT_T0_E_clISt17integral_constantIbLb1EESX_EEDaSS_ST_EUlSS_E0_NS1_11comp_targetILNS1_3genE0ELNS1_11target_archE4294967295ELNS1_3gpuE0ELNS1_3repE0EEENS1_30default_config_static_selectorELNS0_4arch9wavefront6targetE1EEEvT1_
; %bb.0:
	.section	.rodata,"a",@progbits
	.p2align	6, 0x0
	.amdhsa_kernel _ZN7rocprim17ROCPRIM_400000_NS6detail17trampoline_kernelINS0_14default_configENS1_20scan_config_selectorIfEEZZNS1_9scan_implILNS1_25lookback_scan_determinismE0ELb1ELb1ES3_N6thrust23THRUST_200600_302600_NS6detail15normal_iteratorINS9_10device_ptrIfEEEENS9_16discard_iteratorINS9_11use_defaultEEEfNS9_4plusIvEEfEEDaPvRmT3_T4_T5_mT6_P12ihipStream_tbENKUlT_T0_E_clISt17integral_constantIbLb1EESX_EEDaSS_ST_EUlSS_E0_NS1_11comp_targetILNS1_3genE0ELNS1_11target_archE4294967295ELNS1_3gpuE0ELNS1_3repE0EEENS1_30default_config_static_selectorELNS0_4arch9wavefront6targetE1EEEvT1_
		.amdhsa_group_segment_fixed_size 0
		.amdhsa_private_segment_fixed_size 0
		.amdhsa_kernarg_size 40
		.amdhsa_user_sgpr_count 6
		.amdhsa_user_sgpr_private_segment_buffer 1
		.amdhsa_user_sgpr_dispatch_ptr 0
		.amdhsa_user_sgpr_queue_ptr 0
		.amdhsa_user_sgpr_kernarg_segment_ptr 1
		.amdhsa_user_sgpr_dispatch_id 0
		.amdhsa_user_sgpr_flat_scratch_init 0
		.amdhsa_user_sgpr_kernarg_preload_length 0
		.amdhsa_user_sgpr_kernarg_preload_offset 0
		.amdhsa_user_sgpr_private_segment_size 0
		.amdhsa_uses_dynamic_stack 0
		.amdhsa_system_sgpr_private_segment_wavefront_offset 0
		.amdhsa_system_sgpr_workgroup_id_x 1
		.amdhsa_system_sgpr_workgroup_id_y 0
		.amdhsa_system_sgpr_workgroup_id_z 0
		.amdhsa_system_sgpr_workgroup_info 0
		.amdhsa_system_vgpr_workitem_id 0
		.amdhsa_next_free_vgpr 1
		.amdhsa_next_free_sgpr 0
		.amdhsa_accum_offset 4
		.amdhsa_reserve_vcc 0
		.amdhsa_reserve_flat_scratch 0
		.amdhsa_float_round_mode_32 0
		.amdhsa_float_round_mode_16_64 0
		.amdhsa_float_denorm_mode_32 3
		.amdhsa_float_denorm_mode_16_64 3
		.amdhsa_dx10_clamp 1
		.amdhsa_ieee_mode 1
		.amdhsa_fp16_overflow 0
		.amdhsa_tg_split 0
		.amdhsa_exception_fp_ieee_invalid_op 0
		.amdhsa_exception_fp_denorm_src 0
		.amdhsa_exception_fp_ieee_div_zero 0
		.amdhsa_exception_fp_ieee_overflow 0
		.amdhsa_exception_fp_ieee_underflow 0
		.amdhsa_exception_fp_ieee_inexact 0
		.amdhsa_exception_int_div_zero 0
	.end_amdhsa_kernel
	.section	.text._ZN7rocprim17ROCPRIM_400000_NS6detail17trampoline_kernelINS0_14default_configENS1_20scan_config_selectorIfEEZZNS1_9scan_implILNS1_25lookback_scan_determinismE0ELb1ELb1ES3_N6thrust23THRUST_200600_302600_NS6detail15normal_iteratorINS9_10device_ptrIfEEEENS9_16discard_iteratorINS9_11use_defaultEEEfNS9_4plusIvEEfEEDaPvRmT3_T4_T5_mT6_P12ihipStream_tbENKUlT_T0_E_clISt17integral_constantIbLb1EESX_EEDaSS_ST_EUlSS_E0_NS1_11comp_targetILNS1_3genE0ELNS1_11target_archE4294967295ELNS1_3gpuE0ELNS1_3repE0EEENS1_30default_config_static_selectorELNS0_4arch9wavefront6targetE1EEEvT1_,"axG",@progbits,_ZN7rocprim17ROCPRIM_400000_NS6detail17trampoline_kernelINS0_14default_configENS1_20scan_config_selectorIfEEZZNS1_9scan_implILNS1_25lookback_scan_determinismE0ELb1ELb1ES3_N6thrust23THRUST_200600_302600_NS6detail15normal_iteratorINS9_10device_ptrIfEEEENS9_16discard_iteratorINS9_11use_defaultEEEfNS9_4plusIvEEfEEDaPvRmT3_T4_T5_mT6_P12ihipStream_tbENKUlT_T0_E_clISt17integral_constantIbLb1EESX_EEDaSS_ST_EUlSS_E0_NS1_11comp_targetILNS1_3genE0ELNS1_11target_archE4294967295ELNS1_3gpuE0ELNS1_3repE0EEENS1_30default_config_static_selectorELNS0_4arch9wavefront6targetE1EEEvT1_,comdat
.Lfunc_end5105:
	.size	_ZN7rocprim17ROCPRIM_400000_NS6detail17trampoline_kernelINS0_14default_configENS1_20scan_config_selectorIfEEZZNS1_9scan_implILNS1_25lookback_scan_determinismE0ELb1ELb1ES3_N6thrust23THRUST_200600_302600_NS6detail15normal_iteratorINS9_10device_ptrIfEEEENS9_16discard_iteratorINS9_11use_defaultEEEfNS9_4plusIvEEfEEDaPvRmT3_T4_T5_mT6_P12ihipStream_tbENKUlT_T0_E_clISt17integral_constantIbLb1EESX_EEDaSS_ST_EUlSS_E0_NS1_11comp_targetILNS1_3genE0ELNS1_11target_archE4294967295ELNS1_3gpuE0ELNS1_3repE0EEENS1_30default_config_static_selectorELNS0_4arch9wavefront6targetE1EEEvT1_, .Lfunc_end5105-_ZN7rocprim17ROCPRIM_400000_NS6detail17trampoline_kernelINS0_14default_configENS1_20scan_config_selectorIfEEZZNS1_9scan_implILNS1_25lookback_scan_determinismE0ELb1ELb1ES3_N6thrust23THRUST_200600_302600_NS6detail15normal_iteratorINS9_10device_ptrIfEEEENS9_16discard_iteratorINS9_11use_defaultEEEfNS9_4plusIvEEfEEDaPvRmT3_T4_T5_mT6_P12ihipStream_tbENKUlT_T0_E_clISt17integral_constantIbLb1EESX_EEDaSS_ST_EUlSS_E0_NS1_11comp_targetILNS1_3genE0ELNS1_11target_archE4294967295ELNS1_3gpuE0ELNS1_3repE0EEENS1_30default_config_static_selectorELNS0_4arch9wavefront6targetE1EEEvT1_
                                        ; -- End function
	.section	.AMDGPU.csdata,"",@progbits
; Kernel info:
; codeLenInByte = 0
; NumSgprs: 4
; NumVgprs: 0
; NumAgprs: 0
; TotalNumVgprs: 0
; ScratchSize: 0
; MemoryBound: 0
; FloatMode: 240
; IeeeMode: 1
; LDSByteSize: 0 bytes/workgroup (compile time only)
; SGPRBlocks: 0
; VGPRBlocks: 0
; NumSGPRsForWavesPerEU: 4
; NumVGPRsForWavesPerEU: 1
; AccumOffset: 4
; Occupancy: 8
; WaveLimiterHint : 0
; COMPUTE_PGM_RSRC2:SCRATCH_EN: 0
; COMPUTE_PGM_RSRC2:USER_SGPR: 6
; COMPUTE_PGM_RSRC2:TRAP_HANDLER: 0
; COMPUTE_PGM_RSRC2:TGID_X_EN: 1
; COMPUTE_PGM_RSRC2:TGID_Y_EN: 0
; COMPUTE_PGM_RSRC2:TGID_Z_EN: 0
; COMPUTE_PGM_RSRC2:TIDIG_COMP_CNT: 0
; COMPUTE_PGM_RSRC3_GFX90A:ACCUM_OFFSET: 0
; COMPUTE_PGM_RSRC3_GFX90A:TG_SPLIT: 0
	.section	.text._ZN7rocprim17ROCPRIM_400000_NS6detail17trampoline_kernelINS0_14default_configENS1_20scan_config_selectorIfEEZZNS1_9scan_implILNS1_25lookback_scan_determinismE0ELb1ELb1ES3_N6thrust23THRUST_200600_302600_NS6detail15normal_iteratorINS9_10device_ptrIfEEEENS9_16discard_iteratorINS9_11use_defaultEEEfNS9_4plusIvEEfEEDaPvRmT3_T4_T5_mT6_P12ihipStream_tbENKUlT_T0_E_clISt17integral_constantIbLb1EESX_EEDaSS_ST_EUlSS_E0_NS1_11comp_targetILNS1_3genE5ELNS1_11target_archE942ELNS1_3gpuE9ELNS1_3repE0EEENS1_30default_config_static_selectorELNS0_4arch9wavefront6targetE1EEEvT1_,"axG",@progbits,_ZN7rocprim17ROCPRIM_400000_NS6detail17trampoline_kernelINS0_14default_configENS1_20scan_config_selectorIfEEZZNS1_9scan_implILNS1_25lookback_scan_determinismE0ELb1ELb1ES3_N6thrust23THRUST_200600_302600_NS6detail15normal_iteratorINS9_10device_ptrIfEEEENS9_16discard_iteratorINS9_11use_defaultEEEfNS9_4plusIvEEfEEDaPvRmT3_T4_T5_mT6_P12ihipStream_tbENKUlT_T0_E_clISt17integral_constantIbLb1EESX_EEDaSS_ST_EUlSS_E0_NS1_11comp_targetILNS1_3genE5ELNS1_11target_archE942ELNS1_3gpuE9ELNS1_3repE0EEENS1_30default_config_static_selectorELNS0_4arch9wavefront6targetE1EEEvT1_,comdat
	.protected	_ZN7rocprim17ROCPRIM_400000_NS6detail17trampoline_kernelINS0_14default_configENS1_20scan_config_selectorIfEEZZNS1_9scan_implILNS1_25lookback_scan_determinismE0ELb1ELb1ES3_N6thrust23THRUST_200600_302600_NS6detail15normal_iteratorINS9_10device_ptrIfEEEENS9_16discard_iteratorINS9_11use_defaultEEEfNS9_4plusIvEEfEEDaPvRmT3_T4_T5_mT6_P12ihipStream_tbENKUlT_T0_E_clISt17integral_constantIbLb1EESX_EEDaSS_ST_EUlSS_E0_NS1_11comp_targetILNS1_3genE5ELNS1_11target_archE942ELNS1_3gpuE9ELNS1_3repE0EEENS1_30default_config_static_selectorELNS0_4arch9wavefront6targetE1EEEvT1_ ; -- Begin function _ZN7rocprim17ROCPRIM_400000_NS6detail17trampoline_kernelINS0_14default_configENS1_20scan_config_selectorIfEEZZNS1_9scan_implILNS1_25lookback_scan_determinismE0ELb1ELb1ES3_N6thrust23THRUST_200600_302600_NS6detail15normal_iteratorINS9_10device_ptrIfEEEENS9_16discard_iteratorINS9_11use_defaultEEEfNS9_4plusIvEEfEEDaPvRmT3_T4_T5_mT6_P12ihipStream_tbENKUlT_T0_E_clISt17integral_constantIbLb1EESX_EEDaSS_ST_EUlSS_E0_NS1_11comp_targetILNS1_3genE5ELNS1_11target_archE942ELNS1_3gpuE9ELNS1_3repE0EEENS1_30default_config_static_selectorELNS0_4arch9wavefront6targetE1EEEvT1_
	.globl	_ZN7rocprim17ROCPRIM_400000_NS6detail17trampoline_kernelINS0_14default_configENS1_20scan_config_selectorIfEEZZNS1_9scan_implILNS1_25lookback_scan_determinismE0ELb1ELb1ES3_N6thrust23THRUST_200600_302600_NS6detail15normal_iteratorINS9_10device_ptrIfEEEENS9_16discard_iteratorINS9_11use_defaultEEEfNS9_4plusIvEEfEEDaPvRmT3_T4_T5_mT6_P12ihipStream_tbENKUlT_T0_E_clISt17integral_constantIbLb1EESX_EEDaSS_ST_EUlSS_E0_NS1_11comp_targetILNS1_3genE5ELNS1_11target_archE942ELNS1_3gpuE9ELNS1_3repE0EEENS1_30default_config_static_selectorELNS0_4arch9wavefront6targetE1EEEvT1_
	.p2align	8
	.type	_ZN7rocprim17ROCPRIM_400000_NS6detail17trampoline_kernelINS0_14default_configENS1_20scan_config_selectorIfEEZZNS1_9scan_implILNS1_25lookback_scan_determinismE0ELb1ELb1ES3_N6thrust23THRUST_200600_302600_NS6detail15normal_iteratorINS9_10device_ptrIfEEEENS9_16discard_iteratorINS9_11use_defaultEEEfNS9_4plusIvEEfEEDaPvRmT3_T4_T5_mT6_P12ihipStream_tbENKUlT_T0_E_clISt17integral_constantIbLb1EESX_EEDaSS_ST_EUlSS_E0_NS1_11comp_targetILNS1_3genE5ELNS1_11target_archE942ELNS1_3gpuE9ELNS1_3repE0EEENS1_30default_config_static_selectorELNS0_4arch9wavefront6targetE1EEEvT1_,@function
_ZN7rocprim17ROCPRIM_400000_NS6detail17trampoline_kernelINS0_14default_configENS1_20scan_config_selectorIfEEZZNS1_9scan_implILNS1_25lookback_scan_determinismE0ELb1ELb1ES3_N6thrust23THRUST_200600_302600_NS6detail15normal_iteratorINS9_10device_ptrIfEEEENS9_16discard_iteratorINS9_11use_defaultEEEfNS9_4plusIvEEfEEDaPvRmT3_T4_T5_mT6_P12ihipStream_tbENKUlT_T0_E_clISt17integral_constantIbLb1EESX_EEDaSS_ST_EUlSS_E0_NS1_11comp_targetILNS1_3genE5ELNS1_11target_archE942ELNS1_3gpuE9ELNS1_3repE0EEENS1_30default_config_static_selectorELNS0_4arch9wavefront6targetE1EEEvT1_: ; @_ZN7rocprim17ROCPRIM_400000_NS6detail17trampoline_kernelINS0_14default_configENS1_20scan_config_selectorIfEEZZNS1_9scan_implILNS1_25lookback_scan_determinismE0ELb1ELb1ES3_N6thrust23THRUST_200600_302600_NS6detail15normal_iteratorINS9_10device_ptrIfEEEENS9_16discard_iteratorINS9_11use_defaultEEEfNS9_4plusIvEEfEEDaPvRmT3_T4_T5_mT6_P12ihipStream_tbENKUlT_T0_E_clISt17integral_constantIbLb1EESX_EEDaSS_ST_EUlSS_E0_NS1_11comp_targetILNS1_3genE5ELNS1_11target_archE942ELNS1_3gpuE9ELNS1_3repE0EEENS1_30default_config_static_selectorELNS0_4arch9wavefront6targetE1EEEvT1_
; %bb.0:
	.section	.rodata,"a",@progbits
	.p2align	6, 0x0
	.amdhsa_kernel _ZN7rocprim17ROCPRIM_400000_NS6detail17trampoline_kernelINS0_14default_configENS1_20scan_config_selectorIfEEZZNS1_9scan_implILNS1_25lookback_scan_determinismE0ELb1ELb1ES3_N6thrust23THRUST_200600_302600_NS6detail15normal_iteratorINS9_10device_ptrIfEEEENS9_16discard_iteratorINS9_11use_defaultEEEfNS9_4plusIvEEfEEDaPvRmT3_T4_T5_mT6_P12ihipStream_tbENKUlT_T0_E_clISt17integral_constantIbLb1EESX_EEDaSS_ST_EUlSS_E0_NS1_11comp_targetILNS1_3genE5ELNS1_11target_archE942ELNS1_3gpuE9ELNS1_3repE0EEENS1_30default_config_static_selectorELNS0_4arch9wavefront6targetE1EEEvT1_
		.amdhsa_group_segment_fixed_size 0
		.amdhsa_private_segment_fixed_size 0
		.amdhsa_kernarg_size 40
		.amdhsa_user_sgpr_count 6
		.amdhsa_user_sgpr_private_segment_buffer 1
		.amdhsa_user_sgpr_dispatch_ptr 0
		.amdhsa_user_sgpr_queue_ptr 0
		.amdhsa_user_sgpr_kernarg_segment_ptr 1
		.amdhsa_user_sgpr_dispatch_id 0
		.amdhsa_user_sgpr_flat_scratch_init 0
		.amdhsa_user_sgpr_kernarg_preload_length 0
		.amdhsa_user_sgpr_kernarg_preload_offset 0
		.amdhsa_user_sgpr_private_segment_size 0
		.amdhsa_uses_dynamic_stack 0
		.amdhsa_system_sgpr_private_segment_wavefront_offset 0
		.amdhsa_system_sgpr_workgroup_id_x 1
		.amdhsa_system_sgpr_workgroup_id_y 0
		.amdhsa_system_sgpr_workgroup_id_z 0
		.amdhsa_system_sgpr_workgroup_info 0
		.amdhsa_system_vgpr_workitem_id 0
		.amdhsa_next_free_vgpr 1
		.amdhsa_next_free_sgpr 0
		.amdhsa_accum_offset 4
		.amdhsa_reserve_vcc 0
		.amdhsa_reserve_flat_scratch 0
		.amdhsa_float_round_mode_32 0
		.amdhsa_float_round_mode_16_64 0
		.amdhsa_float_denorm_mode_32 3
		.amdhsa_float_denorm_mode_16_64 3
		.amdhsa_dx10_clamp 1
		.amdhsa_ieee_mode 1
		.amdhsa_fp16_overflow 0
		.amdhsa_tg_split 0
		.amdhsa_exception_fp_ieee_invalid_op 0
		.amdhsa_exception_fp_denorm_src 0
		.amdhsa_exception_fp_ieee_div_zero 0
		.amdhsa_exception_fp_ieee_overflow 0
		.amdhsa_exception_fp_ieee_underflow 0
		.amdhsa_exception_fp_ieee_inexact 0
		.amdhsa_exception_int_div_zero 0
	.end_amdhsa_kernel
	.section	.text._ZN7rocprim17ROCPRIM_400000_NS6detail17trampoline_kernelINS0_14default_configENS1_20scan_config_selectorIfEEZZNS1_9scan_implILNS1_25lookback_scan_determinismE0ELb1ELb1ES3_N6thrust23THRUST_200600_302600_NS6detail15normal_iteratorINS9_10device_ptrIfEEEENS9_16discard_iteratorINS9_11use_defaultEEEfNS9_4plusIvEEfEEDaPvRmT3_T4_T5_mT6_P12ihipStream_tbENKUlT_T0_E_clISt17integral_constantIbLb1EESX_EEDaSS_ST_EUlSS_E0_NS1_11comp_targetILNS1_3genE5ELNS1_11target_archE942ELNS1_3gpuE9ELNS1_3repE0EEENS1_30default_config_static_selectorELNS0_4arch9wavefront6targetE1EEEvT1_,"axG",@progbits,_ZN7rocprim17ROCPRIM_400000_NS6detail17trampoline_kernelINS0_14default_configENS1_20scan_config_selectorIfEEZZNS1_9scan_implILNS1_25lookback_scan_determinismE0ELb1ELb1ES3_N6thrust23THRUST_200600_302600_NS6detail15normal_iteratorINS9_10device_ptrIfEEEENS9_16discard_iteratorINS9_11use_defaultEEEfNS9_4plusIvEEfEEDaPvRmT3_T4_T5_mT6_P12ihipStream_tbENKUlT_T0_E_clISt17integral_constantIbLb1EESX_EEDaSS_ST_EUlSS_E0_NS1_11comp_targetILNS1_3genE5ELNS1_11target_archE942ELNS1_3gpuE9ELNS1_3repE0EEENS1_30default_config_static_selectorELNS0_4arch9wavefront6targetE1EEEvT1_,comdat
.Lfunc_end5106:
	.size	_ZN7rocprim17ROCPRIM_400000_NS6detail17trampoline_kernelINS0_14default_configENS1_20scan_config_selectorIfEEZZNS1_9scan_implILNS1_25lookback_scan_determinismE0ELb1ELb1ES3_N6thrust23THRUST_200600_302600_NS6detail15normal_iteratorINS9_10device_ptrIfEEEENS9_16discard_iteratorINS9_11use_defaultEEEfNS9_4plusIvEEfEEDaPvRmT3_T4_T5_mT6_P12ihipStream_tbENKUlT_T0_E_clISt17integral_constantIbLb1EESX_EEDaSS_ST_EUlSS_E0_NS1_11comp_targetILNS1_3genE5ELNS1_11target_archE942ELNS1_3gpuE9ELNS1_3repE0EEENS1_30default_config_static_selectorELNS0_4arch9wavefront6targetE1EEEvT1_, .Lfunc_end5106-_ZN7rocprim17ROCPRIM_400000_NS6detail17trampoline_kernelINS0_14default_configENS1_20scan_config_selectorIfEEZZNS1_9scan_implILNS1_25lookback_scan_determinismE0ELb1ELb1ES3_N6thrust23THRUST_200600_302600_NS6detail15normal_iteratorINS9_10device_ptrIfEEEENS9_16discard_iteratorINS9_11use_defaultEEEfNS9_4plusIvEEfEEDaPvRmT3_T4_T5_mT6_P12ihipStream_tbENKUlT_T0_E_clISt17integral_constantIbLb1EESX_EEDaSS_ST_EUlSS_E0_NS1_11comp_targetILNS1_3genE5ELNS1_11target_archE942ELNS1_3gpuE9ELNS1_3repE0EEENS1_30default_config_static_selectorELNS0_4arch9wavefront6targetE1EEEvT1_
                                        ; -- End function
	.section	.AMDGPU.csdata,"",@progbits
; Kernel info:
; codeLenInByte = 0
; NumSgprs: 4
; NumVgprs: 0
; NumAgprs: 0
; TotalNumVgprs: 0
; ScratchSize: 0
; MemoryBound: 0
; FloatMode: 240
; IeeeMode: 1
; LDSByteSize: 0 bytes/workgroup (compile time only)
; SGPRBlocks: 0
; VGPRBlocks: 0
; NumSGPRsForWavesPerEU: 4
; NumVGPRsForWavesPerEU: 1
; AccumOffset: 4
; Occupancy: 8
; WaveLimiterHint : 0
; COMPUTE_PGM_RSRC2:SCRATCH_EN: 0
; COMPUTE_PGM_RSRC2:USER_SGPR: 6
; COMPUTE_PGM_RSRC2:TRAP_HANDLER: 0
; COMPUTE_PGM_RSRC2:TGID_X_EN: 1
; COMPUTE_PGM_RSRC2:TGID_Y_EN: 0
; COMPUTE_PGM_RSRC2:TGID_Z_EN: 0
; COMPUTE_PGM_RSRC2:TIDIG_COMP_CNT: 0
; COMPUTE_PGM_RSRC3_GFX90A:ACCUM_OFFSET: 0
; COMPUTE_PGM_RSRC3_GFX90A:TG_SPLIT: 0
	.section	.text._ZN7rocprim17ROCPRIM_400000_NS6detail17trampoline_kernelINS0_14default_configENS1_20scan_config_selectorIfEEZZNS1_9scan_implILNS1_25lookback_scan_determinismE0ELb1ELb1ES3_N6thrust23THRUST_200600_302600_NS6detail15normal_iteratorINS9_10device_ptrIfEEEENS9_16discard_iteratorINS9_11use_defaultEEEfNS9_4plusIvEEfEEDaPvRmT3_T4_T5_mT6_P12ihipStream_tbENKUlT_T0_E_clISt17integral_constantIbLb1EESX_EEDaSS_ST_EUlSS_E0_NS1_11comp_targetILNS1_3genE4ELNS1_11target_archE910ELNS1_3gpuE8ELNS1_3repE0EEENS1_30default_config_static_selectorELNS0_4arch9wavefront6targetE1EEEvT1_,"axG",@progbits,_ZN7rocprim17ROCPRIM_400000_NS6detail17trampoline_kernelINS0_14default_configENS1_20scan_config_selectorIfEEZZNS1_9scan_implILNS1_25lookback_scan_determinismE0ELb1ELb1ES3_N6thrust23THRUST_200600_302600_NS6detail15normal_iteratorINS9_10device_ptrIfEEEENS9_16discard_iteratorINS9_11use_defaultEEEfNS9_4plusIvEEfEEDaPvRmT3_T4_T5_mT6_P12ihipStream_tbENKUlT_T0_E_clISt17integral_constantIbLb1EESX_EEDaSS_ST_EUlSS_E0_NS1_11comp_targetILNS1_3genE4ELNS1_11target_archE910ELNS1_3gpuE8ELNS1_3repE0EEENS1_30default_config_static_selectorELNS0_4arch9wavefront6targetE1EEEvT1_,comdat
	.protected	_ZN7rocprim17ROCPRIM_400000_NS6detail17trampoline_kernelINS0_14default_configENS1_20scan_config_selectorIfEEZZNS1_9scan_implILNS1_25lookback_scan_determinismE0ELb1ELb1ES3_N6thrust23THRUST_200600_302600_NS6detail15normal_iteratorINS9_10device_ptrIfEEEENS9_16discard_iteratorINS9_11use_defaultEEEfNS9_4plusIvEEfEEDaPvRmT3_T4_T5_mT6_P12ihipStream_tbENKUlT_T0_E_clISt17integral_constantIbLb1EESX_EEDaSS_ST_EUlSS_E0_NS1_11comp_targetILNS1_3genE4ELNS1_11target_archE910ELNS1_3gpuE8ELNS1_3repE0EEENS1_30default_config_static_selectorELNS0_4arch9wavefront6targetE1EEEvT1_ ; -- Begin function _ZN7rocprim17ROCPRIM_400000_NS6detail17trampoline_kernelINS0_14default_configENS1_20scan_config_selectorIfEEZZNS1_9scan_implILNS1_25lookback_scan_determinismE0ELb1ELb1ES3_N6thrust23THRUST_200600_302600_NS6detail15normal_iteratorINS9_10device_ptrIfEEEENS9_16discard_iteratorINS9_11use_defaultEEEfNS9_4plusIvEEfEEDaPvRmT3_T4_T5_mT6_P12ihipStream_tbENKUlT_T0_E_clISt17integral_constantIbLb1EESX_EEDaSS_ST_EUlSS_E0_NS1_11comp_targetILNS1_3genE4ELNS1_11target_archE910ELNS1_3gpuE8ELNS1_3repE0EEENS1_30default_config_static_selectorELNS0_4arch9wavefront6targetE1EEEvT1_
	.globl	_ZN7rocprim17ROCPRIM_400000_NS6detail17trampoline_kernelINS0_14default_configENS1_20scan_config_selectorIfEEZZNS1_9scan_implILNS1_25lookback_scan_determinismE0ELb1ELb1ES3_N6thrust23THRUST_200600_302600_NS6detail15normal_iteratorINS9_10device_ptrIfEEEENS9_16discard_iteratorINS9_11use_defaultEEEfNS9_4plusIvEEfEEDaPvRmT3_T4_T5_mT6_P12ihipStream_tbENKUlT_T0_E_clISt17integral_constantIbLb1EESX_EEDaSS_ST_EUlSS_E0_NS1_11comp_targetILNS1_3genE4ELNS1_11target_archE910ELNS1_3gpuE8ELNS1_3repE0EEENS1_30default_config_static_selectorELNS0_4arch9wavefront6targetE1EEEvT1_
	.p2align	8
	.type	_ZN7rocprim17ROCPRIM_400000_NS6detail17trampoline_kernelINS0_14default_configENS1_20scan_config_selectorIfEEZZNS1_9scan_implILNS1_25lookback_scan_determinismE0ELb1ELb1ES3_N6thrust23THRUST_200600_302600_NS6detail15normal_iteratorINS9_10device_ptrIfEEEENS9_16discard_iteratorINS9_11use_defaultEEEfNS9_4plusIvEEfEEDaPvRmT3_T4_T5_mT6_P12ihipStream_tbENKUlT_T0_E_clISt17integral_constantIbLb1EESX_EEDaSS_ST_EUlSS_E0_NS1_11comp_targetILNS1_3genE4ELNS1_11target_archE910ELNS1_3gpuE8ELNS1_3repE0EEENS1_30default_config_static_selectorELNS0_4arch9wavefront6targetE1EEEvT1_,@function
_ZN7rocprim17ROCPRIM_400000_NS6detail17trampoline_kernelINS0_14default_configENS1_20scan_config_selectorIfEEZZNS1_9scan_implILNS1_25lookback_scan_determinismE0ELb1ELb1ES3_N6thrust23THRUST_200600_302600_NS6detail15normal_iteratorINS9_10device_ptrIfEEEENS9_16discard_iteratorINS9_11use_defaultEEEfNS9_4plusIvEEfEEDaPvRmT3_T4_T5_mT6_P12ihipStream_tbENKUlT_T0_E_clISt17integral_constantIbLb1EESX_EEDaSS_ST_EUlSS_E0_NS1_11comp_targetILNS1_3genE4ELNS1_11target_archE910ELNS1_3gpuE8ELNS1_3repE0EEENS1_30default_config_static_selectorELNS0_4arch9wavefront6targetE1EEEvT1_: ; @_ZN7rocprim17ROCPRIM_400000_NS6detail17trampoline_kernelINS0_14default_configENS1_20scan_config_selectorIfEEZZNS1_9scan_implILNS1_25lookback_scan_determinismE0ELb1ELb1ES3_N6thrust23THRUST_200600_302600_NS6detail15normal_iteratorINS9_10device_ptrIfEEEENS9_16discard_iteratorINS9_11use_defaultEEEfNS9_4plusIvEEfEEDaPvRmT3_T4_T5_mT6_P12ihipStream_tbENKUlT_T0_E_clISt17integral_constantIbLb1EESX_EEDaSS_ST_EUlSS_E0_NS1_11comp_targetILNS1_3genE4ELNS1_11target_archE910ELNS1_3gpuE8ELNS1_3repE0EEENS1_30default_config_static_selectorELNS0_4arch9wavefront6targetE1EEEvT1_
; %bb.0:
	s_load_dwordx4 s[0:3], s[4:5], 0x0
	v_lshlrev_b32_e32 v1, 2, v0
	s_waitcnt lgkmcnt(0)
	s_load_dword s3, s[0:1], 0x0
	v_cmp_gt_u32_e32 vcc, s2, v0
	s_waitcnt lgkmcnt(0)
	v_mov_b32_e32 v2, s3
	s_and_saveexec_b64 s[6:7], vcc
	s_cbranch_execz .LBB5107_2
; %bb.1:
	global_load_dword v2, v1, s[0:1]
.LBB5107_2:
	s_or_b64 exec, exec, s[6:7]
	v_or_b32_e32 v3, 0x80, v0
	v_cmp_gt_u32_e32 vcc, s2, v3
	v_mov_b32_e32 v3, s3
	s_and_saveexec_b64 s[6:7], vcc
	s_cbranch_execz .LBB5107_4
; %bb.3:
	global_load_dword v3, v1, s[0:1] offset:512
.LBB5107_4:
	s_or_b64 exec, exec, s[6:7]
	v_or_b32_e32 v4, 0x100, v0
	v_cmp_gt_u32_e32 vcc, s2, v4
	v_mov_b32_e32 v4, s3
	s_and_saveexec_b64 s[6:7], vcc
	s_cbranch_execz .LBB5107_6
; %bb.5:
	global_load_dword v4, v1, s[0:1] offset:1024
.LBB5107_6:
	;; [unrolled: 9-line block ×7, first 2 shown]
	s_or_b64 exec, exec, s[6:7]
	v_or_b32_e32 v11, 0x400, v0
	v_cmp_gt_u32_e32 vcc, s2, v11
	v_mov_b32_e32 v10, s3
	s_and_saveexec_b64 s[6:7], vcc
	s_cbranch_execz .LBB5107_18
; %bb.17:
	v_lshlrev_b32_e32 v10, 2, v11
	global_load_dword v10, v10, s[0:1]
.LBB5107_18:
	s_or_b64 exec, exec, s[6:7]
	v_or_b32_e32 v12, 0x480, v0
	v_cmp_gt_u32_e32 vcc, s2, v12
	v_mov_b32_e32 v11, s3
	s_and_saveexec_b64 s[6:7], vcc
	s_cbranch_execz .LBB5107_20
; %bb.19:
	v_lshlrev_b32_e32 v11, 2, v12
	global_load_dword v11, v11, s[0:1]
.LBB5107_20:
	;; [unrolled: 10-line block ×5, first 2 shown]
	s_or_b64 exec, exec, s[6:7]
	s_load_dword s6, s[4:5], 0x10
	v_or_b32_e32 v16, 0x680, v0
	v_cmp_gt_u32_e32 vcc, s2, v16
	v_mov_b32_e32 v15, s3
	s_and_saveexec_b64 s[2:3], vcc
	s_cbranch_execz .LBB5107_28
; %bb.27:
	v_lshlrev_b32_e32 v15, 2, v16
	global_load_dword v15, v15, s[0:1]
.LBB5107_28:
	s_or_b64 exec, exec, s[2:3]
	s_waitcnt vmcnt(0)
	ds_write2st64_b32 v1, v2, v3 offset1:2
	ds_write2st64_b32 v1, v4, v5 offset0:4 offset1:6
	ds_write2st64_b32 v1, v6, v7 offset0:8 offset1:10
	;; [unrolled: 1-line block ×6, first 2 shown]
	v_mad_u32_u24 v14, v0, 52, v1
	s_waitcnt lgkmcnt(0)
	s_barrier
	ds_read2_b64 v[10:13], v14 offset1:1
	ds_read2_b64 v[6:9], v14 offset0:2 offset1:3
	ds_read2_b64 v[2:5], v14 offset0:4 offset1:5
	ds_read_b64 v[14:15], v14 offset:48
	v_cmp_gt_u32_e32 vcc, 64, v0
	s_waitcnt lgkmcnt(3)
	v_add_f32_e32 v16, v10, v11
	v_add_f32_e32 v16, v16, v12
	v_add_f32_e32 v16, v16, v13
	s_waitcnt lgkmcnt(2)
	v_add_f32_e32 v16, v16, v6
	v_add_f32_e32 v16, v16, v7
	v_add_f32_e32 v16, v16, v8
	v_add_f32_e32 v16, v16, v9
	s_waitcnt lgkmcnt(1)
	v_add_f32_e32 v16, v16, v2
	;; [unrolled: 5-line block ×3, first 2 shown]
	v_add_f32_e32 v15, v16, v15
	v_lshrrev_b32_e32 v16, 3, v0
	v_and_b32_e32 v16, 12, v16
	v_add_u32_e32 v16, v1, v16
	s_barrier
	ds_write_b32 v16, v15
	s_waitcnt lgkmcnt(0)
	s_barrier
	s_and_saveexec_b64 s[4:5], vcc
	s_cbranch_execz .LBB5107_30
; %bb.29:
	v_lshlrev_b32_e32 v16, 1, v0
	v_lshrrev_b32_e32 v17, 4, v0
	v_add_lshl_u32 v18, v17, v16, 2
	ds_read2_b32 v[16:17], v18 offset1:1
	v_mbcnt_lo_u32_b32 v19, -1, 0
	v_mbcnt_hi_u32_b32 v19, -1, v19
	v_and_b32_e32 v20, 15, v19
	v_cmp_eq_u32_e32 vcc, 0, v20
	s_waitcnt lgkmcnt(0)
	v_add_f32_e32 v17, v16, v17
	v_cmp_lt_u32_e64 s[0:1], 3, v20
	v_cmp_lt_u32_e64 s[2:3], 31, v19
	v_mov_b32_dpp v21, v17 row_shr:1 row_mask:0xf bank_mask:0xf
	v_add_f32_e32 v21, v17, v21
	v_cndmask_b32_e32 v17, v21, v17, vcc
	v_cmp_lt_u32_e32 vcc, 1, v20
	s_nop 0
	v_mov_b32_dpp v21, v17 row_shr:2 row_mask:0xf bank_mask:0xf
	v_add_f32_e32 v21, v17, v21
	v_cndmask_b32_e32 v21, v17, v21, vcc
	; wave barrier
	s_nop 1
	v_mov_b32_dpp v22, v21 row_shr:4 row_mask:0xf bank_mask:0xf
	v_add_f32_e32 v22, v21, v22
	v_cndmask_b32_e64 v21, v21, v22, s[0:1]
	v_cmp_lt_u32_e64 s[0:1], 7, v20
	s_nop 0
	v_mov_b32_dpp v22, v21 row_shr:8 row_mask:0xf bank_mask:0xf
	v_add_f32_e32 v22, v21, v22
	v_cndmask_b32_e64 v20, v21, v22, s[0:1]
	v_and_b32_e32 v22, 16, v19
	v_cmp_eq_u32_e64 s[0:1], 0, v22
	v_mov_b32_dpp v21, v20 row_bcast:15 row_mask:0xf bank_mask:0xf
	v_add_f32_e32 v21, v20, v21
	v_cndmask_b32_e64 v20, v21, v20, s[0:1]
	v_cmp_lt_u32_e64 s[0:1], 15, v19
	s_or_b64 vcc, s[0:1], vcc
	v_mov_b32_dpp v21, v20 row_bcast:31 row_mask:0xf bank_mask:0xf
	v_add_f32_e32 v21, v20, v21
	v_cndmask_b32_e64 v20, v20, v21, s[2:3]
	v_cndmask_b32_e32 v17, v17, v20, vcc
	v_add_u32_e32 v20, -1, v19
	v_and_b32_e32 v21, 64, v19
	v_cmp_lt_i32_e32 vcc, v20, v21
	v_cndmask_b32_e32 v19, v20, v19, vcc
	v_lshlrev_b32_e32 v19, 2, v19
	ds_bpermute_b32 v17, v19, v17
	v_cmp_eq_u32_e32 vcc, 0, v0
	s_waitcnt lgkmcnt(0)
	v_add_f32_e32 v16, v16, v17
	v_cndmask_b32_e32 v15, v16, v15, vcc
	ds_write_b32 v18, v15
	; wave barrier
	ds_read_b32 v16, v18 offset:4
	s_waitcnt lgkmcnt(0)
	v_add_f32_e32 v15, v15, v16
	ds_write_b32 v18, v15 offset:4
.LBB5107_30:
	s_or_b64 exec, exec, s[4:5]
	v_mul_u32_u24_e32 v15, 52, v0
	v_cmp_ne_u32_e32 vcc, 0, v0
	v_mov_b32_e32 v16, s6
	s_waitcnt lgkmcnt(0)
	s_barrier
	s_and_saveexec_b64 s[0:1], vcc
	s_cbranch_execz .LBB5107_32
; %bb.31:
	v_add_u32_e32 v0, -1, v0
	v_lshrrev_b32_e32 v16, 5, v0
	v_add_lshl_u32 v0, v16, v0, 2
	ds_read_b32 v0, v0
	s_waitcnt lgkmcnt(0)
	v_add_f32_e32 v16, s6, v0
.LBB5107_32:
	s_or_b64 exec, exec, s[0:1]
	v_add_f32_e32 v17, v10, v16
	v_add_f32_e32 v10, v11, v17
	;; [unrolled: 1-line block ×12, first 2 shown]
	v_add_u32_e32 v0, v1, v15
	v_add_f32_e32 v5, v14, v4
	s_barrier
	ds_write2_b64 v0, v[16:17], v[10:11] offset1:1
	ds_write2_b64 v0, v[12:13], v[6:7] offset0:2 offset1:3
	ds_write2_b64 v0, v[8:9], v[2:3] offset0:4 offset1:5
	ds_write_b64 v0, v[4:5] offset:48
	s_waitcnt lgkmcnt(0)
	s_barrier
	s_endpgm
	.section	.rodata,"a",@progbits
	.p2align	6, 0x0
	.amdhsa_kernel _ZN7rocprim17ROCPRIM_400000_NS6detail17trampoline_kernelINS0_14default_configENS1_20scan_config_selectorIfEEZZNS1_9scan_implILNS1_25lookback_scan_determinismE0ELb1ELb1ES3_N6thrust23THRUST_200600_302600_NS6detail15normal_iteratorINS9_10device_ptrIfEEEENS9_16discard_iteratorINS9_11use_defaultEEEfNS9_4plusIvEEfEEDaPvRmT3_T4_T5_mT6_P12ihipStream_tbENKUlT_T0_E_clISt17integral_constantIbLb1EESX_EEDaSS_ST_EUlSS_E0_NS1_11comp_targetILNS1_3genE4ELNS1_11target_archE910ELNS1_3gpuE8ELNS1_3repE0EEENS1_30default_config_static_selectorELNS0_4arch9wavefront6targetE1EEEvT1_
		.amdhsa_group_segment_fixed_size 7168
		.amdhsa_private_segment_fixed_size 0
		.amdhsa_kernarg_size 40
		.amdhsa_user_sgpr_count 6
		.amdhsa_user_sgpr_private_segment_buffer 1
		.amdhsa_user_sgpr_dispatch_ptr 0
		.amdhsa_user_sgpr_queue_ptr 0
		.amdhsa_user_sgpr_kernarg_segment_ptr 1
		.amdhsa_user_sgpr_dispatch_id 0
		.amdhsa_user_sgpr_flat_scratch_init 0
		.amdhsa_user_sgpr_kernarg_preload_length 0
		.amdhsa_user_sgpr_kernarg_preload_offset 0
		.amdhsa_user_sgpr_private_segment_size 0
		.amdhsa_uses_dynamic_stack 0
		.amdhsa_system_sgpr_private_segment_wavefront_offset 0
		.amdhsa_system_sgpr_workgroup_id_x 1
		.amdhsa_system_sgpr_workgroup_id_y 0
		.amdhsa_system_sgpr_workgroup_id_z 0
		.amdhsa_system_sgpr_workgroup_info 0
		.amdhsa_system_vgpr_workitem_id 0
		.amdhsa_next_free_vgpr 23
		.amdhsa_next_free_sgpr 8
		.amdhsa_accum_offset 24
		.amdhsa_reserve_vcc 1
		.amdhsa_reserve_flat_scratch 0
		.amdhsa_float_round_mode_32 0
		.amdhsa_float_round_mode_16_64 0
		.amdhsa_float_denorm_mode_32 3
		.amdhsa_float_denorm_mode_16_64 3
		.amdhsa_dx10_clamp 1
		.amdhsa_ieee_mode 1
		.amdhsa_fp16_overflow 0
		.amdhsa_tg_split 0
		.amdhsa_exception_fp_ieee_invalid_op 0
		.amdhsa_exception_fp_denorm_src 0
		.amdhsa_exception_fp_ieee_div_zero 0
		.amdhsa_exception_fp_ieee_overflow 0
		.amdhsa_exception_fp_ieee_underflow 0
		.amdhsa_exception_fp_ieee_inexact 0
		.amdhsa_exception_int_div_zero 0
	.end_amdhsa_kernel
	.section	.text._ZN7rocprim17ROCPRIM_400000_NS6detail17trampoline_kernelINS0_14default_configENS1_20scan_config_selectorIfEEZZNS1_9scan_implILNS1_25lookback_scan_determinismE0ELb1ELb1ES3_N6thrust23THRUST_200600_302600_NS6detail15normal_iteratorINS9_10device_ptrIfEEEENS9_16discard_iteratorINS9_11use_defaultEEEfNS9_4plusIvEEfEEDaPvRmT3_T4_T5_mT6_P12ihipStream_tbENKUlT_T0_E_clISt17integral_constantIbLb1EESX_EEDaSS_ST_EUlSS_E0_NS1_11comp_targetILNS1_3genE4ELNS1_11target_archE910ELNS1_3gpuE8ELNS1_3repE0EEENS1_30default_config_static_selectorELNS0_4arch9wavefront6targetE1EEEvT1_,"axG",@progbits,_ZN7rocprim17ROCPRIM_400000_NS6detail17trampoline_kernelINS0_14default_configENS1_20scan_config_selectorIfEEZZNS1_9scan_implILNS1_25lookback_scan_determinismE0ELb1ELb1ES3_N6thrust23THRUST_200600_302600_NS6detail15normal_iteratorINS9_10device_ptrIfEEEENS9_16discard_iteratorINS9_11use_defaultEEEfNS9_4plusIvEEfEEDaPvRmT3_T4_T5_mT6_P12ihipStream_tbENKUlT_T0_E_clISt17integral_constantIbLb1EESX_EEDaSS_ST_EUlSS_E0_NS1_11comp_targetILNS1_3genE4ELNS1_11target_archE910ELNS1_3gpuE8ELNS1_3repE0EEENS1_30default_config_static_selectorELNS0_4arch9wavefront6targetE1EEEvT1_,comdat
.Lfunc_end5107:
	.size	_ZN7rocprim17ROCPRIM_400000_NS6detail17trampoline_kernelINS0_14default_configENS1_20scan_config_selectorIfEEZZNS1_9scan_implILNS1_25lookback_scan_determinismE0ELb1ELb1ES3_N6thrust23THRUST_200600_302600_NS6detail15normal_iteratorINS9_10device_ptrIfEEEENS9_16discard_iteratorINS9_11use_defaultEEEfNS9_4plusIvEEfEEDaPvRmT3_T4_T5_mT6_P12ihipStream_tbENKUlT_T0_E_clISt17integral_constantIbLb1EESX_EEDaSS_ST_EUlSS_E0_NS1_11comp_targetILNS1_3genE4ELNS1_11target_archE910ELNS1_3gpuE8ELNS1_3repE0EEENS1_30default_config_static_selectorELNS0_4arch9wavefront6targetE1EEEvT1_, .Lfunc_end5107-_ZN7rocprim17ROCPRIM_400000_NS6detail17trampoline_kernelINS0_14default_configENS1_20scan_config_selectorIfEEZZNS1_9scan_implILNS1_25lookback_scan_determinismE0ELb1ELb1ES3_N6thrust23THRUST_200600_302600_NS6detail15normal_iteratorINS9_10device_ptrIfEEEENS9_16discard_iteratorINS9_11use_defaultEEEfNS9_4plusIvEEfEEDaPvRmT3_T4_T5_mT6_P12ihipStream_tbENKUlT_T0_E_clISt17integral_constantIbLb1EESX_EEDaSS_ST_EUlSS_E0_NS1_11comp_targetILNS1_3genE4ELNS1_11target_archE910ELNS1_3gpuE8ELNS1_3repE0EEENS1_30default_config_static_selectorELNS0_4arch9wavefront6targetE1EEEvT1_
                                        ; -- End function
	.section	.AMDGPU.csdata,"",@progbits
; Kernel info:
; codeLenInByte = 1260
; NumSgprs: 12
; NumVgprs: 23
; NumAgprs: 0
; TotalNumVgprs: 23
; ScratchSize: 0
; MemoryBound: 0
; FloatMode: 240
; IeeeMode: 1
; LDSByteSize: 7168 bytes/workgroup (compile time only)
; SGPRBlocks: 1
; VGPRBlocks: 2
; NumSGPRsForWavesPerEU: 12
; NumVGPRsForWavesPerEU: 23
; AccumOffset: 24
; Occupancy: 5
; WaveLimiterHint : 0
; COMPUTE_PGM_RSRC2:SCRATCH_EN: 0
; COMPUTE_PGM_RSRC2:USER_SGPR: 6
; COMPUTE_PGM_RSRC2:TRAP_HANDLER: 0
; COMPUTE_PGM_RSRC2:TGID_X_EN: 1
; COMPUTE_PGM_RSRC2:TGID_Y_EN: 0
; COMPUTE_PGM_RSRC2:TGID_Z_EN: 0
; COMPUTE_PGM_RSRC2:TIDIG_COMP_CNT: 0
; COMPUTE_PGM_RSRC3_GFX90A:ACCUM_OFFSET: 5
; COMPUTE_PGM_RSRC3_GFX90A:TG_SPLIT: 0
	.section	.text._ZN7rocprim17ROCPRIM_400000_NS6detail17trampoline_kernelINS0_14default_configENS1_20scan_config_selectorIfEEZZNS1_9scan_implILNS1_25lookback_scan_determinismE0ELb1ELb1ES3_N6thrust23THRUST_200600_302600_NS6detail15normal_iteratorINS9_10device_ptrIfEEEENS9_16discard_iteratorINS9_11use_defaultEEEfNS9_4plusIvEEfEEDaPvRmT3_T4_T5_mT6_P12ihipStream_tbENKUlT_T0_E_clISt17integral_constantIbLb1EESX_EEDaSS_ST_EUlSS_E0_NS1_11comp_targetILNS1_3genE3ELNS1_11target_archE908ELNS1_3gpuE7ELNS1_3repE0EEENS1_30default_config_static_selectorELNS0_4arch9wavefront6targetE1EEEvT1_,"axG",@progbits,_ZN7rocprim17ROCPRIM_400000_NS6detail17trampoline_kernelINS0_14default_configENS1_20scan_config_selectorIfEEZZNS1_9scan_implILNS1_25lookback_scan_determinismE0ELb1ELb1ES3_N6thrust23THRUST_200600_302600_NS6detail15normal_iteratorINS9_10device_ptrIfEEEENS9_16discard_iteratorINS9_11use_defaultEEEfNS9_4plusIvEEfEEDaPvRmT3_T4_T5_mT6_P12ihipStream_tbENKUlT_T0_E_clISt17integral_constantIbLb1EESX_EEDaSS_ST_EUlSS_E0_NS1_11comp_targetILNS1_3genE3ELNS1_11target_archE908ELNS1_3gpuE7ELNS1_3repE0EEENS1_30default_config_static_selectorELNS0_4arch9wavefront6targetE1EEEvT1_,comdat
	.protected	_ZN7rocprim17ROCPRIM_400000_NS6detail17trampoline_kernelINS0_14default_configENS1_20scan_config_selectorIfEEZZNS1_9scan_implILNS1_25lookback_scan_determinismE0ELb1ELb1ES3_N6thrust23THRUST_200600_302600_NS6detail15normal_iteratorINS9_10device_ptrIfEEEENS9_16discard_iteratorINS9_11use_defaultEEEfNS9_4plusIvEEfEEDaPvRmT3_T4_T5_mT6_P12ihipStream_tbENKUlT_T0_E_clISt17integral_constantIbLb1EESX_EEDaSS_ST_EUlSS_E0_NS1_11comp_targetILNS1_3genE3ELNS1_11target_archE908ELNS1_3gpuE7ELNS1_3repE0EEENS1_30default_config_static_selectorELNS0_4arch9wavefront6targetE1EEEvT1_ ; -- Begin function _ZN7rocprim17ROCPRIM_400000_NS6detail17trampoline_kernelINS0_14default_configENS1_20scan_config_selectorIfEEZZNS1_9scan_implILNS1_25lookback_scan_determinismE0ELb1ELb1ES3_N6thrust23THRUST_200600_302600_NS6detail15normal_iteratorINS9_10device_ptrIfEEEENS9_16discard_iteratorINS9_11use_defaultEEEfNS9_4plusIvEEfEEDaPvRmT3_T4_T5_mT6_P12ihipStream_tbENKUlT_T0_E_clISt17integral_constantIbLb1EESX_EEDaSS_ST_EUlSS_E0_NS1_11comp_targetILNS1_3genE3ELNS1_11target_archE908ELNS1_3gpuE7ELNS1_3repE0EEENS1_30default_config_static_selectorELNS0_4arch9wavefront6targetE1EEEvT1_
	.globl	_ZN7rocprim17ROCPRIM_400000_NS6detail17trampoline_kernelINS0_14default_configENS1_20scan_config_selectorIfEEZZNS1_9scan_implILNS1_25lookback_scan_determinismE0ELb1ELb1ES3_N6thrust23THRUST_200600_302600_NS6detail15normal_iteratorINS9_10device_ptrIfEEEENS9_16discard_iteratorINS9_11use_defaultEEEfNS9_4plusIvEEfEEDaPvRmT3_T4_T5_mT6_P12ihipStream_tbENKUlT_T0_E_clISt17integral_constantIbLb1EESX_EEDaSS_ST_EUlSS_E0_NS1_11comp_targetILNS1_3genE3ELNS1_11target_archE908ELNS1_3gpuE7ELNS1_3repE0EEENS1_30default_config_static_selectorELNS0_4arch9wavefront6targetE1EEEvT1_
	.p2align	8
	.type	_ZN7rocprim17ROCPRIM_400000_NS6detail17trampoline_kernelINS0_14default_configENS1_20scan_config_selectorIfEEZZNS1_9scan_implILNS1_25lookback_scan_determinismE0ELb1ELb1ES3_N6thrust23THRUST_200600_302600_NS6detail15normal_iteratorINS9_10device_ptrIfEEEENS9_16discard_iteratorINS9_11use_defaultEEEfNS9_4plusIvEEfEEDaPvRmT3_T4_T5_mT6_P12ihipStream_tbENKUlT_T0_E_clISt17integral_constantIbLb1EESX_EEDaSS_ST_EUlSS_E0_NS1_11comp_targetILNS1_3genE3ELNS1_11target_archE908ELNS1_3gpuE7ELNS1_3repE0EEENS1_30default_config_static_selectorELNS0_4arch9wavefront6targetE1EEEvT1_,@function
_ZN7rocprim17ROCPRIM_400000_NS6detail17trampoline_kernelINS0_14default_configENS1_20scan_config_selectorIfEEZZNS1_9scan_implILNS1_25lookback_scan_determinismE0ELb1ELb1ES3_N6thrust23THRUST_200600_302600_NS6detail15normal_iteratorINS9_10device_ptrIfEEEENS9_16discard_iteratorINS9_11use_defaultEEEfNS9_4plusIvEEfEEDaPvRmT3_T4_T5_mT6_P12ihipStream_tbENKUlT_T0_E_clISt17integral_constantIbLb1EESX_EEDaSS_ST_EUlSS_E0_NS1_11comp_targetILNS1_3genE3ELNS1_11target_archE908ELNS1_3gpuE7ELNS1_3repE0EEENS1_30default_config_static_selectorELNS0_4arch9wavefront6targetE1EEEvT1_: ; @_ZN7rocprim17ROCPRIM_400000_NS6detail17trampoline_kernelINS0_14default_configENS1_20scan_config_selectorIfEEZZNS1_9scan_implILNS1_25lookback_scan_determinismE0ELb1ELb1ES3_N6thrust23THRUST_200600_302600_NS6detail15normal_iteratorINS9_10device_ptrIfEEEENS9_16discard_iteratorINS9_11use_defaultEEEfNS9_4plusIvEEfEEDaPvRmT3_T4_T5_mT6_P12ihipStream_tbENKUlT_T0_E_clISt17integral_constantIbLb1EESX_EEDaSS_ST_EUlSS_E0_NS1_11comp_targetILNS1_3genE3ELNS1_11target_archE908ELNS1_3gpuE7ELNS1_3repE0EEENS1_30default_config_static_selectorELNS0_4arch9wavefront6targetE1EEEvT1_
; %bb.0:
	.section	.rodata,"a",@progbits
	.p2align	6, 0x0
	.amdhsa_kernel _ZN7rocprim17ROCPRIM_400000_NS6detail17trampoline_kernelINS0_14default_configENS1_20scan_config_selectorIfEEZZNS1_9scan_implILNS1_25lookback_scan_determinismE0ELb1ELb1ES3_N6thrust23THRUST_200600_302600_NS6detail15normal_iteratorINS9_10device_ptrIfEEEENS9_16discard_iteratorINS9_11use_defaultEEEfNS9_4plusIvEEfEEDaPvRmT3_T4_T5_mT6_P12ihipStream_tbENKUlT_T0_E_clISt17integral_constantIbLb1EESX_EEDaSS_ST_EUlSS_E0_NS1_11comp_targetILNS1_3genE3ELNS1_11target_archE908ELNS1_3gpuE7ELNS1_3repE0EEENS1_30default_config_static_selectorELNS0_4arch9wavefront6targetE1EEEvT1_
		.amdhsa_group_segment_fixed_size 0
		.amdhsa_private_segment_fixed_size 0
		.amdhsa_kernarg_size 40
		.amdhsa_user_sgpr_count 6
		.amdhsa_user_sgpr_private_segment_buffer 1
		.amdhsa_user_sgpr_dispatch_ptr 0
		.amdhsa_user_sgpr_queue_ptr 0
		.amdhsa_user_sgpr_kernarg_segment_ptr 1
		.amdhsa_user_sgpr_dispatch_id 0
		.amdhsa_user_sgpr_flat_scratch_init 0
		.amdhsa_user_sgpr_kernarg_preload_length 0
		.amdhsa_user_sgpr_kernarg_preload_offset 0
		.amdhsa_user_sgpr_private_segment_size 0
		.amdhsa_uses_dynamic_stack 0
		.amdhsa_system_sgpr_private_segment_wavefront_offset 0
		.amdhsa_system_sgpr_workgroup_id_x 1
		.amdhsa_system_sgpr_workgroup_id_y 0
		.amdhsa_system_sgpr_workgroup_id_z 0
		.amdhsa_system_sgpr_workgroup_info 0
		.amdhsa_system_vgpr_workitem_id 0
		.amdhsa_next_free_vgpr 1
		.amdhsa_next_free_sgpr 0
		.amdhsa_accum_offset 4
		.amdhsa_reserve_vcc 0
		.amdhsa_reserve_flat_scratch 0
		.amdhsa_float_round_mode_32 0
		.amdhsa_float_round_mode_16_64 0
		.amdhsa_float_denorm_mode_32 3
		.amdhsa_float_denorm_mode_16_64 3
		.amdhsa_dx10_clamp 1
		.amdhsa_ieee_mode 1
		.amdhsa_fp16_overflow 0
		.amdhsa_tg_split 0
		.amdhsa_exception_fp_ieee_invalid_op 0
		.amdhsa_exception_fp_denorm_src 0
		.amdhsa_exception_fp_ieee_div_zero 0
		.amdhsa_exception_fp_ieee_overflow 0
		.amdhsa_exception_fp_ieee_underflow 0
		.amdhsa_exception_fp_ieee_inexact 0
		.amdhsa_exception_int_div_zero 0
	.end_amdhsa_kernel
	.section	.text._ZN7rocprim17ROCPRIM_400000_NS6detail17trampoline_kernelINS0_14default_configENS1_20scan_config_selectorIfEEZZNS1_9scan_implILNS1_25lookback_scan_determinismE0ELb1ELb1ES3_N6thrust23THRUST_200600_302600_NS6detail15normal_iteratorINS9_10device_ptrIfEEEENS9_16discard_iteratorINS9_11use_defaultEEEfNS9_4plusIvEEfEEDaPvRmT3_T4_T5_mT6_P12ihipStream_tbENKUlT_T0_E_clISt17integral_constantIbLb1EESX_EEDaSS_ST_EUlSS_E0_NS1_11comp_targetILNS1_3genE3ELNS1_11target_archE908ELNS1_3gpuE7ELNS1_3repE0EEENS1_30default_config_static_selectorELNS0_4arch9wavefront6targetE1EEEvT1_,"axG",@progbits,_ZN7rocprim17ROCPRIM_400000_NS6detail17trampoline_kernelINS0_14default_configENS1_20scan_config_selectorIfEEZZNS1_9scan_implILNS1_25lookback_scan_determinismE0ELb1ELb1ES3_N6thrust23THRUST_200600_302600_NS6detail15normal_iteratorINS9_10device_ptrIfEEEENS9_16discard_iteratorINS9_11use_defaultEEEfNS9_4plusIvEEfEEDaPvRmT3_T4_T5_mT6_P12ihipStream_tbENKUlT_T0_E_clISt17integral_constantIbLb1EESX_EEDaSS_ST_EUlSS_E0_NS1_11comp_targetILNS1_3genE3ELNS1_11target_archE908ELNS1_3gpuE7ELNS1_3repE0EEENS1_30default_config_static_selectorELNS0_4arch9wavefront6targetE1EEEvT1_,comdat
.Lfunc_end5108:
	.size	_ZN7rocprim17ROCPRIM_400000_NS6detail17trampoline_kernelINS0_14default_configENS1_20scan_config_selectorIfEEZZNS1_9scan_implILNS1_25lookback_scan_determinismE0ELb1ELb1ES3_N6thrust23THRUST_200600_302600_NS6detail15normal_iteratorINS9_10device_ptrIfEEEENS9_16discard_iteratorINS9_11use_defaultEEEfNS9_4plusIvEEfEEDaPvRmT3_T4_T5_mT6_P12ihipStream_tbENKUlT_T0_E_clISt17integral_constantIbLb1EESX_EEDaSS_ST_EUlSS_E0_NS1_11comp_targetILNS1_3genE3ELNS1_11target_archE908ELNS1_3gpuE7ELNS1_3repE0EEENS1_30default_config_static_selectorELNS0_4arch9wavefront6targetE1EEEvT1_, .Lfunc_end5108-_ZN7rocprim17ROCPRIM_400000_NS6detail17trampoline_kernelINS0_14default_configENS1_20scan_config_selectorIfEEZZNS1_9scan_implILNS1_25lookback_scan_determinismE0ELb1ELb1ES3_N6thrust23THRUST_200600_302600_NS6detail15normal_iteratorINS9_10device_ptrIfEEEENS9_16discard_iteratorINS9_11use_defaultEEEfNS9_4plusIvEEfEEDaPvRmT3_T4_T5_mT6_P12ihipStream_tbENKUlT_T0_E_clISt17integral_constantIbLb1EESX_EEDaSS_ST_EUlSS_E0_NS1_11comp_targetILNS1_3genE3ELNS1_11target_archE908ELNS1_3gpuE7ELNS1_3repE0EEENS1_30default_config_static_selectorELNS0_4arch9wavefront6targetE1EEEvT1_
                                        ; -- End function
	.section	.AMDGPU.csdata,"",@progbits
; Kernel info:
; codeLenInByte = 0
; NumSgprs: 4
; NumVgprs: 0
; NumAgprs: 0
; TotalNumVgprs: 0
; ScratchSize: 0
; MemoryBound: 0
; FloatMode: 240
; IeeeMode: 1
; LDSByteSize: 0 bytes/workgroup (compile time only)
; SGPRBlocks: 0
; VGPRBlocks: 0
; NumSGPRsForWavesPerEU: 4
; NumVGPRsForWavesPerEU: 1
; AccumOffset: 4
; Occupancy: 8
; WaveLimiterHint : 0
; COMPUTE_PGM_RSRC2:SCRATCH_EN: 0
; COMPUTE_PGM_RSRC2:USER_SGPR: 6
; COMPUTE_PGM_RSRC2:TRAP_HANDLER: 0
; COMPUTE_PGM_RSRC2:TGID_X_EN: 1
; COMPUTE_PGM_RSRC2:TGID_Y_EN: 0
; COMPUTE_PGM_RSRC2:TGID_Z_EN: 0
; COMPUTE_PGM_RSRC2:TIDIG_COMP_CNT: 0
; COMPUTE_PGM_RSRC3_GFX90A:ACCUM_OFFSET: 0
; COMPUTE_PGM_RSRC3_GFX90A:TG_SPLIT: 0
	.section	.text._ZN7rocprim17ROCPRIM_400000_NS6detail17trampoline_kernelINS0_14default_configENS1_20scan_config_selectorIfEEZZNS1_9scan_implILNS1_25lookback_scan_determinismE0ELb1ELb1ES3_N6thrust23THRUST_200600_302600_NS6detail15normal_iteratorINS9_10device_ptrIfEEEENS9_16discard_iteratorINS9_11use_defaultEEEfNS9_4plusIvEEfEEDaPvRmT3_T4_T5_mT6_P12ihipStream_tbENKUlT_T0_E_clISt17integral_constantIbLb1EESX_EEDaSS_ST_EUlSS_E0_NS1_11comp_targetILNS1_3genE2ELNS1_11target_archE906ELNS1_3gpuE6ELNS1_3repE0EEENS1_30default_config_static_selectorELNS0_4arch9wavefront6targetE1EEEvT1_,"axG",@progbits,_ZN7rocprim17ROCPRIM_400000_NS6detail17trampoline_kernelINS0_14default_configENS1_20scan_config_selectorIfEEZZNS1_9scan_implILNS1_25lookback_scan_determinismE0ELb1ELb1ES3_N6thrust23THRUST_200600_302600_NS6detail15normal_iteratorINS9_10device_ptrIfEEEENS9_16discard_iteratorINS9_11use_defaultEEEfNS9_4plusIvEEfEEDaPvRmT3_T4_T5_mT6_P12ihipStream_tbENKUlT_T0_E_clISt17integral_constantIbLb1EESX_EEDaSS_ST_EUlSS_E0_NS1_11comp_targetILNS1_3genE2ELNS1_11target_archE906ELNS1_3gpuE6ELNS1_3repE0EEENS1_30default_config_static_selectorELNS0_4arch9wavefront6targetE1EEEvT1_,comdat
	.protected	_ZN7rocprim17ROCPRIM_400000_NS6detail17trampoline_kernelINS0_14default_configENS1_20scan_config_selectorIfEEZZNS1_9scan_implILNS1_25lookback_scan_determinismE0ELb1ELb1ES3_N6thrust23THRUST_200600_302600_NS6detail15normal_iteratorINS9_10device_ptrIfEEEENS9_16discard_iteratorINS9_11use_defaultEEEfNS9_4plusIvEEfEEDaPvRmT3_T4_T5_mT6_P12ihipStream_tbENKUlT_T0_E_clISt17integral_constantIbLb1EESX_EEDaSS_ST_EUlSS_E0_NS1_11comp_targetILNS1_3genE2ELNS1_11target_archE906ELNS1_3gpuE6ELNS1_3repE0EEENS1_30default_config_static_selectorELNS0_4arch9wavefront6targetE1EEEvT1_ ; -- Begin function _ZN7rocprim17ROCPRIM_400000_NS6detail17trampoline_kernelINS0_14default_configENS1_20scan_config_selectorIfEEZZNS1_9scan_implILNS1_25lookback_scan_determinismE0ELb1ELb1ES3_N6thrust23THRUST_200600_302600_NS6detail15normal_iteratorINS9_10device_ptrIfEEEENS9_16discard_iteratorINS9_11use_defaultEEEfNS9_4plusIvEEfEEDaPvRmT3_T4_T5_mT6_P12ihipStream_tbENKUlT_T0_E_clISt17integral_constantIbLb1EESX_EEDaSS_ST_EUlSS_E0_NS1_11comp_targetILNS1_3genE2ELNS1_11target_archE906ELNS1_3gpuE6ELNS1_3repE0EEENS1_30default_config_static_selectorELNS0_4arch9wavefront6targetE1EEEvT1_
	.globl	_ZN7rocprim17ROCPRIM_400000_NS6detail17trampoline_kernelINS0_14default_configENS1_20scan_config_selectorIfEEZZNS1_9scan_implILNS1_25lookback_scan_determinismE0ELb1ELb1ES3_N6thrust23THRUST_200600_302600_NS6detail15normal_iteratorINS9_10device_ptrIfEEEENS9_16discard_iteratorINS9_11use_defaultEEEfNS9_4plusIvEEfEEDaPvRmT3_T4_T5_mT6_P12ihipStream_tbENKUlT_T0_E_clISt17integral_constantIbLb1EESX_EEDaSS_ST_EUlSS_E0_NS1_11comp_targetILNS1_3genE2ELNS1_11target_archE906ELNS1_3gpuE6ELNS1_3repE0EEENS1_30default_config_static_selectorELNS0_4arch9wavefront6targetE1EEEvT1_
	.p2align	8
	.type	_ZN7rocprim17ROCPRIM_400000_NS6detail17trampoline_kernelINS0_14default_configENS1_20scan_config_selectorIfEEZZNS1_9scan_implILNS1_25lookback_scan_determinismE0ELb1ELb1ES3_N6thrust23THRUST_200600_302600_NS6detail15normal_iteratorINS9_10device_ptrIfEEEENS9_16discard_iteratorINS9_11use_defaultEEEfNS9_4plusIvEEfEEDaPvRmT3_T4_T5_mT6_P12ihipStream_tbENKUlT_T0_E_clISt17integral_constantIbLb1EESX_EEDaSS_ST_EUlSS_E0_NS1_11comp_targetILNS1_3genE2ELNS1_11target_archE906ELNS1_3gpuE6ELNS1_3repE0EEENS1_30default_config_static_selectorELNS0_4arch9wavefront6targetE1EEEvT1_,@function
_ZN7rocprim17ROCPRIM_400000_NS6detail17trampoline_kernelINS0_14default_configENS1_20scan_config_selectorIfEEZZNS1_9scan_implILNS1_25lookback_scan_determinismE0ELb1ELb1ES3_N6thrust23THRUST_200600_302600_NS6detail15normal_iteratorINS9_10device_ptrIfEEEENS9_16discard_iteratorINS9_11use_defaultEEEfNS9_4plusIvEEfEEDaPvRmT3_T4_T5_mT6_P12ihipStream_tbENKUlT_T0_E_clISt17integral_constantIbLb1EESX_EEDaSS_ST_EUlSS_E0_NS1_11comp_targetILNS1_3genE2ELNS1_11target_archE906ELNS1_3gpuE6ELNS1_3repE0EEENS1_30default_config_static_selectorELNS0_4arch9wavefront6targetE1EEEvT1_: ; @_ZN7rocprim17ROCPRIM_400000_NS6detail17trampoline_kernelINS0_14default_configENS1_20scan_config_selectorIfEEZZNS1_9scan_implILNS1_25lookback_scan_determinismE0ELb1ELb1ES3_N6thrust23THRUST_200600_302600_NS6detail15normal_iteratorINS9_10device_ptrIfEEEENS9_16discard_iteratorINS9_11use_defaultEEEfNS9_4plusIvEEfEEDaPvRmT3_T4_T5_mT6_P12ihipStream_tbENKUlT_T0_E_clISt17integral_constantIbLb1EESX_EEDaSS_ST_EUlSS_E0_NS1_11comp_targetILNS1_3genE2ELNS1_11target_archE906ELNS1_3gpuE6ELNS1_3repE0EEENS1_30default_config_static_selectorELNS0_4arch9wavefront6targetE1EEEvT1_
; %bb.0:
	.section	.rodata,"a",@progbits
	.p2align	6, 0x0
	.amdhsa_kernel _ZN7rocprim17ROCPRIM_400000_NS6detail17trampoline_kernelINS0_14default_configENS1_20scan_config_selectorIfEEZZNS1_9scan_implILNS1_25lookback_scan_determinismE0ELb1ELb1ES3_N6thrust23THRUST_200600_302600_NS6detail15normal_iteratorINS9_10device_ptrIfEEEENS9_16discard_iteratorINS9_11use_defaultEEEfNS9_4plusIvEEfEEDaPvRmT3_T4_T5_mT6_P12ihipStream_tbENKUlT_T0_E_clISt17integral_constantIbLb1EESX_EEDaSS_ST_EUlSS_E0_NS1_11comp_targetILNS1_3genE2ELNS1_11target_archE906ELNS1_3gpuE6ELNS1_3repE0EEENS1_30default_config_static_selectorELNS0_4arch9wavefront6targetE1EEEvT1_
		.amdhsa_group_segment_fixed_size 0
		.amdhsa_private_segment_fixed_size 0
		.amdhsa_kernarg_size 40
		.amdhsa_user_sgpr_count 6
		.amdhsa_user_sgpr_private_segment_buffer 1
		.amdhsa_user_sgpr_dispatch_ptr 0
		.amdhsa_user_sgpr_queue_ptr 0
		.amdhsa_user_sgpr_kernarg_segment_ptr 1
		.amdhsa_user_sgpr_dispatch_id 0
		.amdhsa_user_sgpr_flat_scratch_init 0
		.amdhsa_user_sgpr_kernarg_preload_length 0
		.amdhsa_user_sgpr_kernarg_preload_offset 0
		.amdhsa_user_sgpr_private_segment_size 0
		.amdhsa_uses_dynamic_stack 0
		.amdhsa_system_sgpr_private_segment_wavefront_offset 0
		.amdhsa_system_sgpr_workgroup_id_x 1
		.amdhsa_system_sgpr_workgroup_id_y 0
		.amdhsa_system_sgpr_workgroup_id_z 0
		.amdhsa_system_sgpr_workgroup_info 0
		.amdhsa_system_vgpr_workitem_id 0
		.amdhsa_next_free_vgpr 1
		.amdhsa_next_free_sgpr 0
		.amdhsa_accum_offset 4
		.amdhsa_reserve_vcc 0
		.amdhsa_reserve_flat_scratch 0
		.amdhsa_float_round_mode_32 0
		.amdhsa_float_round_mode_16_64 0
		.amdhsa_float_denorm_mode_32 3
		.amdhsa_float_denorm_mode_16_64 3
		.amdhsa_dx10_clamp 1
		.amdhsa_ieee_mode 1
		.amdhsa_fp16_overflow 0
		.amdhsa_tg_split 0
		.amdhsa_exception_fp_ieee_invalid_op 0
		.amdhsa_exception_fp_denorm_src 0
		.amdhsa_exception_fp_ieee_div_zero 0
		.amdhsa_exception_fp_ieee_overflow 0
		.amdhsa_exception_fp_ieee_underflow 0
		.amdhsa_exception_fp_ieee_inexact 0
		.amdhsa_exception_int_div_zero 0
	.end_amdhsa_kernel
	.section	.text._ZN7rocprim17ROCPRIM_400000_NS6detail17trampoline_kernelINS0_14default_configENS1_20scan_config_selectorIfEEZZNS1_9scan_implILNS1_25lookback_scan_determinismE0ELb1ELb1ES3_N6thrust23THRUST_200600_302600_NS6detail15normal_iteratorINS9_10device_ptrIfEEEENS9_16discard_iteratorINS9_11use_defaultEEEfNS9_4plusIvEEfEEDaPvRmT3_T4_T5_mT6_P12ihipStream_tbENKUlT_T0_E_clISt17integral_constantIbLb1EESX_EEDaSS_ST_EUlSS_E0_NS1_11comp_targetILNS1_3genE2ELNS1_11target_archE906ELNS1_3gpuE6ELNS1_3repE0EEENS1_30default_config_static_selectorELNS0_4arch9wavefront6targetE1EEEvT1_,"axG",@progbits,_ZN7rocprim17ROCPRIM_400000_NS6detail17trampoline_kernelINS0_14default_configENS1_20scan_config_selectorIfEEZZNS1_9scan_implILNS1_25lookback_scan_determinismE0ELb1ELb1ES3_N6thrust23THRUST_200600_302600_NS6detail15normal_iteratorINS9_10device_ptrIfEEEENS9_16discard_iteratorINS9_11use_defaultEEEfNS9_4plusIvEEfEEDaPvRmT3_T4_T5_mT6_P12ihipStream_tbENKUlT_T0_E_clISt17integral_constantIbLb1EESX_EEDaSS_ST_EUlSS_E0_NS1_11comp_targetILNS1_3genE2ELNS1_11target_archE906ELNS1_3gpuE6ELNS1_3repE0EEENS1_30default_config_static_selectorELNS0_4arch9wavefront6targetE1EEEvT1_,comdat
.Lfunc_end5109:
	.size	_ZN7rocprim17ROCPRIM_400000_NS6detail17trampoline_kernelINS0_14default_configENS1_20scan_config_selectorIfEEZZNS1_9scan_implILNS1_25lookback_scan_determinismE0ELb1ELb1ES3_N6thrust23THRUST_200600_302600_NS6detail15normal_iteratorINS9_10device_ptrIfEEEENS9_16discard_iteratorINS9_11use_defaultEEEfNS9_4plusIvEEfEEDaPvRmT3_T4_T5_mT6_P12ihipStream_tbENKUlT_T0_E_clISt17integral_constantIbLb1EESX_EEDaSS_ST_EUlSS_E0_NS1_11comp_targetILNS1_3genE2ELNS1_11target_archE906ELNS1_3gpuE6ELNS1_3repE0EEENS1_30default_config_static_selectorELNS0_4arch9wavefront6targetE1EEEvT1_, .Lfunc_end5109-_ZN7rocprim17ROCPRIM_400000_NS6detail17trampoline_kernelINS0_14default_configENS1_20scan_config_selectorIfEEZZNS1_9scan_implILNS1_25lookback_scan_determinismE0ELb1ELb1ES3_N6thrust23THRUST_200600_302600_NS6detail15normal_iteratorINS9_10device_ptrIfEEEENS9_16discard_iteratorINS9_11use_defaultEEEfNS9_4plusIvEEfEEDaPvRmT3_T4_T5_mT6_P12ihipStream_tbENKUlT_T0_E_clISt17integral_constantIbLb1EESX_EEDaSS_ST_EUlSS_E0_NS1_11comp_targetILNS1_3genE2ELNS1_11target_archE906ELNS1_3gpuE6ELNS1_3repE0EEENS1_30default_config_static_selectorELNS0_4arch9wavefront6targetE1EEEvT1_
                                        ; -- End function
	.section	.AMDGPU.csdata,"",@progbits
; Kernel info:
; codeLenInByte = 0
; NumSgprs: 4
; NumVgprs: 0
; NumAgprs: 0
; TotalNumVgprs: 0
; ScratchSize: 0
; MemoryBound: 0
; FloatMode: 240
; IeeeMode: 1
; LDSByteSize: 0 bytes/workgroup (compile time only)
; SGPRBlocks: 0
; VGPRBlocks: 0
; NumSGPRsForWavesPerEU: 4
; NumVGPRsForWavesPerEU: 1
; AccumOffset: 4
; Occupancy: 8
; WaveLimiterHint : 0
; COMPUTE_PGM_RSRC2:SCRATCH_EN: 0
; COMPUTE_PGM_RSRC2:USER_SGPR: 6
; COMPUTE_PGM_RSRC2:TRAP_HANDLER: 0
; COMPUTE_PGM_RSRC2:TGID_X_EN: 1
; COMPUTE_PGM_RSRC2:TGID_Y_EN: 0
; COMPUTE_PGM_RSRC2:TGID_Z_EN: 0
; COMPUTE_PGM_RSRC2:TIDIG_COMP_CNT: 0
; COMPUTE_PGM_RSRC3_GFX90A:ACCUM_OFFSET: 0
; COMPUTE_PGM_RSRC3_GFX90A:TG_SPLIT: 0
	.section	.text._ZN7rocprim17ROCPRIM_400000_NS6detail17trampoline_kernelINS0_14default_configENS1_20scan_config_selectorIfEEZZNS1_9scan_implILNS1_25lookback_scan_determinismE0ELb1ELb1ES3_N6thrust23THRUST_200600_302600_NS6detail15normal_iteratorINS9_10device_ptrIfEEEENS9_16discard_iteratorINS9_11use_defaultEEEfNS9_4plusIvEEfEEDaPvRmT3_T4_T5_mT6_P12ihipStream_tbENKUlT_T0_E_clISt17integral_constantIbLb1EESX_EEDaSS_ST_EUlSS_E0_NS1_11comp_targetILNS1_3genE10ELNS1_11target_archE1201ELNS1_3gpuE5ELNS1_3repE0EEENS1_30default_config_static_selectorELNS0_4arch9wavefront6targetE1EEEvT1_,"axG",@progbits,_ZN7rocprim17ROCPRIM_400000_NS6detail17trampoline_kernelINS0_14default_configENS1_20scan_config_selectorIfEEZZNS1_9scan_implILNS1_25lookback_scan_determinismE0ELb1ELb1ES3_N6thrust23THRUST_200600_302600_NS6detail15normal_iteratorINS9_10device_ptrIfEEEENS9_16discard_iteratorINS9_11use_defaultEEEfNS9_4plusIvEEfEEDaPvRmT3_T4_T5_mT6_P12ihipStream_tbENKUlT_T0_E_clISt17integral_constantIbLb1EESX_EEDaSS_ST_EUlSS_E0_NS1_11comp_targetILNS1_3genE10ELNS1_11target_archE1201ELNS1_3gpuE5ELNS1_3repE0EEENS1_30default_config_static_selectorELNS0_4arch9wavefront6targetE1EEEvT1_,comdat
	.protected	_ZN7rocprim17ROCPRIM_400000_NS6detail17trampoline_kernelINS0_14default_configENS1_20scan_config_selectorIfEEZZNS1_9scan_implILNS1_25lookback_scan_determinismE0ELb1ELb1ES3_N6thrust23THRUST_200600_302600_NS6detail15normal_iteratorINS9_10device_ptrIfEEEENS9_16discard_iteratorINS9_11use_defaultEEEfNS9_4plusIvEEfEEDaPvRmT3_T4_T5_mT6_P12ihipStream_tbENKUlT_T0_E_clISt17integral_constantIbLb1EESX_EEDaSS_ST_EUlSS_E0_NS1_11comp_targetILNS1_3genE10ELNS1_11target_archE1201ELNS1_3gpuE5ELNS1_3repE0EEENS1_30default_config_static_selectorELNS0_4arch9wavefront6targetE1EEEvT1_ ; -- Begin function _ZN7rocprim17ROCPRIM_400000_NS6detail17trampoline_kernelINS0_14default_configENS1_20scan_config_selectorIfEEZZNS1_9scan_implILNS1_25lookback_scan_determinismE0ELb1ELb1ES3_N6thrust23THRUST_200600_302600_NS6detail15normal_iteratorINS9_10device_ptrIfEEEENS9_16discard_iteratorINS9_11use_defaultEEEfNS9_4plusIvEEfEEDaPvRmT3_T4_T5_mT6_P12ihipStream_tbENKUlT_T0_E_clISt17integral_constantIbLb1EESX_EEDaSS_ST_EUlSS_E0_NS1_11comp_targetILNS1_3genE10ELNS1_11target_archE1201ELNS1_3gpuE5ELNS1_3repE0EEENS1_30default_config_static_selectorELNS0_4arch9wavefront6targetE1EEEvT1_
	.globl	_ZN7rocprim17ROCPRIM_400000_NS6detail17trampoline_kernelINS0_14default_configENS1_20scan_config_selectorIfEEZZNS1_9scan_implILNS1_25lookback_scan_determinismE0ELb1ELb1ES3_N6thrust23THRUST_200600_302600_NS6detail15normal_iteratorINS9_10device_ptrIfEEEENS9_16discard_iteratorINS9_11use_defaultEEEfNS9_4plusIvEEfEEDaPvRmT3_T4_T5_mT6_P12ihipStream_tbENKUlT_T0_E_clISt17integral_constantIbLb1EESX_EEDaSS_ST_EUlSS_E0_NS1_11comp_targetILNS1_3genE10ELNS1_11target_archE1201ELNS1_3gpuE5ELNS1_3repE0EEENS1_30default_config_static_selectorELNS0_4arch9wavefront6targetE1EEEvT1_
	.p2align	8
	.type	_ZN7rocprim17ROCPRIM_400000_NS6detail17trampoline_kernelINS0_14default_configENS1_20scan_config_selectorIfEEZZNS1_9scan_implILNS1_25lookback_scan_determinismE0ELb1ELb1ES3_N6thrust23THRUST_200600_302600_NS6detail15normal_iteratorINS9_10device_ptrIfEEEENS9_16discard_iteratorINS9_11use_defaultEEEfNS9_4plusIvEEfEEDaPvRmT3_T4_T5_mT6_P12ihipStream_tbENKUlT_T0_E_clISt17integral_constantIbLb1EESX_EEDaSS_ST_EUlSS_E0_NS1_11comp_targetILNS1_3genE10ELNS1_11target_archE1201ELNS1_3gpuE5ELNS1_3repE0EEENS1_30default_config_static_selectorELNS0_4arch9wavefront6targetE1EEEvT1_,@function
_ZN7rocprim17ROCPRIM_400000_NS6detail17trampoline_kernelINS0_14default_configENS1_20scan_config_selectorIfEEZZNS1_9scan_implILNS1_25lookback_scan_determinismE0ELb1ELb1ES3_N6thrust23THRUST_200600_302600_NS6detail15normal_iteratorINS9_10device_ptrIfEEEENS9_16discard_iteratorINS9_11use_defaultEEEfNS9_4plusIvEEfEEDaPvRmT3_T4_T5_mT6_P12ihipStream_tbENKUlT_T0_E_clISt17integral_constantIbLb1EESX_EEDaSS_ST_EUlSS_E0_NS1_11comp_targetILNS1_3genE10ELNS1_11target_archE1201ELNS1_3gpuE5ELNS1_3repE0EEENS1_30default_config_static_selectorELNS0_4arch9wavefront6targetE1EEEvT1_: ; @_ZN7rocprim17ROCPRIM_400000_NS6detail17trampoline_kernelINS0_14default_configENS1_20scan_config_selectorIfEEZZNS1_9scan_implILNS1_25lookback_scan_determinismE0ELb1ELb1ES3_N6thrust23THRUST_200600_302600_NS6detail15normal_iteratorINS9_10device_ptrIfEEEENS9_16discard_iteratorINS9_11use_defaultEEEfNS9_4plusIvEEfEEDaPvRmT3_T4_T5_mT6_P12ihipStream_tbENKUlT_T0_E_clISt17integral_constantIbLb1EESX_EEDaSS_ST_EUlSS_E0_NS1_11comp_targetILNS1_3genE10ELNS1_11target_archE1201ELNS1_3gpuE5ELNS1_3repE0EEENS1_30default_config_static_selectorELNS0_4arch9wavefront6targetE1EEEvT1_
; %bb.0:
	.section	.rodata,"a",@progbits
	.p2align	6, 0x0
	.amdhsa_kernel _ZN7rocprim17ROCPRIM_400000_NS6detail17trampoline_kernelINS0_14default_configENS1_20scan_config_selectorIfEEZZNS1_9scan_implILNS1_25lookback_scan_determinismE0ELb1ELb1ES3_N6thrust23THRUST_200600_302600_NS6detail15normal_iteratorINS9_10device_ptrIfEEEENS9_16discard_iteratorINS9_11use_defaultEEEfNS9_4plusIvEEfEEDaPvRmT3_T4_T5_mT6_P12ihipStream_tbENKUlT_T0_E_clISt17integral_constantIbLb1EESX_EEDaSS_ST_EUlSS_E0_NS1_11comp_targetILNS1_3genE10ELNS1_11target_archE1201ELNS1_3gpuE5ELNS1_3repE0EEENS1_30default_config_static_selectorELNS0_4arch9wavefront6targetE1EEEvT1_
		.amdhsa_group_segment_fixed_size 0
		.amdhsa_private_segment_fixed_size 0
		.amdhsa_kernarg_size 40
		.amdhsa_user_sgpr_count 6
		.amdhsa_user_sgpr_private_segment_buffer 1
		.amdhsa_user_sgpr_dispatch_ptr 0
		.amdhsa_user_sgpr_queue_ptr 0
		.amdhsa_user_sgpr_kernarg_segment_ptr 1
		.amdhsa_user_sgpr_dispatch_id 0
		.amdhsa_user_sgpr_flat_scratch_init 0
		.amdhsa_user_sgpr_kernarg_preload_length 0
		.amdhsa_user_sgpr_kernarg_preload_offset 0
		.amdhsa_user_sgpr_private_segment_size 0
		.amdhsa_uses_dynamic_stack 0
		.amdhsa_system_sgpr_private_segment_wavefront_offset 0
		.amdhsa_system_sgpr_workgroup_id_x 1
		.amdhsa_system_sgpr_workgroup_id_y 0
		.amdhsa_system_sgpr_workgroup_id_z 0
		.amdhsa_system_sgpr_workgroup_info 0
		.amdhsa_system_vgpr_workitem_id 0
		.amdhsa_next_free_vgpr 1
		.amdhsa_next_free_sgpr 0
		.amdhsa_accum_offset 4
		.amdhsa_reserve_vcc 0
		.amdhsa_reserve_flat_scratch 0
		.amdhsa_float_round_mode_32 0
		.amdhsa_float_round_mode_16_64 0
		.amdhsa_float_denorm_mode_32 3
		.amdhsa_float_denorm_mode_16_64 3
		.amdhsa_dx10_clamp 1
		.amdhsa_ieee_mode 1
		.amdhsa_fp16_overflow 0
		.amdhsa_tg_split 0
		.amdhsa_exception_fp_ieee_invalid_op 0
		.amdhsa_exception_fp_denorm_src 0
		.amdhsa_exception_fp_ieee_div_zero 0
		.amdhsa_exception_fp_ieee_overflow 0
		.amdhsa_exception_fp_ieee_underflow 0
		.amdhsa_exception_fp_ieee_inexact 0
		.amdhsa_exception_int_div_zero 0
	.end_amdhsa_kernel
	.section	.text._ZN7rocprim17ROCPRIM_400000_NS6detail17trampoline_kernelINS0_14default_configENS1_20scan_config_selectorIfEEZZNS1_9scan_implILNS1_25lookback_scan_determinismE0ELb1ELb1ES3_N6thrust23THRUST_200600_302600_NS6detail15normal_iteratorINS9_10device_ptrIfEEEENS9_16discard_iteratorINS9_11use_defaultEEEfNS9_4plusIvEEfEEDaPvRmT3_T4_T5_mT6_P12ihipStream_tbENKUlT_T0_E_clISt17integral_constantIbLb1EESX_EEDaSS_ST_EUlSS_E0_NS1_11comp_targetILNS1_3genE10ELNS1_11target_archE1201ELNS1_3gpuE5ELNS1_3repE0EEENS1_30default_config_static_selectorELNS0_4arch9wavefront6targetE1EEEvT1_,"axG",@progbits,_ZN7rocprim17ROCPRIM_400000_NS6detail17trampoline_kernelINS0_14default_configENS1_20scan_config_selectorIfEEZZNS1_9scan_implILNS1_25lookback_scan_determinismE0ELb1ELb1ES3_N6thrust23THRUST_200600_302600_NS6detail15normal_iteratorINS9_10device_ptrIfEEEENS9_16discard_iteratorINS9_11use_defaultEEEfNS9_4plusIvEEfEEDaPvRmT3_T4_T5_mT6_P12ihipStream_tbENKUlT_T0_E_clISt17integral_constantIbLb1EESX_EEDaSS_ST_EUlSS_E0_NS1_11comp_targetILNS1_3genE10ELNS1_11target_archE1201ELNS1_3gpuE5ELNS1_3repE0EEENS1_30default_config_static_selectorELNS0_4arch9wavefront6targetE1EEEvT1_,comdat
.Lfunc_end5110:
	.size	_ZN7rocprim17ROCPRIM_400000_NS6detail17trampoline_kernelINS0_14default_configENS1_20scan_config_selectorIfEEZZNS1_9scan_implILNS1_25lookback_scan_determinismE0ELb1ELb1ES3_N6thrust23THRUST_200600_302600_NS6detail15normal_iteratorINS9_10device_ptrIfEEEENS9_16discard_iteratorINS9_11use_defaultEEEfNS9_4plusIvEEfEEDaPvRmT3_T4_T5_mT6_P12ihipStream_tbENKUlT_T0_E_clISt17integral_constantIbLb1EESX_EEDaSS_ST_EUlSS_E0_NS1_11comp_targetILNS1_3genE10ELNS1_11target_archE1201ELNS1_3gpuE5ELNS1_3repE0EEENS1_30default_config_static_selectorELNS0_4arch9wavefront6targetE1EEEvT1_, .Lfunc_end5110-_ZN7rocprim17ROCPRIM_400000_NS6detail17trampoline_kernelINS0_14default_configENS1_20scan_config_selectorIfEEZZNS1_9scan_implILNS1_25lookback_scan_determinismE0ELb1ELb1ES3_N6thrust23THRUST_200600_302600_NS6detail15normal_iteratorINS9_10device_ptrIfEEEENS9_16discard_iteratorINS9_11use_defaultEEEfNS9_4plusIvEEfEEDaPvRmT3_T4_T5_mT6_P12ihipStream_tbENKUlT_T0_E_clISt17integral_constantIbLb1EESX_EEDaSS_ST_EUlSS_E0_NS1_11comp_targetILNS1_3genE10ELNS1_11target_archE1201ELNS1_3gpuE5ELNS1_3repE0EEENS1_30default_config_static_selectorELNS0_4arch9wavefront6targetE1EEEvT1_
                                        ; -- End function
	.section	.AMDGPU.csdata,"",@progbits
; Kernel info:
; codeLenInByte = 0
; NumSgprs: 4
; NumVgprs: 0
; NumAgprs: 0
; TotalNumVgprs: 0
; ScratchSize: 0
; MemoryBound: 0
; FloatMode: 240
; IeeeMode: 1
; LDSByteSize: 0 bytes/workgroup (compile time only)
; SGPRBlocks: 0
; VGPRBlocks: 0
; NumSGPRsForWavesPerEU: 4
; NumVGPRsForWavesPerEU: 1
; AccumOffset: 4
; Occupancy: 8
; WaveLimiterHint : 0
; COMPUTE_PGM_RSRC2:SCRATCH_EN: 0
; COMPUTE_PGM_RSRC2:USER_SGPR: 6
; COMPUTE_PGM_RSRC2:TRAP_HANDLER: 0
; COMPUTE_PGM_RSRC2:TGID_X_EN: 1
; COMPUTE_PGM_RSRC2:TGID_Y_EN: 0
; COMPUTE_PGM_RSRC2:TGID_Z_EN: 0
; COMPUTE_PGM_RSRC2:TIDIG_COMP_CNT: 0
; COMPUTE_PGM_RSRC3_GFX90A:ACCUM_OFFSET: 0
; COMPUTE_PGM_RSRC3_GFX90A:TG_SPLIT: 0
	.section	.text._ZN7rocprim17ROCPRIM_400000_NS6detail17trampoline_kernelINS0_14default_configENS1_20scan_config_selectorIfEEZZNS1_9scan_implILNS1_25lookback_scan_determinismE0ELb1ELb1ES3_N6thrust23THRUST_200600_302600_NS6detail15normal_iteratorINS9_10device_ptrIfEEEENS9_16discard_iteratorINS9_11use_defaultEEEfNS9_4plusIvEEfEEDaPvRmT3_T4_T5_mT6_P12ihipStream_tbENKUlT_T0_E_clISt17integral_constantIbLb1EESX_EEDaSS_ST_EUlSS_E0_NS1_11comp_targetILNS1_3genE10ELNS1_11target_archE1200ELNS1_3gpuE4ELNS1_3repE0EEENS1_30default_config_static_selectorELNS0_4arch9wavefront6targetE1EEEvT1_,"axG",@progbits,_ZN7rocprim17ROCPRIM_400000_NS6detail17trampoline_kernelINS0_14default_configENS1_20scan_config_selectorIfEEZZNS1_9scan_implILNS1_25lookback_scan_determinismE0ELb1ELb1ES3_N6thrust23THRUST_200600_302600_NS6detail15normal_iteratorINS9_10device_ptrIfEEEENS9_16discard_iteratorINS9_11use_defaultEEEfNS9_4plusIvEEfEEDaPvRmT3_T4_T5_mT6_P12ihipStream_tbENKUlT_T0_E_clISt17integral_constantIbLb1EESX_EEDaSS_ST_EUlSS_E0_NS1_11comp_targetILNS1_3genE10ELNS1_11target_archE1200ELNS1_3gpuE4ELNS1_3repE0EEENS1_30default_config_static_selectorELNS0_4arch9wavefront6targetE1EEEvT1_,comdat
	.protected	_ZN7rocprim17ROCPRIM_400000_NS6detail17trampoline_kernelINS0_14default_configENS1_20scan_config_selectorIfEEZZNS1_9scan_implILNS1_25lookback_scan_determinismE0ELb1ELb1ES3_N6thrust23THRUST_200600_302600_NS6detail15normal_iteratorINS9_10device_ptrIfEEEENS9_16discard_iteratorINS9_11use_defaultEEEfNS9_4plusIvEEfEEDaPvRmT3_T4_T5_mT6_P12ihipStream_tbENKUlT_T0_E_clISt17integral_constantIbLb1EESX_EEDaSS_ST_EUlSS_E0_NS1_11comp_targetILNS1_3genE10ELNS1_11target_archE1200ELNS1_3gpuE4ELNS1_3repE0EEENS1_30default_config_static_selectorELNS0_4arch9wavefront6targetE1EEEvT1_ ; -- Begin function _ZN7rocprim17ROCPRIM_400000_NS6detail17trampoline_kernelINS0_14default_configENS1_20scan_config_selectorIfEEZZNS1_9scan_implILNS1_25lookback_scan_determinismE0ELb1ELb1ES3_N6thrust23THRUST_200600_302600_NS6detail15normal_iteratorINS9_10device_ptrIfEEEENS9_16discard_iteratorINS9_11use_defaultEEEfNS9_4plusIvEEfEEDaPvRmT3_T4_T5_mT6_P12ihipStream_tbENKUlT_T0_E_clISt17integral_constantIbLb1EESX_EEDaSS_ST_EUlSS_E0_NS1_11comp_targetILNS1_3genE10ELNS1_11target_archE1200ELNS1_3gpuE4ELNS1_3repE0EEENS1_30default_config_static_selectorELNS0_4arch9wavefront6targetE1EEEvT1_
	.globl	_ZN7rocprim17ROCPRIM_400000_NS6detail17trampoline_kernelINS0_14default_configENS1_20scan_config_selectorIfEEZZNS1_9scan_implILNS1_25lookback_scan_determinismE0ELb1ELb1ES3_N6thrust23THRUST_200600_302600_NS6detail15normal_iteratorINS9_10device_ptrIfEEEENS9_16discard_iteratorINS9_11use_defaultEEEfNS9_4plusIvEEfEEDaPvRmT3_T4_T5_mT6_P12ihipStream_tbENKUlT_T0_E_clISt17integral_constantIbLb1EESX_EEDaSS_ST_EUlSS_E0_NS1_11comp_targetILNS1_3genE10ELNS1_11target_archE1200ELNS1_3gpuE4ELNS1_3repE0EEENS1_30default_config_static_selectorELNS0_4arch9wavefront6targetE1EEEvT1_
	.p2align	8
	.type	_ZN7rocprim17ROCPRIM_400000_NS6detail17trampoline_kernelINS0_14default_configENS1_20scan_config_selectorIfEEZZNS1_9scan_implILNS1_25lookback_scan_determinismE0ELb1ELb1ES3_N6thrust23THRUST_200600_302600_NS6detail15normal_iteratorINS9_10device_ptrIfEEEENS9_16discard_iteratorINS9_11use_defaultEEEfNS9_4plusIvEEfEEDaPvRmT3_T4_T5_mT6_P12ihipStream_tbENKUlT_T0_E_clISt17integral_constantIbLb1EESX_EEDaSS_ST_EUlSS_E0_NS1_11comp_targetILNS1_3genE10ELNS1_11target_archE1200ELNS1_3gpuE4ELNS1_3repE0EEENS1_30default_config_static_selectorELNS0_4arch9wavefront6targetE1EEEvT1_,@function
_ZN7rocprim17ROCPRIM_400000_NS6detail17trampoline_kernelINS0_14default_configENS1_20scan_config_selectorIfEEZZNS1_9scan_implILNS1_25lookback_scan_determinismE0ELb1ELb1ES3_N6thrust23THRUST_200600_302600_NS6detail15normal_iteratorINS9_10device_ptrIfEEEENS9_16discard_iteratorINS9_11use_defaultEEEfNS9_4plusIvEEfEEDaPvRmT3_T4_T5_mT6_P12ihipStream_tbENKUlT_T0_E_clISt17integral_constantIbLb1EESX_EEDaSS_ST_EUlSS_E0_NS1_11comp_targetILNS1_3genE10ELNS1_11target_archE1200ELNS1_3gpuE4ELNS1_3repE0EEENS1_30default_config_static_selectorELNS0_4arch9wavefront6targetE1EEEvT1_: ; @_ZN7rocprim17ROCPRIM_400000_NS6detail17trampoline_kernelINS0_14default_configENS1_20scan_config_selectorIfEEZZNS1_9scan_implILNS1_25lookback_scan_determinismE0ELb1ELb1ES3_N6thrust23THRUST_200600_302600_NS6detail15normal_iteratorINS9_10device_ptrIfEEEENS9_16discard_iteratorINS9_11use_defaultEEEfNS9_4plusIvEEfEEDaPvRmT3_T4_T5_mT6_P12ihipStream_tbENKUlT_T0_E_clISt17integral_constantIbLb1EESX_EEDaSS_ST_EUlSS_E0_NS1_11comp_targetILNS1_3genE10ELNS1_11target_archE1200ELNS1_3gpuE4ELNS1_3repE0EEENS1_30default_config_static_selectorELNS0_4arch9wavefront6targetE1EEEvT1_
; %bb.0:
	.section	.rodata,"a",@progbits
	.p2align	6, 0x0
	.amdhsa_kernel _ZN7rocprim17ROCPRIM_400000_NS6detail17trampoline_kernelINS0_14default_configENS1_20scan_config_selectorIfEEZZNS1_9scan_implILNS1_25lookback_scan_determinismE0ELb1ELb1ES3_N6thrust23THRUST_200600_302600_NS6detail15normal_iteratorINS9_10device_ptrIfEEEENS9_16discard_iteratorINS9_11use_defaultEEEfNS9_4plusIvEEfEEDaPvRmT3_T4_T5_mT6_P12ihipStream_tbENKUlT_T0_E_clISt17integral_constantIbLb1EESX_EEDaSS_ST_EUlSS_E0_NS1_11comp_targetILNS1_3genE10ELNS1_11target_archE1200ELNS1_3gpuE4ELNS1_3repE0EEENS1_30default_config_static_selectorELNS0_4arch9wavefront6targetE1EEEvT1_
		.amdhsa_group_segment_fixed_size 0
		.amdhsa_private_segment_fixed_size 0
		.amdhsa_kernarg_size 40
		.amdhsa_user_sgpr_count 6
		.amdhsa_user_sgpr_private_segment_buffer 1
		.amdhsa_user_sgpr_dispatch_ptr 0
		.amdhsa_user_sgpr_queue_ptr 0
		.amdhsa_user_sgpr_kernarg_segment_ptr 1
		.amdhsa_user_sgpr_dispatch_id 0
		.amdhsa_user_sgpr_flat_scratch_init 0
		.amdhsa_user_sgpr_kernarg_preload_length 0
		.amdhsa_user_sgpr_kernarg_preload_offset 0
		.amdhsa_user_sgpr_private_segment_size 0
		.amdhsa_uses_dynamic_stack 0
		.amdhsa_system_sgpr_private_segment_wavefront_offset 0
		.amdhsa_system_sgpr_workgroup_id_x 1
		.amdhsa_system_sgpr_workgroup_id_y 0
		.amdhsa_system_sgpr_workgroup_id_z 0
		.amdhsa_system_sgpr_workgroup_info 0
		.amdhsa_system_vgpr_workitem_id 0
		.amdhsa_next_free_vgpr 1
		.amdhsa_next_free_sgpr 0
		.amdhsa_accum_offset 4
		.amdhsa_reserve_vcc 0
		.amdhsa_reserve_flat_scratch 0
		.amdhsa_float_round_mode_32 0
		.amdhsa_float_round_mode_16_64 0
		.amdhsa_float_denorm_mode_32 3
		.amdhsa_float_denorm_mode_16_64 3
		.amdhsa_dx10_clamp 1
		.amdhsa_ieee_mode 1
		.amdhsa_fp16_overflow 0
		.amdhsa_tg_split 0
		.amdhsa_exception_fp_ieee_invalid_op 0
		.amdhsa_exception_fp_denorm_src 0
		.amdhsa_exception_fp_ieee_div_zero 0
		.amdhsa_exception_fp_ieee_overflow 0
		.amdhsa_exception_fp_ieee_underflow 0
		.amdhsa_exception_fp_ieee_inexact 0
		.amdhsa_exception_int_div_zero 0
	.end_amdhsa_kernel
	.section	.text._ZN7rocprim17ROCPRIM_400000_NS6detail17trampoline_kernelINS0_14default_configENS1_20scan_config_selectorIfEEZZNS1_9scan_implILNS1_25lookback_scan_determinismE0ELb1ELb1ES3_N6thrust23THRUST_200600_302600_NS6detail15normal_iteratorINS9_10device_ptrIfEEEENS9_16discard_iteratorINS9_11use_defaultEEEfNS9_4plusIvEEfEEDaPvRmT3_T4_T5_mT6_P12ihipStream_tbENKUlT_T0_E_clISt17integral_constantIbLb1EESX_EEDaSS_ST_EUlSS_E0_NS1_11comp_targetILNS1_3genE10ELNS1_11target_archE1200ELNS1_3gpuE4ELNS1_3repE0EEENS1_30default_config_static_selectorELNS0_4arch9wavefront6targetE1EEEvT1_,"axG",@progbits,_ZN7rocprim17ROCPRIM_400000_NS6detail17trampoline_kernelINS0_14default_configENS1_20scan_config_selectorIfEEZZNS1_9scan_implILNS1_25lookback_scan_determinismE0ELb1ELb1ES3_N6thrust23THRUST_200600_302600_NS6detail15normal_iteratorINS9_10device_ptrIfEEEENS9_16discard_iteratorINS9_11use_defaultEEEfNS9_4plusIvEEfEEDaPvRmT3_T4_T5_mT6_P12ihipStream_tbENKUlT_T0_E_clISt17integral_constantIbLb1EESX_EEDaSS_ST_EUlSS_E0_NS1_11comp_targetILNS1_3genE10ELNS1_11target_archE1200ELNS1_3gpuE4ELNS1_3repE0EEENS1_30default_config_static_selectorELNS0_4arch9wavefront6targetE1EEEvT1_,comdat
.Lfunc_end5111:
	.size	_ZN7rocprim17ROCPRIM_400000_NS6detail17trampoline_kernelINS0_14default_configENS1_20scan_config_selectorIfEEZZNS1_9scan_implILNS1_25lookback_scan_determinismE0ELb1ELb1ES3_N6thrust23THRUST_200600_302600_NS6detail15normal_iteratorINS9_10device_ptrIfEEEENS9_16discard_iteratorINS9_11use_defaultEEEfNS9_4plusIvEEfEEDaPvRmT3_T4_T5_mT6_P12ihipStream_tbENKUlT_T0_E_clISt17integral_constantIbLb1EESX_EEDaSS_ST_EUlSS_E0_NS1_11comp_targetILNS1_3genE10ELNS1_11target_archE1200ELNS1_3gpuE4ELNS1_3repE0EEENS1_30default_config_static_selectorELNS0_4arch9wavefront6targetE1EEEvT1_, .Lfunc_end5111-_ZN7rocprim17ROCPRIM_400000_NS6detail17trampoline_kernelINS0_14default_configENS1_20scan_config_selectorIfEEZZNS1_9scan_implILNS1_25lookback_scan_determinismE0ELb1ELb1ES3_N6thrust23THRUST_200600_302600_NS6detail15normal_iteratorINS9_10device_ptrIfEEEENS9_16discard_iteratorINS9_11use_defaultEEEfNS9_4plusIvEEfEEDaPvRmT3_T4_T5_mT6_P12ihipStream_tbENKUlT_T0_E_clISt17integral_constantIbLb1EESX_EEDaSS_ST_EUlSS_E0_NS1_11comp_targetILNS1_3genE10ELNS1_11target_archE1200ELNS1_3gpuE4ELNS1_3repE0EEENS1_30default_config_static_selectorELNS0_4arch9wavefront6targetE1EEEvT1_
                                        ; -- End function
	.section	.AMDGPU.csdata,"",@progbits
; Kernel info:
; codeLenInByte = 0
; NumSgprs: 4
; NumVgprs: 0
; NumAgprs: 0
; TotalNumVgprs: 0
; ScratchSize: 0
; MemoryBound: 0
; FloatMode: 240
; IeeeMode: 1
; LDSByteSize: 0 bytes/workgroup (compile time only)
; SGPRBlocks: 0
; VGPRBlocks: 0
; NumSGPRsForWavesPerEU: 4
; NumVGPRsForWavesPerEU: 1
; AccumOffset: 4
; Occupancy: 8
; WaveLimiterHint : 0
; COMPUTE_PGM_RSRC2:SCRATCH_EN: 0
; COMPUTE_PGM_RSRC2:USER_SGPR: 6
; COMPUTE_PGM_RSRC2:TRAP_HANDLER: 0
; COMPUTE_PGM_RSRC2:TGID_X_EN: 1
; COMPUTE_PGM_RSRC2:TGID_Y_EN: 0
; COMPUTE_PGM_RSRC2:TGID_Z_EN: 0
; COMPUTE_PGM_RSRC2:TIDIG_COMP_CNT: 0
; COMPUTE_PGM_RSRC3_GFX90A:ACCUM_OFFSET: 0
; COMPUTE_PGM_RSRC3_GFX90A:TG_SPLIT: 0
	.section	.text._ZN7rocprim17ROCPRIM_400000_NS6detail17trampoline_kernelINS0_14default_configENS1_20scan_config_selectorIfEEZZNS1_9scan_implILNS1_25lookback_scan_determinismE0ELb1ELb1ES3_N6thrust23THRUST_200600_302600_NS6detail15normal_iteratorINS9_10device_ptrIfEEEENS9_16discard_iteratorINS9_11use_defaultEEEfNS9_4plusIvEEfEEDaPvRmT3_T4_T5_mT6_P12ihipStream_tbENKUlT_T0_E_clISt17integral_constantIbLb1EESX_EEDaSS_ST_EUlSS_E0_NS1_11comp_targetILNS1_3genE9ELNS1_11target_archE1100ELNS1_3gpuE3ELNS1_3repE0EEENS1_30default_config_static_selectorELNS0_4arch9wavefront6targetE1EEEvT1_,"axG",@progbits,_ZN7rocprim17ROCPRIM_400000_NS6detail17trampoline_kernelINS0_14default_configENS1_20scan_config_selectorIfEEZZNS1_9scan_implILNS1_25lookback_scan_determinismE0ELb1ELb1ES3_N6thrust23THRUST_200600_302600_NS6detail15normal_iteratorINS9_10device_ptrIfEEEENS9_16discard_iteratorINS9_11use_defaultEEEfNS9_4plusIvEEfEEDaPvRmT3_T4_T5_mT6_P12ihipStream_tbENKUlT_T0_E_clISt17integral_constantIbLb1EESX_EEDaSS_ST_EUlSS_E0_NS1_11comp_targetILNS1_3genE9ELNS1_11target_archE1100ELNS1_3gpuE3ELNS1_3repE0EEENS1_30default_config_static_selectorELNS0_4arch9wavefront6targetE1EEEvT1_,comdat
	.protected	_ZN7rocprim17ROCPRIM_400000_NS6detail17trampoline_kernelINS0_14default_configENS1_20scan_config_selectorIfEEZZNS1_9scan_implILNS1_25lookback_scan_determinismE0ELb1ELb1ES3_N6thrust23THRUST_200600_302600_NS6detail15normal_iteratorINS9_10device_ptrIfEEEENS9_16discard_iteratorINS9_11use_defaultEEEfNS9_4plusIvEEfEEDaPvRmT3_T4_T5_mT6_P12ihipStream_tbENKUlT_T0_E_clISt17integral_constantIbLb1EESX_EEDaSS_ST_EUlSS_E0_NS1_11comp_targetILNS1_3genE9ELNS1_11target_archE1100ELNS1_3gpuE3ELNS1_3repE0EEENS1_30default_config_static_selectorELNS0_4arch9wavefront6targetE1EEEvT1_ ; -- Begin function _ZN7rocprim17ROCPRIM_400000_NS6detail17trampoline_kernelINS0_14default_configENS1_20scan_config_selectorIfEEZZNS1_9scan_implILNS1_25lookback_scan_determinismE0ELb1ELb1ES3_N6thrust23THRUST_200600_302600_NS6detail15normal_iteratorINS9_10device_ptrIfEEEENS9_16discard_iteratorINS9_11use_defaultEEEfNS9_4plusIvEEfEEDaPvRmT3_T4_T5_mT6_P12ihipStream_tbENKUlT_T0_E_clISt17integral_constantIbLb1EESX_EEDaSS_ST_EUlSS_E0_NS1_11comp_targetILNS1_3genE9ELNS1_11target_archE1100ELNS1_3gpuE3ELNS1_3repE0EEENS1_30default_config_static_selectorELNS0_4arch9wavefront6targetE1EEEvT1_
	.globl	_ZN7rocprim17ROCPRIM_400000_NS6detail17trampoline_kernelINS0_14default_configENS1_20scan_config_selectorIfEEZZNS1_9scan_implILNS1_25lookback_scan_determinismE0ELb1ELb1ES3_N6thrust23THRUST_200600_302600_NS6detail15normal_iteratorINS9_10device_ptrIfEEEENS9_16discard_iteratorINS9_11use_defaultEEEfNS9_4plusIvEEfEEDaPvRmT3_T4_T5_mT6_P12ihipStream_tbENKUlT_T0_E_clISt17integral_constantIbLb1EESX_EEDaSS_ST_EUlSS_E0_NS1_11comp_targetILNS1_3genE9ELNS1_11target_archE1100ELNS1_3gpuE3ELNS1_3repE0EEENS1_30default_config_static_selectorELNS0_4arch9wavefront6targetE1EEEvT1_
	.p2align	8
	.type	_ZN7rocprim17ROCPRIM_400000_NS6detail17trampoline_kernelINS0_14default_configENS1_20scan_config_selectorIfEEZZNS1_9scan_implILNS1_25lookback_scan_determinismE0ELb1ELb1ES3_N6thrust23THRUST_200600_302600_NS6detail15normal_iteratorINS9_10device_ptrIfEEEENS9_16discard_iteratorINS9_11use_defaultEEEfNS9_4plusIvEEfEEDaPvRmT3_T4_T5_mT6_P12ihipStream_tbENKUlT_T0_E_clISt17integral_constantIbLb1EESX_EEDaSS_ST_EUlSS_E0_NS1_11comp_targetILNS1_3genE9ELNS1_11target_archE1100ELNS1_3gpuE3ELNS1_3repE0EEENS1_30default_config_static_selectorELNS0_4arch9wavefront6targetE1EEEvT1_,@function
_ZN7rocprim17ROCPRIM_400000_NS6detail17trampoline_kernelINS0_14default_configENS1_20scan_config_selectorIfEEZZNS1_9scan_implILNS1_25lookback_scan_determinismE0ELb1ELb1ES3_N6thrust23THRUST_200600_302600_NS6detail15normal_iteratorINS9_10device_ptrIfEEEENS9_16discard_iteratorINS9_11use_defaultEEEfNS9_4plusIvEEfEEDaPvRmT3_T4_T5_mT6_P12ihipStream_tbENKUlT_T0_E_clISt17integral_constantIbLb1EESX_EEDaSS_ST_EUlSS_E0_NS1_11comp_targetILNS1_3genE9ELNS1_11target_archE1100ELNS1_3gpuE3ELNS1_3repE0EEENS1_30default_config_static_selectorELNS0_4arch9wavefront6targetE1EEEvT1_: ; @_ZN7rocprim17ROCPRIM_400000_NS6detail17trampoline_kernelINS0_14default_configENS1_20scan_config_selectorIfEEZZNS1_9scan_implILNS1_25lookback_scan_determinismE0ELb1ELb1ES3_N6thrust23THRUST_200600_302600_NS6detail15normal_iteratorINS9_10device_ptrIfEEEENS9_16discard_iteratorINS9_11use_defaultEEEfNS9_4plusIvEEfEEDaPvRmT3_T4_T5_mT6_P12ihipStream_tbENKUlT_T0_E_clISt17integral_constantIbLb1EESX_EEDaSS_ST_EUlSS_E0_NS1_11comp_targetILNS1_3genE9ELNS1_11target_archE1100ELNS1_3gpuE3ELNS1_3repE0EEENS1_30default_config_static_selectorELNS0_4arch9wavefront6targetE1EEEvT1_
; %bb.0:
	.section	.rodata,"a",@progbits
	.p2align	6, 0x0
	.amdhsa_kernel _ZN7rocprim17ROCPRIM_400000_NS6detail17trampoline_kernelINS0_14default_configENS1_20scan_config_selectorIfEEZZNS1_9scan_implILNS1_25lookback_scan_determinismE0ELb1ELb1ES3_N6thrust23THRUST_200600_302600_NS6detail15normal_iteratorINS9_10device_ptrIfEEEENS9_16discard_iteratorINS9_11use_defaultEEEfNS9_4plusIvEEfEEDaPvRmT3_T4_T5_mT6_P12ihipStream_tbENKUlT_T0_E_clISt17integral_constantIbLb1EESX_EEDaSS_ST_EUlSS_E0_NS1_11comp_targetILNS1_3genE9ELNS1_11target_archE1100ELNS1_3gpuE3ELNS1_3repE0EEENS1_30default_config_static_selectorELNS0_4arch9wavefront6targetE1EEEvT1_
		.amdhsa_group_segment_fixed_size 0
		.amdhsa_private_segment_fixed_size 0
		.amdhsa_kernarg_size 40
		.amdhsa_user_sgpr_count 6
		.amdhsa_user_sgpr_private_segment_buffer 1
		.amdhsa_user_sgpr_dispatch_ptr 0
		.amdhsa_user_sgpr_queue_ptr 0
		.amdhsa_user_sgpr_kernarg_segment_ptr 1
		.amdhsa_user_sgpr_dispatch_id 0
		.amdhsa_user_sgpr_flat_scratch_init 0
		.amdhsa_user_sgpr_kernarg_preload_length 0
		.amdhsa_user_sgpr_kernarg_preload_offset 0
		.amdhsa_user_sgpr_private_segment_size 0
		.amdhsa_uses_dynamic_stack 0
		.amdhsa_system_sgpr_private_segment_wavefront_offset 0
		.amdhsa_system_sgpr_workgroup_id_x 1
		.amdhsa_system_sgpr_workgroup_id_y 0
		.amdhsa_system_sgpr_workgroup_id_z 0
		.amdhsa_system_sgpr_workgroup_info 0
		.amdhsa_system_vgpr_workitem_id 0
		.amdhsa_next_free_vgpr 1
		.amdhsa_next_free_sgpr 0
		.amdhsa_accum_offset 4
		.amdhsa_reserve_vcc 0
		.amdhsa_reserve_flat_scratch 0
		.amdhsa_float_round_mode_32 0
		.amdhsa_float_round_mode_16_64 0
		.amdhsa_float_denorm_mode_32 3
		.amdhsa_float_denorm_mode_16_64 3
		.amdhsa_dx10_clamp 1
		.amdhsa_ieee_mode 1
		.amdhsa_fp16_overflow 0
		.amdhsa_tg_split 0
		.amdhsa_exception_fp_ieee_invalid_op 0
		.amdhsa_exception_fp_denorm_src 0
		.amdhsa_exception_fp_ieee_div_zero 0
		.amdhsa_exception_fp_ieee_overflow 0
		.amdhsa_exception_fp_ieee_underflow 0
		.amdhsa_exception_fp_ieee_inexact 0
		.amdhsa_exception_int_div_zero 0
	.end_amdhsa_kernel
	.section	.text._ZN7rocprim17ROCPRIM_400000_NS6detail17trampoline_kernelINS0_14default_configENS1_20scan_config_selectorIfEEZZNS1_9scan_implILNS1_25lookback_scan_determinismE0ELb1ELb1ES3_N6thrust23THRUST_200600_302600_NS6detail15normal_iteratorINS9_10device_ptrIfEEEENS9_16discard_iteratorINS9_11use_defaultEEEfNS9_4plusIvEEfEEDaPvRmT3_T4_T5_mT6_P12ihipStream_tbENKUlT_T0_E_clISt17integral_constantIbLb1EESX_EEDaSS_ST_EUlSS_E0_NS1_11comp_targetILNS1_3genE9ELNS1_11target_archE1100ELNS1_3gpuE3ELNS1_3repE0EEENS1_30default_config_static_selectorELNS0_4arch9wavefront6targetE1EEEvT1_,"axG",@progbits,_ZN7rocprim17ROCPRIM_400000_NS6detail17trampoline_kernelINS0_14default_configENS1_20scan_config_selectorIfEEZZNS1_9scan_implILNS1_25lookback_scan_determinismE0ELb1ELb1ES3_N6thrust23THRUST_200600_302600_NS6detail15normal_iteratorINS9_10device_ptrIfEEEENS9_16discard_iteratorINS9_11use_defaultEEEfNS9_4plusIvEEfEEDaPvRmT3_T4_T5_mT6_P12ihipStream_tbENKUlT_T0_E_clISt17integral_constantIbLb1EESX_EEDaSS_ST_EUlSS_E0_NS1_11comp_targetILNS1_3genE9ELNS1_11target_archE1100ELNS1_3gpuE3ELNS1_3repE0EEENS1_30default_config_static_selectorELNS0_4arch9wavefront6targetE1EEEvT1_,comdat
.Lfunc_end5112:
	.size	_ZN7rocprim17ROCPRIM_400000_NS6detail17trampoline_kernelINS0_14default_configENS1_20scan_config_selectorIfEEZZNS1_9scan_implILNS1_25lookback_scan_determinismE0ELb1ELb1ES3_N6thrust23THRUST_200600_302600_NS6detail15normal_iteratorINS9_10device_ptrIfEEEENS9_16discard_iteratorINS9_11use_defaultEEEfNS9_4plusIvEEfEEDaPvRmT3_T4_T5_mT6_P12ihipStream_tbENKUlT_T0_E_clISt17integral_constantIbLb1EESX_EEDaSS_ST_EUlSS_E0_NS1_11comp_targetILNS1_3genE9ELNS1_11target_archE1100ELNS1_3gpuE3ELNS1_3repE0EEENS1_30default_config_static_selectorELNS0_4arch9wavefront6targetE1EEEvT1_, .Lfunc_end5112-_ZN7rocprim17ROCPRIM_400000_NS6detail17trampoline_kernelINS0_14default_configENS1_20scan_config_selectorIfEEZZNS1_9scan_implILNS1_25lookback_scan_determinismE0ELb1ELb1ES3_N6thrust23THRUST_200600_302600_NS6detail15normal_iteratorINS9_10device_ptrIfEEEENS9_16discard_iteratorINS9_11use_defaultEEEfNS9_4plusIvEEfEEDaPvRmT3_T4_T5_mT6_P12ihipStream_tbENKUlT_T0_E_clISt17integral_constantIbLb1EESX_EEDaSS_ST_EUlSS_E0_NS1_11comp_targetILNS1_3genE9ELNS1_11target_archE1100ELNS1_3gpuE3ELNS1_3repE0EEENS1_30default_config_static_selectorELNS0_4arch9wavefront6targetE1EEEvT1_
                                        ; -- End function
	.section	.AMDGPU.csdata,"",@progbits
; Kernel info:
; codeLenInByte = 0
; NumSgprs: 4
; NumVgprs: 0
; NumAgprs: 0
; TotalNumVgprs: 0
; ScratchSize: 0
; MemoryBound: 0
; FloatMode: 240
; IeeeMode: 1
; LDSByteSize: 0 bytes/workgroup (compile time only)
; SGPRBlocks: 0
; VGPRBlocks: 0
; NumSGPRsForWavesPerEU: 4
; NumVGPRsForWavesPerEU: 1
; AccumOffset: 4
; Occupancy: 8
; WaveLimiterHint : 0
; COMPUTE_PGM_RSRC2:SCRATCH_EN: 0
; COMPUTE_PGM_RSRC2:USER_SGPR: 6
; COMPUTE_PGM_RSRC2:TRAP_HANDLER: 0
; COMPUTE_PGM_RSRC2:TGID_X_EN: 1
; COMPUTE_PGM_RSRC2:TGID_Y_EN: 0
; COMPUTE_PGM_RSRC2:TGID_Z_EN: 0
; COMPUTE_PGM_RSRC2:TIDIG_COMP_CNT: 0
; COMPUTE_PGM_RSRC3_GFX90A:ACCUM_OFFSET: 0
; COMPUTE_PGM_RSRC3_GFX90A:TG_SPLIT: 0
	.section	.text._ZN7rocprim17ROCPRIM_400000_NS6detail17trampoline_kernelINS0_14default_configENS1_20scan_config_selectorIfEEZZNS1_9scan_implILNS1_25lookback_scan_determinismE0ELb1ELb1ES3_N6thrust23THRUST_200600_302600_NS6detail15normal_iteratorINS9_10device_ptrIfEEEENS9_16discard_iteratorINS9_11use_defaultEEEfNS9_4plusIvEEfEEDaPvRmT3_T4_T5_mT6_P12ihipStream_tbENKUlT_T0_E_clISt17integral_constantIbLb1EESX_EEDaSS_ST_EUlSS_E0_NS1_11comp_targetILNS1_3genE8ELNS1_11target_archE1030ELNS1_3gpuE2ELNS1_3repE0EEENS1_30default_config_static_selectorELNS0_4arch9wavefront6targetE1EEEvT1_,"axG",@progbits,_ZN7rocprim17ROCPRIM_400000_NS6detail17trampoline_kernelINS0_14default_configENS1_20scan_config_selectorIfEEZZNS1_9scan_implILNS1_25lookback_scan_determinismE0ELb1ELb1ES3_N6thrust23THRUST_200600_302600_NS6detail15normal_iteratorINS9_10device_ptrIfEEEENS9_16discard_iteratorINS9_11use_defaultEEEfNS9_4plusIvEEfEEDaPvRmT3_T4_T5_mT6_P12ihipStream_tbENKUlT_T0_E_clISt17integral_constantIbLb1EESX_EEDaSS_ST_EUlSS_E0_NS1_11comp_targetILNS1_3genE8ELNS1_11target_archE1030ELNS1_3gpuE2ELNS1_3repE0EEENS1_30default_config_static_selectorELNS0_4arch9wavefront6targetE1EEEvT1_,comdat
	.protected	_ZN7rocprim17ROCPRIM_400000_NS6detail17trampoline_kernelINS0_14default_configENS1_20scan_config_selectorIfEEZZNS1_9scan_implILNS1_25lookback_scan_determinismE0ELb1ELb1ES3_N6thrust23THRUST_200600_302600_NS6detail15normal_iteratorINS9_10device_ptrIfEEEENS9_16discard_iteratorINS9_11use_defaultEEEfNS9_4plusIvEEfEEDaPvRmT3_T4_T5_mT6_P12ihipStream_tbENKUlT_T0_E_clISt17integral_constantIbLb1EESX_EEDaSS_ST_EUlSS_E0_NS1_11comp_targetILNS1_3genE8ELNS1_11target_archE1030ELNS1_3gpuE2ELNS1_3repE0EEENS1_30default_config_static_selectorELNS0_4arch9wavefront6targetE1EEEvT1_ ; -- Begin function _ZN7rocprim17ROCPRIM_400000_NS6detail17trampoline_kernelINS0_14default_configENS1_20scan_config_selectorIfEEZZNS1_9scan_implILNS1_25lookback_scan_determinismE0ELb1ELb1ES3_N6thrust23THRUST_200600_302600_NS6detail15normal_iteratorINS9_10device_ptrIfEEEENS9_16discard_iteratorINS9_11use_defaultEEEfNS9_4plusIvEEfEEDaPvRmT3_T4_T5_mT6_P12ihipStream_tbENKUlT_T0_E_clISt17integral_constantIbLb1EESX_EEDaSS_ST_EUlSS_E0_NS1_11comp_targetILNS1_3genE8ELNS1_11target_archE1030ELNS1_3gpuE2ELNS1_3repE0EEENS1_30default_config_static_selectorELNS0_4arch9wavefront6targetE1EEEvT1_
	.globl	_ZN7rocprim17ROCPRIM_400000_NS6detail17trampoline_kernelINS0_14default_configENS1_20scan_config_selectorIfEEZZNS1_9scan_implILNS1_25lookback_scan_determinismE0ELb1ELb1ES3_N6thrust23THRUST_200600_302600_NS6detail15normal_iteratorINS9_10device_ptrIfEEEENS9_16discard_iteratorINS9_11use_defaultEEEfNS9_4plusIvEEfEEDaPvRmT3_T4_T5_mT6_P12ihipStream_tbENKUlT_T0_E_clISt17integral_constantIbLb1EESX_EEDaSS_ST_EUlSS_E0_NS1_11comp_targetILNS1_3genE8ELNS1_11target_archE1030ELNS1_3gpuE2ELNS1_3repE0EEENS1_30default_config_static_selectorELNS0_4arch9wavefront6targetE1EEEvT1_
	.p2align	8
	.type	_ZN7rocprim17ROCPRIM_400000_NS6detail17trampoline_kernelINS0_14default_configENS1_20scan_config_selectorIfEEZZNS1_9scan_implILNS1_25lookback_scan_determinismE0ELb1ELb1ES3_N6thrust23THRUST_200600_302600_NS6detail15normal_iteratorINS9_10device_ptrIfEEEENS9_16discard_iteratorINS9_11use_defaultEEEfNS9_4plusIvEEfEEDaPvRmT3_T4_T5_mT6_P12ihipStream_tbENKUlT_T0_E_clISt17integral_constantIbLb1EESX_EEDaSS_ST_EUlSS_E0_NS1_11comp_targetILNS1_3genE8ELNS1_11target_archE1030ELNS1_3gpuE2ELNS1_3repE0EEENS1_30default_config_static_selectorELNS0_4arch9wavefront6targetE1EEEvT1_,@function
_ZN7rocprim17ROCPRIM_400000_NS6detail17trampoline_kernelINS0_14default_configENS1_20scan_config_selectorIfEEZZNS1_9scan_implILNS1_25lookback_scan_determinismE0ELb1ELb1ES3_N6thrust23THRUST_200600_302600_NS6detail15normal_iteratorINS9_10device_ptrIfEEEENS9_16discard_iteratorINS9_11use_defaultEEEfNS9_4plusIvEEfEEDaPvRmT3_T4_T5_mT6_P12ihipStream_tbENKUlT_T0_E_clISt17integral_constantIbLb1EESX_EEDaSS_ST_EUlSS_E0_NS1_11comp_targetILNS1_3genE8ELNS1_11target_archE1030ELNS1_3gpuE2ELNS1_3repE0EEENS1_30default_config_static_selectorELNS0_4arch9wavefront6targetE1EEEvT1_: ; @_ZN7rocprim17ROCPRIM_400000_NS6detail17trampoline_kernelINS0_14default_configENS1_20scan_config_selectorIfEEZZNS1_9scan_implILNS1_25lookback_scan_determinismE0ELb1ELb1ES3_N6thrust23THRUST_200600_302600_NS6detail15normal_iteratorINS9_10device_ptrIfEEEENS9_16discard_iteratorINS9_11use_defaultEEEfNS9_4plusIvEEfEEDaPvRmT3_T4_T5_mT6_P12ihipStream_tbENKUlT_T0_E_clISt17integral_constantIbLb1EESX_EEDaSS_ST_EUlSS_E0_NS1_11comp_targetILNS1_3genE8ELNS1_11target_archE1030ELNS1_3gpuE2ELNS1_3repE0EEENS1_30default_config_static_selectorELNS0_4arch9wavefront6targetE1EEEvT1_
; %bb.0:
	.section	.rodata,"a",@progbits
	.p2align	6, 0x0
	.amdhsa_kernel _ZN7rocprim17ROCPRIM_400000_NS6detail17trampoline_kernelINS0_14default_configENS1_20scan_config_selectorIfEEZZNS1_9scan_implILNS1_25lookback_scan_determinismE0ELb1ELb1ES3_N6thrust23THRUST_200600_302600_NS6detail15normal_iteratorINS9_10device_ptrIfEEEENS9_16discard_iteratorINS9_11use_defaultEEEfNS9_4plusIvEEfEEDaPvRmT3_T4_T5_mT6_P12ihipStream_tbENKUlT_T0_E_clISt17integral_constantIbLb1EESX_EEDaSS_ST_EUlSS_E0_NS1_11comp_targetILNS1_3genE8ELNS1_11target_archE1030ELNS1_3gpuE2ELNS1_3repE0EEENS1_30default_config_static_selectorELNS0_4arch9wavefront6targetE1EEEvT1_
		.amdhsa_group_segment_fixed_size 0
		.amdhsa_private_segment_fixed_size 0
		.amdhsa_kernarg_size 40
		.amdhsa_user_sgpr_count 6
		.amdhsa_user_sgpr_private_segment_buffer 1
		.amdhsa_user_sgpr_dispatch_ptr 0
		.amdhsa_user_sgpr_queue_ptr 0
		.amdhsa_user_sgpr_kernarg_segment_ptr 1
		.amdhsa_user_sgpr_dispatch_id 0
		.amdhsa_user_sgpr_flat_scratch_init 0
		.amdhsa_user_sgpr_kernarg_preload_length 0
		.amdhsa_user_sgpr_kernarg_preload_offset 0
		.amdhsa_user_sgpr_private_segment_size 0
		.amdhsa_uses_dynamic_stack 0
		.amdhsa_system_sgpr_private_segment_wavefront_offset 0
		.amdhsa_system_sgpr_workgroup_id_x 1
		.amdhsa_system_sgpr_workgroup_id_y 0
		.amdhsa_system_sgpr_workgroup_id_z 0
		.amdhsa_system_sgpr_workgroup_info 0
		.amdhsa_system_vgpr_workitem_id 0
		.amdhsa_next_free_vgpr 1
		.amdhsa_next_free_sgpr 0
		.amdhsa_accum_offset 4
		.amdhsa_reserve_vcc 0
		.amdhsa_reserve_flat_scratch 0
		.amdhsa_float_round_mode_32 0
		.amdhsa_float_round_mode_16_64 0
		.amdhsa_float_denorm_mode_32 3
		.amdhsa_float_denorm_mode_16_64 3
		.amdhsa_dx10_clamp 1
		.amdhsa_ieee_mode 1
		.amdhsa_fp16_overflow 0
		.amdhsa_tg_split 0
		.amdhsa_exception_fp_ieee_invalid_op 0
		.amdhsa_exception_fp_denorm_src 0
		.amdhsa_exception_fp_ieee_div_zero 0
		.amdhsa_exception_fp_ieee_overflow 0
		.amdhsa_exception_fp_ieee_underflow 0
		.amdhsa_exception_fp_ieee_inexact 0
		.amdhsa_exception_int_div_zero 0
	.end_amdhsa_kernel
	.section	.text._ZN7rocprim17ROCPRIM_400000_NS6detail17trampoline_kernelINS0_14default_configENS1_20scan_config_selectorIfEEZZNS1_9scan_implILNS1_25lookback_scan_determinismE0ELb1ELb1ES3_N6thrust23THRUST_200600_302600_NS6detail15normal_iteratorINS9_10device_ptrIfEEEENS9_16discard_iteratorINS9_11use_defaultEEEfNS9_4plusIvEEfEEDaPvRmT3_T4_T5_mT6_P12ihipStream_tbENKUlT_T0_E_clISt17integral_constantIbLb1EESX_EEDaSS_ST_EUlSS_E0_NS1_11comp_targetILNS1_3genE8ELNS1_11target_archE1030ELNS1_3gpuE2ELNS1_3repE0EEENS1_30default_config_static_selectorELNS0_4arch9wavefront6targetE1EEEvT1_,"axG",@progbits,_ZN7rocprim17ROCPRIM_400000_NS6detail17trampoline_kernelINS0_14default_configENS1_20scan_config_selectorIfEEZZNS1_9scan_implILNS1_25lookback_scan_determinismE0ELb1ELb1ES3_N6thrust23THRUST_200600_302600_NS6detail15normal_iteratorINS9_10device_ptrIfEEEENS9_16discard_iteratorINS9_11use_defaultEEEfNS9_4plusIvEEfEEDaPvRmT3_T4_T5_mT6_P12ihipStream_tbENKUlT_T0_E_clISt17integral_constantIbLb1EESX_EEDaSS_ST_EUlSS_E0_NS1_11comp_targetILNS1_3genE8ELNS1_11target_archE1030ELNS1_3gpuE2ELNS1_3repE0EEENS1_30default_config_static_selectorELNS0_4arch9wavefront6targetE1EEEvT1_,comdat
.Lfunc_end5113:
	.size	_ZN7rocprim17ROCPRIM_400000_NS6detail17trampoline_kernelINS0_14default_configENS1_20scan_config_selectorIfEEZZNS1_9scan_implILNS1_25lookback_scan_determinismE0ELb1ELb1ES3_N6thrust23THRUST_200600_302600_NS6detail15normal_iteratorINS9_10device_ptrIfEEEENS9_16discard_iteratorINS9_11use_defaultEEEfNS9_4plusIvEEfEEDaPvRmT3_T4_T5_mT6_P12ihipStream_tbENKUlT_T0_E_clISt17integral_constantIbLb1EESX_EEDaSS_ST_EUlSS_E0_NS1_11comp_targetILNS1_3genE8ELNS1_11target_archE1030ELNS1_3gpuE2ELNS1_3repE0EEENS1_30default_config_static_selectorELNS0_4arch9wavefront6targetE1EEEvT1_, .Lfunc_end5113-_ZN7rocprim17ROCPRIM_400000_NS6detail17trampoline_kernelINS0_14default_configENS1_20scan_config_selectorIfEEZZNS1_9scan_implILNS1_25lookback_scan_determinismE0ELb1ELb1ES3_N6thrust23THRUST_200600_302600_NS6detail15normal_iteratorINS9_10device_ptrIfEEEENS9_16discard_iteratorINS9_11use_defaultEEEfNS9_4plusIvEEfEEDaPvRmT3_T4_T5_mT6_P12ihipStream_tbENKUlT_T0_E_clISt17integral_constantIbLb1EESX_EEDaSS_ST_EUlSS_E0_NS1_11comp_targetILNS1_3genE8ELNS1_11target_archE1030ELNS1_3gpuE2ELNS1_3repE0EEENS1_30default_config_static_selectorELNS0_4arch9wavefront6targetE1EEEvT1_
                                        ; -- End function
	.section	.AMDGPU.csdata,"",@progbits
; Kernel info:
; codeLenInByte = 0
; NumSgprs: 4
; NumVgprs: 0
; NumAgprs: 0
; TotalNumVgprs: 0
; ScratchSize: 0
; MemoryBound: 0
; FloatMode: 240
; IeeeMode: 1
; LDSByteSize: 0 bytes/workgroup (compile time only)
; SGPRBlocks: 0
; VGPRBlocks: 0
; NumSGPRsForWavesPerEU: 4
; NumVGPRsForWavesPerEU: 1
; AccumOffset: 4
; Occupancy: 8
; WaveLimiterHint : 0
; COMPUTE_PGM_RSRC2:SCRATCH_EN: 0
; COMPUTE_PGM_RSRC2:USER_SGPR: 6
; COMPUTE_PGM_RSRC2:TRAP_HANDLER: 0
; COMPUTE_PGM_RSRC2:TGID_X_EN: 1
; COMPUTE_PGM_RSRC2:TGID_Y_EN: 0
; COMPUTE_PGM_RSRC2:TGID_Z_EN: 0
; COMPUTE_PGM_RSRC2:TIDIG_COMP_CNT: 0
; COMPUTE_PGM_RSRC3_GFX90A:ACCUM_OFFSET: 0
; COMPUTE_PGM_RSRC3_GFX90A:TG_SPLIT: 0
	.section	.text._ZN7rocprim17ROCPRIM_400000_NS6detail17trampoline_kernelINS0_14default_configENS1_20scan_config_selectorIfEEZZNS1_9scan_implILNS1_25lookback_scan_determinismE0ELb1ELb1ES3_N6thrust23THRUST_200600_302600_NS6detail15normal_iteratorINS9_10device_ptrIfEEEENS9_16discard_iteratorINS9_11use_defaultEEEfNS9_4plusIvEEfEEDaPvRmT3_T4_T5_mT6_P12ihipStream_tbENKUlT_T0_E_clISt17integral_constantIbLb1EESW_IbLb0EEEEDaSS_ST_EUlSS_E_NS1_11comp_targetILNS1_3genE0ELNS1_11target_archE4294967295ELNS1_3gpuE0ELNS1_3repE0EEENS1_30default_config_static_selectorELNS0_4arch9wavefront6targetE1EEEvT1_,"axG",@progbits,_ZN7rocprim17ROCPRIM_400000_NS6detail17trampoline_kernelINS0_14default_configENS1_20scan_config_selectorIfEEZZNS1_9scan_implILNS1_25lookback_scan_determinismE0ELb1ELb1ES3_N6thrust23THRUST_200600_302600_NS6detail15normal_iteratorINS9_10device_ptrIfEEEENS9_16discard_iteratorINS9_11use_defaultEEEfNS9_4plusIvEEfEEDaPvRmT3_T4_T5_mT6_P12ihipStream_tbENKUlT_T0_E_clISt17integral_constantIbLb1EESW_IbLb0EEEEDaSS_ST_EUlSS_E_NS1_11comp_targetILNS1_3genE0ELNS1_11target_archE4294967295ELNS1_3gpuE0ELNS1_3repE0EEENS1_30default_config_static_selectorELNS0_4arch9wavefront6targetE1EEEvT1_,comdat
	.protected	_ZN7rocprim17ROCPRIM_400000_NS6detail17trampoline_kernelINS0_14default_configENS1_20scan_config_selectorIfEEZZNS1_9scan_implILNS1_25lookback_scan_determinismE0ELb1ELb1ES3_N6thrust23THRUST_200600_302600_NS6detail15normal_iteratorINS9_10device_ptrIfEEEENS9_16discard_iteratorINS9_11use_defaultEEEfNS9_4plusIvEEfEEDaPvRmT3_T4_T5_mT6_P12ihipStream_tbENKUlT_T0_E_clISt17integral_constantIbLb1EESW_IbLb0EEEEDaSS_ST_EUlSS_E_NS1_11comp_targetILNS1_3genE0ELNS1_11target_archE4294967295ELNS1_3gpuE0ELNS1_3repE0EEENS1_30default_config_static_selectorELNS0_4arch9wavefront6targetE1EEEvT1_ ; -- Begin function _ZN7rocprim17ROCPRIM_400000_NS6detail17trampoline_kernelINS0_14default_configENS1_20scan_config_selectorIfEEZZNS1_9scan_implILNS1_25lookback_scan_determinismE0ELb1ELb1ES3_N6thrust23THRUST_200600_302600_NS6detail15normal_iteratorINS9_10device_ptrIfEEEENS9_16discard_iteratorINS9_11use_defaultEEEfNS9_4plusIvEEfEEDaPvRmT3_T4_T5_mT6_P12ihipStream_tbENKUlT_T0_E_clISt17integral_constantIbLb1EESW_IbLb0EEEEDaSS_ST_EUlSS_E_NS1_11comp_targetILNS1_3genE0ELNS1_11target_archE4294967295ELNS1_3gpuE0ELNS1_3repE0EEENS1_30default_config_static_selectorELNS0_4arch9wavefront6targetE1EEEvT1_
	.globl	_ZN7rocprim17ROCPRIM_400000_NS6detail17trampoline_kernelINS0_14default_configENS1_20scan_config_selectorIfEEZZNS1_9scan_implILNS1_25lookback_scan_determinismE0ELb1ELb1ES3_N6thrust23THRUST_200600_302600_NS6detail15normal_iteratorINS9_10device_ptrIfEEEENS9_16discard_iteratorINS9_11use_defaultEEEfNS9_4plusIvEEfEEDaPvRmT3_T4_T5_mT6_P12ihipStream_tbENKUlT_T0_E_clISt17integral_constantIbLb1EESW_IbLb0EEEEDaSS_ST_EUlSS_E_NS1_11comp_targetILNS1_3genE0ELNS1_11target_archE4294967295ELNS1_3gpuE0ELNS1_3repE0EEENS1_30default_config_static_selectorELNS0_4arch9wavefront6targetE1EEEvT1_
	.p2align	8
	.type	_ZN7rocprim17ROCPRIM_400000_NS6detail17trampoline_kernelINS0_14default_configENS1_20scan_config_selectorIfEEZZNS1_9scan_implILNS1_25lookback_scan_determinismE0ELb1ELb1ES3_N6thrust23THRUST_200600_302600_NS6detail15normal_iteratorINS9_10device_ptrIfEEEENS9_16discard_iteratorINS9_11use_defaultEEEfNS9_4plusIvEEfEEDaPvRmT3_T4_T5_mT6_P12ihipStream_tbENKUlT_T0_E_clISt17integral_constantIbLb1EESW_IbLb0EEEEDaSS_ST_EUlSS_E_NS1_11comp_targetILNS1_3genE0ELNS1_11target_archE4294967295ELNS1_3gpuE0ELNS1_3repE0EEENS1_30default_config_static_selectorELNS0_4arch9wavefront6targetE1EEEvT1_,@function
_ZN7rocprim17ROCPRIM_400000_NS6detail17trampoline_kernelINS0_14default_configENS1_20scan_config_selectorIfEEZZNS1_9scan_implILNS1_25lookback_scan_determinismE0ELb1ELb1ES3_N6thrust23THRUST_200600_302600_NS6detail15normal_iteratorINS9_10device_ptrIfEEEENS9_16discard_iteratorINS9_11use_defaultEEEfNS9_4plusIvEEfEEDaPvRmT3_T4_T5_mT6_P12ihipStream_tbENKUlT_T0_E_clISt17integral_constantIbLb1EESW_IbLb0EEEEDaSS_ST_EUlSS_E_NS1_11comp_targetILNS1_3genE0ELNS1_11target_archE4294967295ELNS1_3gpuE0ELNS1_3repE0EEENS1_30default_config_static_selectorELNS0_4arch9wavefront6targetE1EEEvT1_: ; @_ZN7rocprim17ROCPRIM_400000_NS6detail17trampoline_kernelINS0_14default_configENS1_20scan_config_selectorIfEEZZNS1_9scan_implILNS1_25lookback_scan_determinismE0ELb1ELb1ES3_N6thrust23THRUST_200600_302600_NS6detail15normal_iteratorINS9_10device_ptrIfEEEENS9_16discard_iteratorINS9_11use_defaultEEEfNS9_4plusIvEEfEEDaPvRmT3_T4_T5_mT6_P12ihipStream_tbENKUlT_T0_E_clISt17integral_constantIbLb1EESW_IbLb0EEEEDaSS_ST_EUlSS_E_NS1_11comp_targetILNS1_3genE0ELNS1_11target_archE4294967295ELNS1_3gpuE0ELNS1_3repE0EEENS1_30default_config_static_selectorELNS0_4arch9wavefront6targetE1EEEvT1_
; %bb.0:
	.section	.rodata,"a",@progbits
	.p2align	6, 0x0
	.amdhsa_kernel _ZN7rocprim17ROCPRIM_400000_NS6detail17trampoline_kernelINS0_14default_configENS1_20scan_config_selectorIfEEZZNS1_9scan_implILNS1_25lookback_scan_determinismE0ELb1ELb1ES3_N6thrust23THRUST_200600_302600_NS6detail15normal_iteratorINS9_10device_ptrIfEEEENS9_16discard_iteratorINS9_11use_defaultEEEfNS9_4plusIvEEfEEDaPvRmT3_T4_T5_mT6_P12ihipStream_tbENKUlT_T0_E_clISt17integral_constantIbLb1EESW_IbLb0EEEEDaSS_ST_EUlSS_E_NS1_11comp_targetILNS1_3genE0ELNS1_11target_archE4294967295ELNS1_3gpuE0ELNS1_3repE0EEENS1_30default_config_static_selectorELNS0_4arch9wavefront6targetE1EEEvT1_
		.amdhsa_group_segment_fixed_size 0
		.amdhsa_private_segment_fixed_size 0
		.amdhsa_kernarg_size 104
		.amdhsa_user_sgpr_count 6
		.amdhsa_user_sgpr_private_segment_buffer 1
		.amdhsa_user_sgpr_dispatch_ptr 0
		.amdhsa_user_sgpr_queue_ptr 0
		.amdhsa_user_sgpr_kernarg_segment_ptr 1
		.amdhsa_user_sgpr_dispatch_id 0
		.amdhsa_user_sgpr_flat_scratch_init 0
		.amdhsa_user_sgpr_kernarg_preload_length 0
		.amdhsa_user_sgpr_kernarg_preload_offset 0
		.amdhsa_user_sgpr_private_segment_size 0
		.amdhsa_uses_dynamic_stack 0
		.amdhsa_system_sgpr_private_segment_wavefront_offset 0
		.amdhsa_system_sgpr_workgroup_id_x 1
		.amdhsa_system_sgpr_workgroup_id_y 0
		.amdhsa_system_sgpr_workgroup_id_z 0
		.amdhsa_system_sgpr_workgroup_info 0
		.amdhsa_system_vgpr_workitem_id 0
		.amdhsa_next_free_vgpr 1
		.amdhsa_next_free_sgpr 0
		.amdhsa_accum_offset 4
		.amdhsa_reserve_vcc 0
		.amdhsa_reserve_flat_scratch 0
		.amdhsa_float_round_mode_32 0
		.amdhsa_float_round_mode_16_64 0
		.amdhsa_float_denorm_mode_32 3
		.amdhsa_float_denorm_mode_16_64 3
		.amdhsa_dx10_clamp 1
		.amdhsa_ieee_mode 1
		.amdhsa_fp16_overflow 0
		.amdhsa_tg_split 0
		.amdhsa_exception_fp_ieee_invalid_op 0
		.amdhsa_exception_fp_denorm_src 0
		.amdhsa_exception_fp_ieee_div_zero 0
		.amdhsa_exception_fp_ieee_overflow 0
		.amdhsa_exception_fp_ieee_underflow 0
		.amdhsa_exception_fp_ieee_inexact 0
		.amdhsa_exception_int_div_zero 0
	.end_amdhsa_kernel
	.section	.text._ZN7rocprim17ROCPRIM_400000_NS6detail17trampoline_kernelINS0_14default_configENS1_20scan_config_selectorIfEEZZNS1_9scan_implILNS1_25lookback_scan_determinismE0ELb1ELb1ES3_N6thrust23THRUST_200600_302600_NS6detail15normal_iteratorINS9_10device_ptrIfEEEENS9_16discard_iteratorINS9_11use_defaultEEEfNS9_4plusIvEEfEEDaPvRmT3_T4_T5_mT6_P12ihipStream_tbENKUlT_T0_E_clISt17integral_constantIbLb1EESW_IbLb0EEEEDaSS_ST_EUlSS_E_NS1_11comp_targetILNS1_3genE0ELNS1_11target_archE4294967295ELNS1_3gpuE0ELNS1_3repE0EEENS1_30default_config_static_selectorELNS0_4arch9wavefront6targetE1EEEvT1_,"axG",@progbits,_ZN7rocprim17ROCPRIM_400000_NS6detail17trampoline_kernelINS0_14default_configENS1_20scan_config_selectorIfEEZZNS1_9scan_implILNS1_25lookback_scan_determinismE0ELb1ELb1ES3_N6thrust23THRUST_200600_302600_NS6detail15normal_iteratorINS9_10device_ptrIfEEEENS9_16discard_iteratorINS9_11use_defaultEEEfNS9_4plusIvEEfEEDaPvRmT3_T4_T5_mT6_P12ihipStream_tbENKUlT_T0_E_clISt17integral_constantIbLb1EESW_IbLb0EEEEDaSS_ST_EUlSS_E_NS1_11comp_targetILNS1_3genE0ELNS1_11target_archE4294967295ELNS1_3gpuE0ELNS1_3repE0EEENS1_30default_config_static_selectorELNS0_4arch9wavefront6targetE1EEEvT1_,comdat
.Lfunc_end5114:
	.size	_ZN7rocprim17ROCPRIM_400000_NS6detail17trampoline_kernelINS0_14default_configENS1_20scan_config_selectorIfEEZZNS1_9scan_implILNS1_25lookback_scan_determinismE0ELb1ELb1ES3_N6thrust23THRUST_200600_302600_NS6detail15normal_iteratorINS9_10device_ptrIfEEEENS9_16discard_iteratorINS9_11use_defaultEEEfNS9_4plusIvEEfEEDaPvRmT3_T4_T5_mT6_P12ihipStream_tbENKUlT_T0_E_clISt17integral_constantIbLb1EESW_IbLb0EEEEDaSS_ST_EUlSS_E_NS1_11comp_targetILNS1_3genE0ELNS1_11target_archE4294967295ELNS1_3gpuE0ELNS1_3repE0EEENS1_30default_config_static_selectorELNS0_4arch9wavefront6targetE1EEEvT1_, .Lfunc_end5114-_ZN7rocprim17ROCPRIM_400000_NS6detail17trampoline_kernelINS0_14default_configENS1_20scan_config_selectorIfEEZZNS1_9scan_implILNS1_25lookback_scan_determinismE0ELb1ELb1ES3_N6thrust23THRUST_200600_302600_NS6detail15normal_iteratorINS9_10device_ptrIfEEEENS9_16discard_iteratorINS9_11use_defaultEEEfNS9_4plusIvEEfEEDaPvRmT3_T4_T5_mT6_P12ihipStream_tbENKUlT_T0_E_clISt17integral_constantIbLb1EESW_IbLb0EEEEDaSS_ST_EUlSS_E_NS1_11comp_targetILNS1_3genE0ELNS1_11target_archE4294967295ELNS1_3gpuE0ELNS1_3repE0EEENS1_30default_config_static_selectorELNS0_4arch9wavefront6targetE1EEEvT1_
                                        ; -- End function
	.section	.AMDGPU.csdata,"",@progbits
; Kernel info:
; codeLenInByte = 0
; NumSgprs: 4
; NumVgprs: 0
; NumAgprs: 0
; TotalNumVgprs: 0
; ScratchSize: 0
; MemoryBound: 0
; FloatMode: 240
; IeeeMode: 1
; LDSByteSize: 0 bytes/workgroup (compile time only)
; SGPRBlocks: 0
; VGPRBlocks: 0
; NumSGPRsForWavesPerEU: 4
; NumVGPRsForWavesPerEU: 1
; AccumOffset: 4
; Occupancy: 8
; WaveLimiterHint : 0
; COMPUTE_PGM_RSRC2:SCRATCH_EN: 0
; COMPUTE_PGM_RSRC2:USER_SGPR: 6
; COMPUTE_PGM_RSRC2:TRAP_HANDLER: 0
; COMPUTE_PGM_RSRC2:TGID_X_EN: 1
; COMPUTE_PGM_RSRC2:TGID_Y_EN: 0
; COMPUTE_PGM_RSRC2:TGID_Z_EN: 0
; COMPUTE_PGM_RSRC2:TIDIG_COMP_CNT: 0
; COMPUTE_PGM_RSRC3_GFX90A:ACCUM_OFFSET: 0
; COMPUTE_PGM_RSRC3_GFX90A:TG_SPLIT: 0
	.section	.text._ZN7rocprim17ROCPRIM_400000_NS6detail17trampoline_kernelINS0_14default_configENS1_20scan_config_selectorIfEEZZNS1_9scan_implILNS1_25lookback_scan_determinismE0ELb1ELb1ES3_N6thrust23THRUST_200600_302600_NS6detail15normal_iteratorINS9_10device_ptrIfEEEENS9_16discard_iteratorINS9_11use_defaultEEEfNS9_4plusIvEEfEEDaPvRmT3_T4_T5_mT6_P12ihipStream_tbENKUlT_T0_E_clISt17integral_constantIbLb1EESW_IbLb0EEEEDaSS_ST_EUlSS_E_NS1_11comp_targetILNS1_3genE5ELNS1_11target_archE942ELNS1_3gpuE9ELNS1_3repE0EEENS1_30default_config_static_selectorELNS0_4arch9wavefront6targetE1EEEvT1_,"axG",@progbits,_ZN7rocprim17ROCPRIM_400000_NS6detail17trampoline_kernelINS0_14default_configENS1_20scan_config_selectorIfEEZZNS1_9scan_implILNS1_25lookback_scan_determinismE0ELb1ELb1ES3_N6thrust23THRUST_200600_302600_NS6detail15normal_iteratorINS9_10device_ptrIfEEEENS9_16discard_iteratorINS9_11use_defaultEEEfNS9_4plusIvEEfEEDaPvRmT3_T4_T5_mT6_P12ihipStream_tbENKUlT_T0_E_clISt17integral_constantIbLb1EESW_IbLb0EEEEDaSS_ST_EUlSS_E_NS1_11comp_targetILNS1_3genE5ELNS1_11target_archE942ELNS1_3gpuE9ELNS1_3repE0EEENS1_30default_config_static_selectorELNS0_4arch9wavefront6targetE1EEEvT1_,comdat
	.protected	_ZN7rocprim17ROCPRIM_400000_NS6detail17trampoline_kernelINS0_14default_configENS1_20scan_config_selectorIfEEZZNS1_9scan_implILNS1_25lookback_scan_determinismE0ELb1ELb1ES3_N6thrust23THRUST_200600_302600_NS6detail15normal_iteratorINS9_10device_ptrIfEEEENS9_16discard_iteratorINS9_11use_defaultEEEfNS9_4plusIvEEfEEDaPvRmT3_T4_T5_mT6_P12ihipStream_tbENKUlT_T0_E_clISt17integral_constantIbLb1EESW_IbLb0EEEEDaSS_ST_EUlSS_E_NS1_11comp_targetILNS1_3genE5ELNS1_11target_archE942ELNS1_3gpuE9ELNS1_3repE0EEENS1_30default_config_static_selectorELNS0_4arch9wavefront6targetE1EEEvT1_ ; -- Begin function _ZN7rocprim17ROCPRIM_400000_NS6detail17trampoline_kernelINS0_14default_configENS1_20scan_config_selectorIfEEZZNS1_9scan_implILNS1_25lookback_scan_determinismE0ELb1ELb1ES3_N6thrust23THRUST_200600_302600_NS6detail15normal_iteratorINS9_10device_ptrIfEEEENS9_16discard_iteratorINS9_11use_defaultEEEfNS9_4plusIvEEfEEDaPvRmT3_T4_T5_mT6_P12ihipStream_tbENKUlT_T0_E_clISt17integral_constantIbLb1EESW_IbLb0EEEEDaSS_ST_EUlSS_E_NS1_11comp_targetILNS1_3genE5ELNS1_11target_archE942ELNS1_3gpuE9ELNS1_3repE0EEENS1_30default_config_static_selectorELNS0_4arch9wavefront6targetE1EEEvT1_
	.globl	_ZN7rocprim17ROCPRIM_400000_NS6detail17trampoline_kernelINS0_14default_configENS1_20scan_config_selectorIfEEZZNS1_9scan_implILNS1_25lookback_scan_determinismE0ELb1ELb1ES3_N6thrust23THRUST_200600_302600_NS6detail15normal_iteratorINS9_10device_ptrIfEEEENS9_16discard_iteratorINS9_11use_defaultEEEfNS9_4plusIvEEfEEDaPvRmT3_T4_T5_mT6_P12ihipStream_tbENKUlT_T0_E_clISt17integral_constantIbLb1EESW_IbLb0EEEEDaSS_ST_EUlSS_E_NS1_11comp_targetILNS1_3genE5ELNS1_11target_archE942ELNS1_3gpuE9ELNS1_3repE0EEENS1_30default_config_static_selectorELNS0_4arch9wavefront6targetE1EEEvT1_
	.p2align	8
	.type	_ZN7rocprim17ROCPRIM_400000_NS6detail17trampoline_kernelINS0_14default_configENS1_20scan_config_selectorIfEEZZNS1_9scan_implILNS1_25lookback_scan_determinismE0ELb1ELb1ES3_N6thrust23THRUST_200600_302600_NS6detail15normal_iteratorINS9_10device_ptrIfEEEENS9_16discard_iteratorINS9_11use_defaultEEEfNS9_4plusIvEEfEEDaPvRmT3_T4_T5_mT6_P12ihipStream_tbENKUlT_T0_E_clISt17integral_constantIbLb1EESW_IbLb0EEEEDaSS_ST_EUlSS_E_NS1_11comp_targetILNS1_3genE5ELNS1_11target_archE942ELNS1_3gpuE9ELNS1_3repE0EEENS1_30default_config_static_selectorELNS0_4arch9wavefront6targetE1EEEvT1_,@function
_ZN7rocprim17ROCPRIM_400000_NS6detail17trampoline_kernelINS0_14default_configENS1_20scan_config_selectorIfEEZZNS1_9scan_implILNS1_25lookback_scan_determinismE0ELb1ELb1ES3_N6thrust23THRUST_200600_302600_NS6detail15normal_iteratorINS9_10device_ptrIfEEEENS9_16discard_iteratorINS9_11use_defaultEEEfNS9_4plusIvEEfEEDaPvRmT3_T4_T5_mT6_P12ihipStream_tbENKUlT_T0_E_clISt17integral_constantIbLb1EESW_IbLb0EEEEDaSS_ST_EUlSS_E_NS1_11comp_targetILNS1_3genE5ELNS1_11target_archE942ELNS1_3gpuE9ELNS1_3repE0EEENS1_30default_config_static_selectorELNS0_4arch9wavefront6targetE1EEEvT1_: ; @_ZN7rocprim17ROCPRIM_400000_NS6detail17trampoline_kernelINS0_14default_configENS1_20scan_config_selectorIfEEZZNS1_9scan_implILNS1_25lookback_scan_determinismE0ELb1ELb1ES3_N6thrust23THRUST_200600_302600_NS6detail15normal_iteratorINS9_10device_ptrIfEEEENS9_16discard_iteratorINS9_11use_defaultEEEfNS9_4plusIvEEfEEDaPvRmT3_T4_T5_mT6_P12ihipStream_tbENKUlT_T0_E_clISt17integral_constantIbLb1EESW_IbLb0EEEEDaSS_ST_EUlSS_E_NS1_11comp_targetILNS1_3genE5ELNS1_11target_archE942ELNS1_3gpuE9ELNS1_3repE0EEENS1_30default_config_static_selectorELNS0_4arch9wavefront6targetE1EEEvT1_
; %bb.0:
	.section	.rodata,"a",@progbits
	.p2align	6, 0x0
	.amdhsa_kernel _ZN7rocprim17ROCPRIM_400000_NS6detail17trampoline_kernelINS0_14default_configENS1_20scan_config_selectorIfEEZZNS1_9scan_implILNS1_25lookback_scan_determinismE0ELb1ELb1ES3_N6thrust23THRUST_200600_302600_NS6detail15normal_iteratorINS9_10device_ptrIfEEEENS9_16discard_iteratorINS9_11use_defaultEEEfNS9_4plusIvEEfEEDaPvRmT3_T4_T5_mT6_P12ihipStream_tbENKUlT_T0_E_clISt17integral_constantIbLb1EESW_IbLb0EEEEDaSS_ST_EUlSS_E_NS1_11comp_targetILNS1_3genE5ELNS1_11target_archE942ELNS1_3gpuE9ELNS1_3repE0EEENS1_30default_config_static_selectorELNS0_4arch9wavefront6targetE1EEEvT1_
		.amdhsa_group_segment_fixed_size 0
		.amdhsa_private_segment_fixed_size 0
		.amdhsa_kernarg_size 104
		.amdhsa_user_sgpr_count 6
		.amdhsa_user_sgpr_private_segment_buffer 1
		.amdhsa_user_sgpr_dispatch_ptr 0
		.amdhsa_user_sgpr_queue_ptr 0
		.amdhsa_user_sgpr_kernarg_segment_ptr 1
		.amdhsa_user_sgpr_dispatch_id 0
		.amdhsa_user_sgpr_flat_scratch_init 0
		.amdhsa_user_sgpr_kernarg_preload_length 0
		.amdhsa_user_sgpr_kernarg_preload_offset 0
		.amdhsa_user_sgpr_private_segment_size 0
		.amdhsa_uses_dynamic_stack 0
		.amdhsa_system_sgpr_private_segment_wavefront_offset 0
		.amdhsa_system_sgpr_workgroup_id_x 1
		.amdhsa_system_sgpr_workgroup_id_y 0
		.amdhsa_system_sgpr_workgroup_id_z 0
		.amdhsa_system_sgpr_workgroup_info 0
		.amdhsa_system_vgpr_workitem_id 0
		.amdhsa_next_free_vgpr 1
		.amdhsa_next_free_sgpr 0
		.amdhsa_accum_offset 4
		.amdhsa_reserve_vcc 0
		.amdhsa_reserve_flat_scratch 0
		.amdhsa_float_round_mode_32 0
		.amdhsa_float_round_mode_16_64 0
		.amdhsa_float_denorm_mode_32 3
		.amdhsa_float_denorm_mode_16_64 3
		.amdhsa_dx10_clamp 1
		.amdhsa_ieee_mode 1
		.amdhsa_fp16_overflow 0
		.amdhsa_tg_split 0
		.amdhsa_exception_fp_ieee_invalid_op 0
		.amdhsa_exception_fp_denorm_src 0
		.amdhsa_exception_fp_ieee_div_zero 0
		.amdhsa_exception_fp_ieee_overflow 0
		.amdhsa_exception_fp_ieee_underflow 0
		.amdhsa_exception_fp_ieee_inexact 0
		.amdhsa_exception_int_div_zero 0
	.end_amdhsa_kernel
	.section	.text._ZN7rocprim17ROCPRIM_400000_NS6detail17trampoline_kernelINS0_14default_configENS1_20scan_config_selectorIfEEZZNS1_9scan_implILNS1_25lookback_scan_determinismE0ELb1ELb1ES3_N6thrust23THRUST_200600_302600_NS6detail15normal_iteratorINS9_10device_ptrIfEEEENS9_16discard_iteratorINS9_11use_defaultEEEfNS9_4plusIvEEfEEDaPvRmT3_T4_T5_mT6_P12ihipStream_tbENKUlT_T0_E_clISt17integral_constantIbLb1EESW_IbLb0EEEEDaSS_ST_EUlSS_E_NS1_11comp_targetILNS1_3genE5ELNS1_11target_archE942ELNS1_3gpuE9ELNS1_3repE0EEENS1_30default_config_static_selectorELNS0_4arch9wavefront6targetE1EEEvT1_,"axG",@progbits,_ZN7rocprim17ROCPRIM_400000_NS6detail17trampoline_kernelINS0_14default_configENS1_20scan_config_selectorIfEEZZNS1_9scan_implILNS1_25lookback_scan_determinismE0ELb1ELb1ES3_N6thrust23THRUST_200600_302600_NS6detail15normal_iteratorINS9_10device_ptrIfEEEENS9_16discard_iteratorINS9_11use_defaultEEEfNS9_4plusIvEEfEEDaPvRmT3_T4_T5_mT6_P12ihipStream_tbENKUlT_T0_E_clISt17integral_constantIbLb1EESW_IbLb0EEEEDaSS_ST_EUlSS_E_NS1_11comp_targetILNS1_3genE5ELNS1_11target_archE942ELNS1_3gpuE9ELNS1_3repE0EEENS1_30default_config_static_selectorELNS0_4arch9wavefront6targetE1EEEvT1_,comdat
.Lfunc_end5115:
	.size	_ZN7rocprim17ROCPRIM_400000_NS6detail17trampoline_kernelINS0_14default_configENS1_20scan_config_selectorIfEEZZNS1_9scan_implILNS1_25lookback_scan_determinismE0ELb1ELb1ES3_N6thrust23THRUST_200600_302600_NS6detail15normal_iteratorINS9_10device_ptrIfEEEENS9_16discard_iteratorINS9_11use_defaultEEEfNS9_4plusIvEEfEEDaPvRmT3_T4_T5_mT6_P12ihipStream_tbENKUlT_T0_E_clISt17integral_constantIbLb1EESW_IbLb0EEEEDaSS_ST_EUlSS_E_NS1_11comp_targetILNS1_3genE5ELNS1_11target_archE942ELNS1_3gpuE9ELNS1_3repE0EEENS1_30default_config_static_selectorELNS0_4arch9wavefront6targetE1EEEvT1_, .Lfunc_end5115-_ZN7rocprim17ROCPRIM_400000_NS6detail17trampoline_kernelINS0_14default_configENS1_20scan_config_selectorIfEEZZNS1_9scan_implILNS1_25lookback_scan_determinismE0ELb1ELb1ES3_N6thrust23THRUST_200600_302600_NS6detail15normal_iteratorINS9_10device_ptrIfEEEENS9_16discard_iteratorINS9_11use_defaultEEEfNS9_4plusIvEEfEEDaPvRmT3_T4_T5_mT6_P12ihipStream_tbENKUlT_T0_E_clISt17integral_constantIbLb1EESW_IbLb0EEEEDaSS_ST_EUlSS_E_NS1_11comp_targetILNS1_3genE5ELNS1_11target_archE942ELNS1_3gpuE9ELNS1_3repE0EEENS1_30default_config_static_selectorELNS0_4arch9wavefront6targetE1EEEvT1_
                                        ; -- End function
	.section	.AMDGPU.csdata,"",@progbits
; Kernel info:
; codeLenInByte = 0
; NumSgprs: 4
; NumVgprs: 0
; NumAgprs: 0
; TotalNumVgprs: 0
; ScratchSize: 0
; MemoryBound: 0
; FloatMode: 240
; IeeeMode: 1
; LDSByteSize: 0 bytes/workgroup (compile time only)
; SGPRBlocks: 0
; VGPRBlocks: 0
; NumSGPRsForWavesPerEU: 4
; NumVGPRsForWavesPerEU: 1
; AccumOffset: 4
; Occupancy: 8
; WaveLimiterHint : 0
; COMPUTE_PGM_RSRC2:SCRATCH_EN: 0
; COMPUTE_PGM_RSRC2:USER_SGPR: 6
; COMPUTE_PGM_RSRC2:TRAP_HANDLER: 0
; COMPUTE_PGM_RSRC2:TGID_X_EN: 1
; COMPUTE_PGM_RSRC2:TGID_Y_EN: 0
; COMPUTE_PGM_RSRC2:TGID_Z_EN: 0
; COMPUTE_PGM_RSRC2:TIDIG_COMP_CNT: 0
; COMPUTE_PGM_RSRC3_GFX90A:ACCUM_OFFSET: 0
; COMPUTE_PGM_RSRC3_GFX90A:TG_SPLIT: 0
	.section	.text._ZN7rocprim17ROCPRIM_400000_NS6detail17trampoline_kernelINS0_14default_configENS1_20scan_config_selectorIfEEZZNS1_9scan_implILNS1_25lookback_scan_determinismE0ELb1ELb1ES3_N6thrust23THRUST_200600_302600_NS6detail15normal_iteratorINS9_10device_ptrIfEEEENS9_16discard_iteratorINS9_11use_defaultEEEfNS9_4plusIvEEfEEDaPvRmT3_T4_T5_mT6_P12ihipStream_tbENKUlT_T0_E_clISt17integral_constantIbLb1EESW_IbLb0EEEEDaSS_ST_EUlSS_E_NS1_11comp_targetILNS1_3genE4ELNS1_11target_archE910ELNS1_3gpuE8ELNS1_3repE0EEENS1_30default_config_static_selectorELNS0_4arch9wavefront6targetE1EEEvT1_,"axG",@progbits,_ZN7rocprim17ROCPRIM_400000_NS6detail17trampoline_kernelINS0_14default_configENS1_20scan_config_selectorIfEEZZNS1_9scan_implILNS1_25lookback_scan_determinismE0ELb1ELb1ES3_N6thrust23THRUST_200600_302600_NS6detail15normal_iteratorINS9_10device_ptrIfEEEENS9_16discard_iteratorINS9_11use_defaultEEEfNS9_4plusIvEEfEEDaPvRmT3_T4_T5_mT6_P12ihipStream_tbENKUlT_T0_E_clISt17integral_constantIbLb1EESW_IbLb0EEEEDaSS_ST_EUlSS_E_NS1_11comp_targetILNS1_3genE4ELNS1_11target_archE910ELNS1_3gpuE8ELNS1_3repE0EEENS1_30default_config_static_selectorELNS0_4arch9wavefront6targetE1EEEvT1_,comdat
	.protected	_ZN7rocprim17ROCPRIM_400000_NS6detail17trampoline_kernelINS0_14default_configENS1_20scan_config_selectorIfEEZZNS1_9scan_implILNS1_25lookback_scan_determinismE0ELb1ELb1ES3_N6thrust23THRUST_200600_302600_NS6detail15normal_iteratorINS9_10device_ptrIfEEEENS9_16discard_iteratorINS9_11use_defaultEEEfNS9_4plusIvEEfEEDaPvRmT3_T4_T5_mT6_P12ihipStream_tbENKUlT_T0_E_clISt17integral_constantIbLb1EESW_IbLb0EEEEDaSS_ST_EUlSS_E_NS1_11comp_targetILNS1_3genE4ELNS1_11target_archE910ELNS1_3gpuE8ELNS1_3repE0EEENS1_30default_config_static_selectorELNS0_4arch9wavefront6targetE1EEEvT1_ ; -- Begin function _ZN7rocprim17ROCPRIM_400000_NS6detail17trampoline_kernelINS0_14default_configENS1_20scan_config_selectorIfEEZZNS1_9scan_implILNS1_25lookback_scan_determinismE0ELb1ELb1ES3_N6thrust23THRUST_200600_302600_NS6detail15normal_iteratorINS9_10device_ptrIfEEEENS9_16discard_iteratorINS9_11use_defaultEEEfNS9_4plusIvEEfEEDaPvRmT3_T4_T5_mT6_P12ihipStream_tbENKUlT_T0_E_clISt17integral_constantIbLb1EESW_IbLb0EEEEDaSS_ST_EUlSS_E_NS1_11comp_targetILNS1_3genE4ELNS1_11target_archE910ELNS1_3gpuE8ELNS1_3repE0EEENS1_30default_config_static_selectorELNS0_4arch9wavefront6targetE1EEEvT1_
	.globl	_ZN7rocprim17ROCPRIM_400000_NS6detail17trampoline_kernelINS0_14default_configENS1_20scan_config_selectorIfEEZZNS1_9scan_implILNS1_25lookback_scan_determinismE0ELb1ELb1ES3_N6thrust23THRUST_200600_302600_NS6detail15normal_iteratorINS9_10device_ptrIfEEEENS9_16discard_iteratorINS9_11use_defaultEEEfNS9_4plusIvEEfEEDaPvRmT3_T4_T5_mT6_P12ihipStream_tbENKUlT_T0_E_clISt17integral_constantIbLb1EESW_IbLb0EEEEDaSS_ST_EUlSS_E_NS1_11comp_targetILNS1_3genE4ELNS1_11target_archE910ELNS1_3gpuE8ELNS1_3repE0EEENS1_30default_config_static_selectorELNS0_4arch9wavefront6targetE1EEEvT1_
	.p2align	8
	.type	_ZN7rocprim17ROCPRIM_400000_NS6detail17trampoline_kernelINS0_14default_configENS1_20scan_config_selectorIfEEZZNS1_9scan_implILNS1_25lookback_scan_determinismE0ELb1ELb1ES3_N6thrust23THRUST_200600_302600_NS6detail15normal_iteratorINS9_10device_ptrIfEEEENS9_16discard_iteratorINS9_11use_defaultEEEfNS9_4plusIvEEfEEDaPvRmT3_T4_T5_mT6_P12ihipStream_tbENKUlT_T0_E_clISt17integral_constantIbLb1EESW_IbLb0EEEEDaSS_ST_EUlSS_E_NS1_11comp_targetILNS1_3genE4ELNS1_11target_archE910ELNS1_3gpuE8ELNS1_3repE0EEENS1_30default_config_static_selectorELNS0_4arch9wavefront6targetE1EEEvT1_,@function
_ZN7rocprim17ROCPRIM_400000_NS6detail17trampoline_kernelINS0_14default_configENS1_20scan_config_selectorIfEEZZNS1_9scan_implILNS1_25lookback_scan_determinismE0ELb1ELb1ES3_N6thrust23THRUST_200600_302600_NS6detail15normal_iteratorINS9_10device_ptrIfEEEENS9_16discard_iteratorINS9_11use_defaultEEEfNS9_4plusIvEEfEEDaPvRmT3_T4_T5_mT6_P12ihipStream_tbENKUlT_T0_E_clISt17integral_constantIbLb1EESW_IbLb0EEEEDaSS_ST_EUlSS_E_NS1_11comp_targetILNS1_3genE4ELNS1_11target_archE910ELNS1_3gpuE8ELNS1_3repE0EEENS1_30default_config_static_selectorELNS0_4arch9wavefront6targetE1EEEvT1_: ; @_ZN7rocprim17ROCPRIM_400000_NS6detail17trampoline_kernelINS0_14default_configENS1_20scan_config_selectorIfEEZZNS1_9scan_implILNS1_25lookback_scan_determinismE0ELb1ELb1ES3_N6thrust23THRUST_200600_302600_NS6detail15normal_iteratorINS9_10device_ptrIfEEEENS9_16discard_iteratorINS9_11use_defaultEEEfNS9_4plusIvEEfEEDaPvRmT3_T4_T5_mT6_P12ihipStream_tbENKUlT_T0_E_clISt17integral_constantIbLb1EESW_IbLb0EEEEDaSS_ST_EUlSS_E_NS1_11comp_targetILNS1_3genE4ELNS1_11target_archE910ELNS1_3gpuE8ELNS1_3repE0EEENS1_30default_config_static_selectorELNS0_4arch9wavefront6targetE1EEEvT1_
; %bb.0:
	s_load_dwordx4 s[0:3], s[4:5], 0x0
	s_load_dwordx2 s[8:9], s[4:5], 0x20
	s_load_dword s7, s[4:5], 0x38
	v_lshlrev_b32_e32 v18, 2, v0
	s_waitcnt lgkmcnt(0)
	s_lshl_b64 s[2:3], s[2:3], 2
	s_add_u32 s23, s0, s2
	s_addc_u32 s24, s1, s3
	s_add_i32 s2, s7, -1
	s_mul_i32 s3, s2, 0x700
	s_sub_u32 s7, s8, s3
	s_subb_u32 s22, s9, 0
	s_mul_i32 s0, s6, 0x700
	s_mov_b32 s1, 0
	s_cmp_lg_u32 s6, s2
	s_cselect_b64 s[16:17], -1, 0
	s_lshl_b64 s[0:1], s[0:1], 2
	s_add_u32 s0, s23, s0
	s_addc_u32 s1, s24, s1
	s_mov_b64 s[2:3], -1
	s_and_b64 vcc, exec, s[16:17]
	s_cbranch_vccz .LBB5116_2
; %bb.1:
	v_mov_b32_e32 v1, s1
	v_add_co_u32_e32 v2, vcc, s0, v18
	v_addc_co_u32_e32 v3, vcc, 0, v1, vcc
	flat_load_dword v1, v[2:3]
	flat_load_dword v4, v[2:3] offset:512
	flat_load_dword v5, v[2:3] offset:1024
	;; [unrolled: 1-line block ×7, first 2 shown]
	v_add_co_u32_e32 v2, vcc, 0x1000, v2
	v_addc_co_u32_e32 v3, vcc, 0, v3, vcc
	flat_load_dword v11, v[2:3]
	flat_load_dword v12, v[2:3] offset:512
	flat_load_dword v13, v[2:3] offset:1024
	;; [unrolled: 1-line block ×5, first 2 shown]
	s_mov_b64 s[2:3], 0
	s_waitcnt vmcnt(0) lgkmcnt(0)
	ds_write2st64_b32 v18, v1, v4 offset1:2
	ds_write2st64_b32 v18, v5, v6 offset0:4 offset1:6
	ds_write2st64_b32 v18, v7, v8 offset0:8 offset1:10
	;; [unrolled: 1-line block ×6, first 2 shown]
	s_waitcnt lgkmcnt(0)
	s_barrier
.LBB5116_2:
	s_load_dwordx2 s[18:19], s[4:5], 0x30
	s_andn2_b64 vcc, exec, s[2:3]
	s_cbranch_vccnz .LBB5116_32
; %bb.3:
	v_pk_mov_b32 v[2:3], s[0:1], s[0:1] op_sel:[0,1]
	flat_load_dword v1, v[2:3]
	v_cmp_gt_u32_e32 vcc, s7, v0
	s_waitcnt vmcnt(0) lgkmcnt(0)
	v_mov_b32_e32 v2, v1
	v_mov_b32_e32 v3, v1
	;; [unrolled: 1-line block ×12, first 2 shown]
	v_pk_mov_b32 v[16:17], v[14:15], v[14:15] op_sel:[0,1]
	v_pk_mov_b32 v[14:15], v[12:13], v[12:13] op_sel:[0,1]
	;; [unrolled: 1-line block ×8, first 2 shown]
	s_and_saveexec_b64 s[2:3], vcc
	s_cbranch_execz .LBB5116_5
; %bb.4:
	v_mov_b32_e32 v3, s1
	v_add_co_u32_e32 v2, vcc, s0, v18
	v_addc_co_u32_e32 v3, vcc, 0, v3, vcc
	flat_load_dword v19, v[2:3]
	v_mov_b32_e32 v2, v1
	v_mov_b32_e32 v3, v1
	;; [unrolled: 1-line block ×12, first 2 shown]
	v_pk_mov_b32 v[16:17], v[14:15], v[14:15] op_sel:[0,1]
	v_pk_mov_b32 v[14:15], v[12:13], v[12:13] op_sel:[0,1]
	v_pk_mov_b32 v[12:13], v[10:11], v[10:11] op_sel:[0,1]
	v_pk_mov_b32 v[10:11], v[8:9], v[8:9] op_sel:[0,1]
	v_pk_mov_b32 v[8:9], v[6:7], v[6:7] op_sel:[0,1]
	v_pk_mov_b32 v[6:7], v[4:5], v[4:5] op_sel:[0,1]
	v_pk_mov_b32 v[4:5], v[2:3], v[2:3] op_sel:[0,1]
	v_pk_mov_b32 v[2:3], v[0:1], v[0:1] op_sel:[0,1]
	s_waitcnt vmcnt(0) lgkmcnt(0)
	v_mov_b32_e32 v1, v19
.LBB5116_5:
	s_or_b64 exec, exec, s[2:3]
	v_or_b32_e32 v2, 0x80, v0
	v_cmp_gt_u32_e32 vcc, s7, v2
	s_and_saveexec_b64 s[2:3], vcc
	s_cbranch_execz .LBB5116_7
; %bb.6:
	v_mov_b32_e32 v3, s1
	v_add_co_u32_e32 v2, vcc, s0, v18
	v_addc_co_u32_e32 v3, vcc, 0, v3, vcc
	flat_load_dword v3, v[2:3] offset:512
.LBB5116_7:
	s_or_b64 exec, exec, s[2:3]
	v_or_b32_e32 v2, 0x100, v0
	v_cmp_gt_u32_e32 vcc, s7, v2
	s_and_saveexec_b64 s[2:3], vcc
	s_cbranch_execz .LBB5116_9
; %bb.8:
	v_mov_b32_e32 v2, s1
	v_add_co_u32_e32 v16, vcc, s0, v18
	v_addc_co_u32_e32 v17, vcc, 0, v2, vcc
	flat_load_dword v4, v[16:17] offset:1024
.LBB5116_9:
	;; [unrolled: 11-line block ×7, first 2 shown]
	s_or_b64 exec, exec, s[2:3]
	v_or_b32_e32 v2, 0x400, v0
	v_cmp_gt_u32_e32 vcc, s7, v2
	s_and_saveexec_b64 s[2:3], vcc
	s_cbranch_execz .LBB5116_21
; %bb.20:
	v_lshlrev_b32_e32 v2, 2, v2
	v_mov_b32_e32 v10, s1
	v_add_co_u32_e32 v16, vcc, s0, v2
	v_addc_co_u32_e32 v17, vcc, 0, v10, vcc
	flat_load_dword v10, v[16:17]
.LBB5116_21:
	s_or_b64 exec, exec, s[2:3]
	v_or_b32_e32 v2, 0x480, v0
	v_cmp_gt_u32_e32 vcc, s7, v2
	s_and_saveexec_b64 s[2:3], vcc
	s_cbranch_execz .LBB5116_23
; %bb.22:
	v_lshlrev_b32_e32 v2, 2, v2
	v_mov_b32_e32 v11, s1
	v_add_co_u32_e32 v16, vcc, s0, v2
	v_addc_co_u32_e32 v17, vcc, 0, v11, vcc
	flat_load_dword v11, v[16:17]
.LBB5116_23:
	;; [unrolled: 12-line block ×6, first 2 shown]
	s_or_b64 exec, exec, s[2:3]
	s_waitcnt vmcnt(0) lgkmcnt(0)
	ds_write2st64_b32 v18, v1, v3 offset1:2
	ds_write2st64_b32 v18, v4, v5 offset0:4 offset1:6
	ds_write2st64_b32 v18, v6, v7 offset0:8 offset1:10
	;; [unrolled: 1-line block ×6, first 2 shown]
	s_waitcnt lgkmcnt(0)
	s_barrier
.LBB5116_32:
	v_mul_u32_u24_e32 v32, 14, v0
	v_lshlrev_b32_e32 v33, 2, v32
	s_waitcnt lgkmcnt(0)
	ds_read2_b64 v[26:29], v33 offset1:1
	ds_read2_b64 v[22:25], v33 offset0:2 offset1:3
	ds_read2_b64 v[18:21], v33 offset0:4 offset1:5
	ds_read_b64 v[30:31], v33 offset:48
	s_cmp_lg_u32 s6, 0
	s_waitcnt lgkmcnt(3)
	v_add_f32_e32 v34, v26, v27
	v_lshrrev_b32_e32 v1, 5, v0
	v_cmp_gt_u32_e32 vcc, 64, v0
	s_waitcnt lgkmcnt(0)
	s_barrier
	s_cbranch_scc0 .LBB5116_61
; %bb.33:
	v_add_f32_e32 v2, v28, v34
	v_add_f32_e32 v2, v29, v2
	;; [unrolled: 1-line block ×12, first 2 shown]
	v_add_lshl_u32 v2, v1, v0, 2
	ds_write_b32 v2, v12
	s_waitcnt lgkmcnt(0)
	s_barrier
	s_and_saveexec_b64 s[10:11], vcc
	s_cbranch_execz .LBB5116_35
; %bb.34:
	v_lshlrev_b32_e32 v2, 1, v0
	v_lshrrev_b32_e32 v3, 4, v0
	v_add_lshl_u32 v4, v3, v2, 2
	ds_read2_b32 v[2:3], v4 offset1:1
	v_mbcnt_lo_u32_b32 v5, -1, 0
	v_mbcnt_hi_u32_b32 v5, -1, v5
	v_and_b32_e32 v6, 15, v5
	v_cmp_eq_u32_e64 s[0:1], 0, v6
	s_waitcnt lgkmcnt(0)
	v_add_f32_e32 v3, v2, v3
	v_cmp_lt_u32_e64 s[2:3], 3, v6
	v_cmp_lt_u32_e64 s[8:9], 31, v5
	v_mov_b32_dpp v7, v3 row_shr:1 row_mask:0xf bank_mask:0xf
	v_add_f32_e32 v7, v3, v7
	v_cndmask_b32_e64 v3, v7, v3, s[0:1]
	v_cmp_lt_u32_e64 s[0:1], 1, v6
	s_nop 0
	v_mov_b32_dpp v7, v3 row_shr:2 row_mask:0xf bank_mask:0xf
	v_add_f32_e32 v7, v3, v7
	v_cndmask_b32_e64 v7, v3, v7, s[0:1]
	; wave barrier
	s_nop 1
	v_mov_b32_dpp v8, v7 row_shr:4 row_mask:0xf bank_mask:0xf
	v_add_f32_e32 v8, v7, v8
	v_cndmask_b32_e64 v7, v7, v8, s[2:3]
	v_cmp_lt_u32_e64 s[2:3], 7, v6
	s_nop 0
	v_mov_b32_dpp v8, v7 row_shr:8 row_mask:0xf bank_mask:0xf
	v_add_f32_e32 v8, v7, v8
	v_cndmask_b32_e64 v6, v7, v8, s[2:3]
	v_and_b32_e32 v8, 16, v5
	v_cmp_eq_u32_e64 s[2:3], 0, v8
	v_mov_b32_dpp v7, v6 row_bcast:15 row_mask:0xf bank_mask:0xf
	v_add_f32_e32 v7, v6, v7
	v_cndmask_b32_e64 v6, v7, v6, s[2:3]
	v_cmp_lt_u32_e64 s[2:3], 15, v5
	s_or_b64 s[0:1], s[2:3], s[0:1]
	v_mov_b32_dpp v7, v6 row_bcast:31 row_mask:0xf bank_mask:0xf
	v_add_f32_e32 v7, v6, v7
	v_cndmask_b32_e64 v6, v6, v7, s[8:9]
	v_cndmask_b32_e64 v3, v3, v6, s[0:1]
	v_add_u32_e32 v6, -1, v5
	v_and_b32_e32 v7, 64, v5
	v_cmp_lt_i32_e64 s[0:1], v6, v7
	v_cndmask_b32_e64 v5, v6, v5, s[0:1]
	v_lshlrev_b32_e32 v5, 2, v5
	ds_bpermute_b32 v3, v5, v3
	v_cmp_eq_u32_e64 s[0:1], 0, v0
	s_waitcnt lgkmcnt(0)
	v_add_f32_e32 v2, v2, v3
	v_cndmask_b32_e64 v2, v2, v12, s[0:1]
	ds_write_b32 v4, v2
	; wave barrier
	ds_read_b32 v3, v4 offset:4
	s_waitcnt lgkmcnt(0)
	v_add_f32_e32 v2, v2, v3
	ds_write_b32 v4, v2 offset:4
.LBB5116_35:
	s_or_b64 exec, exec, s[10:11]
	v_cmp_eq_u32_e64 s[0:1], 0, v0
	v_cmp_ne_u32_e64 s[2:3], 0, v0
	s_waitcnt lgkmcnt(0)
	s_barrier
	s_and_saveexec_b64 s[8:9], s[2:3]
	s_cbranch_execz .LBB5116_37
; %bb.36:
	v_add_u32_e32 v2, -1, v0
	v_lshrrev_b32_e32 v3, 5, v2
	v_add_lshl_u32 v2, v3, v2, 2
	ds_read_b32 v12, v2
.LBB5116_37:
	s_or_b64 exec, exec, s[8:9]
	s_and_saveexec_b64 s[20:21], vcc
	s_cbranch_execz .LBB5116_60
; %bb.38:
	v_mov_b32_e32 v11, 0
	ds_read_b32 v2, v11 offset:520
	v_mbcnt_lo_u32_b32 v3, -1, 0
	v_mbcnt_hi_u32_b32 v5, -1, v3
	s_mov_b32 s11, 0
	v_cmp_eq_u32_e64 s[2:3], 0, v5
	s_and_saveexec_b64 s[8:9], s[2:3]
	s_cbranch_execz .LBB5116_40
; %bb.39:
	s_add_i32 s10, s6, 64
	s_lshl_b64 s[10:11], s[10:11], 3
	s_add_u32 s10, s18, s10
	v_mov_b32_e32 v3, 1
	s_addc_u32 s11, s19, s11
	s_waitcnt lgkmcnt(0)
	global_store_dwordx2 v11, v[2:3], s[10:11]
.LBB5116_40:
	s_or_b64 exec, exec, s[8:9]
	v_xad_u32 v4, v5, -1, s6
	v_add_u32_e32 v10, 64, v4
	v_lshlrev_b64 v[6:7], 3, v[10:11]
	v_mov_b32_e32 v3, s19
	v_add_co_u32_e32 v6, vcc, s18, v6
	v_addc_co_u32_e32 v7, vcc, v3, v7, vcc
	global_load_dwordx2 v[8:9], v[6:7], off glc
	s_waitcnt vmcnt(0)
	v_cmp_eq_u16_sdwa s[10:11], v9, v11 src0_sel:BYTE_0 src1_sel:DWORD
	s_and_saveexec_b64 s[8:9], s[10:11]
	s_cbranch_execz .LBB5116_46
; %bb.41:
	s_mov_b32 s12, 1
	s_mov_b64 s[10:11], 0
	v_mov_b32_e32 v3, 0
.LBB5116_42:                            ; =>This Loop Header: Depth=1
                                        ;     Child Loop BB5116_43 Depth 2
	s_max_u32 s13, s12, 1
.LBB5116_43:                            ;   Parent Loop BB5116_42 Depth=1
                                        ; =>  This Inner Loop Header: Depth=2
	s_add_i32 s13, s13, -1
	s_cmp_eq_u32 s13, 0
	s_sleep 1
	s_cbranch_scc0 .LBB5116_43
; %bb.44:                               ;   in Loop: Header=BB5116_42 Depth=1
	global_load_dwordx2 v[8:9], v[6:7], off glc
	s_cmp_lt_u32 s12, 32
	s_cselect_b64 s[14:15], -1, 0
	s_cmp_lg_u64 s[14:15], 0
	s_addc_u32 s12, s12, 0
	s_waitcnt vmcnt(0)
	v_cmp_ne_u16_sdwa s[14:15], v9, v3 src0_sel:BYTE_0 src1_sel:DWORD
	s_or_b64 s[10:11], s[14:15], s[10:11]
	s_andn2_b64 exec, exec, s[10:11]
	s_cbranch_execnz .LBB5116_42
; %bb.45:
	s_or_b64 exec, exec, s[10:11]
.LBB5116_46:
	s_or_b64 exec, exec, s[8:9]
	v_and_b32_e32 v13, 63, v5
	v_cmp_ne_u32_e32 vcc, 63, v13
	v_addc_co_u32_e32 v14, vcc, 0, v5, vcc
	v_mov_b32_e32 v3, 2
	v_lshlrev_b32_e32 v14, 2, v14
	v_cmp_eq_u16_sdwa s[8:9], v9, v3 src0_sel:BYTE_0 src1_sel:DWORD
	v_lshlrev_b64 v[6:7], v5, -1
	ds_bpermute_b32 v15, v14, v8
	v_and_b32_e32 v10, s9, v7
	v_or_b32_e32 v10, 0x80000000, v10
	v_and_b32_e32 v11, s8, v6
	v_ffbl_b32_e32 v10, v10
	v_add_u32_e32 v10, 32, v10
	v_ffbl_b32_e32 v11, v11
	v_cmp_gt_u32_e64 s[8:9], 62, v13
	v_min_u32_e32 v10, v11, v10
	s_waitcnt lgkmcnt(0)
	v_add_f32_e32 v11, v8, v15
	v_cndmask_b32_e64 v15, 0, 1, s[8:9]
	v_cmp_lt_u32_e32 vcc, v13, v10
	v_lshlrev_b32_e32 v15, 1, v15
	v_cndmask_b32_e32 v11, v8, v11, vcc
	v_add_lshl_u32 v15, v15, v5, 2
	ds_bpermute_b32 v17, v15, v11
	v_add_u32_e32 v16, 2, v13
	v_cmp_gt_u32_e64 s[8:9], v16, v10
	v_cmp_gt_u32_e64 s[10:11], 56, v13
	v_add_u32_e32 v35, 4, v13
	s_waitcnt lgkmcnt(0)
	v_add_f32_e32 v17, v11, v17
	v_cndmask_b32_e64 v11, v17, v11, s[8:9]
	v_cmp_gt_u32_e64 s[8:9], 60, v13
	v_cndmask_b32_e64 v17, 0, 1, s[8:9]
	v_lshlrev_b32_e32 v17, 2, v17
	v_add_lshl_u32 v17, v17, v5, 2
	ds_bpermute_b32 v36, v17, v11
	v_cmp_gt_u32_e64 s[8:9], v35, v10
	v_add_u32_e32 v37, 8, v13
	v_cmp_gt_u32_e64 s[12:13], 48, v13
	v_cmp_gt_u32_e64 s[14:15], 32, v13
	s_waitcnt lgkmcnt(0)
	v_add_f32_e32 v40, v11, v36
	v_cndmask_b32_e64 v36, 0, 1, s[10:11]
	v_lshlrev_b32_e32 v36, 3, v36
	v_cndmask_b32_e64 v38, v40, v11, s[8:9]
	v_add_lshl_u32 v36, v36, v5, 2
	ds_bpermute_b32 v39, v36, v38
	v_cmp_gt_u32_e64 s[10:11], v37, v10
	v_cndmask_b32_e32 v8, v8, v11, vcc
	v_cndmask_b32_e64 v8, v40, v8, s[8:9]
	s_waitcnt lgkmcnt(0)
	v_add_f32_e32 v43, v38, v39
	v_cndmask_b32_e64 v41, v43, v38, s[10:11]
	v_cndmask_b32_e64 v38, 0, 1, s[12:13]
	v_lshlrev_b32_e32 v38, 4, v38
	v_add_lshl_u32 v38, v38, v5, 2
	ds_bpermute_b32 v42, v38, v41
	v_add_u32_e32 v39, 16, v13
	v_cmp_gt_u32_e64 s[12:13], v39, v10
	v_cndmask_b32_e64 v8, v43, v8, s[10:11]
	s_waitcnt lgkmcnt(0)
	v_add_f32_e32 v44, v41, v42
	v_cndmask_b32_e64 v45, v44, v41, s[12:13]
	v_cndmask_b32_e64 v41, 0, 1, s[14:15]
	v_lshlrev_b32_e32 v41, 5, v41
	v_add_lshl_u32 v41, v41, v5, 2
	ds_bpermute_b32 v5, v41, v45
	v_add_u32_e32 v42, 32, v13
	v_cndmask_b32_e64 v8, v44, v8, s[12:13]
	v_cmp_gt_u32_e32 vcc, v42, v10
	s_waitcnt lgkmcnt(0)
	v_add_f32_e32 v5, v45, v5
	v_cndmask_b32_e32 v8, v5, v8, vcc
	v_mov_b32_e32 v5, 0
	s_branch .LBB5116_48
.LBB5116_47:                            ;   in Loop: Header=BB5116_48 Depth=1
	s_or_b64 exec, exec, s[8:9]
	v_cmp_eq_u16_sdwa s[8:9], v9, v3 src0_sel:BYTE_0 src1_sel:DWORD
	v_and_b32_e32 v10, s9, v7
	ds_bpermute_b32 v43, v14, v8
	v_or_b32_e32 v10, 0x80000000, v10
	v_and_b32_e32 v11, s8, v6
	v_ffbl_b32_e32 v10, v10
	v_add_u32_e32 v10, 32, v10
	v_ffbl_b32_e32 v11, v11
	v_min_u32_e32 v10, v11, v10
	s_waitcnt lgkmcnt(0)
	v_add_f32_e32 v11, v8, v43
	v_cmp_lt_u32_e32 vcc, v13, v10
	v_cndmask_b32_e32 v11, v8, v11, vcc
	ds_bpermute_b32 v43, v15, v11
	v_cmp_gt_u32_e64 s[8:9], v16, v10
	v_cmp_gt_u32_e64 s[10:11], v37, v10
	;; [unrolled: 1-line block ×3, first 2 shown]
	v_subrev_u32_e32 v4, 64, v4
	s_waitcnt lgkmcnt(0)
	v_add_f32_e32 v43, v11, v43
	v_cndmask_b32_e64 v11, v43, v11, s[8:9]
	ds_bpermute_b32 v43, v17, v11
	v_cmp_gt_u32_e64 s[8:9], v35, v10
	v_cndmask_b32_e32 v8, v8, v11, vcc
	v_cmp_gt_u32_e32 vcc, v42, v10
	s_waitcnt lgkmcnt(0)
	v_add_f32_e32 v43, v11, v43
	v_cndmask_b32_e64 v44, v43, v11, s[8:9]
	ds_bpermute_b32 v45, v36, v44
	v_cndmask_b32_e64 v8, v43, v8, s[8:9]
	s_waitcnt lgkmcnt(0)
	v_add_f32_e32 v45, v44, v45
	v_cndmask_b32_e64 v44, v45, v44, s[10:11]
	ds_bpermute_b32 v46, v38, v44
	v_cndmask_b32_e64 v8, v45, v8, s[10:11]
	;; [unrolled: 5-line block ×3, first 2 shown]
	s_waitcnt lgkmcnt(0)
	v_add_f32_e32 v11, v44, v47
	v_cndmask_b32_e32 v8, v11, v8, vcc
	v_add_f32_e32 v8, v40, v8
.LBB5116_48:                            ; =>This Loop Header: Depth=1
                                        ;     Child Loop BB5116_51 Depth 2
                                        ;       Child Loop BB5116_52 Depth 3
	v_cmp_ne_u16_sdwa s[8:9], v9, v3 src0_sel:BYTE_0 src1_sel:DWORD
	v_cndmask_b32_e64 v9, 0, 1, s[8:9]
	;;#ASMSTART
	;;#ASMEND
	v_cmp_ne_u32_e32 vcc, 0, v9
	s_cmp_lg_u64 vcc, exec
	v_mov_b32_e32 v40, v8
	s_cbranch_scc1 .LBB5116_55
; %bb.49:                               ;   in Loop: Header=BB5116_48 Depth=1
	v_lshlrev_b64 v[8:9], 3, v[4:5]
	v_mov_b32_e32 v11, s19
	v_add_co_u32_e32 v10, vcc, s18, v8
	v_addc_co_u32_e32 v11, vcc, v11, v9, vcc
	global_load_dwordx2 v[8:9], v[10:11], off glc
	s_waitcnt vmcnt(0)
	v_cmp_eq_u16_sdwa s[10:11], v9, v5 src0_sel:BYTE_0 src1_sel:DWORD
	s_and_saveexec_b64 s[8:9], s[10:11]
	s_cbranch_execz .LBB5116_47
; %bb.50:                               ;   in Loop: Header=BB5116_48 Depth=1
	s_mov_b32 s12, 1
	s_mov_b64 s[10:11], 0
.LBB5116_51:                            ;   Parent Loop BB5116_48 Depth=1
                                        ; =>  This Loop Header: Depth=2
                                        ;       Child Loop BB5116_52 Depth 3
	s_max_u32 s13, s12, 1
.LBB5116_52:                            ;   Parent Loop BB5116_48 Depth=1
                                        ;     Parent Loop BB5116_51 Depth=2
                                        ; =>    This Inner Loop Header: Depth=3
	s_add_i32 s13, s13, -1
	s_cmp_eq_u32 s13, 0
	s_sleep 1
	s_cbranch_scc0 .LBB5116_52
; %bb.53:                               ;   in Loop: Header=BB5116_51 Depth=2
	global_load_dwordx2 v[8:9], v[10:11], off glc
	s_cmp_lt_u32 s12, 32
	s_cselect_b64 s[14:15], -1, 0
	s_cmp_lg_u64 s[14:15], 0
	s_addc_u32 s12, s12, 0
	s_waitcnt vmcnt(0)
	v_cmp_ne_u16_sdwa s[14:15], v9, v5 src0_sel:BYTE_0 src1_sel:DWORD
	s_or_b64 s[10:11], s[14:15], s[10:11]
	s_andn2_b64 exec, exec, s[10:11]
	s_cbranch_execnz .LBB5116_51
; %bb.54:                               ;   in Loop: Header=BB5116_48 Depth=1
	s_or_b64 exec, exec, s[10:11]
	s_branch .LBB5116_47
.LBB5116_55:                            ;   in Loop: Header=BB5116_48 Depth=1
                                        ; implicit-def: $vgpr8
                                        ; implicit-def: $vgpr9
	s_cbranch_execz .LBB5116_48
; %bb.56:
	s_and_saveexec_b64 s[8:9], s[2:3]
	s_cbranch_execz .LBB5116_58
; %bb.57:
	s_add_i32 s2, s6, 64
	s_mov_b32 s3, 0
	s_lshl_b64 s[2:3], s[2:3], 3
	s_add_u32 s2, s18, s2
	v_add_f32_e32 v2, v2, v40
	v_mov_b32_e32 v3, 2
	s_addc_u32 s3, s19, s3
	v_mov_b32_e32 v4, 0
	global_store_dwordx2 v4, v[2:3], s[2:3]
.LBB5116_58:
	s_or_b64 exec, exec, s[8:9]
	s_and_b64 exec, exec, s[0:1]
	s_cbranch_execz .LBB5116_60
; %bb.59:
	v_mov_b32_e32 v2, 0
	ds_write_b32 v2, v40
.LBB5116_60:
	s_or_b64 exec, exec, s[20:21]
	v_mov_b32_e32 v2, 0
	s_waitcnt lgkmcnt(0)
	s_barrier
	ds_read_b32 v2, v2
	s_waitcnt lgkmcnt(0)
	v_add_f32_e32 v3, v12, v2
	v_cndmask_b32_e64 v2, v3, v2, s[0:1]
	v_add_f32_e32 v3, v26, v2
	v_add_f32_e32 v4, v27, v3
	;; [unrolled: 1-line block ×13, first 2 shown]
	s_load_dwordx8 s[8:15], s[4:5], 0x40
	s_branch .LBB5116_71
.LBB5116_61:
                                        ; implicit-def: $vgpr2_vgpr3_vgpr4_vgpr5_vgpr6_vgpr7_vgpr8_vgpr9_vgpr10_vgpr11_vgpr12_vgpr13_vgpr14_vgpr15_vgpr16_vgpr17
	s_load_dwordx8 s[8:15], s[4:5], 0x40
	s_cbranch_execz .LBB5116_71
; %bb.62:
	s_load_dword s0, s[4:5], 0x28
	s_waitcnt lgkmcnt(0)
	s_cmp_eq_u64 s[12:13], 0
	v_mov_b32_e32 v16, s0
	s_cbranch_scc1 .LBB5116_64
; %bb.63:
	v_mov_b32_e32 v3, s24
	v_add_co_u32_e64 v2, vcc, -4, s23
	v_addc_co_u32_e32 v3, vcc, -1, v3, vcc
	v_mov_b32_e32 v4, 0
	flat_load_dword v5, v[2:3]
	global_load_dword v6, v4, s[8:9]
	s_waitcnt vmcnt(0) lgkmcnt(0)
	v_add_f32_e32 v16, v5, v6
.LBB5116_64:
	v_add_f32_e32 v2, v28, v34
	v_add_f32_e32 v2, v29, v2
	;; [unrolled: 1-line block ×12, first 2 shown]
	v_add_lshl_u32 v1, v1, v0, 2
	v_cmp_gt_u32_e32 vcc, 64, v0
	ds_write_b32 v1, v2
	s_waitcnt lgkmcnt(0)
	s_barrier
	s_and_saveexec_b64 s[4:5], vcc
	s_cbranch_execz .LBB5116_66
; %bb.65:
	v_lshlrev_b32_e32 v1, 1, v0
	v_lshrrev_b32_e32 v3, 4, v0
	v_add_lshl_u32 v1, v3, v1, 2
	ds_read2_b32 v[4:5], v1 offset1:1
	v_mbcnt_lo_u32_b32 v3, -1, 0
	v_mbcnt_hi_u32_b32 v3, -1, v3
	v_and_b32_e32 v6, 15, v3
	v_cmp_eq_u32_e32 vcc, 0, v6
	s_waitcnt lgkmcnt(0)
	v_add_f32_e32 v5, v4, v5
	v_cmp_lt_u32_e64 s[0:1], 3, v6
	v_cmp_lt_u32_e64 s[2:3], 31, v3
	v_mov_b32_dpp v7, v5 row_shr:1 row_mask:0xf bank_mask:0xf
	v_add_f32_e32 v7, v5, v7
	v_cndmask_b32_e32 v5, v7, v5, vcc
	v_cmp_lt_u32_e32 vcc, 1, v6
	s_nop 0
	v_mov_b32_dpp v7, v5 row_shr:2 row_mask:0xf bank_mask:0xf
	v_add_f32_e32 v7, v5, v7
	v_cndmask_b32_e32 v7, v5, v7, vcc
	; wave barrier
	s_nop 1
	v_mov_b32_dpp v8, v7 row_shr:4 row_mask:0xf bank_mask:0xf
	v_add_f32_e32 v8, v7, v8
	v_cndmask_b32_e64 v7, v7, v8, s[0:1]
	v_cmp_lt_u32_e64 s[0:1], 7, v6
	s_nop 0
	v_mov_b32_dpp v8, v7 row_shr:8 row_mask:0xf bank_mask:0xf
	v_add_f32_e32 v8, v7, v8
	v_cndmask_b32_e64 v6, v7, v8, s[0:1]
	v_and_b32_e32 v8, 16, v3
	v_cmp_eq_u32_e64 s[0:1], 0, v8
	v_mov_b32_dpp v7, v6 row_bcast:15 row_mask:0xf bank_mask:0xf
	v_add_f32_e32 v7, v6, v7
	v_cndmask_b32_e64 v6, v7, v6, s[0:1]
	v_cmp_lt_u32_e64 s[0:1], 15, v3
	s_or_b64 vcc, s[0:1], vcc
	v_mov_b32_dpp v7, v6 row_bcast:31 row_mask:0xf bank_mask:0xf
	v_add_f32_e32 v7, v6, v7
	v_cndmask_b32_e64 v6, v6, v7, s[2:3]
	v_cndmask_b32_e32 v5, v5, v6, vcc
	v_add_u32_e32 v6, -1, v3
	v_and_b32_e32 v7, 64, v3
	v_cmp_lt_i32_e32 vcc, v6, v7
	v_cndmask_b32_e32 v3, v6, v3, vcc
	v_lshlrev_b32_e32 v3, 2, v3
	ds_bpermute_b32 v3, v3, v5
	v_cmp_eq_u32_e32 vcc, 0, v0
	s_waitcnt lgkmcnt(0)
	v_add_f32_e32 v3, v4, v3
	v_cndmask_b32_e32 v2, v3, v2, vcc
	ds_write_b32 v1, v2
	; wave barrier
	ds_read_b32 v3, v1 offset:4
	s_waitcnt lgkmcnt(0)
	v_add_f32_e32 v2, v2, v3
	ds_write_b32 v1, v2 offset:4
.LBB5116_66:
	s_or_b64 exec, exec, s[4:5]
	v_cmp_eq_u32_e32 vcc, 0, v0
	v_cmp_ne_u32_e64 s[0:1], 0, v0
	v_mov_b32_e32 v2, v16
	s_waitcnt lgkmcnt(0)
	s_barrier
	s_and_saveexec_b64 s[2:3], s[0:1]
	s_cbranch_execz .LBB5116_68
; %bb.67:
	v_add_u32_e32 v1, -1, v0
	v_lshrrev_b32_e32 v2, 5, v1
	v_add_lshl_u32 v1, v2, v1, 2
	ds_read_b32 v1, v1
	s_waitcnt lgkmcnt(0)
	v_add_f32_e32 v2, v16, v1
.LBB5116_68:
	s_or_b64 exec, exec, s[2:3]
	v_add_f32_e32 v3, v26, v2
	v_add_f32_e32 v4, v27, v3
	;; [unrolled: 1-line block ×13, first 2 shown]
	s_and_saveexec_b64 s[0:1], vcc
	s_cbranch_execz .LBB5116_70
; %bb.69:
	v_mov_b32_e32 v1, 0
	ds_read_b32 v17, v1 offset:520
	s_waitcnt lgkmcnt(0)
	v_add_f32_e32 v16, v16, v17
	v_mov_b32_e32 v17, 2
	global_store_dwordx2 v1, v[16:17], s[18:19] offset:512
.LBB5116_70:
	s_or_b64 exec, exec, s[0:1]
.LBB5116_71:
	s_mov_b64 s[0:1], -1
	s_and_b64 vcc, exec, s[16:17]
	s_waitcnt lgkmcnt(0)
	s_barrier
	ds_write2_b64 v33, v[2:3], v[4:5] offset1:1
	ds_write2_b64 v33, v[6:7], v[8:9] offset0:2 offset1:3
	ds_write2_b64 v33, v[10:11], v[12:13] offset0:4 offset1:5
	ds_write_b64 v33, v[14:15] offset:48
	s_waitcnt lgkmcnt(0)
	s_cbranch_vccz .LBB5116_73
; %bb.72:
	s_barrier
	s_mov_b64 s[0:1], 0
.LBB5116_73:
	s_andn2_b64 vcc, exec, s[0:1]
	s_cbranch_vccnz .LBB5116_125
; %bb.74:
	v_cmp_lt_u64_e64 s[0:1], s[14:15], 2
	s_and_b64 vcc, exec, s[0:1]
	s_barrier
	s_cbranch_vccnz .LBB5116_125
; %bb.75:
	s_add_u32 s0, s7, -1
	s_addc_u32 s1, s22, -1
	s_add_u32 s2, 0, 0x49240800
	s_addc_u32 s3, 0, 50
	s_add_i32 s3, s3, 0x12492460
	s_mul_hi_u32 s7, s2, -14
	s_sub_i32 s7, s7, s2
	s_mul_i32 s8, s3, -14
	s_mul_i32 s4, s2, -14
	s_add_i32 s7, s7, s8
	s_mul_hi_u32 s5, s3, s4
	s_mul_i32 s6, s3, s4
	s_mul_i32 s9, s2, s7
	s_mul_hi_u32 s4, s2, s4
	s_mul_hi_u32 s8, s2, s7
	s_add_u32 s4, s4, s9
	s_addc_u32 s8, 0, s8
	s_add_u32 s4, s4, s6
	s_mul_hi_u32 s9, s3, s7
	s_addc_u32 s4, s8, s5
	s_addc_u32 s5, s9, 0
	s_mul_i32 s6, s3, s7
	s_add_u32 s4, s4, s6
	v_mov_b32_e32 v2, s4
	s_addc_u32 s5, 0, s5
	v_add_co_u32_e32 v2, vcc, s2, v2
	s_cmp_lg_u64 vcc, 0
	s_addc_u32 s2, s3, s5
	v_readfirstlane_b32 s5, v2
	s_mul_i32 s4, s0, s2
	s_mul_hi_u32 s6, s0, s5
	s_mul_hi_u32 s3, s0, s2
	s_add_u32 s4, s6, s4
	s_addc_u32 s3, 0, s3
	s_mul_hi_u32 s7, s1, s5
	s_mul_i32 s5, s1, s5
	s_add_u32 s4, s4, s5
	s_mul_hi_u32 s6, s1, s2
	s_addc_u32 s3, s3, s7
	s_addc_u32 s4, s6, 0
	s_mul_i32 s2, s1, s2
	s_add_u32 s2, s3, s2
	s_addc_u32 s3, 0, s4
	s_add_u32 s4, s2, 1
	s_addc_u32 s5, s3, 0
	s_add_u32 s6, s2, 2
	s_mul_i32 s8, s3, 14
	s_mul_hi_u32 s9, s2, 14
	s_addc_u32 s7, s3, 0
	s_add_i32 s9, s9, s8
	s_mul_i32 s8, s2, 14
	v_mov_b32_e32 v2, s8
	v_sub_co_u32_e32 v2, vcc, s0, v2
	s_cmp_lg_u64 vcc, 0
	s_subb_u32 s8, s1, s9
	v_subrev_co_u32_e32 v3, vcc, 14, v2
	s_cmp_lg_u64 vcc, 0
	s_subb_u32 s9, s8, 0
	v_readfirstlane_b32 s12, v3
	s_cmp_gt_u32 s12, 13
	s_cselect_b32 s12, -1, 0
	s_cmp_eq_u32 s9, 0
	s_cselect_b32 s9, s12, -1
	s_cmp_lg_u32 s9, 0
	s_cselect_b32 s4, s6, s4
	v_readfirstlane_b32 s6, v2
	s_cselect_b32 s5, s7, s5
	s_cmp_gt_u32 s6, 13
	s_cselect_b32 s6, -1, 0
	s_cmp_eq_u32 s8, 0
	s_cselect_b32 s6, s6, -1
	s_cmp_lg_u32 s6, 0
	v_mov_b32_e32 v1, 0
	s_cselect_b32 s3, s5, s3
	s_cselect_b32 s2, s4, s2
	v_cmp_eq_u64_e32 vcc, s[2:3], v[0:1]
	s_and_saveexec_b64 s[2:3], vcc
	s_cbranch_execz .LBB5116_125
; %bb.76:
	s_movk_i32 s2, 0xffcc
	v_mad_i32_i24 v2, v0, s2, v33
	v_mul_hi_u32_u24_e32 v1, 14, v0
	v_mov_b32_e32 v3, s1
	v_sub_co_u32_e32 v0, vcc, s0, v32
	v_subb_co_u32_e32 v1, vcc, v3, v1, vcc
	v_cmp_lt_i64_e32 vcc, 6, v[0:1]
	s_and_saveexec_b64 s[0:1], vcc
	s_xor_b64 s[0:1], exec, s[0:1]
	s_cbranch_execz .LBB5116_102
; %bb.77:
	v_cmp_lt_i64_e32 vcc, 9, v[0:1]
	s_and_saveexec_b64 s[2:3], vcc
	s_xor_b64 s[2:3], exec, s[2:3]
	s_cbranch_execz .LBB5116_91
; %bb.78:
	;; [unrolled: 5-line block ×4, first 2 shown]
	ds_read_b32 v0, v2 offset:6656
	v_mov_b32_e32 v1, 0
                                        ; implicit-def: $vgpr2
	s_waitcnt lgkmcnt(0)
	global_store_dword v1, v0, s[10:11]
.LBB5116_81:
	s_andn2_saveexec_b64 s[6:7], s[6:7]
	s_cbranch_execz .LBB5116_83
; %bb.82:
	ds_read_b32 v0, v2 offset:6144
	v_mov_b32_e32 v1, 0
	s_waitcnt lgkmcnt(0)
	global_store_dword v1, v0, s[10:11]
.LBB5116_83:
	s_or_b64 exec, exec, s[6:7]
                                        ; implicit-def: $vgpr2
                                        ; implicit-def: $vgpr0_vgpr1
.LBB5116_84:
	s_andn2_saveexec_b64 s[4:5], s[4:5]
	s_cbranch_execz .LBB5116_90
; %bb.85:
	v_cmp_lt_i64_e32 vcc, 10, v[0:1]
	s_and_saveexec_b64 s[6:7], vcc
	s_xor_b64 s[6:7], exec, s[6:7]
	s_cbranch_execz .LBB5116_87
; %bb.86:
	ds_read_b32 v0, v2 offset:5632
	v_mov_b32_e32 v1, 0
                                        ; implicit-def: $vgpr2
	s_waitcnt lgkmcnt(0)
	global_store_dword v1, v0, s[10:11]
.LBB5116_87:
	s_andn2_saveexec_b64 s[6:7], s[6:7]
	s_cbranch_execz .LBB5116_89
; %bb.88:
	ds_read_b32 v0, v2 offset:5120
	v_mov_b32_e32 v1, 0
	s_waitcnt lgkmcnt(0)
	global_store_dword v1, v0, s[10:11]
.LBB5116_89:
	s_or_b64 exec, exec, s[6:7]
.LBB5116_90:
	s_or_b64 exec, exec, s[4:5]
                                        ; implicit-def: $vgpr2
                                        ; implicit-def: $vgpr0_vgpr1
.LBB5116_91:
	s_andn2_saveexec_b64 s[2:3], s[2:3]
	s_cbranch_execz .LBB5116_101
; %bb.92:
	v_cmp_lt_i64_e32 vcc, 7, v[0:1]
	s_and_saveexec_b64 s[4:5], vcc
	s_xor_b64 s[4:5], exec, s[4:5]
	s_cbranch_execz .LBB5116_98
; %bb.93:
	v_cmp_lt_i64_e32 vcc, 8, v[0:1]
	s_and_saveexec_b64 s[6:7], vcc
	s_xor_b64 s[6:7], exec, s[6:7]
	s_cbranch_execz .LBB5116_95
; %bb.94:
	ds_read_b32 v0, v2 offset:4608
	v_mov_b32_e32 v1, 0
                                        ; implicit-def: $vgpr2
	s_waitcnt lgkmcnt(0)
	global_store_dword v1, v0, s[10:11]
.LBB5116_95:
	s_andn2_saveexec_b64 s[6:7], s[6:7]
	s_cbranch_execz .LBB5116_97
; %bb.96:
	ds_read_b32 v0, v2 offset:4096
	v_mov_b32_e32 v1, 0
	s_waitcnt lgkmcnt(0)
	global_store_dword v1, v0, s[10:11]
.LBB5116_97:
	s_or_b64 exec, exec, s[6:7]
                                        ; implicit-def: $vgpr2
.LBB5116_98:
	s_andn2_saveexec_b64 s[4:5], s[4:5]
	s_cbranch_execz .LBB5116_100
; %bb.99:
	ds_read_b32 v0, v2 offset:3584
	v_mov_b32_e32 v1, 0
	s_waitcnt lgkmcnt(0)
	global_store_dword v1, v0, s[10:11]
.LBB5116_100:
	s_or_b64 exec, exec, s[4:5]
.LBB5116_101:
	s_or_b64 exec, exec, s[2:3]
                                        ; implicit-def: $vgpr0_vgpr1
                                        ; implicit-def: $vgpr2
.LBB5116_102:
	s_andn2_saveexec_b64 s[0:1], s[0:1]
	s_cbranch_execz .LBB5116_125
; %bb.103:
	v_cmp_lt_i64_e32 vcc, 3, v[0:1]
	s_and_saveexec_b64 s[0:1], vcc
	s_xor_b64 s[0:1], exec, s[0:1]
	s_cbranch_execz .LBB5116_113
; %bb.104:
	v_cmp_lt_i64_e32 vcc, 4, v[0:1]
	s_and_saveexec_b64 s[2:3], vcc
	s_xor_b64 s[2:3], exec, s[2:3]
	;; [unrolled: 5-line block ×3, first 2 shown]
	s_cbranch_execz .LBB5116_107
; %bb.106:
	ds_read_b32 v0, v2 offset:3072
	v_mov_b32_e32 v1, 0
                                        ; implicit-def: $vgpr2
	s_waitcnt lgkmcnt(0)
	global_store_dword v1, v0, s[10:11]
.LBB5116_107:
	s_andn2_saveexec_b64 s[4:5], s[4:5]
	s_cbranch_execz .LBB5116_109
; %bb.108:
	ds_read_b32 v0, v2 offset:2560
	v_mov_b32_e32 v1, 0
	s_waitcnt lgkmcnt(0)
	global_store_dword v1, v0, s[10:11]
.LBB5116_109:
	s_or_b64 exec, exec, s[4:5]
                                        ; implicit-def: $vgpr2
.LBB5116_110:
	s_andn2_saveexec_b64 s[2:3], s[2:3]
	s_cbranch_execz .LBB5116_112
; %bb.111:
	ds_read_b32 v0, v2 offset:2048
	v_mov_b32_e32 v1, 0
	s_waitcnt lgkmcnt(0)
	global_store_dword v1, v0, s[10:11]
.LBB5116_112:
	s_or_b64 exec, exec, s[2:3]
                                        ; implicit-def: $vgpr0_vgpr1
                                        ; implicit-def: $vgpr2
.LBB5116_113:
	s_andn2_saveexec_b64 s[0:1], s[0:1]
	s_cbranch_execz .LBB5116_125
; %bb.114:
	v_cmp_lt_i64_e32 vcc, 1, v[0:1]
	s_and_saveexec_b64 s[0:1], vcc
	s_xor_b64 s[0:1], exec, s[0:1]
	s_cbranch_execz .LBB5116_120
; %bb.115:
	v_cmp_lt_i64_e32 vcc, 2, v[0:1]
	s_and_saveexec_b64 s[2:3], vcc
	s_xor_b64 s[2:3], exec, s[2:3]
	s_cbranch_execz .LBB5116_117
; %bb.116:
	ds_read_b32 v0, v2 offset:1536
	v_mov_b32_e32 v1, 0
                                        ; implicit-def: $vgpr2
	s_waitcnt lgkmcnt(0)
	global_store_dword v1, v0, s[10:11]
.LBB5116_117:
	s_andn2_saveexec_b64 s[2:3], s[2:3]
	s_cbranch_execz .LBB5116_119
; %bb.118:
	ds_read_b32 v0, v2 offset:1024
	v_mov_b32_e32 v1, 0
	s_waitcnt lgkmcnt(0)
	global_store_dword v1, v0, s[10:11]
.LBB5116_119:
	s_or_b64 exec, exec, s[2:3]
                                        ; implicit-def: $vgpr2
                                        ; implicit-def: $vgpr0_vgpr1
.LBB5116_120:
	s_andn2_saveexec_b64 s[0:1], s[0:1]
	s_cbranch_execz .LBB5116_125
; %bb.121:
	v_cmp_ne_u64_e32 vcc, 1, v[0:1]
	s_and_saveexec_b64 s[0:1], vcc
	s_xor_b64 s[0:1], exec, s[0:1]
	s_cbranch_execz .LBB5116_123
; %bb.122:
	ds_read_b32 v0, v2
	v_mov_b32_e32 v1, 0
                                        ; implicit-def: $vgpr2
	s_waitcnt lgkmcnt(0)
	global_store_dword v1, v0, s[10:11]
.LBB5116_123:
	s_andn2_saveexec_b64 s[0:1], s[0:1]
	s_cbranch_execz .LBB5116_125
; %bb.124:
	ds_read_b32 v0, v2 offset:512
	v_mov_b32_e32 v1, 0
	s_waitcnt lgkmcnt(0)
	global_store_dword v1, v0, s[10:11]
.LBB5116_125:
	s_endpgm
	.section	.rodata,"a",@progbits
	.p2align	6, 0x0
	.amdhsa_kernel _ZN7rocprim17ROCPRIM_400000_NS6detail17trampoline_kernelINS0_14default_configENS1_20scan_config_selectorIfEEZZNS1_9scan_implILNS1_25lookback_scan_determinismE0ELb1ELb1ES3_N6thrust23THRUST_200600_302600_NS6detail15normal_iteratorINS9_10device_ptrIfEEEENS9_16discard_iteratorINS9_11use_defaultEEEfNS9_4plusIvEEfEEDaPvRmT3_T4_T5_mT6_P12ihipStream_tbENKUlT_T0_E_clISt17integral_constantIbLb1EESW_IbLb0EEEEDaSS_ST_EUlSS_E_NS1_11comp_targetILNS1_3genE4ELNS1_11target_archE910ELNS1_3gpuE8ELNS1_3repE0EEENS1_30default_config_static_selectorELNS0_4arch9wavefront6targetE1EEEvT1_
		.amdhsa_group_segment_fixed_size 7168
		.amdhsa_private_segment_fixed_size 0
		.amdhsa_kernarg_size 104
		.amdhsa_user_sgpr_count 6
		.amdhsa_user_sgpr_private_segment_buffer 1
		.amdhsa_user_sgpr_dispatch_ptr 0
		.amdhsa_user_sgpr_queue_ptr 0
		.amdhsa_user_sgpr_kernarg_segment_ptr 1
		.amdhsa_user_sgpr_dispatch_id 0
		.amdhsa_user_sgpr_flat_scratch_init 0
		.amdhsa_user_sgpr_kernarg_preload_length 0
		.amdhsa_user_sgpr_kernarg_preload_offset 0
		.amdhsa_user_sgpr_private_segment_size 0
		.amdhsa_uses_dynamic_stack 0
		.amdhsa_system_sgpr_private_segment_wavefront_offset 0
		.amdhsa_system_sgpr_workgroup_id_x 1
		.amdhsa_system_sgpr_workgroup_id_y 0
		.amdhsa_system_sgpr_workgroup_id_z 0
		.amdhsa_system_sgpr_workgroup_info 0
		.amdhsa_system_vgpr_workitem_id 0
		.amdhsa_next_free_vgpr 48
		.amdhsa_next_free_sgpr 25
		.amdhsa_accum_offset 48
		.amdhsa_reserve_vcc 1
		.amdhsa_reserve_flat_scratch 0
		.amdhsa_float_round_mode_32 0
		.amdhsa_float_round_mode_16_64 0
		.amdhsa_float_denorm_mode_32 3
		.amdhsa_float_denorm_mode_16_64 3
		.amdhsa_dx10_clamp 1
		.amdhsa_ieee_mode 1
		.amdhsa_fp16_overflow 0
		.amdhsa_tg_split 0
		.amdhsa_exception_fp_ieee_invalid_op 0
		.amdhsa_exception_fp_denorm_src 0
		.amdhsa_exception_fp_ieee_div_zero 0
		.amdhsa_exception_fp_ieee_overflow 0
		.amdhsa_exception_fp_ieee_underflow 0
		.amdhsa_exception_fp_ieee_inexact 0
		.amdhsa_exception_int_div_zero 0
	.end_amdhsa_kernel
	.section	.text._ZN7rocprim17ROCPRIM_400000_NS6detail17trampoline_kernelINS0_14default_configENS1_20scan_config_selectorIfEEZZNS1_9scan_implILNS1_25lookback_scan_determinismE0ELb1ELb1ES3_N6thrust23THRUST_200600_302600_NS6detail15normal_iteratorINS9_10device_ptrIfEEEENS9_16discard_iteratorINS9_11use_defaultEEEfNS9_4plusIvEEfEEDaPvRmT3_T4_T5_mT6_P12ihipStream_tbENKUlT_T0_E_clISt17integral_constantIbLb1EESW_IbLb0EEEEDaSS_ST_EUlSS_E_NS1_11comp_targetILNS1_3genE4ELNS1_11target_archE910ELNS1_3gpuE8ELNS1_3repE0EEENS1_30default_config_static_selectorELNS0_4arch9wavefront6targetE1EEEvT1_,"axG",@progbits,_ZN7rocprim17ROCPRIM_400000_NS6detail17trampoline_kernelINS0_14default_configENS1_20scan_config_selectorIfEEZZNS1_9scan_implILNS1_25lookback_scan_determinismE0ELb1ELb1ES3_N6thrust23THRUST_200600_302600_NS6detail15normal_iteratorINS9_10device_ptrIfEEEENS9_16discard_iteratorINS9_11use_defaultEEEfNS9_4plusIvEEfEEDaPvRmT3_T4_T5_mT6_P12ihipStream_tbENKUlT_T0_E_clISt17integral_constantIbLb1EESW_IbLb0EEEEDaSS_ST_EUlSS_E_NS1_11comp_targetILNS1_3genE4ELNS1_11target_archE910ELNS1_3gpuE8ELNS1_3repE0EEENS1_30default_config_static_selectorELNS0_4arch9wavefront6targetE1EEEvT1_,comdat
.Lfunc_end5116:
	.size	_ZN7rocprim17ROCPRIM_400000_NS6detail17trampoline_kernelINS0_14default_configENS1_20scan_config_selectorIfEEZZNS1_9scan_implILNS1_25lookback_scan_determinismE0ELb1ELb1ES3_N6thrust23THRUST_200600_302600_NS6detail15normal_iteratorINS9_10device_ptrIfEEEENS9_16discard_iteratorINS9_11use_defaultEEEfNS9_4plusIvEEfEEDaPvRmT3_T4_T5_mT6_P12ihipStream_tbENKUlT_T0_E_clISt17integral_constantIbLb1EESW_IbLb0EEEEDaSS_ST_EUlSS_E_NS1_11comp_targetILNS1_3genE4ELNS1_11target_archE910ELNS1_3gpuE8ELNS1_3repE0EEENS1_30default_config_static_selectorELNS0_4arch9wavefront6targetE1EEEvT1_, .Lfunc_end5116-_ZN7rocprim17ROCPRIM_400000_NS6detail17trampoline_kernelINS0_14default_configENS1_20scan_config_selectorIfEEZZNS1_9scan_implILNS1_25lookback_scan_determinismE0ELb1ELb1ES3_N6thrust23THRUST_200600_302600_NS6detail15normal_iteratorINS9_10device_ptrIfEEEENS9_16discard_iteratorINS9_11use_defaultEEEfNS9_4plusIvEEfEEDaPvRmT3_T4_T5_mT6_P12ihipStream_tbENKUlT_T0_E_clISt17integral_constantIbLb1EESW_IbLb0EEEEDaSS_ST_EUlSS_E_NS1_11comp_targetILNS1_3genE4ELNS1_11target_archE910ELNS1_3gpuE8ELNS1_3repE0EEENS1_30default_config_static_selectorELNS0_4arch9wavefront6targetE1EEEvT1_
                                        ; -- End function
	.section	.AMDGPU.csdata,"",@progbits
; Kernel info:
; codeLenInByte = 4904
; NumSgprs: 29
; NumVgprs: 48
; NumAgprs: 0
; TotalNumVgprs: 48
; ScratchSize: 0
; MemoryBound: 0
; FloatMode: 240
; IeeeMode: 1
; LDSByteSize: 7168 bytes/workgroup (compile time only)
; SGPRBlocks: 3
; VGPRBlocks: 5
; NumSGPRsForWavesPerEU: 29
; NumVGPRsForWavesPerEU: 48
; AccumOffset: 48
; Occupancy: 5
; WaveLimiterHint : 1
; COMPUTE_PGM_RSRC2:SCRATCH_EN: 0
; COMPUTE_PGM_RSRC2:USER_SGPR: 6
; COMPUTE_PGM_RSRC2:TRAP_HANDLER: 0
; COMPUTE_PGM_RSRC2:TGID_X_EN: 1
; COMPUTE_PGM_RSRC2:TGID_Y_EN: 0
; COMPUTE_PGM_RSRC2:TGID_Z_EN: 0
; COMPUTE_PGM_RSRC2:TIDIG_COMP_CNT: 0
; COMPUTE_PGM_RSRC3_GFX90A:ACCUM_OFFSET: 11
; COMPUTE_PGM_RSRC3_GFX90A:TG_SPLIT: 0
	.section	.text._ZN7rocprim17ROCPRIM_400000_NS6detail17trampoline_kernelINS0_14default_configENS1_20scan_config_selectorIfEEZZNS1_9scan_implILNS1_25lookback_scan_determinismE0ELb1ELb1ES3_N6thrust23THRUST_200600_302600_NS6detail15normal_iteratorINS9_10device_ptrIfEEEENS9_16discard_iteratorINS9_11use_defaultEEEfNS9_4plusIvEEfEEDaPvRmT3_T4_T5_mT6_P12ihipStream_tbENKUlT_T0_E_clISt17integral_constantIbLb1EESW_IbLb0EEEEDaSS_ST_EUlSS_E_NS1_11comp_targetILNS1_3genE3ELNS1_11target_archE908ELNS1_3gpuE7ELNS1_3repE0EEENS1_30default_config_static_selectorELNS0_4arch9wavefront6targetE1EEEvT1_,"axG",@progbits,_ZN7rocprim17ROCPRIM_400000_NS6detail17trampoline_kernelINS0_14default_configENS1_20scan_config_selectorIfEEZZNS1_9scan_implILNS1_25lookback_scan_determinismE0ELb1ELb1ES3_N6thrust23THRUST_200600_302600_NS6detail15normal_iteratorINS9_10device_ptrIfEEEENS9_16discard_iteratorINS9_11use_defaultEEEfNS9_4plusIvEEfEEDaPvRmT3_T4_T5_mT6_P12ihipStream_tbENKUlT_T0_E_clISt17integral_constantIbLb1EESW_IbLb0EEEEDaSS_ST_EUlSS_E_NS1_11comp_targetILNS1_3genE3ELNS1_11target_archE908ELNS1_3gpuE7ELNS1_3repE0EEENS1_30default_config_static_selectorELNS0_4arch9wavefront6targetE1EEEvT1_,comdat
	.protected	_ZN7rocprim17ROCPRIM_400000_NS6detail17trampoline_kernelINS0_14default_configENS1_20scan_config_selectorIfEEZZNS1_9scan_implILNS1_25lookback_scan_determinismE0ELb1ELb1ES3_N6thrust23THRUST_200600_302600_NS6detail15normal_iteratorINS9_10device_ptrIfEEEENS9_16discard_iteratorINS9_11use_defaultEEEfNS9_4plusIvEEfEEDaPvRmT3_T4_T5_mT6_P12ihipStream_tbENKUlT_T0_E_clISt17integral_constantIbLb1EESW_IbLb0EEEEDaSS_ST_EUlSS_E_NS1_11comp_targetILNS1_3genE3ELNS1_11target_archE908ELNS1_3gpuE7ELNS1_3repE0EEENS1_30default_config_static_selectorELNS0_4arch9wavefront6targetE1EEEvT1_ ; -- Begin function _ZN7rocprim17ROCPRIM_400000_NS6detail17trampoline_kernelINS0_14default_configENS1_20scan_config_selectorIfEEZZNS1_9scan_implILNS1_25lookback_scan_determinismE0ELb1ELb1ES3_N6thrust23THRUST_200600_302600_NS6detail15normal_iteratorINS9_10device_ptrIfEEEENS9_16discard_iteratorINS9_11use_defaultEEEfNS9_4plusIvEEfEEDaPvRmT3_T4_T5_mT6_P12ihipStream_tbENKUlT_T0_E_clISt17integral_constantIbLb1EESW_IbLb0EEEEDaSS_ST_EUlSS_E_NS1_11comp_targetILNS1_3genE3ELNS1_11target_archE908ELNS1_3gpuE7ELNS1_3repE0EEENS1_30default_config_static_selectorELNS0_4arch9wavefront6targetE1EEEvT1_
	.globl	_ZN7rocprim17ROCPRIM_400000_NS6detail17trampoline_kernelINS0_14default_configENS1_20scan_config_selectorIfEEZZNS1_9scan_implILNS1_25lookback_scan_determinismE0ELb1ELb1ES3_N6thrust23THRUST_200600_302600_NS6detail15normal_iteratorINS9_10device_ptrIfEEEENS9_16discard_iteratorINS9_11use_defaultEEEfNS9_4plusIvEEfEEDaPvRmT3_T4_T5_mT6_P12ihipStream_tbENKUlT_T0_E_clISt17integral_constantIbLb1EESW_IbLb0EEEEDaSS_ST_EUlSS_E_NS1_11comp_targetILNS1_3genE3ELNS1_11target_archE908ELNS1_3gpuE7ELNS1_3repE0EEENS1_30default_config_static_selectorELNS0_4arch9wavefront6targetE1EEEvT1_
	.p2align	8
	.type	_ZN7rocprim17ROCPRIM_400000_NS6detail17trampoline_kernelINS0_14default_configENS1_20scan_config_selectorIfEEZZNS1_9scan_implILNS1_25lookback_scan_determinismE0ELb1ELb1ES3_N6thrust23THRUST_200600_302600_NS6detail15normal_iteratorINS9_10device_ptrIfEEEENS9_16discard_iteratorINS9_11use_defaultEEEfNS9_4plusIvEEfEEDaPvRmT3_T4_T5_mT6_P12ihipStream_tbENKUlT_T0_E_clISt17integral_constantIbLb1EESW_IbLb0EEEEDaSS_ST_EUlSS_E_NS1_11comp_targetILNS1_3genE3ELNS1_11target_archE908ELNS1_3gpuE7ELNS1_3repE0EEENS1_30default_config_static_selectorELNS0_4arch9wavefront6targetE1EEEvT1_,@function
_ZN7rocprim17ROCPRIM_400000_NS6detail17trampoline_kernelINS0_14default_configENS1_20scan_config_selectorIfEEZZNS1_9scan_implILNS1_25lookback_scan_determinismE0ELb1ELb1ES3_N6thrust23THRUST_200600_302600_NS6detail15normal_iteratorINS9_10device_ptrIfEEEENS9_16discard_iteratorINS9_11use_defaultEEEfNS9_4plusIvEEfEEDaPvRmT3_T4_T5_mT6_P12ihipStream_tbENKUlT_T0_E_clISt17integral_constantIbLb1EESW_IbLb0EEEEDaSS_ST_EUlSS_E_NS1_11comp_targetILNS1_3genE3ELNS1_11target_archE908ELNS1_3gpuE7ELNS1_3repE0EEENS1_30default_config_static_selectorELNS0_4arch9wavefront6targetE1EEEvT1_: ; @_ZN7rocprim17ROCPRIM_400000_NS6detail17trampoline_kernelINS0_14default_configENS1_20scan_config_selectorIfEEZZNS1_9scan_implILNS1_25lookback_scan_determinismE0ELb1ELb1ES3_N6thrust23THRUST_200600_302600_NS6detail15normal_iteratorINS9_10device_ptrIfEEEENS9_16discard_iteratorINS9_11use_defaultEEEfNS9_4plusIvEEfEEDaPvRmT3_T4_T5_mT6_P12ihipStream_tbENKUlT_T0_E_clISt17integral_constantIbLb1EESW_IbLb0EEEEDaSS_ST_EUlSS_E_NS1_11comp_targetILNS1_3genE3ELNS1_11target_archE908ELNS1_3gpuE7ELNS1_3repE0EEENS1_30default_config_static_selectorELNS0_4arch9wavefront6targetE1EEEvT1_
; %bb.0:
	.section	.rodata,"a",@progbits
	.p2align	6, 0x0
	.amdhsa_kernel _ZN7rocprim17ROCPRIM_400000_NS6detail17trampoline_kernelINS0_14default_configENS1_20scan_config_selectorIfEEZZNS1_9scan_implILNS1_25lookback_scan_determinismE0ELb1ELb1ES3_N6thrust23THRUST_200600_302600_NS6detail15normal_iteratorINS9_10device_ptrIfEEEENS9_16discard_iteratorINS9_11use_defaultEEEfNS9_4plusIvEEfEEDaPvRmT3_T4_T5_mT6_P12ihipStream_tbENKUlT_T0_E_clISt17integral_constantIbLb1EESW_IbLb0EEEEDaSS_ST_EUlSS_E_NS1_11comp_targetILNS1_3genE3ELNS1_11target_archE908ELNS1_3gpuE7ELNS1_3repE0EEENS1_30default_config_static_selectorELNS0_4arch9wavefront6targetE1EEEvT1_
		.amdhsa_group_segment_fixed_size 0
		.amdhsa_private_segment_fixed_size 0
		.amdhsa_kernarg_size 104
		.amdhsa_user_sgpr_count 6
		.amdhsa_user_sgpr_private_segment_buffer 1
		.amdhsa_user_sgpr_dispatch_ptr 0
		.amdhsa_user_sgpr_queue_ptr 0
		.amdhsa_user_sgpr_kernarg_segment_ptr 1
		.amdhsa_user_sgpr_dispatch_id 0
		.amdhsa_user_sgpr_flat_scratch_init 0
		.amdhsa_user_sgpr_kernarg_preload_length 0
		.amdhsa_user_sgpr_kernarg_preload_offset 0
		.amdhsa_user_sgpr_private_segment_size 0
		.amdhsa_uses_dynamic_stack 0
		.amdhsa_system_sgpr_private_segment_wavefront_offset 0
		.amdhsa_system_sgpr_workgroup_id_x 1
		.amdhsa_system_sgpr_workgroup_id_y 0
		.amdhsa_system_sgpr_workgroup_id_z 0
		.amdhsa_system_sgpr_workgroup_info 0
		.amdhsa_system_vgpr_workitem_id 0
		.amdhsa_next_free_vgpr 1
		.amdhsa_next_free_sgpr 0
		.amdhsa_accum_offset 4
		.amdhsa_reserve_vcc 0
		.amdhsa_reserve_flat_scratch 0
		.amdhsa_float_round_mode_32 0
		.amdhsa_float_round_mode_16_64 0
		.amdhsa_float_denorm_mode_32 3
		.amdhsa_float_denorm_mode_16_64 3
		.amdhsa_dx10_clamp 1
		.amdhsa_ieee_mode 1
		.amdhsa_fp16_overflow 0
		.amdhsa_tg_split 0
		.amdhsa_exception_fp_ieee_invalid_op 0
		.amdhsa_exception_fp_denorm_src 0
		.amdhsa_exception_fp_ieee_div_zero 0
		.amdhsa_exception_fp_ieee_overflow 0
		.amdhsa_exception_fp_ieee_underflow 0
		.amdhsa_exception_fp_ieee_inexact 0
		.amdhsa_exception_int_div_zero 0
	.end_amdhsa_kernel
	.section	.text._ZN7rocprim17ROCPRIM_400000_NS6detail17trampoline_kernelINS0_14default_configENS1_20scan_config_selectorIfEEZZNS1_9scan_implILNS1_25lookback_scan_determinismE0ELb1ELb1ES3_N6thrust23THRUST_200600_302600_NS6detail15normal_iteratorINS9_10device_ptrIfEEEENS9_16discard_iteratorINS9_11use_defaultEEEfNS9_4plusIvEEfEEDaPvRmT3_T4_T5_mT6_P12ihipStream_tbENKUlT_T0_E_clISt17integral_constantIbLb1EESW_IbLb0EEEEDaSS_ST_EUlSS_E_NS1_11comp_targetILNS1_3genE3ELNS1_11target_archE908ELNS1_3gpuE7ELNS1_3repE0EEENS1_30default_config_static_selectorELNS0_4arch9wavefront6targetE1EEEvT1_,"axG",@progbits,_ZN7rocprim17ROCPRIM_400000_NS6detail17trampoline_kernelINS0_14default_configENS1_20scan_config_selectorIfEEZZNS1_9scan_implILNS1_25lookback_scan_determinismE0ELb1ELb1ES3_N6thrust23THRUST_200600_302600_NS6detail15normal_iteratorINS9_10device_ptrIfEEEENS9_16discard_iteratorINS9_11use_defaultEEEfNS9_4plusIvEEfEEDaPvRmT3_T4_T5_mT6_P12ihipStream_tbENKUlT_T0_E_clISt17integral_constantIbLb1EESW_IbLb0EEEEDaSS_ST_EUlSS_E_NS1_11comp_targetILNS1_3genE3ELNS1_11target_archE908ELNS1_3gpuE7ELNS1_3repE0EEENS1_30default_config_static_selectorELNS0_4arch9wavefront6targetE1EEEvT1_,comdat
.Lfunc_end5117:
	.size	_ZN7rocprim17ROCPRIM_400000_NS6detail17trampoline_kernelINS0_14default_configENS1_20scan_config_selectorIfEEZZNS1_9scan_implILNS1_25lookback_scan_determinismE0ELb1ELb1ES3_N6thrust23THRUST_200600_302600_NS6detail15normal_iteratorINS9_10device_ptrIfEEEENS9_16discard_iteratorINS9_11use_defaultEEEfNS9_4plusIvEEfEEDaPvRmT3_T4_T5_mT6_P12ihipStream_tbENKUlT_T0_E_clISt17integral_constantIbLb1EESW_IbLb0EEEEDaSS_ST_EUlSS_E_NS1_11comp_targetILNS1_3genE3ELNS1_11target_archE908ELNS1_3gpuE7ELNS1_3repE0EEENS1_30default_config_static_selectorELNS0_4arch9wavefront6targetE1EEEvT1_, .Lfunc_end5117-_ZN7rocprim17ROCPRIM_400000_NS6detail17trampoline_kernelINS0_14default_configENS1_20scan_config_selectorIfEEZZNS1_9scan_implILNS1_25lookback_scan_determinismE0ELb1ELb1ES3_N6thrust23THRUST_200600_302600_NS6detail15normal_iteratorINS9_10device_ptrIfEEEENS9_16discard_iteratorINS9_11use_defaultEEEfNS9_4plusIvEEfEEDaPvRmT3_T4_T5_mT6_P12ihipStream_tbENKUlT_T0_E_clISt17integral_constantIbLb1EESW_IbLb0EEEEDaSS_ST_EUlSS_E_NS1_11comp_targetILNS1_3genE3ELNS1_11target_archE908ELNS1_3gpuE7ELNS1_3repE0EEENS1_30default_config_static_selectorELNS0_4arch9wavefront6targetE1EEEvT1_
                                        ; -- End function
	.section	.AMDGPU.csdata,"",@progbits
; Kernel info:
; codeLenInByte = 0
; NumSgprs: 4
; NumVgprs: 0
; NumAgprs: 0
; TotalNumVgprs: 0
; ScratchSize: 0
; MemoryBound: 0
; FloatMode: 240
; IeeeMode: 1
; LDSByteSize: 0 bytes/workgroup (compile time only)
; SGPRBlocks: 0
; VGPRBlocks: 0
; NumSGPRsForWavesPerEU: 4
; NumVGPRsForWavesPerEU: 1
; AccumOffset: 4
; Occupancy: 8
; WaveLimiterHint : 0
; COMPUTE_PGM_RSRC2:SCRATCH_EN: 0
; COMPUTE_PGM_RSRC2:USER_SGPR: 6
; COMPUTE_PGM_RSRC2:TRAP_HANDLER: 0
; COMPUTE_PGM_RSRC2:TGID_X_EN: 1
; COMPUTE_PGM_RSRC2:TGID_Y_EN: 0
; COMPUTE_PGM_RSRC2:TGID_Z_EN: 0
; COMPUTE_PGM_RSRC2:TIDIG_COMP_CNT: 0
; COMPUTE_PGM_RSRC3_GFX90A:ACCUM_OFFSET: 0
; COMPUTE_PGM_RSRC3_GFX90A:TG_SPLIT: 0
	.section	.text._ZN7rocprim17ROCPRIM_400000_NS6detail17trampoline_kernelINS0_14default_configENS1_20scan_config_selectorIfEEZZNS1_9scan_implILNS1_25lookback_scan_determinismE0ELb1ELb1ES3_N6thrust23THRUST_200600_302600_NS6detail15normal_iteratorINS9_10device_ptrIfEEEENS9_16discard_iteratorINS9_11use_defaultEEEfNS9_4plusIvEEfEEDaPvRmT3_T4_T5_mT6_P12ihipStream_tbENKUlT_T0_E_clISt17integral_constantIbLb1EESW_IbLb0EEEEDaSS_ST_EUlSS_E_NS1_11comp_targetILNS1_3genE2ELNS1_11target_archE906ELNS1_3gpuE6ELNS1_3repE0EEENS1_30default_config_static_selectorELNS0_4arch9wavefront6targetE1EEEvT1_,"axG",@progbits,_ZN7rocprim17ROCPRIM_400000_NS6detail17trampoline_kernelINS0_14default_configENS1_20scan_config_selectorIfEEZZNS1_9scan_implILNS1_25lookback_scan_determinismE0ELb1ELb1ES3_N6thrust23THRUST_200600_302600_NS6detail15normal_iteratorINS9_10device_ptrIfEEEENS9_16discard_iteratorINS9_11use_defaultEEEfNS9_4plusIvEEfEEDaPvRmT3_T4_T5_mT6_P12ihipStream_tbENKUlT_T0_E_clISt17integral_constantIbLb1EESW_IbLb0EEEEDaSS_ST_EUlSS_E_NS1_11comp_targetILNS1_3genE2ELNS1_11target_archE906ELNS1_3gpuE6ELNS1_3repE0EEENS1_30default_config_static_selectorELNS0_4arch9wavefront6targetE1EEEvT1_,comdat
	.protected	_ZN7rocprim17ROCPRIM_400000_NS6detail17trampoline_kernelINS0_14default_configENS1_20scan_config_selectorIfEEZZNS1_9scan_implILNS1_25lookback_scan_determinismE0ELb1ELb1ES3_N6thrust23THRUST_200600_302600_NS6detail15normal_iteratorINS9_10device_ptrIfEEEENS9_16discard_iteratorINS9_11use_defaultEEEfNS9_4plusIvEEfEEDaPvRmT3_T4_T5_mT6_P12ihipStream_tbENKUlT_T0_E_clISt17integral_constantIbLb1EESW_IbLb0EEEEDaSS_ST_EUlSS_E_NS1_11comp_targetILNS1_3genE2ELNS1_11target_archE906ELNS1_3gpuE6ELNS1_3repE0EEENS1_30default_config_static_selectorELNS0_4arch9wavefront6targetE1EEEvT1_ ; -- Begin function _ZN7rocprim17ROCPRIM_400000_NS6detail17trampoline_kernelINS0_14default_configENS1_20scan_config_selectorIfEEZZNS1_9scan_implILNS1_25lookback_scan_determinismE0ELb1ELb1ES3_N6thrust23THRUST_200600_302600_NS6detail15normal_iteratorINS9_10device_ptrIfEEEENS9_16discard_iteratorINS9_11use_defaultEEEfNS9_4plusIvEEfEEDaPvRmT3_T4_T5_mT6_P12ihipStream_tbENKUlT_T0_E_clISt17integral_constantIbLb1EESW_IbLb0EEEEDaSS_ST_EUlSS_E_NS1_11comp_targetILNS1_3genE2ELNS1_11target_archE906ELNS1_3gpuE6ELNS1_3repE0EEENS1_30default_config_static_selectorELNS0_4arch9wavefront6targetE1EEEvT1_
	.globl	_ZN7rocprim17ROCPRIM_400000_NS6detail17trampoline_kernelINS0_14default_configENS1_20scan_config_selectorIfEEZZNS1_9scan_implILNS1_25lookback_scan_determinismE0ELb1ELb1ES3_N6thrust23THRUST_200600_302600_NS6detail15normal_iteratorINS9_10device_ptrIfEEEENS9_16discard_iteratorINS9_11use_defaultEEEfNS9_4plusIvEEfEEDaPvRmT3_T4_T5_mT6_P12ihipStream_tbENKUlT_T0_E_clISt17integral_constantIbLb1EESW_IbLb0EEEEDaSS_ST_EUlSS_E_NS1_11comp_targetILNS1_3genE2ELNS1_11target_archE906ELNS1_3gpuE6ELNS1_3repE0EEENS1_30default_config_static_selectorELNS0_4arch9wavefront6targetE1EEEvT1_
	.p2align	8
	.type	_ZN7rocprim17ROCPRIM_400000_NS6detail17trampoline_kernelINS0_14default_configENS1_20scan_config_selectorIfEEZZNS1_9scan_implILNS1_25lookback_scan_determinismE0ELb1ELb1ES3_N6thrust23THRUST_200600_302600_NS6detail15normal_iteratorINS9_10device_ptrIfEEEENS9_16discard_iteratorINS9_11use_defaultEEEfNS9_4plusIvEEfEEDaPvRmT3_T4_T5_mT6_P12ihipStream_tbENKUlT_T0_E_clISt17integral_constantIbLb1EESW_IbLb0EEEEDaSS_ST_EUlSS_E_NS1_11comp_targetILNS1_3genE2ELNS1_11target_archE906ELNS1_3gpuE6ELNS1_3repE0EEENS1_30default_config_static_selectorELNS0_4arch9wavefront6targetE1EEEvT1_,@function
_ZN7rocprim17ROCPRIM_400000_NS6detail17trampoline_kernelINS0_14default_configENS1_20scan_config_selectorIfEEZZNS1_9scan_implILNS1_25lookback_scan_determinismE0ELb1ELb1ES3_N6thrust23THRUST_200600_302600_NS6detail15normal_iteratorINS9_10device_ptrIfEEEENS9_16discard_iteratorINS9_11use_defaultEEEfNS9_4plusIvEEfEEDaPvRmT3_T4_T5_mT6_P12ihipStream_tbENKUlT_T0_E_clISt17integral_constantIbLb1EESW_IbLb0EEEEDaSS_ST_EUlSS_E_NS1_11comp_targetILNS1_3genE2ELNS1_11target_archE906ELNS1_3gpuE6ELNS1_3repE0EEENS1_30default_config_static_selectorELNS0_4arch9wavefront6targetE1EEEvT1_: ; @_ZN7rocprim17ROCPRIM_400000_NS6detail17trampoline_kernelINS0_14default_configENS1_20scan_config_selectorIfEEZZNS1_9scan_implILNS1_25lookback_scan_determinismE0ELb1ELb1ES3_N6thrust23THRUST_200600_302600_NS6detail15normal_iteratorINS9_10device_ptrIfEEEENS9_16discard_iteratorINS9_11use_defaultEEEfNS9_4plusIvEEfEEDaPvRmT3_T4_T5_mT6_P12ihipStream_tbENKUlT_T0_E_clISt17integral_constantIbLb1EESW_IbLb0EEEEDaSS_ST_EUlSS_E_NS1_11comp_targetILNS1_3genE2ELNS1_11target_archE906ELNS1_3gpuE6ELNS1_3repE0EEENS1_30default_config_static_selectorELNS0_4arch9wavefront6targetE1EEEvT1_
; %bb.0:
	.section	.rodata,"a",@progbits
	.p2align	6, 0x0
	.amdhsa_kernel _ZN7rocprim17ROCPRIM_400000_NS6detail17trampoline_kernelINS0_14default_configENS1_20scan_config_selectorIfEEZZNS1_9scan_implILNS1_25lookback_scan_determinismE0ELb1ELb1ES3_N6thrust23THRUST_200600_302600_NS6detail15normal_iteratorINS9_10device_ptrIfEEEENS9_16discard_iteratorINS9_11use_defaultEEEfNS9_4plusIvEEfEEDaPvRmT3_T4_T5_mT6_P12ihipStream_tbENKUlT_T0_E_clISt17integral_constantIbLb1EESW_IbLb0EEEEDaSS_ST_EUlSS_E_NS1_11comp_targetILNS1_3genE2ELNS1_11target_archE906ELNS1_3gpuE6ELNS1_3repE0EEENS1_30default_config_static_selectorELNS0_4arch9wavefront6targetE1EEEvT1_
		.amdhsa_group_segment_fixed_size 0
		.amdhsa_private_segment_fixed_size 0
		.amdhsa_kernarg_size 104
		.amdhsa_user_sgpr_count 6
		.amdhsa_user_sgpr_private_segment_buffer 1
		.amdhsa_user_sgpr_dispatch_ptr 0
		.amdhsa_user_sgpr_queue_ptr 0
		.amdhsa_user_sgpr_kernarg_segment_ptr 1
		.amdhsa_user_sgpr_dispatch_id 0
		.amdhsa_user_sgpr_flat_scratch_init 0
		.amdhsa_user_sgpr_kernarg_preload_length 0
		.amdhsa_user_sgpr_kernarg_preload_offset 0
		.amdhsa_user_sgpr_private_segment_size 0
		.amdhsa_uses_dynamic_stack 0
		.amdhsa_system_sgpr_private_segment_wavefront_offset 0
		.amdhsa_system_sgpr_workgroup_id_x 1
		.amdhsa_system_sgpr_workgroup_id_y 0
		.amdhsa_system_sgpr_workgroup_id_z 0
		.amdhsa_system_sgpr_workgroup_info 0
		.amdhsa_system_vgpr_workitem_id 0
		.amdhsa_next_free_vgpr 1
		.amdhsa_next_free_sgpr 0
		.amdhsa_accum_offset 4
		.amdhsa_reserve_vcc 0
		.amdhsa_reserve_flat_scratch 0
		.amdhsa_float_round_mode_32 0
		.amdhsa_float_round_mode_16_64 0
		.amdhsa_float_denorm_mode_32 3
		.amdhsa_float_denorm_mode_16_64 3
		.amdhsa_dx10_clamp 1
		.amdhsa_ieee_mode 1
		.amdhsa_fp16_overflow 0
		.amdhsa_tg_split 0
		.amdhsa_exception_fp_ieee_invalid_op 0
		.amdhsa_exception_fp_denorm_src 0
		.amdhsa_exception_fp_ieee_div_zero 0
		.amdhsa_exception_fp_ieee_overflow 0
		.amdhsa_exception_fp_ieee_underflow 0
		.amdhsa_exception_fp_ieee_inexact 0
		.amdhsa_exception_int_div_zero 0
	.end_amdhsa_kernel
	.section	.text._ZN7rocprim17ROCPRIM_400000_NS6detail17trampoline_kernelINS0_14default_configENS1_20scan_config_selectorIfEEZZNS1_9scan_implILNS1_25lookback_scan_determinismE0ELb1ELb1ES3_N6thrust23THRUST_200600_302600_NS6detail15normal_iteratorINS9_10device_ptrIfEEEENS9_16discard_iteratorINS9_11use_defaultEEEfNS9_4plusIvEEfEEDaPvRmT3_T4_T5_mT6_P12ihipStream_tbENKUlT_T0_E_clISt17integral_constantIbLb1EESW_IbLb0EEEEDaSS_ST_EUlSS_E_NS1_11comp_targetILNS1_3genE2ELNS1_11target_archE906ELNS1_3gpuE6ELNS1_3repE0EEENS1_30default_config_static_selectorELNS0_4arch9wavefront6targetE1EEEvT1_,"axG",@progbits,_ZN7rocprim17ROCPRIM_400000_NS6detail17trampoline_kernelINS0_14default_configENS1_20scan_config_selectorIfEEZZNS1_9scan_implILNS1_25lookback_scan_determinismE0ELb1ELb1ES3_N6thrust23THRUST_200600_302600_NS6detail15normal_iteratorINS9_10device_ptrIfEEEENS9_16discard_iteratorINS9_11use_defaultEEEfNS9_4plusIvEEfEEDaPvRmT3_T4_T5_mT6_P12ihipStream_tbENKUlT_T0_E_clISt17integral_constantIbLb1EESW_IbLb0EEEEDaSS_ST_EUlSS_E_NS1_11comp_targetILNS1_3genE2ELNS1_11target_archE906ELNS1_3gpuE6ELNS1_3repE0EEENS1_30default_config_static_selectorELNS0_4arch9wavefront6targetE1EEEvT1_,comdat
.Lfunc_end5118:
	.size	_ZN7rocprim17ROCPRIM_400000_NS6detail17trampoline_kernelINS0_14default_configENS1_20scan_config_selectorIfEEZZNS1_9scan_implILNS1_25lookback_scan_determinismE0ELb1ELb1ES3_N6thrust23THRUST_200600_302600_NS6detail15normal_iteratorINS9_10device_ptrIfEEEENS9_16discard_iteratorINS9_11use_defaultEEEfNS9_4plusIvEEfEEDaPvRmT3_T4_T5_mT6_P12ihipStream_tbENKUlT_T0_E_clISt17integral_constantIbLb1EESW_IbLb0EEEEDaSS_ST_EUlSS_E_NS1_11comp_targetILNS1_3genE2ELNS1_11target_archE906ELNS1_3gpuE6ELNS1_3repE0EEENS1_30default_config_static_selectorELNS0_4arch9wavefront6targetE1EEEvT1_, .Lfunc_end5118-_ZN7rocprim17ROCPRIM_400000_NS6detail17trampoline_kernelINS0_14default_configENS1_20scan_config_selectorIfEEZZNS1_9scan_implILNS1_25lookback_scan_determinismE0ELb1ELb1ES3_N6thrust23THRUST_200600_302600_NS6detail15normal_iteratorINS9_10device_ptrIfEEEENS9_16discard_iteratorINS9_11use_defaultEEEfNS9_4plusIvEEfEEDaPvRmT3_T4_T5_mT6_P12ihipStream_tbENKUlT_T0_E_clISt17integral_constantIbLb1EESW_IbLb0EEEEDaSS_ST_EUlSS_E_NS1_11comp_targetILNS1_3genE2ELNS1_11target_archE906ELNS1_3gpuE6ELNS1_3repE0EEENS1_30default_config_static_selectorELNS0_4arch9wavefront6targetE1EEEvT1_
                                        ; -- End function
	.section	.AMDGPU.csdata,"",@progbits
; Kernel info:
; codeLenInByte = 0
; NumSgprs: 4
; NumVgprs: 0
; NumAgprs: 0
; TotalNumVgprs: 0
; ScratchSize: 0
; MemoryBound: 0
; FloatMode: 240
; IeeeMode: 1
; LDSByteSize: 0 bytes/workgroup (compile time only)
; SGPRBlocks: 0
; VGPRBlocks: 0
; NumSGPRsForWavesPerEU: 4
; NumVGPRsForWavesPerEU: 1
; AccumOffset: 4
; Occupancy: 8
; WaveLimiterHint : 0
; COMPUTE_PGM_RSRC2:SCRATCH_EN: 0
; COMPUTE_PGM_RSRC2:USER_SGPR: 6
; COMPUTE_PGM_RSRC2:TRAP_HANDLER: 0
; COMPUTE_PGM_RSRC2:TGID_X_EN: 1
; COMPUTE_PGM_RSRC2:TGID_Y_EN: 0
; COMPUTE_PGM_RSRC2:TGID_Z_EN: 0
; COMPUTE_PGM_RSRC2:TIDIG_COMP_CNT: 0
; COMPUTE_PGM_RSRC3_GFX90A:ACCUM_OFFSET: 0
; COMPUTE_PGM_RSRC3_GFX90A:TG_SPLIT: 0
	.section	.text._ZN7rocprim17ROCPRIM_400000_NS6detail17trampoline_kernelINS0_14default_configENS1_20scan_config_selectorIfEEZZNS1_9scan_implILNS1_25lookback_scan_determinismE0ELb1ELb1ES3_N6thrust23THRUST_200600_302600_NS6detail15normal_iteratorINS9_10device_ptrIfEEEENS9_16discard_iteratorINS9_11use_defaultEEEfNS9_4plusIvEEfEEDaPvRmT3_T4_T5_mT6_P12ihipStream_tbENKUlT_T0_E_clISt17integral_constantIbLb1EESW_IbLb0EEEEDaSS_ST_EUlSS_E_NS1_11comp_targetILNS1_3genE10ELNS1_11target_archE1201ELNS1_3gpuE5ELNS1_3repE0EEENS1_30default_config_static_selectorELNS0_4arch9wavefront6targetE1EEEvT1_,"axG",@progbits,_ZN7rocprim17ROCPRIM_400000_NS6detail17trampoline_kernelINS0_14default_configENS1_20scan_config_selectorIfEEZZNS1_9scan_implILNS1_25lookback_scan_determinismE0ELb1ELb1ES3_N6thrust23THRUST_200600_302600_NS6detail15normal_iteratorINS9_10device_ptrIfEEEENS9_16discard_iteratorINS9_11use_defaultEEEfNS9_4plusIvEEfEEDaPvRmT3_T4_T5_mT6_P12ihipStream_tbENKUlT_T0_E_clISt17integral_constantIbLb1EESW_IbLb0EEEEDaSS_ST_EUlSS_E_NS1_11comp_targetILNS1_3genE10ELNS1_11target_archE1201ELNS1_3gpuE5ELNS1_3repE0EEENS1_30default_config_static_selectorELNS0_4arch9wavefront6targetE1EEEvT1_,comdat
	.protected	_ZN7rocprim17ROCPRIM_400000_NS6detail17trampoline_kernelINS0_14default_configENS1_20scan_config_selectorIfEEZZNS1_9scan_implILNS1_25lookback_scan_determinismE0ELb1ELb1ES3_N6thrust23THRUST_200600_302600_NS6detail15normal_iteratorINS9_10device_ptrIfEEEENS9_16discard_iteratorINS9_11use_defaultEEEfNS9_4plusIvEEfEEDaPvRmT3_T4_T5_mT6_P12ihipStream_tbENKUlT_T0_E_clISt17integral_constantIbLb1EESW_IbLb0EEEEDaSS_ST_EUlSS_E_NS1_11comp_targetILNS1_3genE10ELNS1_11target_archE1201ELNS1_3gpuE5ELNS1_3repE0EEENS1_30default_config_static_selectorELNS0_4arch9wavefront6targetE1EEEvT1_ ; -- Begin function _ZN7rocprim17ROCPRIM_400000_NS6detail17trampoline_kernelINS0_14default_configENS1_20scan_config_selectorIfEEZZNS1_9scan_implILNS1_25lookback_scan_determinismE0ELb1ELb1ES3_N6thrust23THRUST_200600_302600_NS6detail15normal_iteratorINS9_10device_ptrIfEEEENS9_16discard_iteratorINS9_11use_defaultEEEfNS9_4plusIvEEfEEDaPvRmT3_T4_T5_mT6_P12ihipStream_tbENKUlT_T0_E_clISt17integral_constantIbLb1EESW_IbLb0EEEEDaSS_ST_EUlSS_E_NS1_11comp_targetILNS1_3genE10ELNS1_11target_archE1201ELNS1_3gpuE5ELNS1_3repE0EEENS1_30default_config_static_selectorELNS0_4arch9wavefront6targetE1EEEvT1_
	.globl	_ZN7rocprim17ROCPRIM_400000_NS6detail17trampoline_kernelINS0_14default_configENS1_20scan_config_selectorIfEEZZNS1_9scan_implILNS1_25lookback_scan_determinismE0ELb1ELb1ES3_N6thrust23THRUST_200600_302600_NS6detail15normal_iteratorINS9_10device_ptrIfEEEENS9_16discard_iteratorINS9_11use_defaultEEEfNS9_4plusIvEEfEEDaPvRmT3_T4_T5_mT6_P12ihipStream_tbENKUlT_T0_E_clISt17integral_constantIbLb1EESW_IbLb0EEEEDaSS_ST_EUlSS_E_NS1_11comp_targetILNS1_3genE10ELNS1_11target_archE1201ELNS1_3gpuE5ELNS1_3repE0EEENS1_30default_config_static_selectorELNS0_4arch9wavefront6targetE1EEEvT1_
	.p2align	8
	.type	_ZN7rocprim17ROCPRIM_400000_NS6detail17trampoline_kernelINS0_14default_configENS1_20scan_config_selectorIfEEZZNS1_9scan_implILNS1_25lookback_scan_determinismE0ELb1ELb1ES3_N6thrust23THRUST_200600_302600_NS6detail15normal_iteratorINS9_10device_ptrIfEEEENS9_16discard_iteratorINS9_11use_defaultEEEfNS9_4plusIvEEfEEDaPvRmT3_T4_T5_mT6_P12ihipStream_tbENKUlT_T0_E_clISt17integral_constantIbLb1EESW_IbLb0EEEEDaSS_ST_EUlSS_E_NS1_11comp_targetILNS1_3genE10ELNS1_11target_archE1201ELNS1_3gpuE5ELNS1_3repE0EEENS1_30default_config_static_selectorELNS0_4arch9wavefront6targetE1EEEvT1_,@function
_ZN7rocprim17ROCPRIM_400000_NS6detail17trampoline_kernelINS0_14default_configENS1_20scan_config_selectorIfEEZZNS1_9scan_implILNS1_25lookback_scan_determinismE0ELb1ELb1ES3_N6thrust23THRUST_200600_302600_NS6detail15normal_iteratorINS9_10device_ptrIfEEEENS9_16discard_iteratorINS9_11use_defaultEEEfNS9_4plusIvEEfEEDaPvRmT3_T4_T5_mT6_P12ihipStream_tbENKUlT_T0_E_clISt17integral_constantIbLb1EESW_IbLb0EEEEDaSS_ST_EUlSS_E_NS1_11comp_targetILNS1_3genE10ELNS1_11target_archE1201ELNS1_3gpuE5ELNS1_3repE0EEENS1_30default_config_static_selectorELNS0_4arch9wavefront6targetE1EEEvT1_: ; @_ZN7rocprim17ROCPRIM_400000_NS6detail17trampoline_kernelINS0_14default_configENS1_20scan_config_selectorIfEEZZNS1_9scan_implILNS1_25lookback_scan_determinismE0ELb1ELb1ES3_N6thrust23THRUST_200600_302600_NS6detail15normal_iteratorINS9_10device_ptrIfEEEENS9_16discard_iteratorINS9_11use_defaultEEEfNS9_4plusIvEEfEEDaPvRmT3_T4_T5_mT6_P12ihipStream_tbENKUlT_T0_E_clISt17integral_constantIbLb1EESW_IbLb0EEEEDaSS_ST_EUlSS_E_NS1_11comp_targetILNS1_3genE10ELNS1_11target_archE1201ELNS1_3gpuE5ELNS1_3repE0EEENS1_30default_config_static_selectorELNS0_4arch9wavefront6targetE1EEEvT1_
; %bb.0:
	.section	.rodata,"a",@progbits
	.p2align	6, 0x0
	.amdhsa_kernel _ZN7rocprim17ROCPRIM_400000_NS6detail17trampoline_kernelINS0_14default_configENS1_20scan_config_selectorIfEEZZNS1_9scan_implILNS1_25lookback_scan_determinismE0ELb1ELb1ES3_N6thrust23THRUST_200600_302600_NS6detail15normal_iteratorINS9_10device_ptrIfEEEENS9_16discard_iteratorINS9_11use_defaultEEEfNS9_4plusIvEEfEEDaPvRmT3_T4_T5_mT6_P12ihipStream_tbENKUlT_T0_E_clISt17integral_constantIbLb1EESW_IbLb0EEEEDaSS_ST_EUlSS_E_NS1_11comp_targetILNS1_3genE10ELNS1_11target_archE1201ELNS1_3gpuE5ELNS1_3repE0EEENS1_30default_config_static_selectorELNS0_4arch9wavefront6targetE1EEEvT1_
		.amdhsa_group_segment_fixed_size 0
		.amdhsa_private_segment_fixed_size 0
		.amdhsa_kernarg_size 104
		.amdhsa_user_sgpr_count 6
		.amdhsa_user_sgpr_private_segment_buffer 1
		.amdhsa_user_sgpr_dispatch_ptr 0
		.amdhsa_user_sgpr_queue_ptr 0
		.amdhsa_user_sgpr_kernarg_segment_ptr 1
		.amdhsa_user_sgpr_dispatch_id 0
		.amdhsa_user_sgpr_flat_scratch_init 0
		.amdhsa_user_sgpr_kernarg_preload_length 0
		.amdhsa_user_sgpr_kernarg_preload_offset 0
		.amdhsa_user_sgpr_private_segment_size 0
		.amdhsa_uses_dynamic_stack 0
		.amdhsa_system_sgpr_private_segment_wavefront_offset 0
		.amdhsa_system_sgpr_workgroup_id_x 1
		.amdhsa_system_sgpr_workgroup_id_y 0
		.amdhsa_system_sgpr_workgroup_id_z 0
		.amdhsa_system_sgpr_workgroup_info 0
		.amdhsa_system_vgpr_workitem_id 0
		.amdhsa_next_free_vgpr 1
		.amdhsa_next_free_sgpr 0
		.amdhsa_accum_offset 4
		.amdhsa_reserve_vcc 0
		.amdhsa_reserve_flat_scratch 0
		.amdhsa_float_round_mode_32 0
		.amdhsa_float_round_mode_16_64 0
		.amdhsa_float_denorm_mode_32 3
		.amdhsa_float_denorm_mode_16_64 3
		.amdhsa_dx10_clamp 1
		.amdhsa_ieee_mode 1
		.amdhsa_fp16_overflow 0
		.amdhsa_tg_split 0
		.amdhsa_exception_fp_ieee_invalid_op 0
		.amdhsa_exception_fp_denorm_src 0
		.amdhsa_exception_fp_ieee_div_zero 0
		.amdhsa_exception_fp_ieee_overflow 0
		.amdhsa_exception_fp_ieee_underflow 0
		.amdhsa_exception_fp_ieee_inexact 0
		.amdhsa_exception_int_div_zero 0
	.end_amdhsa_kernel
	.section	.text._ZN7rocprim17ROCPRIM_400000_NS6detail17trampoline_kernelINS0_14default_configENS1_20scan_config_selectorIfEEZZNS1_9scan_implILNS1_25lookback_scan_determinismE0ELb1ELb1ES3_N6thrust23THRUST_200600_302600_NS6detail15normal_iteratorINS9_10device_ptrIfEEEENS9_16discard_iteratorINS9_11use_defaultEEEfNS9_4plusIvEEfEEDaPvRmT3_T4_T5_mT6_P12ihipStream_tbENKUlT_T0_E_clISt17integral_constantIbLb1EESW_IbLb0EEEEDaSS_ST_EUlSS_E_NS1_11comp_targetILNS1_3genE10ELNS1_11target_archE1201ELNS1_3gpuE5ELNS1_3repE0EEENS1_30default_config_static_selectorELNS0_4arch9wavefront6targetE1EEEvT1_,"axG",@progbits,_ZN7rocprim17ROCPRIM_400000_NS6detail17trampoline_kernelINS0_14default_configENS1_20scan_config_selectorIfEEZZNS1_9scan_implILNS1_25lookback_scan_determinismE0ELb1ELb1ES3_N6thrust23THRUST_200600_302600_NS6detail15normal_iteratorINS9_10device_ptrIfEEEENS9_16discard_iteratorINS9_11use_defaultEEEfNS9_4plusIvEEfEEDaPvRmT3_T4_T5_mT6_P12ihipStream_tbENKUlT_T0_E_clISt17integral_constantIbLb1EESW_IbLb0EEEEDaSS_ST_EUlSS_E_NS1_11comp_targetILNS1_3genE10ELNS1_11target_archE1201ELNS1_3gpuE5ELNS1_3repE0EEENS1_30default_config_static_selectorELNS0_4arch9wavefront6targetE1EEEvT1_,comdat
.Lfunc_end5119:
	.size	_ZN7rocprim17ROCPRIM_400000_NS6detail17trampoline_kernelINS0_14default_configENS1_20scan_config_selectorIfEEZZNS1_9scan_implILNS1_25lookback_scan_determinismE0ELb1ELb1ES3_N6thrust23THRUST_200600_302600_NS6detail15normal_iteratorINS9_10device_ptrIfEEEENS9_16discard_iteratorINS9_11use_defaultEEEfNS9_4plusIvEEfEEDaPvRmT3_T4_T5_mT6_P12ihipStream_tbENKUlT_T0_E_clISt17integral_constantIbLb1EESW_IbLb0EEEEDaSS_ST_EUlSS_E_NS1_11comp_targetILNS1_3genE10ELNS1_11target_archE1201ELNS1_3gpuE5ELNS1_3repE0EEENS1_30default_config_static_selectorELNS0_4arch9wavefront6targetE1EEEvT1_, .Lfunc_end5119-_ZN7rocprim17ROCPRIM_400000_NS6detail17trampoline_kernelINS0_14default_configENS1_20scan_config_selectorIfEEZZNS1_9scan_implILNS1_25lookback_scan_determinismE0ELb1ELb1ES3_N6thrust23THRUST_200600_302600_NS6detail15normal_iteratorINS9_10device_ptrIfEEEENS9_16discard_iteratorINS9_11use_defaultEEEfNS9_4plusIvEEfEEDaPvRmT3_T4_T5_mT6_P12ihipStream_tbENKUlT_T0_E_clISt17integral_constantIbLb1EESW_IbLb0EEEEDaSS_ST_EUlSS_E_NS1_11comp_targetILNS1_3genE10ELNS1_11target_archE1201ELNS1_3gpuE5ELNS1_3repE0EEENS1_30default_config_static_selectorELNS0_4arch9wavefront6targetE1EEEvT1_
                                        ; -- End function
	.section	.AMDGPU.csdata,"",@progbits
; Kernel info:
; codeLenInByte = 0
; NumSgprs: 4
; NumVgprs: 0
; NumAgprs: 0
; TotalNumVgprs: 0
; ScratchSize: 0
; MemoryBound: 0
; FloatMode: 240
; IeeeMode: 1
; LDSByteSize: 0 bytes/workgroup (compile time only)
; SGPRBlocks: 0
; VGPRBlocks: 0
; NumSGPRsForWavesPerEU: 4
; NumVGPRsForWavesPerEU: 1
; AccumOffset: 4
; Occupancy: 8
; WaveLimiterHint : 0
; COMPUTE_PGM_RSRC2:SCRATCH_EN: 0
; COMPUTE_PGM_RSRC2:USER_SGPR: 6
; COMPUTE_PGM_RSRC2:TRAP_HANDLER: 0
; COMPUTE_PGM_RSRC2:TGID_X_EN: 1
; COMPUTE_PGM_RSRC2:TGID_Y_EN: 0
; COMPUTE_PGM_RSRC2:TGID_Z_EN: 0
; COMPUTE_PGM_RSRC2:TIDIG_COMP_CNT: 0
; COMPUTE_PGM_RSRC3_GFX90A:ACCUM_OFFSET: 0
; COMPUTE_PGM_RSRC3_GFX90A:TG_SPLIT: 0
	.section	.text._ZN7rocprim17ROCPRIM_400000_NS6detail17trampoline_kernelINS0_14default_configENS1_20scan_config_selectorIfEEZZNS1_9scan_implILNS1_25lookback_scan_determinismE0ELb1ELb1ES3_N6thrust23THRUST_200600_302600_NS6detail15normal_iteratorINS9_10device_ptrIfEEEENS9_16discard_iteratorINS9_11use_defaultEEEfNS9_4plusIvEEfEEDaPvRmT3_T4_T5_mT6_P12ihipStream_tbENKUlT_T0_E_clISt17integral_constantIbLb1EESW_IbLb0EEEEDaSS_ST_EUlSS_E_NS1_11comp_targetILNS1_3genE10ELNS1_11target_archE1200ELNS1_3gpuE4ELNS1_3repE0EEENS1_30default_config_static_selectorELNS0_4arch9wavefront6targetE1EEEvT1_,"axG",@progbits,_ZN7rocprim17ROCPRIM_400000_NS6detail17trampoline_kernelINS0_14default_configENS1_20scan_config_selectorIfEEZZNS1_9scan_implILNS1_25lookback_scan_determinismE0ELb1ELb1ES3_N6thrust23THRUST_200600_302600_NS6detail15normal_iteratorINS9_10device_ptrIfEEEENS9_16discard_iteratorINS9_11use_defaultEEEfNS9_4plusIvEEfEEDaPvRmT3_T4_T5_mT6_P12ihipStream_tbENKUlT_T0_E_clISt17integral_constantIbLb1EESW_IbLb0EEEEDaSS_ST_EUlSS_E_NS1_11comp_targetILNS1_3genE10ELNS1_11target_archE1200ELNS1_3gpuE4ELNS1_3repE0EEENS1_30default_config_static_selectorELNS0_4arch9wavefront6targetE1EEEvT1_,comdat
	.protected	_ZN7rocprim17ROCPRIM_400000_NS6detail17trampoline_kernelINS0_14default_configENS1_20scan_config_selectorIfEEZZNS1_9scan_implILNS1_25lookback_scan_determinismE0ELb1ELb1ES3_N6thrust23THRUST_200600_302600_NS6detail15normal_iteratorINS9_10device_ptrIfEEEENS9_16discard_iteratorINS9_11use_defaultEEEfNS9_4plusIvEEfEEDaPvRmT3_T4_T5_mT6_P12ihipStream_tbENKUlT_T0_E_clISt17integral_constantIbLb1EESW_IbLb0EEEEDaSS_ST_EUlSS_E_NS1_11comp_targetILNS1_3genE10ELNS1_11target_archE1200ELNS1_3gpuE4ELNS1_3repE0EEENS1_30default_config_static_selectorELNS0_4arch9wavefront6targetE1EEEvT1_ ; -- Begin function _ZN7rocprim17ROCPRIM_400000_NS6detail17trampoline_kernelINS0_14default_configENS1_20scan_config_selectorIfEEZZNS1_9scan_implILNS1_25lookback_scan_determinismE0ELb1ELb1ES3_N6thrust23THRUST_200600_302600_NS6detail15normal_iteratorINS9_10device_ptrIfEEEENS9_16discard_iteratorINS9_11use_defaultEEEfNS9_4plusIvEEfEEDaPvRmT3_T4_T5_mT6_P12ihipStream_tbENKUlT_T0_E_clISt17integral_constantIbLb1EESW_IbLb0EEEEDaSS_ST_EUlSS_E_NS1_11comp_targetILNS1_3genE10ELNS1_11target_archE1200ELNS1_3gpuE4ELNS1_3repE0EEENS1_30default_config_static_selectorELNS0_4arch9wavefront6targetE1EEEvT1_
	.globl	_ZN7rocprim17ROCPRIM_400000_NS6detail17trampoline_kernelINS0_14default_configENS1_20scan_config_selectorIfEEZZNS1_9scan_implILNS1_25lookback_scan_determinismE0ELb1ELb1ES3_N6thrust23THRUST_200600_302600_NS6detail15normal_iteratorINS9_10device_ptrIfEEEENS9_16discard_iteratorINS9_11use_defaultEEEfNS9_4plusIvEEfEEDaPvRmT3_T4_T5_mT6_P12ihipStream_tbENKUlT_T0_E_clISt17integral_constantIbLb1EESW_IbLb0EEEEDaSS_ST_EUlSS_E_NS1_11comp_targetILNS1_3genE10ELNS1_11target_archE1200ELNS1_3gpuE4ELNS1_3repE0EEENS1_30default_config_static_selectorELNS0_4arch9wavefront6targetE1EEEvT1_
	.p2align	8
	.type	_ZN7rocprim17ROCPRIM_400000_NS6detail17trampoline_kernelINS0_14default_configENS1_20scan_config_selectorIfEEZZNS1_9scan_implILNS1_25lookback_scan_determinismE0ELb1ELb1ES3_N6thrust23THRUST_200600_302600_NS6detail15normal_iteratorINS9_10device_ptrIfEEEENS9_16discard_iteratorINS9_11use_defaultEEEfNS9_4plusIvEEfEEDaPvRmT3_T4_T5_mT6_P12ihipStream_tbENKUlT_T0_E_clISt17integral_constantIbLb1EESW_IbLb0EEEEDaSS_ST_EUlSS_E_NS1_11comp_targetILNS1_3genE10ELNS1_11target_archE1200ELNS1_3gpuE4ELNS1_3repE0EEENS1_30default_config_static_selectorELNS0_4arch9wavefront6targetE1EEEvT1_,@function
_ZN7rocprim17ROCPRIM_400000_NS6detail17trampoline_kernelINS0_14default_configENS1_20scan_config_selectorIfEEZZNS1_9scan_implILNS1_25lookback_scan_determinismE0ELb1ELb1ES3_N6thrust23THRUST_200600_302600_NS6detail15normal_iteratorINS9_10device_ptrIfEEEENS9_16discard_iteratorINS9_11use_defaultEEEfNS9_4plusIvEEfEEDaPvRmT3_T4_T5_mT6_P12ihipStream_tbENKUlT_T0_E_clISt17integral_constantIbLb1EESW_IbLb0EEEEDaSS_ST_EUlSS_E_NS1_11comp_targetILNS1_3genE10ELNS1_11target_archE1200ELNS1_3gpuE4ELNS1_3repE0EEENS1_30default_config_static_selectorELNS0_4arch9wavefront6targetE1EEEvT1_: ; @_ZN7rocprim17ROCPRIM_400000_NS6detail17trampoline_kernelINS0_14default_configENS1_20scan_config_selectorIfEEZZNS1_9scan_implILNS1_25lookback_scan_determinismE0ELb1ELb1ES3_N6thrust23THRUST_200600_302600_NS6detail15normal_iteratorINS9_10device_ptrIfEEEENS9_16discard_iteratorINS9_11use_defaultEEEfNS9_4plusIvEEfEEDaPvRmT3_T4_T5_mT6_P12ihipStream_tbENKUlT_T0_E_clISt17integral_constantIbLb1EESW_IbLb0EEEEDaSS_ST_EUlSS_E_NS1_11comp_targetILNS1_3genE10ELNS1_11target_archE1200ELNS1_3gpuE4ELNS1_3repE0EEENS1_30default_config_static_selectorELNS0_4arch9wavefront6targetE1EEEvT1_
; %bb.0:
	.section	.rodata,"a",@progbits
	.p2align	6, 0x0
	.amdhsa_kernel _ZN7rocprim17ROCPRIM_400000_NS6detail17trampoline_kernelINS0_14default_configENS1_20scan_config_selectorIfEEZZNS1_9scan_implILNS1_25lookback_scan_determinismE0ELb1ELb1ES3_N6thrust23THRUST_200600_302600_NS6detail15normal_iteratorINS9_10device_ptrIfEEEENS9_16discard_iteratorINS9_11use_defaultEEEfNS9_4plusIvEEfEEDaPvRmT3_T4_T5_mT6_P12ihipStream_tbENKUlT_T0_E_clISt17integral_constantIbLb1EESW_IbLb0EEEEDaSS_ST_EUlSS_E_NS1_11comp_targetILNS1_3genE10ELNS1_11target_archE1200ELNS1_3gpuE4ELNS1_3repE0EEENS1_30default_config_static_selectorELNS0_4arch9wavefront6targetE1EEEvT1_
		.amdhsa_group_segment_fixed_size 0
		.amdhsa_private_segment_fixed_size 0
		.amdhsa_kernarg_size 104
		.amdhsa_user_sgpr_count 6
		.amdhsa_user_sgpr_private_segment_buffer 1
		.amdhsa_user_sgpr_dispatch_ptr 0
		.amdhsa_user_sgpr_queue_ptr 0
		.amdhsa_user_sgpr_kernarg_segment_ptr 1
		.amdhsa_user_sgpr_dispatch_id 0
		.amdhsa_user_sgpr_flat_scratch_init 0
		.amdhsa_user_sgpr_kernarg_preload_length 0
		.amdhsa_user_sgpr_kernarg_preload_offset 0
		.amdhsa_user_sgpr_private_segment_size 0
		.amdhsa_uses_dynamic_stack 0
		.amdhsa_system_sgpr_private_segment_wavefront_offset 0
		.amdhsa_system_sgpr_workgroup_id_x 1
		.amdhsa_system_sgpr_workgroup_id_y 0
		.amdhsa_system_sgpr_workgroup_id_z 0
		.amdhsa_system_sgpr_workgroup_info 0
		.amdhsa_system_vgpr_workitem_id 0
		.amdhsa_next_free_vgpr 1
		.amdhsa_next_free_sgpr 0
		.amdhsa_accum_offset 4
		.amdhsa_reserve_vcc 0
		.amdhsa_reserve_flat_scratch 0
		.amdhsa_float_round_mode_32 0
		.amdhsa_float_round_mode_16_64 0
		.amdhsa_float_denorm_mode_32 3
		.amdhsa_float_denorm_mode_16_64 3
		.amdhsa_dx10_clamp 1
		.amdhsa_ieee_mode 1
		.amdhsa_fp16_overflow 0
		.amdhsa_tg_split 0
		.amdhsa_exception_fp_ieee_invalid_op 0
		.amdhsa_exception_fp_denorm_src 0
		.amdhsa_exception_fp_ieee_div_zero 0
		.amdhsa_exception_fp_ieee_overflow 0
		.amdhsa_exception_fp_ieee_underflow 0
		.amdhsa_exception_fp_ieee_inexact 0
		.amdhsa_exception_int_div_zero 0
	.end_amdhsa_kernel
	.section	.text._ZN7rocprim17ROCPRIM_400000_NS6detail17trampoline_kernelINS0_14default_configENS1_20scan_config_selectorIfEEZZNS1_9scan_implILNS1_25lookback_scan_determinismE0ELb1ELb1ES3_N6thrust23THRUST_200600_302600_NS6detail15normal_iteratorINS9_10device_ptrIfEEEENS9_16discard_iteratorINS9_11use_defaultEEEfNS9_4plusIvEEfEEDaPvRmT3_T4_T5_mT6_P12ihipStream_tbENKUlT_T0_E_clISt17integral_constantIbLb1EESW_IbLb0EEEEDaSS_ST_EUlSS_E_NS1_11comp_targetILNS1_3genE10ELNS1_11target_archE1200ELNS1_3gpuE4ELNS1_3repE0EEENS1_30default_config_static_selectorELNS0_4arch9wavefront6targetE1EEEvT1_,"axG",@progbits,_ZN7rocprim17ROCPRIM_400000_NS6detail17trampoline_kernelINS0_14default_configENS1_20scan_config_selectorIfEEZZNS1_9scan_implILNS1_25lookback_scan_determinismE0ELb1ELb1ES3_N6thrust23THRUST_200600_302600_NS6detail15normal_iteratorINS9_10device_ptrIfEEEENS9_16discard_iteratorINS9_11use_defaultEEEfNS9_4plusIvEEfEEDaPvRmT3_T4_T5_mT6_P12ihipStream_tbENKUlT_T0_E_clISt17integral_constantIbLb1EESW_IbLb0EEEEDaSS_ST_EUlSS_E_NS1_11comp_targetILNS1_3genE10ELNS1_11target_archE1200ELNS1_3gpuE4ELNS1_3repE0EEENS1_30default_config_static_selectorELNS0_4arch9wavefront6targetE1EEEvT1_,comdat
.Lfunc_end5120:
	.size	_ZN7rocprim17ROCPRIM_400000_NS6detail17trampoline_kernelINS0_14default_configENS1_20scan_config_selectorIfEEZZNS1_9scan_implILNS1_25lookback_scan_determinismE0ELb1ELb1ES3_N6thrust23THRUST_200600_302600_NS6detail15normal_iteratorINS9_10device_ptrIfEEEENS9_16discard_iteratorINS9_11use_defaultEEEfNS9_4plusIvEEfEEDaPvRmT3_T4_T5_mT6_P12ihipStream_tbENKUlT_T0_E_clISt17integral_constantIbLb1EESW_IbLb0EEEEDaSS_ST_EUlSS_E_NS1_11comp_targetILNS1_3genE10ELNS1_11target_archE1200ELNS1_3gpuE4ELNS1_3repE0EEENS1_30default_config_static_selectorELNS0_4arch9wavefront6targetE1EEEvT1_, .Lfunc_end5120-_ZN7rocprim17ROCPRIM_400000_NS6detail17trampoline_kernelINS0_14default_configENS1_20scan_config_selectorIfEEZZNS1_9scan_implILNS1_25lookback_scan_determinismE0ELb1ELb1ES3_N6thrust23THRUST_200600_302600_NS6detail15normal_iteratorINS9_10device_ptrIfEEEENS9_16discard_iteratorINS9_11use_defaultEEEfNS9_4plusIvEEfEEDaPvRmT3_T4_T5_mT6_P12ihipStream_tbENKUlT_T0_E_clISt17integral_constantIbLb1EESW_IbLb0EEEEDaSS_ST_EUlSS_E_NS1_11comp_targetILNS1_3genE10ELNS1_11target_archE1200ELNS1_3gpuE4ELNS1_3repE0EEENS1_30default_config_static_selectorELNS0_4arch9wavefront6targetE1EEEvT1_
                                        ; -- End function
	.section	.AMDGPU.csdata,"",@progbits
; Kernel info:
; codeLenInByte = 0
; NumSgprs: 4
; NumVgprs: 0
; NumAgprs: 0
; TotalNumVgprs: 0
; ScratchSize: 0
; MemoryBound: 0
; FloatMode: 240
; IeeeMode: 1
; LDSByteSize: 0 bytes/workgroup (compile time only)
; SGPRBlocks: 0
; VGPRBlocks: 0
; NumSGPRsForWavesPerEU: 4
; NumVGPRsForWavesPerEU: 1
; AccumOffset: 4
; Occupancy: 8
; WaveLimiterHint : 0
; COMPUTE_PGM_RSRC2:SCRATCH_EN: 0
; COMPUTE_PGM_RSRC2:USER_SGPR: 6
; COMPUTE_PGM_RSRC2:TRAP_HANDLER: 0
; COMPUTE_PGM_RSRC2:TGID_X_EN: 1
; COMPUTE_PGM_RSRC2:TGID_Y_EN: 0
; COMPUTE_PGM_RSRC2:TGID_Z_EN: 0
; COMPUTE_PGM_RSRC2:TIDIG_COMP_CNT: 0
; COMPUTE_PGM_RSRC3_GFX90A:ACCUM_OFFSET: 0
; COMPUTE_PGM_RSRC3_GFX90A:TG_SPLIT: 0
	.section	.text._ZN7rocprim17ROCPRIM_400000_NS6detail17trampoline_kernelINS0_14default_configENS1_20scan_config_selectorIfEEZZNS1_9scan_implILNS1_25lookback_scan_determinismE0ELb1ELb1ES3_N6thrust23THRUST_200600_302600_NS6detail15normal_iteratorINS9_10device_ptrIfEEEENS9_16discard_iteratorINS9_11use_defaultEEEfNS9_4plusIvEEfEEDaPvRmT3_T4_T5_mT6_P12ihipStream_tbENKUlT_T0_E_clISt17integral_constantIbLb1EESW_IbLb0EEEEDaSS_ST_EUlSS_E_NS1_11comp_targetILNS1_3genE9ELNS1_11target_archE1100ELNS1_3gpuE3ELNS1_3repE0EEENS1_30default_config_static_selectorELNS0_4arch9wavefront6targetE1EEEvT1_,"axG",@progbits,_ZN7rocprim17ROCPRIM_400000_NS6detail17trampoline_kernelINS0_14default_configENS1_20scan_config_selectorIfEEZZNS1_9scan_implILNS1_25lookback_scan_determinismE0ELb1ELb1ES3_N6thrust23THRUST_200600_302600_NS6detail15normal_iteratorINS9_10device_ptrIfEEEENS9_16discard_iteratorINS9_11use_defaultEEEfNS9_4plusIvEEfEEDaPvRmT3_T4_T5_mT6_P12ihipStream_tbENKUlT_T0_E_clISt17integral_constantIbLb1EESW_IbLb0EEEEDaSS_ST_EUlSS_E_NS1_11comp_targetILNS1_3genE9ELNS1_11target_archE1100ELNS1_3gpuE3ELNS1_3repE0EEENS1_30default_config_static_selectorELNS0_4arch9wavefront6targetE1EEEvT1_,comdat
	.protected	_ZN7rocprim17ROCPRIM_400000_NS6detail17trampoline_kernelINS0_14default_configENS1_20scan_config_selectorIfEEZZNS1_9scan_implILNS1_25lookback_scan_determinismE0ELb1ELb1ES3_N6thrust23THRUST_200600_302600_NS6detail15normal_iteratorINS9_10device_ptrIfEEEENS9_16discard_iteratorINS9_11use_defaultEEEfNS9_4plusIvEEfEEDaPvRmT3_T4_T5_mT6_P12ihipStream_tbENKUlT_T0_E_clISt17integral_constantIbLb1EESW_IbLb0EEEEDaSS_ST_EUlSS_E_NS1_11comp_targetILNS1_3genE9ELNS1_11target_archE1100ELNS1_3gpuE3ELNS1_3repE0EEENS1_30default_config_static_selectorELNS0_4arch9wavefront6targetE1EEEvT1_ ; -- Begin function _ZN7rocprim17ROCPRIM_400000_NS6detail17trampoline_kernelINS0_14default_configENS1_20scan_config_selectorIfEEZZNS1_9scan_implILNS1_25lookback_scan_determinismE0ELb1ELb1ES3_N6thrust23THRUST_200600_302600_NS6detail15normal_iteratorINS9_10device_ptrIfEEEENS9_16discard_iteratorINS9_11use_defaultEEEfNS9_4plusIvEEfEEDaPvRmT3_T4_T5_mT6_P12ihipStream_tbENKUlT_T0_E_clISt17integral_constantIbLb1EESW_IbLb0EEEEDaSS_ST_EUlSS_E_NS1_11comp_targetILNS1_3genE9ELNS1_11target_archE1100ELNS1_3gpuE3ELNS1_3repE0EEENS1_30default_config_static_selectorELNS0_4arch9wavefront6targetE1EEEvT1_
	.globl	_ZN7rocprim17ROCPRIM_400000_NS6detail17trampoline_kernelINS0_14default_configENS1_20scan_config_selectorIfEEZZNS1_9scan_implILNS1_25lookback_scan_determinismE0ELb1ELb1ES3_N6thrust23THRUST_200600_302600_NS6detail15normal_iteratorINS9_10device_ptrIfEEEENS9_16discard_iteratorINS9_11use_defaultEEEfNS9_4plusIvEEfEEDaPvRmT3_T4_T5_mT6_P12ihipStream_tbENKUlT_T0_E_clISt17integral_constantIbLb1EESW_IbLb0EEEEDaSS_ST_EUlSS_E_NS1_11comp_targetILNS1_3genE9ELNS1_11target_archE1100ELNS1_3gpuE3ELNS1_3repE0EEENS1_30default_config_static_selectorELNS0_4arch9wavefront6targetE1EEEvT1_
	.p2align	8
	.type	_ZN7rocprim17ROCPRIM_400000_NS6detail17trampoline_kernelINS0_14default_configENS1_20scan_config_selectorIfEEZZNS1_9scan_implILNS1_25lookback_scan_determinismE0ELb1ELb1ES3_N6thrust23THRUST_200600_302600_NS6detail15normal_iteratorINS9_10device_ptrIfEEEENS9_16discard_iteratorINS9_11use_defaultEEEfNS9_4plusIvEEfEEDaPvRmT3_T4_T5_mT6_P12ihipStream_tbENKUlT_T0_E_clISt17integral_constantIbLb1EESW_IbLb0EEEEDaSS_ST_EUlSS_E_NS1_11comp_targetILNS1_3genE9ELNS1_11target_archE1100ELNS1_3gpuE3ELNS1_3repE0EEENS1_30default_config_static_selectorELNS0_4arch9wavefront6targetE1EEEvT1_,@function
_ZN7rocprim17ROCPRIM_400000_NS6detail17trampoline_kernelINS0_14default_configENS1_20scan_config_selectorIfEEZZNS1_9scan_implILNS1_25lookback_scan_determinismE0ELb1ELb1ES3_N6thrust23THRUST_200600_302600_NS6detail15normal_iteratorINS9_10device_ptrIfEEEENS9_16discard_iteratorINS9_11use_defaultEEEfNS9_4plusIvEEfEEDaPvRmT3_T4_T5_mT6_P12ihipStream_tbENKUlT_T0_E_clISt17integral_constantIbLb1EESW_IbLb0EEEEDaSS_ST_EUlSS_E_NS1_11comp_targetILNS1_3genE9ELNS1_11target_archE1100ELNS1_3gpuE3ELNS1_3repE0EEENS1_30default_config_static_selectorELNS0_4arch9wavefront6targetE1EEEvT1_: ; @_ZN7rocprim17ROCPRIM_400000_NS6detail17trampoline_kernelINS0_14default_configENS1_20scan_config_selectorIfEEZZNS1_9scan_implILNS1_25lookback_scan_determinismE0ELb1ELb1ES3_N6thrust23THRUST_200600_302600_NS6detail15normal_iteratorINS9_10device_ptrIfEEEENS9_16discard_iteratorINS9_11use_defaultEEEfNS9_4plusIvEEfEEDaPvRmT3_T4_T5_mT6_P12ihipStream_tbENKUlT_T0_E_clISt17integral_constantIbLb1EESW_IbLb0EEEEDaSS_ST_EUlSS_E_NS1_11comp_targetILNS1_3genE9ELNS1_11target_archE1100ELNS1_3gpuE3ELNS1_3repE0EEENS1_30default_config_static_selectorELNS0_4arch9wavefront6targetE1EEEvT1_
; %bb.0:
	.section	.rodata,"a",@progbits
	.p2align	6, 0x0
	.amdhsa_kernel _ZN7rocprim17ROCPRIM_400000_NS6detail17trampoline_kernelINS0_14default_configENS1_20scan_config_selectorIfEEZZNS1_9scan_implILNS1_25lookback_scan_determinismE0ELb1ELb1ES3_N6thrust23THRUST_200600_302600_NS6detail15normal_iteratorINS9_10device_ptrIfEEEENS9_16discard_iteratorINS9_11use_defaultEEEfNS9_4plusIvEEfEEDaPvRmT3_T4_T5_mT6_P12ihipStream_tbENKUlT_T0_E_clISt17integral_constantIbLb1EESW_IbLb0EEEEDaSS_ST_EUlSS_E_NS1_11comp_targetILNS1_3genE9ELNS1_11target_archE1100ELNS1_3gpuE3ELNS1_3repE0EEENS1_30default_config_static_selectorELNS0_4arch9wavefront6targetE1EEEvT1_
		.amdhsa_group_segment_fixed_size 0
		.amdhsa_private_segment_fixed_size 0
		.amdhsa_kernarg_size 104
		.amdhsa_user_sgpr_count 6
		.amdhsa_user_sgpr_private_segment_buffer 1
		.amdhsa_user_sgpr_dispatch_ptr 0
		.amdhsa_user_sgpr_queue_ptr 0
		.amdhsa_user_sgpr_kernarg_segment_ptr 1
		.amdhsa_user_sgpr_dispatch_id 0
		.amdhsa_user_sgpr_flat_scratch_init 0
		.amdhsa_user_sgpr_kernarg_preload_length 0
		.amdhsa_user_sgpr_kernarg_preload_offset 0
		.amdhsa_user_sgpr_private_segment_size 0
		.amdhsa_uses_dynamic_stack 0
		.amdhsa_system_sgpr_private_segment_wavefront_offset 0
		.amdhsa_system_sgpr_workgroup_id_x 1
		.amdhsa_system_sgpr_workgroup_id_y 0
		.amdhsa_system_sgpr_workgroup_id_z 0
		.amdhsa_system_sgpr_workgroup_info 0
		.amdhsa_system_vgpr_workitem_id 0
		.amdhsa_next_free_vgpr 1
		.amdhsa_next_free_sgpr 0
		.amdhsa_accum_offset 4
		.amdhsa_reserve_vcc 0
		.amdhsa_reserve_flat_scratch 0
		.amdhsa_float_round_mode_32 0
		.amdhsa_float_round_mode_16_64 0
		.amdhsa_float_denorm_mode_32 3
		.amdhsa_float_denorm_mode_16_64 3
		.amdhsa_dx10_clamp 1
		.amdhsa_ieee_mode 1
		.amdhsa_fp16_overflow 0
		.amdhsa_tg_split 0
		.amdhsa_exception_fp_ieee_invalid_op 0
		.amdhsa_exception_fp_denorm_src 0
		.amdhsa_exception_fp_ieee_div_zero 0
		.amdhsa_exception_fp_ieee_overflow 0
		.amdhsa_exception_fp_ieee_underflow 0
		.amdhsa_exception_fp_ieee_inexact 0
		.amdhsa_exception_int_div_zero 0
	.end_amdhsa_kernel
	.section	.text._ZN7rocprim17ROCPRIM_400000_NS6detail17trampoline_kernelINS0_14default_configENS1_20scan_config_selectorIfEEZZNS1_9scan_implILNS1_25lookback_scan_determinismE0ELb1ELb1ES3_N6thrust23THRUST_200600_302600_NS6detail15normal_iteratorINS9_10device_ptrIfEEEENS9_16discard_iteratorINS9_11use_defaultEEEfNS9_4plusIvEEfEEDaPvRmT3_T4_T5_mT6_P12ihipStream_tbENKUlT_T0_E_clISt17integral_constantIbLb1EESW_IbLb0EEEEDaSS_ST_EUlSS_E_NS1_11comp_targetILNS1_3genE9ELNS1_11target_archE1100ELNS1_3gpuE3ELNS1_3repE0EEENS1_30default_config_static_selectorELNS0_4arch9wavefront6targetE1EEEvT1_,"axG",@progbits,_ZN7rocprim17ROCPRIM_400000_NS6detail17trampoline_kernelINS0_14default_configENS1_20scan_config_selectorIfEEZZNS1_9scan_implILNS1_25lookback_scan_determinismE0ELb1ELb1ES3_N6thrust23THRUST_200600_302600_NS6detail15normal_iteratorINS9_10device_ptrIfEEEENS9_16discard_iteratorINS9_11use_defaultEEEfNS9_4plusIvEEfEEDaPvRmT3_T4_T5_mT6_P12ihipStream_tbENKUlT_T0_E_clISt17integral_constantIbLb1EESW_IbLb0EEEEDaSS_ST_EUlSS_E_NS1_11comp_targetILNS1_3genE9ELNS1_11target_archE1100ELNS1_3gpuE3ELNS1_3repE0EEENS1_30default_config_static_selectorELNS0_4arch9wavefront6targetE1EEEvT1_,comdat
.Lfunc_end5121:
	.size	_ZN7rocprim17ROCPRIM_400000_NS6detail17trampoline_kernelINS0_14default_configENS1_20scan_config_selectorIfEEZZNS1_9scan_implILNS1_25lookback_scan_determinismE0ELb1ELb1ES3_N6thrust23THRUST_200600_302600_NS6detail15normal_iteratorINS9_10device_ptrIfEEEENS9_16discard_iteratorINS9_11use_defaultEEEfNS9_4plusIvEEfEEDaPvRmT3_T4_T5_mT6_P12ihipStream_tbENKUlT_T0_E_clISt17integral_constantIbLb1EESW_IbLb0EEEEDaSS_ST_EUlSS_E_NS1_11comp_targetILNS1_3genE9ELNS1_11target_archE1100ELNS1_3gpuE3ELNS1_3repE0EEENS1_30default_config_static_selectorELNS0_4arch9wavefront6targetE1EEEvT1_, .Lfunc_end5121-_ZN7rocprim17ROCPRIM_400000_NS6detail17trampoline_kernelINS0_14default_configENS1_20scan_config_selectorIfEEZZNS1_9scan_implILNS1_25lookback_scan_determinismE0ELb1ELb1ES3_N6thrust23THRUST_200600_302600_NS6detail15normal_iteratorINS9_10device_ptrIfEEEENS9_16discard_iteratorINS9_11use_defaultEEEfNS9_4plusIvEEfEEDaPvRmT3_T4_T5_mT6_P12ihipStream_tbENKUlT_T0_E_clISt17integral_constantIbLb1EESW_IbLb0EEEEDaSS_ST_EUlSS_E_NS1_11comp_targetILNS1_3genE9ELNS1_11target_archE1100ELNS1_3gpuE3ELNS1_3repE0EEENS1_30default_config_static_selectorELNS0_4arch9wavefront6targetE1EEEvT1_
                                        ; -- End function
	.section	.AMDGPU.csdata,"",@progbits
; Kernel info:
; codeLenInByte = 0
; NumSgprs: 4
; NumVgprs: 0
; NumAgprs: 0
; TotalNumVgprs: 0
; ScratchSize: 0
; MemoryBound: 0
; FloatMode: 240
; IeeeMode: 1
; LDSByteSize: 0 bytes/workgroup (compile time only)
; SGPRBlocks: 0
; VGPRBlocks: 0
; NumSGPRsForWavesPerEU: 4
; NumVGPRsForWavesPerEU: 1
; AccumOffset: 4
; Occupancy: 8
; WaveLimiterHint : 0
; COMPUTE_PGM_RSRC2:SCRATCH_EN: 0
; COMPUTE_PGM_RSRC2:USER_SGPR: 6
; COMPUTE_PGM_RSRC2:TRAP_HANDLER: 0
; COMPUTE_PGM_RSRC2:TGID_X_EN: 1
; COMPUTE_PGM_RSRC2:TGID_Y_EN: 0
; COMPUTE_PGM_RSRC2:TGID_Z_EN: 0
; COMPUTE_PGM_RSRC2:TIDIG_COMP_CNT: 0
; COMPUTE_PGM_RSRC3_GFX90A:ACCUM_OFFSET: 0
; COMPUTE_PGM_RSRC3_GFX90A:TG_SPLIT: 0
	.section	.text._ZN7rocprim17ROCPRIM_400000_NS6detail17trampoline_kernelINS0_14default_configENS1_20scan_config_selectorIfEEZZNS1_9scan_implILNS1_25lookback_scan_determinismE0ELb1ELb1ES3_N6thrust23THRUST_200600_302600_NS6detail15normal_iteratorINS9_10device_ptrIfEEEENS9_16discard_iteratorINS9_11use_defaultEEEfNS9_4plusIvEEfEEDaPvRmT3_T4_T5_mT6_P12ihipStream_tbENKUlT_T0_E_clISt17integral_constantIbLb1EESW_IbLb0EEEEDaSS_ST_EUlSS_E_NS1_11comp_targetILNS1_3genE8ELNS1_11target_archE1030ELNS1_3gpuE2ELNS1_3repE0EEENS1_30default_config_static_selectorELNS0_4arch9wavefront6targetE1EEEvT1_,"axG",@progbits,_ZN7rocprim17ROCPRIM_400000_NS6detail17trampoline_kernelINS0_14default_configENS1_20scan_config_selectorIfEEZZNS1_9scan_implILNS1_25lookback_scan_determinismE0ELb1ELb1ES3_N6thrust23THRUST_200600_302600_NS6detail15normal_iteratorINS9_10device_ptrIfEEEENS9_16discard_iteratorINS9_11use_defaultEEEfNS9_4plusIvEEfEEDaPvRmT3_T4_T5_mT6_P12ihipStream_tbENKUlT_T0_E_clISt17integral_constantIbLb1EESW_IbLb0EEEEDaSS_ST_EUlSS_E_NS1_11comp_targetILNS1_3genE8ELNS1_11target_archE1030ELNS1_3gpuE2ELNS1_3repE0EEENS1_30default_config_static_selectorELNS0_4arch9wavefront6targetE1EEEvT1_,comdat
	.protected	_ZN7rocprim17ROCPRIM_400000_NS6detail17trampoline_kernelINS0_14default_configENS1_20scan_config_selectorIfEEZZNS1_9scan_implILNS1_25lookback_scan_determinismE0ELb1ELb1ES3_N6thrust23THRUST_200600_302600_NS6detail15normal_iteratorINS9_10device_ptrIfEEEENS9_16discard_iteratorINS9_11use_defaultEEEfNS9_4plusIvEEfEEDaPvRmT3_T4_T5_mT6_P12ihipStream_tbENKUlT_T0_E_clISt17integral_constantIbLb1EESW_IbLb0EEEEDaSS_ST_EUlSS_E_NS1_11comp_targetILNS1_3genE8ELNS1_11target_archE1030ELNS1_3gpuE2ELNS1_3repE0EEENS1_30default_config_static_selectorELNS0_4arch9wavefront6targetE1EEEvT1_ ; -- Begin function _ZN7rocprim17ROCPRIM_400000_NS6detail17trampoline_kernelINS0_14default_configENS1_20scan_config_selectorIfEEZZNS1_9scan_implILNS1_25lookback_scan_determinismE0ELb1ELb1ES3_N6thrust23THRUST_200600_302600_NS6detail15normal_iteratorINS9_10device_ptrIfEEEENS9_16discard_iteratorINS9_11use_defaultEEEfNS9_4plusIvEEfEEDaPvRmT3_T4_T5_mT6_P12ihipStream_tbENKUlT_T0_E_clISt17integral_constantIbLb1EESW_IbLb0EEEEDaSS_ST_EUlSS_E_NS1_11comp_targetILNS1_3genE8ELNS1_11target_archE1030ELNS1_3gpuE2ELNS1_3repE0EEENS1_30default_config_static_selectorELNS0_4arch9wavefront6targetE1EEEvT1_
	.globl	_ZN7rocprim17ROCPRIM_400000_NS6detail17trampoline_kernelINS0_14default_configENS1_20scan_config_selectorIfEEZZNS1_9scan_implILNS1_25lookback_scan_determinismE0ELb1ELb1ES3_N6thrust23THRUST_200600_302600_NS6detail15normal_iteratorINS9_10device_ptrIfEEEENS9_16discard_iteratorINS9_11use_defaultEEEfNS9_4plusIvEEfEEDaPvRmT3_T4_T5_mT6_P12ihipStream_tbENKUlT_T0_E_clISt17integral_constantIbLb1EESW_IbLb0EEEEDaSS_ST_EUlSS_E_NS1_11comp_targetILNS1_3genE8ELNS1_11target_archE1030ELNS1_3gpuE2ELNS1_3repE0EEENS1_30default_config_static_selectorELNS0_4arch9wavefront6targetE1EEEvT1_
	.p2align	8
	.type	_ZN7rocprim17ROCPRIM_400000_NS6detail17trampoline_kernelINS0_14default_configENS1_20scan_config_selectorIfEEZZNS1_9scan_implILNS1_25lookback_scan_determinismE0ELb1ELb1ES3_N6thrust23THRUST_200600_302600_NS6detail15normal_iteratorINS9_10device_ptrIfEEEENS9_16discard_iteratorINS9_11use_defaultEEEfNS9_4plusIvEEfEEDaPvRmT3_T4_T5_mT6_P12ihipStream_tbENKUlT_T0_E_clISt17integral_constantIbLb1EESW_IbLb0EEEEDaSS_ST_EUlSS_E_NS1_11comp_targetILNS1_3genE8ELNS1_11target_archE1030ELNS1_3gpuE2ELNS1_3repE0EEENS1_30default_config_static_selectorELNS0_4arch9wavefront6targetE1EEEvT1_,@function
_ZN7rocprim17ROCPRIM_400000_NS6detail17trampoline_kernelINS0_14default_configENS1_20scan_config_selectorIfEEZZNS1_9scan_implILNS1_25lookback_scan_determinismE0ELb1ELb1ES3_N6thrust23THRUST_200600_302600_NS6detail15normal_iteratorINS9_10device_ptrIfEEEENS9_16discard_iteratorINS9_11use_defaultEEEfNS9_4plusIvEEfEEDaPvRmT3_T4_T5_mT6_P12ihipStream_tbENKUlT_T0_E_clISt17integral_constantIbLb1EESW_IbLb0EEEEDaSS_ST_EUlSS_E_NS1_11comp_targetILNS1_3genE8ELNS1_11target_archE1030ELNS1_3gpuE2ELNS1_3repE0EEENS1_30default_config_static_selectorELNS0_4arch9wavefront6targetE1EEEvT1_: ; @_ZN7rocprim17ROCPRIM_400000_NS6detail17trampoline_kernelINS0_14default_configENS1_20scan_config_selectorIfEEZZNS1_9scan_implILNS1_25lookback_scan_determinismE0ELb1ELb1ES3_N6thrust23THRUST_200600_302600_NS6detail15normal_iteratorINS9_10device_ptrIfEEEENS9_16discard_iteratorINS9_11use_defaultEEEfNS9_4plusIvEEfEEDaPvRmT3_T4_T5_mT6_P12ihipStream_tbENKUlT_T0_E_clISt17integral_constantIbLb1EESW_IbLb0EEEEDaSS_ST_EUlSS_E_NS1_11comp_targetILNS1_3genE8ELNS1_11target_archE1030ELNS1_3gpuE2ELNS1_3repE0EEENS1_30default_config_static_selectorELNS0_4arch9wavefront6targetE1EEEvT1_
; %bb.0:
	.section	.rodata,"a",@progbits
	.p2align	6, 0x0
	.amdhsa_kernel _ZN7rocprim17ROCPRIM_400000_NS6detail17trampoline_kernelINS0_14default_configENS1_20scan_config_selectorIfEEZZNS1_9scan_implILNS1_25lookback_scan_determinismE0ELb1ELb1ES3_N6thrust23THRUST_200600_302600_NS6detail15normal_iteratorINS9_10device_ptrIfEEEENS9_16discard_iteratorINS9_11use_defaultEEEfNS9_4plusIvEEfEEDaPvRmT3_T4_T5_mT6_P12ihipStream_tbENKUlT_T0_E_clISt17integral_constantIbLb1EESW_IbLb0EEEEDaSS_ST_EUlSS_E_NS1_11comp_targetILNS1_3genE8ELNS1_11target_archE1030ELNS1_3gpuE2ELNS1_3repE0EEENS1_30default_config_static_selectorELNS0_4arch9wavefront6targetE1EEEvT1_
		.amdhsa_group_segment_fixed_size 0
		.amdhsa_private_segment_fixed_size 0
		.amdhsa_kernarg_size 104
		.amdhsa_user_sgpr_count 6
		.amdhsa_user_sgpr_private_segment_buffer 1
		.amdhsa_user_sgpr_dispatch_ptr 0
		.amdhsa_user_sgpr_queue_ptr 0
		.amdhsa_user_sgpr_kernarg_segment_ptr 1
		.amdhsa_user_sgpr_dispatch_id 0
		.amdhsa_user_sgpr_flat_scratch_init 0
		.amdhsa_user_sgpr_kernarg_preload_length 0
		.amdhsa_user_sgpr_kernarg_preload_offset 0
		.amdhsa_user_sgpr_private_segment_size 0
		.amdhsa_uses_dynamic_stack 0
		.amdhsa_system_sgpr_private_segment_wavefront_offset 0
		.amdhsa_system_sgpr_workgroup_id_x 1
		.amdhsa_system_sgpr_workgroup_id_y 0
		.amdhsa_system_sgpr_workgroup_id_z 0
		.amdhsa_system_sgpr_workgroup_info 0
		.amdhsa_system_vgpr_workitem_id 0
		.amdhsa_next_free_vgpr 1
		.amdhsa_next_free_sgpr 0
		.amdhsa_accum_offset 4
		.amdhsa_reserve_vcc 0
		.amdhsa_reserve_flat_scratch 0
		.amdhsa_float_round_mode_32 0
		.amdhsa_float_round_mode_16_64 0
		.amdhsa_float_denorm_mode_32 3
		.amdhsa_float_denorm_mode_16_64 3
		.amdhsa_dx10_clamp 1
		.amdhsa_ieee_mode 1
		.amdhsa_fp16_overflow 0
		.amdhsa_tg_split 0
		.amdhsa_exception_fp_ieee_invalid_op 0
		.amdhsa_exception_fp_denorm_src 0
		.amdhsa_exception_fp_ieee_div_zero 0
		.amdhsa_exception_fp_ieee_overflow 0
		.amdhsa_exception_fp_ieee_underflow 0
		.amdhsa_exception_fp_ieee_inexact 0
		.amdhsa_exception_int_div_zero 0
	.end_amdhsa_kernel
	.section	.text._ZN7rocprim17ROCPRIM_400000_NS6detail17trampoline_kernelINS0_14default_configENS1_20scan_config_selectorIfEEZZNS1_9scan_implILNS1_25lookback_scan_determinismE0ELb1ELb1ES3_N6thrust23THRUST_200600_302600_NS6detail15normal_iteratorINS9_10device_ptrIfEEEENS9_16discard_iteratorINS9_11use_defaultEEEfNS9_4plusIvEEfEEDaPvRmT3_T4_T5_mT6_P12ihipStream_tbENKUlT_T0_E_clISt17integral_constantIbLb1EESW_IbLb0EEEEDaSS_ST_EUlSS_E_NS1_11comp_targetILNS1_3genE8ELNS1_11target_archE1030ELNS1_3gpuE2ELNS1_3repE0EEENS1_30default_config_static_selectorELNS0_4arch9wavefront6targetE1EEEvT1_,"axG",@progbits,_ZN7rocprim17ROCPRIM_400000_NS6detail17trampoline_kernelINS0_14default_configENS1_20scan_config_selectorIfEEZZNS1_9scan_implILNS1_25lookback_scan_determinismE0ELb1ELb1ES3_N6thrust23THRUST_200600_302600_NS6detail15normal_iteratorINS9_10device_ptrIfEEEENS9_16discard_iteratorINS9_11use_defaultEEEfNS9_4plusIvEEfEEDaPvRmT3_T4_T5_mT6_P12ihipStream_tbENKUlT_T0_E_clISt17integral_constantIbLb1EESW_IbLb0EEEEDaSS_ST_EUlSS_E_NS1_11comp_targetILNS1_3genE8ELNS1_11target_archE1030ELNS1_3gpuE2ELNS1_3repE0EEENS1_30default_config_static_selectorELNS0_4arch9wavefront6targetE1EEEvT1_,comdat
.Lfunc_end5122:
	.size	_ZN7rocprim17ROCPRIM_400000_NS6detail17trampoline_kernelINS0_14default_configENS1_20scan_config_selectorIfEEZZNS1_9scan_implILNS1_25lookback_scan_determinismE0ELb1ELb1ES3_N6thrust23THRUST_200600_302600_NS6detail15normal_iteratorINS9_10device_ptrIfEEEENS9_16discard_iteratorINS9_11use_defaultEEEfNS9_4plusIvEEfEEDaPvRmT3_T4_T5_mT6_P12ihipStream_tbENKUlT_T0_E_clISt17integral_constantIbLb1EESW_IbLb0EEEEDaSS_ST_EUlSS_E_NS1_11comp_targetILNS1_3genE8ELNS1_11target_archE1030ELNS1_3gpuE2ELNS1_3repE0EEENS1_30default_config_static_selectorELNS0_4arch9wavefront6targetE1EEEvT1_, .Lfunc_end5122-_ZN7rocprim17ROCPRIM_400000_NS6detail17trampoline_kernelINS0_14default_configENS1_20scan_config_selectorIfEEZZNS1_9scan_implILNS1_25lookback_scan_determinismE0ELb1ELb1ES3_N6thrust23THRUST_200600_302600_NS6detail15normal_iteratorINS9_10device_ptrIfEEEENS9_16discard_iteratorINS9_11use_defaultEEEfNS9_4plusIvEEfEEDaPvRmT3_T4_T5_mT6_P12ihipStream_tbENKUlT_T0_E_clISt17integral_constantIbLb1EESW_IbLb0EEEEDaSS_ST_EUlSS_E_NS1_11comp_targetILNS1_3genE8ELNS1_11target_archE1030ELNS1_3gpuE2ELNS1_3repE0EEENS1_30default_config_static_selectorELNS0_4arch9wavefront6targetE1EEEvT1_
                                        ; -- End function
	.section	.AMDGPU.csdata,"",@progbits
; Kernel info:
; codeLenInByte = 0
; NumSgprs: 4
; NumVgprs: 0
; NumAgprs: 0
; TotalNumVgprs: 0
; ScratchSize: 0
; MemoryBound: 0
; FloatMode: 240
; IeeeMode: 1
; LDSByteSize: 0 bytes/workgroup (compile time only)
; SGPRBlocks: 0
; VGPRBlocks: 0
; NumSGPRsForWavesPerEU: 4
; NumVGPRsForWavesPerEU: 1
; AccumOffset: 4
; Occupancy: 8
; WaveLimiterHint : 0
; COMPUTE_PGM_RSRC2:SCRATCH_EN: 0
; COMPUTE_PGM_RSRC2:USER_SGPR: 6
; COMPUTE_PGM_RSRC2:TRAP_HANDLER: 0
; COMPUTE_PGM_RSRC2:TGID_X_EN: 1
; COMPUTE_PGM_RSRC2:TGID_Y_EN: 0
; COMPUTE_PGM_RSRC2:TGID_Z_EN: 0
; COMPUTE_PGM_RSRC2:TIDIG_COMP_CNT: 0
; COMPUTE_PGM_RSRC3_GFX90A:ACCUM_OFFSET: 0
; COMPUTE_PGM_RSRC3_GFX90A:TG_SPLIT: 0
	.section	.text._ZN7rocprim17ROCPRIM_400000_NS6detail17trampoline_kernelINS0_14default_configENS1_20scan_config_selectorIfEEZZNS1_9scan_implILNS1_25lookback_scan_determinismE0ELb1ELb1ES3_N6thrust23THRUST_200600_302600_NS6detail15normal_iteratorINS9_10device_ptrIfEEEENS9_16discard_iteratorINS9_11use_defaultEEEfNS9_4plusIvEEfEEDaPvRmT3_T4_T5_mT6_P12ihipStream_tbENKUlT_T0_E_clISt17integral_constantIbLb1EESW_IbLb0EEEEDaSS_ST_EUlSS_E0_NS1_11comp_targetILNS1_3genE0ELNS1_11target_archE4294967295ELNS1_3gpuE0ELNS1_3repE0EEENS1_30default_config_static_selectorELNS0_4arch9wavefront6targetE1EEEvT1_,"axG",@progbits,_ZN7rocprim17ROCPRIM_400000_NS6detail17trampoline_kernelINS0_14default_configENS1_20scan_config_selectorIfEEZZNS1_9scan_implILNS1_25lookback_scan_determinismE0ELb1ELb1ES3_N6thrust23THRUST_200600_302600_NS6detail15normal_iteratorINS9_10device_ptrIfEEEENS9_16discard_iteratorINS9_11use_defaultEEEfNS9_4plusIvEEfEEDaPvRmT3_T4_T5_mT6_P12ihipStream_tbENKUlT_T0_E_clISt17integral_constantIbLb1EESW_IbLb0EEEEDaSS_ST_EUlSS_E0_NS1_11comp_targetILNS1_3genE0ELNS1_11target_archE4294967295ELNS1_3gpuE0ELNS1_3repE0EEENS1_30default_config_static_selectorELNS0_4arch9wavefront6targetE1EEEvT1_,comdat
	.protected	_ZN7rocprim17ROCPRIM_400000_NS6detail17trampoline_kernelINS0_14default_configENS1_20scan_config_selectorIfEEZZNS1_9scan_implILNS1_25lookback_scan_determinismE0ELb1ELb1ES3_N6thrust23THRUST_200600_302600_NS6detail15normal_iteratorINS9_10device_ptrIfEEEENS9_16discard_iteratorINS9_11use_defaultEEEfNS9_4plusIvEEfEEDaPvRmT3_T4_T5_mT6_P12ihipStream_tbENKUlT_T0_E_clISt17integral_constantIbLb1EESW_IbLb0EEEEDaSS_ST_EUlSS_E0_NS1_11comp_targetILNS1_3genE0ELNS1_11target_archE4294967295ELNS1_3gpuE0ELNS1_3repE0EEENS1_30default_config_static_selectorELNS0_4arch9wavefront6targetE1EEEvT1_ ; -- Begin function _ZN7rocprim17ROCPRIM_400000_NS6detail17trampoline_kernelINS0_14default_configENS1_20scan_config_selectorIfEEZZNS1_9scan_implILNS1_25lookback_scan_determinismE0ELb1ELb1ES3_N6thrust23THRUST_200600_302600_NS6detail15normal_iteratorINS9_10device_ptrIfEEEENS9_16discard_iteratorINS9_11use_defaultEEEfNS9_4plusIvEEfEEDaPvRmT3_T4_T5_mT6_P12ihipStream_tbENKUlT_T0_E_clISt17integral_constantIbLb1EESW_IbLb0EEEEDaSS_ST_EUlSS_E0_NS1_11comp_targetILNS1_3genE0ELNS1_11target_archE4294967295ELNS1_3gpuE0ELNS1_3repE0EEENS1_30default_config_static_selectorELNS0_4arch9wavefront6targetE1EEEvT1_
	.globl	_ZN7rocprim17ROCPRIM_400000_NS6detail17trampoline_kernelINS0_14default_configENS1_20scan_config_selectorIfEEZZNS1_9scan_implILNS1_25lookback_scan_determinismE0ELb1ELb1ES3_N6thrust23THRUST_200600_302600_NS6detail15normal_iteratorINS9_10device_ptrIfEEEENS9_16discard_iteratorINS9_11use_defaultEEEfNS9_4plusIvEEfEEDaPvRmT3_T4_T5_mT6_P12ihipStream_tbENKUlT_T0_E_clISt17integral_constantIbLb1EESW_IbLb0EEEEDaSS_ST_EUlSS_E0_NS1_11comp_targetILNS1_3genE0ELNS1_11target_archE4294967295ELNS1_3gpuE0ELNS1_3repE0EEENS1_30default_config_static_selectorELNS0_4arch9wavefront6targetE1EEEvT1_
	.p2align	8
	.type	_ZN7rocprim17ROCPRIM_400000_NS6detail17trampoline_kernelINS0_14default_configENS1_20scan_config_selectorIfEEZZNS1_9scan_implILNS1_25lookback_scan_determinismE0ELb1ELb1ES3_N6thrust23THRUST_200600_302600_NS6detail15normal_iteratorINS9_10device_ptrIfEEEENS9_16discard_iteratorINS9_11use_defaultEEEfNS9_4plusIvEEfEEDaPvRmT3_T4_T5_mT6_P12ihipStream_tbENKUlT_T0_E_clISt17integral_constantIbLb1EESW_IbLb0EEEEDaSS_ST_EUlSS_E0_NS1_11comp_targetILNS1_3genE0ELNS1_11target_archE4294967295ELNS1_3gpuE0ELNS1_3repE0EEENS1_30default_config_static_selectorELNS0_4arch9wavefront6targetE1EEEvT1_,@function
_ZN7rocprim17ROCPRIM_400000_NS6detail17trampoline_kernelINS0_14default_configENS1_20scan_config_selectorIfEEZZNS1_9scan_implILNS1_25lookback_scan_determinismE0ELb1ELb1ES3_N6thrust23THRUST_200600_302600_NS6detail15normal_iteratorINS9_10device_ptrIfEEEENS9_16discard_iteratorINS9_11use_defaultEEEfNS9_4plusIvEEfEEDaPvRmT3_T4_T5_mT6_P12ihipStream_tbENKUlT_T0_E_clISt17integral_constantIbLb1EESW_IbLb0EEEEDaSS_ST_EUlSS_E0_NS1_11comp_targetILNS1_3genE0ELNS1_11target_archE4294967295ELNS1_3gpuE0ELNS1_3repE0EEENS1_30default_config_static_selectorELNS0_4arch9wavefront6targetE1EEEvT1_: ; @_ZN7rocprim17ROCPRIM_400000_NS6detail17trampoline_kernelINS0_14default_configENS1_20scan_config_selectorIfEEZZNS1_9scan_implILNS1_25lookback_scan_determinismE0ELb1ELb1ES3_N6thrust23THRUST_200600_302600_NS6detail15normal_iteratorINS9_10device_ptrIfEEEENS9_16discard_iteratorINS9_11use_defaultEEEfNS9_4plusIvEEfEEDaPvRmT3_T4_T5_mT6_P12ihipStream_tbENKUlT_T0_E_clISt17integral_constantIbLb1EESW_IbLb0EEEEDaSS_ST_EUlSS_E0_NS1_11comp_targetILNS1_3genE0ELNS1_11target_archE4294967295ELNS1_3gpuE0ELNS1_3repE0EEENS1_30default_config_static_selectorELNS0_4arch9wavefront6targetE1EEEvT1_
; %bb.0:
	.section	.rodata,"a",@progbits
	.p2align	6, 0x0
	.amdhsa_kernel _ZN7rocprim17ROCPRIM_400000_NS6detail17trampoline_kernelINS0_14default_configENS1_20scan_config_selectorIfEEZZNS1_9scan_implILNS1_25lookback_scan_determinismE0ELb1ELb1ES3_N6thrust23THRUST_200600_302600_NS6detail15normal_iteratorINS9_10device_ptrIfEEEENS9_16discard_iteratorINS9_11use_defaultEEEfNS9_4plusIvEEfEEDaPvRmT3_T4_T5_mT6_P12ihipStream_tbENKUlT_T0_E_clISt17integral_constantIbLb1EESW_IbLb0EEEEDaSS_ST_EUlSS_E0_NS1_11comp_targetILNS1_3genE0ELNS1_11target_archE4294967295ELNS1_3gpuE0ELNS1_3repE0EEENS1_30default_config_static_selectorELNS0_4arch9wavefront6targetE1EEEvT1_
		.amdhsa_group_segment_fixed_size 0
		.amdhsa_private_segment_fixed_size 0
		.amdhsa_kernarg_size 40
		.amdhsa_user_sgpr_count 6
		.amdhsa_user_sgpr_private_segment_buffer 1
		.amdhsa_user_sgpr_dispatch_ptr 0
		.amdhsa_user_sgpr_queue_ptr 0
		.amdhsa_user_sgpr_kernarg_segment_ptr 1
		.amdhsa_user_sgpr_dispatch_id 0
		.amdhsa_user_sgpr_flat_scratch_init 0
		.amdhsa_user_sgpr_kernarg_preload_length 0
		.amdhsa_user_sgpr_kernarg_preload_offset 0
		.amdhsa_user_sgpr_private_segment_size 0
		.amdhsa_uses_dynamic_stack 0
		.amdhsa_system_sgpr_private_segment_wavefront_offset 0
		.amdhsa_system_sgpr_workgroup_id_x 1
		.amdhsa_system_sgpr_workgroup_id_y 0
		.amdhsa_system_sgpr_workgroup_id_z 0
		.amdhsa_system_sgpr_workgroup_info 0
		.amdhsa_system_vgpr_workitem_id 0
		.amdhsa_next_free_vgpr 1
		.amdhsa_next_free_sgpr 0
		.amdhsa_accum_offset 4
		.amdhsa_reserve_vcc 0
		.amdhsa_reserve_flat_scratch 0
		.amdhsa_float_round_mode_32 0
		.amdhsa_float_round_mode_16_64 0
		.amdhsa_float_denorm_mode_32 3
		.amdhsa_float_denorm_mode_16_64 3
		.amdhsa_dx10_clamp 1
		.amdhsa_ieee_mode 1
		.amdhsa_fp16_overflow 0
		.amdhsa_tg_split 0
		.amdhsa_exception_fp_ieee_invalid_op 0
		.amdhsa_exception_fp_denorm_src 0
		.amdhsa_exception_fp_ieee_div_zero 0
		.amdhsa_exception_fp_ieee_overflow 0
		.amdhsa_exception_fp_ieee_underflow 0
		.amdhsa_exception_fp_ieee_inexact 0
		.amdhsa_exception_int_div_zero 0
	.end_amdhsa_kernel
	.section	.text._ZN7rocprim17ROCPRIM_400000_NS6detail17trampoline_kernelINS0_14default_configENS1_20scan_config_selectorIfEEZZNS1_9scan_implILNS1_25lookback_scan_determinismE0ELb1ELb1ES3_N6thrust23THRUST_200600_302600_NS6detail15normal_iteratorINS9_10device_ptrIfEEEENS9_16discard_iteratorINS9_11use_defaultEEEfNS9_4plusIvEEfEEDaPvRmT3_T4_T5_mT6_P12ihipStream_tbENKUlT_T0_E_clISt17integral_constantIbLb1EESW_IbLb0EEEEDaSS_ST_EUlSS_E0_NS1_11comp_targetILNS1_3genE0ELNS1_11target_archE4294967295ELNS1_3gpuE0ELNS1_3repE0EEENS1_30default_config_static_selectorELNS0_4arch9wavefront6targetE1EEEvT1_,"axG",@progbits,_ZN7rocprim17ROCPRIM_400000_NS6detail17trampoline_kernelINS0_14default_configENS1_20scan_config_selectorIfEEZZNS1_9scan_implILNS1_25lookback_scan_determinismE0ELb1ELb1ES3_N6thrust23THRUST_200600_302600_NS6detail15normal_iteratorINS9_10device_ptrIfEEEENS9_16discard_iteratorINS9_11use_defaultEEEfNS9_4plusIvEEfEEDaPvRmT3_T4_T5_mT6_P12ihipStream_tbENKUlT_T0_E_clISt17integral_constantIbLb1EESW_IbLb0EEEEDaSS_ST_EUlSS_E0_NS1_11comp_targetILNS1_3genE0ELNS1_11target_archE4294967295ELNS1_3gpuE0ELNS1_3repE0EEENS1_30default_config_static_selectorELNS0_4arch9wavefront6targetE1EEEvT1_,comdat
.Lfunc_end5123:
	.size	_ZN7rocprim17ROCPRIM_400000_NS6detail17trampoline_kernelINS0_14default_configENS1_20scan_config_selectorIfEEZZNS1_9scan_implILNS1_25lookback_scan_determinismE0ELb1ELb1ES3_N6thrust23THRUST_200600_302600_NS6detail15normal_iteratorINS9_10device_ptrIfEEEENS9_16discard_iteratorINS9_11use_defaultEEEfNS9_4plusIvEEfEEDaPvRmT3_T4_T5_mT6_P12ihipStream_tbENKUlT_T0_E_clISt17integral_constantIbLb1EESW_IbLb0EEEEDaSS_ST_EUlSS_E0_NS1_11comp_targetILNS1_3genE0ELNS1_11target_archE4294967295ELNS1_3gpuE0ELNS1_3repE0EEENS1_30default_config_static_selectorELNS0_4arch9wavefront6targetE1EEEvT1_, .Lfunc_end5123-_ZN7rocprim17ROCPRIM_400000_NS6detail17trampoline_kernelINS0_14default_configENS1_20scan_config_selectorIfEEZZNS1_9scan_implILNS1_25lookback_scan_determinismE0ELb1ELb1ES3_N6thrust23THRUST_200600_302600_NS6detail15normal_iteratorINS9_10device_ptrIfEEEENS9_16discard_iteratorINS9_11use_defaultEEEfNS9_4plusIvEEfEEDaPvRmT3_T4_T5_mT6_P12ihipStream_tbENKUlT_T0_E_clISt17integral_constantIbLb1EESW_IbLb0EEEEDaSS_ST_EUlSS_E0_NS1_11comp_targetILNS1_3genE0ELNS1_11target_archE4294967295ELNS1_3gpuE0ELNS1_3repE0EEENS1_30default_config_static_selectorELNS0_4arch9wavefront6targetE1EEEvT1_
                                        ; -- End function
	.section	.AMDGPU.csdata,"",@progbits
; Kernel info:
; codeLenInByte = 0
; NumSgprs: 4
; NumVgprs: 0
; NumAgprs: 0
; TotalNumVgprs: 0
; ScratchSize: 0
; MemoryBound: 0
; FloatMode: 240
; IeeeMode: 1
; LDSByteSize: 0 bytes/workgroup (compile time only)
; SGPRBlocks: 0
; VGPRBlocks: 0
; NumSGPRsForWavesPerEU: 4
; NumVGPRsForWavesPerEU: 1
; AccumOffset: 4
; Occupancy: 8
; WaveLimiterHint : 0
; COMPUTE_PGM_RSRC2:SCRATCH_EN: 0
; COMPUTE_PGM_RSRC2:USER_SGPR: 6
; COMPUTE_PGM_RSRC2:TRAP_HANDLER: 0
; COMPUTE_PGM_RSRC2:TGID_X_EN: 1
; COMPUTE_PGM_RSRC2:TGID_Y_EN: 0
; COMPUTE_PGM_RSRC2:TGID_Z_EN: 0
; COMPUTE_PGM_RSRC2:TIDIG_COMP_CNT: 0
; COMPUTE_PGM_RSRC3_GFX90A:ACCUM_OFFSET: 0
; COMPUTE_PGM_RSRC3_GFX90A:TG_SPLIT: 0
	.section	.text._ZN7rocprim17ROCPRIM_400000_NS6detail17trampoline_kernelINS0_14default_configENS1_20scan_config_selectorIfEEZZNS1_9scan_implILNS1_25lookback_scan_determinismE0ELb1ELb1ES3_N6thrust23THRUST_200600_302600_NS6detail15normal_iteratorINS9_10device_ptrIfEEEENS9_16discard_iteratorINS9_11use_defaultEEEfNS9_4plusIvEEfEEDaPvRmT3_T4_T5_mT6_P12ihipStream_tbENKUlT_T0_E_clISt17integral_constantIbLb1EESW_IbLb0EEEEDaSS_ST_EUlSS_E0_NS1_11comp_targetILNS1_3genE5ELNS1_11target_archE942ELNS1_3gpuE9ELNS1_3repE0EEENS1_30default_config_static_selectorELNS0_4arch9wavefront6targetE1EEEvT1_,"axG",@progbits,_ZN7rocprim17ROCPRIM_400000_NS6detail17trampoline_kernelINS0_14default_configENS1_20scan_config_selectorIfEEZZNS1_9scan_implILNS1_25lookback_scan_determinismE0ELb1ELb1ES3_N6thrust23THRUST_200600_302600_NS6detail15normal_iteratorINS9_10device_ptrIfEEEENS9_16discard_iteratorINS9_11use_defaultEEEfNS9_4plusIvEEfEEDaPvRmT3_T4_T5_mT6_P12ihipStream_tbENKUlT_T0_E_clISt17integral_constantIbLb1EESW_IbLb0EEEEDaSS_ST_EUlSS_E0_NS1_11comp_targetILNS1_3genE5ELNS1_11target_archE942ELNS1_3gpuE9ELNS1_3repE0EEENS1_30default_config_static_selectorELNS0_4arch9wavefront6targetE1EEEvT1_,comdat
	.protected	_ZN7rocprim17ROCPRIM_400000_NS6detail17trampoline_kernelINS0_14default_configENS1_20scan_config_selectorIfEEZZNS1_9scan_implILNS1_25lookback_scan_determinismE0ELb1ELb1ES3_N6thrust23THRUST_200600_302600_NS6detail15normal_iteratorINS9_10device_ptrIfEEEENS9_16discard_iteratorINS9_11use_defaultEEEfNS9_4plusIvEEfEEDaPvRmT3_T4_T5_mT6_P12ihipStream_tbENKUlT_T0_E_clISt17integral_constantIbLb1EESW_IbLb0EEEEDaSS_ST_EUlSS_E0_NS1_11comp_targetILNS1_3genE5ELNS1_11target_archE942ELNS1_3gpuE9ELNS1_3repE0EEENS1_30default_config_static_selectorELNS0_4arch9wavefront6targetE1EEEvT1_ ; -- Begin function _ZN7rocprim17ROCPRIM_400000_NS6detail17trampoline_kernelINS0_14default_configENS1_20scan_config_selectorIfEEZZNS1_9scan_implILNS1_25lookback_scan_determinismE0ELb1ELb1ES3_N6thrust23THRUST_200600_302600_NS6detail15normal_iteratorINS9_10device_ptrIfEEEENS9_16discard_iteratorINS9_11use_defaultEEEfNS9_4plusIvEEfEEDaPvRmT3_T4_T5_mT6_P12ihipStream_tbENKUlT_T0_E_clISt17integral_constantIbLb1EESW_IbLb0EEEEDaSS_ST_EUlSS_E0_NS1_11comp_targetILNS1_3genE5ELNS1_11target_archE942ELNS1_3gpuE9ELNS1_3repE0EEENS1_30default_config_static_selectorELNS0_4arch9wavefront6targetE1EEEvT1_
	.globl	_ZN7rocprim17ROCPRIM_400000_NS6detail17trampoline_kernelINS0_14default_configENS1_20scan_config_selectorIfEEZZNS1_9scan_implILNS1_25lookback_scan_determinismE0ELb1ELb1ES3_N6thrust23THRUST_200600_302600_NS6detail15normal_iteratorINS9_10device_ptrIfEEEENS9_16discard_iteratorINS9_11use_defaultEEEfNS9_4plusIvEEfEEDaPvRmT3_T4_T5_mT6_P12ihipStream_tbENKUlT_T0_E_clISt17integral_constantIbLb1EESW_IbLb0EEEEDaSS_ST_EUlSS_E0_NS1_11comp_targetILNS1_3genE5ELNS1_11target_archE942ELNS1_3gpuE9ELNS1_3repE0EEENS1_30default_config_static_selectorELNS0_4arch9wavefront6targetE1EEEvT1_
	.p2align	8
	.type	_ZN7rocprim17ROCPRIM_400000_NS6detail17trampoline_kernelINS0_14default_configENS1_20scan_config_selectorIfEEZZNS1_9scan_implILNS1_25lookback_scan_determinismE0ELb1ELb1ES3_N6thrust23THRUST_200600_302600_NS6detail15normal_iteratorINS9_10device_ptrIfEEEENS9_16discard_iteratorINS9_11use_defaultEEEfNS9_4plusIvEEfEEDaPvRmT3_T4_T5_mT6_P12ihipStream_tbENKUlT_T0_E_clISt17integral_constantIbLb1EESW_IbLb0EEEEDaSS_ST_EUlSS_E0_NS1_11comp_targetILNS1_3genE5ELNS1_11target_archE942ELNS1_3gpuE9ELNS1_3repE0EEENS1_30default_config_static_selectorELNS0_4arch9wavefront6targetE1EEEvT1_,@function
_ZN7rocprim17ROCPRIM_400000_NS6detail17trampoline_kernelINS0_14default_configENS1_20scan_config_selectorIfEEZZNS1_9scan_implILNS1_25lookback_scan_determinismE0ELb1ELb1ES3_N6thrust23THRUST_200600_302600_NS6detail15normal_iteratorINS9_10device_ptrIfEEEENS9_16discard_iteratorINS9_11use_defaultEEEfNS9_4plusIvEEfEEDaPvRmT3_T4_T5_mT6_P12ihipStream_tbENKUlT_T0_E_clISt17integral_constantIbLb1EESW_IbLb0EEEEDaSS_ST_EUlSS_E0_NS1_11comp_targetILNS1_3genE5ELNS1_11target_archE942ELNS1_3gpuE9ELNS1_3repE0EEENS1_30default_config_static_selectorELNS0_4arch9wavefront6targetE1EEEvT1_: ; @_ZN7rocprim17ROCPRIM_400000_NS6detail17trampoline_kernelINS0_14default_configENS1_20scan_config_selectorIfEEZZNS1_9scan_implILNS1_25lookback_scan_determinismE0ELb1ELb1ES3_N6thrust23THRUST_200600_302600_NS6detail15normal_iteratorINS9_10device_ptrIfEEEENS9_16discard_iteratorINS9_11use_defaultEEEfNS9_4plusIvEEfEEDaPvRmT3_T4_T5_mT6_P12ihipStream_tbENKUlT_T0_E_clISt17integral_constantIbLb1EESW_IbLb0EEEEDaSS_ST_EUlSS_E0_NS1_11comp_targetILNS1_3genE5ELNS1_11target_archE942ELNS1_3gpuE9ELNS1_3repE0EEENS1_30default_config_static_selectorELNS0_4arch9wavefront6targetE1EEEvT1_
; %bb.0:
	.section	.rodata,"a",@progbits
	.p2align	6, 0x0
	.amdhsa_kernel _ZN7rocprim17ROCPRIM_400000_NS6detail17trampoline_kernelINS0_14default_configENS1_20scan_config_selectorIfEEZZNS1_9scan_implILNS1_25lookback_scan_determinismE0ELb1ELb1ES3_N6thrust23THRUST_200600_302600_NS6detail15normal_iteratorINS9_10device_ptrIfEEEENS9_16discard_iteratorINS9_11use_defaultEEEfNS9_4plusIvEEfEEDaPvRmT3_T4_T5_mT6_P12ihipStream_tbENKUlT_T0_E_clISt17integral_constantIbLb1EESW_IbLb0EEEEDaSS_ST_EUlSS_E0_NS1_11comp_targetILNS1_3genE5ELNS1_11target_archE942ELNS1_3gpuE9ELNS1_3repE0EEENS1_30default_config_static_selectorELNS0_4arch9wavefront6targetE1EEEvT1_
		.amdhsa_group_segment_fixed_size 0
		.amdhsa_private_segment_fixed_size 0
		.amdhsa_kernarg_size 40
		.amdhsa_user_sgpr_count 6
		.amdhsa_user_sgpr_private_segment_buffer 1
		.amdhsa_user_sgpr_dispatch_ptr 0
		.amdhsa_user_sgpr_queue_ptr 0
		.amdhsa_user_sgpr_kernarg_segment_ptr 1
		.amdhsa_user_sgpr_dispatch_id 0
		.amdhsa_user_sgpr_flat_scratch_init 0
		.amdhsa_user_sgpr_kernarg_preload_length 0
		.amdhsa_user_sgpr_kernarg_preload_offset 0
		.amdhsa_user_sgpr_private_segment_size 0
		.amdhsa_uses_dynamic_stack 0
		.amdhsa_system_sgpr_private_segment_wavefront_offset 0
		.amdhsa_system_sgpr_workgroup_id_x 1
		.amdhsa_system_sgpr_workgroup_id_y 0
		.amdhsa_system_sgpr_workgroup_id_z 0
		.amdhsa_system_sgpr_workgroup_info 0
		.amdhsa_system_vgpr_workitem_id 0
		.amdhsa_next_free_vgpr 1
		.amdhsa_next_free_sgpr 0
		.amdhsa_accum_offset 4
		.amdhsa_reserve_vcc 0
		.amdhsa_reserve_flat_scratch 0
		.amdhsa_float_round_mode_32 0
		.amdhsa_float_round_mode_16_64 0
		.amdhsa_float_denorm_mode_32 3
		.amdhsa_float_denorm_mode_16_64 3
		.amdhsa_dx10_clamp 1
		.amdhsa_ieee_mode 1
		.amdhsa_fp16_overflow 0
		.amdhsa_tg_split 0
		.amdhsa_exception_fp_ieee_invalid_op 0
		.amdhsa_exception_fp_denorm_src 0
		.amdhsa_exception_fp_ieee_div_zero 0
		.amdhsa_exception_fp_ieee_overflow 0
		.amdhsa_exception_fp_ieee_underflow 0
		.amdhsa_exception_fp_ieee_inexact 0
		.amdhsa_exception_int_div_zero 0
	.end_amdhsa_kernel
	.section	.text._ZN7rocprim17ROCPRIM_400000_NS6detail17trampoline_kernelINS0_14default_configENS1_20scan_config_selectorIfEEZZNS1_9scan_implILNS1_25lookback_scan_determinismE0ELb1ELb1ES3_N6thrust23THRUST_200600_302600_NS6detail15normal_iteratorINS9_10device_ptrIfEEEENS9_16discard_iteratorINS9_11use_defaultEEEfNS9_4plusIvEEfEEDaPvRmT3_T4_T5_mT6_P12ihipStream_tbENKUlT_T0_E_clISt17integral_constantIbLb1EESW_IbLb0EEEEDaSS_ST_EUlSS_E0_NS1_11comp_targetILNS1_3genE5ELNS1_11target_archE942ELNS1_3gpuE9ELNS1_3repE0EEENS1_30default_config_static_selectorELNS0_4arch9wavefront6targetE1EEEvT1_,"axG",@progbits,_ZN7rocprim17ROCPRIM_400000_NS6detail17trampoline_kernelINS0_14default_configENS1_20scan_config_selectorIfEEZZNS1_9scan_implILNS1_25lookback_scan_determinismE0ELb1ELb1ES3_N6thrust23THRUST_200600_302600_NS6detail15normal_iteratorINS9_10device_ptrIfEEEENS9_16discard_iteratorINS9_11use_defaultEEEfNS9_4plusIvEEfEEDaPvRmT3_T4_T5_mT6_P12ihipStream_tbENKUlT_T0_E_clISt17integral_constantIbLb1EESW_IbLb0EEEEDaSS_ST_EUlSS_E0_NS1_11comp_targetILNS1_3genE5ELNS1_11target_archE942ELNS1_3gpuE9ELNS1_3repE0EEENS1_30default_config_static_selectorELNS0_4arch9wavefront6targetE1EEEvT1_,comdat
.Lfunc_end5124:
	.size	_ZN7rocprim17ROCPRIM_400000_NS6detail17trampoline_kernelINS0_14default_configENS1_20scan_config_selectorIfEEZZNS1_9scan_implILNS1_25lookback_scan_determinismE0ELb1ELb1ES3_N6thrust23THRUST_200600_302600_NS6detail15normal_iteratorINS9_10device_ptrIfEEEENS9_16discard_iteratorINS9_11use_defaultEEEfNS9_4plusIvEEfEEDaPvRmT3_T4_T5_mT6_P12ihipStream_tbENKUlT_T0_E_clISt17integral_constantIbLb1EESW_IbLb0EEEEDaSS_ST_EUlSS_E0_NS1_11comp_targetILNS1_3genE5ELNS1_11target_archE942ELNS1_3gpuE9ELNS1_3repE0EEENS1_30default_config_static_selectorELNS0_4arch9wavefront6targetE1EEEvT1_, .Lfunc_end5124-_ZN7rocprim17ROCPRIM_400000_NS6detail17trampoline_kernelINS0_14default_configENS1_20scan_config_selectorIfEEZZNS1_9scan_implILNS1_25lookback_scan_determinismE0ELb1ELb1ES3_N6thrust23THRUST_200600_302600_NS6detail15normal_iteratorINS9_10device_ptrIfEEEENS9_16discard_iteratorINS9_11use_defaultEEEfNS9_4plusIvEEfEEDaPvRmT3_T4_T5_mT6_P12ihipStream_tbENKUlT_T0_E_clISt17integral_constantIbLb1EESW_IbLb0EEEEDaSS_ST_EUlSS_E0_NS1_11comp_targetILNS1_3genE5ELNS1_11target_archE942ELNS1_3gpuE9ELNS1_3repE0EEENS1_30default_config_static_selectorELNS0_4arch9wavefront6targetE1EEEvT1_
                                        ; -- End function
	.section	.AMDGPU.csdata,"",@progbits
; Kernel info:
; codeLenInByte = 0
; NumSgprs: 4
; NumVgprs: 0
; NumAgprs: 0
; TotalNumVgprs: 0
; ScratchSize: 0
; MemoryBound: 0
; FloatMode: 240
; IeeeMode: 1
; LDSByteSize: 0 bytes/workgroup (compile time only)
; SGPRBlocks: 0
; VGPRBlocks: 0
; NumSGPRsForWavesPerEU: 4
; NumVGPRsForWavesPerEU: 1
; AccumOffset: 4
; Occupancy: 8
; WaveLimiterHint : 0
; COMPUTE_PGM_RSRC2:SCRATCH_EN: 0
; COMPUTE_PGM_RSRC2:USER_SGPR: 6
; COMPUTE_PGM_RSRC2:TRAP_HANDLER: 0
; COMPUTE_PGM_RSRC2:TGID_X_EN: 1
; COMPUTE_PGM_RSRC2:TGID_Y_EN: 0
; COMPUTE_PGM_RSRC2:TGID_Z_EN: 0
; COMPUTE_PGM_RSRC2:TIDIG_COMP_CNT: 0
; COMPUTE_PGM_RSRC3_GFX90A:ACCUM_OFFSET: 0
; COMPUTE_PGM_RSRC3_GFX90A:TG_SPLIT: 0
	.section	.text._ZN7rocprim17ROCPRIM_400000_NS6detail17trampoline_kernelINS0_14default_configENS1_20scan_config_selectorIfEEZZNS1_9scan_implILNS1_25lookback_scan_determinismE0ELb1ELb1ES3_N6thrust23THRUST_200600_302600_NS6detail15normal_iteratorINS9_10device_ptrIfEEEENS9_16discard_iteratorINS9_11use_defaultEEEfNS9_4plusIvEEfEEDaPvRmT3_T4_T5_mT6_P12ihipStream_tbENKUlT_T0_E_clISt17integral_constantIbLb1EESW_IbLb0EEEEDaSS_ST_EUlSS_E0_NS1_11comp_targetILNS1_3genE4ELNS1_11target_archE910ELNS1_3gpuE8ELNS1_3repE0EEENS1_30default_config_static_selectorELNS0_4arch9wavefront6targetE1EEEvT1_,"axG",@progbits,_ZN7rocprim17ROCPRIM_400000_NS6detail17trampoline_kernelINS0_14default_configENS1_20scan_config_selectorIfEEZZNS1_9scan_implILNS1_25lookback_scan_determinismE0ELb1ELb1ES3_N6thrust23THRUST_200600_302600_NS6detail15normal_iteratorINS9_10device_ptrIfEEEENS9_16discard_iteratorINS9_11use_defaultEEEfNS9_4plusIvEEfEEDaPvRmT3_T4_T5_mT6_P12ihipStream_tbENKUlT_T0_E_clISt17integral_constantIbLb1EESW_IbLb0EEEEDaSS_ST_EUlSS_E0_NS1_11comp_targetILNS1_3genE4ELNS1_11target_archE910ELNS1_3gpuE8ELNS1_3repE0EEENS1_30default_config_static_selectorELNS0_4arch9wavefront6targetE1EEEvT1_,comdat
	.protected	_ZN7rocprim17ROCPRIM_400000_NS6detail17trampoline_kernelINS0_14default_configENS1_20scan_config_selectorIfEEZZNS1_9scan_implILNS1_25lookback_scan_determinismE0ELb1ELb1ES3_N6thrust23THRUST_200600_302600_NS6detail15normal_iteratorINS9_10device_ptrIfEEEENS9_16discard_iteratorINS9_11use_defaultEEEfNS9_4plusIvEEfEEDaPvRmT3_T4_T5_mT6_P12ihipStream_tbENKUlT_T0_E_clISt17integral_constantIbLb1EESW_IbLb0EEEEDaSS_ST_EUlSS_E0_NS1_11comp_targetILNS1_3genE4ELNS1_11target_archE910ELNS1_3gpuE8ELNS1_3repE0EEENS1_30default_config_static_selectorELNS0_4arch9wavefront6targetE1EEEvT1_ ; -- Begin function _ZN7rocprim17ROCPRIM_400000_NS6detail17trampoline_kernelINS0_14default_configENS1_20scan_config_selectorIfEEZZNS1_9scan_implILNS1_25lookback_scan_determinismE0ELb1ELb1ES3_N6thrust23THRUST_200600_302600_NS6detail15normal_iteratorINS9_10device_ptrIfEEEENS9_16discard_iteratorINS9_11use_defaultEEEfNS9_4plusIvEEfEEDaPvRmT3_T4_T5_mT6_P12ihipStream_tbENKUlT_T0_E_clISt17integral_constantIbLb1EESW_IbLb0EEEEDaSS_ST_EUlSS_E0_NS1_11comp_targetILNS1_3genE4ELNS1_11target_archE910ELNS1_3gpuE8ELNS1_3repE0EEENS1_30default_config_static_selectorELNS0_4arch9wavefront6targetE1EEEvT1_
	.globl	_ZN7rocprim17ROCPRIM_400000_NS6detail17trampoline_kernelINS0_14default_configENS1_20scan_config_selectorIfEEZZNS1_9scan_implILNS1_25lookback_scan_determinismE0ELb1ELb1ES3_N6thrust23THRUST_200600_302600_NS6detail15normal_iteratorINS9_10device_ptrIfEEEENS9_16discard_iteratorINS9_11use_defaultEEEfNS9_4plusIvEEfEEDaPvRmT3_T4_T5_mT6_P12ihipStream_tbENKUlT_T0_E_clISt17integral_constantIbLb1EESW_IbLb0EEEEDaSS_ST_EUlSS_E0_NS1_11comp_targetILNS1_3genE4ELNS1_11target_archE910ELNS1_3gpuE8ELNS1_3repE0EEENS1_30default_config_static_selectorELNS0_4arch9wavefront6targetE1EEEvT1_
	.p2align	8
	.type	_ZN7rocprim17ROCPRIM_400000_NS6detail17trampoline_kernelINS0_14default_configENS1_20scan_config_selectorIfEEZZNS1_9scan_implILNS1_25lookback_scan_determinismE0ELb1ELb1ES3_N6thrust23THRUST_200600_302600_NS6detail15normal_iteratorINS9_10device_ptrIfEEEENS9_16discard_iteratorINS9_11use_defaultEEEfNS9_4plusIvEEfEEDaPvRmT3_T4_T5_mT6_P12ihipStream_tbENKUlT_T0_E_clISt17integral_constantIbLb1EESW_IbLb0EEEEDaSS_ST_EUlSS_E0_NS1_11comp_targetILNS1_3genE4ELNS1_11target_archE910ELNS1_3gpuE8ELNS1_3repE0EEENS1_30default_config_static_selectorELNS0_4arch9wavefront6targetE1EEEvT1_,@function
_ZN7rocprim17ROCPRIM_400000_NS6detail17trampoline_kernelINS0_14default_configENS1_20scan_config_selectorIfEEZZNS1_9scan_implILNS1_25lookback_scan_determinismE0ELb1ELb1ES3_N6thrust23THRUST_200600_302600_NS6detail15normal_iteratorINS9_10device_ptrIfEEEENS9_16discard_iteratorINS9_11use_defaultEEEfNS9_4plusIvEEfEEDaPvRmT3_T4_T5_mT6_P12ihipStream_tbENKUlT_T0_E_clISt17integral_constantIbLb1EESW_IbLb0EEEEDaSS_ST_EUlSS_E0_NS1_11comp_targetILNS1_3genE4ELNS1_11target_archE910ELNS1_3gpuE8ELNS1_3repE0EEENS1_30default_config_static_selectorELNS0_4arch9wavefront6targetE1EEEvT1_: ; @_ZN7rocprim17ROCPRIM_400000_NS6detail17trampoline_kernelINS0_14default_configENS1_20scan_config_selectorIfEEZZNS1_9scan_implILNS1_25lookback_scan_determinismE0ELb1ELb1ES3_N6thrust23THRUST_200600_302600_NS6detail15normal_iteratorINS9_10device_ptrIfEEEENS9_16discard_iteratorINS9_11use_defaultEEEfNS9_4plusIvEEfEEDaPvRmT3_T4_T5_mT6_P12ihipStream_tbENKUlT_T0_E_clISt17integral_constantIbLb1EESW_IbLb0EEEEDaSS_ST_EUlSS_E0_NS1_11comp_targetILNS1_3genE4ELNS1_11target_archE910ELNS1_3gpuE8ELNS1_3repE0EEENS1_30default_config_static_selectorELNS0_4arch9wavefront6targetE1EEEvT1_
; %bb.0:
	s_load_dwordx4 s[0:3], s[4:5], 0x0
	v_lshlrev_b32_e32 v1, 2, v0
	s_waitcnt lgkmcnt(0)
	s_load_dword s3, s[0:1], 0x0
	v_cmp_gt_u32_e32 vcc, s2, v0
	s_waitcnt lgkmcnt(0)
	v_mov_b32_e32 v2, s3
	s_and_saveexec_b64 s[6:7], vcc
	s_cbranch_execz .LBB5125_2
; %bb.1:
	global_load_dword v2, v1, s[0:1]
.LBB5125_2:
	s_or_b64 exec, exec, s[6:7]
	v_or_b32_e32 v3, 0x80, v0
	v_cmp_gt_u32_e32 vcc, s2, v3
	v_mov_b32_e32 v3, s3
	s_and_saveexec_b64 s[6:7], vcc
	s_cbranch_execz .LBB5125_4
; %bb.3:
	global_load_dword v3, v1, s[0:1] offset:512
.LBB5125_4:
	s_or_b64 exec, exec, s[6:7]
	v_or_b32_e32 v4, 0x100, v0
	v_cmp_gt_u32_e32 vcc, s2, v4
	v_mov_b32_e32 v4, s3
	s_and_saveexec_b64 s[6:7], vcc
	s_cbranch_execz .LBB5125_6
; %bb.5:
	global_load_dword v4, v1, s[0:1] offset:1024
.LBB5125_6:
	s_or_b64 exec, exec, s[6:7]
	v_or_b32_e32 v5, 0x180, v0
	v_cmp_gt_u32_e32 vcc, s2, v5
	v_mov_b32_e32 v5, s3
	s_and_saveexec_b64 s[6:7], vcc
	s_cbranch_execz .LBB5125_8
; %bb.7:
	global_load_dword v5, v1, s[0:1] offset:1536
.LBB5125_8:
	s_or_b64 exec, exec, s[6:7]
	v_or_b32_e32 v6, 0x200, v0
	v_cmp_gt_u32_e32 vcc, s2, v6
	v_mov_b32_e32 v6, s3
	s_and_saveexec_b64 s[6:7], vcc
	s_cbranch_execz .LBB5125_10
; %bb.9:
	global_load_dword v6, v1, s[0:1] offset:2048
.LBB5125_10:
	s_or_b64 exec, exec, s[6:7]
	v_or_b32_e32 v7, 0x280, v0
	v_cmp_gt_u32_e32 vcc, s2, v7
	v_mov_b32_e32 v7, s3
	s_and_saveexec_b64 s[6:7], vcc
	s_cbranch_execz .LBB5125_12
; %bb.11:
	global_load_dword v7, v1, s[0:1] offset:2560
.LBB5125_12:
	s_or_b64 exec, exec, s[6:7]
	v_or_b32_e32 v8, 0x300, v0
	v_cmp_gt_u32_e32 vcc, s2, v8
	v_mov_b32_e32 v8, s3
	s_and_saveexec_b64 s[6:7], vcc
	s_cbranch_execz .LBB5125_14
; %bb.13:
	global_load_dword v8, v1, s[0:1] offset:3072
.LBB5125_14:
	s_or_b64 exec, exec, s[6:7]
	v_or_b32_e32 v9, 0x380, v0
	v_cmp_gt_u32_e32 vcc, s2, v9
	v_mov_b32_e32 v9, s3
	s_and_saveexec_b64 s[6:7], vcc
	s_cbranch_execz .LBB5125_16
; %bb.15:
	global_load_dword v9, v1, s[0:1] offset:3584
.LBB5125_16:
	s_or_b64 exec, exec, s[6:7]
	v_or_b32_e32 v11, 0x400, v0
	v_cmp_gt_u32_e32 vcc, s2, v11
	v_mov_b32_e32 v10, s3
	s_and_saveexec_b64 s[6:7], vcc
	s_cbranch_execz .LBB5125_18
; %bb.17:
	v_lshlrev_b32_e32 v10, 2, v11
	global_load_dword v10, v10, s[0:1]
.LBB5125_18:
	s_or_b64 exec, exec, s[6:7]
	v_or_b32_e32 v12, 0x480, v0
	v_cmp_gt_u32_e32 vcc, s2, v12
	v_mov_b32_e32 v11, s3
	s_and_saveexec_b64 s[6:7], vcc
	s_cbranch_execz .LBB5125_20
; %bb.19:
	v_lshlrev_b32_e32 v11, 2, v12
	global_load_dword v11, v11, s[0:1]
.LBB5125_20:
	;; [unrolled: 10-line block ×5, first 2 shown]
	s_or_b64 exec, exec, s[6:7]
	s_load_dword s6, s[4:5], 0x10
	v_or_b32_e32 v16, 0x680, v0
	v_cmp_gt_u32_e32 vcc, s2, v16
	v_mov_b32_e32 v15, s3
	s_and_saveexec_b64 s[2:3], vcc
	s_cbranch_execz .LBB5125_28
; %bb.27:
	v_lshlrev_b32_e32 v15, 2, v16
	global_load_dword v15, v15, s[0:1]
.LBB5125_28:
	s_or_b64 exec, exec, s[2:3]
	s_waitcnt vmcnt(0)
	ds_write2st64_b32 v1, v2, v3 offset1:2
	ds_write2st64_b32 v1, v4, v5 offset0:4 offset1:6
	ds_write2st64_b32 v1, v6, v7 offset0:8 offset1:10
	;; [unrolled: 1-line block ×6, first 2 shown]
	v_mad_u32_u24 v14, v0, 52, v1
	s_waitcnt lgkmcnt(0)
	s_barrier
	ds_read2_b64 v[10:13], v14 offset1:1
	ds_read2_b64 v[6:9], v14 offset0:2 offset1:3
	ds_read2_b64 v[2:5], v14 offset0:4 offset1:5
	ds_read_b64 v[14:15], v14 offset:48
	v_cmp_gt_u32_e32 vcc, 64, v0
	s_waitcnt lgkmcnt(3)
	v_add_f32_e32 v16, v10, v11
	v_add_f32_e32 v16, v16, v12
	v_add_f32_e32 v16, v16, v13
	s_waitcnt lgkmcnt(2)
	v_add_f32_e32 v16, v16, v6
	v_add_f32_e32 v16, v16, v7
	v_add_f32_e32 v16, v16, v8
	v_add_f32_e32 v16, v16, v9
	s_waitcnt lgkmcnt(1)
	v_add_f32_e32 v16, v16, v2
	;; [unrolled: 5-line block ×3, first 2 shown]
	v_add_f32_e32 v15, v16, v15
	v_lshrrev_b32_e32 v16, 3, v0
	v_and_b32_e32 v16, 12, v16
	v_add_u32_e32 v16, v1, v16
	s_barrier
	ds_write_b32 v16, v15
	s_waitcnt lgkmcnt(0)
	s_barrier
	s_and_saveexec_b64 s[4:5], vcc
	s_cbranch_execz .LBB5125_30
; %bb.29:
	v_lshlrev_b32_e32 v16, 1, v0
	v_lshrrev_b32_e32 v17, 4, v0
	v_add_lshl_u32 v18, v17, v16, 2
	ds_read2_b32 v[16:17], v18 offset1:1
	v_mbcnt_lo_u32_b32 v19, -1, 0
	v_mbcnt_hi_u32_b32 v19, -1, v19
	v_and_b32_e32 v20, 15, v19
	v_cmp_eq_u32_e32 vcc, 0, v20
	s_waitcnt lgkmcnt(0)
	v_add_f32_e32 v17, v16, v17
	v_cmp_lt_u32_e64 s[0:1], 3, v20
	v_cmp_lt_u32_e64 s[2:3], 31, v19
	v_mov_b32_dpp v21, v17 row_shr:1 row_mask:0xf bank_mask:0xf
	v_add_f32_e32 v21, v17, v21
	v_cndmask_b32_e32 v17, v21, v17, vcc
	v_cmp_lt_u32_e32 vcc, 1, v20
	s_nop 0
	v_mov_b32_dpp v21, v17 row_shr:2 row_mask:0xf bank_mask:0xf
	v_add_f32_e32 v21, v17, v21
	v_cndmask_b32_e32 v21, v17, v21, vcc
	; wave barrier
	s_nop 1
	v_mov_b32_dpp v22, v21 row_shr:4 row_mask:0xf bank_mask:0xf
	v_add_f32_e32 v22, v21, v22
	v_cndmask_b32_e64 v21, v21, v22, s[0:1]
	v_cmp_lt_u32_e64 s[0:1], 7, v20
	s_nop 0
	v_mov_b32_dpp v22, v21 row_shr:8 row_mask:0xf bank_mask:0xf
	v_add_f32_e32 v22, v21, v22
	v_cndmask_b32_e64 v20, v21, v22, s[0:1]
	v_and_b32_e32 v22, 16, v19
	v_cmp_eq_u32_e64 s[0:1], 0, v22
	v_mov_b32_dpp v21, v20 row_bcast:15 row_mask:0xf bank_mask:0xf
	v_add_f32_e32 v21, v20, v21
	v_cndmask_b32_e64 v20, v21, v20, s[0:1]
	v_cmp_lt_u32_e64 s[0:1], 15, v19
	s_or_b64 vcc, s[0:1], vcc
	v_mov_b32_dpp v21, v20 row_bcast:31 row_mask:0xf bank_mask:0xf
	v_add_f32_e32 v21, v20, v21
	v_cndmask_b32_e64 v20, v20, v21, s[2:3]
	v_cndmask_b32_e32 v17, v17, v20, vcc
	v_add_u32_e32 v20, -1, v19
	v_and_b32_e32 v21, 64, v19
	v_cmp_lt_i32_e32 vcc, v20, v21
	v_cndmask_b32_e32 v19, v20, v19, vcc
	v_lshlrev_b32_e32 v19, 2, v19
	ds_bpermute_b32 v17, v19, v17
	v_cmp_eq_u32_e32 vcc, 0, v0
	s_waitcnt lgkmcnt(0)
	v_add_f32_e32 v16, v16, v17
	v_cndmask_b32_e32 v15, v16, v15, vcc
	ds_write_b32 v18, v15
	; wave barrier
	ds_read_b32 v16, v18 offset:4
	s_waitcnt lgkmcnt(0)
	v_add_f32_e32 v15, v15, v16
	ds_write_b32 v18, v15 offset:4
.LBB5125_30:
	s_or_b64 exec, exec, s[4:5]
	v_mul_u32_u24_e32 v15, 52, v0
	v_cmp_ne_u32_e32 vcc, 0, v0
	v_mov_b32_e32 v16, s6
	s_waitcnt lgkmcnt(0)
	s_barrier
	s_and_saveexec_b64 s[0:1], vcc
	s_cbranch_execz .LBB5125_32
; %bb.31:
	v_add_u32_e32 v0, -1, v0
	v_lshrrev_b32_e32 v16, 5, v0
	v_add_lshl_u32 v0, v16, v0, 2
	ds_read_b32 v0, v0
	s_waitcnt lgkmcnt(0)
	v_add_f32_e32 v16, s6, v0
.LBB5125_32:
	s_or_b64 exec, exec, s[0:1]
	v_add_f32_e32 v17, v10, v16
	v_add_f32_e32 v10, v11, v17
	;; [unrolled: 1-line block ×12, first 2 shown]
	v_add_u32_e32 v0, v1, v15
	v_add_f32_e32 v5, v14, v4
	s_barrier
	ds_write2_b64 v0, v[16:17], v[10:11] offset1:1
	ds_write2_b64 v0, v[12:13], v[6:7] offset0:2 offset1:3
	ds_write2_b64 v0, v[8:9], v[2:3] offset0:4 offset1:5
	ds_write_b64 v0, v[4:5] offset:48
	s_waitcnt lgkmcnt(0)
	s_barrier
	s_endpgm
	.section	.rodata,"a",@progbits
	.p2align	6, 0x0
	.amdhsa_kernel _ZN7rocprim17ROCPRIM_400000_NS6detail17trampoline_kernelINS0_14default_configENS1_20scan_config_selectorIfEEZZNS1_9scan_implILNS1_25lookback_scan_determinismE0ELb1ELb1ES3_N6thrust23THRUST_200600_302600_NS6detail15normal_iteratorINS9_10device_ptrIfEEEENS9_16discard_iteratorINS9_11use_defaultEEEfNS9_4plusIvEEfEEDaPvRmT3_T4_T5_mT6_P12ihipStream_tbENKUlT_T0_E_clISt17integral_constantIbLb1EESW_IbLb0EEEEDaSS_ST_EUlSS_E0_NS1_11comp_targetILNS1_3genE4ELNS1_11target_archE910ELNS1_3gpuE8ELNS1_3repE0EEENS1_30default_config_static_selectorELNS0_4arch9wavefront6targetE1EEEvT1_
		.amdhsa_group_segment_fixed_size 7168
		.amdhsa_private_segment_fixed_size 0
		.amdhsa_kernarg_size 40
		.amdhsa_user_sgpr_count 6
		.amdhsa_user_sgpr_private_segment_buffer 1
		.amdhsa_user_sgpr_dispatch_ptr 0
		.amdhsa_user_sgpr_queue_ptr 0
		.amdhsa_user_sgpr_kernarg_segment_ptr 1
		.amdhsa_user_sgpr_dispatch_id 0
		.amdhsa_user_sgpr_flat_scratch_init 0
		.amdhsa_user_sgpr_kernarg_preload_length 0
		.amdhsa_user_sgpr_kernarg_preload_offset 0
		.amdhsa_user_sgpr_private_segment_size 0
		.amdhsa_uses_dynamic_stack 0
		.amdhsa_system_sgpr_private_segment_wavefront_offset 0
		.amdhsa_system_sgpr_workgroup_id_x 1
		.amdhsa_system_sgpr_workgroup_id_y 0
		.amdhsa_system_sgpr_workgroup_id_z 0
		.amdhsa_system_sgpr_workgroup_info 0
		.amdhsa_system_vgpr_workitem_id 0
		.amdhsa_next_free_vgpr 23
		.amdhsa_next_free_sgpr 8
		.amdhsa_accum_offset 24
		.amdhsa_reserve_vcc 1
		.amdhsa_reserve_flat_scratch 0
		.amdhsa_float_round_mode_32 0
		.amdhsa_float_round_mode_16_64 0
		.amdhsa_float_denorm_mode_32 3
		.amdhsa_float_denorm_mode_16_64 3
		.amdhsa_dx10_clamp 1
		.amdhsa_ieee_mode 1
		.amdhsa_fp16_overflow 0
		.amdhsa_tg_split 0
		.amdhsa_exception_fp_ieee_invalid_op 0
		.amdhsa_exception_fp_denorm_src 0
		.amdhsa_exception_fp_ieee_div_zero 0
		.amdhsa_exception_fp_ieee_overflow 0
		.amdhsa_exception_fp_ieee_underflow 0
		.amdhsa_exception_fp_ieee_inexact 0
		.amdhsa_exception_int_div_zero 0
	.end_amdhsa_kernel
	.section	.text._ZN7rocprim17ROCPRIM_400000_NS6detail17trampoline_kernelINS0_14default_configENS1_20scan_config_selectorIfEEZZNS1_9scan_implILNS1_25lookback_scan_determinismE0ELb1ELb1ES3_N6thrust23THRUST_200600_302600_NS6detail15normal_iteratorINS9_10device_ptrIfEEEENS9_16discard_iteratorINS9_11use_defaultEEEfNS9_4plusIvEEfEEDaPvRmT3_T4_T5_mT6_P12ihipStream_tbENKUlT_T0_E_clISt17integral_constantIbLb1EESW_IbLb0EEEEDaSS_ST_EUlSS_E0_NS1_11comp_targetILNS1_3genE4ELNS1_11target_archE910ELNS1_3gpuE8ELNS1_3repE0EEENS1_30default_config_static_selectorELNS0_4arch9wavefront6targetE1EEEvT1_,"axG",@progbits,_ZN7rocprim17ROCPRIM_400000_NS6detail17trampoline_kernelINS0_14default_configENS1_20scan_config_selectorIfEEZZNS1_9scan_implILNS1_25lookback_scan_determinismE0ELb1ELb1ES3_N6thrust23THRUST_200600_302600_NS6detail15normal_iteratorINS9_10device_ptrIfEEEENS9_16discard_iteratorINS9_11use_defaultEEEfNS9_4plusIvEEfEEDaPvRmT3_T4_T5_mT6_P12ihipStream_tbENKUlT_T0_E_clISt17integral_constantIbLb1EESW_IbLb0EEEEDaSS_ST_EUlSS_E0_NS1_11comp_targetILNS1_3genE4ELNS1_11target_archE910ELNS1_3gpuE8ELNS1_3repE0EEENS1_30default_config_static_selectorELNS0_4arch9wavefront6targetE1EEEvT1_,comdat
.Lfunc_end5125:
	.size	_ZN7rocprim17ROCPRIM_400000_NS6detail17trampoline_kernelINS0_14default_configENS1_20scan_config_selectorIfEEZZNS1_9scan_implILNS1_25lookback_scan_determinismE0ELb1ELb1ES3_N6thrust23THRUST_200600_302600_NS6detail15normal_iteratorINS9_10device_ptrIfEEEENS9_16discard_iteratorINS9_11use_defaultEEEfNS9_4plusIvEEfEEDaPvRmT3_T4_T5_mT6_P12ihipStream_tbENKUlT_T0_E_clISt17integral_constantIbLb1EESW_IbLb0EEEEDaSS_ST_EUlSS_E0_NS1_11comp_targetILNS1_3genE4ELNS1_11target_archE910ELNS1_3gpuE8ELNS1_3repE0EEENS1_30default_config_static_selectorELNS0_4arch9wavefront6targetE1EEEvT1_, .Lfunc_end5125-_ZN7rocprim17ROCPRIM_400000_NS6detail17trampoline_kernelINS0_14default_configENS1_20scan_config_selectorIfEEZZNS1_9scan_implILNS1_25lookback_scan_determinismE0ELb1ELb1ES3_N6thrust23THRUST_200600_302600_NS6detail15normal_iteratorINS9_10device_ptrIfEEEENS9_16discard_iteratorINS9_11use_defaultEEEfNS9_4plusIvEEfEEDaPvRmT3_T4_T5_mT6_P12ihipStream_tbENKUlT_T0_E_clISt17integral_constantIbLb1EESW_IbLb0EEEEDaSS_ST_EUlSS_E0_NS1_11comp_targetILNS1_3genE4ELNS1_11target_archE910ELNS1_3gpuE8ELNS1_3repE0EEENS1_30default_config_static_selectorELNS0_4arch9wavefront6targetE1EEEvT1_
                                        ; -- End function
	.section	.AMDGPU.csdata,"",@progbits
; Kernel info:
; codeLenInByte = 1260
; NumSgprs: 12
; NumVgprs: 23
; NumAgprs: 0
; TotalNumVgprs: 23
; ScratchSize: 0
; MemoryBound: 0
; FloatMode: 240
; IeeeMode: 1
; LDSByteSize: 7168 bytes/workgroup (compile time only)
; SGPRBlocks: 1
; VGPRBlocks: 2
; NumSGPRsForWavesPerEU: 12
; NumVGPRsForWavesPerEU: 23
; AccumOffset: 24
; Occupancy: 5
; WaveLimiterHint : 0
; COMPUTE_PGM_RSRC2:SCRATCH_EN: 0
; COMPUTE_PGM_RSRC2:USER_SGPR: 6
; COMPUTE_PGM_RSRC2:TRAP_HANDLER: 0
; COMPUTE_PGM_RSRC2:TGID_X_EN: 1
; COMPUTE_PGM_RSRC2:TGID_Y_EN: 0
; COMPUTE_PGM_RSRC2:TGID_Z_EN: 0
; COMPUTE_PGM_RSRC2:TIDIG_COMP_CNT: 0
; COMPUTE_PGM_RSRC3_GFX90A:ACCUM_OFFSET: 5
; COMPUTE_PGM_RSRC3_GFX90A:TG_SPLIT: 0
	.section	.text._ZN7rocprim17ROCPRIM_400000_NS6detail17trampoline_kernelINS0_14default_configENS1_20scan_config_selectorIfEEZZNS1_9scan_implILNS1_25lookback_scan_determinismE0ELb1ELb1ES3_N6thrust23THRUST_200600_302600_NS6detail15normal_iteratorINS9_10device_ptrIfEEEENS9_16discard_iteratorINS9_11use_defaultEEEfNS9_4plusIvEEfEEDaPvRmT3_T4_T5_mT6_P12ihipStream_tbENKUlT_T0_E_clISt17integral_constantIbLb1EESW_IbLb0EEEEDaSS_ST_EUlSS_E0_NS1_11comp_targetILNS1_3genE3ELNS1_11target_archE908ELNS1_3gpuE7ELNS1_3repE0EEENS1_30default_config_static_selectorELNS0_4arch9wavefront6targetE1EEEvT1_,"axG",@progbits,_ZN7rocprim17ROCPRIM_400000_NS6detail17trampoline_kernelINS0_14default_configENS1_20scan_config_selectorIfEEZZNS1_9scan_implILNS1_25lookback_scan_determinismE0ELb1ELb1ES3_N6thrust23THRUST_200600_302600_NS6detail15normal_iteratorINS9_10device_ptrIfEEEENS9_16discard_iteratorINS9_11use_defaultEEEfNS9_4plusIvEEfEEDaPvRmT3_T4_T5_mT6_P12ihipStream_tbENKUlT_T0_E_clISt17integral_constantIbLb1EESW_IbLb0EEEEDaSS_ST_EUlSS_E0_NS1_11comp_targetILNS1_3genE3ELNS1_11target_archE908ELNS1_3gpuE7ELNS1_3repE0EEENS1_30default_config_static_selectorELNS0_4arch9wavefront6targetE1EEEvT1_,comdat
	.protected	_ZN7rocprim17ROCPRIM_400000_NS6detail17trampoline_kernelINS0_14default_configENS1_20scan_config_selectorIfEEZZNS1_9scan_implILNS1_25lookback_scan_determinismE0ELb1ELb1ES3_N6thrust23THRUST_200600_302600_NS6detail15normal_iteratorINS9_10device_ptrIfEEEENS9_16discard_iteratorINS9_11use_defaultEEEfNS9_4plusIvEEfEEDaPvRmT3_T4_T5_mT6_P12ihipStream_tbENKUlT_T0_E_clISt17integral_constantIbLb1EESW_IbLb0EEEEDaSS_ST_EUlSS_E0_NS1_11comp_targetILNS1_3genE3ELNS1_11target_archE908ELNS1_3gpuE7ELNS1_3repE0EEENS1_30default_config_static_selectorELNS0_4arch9wavefront6targetE1EEEvT1_ ; -- Begin function _ZN7rocprim17ROCPRIM_400000_NS6detail17trampoline_kernelINS0_14default_configENS1_20scan_config_selectorIfEEZZNS1_9scan_implILNS1_25lookback_scan_determinismE0ELb1ELb1ES3_N6thrust23THRUST_200600_302600_NS6detail15normal_iteratorINS9_10device_ptrIfEEEENS9_16discard_iteratorINS9_11use_defaultEEEfNS9_4plusIvEEfEEDaPvRmT3_T4_T5_mT6_P12ihipStream_tbENKUlT_T0_E_clISt17integral_constantIbLb1EESW_IbLb0EEEEDaSS_ST_EUlSS_E0_NS1_11comp_targetILNS1_3genE3ELNS1_11target_archE908ELNS1_3gpuE7ELNS1_3repE0EEENS1_30default_config_static_selectorELNS0_4arch9wavefront6targetE1EEEvT1_
	.globl	_ZN7rocprim17ROCPRIM_400000_NS6detail17trampoline_kernelINS0_14default_configENS1_20scan_config_selectorIfEEZZNS1_9scan_implILNS1_25lookback_scan_determinismE0ELb1ELb1ES3_N6thrust23THRUST_200600_302600_NS6detail15normal_iteratorINS9_10device_ptrIfEEEENS9_16discard_iteratorINS9_11use_defaultEEEfNS9_4plusIvEEfEEDaPvRmT3_T4_T5_mT6_P12ihipStream_tbENKUlT_T0_E_clISt17integral_constantIbLb1EESW_IbLb0EEEEDaSS_ST_EUlSS_E0_NS1_11comp_targetILNS1_3genE3ELNS1_11target_archE908ELNS1_3gpuE7ELNS1_3repE0EEENS1_30default_config_static_selectorELNS0_4arch9wavefront6targetE1EEEvT1_
	.p2align	8
	.type	_ZN7rocprim17ROCPRIM_400000_NS6detail17trampoline_kernelINS0_14default_configENS1_20scan_config_selectorIfEEZZNS1_9scan_implILNS1_25lookback_scan_determinismE0ELb1ELb1ES3_N6thrust23THRUST_200600_302600_NS6detail15normal_iteratorINS9_10device_ptrIfEEEENS9_16discard_iteratorINS9_11use_defaultEEEfNS9_4plusIvEEfEEDaPvRmT3_T4_T5_mT6_P12ihipStream_tbENKUlT_T0_E_clISt17integral_constantIbLb1EESW_IbLb0EEEEDaSS_ST_EUlSS_E0_NS1_11comp_targetILNS1_3genE3ELNS1_11target_archE908ELNS1_3gpuE7ELNS1_3repE0EEENS1_30default_config_static_selectorELNS0_4arch9wavefront6targetE1EEEvT1_,@function
_ZN7rocprim17ROCPRIM_400000_NS6detail17trampoline_kernelINS0_14default_configENS1_20scan_config_selectorIfEEZZNS1_9scan_implILNS1_25lookback_scan_determinismE0ELb1ELb1ES3_N6thrust23THRUST_200600_302600_NS6detail15normal_iteratorINS9_10device_ptrIfEEEENS9_16discard_iteratorINS9_11use_defaultEEEfNS9_4plusIvEEfEEDaPvRmT3_T4_T5_mT6_P12ihipStream_tbENKUlT_T0_E_clISt17integral_constantIbLb1EESW_IbLb0EEEEDaSS_ST_EUlSS_E0_NS1_11comp_targetILNS1_3genE3ELNS1_11target_archE908ELNS1_3gpuE7ELNS1_3repE0EEENS1_30default_config_static_selectorELNS0_4arch9wavefront6targetE1EEEvT1_: ; @_ZN7rocprim17ROCPRIM_400000_NS6detail17trampoline_kernelINS0_14default_configENS1_20scan_config_selectorIfEEZZNS1_9scan_implILNS1_25lookback_scan_determinismE0ELb1ELb1ES3_N6thrust23THRUST_200600_302600_NS6detail15normal_iteratorINS9_10device_ptrIfEEEENS9_16discard_iteratorINS9_11use_defaultEEEfNS9_4plusIvEEfEEDaPvRmT3_T4_T5_mT6_P12ihipStream_tbENKUlT_T0_E_clISt17integral_constantIbLb1EESW_IbLb0EEEEDaSS_ST_EUlSS_E0_NS1_11comp_targetILNS1_3genE3ELNS1_11target_archE908ELNS1_3gpuE7ELNS1_3repE0EEENS1_30default_config_static_selectorELNS0_4arch9wavefront6targetE1EEEvT1_
; %bb.0:
	.section	.rodata,"a",@progbits
	.p2align	6, 0x0
	.amdhsa_kernel _ZN7rocprim17ROCPRIM_400000_NS6detail17trampoline_kernelINS0_14default_configENS1_20scan_config_selectorIfEEZZNS1_9scan_implILNS1_25lookback_scan_determinismE0ELb1ELb1ES3_N6thrust23THRUST_200600_302600_NS6detail15normal_iteratorINS9_10device_ptrIfEEEENS9_16discard_iteratorINS9_11use_defaultEEEfNS9_4plusIvEEfEEDaPvRmT3_T4_T5_mT6_P12ihipStream_tbENKUlT_T0_E_clISt17integral_constantIbLb1EESW_IbLb0EEEEDaSS_ST_EUlSS_E0_NS1_11comp_targetILNS1_3genE3ELNS1_11target_archE908ELNS1_3gpuE7ELNS1_3repE0EEENS1_30default_config_static_selectorELNS0_4arch9wavefront6targetE1EEEvT1_
		.amdhsa_group_segment_fixed_size 0
		.amdhsa_private_segment_fixed_size 0
		.amdhsa_kernarg_size 40
		.amdhsa_user_sgpr_count 6
		.amdhsa_user_sgpr_private_segment_buffer 1
		.amdhsa_user_sgpr_dispatch_ptr 0
		.amdhsa_user_sgpr_queue_ptr 0
		.amdhsa_user_sgpr_kernarg_segment_ptr 1
		.amdhsa_user_sgpr_dispatch_id 0
		.amdhsa_user_sgpr_flat_scratch_init 0
		.amdhsa_user_sgpr_kernarg_preload_length 0
		.amdhsa_user_sgpr_kernarg_preload_offset 0
		.amdhsa_user_sgpr_private_segment_size 0
		.amdhsa_uses_dynamic_stack 0
		.amdhsa_system_sgpr_private_segment_wavefront_offset 0
		.amdhsa_system_sgpr_workgroup_id_x 1
		.amdhsa_system_sgpr_workgroup_id_y 0
		.amdhsa_system_sgpr_workgroup_id_z 0
		.amdhsa_system_sgpr_workgroup_info 0
		.amdhsa_system_vgpr_workitem_id 0
		.amdhsa_next_free_vgpr 1
		.amdhsa_next_free_sgpr 0
		.amdhsa_accum_offset 4
		.amdhsa_reserve_vcc 0
		.amdhsa_reserve_flat_scratch 0
		.amdhsa_float_round_mode_32 0
		.amdhsa_float_round_mode_16_64 0
		.amdhsa_float_denorm_mode_32 3
		.amdhsa_float_denorm_mode_16_64 3
		.amdhsa_dx10_clamp 1
		.amdhsa_ieee_mode 1
		.amdhsa_fp16_overflow 0
		.amdhsa_tg_split 0
		.amdhsa_exception_fp_ieee_invalid_op 0
		.amdhsa_exception_fp_denorm_src 0
		.amdhsa_exception_fp_ieee_div_zero 0
		.amdhsa_exception_fp_ieee_overflow 0
		.amdhsa_exception_fp_ieee_underflow 0
		.amdhsa_exception_fp_ieee_inexact 0
		.amdhsa_exception_int_div_zero 0
	.end_amdhsa_kernel
	.section	.text._ZN7rocprim17ROCPRIM_400000_NS6detail17trampoline_kernelINS0_14default_configENS1_20scan_config_selectorIfEEZZNS1_9scan_implILNS1_25lookback_scan_determinismE0ELb1ELb1ES3_N6thrust23THRUST_200600_302600_NS6detail15normal_iteratorINS9_10device_ptrIfEEEENS9_16discard_iteratorINS9_11use_defaultEEEfNS9_4plusIvEEfEEDaPvRmT3_T4_T5_mT6_P12ihipStream_tbENKUlT_T0_E_clISt17integral_constantIbLb1EESW_IbLb0EEEEDaSS_ST_EUlSS_E0_NS1_11comp_targetILNS1_3genE3ELNS1_11target_archE908ELNS1_3gpuE7ELNS1_3repE0EEENS1_30default_config_static_selectorELNS0_4arch9wavefront6targetE1EEEvT1_,"axG",@progbits,_ZN7rocprim17ROCPRIM_400000_NS6detail17trampoline_kernelINS0_14default_configENS1_20scan_config_selectorIfEEZZNS1_9scan_implILNS1_25lookback_scan_determinismE0ELb1ELb1ES3_N6thrust23THRUST_200600_302600_NS6detail15normal_iteratorINS9_10device_ptrIfEEEENS9_16discard_iteratorINS9_11use_defaultEEEfNS9_4plusIvEEfEEDaPvRmT3_T4_T5_mT6_P12ihipStream_tbENKUlT_T0_E_clISt17integral_constantIbLb1EESW_IbLb0EEEEDaSS_ST_EUlSS_E0_NS1_11comp_targetILNS1_3genE3ELNS1_11target_archE908ELNS1_3gpuE7ELNS1_3repE0EEENS1_30default_config_static_selectorELNS0_4arch9wavefront6targetE1EEEvT1_,comdat
.Lfunc_end5126:
	.size	_ZN7rocprim17ROCPRIM_400000_NS6detail17trampoline_kernelINS0_14default_configENS1_20scan_config_selectorIfEEZZNS1_9scan_implILNS1_25lookback_scan_determinismE0ELb1ELb1ES3_N6thrust23THRUST_200600_302600_NS6detail15normal_iteratorINS9_10device_ptrIfEEEENS9_16discard_iteratorINS9_11use_defaultEEEfNS9_4plusIvEEfEEDaPvRmT3_T4_T5_mT6_P12ihipStream_tbENKUlT_T0_E_clISt17integral_constantIbLb1EESW_IbLb0EEEEDaSS_ST_EUlSS_E0_NS1_11comp_targetILNS1_3genE3ELNS1_11target_archE908ELNS1_3gpuE7ELNS1_3repE0EEENS1_30default_config_static_selectorELNS0_4arch9wavefront6targetE1EEEvT1_, .Lfunc_end5126-_ZN7rocprim17ROCPRIM_400000_NS6detail17trampoline_kernelINS0_14default_configENS1_20scan_config_selectorIfEEZZNS1_9scan_implILNS1_25lookback_scan_determinismE0ELb1ELb1ES3_N6thrust23THRUST_200600_302600_NS6detail15normal_iteratorINS9_10device_ptrIfEEEENS9_16discard_iteratorINS9_11use_defaultEEEfNS9_4plusIvEEfEEDaPvRmT3_T4_T5_mT6_P12ihipStream_tbENKUlT_T0_E_clISt17integral_constantIbLb1EESW_IbLb0EEEEDaSS_ST_EUlSS_E0_NS1_11comp_targetILNS1_3genE3ELNS1_11target_archE908ELNS1_3gpuE7ELNS1_3repE0EEENS1_30default_config_static_selectorELNS0_4arch9wavefront6targetE1EEEvT1_
                                        ; -- End function
	.section	.AMDGPU.csdata,"",@progbits
; Kernel info:
; codeLenInByte = 0
; NumSgprs: 4
; NumVgprs: 0
; NumAgprs: 0
; TotalNumVgprs: 0
; ScratchSize: 0
; MemoryBound: 0
; FloatMode: 240
; IeeeMode: 1
; LDSByteSize: 0 bytes/workgroup (compile time only)
; SGPRBlocks: 0
; VGPRBlocks: 0
; NumSGPRsForWavesPerEU: 4
; NumVGPRsForWavesPerEU: 1
; AccumOffset: 4
; Occupancy: 8
; WaveLimiterHint : 0
; COMPUTE_PGM_RSRC2:SCRATCH_EN: 0
; COMPUTE_PGM_RSRC2:USER_SGPR: 6
; COMPUTE_PGM_RSRC2:TRAP_HANDLER: 0
; COMPUTE_PGM_RSRC2:TGID_X_EN: 1
; COMPUTE_PGM_RSRC2:TGID_Y_EN: 0
; COMPUTE_PGM_RSRC2:TGID_Z_EN: 0
; COMPUTE_PGM_RSRC2:TIDIG_COMP_CNT: 0
; COMPUTE_PGM_RSRC3_GFX90A:ACCUM_OFFSET: 0
; COMPUTE_PGM_RSRC3_GFX90A:TG_SPLIT: 0
	.section	.text._ZN7rocprim17ROCPRIM_400000_NS6detail17trampoline_kernelINS0_14default_configENS1_20scan_config_selectorIfEEZZNS1_9scan_implILNS1_25lookback_scan_determinismE0ELb1ELb1ES3_N6thrust23THRUST_200600_302600_NS6detail15normal_iteratorINS9_10device_ptrIfEEEENS9_16discard_iteratorINS9_11use_defaultEEEfNS9_4plusIvEEfEEDaPvRmT3_T4_T5_mT6_P12ihipStream_tbENKUlT_T0_E_clISt17integral_constantIbLb1EESW_IbLb0EEEEDaSS_ST_EUlSS_E0_NS1_11comp_targetILNS1_3genE2ELNS1_11target_archE906ELNS1_3gpuE6ELNS1_3repE0EEENS1_30default_config_static_selectorELNS0_4arch9wavefront6targetE1EEEvT1_,"axG",@progbits,_ZN7rocprim17ROCPRIM_400000_NS6detail17trampoline_kernelINS0_14default_configENS1_20scan_config_selectorIfEEZZNS1_9scan_implILNS1_25lookback_scan_determinismE0ELb1ELb1ES3_N6thrust23THRUST_200600_302600_NS6detail15normal_iteratorINS9_10device_ptrIfEEEENS9_16discard_iteratorINS9_11use_defaultEEEfNS9_4plusIvEEfEEDaPvRmT3_T4_T5_mT6_P12ihipStream_tbENKUlT_T0_E_clISt17integral_constantIbLb1EESW_IbLb0EEEEDaSS_ST_EUlSS_E0_NS1_11comp_targetILNS1_3genE2ELNS1_11target_archE906ELNS1_3gpuE6ELNS1_3repE0EEENS1_30default_config_static_selectorELNS0_4arch9wavefront6targetE1EEEvT1_,comdat
	.protected	_ZN7rocprim17ROCPRIM_400000_NS6detail17trampoline_kernelINS0_14default_configENS1_20scan_config_selectorIfEEZZNS1_9scan_implILNS1_25lookback_scan_determinismE0ELb1ELb1ES3_N6thrust23THRUST_200600_302600_NS6detail15normal_iteratorINS9_10device_ptrIfEEEENS9_16discard_iteratorINS9_11use_defaultEEEfNS9_4plusIvEEfEEDaPvRmT3_T4_T5_mT6_P12ihipStream_tbENKUlT_T0_E_clISt17integral_constantIbLb1EESW_IbLb0EEEEDaSS_ST_EUlSS_E0_NS1_11comp_targetILNS1_3genE2ELNS1_11target_archE906ELNS1_3gpuE6ELNS1_3repE0EEENS1_30default_config_static_selectorELNS0_4arch9wavefront6targetE1EEEvT1_ ; -- Begin function _ZN7rocprim17ROCPRIM_400000_NS6detail17trampoline_kernelINS0_14default_configENS1_20scan_config_selectorIfEEZZNS1_9scan_implILNS1_25lookback_scan_determinismE0ELb1ELb1ES3_N6thrust23THRUST_200600_302600_NS6detail15normal_iteratorINS9_10device_ptrIfEEEENS9_16discard_iteratorINS9_11use_defaultEEEfNS9_4plusIvEEfEEDaPvRmT3_T4_T5_mT6_P12ihipStream_tbENKUlT_T0_E_clISt17integral_constantIbLb1EESW_IbLb0EEEEDaSS_ST_EUlSS_E0_NS1_11comp_targetILNS1_3genE2ELNS1_11target_archE906ELNS1_3gpuE6ELNS1_3repE0EEENS1_30default_config_static_selectorELNS0_4arch9wavefront6targetE1EEEvT1_
	.globl	_ZN7rocprim17ROCPRIM_400000_NS6detail17trampoline_kernelINS0_14default_configENS1_20scan_config_selectorIfEEZZNS1_9scan_implILNS1_25lookback_scan_determinismE0ELb1ELb1ES3_N6thrust23THRUST_200600_302600_NS6detail15normal_iteratorINS9_10device_ptrIfEEEENS9_16discard_iteratorINS9_11use_defaultEEEfNS9_4plusIvEEfEEDaPvRmT3_T4_T5_mT6_P12ihipStream_tbENKUlT_T0_E_clISt17integral_constantIbLb1EESW_IbLb0EEEEDaSS_ST_EUlSS_E0_NS1_11comp_targetILNS1_3genE2ELNS1_11target_archE906ELNS1_3gpuE6ELNS1_3repE0EEENS1_30default_config_static_selectorELNS0_4arch9wavefront6targetE1EEEvT1_
	.p2align	8
	.type	_ZN7rocprim17ROCPRIM_400000_NS6detail17trampoline_kernelINS0_14default_configENS1_20scan_config_selectorIfEEZZNS1_9scan_implILNS1_25lookback_scan_determinismE0ELb1ELb1ES3_N6thrust23THRUST_200600_302600_NS6detail15normal_iteratorINS9_10device_ptrIfEEEENS9_16discard_iteratorINS9_11use_defaultEEEfNS9_4plusIvEEfEEDaPvRmT3_T4_T5_mT6_P12ihipStream_tbENKUlT_T0_E_clISt17integral_constantIbLb1EESW_IbLb0EEEEDaSS_ST_EUlSS_E0_NS1_11comp_targetILNS1_3genE2ELNS1_11target_archE906ELNS1_3gpuE6ELNS1_3repE0EEENS1_30default_config_static_selectorELNS0_4arch9wavefront6targetE1EEEvT1_,@function
_ZN7rocprim17ROCPRIM_400000_NS6detail17trampoline_kernelINS0_14default_configENS1_20scan_config_selectorIfEEZZNS1_9scan_implILNS1_25lookback_scan_determinismE0ELb1ELb1ES3_N6thrust23THRUST_200600_302600_NS6detail15normal_iteratorINS9_10device_ptrIfEEEENS9_16discard_iteratorINS9_11use_defaultEEEfNS9_4plusIvEEfEEDaPvRmT3_T4_T5_mT6_P12ihipStream_tbENKUlT_T0_E_clISt17integral_constantIbLb1EESW_IbLb0EEEEDaSS_ST_EUlSS_E0_NS1_11comp_targetILNS1_3genE2ELNS1_11target_archE906ELNS1_3gpuE6ELNS1_3repE0EEENS1_30default_config_static_selectorELNS0_4arch9wavefront6targetE1EEEvT1_: ; @_ZN7rocprim17ROCPRIM_400000_NS6detail17trampoline_kernelINS0_14default_configENS1_20scan_config_selectorIfEEZZNS1_9scan_implILNS1_25lookback_scan_determinismE0ELb1ELb1ES3_N6thrust23THRUST_200600_302600_NS6detail15normal_iteratorINS9_10device_ptrIfEEEENS9_16discard_iteratorINS9_11use_defaultEEEfNS9_4plusIvEEfEEDaPvRmT3_T4_T5_mT6_P12ihipStream_tbENKUlT_T0_E_clISt17integral_constantIbLb1EESW_IbLb0EEEEDaSS_ST_EUlSS_E0_NS1_11comp_targetILNS1_3genE2ELNS1_11target_archE906ELNS1_3gpuE6ELNS1_3repE0EEENS1_30default_config_static_selectorELNS0_4arch9wavefront6targetE1EEEvT1_
; %bb.0:
	.section	.rodata,"a",@progbits
	.p2align	6, 0x0
	.amdhsa_kernel _ZN7rocprim17ROCPRIM_400000_NS6detail17trampoline_kernelINS0_14default_configENS1_20scan_config_selectorIfEEZZNS1_9scan_implILNS1_25lookback_scan_determinismE0ELb1ELb1ES3_N6thrust23THRUST_200600_302600_NS6detail15normal_iteratorINS9_10device_ptrIfEEEENS9_16discard_iteratorINS9_11use_defaultEEEfNS9_4plusIvEEfEEDaPvRmT3_T4_T5_mT6_P12ihipStream_tbENKUlT_T0_E_clISt17integral_constantIbLb1EESW_IbLb0EEEEDaSS_ST_EUlSS_E0_NS1_11comp_targetILNS1_3genE2ELNS1_11target_archE906ELNS1_3gpuE6ELNS1_3repE0EEENS1_30default_config_static_selectorELNS0_4arch9wavefront6targetE1EEEvT1_
		.amdhsa_group_segment_fixed_size 0
		.amdhsa_private_segment_fixed_size 0
		.amdhsa_kernarg_size 40
		.amdhsa_user_sgpr_count 6
		.amdhsa_user_sgpr_private_segment_buffer 1
		.amdhsa_user_sgpr_dispatch_ptr 0
		.amdhsa_user_sgpr_queue_ptr 0
		.amdhsa_user_sgpr_kernarg_segment_ptr 1
		.amdhsa_user_sgpr_dispatch_id 0
		.amdhsa_user_sgpr_flat_scratch_init 0
		.amdhsa_user_sgpr_kernarg_preload_length 0
		.amdhsa_user_sgpr_kernarg_preload_offset 0
		.amdhsa_user_sgpr_private_segment_size 0
		.amdhsa_uses_dynamic_stack 0
		.amdhsa_system_sgpr_private_segment_wavefront_offset 0
		.amdhsa_system_sgpr_workgroup_id_x 1
		.amdhsa_system_sgpr_workgroup_id_y 0
		.amdhsa_system_sgpr_workgroup_id_z 0
		.amdhsa_system_sgpr_workgroup_info 0
		.amdhsa_system_vgpr_workitem_id 0
		.amdhsa_next_free_vgpr 1
		.amdhsa_next_free_sgpr 0
		.amdhsa_accum_offset 4
		.amdhsa_reserve_vcc 0
		.amdhsa_reserve_flat_scratch 0
		.amdhsa_float_round_mode_32 0
		.amdhsa_float_round_mode_16_64 0
		.amdhsa_float_denorm_mode_32 3
		.amdhsa_float_denorm_mode_16_64 3
		.amdhsa_dx10_clamp 1
		.amdhsa_ieee_mode 1
		.amdhsa_fp16_overflow 0
		.amdhsa_tg_split 0
		.amdhsa_exception_fp_ieee_invalid_op 0
		.amdhsa_exception_fp_denorm_src 0
		.amdhsa_exception_fp_ieee_div_zero 0
		.amdhsa_exception_fp_ieee_overflow 0
		.amdhsa_exception_fp_ieee_underflow 0
		.amdhsa_exception_fp_ieee_inexact 0
		.amdhsa_exception_int_div_zero 0
	.end_amdhsa_kernel
	.section	.text._ZN7rocprim17ROCPRIM_400000_NS6detail17trampoline_kernelINS0_14default_configENS1_20scan_config_selectorIfEEZZNS1_9scan_implILNS1_25lookback_scan_determinismE0ELb1ELb1ES3_N6thrust23THRUST_200600_302600_NS6detail15normal_iteratorINS9_10device_ptrIfEEEENS9_16discard_iteratorINS9_11use_defaultEEEfNS9_4plusIvEEfEEDaPvRmT3_T4_T5_mT6_P12ihipStream_tbENKUlT_T0_E_clISt17integral_constantIbLb1EESW_IbLb0EEEEDaSS_ST_EUlSS_E0_NS1_11comp_targetILNS1_3genE2ELNS1_11target_archE906ELNS1_3gpuE6ELNS1_3repE0EEENS1_30default_config_static_selectorELNS0_4arch9wavefront6targetE1EEEvT1_,"axG",@progbits,_ZN7rocprim17ROCPRIM_400000_NS6detail17trampoline_kernelINS0_14default_configENS1_20scan_config_selectorIfEEZZNS1_9scan_implILNS1_25lookback_scan_determinismE0ELb1ELb1ES3_N6thrust23THRUST_200600_302600_NS6detail15normal_iteratorINS9_10device_ptrIfEEEENS9_16discard_iteratorINS9_11use_defaultEEEfNS9_4plusIvEEfEEDaPvRmT3_T4_T5_mT6_P12ihipStream_tbENKUlT_T0_E_clISt17integral_constantIbLb1EESW_IbLb0EEEEDaSS_ST_EUlSS_E0_NS1_11comp_targetILNS1_3genE2ELNS1_11target_archE906ELNS1_3gpuE6ELNS1_3repE0EEENS1_30default_config_static_selectorELNS0_4arch9wavefront6targetE1EEEvT1_,comdat
.Lfunc_end5127:
	.size	_ZN7rocprim17ROCPRIM_400000_NS6detail17trampoline_kernelINS0_14default_configENS1_20scan_config_selectorIfEEZZNS1_9scan_implILNS1_25lookback_scan_determinismE0ELb1ELb1ES3_N6thrust23THRUST_200600_302600_NS6detail15normal_iteratorINS9_10device_ptrIfEEEENS9_16discard_iteratorINS9_11use_defaultEEEfNS9_4plusIvEEfEEDaPvRmT3_T4_T5_mT6_P12ihipStream_tbENKUlT_T0_E_clISt17integral_constantIbLb1EESW_IbLb0EEEEDaSS_ST_EUlSS_E0_NS1_11comp_targetILNS1_3genE2ELNS1_11target_archE906ELNS1_3gpuE6ELNS1_3repE0EEENS1_30default_config_static_selectorELNS0_4arch9wavefront6targetE1EEEvT1_, .Lfunc_end5127-_ZN7rocprim17ROCPRIM_400000_NS6detail17trampoline_kernelINS0_14default_configENS1_20scan_config_selectorIfEEZZNS1_9scan_implILNS1_25lookback_scan_determinismE0ELb1ELb1ES3_N6thrust23THRUST_200600_302600_NS6detail15normal_iteratorINS9_10device_ptrIfEEEENS9_16discard_iteratorINS9_11use_defaultEEEfNS9_4plusIvEEfEEDaPvRmT3_T4_T5_mT6_P12ihipStream_tbENKUlT_T0_E_clISt17integral_constantIbLb1EESW_IbLb0EEEEDaSS_ST_EUlSS_E0_NS1_11comp_targetILNS1_3genE2ELNS1_11target_archE906ELNS1_3gpuE6ELNS1_3repE0EEENS1_30default_config_static_selectorELNS0_4arch9wavefront6targetE1EEEvT1_
                                        ; -- End function
	.section	.AMDGPU.csdata,"",@progbits
; Kernel info:
; codeLenInByte = 0
; NumSgprs: 4
; NumVgprs: 0
; NumAgprs: 0
; TotalNumVgprs: 0
; ScratchSize: 0
; MemoryBound: 0
; FloatMode: 240
; IeeeMode: 1
; LDSByteSize: 0 bytes/workgroup (compile time only)
; SGPRBlocks: 0
; VGPRBlocks: 0
; NumSGPRsForWavesPerEU: 4
; NumVGPRsForWavesPerEU: 1
; AccumOffset: 4
; Occupancy: 8
; WaveLimiterHint : 0
; COMPUTE_PGM_RSRC2:SCRATCH_EN: 0
; COMPUTE_PGM_RSRC2:USER_SGPR: 6
; COMPUTE_PGM_RSRC2:TRAP_HANDLER: 0
; COMPUTE_PGM_RSRC2:TGID_X_EN: 1
; COMPUTE_PGM_RSRC2:TGID_Y_EN: 0
; COMPUTE_PGM_RSRC2:TGID_Z_EN: 0
; COMPUTE_PGM_RSRC2:TIDIG_COMP_CNT: 0
; COMPUTE_PGM_RSRC3_GFX90A:ACCUM_OFFSET: 0
; COMPUTE_PGM_RSRC3_GFX90A:TG_SPLIT: 0
	.section	.text._ZN7rocprim17ROCPRIM_400000_NS6detail17trampoline_kernelINS0_14default_configENS1_20scan_config_selectorIfEEZZNS1_9scan_implILNS1_25lookback_scan_determinismE0ELb1ELb1ES3_N6thrust23THRUST_200600_302600_NS6detail15normal_iteratorINS9_10device_ptrIfEEEENS9_16discard_iteratorINS9_11use_defaultEEEfNS9_4plusIvEEfEEDaPvRmT3_T4_T5_mT6_P12ihipStream_tbENKUlT_T0_E_clISt17integral_constantIbLb1EESW_IbLb0EEEEDaSS_ST_EUlSS_E0_NS1_11comp_targetILNS1_3genE10ELNS1_11target_archE1201ELNS1_3gpuE5ELNS1_3repE0EEENS1_30default_config_static_selectorELNS0_4arch9wavefront6targetE1EEEvT1_,"axG",@progbits,_ZN7rocprim17ROCPRIM_400000_NS6detail17trampoline_kernelINS0_14default_configENS1_20scan_config_selectorIfEEZZNS1_9scan_implILNS1_25lookback_scan_determinismE0ELb1ELb1ES3_N6thrust23THRUST_200600_302600_NS6detail15normal_iteratorINS9_10device_ptrIfEEEENS9_16discard_iteratorINS9_11use_defaultEEEfNS9_4plusIvEEfEEDaPvRmT3_T4_T5_mT6_P12ihipStream_tbENKUlT_T0_E_clISt17integral_constantIbLb1EESW_IbLb0EEEEDaSS_ST_EUlSS_E0_NS1_11comp_targetILNS1_3genE10ELNS1_11target_archE1201ELNS1_3gpuE5ELNS1_3repE0EEENS1_30default_config_static_selectorELNS0_4arch9wavefront6targetE1EEEvT1_,comdat
	.protected	_ZN7rocprim17ROCPRIM_400000_NS6detail17trampoline_kernelINS0_14default_configENS1_20scan_config_selectorIfEEZZNS1_9scan_implILNS1_25lookback_scan_determinismE0ELb1ELb1ES3_N6thrust23THRUST_200600_302600_NS6detail15normal_iteratorINS9_10device_ptrIfEEEENS9_16discard_iteratorINS9_11use_defaultEEEfNS9_4plusIvEEfEEDaPvRmT3_T4_T5_mT6_P12ihipStream_tbENKUlT_T0_E_clISt17integral_constantIbLb1EESW_IbLb0EEEEDaSS_ST_EUlSS_E0_NS1_11comp_targetILNS1_3genE10ELNS1_11target_archE1201ELNS1_3gpuE5ELNS1_3repE0EEENS1_30default_config_static_selectorELNS0_4arch9wavefront6targetE1EEEvT1_ ; -- Begin function _ZN7rocprim17ROCPRIM_400000_NS6detail17trampoline_kernelINS0_14default_configENS1_20scan_config_selectorIfEEZZNS1_9scan_implILNS1_25lookback_scan_determinismE0ELb1ELb1ES3_N6thrust23THRUST_200600_302600_NS6detail15normal_iteratorINS9_10device_ptrIfEEEENS9_16discard_iteratorINS9_11use_defaultEEEfNS9_4plusIvEEfEEDaPvRmT3_T4_T5_mT6_P12ihipStream_tbENKUlT_T0_E_clISt17integral_constantIbLb1EESW_IbLb0EEEEDaSS_ST_EUlSS_E0_NS1_11comp_targetILNS1_3genE10ELNS1_11target_archE1201ELNS1_3gpuE5ELNS1_3repE0EEENS1_30default_config_static_selectorELNS0_4arch9wavefront6targetE1EEEvT1_
	.globl	_ZN7rocprim17ROCPRIM_400000_NS6detail17trampoline_kernelINS0_14default_configENS1_20scan_config_selectorIfEEZZNS1_9scan_implILNS1_25lookback_scan_determinismE0ELb1ELb1ES3_N6thrust23THRUST_200600_302600_NS6detail15normal_iteratorINS9_10device_ptrIfEEEENS9_16discard_iteratorINS9_11use_defaultEEEfNS9_4plusIvEEfEEDaPvRmT3_T4_T5_mT6_P12ihipStream_tbENKUlT_T0_E_clISt17integral_constantIbLb1EESW_IbLb0EEEEDaSS_ST_EUlSS_E0_NS1_11comp_targetILNS1_3genE10ELNS1_11target_archE1201ELNS1_3gpuE5ELNS1_3repE0EEENS1_30default_config_static_selectorELNS0_4arch9wavefront6targetE1EEEvT1_
	.p2align	8
	.type	_ZN7rocprim17ROCPRIM_400000_NS6detail17trampoline_kernelINS0_14default_configENS1_20scan_config_selectorIfEEZZNS1_9scan_implILNS1_25lookback_scan_determinismE0ELb1ELb1ES3_N6thrust23THRUST_200600_302600_NS6detail15normal_iteratorINS9_10device_ptrIfEEEENS9_16discard_iteratorINS9_11use_defaultEEEfNS9_4plusIvEEfEEDaPvRmT3_T4_T5_mT6_P12ihipStream_tbENKUlT_T0_E_clISt17integral_constantIbLb1EESW_IbLb0EEEEDaSS_ST_EUlSS_E0_NS1_11comp_targetILNS1_3genE10ELNS1_11target_archE1201ELNS1_3gpuE5ELNS1_3repE0EEENS1_30default_config_static_selectorELNS0_4arch9wavefront6targetE1EEEvT1_,@function
_ZN7rocprim17ROCPRIM_400000_NS6detail17trampoline_kernelINS0_14default_configENS1_20scan_config_selectorIfEEZZNS1_9scan_implILNS1_25lookback_scan_determinismE0ELb1ELb1ES3_N6thrust23THRUST_200600_302600_NS6detail15normal_iteratorINS9_10device_ptrIfEEEENS9_16discard_iteratorINS9_11use_defaultEEEfNS9_4plusIvEEfEEDaPvRmT3_T4_T5_mT6_P12ihipStream_tbENKUlT_T0_E_clISt17integral_constantIbLb1EESW_IbLb0EEEEDaSS_ST_EUlSS_E0_NS1_11comp_targetILNS1_3genE10ELNS1_11target_archE1201ELNS1_3gpuE5ELNS1_3repE0EEENS1_30default_config_static_selectorELNS0_4arch9wavefront6targetE1EEEvT1_: ; @_ZN7rocprim17ROCPRIM_400000_NS6detail17trampoline_kernelINS0_14default_configENS1_20scan_config_selectorIfEEZZNS1_9scan_implILNS1_25lookback_scan_determinismE0ELb1ELb1ES3_N6thrust23THRUST_200600_302600_NS6detail15normal_iteratorINS9_10device_ptrIfEEEENS9_16discard_iteratorINS9_11use_defaultEEEfNS9_4plusIvEEfEEDaPvRmT3_T4_T5_mT6_P12ihipStream_tbENKUlT_T0_E_clISt17integral_constantIbLb1EESW_IbLb0EEEEDaSS_ST_EUlSS_E0_NS1_11comp_targetILNS1_3genE10ELNS1_11target_archE1201ELNS1_3gpuE5ELNS1_3repE0EEENS1_30default_config_static_selectorELNS0_4arch9wavefront6targetE1EEEvT1_
; %bb.0:
	.section	.rodata,"a",@progbits
	.p2align	6, 0x0
	.amdhsa_kernel _ZN7rocprim17ROCPRIM_400000_NS6detail17trampoline_kernelINS0_14default_configENS1_20scan_config_selectorIfEEZZNS1_9scan_implILNS1_25lookback_scan_determinismE0ELb1ELb1ES3_N6thrust23THRUST_200600_302600_NS6detail15normal_iteratorINS9_10device_ptrIfEEEENS9_16discard_iteratorINS9_11use_defaultEEEfNS9_4plusIvEEfEEDaPvRmT3_T4_T5_mT6_P12ihipStream_tbENKUlT_T0_E_clISt17integral_constantIbLb1EESW_IbLb0EEEEDaSS_ST_EUlSS_E0_NS1_11comp_targetILNS1_3genE10ELNS1_11target_archE1201ELNS1_3gpuE5ELNS1_3repE0EEENS1_30default_config_static_selectorELNS0_4arch9wavefront6targetE1EEEvT1_
		.amdhsa_group_segment_fixed_size 0
		.amdhsa_private_segment_fixed_size 0
		.amdhsa_kernarg_size 40
		.amdhsa_user_sgpr_count 6
		.amdhsa_user_sgpr_private_segment_buffer 1
		.amdhsa_user_sgpr_dispatch_ptr 0
		.amdhsa_user_sgpr_queue_ptr 0
		.amdhsa_user_sgpr_kernarg_segment_ptr 1
		.amdhsa_user_sgpr_dispatch_id 0
		.amdhsa_user_sgpr_flat_scratch_init 0
		.amdhsa_user_sgpr_kernarg_preload_length 0
		.amdhsa_user_sgpr_kernarg_preload_offset 0
		.amdhsa_user_sgpr_private_segment_size 0
		.amdhsa_uses_dynamic_stack 0
		.amdhsa_system_sgpr_private_segment_wavefront_offset 0
		.amdhsa_system_sgpr_workgroup_id_x 1
		.amdhsa_system_sgpr_workgroup_id_y 0
		.amdhsa_system_sgpr_workgroup_id_z 0
		.amdhsa_system_sgpr_workgroup_info 0
		.amdhsa_system_vgpr_workitem_id 0
		.amdhsa_next_free_vgpr 1
		.amdhsa_next_free_sgpr 0
		.amdhsa_accum_offset 4
		.amdhsa_reserve_vcc 0
		.amdhsa_reserve_flat_scratch 0
		.amdhsa_float_round_mode_32 0
		.amdhsa_float_round_mode_16_64 0
		.amdhsa_float_denorm_mode_32 3
		.amdhsa_float_denorm_mode_16_64 3
		.amdhsa_dx10_clamp 1
		.amdhsa_ieee_mode 1
		.amdhsa_fp16_overflow 0
		.amdhsa_tg_split 0
		.amdhsa_exception_fp_ieee_invalid_op 0
		.amdhsa_exception_fp_denorm_src 0
		.amdhsa_exception_fp_ieee_div_zero 0
		.amdhsa_exception_fp_ieee_overflow 0
		.amdhsa_exception_fp_ieee_underflow 0
		.amdhsa_exception_fp_ieee_inexact 0
		.amdhsa_exception_int_div_zero 0
	.end_amdhsa_kernel
	.section	.text._ZN7rocprim17ROCPRIM_400000_NS6detail17trampoline_kernelINS0_14default_configENS1_20scan_config_selectorIfEEZZNS1_9scan_implILNS1_25lookback_scan_determinismE0ELb1ELb1ES3_N6thrust23THRUST_200600_302600_NS6detail15normal_iteratorINS9_10device_ptrIfEEEENS9_16discard_iteratorINS9_11use_defaultEEEfNS9_4plusIvEEfEEDaPvRmT3_T4_T5_mT6_P12ihipStream_tbENKUlT_T0_E_clISt17integral_constantIbLb1EESW_IbLb0EEEEDaSS_ST_EUlSS_E0_NS1_11comp_targetILNS1_3genE10ELNS1_11target_archE1201ELNS1_3gpuE5ELNS1_3repE0EEENS1_30default_config_static_selectorELNS0_4arch9wavefront6targetE1EEEvT1_,"axG",@progbits,_ZN7rocprim17ROCPRIM_400000_NS6detail17trampoline_kernelINS0_14default_configENS1_20scan_config_selectorIfEEZZNS1_9scan_implILNS1_25lookback_scan_determinismE0ELb1ELb1ES3_N6thrust23THRUST_200600_302600_NS6detail15normal_iteratorINS9_10device_ptrIfEEEENS9_16discard_iteratorINS9_11use_defaultEEEfNS9_4plusIvEEfEEDaPvRmT3_T4_T5_mT6_P12ihipStream_tbENKUlT_T0_E_clISt17integral_constantIbLb1EESW_IbLb0EEEEDaSS_ST_EUlSS_E0_NS1_11comp_targetILNS1_3genE10ELNS1_11target_archE1201ELNS1_3gpuE5ELNS1_3repE0EEENS1_30default_config_static_selectorELNS0_4arch9wavefront6targetE1EEEvT1_,comdat
.Lfunc_end5128:
	.size	_ZN7rocprim17ROCPRIM_400000_NS6detail17trampoline_kernelINS0_14default_configENS1_20scan_config_selectorIfEEZZNS1_9scan_implILNS1_25lookback_scan_determinismE0ELb1ELb1ES3_N6thrust23THRUST_200600_302600_NS6detail15normal_iteratorINS9_10device_ptrIfEEEENS9_16discard_iteratorINS9_11use_defaultEEEfNS9_4plusIvEEfEEDaPvRmT3_T4_T5_mT6_P12ihipStream_tbENKUlT_T0_E_clISt17integral_constantIbLb1EESW_IbLb0EEEEDaSS_ST_EUlSS_E0_NS1_11comp_targetILNS1_3genE10ELNS1_11target_archE1201ELNS1_3gpuE5ELNS1_3repE0EEENS1_30default_config_static_selectorELNS0_4arch9wavefront6targetE1EEEvT1_, .Lfunc_end5128-_ZN7rocprim17ROCPRIM_400000_NS6detail17trampoline_kernelINS0_14default_configENS1_20scan_config_selectorIfEEZZNS1_9scan_implILNS1_25lookback_scan_determinismE0ELb1ELb1ES3_N6thrust23THRUST_200600_302600_NS6detail15normal_iteratorINS9_10device_ptrIfEEEENS9_16discard_iteratorINS9_11use_defaultEEEfNS9_4plusIvEEfEEDaPvRmT3_T4_T5_mT6_P12ihipStream_tbENKUlT_T0_E_clISt17integral_constantIbLb1EESW_IbLb0EEEEDaSS_ST_EUlSS_E0_NS1_11comp_targetILNS1_3genE10ELNS1_11target_archE1201ELNS1_3gpuE5ELNS1_3repE0EEENS1_30default_config_static_selectorELNS0_4arch9wavefront6targetE1EEEvT1_
                                        ; -- End function
	.section	.AMDGPU.csdata,"",@progbits
; Kernel info:
; codeLenInByte = 0
; NumSgprs: 4
; NumVgprs: 0
; NumAgprs: 0
; TotalNumVgprs: 0
; ScratchSize: 0
; MemoryBound: 0
; FloatMode: 240
; IeeeMode: 1
; LDSByteSize: 0 bytes/workgroup (compile time only)
; SGPRBlocks: 0
; VGPRBlocks: 0
; NumSGPRsForWavesPerEU: 4
; NumVGPRsForWavesPerEU: 1
; AccumOffset: 4
; Occupancy: 8
; WaveLimiterHint : 0
; COMPUTE_PGM_RSRC2:SCRATCH_EN: 0
; COMPUTE_PGM_RSRC2:USER_SGPR: 6
; COMPUTE_PGM_RSRC2:TRAP_HANDLER: 0
; COMPUTE_PGM_RSRC2:TGID_X_EN: 1
; COMPUTE_PGM_RSRC2:TGID_Y_EN: 0
; COMPUTE_PGM_RSRC2:TGID_Z_EN: 0
; COMPUTE_PGM_RSRC2:TIDIG_COMP_CNT: 0
; COMPUTE_PGM_RSRC3_GFX90A:ACCUM_OFFSET: 0
; COMPUTE_PGM_RSRC3_GFX90A:TG_SPLIT: 0
	.section	.text._ZN7rocprim17ROCPRIM_400000_NS6detail17trampoline_kernelINS0_14default_configENS1_20scan_config_selectorIfEEZZNS1_9scan_implILNS1_25lookback_scan_determinismE0ELb1ELb1ES3_N6thrust23THRUST_200600_302600_NS6detail15normal_iteratorINS9_10device_ptrIfEEEENS9_16discard_iteratorINS9_11use_defaultEEEfNS9_4plusIvEEfEEDaPvRmT3_T4_T5_mT6_P12ihipStream_tbENKUlT_T0_E_clISt17integral_constantIbLb1EESW_IbLb0EEEEDaSS_ST_EUlSS_E0_NS1_11comp_targetILNS1_3genE10ELNS1_11target_archE1200ELNS1_3gpuE4ELNS1_3repE0EEENS1_30default_config_static_selectorELNS0_4arch9wavefront6targetE1EEEvT1_,"axG",@progbits,_ZN7rocprim17ROCPRIM_400000_NS6detail17trampoline_kernelINS0_14default_configENS1_20scan_config_selectorIfEEZZNS1_9scan_implILNS1_25lookback_scan_determinismE0ELb1ELb1ES3_N6thrust23THRUST_200600_302600_NS6detail15normal_iteratorINS9_10device_ptrIfEEEENS9_16discard_iteratorINS9_11use_defaultEEEfNS9_4plusIvEEfEEDaPvRmT3_T4_T5_mT6_P12ihipStream_tbENKUlT_T0_E_clISt17integral_constantIbLb1EESW_IbLb0EEEEDaSS_ST_EUlSS_E0_NS1_11comp_targetILNS1_3genE10ELNS1_11target_archE1200ELNS1_3gpuE4ELNS1_3repE0EEENS1_30default_config_static_selectorELNS0_4arch9wavefront6targetE1EEEvT1_,comdat
	.protected	_ZN7rocprim17ROCPRIM_400000_NS6detail17trampoline_kernelINS0_14default_configENS1_20scan_config_selectorIfEEZZNS1_9scan_implILNS1_25lookback_scan_determinismE0ELb1ELb1ES3_N6thrust23THRUST_200600_302600_NS6detail15normal_iteratorINS9_10device_ptrIfEEEENS9_16discard_iteratorINS9_11use_defaultEEEfNS9_4plusIvEEfEEDaPvRmT3_T4_T5_mT6_P12ihipStream_tbENKUlT_T0_E_clISt17integral_constantIbLb1EESW_IbLb0EEEEDaSS_ST_EUlSS_E0_NS1_11comp_targetILNS1_3genE10ELNS1_11target_archE1200ELNS1_3gpuE4ELNS1_3repE0EEENS1_30default_config_static_selectorELNS0_4arch9wavefront6targetE1EEEvT1_ ; -- Begin function _ZN7rocprim17ROCPRIM_400000_NS6detail17trampoline_kernelINS0_14default_configENS1_20scan_config_selectorIfEEZZNS1_9scan_implILNS1_25lookback_scan_determinismE0ELb1ELb1ES3_N6thrust23THRUST_200600_302600_NS6detail15normal_iteratorINS9_10device_ptrIfEEEENS9_16discard_iteratorINS9_11use_defaultEEEfNS9_4plusIvEEfEEDaPvRmT3_T4_T5_mT6_P12ihipStream_tbENKUlT_T0_E_clISt17integral_constantIbLb1EESW_IbLb0EEEEDaSS_ST_EUlSS_E0_NS1_11comp_targetILNS1_3genE10ELNS1_11target_archE1200ELNS1_3gpuE4ELNS1_3repE0EEENS1_30default_config_static_selectorELNS0_4arch9wavefront6targetE1EEEvT1_
	.globl	_ZN7rocprim17ROCPRIM_400000_NS6detail17trampoline_kernelINS0_14default_configENS1_20scan_config_selectorIfEEZZNS1_9scan_implILNS1_25lookback_scan_determinismE0ELb1ELb1ES3_N6thrust23THRUST_200600_302600_NS6detail15normal_iteratorINS9_10device_ptrIfEEEENS9_16discard_iteratorINS9_11use_defaultEEEfNS9_4plusIvEEfEEDaPvRmT3_T4_T5_mT6_P12ihipStream_tbENKUlT_T0_E_clISt17integral_constantIbLb1EESW_IbLb0EEEEDaSS_ST_EUlSS_E0_NS1_11comp_targetILNS1_3genE10ELNS1_11target_archE1200ELNS1_3gpuE4ELNS1_3repE0EEENS1_30default_config_static_selectorELNS0_4arch9wavefront6targetE1EEEvT1_
	.p2align	8
	.type	_ZN7rocprim17ROCPRIM_400000_NS6detail17trampoline_kernelINS0_14default_configENS1_20scan_config_selectorIfEEZZNS1_9scan_implILNS1_25lookback_scan_determinismE0ELb1ELb1ES3_N6thrust23THRUST_200600_302600_NS6detail15normal_iteratorINS9_10device_ptrIfEEEENS9_16discard_iteratorINS9_11use_defaultEEEfNS9_4plusIvEEfEEDaPvRmT3_T4_T5_mT6_P12ihipStream_tbENKUlT_T0_E_clISt17integral_constantIbLb1EESW_IbLb0EEEEDaSS_ST_EUlSS_E0_NS1_11comp_targetILNS1_3genE10ELNS1_11target_archE1200ELNS1_3gpuE4ELNS1_3repE0EEENS1_30default_config_static_selectorELNS0_4arch9wavefront6targetE1EEEvT1_,@function
_ZN7rocprim17ROCPRIM_400000_NS6detail17trampoline_kernelINS0_14default_configENS1_20scan_config_selectorIfEEZZNS1_9scan_implILNS1_25lookback_scan_determinismE0ELb1ELb1ES3_N6thrust23THRUST_200600_302600_NS6detail15normal_iteratorINS9_10device_ptrIfEEEENS9_16discard_iteratorINS9_11use_defaultEEEfNS9_4plusIvEEfEEDaPvRmT3_T4_T5_mT6_P12ihipStream_tbENKUlT_T0_E_clISt17integral_constantIbLb1EESW_IbLb0EEEEDaSS_ST_EUlSS_E0_NS1_11comp_targetILNS1_3genE10ELNS1_11target_archE1200ELNS1_3gpuE4ELNS1_3repE0EEENS1_30default_config_static_selectorELNS0_4arch9wavefront6targetE1EEEvT1_: ; @_ZN7rocprim17ROCPRIM_400000_NS6detail17trampoline_kernelINS0_14default_configENS1_20scan_config_selectorIfEEZZNS1_9scan_implILNS1_25lookback_scan_determinismE0ELb1ELb1ES3_N6thrust23THRUST_200600_302600_NS6detail15normal_iteratorINS9_10device_ptrIfEEEENS9_16discard_iteratorINS9_11use_defaultEEEfNS9_4plusIvEEfEEDaPvRmT3_T4_T5_mT6_P12ihipStream_tbENKUlT_T0_E_clISt17integral_constantIbLb1EESW_IbLb0EEEEDaSS_ST_EUlSS_E0_NS1_11comp_targetILNS1_3genE10ELNS1_11target_archE1200ELNS1_3gpuE4ELNS1_3repE0EEENS1_30default_config_static_selectorELNS0_4arch9wavefront6targetE1EEEvT1_
; %bb.0:
	.section	.rodata,"a",@progbits
	.p2align	6, 0x0
	.amdhsa_kernel _ZN7rocprim17ROCPRIM_400000_NS6detail17trampoline_kernelINS0_14default_configENS1_20scan_config_selectorIfEEZZNS1_9scan_implILNS1_25lookback_scan_determinismE0ELb1ELb1ES3_N6thrust23THRUST_200600_302600_NS6detail15normal_iteratorINS9_10device_ptrIfEEEENS9_16discard_iteratorINS9_11use_defaultEEEfNS9_4plusIvEEfEEDaPvRmT3_T4_T5_mT6_P12ihipStream_tbENKUlT_T0_E_clISt17integral_constantIbLb1EESW_IbLb0EEEEDaSS_ST_EUlSS_E0_NS1_11comp_targetILNS1_3genE10ELNS1_11target_archE1200ELNS1_3gpuE4ELNS1_3repE0EEENS1_30default_config_static_selectorELNS0_4arch9wavefront6targetE1EEEvT1_
		.amdhsa_group_segment_fixed_size 0
		.amdhsa_private_segment_fixed_size 0
		.amdhsa_kernarg_size 40
		.amdhsa_user_sgpr_count 6
		.amdhsa_user_sgpr_private_segment_buffer 1
		.amdhsa_user_sgpr_dispatch_ptr 0
		.amdhsa_user_sgpr_queue_ptr 0
		.amdhsa_user_sgpr_kernarg_segment_ptr 1
		.amdhsa_user_sgpr_dispatch_id 0
		.amdhsa_user_sgpr_flat_scratch_init 0
		.amdhsa_user_sgpr_kernarg_preload_length 0
		.amdhsa_user_sgpr_kernarg_preload_offset 0
		.amdhsa_user_sgpr_private_segment_size 0
		.amdhsa_uses_dynamic_stack 0
		.amdhsa_system_sgpr_private_segment_wavefront_offset 0
		.amdhsa_system_sgpr_workgroup_id_x 1
		.amdhsa_system_sgpr_workgroup_id_y 0
		.amdhsa_system_sgpr_workgroup_id_z 0
		.amdhsa_system_sgpr_workgroup_info 0
		.amdhsa_system_vgpr_workitem_id 0
		.amdhsa_next_free_vgpr 1
		.amdhsa_next_free_sgpr 0
		.amdhsa_accum_offset 4
		.amdhsa_reserve_vcc 0
		.amdhsa_reserve_flat_scratch 0
		.amdhsa_float_round_mode_32 0
		.amdhsa_float_round_mode_16_64 0
		.amdhsa_float_denorm_mode_32 3
		.amdhsa_float_denorm_mode_16_64 3
		.amdhsa_dx10_clamp 1
		.amdhsa_ieee_mode 1
		.amdhsa_fp16_overflow 0
		.amdhsa_tg_split 0
		.amdhsa_exception_fp_ieee_invalid_op 0
		.amdhsa_exception_fp_denorm_src 0
		.amdhsa_exception_fp_ieee_div_zero 0
		.amdhsa_exception_fp_ieee_overflow 0
		.amdhsa_exception_fp_ieee_underflow 0
		.amdhsa_exception_fp_ieee_inexact 0
		.amdhsa_exception_int_div_zero 0
	.end_amdhsa_kernel
	.section	.text._ZN7rocprim17ROCPRIM_400000_NS6detail17trampoline_kernelINS0_14default_configENS1_20scan_config_selectorIfEEZZNS1_9scan_implILNS1_25lookback_scan_determinismE0ELb1ELb1ES3_N6thrust23THRUST_200600_302600_NS6detail15normal_iteratorINS9_10device_ptrIfEEEENS9_16discard_iteratorINS9_11use_defaultEEEfNS9_4plusIvEEfEEDaPvRmT3_T4_T5_mT6_P12ihipStream_tbENKUlT_T0_E_clISt17integral_constantIbLb1EESW_IbLb0EEEEDaSS_ST_EUlSS_E0_NS1_11comp_targetILNS1_3genE10ELNS1_11target_archE1200ELNS1_3gpuE4ELNS1_3repE0EEENS1_30default_config_static_selectorELNS0_4arch9wavefront6targetE1EEEvT1_,"axG",@progbits,_ZN7rocprim17ROCPRIM_400000_NS6detail17trampoline_kernelINS0_14default_configENS1_20scan_config_selectorIfEEZZNS1_9scan_implILNS1_25lookback_scan_determinismE0ELb1ELb1ES3_N6thrust23THRUST_200600_302600_NS6detail15normal_iteratorINS9_10device_ptrIfEEEENS9_16discard_iteratorINS9_11use_defaultEEEfNS9_4plusIvEEfEEDaPvRmT3_T4_T5_mT6_P12ihipStream_tbENKUlT_T0_E_clISt17integral_constantIbLb1EESW_IbLb0EEEEDaSS_ST_EUlSS_E0_NS1_11comp_targetILNS1_3genE10ELNS1_11target_archE1200ELNS1_3gpuE4ELNS1_3repE0EEENS1_30default_config_static_selectorELNS0_4arch9wavefront6targetE1EEEvT1_,comdat
.Lfunc_end5129:
	.size	_ZN7rocprim17ROCPRIM_400000_NS6detail17trampoline_kernelINS0_14default_configENS1_20scan_config_selectorIfEEZZNS1_9scan_implILNS1_25lookback_scan_determinismE0ELb1ELb1ES3_N6thrust23THRUST_200600_302600_NS6detail15normal_iteratorINS9_10device_ptrIfEEEENS9_16discard_iteratorINS9_11use_defaultEEEfNS9_4plusIvEEfEEDaPvRmT3_T4_T5_mT6_P12ihipStream_tbENKUlT_T0_E_clISt17integral_constantIbLb1EESW_IbLb0EEEEDaSS_ST_EUlSS_E0_NS1_11comp_targetILNS1_3genE10ELNS1_11target_archE1200ELNS1_3gpuE4ELNS1_3repE0EEENS1_30default_config_static_selectorELNS0_4arch9wavefront6targetE1EEEvT1_, .Lfunc_end5129-_ZN7rocprim17ROCPRIM_400000_NS6detail17trampoline_kernelINS0_14default_configENS1_20scan_config_selectorIfEEZZNS1_9scan_implILNS1_25lookback_scan_determinismE0ELb1ELb1ES3_N6thrust23THRUST_200600_302600_NS6detail15normal_iteratorINS9_10device_ptrIfEEEENS9_16discard_iteratorINS9_11use_defaultEEEfNS9_4plusIvEEfEEDaPvRmT3_T4_T5_mT6_P12ihipStream_tbENKUlT_T0_E_clISt17integral_constantIbLb1EESW_IbLb0EEEEDaSS_ST_EUlSS_E0_NS1_11comp_targetILNS1_3genE10ELNS1_11target_archE1200ELNS1_3gpuE4ELNS1_3repE0EEENS1_30default_config_static_selectorELNS0_4arch9wavefront6targetE1EEEvT1_
                                        ; -- End function
	.section	.AMDGPU.csdata,"",@progbits
; Kernel info:
; codeLenInByte = 0
; NumSgprs: 4
; NumVgprs: 0
; NumAgprs: 0
; TotalNumVgprs: 0
; ScratchSize: 0
; MemoryBound: 0
; FloatMode: 240
; IeeeMode: 1
; LDSByteSize: 0 bytes/workgroup (compile time only)
; SGPRBlocks: 0
; VGPRBlocks: 0
; NumSGPRsForWavesPerEU: 4
; NumVGPRsForWavesPerEU: 1
; AccumOffset: 4
; Occupancy: 8
; WaveLimiterHint : 0
; COMPUTE_PGM_RSRC2:SCRATCH_EN: 0
; COMPUTE_PGM_RSRC2:USER_SGPR: 6
; COMPUTE_PGM_RSRC2:TRAP_HANDLER: 0
; COMPUTE_PGM_RSRC2:TGID_X_EN: 1
; COMPUTE_PGM_RSRC2:TGID_Y_EN: 0
; COMPUTE_PGM_RSRC2:TGID_Z_EN: 0
; COMPUTE_PGM_RSRC2:TIDIG_COMP_CNT: 0
; COMPUTE_PGM_RSRC3_GFX90A:ACCUM_OFFSET: 0
; COMPUTE_PGM_RSRC3_GFX90A:TG_SPLIT: 0
	.section	.text._ZN7rocprim17ROCPRIM_400000_NS6detail17trampoline_kernelINS0_14default_configENS1_20scan_config_selectorIfEEZZNS1_9scan_implILNS1_25lookback_scan_determinismE0ELb1ELb1ES3_N6thrust23THRUST_200600_302600_NS6detail15normal_iteratorINS9_10device_ptrIfEEEENS9_16discard_iteratorINS9_11use_defaultEEEfNS9_4plusIvEEfEEDaPvRmT3_T4_T5_mT6_P12ihipStream_tbENKUlT_T0_E_clISt17integral_constantIbLb1EESW_IbLb0EEEEDaSS_ST_EUlSS_E0_NS1_11comp_targetILNS1_3genE9ELNS1_11target_archE1100ELNS1_3gpuE3ELNS1_3repE0EEENS1_30default_config_static_selectorELNS0_4arch9wavefront6targetE1EEEvT1_,"axG",@progbits,_ZN7rocprim17ROCPRIM_400000_NS6detail17trampoline_kernelINS0_14default_configENS1_20scan_config_selectorIfEEZZNS1_9scan_implILNS1_25lookback_scan_determinismE0ELb1ELb1ES3_N6thrust23THRUST_200600_302600_NS6detail15normal_iteratorINS9_10device_ptrIfEEEENS9_16discard_iteratorINS9_11use_defaultEEEfNS9_4plusIvEEfEEDaPvRmT3_T4_T5_mT6_P12ihipStream_tbENKUlT_T0_E_clISt17integral_constantIbLb1EESW_IbLb0EEEEDaSS_ST_EUlSS_E0_NS1_11comp_targetILNS1_3genE9ELNS1_11target_archE1100ELNS1_3gpuE3ELNS1_3repE0EEENS1_30default_config_static_selectorELNS0_4arch9wavefront6targetE1EEEvT1_,comdat
	.protected	_ZN7rocprim17ROCPRIM_400000_NS6detail17trampoline_kernelINS0_14default_configENS1_20scan_config_selectorIfEEZZNS1_9scan_implILNS1_25lookback_scan_determinismE0ELb1ELb1ES3_N6thrust23THRUST_200600_302600_NS6detail15normal_iteratorINS9_10device_ptrIfEEEENS9_16discard_iteratorINS9_11use_defaultEEEfNS9_4plusIvEEfEEDaPvRmT3_T4_T5_mT6_P12ihipStream_tbENKUlT_T0_E_clISt17integral_constantIbLb1EESW_IbLb0EEEEDaSS_ST_EUlSS_E0_NS1_11comp_targetILNS1_3genE9ELNS1_11target_archE1100ELNS1_3gpuE3ELNS1_3repE0EEENS1_30default_config_static_selectorELNS0_4arch9wavefront6targetE1EEEvT1_ ; -- Begin function _ZN7rocprim17ROCPRIM_400000_NS6detail17trampoline_kernelINS0_14default_configENS1_20scan_config_selectorIfEEZZNS1_9scan_implILNS1_25lookback_scan_determinismE0ELb1ELb1ES3_N6thrust23THRUST_200600_302600_NS6detail15normal_iteratorINS9_10device_ptrIfEEEENS9_16discard_iteratorINS9_11use_defaultEEEfNS9_4plusIvEEfEEDaPvRmT3_T4_T5_mT6_P12ihipStream_tbENKUlT_T0_E_clISt17integral_constantIbLb1EESW_IbLb0EEEEDaSS_ST_EUlSS_E0_NS1_11comp_targetILNS1_3genE9ELNS1_11target_archE1100ELNS1_3gpuE3ELNS1_3repE0EEENS1_30default_config_static_selectorELNS0_4arch9wavefront6targetE1EEEvT1_
	.globl	_ZN7rocprim17ROCPRIM_400000_NS6detail17trampoline_kernelINS0_14default_configENS1_20scan_config_selectorIfEEZZNS1_9scan_implILNS1_25lookback_scan_determinismE0ELb1ELb1ES3_N6thrust23THRUST_200600_302600_NS6detail15normal_iteratorINS9_10device_ptrIfEEEENS9_16discard_iteratorINS9_11use_defaultEEEfNS9_4plusIvEEfEEDaPvRmT3_T4_T5_mT6_P12ihipStream_tbENKUlT_T0_E_clISt17integral_constantIbLb1EESW_IbLb0EEEEDaSS_ST_EUlSS_E0_NS1_11comp_targetILNS1_3genE9ELNS1_11target_archE1100ELNS1_3gpuE3ELNS1_3repE0EEENS1_30default_config_static_selectorELNS0_4arch9wavefront6targetE1EEEvT1_
	.p2align	8
	.type	_ZN7rocprim17ROCPRIM_400000_NS6detail17trampoline_kernelINS0_14default_configENS1_20scan_config_selectorIfEEZZNS1_9scan_implILNS1_25lookback_scan_determinismE0ELb1ELb1ES3_N6thrust23THRUST_200600_302600_NS6detail15normal_iteratorINS9_10device_ptrIfEEEENS9_16discard_iteratorINS9_11use_defaultEEEfNS9_4plusIvEEfEEDaPvRmT3_T4_T5_mT6_P12ihipStream_tbENKUlT_T0_E_clISt17integral_constantIbLb1EESW_IbLb0EEEEDaSS_ST_EUlSS_E0_NS1_11comp_targetILNS1_3genE9ELNS1_11target_archE1100ELNS1_3gpuE3ELNS1_3repE0EEENS1_30default_config_static_selectorELNS0_4arch9wavefront6targetE1EEEvT1_,@function
_ZN7rocprim17ROCPRIM_400000_NS6detail17trampoline_kernelINS0_14default_configENS1_20scan_config_selectorIfEEZZNS1_9scan_implILNS1_25lookback_scan_determinismE0ELb1ELb1ES3_N6thrust23THRUST_200600_302600_NS6detail15normal_iteratorINS9_10device_ptrIfEEEENS9_16discard_iteratorINS9_11use_defaultEEEfNS9_4plusIvEEfEEDaPvRmT3_T4_T5_mT6_P12ihipStream_tbENKUlT_T0_E_clISt17integral_constantIbLb1EESW_IbLb0EEEEDaSS_ST_EUlSS_E0_NS1_11comp_targetILNS1_3genE9ELNS1_11target_archE1100ELNS1_3gpuE3ELNS1_3repE0EEENS1_30default_config_static_selectorELNS0_4arch9wavefront6targetE1EEEvT1_: ; @_ZN7rocprim17ROCPRIM_400000_NS6detail17trampoline_kernelINS0_14default_configENS1_20scan_config_selectorIfEEZZNS1_9scan_implILNS1_25lookback_scan_determinismE0ELb1ELb1ES3_N6thrust23THRUST_200600_302600_NS6detail15normal_iteratorINS9_10device_ptrIfEEEENS9_16discard_iteratorINS9_11use_defaultEEEfNS9_4plusIvEEfEEDaPvRmT3_T4_T5_mT6_P12ihipStream_tbENKUlT_T0_E_clISt17integral_constantIbLb1EESW_IbLb0EEEEDaSS_ST_EUlSS_E0_NS1_11comp_targetILNS1_3genE9ELNS1_11target_archE1100ELNS1_3gpuE3ELNS1_3repE0EEENS1_30default_config_static_selectorELNS0_4arch9wavefront6targetE1EEEvT1_
; %bb.0:
	.section	.rodata,"a",@progbits
	.p2align	6, 0x0
	.amdhsa_kernel _ZN7rocprim17ROCPRIM_400000_NS6detail17trampoline_kernelINS0_14default_configENS1_20scan_config_selectorIfEEZZNS1_9scan_implILNS1_25lookback_scan_determinismE0ELb1ELb1ES3_N6thrust23THRUST_200600_302600_NS6detail15normal_iteratorINS9_10device_ptrIfEEEENS9_16discard_iteratorINS9_11use_defaultEEEfNS9_4plusIvEEfEEDaPvRmT3_T4_T5_mT6_P12ihipStream_tbENKUlT_T0_E_clISt17integral_constantIbLb1EESW_IbLb0EEEEDaSS_ST_EUlSS_E0_NS1_11comp_targetILNS1_3genE9ELNS1_11target_archE1100ELNS1_3gpuE3ELNS1_3repE0EEENS1_30default_config_static_selectorELNS0_4arch9wavefront6targetE1EEEvT1_
		.amdhsa_group_segment_fixed_size 0
		.amdhsa_private_segment_fixed_size 0
		.amdhsa_kernarg_size 40
		.amdhsa_user_sgpr_count 6
		.amdhsa_user_sgpr_private_segment_buffer 1
		.amdhsa_user_sgpr_dispatch_ptr 0
		.amdhsa_user_sgpr_queue_ptr 0
		.amdhsa_user_sgpr_kernarg_segment_ptr 1
		.amdhsa_user_sgpr_dispatch_id 0
		.amdhsa_user_sgpr_flat_scratch_init 0
		.amdhsa_user_sgpr_kernarg_preload_length 0
		.amdhsa_user_sgpr_kernarg_preload_offset 0
		.amdhsa_user_sgpr_private_segment_size 0
		.amdhsa_uses_dynamic_stack 0
		.amdhsa_system_sgpr_private_segment_wavefront_offset 0
		.amdhsa_system_sgpr_workgroup_id_x 1
		.amdhsa_system_sgpr_workgroup_id_y 0
		.amdhsa_system_sgpr_workgroup_id_z 0
		.amdhsa_system_sgpr_workgroup_info 0
		.amdhsa_system_vgpr_workitem_id 0
		.amdhsa_next_free_vgpr 1
		.amdhsa_next_free_sgpr 0
		.amdhsa_accum_offset 4
		.amdhsa_reserve_vcc 0
		.amdhsa_reserve_flat_scratch 0
		.amdhsa_float_round_mode_32 0
		.amdhsa_float_round_mode_16_64 0
		.amdhsa_float_denorm_mode_32 3
		.amdhsa_float_denorm_mode_16_64 3
		.amdhsa_dx10_clamp 1
		.amdhsa_ieee_mode 1
		.amdhsa_fp16_overflow 0
		.amdhsa_tg_split 0
		.amdhsa_exception_fp_ieee_invalid_op 0
		.amdhsa_exception_fp_denorm_src 0
		.amdhsa_exception_fp_ieee_div_zero 0
		.amdhsa_exception_fp_ieee_overflow 0
		.amdhsa_exception_fp_ieee_underflow 0
		.amdhsa_exception_fp_ieee_inexact 0
		.amdhsa_exception_int_div_zero 0
	.end_amdhsa_kernel
	.section	.text._ZN7rocprim17ROCPRIM_400000_NS6detail17trampoline_kernelINS0_14default_configENS1_20scan_config_selectorIfEEZZNS1_9scan_implILNS1_25lookback_scan_determinismE0ELb1ELb1ES3_N6thrust23THRUST_200600_302600_NS6detail15normal_iteratorINS9_10device_ptrIfEEEENS9_16discard_iteratorINS9_11use_defaultEEEfNS9_4plusIvEEfEEDaPvRmT3_T4_T5_mT6_P12ihipStream_tbENKUlT_T0_E_clISt17integral_constantIbLb1EESW_IbLb0EEEEDaSS_ST_EUlSS_E0_NS1_11comp_targetILNS1_3genE9ELNS1_11target_archE1100ELNS1_3gpuE3ELNS1_3repE0EEENS1_30default_config_static_selectorELNS0_4arch9wavefront6targetE1EEEvT1_,"axG",@progbits,_ZN7rocprim17ROCPRIM_400000_NS6detail17trampoline_kernelINS0_14default_configENS1_20scan_config_selectorIfEEZZNS1_9scan_implILNS1_25lookback_scan_determinismE0ELb1ELb1ES3_N6thrust23THRUST_200600_302600_NS6detail15normal_iteratorINS9_10device_ptrIfEEEENS9_16discard_iteratorINS9_11use_defaultEEEfNS9_4plusIvEEfEEDaPvRmT3_T4_T5_mT6_P12ihipStream_tbENKUlT_T0_E_clISt17integral_constantIbLb1EESW_IbLb0EEEEDaSS_ST_EUlSS_E0_NS1_11comp_targetILNS1_3genE9ELNS1_11target_archE1100ELNS1_3gpuE3ELNS1_3repE0EEENS1_30default_config_static_selectorELNS0_4arch9wavefront6targetE1EEEvT1_,comdat
.Lfunc_end5130:
	.size	_ZN7rocprim17ROCPRIM_400000_NS6detail17trampoline_kernelINS0_14default_configENS1_20scan_config_selectorIfEEZZNS1_9scan_implILNS1_25lookback_scan_determinismE0ELb1ELb1ES3_N6thrust23THRUST_200600_302600_NS6detail15normal_iteratorINS9_10device_ptrIfEEEENS9_16discard_iteratorINS9_11use_defaultEEEfNS9_4plusIvEEfEEDaPvRmT3_T4_T5_mT6_P12ihipStream_tbENKUlT_T0_E_clISt17integral_constantIbLb1EESW_IbLb0EEEEDaSS_ST_EUlSS_E0_NS1_11comp_targetILNS1_3genE9ELNS1_11target_archE1100ELNS1_3gpuE3ELNS1_3repE0EEENS1_30default_config_static_selectorELNS0_4arch9wavefront6targetE1EEEvT1_, .Lfunc_end5130-_ZN7rocprim17ROCPRIM_400000_NS6detail17trampoline_kernelINS0_14default_configENS1_20scan_config_selectorIfEEZZNS1_9scan_implILNS1_25lookback_scan_determinismE0ELb1ELb1ES3_N6thrust23THRUST_200600_302600_NS6detail15normal_iteratorINS9_10device_ptrIfEEEENS9_16discard_iteratorINS9_11use_defaultEEEfNS9_4plusIvEEfEEDaPvRmT3_T4_T5_mT6_P12ihipStream_tbENKUlT_T0_E_clISt17integral_constantIbLb1EESW_IbLb0EEEEDaSS_ST_EUlSS_E0_NS1_11comp_targetILNS1_3genE9ELNS1_11target_archE1100ELNS1_3gpuE3ELNS1_3repE0EEENS1_30default_config_static_selectorELNS0_4arch9wavefront6targetE1EEEvT1_
                                        ; -- End function
	.section	.AMDGPU.csdata,"",@progbits
; Kernel info:
; codeLenInByte = 0
; NumSgprs: 4
; NumVgprs: 0
; NumAgprs: 0
; TotalNumVgprs: 0
; ScratchSize: 0
; MemoryBound: 0
; FloatMode: 240
; IeeeMode: 1
; LDSByteSize: 0 bytes/workgroup (compile time only)
; SGPRBlocks: 0
; VGPRBlocks: 0
; NumSGPRsForWavesPerEU: 4
; NumVGPRsForWavesPerEU: 1
; AccumOffset: 4
; Occupancy: 8
; WaveLimiterHint : 0
; COMPUTE_PGM_RSRC2:SCRATCH_EN: 0
; COMPUTE_PGM_RSRC2:USER_SGPR: 6
; COMPUTE_PGM_RSRC2:TRAP_HANDLER: 0
; COMPUTE_PGM_RSRC2:TGID_X_EN: 1
; COMPUTE_PGM_RSRC2:TGID_Y_EN: 0
; COMPUTE_PGM_RSRC2:TGID_Z_EN: 0
; COMPUTE_PGM_RSRC2:TIDIG_COMP_CNT: 0
; COMPUTE_PGM_RSRC3_GFX90A:ACCUM_OFFSET: 0
; COMPUTE_PGM_RSRC3_GFX90A:TG_SPLIT: 0
	.section	.text._ZN7rocprim17ROCPRIM_400000_NS6detail17trampoline_kernelINS0_14default_configENS1_20scan_config_selectorIfEEZZNS1_9scan_implILNS1_25lookback_scan_determinismE0ELb1ELb1ES3_N6thrust23THRUST_200600_302600_NS6detail15normal_iteratorINS9_10device_ptrIfEEEENS9_16discard_iteratorINS9_11use_defaultEEEfNS9_4plusIvEEfEEDaPvRmT3_T4_T5_mT6_P12ihipStream_tbENKUlT_T0_E_clISt17integral_constantIbLb1EESW_IbLb0EEEEDaSS_ST_EUlSS_E0_NS1_11comp_targetILNS1_3genE8ELNS1_11target_archE1030ELNS1_3gpuE2ELNS1_3repE0EEENS1_30default_config_static_selectorELNS0_4arch9wavefront6targetE1EEEvT1_,"axG",@progbits,_ZN7rocprim17ROCPRIM_400000_NS6detail17trampoline_kernelINS0_14default_configENS1_20scan_config_selectorIfEEZZNS1_9scan_implILNS1_25lookback_scan_determinismE0ELb1ELb1ES3_N6thrust23THRUST_200600_302600_NS6detail15normal_iteratorINS9_10device_ptrIfEEEENS9_16discard_iteratorINS9_11use_defaultEEEfNS9_4plusIvEEfEEDaPvRmT3_T4_T5_mT6_P12ihipStream_tbENKUlT_T0_E_clISt17integral_constantIbLb1EESW_IbLb0EEEEDaSS_ST_EUlSS_E0_NS1_11comp_targetILNS1_3genE8ELNS1_11target_archE1030ELNS1_3gpuE2ELNS1_3repE0EEENS1_30default_config_static_selectorELNS0_4arch9wavefront6targetE1EEEvT1_,comdat
	.protected	_ZN7rocprim17ROCPRIM_400000_NS6detail17trampoline_kernelINS0_14default_configENS1_20scan_config_selectorIfEEZZNS1_9scan_implILNS1_25lookback_scan_determinismE0ELb1ELb1ES3_N6thrust23THRUST_200600_302600_NS6detail15normal_iteratorINS9_10device_ptrIfEEEENS9_16discard_iteratorINS9_11use_defaultEEEfNS9_4plusIvEEfEEDaPvRmT3_T4_T5_mT6_P12ihipStream_tbENKUlT_T0_E_clISt17integral_constantIbLb1EESW_IbLb0EEEEDaSS_ST_EUlSS_E0_NS1_11comp_targetILNS1_3genE8ELNS1_11target_archE1030ELNS1_3gpuE2ELNS1_3repE0EEENS1_30default_config_static_selectorELNS0_4arch9wavefront6targetE1EEEvT1_ ; -- Begin function _ZN7rocprim17ROCPRIM_400000_NS6detail17trampoline_kernelINS0_14default_configENS1_20scan_config_selectorIfEEZZNS1_9scan_implILNS1_25lookback_scan_determinismE0ELb1ELb1ES3_N6thrust23THRUST_200600_302600_NS6detail15normal_iteratorINS9_10device_ptrIfEEEENS9_16discard_iteratorINS9_11use_defaultEEEfNS9_4plusIvEEfEEDaPvRmT3_T4_T5_mT6_P12ihipStream_tbENKUlT_T0_E_clISt17integral_constantIbLb1EESW_IbLb0EEEEDaSS_ST_EUlSS_E0_NS1_11comp_targetILNS1_3genE8ELNS1_11target_archE1030ELNS1_3gpuE2ELNS1_3repE0EEENS1_30default_config_static_selectorELNS0_4arch9wavefront6targetE1EEEvT1_
	.globl	_ZN7rocprim17ROCPRIM_400000_NS6detail17trampoline_kernelINS0_14default_configENS1_20scan_config_selectorIfEEZZNS1_9scan_implILNS1_25lookback_scan_determinismE0ELb1ELb1ES3_N6thrust23THRUST_200600_302600_NS6detail15normal_iteratorINS9_10device_ptrIfEEEENS9_16discard_iteratorINS9_11use_defaultEEEfNS9_4plusIvEEfEEDaPvRmT3_T4_T5_mT6_P12ihipStream_tbENKUlT_T0_E_clISt17integral_constantIbLb1EESW_IbLb0EEEEDaSS_ST_EUlSS_E0_NS1_11comp_targetILNS1_3genE8ELNS1_11target_archE1030ELNS1_3gpuE2ELNS1_3repE0EEENS1_30default_config_static_selectorELNS0_4arch9wavefront6targetE1EEEvT1_
	.p2align	8
	.type	_ZN7rocprim17ROCPRIM_400000_NS6detail17trampoline_kernelINS0_14default_configENS1_20scan_config_selectorIfEEZZNS1_9scan_implILNS1_25lookback_scan_determinismE0ELb1ELb1ES3_N6thrust23THRUST_200600_302600_NS6detail15normal_iteratorINS9_10device_ptrIfEEEENS9_16discard_iteratorINS9_11use_defaultEEEfNS9_4plusIvEEfEEDaPvRmT3_T4_T5_mT6_P12ihipStream_tbENKUlT_T0_E_clISt17integral_constantIbLb1EESW_IbLb0EEEEDaSS_ST_EUlSS_E0_NS1_11comp_targetILNS1_3genE8ELNS1_11target_archE1030ELNS1_3gpuE2ELNS1_3repE0EEENS1_30default_config_static_selectorELNS0_4arch9wavefront6targetE1EEEvT1_,@function
_ZN7rocprim17ROCPRIM_400000_NS6detail17trampoline_kernelINS0_14default_configENS1_20scan_config_selectorIfEEZZNS1_9scan_implILNS1_25lookback_scan_determinismE0ELb1ELb1ES3_N6thrust23THRUST_200600_302600_NS6detail15normal_iteratorINS9_10device_ptrIfEEEENS9_16discard_iteratorINS9_11use_defaultEEEfNS9_4plusIvEEfEEDaPvRmT3_T4_T5_mT6_P12ihipStream_tbENKUlT_T0_E_clISt17integral_constantIbLb1EESW_IbLb0EEEEDaSS_ST_EUlSS_E0_NS1_11comp_targetILNS1_3genE8ELNS1_11target_archE1030ELNS1_3gpuE2ELNS1_3repE0EEENS1_30default_config_static_selectorELNS0_4arch9wavefront6targetE1EEEvT1_: ; @_ZN7rocprim17ROCPRIM_400000_NS6detail17trampoline_kernelINS0_14default_configENS1_20scan_config_selectorIfEEZZNS1_9scan_implILNS1_25lookback_scan_determinismE0ELb1ELb1ES3_N6thrust23THRUST_200600_302600_NS6detail15normal_iteratorINS9_10device_ptrIfEEEENS9_16discard_iteratorINS9_11use_defaultEEEfNS9_4plusIvEEfEEDaPvRmT3_T4_T5_mT6_P12ihipStream_tbENKUlT_T0_E_clISt17integral_constantIbLb1EESW_IbLb0EEEEDaSS_ST_EUlSS_E0_NS1_11comp_targetILNS1_3genE8ELNS1_11target_archE1030ELNS1_3gpuE2ELNS1_3repE0EEENS1_30default_config_static_selectorELNS0_4arch9wavefront6targetE1EEEvT1_
; %bb.0:
	.section	.rodata,"a",@progbits
	.p2align	6, 0x0
	.amdhsa_kernel _ZN7rocprim17ROCPRIM_400000_NS6detail17trampoline_kernelINS0_14default_configENS1_20scan_config_selectorIfEEZZNS1_9scan_implILNS1_25lookback_scan_determinismE0ELb1ELb1ES3_N6thrust23THRUST_200600_302600_NS6detail15normal_iteratorINS9_10device_ptrIfEEEENS9_16discard_iteratorINS9_11use_defaultEEEfNS9_4plusIvEEfEEDaPvRmT3_T4_T5_mT6_P12ihipStream_tbENKUlT_T0_E_clISt17integral_constantIbLb1EESW_IbLb0EEEEDaSS_ST_EUlSS_E0_NS1_11comp_targetILNS1_3genE8ELNS1_11target_archE1030ELNS1_3gpuE2ELNS1_3repE0EEENS1_30default_config_static_selectorELNS0_4arch9wavefront6targetE1EEEvT1_
		.amdhsa_group_segment_fixed_size 0
		.amdhsa_private_segment_fixed_size 0
		.amdhsa_kernarg_size 40
		.amdhsa_user_sgpr_count 6
		.amdhsa_user_sgpr_private_segment_buffer 1
		.amdhsa_user_sgpr_dispatch_ptr 0
		.amdhsa_user_sgpr_queue_ptr 0
		.amdhsa_user_sgpr_kernarg_segment_ptr 1
		.amdhsa_user_sgpr_dispatch_id 0
		.amdhsa_user_sgpr_flat_scratch_init 0
		.amdhsa_user_sgpr_kernarg_preload_length 0
		.amdhsa_user_sgpr_kernarg_preload_offset 0
		.amdhsa_user_sgpr_private_segment_size 0
		.amdhsa_uses_dynamic_stack 0
		.amdhsa_system_sgpr_private_segment_wavefront_offset 0
		.amdhsa_system_sgpr_workgroup_id_x 1
		.amdhsa_system_sgpr_workgroup_id_y 0
		.amdhsa_system_sgpr_workgroup_id_z 0
		.amdhsa_system_sgpr_workgroup_info 0
		.amdhsa_system_vgpr_workitem_id 0
		.amdhsa_next_free_vgpr 1
		.amdhsa_next_free_sgpr 0
		.amdhsa_accum_offset 4
		.amdhsa_reserve_vcc 0
		.amdhsa_reserve_flat_scratch 0
		.amdhsa_float_round_mode_32 0
		.amdhsa_float_round_mode_16_64 0
		.amdhsa_float_denorm_mode_32 3
		.amdhsa_float_denorm_mode_16_64 3
		.amdhsa_dx10_clamp 1
		.amdhsa_ieee_mode 1
		.amdhsa_fp16_overflow 0
		.amdhsa_tg_split 0
		.amdhsa_exception_fp_ieee_invalid_op 0
		.amdhsa_exception_fp_denorm_src 0
		.amdhsa_exception_fp_ieee_div_zero 0
		.amdhsa_exception_fp_ieee_overflow 0
		.amdhsa_exception_fp_ieee_underflow 0
		.amdhsa_exception_fp_ieee_inexact 0
		.amdhsa_exception_int_div_zero 0
	.end_amdhsa_kernel
	.section	.text._ZN7rocprim17ROCPRIM_400000_NS6detail17trampoline_kernelINS0_14default_configENS1_20scan_config_selectorIfEEZZNS1_9scan_implILNS1_25lookback_scan_determinismE0ELb1ELb1ES3_N6thrust23THRUST_200600_302600_NS6detail15normal_iteratorINS9_10device_ptrIfEEEENS9_16discard_iteratorINS9_11use_defaultEEEfNS9_4plusIvEEfEEDaPvRmT3_T4_T5_mT6_P12ihipStream_tbENKUlT_T0_E_clISt17integral_constantIbLb1EESW_IbLb0EEEEDaSS_ST_EUlSS_E0_NS1_11comp_targetILNS1_3genE8ELNS1_11target_archE1030ELNS1_3gpuE2ELNS1_3repE0EEENS1_30default_config_static_selectorELNS0_4arch9wavefront6targetE1EEEvT1_,"axG",@progbits,_ZN7rocprim17ROCPRIM_400000_NS6detail17trampoline_kernelINS0_14default_configENS1_20scan_config_selectorIfEEZZNS1_9scan_implILNS1_25lookback_scan_determinismE0ELb1ELb1ES3_N6thrust23THRUST_200600_302600_NS6detail15normal_iteratorINS9_10device_ptrIfEEEENS9_16discard_iteratorINS9_11use_defaultEEEfNS9_4plusIvEEfEEDaPvRmT3_T4_T5_mT6_P12ihipStream_tbENKUlT_T0_E_clISt17integral_constantIbLb1EESW_IbLb0EEEEDaSS_ST_EUlSS_E0_NS1_11comp_targetILNS1_3genE8ELNS1_11target_archE1030ELNS1_3gpuE2ELNS1_3repE0EEENS1_30default_config_static_selectorELNS0_4arch9wavefront6targetE1EEEvT1_,comdat
.Lfunc_end5131:
	.size	_ZN7rocprim17ROCPRIM_400000_NS6detail17trampoline_kernelINS0_14default_configENS1_20scan_config_selectorIfEEZZNS1_9scan_implILNS1_25lookback_scan_determinismE0ELb1ELb1ES3_N6thrust23THRUST_200600_302600_NS6detail15normal_iteratorINS9_10device_ptrIfEEEENS9_16discard_iteratorINS9_11use_defaultEEEfNS9_4plusIvEEfEEDaPvRmT3_T4_T5_mT6_P12ihipStream_tbENKUlT_T0_E_clISt17integral_constantIbLb1EESW_IbLb0EEEEDaSS_ST_EUlSS_E0_NS1_11comp_targetILNS1_3genE8ELNS1_11target_archE1030ELNS1_3gpuE2ELNS1_3repE0EEENS1_30default_config_static_selectorELNS0_4arch9wavefront6targetE1EEEvT1_, .Lfunc_end5131-_ZN7rocprim17ROCPRIM_400000_NS6detail17trampoline_kernelINS0_14default_configENS1_20scan_config_selectorIfEEZZNS1_9scan_implILNS1_25lookback_scan_determinismE0ELb1ELb1ES3_N6thrust23THRUST_200600_302600_NS6detail15normal_iteratorINS9_10device_ptrIfEEEENS9_16discard_iteratorINS9_11use_defaultEEEfNS9_4plusIvEEfEEDaPvRmT3_T4_T5_mT6_P12ihipStream_tbENKUlT_T0_E_clISt17integral_constantIbLb1EESW_IbLb0EEEEDaSS_ST_EUlSS_E0_NS1_11comp_targetILNS1_3genE8ELNS1_11target_archE1030ELNS1_3gpuE2ELNS1_3repE0EEENS1_30default_config_static_selectorELNS0_4arch9wavefront6targetE1EEEvT1_
                                        ; -- End function
	.section	.AMDGPU.csdata,"",@progbits
; Kernel info:
; codeLenInByte = 0
; NumSgprs: 4
; NumVgprs: 0
; NumAgprs: 0
; TotalNumVgprs: 0
; ScratchSize: 0
; MemoryBound: 0
; FloatMode: 240
; IeeeMode: 1
; LDSByteSize: 0 bytes/workgroup (compile time only)
; SGPRBlocks: 0
; VGPRBlocks: 0
; NumSGPRsForWavesPerEU: 4
; NumVGPRsForWavesPerEU: 1
; AccumOffset: 4
; Occupancy: 8
; WaveLimiterHint : 0
; COMPUTE_PGM_RSRC2:SCRATCH_EN: 0
; COMPUTE_PGM_RSRC2:USER_SGPR: 6
; COMPUTE_PGM_RSRC2:TRAP_HANDLER: 0
; COMPUTE_PGM_RSRC2:TGID_X_EN: 1
; COMPUTE_PGM_RSRC2:TGID_Y_EN: 0
; COMPUTE_PGM_RSRC2:TGID_Z_EN: 0
; COMPUTE_PGM_RSRC2:TIDIG_COMP_CNT: 0
; COMPUTE_PGM_RSRC3_GFX90A:ACCUM_OFFSET: 0
; COMPUTE_PGM_RSRC3_GFX90A:TG_SPLIT: 0
	.section	.text._ZN7rocprim17ROCPRIM_400000_NS6detail17trampoline_kernelINS0_14default_configENS1_20scan_config_selectorIfEEZZNS1_9scan_implILNS1_25lookback_scan_determinismE0ELb1ELb1ES3_N6thrust23THRUST_200600_302600_NS6detail15normal_iteratorINS9_10device_ptrIfEEEENS9_16discard_iteratorINS9_11use_defaultEEEfNS9_4plusIvEEfEEDaPvRmT3_T4_T5_mT6_P12ihipStream_tbENKUlT_T0_E_clISt17integral_constantIbLb0EESW_IbLb1EEEEDaSS_ST_EUlSS_E_NS1_11comp_targetILNS1_3genE0ELNS1_11target_archE4294967295ELNS1_3gpuE0ELNS1_3repE0EEENS1_30default_config_static_selectorELNS0_4arch9wavefront6targetE1EEEvT1_,"axG",@progbits,_ZN7rocprim17ROCPRIM_400000_NS6detail17trampoline_kernelINS0_14default_configENS1_20scan_config_selectorIfEEZZNS1_9scan_implILNS1_25lookback_scan_determinismE0ELb1ELb1ES3_N6thrust23THRUST_200600_302600_NS6detail15normal_iteratorINS9_10device_ptrIfEEEENS9_16discard_iteratorINS9_11use_defaultEEEfNS9_4plusIvEEfEEDaPvRmT3_T4_T5_mT6_P12ihipStream_tbENKUlT_T0_E_clISt17integral_constantIbLb0EESW_IbLb1EEEEDaSS_ST_EUlSS_E_NS1_11comp_targetILNS1_3genE0ELNS1_11target_archE4294967295ELNS1_3gpuE0ELNS1_3repE0EEENS1_30default_config_static_selectorELNS0_4arch9wavefront6targetE1EEEvT1_,comdat
	.protected	_ZN7rocprim17ROCPRIM_400000_NS6detail17trampoline_kernelINS0_14default_configENS1_20scan_config_selectorIfEEZZNS1_9scan_implILNS1_25lookback_scan_determinismE0ELb1ELb1ES3_N6thrust23THRUST_200600_302600_NS6detail15normal_iteratorINS9_10device_ptrIfEEEENS9_16discard_iteratorINS9_11use_defaultEEEfNS9_4plusIvEEfEEDaPvRmT3_T4_T5_mT6_P12ihipStream_tbENKUlT_T0_E_clISt17integral_constantIbLb0EESW_IbLb1EEEEDaSS_ST_EUlSS_E_NS1_11comp_targetILNS1_3genE0ELNS1_11target_archE4294967295ELNS1_3gpuE0ELNS1_3repE0EEENS1_30default_config_static_selectorELNS0_4arch9wavefront6targetE1EEEvT1_ ; -- Begin function _ZN7rocprim17ROCPRIM_400000_NS6detail17trampoline_kernelINS0_14default_configENS1_20scan_config_selectorIfEEZZNS1_9scan_implILNS1_25lookback_scan_determinismE0ELb1ELb1ES3_N6thrust23THRUST_200600_302600_NS6detail15normal_iteratorINS9_10device_ptrIfEEEENS9_16discard_iteratorINS9_11use_defaultEEEfNS9_4plusIvEEfEEDaPvRmT3_T4_T5_mT6_P12ihipStream_tbENKUlT_T0_E_clISt17integral_constantIbLb0EESW_IbLb1EEEEDaSS_ST_EUlSS_E_NS1_11comp_targetILNS1_3genE0ELNS1_11target_archE4294967295ELNS1_3gpuE0ELNS1_3repE0EEENS1_30default_config_static_selectorELNS0_4arch9wavefront6targetE1EEEvT1_
	.globl	_ZN7rocprim17ROCPRIM_400000_NS6detail17trampoline_kernelINS0_14default_configENS1_20scan_config_selectorIfEEZZNS1_9scan_implILNS1_25lookback_scan_determinismE0ELb1ELb1ES3_N6thrust23THRUST_200600_302600_NS6detail15normal_iteratorINS9_10device_ptrIfEEEENS9_16discard_iteratorINS9_11use_defaultEEEfNS9_4plusIvEEfEEDaPvRmT3_T4_T5_mT6_P12ihipStream_tbENKUlT_T0_E_clISt17integral_constantIbLb0EESW_IbLb1EEEEDaSS_ST_EUlSS_E_NS1_11comp_targetILNS1_3genE0ELNS1_11target_archE4294967295ELNS1_3gpuE0ELNS1_3repE0EEENS1_30default_config_static_selectorELNS0_4arch9wavefront6targetE1EEEvT1_
	.p2align	8
	.type	_ZN7rocprim17ROCPRIM_400000_NS6detail17trampoline_kernelINS0_14default_configENS1_20scan_config_selectorIfEEZZNS1_9scan_implILNS1_25lookback_scan_determinismE0ELb1ELb1ES3_N6thrust23THRUST_200600_302600_NS6detail15normal_iteratorINS9_10device_ptrIfEEEENS9_16discard_iteratorINS9_11use_defaultEEEfNS9_4plusIvEEfEEDaPvRmT3_T4_T5_mT6_P12ihipStream_tbENKUlT_T0_E_clISt17integral_constantIbLb0EESW_IbLb1EEEEDaSS_ST_EUlSS_E_NS1_11comp_targetILNS1_3genE0ELNS1_11target_archE4294967295ELNS1_3gpuE0ELNS1_3repE0EEENS1_30default_config_static_selectorELNS0_4arch9wavefront6targetE1EEEvT1_,@function
_ZN7rocprim17ROCPRIM_400000_NS6detail17trampoline_kernelINS0_14default_configENS1_20scan_config_selectorIfEEZZNS1_9scan_implILNS1_25lookback_scan_determinismE0ELb1ELb1ES3_N6thrust23THRUST_200600_302600_NS6detail15normal_iteratorINS9_10device_ptrIfEEEENS9_16discard_iteratorINS9_11use_defaultEEEfNS9_4plusIvEEfEEDaPvRmT3_T4_T5_mT6_P12ihipStream_tbENKUlT_T0_E_clISt17integral_constantIbLb0EESW_IbLb1EEEEDaSS_ST_EUlSS_E_NS1_11comp_targetILNS1_3genE0ELNS1_11target_archE4294967295ELNS1_3gpuE0ELNS1_3repE0EEENS1_30default_config_static_selectorELNS0_4arch9wavefront6targetE1EEEvT1_: ; @_ZN7rocprim17ROCPRIM_400000_NS6detail17trampoline_kernelINS0_14default_configENS1_20scan_config_selectorIfEEZZNS1_9scan_implILNS1_25lookback_scan_determinismE0ELb1ELb1ES3_N6thrust23THRUST_200600_302600_NS6detail15normal_iteratorINS9_10device_ptrIfEEEENS9_16discard_iteratorINS9_11use_defaultEEEfNS9_4plusIvEEfEEDaPvRmT3_T4_T5_mT6_P12ihipStream_tbENKUlT_T0_E_clISt17integral_constantIbLb0EESW_IbLb1EEEEDaSS_ST_EUlSS_E_NS1_11comp_targetILNS1_3genE0ELNS1_11target_archE4294967295ELNS1_3gpuE0ELNS1_3repE0EEENS1_30default_config_static_selectorELNS0_4arch9wavefront6targetE1EEEvT1_
; %bb.0:
	.section	.rodata,"a",@progbits
	.p2align	6, 0x0
	.amdhsa_kernel _ZN7rocprim17ROCPRIM_400000_NS6detail17trampoline_kernelINS0_14default_configENS1_20scan_config_selectorIfEEZZNS1_9scan_implILNS1_25lookback_scan_determinismE0ELb1ELb1ES3_N6thrust23THRUST_200600_302600_NS6detail15normal_iteratorINS9_10device_ptrIfEEEENS9_16discard_iteratorINS9_11use_defaultEEEfNS9_4plusIvEEfEEDaPvRmT3_T4_T5_mT6_P12ihipStream_tbENKUlT_T0_E_clISt17integral_constantIbLb0EESW_IbLb1EEEEDaSS_ST_EUlSS_E_NS1_11comp_targetILNS1_3genE0ELNS1_11target_archE4294967295ELNS1_3gpuE0ELNS1_3repE0EEENS1_30default_config_static_selectorELNS0_4arch9wavefront6targetE1EEEvT1_
		.amdhsa_group_segment_fixed_size 0
		.amdhsa_private_segment_fixed_size 0
		.amdhsa_kernarg_size 104
		.amdhsa_user_sgpr_count 6
		.amdhsa_user_sgpr_private_segment_buffer 1
		.amdhsa_user_sgpr_dispatch_ptr 0
		.amdhsa_user_sgpr_queue_ptr 0
		.amdhsa_user_sgpr_kernarg_segment_ptr 1
		.amdhsa_user_sgpr_dispatch_id 0
		.amdhsa_user_sgpr_flat_scratch_init 0
		.amdhsa_user_sgpr_kernarg_preload_length 0
		.amdhsa_user_sgpr_kernarg_preload_offset 0
		.amdhsa_user_sgpr_private_segment_size 0
		.amdhsa_uses_dynamic_stack 0
		.amdhsa_system_sgpr_private_segment_wavefront_offset 0
		.amdhsa_system_sgpr_workgroup_id_x 1
		.amdhsa_system_sgpr_workgroup_id_y 0
		.amdhsa_system_sgpr_workgroup_id_z 0
		.amdhsa_system_sgpr_workgroup_info 0
		.amdhsa_system_vgpr_workitem_id 0
		.amdhsa_next_free_vgpr 1
		.amdhsa_next_free_sgpr 0
		.amdhsa_accum_offset 4
		.amdhsa_reserve_vcc 0
		.amdhsa_reserve_flat_scratch 0
		.amdhsa_float_round_mode_32 0
		.amdhsa_float_round_mode_16_64 0
		.amdhsa_float_denorm_mode_32 3
		.amdhsa_float_denorm_mode_16_64 3
		.amdhsa_dx10_clamp 1
		.amdhsa_ieee_mode 1
		.amdhsa_fp16_overflow 0
		.amdhsa_tg_split 0
		.amdhsa_exception_fp_ieee_invalid_op 0
		.amdhsa_exception_fp_denorm_src 0
		.amdhsa_exception_fp_ieee_div_zero 0
		.amdhsa_exception_fp_ieee_overflow 0
		.amdhsa_exception_fp_ieee_underflow 0
		.amdhsa_exception_fp_ieee_inexact 0
		.amdhsa_exception_int_div_zero 0
	.end_amdhsa_kernel
	.section	.text._ZN7rocprim17ROCPRIM_400000_NS6detail17trampoline_kernelINS0_14default_configENS1_20scan_config_selectorIfEEZZNS1_9scan_implILNS1_25lookback_scan_determinismE0ELb1ELb1ES3_N6thrust23THRUST_200600_302600_NS6detail15normal_iteratorINS9_10device_ptrIfEEEENS9_16discard_iteratorINS9_11use_defaultEEEfNS9_4plusIvEEfEEDaPvRmT3_T4_T5_mT6_P12ihipStream_tbENKUlT_T0_E_clISt17integral_constantIbLb0EESW_IbLb1EEEEDaSS_ST_EUlSS_E_NS1_11comp_targetILNS1_3genE0ELNS1_11target_archE4294967295ELNS1_3gpuE0ELNS1_3repE0EEENS1_30default_config_static_selectorELNS0_4arch9wavefront6targetE1EEEvT1_,"axG",@progbits,_ZN7rocprim17ROCPRIM_400000_NS6detail17trampoline_kernelINS0_14default_configENS1_20scan_config_selectorIfEEZZNS1_9scan_implILNS1_25lookback_scan_determinismE0ELb1ELb1ES3_N6thrust23THRUST_200600_302600_NS6detail15normal_iteratorINS9_10device_ptrIfEEEENS9_16discard_iteratorINS9_11use_defaultEEEfNS9_4plusIvEEfEEDaPvRmT3_T4_T5_mT6_P12ihipStream_tbENKUlT_T0_E_clISt17integral_constantIbLb0EESW_IbLb1EEEEDaSS_ST_EUlSS_E_NS1_11comp_targetILNS1_3genE0ELNS1_11target_archE4294967295ELNS1_3gpuE0ELNS1_3repE0EEENS1_30default_config_static_selectorELNS0_4arch9wavefront6targetE1EEEvT1_,comdat
.Lfunc_end5132:
	.size	_ZN7rocprim17ROCPRIM_400000_NS6detail17trampoline_kernelINS0_14default_configENS1_20scan_config_selectorIfEEZZNS1_9scan_implILNS1_25lookback_scan_determinismE0ELb1ELb1ES3_N6thrust23THRUST_200600_302600_NS6detail15normal_iteratorINS9_10device_ptrIfEEEENS9_16discard_iteratorINS9_11use_defaultEEEfNS9_4plusIvEEfEEDaPvRmT3_T4_T5_mT6_P12ihipStream_tbENKUlT_T0_E_clISt17integral_constantIbLb0EESW_IbLb1EEEEDaSS_ST_EUlSS_E_NS1_11comp_targetILNS1_3genE0ELNS1_11target_archE4294967295ELNS1_3gpuE0ELNS1_3repE0EEENS1_30default_config_static_selectorELNS0_4arch9wavefront6targetE1EEEvT1_, .Lfunc_end5132-_ZN7rocprim17ROCPRIM_400000_NS6detail17trampoline_kernelINS0_14default_configENS1_20scan_config_selectorIfEEZZNS1_9scan_implILNS1_25lookback_scan_determinismE0ELb1ELb1ES3_N6thrust23THRUST_200600_302600_NS6detail15normal_iteratorINS9_10device_ptrIfEEEENS9_16discard_iteratorINS9_11use_defaultEEEfNS9_4plusIvEEfEEDaPvRmT3_T4_T5_mT6_P12ihipStream_tbENKUlT_T0_E_clISt17integral_constantIbLb0EESW_IbLb1EEEEDaSS_ST_EUlSS_E_NS1_11comp_targetILNS1_3genE0ELNS1_11target_archE4294967295ELNS1_3gpuE0ELNS1_3repE0EEENS1_30default_config_static_selectorELNS0_4arch9wavefront6targetE1EEEvT1_
                                        ; -- End function
	.section	.AMDGPU.csdata,"",@progbits
; Kernel info:
; codeLenInByte = 0
; NumSgprs: 4
; NumVgprs: 0
; NumAgprs: 0
; TotalNumVgprs: 0
; ScratchSize: 0
; MemoryBound: 0
; FloatMode: 240
; IeeeMode: 1
; LDSByteSize: 0 bytes/workgroup (compile time only)
; SGPRBlocks: 0
; VGPRBlocks: 0
; NumSGPRsForWavesPerEU: 4
; NumVGPRsForWavesPerEU: 1
; AccumOffset: 4
; Occupancy: 8
; WaveLimiterHint : 0
; COMPUTE_PGM_RSRC2:SCRATCH_EN: 0
; COMPUTE_PGM_RSRC2:USER_SGPR: 6
; COMPUTE_PGM_RSRC2:TRAP_HANDLER: 0
; COMPUTE_PGM_RSRC2:TGID_X_EN: 1
; COMPUTE_PGM_RSRC2:TGID_Y_EN: 0
; COMPUTE_PGM_RSRC2:TGID_Z_EN: 0
; COMPUTE_PGM_RSRC2:TIDIG_COMP_CNT: 0
; COMPUTE_PGM_RSRC3_GFX90A:ACCUM_OFFSET: 0
; COMPUTE_PGM_RSRC3_GFX90A:TG_SPLIT: 0
	.section	.text._ZN7rocprim17ROCPRIM_400000_NS6detail17trampoline_kernelINS0_14default_configENS1_20scan_config_selectorIfEEZZNS1_9scan_implILNS1_25lookback_scan_determinismE0ELb1ELb1ES3_N6thrust23THRUST_200600_302600_NS6detail15normal_iteratorINS9_10device_ptrIfEEEENS9_16discard_iteratorINS9_11use_defaultEEEfNS9_4plusIvEEfEEDaPvRmT3_T4_T5_mT6_P12ihipStream_tbENKUlT_T0_E_clISt17integral_constantIbLb0EESW_IbLb1EEEEDaSS_ST_EUlSS_E_NS1_11comp_targetILNS1_3genE5ELNS1_11target_archE942ELNS1_3gpuE9ELNS1_3repE0EEENS1_30default_config_static_selectorELNS0_4arch9wavefront6targetE1EEEvT1_,"axG",@progbits,_ZN7rocprim17ROCPRIM_400000_NS6detail17trampoline_kernelINS0_14default_configENS1_20scan_config_selectorIfEEZZNS1_9scan_implILNS1_25lookback_scan_determinismE0ELb1ELb1ES3_N6thrust23THRUST_200600_302600_NS6detail15normal_iteratorINS9_10device_ptrIfEEEENS9_16discard_iteratorINS9_11use_defaultEEEfNS9_4plusIvEEfEEDaPvRmT3_T4_T5_mT6_P12ihipStream_tbENKUlT_T0_E_clISt17integral_constantIbLb0EESW_IbLb1EEEEDaSS_ST_EUlSS_E_NS1_11comp_targetILNS1_3genE5ELNS1_11target_archE942ELNS1_3gpuE9ELNS1_3repE0EEENS1_30default_config_static_selectorELNS0_4arch9wavefront6targetE1EEEvT1_,comdat
	.protected	_ZN7rocprim17ROCPRIM_400000_NS6detail17trampoline_kernelINS0_14default_configENS1_20scan_config_selectorIfEEZZNS1_9scan_implILNS1_25lookback_scan_determinismE0ELb1ELb1ES3_N6thrust23THRUST_200600_302600_NS6detail15normal_iteratorINS9_10device_ptrIfEEEENS9_16discard_iteratorINS9_11use_defaultEEEfNS9_4plusIvEEfEEDaPvRmT3_T4_T5_mT6_P12ihipStream_tbENKUlT_T0_E_clISt17integral_constantIbLb0EESW_IbLb1EEEEDaSS_ST_EUlSS_E_NS1_11comp_targetILNS1_3genE5ELNS1_11target_archE942ELNS1_3gpuE9ELNS1_3repE0EEENS1_30default_config_static_selectorELNS0_4arch9wavefront6targetE1EEEvT1_ ; -- Begin function _ZN7rocprim17ROCPRIM_400000_NS6detail17trampoline_kernelINS0_14default_configENS1_20scan_config_selectorIfEEZZNS1_9scan_implILNS1_25lookback_scan_determinismE0ELb1ELb1ES3_N6thrust23THRUST_200600_302600_NS6detail15normal_iteratorINS9_10device_ptrIfEEEENS9_16discard_iteratorINS9_11use_defaultEEEfNS9_4plusIvEEfEEDaPvRmT3_T4_T5_mT6_P12ihipStream_tbENKUlT_T0_E_clISt17integral_constantIbLb0EESW_IbLb1EEEEDaSS_ST_EUlSS_E_NS1_11comp_targetILNS1_3genE5ELNS1_11target_archE942ELNS1_3gpuE9ELNS1_3repE0EEENS1_30default_config_static_selectorELNS0_4arch9wavefront6targetE1EEEvT1_
	.globl	_ZN7rocprim17ROCPRIM_400000_NS6detail17trampoline_kernelINS0_14default_configENS1_20scan_config_selectorIfEEZZNS1_9scan_implILNS1_25lookback_scan_determinismE0ELb1ELb1ES3_N6thrust23THRUST_200600_302600_NS6detail15normal_iteratorINS9_10device_ptrIfEEEENS9_16discard_iteratorINS9_11use_defaultEEEfNS9_4plusIvEEfEEDaPvRmT3_T4_T5_mT6_P12ihipStream_tbENKUlT_T0_E_clISt17integral_constantIbLb0EESW_IbLb1EEEEDaSS_ST_EUlSS_E_NS1_11comp_targetILNS1_3genE5ELNS1_11target_archE942ELNS1_3gpuE9ELNS1_3repE0EEENS1_30default_config_static_selectorELNS0_4arch9wavefront6targetE1EEEvT1_
	.p2align	8
	.type	_ZN7rocprim17ROCPRIM_400000_NS6detail17trampoline_kernelINS0_14default_configENS1_20scan_config_selectorIfEEZZNS1_9scan_implILNS1_25lookback_scan_determinismE0ELb1ELb1ES3_N6thrust23THRUST_200600_302600_NS6detail15normal_iteratorINS9_10device_ptrIfEEEENS9_16discard_iteratorINS9_11use_defaultEEEfNS9_4plusIvEEfEEDaPvRmT3_T4_T5_mT6_P12ihipStream_tbENKUlT_T0_E_clISt17integral_constantIbLb0EESW_IbLb1EEEEDaSS_ST_EUlSS_E_NS1_11comp_targetILNS1_3genE5ELNS1_11target_archE942ELNS1_3gpuE9ELNS1_3repE0EEENS1_30default_config_static_selectorELNS0_4arch9wavefront6targetE1EEEvT1_,@function
_ZN7rocprim17ROCPRIM_400000_NS6detail17trampoline_kernelINS0_14default_configENS1_20scan_config_selectorIfEEZZNS1_9scan_implILNS1_25lookback_scan_determinismE0ELb1ELb1ES3_N6thrust23THRUST_200600_302600_NS6detail15normal_iteratorINS9_10device_ptrIfEEEENS9_16discard_iteratorINS9_11use_defaultEEEfNS9_4plusIvEEfEEDaPvRmT3_T4_T5_mT6_P12ihipStream_tbENKUlT_T0_E_clISt17integral_constantIbLb0EESW_IbLb1EEEEDaSS_ST_EUlSS_E_NS1_11comp_targetILNS1_3genE5ELNS1_11target_archE942ELNS1_3gpuE9ELNS1_3repE0EEENS1_30default_config_static_selectorELNS0_4arch9wavefront6targetE1EEEvT1_: ; @_ZN7rocprim17ROCPRIM_400000_NS6detail17trampoline_kernelINS0_14default_configENS1_20scan_config_selectorIfEEZZNS1_9scan_implILNS1_25lookback_scan_determinismE0ELb1ELb1ES3_N6thrust23THRUST_200600_302600_NS6detail15normal_iteratorINS9_10device_ptrIfEEEENS9_16discard_iteratorINS9_11use_defaultEEEfNS9_4plusIvEEfEEDaPvRmT3_T4_T5_mT6_P12ihipStream_tbENKUlT_T0_E_clISt17integral_constantIbLb0EESW_IbLb1EEEEDaSS_ST_EUlSS_E_NS1_11comp_targetILNS1_3genE5ELNS1_11target_archE942ELNS1_3gpuE9ELNS1_3repE0EEENS1_30default_config_static_selectorELNS0_4arch9wavefront6targetE1EEEvT1_
; %bb.0:
	.section	.rodata,"a",@progbits
	.p2align	6, 0x0
	.amdhsa_kernel _ZN7rocprim17ROCPRIM_400000_NS6detail17trampoline_kernelINS0_14default_configENS1_20scan_config_selectorIfEEZZNS1_9scan_implILNS1_25lookback_scan_determinismE0ELb1ELb1ES3_N6thrust23THRUST_200600_302600_NS6detail15normal_iteratorINS9_10device_ptrIfEEEENS9_16discard_iteratorINS9_11use_defaultEEEfNS9_4plusIvEEfEEDaPvRmT3_T4_T5_mT6_P12ihipStream_tbENKUlT_T0_E_clISt17integral_constantIbLb0EESW_IbLb1EEEEDaSS_ST_EUlSS_E_NS1_11comp_targetILNS1_3genE5ELNS1_11target_archE942ELNS1_3gpuE9ELNS1_3repE0EEENS1_30default_config_static_selectorELNS0_4arch9wavefront6targetE1EEEvT1_
		.amdhsa_group_segment_fixed_size 0
		.amdhsa_private_segment_fixed_size 0
		.amdhsa_kernarg_size 104
		.amdhsa_user_sgpr_count 6
		.amdhsa_user_sgpr_private_segment_buffer 1
		.amdhsa_user_sgpr_dispatch_ptr 0
		.amdhsa_user_sgpr_queue_ptr 0
		.amdhsa_user_sgpr_kernarg_segment_ptr 1
		.amdhsa_user_sgpr_dispatch_id 0
		.amdhsa_user_sgpr_flat_scratch_init 0
		.amdhsa_user_sgpr_kernarg_preload_length 0
		.amdhsa_user_sgpr_kernarg_preload_offset 0
		.amdhsa_user_sgpr_private_segment_size 0
		.amdhsa_uses_dynamic_stack 0
		.amdhsa_system_sgpr_private_segment_wavefront_offset 0
		.amdhsa_system_sgpr_workgroup_id_x 1
		.amdhsa_system_sgpr_workgroup_id_y 0
		.amdhsa_system_sgpr_workgroup_id_z 0
		.amdhsa_system_sgpr_workgroup_info 0
		.amdhsa_system_vgpr_workitem_id 0
		.amdhsa_next_free_vgpr 1
		.amdhsa_next_free_sgpr 0
		.amdhsa_accum_offset 4
		.amdhsa_reserve_vcc 0
		.amdhsa_reserve_flat_scratch 0
		.amdhsa_float_round_mode_32 0
		.amdhsa_float_round_mode_16_64 0
		.amdhsa_float_denorm_mode_32 3
		.amdhsa_float_denorm_mode_16_64 3
		.amdhsa_dx10_clamp 1
		.amdhsa_ieee_mode 1
		.amdhsa_fp16_overflow 0
		.amdhsa_tg_split 0
		.amdhsa_exception_fp_ieee_invalid_op 0
		.amdhsa_exception_fp_denorm_src 0
		.amdhsa_exception_fp_ieee_div_zero 0
		.amdhsa_exception_fp_ieee_overflow 0
		.amdhsa_exception_fp_ieee_underflow 0
		.amdhsa_exception_fp_ieee_inexact 0
		.amdhsa_exception_int_div_zero 0
	.end_amdhsa_kernel
	.section	.text._ZN7rocprim17ROCPRIM_400000_NS6detail17trampoline_kernelINS0_14default_configENS1_20scan_config_selectorIfEEZZNS1_9scan_implILNS1_25lookback_scan_determinismE0ELb1ELb1ES3_N6thrust23THRUST_200600_302600_NS6detail15normal_iteratorINS9_10device_ptrIfEEEENS9_16discard_iteratorINS9_11use_defaultEEEfNS9_4plusIvEEfEEDaPvRmT3_T4_T5_mT6_P12ihipStream_tbENKUlT_T0_E_clISt17integral_constantIbLb0EESW_IbLb1EEEEDaSS_ST_EUlSS_E_NS1_11comp_targetILNS1_3genE5ELNS1_11target_archE942ELNS1_3gpuE9ELNS1_3repE0EEENS1_30default_config_static_selectorELNS0_4arch9wavefront6targetE1EEEvT1_,"axG",@progbits,_ZN7rocprim17ROCPRIM_400000_NS6detail17trampoline_kernelINS0_14default_configENS1_20scan_config_selectorIfEEZZNS1_9scan_implILNS1_25lookback_scan_determinismE0ELb1ELb1ES3_N6thrust23THRUST_200600_302600_NS6detail15normal_iteratorINS9_10device_ptrIfEEEENS9_16discard_iteratorINS9_11use_defaultEEEfNS9_4plusIvEEfEEDaPvRmT3_T4_T5_mT6_P12ihipStream_tbENKUlT_T0_E_clISt17integral_constantIbLb0EESW_IbLb1EEEEDaSS_ST_EUlSS_E_NS1_11comp_targetILNS1_3genE5ELNS1_11target_archE942ELNS1_3gpuE9ELNS1_3repE0EEENS1_30default_config_static_selectorELNS0_4arch9wavefront6targetE1EEEvT1_,comdat
.Lfunc_end5133:
	.size	_ZN7rocprim17ROCPRIM_400000_NS6detail17trampoline_kernelINS0_14default_configENS1_20scan_config_selectorIfEEZZNS1_9scan_implILNS1_25lookback_scan_determinismE0ELb1ELb1ES3_N6thrust23THRUST_200600_302600_NS6detail15normal_iteratorINS9_10device_ptrIfEEEENS9_16discard_iteratorINS9_11use_defaultEEEfNS9_4plusIvEEfEEDaPvRmT3_T4_T5_mT6_P12ihipStream_tbENKUlT_T0_E_clISt17integral_constantIbLb0EESW_IbLb1EEEEDaSS_ST_EUlSS_E_NS1_11comp_targetILNS1_3genE5ELNS1_11target_archE942ELNS1_3gpuE9ELNS1_3repE0EEENS1_30default_config_static_selectorELNS0_4arch9wavefront6targetE1EEEvT1_, .Lfunc_end5133-_ZN7rocprim17ROCPRIM_400000_NS6detail17trampoline_kernelINS0_14default_configENS1_20scan_config_selectorIfEEZZNS1_9scan_implILNS1_25lookback_scan_determinismE0ELb1ELb1ES3_N6thrust23THRUST_200600_302600_NS6detail15normal_iteratorINS9_10device_ptrIfEEEENS9_16discard_iteratorINS9_11use_defaultEEEfNS9_4plusIvEEfEEDaPvRmT3_T4_T5_mT6_P12ihipStream_tbENKUlT_T0_E_clISt17integral_constantIbLb0EESW_IbLb1EEEEDaSS_ST_EUlSS_E_NS1_11comp_targetILNS1_3genE5ELNS1_11target_archE942ELNS1_3gpuE9ELNS1_3repE0EEENS1_30default_config_static_selectorELNS0_4arch9wavefront6targetE1EEEvT1_
                                        ; -- End function
	.section	.AMDGPU.csdata,"",@progbits
; Kernel info:
; codeLenInByte = 0
; NumSgprs: 4
; NumVgprs: 0
; NumAgprs: 0
; TotalNumVgprs: 0
; ScratchSize: 0
; MemoryBound: 0
; FloatMode: 240
; IeeeMode: 1
; LDSByteSize: 0 bytes/workgroup (compile time only)
; SGPRBlocks: 0
; VGPRBlocks: 0
; NumSGPRsForWavesPerEU: 4
; NumVGPRsForWavesPerEU: 1
; AccumOffset: 4
; Occupancy: 8
; WaveLimiterHint : 0
; COMPUTE_PGM_RSRC2:SCRATCH_EN: 0
; COMPUTE_PGM_RSRC2:USER_SGPR: 6
; COMPUTE_PGM_RSRC2:TRAP_HANDLER: 0
; COMPUTE_PGM_RSRC2:TGID_X_EN: 1
; COMPUTE_PGM_RSRC2:TGID_Y_EN: 0
; COMPUTE_PGM_RSRC2:TGID_Z_EN: 0
; COMPUTE_PGM_RSRC2:TIDIG_COMP_CNT: 0
; COMPUTE_PGM_RSRC3_GFX90A:ACCUM_OFFSET: 0
; COMPUTE_PGM_RSRC3_GFX90A:TG_SPLIT: 0
	.section	.text._ZN7rocprim17ROCPRIM_400000_NS6detail17trampoline_kernelINS0_14default_configENS1_20scan_config_selectorIfEEZZNS1_9scan_implILNS1_25lookback_scan_determinismE0ELb1ELb1ES3_N6thrust23THRUST_200600_302600_NS6detail15normal_iteratorINS9_10device_ptrIfEEEENS9_16discard_iteratorINS9_11use_defaultEEEfNS9_4plusIvEEfEEDaPvRmT3_T4_T5_mT6_P12ihipStream_tbENKUlT_T0_E_clISt17integral_constantIbLb0EESW_IbLb1EEEEDaSS_ST_EUlSS_E_NS1_11comp_targetILNS1_3genE4ELNS1_11target_archE910ELNS1_3gpuE8ELNS1_3repE0EEENS1_30default_config_static_selectorELNS0_4arch9wavefront6targetE1EEEvT1_,"axG",@progbits,_ZN7rocprim17ROCPRIM_400000_NS6detail17trampoline_kernelINS0_14default_configENS1_20scan_config_selectorIfEEZZNS1_9scan_implILNS1_25lookback_scan_determinismE0ELb1ELb1ES3_N6thrust23THRUST_200600_302600_NS6detail15normal_iteratorINS9_10device_ptrIfEEEENS9_16discard_iteratorINS9_11use_defaultEEEfNS9_4plusIvEEfEEDaPvRmT3_T4_T5_mT6_P12ihipStream_tbENKUlT_T0_E_clISt17integral_constantIbLb0EESW_IbLb1EEEEDaSS_ST_EUlSS_E_NS1_11comp_targetILNS1_3genE4ELNS1_11target_archE910ELNS1_3gpuE8ELNS1_3repE0EEENS1_30default_config_static_selectorELNS0_4arch9wavefront6targetE1EEEvT1_,comdat
	.protected	_ZN7rocprim17ROCPRIM_400000_NS6detail17trampoline_kernelINS0_14default_configENS1_20scan_config_selectorIfEEZZNS1_9scan_implILNS1_25lookback_scan_determinismE0ELb1ELb1ES3_N6thrust23THRUST_200600_302600_NS6detail15normal_iteratorINS9_10device_ptrIfEEEENS9_16discard_iteratorINS9_11use_defaultEEEfNS9_4plusIvEEfEEDaPvRmT3_T4_T5_mT6_P12ihipStream_tbENKUlT_T0_E_clISt17integral_constantIbLb0EESW_IbLb1EEEEDaSS_ST_EUlSS_E_NS1_11comp_targetILNS1_3genE4ELNS1_11target_archE910ELNS1_3gpuE8ELNS1_3repE0EEENS1_30default_config_static_selectorELNS0_4arch9wavefront6targetE1EEEvT1_ ; -- Begin function _ZN7rocprim17ROCPRIM_400000_NS6detail17trampoline_kernelINS0_14default_configENS1_20scan_config_selectorIfEEZZNS1_9scan_implILNS1_25lookback_scan_determinismE0ELb1ELb1ES3_N6thrust23THRUST_200600_302600_NS6detail15normal_iteratorINS9_10device_ptrIfEEEENS9_16discard_iteratorINS9_11use_defaultEEEfNS9_4plusIvEEfEEDaPvRmT3_T4_T5_mT6_P12ihipStream_tbENKUlT_T0_E_clISt17integral_constantIbLb0EESW_IbLb1EEEEDaSS_ST_EUlSS_E_NS1_11comp_targetILNS1_3genE4ELNS1_11target_archE910ELNS1_3gpuE8ELNS1_3repE0EEENS1_30default_config_static_selectorELNS0_4arch9wavefront6targetE1EEEvT1_
	.globl	_ZN7rocprim17ROCPRIM_400000_NS6detail17trampoline_kernelINS0_14default_configENS1_20scan_config_selectorIfEEZZNS1_9scan_implILNS1_25lookback_scan_determinismE0ELb1ELb1ES3_N6thrust23THRUST_200600_302600_NS6detail15normal_iteratorINS9_10device_ptrIfEEEENS9_16discard_iteratorINS9_11use_defaultEEEfNS9_4plusIvEEfEEDaPvRmT3_T4_T5_mT6_P12ihipStream_tbENKUlT_T0_E_clISt17integral_constantIbLb0EESW_IbLb1EEEEDaSS_ST_EUlSS_E_NS1_11comp_targetILNS1_3genE4ELNS1_11target_archE910ELNS1_3gpuE8ELNS1_3repE0EEENS1_30default_config_static_selectorELNS0_4arch9wavefront6targetE1EEEvT1_
	.p2align	8
	.type	_ZN7rocprim17ROCPRIM_400000_NS6detail17trampoline_kernelINS0_14default_configENS1_20scan_config_selectorIfEEZZNS1_9scan_implILNS1_25lookback_scan_determinismE0ELb1ELb1ES3_N6thrust23THRUST_200600_302600_NS6detail15normal_iteratorINS9_10device_ptrIfEEEENS9_16discard_iteratorINS9_11use_defaultEEEfNS9_4plusIvEEfEEDaPvRmT3_T4_T5_mT6_P12ihipStream_tbENKUlT_T0_E_clISt17integral_constantIbLb0EESW_IbLb1EEEEDaSS_ST_EUlSS_E_NS1_11comp_targetILNS1_3genE4ELNS1_11target_archE910ELNS1_3gpuE8ELNS1_3repE0EEENS1_30default_config_static_selectorELNS0_4arch9wavefront6targetE1EEEvT1_,@function
_ZN7rocprim17ROCPRIM_400000_NS6detail17trampoline_kernelINS0_14default_configENS1_20scan_config_selectorIfEEZZNS1_9scan_implILNS1_25lookback_scan_determinismE0ELb1ELb1ES3_N6thrust23THRUST_200600_302600_NS6detail15normal_iteratorINS9_10device_ptrIfEEEENS9_16discard_iteratorINS9_11use_defaultEEEfNS9_4plusIvEEfEEDaPvRmT3_T4_T5_mT6_P12ihipStream_tbENKUlT_T0_E_clISt17integral_constantIbLb0EESW_IbLb1EEEEDaSS_ST_EUlSS_E_NS1_11comp_targetILNS1_3genE4ELNS1_11target_archE910ELNS1_3gpuE8ELNS1_3repE0EEENS1_30default_config_static_selectorELNS0_4arch9wavefront6targetE1EEEvT1_: ; @_ZN7rocprim17ROCPRIM_400000_NS6detail17trampoline_kernelINS0_14default_configENS1_20scan_config_selectorIfEEZZNS1_9scan_implILNS1_25lookback_scan_determinismE0ELb1ELb1ES3_N6thrust23THRUST_200600_302600_NS6detail15normal_iteratorINS9_10device_ptrIfEEEENS9_16discard_iteratorINS9_11use_defaultEEEfNS9_4plusIvEEfEEDaPvRmT3_T4_T5_mT6_P12ihipStream_tbENKUlT_T0_E_clISt17integral_constantIbLb0EESW_IbLb1EEEEDaSS_ST_EUlSS_E_NS1_11comp_targetILNS1_3genE4ELNS1_11target_archE910ELNS1_3gpuE8ELNS1_3repE0EEENS1_30default_config_static_selectorELNS0_4arch9wavefront6targetE1EEEvT1_
; %bb.0:
	s_load_dwordx2 s[6:7], s[4:5], 0x20
	s_load_dword s30, s[4:5], 0x28
	s_load_dwordx2 s[14:15], s[4:5], 0x30
	v_cmp_ne_u32_e64 s[2:3], 0, v0
	v_cmp_eq_u32_e64 s[0:1], 0, v0
	s_and_saveexec_b64 s[8:9], s[0:1]
	s_cbranch_execz .LBB5134_4
; %bb.1:
	s_mov_b64 s[12:13], exec
	v_mbcnt_lo_u32_b32 v1, s12, 0
	v_mbcnt_hi_u32_b32 v1, s13, v1
	v_cmp_eq_u32_e32 vcc, 0, v1
                                        ; implicit-def: $vgpr2
	s_and_saveexec_b64 s[10:11], vcc
	s_cbranch_execz .LBB5134_3
; %bb.2:
	s_load_dwordx2 s[16:17], s[4:5], 0x60
	s_bcnt1_i32_b64 s12, s[12:13]
	v_mov_b32_e32 v2, 0
	v_mov_b32_e32 v3, s12
	s_waitcnt lgkmcnt(0)
	global_atomic_add v2, v2, v3, s[16:17] glc
.LBB5134_3:
	s_or_b64 exec, exec, s[10:11]
	s_waitcnt vmcnt(0)
	v_readfirstlane_b32 s10, v2
	v_add_u32_e32 v1, s10, v1
	v_mov_b32_e32 v2, 0
	ds_write_b32 v2, v1
.LBB5134_4:
	s_or_b64 exec, exec, s[8:9]
	v_mov_b32_e32 v3, 0
	s_load_dwordx4 s[8:11], s[4:5], 0x0
	s_load_dword s12, s[4:5], 0x38
	s_load_dwordx8 s[16:23], s[4:5], 0x40
	s_waitcnt lgkmcnt(0)
	s_barrier
	ds_read_b32 v1, v3
	s_lshl_b64 s[4:5], s[10:11], 2
	s_add_u32 s31, s8, s4
	s_movk_i32 s4, 0x700
	s_addc_u32 s33, s9, s5
	s_waitcnt lgkmcnt(0)
	v_mul_lo_u32 v2, v1, s4
	s_add_i32 s4, s12, -1
	s_mul_i32 s5, s4, 0x700
	s_sub_u32 s28, s6, s5
	v_readfirstlane_b32 s34, v1
	s_subb_u32 s29, s7, 0
	v_lshlrev_b64 v[2:3], 2, v[2:3]
	s_cmp_lg_u32 s34, s4
	v_mov_b32_e32 v1, s33
	v_add_co_u32_e32 v18, vcc, s31, v2
	s_cselect_b64 s[24:25], -1, 0
	v_addc_co_u32_e32 v19, vcc, v1, v3, vcc
	s_mov_b64 s[4:5], -1
	s_and_b64 vcc, exec, s[24:25]
	v_lshlrev_b32_e32 v20, 2, v0
	s_barrier
	s_cbranch_vccz .LBB5134_6
; %bb.5:
	v_add_co_u32_e32 v2, vcc, v18, v20
	v_addc_co_u32_e32 v3, vcc, 0, v19, vcc
	flat_load_dword v1, v[2:3]
	flat_load_dword v4, v[2:3] offset:512
	flat_load_dword v5, v[2:3] offset:1024
	;; [unrolled: 1-line block ×7, first 2 shown]
	v_add_co_u32_e32 v2, vcc, 0x1000, v2
	v_addc_co_u32_e32 v3, vcc, 0, v3, vcc
	flat_load_dword v11, v[2:3]
	flat_load_dword v12, v[2:3] offset:512
	flat_load_dword v13, v[2:3] offset:1024
	;; [unrolled: 1-line block ×5, first 2 shown]
	s_mov_b64 s[4:5], 0
	s_waitcnt vmcnt(0) lgkmcnt(0)
	ds_write2st64_b32 v20, v1, v4 offset1:2
	ds_write2st64_b32 v20, v5, v6 offset0:4 offset1:6
	ds_write2st64_b32 v20, v7, v8 offset0:8 offset1:10
	;; [unrolled: 1-line block ×6, first 2 shown]
	s_waitcnt lgkmcnt(0)
	s_barrier
.LBB5134_6:
	s_andn2_b64 vcc, exec, s[4:5]
	s_cbranch_vccnz .LBB5134_36
; %bb.7:
	flat_load_dword v1, v[18:19]
	v_cmp_gt_u32_e32 vcc, s28, v0
	s_waitcnt vmcnt(0) lgkmcnt(0)
	v_mov_b32_e32 v2, v1
	v_mov_b32_e32 v3, v1
	v_mov_b32_e32 v4, v1
	v_mov_b32_e32 v5, v1
	v_mov_b32_e32 v6, v1
	v_mov_b32_e32 v7, v1
	v_mov_b32_e32 v8, v1
	v_mov_b32_e32 v9, v1
	v_mov_b32_e32 v10, v1
	v_mov_b32_e32 v11, v1
	v_mov_b32_e32 v12, v1
	v_mov_b32_e32 v13, v1
	v_pk_mov_b32 v[16:17], v[14:15], v[14:15] op_sel:[0,1]
	v_pk_mov_b32 v[14:15], v[12:13], v[12:13] op_sel:[0,1]
	;; [unrolled: 1-line block ×8, first 2 shown]
	s_and_saveexec_b64 s[4:5], vcc
	s_cbranch_execz .LBB5134_9
; %bb.8:
	v_add_co_u32_e32 v2, vcc, v18, v20
	v_addc_co_u32_e32 v3, vcc, 0, v19, vcc
	flat_load_dword v21, v[2:3]
	v_mov_b32_e32 v2, v1
	v_mov_b32_e32 v3, v1
	;; [unrolled: 1-line block ×12, first 2 shown]
	v_pk_mov_b32 v[16:17], v[14:15], v[14:15] op_sel:[0,1]
	v_pk_mov_b32 v[14:15], v[12:13], v[12:13] op_sel:[0,1]
	;; [unrolled: 1-line block ×8, first 2 shown]
	s_waitcnt vmcnt(0) lgkmcnt(0)
	v_mov_b32_e32 v1, v21
.LBB5134_9:
	s_or_b64 exec, exec, s[4:5]
	v_or_b32_e32 v2, 0x80, v0
	v_cmp_gt_u32_e32 vcc, s28, v2
	s_and_saveexec_b64 s[4:5], vcc
	s_cbranch_execz .LBB5134_11
; %bb.10:
	v_add_co_u32_e32 v2, vcc, v18, v20
	v_addc_co_u32_e32 v3, vcc, 0, v19, vcc
	flat_load_dword v3, v[2:3] offset:512
.LBB5134_11:
	s_or_b64 exec, exec, s[4:5]
	v_or_b32_e32 v2, 0x100, v0
	v_cmp_gt_u32_e32 vcc, s28, v2
	s_and_saveexec_b64 s[4:5], vcc
	s_cbranch_execz .LBB5134_13
; %bb.12:
	v_add_co_u32_e32 v16, vcc, v18, v20
	v_addc_co_u32_e32 v17, vcc, 0, v19, vcc
	flat_load_dword v4, v[16:17] offset:1024
.LBB5134_13:
	s_or_b64 exec, exec, s[4:5]
	v_or_b32_e32 v2, 0x180, v0
	v_cmp_gt_u32_e32 vcc, s28, v2
	s_and_saveexec_b64 s[4:5], vcc
	s_cbranch_execz .LBB5134_15
; %bb.14:
	v_add_co_u32_e32 v16, vcc, v18, v20
	v_addc_co_u32_e32 v17, vcc, 0, v19, vcc
	flat_load_dword v5, v[16:17] offset:1536
.LBB5134_15:
	s_or_b64 exec, exec, s[4:5]
	v_or_b32_e32 v2, 0x200, v0
	v_cmp_gt_u32_e32 vcc, s28, v2
	s_and_saveexec_b64 s[4:5], vcc
	s_cbranch_execz .LBB5134_17
; %bb.16:
	v_add_co_u32_e32 v16, vcc, v18, v20
	v_addc_co_u32_e32 v17, vcc, 0, v19, vcc
	flat_load_dword v6, v[16:17] offset:2048
.LBB5134_17:
	s_or_b64 exec, exec, s[4:5]
	v_or_b32_e32 v2, 0x280, v0
	v_cmp_gt_u32_e32 vcc, s28, v2
	s_and_saveexec_b64 s[4:5], vcc
	s_cbranch_execz .LBB5134_19
; %bb.18:
	v_add_co_u32_e32 v16, vcc, v18, v20
	v_addc_co_u32_e32 v17, vcc, 0, v19, vcc
	flat_load_dword v7, v[16:17] offset:2560
.LBB5134_19:
	s_or_b64 exec, exec, s[4:5]
	v_or_b32_e32 v2, 0x300, v0
	v_cmp_gt_u32_e32 vcc, s28, v2
	s_and_saveexec_b64 s[4:5], vcc
	s_cbranch_execz .LBB5134_21
; %bb.20:
	v_add_co_u32_e32 v16, vcc, v18, v20
	v_addc_co_u32_e32 v17, vcc, 0, v19, vcc
	flat_load_dword v8, v[16:17] offset:3072
.LBB5134_21:
	s_or_b64 exec, exec, s[4:5]
	v_or_b32_e32 v2, 0x380, v0
	v_cmp_gt_u32_e32 vcc, s28, v2
	s_and_saveexec_b64 s[4:5], vcc
	s_cbranch_execz .LBB5134_23
; %bb.22:
	v_add_co_u32_e32 v16, vcc, v18, v20
	v_addc_co_u32_e32 v17, vcc, 0, v19, vcc
	flat_load_dword v9, v[16:17] offset:3584
.LBB5134_23:
	s_or_b64 exec, exec, s[4:5]
	v_or_b32_e32 v2, 0x400, v0
	v_cmp_gt_u32_e32 vcc, s28, v2
	s_and_saveexec_b64 s[4:5], vcc
	s_cbranch_execz .LBB5134_25
; %bb.24:
	v_lshlrev_b32_e32 v2, 2, v2
	v_add_co_u32_e32 v16, vcc, v18, v2
	v_addc_co_u32_e32 v17, vcc, 0, v19, vcc
	flat_load_dword v10, v[16:17]
.LBB5134_25:
	s_or_b64 exec, exec, s[4:5]
	v_or_b32_e32 v2, 0x480, v0
	v_cmp_gt_u32_e32 vcc, s28, v2
	s_and_saveexec_b64 s[4:5], vcc
	s_cbranch_execz .LBB5134_27
; %bb.26:
	v_lshlrev_b32_e32 v2, 2, v2
	v_add_co_u32_e32 v16, vcc, v18, v2
	v_addc_co_u32_e32 v17, vcc, 0, v19, vcc
	flat_load_dword v11, v[16:17]
.LBB5134_27:
	;; [unrolled: 11-line block ×6, first 2 shown]
	s_or_b64 exec, exec, s[4:5]
	s_waitcnt vmcnt(0) lgkmcnt(0)
	ds_write2st64_b32 v20, v1, v3 offset1:2
	ds_write2st64_b32 v20, v4, v5 offset0:4 offset1:6
	ds_write2st64_b32 v20, v6, v7 offset0:8 offset1:10
	;; [unrolled: 1-line block ×6, first 2 shown]
	s_waitcnt lgkmcnt(0)
	s_barrier
.LBB5134_36:
	v_mul_u32_u24_e32 v32, 14, v0
	v_lshlrev_b32_e32 v33, 2, v32
	ds_read2_b64 v[26:29], v33 offset1:1
	ds_read2_b64 v[22:25], v33 offset0:2 offset1:3
	ds_read2_b64 v[18:21], v33 offset0:4 offset1:5
	ds_read_b64 v[30:31], v33 offset:48
	s_cmp_lg_u32 s34, 0
	s_waitcnt lgkmcnt(3)
	v_add_f32_e32 v34, v26, v27
	v_lshrrev_b32_e32 v1, 5, v0
	v_cmp_gt_u32_e32 vcc, 64, v0
	s_waitcnt lgkmcnt(0)
	s_barrier
	s_cbranch_scc0 .LBB5134_61
; %bb.37:
	v_add_f32_e32 v2, v28, v34
	v_add_f32_e32 v2, v29, v2
	;; [unrolled: 1-line block ×12, first 2 shown]
	v_add_lshl_u32 v2, v1, v0, 2
	ds_write_b32 v2, v12
	s_waitcnt lgkmcnt(0)
	s_barrier
	s_and_saveexec_b64 s[10:11], vcc
	s_cbranch_execz .LBB5134_39
; %bb.38:
	v_lshlrev_b32_e32 v2, 1, v0
	v_lshrrev_b32_e32 v3, 4, v0
	v_add_lshl_u32 v4, v3, v2, 2
	ds_read2_b32 v[2:3], v4 offset1:1
	v_mbcnt_lo_u32_b32 v5, -1, 0
	v_mbcnt_hi_u32_b32 v5, -1, v5
	v_and_b32_e32 v6, 15, v5
	v_cmp_eq_u32_e64 s[4:5], 0, v6
	s_waitcnt lgkmcnt(0)
	v_add_f32_e32 v3, v2, v3
	v_cmp_lt_u32_e64 s[6:7], 3, v6
	v_cmp_lt_u32_e64 s[8:9], 31, v5
	v_mov_b32_dpp v7, v3 row_shr:1 row_mask:0xf bank_mask:0xf
	v_add_f32_e32 v7, v3, v7
	v_cndmask_b32_e64 v3, v7, v3, s[4:5]
	v_cmp_lt_u32_e64 s[4:5], 1, v6
	s_nop 0
	v_mov_b32_dpp v7, v3 row_shr:2 row_mask:0xf bank_mask:0xf
	v_add_f32_e32 v7, v3, v7
	v_cndmask_b32_e64 v7, v3, v7, s[4:5]
	; wave barrier
	s_nop 1
	v_mov_b32_dpp v8, v7 row_shr:4 row_mask:0xf bank_mask:0xf
	v_add_f32_e32 v8, v7, v8
	v_cndmask_b32_e64 v7, v7, v8, s[6:7]
	v_cmp_lt_u32_e64 s[6:7], 7, v6
	s_nop 0
	v_mov_b32_dpp v8, v7 row_shr:8 row_mask:0xf bank_mask:0xf
	v_add_f32_e32 v8, v7, v8
	v_cndmask_b32_e64 v6, v7, v8, s[6:7]
	v_and_b32_e32 v8, 16, v5
	v_cmp_eq_u32_e64 s[6:7], 0, v8
	v_mov_b32_dpp v7, v6 row_bcast:15 row_mask:0xf bank_mask:0xf
	v_add_f32_e32 v7, v6, v7
	v_cndmask_b32_e64 v6, v7, v6, s[6:7]
	v_cmp_lt_u32_e64 s[6:7], 15, v5
	s_or_b64 s[4:5], s[6:7], s[4:5]
	v_mov_b32_dpp v7, v6 row_bcast:31 row_mask:0xf bank_mask:0xf
	v_add_f32_e32 v7, v6, v7
	v_cndmask_b32_e64 v6, v6, v7, s[8:9]
	v_cndmask_b32_e64 v3, v3, v6, s[4:5]
	v_add_u32_e32 v6, -1, v5
	v_and_b32_e32 v7, 64, v5
	v_cmp_lt_i32_e64 s[4:5], v6, v7
	v_cndmask_b32_e64 v5, v6, v5, s[4:5]
	v_lshlrev_b32_e32 v5, 2, v5
	ds_bpermute_b32 v3, v5, v3
	s_waitcnt lgkmcnt(0)
	v_add_f32_e32 v2, v2, v3
	v_cndmask_b32_e64 v2, v2, v12, s[0:1]
	ds_write_b32 v4, v2
	; wave barrier
	ds_read_b32 v3, v4 offset:4
	s_waitcnt lgkmcnt(0)
	v_add_f32_e32 v2, v2, v3
	ds_write_b32 v4, v2 offset:4
.LBB5134_39:
	s_or_b64 exec, exec, s[10:11]
	s_waitcnt lgkmcnt(0)
	s_barrier
	s_and_saveexec_b64 s[4:5], s[2:3]
	s_cbranch_execz .LBB5134_41
; %bb.40:
	v_add_u32_e32 v2, -1, v0
	v_lshrrev_b32_e32 v3, 5, v2
	v_add_lshl_u32 v2, v3, v2, 2
	ds_read_b32 v12, v2
.LBB5134_41:
	s_or_b64 exec, exec, s[4:5]
	s_and_saveexec_b64 s[26:27], vcc
	s_cbranch_execz .LBB5134_60
; %bb.42:
	v_mov_b32_e32 v9, 0
	ds_read_b32 v2, v9 offset:520
	v_mbcnt_lo_u32_b32 v3, -1, 0
	v_mbcnt_hi_u32_b32 v5, -1, v3
	s_mov_b32 s9, 0
	v_cmp_eq_u32_e64 s[4:5], 0, v5
	s_and_saveexec_b64 s[6:7], s[4:5]
	s_cbranch_execz .LBB5134_44
; %bb.43:
	s_add_i32 s8, s34, 64
	s_lshl_b64 s[8:9], s[8:9], 3
	s_add_u32 s8, s14, s8
	v_mov_b32_e32 v3, 1
	s_addc_u32 s9, s15, s9
	s_waitcnt lgkmcnt(0)
	global_store_dwordx2 v9, v[2:3], s[8:9]
.LBB5134_44:
	s_or_b64 exec, exec, s[6:7]
	v_xad_u32 v4, v5, -1, s34
	v_add_u32_e32 v8, 64, v4
	v_lshlrev_b64 v[6:7], 3, v[8:9]
	v_mov_b32_e32 v3, s15
	v_add_co_u32_e32 v10, vcc, s14, v6
	v_addc_co_u32_e32 v11, vcc, v3, v7, vcc
	global_load_dwordx2 v[6:7], v[10:11], off glc
	s_waitcnt vmcnt(0)
	v_cmp_eq_u16_sdwa s[8:9], v7, v9 src0_sel:BYTE_0 src1_sel:DWORD
	s_and_saveexec_b64 s[6:7], s[8:9]
	s_cbranch_execz .LBB5134_48
; %bb.45:
	s_mov_b64 s[8:9], 0
	v_mov_b32_e32 v3, 0
.LBB5134_46:                            ; =>This Inner Loop Header: Depth=1
	global_load_dwordx2 v[6:7], v[10:11], off glc
	s_waitcnt vmcnt(0)
	v_cmp_ne_u16_sdwa s[10:11], v7, v3 src0_sel:BYTE_0 src1_sel:DWORD
	s_or_b64 s[8:9], s[10:11], s[8:9]
	s_andn2_b64 exec, exec, s[8:9]
	s_cbranch_execnz .LBB5134_46
; %bb.47:
	s_or_b64 exec, exec, s[8:9]
.LBB5134_48:
	s_or_b64 exec, exec, s[6:7]
	v_and_b32_e32 v13, 63, v5
	v_cmp_ne_u32_e32 vcc, 63, v13
	v_addc_co_u32_e32 v14, vcc, 0, v5, vcc
	v_mov_b32_e32 v3, 2
	v_lshlrev_b32_e32 v14, 2, v14
	v_cmp_eq_u16_sdwa s[6:7], v7, v3 src0_sel:BYTE_0 src1_sel:DWORD
	v_lshlrev_b64 v[8:9], v5, -1
	ds_bpermute_b32 v15, v14, v6
	v_and_b32_e32 v10, s7, v9
	v_or_b32_e32 v10, 0x80000000, v10
	v_and_b32_e32 v11, s6, v8
	v_ffbl_b32_e32 v10, v10
	v_add_u32_e32 v10, 32, v10
	v_ffbl_b32_e32 v11, v11
	v_cmp_gt_u32_e64 s[6:7], 62, v13
	v_min_u32_e32 v10, v11, v10
	s_waitcnt lgkmcnt(0)
	v_add_f32_e32 v11, v6, v15
	v_cndmask_b32_e64 v15, 0, 1, s[6:7]
	v_cmp_lt_u32_e32 vcc, v13, v10
	v_lshlrev_b32_e32 v15, 1, v15
	v_cndmask_b32_e32 v11, v6, v11, vcc
	v_add_lshl_u32 v15, v15, v5, 2
	ds_bpermute_b32 v17, v15, v11
	v_add_u32_e32 v16, 2, v13
	v_cmp_gt_u32_e64 s[6:7], v16, v10
	v_cmp_gt_u32_e64 s[8:9], 56, v13
	v_add_u32_e32 v35, 4, v13
	s_waitcnt lgkmcnt(0)
	v_add_f32_e32 v17, v11, v17
	v_cndmask_b32_e64 v11, v17, v11, s[6:7]
	v_cmp_gt_u32_e64 s[6:7], 60, v13
	v_cndmask_b32_e64 v17, 0, 1, s[6:7]
	v_lshlrev_b32_e32 v17, 2, v17
	v_add_lshl_u32 v17, v17, v5, 2
	ds_bpermute_b32 v36, v17, v11
	v_cmp_gt_u32_e64 s[6:7], v35, v10
	v_add_u32_e32 v37, 8, v13
	v_cmp_gt_u32_e64 s[10:11], 48, v13
	v_cmp_gt_u32_e64 s[12:13], 32, v13
	s_waitcnt lgkmcnt(0)
	v_add_f32_e32 v40, v11, v36
	v_cndmask_b32_e64 v36, 0, 1, s[8:9]
	v_lshlrev_b32_e32 v36, 3, v36
	v_cndmask_b32_e64 v38, v40, v11, s[6:7]
	v_add_lshl_u32 v36, v36, v5, 2
	ds_bpermute_b32 v39, v36, v38
	v_cmp_gt_u32_e64 s[8:9], v37, v10
	v_cndmask_b32_e32 v6, v6, v11, vcc
	v_cndmask_b32_e64 v6, v40, v6, s[6:7]
	s_waitcnt lgkmcnt(0)
	v_add_f32_e32 v43, v38, v39
	v_cndmask_b32_e64 v41, v43, v38, s[8:9]
	v_cndmask_b32_e64 v38, 0, 1, s[10:11]
	v_lshlrev_b32_e32 v38, 4, v38
	v_add_lshl_u32 v38, v38, v5, 2
	ds_bpermute_b32 v42, v38, v41
	v_add_u32_e32 v39, 16, v13
	v_cmp_gt_u32_e64 s[10:11], v39, v10
	v_cndmask_b32_e64 v6, v43, v6, s[8:9]
	s_waitcnt lgkmcnt(0)
	v_add_f32_e32 v44, v41, v42
	v_cndmask_b32_e64 v45, v44, v41, s[10:11]
	v_cndmask_b32_e64 v41, 0, 1, s[12:13]
	v_lshlrev_b32_e32 v41, 5, v41
	v_add_lshl_u32 v41, v41, v5, 2
	ds_bpermute_b32 v5, v41, v45
	v_add_u32_e32 v42, 32, v13
	v_cndmask_b32_e64 v6, v44, v6, s[10:11]
	v_cmp_gt_u32_e32 vcc, v42, v10
	s_waitcnt lgkmcnt(0)
	v_add_f32_e32 v5, v45, v5
	v_cndmask_b32_e32 v6, v5, v6, vcc
	v_mov_b32_e32 v5, 0
	s_branch .LBB5134_50
.LBB5134_49:                            ;   in Loop: Header=BB5134_50 Depth=1
	s_or_b64 exec, exec, s[6:7]
	v_cmp_eq_u16_sdwa s[6:7], v7, v3 src0_sel:BYTE_0 src1_sel:DWORD
	v_and_b32_e32 v10, s7, v9
	ds_bpermute_b32 v43, v14, v6
	v_or_b32_e32 v10, 0x80000000, v10
	v_and_b32_e32 v11, s6, v8
	v_ffbl_b32_e32 v10, v10
	v_add_u32_e32 v10, 32, v10
	v_ffbl_b32_e32 v11, v11
	v_min_u32_e32 v10, v11, v10
	s_waitcnt lgkmcnt(0)
	v_add_f32_e32 v11, v6, v43
	v_cmp_lt_u32_e32 vcc, v13, v10
	v_cndmask_b32_e32 v11, v6, v11, vcc
	ds_bpermute_b32 v43, v15, v11
	v_cmp_gt_u32_e64 s[6:7], v16, v10
	v_cmp_gt_u32_e64 s[8:9], v37, v10
	;; [unrolled: 1-line block ×3, first 2 shown]
	v_subrev_u32_e32 v4, 64, v4
	s_waitcnt lgkmcnt(0)
	v_add_f32_e32 v43, v11, v43
	v_cndmask_b32_e64 v11, v43, v11, s[6:7]
	ds_bpermute_b32 v43, v17, v11
	v_cmp_gt_u32_e64 s[6:7], v35, v10
	v_cndmask_b32_e32 v6, v6, v11, vcc
	v_cmp_gt_u32_e32 vcc, v42, v10
	s_waitcnt lgkmcnt(0)
	v_add_f32_e32 v43, v11, v43
	v_cndmask_b32_e64 v44, v43, v11, s[6:7]
	ds_bpermute_b32 v45, v36, v44
	v_cndmask_b32_e64 v6, v43, v6, s[6:7]
	s_waitcnt lgkmcnt(0)
	v_add_f32_e32 v45, v44, v45
	v_cndmask_b32_e64 v44, v45, v44, s[8:9]
	ds_bpermute_b32 v46, v38, v44
	v_cndmask_b32_e64 v6, v45, v6, s[8:9]
	;; [unrolled: 5-line block ×3, first 2 shown]
	s_waitcnt lgkmcnt(0)
	v_add_f32_e32 v11, v44, v47
	v_cndmask_b32_e32 v6, v11, v6, vcc
	v_add_f32_e32 v6, v40, v6
.LBB5134_50:                            ; =>This Loop Header: Depth=1
                                        ;     Child Loop BB5134_53 Depth 2
	v_cmp_ne_u16_sdwa s[6:7], v7, v3 src0_sel:BYTE_0 src1_sel:DWORD
	v_cndmask_b32_e64 v7, 0, 1, s[6:7]
	;;#ASMSTART
	;;#ASMEND
	v_cmp_ne_u32_e32 vcc, 0, v7
	s_cmp_lg_u64 vcc, exec
	v_mov_b32_e32 v40, v6
	s_cbranch_scc1 .LBB5134_55
; %bb.51:                               ;   in Loop: Header=BB5134_50 Depth=1
	v_lshlrev_b64 v[6:7], 3, v[4:5]
	v_mov_b32_e32 v11, s15
	v_add_co_u32_e32 v10, vcc, s14, v6
	v_addc_co_u32_e32 v11, vcc, v11, v7, vcc
	global_load_dwordx2 v[6:7], v[10:11], off glc
	s_waitcnt vmcnt(0)
	v_cmp_eq_u16_sdwa s[8:9], v7, v5 src0_sel:BYTE_0 src1_sel:DWORD
	s_and_saveexec_b64 s[6:7], s[8:9]
	s_cbranch_execz .LBB5134_49
; %bb.52:                               ;   in Loop: Header=BB5134_50 Depth=1
	s_mov_b64 s[8:9], 0
.LBB5134_53:                            ;   Parent Loop BB5134_50 Depth=1
                                        ; =>  This Inner Loop Header: Depth=2
	global_load_dwordx2 v[6:7], v[10:11], off glc
	s_waitcnt vmcnt(0)
	v_cmp_ne_u16_sdwa s[10:11], v7, v5 src0_sel:BYTE_0 src1_sel:DWORD
	s_or_b64 s[8:9], s[10:11], s[8:9]
	s_andn2_b64 exec, exec, s[8:9]
	s_cbranch_execnz .LBB5134_53
; %bb.54:                               ;   in Loop: Header=BB5134_50 Depth=1
	s_or_b64 exec, exec, s[8:9]
	s_branch .LBB5134_49
.LBB5134_55:                            ;   in Loop: Header=BB5134_50 Depth=1
                                        ; implicit-def: $vgpr6
                                        ; implicit-def: $vgpr7
	s_cbranch_execz .LBB5134_50
; %bb.56:
	s_and_saveexec_b64 s[6:7], s[4:5]
	s_cbranch_execz .LBB5134_58
; %bb.57:
	s_add_i32 s4, s34, 64
	s_mov_b32 s5, 0
	s_lshl_b64 s[4:5], s[4:5], 3
	s_add_u32 s4, s14, s4
	v_add_f32_e32 v2, v2, v40
	v_mov_b32_e32 v3, 2
	s_addc_u32 s5, s15, s5
	v_mov_b32_e32 v4, 0
	global_store_dwordx2 v4, v[2:3], s[4:5]
.LBB5134_58:
	s_or_b64 exec, exec, s[6:7]
	s_and_b64 exec, exec, s[0:1]
	s_cbranch_execz .LBB5134_60
; %bb.59:
	v_mov_b32_e32 v2, 0
	ds_write_b32 v2, v40
.LBB5134_60:
	s_or_b64 exec, exec, s[26:27]
	v_mov_b32_e32 v2, 0
	s_waitcnt lgkmcnt(0)
	s_barrier
	ds_read_b32 v2, v2
	s_waitcnt lgkmcnt(0)
	v_add_f32_e32 v3, v12, v2
	v_cndmask_b32_e64 v2, v3, v2, s[0:1]
	v_add_f32_e32 v3, v26, v2
	v_add_f32_e32 v4, v27, v3
	;; [unrolled: 1-line block ×13, first 2 shown]
	s_branch .LBB5134_71
.LBB5134_61:
                                        ; implicit-def: $vgpr2_vgpr3_vgpr4_vgpr5_vgpr6_vgpr7_vgpr8_vgpr9_vgpr10_vgpr11_vgpr12_vgpr13_vgpr14_vgpr15_vgpr16_vgpr17
	s_cbranch_execz .LBB5134_71
; %bb.62:
	s_cmp_eq_u64 s[20:21], 0
	v_mov_b32_e32 v16, s30
	s_cbranch_scc1 .LBB5134_64
; %bb.63:
	v_mov_b32_e32 v3, s33
	v_add_co_u32_e64 v2, vcc, -4, s31
	v_addc_co_u32_e32 v3, vcc, -1, v3, vcc
	v_mov_b32_e32 v4, 0
	flat_load_dword v5, v[2:3]
	global_load_dword v6, v4, s[16:17]
	s_waitcnt vmcnt(0) lgkmcnt(0)
	v_add_f32_e32 v16, v5, v6
.LBB5134_64:
	v_add_f32_e32 v2, v28, v34
	v_add_f32_e32 v2, v29, v2
	;; [unrolled: 1-line block ×12, first 2 shown]
	v_add_lshl_u32 v1, v1, v0, 2
	v_cmp_gt_u32_e32 vcc, 64, v0
	ds_write_b32 v1, v2
	s_waitcnt lgkmcnt(0)
	s_barrier
	s_and_saveexec_b64 s[8:9], vcc
	s_cbranch_execz .LBB5134_66
; %bb.65:
	v_lshlrev_b32_e32 v1, 1, v0
	v_lshrrev_b32_e32 v3, 4, v0
	v_add_lshl_u32 v1, v3, v1, 2
	ds_read2_b32 v[4:5], v1 offset1:1
	v_mbcnt_lo_u32_b32 v3, -1, 0
	v_mbcnt_hi_u32_b32 v3, -1, v3
	v_and_b32_e32 v6, 15, v3
	v_cmp_eq_u32_e32 vcc, 0, v6
	s_waitcnt lgkmcnt(0)
	v_add_f32_e32 v5, v4, v5
	v_cmp_lt_u32_e64 s[4:5], 3, v6
	v_cmp_lt_u32_e64 s[6:7], 31, v3
	v_mov_b32_dpp v7, v5 row_shr:1 row_mask:0xf bank_mask:0xf
	v_add_f32_e32 v7, v5, v7
	v_cndmask_b32_e32 v5, v7, v5, vcc
	v_cmp_lt_u32_e32 vcc, 1, v6
	s_nop 0
	v_mov_b32_dpp v7, v5 row_shr:2 row_mask:0xf bank_mask:0xf
	v_add_f32_e32 v7, v5, v7
	v_cndmask_b32_e32 v7, v5, v7, vcc
	; wave barrier
	s_nop 1
	v_mov_b32_dpp v8, v7 row_shr:4 row_mask:0xf bank_mask:0xf
	v_add_f32_e32 v8, v7, v8
	v_cndmask_b32_e64 v7, v7, v8, s[4:5]
	v_cmp_lt_u32_e64 s[4:5], 7, v6
	s_nop 0
	v_mov_b32_dpp v8, v7 row_shr:8 row_mask:0xf bank_mask:0xf
	v_add_f32_e32 v8, v7, v8
	v_cndmask_b32_e64 v6, v7, v8, s[4:5]
	v_and_b32_e32 v8, 16, v3
	v_cmp_eq_u32_e64 s[4:5], 0, v8
	v_mov_b32_dpp v7, v6 row_bcast:15 row_mask:0xf bank_mask:0xf
	v_add_f32_e32 v7, v6, v7
	v_cndmask_b32_e64 v6, v7, v6, s[4:5]
	v_cmp_lt_u32_e64 s[4:5], 15, v3
	s_or_b64 vcc, s[4:5], vcc
	v_mov_b32_dpp v7, v6 row_bcast:31 row_mask:0xf bank_mask:0xf
	v_add_f32_e32 v7, v6, v7
	v_cndmask_b32_e64 v6, v6, v7, s[6:7]
	v_cndmask_b32_e32 v5, v5, v6, vcc
	v_add_u32_e32 v6, -1, v3
	v_and_b32_e32 v7, 64, v3
	v_cmp_lt_i32_e32 vcc, v6, v7
	v_cndmask_b32_e32 v3, v6, v3, vcc
	v_lshlrev_b32_e32 v3, 2, v3
	ds_bpermute_b32 v3, v3, v5
	s_waitcnt lgkmcnt(0)
	v_add_f32_e32 v3, v4, v3
	v_cndmask_b32_e64 v2, v3, v2, s[0:1]
	ds_write_b32 v1, v2
	; wave barrier
	ds_read_b32 v3, v1 offset:4
	s_waitcnt lgkmcnt(0)
	v_add_f32_e32 v2, v2, v3
	ds_write_b32 v1, v2 offset:4
.LBB5134_66:
	s_or_b64 exec, exec, s[8:9]
	v_mov_b32_e32 v2, v16
	s_waitcnt lgkmcnt(0)
	s_barrier
	s_and_saveexec_b64 s[4:5], s[2:3]
	s_cbranch_execz .LBB5134_68
; %bb.67:
	v_add_u32_e32 v1, -1, v0
	v_lshrrev_b32_e32 v2, 5, v1
	v_add_lshl_u32 v1, v2, v1, 2
	ds_read_b32 v1, v1
	s_waitcnt lgkmcnt(0)
	v_add_f32_e32 v2, v16, v1
.LBB5134_68:
	s_or_b64 exec, exec, s[4:5]
	v_add_f32_e32 v3, v26, v2
	v_add_f32_e32 v4, v27, v3
	;; [unrolled: 1-line block ×13, first 2 shown]
	s_and_saveexec_b64 s[2:3], s[0:1]
	s_cbranch_execz .LBB5134_70
; %bb.69:
	v_mov_b32_e32 v1, 0
	ds_read_b32 v17, v1 offset:520
	s_waitcnt lgkmcnt(0)
	v_add_f32_e32 v16, v16, v17
	v_mov_b32_e32 v17, 2
	global_store_dwordx2 v1, v[16:17], s[14:15] offset:512
.LBB5134_70:
	s_or_b64 exec, exec, s[2:3]
.LBB5134_71:
	s_mov_b64 s[0:1], -1
	s_and_b64 vcc, exec, s[24:25]
	s_barrier
	ds_write2_b64 v33, v[2:3], v[4:5] offset1:1
	ds_write2_b64 v33, v[6:7], v[8:9] offset0:2 offset1:3
	ds_write2_b64 v33, v[10:11], v[12:13] offset0:4 offset1:5
	ds_write_b64 v33, v[14:15] offset:48
	s_waitcnt lgkmcnt(0)
	s_cbranch_vccz .LBB5134_73
; %bb.72:
	s_barrier
	s_mov_b64 s[0:1], 0
.LBB5134_73:
	s_andn2_b64 vcc, exec, s[0:1]
	s_cbranch_vccnz .LBB5134_125
; %bb.74:
	v_cmp_lt_u64_e64 s[0:1], s[22:23], 2
	s_and_b64 vcc, exec, s[0:1]
	s_barrier
	s_cbranch_vccnz .LBB5134_125
; %bb.75:
	s_add_u32 s0, s28, -1
	s_addc_u32 s1, s29, -1
	s_add_u32 s2, 0, 0x49240800
	s_addc_u32 s3, 0, 50
	s_add_i32 s3, s3, 0x12492460
	s_mul_hi_u32 s7, s2, -14
	s_sub_i32 s7, s7, s2
	s_mul_i32 s8, s3, -14
	s_mul_i32 s4, s2, -14
	s_add_i32 s7, s7, s8
	s_mul_hi_u32 s5, s3, s4
	s_mul_i32 s6, s3, s4
	s_mul_i32 s9, s2, s7
	s_mul_hi_u32 s4, s2, s4
	s_mul_hi_u32 s8, s2, s7
	s_add_u32 s4, s4, s9
	s_addc_u32 s8, 0, s8
	s_add_u32 s4, s4, s6
	s_mul_hi_u32 s9, s3, s7
	s_addc_u32 s4, s8, s5
	s_addc_u32 s5, s9, 0
	s_mul_i32 s6, s3, s7
	s_add_u32 s4, s4, s6
	v_mov_b32_e32 v2, s4
	s_addc_u32 s5, 0, s5
	v_add_co_u32_e32 v2, vcc, s2, v2
	s_cmp_lg_u64 vcc, 0
	s_addc_u32 s2, s3, s5
	v_readfirstlane_b32 s5, v2
	s_mul_i32 s4, s0, s2
	s_mul_hi_u32 s6, s0, s5
	s_mul_hi_u32 s3, s0, s2
	s_add_u32 s4, s6, s4
	s_addc_u32 s3, 0, s3
	s_mul_hi_u32 s7, s1, s5
	s_mul_i32 s5, s1, s5
	s_add_u32 s4, s4, s5
	s_mul_hi_u32 s6, s1, s2
	s_addc_u32 s3, s3, s7
	s_addc_u32 s4, s6, 0
	s_mul_i32 s2, s1, s2
	s_add_u32 s2, s3, s2
	s_addc_u32 s3, 0, s4
	s_add_u32 s4, s2, 1
	s_addc_u32 s5, s3, 0
	s_add_u32 s6, s2, 2
	s_mul_i32 s8, s3, 14
	s_mul_hi_u32 s9, s2, 14
	s_addc_u32 s7, s3, 0
	s_add_i32 s9, s9, s8
	s_mul_i32 s8, s2, 14
	v_mov_b32_e32 v2, s8
	v_sub_co_u32_e32 v2, vcc, s0, v2
	s_cmp_lg_u64 vcc, 0
	s_subb_u32 s8, s1, s9
	v_subrev_co_u32_e32 v3, vcc, 14, v2
	s_cmp_lg_u64 vcc, 0
	s_subb_u32 s9, s8, 0
	v_readfirstlane_b32 s10, v3
	s_cmp_gt_u32 s10, 13
	s_cselect_b32 s10, -1, 0
	s_cmp_eq_u32 s9, 0
	s_cselect_b32 s9, s10, -1
	s_cmp_lg_u32 s9, 0
	s_cselect_b32 s4, s6, s4
	v_readfirstlane_b32 s6, v2
	s_cselect_b32 s5, s7, s5
	s_cmp_gt_u32 s6, 13
	s_cselect_b32 s6, -1, 0
	s_cmp_eq_u32 s8, 0
	s_cselect_b32 s6, s6, -1
	s_cmp_lg_u32 s6, 0
	v_mov_b32_e32 v1, 0
	s_cselect_b32 s3, s5, s3
	s_cselect_b32 s2, s4, s2
	v_cmp_eq_u64_e32 vcc, s[2:3], v[0:1]
	s_and_saveexec_b64 s[2:3], vcc
	s_cbranch_execz .LBB5134_125
; %bb.76:
	s_movk_i32 s2, 0xffcc
	v_mad_i32_i24 v2, v0, s2, v33
	v_mul_hi_u32_u24_e32 v1, 14, v0
	v_mov_b32_e32 v3, s1
	v_sub_co_u32_e32 v0, vcc, s0, v32
	v_subb_co_u32_e32 v1, vcc, v3, v1, vcc
	v_cmp_lt_i64_e32 vcc, 6, v[0:1]
	s_and_saveexec_b64 s[0:1], vcc
	s_xor_b64 s[0:1], exec, s[0:1]
	s_cbranch_execz .LBB5134_102
; %bb.77:
	v_cmp_lt_i64_e32 vcc, 9, v[0:1]
	s_and_saveexec_b64 s[2:3], vcc
	s_xor_b64 s[2:3], exec, s[2:3]
	s_cbranch_execz .LBB5134_91
; %bb.78:
	;; [unrolled: 5-line block ×4, first 2 shown]
	ds_read_b32 v0, v2 offset:6656
	v_mov_b32_e32 v1, 0
                                        ; implicit-def: $vgpr2
	s_waitcnt lgkmcnt(0)
	global_store_dword v1, v0, s[18:19]
.LBB5134_81:
	s_andn2_saveexec_b64 s[6:7], s[6:7]
	s_cbranch_execz .LBB5134_83
; %bb.82:
	ds_read_b32 v0, v2 offset:6144
	v_mov_b32_e32 v1, 0
	s_waitcnt lgkmcnt(0)
	global_store_dword v1, v0, s[18:19]
.LBB5134_83:
	s_or_b64 exec, exec, s[6:7]
                                        ; implicit-def: $vgpr2
                                        ; implicit-def: $vgpr0_vgpr1
.LBB5134_84:
	s_andn2_saveexec_b64 s[4:5], s[4:5]
	s_cbranch_execz .LBB5134_90
; %bb.85:
	v_cmp_lt_i64_e32 vcc, 10, v[0:1]
	s_and_saveexec_b64 s[6:7], vcc
	s_xor_b64 s[6:7], exec, s[6:7]
	s_cbranch_execz .LBB5134_87
; %bb.86:
	ds_read_b32 v0, v2 offset:5632
	v_mov_b32_e32 v1, 0
                                        ; implicit-def: $vgpr2
	s_waitcnt lgkmcnt(0)
	global_store_dword v1, v0, s[18:19]
.LBB5134_87:
	s_andn2_saveexec_b64 s[6:7], s[6:7]
	s_cbranch_execz .LBB5134_89
; %bb.88:
	ds_read_b32 v0, v2 offset:5120
	v_mov_b32_e32 v1, 0
	s_waitcnt lgkmcnt(0)
	global_store_dword v1, v0, s[18:19]
.LBB5134_89:
	s_or_b64 exec, exec, s[6:7]
.LBB5134_90:
	s_or_b64 exec, exec, s[4:5]
                                        ; implicit-def: $vgpr2
                                        ; implicit-def: $vgpr0_vgpr1
.LBB5134_91:
	s_andn2_saveexec_b64 s[2:3], s[2:3]
	s_cbranch_execz .LBB5134_101
; %bb.92:
	v_cmp_lt_i64_e32 vcc, 7, v[0:1]
	s_and_saveexec_b64 s[4:5], vcc
	s_xor_b64 s[4:5], exec, s[4:5]
	s_cbranch_execz .LBB5134_98
; %bb.93:
	v_cmp_lt_i64_e32 vcc, 8, v[0:1]
	s_and_saveexec_b64 s[6:7], vcc
	s_xor_b64 s[6:7], exec, s[6:7]
	s_cbranch_execz .LBB5134_95
; %bb.94:
	ds_read_b32 v0, v2 offset:4608
	v_mov_b32_e32 v1, 0
                                        ; implicit-def: $vgpr2
	s_waitcnt lgkmcnt(0)
	global_store_dword v1, v0, s[18:19]
.LBB5134_95:
	s_andn2_saveexec_b64 s[6:7], s[6:7]
	s_cbranch_execz .LBB5134_97
; %bb.96:
	ds_read_b32 v0, v2 offset:4096
	v_mov_b32_e32 v1, 0
	s_waitcnt lgkmcnt(0)
	global_store_dword v1, v0, s[18:19]
.LBB5134_97:
	s_or_b64 exec, exec, s[6:7]
                                        ; implicit-def: $vgpr2
.LBB5134_98:
	s_andn2_saveexec_b64 s[4:5], s[4:5]
	s_cbranch_execz .LBB5134_100
; %bb.99:
	ds_read_b32 v0, v2 offset:3584
	v_mov_b32_e32 v1, 0
	s_waitcnt lgkmcnt(0)
	global_store_dword v1, v0, s[18:19]
.LBB5134_100:
	s_or_b64 exec, exec, s[4:5]
.LBB5134_101:
	s_or_b64 exec, exec, s[2:3]
                                        ; implicit-def: $vgpr0_vgpr1
                                        ; implicit-def: $vgpr2
.LBB5134_102:
	s_andn2_saveexec_b64 s[0:1], s[0:1]
	s_cbranch_execz .LBB5134_125
; %bb.103:
	v_cmp_lt_i64_e32 vcc, 3, v[0:1]
	s_and_saveexec_b64 s[0:1], vcc
	s_xor_b64 s[0:1], exec, s[0:1]
	s_cbranch_execz .LBB5134_113
; %bb.104:
	v_cmp_lt_i64_e32 vcc, 4, v[0:1]
	s_and_saveexec_b64 s[2:3], vcc
	s_xor_b64 s[2:3], exec, s[2:3]
	;; [unrolled: 5-line block ×3, first 2 shown]
	s_cbranch_execz .LBB5134_107
; %bb.106:
	ds_read_b32 v0, v2 offset:3072
	v_mov_b32_e32 v1, 0
                                        ; implicit-def: $vgpr2
	s_waitcnt lgkmcnt(0)
	global_store_dword v1, v0, s[18:19]
.LBB5134_107:
	s_andn2_saveexec_b64 s[4:5], s[4:5]
	s_cbranch_execz .LBB5134_109
; %bb.108:
	ds_read_b32 v0, v2 offset:2560
	v_mov_b32_e32 v1, 0
	s_waitcnt lgkmcnt(0)
	global_store_dword v1, v0, s[18:19]
.LBB5134_109:
	s_or_b64 exec, exec, s[4:5]
                                        ; implicit-def: $vgpr2
.LBB5134_110:
	s_andn2_saveexec_b64 s[2:3], s[2:3]
	s_cbranch_execz .LBB5134_112
; %bb.111:
	ds_read_b32 v0, v2 offset:2048
	v_mov_b32_e32 v1, 0
	s_waitcnt lgkmcnt(0)
	global_store_dword v1, v0, s[18:19]
.LBB5134_112:
	s_or_b64 exec, exec, s[2:3]
                                        ; implicit-def: $vgpr0_vgpr1
                                        ; implicit-def: $vgpr2
.LBB5134_113:
	s_andn2_saveexec_b64 s[0:1], s[0:1]
	s_cbranch_execz .LBB5134_125
; %bb.114:
	v_cmp_lt_i64_e32 vcc, 1, v[0:1]
	s_and_saveexec_b64 s[0:1], vcc
	s_xor_b64 s[0:1], exec, s[0:1]
	s_cbranch_execz .LBB5134_120
; %bb.115:
	v_cmp_lt_i64_e32 vcc, 2, v[0:1]
	s_and_saveexec_b64 s[2:3], vcc
	s_xor_b64 s[2:3], exec, s[2:3]
	s_cbranch_execz .LBB5134_117
; %bb.116:
	ds_read_b32 v0, v2 offset:1536
	v_mov_b32_e32 v1, 0
                                        ; implicit-def: $vgpr2
	s_waitcnt lgkmcnt(0)
	global_store_dword v1, v0, s[18:19]
.LBB5134_117:
	s_andn2_saveexec_b64 s[2:3], s[2:3]
	s_cbranch_execz .LBB5134_119
; %bb.118:
	ds_read_b32 v0, v2 offset:1024
	v_mov_b32_e32 v1, 0
	s_waitcnt lgkmcnt(0)
	global_store_dword v1, v0, s[18:19]
.LBB5134_119:
	s_or_b64 exec, exec, s[2:3]
                                        ; implicit-def: $vgpr2
                                        ; implicit-def: $vgpr0_vgpr1
.LBB5134_120:
	s_andn2_saveexec_b64 s[0:1], s[0:1]
	s_cbranch_execz .LBB5134_125
; %bb.121:
	v_cmp_ne_u64_e32 vcc, 1, v[0:1]
	s_and_saveexec_b64 s[0:1], vcc
	s_xor_b64 s[0:1], exec, s[0:1]
	s_cbranch_execz .LBB5134_123
; %bb.122:
	ds_read_b32 v0, v2
	v_mov_b32_e32 v1, 0
                                        ; implicit-def: $vgpr2
	s_waitcnt lgkmcnt(0)
	global_store_dword v1, v0, s[18:19]
.LBB5134_123:
	s_andn2_saveexec_b64 s[0:1], s[0:1]
	s_cbranch_execz .LBB5134_125
; %bb.124:
	ds_read_b32 v0, v2 offset:512
	v_mov_b32_e32 v1, 0
	s_waitcnt lgkmcnt(0)
	global_store_dword v1, v0, s[18:19]
.LBB5134_125:
	s_endpgm
	.section	.rodata,"a",@progbits
	.p2align	6, 0x0
	.amdhsa_kernel _ZN7rocprim17ROCPRIM_400000_NS6detail17trampoline_kernelINS0_14default_configENS1_20scan_config_selectorIfEEZZNS1_9scan_implILNS1_25lookback_scan_determinismE0ELb1ELb1ES3_N6thrust23THRUST_200600_302600_NS6detail15normal_iteratorINS9_10device_ptrIfEEEENS9_16discard_iteratorINS9_11use_defaultEEEfNS9_4plusIvEEfEEDaPvRmT3_T4_T5_mT6_P12ihipStream_tbENKUlT_T0_E_clISt17integral_constantIbLb0EESW_IbLb1EEEEDaSS_ST_EUlSS_E_NS1_11comp_targetILNS1_3genE4ELNS1_11target_archE910ELNS1_3gpuE8ELNS1_3repE0EEENS1_30default_config_static_selectorELNS0_4arch9wavefront6targetE1EEEvT1_
		.amdhsa_group_segment_fixed_size 7168
		.amdhsa_private_segment_fixed_size 0
		.amdhsa_kernarg_size 104
		.amdhsa_user_sgpr_count 6
		.amdhsa_user_sgpr_private_segment_buffer 1
		.amdhsa_user_sgpr_dispatch_ptr 0
		.amdhsa_user_sgpr_queue_ptr 0
		.amdhsa_user_sgpr_kernarg_segment_ptr 1
		.amdhsa_user_sgpr_dispatch_id 0
		.amdhsa_user_sgpr_flat_scratch_init 0
		.amdhsa_user_sgpr_kernarg_preload_length 0
		.amdhsa_user_sgpr_kernarg_preload_offset 0
		.amdhsa_user_sgpr_private_segment_size 0
		.amdhsa_uses_dynamic_stack 0
		.amdhsa_system_sgpr_private_segment_wavefront_offset 0
		.amdhsa_system_sgpr_workgroup_id_x 1
		.amdhsa_system_sgpr_workgroup_id_y 0
		.amdhsa_system_sgpr_workgroup_id_z 0
		.amdhsa_system_sgpr_workgroup_info 0
		.amdhsa_system_vgpr_workitem_id 0
		.amdhsa_next_free_vgpr 48
		.amdhsa_next_free_sgpr 35
		.amdhsa_accum_offset 48
		.amdhsa_reserve_vcc 1
		.amdhsa_reserve_flat_scratch 0
		.amdhsa_float_round_mode_32 0
		.amdhsa_float_round_mode_16_64 0
		.amdhsa_float_denorm_mode_32 3
		.amdhsa_float_denorm_mode_16_64 3
		.amdhsa_dx10_clamp 1
		.amdhsa_ieee_mode 1
		.amdhsa_fp16_overflow 0
		.amdhsa_tg_split 0
		.amdhsa_exception_fp_ieee_invalid_op 0
		.amdhsa_exception_fp_denorm_src 0
		.amdhsa_exception_fp_ieee_div_zero 0
		.amdhsa_exception_fp_ieee_overflow 0
		.amdhsa_exception_fp_ieee_underflow 0
		.amdhsa_exception_fp_ieee_inexact 0
		.amdhsa_exception_int_div_zero 0
	.end_amdhsa_kernel
	.section	.text._ZN7rocprim17ROCPRIM_400000_NS6detail17trampoline_kernelINS0_14default_configENS1_20scan_config_selectorIfEEZZNS1_9scan_implILNS1_25lookback_scan_determinismE0ELb1ELb1ES3_N6thrust23THRUST_200600_302600_NS6detail15normal_iteratorINS9_10device_ptrIfEEEENS9_16discard_iteratorINS9_11use_defaultEEEfNS9_4plusIvEEfEEDaPvRmT3_T4_T5_mT6_P12ihipStream_tbENKUlT_T0_E_clISt17integral_constantIbLb0EESW_IbLb1EEEEDaSS_ST_EUlSS_E_NS1_11comp_targetILNS1_3genE4ELNS1_11target_archE910ELNS1_3gpuE8ELNS1_3repE0EEENS1_30default_config_static_selectorELNS0_4arch9wavefront6targetE1EEEvT1_,"axG",@progbits,_ZN7rocprim17ROCPRIM_400000_NS6detail17trampoline_kernelINS0_14default_configENS1_20scan_config_selectorIfEEZZNS1_9scan_implILNS1_25lookback_scan_determinismE0ELb1ELb1ES3_N6thrust23THRUST_200600_302600_NS6detail15normal_iteratorINS9_10device_ptrIfEEEENS9_16discard_iteratorINS9_11use_defaultEEEfNS9_4plusIvEEfEEDaPvRmT3_T4_T5_mT6_P12ihipStream_tbENKUlT_T0_E_clISt17integral_constantIbLb0EESW_IbLb1EEEEDaSS_ST_EUlSS_E_NS1_11comp_targetILNS1_3genE4ELNS1_11target_archE910ELNS1_3gpuE8ELNS1_3repE0EEENS1_30default_config_static_selectorELNS0_4arch9wavefront6targetE1EEEvT1_,comdat
.Lfunc_end5134:
	.size	_ZN7rocprim17ROCPRIM_400000_NS6detail17trampoline_kernelINS0_14default_configENS1_20scan_config_selectorIfEEZZNS1_9scan_implILNS1_25lookback_scan_determinismE0ELb1ELb1ES3_N6thrust23THRUST_200600_302600_NS6detail15normal_iteratorINS9_10device_ptrIfEEEENS9_16discard_iteratorINS9_11use_defaultEEEfNS9_4plusIvEEfEEDaPvRmT3_T4_T5_mT6_P12ihipStream_tbENKUlT_T0_E_clISt17integral_constantIbLb0EESW_IbLb1EEEEDaSS_ST_EUlSS_E_NS1_11comp_targetILNS1_3genE4ELNS1_11target_archE910ELNS1_3gpuE8ELNS1_3repE0EEENS1_30default_config_static_selectorELNS0_4arch9wavefront6targetE1EEEvT1_, .Lfunc_end5134-_ZN7rocprim17ROCPRIM_400000_NS6detail17trampoline_kernelINS0_14default_configENS1_20scan_config_selectorIfEEZZNS1_9scan_implILNS1_25lookback_scan_determinismE0ELb1ELb1ES3_N6thrust23THRUST_200600_302600_NS6detail15normal_iteratorINS9_10device_ptrIfEEEENS9_16discard_iteratorINS9_11use_defaultEEEfNS9_4plusIvEEfEEDaPvRmT3_T4_T5_mT6_P12ihipStream_tbENKUlT_T0_E_clISt17integral_constantIbLb0EESW_IbLb1EEEEDaSS_ST_EUlSS_E_NS1_11comp_targetILNS1_3genE4ELNS1_11target_archE910ELNS1_3gpuE8ELNS1_3repE0EEENS1_30default_config_static_selectorELNS0_4arch9wavefront6targetE1EEEvT1_
                                        ; -- End function
	.section	.AMDGPU.csdata,"",@progbits
; Kernel info:
; codeLenInByte = 4856
; NumSgprs: 39
; NumVgprs: 48
; NumAgprs: 0
; TotalNumVgprs: 48
; ScratchSize: 0
; MemoryBound: 0
; FloatMode: 240
; IeeeMode: 1
; LDSByteSize: 7168 bytes/workgroup (compile time only)
; SGPRBlocks: 4
; VGPRBlocks: 5
; NumSGPRsForWavesPerEU: 39
; NumVGPRsForWavesPerEU: 48
; AccumOffset: 48
; Occupancy: 5
; WaveLimiterHint : 1
; COMPUTE_PGM_RSRC2:SCRATCH_EN: 0
; COMPUTE_PGM_RSRC2:USER_SGPR: 6
; COMPUTE_PGM_RSRC2:TRAP_HANDLER: 0
; COMPUTE_PGM_RSRC2:TGID_X_EN: 1
; COMPUTE_PGM_RSRC2:TGID_Y_EN: 0
; COMPUTE_PGM_RSRC2:TGID_Z_EN: 0
; COMPUTE_PGM_RSRC2:TIDIG_COMP_CNT: 0
; COMPUTE_PGM_RSRC3_GFX90A:ACCUM_OFFSET: 11
; COMPUTE_PGM_RSRC3_GFX90A:TG_SPLIT: 0
	.section	.text._ZN7rocprim17ROCPRIM_400000_NS6detail17trampoline_kernelINS0_14default_configENS1_20scan_config_selectorIfEEZZNS1_9scan_implILNS1_25lookback_scan_determinismE0ELb1ELb1ES3_N6thrust23THRUST_200600_302600_NS6detail15normal_iteratorINS9_10device_ptrIfEEEENS9_16discard_iteratorINS9_11use_defaultEEEfNS9_4plusIvEEfEEDaPvRmT3_T4_T5_mT6_P12ihipStream_tbENKUlT_T0_E_clISt17integral_constantIbLb0EESW_IbLb1EEEEDaSS_ST_EUlSS_E_NS1_11comp_targetILNS1_3genE3ELNS1_11target_archE908ELNS1_3gpuE7ELNS1_3repE0EEENS1_30default_config_static_selectorELNS0_4arch9wavefront6targetE1EEEvT1_,"axG",@progbits,_ZN7rocprim17ROCPRIM_400000_NS6detail17trampoline_kernelINS0_14default_configENS1_20scan_config_selectorIfEEZZNS1_9scan_implILNS1_25lookback_scan_determinismE0ELb1ELb1ES3_N6thrust23THRUST_200600_302600_NS6detail15normal_iteratorINS9_10device_ptrIfEEEENS9_16discard_iteratorINS9_11use_defaultEEEfNS9_4plusIvEEfEEDaPvRmT3_T4_T5_mT6_P12ihipStream_tbENKUlT_T0_E_clISt17integral_constantIbLb0EESW_IbLb1EEEEDaSS_ST_EUlSS_E_NS1_11comp_targetILNS1_3genE3ELNS1_11target_archE908ELNS1_3gpuE7ELNS1_3repE0EEENS1_30default_config_static_selectorELNS0_4arch9wavefront6targetE1EEEvT1_,comdat
	.protected	_ZN7rocprim17ROCPRIM_400000_NS6detail17trampoline_kernelINS0_14default_configENS1_20scan_config_selectorIfEEZZNS1_9scan_implILNS1_25lookback_scan_determinismE0ELb1ELb1ES3_N6thrust23THRUST_200600_302600_NS6detail15normal_iteratorINS9_10device_ptrIfEEEENS9_16discard_iteratorINS9_11use_defaultEEEfNS9_4plusIvEEfEEDaPvRmT3_T4_T5_mT6_P12ihipStream_tbENKUlT_T0_E_clISt17integral_constantIbLb0EESW_IbLb1EEEEDaSS_ST_EUlSS_E_NS1_11comp_targetILNS1_3genE3ELNS1_11target_archE908ELNS1_3gpuE7ELNS1_3repE0EEENS1_30default_config_static_selectorELNS0_4arch9wavefront6targetE1EEEvT1_ ; -- Begin function _ZN7rocprim17ROCPRIM_400000_NS6detail17trampoline_kernelINS0_14default_configENS1_20scan_config_selectorIfEEZZNS1_9scan_implILNS1_25lookback_scan_determinismE0ELb1ELb1ES3_N6thrust23THRUST_200600_302600_NS6detail15normal_iteratorINS9_10device_ptrIfEEEENS9_16discard_iteratorINS9_11use_defaultEEEfNS9_4plusIvEEfEEDaPvRmT3_T4_T5_mT6_P12ihipStream_tbENKUlT_T0_E_clISt17integral_constantIbLb0EESW_IbLb1EEEEDaSS_ST_EUlSS_E_NS1_11comp_targetILNS1_3genE3ELNS1_11target_archE908ELNS1_3gpuE7ELNS1_3repE0EEENS1_30default_config_static_selectorELNS0_4arch9wavefront6targetE1EEEvT1_
	.globl	_ZN7rocprim17ROCPRIM_400000_NS6detail17trampoline_kernelINS0_14default_configENS1_20scan_config_selectorIfEEZZNS1_9scan_implILNS1_25lookback_scan_determinismE0ELb1ELb1ES3_N6thrust23THRUST_200600_302600_NS6detail15normal_iteratorINS9_10device_ptrIfEEEENS9_16discard_iteratorINS9_11use_defaultEEEfNS9_4plusIvEEfEEDaPvRmT3_T4_T5_mT6_P12ihipStream_tbENKUlT_T0_E_clISt17integral_constantIbLb0EESW_IbLb1EEEEDaSS_ST_EUlSS_E_NS1_11comp_targetILNS1_3genE3ELNS1_11target_archE908ELNS1_3gpuE7ELNS1_3repE0EEENS1_30default_config_static_selectorELNS0_4arch9wavefront6targetE1EEEvT1_
	.p2align	8
	.type	_ZN7rocprim17ROCPRIM_400000_NS6detail17trampoline_kernelINS0_14default_configENS1_20scan_config_selectorIfEEZZNS1_9scan_implILNS1_25lookback_scan_determinismE0ELb1ELb1ES3_N6thrust23THRUST_200600_302600_NS6detail15normal_iteratorINS9_10device_ptrIfEEEENS9_16discard_iteratorINS9_11use_defaultEEEfNS9_4plusIvEEfEEDaPvRmT3_T4_T5_mT6_P12ihipStream_tbENKUlT_T0_E_clISt17integral_constantIbLb0EESW_IbLb1EEEEDaSS_ST_EUlSS_E_NS1_11comp_targetILNS1_3genE3ELNS1_11target_archE908ELNS1_3gpuE7ELNS1_3repE0EEENS1_30default_config_static_selectorELNS0_4arch9wavefront6targetE1EEEvT1_,@function
_ZN7rocprim17ROCPRIM_400000_NS6detail17trampoline_kernelINS0_14default_configENS1_20scan_config_selectorIfEEZZNS1_9scan_implILNS1_25lookback_scan_determinismE0ELb1ELb1ES3_N6thrust23THRUST_200600_302600_NS6detail15normal_iteratorINS9_10device_ptrIfEEEENS9_16discard_iteratorINS9_11use_defaultEEEfNS9_4plusIvEEfEEDaPvRmT3_T4_T5_mT6_P12ihipStream_tbENKUlT_T0_E_clISt17integral_constantIbLb0EESW_IbLb1EEEEDaSS_ST_EUlSS_E_NS1_11comp_targetILNS1_3genE3ELNS1_11target_archE908ELNS1_3gpuE7ELNS1_3repE0EEENS1_30default_config_static_selectorELNS0_4arch9wavefront6targetE1EEEvT1_: ; @_ZN7rocprim17ROCPRIM_400000_NS6detail17trampoline_kernelINS0_14default_configENS1_20scan_config_selectorIfEEZZNS1_9scan_implILNS1_25lookback_scan_determinismE0ELb1ELb1ES3_N6thrust23THRUST_200600_302600_NS6detail15normal_iteratorINS9_10device_ptrIfEEEENS9_16discard_iteratorINS9_11use_defaultEEEfNS9_4plusIvEEfEEDaPvRmT3_T4_T5_mT6_P12ihipStream_tbENKUlT_T0_E_clISt17integral_constantIbLb0EESW_IbLb1EEEEDaSS_ST_EUlSS_E_NS1_11comp_targetILNS1_3genE3ELNS1_11target_archE908ELNS1_3gpuE7ELNS1_3repE0EEENS1_30default_config_static_selectorELNS0_4arch9wavefront6targetE1EEEvT1_
; %bb.0:
	.section	.rodata,"a",@progbits
	.p2align	6, 0x0
	.amdhsa_kernel _ZN7rocprim17ROCPRIM_400000_NS6detail17trampoline_kernelINS0_14default_configENS1_20scan_config_selectorIfEEZZNS1_9scan_implILNS1_25lookback_scan_determinismE0ELb1ELb1ES3_N6thrust23THRUST_200600_302600_NS6detail15normal_iteratorINS9_10device_ptrIfEEEENS9_16discard_iteratorINS9_11use_defaultEEEfNS9_4plusIvEEfEEDaPvRmT3_T4_T5_mT6_P12ihipStream_tbENKUlT_T0_E_clISt17integral_constantIbLb0EESW_IbLb1EEEEDaSS_ST_EUlSS_E_NS1_11comp_targetILNS1_3genE3ELNS1_11target_archE908ELNS1_3gpuE7ELNS1_3repE0EEENS1_30default_config_static_selectorELNS0_4arch9wavefront6targetE1EEEvT1_
		.amdhsa_group_segment_fixed_size 0
		.amdhsa_private_segment_fixed_size 0
		.amdhsa_kernarg_size 104
		.amdhsa_user_sgpr_count 6
		.amdhsa_user_sgpr_private_segment_buffer 1
		.amdhsa_user_sgpr_dispatch_ptr 0
		.amdhsa_user_sgpr_queue_ptr 0
		.amdhsa_user_sgpr_kernarg_segment_ptr 1
		.amdhsa_user_sgpr_dispatch_id 0
		.amdhsa_user_sgpr_flat_scratch_init 0
		.amdhsa_user_sgpr_kernarg_preload_length 0
		.amdhsa_user_sgpr_kernarg_preload_offset 0
		.amdhsa_user_sgpr_private_segment_size 0
		.amdhsa_uses_dynamic_stack 0
		.amdhsa_system_sgpr_private_segment_wavefront_offset 0
		.amdhsa_system_sgpr_workgroup_id_x 1
		.amdhsa_system_sgpr_workgroup_id_y 0
		.amdhsa_system_sgpr_workgroup_id_z 0
		.amdhsa_system_sgpr_workgroup_info 0
		.amdhsa_system_vgpr_workitem_id 0
		.amdhsa_next_free_vgpr 1
		.amdhsa_next_free_sgpr 0
		.amdhsa_accum_offset 4
		.amdhsa_reserve_vcc 0
		.amdhsa_reserve_flat_scratch 0
		.amdhsa_float_round_mode_32 0
		.amdhsa_float_round_mode_16_64 0
		.amdhsa_float_denorm_mode_32 3
		.amdhsa_float_denorm_mode_16_64 3
		.amdhsa_dx10_clamp 1
		.amdhsa_ieee_mode 1
		.amdhsa_fp16_overflow 0
		.amdhsa_tg_split 0
		.amdhsa_exception_fp_ieee_invalid_op 0
		.amdhsa_exception_fp_denorm_src 0
		.amdhsa_exception_fp_ieee_div_zero 0
		.amdhsa_exception_fp_ieee_overflow 0
		.amdhsa_exception_fp_ieee_underflow 0
		.amdhsa_exception_fp_ieee_inexact 0
		.amdhsa_exception_int_div_zero 0
	.end_amdhsa_kernel
	.section	.text._ZN7rocprim17ROCPRIM_400000_NS6detail17trampoline_kernelINS0_14default_configENS1_20scan_config_selectorIfEEZZNS1_9scan_implILNS1_25lookback_scan_determinismE0ELb1ELb1ES3_N6thrust23THRUST_200600_302600_NS6detail15normal_iteratorINS9_10device_ptrIfEEEENS9_16discard_iteratorINS9_11use_defaultEEEfNS9_4plusIvEEfEEDaPvRmT3_T4_T5_mT6_P12ihipStream_tbENKUlT_T0_E_clISt17integral_constantIbLb0EESW_IbLb1EEEEDaSS_ST_EUlSS_E_NS1_11comp_targetILNS1_3genE3ELNS1_11target_archE908ELNS1_3gpuE7ELNS1_3repE0EEENS1_30default_config_static_selectorELNS0_4arch9wavefront6targetE1EEEvT1_,"axG",@progbits,_ZN7rocprim17ROCPRIM_400000_NS6detail17trampoline_kernelINS0_14default_configENS1_20scan_config_selectorIfEEZZNS1_9scan_implILNS1_25lookback_scan_determinismE0ELb1ELb1ES3_N6thrust23THRUST_200600_302600_NS6detail15normal_iteratorINS9_10device_ptrIfEEEENS9_16discard_iteratorINS9_11use_defaultEEEfNS9_4plusIvEEfEEDaPvRmT3_T4_T5_mT6_P12ihipStream_tbENKUlT_T0_E_clISt17integral_constantIbLb0EESW_IbLb1EEEEDaSS_ST_EUlSS_E_NS1_11comp_targetILNS1_3genE3ELNS1_11target_archE908ELNS1_3gpuE7ELNS1_3repE0EEENS1_30default_config_static_selectorELNS0_4arch9wavefront6targetE1EEEvT1_,comdat
.Lfunc_end5135:
	.size	_ZN7rocprim17ROCPRIM_400000_NS6detail17trampoline_kernelINS0_14default_configENS1_20scan_config_selectorIfEEZZNS1_9scan_implILNS1_25lookback_scan_determinismE0ELb1ELb1ES3_N6thrust23THRUST_200600_302600_NS6detail15normal_iteratorINS9_10device_ptrIfEEEENS9_16discard_iteratorINS9_11use_defaultEEEfNS9_4plusIvEEfEEDaPvRmT3_T4_T5_mT6_P12ihipStream_tbENKUlT_T0_E_clISt17integral_constantIbLb0EESW_IbLb1EEEEDaSS_ST_EUlSS_E_NS1_11comp_targetILNS1_3genE3ELNS1_11target_archE908ELNS1_3gpuE7ELNS1_3repE0EEENS1_30default_config_static_selectorELNS0_4arch9wavefront6targetE1EEEvT1_, .Lfunc_end5135-_ZN7rocprim17ROCPRIM_400000_NS6detail17trampoline_kernelINS0_14default_configENS1_20scan_config_selectorIfEEZZNS1_9scan_implILNS1_25lookback_scan_determinismE0ELb1ELb1ES3_N6thrust23THRUST_200600_302600_NS6detail15normal_iteratorINS9_10device_ptrIfEEEENS9_16discard_iteratorINS9_11use_defaultEEEfNS9_4plusIvEEfEEDaPvRmT3_T4_T5_mT6_P12ihipStream_tbENKUlT_T0_E_clISt17integral_constantIbLb0EESW_IbLb1EEEEDaSS_ST_EUlSS_E_NS1_11comp_targetILNS1_3genE3ELNS1_11target_archE908ELNS1_3gpuE7ELNS1_3repE0EEENS1_30default_config_static_selectorELNS0_4arch9wavefront6targetE1EEEvT1_
                                        ; -- End function
	.section	.AMDGPU.csdata,"",@progbits
; Kernel info:
; codeLenInByte = 0
; NumSgprs: 4
; NumVgprs: 0
; NumAgprs: 0
; TotalNumVgprs: 0
; ScratchSize: 0
; MemoryBound: 0
; FloatMode: 240
; IeeeMode: 1
; LDSByteSize: 0 bytes/workgroup (compile time only)
; SGPRBlocks: 0
; VGPRBlocks: 0
; NumSGPRsForWavesPerEU: 4
; NumVGPRsForWavesPerEU: 1
; AccumOffset: 4
; Occupancy: 8
; WaveLimiterHint : 0
; COMPUTE_PGM_RSRC2:SCRATCH_EN: 0
; COMPUTE_PGM_RSRC2:USER_SGPR: 6
; COMPUTE_PGM_RSRC2:TRAP_HANDLER: 0
; COMPUTE_PGM_RSRC2:TGID_X_EN: 1
; COMPUTE_PGM_RSRC2:TGID_Y_EN: 0
; COMPUTE_PGM_RSRC2:TGID_Z_EN: 0
; COMPUTE_PGM_RSRC2:TIDIG_COMP_CNT: 0
; COMPUTE_PGM_RSRC3_GFX90A:ACCUM_OFFSET: 0
; COMPUTE_PGM_RSRC3_GFX90A:TG_SPLIT: 0
	.section	.text._ZN7rocprim17ROCPRIM_400000_NS6detail17trampoline_kernelINS0_14default_configENS1_20scan_config_selectorIfEEZZNS1_9scan_implILNS1_25lookback_scan_determinismE0ELb1ELb1ES3_N6thrust23THRUST_200600_302600_NS6detail15normal_iteratorINS9_10device_ptrIfEEEENS9_16discard_iteratorINS9_11use_defaultEEEfNS9_4plusIvEEfEEDaPvRmT3_T4_T5_mT6_P12ihipStream_tbENKUlT_T0_E_clISt17integral_constantIbLb0EESW_IbLb1EEEEDaSS_ST_EUlSS_E_NS1_11comp_targetILNS1_3genE2ELNS1_11target_archE906ELNS1_3gpuE6ELNS1_3repE0EEENS1_30default_config_static_selectorELNS0_4arch9wavefront6targetE1EEEvT1_,"axG",@progbits,_ZN7rocprim17ROCPRIM_400000_NS6detail17trampoline_kernelINS0_14default_configENS1_20scan_config_selectorIfEEZZNS1_9scan_implILNS1_25lookback_scan_determinismE0ELb1ELb1ES3_N6thrust23THRUST_200600_302600_NS6detail15normal_iteratorINS9_10device_ptrIfEEEENS9_16discard_iteratorINS9_11use_defaultEEEfNS9_4plusIvEEfEEDaPvRmT3_T4_T5_mT6_P12ihipStream_tbENKUlT_T0_E_clISt17integral_constantIbLb0EESW_IbLb1EEEEDaSS_ST_EUlSS_E_NS1_11comp_targetILNS1_3genE2ELNS1_11target_archE906ELNS1_3gpuE6ELNS1_3repE0EEENS1_30default_config_static_selectorELNS0_4arch9wavefront6targetE1EEEvT1_,comdat
	.protected	_ZN7rocprim17ROCPRIM_400000_NS6detail17trampoline_kernelINS0_14default_configENS1_20scan_config_selectorIfEEZZNS1_9scan_implILNS1_25lookback_scan_determinismE0ELb1ELb1ES3_N6thrust23THRUST_200600_302600_NS6detail15normal_iteratorINS9_10device_ptrIfEEEENS9_16discard_iteratorINS9_11use_defaultEEEfNS9_4plusIvEEfEEDaPvRmT3_T4_T5_mT6_P12ihipStream_tbENKUlT_T0_E_clISt17integral_constantIbLb0EESW_IbLb1EEEEDaSS_ST_EUlSS_E_NS1_11comp_targetILNS1_3genE2ELNS1_11target_archE906ELNS1_3gpuE6ELNS1_3repE0EEENS1_30default_config_static_selectorELNS0_4arch9wavefront6targetE1EEEvT1_ ; -- Begin function _ZN7rocprim17ROCPRIM_400000_NS6detail17trampoline_kernelINS0_14default_configENS1_20scan_config_selectorIfEEZZNS1_9scan_implILNS1_25lookback_scan_determinismE0ELb1ELb1ES3_N6thrust23THRUST_200600_302600_NS6detail15normal_iteratorINS9_10device_ptrIfEEEENS9_16discard_iteratorINS9_11use_defaultEEEfNS9_4plusIvEEfEEDaPvRmT3_T4_T5_mT6_P12ihipStream_tbENKUlT_T0_E_clISt17integral_constantIbLb0EESW_IbLb1EEEEDaSS_ST_EUlSS_E_NS1_11comp_targetILNS1_3genE2ELNS1_11target_archE906ELNS1_3gpuE6ELNS1_3repE0EEENS1_30default_config_static_selectorELNS0_4arch9wavefront6targetE1EEEvT1_
	.globl	_ZN7rocprim17ROCPRIM_400000_NS6detail17trampoline_kernelINS0_14default_configENS1_20scan_config_selectorIfEEZZNS1_9scan_implILNS1_25lookback_scan_determinismE0ELb1ELb1ES3_N6thrust23THRUST_200600_302600_NS6detail15normal_iteratorINS9_10device_ptrIfEEEENS9_16discard_iteratorINS9_11use_defaultEEEfNS9_4plusIvEEfEEDaPvRmT3_T4_T5_mT6_P12ihipStream_tbENKUlT_T0_E_clISt17integral_constantIbLb0EESW_IbLb1EEEEDaSS_ST_EUlSS_E_NS1_11comp_targetILNS1_3genE2ELNS1_11target_archE906ELNS1_3gpuE6ELNS1_3repE0EEENS1_30default_config_static_selectorELNS0_4arch9wavefront6targetE1EEEvT1_
	.p2align	8
	.type	_ZN7rocprim17ROCPRIM_400000_NS6detail17trampoline_kernelINS0_14default_configENS1_20scan_config_selectorIfEEZZNS1_9scan_implILNS1_25lookback_scan_determinismE0ELb1ELb1ES3_N6thrust23THRUST_200600_302600_NS6detail15normal_iteratorINS9_10device_ptrIfEEEENS9_16discard_iteratorINS9_11use_defaultEEEfNS9_4plusIvEEfEEDaPvRmT3_T4_T5_mT6_P12ihipStream_tbENKUlT_T0_E_clISt17integral_constantIbLb0EESW_IbLb1EEEEDaSS_ST_EUlSS_E_NS1_11comp_targetILNS1_3genE2ELNS1_11target_archE906ELNS1_3gpuE6ELNS1_3repE0EEENS1_30default_config_static_selectorELNS0_4arch9wavefront6targetE1EEEvT1_,@function
_ZN7rocprim17ROCPRIM_400000_NS6detail17trampoline_kernelINS0_14default_configENS1_20scan_config_selectorIfEEZZNS1_9scan_implILNS1_25lookback_scan_determinismE0ELb1ELb1ES3_N6thrust23THRUST_200600_302600_NS6detail15normal_iteratorINS9_10device_ptrIfEEEENS9_16discard_iteratorINS9_11use_defaultEEEfNS9_4plusIvEEfEEDaPvRmT3_T4_T5_mT6_P12ihipStream_tbENKUlT_T0_E_clISt17integral_constantIbLb0EESW_IbLb1EEEEDaSS_ST_EUlSS_E_NS1_11comp_targetILNS1_3genE2ELNS1_11target_archE906ELNS1_3gpuE6ELNS1_3repE0EEENS1_30default_config_static_selectorELNS0_4arch9wavefront6targetE1EEEvT1_: ; @_ZN7rocprim17ROCPRIM_400000_NS6detail17trampoline_kernelINS0_14default_configENS1_20scan_config_selectorIfEEZZNS1_9scan_implILNS1_25lookback_scan_determinismE0ELb1ELb1ES3_N6thrust23THRUST_200600_302600_NS6detail15normal_iteratorINS9_10device_ptrIfEEEENS9_16discard_iteratorINS9_11use_defaultEEEfNS9_4plusIvEEfEEDaPvRmT3_T4_T5_mT6_P12ihipStream_tbENKUlT_T0_E_clISt17integral_constantIbLb0EESW_IbLb1EEEEDaSS_ST_EUlSS_E_NS1_11comp_targetILNS1_3genE2ELNS1_11target_archE906ELNS1_3gpuE6ELNS1_3repE0EEENS1_30default_config_static_selectorELNS0_4arch9wavefront6targetE1EEEvT1_
; %bb.0:
	.section	.rodata,"a",@progbits
	.p2align	6, 0x0
	.amdhsa_kernel _ZN7rocprim17ROCPRIM_400000_NS6detail17trampoline_kernelINS0_14default_configENS1_20scan_config_selectorIfEEZZNS1_9scan_implILNS1_25lookback_scan_determinismE0ELb1ELb1ES3_N6thrust23THRUST_200600_302600_NS6detail15normal_iteratorINS9_10device_ptrIfEEEENS9_16discard_iteratorINS9_11use_defaultEEEfNS9_4plusIvEEfEEDaPvRmT3_T4_T5_mT6_P12ihipStream_tbENKUlT_T0_E_clISt17integral_constantIbLb0EESW_IbLb1EEEEDaSS_ST_EUlSS_E_NS1_11comp_targetILNS1_3genE2ELNS1_11target_archE906ELNS1_3gpuE6ELNS1_3repE0EEENS1_30default_config_static_selectorELNS0_4arch9wavefront6targetE1EEEvT1_
		.amdhsa_group_segment_fixed_size 0
		.amdhsa_private_segment_fixed_size 0
		.amdhsa_kernarg_size 104
		.amdhsa_user_sgpr_count 6
		.amdhsa_user_sgpr_private_segment_buffer 1
		.amdhsa_user_sgpr_dispatch_ptr 0
		.amdhsa_user_sgpr_queue_ptr 0
		.amdhsa_user_sgpr_kernarg_segment_ptr 1
		.amdhsa_user_sgpr_dispatch_id 0
		.amdhsa_user_sgpr_flat_scratch_init 0
		.amdhsa_user_sgpr_kernarg_preload_length 0
		.amdhsa_user_sgpr_kernarg_preload_offset 0
		.amdhsa_user_sgpr_private_segment_size 0
		.amdhsa_uses_dynamic_stack 0
		.amdhsa_system_sgpr_private_segment_wavefront_offset 0
		.amdhsa_system_sgpr_workgroup_id_x 1
		.amdhsa_system_sgpr_workgroup_id_y 0
		.amdhsa_system_sgpr_workgroup_id_z 0
		.amdhsa_system_sgpr_workgroup_info 0
		.amdhsa_system_vgpr_workitem_id 0
		.amdhsa_next_free_vgpr 1
		.amdhsa_next_free_sgpr 0
		.amdhsa_accum_offset 4
		.amdhsa_reserve_vcc 0
		.amdhsa_reserve_flat_scratch 0
		.amdhsa_float_round_mode_32 0
		.amdhsa_float_round_mode_16_64 0
		.amdhsa_float_denorm_mode_32 3
		.amdhsa_float_denorm_mode_16_64 3
		.amdhsa_dx10_clamp 1
		.amdhsa_ieee_mode 1
		.amdhsa_fp16_overflow 0
		.amdhsa_tg_split 0
		.amdhsa_exception_fp_ieee_invalid_op 0
		.amdhsa_exception_fp_denorm_src 0
		.amdhsa_exception_fp_ieee_div_zero 0
		.amdhsa_exception_fp_ieee_overflow 0
		.amdhsa_exception_fp_ieee_underflow 0
		.amdhsa_exception_fp_ieee_inexact 0
		.amdhsa_exception_int_div_zero 0
	.end_amdhsa_kernel
	.section	.text._ZN7rocprim17ROCPRIM_400000_NS6detail17trampoline_kernelINS0_14default_configENS1_20scan_config_selectorIfEEZZNS1_9scan_implILNS1_25lookback_scan_determinismE0ELb1ELb1ES3_N6thrust23THRUST_200600_302600_NS6detail15normal_iteratorINS9_10device_ptrIfEEEENS9_16discard_iteratorINS9_11use_defaultEEEfNS9_4plusIvEEfEEDaPvRmT3_T4_T5_mT6_P12ihipStream_tbENKUlT_T0_E_clISt17integral_constantIbLb0EESW_IbLb1EEEEDaSS_ST_EUlSS_E_NS1_11comp_targetILNS1_3genE2ELNS1_11target_archE906ELNS1_3gpuE6ELNS1_3repE0EEENS1_30default_config_static_selectorELNS0_4arch9wavefront6targetE1EEEvT1_,"axG",@progbits,_ZN7rocprim17ROCPRIM_400000_NS6detail17trampoline_kernelINS0_14default_configENS1_20scan_config_selectorIfEEZZNS1_9scan_implILNS1_25lookback_scan_determinismE0ELb1ELb1ES3_N6thrust23THRUST_200600_302600_NS6detail15normal_iteratorINS9_10device_ptrIfEEEENS9_16discard_iteratorINS9_11use_defaultEEEfNS9_4plusIvEEfEEDaPvRmT3_T4_T5_mT6_P12ihipStream_tbENKUlT_T0_E_clISt17integral_constantIbLb0EESW_IbLb1EEEEDaSS_ST_EUlSS_E_NS1_11comp_targetILNS1_3genE2ELNS1_11target_archE906ELNS1_3gpuE6ELNS1_3repE0EEENS1_30default_config_static_selectorELNS0_4arch9wavefront6targetE1EEEvT1_,comdat
.Lfunc_end5136:
	.size	_ZN7rocprim17ROCPRIM_400000_NS6detail17trampoline_kernelINS0_14default_configENS1_20scan_config_selectorIfEEZZNS1_9scan_implILNS1_25lookback_scan_determinismE0ELb1ELb1ES3_N6thrust23THRUST_200600_302600_NS6detail15normal_iteratorINS9_10device_ptrIfEEEENS9_16discard_iteratorINS9_11use_defaultEEEfNS9_4plusIvEEfEEDaPvRmT3_T4_T5_mT6_P12ihipStream_tbENKUlT_T0_E_clISt17integral_constantIbLb0EESW_IbLb1EEEEDaSS_ST_EUlSS_E_NS1_11comp_targetILNS1_3genE2ELNS1_11target_archE906ELNS1_3gpuE6ELNS1_3repE0EEENS1_30default_config_static_selectorELNS0_4arch9wavefront6targetE1EEEvT1_, .Lfunc_end5136-_ZN7rocprim17ROCPRIM_400000_NS6detail17trampoline_kernelINS0_14default_configENS1_20scan_config_selectorIfEEZZNS1_9scan_implILNS1_25lookback_scan_determinismE0ELb1ELb1ES3_N6thrust23THRUST_200600_302600_NS6detail15normal_iteratorINS9_10device_ptrIfEEEENS9_16discard_iteratorINS9_11use_defaultEEEfNS9_4plusIvEEfEEDaPvRmT3_T4_T5_mT6_P12ihipStream_tbENKUlT_T0_E_clISt17integral_constantIbLb0EESW_IbLb1EEEEDaSS_ST_EUlSS_E_NS1_11comp_targetILNS1_3genE2ELNS1_11target_archE906ELNS1_3gpuE6ELNS1_3repE0EEENS1_30default_config_static_selectorELNS0_4arch9wavefront6targetE1EEEvT1_
                                        ; -- End function
	.section	.AMDGPU.csdata,"",@progbits
; Kernel info:
; codeLenInByte = 0
; NumSgprs: 4
; NumVgprs: 0
; NumAgprs: 0
; TotalNumVgprs: 0
; ScratchSize: 0
; MemoryBound: 0
; FloatMode: 240
; IeeeMode: 1
; LDSByteSize: 0 bytes/workgroup (compile time only)
; SGPRBlocks: 0
; VGPRBlocks: 0
; NumSGPRsForWavesPerEU: 4
; NumVGPRsForWavesPerEU: 1
; AccumOffset: 4
; Occupancy: 8
; WaveLimiterHint : 0
; COMPUTE_PGM_RSRC2:SCRATCH_EN: 0
; COMPUTE_PGM_RSRC2:USER_SGPR: 6
; COMPUTE_PGM_RSRC2:TRAP_HANDLER: 0
; COMPUTE_PGM_RSRC2:TGID_X_EN: 1
; COMPUTE_PGM_RSRC2:TGID_Y_EN: 0
; COMPUTE_PGM_RSRC2:TGID_Z_EN: 0
; COMPUTE_PGM_RSRC2:TIDIG_COMP_CNT: 0
; COMPUTE_PGM_RSRC3_GFX90A:ACCUM_OFFSET: 0
; COMPUTE_PGM_RSRC3_GFX90A:TG_SPLIT: 0
	.section	.text._ZN7rocprim17ROCPRIM_400000_NS6detail17trampoline_kernelINS0_14default_configENS1_20scan_config_selectorIfEEZZNS1_9scan_implILNS1_25lookback_scan_determinismE0ELb1ELb1ES3_N6thrust23THRUST_200600_302600_NS6detail15normal_iteratorINS9_10device_ptrIfEEEENS9_16discard_iteratorINS9_11use_defaultEEEfNS9_4plusIvEEfEEDaPvRmT3_T4_T5_mT6_P12ihipStream_tbENKUlT_T0_E_clISt17integral_constantIbLb0EESW_IbLb1EEEEDaSS_ST_EUlSS_E_NS1_11comp_targetILNS1_3genE10ELNS1_11target_archE1201ELNS1_3gpuE5ELNS1_3repE0EEENS1_30default_config_static_selectorELNS0_4arch9wavefront6targetE1EEEvT1_,"axG",@progbits,_ZN7rocprim17ROCPRIM_400000_NS6detail17trampoline_kernelINS0_14default_configENS1_20scan_config_selectorIfEEZZNS1_9scan_implILNS1_25lookback_scan_determinismE0ELb1ELb1ES3_N6thrust23THRUST_200600_302600_NS6detail15normal_iteratorINS9_10device_ptrIfEEEENS9_16discard_iteratorINS9_11use_defaultEEEfNS9_4plusIvEEfEEDaPvRmT3_T4_T5_mT6_P12ihipStream_tbENKUlT_T0_E_clISt17integral_constantIbLb0EESW_IbLb1EEEEDaSS_ST_EUlSS_E_NS1_11comp_targetILNS1_3genE10ELNS1_11target_archE1201ELNS1_3gpuE5ELNS1_3repE0EEENS1_30default_config_static_selectorELNS0_4arch9wavefront6targetE1EEEvT1_,comdat
	.protected	_ZN7rocprim17ROCPRIM_400000_NS6detail17trampoline_kernelINS0_14default_configENS1_20scan_config_selectorIfEEZZNS1_9scan_implILNS1_25lookback_scan_determinismE0ELb1ELb1ES3_N6thrust23THRUST_200600_302600_NS6detail15normal_iteratorINS9_10device_ptrIfEEEENS9_16discard_iteratorINS9_11use_defaultEEEfNS9_4plusIvEEfEEDaPvRmT3_T4_T5_mT6_P12ihipStream_tbENKUlT_T0_E_clISt17integral_constantIbLb0EESW_IbLb1EEEEDaSS_ST_EUlSS_E_NS1_11comp_targetILNS1_3genE10ELNS1_11target_archE1201ELNS1_3gpuE5ELNS1_3repE0EEENS1_30default_config_static_selectorELNS0_4arch9wavefront6targetE1EEEvT1_ ; -- Begin function _ZN7rocprim17ROCPRIM_400000_NS6detail17trampoline_kernelINS0_14default_configENS1_20scan_config_selectorIfEEZZNS1_9scan_implILNS1_25lookback_scan_determinismE0ELb1ELb1ES3_N6thrust23THRUST_200600_302600_NS6detail15normal_iteratorINS9_10device_ptrIfEEEENS9_16discard_iteratorINS9_11use_defaultEEEfNS9_4plusIvEEfEEDaPvRmT3_T4_T5_mT6_P12ihipStream_tbENKUlT_T0_E_clISt17integral_constantIbLb0EESW_IbLb1EEEEDaSS_ST_EUlSS_E_NS1_11comp_targetILNS1_3genE10ELNS1_11target_archE1201ELNS1_3gpuE5ELNS1_3repE0EEENS1_30default_config_static_selectorELNS0_4arch9wavefront6targetE1EEEvT1_
	.globl	_ZN7rocprim17ROCPRIM_400000_NS6detail17trampoline_kernelINS0_14default_configENS1_20scan_config_selectorIfEEZZNS1_9scan_implILNS1_25lookback_scan_determinismE0ELb1ELb1ES3_N6thrust23THRUST_200600_302600_NS6detail15normal_iteratorINS9_10device_ptrIfEEEENS9_16discard_iteratorINS9_11use_defaultEEEfNS9_4plusIvEEfEEDaPvRmT3_T4_T5_mT6_P12ihipStream_tbENKUlT_T0_E_clISt17integral_constantIbLb0EESW_IbLb1EEEEDaSS_ST_EUlSS_E_NS1_11comp_targetILNS1_3genE10ELNS1_11target_archE1201ELNS1_3gpuE5ELNS1_3repE0EEENS1_30default_config_static_selectorELNS0_4arch9wavefront6targetE1EEEvT1_
	.p2align	8
	.type	_ZN7rocprim17ROCPRIM_400000_NS6detail17trampoline_kernelINS0_14default_configENS1_20scan_config_selectorIfEEZZNS1_9scan_implILNS1_25lookback_scan_determinismE0ELb1ELb1ES3_N6thrust23THRUST_200600_302600_NS6detail15normal_iteratorINS9_10device_ptrIfEEEENS9_16discard_iteratorINS9_11use_defaultEEEfNS9_4plusIvEEfEEDaPvRmT3_T4_T5_mT6_P12ihipStream_tbENKUlT_T0_E_clISt17integral_constantIbLb0EESW_IbLb1EEEEDaSS_ST_EUlSS_E_NS1_11comp_targetILNS1_3genE10ELNS1_11target_archE1201ELNS1_3gpuE5ELNS1_3repE0EEENS1_30default_config_static_selectorELNS0_4arch9wavefront6targetE1EEEvT1_,@function
_ZN7rocprim17ROCPRIM_400000_NS6detail17trampoline_kernelINS0_14default_configENS1_20scan_config_selectorIfEEZZNS1_9scan_implILNS1_25lookback_scan_determinismE0ELb1ELb1ES3_N6thrust23THRUST_200600_302600_NS6detail15normal_iteratorINS9_10device_ptrIfEEEENS9_16discard_iteratorINS9_11use_defaultEEEfNS9_4plusIvEEfEEDaPvRmT3_T4_T5_mT6_P12ihipStream_tbENKUlT_T0_E_clISt17integral_constantIbLb0EESW_IbLb1EEEEDaSS_ST_EUlSS_E_NS1_11comp_targetILNS1_3genE10ELNS1_11target_archE1201ELNS1_3gpuE5ELNS1_3repE0EEENS1_30default_config_static_selectorELNS0_4arch9wavefront6targetE1EEEvT1_: ; @_ZN7rocprim17ROCPRIM_400000_NS6detail17trampoline_kernelINS0_14default_configENS1_20scan_config_selectorIfEEZZNS1_9scan_implILNS1_25lookback_scan_determinismE0ELb1ELb1ES3_N6thrust23THRUST_200600_302600_NS6detail15normal_iteratorINS9_10device_ptrIfEEEENS9_16discard_iteratorINS9_11use_defaultEEEfNS9_4plusIvEEfEEDaPvRmT3_T4_T5_mT6_P12ihipStream_tbENKUlT_T0_E_clISt17integral_constantIbLb0EESW_IbLb1EEEEDaSS_ST_EUlSS_E_NS1_11comp_targetILNS1_3genE10ELNS1_11target_archE1201ELNS1_3gpuE5ELNS1_3repE0EEENS1_30default_config_static_selectorELNS0_4arch9wavefront6targetE1EEEvT1_
; %bb.0:
	.section	.rodata,"a",@progbits
	.p2align	6, 0x0
	.amdhsa_kernel _ZN7rocprim17ROCPRIM_400000_NS6detail17trampoline_kernelINS0_14default_configENS1_20scan_config_selectorIfEEZZNS1_9scan_implILNS1_25lookback_scan_determinismE0ELb1ELb1ES3_N6thrust23THRUST_200600_302600_NS6detail15normal_iteratorINS9_10device_ptrIfEEEENS9_16discard_iteratorINS9_11use_defaultEEEfNS9_4plusIvEEfEEDaPvRmT3_T4_T5_mT6_P12ihipStream_tbENKUlT_T0_E_clISt17integral_constantIbLb0EESW_IbLb1EEEEDaSS_ST_EUlSS_E_NS1_11comp_targetILNS1_3genE10ELNS1_11target_archE1201ELNS1_3gpuE5ELNS1_3repE0EEENS1_30default_config_static_selectorELNS0_4arch9wavefront6targetE1EEEvT1_
		.amdhsa_group_segment_fixed_size 0
		.amdhsa_private_segment_fixed_size 0
		.amdhsa_kernarg_size 104
		.amdhsa_user_sgpr_count 6
		.amdhsa_user_sgpr_private_segment_buffer 1
		.amdhsa_user_sgpr_dispatch_ptr 0
		.amdhsa_user_sgpr_queue_ptr 0
		.amdhsa_user_sgpr_kernarg_segment_ptr 1
		.amdhsa_user_sgpr_dispatch_id 0
		.amdhsa_user_sgpr_flat_scratch_init 0
		.amdhsa_user_sgpr_kernarg_preload_length 0
		.amdhsa_user_sgpr_kernarg_preload_offset 0
		.amdhsa_user_sgpr_private_segment_size 0
		.amdhsa_uses_dynamic_stack 0
		.amdhsa_system_sgpr_private_segment_wavefront_offset 0
		.amdhsa_system_sgpr_workgroup_id_x 1
		.amdhsa_system_sgpr_workgroup_id_y 0
		.amdhsa_system_sgpr_workgroup_id_z 0
		.amdhsa_system_sgpr_workgroup_info 0
		.amdhsa_system_vgpr_workitem_id 0
		.amdhsa_next_free_vgpr 1
		.amdhsa_next_free_sgpr 0
		.amdhsa_accum_offset 4
		.amdhsa_reserve_vcc 0
		.amdhsa_reserve_flat_scratch 0
		.amdhsa_float_round_mode_32 0
		.amdhsa_float_round_mode_16_64 0
		.amdhsa_float_denorm_mode_32 3
		.amdhsa_float_denorm_mode_16_64 3
		.amdhsa_dx10_clamp 1
		.amdhsa_ieee_mode 1
		.amdhsa_fp16_overflow 0
		.amdhsa_tg_split 0
		.amdhsa_exception_fp_ieee_invalid_op 0
		.amdhsa_exception_fp_denorm_src 0
		.amdhsa_exception_fp_ieee_div_zero 0
		.amdhsa_exception_fp_ieee_overflow 0
		.amdhsa_exception_fp_ieee_underflow 0
		.amdhsa_exception_fp_ieee_inexact 0
		.amdhsa_exception_int_div_zero 0
	.end_amdhsa_kernel
	.section	.text._ZN7rocprim17ROCPRIM_400000_NS6detail17trampoline_kernelINS0_14default_configENS1_20scan_config_selectorIfEEZZNS1_9scan_implILNS1_25lookback_scan_determinismE0ELb1ELb1ES3_N6thrust23THRUST_200600_302600_NS6detail15normal_iteratorINS9_10device_ptrIfEEEENS9_16discard_iteratorINS9_11use_defaultEEEfNS9_4plusIvEEfEEDaPvRmT3_T4_T5_mT6_P12ihipStream_tbENKUlT_T0_E_clISt17integral_constantIbLb0EESW_IbLb1EEEEDaSS_ST_EUlSS_E_NS1_11comp_targetILNS1_3genE10ELNS1_11target_archE1201ELNS1_3gpuE5ELNS1_3repE0EEENS1_30default_config_static_selectorELNS0_4arch9wavefront6targetE1EEEvT1_,"axG",@progbits,_ZN7rocprim17ROCPRIM_400000_NS6detail17trampoline_kernelINS0_14default_configENS1_20scan_config_selectorIfEEZZNS1_9scan_implILNS1_25lookback_scan_determinismE0ELb1ELb1ES3_N6thrust23THRUST_200600_302600_NS6detail15normal_iteratorINS9_10device_ptrIfEEEENS9_16discard_iteratorINS9_11use_defaultEEEfNS9_4plusIvEEfEEDaPvRmT3_T4_T5_mT6_P12ihipStream_tbENKUlT_T0_E_clISt17integral_constantIbLb0EESW_IbLb1EEEEDaSS_ST_EUlSS_E_NS1_11comp_targetILNS1_3genE10ELNS1_11target_archE1201ELNS1_3gpuE5ELNS1_3repE0EEENS1_30default_config_static_selectorELNS0_4arch9wavefront6targetE1EEEvT1_,comdat
.Lfunc_end5137:
	.size	_ZN7rocprim17ROCPRIM_400000_NS6detail17trampoline_kernelINS0_14default_configENS1_20scan_config_selectorIfEEZZNS1_9scan_implILNS1_25lookback_scan_determinismE0ELb1ELb1ES3_N6thrust23THRUST_200600_302600_NS6detail15normal_iteratorINS9_10device_ptrIfEEEENS9_16discard_iteratorINS9_11use_defaultEEEfNS9_4plusIvEEfEEDaPvRmT3_T4_T5_mT6_P12ihipStream_tbENKUlT_T0_E_clISt17integral_constantIbLb0EESW_IbLb1EEEEDaSS_ST_EUlSS_E_NS1_11comp_targetILNS1_3genE10ELNS1_11target_archE1201ELNS1_3gpuE5ELNS1_3repE0EEENS1_30default_config_static_selectorELNS0_4arch9wavefront6targetE1EEEvT1_, .Lfunc_end5137-_ZN7rocprim17ROCPRIM_400000_NS6detail17trampoline_kernelINS0_14default_configENS1_20scan_config_selectorIfEEZZNS1_9scan_implILNS1_25lookback_scan_determinismE0ELb1ELb1ES3_N6thrust23THRUST_200600_302600_NS6detail15normal_iteratorINS9_10device_ptrIfEEEENS9_16discard_iteratorINS9_11use_defaultEEEfNS9_4plusIvEEfEEDaPvRmT3_T4_T5_mT6_P12ihipStream_tbENKUlT_T0_E_clISt17integral_constantIbLb0EESW_IbLb1EEEEDaSS_ST_EUlSS_E_NS1_11comp_targetILNS1_3genE10ELNS1_11target_archE1201ELNS1_3gpuE5ELNS1_3repE0EEENS1_30default_config_static_selectorELNS0_4arch9wavefront6targetE1EEEvT1_
                                        ; -- End function
	.section	.AMDGPU.csdata,"",@progbits
; Kernel info:
; codeLenInByte = 0
; NumSgprs: 4
; NumVgprs: 0
; NumAgprs: 0
; TotalNumVgprs: 0
; ScratchSize: 0
; MemoryBound: 0
; FloatMode: 240
; IeeeMode: 1
; LDSByteSize: 0 bytes/workgroup (compile time only)
; SGPRBlocks: 0
; VGPRBlocks: 0
; NumSGPRsForWavesPerEU: 4
; NumVGPRsForWavesPerEU: 1
; AccumOffset: 4
; Occupancy: 8
; WaveLimiterHint : 0
; COMPUTE_PGM_RSRC2:SCRATCH_EN: 0
; COMPUTE_PGM_RSRC2:USER_SGPR: 6
; COMPUTE_PGM_RSRC2:TRAP_HANDLER: 0
; COMPUTE_PGM_RSRC2:TGID_X_EN: 1
; COMPUTE_PGM_RSRC2:TGID_Y_EN: 0
; COMPUTE_PGM_RSRC2:TGID_Z_EN: 0
; COMPUTE_PGM_RSRC2:TIDIG_COMP_CNT: 0
; COMPUTE_PGM_RSRC3_GFX90A:ACCUM_OFFSET: 0
; COMPUTE_PGM_RSRC3_GFX90A:TG_SPLIT: 0
	.section	.text._ZN7rocprim17ROCPRIM_400000_NS6detail17trampoline_kernelINS0_14default_configENS1_20scan_config_selectorIfEEZZNS1_9scan_implILNS1_25lookback_scan_determinismE0ELb1ELb1ES3_N6thrust23THRUST_200600_302600_NS6detail15normal_iteratorINS9_10device_ptrIfEEEENS9_16discard_iteratorINS9_11use_defaultEEEfNS9_4plusIvEEfEEDaPvRmT3_T4_T5_mT6_P12ihipStream_tbENKUlT_T0_E_clISt17integral_constantIbLb0EESW_IbLb1EEEEDaSS_ST_EUlSS_E_NS1_11comp_targetILNS1_3genE10ELNS1_11target_archE1200ELNS1_3gpuE4ELNS1_3repE0EEENS1_30default_config_static_selectorELNS0_4arch9wavefront6targetE1EEEvT1_,"axG",@progbits,_ZN7rocprim17ROCPRIM_400000_NS6detail17trampoline_kernelINS0_14default_configENS1_20scan_config_selectorIfEEZZNS1_9scan_implILNS1_25lookback_scan_determinismE0ELb1ELb1ES3_N6thrust23THRUST_200600_302600_NS6detail15normal_iteratorINS9_10device_ptrIfEEEENS9_16discard_iteratorINS9_11use_defaultEEEfNS9_4plusIvEEfEEDaPvRmT3_T4_T5_mT6_P12ihipStream_tbENKUlT_T0_E_clISt17integral_constantIbLb0EESW_IbLb1EEEEDaSS_ST_EUlSS_E_NS1_11comp_targetILNS1_3genE10ELNS1_11target_archE1200ELNS1_3gpuE4ELNS1_3repE0EEENS1_30default_config_static_selectorELNS0_4arch9wavefront6targetE1EEEvT1_,comdat
	.protected	_ZN7rocprim17ROCPRIM_400000_NS6detail17trampoline_kernelINS0_14default_configENS1_20scan_config_selectorIfEEZZNS1_9scan_implILNS1_25lookback_scan_determinismE0ELb1ELb1ES3_N6thrust23THRUST_200600_302600_NS6detail15normal_iteratorINS9_10device_ptrIfEEEENS9_16discard_iteratorINS9_11use_defaultEEEfNS9_4plusIvEEfEEDaPvRmT3_T4_T5_mT6_P12ihipStream_tbENKUlT_T0_E_clISt17integral_constantIbLb0EESW_IbLb1EEEEDaSS_ST_EUlSS_E_NS1_11comp_targetILNS1_3genE10ELNS1_11target_archE1200ELNS1_3gpuE4ELNS1_3repE0EEENS1_30default_config_static_selectorELNS0_4arch9wavefront6targetE1EEEvT1_ ; -- Begin function _ZN7rocprim17ROCPRIM_400000_NS6detail17trampoline_kernelINS0_14default_configENS1_20scan_config_selectorIfEEZZNS1_9scan_implILNS1_25lookback_scan_determinismE0ELb1ELb1ES3_N6thrust23THRUST_200600_302600_NS6detail15normal_iteratorINS9_10device_ptrIfEEEENS9_16discard_iteratorINS9_11use_defaultEEEfNS9_4plusIvEEfEEDaPvRmT3_T4_T5_mT6_P12ihipStream_tbENKUlT_T0_E_clISt17integral_constantIbLb0EESW_IbLb1EEEEDaSS_ST_EUlSS_E_NS1_11comp_targetILNS1_3genE10ELNS1_11target_archE1200ELNS1_3gpuE4ELNS1_3repE0EEENS1_30default_config_static_selectorELNS0_4arch9wavefront6targetE1EEEvT1_
	.globl	_ZN7rocprim17ROCPRIM_400000_NS6detail17trampoline_kernelINS0_14default_configENS1_20scan_config_selectorIfEEZZNS1_9scan_implILNS1_25lookback_scan_determinismE0ELb1ELb1ES3_N6thrust23THRUST_200600_302600_NS6detail15normal_iteratorINS9_10device_ptrIfEEEENS9_16discard_iteratorINS9_11use_defaultEEEfNS9_4plusIvEEfEEDaPvRmT3_T4_T5_mT6_P12ihipStream_tbENKUlT_T0_E_clISt17integral_constantIbLb0EESW_IbLb1EEEEDaSS_ST_EUlSS_E_NS1_11comp_targetILNS1_3genE10ELNS1_11target_archE1200ELNS1_3gpuE4ELNS1_3repE0EEENS1_30default_config_static_selectorELNS0_4arch9wavefront6targetE1EEEvT1_
	.p2align	8
	.type	_ZN7rocprim17ROCPRIM_400000_NS6detail17trampoline_kernelINS0_14default_configENS1_20scan_config_selectorIfEEZZNS1_9scan_implILNS1_25lookback_scan_determinismE0ELb1ELb1ES3_N6thrust23THRUST_200600_302600_NS6detail15normal_iteratorINS9_10device_ptrIfEEEENS9_16discard_iteratorINS9_11use_defaultEEEfNS9_4plusIvEEfEEDaPvRmT3_T4_T5_mT6_P12ihipStream_tbENKUlT_T0_E_clISt17integral_constantIbLb0EESW_IbLb1EEEEDaSS_ST_EUlSS_E_NS1_11comp_targetILNS1_3genE10ELNS1_11target_archE1200ELNS1_3gpuE4ELNS1_3repE0EEENS1_30default_config_static_selectorELNS0_4arch9wavefront6targetE1EEEvT1_,@function
_ZN7rocprim17ROCPRIM_400000_NS6detail17trampoline_kernelINS0_14default_configENS1_20scan_config_selectorIfEEZZNS1_9scan_implILNS1_25lookback_scan_determinismE0ELb1ELb1ES3_N6thrust23THRUST_200600_302600_NS6detail15normal_iteratorINS9_10device_ptrIfEEEENS9_16discard_iteratorINS9_11use_defaultEEEfNS9_4plusIvEEfEEDaPvRmT3_T4_T5_mT6_P12ihipStream_tbENKUlT_T0_E_clISt17integral_constantIbLb0EESW_IbLb1EEEEDaSS_ST_EUlSS_E_NS1_11comp_targetILNS1_3genE10ELNS1_11target_archE1200ELNS1_3gpuE4ELNS1_3repE0EEENS1_30default_config_static_selectorELNS0_4arch9wavefront6targetE1EEEvT1_: ; @_ZN7rocprim17ROCPRIM_400000_NS6detail17trampoline_kernelINS0_14default_configENS1_20scan_config_selectorIfEEZZNS1_9scan_implILNS1_25lookback_scan_determinismE0ELb1ELb1ES3_N6thrust23THRUST_200600_302600_NS6detail15normal_iteratorINS9_10device_ptrIfEEEENS9_16discard_iteratorINS9_11use_defaultEEEfNS9_4plusIvEEfEEDaPvRmT3_T4_T5_mT6_P12ihipStream_tbENKUlT_T0_E_clISt17integral_constantIbLb0EESW_IbLb1EEEEDaSS_ST_EUlSS_E_NS1_11comp_targetILNS1_3genE10ELNS1_11target_archE1200ELNS1_3gpuE4ELNS1_3repE0EEENS1_30default_config_static_selectorELNS0_4arch9wavefront6targetE1EEEvT1_
; %bb.0:
	.section	.rodata,"a",@progbits
	.p2align	6, 0x0
	.amdhsa_kernel _ZN7rocprim17ROCPRIM_400000_NS6detail17trampoline_kernelINS0_14default_configENS1_20scan_config_selectorIfEEZZNS1_9scan_implILNS1_25lookback_scan_determinismE0ELb1ELb1ES3_N6thrust23THRUST_200600_302600_NS6detail15normal_iteratorINS9_10device_ptrIfEEEENS9_16discard_iteratorINS9_11use_defaultEEEfNS9_4plusIvEEfEEDaPvRmT3_T4_T5_mT6_P12ihipStream_tbENKUlT_T0_E_clISt17integral_constantIbLb0EESW_IbLb1EEEEDaSS_ST_EUlSS_E_NS1_11comp_targetILNS1_3genE10ELNS1_11target_archE1200ELNS1_3gpuE4ELNS1_3repE0EEENS1_30default_config_static_selectorELNS0_4arch9wavefront6targetE1EEEvT1_
		.amdhsa_group_segment_fixed_size 0
		.amdhsa_private_segment_fixed_size 0
		.amdhsa_kernarg_size 104
		.amdhsa_user_sgpr_count 6
		.amdhsa_user_sgpr_private_segment_buffer 1
		.amdhsa_user_sgpr_dispatch_ptr 0
		.amdhsa_user_sgpr_queue_ptr 0
		.amdhsa_user_sgpr_kernarg_segment_ptr 1
		.amdhsa_user_sgpr_dispatch_id 0
		.amdhsa_user_sgpr_flat_scratch_init 0
		.amdhsa_user_sgpr_kernarg_preload_length 0
		.amdhsa_user_sgpr_kernarg_preload_offset 0
		.amdhsa_user_sgpr_private_segment_size 0
		.amdhsa_uses_dynamic_stack 0
		.amdhsa_system_sgpr_private_segment_wavefront_offset 0
		.amdhsa_system_sgpr_workgroup_id_x 1
		.amdhsa_system_sgpr_workgroup_id_y 0
		.amdhsa_system_sgpr_workgroup_id_z 0
		.amdhsa_system_sgpr_workgroup_info 0
		.amdhsa_system_vgpr_workitem_id 0
		.amdhsa_next_free_vgpr 1
		.amdhsa_next_free_sgpr 0
		.amdhsa_accum_offset 4
		.amdhsa_reserve_vcc 0
		.amdhsa_reserve_flat_scratch 0
		.amdhsa_float_round_mode_32 0
		.amdhsa_float_round_mode_16_64 0
		.amdhsa_float_denorm_mode_32 3
		.amdhsa_float_denorm_mode_16_64 3
		.amdhsa_dx10_clamp 1
		.amdhsa_ieee_mode 1
		.amdhsa_fp16_overflow 0
		.amdhsa_tg_split 0
		.amdhsa_exception_fp_ieee_invalid_op 0
		.amdhsa_exception_fp_denorm_src 0
		.amdhsa_exception_fp_ieee_div_zero 0
		.amdhsa_exception_fp_ieee_overflow 0
		.amdhsa_exception_fp_ieee_underflow 0
		.amdhsa_exception_fp_ieee_inexact 0
		.amdhsa_exception_int_div_zero 0
	.end_amdhsa_kernel
	.section	.text._ZN7rocprim17ROCPRIM_400000_NS6detail17trampoline_kernelINS0_14default_configENS1_20scan_config_selectorIfEEZZNS1_9scan_implILNS1_25lookback_scan_determinismE0ELb1ELb1ES3_N6thrust23THRUST_200600_302600_NS6detail15normal_iteratorINS9_10device_ptrIfEEEENS9_16discard_iteratorINS9_11use_defaultEEEfNS9_4plusIvEEfEEDaPvRmT3_T4_T5_mT6_P12ihipStream_tbENKUlT_T0_E_clISt17integral_constantIbLb0EESW_IbLb1EEEEDaSS_ST_EUlSS_E_NS1_11comp_targetILNS1_3genE10ELNS1_11target_archE1200ELNS1_3gpuE4ELNS1_3repE0EEENS1_30default_config_static_selectorELNS0_4arch9wavefront6targetE1EEEvT1_,"axG",@progbits,_ZN7rocprim17ROCPRIM_400000_NS6detail17trampoline_kernelINS0_14default_configENS1_20scan_config_selectorIfEEZZNS1_9scan_implILNS1_25lookback_scan_determinismE0ELb1ELb1ES3_N6thrust23THRUST_200600_302600_NS6detail15normal_iteratorINS9_10device_ptrIfEEEENS9_16discard_iteratorINS9_11use_defaultEEEfNS9_4plusIvEEfEEDaPvRmT3_T4_T5_mT6_P12ihipStream_tbENKUlT_T0_E_clISt17integral_constantIbLb0EESW_IbLb1EEEEDaSS_ST_EUlSS_E_NS1_11comp_targetILNS1_3genE10ELNS1_11target_archE1200ELNS1_3gpuE4ELNS1_3repE0EEENS1_30default_config_static_selectorELNS0_4arch9wavefront6targetE1EEEvT1_,comdat
.Lfunc_end5138:
	.size	_ZN7rocprim17ROCPRIM_400000_NS6detail17trampoline_kernelINS0_14default_configENS1_20scan_config_selectorIfEEZZNS1_9scan_implILNS1_25lookback_scan_determinismE0ELb1ELb1ES3_N6thrust23THRUST_200600_302600_NS6detail15normal_iteratorINS9_10device_ptrIfEEEENS9_16discard_iteratorINS9_11use_defaultEEEfNS9_4plusIvEEfEEDaPvRmT3_T4_T5_mT6_P12ihipStream_tbENKUlT_T0_E_clISt17integral_constantIbLb0EESW_IbLb1EEEEDaSS_ST_EUlSS_E_NS1_11comp_targetILNS1_3genE10ELNS1_11target_archE1200ELNS1_3gpuE4ELNS1_3repE0EEENS1_30default_config_static_selectorELNS0_4arch9wavefront6targetE1EEEvT1_, .Lfunc_end5138-_ZN7rocprim17ROCPRIM_400000_NS6detail17trampoline_kernelINS0_14default_configENS1_20scan_config_selectorIfEEZZNS1_9scan_implILNS1_25lookback_scan_determinismE0ELb1ELb1ES3_N6thrust23THRUST_200600_302600_NS6detail15normal_iteratorINS9_10device_ptrIfEEEENS9_16discard_iteratorINS9_11use_defaultEEEfNS9_4plusIvEEfEEDaPvRmT3_T4_T5_mT6_P12ihipStream_tbENKUlT_T0_E_clISt17integral_constantIbLb0EESW_IbLb1EEEEDaSS_ST_EUlSS_E_NS1_11comp_targetILNS1_3genE10ELNS1_11target_archE1200ELNS1_3gpuE4ELNS1_3repE0EEENS1_30default_config_static_selectorELNS0_4arch9wavefront6targetE1EEEvT1_
                                        ; -- End function
	.section	.AMDGPU.csdata,"",@progbits
; Kernel info:
; codeLenInByte = 0
; NumSgprs: 4
; NumVgprs: 0
; NumAgprs: 0
; TotalNumVgprs: 0
; ScratchSize: 0
; MemoryBound: 0
; FloatMode: 240
; IeeeMode: 1
; LDSByteSize: 0 bytes/workgroup (compile time only)
; SGPRBlocks: 0
; VGPRBlocks: 0
; NumSGPRsForWavesPerEU: 4
; NumVGPRsForWavesPerEU: 1
; AccumOffset: 4
; Occupancy: 8
; WaveLimiterHint : 0
; COMPUTE_PGM_RSRC2:SCRATCH_EN: 0
; COMPUTE_PGM_RSRC2:USER_SGPR: 6
; COMPUTE_PGM_RSRC2:TRAP_HANDLER: 0
; COMPUTE_PGM_RSRC2:TGID_X_EN: 1
; COMPUTE_PGM_RSRC2:TGID_Y_EN: 0
; COMPUTE_PGM_RSRC2:TGID_Z_EN: 0
; COMPUTE_PGM_RSRC2:TIDIG_COMP_CNT: 0
; COMPUTE_PGM_RSRC3_GFX90A:ACCUM_OFFSET: 0
; COMPUTE_PGM_RSRC3_GFX90A:TG_SPLIT: 0
	.section	.text._ZN7rocprim17ROCPRIM_400000_NS6detail17trampoline_kernelINS0_14default_configENS1_20scan_config_selectorIfEEZZNS1_9scan_implILNS1_25lookback_scan_determinismE0ELb1ELb1ES3_N6thrust23THRUST_200600_302600_NS6detail15normal_iteratorINS9_10device_ptrIfEEEENS9_16discard_iteratorINS9_11use_defaultEEEfNS9_4plusIvEEfEEDaPvRmT3_T4_T5_mT6_P12ihipStream_tbENKUlT_T0_E_clISt17integral_constantIbLb0EESW_IbLb1EEEEDaSS_ST_EUlSS_E_NS1_11comp_targetILNS1_3genE9ELNS1_11target_archE1100ELNS1_3gpuE3ELNS1_3repE0EEENS1_30default_config_static_selectorELNS0_4arch9wavefront6targetE1EEEvT1_,"axG",@progbits,_ZN7rocprim17ROCPRIM_400000_NS6detail17trampoline_kernelINS0_14default_configENS1_20scan_config_selectorIfEEZZNS1_9scan_implILNS1_25lookback_scan_determinismE0ELb1ELb1ES3_N6thrust23THRUST_200600_302600_NS6detail15normal_iteratorINS9_10device_ptrIfEEEENS9_16discard_iteratorINS9_11use_defaultEEEfNS9_4plusIvEEfEEDaPvRmT3_T4_T5_mT6_P12ihipStream_tbENKUlT_T0_E_clISt17integral_constantIbLb0EESW_IbLb1EEEEDaSS_ST_EUlSS_E_NS1_11comp_targetILNS1_3genE9ELNS1_11target_archE1100ELNS1_3gpuE3ELNS1_3repE0EEENS1_30default_config_static_selectorELNS0_4arch9wavefront6targetE1EEEvT1_,comdat
	.protected	_ZN7rocprim17ROCPRIM_400000_NS6detail17trampoline_kernelINS0_14default_configENS1_20scan_config_selectorIfEEZZNS1_9scan_implILNS1_25lookback_scan_determinismE0ELb1ELb1ES3_N6thrust23THRUST_200600_302600_NS6detail15normal_iteratorINS9_10device_ptrIfEEEENS9_16discard_iteratorINS9_11use_defaultEEEfNS9_4plusIvEEfEEDaPvRmT3_T4_T5_mT6_P12ihipStream_tbENKUlT_T0_E_clISt17integral_constantIbLb0EESW_IbLb1EEEEDaSS_ST_EUlSS_E_NS1_11comp_targetILNS1_3genE9ELNS1_11target_archE1100ELNS1_3gpuE3ELNS1_3repE0EEENS1_30default_config_static_selectorELNS0_4arch9wavefront6targetE1EEEvT1_ ; -- Begin function _ZN7rocprim17ROCPRIM_400000_NS6detail17trampoline_kernelINS0_14default_configENS1_20scan_config_selectorIfEEZZNS1_9scan_implILNS1_25lookback_scan_determinismE0ELb1ELb1ES3_N6thrust23THRUST_200600_302600_NS6detail15normal_iteratorINS9_10device_ptrIfEEEENS9_16discard_iteratorINS9_11use_defaultEEEfNS9_4plusIvEEfEEDaPvRmT3_T4_T5_mT6_P12ihipStream_tbENKUlT_T0_E_clISt17integral_constantIbLb0EESW_IbLb1EEEEDaSS_ST_EUlSS_E_NS1_11comp_targetILNS1_3genE9ELNS1_11target_archE1100ELNS1_3gpuE3ELNS1_3repE0EEENS1_30default_config_static_selectorELNS0_4arch9wavefront6targetE1EEEvT1_
	.globl	_ZN7rocprim17ROCPRIM_400000_NS6detail17trampoline_kernelINS0_14default_configENS1_20scan_config_selectorIfEEZZNS1_9scan_implILNS1_25lookback_scan_determinismE0ELb1ELb1ES3_N6thrust23THRUST_200600_302600_NS6detail15normal_iteratorINS9_10device_ptrIfEEEENS9_16discard_iteratorINS9_11use_defaultEEEfNS9_4plusIvEEfEEDaPvRmT3_T4_T5_mT6_P12ihipStream_tbENKUlT_T0_E_clISt17integral_constantIbLb0EESW_IbLb1EEEEDaSS_ST_EUlSS_E_NS1_11comp_targetILNS1_3genE9ELNS1_11target_archE1100ELNS1_3gpuE3ELNS1_3repE0EEENS1_30default_config_static_selectorELNS0_4arch9wavefront6targetE1EEEvT1_
	.p2align	8
	.type	_ZN7rocprim17ROCPRIM_400000_NS6detail17trampoline_kernelINS0_14default_configENS1_20scan_config_selectorIfEEZZNS1_9scan_implILNS1_25lookback_scan_determinismE0ELb1ELb1ES3_N6thrust23THRUST_200600_302600_NS6detail15normal_iteratorINS9_10device_ptrIfEEEENS9_16discard_iteratorINS9_11use_defaultEEEfNS9_4plusIvEEfEEDaPvRmT3_T4_T5_mT6_P12ihipStream_tbENKUlT_T0_E_clISt17integral_constantIbLb0EESW_IbLb1EEEEDaSS_ST_EUlSS_E_NS1_11comp_targetILNS1_3genE9ELNS1_11target_archE1100ELNS1_3gpuE3ELNS1_3repE0EEENS1_30default_config_static_selectorELNS0_4arch9wavefront6targetE1EEEvT1_,@function
_ZN7rocprim17ROCPRIM_400000_NS6detail17trampoline_kernelINS0_14default_configENS1_20scan_config_selectorIfEEZZNS1_9scan_implILNS1_25lookback_scan_determinismE0ELb1ELb1ES3_N6thrust23THRUST_200600_302600_NS6detail15normal_iteratorINS9_10device_ptrIfEEEENS9_16discard_iteratorINS9_11use_defaultEEEfNS9_4plusIvEEfEEDaPvRmT3_T4_T5_mT6_P12ihipStream_tbENKUlT_T0_E_clISt17integral_constantIbLb0EESW_IbLb1EEEEDaSS_ST_EUlSS_E_NS1_11comp_targetILNS1_3genE9ELNS1_11target_archE1100ELNS1_3gpuE3ELNS1_3repE0EEENS1_30default_config_static_selectorELNS0_4arch9wavefront6targetE1EEEvT1_: ; @_ZN7rocprim17ROCPRIM_400000_NS6detail17trampoline_kernelINS0_14default_configENS1_20scan_config_selectorIfEEZZNS1_9scan_implILNS1_25lookback_scan_determinismE0ELb1ELb1ES3_N6thrust23THRUST_200600_302600_NS6detail15normal_iteratorINS9_10device_ptrIfEEEENS9_16discard_iteratorINS9_11use_defaultEEEfNS9_4plusIvEEfEEDaPvRmT3_T4_T5_mT6_P12ihipStream_tbENKUlT_T0_E_clISt17integral_constantIbLb0EESW_IbLb1EEEEDaSS_ST_EUlSS_E_NS1_11comp_targetILNS1_3genE9ELNS1_11target_archE1100ELNS1_3gpuE3ELNS1_3repE0EEENS1_30default_config_static_selectorELNS0_4arch9wavefront6targetE1EEEvT1_
; %bb.0:
	.section	.rodata,"a",@progbits
	.p2align	6, 0x0
	.amdhsa_kernel _ZN7rocprim17ROCPRIM_400000_NS6detail17trampoline_kernelINS0_14default_configENS1_20scan_config_selectorIfEEZZNS1_9scan_implILNS1_25lookback_scan_determinismE0ELb1ELb1ES3_N6thrust23THRUST_200600_302600_NS6detail15normal_iteratorINS9_10device_ptrIfEEEENS9_16discard_iteratorINS9_11use_defaultEEEfNS9_4plusIvEEfEEDaPvRmT3_T4_T5_mT6_P12ihipStream_tbENKUlT_T0_E_clISt17integral_constantIbLb0EESW_IbLb1EEEEDaSS_ST_EUlSS_E_NS1_11comp_targetILNS1_3genE9ELNS1_11target_archE1100ELNS1_3gpuE3ELNS1_3repE0EEENS1_30default_config_static_selectorELNS0_4arch9wavefront6targetE1EEEvT1_
		.amdhsa_group_segment_fixed_size 0
		.amdhsa_private_segment_fixed_size 0
		.amdhsa_kernarg_size 104
		.amdhsa_user_sgpr_count 6
		.amdhsa_user_sgpr_private_segment_buffer 1
		.amdhsa_user_sgpr_dispatch_ptr 0
		.amdhsa_user_sgpr_queue_ptr 0
		.amdhsa_user_sgpr_kernarg_segment_ptr 1
		.amdhsa_user_sgpr_dispatch_id 0
		.amdhsa_user_sgpr_flat_scratch_init 0
		.amdhsa_user_sgpr_kernarg_preload_length 0
		.amdhsa_user_sgpr_kernarg_preload_offset 0
		.amdhsa_user_sgpr_private_segment_size 0
		.amdhsa_uses_dynamic_stack 0
		.amdhsa_system_sgpr_private_segment_wavefront_offset 0
		.amdhsa_system_sgpr_workgroup_id_x 1
		.amdhsa_system_sgpr_workgroup_id_y 0
		.amdhsa_system_sgpr_workgroup_id_z 0
		.amdhsa_system_sgpr_workgroup_info 0
		.amdhsa_system_vgpr_workitem_id 0
		.amdhsa_next_free_vgpr 1
		.amdhsa_next_free_sgpr 0
		.amdhsa_accum_offset 4
		.amdhsa_reserve_vcc 0
		.amdhsa_reserve_flat_scratch 0
		.amdhsa_float_round_mode_32 0
		.amdhsa_float_round_mode_16_64 0
		.amdhsa_float_denorm_mode_32 3
		.amdhsa_float_denorm_mode_16_64 3
		.amdhsa_dx10_clamp 1
		.amdhsa_ieee_mode 1
		.amdhsa_fp16_overflow 0
		.amdhsa_tg_split 0
		.amdhsa_exception_fp_ieee_invalid_op 0
		.amdhsa_exception_fp_denorm_src 0
		.amdhsa_exception_fp_ieee_div_zero 0
		.amdhsa_exception_fp_ieee_overflow 0
		.amdhsa_exception_fp_ieee_underflow 0
		.amdhsa_exception_fp_ieee_inexact 0
		.amdhsa_exception_int_div_zero 0
	.end_amdhsa_kernel
	.section	.text._ZN7rocprim17ROCPRIM_400000_NS6detail17trampoline_kernelINS0_14default_configENS1_20scan_config_selectorIfEEZZNS1_9scan_implILNS1_25lookback_scan_determinismE0ELb1ELb1ES3_N6thrust23THRUST_200600_302600_NS6detail15normal_iteratorINS9_10device_ptrIfEEEENS9_16discard_iteratorINS9_11use_defaultEEEfNS9_4plusIvEEfEEDaPvRmT3_T4_T5_mT6_P12ihipStream_tbENKUlT_T0_E_clISt17integral_constantIbLb0EESW_IbLb1EEEEDaSS_ST_EUlSS_E_NS1_11comp_targetILNS1_3genE9ELNS1_11target_archE1100ELNS1_3gpuE3ELNS1_3repE0EEENS1_30default_config_static_selectorELNS0_4arch9wavefront6targetE1EEEvT1_,"axG",@progbits,_ZN7rocprim17ROCPRIM_400000_NS6detail17trampoline_kernelINS0_14default_configENS1_20scan_config_selectorIfEEZZNS1_9scan_implILNS1_25lookback_scan_determinismE0ELb1ELb1ES3_N6thrust23THRUST_200600_302600_NS6detail15normal_iteratorINS9_10device_ptrIfEEEENS9_16discard_iteratorINS9_11use_defaultEEEfNS9_4plusIvEEfEEDaPvRmT3_T4_T5_mT6_P12ihipStream_tbENKUlT_T0_E_clISt17integral_constantIbLb0EESW_IbLb1EEEEDaSS_ST_EUlSS_E_NS1_11comp_targetILNS1_3genE9ELNS1_11target_archE1100ELNS1_3gpuE3ELNS1_3repE0EEENS1_30default_config_static_selectorELNS0_4arch9wavefront6targetE1EEEvT1_,comdat
.Lfunc_end5139:
	.size	_ZN7rocprim17ROCPRIM_400000_NS6detail17trampoline_kernelINS0_14default_configENS1_20scan_config_selectorIfEEZZNS1_9scan_implILNS1_25lookback_scan_determinismE0ELb1ELb1ES3_N6thrust23THRUST_200600_302600_NS6detail15normal_iteratorINS9_10device_ptrIfEEEENS9_16discard_iteratorINS9_11use_defaultEEEfNS9_4plusIvEEfEEDaPvRmT3_T4_T5_mT6_P12ihipStream_tbENKUlT_T0_E_clISt17integral_constantIbLb0EESW_IbLb1EEEEDaSS_ST_EUlSS_E_NS1_11comp_targetILNS1_3genE9ELNS1_11target_archE1100ELNS1_3gpuE3ELNS1_3repE0EEENS1_30default_config_static_selectorELNS0_4arch9wavefront6targetE1EEEvT1_, .Lfunc_end5139-_ZN7rocprim17ROCPRIM_400000_NS6detail17trampoline_kernelINS0_14default_configENS1_20scan_config_selectorIfEEZZNS1_9scan_implILNS1_25lookback_scan_determinismE0ELb1ELb1ES3_N6thrust23THRUST_200600_302600_NS6detail15normal_iteratorINS9_10device_ptrIfEEEENS9_16discard_iteratorINS9_11use_defaultEEEfNS9_4plusIvEEfEEDaPvRmT3_T4_T5_mT6_P12ihipStream_tbENKUlT_T0_E_clISt17integral_constantIbLb0EESW_IbLb1EEEEDaSS_ST_EUlSS_E_NS1_11comp_targetILNS1_3genE9ELNS1_11target_archE1100ELNS1_3gpuE3ELNS1_3repE0EEENS1_30default_config_static_selectorELNS0_4arch9wavefront6targetE1EEEvT1_
                                        ; -- End function
	.section	.AMDGPU.csdata,"",@progbits
; Kernel info:
; codeLenInByte = 0
; NumSgprs: 4
; NumVgprs: 0
; NumAgprs: 0
; TotalNumVgprs: 0
; ScratchSize: 0
; MemoryBound: 0
; FloatMode: 240
; IeeeMode: 1
; LDSByteSize: 0 bytes/workgroup (compile time only)
; SGPRBlocks: 0
; VGPRBlocks: 0
; NumSGPRsForWavesPerEU: 4
; NumVGPRsForWavesPerEU: 1
; AccumOffset: 4
; Occupancy: 8
; WaveLimiterHint : 0
; COMPUTE_PGM_RSRC2:SCRATCH_EN: 0
; COMPUTE_PGM_RSRC2:USER_SGPR: 6
; COMPUTE_PGM_RSRC2:TRAP_HANDLER: 0
; COMPUTE_PGM_RSRC2:TGID_X_EN: 1
; COMPUTE_PGM_RSRC2:TGID_Y_EN: 0
; COMPUTE_PGM_RSRC2:TGID_Z_EN: 0
; COMPUTE_PGM_RSRC2:TIDIG_COMP_CNT: 0
; COMPUTE_PGM_RSRC3_GFX90A:ACCUM_OFFSET: 0
; COMPUTE_PGM_RSRC3_GFX90A:TG_SPLIT: 0
	.section	.text._ZN7rocprim17ROCPRIM_400000_NS6detail17trampoline_kernelINS0_14default_configENS1_20scan_config_selectorIfEEZZNS1_9scan_implILNS1_25lookback_scan_determinismE0ELb1ELb1ES3_N6thrust23THRUST_200600_302600_NS6detail15normal_iteratorINS9_10device_ptrIfEEEENS9_16discard_iteratorINS9_11use_defaultEEEfNS9_4plusIvEEfEEDaPvRmT3_T4_T5_mT6_P12ihipStream_tbENKUlT_T0_E_clISt17integral_constantIbLb0EESW_IbLb1EEEEDaSS_ST_EUlSS_E_NS1_11comp_targetILNS1_3genE8ELNS1_11target_archE1030ELNS1_3gpuE2ELNS1_3repE0EEENS1_30default_config_static_selectorELNS0_4arch9wavefront6targetE1EEEvT1_,"axG",@progbits,_ZN7rocprim17ROCPRIM_400000_NS6detail17trampoline_kernelINS0_14default_configENS1_20scan_config_selectorIfEEZZNS1_9scan_implILNS1_25lookback_scan_determinismE0ELb1ELb1ES3_N6thrust23THRUST_200600_302600_NS6detail15normal_iteratorINS9_10device_ptrIfEEEENS9_16discard_iteratorINS9_11use_defaultEEEfNS9_4plusIvEEfEEDaPvRmT3_T4_T5_mT6_P12ihipStream_tbENKUlT_T0_E_clISt17integral_constantIbLb0EESW_IbLb1EEEEDaSS_ST_EUlSS_E_NS1_11comp_targetILNS1_3genE8ELNS1_11target_archE1030ELNS1_3gpuE2ELNS1_3repE0EEENS1_30default_config_static_selectorELNS0_4arch9wavefront6targetE1EEEvT1_,comdat
	.protected	_ZN7rocprim17ROCPRIM_400000_NS6detail17trampoline_kernelINS0_14default_configENS1_20scan_config_selectorIfEEZZNS1_9scan_implILNS1_25lookback_scan_determinismE0ELb1ELb1ES3_N6thrust23THRUST_200600_302600_NS6detail15normal_iteratorINS9_10device_ptrIfEEEENS9_16discard_iteratorINS9_11use_defaultEEEfNS9_4plusIvEEfEEDaPvRmT3_T4_T5_mT6_P12ihipStream_tbENKUlT_T0_E_clISt17integral_constantIbLb0EESW_IbLb1EEEEDaSS_ST_EUlSS_E_NS1_11comp_targetILNS1_3genE8ELNS1_11target_archE1030ELNS1_3gpuE2ELNS1_3repE0EEENS1_30default_config_static_selectorELNS0_4arch9wavefront6targetE1EEEvT1_ ; -- Begin function _ZN7rocprim17ROCPRIM_400000_NS6detail17trampoline_kernelINS0_14default_configENS1_20scan_config_selectorIfEEZZNS1_9scan_implILNS1_25lookback_scan_determinismE0ELb1ELb1ES3_N6thrust23THRUST_200600_302600_NS6detail15normal_iteratorINS9_10device_ptrIfEEEENS9_16discard_iteratorINS9_11use_defaultEEEfNS9_4plusIvEEfEEDaPvRmT3_T4_T5_mT6_P12ihipStream_tbENKUlT_T0_E_clISt17integral_constantIbLb0EESW_IbLb1EEEEDaSS_ST_EUlSS_E_NS1_11comp_targetILNS1_3genE8ELNS1_11target_archE1030ELNS1_3gpuE2ELNS1_3repE0EEENS1_30default_config_static_selectorELNS0_4arch9wavefront6targetE1EEEvT1_
	.globl	_ZN7rocprim17ROCPRIM_400000_NS6detail17trampoline_kernelINS0_14default_configENS1_20scan_config_selectorIfEEZZNS1_9scan_implILNS1_25lookback_scan_determinismE0ELb1ELb1ES3_N6thrust23THRUST_200600_302600_NS6detail15normal_iteratorINS9_10device_ptrIfEEEENS9_16discard_iteratorINS9_11use_defaultEEEfNS9_4plusIvEEfEEDaPvRmT3_T4_T5_mT6_P12ihipStream_tbENKUlT_T0_E_clISt17integral_constantIbLb0EESW_IbLb1EEEEDaSS_ST_EUlSS_E_NS1_11comp_targetILNS1_3genE8ELNS1_11target_archE1030ELNS1_3gpuE2ELNS1_3repE0EEENS1_30default_config_static_selectorELNS0_4arch9wavefront6targetE1EEEvT1_
	.p2align	8
	.type	_ZN7rocprim17ROCPRIM_400000_NS6detail17trampoline_kernelINS0_14default_configENS1_20scan_config_selectorIfEEZZNS1_9scan_implILNS1_25lookback_scan_determinismE0ELb1ELb1ES3_N6thrust23THRUST_200600_302600_NS6detail15normal_iteratorINS9_10device_ptrIfEEEENS9_16discard_iteratorINS9_11use_defaultEEEfNS9_4plusIvEEfEEDaPvRmT3_T4_T5_mT6_P12ihipStream_tbENKUlT_T0_E_clISt17integral_constantIbLb0EESW_IbLb1EEEEDaSS_ST_EUlSS_E_NS1_11comp_targetILNS1_3genE8ELNS1_11target_archE1030ELNS1_3gpuE2ELNS1_3repE0EEENS1_30default_config_static_selectorELNS0_4arch9wavefront6targetE1EEEvT1_,@function
_ZN7rocprim17ROCPRIM_400000_NS6detail17trampoline_kernelINS0_14default_configENS1_20scan_config_selectorIfEEZZNS1_9scan_implILNS1_25lookback_scan_determinismE0ELb1ELb1ES3_N6thrust23THRUST_200600_302600_NS6detail15normal_iteratorINS9_10device_ptrIfEEEENS9_16discard_iteratorINS9_11use_defaultEEEfNS9_4plusIvEEfEEDaPvRmT3_T4_T5_mT6_P12ihipStream_tbENKUlT_T0_E_clISt17integral_constantIbLb0EESW_IbLb1EEEEDaSS_ST_EUlSS_E_NS1_11comp_targetILNS1_3genE8ELNS1_11target_archE1030ELNS1_3gpuE2ELNS1_3repE0EEENS1_30default_config_static_selectorELNS0_4arch9wavefront6targetE1EEEvT1_: ; @_ZN7rocprim17ROCPRIM_400000_NS6detail17trampoline_kernelINS0_14default_configENS1_20scan_config_selectorIfEEZZNS1_9scan_implILNS1_25lookback_scan_determinismE0ELb1ELb1ES3_N6thrust23THRUST_200600_302600_NS6detail15normal_iteratorINS9_10device_ptrIfEEEENS9_16discard_iteratorINS9_11use_defaultEEEfNS9_4plusIvEEfEEDaPvRmT3_T4_T5_mT6_P12ihipStream_tbENKUlT_T0_E_clISt17integral_constantIbLb0EESW_IbLb1EEEEDaSS_ST_EUlSS_E_NS1_11comp_targetILNS1_3genE8ELNS1_11target_archE1030ELNS1_3gpuE2ELNS1_3repE0EEENS1_30default_config_static_selectorELNS0_4arch9wavefront6targetE1EEEvT1_
; %bb.0:
	.section	.rodata,"a",@progbits
	.p2align	6, 0x0
	.amdhsa_kernel _ZN7rocprim17ROCPRIM_400000_NS6detail17trampoline_kernelINS0_14default_configENS1_20scan_config_selectorIfEEZZNS1_9scan_implILNS1_25lookback_scan_determinismE0ELb1ELb1ES3_N6thrust23THRUST_200600_302600_NS6detail15normal_iteratorINS9_10device_ptrIfEEEENS9_16discard_iteratorINS9_11use_defaultEEEfNS9_4plusIvEEfEEDaPvRmT3_T4_T5_mT6_P12ihipStream_tbENKUlT_T0_E_clISt17integral_constantIbLb0EESW_IbLb1EEEEDaSS_ST_EUlSS_E_NS1_11comp_targetILNS1_3genE8ELNS1_11target_archE1030ELNS1_3gpuE2ELNS1_3repE0EEENS1_30default_config_static_selectorELNS0_4arch9wavefront6targetE1EEEvT1_
		.amdhsa_group_segment_fixed_size 0
		.amdhsa_private_segment_fixed_size 0
		.amdhsa_kernarg_size 104
		.amdhsa_user_sgpr_count 6
		.amdhsa_user_sgpr_private_segment_buffer 1
		.amdhsa_user_sgpr_dispatch_ptr 0
		.amdhsa_user_sgpr_queue_ptr 0
		.amdhsa_user_sgpr_kernarg_segment_ptr 1
		.amdhsa_user_sgpr_dispatch_id 0
		.amdhsa_user_sgpr_flat_scratch_init 0
		.amdhsa_user_sgpr_kernarg_preload_length 0
		.amdhsa_user_sgpr_kernarg_preload_offset 0
		.amdhsa_user_sgpr_private_segment_size 0
		.amdhsa_uses_dynamic_stack 0
		.amdhsa_system_sgpr_private_segment_wavefront_offset 0
		.amdhsa_system_sgpr_workgroup_id_x 1
		.amdhsa_system_sgpr_workgroup_id_y 0
		.amdhsa_system_sgpr_workgroup_id_z 0
		.amdhsa_system_sgpr_workgroup_info 0
		.amdhsa_system_vgpr_workitem_id 0
		.amdhsa_next_free_vgpr 1
		.amdhsa_next_free_sgpr 0
		.amdhsa_accum_offset 4
		.amdhsa_reserve_vcc 0
		.amdhsa_reserve_flat_scratch 0
		.amdhsa_float_round_mode_32 0
		.amdhsa_float_round_mode_16_64 0
		.amdhsa_float_denorm_mode_32 3
		.amdhsa_float_denorm_mode_16_64 3
		.amdhsa_dx10_clamp 1
		.amdhsa_ieee_mode 1
		.amdhsa_fp16_overflow 0
		.amdhsa_tg_split 0
		.amdhsa_exception_fp_ieee_invalid_op 0
		.amdhsa_exception_fp_denorm_src 0
		.amdhsa_exception_fp_ieee_div_zero 0
		.amdhsa_exception_fp_ieee_overflow 0
		.amdhsa_exception_fp_ieee_underflow 0
		.amdhsa_exception_fp_ieee_inexact 0
		.amdhsa_exception_int_div_zero 0
	.end_amdhsa_kernel
	.section	.text._ZN7rocprim17ROCPRIM_400000_NS6detail17trampoline_kernelINS0_14default_configENS1_20scan_config_selectorIfEEZZNS1_9scan_implILNS1_25lookback_scan_determinismE0ELb1ELb1ES3_N6thrust23THRUST_200600_302600_NS6detail15normal_iteratorINS9_10device_ptrIfEEEENS9_16discard_iteratorINS9_11use_defaultEEEfNS9_4plusIvEEfEEDaPvRmT3_T4_T5_mT6_P12ihipStream_tbENKUlT_T0_E_clISt17integral_constantIbLb0EESW_IbLb1EEEEDaSS_ST_EUlSS_E_NS1_11comp_targetILNS1_3genE8ELNS1_11target_archE1030ELNS1_3gpuE2ELNS1_3repE0EEENS1_30default_config_static_selectorELNS0_4arch9wavefront6targetE1EEEvT1_,"axG",@progbits,_ZN7rocprim17ROCPRIM_400000_NS6detail17trampoline_kernelINS0_14default_configENS1_20scan_config_selectorIfEEZZNS1_9scan_implILNS1_25lookback_scan_determinismE0ELb1ELb1ES3_N6thrust23THRUST_200600_302600_NS6detail15normal_iteratorINS9_10device_ptrIfEEEENS9_16discard_iteratorINS9_11use_defaultEEEfNS9_4plusIvEEfEEDaPvRmT3_T4_T5_mT6_P12ihipStream_tbENKUlT_T0_E_clISt17integral_constantIbLb0EESW_IbLb1EEEEDaSS_ST_EUlSS_E_NS1_11comp_targetILNS1_3genE8ELNS1_11target_archE1030ELNS1_3gpuE2ELNS1_3repE0EEENS1_30default_config_static_selectorELNS0_4arch9wavefront6targetE1EEEvT1_,comdat
.Lfunc_end5140:
	.size	_ZN7rocprim17ROCPRIM_400000_NS6detail17trampoline_kernelINS0_14default_configENS1_20scan_config_selectorIfEEZZNS1_9scan_implILNS1_25lookback_scan_determinismE0ELb1ELb1ES3_N6thrust23THRUST_200600_302600_NS6detail15normal_iteratorINS9_10device_ptrIfEEEENS9_16discard_iteratorINS9_11use_defaultEEEfNS9_4plusIvEEfEEDaPvRmT3_T4_T5_mT6_P12ihipStream_tbENKUlT_T0_E_clISt17integral_constantIbLb0EESW_IbLb1EEEEDaSS_ST_EUlSS_E_NS1_11comp_targetILNS1_3genE8ELNS1_11target_archE1030ELNS1_3gpuE2ELNS1_3repE0EEENS1_30default_config_static_selectorELNS0_4arch9wavefront6targetE1EEEvT1_, .Lfunc_end5140-_ZN7rocprim17ROCPRIM_400000_NS6detail17trampoline_kernelINS0_14default_configENS1_20scan_config_selectorIfEEZZNS1_9scan_implILNS1_25lookback_scan_determinismE0ELb1ELb1ES3_N6thrust23THRUST_200600_302600_NS6detail15normal_iteratorINS9_10device_ptrIfEEEENS9_16discard_iteratorINS9_11use_defaultEEEfNS9_4plusIvEEfEEDaPvRmT3_T4_T5_mT6_P12ihipStream_tbENKUlT_T0_E_clISt17integral_constantIbLb0EESW_IbLb1EEEEDaSS_ST_EUlSS_E_NS1_11comp_targetILNS1_3genE8ELNS1_11target_archE1030ELNS1_3gpuE2ELNS1_3repE0EEENS1_30default_config_static_selectorELNS0_4arch9wavefront6targetE1EEEvT1_
                                        ; -- End function
	.section	.AMDGPU.csdata,"",@progbits
; Kernel info:
; codeLenInByte = 0
; NumSgprs: 4
; NumVgprs: 0
; NumAgprs: 0
; TotalNumVgprs: 0
; ScratchSize: 0
; MemoryBound: 0
; FloatMode: 240
; IeeeMode: 1
; LDSByteSize: 0 bytes/workgroup (compile time only)
; SGPRBlocks: 0
; VGPRBlocks: 0
; NumSGPRsForWavesPerEU: 4
; NumVGPRsForWavesPerEU: 1
; AccumOffset: 4
; Occupancy: 8
; WaveLimiterHint : 0
; COMPUTE_PGM_RSRC2:SCRATCH_EN: 0
; COMPUTE_PGM_RSRC2:USER_SGPR: 6
; COMPUTE_PGM_RSRC2:TRAP_HANDLER: 0
; COMPUTE_PGM_RSRC2:TGID_X_EN: 1
; COMPUTE_PGM_RSRC2:TGID_Y_EN: 0
; COMPUTE_PGM_RSRC2:TGID_Z_EN: 0
; COMPUTE_PGM_RSRC2:TIDIG_COMP_CNT: 0
; COMPUTE_PGM_RSRC3_GFX90A:ACCUM_OFFSET: 0
; COMPUTE_PGM_RSRC3_GFX90A:TG_SPLIT: 0
	.section	.text._ZN7rocprim17ROCPRIM_400000_NS6detail17trampoline_kernelINS0_14default_configENS1_20scan_config_selectorIfEEZZNS1_9scan_implILNS1_25lookback_scan_determinismE0ELb1ELb1ES3_N6thrust23THRUST_200600_302600_NS6detail15normal_iteratorINS9_10device_ptrIfEEEENS9_16discard_iteratorINS9_11use_defaultEEEfNS9_4plusIvEEfEEDaPvRmT3_T4_T5_mT6_P12ihipStream_tbENKUlT_T0_E_clISt17integral_constantIbLb0EESW_IbLb1EEEEDaSS_ST_EUlSS_E0_NS1_11comp_targetILNS1_3genE0ELNS1_11target_archE4294967295ELNS1_3gpuE0ELNS1_3repE0EEENS1_30default_config_static_selectorELNS0_4arch9wavefront6targetE1EEEvT1_,"axG",@progbits,_ZN7rocprim17ROCPRIM_400000_NS6detail17trampoline_kernelINS0_14default_configENS1_20scan_config_selectorIfEEZZNS1_9scan_implILNS1_25lookback_scan_determinismE0ELb1ELb1ES3_N6thrust23THRUST_200600_302600_NS6detail15normal_iteratorINS9_10device_ptrIfEEEENS9_16discard_iteratorINS9_11use_defaultEEEfNS9_4plusIvEEfEEDaPvRmT3_T4_T5_mT6_P12ihipStream_tbENKUlT_T0_E_clISt17integral_constantIbLb0EESW_IbLb1EEEEDaSS_ST_EUlSS_E0_NS1_11comp_targetILNS1_3genE0ELNS1_11target_archE4294967295ELNS1_3gpuE0ELNS1_3repE0EEENS1_30default_config_static_selectorELNS0_4arch9wavefront6targetE1EEEvT1_,comdat
	.protected	_ZN7rocprim17ROCPRIM_400000_NS6detail17trampoline_kernelINS0_14default_configENS1_20scan_config_selectorIfEEZZNS1_9scan_implILNS1_25lookback_scan_determinismE0ELb1ELb1ES3_N6thrust23THRUST_200600_302600_NS6detail15normal_iteratorINS9_10device_ptrIfEEEENS9_16discard_iteratorINS9_11use_defaultEEEfNS9_4plusIvEEfEEDaPvRmT3_T4_T5_mT6_P12ihipStream_tbENKUlT_T0_E_clISt17integral_constantIbLb0EESW_IbLb1EEEEDaSS_ST_EUlSS_E0_NS1_11comp_targetILNS1_3genE0ELNS1_11target_archE4294967295ELNS1_3gpuE0ELNS1_3repE0EEENS1_30default_config_static_selectorELNS0_4arch9wavefront6targetE1EEEvT1_ ; -- Begin function _ZN7rocprim17ROCPRIM_400000_NS6detail17trampoline_kernelINS0_14default_configENS1_20scan_config_selectorIfEEZZNS1_9scan_implILNS1_25lookback_scan_determinismE0ELb1ELb1ES3_N6thrust23THRUST_200600_302600_NS6detail15normal_iteratorINS9_10device_ptrIfEEEENS9_16discard_iteratorINS9_11use_defaultEEEfNS9_4plusIvEEfEEDaPvRmT3_T4_T5_mT6_P12ihipStream_tbENKUlT_T0_E_clISt17integral_constantIbLb0EESW_IbLb1EEEEDaSS_ST_EUlSS_E0_NS1_11comp_targetILNS1_3genE0ELNS1_11target_archE4294967295ELNS1_3gpuE0ELNS1_3repE0EEENS1_30default_config_static_selectorELNS0_4arch9wavefront6targetE1EEEvT1_
	.globl	_ZN7rocprim17ROCPRIM_400000_NS6detail17trampoline_kernelINS0_14default_configENS1_20scan_config_selectorIfEEZZNS1_9scan_implILNS1_25lookback_scan_determinismE0ELb1ELb1ES3_N6thrust23THRUST_200600_302600_NS6detail15normal_iteratorINS9_10device_ptrIfEEEENS9_16discard_iteratorINS9_11use_defaultEEEfNS9_4plusIvEEfEEDaPvRmT3_T4_T5_mT6_P12ihipStream_tbENKUlT_T0_E_clISt17integral_constantIbLb0EESW_IbLb1EEEEDaSS_ST_EUlSS_E0_NS1_11comp_targetILNS1_3genE0ELNS1_11target_archE4294967295ELNS1_3gpuE0ELNS1_3repE0EEENS1_30default_config_static_selectorELNS0_4arch9wavefront6targetE1EEEvT1_
	.p2align	8
	.type	_ZN7rocprim17ROCPRIM_400000_NS6detail17trampoline_kernelINS0_14default_configENS1_20scan_config_selectorIfEEZZNS1_9scan_implILNS1_25lookback_scan_determinismE0ELb1ELb1ES3_N6thrust23THRUST_200600_302600_NS6detail15normal_iteratorINS9_10device_ptrIfEEEENS9_16discard_iteratorINS9_11use_defaultEEEfNS9_4plusIvEEfEEDaPvRmT3_T4_T5_mT6_P12ihipStream_tbENKUlT_T0_E_clISt17integral_constantIbLb0EESW_IbLb1EEEEDaSS_ST_EUlSS_E0_NS1_11comp_targetILNS1_3genE0ELNS1_11target_archE4294967295ELNS1_3gpuE0ELNS1_3repE0EEENS1_30default_config_static_selectorELNS0_4arch9wavefront6targetE1EEEvT1_,@function
_ZN7rocprim17ROCPRIM_400000_NS6detail17trampoline_kernelINS0_14default_configENS1_20scan_config_selectorIfEEZZNS1_9scan_implILNS1_25lookback_scan_determinismE0ELb1ELb1ES3_N6thrust23THRUST_200600_302600_NS6detail15normal_iteratorINS9_10device_ptrIfEEEENS9_16discard_iteratorINS9_11use_defaultEEEfNS9_4plusIvEEfEEDaPvRmT3_T4_T5_mT6_P12ihipStream_tbENKUlT_T0_E_clISt17integral_constantIbLb0EESW_IbLb1EEEEDaSS_ST_EUlSS_E0_NS1_11comp_targetILNS1_3genE0ELNS1_11target_archE4294967295ELNS1_3gpuE0ELNS1_3repE0EEENS1_30default_config_static_selectorELNS0_4arch9wavefront6targetE1EEEvT1_: ; @_ZN7rocprim17ROCPRIM_400000_NS6detail17trampoline_kernelINS0_14default_configENS1_20scan_config_selectorIfEEZZNS1_9scan_implILNS1_25lookback_scan_determinismE0ELb1ELb1ES3_N6thrust23THRUST_200600_302600_NS6detail15normal_iteratorINS9_10device_ptrIfEEEENS9_16discard_iteratorINS9_11use_defaultEEEfNS9_4plusIvEEfEEDaPvRmT3_T4_T5_mT6_P12ihipStream_tbENKUlT_T0_E_clISt17integral_constantIbLb0EESW_IbLb1EEEEDaSS_ST_EUlSS_E0_NS1_11comp_targetILNS1_3genE0ELNS1_11target_archE4294967295ELNS1_3gpuE0ELNS1_3repE0EEENS1_30default_config_static_selectorELNS0_4arch9wavefront6targetE1EEEvT1_
; %bb.0:
	.section	.rodata,"a",@progbits
	.p2align	6, 0x0
	.amdhsa_kernel _ZN7rocprim17ROCPRIM_400000_NS6detail17trampoline_kernelINS0_14default_configENS1_20scan_config_selectorIfEEZZNS1_9scan_implILNS1_25lookback_scan_determinismE0ELb1ELb1ES3_N6thrust23THRUST_200600_302600_NS6detail15normal_iteratorINS9_10device_ptrIfEEEENS9_16discard_iteratorINS9_11use_defaultEEEfNS9_4plusIvEEfEEDaPvRmT3_T4_T5_mT6_P12ihipStream_tbENKUlT_T0_E_clISt17integral_constantIbLb0EESW_IbLb1EEEEDaSS_ST_EUlSS_E0_NS1_11comp_targetILNS1_3genE0ELNS1_11target_archE4294967295ELNS1_3gpuE0ELNS1_3repE0EEENS1_30default_config_static_selectorELNS0_4arch9wavefront6targetE1EEEvT1_
		.amdhsa_group_segment_fixed_size 0
		.amdhsa_private_segment_fixed_size 0
		.amdhsa_kernarg_size 40
		.amdhsa_user_sgpr_count 6
		.amdhsa_user_sgpr_private_segment_buffer 1
		.amdhsa_user_sgpr_dispatch_ptr 0
		.amdhsa_user_sgpr_queue_ptr 0
		.amdhsa_user_sgpr_kernarg_segment_ptr 1
		.amdhsa_user_sgpr_dispatch_id 0
		.amdhsa_user_sgpr_flat_scratch_init 0
		.amdhsa_user_sgpr_kernarg_preload_length 0
		.amdhsa_user_sgpr_kernarg_preload_offset 0
		.amdhsa_user_sgpr_private_segment_size 0
		.amdhsa_uses_dynamic_stack 0
		.amdhsa_system_sgpr_private_segment_wavefront_offset 0
		.amdhsa_system_sgpr_workgroup_id_x 1
		.amdhsa_system_sgpr_workgroup_id_y 0
		.amdhsa_system_sgpr_workgroup_id_z 0
		.amdhsa_system_sgpr_workgroup_info 0
		.amdhsa_system_vgpr_workitem_id 0
		.amdhsa_next_free_vgpr 1
		.amdhsa_next_free_sgpr 0
		.amdhsa_accum_offset 4
		.amdhsa_reserve_vcc 0
		.amdhsa_reserve_flat_scratch 0
		.amdhsa_float_round_mode_32 0
		.amdhsa_float_round_mode_16_64 0
		.amdhsa_float_denorm_mode_32 3
		.amdhsa_float_denorm_mode_16_64 3
		.amdhsa_dx10_clamp 1
		.amdhsa_ieee_mode 1
		.amdhsa_fp16_overflow 0
		.amdhsa_tg_split 0
		.amdhsa_exception_fp_ieee_invalid_op 0
		.amdhsa_exception_fp_denorm_src 0
		.amdhsa_exception_fp_ieee_div_zero 0
		.amdhsa_exception_fp_ieee_overflow 0
		.amdhsa_exception_fp_ieee_underflow 0
		.amdhsa_exception_fp_ieee_inexact 0
		.amdhsa_exception_int_div_zero 0
	.end_amdhsa_kernel
	.section	.text._ZN7rocprim17ROCPRIM_400000_NS6detail17trampoline_kernelINS0_14default_configENS1_20scan_config_selectorIfEEZZNS1_9scan_implILNS1_25lookback_scan_determinismE0ELb1ELb1ES3_N6thrust23THRUST_200600_302600_NS6detail15normal_iteratorINS9_10device_ptrIfEEEENS9_16discard_iteratorINS9_11use_defaultEEEfNS9_4plusIvEEfEEDaPvRmT3_T4_T5_mT6_P12ihipStream_tbENKUlT_T0_E_clISt17integral_constantIbLb0EESW_IbLb1EEEEDaSS_ST_EUlSS_E0_NS1_11comp_targetILNS1_3genE0ELNS1_11target_archE4294967295ELNS1_3gpuE0ELNS1_3repE0EEENS1_30default_config_static_selectorELNS0_4arch9wavefront6targetE1EEEvT1_,"axG",@progbits,_ZN7rocprim17ROCPRIM_400000_NS6detail17trampoline_kernelINS0_14default_configENS1_20scan_config_selectorIfEEZZNS1_9scan_implILNS1_25lookback_scan_determinismE0ELb1ELb1ES3_N6thrust23THRUST_200600_302600_NS6detail15normal_iteratorINS9_10device_ptrIfEEEENS9_16discard_iteratorINS9_11use_defaultEEEfNS9_4plusIvEEfEEDaPvRmT3_T4_T5_mT6_P12ihipStream_tbENKUlT_T0_E_clISt17integral_constantIbLb0EESW_IbLb1EEEEDaSS_ST_EUlSS_E0_NS1_11comp_targetILNS1_3genE0ELNS1_11target_archE4294967295ELNS1_3gpuE0ELNS1_3repE0EEENS1_30default_config_static_selectorELNS0_4arch9wavefront6targetE1EEEvT1_,comdat
.Lfunc_end5141:
	.size	_ZN7rocprim17ROCPRIM_400000_NS6detail17trampoline_kernelINS0_14default_configENS1_20scan_config_selectorIfEEZZNS1_9scan_implILNS1_25lookback_scan_determinismE0ELb1ELb1ES3_N6thrust23THRUST_200600_302600_NS6detail15normal_iteratorINS9_10device_ptrIfEEEENS9_16discard_iteratorINS9_11use_defaultEEEfNS9_4plusIvEEfEEDaPvRmT3_T4_T5_mT6_P12ihipStream_tbENKUlT_T0_E_clISt17integral_constantIbLb0EESW_IbLb1EEEEDaSS_ST_EUlSS_E0_NS1_11comp_targetILNS1_3genE0ELNS1_11target_archE4294967295ELNS1_3gpuE0ELNS1_3repE0EEENS1_30default_config_static_selectorELNS0_4arch9wavefront6targetE1EEEvT1_, .Lfunc_end5141-_ZN7rocprim17ROCPRIM_400000_NS6detail17trampoline_kernelINS0_14default_configENS1_20scan_config_selectorIfEEZZNS1_9scan_implILNS1_25lookback_scan_determinismE0ELb1ELb1ES3_N6thrust23THRUST_200600_302600_NS6detail15normal_iteratorINS9_10device_ptrIfEEEENS9_16discard_iteratorINS9_11use_defaultEEEfNS9_4plusIvEEfEEDaPvRmT3_T4_T5_mT6_P12ihipStream_tbENKUlT_T0_E_clISt17integral_constantIbLb0EESW_IbLb1EEEEDaSS_ST_EUlSS_E0_NS1_11comp_targetILNS1_3genE0ELNS1_11target_archE4294967295ELNS1_3gpuE0ELNS1_3repE0EEENS1_30default_config_static_selectorELNS0_4arch9wavefront6targetE1EEEvT1_
                                        ; -- End function
	.section	.AMDGPU.csdata,"",@progbits
; Kernel info:
; codeLenInByte = 0
; NumSgprs: 4
; NumVgprs: 0
; NumAgprs: 0
; TotalNumVgprs: 0
; ScratchSize: 0
; MemoryBound: 0
; FloatMode: 240
; IeeeMode: 1
; LDSByteSize: 0 bytes/workgroup (compile time only)
; SGPRBlocks: 0
; VGPRBlocks: 0
; NumSGPRsForWavesPerEU: 4
; NumVGPRsForWavesPerEU: 1
; AccumOffset: 4
; Occupancy: 8
; WaveLimiterHint : 0
; COMPUTE_PGM_RSRC2:SCRATCH_EN: 0
; COMPUTE_PGM_RSRC2:USER_SGPR: 6
; COMPUTE_PGM_RSRC2:TRAP_HANDLER: 0
; COMPUTE_PGM_RSRC2:TGID_X_EN: 1
; COMPUTE_PGM_RSRC2:TGID_Y_EN: 0
; COMPUTE_PGM_RSRC2:TGID_Z_EN: 0
; COMPUTE_PGM_RSRC2:TIDIG_COMP_CNT: 0
; COMPUTE_PGM_RSRC3_GFX90A:ACCUM_OFFSET: 0
; COMPUTE_PGM_RSRC3_GFX90A:TG_SPLIT: 0
	.section	.text._ZN7rocprim17ROCPRIM_400000_NS6detail17trampoline_kernelINS0_14default_configENS1_20scan_config_selectorIfEEZZNS1_9scan_implILNS1_25lookback_scan_determinismE0ELb1ELb1ES3_N6thrust23THRUST_200600_302600_NS6detail15normal_iteratorINS9_10device_ptrIfEEEENS9_16discard_iteratorINS9_11use_defaultEEEfNS9_4plusIvEEfEEDaPvRmT3_T4_T5_mT6_P12ihipStream_tbENKUlT_T0_E_clISt17integral_constantIbLb0EESW_IbLb1EEEEDaSS_ST_EUlSS_E0_NS1_11comp_targetILNS1_3genE5ELNS1_11target_archE942ELNS1_3gpuE9ELNS1_3repE0EEENS1_30default_config_static_selectorELNS0_4arch9wavefront6targetE1EEEvT1_,"axG",@progbits,_ZN7rocprim17ROCPRIM_400000_NS6detail17trampoline_kernelINS0_14default_configENS1_20scan_config_selectorIfEEZZNS1_9scan_implILNS1_25lookback_scan_determinismE0ELb1ELb1ES3_N6thrust23THRUST_200600_302600_NS6detail15normal_iteratorINS9_10device_ptrIfEEEENS9_16discard_iteratorINS9_11use_defaultEEEfNS9_4plusIvEEfEEDaPvRmT3_T4_T5_mT6_P12ihipStream_tbENKUlT_T0_E_clISt17integral_constantIbLb0EESW_IbLb1EEEEDaSS_ST_EUlSS_E0_NS1_11comp_targetILNS1_3genE5ELNS1_11target_archE942ELNS1_3gpuE9ELNS1_3repE0EEENS1_30default_config_static_selectorELNS0_4arch9wavefront6targetE1EEEvT1_,comdat
	.protected	_ZN7rocprim17ROCPRIM_400000_NS6detail17trampoline_kernelINS0_14default_configENS1_20scan_config_selectorIfEEZZNS1_9scan_implILNS1_25lookback_scan_determinismE0ELb1ELb1ES3_N6thrust23THRUST_200600_302600_NS6detail15normal_iteratorINS9_10device_ptrIfEEEENS9_16discard_iteratorINS9_11use_defaultEEEfNS9_4plusIvEEfEEDaPvRmT3_T4_T5_mT6_P12ihipStream_tbENKUlT_T0_E_clISt17integral_constantIbLb0EESW_IbLb1EEEEDaSS_ST_EUlSS_E0_NS1_11comp_targetILNS1_3genE5ELNS1_11target_archE942ELNS1_3gpuE9ELNS1_3repE0EEENS1_30default_config_static_selectorELNS0_4arch9wavefront6targetE1EEEvT1_ ; -- Begin function _ZN7rocprim17ROCPRIM_400000_NS6detail17trampoline_kernelINS0_14default_configENS1_20scan_config_selectorIfEEZZNS1_9scan_implILNS1_25lookback_scan_determinismE0ELb1ELb1ES3_N6thrust23THRUST_200600_302600_NS6detail15normal_iteratorINS9_10device_ptrIfEEEENS9_16discard_iteratorINS9_11use_defaultEEEfNS9_4plusIvEEfEEDaPvRmT3_T4_T5_mT6_P12ihipStream_tbENKUlT_T0_E_clISt17integral_constantIbLb0EESW_IbLb1EEEEDaSS_ST_EUlSS_E0_NS1_11comp_targetILNS1_3genE5ELNS1_11target_archE942ELNS1_3gpuE9ELNS1_3repE0EEENS1_30default_config_static_selectorELNS0_4arch9wavefront6targetE1EEEvT1_
	.globl	_ZN7rocprim17ROCPRIM_400000_NS6detail17trampoline_kernelINS0_14default_configENS1_20scan_config_selectorIfEEZZNS1_9scan_implILNS1_25lookback_scan_determinismE0ELb1ELb1ES3_N6thrust23THRUST_200600_302600_NS6detail15normal_iteratorINS9_10device_ptrIfEEEENS9_16discard_iteratorINS9_11use_defaultEEEfNS9_4plusIvEEfEEDaPvRmT3_T4_T5_mT6_P12ihipStream_tbENKUlT_T0_E_clISt17integral_constantIbLb0EESW_IbLb1EEEEDaSS_ST_EUlSS_E0_NS1_11comp_targetILNS1_3genE5ELNS1_11target_archE942ELNS1_3gpuE9ELNS1_3repE0EEENS1_30default_config_static_selectorELNS0_4arch9wavefront6targetE1EEEvT1_
	.p2align	8
	.type	_ZN7rocprim17ROCPRIM_400000_NS6detail17trampoline_kernelINS0_14default_configENS1_20scan_config_selectorIfEEZZNS1_9scan_implILNS1_25lookback_scan_determinismE0ELb1ELb1ES3_N6thrust23THRUST_200600_302600_NS6detail15normal_iteratorINS9_10device_ptrIfEEEENS9_16discard_iteratorINS9_11use_defaultEEEfNS9_4plusIvEEfEEDaPvRmT3_T4_T5_mT6_P12ihipStream_tbENKUlT_T0_E_clISt17integral_constantIbLb0EESW_IbLb1EEEEDaSS_ST_EUlSS_E0_NS1_11comp_targetILNS1_3genE5ELNS1_11target_archE942ELNS1_3gpuE9ELNS1_3repE0EEENS1_30default_config_static_selectorELNS0_4arch9wavefront6targetE1EEEvT1_,@function
_ZN7rocprim17ROCPRIM_400000_NS6detail17trampoline_kernelINS0_14default_configENS1_20scan_config_selectorIfEEZZNS1_9scan_implILNS1_25lookback_scan_determinismE0ELb1ELb1ES3_N6thrust23THRUST_200600_302600_NS6detail15normal_iteratorINS9_10device_ptrIfEEEENS9_16discard_iteratorINS9_11use_defaultEEEfNS9_4plusIvEEfEEDaPvRmT3_T4_T5_mT6_P12ihipStream_tbENKUlT_T0_E_clISt17integral_constantIbLb0EESW_IbLb1EEEEDaSS_ST_EUlSS_E0_NS1_11comp_targetILNS1_3genE5ELNS1_11target_archE942ELNS1_3gpuE9ELNS1_3repE0EEENS1_30default_config_static_selectorELNS0_4arch9wavefront6targetE1EEEvT1_: ; @_ZN7rocprim17ROCPRIM_400000_NS6detail17trampoline_kernelINS0_14default_configENS1_20scan_config_selectorIfEEZZNS1_9scan_implILNS1_25lookback_scan_determinismE0ELb1ELb1ES3_N6thrust23THRUST_200600_302600_NS6detail15normal_iteratorINS9_10device_ptrIfEEEENS9_16discard_iteratorINS9_11use_defaultEEEfNS9_4plusIvEEfEEDaPvRmT3_T4_T5_mT6_P12ihipStream_tbENKUlT_T0_E_clISt17integral_constantIbLb0EESW_IbLb1EEEEDaSS_ST_EUlSS_E0_NS1_11comp_targetILNS1_3genE5ELNS1_11target_archE942ELNS1_3gpuE9ELNS1_3repE0EEENS1_30default_config_static_selectorELNS0_4arch9wavefront6targetE1EEEvT1_
; %bb.0:
	.section	.rodata,"a",@progbits
	.p2align	6, 0x0
	.amdhsa_kernel _ZN7rocprim17ROCPRIM_400000_NS6detail17trampoline_kernelINS0_14default_configENS1_20scan_config_selectorIfEEZZNS1_9scan_implILNS1_25lookback_scan_determinismE0ELb1ELb1ES3_N6thrust23THRUST_200600_302600_NS6detail15normal_iteratorINS9_10device_ptrIfEEEENS9_16discard_iteratorINS9_11use_defaultEEEfNS9_4plusIvEEfEEDaPvRmT3_T4_T5_mT6_P12ihipStream_tbENKUlT_T0_E_clISt17integral_constantIbLb0EESW_IbLb1EEEEDaSS_ST_EUlSS_E0_NS1_11comp_targetILNS1_3genE5ELNS1_11target_archE942ELNS1_3gpuE9ELNS1_3repE0EEENS1_30default_config_static_selectorELNS0_4arch9wavefront6targetE1EEEvT1_
		.amdhsa_group_segment_fixed_size 0
		.amdhsa_private_segment_fixed_size 0
		.amdhsa_kernarg_size 40
		.amdhsa_user_sgpr_count 6
		.amdhsa_user_sgpr_private_segment_buffer 1
		.amdhsa_user_sgpr_dispatch_ptr 0
		.amdhsa_user_sgpr_queue_ptr 0
		.amdhsa_user_sgpr_kernarg_segment_ptr 1
		.amdhsa_user_sgpr_dispatch_id 0
		.amdhsa_user_sgpr_flat_scratch_init 0
		.amdhsa_user_sgpr_kernarg_preload_length 0
		.amdhsa_user_sgpr_kernarg_preload_offset 0
		.amdhsa_user_sgpr_private_segment_size 0
		.amdhsa_uses_dynamic_stack 0
		.amdhsa_system_sgpr_private_segment_wavefront_offset 0
		.amdhsa_system_sgpr_workgroup_id_x 1
		.amdhsa_system_sgpr_workgroup_id_y 0
		.amdhsa_system_sgpr_workgroup_id_z 0
		.amdhsa_system_sgpr_workgroup_info 0
		.amdhsa_system_vgpr_workitem_id 0
		.amdhsa_next_free_vgpr 1
		.amdhsa_next_free_sgpr 0
		.amdhsa_accum_offset 4
		.amdhsa_reserve_vcc 0
		.amdhsa_reserve_flat_scratch 0
		.amdhsa_float_round_mode_32 0
		.amdhsa_float_round_mode_16_64 0
		.amdhsa_float_denorm_mode_32 3
		.amdhsa_float_denorm_mode_16_64 3
		.amdhsa_dx10_clamp 1
		.amdhsa_ieee_mode 1
		.amdhsa_fp16_overflow 0
		.amdhsa_tg_split 0
		.amdhsa_exception_fp_ieee_invalid_op 0
		.amdhsa_exception_fp_denorm_src 0
		.amdhsa_exception_fp_ieee_div_zero 0
		.amdhsa_exception_fp_ieee_overflow 0
		.amdhsa_exception_fp_ieee_underflow 0
		.amdhsa_exception_fp_ieee_inexact 0
		.amdhsa_exception_int_div_zero 0
	.end_amdhsa_kernel
	.section	.text._ZN7rocprim17ROCPRIM_400000_NS6detail17trampoline_kernelINS0_14default_configENS1_20scan_config_selectorIfEEZZNS1_9scan_implILNS1_25lookback_scan_determinismE0ELb1ELb1ES3_N6thrust23THRUST_200600_302600_NS6detail15normal_iteratorINS9_10device_ptrIfEEEENS9_16discard_iteratorINS9_11use_defaultEEEfNS9_4plusIvEEfEEDaPvRmT3_T4_T5_mT6_P12ihipStream_tbENKUlT_T0_E_clISt17integral_constantIbLb0EESW_IbLb1EEEEDaSS_ST_EUlSS_E0_NS1_11comp_targetILNS1_3genE5ELNS1_11target_archE942ELNS1_3gpuE9ELNS1_3repE0EEENS1_30default_config_static_selectorELNS0_4arch9wavefront6targetE1EEEvT1_,"axG",@progbits,_ZN7rocprim17ROCPRIM_400000_NS6detail17trampoline_kernelINS0_14default_configENS1_20scan_config_selectorIfEEZZNS1_9scan_implILNS1_25lookback_scan_determinismE0ELb1ELb1ES3_N6thrust23THRUST_200600_302600_NS6detail15normal_iteratorINS9_10device_ptrIfEEEENS9_16discard_iteratorINS9_11use_defaultEEEfNS9_4plusIvEEfEEDaPvRmT3_T4_T5_mT6_P12ihipStream_tbENKUlT_T0_E_clISt17integral_constantIbLb0EESW_IbLb1EEEEDaSS_ST_EUlSS_E0_NS1_11comp_targetILNS1_3genE5ELNS1_11target_archE942ELNS1_3gpuE9ELNS1_3repE0EEENS1_30default_config_static_selectorELNS0_4arch9wavefront6targetE1EEEvT1_,comdat
.Lfunc_end5142:
	.size	_ZN7rocprim17ROCPRIM_400000_NS6detail17trampoline_kernelINS0_14default_configENS1_20scan_config_selectorIfEEZZNS1_9scan_implILNS1_25lookback_scan_determinismE0ELb1ELb1ES3_N6thrust23THRUST_200600_302600_NS6detail15normal_iteratorINS9_10device_ptrIfEEEENS9_16discard_iteratorINS9_11use_defaultEEEfNS9_4plusIvEEfEEDaPvRmT3_T4_T5_mT6_P12ihipStream_tbENKUlT_T0_E_clISt17integral_constantIbLb0EESW_IbLb1EEEEDaSS_ST_EUlSS_E0_NS1_11comp_targetILNS1_3genE5ELNS1_11target_archE942ELNS1_3gpuE9ELNS1_3repE0EEENS1_30default_config_static_selectorELNS0_4arch9wavefront6targetE1EEEvT1_, .Lfunc_end5142-_ZN7rocprim17ROCPRIM_400000_NS6detail17trampoline_kernelINS0_14default_configENS1_20scan_config_selectorIfEEZZNS1_9scan_implILNS1_25lookback_scan_determinismE0ELb1ELb1ES3_N6thrust23THRUST_200600_302600_NS6detail15normal_iteratorINS9_10device_ptrIfEEEENS9_16discard_iteratorINS9_11use_defaultEEEfNS9_4plusIvEEfEEDaPvRmT3_T4_T5_mT6_P12ihipStream_tbENKUlT_T0_E_clISt17integral_constantIbLb0EESW_IbLb1EEEEDaSS_ST_EUlSS_E0_NS1_11comp_targetILNS1_3genE5ELNS1_11target_archE942ELNS1_3gpuE9ELNS1_3repE0EEENS1_30default_config_static_selectorELNS0_4arch9wavefront6targetE1EEEvT1_
                                        ; -- End function
	.section	.AMDGPU.csdata,"",@progbits
; Kernel info:
; codeLenInByte = 0
; NumSgprs: 4
; NumVgprs: 0
; NumAgprs: 0
; TotalNumVgprs: 0
; ScratchSize: 0
; MemoryBound: 0
; FloatMode: 240
; IeeeMode: 1
; LDSByteSize: 0 bytes/workgroup (compile time only)
; SGPRBlocks: 0
; VGPRBlocks: 0
; NumSGPRsForWavesPerEU: 4
; NumVGPRsForWavesPerEU: 1
; AccumOffset: 4
; Occupancy: 8
; WaveLimiterHint : 0
; COMPUTE_PGM_RSRC2:SCRATCH_EN: 0
; COMPUTE_PGM_RSRC2:USER_SGPR: 6
; COMPUTE_PGM_RSRC2:TRAP_HANDLER: 0
; COMPUTE_PGM_RSRC2:TGID_X_EN: 1
; COMPUTE_PGM_RSRC2:TGID_Y_EN: 0
; COMPUTE_PGM_RSRC2:TGID_Z_EN: 0
; COMPUTE_PGM_RSRC2:TIDIG_COMP_CNT: 0
; COMPUTE_PGM_RSRC3_GFX90A:ACCUM_OFFSET: 0
; COMPUTE_PGM_RSRC3_GFX90A:TG_SPLIT: 0
	.section	.text._ZN7rocprim17ROCPRIM_400000_NS6detail17trampoline_kernelINS0_14default_configENS1_20scan_config_selectorIfEEZZNS1_9scan_implILNS1_25lookback_scan_determinismE0ELb1ELb1ES3_N6thrust23THRUST_200600_302600_NS6detail15normal_iteratorINS9_10device_ptrIfEEEENS9_16discard_iteratorINS9_11use_defaultEEEfNS9_4plusIvEEfEEDaPvRmT3_T4_T5_mT6_P12ihipStream_tbENKUlT_T0_E_clISt17integral_constantIbLb0EESW_IbLb1EEEEDaSS_ST_EUlSS_E0_NS1_11comp_targetILNS1_3genE4ELNS1_11target_archE910ELNS1_3gpuE8ELNS1_3repE0EEENS1_30default_config_static_selectorELNS0_4arch9wavefront6targetE1EEEvT1_,"axG",@progbits,_ZN7rocprim17ROCPRIM_400000_NS6detail17trampoline_kernelINS0_14default_configENS1_20scan_config_selectorIfEEZZNS1_9scan_implILNS1_25lookback_scan_determinismE0ELb1ELb1ES3_N6thrust23THRUST_200600_302600_NS6detail15normal_iteratorINS9_10device_ptrIfEEEENS9_16discard_iteratorINS9_11use_defaultEEEfNS9_4plusIvEEfEEDaPvRmT3_T4_T5_mT6_P12ihipStream_tbENKUlT_T0_E_clISt17integral_constantIbLb0EESW_IbLb1EEEEDaSS_ST_EUlSS_E0_NS1_11comp_targetILNS1_3genE4ELNS1_11target_archE910ELNS1_3gpuE8ELNS1_3repE0EEENS1_30default_config_static_selectorELNS0_4arch9wavefront6targetE1EEEvT1_,comdat
	.protected	_ZN7rocprim17ROCPRIM_400000_NS6detail17trampoline_kernelINS0_14default_configENS1_20scan_config_selectorIfEEZZNS1_9scan_implILNS1_25lookback_scan_determinismE0ELb1ELb1ES3_N6thrust23THRUST_200600_302600_NS6detail15normal_iteratorINS9_10device_ptrIfEEEENS9_16discard_iteratorINS9_11use_defaultEEEfNS9_4plusIvEEfEEDaPvRmT3_T4_T5_mT6_P12ihipStream_tbENKUlT_T0_E_clISt17integral_constantIbLb0EESW_IbLb1EEEEDaSS_ST_EUlSS_E0_NS1_11comp_targetILNS1_3genE4ELNS1_11target_archE910ELNS1_3gpuE8ELNS1_3repE0EEENS1_30default_config_static_selectorELNS0_4arch9wavefront6targetE1EEEvT1_ ; -- Begin function _ZN7rocprim17ROCPRIM_400000_NS6detail17trampoline_kernelINS0_14default_configENS1_20scan_config_selectorIfEEZZNS1_9scan_implILNS1_25lookback_scan_determinismE0ELb1ELb1ES3_N6thrust23THRUST_200600_302600_NS6detail15normal_iteratorINS9_10device_ptrIfEEEENS9_16discard_iteratorINS9_11use_defaultEEEfNS9_4plusIvEEfEEDaPvRmT3_T4_T5_mT6_P12ihipStream_tbENKUlT_T0_E_clISt17integral_constantIbLb0EESW_IbLb1EEEEDaSS_ST_EUlSS_E0_NS1_11comp_targetILNS1_3genE4ELNS1_11target_archE910ELNS1_3gpuE8ELNS1_3repE0EEENS1_30default_config_static_selectorELNS0_4arch9wavefront6targetE1EEEvT1_
	.globl	_ZN7rocprim17ROCPRIM_400000_NS6detail17trampoline_kernelINS0_14default_configENS1_20scan_config_selectorIfEEZZNS1_9scan_implILNS1_25lookback_scan_determinismE0ELb1ELb1ES3_N6thrust23THRUST_200600_302600_NS6detail15normal_iteratorINS9_10device_ptrIfEEEENS9_16discard_iteratorINS9_11use_defaultEEEfNS9_4plusIvEEfEEDaPvRmT3_T4_T5_mT6_P12ihipStream_tbENKUlT_T0_E_clISt17integral_constantIbLb0EESW_IbLb1EEEEDaSS_ST_EUlSS_E0_NS1_11comp_targetILNS1_3genE4ELNS1_11target_archE910ELNS1_3gpuE8ELNS1_3repE0EEENS1_30default_config_static_selectorELNS0_4arch9wavefront6targetE1EEEvT1_
	.p2align	8
	.type	_ZN7rocprim17ROCPRIM_400000_NS6detail17trampoline_kernelINS0_14default_configENS1_20scan_config_selectorIfEEZZNS1_9scan_implILNS1_25lookback_scan_determinismE0ELb1ELb1ES3_N6thrust23THRUST_200600_302600_NS6detail15normal_iteratorINS9_10device_ptrIfEEEENS9_16discard_iteratorINS9_11use_defaultEEEfNS9_4plusIvEEfEEDaPvRmT3_T4_T5_mT6_P12ihipStream_tbENKUlT_T0_E_clISt17integral_constantIbLb0EESW_IbLb1EEEEDaSS_ST_EUlSS_E0_NS1_11comp_targetILNS1_3genE4ELNS1_11target_archE910ELNS1_3gpuE8ELNS1_3repE0EEENS1_30default_config_static_selectorELNS0_4arch9wavefront6targetE1EEEvT1_,@function
_ZN7rocprim17ROCPRIM_400000_NS6detail17trampoline_kernelINS0_14default_configENS1_20scan_config_selectorIfEEZZNS1_9scan_implILNS1_25lookback_scan_determinismE0ELb1ELb1ES3_N6thrust23THRUST_200600_302600_NS6detail15normal_iteratorINS9_10device_ptrIfEEEENS9_16discard_iteratorINS9_11use_defaultEEEfNS9_4plusIvEEfEEDaPvRmT3_T4_T5_mT6_P12ihipStream_tbENKUlT_T0_E_clISt17integral_constantIbLb0EESW_IbLb1EEEEDaSS_ST_EUlSS_E0_NS1_11comp_targetILNS1_3genE4ELNS1_11target_archE910ELNS1_3gpuE8ELNS1_3repE0EEENS1_30default_config_static_selectorELNS0_4arch9wavefront6targetE1EEEvT1_: ; @_ZN7rocprim17ROCPRIM_400000_NS6detail17trampoline_kernelINS0_14default_configENS1_20scan_config_selectorIfEEZZNS1_9scan_implILNS1_25lookback_scan_determinismE0ELb1ELb1ES3_N6thrust23THRUST_200600_302600_NS6detail15normal_iteratorINS9_10device_ptrIfEEEENS9_16discard_iteratorINS9_11use_defaultEEEfNS9_4plusIvEEfEEDaPvRmT3_T4_T5_mT6_P12ihipStream_tbENKUlT_T0_E_clISt17integral_constantIbLb0EESW_IbLb1EEEEDaSS_ST_EUlSS_E0_NS1_11comp_targetILNS1_3genE4ELNS1_11target_archE910ELNS1_3gpuE8ELNS1_3repE0EEENS1_30default_config_static_selectorELNS0_4arch9wavefront6targetE1EEEvT1_
; %bb.0:
	s_load_dwordx4 s[0:3], s[4:5], 0x0
	v_lshlrev_b32_e32 v1, 2, v0
	s_waitcnt lgkmcnt(0)
	s_load_dword s3, s[0:1], 0x0
	v_cmp_gt_u32_e32 vcc, s2, v0
	s_waitcnt lgkmcnt(0)
	v_mov_b32_e32 v2, s3
	s_and_saveexec_b64 s[6:7], vcc
	s_cbranch_execz .LBB5143_2
; %bb.1:
	global_load_dword v2, v1, s[0:1]
.LBB5143_2:
	s_or_b64 exec, exec, s[6:7]
	v_or_b32_e32 v3, 0x80, v0
	v_cmp_gt_u32_e32 vcc, s2, v3
	v_mov_b32_e32 v3, s3
	s_and_saveexec_b64 s[6:7], vcc
	s_cbranch_execz .LBB5143_4
; %bb.3:
	global_load_dword v3, v1, s[0:1] offset:512
.LBB5143_4:
	s_or_b64 exec, exec, s[6:7]
	v_or_b32_e32 v4, 0x100, v0
	v_cmp_gt_u32_e32 vcc, s2, v4
	v_mov_b32_e32 v4, s3
	s_and_saveexec_b64 s[6:7], vcc
	s_cbranch_execz .LBB5143_6
; %bb.5:
	global_load_dword v4, v1, s[0:1] offset:1024
.LBB5143_6:
	;; [unrolled: 9-line block ×7, first 2 shown]
	s_or_b64 exec, exec, s[6:7]
	v_or_b32_e32 v11, 0x400, v0
	v_cmp_gt_u32_e32 vcc, s2, v11
	v_mov_b32_e32 v10, s3
	s_and_saveexec_b64 s[6:7], vcc
	s_cbranch_execz .LBB5143_18
; %bb.17:
	v_lshlrev_b32_e32 v10, 2, v11
	global_load_dword v10, v10, s[0:1]
.LBB5143_18:
	s_or_b64 exec, exec, s[6:7]
	v_or_b32_e32 v12, 0x480, v0
	v_cmp_gt_u32_e32 vcc, s2, v12
	v_mov_b32_e32 v11, s3
	s_and_saveexec_b64 s[6:7], vcc
	s_cbranch_execz .LBB5143_20
; %bb.19:
	v_lshlrev_b32_e32 v11, 2, v12
	global_load_dword v11, v11, s[0:1]
.LBB5143_20:
	;; [unrolled: 10-line block ×5, first 2 shown]
	s_or_b64 exec, exec, s[6:7]
	s_load_dword s6, s[4:5], 0x10
	v_or_b32_e32 v16, 0x680, v0
	v_cmp_gt_u32_e32 vcc, s2, v16
	v_mov_b32_e32 v15, s3
	s_and_saveexec_b64 s[2:3], vcc
	s_cbranch_execz .LBB5143_28
; %bb.27:
	v_lshlrev_b32_e32 v15, 2, v16
	global_load_dword v15, v15, s[0:1]
.LBB5143_28:
	s_or_b64 exec, exec, s[2:3]
	s_waitcnt vmcnt(0)
	ds_write2st64_b32 v1, v2, v3 offset1:2
	ds_write2st64_b32 v1, v4, v5 offset0:4 offset1:6
	ds_write2st64_b32 v1, v6, v7 offset0:8 offset1:10
	ds_write2st64_b32 v1, v8, v9 offset0:12 offset1:14
	ds_write2st64_b32 v1, v10, v11 offset0:16 offset1:18
	ds_write2st64_b32 v1, v12, v13 offset0:20 offset1:22
	ds_write2st64_b32 v1, v14, v15 offset0:24 offset1:26
	v_mad_u32_u24 v14, v0, 52, v1
	s_waitcnt lgkmcnt(0)
	s_barrier
	ds_read2_b64 v[10:13], v14 offset1:1
	ds_read2_b64 v[6:9], v14 offset0:2 offset1:3
	ds_read2_b64 v[2:5], v14 offset0:4 offset1:5
	ds_read_b64 v[14:15], v14 offset:48
	v_cmp_gt_u32_e32 vcc, 64, v0
	s_waitcnt lgkmcnt(3)
	v_add_f32_e32 v16, v10, v11
	v_add_f32_e32 v16, v16, v12
	v_add_f32_e32 v16, v16, v13
	s_waitcnt lgkmcnt(2)
	v_add_f32_e32 v16, v16, v6
	v_add_f32_e32 v16, v16, v7
	v_add_f32_e32 v16, v16, v8
	v_add_f32_e32 v16, v16, v9
	s_waitcnt lgkmcnt(1)
	v_add_f32_e32 v16, v16, v2
	;; [unrolled: 5-line block ×3, first 2 shown]
	v_add_f32_e32 v15, v16, v15
	v_lshrrev_b32_e32 v16, 3, v0
	v_and_b32_e32 v16, 12, v16
	v_add_u32_e32 v16, v1, v16
	s_barrier
	ds_write_b32 v16, v15
	s_waitcnt lgkmcnt(0)
	s_barrier
	s_and_saveexec_b64 s[4:5], vcc
	s_cbranch_execz .LBB5143_30
; %bb.29:
	v_lshlrev_b32_e32 v16, 1, v0
	v_lshrrev_b32_e32 v17, 4, v0
	v_add_lshl_u32 v18, v17, v16, 2
	ds_read2_b32 v[16:17], v18 offset1:1
	v_mbcnt_lo_u32_b32 v19, -1, 0
	v_mbcnt_hi_u32_b32 v19, -1, v19
	v_and_b32_e32 v20, 15, v19
	v_cmp_eq_u32_e32 vcc, 0, v20
	s_waitcnt lgkmcnt(0)
	v_add_f32_e32 v17, v16, v17
	v_cmp_lt_u32_e64 s[0:1], 3, v20
	v_cmp_lt_u32_e64 s[2:3], 31, v19
	v_mov_b32_dpp v21, v17 row_shr:1 row_mask:0xf bank_mask:0xf
	v_add_f32_e32 v21, v17, v21
	v_cndmask_b32_e32 v17, v21, v17, vcc
	v_cmp_lt_u32_e32 vcc, 1, v20
	s_nop 0
	v_mov_b32_dpp v21, v17 row_shr:2 row_mask:0xf bank_mask:0xf
	v_add_f32_e32 v21, v17, v21
	v_cndmask_b32_e32 v21, v17, v21, vcc
	; wave barrier
	s_nop 1
	v_mov_b32_dpp v22, v21 row_shr:4 row_mask:0xf bank_mask:0xf
	v_add_f32_e32 v22, v21, v22
	v_cndmask_b32_e64 v21, v21, v22, s[0:1]
	v_cmp_lt_u32_e64 s[0:1], 7, v20
	s_nop 0
	v_mov_b32_dpp v22, v21 row_shr:8 row_mask:0xf bank_mask:0xf
	v_add_f32_e32 v22, v21, v22
	v_cndmask_b32_e64 v20, v21, v22, s[0:1]
	v_and_b32_e32 v22, 16, v19
	v_cmp_eq_u32_e64 s[0:1], 0, v22
	v_mov_b32_dpp v21, v20 row_bcast:15 row_mask:0xf bank_mask:0xf
	v_add_f32_e32 v21, v20, v21
	v_cndmask_b32_e64 v20, v21, v20, s[0:1]
	v_cmp_lt_u32_e64 s[0:1], 15, v19
	s_or_b64 vcc, s[0:1], vcc
	v_mov_b32_dpp v21, v20 row_bcast:31 row_mask:0xf bank_mask:0xf
	v_add_f32_e32 v21, v20, v21
	v_cndmask_b32_e64 v20, v20, v21, s[2:3]
	v_cndmask_b32_e32 v17, v17, v20, vcc
	v_add_u32_e32 v20, -1, v19
	v_and_b32_e32 v21, 64, v19
	v_cmp_lt_i32_e32 vcc, v20, v21
	v_cndmask_b32_e32 v19, v20, v19, vcc
	v_lshlrev_b32_e32 v19, 2, v19
	ds_bpermute_b32 v17, v19, v17
	v_cmp_eq_u32_e32 vcc, 0, v0
	s_waitcnt lgkmcnt(0)
	v_add_f32_e32 v16, v16, v17
	v_cndmask_b32_e32 v15, v16, v15, vcc
	ds_write_b32 v18, v15
	; wave barrier
	ds_read_b32 v16, v18 offset:4
	s_waitcnt lgkmcnt(0)
	v_add_f32_e32 v15, v15, v16
	ds_write_b32 v18, v15 offset:4
.LBB5143_30:
	s_or_b64 exec, exec, s[4:5]
	v_mul_u32_u24_e32 v15, 52, v0
	v_cmp_ne_u32_e32 vcc, 0, v0
	v_mov_b32_e32 v16, s6
	s_waitcnt lgkmcnt(0)
	s_barrier
	s_and_saveexec_b64 s[0:1], vcc
	s_cbranch_execz .LBB5143_32
; %bb.31:
	v_add_u32_e32 v0, -1, v0
	v_lshrrev_b32_e32 v16, 5, v0
	v_add_lshl_u32 v0, v16, v0, 2
	ds_read_b32 v0, v0
	s_waitcnt lgkmcnt(0)
	v_add_f32_e32 v16, s6, v0
.LBB5143_32:
	s_or_b64 exec, exec, s[0:1]
	v_add_f32_e32 v17, v10, v16
	v_add_f32_e32 v10, v11, v17
	;; [unrolled: 1-line block ×12, first 2 shown]
	v_add_u32_e32 v0, v1, v15
	v_add_f32_e32 v5, v14, v4
	s_barrier
	ds_write2_b64 v0, v[16:17], v[10:11] offset1:1
	ds_write2_b64 v0, v[12:13], v[6:7] offset0:2 offset1:3
	ds_write2_b64 v0, v[8:9], v[2:3] offset0:4 offset1:5
	ds_write_b64 v0, v[4:5] offset:48
	s_waitcnt lgkmcnt(0)
	s_barrier
	s_endpgm
	.section	.rodata,"a",@progbits
	.p2align	6, 0x0
	.amdhsa_kernel _ZN7rocprim17ROCPRIM_400000_NS6detail17trampoline_kernelINS0_14default_configENS1_20scan_config_selectorIfEEZZNS1_9scan_implILNS1_25lookback_scan_determinismE0ELb1ELb1ES3_N6thrust23THRUST_200600_302600_NS6detail15normal_iteratorINS9_10device_ptrIfEEEENS9_16discard_iteratorINS9_11use_defaultEEEfNS9_4plusIvEEfEEDaPvRmT3_T4_T5_mT6_P12ihipStream_tbENKUlT_T0_E_clISt17integral_constantIbLb0EESW_IbLb1EEEEDaSS_ST_EUlSS_E0_NS1_11comp_targetILNS1_3genE4ELNS1_11target_archE910ELNS1_3gpuE8ELNS1_3repE0EEENS1_30default_config_static_selectorELNS0_4arch9wavefront6targetE1EEEvT1_
		.amdhsa_group_segment_fixed_size 7168
		.amdhsa_private_segment_fixed_size 0
		.amdhsa_kernarg_size 40
		.amdhsa_user_sgpr_count 6
		.amdhsa_user_sgpr_private_segment_buffer 1
		.amdhsa_user_sgpr_dispatch_ptr 0
		.amdhsa_user_sgpr_queue_ptr 0
		.amdhsa_user_sgpr_kernarg_segment_ptr 1
		.amdhsa_user_sgpr_dispatch_id 0
		.amdhsa_user_sgpr_flat_scratch_init 0
		.amdhsa_user_sgpr_kernarg_preload_length 0
		.amdhsa_user_sgpr_kernarg_preload_offset 0
		.amdhsa_user_sgpr_private_segment_size 0
		.amdhsa_uses_dynamic_stack 0
		.amdhsa_system_sgpr_private_segment_wavefront_offset 0
		.amdhsa_system_sgpr_workgroup_id_x 1
		.amdhsa_system_sgpr_workgroup_id_y 0
		.amdhsa_system_sgpr_workgroup_id_z 0
		.amdhsa_system_sgpr_workgroup_info 0
		.amdhsa_system_vgpr_workitem_id 0
		.amdhsa_next_free_vgpr 23
		.amdhsa_next_free_sgpr 8
		.amdhsa_accum_offset 24
		.amdhsa_reserve_vcc 1
		.amdhsa_reserve_flat_scratch 0
		.amdhsa_float_round_mode_32 0
		.amdhsa_float_round_mode_16_64 0
		.amdhsa_float_denorm_mode_32 3
		.amdhsa_float_denorm_mode_16_64 3
		.amdhsa_dx10_clamp 1
		.amdhsa_ieee_mode 1
		.amdhsa_fp16_overflow 0
		.amdhsa_tg_split 0
		.amdhsa_exception_fp_ieee_invalid_op 0
		.amdhsa_exception_fp_denorm_src 0
		.amdhsa_exception_fp_ieee_div_zero 0
		.amdhsa_exception_fp_ieee_overflow 0
		.amdhsa_exception_fp_ieee_underflow 0
		.amdhsa_exception_fp_ieee_inexact 0
		.amdhsa_exception_int_div_zero 0
	.end_amdhsa_kernel
	.section	.text._ZN7rocprim17ROCPRIM_400000_NS6detail17trampoline_kernelINS0_14default_configENS1_20scan_config_selectorIfEEZZNS1_9scan_implILNS1_25lookback_scan_determinismE0ELb1ELb1ES3_N6thrust23THRUST_200600_302600_NS6detail15normal_iteratorINS9_10device_ptrIfEEEENS9_16discard_iteratorINS9_11use_defaultEEEfNS9_4plusIvEEfEEDaPvRmT3_T4_T5_mT6_P12ihipStream_tbENKUlT_T0_E_clISt17integral_constantIbLb0EESW_IbLb1EEEEDaSS_ST_EUlSS_E0_NS1_11comp_targetILNS1_3genE4ELNS1_11target_archE910ELNS1_3gpuE8ELNS1_3repE0EEENS1_30default_config_static_selectorELNS0_4arch9wavefront6targetE1EEEvT1_,"axG",@progbits,_ZN7rocprim17ROCPRIM_400000_NS6detail17trampoline_kernelINS0_14default_configENS1_20scan_config_selectorIfEEZZNS1_9scan_implILNS1_25lookback_scan_determinismE0ELb1ELb1ES3_N6thrust23THRUST_200600_302600_NS6detail15normal_iteratorINS9_10device_ptrIfEEEENS9_16discard_iteratorINS9_11use_defaultEEEfNS9_4plusIvEEfEEDaPvRmT3_T4_T5_mT6_P12ihipStream_tbENKUlT_T0_E_clISt17integral_constantIbLb0EESW_IbLb1EEEEDaSS_ST_EUlSS_E0_NS1_11comp_targetILNS1_3genE4ELNS1_11target_archE910ELNS1_3gpuE8ELNS1_3repE0EEENS1_30default_config_static_selectorELNS0_4arch9wavefront6targetE1EEEvT1_,comdat
.Lfunc_end5143:
	.size	_ZN7rocprim17ROCPRIM_400000_NS6detail17trampoline_kernelINS0_14default_configENS1_20scan_config_selectorIfEEZZNS1_9scan_implILNS1_25lookback_scan_determinismE0ELb1ELb1ES3_N6thrust23THRUST_200600_302600_NS6detail15normal_iteratorINS9_10device_ptrIfEEEENS9_16discard_iteratorINS9_11use_defaultEEEfNS9_4plusIvEEfEEDaPvRmT3_T4_T5_mT6_P12ihipStream_tbENKUlT_T0_E_clISt17integral_constantIbLb0EESW_IbLb1EEEEDaSS_ST_EUlSS_E0_NS1_11comp_targetILNS1_3genE4ELNS1_11target_archE910ELNS1_3gpuE8ELNS1_3repE0EEENS1_30default_config_static_selectorELNS0_4arch9wavefront6targetE1EEEvT1_, .Lfunc_end5143-_ZN7rocprim17ROCPRIM_400000_NS6detail17trampoline_kernelINS0_14default_configENS1_20scan_config_selectorIfEEZZNS1_9scan_implILNS1_25lookback_scan_determinismE0ELb1ELb1ES3_N6thrust23THRUST_200600_302600_NS6detail15normal_iteratorINS9_10device_ptrIfEEEENS9_16discard_iteratorINS9_11use_defaultEEEfNS9_4plusIvEEfEEDaPvRmT3_T4_T5_mT6_P12ihipStream_tbENKUlT_T0_E_clISt17integral_constantIbLb0EESW_IbLb1EEEEDaSS_ST_EUlSS_E0_NS1_11comp_targetILNS1_3genE4ELNS1_11target_archE910ELNS1_3gpuE8ELNS1_3repE0EEENS1_30default_config_static_selectorELNS0_4arch9wavefront6targetE1EEEvT1_
                                        ; -- End function
	.section	.AMDGPU.csdata,"",@progbits
; Kernel info:
; codeLenInByte = 1260
; NumSgprs: 12
; NumVgprs: 23
; NumAgprs: 0
; TotalNumVgprs: 23
; ScratchSize: 0
; MemoryBound: 0
; FloatMode: 240
; IeeeMode: 1
; LDSByteSize: 7168 bytes/workgroup (compile time only)
; SGPRBlocks: 1
; VGPRBlocks: 2
; NumSGPRsForWavesPerEU: 12
; NumVGPRsForWavesPerEU: 23
; AccumOffset: 24
; Occupancy: 5
; WaveLimiterHint : 0
; COMPUTE_PGM_RSRC2:SCRATCH_EN: 0
; COMPUTE_PGM_RSRC2:USER_SGPR: 6
; COMPUTE_PGM_RSRC2:TRAP_HANDLER: 0
; COMPUTE_PGM_RSRC2:TGID_X_EN: 1
; COMPUTE_PGM_RSRC2:TGID_Y_EN: 0
; COMPUTE_PGM_RSRC2:TGID_Z_EN: 0
; COMPUTE_PGM_RSRC2:TIDIG_COMP_CNT: 0
; COMPUTE_PGM_RSRC3_GFX90A:ACCUM_OFFSET: 5
; COMPUTE_PGM_RSRC3_GFX90A:TG_SPLIT: 0
	.section	.text._ZN7rocprim17ROCPRIM_400000_NS6detail17trampoline_kernelINS0_14default_configENS1_20scan_config_selectorIfEEZZNS1_9scan_implILNS1_25lookback_scan_determinismE0ELb1ELb1ES3_N6thrust23THRUST_200600_302600_NS6detail15normal_iteratorINS9_10device_ptrIfEEEENS9_16discard_iteratorINS9_11use_defaultEEEfNS9_4plusIvEEfEEDaPvRmT3_T4_T5_mT6_P12ihipStream_tbENKUlT_T0_E_clISt17integral_constantIbLb0EESW_IbLb1EEEEDaSS_ST_EUlSS_E0_NS1_11comp_targetILNS1_3genE3ELNS1_11target_archE908ELNS1_3gpuE7ELNS1_3repE0EEENS1_30default_config_static_selectorELNS0_4arch9wavefront6targetE1EEEvT1_,"axG",@progbits,_ZN7rocprim17ROCPRIM_400000_NS6detail17trampoline_kernelINS0_14default_configENS1_20scan_config_selectorIfEEZZNS1_9scan_implILNS1_25lookback_scan_determinismE0ELb1ELb1ES3_N6thrust23THRUST_200600_302600_NS6detail15normal_iteratorINS9_10device_ptrIfEEEENS9_16discard_iteratorINS9_11use_defaultEEEfNS9_4plusIvEEfEEDaPvRmT3_T4_T5_mT6_P12ihipStream_tbENKUlT_T0_E_clISt17integral_constantIbLb0EESW_IbLb1EEEEDaSS_ST_EUlSS_E0_NS1_11comp_targetILNS1_3genE3ELNS1_11target_archE908ELNS1_3gpuE7ELNS1_3repE0EEENS1_30default_config_static_selectorELNS0_4arch9wavefront6targetE1EEEvT1_,comdat
	.protected	_ZN7rocprim17ROCPRIM_400000_NS6detail17trampoline_kernelINS0_14default_configENS1_20scan_config_selectorIfEEZZNS1_9scan_implILNS1_25lookback_scan_determinismE0ELb1ELb1ES3_N6thrust23THRUST_200600_302600_NS6detail15normal_iteratorINS9_10device_ptrIfEEEENS9_16discard_iteratorINS9_11use_defaultEEEfNS9_4plusIvEEfEEDaPvRmT3_T4_T5_mT6_P12ihipStream_tbENKUlT_T0_E_clISt17integral_constantIbLb0EESW_IbLb1EEEEDaSS_ST_EUlSS_E0_NS1_11comp_targetILNS1_3genE3ELNS1_11target_archE908ELNS1_3gpuE7ELNS1_3repE0EEENS1_30default_config_static_selectorELNS0_4arch9wavefront6targetE1EEEvT1_ ; -- Begin function _ZN7rocprim17ROCPRIM_400000_NS6detail17trampoline_kernelINS0_14default_configENS1_20scan_config_selectorIfEEZZNS1_9scan_implILNS1_25lookback_scan_determinismE0ELb1ELb1ES3_N6thrust23THRUST_200600_302600_NS6detail15normal_iteratorINS9_10device_ptrIfEEEENS9_16discard_iteratorINS9_11use_defaultEEEfNS9_4plusIvEEfEEDaPvRmT3_T4_T5_mT6_P12ihipStream_tbENKUlT_T0_E_clISt17integral_constantIbLb0EESW_IbLb1EEEEDaSS_ST_EUlSS_E0_NS1_11comp_targetILNS1_3genE3ELNS1_11target_archE908ELNS1_3gpuE7ELNS1_3repE0EEENS1_30default_config_static_selectorELNS0_4arch9wavefront6targetE1EEEvT1_
	.globl	_ZN7rocprim17ROCPRIM_400000_NS6detail17trampoline_kernelINS0_14default_configENS1_20scan_config_selectorIfEEZZNS1_9scan_implILNS1_25lookback_scan_determinismE0ELb1ELb1ES3_N6thrust23THRUST_200600_302600_NS6detail15normal_iteratorINS9_10device_ptrIfEEEENS9_16discard_iteratorINS9_11use_defaultEEEfNS9_4plusIvEEfEEDaPvRmT3_T4_T5_mT6_P12ihipStream_tbENKUlT_T0_E_clISt17integral_constantIbLb0EESW_IbLb1EEEEDaSS_ST_EUlSS_E0_NS1_11comp_targetILNS1_3genE3ELNS1_11target_archE908ELNS1_3gpuE7ELNS1_3repE0EEENS1_30default_config_static_selectorELNS0_4arch9wavefront6targetE1EEEvT1_
	.p2align	8
	.type	_ZN7rocprim17ROCPRIM_400000_NS6detail17trampoline_kernelINS0_14default_configENS1_20scan_config_selectorIfEEZZNS1_9scan_implILNS1_25lookback_scan_determinismE0ELb1ELb1ES3_N6thrust23THRUST_200600_302600_NS6detail15normal_iteratorINS9_10device_ptrIfEEEENS9_16discard_iteratorINS9_11use_defaultEEEfNS9_4plusIvEEfEEDaPvRmT3_T4_T5_mT6_P12ihipStream_tbENKUlT_T0_E_clISt17integral_constantIbLb0EESW_IbLb1EEEEDaSS_ST_EUlSS_E0_NS1_11comp_targetILNS1_3genE3ELNS1_11target_archE908ELNS1_3gpuE7ELNS1_3repE0EEENS1_30default_config_static_selectorELNS0_4arch9wavefront6targetE1EEEvT1_,@function
_ZN7rocprim17ROCPRIM_400000_NS6detail17trampoline_kernelINS0_14default_configENS1_20scan_config_selectorIfEEZZNS1_9scan_implILNS1_25lookback_scan_determinismE0ELb1ELb1ES3_N6thrust23THRUST_200600_302600_NS6detail15normal_iteratorINS9_10device_ptrIfEEEENS9_16discard_iteratorINS9_11use_defaultEEEfNS9_4plusIvEEfEEDaPvRmT3_T4_T5_mT6_P12ihipStream_tbENKUlT_T0_E_clISt17integral_constantIbLb0EESW_IbLb1EEEEDaSS_ST_EUlSS_E0_NS1_11comp_targetILNS1_3genE3ELNS1_11target_archE908ELNS1_3gpuE7ELNS1_3repE0EEENS1_30default_config_static_selectorELNS0_4arch9wavefront6targetE1EEEvT1_: ; @_ZN7rocprim17ROCPRIM_400000_NS6detail17trampoline_kernelINS0_14default_configENS1_20scan_config_selectorIfEEZZNS1_9scan_implILNS1_25lookback_scan_determinismE0ELb1ELb1ES3_N6thrust23THRUST_200600_302600_NS6detail15normal_iteratorINS9_10device_ptrIfEEEENS9_16discard_iteratorINS9_11use_defaultEEEfNS9_4plusIvEEfEEDaPvRmT3_T4_T5_mT6_P12ihipStream_tbENKUlT_T0_E_clISt17integral_constantIbLb0EESW_IbLb1EEEEDaSS_ST_EUlSS_E0_NS1_11comp_targetILNS1_3genE3ELNS1_11target_archE908ELNS1_3gpuE7ELNS1_3repE0EEENS1_30default_config_static_selectorELNS0_4arch9wavefront6targetE1EEEvT1_
; %bb.0:
	.section	.rodata,"a",@progbits
	.p2align	6, 0x0
	.amdhsa_kernel _ZN7rocprim17ROCPRIM_400000_NS6detail17trampoline_kernelINS0_14default_configENS1_20scan_config_selectorIfEEZZNS1_9scan_implILNS1_25lookback_scan_determinismE0ELb1ELb1ES3_N6thrust23THRUST_200600_302600_NS6detail15normal_iteratorINS9_10device_ptrIfEEEENS9_16discard_iteratorINS9_11use_defaultEEEfNS9_4plusIvEEfEEDaPvRmT3_T4_T5_mT6_P12ihipStream_tbENKUlT_T0_E_clISt17integral_constantIbLb0EESW_IbLb1EEEEDaSS_ST_EUlSS_E0_NS1_11comp_targetILNS1_3genE3ELNS1_11target_archE908ELNS1_3gpuE7ELNS1_3repE0EEENS1_30default_config_static_selectorELNS0_4arch9wavefront6targetE1EEEvT1_
		.amdhsa_group_segment_fixed_size 0
		.amdhsa_private_segment_fixed_size 0
		.amdhsa_kernarg_size 40
		.amdhsa_user_sgpr_count 6
		.amdhsa_user_sgpr_private_segment_buffer 1
		.amdhsa_user_sgpr_dispatch_ptr 0
		.amdhsa_user_sgpr_queue_ptr 0
		.amdhsa_user_sgpr_kernarg_segment_ptr 1
		.amdhsa_user_sgpr_dispatch_id 0
		.amdhsa_user_sgpr_flat_scratch_init 0
		.amdhsa_user_sgpr_kernarg_preload_length 0
		.amdhsa_user_sgpr_kernarg_preload_offset 0
		.amdhsa_user_sgpr_private_segment_size 0
		.amdhsa_uses_dynamic_stack 0
		.amdhsa_system_sgpr_private_segment_wavefront_offset 0
		.amdhsa_system_sgpr_workgroup_id_x 1
		.amdhsa_system_sgpr_workgroup_id_y 0
		.amdhsa_system_sgpr_workgroup_id_z 0
		.amdhsa_system_sgpr_workgroup_info 0
		.amdhsa_system_vgpr_workitem_id 0
		.amdhsa_next_free_vgpr 1
		.amdhsa_next_free_sgpr 0
		.amdhsa_accum_offset 4
		.amdhsa_reserve_vcc 0
		.amdhsa_reserve_flat_scratch 0
		.amdhsa_float_round_mode_32 0
		.amdhsa_float_round_mode_16_64 0
		.amdhsa_float_denorm_mode_32 3
		.amdhsa_float_denorm_mode_16_64 3
		.amdhsa_dx10_clamp 1
		.amdhsa_ieee_mode 1
		.amdhsa_fp16_overflow 0
		.amdhsa_tg_split 0
		.amdhsa_exception_fp_ieee_invalid_op 0
		.amdhsa_exception_fp_denorm_src 0
		.amdhsa_exception_fp_ieee_div_zero 0
		.amdhsa_exception_fp_ieee_overflow 0
		.amdhsa_exception_fp_ieee_underflow 0
		.amdhsa_exception_fp_ieee_inexact 0
		.amdhsa_exception_int_div_zero 0
	.end_amdhsa_kernel
	.section	.text._ZN7rocprim17ROCPRIM_400000_NS6detail17trampoline_kernelINS0_14default_configENS1_20scan_config_selectorIfEEZZNS1_9scan_implILNS1_25lookback_scan_determinismE0ELb1ELb1ES3_N6thrust23THRUST_200600_302600_NS6detail15normal_iteratorINS9_10device_ptrIfEEEENS9_16discard_iteratorINS9_11use_defaultEEEfNS9_4plusIvEEfEEDaPvRmT3_T4_T5_mT6_P12ihipStream_tbENKUlT_T0_E_clISt17integral_constantIbLb0EESW_IbLb1EEEEDaSS_ST_EUlSS_E0_NS1_11comp_targetILNS1_3genE3ELNS1_11target_archE908ELNS1_3gpuE7ELNS1_3repE0EEENS1_30default_config_static_selectorELNS0_4arch9wavefront6targetE1EEEvT1_,"axG",@progbits,_ZN7rocprim17ROCPRIM_400000_NS6detail17trampoline_kernelINS0_14default_configENS1_20scan_config_selectorIfEEZZNS1_9scan_implILNS1_25lookback_scan_determinismE0ELb1ELb1ES3_N6thrust23THRUST_200600_302600_NS6detail15normal_iteratorINS9_10device_ptrIfEEEENS9_16discard_iteratorINS9_11use_defaultEEEfNS9_4plusIvEEfEEDaPvRmT3_T4_T5_mT6_P12ihipStream_tbENKUlT_T0_E_clISt17integral_constantIbLb0EESW_IbLb1EEEEDaSS_ST_EUlSS_E0_NS1_11comp_targetILNS1_3genE3ELNS1_11target_archE908ELNS1_3gpuE7ELNS1_3repE0EEENS1_30default_config_static_selectorELNS0_4arch9wavefront6targetE1EEEvT1_,comdat
.Lfunc_end5144:
	.size	_ZN7rocprim17ROCPRIM_400000_NS6detail17trampoline_kernelINS0_14default_configENS1_20scan_config_selectorIfEEZZNS1_9scan_implILNS1_25lookback_scan_determinismE0ELb1ELb1ES3_N6thrust23THRUST_200600_302600_NS6detail15normal_iteratorINS9_10device_ptrIfEEEENS9_16discard_iteratorINS9_11use_defaultEEEfNS9_4plusIvEEfEEDaPvRmT3_T4_T5_mT6_P12ihipStream_tbENKUlT_T0_E_clISt17integral_constantIbLb0EESW_IbLb1EEEEDaSS_ST_EUlSS_E0_NS1_11comp_targetILNS1_3genE3ELNS1_11target_archE908ELNS1_3gpuE7ELNS1_3repE0EEENS1_30default_config_static_selectorELNS0_4arch9wavefront6targetE1EEEvT1_, .Lfunc_end5144-_ZN7rocprim17ROCPRIM_400000_NS6detail17trampoline_kernelINS0_14default_configENS1_20scan_config_selectorIfEEZZNS1_9scan_implILNS1_25lookback_scan_determinismE0ELb1ELb1ES3_N6thrust23THRUST_200600_302600_NS6detail15normal_iteratorINS9_10device_ptrIfEEEENS9_16discard_iteratorINS9_11use_defaultEEEfNS9_4plusIvEEfEEDaPvRmT3_T4_T5_mT6_P12ihipStream_tbENKUlT_T0_E_clISt17integral_constantIbLb0EESW_IbLb1EEEEDaSS_ST_EUlSS_E0_NS1_11comp_targetILNS1_3genE3ELNS1_11target_archE908ELNS1_3gpuE7ELNS1_3repE0EEENS1_30default_config_static_selectorELNS0_4arch9wavefront6targetE1EEEvT1_
                                        ; -- End function
	.section	.AMDGPU.csdata,"",@progbits
; Kernel info:
; codeLenInByte = 0
; NumSgprs: 4
; NumVgprs: 0
; NumAgprs: 0
; TotalNumVgprs: 0
; ScratchSize: 0
; MemoryBound: 0
; FloatMode: 240
; IeeeMode: 1
; LDSByteSize: 0 bytes/workgroup (compile time only)
; SGPRBlocks: 0
; VGPRBlocks: 0
; NumSGPRsForWavesPerEU: 4
; NumVGPRsForWavesPerEU: 1
; AccumOffset: 4
; Occupancy: 8
; WaveLimiterHint : 0
; COMPUTE_PGM_RSRC2:SCRATCH_EN: 0
; COMPUTE_PGM_RSRC2:USER_SGPR: 6
; COMPUTE_PGM_RSRC2:TRAP_HANDLER: 0
; COMPUTE_PGM_RSRC2:TGID_X_EN: 1
; COMPUTE_PGM_RSRC2:TGID_Y_EN: 0
; COMPUTE_PGM_RSRC2:TGID_Z_EN: 0
; COMPUTE_PGM_RSRC2:TIDIG_COMP_CNT: 0
; COMPUTE_PGM_RSRC3_GFX90A:ACCUM_OFFSET: 0
; COMPUTE_PGM_RSRC3_GFX90A:TG_SPLIT: 0
	.section	.text._ZN7rocprim17ROCPRIM_400000_NS6detail17trampoline_kernelINS0_14default_configENS1_20scan_config_selectorIfEEZZNS1_9scan_implILNS1_25lookback_scan_determinismE0ELb1ELb1ES3_N6thrust23THRUST_200600_302600_NS6detail15normal_iteratorINS9_10device_ptrIfEEEENS9_16discard_iteratorINS9_11use_defaultEEEfNS9_4plusIvEEfEEDaPvRmT3_T4_T5_mT6_P12ihipStream_tbENKUlT_T0_E_clISt17integral_constantIbLb0EESW_IbLb1EEEEDaSS_ST_EUlSS_E0_NS1_11comp_targetILNS1_3genE2ELNS1_11target_archE906ELNS1_3gpuE6ELNS1_3repE0EEENS1_30default_config_static_selectorELNS0_4arch9wavefront6targetE1EEEvT1_,"axG",@progbits,_ZN7rocprim17ROCPRIM_400000_NS6detail17trampoline_kernelINS0_14default_configENS1_20scan_config_selectorIfEEZZNS1_9scan_implILNS1_25lookback_scan_determinismE0ELb1ELb1ES3_N6thrust23THRUST_200600_302600_NS6detail15normal_iteratorINS9_10device_ptrIfEEEENS9_16discard_iteratorINS9_11use_defaultEEEfNS9_4plusIvEEfEEDaPvRmT3_T4_T5_mT6_P12ihipStream_tbENKUlT_T0_E_clISt17integral_constantIbLb0EESW_IbLb1EEEEDaSS_ST_EUlSS_E0_NS1_11comp_targetILNS1_3genE2ELNS1_11target_archE906ELNS1_3gpuE6ELNS1_3repE0EEENS1_30default_config_static_selectorELNS0_4arch9wavefront6targetE1EEEvT1_,comdat
	.protected	_ZN7rocprim17ROCPRIM_400000_NS6detail17trampoline_kernelINS0_14default_configENS1_20scan_config_selectorIfEEZZNS1_9scan_implILNS1_25lookback_scan_determinismE0ELb1ELb1ES3_N6thrust23THRUST_200600_302600_NS6detail15normal_iteratorINS9_10device_ptrIfEEEENS9_16discard_iteratorINS9_11use_defaultEEEfNS9_4plusIvEEfEEDaPvRmT3_T4_T5_mT6_P12ihipStream_tbENKUlT_T0_E_clISt17integral_constantIbLb0EESW_IbLb1EEEEDaSS_ST_EUlSS_E0_NS1_11comp_targetILNS1_3genE2ELNS1_11target_archE906ELNS1_3gpuE6ELNS1_3repE0EEENS1_30default_config_static_selectorELNS0_4arch9wavefront6targetE1EEEvT1_ ; -- Begin function _ZN7rocprim17ROCPRIM_400000_NS6detail17trampoline_kernelINS0_14default_configENS1_20scan_config_selectorIfEEZZNS1_9scan_implILNS1_25lookback_scan_determinismE0ELb1ELb1ES3_N6thrust23THRUST_200600_302600_NS6detail15normal_iteratorINS9_10device_ptrIfEEEENS9_16discard_iteratorINS9_11use_defaultEEEfNS9_4plusIvEEfEEDaPvRmT3_T4_T5_mT6_P12ihipStream_tbENKUlT_T0_E_clISt17integral_constantIbLb0EESW_IbLb1EEEEDaSS_ST_EUlSS_E0_NS1_11comp_targetILNS1_3genE2ELNS1_11target_archE906ELNS1_3gpuE6ELNS1_3repE0EEENS1_30default_config_static_selectorELNS0_4arch9wavefront6targetE1EEEvT1_
	.globl	_ZN7rocprim17ROCPRIM_400000_NS6detail17trampoline_kernelINS0_14default_configENS1_20scan_config_selectorIfEEZZNS1_9scan_implILNS1_25lookback_scan_determinismE0ELb1ELb1ES3_N6thrust23THRUST_200600_302600_NS6detail15normal_iteratorINS9_10device_ptrIfEEEENS9_16discard_iteratorINS9_11use_defaultEEEfNS9_4plusIvEEfEEDaPvRmT3_T4_T5_mT6_P12ihipStream_tbENKUlT_T0_E_clISt17integral_constantIbLb0EESW_IbLb1EEEEDaSS_ST_EUlSS_E0_NS1_11comp_targetILNS1_3genE2ELNS1_11target_archE906ELNS1_3gpuE6ELNS1_3repE0EEENS1_30default_config_static_selectorELNS0_4arch9wavefront6targetE1EEEvT1_
	.p2align	8
	.type	_ZN7rocprim17ROCPRIM_400000_NS6detail17trampoline_kernelINS0_14default_configENS1_20scan_config_selectorIfEEZZNS1_9scan_implILNS1_25lookback_scan_determinismE0ELb1ELb1ES3_N6thrust23THRUST_200600_302600_NS6detail15normal_iteratorINS9_10device_ptrIfEEEENS9_16discard_iteratorINS9_11use_defaultEEEfNS9_4plusIvEEfEEDaPvRmT3_T4_T5_mT6_P12ihipStream_tbENKUlT_T0_E_clISt17integral_constantIbLb0EESW_IbLb1EEEEDaSS_ST_EUlSS_E0_NS1_11comp_targetILNS1_3genE2ELNS1_11target_archE906ELNS1_3gpuE6ELNS1_3repE0EEENS1_30default_config_static_selectorELNS0_4arch9wavefront6targetE1EEEvT1_,@function
_ZN7rocprim17ROCPRIM_400000_NS6detail17trampoline_kernelINS0_14default_configENS1_20scan_config_selectorIfEEZZNS1_9scan_implILNS1_25lookback_scan_determinismE0ELb1ELb1ES3_N6thrust23THRUST_200600_302600_NS6detail15normal_iteratorINS9_10device_ptrIfEEEENS9_16discard_iteratorINS9_11use_defaultEEEfNS9_4plusIvEEfEEDaPvRmT3_T4_T5_mT6_P12ihipStream_tbENKUlT_T0_E_clISt17integral_constantIbLb0EESW_IbLb1EEEEDaSS_ST_EUlSS_E0_NS1_11comp_targetILNS1_3genE2ELNS1_11target_archE906ELNS1_3gpuE6ELNS1_3repE0EEENS1_30default_config_static_selectorELNS0_4arch9wavefront6targetE1EEEvT1_: ; @_ZN7rocprim17ROCPRIM_400000_NS6detail17trampoline_kernelINS0_14default_configENS1_20scan_config_selectorIfEEZZNS1_9scan_implILNS1_25lookback_scan_determinismE0ELb1ELb1ES3_N6thrust23THRUST_200600_302600_NS6detail15normal_iteratorINS9_10device_ptrIfEEEENS9_16discard_iteratorINS9_11use_defaultEEEfNS9_4plusIvEEfEEDaPvRmT3_T4_T5_mT6_P12ihipStream_tbENKUlT_T0_E_clISt17integral_constantIbLb0EESW_IbLb1EEEEDaSS_ST_EUlSS_E0_NS1_11comp_targetILNS1_3genE2ELNS1_11target_archE906ELNS1_3gpuE6ELNS1_3repE0EEENS1_30default_config_static_selectorELNS0_4arch9wavefront6targetE1EEEvT1_
; %bb.0:
	.section	.rodata,"a",@progbits
	.p2align	6, 0x0
	.amdhsa_kernel _ZN7rocprim17ROCPRIM_400000_NS6detail17trampoline_kernelINS0_14default_configENS1_20scan_config_selectorIfEEZZNS1_9scan_implILNS1_25lookback_scan_determinismE0ELb1ELb1ES3_N6thrust23THRUST_200600_302600_NS6detail15normal_iteratorINS9_10device_ptrIfEEEENS9_16discard_iteratorINS9_11use_defaultEEEfNS9_4plusIvEEfEEDaPvRmT3_T4_T5_mT6_P12ihipStream_tbENKUlT_T0_E_clISt17integral_constantIbLb0EESW_IbLb1EEEEDaSS_ST_EUlSS_E0_NS1_11comp_targetILNS1_3genE2ELNS1_11target_archE906ELNS1_3gpuE6ELNS1_3repE0EEENS1_30default_config_static_selectorELNS0_4arch9wavefront6targetE1EEEvT1_
		.amdhsa_group_segment_fixed_size 0
		.amdhsa_private_segment_fixed_size 0
		.amdhsa_kernarg_size 40
		.amdhsa_user_sgpr_count 6
		.amdhsa_user_sgpr_private_segment_buffer 1
		.amdhsa_user_sgpr_dispatch_ptr 0
		.amdhsa_user_sgpr_queue_ptr 0
		.amdhsa_user_sgpr_kernarg_segment_ptr 1
		.amdhsa_user_sgpr_dispatch_id 0
		.amdhsa_user_sgpr_flat_scratch_init 0
		.amdhsa_user_sgpr_kernarg_preload_length 0
		.amdhsa_user_sgpr_kernarg_preload_offset 0
		.amdhsa_user_sgpr_private_segment_size 0
		.amdhsa_uses_dynamic_stack 0
		.amdhsa_system_sgpr_private_segment_wavefront_offset 0
		.amdhsa_system_sgpr_workgroup_id_x 1
		.amdhsa_system_sgpr_workgroup_id_y 0
		.amdhsa_system_sgpr_workgroup_id_z 0
		.amdhsa_system_sgpr_workgroup_info 0
		.amdhsa_system_vgpr_workitem_id 0
		.amdhsa_next_free_vgpr 1
		.amdhsa_next_free_sgpr 0
		.amdhsa_accum_offset 4
		.amdhsa_reserve_vcc 0
		.amdhsa_reserve_flat_scratch 0
		.amdhsa_float_round_mode_32 0
		.amdhsa_float_round_mode_16_64 0
		.amdhsa_float_denorm_mode_32 3
		.amdhsa_float_denorm_mode_16_64 3
		.amdhsa_dx10_clamp 1
		.amdhsa_ieee_mode 1
		.amdhsa_fp16_overflow 0
		.amdhsa_tg_split 0
		.amdhsa_exception_fp_ieee_invalid_op 0
		.amdhsa_exception_fp_denorm_src 0
		.amdhsa_exception_fp_ieee_div_zero 0
		.amdhsa_exception_fp_ieee_overflow 0
		.amdhsa_exception_fp_ieee_underflow 0
		.amdhsa_exception_fp_ieee_inexact 0
		.amdhsa_exception_int_div_zero 0
	.end_amdhsa_kernel
	.section	.text._ZN7rocprim17ROCPRIM_400000_NS6detail17trampoline_kernelINS0_14default_configENS1_20scan_config_selectorIfEEZZNS1_9scan_implILNS1_25lookback_scan_determinismE0ELb1ELb1ES3_N6thrust23THRUST_200600_302600_NS6detail15normal_iteratorINS9_10device_ptrIfEEEENS9_16discard_iteratorINS9_11use_defaultEEEfNS9_4plusIvEEfEEDaPvRmT3_T4_T5_mT6_P12ihipStream_tbENKUlT_T0_E_clISt17integral_constantIbLb0EESW_IbLb1EEEEDaSS_ST_EUlSS_E0_NS1_11comp_targetILNS1_3genE2ELNS1_11target_archE906ELNS1_3gpuE6ELNS1_3repE0EEENS1_30default_config_static_selectorELNS0_4arch9wavefront6targetE1EEEvT1_,"axG",@progbits,_ZN7rocprim17ROCPRIM_400000_NS6detail17trampoline_kernelINS0_14default_configENS1_20scan_config_selectorIfEEZZNS1_9scan_implILNS1_25lookback_scan_determinismE0ELb1ELb1ES3_N6thrust23THRUST_200600_302600_NS6detail15normal_iteratorINS9_10device_ptrIfEEEENS9_16discard_iteratorINS9_11use_defaultEEEfNS9_4plusIvEEfEEDaPvRmT3_T4_T5_mT6_P12ihipStream_tbENKUlT_T0_E_clISt17integral_constantIbLb0EESW_IbLb1EEEEDaSS_ST_EUlSS_E0_NS1_11comp_targetILNS1_3genE2ELNS1_11target_archE906ELNS1_3gpuE6ELNS1_3repE0EEENS1_30default_config_static_selectorELNS0_4arch9wavefront6targetE1EEEvT1_,comdat
.Lfunc_end5145:
	.size	_ZN7rocprim17ROCPRIM_400000_NS6detail17trampoline_kernelINS0_14default_configENS1_20scan_config_selectorIfEEZZNS1_9scan_implILNS1_25lookback_scan_determinismE0ELb1ELb1ES3_N6thrust23THRUST_200600_302600_NS6detail15normal_iteratorINS9_10device_ptrIfEEEENS9_16discard_iteratorINS9_11use_defaultEEEfNS9_4plusIvEEfEEDaPvRmT3_T4_T5_mT6_P12ihipStream_tbENKUlT_T0_E_clISt17integral_constantIbLb0EESW_IbLb1EEEEDaSS_ST_EUlSS_E0_NS1_11comp_targetILNS1_3genE2ELNS1_11target_archE906ELNS1_3gpuE6ELNS1_3repE0EEENS1_30default_config_static_selectorELNS0_4arch9wavefront6targetE1EEEvT1_, .Lfunc_end5145-_ZN7rocprim17ROCPRIM_400000_NS6detail17trampoline_kernelINS0_14default_configENS1_20scan_config_selectorIfEEZZNS1_9scan_implILNS1_25lookback_scan_determinismE0ELb1ELb1ES3_N6thrust23THRUST_200600_302600_NS6detail15normal_iteratorINS9_10device_ptrIfEEEENS9_16discard_iteratorINS9_11use_defaultEEEfNS9_4plusIvEEfEEDaPvRmT3_T4_T5_mT6_P12ihipStream_tbENKUlT_T0_E_clISt17integral_constantIbLb0EESW_IbLb1EEEEDaSS_ST_EUlSS_E0_NS1_11comp_targetILNS1_3genE2ELNS1_11target_archE906ELNS1_3gpuE6ELNS1_3repE0EEENS1_30default_config_static_selectorELNS0_4arch9wavefront6targetE1EEEvT1_
                                        ; -- End function
	.section	.AMDGPU.csdata,"",@progbits
; Kernel info:
; codeLenInByte = 0
; NumSgprs: 4
; NumVgprs: 0
; NumAgprs: 0
; TotalNumVgprs: 0
; ScratchSize: 0
; MemoryBound: 0
; FloatMode: 240
; IeeeMode: 1
; LDSByteSize: 0 bytes/workgroup (compile time only)
; SGPRBlocks: 0
; VGPRBlocks: 0
; NumSGPRsForWavesPerEU: 4
; NumVGPRsForWavesPerEU: 1
; AccumOffset: 4
; Occupancy: 8
; WaveLimiterHint : 0
; COMPUTE_PGM_RSRC2:SCRATCH_EN: 0
; COMPUTE_PGM_RSRC2:USER_SGPR: 6
; COMPUTE_PGM_RSRC2:TRAP_HANDLER: 0
; COMPUTE_PGM_RSRC2:TGID_X_EN: 1
; COMPUTE_PGM_RSRC2:TGID_Y_EN: 0
; COMPUTE_PGM_RSRC2:TGID_Z_EN: 0
; COMPUTE_PGM_RSRC2:TIDIG_COMP_CNT: 0
; COMPUTE_PGM_RSRC3_GFX90A:ACCUM_OFFSET: 0
; COMPUTE_PGM_RSRC3_GFX90A:TG_SPLIT: 0
	.section	.text._ZN7rocprim17ROCPRIM_400000_NS6detail17trampoline_kernelINS0_14default_configENS1_20scan_config_selectorIfEEZZNS1_9scan_implILNS1_25lookback_scan_determinismE0ELb1ELb1ES3_N6thrust23THRUST_200600_302600_NS6detail15normal_iteratorINS9_10device_ptrIfEEEENS9_16discard_iteratorINS9_11use_defaultEEEfNS9_4plusIvEEfEEDaPvRmT3_T4_T5_mT6_P12ihipStream_tbENKUlT_T0_E_clISt17integral_constantIbLb0EESW_IbLb1EEEEDaSS_ST_EUlSS_E0_NS1_11comp_targetILNS1_3genE10ELNS1_11target_archE1201ELNS1_3gpuE5ELNS1_3repE0EEENS1_30default_config_static_selectorELNS0_4arch9wavefront6targetE1EEEvT1_,"axG",@progbits,_ZN7rocprim17ROCPRIM_400000_NS6detail17trampoline_kernelINS0_14default_configENS1_20scan_config_selectorIfEEZZNS1_9scan_implILNS1_25lookback_scan_determinismE0ELb1ELb1ES3_N6thrust23THRUST_200600_302600_NS6detail15normal_iteratorINS9_10device_ptrIfEEEENS9_16discard_iteratorINS9_11use_defaultEEEfNS9_4plusIvEEfEEDaPvRmT3_T4_T5_mT6_P12ihipStream_tbENKUlT_T0_E_clISt17integral_constantIbLb0EESW_IbLb1EEEEDaSS_ST_EUlSS_E0_NS1_11comp_targetILNS1_3genE10ELNS1_11target_archE1201ELNS1_3gpuE5ELNS1_3repE0EEENS1_30default_config_static_selectorELNS0_4arch9wavefront6targetE1EEEvT1_,comdat
	.protected	_ZN7rocprim17ROCPRIM_400000_NS6detail17trampoline_kernelINS0_14default_configENS1_20scan_config_selectorIfEEZZNS1_9scan_implILNS1_25lookback_scan_determinismE0ELb1ELb1ES3_N6thrust23THRUST_200600_302600_NS6detail15normal_iteratorINS9_10device_ptrIfEEEENS9_16discard_iteratorINS9_11use_defaultEEEfNS9_4plusIvEEfEEDaPvRmT3_T4_T5_mT6_P12ihipStream_tbENKUlT_T0_E_clISt17integral_constantIbLb0EESW_IbLb1EEEEDaSS_ST_EUlSS_E0_NS1_11comp_targetILNS1_3genE10ELNS1_11target_archE1201ELNS1_3gpuE5ELNS1_3repE0EEENS1_30default_config_static_selectorELNS0_4arch9wavefront6targetE1EEEvT1_ ; -- Begin function _ZN7rocprim17ROCPRIM_400000_NS6detail17trampoline_kernelINS0_14default_configENS1_20scan_config_selectorIfEEZZNS1_9scan_implILNS1_25lookback_scan_determinismE0ELb1ELb1ES3_N6thrust23THRUST_200600_302600_NS6detail15normal_iteratorINS9_10device_ptrIfEEEENS9_16discard_iteratorINS9_11use_defaultEEEfNS9_4plusIvEEfEEDaPvRmT3_T4_T5_mT6_P12ihipStream_tbENKUlT_T0_E_clISt17integral_constantIbLb0EESW_IbLb1EEEEDaSS_ST_EUlSS_E0_NS1_11comp_targetILNS1_3genE10ELNS1_11target_archE1201ELNS1_3gpuE5ELNS1_3repE0EEENS1_30default_config_static_selectorELNS0_4arch9wavefront6targetE1EEEvT1_
	.globl	_ZN7rocprim17ROCPRIM_400000_NS6detail17trampoline_kernelINS0_14default_configENS1_20scan_config_selectorIfEEZZNS1_9scan_implILNS1_25lookback_scan_determinismE0ELb1ELb1ES3_N6thrust23THRUST_200600_302600_NS6detail15normal_iteratorINS9_10device_ptrIfEEEENS9_16discard_iteratorINS9_11use_defaultEEEfNS9_4plusIvEEfEEDaPvRmT3_T4_T5_mT6_P12ihipStream_tbENKUlT_T0_E_clISt17integral_constantIbLb0EESW_IbLb1EEEEDaSS_ST_EUlSS_E0_NS1_11comp_targetILNS1_3genE10ELNS1_11target_archE1201ELNS1_3gpuE5ELNS1_3repE0EEENS1_30default_config_static_selectorELNS0_4arch9wavefront6targetE1EEEvT1_
	.p2align	8
	.type	_ZN7rocprim17ROCPRIM_400000_NS6detail17trampoline_kernelINS0_14default_configENS1_20scan_config_selectorIfEEZZNS1_9scan_implILNS1_25lookback_scan_determinismE0ELb1ELb1ES3_N6thrust23THRUST_200600_302600_NS6detail15normal_iteratorINS9_10device_ptrIfEEEENS9_16discard_iteratorINS9_11use_defaultEEEfNS9_4plusIvEEfEEDaPvRmT3_T4_T5_mT6_P12ihipStream_tbENKUlT_T0_E_clISt17integral_constantIbLb0EESW_IbLb1EEEEDaSS_ST_EUlSS_E0_NS1_11comp_targetILNS1_3genE10ELNS1_11target_archE1201ELNS1_3gpuE5ELNS1_3repE0EEENS1_30default_config_static_selectorELNS0_4arch9wavefront6targetE1EEEvT1_,@function
_ZN7rocprim17ROCPRIM_400000_NS6detail17trampoline_kernelINS0_14default_configENS1_20scan_config_selectorIfEEZZNS1_9scan_implILNS1_25lookback_scan_determinismE0ELb1ELb1ES3_N6thrust23THRUST_200600_302600_NS6detail15normal_iteratorINS9_10device_ptrIfEEEENS9_16discard_iteratorINS9_11use_defaultEEEfNS9_4plusIvEEfEEDaPvRmT3_T4_T5_mT6_P12ihipStream_tbENKUlT_T0_E_clISt17integral_constantIbLb0EESW_IbLb1EEEEDaSS_ST_EUlSS_E0_NS1_11comp_targetILNS1_3genE10ELNS1_11target_archE1201ELNS1_3gpuE5ELNS1_3repE0EEENS1_30default_config_static_selectorELNS0_4arch9wavefront6targetE1EEEvT1_: ; @_ZN7rocprim17ROCPRIM_400000_NS6detail17trampoline_kernelINS0_14default_configENS1_20scan_config_selectorIfEEZZNS1_9scan_implILNS1_25lookback_scan_determinismE0ELb1ELb1ES3_N6thrust23THRUST_200600_302600_NS6detail15normal_iteratorINS9_10device_ptrIfEEEENS9_16discard_iteratorINS9_11use_defaultEEEfNS9_4plusIvEEfEEDaPvRmT3_T4_T5_mT6_P12ihipStream_tbENKUlT_T0_E_clISt17integral_constantIbLb0EESW_IbLb1EEEEDaSS_ST_EUlSS_E0_NS1_11comp_targetILNS1_3genE10ELNS1_11target_archE1201ELNS1_3gpuE5ELNS1_3repE0EEENS1_30default_config_static_selectorELNS0_4arch9wavefront6targetE1EEEvT1_
; %bb.0:
	.section	.rodata,"a",@progbits
	.p2align	6, 0x0
	.amdhsa_kernel _ZN7rocprim17ROCPRIM_400000_NS6detail17trampoline_kernelINS0_14default_configENS1_20scan_config_selectorIfEEZZNS1_9scan_implILNS1_25lookback_scan_determinismE0ELb1ELb1ES3_N6thrust23THRUST_200600_302600_NS6detail15normal_iteratorINS9_10device_ptrIfEEEENS9_16discard_iteratorINS9_11use_defaultEEEfNS9_4plusIvEEfEEDaPvRmT3_T4_T5_mT6_P12ihipStream_tbENKUlT_T0_E_clISt17integral_constantIbLb0EESW_IbLb1EEEEDaSS_ST_EUlSS_E0_NS1_11comp_targetILNS1_3genE10ELNS1_11target_archE1201ELNS1_3gpuE5ELNS1_3repE0EEENS1_30default_config_static_selectorELNS0_4arch9wavefront6targetE1EEEvT1_
		.amdhsa_group_segment_fixed_size 0
		.amdhsa_private_segment_fixed_size 0
		.amdhsa_kernarg_size 40
		.amdhsa_user_sgpr_count 6
		.amdhsa_user_sgpr_private_segment_buffer 1
		.amdhsa_user_sgpr_dispatch_ptr 0
		.amdhsa_user_sgpr_queue_ptr 0
		.amdhsa_user_sgpr_kernarg_segment_ptr 1
		.amdhsa_user_sgpr_dispatch_id 0
		.amdhsa_user_sgpr_flat_scratch_init 0
		.amdhsa_user_sgpr_kernarg_preload_length 0
		.amdhsa_user_sgpr_kernarg_preload_offset 0
		.amdhsa_user_sgpr_private_segment_size 0
		.amdhsa_uses_dynamic_stack 0
		.amdhsa_system_sgpr_private_segment_wavefront_offset 0
		.amdhsa_system_sgpr_workgroup_id_x 1
		.amdhsa_system_sgpr_workgroup_id_y 0
		.amdhsa_system_sgpr_workgroup_id_z 0
		.amdhsa_system_sgpr_workgroup_info 0
		.amdhsa_system_vgpr_workitem_id 0
		.amdhsa_next_free_vgpr 1
		.amdhsa_next_free_sgpr 0
		.amdhsa_accum_offset 4
		.amdhsa_reserve_vcc 0
		.amdhsa_reserve_flat_scratch 0
		.amdhsa_float_round_mode_32 0
		.amdhsa_float_round_mode_16_64 0
		.amdhsa_float_denorm_mode_32 3
		.amdhsa_float_denorm_mode_16_64 3
		.amdhsa_dx10_clamp 1
		.amdhsa_ieee_mode 1
		.amdhsa_fp16_overflow 0
		.amdhsa_tg_split 0
		.amdhsa_exception_fp_ieee_invalid_op 0
		.amdhsa_exception_fp_denorm_src 0
		.amdhsa_exception_fp_ieee_div_zero 0
		.amdhsa_exception_fp_ieee_overflow 0
		.amdhsa_exception_fp_ieee_underflow 0
		.amdhsa_exception_fp_ieee_inexact 0
		.amdhsa_exception_int_div_zero 0
	.end_amdhsa_kernel
	.section	.text._ZN7rocprim17ROCPRIM_400000_NS6detail17trampoline_kernelINS0_14default_configENS1_20scan_config_selectorIfEEZZNS1_9scan_implILNS1_25lookback_scan_determinismE0ELb1ELb1ES3_N6thrust23THRUST_200600_302600_NS6detail15normal_iteratorINS9_10device_ptrIfEEEENS9_16discard_iteratorINS9_11use_defaultEEEfNS9_4plusIvEEfEEDaPvRmT3_T4_T5_mT6_P12ihipStream_tbENKUlT_T0_E_clISt17integral_constantIbLb0EESW_IbLb1EEEEDaSS_ST_EUlSS_E0_NS1_11comp_targetILNS1_3genE10ELNS1_11target_archE1201ELNS1_3gpuE5ELNS1_3repE0EEENS1_30default_config_static_selectorELNS0_4arch9wavefront6targetE1EEEvT1_,"axG",@progbits,_ZN7rocprim17ROCPRIM_400000_NS6detail17trampoline_kernelINS0_14default_configENS1_20scan_config_selectorIfEEZZNS1_9scan_implILNS1_25lookback_scan_determinismE0ELb1ELb1ES3_N6thrust23THRUST_200600_302600_NS6detail15normal_iteratorINS9_10device_ptrIfEEEENS9_16discard_iteratorINS9_11use_defaultEEEfNS9_4plusIvEEfEEDaPvRmT3_T4_T5_mT6_P12ihipStream_tbENKUlT_T0_E_clISt17integral_constantIbLb0EESW_IbLb1EEEEDaSS_ST_EUlSS_E0_NS1_11comp_targetILNS1_3genE10ELNS1_11target_archE1201ELNS1_3gpuE5ELNS1_3repE0EEENS1_30default_config_static_selectorELNS0_4arch9wavefront6targetE1EEEvT1_,comdat
.Lfunc_end5146:
	.size	_ZN7rocprim17ROCPRIM_400000_NS6detail17trampoline_kernelINS0_14default_configENS1_20scan_config_selectorIfEEZZNS1_9scan_implILNS1_25lookback_scan_determinismE0ELb1ELb1ES3_N6thrust23THRUST_200600_302600_NS6detail15normal_iteratorINS9_10device_ptrIfEEEENS9_16discard_iteratorINS9_11use_defaultEEEfNS9_4plusIvEEfEEDaPvRmT3_T4_T5_mT6_P12ihipStream_tbENKUlT_T0_E_clISt17integral_constantIbLb0EESW_IbLb1EEEEDaSS_ST_EUlSS_E0_NS1_11comp_targetILNS1_3genE10ELNS1_11target_archE1201ELNS1_3gpuE5ELNS1_3repE0EEENS1_30default_config_static_selectorELNS0_4arch9wavefront6targetE1EEEvT1_, .Lfunc_end5146-_ZN7rocprim17ROCPRIM_400000_NS6detail17trampoline_kernelINS0_14default_configENS1_20scan_config_selectorIfEEZZNS1_9scan_implILNS1_25lookback_scan_determinismE0ELb1ELb1ES3_N6thrust23THRUST_200600_302600_NS6detail15normal_iteratorINS9_10device_ptrIfEEEENS9_16discard_iteratorINS9_11use_defaultEEEfNS9_4plusIvEEfEEDaPvRmT3_T4_T5_mT6_P12ihipStream_tbENKUlT_T0_E_clISt17integral_constantIbLb0EESW_IbLb1EEEEDaSS_ST_EUlSS_E0_NS1_11comp_targetILNS1_3genE10ELNS1_11target_archE1201ELNS1_3gpuE5ELNS1_3repE0EEENS1_30default_config_static_selectorELNS0_4arch9wavefront6targetE1EEEvT1_
                                        ; -- End function
	.section	.AMDGPU.csdata,"",@progbits
; Kernel info:
; codeLenInByte = 0
; NumSgprs: 4
; NumVgprs: 0
; NumAgprs: 0
; TotalNumVgprs: 0
; ScratchSize: 0
; MemoryBound: 0
; FloatMode: 240
; IeeeMode: 1
; LDSByteSize: 0 bytes/workgroup (compile time only)
; SGPRBlocks: 0
; VGPRBlocks: 0
; NumSGPRsForWavesPerEU: 4
; NumVGPRsForWavesPerEU: 1
; AccumOffset: 4
; Occupancy: 8
; WaveLimiterHint : 0
; COMPUTE_PGM_RSRC2:SCRATCH_EN: 0
; COMPUTE_PGM_RSRC2:USER_SGPR: 6
; COMPUTE_PGM_RSRC2:TRAP_HANDLER: 0
; COMPUTE_PGM_RSRC2:TGID_X_EN: 1
; COMPUTE_PGM_RSRC2:TGID_Y_EN: 0
; COMPUTE_PGM_RSRC2:TGID_Z_EN: 0
; COMPUTE_PGM_RSRC2:TIDIG_COMP_CNT: 0
; COMPUTE_PGM_RSRC3_GFX90A:ACCUM_OFFSET: 0
; COMPUTE_PGM_RSRC3_GFX90A:TG_SPLIT: 0
	.section	.text._ZN7rocprim17ROCPRIM_400000_NS6detail17trampoline_kernelINS0_14default_configENS1_20scan_config_selectorIfEEZZNS1_9scan_implILNS1_25lookback_scan_determinismE0ELb1ELb1ES3_N6thrust23THRUST_200600_302600_NS6detail15normal_iteratorINS9_10device_ptrIfEEEENS9_16discard_iteratorINS9_11use_defaultEEEfNS9_4plusIvEEfEEDaPvRmT3_T4_T5_mT6_P12ihipStream_tbENKUlT_T0_E_clISt17integral_constantIbLb0EESW_IbLb1EEEEDaSS_ST_EUlSS_E0_NS1_11comp_targetILNS1_3genE10ELNS1_11target_archE1200ELNS1_3gpuE4ELNS1_3repE0EEENS1_30default_config_static_selectorELNS0_4arch9wavefront6targetE1EEEvT1_,"axG",@progbits,_ZN7rocprim17ROCPRIM_400000_NS6detail17trampoline_kernelINS0_14default_configENS1_20scan_config_selectorIfEEZZNS1_9scan_implILNS1_25lookback_scan_determinismE0ELb1ELb1ES3_N6thrust23THRUST_200600_302600_NS6detail15normal_iteratorINS9_10device_ptrIfEEEENS9_16discard_iteratorINS9_11use_defaultEEEfNS9_4plusIvEEfEEDaPvRmT3_T4_T5_mT6_P12ihipStream_tbENKUlT_T0_E_clISt17integral_constantIbLb0EESW_IbLb1EEEEDaSS_ST_EUlSS_E0_NS1_11comp_targetILNS1_3genE10ELNS1_11target_archE1200ELNS1_3gpuE4ELNS1_3repE0EEENS1_30default_config_static_selectorELNS0_4arch9wavefront6targetE1EEEvT1_,comdat
	.protected	_ZN7rocprim17ROCPRIM_400000_NS6detail17trampoline_kernelINS0_14default_configENS1_20scan_config_selectorIfEEZZNS1_9scan_implILNS1_25lookback_scan_determinismE0ELb1ELb1ES3_N6thrust23THRUST_200600_302600_NS6detail15normal_iteratorINS9_10device_ptrIfEEEENS9_16discard_iteratorINS9_11use_defaultEEEfNS9_4plusIvEEfEEDaPvRmT3_T4_T5_mT6_P12ihipStream_tbENKUlT_T0_E_clISt17integral_constantIbLb0EESW_IbLb1EEEEDaSS_ST_EUlSS_E0_NS1_11comp_targetILNS1_3genE10ELNS1_11target_archE1200ELNS1_3gpuE4ELNS1_3repE0EEENS1_30default_config_static_selectorELNS0_4arch9wavefront6targetE1EEEvT1_ ; -- Begin function _ZN7rocprim17ROCPRIM_400000_NS6detail17trampoline_kernelINS0_14default_configENS1_20scan_config_selectorIfEEZZNS1_9scan_implILNS1_25lookback_scan_determinismE0ELb1ELb1ES3_N6thrust23THRUST_200600_302600_NS6detail15normal_iteratorINS9_10device_ptrIfEEEENS9_16discard_iteratorINS9_11use_defaultEEEfNS9_4plusIvEEfEEDaPvRmT3_T4_T5_mT6_P12ihipStream_tbENKUlT_T0_E_clISt17integral_constantIbLb0EESW_IbLb1EEEEDaSS_ST_EUlSS_E0_NS1_11comp_targetILNS1_3genE10ELNS1_11target_archE1200ELNS1_3gpuE4ELNS1_3repE0EEENS1_30default_config_static_selectorELNS0_4arch9wavefront6targetE1EEEvT1_
	.globl	_ZN7rocprim17ROCPRIM_400000_NS6detail17trampoline_kernelINS0_14default_configENS1_20scan_config_selectorIfEEZZNS1_9scan_implILNS1_25lookback_scan_determinismE0ELb1ELb1ES3_N6thrust23THRUST_200600_302600_NS6detail15normal_iteratorINS9_10device_ptrIfEEEENS9_16discard_iteratorINS9_11use_defaultEEEfNS9_4plusIvEEfEEDaPvRmT3_T4_T5_mT6_P12ihipStream_tbENKUlT_T0_E_clISt17integral_constantIbLb0EESW_IbLb1EEEEDaSS_ST_EUlSS_E0_NS1_11comp_targetILNS1_3genE10ELNS1_11target_archE1200ELNS1_3gpuE4ELNS1_3repE0EEENS1_30default_config_static_selectorELNS0_4arch9wavefront6targetE1EEEvT1_
	.p2align	8
	.type	_ZN7rocprim17ROCPRIM_400000_NS6detail17trampoline_kernelINS0_14default_configENS1_20scan_config_selectorIfEEZZNS1_9scan_implILNS1_25lookback_scan_determinismE0ELb1ELb1ES3_N6thrust23THRUST_200600_302600_NS6detail15normal_iteratorINS9_10device_ptrIfEEEENS9_16discard_iteratorINS9_11use_defaultEEEfNS9_4plusIvEEfEEDaPvRmT3_T4_T5_mT6_P12ihipStream_tbENKUlT_T0_E_clISt17integral_constantIbLb0EESW_IbLb1EEEEDaSS_ST_EUlSS_E0_NS1_11comp_targetILNS1_3genE10ELNS1_11target_archE1200ELNS1_3gpuE4ELNS1_3repE0EEENS1_30default_config_static_selectorELNS0_4arch9wavefront6targetE1EEEvT1_,@function
_ZN7rocprim17ROCPRIM_400000_NS6detail17trampoline_kernelINS0_14default_configENS1_20scan_config_selectorIfEEZZNS1_9scan_implILNS1_25lookback_scan_determinismE0ELb1ELb1ES3_N6thrust23THRUST_200600_302600_NS6detail15normal_iteratorINS9_10device_ptrIfEEEENS9_16discard_iteratorINS9_11use_defaultEEEfNS9_4plusIvEEfEEDaPvRmT3_T4_T5_mT6_P12ihipStream_tbENKUlT_T0_E_clISt17integral_constantIbLb0EESW_IbLb1EEEEDaSS_ST_EUlSS_E0_NS1_11comp_targetILNS1_3genE10ELNS1_11target_archE1200ELNS1_3gpuE4ELNS1_3repE0EEENS1_30default_config_static_selectorELNS0_4arch9wavefront6targetE1EEEvT1_: ; @_ZN7rocprim17ROCPRIM_400000_NS6detail17trampoline_kernelINS0_14default_configENS1_20scan_config_selectorIfEEZZNS1_9scan_implILNS1_25lookback_scan_determinismE0ELb1ELb1ES3_N6thrust23THRUST_200600_302600_NS6detail15normal_iteratorINS9_10device_ptrIfEEEENS9_16discard_iteratorINS9_11use_defaultEEEfNS9_4plusIvEEfEEDaPvRmT3_T4_T5_mT6_P12ihipStream_tbENKUlT_T0_E_clISt17integral_constantIbLb0EESW_IbLb1EEEEDaSS_ST_EUlSS_E0_NS1_11comp_targetILNS1_3genE10ELNS1_11target_archE1200ELNS1_3gpuE4ELNS1_3repE0EEENS1_30default_config_static_selectorELNS0_4arch9wavefront6targetE1EEEvT1_
; %bb.0:
	.section	.rodata,"a",@progbits
	.p2align	6, 0x0
	.amdhsa_kernel _ZN7rocprim17ROCPRIM_400000_NS6detail17trampoline_kernelINS0_14default_configENS1_20scan_config_selectorIfEEZZNS1_9scan_implILNS1_25lookback_scan_determinismE0ELb1ELb1ES3_N6thrust23THRUST_200600_302600_NS6detail15normal_iteratorINS9_10device_ptrIfEEEENS9_16discard_iteratorINS9_11use_defaultEEEfNS9_4plusIvEEfEEDaPvRmT3_T4_T5_mT6_P12ihipStream_tbENKUlT_T0_E_clISt17integral_constantIbLb0EESW_IbLb1EEEEDaSS_ST_EUlSS_E0_NS1_11comp_targetILNS1_3genE10ELNS1_11target_archE1200ELNS1_3gpuE4ELNS1_3repE0EEENS1_30default_config_static_selectorELNS0_4arch9wavefront6targetE1EEEvT1_
		.amdhsa_group_segment_fixed_size 0
		.amdhsa_private_segment_fixed_size 0
		.amdhsa_kernarg_size 40
		.amdhsa_user_sgpr_count 6
		.amdhsa_user_sgpr_private_segment_buffer 1
		.amdhsa_user_sgpr_dispatch_ptr 0
		.amdhsa_user_sgpr_queue_ptr 0
		.amdhsa_user_sgpr_kernarg_segment_ptr 1
		.amdhsa_user_sgpr_dispatch_id 0
		.amdhsa_user_sgpr_flat_scratch_init 0
		.amdhsa_user_sgpr_kernarg_preload_length 0
		.amdhsa_user_sgpr_kernarg_preload_offset 0
		.amdhsa_user_sgpr_private_segment_size 0
		.amdhsa_uses_dynamic_stack 0
		.amdhsa_system_sgpr_private_segment_wavefront_offset 0
		.amdhsa_system_sgpr_workgroup_id_x 1
		.amdhsa_system_sgpr_workgroup_id_y 0
		.amdhsa_system_sgpr_workgroup_id_z 0
		.amdhsa_system_sgpr_workgroup_info 0
		.amdhsa_system_vgpr_workitem_id 0
		.amdhsa_next_free_vgpr 1
		.amdhsa_next_free_sgpr 0
		.amdhsa_accum_offset 4
		.amdhsa_reserve_vcc 0
		.amdhsa_reserve_flat_scratch 0
		.amdhsa_float_round_mode_32 0
		.amdhsa_float_round_mode_16_64 0
		.amdhsa_float_denorm_mode_32 3
		.amdhsa_float_denorm_mode_16_64 3
		.amdhsa_dx10_clamp 1
		.amdhsa_ieee_mode 1
		.amdhsa_fp16_overflow 0
		.amdhsa_tg_split 0
		.amdhsa_exception_fp_ieee_invalid_op 0
		.amdhsa_exception_fp_denorm_src 0
		.amdhsa_exception_fp_ieee_div_zero 0
		.amdhsa_exception_fp_ieee_overflow 0
		.amdhsa_exception_fp_ieee_underflow 0
		.amdhsa_exception_fp_ieee_inexact 0
		.amdhsa_exception_int_div_zero 0
	.end_amdhsa_kernel
	.section	.text._ZN7rocprim17ROCPRIM_400000_NS6detail17trampoline_kernelINS0_14default_configENS1_20scan_config_selectorIfEEZZNS1_9scan_implILNS1_25lookback_scan_determinismE0ELb1ELb1ES3_N6thrust23THRUST_200600_302600_NS6detail15normal_iteratorINS9_10device_ptrIfEEEENS9_16discard_iteratorINS9_11use_defaultEEEfNS9_4plusIvEEfEEDaPvRmT3_T4_T5_mT6_P12ihipStream_tbENKUlT_T0_E_clISt17integral_constantIbLb0EESW_IbLb1EEEEDaSS_ST_EUlSS_E0_NS1_11comp_targetILNS1_3genE10ELNS1_11target_archE1200ELNS1_3gpuE4ELNS1_3repE0EEENS1_30default_config_static_selectorELNS0_4arch9wavefront6targetE1EEEvT1_,"axG",@progbits,_ZN7rocprim17ROCPRIM_400000_NS6detail17trampoline_kernelINS0_14default_configENS1_20scan_config_selectorIfEEZZNS1_9scan_implILNS1_25lookback_scan_determinismE0ELb1ELb1ES3_N6thrust23THRUST_200600_302600_NS6detail15normal_iteratorINS9_10device_ptrIfEEEENS9_16discard_iteratorINS9_11use_defaultEEEfNS9_4plusIvEEfEEDaPvRmT3_T4_T5_mT6_P12ihipStream_tbENKUlT_T0_E_clISt17integral_constantIbLb0EESW_IbLb1EEEEDaSS_ST_EUlSS_E0_NS1_11comp_targetILNS1_3genE10ELNS1_11target_archE1200ELNS1_3gpuE4ELNS1_3repE0EEENS1_30default_config_static_selectorELNS0_4arch9wavefront6targetE1EEEvT1_,comdat
.Lfunc_end5147:
	.size	_ZN7rocprim17ROCPRIM_400000_NS6detail17trampoline_kernelINS0_14default_configENS1_20scan_config_selectorIfEEZZNS1_9scan_implILNS1_25lookback_scan_determinismE0ELb1ELb1ES3_N6thrust23THRUST_200600_302600_NS6detail15normal_iteratorINS9_10device_ptrIfEEEENS9_16discard_iteratorINS9_11use_defaultEEEfNS9_4plusIvEEfEEDaPvRmT3_T4_T5_mT6_P12ihipStream_tbENKUlT_T0_E_clISt17integral_constantIbLb0EESW_IbLb1EEEEDaSS_ST_EUlSS_E0_NS1_11comp_targetILNS1_3genE10ELNS1_11target_archE1200ELNS1_3gpuE4ELNS1_3repE0EEENS1_30default_config_static_selectorELNS0_4arch9wavefront6targetE1EEEvT1_, .Lfunc_end5147-_ZN7rocprim17ROCPRIM_400000_NS6detail17trampoline_kernelINS0_14default_configENS1_20scan_config_selectorIfEEZZNS1_9scan_implILNS1_25lookback_scan_determinismE0ELb1ELb1ES3_N6thrust23THRUST_200600_302600_NS6detail15normal_iteratorINS9_10device_ptrIfEEEENS9_16discard_iteratorINS9_11use_defaultEEEfNS9_4plusIvEEfEEDaPvRmT3_T4_T5_mT6_P12ihipStream_tbENKUlT_T0_E_clISt17integral_constantIbLb0EESW_IbLb1EEEEDaSS_ST_EUlSS_E0_NS1_11comp_targetILNS1_3genE10ELNS1_11target_archE1200ELNS1_3gpuE4ELNS1_3repE0EEENS1_30default_config_static_selectorELNS0_4arch9wavefront6targetE1EEEvT1_
                                        ; -- End function
	.section	.AMDGPU.csdata,"",@progbits
; Kernel info:
; codeLenInByte = 0
; NumSgprs: 4
; NumVgprs: 0
; NumAgprs: 0
; TotalNumVgprs: 0
; ScratchSize: 0
; MemoryBound: 0
; FloatMode: 240
; IeeeMode: 1
; LDSByteSize: 0 bytes/workgroup (compile time only)
; SGPRBlocks: 0
; VGPRBlocks: 0
; NumSGPRsForWavesPerEU: 4
; NumVGPRsForWavesPerEU: 1
; AccumOffset: 4
; Occupancy: 8
; WaveLimiterHint : 0
; COMPUTE_PGM_RSRC2:SCRATCH_EN: 0
; COMPUTE_PGM_RSRC2:USER_SGPR: 6
; COMPUTE_PGM_RSRC2:TRAP_HANDLER: 0
; COMPUTE_PGM_RSRC2:TGID_X_EN: 1
; COMPUTE_PGM_RSRC2:TGID_Y_EN: 0
; COMPUTE_PGM_RSRC2:TGID_Z_EN: 0
; COMPUTE_PGM_RSRC2:TIDIG_COMP_CNT: 0
; COMPUTE_PGM_RSRC3_GFX90A:ACCUM_OFFSET: 0
; COMPUTE_PGM_RSRC3_GFX90A:TG_SPLIT: 0
	.section	.text._ZN7rocprim17ROCPRIM_400000_NS6detail17trampoline_kernelINS0_14default_configENS1_20scan_config_selectorIfEEZZNS1_9scan_implILNS1_25lookback_scan_determinismE0ELb1ELb1ES3_N6thrust23THRUST_200600_302600_NS6detail15normal_iteratorINS9_10device_ptrIfEEEENS9_16discard_iteratorINS9_11use_defaultEEEfNS9_4plusIvEEfEEDaPvRmT3_T4_T5_mT6_P12ihipStream_tbENKUlT_T0_E_clISt17integral_constantIbLb0EESW_IbLb1EEEEDaSS_ST_EUlSS_E0_NS1_11comp_targetILNS1_3genE9ELNS1_11target_archE1100ELNS1_3gpuE3ELNS1_3repE0EEENS1_30default_config_static_selectorELNS0_4arch9wavefront6targetE1EEEvT1_,"axG",@progbits,_ZN7rocprim17ROCPRIM_400000_NS6detail17trampoline_kernelINS0_14default_configENS1_20scan_config_selectorIfEEZZNS1_9scan_implILNS1_25lookback_scan_determinismE0ELb1ELb1ES3_N6thrust23THRUST_200600_302600_NS6detail15normal_iteratorINS9_10device_ptrIfEEEENS9_16discard_iteratorINS9_11use_defaultEEEfNS9_4plusIvEEfEEDaPvRmT3_T4_T5_mT6_P12ihipStream_tbENKUlT_T0_E_clISt17integral_constantIbLb0EESW_IbLb1EEEEDaSS_ST_EUlSS_E0_NS1_11comp_targetILNS1_3genE9ELNS1_11target_archE1100ELNS1_3gpuE3ELNS1_3repE0EEENS1_30default_config_static_selectorELNS0_4arch9wavefront6targetE1EEEvT1_,comdat
	.protected	_ZN7rocprim17ROCPRIM_400000_NS6detail17trampoline_kernelINS0_14default_configENS1_20scan_config_selectorIfEEZZNS1_9scan_implILNS1_25lookback_scan_determinismE0ELb1ELb1ES3_N6thrust23THRUST_200600_302600_NS6detail15normal_iteratorINS9_10device_ptrIfEEEENS9_16discard_iteratorINS9_11use_defaultEEEfNS9_4plusIvEEfEEDaPvRmT3_T4_T5_mT6_P12ihipStream_tbENKUlT_T0_E_clISt17integral_constantIbLb0EESW_IbLb1EEEEDaSS_ST_EUlSS_E0_NS1_11comp_targetILNS1_3genE9ELNS1_11target_archE1100ELNS1_3gpuE3ELNS1_3repE0EEENS1_30default_config_static_selectorELNS0_4arch9wavefront6targetE1EEEvT1_ ; -- Begin function _ZN7rocprim17ROCPRIM_400000_NS6detail17trampoline_kernelINS0_14default_configENS1_20scan_config_selectorIfEEZZNS1_9scan_implILNS1_25lookback_scan_determinismE0ELb1ELb1ES3_N6thrust23THRUST_200600_302600_NS6detail15normal_iteratorINS9_10device_ptrIfEEEENS9_16discard_iteratorINS9_11use_defaultEEEfNS9_4plusIvEEfEEDaPvRmT3_T4_T5_mT6_P12ihipStream_tbENKUlT_T0_E_clISt17integral_constantIbLb0EESW_IbLb1EEEEDaSS_ST_EUlSS_E0_NS1_11comp_targetILNS1_3genE9ELNS1_11target_archE1100ELNS1_3gpuE3ELNS1_3repE0EEENS1_30default_config_static_selectorELNS0_4arch9wavefront6targetE1EEEvT1_
	.globl	_ZN7rocprim17ROCPRIM_400000_NS6detail17trampoline_kernelINS0_14default_configENS1_20scan_config_selectorIfEEZZNS1_9scan_implILNS1_25lookback_scan_determinismE0ELb1ELb1ES3_N6thrust23THRUST_200600_302600_NS6detail15normal_iteratorINS9_10device_ptrIfEEEENS9_16discard_iteratorINS9_11use_defaultEEEfNS9_4plusIvEEfEEDaPvRmT3_T4_T5_mT6_P12ihipStream_tbENKUlT_T0_E_clISt17integral_constantIbLb0EESW_IbLb1EEEEDaSS_ST_EUlSS_E0_NS1_11comp_targetILNS1_3genE9ELNS1_11target_archE1100ELNS1_3gpuE3ELNS1_3repE0EEENS1_30default_config_static_selectorELNS0_4arch9wavefront6targetE1EEEvT1_
	.p2align	8
	.type	_ZN7rocprim17ROCPRIM_400000_NS6detail17trampoline_kernelINS0_14default_configENS1_20scan_config_selectorIfEEZZNS1_9scan_implILNS1_25lookback_scan_determinismE0ELb1ELb1ES3_N6thrust23THRUST_200600_302600_NS6detail15normal_iteratorINS9_10device_ptrIfEEEENS9_16discard_iteratorINS9_11use_defaultEEEfNS9_4plusIvEEfEEDaPvRmT3_T4_T5_mT6_P12ihipStream_tbENKUlT_T0_E_clISt17integral_constantIbLb0EESW_IbLb1EEEEDaSS_ST_EUlSS_E0_NS1_11comp_targetILNS1_3genE9ELNS1_11target_archE1100ELNS1_3gpuE3ELNS1_3repE0EEENS1_30default_config_static_selectorELNS0_4arch9wavefront6targetE1EEEvT1_,@function
_ZN7rocprim17ROCPRIM_400000_NS6detail17trampoline_kernelINS0_14default_configENS1_20scan_config_selectorIfEEZZNS1_9scan_implILNS1_25lookback_scan_determinismE0ELb1ELb1ES3_N6thrust23THRUST_200600_302600_NS6detail15normal_iteratorINS9_10device_ptrIfEEEENS9_16discard_iteratorINS9_11use_defaultEEEfNS9_4plusIvEEfEEDaPvRmT3_T4_T5_mT6_P12ihipStream_tbENKUlT_T0_E_clISt17integral_constantIbLb0EESW_IbLb1EEEEDaSS_ST_EUlSS_E0_NS1_11comp_targetILNS1_3genE9ELNS1_11target_archE1100ELNS1_3gpuE3ELNS1_3repE0EEENS1_30default_config_static_selectorELNS0_4arch9wavefront6targetE1EEEvT1_: ; @_ZN7rocprim17ROCPRIM_400000_NS6detail17trampoline_kernelINS0_14default_configENS1_20scan_config_selectorIfEEZZNS1_9scan_implILNS1_25lookback_scan_determinismE0ELb1ELb1ES3_N6thrust23THRUST_200600_302600_NS6detail15normal_iteratorINS9_10device_ptrIfEEEENS9_16discard_iteratorINS9_11use_defaultEEEfNS9_4plusIvEEfEEDaPvRmT3_T4_T5_mT6_P12ihipStream_tbENKUlT_T0_E_clISt17integral_constantIbLb0EESW_IbLb1EEEEDaSS_ST_EUlSS_E0_NS1_11comp_targetILNS1_3genE9ELNS1_11target_archE1100ELNS1_3gpuE3ELNS1_3repE0EEENS1_30default_config_static_selectorELNS0_4arch9wavefront6targetE1EEEvT1_
; %bb.0:
	.section	.rodata,"a",@progbits
	.p2align	6, 0x0
	.amdhsa_kernel _ZN7rocprim17ROCPRIM_400000_NS6detail17trampoline_kernelINS0_14default_configENS1_20scan_config_selectorIfEEZZNS1_9scan_implILNS1_25lookback_scan_determinismE0ELb1ELb1ES3_N6thrust23THRUST_200600_302600_NS6detail15normal_iteratorINS9_10device_ptrIfEEEENS9_16discard_iteratorINS9_11use_defaultEEEfNS9_4plusIvEEfEEDaPvRmT3_T4_T5_mT6_P12ihipStream_tbENKUlT_T0_E_clISt17integral_constantIbLb0EESW_IbLb1EEEEDaSS_ST_EUlSS_E0_NS1_11comp_targetILNS1_3genE9ELNS1_11target_archE1100ELNS1_3gpuE3ELNS1_3repE0EEENS1_30default_config_static_selectorELNS0_4arch9wavefront6targetE1EEEvT1_
		.amdhsa_group_segment_fixed_size 0
		.amdhsa_private_segment_fixed_size 0
		.amdhsa_kernarg_size 40
		.amdhsa_user_sgpr_count 6
		.amdhsa_user_sgpr_private_segment_buffer 1
		.amdhsa_user_sgpr_dispatch_ptr 0
		.amdhsa_user_sgpr_queue_ptr 0
		.amdhsa_user_sgpr_kernarg_segment_ptr 1
		.amdhsa_user_sgpr_dispatch_id 0
		.amdhsa_user_sgpr_flat_scratch_init 0
		.amdhsa_user_sgpr_kernarg_preload_length 0
		.amdhsa_user_sgpr_kernarg_preload_offset 0
		.amdhsa_user_sgpr_private_segment_size 0
		.amdhsa_uses_dynamic_stack 0
		.amdhsa_system_sgpr_private_segment_wavefront_offset 0
		.amdhsa_system_sgpr_workgroup_id_x 1
		.amdhsa_system_sgpr_workgroup_id_y 0
		.amdhsa_system_sgpr_workgroup_id_z 0
		.amdhsa_system_sgpr_workgroup_info 0
		.amdhsa_system_vgpr_workitem_id 0
		.amdhsa_next_free_vgpr 1
		.amdhsa_next_free_sgpr 0
		.amdhsa_accum_offset 4
		.amdhsa_reserve_vcc 0
		.amdhsa_reserve_flat_scratch 0
		.amdhsa_float_round_mode_32 0
		.amdhsa_float_round_mode_16_64 0
		.amdhsa_float_denorm_mode_32 3
		.amdhsa_float_denorm_mode_16_64 3
		.amdhsa_dx10_clamp 1
		.amdhsa_ieee_mode 1
		.amdhsa_fp16_overflow 0
		.amdhsa_tg_split 0
		.amdhsa_exception_fp_ieee_invalid_op 0
		.amdhsa_exception_fp_denorm_src 0
		.amdhsa_exception_fp_ieee_div_zero 0
		.amdhsa_exception_fp_ieee_overflow 0
		.amdhsa_exception_fp_ieee_underflow 0
		.amdhsa_exception_fp_ieee_inexact 0
		.amdhsa_exception_int_div_zero 0
	.end_amdhsa_kernel
	.section	.text._ZN7rocprim17ROCPRIM_400000_NS6detail17trampoline_kernelINS0_14default_configENS1_20scan_config_selectorIfEEZZNS1_9scan_implILNS1_25lookback_scan_determinismE0ELb1ELb1ES3_N6thrust23THRUST_200600_302600_NS6detail15normal_iteratorINS9_10device_ptrIfEEEENS9_16discard_iteratorINS9_11use_defaultEEEfNS9_4plusIvEEfEEDaPvRmT3_T4_T5_mT6_P12ihipStream_tbENKUlT_T0_E_clISt17integral_constantIbLb0EESW_IbLb1EEEEDaSS_ST_EUlSS_E0_NS1_11comp_targetILNS1_3genE9ELNS1_11target_archE1100ELNS1_3gpuE3ELNS1_3repE0EEENS1_30default_config_static_selectorELNS0_4arch9wavefront6targetE1EEEvT1_,"axG",@progbits,_ZN7rocprim17ROCPRIM_400000_NS6detail17trampoline_kernelINS0_14default_configENS1_20scan_config_selectorIfEEZZNS1_9scan_implILNS1_25lookback_scan_determinismE0ELb1ELb1ES3_N6thrust23THRUST_200600_302600_NS6detail15normal_iteratorINS9_10device_ptrIfEEEENS9_16discard_iteratorINS9_11use_defaultEEEfNS9_4plusIvEEfEEDaPvRmT3_T4_T5_mT6_P12ihipStream_tbENKUlT_T0_E_clISt17integral_constantIbLb0EESW_IbLb1EEEEDaSS_ST_EUlSS_E0_NS1_11comp_targetILNS1_3genE9ELNS1_11target_archE1100ELNS1_3gpuE3ELNS1_3repE0EEENS1_30default_config_static_selectorELNS0_4arch9wavefront6targetE1EEEvT1_,comdat
.Lfunc_end5148:
	.size	_ZN7rocprim17ROCPRIM_400000_NS6detail17trampoline_kernelINS0_14default_configENS1_20scan_config_selectorIfEEZZNS1_9scan_implILNS1_25lookback_scan_determinismE0ELb1ELb1ES3_N6thrust23THRUST_200600_302600_NS6detail15normal_iteratorINS9_10device_ptrIfEEEENS9_16discard_iteratorINS9_11use_defaultEEEfNS9_4plusIvEEfEEDaPvRmT3_T4_T5_mT6_P12ihipStream_tbENKUlT_T0_E_clISt17integral_constantIbLb0EESW_IbLb1EEEEDaSS_ST_EUlSS_E0_NS1_11comp_targetILNS1_3genE9ELNS1_11target_archE1100ELNS1_3gpuE3ELNS1_3repE0EEENS1_30default_config_static_selectorELNS0_4arch9wavefront6targetE1EEEvT1_, .Lfunc_end5148-_ZN7rocprim17ROCPRIM_400000_NS6detail17trampoline_kernelINS0_14default_configENS1_20scan_config_selectorIfEEZZNS1_9scan_implILNS1_25lookback_scan_determinismE0ELb1ELb1ES3_N6thrust23THRUST_200600_302600_NS6detail15normal_iteratorINS9_10device_ptrIfEEEENS9_16discard_iteratorINS9_11use_defaultEEEfNS9_4plusIvEEfEEDaPvRmT3_T4_T5_mT6_P12ihipStream_tbENKUlT_T0_E_clISt17integral_constantIbLb0EESW_IbLb1EEEEDaSS_ST_EUlSS_E0_NS1_11comp_targetILNS1_3genE9ELNS1_11target_archE1100ELNS1_3gpuE3ELNS1_3repE0EEENS1_30default_config_static_selectorELNS0_4arch9wavefront6targetE1EEEvT1_
                                        ; -- End function
	.section	.AMDGPU.csdata,"",@progbits
; Kernel info:
; codeLenInByte = 0
; NumSgprs: 4
; NumVgprs: 0
; NumAgprs: 0
; TotalNumVgprs: 0
; ScratchSize: 0
; MemoryBound: 0
; FloatMode: 240
; IeeeMode: 1
; LDSByteSize: 0 bytes/workgroup (compile time only)
; SGPRBlocks: 0
; VGPRBlocks: 0
; NumSGPRsForWavesPerEU: 4
; NumVGPRsForWavesPerEU: 1
; AccumOffset: 4
; Occupancy: 8
; WaveLimiterHint : 0
; COMPUTE_PGM_RSRC2:SCRATCH_EN: 0
; COMPUTE_PGM_RSRC2:USER_SGPR: 6
; COMPUTE_PGM_RSRC2:TRAP_HANDLER: 0
; COMPUTE_PGM_RSRC2:TGID_X_EN: 1
; COMPUTE_PGM_RSRC2:TGID_Y_EN: 0
; COMPUTE_PGM_RSRC2:TGID_Z_EN: 0
; COMPUTE_PGM_RSRC2:TIDIG_COMP_CNT: 0
; COMPUTE_PGM_RSRC3_GFX90A:ACCUM_OFFSET: 0
; COMPUTE_PGM_RSRC3_GFX90A:TG_SPLIT: 0
	.section	.text._ZN7rocprim17ROCPRIM_400000_NS6detail17trampoline_kernelINS0_14default_configENS1_20scan_config_selectorIfEEZZNS1_9scan_implILNS1_25lookback_scan_determinismE0ELb1ELb1ES3_N6thrust23THRUST_200600_302600_NS6detail15normal_iteratorINS9_10device_ptrIfEEEENS9_16discard_iteratorINS9_11use_defaultEEEfNS9_4plusIvEEfEEDaPvRmT3_T4_T5_mT6_P12ihipStream_tbENKUlT_T0_E_clISt17integral_constantIbLb0EESW_IbLb1EEEEDaSS_ST_EUlSS_E0_NS1_11comp_targetILNS1_3genE8ELNS1_11target_archE1030ELNS1_3gpuE2ELNS1_3repE0EEENS1_30default_config_static_selectorELNS0_4arch9wavefront6targetE1EEEvT1_,"axG",@progbits,_ZN7rocprim17ROCPRIM_400000_NS6detail17trampoline_kernelINS0_14default_configENS1_20scan_config_selectorIfEEZZNS1_9scan_implILNS1_25lookback_scan_determinismE0ELb1ELb1ES3_N6thrust23THRUST_200600_302600_NS6detail15normal_iteratorINS9_10device_ptrIfEEEENS9_16discard_iteratorINS9_11use_defaultEEEfNS9_4plusIvEEfEEDaPvRmT3_T4_T5_mT6_P12ihipStream_tbENKUlT_T0_E_clISt17integral_constantIbLb0EESW_IbLb1EEEEDaSS_ST_EUlSS_E0_NS1_11comp_targetILNS1_3genE8ELNS1_11target_archE1030ELNS1_3gpuE2ELNS1_3repE0EEENS1_30default_config_static_selectorELNS0_4arch9wavefront6targetE1EEEvT1_,comdat
	.protected	_ZN7rocprim17ROCPRIM_400000_NS6detail17trampoline_kernelINS0_14default_configENS1_20scan_config_selectorIfEEZZNS1_9scan_implILNS1_25lookback_scan_determinismE0ELb1ELb1ES3_N6thrust23THRUST_200600_302600_NS6detail15normal_iteratorINS9_10device_ptrIfEEEENS9_16discard_iteratorINS9_11use_defaultEEEfNS9_4plusIvEEfEEDaPvRmT3_T4_T5_mT6_P12ihipStream_tbENKUlT_T0_E_clISt17integral_constantIbLb0EESW_IbLb1EEEEDaSS_ST_EUlSS_E0_NS1_11comp_targetILNS1_3genE8ELNS1_11target_archE1030ELNS1_3gpuE2ELNS1_3repE0EEENS1_30default_config_static_selectorELNS0_4arch9wavefront6targetE1EEEvT1_ ; -- Begin function _ZN7rocprim17ROCPRIM_400000_NS6detail17trampoline_kernelINS0_14default_configENS1_20scan_config_selectorIfEEZZNS1_9scan_implILNS1_25lookback_scan_determinismE0ELb1ELb1ES3_N6thrust23THRUST_200600_302600_NS6detail15normal_iteratorINS9_10device_ptrIfEEEENS9_16discard_iteratorINS9_11use_defaultEEEfNS9_4plusIvEEfEEDaPvRmT3_T4_T5_mT6_P12ihipStream_tbENKUlT_T0_E_clISt17integral_constantIbLb0EESW_IbLb1EEEEDaSS_ST_EUlSS_E0_NS1_11comp_targetILNS1_3genE8ELNS1_11target_archE1030ELNS1_3gpuE2ELNS1_3repE0EEENS1_30default_config_static_selectorELNS0_4arch9wavefront6targetE1EEEvT1_
	.globl	_ZN7rocprim17ROCPRIM_400000_NS6detail17trampoline_kernelINS0_14default_configENS1_20scan_config_selectorIfEEZZNS1_9scan_implILNS1_25lookback_scan_determinismE0ELb1ELb1ES3_N6thrust23THRUST_200600_302600_NS6detail15normal_iteratorINS9_10device_ptrIfEEEENS9_16discard_iteratorINS9_11use_defaultEEEfNS9_4plusIvEEfEEDaPvRmT3_T4_T5_mT6_P12ihipStream_tbENKUlT_T0_E_clISt17integral_constantIbLb0EESW_IbLb1EEEEDaSS_ST_EUlSS_E0_NS1_11comp_targetILNS1_3genE8ELNS1_11target_archE1030ELNS1_3gpuE2ELNS1_3repE0EEENS1_30default_config_static_selectorELNS0_4arch9wavefront6targetE1EEEvT1_
	.p2align	8
	.type	_ZN7rocprim17ROCPRIM_400000_NS6detail17trampoline_kernelINS0_14default_configENS1_20scan_config_selectorIfEEZZNS1_9scan_implILNS1_25lookback_scan_determinismE0ELb1ELb1ES3_N6thrust23THRUST_200600_302600_NS6detail15normal_iteratorINS9_10device_ptrIfEEEENS9_16discard_iteratorINS9_11use_defaultEEEfNS9_4plusIvEEfEEDaPvRmT3_T4_T5_mT6_P12ihipStream_tbENKUlT_T0_E_clISt17integral_constantIbLb0EESW_IbLb1EEEEDaSS_ST_EUlSS_E0_NS1_11comp_targetILNS1_3genE8ELNS1_11target_archE1030ELNS1_3gpuE2ELNS1_3repE0EEENS1_30default_config_static_selectorELNS0_4arch9wavefront6targetE1EEEvT1_,@function
_ZN7rocprim17ROCPRIM_400000_NS6detail17trampoline_kernelINS0_14default_configENS1_20scan_config_selectorIfEEZZNS1_9scan_implILNS1_25lookback_scan_determinismE0ELb1ELb1ES3_N6thrust23THRUST_200600_302600_NS6detail15normal_iteratorINS9_10device_ptrIfEEEENS9_16discard_iteratorINS9_11use_defaultEEEfNS9_4plusIvEEfEEDaPvRmT3_T4_T5_mT6_P12ihipStream_tbENKUlT_T0_E_clISt17integral_constantIbLb0EESW_IbLb1EEEEDaSS_ST_EUlSS_E0_NS1_11comp_targetILNS1_3genE8ELNS1_11target_archE1030ELNS1_3gpuE2ELNS1_3repE0EEENS1_30default_config_static_selectorELNS0_4arch9wavefront6targetE1EEEvT1_: ; @_ZN7rocprim17ROCPRIM_400000_NS6detail17trampoline_kernelINS0_14default_configENS1_20scan_config_selectorIfEEZZNS1_9scan_implILNS1_25lookback_scan_determinismE0ELb1ELb1ES3_N6thrust23THRUST_200600_302600_NS6detail15normal_iteratorINS9_10device_ptrIfEEEENS9_16discard_iteratorINS9_11use_defaultEEEfNS9_4plusIvEEfEEDaPvRmT3_T4_T5_mT6_P12ihipStream_tbENKUlT_T0_E_clISt17integral_constantIbLb0EESW_IbLb1EEEEDaSS_ST_EUlSS_E0_NS1_11comp_targetILNS1_3genE8ELNS1_11target_archE1030ELNS1_3gpuE2ELNS1_3repE0EEENS1_30default_config_static_selectorELNS0_4arch9wavefront6targetE1EEEvT1_
; %bb.0:
	.section	.rodata,"a",@progbits
	.p2align	6, 0x0
	.amdhsa_kernel _ZN7rocprim17ROCPRIM_400000_NS6detail17trampoline_kernelINS0_14default_configENS1_20scan_config_selectorIfEEZZNS1_9scan_implILNS1_25lookback_scan_determinismE0ELb1ELb1ES3_N6thrust23THRUST_200600_302600_NS6detail15normal_iteratorINS9_10device_ptrIfEEEENS9_16discard_iteratorINS9_11use_defaultEEEfNS9_4plusIvEEfEEDaPvRmT3_T4_T5_mT6_P12ihipStream_tbENKUlT_T0_E_clISt17integral_constantIbLb0EESW_IbLb1EEEEDaSS_ST_EUlSS_E0_NS1_11comp_targetILNS1_3genE8ELNS1_11target_archE1030ELNS1_3gpuE2ELNS1_3repE0EEENS1_30default_config_static_selectorELNS0_4arch9wavefront6targetE1EEEvT1_
		.amdhsa_group_segment_fixed_size 0
		.amdhsa_private_segment_fixed_size 0
		.amdhsa_kernarg_size 40
		.amdhsa_user_sgpr_count 6
		.amdhsa_user_sgpr_private_segment_buffer 1
		.amdhsa_user_sgpr_dispatch_ptr 0
		.amdhsa_user_sgpr_queue_ptr 0
		.amdhsa_user_sgpr_kernarg_segment_ptr 1
		.amdhsa_user_sgpr_dispatch_id 0
		.amdhsa_user_sgpr_flat_scratch_init 0
		.amdhsa_user_sgpr_kernarg_preload_length 0
		.amdhsa_user_sgpr_kernarg_preload_offset 0
		.amdhsa_user_sgpr_private_segment_size 0
		.amdhsa_uses_dynamic_stack 0
		.amdhsa_system_sgpr_private_segment_wavefront_offset 0
		.amdhsa_system_sgpr_workgroup_id_x 1
		.amdhsa_system_sgpr_workgroup_id_y 0
		.amdhsa_system_sgpr_workgroup_id_z 0
		.amdhsa_system_sgpr_workgroup_info 0
		.amdhsa_system_vgpr_workitem_id 0
		.amdhsa_next_free_vgpr 1
		.amdhsa_next_free_sgpr 0
		.amdhsa_accum_offset 4
		.amdhsa_reserve_vcc 0
		.amdhsa_reserve_flat_scratch 0
		.amdhsa_float_round_mode_32 0
		.amdhsa_float_round_mode_16_64 0
		.amdhsa_float_denorm_mode_32 3
		.amdhsa_float_denorm_mode_16_64 3
		.amdhsa_dx10_clamp 1
		.amdhsa_ieee_mode 1
		.amdhsa_fp16_overflow 0
		.amdhsa_tg_split 0
		.amdhsa_exception_fp_ieee_invalid_op 0
		.amdhsa_exception_fp_denorm_src 0
		.amdhsa_exception_fp_ieee_div_zero 0
		.amdhsa_exception_fp_ieee_overflow 0
		.amdhsa_exception_fp_ieee_underflow 0
		.amdhsa_exception_fp_ieee_inexact 0
		.amdhsa_exception_int_div_zero 0
	.end_amdhsa_kernel
	.section	.text._ZN7rocprim17ROCPRIM_400000_NS6detail17trampoline_kernelINS0_14default_configENS1_20scan_config_selectorIfEEZZNS1_9scan_implILNS1_25lookback_scan_determinismE0ELb1ELb1ES3_N6thrust23THRUST_200600_302600_NS6detail15normal_iteratorINS9_10device_ptrIfEEEENS9_16discard_iteratorINS9_11use_defaultEEEfNS9_4plusIvEEfEEDaPvRmT3_T4_T5_mT6_P12ihipStream_tbENKUlT_T0_E_clISt17integral_constantIbLb0EESW_IbLb1EEEEDaSS_ST_EUlSS_E0_NS1_11comp_targetILNS1_3genE8ELNS1_11target_archE1030ELNS1_3gpuE2ELNS1_3repE0EEENS1_30default_config_static_selectorELNS0_4arch9wavefront6targetE1EEEvT1_,"axG",@progbits,_ZN7rocprim17ROCPRIM_400000_NS6detail17trampoline_kernelINS0_14default_configENS1_20scan_config_selectorIfEEZZNS1_9scan_implILNS1_25lookback_scan_determinismE0ELb1ELb1ES3_N6thrust23THRUST_200600_302600_NS6detail15normal_iteratorINS9_10device_ptrIfEEEENS9_16discard_iteratorINS9_11use_defaultEEEfNS9_4plusIvEEfEEDaPvRmT3_T4_T5_mT6_P12ihipStream_tbENKUlT_T0_E_clISt17integral_constantIbLb0EESW_IbLb1EEEEDaSS_ST_EUlSS_E0_NS1_11comp_targetILNS1_3genE8ELNS1_11target_archE1030ELNS1_3gpuE2ELNS1_3repE0EEENS1_30default_config_static_selectorELNS0_4arch9wavefront6targetE1EEEvT1_,comdat
.Lfunc_end5149:
	.size	_ZN7rocprim17ROCPRIM_400000_NS6detail17trampoline_kernelINS0_14default_configENS1_20scan_config_selectorIfEEZZNS1_9scan_implILNS1_25lookback_scan_determinismE0ELb1ELb1ES3_N6thrust23THRUST_200600_302600_NS6detail15normal_iteratorINS9_10device_ptrIfEEEENS9_16discard_iteratorINS9_11use_defaultEEEfNS9_4plusIvEEfEEDaPvRmT3_T4_T5_mT6_P12ihipStream_tbENKUlT_T0_E_clISt17integral_constantIbLb0EESW_IbLb1EEEEDaSS_ST_EUlSS_E0_NS1_11comp_targetILNS1_3genE8ELNS1_11target_archE1030ELNS1_3gpuE2ELNS1_3repE0EEENS1_30default_config_static_selectorELNS0_4arch9wavefront6targetE1EEEvT1_, .Lfunc_end5149-_ZN7rocprim17ROCPRIM_400000_NS6detail17trampoline_kernelINS0_14default_configENS1_20scan_config_selectorIfEEZZNS1_9scan_implILNS1_25lookback_scan_determinismE0ELb1ELb1ES3_N6thrust23THRUST_200600_302600_NS6detail15normal_iteratorINS9_10device_ptrIfEEEENS9_16discard_iteratorINS9_11use_defaultEEEfNS9_4plusIvEEfEEDaPvRmT3_T4_T5_mT6_P12ihipStream_tbENKUlT_T0_E_clISt17integral_constantIbLb0EESW_IbLb1EEEEDaSS_ST_EUlSS_E0_NS1_11comp_targetILNS1_3genE8ELNS1_11target_archE1030ELNS1_3gpuE2ELNS1_3repE0EEENS1_30default_config_static_selectorELNS0_4arch9wavefront6targetE1EEEvT1_
                                        ; -- End function
	.section	.AMDGPU.csdata,"",@progbits
; Kernel info:
; codeLenInByte = 0
; NumSgprs: 4
; NumVgprs: 0
; NumAgprs: 0
; TotalNumVgprs: 0
; ScratchSize: 0
; MemoryBound: 0
; FloatMode: 240
; IeeeMode: 1
; LDSByteSize: 0 bytes/workgroup (compile time only)
; SGPRBlocks: 0
; VGPRBlocks: 0
; NumSGPRsForWavesPerEU: 4
; NumVGPRsForWavesPerEU: 1
; AccumOffset: 4
; Occupancy: 8
; WaveLimiterHint : 0
; COMPUTE_PGM_RSRC2:SCRATCH_EN: 0
; COMPUTE_PGM_RSRC2:USER_SGPR: 6
; COMPUTE_PGM_RSRC2:TRAP_HANDLER: 0
; COMPUTE_PGM_RSRC2:TGID_X_EN: 1
; COMPUTE_PGM_RSRC2:TGID_Y_EN: 0
; COMPUTE_PGM_RSRC2:TGID_Z_EN: 0
; COMPUTE_PGM_RSRC2:TIDIG_COMP_CNT: 0
; COMPUTE_PGM_RSRC3_GFX90A:ACCUM_OFFSET: 0
; COMPUTE_PGM_RSRC3_GFX90A:TG_SPLIT: 0
	.section	.text._ZN7rocprim17ROCPRIM_400000_NS6detail17trampoline_kernelINS0_14default_configENS1_20scan_config_selectorIyEEZZNS1_9scan_implILNS1_25lookback_scan_determinismE0ELb0ELb0ES3_N6thrust23THRUST_200600_302600_NS6detail15normal_iteratorINS9_10device_ptrIyEEEENS9_16discard_iteratorINS9_11use_defaultEEEyNS9_4plusIvEEyEEDaPvRmT3_T4_T5_mT6_P12ihipStream_tbENKUlT_T0_E_clISt17integral_constantIbLb0EESX_EEDaSS_ST_EUlSS_E_NS1_11comp_targetILNS1_3genE0ELNS1_11target_archE4294967295ELNS1_3gpuE0ELNS1_3repE0EEENS1_30default_config_static_selectorELNS0_4arch9wavefront6targetE1EEEvT1_,"axG",@progbits,_ZN7rocprim17ROCPRIM_400000_NS6detail17trampoline_kernelINS0_14default_configENS1_20scan_config_selectorIyEEZZNS1_9scan_implILNS1_25lookback_scan_determinismE0ELb0ELb0ES3_N6thrust23THRUST_200600_302600_NS6detail15normal_iteratorINS9_10device_ptrIyEEEENS9_16discard_iteratorINS9_11use_defaultEEEyNS9_4plusIvEEyEEDaPvRmT3_T4_T5_mT6_P12ihipStream_tbENKUlT_T0_E_clISt17integral_constantIbLb0EESX_EEDaSS_ST_EUlSS_E_NS1_11comp_targetILNS1_3genE0ELNS1_11target_archE4294967295ELNS1_3gpuE0ELNS1_3repE0EEENS1_30default_config_static_selectorELNS0_4arch9wavefront6targetE1EEEvT1_,comdat
	.protected	_ZN7rocprim17ROCPRIM_400000_NS6detail17trampoline_kernelINS0_14default_configENS1_20scan_config_selectorIyEEZZNS1_9scan_implILNS1_25lookback_scan_determinismE0ELb0ELb0ES3_N6thrust23THRUST_200600_302600_NS6detail15normal_iteratorINS9_10device_ptrIyEEEENS9_16discard_iteratorINS9_11use_defaultEEEyNS9_4plusIvEEyEEDaPvRmT3_T4_T5_mT6_P12ihipStream_tbENKUlT_T0_E_clISt17integral_constantIbLb0EESX_EEDaSS_ST_EUlSS_E_NS1_11comp_targetILNS1_3genE0ELNS1_11target_archE4294967295ELNS1_3gpuE0ELNS1_3repE0EEENS1_30default_config_static_selectorELNS0_4arch9wavefront6targetE1EEEvT1_ ; -- Begin function _ZN7rocprim17ROCPRIM_400000_NS6detail17trampoline_kernelINS0_14default_configENS1_20scan_config_selectorIyEEZZNS1_9scan_implILNS1_25lookback_scan_determinismE0ELb0ELb0ES3_N6thrust23THRUST_200600_302600_NS6detail15normal_iteratorINS9_10device_ptrIyEEEENS9_16discard_iteratorINS9_11use_defaultEEEyNS9_4plusIvEEyEEDaPvRmT3_T4_T5_mT6_P12ihipStream_tbENKUlT_T0_E_clISt17integral_constantIbLb0EESX_EEDaSS_ST_EUlSS_E_NS1_11comp_targetILNS1_3genE0ELNS1_11target_archE4294967295ELNS1_3gpuE0ELNS1_3repE0EEENS1_30default_config_static_selectorELNS0_4arch9wavefront6targetE1EEEvT1_
	.globl	_ZN7rocprim17ROCPRIM_400000_NS6detail17trampoline_kernelINS0_14default_configENS1_20scan_config_selectorIyEEZZNS1_9scan_implILNS1_25lookback_scan_determinismE0ELb0ELb0ES3_N6thrust23THRUST_200600_302600_NS6detail15normal_iteratorINS9_10device_ptrIyEEEENS9_16discard_iteratorINS9_11use_defaultEEEyNS9_4plusIvEEyEEDaPvRmT3_T4_T5_mT6_P12ihipStream_tbENKUlT_T0_E_clISt17integral_constantIbLb0EESX_EEDaSS_ST_EUlSS_E_NS1_11comp_targetILNS1_3genE0ELNS1_11target_archE4294967295ELNS1_3gpuE0ELNS1_3repE0EEENS1_30default_config_static_selectorELNS0_4arch9wavefront6targetE1EEEvT1_
	.p2align	8
	.type	_ZN7rocprim17ROCPRIM_400000_NS6detail17trampoline_kernelINS0_14default_configENS1_20scan_config_selectorIyEEZZNS1_9scan_implILNS1_25lookback_scan_determinismE0ELb0ELb0ES3_N6thrust23THRUST_200600_302600_NS6detail15normal_iteratorINS9_10device_ptrIyEEEENS9_16discard_iteratorINS9_11use_defaultEEEyNS9_4plusIvEEyEEDaPvRmT3_T4_T5_mT6_P12ihipStream_tbENKUlT_T0_E_clISt17integral_constantIbLb0EESX_EEDaSS_ST_EUlSS_E_NS1_11comp_targetILNS1_3genE0ELNS1_11target_archE4294967295ELNS1_3gpuE0ELNS1_3repE0EEENS1_30default_config_static_selectorELNS0_4arch9wavefront6targetE1EEEvT1_,@function
_ZN7rocprim17ROCPRIM_400000_NS6detail17trampoline_kernelINS0_14default_configENS1_20scan_config_selectorIyEEZZNS1_9scan_implILNS1_25lookback_scan_determinismE0ELb0ELb0ES3_N6thrust23THRUST_200600_302600_NS6detail15normal_iteratorINS9_10device_ptrIyEEEENS9_16discard_iteratorINS9_11use_defaultEEEyNS9_4plusIvEEyEEDaPvRmT3_T4_T5_mT6_P12ihipStream_tbENKUlT_T0_E_clISt17integral_constantIbLb0EESX_EEDaSS_ST_EUlSS_E_NS1_11comp_targetILNS1_3genE0ELNS1_11target_archE4294967295ELNS1_3gpuE0ELNS1_3repE0EEENS1_30default_config_static_selectorELNS0_4arch9wavefront6targetE1EEEvT1_: ; @_ZN7rocprim17ROCPRIM_400000_NS6detail17trampoline_kernelINS0_14default_configENS1_20scan_config_selectorIyEEZZNS1_9scan_implILNS1_25lookback_scan_determinismE0ELb0ELb0ES3_N6thrust23THRUST_200600_302600_NS6detail15normal_iteratorINS9_10device_ptrIyEEEENS9_16discard_iteratorINS9_11use_defaultEEEyNS9_4plusIvEEyEEDaPvRmT3_T4_T5_mT6_P12ihipStream_tbENKUlT_T0_E_clISt17integral_constantIbLb0EESX_EEDaSS_ST_EUlSS_E_NS1_11comp_targetILNS1_3genE0ELNS1_11target_archE4294967295ELNS1_3gpuE0ELNS1_3repE0EEENS1_30default_config_static_selectorELNS0_4arch9wavefront6targetE1EEEvT1_
; %bb.0:
	.section	.rodata,"a",@progbits
	.p2align	6, 0x0
	.amdhsa_kernel _ZN7rocprim17ROCPRIM_400000_NS6detail17trampoline_kernelINS0_14default_configENS1_20scan_config_selectorIyEEZZNS1_9scan_implILNS1_25lookback_scan_determinismE0ELb0ELb0ES3_N6thrust23THRUST_200600_302600_NS6detail15normal_iteratorINS9_10device_ptrIyEEEENS9_16discard_iteratorINS9_11use_defaultEEEyNS9_4plusIvEEyEEDaPvRmT3_T4_T5_mT6_P12ihipStream_tbENKUlT_T0_E_clISt17integral_constantIbLb0EESX_EEDaSS_ST_EUlSS_E_NS1_11comp_targetILNS1_3genE0ELNS1_11target_archE4294967295ELNS1_3gpuE0ELNS1_3repE0EEENS1_30default_config_static_selectorELNS0_4arch9wavefront6targetE1EEEvT1_
		.amdhsa_group_segment_fixed_size 0
		.amdhsa_private_segment_fixed_size 0
		.amdhsa_kernarg_size 112
		.amdhsa_user_sgpr_count 6
		.amdhsa_user_sgpr_private_segment_buffer 1
		.amdhsa_user_sgpr_dispatch_ptr 0
		.amdhsa_user_sgpr_queue_ptr 0
		.amdhsa_user_sgpr_kernarg_segment_ptr 1
		.amdhsa_user_sgpr_dispatch_id 0
		.amdhsa_user_sgpr_flat_scratch_init 0
		.amdhsa_user_sgpr_kernarg_preload_length 0
		.amdhsa_user_sgpr_kernarg_preload_offset 0
		.amdhsa_user_sgpr_private_segment_size 0
		.amdhsa_uses_dynamic_stack 0
		.amdhsa_system_sgpr_private_segment_wavefront_offset 0
		.amdhsa_system_sgpr_workgroup_id_x 1
		.amdhsa_system_sgpr_workgroup_id_y 0
		.amdhsa_system_sgpr_workgroup_id_z 0
		.amdhsa_system_sgpr_workgroup_info 0
		.amdhsa_system_vgpr_workitem_id 0
		.amdhsa_next_free_vgpr 1
		.amdhsa_next_free_sgpr 0
		.amdhsa_accum_offset 4
		.amdhsa_reserve_vcc 0
		.amdhsa_reserve_flat_scratch 0
		.amdhsa_float_round_mode_32 0
		.amdhsa_float_round_mode_16_64 0
		.amdhsa_float_denorm_mode_32 3
		.amdhsa_float_denorm_mode_16_64 3
		.amdhsa_dx10_clamp 1
		.amdhsa_ieee_mode 1
		.amdhsa_fp16_overflow 0
		.amdhsa_tg_split 0
		.amdhsa_exception_fp_ieee_invalid_op 0
		.amdhsa_exception_fp_denorm_src 0
		.amdhsa_exception_fp_ieee_div_zero 0
		.amdhsa_exception_fp_ieee_overflow 0
		.amdhsa_exception_fp_ieee_underflow 0
		.amdhsa_exception_fp_ieee_inexact 0
		.amdhsa_exception_int_div_zero 0
	.end_amdhsa_kernel
	.section	.text._ZN7rocprim17ROCPRIM_400000_NS6detail17trampoline_kernelINS0_14default_configENS1_20scan_config_selectorIyEEZZNS1_9scan_implILNS1_25lookback_scan_determinismE0ELb0ELb0ES3_N6thrust23THRUST_200600_302600_NS6detail15normal_iteratorINS9_10device_ptrIyEEEENS9_16discard_iteratorINS9_11use_defaultEEEyNS9_4plusIvEEyEEDaPvRmT3_T4_T5_mT6_P12ihipStream_tbENKUlT_T0_E_clISt17integral_constantIbLb0EESX_EEDaSS_ST_EUlSS_E_NS1_11comp_targetILNS1_3genE0ELNS1_11target_archE4294967295ELNS1_3gpuE0ELNS1_3repE0EEENS1_30default_config_static_selectorELNS0_4arch9wavefront6targetE1EEEvT1_,"axG",@progbits,_ZN7rocprim17ROCPRIM_400000_NS6detail17trampoline_kernelINS0_14default_configENS1_20scan_config_selectorIyEEZZNS1_9scan_implILNS1_25lookback_scan_determinismE0ELb0ELb0ES3_N6thrust23THRUST_200600_302600_NS6detail15normal_iteratorINS9_10device_ptrIyEEEENS9_16discard_iteratorINS9_11use_defaultEEEyNS9_4plusIvEEyEEDaPvRmT3_T4_T5_mT6_P12ihipStream_tbENKUlT_T0_E_clISt17integral_constantIbLb0EESX_EEDaSS_ST_EUlSS_E_NS1_11comp_targetILNS1_3genE0ELNS1_11target_archE4294967295ELNS1_3gpuE0ELNS1_3repE0EEENS1_30default_config_static_selectorELNS0_4arch9wavefront6targetE1EEEvT1_,comdat
.Lfunc_end5150:
	.size	_ZN7rocprim17ROCPRIM_400000_NS6detail17trampoline_kernelINS0_14default_configENS1_20scan_config_selectorIyEEZZNS1_9scan_implILNS1_25lookback_scan_determinismE0ELb0ELb0ES3_N6thrust23THRUST_200600_302600_NS6detail15normal_iteratorINS9_10device_ptrIyEEEENS9_16discard_iteratorINS9_11use_defaultEEEyNS9_4plusIvEEyEEDaPvRmT3_T4_T5_mT6_P12ihipStream_tbENKUlT_T0_E_clISt17integral_constantIbLb0EESX_EEDaSS_ST_EUlSS_E_NS1_11comp_targetILNS1_3genE0ELNS1_11target_archE4294967295ELNS1_3gpuE0ELNS1_3repE0EEENS1_30default_config_static_selectorELNS0_4arch9wavefront6targetE1EEEvT1_, .Lfunc_end5150-_ZN7rocprim17ROCPRIM_400000_NS6detail17trampoline_kernelINS0_14default_configENS1_20scan_config_selectorIyEEZZNS1_9scan_implILNS1_25lookback_scan_determinismE0ELb0ELb0ES3_N6thrust23THRUST_200600_302600_NS6detail15normal_iteratorINS9_10device_ptrIyEEEENS9_16discard_iteratorINS9_11use_defaultEEEyNS9_4plusIvEEyEEDaPvRmT3_T4_T5_mT6_P12ihipStream_tbENKUlT_T0_E_clISt17integral_constantIbLb0EESX_EEDaSS_ST_EUlSS_E_NS1_11comp_targetILNS1_3genE0ELNS1_11target_archE4294967295ELNS1_3gpuE0ELNS1_3repE0EEENS1_30default_config_static_selectorELNS0_4arch9wavefront6targetE1EEEvT1_
                                        ; -- End function
	.section	.AMDGPU.csdata,"",@progbits
; Kernel info:
; codeLenInByte = 0
; NumSgprs: 4
; NumVgprs: 0
; NumAgprs: 0
; TotalNumVgprs: 0
; ScratchSize: 0
; MemoryBound: 0
; FloatMode: 240
; IeeeMode: 1
; LDSByteSize: 0 bytes/workgroup (compile time only)
; SGPRBlocks: 0
; VGPRBlocks: 0
; NumSGPRsForWavesPerEU: 4
; NumVGPRsForWavesPerEU: 1
; AccumOffset: 4
; Occupancy: 8
; WaveLimiterHint : 0
; COMPUTE_PGM_RSRC2:SCRATCH_EN: 0
; COMPUTE_PGM_RSRC2:USER_SGPR: 6
; COMPUTE_PGM_RSRC2:TRAP_HANDLER: 0
; COMPUTE_PGM_RSRC2:TGID_X_EN: 1
; COMPUTE_PGM_RSRC2:TGID_Y_EN: 0
; COMPUTE_PGM_RSRC2:TGID_Z_EN: 0
; COMPUTE_PGM_RSRC2:TIDIG_COMP_CNT: 0
; COMPUTE_PGM_RSRC3_GFX90A:ACCUM_OFFSET: 0
; COMPUTE_PGM_RSRC3_GFX90A:TG_SPLIT: 0
	.section	.text._ZN7rocprim17ROCPRIM_400000_NS6detail17trampoline_kernelINS0_14default_configENS1_20scan_config_selectorIyEEZZNS1_9scan_implILNS1_25lookback_scan_determinismE0ELb0ELb0ES3_N6thrust23THRUST_200600_302600_NS6detail15normal_iteratorINS9_10device_ptrIyEEEENS9_16discard_iteratorINS9_11use_defaultEEEyNS9_4plusIvEEyEEDaPvRmT3_T4_T5_mT6_P12ihipStream_tbENKUlT_T0_E_clISt17integral_constantIbLb0EESX_EEDaSS_ST_EUlSS_E_NS1_11comp_targetILNS1_3genE5ELNS1_11target_archE942ELNS1_3gpuE9ELNS1_3repE0EEENS1_30default_config_static_selectorELNS0_4arch9wavefront6targetE1EEEvT1_,"axG",@progbits,_ZN7rocprim17ROCPRIM_400000_NS6detail17trampoline_kernelINS0_14default_configENS1_20scan_config_selectorIyEEZZNS1_9scan_implILNS1_25lookback_scan_determinismE0ELb0ELb0ES3_N6thrust23THRUST_200600_302600_NS6detail15normal_iteratorINS9_10device_ptrIyEEEENS9_16discard_iteratorINS9_11use_defaultEEEyNS9_4plusIvEEyEEDaPvRmT3_T4_T5_mT6_P12ihipStream_tbENKUlT_T0_E_clISt17integral_constantIbLb0EESX_EEDaSS_ST_EUlSS_E_NS1_11comp_targetILNS1_3genE5ELNS1_11target_archE942ELNS1_3gpuE9ELNS1_3repE0EEENS1_30default_config_static_selectorELNS0_4arch9wavefront6targetE1EEEvT1_,comdat
	.protected	_ZN7rocprim17ROCPRIM_400000_NS6detail17trampoline_kernelINS0_14default_configENS1_20scan_config_selectorIyEEZZNS1_9scan_implILNS1_25lookback_scan_determinismE0ELb0ELb0ES3_N6thrust23THRUST_200600_302600_NS6detail15normal_iteratorINS9_10device_ptrIyEEEENS9_16discard_iteratorINS9_11use_defaultEEEyNS9_4plusIvEEyEEDaPvRmT3_T4_T5_mT6_P12ihipStream_tbENKUlT_T0_E_clISt17integral_constantIbLb0EESX_EEDaSS_ST_EUlSS_E_NS1_11comp_targetILNS1_3genE5ELNS1_11target_archE942ELNS1_3gpuE9ELNS1_3repE0EEENS1_30default_config_static_selectorELNS0_4arch9wavefront6targetE1EEEvT1_ ; -- Begin function _ZN7rocprim17ROCPRIM_400000_NS6detail17trampoline_kernelINS0_14default_configENS1_20scan_config_selectorIyEEZZNS1_9scan_implILNS1_25lookback_scan_determinismE0ELb0ELb0ES3_N6thrust23THRUST_200600_302600_NS6detail15normal_iteratorINS9_10device_ptrIyEEEENS9_16discard_iteratorINS9_11use_defaultEEEyNS9_4plusIvEEyEEDaPvRmT3_T4_T5_mT6_P12ihipStream_tbENKUlT_T0_E_clISt17integral_constantIbLb0EESX_EEDaSS_ST_EUlSS_E_NS1_11comp_targetILNS1_3genE5ELNS1_11target_archE942ELNS1_3gpuE9ELNS1_3repE0EEENS1_30default_config_static_selectorELNS0_4arch9wavefront6targetE1EEEvT1_
	.globl	_ZN7rocprim17ROCPRIM_400000_NS6detail17trampoline_kernelINS0_14default_configENS1_20scan_config_selectorIyEEZZNS1_9scan_implILNS1_25lookback_scan_determinismE0ELb0ELb0ES3_N6thrust23THRUST_200600_302600_NS6detail15normal_iteratorINS9_10device_ptrIyEEEENS9_16discard_iteratorINS9_11use_defaultEEEyNS9_4plusIvEEyEEDaPvRmT3_T4_T5_mT6_P12ihipStream_tbENKUlT_T0_E_clISt17integral_constantIbLb0EESX_EEDaSS_ST_EUlSS_E_NS1_11comp_targetILNS1_3genE5ELNS1_11target_archE942ELNS1_3gpuE9ELNS1_3repE0EEENS1_30default_config_static_selectorELNS0_4arch9wavefront6targetE1EEEvT1_
	.p2align	8
	.type	_ZN7rocprim17ROCPRIM_400000_NS6detail17trampoline_kernelINS0_14default_configENS1_20scan_config_selectorIyEEZZNS1_9scan_implILNS1_25lookback_scan_determinismE0ELb0ELb0ES3_N6thrust23THRUST_200600_302600_NS6detail15normal_iteratorINS9_10device_ptrIyEEEENS9_16discard_iteratorINS9_11use_defaultEEEyNS9_4plusIvEEyEEDaPvRmT3_T4_T5_mT6_P12ihipStream_tbENKUlT_T0_E_clISt17integral_constantIbLb0EESX_EEDaSS_ST_EUlSS_E_NS1_11comp_targetILNS1_3genE5ELNS1_11target_archE942ELNS1_3gpuE9ELNS1_3repE0EEENS1_30default_config_static_selectorELNS0_4arch9wavefront6targetE1EEEvT1_,@function
_ZN7rocprim17ROCPRIM_400000_NS6detail17trampoline_kernelINS0_14default_configENS1_20scan_config_selectorIyEEZZNS1_9scan_implILNS1_25lookback_scan_determinismE0ELb0ELb0ES3_N6thrust23THRUST_200600_302600_NS6detail15normal_iteratorINS9_10device_ptrIyEEEENS9_16discard_iteratorINS9_11use_defaultEEEyNS9_4plusIvEEyEEDaPvRmT3_T4_T5_mT6_P12ihipStream_tbENKUlT_T0_E_clISt17integral_constantIbLb0EESX_EEDaSS_ST_EUlSS_E_NS1_11comp_targetILNS1_3genE5ELNS1_11target_archE942ELNS1_3gpuE9ELNS1_3repE0EEENS1_30default_config_static_selectorELNS0_4arch9wavefront6targetE1EEEvT1_: ; @_ZN7rocprim17ROCPRIM_400000_NS6detail17trampoline_kernelINS0_14default_configENS1_20scan_config_selectorIyEEZZNS1_9scan_implILNS1_25lookback_scan_determinismE0ELb0ELb0ES3_N6thrust23THRUST_200600_302600_NS6detail15normal_iteratorINS9_10device_ptrIyEEEENS9_16discard_iteratorINS9_11use_defaultEEEyNS9_4plusIvEEyEEDaPvRmT3_T4_T5_mT6_P12ihipStream_tbENKUlT_T0_E_clISt17integral_constantIbLb0EESX_EEDaSS_ST_EUlSS_E_NS1_11comp_targetILNS1_3genE5ELNS1_11target_archE942ELNS1_3gpuE9ELNS1_3repE0EEENS1_30default_config_static_selectorELNS0_4arch9wavefront6targetE1EEEvT1_
; %bb.0:
	.section	.rodata,"a",@progbits
	.p2align	6, 0x0
	.amdhsa_kernel _ZN7rocprim17ROCPRIM_400000_NS6detail17trampoline_kernelINS0_14default_configENS1_20scan_config_selectorIyEEZZNS1_9scan_implILNS1_25lookback_scan_determinismE0ELb0ELb0ES3_N6thrust23THRUST_200600_302600_NS6detail15normal_iteratorINS9_10device_ptrIyEEEENS9_16discard_iteratorINS9_11use_defaultEEEyNS9_4plusIvEEyEEDaPvRmT3_T4_T5_mT6_P12ihipStream_tbENKUlT_T0_E_clISt17integral_constantIbLb0EESX_EEDaSS_ST_EUlSS_E_NS1_11comp_targetILNS1_3genE5ELNS1_11target_archE942ELNS1_3gpuE9ELNS1_3repE0EEENS1_30default_config_static_selectorELNS0_4arch9wavefront6targetE1EEEvT1_
		.amdhsa_group_segment_fixed_size 0
		.amdhsa_private_segment_fixed_size 0
		.amdhsa_kernarg_size 112
		.amdhsa_user_sgpr_count 6
		.amdhsa_user_sgpr_private_segment_buffer 1
		.amdhsa_user_sgpr_dispatch_ptr 0
		.amdhsa_user_sgpr_queue_ptr 0
		.amdhsa_user_sgpr_kernarg_segment_ptr 1
		.amdhsa_user_sgpr_dispatch_id 0
		.amdhsa_user_sgpr_flat_scratch_init 0
		.amdhsa_user_sgpr_kernarg_preload_length 0
		.amdhsa_user_sgpr_kernarg_preload_offset 0
		.amdhsa_user_sgpr_private_segment_size 0
		.amdhsa_uses_dynamic_stack 0
		.amdhsa_system_sgpr_private_segment_wavefront_offset 0
		.amdhsa_system_sgpr_workgroup_id_x 1
		.amdhsa_system_sgpr_workgroup_id_y 0
		.amdhsa_system_sgpr_workgroup_id_z 0
		.amdhsa_system_sgpr_workgroup_info 0
		.amdhsa_system_vgpr_workitem_id 0
		.amdhsa_next_free_vgpr 1
		.amdhsa_next_free_sgpr 0
		.amdhsa_accum_offset 4
		.amdhsa_reserve_vcc 0
		.amdhsa_reserve_flat_scratch 0
		.amdhsa_float_round_mode_32 0
		.amdhsa_float_round_mode_16_64 0
		.amdhsa_float_denorm_mode_32 3
		.amdhsa_float_denorm_mode_16_64 3
		.amdhsa_dx10_clamp 1
		.amdhsa_ieee_mode 1
		.amdhsa_fp16_overflow 0
		.amdhsa_tg_split 0
		.amdhsa_exception_fp_ieee_invalid_op 0
		.amdhsa_exception_fp_denorm_src 0
		.amdhsa_exception_fp_ieee_div_zero 0
		.amdhsa_exception_fp_ieee_overflow 0
		.amdhsa_exception_fp_ieee_underflow 0
		.amdhsa_exception_fp_ieee_inexact 0
		.amdhsa_exception_int_div_zero 0
	.end_amdhsa_kernel
	.section	.text._ZN7rocprim17ROCPRIM_400000_NS6detail17trampoline_kernelINS0_14default_configENS1_20scan_config_selectorIyEEZZNS1_9scan_implILNS1_25lookback_scan_determinismE0ELb0ELb0ES3_N6thrust23THRUST_200600_302600_NS6detail15normal_iteratorINS9_10device_ptrIyEEEENS9_16discard_iteratorINS9_11use_defaultEEEyNS9_4plusIvEEyEEDaPvRmT3_T4_T5_mT6_P12ihipStream_tbENKUlT_T0_E_clISt17integral_constantIbLb0EESX_EEDaSS_ST_EUlSS_E_NS1_11comp_targetILNS1_3genE5ELNS1_11target_archE942ELNS1_3gpuE9ELNS1_3repE0EEENS1_30default_config_static_selectorELNS0_4arch9wavefront6targetE1EEEvT1_,"axG",@progbits,_ZN7rocprim17ROCPRIM_400000_NS6detail17trampoline_kernelINS0_14default_configENS1_20scan_config_selectorIyEEZZNS1_9scan_implILNS1_25lookback_scan_determinismE0ELb0ELb0ES3_N6thrust23THRUST_200600_302600_NS6detail15normal_iteratorINS9_10device_ptrIyEEEENS9_16discard_iteratorINS9_11use_defaultEEEyNS9_4plusIvEEyEEDaPvRmT3_T4_T5_mT6_P12ihipStream_tbENKUlT_T0_E_clISt17integral_constantIbLb0EESX_EEDaSS_ST_EUlSS_E_NS1_11comp_targetILNS1_3genE5ELNS1_11target_archE942ELNS1_3gpuE9ELNS1_3repE0EEENS1_30default_config_static_selectorELNS0_4arch9wavefront6targetE1EEEvT1_,comdat
.Lfunc_end5151:
	.size	_ZN7rocprim17ROCPRIM_400000_NS6detail17trampoline_kernelINS0_14default_configENS1_20scan_config_selectorIyEEZZNS1_9scan_implILNS1_25lookback_scan_determinismE0ELb0ELb0ES3_N6thrust23THRUST_200600_302600_NS6detail15normal_iteratorINS9_10device_ptrIyEEEENS9_16discard_iteratorINS9_11use_defaultEEEyNS9_4plusIvEEyEEDaPvRmT3_T4_T5_mT6_P12ihipStream_tbENKUlT_T0_E_clISt17integral_constantIbLb0EESX_EEDaSS_ST_EUlSS_E_NS1_11comp_targetILNS1_3genE5ELNS1_11target_archE942ELNS1_3gpuE9ELNS1_3repE0EEENS1_30default_config_static_selectorELNS0_4arch9wavefront6targetE1EEEvT1_, .Lfunc_end5151-_ZN7rocprim17ROCPRIM_400000_NS6detail17trampoline_kernelINS0_14default_configENS1_20scan_config_selectorIyEEZZNS1_9scan_implILNS1_25lookback_scan_determinismE0ELb0ELb0ES3_N6thrust23THRUST_200600_302600_NS6detail15normal_iteratorINS9_10device_ptrIyEEEENS9_16discard_iteratorINS9_11use_defaultEEEyNS9_4plusIvEEyEEDaPvRmT3_T4_T5_mT6_P12ihipStream_tbENKUlT_T0_E_clISt17integral_constantIbLb0EESX_EEDaSS_ST_EUlSS_E_NS1_11comp_targetILNS1_3genE5ELNS1_11target_archE942ELNS1_3gpuE9ELNS1_3repE0EEENS1_30default_config_static_selectorELNS0_4arch9wavefront6targetE1EEEvT1_
                                        ; -- End function
	.section	.AMDGPU.csdata,"",@progbits
; Kernel info:
; codeLenInByte = 0
; NumSgprs: 4
; NumVgprs: 0
; NumAgprs: 0
; TotalNumVgprs: 0
; ScratchSize: 0
; MemoryBound: 0
; FloatMode: 240
; IeeeMode: 1
; LDSByteSize: 0 bytes/workgroup (compile time only)
; SGPRBlocks: 0
; VGPRBlocks: 0
; NumSGPRsForWavesPerEU: 4
; NumVGPRsForWavesPerEU: 1
; AccumOffset: 4
; Occupancy: 8
; WaveLimiterHint : 0
; COMPUTE_PGM_RSRC2:SCRATCH_EN: 0
; COMPUTE_PGM_RSRC2:USER_SGPR: 6
; COMPUTE_PGM_RSRC2:TRAP_HANDLER: 0
; COMPUTE_PGM_RSRC2:TGID_X_EN: 1
; COMPUTE_PGM_RSRC2:TGID_Y_EN: 0
; COMPUTE_PGM_RSRC2:TGID_Z_EN: 0
; COMPUTE_PGM_RSRC2:TIDIG_COMP_CNT: 0
; COMPUTE_PGM_RSRC3_GFX90A:ACCUM_OFFSET: 0
; COMPUTE_PGM_RSRC3_GFX90A:TG_SPLIT: 0
	.section	.text._ZN7rocprim17ROCPRIM_400000_NS6detail17trampoline_kernelINS0_14default_configENS1_20scan_config_selectorIyEEZZNS1_9scan_implILNS1_25lookback_scan_determinismE0ELb0ELb0ES3_N6thrust23THRUST_200600_302600_NS6detail15normal_iteratorINS9_10device_ptrIyEEEENS9_16discard_iteratorINS9_11use_defaultEEEyNS9_4plusIvEEyEEDaPvRmT3_T4_T5_mT6_P12ihipStream_tbENKUlT_T0_E_clISt17integral_constantIbLb0EESX_EEDaSS_ST_EUlSS_E_NS1_11comp_targetILNS1_3genE4ELNS1_11target_archE910ELNS1_3gpuE8ELNS1_3repE0EEENS1_30default_config_static_selectorELNS0_4arch9wavefront6targetE1EEEvT1_,"axG",@progbits,_ZN7rocprim17ROCPRIM_400000_NS6detail17trampoline_kernelINS0_14default_configENS1_20scan_config_selectorIyEEZZNS1_9scan_implILNS1_25lookback_scan_determinismE0ELb0ELb0ES3_N6thrust23THRUST_200600_302600_NS6detail15normal_iteratorINS9_10device_ptrIyEEEENS9_16discard_iteratorINS9_11use_defaultEEEyNS9_4plusIvEEyEEDaPvRmT3_T4_T5_mT6_P12ihipStream_tbENKUlT_T0_E_clISt17integral_constantIbLb0EESX_EEDaSS_ST_EUlSS_E_NS1_11comp_targetILNS1_3genE4ELNS1_11target_archE910ELNS1_3gpuE8ELNS1_3repE0EEENS1_30default_config_static_selectorELNS0_4arch9wavefront6targetE1EEEvT1_,comdat
	.protected	_ZN7rocprim17ROCPRIM_400000_NS6detail17trampoline_kernelINS0_14default_configENS1_20scan_config_selectorIyEEZZNS1_9scan_implILNS1_25lookback_scan_determinismE0ELb0ELb0ES3_N6thrust23THRUST_200600_302600_NS6detail15normal_iteratorINS9_10device_ptrIyEEEENS9_16discard_iteratorINS9_11use_defaultEEEyNS9_4plusIvEEyEEDaPvRmT3_T4_T5_mT6_P12ihipStream_tbENKUlT_T0_E_clISt17integral_constantIbLb0EESX_EEDaSS_ST_EUlSS_E_NS1_11comp_targetILNS1_3genE4ELNS1_11target_archE910ELNS1_3gpuE8ELNS1_3repE0EEENS1_30default_config_static_selectorELNS0_4arch9wavefront6targetE1EEEvT1_ ; -- Begin function _ZN7rocprim17ROCPRIM_400000_NS6detail17trampoline_kernelINS0_14default_configENS1_20scan_config_selectorIyEEZZNS1_9scan_implILNS1_25lookback_scan_determinismE0ELb0ELb0ES3_N6thrust23THRUST_200600_302600_NS6detail15normal_iteratorINS9_10device_ptrIyEEEENS9_16discard_iteratorINS9_11use_defaultEEEyNS9_4plusIvEEyEEDaPvRmT3_T4_T5_mT6_P12ihipStream_tbENKUlT_T0_E_clISt17integral_constantIbLb0EESX_EEDaSS_ST_EUlSS_E_NS1_11comp_targetILNS1_3genE4ELNS1_11target_archE910ELNS1_3gpuE8ELNS1_3repE0EEENS1_30default_config_static_selectorELNS0_4arch9wavefront6targetE1EEEvT1_
	.globl	_ZN7rocprim17ROCPRIM_400000_NS6detail17trampoline_kernelINS0_14default_configENS1_20scan_config_selectorIyEEZZNS1_9scan_implILNS1_25lookback_scan_determinismE0ELb0ELb0ES3_N6thrust23THRUST_200600_302600_NS6detail15normal_iteratorINS9_10device_ptrIyEEEENS9_16discard_iteratorINS9_11use_defaultEEEyNS9_4plusIvEEyEEDaPvRmT3_T4_T5_mT6_P12ihipStream_tbENKUlT_T0_E_clISt17integral_constantIbLb0EESX_EEDaSS_ST_EUlSS_E_NS1_11comp_targetILNS1_3genE4ELNS1_11target_archE910ELNS1_3gpuE8ELNS1_3repE0EEENS1_30default_config_static_selectorELNS0_4arch9wavefront6targetE1EEEvT1_
	.p2align	8
	.type	_ZN7rocprim17ROCPRIM_400000_NS6detail17trampoline_kernelINS0_14default_configENS1_20scan_config_selectorIyEEZZNS1_9scan_implILNS1_25lookback_scan_determinismE0ELb0ELb0ES3_N6thrust23THRUST_200600_302600_NS6detail15normal_iteratorINS9_10device_ptrIyEEEENS9_16discard_iteratorINS9_11use_defaultEEEyNS9_4plusIvEEyEEDaPvRmT3_T4_T5_mT6_P12ihipStream_tbENKUlT_T0_E_clISt17integral_constantIbLb0EESX_EEDaSS_ST_EUlSS_E_NS1_11comp_targetILNS1_3genE4ELNS1_11target_archE910ELNS1_3gpuE8ELNS1_3repE0EEENS1_30default_config_static_selectorELNS0_4arch9wavefront6targetE1EEEvT1_,@function
_ZN7rocprim17ROCPRIM_400000_NS6detail17trampoline_kernelINS0_14default_configENS1_20scan_config_selectorIyEEZZNS1_9scan_implILNS1_25lookback_scan_determinismE0ELb0ELb0ES3_N6thrust23THRUST_200600_302600_NS6detail15normal_iteratorINS9_10device_ptrIyEEEENS9_16discard_iteratorINS9_11use_defaultEEEyNS9_4plusIvEEyEEDaPvRmT3_T4_T5_mT6_P12ihipStream_tbENKUlT_T0_E_clISt17integral_constantIbLb0EESX_EEDaSS_ST_EUlSS_E_NS1_11comp_targetILNS1_3genE4ELNS1_11target_archE910ELNS1_3gpuE8ELNS1_3repE0EEENS1_30default_config_static_selectorELNS0_4arch9wavefront6targetE1EEEvT1_: ; @_ZN7rocprim17ROCPRIM_400000_NS6detail17trampoline_kernelINS0_14default_configENS1_20scan_config_selectorIyEEZZNS1_9scan_implILNS1_25lookback_scan_determinismE0ELb0ELb0ES3_N6thrust23THRUST_200600_302600_NS6detail15normal_iteratorINS9_10device_ptrIyEEEENS9_16discard_iteratorINS9_11use_defaultEEEyNS9_4plusIvEEyEEDaPvRmT3_T4_T5_mT6_P12ihipStream_tbENKUlT_T0_E_clISt17integral_constantIbLb0EESX_EEDaSS_ST_EUlSS_E_NS1_11comp_targetILNS1_3genE4ELNS1_11target_archE910ELNS1_3gpuE8ELNS1_3repE0EEENS1_30default_config_static_selectorELNS0_4arch9wavefront6targetE1EEEvT1_
; %bb.0:
	s_load_dwordx4 s[0:3], s[4:5], 0x0
	s_load_dwordx2 s[8:9], s[4:5], 0x20
	s_load_dword s7, s[4:5], 0x40
	v_lshlrev_b32_e32 v1, 3, v0
	s_waitcnt lgkmcnt(0)
	s_lshl_b64 s[2:3], s[2:3], 3
	s_add_u32 s2, s0, s2
	s_addc_u32 s3, s1, s3
	s_add_i32 s7, s7, -1
	s_mul_i32 s10, s7, 0x380
	s_sub_u32 s18, s8, s10
	s_subb_u32 s19, s9, 0
	s_mul_i32 s0, s6, 0x380
	s_mov_b32 s1, 0
	s_cmp_lg_u32 s6, s7
	s_cselect_b64 s[12:13], -1, 0
	s_lshl_b64 s[0:1], s[0:1], 3
	s_add_u32 s0, s2, s0
	s_addc_u32 s1, s3, s1
	s_mov_b64 s[2:3], -1
	s_and_b64 vcc, exec, s[12:13]
	s_cbranch_vccz .LBB5152_2
; %bb.1:
	v_mov_b32_e32 v3, s1
	v_add_co_u32_e32 v2, vcc, s0, v1
	v_addc_co_u32_e32 v3, vcc, 0, v3, vcc
	flat_load_dwordx2 v[4:5], v[2:3]
	flat_load_dwordx2 v[6:7], v[2:3] offset:1024
	flat_load_dwordx2 v[8:9], v[2:3] offset:2048
	flat_load_dwordx2 v[10:11], v[2:3] offset:3072
	v_add_co_u32_e32 v2, vcc, 0x1000, v2
	v_addc_co_u32_e32 v3, vcc, 0, v3, vcc
	flat_load_dwordx2 v[12:13], v[2:3]
	flat_load_dwordx2 v[14:15], v[2:3] offset:1024
	flat_load_dwordx2 v[16:17], v[2:3] offset:2048
	s_mov_b64 s[2:3], 0
	s_waitcnt vmcnt(0) lgkmcnt(0)
	ds_write2st64_b64 v1, v[4:5], v[6:7] offset1:2
	ds_write2st64_b64 v1, v[8:9], v[10:11] offset0:4 offset1:6
	ds_write2st64_b64 v1, v[12:13], v[14:15] offset0:8 offset1:10
	ds_write_b64 v1, v[16:17] offset:6144
	s_waitcnt lgkmcnt(0)
	s_barrier
.LBB5152_2:
	s_load_dwordx2 s[14:15], s[4:5], 0x38
	s_andn2_b64 vcc, exec, s[2:3]
	s_cbranch_vccnz .LBB5152_18
; %bb.3:
	v_pk_mov_b32 v[2:3], s[0:1], s[0:1] op_sel:[0,1]
	flat_load_dwordx2 v[2:3], v[2:3]
	v_cmp_gt_u32_e32 vcc, s18, v0
	s_waitcnt vmcnt(0) lgkmcnt(0)
	v_mov_b32_e32 v4, v2
	v_mov_b32_e32 v5, v3
	;; [unrolled: 1-line block ×10, first 2 shown]
	v_pk_mov_b32 v[18:19], v[14:15], v[14:15] op_sel:[0,1]
	v_pk_mov_b32 v[16:17], v[12:13], v[12:13] op_sel:[0,1]
	;; [unrolled: 1-line block ×8, first 2 shown]
	s_and_saveexec_b64 s[2:3], vcc
	s_cbranch_execz .LBB5152_5
; %bb.4:
	v_mov_b32_e32 v5, s1
	v_add_co_u32_e32 v4, vcc, s0, v1
	v_addc_co_u32_e32 v5, vcc, 0, v5, vcc
	flat_load_dwordx2 v[20:21], v[4:5]
	v_mov_b32_e32 v4, v2
	v_mov_b32_e32 v5, v3
	;; [unrolled: 1-line block ×10, first 2 shown]
	v_pk_mov_b32 v[18:19], v[14:15], v[14:15] op_sel:[0,1]
	v_pk_mov_b32 v[16:17], v[12:13], v[12:13] op_sel:[0,1]
	v_pk_mov_b32 v[14:15], v[10:11], v[10:11] op_sel:[0,1]
	v_pk_mov_b32 v[12:13], v[8:9], v[8:9] op_sel:[0,1]
	v_pk_mov_b32 v[10:11], v[6:7], v[6:7] op_sel:[0,1]
	v_pk_mov_b32 v[8:9], v[4:5], v[4:5] op_sel:[0,1]
	v_pk_mov_b32 v[6:7], v[2:3], v[2:3] op_sel:[0,1]
	v_pk_mov_b32 v[4:5], v[0:1], v[0:1] op_sel:[0,1]
	s_waitcnt vmcnt(0) lgkmcnt(0)
	v_pk_mov_b32 v[2:3], v[20:21], v[20:21] op_sel:[0,1]
.LBB5152_5:
	s_or_b64 exec, exec, s[2:3]
	v_or_b32_e32 v4, 0x80, v0
	v_cmp_gt_u32_e32 vcc, s18, v4
	s_and_saveexec_b64 s[2:3], vcc
	s_cbranch_execz .LBB5152_7
; %bb.6:
	v_mov_b32_e32 v5, s1
	v_add_co_u32_e32 v4, vcc, s0, v1
	v_addc_co_u32_e32 v5, vcc, 0, v5, vcc
	flat_load_dwordx2 v[6:7], v[4:5] offset:1024
.LBB5152_7:
	s_or_b64 exec, exec, s[2:3]
	v_or_b32_e32 v4, 0x100, v0
	v_cmp_gt_u32_e32 vcc, s18, v4
	s_and_saveexec_b64 s[2:3], vcc
	s_cbranch_execz .LBB5152_9
; %bb.8:
	v_mov_b32_e32 v5, s1
	v_add_co_u32_e32 v4, vcc, s0, v1
	v_addc_co_u32_e32 v5, vcc, 0, v5, vcc
	flat_load_dwordx2 v[8:9], v[4:5] offset:2048
.LBB5152_9:
	;; [unrolled: 11-line block ×3, first 2 shown]
	s_or_b64 exec, exec, s[2:3]
	v_or_b32_e32 v4, 0x200, v0
	v_cmp_gt_u32_e32 vcc, s18, v4
	s_and_saveexec_b64 s[2:3], vcc
	s_cbranch_execz .LBB5152_13
; %bb.12:
	v_lshlrev_b32_e32 v4, 3, v4
	v_mov_b32_e32 v5, s1
	v_add_co_u32_e32 v4, vcc, s0, v4
	v_addc_co_u32_e32 v5, vcc, 0, v5, vcc
	flat_load_dwordx2 v[12:13], v[4:5]
.LBB5152_13:
	s_or_b64 exec, exec, s[2:3]
	v_or_b32_e32 v4, 0x280, v0
	v_cmp_gt_u32_e32 vcc, s18, v4
	s_and_saveexec_b64 s[2:3], vcc
	s_cbranch_execz .LBB5152_15
; %bb.14:
	v_lshlrev_b32_e32 v4, 3, v4
	v_mov_b32_e32 v5, s1
	v_add_co_u32_e32 v4, vcc, s0, v4
	v_addc_co_u32_e32 v5, vcc, 0, v5, vcc
	flat_load_dwordx2 v[14:15], v[4:5]
.LBB5152_15:
	;; [unrolled: 12-line block ×3, first 2 shown]
	s_or_b64 exec, exec, s[2:3]
	s_waitcnt vmcnt(0) lgkmcnt(0)
	ds_write2st64_b64 v1, v[2:3], v[6:7] offset1:2
	ds_write2st64_b64 v1, v[8:9], v[10:11] offset0:4 offset1:6
	ds_write2st64_b64 v1, v[12:13], v[14:15] offset0:8 offset1:10
	ds_write_b64 v1, v[16:17] offset:6144
	s_waitcnt lgkmcnt(0)
	s_barrier
.LBB5152_18:
	v_mul_u32_u24_e32 v36, 7, v0
	v_lshlrev_b32_e32 v1, 3, v36
	s_waitcnt lgkmcnt(0)
	ds_read2_b64 v[2:5], v1 offset1:1
	ds_read2_b64 v[10:13], v1 offset0:2 offset1:3
	ds_read2_b64 v[6:9], v1 offset0:4 offset1:5
	ds_read_b64 v[28:29], v1 offset:48
	s_cmp_lg_u32 s6, 0
	v_lshrrev_b32_e32 v37, 5, v0
	v_cmp_gt_u32_e32 vcc, 64, v0
	s_waitcnt lgkmcnt(0)
	s_barrier
	s_cbranch_scc0 .LBB5152_45
; %bb.19:
	v_add_co_u32_e64 v1, s[0:1], v4, v2
	v_addc_co_u32_e64 v14, s[0:1], v5, v3, s[0:1]
	v_add_co_u32_e64 v1, s[0:1], v1, v10
	v_addc_co_u32_e64 v14, s[0:1], v14, v11, s[0:1]
	;; [unrolled: 2-line block ×6, first 2 shown]
	v_add_lshl_u32 v1, v37, v0, 3
	ds_write_b64 v1, v[18:19]
	s_waitcnt lgkmcnt(0)
	s_barrier
	s_and_saveexec_b64 s[8:9], vcc
	s_cbranch_execz .LBB5152_23
; %bb.20:
	v_lshlrev_b32_e32 v1, 1, v0
	v_lshrrev_b32_e32 v14, 4, v0
	v_add_lshl_u32 v20, v14, v1, 3
	ds_read2_b64 v[14:17], v20 offset1:1
	v_mbcnt_lo_u32_b32 v1, -1, 0
	s_waitcnt lgkmcnt(0)
	v_add_co_u32_e64 v21, s[0:1], v16, v14
	v_addc_co_u32_e64 v22, s[0:1], v17, v15, s[0:1]
	s_nop 0
	v_mov_b32_dpp v16, v21 row_shr:1 row_mask:0xf bank_mask:0xf
	v_add_co_u32_e64 v16, s[0:1], v21, v16
	v_addc_co_u32_e64 v24, s[0:1], 0, v22, s[0:1]
	v_mbcnt_hi_u32_b32 v17, -1, v1
	v_mov_b32_dpp v23, v22 row_shr:1 row_mask:0xf bank_mask:0xf
	v_add_co_u32_e64 v25, s[0:1], 0, v16
	v_and_b32_e32 v1, 15, v17
	v_addc_co_u32_e64 v23, s[0:1], v23, v24, s[0:1]
	v_cmp_eq_u32_e64 s[0:1], 0, v1
	v_cndmask_b32_e64 v16, v16, v21, s[0:1]
	v_cndmask_b32_e64 v23, v23, v22, s[0:1]
	v_cndmask_b32_e64 v24, v25, v21, s[0:1]
	v_mov_b32_dpp v25, v16 row_shr:2 row_mask:0xf bank_mask:0xf
	v_mov_b32_dpp v26, v23 row_shr:2 row_mask:0xf bank_mask:0xf
	v_add_co_u32_e64 v25, s[0:1], v25, v24
	v_addc_co_u32_e64 v26, s[0:1], v26, v23, s[0:1]
	v_cmp_lt_u32_e64 s[0:1], 1, v1
	v_cndmask_b32_e64 v16, v16, v25, s[0:1]
	v_cndmask_b32_e64 v23, v23, v26, s[0:1]
	v_cndmask_b32_e64 v24, v24, v25, s[0:1]
	v_mov_b32_dpp v25, v16 row_shr:4 row_mask:0xf bank_mask:0xf
	v_mov_b32_dpp v26, v23 row_shr:4 row_mask:0xf bank_mask:0xf
	v_add_co_u32_e64 v25, s[0:1], v25, v24
	v_addc_co_u32_e64 v26, s[0:1], v26, v23, s[0:1]
	v_cmp_lt_u32_e64 s[0:1], 3, v1
	;; [unrolled: 8-line block ×3, first 2 shown]
	v_cndmask_b32_e64 v27, v16, v25, s[0:1]
	v_cndmask_b32_e64 v1, v23, v26, s[0:1]
	;; [unrolled: 1-line block ×3, first 2 shown]
	v_mov_b32_dpp v23, v27 row_bcast:15 row_mask:0xf bank_mask:0xf
	v_mov_b32_dpp v24, v1 row_bcast:15 row_mask:0xf bank_mask:0xf
	v_add_co_u32_e64 v23, s[0:1], v23, v16
	v_and_b32_e32 v26, 16, v17
	v_addc_co_u32_e64 v25, s[0:1], v24, v1, s[0:1]
	v_cmp_eq_u32_e64 s[0:1], 0, v26
	v_cndmask_b32_e64 v26, v25, v1, s[0:1]
	v_cndmask_b32_e64 v24, v23, v27, s[0:1]
	v_cmp_ne_u32_e64 s[2:3], 0, v17
	v_mov_b32_dpp v26, v26 row_bcast:31 row_mask:0xf bank_mask:0xf
	v_mov_b32_dpp v24, v24 row_bcast:31 row_mask:0xf bank_mask:0xf
	s_and_saveexec_b64 s[10:11], s[2:3]
; %bb.21:
	v_cndmask_b32_e64 v1, v25, v1, s[0:1]
	v_cndmask_b32_e64 v16, v23, v16, s[0:1]
	v_cmp_lt_u32_e64 s[0:1], 31, v17
	v_cndmask_b32_e64 v21, 0, v24, s[0:1]
	v_cndmask_b32_e64 v22, 0, v26, s[0:1]
	v_add_co_u32_e64 v21, s[0:1], v21, v16
	v_addc_co_u32_e64 v22, s[0:1], v22, v1, s[0:1]
; %bb.22:
	s_or_b64 exec, exec, s[10:11]
	v_add_u32_e32 v1, -1, v17
	v_and_b32_e32 v16, 64, v17
	v_cmp_lt_i32_e64 s[0:1], v1, v16
	v_cndmask_b32_e64 v1, v1, v17, s[0:1]
	v_lshlrev_b32_e32 v1, 2, v1
	ds_bpermute_b32 v16, v1, v21
	ds_bpermute_b32 v1, v1, v22
	; wave barrier
	s_waitcnt lgkmcnt(1)
	v_add_co_u32_e64 v14, s[0:1], v14, v16
	v_addc_co_u32_e64 v15, s[0:1], 0, v15, s[0:1]
	v_add_co_u32_e64 v14, s[0:1], 0, v14
	s_waitcnt lgkmcnt(0)
	v_addc_co_u32_e64 v1, s[0:1], v15, v1, s[0:1]
	v_cmp_eq_u32_e64 s[0:1], 0, v0
	v_cndmask_b32_e64 v15, v1, v19, s[0:1]
	v_cndmask_b32_e64 v14, v14, v18, s[0:1]
	ds_write_b64 v20, v[14:15]
	; wave barrier
	ds_read_b64 v[16:17], v20 offset:8
	s_waitcnt lgkmcnt(0)
	v_add_co_u32_e64 v14, s[0:1], v16, v14
	v_addc_co_u32_e64 v15, s[0:1], v17, v15, s[0:1]
	ds_write_b64 v20, v[14:15] offset:8
.LBB5152_23:
	s_or_b64 exec, exec, s[8:9]
	v_cmp_eq_u32_e64 s[0:1], 0, v0
	v_cmp_ne_u32_e64 s[2:3], 0, v0
	v_pk_mov_b32 v[22:23], 0, 0
	s_waitcnt lgkmcnt(0)
	s_barrier
	s_and_saveexec_b64 s[8:9], s[2:3]
	s_cbranch_execz .LBB5152_25
; %bb.24:
	v_add_u32_e32 v1, -1, v0
	v_lshrrev_b32_e32 v14, 5, v1
	v_add_lshl_u32 v1, v14, v1, 3
	ds_read_b64 v[22:23], v1
.LBB5152_25:
	s_or_b64 exec, exec, s[8:9]
	s_and_saveexec_b64 s[16:17], vcc
	s_cbranch_execz .LBB5152_44
; %bb.26:
	v_mov_b32_e32 v17, 0
	ds_read_b64 v[14:15], v17 offset:1040
	v_mbcnt_lo_u32_b32 v1, -1, 0
	v_mbcnt_hi_u32_b32 v30, -1, v1
	s_mov_b32 s11, 0
	v_cmp_eq_u32_e64 s[2:3], 0, v30
	s_and_saveexec_b64 s[8:9], s[2:3]
	s_cbranch_execz .LBB5152_28
; %bb.27:
	s_add_i32 s10, s6, 64
	s_lshl_b64 s[10:11], s[10:11], 4
	s_add_u32 s10, s14, s10
	s_addc_u32 s11, s15, s11
	v_mov_b32_e32 v16, 1
	v_pk_mov_b32 v[18:19], s[10:11], s[10:11] op_sel:[0,1]
	s_waitcnt lgkmcnt(0)
	;;#ASMSTART
	global_store_dwordx4 v[18:19], v[14:17] off	
s_waitcnt vmcnt(0)
	;;#ASMEND
.LBB5152_28:
	s_or_b64 exec, exec, s[8:9]
	v_xad_u32 v24, v30, -1, s6
	v_add_u32_e32 v16, 64, v24
	v_lshlrev_b64 v[18:19], 4, v[16:17]
	v_mov_b32_e32 v1, s15
	v_add_co_u32_e32 v26, vcc, s14, v18
	v_addc_co_u32_e32 v27, vcc, v1, v19, vcc
	;;#ASMSTART
	global_load_dwordx4 v[18:21], v[26:27] off glc	
s_waitcnt vmcnt(0)
	;;#ASMEND
	v_and_b32_e32 v1, 0xff, v19
	v_and_b32_e32 v16, 0xff00, v19
	v_or3_b32 v1, 0, v1, v16
	v_or3_b32 v16, v18, 0, 0
	v_and_b32_e32 v18, 0xff000000, v19
	v_and_b32_e32 v19, 0xff0000, v19
	v_or3_b32 v19, v1, v19, v18
	v_or3_b32 v18, v16, 0, 0
	v_cmp_eq_u16_sdwa s[10:11], v20, v17 src0_sel:BYTE_0 src1_sel:DWORD
	s_and_saveexec_b64 s[8:9], s[10:11]
	s_cbranch_execz .LBB5152_32
; %bb.29:
	s_mov_b64 s[10:11], 0
	v_mov_b32_e32 v1, 0
.LBB5152_30:                            ; =>This Inner Loop Header: Depth=1
	;;#ASMSTART
	global_load_dwordx4 v[18:21], v[26:27] off glc	
s_waitcnt vmcnt(0)
	;;#ASMEND
	v_cmp_ne_u16_sdwa s[20:21], v20, v1 src0_sel:BYTE_0 src1_sel:DWORD
	s_or_b64 s[10:11], s[20:21], s[10:11]
	s_andn2_b64 exec, exec, s[10:11]
	s_cbranch_execnz .LBB5152_30
; %bb.31:
	s_or_b64 exec, exec, s[10:11]
.LBB5152_32:
	s_or_b64 exec, exec, s[8:9]
	v_and_b32_e32 v32, 63, v30
	v_cmp_ne_u32_e32 vcc, 63, v32
	v_addc_co_u32_e32 v26, vcc, 0, v30, vcc
	v_lshlrev_b32_e32 v33, 2, v26
	ds_bpermute_b32 v26, v33, v18
	v_mov_b32_e32 v1, 2
	v_cmp_eq_u16_sdwa s[8:9], v20, v1 src0_sel:BYTE_0 src1_sel:DWORD
	v_lshlrev_b64 v[16:17], v30, -1
	ds_bpermute_b32 v27, v33, v19
	v_and_b32_e32 v21, s9, v17
	v_or_b32_e32 v21, 0x80000000, v21
	s_waitcnt lgkmcnt(1)
	v_add_co_u32_e32 v26, vcc, v18, v26
	v_and_b32_e32 v25, s8, v16
	v_ffbl_b32_e32 v21, v21
	v_addc_co_u32_e32 v31, vcc, 0, v19, vcc
	v_add_u32_e32 v21, 32, v21
	v_ffbl_b32_e32 v25, v25
	v_add_co_u32_e32 v35, vcc, 0, v26
	v_cmp_gt_u32_e64 s[8:9], 62, v32
	v_min_u32_e32 v21, v25, v21
	s_waitcnt lgkmcnt(0)
	v_addc_co_u32_e32 v27, vcc, v27, v31, vcc
	v_cndmask_b32_e64 v31, 0, 1, s[8:9]
	v_cmp_lt_u32_e32 vcc, v32, v21
	v_lshlrev_b32_e32 v31, 1, v31
	v_cndmask_b32_e32 v26, v18, v26, vcc
	v_add_lshl_u32 v34, v31, v30, 2
	v_cndmask_b32_e32 v27, v19, v27, vcc
	ds_bpermute_b32 v31, v34, v26
	ds_bpermute_b32 v38, v34, v27
	v_cndmask_b32_e32 v39, v18, v35, vcc
	v_add_u32_e32 v35, 2, v32
	v_cmp_gt_u32_e64 s[10:11], 60, v32
	s_waitcnt lgkmcnt(1)
	v_add_co_u32_e64 v31, s[8:9], v31, v39
	s_waitcnt lgkmcnt(0)
	v_addc_co_u32_e64 v38, s[8:9], v38, v27, s[8:9]
	v_cmp_gt_u32_e64 s[8:9], v35, v21
	v_cndmask_b32_e64 v27, v38, v27, s[8:9]
	v_cndmask_b32_e64 v38, 0, 1, s[10:11]
	v_lshlrev_b32_e32 v38, 2, v38
	v_cndmask_b32_e64 v26, v31, v26, s[8:9]
	v_add_lshl_u32 v38, v38, v30, 2
	ds_bpermute_b32 v40, v38, v26
	ds_bpermute_b32 v41, v38, v27
	v_cndmask_b32_e64 v31, v31, v39, s[8:9]
	v_add_u32_e32 v39, 4, v32
	v_cmp_gt_u32_e64 s[10:11], 56, v32
	s_waitcnt lgkmcnt(1)
	v_add_co_u32_e64 v42, s[8:9], v40, v31
	s_waitcnt lgkmcnt(0)
	v_addc_co_u32_e64 v40, s[8:9], v41, v27, s[8:9]
	v_cmp_gt_u32_e64 s[8:9], v39, v21
	v_cndmask_b32_e64 v27, v40, v27, s[8:9]
	v_cndmask_b32_e64 v40, 0, 1, s[10:11]
	v_lshlrev_b32_e32 v40, 3, v40
	v_cndmask_b32_e64 v26, v42, v26, s[8:9]
	v_add_lshl_u32 v40, v40, v30, 2
	ds_bpermute_b32 v43, v40, v26
	v_cndmask_b32_e64 v31, v42, v31, s[8:9]
	ds_bpermute_b32 v42, v40, v27
	v_add_u32_e32 v41, 8, v32
	v_cmp_gt_u32_e64 s[10:11], 48, v32
	s_waitcnt lgkmcnt(1)
	v_add_co_u32_e64 v43, s[8:9], v43, v31
	s_waitcnt lgkmcnt(0)
	v_addc_co_u32_e64 v42, s[8:9], v42, v27, s[8:9]
	v_cmp_gt_u32_e64 s[8:9], v41, v21
	v_cndmask_b32_e64 v27, v42, v27, s[8:9]
	v_cndmask_b32_e64 v42, 0, 1, s[10:11]
	v_lshlrev_b32_e32 v42, 4, v42
	v_cndmask_b32_e64 v26, v43, v26, s[8:9]
	v_add_lshl_u32 v42, v42, v30, 2
	ds_bpermute_b32 v44, v42, v26
	ds_bpermute_b32 v45, v42, v27
	v_cndmask_b32_e64 v31, v43, v31, s[8:9]
	v_cmp_gt_u32_e64 s[10:11], 32, v32
	v_add_u32_e32 v43, 16, v32
	s_waitcnt lgkmcnt(1)
	v_add_co_u32_e64 v46, s[8:9], v44, v31
	s_waitcnt lgkmcnt(0)
	v_addc_co_u32_e64 v45, s[8:9], v45, v27, s[8:9]
	v_cndmask_b32_e64 v44, 0, 1, s[10:11]
	v_cmp_gt_u32_e64 s[8:9], v43, v21
	v_lshlrev_b32_e32 v44, 5, v44
	v_cndmask_b32_e64 v26, v46, v26, s[8:9]
	v_add_lshl_u32 v44, v44, v30, 2
	v_cndmask_b32_e64 v27, v45, v27, s[8:9]
	ds_bpermute_b32 v26, v44, v26
	ds_bpermute_b32 v30, v44, v27
	v_add_u32_e32 v45, 32, v32
	v_cndmask_b32_e64 v31, v46, v31, s[8:9]
	v_cmp_le_u32_e64 s[8:9], v45, v21
	s_waitcnt lgkmcnt(1)
	v_cndmask_b32_e64 v26, 0, v26, s[8:9]
	s_waitcnt lgkmcnt(0)
	v_cndmask_b32_e64 v21, 0, v30, s[8:9]
	v_add_co_u32_e64 v26, s[8:9], v26, v31
	v_addc_co_u32_e64 v21, s[8:9], v21, v27, s[8:9]
	v_mov_b32_e32 v25, 0
	v_cndmask_b32_e32 v19, v19, v21, vcc
	v_cndmask_b32_e32 v18, v18, v26, vcc
	s_branch .LBB5152_34
.LBB5152_33:                            ;   in Loop: Header=BB5152_34 Depth=1
	s_or_b64 exec, exec, s[8:9]
	v_cmp_eq_u16_sdwa s[8:9], v20, v1 src0_sel:BYTE_0 src1_sel:DWORD
	v_and_b32_e32 v21, s9, v17
	v_or_b32_e32 v21, 0x80000000, v21
	ds_bpermute_b32 v31, v33, v18
	v_and_b32_e32 v30, s8, v16
	v_ffbl_b32_e32 v21, v21
	v_add_u32_e32 v21, 32, v21
	v_ffbl_b32_e32 v30, v30
	v_min_u32_e32 v21, v30, v21
	ds_bpermute_b32 v30, v33, v19
	s_waitcnt lgkmcnt(1)
	v_add_co_u32_e32 v31, vcc, v18, v31
	v_addc_co_u32_e32 v46, vcc, 0, v19, vcc
	v_add_co_u32_e32 v47, vcc, 0, v31
	s_waitcnt lgkmcnt(0)
	v_addc_co_u32_e32 v30, vcc, v30, v46, vcc
	v_cmp_lt_u32_e32 vcc, v32, v21
	v_cndmask_b32_e32 v31, v18, v31, vcc
	ds_bpermute_b32 v46, v34, v31
	v_cndmask_b32_e32 v30, v19, v30, vcc
	ds_bpermute_b32 v48, v34, v30
	v_cndmask_b32_e32 v47, v18, v47, vcc
	v_subrev_u32_e32 v24, 64, v24
	s_waitcnt lgkmcnt(1)
	v_add_co_u32_e64 v46, s[8:9], v46, v47
	s_waitcnt lgkmcnt(0)
	v_addc_co_u32_e64 v48, s[8:9], v48, v30, s[8:9]
	v_cmp_gt_u32_e64 s[8:9], v35, v21
	v_cndmask_b32_e64 v31, v46, v31, s[8:9]
	ds_bpermute_b32 v49, v38, v31
	v_cndmask_b32_e64 v30, v48, v30, s[8:9]
	ds_bpermute_b32 v48, v38, v30
	v_cndmask_b32_e64 v46, v46, v47, s[8:9]
	s_waitcnt lgkmcnt(1)
	v_add_co_u32_e64 v47, s[8:9], v49, v46
	s_waitcnt lgkmcnt(0)
	v_addc_co_u32_e64 v48, s[8:9], v48, v30, s[8:9]
	v_cmp_gt_u32_e64 s[8:9], v39, v21
	v_cndmask_b32_e64 v31, v47, v31, s[8:9]
	ds_bpermute_b32 v49, v40, v31
	v_cndmask_b32_e64 v30, v48, v30, s[8:9]
	ds_bpermute_b32 v48, v40, v30
	v_cndmask_b32_e64 v46, v47, v46, s[8:9]
	;; [unrolled: 10-line block ×3, first 2 shown]
	s_waitcnt lgkmcnt(1)
	v_add_co_u32_e64 v47, s[8:9], v49, v46
	s_waitcnt lgkmcnt(0)
	v_addc_co_u32_e64 v48, s[8:9], v48, v30, s[8:9]
	v_cmp_gt_u32_e64 s[8:9], v43, v21
	v_cndmask_b32_e64 v31, v47, v31, s[8:9]
	v_cndmask_b32_e64 v30, v48, v30, s[8:9]
	ds_bpermute_b32 v31, v44, v31
	ds_bpermute_b32 v48, v44, v30
	v_cndmask_b32_e64 v46, v47, v46, s[8:9]
	v_cmp_le_u32_e64 s[8:9], v45, v21
	s_waitcnt lgkmcnt(1)
	v_cndmask_b32_e64 v31, 0, v31, s[8:9]
	s_waitcnt lgkmcnt(0)
	v_cndmask_b32_e64 v21, 0, v48, s[8:9]
	v_add_co_u32_e64 v31, s[8:9], v31, v46
	v_addc_co_u32_e64 v21, s[8:9], v21, v30, s[8:9]
	v_cndmask_b32_e32 v18, v18, v31, vcc
	v_cndmask_b32_e32 v19, v19, v21, vcc
	v_add_co_u32_e32 v18, vcc, v18, v26
	v_addc_co_u32_e32 v19, vcc, v19, v27, vcc
.LBB5152_34:                            ; =>This Loop Header: Depth=1
                                        ;     Child Loop BB5152_37 Depth 2
	v_cmp_ne_u16_sdwa s[8:9], v20, v1 src0_sel:BYTE_0 src1_sel:DWORD
	v_cndmask_b32_e64 v20, 0, 1, s[8:9]
	;;#ASMSTART
	;;#ASMEND
	v_cmp_ne_u32_e32 vcc, 0, v20
	s_cmp_lg_u64 vcc, exec
	v_pk_mov_b32 v[26:27], v[18:19], v[18:19] op_sel:[0,1]
	s_cbranch_scc1 .LBB5152_39
; %bb.35:                               ;   in Loop: Header=BB5152_34 Depth=1
	v_lshlrev_b64 v[18:19], 4, v[24:25]
	v_mov_b32_e32 v20, s15
	v_add_co_u32_e32 v30, vcc, s14, v18
	v_addc_co_u32_e32 v31, vcc, v20, v19, vcc
	;;#ASMSTART
	global_load_dwordx4 v[18:21], v[30:31] off glc	
s_waitcnt vmcnt(0)
	;;#ASMEND
	v_and_b32_e32 v21, 0xff, v19
	v_and_b32_e32 v46, 0xff00, v19
	v_or3_b32 v21, 0, v21, v46
	v_or3_b32 v18, v18, 0, 0
	v_and_b32_e32 v46, 0xff000000, v19
	v_and_b32_e32 v19, 0xff0000, v19
	v_or3_b32 v19, v21, v19, v46
	v_or3_b32 v18, v18, 0, 0
	v_cmp_eq_u16_sdwa s[10:11], v20, v25 src0_sel:BYTE_0 src1_sel:DWORD
	s_and_saveexec_b64 s[8:9], s[10:11]
	s_cbranch_execz .LBB5152_33
; %bb.36:                               ;   in Loop: Header=BB5152_34 Depth=1
	s_mov_b64 s[10:11], 0
.LBB5152_37:                            ;   Parent Loop BB5152_34 Depth=1
                                        ; =>  This Inner Loop Header: Depth=2
	;;#ASMSTART
	global_load_dwordx4 v[18:21], v[30:31] off glc	
s_waitcnt vmcnt(0)
	;;#ASMEND
	v_cmp_ne_u16_sdwa s[20:21], v20, v25 src0_sel:BYTE_0 src1_sel:DWORD
	s_or_b64 s[10:11], s[20:21], s[10:11]
	s_andn2_b64 exec, exec, s[10:11]
	s_cbranch_execnz .LBB5152_37
; %bb.38:                               ;   in Loop: Header=BB5152_34 Depth=1
	s_or_b64 exec, exec, s[10:11]
	s_branch .LBB5152_33
.LBB5152_39:                            ;   in Loop: Header=BB5152_34 Depth=1
                                        ; implicit-def: $vgpr18_vgpr19
                                        ; implicit-def: $vgpr20
	s_cbranch_execz .LBB5152_34
; %bb.40:
	s_and_saveexec_b64 s[8:9], s[2:3]
	s_cbranch_execz .LBB5152_42
; %bb.41:
	s_add_i32 s2, s6, 64
	s_mov_b32 s3, 0
	s_lshl_b64 s[2:3], s[2:3], 4
	s_add_u32 s2, s14, s2
	v_add_co_u32_e32 v14, vcc, v26, v14
	s_addc_u32 s3, s15, s3
	v_addc_co_u32_e32 v15, vcc, v27, v15, vcc
	v_mov_b32_e32 v16, 2
	v_mov_b32_e32 v17, 0
	v_pk_mov_b32 v[18:19], s[2:3], s[2:3] op_sel:[0,1]
	;;#ASMSTART
	global_store_dwordx4 v[18:19], v[14:17] off	
s_waitcnt vmcnt(0)
	;;#ASMEND
.LBB5152_42:
	s_or_b64 exec, exec, s[8:9]
	s_and_b64 exec, exec, s[0:1]
	s_cbranch_execz .LBB5152_44
; %bb.43:
	v_mov_b32_e32 v1, 0
	ds_write_b64 v1, v[26:27]
.LBB5152_44:
	s_or_b64 exec, exec, s[16:17]
	v_mov_b32_e32 v1, 0
	s_waitcnt lgkmcnt(0)
	s_barrier
	ds_read_b64 v[14:15], v1
	v_add_co_u32_e32 v1, vcc, v22, v2
	v_addc_co_u32_e32 v16, vcc, v23, v3, vcc
	s_waitcnt lgkmcnt(0)
	v_add_co_u32_e32 v24, vcc, v1, v14
	v_addc_co_u32_e32 v25, vcc, v16, v15, vcc
	v_add_co_u32_e32 v30, vcc, v24, v4
	v_addc_co_u32_e32 v31, vcc, v25, v5, vcc
	;; [unrolled: 2-line block ×7, first 2 shown]
	s_load_dwordx8 s[4:11], s[4:5], 0x48
	s_branch .LBB5152_59
.LBB5152_45:
                                        ; implicit-def: $vgpr22_vgpr23
                                        ; implicit-def: $vgpr34_vgpr35
                                        ; implicit-def: $vgpr32_vgpr33
                                        ; implicit-def: $vgpr30_vgpr31
                                        ; implicit-def: $vgpr18_vgpr19_vgpr20_vgpr21
                                        ; implicit-def: $vgpr14_vgpr15_vgpr16_vgpr17
                                        ; implicit-def: $vgpr24_vgpr25_vgpr26_vgpr27
	s_load_dwordx8 s[4:11], s[4:5], 0x48
	s_cbranch_execz .LBB5152_59
; %bb.46:
	s_waitcnt lgkmcnt(0)
	s_cmp_lg_u64 s[8:9], 0
	s_cselect_b64 s[2:3], -1, 0
	v_cmp_eq_u32_e64 s[0:1], 0, v0
	v_cmp_ne_u32_e32 vcc, 0, v0
	s_and_b64 s[2:3], s[0:1], s[2:3]
	s_and_saveexec_b64 s[8:9], s[2:3]
	s_cbranch_execz .LBB5152_48
; %bb.47:
	v_mov_b32_e32 v1, 0
	global_load_dwordx2 v[14:15], v1, s[4:5]
	s_waitcnt vmcnt(0)
	v_add_co_u32_e64 v2, s[2:3], v14, v2
	v_addc_co_u32_e64 v3, s[2:3], v15, v3, s[2:3]
.LBB5152_48:
	s_or_b64 exec, exec, s[8:9]
	v_add_co_u32_e64 v30, s[2:3], v4, v2
	v_addc_co_u32_e64 v31, s[2:3], v5, v3, s[2:3]
	v_add_co_u32_e64 v14, s[2:3], v30, v10
	v_addc_co_u32_e64 v15, s[2:3], v31, v11, s[2:3]
	;; [unrolled: 2-line block ×6, first 2 shown]
	v_add_lshl_u32 v1, v37, v0, 3
	v_cmp_gt_u32_e64 s[2:3], 64, v0
	ds_write_b64 v1, v[22:23]
	s_waitcnt lgkmcnt(0)
	s_barrier
	s_and_saveexec_b64 s[8:9], s[2:3]
	s_cbranch_execz .LBB5152_52
; %bb.49:
	v_lshlrev_b32_e32 v1, 1, v0
	v_lshrrev_b32_e32 v16, 4, v0
	v_add_lshl_u32 v17, v16, v1, 3
	ds_read2_b64 v[24:27], v17 offset1:1
	v_mbcnt_lo_u32_b32 v1, -1, 0
	v_mbcnt_hi_u32_b32 v20, -1, v1
	v_and_b32_e32 v1, 15, v20
	v_cmp_ne_u32_e64 s[4:5], 0, v20
	s_waitcnt lgkmcnt(0)
	v_add_co_u32_e64 v21, s[2:3], v26, v24
	v_addc_co_u32_e64 v26, s[2:3], v27, v25, s[2:3]
	s_nop 0
	v_mov_b32_dpp v16, v21 row_shr:1 row_mask:0xf bank_mask:0xf
	v_add_co_u32_e64 v16, s[2:3], v21, v16
	v_addc_co_u32_e64 v37, s[2:3], 0, v26, s[2:3]
	v_mov_b32_dpp v27, v26 row_shr:1 row_mask:0xf bank_mask:0xf
	v_add_co_u32_e64 v38, s[2:3], 0, v16
	v_addc_co_u32_e64 v27, s[2:3], v27, v37, s[2:3]
	v_cmp_eq_u32_e64 s[2:3], 0, v1
	v_cndmask_b32_e64 v16, v16, v21, s[2:3]
	v_cndmask_b32_e64 v27, v27, v26, s[2:3]
	v_cndmask_b32_e64 v37, v38, v21, s[2:3]
	v_mov_b32_dpp v38, v16 row_shr:2 row_mask:0xf bank_mask:0xf
	v_mov_b32_dpp v39, v27 row_shr:2 row_mask:0xf bank_mask:0xf
	v_add_co_u32_e64 v38, s[2:3], v38, v37
	v_addc_co_u32_e64 v39, s[2:3], v39, v27, s[2:3]
	v_cmp_lt_u32_e64 s[2:3], 1, v1
	v_cndmask_b32_e64 v16, v16, v38, s[2:3]
	v_cndmask_b32_e64 v27, v27, v39, s[2:3]
	v_cndmask_b32_e64 v37, v37, v38, s[2:3]
	v_mov_b32_dpp v38, v16 row_shr:4 row_mask:0xf bank_mask:0xf
	v_mov_b32_dpp v39, v27 row_shr:4 row_mask:0xf bank_mask:0xf
	v_add_co_u32_e64 v38, s[2:3], v38, v37
	v_addc_co_u32_e64 v39, s[2:3], v39, v27, s[2:3]
	v_cmp_lt_u32_e64 s[2:3], 3, v1
	;; [unrolled: 8-line block ×3, first 2 shown]
	v_cndmask_b32_e64 v40, v16, v38, s[2:3]
	v_cndmask_b32_e64 v1, v27, v39, s[2:3]
	;; [unrolled: 1-line block ×3, first 2 shown]
	v_mov_b32_dpp v27, v40 row_bcast:15 row_mask:0xf bank_mask:0xf
	v_mov_b32_dpp v37, v1 row_bcast:15 row_mask:0xf bank_mask:0xf
	v_add_co_u32_e64 v27, s[2:3], v27, v16
	v_and_b32_e32 v39, 16, v20
	v_addc_co_u32_e64 v38, s[2:3], v37, v1, s[2:3]
	v_cmp_eq_u32_e64 s[2:3], 0, v39
	v_cndmask_b32_e64 v39, v38, v1, s[2:3]
	v_cndmask_b32_e64 v37, v27, v40, s[2:3]
	s_nop 0
	v_mov_b32_dpp v39, v39 row_bcast:31 row_mask:0xf bank_mask:0xf
	v_mov_b32_dpp v37, v37 row_bcast:31 row_mask:0xf bank_mask:0xf
	s_and_saveexec_b64 s[16:17], s[4:5]
; %bb.50:
	v_cndmask_b32_e64 v1, v38, v1, s[2:3]
	v_cndmask_b32_e64 v16, v27, v16, s[2:3]
	v_cmp_lt_u32_e64 s[2:3], 31, v20
	v_cndmask_b32_e64 v21, 0, v37, s[2:3]
	v_cndmask_b32_e64 v26, 0, v39, s[2:3]
	v_add_co_u32_e64 v21, s[2:3], v21, v16
	v_addc_co_u32_e64 v26, s[2:3], v26, v1, s[2:3]
; %bb.51:
	s_or_b64 exec, exec, s[16:17]
	v_add_u32_e32 v1, -1, v20
	v_and_b32_e32 v16, 64, v20
	v_cmp_lt_i32_e64 s[2:3], v1, v16
	v_cndmask_b32_e64 v1, v1, v20, s[2:3]
	v_lshlrev_b32_e32 v1, 2, v1
	ds_bpermute_b32 v16, v1, v21
	ds_bpermute_b32 v1, v1, v26
	; wave barrier
	s_waitcnt lgkmcnt(1)
	v_add_co_u32_e64 v16, s[2:3], v24, v16
	v_addc_co_u32_e64 v20, s[2:3], 0, v25, s[2:3]
	v_add_co_u32_e64 v16, s[2:3], 0, v16
	s_waitcnt lgkmcnt(0)
	v_addc_co_u32_e64 v1, s[2:3], v20, v1, s[2:3]
	v_cndmask_b32_e64 v21, v1, v23, s[0:1]
	v_cndmask_b32_e64 v20, v16, v22, s[0:1]
	ds_write_b64 v17, v[20:21]
	; wave barrier
	ds_read_b64 v[24:25], v17 offset:8
	s_waitcnt lgkmcnt(0)
	v_add_co_u32_e64 v20, s[0:1], v24, v20
	v_addc_co_u32_e64 v21, s[0:1], v25, v21, s[0:1]
	ds_write_b64 v17, v[20:21] offset:8
.LBB5152_52:
	s_or_b64 exec, exec, s[8:9]
	v_pk_mov_b32 v[16:17], v[22:23], v[22:23] op_sel:[0,1]
	s_waitcnt lgkmcnt(0)
	s_barrier
	s_and_saveexec_b64 s[0:1], vcc
	s_cbranch_execz .LBB5152_54
; %bb.53:
	v_add_u32_e32 v1, -1, v0
	v_lshrrev_b32_e32 v16, 5, v1
	v_add_lshl_u32 v1, v16, v1, 3
	ds_read_b64 v[16:17], v1
.LBB5152_54:
	s_or_b64 exec, exec, s[0:1]
	s_and_saveexec_b64 s[0:1], vcc
	s_cbranch_execz .LBB5152_56
; %bb.55:
	s_waitcnt lgkmcnt(0)
	v_add_co_u32_e32 v2, vcc, v16, v2
	v_addc_co_u32_e32 v3, vcc, v17, v3, vcc
	v_add_co_u32_e32 v30, vcc, v2, v4
	v_addc_co_u32_e32 v31, vcc, v3, v5, vcc
	;; [unrolled: 2-line block ×7, first 2 shown]
	;;#ASMSTART
	;;#ASMEND
.LBB5152_56:
	s_or_b64 exec, exec, s[0:1]
	s_movk_i32 s0, 0x7f
	v_cmp_eq_u32_e32 vcc, s0, v0
	s_and_saveexec_b64 s[0:1], vcc
	s_cbranch_execz .LBB5152_58
; %bb.57:
	s_add_u32 s2, s14, 0x400
	s_addc_u32 s3, s15, 0
	v_mov_b32_e32 v24, 2
	v_mov_b32_e32 v25, 0
	v_pk_mov_b32 v[4:5], s[2:3], s[2:3] op_sel:[0,1]
	;;#ASMSTART
	global_store_dwordx4 v[4:5], v[22:25] off	
s_waitcnt vmcnt(0)
	;;#ASMEND
.LBB5152_58:
	s_or_b64 exec, exec, s[0:1]
	v_pk_mov_b32 v[24:25], v[2:3], v[2:3] op_sel:[0,1]
.LBB5152_59:
	v_mul_u32_u24_e32 v2, 56, v0
	s_mov_b64 s[0:1], -1
	s_and_b64 vcc, exec, s[12:13]
	s_waitcnt lgkmcnt(0)
	s_barrier
	ds_write2_b64 v2, v[24:25], v[30:31] offset1:1
	ds_write2_b64 v2, v[14:15], v[32:33] offset0:2 offset1:3
	ds_write2_b64 v2, v[18:19], v[34:35] offset0:4 offset1:5
	ds_write_b64 v2, v[22:23] offset:48
	s_waitcnt lgkmcnt(0)
	s_cbranch_vccz .LBB5152_61
; %bb.60:
	s_barrier
	s_mov_b64 s[0:1], 0
.LBB5152_61:
	s_andn2_b64 vcc, exec, s[0:1]
	s_cbranch_vccnz .LBB5152_86
; %bb.62:
	v_cmp_lt_u64_e64 s[0:1], s[10:11], 2
	s_and_b64 vcc, exec, s[0:1]
	s_barrier
	s_cbranch_vccnz .LBB5152_86
; %bb.63:
	s_add_u32 s0, s18, -1
	s_addc_u32 s1, s19, -1
	s_add_u32 s2, 0, 0x92481000
	s_addc_u32 s3, 0, 0x64
	s_add_i32 s3, s3, 0x249248c0
	s_mul_hi_u32 s9, s2, -7
	s_sub_i32 s9, s9, s2
	s_mul_i32 s10, s3, -7
	s_mul_i32 s4, s2, -7
	s_add_i32 s9, s9, s10
	s_mul_hi_u32 s5, s3, s4
	s_mul_i32 s8, s3, s4
	s_mul_i32 s11, s2, s9
	s_mul_hi_u32 s4, s2, s4
	s_mul_hi_u32 s10, s2, s9
	s_add_u32 s4, s4, s11
	s_addc_u32 s10, 0, s10
	s_add_u32 s4, s4, s8
	s_mul_hi_u32 s11, s3, s9
	s_addc_u32 s4, s10, s5
	s_addc_u32 s5, s11, 0
	s_mul_i32 s8, s3, s9
	s_add_u32 s4, s4, s8
	v_mov_b32_e32 v3, s4
	s_addc_u32 s5, 0, s5
	v_add_co_u32_e32 v3, vcc, s2, v3
	s_cmp_lg_u64 vcc, 0
	s_addc_u32 s2, s3, s5
	v_readfirstlane_b32 s5, v3
	s_mul_i32 s4, s0, s2
	s_mul_hi_u32 s8, s0, s5
	s_mul_hi_u32 s3, s0, s2
	s_add_u32 s4, s8, s4
	s_addc_u32 s3, 0, s3
	s_mul_hi_u32 s9, s1, s5
	s_mul_i32 s5, s1, s5
	s_add_u32 s4, s4, s5
	s_mul_hi_u32 s8, s1, s2
	s_addc_u32 s3, s3, s9
	s_addc_u32 s4, s8, 0
	s_mul_i32 s2, s1, s2
	s_add_u32 s2, s3, s2
	s_addc_u32 s3, 0, s4
	s_add_u32 s4, s2, 1
	s_addc_u32 s5, s3, 0
	s_add_u32 s8, s2, 2
	s_mul_i32 s10, s3, 7
	s_mul_hi_u32 s11, s2, 7
	s_addc_u32 s9, s3, 0
	s_add_i32 s11, s11, s10
	s_mul_i32 s10, s2, 7
	v_mov_b32_e32 v3, s10
	v_sub_co_u32_e32 v3, vcc, s0, v3
	s_cmp_lg_u64 vcc, 0
	s_subb_u32 s10, s1, s11
	v_subrev_co_u32_e32 v4, vcc, 7, v3
	s_cmp_lg_u64 vcc, 0
	s_subb_u32 s11, s10, 0
	v_readfirstlane_b32 s12, v4
	s_cmp_gt_u32 s12, 6
	s_cselect_b32 s12, -1, 0
	s_cmp_eq_u32 s11, 0
	s_cselect_b32 s11, s12, -1
	s_cmp_lg_u32 s11, 0
	s_cselect_b32 s4, s8, s4
	v_readfirstlane_b32 s8, v3
	s_cselect_b32 s5, s9, s5
	s_cmp_gt_u32 s8, 6
	s_cselect_b32 s8, -1, 0
	s_cmp_eq_u32 s10, 0
	s_cselect_b32 s8, s8, -1
	s_cmp_lg_u32 s8, 0
	v_mov_b32_e32 v1, 0
	s_cselect_b32 s3, s5, s3
	s_cselect_b32 s2, s4, s2
	v_cmp_eq_u64_e32 vcc, s[2:3], v[0:1]
	s_and_saveexec_b64 s[2:3], vcc
	s_cbranch_execz .LBB5152_86
; %bb.64:
	s_movk_i32 s2, 0xffd0
	v_mad_i32_i24 v2, v0, s2, v2
	v_mul_hi_u32_u24_e32 v1, 7, v0
	v_mov_b32_e32 v3, s1
	v_sub_co_u32_e32 v0, vcc, s0, v36
	v_subb_co_u32_e32 v1, vcc, v3, v1, vcc
	v_cmp_lt_i64_e32 vcc, 3, v[0:1]
	s_and_saveexec_b64 s[0:1], vcc
	s_xor_b64 s[0:1], exec, s[0:1]
	s_cbranch_execz .LBB5152_74
; %bb.65:
	v_cmp_lt_i64_e32 vcc, 4, v[0:1]
	s_and_saveexec_b64 s[2:3], vcc
	s_xor_b64 s[2:3], exec, s[2:3]
	s_cbranch_execz .LBB5152_71
; %bb.66:
	;; [unrolled: 5-line block ×3, first 2 shown]
	ds_read_b64 v[0:1], v2 offset:6144
	v_mov_b32_e32 v2, 0
	s_waitcnt lgkmcnt(0)
	global_store_dwordx2 v2, v[0:1], s[6:7]
                                        ; implicit-def: $vgpr2
.LBB5152_68:
	s_andn2_saveexec_b64 s[4:5], s[4:5]
	s_cbranch_execz .LBB5152_70
; %bb.69:
	ds_read_b64 v[0:1], v2 offset:5120
	v_mov_b32_e32 v2, 0
	s_waitcnt lgkmcnt(0)
	global_store_dwordx2 v2, v[0:1], s[6:7]
.LBB5152_70:
	s_or_b64 exec, exec, s[4:5]
                                        ; implicit-def: $vgpr2
.LBB5152_71:
	s_andn2_saveexec_b64 s[2:3], s[2:3]
	s_cbranch_execz .LBB5152_73
; %bb.72:
	ds_read_b64 v[0:1], v2 offset:4096
	v_mov_b32_e32 v2, 0
	s_waitcnt lgkmcnt(0)
	global_store_dwordx2 v2, v[0:1], s[6:7]
.LBB5152_73:
	s_or_b64 exec, exec, s[2:3]
                                        ; implicit-def: $vgpr0_vgpr1
                                        ; implicit-def: $vgpr2
.LBB5152_74:
	s_andn2_saveexec_b64 s[0:1], s[0:1]
	s_cbranch_execz .LBB5152_86
; %bb.75:
	v_cmp_lt_i64_e32 vcc, 1, v[0:1]
	s_and_saveexec_b64 s[0:1], vcc
	s_xor_b64 s[0:1], exec, s[0:1]
	s_cbranch_execz .LBB5152_81
; %bb.76:
	v_cmp_lt_i64_e32 vcc, 2, v[0:1]
	s_and_saveexec_b64 s[2:3], vcc
	s_xor_b64 s[2:3], exec, s[2:3]
	s_cbranch_execz .LBB5152_78
; %bb.77:
	ds_read_b64 v[0:1], v2 offset:3072
	v_mov_b32_e32 v2, 0
	s_waitcnt lgkmcnt(0)
	global_store_dwordx2 v2, v[0:1], s[6:7]
                                        ; implicit-def: $vgpr2
.LBB5152_78:
	s_andn2_saveexec_b64 s[2:3], s[2:3]
	s_cbranch_execz .LBB5152_80
; %bb.79:
	ds_read_b64 v[0:1], v2 offset:2048
	v_mov_b32_e32 v2, 0
	s_waitcnt lgkmcnt(0)
	global_store_dwordx2 v2, v[0:1], s[6:7]
.LBB5152_80:
	s_or_b64 exec, exec, s[2:3]
                                        ; implicit-def: $vgpr2
                                        ; implicit-def: $vgpr0_vgpr1
.LBB5152_81:
	s_andn2_saveexec_b64 s[0:1], s[0:1]
	s_cbranch_execz .LBB5152_86
; %bb.82:
	v_cmp_ne_u64_e32 vcc, 1, v[0:1]
	s_and_saveexec_b64 s[0:1], vcc
	s_xor_b64 s[0:1], exec, s[0:1]
	s_cbranch_execz .LBB5152_84
; %bb.83:
	ds_read_b64 v[0:1], v2
	v_mov_b32_e32 v2, 0
	s_waitcnt lgkmcnt(0)
	global_store_dwordx2 v2, v[0:1], s[6:7]
                                        ; implicit-def: $vgpr2
.LBB5152_84:
	s_andn2_saveexec_b64 s[0:1], s[0:1]
	s_cbranch_execz .LBB5152_86
; %bb.85:
	ds_read_b64 v[0:1], v2 offset:1024
	v_mov_b32_e32 v2, 0
	s_waitcnt lgkmcnt(0)
	global_store_dwordx2 v2, v[0:1], s[6:7]
.LBB5152_86:
	s_endpgm
	.section	.rodata,"a",@progbits
	.p2align	6, 0x0
	.amdhsa_kernel _ZN7rocprim17ROCPRIM_400000_NS6detail17trampoline_kernelINS0_14default_configENS1_20scan_config_selectorIyEEZZNS1_9scan_implILNS1_25lookback_scan_determinismE0ELb0ELb0ES3_N6thrust23THRUST_200600_302600_NS6detail15normal_iteratorINS9_10device_ptrIyEEEENS9_16discard_iteratorINS9_11use_defaultEEEyNS9_4plusIvEEyEEDaPvRmT3_T4_T5_mT6_P12ihipStream_tbENKUlT_T0_E_clISt17integral_constantIbLb0EESX_EEDaSS_ST_EUlSS_E_NS1_11comp_targetILNS1_3genE4ELNS1_11target_archE910ELNS1_3gpuE8ELNS1_3repE0EEENS1_30default_config_static_selectorELNS0_4arch9wavefront6targetE1EEEvT1_
		.amdhsa_group_segment_fixed_size 7168
		.amdhsa_private_segment_fixed_size 0
		.amdhsa_kernarg_size 112
		.amdhsa_user_sgpr_count 6
		.amdhsa_user_sgpr_private_segment_buffer 1
		.amdhsa_user_sgpr_dispatch_ptr 0
		.amdhsa_user_sgpr_queue_ptr 0
		.amdhsa_user_sgpr_kernarg_segment_ptr 1
		.amdhsa_user_sgpr_dispatch_id 0
		.amdhsa_user_sgpr_flat_scratch_init 0
		.amdhsa_user_sgpr_kernarg_preload_length 0
		.amdhsa_user_sgpr_kernarg_preload_offset 0
		.amdhsa_user_sgpr_private_segment_size 0
		.amdhsa_uses_dynamic_stack 0
		.amdhsa_system_sgpr_private_segment_wavefront_offset 0
		.amdhsa_system_sgpr_workgroup_id_x 1
		.amdhsa_system_sgpr_workgroup_id_y 0
		.amdhsa_system_sgpr_workgroup_id_z 0
		.amdhsa_system_sgpr_workgroup_info 0
		.amdhsa_system_vgpr_workitem_id 0
		.amdhsa_next_free_vgpr 50
		.amdhsa_next_free_sgpr 22
		.amdhsa_accum_offset 52
		.amdhsa_reserve_vcc 1
		.amdhsa_reserve_flat_scratch 0
		.amdhsa_float_round_mode_32 0
		.amdhsa_float_round_mode_16_64 0
		.amdhsa_float_denorm_mode_32 3
		.amdhsa_float_denorm_mode_16_64 3
		.amdhsa_dx10_clamp 1
		.amdhsa_ieee_mode 1
		.amdhsa_fp16_overflow 0
		.amdhsa_tg_split 0
		.amdhsa_exception_fp_ieee_invalid_op 0
		.amdhsa_exception_fp_denorm_src 0
		.amdhsa_exception_fp_ieee_div_zero 0
		.amdhsa_exception_fp_ieee_overflow 0
		.amdhsa_exception_fp_ieee_underflow 0
		.amdhsa_exception_fp_ieee_inexact 0
		.amdhsa_exception_int_div_zero 0
	.end_amdhsa_kernel
	.section	.text._ZN7rocprim17ROCPRIM_400000_NS6detail17trampoline_kernelINS0_14default_configENS1_20scan_config_selectorIyEEZZNS1_9scan_implILNS1_25lookback_scan_determinismE0ELb0ELb0ES3_N6thrust23THRUST_200600_302600_NS6detail15normal_iteratorINS9_10device_ptrIyEEEENS9_16discard_iteratorINS9_11use_defaultEEEyNS9_4plusIvEEyEEDaPvRmT3_T4_T5_mT6_P12ihipStream_tbENKUlT_T0_E_clISt17integral_constantIbLb0EESX_EEDaSS_ST_EUlSS_E_NS1_11comp_targetILNS1_3genE4ELNS1_11target_archE910ELNS1_3gpuE8ELNS1_3repE0EEENS1_30default_config_static_selectorELNS0_4arch9wavefront6targetE1EEEvT1_,"axG",@progbits,_ZN7rocprim17ROCPRIM_400000_NS6detail17trampoline_kernelINS0_14default_configENS1_20scan_config_selectorIyEEZZNS1_9scan_implILNS1_25lookback_scan_determinismE0ELb0ELb0ES3_N6thrust23THRUST_200600_302600_NS6detail15normal_iteratorINS9_10device_ptrIyEEEENS9_16discard_iteratorINS9_11use_defaultEEEyNS9_4plusIvEEyEEDaPvRmT3_T4_T5_mT6_P12ihipStream_tbENKUlT_T0_E_clISt17integral_constantIbLb0EESX_EEDaSS_ST_EUlSS_E_NS1_11comp_targetILNS1_3genE4ELNS1_11target_archE910ELNS1_3gpuE8ELNS1_3repE0EEENS1_30default_config_static_selectorELNS0_4arch9wavefront6targetE1EEEvT1_,comdat
.Lfunc_end5152:
	.size	_ZN7rocprim17ROCPRIM_400000_NS6detail17trampoline_kernelINS0_14default_configENS1_20scan_config_selectorIyEEZZNS1_9scan_implILNS1_25lookback_scan_determinismE0ELb0ELb0ES3_N6thrust23THRUST_200600_302600_NS6detail15normal_iteratorINS9_10device_ptrIyEEEENS9_16discard_iteratorINS9_11use_defaultEEEyNS9_4plusIvEEyEEDaPvRmT3_T4_T5_mT6_P12ihipStream_tbENKUlT_T0_E_clISt17integral_constantIbLb0EESX_EEDaSS_ST_EUlSS_E_NS1_11comp_targetILNS1_3genE4ELNS1_11target_archE910ELNS1_3gpuE8ELNS1_3repE0EEENS1_30default_config_static_selectorELNS0_4arch9wavefront6targetE1EEEvT1_, .Lfunc_end5152-_ZN7rocprim17ROCPRIM_400000_NS6detail17trampoline_kernelINS0_14default_configENS1_20scan_config_selectorIyEEZZNS1_9scan_implILNS1_25lookback_scan_determinismE0ELb0ELb0ES3_N6thrust23THRUST_200600_302600_NS6detail15normal_iteratorINS9_10device_ptrIyEEEENS9_16discard_iteratorINS9_11use_defaultEEEyNS9_4plusIvEEyEEDaPvRmT3_T4_T5_mT6_P12ihipStream_tbENKUlT_T0_E_clISt17integral_constantIbLb0EESX_EEDaSS_ST_EUlSS_E_NS1_11comp_targetILNS1_3genE4ELNS1_11target_archE910ELNS1_3gpuE8ELNS1_3repE0EEENS1_30default_config_static_selectorELNS0_4arch9wavefront6targetE1EEEvT1_
                                        ; -- End function
	.section	.AMDGPU.csdata,"",@progbits
; Kernel info:
; codeLenInByte = 5400
; NumSgprs: 26
; NumVgprs: 50
; NumAgprs: 0
; TotalNumVgprs: 50
; ScratchSize: 0
; MemoryBound: 0
; FloatMode: 240
; IeeeMode: 1
; LDSByteSize: 7168 bytes/workgroup (compile time only)
; SGPRBlocks: 3
; VGPRBlocks: 6
; NumSGPRsForWavesPerEU: 26
; NumVGPRsForWavesPerEU: 50
; AccumOffset: 52
; Occupancy: 5
; WaveLimiterHint : 1
; COMPUTE_PGM_RSRC2:SCRATCH_EN: 0
; COMPUTE_PGM_RSRC2:USER_SGPR: 6
; COMPUTE_PGM_RSRC2:TRAP_HANDLER: 0
; COMPUTE_PGM_RSRC2:TGID_X_EN: 1
; COMPUTE_PGM_RSRC2:TGID_Y_EN: 0
; COMPUTE_PGM_RSRC2:TGID_Z_EN: 0
; COMPUTE_PGM_RSRC2:TIDIG_COMP_CNT: 0
; COMPUTE_PGM_RSRC3_GFX90A:ACCUM_OFFSET: 12
; COMPUTE_PGM_RSRC3_GFX90A:TG_SPLIT: 0
	.section	.text._ZN7rocprim17ROCPRIM_400000_NS6detail17trampoline_kernelINS0_14default_configENS1_20scan_config_selectorIyEEZZNS1_9scan_implILNS1_25lookback_scan_determinismE0ELb0ELb0ES3_N6thrust23THRUST_200600_302600_NS6detail15normal_iteratorINS9_10device_ptrIyEEEENS9_16discard_iteratorINS9_11use_defaultEEEyNS9_4plusIvEEyEEDaPvRmT3_T4_T5_mT6_P12ihipStream_tbENKUlT_T0_E_clISt17integral_constantIbLb0EESX_EEDaSS_ST_EUlSS_E_NS1_11comp_targetILNS1_3genE3ELNS1_11target_archE908ELNS1_3gpuE7ELNS1_3repE0EEENS1_30default_config_static_selectorELNS0_4arch9wavefront6targetE1EEEvT1_,"axG",@progbits,_ZN7rocprim17ROCPRIM_400000_NS6detail17trampoline_kernelINS0_14default_configENS1_20scan_config_selectorIyEEZZNS1_9scan_implILNS1_25lookback_scan_determinismE0ELb0ELb0ES3_N6thrust23THRUST_200600_302600_NS6detail15normal_iteratorINS9_10device_ptrIyEEEENS9_16discard_iteratorINS9_11use_defaultEEEyNS9_4plusIvEEyEEDaPvRmT3_T4_T5_mT6_P12ihipStream_tbENKUlT_T0_E_clISt17integral_constantIbLb0EESX_EEDaSS_ST_EUlSS_E_NS1_11comp_targetILNS1_3genE3ELNS1_11target_archE908ELNS1_3gpuE7ELNS1_3repE0EEENS1_30default_config_static_selectorELNS0_4arch9wavefront6targetE1EEEvT1_,comdat
	.protected	_ZN7rocprim17ROCPRIM_400000_NS6detail17trampoline_kernelINS0_14default_configENS1_20scan_config_selectorIyEEZZNS1_9scan_implILNS1_25lookback_scan_determinismE0ELb0ELb0ES3_N6thrust23THRUST_200600_302600_NS6detail15normal_iteratorINS9_10device_ptrIyEEEENS9_16discard_iteratorINS9_11use_defaultEEEyNS9_4plusIvEEyEEDaPvRmT3_T4_T5_mT6_P12ihipStream_tbENKUlT_T0_E_clISt17integral_constantIbLb0EESX_EEDaSS_ST_EUlSS_E_NS1_11comp_targetILNS1_3genE3ELNS1_11target_archE908ELNS1_3gpuE7ELNS1_3repE0EEENS1_30default_config_static_selectorELNS0_4arch9wavefront6targetE1EEEvT1_ ; -- Begin function _ZN7rocprim17ROCPRIM_400000_NS6detail17trampoline_kernelINS0_14default_configENS1_20scan_config_selectorIyEEZZNS1_9scan_implILNS1_25lookback_scan_determinismE0ELb0ELb0ES3_N6thrust23THRUST_200600_302600_NS6detail15normal_iteratorINS9_10device_ptrIyEEEENS9_16discard_iteratorINS9_11use_defaultEEEyNS9_4plusIvEEyEEDaPvRmT3_T4_T5_mT6_P12ihipStream_tbENKUlT_T0_E_clISt17integral_constantIbLb0EESX_EEDaSS_ST_EUlSS_E_NS1_11comp_targetILNS1_3genE3ELNS1_11target_archE908ELNS1_3gpuE7ELNS1_3repE0EEENS1_30default_config_static_selectorELNS0_4arch9wavefront6targetE1EEEvT1_
	.globl	_ZN7rocprim17ROCPRIM_400000_NS6detail17trampoline_kernelINS0_14default_configENS1_20scan_config_selectorIyEEZZNS1_9scan_implILNS1_25lookback_scan_determinismE0ELb0ELb0ES3_N6thrust23THRUST_200600_302600_NS6detail15normal_iteratorINS9_10device_ptrIyEEEENS9_16discard_iteratorINS9_11use_defaultEEEyNS9_4plusIvEEyEEDaPvRmT3_T4_T5_mT6_P12ihipStream_tbENKUlT_T0_E_clISt17integral_constantIbLb0EESX_EEDaSS_ST_EUlSS_E_NS1_11comp_targetILNS1_3genE3ELNS1_11target_archE908ELNS1_3gpuE7ELNS1_3repE0EEENS1_30default_config_static_selectorELNS0_4arch9wavefront6targetE1EEEvT1_
	.p2align	8
	.type	_ZN7rocprim17ROCPRIM_400000_NS6detail17trampoline_kernelINS0_14default_configENS1_20scan_config_selectorIyEEZZNS1_9scan_implILNS1_25lookback_scan_determinismE0ELb0ELb0ES3_N6thrust23THRUST_200600_302600_NS6detail15normal_iteratorINS9_10device_ptrIyEEEENS9_16discard_iteratorINS9_11use_defaultEEEyNS9_4plusIvEEyEEDaPvRmT3_T4_T5_mT6_P12ihipStream_tbENKUlT_T0_E_clISt17integral_constantIbLb0EESX_EEDaSS_ST_EUlSS_E_NS1_11comp_targetILNS1_3genE3ELNS1_11target_archE908ELNS1_3gpuE7ELNS1_3repE0EEENS1_30default_config_static_selectorELNS0_4arch9wavefront6targetE1EEEvT1_,@function
_ZN7rocprim17ROCPRIM_400000_NS6detail17trampoline_kernelINS0_14default_configENS1_20scan_config_selectorIyEEZZNS1_9scan_implILNS1_25lookback_scan_determinismE0ELb0ELb0ES3_N6thrust23THRUST_200600_302600_NS6detail15normal_iteratorINS9_10device_ptrIyEEEENS9_16discard_iteratorINS9_11use_defaultEEEyNS9_4plusIvEEyEEDaPvRmT3_T4_T5_mT6_P12ihipStream_tbENKUlT_T0_E_clISt17integral_constantIbLb0EESX_EEDaSS_ST_EUlSS_E_NS1_11comp_targetILNS1_3genE3ELNS1_11target_archE908ELNS1_3gpuE7ELNS1_3repE0EEENS1_30default_config_static_selectorELNS0_4arch9wavefront6targetE1EEEvT1_: ; @_ZN7rocprim17ROCPRIM_400000_NS6detail17trampoline_kernelINS0_14default_configENS1_20scan_config_selectorIyEEZZNS1_9scan_implILNS1_25lookback_scan_determinismE0ELb0ELb0ES3_N6thrust23THRUST_200600_302600_NS6detail15normal_iteratorINS9_10device_ptrIyEEEENS9_16discard_iteratorINS9_11use_defaultEEEyNS9_4plusIvEEyEEDaPvRmT3_T4_T5_mT6_P12ihipStream_tbENKUlT_T0_E_clISt17integral_constantIbLb0EESX_EEDaSS_ST_EUlSS_E_NS1_11comp_targetILNS1_3genE3ELNS1_11target_archE908ELNS1_3gpuE7ELNS1_3repE0EEENS1_30default_config_static_selectorELNS0_4arch9wavefront6targetE1EEEvT1_
; %bb.0:
	.section	.rodata,"a",@progbits
	.p2align	6, 0x0
	.amdhsa_kernel _ZN7rocprim17ROCPRIM_400000_NS6detail17trampoline_kernelINS0_14default_configENS1_20scan_config_selectorIyEEZZNS1_9scan_implILNS1_25lookback_scan_determinismE0ELb0ELb0ES3_N6thrust23THRUST_200600_302600_NS6detail15normal_iteratorINS9_10device_ptrIyEEEENS9_16discard_iteratorINS9_11use_defaultEEEyNS9_4plusIvEEyEEDaPvRmT3_T4_T5_mT6_P12ihipStream_tbENKUlT_T0_E_clISt17integral_constantIbLb0EESX_EEDaSS_ST_EUlSS_E_NS1_11comp_targetILNS1_3genE3ELNS1_11target_archE908ELNS1_3gpuE7ELNS1_3repE0EEENS1_30default_config_static_selectorELNS0_4arch9wavefront6targetE1EEEvT1_
		.amdhsa_group_segment_fixed_size 0
		.amdhsa_private_segment_fixed_size 0
		.amdhsa_kernarg_size 112
		.amdhsa_user_sgpr_count 6
		.amdhsa_user_sgpr_private_segment_buffer 1
		.amdhsa_user_sgpr_dispatch_ptr 0
		.amdhsa_user_sgpr_queue_ptr 0
		.amdhsa_user_sgpr_kernarg_segment_ptr 1
		.amdhsa_user_sgpr_dispatch_id 0
		.amdhsa_user_sgpr_flat_scratch_init 0
		.amdhsa_user_sgpr_kernarg_preload_length 0
		.amdhsa_user_sgpr_kernarg_preload_offset 0
		.amdhsa_user_sgpr_private_segment_size 0
		.amdhsa_uses_dynamic_stack 0
		.amdhsa_system_sgpr_private_segment_wavefront_offset 0
		.amdhsa_system_sgpr_workgroup_id_x 1
		.amdhsa_system_sgpr_workgroup_id_y 0
		.amdhsa_system_sgpr_workgroup_id_z 0
		.amdhsa_system_sgpr_workgroup_info 0
		.amdhsa_system_vgpr_workitem_id 0
		.amdhsa_next_free_vgpr 1
		.amdhsa_next_free_sgpr 0
		.amdhsa_accum_offset 4
		.amdhsa_reserve_vcc 0
		.amdhsa_reserve_flat_scratch 0
		.amdhsa_float_round_mode_32 0
		.amdhsa_float_round_mode_16_64 0
		.amdhsa_float_denorm_mode_32 3
		.amdhsa_float_denorm_mode_16_64 3
		.amdhsa_dx10_clamp 1
		.amdhsa_ieee_mode 1
		.amdhsa_fp16_overflow 0
		.amdhsa_tg_split 0
		.amdhsa_exception_fp_ieee_invalid_op 0
		.amdhsa_exception_fp_denorm_src 0
		.amdhsa_exception_fp_ieee_div_zero 0
		.amdhsa_exception_fp_ieee_overflow 0
		.amdhsa_exception_fp_ieee_underflow 0
		.amdhsa_exception_fp_ieee_inexact 0
		.amdhsa_exception_int_div_zero 0
	.end_amdhsa_kernel
	.section	.text._ZN7rocprim17ROCPRIM_400000_NS6detail17trampoline_kernelINS0_14default_configENS1_20scan_config_selectorIyEEZZNS1_9scan_implILNS1_25lookback_scan_determinismE0ELb0ELb0ES3_N6thrust23THRUST_200600_302600_NS6detail15normal_iteratorINS9_10device_ptrIyEEEENS9_16discard_iteratorINS9_11use_defaultEEEyNS9_4plusIvEEyEEDaPvRmT3_T4_T5_mT6_P12ihipStream_tbENKUlT_T0_E_clISt17integral_constantIbLb0EESX_EEDaSS_ST_EUlSS_E_NS1_11comp_targetILNS1_3genE3ELNS1_11target_archE908ELNS1_3gpuE7ELNS1_3repE0EEENS1_30default_config_static_selectorELNS0_4arch9wavefront6targetE1EEEvT1_,"axG",@progbits,_ZN7rocprim17ROCPRIM_400000_NS6detail17trampoline_kernelINS0_14default_configENS1_20scan_config_selectorIyEEZZNS1_9scan_implILNS1_25lookback_scan_determinismE0ELb0ELb0ES3_N6thrust23THRUST_200600_302600_NS6detail15normal_iteratorINS9_10device_ptrIyEEEENS9_16discard_iteratorINS9_11use_defaultEEEyNS9_4plusIvEEyEEDaPvRmT3_T4_T5_mT6_P12ihipStream_tbENKUlT_T0_E_clISt17integral_constantIbLb0EESX_EEDaSS_ST_EUlSS_E_NS1_11comp_targetILNS1_3genE3ELNS1_11target_archE908ELNS1_3gpuE7ELNS1_3repE0EEENS1_30default_config_static_selectorELNS0_4arch9wavefront6targetE1EEEvT1_,comdat
.Lfunc_end5153:
	.size	_ZN7rocprim17ROCPRIM_400000_NS6detail17trampoline_kernelINS0_14default_configENS1_20scan_config_selectorIyEEZZNS1_9scan_implILNS1_25lookback_scan_determinismE0ELb0ELb0ES3_N6thrust23THRUST_200600_302600_NS6detail15normal_iteratorINS9_10device_ptrIyEEEENS9_16discard_iteratorINS9_11use_defaultEEEyNS9_4plusIvEEyEEDaPvRmT3_T4_T5_mT6_P12ihipStream_tbENKUlT_T0_E_clISt17integral_constantIbLb0EESX_EEDaSS_ST_EUlSS_E_NS1_11comp_targetILNS1_3genE3ELNS1_11target_archE908ELNS1_3gpuE7ELNS1_3repE0EEENS1_30default_config_static_selectorELNS0_4arch9wavefront6targetE1EEEvT1_, .Lfunc_end5153-_ZN7rocprim17ROCPRIM_400000_NS6detail17trampoline_kernelINS0_14default_configENS1_20scan_config_selectorIyEEZZNS1_9scan_implILNS1_25lookback_scan_determinismE0ELb0ELb0ES3_N6thrust23THRUST_200600_302600_NS6detail15normal_iteratorINS9_10device_ptrIyEEEENS9_16discard_iteratorINS9_11use_defaultEEEyNS9_4plusIvEEyEEDaPvRmT3_T4_T5_mT6_P12ihipStream_tbENKUlT_T0_E_clISt17integral_constantIbLb0EESX_EEDaSS_ST_EUlSS_E_NS1_11comp_targetILNS1_3genE3ELNS1_11target_archE908ELNS1_3gpuE7ELNS1_3repE0EEENS1_30default_config_static_selectorELNS0_4arch9wavefront6targetE1EEEvT1_
                                        ; -- End function
	.section	.AMDGPU.csdata,"",@progbits
; Kernel info:
; codeLenInByte = 0
; NumSgprs: 4
; NumVgprs: 0
; NumAgprs: 0
; TotalNumVgprs: 0
; ScratchSize: 0
; MemoryBound: 0
; FloatMode: 240
; IeeeMode: 1
; LDSByteSize: 0 bytes/workgroup (compile time only)
; SGPRBlocks: 0
; VGPRBlocks: 0
; NumSGPRsForWavesPerEU: 4
; NumVGPRsForWavesPerEU: 1
; AccumOffset: 4
; Occupancy: 8
; WaveLimiterHint : 0
; COMPUTE_PGM_RSRC2:SCRATCH_EN: 0
; COMPUTE_PGM_RSRC2:USER_SGPR: 6
; COMPUTE_PGM_RSRC2:TRAP_HANDLER: 0
; COMPUTE_PGM_RSRC2:TGID_X_EN: 1
; COMPUTE_PGM_RSRC2:TGID_Y_EN: 0
; COMPUTE_PGM_RSRC2:TGID_Z_EN: 0
; COMPUTE_PGM_RSRC2:TIDIG_COMP_CNT: 0
; COMPUTE_PGM_RSRC3_GFX90A:ACCUM_OFFSET: 0
; COMPUTE_PGM_RSRC3_GFX90A:TG_SPLIT: 0
	.section	.text._ZN7rocprim17ROCPRIM_400000_NS6detail17trampoline_kernelINS0_14default_configENS1_20scan_config_selectorIyEEZZNS1_9scan_implILNS1_25lookback_scan_determinismE0ELb0ELb0ES3_N6thrust23THRUST_200600_302600_NS6detail15normal_iteratorINS9_10device_ptrIyEEEENS9_16discard_iteratorINS9_11use_defaultEEEyNS9_4plusIvEEyEEDaPvRmT3_T4_T5_mT6_P12ihipStream_tbENKUlT_T0_E_clISt17integral_constantIbLb0EESX_EEDaSS_ST_EUlSS_E_NS1_11comp_targetILNS1_3genE2ELNS1_11target_archE906ELNS1_3gpuE6ELNS1_3repE0EEENS1_30default_config_static_selectorELNS0_4arch9wavefront6targetE1EEEvT1_,"axG",@progbits,_ZN7rocprim17ROCPRIM_400000_NS6detail17trampoline_kernelINS0_14default_configENS1_20scan_config_selectorIyEEZZNS1_9scan_implILNS1_25lookback_scan_determinismE0ELb0ELb0ES3_N6thrust23THRUST_200600_302600_NS6detail15normal_iteratorINS9_10device_ptrIyEEEENS9_16discard_iteratorINS9_11use_defaultEEEyNS9_4plusIvEEyEEDaPvRmT3_T4_T5_mT6_P12ihipStream_tbENKUlT_T0_E_clISt17integral_constantIbLb0EESX_EEDaSS_ST_EUlSS_E_NS1_11comp_targetILNS1_3genE2ELNS1_11target_archE906ELNS1_3gpuE6ELNS1_3repE0EEENS1_30default_config_static_selectorELNS0_4arch9wavefront6targetE1EEEvT1_,comdat
	.protected	_ZN7rocprim17ROCPRIM_400000_NS6detail17trampoline_kernelINS0_14default_configENS1_20scan_config_selectorIyEEZZNS1_9scan_implILNS1_25lookback_scan_determinismE0ELb0ELb0ES3_N6thrust23THRUST_200600_302600_NS6detail15normal_iteratorINS9_10device_ptrIyEEEENS9_16discard_iteratorINS9_11use_defaultEEEyNS9_4plusIvEEyEEDaPvRmT3_T4_T5_mT6_P12ihipStream_tbENKUlT_T0_E_clISt17integral_constantIbLb0EESX_EEDaSS_ST_EUlSS_E_NS1_11comp_targetILNS1_3genE2ELNS1_11target_archE906ELNS1_3gpuE6ELNS1_3repE0EEENS1_30default_config_static_selectorELNS0_4arch9wavefront6targetE1EEEvT1_ ; -- Begin function _ZN7rocprim17ROCPRIM_400000_NS6detail17trampoline_kernelINS0_14default_configENS1_20scan_config_selectorIyEEZZNS1_9scan_implILNS1_25lookback_scan_determinismE0ELb0ELb0ES3_N6thrust23THRUST_200600_302600_NS6detail15normal_iteratorINS9_10device_ptrIyEEEENS9_16discard_iteratorINS9_11use_defaultEEEyNS9_4plusIvEEyEEDaPvRmT3_T4_T5_mT6_P12ihipStream_tbENKUlT_T0_E_clISt17integral_constantIbLb0EESX_EEDaSS_ST_EUlSS_E_NS1_11comp_targetILNS1_3genE2ELNS1_11target_archE906ELNS1_3gpuE6ELNS1_3repE0EEENS1_30default_config_static_selectorELNS0_4arch9wavefront6targetE1EEEvT1_
	.globl	_ZN7rocprim17ROCPRIM_400000_NS6detail17trampoline_kernelINS0_14default_configENS1_20scan_config_selectorIyEEZZNS1_9scan_implILNS1_25lookback_scan_determinismE0ELb0ELb0ES3_N6thrust23THRUST_200600_302600_NS6detail15normal_iteratorINS9_10device_ptrIyEEEENS9_16discard_iteratorINS9_11use_defaultEEEyNS9_4plusIvEEyEEDaPvRmT3_T4_T5_mT6_P12ihipStream_tbENKUlT_T0_E_clISt17integral_constantIbLb0EESX_EEDaSS_ST_EUlSS_E_NS1_11comp_targetILNS1_3genE2ELNS1_11target_archE906ELNS1_3gpuE6ELNS1_3repE0EEENS1_30default_config_static_selectorELNS0_4arch9wavefront6targetE1EEEvT1_
	.p2align	8
	.type	_ZN7rocprim17ROCPRIM_400000_NS6detail17trampoline_kernelINS0_14default_configENS1_20scan_config_selectorIyEEZZNS1_9scan_implILNS1_25lookback_scan_determinismE0ELb0ELb0ES3_N6thrust23THRUST_200600_302600_NS6detail15normal_iteratorINS9_10device_ptrIyEEEENS9_16discard_iteratorINS9_11use_defaultEEEyNS9_4plusIvEEyEEDaPvRmT3_T4_T5_mT6_P12ihipStream_tbENKUlT_T0_E_clISt17integral_constantIbLb0EESX_EEDaSS_ST_EUlSS_E_NS1_11comp_targetILNS1_3genE2ELNS1_11target_archE906ELNS1_3gpuE6ELNS1_3repE0EEENS1_30default_config_static_selectorELNS0_4arch9wavefront6targetE1EEEvT1_,@function
_ZN7rocprim17ROCPRIM_400000_NS6detail17trampoline_kernelINS0_14default_configENS1_20scan_config_selectorIyEEZZNS1_9scan_implILNS1_25lookback_scan_determinismE0ELb0ELb0ES3_N6thrust23THRUST_200600_302600_NS6detail15normal_iteratorINS9_10device_ptrIyEEEENS9_16discard_iteratorINS9_11use_defaultEEEyNS9_4plusIvEEyEEDaPvRmT3_T4_T5_mT6_P12ihipStream_tbENKUlT_T0_E_clISt17integral_constantIbLb0EESX_EEDaSS_ST_EUlSS_E_NS1_11comp_targetILNS1_3genE2ELNS1_11target_archE906ELNS1_3gpuE6ELNS1_3repE0EEENS1_30default_config_static_selectorELNS0_4arch9wavefront6targetE1EEEvT1_: ; @_ZN7rocprim17ROCPRIM_400000_NS6detail17trampoline_kernelINS0_14default_configENS1_20scan_config_selectorIyEEZZNS1_9scan_implILNS1_25lookback_scan_determinismE0ELb0ELb0ES3_N6thrust23THRUST_200600_302600_NS6detail15normal_iteratorINS9_10device_ptrIyEEEENS9_16discard_iteratorINS9_11use_defaultEEEyNS9_4plusIvEEyEEDaPvRmT3_T4_T5_mT6_P12ihipStream_tbENKUlT_T0_E_clISt17integral_constantIbLb0EESX_EEDaSS_ST_EUlSS_E_NS1_11comp_targetILNS1_3genE2ELNS1_11target_archE906ELNS1_3gpuE6ELNS1_3repE0EEENS1_30default_config_static_selectorELNS0_4arch9wavefront6targetE1EEEvT1_
; %bb.0:
	.section	.rodata,"a",@progbits
	.p2align	6, 0x0
	.amdhsa_kernel _ZN7rocprim17ROCPRIM_400000_NS6detail17trampoline_kernelINS0_14default_configENS1_20scan_config_selectorIyEEZZNS1_9scan_implILNS1_25lookback_scan_determinismE0ELb0ELb0ES3_N6thrust23THRUST_200600_302600_NS6detail15normal_iteratorINS9_10device_ptrIyEEEENS9_16discard_iteratorINS9_11use_defaultEEEyNS9_4plusIvEEyEEDaPvRmT3_T4_T5_mT6_P12ihipStream_tbENKUlT_T0_E_clISt17integral_constantIbLb0EESX_EEDaSS_ST_EUlSS_E_NS1_11comp_targetILNS1_3genE2ELNS1_11target_archE906ELNS1_3gpuE6ELNS1_3repE0EEENS1_30default_config_static_selectorELNS0_4arch9wavefront6targetE1EEEvT1_
		.amdhsa_group_segment_fixed_size 0
		.amdhsa_private_segment_fixed_size 0
		.amdhsa_kernarg_size 112
		.amdhsa_user_sgpr_count 6
		.amdhsa_user_sgpr_private_segment_buffer 1
		.amdhsa_user_sgpr_dispatch_ptr 0
		.amdhsa_user_sgpr_queue_ptr 0
		.amdhsa_user_sgpr_kernarg_segment_ptr 1
		.amdhsa_user_sgpr_dispatch_id 0
		.amdhsa_user_sgpr_flat_scratch_init 0
		.amdhsa_user_sgpr_kernarg_preload_length 0
		.amdhsa_user_sgpr_kernarg_preload_offset 0
		.amdhsa_user_sgpr_private_segment_size 0
		.amdhsa_uses_dynamic_stack 0
		.amdhsa_system_sgpr_private_segment_wavefront_offset 0
		.amdhsa_system_sgpr_workgroup_id_x 1
		.amdhsa_system_sgpr_workgroup_id_y 0
		.amdhsa_system_sgpr_workgroup_id_z 0
		.amdhsa_system_sgpr_workgroup_info 0
		.amdhsa_system_vgpr_workitem_id 0
		.amdhsa_next_free_vgpr 1
		.amdhsa_next_free_sgpr 0
		.amdhsa_accum_offset 4
		.amdhsa_reserve_vcc 0
		.amdhsa_reserve_flat_scratch 0
		.amdhsa_float_round_mode_32 0
		.amdhsa_float_round_mode_16_64 0
		.amdhsa_float_denorm_mode_32 3
		.amdhsa_float_denorm_mode_16_64 3
		.amdhsa_dx10_clamp 1
		.amdhsa_ieee_mode 1
		.amdhsa_fp16_overflow 0
		.amdhsa_tg_split 0
		.amdhsa_exception_fp_ieee_invalid_op 0
		.amdhsa_exception_fp_denorm_src 0
		.amdhsa_exception_fp_ieee_div_zero 0
		.amdhsa_exception_fp_ieee_overflow 0
		.amdhsa_exception_fp_ieee_underflow 0
		.amdhsa_exception_fp_ieee_inexact 0
		.amdhsa_exception_int_div_zero 0
	.end_amdhsa_kernel
	.section	.text._ZN7rocprim17ROCPRIM_400000_NS6detail17trampoline_kernelINS0_14default_configENS1_20scan_config_selectorIyEEZZNS1_9scan_implILNS1_25lookback_scan_determinismE0ELb0ELb0ES3_N6thrust23THRUST_200600_302600_NS6detail15normal_iteratorINS9_10device_ptrIyEEEENS9_16discard_iteratorINS9_11use_defaultEEEyNS9_4plusIvEEyEEDaPvRmT3_T4_T5_mT6_P12ihipStream_tbENKUlT_T0_E_clISt17integral_constantIbLb0EESX_EEDaSS_ST_EUlSS_E_NS1_11comp_targetILNS1_3genE2ELNS1_11target_archE906ELNS1_3gpuE6ELNS1_3repE0EEENS1_30default_config_static_selectorELNS0_4arch9wavefront6targetE1EEEvT1_,"axG",@progbits,_ZN7rocprim17ROCPRIM_400000_NS6detail17trampoline_kernelINS0_14default_configENS1_20scan_config_selectorIyEEZZNS1_9scan_implILNS1_25lookback_scan_determinismE0ELb0ELb0ES3_N6thrust23THRUST_200600_302600_NS6detail15normal_iteratorINS9_10device_ptrIyEEEENS9_16discard_iteratorINS9_11use_defaultEEEyNS9_4plusIvEEyEEDaPvRmT3_T4_T5_mT6_P12ihipStream_tbENKUlT_T0_E_clISt17integral_constantIbLb0EESX_EEDaSS_ST_EUlSS_E_NS1_11comp_targetILNS1_3genE2ELNS1_11target_archE906ELNS1_3gpuE6ELNS1_3repE0EEENS1_30default_config_static_selectorELNS0_4arch9wavefront6targetE1EEEvT1_,comdat
.Lfunc_end5154:
	.size	_ZN7rocprim17ROCPRIM_400000_NS6detail17trampoline_kernelINS0_14default_configENS1_20scan_config_selectorIyEEZZNS1_9scan_implILNS1_25lookback_scan_determinismE0ELb0ELb0ES3_N6thrust23THRUST_200600_302600_NS6detail15normal_iteratorINS9_10device_ptrIyEEEENS9_16discard_iteratorINS9_11use_defaultEEEyNS9_4plusIvEEyEEDaPvRmT3_T4_T5_mT6_P12ihipStream_tbENKUlT_T0_E_clISt17integral_constantIbLb0EESX_EEDaSS_ST_EUlSS_E_NS1_11comp_targetILNS1_3genE2ELNS1_11target_archE906ELNS1_3gpuE6ELNS1_3repE0EEENS1_30default_config_static_selectorELNS0_4arch9wavefront6targetE1EEEvT1_, .Lfunc_end5154-_ZN7rocprim17ROCPRIM_400000_NS6detail17trampoline_kernelINS0_14default_configENS1_20scan_config_selectorIyEEZZNS1_9scan_implILNS1_25lookback_scan_determinismE0ELb0ELb0ES3_N6thrust23THRUST_200600_302600_NS6detail15normal_iteratorINS9_10device_ptrIyEEEENS9_16discard_iteratorINS9_11use_defaultEEEyNS9_4plusIvEEyEEDaPvRmT3_T4_T5_mT6_P12ihipStream_tbENKUlT_T0_E_clISt17integral_constantIbLb0EESX_EEDaSS_ST_EUlSS_E_NS1_11comp_targetILNS1_3genE2ELNS1_11target_archE906ELNS1_3gpuE6ELNS1_3repE0EEENS1_30default_config_static_selectorELNS0_4arch9wavefront6targetE1EEEvT1_
                                        ; -- End function
	.section	.AMDGPU.csdata,"",@progbits
; Kernel info:
; codeLenInByte = 0
; NumSgprs: 4
; NumVgprs: 0
; NumAgprs: 0
; TotalNumVgprs: 0
; ScratchSize: 0
; MemoryBound: 0
; FloatMode: 240
; IeeeMode: 1
; LDSByteSize: 0 bytes/workgroup (compile time only)
; SGPRBlocks: 0
; VGPRBlocks: 0
; NumSGPRsForWavesPerEU: 4
; NumVGPRsForWavesPerEU: 1
; AccumOffset: 4
; Occupancy: 8
; WaveLimiterHint : 0
; COMPUTE_PGM_RSRC2:SCRATCH_EN: 0
; COMPUTE_PGM_RSRC2:USER_SGPR: 6
; COMPUTE_PGM_RSRC2:TRAP_HANDLER: 0
; COMPUTE_PGM_RSRC2:TGID_X_EN: 1
; COMPUTE_PGM_RSRC2:TGID_Y_EN: 0
; COMPUTE_PGM_RSRC2:TGID_Z_EN: 0
; COMPUTE_PGM_RSRC2:TIDIG_COMP_CNT: 0
; COMPUTE_PGM_RSRC3_GFX90A:ACCUM_OFFSET: 0
; COMPUTE_PGM_RSRC3_GFX90A:TG_SPLIT: 0
	.section	.text._ZN7rocprim17ROCPRIM_400000_NS6detail17trampoline_kernelINS0_14default_configENS1_20scan_config_selectorIyEEZZNS1_9scan_implILNS1_25lookback_scan_determinismE0ELb0ELb0ES3_N6thrust23THRUST_200600_302600_NS6detail15normal_iteratorINS9_10device_ptrIyEEEENS9_16discard_iteratorINS9_11use_defaultEEEyNS9_4plusIvEEyEEDaPvRmT3_T4_T5_mT6_P12ihipStream_tbENKUlT_T0_E_clISt17integral_constantIbLb0EESX_EEDaSS_ST_EUlSS_E_NS1_11comp_targetILNS1_3genE10ELNS1_11target_archE1201ELNS1_3gpuE5ELNS1_3repE0EEENS1_30default_config_static_selectorELNS0_4arch9wavefront6targetE1EEEvT1_,"axG",@progbits,_ZN7rocprim17ROCPRIM_400000_NS6detail17trampoline_kernelINS0_14default_configENS1_20scan_config_selectorIyEEZZNS1_9scan_implILNS1_25lookback_scan_determinismE0ELb0ELb0ES3_N6thrust23THRUST_200600_302600_NS6detail15normal_iteratorINS9_10device_ptrIyEEEENS9_16discard_iteratorINS9_11use_defaultEEEyNS9_4plusIvEEyEEDaPvRmT3_T4_T5_mT6_P12ihipStream_tbENKUlT_T0_E_clISt17integral_constantIbLb0EESX_EEDaSS_ST_EUlSS_E_NS1_11comp_targetILNS1_3genE10ELNS1_11target_archE1201ELNS1_3gpuE5ELNS1_3repE0EEENS1_30default_config_static_selectorELNS0_4arch9wavefront6targetE1EEEvT1_,comdat
	.protected	_ZN7rocprim17ROCPRIM_400000_NS6detail17trampoline_kernelINS0_14default_configENS1_20scan_config_selectorIyEEZZNS1_9scan_implILNS1_25lookback_scan_determinismE0ELb0ELb0ES3_N6thrust23THRUST_200600_302600_NS6detail15normal_iteratorINS9_10device_ptrIyEEEENS9_16discard_iteratorINS9_11use_defaultEEEyNS9_4plusIvEEyEEDaPvRmT3_T4_T5_mT6_P12ihipStream_tbENKUlT_T0_E_clISt17integral_constantIbLb0EESX_EEDaSS_ST_EUlSS_E_NS1_11comp_targetILNS1_3genE10ELNS1_11target_archE1201ELNS1_3gpuE5ELNS1_3repE0EEENS1_30default_config_static_selectorELNS0_4arch9wavefront6targetE1EEEvT1_ ; -- Begin function _ZN7rocprim17ROCPRIM_400000_NS6detail17trampoline_kernelINS0_14default_configENS1_20scan_config_selectorIyEEZZNS1_9scan_implILNS1_25lookback_scan_determinismE0ELb0ELb0ES3_N6thrust23THRUST_200600_302600_NS6detail15normal_iteratorINS9_10device_ptrIyEEEENS9_16discard_iteratorINS9_11use_defaultEEEyNS9_4plusIvEEyEEDaPvRmT3_T4_T5_mT6_P12ihipStream_tbENKUlT_T0_E_clISt17integral_constantIbLb0EESX_EEDaSS_ST_EUlSS_E_NS1_11comp_targetILNS1_3genE10ELNS1_11target_archE1201ELNS1_3gpuE5ELNS1_3repE0EEENS1_30default_config_static_selectorELNS0_4arch9wavefront6targetE1EEEvT1_
	.globl	_ZN7rocprim17ROCPRIM_400000_NS6detail17trampoline_kernelINS0_14default_configENS1_20scan_config_selectorIyEEZZNS1_9scan_implILNS1_25lookback_scan_determinismE0ELb0ELb0ES3_N6thrust23THRUST_200600_302600_NS6detail15normal_iteratorINS9_10device_ptrIyEEEENS9_16discard_iteratorINS9_11use_defaultEEEyNS9_4plusIvEEyEEDaPvRmT3_T4_T5_mT6_P12ihipStream_tbENKUlT_T0_E_clISt17integral_constantIbLb0EESX_EEDaSS_ST_EUlSS_E_NS1_11comp_targetILNS1_3genE10ELNS1_11target_archE1201ELNS1_3gpuE5ELNS1_3repE0EEENS1_30default_config_static_selectorELNS0_4arch9wavefront6targetE1EEEvT1_
	.p2align	8
	.type	_ZN7rocprim17ROCPRIM_400000_NS6detail17trampoline_kernelINS0_14default_configENS1_20scan_config_selectorIyEEZZNS1_9scan_implILNS1_25lookback_scan_determinismE0ELb0ELb0ES3_N6thrust23THRUST_200600_302600_NS6detail15normal_iteratorINS9_10device_ptrIyEEEENS9_16discard_iteratorINS9_11use_defaultEEEyNS9_4plusIvEEyEEDaPvRmT3_T4_T5_mT6_P12ihipStream_tbENKUlT_T0_E_clISt17integral_constantIbLb0EESX_EEDaSS_ST_EUlSS_E_NS1_11comp_targetILNS1_3genE10ELNS1_11target_archE1201ELNS1_3gpuE5ELNS1_3repE0EEENS1_30default_config_static_selectorELNS0_4arch9wavefront6targetE1EEEvT1_,@function
_ZN7rocprim17ROCPRIM_400000_NS6detail17trampoline_kernelINS0_14default_configENS1_20scan_config_selectorIyEEZZNS1_9scan_implILNS1_25lookback_scan_determinismE0ELb0ELb0ES3_N6thrust23THRUST_200600_302600_NS6detail15normal_iteratorINS9_10device_ptrIyEEEENS9_16discard_iteratorINS9_11use_defaultEEEyNS9_4plusIvEEyEEDaPvRmT3_T4_T5_mT6_P12ihipStream_tbENKUlT_T0_E_clISt17integral_constantIbLb0EESX_EEDaSS_ST_EUlSS_E_NS1_11comp_targetILNS1_3genE10ELNS1_11target_archE1201ELNS1_3gpuE5ELNS1_3repE0EEENS1_30default_config_static_selectorELNS0_4arch9wavefront6targetE1EEEvT1_: ; @_ZN7rocprim17ROCPRIM_400000_NS6detail17trampoline_kernelINS0_14default_configENS1_20scan_config_selectorIyEEZZNS1_9scan_implILNS1_25lookback_scan_determinismE0ELb0ELb0ES3_N6thrust23THRUST_200600_302600_NS6detail15normal_iteratorINS9_10device_ptrIyEEEENS9_16discard_iteratorINS9_11use_defaultEEEyNS9_4plusIvEEyEEDaPvRmT3_T4_T5_mT6_P12ihipStream_tbENKUlT_T0_E_clISt17integral_constantIbLb0EESX_EEDaSS_ST_EUlSS_E_NS1_11comp_targetILNS1_3genE10ELNS1_11target_archE1201ELNS1_3gpuE5ELNS1_3repE0EEENS1_30default_config_static_selectorELNS0_4arch9wavefront6targetE1EEEvT1_
; %bb.0:
	.section	.rodata,"a",@progbits
	.p2align	6, 0x0
	.amdhsa_kernel _ZN7rocprim17ROCPRIM_400000_NS6detail17trampoline_kernelINS0_14default_configENS1_20scan_config_selectorIyEEZZNS1_9scan_implILNS1_25lookback_scan_determinismE0ELb0ELb0ES3_N6thrust23THRUST_200600_302600_NS6detail15normal_iteratorINS9_10device_ptrIyEEEENS9_16discard_iteratorINS9_11use_defaultEEEyNS9_4plusIvEEyEEDaPvRmT3_T4_T5_mT6_P12ihipStream_tbENKUlT_T0_E_clISt17integral_constantIbLb0EESX_EEDaSS_ST_EUlSS_E_NS1_11comp_targetILNS1_3genE10ELNS1_11target_archE1201ELNS1_3gpuE5ELNS1_3repE0EEENS1_30default_config_static_selectorELNS0_4arch9wavefront6targetE1EEEvT1_
		.amdhsa_group_segment_fixed_size 0
		.amdhsa_private_segment_fixed_size 0
		.amdhsa_kernarg_size 112
		.amdhsa_user_sgpr_count 6
		.amdhsa_user_sgpr_private_segment_buffer 1
		.amdhsa_user_sgpr_dispatch_ptr 0
		.amdhsa_user_sgpr_queue_ptr 0
		.amdhsa_user_sgpr_kernarg_segment_ptr 1
		.amdhsa_user_sgpr_dispatch_id 0
		.amdhsa_user_sgpr_flat_scratch_init 0
		.amdhsa_user_sgpr_kernarg_preload_length 0
		.amdhsa_user_sgpr_kernarg_preload_offset 0
		.amdhsa_user_sgpr_private_segment_size 0
		.amdhsa_uses_dynamic_stack 0
		.amdhsa_system_sgpr_private_segment_wavefront_offset 0
		.amdhsa_system_sgpr_workgroup_id_x 1
		.amdhsa_system_sgpr_workgroup_id_y 0
		.amdhsa_system_sgpr_workgroup_id_z 0
		.amdhsa_system_sgpr_workgroup_info 0
		.amdhsa_system_vgpr_workitem_id 0
		.amdhsa_next_free_vgpr 1
		.amdhsa_next_free_sgpr 0
		.amdhsa_accum_offset 4
		.amdhsa_reserve_vcc 0
		.amdhsa_reserve_flat_scratch 0
		.amdhsa_float_round_mode_32 0
		.amdhsa_float_round_mode_16_64 0
		.amdhsa_float_denorm_mode_32 3
		.amdhsa_float_denorm_mode_16_64 3
		.amdhsa_dx10_clamp 1
		.amdhsa_ieee_mode 1
		.amdhsa_fp16_overflow 0
		.amdhsa_tg_split 0
		.amdhsa_exception_fp_ieee_invalid_op 0
		.amdhsa_exception_fp_denorm_src 0
		.amdhsa_exception_fp_ieee_div_zero 0
		.amdhsa_exception_fp_ieee_overflow 0
		.amdhsa_exception_fp_ieee_underflow 0
		.amdhsa_exception_fp_ieee_inexact 0
		.amdhsa_exception_int_div_zero 0
	.end_amdhsa_kernel
	.section	.text._ZN7rocprim17ROCPRIM_400000_NS6detail17trampoline_kernelINS0_14default_configENS1_20scan_config_selectorIyEEZZNS1_9scan_implILNS1_25lookback_scan_determinismE0ELb0ELb0ES3_N6thrust23THRUST_200600_302600_NS6detail15normal_iteratorINS9_10device_ptrIyEEEENS9_16discard_iteratorINS9_11use_defaultEEEyNS9_4plusIvEEyEEDaPvRmT3_T4_T5_mT6_P12ihipStream_tbENKUlT_T0_E_clISt17integral_constantIbLb0EESX_EEDaSS_ST_EUlSS_E_NS1_11comp_targetILNS1_3genE10ELNS1_11target_archE1201ELNS1_3gpuE5ELNS1_3repE0EEENS1_30default_config_static_selectorELNS0_4arch9wavefront6targetE1EEEvT1_,"axG",@progbits,_ZN7rocprim17ROCPRIM_400000_NS6detail17trampoline_kernelINS0_14default_configENS1_20scan_config_selectorIyEEZZNS1_9scan_implILNS1_25lookback_scan_determinismE0ELb0ELb0ES3_N6thrust23THRUST_200600_302600_NS6detail15normal_iteratorINS9_10device_ptrIyEEEENS9_16discard_iteratorINS9_11use_defaultEEEyNS9_4plusIvEEyEEDaPvRmT3_T4_T5_mT6_P12ihipStream_tbENKUlT_T0_E_clISt17integral_constantIbLb0EESX_EEDaSS_ST_EUlSS_E_NS1_11comp_targetILNS1_3genE10ELNS1_11target_archE1201ELNS1_3gpuE5ELNS1_3repE0EEENS1_30default_config_static_selectorELNS0_4arch9wavefront6targetE1EEEvT1_,comdat
.Lfunc_end5155:
	.size	_ZN7rocprim17ROCPRIM_400000_NS6detail17trampoline_kernelINS0_14default_configENS1_20scan_config_selectorIyEEZZNS1_9scan_implILNS1_25lookback_scan_determinismE0ELb0ELb0ES3_N6thrust23THRUST_200600_302600_NS6detail15normal_iteratorINS9_10device_ptrIyEEEENS9_16discard_iteratorINS9_11use_defaultEEEyNS9_4plusIvEEyEEDaPvRmT3_T4_T5_mT6_P12ihipStream_tbENKUlT_T0_E_clISt17integral_constantIbLb0EESX_EEDaSS_ST_EUlSS_E_NS1_11comp_targetILNS1_3genE10ELNS1_11target_archE1201ELNS1_3gpuE5ELNS1_3repE0EEENS1_30default_config_static_selectorELNS0_4arch9wavefront6targetE1EEEvT1_, .Lfunc_end5155-_ZN7rocprim17ROCPRIM_400000_NS6detail17trampoline_kernelINS0_14default_configENS1_20scan_config_selectorIyEEZZNS1_9scan_implILNS1_25lookback_scan_determinismE0ELb0ELb0ES3_N6thrust23THRUST_200600_302600_NS6detail15normal_iteratorINS9_10device_ptrIyEEEENS9_16discard_iteratorINS9_11use_defaultEEEyNS9_4plusIvEEyEEDaPvRmT3_T4_T5_mT6_P12ihipStream_tbENKUlT_T0_E_clISt17integral_constantIbLb0EESX_EEDaSS_ST_EUlSS_E_NS1_11comp_targetILNS1_3genE10ELNS1_11target_archE1201ELNS1_3gpuE5ELNS1_3repE0EEENS1_30default_config_static_selectorELNS0_4arch9wavefront6targetE1EEEvT1_
                                        ; -- End function
	.section	.AMDGPU.csdata,"",@progbits
; Kernel info:
; codeLenInByte = 0
; NumSgprs: 4
; NumVgprs: 0
; NumAgprs: 0
; TotalNumVgprs: 0
; ScratchSize: 0
; MemoryBound: 0
; FloatMode: 240
; IeeeMode: 1
; LDSByteSize: 0 bytes/workgroup (compile time only)
; SGPRBlocks: 0
; VGPRBlocks: 0
; NumSGPRsForWavesPerEU: 4
; NumVGPRsForWavesPerEU: 1
; AccumOffset: 4
; Occupancy: 8
; WaveLimiterHint : 0
; COMPUTE_PGM_RSRC2:SCRATCH_EN: 0
; COMPUTE_PGM_RSRC2:USER_SGPR: 6
; COMPUTE_PGM_RSRC2:TRAP_HANDLER: 0
; COMPUTE_PGM_RSRC2:TGID_X_EN: 1
; COMPUTE_PGM_RSRC2:TGID_Y_EN: 0
; COMPUTE_PGM_RSRC2:TGID_Z_EN: 0
; COMPUTE_PGM_RSRC2:TIDIG_COMP_CNT: 0
; COMPUTE_PGM_RSRC3_GFX90A:ACCUM_OFFSET: 0
; COMPUTE_PGM_RSRC3_GFX90A:TG_SPLIT: 0
	.section	.text._ZN7rocprim17ROCPRIM_400000_NS6detail17trampoline_kernelINS0_14default_configENS1_20scan_config_selectorIyEEZZNS1_9scan_implILNS1_25lookback_scan_determinismE0ELb0ELb0ES3_N6thrust23THRUST_200600_302600_NS6detail15normal_iteratorINS9_10device_ptrIyEEEENS9_16discard_iteratorINS9_11use_defaultEEEyNS9_4plusIvEEyEEDaPvRmT3_T4_T5_mT6_P12ihipStream_tbENKUlT_T0_E_clISt17integral_constantIbLb0EESX_EEDaSS_ST_EUlSS_E_NS1_11comp_targetILNS1_3genE10ELNS1_11target_archE1200ELNS1_3gpuE4ELNS1_3repE0EEENS1_30default_config_static_selectorELNS0_4arch9wavefront6targetE1EEEvT1_,"axG",@progbits,_ZN7rocprim17ROCPRIM_400000_NS6detail17trampoline_kernelINS0_14default_configENS1_20scan_config_selectorIyEEZZNS1_9scan_implILNS1_25lookback_scan_determinismE0ELb0ELb0ES3_N6thrust23THRUST_200600_302600_NS6detail15normal_iteratorINS9_10device_ptrIyEEEENS9_16discard_iteratorINS9_11use_defaultEEEyNS9_4plusIvEEyEEDaPvRmT3_T4_T5_mT6_P12ihipStream_tbENKUlT_T0_E_clISt17integral_constantIbLb0EESX_EEDaSS_ST_EUlSS_E_NS1_11comp_targetILNS1_3genE10ELNS1_11target_archE1200ELNS1_3gpuE4ELNS1_3repE0EEENS1_30default_config_static_selectorELNS0_4arch9wavefront6targetE1EEEvT1_,comdat
	.protected	_ZN7rocprim17ROCPRIM_400000_NS6detail17trampoline_kernelINS0_14default_configENS1_20scan_config_selectorIyEEZZNS1_9scan_implILNS1_25lookback_scan_determinismE0ELb0ELb0ES3_N6thrust23THRUST_200600_302600_NS6detail15normal_iteratorINS9_10device_ptrIyEEEENS9_16discard_iteratorINS9_11use_defaultEEEyNS9_4plusIvEEyEEDaPvRmT3_T4_T5_mT6_P12ihipStream_tbENKUlT_T0_E_clISt17integral_constantIbLb0EESX_EEDaSS_ST_EUlSS_E_NS1_11comp_targetILNS1_3genE10ELNS1_11target_archE1200ELNS1_3gpuE4ELNS1_3repE0EEENS1_30default_config_static_selectorELNS0_4arch9wavefront6targetE1EEEvT1_ ; -- Begin function _ZN7rocprim17ROCPRIM_400000_NS6detail17trampoline_kernelINS0_14default_configENS1_20scan_config_selectorIyEEZZNS1_9scan_implILNS1_25lookback_scan_determinismE0ELb0ELb0ES3_N6thrust23THRUST_200600_302600_NS6detail15normal_iteratorINS9_10device_ptrIyEEEENS9_16discard_iteratorINS9_11use_defaultEEEyNS9_4plusIvEEyEEDaPvRmT3_T4_T5_mT6_P12ihipStream_tbENKUlT_T0_E_clISt17integral_constantIbLb0EESX_EEDaSS_ST_EUlSS_E_NS1_11comp_targetILNS1_3genE10ELNS1_11target_archE1200ELNS1_3gpuE4ELNS1_3repE0EEENS1_30default_config_static_selectorELNS0_4arch9wavefront6targetE1EEEvT1_
	.globl	_ZN7rocprim17ROCPRIM_400000_NS6detail17trampoline_kernelINS0_14default_configENS1_20scan_config_selectorIyEEZZNS1_9scan_implILNS1_25lookback_scan_determinismE0ELb0ELb0ES3_N6thrust23THRUST_200600_302600_NS6detail15normal_iteratorINS9_10device_ptrIyEEEENS9_16discard_iteratorINS9_11use_defaultEEEyNS9_4plusIvEEyEEDaPvRmT3_T4_T5_mT6_P12ihipStream_tbENKUlT_T0_E_clISt17integral_constantIbLb0EESX_EEDaSS_ST_EUlSS_E_NS1_11comp_targetILNS1_3genE10ELNS1_11target_archE1200ELNS1_3gpuE4ELNS1_3repE0EEENS1_30default_config_static_selectorELNS0_4arch9wavefront6targetE1EEEvT1_
	.p2align	8
	.type	_ZN7rocprim17ROCPRIM_400000_NS6detail17trampoline_kernelINS0_14default_configENS1_20scan_config_selectorIyEEZZNS1_9scan_implILNS1_25lookback_scan_determinismE0ELb0ELb0ES3_N6thrust23THRUST_200600_302600_NS6detail15normal_iteratorINS9_10device_ptrIyEEEENS9_16discard_iteratorINS9_11use_defaultEEEyNS9_4plusIvEEyEEDaPvRmT3_T4_T5_mT6_P12ihipStream_tbENKUlT_T0_E_clISt17integral_constantIbLb0EESX_EEDaSS_ST_EUlSS_E_NS1_11comp_targetILNS1_3genE10ELNS1_11target_archE1200ELNS1_3gpuE4ELNS1_3repE0EEENS1_30default_config_static_selectorELNS0_4arch9wavefront6targetE1EEEvT1_,@function
_ZN7rocprim17ROCPRIM_400000_NS6detail17trampoline_kernelINS0_14default_configENS1_20scan_config_selectorIyEEZZNS1_9scan_implILNS1_25lookback_scan_determinismE0ELb0ELb0ES3_N6thrust23THRUST_200600_302600_NS6detail15normal_iteratorINS9_10device_ptrIyEEEENS9_16discard_iteratorINS9_11use_defaultEEEyNS9_4plusIvEEyEEDaPvRmT3_T4_T5_mT6_P12ihipStream_tbENKUlT_T0_E_clISt17integral_constantIbLb0EESX_EEDaSS_ST_EUlSS_E_NS1_11comp_targetILNS1_3genE10ELNS1_11target_archE1200ELNS1_3gpuE4ELNS1_3repE0EEENS1_30default_config_static_selectorELNS0_4arch9wavefront6targetE1EEEvT1_: ; @_ZN7rocprim17ROCPRIM_400000_NS6detail17trampoline_kernelINS0_14default_configENS1_20scan_config_selectorIyEEZZNS1_9scan_implILNS1_25lookback_scan_determinismE0ELb0ELb0ES3_N6thrust23THRUST_200600_302600_NS6detail15normal_iteratorINS9_10device_ptrIyEEEENS9_16discard_iteratorINS9_11use_defaultEEEyNS9_4plusIvEEyEEDaPvRmT3_T4_T5_mT6_P12ihipStream_tbENKUlT_T0_E_clISt17integral_constantIbLb0EESX_EEDaSS_ST_EUlSS_E_NS1_11comp_targetILNS1_3genE10ELNS1_11target_archE1200ELNS1_3gpuE4ELNS1_3repE0EEENS1_30default_config_static_selectorELNS0_4arch9wavefront6targetE1EEEvT1_
; %bb.0:
	.section	.rodata,"a",@progbits
	.p2align	6, 0x0
	.amdhsa_kernel _ZN7rocprim17ROCPRIM_400000_NS6detail17trampoline_kernelINS0_14default_configENS1_20scan_config_selectorIyEEZZNS1_9scan_implILNS1_25lookback_scan_determinismE0ELb0ELb0ES3_N6thrust23THRUST_200600_302600_NS6detail15normal_iteratorINS9_10device_ptrIyEEEENS9_16discard_iteratorINS9_11use_defaultEEEyNS9_4plusIvEEyEEDaPvRmT3_T4_T5_mT6_P12ihipStream_tbENKUlT_T0_E_clISt17integral_constantIbLb0EESX_EEDaSS_ST_EUlSS_E_NS1_11comp_targetILNS1_3genE10ELNS1_11target_archE1200ELNS1_3gpuE4ELNS1_3repE0EEENS1_30default_config_static_selectorELNS0_4arch9wavefront6targetE1EEEvT1_
		.amdhsa_group_segment_fixed_size 0
		.amdhsa_private_segment_fixed_size 0
		.amdhsa_kernarg_size 112
		.amdhsa_user_sgpr_count 6
		.amdhsa_user_sgpr_private_segment_buffer 1
		.amdhsa_user_sgpr_dispatch_ptr 0
		.amdhsa_user_sgpr_queue_ptr 0
		.amdhsa_user_sgpr_kernarg_segment_ptr 1
		.amdhsa_user_sgpr_dispatch_id 0
		.amdhsa_user_sgpr_flat_scratch_init 0
		.amdhsa_user_sgpr_kernarg_preload_length 0
		.amdhsa_user_sgpr_kernarg_preload_offset 0
		.amdhsa_user_sgpr_private_segment_size 0
		.amdhsa_uses_dynamic_stack 0
		.amdhsa_system_sgpr_private_segment_wavefront_offset 0
		.amdhsa_system_sgpr_workgroup_id_x 1
		.amdhsa_system_sgpr_workgroup_id_y 0
		.amdhsa_system_sgpr_workgroup_id_z 0
		.amdhsa_system_sgpr_workgroup_info 0
		.amdhsa_system_vgpr_workitem_id 0
		.amdhsa_next_free_vgpr 1
		.amdhsa_next_free_sgpr 0
		.amdhsa_accum_offset 4
		.amdhsa_reserve_vcc 0
		.amdhsa_reserve_flat_scratch 0
		.amdhsa_float_round_mode_32 0
		.amdhsa_float_round_mode_16_64 0
		.amdhsa_float_denorm_mode_32 3
		.amdhsa_float_denorm_mode_16_64 3
		.amdhsa_dx10_clamp 1
		.amdhsa_ieee_mode 1
		.amdhsa_fp16_overflow 0
		.amdhsa_tg_split 0
		.amdhsa_exception_fp_ieee_invalid_op 0
		.amdhsa_exception_fp_denorm_src 0
		.amdhsa_exception_fp_ieee_div_zero 0
		.amdhsa_exception_fp_ieee_overflow 0
		.amdhsa_exception_fp_ieee_underflow 0
		.amdhsa_exception_fp_ieee_inexact 0
		.amdhsa_exception_int_div_zero 0
	.end_amdhsa_kernel
	.section	.text._ZN7rocprim17ROCPRIM_400000_NS6detail17trampoline_kernelINS0_14default_configENS1_20scan_config_selectorIyEEZZNS1_9scan_implILNS1_25lookback_scan_determinismE0ELb0ELb0ES3_N6thrust23THRUST_200600_302600_NS6detail15normal_iteratorINS9_10device_ptrIyEEEENS9_16discard_iteratorINS9_11use_defaultEEEyNS9_4plusIvEEyEEDaPvRmT3_T4_T5_mT6_P12ihipStream_tbENKUlT_T0_E_clISt17integral_constantIbLb0EESX_EEDaSS_ST_EUlSS_E_NS1_11comp_targetILNS1_3genE10ELNS1_11target_archE1200ELNS1_3gpuE4ELNS1_3repE0EEENS1_30default_config_static_selectorELNS0_4arch9wavefront6targetE1EEEvT1_,"axG",@progbits,_ZN7rocprim17ROCPRIM_400000_NS6detail17trampoline_kernelINS0_14default_configENS1_20scan_config_selectorIyEEZZNS1_9scan_implILNS1_25lookback_scan_determinismE0ELb0ELb0ES3_N6thrust23THRUST_200600_302600_NS6detail15normal_iteratorINS9_10device_ptrIyEEEENS9_16discard_iteratorINS9_11use_defaultEEEyNS9_4plusIvEEyEEDaPvRmT3_T4_T5_mT6_P12ihipStream_tbENKUlT_T0_E_clISt17integral_constantIbLb0EESX_EEDaSS_ST_EUlSS_E_NS1_11comp_targetILNS1_3genE10ELNS1_11target_archE1200ELNS1_3gpuE4ELNS1_3repE0EEENS1_30default_config_static_selectorELNS0_4arch9wavefront6targetE1EEEvT1_,comdat
.Lfunc_end5156:
	.size	_ZN7rocprim17ROCPRIM_400000_NS6detail17trampoline_kernelINS0_14default_configENS1_20scan_config_selectorIyEEZZNS1_9scan_implILNS1_25lookback_scan_determinismE0ELb0ELb0ES3_N6thrust23THRUST_200600_302600_NS6detail15normal_iteratorINS9_10device_ptrIyEEEENS9_16discard_iteratorINS9_11use_defaultEEEyNS9_4plusIvEEyEEDaPvRmT3_T4_T5_mT6_P12ihipStream_tbENKUlT_T0_E_clISt17integral_constantIbLb0EESX_EEDaSS_ST_EUlSS_E_NS1_11comp_targetILNS1_3genE10ELNS1_11target_archE1200ELNS1_3gpuE4ELNS1_3repE0EEENS1_30default_config_static_selectorELNS0_4arch9wavefront6targetE1EEEvT1_, .Lfunc_end5156-_ZN7rocprim17ROCPRIM_400000_NS6detail17trampoline_kernelINS0_14default_configENS1_20scan_config_selectorIyEEZZNS1_9scan_implILNS1_25lookback_scan_determinismE0ELb0ELb0ES3_N6thrust23THRUST_200600_302600_NS6detail15normal_iteratorINS9_10device_ptrIyEEEENS9_16discard_iteratorINS9_11use_defaultEEEyNS9_4plusIvEEyEEDaPvRmT3_T4_T5_mT6_P12ihipStream_tbENKUlT_T0_E_clISt17integral_constantIbLb0EESX_EEDaSS_ST_EUlSS_E_NS1_11comp_targetILNS1_3genE10ELNS1_11target_archE1200ELNS1_3gpuE4ELNS1_3repE0EEENS1_30default_config_static_selectorELNS0_4arch9wavefront6targetE1EEEvT1_
                                        ; -- End function
	.section	.AMDGPU.csdata,"",@progbits
; Kernel info:
; codeLenInByte = 0
; NumSgprs: 4
; NumVgprs: 0
; NumAgprs: 0
; TotalNumVgprs: 0
; ScratchSize: 0
; MemoryBound: 0
; FloatMode: 240
; IeeeMode: 1
; LDSByteSize: 0 bytes/workgroup (compile time only)
; SGPRBlocks: 0
; VGPRBlocks: 0
; NumSGPRsForWavesPerEU: 4
; NumVGPRsForWavesPerEU: 1
; AccumOffset: 4
; Occupancy: 8
; WaveLimiterHint : 0
; COMPUTE_PGM_RSRC2:SCRATCH_EN: 0
; COMPUTE_PGM_RSRC2:USER_SGPR: 6
; COMPUTE_PGM_RSRC2:TRAP_HANDLER: 0
; COMPUTE_PGM_RSRC2:TGID_X_EN: 1
; COMPUTE_PGM_RSRC2:TGID_Y_EN: 0
; COMPUTE_PGM_RSRC2:TGID_Z_EN: 0
; COMPUTE_PGM_RSRC2:TIDIG_COMP_CNT: 0
; COMPUTE_PGM_RSRC3_GFX90A:ACCUM_OFFSET: 0
; COMPUTE_PGM_RSRC3_GFX90A:TG_SPLIT: 0
	.section	.text._ZN7rocprim17ROCPRIM_400000_NS6detail17trampoline_kernelINS0_14default_configENS1_20scan_config_selectorIyEEZZNS1_9scan_implILNS1_25lookback_scan_determinismE0ELb0ELb0ES3_N6thrust23THRUST_200600_302600_NS6detail15normal_iteratorINS9_10device_ptrIyEEEENS9_16discard_iteratorINS9_11use_defaultEEEyNS9_4plusIvEEyEEDaPvRmT3_T4_T5_mT6_P12ihipStream_tbENKUlT_T0_E_clISt17integral_constantIbLb0EESX_EEDaSS_ST_EUlSS_E_NS1_11comp_targetILNS1_3genE9ELNS1_11target_archE1100ELNS1_3gpuE3ELNS1_3repE0EEENS1_30default_config_static_selectorELNS0_4arch9wavefront6targetE1EEEvT1_,"axG",@progbits,_ZN7rocprim17ROCPRIM_400000_NS6detail17trampoline_kernelINS0_14default_configENS1_20scan_config_selectorIyEEZZNS1_9scan_implILNS1_25lookback_scan_determinismE0ELb0ELb0ES3_N6thrust23THRUST_200600_302600_NS6detail15normal_iteratorINS9_10device_ptrIyEEEENS9_16discard_iteratorINS9_11use_defaultEEEyNS9_4plusIvEEyEEDaPvRmT3_T4_T5_mT6_P12ihipStream_tbENKUlT_T0_E_clISt17integral_constantIbLb0EESX_EEDaSS_ST_EUlSS_E_NS1_11comp_targetILNS1_3genE9ELNS1_11target_archE1100ELNS1_3gpuE3ELNS1_3repE0EEENS1_30default_config_static_selectorELNS0_4arch9wavefront6targetE1EEEvT1_,comdat
	.protected	_ZN7rocprim17ROCPRIM_400000_NS6detail17trampoline_kernelINS0_14default_configENS1_20scan_config_selectorIyEEZZNS1_9scan_implILNS1_25lookback_scan_determinismE0ELb0ELb0ES3_N6thrust23THRUST_200600_302600_NS6detail15normal_iteratorINS9_10device_ptrIyEEEENS9_16discard_iteratorINS9_11use_defaultEEEyNS9_4plusIvEEyEEDaPvRmT3_T4_T5_mT6_P12ihipStream_tbENKUlT_T0_E_clISt17integral_constantIbLb0EESX_EEDaSS_ST_EUlSS_E_NS1_11comp_targetILNS1_3genE9ELNS1_11target_archE1100ELNS1_3gpuE3ELNS1_3repE0EEENS1_30default_config_static_selectorELNS0_4arch9wavefront6targetE1EEEvT1_ ; -- Begin function _ZN7rocprim17ROCPRIM_400000_NS6detail17trampoline_kernelINS0_14default_configENS1_20scan_config_selectorIyEEZZNS1_9scan_implILNS1_25lookback_scan_determinismE0ELb0ELb0ES3_N6thrust23THRUST_200600_302600_NS6detail15normal_iteratorINS9_10device_ptrIyEEEENS9_16discard_iteratorINS9_11use_defaultEEEyNS9_4plusIvEEyEEDaPvRmT3_T4_T5_mT6_P12ihipStream_tbENKUlT_T0_E_clISt17integral_constantIbLb0EESX_EEDaSS_ST_EUlSS_E_NS1_11comp_targetILNS1_3genE9ELNS1_11target_archE1100ELNS1_3gpuE3ELNS1_3repE0EEENS1_30default_config_static_selectorELNS0_4arch9wavefront6targetE1EEEvT1_
	.globl	_ZN7rocprim17ROCPRIM_400000_NS6detail17trampoline_kernelINS0_14default_configENS1_20scan_config_selectorIyEEZZNS1_9scan_implILNS1_25lookback_scan_determinismE0ELb0ELb0ES3_N6thrust23THRUST_200600_302600_NS6detail15normal_iteratorINS9_10device_ptrIyEEEENS9_16discard_iteratorINS9_11use_defaultEEEyNS9_4plusIvEEyEEDaPvRmT3_T4_T5_mT6_P12ihipStream_tbENKUlT_T0_E_clISt17integral_constantIbLb0EESX_EEDaSS_ST_EUlSS_E_NS1_11comp_targetILNS1_3genE9ELNS1_11target_archE1100ELNS1_3gpuE3ELNS1_3repE0EEENS1_30default_config_static_selectorELNS0_4arch9wavefront6targetE1EEEvT1_
	.p2align	8
	.type	_ZN7rocprim17ROCPRIM_400000_NS6detail17trampoline_kernelINS0_14default_configENS1_20scan_config_selectorIyEEZZNS1_9scan_implILNS1_25lookback_scan_determinismE0ELb0ELb0ES3_N6thrust23THRUST_200600_302600_NS6detail15normal_iteratorINS9_10device_ptrIyEEEENS9_16discard_iteratorINS9_11use_defaultEEEyNS9_4plusIvEEyEEDaPvRmT3_T4_T5_mT6_P12ihipStream_tbENKUlT_T0_E_clISt17integral_constantIbLb0EESX_EEDaSS_ST_EUlSS_E_NS1_11comp_targetILNS1_3genE9ELNS1_11target_archE1100ELNS1_3gpuE3ELNS1_3repE0EEENS1_30default_config_static_selectorELNS0_4arch9wavefront6targetE1EEEvT1_,@function
_ZN7rocprim17ROCPRIM_400000_NS6detail17trampoline_kernelINS0_14default_configENS1_20scan_config_selectorIyEEZZNS1_9scan_implILNS1_25lookback_scan_determinismE0ELb0ELb0ES3_N6thrust23THRUST_200600_302600_NS6detail15normal_iteratorINS9_10device_ptrIyEEEENS9_16discard_iteratorINS9_11use_defaultEEEyNS9_4plusIvEEyEEDaPvRmT3_T4_T5_mT6_P12ihipStream_tbENKUlT_T0_E_clISt17integral_constantIbLb0EESX_EEDaSS_ST_EUlSS_E_NS1_11comp_targetILNS1_3genE9ELNS1_11target_archE1100ELNS1_3gpuE3ELNS1_3repE0EEENS1_30default_config_static_selectorELNS0_4arch9wavefront6targetE1EEEvT1_: ; @_ZN7rocprim17ROCPRIM_400000_NS6detail17trampoline_kernelINS0_14default_configENS1_20scan_config_selectorIyEEZZNS1_9scan_implILNS1_25lookback_scan_determinismE0ELb0ELb0ES3_N6thrust23THRUST_200600_302600_NS6detail15normal_iteratorINS9_10device_ptrIyEEEENS9_16discard_iteratorINS9_11use_defaultEEEyNS9_4plusIvEEyEEDaPvRmT3_T4_T5_mT6_P12ihipStream_tbENKUlT_T0_E_clISt17integral_constantIbLb0EESX_EEDaSS_ST_EUlSS_E_NS1_11comp_targetILNS1_3genE9ELNS1_11target_archE1100ELNS1_3gpuE3ELNS1_3repE0EEENS1_30default_config_static_selectorELNS0_4arch9wavefront6targetE1EEEvT1_
; %bb.0:
	.section	.rodata,"a",@progbits
	.p2align	6, 0x0
	.amdhsa_kernel _ZN7rocprim17ROCPRIM_400000_NS6detail17trampoline_kernelINS0_14default_configENS1_20scan_config_selectorIyEEZZNS1_9scan_implILNS1_25lookback_scan_determinismE0ELb0ELb0ES3_N6thrust23THRUST_200600_302600_NS6detail15normal_iteratorINS9_10device_ptrIyEEEENS9_16discard_iteratorINS9_11use_defaultEEEyNS9_4plusIvEEyEEDaPvRmT3_T4_T5_mT6_P12ihipStream_tbENKUlT_T0_E_clISt17integral_constantIbLb0EESX_EEDaSS_ST_EUlSS_E_NS1_11comp_targetILNS1_3genE9ELNS1_11target_archE1100ELNS1_3gpuE3ELNS1_3repE0EEENS1_30default_config_static_selectorELNS0_4arch9wavefront6targetE1EEEvT1_
		.amdhsa_group_segment_fixed_size 0
		.amdhsa_private_segment_fixed_size 0
		.amdhsa_kernarg_size 112
		.amdhsa_user_sgpr_count 6
		.amdhsa_user_sgpr_private_segment_buffer 1
		.amdhsa_user_sgpr_dispatch_ptr 0
		.amdhsa_user_sgpr_queue_ptr 0
		.amdhsa_user_sgpr_kernarg_segment_ptr 1
		.amdhsa_user_sgpr_dispatch_id 0
		.amdhsa_user_sgpr_flat_scratch_init 0
		.amdhsa_user_sgpr_kernarg_preload_length 0
		.amdhsa_user_sgpr_kernarg_preload_offset 0
		.amdhsa_user_sgpr_private_segment_size 0
		.amdhsa_uses_dynamic_stack 0
		.amdhsa_system_sgpr_private_segment_wavefront_offset 0
		.amdhsa_system_sgpr_workgroup_id_x 1
		.amdhsa_system_sgpr_workgroup_id_y 0
		.amdhsa_system_sgpr_workgroup_id_z 0
		.amdhsa_system_sgpr_workgroup_info 0
		.amdhsa_system_vgpr_workitem_id 0
		.amdhsa_next_free_vgpr 1
		.amdhsa_next_free_sgpr 0
		.amdhsa_accum_offset 4
		.amdhsa_reserve_vcc 0
		.amdhsa_reserve_flat_scratch 0
		.amdhsa_float_round_mode_32 0
		.amdhsa_float_round_mode_16_64 0
		.amdhsa_float_denorm_mode_32 3
		.amdhsa_float_denorm_mode_16_64 3
		.amdhsa_dx10_clamp 1
		.amdhsa_ieee_mode 1
		.amdhsa_fp16_overflow 0
		.amdhsa_tg_split 0
		.amdhsa_exception_fp_ieee_invalid_op 0
		.amdhsa_exception_fp_denorm_src 0
		.amdhsa_exception_fp_ieee_div_zero 0
		.amdhsa_exception_fp_ieee_overflow 0
		.amdhsa_exception_fp_ieee_underflow 0
		.amdhsa_exception_fp_ieee_inexact 0
		.amdhsa_exception_int_div_zero 0
	.end_amdhsa_kernel
	.section	.text._ZN7rocprim17ROCPRIM_400000_NS6detail17trampoline_kernelINS0_14default_configENS1_20scan_config_selectorIyEEZZNS1_9scan_implILNS1_25lookback_scan_determinismE0ELb0ELb0ES3_N6thrust23THRUST_200600_302600_NS6detail15normal_iteratorINS9_10device_ptrIyEEEENS9_16discard_iteratorINS9_11use_defaultEEEyNS9_4plusIvEEyEEDaPvRmT3_T4_T5_mT6_P12ihipStream_tbENKUlT_T0_E_clISt17integral_constantIbLb0EESX_EEDaSS_ST_EUlSS_E_NS1_11comp_targetILNS1_3genE9ELNS1_11target_archE1100ELNS1_3gpuE3ELNS1_3repE0EEENS1_30default_config_static_selectorELNS0_4arch9wavefront6targetE1EEEvT1_,"axG",@progbits,_ZN7rocprim17ROCPRIM_400000_NS6detail17trampoline_kernelINS0_14default_configENS1_20scan_config_selectorIyEEZZNS1_9scan_implILNS1_25lookback_scan_determinismE0ELb0ELb0ES3_N6thrust23THRUST_200600_302600_NS6detail15normal_iteratorINS9_10device_ptrIyEEEENS9_16discard_iteratorINS9_11use_defaultEEEyNS9_4plusIvEEyEEDaPvRmT3_T4_T5_mT6_P12ihipStream_tbENKUlT_T0_E_clISt17integral_constantIbLb0EESX_EEDaSS_ST_EUlSS_E_NS1_11comp_targetILNS1_3genE9ELNS1_11target_archE1100ELNS1_3gpuE3ELNS1_3repE0EEENS1_30default_config_static_selectorELNS0_4arch9wavefront6targetE1EEEvT1_,comdat
.Lfunc_end5157:
	.size	_ZN7rocprim17ROCPRIM_400000_NS6detail17trampoline_kernelINS0_14default_configENS1_20scan_config_selectorIyEEZZNS1_9scan_implILNS1_25lookback_scan_determinismE0ELb0ELb0ES3_N6thrust23THRUST_200600_302600_NS6detail15normal_iteratorINS9_10device_ptrIyEEEENS9_16discard_iteratorINS9_11use_defaultEEEyNS9_4plusIvEEyEEDaPvRmT3_T4_T5_mT6_P12ihipStream_tbENKUlT_T0_E_clISt17integral_constantIbLb0EESX_EEDaSS_ST_EUlSS_E_NS1_11comp_targetILNS1_3genE9ELNS1_11target_archE1100ELNS1_3gpuE3ELNS1_3repE0EEENS1_30default_config_static_selectorELNS0_4arch9wavefront6targetE1EEEvT1_, .Lfunc_end5157-_ZN7rocprim17ROCPRIM_400000_NS6detail17trampoline_kernelINS0_14default_configENS1_20scan_config_selectorIyEEZZNS1_9scan_implILNS1_25lookback_scan_determinismE0ELb0ELb0ES3_N6thrust23THRUST_200600_302600_NS6detail15normal_iteratorINS9_10device_ptrIyEEEENS9_16discard_iteratorINS9_11use_defaultEEEyNS9_4plusIvEEyEEDaPvRmT3_T4_T5_mT6_P12ihipStream_tbENKUlT_T0_E_clISt17integral_constantIbLb0EESX_EEDaSS_ST_EUlSS_E_NS1_11comp_targetILNS1_3genE9ELNS1_11target_archE1100ELNS1_3gpuE3ELNS1_3repE0EEENS1_30default_config_static_selectorELNS0_4arch9wavefront6targetE1EEEvT1_
                                        ; -- End function
	.section	.AMDGPU.csdata,"",@progbits
; Kernel info:
; codeLenInByte = 0
; NumSgprs: 4
; NumVgprs: 0
; NumAgprs: 0
; TotalNumVgprs: 0
; ScratchSize: 0
; MemoryBound: 0
; FloatMode: 240
; IeeeMode: 1
; LDSByteSize: 0 bytes/workgroup (compile time only)
; SGPRBlocks: 0
; VGPRBlocks: 0
; NumSGPRsForWavesPerEU: 4
; NumVGPRsForWavesPerEU: 1
; AccumOffset: 4
; Occupancy: 8
; WaveLimiterHint : 0
; COMPUTE_PGM_RSRC2:SCRATCH_EN: 0
; COMPUTE_PGM_RSRC2:USER_SGPR: 6
; COMPUTE_PGM_RSRC2:TRAP_HANDLER: 0
; COMPUTE_PGM_RSRC2:TGID_X_EN: 1
; COMPUTE_PGM_RSRC2:TGID_Y_EN: 0
; COMPUTE_PGM_RSRC2:TGID_Z_EN: 0
; COMPUTE_PGM_RSRC2:TIDIG_COMP_CNT: 0
; COMPUTE_PGM_RSRC3_GFX90A:ACCUM_OFFSET: 0
; COMPUTE_PGM_RSRC3_GFX90A:TG_SPLIT: 0
	.section	.text._ZN7rocprim17ROCPRIM_400000_NS6detail17trampoline_kernelINS0_14default_configENS1_20scan_config_selectorIyEEZZNS1_9scan_implILNS1_25lookback_scan_determinismE0ELb0ELb0ES3_N6thrust23THRUST_200600_302600_NS6detail15normal_iteratorINS9_10device_ptrIyEEEENS9_16discard_iteratorINS9_11use_defaultEEEyNS9_4plusIvEEyEEDaPvRmT3_T4_T5_mT6_P12ihipStream_tbENKUlT_T0_E_clISt17integral_constantIbLb0EESX_EEDaSS_ST_EUlSS_E_NS1_11comp_targetILNS1_3genE8ELNS1_11target_archE1030ELNS1_3gpuE2ELNS1_3repE0EEENS1_30default_config_static_selectorELNS0_4arch9wavefront6targetE1EEEvT1_,"axG",@progbits,_ZN7rocprim17ROCPRIM_400000_NS6detail17trampoline_kernelINS0_14default_configENS1_20scan_config_selectorIyEEZZNS1_9scan_implILNS1_25lookback_scan_determinismE0ELb0ELb0ES3_N6thrust23THRUST_200600_302600_NS6detail15normal_iteratorINS9_10device_ptrIyEEEENS9_16discard_iteratorINS9_11use_defaultEEEyNS9_4plusIvEEyEEDaPvRmT3_T4_T5_mT6_P12ihipStream_tbENKUlT_T0_E_clISt17integral_constantIbLb0EESX_EEDaSS_ST_EUlSS_E_NS1_11comp_targetILNS1_3genE8ELNS1_11target_archE1030ELNS1_3gpuE2ELNS1_3repE0EEENS1_30default_config_static_selectorELNS0_4arch9wavefront6targetE1EEEvT1_,comdat
	.protected	_ZN7rocprim17ROCPRIM_400000_NS6detail17trampoline_kernelINS0_14default_configENS1_20scan_config_selectorIyEEZZNS1_9scan_implILNS1_25lookback_scan_determinismE0ELb0ELb0ES3_N6thrust23THRUST_200600_302600_NS6detail15normal_iteratorINS9_10device_ptrIyEEEENS9_16discard_iteratorINS9_11use_defaultEEEyNS9_4plusIvEEyEEDaPvRmT3_T4_T5_mT6_P12ihipStream_tbENKUlT_T0_E_clISt17integral_constantIbLb0EESX_EEDaSS_ST_EUlSS_E_NS1_11comp_targetILNS1_3genE8ELNS1_11target_archE1030ELNS1_3gpuE2ELNS1_3repE0EEENS1_30default_config_static_selectorELNS0_4arch9wavefront6targetE1EEEvT1_ ; -- Begin function _ZN7rocprim17ROCPRIM_400000_NS6detail17trampoline_kernelINS0_14default_configENS1_20scan_config_selectorIyEEZZNS1_9scan_implILNS1_25lookback_scan_determinismE0ELb0ELb0ES3_N6thrust23THRUST_200600_302600_NS6detail15normal_iteratorINS9_10device_ptrIyEEEENS9_16discard_iteratorINS9_11use_defaultEEEyNS9_4plusIvEEyEEDaPvRmT3_T4_T5_mT6_P12ihipStream_tbENKUlT_T0_E_clISt17integral_constantIbLb0EESX_EEDaSS_ST_EUlSS_E_NS1_11comp_targetILNS1_3genE8ELNS1_11target_archE1030ELNS1_3gpuE2ELNS1_3repE0EEENS1_30default_config_static_selectorELNS0_4arch9wavefront6targetE1EEEvT1_
	.globl	_ZN7rocprim17ROCPRIM_400000_NS6detail17trampoline_kernelINS0_14default_configENS1_20scan_config_selectorIyEEZZNS1_9scan_implILNS1_25lookback_scan_determinismE0ELb0ELb0ES3_N6thrust23THRUST_200600_302600_NS6detail15normal_iteratorINS9_10device_ptrIyEEEENS9_16discard_iteratorINS9_11use_defaultEEEyNS9_4plusIvEEyEEDaPvRmT3_T4_T5_mT6_P12ihipStream_tbENKUlT_T0_E_clISt17integral_constantIbLb0EESX_EEDaSS_ST_EUlSS_E_NS1_11comp_targetILNS1_3genE8ELNS1_11target_archE1030ELNS1_3gpuE2ELNS1_3repE0EEENS1_30default_config_static_selectorELNS0_4arch9wavefront6targetE1EEEvT1_
	.p2align	8
	.type	_ZN7rocprim17ROCPRIM_400000_NS6detail17trampoline_kernelINS0_14default_configENS1_20scan_config_selectorIyEEZZNS1_9scan_implILNS1_25lookback_scan_determinismE0ELb0ELb0ES3_N6thrust23THRUST_200600_302600_NS6detail15normal_iteratorINS9_10device_ptrIyEEEENS9_16discard_iteratorINS9_11use_defaultEEEyNS9_4plusIvEEyEEDaPvRmT3_T4_T5_mT6_P12ihipStream_tbENKUlT_T0_E_clISt17integral_constantIbLb0EESX_EEDaSS_ST_EUlSS_E_NS1_11comp_targetILNS1_3genE8ELNS1_11target_archE1030ELNS1_3gpuE2ELNS1_3repE0EEENS1_30default_config_static_selectorELNS0_4arch9wavefront6targetE1EEEvT1_,@function
_ZN7rocprim17ROCPRIM_400000_NS6detail17trampoline_kernelINS0_14default_configENS1_20scan_config_selectorIyEEZZNS1_9scan_implILNS1_25lookback_scan_determinismE0ELb0ELb0ES3_N6thrust23THRUST_200600_302600_NS6detail15normal_iteratorINS9_10device_ptrIyEEEENS9_16discard_iteratorINS9_11use_defaultEEEyNS9_4plusIvEEyEEDaPvRmT3_T4_T5_mT6_P12ihipStream_tbENKUlT_T0_E_clISt17integral_constantIbLb0EESX_EEDaSS_ST_EUlSS_E_NS1_11comp_targetILNS1_3genE8ELNS1_11target_archE1030ELNS1_3gpuE2ELNS1_3repE0EEENS1_30default_config_static_selectorELNS0_4arch9wavefront6targetE1EEEvT1_: ; @_ZN7rocprim17ROCPRIM_400000_NS6detail17trampoline_kernelINS0_14default_configENS1_20scan_config_selectorIyEEZZNS1_9scan_implILNS1_25lookback_scan_determinismE0ELb0ELb0ES3_N6thrust23THRUST_200600_302600_NS6detail15normal_iteratorINS9_10device_ptrIyEEEENS9_16discard_iteratorINS9_11use_defaultEEEyNS9_4plusIvEEyEEDaPvRmT3_T4_T5_mT6_P12ihipStream_tbENKUlT_T0_E_clISt17integral_constantIbLb0EESX_EEDaSS_ST_EUlSS_E_NS1_11comp_targetILNS1_3genE8ELNS1_11target_archE1030ELNS1_3gpuE2ELNS1_3repE0EEENS1_30default_config_static_selectorELNS0_4arch9wavefront6targetE1EEEvT1_
; %bb.0:
	.section	.rodata,"a",@progbits
	.p2align	6, 0x0
	.amdhsa_kernel _ZN7rocprim17ROCPRIM_400000_NS6detail17trampoline_kernelINS0_14default_configENS1_20scan_config_selectorIyEEZZNS1_9scan_implILNS1_25lookback_scan_determinismE0ELb0ELb0ES3_N6thrust23THRUST_200600_302600_NS6detail15normal_iteratorINS9_10device_ptrIyEEEENS9_16discard_iteratorINS9_11use_defaultEEEyNS9_4plusIvEEyEEDaPvRmT3_T4_T5_mT6_P12ihipStream_tbENKUlT_T0_E_clISt17integral_constantIbLb0EESX_EEDaSS_ST_EUlSS_E_NS1_11comp_targetILNS1_3genE8ELNS1_11target_archE1030ELNS1_3gpuE2ELNS1_3repE0EEENS1_30default_config_static_selectorELNS0_4arch9wavefront6targetE1EEEvT1_
		.amdhsa_group_segment_fixed_size 0
		.amdhsa_private_segment_fixed_size 0
		.amdhsa_kernarg_size 112
		.amdhsa_user_sgpr_count 6
		.amdhsa_user_sgpr_private_segment_buffer 1
		.amdhsa_user_sgpr_dispatch_ptr 0
		.amdhsa_user_sgpr_queue_ptr 0
		.amdhsa_user_sgpr_kernarg_segment_ptr 1
		.amdhsa_user_sgpr_dispatch_id 0
		.amdhsa_user_sgpr_flat_scratch_init 0
		.amdhsa_user_sgpr_kernarg_preload_length 0
		.amdhsa_user_sgpr_kernarg_preload_offset 0
		.amdhsa_user_sgpr_private_segment_size 0
		.amdhsa_uses_dynamic_stack 0
		.amdhsa_system_sgpr_private_segment_wavefront_offset 0
		.amdhsa_system_sgpr_workgroup_id_x 1
		.amdhsa_system_sgpr_workgroup_id_y 0
		.amdhsa_system_sgpr_workgroup_id_z 0
		.amdhsa_system_sgpr_workgroup_info 0
		.amdhsa_system_vgpr_workitem_id 0
		.amdhsa_next_free_vgpr 1
		.amdhsa_next_free_sgpr 0
		.amdhsa_accum_offset 4
		.amdhsa_reserve_vcc 0
		.amdhsa_reserve_flat_scratch 0
		.amdhsa_float_round_mode_32 0
		.amdhsa_float_round_mode_16_64 0
		.amdhsa_float_denorm_mode_32 3
		.amdhsa_float_denorm_mode_16_64 3
		.amdhsa_dx10_clamp 1
		.amdhsa_ieee_mode 1
		.amdhsa_fp16_overflow 0
		.amdhsa_tg_split 0
		.amdhsa_exception_fp_ieee_invalid_op 0
		.amdhsa_exception_fp_denorm_src 0
		.amdhsa_exception_fp_ieee_div_zero 0
		.amdhsa_exception_fp_ieee_overflow 0
		.amdhsa_exception_fp_ieee_underflow 0
		.amdhsa_exception_fp_ieee_inexact 0
		.amdhsa_exception_int_div_zero 0
	.end_amdhsa_kernel
	.section	.text._ZN7rocprim17ROCPRIM_400000_NS6detail17trampoline_kernelINS0_14default_configENS1_20scan_config_selectorIyEEZZNS1_9scan_implILNS1_25lookback_scan_determinismE0ELb0ELb0ES3_N6thrust23THRUST_200600_302600_NS6detail15normal_iteratorINS9_10device_ptrIyEEEENS9_16discard_iteratorINS9_11use_defaultEEEyNS9_4plusIvEEyEEDaPvRmT3_T4_T5_mT6_P12ihipStream_tbENKUlT_T0_E_clISt17integral_constantIbLb0EESX_EEDaSS_ST_EUlSS_E_NS1_11comp_targetILNS1_3genE8ELNS1_11target_archE1030ELNS1_3gpuE2ELNS1_3repE0EEENS1_30default_config_static_selectorELNS0_4arch9wavefront6targetE1EEEvT1_,"axG",@progbits,_ZN7rocprim17ROCPRIM_400000_NS6detail17trampoline_kernelINS0_14default_configENS1_20scan_config_selectorIyEEZZNS1_9scan_implILNS1_25lookback_scan_determinismE0ELb0ELb0ES3_N6thrust23THRUST_200600_302600_NS6detail15normal_iteratorINS9_10device_ptrIyEEEENS9_16discard_iteratorINS9_11use_defaultEEEyNS9_4plusIvEEyEEDaPvRmT3_T4_T5_mT6_P12ihipStream_tbENKUlT_T0_E_clISt17integral_constantIbLb0EESX_EEDaSS_ST_EUlSS_E_NS1_11comp_targetILNS1_3genE8ELNS1_11target_archE1030ELNS1_3gpuE2ELNS1_3repE0EEENS1_30default_config_static_selectorELNS0_4arch9wavefront6targetE1EEEvT1_,comdat
.Lfunc_end5158:
	.size	_ZN7rocprim17ROCPRIM_400000_NS6detail17trampoline_kernelINS0_14default_configENS1_20scan_config_selectorIyEEZZNS1_9scan_implILNS1_25lookback_scan_determinismE0ELb0ELb0ES3_N6thrust23THRUST_200600_302600_NS6detail15normal_iteratorINS9_10device_ptrIyEEEENS9_16discard_iteratorINS9_11use_defaultEEEyNS9_4plusIvEEyEEDaPvRmT3_T4_T5_mT6_P12ihipStream_tbENKUlT_T0_E_clISt17integral_constantIbLb0EESX_EEDaSS_ST_EUlSS_E_NS1_11comp_targetILNS1_3genE8ELNS1_11target_archE1030ELNS1_3gpuE2ELNS1_3repE0EEENS1_30default_config_static_selectorELNS0_4arch9wavefront6targetE1EEEvT1_, .Lfunc_end5158-_ZN7rocprim17ROCPRIM_400000_NS6detail17trampoline_kernelINS0_14default_configENS1_20scan_config_selectorIyEEZZNS1_9scan_implILNS1_25lookback_scan_determinismE0ELb0ELb0ES3_N6thrust23THRUST_200600_302600_NS6detail15normal_iteratorINS9_10device_ptrIyEEEENS9_16discard_iteratorINS9_11use_defaultEEEyNS9_4plusIvEEyEEDaPvRmT3_T4_T5_mT6_P12ihipStream_tbENKUlT_T0_E_clISt17integral_constantIbLb0EESX_EEDaSS_ST_EUlSS_E_NS1_11comp_targetILNS1_3genE8ELNS1_11target_archE1030ELNS1_3gpuE2ELNS1_3repE0EEENS1_30default_config_static_selectorELNS0_4arch9wavefront6targetE1EEEvT1_
                                        ; -- End function
	.section	.AMDGPU.csdata,"",@progbits
; Kernel info:
; codeLenInByte = 0
; NumSgprs: 4
; NumVgprs: 0
; NumAgprs: 0
; TotalNumVgprs: 0
; ScratchSize: 0
; MemoryBound: 0
; FloatMode: 240
; IeeeMode: 1
; LDSByteSize: 0 bytes/workgroup (compile time only)
; SGPRBlocks: 0
; VGPRBlocks: 0
; NumSGPRsForWavesPerEU: 4
; NumVGPRsForWavesPerEU: 1
; AccumOffset: 4
; Occupancy: 8
; WaveLimiterHint : 0
; COMPUTE_PGM_RSRC2:SCRATCH_EN: 0
; COMPUTE_PGM_RSRC2:USER_SGPR: 6
; COMPUTE_PGM_RSRC2:TRAP_HANDLER: 0
; COMPUTE_PGM_RSRC2:TGID_X_EN: 1
; COMPUTE_PGM_RSRC2:TGID_Y_EN: 0
; COMPUTE_PGM_RSRC2:TGID_Z_EN: 0
; COMPUTE_PGM_RSRC2:TIDIG_COMP_CNT: 0
; COMPUTE_PGM_RSRC3_GFX90A:ACCUM_OFFSET: 0
; COMPUTE_PGM_RSRC3_GFX90A:TG_SPLIT: 0
	.section	.text._ZN7rocprim17ROCPRIM_400000_NS6detail17trampoline_kernelINS0_14default_configENS1_20scan_config_selectorIyEEZZNS1_9scan_implILNS1_25lookback_scan_determinismE0ELb0ELb0ES3_N6thrust23THRUST_200600_302600_NS6detail15normal_iteratorINS9_10device_ptrIyEEEENS9_16discard_iteratorINS9_11use_defaultEEEyNS9_4plusIvEEyEEDaPvRmT3_T4_T5_mT6_P12ihipStream_tbENKUlT_T0_E_clISt17integral_constantIbLb0EESX_EEDaSS_ST_EUlSS_E0_NS1_11comp_targetILNS1_3genE0ELNS1_11target_archE4294967295ELNS1_3gpuE0ELNS1_3repE0EEENS1_30default_config_static_selectorELNS0_4arch9wavefront6targetE1EEEvT1_,"axG",@progbits,_ZN7rocprim17ROCPRIM_400000_NS6detail17trampoline_kernelINS0_14default_configENS1_20scan_config_selectorIyEEZZNS1_9scan_implILNS1_25lookback_scan_determinismE0ELb0ELb0ES3_N6thrust23THRUST_200600_302600_NS6detail15normal_iteratorINS9_10device_ptrIyEEEENS9_16discard_iteratorINS9_11use_defaultEEEyNS9_4plusIvEEyEEDaPvRmT3_T4_T5_mT6_P12ihipStream_tbENKUlT_T0_E_clISt17integral_constantIbLb0EESX_EEDaSS_ST_EUlSS_E0_NS1_11comp_targetILNS1_3genE0ELNS1_11target_archE4294967295ELNS1_3gpuE0ELNS1_3repE0EEENS1_30default_config_static_selectorELNS0_4arch9wavefront6targetE1EEEvT1_,comdat
	.protected	_ZN7rocprim17ROCPRIM_400000_NS6detail17trampoline_kernelINS0_14default_configENS1_20scan_config_selectorIyEEZZNS1_9scan_implILNS1_25lookback_scan_determinismE0ELb0ELb0ES3_N6thrust23THRUST_200600_302600_NS6detail15normal_iteratorINS9_10device_ptrIyEEEENS9_16discard_iteratorINS9_11use_defaultEEEyNS9_4plusIvEEyEEDaPvRmT3_T4_T5_mT6_P12ihipStream_tbENKUlT_T0_E_clISt17integral_constantIbLb0EESX_EEDaSS_ST_EUlSS_E0_NS1_11comp_targetILNS1_3genE0ELNS1_11target_archE4294967295ELNS1_3gpuE0ELNS1_3repE0EEENS1_30default_config_static_selectorELNS0_4arch9wavefront6targetE1EEEvT1_ ; -- Begin function _ZN7rocprim17ROCPRIM_400000_NS6detail17trampoline_kernelINS0_14default_configENS1_20scan_config_selectorIyEEZZNS1_9scan_implILNS1_25lookback_scan_determinismE0ELb0ELb0ES3_N6thrust23THRUST_200600_302600_NS6detail15normal_iteratorINS9_10device_ptrIyEEEENS9_16discard_iteratorINS9_11use_defaultEEEyNS9_4plusIvEEyEEDaPvRmT3_T4_T5_mT6_P12ihipStream_tbENKUlT_T0_E_clISt17integral_constantIbLb0EESX_EEDaSS_ST_EUlSS_E0_NS1_11comp_targetILNS1_3genE0ELNS1_11target_archE4294967295ELNS1_3gpuE0ELNS1_3repE0EEENS1_30default_config_static_selectorELNS0_4arch9wavefront6targetE1EEEvT1_
	.globl	_ZN7rocprim17ROCPRIM_400000_NS6detail17trampoline_kernelINS0_14default_configENS1_20scan_config_selectorIyEEZZNS1_9scan_implILNS1_25lookback_scan_determinismE0ELb0ELb0ES3_N6thrust23THRUST_200600_302600_NS6detail15normal_iteratorINS9_10device_ptrIyEEEENS9_16discard_iteratorINS9_11use_defaultEEEyNS9_4plusIvEEyEEDaPvRmT3_T4_T5_mT6_P12ihipStream_tbENKUlT_T0_E_clISt17integral_constantIbLb0EESX_EEDaSS_ST_EUlSS_E0_NS1_11comp_targetILNS1_3genE0ELNS1_11target_archE4294967295ELNS1_3gpuE0ELNS1_3repE0EEENS1_30default_config_static_selectorELNS0_4arch9wavefront6targetE1EEEvT1_
	.p2align	8
	.type	_ZN7rocprim17ROCPRIM_400000_NS6detail17trampoline_kernelINS0_14default_configENS1_20scan_config_selectorIyEEZZNS1_9scan_implILNS1_25lookback_scan_determinismE0ELb0ELb0ES3_N6thrust23THRUST_200600_302600_NS6detail15normal_iteratorINS9_10device_ptrIyEEEENS9_16discard_iteratorINS9_11use_defaultEEEyNS9_4plusIvEEyEEDaPvRmT3_T4_T5_mT6_P12ihipStream_tbENKUlT_T0_E_clISt17integral_constantIbLb0EESX_EEDaSS_ST_EUlSS_E0_NS1_11comp_targetILNS1_3genE0ELNS1_11target_archE4294967295ELNS1_3gpuE0ELNS1_3repE0EEENS1_30default_config_static_selectorELNS0_4arch9wavefront6targetE1EEEvT1_,@function
_ZN7rocprim17ROCPRIM_400000_NS6detail17trampoline_kernelINS0_14default_configENS1_20scan_config_selectorIyEEZZNS1_9scan_implILNS1_25lookback_scan_determinismE0ELb0ELb0ES3_N6thrust23THRUST_200600_302600_NS6detail15normal_iteratorINS9_10device_ptrIyEEEENS9_16discard_iteratorINS9_11use_defaultEEEyNS9_4plusIvEEyEEDaPvRmT3_T4_T5_mT6_P12ihipStream_tbENKUlT_T0_E_clISt17integral_constantIbLb0EESX_EEDaSS_ST_EUlSS_E0_NS1_11comp_targetILNS1_3genE0ELNS1_11target_archE4294967295ELNS1_3gpuE0ELNS1_3repE0EEENS1_30default_config_static_selectorELNS0_4arch9wavefront6targetE1EEEvT1_: ; @_ZN7rocprim17ROCPRIM_400000_NS6detail17trampoline_kernelINS0_14default_configENS1_20scan_config_selectorIyEEZZNS1_9scan_implILNS1_25lookback_scan_determinismE0ELb0ELb0ES3_N6thrust23THRUST_200600_302600_NS6detail15normal_iteratorINS9_10device_ptrIyEEEENS9_16discard_iteratorINS9_11use_defaultEEEyNS9_4plusIvEEyEEDaPvRmT3_T4_T5_mT6_P12ihipStream_tbENKUlT_T0_E_clISt17integral_constantIbLb0EESX_EEDaSS_ST_EUlSS_E0_NS1_11comp_targetILNS1_3genE0ELNS1_11target_archE4294967295ELNS1_3gpuE0ELNS1_3repE0EEENS1_30default_config_static_selectorELNS0_4arch9wavefront6targetE1EEEvT1_
; %bb.0:
	.section	.rodata,"a",@progbits
	.p2align	6, 0x0
	.amdhsa_kernel _ZN7rocprim17ROCPRIM_400000_NS6detail17trampoline_kernelINS0_14default_configENS1_20scan_config_selectorIyEEZZNS1_9scan_implILNS1_25lookback_scan_determinismE0ELb0ELb0ES3_N6thrust23THRUST_200600_302600_NS6detail15normal_iteratorINS9_10device_ptrIyEEEENS9_16discard_iteratorINS9_11use_defaultEEEyNS9_4plusIvEEyEEDaPvRmT3_T4_T5_mT6_P12ihipStream_tbENKUlT_T0_E_clISt17integral_constantIbLb0EESX_EEDaSS_ST_EUlSS_E0_NS1_11comp_targetILNS1_3genE0ELNS1_11target_archE4294967295ELNS1_3gpuE0ELNS1_3repE0EEENS1_30default_config_static_selectorELNS0_4arch9wavefront6targetE1EEEvT1_
		.amdhsa_group_segment_fixed_size 0
		.amdhsa_private_segment_fixed_size 0
		.amdhsa_kernarg_size 48
		.amdhsa_user_sgpr_count 6
		.amdhsa_user_sgpr_private_segment_buffer 1
		.amdhsa_user_sgpr_dispatch_ptr 0
		.amdhsa_user_sgpr_queue_ptr 0
		.amdhsa_user_sgpr_kernarg_segment_ptr 1
		.amdhsa_user_sgpr_dispatch_id 0
		.amdhsa_user_sgpr_flat_scratch_init 0
		.amdhsa_user_sgpr_kernarg_preload_length 0
		.amdhsa_user_sgpr_kernarg_preload_offset 0
		.amdhsa_user_sgpr_private_segment_size 0
		.amdhsa_uses_dynamic_stack 0
		.amdhsa_system_sgpr_private_segment_wavefront_offset 0
		.amdhsa_system_sgpr_workgroup_id_x 1
		.amdhsa_system_sgpr_workgroup_id_y 0
		.amdhsa_system_sgpr_workgroup_id_z 0
		.amdhsa_system_sgpr_workgroup_info 0
		.amdhsa_system_vgpr_workitem_id 0
		.amdhsa_next_free_vgpr 1
		.amdhsa_next_free_sgpr 0
		.amdhsa_accum_offset 4
		.amdhsa_reserve_vcc 0
		.amdhsa_reserve_flat_scratch 0
		.amdhsa_float_round_mode_32 0
		.amdhsa_float_round_mode_16_64 0
		.amdhsa_float_denorm_mode_32 3
		.amdhsa_float_denorm_mode_16_64 3
		.amdhsa_dx10_clamp 1
		.amdhsa_ieee_mode 1
		.amdhsa_fp16_overflow 0
		.amdhsa_tg_split 0
		.amdhsa_exception_fp_ieee_invalid_op 0
		.amdhsa_exception_fp_denorm_src 0
		.amdhsa_exception_fp_ieee_div_zero 0
		.amdhsa_exception_fp_ieee_overflow 0
		.amdhsa_exception_fp_ieee_underflow 0
		.amdhsa_exception_fp_ieee_inexact 0
		.amdhsa_exception_int_div_zero 0
	.end_amdhsa_kernel
	.section	.text._ZN7rocprim17ROCPRIM_400000_NS6detail17trampoline_kernelINS0_14default_configENS1_20scan_config_selectorIyEEZZNS1_9scan_implILNS1_25lookback_scan_determinismE0ELb0ELb0ES3_N6thrust23THRUST_200600_302600_NS6detail15normal_iteratorINS9_10device_ptrIyEEEENS9_16discard_iteratorINS9_11use_defaultEEEyNS9_4plusIvEEyEEDaPvRmT3_T4_T5_mT6_P12ihipStream_tbENKUlT_T0_E_clISt17integral_constantIbLb0EESX_EEDaSS_ST_EUlSS_E0_NS1_11comp_targetILNS1_3genE0ELNS1_11target_archE4294967295ELNS1_3gpuE0ELNS1_3repE0EEENS1_30default_config_static_selectorELNS0_4arch9wavefront6targetE1EEEvT1_,"axG",@progbits,_ZN7rocprim17ROCPRIM_400000_NS6detail17trampoline_kernelINS0_14default_configENS1_20scan_config_selectorIyEEZZNS1_9scan_implILNS1_25lookback_scan_determinismE0ELb0ELb0ES3_N6thrust23THRUST_200600_302600_NS6detail15normal_iteratorINS9_10device_ptrIyEEEENS9_16discard_iteratorINS9_11use_defaultEEEyNS9_4plusIvEEyEEDaPvRmT3_T4_T5_mT6_P12ihipStream_tbENKUlT_T0_E_clISt17integral_constantIbLb0EESX_EEDaSS_ST_EUlSS_E0_NS1_11comp_targetILNS1_3genE0ELNS1_11target_archE4294967295ELNS1_3gpuE0ELNS1_3repE0EEENS1_30default_config_static_selectorELNS0_4arch9wavefront6targetE1EEEvT1_,comdat
.Lfunc_end5159:
	.size	_ZN7rocprim17ROCPRIM_400000_NS6detail17trampoline_kernelINS0_14default_configENS1_20scan_config_selectorIyEEZZNS1_9scan_implILNS1_25lookback_scan_determinismE0ELb0ELb0ES3_N6thrust23THRUST_200600_302600_NS6detail15normal_iteratorINS9_10device_ptrIyEEEENS9_16discard_iteratorINS9_11use_defaultEEEyNS9_4plusIvEEyEEDaPvRmT3_T4_T5_mT6_P12ihipStream_tbENKUlT_T0_E_clISt17integral_constantIbLb0EESX_EEDaSS_ST_EUlSS_E0_NS1_11comp_targetILNS1_3genE0ELNS1_11target_archE4294967295ELNS1_3gpuE0ELNS1_3repE0EEENS1_30default_config_static_selectorELNS0_4arch9wavefront6targetE1EEEvT1_, .Lfunc_end5159-_ZN7rocprim17ROCPRIM_400000_NS6detail17trampoline_kernelINS0_14default_configENS1_20scan_config_selectorIyEEZZNS1_9scan_implILNS1_25lookback_scan_determinismE0ELb0ELb0ES3_N6thrust23THRUST_200600_302600_NS6detail15normal_iteratorINS9_10device_ptrIyEEEENS9_16discard_iteratorINS9_11use_defaultEEEyNS9_4plusIvEEyEEDaPvRmT3_T4_T5_mT6_P12ihipStream_tbENKUlT_T0_E_clISt17integral_constantIbLb0EESX_EEDaSS_ST_EUlSS_E0_NS1_11comp_targetILNS1_3genE0ELNS1_11target_archE4294967295ELNS1_3gpuE0ELNS1_3repE0EEENS1_30default_config_static_selectorELNS0_4arch9wavefront6targetE1EEEvT1_
                                        ; -- End function
	.section	.AMDGPU.csdata,"",@progbits
; Kernel info:
; codeLenInByte = 0
; NumSgprs: 4
; NumVgprs: 0
; NumAgprs: 0
; TotalNumVgprs: 0
; ScratchSize: 0
; MemoryBound: 0
; FloatMode: 240
; IeeeMode: 1
; LDSByteSize: 0 bytes/workgroup (compile time only)
; SGPRBlocks: 0
; VGPRBlocks: 0
; NumSGPRsForWavesPerEU: 4
; NumVGPRsForWavesPerEU: 1
; AccumOffset: 4
; Occupancy: 8
; WaveLimiterHint : 0
; COMPUTE_PGM_RSRC2:SCRATCH_EN: 0
; COMPUTE_PGM_RSRC2:USER_SGPR: 6
; COMPUTE_PGM_RSRC2:TRAP_HANDLER: 0
; COMPUTE_PGM_RSRC2:TGID_X_EN: 1
; COMPUTE_PGM_RSRC2:TGID_Y_EN: 0
; COMPUTE_PGM_RSRC2:TGID_Z_EN: 0
; COMPUTE_PGM_RSRC2:TIDIG_COMP_CNT: 0
; COMPUTE_PGM_RSRC3_GFX90A:ACCUM_OFFSET: 0
; COMPUTE_PGM_RSRC3_GFX90A:TG_SPLIT: 0
	.section	.text._ZN7rocprim17ROCPRIM_400000_NS6detail17trampoline_kernelINS0_14default_configENS1_20scan_config_selectorIyEEZZNS1_9scan_implILNS1_25lookback_scan_determinismE0ELb0ELb0ES3_N6thrust23THRUST_200600_302600_NS6detail15normal_iteratorINS9_10device_ptrIyEEEENS9_16discard_iteratorINS9_11use_defaultEEEyNS9_4plusIvEEyEEDaPvRmT3_T4_T5_mT6_P12ihipStream_tbENKUlT_T0_E_clISt17integral_constantIbLb0EESX_EEDaSS_ST_EUlSS_E0_NS1_11comp_targetILNS1_3genE5ELNS1_11target_archE942ELNS1_3gpuE9ELNS1_3repE0EEENS1_30default_config_static_selectorELNS0_4arch9wavefront6targetE1EEEvT1_,"axG",@progbits,_ZN7rocprim17ROCPRIM_400000_NS6detail17trampoline_kernelINS0_14default_configENS1_20scan_config_selectorIyEEZZNS1_9scan_implILNS1_25lookback_scan_determinismE0ELb0ELb0ES3_N6thrust23THRUST_200600_302600_NS6detail15normal_iteratorINS9_10device_ptrIyEEEENS9_16discard_iteratorINS9_11use_defaultEEEyNS9_4plusIvEEyEEDaPvRmT3_T4_T5_mT6_P12ihipStream_tbENKUlT_T0_E_clISt17integral_constantIbLb0EESX_EEDaSS_ST_EUlSS_E0_NS1_11comp_targetILNS1_3genE5ELNS1_11target_archE942ELNS1_3gpuE9ELNS1_3repE0EEENS1_30default_config_static_selectorELNS0_4arch9wavefront6targetE1EEEvT1_,comdat
	.protected	_ZN7rocprim17ROCPRIM_400000_NS6detail17trampoline_kernelINS0_14default_configENS1_20scan_config_selectorIyEEZZNS1_9scan_implILNS1_25lookback_scan_determinismE0ELb0ELb0ES3_N6thrust23THRUST_200600_302600_NS6detail15normal_iteratorINS9_10device_ptrIyEEEENS9_16discard_iteratorINS9_11use_defaultEEEyNS9_4plusIvEEyEEDaPvRmT3_T4_T5_mT6_P12ihipStream_tbENKUlT_T0_E_clISt17integral_constantIbLb0EESX_EEDaSS_ST_EUlSS_E0_NS1_11comp_targetILNS1_3genE5ELNS1_11target_archE942ELNS1_3gpuE9ELNS1_3repE0EEENS1_30default_config_static_selectorELNS0_4arch9wavefront6targetE1EEEvT1_ ; -- Begin function _ZN7rocprim17ROCPRIM_400000_NS6detail17trampoline_kernelINS0_14default_configENS1_20scan_config_selectorIyEEZZNS1_9scan_implILNS1_25lookback_scan_determinismE0ELb0ELb0ES3_N6thrust23THRUST_200600_302600_NS6detail15normal_iteratorINS9_10device_ptrIyEEEENS9_16discard_iteratorINS9_11use_defaultEEEyNS9_4plusIvEEyEEDaPvRmT3_T4_T5_mT6_P12ihipStream_tbENKUlT_T0_E_clISt17integral_constantIbLb0EESX_EEDaSS_ST_EUlSS_E0_NS1_11comp_targetILNS1_3genE5ELNS1_11target_archE942ELNS1_3gpuE9ELNS1_3repE0EEENS1_30default_config_static_selectorELNS0_4arch9wavefront6targetE1EEEvT1_
	.globl	_ZN7rocprim17ROCPRIM_400000_NS6detail17trampoline_kernelINS0_14default_configENS1_20scan_config_selectorIyEEZZNS1_9scan_implILNS1_25lookback_scan_determinismE0ELb0ELb0ES3_N6thrust23THRUST_200600_302600_NS6detail15normal_iteratorINS9_10device_ptrIyEEEENS9_16discard_iteratorINS9_11use_defaultEEEyNS9_4plusIvEEyEEDaPvRmT3_T4_T5_mT6_P12ihipStream_tbENKUlT_T0_E_clISt17integral_constantIbLb0EESX_EEDaSS_ST_EUlSS_E0_NS1_11comp_targetILNS1_3genE5ELNS1_11target_archE942ELNS1_3gpuE9ELNS1_3repE0EEENS1_30default_config_static_selectorELNS0_4arch9wavefront6targetE1EEEvT1_
	.p2align	8
	.type	_ZN7rocprim17ROCPRIM_400000_NS6detail17trampoline_kernelINS0_14default_configENS1_20scan_config_selectorIyEEZZNS1_9scan_implILNS1_25lookback_scan_determinismE0ELb0ELb0ES3_N6thrust23THRUST_200600_302600_NS6detail15normal_iteratorINS9_10device_ptrIyEEEENS9_16discard_iteratorINS9_11use_defaultEEEyNS9_4plusIvEEyEEDaPvRmT3_T4_T5_mT6_P12ihipStream_tbENKUlT_T0_E_clISt17integral_constantIbLb0EESX_EEDaSS_ST_EUlSS_E0_NS1_11comp_targetILNS1_3genE5ELNS1_11target_archE942ELNS1_3gpuE9ELNS1_3repE0EEENS1_30default_config_static_selectorELNS0_4arch9wavefront6targetE1EEEvT1_,@function
_ZN7rocprim17ROCPRIM_400000_NS6detail17trampoline_kernelINS0_14default_configENS1_20scan_config_selectorIyEEZZNS1_9scan_implILNS1_25lookback_scan_determinismE0ELb0ELb0ES3_N6thrust23THRUST_200600_302600_NS6detail15normal_iteratorINS9_10device_ptrIyEEEENS9_16discard_iteratorINS9_11use_defaultEEEyNS9_4plusIvEEyEEDaPvRmT3_T4_T5_mT6_P12ihipStream_tbENKUlT_T0_E_clISt17integral_constantIbLb0EESX_EEDaSS_ST_EUlSS_E0_NS1_11comp_targetILNS1_3genE5ELNS1_11target_archE942ELNS1_3gpuE9ELNS1_3repE0EEENS1_30default_config_static_selectorELNS0_4arch9wavefront6targetE1EEEvT1_: ; @_ZN7rocprim17ROCPRIM_400000_NS6detail17trampoline_kernelINS0_14default_configENS1_20scan_config_selectorIyEEZZNS1_9scan_implILNS1_25lookback_scan_determinismE0ELb0ELb0ES3_N6thrust23THRUST_200600_302600_NS6detail15normal_iteratorINS9_10device_ptrIyEEEENS9_16discard_iteratorINS9_11use_defaultEEEyNS9_4plusIvEEyEEDaPvRmT3_T4_T5_mT6_P12ihipStream_tbENKUlT_T0_E_clISt17integral_constantIbLb0EESX_EEDaSS_ST_EUlSS_E0_NS1_11comp_targetILNS1_3genE5ELNS1_11target_archE942ELNS1_3gpuE9ELNS1_3repE0EEENS1_30default_config_static_selectorELNS0_4arch9wavefront6targetE1EEEvT1_
; %bb.0:
	.section	.rodata,"a",@progbits
	.p2align	6, 0x0
	.amdhsa_kernel _ZN7rocprim17ROCPRIM_400000_NS6detail17trampoline_kernelINS0_14default_configENS1_20scan_config_selectorIyEEZZNS1_9scan_implILNS1_25lookback_scan_determinismE0ELb0ELb0ES3_N6thrust23THRUST_200600_302600_NS6detail15normal_iteratorINS9_10device_ptrIyEEEENS9_16discard_iteratorINS9_11use_defaultEEEyNS9_4plusIvEEyEEDaPvRmT3_T4_T5_mT6_P12ihipStream_tbENKUlT_T0_E_clISt17integral_constantIbLb0EESX_EEDaSS_ST_EUlSS_E0_NS1_11comp_targetILNS1_3genE5ELNS1_11target_archE942ELNS1_3gpuE9ELNS1_3repE0EEENS1_30default_config_static_selectorELNS0_4arch9wavefront6targetE1EEEvT1_
		.amdhsa_group_segment_fixed_size 0
		.amdhsa_private_segment_fixed_size 0
		.amdhsa_kernarg_size 48
		.amdhsa_user_sgpr_count 6
		.amdhsa_user_sgpr_private_segment_buffer 1
		.amdhsa_user_sgpr_dispatch_ptr 0
		.amdhsa_user_sgpr_queue_ptr 0
		.amdhsa_user_sgpr_kernarg_segment_ptr 1
		.amdhsa_user_sgpr_dispatch_id 0
		.amdhsa_user_sgpr_flat_scratch_init 0
		.amdhsa_user_sgpr_kernarg_preload_length 0
		.amdhsa_user_sgpr_kernarg_preload_offset 0
		.amdhsa_user_sgpr_private_segment_size 0
		.amdhsa_uses_dynamic_stack 0
		.amdhsa_system_sgpr_private_segment_wavefront_offset 0
		.amdhsa_system_sgpr_workgroup_id_x 1
		.amdhsa_system_sgpr_workgroup_id_y 0
		.amdhsa_system_sgpr_workgroup_id_z 0
		.amdhsa_system_sgpr_workgroup_info 0
		.amdhsa_system_vgpr_workitem_id 0
		.amdhsa_next_free_vgpr 1
		.amdhsa_next_free_sgpr 0
		.amdhsa_accum_offset 4
		.amdhsa_reserve_vcc 0
		.amdhsa_reserve_flat_scratch 0
		.amdhsa_float_round_mode_32 0
		.amdhsa_float_round_mode_16_64 0
		.amdhsa_float_denorm_mode_32 3
		.amdhsa_float_denorm_mode_16_64 3
		.amdhsa_dx10_clamp 1
		.amdhsa_ieee_mode 1
		.amdhsa_fp16_overflow 0
		.amdhsa_tg_split 0
		.amdhsa_exception_fp_ieee_invalid_op 0
		.amdhsa_exception_fp_denorm_src 0
		.amdhsa_exception_fp_ieee_div_zero 0
		.amdhsa_exception_fp_ieee_overflow 0
		.amdhsa_exception_fp_ieee_underflow 0
		.amdhsa_exception_fp_ieee_inexact 0
		.amdhsa_exception_int_div_zero 0
	.end_amdhsa_kernel
	.section	.text._ZN7rocprim17ROCPRIM_400000_NS6detail17trampoline_kernelINS0_14default_configENS1_20scan_config_selectorIyEEZZNS1_9scan_implILNS1_25lookback_scan_determinismE0ELb0ELb0ES3_N6thrust23THRUST_200600_302600_NS6detail15normal_iteratorINS9_10device_ptrIyEEEENS9_16discard_iteratorINS9_11use_defaultEEEyNS9_4plusIvEEyEEDaPvRmT3_T4_T5_mT6_P12ihipStream_tbENKUlT_T0_E_clISt17integral_constantIbLb0EESX_EEDaSS_ST_EUlSS_E0_NS1_11comp_targetILNS1_3genE5ELNS1_11target_archE942ELNS1_3gpuE9ELNS1_3repE0EEENS1_30default_config_static_selectorELNS0_4arch9wavefront6targetE1EEEvT1_,"axG",@progbits,_ZN7rocprim17ROCPRIM_400000_NS6detail17trampoline_kernelINS0_14default_configENS1_20scan_config_selectorIyEEZZNS1_9scan_implILNS1_25lookback_scan_determinismE0ELb0ELb0ES3_N6thrust23THRUST_200600_302600_NS6detail15normal_iteratorINS9_10device_ptrIyEEEENS9_16discard_iteratorINS9_11use_defaultEEEyNS9_4plusIvEEyEEDaPvRmT3_T4_T5_mT6_P12ihipStream_tbENKUlT_T0_E_clISt17integral_constantIbLb0EESX_EEDaSS_ST_EUlSS_E0_NS1_11comp_targetILNS1_3genE5ELNS1_11target_archE942ELNS1_3gpuE9ELNS1_3repE0EEENS1_30default_config_static_selectorELNS0_4arch9wavefront6targetE1EEEvT1_,comdat
.Lfunc_end5160:
	.size	_ZN7rocprim17ROCPRIM_400000_NS6detail17trampoline_kernelINS0_14default_configENS1_20scan_config_selectorIyEEZZNS1_9scan_implILNS1_25lookback_scan_determinismE0ELb0ELb0ES3_N6thrust23THRUST_200600_302600_NS6detail15normal_iteratorINS9_10device_ptrIyEEEENS9_16discard_iteratorINS9_11use_defaultEEEyNS9_4plusIvEEyEEDaPvRmT3_T4_T5_mT6_P12ihipStream_tbENKUlT_T0_E_clISt17integral_constantIbLb0EESX_EEDaSS_ST_EUlSS_E0_NS1_11comp_targetILNS1_3genE5ELNS1_11target_archE942ELNS1_3gpuE9ELNS1_3repE0EEENS1_30default_config_static_selectorELNS0_4arch9wavefront6targetE1EEEvT1_, .Lfunc_end5160-_ZN7rocprim17ROCPRIM_400000_NS6detail17trampoline_kernelINS0_14default_configENS1_20scan_config_selectorIyEEZZNS1_9scan_implILNS1_25lookback_scan_determinismE0ELb0ELb0ES3_N6thrust23THRUST_200600_302600_NS6detail15normal_iteratorINS9_10device_ptrIyEEEENS9_16discard_iteratorINS9_11use_defaultEEEyNS9_4plusIvEEyEEDaPvRmT3_T4_T5_mT6_P12ihipStream_tbENKUlT_T0_E_clISt17integral_constantIbLb0EESX_EEDaSS_ST_EUlSS_E0_NS1_11comp_targetILNS1_3genE5ELNS1_11target_archE942ELNS1_3gpuE9ELNS1_3repE0EEENS1_30default_config_static_selectorELNS0_4arch9wavefront6targetE1EEEvT1_
                                        ; -- End function
	.section	.AMDGPU.csdata,"",@progbits
; Kernel info:
; codeLenInByte = 0
; NumSgprs: 4
; NumVgprs: 0
; NumAgprs: 0
; TotalNumVgprs: 0
; ScratchSize: 0
; MemoryBound: 0
; FloatMode: 240
; IeeeMode: 1
; LDSByteSize: 0 bytes/workgroup (compile time only)
; SGPRBlocks: 0
; VGPRBlocks: 0
; NumSGPRsForWavesPerEU: 4
; NumVGPRsForWavesPerEU: 1
; AccumOffset: 4
; Occupancy: 8
; WaveLimiterHint : 0
; COMPUTE_PGM_RSRC2:SCRATCH_EN: 0
; COMPUTE_PGM_RSRC2:USER_SGPR: 6
; COMPUTE_PGM_RSRC2:TRAP_HANDLER: 0
; COMPUTE_PGM_RSRC2:TGID_X_EN: 1
; COMPUTE_PGM_RSRC2:TGID_Y_EN: 0
; COMPUTE_PGM_RSRC2:TGID_Z_EN: 0
; COMPUTE_PGM_RSRC2:TIDIG_COMP_CNT: 0
; COMPUTE_PGM_RSRC3_GFX90A:ACCUM_OFFSET: 0
; COMPUTE_PGM_RSRC3_GFX90A:TG_SPLIT: 0
	.section	.text._ZN7rocprim17ROCPRIM_400000_NS6detail17trampoline_kernelINS0_14default_configENS1_20scan_config_selectorIyEEZZNS1_9scan_implILNS1_25lookback_scan_determinismE0ELb0ELb0ES3_N6thrust23THRUST_200600_302600_NS6detail15normal_iteratorINS9_10device_ptrIyEEEENS9_16discard_iteratorINS9_11use_defaultEEEyNS9_4plusIvEEyEEDaPvRmT3_T4_T5_mT6_P12ihipStream_tbENKUlT_T0_E_clISt17integral_constantIbLb0EESX_EEDaSS_ST_EUlSS_E0_NS1_11comp_targetILNS1_3genE4ELNS1_11target_archE910ELNS1_3gpuE8ELNS1_3repE0EEENS1_30default_config_static_selectorELNS0_4arch9wavefront6targetE1EEEvT1_,"axG",@progbits,_ZN7rocprim17ROCPRIM_400000_NS6detail17trampoline_kernelINS0_14default_configENS1_20scan_config_selectorIyEEZZNS1_9scan_implILNS1_25lookback_scan_determinismE0ELb0ELb0ES3_N6thrust23THRUST_200600_302600_NS6detail15normal_iteratorINS9_10device_ptrIyEEEENS9_16discard_iteratorINS9_11use_defaultEEEyNS9_4plusIvEEyEEDaPvRmT3_T4_T5_mT6_P12ihipStream_tbENKUlT_T0_E_clISt17integral_constantIbLb0EESX_EEDaSS_ST_EUlSS_E0_NS1_11comp_targetILNS1_3genE4ELNS1_11target_archE910ELNS1_3gpuE8ELNS1_3repE0EEENS1_30default_config_static_selectorELNS0_4arch9wavefront6targetE1EEEvT1_,comdat
	.protected	_ZN7rocprim17ROCPRIM_400000_NS6detail17trampoline_kernelINS0_14default_configENS1_20scan_config_selectorIyEEZZNS1_9scan_implILNS1_25lookback_scan_determinismE0ELb0ELb0ES3_N6thrust23THRUST_200600_302600_NS6detail15normal_iteratorINS9_10device_ptrIyEEEENS9_16discard_iteratorINS9_11use_defaultEEEyNS9_4plusIvEEyEEDaPvRmT3_T4_T5_mT6_P12ihipStream_tbENKUlT_T0_E_clISt17integral_constantIbLb0EESX_EEDaSS_ST_EUlSS_E0_NS1_11comp_targetILNS1_3genE4ELNS1_11target_archE910ELNS1_3gpuE8ELNS1_3repE0EEENS1_30default_config_static_selectorELNS0_4arch9wavefront6targetE1EEEvT1_ ; -- Begin function _ZN7rocprim17ROCPRIM_400000_NS6detail17trampoline_kernelINS0_14default_configENS1_20scan_config_selectorIyEEZZNS1_9scan_implILNS1_25lookback_scan_determinismE0ELb0ELb0ES3_N6thrust23THRUST_200600_302600_NS6detail15normal_iteratorINS9_10device_ptrIyEEEENS9_16discard_iteratorINS9_11use_defaultEEEyNS9_4plusIvEEyEEDaPvRmT3_T4_T5_mT6_P12ihipStream_tbENKUlT_T0_E_clISt17integral_constantIbLb0EESX_EEDaSS_ST_EUlSS_E0_NS1_11comp_targetILNS1_3genE4ELNS1_11target_archE910ELNS1_3gpuE8ELNS1_3repE0EEENS1_30default_config_static_selectorELNS0_4arch9wavefront6targetE1EEEvT1_
	.globl	_ZN7rocprim17ROCPRIM_400000_NS6detail17trampoline_kernelINS0_14default_configENS1_20scan_config_selectorIyEEZZNS1_9scan_implILNS1_25lookback_scan_determinismE0ELb0ELb0ES3_N6thrust23THRUST_200600_302600_NS6detail15normal_iteratorINS9_10device_ptrIyEEEENS9_16discard_iteratorINS9_11use_defaultEEEyNS9_4plusIvEEyEEDaPvRmT3_T4_T5_mT6_P12ihipStream_tbENKUlT_T0_E_clISt17integral_constantIbLb0EESX_EEDaSS_ST_EUlSS_E0_NS1_11comp_targetILNS1_3genE4ELNS1_11target_archE910ELNS1_3gpuE8ELNS1_3repE0EEENS1_30default_config_static_selectorELNS0_4arch9wavefront6targetE1EEEvT1_
	.p2align	8
	.type	_ZN7rocprim17ROCPRIM_400000_NS6detail17trampoline_kernelINS0_14default_configENS1_20scan_config_selectorIyEEZZNS1_9scan_implILNS1_25lookback_scan_determinismE0ELb0ELb0ES3_N6thrust23THRUST_200600_302600_NS6detail15normal_iteratorINS9_10device_ptrIyEEEENS9_16discard_iteratorINS9_11use_defaultEEEyNS9_4plusIvEEyEEDaPvRmT3_T4_T5_mT6_P12ihipStream_tbENKUlT_T0_E_clISt17integral_constantIbLb0EESX_EEDaSS_ST_EUlSS_E0_NS1_11comp_targetILNS1_3genE4ELNS1_11target_archE910ELNS1_3gpuE8ELNS1_3repE0EEENS1_30default_config_static_selectorELNS0_4arch9wavefront6targetE1EEEvT1_,@function
_ZN7rocprim17ROCPRIM_400000_NS6detail17trampoline_kernelINS0_14default_configENS1_20scan_config_selectorIyEEZZNS1_9scan_implILNS1_25lookback_scan_determinismE0ELb0ELb0ES3_N6thrust23THRUST_200600_302600_NS6detail15normal_iteratorINS9_10device_ptrIyEEEENS9_16discard_iteratorINS9_11use_defaultEEEyNS9_4plusIvEEyEEDaPvRmT3_T4_T5_mT6_P12ihipStream_tbENKUlT_T0_E_clISt17integral_constantIbLb0EESX_EEDaSS_ST_EUlSS_E0_NS1_11comp_targetILNS1_3genE4ELNS1_11target_archE910ELNS1_3gpuE8ELNS1_3repE0EEENS1_30default_config_static_selectorELNS0_4arch9wavefront6targetE1EEEvT1_: ; @_ZN7rocprim17ROCPRIM_400000_NS6detail17trampoline_kernelINS0_14default_configENS1_20scan_config_selectorIyEEZZNS1_9scan_implILNS1_25lookback_scan_determinismE0ELb0ELb0ES3_N6thrust23THRUST_200600_302600_NS6detail15normal_iteratorINS9_10device_ptrIyEEEENS9_16discard_iteratorINS9_11use_defaultEEEyNS9_4plusIvEEyEEDaPvRmT3_T4_T5_mT6_P12ihipStream_tbENKUlT_T0_E_clISt17integral_constantIbLb0EESX_EEDaSS_ST_EUlSS_E0_NS1_11comp_targetILNS1_3genE4ELNS1_11target_archE910ELNS1_3gpuE8ELNS1_3repE0EEENS1_30default_config_static_selectorELNS0_4arch9wavefront6targetE1EEEvT1_
; %bb.0:
	s_load_dwordx4 s[0:3], s[4:5], 0x0
	v_lshlrev_b32_e32 v21, 3, v0
	s_waitcnt lgkmcnt(0)
	s_load_dwordx2 s[4:5], s[0:1], 0x0
	v_cmp_gt_u32_e32 vcc, s2, v0
	s_waitcnt lgkmcnt(0)
	v_pk_mov_b32 v[2:3], s[4:5], s[4:5] op_sel:[0,1]
	s_and_saveexec_b64 s[6:7], vcc
	s_cbranch_execz .LBB5161_2
; %bb.1:
	global_load_dwordx2 v[2:3], v21, s[0:1]
.LBB5161_2:
	s_or_b64 exec, exec, s[6:7]
	v_or_b32_e32 v1, 0x80, v0
	v_cmp_gt_u32_e32 vcc, s2, v1
	v_pk_mov_b32 v[4:5], s[4:5], s[4:5] op_sel:[0,1]
	s_and_saveexec_b64 s[6:7], vcc
	s_cbranch_execz .LBB5161_4
; %bb.3:
	global_load_dwordx2 v[4:5], v21, s[0:1] offset:1024
.LBB5161_4:
	s_or_b64 exec, exec, s[6:7]
	v_or_b32_e32 v1, 0x100, v0
	v_cmp_gt_u32_e32 vcc, s2, v1
	v_pk_mov_b32 v[6:7], s[4:5], s[4:5] op_sel:[0,1]
	s_and_saveexec_b64 s[6:7], vcc
	s_cbranch_execz .LBB5161_6
; %bb.5:
	global_load_dwordx2 v[6:7], v21, s[0:1] offset:2048
.LBB5161_6:
	;; [unrolled: 9-line block ×3, first 2 shown]
	s_or_b64 exec, exec, s[6:7]
	v_or_b32_e32 v1, 0x200, v0
	v_cmp_gt_u32_e32 vcc, s2, v1
	v_pk_mov_b32 v[10:11], s[4:5], s[4:5] op_sel:[0,1]
	s_and_saveexec_b64 s[6:7], vcc
	s_cbranch_execz .LBB5161_10
; %bb.9:
	v_lshlrev_b32_e32 v1, 3, v1
	global_load_dwordx2 v[10:11], v1, s[0:1]
.LBB5161_10:
	s_or_b64 exec, exec, s[6:7]
	v_or_b32_e32 v1, 0x280, v0
	v_cmp_gt_u32_e32 vcc, s2, v1
	v_pk_mov_b32 v[12:13], s[4:5], s[4:5] op_sel:[0,1]
	s_and_saveexec_b64 s[6:7], vcc
	s_cbranch_execz .LBB5161_12
; %bb.11:
	v_lshlrev_b32_e32 v1, 3, v1
	global_load_dwordx2 v[12:13], v1, s[0:1]
.LBB5161_12:
	;; [unrolled: 10-line block ×3, first 2 shown]
	s_or_b64 exec, exec, s[2:3]
	v_mad_u32_u24 v1, v0, 48, v21
	s_waitcnt vmcnt(0)
	ds_write2st64_b64 v21, v[2:3], v[4:5] offset1:2
	ds_write2st64_b64 v21, v[6:7], v[8:9] offset0:4 offset1:6
	ds_write2st64_b64 v21, v[10:11], v[12:13] offset0:8 offset1:10
	ds_write_b64 v21, v[14:15] offset:6144
	s_waitcnt lgkmcnt(0)
	s_barrier
	ds_read2_b64 v[2:5], v1 offset1:1
	ds_read2_b64 v[6:9], v1 offset0:2 offset1:3
	ds_read2_b64 v[10:13], v1 offset0:4 offset1:5
	ds_read_b64 v[28:29], v1 offset:48
	v_lshrrev_b32_e32 v14, 2, v0
	s_waitcnt lgkmcnt(3)
	v_add_co_u32_e32 v20, vcc, v4, v2
	v_addc_co_u32_e32 v1, vcc, v5, v3, vcc
	s_waitcnt lgkmcnt(2)
	v_add_co_u32_e32 v18, vcc, v20, v6
	v_addc_co_u32_e32 v19, vcc, v1, v7, vcc
	v_add_co_u32_e32 v24, vcc, v18, v8
	v_addc_co_u32_e32 v25, vcc, v19, v9, vcc
	s_waitcnt lgkmcnt(1)
	v_add_co_u32_e32 v22, vcc, v24, v10
	v_addc_co_u32_e32 v23, vcc, v25, v11, vcc
	v_add_co_u32_e32 v26, vcc, v22, v12
	v_addc_co_u32_e32 v27, vcc, v23, v13, vcc
	s_waitcnt lgkmcnt(0)
	v_add_co_u32_e32 v30, vcc, v26, v28
	v_addc_co_u32_e32 v31, vcc, v27, v29, vcc
	v_and_b32_e32 v14, 24, v14
	v_add_u32_e32 v14, v21, v14
	v_cmp_gt_u32_e32 vcc, 64, v0
	s_barrier
	ds_write_b64 v14, v[30:31]
	s_waitcnt lgkmcnt(0)
	s_barrier
	s_and_saveexec_b64 s[2:3], vcc
	s_cbranch_execz .LBB5161_18
; %bb.15:
	v_lshlrev_b32_e32 v14, 1, v0
	v_lshrrev_b32_e32 v15, 4, v0
	v_add_lshl_u32 v32, v15, v14, 3
	ds_read2_b64 v[14:17], v32 offset1:1
	s_waitcnt lgkmcnt(0)
	v_add_co_u32_e32 v34, vcc, v16, v14
	v_addc_co_u32_e32 v35, vcc, v17, v15, vcc
	s_nop 0
	v_mov_b32_dpp v17, v34 row_shr:1 row_mask:0xf bank_mask:0xf
	v_add_co_u32_e32 v17, vcc, v34, v17
	v_mbcnt_lo_u32_b32 v16, -1, 0
	v_addc_co_u32_e32 v37, vcc, 0, v35, vcc
	v_mbcnt_hi_u32_b32 v33, -1, v16
	v_mov_b32_dpp v36, v35 row_shr:1 row_mask:0xf bank_mask:0xf
	v_add_co_u32_e32 v38, vcc, 0, v17
	v_and_b32_e32 v16, 15, v33
	v_addc_co_u32_e32 v36, vcc, v36, v37, vcc
	v_cmp_eq_u32_e32 vcc, 0, v16
	v_cndmask_b32_e32 v17, v17, v34, vcc
	v_cndmask_b32_e32 v36, v36, v35, vcc
	v_cndmask_b32_e32 v37, v38, v34, vcc
	v_mov_b32_dpp v38, v17 row_shr:2 row_mask:0xf bank_mask:0xf
	v_mov_b32_dpp v39, v36 row_shr:2 row_mask:0xf bank_mask:0xf
	v_add_co_u32_e32 v38, vcc, v38, v37
	v_addc_co_u32_e32 v39, vcc, v39, v36, vcc
	v_cmp_lt_u32_e32 vcc, 1, v16
	v_cndmask_b32_e32 v17, v17, v38, vcc
	v_cndmask_b32_e32 v36, v36, v39, vcc
	v_cndmask_b32_e32 v37, v37, v38, vcc
	v_mov_b32_dpp v38, v17 row_shr:4 row_mask:0xf bank_mask:0xf
	v_mov_b32_dpp v39, v36 row_shr:4 row_mask:0xf bank_mask:0xf
	v_add_co_u32_e32 v38, vcc, v38, v37
	v_addc_co_u32_e32 v39, vcc, v39, v36, vcc
	v_cmp_lt_u32_e32 vcc, 3, v16
	;; [unrolled: 8-line block ×3, first 2 shown]
	v_cndmask_b32_e32 v40, v17, v38, vcc
	v_cndmask_b32_e32 v17, v36, v39, vcc
	;; [unrolled: 1-line block ×3, first 2 shown]
	v_mov_b32_dpp v36, v40 row_bcast:15 row_mask:0xf bank_mask:0xf
	v_mov_b32_dpp v37, v17 row_bcast:15 row_mask:0xf bank_mask:0xf
	v_add_co_u32_e32 v36, vcc, v36, v16
	v_and_b32_e32 v39, 16, v33
	v_addc_co_u32_e32 v38, vcc, v37, v17, vcc
	v_cmp_eq_u32_e32 vcc, 0, v39
	v_cndmask_b32_e32 v39, v38, v17, vcc
	v_cndmask_b32_e32 v37, v36, v40, vcc
	v_cmp_ne_u32_e64 s[0:1], 0, v33
	v_mov_b32_dpp v39, v39 row_bcast:31 row_mask:0xf bank_mask:0xf
	v_mov_b32_dpp v37, v37 row_bcast:31 row_mask:0xf bank_mask:0xf
	s_and_saveexec_b64 s[4:5], s[0:1]
; %bb.16:
	v_cndmask_b32_e32 v17, v38, v17, vcc
	v_cndmask_b32_e32 v16, v36, v16, vcc
	v_cmp_lt_u32_e32 vcc, 31, v33
	v_cndmask_b32_e32 v34, 0, v37, vcc
	v_cndmask_b32_e32 v35, 0, v39, vcc
	v_add_co_u32_e32 v34, vcc, v34, v16
	v_addc_co_u32_e32 v35, vcc, v35, v17, vcc
; %bb.17:
	s_or_b64 exec, exec, s[4:5]
	v_add_u32_e32 v16, -1, v33
	v_and_b32_e32 v17, 64, v33
	v_cmp_lt_i32_e32 vcc, v16, v17
	v_cndmask_b32_e32 v16, v16, v33, vcc
	v_lshlrev_b32_e32 v16, 2, v16
	ds_bpermute_b32 v17, v16, v34
	ds_bpermute_b32 v16, v16, v35
	; wave barrier
	s_waitcnt lgkmcnt(1)
	v_add_co_u32_e32 v14, vcc, v14, v17
	v_addc_co_u32_e32 v15, vcc, 0, v15, vcc
	v_add_co_u32_e32 v14, vcc, 0, v14
	s_waitcnt lgkmcnt(0)
	v_addc_co_u32_e32 v15, vcc, v15, v16, vcc
	v_cmp_eq_u32_e32 vcc, 0, v0
	v_cndmask_b32_e32 v15, v15, v31, vcc
	v_cndmask_b32_e32 v14, v14, v30, vcc
	ds_write_b64 v32, v[14:15]
	; wave barrier
	ds_read_b64 v[16:17], v32 offset:8
	s_waitcnt lgkmcnt(0)
	v_add_co_u32_e32 v14, vcc, v16, v14
	v_addc_co_u32_e32 v15, vcc, v17, v15, vcc
	ds_write_b64 v32, v[14:15] offset:8
.LBB5161_18:
	s_or_b64 exec, exec, s[2:3]
	v_mul_u32_u24_e32 v16, 48, v0
	v_cmp_ne_u32_e32 vcc, 0, v0
	v_pk_mov_b32 v[14:15], v[30:31], v[30:31] op_sel:[0,1]
	s_waitcnt lgkmcnt(0)
	s_barrier
	s_and_saveexec_b64 s[0:1], vcc
	s_cbranch_execz .LBB5161_20
; %bb.19:
	v_add_u32_e32 v0, -1, v0
	v_lshrrev_b32_e32 v14, 5, v0
	v_add_lshl_u32 v0, v14, v0, 3
	ds_read_b64 v[14:15], v0
.LBB5161_20:
	s_or_b64 exec, exec, s[0:1]
	s_and_saveexec_b64 s[0:1], vcc
	s_cbranch_execz .LBB5161_22
; %bb.21:
	s_waitcnt lgkmcnt(0)
	v_add_co_u32_e32 v2, vcc, v14, v2
	v_addc_co_u32_e32 v3, vcc, v15, v3, vcc
	v_add_co_u32_e32 v20, vcc, v2, v4
	v_addc_co_u32_e32 v1, vcc, v3, v5, vcc
	;; [unrolled: 2-line block ×7, first 2 shown]
	;;#ASMSTART
	;;#ASMEND
.LBB5161_22:
	s_or_b64 exec, exec, s[0:1]
	v_add_u32_e32 v0, v21, v16
	v_mov_b32_e32 v21, v1
	s_waitcnt lgkmcnt(0)
	s_barrier
	ds_write2_b64 v0, v[2:3], v[20:21] offset1:1
	ds_write2_b64 v0, v[18:19], v[24:25] offset0:2 offset1:3
	ds_write2_b64 v0, v[22:23], v[26:27] offset0:4 offset1:5
	ds_write_b64 v0, v[30:31] offset:48
	s_waitcnt lgkmcnt(0)
	s_barrier
	s_endpgm
	.section	.rodata,"a",@progbits
	.p2align	6, 0x0
	.amdhsa_kernel _ZN7rocprim17ROCPRIM_400000_NS6detail17trampoline_kernelINS0_14default_configENS1_20scan_config_selectorIyEEZZNS1_9scan_implILNS1_25lookback_scan_determinismE0ELb0ELb0ES3_N6thrust23THRUST_200600_302600_NS6detail15normal_iteratorINS9_10device_ptrIyEEEENS9_16discard_iteratorINS9_11use_defaultEEEyNS9_4plusIvEEyEEDaPvRmT3_T4_T5_mT6_P12ihipStream_tbENKUlT_T0_E_clISt17integral_constantIbLb0EESX_EEDaSS_ST_EUlSS_E0_NS1_11comp_targetILNS1_3genE4ELNS1_11target_archE910ELNS1_3gpuE8ELNS1_3repE0EEENS1_30default_config_static_selectorELNS0_4arch9wavefront6targetE1EEEvT1_
		.amdhsa_group_segment_fixed_size 7168
		.amdhsa_private_segment_fixed_size 0
		.amdhsa_kernarg_size 48
		.amdhsa_user_sgpr_count 6
		.amdhsa_user_sgpr_private_segment_buffer 1
		.amdhsa_user_sgpr_dispatch_ptr 0
		.amdhsa_user_sgpr_queue_ptr 0
		.amdhsa_user_sgpr_kernarg_segment_ptr 1
		.amdhsa_user_sgpr_dispatch_id 0
		.amdhsa_user_sgpr_flat_scratch_init 0
		.amdhsa_user_sgpr_kernarg_preload_length 0
		.amdhsa_user_sgpr_kernarg_preload_offset 0
		.amdhsa_user_sgpr_private_segment_size 0
		.amdhsa_uses_dynamic_stack 0
		.amdhsa_system_sgpr_private_segment_wavefront_offset 0
		.amdhsa_system_sgpr_workgroup_id_x 1
		.amdhsa_system_sgpr_workgroup_id_y 0
		.amdhsa_system_sgpr_workgroup_id_z 0
		.amdhsa_system_sgpr_workgroup_info 0
		.amdhsa_system_vgpr_workitem_id 0
		.amdhsa_next_free_vgpr 41
		.amdhsa_next_free_sgpr 8
		.amdhsa_accum_offset 44
		.amdhsa_reserve_vcc 1
		.amdhsa_reserve_flat_scratch 0
		.amdhsa_float_round_mode_32 0
		.amdhsa_float_round_mode_16_64 0
		.amdhsa_float_denorm_mode_32 3
		.amdhsa_float_denorm_mode_16_64 3
		.amdhsa_dx10_clamp 1
		.amdhsa_ieee_mode 1
		.amdhsa_fp16_overflow 0
		.amdhsa_tg_split 0
		.amdhsa_exception_fp_ieee_invalid_op 0
		.amdhsa_exception_fp_denorm_src 0
		.amdhsa_exception_fp_ieee_div_zero 0
		.amdhsa_exception_fp_ieee_overflow 0
		.amdhsa_exception_fp_ieee_underflow 0
		.amdhsa_exception_fp_ieee_inexact 0
		.amdhsa_exception_int_div_zero 0
	.end_amdhsa_kernel
	.section	.text._ZN7rocprim17ROCPRIM_400000_NS6detail17trampoline_kernelINS0_14default_configENS1_20scan_config_selectorIyEEZZNS1_9scan_implILNS1_25lookback_scan_determinismE0ELb0ELb0ES3_N6thrust23THRUST_200600_302600_NS6detail15normal_iteratorINS9_10device_ptrIyEEEENS9_16discard_iteratorINS9_11use_defaultEEEyNS9_4plusIvEEyEEDaPvRmT3_T4_T5_mT6_P12ihipStream_tbENKUlT_T0_E_clISt17integral_constantIbLb0EESX_EEDaSS_ST_EUlSS_E0_NS1_11comp_targetILNS1_3genE4ELNS1_11target_archE910ELNS1_3gpuE8ELNS1_3repE0EEENS1_30default_config_static_selectorELNS0_4arch9wavefront6targetE1EEEvT1_,"axG",@progbits,_ZN7rocprim17ROCPRIM_400000_NS6detail17trampoline_kernelINS0_14default_configENS1_20scan_config_selectorIyEEZZNS1_9scan_implILNS1_25lookback_scan_determinismE0ELb0ELb0ES3_N6thrust23THRUST_200600_302600_NS6detail15normal_iteratorINS9_10device_ptrIyEEEENS9_16discard_iteratorINS9_11use_defaultEEEyNS9_4plusIvEEyEEDaPvRmT3_T4_T5_mT6_P12ihipStream_tbENKUlT_T0_E_clISt17integral_constantIbLb0EESX_EEDaSS_ST_EUlSS_E0_NS1_11comp_targetILNS1_3genE4ELNS1_11target_archE910ELNS1_3gpuE8ELNS1_3repE0EEENS1_30default_config_static_selectorELNS0_4arch9wavefront6targetE1EEEvT1_,comdat
.Lfunc_end5161:
	.size	_ZN7rocprim17ROCPRIM_400000_NS6detail17trampoline_kernelINS0_14default_configENS1_20scan_config_selectorIyEEZZNS1_9scan_implILNS1_25lookback_scan_determinismE0ELb0ELb0ES3_N6thrust23THRUST_200600_302600_NS6detail15normal_iteratorINS9_10device_ptrIyEEEENS9_16discard_iteratorINS9_11use_defaultEEEyNS9_4plusIvEEyEEDaPvRmT3_T4_T5_mT6_P12ihipStream_tbENKUlT_T0_E_clISt17integral_constantIbLb0EESX_EEDaSS_ST_EUlSS_E0_NS1_11comp_targetILNS1_3genE4ELNS1_11target_archE910ELNS1_3gpuE8ELNS1_3repE0EEENS1_30default_config_static_selectorELNS0_4arch9wavefront6targetE1EEEvT1_, .Lfunc_end5161-_ZN7rocprim17ROCPRIM_400000_NS6detail17trampoline_kernelINS0_14default_configENS1_20scan_config_selectorIyEEZZNS1_9scan_implILNS1_25lookback_scan_determinismE0ELb0ELb0ES3_N6thrust23THRUST_200600_302600_NS6detail15normal_iteratorINS9_10device_ptrIyEEEENS9_16discard_iteratorINS9_11use_defaultEEEyNS9_4plusIvEEyEEDaPvRmT3_T4_T5_mT6_P12ihipStream_tbENKUlT_T0_E_clISt17integral_constantIbLb0EESX_EEDaSS_ST_EUlSS_E0_NS1_11comp_targetILNS1_3genE4ELNS1_11target_archE910ELNS1_3gpuE8ELNS1_3repE0EEENS1_30default_config_static_selectorELNS0_4arch9wavefront6targetE1EEEvT1_
                                        ; -- End function
	.section	.AMDGPU.csdata,"",@progbits
; Kernel info:
; codeLenInByte = 1136
; NumSgprs: 12
; NumVgprs: 41
; NumAgprs: 0
; TotalNumVgprs: 41
; ScratchSize: 0
; MemoryBound: 0
; FloatMode: 240
; IeeeMode: 1
; LDSByteSize: 7168 bytes/workgroup (compile time only)
; SGPRBlocks: 1
; VGPRBlocks: 5
; NumSGPRsForWavesPerEU: 12
; NumVGPRsForWavesPerEU: 41
; AccumOffset: 44
; Occupancy: 5
; WaveLimiterHint : 0
; COMPUTE_PGM_RSRC2:SCRATCH_EN: 0
; COMPUTE_PGM_RSRC2:USER_SGPR: 6
; COMPUTE_PGM_RSRC2:TRAP_HANDLER: 0
; COMPUTE_PGM_RSRC2:TGID_X_EN: 1
; COMPUTE_PGM_RSRC2:TGID_Y_EN: 0
; COMPUTE_PGM_RSRC2:TGID_Z_EN: 0
; COMPUTE_PGM_RSRC2:TIDIG_COMP_CNT: 0
; COMPUTE_PGM_RSRC3_GFX90A:ACCUM_OFFSET: 10
; COMPUTE_PGM_RSRC3_GFX90A:TG_SPLIT: 0
	.section	.text._ZN7rocprim17ROCPRIM_400000_NS6detail17trampoline_kernelINS0_14default_configENS1_20scan_config_selectorIyEEZZNS1_9scan_implILNS1_25lookback_scan_determinismE0ELb0ELb0ES3_N6thrust23THRUST_200600_302600_NS6detail15normal_iteratorINS9_10device_ptrIyEEEENS9_16discard_iteratorINS9_11use_defaultEEEyNS9_4plusIvEEyEEDaPvRmT3_T4_T5_mT6_P12ihipStream_tbENKUlT_T0_E_clISt17integral_constantIbLb0EESX_EEDaSS_ST_EUlSS_E0_NS1_11comp_targetILNS1_3genE3ELNS1_11target_archE908ELNS1_3gpuE7ELNS1_3repE0EEENS1_30default_config_static_selectorELNS0_4arch9wavefront6targetE1EEEvT1_,"axG",@progbits,_ZN7rocprim17ROCPRIM_400000_NS6detail17trampoline_kernelINS0_14default_configENS1_20scan_config_selectorIyEEZZNS1_9scan_implILNS1_25lookback_scan_determinismE0ELb0ELb0ES3_N6thrust23THRUST_200600_302600_NS6detail15normal_iteratorINS9_10device_ptrIyEEEENS9_16discard_iteratorINS9_11use_defaultEEEyNS9_4plusIvEEyEEDaPvRmT3_T4_T5_mT6_P12ihipStream_tbENKUlT_T0_E_clISt17integral_constantIbLb0EESX_EEDaSS_ST_EUlSS_E0_NS1_11comp_targetILNS1_3genE3ELNS1_11target_archE908ELNS1_3gpuE7ELNS1_3repE0EEENS1_30default_config_static_selectorELNS0_4arch9wavefront6targetE1EEEvT1_,comdat
	.protected	_ZN7rocprim17ROCPRIM_400000_NS6detail17trampoline_kernelINS0_14default_configENS1_20scan_config_selectorIyEEZZNS1_9scan_implILNS1_25lookback_scan_determinismE0ELb0ELb0ES3_N6thrust23THRUST_200600_302600_NS6detail15normal_iteratorINS9_10device_ptrIyEEEENS9_16discard_iteratorINS9_11use_defaultEEEyNS9_4plusIvEEyEEDaPvRmT3_T4_T5_mT6_P12ihipStream_tbENKUlT_T0_E_clISt17integral_constantIbLb0EESX_EEDaSS_ST_EUlSS_E0_NS1_11comp_targetILNS1_3genE3ELNS1_11target_archE908ELNS1_3gpuE7ELNS1_3repE0EEENS1_30default_config_static_selectorELNS0_4arch9wavefront6targetE1EEEvT1_ ; -- Begin function _ZN7rocprim17ROCPRIM_400000_NS6detail17trampoline_kernelINS0_14default_configENS1_20scan_config_selectorIyEEZZNS1_9scan_implILNS1_25lookback_scan_determinismE0ELb0ELb0ES3_N6thrust23THRUST_200600_302600_NS6detail15normal_iteratorINS9_10device_ptrIyEEEENS9_16discard_iteratorINS9_11use_defaultEEEyNS9_4plusIvEEyEEDaPvRmT3_T4_T5_mT6_P12ihipStream_tbENKUlT_T0_E_clISt17integral_constantIbLb0EESX_EEDaSS_ST_EUlSS_E0_NS1_11comp_targetILNS1_3genE3ELNS1_11target_archE908ELNS1_3gpuE7ELNS1_3repE0EEENS1_30default_config_static_selectorELNS0_4arch9wavefront6targetE1EEEvT1_
	.globl	_ZN7rocprim17ROCPRIM_400000_NS6detail17trampoline_kernelINS0_14default_configENS1_20scan_config_selectorIyEEZZNS1_9scan_implILNS1_25lookback_scan_determinismE0ELb0ELb0ES3_N6thrust23THRUST_200600_302600_NS6detail15normal_iteratorINS9_10device_ptrIyEEEENS9_16discard_iteratorINS9_11use_defaultEEEyNS9_4plusIvEEyEEDaPvRmT3_T4_T5_mT6_P12ihipStream_tbENKUlT_T0_E_clISt17integral_constantIbLb0EESX_EEDaSS_ST_EUlSS_E0_NS1_11comp_targetILNS1_3genE3ELNS1_11target_archE908ELNS1_3gpuE7ELNS1_3repE0EEENS1_30default_config_static_selectorELNS0_4arch9wavefront6targetE1EEEvT1_
	.p2align	8
	.type	_ZN7rocprim17ROCPRIM_400000_NS6detail17trampoline_kernelINS0_14default_configENS1_20scan_config_selectorIyEEZZNS1_9scan_implILNS1_25lookback_scan_determinismE0ELb0ELb0ES3_N6thrust23THRUST_200600_302600_NS6detail15normal_iteratorINS9_10device_ptrIyEEEENS9_16discard_iteratorINS9_11use_defaultEEEyNS9_4plusIvEEyEEDaPvRmT3_T4_T5_mT6_P12ihipStream_tbENKUlT_T0_E_clISt17integral_constantIbLb0EESX_EEDaSS_ST_EUlSS_E0_NS1_11comp_targetILNS1_3genE3ELNS1_11target_archE908ELNS1_3gpuE7ELNS1_3repE0EEENS1_30default_config_static_selectorELNS0_4arch9wavefront6targetE1EEEvT1_,@function
_ZN7rocprim17ROCPRIM_400000_NS6detail17trampoline_kernelINS0_14default_configENS1_20scan_config_selectorIyEEZZNS1_9scan_implILNS1_25lookback_scan_determinismE0ELb0ELb0ES3_N6thrust23THRUST_200600_302600_NS6detail15normal_iteratorINS9_10device_ptrIyEEEENS9_16discard_iteratorINS9_11use_defaultEEEyNS9_4plusIvEEyEEDaPvRmT3_T4_T5_mT6_P12ihipStream_tbENKUlT_T0_E_clISt17integral_constantIbLb0EESX_EEDaSS_ST_EUlSS_E0_NS1_11comp_targetILNS1_3genE3ELNS1_11target_archE908ELNS1_3gpuE7ELNS1_3repE0EEENS1_30default_config_static_selectorELNS0_4arch9wavefront6targetE1EEEvT1_: ; @_ZN7rocprim17ROCPRIM_400000_NS6detail17trampoline_kernelINS0_14default_configENS1_20scan_config_selectorIyEEZZNS1_9scan_implILNS1_25lookback_scan_determinismE0ELb0ELb0ES3_N6thrust23THRUST_200600_302600_NS6detail15normal_iteratorINS9_10device_ptrIyEEEENS9_16discard_iteratorINS9_11use_defaultEEEyNS9_4plusIvEEyEEDaPvRmT3_T4_T5_mT6_P12ihipStream_tbENKUlT_T0_E_clISt17integral_constantIbLb0EESX_EEDaSS_ST_EUlSS_E0_NS1_11comp_targetILNS1_3genE3ELNS1_11target_archE908ELNS1_3gpuE7ELNS1_3repE0EEENS1_30default_config_static_selectorELNS0_4arch9wavefront6targetE1EEEvT1_
; %bb.0:
	.section	.rodata,"a",@progbits
	.p2align	6, 0x0
	.amdhsa_kernel _ZN7rocprim17ROCPRIM_400000_NS6detail17trampoline_kernelINS0_14default_configENS1_20scan_config_selectorIyEEZZNS1_9scan_implILNS1_25lookback_scan_determinismE0ELb0ELb0ES3_N6thrust23THRUST_200600_302600_NS6detail15normal_iteratorINS9_10device_ptrIyEEEENS9_16discard_iteratorINS9_11use_defaultEEEyNS9_4plusIvEEyEEDaPvRmT3_T4_T5_mT6_P12ihipStream_tbENKUlT_T0_E_clISt17integral_constantIbLb0EESX_EEDaSS_ST_EUlSS_E0_NS1_11comp_targetILNS1_3genE3ELNS1_11target_archE908ELNS1_3gpuE7ELNS1_3repE0EEENS1_30default_config_static_selectorELNS0_4arch9wavefront6targetE1EEEvT1_
		.amdhsa_group_segment_fixed_size 0
		.amdhsa_private_segment_fixed_size 0
		.amdhsa_kernarg_size 48
		.amdhsa_user_sgpr_count 6
		.amdhsa_user_sgpr_private_segment_buffer 1
		.amdhsa_user_sgpr_dispatch_ptr 0
		.amdhsa_user_sgpr_queue_ptr 0
		.amdhsa_user_sgpr_kernarg_segment_ptr 1
		.amdhsa_user_sgpr_dispatch_id 0
		.amdhsa_user_sgpr_flat_scratch_init 0
		.amdhsa_user_sgpr_kernarg_preload_length 0
		.amdhsa_user_sgpr_kernarg_preload_offset 0
		.amdhsa_user_sgpr_private_segment_size 0
		.amdhsa_uses_dynamic_stack 0
		.amdhsa_system_sgpr_private_segment_wavefront_offset 0
		.amdhsa_system_sgpr_workgroup_id_x 1
		.amdhsa_system_sgpr_workgroup_id_y 0
		.amdhsa_system_sgpr_workgroup_id_z 0
		.amdhsa_system_sgpr_workgroup_info 0
		.amdhsa_system_vgpr_workitem_id 0
		.amdhsa_next_free_vgpr 1
		.amdhsa_next_free_sgpr 0
		.amdhsa_accum_offset 4
		.amdhsa_reserve_vcc 0
		.amdhsa_reserve_flat_scratch 0
		.amdhsa_float_round_mode_32 0
		.amdhsa_float_round_mode_16_64 0
		.amdhsa_float_denorm_mode_32 3
		.amdhsa_float_denorm_mode_16_64 3
		.amdhsa_dx10_clamp 1
		.amdhsa_ieee_mode 1
		.amdhsa_fp16_overflow 0
		.amdhsa_tg_split 0
		.amdhsa_exception_fp_ieee_invalid_op 0
		.amdhsa_exception_fp_denorm_src 0
		.amdhsa_exception_fp_ieee_div_zero 0
		.amdhsa_exception_fp_ieee_overflow 0
		.amdhsa_exception_fp_ieee_underflow 0
		.amdhsa_exception_fp_ieee_inexact 0
		.amdhsa_exception_int_div_zero 0
	.end_amdhsa_kernel
	.section	.text._ZN7rocprim17ROCPRIM_400000_NS6detail17trampoline_kernelINS0_14default_configENS1_20scan_config_selectorIyEEZZNS1_9scan_implILNS1_25lookback_scan_determinismE0ELb0ELb0ES3_N6thrust23THRUST_200600_302600_NS6detail15normal_iteratorINS9_10device_ptrIyEEEENS9_16discard_iteratorINS9_11use_defaultEEEyNS9_4plusIvEEyEEDaPvRmT3_T4_T5_mT6_P12ihipStream_tbENKUlT_T0_E_clISt17integral_constantIbLb0EESX_EEDaSS_ST_EUlSS_E0_NS1_11comp_targetILNS1_3genE3ELNS1_11target_archE908ELNS1_3gpuE7ELNS1_3repE0EEENS1_30default_config_static_selectorELNS0_4arch9wavefront6targetE1EEEvT1_,"axG",@progbits,_ZN7rocprim17ROCPRIM_400000_NS6detail17trampoline_kernelINS0_14default_configENS1_20scan_config_selectorIyEEZZNS1_9scan_implILNS1_25lookback_scan_determinismE0ELb0ELb0ES3_N6thrust23THRUST_200600_302600_NS6detail15normal_iteratorINS9_10device_ptrIyEEEENS9_16discard_iteratorINS9_11use_defaultEEEyNS9_4plusIvEEyEEDaPvRmT3_T4_T5_mT6_P12ihipStream_tbENKUlT_T0_E_clISt17integral_constantIbLb0EESX_EEDaSS_ST_EUlSS_E0_NS1_11comp_targetILNS1_3genE3ELNS1_11target_archE908ELNS1_3gpuE7ELNS1_3repE0EEENS1_30default_config_static_selectorELNS0_4arch9wavefront6targetE1EEEvT1_,comdat
.Lfunc_end5162:
	.size	_ZN7rocprim17ROCPRIM_400000_NS6detail17trampoline_kernelINS0_14default_configENS1_20scan_config_selectorIyEEZZNS1_9scan_implILNS1_25lookback_scan_determinismE0ELb0ELb0ES3_N6thrust23THRUST_200600_302600_NS6detail15normal_iteratorINS9_10device_ptrIyEEEENS9_16discard_iteratorINS9_11use_defaultEEEyNS9_4plusIvEEyEEDaPvRmT3_T4_T5_mT6_P12ihipStream_tbENKUlT_T0_E_clISt17integral_constantIbLb0EESX_EEDaSS_ST_EUlSS_E0_NS1_11comp_targetILNS1_3genE3ELNS1_11target_archE908ELNS1_3gpuE7ELNS1_3repE0EEENS1_30default_config_static_selectorELNS0_4arch9wavefront6targetE1EEEvT1_, .Lfunc_end5162-_ZN7rocprim17ROCPRIM_400000_NS6detail17trampoline_kernelINS0_14default_configENS1_20scan_config_selectorIyEEZZNS1_9scan_implILNS1_25lookback_scan_determinismE0ELb0ELb0ES3_N6thrust23THRUST_200600_302600_NS6detail15normal_iteratorINS9_10device_ptrIyEEEENS9_16discard_iteratorINS9_11use_defaultEEEyNS9_4plusIvEEyEEDaPvRmT3_T4_T5_mT6_P12ihipStream_tbENKUlT_T0_E_clISt17integral_constantIbLb0EESX_EEDaSS_ST_EUlSS_E0_NS1_11comp_targetILNS1_3genE3ELNS1_11target_archE908ELNS1_3gpuE7ELNS1_3repE0EEENS1_30default_config_static_selectorELNS0_4arch9wavefront6targetE1EEEvT1_
                                        ; -- End function
	.section	.AMDGPU.csdata,"",@progbits
; Kernel info:
; codeLenInByte = 0
; NumSgprs: 4
; NumVgprs: 0
; NumAgprs: 0
; TotalNumVgprs: 0
; ScratchSize: 0
; MemoryBound: 0
; FloatMode: 240
; IeeeMode: 1
; LDSByteSize: 0 bytes/workgroup (compile time only)
; SGPRBlocks: 0
; VGPRBlocks: 0
; NumSGPRsForWavesPerEU: 4
; NumVGPRsForWavesPerEU: 1
; AccumOffset: 4
; Occupancy: 8
; WaveLimiterHint : 0
; COMPUTE_PGM_RSRC2:SCRATCH_EN: 0
; COMPUTE_PGM_RSRC2:USER_SGPR: 6
; COMPUTE_PGM_RSRC2:TRAP_HANDLER: 0
; COMPUTE_PGM_RSRC2:TGID_X_EN: 1
; COMPUTE_PGM_RSRC2:TGID_Y_EN: 0
; COMPUTE_PGM_RSRC2:TGID_Z_EN: 0
; COMPUTE_PGM_RSRC2:TIDIG_COMP_CNT: 0
; COMPUTE_PGM_RSRC3_GFX90A:ACCUM_OFFSET: 0
; COMPUTE_PGM_RSRC3_GFX90A:TG_SPLIT: 0
	.section	.text._ZN7rocprim17ROCPRIM_400000_NS6detail17trampoline_kernelINS0_14default_configENS1_20scan_config_selectorIyEEZZNS1_9scan_implILNS1_25lookback_scan_determinismE0ELb0ELb0ES3_N6thrust23THRUST_200600_302600_NS6detail15normal_iteratorINS9_10device_ptrIyEEEENS9_16discard_iteratorINS9_11use_defaultEEEyNS9_4plusIvEEyEEDaPvRmT3_T4_T5_mT6_P12ihipStream_tbENKUlT_T0_E_clISt17integral_constantIbLb0EESX_EEDaSS_ST_EUlSS_E0_NS1_11comp_targetILNS1_3genE2ELNS1_11target_archE906ELNS1_3gpuE6ELNS1_3repE0EEENS1_30default_config_static_selectorELNS0_4arch9wavefront6targetE1EEEvT1_,"axG",@progbits,_ZN7rocprim17ROCPRIM_400000_NS6detail17trampoline_kernelINS0_14default_configENS1_20scan_config_selectorIyEEZZNS1_9scan_implILNS1_25lookback_scan_determinismE0ELb0ELb0ES3_N6thrust23THRUST_200600_302600_NS6detail15normal_iteratorINS9_10device_ptrIyEEEENS9_16discard_iteratorINS9_11use_defaultEEEyNS9_4plusIvEEyEEDaPvRmT3_T4_T5_mT6_P12ihipStream_tbENKUlT_T0_E_clISt17integral_constantIbLb0EESX_EEDaSS_ST_EUlSS_E0_NS1_11comp_targetILNS1_3genE2ELNS1_11target_archE906ELNS1_3gpuE6ELNS1_3repE0EEENS1_30default_config_static_selectorELNS0_4arch9wavefront6targetE1EEEvT1_,comdat
	.protected	_ZN7rocprim17ROCPRIM_400000_NS6detail17trampoline_kernelINS0_14default_configENS1_20scan_config_selectorIyEEZZNS1_9scan_implILNS1_25lookback_scan_determinismE0ELb0ELb0ES3_N6thrust23THRUST_200600_302600_NS6detail15normal_iteratorINS9_10device_ptrIyEEEENS9_16discard_iteratorINS9_11use_defaultEEEyNS9_4plusIvEEyEEDaPvRmT3_T4_T5_mT6_P12ihipStream_tbENKUlT_T0_E_clISt17integral_constantIbLb0EESX_EEDaSS_ST_EUlSS_E0_NS1_11comp_targetILNS1_3genE2ELNS1_11target_archE906ELNS1_3gpuE6ELNS1_3repE0EEENS1_30default_config_static_selectorELNS0_4arch9wavefront6targetE1EEEvT1_ ; -- Begin function _ZN7rocprim17ROCPRIM_400000_NS6detail17trampoline_kernelINS0_14default_configENS1_20scan_config_selectorIyEEZZNS1_9scan_implILNS1_25lookback_scan_determinismE0ELb0ELb0ES3_N6thrust23THRUST_200600_302600_NS6detail15normal_iteratorINS9_10device_ptrIyEEEENS9_16discard_iteratorINS9_11use_defaultEEEyNS9_4plusIvEEyEEDaPvRmT3_T4_T5_mT6_P12ihipStream_tbENKUlT_T0_E_clISt17integral_constantIbLb0EESX_EEDaSS_ST_EUlSS_E0_NS1_11comp_targetILNS1_3genE2ELNS1_11target_archE906ELNS1_3gpuE6ELNS1_3repE0EEENS1_30default_config_static_selectorELNS0_4arch9wavefront6targetE1EEEvT1_
	.globl	_ZN7rocprim17ROCPRIM_400000_NS6detail17trampoline_kernelINS0_14default_configENS1_20scan_config_selectorIyEEZZNS1_9scan_implILNS1_25lookback_scan_determinismE0ELb0ELb0ES3_N6thrust23THRUST_200600_302600_NS6detail15normal_iteratorINS9_10device_ptrIyEEEENS9_16discard_iteratorINS9_11use_defaultEEEyNS9_4plusIvEEyEEDaPvRmT3_T4_T5_mT6_P12ihipStream_tbENKUlT_T0_E_clISt17integral_constantIbLb0EESX_EEDaSS_ST_EUlSS_E0_NS1_11comp_targetILNS1_3genE2ELNS1_11target_archE906ELNS1_3gpuE6ELNS1_3repE0EEENS1_30default_config_static_selectorELNS0_4arch9wavefront6targetE1EEEvT1_
	.p2align	8
	.type	_ZN7rocprim17ROCPRIM_400000_NS6detail17trampoline_kernelINS0_14default_configENS1_20scan_config_selectorIyEEZZNS1_9scan_implILNS1_25lookback_scan_determinismE0ELb0ELb0ES3_N6thrust23THRUST_200600_302600_NS6detail15normal_iteratorINS9_10device_ptrIyEEEENS9_16discard_iteratorINS9_11use_defaultEEEyNS9_4plusIvEEyEEDaPvRmT3_T4_T5_mT6_P12ihipStream_tbENKUlT_T0_E_clISt17integral_constantIbLb0EESX_EEDaSS_ST_EUlSS_E0_NS1_11comp_targetILNS1_3genE2ELNS1_11target_archE906ELNS1_3gpuE6ELNS1_3repE0EEENS1_30default_config_static_selectorELNS0_4arch9wavefront6targetE1EEEvT1_,@function
_ZN7rocprim17ROCPRIM_400000_NS6detail17trampoline_kernelINS0_14default_configENS1_20scan_config_selectorIyEEZZNS1_9scan_implILNS1_25lookback_scan_determinismE0ELb0ELb0ES3_N6thrust23THRUST_200600_302600_NS6detail15normal_iteratorINS9_10device_ptrIyEEEENS9_16discard_iteratorINS9_11use_defaultEEEyNS9_4plusIvEEyEEDaPvRmT3_T4_T5_mT6_P12ihipStream_tbENKUlT_T0_E_clISt17integral_constantIbLb0EESX_EEDaSS_ST_EUlSS_E0_NS1_11comp_targetILNS1_3genE2ELNS1_11target_archE906ELNS1_3gpuE6ELNS1_3repE0EEENS1_30default_config_static_selectorELNS0_4arch9wavefront6targetE1EEEvT1_: ; @_ZN7rocprim17ROCPRIM_400000_NS6detail17trampoline_kernelINS0_14default_configENS1_20scan_config_selectorIyEEZZNS1_9scan_implILNS1_25lookback_scan_determinismE0ELb0ELb0ES3_N6thrust23THRUST_200600_302600_NS6detail15normal_iteratorINS9_10device_ptrIyEEEENS9_16discard_iteratorINS9_11use_defaultEEEyNS9_4plusIvEEyEEDaPvRmT3_T4_T5_mT6_P12ihipStream_tbENKUlT_T0_E_clISt17integral_constantIbLb0EESX_EEDaSS_ST_EUlSS_E0_NS1_11comp_targetILNS1_3genE2ELNS1_11target_archE906ELNS1_3gpuE6ELNS1_3repE0EEENS1_30default_config_static_selectorELNS0_4arch9wavefront6targetE1EEEvT1_
; %bb.0:
	.section	.rodata,"a",@progbits
	.p2align	6, 0x0
	.amdhsa_kernel _ZN7rocprim17ROCPRIM_400000_NS6detail17trampoline_kernelINS0_14default_configENS1_20scan_config_selectorIyEEZZNS1_9scan_implILNS1_25lookback_scan_determinismE0ELb0ELb0ES3_N6thrust23THRUST_200600_302600_NS6detail15normal_iteratorINS9_10device_ptrIyEEEENS9_16discard_iteratorINS9_11use_defaultEEEyNS9_4plusIvEEyEEDaPvRmT3_T4_T5_mT6_P12ihipStream_tbENKUlT_T0_E_clISt17integral_constantIbLb0EESX_EEDaSS_ST_EUlSS_E0_NS1_11comp_targetILNS1_3genE2ELNS1_11target_archE906ELNS1_3gpuE6ELNS1_3repE0EEENS1_30default_config_static_selectorELNS0_4arch9wavefront6targetE1EEEvT1_
		.amdhsa_group_segment_fixed_size 0
		.amdhsa_private_segment_fixed_size 0
		.amdhsa_kernarg_size 48
		.amdhsa_user_sgpr_count 6
		.amdhsa_user_sgpr_private_segment_buffer 1
		.amdhsa_user_sgpr_dispatch_ptr 0
		.amdhsa_user_sgpr_queue_ptr 0
		.amdhsa_user_sgpr_kernarg_segment_ptr 1
		.amdhsa_user_sgpr_dispatch_id 0
		.amdhsa_user_sgpr_flat_scratch_init 0
		.amdhsa_user_sgpr_kernarg_preload_length 0
		.amdhsa_user_sgpr_kernarg_preload_offset 0
		.amdhsa_user_sgpr_private_segment_size 0
		.amdhsa_uses_dynamic_stack 0
		.amdhsa_system_sgpr_private_segment_wavefront_offset 0
		.amdhsa_system_sgpr_workgroup_id_x 1
		.amdhsa_system_sgpr_workgroup_id_y 0
		.amdhsa_system_sgpr_workgroup_id_z 0
		.amdhsa_system_sgpr_workgroup_info 0
		.amdhsa_system_vgpr_workitem_id 0
		.amdhsa_next_free_vgpr 1
		.amdhsa_next_free_sgpr 0
		.amdhsa_accum_offset 4
		.amdhsa_reserve_vcc 0
		.amdhsa_reserve_flat_scratch 0
		.amdhsa_float_round_mode_32 0
		.amdhsa_float_round_mode_16_64 0
		.amdhsa_float_denorm_mode_32 3
		.amdhsa_float_denorm_mode_16_64 3
		.amdhsa_dx10_clamp 1
		.amdhsa_ieee_mode 1
		.amdhsa_fp16_overflow 0
		.amdhsa_tg_split 0
		.amdhsa_exception_fp_ieee_invalid_op 0
		.amdhsa_exception_fp_denorm_src 0
		.amdhsa_exception_fp_ieee_div_zero 0
		.amdhsa_exception_fp_ieee_overflow 0
		.amdhsa_exception_fp_ieee_underflow 0
		.amdhsa_exception_fp_ieee_inexact 0
		.amdhsa_exception_int_div_zero 0
	.end_amdhsa_kernel
	.section	.text._ZN7rocprim17ROCPRIM_400000_NS6detail17trampoline_kernelINS0_14default_configENS1_20scan_config_selectorIyEEZZNS1_9scan_implILNS1_25lookback_scan_determinismE0ELb0ELb0ES3_N6thrust23THRUST_200600_302600_NS6detail15normal_iteratorINS9_10device_ptrIyEEEENS9_16discard_iteratorINS9_11use_defaultEEEyNS9_4plusIvEEyEEDaPvRmT3_T4_T5_mT6_P12ihipStream_tbENKUlT_T0_E_clISt17integral_constantIbLb0EESX_EEDaSS_ST_EUlSS_E0_NS1_11comp_targetILNS1_3genE2ELNS1_11target_archE906ELNS1_3gpuE6ELNS1_3repE0EEENS1_30default_config_static_selectorELNS0_4arch9wavefront6targetE1EEEvT1_,"axG",@progbits,_ZN7rocprim17ROCPRIM_400000_NS6detail17trampoline_kernelINS0_14default_configENS1_20scan_config_selectorIyEEZZNS1_9scan_implILNS1_25lookback_scan_determinismE0ELb0ELb0ES3_N6thrust23THRUST_200600_302600_NS6detail15normal_iteratorINS9_10device_ptrIyEEEENS9_16discard_iteratorINS9_11use_defaultEEEyNS9_4plusIvEEyEEDaPvRmT3_T4_T5_mT6_P12ihipStream_tbENKUlT_T0_E_clISt17integral_constantIbLb0EESX_EEDaSS_ST_EUlSS_E0_NS1_11comp_targetILNS1_3genE2ELNS1_11target_archE906ELNS1_3gpuE6ELNS1_3repE0EEENS1_30default_config_static_selectorELNS0_4arch9wavefront6targetE1EEEvT1_,comdat
.Lfunc_end5163:
	.size	_ZN7rocprim17ROCPRIM_400000_NS6detail17trampoline_kernelINS0_14default_configENS1_20scan_config_selectorIyEEZZNS1_9scan_implILNS1_25lookback_scan_determinismE0ELb0ELb0ES3_N6thrust23THRUST_200600_302600_NS6detail15normal_iteratorINS9_10device_ptrIyEEEENS9_16discard_iteratorINS9_11use_defaultEEEyNS9_4plusIvEEyEEDaPvRmT3_T4_T5_mT6_P12ihipStream_tbENKUlT_T0_E_clISt17integral_constantIbLb0EESX_EEDaSS_ST_EUlSS_E0_NS1_11comp_targetILNS1_3genE2ELNS1_11target_archE906ELNS1_3gpuE6ELNS1_3repE0EEENS1_30default_config_static_selectorELNS0_4arch9wavefront6targetE1EEEvT1_, .Lfunc_end5163-_ZN7rocprim17ROCPRIM_400000_NS6detail17trampoline_kernelINS0_14default_configENS1_20scan_config_selectorIyEEZZNS1_9scan_implILNS1_25lookback_scan_determinismE0ELb0ELb0ES3_N6thrust23THRUST_200600_302600_NS6detail15normal_iteratorINS9_10device_ptrIyEEEENS9_16discard_iteratorINS9_11use_defaultEEEyNS9_4plusIvEEyEEDaPvRmT3_T4_T5_mT6_P12ihipStream_tbENKUlT_T0_E_clISt17integral_constantIbLb0EESX_EEDaSS_ST_EUlSS_E0_NS1_11comp_targetILNS1_3genE2ELNS1_11target_archE906ELNS1_3gpuE6ELNS1_3repE0EEENS1_30default_config_static_selectorELNS0_4arch9wavefront6targetE1EEEvT1_
                                        ; -- End function
	.section	.AMDGPU.csdata,"",@progbits
; Kernel info:
; codeLenInByte = 0
; NumSgprs: 4
; NumVgprs: 0
; NumAgprs: 0
; TotalNumVgprs: 0
; ScratchSize: 0
; MemoryBound: 0
; FloatMode: 240
; IeeeMode: 1
; LDSByteSize: 0 bytes/workgroup (compile time only)
; SGPRBlocks: 0
; VGPRBlocks: 0
; NumSGPRsForWavesPerEU: 4
; NumVGPRsForWavesPerEU: 1
; AccumOffset: 4
; Occupancy: 8
; WaveLimiterHint : 0
; COMPUTE_PGM_RSRC2:SCRATCH_EN: 0
; COMPUTE_PGM_RSRC2:USER_SGPR: 6
; COMPUTE_PGM_RSRC2:TRAP_HANDLER: 0
; COMPUTE_PGM_RSRC2:TGID_X_EN: 1
; COMPUTE_PGM_RSRC2:TGID_Y_EN: 0
; COMPUTE_PGM_RSRC2:TGID_Z_EN: 0
; COMPUTE_PGM_RSRC2:TIDIG_COMP_CNT: 0
; COMPUTE_PGM_RSRC3_GFX90A:ACCUM_OFFSET: 0
; COMPUTE_PGM_RSRC3_GFX90A:TG_SPLIT: 0
	.section	.text._ZN7rocprim17ROCPRIM_400000_NS6detail17trampoline_kernelINS0_14default_configENS1_20scan_config_selectorIyEEZZNS1_9scan_implILNS1_25lookback_scan_determinismE0ELb0ELb0ES3_N6thrust23THRUST_200600_302600_NS6detail15normal_iteratorINS9_10device_ptrIyEEEENS9_16discard_iteratorINS9_11use_defaultEEEyNS9_4plusIvEEyEEDaPvRmT3_T4_T5_mT6_P12ihipStream_tbENKUlT_T0_E_clISt17integral_constantIbLb0EESX_EEDaSS_ST_EUlSS_E0_NS1_11comp_targetILNS1_3genE10ELNS1_11target_archE1201ELNS1_3gpuE5ELNS1_3repE0EEENS1_30default_config_static_selectorELNS0_4arch9wavefront6targetE1EEEvT1_,"axG",@progbits,_ZN7rocprim17ROCPRIM_400000_NS6detail17trampoline_kernelINS0_14default_configENS1_20scan_config_selectorIyEEZZNS1_9scan_implILNS1_25lookback_scan_determinismE0ELb0ELb0ES3_N6thrust23THRUST_200600_302600_NS6detail15normal_iteratorINS9_10device_ptrIyEEEENS9_16discard_iteratorINS9_11use_defaultEEEyNS9_4plusIvEEyEEDaPvRmT3_T4_T5_mT6_P12ihipStream_tbENKUlT_T0_E_clISt17integral_constantIbLb0EESX_EEDaSS_ST_EUlSS_E0_NS1_11comp_targetILNS1_3genE10ELNS1_11target_archE1201ELNS1_3gpuE5ELNS1_3repE0EEENS1_30default_config_static_selectorELNS0_4arch9wavefront6targetE1EEEvT1_,comdat
	.protected	_ZN7rocprim17ROCPRIM_400000_NS6detail17trampoline_kernelINS0_14default_configENS1_20scan_config_selectorIyEEZZNS1_9scan_implILNS1_25lookback_scan_determinismE0ELb0ELb0ES3_N6thrust23THRUST_200600_302600_NS6detail15normal_iteratorINS9_10device_ptrIyEEEENS9_16discard_iteratorINS9_11use_defaultEEEyNS9_4plusIvEEyEEDaPvRmT3_T4_T5_mT6_P12ihipStream_tbENKUlT_T0_E_clISt17integral_constantIbLb0EESX_EEDaSS_ST_EUlSS_E0_NS1_11comp_targetILNS1_3genE10ELNS1_11target_archE1201ELNS1_3gpuE5ELNS1_3repE0EEENS1_30default_config_static_selectorELNS0_4arch9wavefront6targetE1EEEvT1_ ; -- Begin function _ZN7rocprim17ROCPRIM_400000_NS6detail17trampoline_kernelINS0_14default_configENS1_20scan_config_selectorIyEEZZNS1_9scan_implILNS1_25lookback_scan_determinismE0ELb0ELb0ES3_N6thrust23THRUST_200600_302600_NS6detail15normal_iteratorINS9_10device_ptrIyEEEENS9_16discard_iteratorINS9_11use_defaultEEEyNS9_4plusIvEEyEEDaPvRmT3_T4_T5_mT6_P12ihipStream_tbENKUlT_T0_E_clISt17integral_constantIbLb0EESX_EEDaSS_ST_EUlSS_E0_NS1_11comp_targetILNS1_3genE10ELNS1_11target_archE1201ELNS1_3gpuE5ELNS1_3repE0EEENS1_30default_config_static_selectorELNS0_4arch9wavefront6targetE1EEEvT1_
	.globl	_ZN7rocprim17ROCPRIM_400000_NS6detail17trampoline_kernelINS0_14default_configENS1_20scan_config_selectorIyEEZZNS1_9scan_implILNS1_25lookback_scan_determinismE0ELb0ELb0ES3_N6thrust23THRUST_200600_302600_NS6detail15normal_iteratorINS9_10device_ptrIyEEEENS9_16discard_iteratorINS9_11use_defaultEEEyNS9_4plusIvEEyEEDaPvRmT3_T4_T5_mT6_P12ihipStream_tbENKUlT_T0_E_clISt17integral_constantIbLb0EESX_EEDaSS_ST_EUlSS_E0_NS1_11comp_targetILNS1_3genE10ELNS1_11target_archE1201ELNS1_3gpuE5ELNS1_3repE0EEENS1_30default_config_static_selectorELNS0_4arch9wavefront6targetE1EEEvT1_
	.p2align	8
	.type	_ZN7rocprim17ROCPRIM_400000_NS6detail17trampoline_kernelINS0_14default_configENS1_20scan_config_selectorIyEEZZNS1_9scan_implILNS1_25lookback_scan_determinismE0ELb0ELb0ES3_N6thrust23THRUST_200600_302600_NS6detail15normal_iteratorINS9_10device_ptrIyEEEENS9_16discard_iteratorINS9_11use_defaultEEEyNS9_4plusIvEEyEEDaPvRmT3_T4_T5_mT6_P12ihipStream_tbENKUlT_T0_E_clISt17integral_constantIbLb0EESX_EEDaSS_ST_EUlSS_E0_NS1_11comp_targetILNS1_3genE10ELNS1_11target_archE1201ELNS1_3gpuE5ELNS1_3repE0EEENS1_30default_config_static_selectorELNS0_4arch9wavefront6targetE1EEEvT1_,@function
_ZN7rocprim17ROCPRIM_400000_NS6detail17trampoline_kernelINS0_14default_configENS1_20scan_config_selectorIyEEZZNS1_9scan_implILNS1_25lookback_scan_determinismE0ELb0ELb0ES3_N6thrust23THRUST_200600_302600_NS6detail15normal_iteratorINS9_10device_ptrIyEEEENS9_16discard_iteratorINS9_11use_defaultEEEyNS9_4plusIvEEyEEDaPvRmT3_T4_T5_mT6_P12ihipStream_tbENKUlT_T0_E_clISt17integral_constantIbLb0EESX_EEDaSS_ST_EUlSS_E0_NS1_11comp_targetILNS1_3genE10ELNS1_11target_archE1201ELNS1_3gpuE5ELNS1_3repE0EEENS1_30default_config_static_selectorELNS0_4arch9wavefront6targetE1EEEvT1_: ; @_ZN7rocprim17ROCPRIM_400000_NS6detail17trampoline_kernelINS0_14default_configENS1_20scan_config_selectorIyEEZZNS1_9scan_implILNS1_25lookback_scan_determinismE0ELb0ELb0ES3_N6thrust23THRUST_200600_302600_NS6detail15normal_iteratorINS9_10device_ptrIyEEEENS9_16discard_iteratorINS9_11use_defaultEEEyNS9_4plusIvEEyEEDaPvRmT3_T4_T5_mT6_P12ihipStream_tbENKUlT_T0_E_clISt17integral_constantIbLb0EESX_EEDaSS_ST_EUlSS_E0_NS1_11comp_targetILNS1_3genE10ELNS1_11target_archE1201ELNS1_3gpuE5ELNS1_3repE0EEENS1_30default_config_static_selectorELNS0_4arch9wavefront6targetE1EEEvT1_
; %bb.0:
	.section	.rodata,"a",@progbits
	.p2align	6, 0x0
	.amdhsa_kernel _ZN7rocprim17ROCPRIM_400000_NS6detail17trampoline_kernelINS0_14default_configENS1_20scan_config_selectorIyEEZZNS1_9scan_implILNS1_25lookback_scan_determinismE0ELb0ELb0ES3_N6thrust23THRUST_200600_302600_NS6detail15normal_iteratorINS9_10device_ptrIyEEEENS9_16discard_iteratorINS9_11use_defaultEEEyNS9_4plusIvEEyEEDaPvRmT3_T4_T5_mT6_P12ihipStream_tbENKUlT_T0_E_clISt17integral_constantIbLb0EESX_EEDaSS_ST_EUlSS_E0_NS1_11comp_targetILNS1_3genE10ELNS1_11target_archE1201ELNS1_3gpuE5ELNS1_3repE0EEENS1_30default_config_static_selectorELNS0_4arch9wavefront6targetE1EEEvT1_
		.amdhsa_group_segment_fixed_size 0
		.amdhsa_private_segment_fixed_size 0
		.amdhsa_kernarg_size 48
		.amdhsa_user_sgpr_count 6
		.amdhsa_user_sgpr_private_segment_buffer 1
		.amdhsa_user_sgpr_dispatch_ptr 0
		.amdhsa_user_sgpr_queue_ptr 0
		.amdhsa_user_sgpr_kernarg_segment_ptr 1
		.amdhsa_user_sgpr_dispatch_id 0
		.amdhsa_user_sgpr_flat_scratch_init 0
		.amdhsa_user_sgpr_kernarg_preload_length 0
		.amdhsa_user_sgpr_kernarg_preload_offset 0
		.amdhsa_user_sgpr_private_segment_size 0
		.amdhsa_uses_dynamic_stack 0
		.amdhsa_system_sgpr_private_segment_wavefront_offset 0
		.amdhsa_system_sgpr_workgroup_id_x 1
		.amdhsa_system_sgpr_workgroup_id_y 0
		.amdhsa_system_sgpr_workgroup_id_z 0
		.amdhsa_system_sgpr_workgroup_info 0
		.amdhsa_system_vgpr_workitem_id 0
		.amdhsa_next_free_vgpr 1
		.amdhsa_next_free_sgpr 0
		.amdhsa_accum_offset 4
		.amdhsa_reserve_vcc 0
		.amdhsa_reserve_flat_scratch 0
		.amdhsa_float_round_mode_32 0
		.amdhsa_float_round_mode_16_64 0
		.amdhsa_float_denorm_mode_32 3
		.amdhsa_float_denorm_mode_16_64 3
		.amdhsa_dx10_clamp 1
		.amdhsa_ieee_mode 1
		.amdhsa_fp16_overflow 0
		.amdhsa_tg_split 0
		.amdhsa_exception_fp_ieee_invalid_op 0
		.amdhsa_exception_fp_denorm_src 0
		.amdhsa_exception_fp_ieee_div_zero 0
		.amdhsa_exception_fp_ieee_overflow 0
		.amdhsa_exception_fp_ieee_underflow 0
		.amdhsa_exception_fp_ieee_inexact 0
		.amdhsa_exception_int_div_zero 0
	.end_amdhsa_kernel
	.section	.text._ZN7rocprim17ROCPRIM_400000_NS6detail17trampoline_kernelINS0_14default_configENS1_20scan_config_selectorIyEEZZNS1_9scan_implILNS1_25lookback_scan_determinismE0ELb0ELb0ES3_N6thrust23THRUST_200600_302600_NS6detail15normal_iteratorINS9_10device_ptrIyEEEENS9_16discard_iteratorINS9_11use_defaultEEEyNS9_4plusIvEEyEEDaPvRmT3_T4_T5_mT6_P12ihipStream_tbENKUlT_T0_E_clISt17integral_constantIbLb0EESX_EEDaSS_ST_EUlSS_E0_NS1_11comp_targetILNS1_3genE10ELNS1_11target_archE1201ELNS1_3gpuE5ELNS1_3repE0EEENS1_30default_config_static_selectorELNS0_4arch9wavefront6targetE1EEEvT1_,"axG",@progbits,_ZN7rocprim17ROCPRIM_400000_NS6detail17trampoline_kernelINS0_14default_configENS1_20scan_config_selectorIyEEZZNS1_9scan_implILNS1_25lookback_scan_determinismE0ELb0ELb0ES3_N6thrust23THRUST_200600_302600_NS6detail15normal_iteratorINS9_10device_ptrIyEEEENS9_16discard_iteratorINS9_11use_defaultEEEyNS9_4plusIvEEyEEDaPvRmT3_T4_T5_mT6_P12ihipStream_tbENKUlT_T0_E_clISt17integral_constantIbLb0EESX_EEDaSS_ST_EUlSS_E0_NS1_11comp_targetILNS1_3genE10ELNS1_11target_archE1201ELNS1_3gpuE5ELNS1_3repE0EEENS1_30default_config_static_selectorELNS0_4arch9wavefront6targetE1EEEvT1_,comdat
.Lfunc_end5164:
	.size	_ZN7rocprim17ROCPRIM_400000_NS6detail17trampoline_kernelINS0_14default_configENS1_20scan_config_selectorIyEEZZNS1_9scan_implILNS1_25lookback_scan_determinismE0ELb0ELb0ES3_N6thrust23THRUST_200600_302600_NS6detail15normal_iteratorINS9_10device_ptrIyEEEENS9_16discard_iteratorINS9_11use_defaultEEEyNS9_4plusIvEEyEEDaPvRmT3_T4_T5_mT6_P12ihipStream_tbENKUlT_T0_E_clISt17integral_constantIbLb0EESX_EEDaSS_ST_EUlSS_E0_NS1_11comp_targetILNS1_3genE10ELNS1_11target_archE1201ELNS1_3gpuE5ELNS1_3repE0EEENS1_30default_config_static_selectorELNS0_4arch9wavefront6targetE1EEEvT1_, .Lfunc_end5164-_ZN7rocprim17ROCPRIM_400000_NS6detail17trampoline_kernelINS0_14default_configENS1_20scan_config_selectorIyEEZZNS1_9scan_implILNS1_25lookback_scan_determinismE0ELb0ELb0ES3_N6thrust23THRUST_200600_302600_NS6detail15normal_iteratorINS9_10device_ptrIyEEEENS9_16discard_iteratorINS9_11use_defaultEEEyNS9_4plusIvEEyEEDaPvRmT3_T4_T5_mT6_P12ihipStream_tbENKUlT_T0_E_clISt17integral_constantIbLb0EESX_EEDaSS_ST_EUlSS_E0_NS1_11comp_targetILNS1_3genE10ELNS1_11target_archE1201ELNS1_3gpuE5ELNS1_3repE0EEENS1_30default_config_static_selectorELNS0_4arch9wavefront6targetE1EEEvT1_
                                        ; -- End function
	.section	.AMDGPU.csdata,"",@progbits
; Kernel info:
; codeLenInByte = 0
; NumSgprs: 4
; NumVgprs: 0
; NumAgprs: 0
; TotalNumVgprs: 0
; ScratchSize: 0
; MemoryBound: 0
; FloatMode: 240
; IeeeMode: 1
; LDSByteSize: 0 bytes/workgroup (compile time only)
; SGPRBlocks: 0
; VGPRBlocks: 0
; NumSGPRsForWavesPerEU: 4
; NumVGPRsForWavesPerEU: 1
; AccumOffset: 4
; Occupancy: 8
; WaveLimiterHint : 0
; COMPUTE_PGM_RSRC2:SCRATCH_EN: 0
; COMPUTE_PGM_RSRC2:USER_SGPR: 6
; COMPUTE_PGM_RSRC2:TRAP_HANDLER: 0
; COMPUTE_PGM_RSRC2:TGID_X_EN: 1
; COMPUTE_PGM_RSRC2:TGID_Y_EN: 0
; COMPUTE_PGM_RSRC2:TGID_Z_EN: 0
; COMPUTE_PGM_RSRC2:TIDIG_COMP_CNT: 0
; COMPUTE_PGM_RSRC3_GFX90A:ACCUM_OFFSET: 0
; COMPUTE_PGM_RSRC3_GFX90A:TG_SPLIT: 0
	.section	.text._ZN7rocprim17ROCPRIM_400000_NS6detail17trampoline_kernelINS0_14default_configENS1_20scan_config_selectorIyEEZZNS1_9scan_implILNS1_25lookback_scan_determinismE0ELb0ELb0ES3_N6thrust23THRUST_200600_302600_NS6detail15normal_iteratorINS9_10device_ptrIyEEEENS9_16discard_iteratorINS9_11use_defaultEEEyNS9_4plusIvEEyEEDaPvRmT3_T4_T5_mT6_P12ihipStream_tbENKUlT_T0_E_clISt17integral_constantIbLb0EESX_EEDaSS_ST_EUlSS_E0_NS1_11comp_targetILNS1_3genE10ELNS1_11target_archE1200ELNS1_3gpuE4ELNS1_3repE0EEENS1_30default_config_static_selectorELNS0_4arch9wavefront6targetE1EEEvT1_,"axG",@progbits,_ZN7rocprim17ROCPRIM_400000_NS6detail17trampoline_kernelINS0_14default_configENS1_20scan_config_selectorIyEEZZNS1_9scan_implILNS1_25lookback_scan_determinismE0ELb0ELb0ES3_N6thrust23THRUST_200600_302600_NS6detail15normal_iteratorINS9_10device_ptrIyEEEENS9_16discard_iteratorINS9_11use_defaultEEEyNS9_4plusIvEEyEEDaPvRmT3_T4_T5_mT6_P12ihipStream_tbENKUlT_T0_E_clISt17integral_constantIbLb0EESX_EEDaSS_ST_EUlSS_E0_NS1_11comp_targetILNS1_3genE10ELNS1_11target_archE1200ELNS1_3gpuE4ELNS1_3repE0EEENS1_30default_config_static_selectorELNS0_4arch9wavefront6targetE1EEEvT1_,comdat
	.protected	_ZN7rocprim17ROCPRIM_400000_NS6detail17trampoline_kernelINS0_14default_configENS1_20scan_config_selectorIyEEZZNS1_9scan_implILNS1_25lookback_scan_determinismE0ELb0ELb0ES3_N6thrust23THRUST_200600_302600_NS6detail15normal_iteratorINS9_10device_ptrIyEEEENS9_16discard_iteratorINS9_11use_defaultEEEyNS9_4plusIvEEyEEDaPvRmT3_T4_T5_mT6_P12ihipStream_tbENKUlT_T0_E_clISt17integral_constantIbLb0EESX_EEDaSS_ST_EUlSS_E0_NS1_11comp_targetILNS1_3genE10ELNS1_11target_archE1200ELNS1_3gpuE4ELNS1_3repE0EEENS1_30default_config_static_selectorELNS0_4arch9wavefront6targetE1EEEvT1_ ; -- Begin function _ZN7rocprim17ROCPRIM_400000_NS6detail17trampoline_kernelINS0_14default_configENS1_20scan_config_selectorIyEEZZNS1_9scan_implILNS1_25lookback_scan_determinismE0ELb0ELb0ES3_N6thrust23THRUST_200600_302600_NS6detail15normal_iteratorINS9_10device_ptrIyEEEENS9_16discard_iteratorINS9_11use_defaultEEEyNS9_4plusIvEEyEEDaPvRmT3_T4_T5_mT6_P12ihipStream_tbENKUlT_T0_E_clISt17integral_constantIbLb0EESX_EEDaSS_ST_EUlSS_E0_NS1_11comp_targetILNS1_3genE10ELNS1_11target_archE1200ELNS1_3gpuE4ELNS1_3repE0EEENS1_30default_config_static_selectorELNS0_4arch9wavefront6targetE1EEEvT1_
	.globl	_ZN7rocprim17ROCPRIM_400000_NS6detail17trampoline_kernelINS0_14default_configENS1_20scan_config_selectorIyEEZZNS1_9scan_implILNS1_25lookback_scan_determinismE0ELb0ELb0ES3_N6thrust23THRUST_200600_302600_NS6detail15normal_iteratorINS9_10device_ptrIyEEEENS9_16discard_iteratorINS9_11use_defaultEEEyNS9_4plusIvEEyEEDaPvRmT3_T4_T5_mT6_P12ihipStream_tbENKUlT_T0_E_clISt17integral_constantIbLb0EESX_EEDaSS_ST_EUlSS_E0_NS1_11comp_targetILNS1_3genE10ELNS1_11target_archE1200ELNS1_3gpuE4ELNS1_3repE0EEENS1_30default_config_static_selectorELNS0_4arch9wavefront6targetE1EEEvT1_
	.p2align	8
	.type	_ZN7rocprim17ROCPRIM_400000_NS6detail17trampoline_kernelINS0_14default_configENS1_20scan_config_selectorIyEEZZNS1_9scan_implILNS1_25lookback_scan_determinismE0ELb0ELb0ES3_N6thrust23THRUST_200600_302600_NS6detail15normal_iteratorINS9_10device_ptrIyEEEENS9_16discard_iteratorINS9_11use_defaultEEEyNS9_4plusIvEEyEEDaPvRmT3_T4_T5_mT6_P12ihipStream_tbENKUlT_T0_E_clISt17integral_constantIbLb0EESX_EEDaSS_ST_EUlSS_E0_NS1_11comp_targetILNS1_3genE10ELNS1_11target_archE1200ELNS1_3gpuE4ELNS1_3repE0EEENS1_30default_config_static_selectorELNS0_4arch9wavefront6targetE1EEEvT1_,@function
_ZN7rocprim17ROCPRIM_400000_NS6detail17trampoline_kernelINS0_14default_configENS1_20scan_config_selectorIyEEZZNS1_9scan_implILNS1_25lookback_scan_determinismE0ELb0ELb0ES3_N6thrust23THRUST_200600_302600_NS6detail15normal_iteratorINS9_10device_ptrIyEEEENS9_16discard_iteratorINS9_11use_defaultEEEyNS9_4plusIvEEyEEDaPvRmT3_T4_T5_mT6_P12ihipStream_tbENKUlT_T0_E_clISt17integral_constantIbLb0EESX_EEDaSS_ST_EUlSS_E0_NS1_11comp_targetILNS1_3genE10ELNS1_11target_archE1200ELNS1_3gpuE4ELNS1_3repE0EEENS1_30default_config_static_selectorELNS0_4arch9wavefront6targetE1EEEvT1_: ; @_ZN7rocprim17ROCPRIM_400000_NS6detail17trampoline_kernelINS0_14default_configENS1_20scan_config_selectorIyEEZZNS1_9scan_implILNS1_25lookback_scan_determinismE0ELb0ELb0ES3_N6thrust23THRUST_200600_302600_NS6detail15normal_iteratorINS9_10device_ptrIyEEEENS9_16discard_iteratorINS9_11use_defaultEEEyNS9_4plusIvEEyEEDaPvRmT3_T4_T5_mT6_P12ihipStream_tbENKUlT_T0_E_clISt17integral_constantIbLb0EESX_EEDaSS_ST_EUlSS_E0_NS1_11comp_targetILNS1_3genE10ELNS1_11target_archE1200ELNS1_3gpuE4ELNS1_3repE0EEENS1_30default_config_static_selectorELNS0_4arch9wavefront6targetE1EEEvT1_
; %bb.0:
	.section	.rodata,"a",@progbits
	.p2align	6, 0x0
	.amdhsa_kernel _ZN7rocprim17ROCPRIM_400000_NS6detail17trampoline_kernelINS0_14default_configENS1_20scan_config_selectorIyEEZZNS1_9scan_implILNS1_25lookback_scan_determinismE0ELb0ELb0ES3_N6thrust23THRUST_200600_302600_NS6detail15normal_iteratorINS9_10device_ptrIyEEEENS9_16discard_iteratorINS9_11use_defaultEEEyNS9_4plusIvEEyEEDaPvRmT3_T4_T5_mT6_P12ihipStream_tbENKUlT_T0_E_clISt17integral_constantIbLb0EESX_EEDaSS_ST_EUlSS_E0_NS1_11comp_targetILNS1_3genE10ELNS1_11target_archE1200ELNS1_3gpuE4ELNS1_3repE0EEENS1_30default_config_static_selectorELNS0_4arch9wavefront6targetE1EEEvT1_
		.amdhsa_group_segment_fixed_size 0
		.amdhsa_private_segment_fixed_size 0
		.amdhsa_kernarg_size 48
		.amdhsa_user_sgpr_count 6
		.amdhsa_user_sgpr_private_segment_buffer 1
		.amdhsa_user_sgpr_dispatch_ptr 0
		.amdhsa_user_sgpr_queue_ptr 0
		.amdhsa_user_sgpr_kernarg_segment_ptr 1
		.amdhsa_user_sgpr_dispatch_id 0
		.amdhsa_user_sgpr_flat_scratch_init 0
		.amdhsa_user_sgpr_kernarg_preload_length 0
		.amdhsa_user_sgpr_kernarg_preload_offset 0
		.amdhsa_user_sgpr_private_segment_size 0
		.amdhsa_uses_dynamic_stack 0
		.amdhsa_system_sgpr_private_segment_wavefront_offset 0
		.amdhsa_system_sgpr_workgroup_id_x 1
		.amdhsa_system_sgpr_workgroup_id_y 0
		.amdhsa_system_sgpr_workgroup_id_z 0
		.amdhsa_system_sgpr_workgroup_info 0
		.amdhsa_system_vgpr_workitem_id 0
		.amdhsa_next_free_vgpr 1
		.amdhsa_next_free_sgpr 0
		.amdhsa_accum_offset 4
		.amdhsa_reserve_vcc 0
		.amdhsa_reserve_flat_scratch 0
		.amdhsa_float_round_mode_32 0
		.amdhsa_float_round_mode_16_64 0
		.amdhsa_float_denorm_mode_32 3
		.amdhsa_float_denorm_mode_16_64 3
		.amdhsa_dx10_clamp 1
		.amdhsa_ieee_mode 1
		.amdhsa_fp16_overflow 0
		.amdhsa_tg_split 0
		.amdhsa_exception_fp_ieee_invalid_op 0
		.amdhsa_exception_fp_denorm_src 0
		.amdhsa_exception_fp_ieee_div_zero 0
		.amdhsa_exception_fp_ieee_overflow 0
		.amdhsa_exception_fp_ieee_underflow 0
		.amdhsa_exception_fp_ieee_inexact 0
		.amdhsa_exception_int_div_zero 0
	.end_amdhsa_kernel
	.section	.text._ZN7rocprim17ROCPRIM_400000_NS6detail17trampoline_kernelINS0_14default_configENS1_20scan_config_selectorIyEEZZNS1_9scan_implILNS1_25lookback_scan_determinismE0ELb0ELb0ES3_N6thrust23THRUST_200600_302600_NS6detail15normal_iteratorINS9_10device_ptrIyEEEENS9_16discard_iteratorINS9_11use_defaultEEEyNS9_4plusIvEEyEEDaPvRmT3_T4_T5_mT6_P12ihipStream_tbENKUlT_T0_E_clISt17integral_constantIbLb0EESX_EEDaSS_ST_EUlSS_E0_NS1_11comp_targetILNS1_3genE10ELNS1_11target_archE1200ELNS1_3gpuE4ELNS1_3repE0EEENS1_30default_config_static_selectorELNS0_4arch9wavefront6targetE1EEEvT1_,"axG",@progbits,_ZN7rocprim17ROCPRIM_400000_NS6detail17trampoline_kernelINS0_14default_configENS1_20scan_config_selectorIyEEZZNS1_9scan_implILNS1_25lookback_scan_determinismE0ELb0ELb0ES3_N6thrust23THRUST_200600_302600_NS6detail15normal_iteratorINS9_10device_ptrIyEEEENS9_16discard_iteratorINS9_11use_defaultEEEyNS9_4plusIvEEyEEDaPvRmT3_T4_T5_mT6_P12ihipStream_tbENKUlT_T0_E_clISt17integral_constantIbLb0EESX_EEDaSS_ST_EUlSS_E0_NS1_11comp_targetILNS1_3genE10ELNS1_11target_archE1200ELNS1_3gpuE4ELNS1_3repE0EEENS1_30default_config_static_selectorELNS0_4arch9wavefront6targetE1EEEvT1_,comdat
.Lfunc_end5165:
	.size	_ZN7rocprim17ROCPRIM_400000_NS6detail17trampoline_kernelINS0_14default_configENS1_20scan_config_selectorIyEEZZNS1_9scan_implILNS1_25lookback_scan_determinismE0ELb0ELb0ES3_N6thrust23THRUST_200600_302600_NS6detail15normal_iteratorINS9_10device_ptrIyEEEENS9_16discard_iteratorINS9_11use_defaultEEEyNS9_4plusIvEEyEEDaPvRmT3_T4_T5_mT6_P12ihipStream_tbENKUlT_T0_E_clISt17integral_constantIbLb0EESX_EEDaSS_ST_EUlSS_E0_NS1_11comp_targetILNS1_3genE10ELNS1_11target_archE1200ELNS1_3gpuE4ELNS1_3repE0EEENS1_30default_config_static_selectorELNS0_4arch9wavefront6targetE1EEEvT1_, .Lfunc_end5165-_ZN7rocprim17ROCPRIM_400000_NS6detail17trampoline_kernelINS0_14default_configENS1_20scan_config_selectorIyEEZZNS1_9scan_implILNS1_25lookback_scan_determinismE0ELb0ELb0ES3_N6thrust23THRUST_200600_302600_NS6detail15normal_iteratorINS9_10device_ptrIyEEEENS9_16discard_iteratorINS9_11use_defaultEEEyNS9_4plusIvEEyEEDaPvRmT3_T4_T5_mT6_P12ihipStream_tbENKUlT_T0_E_clISt17integral_constantIbLb0EESX_EEDaSS_ST_EUlSS_E0_NS1_11comp_targetILNS1_3genE10ELNS1_11target_archE1200ELNS1_3gpuE4ELNS1_3repE0EEENS1_30default_config_static_selectorELNS0_4arch9wavefront6targetE1EEEvT1_
                                        ; -- End function
	.section	.AMDGPU.csdata,"",@progbits
; Kernel info:
; codeLenInByte = 0
; NumSgprs: 4
; NumVgprs: 0
; NumAgprs: 0
; TotalNumVgprs: 0
; ScratchSize: 0
; MemoryBound: 0
; FloatMode: 240
; IeeeMode: 1
; LDSByteSize: 0 bytes/workgroup (compile time only)
; SGPRBlocks: 0
; VGPRBlocks: 0
; NumSGPRsForWavesPerEU: 4
; NumVGPRsForWavesPerEU: 1
; AccumOffset: 4
; Occupancy: 8
; WaveLimiterHint : 0
; COMPUTE_PGM_RSRC2:SCRATCH_EN: 0
; COMPUTE_PGM_RSRC2:USER_SGPR: 6
; COMPUTE_PGM_RSRC2:TRAP_HANDLER: 0
; COMPUTE_PGM_RSRC2:TGID_X_EN: 1
; COMPUTE_PGM_RSRC2:TGID_Y_EN: 0
; COMPUTE_PGM_RSRC2:TGID_Z_EN: 0
; COMPUTE_PGM_RSRC2:TIDIG_COMP_CNT: 0
; COMPUTE_PGM_RSRC3_GFX90A:ACCUM_OFFSET: 0
; COMPUTE_PGM_RSRC3_GFX90A:TG_SPLIT: 0
	.section	.text._ZN7rocprim17ROCPRIM_400000_NS6detail17trampoline_kernelINS0_14default_configENS1_20scan_config_selectorIyEEZZNS1_9scan_implILNS1_25lookback_scan_determinismE0ELb0ELb0ES3_N6thrust23THRUST_200600_302600_NS6detail15normal_iteratorINS9_10device_ptrIyEEEENS9_16discard_iteratorINS9_11use_defaultEEEyNS9_4plusIvEEyEEDaPvRmT3_T4_T5_mT6_P12ihipStream_tbENKUlT_T0_E_clISt17integral_constantIbLb0EESX_EEDaSS_ST_EUlSS_E0_NS1_11comp_targetILNS1_3genE9ELNS1_11target_archE1100ELNS1_3gpuE3ELNS1_3repE0EEENS1_30default_config_static_selectorELNS0_4arch9wavefront6targetE1EEEvT1_,"axG",@progbits,_ZN7rocprim17ROCPRIM_400000_NS6detail17trampoline_kernelINS0_14default_configENS1_20scan_config_selectorIyEEZZNS1_9scan_implILNS1_25lookback_scan_determinismE0ELb0ELb0ES3_N6thrust23THRUST_200600_302600_NS6detail15normal_iteratorINS9_10device_ptrIyEEEENS9_16discard_iteratorINS9_11use_defaultEEEyNS9_4plusIvEEyEEDaPvRmT3_T4_T5_mT6_P12ihipStream_tbENKUlT_T0_E_clISt17integral_constantIbLb0EESX_EEDaSS_ST_EUlSS_E0_NS1_11comp_targetILNS1_3genE9ELNS1_11target_archE1100ELNS1_3gpuE3ELNS1_3repE0EEENS1_30default_config_static_selectorELNS0_4arch9wavefront6targetE1EEEvT1_,comdat
	.protected	_ZN7rocprim17ROCPRIM_400000_NS6detail17trampoline_kernelINS0_14default_configENS1_20scan_config_selectorIyEEZZNS1_9scan_implILNS1_25lookback_scan_determinismE0ELb0ELb0ES3_N6thrust23THRUST_200600_302600_NS6detail15normal_iteratorINS9_10device_ptrIyEEEENS9_16discard_iteratorINS9_11use_defaultEEEyNS9_4plusIvEEyEEDaPvRmT3_T4_T5_mT6_P12ihipStream_tbENKUlT_T0_E_clISt17integral_constantIbLb0EESX_EEDaSS_ST_EUlSS_E0_NS1_11comp_targetILNS1_3genE9ELNS1_11target_archE1100ELNS1_3gpuE3ELNS1_3repE0EEENS1_30default_config_static_selectorELNS0_4arch9wavefront6targetE1EEEvT1_ ; -- Begin function _ZN7rocprim17ROCPRIM_400000_NS6detail17trampoline_kernelINS0_14default_configENS1_20scan_config_selectorIyEEZZNS1_9scan_implILNS1_25lookback_scan_determinismE0ELb0ELb0ES3_N6thrust23THRUST_200600_302600_NS6detail15normal_iteratorINS9_10device_ptrIyEEEENS9_16discard_iteratorINS9_11use_defaultEEEyNS9_4plusIvEEyEEDaPvRmT3_T4_T5_mT6_P12ihipStream_tbENKUlT_T0_E_clISt17integral_constantIbLb0EESX_EEDaSS_ST_EUlSS_E0_NS1_11comp_targetILNS1_3genE9ELNS1_11target_archE1100ELNS1_3gpuE3ELNS1_3repE0EEENS1_30default_config_static_selectorELNS0_4arch9wavefront6targetE1EEEvT1_
	.globl	_ZN7rocprim17ROCPRIM_400000_NS6detail17trampoline_kernelINS0_14default_configENS1_20scan_config_selectorIyEEZZNS1_9scan_implILNS1_25lookback_scan_determinismE0ELb0ELb0ES3_N6thrust23THRUST_200600_302600_NS6detail15normal_iteratorINS9_10device_ptrIyEEEENS9_16discard_iteratorINS9_11use_defaultEEEyNS9_4plusIvEEyEEDaPvRmT3_T4_T5_mT6_P12ihipStream_tbENKUlT_T0_E_clISt17integral_constantIbLb0EESX_EEDaSS_ST_EUlSS_E0_NS1_11comp_targetILNS1_3genE9ELNS1_11target_archE1100ELNS1_3gpuE3ELNS1_3repE0EEENS1_30default_config_static_selectorELNS0_4arch9wavefront6targetE1EEEvT1_
	.p2align	8
	.type	_ZN7rocprim17ROCPRIM_400000_NS6detail17trampoline_kernelINS0_14default_configENS1_20scan_config_selectorIyEEZZNS1_9scan_implILNS1_25lookback_scan_determinismE0ELb0ELb0ES3_N6thrust23THRUST_200600_302600_NS6detail15normal_iteratorINS9_10device_ptrIyEEEENS9_16discard_iteratorINS9_11use_defaultEEEyNS9_4plusIvEEyEEDaPvRmT3_T4_T5_mT6_P12ihipStream_tbENKUlT_T0_E_clISt17integral_constantIbLb0EESX_EEDaSS_ST_EUlSS_E0_NS1_11comp_targetILNS1_3genE9ELNS1_11target_archE1100ELNS1_3gpuE3ELNS1_3repE0EEENS1_30default_config_static_selectorELNS0_4arch9wavefront6targetE1EEEvT1_,@function
_ZN7rocprim17ROCPRIM_400000_NS6detail17trampoline_kernelINS0_14default_configENS1_20scan_config_selectorIyEEZZNS1_9scan_implILNS1_25lookback_scan_determinismE0ELb0ELb0ES3_N6thrust23THRUST_200600_302600_NS6detail15normal_iteratorINS9_10device_ptrIyEEEENS9_16discard_iteratorINS9_11use_defaultEEEyNS9_4plusIvEEyEEDaPvRmT3_T4_T5_mT6_P12ihipStream_tbENKUlT_T0_E_clISt17integral_constantIbLb0EESX_EEDaSS_ST_EUlSS_E0_NS1_11comp_targetILNS1_3genE9ELNS1_11target_archE1100ELNS1_3gpuE3ELNS1_3repE0EEENS1_30default_config_static_selectorELNS0_4arch9wavefront6targetE1EEEvT1_: ; @_ZN7rocprim17ROCPRIM_400000_NS6detail17trampoline_kernelINS0_14default_configENS1_20scan_config_selectorIyEEZZNS1_9scan_implILNS1_25lookback_scan_determinismE0ELb0ELb0ES3_N6thrust23THRUST_200600_302600_NS6detail15normal_iteratorINS9_10device_ptrIyEEEENS9_16discard_iteratorINS9_11use_defaultEEEyNS9_4plusIvEEyEEDaPvRmT3_T4_T5_mT6_P12ihipStream_tbENKUlT_T0_E_clISt17integral_constantIbLb0EESX_EEDaSS_ST_EUlSS_E0_NS1_11comp_targetILNS1_3genE9ELNS1_11target_archE1100ELNS1_3gpuE3ELNS1_3repE0EEENS1_30default_config_static_selectorELNS0_4arch9wavefront6targetE1EEEvT1_
; %bb.0:
	.section	.rodata,"a",@progbits
	.p2align	6, 0x0
	.amdhsa_kernel _ZN7rocprim17ROCPRIM_400000_NS6detail17trampoline_kernelINS0_14default_configENS1_20scan_config_selectorIyEEZZNS1_9scan_implILNS1_25lookback_scan_determinismE0ELb0ELb0ES3_N6thrust23THRUST_200600_302600_NS6detail15normal_iteratorINS9_10device_ptrIyEEEENS9_16discard_iteratorINS9_11use_defaultEEEyNS9_4plusIvEEyEEDaPvRmT3_T4_T5_mT6_P12ihipStream_tbENKUlT_T0_E_clISt17integral_constantIbLb0EESX_EEDaSS_ST_EUlSS_E0_NS1_11comp_targetILNS1_3genE9ELNS1_11target_archE1100ELNS1_3gpuE3ELNS1_3repE0EEENS1_30default_config_static_selectorELNS0_4arch9wavefront6targetE1EEEvT1_
		.amdhsa_group_segment_fixed_size 0
		.amdhsa_private_segment_fixed_size 0
		.amdhsa_kernarg_size 48
		.amdhsa_user_sgpr_count 6
		.amdhsa_user_sgpr_private_segment_buffer 1
		.amdhsa_user_sgpr_dispatch_ptr 0
		.amdhsa_user_sgpr_queue_ptr 0
		.amdhsa_user_sgpr_kernarg_segment_ptr 1
		.amdhsa_user_sgpr_dispatch_id 0
		.amdhsa_user_sgpr_flat_scratch_init 0
		.amdhsa_user_sgpr_kernarg_preload_length 0
		.amdhsa_user_sgpr_kernarg_preload_offset 0
		.amdhsa_user_sgpr_private_segment_size 0
		.amdhsa_uses_dynamic_stack 0
		.amdhsa_system_sgpr_private_segment_wavefront_offset 0
		.amdhsa_system_sgpr_workgroup_id_x 1
		.amdhsa_system_sgpr_workgroup_id_y 0
		.amdhsa_system_sgpr_workgroup_id_z 0
		.amdhsa_system_sgpr_workgroup_info 0
		.amdhsa_system_vgpr_workitem_id 0
		.amdhsa_next_free_vgpr 1
		.amdhsa_next_free_sgpr 0
		.amdhsa_accum_offset 4
		.amdhsa_reserve_vcc 0
		.amdhsa_reserve_flat_scratch 0
		.amdhsa_float_round_mode_32 0
		.amdhsa_float_round_mode_16_64 0
		.amdhsa_float_denorm_mode_32 3
		.amdhsa_float_denorm_mode_16_64 3
		.amdhsa_dx10_clamp 1
		.amdhsa_ieee_mode 1
		.amdhsa_fp16_overflow 0
		.amdhsa_tg_split 0
		.amdhsa_exception_fp_ieee_invalid_op 0
		.amdhsa_exception_fp_denorm_src 0
		.amdhsa_exception_fp_ieee_div_zero 0
		.amdhsa_exception_fp_ieee_overflow 0
		.amdhsa_exception_fp_ieee_underflow 0
		.amdhsa_exception_fp_ieee_inexact 0
		.amdhsa_exception_int_div_zero 0
	.end_amdhsa_kernel
	.section	.text._ZN7rocprim17ROCPRIM_400000_NS6detail17trampoline_kernelINS0_14default_configENS1_20scan_config_selectorIyEEZZNS1_9scan_implILNS1_25lookback_scan_determinismE0ELb0ELb0ES3_N6thrust23THRUST_200600_302600_NS6detail15normal_iteratorINS9_10device_ptrIyEEEENS9_16discard_iteratorINS9_11use_defaultEEEyNS9_4plusIvEEyEEDaPvRmT3_T4_T5_mT6_P12ihipStream_tbENKUlT_T0_E_clISt17integral_constantIbLb0EESX_EEDaSS_ST_EUlSS_E0_NS1_11comp_targetILNS1_3genE9ELNS1_11target_archE1100ELNS1_3gpuE3ELNS1_3repE0EEENS1_30default_config_static_selectorELNS0_4arch9wavefront6targetE1EEEvT1_,"axG",@progbits,_ZN7rocprim17ROCPRIM_400000_NS6detail17trampoline_kernelINS0_14default_configENS1_20scan_config_selectorIyEEZZNS1_9scan_implILNS1_25lookback_scan_determinismE0ELb0ELb0ES3_N6thrust23THRUST_200600_302600_NS6detail15normal_iteratorINS9_10device_ptrIyEEEENS9_16discard_iteratorINS9_11use_defaultEEEyNS9_4plusIvEEyEEDaPvRmT3_T4_T5_mT6_P12ihipStream_tbENKUlT_T0_E_clISt17integral_constantIbLb0EESX_EEDaSS_ST_EUlSS_E0_NS1_11comp_targetILNS1_3genE9ELNS1_11target_archE1100ELNS1_3gpuE3ELNS1_3repE0EEENS1_30default_config_static_selectorELNS0_4arch9wavefront6targetE1EEEvT1_,comdat
.Lfunc_end5166:
	.size	_ZN7rocprim17ROCPRIM_400000_NS6detail17trampoline_kernelINS0_14default_configENS1_20scan_config_selectorIyEEZZNS1_9scan_implILNS1_25lookback_scan_determinismE0ELb0ELb0ES3_N6thrust23THRUST_200600_302600_NS6detail15normal_iteratorINS9_10device_ptrIyEEEENS9_16discard_iteratorINS9_11use_defaultEEEyNS9_4plusIvEEyEEDaPvRmT3_T4_T5_mT6_P12ihipStream_tbENKUlT_T0_E_clISt17integral_constantIbLb0EESX_EEDaSS_ST_EUlSS_E0_NS1_11comp_targetILNS1_3genE9ELNS1_11target_archE1100ELNS1_3gpuE3ELNS1_3repE0EEENS1_30default_config_static_selectorELNS0_4arch9wavefront6targetE1EEEvT1_, .Lfunc_end5166-_ZN7rocprim17ROCPRIM_400000_NS6detail17trampoline_kernelINS0_14default_configENS1_20scan_config_selectorIyEEZZNS1_9scan_implILNS1_25lookback_scan_determinismE0ELb0ELb0ES3_N6thrust23THRUST_200600_302600_NS6detail15normal_iteratorINS9_10device_ptrIyEEEENS9_16discard_iteratorINS9_11use_defaultEEEyNS9_4plusIvEEyEEDaPvRmT3_T4_T5_mT6_P12ihipStream_tbENKUlT_T0_E_clISt17integral_constantIbLb0EESX_EEDaSS_ST_EUlSS_E0_NS1_11comp_targetILNS1_3genE9ELNS1_11target_archE1100ELNS1_3gpuE3ELNS1_3repE0EEENS1_30default_config_static_selectorELNS0_4arch9wavefront6targetE1EEEvT1_
                                        ; -- End function
	.section	.AMDGPU.csdata,"",@progbits
; Kernel info:
; codeLenInByte = 0
; NumSgprs: 4
; NumVgprs: 0
; NumAgprs: 0
; TotalNumVgprs: 0
; ScratchSize: 0
; MemoryBound: 0
; FloatMode: 240
; IeeeMode: 1
; LDSByteSize: 0 bytes/workgroup (compile time only)
; SGPRBlocks: 0
; VGPRBlocks: 0
; NumSGPRsForWavesPerEU: 4
; NumVGPRsForWavesPerEU: 1
; AccumOffset: 4
; Occupancy: 8
; WaveLimiterHint : 0
; COMPUTE_PGM_RSRC2:SCRATCH_EN: 0
; COMPUTE_PGM_RSRC2:USER_SGPR: 6
; COMPUTE_PGM_RSRC2:TRAP_HANDLER: 0
; COMPUTE_PGM_RSRC2:TGID_X_EN: 1
; COMPUTE_PGM_RSRC2:TGID_Y_EN: 0
; COMPUTE_PGM_RSRC2:TGID_Z_EN: 0
; COMPUTE_PGM_RSRC2:TIDIG_COMP_CNT: 0
; COMPUTE_PGM_RSRC3_GFX90A:ACCUM_OFFSET: 0
; COMPUTE_PGM_RSRC3_GFX90A:TG_SPLIT: 0
	.section	.text._ZN7rocprim17ROCPRIM_400000_NS6detail17trampoline_kernelINS0_14default_configENS1_20scan_config_selectorIyEEZZNS1_9scan_implILNS1_25lookback_scan_determinismE0ELb0ELb0ES3_N6thrust23THRUST_200600_302600_NS6detail15normal_iteratorINS9_10device_ptrIyEEEENS9_16discard_iteratorINS9_11use_defaultEEEyNS9_4plusIvEEyEEDaPvRmT3_T4_T5_mT6_P12ihipStream_tbENKUlT_T0_E_clISt17integral_constantIbLb0EESX_EEDaSS_ST_EUlSS_E0_NS1_11comp_targetILNS1_3genE8ELNS1_11target_archE1030ELNS1_3gpuE2ELNS1_3repE0EEENS1_30default_config_static_selectorELNS0_4arch9wavefront6targetE1EEEvT1_,"axG",@progbits,_ZN7rocprim17ROCPRIM_400000_NS6detail17trampoline_kernelINS0_14default_configENS1_20scan_config_selectorIyEEZZNS1_9scan_implILNS1_25lookback_scan_determinismE0ELb0ELb0ES3_N6thrust23THRUST_200600_302600_NS6detail15normal_iteratorINS9_10device_ptrIyEEEENS9_16discard_iteratorINS9_11use_defaultEEEyNS9_4plusIvEEyEEDaPvRmT3_T4_T5_mT6_P12ihipStream_tbENKUlT_T0_E_clISt17integral_constantIbLb0EESX_EEDaSS_ST_EUlSS_E0_NS1_11comp_targetILNS1_3genE8ELNS1_11target_archE1030ELNS1_3gpuE2ELNS1_3repE0EEENS1_30default_config_static_selectorELNS0_4arch9wavefront6targetE1EEEvT1_,comdat
	.protected	_ZN7rocprim17ROCPRIM_400000_NS6detail17trampoline_kernelINS0_14default_configENS1_20scan_config_selectorIyEEZZNS1_9scan_implILNS1_25lookback_scan_determinismE0ELb0ELb0ES3_N6thrust23THRUST_200600_302600_NS6detail15normal_iteratorINS9_10device_ptrIyEEEENS9_16discard_iteratorINS9_11use_defaultEEEyNS9_4plusIvEEyEEDaPvRmT3_T4_T5_mT6_P12ihipStream_tbENKUlT_T0_E_clISt17integral_constantIbLb0EESX_EEDaSS_ST_EUlSS_E0_NS1_11comp_targetILNS1_3genE8ELNS1_11target_archE1030ELNS1_3gpuE2ELNS1_3repE0EEENS1_30default_config_static_selectorELNS0_4arch9wavefront6targetE1EEEvT1_ ; -- Begin function _ZN7rocprim17ROCPRIM_400000_NS6detail17trampoline_kernelINS0_14default_configENS1_20scan_config_selectorIyEEZZNS1_9scan_implILNS1_25lookback_scan_determinismE0ELb0ELb0ES3_N6thrust23THRUST_200600_302600_NS6detail15normal_iteratorINS9_10device_ptrIyEEEENS9_16discard_iteratorINS9_11use_defaultEEEyNS9_4plusIvEEyEEDaPvRmT3_T4_T5_mT6_P12ihipStream_tbENKUlT_T0_E_clISt17integral_constantIbLb0EESX_EEDaSS_ST_EUlSS_E0_NS1_11comp_targetILNS1_3genE8ELNS1_11target_archE1030ELNS1_3gpuE2ELNS1_3repE0EEENS1_30default_config_static_selectorELNS0_4arch9wavefront6targetE1EEEvT1_
	.globl	_ZN7rocprim17ROCPRIM_400000_NS6detail17trampoline_kernelINS0_14default_configENS1_20scan_config_selectorIyEEZZNS1_9scan_implILNS1_25lookback_scan_determinismE0ELb0ELb0ES3_N6thrust23THRUST_200600_302600_NS6detail15normal_iteratorINS9_10device_ptrIyEEEENS9_16discard_iteratorINS9_11use_defaultEEEyNS9_4plusIvEEyEEDaPvRmT3_T4_T5_mT6_P12ihipStream_tbENKUlT_T0_E_clISt17integral_constantIbLb0EESX_EEDaSS_ST_EUlSS_E0_NS1_11comp_targetILNS1_3genE8ELNS1_11target_archE1030ELNS1_3gpuE2ELNS1_3repE0EEENS1_30default_config_static_selectorELNS0_4arch9wavefront6targetE1EEEvT1_
	.p2align	8
	.type	_ZN7rocprim17ROCPRIM_400000_NS6detail17trampoline_kernelINS0_14default_configENS1_20scan_config_selectorIyEEZZNS1_9scan_implILNS1_25lookback_scan_determinismE0ELb0ELb0ES3_N6thrust23THRUST_200600_302600_NS6detail15normal_iteratorINS9_10device_ptrIyEEEENS9_16discard_iteratorINS9_11use_defaultEEEyNS9_4plusIvEEyEEDaPvRmT3_T4_T5_mT6_P12ihipStream_tbENKUlT_T0_E_clISt17integral_constantIbLb0EESX_EEDaSS_ST_EUlSS_E0_NS1_11comp_targetILNS1_3genE8ELNS1_11target_archE1030ELNS1_3gpuE2ELNS1_3repE0EEENS1_30default_config_static_selectorELNS0_4arch9wavefront6targetE1EEEvT1_,@function
_ZN7rocprim17ROCPRIM_400000_NS6detail17trampoline_kernelINS0_14default_configENS1_20scan_config_selectorIyEEZZNS1_9scan_implILNS1_25lookback_scan_determinismE0ELb0ELb0ES3_N6thrust23THRUST_200600_302600_NS6detail15normal_iteratorINS9_10device_ptrIyEEEENS9_16discard_iteratorINS9_11use_defaultEEEyNS9_4plusIvEEyEEDaPvRmT3_T4_T5_mT6_P12ihipStream_tbENKUlT_T0_E_clISt17integral_constantIbLb0EESX_EEDaSS_ST_EUlSS_E0_NS1_11comp_targetILNS1_3genE8ELNS1_11target_archE1030ELNS1_3gpuE2ELNS1_3repE0EEENS1_30default_config_static_selectorELNS0_4arch9wavefront6targetE1EEEvT1_: ; @_ZN7rocprim17ROCPRIM_400000_NS6detail17trampoline_kernelINS0_14default_configENS1_20scan_config_selectorIyEEZZNS1_9scan_implILNS1_25lookback_scan_determinismE0ELb0ELb0ES3_N6thrust23THRUST_200600_302600_NS6detail15normal_iteratorINS9_10device_ptrIyEEEENS9_16discard_iteratorINS9_11use_defaultEEEyNS9_4plusIvEEyEEDaPvRmT3_T4_T5_mT6_P12ihipStream_tbENKUlT_T0_E_clISt17integral_constantIbLb0EESX_EEDaSS_ST_EUlSS_E0_NS1_11comp_targetILNS1_3genE8ELNS1_11target_archE1030ELNS1_3gpuE2ELNS1_3repE0EEENS1_30default_config_static_selectorELNS0_4arch9wavefront6targetE1EEEvT1_
; %bb.0:
	.section	.rodata,"a",@progbits
	.p2align	6, 0x0
	.amdhsa_kernel _ZN7rocprim17ROCPRIM_400000_NS6detail17trampoline_kernelINS0_14default_configENS1_20scan_config_selectorIyEEZZNS1_9scan_implILNS1_25lookback_scan_determinismE0ELb0ELb0ES3_N6thrust23THRUST_200600_302600_NS6detail15normal_iteratorINS9_10device_ptrIyEEEENS9_16discard_iteratorINS9_11use_defaultEEEyNS9_4plusIvEEyEEDaPvRmT3_T4_T5_mT6_P12ihipStream_tbENKUlT_T0_E_clISt17integral_constantIbLb0EESX_EEDaSS_ST_EUlSS_E0_NS1_11comp_targetILNS1_3genE8ELNS1_11target_archE1030ELNS1_3gpuE2ELNS1_3repE0EEENS1_30default_config_static_selectorELNS0_4arch9wavefront6targetE1EEEvT1_
		.amdhsa_group_segment_fixed_size 0
		.amdhsa_private_segment_fixed_size 0
		.amdhsa_kernarg_size 48
		.amdhsa_user_sgpr_count 6
		.amdhsa_user_sgpr_private_segment_buffer 1
		.amdhsa_user_sgpr_dispatch_ptr 0
		.amdhsa_user_sgpr_queue_ptr 0
		.amdhsa_user_sgpr_kernarg_segment_ptr 1
		.amdhsa_user_sgpr_dispatch_id 0
		.amdhsa_user_sgpr_flat_scratch_init 0
		.amdhsa_user_sgpr_kernarg_preload_length 0
		.amdhsa_user_sgpr_kernarg_preload_offset 0
		.amdhsa_user_sgpr_private_segment_size 0
		.amdhsa_uses_dynamic_stack 0
		.amdhsa_system_sgpr_private_segment_wavefront_offset 0
		.amdhsa_system_sgpr_workgroup_id_x 1
		.amdhsa_system_sgpr_workgroup_id_y 0
		.amdhsa_system_sgpr_workgroup_id_z 0
		.amdhsa_system_sgpr_workgroup_info 0
		.amdhsa_system_vgpr_workitem_id 0
		.amdhsa_next_free_vgpr 1
		.amdhsa_next_free_sgpr 0
		.amdhsa_accum_offset 4
		.amdhsa_reserve_vcc 0
		.amdhsa_reserve_flat_scratch 0
		.amdhsa_float_round_mode_32 0
		.amdhsa_float_round_mode_16_64 0
		.amdhsa_float_denorm_mode_32 3
		.amdhsa_float_denorm_mode_16_64 3
		.amdhsa_dx10_clamp 1
		.amdhsa_ieee_mode 1
		.amdhsa_fp16_overflow 0
		.amdhsa_tg_split 0
		.amdhsa_exception_fp_ieee_invalid_op 0
		.amdhsa_exception_fp_denorm_src 0
		.amdhsa_exception_fp_ieee_div_zero 0
		.amdhsa_exception_fp_ieee_overflow 0
		.amdhsa_exception_fp_ieee_underflow 0
		.amdhsa_exception_fp_ieee_inexact 0
		.amdhsa_exception_int_div_zero 0
	.end_amdhsa_kernel
	.section	.text._ZN7rocprim17ROCPRIM_400000_NS6detail17trampoline_kernelINS0_14default_configENS1_20scan_config_selectorIyEEZZNS1_9scan_implILNS1_25lookback_scan_determinismE0ELb0ELb0ES3_N6thrust23THRUST_200600_302600_NS6detail15normal_iteratorINS9_10device_ptrIyEEEENS9_16discard_iteratorINS9_11use_defaultEEEyNS9_4plusIvEEyEEDaPvRmT3_T4_T5_mT6_P12ihipStream_tbENKUlT_T0_E_clISt17integral_constantIbLb0EESX_EEDaSS_ST_EUlSS_E0_NS1_11comp_targetILNS1_3genE8ELNS1_11target_archE1030ELNS1_3gpuE2ELNS1_3repE0EEENS1_30default_config_static_selectorELNS0_4arch9wavefront6targetE1EEEvT1_,"axG",@progbits,_ZN7rocprim17ROCPRIM_400000_NS6detail17trampoline_kernelINS0_14default_configENS1_20scan_config_selectorIyEEZZNS1_9scan_implILNS1_25lookback_scan_determinismE0ELb0ELb0ES3_N6thrust23THRUST_200600_302600_NS6detail15normal_iteratorINS9_10device_ptrIyEEEENS9_16discard_iteratorINS9_11use_defaultEEEyNS9_4plusIvEEyEEDaPvRmT3_T4_T5_mT6_P12ihipStream_tbENKUlT_T0_E_clISt17integral_constantIbLb0EESX_EEDaSS_ST_EUlSS_E0_NS1_11comp_targetILNS1_3genE8ELNS1_11target_archE1030ELNS1_3gpuE2ELNS1_3repE0EEENS1_30default_config_static_selectorELNS0_4arch9wavefront6targetE1EEEvT1_,comdat
.Lfunc_end5167:
	.size	_ZN7rocprim17ROCPRIM_400000_NS6detail17trampoline_kernelINS0_14default_configENS1_20scan_config_selectorIyEEZZNS1_9scan_implILNS1_25lookback_scan_determinismE0ELb0ELb0ES3_N6thrust23THRUST_200600_302600_NS6detail15normal_iteratorINS9_10device_ptrIyEEEENS9_16discard_iteratorINS9_11use_defaultEEEyNS9_4plusIvEEyEEDaPvRmT3_T4_T5_mT6_P12ihipStream_tbENKUlT_T0_E_clISt17integral_constantIbLb0EESX_EEDaSS_ST_EUlSS_E0_NS1_11comp_targetILNS1_3genE8ELNS1_11target_archE1030ELNS1_3gpuE2ELNS1_3repE0EEENS1_30default_config_static_selectorELNS0_4arch9wavefront6targetE1EEEvT1_, .Lfunc_end5167-_ZN7rocprim17ROCPRIM_400000_NS6detail17trampoline_kernelINS0_14default_configENS1_20scan_config_selectorIyEEZZNS1_9scan_implILNS1_25lookback_scan_determinismE0ELb0ELb0ES3_N6thrust23THRUST_200600_302600_NS6detail15normal_iteratorINS9_10device_ptrIyEEEENS9_16discard_iteratorINS9_11use_defaultEEEyNS9_4plusIvEEyEEDaPvRmT3_T4_T5_mT6_P12ihipStream_tbENKUlT_T0_E_clISt17integral_constantIbLb0EESX_EEDaSS_ST_EUlSS_E0_NS1_11comp_targetILNS1_3genE8ELNS1_11target_archE1030ELNS1_3gpuE2ELNS1_3repE0EEENS1_30default_config_static_selectorELNS0_4arch9wavefront6targetE1EEEvT1_
                                        ; -- End function
	.section	.AMDGPU.csdata,"",@progbits
; Kernel info:
; codeLenInByte = 0
; NumSgprs: 4
; NumVgprs: 0
; NumAgprs: 0
; TotalNumVgprs: 0
; ScratchSize: 0
; MemoryBound: 0
; FloatMode: 240
; IeeeMode: 1
; LDSByteSize: 0 bytes/workgroup (compile time only)
; SGPRBlocks: 0
; VGPRBlocks: 0
; NumSGPRsForWavesPerEU: 4
; NumVGPRsForWavesPerEU: 1
; AccumOffset: 4
; Occupancy: 8
; WaveLimiterHint : 0
; COMPUTE_PGM_RSRC2:SCRATCH_EN: 0
; COMPUTE_PGM_RSRC2:USER_SGPR: 6
; COMPUTE_PGM_RSRC2:TRAP_HANDLER: 0
; COMPUTE_PGM_RSRC2:TGID_X_EN: 1
; COMPUTE_PGM_RSRC2:TGID_Y_EN: 0
; COMPUTE_PGM_RSRC2:TGID_Z_EN: 0
; COMPUTE_PGM_RSRC2:TIDIG_COMP_CNT: 0
; COMPUTE_PGM_RSRC3_GFX90A:ACCUM_OFFSET: 0
; COMPUTE_PGM_RSRC3_GFX90A:TG_SPLIT: 0
	.section	.text._ZN7rocprim17ROCPRIM_400000_NS6detail17trampoline_kernelINS0_14default_configENS1_20scan_config_selectorIyEEZZNS1_9scan_implILNS1_25lookback_scan_determinismE0ELb0ELb0ES3_N6thrust23THRUST_200600_302600_NS6detail15normal_iteratorINS9_10device_ptrIyEEEENS9_16discard_iteratorINS9_11use_defaultEEEyNS9_4plusIvEEyEEDaPvRmT3_T4_T5_mT6_P12ihipStream_tbENKUlT_T0_E_clISt17integral_constantIbLb1EESX_EEDaSS_ST_EUlSS_E_NS1_11comp_targetILNS1_3genE0ELNS1_11target_archE4294967295ELNS1_3gpuE0ELNS1_3repE0EEENS1_30default_config_static_selectorELNS0_4arch9wavefront6targetE1EEEvT1_,"axG",@progbits,_ZN7rocprim17ROCPRIM_400000_NS6detail17trampoline_kernelINS0_14default_configENS1_20scan_config_selectorIyEEZZNS1_9scan_implILNS1_25lookback_scan_determinismE0ELb0ELb0ES3_N6thrust23THRUST_200600_302600_NS6detail15normal_iteratorINS9_10device_ptrIyEEEENS9_16discard_iteratorINS9_11use_defaultEEEyNS9_4plusIvEEyEEDaPvRmT3_T4_T5_mT6_P12ihipStream_tbENKUlT_T0_E_clISt17integral_constantIbLb1EESX_EEDaSS_ST_EUlSS_E_NS1_11comp_targetILNS1_3genE0ELNS1_11target_archE4294967295ELNS1_3gpuE0ELNS1_3repE0EEENS1_30default_config_static_selectorELNS0_4arch9wavefront6targetE1EEEvT1_,comdat
	.protected	_ZN7rocprim17ROCPRIM_400000_NS6detail17trampoline_kernelINS0_14default_configENS1_20scan_config_selectorIyEEZZNS1_9scan_implILNS1_25lookback_scan_determinismE0ELb0ELb0ES3_N6thrust23THRUST_200600_302600_NS6detail15normal_iteratorINS9_10device_ptrIyEEEENS9_16discard_iteratorINS9_11use_defaultEEEyNS9_4plusIvEEyEEDaPvRmT3_T4_T5_mT6_P12ihipStream_tbENKUlT_T0_E_clISt17integral_constantIbLb1EESX_EEDaSS_ST_EUlSS_E_NS1_11comp_targetILNS1_3genE0ELNS1_11target_archE4294967295ELNS1_3gpuE0ELNS1_3repE0EEENS1_30default_config_static_selectorELNS0_4arch9wavefront6targetE1EEEvT1_ ; -- Begin function _ZN7rocprim17ROCPRIM_400000_NS6detail17trampoline_kernelINS0_14default_configENS1_20scan_config_selectorIyEEZZNS1_9scan_implILNS1_25lookback_scan_determinismE0ELb0ELb0ES3_N6thrust23THRUST_200600_302600_NS6detail15normal_iteratorINS9_10device_ptrIyEEEENS9_16discard_iteratorINS9_11use_defaultEEEyNS9_4plusIvEEyEEDaPvRmT3_T4_T5_mT6_P12ihipStream_tbENKUlT_T0_E_clISt17integral_constantIbLb1EESX_EEDaSS_ST_EUlSS_E_NS1_11comp_targetILNS1_3genE0ELNS1_11target_archE4294967295ELNS1_3gpuE0ELNS1_3repE0EEENS1_30default_config_static_selectorELNS0_4arch9wavefront6targetE1EEEvT1_
	.globl	_ZN7rocprim17ROCPRIM_400000_NS6detail17trampoline_kernelINS0_14default_configENS1_20scan_config_selectorIyEEZZNS1_9scan_implILNS1_25lookback_scan_determinismE0ELb0ELb0ES3_N6thrust23THRUST_200600_302600_NS6detail15normal_iteratorINS9_10device_ptrIyEEEENS9_16discard_iteratorINS9_11use_defaultEEEyNS9_4plusIvEEyEEDaPvRmT3_T4_T5_mT6_P12ihipStream_tbENKUlT_T0_E_clISt17integral_constantIbLb1EESX_EEDaSS_ST_EUlSS_E_NS1_11comp_targetILNS1_3genE0ELNS1_11target_archE4294967295ELNS1_3gpuE0ELNS1_3repE0EEENS1_30default_config_static_selectorELNS0_4arch9wavefront6targetE1EEEvT1_
	.p2align	8
	.type	_ZN7rocprim17ROCPRIM_400000_NS6detail17trampoline_kernelINS0_14default_configENS1_20scan_config_selectorIyEEZZNS1_9scan_implILNS1_25lookback_scan_determinismE0ELb0ELb0ES3_N6thrust23THRUST_200600_302600_NS6detail15normal_iteratorINS9_10device_ptrIyEEEENS9_16discard_iteratorINS9_11use_defaultEEEyNS9_4plusIvEEyEEDaPvRmT3_T4_T5_mT6_P12ihipStream_tbENKUlT_T0_E_clISt17integral_constantIbLb1EESX_EEDaSS_ST_EUlSS_E_NS1_11comp_targetILNS1_3genE0ELNS1_11target_archE4294967295ELNS1_3gpuE0ELNS1_3repE0EEENS1_30default_config_static_selectorELNS0_4arch9wavefront6targetE1EEEvT1_,@function
_ZN7rocprim17ROCPRIM_400000_NS6detail17trampoline_kernelINS0_14default_configENS1_20scan_config_selectorIyEEZZNS1_9scan_implILNS1_25lookback_scan_determinismE0ELb0ELb0ES3_N6thrust23THRUST_200600_302600_NS6detail15normal_iteratorINS9_10device_ptrIyEEEENS9_16discard_iteratorINS9_11use_defaultEEEyNS9_4plusIvEEyEEDaPvRmT3_T4_T5_mT6_P12ihipStream_tbENKUlT_T0_E_clISt17integral_constantIbLb1EESX_EEDaSS_ST_EUlSS_E_NS1_11comp_targetILNS1_3genE0ELNS1_11target_archE4294967295ELNS1_3gpuE0ELNS1_3repE0EEENS1_30default_config_static_selectorELNS0_4arch9wavefront6targetE1EEEvT1_: ; @_ZN7rocprim17ROCPRIM_400000_NS6detail17trampoline_kernelINS0_14default_configENS1_20scan_config_selectorIyEEZZNS1_9scan_implILNS1_25lookback_scan_determinismE0ELb0ELb0ES3_N6thrust23THRUST_200600_302600_NS6detail15normal_iteratorINS9_10device_ptrIyEEEENS9_16discard_iteratorINS9_11use_defaultEEEyNS9_4plusIvEEyEEDaPvRmT3_T4_T5_mT6_P12ihipStream_tbENKUlT_T0_E_clISt17integral_constantIbLb1EESX_EEDaSS_ST_EUlSS_E_NS1_11comp_targetILNS1_3genE0ELNS1_11target_archE4294967295ELNS1_3gpuE0ELNS1_3repE0EEENS1_30default_config_static_selectorELNS0_4arch9wavefront6targetE1EEEvT1_
; %bb.0:
	.section	.rodata,"a",@progbits
	.p2align	6, 0x0
	.amdhsa_kernel _ZN7rocprim17ROCPRIM_400000_NS6detail17trampoline_kernelINS0_14default_configENS1_20scan_config_selectorIyEEZZNS1_9scan_implILNS1_25lookback_scan_determinismE0ELb0ELb0ES3_N6thrust23THRUST_200600_302600_NS6detail15normal_iteratorINS9_10device_ptrIyEEEENS9_16discard_iteratorINS9_11use_defaultEEEyNS9_4plusIvEEyEEDaPvRmT3_T4_T5_mT6_P12ihipStream_tbENKUlT_T0_E_clISt17integral_constantIbLb1EESX_EEDaSS_ST_EUlSS_E_NS1_11comp_targetILNS1_3genE0ELNS1_11target_archE4294967295ELNS1_3gpuE0ELNS1_3repE0EEENS1_30default_config_static_selectorELNS0_4arch9wavefront6targetE1EEEvT1_
		.amdhsa_group_segment_fixed_size 0
		.amdhsa_private_segment_fixed_size 0
		.amdhsa_kernarg_size 112
		.amdhsa_user_sgpr_count 6
		.amdhsa_user_sgpr_private_segment_buffer 1
		.amdhsa_user_sgpr_dispatch_ptr 0
		.amdhsa_user_sgpr_queue_ptr 0
		.amdhsa_user_sgpr_kernarg_segment_ptr 1
		.amdhsa_user_sgpr_dispatch_id 0
		.amdhsa_user_sgpr_flat_scratch_init 0
		.amdhsa_user_sgpr_kernarg_preload_length 0
		.amdhsa_user_sgpr_kernarg_preload_offset 0
		.amdhsa_user_sgpr_private_segment_size 0
		.amdhsa_uses_dynamic_stack 0
		.amdhsa_system_sgpr_private_segment_wavefront_offset 0
		.amdhsa_system_sgpr_workgroup_id_x 1
		.amdhsa_system_sgpr_workgroup_id_y 0
		.amdhsa_system_sgpr_workgroup_id_z 0
		.amdhsa_system_sgpr_workgroup_info 0
		.amdhsa_system_vgpr_workitem_id 0
		.amdhsa_next_free_vgpr 1
		.amdhsa_next_free_sgpr 0
		.amdhsa_accum_offset 4
		.amdhsa_reserve_vcc 0
		.amdhsa_reserve_flat_scratch 0
		.amdhsa_float_round_mode_32 0
		.amdhsa_float_round_mode_16_64 0
		.amdhsa_float_denorm_mode_32 3
		.amdhsa_float_denorm_mode_16_64 3
		.amdhsa_dx10_clamp 1
		.amdhsa_ieee_mode 1
		.amdhsa_fp16_overflow 0
		.amdhsa_tg_split 0
		.amdhsa_exception_fp_ieee_invalid_op 0
		.amdhsa_exception_fp_denorm_src 0
		.amdhsa_exception_fp_ieee_div_zero 0
		.amdhsa_exception_fp_ieee_overflow 0
		.amdhsa_exception_fp_ieee_underflow 0
		.amdhsa_exception_fp_ieee_inexact 0
		.amdhsa_exception_int_div_zero 0
	.end_amdhsa_kernel
	.section	.text._ZN7rocprim17ROCPRIM_400000_NS6detail17trampoline_kernelINS0_14default_configENS1_20scan_config_selectorIyEEZZNS1_9scan_implILNS1_25lookback_scan_determinismE0ELb0ELb0ES3_N6thrust23THRUST_200600_302600_NS6detail15normal_iteratorINS9_10device_ptrIyEEEENS9_16discard_iteratorINS9_11use_defaultEEEyNS9_4plusIvEEyEEDaPvRmT3_T4_T5_mT6_P12ihipStream_tbENKUlT_T0_E_clISt17integral_constantIbLb1EESX_EEDaSS_ST_EUlSS_E_NS1_11comp_targetILNS1_3genE0ELNS1_11target_archE4294967295ELNS1_3gpuE0ELNS1_3repE0EEENS1_30default_config_static_selectorELNS0_4arch9wavefront6targetE1EEEvT1_,"axG",@progbits,_ZN7rocprim17ROCPRIM_400000_NS6detail17trampoline_kernelINS0_14default_configENS1_20scan_config_selectorIyEEZZNS1_9scan_implILNS1_25lookback_scan_determinismE0ELb0ELb0ES3_N6thrust23THRUST_200600_302600_NS6detail15normal_iteratorINS9_10device_ptrIyEEEENS9_16discard_iteratorINS9_11use_defaultEEEyNS9_4plusIvEEyEEDaPvRmT3_T4_T5_mT6_P12ihipStream_tbENKUlT_T0_E_clISt17integral_constantIbLb1EESX_EEDaSS_ST_EUlSS_E_NS1_11comp_targetILNS1_3genE0ELNS1_11target_archE4294967295ELNS1_3gpuE0ELNS1_3repE0EEENS1_30default_config_static_selectorELNS0_4arch9wavefront6targetE1EEEvT1_,comdat
.Lfunc_end5168:
	.size	_ZN7rocprim17ROCPRIM_400000_NS6detail17trampoline_kernelINS0_14default_configENS1_20scan_config_selectorIyEEZZNS1_9scan_implILNS1_25lookback_scan_determinismE0ELb0ELb0ES3_N6thrust23THRUST_200600_302600_NS6detail15normal_iteratorINS9_10device_ptrIyEEEENS9_16discard_iteratorINS9_11use_defaultEEEyNS9_4plusIvEEyEEDaPvRmT3_T4_T5_mT6_P12ihipStream_tbENKUlT_T0_E_clISt17integral_constantIbLb1EESX_EEDaSS_ST_EUlSS_E_NS1_11comp_targetILNS1_3genE0ELNS1_11target_archE4294967295ELNS1_3gpuE0ELNS1_3repE0EEENS1_30default_config_static_selectorELNS0_4arch9wavefront6targetE1EEEvT1_, .Lfunc_end5168-_ZN7rocprim17ROCPRIM_400000_NS6detail17trampoline_kernelINS0_14default_configENS1_20scan_config_selectorIyEEZZNS1_9scan_implILNS1_25lookback_scan_determinismE0ELb0ELb0ES3_N6thrust23THRUST_200600_302600_NS6detail15normal_iteratorINS9_10device_ptrIyEEEENS9_16discard_iteratorINS9_11use_defaultEEEyNS9_4plusIvEEyEEDaPvRmT3_T4_T5_mT6_P12ihipStream_tbENKUlT_T0_E_clISt17integral_constantIbLb1EESX_EEDaSS_ST_EUlSS_E_NS1_11comp_targetILNS1_3genE0ELNS1_11target_archE4294967295ELNS1_3gpuE0ELNS1_3repE0EEENS1_30default_config_static_selectorELNS0_4arch9wavefront6targetE1EEEvT1_
                                        ; -- End function
	.section	.AMDGPU.csdata,"",@progbits
; Kernel info:
; codeLenInByte = 0
; NumSgprs: 4
; NumVgprs: 0
; NumAgprs: 0
; TotalNumVgprs: 0
; ScratchSize: 0
; MemoryBound: 0
; FloatMode: 240
; IeeeMode: 1
; LDSByteSize: 0 bytes/workgroup (compile time only)
; SGPRBlocks: 0
; VGPRBlocks: 0
; NumSGPRsForWavesPerEU: 4
; NumVGPRsForWavesPerEU: 1
; AccumOffset: 4
; Occupancy: 8
; WaveLimiterHint : 0
; COMPUTE_PGM_RSRC2:SCRATCH_EN: 0
; COMPUTE_PGM_RSRC2:USER_SGPR: 6
; COMPUTE_PGM_RSRC2:TRAP_HANDLER: 0
; COMPUTE_PGM_RSRC2:TGID_X_EN: 1
; COMPUTE_PGM_RSRC2:TGID_Y_EN: 0
; COMPUTE_PGM_RSRC2:TGID_Z_EN: 0
; COMPUTE_PGM_RSRC2:TIDIG_COMP_CNT: 0
; COMPUTE_PGM_RSRC3_GFX90A:ACCUM_OFFSET: 0
; COMPUTE_PGM_RSRC3_GFX90A:TG_SPLIT: 0
	.section	.text._ZN7rocprim17ROCPRIM_400000_NS6detail17trampoline_kernelINS0_14default_configENS1_20scan_config_selectorIyEEZZNS1_9scan_implILNS1_25lookback_scan_determinismE0ELb0ELb0ES3_N6thrust23THRUST_200600_302600_NS6detail15normal_iteratorINS9_10device_ptrIyEEEENS9_16discard_iteratorINS9_11use_defaultEEEyNS9_4plusIvEEyEEDaPvRmT3_T4_T5_mT6_P12ihipStream_tbENKUlT_T0_E_clISt17integral_constantIbLb1EESX_EEDaSS_ST_EUlSS_E_NS1_11comp_targetILNS1_3genE5ELNS1_11target_archE942ELNS1_3gpuE9ELNS1_3repE0EEENS1_30default_config_static_selectorELNS0_4arch9wavefront6targetE1EEEvT1_,"axG",@progbits,_ZN7rocprim17ROCPRIM_400000_NS6detail17trampoline_kernelINS0_14default_configENS1_20scan_config_selectorIyEEZZNS1_9scan_implILNS1_25lookback_scan_determinismE0ELb0ELb0ES3_N6thrust23THRUST_200600_302600_NS6detail15normal_iteratorINS9_10device_ptrIyEEEENS9_16discard_iteratorINS9_11use_defaultEEEyNS9_4plusIvEEyEEDaPvRmT3_T4_T5_mT6_P12ihipStream_tbENKUlT_T0_E_clISt17integral_constantIbLb1EESX_EEDaSS_ST_EUlSS_E_NS1_11comp_targetILNS1_3genE5ELNS1_11target_archE942ELNS1_3gpuE9ELNS1_3repE0EEENS1_30default_config_static_selectorELNS0_4arch9wavefront6targetE1EEEvT1_,comdat
	.protected	_ZN7rocprim17ROCPRIM_400000_NS6detail17trampoline_kernelINS0_14default_configENS1_20scan_config_selectorIyEEZZNS1_9scan_implILNS1_25lookback_scan_determinismE0ELb0ELb0ES3_N6thrust23THRUST_200600_302600_NS6detail15normal_iteratorINS9_10device_ptrIyEEEENS9_16discard_iteratorINS9_11use_defaultEEEyNS9_4plusIvEEyEEDaPvRmT3_T4_T5_mT6_P12ihipStream_tbENKUlT_T0_E_clISt17integral_constantIbLb1EESX_EEDaSS_ST_EUlSS_E_NS1_11comp_targetILNS1_3genE5ELNS1_11target_archE942ELNS1_3gpuE9ELNS1_3repE0EEENS1_30default_config_static_selectorELNS0_4arch9wavefront6targetE1EEEvT1_ ; -- Begin function _ZN7rocprim17ROCPRIM_400000_NS6detail17trampoline_kernelINS0_14default_configENS1_20scan_config_selectorIyEEZZNS1_9scan_implILNS1_25lookback_scan_determinismE0ELb0ELb0ES3_N6thrust23THRUST_200600_302600_NS6detail15normal_iteratorINS9_10device_ptrIyEEEENS9_16discard_iteratorINS9_11use_defaultEEEyNS9_4plusIvEEyEEDaPvRmT3_T4_T5_mT6_P12ihipStream_tbENKUlT_T0_E_clISt17integral_constantIbLb1EESX_EEDaSS_ST_EUlSS_E_NS1_11comp_targetILNS1_3genE5ELNS1_11target_archE942ELNS1_3gpuE9ELNS1_3repE0EEENS1_30default_config_static_selectorELNS0_4arch9wavefront6targetE1EEEvT1_
	.globl	_ZN7rocprim17ROCPRIM_400000_NS6detail17trampoline_kernelINS0_14default_configENS1_20scan_config_selectorIyEEZZNS1_9scan_implILNS1_25lookback_scan_determinismE0ELb0ELb0ES3_N6thrust23THRUST_200600_302600_NS6detail15normal_iteratorINS9_10device_ptrIyEEEENS9_16discard_iteratorINS9_11use_defaultEEEyNS9_4plusIvEEyEEDaPvRmT3_T4_T5_mT6_P12ihipStream_tbENKUlT_T0_E_clISt17integral_constantIbLb1EESX_EEDaSS_ST_EUlSS_E_NS1_11comp_targetILNS1_3genE5ELNS1_11target_archE942ELNS1_3gpuE9ELNS1_3repE0EEENS1_30default_config_static_selectorELNS0_4arch9wavefront6targetE1EEEvT1_
	.p2align	8
	.type	_ZN7rocprim17ROCPRIM_400000_NS6detail17trampoline_kernelINS0_14default_configENS1_20scan_config_selectorIyEEZZNS1_9scan_implILNS1_25lookback_scan_determinismE0ELb0ELb0ES3_N6thrust23THRUST_200600_302600_NS6detail15normal_iteratorINS9_10device_ptrIyEEEENS9_16discard_iteratorINS9_11use_defaultEEEyNS9_4plusIvEEyEEDaPvRmT3_T4_T5_mT6_P12ihipStream_tbENKUlT_T0_E_clISt17integral_constantIbLb1EESX_EEDaSS_ST_EUlSS_E_NS1_11comp_targetILNS1_3genE5ELNS1_11target_archE942ELNS1_3gpuE9ELNS1_3repE0EEENS1_30default_config_static_selectorELNS0_4arch9wavefront6targetE1EEEvT1_,@function
_ZN7rocprim17ROCPRIM_400000_NS6detail17trampoline_kernelINS0_14default_configENS1_20scan_config_selectorIyEEZZNS1_9scan_implILNS1_25lookback_scan_determinismE0ELb0ELb0ES3_N6thrust23THRUST_200600_302600_NS6detail15normal_iteratorINS9_10device_ptrIyEEEENS9_16discard_iteratorINS9_11use_defaultEEEyNS9_4plusIvEEyEEDaPvRmT3_T4_T5_mT6_P12ihipStream_tbENKUlT_T0_E_clISt17integral_constantIbLb1EESX_EEDaSS_ST_EUlSS_E_NS1_11comp_targetILNS1_3genE5ELNS1_11target_archE942ELNS1_3gpuE9ELNS1_3repE0EEENS1_30default_config_static_selectorELNS0_4arch9wavefront6targetE1EEEvT1_: ; @_ZN7rocprim17ROCPRIM_400000_NS6detail17trampoline_kernelINS0_14default_configENS1_20scan_config_selectorIyEEZZNS1_9scan_implILNS1_25lookback_scan_determinismE0ELb0ELb0ES3_N6thrust23THRUST_200600_302600_NS6detail15normal_iteratorINS9_10device_ptrIyEEEENS9_16discard_iteratorINS9_11use_defaultEEEyNS9_4plusIvEEyEEDaPvRmT3_T4_T5_mT6_P12ihipStream_tbENKUlT_T0_E_clISt17integral_constantIbLb1EESX_EEDaSS_ST_EUlSS_E_NS1_11comp_targetILNS1_3genE5ELNS1_11target_archE942ELNS1_3gpuE9ELNS1_3repE0EEENS1_30default_config_static_selectorELNS0_4arch9wavefront6targetE1EEEvT1_
; %bb.0:
	.section	.rodata,"a",@progbits
	.p2align	6, 0x0
	.amdhsa_kernel _ZN7rocprim17ROCPRIM_400000_NS6detail17trampoline_kernelINS0_14default_configENS1_20scan_config_selectorIyEEZZNS1_9scan_implILNS1_25lookback_scan_determinismE0ELb0ELb0ES3_N6thrust23THRUST_200600_302600_NS6detail15normal_iteratorINS9_10device_ptrIyEEEENS9_16discard_iteratorINS9_11use_defaultEEEyNS9_4plusIvEEyEEDaPvRmT3_T4_T5_mT6_P12ihipStream_tbENKUlT_T0_E_clISt17integral_constantIbLb1EESX_EEDaSS_ST_EUlSS_E_NS1_11comp_targetILNS1_3genE5ELNS1_11target_archE942ELNS1_3gpuE9ELNS1_3repE0EEENS1_30default_config_static_selectorELNS0_4arch9wavefront6targetE1EEEvT1_
		.amdhsa_group_segment_fixed_size 0
		.amdhsa_private_segment_fixed_size 0
		.amdhsa_kernarg_size 112
		.amdhsa_user_sgpr_count 6
		.amdhsa_user_sgpr_private_segment_buffer 1
		.amdhsa_user_sgpr_dispatch_ptr 0
		.amdhsa_user_sgpr_queue_ptr 0
		.amdhsa_user_sgpr_kernarg_segment_ptr 1
		.amdhsa_user_sgpr_dispatch_id 0
		.amdhsa_user_sgpr_flat_scratch_init 0
		.amdhsa_user_sgpr_kernarg_preload_length 0
		.amdhsa_user_sgpr_kernarg_preload_offset 0
		.amdhsa_user_sgpr_private_segment_size 0
		.amdhsa_uses_dynamic_stack 0
		.amdhsa_system_sgpr_private_segment_wavefront_offset 0
		.amdhsa_system_sgpr_workgroup_id_x 1
		.amdhsa_system_sgpr_workgroup_id_y 0
		.amdhsa_system_sgpr_workgroup_id_z 0
		.amdhsa_system_sgpr_workgroup_info 0
		.amdhsa_system_vgpr_workitem_id 0
		.amdhsa_next_free_vgpr 1
		.amdhsa_next_free_sgpr 0
		.amdhsa_accum_offset 4
		.amdhsa_reserve_vcc 0
		.amdhsa_reserve_flat_scratch 0
		.amdhsa_float_round_mode_32 0
		.amdhsa_float_round_mode_16_64 0
		.amdhsa_float_denorm_mode_32 3
		.amdhsa_float_denorm_mode_16_64 3
		.amdhsa_dx10_clamp 1
		.amdhsa_ieee_mode 1
		.amdhsa_fp16_overflow 0
		.amdhsa_tg_split 0
		.amdhsa_exception_fp_ieee_invalid_op 0
		.amdhsa_exception_fp_denorm_src 0
		.amdhsa_exception_fp_ieee_div_zero 0
		.amdhsa_exception_fp_ieee_overflow 0
		.amdhsa_exception_fp_ieee_underflow 0
		.amdhsa_exception_fp_ieee_inexact 0
		.amdhsa_exception_int_div_zero 0
	.end_amdhsa_kernel
	.section	.text._ZN7rocprim17ROCPRIM_400000_NS6detail17trampoline_kernelINS0_14default_configENS1_20scan_config_selectorIyEEZZNS1_9scan_implILNS1_25lookback_scan_determinismE0ELb0ELb0ES3_N6thrust23THRUST_200600_302600_NS6detail15normal_iteratorINS9_10device_ptrIyEEEENS9_16discard_iteratorINS9_11use_defaultEEEyNS9_4plusIvEEyEEDaPvRmT3_T4_T5_mT6_P12ihipStream_tbENKUlT_T0_E_clISt17integral_constantIbLb1EESX_EEDaSS_ST_EUlSS_E_NS1_11comp_targetILNS1_3genE5ELNS1_11target_archE942ELNS1_3gpuE9ELNS1_3repE0EEENS1_30default_config_static_selectorELNS0_4arch9wavefront6targetE1EEEvT1_,"axG",@progbits,_ZN7rocprim17ROCPRIM_400000_NS6detail17trampoline_kernelINS0_14default_configENS1_20scan_config_selectorIyEEZZNS1_9scan_implILNS1_25lookback_scan_determinismE0ELb0ELb0ES3_N6thrust23THRUST_200600_302600_NS6detail15normal_iteratorINS9_10device_ptrIyEEEENS9_16discard_iteratorINS9_11use_defaultEEEyNS9_4plusIvEEyEEDaPvRmT3_T4_T5_mT6_P12ihipStream_tbENKUlT_T0_E_clISt17integral_constantIbLb1EESX_EEDaSS_ST_EUlSS_E_NS1_11comp_targetILNS1_3genE5ELNS1_11target_archE942ELNS1_3gpuE9ELNS1_3repE0EEENS1_30default_config_static_selectorELNS0_4arch9wavefront6targetE1EEEvT1_,comdat
.Lfunc_end5169:
	.size	_ZN7rocprim17ROCPRIM_400000_NS6detail17trampoline_kernelINS0_14default_configENS1_20scan_config_selectorIyEEZZNS1_9scan_implILNS1_25lookback_scan_determinismE0ELb0ELb0ES3_N6thrust23THRUST_200600_302600_NS6detail15normal_iteratorINS9_10device_ptrIyEEEENS9_16discard_iteratorINS9_11use_defaultEEEyNS9_4plusIvEEyEEDaPvRmT3_T4_T5_mT6_P12ihipStream_tbENKUlT_T0_E_clISt17integral_constantIbLb1EESX_EEDaSS_ST_EUlSS_E_NS1_11comp_targetILNS1_3genE5ELNS1_11target_archE942ELNS1_3gpuE9ELNS1_3repE0EEENS1_30default_config_static_selectorELNS0_4arch9wavefront6targetE1EEEvT1_, .Lfunc_end5169-_ZN7rocprim17ROCPRIM_400000_NS6detail17trampoline_kernelINS0_14default_configENS1_20scan_config_selectorIyEEZZNS1_9scan_implILNS1_25lookback_scan_determinismE0ELb0ELb0ES3_N6thrust23THRUST_200600_302600_NS6detail15normal_iteratorINS9_10device_ptrIyEEEENS9_16discard_iteratorINS9_11use_defaultEEEyNS9_4plusIvEEyEEDaPvRmT3_T4_T5_mT6_P12ihipStream_tbENKUlT_T0_E_clISt17integral_constantIbLb1EESX_EEDaSS_ST_EUlSS_E_NS1_11comp_targetILNS1_3genE5ELNS1_11target_archE942ELNS1_3gpuE9ELNS1_3repE0EEENS1_30default_config_static_selectorELNS0_4arch9wavefront6targetE1EEEvT1_
                                        ; -- End function
	.section	.AMDGPU.csdata,"",@progbits
; Kernel info:
; codeLenInByte = 0
; NumSgprs: 4
; NumVgprs: 0
; NumAgprs: 0
; TotalNumVgprs: 0
; ScratchSize: 0
; MemoryBound: 0
; FloatMode: 240
; IeeeMode: 1
; LDSByteSize: 0 bytes/workgroup (compile time only)
; SGPRBlocks: 0
; VGPRBlocks: 0
; NumSGPRsForWavesPerEU: 4
; NumVGPRsForWavesPerEU: 1
; AccumOffset: 4
; Occupancy: 8
; WaveLimiterHint : 0
; COMPUTE_PGM_RSRC2:SCRATCH_EN: 0
; COMPUTE_PGM_RSRC2:USER_SGPR: 6
; COMPUTE_PGM_RSRC2:TRAP_HANDLER: 0
; COMPUTE_PGM_RSRC2:TGID_X_EN: 1
; COMPUTE_PGM_RSRC2:TGID_Y_EN: 0
; COMPUTE_PGM_RSRC2:TGID_Z_EN: 0
; COMPUTE_PGM_RSRC2:TIDIG_COMP_CNT: 0
; COMPUTE_PGM_RSRC3_GFX90A:ACCUM_OFFSET: 0
; COMPUTE_PGM_RSRC3_GFX90A:TG_SPLIT: 0
	.section	.text._ZN7rocprim17ROCPRIM_400000_NS6detail17trampoline_kernelINS0_14default_configENS1_20scan_config_selectorIyEEZZNS1_9scan_implILNS1_25lookback_scan_determinismE0ELb0ELb0ES3_N6thrust23THRUST_200600_302600_NS6detail15normal_iteratorINS9_10device_ptrIyEEEENS9_16discard_iteratorINS9_11use_defaultEEEyNS9_4plusIvEEyEEDaPvRmT3_T4_T5_mT6_P12ihipStream_tbENKUlT_T0_E_clISt17integral_constantIbLb1EESX_EEDaSS_ST_EUlSS_E_NS1_11comp_targetILNS1_3genE4ELNS1_11target_archE910ELNS1_3gpuE8ELNS1_3repE0EEENS1_30default_config_static_selectorELNS0_4arch9wavefront6targetE1EEEvT1_,"axG",@progbits,_ZN7rocprim17ROCPRIM_400000_NS6detail17trampoline_kernelINS0_14default_configENS1_20scan_config_selectorIyEEZZNS1_9scan_implILNS1_25lookback_scan_determinismE0ELb0ELb0ES3_N6thrust23THRUST_200600_302600_NS6detail15normal_iteratorINS9_10device_ptrIyEEEENS9_16discard_iteratorINS9_11use_defaultEEEyNS9_4plusIvEEyEEDaPvRmT3_T4_T5_mT6_P12ihipStream_tbENKUlT_T0_E_clISt17integral_constantIbLb1EESX_EEDaSS_ST_EUlSS_E_NS1_11comp_targetILNS1_3genE4ELNS1_11target_archE910ELNS1_3gpuE8ELNS1_3repE0EEENS1_30default_config_static_selectorELNS0_4arch9wavefront6targetE1EEEvT1_,comdat
	.protected	_ZN7rocprim17ROCPRIM_400000_NS6detail17trampoline_kernelINS0_14default_configENS1_20scan_config_selectorIyEEZZNS1_9scan_implILNS1_25lookback_scan_determinismE0ELb0ELb0ES3_N6thrust23THRUST_200600_302600_NS6detail15normal_iteratorINS9_10device_ptrIyEEEENS9_16discard_iteratorINS9_11use_defaultEEEyNS9_4plusIvEEyEEDaPvRmT3_T4_T5_mT6_P12ihipStream_tbENKUlT_T0_E_clISt17integral_constantIbLb1EESX_EEDaSS_ST_EUlSS_E_NS1_11comp_targetILNS1_3genE4ELNS1_11target_archE910ELNS1_3gpuE8ELNS1_3repE0EEENS1_30default_config_static_selectorELNS0_4arch9wavefront6targetE1EEEvT1_ ; -- Begin function _ZN7rocprim17ROCPRIM_400000_NS6detail17trampoline_kernelINS0_14default_configENS1_20scan_config_selectorIyEEZZNS1_9scan_implILNS1_25lookback_scan_determinismE0ELb0ELb0ES3_N6thrust23THRUST_200600_302600_NS6detail15normal_iteratorINS9_10device_ptrIyEEEENS9_16discard_iteratorINS9_11use_defaultEEEyNS9_4plusIvEEyEEDaPvRmT3_T4_T5_mT6_P12ihipStream_tbENKUlT_T0_E_clISt17integral_constantIbLb1EESX_EEDaSS_ST_EUlSS_E_NS1_11comp_targetILNS1_3genE4ELNS1_11target_archE910ELNS1_3gpuE8ELNS1_3repE0EEENS1_30default_config_static_selectorELNS0_4arch9wavefront6targetE1EEEvT1_
	.globl	_ZN7rocprim17ROCPRIM_400000_NS6detail17trampoline_kernelINS0_14default_configENS1_20scan_config_selectorIyEEZZNS1_9scan_implILNS1_25lookback_scan_determinismE0ELb0ELb0ES3_N6thrust23THRUST_200600_302600_NS6detail15normal_iteratorINS9_10device_ptrIyEEEENS9_16discard_iteratorINS9_11use_defaultEEEyNS9_4plusIvEEyEEDaPvRmT3_T4_T5_mT6_P12ihipStream_tbENKUlT_T0_E_clISt17integral_constantIbLb1EESX_EEDaSS_ST_EUlSS_E_NS1_11comp_targetILNS1_3genE4ELNS1_11target_archE910ELNS1_3gpuE8ELNS1_3repE0EEENS1_30default_config_static_selectorELNS0_4arch9wavefront6targetE1EEEvT1_
	.p2align	8
	.type	_ZN7rocprim17ROCPRIM_400000_NS6detail17trampoline_kernelINS0_14default_configENS1_20scan_config_selectorIyEEZZNS1_9scan_implILNS1_25lookback_scan_determinismE0ELb0ELb0ES3_N6thrust23THRUST_200600_302600_NS6detail15normal_iteratorINS9_10device_ptrIyEEEENS9_16discard_iteratorINS9_11use_defaultEEEyNS9_4plusIvEEyEEDaPvRmT3_T4_T5_mT6_P12ihipStream_tbENKUlT_T0_E_clISt17integral_constantIbLb1EESX_EEDaSS_ST_EUlSS_E_NS1_11comp_targetILNS1_3genE4ELNS1_11target_archE910ELNS1_3gpuE8ELNS1_3repE0EEENS1_30default_config_static_selectorELNS0_4arch9wavefront6targetE1EEEvT1_,@function
_ZN7rocprim17ROCPRIM_400000_NS6detail17trampoline_kernelINS0_14default_configENS1_20scan_config_selectorIyEEZZNS1_9scan_implILNS1_25lookback_scan_determinismE0ELb0ELb0ES3_N6thrust23THRUST_200600_302600_NS6detail15normal_iteratorINS9_10device_ptrIyEEEENS9_16discard_iteratorINS9_11use_defaultEEEyNS9_4plusIvEEyEEDaPvRmT3_T4_T5_mT6_P12ihipStream_tbENKUlT_T0_E_clISt17integral_constantIbLb1EESX_EEDaSS_ST_EUlSS_E_NS1_11comp_targetILNS1_3genE4ELNS1_11target_archE910ELNS1_3gpuE8ELNS1_3repE0EEENS1_30default_config_static_selectorELNS0_4arch9wavefront6targetE1EEEvT1_: ; @_ZN7rocprim17ROCPRIM_400000_NS6detail17trampoline_kernelINS0_14default_configENS1_20scan_config_selectorIyEEZZNS1_9scan_implILNS1_25lookback_scan_determinismE0ELb0ELb0ES3_N6thrust23THRUST_200600_302600_NS6detail15normal_iteratorINS9_10device_ptrIyEEEENS9_16discard_iteratorINS9_11use_defaultEEEyNS9_4plusIvEEyEEDaPvRmT3_T4_T5_mT6_P12ihipStream_tbENKUlT_T0_E_clISt17integral_constantIbLb1EESX_EEDaSS_ST_EUlSS_E_NS1_11comp_targetILNS1_3genE4ELNS1_11target_archE910ELNS1_3gpuE8ELNS1_3repE0EEENS1_30default_config_static_selectorELNS0_4arch9wavefront6targetE1EEEvT1_
; %bb.0:
	s_load_dwordx2 s[6:7], s[4:5], 0x20
	s_load_dwordx2 s[20:21], s[4:5], 0x38
	v_cmp_ne_u32_e64 s[0:1], 0, v0
	v_cmp_eq_u32_e64 s[2:3], 0, v0
	s_and_saveexec_b64 s[8:9], s[2:3]
	s_cbranch_execz .LBB5170_4
; %bb.1:
	s_mov_b64 s[12:13], exec
	v_mbcnt_lo_u32_b32 v1, s12, 0
	v_mbcnt_hi_u32_b32 v1, s13, v1
	v_cmp_eq_u32_e32 vcc, 0, v1
                                        ; implicit-def: $vgpr2
	s_and_saveexec_b64 s[10:11], vcc
	s_cbranch_execz .LBB5170_3
; %bb.2:
	s_load_dwordx2 s[14:15], s[4:5], 0x68
	s_bcnt1_i32_b64 s12, s[12:13]
	v_mov_b32_e32 v2, 0
	v_mov_b32_e32 v3, s12
	s_waitcnt lgkmcnt(0)
	global_atomic_add v2, v2, v3, s[14:15] glc
.LBB5170_3:
	s_or_b64 exec, exec, s[10:11]
	s_waitcnt vmcnt(0)
	v_readfirstlane_b32 s10, v2
	v_add_u32_e32 v1, s10, v1
	v_mov_b32_e32 v2, 0
	ds_write_b32 v2, v1
.LBB5170_4:
	s_or_b64 exec, exec, s[8:9]
	v_mov_b32_e32 v3, 0
	s_load_dwordx4 s[8:11], s[4:5], 0x0
	s_load_dword s22, s[4:5], 0x40
	s_load_dwordx8 s[12:19], s[4:5], 0x48
	s_waitcnt lgkmcnt(0)
	s_barrier
	ds_read_b32 v1, v3
	s_lshl_b64 s[4:5], s[10:11], 3
	s_add_u32 s4, s8, s4
	s_movk_i32 s8, 0x380
	s_addc_u32 s5, s9, s5
	s_waitcnt lgkmcnt(0)
	v_mul_lo_u32 v2, v1, s8
	s_add_i32 s8, s22, -1
	s_mul_i32 s9, s8, 0x380
	s_sub_u32 s24, s6, s9
	v_readfirstlane_b32 s26, v1
	s_subb_u32 s25, s7, 0
	v_lshlrev_b64 v[2:3], 3, v[2:3]
	s_cmp_lg_u32 s26, s8
	v_mov_b32_e32 v1, s5
	v_add_co_u32_e32 v20, vcc, s4, v2
	s_cselect_b64 s[10:11], -1, 0
	v_addc_co_u32_e32 v21, vcc, v1, v3, vcc
	s_mov_b64 s[4:5], -1
	s_and_b64 vcc, exec, s[10:11]
	v_lshlrev_b32_e32 v1, 3, v0
	s_barrier
	s_cbranch_vccz .LBB5170_6
; %bb.5:
	v_add_co_u32_e32 v2, vcc, v20, v1
	v_addc_co_u32_e32 v3, vcc, 0, v21, vcc
	flat_load_dwordx2 v[4:5], v[2:3]
	flat_load_dwordx2 v[6:7], v[2:3] offset:1024
	flat_load_dwordx2 v[8:9], v[2:3] offset:2048
	;; [unrolled: 1-line block ×3, first 2 shown]
	v_add_co_u32_e32 v2, vcc, 0x1000, v2
	v_addc_co_u32_e32 v3, vcc, 0, v3, vcc
	flat_load_dwordx2 v[12:13], v[2:3]
	flat_load_dwordx2 v[14:15], v[2:3] offset:1024
	flat_load_dwordx2 v[16:17], v[2:3] offset:2048
	s_mov_b64 s[4:5], 0
	s_waitcnt vmcnt(0) lgkmcnt(0)
	ds_write2st64_b64 v1, v[4:5], v[6:7] offset1:2
	ds_write2st64_b64 v1, v[8:9], v[10:11] offset0:4 offset1:6
	ds_write2st64_b64 v1, v[12:13], v[14:15] offset0:8 offset1:10
	ds_write_b64 v1, v[16:17] offset:6144
	s_waitcnt lgkmcnt(0)
	s_barrier
.LBB5170_6:
	s_andn2_b64 vcc, exec, s[4:5]
	s_cbranch_vccnz .LBB5170_22
; %bb.7:
	flat_load_dwordx2 v[2:3], v[20:21]
	v_cmp_gt_u32_e32 vcc, s24, v0
	s_waitcnt vmcnt(0) lgkmcnt(0)
	v_mov_b32_e32 v4, v2
	v_mov_b32_e32 v5, v3
	;; [unrolled: 1-line block ×10, first 2 shown]
	v_pk_mov_b32 v[18:19], v[14:15], v[14:15] op_sel:[0,1]
	v_pk_mov_b32 v[16:17], v[12:13], v[12:13] op_sel:[0,1]
	;; [unrolled: 1-line block ×8, first 2 shown]
	s_and_saveexec_b64 s[4:5], vcc
	s_cbranch_execz .LBB5170_9
; %bb.8:
	v_add_co_u32_e32 v4, vcc, v20, v1
	v_addc_co_u32_e32 v5, vcc, 0, v21, vcc
	flat_load_dwordx2 v[22:23], v[4:5]
	v_mov_b32_e32 v4, v2
	v_mov_b32_e32 v5, v3
	;; [unrolled: 1-line block ×10, first 2 shown]
	v_pk_mov_b32 v[18:19], v[14:15], v[14:15] op_sel:[0,1]
	v_pk_mov_b32 v[16:17], v[12:13], v[12:13] op_sel:[0,1]
	;; [unrolled: 1-line block ×8, first 2 shown]
	s_waitcnt vmcnt(0) lgkmcnt(0)
	v_pk_mov_b32 v[2:3], v[22:23], v[22:23] op_sel:[0,1]
.LBB5170_9:
	s_or_b64 exec, exec, s[4:5]
	v_or_b32_e32 v4, 0x80, v0
	v_cmp_gt_u32_e32 vcc, s24, v4
	s_and_saveexec_b64 s[4:5], vcc
	s_cbranch_execz .LBB5170_11
; %bb.10:
	v_add_co_u32_e32 v4, vcc, v20, v1
	v_addc_co_u32_e32 v5, vcc, 0, v21, vcc
	flat_load_dwordx2 v[6:7], v[4:5] offset:1024
.LBB5170_11:
	s_or_b64 exec, exec, s[4:5]
	v_or_b32_e32 v4, 0x100, v0
	v_cmp_gt_u32_e32 vcc, s24, v4
	s_and_saveexec_b64 s[4:5], vcc
	s_cbranch_execz .LBB5170_13
; %bb.12:
	v_add_co_u32_e32 v4, vcc, v20, v1
	v_addc_co_u32_e32 v5, vcc, 0, v21, vcc
	flat_load_dwordx2 v[8:9], v[4:5] offset:2048
.LBB5170_13:
	;; [unrolled: 10-line block ×3, first 2 shown]
	s_or_b64 exec, exec, s[4:5]
	v_or_b32_e32 v4, 0x200, v0
	v_cmp_gt_u32_e32 vcc, s24, v4
	s_and_saveexec_b64 s[4:5], vcc
	s_cbranch_execz .LBB5170_17
; %bb.16:
	v_lshlrev_b32_e32 v4, 3, v4
	v_add_co_u32_e32 v4, vcc, v20, v4
	v_addc_co_u32_e32 v5, vcc, 0, v21, vcc
	flat_load_dwordx2 v[12:13], v[4:5]
.LBB5170_17:
	s_or_b64 exec, exec, s[4:5]
	v_or_b32_e32 v4, 0x280, v0
	v_cmp_gt_u32_e32 vcc, s24, v4
	s_and_saveexec_b64 s[4:5], vcc
	s_cbranch_execz .LBB5170_19
; %bb.18:
	v_lshlrev_b32_e32 v4, 3, v4
	v_add_co_u32_e32 v4, vcc, v20, v4
	v_addc_co_u32_e32 v5, vcc, 0, v21, vcc
	flat_load_dwordx2 v[14:15], v[4:5]
.LBB5170_19:
	;; [unrolled: 11-line block ×3, first 2 shown]
	s_or_b64 exec, exec, s[4:5]
	s_waitcnt vmcnt(0) lgkmcnt(0)
	ds_write2st64_b64 v1, v[2:3], v[6:7] offset1:2
	ds_write2st64_b64 v1, v[8:9], v[10:11] offset0:4 offset1:6
	ds_write2st64_b64 v1, v[12:13], v[14:15] offset0:8 offset1:10
	ds_write_b64 v1, v[16:17] offset:6144
	s_waitcnt lgkmcnt(0)
	s_barrier
.LBB5170_22:
	v_mul_u32_u24_e32 v36, 7, v0
	v_lshlrev_b32_e32 v1, 3, v36
	ds_read2_b64 v[2:5], v1 offset1:1
	ds_read2_b64 v[10:13], v1 offset0:2 offset1:3
	ds_read2_b64 v[6:9], v1 offset0:4 offset1:5
	ds_read_b64 v[28:29], v1 offset:48
	s_cmp_lg_u32 s26, 0
	v_lshrrev_b32_e32 v37, 5, v0
	v_cmp_gt_u32_e32 vcc, 64, v0
	s_waitcnt lgkmcnt(0)
	s_barrier
	s_cbranch_scc0 .LBB5170_53
; %bb.23:
	v_add_co_u32_e64 v1, s[4:5], v4, v2
	v_addc_co_u32_e64 v14, s[4:5], v5, v3, s[4:5]
	v_add_co_u32_e64 v1, s[4:5], v1, v10
	v_addc_co_u32_e64 v14, s[4:5], v14, v11, s[4:5]
	;; [unrolled: 2-line block ×6, first 2 shown]
	v_add_lshl_u32 v1, v37, v0, 3
	ds_write_b64 v1, v[18:19]
	s_waitcnt lgkmcnt(0)
	s_barrier
	s_and_saveexec_b64 s[8:9], vcc
	s_cbranch_execz .LBB5170_27
; %bb.24:
	v_lshlrev_b32_e32 v1, 1, v0
	v_lshrrev_b32_e32 v14, 4, v0
	v_add_lshl_u32 v20, v14, v1, 3
	ds_read2_b64 v[14:17], v20 offset1:1
	v_mbcnt_lo_u32_b32 v1, -1, 0
	s_waitcnt lgkmcnt(0)
	v_add_co_u32_e64 v21, s[4:5], v16, v14
	v_addc_co_u32_e64 v22, s[4:5], v17, v15, s[4:5]
	s_nop 0
	v_mov_b32_dpp v16, v21 row_shr:1 row_mask:0xf bank_mask:0xf
	v_add_co_u32_e64 v16, s[4:5], v21, v16
	v_addc_co_u32_e64 v24, s[4:5], 0, v22, s[4:5]
	v_mbcnt_hi_u32_b32 v17, -1, v1
	v_mov_b32_dpp v23, v22 row_shr:1 row_mask:0xf bank_mask:0xf
	v_add_co_u32_e64 v25, s[4:5], 0, v16
	v_and_b32_e32 v1, 15, v17
	v_addc_co_u32_e64 v23, s[4:5], v23, v24, s[4:5]
	v_cmp_eq_u32_e64 s[4:5], 0, v1
	v_cndmask_b32_e64 v16, v16, v21, s[4:5]
	v_cndmask_b32_e64 v23, v23, v22, s[4:5]
	v_cndmask_b32_e64 v24, v25, v21, s[4:5]
	v_mov_b32_dpp v25, v16 row_shr:2 row_mask:0xf bank_mask:0xf
	v_mov_b32_dpp v26, v23 row_shr:2 row_mask:0xf bank_mask:0xf
	v_add_co_u32_e64 v25, s[4:5], v25, v24
	v_addc_co_u32_e64 v26, s[4:5], v26, v23, s[4:5]
	v_cmp_lt_u32_e64 s[4:5], 1, v1
	v_cndmask_b32_e64 v16, v16, v25, s[4:5]
	v_cndmask_b32_e64 v23, v23, v26, s[4:5]
	v_cndmask_b32_e64 v24, v24, v25, s[4:5]
	v_mov_b32_dpp v25, v16 row_shr:4 row_mask:0xf bank_mask:0xf
	v_mov_b32_dpp v26, v23 row_shr:4 row_mask:0xf bank_mask:0xf
	v_add_co_u32_e64 v25, s[4:5], v25, v24
	v_addc_co_u32_e64 v26, s[4:5], v26, v23, s[4:5]
	v_cmp_lt_u32_e64 s[4:5], 3, v1
	;; [unrolled: 8-line block ×3, first 2 shown]
	v_cndmask_b32_e64 v27, v16, v25, s[4:5]
	v_cndmask_b32_e64 v1, v23, v26, s[4:5]
	;; [unrolled: 1-line block ×3, first 2 shown]
	v_mov_b32_dpp v23, v27 row_bcast:15 row_mask:0xf bank_mask:0xf
	v_mov_b32_dpp v24, v1 row_bcast:15 row_mask:0xf bank_mask:0xf
	v_add_co_u32_e64 v23, s[4:5], v23, v16
	v_and_b32_e32 v26, 16, v17
	v_addc_co_u32_e64 v25, s[4:5], v24, v1, s[4:5]
	v_cmp_eq_u32_e64 s[4:5], 0, v26
	v_cndmask_b32_e64 v26, v25, v1, s[4:5]
	v_cndmask_b32_e64 v24, v23, v27, s[4:5]
	v_cmp_ne_u32_e64 s[6:7], 0, v17
	v_mov_b32_dpp v26, v26 row_bcast:31 row_mask:0xf bank_mask:0xf
	v_mov_b32_dpp v24, v24 row_bcast:31 row_mask:0xf bank_mask:0xf
	s_and_saveexec_b64 s[22:23], s[6:7]
; %bb.25:
	v_cndmask_b32_e64 v1, v25, v1, s[4:5]
	v_cndmask_b32_e64 v16, v23, v16, s[4:5]
	v_cmp_lt_u32_e64 s[4:5], 31, v17
	v_cndmask_b32_e64 v21, 0, v24, s[4:5]
	v_cndmask_b32_e64 v22, 0, v26, s[4:5]
	v_add_co_u32_e64 v21, s[4:5], v21, v16
	v_addc_co_u32_e64 v22, s[4:5], v22, v1, s[4:5]
; %bb.26:
	s_or_b64 exec, exec, s[22:23]
	v_add_u32_e32 v1, -1, v17
	v_and_b32_e32 v16, 64, v17
	v_cmp_lt_i32_e64 s[4:5], v1, v16
	v_cndmask_b32_e64 v1, v1, v17, s[4:5]
	v_lshlrev_b32_e32 v1, 2, v1
	ds_bpermute_b32 v16, v1, v21
	ds_bpermute_b32 v1, v1, v22
	; wave barrier
	s_waitcnt lgkmcnt(1)
	v_add_co_u32_e64 v14, s[4:5], v14, v16
	v_addc_co_u32_e64 v15, s[4:5], 0, v15, s[4:5]
	v_add_co_u32_e64 v14, s[4:5], 0, v14
	s_waitcnt lgkmcnt(0)
	v_addc_co_u32_e64 v1, s[4:5], v15, v1, s[4:5]
	v_cndmask_b32_e64 v15, v1, v19, s[2:3]
	v_cndmask_b32_e64 v14, v14, v18, s[2:3]
	ds_write_b64 v20, v[14:15]
	; wave barrier
	ds_read_b64 v[16:17], v20 offset:8
	s_waitcnt lgkmcnt(0)
	v_add_co_u32_e64 v14, s[4:5], v16, v14
	v_addc_co_u32_e64 v15, s[4:5], v17, v15, s[4:5]
	ds_write_b64 v20, v[14:15] offset:8
.LBB5170_27:
	s_or_b64 exec, exec, s[8:9]
	v_pk_mov_b32 v[22:23], 0, 0
	s_waitcnt lgkmcnt(0)
	s_barrier
	s_and_saveexec_b64 s[4:5], s[0:1]
	s_cbranch_execz .LBB5170_29
; %bb.28:
	v_add_u32_e32 v1, -1, v0
	v_lshrrev_b32_e32 v14, 5, v1
	v_add_lshl_u32 v1, v14, v1, 3
	ds_read_b64 v[22:23], v1
.LBB5170_29:
	s_or_b64 exec, exec, s[4:5]
	s_and_saveexec_b64 s[22:23], vcc
	s_cbranch_execz .LBB5170_52
; %bb.30:
	v_mov_b32_e32 v17, 0
	ds_read_b64 v[14:15], v17 offset:1040
	v_mbcnt_lo_u32_b32 v1, -1, 0
	v_mbcnt_hi_u32_b32 v30, -1, v1
	s_mov_b32 s9, 0
	v_cmp_eq_u32_e64 s[4:5], 0, v30
	s_and_saveexec_b64 s[6:7], s[4:5]
	s_cbranch_execz .LBB5170_32
; %bb.31:
	s_add_i32 s8, s26, 64
	s_lshl_b64 s[8:9], s[8:9], 4
	s_add_u32 s8, s20, s8
	s_addc_u32 s9, s21, s9
	v_mov_b32_e32 v16, 1
	v_pk_mov_b32 v[18:19], s[8:9], s[8:9] op_sel:[0,1]
	s_waitcnt lgkmcnt(0)
	;;#ASMSTART
	global_store_dwordx4 v[18:19], v[14:17] off	
s_waitcnt vmcnt(0)
	;;#ASMEND
.LBB5170_32:
	s_or_b64 exec, exec, s[6:7]
	v_xad_u32 v24, v30, -1, s26
	v_add_u32_e32 v16, 64, v24
	v_lshlrev_b64 v[18:19], 4, v[16:17]
	v_mov_b32_e32 v1, s21
	v_add_co_u32_e32 v26, vcc, s20, v18
	v_addc_co_u32_e32 v27, vcc, v1, v19, vcc
	;;#ASMSTART
	global_load_dwordx4 v[18:21], v[26:27] off glc	
s_waitcnt vmcnt(0)
	;;#ASMEND
	v_and_b32_e32 v1, 0xff, v19
	v_and_b32_e32 v16, 0xff00, v19
	v_or3_b32 v1, 0, v1, v16
	v_or3_b32 v16, v18, 0, 0
	v_and_b32_e32 v18, 0xff000000, v19
	v_and_b32_e32 v19, 0xff0000, v19
	v_or3_b32 v19, v1, v19, v18
	v_or3_b32 v18, v16, 0, 0
	v_cmp_eq_u16_sdwa s[8:9], v20, v17 src0_sel:BYTE_0 src1_sel:DWORD
	s_and_saveexec_b64 s[6:7], s[8:9]
	s_cbranch_execz .LBB5170_38
; %bb.33:
	s_mov_b32 s27, 1
	s_mov_b64 s[8:9], 0
	v_mov_b32_e32 v1, 0
.LBB5170_34:                            ; =>This Loop Header: Depth=1
                                        ;     Child Loop BB5170_35 Depth 2
	s_max_u32 s28, s27, 1
.LBB5170_35:                            ;   Parent Loop BB5170_34 Depth=1
                                        ; =>  This Inner Loop Header: Depth=2
	s_add_i32 s28, s28, -1
	s_cmp_eq_u32 s28, 0
	s_sleep 1
	s_cbranch_scc0 .LBB5170_35
; %bb.36:                               ;   in Loop: Header=BB5170_34 Depth=1
	s_cmp_lt_u32 s27, 32
	s_cselect_b64 s[28:29], -1, 0
	s_cmp_lg_u64 s[28:29], 0
	s_addc_u32 s27, s27, 0
	;;#ASMSTART
	global_load_dwordx4 v[18:21], v[26:27] off glc	
s_waitcnt vmcnt(0)
	;;#ASMEND
	v_cmp_ne_u16_sdwa s[28:29], v20, v1 src0_sel:BYTE_0 src1_sel:DWORD
	s_or_b64 s[8:9], s[28:29], s[8:9]
	s_andn2_b64 exec, exec, s[8:9]
	s_cbranch_execnz .LBB5170_34
; %bb.37:
	s_or_b64 exec, exec, s[8:9]
.LBB5170_38:
	s_or_b64 exec, exec, s[6:7]
	v_and_b32_e32 v32, 63, v30
	v_cmp_ne_u32_e32 vcc, 63, v32
	v_addc_co_u32_e32 v26, vcc, 0, v30, vcc
	v_lshlrev_b32_e32 v33, 2, v26
	ds_bpermute_b32 v26, v33, v18
	v_mov_b32_e32 v1, 2
	v_cmp_eq_u16_sdwa s[6:7], v20, v1 src0_sel:BYTE_0 src1_sel:DWORD
	v_lshlrev_b64 v[16:17], v30, -1
	ds_bpermute_b32 v27, v33, v19
	v_and_b32_e32 v21, s7, v17
	v_or_b32_e32 v21, 0x80000000, v21
	s_waitcnt lgkmcnt(1)
	v_add_co_u32_e32 v26, vcc, v18, v26
	v_and_b32_e32 v25, s6, v16
	v_ffbl_b32_e32 v21, v21
	v_addc_co_u32_e32 v31, vcc, 0, v19, vcc
	v_add_u32_e32 v21, 32, v21
	v_ffbl_b32_e32 v25, v25
	v_add_co_u32_e32 v35, vcc, 0, v26
	v_cmp_gt_u32_e64 s[6:7], 62, v32
	v_min_u32_e32 v21, v25, v21
	s_waitcnt lgkmcnt(0)
	v_addc_co_u32_e32 v27, vcc, v27, v31, vcc
	v_cndmask_b32_e64 v31, 0, 1, s[6:7]
	v_cmp_lt_u32_e32 vcc, v32, v21
	v_lshlrev_b32_e32 v31, 1, v31
	v_cndmask_b32_e32 v26, v18, v26, vcc
	v_add_lshl_u32 v34, v31, v30, 2
	v_cndmask_b32_e32 v27, v19, v27, vcc
	ds_bpermute_b32 v31, v34, v26
	ds_bpermute_b32 v38, v34, v27
	v_cndmask_b32_e32 v39, v18, v35, vcc
	v_add_u32_e32 v35, 2, v32
	v_cmp_gt_u32_e64 s[8:9], 60, v32
	s_waitcnt lgkmcnt(1)
	v_add_co_u32_e64 v31, s[6:7], v31, v39
	s_waitcnt lgkmcnt(0)
	v_addc_co_u32_e64 v38, s[6:7], v38, v27, s[6:7]
	v_cmp_gt_u32_e64 s[6:7], v35, v21
	v_cndmask_b32_e64 v27, v38, v27, s[6:7]
	v_cndmask_b32_e64 v38, 0, 1, s[8:9]
	v_lshlrev_b32_e32 v38, 2, v38
	v_cndmask_b32_e64 v26, v31, v26, s[6:7]
	v_add_lshl_u32 v38, v38, v30, 2
	ds_bpermute_b32 v40, v38, v26
	ds_bpermute_b32 v41, v38, v27
	v_cndmask_b32_e64 v31, v31, v39, s[6:7]
	v_add_u32_e32 v39, 4, v32
	v_cmp_gt_u32_e64 s[8:9], 56, v32
	s_waitcnt lgkmcnt(1)
	v_add_co_u32_e64 v42, s[6:7], v40, v31
	s_waitcnt lgkmcnt(0)
	v_addc_co_u32_e64 v40, s[6:7], v41, v27, s[6:7]
	v_cmp_gt_u32_e64 s[6:7], v39, v21
	v_cndmask_b32_e64 v27, v40, v27, s[6:7]
	v_cndmask_b32_e64 v40, 0, 1, s[8:9]
	v_lshlrev_b32_e32 v40, 3, v40
	v_cndmask_b32_e64 v26, v42, v26, s[6:7]
	v_add_lshl_u32 v40, v40, v30, 2
	ds_bpermute_b32 v43, v40, v26
	v_cndmask_b32_e64 v31, v42, v31, s[6:7]
	ds_bpermute_b32 v42, v40, v27
	v_add_u32_e32 v41, 8, v32
	v_cmp_gt_u32_e64 s[8:9], 48, v32
	s_waitcnt lgkmcnt(1)
	v_add_co_u32_e64 v43, s[6:7], v43, v31
	s_waitcnt lgkmcnt(0)
	v_addc_co_u32_e64 v42, s[6:7], v42, v27, s[6:7]
	v_cmp_gt_u32_e64 s[6:7], v41, v21
	v_cndmask_b32_e64 v27, v42, v27, s[6:7]
	v_cndmask_b32_e64 v42, 0, 1, s[8:9]
	v_lshlrev_b32_e32 v42, 4, v42
	v_cndmask_b32_e64 v26, v43, v26, s[6:7]
	v_add_lshl_u32 v42, v42, v30, 2
	ds_bpermute_b32 v44, v42, v26
	ds_bpermute_b32 v45, v42, v27
	v_cndmask_b32_e64 v31, v43, v31, s[6:7]
	v_cmp_gt_u32_e64 s[8:9], 32, v32
	v_add_u32_e32 v43, 16, v32
	s_waitcnt lgkmcnt(1)
	v_add_co_u32_e64 v46, s[6:7], v44, v31
	s_waitcnt lgkmcnt(0)
	v_addc_co_u32_e64 v45, s[6:7], v45, v27, s[6:7]
	v_cndmask_b32_e64 v44, 0, 1, s[8:9]
	v_cmp_gt_u32_e64 s[6:7], v43, v21
	v_lshlrev_b32_e32 v44, 5, v44
	v_cndmask_b32_e64 v26, v46, v26, s[6:7]
	v_add_lshl_u32 v44, v44, v30, 2
	v_cndmask_b32_e64 v27, v45, v27, s[6:7]
	ds_bpermute_b32 v26, v44, v26
	ds_bpermute_b32 v30, v44, v27
	v_add_u32_e32 v45, 32, v32
	v_cndmask_b32_e64 v31, v46, v31, s[6:7]
	v_cmp_le_u32_e64 s[6:7], v45, v21
	s_waitcnt lgkmcnt(1)
	v_cndmask_b32_e64 v26, 0, v26, s[6:7]
	s_waitcnt lgkmcnt(0)
	v_cndmask_b32_e64 v21, 0, v30, s[6:7]
	v_add_co_u32_e64 v26, s[6:7], v26, v31
	v_addc_co_u32_e64 v21, s[6:7], v21, v27, s[6:7]
	v_mov_b32_e32 v25, 0
	v_cndmask_b32_e32 v19, v19, v21, vcc
	v_cndmask_b32_e32 v18, v18, v26, vcc
	s_branch .LBB5170_40
.LBB5170_39:                            ;   in Loop: Header=BB5170_40 Depth=1
	s_or_b64 exec, exec, s[6:7]
	v_cmp_eq_u16_sdwa s[6:7], v20, v1 src0_sel:BYTE_0 src1_sel:DWORD
	v_and_b32_e32 v21, s7, v17
	v_or_b32_e32 v21, 0x80000000, v21
	ds_bpermute_b32 v31, v33, v18
	v_and_b32_e32 v30, s6, v16
	v_ffbl_b32_e32 v21, v21
	v_add_u32_e32 v21, 32, v21
	v_ffbl_b32_e32 v30, v30
	v_min_u32_e32 v21, v30, v21
	ds_bpermute_b32 v30, v33, v19
	s_waitcnt lgkmcnt(1)
	v_add_co_u32_e32 v31, vcc, v18, v31
	v_addc_co_u32_e32 v46, vcc, 0, v19, vcc
	v_add_co_u32_e32 v47, vcc, 0, v31
	s_waitcnt lgkmcnt(0)
	v_addc_co_u32_e32 v30, vcc, v30, v46, vcc
	v_cmp_lt_u32_e32 vcc, v32, v21
	v_cndmask_b32_e32 v31, v18, v31, vcc
	ds_bpermute_b32 v46, v34, v31
	v_cndmask_b32_e32 v30, v19, v30, vcc
	ds_bpermute_b32 v48, v34, v30
	v_cndmask_b32_e32 v47, v18, v47, vcc
	v_subrev_u32_e32 v24, 64, v24
	s_waitcnt lgkmcnt(1)
	v_add_co_u32_e64 v46, s[6:7], v46, v47
	s_waitcnt lgkmcnt(0)
	v_addc_co_u32_e64 v48, s[6:7], v48, v30, s[6:7]
	v_cmp_gt_u32_e64 s[6:7], v35, v21
	v_cndmask_b32_e64 v31, v46, v31, s[6:7]
	ds_bpermute_b32 v49, v38, v31
	v_cndmask_b32_e64 v30, v48, v30, s[6:7]
	ds_bpermute_b32 v48, v38, v30
	v_cndmask_b32_e64 v46, v46, v47, s[6:7]
	s_waitcnt lgkmcnt(1)
	v_add_co_u32_e64 v47, s[6:7], v49, v46
	s_waitcnt lgkmcnt(0)
	v_addc_co_u32_e64 v48, s[6:7], v48, v30, s[6:7]
	v_cmp_gt_u32_e64 s[6:7], v39, v21
	v_cndmask_b32_e64 v31, v47, v31, s[6:7]
	ds_bpermute_b32 v49, v40, v31
	v_cndmask_b32_e64 v30, v48, v30, s[6:7]
	ds_bpermute_b32 v48, v40, v30
	v_cndmask_b32_e64 v46, v47, v46, s[6:7]
	;; [unrolled: 10-line block ×3, first 2 shown]
	s_waitcnt lgkmcnt(1)
	v_add_co_u32_e64 v47, s[6:7], v49, v46
	s_waitcnt lgkmcnt(0)
	v_addc_co_u32_e64 v48, s[6:7], v48, v30, s[6:7]
	v_cmp_gt_u32_e64 s[6:7], v43, v21
	v_cndmask_b32_e64 v31, v47, v31, s[6:7]
	v_cndmask_b32_e64 v30, v48, v30, s[6:7]
	ds_bpermute_b32 v31, v44, v31
	ds_bpermute_b32 v48, v44, v30
	v_cndmask_b32_e64 v46, v47, v46, s[6:7]
	v_cmp_le_u32_e64 s[6:7], v45, v21
	s_waitcnt lgkmcnt(1)
	v_cndmask_b32_e64 v31, 0, v31, s[6:7]
	s_waitcnt lgkmcnt(0)
	v_cndmask_b32_e64 v21, 0, v48, s[6:7]
	v_add_co_u32_e64 v31, s[6:7], v31, v46
	v_addc_co_u32_e64 v21, s[6:7], v21, v30, s[6:7]
	v_cndmask_b32_e32 v18, v18, v31, vcc
	v_cndmask_b32_e32 v19, v19, v21, vcc
	v_add_co_u32_e32 v18, vcc, v18, v26
	v_addc_co_u32_e32 v19, vcc, v19, v27, vcc
.LBB5170_40:                            ; =>This Loop Header: Depth=1
                                        ;     Child Loop BB5170_43 Depth 2
                                        ;       Child Loop BB5170_44 Depth 3
	v_cmp_ne_u16_sdwa s[6:7], v20, v1 src0_sel:BYTE_0 src1_sel:DWORD
	v_cndmask_b32_e64 v20, 0, 1, s[6:7]
	;;#ASMSTART
	;;#ASMEND
	v_cmp_ne_u32_e32 vcc, 0, v20
	s_cmp_lg_u64 vcc, exec
	v_pk_mov_b32 v[26:27], v[18:19], v[18:19] op_sel:[0,1]
	s_cbranch_scc1 .LBB5170_47
; %bb.41:                               ;   in Loop: Header=BB5170_40 Depth=1
	v_lshlrev_b64 v[18:19], 4, v[24:25]
	v_mov_b32_e32 v20, s21
	v_add_co_u32_e32 v30, vcc, s20, v18
	v_addc_co_u32_e32 v31, vcc, v20, v19, vcc
	;;#ASMSTART
	global_load_dwordx4 v[18:21], v[30:31] off glc	
s_waitcnt vmcnt(0)
	;;#ASMEND
	v_and_b32_e32 v21, 0xff, v19
	v_and_b32_e32 v46, 0xff00, v19
	v_or3_b32 v21, 0, v21, v46
	v_or3_b32 v18, v18, 0, 0
	v_and_b32_e32 v46, 0xff000000, v19
	v_and_b32_e32 v19, 0xff0000, v19
	v_or3_b32 v19, v21, v19, v46
	v_or3_b32 v18, v18, 0, 0
	v_cmp_eq_u16_sdwa s[8:9], v20, v25 src0_sel:BYTE_0 src1_sel:DWORD
	s_and_saveexec_b64 s[6:7], s[8:9]
	s_cbranch_execz .LBB5170_39
; %bb.42:                               ;   in Loop: Header=BB5170_40 Depth=1
	s_mov_b32 s27, 1
	s_mov_b64 s[8:9], 0
.LBB5170_43:                            ;   Parent Loop BB5170_40 Depth=1
                                        ; =>  This Loop Header: Depth=2
                                        ;       Child Loop BB5170_44 Depth 3
	s_max_u32 s28, s27, 1
.LBB5170_44:                            ;   Parent Loop BB5170_40 Depth=1
                                        ;     Parent Loop BB5170_43 Depth=2
                                        ; =>    This Inner Loop Header: Depth=3
	s_add_i32 s28, s28, -1
	s_cmp_eq_u32 s28, 0
	s_sleep 1
	s_cbranch_scc0 .LBB5170_44
; %bb.45:                               ;   in Loop: Header=BB5170_43 Depth=2
	s_cmp_lt_u32 s27, 32
	s_cselect_b64 s[28:29], -1, 0
	s_cmp_lg_u64 s[28:29], 0
	s_addc_u32 s27, s27, 0
	;;#ASMSTART
	global_load_dwordx4 v[18:21], v[30:31] off glc	
s_waitcnt vmcnt(0)
	;;#ASMEND
	v_cmp_ne_u16_sdwa s[28:29], v20, v25 src0_sel:BYTE_0 src1_sel:DWORD
	s_or_b64 s[8:9], s[28:29], s[8:9]
	s_andn2_b64 exec, exec, s[8:9]
	s_cbranch_execnz .LBB5170_43
; %bb.46:                               ;   in Loop: Header=BB5170_40 Depth=1
	s_or_b64 exec, exec, s[8:9]
	s_branch .LBB5170_39
.LBB5170_47:                            ;   in Loop: Header=BB5170_40 Depth=1
                                        ; implicit-def: $vgpr18_vgpr19
                                        ; implicit-def: $vgpr20
	s_cbranch_execz .LBB5170_40
; %bb.48:
	s_and_saveexec_b64 s[6:7], s[4:5]
	s_cbranch_execz .LBB5170_50
; %bb.49:
	s_add_i32 s4, s26, 64
	s_mov_b32 s5, 0
	s_lshl_b64 s[4:5], s[4:5], 4
	s_add_u32 s4, s20, s4
	v_add_co_u32_e32 v14, vcc, v26, v14
	s_addc_u32 s5, s21, s5
	v_addc_co_u32_e32 v15, vcc, v27, v15, vcc
	v_mov_b32_e32 v16, 2
	v_mov_b32_e32 v17, 0
	v_pk_mov_b32 v[18:19], s[4:5], s[4:5] op_sel:[0,1]
	;;#ASMSTART
	global_store_dwordx4 v[18:19], v[14:17] off	
s_waitcnt vmcnt(0)
	;;#ASMEND
.LBB5170_50:
	s_or_b64 exec, exec, s[6:7]
	s_and_b64 exec, exec, s[2:3]
	s_cbranch_execz .LBB5170_52
; %bb.51:
	v_mov_b32_e32 v1, 0
	ds_write_b64 v1, v[26:27]
.LBB5170_52:
	s_or_b64 exec, exec, s[22:23]
	v_mov_b32_e32 v1, 0
	s_waitcnt lgkmcnt(0)
	s_barrier
	ds_read_b64 v[14:15], v1
	v_add_co_u32_e32 v1, vcc, v22, v2
	v_addc_co_u32_e32 v16, vcc, v23, v3, vcc
	s_waitcnt lgkmcnt(0)
	v_add_co_u32_e32 v24, vcc, v1, v14
	v_addc_co_u32_e32 v25, vcc, v16, v15, vcc
	v_add_co_u32_e32 v30, vcc, v24, v4
	v_addc_co_u32_e32 v31, vcc, v25, v5, vcc
	;; [unrolled: 2-line block ×7, first 2 shown]
	s_branch .LBB5170_67
.LBB5170_53:
                                        ; implicit-def: $vgpr22_vgpr23
                                        ; implicit-def: $vgpr34_vgpr35
                                        ; implicit-def: $vgpr32_vgpr33
                                        ; implicit-def: $vgpr30_vgpr31
                                        ; implicit-def: $vgpr18_vgpr19_vgpr20_vgpr21
                                        ; implicit-def: $vgpr14_vgpr15_vgpr16_vgpr17
                                        ; implicit-def: $vgpr24_vgpr25_vgpr26_vgpr27
	s_cbranch_execz .LBB5170_67
; %bb.54:
	s_cmp_lg_u64 s[16:17], 0
	s_cselect_b64 s[4:5], -1, 0
	s_and_b64 s[6:7], s[2:3], s[4:5]
	s_and_saveexec_b64 s[4:5], s[6:7]
	s_cbranch_execz .LBB5170_56
; %bb.55:
	v_mov_b32_e32 v1, 0
	global_load_dwordx2 v[14:15], v1, s[12:13]
	s_waitcnt vmcnt(0)
	v_add_co_u32_e32 v2, vcc, v14, v2
	v_addc_co_u32_e32 v3, vcc, v15, v3, vcc
.LBB5170_56:
	s_or_b64 exec, exec, s[4:5]
	v_add_co_u32_e32 v30, vcc, v4, v2
	v_addc_co_u32_e32 v31, vcc, v5, v3, vcc
	v_add_co_u32_e32 v14, vcc, v30, v10
	v_addc_co_u32_e32 v15, vcc, v31, v11, vcc
	;; [unrolled: 2-line block ×6, first 2 shown]
	v_add_lshl_u32 v1, v37, v0, 3
	v_cmp_gt_u32_e32 vcc, 64, v0
	ds_write_b64 v1, v[22:23]
	s_waitcnt lgkmcnt(0)
	s_barrier
	s_and_saveexec_b64 s[6:7], vcc
	s_cbranch_execz .LBB5170_60
; %bb.57:
	v_lshlrev_b32_e32 v1, 1, v0
	v_lshrrev_b32_e32 v16, 4, v0
	v_add_lshl_u32 v17, v16, v1, 3
	ds_read2_b64 v[24:27], v17 offset1:1
	v_mbcnt_lo_u32_b32 v1, -1, 0
	v_mbcnt_hi_u32_b32 v20, -1, v1
	v_and_b32_e32 v1, 15, v20
	v_cmp_ne_u32_e64 s[4:5], 0, v20
	s_waitcnt lgkmcnt(0)
	v_add_co_u32_e32 v21, vcc, v26, v24
	v_addc_co_u32_e32 v26, vcc, v27, v25, vcc
	s_nop 0
	v_mov_b32_dpp v16, v21 row_shr:1 row_mask:0xf bank_mask:0xf
	v_add_co_u32_e32 v16, vcc, v21, v16
	v_addc_co_u32_e32 v37, vcc, 0, v26, vcc
	v_mov_b32_dpp v27, v26 row_shr:1 row_mask:0xf bank_mask:0xf
	v_add_co_u32_e32 v38, vcc, 0, v16
	v_addc_co_u32_e32 v27, vcc, v27, v37, vcc
	v_cmp_eq_u32_e32 vcc, 0, v1
	v_cndmask_b32_e32 v16, v16, v21, vcc
	v_cndmask_b32_e32 v27, v27, v26, vcc
	v_cndmask_b32_e32 v37, v38, v21, vcc
	v_mov_b32_dpp v38, v16 row_shr:2 row_mask:0xf bank_mask:0xf
	v_mov_b32_dpp v39, v27 row_shr:2 row_mask:0xf bank_mask:0xf
	v_add_co_u32_e32 v38, vcc, v38, v37
	v_addc_co_u32_e32 v39, vcc, v39, v27, vcc
	v_cmp_lt_u32_e32 vcc, 1, v1
	v_cndmask_b32_e32 v16, v16, v38, vcc
	v_cndmask_b32_e32 v27, v27, v39, vcc
	v_cndmask_b32_e32 v37, v37, v38, vcc
	v_mov_b32_dpp v38, v16 row_shr:4 row_mask:0xf bank_mask:0xf
	v_mov_b32_dpp v39, v27 row_shr:4 row_mask:0xf bank_mask:0xf
	v_add_co_u32_e32 v38, vcc, v38, v37
	v_addc_co_u32_e32 v39, vcc, v39, v27, vcc
	v_cmp_lt_u32_e32 vcc, 3, v1
	;; [unrolled: 8-line block ×3, first 2 shown]
	v_cndmask_b32_e32 v40, v16, v38, vcc
	v_cndmask_b32_e32 v1, v27, v39, vcc
	;; [unrolled: 1-line block ×3, first 2 shown]
	v_mov_b32_dpp v27, v40 row_bcast:15 row_mask:0xf bank_mask:0xf
	v_mov_b32_dpp v37, v1 row_bcast:15 row_mask:0xf bank_mask:0xf
	v_add_co_u32_e32 v27, vcc, v27, v16
	v_and_b32_e32 v39, 16, v20
	v_addc_co_u32_e32 v38, vcc, v37, v1, vcc
	v_cmp_eq_u32_e32 vcc, 0, v39
	v_cndmask_b32_e32 v39, v38, v1, vcc
	v_cndmask_b32_e32 v37, v27, v40, vcc
	s_nop 0
	v_mov_b32_dpp v39, v39 row_bcast:31 row_mask:0xf bank_mask:0xf
	v_mov_b32_dpp v37, v37 row_bcast:31 row_mask:0xf bank_mask:0xf
	s_and_saveexec_b64 s[8:9], s[4:5]
; %bb.58:
	v_cndmask_b32_e32 v1, v38, v1, vcc
	v_cndmask_b32_e32 v16, v27, v16, vcc
	v_cmp_lt_u32_e32 vcc, 31, v20
	v_cndmask_b32_e32 v21, 0, v37, vcc
	v_cndmask_b32_e32 v26, 0, v39, vcc
	v_add_co_u32_e32 v21, vcc, v21, v16
	v_addc_co_u32_e32 v26, vcc, v26, v1, vcc
; %bb.59:
	s_or_b64 exec, exec, s[8:9]
	v_add_u32_e32 v1, -1, v20
	v_and_b32_e32 v16, 64, v20
	v_cmp_lt_i32_e32 vcc, v1, v16
	v_cndmask_b32_e32 v1, v1, v20, vcc
	v_lshlrev_b32_e32 v1, 2, v1
	ds_bpermute_b32 v16, v1, v21
	ds_bpermute_b32 v1, v1, v26
	; wave barrier
	s_waitcnt lgkmcnt(1)
	v_add_co_u32_e32 v16, vcc, v24, v16
	v_addc_co_u32_e32 v20, vcc, 0, v25, vcc
	v_add_co_u32_e32 v16, vcc, 0, v16
	s_waitcnt lgkmcnt(0)
	v_addc_co_u32_e32 v1, vcc, v20, v1, vcc
	v_cndmask_b32_e64 v21, v1, v23, s[2:3]
	v_cndmask_b32_e64 v20, v16, v22, s[2:3]
	ds_write_b64 v17, v[20:21]
	; wave barrier
	ds_read_b64 v[24:25], v17 offset:8
	s_waitcnt lgkmcnt(0)
	v_add_co_u32_e32 v20, vcc, v24, v20
	v_addc_co_u32_e32 v21, vcc, v25, v21, vcc
	ds_write_b64 v17, v[20:21] offset:8
.LBB5170_60:
	s_or_b64 exec, exec, s[6:7]
	v_pk_mov_b32 v[16:17], v[22:23], v[22:23] op_sel:[0,1]
	s_waitcnt lgkmcnt(0)
	s_barrier
	s_and_saveexec_b64 s[2:3], s[0:1]
	s_cbranch_execz .LBB5170_62
; %bb.61:
	v_add_u32_e32 v1, -1, v0
	v_lshrrev_b32_e32 v16, 5, v1
	v_add_lshl_u32 v1, v16, v1, 3
	ds_read_b64 v[16:17], v1
.LBB5170_62:
	s_or_b64 exec, exec, s[2:3]
	s_and_saveexec_b64 s[2:3], s[0:1]
	s_cbranch_execz .LBB5170_64
; %bb.63:
	s_waitcnt lgkmcnt(0)
	v_add_co_u32_e32 v2, vcc, v16, v2
	v_addc_co_u32_e32 v3, vcc, v17, v3, vcc
	v_add_co_u32_e32 v30, vcc, v2, v4
	v_addc_co_u32_e32 v31, vcc, v3, v5, vcc
	;; [unrolled: 2-line block ×7, first 2 shown]
	;;#ASMSTART
	;;#ASMEND
.LBB5170_64:
	s_or_b64 exec, exec, s[2:3]
	s_movk_i32 s0, 0x7f
	v_cmp_eq_u32_e32 vcc, s0, v0
	s_and_saveexec_b64 s[0:1], vcc
	s_cbranch_execz .LBB5170_66
; %bb.65:
	s_add_u32 s2, s20, 0x400
	s_addc_u32 s3, s21, 0
	v_mov_b32_e32 v24, 2
	v_mov_b32_e32 v25, 0
	v_pk_mov_b32 v[4:5], s[2:3], s[2:3] op_sel:[0,1]
	;;#ASMSTART
	global_store_dwordx4 v[4:5], v[22:25] off	
s_waitcnt vmcnt(0)
	;;#ASMEND
.LBB5170_66:
	s_or_b64 exec, exec, s[0:1]
	v_pk_mov_b32 v[24:25], v[2:3], v[2:3] op_sel:[0,1]
.LBB5170_67:
	v_mul_u32_u24_e32 v2, 56, v0
	s_mov_b64 s[0:1], -1
	s_and_b64 vcc, exec, s[10:11]
	s_waitcnt lgkmcnt(0)
	s_barrier
	ds_write2_b64 v2, v[24:25], v[30:31] offset1:1
	ds_write2_b64 v2, v[14:15], v[32:33] offset0:2 offset1:3
	ds_write2_b64 v2, v[18:19], v[34:35] offset0:4 offset1:5
	ds_write_b64 v2, v[22:23] offset:48
	s_waitcnt lgkmcnt(0)
	s_cbranch_vccz .LBB5170_69
; %bb.68:
	s_barrier
	s_mov_b64 s[0:1], 0
.LBB5170_69:
	s_andn2_b64 vcc, exec, s[0:1]
	s_cbranch_vccnz .LBB5170_94
; %bb.70:
	v_cmp_lt_u64_e64 s[0:1], s[18:19], 2
	s_and_b64 vcc, exec, s[0:1]
	s_barrier
	s_cbranch_vccnz .LBB5170_94
; %bb.71:
	s_add_u32 s0, s24, -1
	s_addc_u32 s1, s25, -1
	s_add_u32 s2, 0, 0x92481000
	s_addc_u32 s3, 0, 0x64
	s_add_i32 s3, s3, 0x249248c0
	s_mul_hi_u32 s7, s2, -7
	s_sub_i32 s7, s7, s2
	s_mul_i32 s8, s3, -7
	s_mul_i32 s4, s2, -7
	s_add_i32 s7, s7, s8
	s_mul_hi_u32 s5, s3, s4
	s_mul_i32 s6, s3, s4
	s_mul_i32 s9, s2, s7
	s_mul_hi_u32 s4, s2, s4
	s_mul_hi_u32 s8, s2, s7
	s_add_u32 s4, s4, s9
	s_addc_u32 s8, 0, s8
	s_add_u32 s4, s4, s6
	s_mul_hi_u32 s9, s3, s7
	s_addc_u32 s4, s8, s5
	s_addc_u32 s5, s9, 0
	s_mul_i32 s6, s3, s7
	s_add_u32 s4, s4, s6
	v_mov_b32_e32 v3, s4
	s_addc_u32 s5, 0, s5
	v_add_co_u32_e32 v3, vcc, s2, v3
	s_cmp_lg_u64 vcc, 0
	s_addc_u32 s2, s3, s5
	v_readfirstlane_b32 s5, v3
	s_mul_i32 s4, s0, s2
	s_mul_hi_u32 s6, s0, s5
	s_mul_hi_u32 s3, s0, s2
	s_add_u32 s4, s6, s4
	s_addc_u32 s3, 0, s3
	s_mul_hi_u32 s7, s1, s5
	s_mul_i32 s5, s1, s5
	s_add_u32 s4, s4, s5
	s_mul_hi_u32 s6, s1, s2
	s_addc_u32 s3, s3, s7
	s_addc_u32 s4, s6, 0
	s_mul_i32 s2, s1, s2
	s_add_u32 s2, s3, s2
	s_addc_u32 s3, 0, s4
	s_add_u32 s4, s2, 1
	s_addc_u32 s5, s3, 0
	s_add_u32 s6, s2, 2
	s_mul_i32 s8, s3, 7
	s_mul_hi_u32 s9, s2, 7
	s_addc_u32 s7, s3, 0
	s_add_i32 s9, s9, s8
	s_mul_i32 s8, s2, 7
	v_mov_b32_e32 v3, s8
	v_sub_co_u32_e32 v3, vcc, s0, v3
	s_cmp_lg_u64 vcc, 0
	s_subb_u32 s8, s1, s9
	v_subrev_co_u32_e32 v4, vcc, 7, v3
	s_cmp_lg_u64 vcc, 0
	s_subb_u32 s9, s8, 0
	v_readfirstlane_b32 s10, v4
	s_cmp_gt_u32 s10, 6
	s_cselect_b32 s10, -1, 0
	s_cmp_eq_u32 s9, 0
	s_cselect_b32 s9, s10, -1
	s_cmp_lg_u32 s9, 0
	s_cselect_b32 s4, s6, s4
	v_readfirstlane_b32 s6, v3
	s_cselect_b32 s5, s7, s5
	s_cmp_gt_u32 s6, 6
	s_cselect_b32 s6, -1, 0
	s_cmp_eq_u32 s8, 0
	s_cselect_b32 s6, s6, -1
	s_cmp_lg_u32 s6, 0
	v_mov_b32_e32 v1, 0
	s_cselect_b32 s3, s5, s3
	s_cselect_b32 s2, s4, s2
	v_cmp_eq_u64_e32 vcc, s[2:3], v[0:1]
	s_and_saveexec_b64 s[2:3], vcc
	s_cbranch_execz .LBB5170_94
; %bb.72:
	s_movk_i32 s2, 0xffd0
	v_mad_i32_i24 v2, v0, s2, v2
	v_mul_hi_u32_u24_e32 v1, 7, v0
	v_mov_b32_e32 v3, s1
	v_sub_co_u32_e32 v0, vcc, s0, v36
	v_subb_co_u32_e32 v1, vcc, v3, v1, vcc
	v_cmp_lt_i64_e32 vcc, 3, v[0:1]
	s_and_saveexec_b64 s[0:1], vcc
	s_xor_b64 s[0:1], exec, s[0:1]
	s_cbranch_execz .LBB5170_82
; %bb.73:
	v_cmp_lt_i64_e32 vcc, 4, v[0:1]
	s_and_saveexec_b64 s[2:3], vcc
	s_xor_b64 s[2:3], exec, s[2:3]
	s_cbranch_execz .LBB5170_79
; %bb.74:
	v_cmp_lt_i64_e32 vcc, 5, v[0:1]
	s_and_saveexec_b64 s[4:5], vcc
	s_xor_b64 s[4:5], exec, s[4:5]
	s_cbranch_execz .LBB5170_76
; %bb.75:
	ds_read_b64 v[0:1], v2 offset:6144
	v_mov_b32_e32 v2, 0
	s_waitcnt lgkmcnt(0)
	global_store_dwordx2 v2, v[0:1], s[14:15]
                                        ; implicit-def: $vgpr2
.LBB5170_76:
	s_andn2_saveexec_b64 s[4:5], s[4:5]
	s_cbranch_execz .LBB5170_78
; %bb.77:
	ds_read_b64 v[0:1], v2 offset:5120
	v_mov_b32_e32 v2, 0
	s_waitcnt lgkmcnt(0)
	global_store_dwordx2 v2, v[0:1], s[14:15]
.LBB5170_78:
	s_or_b64 exec, exec, s[4:5]
                                        ; implicit-def: $vgpr2
.LBB5170_79:
	s_andn2_saveexec_b64 s[2:3], s[2:3]
	s_cbranch_execz .LBB5170_81
; %bb.80:
	ds_read_b64 v[0:1], v2 offset:4096
	v_mov_b32_e32 v2, 0
	s_waitcnt lgkmcnt(0)
	global_store_dwordx2 v2, v[0:1], s[14:15]
.LBB5170_81:
	s_or_b64 exec, exec, s[2:3]
                                        ; implicit-def: $vgpr0_vgpr1
                                        ; implicit-def: $vgpr2
.LBB5170_82:
	s_andn2_saveexec_b64 s[0:1], s[0:1]
	s_cbranch_execz .LBB5170_94
; %bb.83:
	v_cmp_lt_i64_e32 vcc, 1, v[0:1]
	s_and_saveexec_b64 s[0:1], vcc
	s_xor_b64 s[0:1], exec, s[0:1]
	s_cbranch_execz .LBB5170_89
; %bb.84:
	v_cmp_lt_i64_e32 vcc, 2, v[0:1]
	s_and_saveexec_b64 s[2:3], vcc
	s_xor_b64 s[2:3], exec, s[2:3]
	s_cbranch_execz .LBB5170_86
; %bb.85:
	ds_read_b64 v[0:1], v2 offset:3072
	v_mov_b32_e32 v2, 0
	s_waitcnt lgkmcnt(0)
	global_store_dwordx2 v2, v[0:1], s[14:15]
                                        ; implicit-def: $vgpr2
.LBB5170_86:
	s_andn2_saveexec_b64 s[2:3], s[2:3]
	s_cbranch_execz .LBB5170_88
; %bb.87:
	ds_read_b64 v[0:1], v2 offset:2048
	v_mov_b32_e32 v2, 0
	s_waitcnt lgkmcnt(0)
	global_store_dwordx2 v2, v[0:1], s[14:15]
.LBB5170_88:
	s_or_b64 exec, exec, s[2:3]
                                        ; implicit-def: $vgpr2
                                        ; implicit-def: $vgpr0_vgpr1
.LBB5170_89:
	s_andn2_saveexec_b64 s[0:1], s[0:1]
	s_cbranch_execz .LBB5170_94
; %bb.90:
	v_cmp_ne_u64_e32 vcc, 1, v[0:1]
	s_and_saveexec_b64 s[0:1], vcc
	s_xor_b64 s[0:1], exec, s[0:1]
	s_cbranch_execz .LBB5170_92
; %bb.91:
	ds_read_b64 v[0:1], v2
	v_mov_b32_e32 v2, 0
	s_waitcnt lgkmcnt(0)
	global_store_dwordx2 v2, v[0:1], s[14:15]
                                        ; implicit-def: $vgpr2
.LBB5170_92:
	s_andn2_saveexec_b64 s[0:1], s[0:1]
	s_cbranch_execz .LBB5170_94
; %bb.93:
	ds_read_b64 v[0:1], v2 offset:1024
	v_mov_b32_e32 v2, 0
	s_waitcnt lgkmcnt(0)
	global_store_dwordx2 v2, v[0:1], s[14:15]
.LBB5170_94:
	s_endpgm
	.section	.rodata,"a",@progbits
	.p2align	6, 0x0
	.amdhsa_kernel _ZN7rocprim17ROCPRIM_400000_NS6detail17trampoline_kernelINS0_14default_configENS1_20scan_config_selectorIyEEZZNS1_9scan_implILNS1_25lookback_scan_determinismE0ELb0ELb0ES3_N6thrust23THRUST_200600_302600_NS6detail15normal_iteratorINS9_10device_ptrIyEEEENS9_16discard_iteratorINS9_11use_defaultEEEyNS9_4plusIvEEyEEDaPvRmT3_T4_T5_mT6_P12ihipStream_tbENKUlT_T0_E_clISt17integral_constantIbLb1EESX_EEDaSS_ST_EUlSS_E_NS1_11comp_targetILNS1_3genE4ELNS1_11target_archE910ELNS1_3gpuE8ELNS1_3repE0EEENS1_30default_config_static_selectorELNS0_4arch9wavefront6targetE1EEEvT1_
		.amdhsa_group_segment_fixed_size 7168
		.amdhsa_private_segment_fixed_size 0
		.amdhsa_kernarg_size 112
		.amdhsa_user_sgpr_count 6
		.amdhsa_user_sgpr_private_segment_buffer 1
		.amdhsa_user_sgpr_dispatch_ptr 0
		.amdhsa_user_sgpr_queue_ptr 0
		.amdhsa_user_sgpr_kernarg_segment_ptr 1
		.amdhsa_user_sgpr_dispatch_id 0
		.amdhsa_user_sgpr_flat_scratch_init 0
		.amdhsa_user_sgpr_kernarg_preload_length 0
		.amdhsa_user_sgpr_kernarg_preload_offset 0
		.amdhsa_user_sgpr_private_segment_size 0
		.amdhsa_uses_dynamic_stack 0
		.amdhsa_system_sgpr_private_segment_wavefront_offset 0
		.amdhsa_system_sgpr_workgroup_id_x 1
		.amdhsa_system_sgpr_workgroup_id_y 0
		.amdhsa_system_sgpr_workgroup_id_z 0
		.amdhsa_system_sgpr_workgroup_info 0
		.amdhsa_system_vgpr_workitem_id 0
		.amdhsa_next_free_vgpr 50
		.amdhsa_next_free_sgpr 30
		.amdhsa_accum_offset 52
		.amdhsa_reserve_vcc 1
		.amdhsa_reserve_flat_scratch 0
		.amdhsa_float_round_mode_32 0
		.amdhsa_float_round_mode_16_64 0
		.amdhsa_float_denorm_mode_32 3
		.amdhsa_float_denorm_mode_16_64 3
		.amdhsa_dx10_clamp 1
		.amdhsa_ieee_mode 1
		.amdhsa_fp16_overflow 0
		.amdhsa_tg_split 0
		.amdhsa_exception_fp_ieee_invalid_op 0
		.amdhsa_exception_fp_denorm_src 0
		.amdhsa_exception_fp_ieee_div_zero 0
		.amdhsa_exception_fp_ieee_overflow 0
		.amdhsa_exception_fp_ieee_underflow 0
		.amdhsa_exception_fp_ieee_inexact 0
		.amdhsa_exception_int_div_zero 0
	.end_amdhsa_kernel
	.section	.text._ZN7rocprim17ROCPRIM_400000_NS6detail17trampoline_kernelINS0_14default_configENS1_20scan_config_selectorIyEEZZNS1_9scan_implILNS1_25lookback_scan_determinismE0ELb0ELb0ES3_N6thrust23THRUST_200600_302600_NS6detail15normal_iteratorINS9_10device_ptrIyEEEENS9_16discard_iteratorINS9_11use_defaultEEEyNS9_4plusIvEEyEEDaPvRmT3_T4_T5_mT6_P12ihipStream_tbENKUlT_T0_E_clISt17integral_constantIbLb1EESX_EEDaSS_ST_EUlSS_E_NS1_11comp_targetILNS1_3genE4ELNS1_11target_archE910ELNS1_3gpuE8ELNS1_3repE0EEENS1_30default_config_static_selectorELNS0_4arch9wavefront6targetE1EEEvT1_,"axG",@progbits,_ZN7rocprim17ROCPRIM_400000_NS6detail17trampoline_kernelINS0_14default_configENS1_20scan_config_selectorIyEEZZNS1_9scan_implILNS1_25lookback_scan_determinismE0ELb0ELb0ES3_N6thrust23THRUST_200600_302600_NS6detail15normal_iteratorINS9_10device_ptrIyEEEENS9_16discard_iteratorINS9_11use_defaultEEEyNS9_4plusIvEEyEEDaPvRmT3_T4_T5_mT6_P12ihipStream_tbENKUlT_T0_E_clISt17integral_constantIbLb1EESX_EEDaSS_ST_EUlSS_E_NS1_11comp_targetILNS1_3genE4ELNS1_11target_archE910ELNS1_3gpuE8ELNS1_3repE0EEENS1_30default_config_static_selectorELNS0_4arch9wavefront6targetE1EEEvT1_,comdat
.Lfunc_end5170:
	.size	_ZN7rocprim17ROCPRIM_400000_NS6detail17trampoline_kernelINS0_14default_configENS1_20scan_config_selectorIyEEZZNS1_9scan_implILNS1_25lookback_scan_determinismE0ELb0ELb0ES3_N6thrust23THRUST_200600_302600_NS6detail15normal_iteratorINS9_10device_ptrIyEEEENS9_16discard_iteratorINS9_11use_defaultEEEyNS9_4plusIvEEyEEDaPvRmT3_T4_T5_mT6_P12ihipStream_tbENKUlT_T0_E_clISt17integral_constantIbLb1EESX_EEDaSS_ST_EUlSS_E_NS1_11comp_targetILNS1_3genE4ELNS1_11target_archE910ELNS1_3gpuE8ELNS1_3repE0EEENS1_30default_config_static_selectorELNS0_4arch9wavefront6targetE1EEEvT1_, .Lfunc_end5170-_ZN7rocprim17ROCPRIM_400000_NS6detail17trampoline_kernelINS0_14default_configENS1_20scan_config_selectorIyEEZZNS1_9scan_implILNS1_25lookback_scan_determinismE0ELb0ELb0ES3_N6thrust23THRUST_200600_302600_NS6detail15normal_iteratorINS9_10device_ptrIyEEEENS9_16discard_iteratorINS9_11use_defaultEEEyNS9_4plusIvEEyEEDaPvRmT3_T4_T5_mT6_P12ihipStream_tbENKUlT_T0_E_clISt17integral_constantIbLb1EESX_EEDaSS_ST_EUlSS_E_NS1_11comp_targetILNS1_3genE4ELNS1_11target_archE910ELNS1_3gpuE8ELNS1_3repE0EEENS1_30default_config_static_selectorELNS0_4arch9wavefront6targetE1EEEvT1_
                                        ; -- End function
	.section	.AMDGPU.csdata,"",@progbits
; Kernel info:
; codeLenInByte = 5292
; NumSgprs: 34
; NumVgprs: 50
; NumAgprs: 0
; TotalNumVgprs: 50
; ScratchSize: 0
; MemoryBound: 0
; FloatMode: 240
; IeeeMode: 1
; LDSByteSize: 7168 bytes/workgroup (compile time only)
; SGPRBlocks: 4
; VGPRBlocks: 6
; NumSGPRsForWavesPerEU: 34
; NumVGPRsForWavesPerEU: 50
; AccumOffset: 52
; Occupancy: 5
; WaveLimiterHint : 1
; COMPUTE_PGM_RSRC2:SCRATCH_EN: 0
; COMPUTE_PGM_RSRC2:USER_SGPR: 6
; COMPUTE_PGM_RSRC2:TRAP_HANDLER: 0
; COMPUTE_PGM_RSRC2:TGID_X_EN: 1
; COMPUTE_PGM_RSRC2:TGID_Y_EN: 0
; COMPUTE_PGM_RSRC2:TGID_Z_EN: 0
; COMPUTE_PGM_RSRC2:TIDIG_COMP_CNT: 0
; COMPUTE_PGM_RSRC3_GFX90A:ACCUM_OFFSET: 12
; COMPUTE_PGM_RSRC3_GFX90A:TG_SPLIT: 0
	.section	.text._ZN7rocprim17ROCPRIM_400000_NS6detail17trampoline_kernelINS0_14default_configENS1_20scan_config_selectorIyEEZZNS1_9scan_implILNS1_25lookback_scan_determinismE0ELb0ELb0ES3_N6thrust23THRUST_200600_302600_NS6detail15normal_iteratorINS9_10device_ptrIyEEEENS9_16discard_iteratorINS9_11use_defaultEEEyNS9_4plusIvEEyEEDaPvRmT3_T4_T5_mT6_P12ihipStream_tbENKUlT_T0_E_clISt17integral_constantIbLb1EESX_EEDaSS_ST_EUlSS_E_NS1_11comp_targetILNS1_3genE3ELNS1_11target_archE908ELNS1_3gpuE7ELNS1_3repE0EEENS1_30default_config_static_selectorELNS0_4arch9wavefront6targetE1EEEvT1_,"axG",@progbits,_ZN7rocprim17ROCPRIM_400000_NS6detail17trampoline_kernelINS0_14default_configENS1_20scan_config_selectorIyEEZZNS1_9scan_implILNS1_25lookback_scan_determinismE0ELb0ELb0ES3_N6thrust23THRUST_200600_302600_NS6detail15normal_iteratorINS9_10device_ptrIyEEEENS9_16discard_iteratorINS9_11use_defaultEEEyNS9_4plusIvEEyEEDaPvRmT3_T4_T5_mT6_P12ihipStream_tbENKUlT_T0_E_clISt17integral_constantIbLb1EESX_EEDaSS_ST_EUlSS_E_NS1_11comp_targetILNS1_3genE3ELNS1_11target_archE908ELNS1_3gpuE7ELNS1_3repE0EEENS1_30default_config_static_selectorELNS0_4arch9wavefront6targetE1EEEvT1_,comdat
	.protected	_ZN7rocprim17ROCPRIM_400000_NS6detail17trampoline_kernelINS0_14default_configENS1_20scan_config_selectorIyEEZZNS1_9scan_implILNS1_25lookback_scan_determinismE0ELb0ELb0ES3_N6thrust23THRUST_200600_302600_NS6detail15normal_iteratorINS9_10device_ptrIyEEEENS9_16discard_iteratorINS9_11use_defaultEEEyNS9_4plusIvEEyEEDaPvRmT3_T4_T5_mT6_P12ihipStream_tbENKUlT_T0_E_clISt17integral_constantIbLb1EESX_EEDaSS_ST_EUlSS_E_NS1_11comp_targetILNS1_3genE3ELNS1_11target_archE908ELNS1_3gpuE7ELNS1_3repE0EEENS1_30default_config_static_selectorELNS0_4arch9wavefront6targetE1EEEvT1_ ; -- Begin function _ZN7rocprim17ROCPRIM_400000_NS6detail17trampoline_kernelINS0_14default_configENS1_20scan_config_selectorIyEEZZNS1_9scan_implILNS1_25lookback_scan_determinismE0ELb0ELb0ES3_N6thrust23THRUST_200600_302600_NS6detail15normal_iteratorINS9_10device_ptrIyEEEENS9_16discard_iteratorINS9_11use_defaultEEEyNS9_4plusIvEEyEEDaPvRmT3_T4_T5_mT6_P12ihipStream_tbENKUlT_T0_E_clISt17integral_constantIbLb1EESX_EEDaSS_ST_EUlSS_E_NS1_11comp_targetILNS1_3genE3ELNS1_11target_archE908ELNS1_3gpuE7ELNS1_3repE0EEENS1_30default_config_static_selectorELNS0_4arch9wavefront6targetE1EEEvT1_
	.globl	_ZN7rocprim17ROCPRIM_400000_NS6detail17trampoline_kernelINS0_14default_configENS1_20scan_config_selectorIyEEZZNS1_9scan_implILNS1_25lookback_scan_determinismE0ELb0ELb0ES3_N6thrust23THRUST_200600_302600_NS6detail15normal_iteratorINS9_10device_ptrIyEEEENS9_16discard_iteratorINS9_11use_defaultEEEyNS9_4plusIvEEyEEDaPvRmT3_T4_T5_mT6_P12ihipStream_tbENKUlT_T0_E_clISt17integral_constantIbLb1EESX_EEDaSS_ST_EUlSS_E_NS1_11comp_targetILNS1_3genE3ELNS1_11target_archE908ELNS1_3gpuE7ELNS1_3repE0EEENS1_30default_config_static_selectorELNS0_4arch9wavefront6targetE1EEEvT1_
	.p2align	8
	.type	_ZN7rocprim17ROCPRIM_400000_NS6detail17trampoline_kernelINS0_14default_configENS1_20scan_config_selectorIyEEZZNS1_9scan_implILNS1_25lookback_scan_determinismE0ELb0ELb0ES3_N6thrust23THRUST_200600_302600_NS6detail15normal_iteratorINS9_10device_ptrIyEEEENS9_16discard_iteratorINS9_11use_defaultEEEyNS9_4plusIvEEyEEDaPvRmT3_T4_T5_mT6_P12ihipStream_tbENKUlT_T0_E_clISt17integral_constantIbLb1EESX_EEDaSS_ST_EUlSS_E_NS1_11comp_targetILNS1_3genE3ELNS1_11target_archE908ELNS1_3gpuE7ELNS1_3repE0EEENS1_30default_config_static_selectorELNS0_4arch9wavefront6targetE1EEEvT1_,@function
_ZN7rocprim17ROCPRIM_400000_NS6detail17trampoline_kernelINS0_14default_configENS1_20scan_config_selectorIyEEZZNS1_9scan_implILNS1_25lookback_scan_determinismE0ELb0ELb0ES3_N6thrust23THRUST_200600_302600_NS6detail15normal_iteratorINS9_10device_ptrIyEEEENS9_16discard_iteratorINS9_11use_defaultEEEyNS9_4plusIvEEyEEDaPvRmT3_T4_T5_mT6_P12ihipStream_tbENKUlT_T0_E_clISt17integral_constantIbLb1EESX_EEDaSS_ST_EUlSS_E_NS1_11comp_targetILNS1_3genE3ELNS1_11target_archE908ELNS1_3gpuE7ELNS1_3repE0EEENS1_30default_config_static_selectorELNS0_4arch9wavefront6targetE1EEEvT1_: ; @_ZN7rocprim17ROCPRIM_400000_NS6detail17trampoline_kernelINS0_14default_configENS1_20scan_config_selectorIyEEZZNS1_9scan_implILNS1_25lookback_scan_determinismE0ELb0ELb0ES3_N6thrust23THRUST_200600_302600_NS6detail15normal_iteratorINS9_10device_ptrIyEEEENS9_16discard_iteratorINS9_11use_defaultEEEyNS9_4plusIvEEyEEDaPvRmT3_T4_T5_mT6_P12ihipStream_tbENKUlT_T0_E_clISt17integral_constantIbLb1EESX_EEDaSS_ST_EUlSS_E_NS1_11comp_targetILNS1_3genE3ELNS1_11target_archE908ELNS1_3gpuE7ELNS1_3repE0EEENS1_30default_config_static_selectorELNS0_4arch9wavefront6targetE1EEEvT1_
; %bb.0:
	.section	.rodata,"a",@progbits
	.p2align	6, 0x0
	.amdhsa_kernel _ZN7rocprim17ROCPRIM_400000_NS6detail17trampoline_kernelINS0_14default_configENS1_20scan_config_selectorIyEEZZNS1_9scan_implILNS1_25lookback_scan_determinismE0ELb0ELb0ES3_N6thrust23THRUST_200600_302600_NS6detail15normal_iteratorINS9_10device_ptrIyEEEENS9_16discard_iteratorINS9_11use_defaultEEEyNS9_4plusIvEEyEEDaPvRmT3_T4_T5_mT6_P12ihipStream_tbENKUlT_T0_E_clISt17integral_constantIbLb1EESX_EEDaSS_ST_EUlSS_E_NS1_11comp_targetILNS1_3genE3ELNS1_11target_archE908ELNS1_3gpuE7ELNS1_3repE0EEENS1_30default_config_static_selectorELNS0_4arch9wavefront6targetE1EEEvT1_
		.amdhsa_group_segment_fixed_size 0
		.amdhsa_private_segment_fixed_size 0
		.amdhsa_kernarg_size 112
		.amdhsa_user_sgpr_count 6
		.amdhsa_user_sgpr_private_segment_buffer 1
		.amdhsa_user_sgpr_dispatch_ptr 0
		.amdhsa_user_sgpr_queue_ptr 0
		.amdhsa_user_sgpr_kernarg_segment_ptr 1
		.amdhsa_user_sgpr_dispatch_id 0
		.amdhsa_user_sgpr_flat_scratch_init 0
		.amdhsa_user_sgpr_kernarg_preload_length 0
		.amdhsa_user_sgpr_kernarg_preload_offset 0
		.amdhsa_user_sgpr_private_segment_size 0
		.amdhsa_uses_dynamic_stack 0
		.amdhsa_system_sgpr_private_segment_wavefront_offset 0
		.amdhsa_system_sgpr_workgroup_id_x 1
		.amdhsa_system_sgpr_workgroup_id_y 0
		.amdhsa_system_sgpr_workgroup_id_z 0
		.amdhsa_system_sgpr_workgroup_info 0
		.amdhsa_system_vgpr_workitem_id 0
		.amdhsa_next_free_vgpr 1
		.amdhsa_next_free_sgpr 0
		.amdhsa_accum_offset 4
		.amdhsa_reserve_vcc 0
		.amdhsa_reserve_flat_scratch 0
		.amdhsa_float_round_mode_32 0
		.amdhsa_float_round_mode_16_64 0
		.amdhsa_float_denorm_mode_32 3
		.amdhsa_float_denorm_mode_16_64 3
		.amdhsa_dx10_clamp 1
		.amdhsa_ieee_mode 1
		.amdhsa_fp16_overflow 0
		.amdhsa_tg_split 0
		.amdhsa_exception_fp_ieee_invalid_op 0
		.amdhsa_exception_fp_denorm_src 0
		.amdhsa_exception_fp_ieee_div_zero 0
		.amdhsa_exception_fp_ieee_overflow 0
		.amdhsa_exception_fp_ieee_underflow 0
		.amdhsa_exception_fp_ieee_inexact 0
		.amdhsa_exception_int_div_zero 0
	.end_amdhsa_kernel
	.section	.text._ZN7rocprim17ROCPRIM_400000_NS6detail17trampoline_kernelINS0_14default_configENS1_20scan_config_selectorIyEEZZNS1_9scan_implILNS1_25lookback_scan_determinismE0ELb0ELb0ES3_N6thrust23THRUST_200600_302600_NS6detail15normal_iteratorINS9_10device_ptrIyEEEENS9_16discard_iteratorINS9_11use_defaultEEEyNS9_4plusIvEEyEEDaPvRmT3_T4_T5_mT6_P12ihipStream_tbENKUlT_T0_E_clISt17integral_constantIbLb1EESX_EEDaSS_ST_EUlSS_E_NS1_11comp_targetILNS1_3genE3ELNS1_11target_archE908ELNS1_3gpuE7ELNS1_3repE0EEENS1_30default_config_static_selectorELNS0_4arch9wavefront6targetE1EEEvT1_,"axG",@progbits,_ZN7rocprim17ROCPRIM_400000_NS6detail17trampoline_kernelINS0_14default_configENS1_20scan_config_selectorIyEEZZNS1_9scan_implILNS1_25lookback_scan_determinismE0ELb0ELb0ES3_N6thrust23THRUST_200600_302600_NS6detail15normal_iteratorINS9_10device_ptrIyEEEENS9_16discard_iteratorINS9_11use_defaultEEEyNS9_4plusIvEEyEEDaPvRmT3_T4_T5_mT6_P12ihipStream_tbENKUlT_T0_E_clISt17integral_constantIbLb1EESX_EEDaSS_ST_EUlSS_E_NS1_11comp_targetILNS1_3genE3ELNS1_11target_archE908ELNS1_3gpuE7ELNS1_3repE0EEENS1_30default_config_static_selectorELNS0_4arch9wavefront6targetE1EEEvT1_,comdat
.Lfunc_end5171:
	.size	_ZN7rocprim17ROCPRIM_400000_NS6detail17trampoline_kernelINS0_14default_configENS1_20scan_config_selectorIyEEZZNS1_9scan_implILNS1_25lookback_scan_determinismE0ELb0ELb0ES3_N6thrust23THRUST_200600_302600_NS6detail15normal_iteratorINS9_10device_ptrIyEEEENS9_16discard_iteratorINS9_11use_defaultEEEyNS9_4plusIvEEyEEDaPvRmT3_T4_T5_mT6_P12ihipStream_tbENKUlT_T0_E_clISt17integral_constantIbLb1EESX_EEDaSS_ST_EUlSS_E_NS1_11comp_targetILNS1_3genE3ELNS1_11target_archE908ELNS1_3gpuE7ELNS1_3repE0EEENS1_30default_config_static_selectorELNS0_4arch9wavefront6targetE1EEEvT1_, .Lfunc_end5171-_ZN7rocprim17ROCPRIM_400000_NS6detail17trampoline_kernelINS0_14default_configENS1_20scan_config_selectorIyEEZZNS1_9scan_implILNS1_25lookback_scan_determinismE0ELb0ELb0ES3_N6thrust23THRUST_200600_302600_NS6detail15normal_iteratorINS9_10device_ptrIyEEEENS9_16discard_iteratorINS9_11use_defaultEEEyNS9_4plusIvEEyEEDaPvRmT3_T4_T5_mT6_P12ihipStream_tbENKUlT_T0_E_clISt17integral_constantIbLb1EESX_EEDaSS_ST_EUlSS_E_NS1_11comp_targetILNS1_3genE3ELNS1_11target_archE908ELNS1_3gpuE7ELNS1_3repE0EEENS1_30default_config_static_selectorELNS0_4arch9wavefront6targetE1EEEvT1_
                                        ; -- End function
	.section	.AMDGPU.csdata,"",@progbits
; Kernel info:
; codeLenInByte = 0
; NumSgprs: 4
; NumVgprs: 0
; NumAgprs: 0
; TotalNumVgprs: 0
; ScratchSize: 0
; MemoryBound: 0
; FloatMode: 240
; IeeeMode: 1
; LDSByteSize: 0 bytes/workgroup (compile time only)
; SGPRBlocks: 0
; VGPRBlocks: 0
; NumSGPRsForWavesPerEU: 4
; NumVGPRsForWavesPerEU: 1
; AccumOffset: 4
; Occupancy: 8
; WaveLimiterHint : 0
; COMPUTE_PGM_RSRC2:SCRATCH_EN: 0
; COMPUTE_PGM_RSRC2:USER_SGPR: 6
; COMPUTE_PGM_RSRC2:TRAP_HANDLER: 0
; COMPUTE_PGM_RSRC2:TGID_X_EN: 1
; COMPUTE_PGM_RSRC2:TGID_Y_EN: 0
; COMPUTE_PGM_RSRC2:TGID_Z_EN: 0
; COMPUTE_PGM_RSRC2:TIDIG_COMP_CNT: 0
; COMPUTE_PGM_RSRC3_GFX90A:ACCUM_OFFSET: 0
; COMPUTE_PGM_RSRC3_GFX90A:TG_SPLIT: 0
	.section	.text._ZN7rocprim17ROCPRIM_400000_NS6detail17trampoline_kernelINS0_14default_configENS1_20scan_config_selectorIyEEZZNS1_9scan_implILNS1_25lookback_scan_determinismE0ELb0ELb0ES3_N6thrust23THRUST_200600_302600_NS6detail15normal_iteratorINS9_10device_ptrIyEEEENS9_16discard_iteratorINS9_11use_defaultEEEyNS9_4plusIvEEyEEDaPvRmT3_T4_T5_mT6_P12ihipStream_tbENKUlT_T0_E_clISt17integral_constantIbLb1EESX_EEDaSS_ST_EUlSS_E_NS1_11comp_targetILNS1_3genE2ELNS1_11target_archE906ELNS1_3gpuE6ELNS1_3repE0EEENS1_30default_config_static_selectorELNS0_4arch9wavefront6targetE1EEEvT1_,"axG",@progbits,_ZN7rocprim17ROCPRIM_400000_NS6detail17trampoline_kernelINS0_14default_configENS1_20scan_config_selectorIyEEZZNS1_9scan_implILNS1_25lookback_scan_determinismE0ELb0ELb0ES3_N6thrust23THRUST_200600_302600_NS6detail15normal_iteratorINS9_10device_ptrIyEEEENS9_16discard_iteratorINS9_11use_defaultEEEyNS9_4plusIvEEyEEDaPvRmT3_T4_T5_mT6_P12ihipStream_tbENKUlT_T0_E_clISt17integral_constantIbLb1EESX_EEDaSS_ST_EUlSS_E_NS1_11comp_targetILNS1_3genE2ELNS1_11target_archE906ELNS1_3gpuE6ELNS1_3repE0EEENS1_30default_config_static_selectorELNS0_4arch9wavefront6targetE1EEEvT1_,comdat
	.protected	_ZN7rocprim17ROCPRIM_400000_NS6detail17trampoline_kernelINS0_14default_configENS1_20scan_config_selectorIyEEZZNS1_9scan_implILNS1_25lookback_scan_determinismE0ELb0ELb0ES3_N6thrust23THRUST_200600_302600_NS6detail15normal_iteratorINS9_10device_ptrIyEEEENS9_16discard_iteratorINS9_11use_defaultEEEyNS9_4plusIvEEyEEDaPvRmT3_T4_T5_mT6_P12ihipStream_tbENKUlT_T0_E_clISt17integral_constantIbLb1EESX_EEDaSS_ST_EUlSS_E_NS1_11comp_targetILNS1_3genE2ELNS1_11target_archE906ELNS1_3gpuE6ELNS1_3repE0EEENS1_30default_config_static_selectorELNS0_4arch9wavefront6targetE1EEEvT1_ ; -- Begin function _ZN7rocprim17ROCPRIM_400000_NS6detail17trampoline_kernelINS0_14default_configENS1_20scan_config_selectorIyEEZZNS1_9scan_implILNS1_25lookback_scan_determinismE0ELb0ELb0ES3_N6thrust23THRUST_200600_302600_NS6detail15normal_iteratorINS9_10device_ptrIyEEEENS9_16discard_iteratorINS9_11use_defaultEEEyNS9_4plusIvEEyEEDaPvRmT3_T4_T5_mT6_P12ihipStream_tbENKUlT_T0_E_clISt17integral_constantIbLb1EESX_EEDaSS_ST_EUlSS_E_NS1_11comp_targetILNS1_3genE2ELNS1_11target_archE906ELNS1_3gpuE6ELNS1_3repE0EEENS1_30default_config_static_selectorELNS0_4arch9wavefront6targetE1EEEvT1_
	.globl	_ZN7rocprim17ROCPRIM_400000_NS6detail17trampoline_kernelINS0_14default_configENS1_20scan_config_selectorIyEEZZNS1_9scan_implILNS1_25lookback_scan_determinismE0ELb0ELb0ES3_N6thrust23THRUST_200600_302600_NS6detail15normal_iteratorINS9_10device_ptrIyEEEENS9_16discard_iteratorINS9_11use_defaultEEEyNS9_4plusIvEEyEEDaPvRmT3_T4_T5_mT6_P12ihipStream_tbENKUlT_T0_E_clISt17integral_constantIbLb1EESX_EEDaSS_ST_EUlSS_E_NS1_11comp_targetILNS1_3genE2ELNS1_11target_archE906ELNS1_3gpuE6ELNS1_3repE0EEENS1_30default_config_static_selectorELNS0_4arch9wavefront6targetE1EEEvT1_
	.p2align	8
	.type	_ZN7rocprim17ROCPRIM_400000_NS6detail17trampoline_kernelINS0_14default_configENS1_20scan_config_selectorIyEEZZNS1_9scan_implILNS1_25lookback_scan_determinismE0ELb0ELb0ES3_N6thrust23THRUST_200600_302600_NS6detail15normal_iteratorINS9_10device_ptrIyEEEENS9_16discard_iteratorINS9_11use_defaultEEEyNS9_4plusIvEEyEEDaPvRmT3_T4_T5_mT6_P12ihipStream_tbENKUlT_T0_E_clISt17integral_constantIbLb1EESX_EEDaSS_ST_EUlSS_E_NS1_11comp_targetILNS1_3genE2ELNS1_11target_archE906ELNS1_3gpuE6ELNS1_3repE0EEENS1_30default_config_static_selectorELNS0_4arch9wavefront6targetE1EEEvT1_,@function
_ZN7rocprim17ROCPRIM_400000_NS6detail17trampoline_kernelINS0_14default_configENS1_20scan_config_selectorIyEEZZNS1_9scan_implILNS1_25lookback_scan_determinismE0ELb0ELb0ES3_N6thrust23THRUST_200600_302600_NS6detail15normal_iteratorINS9_10device_ptrIyEEEENS9_16discard_iteratorINS9_11use_defaultEEEyNS9_4plusIvEEyEEDaPvRmT3_T4_T5_mT6_P12ihipStream_tbENKUlT_T0_E_clISt17integral_constantIbLb1EESX_EEDaSS_ST_EUlSS_E_NS1_11comp_targetILNS1_3genE2ELNS1_11target_archE906ELNS1_3gpuE6ELNS1_3repE0EEENS1_30default_config_static_selectorELNS0_4arch9wavefront6targetE1EEEvT1_: ; @_ZN7rocprim17ROCPRIM_400000_NS6detail17trampoline_kernelINS0_14default_configENS1_20scan_config_selectorIyEEZZNS1_9scan_implILNS1_25lookback_scan_determinismE0ELb0ELb0ES3_N6thrust23THRUST_200600_302600_NS6detail15normal_iteratorINS9_10device_ptrIyEEEENS9_16discard_iteratorINS9_11use_defaultEEEyNS9_4plusIvEEyEEDaPvRmT3_T4_T5_mT6_P12ihipStream_tbENKUlT_T0_E_clISt17integral_constantIbLb1EESX_EEDaSS_ST_EUlSS_E_NS1_11comp_targetILNS1_3genE2ELNS1_11target_archE906ELNS1_3gpuE6ELNS1_3repE0EEENS1_30default_config_static_selectorELNS0_4arch9wavefront6targetE1EEEvT1_
; %bb.0:
	.section	.rodata,"a",@progbits
	.p2align	6, 0x0
	.amdhsa_kernel _ZN7rocprim17ROCPRIM_400000_NS6detail17trampoline_kernelINS0_14default_configENS1_20scan_config_selectorIyEEZZNS1_9scan_implILNS1_25lookback_scan_determinismE0ELb0ELb0ES3_N6thrust23THRUST_200600_302600_NS6detail15normal_iteratorINS9_10device_ptrIyEEEENS9_16discard_iteratorINS9_11use_defaultEEEyNS9_4plusIvEEyEEDaPvRmT3_T4_T5_mT6_P12ihipStream_tbENKUlT_T0_E_clISt17integral_constantIbLb1EESX_EEDaSS_ST_EUlSS_E_NS1_11comp_targetILNS1_3genE2ELNS1_11target_archE906ELNS1_3gpuE6ELNS1_3repE0EEENS1_30default_config_static_selectorELNS0_4arch9wavefront6targetE1EEEvT1_
		.amdhsa_group_segment_fixed_size 0
		.amdhsa_private_segment_fixed_size 0
		.amdhsa_kernarg_size 112
		.amdhsa_user_sgpr_count 6
		.amdhsa_user_sgpr_private_segment_buffer 1
		.amdhsa_user_sgpr_dispatch_ptr 0
		.amdhsa_user_sgpr_queue_ptr 0
		.amdhsa_user_sgpr_kernarg_segment_ptr 1
		.amdhsa_user_sgpr_dispatch_id 0
		.amdhsa_user_sgpr_flat_scratch_init 0
		.amdhsa_user_sgpr_kernarg_preload_length 0
		.amdhsa_user_sgpr_kernarg_preload_offset 0
		.amdhsa_user_sgpr_private_segment_size 0
		.amdhsa_uses_dynamic_stack 0
		.amdhsa_system_sgpr_private_segment_wavefront_offset 0
		.amdhsa_system_sgpr_workgroup_id_x 1
		.amdhsa_system_sgpr_workgroup_id_y 0
		.amdhsa_system_sgpr_workgroup_id_z 0
		.amdhsa_system_sgpr_workgroup_info 0
		.amdhsa_system_vgpr_workitem_id 0
		.amdhsa_next_free_vgpr 1
		.amdhsa_next_free_sgpr 0
		.amdhsa_accum_offset 4
		.amdhsa_reserve_vcc 0
		.amdhsa_reserve_flat_scratch 0
		.amdhsa_float_round_mode_32 0
		.amdhsa_float_round_mode_16_64 0
		.amdhsa_float_denorm_mode_32 3
		.amdhsa_float_denorm_mode_16_64 3
		.amdhsa_dx10_clamp 1
		.amdhsa_ieee_mode 1
		.amdhsa_fp16_overflow 0
		.amdhsa_tg_split 0
		.amdhsa_exception_fp_ieee_invalid_op 0
		.amdhsa_exception_fp_denorm_src 0
		.amdhsa_exception_fp_ieee_div_zero 0
		.amdhsa_exception_fp_ieee_overflow 0
		.amdhsa_exception_fp_ieee_underflow 0
		.amdhsa_exception_fp_ieee_inexact 0
		.amdhsa_exception_int_div_zero 0
	.end_amdhsa_kernel
	.section	.text._ZN7rocprim17ROCPRIM_400000_NS6detail17trampoline_kernelINS0_14default_configENS1_20scan_config_selectorIyEEZZNS1_9scan_implILNS1_25lookback_scan_determinismE0ELb0ELb0ES3_N6thrust23THRUST_200600_302600_NS6detail15normal_iteratorINS9_10device_ptrIyEEEENS9_16discard_iteratorINS9_11use_defaultEEEyNS9_4plusIvEEyEEDaPvRmT3_T4_T5_mT6_P12ihipStream_tbENKUlT_T0_E_clISt17integral_constantIbLb1EESX_EEDaSS_ST_EUlSS_E_NS1_11comp_targetILNS1_3genE2ELNS1_11target_archE906ELNS1_3gpuE6ELNS1_3repE0EEENS1_30default_config_static_selectorELNS0_4arch9wavefront6targetE1EEEvT1_,"axG",@progbits,_ZN7rocprim17ROCPRIM_400000_NS6detail17trampoline_kernelINS0_14default_configENS1_20scan_config_selectorIyEEZZNS1_9scan_implILNS1_25lookback_scan_determinismE0ELb0ELb0ES3_N6thrust23THRUST_200600_302600_NS6detail15normal_iteratorINS9_10device_ptrIyEEEENS9_16discard_iteratorINS9_11use_defaultEEEyNS9_4plusIvEEyEEDaPvRmT3_T4_T5_mT6_P12ihipStream_tbENKUlT_T0_E_clISt17integral_constantIbLb1EESX_EEDaSS_ST_EUlSS_E_NS1_11comp_targetILNS1_3genE2ELNS1_11target_archE906ELNS1_3gpuE6ELNS1_3repE0EEENS1_30default_config_static_selectorELNS0_4arch9wavefront6targetE1EEEvT1_,comdat
.Lfunc_end5172:
	.size	_ZN7rocprim17ROCPRIM_400000_NS6detail17trampoline_kernelINS0_14default_configENS1_20scan_config_selectorIyEEZZNS1_9scan_implILNS1_25lookback_scan_determinismE0ELb0ELb0ES3_N6thrust23THRUST_200600_302600_NS6detail15normal_iteratorINS9_10device_ptrIyEEEENS9_16discard_iteratorINS9_11use_defaultEEEyNS9_4plusIvEEyEEDaPvRmT3_T4_T5_mT6_P12ihipStream_tbENKUlT_T0_E_clISt17integral_constantIbLb1EESX_EEDaSS_ST_EUlSS_E_NS1_11comp_targetILNS1_3genE2ELNS1_11target_archE906ELNS1_3gpuE6ELNS1_3repE0EEENS1_30default_config_static_selectorELNS0_4arch9wavefront6targetE1EEEvT1_, .Lfunc_end5172-_ZN7rocprim17ROCPRIM_400000_NS6detail17trampoline_kernelINS0_14default_configENS1_20scan_config_selectorIyEEZZNS1_9scan_implILNS1_25lookback_scan_determinismE0ELb0ELb0ES3_N6thrust23THRUST_200600_302600_NS6detail15normal_iteratorINS9_10device_ptrIyEEEENS9_16discard_iteratorINS9_11use_defaultEEEyNS9_4plusIvEEyEEDaPvRmT3_T4_T5_mT6_P12ihipStream_tbENKUlT_T0_E_clISt17integral_constantIbLb1EESX_EEDaSS_ST_EUlSS_E_NS1_11comp_targetILNS1_3genE2ELNS1_11target_archE906ELNS1_3gpuE6ELNS1_3repE0EEENS1_30default_config_static_selectorELNS0_4arch9wavefront6targetE1EEEvT1_
                                        ; -- End function
	.section	.AMDGPU.csdata,"",@progbits
; Kernel info:
; codeLenInByte = 0
; NumSgprs: 4
; NumVgprs: 0
; NumAgprs: 0
; TotalNumVgprs: 0
; ScratchSize: 0
; MemoryBound: 0
; FloatMode: 240
; IeeeMode: 1
; LDSByteSize: 0 bytes/workgroup (compile time only)
; SGPRBlocks: 0
; VGPRBlocks: 0
; NumSGPRsForWavesPerEU: 4
; NumVGPRsForWavesPerEU: 1
; AccumOffset: 4
; Occupancy: 8
; WaveLimiterHint : 0
; COMPUTE_PGM_RSRC2:SCRATCH_EN: 0
; COMPUTE_PGM_RSRC2:USER_SGPR: 6
; COMPUTE_PGM_RSRC2:TRAP_HANDLER: 0
; COMPUTE_PGM_RSRC2:TGID_X_EN: 1
; COMPUTE_PGM_RSRC2:TGID_Y_EN: 0
; COMPUTE_PGM_RSRC2:TGID_Z_EN: 0
; COMPUTE_PGM_RSRC2:TIDIG_COMP_CNT: 0
; COMPUTE_PGM_RSRC3_GFX90A:ACCUM_OFFSET: 0
; COMPUTE_PGM_RSRC3_GFX90A:TG_SPLIT: 0
	.section	.text._ZN7rocprim17ROCPRIM_400000_NS6detail17trampoline_kernelINS0_14default_configENS1_20scan_config_selectorIyEEZZNS1_9scan_implILNS1_25lookback_scan_determinismE0ELb0ELb0ES3_N6thrust23THRUST_200600_302600_NS6detail15normal_iteratorINS9_10device_ptrIyEEEENS9_16discard_iteratorINS9_11use_defaultEEEyNS9_4plusIvEEyEEDaPvRmT3_T4_T5_mT6_P12ihipStream_tbENKUlT_T0_E_clISt17integral_constantIbLb1EESX_EEDaSS_ST_EUlSS_E_NS1_11comp_targetILNS1_3genE10ELNS1_11target_archE1201ELNS1_3gpuE5ELNS1_3repE0EEENS1_30default_config_static_selectorELNS0_4arch9wavefront6targetE1EEEvT1_,"axG",@progbits,_ZN7rocprim17ROCPRIM_400000_NS6detail17trampoline_kernelINS0_14default_configENS1_20scan_config_selectorIyEEZZNS1_9scan_implILNS1_25lookback_scan_determinismE0ELb0ELb0ES3_N6thrust23THRUST_200600_302600_NS6detail15normal_iteratorINS9_10device_ptrIyEEEENS9_16discard_iteratorINS9_11use_defaultEEEyNS9_4plusIvEEyEEDaPvRmT3_T4_T5_mT6_P12ihipStream_tbENKUlT_T0_E_clISt17integral_constantIbLb1EESX_EEDaSS_ST_EUlSS_E_NS1_11comp_targetILNS1_3genE10ELNS1_11target_archE1201ELNS1_3gpuE5ELNS1_3repE0EEENS1_30default_config_static_selectorELNS0_4arch9wavefront6targetE1EEEvT1_,comdat
	.protected	_ZN7rocprim17ROCPRIM_400000_NS6detail17trampoline_kernelINS0_14default_configENS1_20scan_config_selectorIyEEZZNS1_9scan_implILNS1_25lookback_scan_determinismE0ELb0ELb0ES3_N6thrust23THRUST_200600_302600_NS6detail15normal_iteratorINS9_10device_ptrIyEEEENS9_16discard_iteratorINS9_11use_defaultEEEyNS9_4plusIvEEyEEDaPvRmT3_T4_T5_mT6_P12ihipStream_tbENKUlT_T0_E_clISt17integral_constantIbLb1EESX_EEDaSS_ST_EUlSS_E_NS1_11comp_targetILNS1_3genE10ELNS1_11target_archE1201ELNS1_3gpuE5ELNS1_3repE0EEENS1_30default_config_static_selectorELNS0_4arch9wavefront6targetE1EEEvT1_ ; -- Begin function _ZN7rocprim17ROCPRIM_400000_NS6detail17trampoline_kernelINS0_14default_configENS1_20scan_config_selectorIyEEZZNS1_9scan_implILNS1_25lookback_scan_determinismE0ELb0ELb0ES3_N6thrust23THRUST_200600_302600_NS6detail15normal_iteratorINS9_10device_ptrIyEEEENS9_16discard_iteratorINS9_11use_defaultEEEyNS9_4plusIvEEyEEDaPvRmT3_T4_T5_mT6_P12ihipStream_tbENKUlT_T0_E_clISt17integral_constantIbLb1EESX_EEDaSS_ST_EUlSS_E_NS1_11comp_targetILNS1_3genE10ELNS1_11target_archE1201ELNS1_3gpuE5ELNS1_3repE0EEENS1_30default_config_static_selectorELNS0_4arch9wavefront6targetE1EEEvT1_
	.globl	_ZN7rocprim17ROCPRIM_400000_NS6detail17trampoline_kernelINS0_14default_configENS1_20scan_config_selectorIyEEZZNS1_9scan_implILNS1_25lookback_scan_determinismE0ELb0ELb0ES3_N6thrust23THRUST_200600_302600_NS6detail15normal_iteratorINS9_10device_ptrIyEEEENS9_16discard_iteratorINS9_11use_defaultEEEyNS9_4plusIvEEyEEDaPvRmT3_T4_T5_mT6_P12ihipStream_tbENKUlT_T0_E_clISt17integral_constantIbLb1EESX_EEDaSS_ST_EUlSS_E_NS1_11comp_targetILNS1_3genE10ELNS1_11target_archE1201ELNS1_3gpuE5ELNS1_3repE0EEENS1_30default_config_static_selectorELNS0_4arch9wavefront6targetE1EEEvT1_
	.p2align	8
	.type	_ZN7rocprim17ROCPRIM_400000_NS6detail17trampoline_kernelINS0_14default_configENS1_20scan_config_selectorIyEEZZNS1_9scan_implILNS1_25lookback_scan_determinismE0ELb0ELb0ES3_N6thrust23THRUST_200600_302600_NS6detail15normal_iteratorINS9_10device_ptrIyEEEENS9_16discard_iteratorINS9_11use_defaultEEEyNS9_4plusIvEEyEEDaPvRmT3_T4_T5_mT6_P12ihipStream_tbENKUlT_T0_E_clISt17integral_constantIbLb1EESX_EEDaSS_ST_EUlSS_E_NS1_11comp_targetILNS1_3genE10ELNS1_11target_archE1201ELNS1_3gpuE5ELNS1_3repE0EEENS1_30default_config_static_selectorELNS0_4arch9wavefront6targetE1EEEvT1_,@function
_ZN7rocprim17ROCPRIM_400000_NS6detail17trampoline_kernelINS0_14default_configENS1_20scan_config_selectorIyEEZZNS1_9scan_implILNS1_25lookback_scan_determinismE0ELb0ELb0ES3_N6thrust23THRUST_200600_302600_NS6detail15normal_iteratorINS9_10device_ptrIyEEEENS9_16discard_iteratorINS9_11use_defaultEEEyNS9_4plusIvEEyEEDaPvRmT3_T4_T5_mT6_P12ihipStream_tbENKUlT_T0_E_clISt17integral_constantIbLb1EESX_EEDaSS_ST_EUlSS_E_NS1_11comp_targetILNS1_3genE10ELNS1_11target_archE1201ELNS1_3gpuE5ELNS1_3repE0EEENS1_30default_config_static_selectorELNS0_4arch9wavefront6targetE1EEEvT1_: ; @_ZN7rocprim17ROCPRIM_400000_NS6detail17trampoline_kernelINS0_14default_configENS1_20scan_config_selectorIyEEZZNS1_9scan_implILNS1_25lookback_scan_determinismE0ELb0ELb0ES3_N6thrust23THRUST_200600_302600_NS6detail15normal_iteratorINS9_10device_ptrIyEEEENS9_16discard_iteratorINS9_11use_defaultEEEyNS9_4plusIvEEyEEDaPvRmT3_T4_T5_mT6_P12ihipStream_tbENKUlT_T0_E_clISt17integral_constantIbLb1EESX_EEDaSS_ST_EUlSS_E_NS1_11comp_targetILNS1_3genE10ELNS1_11target_archE1201ELNS1_3gpuE5ELNS1_3repE0EEENS1_30default_config_static_selectorELNS0_4arch9wavefront6targetE1EEEvT1_
; %bb.0:
	.section	.rodata,"a",@progbits
	.p2align	6, 0x0
	.amdhsa_kernel _ZN7rocprim17ROCPRIM_400000_NS6detail17trampoline_kernelINS0_14default_configENS1_20scan_config_selectorIyEEZZNS1_9scan_implILNS1_25lookback_scan_determinismE0ELb0ELb0ES3_N6thrust23THRUST_200600_302600_NS6detail15normal_iteratorINS9_10device_ptrIyEEEENS9_16discard_iteratorINS9_11use_defaultEEEyNS9_4plusIvEEyEEDaPvRmT3_T4_T5_mT6_P12ihipStream_tbENKUlT_T0_E_clISt17integral_constantIbLb1EESX_EEDaSS_ST_EUlSS_E_NS1_11comp_targetILNS1_3genE10ELNS1_11target_archE1201ELNS1_3gpuE5ELNS1_3repE0EEENS1_30default_config_static_selectorELNS0_4arch9wavefront6targetE1EEEvT1_
		.amdhsa_group_segment_fixed_size 0
		.amdhsa_private_segment_fixed_size 0
		.amdhsa_kernarg_size 112
		.amdhsa_user_sgpr_count 6
		.amdhsa_user_sgpr_private_segment_buffer 1
		.amdhsa_user_sgpr_dispatch_ptr 0
		.amdhsa_user_sgpr_queue_ptr 0
		.amdhsa_user_sgpr_kernarg_segment_ptr 1
		.amdhsa_user_sgpr_dispatch_id 0
		.amdhsa_user_sgpr_flat_scratch_init 0
		.amdhsa_user_sgpr_kernarg_preload_length 0
		.amdhsa_user_sgpr_kernarg_preload_offset 0
		.amdhsa_user_sgpr_private_segment_size 0
		.amdhsa_uses_dynamic_stack 0
		.amdhsa_system_sgpr_private_segment_wavefront_offset 0
		.amdhsa_system_sgpr_workgroup_id_x 1
		.amdhsa_system_sgpr_workgroup_id_y 0
		.amdhsa_system_sgpr_workgroup_id_z 0
		.amdhsa_system_sgpr_workgroup_info 0
		.amdhsa_system_vgpr_workitem_id 0
		.amdhsa_next_free_vgpr 1
		.amdhsa_next_free_sgpr 0
		.amdhsa_accum_offset 4
		.amdhsa_reserve_vcc 0
		.amdhsa_reserve_flat_scratch 0
		.amdhsa_float_round_mode_32 0
		.amdhsa_float_round_mode_16_64 0
		.amdhsa_float_denorm_mode_32 3
		.amdhsa_float_denorm_mode_16_64 3
		.amdhsa_dx10_clamp 1
		.amdhsa_ieee_mode 1
		.amdhsa_fp16_overflow 0
		.amdhsa_tg_split 0
		.amdhsa_exception_fp_ieee_invalid_op 0
		.amdhsa_exception_fp_denorm_src 0
		.amdhsa_exception_fp_ieee_div_zero 0
		.amdhsa_exception_fp_ieee_overflow 0
		.amdhsa_exception_fp_ieee_underflow 0
		.amdhsa_exception_fp_ieee_inexact 0
		.amdhsa_exception_int_div_zero 0
	.end_amdhsa_kernel
	.section	.text._ZN7rocprim17ROCPRIM_400000_NS6detail17trampoline_kernelINS0_14default_configENS1_20scan_config_selectorIyEEZZNS1_9scan_implILNS1_25lookback_scan_determinismE0ELb0ELb0ES3_N6thrust23THRUST_200600_302600_NS6detail15normal_iteratorINS9_10device_ptrIyEEEENS9_16discard_iteratorINS9_11use_defaultEEEyNS9_4plusIvEEyEEDaPvRmT3_T4_T5_mT6_P12ihipStream_tbENKUlT_T0_E_clISt17integral_constantIbLb1EESX_EEDaSS_ST_EUlSS_E_NS1_11comp_targetILNS1_3genE10ELNS1_11target_archE1201ELNS1_3gpuE5ELNS1_3repE0EEENS1_30default_config_static_selectorELNS0_4arch9wavefront6targetE1EEEvT1_,"axG",@progbits,_ZN7rocprim17ROCPRIM_400000_NS6detail17trampoline_kernelINS0_14default_configENS1_20scan_config_selectorIyEEZZNS1_9scan_implILNS1_25lookback_scan_determinismE0ELb0ELb0ES3_N6thrust23THRUST_200600_302600_NS6detail15normal_iteratorINS9_10device_ptrIyEEEENS9_16discard_iteratorINS9_11use_defaultEEEyNS9_4plusIvEEyEEDaPvRmT3_T4_T5_mT6_P12ihipStream_tbENKUlT_T0_E_clISt17integral_constantIbLb1EESX_EEDaSS_ST_EUlSS_E_NS1_11comp_targetILNS1_3genE10ELNS1_11target_archE1201ELNS1_3gpuE5ELNS1_3repE0EEENS1_30default_config_static_selectorELNS0_4arch9wavefront6targetE1EEEvT1_,comdat
.Lfunc_end5173:
	.size	_ZN7rocprim17ROCPRIM_400000_NS6detail17trampoline_kernelINS0_14default_configENS1_20scan_config_selectorIyEEZZNS1_9scan_implILNS1_25lookback_scan_determinismE0ELb0ELb0ES3_N6thrust23THRUST_200600_302600_NS6detail15normal_iteratorINS9_10device_ptrIyEEEENS9_16discard_iteratorINS9_11use_defaultEEEyNS9_4plusIvEEyEEDaPvRmT3_T4_T5_mT6_P12ihipStream_tbENKUlT_T0_E_clISt17integral_constantIbLb1EESX_EEDaSS_ST_EUlSS_E_NS1_11comp_targetILNS1_3genE10ELNS1_11target_archE1201ELNS1_3gpuE5ELNS1_3repE0EEENS1_30default_config_static_selectorELNS0_4arch9wavefront6targetE1EEEvT1_, .Lfunc_end5173-_ZN7rocprim17ROCPRIM_400000_NS6detail17trampoline_kernelINS0_14default_configENS1_20scan_config_selectorIyEEZZNS1_9scan_implILNS1_25lookback_scan_determinismE0ELb0ELb0ES3_N6thrust23THRUST_200600_302600_NS6detail15normal_iteratorINS9_10device_ptrIyEEEENS9_16discard_iteratorINS9_11use_defaultEEEyNS9_4plusIvEEyEEDaPvRmT3_T4_T5_mT6_P12ihipStream_tbENKUlT_T0_E_clISt17integral_constantIbLb1EESX_EEDaSS_ST_EUlSS_E_NS1_11comp_targetILNS1_3genE10ELNS1_11target_archE1201ELNS1_3gpuE5ELNS1_3repE0EEENS1_30default_config_static_selectorELNS0_4arch9wavefront6targetE1EEEvT1_
                                        ; -- End function
	.section	.AMDGPU.csdata,"",@progbits
; Kernel info:
; codeLenInByte = 0
; NumSgprs: 4
; NumVgprs: 0
; NumAgprs: 0
; TotalNumVgprs: 0
; ScratchSize: 0
; MemoryBound: 0
; FloatMode: 240
; IeeeMode: 1
; LDSByteSize: 0 bytes/workgroup (compile time only)
; SGPRBlocks: 0
; VGPRBlocks: 0
; NumSGPRsForWavesPerEU: 4
; NumVGPRsForWavesPerEU: 1
; AccumOffset: 4
; Occupancy: 8
; WaveLimiterHint : 0
; COMPUTE_PGM_RSRC2:SCRATCH_EN: 0
; COMPUTE_PGM_RSRC2:USER_SGPR: 6
; COMPUTE_PGM_RSRC2:TRAP_HANDLER: 0
; COMPUTE_PGM_RSRC2:TGID_X_EN: 1
; COMPUTE_PGM_RSRC2:TGID_Y_EN: 0
; COMPUTE_PGM_RSRC2:TGID_Z_EN: 0
; COMPUTE_PGM_RSRC2:TIDIG_COMP_CNT: 0
; COMPUTE_PGM_RSRC3_GFX90A:ACCUM_OFFSET: 0
; COMPUTE_PGM_RSRC3_GFX90A:TG_SPLIT: 0
	.section	.text._ZN7rocprim17ROCPRIM_400000_NS6detail17trampoline_kernelINS0_14default_configENS1_20scan_config_selectorIyEEZZNS1_9scan_implILNS1_25lookback_scan_determinismE0ELb0ELb0ES3_N6thrust23THRUST_200600_302600_NS6detail15normal_iteratorINS9_10device_ptrIyEEEENS9_16discard_iteratorINS9_11use_defaultEEEyNS9_4plusIvEEyEEDaPvRmT3_T4_T5_mT6_P12ihipStream_tbENKUlT_T0_E_clISt17integral_constantIbLb1EESX_EEDaSS_ST_EUlSS_E_NS1_11comp_targetILNS1_3genE10ELNS1_11target_archE1200ELNS1_3gpuE4ELNS1_3repE0EEENS1_30default_config_static_selectorELNS0_4arch9wavefront6targetE1EEEvT1_,"axG",@progbits,_ZN7rocprim17ROCPRIM_400000_NS6detail17trampoline_kernelINS0_14default_configENS1_20scan_config_selectorIyEEZZNS1_9scan_implILNS1_25lookback_scan_determinismE0ELb0ELb0ES3_N6thrust23THRUST_200600_302600_NS6detail15normal_iteratorINS9_10device_ptrIyEEEENS9_16discard_iteratorINS9_11use_defaultEEEyNS9_4plusIvEEyEEDaPvRmT3_T4_T5_mT6_P12ihipStream_tbENKUlT_T0_E_clISt17integral_constantIbLb1EESX_EEDaSS_ST_EUlSS_E_NS1_11comp_targetILNS1_3genE10ELNS1_11target_archE1200ELNS1_3gpuE4ELNS1_3repE0EEENS1_30default_config_static_selectorELNS0_4arch9wavefront6targetE1EEEvT1_,comdat
	.protected	_ZN7rocprim17ROCPRIM_400000_NS6detail17trampoline_kernelINS0_14default_configENS1_20scan_config_selectorIyEEZZNS1_9scan_implILNS1_25lookback_scan_determinismE0ELb0ELb0ES3_N6thrust23THRUST_200600_302600_NS6detail15normal_iteratorINS9_10device_ptrIyEEEENS9_16discard_iteratorINS9_11use_defaultEEEyNS9_4plusIvEEyEEDaPvRmT3_T4_T5_mT6_P12ihipStream_tbENKUlT_T0_E_clISt17integral_constantIbLb1EESX_EEDaSS_ST_EUlSS_E_NS1_11comp_targetILNS1_3genE10ELNS1_11target_archE1200ELNS1_3gpuE4ELNS1_3repE0EEENS1_30default_config_static_selectorELNS0_4arch9wavefront6targetE1EEEvT1_ ; -- Begin function _ZN7rocprim17ROCPRIM_400000_NS6detail17trampoline_kernelINS0_14default_configENS1_20scan_config_selectorIyEEZZNS1_9scan_implILNS1_25lookback_scan_determinismE0ELb0ELb0ES3_N6thrust23THRUST_200600_302600_NS6detail15normal_iteratorINS9_10device_ptrIyEEEENS9_16discard_iteratorINS9_11use_defaultEEEyNS9_4plusIvEEyEEDaPvRmT3_T4_T5_mT6_P12ihipStream_tbENKUlT_T0_E_clISt17integral_constantIbLb1EESX_EEDaSS_ST_EUlSS_E_NS1_11comp_targetILNS1_3genE10ELNS1_11target_archE1200ELNS1_3gpuE4ELNS1_3repE0EEENS1_30default_config_static_selectorELNS0_4arch9wavefront6targetE1EEEvT1_
	.globl	_ZN7rocprim17ROCPRIM_400000_NS6detail17trampoline_kernelINS0_14default_configENS1_20scan_config_selectorIyEEZZNS1_9scan_implILNS1_25lookback_scan_determinismE0ELb0ELb0ES3_N6thrust23THRUST_200600_302600_NS6detail15normal_iteratorINS9_10device_ptrIyEEEENS9_16discard_iteratorINS9_11use_defaultEEEyNS9_4plusIvEEyEEDaPvRmT3_T4_T5_mT6_P12ihipStream_tbENKUlT_T0_E_clISt17integral_constantIbLb1EESX_EEDaSS_ST_EUlSS_E_NS1_11comp_targetILNS1_3genE10ELNS1_11target_archE1200ELNS1_3gpuE4ELNS1_3repE0EEENS1_30default_config_static_selectorELNS0_4arch9wavefront6targetE1EEEvT1_
	.p2align	8
	.type	_ZN7rocprim17ROCPRIM_400000_NS6detail17trampoline_kernelINS0_14default_configENS1_20scan_config_selectorIyEEZZNS1_9scan_implILNS1_25lookback_scan_determinismE0ELb0ELb0ES3_N6thrust23THRUST_200600_302600_NS6detail15normal_iteratorINS9_10device_ptrIyEEEENS9_16discard_iteratorINS9_11use_defaultEEEyNS9_4plusIvEEyEEDaPvRmT3_T4_T5_mT6_P12ihipStream_tbENKUlT_T0_E_clISt17integral_constantIbLb1EESX_EEDaSS_ST_EUlSS_E_NS1_11comp_targetILNS1_3genE10ELNS1_11target_archE1200ELNS1_3gpuE4ELNS1_3repE0EEENS1_30default_config_static_selectorELNS0_4arch9wavefront6targetE1EEEvT1_,@function
_ZN7rocprim17ROCPRIM_400000_NS6detail17trampoline_kernelINS0_14default_configENS1_20scan_config_selectorIyEEZZNS1_9scan_implILNS1_25lookback_scan_determinismE0ELb0ELb0ES3_N6thrust23THRUST_200600_302600_NS6detail15normal_iteratorINS9_10device_ptrIyEEEENS9_16discard_iteratorINS9_11use_defaultEEEyNS9_4plusIvEEyEEDaPvRmT3_T4_T5_mT6_P12ihipStream_tbENKUlT_T0_E_clISt17integral_constantIbLb1EESX_EEDaSS_ST_EUlSS_E_NS1_11comp_targetILNS1_3genE10ELNS1_11target_archE1200ELNS1_3gpuE4ELNS1_3repE0EEENS1_30default_config_static_selectorELNS0_4arch9wavefront6targetE1EEEvT1_: ; @_ZN7rocprim17ROCPRIM_400000_NS6detail17trampoline_kernelINS0_14default_configENS1_20scan_config_selectorIyEEZZNS1_9scan_implILNS1_25lookback_scan_determinismE0ELb0ELb0ES3_N6thrust23THRUST_200600_302600_NS6detail15normal_iteratorINS9_10device_ptrIyEEEENS9_16discard_iteratorINS9_11use_defaultEEEyNS9_4plusIvEEyEEDaPvRmT3_T4_T5_mT6_P12ihipStream_tbENKUlT_T0_E_clISt17integral_constantIbLb1EESX_EEDaSS_ST_EUlSS_E_NS1_11comp_targetILNS1_3genE10ELNS1_11target_archE1200ELNS1_3gpuE4ELNS1_3repE0EEENS1_30default_config_static_selectorELNS0_4arch9wavefront6targetE1EEEvT1_
; %bb.0:
	.section	.rodata,"a",@progbits
	.p2align	6, 0x0
	.amdhsa_kernel _ZN7rocprim17ROCPRIM_400000_NS6detail17trampoline_kernelINS0_14default_configENS1_20scan_config_selectorIyEEZZNS1_9scan_implILNS1_25lookback_scan_determinismE0ELb0ELb0ES3_N6thrust23THRUST_200600_302600_NS6detail15normal_iteratorINS9_10device_ptrIyEEEENS9_16discard_iteratorINS9_11use_defaultEEEyNS9_4plusIvEEyEEDaPvRmT3_T4_T5_mT6_P12ihipStream_tbENKUlT_T0_E_clISt17integral_constantIbLb1EESX_EEDaSS_ST_EUlSS_E_NS1_11comp_targetILNS1_3genE10ELNS1_11target_archE1200ELNS1_3gpuE4ELNS1_3repE0EEENS1_30default_config_static_selectorELNS0_4arch9wavefront6targetE1EEEvT1_
		.amdhsa_group_segment_fixed_size 0
		.amdhsa_private_segment_fixed_size 0
		.amdhsa_kernarg_size 112
		.amdhsa_user_sgpr_count 6
		.amdhsa_user_sgpr_private_segment_buffer 1
		.amdhsa_user_sgpr_dispatch_ptr 0
		.amdhsa_user_sgpr_queue_ptr 0
		.amdhsa_user_sgpr_kernarg_segment_ptr 1
		.amdhsa_user_sgpr_dispatch_id 0
		.amdhsa_user_sgpr_flat_scratch_init 0
		.amdhsa_user_sgpr_kernarg_preload_length 0
		.amdhsa_user_sgpr_kernarg_preload_offset 0
		.amdhsa_user_sgpr_private_segment_size 0
		.amdhsa_uses_dynamic_stack 0
		.amdhsa_system_sgpr_private_segment_wavefront_offset 0
		.amdhsa_system_sgpr_workgroup_id_x 1
		.amdhsa_system_sgpr_workgroup_id_y 0
		.amdhsa_system_sgpr_workgroup_id_z 0
		.amdhsa_system_sgpr_workgroup_info 0
		.amdhsa_system_vgpr_workitem_id 0
		.amdhsa_next_free_vgpr 1
		.amdhsa_next_free_sgpr 0
		.amdhsa_accum_offset 4
		.amdhsa_reserve_vcc 0
		.amdhsa_reserve_flat_scratch 0
		.amdhsa_float_round_mode_32 0
		.amdhsa_float_round_mode_16_64 0
		.amdhsa_float_denorm_mode_32 3
		.amdhsa_float_denorm_mode_16_64 3
		.amdhsa_dx10_clamp 1
		.amdhsa_ieee_mode 1
		.amdhsa_fp16_overflow 0
		.amdhsa_tg_split 0
		.amdhsa_exception_fp_ieee_invalid_op 0
		.amdhsa_exception_fp_denorm_src 0
		.amdhsa_exception_fp_ieee_div_zero 0
		.amdhsa_exception_fp_ieee_overflow 0
		.amdhsa_exception_fp_ieee_underflow 0
		.amdhsa_exception_fp_ieee_inexact 0
		.amdhsa_exception_int_div_zero 0
	.end_amdhsa_kernel
	.section	.text._ZN7rocprim17ROCPRIM_400000_NS6detail17trampoline_kernelINS0_14default_configENS1_20scan_config_selectorIyEEZZNS1_9scan_implILNS1_25lookback_scan_determinismE0ELb0ELb0ES3_N6thrust23THRUST_200600_302600_NS6detail15normal_iteratorINS9_10device_ptrIyEEEENS9_16discard_iteratorINS9_11use_defaultEEEyNS9_4plusIvEEyEEDaPvRmT3_T4_T5_mT6_P12ihipStream_tbENKUlT_T0_E_clISt17integral_constantIbLb1EESX_EEDaSS_ST_EUlSS_E_NS1_11comp_targetILNS1_3genE10ELNS1_11target_archE1200ELNS1_3gpuE4ELNS1_3repE0EEENS1_30default_config_static_selectorELNS0_4arch9wavefront6targetE1EEEvT1_,"axG",@progbits,_ZN7rocprim17ROCPRIM_400000_NS6detail17trampoline_kernelINS0_14default_configENS1_20scan_config_selectorIyEEZZNS1_9scan_implILNS1_25lookback_scan_determinismE0ELb0ELb0ES3_N6thrust23THRUST_200600_302600_NS6detail15normal_iteratorINS9_10device_ptrIyEEEENS9_16discard_iteratorINS9_11use_defaultEEEyNS9_4plusIvEEyEEDaPvRmT3_T4_T5_mT6_P12ihipStream_tbENKUlT_T0_E_clISt17integral_constantIbLb1EESX_EEDaSS_ST_EUlSS_E_NS1_11comp_targetILNS1_3genE10ELNS1_11target_archE1200ELNS1_3gpuE4ELNS1_3repE0EEENS1_30default_config_static_selectorELNS0_4arch9wavefront6targetE1EEEvT1_,comdat
.Lfunc_end5174:
	.size	_ZN7rocprim17ROCPRIM_400000_NS6detail17trampoline_kernelINS0_14default_configENS1_20scan_config_selectorIyEEZZNS1_9scan_implILNS1_25lookback_scan_determinismE0ELb0ELb0ES3_N6thrust23THRUST_200600_302600_NS6detail15normal_iteratorINS9_10device_ptrIyEEEENS9_16discard_iteratorINS9_11use_defaultEEEyNS9_4plusIvEEyEEDaPvRmT3_T4_T5_mT6_P12ihipStream_tbENKUlT_T0_E_clISt17integral_constantIbLb1EESX_EEDaSS_ST_EUlSS_E_NS1_11comp_targetILNS1_3genE10ELNS1_11target_archE1200ELNS1_3gpuE4ELNS1_3repE0EEENS1_30default_config_static_selectorELNS0_4arch9wavefront6targetE1EEEvT1_, .Lfunc_end5174-_ZN7rocprim17ROCPRIM_400000_NS6detail17trampoline_kernelINS0_14default_configENS1_20scan_config_selectorIyEEZZNS1_9scan_implILNS1_25lookback_scan_determinismE0ELb0ELb0ES3_N6thrust23THRUST_200600_302600_NS6detail15normal_iteratorINS9_10device_ptrIyEEEENS9_16discard_iteratorINS9_11use_defaultEEEyNS9_4plusIvEEyEEDaPvRmT3_T4_T5_mT6_P12ihipStream_tbENKUlT_T0_E_clISt17integral_constantIbLb1EESX_EEDaSS_ST_EUlSS_E_NS1_11comp_targetILNS1_3genE10ELNS1_11target_archE1200ELNS1_3gpuE4ELNS1_3repE0EEENS1_30default_config_static_selectorELNS0_4arch9wavefront6targetE1EEEvT1_
                                        ; -- End function
	.section	.AMDGPU.csdata,"",@progbits
; Kernel info:
; codeLenInByte = 0
; NumSgprs: 4
; NumVgprs: 0
; NumAgprs: 0
; TotalNumVgprs: 0
; ScratchSize: 0
; MemoryBound: 0
; FloatMode: 240
; IeeeMode: 1
; LDSByteSize: 0 bytes/workgroup (compile time only)
; SGPRBlocks: 0
; VGPRBlocks: 0
; NumSGPRsForWavesPerEU: 4
; NumVGPRsForWavesPerEU: 1
; AccumOffset: 4
; Occupancy: 8
; WaveLimiterHint : 0
; COMPUTE_PGM_RSRC2:SCRATCH_EN: 0
; COMPUTE_PGM_RSRC2:USER_SGPR: 6
; COMPUTE_PGM_RSRC2:TRAP_HANDLER: 0
; COMPUTE_PGM_RSRC2:TGID_X_EN: 1
; COMPUTE_PGM_RSRC2:TGID_Y_EN: 0
; COMPUTE_PGM_RSRC2:TGID_Z_EN: 0
; COMPUTE_PGM_RSRC2:TIDIG_COMP_CNT: 0
; COMPUTE_PGM_RSRC3_GFX90A:ACCUM_OFFSET: 0
; COMPUTE_PGM_RSRC3_GFX90A:TG_SPLIT: 0
	.section	.text._ZN7rocprim17ROCPRIM_400000_NS6detail17trampoline_kernelINS0_14default_configENS1_20scan_config_selectorIyEEZZNS1_9scan_implILNS1_25lookback_scan_determinismE0ELb0ELb0ES3_N6thrust23THRUST_200600_302600_NS6detail15normal_iteratorINS9_10device_ptrIyEEEENS9_16discard_iteratorINS9_11use_defaultEEEyNS9_4plusIvEEyEEDaPvRmT3_T4_T5_mT6_P12ihipStream_tbENKUlT_T0_E_clISt17integral_constantIbLb1EESX_EEDaSS_ST_EUlSS_E_NS1_11comp_targetILNS1_3genE9ELNS1_11target_archE1100ELNS1_3gpuE3ELNS1_3repE0EEENS1_30default_config_static_selectorELNS0_4arch9wavefront6targetE1EEEvT1_,"axG",@progbits,_ZN7rocprim17ROCPRIM_400000_NS6detail17trampoline_kernelINS0_14default_configENS1_20scan_config_selectorIyEEZZNS1_9scan_implILNS1_25lookback_scan_determinismE0ELb0ELb0ES3_N6thrust23THRUST_200600_302600_NS6detail15normal_iteratorINS9_10device_ptrIyEEEENS9_16discard_iteratorINS9_11use_defaultEEEyNS9_4plusIvEEyEEDaPvRmT3_T4_T5_mT6_P12ihipStream_tbENKUlT_T0_E_clISt17integral_constantIbLb1EESX_EEDaSS_ST_EUlSS_E_NS1_11comp_targetILNS1_3genE9ELNS1_11target_archE1100ELNS1_3gpuE3ELNS1_3repE0EEENS1_30default_config_static_selectorELNS0_4arch9wavefront6targetE1EEEvT1_,comdat
	.protected	_ZN7rocprim17ROCPRIM_400000_NS6detail17trampoline_kernelINS0_14default_configENS1_20scan_config_selectorIyEEZZNS1_9scan_implILNS1_25lookback_scan_determinismE0ELb0ELb0ES3_N6thrust23THRUST_200600_302600_NS6detail15normal_iteratorINS9_10device_ptrIyEEEENS9_16discard_iteratorINS9_11use_defaultEEEyNS9_4plusIvEEyEEDaPvRmT3_T4_T5_mT6_P12ihipStream_tbENKUlT_T0_E_clISt17integral_constantIbLb1EESX_EEDaSS_ST_EUlSS_E_NS1_11comp_targetILNS1_3genE9ELNS1_11target_archE1100ELNS1_3gpuE3ELNS1_3repE0EEENS1_30default_config_static_selectorELNS0_4arch9wavefront6targetE1EEEvT1_ ; -- Begin function _ZN7rocprim17ROCPRIM_400000_NS6detail17trampoline_kernelINS0_14default_configENS1_20scan_config_selectorIyEEZZNS1_9scan_implILNS1_25lookback_scan_determinismE0ELb0ELb0ES3_N6thrust23THRUST_200600_302600_NS6detail15normal_iteratorINS9_10device_ptrIyEEEENS9_16discard_iteratorINS9_11use_defaultEEEyNS9_4plusIvEEyEEDaPvRmT3_T4_T5_mT6_P12ihipStream_tbENKUlT_T0_E_clISt17integral_constantIbLb1EESX_EEDaSS_ST_EUlSS_E_NS1_11comp_targetILNS1_3genE9ELNS1_11target_archE1100ELNS1_3gpuE3ELNS1_3repE0EEENS1_30default_config_static_selectorELNS0_4arch9wavefront6targetE1EEEvT1_
	.globl	_ZN7rocprim17ROCPRIM_400000_NS6detail17trampoline_kernelINS0_14default_configENS1_20scan_config_selectorIyEEZZNS1_9scan_implILNS1_25lookback_scan_determinismE0ELb0ELb0ES3_N6thrust23THRUST_200600_302600_NS6detail15normal_iteratorINS9_10device_ptrIyEEEENS9_16discard_iteratorINS9_11use_defaultEEEyNS9_4plusIvEEyEEDaPvRmT3_T4_T5_mT6_P12ihipStream_tbENKUlT_T0_E_clISt17integral_constantIbLb1EESX_EEDaSS_ST_EUlSS_E_NS1_11comp_targetILNS1_3genE9ELNS1_11target_archE1100ELNS1_3gpuE3ELNS1_3repE0EEENS1_30default_config_static_selectorELNS0_4arch9wavefront6targetE1EEEvT1_
	.p2align	8
	.type	_ZN7rocprim17ROCPRIM_400000_NS6detail17trampoline_kernelINS0_14default_configENS1_20scan_config_selectorIyEEZZNS1_9scan_implILNS1_25lookback_scan_determinismE0ELb0ELb0ES3_N6thrust23THRUST_200600_302600_NS6detail15normal_iteratorINS9_10device_ptrIyEEEENS9_16discard_iteratorINS9_11use_defaultEEEyNS9_4plusIvEEyEEDaPvRmT3_T4_T5_mT6_P12ihipStream_tbENKUlT_T0_E_clISt17integral_constantIbLb1EESX_EEDaSS_ST_EUlSS_E_NS1_11comp_targetILNS1_3genE9ELNS1_11target_archE1100ELNS1_3gpuE3ELNS1_3repE0EEENS1_30default_config_static_selectorELNS0_4arch9wavefront6targetE1EEEvT1_,@function
_ZN7rocprim17ROCPRIM_400000_NS6detail17trampoline_kernelINS0_14default_configENS1_20scan_config_selectorIyEEZZNS1_9scan_implILNS1_25lookback_scan_determinismE0ELb0ELb0ES3_N6thrust23THRUST_200600_302600_NS6detail15normal_iteratorINS9_10device_ptrIyEEEENS9_16discard_iteratorINS9_11use_defaultEEEyNS9_4plusIvEEyEEDaPvRmT3_T4_T5_mT6_P12ihipStream_tbENKUlT_T0_E_clISt17integral_constantIbLb1EESX_EEDaSS_ST_EUlSS_E_NS1_11comp_targetILNS1_3genE9ELNS1_11target_archE1100ELNS1_3gpuE3ELNS1_3repE0EEENS1_30default_config_static_selectorELNS0_4arch9wavefront6targetE1EEEvT1_: ; @_ZN7rocprim17ROCPRIM_400000_NS6detail17trampoline_kernelINS0_14default_configENS1_20scan_config_selectorIyEEZZNS1_9scan_implILNS1_25lookback_scan_determinismE0ELb0ELb0ES3_N6thrust23THRUST_200600_302600_NS6detail15normal_iteratorINS9_10device_ptrIyEEEENS9_16discard_iteratorINS9_11use_defaultEEEyNS9_4plusIvEEyEEDaPvRmT3_T4_T5_mT6_P12ihipStream_tbENKUlT_T0_E_clISt17integral_constantIbLb1EESX_EEDaSS_ST_EUlSS_E_NS1_11comp_targetILNS1_3genE9ELNS1_11target_archE1100ELNS1_3gpuE3ELNS1_3repE0EEENS1_30default_config_static_selectorELNS0_4arch9wavefront6targetE1EEEvT1_
; %bb.0:
	.section	.rodata,"a",@progbits
	.p2align	6, 0x0
	.amdhsa_kernel _ZN7rocprim17ROCPRIM_400000_NS6detail17trampoline_kernelINS0_14default_configENS1_20scan_config_selectorIyEEZZNS1_9scan_implILNS1_25lookback_scan_determinismE0ELb0ELb0ES3_N6thrust23THRUST_200600_302600_NS6detail15normal_iteratorINS9_10device_ptrIyEEEENS9_16discard_iteratorINS9_11use_defaultEEEyNS9_4plusIvEEyEEDaPvRmT3_T4_T5_mT6_P12ihipStream_tbENKUlT_T0_E_clISt17integral_constantIbLb1EESX_EEDaSS_ST_EUlSS_E_NS1_11comp_targetILNS1_3genE9ELNS1_11target_archE1100ELNS1_3gpuE3ELNS1_3repE0EEENS1_30default_config_static_selectorELNS0_4arch9wavefront6targetE1EEEvT1_
		.amdhsa_group_segment_fixed_size 0
		.amdhsa_private_segment_fixed_size 0
		.amdhsa_kernarg_size 112
		.amdhsa_user_sgpr_count 6
		.amdhsa_user_sgpr_private_segment_buffer 1
		.amdhsa_user_sgpr_dispatch_ptr 0
		.amdhsa_user_sgpr_queue_ptr 0
		.amdhsa_user_sgpr_kernarg_segment_ptr 1
		.amdhsa_user_sgpr_dispatch_id 0
		.amdhsa_user_sgpr_flat_scratch_init 0
		.amdhsa_user_sgpr_kernarg_preload_length 0
		.amdhsa_user_sgpr_kernarg_preload_offset 0
		.amdhsa_user_sgpr_private_segment_size 0
		.amdhsa_uses_dynamic_stack 0
		.amdhsa_system_sgpr_private_segment_wavefront_offset 0
		.amdhsa_system_sgpr_workgroup_id_x 1
		.amdhsa_system_sgpr_workgroup_id_y 0
		.amdhsa_system_sgpr_workgroup_id_z 0
		.amdhsa_system_sgpr_workgroup_info 0
		.amdhsa_system_vgpr_workitem_id 0
		.amdhsa_next_free_vgpr 1
		.amdhsa_next_free_sgpr 0
		.amdhsa_accum_offset 4
		.amdhsa_reserve_vcc 0
		.amdhsa_reserve_flat_scratch 0
		.amdhsa_float_round_mode_32 0
		.amdhsa_float_round_mode_16_64 0
		.amdhsa_float_denorm_mode_32 3
		.amdhsa_float_denorm_mode_16_64 3
		.amdhsa_dx10_clamp 1
		.amdhsa_ieee_mode 1
		.amdhsa_fp16_overflow 0
		.amdhsa_tg_split 0
		.amdhsa_exception_fp_ieee_invalid_op 0
		.amdhsa_exception_fp_denorm_src 0
		.amdhsa_exception_fp_ieee_div_zero 0
		.amdhsa_exception_fp_ieee_overflow 0
		.amdhsa_exception_fp_ieee_underflow 0
		.amdhsa_exception_fp_ieee_inexact 0
		.amdhsa_exception_int_div_zero 0
	.end_amdhsa_kernel
	.section	.text._ZN7rocprim17ROCPRIM_400000_NS6detail17trampoline_kernelINS0_14default_configENS1_20scan_config_selectorIyEEZZNS1_9scan_implILNS1_25lookback_scan_determinismE0ELb0ELb0ES3_N6thrust23THRUST_200600_302600_NS6detail15normal_iteratorINS9_10device_ptrIyEEEENS9_16discard_iteratorINS9_11use_defaultEEEyNS9_4plusIvEEyEEDaPvRmT3_T4_T5_mT6_P12ihipStream_tbENKUlT_T0_E_clISt17integral_constantIbLb1EESX_EEDaSS_ST_EUlSS_E_NS1_11comp_targetILNS1_3genE9ELNS1_11target_archE1100ELNS1_3gpuE3ELNS1_3repE0EEENS1_30default_config_static_selectorELNS0_4arch9wavefront6targetE1EEEvT1_,"axG",@progbits,_ZN7rocprim17ROCPRIM_400000_NS6detail17trampoline_kernelINS0_14default_configENS1_20scan_config_selectorIyEEZZNS1_9scan_implILNS1_25lookback_scan_determinismE0ELb0ELb0ES3_N6thrust23THRUST_200600_302600_NS6detail15normal_iteratorINS9_10device_ptrIyEEEENS9_16discard_iteratorINS9_11use_defaultEEEyNS9_4plusIvEEyEEDaPvRmT3_T4_T5_mT6_P12ihipStream_tbENKUlT_T0_E_clISt17integral_constantIbLb1EESX_EEDaSS_ST_EUlSS_E_NS1_11comp_targetILNS1_3genE9ELNS1_11target_archE1100ELNS1_3gpuE3ELNS1_3repE0EEENS1_30default_config_static_selectorELNS0_4arch9wavefront6targetE1EEEvT1_,comdat
.Lfunc_end5175:
	.size	_ZN7rocprim17ROCPRIM_400000_NS6detail17trampoline_kernelINS0_14default_configENS1_20scan_config_selectorIyEEZZNS1_9scan_implILNS1_25lookback_scan_determinismE0ELb0ELb0ES3_N6thrust23THRUST_200600_302600_NS6detail15normal_iteratorINS9_10device_ptrIyEEEENS9_16discard_iteratorINS9_11use_defaultEEEyNS9_4plusIvEEyEEDaPvRmT3_T4_T5_mT6_P12ihipStream_tbENKUlT_T0_E_clISt17integral_constantIbLb1EESX_EEDaSS_ST_EUlSS_E_NS1_11comp_targetILNS1_3genE9ELNS1_11target_archE1100ELNS1_3gpuE3ELNS1_3repE0EEENS1_30default_config_static_selectorELNS0_4arch9wavefront6targetE1EEEvT1_, .Lfunc_end5175-_ZN7rocprim17ROCPRIM_400000_NS6detail17trampoline_kernelINS0_14default_configENS1_20scan_config_selectorIyEEZZNS1_9scan_implILNS1_25lookback_scan_determinismE0ELb0ELb0ES3_N6thrust23THRUST_200600_302600_NS6detail15normal_iteratorINS9_10device_ptrIyEEEENS9_16discard_iteratorINS9_11use_defaultEEEyNS9_4plusIvEEyEEDaPvRmT3_T4_T5_mT6_P12ihipStream_tbENKUlT_T0_E_clISt17integral_constantIbLb1EESX_EEDaSS_ST_EUlSS_E_NS1_11comp_targetILNS1_3genE9ELNS1_11target_archE1100ELNS1_3gpuE3ELNS1_3repE0EEENS1_30default_config_static_selectorELNS0_4arch9wavefront6targetE1EEEvT1_
                                        ; -- End function
	.section	.AMDGPU.csdata,"",@progbits
; Kernel info:
; codeLenInByte = 0
; NumSgprs: 4
; NumVgprs: 0
; NumAgprs: 0
; TotalNumVgprs: 0
; ScratchSize: 0
; MemoryBound: 0
; FloatMode: 240
; IeeeMode: 1
; LDSByteSize: 0 bytes/workgroup (compile time only)
; SGPRBlocks: 0
; VGPRBlocks: 0
; NumSGPRsForWavesPerEU: 4
; NumVGPRsForWavesPerEU: 1
; AccumOffset: 4
; Occupancy: 8
; WaveLimiterHint : 0
; COMPUTE_PGM_RSRC2:SCRATCH_EN: 0
; COMPUTE_PGM_RSRC2:USER_SGPR: 6
; COMPUTE_PGM_RSRC2:TRAP_HANDLER: 0
; COMPUTE_PGM_RSRC2:TGID_X_EN: 1
; COMPUTE_PGM_RSRC2:TGID_Y_EN: 0
; COMPUTE_PGM_RSRC2:TGID_Z_EN: 0
; COMPUTE_PGM_RSRC2:TIDIG_COMP_CNT: 0
; COMPUTE_PGM_RSRC3_GFX90A:ACCUM_OFFSET: 0
; COMPUTE_PGM_RSRC3_GFX90A:TG_SPLIT: 0
	.section	.text._ZN7rocprim17ROCPRIM_400000_NS6detail17trampoline_kernelINS0_14default_configENS1_20scan_config_selectorIyEEZZNS1_9scan_implILNS1_25lookback_scan_determinismE0ELb0ELb0ES3_N6thrust23THRUST_200600_302600_NS6detail15normal_iteratorINS9_10device_ptrIyEEEENS9_16discard_iteratorINS9_11use_defaultEEEyNS9_4plusIvEEyEEDaPvRmT3_T4_T5_mT6_P12ihipStream_tbENKUlT_T0_E_clISt17integral_constantIbLb1EESX_EEDaSS_ST_EUlSS_E_NS1_11comp_targetILNS1_3genE8ELNS1_11target_archE1030ELNS1_3gpuE2ELNS1_3repE0EEENS1_30default_config_static_selectorELNS0_4arch9wavefront6targetE1EEEvT1_,"axG",@progbits,_ZN7rocprim17ROCPRIM_400000_NS6detail17trampoline_kernelINS0_14default_configENS1_20scan_config_selectorIyEEZZNS1_9scan_implILNS1_25lookback_scan_determinismE0ELb0ELb0ES3_N6thrust23THRUST_200600_302600_NS6detail15normal_iteratorINS9_10device_ptrIyEEEENS9_16discard_iteratorINS9_11use_defaultEEEyNS9_4plusIvEEyEEDaPvRmT3_T4_T5_mT6_P12ihipStream_tbENKUlT_T0_E_clISt17integral_constantIbLb1EESX_EEDaSS_ST_EUlSS_E_NS1_11comp_targetILNS1_3genE8ELNS1_11target_archE1030ELNS1_3gpuE2ELNS1_3repE0EEENS1_30default_config_static_selectorELNS0_4arch9wavefront6targetE1EEEvT1_,comdat
	.protected	_ZN7rocprim17ROCPRIM_400000_NS6detail17trampoline_kernelINS0_14default_configENS1_20scan_config_selectorIyEEZZNS1_9scan_implILNS1_25lookback_scan_determinismE0ELb0ELb0ES3_N6thrust23THRUST_200600_302600_NS6detail15normal_iteratorINS9_10device_ptrIyEEEENS9_16discard_iteratorINS9_11use_defaultEEEyNS9_4plusIvEEyEEDaPvRmT3_T4_T5_mT6_P12ihipStream_tbENKUlT_T0_E_clISt17integral_constantIbLb1EESX_EEDaSS_ST_EUlSS_E_NS1_11comp_targetILNS1_3genE8ELNS1_11target_archE1030ELNS1_3gpuE2ELNS1_3repE0EEENS1_30default_config_static_selectorELNS0_4arch9wavefront6targetE1EEEvT1_ ; -- Begin function _ZN7rocprim17ROCPRIM_400000_NS6detail17trampoline_kernelINS0_14default_configENS1_20scan_config_selectorIyEEZZNS1_9scan_implILNS1_25lookback_scan_determinismE0ELb0ELb0ES3_N6thrust23THRUST_200600_302600_NS6detail15normal_iteratorINS9_10device_ptrIyEEEENS9_16discard_iteratorINS9_11use_defaultEEEyNS9_4plusIvEEyEEDaPvRmT3_T4_T5_mT6_P12ihipStream_tbENKUlT_T0_E_clISt17integral_constantIbLb1EESX_EEDaSS_ST_EUlSS_E_NS1_11comp_targetILNS1_3genE8ELNS1_11target_archE1030ELNS1_3gpuE2ELNS1_3repE0EEENS1_30default_config_static_selectorELNS0_4arch9wavefront6targetE1EEEvT1_
	.globl	_ZN7rocprim17ROCPRIM_400000_NS6detail17trampoline_kernelINS0_14default_configENS1_20scan_config_selectorIyEEZZNS1_9scan_implILNS1_25lookback_scan_determinismE0ELb0ELb0ES3_N6thrust23THRUST_200600_302600_NS6detail15normal_iteratorINS9_10device_ptrIyEEEENS9_16discard_iteratorINS9_11use_defaultEEEyNS9_4plusIvEEyEEDaPvRmT3_T4_T5_mT6_P12ihipStream_tbENKUlT_T0_E_clISt17integral_constantIbLb1EESX_EEDaSS_ST_EUlSS_E_NS1_11comp_targetILNS1_3genE8ELNS1_11target_archE1030ELNS1_3gpuE2ELNS1_3repE0EEENS1_30default_config_static_selectorELNS0_4arch9wavefront6targetE1EEEvT1_
	.p2align	8
	.type	_ZN7rocprim17ROCPRIM_400000_NS6detail17trampoline_kernelINS0_14default_configENS1_20scan_config_selectorIyEEZZNS1_9scan_implILNS1_25lookback_scan_determinismE0ELb0ELb0ES3_N6thrust23THRUST_200600_302600_NS6detail15normal_iteratorINS9_10device_ptrIyEEEENS9_16discard_iteratorINS9_11use_defaultEEEyNS9_4plusIvEEyEEDaPvRmT3_T4_T5_mT6_P12ihipStream_tbENKUlT_T0_E_clISt17integral_constantIbLb1EESX_EEDaSS_ST_EUlSS_E_NS1_11comp_targetILNS1_3genE8ELNS1_11target_archE1030ELNS1_3gpuE2ELNS1_3repE0EEENS1_30default_config_static_selectorELNS0_4arch9wavefront6targetE1EEEvT1_,@function
_ZN7rocprim17ROCPRIM_400000_NS6detail17trampoline_kernelINS0_14default_configENS1_20scan_config_selectorIyEEZZNS1_9scan_implILNS1_25lookback_scan_determinismE0ELb0ELb0ES3_N6thrust23THRUST_200600_302600_NS6detail15normal_iteratorINS9_10device_ptrIyEEEENS9_16discard_iteratorINS9_11use_defaultEEEyNS9_4plusIvEEyEEDaPvRmT3_T4_T5_mT6_P12ihipStream_tbENKUlT_T0_E_clISt17integral_constantIbLb1EESX_EEDaSS_ST_EUlSS_E_NS1_11comp_targetILNS1_3genE8ELNS1_11target_archE1030ELNS1_3gpuE2ELNS1_3repE0EEENS1_30default_config_static_selectorELNS0_4arch9wavefront6targetE1EEEvT1_: ; @_ZN7rocprim17ROCPRIM_400000_NS6detail17trampoline_kernelINS0_14default_configENS1_20scan_config_selectorIyEEZZNS1_9scan_implILNS1_25lookback_scan_determinismE0ELb0ELb0ES3_N6thrust23THRUST_200600_302600_NS6detail15normal_iteratorINS9_10device_ptrIyEEEENS9_16discard_iteratorINS9_11use_defaultEEEyNS9_4plusIvEEyEEDaPvRmT3_T4_T5_mT6_P12ihipStream_tbENKUlT_T0_E_clISt17integral_constantIbLb1EESX_EEDaSS_ST_EUlSS_E_NS1_11comp_targetILNS1_3genE8ELNS1_11target_archE1030ELNS1_3gpuE2ELNS1_3repE0EEENS1_30default_config_static_selectorELNS0_4arch9wavefront6targetE1EEEvT1_
; %bb.0:
	.section	.rodata,"a",@progbits
	.p2align	6, 0x0
	.amdhsa_kernel _ZN7rocprim17ROCPRIM_400000_NS6detail17trampoline_kernelINS0_14default_configENS1_20scan_config_selectorIyEEZZNS1_9scan_implILNS1_25lookback_scan_determinismE0ELb0ELb0ES3_N6thrust23THRUST_200600_302600_NS6detail15normal_iteratorINS9_10device_ptrIyEEEENS9_16discard_iteratorINS9_11use_defaultEEEyNS9_4plusIvEEyEEDaPvRmT3_T4_T5_mT6_P12ihipStream_tbENKUlT_T0_E_clISt17integral_constantIbLb1EESX_EEDaSS_ST_EUlSS_E_NS1_11comp_targetILNS1_3genE8ELNS1_11target_archE1030ELNS1_3gpuE2ELNS1_3repE0EEENS1_30default_config_static_selectorELNS0_4arch9wavefront6targetE1EEEvT1_
		.amdhsa_group_segment_fixed_size 0
		.amdhsa_private_segment_fixed_size 0
		.amdhsa_kernarg_size 112
		.amdhsa_user_sgpr_count 6
		.amdhsa_user_sgpr_private_segment_buffer 1
		.amdhsa_user_sgpr_dispatch_ptr 0
		.amdhsa_user_sgpr_queue_ptr 0
		.amdhsa_user_sgpr_kernarg_segment_ptr 1
		.amdhsa_user_sgpr_dispatch_id 0
		.amdhsa_user_sgpr_flat_scratch_init 0
		.amdhsa_user_sgpr_kernarg_preload_length 0
		.amdhsa_user_sgpr_kernarg_preload_offset 0
		.amdhsa_user_sgpr_private_segment_size 0
		.amdhsa_uses_dynamic_stack 0
		.amdhsa_system_sgpr_private_segment_wavefront_offset 0
		.amdhsa_system_sgpr_workgroup_id_x 1
		.amdhsa_system_sgpr_workgroup_id_y 0
		.amdhsa_system_sgpr_workgroup_id_z 0
		.amdhsa_system_sgpr_workgroup_info 0
		.amdhsa_system_vgpr_workitem_id 0
		.amdhsa_next_free_vgpr 1
		.amdhsa_next_free_sgpr 0
		.amdhsa_accum_offset 4
		.amdhsa_reserve_vcc 0
		.amdhsa_reserve_flat_scratch 0
		.amdhsa_float_round_mode_32 0
		.amdhsa_float_round_mode_16_64 0
		.amdhsa_float_denorm_mode_32 3
		.amdhsa_float_denorm_mode_16_64 3
		.amdhsa_dx10_clamp 1
		.amdhsa_ieee_mode 1
		.amdhsa_fp16_overflow 0
		.amdhsa_tg_split 0
		.amdhsa_exception_fp_ieee_invalid_op 0
		.amdhsa_exception_fp_denorm_src 0
		.amdhsa_exception_fp_ieee_div_zero 0
		.amdhsa_exception_fp_ieee_overflow 0
		.amdhsa_exception_fp_ieee_underflow 0
		.amdhsa_exception_fp_ieee_inexact 0
		.amdhsa_exception_int_div_zero 0
	.end_amdhsa_kernel
	.section	.text._ZN7rocprim17ROCPRIM_400000_NS6detail17trampoline_kernelINS0_14default_configENS1_20scan_config_selectorIyEEZZNS1_9scan_implILNS1_25lookback_scan_determinismE0ELb0ELb0ES3_N6thrust23THRUST_200600_302600_NS6detail15normal_iteratorINS9_10device_ptrIyEEEENS9_16discard_iteratorINS9_11use_defaultEEEyNS9_4plusIvEEyEEDaPvRmT3_T4_T5_mT6_P12ihipStream_tbENKUlT_T0_E_clISt17integral_constantIbLb1EESX_EEDaSS_ST_EUlSS_E_NS1_11comp_targetILNS1_3genE8ELNS1_11target_archE1030ELNS1_3gpuE2ELNS1_3repE0EEENS1_30default_config_static_selectorELNS0_4arch9wavefront6targetE1EEEvT1_,"axG",@progbits,_ZN7rocprim17ROCPRIM_400000_NS6detail17trampoline_kernelINS0_14default_configENS1_20scan_config_selectorIyEEZZNS1_9scan_implILNS1_25lookback_scan_determinismE0ELb0ELb0ES3_N6thrust23THRUST_200600_302600_NS6detail15normal_iteratorINS9_10device_ptrIyEEEENS9_16discard_iteratorINS9_11use_defaultEEEyNS9_4plusIvEEyEEDaPvRmT3_T4_T5_mT6_P12ihipStream_tbENKUlT_T0_E_clISt17integral_constantIbLb1EESX_EEDaSS_ST_EUlSS_E_NS1_11comp_targetILNS1_3genE8ELNS1_11target_archE1030ELNS1_3gpuE2ELNS1_3repE0EEENS1_30default_config_static_selectorELNS0_4arch9wavefront6targetE1EEEvT1_,comdat
.Lfunc_end5176:
	.size	_ZN7rocprim17ROCPRIM_400000_NS6detail17trampoline_kernelINS0_14default_configENS1_20scan_config_selectorIyEEZZNS1_9scan_implILNS1_25lookback_scan_determinismE0ELb0ELb0ES3_N6thrust23THRUST_200600_302600_NS6detail15normal_iteratorINS9_10device_ptrIyEEEENS9_16discard_iteratorINS9_11use_defaultEEEyNS9_4plusIvEEyEEDaPvRmT3_T4_T5_mT6_P12ihipStream_tbENKUlT_T0_E_clISt17integral_constantIbLb1EESX_EEDaSS_ST_EUlSS_E_NS1_11comp_targetILNS1_3genE8ELNS1_11target_archE1030ELNS1_3gpuE2ELNS1_3repE0EEENS1_30default_config_static_selectorELNS0_4arch9wavefront6targetE1EEEvT1_, .Lfunc_end5176-_ZN7rocprim17ROCPRIM_400000_NS6detail17trampoline_kernelINS0_14default_configENS1_20scan_config_selectorIyEEZZNS1_9scan_implILNS1_25lookback_scan_determinismE0ELb0ELb0ES3_N6thrust23THRUST_200600_302600_NS6detail15normal_iteratorINS9_10device_ptrIyEEEENS9_16discard_iteratorINS9_11use_defaultEEEyNS9_4plusIvEEyEEDaPvRmT3_T4_T5_mT6_P12ihipStream_tbENKUlT_T0_E_clISt17integral_constantIbLb1EESX_EEDaSS_ST_EUlSS_E_NS1_11comp_targetILNS1_3genE8ELNS1_11target_archE1030ELNS1_3gpuE2ELNS1_3repE0EEENS1_30default_config_static_selectorELNS0_4arch9wavefront6targetE1EEEvT1_
                                        ; -- End function
	.section	.AMDGPU.csdata,"",@progbits
; Kernel info:
; codeLenInByte = 0
; NumSgprs: 4
; NumVgprs: 0
; NumAgprs: 0
; TotalNumVgprs: 0
; ScratchSize: 0
; MemoryBound: 0
; FloatMode: 240
; IeeeMode: 1
; LDSByteSize: 0 bytes/workgroup (compile time only)
; SGPRBlocks: 0
; VGPRBlocks: 0
; NumSGPRsForWavesPerEU: 4
; NumVGPRsForWavesPerEU: 1
; AccumOffset: 4
; Occupancy: 8
; WaveLimiterHint : 0
; COMPUTE_PGM_RSRC2:SCRATCH_EN: 0
; COMPUTE_PGM_RSRC2:USER_SGPR: 6
; COMPUTE_PGM_RSRC2:TRAP_HANDLER: 0
; COMPUTE_PGM_RSRC2:TGID_X_EN: 1
; COMPUTE_PGM_RSRC2:TGID_Y_EN: 0
; COMPUTE_PGM_RSRC2:TGID_Z_EN: 0
; COMPUTE_PGM_RSRC2:TIDIG_COMP_CNT: 0
; COMPUTE_PGM_RSRC3_GFX90A:ACCUM_OFFSET: 0
; COMPUTE_PGM_RSRC3_GFX90A:TG_SPLIT: 0
	.section	.text._ZN7rocprim17ROCPRIM_400000_NS6detail17trampoline_kernelINS0_14default_configENS1_20scan_config_selectorIyEEZZNS1_9scan_implILNS1_25lookback_scan_determinismE0ELb0ELb0ES3_N6thrust23THRUST_200600_302600_NS6detail15normal_iteratorINS9_10device_ptrIyEEEENS9_16discard_iteratorINS9_11use_defaultEEEyNS9_4plusIvEEyEEDaPvRmT3_T4_T5_mT6_P12ihipStream_tbENKUlT_T0_E_clISt17integral_constantIbLb1EESX_EEDaSS_ST_EUlSS_E0_NS1_11comp_targetILNS1_3genE0ELNS1_11target_archE4294967295ELNS1_3gpuE0ELNS1_3repE0EEENS1_30default_config_static_selectorELNS0_4arch9wavefront6targetE1EEEvT1_,"axG",@progbits,_ZN7rocprim17ROCPRIM_400000_NS6detail17trampoline_kernelINS0_14default_configENS1_20scan_config_selectorIyEEZZNS1_9scan_implILNS1_25lookback_scan_determinismE0ELb0ELb0ES3_N6thrust23THRUST_200600_302600_NS6detail15normal_iteratorINS9_10device_ptrIyEEEENS9_16discard_iteratorINS9_11use_defaultEEEyNS9_4plusIvEEyEEDaPvRmT3_T4_T5_mT6_P12ihipStream_tbENKUlT_T0_E_clISt17integral_constantIbLb1EESX_EEDaSS_ST_EUlSS_E0_NS1_11comp_targetILNS1_3genE0ELNS1_11target_archE4294967295ELNS1_3gpuE0ELNS1_3repE0EEENS1_30default_config_static_selectorELNS0_4arch9wavefront6targetE1EEEvT1_,comdat
	.protected	_ZN7rocprim17ROCPRIM_400000_NS6detail17trampoline_kernelINS0_14default_configENS1_20scan_config_selectorIyEEZZNS1_9scan_implILNS1_25lookback_scan_determinismE0ELb0ELb0ES3_N6thrust23THRUST_200600_302600_NS6detail15normal_iteratorINS9_10device_ptrIyEEEENS9_16discard_iteratorINS9_11use_defaultEEEyNS9_4plusIvEEyEEDaPvRmT3_T4_T5_mT6_P12ihipStream_tbENKUlT_T0_E_clISt17integral_constantIbLb1EESX_EEDaSS_ST_EUlSS_E0_NS1_11comp_targetILNS1_3genE0ELNS1_11target_archE4294967295ELNS1_3gpuE0ELNS1_3repE0EEENS1_30default_config_static_selectorELNS0_4arch9wavefront6targetE1EEEvT1_ ; -- Begin function _ZN7rocprim17ROCPRIM_400000_NS6detail17trampoline_kernelINS0_14default_configENS1_20scan_config_selectorIyEEZZNS1_9scan_implILNS1_25lookback_scan_determinismE0ELb0ELb0ES3_N6thrust23THRUST_200600_302600_NS6detail15normal_iteratorINS9_10device_ptrIyEEEENS9_16discard_iteratorINS9_11use_defaultEEEyNS9_4plusIvEEyEEDaPvRmT3_T4_T5_mT6_P12ihipStream_tbENKUlT_T0_E_clISt17integral_constantIbLb1EESX_EEDaSS_ST_EUlSS_E0_NS1_11comp_targetILNS1_3genE0ELNS1_11target_archE4294967295ELNS1_3gpuE0ELNS1_3repE0EEENS1_30default_config_static_selectorELNS0_4arch9wavefront6targetE1EEEvT1_
	.globl	_ZN7rocprim17ROCPRIM_400000_NS6detail17trampoline_kernelINS0_14default_configENS1_20scan_config_selectorIyEEZZNS1_9scan_implILNS1_25lookback_scan_determinismE0ELb0ELb0ES3_N6thrust23THRUST_200600_302600_NS6detail15normal_iteratorINS9_10device_ptrIyEEEENS9_16discard_iteratorINS9_11use_defaultEEEyNS9_4plusIvEEyEEDaPvRmT3_T4_T5_mT6_P12ihipStream_tbENKUlT_T0_E_clISt17integral_constantIbLb1EESX_EEDaSS_ST_EUlSS_E0_NS1_11comp_targetILNS1_3genE0ELNS1_11target_archE4294967295ELNS1_3gpuE0ELNS1_3repE0EEENS1_30default_config_static_selectorELNS0_4arch9wavefront6targetE1EEEvT1_
	.p2align	8
	.type	_ZN7rocprim17ROCPRIM_400000_NS6detail17trampoline_kernelINS0_14default_configENS1_20scan_config_selectorIyEEZZNS1_9scan_implILNS1_25lookback_scan_determinismE0ELb0ELb0ES3_N6thrust23THRUST_200600_302600_NS6detail15normal_iteratorINS9_10device_ptrIyEEEENS9_16discard_iteratorINS9_11use_defaultEEEyNS9_4plusIvEEyEEDaPvRmT3_T4_T5_mT6_P12ihipStream_tbENKUlT_T0_E_clISt17integral_constantIbLb1EESX_EEDaSS_ST_EUlSS_E0_NS1_11comp_targetILNS1_3genE0ELNS1_11target_archE4294967295ELNS1_3gpuE0ELNS1_3repE0EEENS1_30default_config_static_selectorELNS0_4arch9wavefront6targetE1EEEvT1_,@function
_ZN7rocprim17ROCPRIM_400000_NS6detail17trampoline_kernelINS0_14default_configENS1_20scan_config_selectorIyEEZZNS1_9scan_implILNS1_25lookback_scan_determinismE0ELb0ELb0ES3_N6thrust23THRUST_200600_302600_NS6detail15normal_iteratorINS9_10device_ptrIyEEEENS9_16discard_iteratorINS9_11use_defaultEEEyNS9_4plusIvEEyEEDaPvRmT3_T4_T5_mT6_P12ihipStream_tbENKUlT_T0_E_clISt17integral_constantIbLb1EESX_EEDaSS_ST_EUlSS_E0_NS1_11comp_targetILNS1_3genE0ELNS1_11target_archE4294967295ELNS1_3gpuE0ELNS1_3repE0EEENS1_30default_config_static_selectorELNS0_4arch9wavefront6targetE1EEEvT1_: ; @_ZN7rocprim17ROCPRIM_400000_NS6detail17trampoline_kernelINS0_14default_configENS1_20scan_config_selectorIyEEZZNS1_9scan_implILNS1_25lookback_scan_determinismE0ELb0ELb0ES3_N6thrust23THRUST_200600_302600_NS6detail15normal_iteratorINS9_10device_ptrIyEEEENS9_16discard_iteratorINS9_11use_defaultEEEyNS9_4plusIvEEyEEDaPvRmT3_T4_T5_mT6_P12ihipStream_tbENKUlT_T0_E_clISt17integral_constantIbLb1EESX_EEDaSS_ST_EUlSS_E0_NS1_11comp_targetILNS1_3genE0ELNS1_11target_archE4294967295ELNS1_3gpuE0ELNS1_3repE0EEENS1_30default_config_static_selectorELNS0_4arch9wavefront6targetE1EEEvT1_
; %bb.0:
	.section	.rodata,"a",@progbits
	.p2align	6, 0x0
	.amdhsa_kernel _ZN7rocprim17ROCPRIM_400000_NS6detail17trampoline_kernelINS0_14default_configENS1_20scan_config_selectorIyEEZZNS1_9scan_implILNS1_25lookback_scan_determinismE0ELb0ELb0ES3_N6thrust23THRUST_200600_302600_NS6detail15normal_iteratorINS9_10device_ptrIyEEEENS9_16discard_iteratorINS9_11use_defaultEEEyNS9_4plusIvEEyEEDaPvRmT3_T4_T5_mT6_P12ihipStream_tbENKUlT_T0_E_clISt17integral_constantIbLb1EESX_EEDaSS_ST_EUlSS_E0_NS1_11comp_targetILNS1_3genE0ELNS1_11target_archE4294967295ELNS1_3gpuE0ELNS1_3repE0EEENS1_30default_config_static_selectorELNS0_4arch9wavefront6targetE1EEEvT1_
		.amdhsa_group_segment_fixed_size 0
		.amdhsa_private_segment_fixed_size 0
		.amdhsa_kernarg_size 48
		.amdhsa_user_sgpr_count 6
		.amdhsa_user_sgpr_private_segment_buffer 1
		.amdhsa_user_sgpr_dispatch_ptr 0
		.amdhsa_user_sgpr_queue_ptr 0
		.amdhsa_user_sgpr_kernarg_segment_ptr 1
		.amdhsa_user_sgpr_dispatch_id 0
		.amdhsa_user_sgpr_flat_scratch_init 0
		.amdhsa_user_sgpr_kernarg_preload_length 0
		.amdhsa_user_sgpr_kernarg_preload_offset 0
		.amdhsa_user_sgpr_private_segment_size 0
		.amdhsa_uses_dynamic_stack 0
		.amdhsa_system_sgpr_private_segment_wavefront_offset 0
		.amdhsa_system_sgpr_workgroup_id_x 1
		.amdhsa_system_sgpr_workgroup_id_y 0
		.amdhsa_system_sgpr_workgroup_id_z 0
		.amdhsa_system_sgpr_workgroup_info 0
		.amdhsa_system_vgpr_workitem_id 0
		.amdhsa_next_free_vgpr 1
		.amdhsa_next_free_sgpr 0
		.amdhsa_accum_offset 4
		.amdhsa_reserve_vcc 0
		.amdhsa_reserve_flat_scratch 0
		.amdhsa_float_round_mode_32 0
		.amdhsa_float_round_mode_16_64 0
		.amdhsa_float_denorm_mode_32 3
		.amdhsa_float_denorm_mode_16_64 3
		.amdhsa_dx10_clamp 1
		.amdhsa_ieee_mode 1
		.amdhsa_fp16_overflow 0
		.amdhsa_tg_split 0
		.amdhsa_exception_fp_ieee_invalid_op 0
		.amdhsa_exception_fp_denorm_src 0
		.amdhsa_exception_fp_ieee_div_zero 0
		.amdhsa_exception_fp_ieee_overflow 0
		.amdhsa_exception_fp_ieee_underflow 0
		.amdhsa_exception_fp_ieee_inexact 0
		.amdhsa_exception_int_div_zero 0
	.end_amdhsa_kernel
	.section	.text._ZN7rocprim17ROCPRIM_400000_NS6detail17trampoline_kernelINS0_14default_configENS1_20scan_config_selectorIyEEZZNS1_9scan_implILNS1_25lookback_scan_determinismE0ELb0ELb0ES3_N6thrust23THRUST_200600_302600_NS6detail15normal_iteratorINS9_10device_ptrIyEEEENS9_16discard_iteratorINS9_11use_defaultEEEyNS9_4plusIvEEyEEDaPvRmT3_T4_T5_mT6_P12ihipStream_tbENKUlT_T0_E_clISt17integral_constantIbLb1EESX_EEDaSS_ST_EUlSS_E0_NS1_11comp_targetILNS1_3genE0ELNS1_11target_archE4294967295ELNS1_3gpuE0ELNS1_3repE0EEENS1_30default_config_static_selectorELNS0_4arch9wavefront6targetE1EEEvT1_,"axG",@progbits,_ZN7rocprim17ROCPRIM_400000_NS6detail17trampoline_kernelINS0_14default_configENS1_20scan_config_selectorIyEEZZNS1_9scan_implILNS1_25lookback_scan_determinismE0ELb0ELb0ES3_N6thrust23THRUST_200600_302600_NS6detail15normal_iteratorINS9_10device_ptrIyEEEENS9_16discard_iteratorINS9_11use_defaultEEEyNS9_4plusIvEEyEEDaPvRmT3_T4_T5_mT6_P12ihipStream_tbENKUlT_T0_E_clISt17integral_constantIbLb1EESX_EEDaSS_ST_EUlSS_E0_NS1_11comp_targetILNS1_3genE0ELNS1_11target_archE4294967295ELNS1_3gpuE0ELNS1_3repE0EEENS1_30default_config_static_selectorELNS0_4arch9wavefront6targetE1EEEvT1_,comdat
.Lfunc_end5177:
	.size	_ZN7rocprim17ROCPRIM_400000_NS6detail17trampoline_kernelINS0_14default_configENS1_20scan_config_selectorIyEEZZNS1_9scan_implILNS1_25lookback_scan_determinismE0ELb0ELb0ES3_N6thrust23THRUST_200600_302600_NS6detail15normal_iteratorINS9_10device_ptrIyEEEENS9_16discard_iteratorINS9_11use_defaultEEEyNS9_4plusIvEEyEEDaPvRmT3_T4_T5_mT6_P12ihipStream_tbENKUlT_T0_E_clISt17integral_constantIbLb1EESX_EEDaSS_ST_EUlSS_E0_NS1_11comp_targetILNS1_3genE0ELNS1_11target_archE4294967295ELNS1_3gpuE0ELNS1_3repE0EEENS1_30default_config_static_selectorELNS0_4arch9wavefront6targetE1EEEvT1_, .Lfunc_end5177-_ZN7rocprim17ROCPRIM_400000_NS6detail17trampoline_kernelINS0_14default_configENS1_20scan_config_selectorIyEEZZNS1_9scan_implILNS1_25lookback_scan_determinismE0ELb0ELb0ES3_N6thrust23THRUST_200600_302600_NS6detail15normal_iteratorINS9_10device_ptrIyEEEENS9_16discard_iteratorINS9_11use_defaultEEEyNS9_4plusIvEEyEEDaPvRmT3_T4_T5_mT6_P12ihipStream_tbENKUlT_T0_E_clISt17integral_constantIbLb1EESX_EEDaSS_ST_EUlSS_E0_NS1_11comp_targetILNS1_3genE0ELNS1_11target_archE4294967295ELNS1_3gpuE0ELNS1_3repE0EEENS1_30default_config_static_selectorELNS0_4arch9wavefront6targetE1EEEvT1_
                                        ; -- End function
	.section	.AMDGPU.csdata,"",@progbits
; Kernel info:
; codeLenInByte = 0
; NumSgprs: 4
; NumVgprs: 0
; NumAgprs: 0
; TotalNumVgprs: 0
; ScratchSize: 0
; MemoryBound: 0
; FloatMode: 240
; IeeeMode: 1
; LDSByteSize: 0 bytes/workgroup (compile time only)
; SGPRBlocks: 0
; VGPRBlocks: 0
; NumSGPRsForWavesPerEU: 4
; NumVGPRsForWavesPerEU: 1
; AccumOffset: 4
; Occupancy: 8
; WaveLimiterHint : 0
; COMPUTE_PGM_RSRC2:SCRATCH_EN: 0
; COMPUTE_PGM_RSRC2:USER_SGPR: 6
; COMPUTE_PGM_RSRC2:TRAP_HANDLER: 0
; COMPUTE_PGM_RSRC2:TGID_X_EN: 1
; COMPUTE_PGM_RSRC2:TGID_Y_EN: 0
; COMPUTE_PGM_RSRC2:TGID_Z_EN: 0
; COMPUTE_PGM_RSRC2:TIDIG_COMP_CNT: 0
; COMPUTE_PGM_RSRC3_GFX90A:ACCUM_OFFSET: 0
; COMPUTE_PGM_RSRC3_GFX90A:TG_SPLIT: 0
	.section	.text._ZN7rocprim17ROCPRIM_400000_NS6detail17trampoline_kernelINS0_14default_configENS1_20scan_config_selectorIyEEZZNS1_9scan_implILNS1_25lookback_scan_determinismE0ELb0ELb0ES3_N6thrust23THRUST_200600_302600_NS6detail15normal_iteratorINS9_10device_ptrIyEEEENS9_16discard_iteratorINS9_11use_defaultEEEyNS9_4plusIvEEyEEDaPvRmT3_T4_T5_mT6_P12ihipStream_tbENKUlT_T0_E_clISt17integral_constantIbLb1EESX_EEDaSS_ST_EUlSS_E0_NS1_11comp_targetILNS1_3genE5ELNS1_11target_archE942ELNS1_3gpuE9ELNS1_3repE0EEENS1_30default_config_static_selectorELNS0_4arch9wavefront6targetE1EEEvT1_,"axG",@progbits,_ZN7rocprim17ROCPRIM_400000_NS6detail17trampoline_kernelINS0_14default_configENS1_20scan_config_selectorIyEEZZNS1_9scan_implILNS1_25lookback_scan_determinismE0ELb0ELb0ES3_N6thrust23THRUST_200600_302600_NS6detail15normal_iteratorINS9_10device_ptrIyEEEENS9_16discard_iteratorINS9_11use_defaultEEEyNS9_4plusIvEEyEEDaPvRmT3_T4_T5_mT6_P12ihipStream_tbENKUlT_T0_E_clISt17integral_constantIbLb1EESX_EEDaSS_ST_EUlSS_E0_NS1_11comp_targetILNS1_3genE5ELNS1_11target_archE942ELNS1_3gpuE9ELNS1_3repE0EEENS1_30default_config_static_selectorELNS0_4arch9wavefront6targetE1EEEvT1_,comdat
	.protected	_ZN7rocprim17ROCPRIM_400000_NS6detail17trampoline_kernelINS0_14default_configENS1_20scan_config_selectorIyEEZZNS1_9scan_implILNS1_25lookback_scan_determinismE0ELb0ELb0ES3_N6thrust23THRUST_200600_302600_NS6detail15normal_iteratorINS9_10device_ptrIyEEEENS9_16discard_iteratorINS9_11use_defaultEEEyNS9_4plusIvEEyEEDaPvRmT3_T4_T5_mT6_P12ihipStream_tbENKUlT_T0_E_clISt17integral_constantIbLb1EESX_EEDaSS_ST_EUlSS_E0_NS1_11comp_targetILNS1_3genE5ELNS1_11target_archE942ELNS1_3gpuE9ELNS1_3repE0EEENS1_30default_config_static_selectorELNS0_4arch9wavefront6targetE1EEEvT1_ ; -- Begin function _ZN7rocprim17ROCPRIM_400000_NS6detail17trampoline_kernelINS0_14default_configENS1_20scan_config_selectorIyEEZZNS1_9scan_implILNS1_25lookback_scan_determinismE0ELb0ELb0ES3_N6thrust23THRUST_200600_302600_NS6detail15normal_iteratorINS9_10device_ptrIyEEEENS9_16discard_iteratorINS9_11use_defaultEEEyNS9_4plusIvEEyEEDaPvRmT3_T4_T5_mT6_P12ihipStream_tbENKUlT_T0_E_clISt17integral_constantIbLb1EESX_EEDaSS_ST_EUlSS_E0_NS1_11comp_targetILNS1_3genE5ELNS1_11target_archE942ELNS1_3gpuE9ELNS1_3repE0EEENS1_30default_config_static_selectorELNS0_4arch9wavefront6targetE1EEEvT1_
	.globl	_ZN7rocprim17ROCPRIM_400000_NS6detail17trampoline_kernelINS0_14default_configENS1_20scan_config_selectorIyEEZZNS1_9scan_implILNS1_25lookback_scan_determinismE0ELb0ELb0ES3_N6thrust23THRUST_200600_302600_NS6detail15normal_iteratorINS9_10device_ptrIyEEEENS9_16discard_iteratorINS9_11use_defaultEEEyNS9_4plusIvEEyEEDaPvRmT3_T4_T5_mT6_P12ihipStream_tbENKUlT_T0_E_clISt17integral_constantIbLb1EESX_EEDaSS_ST_EUlSS_E0_NS1_11comp_targetILNS1_3genE5ELNS1_11target_archE942ELNS1_3gpuE9ELNS1_3repE0EEENS1_30default_config_static_selectorELNS0_4arch9wavefront6targetE1EEEvT1_
	.p2align	8
	.type	_ZN7rocprim17ROCPRIM_400000_NS6detail17trampoline_kernelINS0_14default_configENS1_20scan_config_selectorIyEEZZNS1_9scan_implILNS1_25lookback_scan_determinismE0ELb0ELb0ES3_N6thrust23THRUST_200600_302600_NS6detail15normal_iteratorINS9_10device_ptrIyEEEENS9_16discard_iteratorINS9_11use_defaultEEEyNS9_4plusIvEEyEEDaPvRmT3_T4_T5_mT6_P12ihipStream_tbENKUlT_T0_E_clISt17integral_constantIbLb1EESX_EEDaSS_ST_EUlSS_E0_NS1_11comp_targetILNS1_3genE5ELNS1_11target_archE942ELNS1_3gpuE9ELNS1_3repE0EEENS1_30default_config_static_selectorELNS0_4arch9wavefront6targetE1EEEvT1_,@function
_ZN7rocprim17ROCPRIM_400000_NS6detail17trampoline_kernelINS0_14default_configENS1_20scan_config_selectorIyEEZZNS1_9scan_implILNS1_25lookback_scan_determinismE0ELb0ELb0ES3_N6thrust23THRUST_200600_302600_NS6detail15normal_iteratorINS9_10device_ptrIyEEEENS9_16discard_iteratorINS9_11use_defaultEEEyNS9_4plusIvEEyEEDaPvRmT3_T4_T5_mT6_P12ihipStream_tbENKUlT_T0_E_clISt17integral_constantIbLb1EESX_EEDaSS_ST_EUlSS_E0_NS1_11comp_targetILNS1_3genE5ELNS1_11target_archE942ELNS1_3gpuE9ELNS1_3repE0EEENS1_30default_config_static_selectorELNS0_4arch9wavefront6targetE1EEEvT1_: ; @_ZN7rocprim17ROCPRIM_400000_NS6detail17trampoline_kernelINS0_14default_configENS1_20scan_config_selectorIyEEZZNS1_9scan_implILNS1_25lookback_scan_determinismE0ELb0ELb0ES3_N6thrust23THRUST_200600_302600_NS6detail15normal_iteratorINS9_10device_ptrIyEEEENS9_16discard_iteratorINS9_11use_defaultEEEyNS9_4plusIvEEyEEDaPvRmT3_T4_T5_mT6_P12ihipStream_tbENKUlT_T0_E_clISt17integral_constantIbLb1EESX_EEDaSS_ST_EUlSS_E0_NS1_11comp_targetILNS1_3genE5ELNS1_11target_archE942ELNS1_3gpuE9ELNS1_3repE0EEENS1_30default_config_static_selectorELNS0_4arch9wavefront6targetE1EEEvT1_
; %bb.0:
	.section	.rodata,"a",@progbits
	.p2align	6, 0x0
	.amdhsa_kernel _ZN7rocprim17ROCPRIM_400000_NS6detail17trampoline_kernelINS0_14default_configENS1_20scan_config_selectorIyEEZZNS1_9scan_implILNS1_25lookback_scan_determinismE0ELb0ELb0ES3_N6thrust23THRUST_200600_302600_NS6detail15normal_iteratorINS9_10device_ptrIyEEEENS9_16discard_iteratorINS9_11use_defaultEEEyNS9_4plusIvEEyEEDaPvRmT3_T4_T5_mT6_P12ihipStream_tbENKUlT_T0_E_clISt17integral_constantIbLb1EESX_EEDaSS_ST_EUlSS_E0_NS1_11comp_targetILNS1_3genE5ELNS1_11target_archE942ELNS1_3gpuE9ELNS1_3repE0EEENS1_30default_config_static_selectorELNS0_4arch9wavefront6targetE1EEEvT1_
		.amdhsa_group_segment_fixed_size 0
		.amdhsa_private_segment_fixed_size 0
		.amdhsa_kernarg_size 48
		.amdhsa_user_sgpr_count 6
		.amdhsa_user_sgpr_private_segment_buffer 1
		.amdhsa_user_sgpr_dispatch_ptr 0
		.amdhsa_user_sgpr_queue_ptr 0
		.amdhsa_user_sgpr_kernarg_segment_ptr 1
		.amdhsa_user_sgpr_dispatch_id 0
		.amdhsa_user_sgpr_flat_scratch_init 0
		.amdhsa_user_sgpr_kernarg_preload_length 0
		.amdhsa_user_sgpr_kernarg_preload_offset 0
		.amdhsa_user_sgpr_private_segment_size 0
		.amdhsa_uses_dynamic_stack 0
		.amdhsa_system_sgpr_private_segment_wavefront_offset 0
		.amdhsa_system_sgpr_workgroup_id_x 1
		.amdhsa_system_sgpr_workgroup_id_y 0
		.amdhsa_system_sgpr_workgroup_id_z 0
		.amdhsa_system_sgpr_workgroup_info 0
		.amdhsa_system_vgpr_workitem_id 0
		.amdhsa_next_free_vgpr 1
		.amdhsa_next_free_sgpr 0
		.amdhsa_accum_offset 4
		.amdhsa_reserve_vcc 0
		.amdhsa_reserve_flat_scratch 0
		.amdhsa_float_round_mode_32 0
		.amdhsa_float_round_mode_16_64 0
		.amdhsa_float_denorm_mode_32 3
		.amdhsa_float_denorm_mode_16_64 3
		.amdhsa_dx10_clamp 1
		.amdhsa_ieee_mode 1
		.amdhsa_fp16_overflow 0
		.amdhsa_tg_split 0
		.amdhsa_exception_fp_ieee_invalid_op 0
		.amdhsa_exception_fp_denorm_src 0
		.amdhsa_exception_fp_ieee_div_zero 0
		.amdhsa_exception_fp_ieee_overflow 0
		.amdhsa_exception_fp_ieee_underflow 0
		.amdhsa_exception_fp_ieee_inexact 0
		.amdhsa_exception_int_div_zero 0
	.end_amdhsa_kernel
	.section	.text._ZN7rocprim17ROCPRIM_400000_NS6detail17trampoline_kernelINS0_14default_configENS1_20scan_config_selectorIyEEZZNS1_9scan_implILNS1_25lookback_scan_determinismE0ELb0ELb0ES3_N6thrust23THRUST_200600_302600_NS6detail15normal_iteratorINS9_10device_ptrIyEEEENS9_16discard_iteratorINS9_11use_defaultEEEyNS9_4plusIvEEyEEDaPvRmT3_T4_T5_mT6_P12ihipStream_tbENKUlT_T0_E_clISt17integral_constantIbLb1EESX_EEDaSS_ST_EUlSS_E0_NS1_11comp_targetILNS1_3genE5ELNS1_11target_archE942ELNS1_3gpuE9ELNS1_3repE0EEENS1_30default_config_static_selectorELNS0_4arch9wavefront6targetE1EEEvT1_,"axG",@progbits,_ZN7rocprim17ROCPRIM_400000_NS6detail17trampoline_kernelINS0_14default_configENS1_20scan_config_selectorIyEEZZNS1_9scan_implILNS1_25lookback_scan_determinismE0ELb0ELb0ES3_N6thrust23THRUST_200600_302600_NS6detail15normal_iteratorINS9_10device_ptrIyEEEENS9_16discard_iteratorINS9_11use_defaultEEEyNS9_4plusIvEEyEEDaPvRmT3_T4_T5_mT6_P12ihipStream_tbENKUlT_T0_E_clISt17integral_constantIbLb1EESX_EEDaSS_ST_EUlSS_E0_NS1_11comp_targetILNS1_3genE5ELNS1_11target_archE942ELNS1_3gpuE9ELNS1_3repE0EEENS1_30default_config_static_selectorELNS0_4arch9wavefront6targetE1EEEvT1_,comdat
.Lfunc_end5178:
	.size	_ZN7rocprim17ROCPRIM_400000_NS6detail17trampoline_kernelINS0_14default_configENS1_20scan_config_selectorIyEEZZNS1_9scan_implILNS1_25lookback_scan_determinismE0ELb0ELb0ES3_N6thrust23THRUST_200600_302600_NS6detail15normal_iteratorINS9_10device_ptrIyEEEENS9_16discard_iteratorINS9_11use_defaultEEEyNS9_4plusIvEEyEEDaPvRmT3_T4_T5_mT6_P12ihipStream_tbENKUlT_T0_E_clISt17integral_constantIbLb1EESX_EEDaSS_ST_EUlSS_E0_NS1_11comp_targetILNS1_3genE5ELNS1_11target_archE942ELNS1_3gpuE9ELNS1_3repE0EEENS1_30default_config_static_selectorELNS0_4arch9wavefront6targetE1EEEvT1_, .Lfunc_end5178-_ZN7rocprim17ROCPRIM_400000_NS6detail17trampoline_kernelINS0_14default_configENS1_20scan_config_selectorIyEEZZNS1_9scan_implILNS1_25lookback_scan_determinismE0ELb0ELb0ES3_N6thrust23THRUST_200600_302600_NS6detail15normal_iteratorINS9_10device_ptrIyEEEENS9_16discard_iteratorINS9_11use_defaultEEEyNS9_4plusIvEEyEEDaPvRmT3_T4_T5_mT6_P12ihipStream_tbENKUlT_T0_E_clISt17integral_constantIbLb1EESX_EEDaSS_ST_EUlSS_E0_NS1_11comp_targetILNS1_3genE5ELNS1_11target_archE942ELNS1_3gpuE9ELNS1_3repE0EEENS1_30default_config_static_selectorELNS0_4arch9wavefront6targetE1EEEvT1_
                                        ; -- End function
	.section	.AMDGPU.csdata,"",@progbits
; Kernel info:
; codeLenInByte = 0
; NumSgprs: 4
; NumVgprs: 0
; NumAgprs: 0
; TotalNumVgprs: 0
; ScratchSize: 0
; MemoryBound: 0
; FloatMode: 240
; IeeeMode: 1
; LDSByteSize: 0 bytes/workgroup (compile time only)
; SGPRBlocks: 0
; VGPRBlocks: 0
; NumSGPRsForWavesPerEU: 4
; NumVGPRsForWavesPerEU: 1
; AccumOffset: 4
; Occupancy: 8
; WaveLimiterHint : 0
; COMPUTE_PGM_RSRC2:SCRATCH_EN: 0
; COMPUTE_PGM_RSRC2:USER_SGPR: 6
; COMPUTE_PGM_RSRC2:TRAP_HANDLER: 0
; COMPUTE_PGM_RSRC2:TGID_X_EN: 1
; COMPUTE_PGM_RSRC2:TGID_Y_EN: 0
; COMPUTE_PGM_RSRC2:TGID_Z_EN: 0
; COMPUTE_PGM_RSRC2:TIDIG_COMP_CNT: 0
; COMPUTE_PGM_RSRC3_GFX90A:ACCUM_OFFSET: 0
; COMPUTE_PGM_RSRC3_GFX90A:TG_SPLIT: 0
	.section	.text._ZN7rocprim17ROCPRIM_400000_NS6detail17trampoline_kernelINS0_14default_configENS1_20scan_config_selectorIyEEZZNS1_9scan_implILNS1_25lookback_scan_determinismE0ELb0ELb0ES3_N6thrust23THRUST_200600_302600_NS6detail15normal_iteratorINS9_10device_ptrIyEEEENS9_16discard_iteratorINS9_11use_defaultEEEyNS9_4plusIvEEyEEDaPvRmT3_T4_T5_mT6_P12ihipStream_tbENKUlT_T0_E_clISt17integral_constantIbLb1EESX_EEDaSS_ST_EUlSS_E0_NS1_11comp_targetILNS1_3genE4ELNS1_11target_archE910ELNS1_3gpuE8ELNS1_3repE0EEENS1_30default_config_static_selectorELNS0_4arch9wavefront6targetE1EEEvT1_,"axG",@progbits,_ZN7rocprim17ROCPRIM_400000_NS6detail17trampoline_kernelINS0_14default_configENS1_20scan_config_selectorIyEEZZNS1_9scan_implILNS1_25lookback_scan_determinismE0ELb0ELb0ES3_N6thrust23THRUST_200600_302600_NS6detail15normal_iteratorINS9_10device_ptrIyEEEENS9_16discard_iteratorINS9_11use_defaultEEEyNS9_4plusIvEEyEEDaPvRmT3_T4_T5_mT6_P12ihipStream_tbENKUlT_T0_E_clISt17integral_constantIbLb1EESX_EEDaSS_ST_EUlSS_E0_NS1_11comp_targetILNS1_3genE4ELNS1_11target_archE910ELNS1_3gpuE8ELNS1_3repE0EEENS1_30default_config_static_selectorELNS0_4arch9wavefront6targetE1EEEvT1_,comdat
	.protected	_ZN7rocprim17ROCPRIM_400000_NS6detail17trampoline_kernelINS0_14default_configENS1_20scan_config_selectorIyEEZZNS1_9scan_implILNS1_25lookback_scan_determinismE0ELb0ELb0ES3_N6thrust23THRUST_200600_302600_NS6detail15normal_iteratorINS9_10device_ptrIyEEEENS9_16discard_iteratorINS9_11use_defaultEEEyNS9_4plusIvEEyEEDaPvRmT3_T4_T5_mT6_P12ihipStream_tbENKUlT_T0_E_clISt17integral_constantIbLb1EESX_EEDaSS_ST_EUlSS_E0_NS1_11comp_targetILNS1_3genE4ELNS1_11target_archE910ELNS1_3gpuE8ELNS1_3repE0EEENS1_30default_config_static_selectorELNS0_4arch9wavefront6targetE1EEEvT1_ ; -- Begin function _ZN7rocprim17ROCPRIM_400000_NS6detail17trampoline_kernelINS0_14default_configENS1_20scan_config_selectorIyEEZZNS1_9scan_implILNS1_25lookback_scan_determinismE0ELb0ELb0ES3_N6thrust23THRUST_200600_302600_NS6detail15normal_iteratorINS9_10device_ptrIyEEEENS9_16discard_iteratorINS9_11use_defaultEEEyNS9_4plusIvEEyEEDaPvRmT3_T4_T5_mT6_P12ihipStream_tbENKUlT_T0_E_clISt17integral_constantIbLb1EESX_EEDaSS_ST_EUlSS_E0_NS1_11comp_targetILNS1_3genE4ELNS1_11target_archE910ELNS1_3gpuE8ELNS1_3repE0EEENS1_30default_config_static_selectorELNS0_4arch9wavefront6targetE1EEEvT1_
	.globl	_ZN7rocprim17ROCPRIM_400000_NS6detail17trampoline_kernelINS0_14default_configENS1_20scan_config_selectorIyEEZZNS1_9scan_implILNS1_25lookback_scan_determinismE0ELb0ELb0ES3_N6thrust23THRUST_200600_302600_NS6detail15normal_iteratorINS9_10device_ptrIyEEEENS9_16discard_iteratorINS9_11use_defaultEEEyNS9_4plusIvEEyEEDaPvRmT3_T4_T5_mT6_P12ihipStream_tbENKUlT_T0_E_clISt17integral_constantIbLb1EESX_EEDaSS_ST_EUlSS_E0_NS1_11comp_targetILNS1_3genE4ELNS1_11target_archE910ELNS1_3gpuE8ELNS1_3repE0EEENS1_30default_config_static_selectorELNS0_4arch9wavefront6targetE1EEEvT1_
	.p2align	8
	.type	_ZN7rocprim17ROCPRIM_400000_NS6detail17trampoline_kernelINS0_14default_configENS1_20scan_config_selectorIyEEZZNS1_9scan_implILNS1_25lookback_scan_determinismE0ELb0ELb0ES3_N6thrust23THRUST_200600_302600_NS6detail15normal_iteratorINS9_10device_ptrIyEEEENS9_16discard_iteratorINS9_11use_defaultEEEyNS9_4plusIvEEyEEDaPvRmT3_T4_T5_mT6_P12ihipStream_tbENKUlT_T0_E_clISt17integral_constantIbLb1EESX_EEDaSS_ST_EUlSS_E0_NS1_11comp_targetILNS1_3genE4ELNS1_11target_archE910ELNS1_3gpuE8ELNS1_3repE0EEENS1_30default_config_static_selectorELNS0_4arch9wavefront6targetE1EEEvT1_,@function
_ZN7rocprim17ROCPRIM_400000_NS6detail17trampoline_kernelINS0_14default_configENS1_20scan_config_selectorIyEEZZNS1_9scan_implILNS1_25lookback_scan_determinismE0ELb0ELb0ES3_N6thrust23THRUST_200600_302600_NS6detail15normal_iteratorINS9_10device_ptrIyEEEENS9_16discard_iteratorINS9_11use_defaultEEEyNS9_4plusIvEEyEEDaPvRmT3_T4_T5_mT6_P12ihipStream_tbENKUlT_T0_E_clISt17integral_constantIbLb1EESX_EEDaSS_ST_EUlSS_E0_NS1_11comp_targetILNS1_3genE4ELNS1_11target_archE910ELNS1_3gpuE8ELNS1_3repE0EEENS1_30default_config_static_selectorELNS0_4arch9wavefront6targetE1EEEvT1_: ; @_ZN7rocprim17ROCPRIM_400000_NS6detail17trampoline_kernelINS0_14default_configENS1_20scan_config_selectorIyEEZZNS1_9scan_implILNS1_25lookback_scan_determinismE0ELb0ELb0ES3_N6thrust23THRUST_200600_302600_NS6detail15normal_iteratorINS9_10device_ptrIyEEEENS9_16discard_iteratorINS9_11use_defaultEEEyNS9_4plusIvEEyEEDaPvRmT3_T4_T5_mT6_P12ihipStream_tbENKUlT_T0_E_clISt17integral_constantIbLb1EESX_EEDaSS_ST_EUlSS_E0_NS1_11comp_targetILNS1_3genE4ELNS1_11target_archE910ELNS1_3gpuE8ELNS1_3repE0EEENS1_30default_config_static_selectorELNS0_4arch9wavefront6targetE1EEEvT1_
; %bb.0:
	s_load_dwordx4 s[0:3], s[4:5], 0x0
	v_lshlrev_b32_e32 v21, 3, v0
	s_waitcnt lgkmcnt(0)
	s_load_dwordx2 s[4:5], s[0:1], 0x0
	v_cmp_gt_u32_e32 vcc, s2, v0
	s_waitcnt lgkmcnt(0)
	v_pk_mov_b32 v[2:3], s[4:5], s[4:5] op_sel:[0,1]
	s_and_saveexec_b64 s[6:7], vcc
	s_cbranch_execz .LBB5179_2
; %bb.1:
	global_load_dwordx2 v[2:3], v21, s[0:1]
.LBB5179_2:
	s_or_b64 exec, exec, s[6:7]
	v_or_b32_e32 v1, 0x80, v0
	v_cmp_gt_u32_e32 vcc, s2, v1
	v_pk_mov_b32 v[4:5], s[4:5], s[4:5] op_sel:[0,1]
	s_and_saveexec_b64 s[6:7], vcc
	s_cbranch_execz .LBB5179_4
; %bb.3:
	global_load_dwordx2 v[4:5], v21, s[0:1] offset:1024
.LBB5179_4:
	s_or_b64 exec, exec, s[6:7]
	v_or_b32_e32 v1, 0x100, v0
	v_cmp_gt_u32_e32 vcc, s2, v1
	v_pk_mov_b32 v[6:7], s[4:5], s[4:5] op_sel:[0,1]
	s_and_saveexec_b64 s[6:7], vcc
	s_cbranch_execz .LBB5179_6
; %bb.5:
	global_load_dwordx2 v[6:7], v21, s[0:1] offset:2048
.LBB5179_6:
	;; [unrolled: 9-line block ×3, first 2 shown]
	s_or_b64 exec, exec, s[6:7]
	v_or_b32_e32 v1, 0x200, v0
	v_cmp_gt_u32_e32 vcc, s2, v1
	v_pk_mov_b32 v[10:11], s[4:5], s[4:5] op_sel:[0,1]
	s_and_saveexec_b64 s[6:7], vcc
	s_cbranch_execz .LBB5179_10
; %bb.9:
	v_lshlrev_b32_e32 v1, 3, v1
	global_load_dwordx2 v[10:11], v1, s[0:1]
.LBB5179_10:
	s_or_b64 exec, exec, s[6:7]
	v_or_b32_e32 v1, 0x280, v0
	v_cmp_gt_u32_e32 vcc, s2, v1
	v_pk_mov_b32 v[12:13], s[4:5], s[4:5] op_sel:[0,1]
	s_and_saveexec_b64 s[6:7], vcc
	s_cbranch_execz .LBB5179_12
; %bb.11:
	v_lshlrev_b32_e32 v1, 3, v1
	global_load_dwordx2 v[12:13], v1, s[0:1]
.LBB5179_12:
	;; [unrolled: 10-line block ×3, first 2 shown]
	s_or_b64 exec, exec, s[2:3]
	v_mad_u32_u24 v1, v0, 48, v21
	s_waitcnt vmcnt(0)
	ds_write2st64_b64 v21, v[2:3], v[4:5] offset1:2
	ds_write2st64_b64 v21, v[6:7], v[8:9] offset0:4 offset1:6
	ds_write2st64_b64 v21, v[10:11], v[12:13] offset0:8 offset1:10
	ds_write_b64 v21, v[14:15] offset:6144
	s_waitcnt lgkmcnt(0)
	s_barrier
	ds_read2_b64 v[2:5], v1 offset1:1
	ds_read2_b64 v[6:9], v1 offset0:2 offset1:3
	ds_read2_b64 v[10:13], v1 offset0:4 offset1:5
	ds_read_b64 v[28:29], v1 offset:48
	v_lshrrev_b32_e32 v14, 2, v0
	s_waitcnt lgkmcnt(3)
	v_add_co_u32_e32 v20, vcc, v4, v2
	v_addc_co_u32_e32 v1, vcc, v5, v3, vcc
	s_waitcnt lgkmcnt(2)
	v_add_co_u32_e32 v18, vcc, v20, v6
	v_addc_co_u32_e32 v19, vcc, v1, v7, vcc
	v_add_co_u32_e32 v24, vcc, v18, v8
	v_addc_co_u32_e32 v25, vcc, v19, v9, vcc
	s_waitcnt lgkmcnt(1)
	v_add_co_u32_e32 v22, vcc, v24, v10
	v_addc_co_u32_e32 v23, vcc, v25, v11, vcc
	;; [unrolled: 5-line block ×3, first 2 shown]
	v_and_b32_e32 v14, 24, v14
	v_add_u32_e32 v14, v21, v14
	v_cmp_gt_u32_e32 vcc, 64, v0
	s_barrier
	ds_write_b64 v14, v[30:31]
	s_waitcnt lgkmcnt(0)
	s_barrier
	s_and_saveexec_b64 s[2:3], vcc
	s_cbranch_execz .LBB5179_18
; %bb.15:
	v_lshlrev_b32_e32 v14, 1, v0
	v_lshrrev_b32_e32 v15, 4, v0
	v_add_lshl_u32 v32, v15, v14, 3
	ds_read2_b64 v[14:17], v32 offset1:1
	s_waitcnt lgkmcnt(0)
	v_add_co_u32_e32 v34, vcc, v16, v14
	v_addc_co_u32_e32 v35, vcc, v17, v15, vcc
	s_nop 0
	v_mov_b32_dpp v17, v34 row_shr:1 row_mask:0xf bank_mask:0xf
	v_add_co_u32_e32 v17, vcc, v34, v17
	v_mbcnt_lo_u32_b32 v16, -1, 0
	v_addc_co_u32_e32 v37, vcc, 0, v35, vcc
	v_mbcnt_hi_u32_b32 v33, -1, v16
	v_mov_b32_dpp v36, v35 row_shr:1 row_mask:0xf bank_mask:0xf
	v_add_co_u32_e32 v38, vcc, 0, v17
	v_and_b32_e32 v16, 15, v33
	v_addc_co_u32_e32 v36, vcc, v36, v37, vcc
	v_cmp_eq_u32_e32 vcc, 0, v16
	v_cndmask_b32_e32 v17, v17, v34, vcc
	v_cndmask_b32_e32 v36, v36, v35, vcc
	v_cndmask_b32_e32 v37, v38, v34, vcc
	v_mov_b32_dpp v38, v17 row_shr:2 row_mask:0xf bank_mask:0xf
	v_mov_b32_dpp v39, v36 row_shr:2 row_mask:0xf bank_mask:0xf
	v_add_co_u32_e32 v38, vcc, v38, v37
	v_addc_co_u32_e32 v39, vcc, v39, v36, vcc
	v_cmp_lt_u32_e32 vcc, 1, v16
	v_cndmask_b32_e32 v17, v17, v38, vcc
	v_cndmask_b32_e32 v36, v36, v39, vcc
	v_cndmask_b32_e32 v37, v37, v38, vcc
	v_mov_b32_dpp v38, v17 row_shr:4 row_mask:0xf bank_mask:0xf
	v_mov_b32_dpp v39, v36 row_shr:4 row_mask:0xf bank_mask:0xf
	v_add_co_u32_e32 v38, vcc, v38, v37
	v_addc_co_u32_e32 v39, vcc, v39, v36, vcc
	v_cmp_lt_u32_e32 vcc, 3, v16
	;; [unrolled: 8-line block ×3, first 2 shown]
	v_cndmask_b32_e32 v40, v17, v38, vcc
	v_cndmask_b32_e32 v17, v36, v39, vcc
	;; [unrolled: 1-line block ×3, first 2 shown]
	v_mov_b32_dpp v36, v40 row_bcast:15 row_mask:0xf bank_mask:0xf
	v_mov_b32_dpp v37, v17 row_bcast:15 row_mask:0xf bank_mask:0xf
	v_add_co_u32_e32 v36, vcc, v36, v16
	v_and_b32_e32 v39, 16, v33
	v_addc_co_u32_e32 v38, vcc, v37, v17, vcc
	v_cmp_eq_u32_e32 vcc, 0, v39
	v_cndmask_b32_e32 v39, v38, v17, vcc
	v_cndmask_b32_e32 v37, v36, v40, vcc
	v_cmp_ne_u32_e64 s[0:1], 0, v33
	v_mov_b32_dpp v39, v39 row_bcast:31 row_mask:0xf bank_mask:0xf
	v_mov_b32_dpp v37, v37 row_bcast:31 row_mask:0xf bank_mask:0xf
	s_and_saveexec_b64 s[4:5], s[0:1]
; %bb.16:
	v_cndmask_b32_e32 v17, v38, v17, vcc
	v_cndmask_b32_e32 v16, v36, v16, vcc
	v_cmp_lt_u32_e32 vcc, 31, v33
	v_cndmask_b32_e32 v34, 0, v37, vcc
	v_cndmask_b32_e32 v35, 0, v39, vcc
	v_add_co_u32_e32 v34, vcc, v34, v16
	v_addc_co_u32_e32 v35, vcc, v35, v17, vcc
; %bb.17:
	s_or_b64 exec, exec, s[4:5]
	v_add_u32_e32 v16, -1, v33
	v_and_b32_e32 v17, 64, v33
	v_cmp_lt_i32_e32 vcc, v16, v17
	v_cndmask_b32_e32 v16, v16, v33, vcc
	v_lshlrev_b32_e32 v16, 2, v16
	ds_bpermute_b32 v17, v16, v34
	ds_bpermute_b32 v16, v16, v35
	; wave barrier
	s_waitcnt lgkmcnt(1)
	v_add_co_u32_e32 v14, vcc, v14, v17
	v_addc_co_u32_e32 v15, vcc, 0, v15, vcc
	v_add_co_u32_e32 v14, vcc, 0, v14
	s_waitcnt lgkmcnt(0)
	v_addc_co_u32_e32 v15, vcc, v15, v16, vcc
	v_cmp_eq_u32_e32 vcc, 0, v0
	v_cndmask_b32_e32 v15, v15, v31, vcc
	v_cndmask_b32_e32 v14, v14, v30, vcc
	ds_write_b64 v32, v[14:15]
	; wave barrier
	ds_read_b64 v[16:17], v32 offset:8
	s_waitcnt lgkmcnt(0)
	v_add_co_u32_e32 v14, vcc, v16, v14
	v_addc_co_u32_e32 v15, vcc, v17, v15, vcc
	ds_write_b64 v32, v[14:15] offset:8
.LBB5179_18:
	s_or_b64 exec, exec, s[2:3]
	v_mul_u32_u24_e32 v16, 48, v0
	v_cmp_ne_u32_e32 vcc, 0, v0
	v_pk_mov_b32 v[14:15], v[30:31], v[30:31] op_sel:[0,1]
	s_waitcnt lgkmcnt(0)
	s_barrier
	s_and_saveexec_b64 s[0:1], vcc
	s_cbranch_execz .LBB5179_20
; %bb.19:
	v_add_u32_e32 v0, -1, v0
	v_lshrrev_b32_e32 v14, 5, v0
	v_add_lshl_u32 v0, v14, v0, 3
	ds_read_b64 v[14:15], v0
.LBB5179_20:
	s_or_b64 exec, exec, s[0:1]
	s_and_saveexec_b64 s[0:1], vcc
	s_cbranch_execz .LBB5179_22
; %bb.21:
	s_waitcnt lgkmcnt(0)
	v_add_co_u32_e32 v2, vcc, v14, v2
	v_addc_co_u32_e32 v3, vcc, v15, v3, vcc
	v_add_co_u32_e32 v20, vcc, v2, v4
	v_addc_co_u32_e32 v1, vcc, v3, v5, vcc
	v_add_co_u32_e32 v18, vcc, v20, v6
	v_addc_co_u32_e32 v19, vcc, v1, v7, vcc
	v_add_co_u32_e32 v24, vcc, v18, v8
	v_addc_co_u32_e32 v25, vcc, v19, v9, vcc
	v_add_co_u32_e32 v22, vcc, v24, v10
	v_addc_co_u32_e32 v23, vcc, v25, v11, vcc
	v_add_co_u32_e32 v26, vcc, v22, v12
	v_addc_co_u32_e32 v27, vcc, v23, v13, vcc
	v_add_co_u32_e32 v30, vcc, v26, v28
	v_addc_co_u32_e32 v31, vcc, v27, v29, vcc
	;;#ASMSTART
	;;#ASMEND
.LBB5179_22:
	s_or_b64 exec, exec, s[0:1]
	v_add_u32_e32 v0, v21, v16
	v_mov_b32_e32 v21, v1
	s_waitcnt lgkmcnt(0)
	s_barrier
	ds_write2_b64 v0, v[2:3], v[20:21] offset1:1
	ds_write2_b64 v0, v[18:19], v[24:25] offset0:2 offset1:3
	ds_write2_b64 v0, v[22:23], v[26:27] offset0:4 offset1:5
	ds_write_b64 v0, v[30:31] offset:48
	s_waitcnt lgkmcnt(0)
	s_barrier
	s_endpgm
	.section	.rodata,"a",@progbits
	.p2align	6, 0x0
	.amdhsa_kernel _ZN7rocprim17ROCPRIM_400000_NS6detail17trampoline_kernelINS0_14default_configENS1_20scan_config_selectorIyEEZZNS1_9scan_implILNS1_25lookback_scan_determinismE0ELb0ELb0ES3_N6thrust23THRUST_200600_302600_NS6detail15normal_iteratorINS9_10device_ptrIyEEEENS9_16discard_iteratorINS9_11use_defaultEEEyNS9_4plusIvEEyEEDaPvRmT3_T4_T5_mT6_P12ihipStream_tbENKUlT_T0_E_clISt17integral_constantIbLb1EESX_EEDaSS_ST_EUlSS_E0_NS1_11comp_targetILNS1_3genE4ELNS1_11target_archE910ELNS1_3gpuE8ELNS1_3repE0EEENS1_30default_config_static_selectorELNS0_4arch9wavefront6targetE1EEEvT1_
		.amdhsa_group_segment_fixed_size 7168
		.amdhsa_private_segment_fixed_size 0
		.amdhsa_kernarg_size 48
		.amdhsa_user_sgpr_count 6
		.amdhsa_user_sgpr_private_segment_buffer 1
		.amdhsa_user_sgpr_dispatch_ptr 0
		.amdhsa_user_sgpr_queue_ptr 0
		.amdhsa_user_sgpr_kernarg_segment_ptr 1
		.amdhsa_user_sgpr_dispatch_id 0
		.amdhsa_user_sgpr_flat_scratch_init 0
		.amdhsa_user_sgpr_kernarg_preload_length 0
		.amdhsa_user_sgpr_kernarg_preload_offset 0
		.amdhsa_user_sgpr_private_segment_size 0
		.amdhsa_uses_dynamic_stack 0
		.amdhsa_system_sgpr_private_segment_wavefront_offset 0
		.amdhsa_system_sgpr_workgroup_id_x 1
		.amdhsa_system_sgpr_workgroup_id_y 0
		.amdhsa_system_sgpr_workgroup_id_z 0
		.amdhsa_system_sgpr_workgroup_info 0
		.amdhsa_system_vgpr_workitem_id 0
		.amdhsa_next_free_vgpr 41
		.amdhsa_next_free_sgpr 8
		.amdhsa_accum_offset 44
		.amdhsa_reserve_vcc 1
		.amdhsa_reserve_flat_scratch 0
		.amdhsa_float_round_mode_32 0
		.amdhsa_float_round_mode_16_64 0
		.amdhsa_float_denorm_mode_32 3
		.amdhsa_float_denorm_mode_16_64 3
		.amdhsa_dx10_clamp 1
		.amdhsa_ieee_mode 1
		.amdhsa_fp16_overflow 0
		.amdhsa_tg_split 0
		.amdhsa_exception_fp_ieee_invalid_op 0
		.amdhsa_exception_fp_denorm_src 0
		.amdhsa_exception_fp_ieee_div_zero 0
		.amdhsa_exception_fp_ieee_overflow 0
		.amdhsa_exception_fp_ieee_underflow 0
		.amdhsa_exception_fp_ieee_inexact 0
		.amdhsa_exception_int_div_zero 0
	.end_amdhsa_kernel
	.section	.text._ZN7rocprim17ROCPRIM_400000_NS6detail17trampoline_kernelINS0_14default_configENS1_20scan_config_selectorIyEEZZNS1_9scan_implILNS1_25lookback_scan_determinismE0ELb0ELb0ES3_N6thrust23THRUST_200600_302600_NS6detail15normal_iteratorINS9_10device_ptrIyEEEENS9_16discard_iteratorINS9_11use_defaultEEEyNS9_4plusIvEEyEEDaPvRmT3_T4_T5_mT6_P12ihipStream_tbENKUlT_T0_E_clISt17integral_constantIbLb1EESX_EEDaSS_ST_EUlSS_E0_NS1_11comp_targetILNS1_3genE4ELNS1_11target_archE910ELNS1_3gpuE8ELNS1_3repE0EEENS1_30default_config_static_selectorELNS0_4arch9wavefront6targetE1EEEvT1_,"axG",@progbits,_ZN7rocprim17ROCPRIM_400000_NS6detail17trampoline_kernelINS0_14default_configENS1_20scan_config_selectorIyEEZZNS1_9scan_implILNS1_25lookback_scan_determinismE0ELb0ELb0ES3_N6thrust23THRUST_200600_302600_NS6detail15normal_iteratorINS9_10device_ptrIyEEEENS9_16discard_iteratorINS9_11use_defaultEEEyNS9_4plusIvEEyEEDaPvRmT3_T4_T5_mT6_P12ihipStream_tbENKUlT_T0_E_clISt17integral_constantIbLb1EESX_EEDaSS_ST_EUlSS_E0_NS1_11comp_targetILNS1_3genE4ELNS1_11target_archE910ELNS1_3gpuE8ELNS1_3repE0EEENS1_30default_config_static_selectorELNS0_4arch9wavefront6targetE1EEEvT1_,comdat
.Lfunc_end5179:
	.size	_ZN7rocprim17ROCPRIM_400000_NS6detail17trampoline_kernelINS0_14default_configENS1_20scan_config_selectorIyEEZZNS1_9scan_implILNS1_25lookback_scan_determinismE0ELb0ELb0ES3_N6thrust23THRUST_200600_302600_NS6detail15normal_iteratorINS9_10device_ptrIyEEEENS9_16discard_iteratorINS9_11use_defaultEEEyNS9_4plusIvEEyEEDaPvRmT3_T4_T5_mT6_P12ihipStream_tbENKUlT_T0_E_clISt17integral_constantIbLb1EESX_EEDaSS_ST_EUlSS_E0_NS1_11comp_targetILNS1_3genE4ELNS1_11target_archE910ELNS1_3gpuE8ELNS1_3repE0EEENS1_30default_config_static_selectorELNS0_4arch9wavefront6targetE1EEEvT1_, .Lfunc_end5179-_ZN7rocprim17ROCPRIM_400000_NS6detail17trampoline_kernelINS0_14default_configENS1_20scan_config_selectorIyEEZZNS1_9scan_implILNS1_25lookback_scan_determinismE0ELb0ELb0ES3_N6thrust23THRUST_200600_302600_NS6detail15normal_iteratorINS9_10device_ptrIyEEEENS9_16discard_iteratorINS9_11use_defaultEEEyNS9_4plusIvEEyEEDaPvRmT3_T4_T5_mT6_P12ihipStream_tbENKUlT_T0_E_clISt17integral_constantIbLb1EESX_EEDaSS_ST_EUlSS_E0_NS1_11comp_targetILNS1_3genE4ELNS1_11target_archE910ELNS1_3gpuE8ELNS1_3repE0EEENS1_30default_config_static_selectorELNS0_4arch9wavefront6targetE1EEEvT1_
                                        ; -- End function
	.section	.AMDGPU.csdata,"",@progbits
; Kernel info:
; codeLenInByte = 1136
; NumSgprs: 12
; NumVgprs: 41
; NumAgprs: 0
; TotalNumVgprs: 41
; ScratchSize: 0
; MemoryBound: 0
; FloatMode: 240
; IeeeMode: 1
; LDSByteSize: 7168 bytes/workgroup (compile time only)
; SGPRBlocks: 1
; VGPRBlocks: 5
; NumSGPRsForWavesPerEU: 12
; NumVGPRsForWavesPerEU: 41
; AccumOffset: 44
; Occupancy: 5
; WaveLimiterHint : 0
; COMPUTE_PGM_RSRC2:SCRATCH_EN: 0
; COMPUTE_PGM_RSRC2:USER_SGPR: 6
; COMPUTE_PGM_RSRC2:TRAP_HANDLER: 0
; COMPUTE_PGM_RSRC2:TGID_X_EN: 1
; COMPUTE_PGM_RSRC2:TGID_Y_EN: 0
; COMPUTE_PGM_RSRC2:TGID_Z_EN: 0
; COMPUTE_PGM_RSRC2:TIDIG_COMP_CNT: 0
; COMPUTE_PGM_RSRC3_GFX90A:ACCUM_OFFSET: 10
; COMPUTE_PGM_RSRC3_GFX90A:TG_SPLIT: 0
	.section	.text._ZN7rocprim17ROCPRIM_400000_NS6detail17trampoline_kernelINS0_14default_configENS1_20scan_config_selectorIyEEZZNS1_9scan_implILNS1_25lookback_scan_determinismE0ELb0ELb0ES3_N6thrust23THRUST_200600_302600_NS6detail15normal_iteratorINS9_10device_ptrIyEEEENS9_16discard_iteratorINS9_11use_defaultEEEyNS9_4plusIvEEyEEDaPvRmT3_T4_T5_mT6_P12ihipStream_tbENKUlT_T0_E_clISt17integral_constantIbLb1EESX_EEDaSS_ST_EUlSS_E0_NS1_11comp_targetILNS1_3genE3ELNS1_11target_archE908ELNS1_3gpuE7ELNS1_3repE0EEENS1_30default_config_static_selectorELNS0_4arch9wavefront6targetE1EEEvT1_,"axG",@progbits,_ZN7rocprim17ROCPRIM_400000_NS6detail17trampoline_kernelINS0_14default_configENS1_20scan_config_selectorIyEEZZNS1_9scan_implILNS1_25lookback_scan_determinismE0ELb0ELb0ES3_N6thrust23THRUST_200600_302600_NS6detail15normal_iteratorINS9_10device_ptrIyEEEENS9_16discard_iteratorINS9_11use_defaultEEEyNS9_4plusIvEEyEEDaPvRmT3_T4_T5_mT6_P12ihipStream_tbENKUlT_T0_E_clISt17integral_constantIbLb1EESX_EEDaSS_ST_EUlSS_E0_NS1_11comp_targetILNS1_3genE3ELNS1_11target_archE908ELNS1_3gpuE7ELNS1_3repE0EEENS1_30default_config_static_selectorELNS0_4arch9wavefront6targetE1EEEvT1_,comdat
	.protected	_ZN7rocprim17ROCPRIM_400000_NS6detail17trampoline_kernelINS0_14default_configENS1_20scan_config_selectorIyEEZZNS1_9scan_implILNS1_25lookback_scan_determinismE0ELb0ELb0ES3_N6thrust23THRUST_200600_302600_NS6detail15normal_iteratorINS9_10device_ptrIyEEEENS9_16discard_iteratorINS9_11use_defaultEEEyNS9_4plusIvEEyEEDaPvRmT3_T4_T5_mT6_P12ihipStream_tbENKUlT_T0_E_clISt17integral_constantIbLb1EESX_EEDaSS_ST_EUlSS_E0_NS1_11comp_targetILNS1_3genE3ELNS1_11target_archE908ELNS1_3gpuE7ELNS1_3repE0EEENS1_30default_config_static_selectorELNS0_4arch9wavefront6targetE1EEEvT1_ ; -- Begin function _ZN7rocprim17ROCPRIM_400000_NS6detail17trampoline_kernelINS0_14default_configENS1_20scan_config_selectorIyEEZZNS1_9scan_implILNS1_25lookback_scan_determinismE0ELb0ELb0ES3_N6thrust23THRUST_200600_302600_NS6detail15normal_iteratorINS9_10device_ptrIyEEEENS9_16discard_iteratorINS9_11use_defaultEEEyNS9_4plusIvEEyEEDaPvRmT3_T4_T5_mT6_P12ihipStream_tbENKUlT_T0_E_clISt17integral_constantIbLb1EESX_EEDaSS_ST_EUlSS_E0_NS1_11comp_targetILNS1_3genE3ELNS1_11target_archE908ELNS1_3gpuE7ELNS1_3repE0EEENS1_30default_config_static_selectorELNS0_4arch9wavefront6targetE1EEEvT1_
	.globl	_ZN7rocprim17ROCPRIM_400000_NS6detail17trampoline_kernelINS0_14default_configENS1_20scan_config_selectorIyEEZZNS1_9scan_implILNS1_25lookback_scan_determinismE0ELb0ELb0ES3_N6thrust23THRUST_200600_302600_NS6detail15normal_iteratorINS9_10device_ptrIyEEEENS9_16discard_iteratorINS9_11use_defaultEEEyNS9_4plusIvEEyEEDaPvRmT3_T4_T5_mT6_P12ihipStream_tbENKUlT_T0_E_clISt17integral_constantIbLb1EESX_EEDaSS_ST_EUlSS_E0_NS1_11comp_targetILNS1_3genE3ELNS1_11target_archE908ELNS1_3gpuE7ELNS1_3repE0EEENS1_30default_config_static_selectorELNS0_4arch9wavefront6targetE1EEEvT1_
	.p2align	8
	.type	_ZN7rocprim17ROCPRIM_400000_NS6detail17trampoline_kernelINS0_14default_configENS1_20scan_config_selectorIyEEZZNS1_9scan_implILNS1_25lookback_scan_determinismE0ELb0ELb0ES3_N6thrust23THRUST_200600_302600_NS6detail15normal_iteratorINS9_10device_ptrIyEEEENS9_16discard_iteratorINS9_11use_defaultEEEyNS9_4plusIvEEyEEDaPvRmT3_T4_T5_mT6_P12ihipStream_tbENKUlT_T0_E_clISt17integral_constantIbLb1EESX_EEDaSS_ST_EUlSS_E0_NS1_11comp_targetILNS1_3genE3ELNS1_11target_archE908ELNS1_3gpuE7ELNS1_3repE0EEENS1_30default_config_static_selectorELNS0_4arch9wavefront6targetE1EEEvT1_,@function
_ZN7rocprim17ROCPRIM_400000_NS6detail17trampoline_kernelINS0_14default_configENS1_20scan_config_selectorIyEEZZNS1_9scan_implILNS1_25lookback_scan_determinismE0ELb0ELb0ES3_N6thrust23THRUST_200600_302600_NS6detail15normal_iteratorINS9_10device_ptrIyEEEENS9_16discard_iteratorINS9_11use_defaultEEEyNS9_4plusIvEEyEEDaPvRmT3_T4_T5_mT6_P12ihipStream_tbENKUlT_T0_E_clISt17integral_constantIbLb1EESX_EEDaSS_ST_EUlSS_E0_NS1_11comp_targetILNS1_3genE3ELNS1_11target_archE908ELNS1_3gpuE7ELNS1_3repE0EEENS1_30default_config_static_selectorELNS0_4arch9wavefront6targetE1EEEvT1_: ; @_ZN7rocprim17ROCPRIM_400000_NS6detail17trampoline_kernelINS0_14default_configENS1_20scan_config_selectorIyEEZZNS1_9scan_implILNS1_25lookback_scan_determinismE0ELb0ELb0ES3_N6thrust23THRUST_200600_302600_NS6detail15normal_iteratorINS9_10device_ptrIyEEEENS9_16discard_iteratorINS9_11use_defaultEEEyNS9_4plusIvEEyEEDaPvRmT3_T4_T5_mT6_P12ihipStream_tbENKUlT_T0_E_clISt17integral_constantIbLb1EESX_EEDaSS_ST_EUlSS_E0_NS1_11comp_targetILNS1_3genE3ELNS1_11target_archE908ELNS1_3gpuE7ELNS1_3repE0EEENS1_30default_config_static_selectorELNS0_4arch9wavefront6targetE1EEEvT1_
; %bb.0:
	.section	.rodata,"a",@progbits
	.p2align	6, 0x0
	.amdhsa_kernel _ZN7rocprim17ROCPRIM_400000_NS6detail17trampoline_kernelINS0_14default_configENS1_20scan_config_selectorIyEEZZNS1_9scan_implILNS1_25lookback_scan_determinismE0ELb0ELb0ES3_N6thrust23THRUST_200600_302600_NS6detail15normal_iteratorINS9_10device_ptrIyEEEENS9_16discard_iteratorINS9_11use_defaultEEEyNS9_4plusIvEEyEEDaPvRmT3_T4_T5_mT6_P12ihipStream_tbENKUlT_T0_E_clISt17integral_constantIbLb1EESX_EEDaSS_ST_EUlSS_E0_NS1_11comp_targetILNS1_3genE3ELNS1_11target_archE908ELNS1_3gpuE7ELNS1_3repE0EEENS1_30default_config_static_selectorELNS0_4arch9wavefront6targetE1EEEvT1_
		.amdhsa_group_segment_fixed_size 0
		.amdhsa_private_segment_fixed_size 0
		.amdhsa_kernarg_size 48
		.amdhsa_user_sgpr_count 6
		.amdhsa_user_sgpr_private_segment_buffer 1
		.amdhsa_user_sgpr_dispatch_ptr 0
		.amdhsa_user_sgpr_queue_ptr 0
		.amdhsa_user_sgpr_kernarg_segment_ptr 1
		.amdhsa_user_sgpr_dispatch_id 0
		.amdhsa_user_sgpr_flat_scratch_init 0
		.amdhsa_user_sgpr_kernarg_preload_length 0
		.amdhsa_user_sgpr_kernarg_preload_offset 0
		.amdhsa_user_sgpr_private_segment_size 0
		.amdhsa_uses_dynamic_stack 0
		.amdhsa_system_sgpr_private_segment_wavefront_offset 0
		.amdhsa_system_sgpr_workgroup_id_x 1
		.amdhsa_system_sgpr_workgroup_id_y 0
		.amdhsa_system_sgpr_workgroup_id_z 0
		.amdhsa_system_sgpr_workgroup_info 0
		.amdhsa_system_vgpr_workitem_id 0
		.amdhsa_next_free_vgpr 1
		.amdhsa_next_free_sgpr 0
		.amdhsa_accum_offset 4
		.amdhsa_reserve_vcc 0
		.amdhsa_reserve_flat_scratch 0
		.amdhsa_float_round_mode_32 0
		.amdhsa_float_round_mode_16_64 0
		.amdhsa_float_denorm_mode_32 3
		.amdhsa_float_denorm_mode_16_64 3
		.amdhsa_dx10_clamp 1
		.amdhsa_ieee_mode 1
		.amdhsa_fp16_overflow 0
		.amdhsa_tg_split 0
		.amdhsa_exception_fp_ieee_invalid_op 0
		.amdhsa_exception_fp_denorm_src 0
		.amdhsa_exception_fp_ieee_div_zero 0
		.amdhsa_exception_fp_ieee_overflow 0
		.amdhsa_exception_fp_ieee_underflow 0
		.amdhsa_exception_fp_ieee_inexact 0
		.amdhsa_exception_int_div_zero 0
	.end_amdhsa_kernel
	.section	.text._ZN7rocprim17ROCPRIM_400000_NS6detail17trampoline_kernelINS0_14default_configENS1_20scan_config_selectorIyEEZZNS1_9scan_implILNS1_25lookback_scan_determinismE0ELb0ELb0ES3_N6thrust23THRUST_200600_302600_NS6detail15normal_iteratorINS9_10device_ptrIyEEEENS9_16discard_iteratorINS9_11use_defaultEEEyNS9_4plusIvEEyEEDaPvRmT3_T4_T5_mT6_P12ihipStream_tbENKUlT_T0_E_clISt17integral_constantIbLb1EESX_EEDaSS_ST_EUlSS_E0_NS1_11comp_targetILNS1_3genE3ELNS1_11target_archE908ELNS1_3gpuE7ELNS1_3repE0EEENS1_30default_config_static_selectorELNS0_4arch9wavefront6targetE1EEEvT1_,"axG",@progbits,_ZN7rocprim17ROCPRIM_400000_NS6detail17trampoline_kernelINS0_14default_configENS1_20scan_config_selectorIyEEZZNS1_9scan_implILNS1_25lookback_scan_determinismE0ELb0ELb0ES3_N6thrust23THRUST_200600_302600_NS6detail15normal_iteratorINS9_10device_ptrIyEEEENS9_16discard_iteratorINS9_11use_defaultEEEyNS9_4plusIvEEyEEDaPvRmT3_T4_T5_mT6_P12ihipStream_tbENKUlT_T0_E_clISt17integral_constantIbLb1EESX_EEDaSS_ST_EUlSS_E0_NS1_11comp_targetILNS1_3genE3ELNS1_11target_archE908ELNS1_3gpuE7ELNS1_3repE0EEENS1_30default_config_static_selectorELNS0_4arch9wavefront6targetE1EEEvT1_,comdat
.Lfunc_end5180:
	.size	_ZN7rocprim17ROCPRIM_400000_NS6detail17trampoline_kernelINS0_14default_configENS1_20scan_config_selectorIyEEZZNS1_9scan_implILNS1_25lookback_scan_determinismE0ELb0ELb0ES3_N6thrust23THRUST_200600_302600_NS6detail15normal_iteratorINS9_10device_ptrIyEEEENS9_16discard_iteratorINS9_11use_defaultEEEyNS9_4plusIvEEyEEDaPvRmT3_T4_T5_mT6_P12ihipStream_tbENKUlT_T0_E_clISt17integral_constantIbLb1EESX_EEDaSS_ST_EUlSS_E0_NS1_11comp_targetILNS1_3genE3ELNS1_11target_archE908ELNS1_3gpuE7ELNS1_3repE0EEENS1_30default_config_static_selectorELNS0_4arch9wavefront6targetE1EEEvT1_, .Lfunc_end5180-_ZN7rocprim17ROCPRIM_400000_NS6detail17trampoline_kernelINS0_14default_configENS1_20scan_config_selectorIyEEZZNS1_9scan_implILNS1_25lookback_scan_determinismE0ELb0ELb0ES3_N6thrust23THRUST_200600_302600_NS6detail15normal_iteratorINS9_10device_ptrIyEEEENS9_16discard_iteratorINS9_11use_defaultEEEyNS9_4plusIvEEyEEDaPvRmT3_T4_T5_mT6_P12ihipStream_tbENKUlT_T0_E_clISt17integral_constantIbLb1EESX_EEDaSS_ST_EUlSS_E0_NS1_11comp_targetILNS1_3genE3ELNS1_11target_archE908ELNS1_3gpuE7ELNS1_3repE0EEENS1_30default_config_static_selectorELNS0_4arch9wavefront6targetE1EEEvT1_
                                        ; -- End function
	.section	.AMDGPU.csdata,"",@progbits
; Kernel info:
; codeLenInByte = 0
; NumSgprs: 4
; NumVgprs: 0
; NumAgprs: 0
; TotalNumVgprs: 0
; ScratchSize: 0
; MemoryBound: 0
; FloatMode: 240
; IeeeMode: 1
; LDSByteSize: 0 bytes/workgroup (compile time only)
; SGPRBlocks: 0
; VGPRBlocks: 0
; NumSGPRsForWavesPerEU: 4
; NumVGPRsForWavesPerEU: 1
; AccumOffset: 4
; Occupancy: 8
; WaveLimiterHint : 0
; COMPUTE_PGM_RSRC2:SCRATCH_EN: 0
; COMPUTE_PGM_RSRC2:USER_SGPR: 6
; COMPUTE_PGM_RSRC2:TRAP_HANDLER: 0
; COMPUTE_PGM_RSRC2:TGID_X_EN: 1
; COMPUTE_PGM_RSRC2:TGID_Y_EN: 0
; COMPUTE_PGM_RSRC2:TGID_Z_EN: 0
; COMPUTE_PGM_RSRC2:TIDIG_COMP_CNT: 0
; COMPUTE_PGM_RSRC3_GFX90A:ACCUM_OFFSET: 0
; COMPUTE_PGM_RSRC3_GFX90A:TG_SPLIT: 0
	.section	.text._ZN7rocprim17ROCPRIM_400000_NS6detail17trampoline_kernelINS0_14default_configENS1_20scan_config_selectorIyEEZZNS1_9scan_implILNS1_25lookback_scan_determinismE0ELb0ELb0ES3_N6thrust23THRUST_200600_302600_NS6detail15normal_iteratorINS9_10device_ptrIyEEEENS9_16discard_iteratorINS9_11use_defaultEEEyNS9_4plusIvEEyEEDaPvRmT3_T4_T5_mT6_P12ihipStream_tbENKUlT_T0_E_clISt17integral_constantIbLb1EESX_EEDaSS_ST_EUlSS_E0_NS1_11comp_targetILNS1_3genE2ELNS1_11target_archE906ELNS1_3gpuE6ELNS1_3repE0EEENS1_30default_config_static_selectorELNS0_4arch9wavefront6targetE1EEEvT1_,"axG",@progbits,_ZN7rocprim17ROCPRIM_400000_NS6detail17trampoline_kernelINS0_14default_configENS1_20scan_config_selectorIyEEZZNS1_9scan_implILNS1_25lookback_scan_determinismE0ELb0ELb0ES3_N6thrust23THRUST_200600_302600_NS6detail15normal_iteratorINS9_10device_ptrIyEEEENS9_16discard_iteratorINS9_11use_defaultEEEyNS9_4plusIvEEyEEDaPvRmT3_T4_T5_mT6_P12ihipStream_tbENKUlT_T0_E_clISt17integral_constantIbLb1EESX_EEDaSS_ST_EUlSS_E0_NS1_11comp_targetILNS1_3genE2ELNS1_11target_archE906ELNS1_3gpuE6ELNS1_3repE0EEENS1_30default_config_static_selectorELNS0_4arch9wavefront6targetE1EEEvT1_,comdat
	.protected	_ZN7rocprim17ROCPRIM_400000_NS6detail17trampoline_kernelINS0_14default_configENS1_20scan_config_selectorIyEEZZNS1_9scan_implILNS1_25lookback_scan_determinismE0ELb0ELb0ES3_N6thrust23THRUST_200600_302600_NS6detail15normal_iteratorINS9_10device_ptrIyEEEENS9_16discard_iteratorINS9_11use_defaultEEEyNS9_4plusIvEEyEEDaPvRmT3_T4_T5_mT6_P12ihipStream_tbENKUlT_T0_E_clISt17integral_constantIbLb1EESX_EEDaSS_ST_EUlSS_E0_NS1_11comp_targetILNS1_3genE2ELNS1_11target_archE906ELNS1_3gpuE6ELNS1_3repE0EEENS1_30default_config_static_selectorELNS0_4arch9wavefront6targetE1EEEvT1_ ; -- Begin function _ZN7rocprim17ROCPRIM_400000_NS6detail17trampoline_kernelINS0_14default_configENS1_20scan_config_selectorIyEEZZNS1_9scan_implILNS1_25lookback_scan_determinismE0ELb0ELb0ES3_N6thrust23THRUST_200600_302600_NS6detail15normal_iteratorINS9_10device_ptrIyEEEENS9_16discard_iteratorINS9_11use_defaultEEEyNS9_4plusIvEEyEEDaPvRmT3_T4_T5_mT6_P12ihipStream_tbENKUlT_T0_E_clISt17integral_constantIbLb1EESX_EEDaSS_ST_EUlSS_E0_NS1_11comp_targetILNS1_3genE2ELNS1_11target_archE906ELNS1_3gpuE6ELNS1_3repE0EEENS1_30default_config_static_selectorELNS0_4arch9wavefront6targetE1EEEvT1_
	.globl	_ZN7rocprim17ROCPRIM_400000_NS6detail17trampoline_kernelINS0_14default_configENS1_20scan_config_selectorIyEEZZNS1_9scan_implILNS1_25lookback_scan_determinismE0ELb0ELb0ES3_N6thrust23THRUST_200600_302600_NS6detail15normal_iteratorINS9_10device_ptrIyEEEENS9_16discard_iteratorINS9_11use_defaultEEEyNS9_4plusIvEEyEEDaPvRmT3_T4_T5_mT6_P12ihipStream_tbENKUlT_T0_E_clISt17integral_constantIbLb1EESX_EEDaSS_ST_EUlSS_E0_NS1_11comp_targetILNS1_3genE2ELNS1_11target_archE906ELNS1_3gpuE6ELNS1_3repE0EEENS1_30default_config_static_selectorELNS0_4arch9wavefront6targetE1EEEvT1_
	.p2align	8
	.type	_ZN7rocprim17ROCPRIM_400000_NS6detail17trampoline_kernelINS0_14default_configENS1_20scan_config_selectorIyEEZZNS1_9scan_implILNS1_25lookback_scan_determinismE0ELb0ELb0ES3_N6thrust23THRUST_200600_302600_NS6detail15normal_iteratorINS9_10device_ptrIyEEEENS9_16discard_iteratorINS9_11use_defaultEEEyNS9_4plusIvEEyEEDaPvRmT3_T4_T5_mT6_P12ihipStream_tbENKUlT_T0_E_clISt17integral_constantIbLb1EESX_EEDaSS_ST_EUlSS_E0_NS1_11comp_targetILNS1_3genE2ELNS1_11target_archE906ELNS1_3gpuE6ELNS1_3repE0EEENS1_30default_config_static_selectorELNS0_4arch9wavefront6targetE1EEEvT1_,@function
_ZN7rocprim17ROCPRIM_400000_NS6detail17trampoline_kernelINS0_14default_configENS1_20scan_config_selectorIyEEZZNS1_9scan_implILNS1_25lookback_scan_determinismE0ELb0ELb0ES3_N6thrust23THRUST_200600_302600_NS6detail15normal_iteratorINS9_10device_ptrIyEEEENS9_16discard_iteratorINS9_11use_defaultEEEyNS9_4plusIvEEyEEDaPvRmT3_T4_T5_mT6_P12ihipStream_tbENKUlT_T0_E_clISt17integral_constantIbLb1EESX_EEDaSS_ST_EUlSS_E0_NS1_11comp_targetILNS1_3genE2ELNS1_11target_archE906ELNS1_3gpuE6ELNS1_3repE0EEENS1_30default_config_static_selectorELNS0_4arch9wavefront6targetE1EEEvT1_: ; @_ZN7rocprim17ROCPRIM_400000_NS6detail17trampoline_kernelINS0_14default_configENS1_20scan_config_selectorIyEEZZNS1_9scan_implILNS1_25lookback_scan_determinismE0ELb0ELb0ES3_N6thrust23THRUST_200600_302600_NS6detail15normal_iteratorINS9_10device_ptrIyEEEENS9_16discard_iteratorINS9_11use_defaultEEEyNS9_4plusIvEEyEEDaPvRmT3_T4_T5_mT6_P12ihipStream_tbENKUlT_T0_E_clISt17integral_constantIbLb1EESX_EEDaSS_ST_EUlSS_E0_NS1_11comp_targetILNS1_3genE2ELNS1_11target_archE906ELNS1_3gpuE6ELNS1_3repE0EEENS1_30default_config_static_selectorELNS0_4arch9wavefront6targetE1EEEvT1_
; %bb.0:
	.section	.rodata,"a",@progbits
	.p2align	6, 0x0
	.amdhsa_kernel _ZN7rocprim17ROCPRIM_400000_NS6detail17trampoline_kernelINS0_14default_configENS1_20scan_config_selectorIyEEZZNS1_9scan_implILNS1_25lookback_scan_determinismE0ELb0ELb0ES3_N6thrust23THRUST_200600_302600_NS6detail15normal_iteratorINS9_10device_ptrIyEEEENS9_16discard_iteratorINS9_11use_defaultEEEyNS9_4plusIvEEyEEDaPvRmT3_T4_T5_mT6_P12ihipStream_tbENKUlT_T0_E_clISt17integral_constantIbLb1EESX_EEDaSS_ST_EUlSS_E0_NS1_11comp_targetILNS1_3genE2ELNS1_11target_archE906ELNS1_3gpuE6ELNS1_3repE0EEENS1_30default_config_static_selectorELNS0_4arch9wavefront6targetE1EEEvT1_
		.amdhsa_group_segment_fixed_size 0
		.amdhsa_private_segment_fixed_size 0
		.amdhsa_kernarg_size 48
		.amdhsa_user_sgpr_count 6
		.amdhsa_user_sgpr_private_segment_buffer 1
		.amdhsa_user_sgpr_dispatch_ptr 0
		.amdhsa_user_sgpr_queue_ptr 0
		.amdhsa_user_sgpr_kernarg_segment_ptr 1
		.amdhsa_user_sgpr_dispatch_id 0
		.amdhsa_user_sgpr_flat_scratch_init 0
		.amdhsa_user_sgpr_kernarg_preload_length 0
		.amdhsa_user_sgpr_kernarg_preload_offset 0
		.amdhsa_user_sgpr_private_segment_size 0
		.amdhsa_uses_dynamic_stack 0
		.amdhsa_system_sgpr_private_segment_wavefront_offset 0
		.amdhsa_system_sgpr_workgroup_id_x 1
		.amdhsa_system_sgpr_workgroup_id_y 0
		.amdhsa_system_sgpr_workgroup_id_z 0
		.amdhsa_system_sgpr_workgroup_info 0
		.amdhsa_system_vgpr_workitem_id 0
		.amdhsa_next_free_vgpr 1
		.amdhsa_next_free_sgpr 0
		.amdhsa_accum_offset 4
		.amdhsa_reserve_vcc 0
		.amdhsa_reserve_flat_scratch 0
		.amdhsa_float_round_mode_32 0
		.amdhsa_float_round_mode_16_64 0
		.amdhsa_float_denorm_mode_32 3
		.amdhsa_float_denorm_mode_16_64 3
		.amdhsa_dx10_clamp 1
		.amdhsa_ieee_mode 1
		.amdhsa_fp16_overflow 0
		.amdhsa_tg_split 0
		.amdhsa_exception_fp_ieee_invalid_op 0
		.amdhsa_exception_fp_denorm_src 0
		.amdhsa_exception_fp_ieee_div_zero 0
		.amdhsa_exception_fp_ieee_overflow 0
		.amdhsa_exception_fp_ieee_underflow 0
		.amdhsa_exception_fp_ieee_inexact 0
		.amdhsa_exception_int_div_zero 0
	.end_amdhsa_kernel
	.section	.text._ZN7rocprim17ROCPRIM_400000_NS6detail17trampoline_kernelINS0_14default_configENS1_20scan_config_selectorIyEEZZNS1_9scan_implILNS1_25lookback_scan_determinismE0ELb0ELb0ES3_N6thrust23THRUST_200600_302600_NS6detail15normal_iteratorINS9_10device_ptrIyEEEENS9_16discard_iteratorINS9_11use_defaultEEEyNS9_4plusIvEEyEEDaPvRmT3_T4_T5_mT6_P12ihipStream_tbENKUlT_T0_E_clISt17integral_constantIbLb1EESX_EEDaSS_ST_EUlSS_E0_NS1_11comp_targetILNS1_3genE2ELNS1_11target_archE906ELNS1_3gpuE6ELNS1_3repE0EEENS1_30default_config_static_selectorELNS0_4arch9wavefront6targetE1EEEvT1_,"axG",@progbits,_ZN7rocprim17ROCPRIM_400000_NS6detail17trampoline_kernelINS0_14default_configENS1_20scan_config_selectorIyEEZZNS1_9scan_implILNS1_25lookback_scan_determinismE0ELb0ELb0ES3_N6thrust23THRUST_200600_302600_NS6detail15normal_iteratorINS9_10device_ptrIyEEEENS9_16discard_iteratorINS9_11use_defaultEEEyNS9_4plusIvEEyEEDaPvRmT3_T4_T5_mT6_P12ihipStream_tbENKUlT_T0_E_clISt17integral_constantIbLb1EESX_EEDaSS_ST_EUlSS_E0_NS1_11comp_targetILNS1_3genE2ELNS1_11target_archE906ELNS1_3gpuE6ELNS1_3repE0EEENS1_30default_config_static_selectorELNS0_4arch9wavefront6targetE1EEEvT1_,comdat
.Lfunc_end5181:
	.size	_ZN7rocprim17ROCPRIM_400000_NS6detail17trampoline_kernelINS0_14default_configENS1_20scan_config_selectorIyEEZZNS1_9scan_implILNS1_25lookback_scan_determinismE0ELb0ELb0ES3_N6thrust23THRUST_200600_302600_NS6detail15normal_iteratorINS9_10device_ptrIyEEEENS9_16discard_iteratorINS9_11use_defaultEEEyNS9_4plusIvEEyEEDaPvRmT3_T4_T5_mT6_P12ihipStream_tbENKUlT_T0_E_clISt17integral_constantIbLb1EESX_EEDaSS_ST_EUlSS_E0_NS1_11comp_targetILNS1_3genE2ELNS1_11target_archE906ELNS1_3gpuE6ELNS1_3repE0EEENS1_30default_config_static_selectorELNS0_4arch9wavefront6targetE1EEEvT1_, .Lfunc_end5181-_ZN7rocprim17ROCPRIM_400000_NS6detail17trampoline_kernelINS0_14default_configENS1_20scan_config_selectorIyEEZZNS1_9scan_implILNS1_25lookback_scan_determinismE0ELb0ELb0ES3_N6thrust23THRUST_200600_302600_NS6detail15normal_iteratorINS9_10device_ptrIyEEEENS9_16discard_iteratorINS9_11use_defaultEEEyNS9_4plusIvEEyEEDaPvRmT3_T4_T5_mT6_P12ihipStream_tbENKUlT_T0_E_clISt17integral_constantIbLb1EESX_EEDaSS_ST_EUlSS_E0_NS1_11comp_targetILNS1_3genE2ELNS1_11target_archE906ELNS1_3gpuE6ELNS1_3repE0EEENS1_30default_config_static_selectorELNS0_4arch9wavefront6targetE1EEEvT1_
                                        ; -- End function
	.section	.AMDGPU.csdata,"",@progbits
; Kernel info:
; codeLenInByte = 0
; NumSgprs: 4
; NumVgprs: 0
; NumAgprs: 0
; TotalNumVgprs: 0
; ScratchSize: 0
; MemoryBound: 0
; FloatMode: 240
; IeeeMode: 1
; LDSByteSize: 0 bytes/workgroup (compile time only)
; SGPRBlocks: 0
; VGPRBlocks: 0
; NumSGPRsForWavesPerEU: 4
; NumVGPRsForWavesPerEU: 1
; AccumOffset: 4
; Occupancy: 8
; WaveLimiterHint : 0
; COMPUTE_PGM_RSRC2:SCRATCH_EN: 0
; COMPUTE_PGM_RSRC2:USER_SGPR: 6
; COMPUTE_PGM_RSRC2:TRAP_HANDLER: 0
; COMPUTE_PGM_RSRC2:TGID_X_EN: 1
; COMPUTE_PGM_RSRC2:TGID_Y_EN: 0
; COMPUTE_PGM_RSRC2:TGID_Z_EN: 0
; COMPUTE_PGM_RSRC2:TIDIG_COMP_CNT: 0
; COMPUTE_PGM_RSRC3_GFX90A:ACCUM_OFFSET: 0
; COMPUTE_PGM_RSRC3_GFX90A:TG_SPLIT: 0
	.section	.text._ZN7rocprim17ROCPRIM_400000_NS6detail17trampoline_kernelINS0_14default_configENS1_20scan_config_selectorIyEEZZNS1_9scan_implILNS1_25lookback_scan_determinismE0ELb0ELb0ES3_N6thrust23THRUST_200600_302600_NS6detail15normal_iteratorINS9_10device_ptrIyEEEENS9_16discard_iteratorINS9_11use_defaultEEEyNS9_4plusIvEEyEEDaPvRmT3_T4_T5_mT6_P12ihipStream_tbENKUlT_T0_E_clISt17integral_constantIbLb1EESX_EEDaSS_ST_EUlSS_E0_NS1_11comp_targetILNS1_3genE10ELNS1_11target_archE1201ELNS1_3gpuE5ELNS1_3repE0EEENS1_30default_config_static_selectorELNS0_4arch9wavefront6targetE1EEEvT1_,"axG",@progbits,_ZN7rocprim17ROCPRIM_400000_NS6detail17trampoline_kernelINS0_14default_configENS1_20scan_config_selectorIyEEZZNS1_9scan_implILNS1_25lookback_scan_determinismE0ELb0ELb0ES3_N6thrust23THRUST_200600_302600_NS6detail15normal_iteratorINS9_10device_ptrIyEEEENS9_16discard_iteratorINS9_11use_defaultEEEyNS9_4plusIvEEyEEDaPvRmT3_T4_T5_mT6_P12ihipStream_tbENKUlT_T0_E_clISt17integral_constantIbLb1EESX_EEDaSS_ST_EUlSS_E0_NS1_11comp_targetILNS1_3genE10ELNS1_11target_archE1201ELNS1_3gpuE5ELNS1_3repE0EEENS1_30default_config_static_selectorELNS0_4arch9wavefront6targetE1EEEvT1_,comdat
	.protected	_ZN7rocprim17ROCPRIM_400000_NS6detail17trampoline_kernelINS0_14default_configENS1_20scan_config_selectorIyEEZZNS1_9scan_implILNS1_25lookback_scan_determinismE0ELb0ELb0ES3_N6thrust23THRUST_200600_302600_NS6detail15normal_iteratorINS9_10device_ptrIyEEEENS9_16discard_iteratorINS9_11use_defaultEEEyNS9_4plusIvEEyEEDaPvRmT3_T4_T5_mT6_P12ihipStream_tbENKUlT_T0_E_clISt17integral_constantIbLb1EESX_EEDaSS_ST_EUlSS_E0_NS1_11comp_targetILNS1_3genE10ELNS1_11target_archE1201ELNS1_3gpuE5ELNS1_3repE0EEENS1_30default_config_static_selectorELNS0_4arch9wavefront6targetE1EEEvT1_ ; -- Begin function _ZN7rocprim17ROCPRIM_400000_NS6detail17trampoline_kernelINS0_14default_configENS1_20scan_config_selectorIyEEZZNS1_9scan_implILNS1_25lookback_scan_determinismE0ELb0ELb0ES3_N6thrust23THRUST_200600_302600_NS6detail15normal_iteratorINS9_10device_ptrIyEEEENS9_16discard_iteratorINS9_11use_defaultEEEyNS9_4plusIvEEyEEDaPvRmT3_T4_T5_mT6_P12ihipStream_tbENKUlT_T0_E_clISt17integral_constantIbLb1EESX_EEDaSS_ST_EUlSS_E0_NS1_11comp_targetILNS1_3genE10ELNS1_11target_archE1201ELNS1_3gpuE5ELNS1_3repE0EEENS1_30default_config_static_selectorELNS0_4arch9wavefront6targetE1EEEvT1_
	.globl	_ZN7rocprim17ROCPRIM_400000_NS6detail17trampoline_kernelINS0_14default_configENS1_20scan_config_selectorIyEEZZNS1_9scan_implILNS1_25lookback_scan_determinismE0ELb0ELb0ES3_N6thrust23THRUST_200600_302600_NS6detail15normal_iteratorINS9_10device_ptrIyEEEENS9_16discard_iteratorINS9_11use_defaultEEEyNS9_4plusIvEEyEEDaPvRmT3_T4_T5_mT6_P12ihipStream_tbENKUlT_T0_E_clISt17integral_constantIbLb1EESX_EEDaSS_ST_EUlSS_E0_NS1_11comp_targetILNS1_3genE10ELNS1_11target_archE1201ELNS1_3gpuE5ELNS1_3repE0EEENS1_30default_config_static_selectorELNS0_4arch9wavefront6targetE1EEEvT1_
	.p2align	8
	.type	_ZN7rocprim17ROCPRIM_400000_NS6detail17trampoline_kernelINS0_14default_configENS1_20scan_config_selectorIyEEZZNS1_9scan_implILNS1_25lookback_scan_determinismE0ELb0ELb0ES3_N6thrust23THRUST_200600_302600_NS6detail15normal_iteratorINS9_10device_ptrIyEEEENS9_16discard_iteratorINS9_11use_defaultEEEyNS9_4plusIvEEyEEDaPvRmT3_T4_T5_mT6_P12ihipStream_tbENKUlT_T0_E_clISt17integral_constantIbLb1EESX_EEDaSS_ST_EUlSS_E0_NS1_11comp_targetILNS1_3genE10ELNS1_11target_archE1201ELNS1_3gpuE5ELNS1_3repE0EEENS1_30default_config_static_selectorELNS0_4arch9wavefront6targetE1EEEvT1_,@function
_ZN7rocprim17ROCPRIM_400000_NS6detail17trampoline_kernelINS0_14default_configENS1_20scan_config_selectorIyEEZZNS1_9scan_implILNS1_25lookback_scan_determinismE0ELb0ELb0ES3_N6thrust23THRUST_200600_302600_NS6detail15normal_iteratorINS9_10device_ptrIyEEEENS9_16discard_iteratorINS9_11use_defaultEEEyNS9_4plusIvEEyEEDaPvRmT3_T4_T5_mT6_P12ihipStream_tbENKUlT_T0_E_clISt17integral_constantIbLb1EESX_EEDaSS_ST_EUlSS_E0_NS1_11comp_targetILNS1_3genE10ELNS1_11target_archE1201ELNS1_3gpuE5ELNS1_3repE0EEENS1_30default_config_static_selectorELNS0_4arch9wavefront6targetE1EEEvT1_: ; @_ZN7rocprim17ROCPRIM_400000_NS6detail17trampoline_kernelINS0_14default_configENS1_20scan_config_selectorIyEEZZNS1_9scan_implILNS1_25lookback_scan_determinismE0ELb0ELb0ES3_N6thrust23THRUST_200600_302600_NS6detail15normal_iteratorINS9_10device_ptrIyEEEENS9_16discard_iteratorINS9_11use_defaultEEEyNS9_4plusIvEEyEEDaPvRmT3_T4_T5_mT6_P12ihipStream_tbENKUlT_T0_E_clISt17integral_constantIbLb1EESX_EEDaSS_ST_EUlSS_E0_NS1_11comp_targetILNS1_3genE10ELNS1_11target_archE1201ELNS1_3gpuE5ELNS1_3repE0EEENS1_30default_config_static_selectorELNS0_4arch9wavefront6targetE1EEEvT1_
; %bb.0:
	.section	.rodata,"a",@progbits
	.p2align	6, 0x0
	.amdhsa_kernel _ZN7rocprim17ROCPRIM_400000_NS6detail17trampoline_kernelINS0_14default_configENS1_20scan_config_selectorIyEEZZNS1_9scan_implILNS1_25lookback_scan_determinismE0ELb0ELb0ES3_N6thrust23THRUST_200600_302600_NS6detail15normal_iteratorINS9_10device_ptrIyEEEENS9_16discard_iteratorINS9_11use_defaultEEEyNS9_4plusIvEEyEEDaPvRmT3_T4_T5_mT6_P12ihipStream_tbENKUlT_T0_E_clISt17integral_constantIbLb1EESX_EEDaSS_ST_EUlSS_E0_NS1_11comp_targetILNS1_3genE10ELNS1_11target_archE1201ELNS1_3gpuE5ELNS1_3repE0EEENS1_30default_config_static_selectorELNS0_4arch9wavefront6targetE1EEEvT1_
		.amdhsa_group_segment_fixed_size 0
		.amdhsa_private_segment_fixed_size 0
		.amdhsa_kernarg_size 48
		.amdhsa_user_sgpr_count 6
		.amdhsa_user_sgpr_private_segment_buffer 1
		.amdhsa_user_sgpr_dispatch_ptr 0
		.amdhsa_user_sgpr_queue_ptr 0
		.amdhsa_user_sgpr_kernarg_segment_ptr 1
		.amdhsa_user_sgpr_dispatch_id 0
		.amdhsa_user_sgpr_flat_scratch_init 0
		.amdhsa_user_sgpr_kernarg_preload_length 0
		.amdhsa_user_sgpr_kernarg_preload_offset 0
		.amdhsa_user_sgpr_private_segment_size 0
		.amdhsa_uses_dynamic_stack 0
		.amdhsa_system_sgpr_private_segment_wavefront_offset 0
		.amdhsa_system_sgpr_workgroup_id_x 1
		.amdhsa_system_sgpr_workgroup_id_y 0
		.amdhsa_system_sgpr_workgroup_id_z 0
		.amdhsa_system_sgpr_workgroup_info 0
		.amdhsa_system_vgpr_workitem_id 0
		.amdhsa_next_free_vgpr 1
		.amdhsa_next_free_sgpr 0
		.amdhsa_accum_offset 4
		.amdhsa_reserve_vcc 0
		.amdhsa_reserve_flat_scratch 0
		.amdhsa_float_round_mode_32 0
		.amdhsa_float_round_mode_16_64 0
		.amdhsa_float_denorm_mode_32 3
		.amdhsa_float_denorm_mode_16_64 3
		.amdhsa_dx10_clamp 1
		.amdhsa_ieee_mode 1
		.amdhsa_fp16_overflow 0
		.amdhsa_tg_split 0
		.amdhsa_exception_fp_ieee_invalid_op 0
		.amdhsa_exception_fp_denorm_src 0
		.amdhsa_exception_fp_ieee_div_zero 0
		.amdhsa_exception_fp_ieee_overflow 0
		.amdhsa_exception_fp_ieee_underflow 0
		.amdhsa_exception_fp_ieee_inexact 0
		.amdhsa_exception_int_div_zero 0
	.end_amdhsa_kernel
	.section	.text._ZN7rocprim17ROCPRIM_400000_NS6detail17trampoline_kernelINS0_14default_configENS1_20scan_config_selectorIyEEZZNS1_9scan_implILNS1_25lookback_scan_determinismE0ELb0ELb0ES3_N6thrust23THRUST_200600_302600_NS6detail15normal_iteratorINS9_10device_ptrIyEEEENS9_16discard_iteratorINS9_11use_defaultEEEyNS9_4plusIvEEyEEDaPvRmT3_T4_T5_mT6_P12ihipStream_tbENKUlT_T0_E_clISt17integral_constantIbLb1EESX_EEDaSS_ST_EUlSS_E0_NS1_11comp_targetILNS1_3genE10ELNS1_11target_archE1201ELNS1_3gpuE5ELNS1_3repE0EEENS1_30default_config_static_selectorELNS0_4arch9wavefront6targetE1EEEvT1_,"axG",@progbits,_ZN7rocprim17ROCPRIM_400000_NS6detail17trampoline_kernelINS0_14default_configENS1_20scan_config_selectorIyEEZZNS1_9scan_implILNS1_25lookback_scan_determinismE0ELb0ELb0ES3_N6thrust23THRUST_200600_302600_NS6detail15normal_iteratorINS9_10device_ptrIyEEEENS9_16discard_iteratorINS9_11use_defaultEEEyNS9_4plusIvEEyEEDaPvRmT3_T4_T5_mT6_P12ihipStream_tbENKUlT_T0_E_clISt17integral_constantIbLb1EESX_EEDaSS_ST_EUlSS_E0_NS1_11comp_targetILNS1_3genE10ELNS1_11target_archE1201ELNS1_3gpuE5ELNS1_3repE0EEENS1_30default_config_static_selectorELNS0_4arch9wavefront6targetE1EEEvT1_,comdat
.Lfunc_end5182:
	.size	_ZN7rocprim17ROCPRIM_400000_NS6detail17trampoline_kernelINS0_14default_configENS1_20scan_config_selectorIyEEZZNS1_9scan_implILNS1_25lookback_scan_determinismE0ELb0ELb0ES3_N6thrust23THRUST_200600_302600_NS6detail15normal_iteratorINS9_10device_ptrIyEEEENS9_16discard_iteratorINS9_11use_defaultEEEyNS9_4plusIvEEyEEDaPvRmT3_T4_T5_mT6_P12ihipStream_tbENKUlT_T0_E_clISt17integral_constantIbLb1EESX_EEDaSS_ST_EUlSS_E0_NS1_11comp_targetILNS1_3genE10ELNS1_11target_archE1201ELNS1_3gpuE5ELNS1_3repE0EEENS1_30default_config_static_selectorELNS0_4arch9wavefront6targetE1EEEvT1_, .Lfunc_end5182-_ZN7rocprim17ROCPRIM_400000_NS6detail17trampoline_kernelINS0_14default_configENS1_20scan_config_selectorIyEEZZNS1_9scan_implILNS1_25lookback_scan_determinismE0ELb0ELb0ES3_N6thrust23THRUST_200600_302600_NS6detail15normal_iteratorINS9_10device_ptrIyEEEENS9_16discard_iteratorINS9_11use_defaultEEEyNS9_4plusIvEEyEEDaPvRmT3_T4_T5_mT6_P12ihipStream_tbENKUlT_T0_E_clISt17integral_constantIbLb1EESX_EEDaSS_ST_EUlSS_E0_NS1_11comp_targetILNS1_3genE10ELNS1_11target_archE1201ELNS1_3gpuE5ELNS1_3repE0EEENS1_30default_config_static_selectorELNS0_4arch9wavefront6targetE1EEEvT1_
                                        ; -- End function
	.section	.AMDGPU.csdata,"",@progbits
; Kernel info:
; codeLenInByte = 0
; NumSgprs: 4
; NumVgprs: 0
; NumAgprs: 0
; TotalNumVgprs: 0
; ScratchSize: 0
; MemoryBound: 0
; FloatMode: 240
; IeeeMode: 1
; LDSByteSize: 0 bytes/workgroup (compile time only)
; SGPRBlocks: 0
; VGPRBlocks: 0
; NumSGPRsForWavesPerEU: 4
; NumVGPRsForWavesPerEU: 1
; AccumOffset: 4
; Occupancy: 8
; WaveLimiterHint : 0
; COMPUTE_PGM_RSRC2:SCRATCH_EN: 0
; COMPUTE_PGM_RSRC2:USER_SGPR: 6
; COMPUTE_PGM_RSRC2:TRAP_HANDLER: 0
; COMPUTE_PGM_RSRC2:TGID_X_EN: 1
; COMPUTE_PGM_RSRC2:TGID_Y_EN: 0
; COMPUTE_PGM_RSRC2:TGID_Z_EN: 0
; COMPUTE_PGM_RSRC2:TIDIG_COMP_CNT: 0
; COMPUTE_PGM_RSRC3_GFX90A:ACCUM_OFFSET: 0
; COMPUTE_PGM_RSRC3_GFX90A:TG_SPLIT: 0
	.section	.text._ZN7rocprim17ROCPRIM_400000_NS6detail17trampoline_kernelINS0_14default_configENS1_20scan_config_selectorIyEEZZNS1_9scan_implILNS1_25lookback_scan_determinismE0ELb0ELb0ES3_N6thrust23THRUST_200600_302600_NS6detail15normal_iteratorINS9_10device_ptrIyEEEENS9_16discard_iteratorINS9_11use_defaultEEEyNS9_4plusIvEEyEEDaPvRmT3_T4_T5_mT6_P12ihipStream_tbENKUlT_T0_E_clISt17integral_constantIbLb1EESX_EEDaSS_ST_EUlSS_E0_NS1_11comp_targetILNS1_3genE10ELNS1_11target_archE1200ELNS1_3gpuE4ELNS1_3repE0EEENS1_30default_config_static_selectorELNS0_4arch9wavefront6targetE1EEEvT1_,"axG",@progbits,_ZN7rocprim17ROCPRIM_400000_NS6detail17trampoline_kernelINS0_14default_configENS1_20scan_config_selectorIyEEZZNS1_9scan_implILNS1_25lookback_scan_determinismE0ELb0ELb0ES3_N6thrust23THRUST_200600_302600_NS6detail15normal_iteratorINS9_10device_ptrIyEEEENS9_16discard_iteratorINS9_11use_defaultEEEyNS9_4plusIvEEyEEDaPvRmT3_T4_T5_mT6_P12ihipStream_tbENKUlT_T0_E_clISt17integral_constantIbLb1EESX_EEDaSS_ST_EUlSS_E0_NS1_11comp_targetILNS1_3genE10ELNS1_11target_archE1200ELNS1_3gpuE4ELNS1_3repE0EEENS1_30default_config_static_selectorELNS0_4arch9wavefront6targetE1EEEvT1_,comdat
	.protected	_ZN7rocprim17ROCPRIM_400000_NS6detail17trampoline_kernelINS0_14default_configENS1_20scan_config_selectorIyEEZZNS1_9scan_implILNS1_25lookback_scan_determinismE0ELb0ELb0ES3_N6thrust23THRUST_200600_302600_NS6detail15normal_iteratorINS9_10device_ptrIyEEEENS9_16discard_iteratorINS9_11use_defaultEEEyNS9_4plusIvEEyEEDaPvRmT3_T4_T5_mT6_P12ihipStream_tbENKUlT_T0_E_clISt17integral_constantIbLb1EESX_EEDaSS_ST_EUlSS_E0_NS1_11comp_targetILNS1_3genE10ELNS1_11target_archE1200ELNS1_3gpuE4ELNS1_3repE0EEENS1_30default_config_static_selectorELNS0_4arch9wavefront6targetE1EEEvT1_ ; -- Begin function _ZN7rocprim17ROCPRIM_400000_NS6detail17trampoline_kernelINS0_14default_configENS1_20scan_config_selectorIyEEZZNS1_9scan_implILNS1_25lookback_scan_determinismE0ELb0ELb0ES3_N6thrust23THRUST_200600_302600_NS6detail15normal_iteratorINS9_10device_ptrIyEEEENS9_16discard_iteratorINS9_11use_defaultEEEyNS9_4plusIvEEyEEDaPvRmT3_T4_T5_mT6_P12ihipStream_tbENKUlT_T0_E_clISt17integral_constantIbLb1EESX_EEDaSS_ST_EUlSS_E0_NS1_11comp_targetILNS1_3genE10ELNS1_11target_archE1200ELNS1_3gpuE4ELNS1_3repE0EEENS1_30default_config_static_selectorELNS0_4arch9wavefront6targetE1EEEvT1_
	.globl	_ZN7rocprim17ROCPRIM_400000_NS6detail17trampoline_kernelINS0_14default_configENS1_20scan_config_selectorIyEEZZNS1_9scan_implILNS1_25lookback_scan_determinismE0ELb0ELb0ES3_N6thrust23THRUST_200600_302600_NS6detail15normal_iteratorINS9_10device_ptrIyEEEENS9_16discard_iteratorINS9_11use_defaultEEEyNS9_4plusIvEEyEEDaPvRmT3_T4_T5_mT6_P12ihipStream_tbENKUlT_T0_E_clISt17integral_constantIbLb1EESX_EEDaSS_ST_EUlSS_E0_NS1_11comp_targetILNS1_3genE10ELNS1_11target_archE1200ELNS1_3gpuE4ELNS1_3repE0EEENS1_30default_config_static_selectorELNS0_4arch9wavefront6targetE1EEEvT1_
	.p2align	8
	.type	_ZN7rocprim17ROCPRIM_400000_NS6detail17trampoline_kernelINS0_14default_configENS1_20scan_config_selectorIyEEZZNS1_9scan_implILNS1_25lookback_scan_determinismE0ELb0ELb0ES3_N6thrust23THRUST_200600_302600_NS6detail15normal_iteratorINS9_10device_ptrIyEEEENS9_16discard_iteratorINS9_11use_defaultEEEyNS9_4plusIvEEyEEDaPvRmT3_T4_T5_mT6_P12ihipStream_tbENKUlT_T0_E_clISt17integral_constantIbLb1EESX_EEDaSS_ST_EUlSS_E0_NS1_11comp_targetILNS1_3genE10ELNS1_11target_archE1200ELNS1_3gpuE4ELNS1_3repE0EEENS1_30default_config_static_selectorELNS0_4arch9wavefront6targetE1EEEvT1_,@function
_ZN7rocprim17ROCPRIM_400000_NS6detail17trampoline_kernelINS0_14default_configENS1_20scan_config_selectorIyEEZZNS1_9scan_implILNS1_25lookback_scan_determinismE0ELb0ELb0ES3_N6thrust23THRUST_200600_302600_NS6detail15normal_iteratorINS9_10device_ptrIyEEEENS9_16discard_iteratorINS9_11use_defaultEEEyNS9_4plusIvEEyEEDaPvRmT3_T4_T5_mT6_P12ihipStream_tbENKUlT_T0_E_clISt17integral_constantIbLb1EESX_EEDaSS_ST_EUlSS_E0_NS1_11comp_targetILNS1_3genE10ELNS1_11target_archE1200ELNS1_3gpuE4ELNS1_3repE0EEENS1_30default_config_static_selectorELNS0_4arch9wavefront6targetE1EEEvT1_: ; @_ZN7rocprim17ROCPRIM_400000_NS6detail17trampoline_kernelINS0_14default_configENS1_20scan_config_selectorIyEEZZNS1_9scan_implILNS1_25lookback_scan_determinismE0ELb0ELb0ES3_N6thrust23THRUST_200600_302600_NS6detail15normal_iteratorINS9_10device_ptrIyEEEENS9_16discard_iteratorINS9_11use_defaultEEEyNS9_4plusIvEEyEEDaPvRmT3_T4_T5_mT6_P12ihipStream_tbENKUlT_T0_E_clISt17integral_constantIbLb1EESX_EEDaSS_ST_EUlSS_E0_NS1_11comp_targetILNS1_3genE10ELNS1_11target_archE1200ELNS1_3gpuE4ELNS1_3repE0EEENS1_30default_config_static_selectorELNS0_4arch9wavefront6targetE1EEEvT1_
; %bb.0:
	.section	.rodata,"a",@progbits
	.p2align	6, 0x0
	.amdhsa_kernel _ZN7rocprim17ROCPRIM_400000_NS6detail17trampoline_kernelINS0_14default_configENS1_20scan_config_selectorIyEEZZNS1_9scan_implILNS1_25lookback_scan_determinismE0ELb0ELb0ES3_N6thrust23THRUST_200600_302600_NS6detail15normal_iteratorINS9_10device_ptrIyEEEENS9_16discard_iteratorINS9_11use_defaultEEEyNS9_4plusIvEEyEEDaPvRmT3_T4_T5_mT6_P12ihipStream_tbENKUlT_T0_E_clISt17integral_constantIbLb1EESX_EEDaSS_ST_EUlSS_E0_NS1_11comp_targetILNS1_3genE10ELNS1_11target_archE1200ELNS1_3gpuE4ELNS1_3repE0EEENS1_30default_config_static_selectorELNS0_4arch9wavefront6targetE1EEEvT1_
		.amdhsa_group_segment_fixed_size 0
		.amdhsa_private_segment_fixed_size 0
		.amdhsa_kernarg_size 48
		.amdhsa_user_sgpr_count 6
		.amdhsa_user_sgpr_private_segment_buffer 1
		.amdhsa_user_sgpr_dispatch_ptr 0
		.amdhsa_user_sgpr_queue_ptr 0
		.amdhsa_user_sgpr_kernarg_segment_ptr 1
		.amdhsa_user_sgpr_dispatch_id 0
		.amdhsa_user_sgpr_flat_scratch_init 0
		.amdhsa_user_sgpr_kernarg_preload_length 0
		.amdhsa_user_sgpr_kernarg_preload_offset 0
		.amdhsa_user_sgpr_private_segment_size 0
		.amdhsa_uses_dynamic_stack 0
		.amdhsa_system_sgpr_private_segment_wavefront_offset 0
		.amdhsa_system_sgpr_workgroup_id_x 1
		.amdhsa_system_sgpr_workgroup_id_y 0
		.amdhsa_system_sgpr_workgroup_id_z 0
		.amdhsa_system_sgpr_workgroup_info 0
		.amdhsa_system_vgpr_workitem_id 0
		.amdhsa_next_free_vgpr 1
		.amdhsa_next_free_sgpr 0
		.amdhsa_accum_offset 4
		.amdhsa_reserve_vcc 0
		.amdhsa_reserve_flat_scratch 0
		.amdhsa_float_round_mode_32 0
		.amdhsa_float_round_mode_16_64 0
		.amdhsa_float_denorm_mode_32 3
		.amdhsa_float_denorm_mode_16_64 3
		.amdhsa_dx10_clamp 1
		.amdhsa_ieee_mode 1
		.amdhsa_fp16_overflow 0
		.amdhsa_tg_split 0
		.amdhsa_exception_fp_ieee_invalid_op 0
		.amdhsa_exception_fp_denorm_src 0
		.amdhsa_exception_fp_ieee_div_zero 0
		.amdhsa_exception_fp_ieee_overflow 0
		.amdhsa_exception_fp_ieee_underflow 0
		.amdhsa_exception_fp_ieee_inexact 0
		.amdhsa_exception_int_div_zero 0
	.end_amdhsa_kernel
	.section	.text._ZN7rocprim17ROCPRIM_400000_NS6detail17trampoline_kernelINS0_14default_configENS1_20scan_config_selectorIyEEZZNS1_9scan_implILNS1_25lookback_scan_determinismE0ELb0ELb0ES3_N6thrust23THRUST_200600_302600_NS6detail15normal_iteratorINS9_10device_ptrIyEEEENS9_16discard_iteratorINS9_11use_defaultEEEyNS9_4plusIvEEyEEDaPvRmT3_T4_T5_mT6_P12ihipStream_tbENKUlT_T0_E_clISt17integral_constantIbLb1EESX_EEDaSS_ST_EUlSS_E0_NS1_11comp_targetILNS1_3genE10ELNS1_11target_archE1200ELNS1_3gpuE4ELNS1_3repE0EEENS1_30default_config_static_selectorELNS0_4arch9wavefront6targetE1EEEvT1_,"axG",@progbits,_ZN7rocprim17ROCPRIM_400000_NS6detail17trampoline_kernelINS0_14default_configENS1_20scan_config_selectorIyEEZZNS1_9scan_implILNS1_25lookback_scan_determinismE0ELb0ELb0ES3_N6thrust23THRUST_200600_302600_NS6detail15normal_iteratorINS9_10device_ptrIyEEEENS9_16discard_iteratorINS9_11use_defaultEEEyNS9_4plusIvEEyEEDaPvRmT3_T4_T5_mT6_P12ihipStream_tbENKUlT_T0_E_clISt17integral_constantIbLb1EESX_EEDaSS_ST_EUlSS_E0_NS1_11comp_targetILNS1_3genE10ELNS1_11target_archE1200ELNS1_3gpuE4ELNS1_3repE0EEENS1_30default_config_static_selectorELNS0_4arch9wavefront6targetE1EEEvT1_,comdat
.Lfunc_end5183:
	.size	_ZN7rocprim17ROCPRIM_400000_NS6detail17trampoline_kernelINS0_14default_configENS1_20scan_config_selectorIyEEZZNS1_9scan_implILNS1_25lookback_scan_determinismE0ELb0ELb0ES3_N6thrust23THRUST_200600_302600_NS6detail15normal_iteratorINS9_10device_ptrIyEEEENS9_16discard_iteratorINS9_11use_defaultEEEyNS9_4plusIvEEyEEDaPvRmT3_T4_T5_mT6_P12ihipStream_tbENKUlT_T0_E_clISt17integral_constantIbLb1EESX_EEDaSS_ST_EUlSS_E0_NS1_11comp_targetILNS1_3genE10ELNS1_11target_archE1200ELNS1_3gpuE4ELNS1_3repE0EEENS1_30default_config_static_selectorELNS0_4arch9wavefront6targetE1EEEvT1_, .Lfunc_end5183-_ZN7rocprim17ROCPRIM_400000_NS6detail17trampoline_kernelINS0_14default_configENS1_20scan_config_selectorIyEEZZNS1_9scan_implILNS1_25lookback_scan_determinismE0ELb0ELb0ES3_N6thrust23THRUST_200600_302600_NS6detail15normal_iteratorINS9_10device_ptrIyEEEENS9_16discard_iteratorINS9_11use_defaultEEEyNS9_4plusIvEEyEEDaPvRmT3_T4_T5_mT6_P12ihipStream_tbENKUlT_T0_E_clISt17integral_constantIbLb1EESX_EEDaSS_ST_EUlSS_E0_NS1_11comp_targetILNS1_3genE10ELNS1_11target_archE1200ELNS1_3gpuE4ELNS1_3repE0EEENS1_30default_config_static_selectorELNS0_4arch9wavefront6targetE1EEEvT1_
                                        ; -- End function
	.section	.AMDGPU.csdata,"",@progbits
; Kernel info:
; codeLenInByte = 0
; NumSgprs: 4
; NumVgprs: 0
; NumAgprs: 0
; TotalNumVgprs: 0
; ScratchSize: 0
; MemoryBound: 0
; FloatMode: 240
; IeeeMode: 1
; LDSByteSize: 0 bytes/workgroup (compile time only)
; SGPRBlocks: 0
; VGPRBlocks: 0
; NumSGPRsForWavesPerEU: 4
; NumVGPRsForWavesPerEU: 1
; AccumOffset: 4
; Occupancy: 8
; WaveLimiterHint : 0
; COMPUTE_PGM_RSRC2:SCRATCH_EN: 0
; COMPUTE_PGM_RSRC2:USER_SGPR: 6
; COMPUTE_PGM_RSRC2:TRAP_HANDLER: 0
; COMPUTE_PGM_RSRC2:TGID_X_EN: 1
; COMPUTE_PGM_RSRC2:TGID_Y_EN: 0
; COMPUTE_PGM_RSRC2:TGID_Z_EN: 0
; COMPUTE_PGM_RSRC2:TIDIG_COMP_CNT: 0
; COMPUTE_PGM_RSRC3_GFX90A:ACCUM_OFFSET: 0
; COMPUTE_PGM_RSRC3_GFX90A:TG_SPLIT: 0
	.section	.text._ZN7rocprim17ROCPRIM_400000_NS6detail17trampoline_kernelINS0_14default_configENS1_20scan_config_selectorIyEEZZNS1_9scan_implILNS1_25lookback_scan_determinismE0ELb0ELb0ES3_N6thrust23THRUST_200600_302600_NS6detail15normal_iteratorINS9_10device_ptrIyEEEENS9_16discard_iteratorINS9_11use_defaultEEEyNS9_4plusIvEEyEEDaPvRmT3_T4_T5_mT6_P12ihipStream_tbENKUlT_T0_E_clISt17integral_constantIbLb1EESX_EEDaSS_ST_EUlSS_E0_NS1_11comp_targetILNS1_3genE9ELNS1_11target_archE1100ELNS1_3gpuE3ELNS1_3repE0EEENS1_30default_config_static_selectorELNS0_4arch9wavefront6targetE1EEEvT1_,"axG",@progbits,_ZN7rocprim17ROCPRIM_400000_NS6detail17trampoline_kernelINS0_14default_configENS1_20scan_config_selectorIyEEZZNS1_9scan_implILNS1_25lookback_scan_determinismE0ELb0ELb0ES3_N6thrust23THRUST_200600_302600_NS6detail15normal_iteratorINS9_10device_ptrIyEEEENS9_16discard_iteratorINS9_11use_defaultEEEyNS9_4plusIvEEyEEDaPvRmT3_T4_T5_mT6_P12ihipStream_tbENKUlT_T0_E_clISt17integral_constantIbLb1EESX_EEDaSS_ST_EUlSS_E0_NS1_11comp_targetILNS1_3genE9ELNS1_11target_archE1100ELNS1_3gpuE3ELNS1_3repE0EEENS1_30default_config_static_selectorELNS0_4arch9wavefront6targetE1EEEvT1_,comdat
	.protected	_ZN7rocprim17ROCPRIM_400000_NS6detail17trampoline_kernelINS0_14default_configENS1_20scan_config_selectorIyEEZZNS1_9scan_implILNS1_25lookback_scan_determinismE0ELb0ELb0ES3_N6thrust23THRUST_200600_302600_NS6detail15normal_iteratorINS9_10device_ptrIyEEEENS9_16discard_iteratorINS9_11use_defaultEEEyNS9_4plusIvEEyEEDaPvRmT3_T4_T5_mT6_P12ihipStream_tbENKUlT_T0_E_clISt17integral_constantIbLb1EESX_EEDaSS_ST_EUlSS_E0_NS1_11comp_targetILNS1_3genE9ELNS1_11target_archE1100ELNS1_3gpuE3ELNS1_3repE0EEENS1_30default_config_static_selectorELNS0_4arch9wavefront6targetE1EEEvT1_ ; -- Begin function _ZN7rocprim17ROCPRIM_400000_NS6detail17trampoline_kernelINS0_14default_configENS1_20scan_config_selectorIyEEZZNS1_9scan_implILNS1_25lookback_scan_determinismE0ELb0ELb0ES3_N6thrust23THRUST_200600_302600_NS6detail15normal_iteratorINS9_10device_ptrIyEEEENS9_16discard_iteratorINS9_11use_defaultEEEyNS9_4plusIvEEyEEDaPvRmT3_T4_T5_mT6_P12ihipStream_tbENKUlT_T0_E_clISt17integral_constantIbLb1EESX_EEDaSS_ST_EUlSS_E0_NS1_11comp_targetILNS1_3genE9ELNS1_11target_archE1100ELNS1_3gpuE3ELNS1_3repE0EEENS1_30default_config_static_selectorELNS0_4arch9wavefront6targetE1EEEvT1_
	.globl	_ZN7rocprim17ROCPRIM_400000_NS6detail17trampoline_kernelINS0_14default_configENS1_20scan_config_selectorIyEEZZNS1_9scan_implILNS1_25lookback_scan_determinismE0ELb0ELb0ES3_N6thrust23THRUST_200600_302600_NS6detail15normal_iteratorINS9_10device_ptrIyEEEENS9_16discard_iteratorINS9_11use_defaultEEEyNS9_4plusIvEEyEEDaPvRmT3_T4_T5_mT6_P12ihipStream_tbENKUlT_T0_E_clISt17integral_constantIbLb1EESX_EEDaSS_ST_EUlSS_E0_NS1_11comp_targetILNS1_3genE9ELNS1_11target_archE1100ELNS1_3gpuE3ELNS1_3repE0EEENS1_30default_config_static_selectorELNS0_4arch9wavefront6targetE1EEEvT1_
	.p2align	8
	.type	_ZN7rocprim17ROCPRIM_400000_NS6detail17trampoline_kernelINS0_14default_configENS1_20scan_config_selectorIyEEZZNS1_9scan_implILNS1_25lookback_scan_determinismE0ELb0ELb0ES3_N6thrust23THRUST_200600_302600_NS6detail15normal_iteratorINS9_10device_ptrIyEEEENS9_16discard_iteratorINS9_11use_defaultEEEyNS9_4plusIvEEyEEDaPvRmT3_T4_T5_mT6_P12ihipStream_tbENKUlT_T0_E_clISt17integral_constantIbLb1EESX_EEDaSS_ST_EUlSS_E0_NS1_11comp_targetILNS1_3genE9ELNS1_11target_archE1100ELNS1_3gpuE3ELNS1_3repE0EEENS1_30default_config_static_selectorELNS0_4arch9wavefront6targetE1EEEvT1_,@function
_ZN7rocprim17ROCPRIM_400000_NS6detail17trampoline_kernelINS0_14default_configENS1_20scan_config_selectorIyEEZZNS1_9scan_implILNS1_25lookback_scan_determinismE0ELb0ELb0ES3_N6thrust23THRUST_200600_302600_NS6detail15normal_iteratorINS9_10device_ptrIyEEEENS9_16discard_iteratorINS9_11use_defaultEEEyNS9_4plusIvEEyEEDaPvRmT3_T4_T5_mT6_P12ihipStream_tbENKUlT_T0_E_clISt17integral_constantIbLb1EESX_EEDaSS_ST_EUlSS_E0_NS1_11comp_targetILNS1_3genE9ELNS1_11target_archE1100ELNS1_3gpuE3ELNS1_3repE0EEENS1_30default_config_static_selectorELNS0_4arch9wavefront6targetE1EEEvT1_: ; @_ZN7rocprim17ROCPRIM_400000_NS6detail17trampoline_kernelINS0_14default_configENS1_20scan_config_selectorIyEEZZNS1_9scan_implILNS1_25lookback_scan_determinismE0ELb0ELb0ES3_N6thrust23THRUST_200600_302600_NS6detail15normal_iteratorINS9_10device_ptrIyEEEENS9_16discard_iteratorINS9_11use_defaultEEEyNS9_4plusIvEEyEEDaPvRmT3_T4_T5_mT6_P12ihipStream_tbENKUlT_T0_E_clISt17integral_constantIbLb1EESX_EEDaSS_ST_EUlSS_E0_NS1_11comp_targetILNS1_3genE9ELNS1_11target_archE1100ELNS1_3gpuE3ELNS1_3repE0EEENS1_30default_config_static_selectorELNS0_4arch9wavefront6targetE1EEEvT1_
; %bb.0:
	.section	.rodata,"a",@progbits
	.p2align	6, 0x0
	.amdhsa_kernel _ZN7rocprim17ROCPRIM_400000_NS6detail17trampoline_kernelINS0_14default_configENS1_20scan_config_selectorIyEEZZNS1_9scan_implILNS1_25lookback_scan_determinismE0ELb0ELb0ES3_N6thrust23THRUST_200600_302600_NS6detail15normal_iteratorINS9_10device_ptrIyEEEENS9_16discard_iteratorINS9_11use_defaultEEEyNS9_4plusIvEEyEEDaPvRmT3_T4_T5_mT6_P12ihipStream_tbENKUlT_T0_E_clISt17integral_constantIbLb1EESX_EEDaSS_ST_EUlSS_E0_NS1_11comp_targetILNS1_3genE9ELNS1_11target_archE1100ELNS1_3gpuE3ELNS1_3repE0EEENS1_30default_config_static_selectorELNS0_4arch9wavefront6targetE1EEEvT1_
		.amdhsa_group_segment_fixed_size 0
		.amdhsa_private_segment_fixed_size 0
		.amdhsa_kernarg_size 48
		.amdhsa_user_sgpr_count 6
		.amdhsa_user_sgpr_private_segment_buffer 1
		.amdhsa_user_sgpr_dispatch_ptr 0
		.amdhsa_user_sgpr_queue_ptr 0
		.amdhsa_user_sgpr_kernarg_segment_ptr 1
		.amdhsa_user_sgpr_dispatch_id 0
		.amdhsa_user_sgpr_flat_scratch_init 0
		.amdhsa_user_sgpr_kernarg_preload_length 0
		.amdhsa_user_sgpr_kernarg_preload_offset 0
		.amdhsa_user_sgpr_private_segment_size 0
		.amdhsa_uses_dynamic_stack 0
		.amdhsa_system_sgpr_private_segment_wavefront_offset 0
		.amdhsa_system_sgpr_workgroup_id_x 1
		.amdhsa_system_sgpr_workgroup_id_y 0
		.amdhsa_system_sgpr_workgroup_id_z 0
		.amdhsa_system_sgpr_workgroup_info 0
		.amdhsa_system_vgpr_workitem_id 0
		.amdhsa_next_free_vgpr 1
		.amdhsa_next_free_sgpr 0
		.amdhsa_accum_offset 4
		.amdhsa_reserve_vcc 0
		.amdhsa_reserve_flat_scratch 0
		.amdhsa_float_round_mode_32 0
		.amdhsa_float_round_mode_16_64 0
		.amdhsa_float_denorm_mode_32 3
		.amdhsa_float_denorm_mode_16_64 3
		.amdhsa_dx10_clamp 1
		.amdhsa_ieee_mode 1
		.amdhsa_fp16_overflow 0
		.amdhsa_tg_split 0
		.amdhsa_exception_fp_ieee_invalid_op 0
		.amdhsa_exception_fp_denorm_src 0
		.amdhsa_exception_fp_ieee_div_zero 0
		.amdhsa_exception_fp_ieee_overflow 0
		.amdhsa_exception_fp_ieee_underflow 0
		.amdhsa_exception_fp_ieee_inexact 0
		.amdhsa_exception_int_div_zero 0
	.end_amdhsa_kernel
	.section	.text._ZN7rocprim17ROCPRIM_400000_NS6detail17trampoline_kernelINS0_14default_configENS1_20scan_config_selectorIyEEZZNS1_9scan_implILNS1_25lookback_scan_determinismE0ELb0ELb0ES3_N6thrust23THRUST_200600_302600_NS6detail15normal_iteratorINS9_10device_ptrIyEEEENS9_16discard_iteratorINS9_11use_defaultEEEyNS9_4plusIvEEyEEDaPvRmT3_T4_T5_mT6_P12ihipStream_tbENKUlT_T0_E_clISt17integral_constantIbLb1EESX_EEDaSS_ST_EUlSS_E0_NS1_11comp_targetILNS1_3genE9ELNS1_11target_archE1100ELNS1_3gpuE3ELNS1_3repE0EEENS1_30default_config_static_selectorELNS0_4arch9wavefront6targetE1EEEvT1_,"axG",@progbits,_ZN7rocprim17ROCPRIM_400000_NS6detail17trampoline_kernelINS0_14default_configENS1_20scan_config_selectorIyEEZZNS1_9scan_implILNS1_25lookback_scan_determinismE0ELb0ELb0ES3_N6thrust23THRUST_200600_302600_NS6detail15normal_iteratorINS9_10device_ptrIyEEEENS9_16discard_iteratorINS9_11use_defaultEEEyNS9_4plusIvEEyEEDaPvRmT3_T4_T5_mT6_P12ihipStream_tbENKUlT_T0_E_clISt17integral_constantIbLb1EESX_EEDaSS_ST_EUlSS_E0_NS1_11comp_targetILNS1_3genE9ELNS1_11target_archE1100ELNS1_3gpuE3ELNS1_3repE0EEENS1_30default_config_static_selectorELNS0_4arch9wavefront6targetE1EEEvT1_,comdat
.Lfunc_end5184:
	.size	_ZN7rocprim17ROCPRIM_400000_NS6detail17trampoline_kernelINS0_14default_configENS1_20scan_config_selectorIyEEZZNS1_9scan_implILNS1_25lookback_scan_determinismE0ELb0ELb0ES3_N6thrust23THRUST_200600_302600_NS6detail15normal_iteratorINS9_10device_ptrIyEEEENS9_16discard_iteratorINS9_11use_defaultEEEyNS9_4plusIvEEyEEDaPvRmT3_T4_T5_mT6_P12ihipStream_tbENKUlT_T0_E_clISt17integral_constantIbLb1EESX_EEDaSS_ST_EUlSS_E0_NS1_11comp_targetILNS1_3genE9ELNS1_11target_archE1100ELNS1_3gpuE3ELNS1_3repE0EEENS1_30default_config_static_selectorELNS0_4arch9wavefront6targetE1EEEvT1_, .Lfunc_end5184-_ZN7rocprim17ROCPRIM_400000_NS6detail17trampoline_kernelINS0_14default_configENS1_20scan_config_selectorIyEEZZNS1_9scan_implILNS1_25lookback_scan_determinismE0ELb0ELb0ES3_N6thrust23THRUST_200600_302600_NS6detail15normal_iteratorINS9_10device_ptrIyEEEENS9_16discard_iteratorINS9_11use_defaultEEEyNS9_4plusIvEEyEEDaPvRmT3_T4_T5_mT6_P12ihipStream_tbENKUlT_T0_E_clISt17integral_constantIbLb1EESX_EEDaSS_ST_EUlSS_E0_NS1_11comp_targetILNS1_3genE9ELNS1_11target_archE1100ELNS1_3gpuE3ELNS1_3repE0EEENS1_30default_config_static_selectorELNS0_4arch9wavefront6targetE1EEEvT1_
                                        ; -- End function
	.section	.AMDGPU.csdata,"",@progbits
; Kernel info:
; codeLenInByte = 0
; NumSgprs: 4
; NumVgprs: 0
; NumAgprs: 0
; TotalNumVgprs: 0
; ScratchSize: 0
; MemoryBound: 0
; FloatMode: 240
; IeeeMode: 1
; LDSByteSize: 0 bytes/workgroup (compile time only)
; SGPRBlocks: 0
; VGPRBlocks: 0
; NumSGPRsForWavesPerEU: 4
; NumVGPRsForWavesPerEU: 1
; AccumOffset: 4
; Occupancy: 8
; WaveLimiterHint : 0
; COMPUTE_PGM_RSRC2:SCRATCH_EN: 0
; COMPUTE_PGM_RSRC2:USER_SGPR: 6
; COMPUTE_PGM_RSRC2:TRAP_HANDLER: 0
; COMPUTE_PGM_RSRC2:TGID_X_EN: 1
; COMPUTE_PGM_RSRC2:TGID_Y_EN: 0
; COMPUTE_PGM_RSRC2:TGID_Z_EN: 0
; COMPUTE_PGM_RSRC2:TIDIG_COMP_CNT: 0
; COMPUTE_PGM_RSRC3_GFX90A:ACCUM_OFFSET: 0
; COMPUTE_PGM_RSRC3_GFX90A:TG_SPLIT: 0
	.section	.text._ZN7rocprim17ROCPRIM_400000_NS6detail17trampoline_kernelINS0_14default_configENS1_20scan_config_selectorIyEEZZNS1_9scan_implILNS1_25lookback_scan_determinismE0ELb0ELb0ES3_N6thrust23THRUST_200600_302600_NS6detail15normal_iteratorINS9_10device_ptrIyEEEENS9_16discard_iteratorINS9_11use_defaultEEEyNS9_4plusIvEEyEEDaPvRmT3_T4_T5_mT6_P12ihipStream_tbENKUlT_T0_E_clISt17integral_constantIbLb1EESX_EEDaSS_ST_EUlSS_E0_NS1_11comp_targetILNS1_3genE8ELNS1_11target_archE1030ELNS1_3gpuE2ELNS1_3repE0EEENS1_30default_config_static_selectorELNS0_4arch9wavefront6targetE1EEEvT1_,"axG",@progbits,_ZN7rocprim17ROCPRIM_400000_NS6detail17trampoline_kernelINS0_14default_configENS1_20scan_config_selectorIyEEZZNS1_9scan_implILNS1_25lookback_scan_determinismE0ELb0ELb0ES3_N6thrust23THRUST_200600_302600_NS6detail15normal_iteratorINS9_10device_ptrIyEEEENS9_16discard_iteratorINS9_11use_defaultEEEyNS9_4plusIvEEyEEDaPvRmT3_T4_T5_mT6_P12ihipStream_tbENKUlT_T0_E_clISt17integral_constantIbLb1EESX_EEDaSS_ST_EUlSS_E0_NS1_11comp_targetILNS1_3genE8ELNS1_11target_archE1030ELNS1_3gpuE2ELNS1_3repE0EEENS1_30default_config_static_selectorELNS0_4arch9wavefront6targetE1EEEvT1_,comdat
	.protected	_ZN7rocprim17ROCPRIM_400000_NS6detail17trampoline_kernelINS0_14default_configENS1_20scan_config_selectorIyEEZZNS1_9scan_implILNS1_25lookback_scan_determinismE0ELb0ELb0ES3_N6thrust23THRUST_200600_302600_NS6detail15normal_iteratorINS9_10device_ptrIyEEEENS9_16discard_iteratorINS9_11use_defaultEEEyNS9_4plusIvEEyEEDaPvRmT3_T4_T5_mT6_P12ihipStream_tbENKUlT_T0_E_clISt17integral_constantIbLb1EESX_EEDaSS_ST_EUlSS_E0_NS1_11comp_targetILNS1_3genE8ELNS1_11target_archE1030ELNS1_3gpuE2ELNS1_3repE0EEENS1_30default_config_static_selectorELNS0_4arch9wavefront6targetE1EEEvT1_ ; -- Begin function _ZN7rocprim17ROCPRIM_400000_NS6detail17trampoline_kernelINS0_14default_configENS1_20scan_config_selectorIyEEZZNS1_9scan_implILNS1_25lookback_scan_determinismE0ELb0ELb0ES3_N6thrust23THRUST_200600_302600_NS6detail15normal_iteratorINS9_10device_ptrIyEEEENS9_16discard_iteratorINS9_11use_defaultEEEyNS9_4plusIvEEyEEDaPvRmT3_T4_T5_mT6_P12ihipStream_tbENKUlT_T0_E_clISt17integral_constantIbLb1EESX_EEDaSS_ST_EUlSS_E0_NS1_11comp_targetILNS1_3genE8ELNS1_11target_archE1030ELNS1_3gpuE2ELNS1_3repE0EEENS1_30default_config_static_selectorELNS0_4arch9wavefront6targetE1EEEvT1_
	.globl	_ZN7rocprim17ROCPRIM_400000_NS6detail17trampoline_kernelINS0_14default_configENS1_20scan_config_selectorIyEEZZNS1_9scan_implILNS1_25lookback_scan_determinismE0ELb0ELb0ES3_N6thrust23THRUST_200600_302600_NS6detail15normal_iteratorINS9_10device_ptrIyEEEENS9_16discard_iteratorINS9_11use_defaultEEEyNS9_4plusIvEEyEEDaPvRmT3_T4_T5_mT6_P12ihipStream_tbENKUlT_T0_E_clISt17integral_constantIbLb1EESX_EEDaSS_ST_EUlSS_E0_NS1_11comp_targetILNS1_3genE8ELNS1_11target_archE1030ELNS1_3gpuE2ELNS1_3repE0EEENS1_30default_config_static_selectorELNS0_4arch9wavefront6targetE1EEEvT1_
	.p2align	8
	.type	_ZN7rocprim17ROCPRIM_400000_NS6detail17trampoline_kernelINS0_14default_configENS1_20scan_config_selectorIyEEZZNS1_9scan_implILNS1_25lookback_scan_determinismE0ELb0ELb0ES3_N6thrust23THRUST_200600_302600_NS6detail15normal_iteratorINS9_10device_ptrIyEEEENS9_16discard_iteratorINS9_11use_defaultEEEyNS9_4plusIvEEyEEDaPvRmT3_T4_T5_mT6_P12ihipStream_tbENKUlT_T0_E_clISt17integral_constantIbLb1EESX_EEDaSS_ST_EUlSS_E0_NS1_11comp_targetILNS1_3genE8ELNS1_11target_archE1030ELNS1_3gpuE2ELNS1_3repE0EEENS1_30default_config_static_selectorELNS0_4arch9wavefront6targetE1EEEvT1_,@function
_ZN7rocprim17ROCPRIM_400000_NS6detail17trampoline_kernelINS0_14default_configENS1_20scan_config_selectorIyEEZZNS1_9scan_implILNS1_25lookback_scan_determinismE0ELb0ELb0ES3_N6thrust23THRUST_200600_302600_NS6detail15normal_iteratorINS9_10device_ptrIyEEEENS9_16discard_iteratorINS9_11use_defaultEEEyNS9_4plusIvEEyEEDaPvRmT3_T4_T5_mT6_P12ihipStream_tbENKUlT_T0_E_clISt17integral_constantIbLb1EESX_EEDaSS_ST_EUlSS_E0_NS1_11comp_targetILNS1_3genE8ELNS1_11target_archE1030ELNS1_3gpuE2ELNS1_3repE0EEENS1_30default_config_static_selectorELNS0_4arch9wavefront6targetE1EEEvT1_: ; @_ZN7rocprim17ROCPRIM_400000_NS6detail17trampoline_kernelINS0_14default_configENS1_20scan_config_selectorIyEEZZNS1_9scan_implILNS1_25lookback_scan_determinismE0ELb0ELb0ES3_N6thrust23THRUST_200600_302600_NS6detail15normal_iteratorINS9_10device_ptrIyEEEENS9_16discard_iteratorINS9_11use_defaultEEEyNS9_4plusIvEEyEEDaPvRmT3_T4_T5_mT6_P12ihipStream_tbENKUlT_T0_E_clISt17integral_constantIbLb1EESX_EEDaSS_ST_EUlSS_E0_NS1_11comp_targetILNS1_3genE8ELNS1_11target_archE1030ELNS1_3gpuE2ELNS1_3repE0EEENS1_30default_config_static_selectorELNS0_4arch9wavefront6targetE1EEEvT1_
; %bb.0:
	.section	.rodata,"a",@progbits
	.p2align	6, 0x0
	.amdhsa_kernel _ZN7rocprim17ROCPRIM_400000_NS6detail17trampoline_kernelINS0_14default_configENS1_20scan_config_selectorIyEEZZNS1_9scan_implILNS1_25lookback_scan_determinismE0ELb0ELb0ES3_N6thrust23THRUST_200600_302600_NS6detail15normal_iteratorINS9_10device_ptrIyEEEENS9_16discard_iteratorINS9_11use_defaultEEEyNS9_4plusIvEEyEEDaPvRmT3_T4_T5_mT6_P12ihipStream_tbENKUlT_T0_E_clISt17integral_constantIbLb1EESX_EEDaSS_ST_EUlSS_E0_NS1_11comp_targetILNS1_3genE8ELNS1_11target_archE1030ELNS1_3gpuE2ELNS1_3repE0EEENS1_30default_config_static_selectorELNS0_4arch9wavefront6targetE1EEEvT1_
		.amdhsa_group_segment_fixed_size 0
		.amdhsa_private_segment_fixed_size 0
		.amdhsa_kernarg_size 48
		.amdhsa_user_sgpr_count 6
		.amdhsa_user_sgpr_private_segment_buffer 1
		.amdhsa_user_sgpr_dispatch_ptr 0
		.amdhsa_user_sgpr_queue_ptr 0
		.amdhsa_user_sgpr_kernarg_segment_ptr 1
		.amdhsa_user_sgpr_dispatch_id 0
		.amdhsa_user_sgpr_flat_scratch_init 0
		.amdhsa_user_sgpr_kernarg_preload_length 0
		.amdhsa_user_sgpr_kernarg_preload_offset 0
		.amdhsa_user_sgpr_private_segment_size 0
		.amdhsa_uses_dynamic_stack 0
		.amdhsa_system_sgpr_private_segment_wavefront_offset 0
		.amdhsa_system_sgpr_workgroup_id_x 1
		.amdhsa_system_sgpr_workgroup_id_y 0
		.amdhsa_system_sgpr_workgroup_id_z 0
		.amdhsa_system_sgpr_workgroup_info 0
		.amdhsa_system_vgpr_workitem_id 0
		.amdhsa_next_free_vgpr 1
		.amdhsa_next_free_sgpr 0
		.amdhsa_accum_offset 4
		.amdhsa_reserve_vcc 0
		.amdhsa_reserve_flat_scratch 0
		.amdhsa_float_round_mode_32 0
		.amdhsa_float_round_mode_16_64 0
		.amdhsa_float_denorm_mode_32 3
		.amdhsa_float_denorm_mode_16_64 3
		.amdhsa_dx10_clamp 1
		.amdhsa_ieee_mode 1
		.amdhsa_fp16_overflow 0
		.amdhsa_tg_split 0
		.amdhsa_exception_fp_ieee_invalid_op 0
		.amdhsa_exception_fp_denorm_src 0
		.amdhsa_exception_fp_ieee_div_zero 0
		.amdhsa_exception_fp_ieee_overflow 0
		.amdhsa_exception_fp_ieee_underflow 0
		.amdhsa_exception_fp_ieee_inexact 0
		.amdhsa_exception_int_div_zero 0
	.end_amdhsa_kernel
	.section	.text._ZN7rocprim17ROCPRIM_400000_NS6detail17trampoline_kernelINS0_14default_configENS1_20scan_config_selectorIyEEZZNS1_9scan_implILNS1_25lookback_scan_determinismE0ELb0ELb0ES3_N6thrust23THRUST_200600_302600_NS6detail15normal_iteratorINS9_10device_ptrIyEEEENS9_16discard_iteratorINS9_11use_defaultEEEyNS9_4plusIvEEyEEDaPvRmT3_T4_T5_mT6_P12ihipStream_tbENKUlT_T0_E_clISt17integral_constantIbLb1EESX_EEDaSS_ST_EUlSS_E0_NS1_11comp_targetILNS1_3genE8ELNS1_11target_archE1030ELNS1_3gpuE2ELNS1_3repE0EEENS1_30default_config_static_selectorELNS0_4arch9wavefront6targetE1EEEvT1_,"axG",@progbits,_ZN7rocprim17ROCPRIM_400000_NS6detail17trampoline_kernelINS0_14default_configENS1_20scan_config_selectorIyEEZZNS1_9scan_implILNS1_25lookback_scan_determinismE0ELb0ELb0ES3_N6thrust23THRUST_200600_302600_NS6detail15normal_iteratorINS9_10device_ptrIyEEEENS9_16discard_iteratorINS9_11use_defaultEEEyNS9_4plusIvEEyEEDaPvRmT3_T4_T5_mT6_P12ihipStream_tbENKUlT_T0_E_clISt17integral_constantIbLb1EESX_EEDaSS_ST_EUlSS_E0_NS1_11comp_targetILNS1_3genE8ELNS1_11target_archE1030ELNS1_3gpuE2ELNS1_3repE0EEENS1_30default_config_static_selectorELNS0_4arch9wavefront6targetE1EEEvT1_,comdat
.Lfunc_end5185:
	.size	_ZN7rocprim17ROCPRIM_400000_NS6detail17trampoline_kernelINS0_14default_configENS1_20scan_config_selectorIyEEZZNS1_9scan_implILNS1_25lookback_scan_determinismE0ELb0ELb0ES3_N6thrust23THRUST_200600_302600_NS6detail15normal_iteratorINS9_10device_ptrIyEEEENS9_16discard_iteratorINS9_11use_defaultEEEyNS9_4plusIvEEyEEDaPvRmT3_T4_T5_mT6_P12ihipStream_tbENKUlT_T0_E_clISt17integral_constantIbLb1EESX_EEDaSS_ST_EUlSS_E0_NS1_11comp_targetILNS1_3genE8ELNS1_11target_archE1030ELNS1_3gpuE2ELNS1_3repE0EEENS1_30default_config_static_selectorELNS0_4arch9wavefront6targetE1EEEvT1_, .Lfunc_end5185-_ZN7rocprim17ROCPRIM_400000_NS6detail17trampoline_kernelINS0_14default_configENS1_20scan_config_selectorIyEEZZNS1_9scan_implILNS1_25lookback_scan_determinismE0ELb0ELb0ES3_N6thrust23THRUST_200600_302600_NS6detail15normal_iteratorINS9_10device_ptrIyEEEENS9_16discard_iteratorINS9_11use_defaultEEEyNS9_4plusIvEEyEEDaPvRmT3_T4_T5_mT6_P12ihipStream_tbENKUlT_T0_E_clISt17integral_constantIbLb1EESX_EEDaSS_ST_EUlSS_E0_NS1_11comp_targetILNS1_3genE8ELNS1_11target_archE1030ELNS1_3gpuE2ELNS1_3repE0EEENS1_30default_config_static_selectorELNS0_4arch9wavefront6targetE1EEEvT1_
                                        ; -- End function
	.section	.AMDGPU.csdata,"",@progbits
; Kernel info:
; codeLenInByte = 0
; NumSgprs: 4
; NumVgprs: 0
; NumAgprs: 0
; TotalNumVgprs: 0
; ScratchSize: 0
; MemoryBound: 0
; FloatMode: 240
; IeeeMode: 1
; LDSByteSize: 0 bytes/workgroup (compile time only)
; SGPRBlocks: 0
; VGPRBlocks: 0
; NumSGPRsForWavesPerEU: 4
; NumVGPRsForWavesPerEU: 1
; AccumOffset: 4
; Occupancy: 8
; WaveLimiterHint : 0
; COMPUTE_PGM_RSRC2:SCRATCH_EN: 0
; COMPUTE_PGM_RSRC2:USER_SGPR: 6
; COMPUTE_PGM_RSRC2:TRAP_HANDLER: 0
; COMPUTE_PGM_RSRC2:TGID_X_EN: 1
; COMPUTE_PGM_RSRC2:TGID_Y_EN: 0
; COMPUTE_PGM_RSRC2:TGID_Z_EN: 0
; COMPUTE_PGM_RSRC2:TIDIG_COMP_CNT: 0
; COMPUTE_PGM_RSRC3_GFX90A:ACCUM_OFFSET: 0
; COMPUTE_PGM_RSRC3_GFX90A:TG_SPLIT: 0
	.section	.text._ZN7rocprim17ROCPRIM_400000_NS6detail17trampoline_kernelINS0_14default_configENS1_20scan_config_selectorIyEEZZNS1_9scan_implILNS1_25lookback_scan_determinismE0ELb0ELb0ES3_N6thrust23THRUST_200600_302600_NS6detail15normal_iteratorINS9_10device_ptrIyEEEENS9_16discard_iteratorINS9_11use_defaultEEEyNS9_4plusIvEEyEEDaPvRmT3_T4_T5_mT6_P12ihipStream_tbENKUlT_T0_E_clISt17integral_constantIbLb1EESW_IbLb0EEEEDaSS_ST_EUlSS_E_NS1_11comp_targetILNS1_3genE0ELNS1_11target_archE4294967295ELNS1_3gpuE0ELNS1_3repE0EEENS1_30default_config_static_selectorELNS0_4arch9wavefront6targetE1EEEvT1_,"axG",@progbits,_ZN7rocprim17ROCPRIM_400000_NS6detail17trampoline_kernelINS0_14default_configENS1_20scan_config_selectorIyEEZZNS1_9scan_implILNS1_25lookback_scan_determinismE0ELb0ELb0ES3_N6thrust23THRUST_200600_302600_NS6detail15normal_iteratorINS9_10device_ptrIyEEEENS9_16discard_iteratorINS9_11use_defaultEEEyNS9_4plusIvEEyEEDaPvRmT3_T4_T5_mT6_P12ihipStream_tbENKUlT_T0_E_clISt17integral_constantIbLb1EESW_IbLb0EEEEDaSS_ST_EUlSS_E_NS1_11comp_targetILNS1_3genE0ELNS1_11target_archE4294967295ELNS1_3gpuE0ELNS1_3repE0EEENS1_30default_config_static_selectorELNS0_4arch9wavefront6targetE1EEEvT1_,comdat
	.protected	_ZN7rocprim17ROCPRIM_400000_NS6detail17trampoline_kernelINS0_14default_configENS1_20scan_config_selectorIyEEZZNS1_9scan_implILNS1_25lookback_scan_determinismE0ELb0ELb0ES3_N6thrust23THRUST_200600_302600_NS6detail15normal_iteratorINS9_10device_ptrIyEEEENS9_16discard_iteratorINS9_11use_defaultEEEyNS9_4plusIvEEyEEDaPvRmT3_T4_T5_mT6_P12ihipStream_tbENKUlT_T0_E_clISt17integral_constantIbLb1EESW_IbLb0EEEEDaSS_ST_EUlSS_E_NS1_11comp_targetILNS1_3genE0ELNS1_11target_archE4294967295ELNS1_3gpuE0ELNS1_3repE0EEENS1_30default_config_static_selectorELNS0_4arch9wavefront6targetE1EEEvT1_ ; -- Begin function _ZN7rocprim17ROCPRIM_400000_NS6detail17trampoline_kernelINS0_14default_configENS1_20scan_config_selectorIyEEZZNS1_9scan_implILNS1_25lookback_scan_determinismE0ELb0ELb0ES3_N6thrust23THRUST_200600_302600_NS6detail15normal_iteratorINS9_10device_ptrIyEEEENS9_16discard_iteratorINS9_11use_defaultEEEyNS9_4plusIvEEyEEDaPvRmT3_T4_T5_mT6_P12ihipStream_tbENKUlT_T0_E_clISt17integral_constantIbLb1EESW_IbLb0EEEEDaSS_ST_EUlSS_E_NS1_11comp_targetILNS1_3genE0ELNS1_11target_archE4294967295ELNS1_3gpuE0ELNS1_3repE0EEENS1_30default_config_static_selectorELNS0_4arch9wavefront6targetE1EEEvT1_
	.globl	_ZN7rocprim17ROCPRIM_400000_NS6detail17trampoline_kernelINS0_14default_configENS1_20scan_config_selectorIyEEZZNS1_9scan_implILNS1_25lookback_scan_determinismE0ELb0ELb0ES3_N6thrust23THRUST_200600_302600_NS6detail15normal_iteratorINS9_10device_ptrIyEEEENS9_16discard_iteratorINS9_11use_defaultEEEyNS9_4plusIvEEyEEDaPvRmT3_T4_T5_mT6_P12ihipStream_tbENKUlT_T0_E_clISt17integral_constantIbLb1EESW_IbLb0EEEEDaSS_ST_EUlSS_E_NS1_11comp_targetILNS1_3genE0ELNS1_11target_archE4294967295ELNS1_3gpuE0ELNS1_3repE0EEENS1_30default_config_static_selectorELNS0_4arch9wavefront6targetE1EEEvT1_
	.p2align	8
	.type	_ZN7rocprim17ROCPRIM_400000_NS6detail17trampoline_kernelINS0_14default_configENS1_20scan_config_selectorIyEEZZNS1_9scan_implILNS1_25lookback_scan_determinismE0ELb0ELb0ES3_N6thrust23THRUST_200600_302600_NS6detail15normal_iteratorINS9_10device_ptrIyEEEENS9_16discard_iteratorINS9_11use_defaultEEEyNS9_4plusIvEEyEEDaPvRmT3_T4_T5_mT6_P12ihipStream_tbENKUlT_T0_E_clISt17integral_constantIbLb1EESW_IbLb0EEEEDaSS_ST_EUlSS_E_NS1_11comp_targetILNS1_3genE0ELNS1_11target_archE4294967295ELNS1_3gpuE0ELNS1_3repE0EEENS1_30default_config_static_selectorELNS0_4arch9wavefront6targetE1EEEvT1_,@function
_ZN7rocprim17ROCPRIM_400000_NS6detail17trampoline_kernelINS0_14default_configENS1_20scan_config_selectorIyEEZZNS1_9scan_implILNS1_25lookback_scan_determinismE0ELb0ELb0ES3_N6thrust23THRUST_200600_302600_NS6detail15normal_iteratorINS9_10device_ptrIyEEEENS9_16discard_iteratorINS9_11use_defaultEEEyNS9_4plusIvEEyEEDaPvRmT3_T4_T5_mT6_P12ihipStream_tbENKUlT_T0_E_clISt17integral_constantIbLb1EESW_IbLb0EEEEDaSS_ST_EUlSS_E_NS1_11comp_targetILNS1_3genE0ELNS1_11target_archE4294967295ELNS1_3gpuE0ELNS1_3repE0EEENS1_30default_config_static_selectorELNS0_4arch9wavefront6targetE1EEEvT1_: ; @_ZN7rocprim17ROCPRIM_400000_NS6detail17trampoline_kernelINS0_14default_configENS1_20scan_config_selectorIyEEZZNS1_9scan_implILNS1_25lookback_scan_determinismE0ELb0ELb0ES3_N6thrust23THRUST_200600_302600_NS6detail15normal_iteratorINS9_10device_ptrIyEEEENS9_16discard_iteratorINS9_11use_defaultEEEyNS9_4plusIvEEyEEDaPvRmT3_T4_T5_mT6_P12ihipStream_tbENKUlT_T0_E_clISt17integral_constantIbLb1EESW_IbLb0EEEEDaSS_ST_EUlSS_E_NS1_11comp_targetILNS1_3genE0ELNS1_11target_archE4294967295ELNS1_3gpuE0ELNS1_3repE0EEENS1_30default_config_static_selectorELNS0_4arch9wavefront6targetE1EEEvT1_
; %bb.0:
	.section	.rodata,"a",@progbits
	.p2align	6, 0x0
	.amdhsa_kernel _ZN7rocprim17ROCPRIM_400000_NS6detail17trampoline_kernelINS0_14default_configENS1_20scan_config_selectorIyEEZZNS1_9scan_implILNS1_25lookback_scan_determinismE0ELb0ELb0ES3_N6thrust23THRUST_200600_302600_NS6detail15normal_iteratorINS9_10device_ptrIyEEEENS9_16discard_iteratorINS9_11use_defaultEEEyNS9_4plusIvEEyEEDaPvRmT3_T4_T5_mT6_P12ihipStream_tbENKUlT_T0_E_clISt17integral_constantIbLb1EESW_IbLb0EEEEDaSS_ST_EUlSS_E_NS1_11comp_targetILNS1_3genE0ELNS1_11target_archE4294967295ELNS1_3gpuE0ELNS1_3repE0EEENS1_30default_config_static_selectorELNS0_4arch9wavefront6targetE1EEEvT1_
		.amdhsa_group_segment_fixed_size 0
		.amdhsa_private_segment_fixed_size 0
		.amdhsa_kernarg_size 112
		.amdhsa_user_sgpr_count 6
		.amdhsa_user_sgpr_private_segment_buffer 1
		.amdhsa_user_sgpr_dispatch_ptr 0
		.amdhsa_user_sgpr_queue_ptr 0
		.amdhsa_user_sgpr_kernarg_segment_ptr 1
		.amdhsa_user_sgpr_dispatch_id 0
		.amdhsa_user_sgpr_flat_scratch_init 0
		.amdhsa_user_sgpr_kernarg_preload_length 0
		.amdhsa_user_sgpr_kernarg_preload_offset 0
		.amdhsa_user_sgpr_private_segment_size 0
		.amdhsa_uses_dynamic_stack 0
		.amdhsa_system_sgpr_private_segment_wavefront_offset 0
		.amdhsa_system_sgpr_workgroup_id_x 1
		.amdhsa_system_sgpr_workgroup_id_y 0
		.amdhsa_system_sgpr_workgroup_id_z 0
		.amdhsa_system_sgpr_workgroup_info 0
		.amdhsa_system_vgpr_workitem_id 0
		.amdhsa_next_free_vgpr 1
		.amdhsa_next_free_sgpr 0
		.amdhsa_accum_offset 4
		.amdhsa_reserve_vcc 0
		.amdhsa_reserve_flat_scratch 0
		.amdhsa_float_round_mode_32 0
		.amdhsa_float_round_mode_16_64 0
		.amdhsa_float_denorm_mode_32 3
		.amdhsa_float_denorm_mode_16_64 3
		.amdhsa_dx10_clamp 1
		.amdhsa_ieee_mode 1
		.amdhsa_fp16_overflow 0
		.amdhsa_tg_split 0
		.amdhsa_exception_fp_ieee_invalid_op 0
		.amdhsa_exception_fp_denorm_src 0
		.amdhsa_exception_fp_ieee_div_zero 0
		.amdhsa_exception_fp_ieee_overflow 0
		.amdhsa_exception_fp_ieee_underflow 0
		.amdhsa_exception_fp_ieee_inexact 0
		.amdhsa_exception_int_div_zero 0
	.end_amdhsa_kernel
	.section	.text._ZN7rocprim17ROCPRIM_400000_NS6detail17trampoline_kernelINS0_14default_configENS1_20scan_config_selectorIyEEZZNS1_9scan_implILNS1_25lookback_scan_determinismE0ELb0ELb0ES3_N6thrust23THRUST_200600_302600_NS6detail15normal_iteratorINS9_10device_ptrIyEEEENS9_16discard_iteratorINS9_11use_defaultEEEyNS9_4plusIvEEyEEDaPvRmT3_T4_T5_mT6_P12ihipStream_tbENKUlT_T0_E_clISt17integral_constantIbLb1EESW_IbLb0EEEEDaSS_ST_EUlSS_E_NS1_11comp_targetILNS1_3genE0ELNS1_11target_archE4294967295ELNS1_3gpuE0ELNS1_3repE0EEENS1_30default_config_static_selectorELNS0_4arch9wavefront6targetE1EEEvT1_,"axG",@progbits,_ZN7rocprim17ROCPRIM_400000_NS6detail17trampoline_kernelINS0_14default_configENS1_20scan_config_selectorIyEEZZNS1_9scan_implILNS1_25lookback_scan_determinismE0ELb0ELb0ES3_N6thrust23THRUST_200600_302600_NS6detail15normal_iteratorINS9_10device_ptrIyEEEENS9_16discard_iteratorINS9_11use_defaultEEEyNS9_4plusIvEEyEEDaPvRmT3_T4_T5_mT6_P12ihipStream_tbENKUlT_T0_E_clISt17integral_constantIbLb1EESW_IbLb0EEEEDaSS_ST_EUlSS_E_NS1_11comp_targetILNS1_3genE0ELNS1_11target_archE4294967295ELNS1_3gpuE0ELNS1_3repE0EEENS1_30default_config_static_selectorELNS0_4arch9wavefront6targetE1EEEvT1_,comdat
.Lfunc_end5186:
	.size	_ZN7rocprim17ROCPRIM_400000_NS6detail17trampoline_kernelINS0_14default_configENS1_20scan_config_selectorIyEEZZNS1_9scan_implILNS1_25lookback_scan_determinismE0ELb0ELb0ES3_N6thrust23THRUST_200600_302600_NS6detail15normal_iteratorINS9_10device_ptrIyEEEENS9_16discard_iteratorINS9_11use_defaultEEEyNS9_4plusIvEEyEEDaPvRmT3_T4_T5_mT6_P12ihipStream_tbENKUlT_T0_E_clISt17integral_constantIbLb1EESW_IbLb0EEEEDaSS_ST_EUlSS_E_NS1_11comp_targetILNS1_3genE0ELNS1_11target_archE4294967295ELNS1_3gpuE0ELNS1_3repE0EEENS1_30default_config_static_selectorELNS0_4arch9wavefront6targetE1EEEvT1_, .Lfunc_end5186-_ZN7rocprim17ROCPRIM_400000_NS6detail17trampoline_kernelINS0_14default_configENS1_20scan_config_selectorIyEEZZNS1_9scan_implILNS1_25lookback_scan_determinismE0ELb0ELb0ES3_N6thrust23THRUST_200600_302600_NS6detail15normal_iteratorINS9_10device_ptrIyEEEENS9_16discard_iteratorINS9_11use_defaultEEEyNS9_4plusIvEEyEEDaPvRmT3_T4_T5_mT6_P12ihipStream_tbENKUlT_T0_E_clISt17integral_constantIbLb1EESW_IbLb0EEEEDaSS_ST_EUlSS_E_NS1_11comp_targetILNS1_3genE0ELNS1_11target_archE4294967295ELNS1_3gpuE0ELNS1_3repE0EEENS1_30default_config_static_selectorELNS0_4arch9wavefront6targetE1EEEvT1_
                                        ; -- End function
	.section	.AMDGPU.csdata,"",@progbits
; Kernel info:
; codeLenInByte = 0
; NumSgprs: 4
; NumVgprs: 0
; NumAgprs: 0
; TotalNumVgprs: 0
; ScratchSize: 0
; MemoryBound: 0
; FloatMode: 240
; IeeeMode: 1
; LDSByteSize: 0 bytes/workgroup (compile time only)
; SGPRBlocks: 0
; VGPRBlocks: 0
; NumSGPRsForWavesPerEU: 4
; NumVGPRsForWavesPerEU: 1
; AccumOffset: 4
; Occupancy: 8
; WaveLimiterHint : 0
; COMPUTE_PGM_RSRC2:SCRATCH_EN: 0
; COMPUTE_PGM_RSRC2:USER_SGPR: 6
; COMPUTE_PGM_RSRC2:TRAP_HANDLER: 0
; COMPUTE_PGM_RSRC2:TGID_X_EN: 1
; COMPUTE_PGM_RSRC2:TGID_Y_EN: 0
; COMPUTE_PGM_RSRC2:TGID_Z_EN: 0
; COMPUTE_PGM_RSRC2:TIDIG_COMP_CNT: 0
; COMPUTE_PGM_RSRC3_GFX90A:ACCUM_OFFSET: 0
; COMPUTE_PGM_RSRC3_GFX90A:TG_SPLIT: 0
	.section	.text._ZN7rocprim17ROCPRIM_400000_NS6detail17trampoline_kernelINS0_14default_configENS1_20scan_config_selectorIyEEZZNS1_9scan_implILNS1_25lookback_scan_determinismE0ELb0ELb0ES3_N6thrust23THRUST_200600_302600_NS6detail15normal_iteratorINS9_10device_ptrIyEEEENS9_16discard_iteratorINS9_11use_defaultEEEyNS9_4plusIvEEyEEDaPvRmT3_T4_T5_mT6_P12ihipStream_tbENKUlT_T0_E_clISt17integral_constantIbLb1EESW_IbLb0EEEEDaSS_ST_EUlSS_E_NS1_11comp_targetILNS1_3genE5ELNS1_11target_archE942ELNS1_3gpuE9ELNS1_3repE0EEENS1_30default_config_static_selectorELNS0_4arch9wavefront6targetE1EEEvT1_,"axG",@progbits,_ZN7rocprim17ROCPRIM_400000_NS6detail17trampoline_kernelINS0_14default_configENS1_20scan_config_selectorIyEEZZNS1_9scan_implILNS1_25lookback_scan_determinismE0ELb0ELb0ES3_N6thrust23THRUST_200600_302600_NS6detail15normal_iteratorINS9_10device_ptrIyEEEENS9_16discard_iteratorINS9_11use_defaultEEEyNS9_4plusIvEEyEEDaPvRmT3_T4_T5_mT6_P12ihipStream_tbENKUlT_T0_E_clISt17integral_constantIbLb1EESW_IbLb0EEEEDaSS_ST_EUlSS_E_NS1_11comp_targetILNS1_3genE5ELNS1_11target_archE942ELNS1_3gpuE9ELNS1_3repE0EEENS1_30default_config_static_selectorELNS0_4arch9wavefront6targetE1EEEvT1_,comdat
	.protected	_ZN7rocprim17ROCPRIM_400000_NS6detail17trampoline_kernelINS0_14default_configENS1_20scan_config_selectorIyEEZZNS1_9scan_implILNS1_25lookback_scan_determinismE0ELb0ELb0ES3_N6thrust23THRUST_200600_302600_NS6detail15normal_iteratorINS9_10device_ptrIyEEEENS9_16discard_iteratorINS9_11use_defaultEEEyNS9_4plusIvEEyEEDaPvRmT3_T4_T5_mT6_P12ihipStream_tbENKUlT_T0_E_clISt17integral_constantIbLb1EESW_IbLb0EEEEDaSS_ST_EUlSS_E_NS1_11comp_targetILNS1_3genE5ELNS1_11target_archE942ELNS1_3gpuE9ELNS1_3repE0EEENS1_30default_config_static_selectorELNS0_4arch9wavefront6targetE1EEEvT1_ ; -- Begin function _ZN7rocprim17ROCPRIM_400000_NS6detail17trampoline_kernelINS0_14default_configENS1_20scan_config_selectorIyEEZZNS1_9scan_implILNS1_25lookback_scan_determinismE0ELb0ELb0ES3_N6thrust23THRUST_200600_302600_NS6detail15normal_iteratorINS9_10device_ptrIyEEEENS9_16discard_iteratorINS9_11use_defaultEEEyNS9_4plusIvEEyEEDaPvRmT3_T4_T5_mT6_P12ihipStream_tbENKUlT_T0_E_clISt17integral_constantIbLb1EESW_IbLb0EEEEDaSS_ST_EUlSS_E_NS1_11comp_targetILNS1_3genE5ELNS1_11target_archE942ELNS1_3gpuE9ELNS1_3repE0EEENS1_30default_config_static_selectorELNS0_4arch9wavefront6targetE1EEEvT1_
	.globl	_ZN7rocprim17ROCPRIM_400000_NS6detail17trampoline_kernelINS0_14default_configENS1_20scan_config_selectorIyEEZZNS1_9scan_implILNS1_25lookback_scan_determinismE0ELb0ELb0ES3_N6thrust23THRUST_200600_302600_NS6detail15normal_iteratorINS9_10device_ptrIyEEEENS9_16discard_iteratorINS9_11use_defaultEEEyNS9_4plusIvEEyEEDaPvRmT3_T4_T5_mT6_P12ihipStream_tbENKUlT_T0_E_clISt17integral_constantIbLb1EESW_IbLb0EEEEDaSS_ST_EUlSS_E_NS1_11comp_targetILNS1_3genE5ELNS1_11target_archE942ELNS1_3gpuE9ELNS1_3repE0EEENS1_30default_config_static_selectorELNS0_4arch9wavefront6targetE1EEEvT1_
	.p2align	8
	.type	_ZN7rocprim17ROCPRIM_400000_NS6detail17trampoline_kernelINS0_14default_configENS1_20scan_config_selectorIyEEZZNS1_9scan_implILNS1_25lookback_scan_determinismE0ELb0ELb0ES3_N6thrust23THRUST_200600_302600_NS6detail15normal_iteratorINS9_10device_ptrIyEEEENS9_16discard_iteratorINS9_11use_defaultEEEyNS9_4plusIvEEyEEDaPvRmT3_T4_T5_mT6_P12ihipStream_tbENKUlT_T0_E_clISt17integral_constantIbLb1EESW_IbLb0EEEEDaSS_ST_EUlSS_E_NS1_11comp_targetILNS1_3genE5ELNS1_11target_archE942ELNS1_3gpuE9ELNS1_3repE0EEENS1_30default_config_static_selectorELNS0_4arch9wavefront6targetE1EEEvT1_,@function
_ZN7rocprim17ROCPRIM_400000_NS6detail17trampoline_kernelINS0_14default_configENS1_20scan_config_selectorIyEEZZNS1_9scan_implILNS1_25lookback_scan_determinismE0ELb0ELb0ES3_N6thrust23THRUST_200600_302600_NS6detail15normal_iteratorINS9_10device_ptrIyEEEENS9_16discard_iteratorINS9_11use_defaultEEEyNS9_4plusIvEEyEEDaPvRmT3_T4_T5_mT6_P12ihipStream_tbENKUlT_T0_E_clISt17integral_constantIbLb1EESW_IbLb0EEEEDaSS_ST_EUlSS_E_NS1_11comp_targetILNS1_3genE5ELNS1_11target_archE942ELNS1_3gpuE9ELNS1_3repE0EEENS1_30default_config_static_selectorELNS0_4arch9wavefront6targetE1EEEvT1_: ; @_ZN7rocprim17ROCPRIM_400000_NS6detail17trampoline_kernelINS0_14default_configENS1_20scan_config_selectorIyEEZZNS1_9scan_implILNS1_25lookback_scan_determinismE0ELb0ELb0ES3_N6thrust23THRUST_200600_302600_NS6detail15normal_iteratorINS9_10device_ptrIyEEEENS9_16discard_iteratorINS9_11use_defaultEEEyNS9_4plusIvEEyEEDaPvRmT3_T4_T5_mT6_P12ihipStream_tbENKUlT_T0_E_clISt17integral_constantIbLb1EESW_IbLb0EEEEDaSS_ST_EUlSS_E_NS1_11comp_targetILNS1_3genE5ELNS1_11target_archE942ELNS1_3gpuE9ELNS1_3repE0EEENS1_30default_config_static_selectorELNS0_4arch9wavefront6targetE1EEEvT1_
; %bb.0:
	.section	.rodata,"a",@progbits
	.p2align	6, 0x0
	.amdhsa_kernel _ZN7rocprim17ROCPRIM_400000_NS6detail17trampoline_kernelINS0_14default_configENS1_20scan_config_selectorIyEEZZNS1_9scan_implILNS1_25lookback_scan_determinismE0ELb0ELb0ES3_N6thrust23THRUST_200600_302600_NS6detail15normal_iteratorINS9_10device_ptrIyEEEENS9_16discard_iteratorINS9_11use_defaultEEEyNS9_4plusIvEEyEEDaPvRmT3_T4_T5_mT6_P12ihipStream_tbENKUlT_T0_E_clISt17integral_constantIbLb1EESW_IbLb0EEEEDaSS_ST_EUlSS_E_NS1_11comp_targetILNS1_3genE5ELNS1_11target_archE942ELNS1_3gpuE9ELNS1_3repE0EEENS1_30default_config_static_selectorELNS0_4arch9wavefront6targetE1EEEvT1_
		.amdhsa_group_segment_fixed_size 0
		.amdhsa_private_segment_fixed_size 0
		.amdhsa_kernarg_size 112
		.amdhsa_user_sgpr_count 6
		.amdhsa_user_sgpr_private_segment_buffer 1
		.amdhsa_user_sgpr_dispatch_ptr 0
		.amdhsa_user_sgpr_queue_ptr 0
		.amdhsa_user_sgpr_kernarg_segment_ptr 1
		.amdhsa_user_sgpr_dispatch_id 0
		.amdhsa_user_sgpr_flat_scratch_init 0
		.amdhsa_user_sgpr_kernarg_preload_length 0
		.amdhsa_user_sgpr_kernarg_preload_offset 0
		.amdhsa_user_sgpr_private_segment_size 0
		.amdhsa_uses_dynamic_stack 0
		.amdhsa_system_sgpr_private_segment_wavefront_offset 0
		.amdhsa_system_sgpr_workgroup_id_x 1
		.amdhsa_system_sgpr_workgroup_id_y 0
		.amdhsa_system_sgpr_workgroup_id_z 0
		.amdhsa_system_sgpr_workgroup_info 0
		.amdhsa_system_vgpr_workitem_id 0
		.amdhsa_next_free_vgpr 1
		.amdhsa_next_free_sgpr 0
		.amdhsa_accum_offset 4
		.amdhsa_reserve_vcc 0
		.amdhsa_reserve_flat_scratch 0
		.amdhsa_float_round_mode_32 0
		.amdhsa_float_round_mode_16_64 0
		.amdhsa_float_denorm_mode_32 3
		.amdhsa_float_denorm_mode_16_64 3
		.amdhsa_dx10_clamp 1
		.amdhsa_ieee_mode 1
		.amdhsa_fp16_overflow 0
		.amdhsa_tg_split 0
		.amdhsa_exception_fp_ieee_invalid_op 0
		.amdhsa_exception_fp_denorm_src 0
		.amdhsa_exception_fp_ieee_div_zero 0
		.amdhsa_exception_fp_ieee_overflow 0
		.amdhsa_exception_fp_ieee_underflow 0
		.amdhsa_exception_fp_ieee_inexact 0
		.amdhsa_exception_int_div_zero 0
	.end_amdhsa_kernel
	.section	.text._ZN7rocprim17ROCPRIM_400000_NS6detail17trampoline_kernelINS0_14default_configENS1_20scan_config_selectorIyEEZZNS1_9scan_implILNS1_25lookback_scan_determinismE0ELb0ELb0ES3_N6thrust23THRUST_200600_302600_NS6detail15normal_iteratorINS9_10device_ptrIyEEEENS9_16discard_iteratorINS9_11use_defaultEEEyNS9_4plusIvEEyEEDaPvRmT3_T4_T5_mT6_P12ihipStream_tbENKUlT_T0_E_clISt17integral_constantIbLb1EESW_IbLb0EEEEDaSS_ST_EUlSS_E_NS1_11comp_targetILNS1_3genE5ELNS1_11target_archE942ELNS1_3gpuE9ELNS1_3repE0EEENS1_30default_config_static_selectorELNS0_4arch9wavefront6targetE1EEEvT1_,"axG",@progbits,_ZN7rocprim17ROCPRIM_400000_NS6detail17trampoline_kernelINS0_14default_configENS1_20scan_config_selectorIyEEZZNS1_9scan_implILNS1_25lookback_scan_determinismE0ELb0ELb0ES3_N6thrust23THRUST_200600_302600_NS6detail15normal_iteratorINS9_10device_ptrIyEEEENS9_16discard_iteratorINS9_11use_defaultEEEyNS9_4plusIvEEyEEDaPvRmT3_T4_T5_mT6_P12ihipStream_tbENKUlT_T0_E_clISt17integral_constantIbLb1EESW_IbLb0EEEEDaSS_ST_EUlSS_E_NS1_11comp_targetILNS1_3genE5ELNS1_11target_archE942ELNS1_3gpuE9ELNS1_3repE0EEENS1_30default_config_static_selectorELNS0_4arch9wavefront6targetE1EEEvT1_,comdat
.Lfunc_end5187:
	.size	_ZN7rocprim17ROCPRIM_400000_NS6detail17trampoline_kernelINS0_14default_configENS1_20scan_config_selectorIyEEZZNS1_9scan_implILNS1_25lookback_scan_determinismE0ELb0ELb0ES3_N6thrust23THRUST_200600_302600_NS6detail15normal_iteratorINS9_10device_ptrIyEEEENS9_16discard_iteratorINS9_11use_defaultEEEyNS9_4plusIvEEyEEDaPvRmT3_T4_T5_mT6_P12ihipStream_tbENKUlT_T0_E_clISt17integral_constantIbLb1EESW_IbLb0EEEEDaSS_ST_EUlSS_E_NS1_11comp_targetILNS1_3genE5ELNS1_11target_archE942ELNS1_3gpuE9ELNS1_3repE0EEENS1_30default_config_static_selectorELNS0_4arch9wavefront6targetE1EEEvT1_, .Lfunc_end5187-_ZN7rocprim17ROCPRIM_400000_NS6detail17trampoline_kernelINS0_14default_configENS1_20scan_config_selectorIyEEZZNS1_9scan_implILNS1_25lookback_scan_determinismE0ELb0ELb0ES3_N6thrust23THRUST_200600_302600_NS6detail15normal_iteratorINS9_10device_ptrIyEEEENS9_16discard_iteratorINS9_11use_defaultEEEyNS9_4plusIvEEyEEDaPvRmT3_T4_T5_mT6_P12ihipStream_tbENKUlT_T0_E_clISt17integral_constantIbLb1EESW_IbLb0EEEEDaSS_ST_EUlSS_E_NS1_11comp_targetILNS1_3genE5ELNS1_11target_archE942ELNS1_3gpuE9ELNS1_3repE0EEENS1_30default_config_static_selectorELNS0_4arch9wavefront6targetE1EEEvT1_
                                        ; -- End function
	.section	.AMDGPU.csdata,"",@progbits
; Kernel info:
; codeLenInByte = 0
; NumSgprs: 4
; NumVgprs: 0
; NumAgprs: 0
; TotalNumVgprs: 0
; ScratchSize: 0
; MemoryBound: 0
; FloatMode: 240
; IeeeMode: 1
; LDSByteSize: 0 bytes/workgroup (compile time only)
; SGPRBlocks: 0
; VGPRBlocks: 0
; NumSGPRsForWavesPerEU: 4
; NumVGPRsForWavesPerEU: 1
; AccumOffset: 4
; Occupancy: 8
; WaveLimiterHint : 0
; COMPUTE_PGM_RSRC2:SCRATCH_EN: 0
; COMPUTE_PGM_RSRC2:USER_SGPR: 6
; COMPUTE_PGM_RSRC2:TRAP_HANDLER: 0
; COMPUTE_PGM_RSRC2:TGID_X_EN: 1
; COMPUTE_PGM_RSRC2:TGID_Y_EN: 0
; COMPUTE_PGM_RSRC2:TGID_Z_EN: 0
; COMPUTE_PGM_RSRC2:TIDIG_COMP_CNT: 0
; COMPUTE_PGM_RSRC3_GFX90A:ACCUM_OFFSET: 0
; COMPUTE_PGM_RSRC3_GFX90A:TG_SPLIT: 0
	.section	.text._ZN7rocprim17ROCPRIM_400000_NS6detail17trampoline_kernelINS0_14default_configENS1_20scan_config_selectorIyEEZZNS1_9scan_implILNS1_25lookback_scan_determinismE0ELb0ELb0ES3_N6thrust23THRUST_200600_302600_NS6detail15normal_iteratorINS9_10device_ptrIyEEEENS9_16discard_iteratorINS9_11use_defaultEEEyNS9_4plusIvEEyEEDaPvRmT3_T4_T5_mT6_P12ihipStream_tbENKUlT_T0_E_clISt17integral_constantIbLb1EESW_IbLb0EEEEDaSS_ST_EUlSS_E_NS1_11comp_targetILNS1_3genE4ELNS1_11target_archE910ELNS1_3gpuE8ELNS1_3repE0EEENS1_30default_config_static_selectorELNS0_4arch9wavefront6targetE1EEEvT1_,"axG",@progbits,_ZN7rocprim17ROCPRIM_400000_NS6detail17trampoline_kernelINS0_14default_configENS1_20scan_config_selectorIyEEZZNS1_9scan_implILNS1_25lookback_scan_determinismE0ELb0ELb0ES3_N6thrust23THRUST_200600_302600_NS6detail15normal_iteratorINS9_10device_ptrIyEEEENS9_16discard_iteratorINS9_11use_defaultEEEyNS9_4plusIvEEyEEDaPvRmT3_T4_T5_mT6_P12ihipStream_tbENKUlT_T0_E_clISt17integral_constantIbLb1EESW_IbLb0EEEEDaSS_ST_EUlSS_E_NS1_11comp_targetILNS1_3genE4ELNS1_11target_archE910ELNS1_3gpuE8ELNS1_3repE0EEENS1_30default_config_static_selectorELNS0_4arch9wavefront6targetE1EEEvT1_,comdat
	.protected	_ZN7rocprim17ROCPRIM_400000_NS6detail17trampoline_kernelINS0_14default_configENS1_20scan_config_selectorIyEEZZNS1_9scan_implILNS1_25lookback_scan_determinismE0ELb0ELb0ES3_N6thrust23THRUST_200600_302600_NS6detail15normal_iteratorINS9_10device_ptrIyEEEENS9_16discard_iteratorINS9_11use_defaultEEEyNS9_4plusIvEEyEEDaPvRmT3_T4_T5_mT6_P12ihipStream_tbENKUlT_T0_E_clISt17integral_constantIbLb1EESW_IbLb0EEEEDaSS_ST_EUlSS_E_NS1_11comp_targetILNS1_3genE4ELNS1_11target_archE910ELNS1_3gpuE8ELNS1_3repE0EEENS1_30default_config_static_selectorELNS0_4arch9wavefront6targetE1EEEvT1_ ; -- Begin function _ZN7rocprim17ROCPRIM_400000_NS6detail17trampoline_kernelINS0_14default_configENS1_20scan_config_selectorIyEEZZNS1_9scan_implILNS1_25lookback_scan_determinismE0ELb0ELb0ES3_N6thrust23THRUST_200600_302600_NS6detail15normal_iteratorINS9_10device_ptrIyEEEENS9_16discard_iteratorINS9_11use_defaultEEEyNS9_4plusIvEEyEEDaPvRmT3_T4_T5_mT6_P12ihipStream_tbENKUlT_T0_E_clISt17integral_constantIbLb1EESW_IbLb0EEEEDaSS_ST_EUlSS_E_NS1_11comp_targetILNS1_3genE4ELNS1_11target_archE910ELNS1_3gpuE8ELNS1_3repE0EEENS1_30default_config_static_selectorELNS0_4arch9wavefront6targetE1EEEvT1_
	.globl	_ZN7rocprim17ROCPRIM_400000_NS6detail17trampoline_kernelINS0_14default_configENS1_20scan_config_selectorIyEEZZNS1_9scan_implILNS1_25lookback_scan_determinismE0ELb0ELb0ES3_N6thrust23THRUST_200600_302600_NS6detail15normal_iteratorINS9_10device_ptrIyEEEENS9_16discard_iteratorINS9_11use_defaultEEEyNS9_4plusIvEEyEEDaPvRmT3_T4_T5_mT6_P12ihipStream_tbENKUlT_T0_E_clISt17integral_constantIbLb1EESW_IbLb0EEEEDaSS_ST_EUlSS_E_NS1_11comp_targetILNS1_3genE4ELNS1_11target_archE910ELNS1_3gpuE8ELNS1_3repE0EEENS1_30default_config_static_selectorELNS0_4arch9wavefront6targetE1EEEvT1_
	.p2align	8
	.type	_ZN7rocprim17ROCPRIM_400000_NS6detail17trampoline_kernelINS0_14default_configENS1_20scan_config_selectorIyEEZZNS1_9scan_implILNS1_25lookback_scan_determinismE0ELb0ELb0ES3_N6thrust23THRUST_200600_302600_NS6detail15normal_iteratorINS9_10device_ptrIyEEEENS9_16discard_iteratorINS9_11use_defaultEEEyNS9_4plusIvEEyEEDaPvRmT3_T4_T5_mT6_P12ihipStream_tbENKUlT_T0_E_clISt17integral_constantIbLb1EESW_IbLb0EEEEDaSS_ST_EUlSS_E_NS1_11comp_targetILNS1_3genE4ELNS1_11target_archE910ELNS1_3gpuE8ELNS1_3repE0EEENS1_30default_config_static_selectorELNS0_4arch9wavefront6targetE1EEEvT1_,@function
_ZN7rocprim17ROCPRIM_400000_NS6detail17trampoline_kernelINS0_14default_configENS1_20scan_config_selectorIyEEZZNS1_9scan_implILNS1_25lookback_scan_determinismE0ELb0ELb0ES3_N6thrust23THRUST_200600_302600_NS6detail15normal_iteratorINS9_10device_ptrIyEEEENS9_16discard_iteratorINS9_11use_defaultEEEyNS9_4plusIvEEyEEDaPvRmT3_T4_T5_mT6_P12ihipStream_tbENKUlT_T0_E_clISt17integral_constantIbLb1EESW_IbLb0EEEEDaSS_ST_EUlSS_E_NS1_11comp_targetILNS1_3genE4ELNS1_11target_archE910ELNS1_3gpuE8ELNS1_3repE0EEENS1_30default_config_static_selectorELNS0_4arch9wavefront6targetE1EEEvT1_: ; @_ZN7rocprim17ROCPRIM_400000_NS6detail17trampoline_kernelINS0_14default_configENS1_20scan_config_selectorIyEEZZNS1_9scan_implILNS1_25lookback_scan_determinismE0ELb0ELb0ES3_N6thrust23THRUST_200600_302600_NS6detail15normal_iteratorINS9_10device_ptrIyEEEENS9_16discard_iteratorINS9_11use_defaultEEEyNS9_4plusIvEEyEEDaPvRmT3_T4_T5_mT6_P12ihipStream_tbENKUlT_T0_E_clISt17integral_constantIbLb1EESW_IbLb0EEEEDaSS_ST_EUlSS_E_NS1_11comp_targetILNS1_3genE4ELNS1_11target_archE910ELNS1_3gpuE8ELNS1_3repE0EEENS1_30default_config_static_selectorELNS0_4arch9wavefront6targetE1EEEvT1_
; %bb.0:
	s_load_dwordx4 s[0:3], s[4:5], 0x0
	s_load_dwordx2 s[8:9], s[4:5], 0x20
	s_load_dword s7, s[4:5], 0x40
	v_lshlrev_b32_e32 v1, 3, v0
	s_waitcnt lgkmcnt(0)
	s_lshl_b64 s[2:3], s[2:3], 3
	s_add_u32 s2, s0, s2
	s_addc_u32 s3, s1, s3
	s_add_i32 s7, s7, -1
	s_mul_i32 s10, s7, 0x380
	s_sub_u32 s18, s8, s10
	s_subb_u32 s19, s9, 0
	s_mul_i32 s0, s6, 0x380
	s_mov_b32 s1, 0
	s_cmp_lg_u32 s6, s7
	s_cselect_b64 s[12:13], -1, 0
	s_lshl_b64 s[0:1], s[0:1], 3
	s_add_u32 s0, s2, s0
	s_addc_u32 s1, s3, s1
	s_mov_b64 s[2:3], -1
	s_and_b64 vcc, exec, s[12:13]
	s_cbranch_vccz .LBB5188_2
; %bb.1:
	v_mov_b32_e32 v3, s1
	v_add_co_u32_e32 v2, vcc, s0, v1
	v_addc_co_u32_e32 v3, vcc, 0, v3, vcc
	flat_load_dwordx2 v[4:5], v[2:3]
	flat_load_dwordx2 v[6:7], v[2:3] offset:1024
	flat_load_dwordx2 v[8:9], v[2:3] offset:2048
	;; [unrolled: 1-line block ×3, first 2 shown]
	v_add_co_u32_e32 v2, vcc, 0x1000, v2
	v_addc_co_u32_e32 v3, vcc, 0, v3, vcc
	flat_load_dwordx2 v[12:13], v[2:3]
	flat_load_dwordx2 v[14:15], v[2:3] offset:1024
	flat_load_dwordx2 v[16:17], v[2:3] offset:2048
	s_mov_b64 s[2:3], 0
	s_waitcnt vmcnt(0) lgkmcnt(0)
	ds_write2st64_b64 v1, v[4:5], v[6:7] offset1:2
	ds_write2st64_b64 v1, v[8:9], v[10:11] offset0:4 offset1:6
	ds_write2st64_b64 v1, v[12:13], v[14:15] offset0:8 offset1:10
	ds_write_b64 v1, v[16:17] offset:6144
	s_waitcnt lgkmcnt(0)
	s_barrier
.LBB5188_2:
	s_load_dwordx2 s[14:15], s[4:5], 0x38
	s_andn2_b64 vcc, exec, s[2:3]
	s_cbranch_vccnz .LBB5188_18
; %bb.3:
	v_pk_mov_b32 v[2:3], s[0:1], s[0:1] op_sel:[0,1]
	flat_load_dwordx2 v[2:3], v[2:3]
	v_cmp_gt_u32_e32 vcc, s18, v0
	s_waitcnt vmcnt(0) lgkmcnt(0)
	v_mov_b32_e32 v4, v2
	v_mov_b32_e32 v5, v3
	;; [unrolled: 1-line block ×10, first 2 shown]
	v_pk_mov_b32 v[18:19], v[14:15], v[14:15] op_sel:[0,1]
	v_pk_mov_b32 v[16:17], v[12:13], v[12:13] op_sel:[0,1]
	;; [unrolled: 1-line block ×8, first 2 shown]
	s_and_saveexec_b64 s[2:3], vcc
	s_cbranch_execz .LBB5188_5
; %bb.4:
	v_mov_b32_e32 v5, s1
	v_add_co_u32_e32 v4, vcc, s0, v1
	v_addc_co_u32_e32 v5, vcc, 0, v5, vcc
	flat_load_dwordx2 v[20:21], v[4:5]
	v_mov_b32_e32 v4, v2
	v_mov_b32_e32 v5, v3
	;; [unrolled: 1-line block ×10, first 2 shown]
	v_pk_mov_b32 v[18:19], v[14:15], v[14:15] op_sel:[0,1]
	v_pk_mov_b32 v[16:17], v[12:13], v[12:13] op_sel:[0,1]
	;; [unrolled: 1-line block ×8, first 2 shown]
	s_waitcnt vmcnt(0) lgkmcnt(0)
	v_pk_mov_b32 v[2:3], v[20:21], v[20:21] op_sel:[0,1]
.LBB5188_5:
	s_or_b64 exec, exec, s[2:3]
	v_or_b32_e32 v4, 0x80, v0
	v_cmp_gt_u32_e32 vcc, s18, v4
	s_and_saveexec_b64 s[2:3], vcc
	s_cbranch_execz .LBB5188_7
; %bb.6:
	v_mov_b32_e32 v5, s1
	v_add_co_u32_e32 v4, vcc, s0, v1
	v_addc_co_u32_e32 v5, vcc, 0, v5, vcc
	flat_load_dwordx2 v[6:7], v[4:5] offset:1024
.LBB5188_7:
	s_or_b64 exec, exec, s[2:3]
	v_or_b32_e32 v4, 0x100, v0
	v_cmp_gt_u32_e32 vcc, s18, v4
	s_and_saveexec_b64 s[2:3], vcc
	s_cbranch_execz .LBB5188_9
; %bb.8:
	v_mov_b32_e32 v5, s1
	v_add_co_u32_e32 v4, vcc, s0, v1
	v_addc_co_u32_e32 v5, vcc, 0, v5, vcc
	flat_load_dwordx2 v[8:9], v[4:5] offset:2048
.LBB5188_9:
	;; [unrolled: 11-line block ×3, first 2 shown]
	s_or_b64 exec, exec, s[2:3]
	v_or_b32_e32 v4, 0x200, v0
	v_cmp_gt_u32_e32 vcc, s18, v4
	s_and_saveexec_b64 s[2:3], vcc
	s_cbranch_execz .LBB5188_13
; %bb.12:
	v_lshlrev_b32_e32 v4, 3, v4
	v_mov_b32_e32 v5, s1
	v_add_co_u32_e32 v4, vcc, s0, v4
	v_addc_co_u32_e32 v5, vcc, 0, v5, vcc
	flat_load_dwordx2 v[12:13], v[4:5]
.LBB5188_13:
	s_or_b64 exec, exec, s[2:3]
	v_or_b32_e32 v4, 0x280, v0
	v_cmp_gt_u32_e32 vcc, s18, v4
	s_and_saveexec_b64 s[2:3], vcc
	s_cbranch_execz .LBB5188_15
; %bb.14:
	v_lshlrev_b32_e32 v4, 3, v4
	v_mov_b32_e32 v5, s1
	v_add_co_u32_e32 v4, vcc, s0, v4
	v_addc_co_u32_e32 v5, vcc, 0, v5, vcc
	flat_load_dwordx2 v[14:15], v[4:5]
.LBB5188_15:
	;; [unrolled: 12-line block ×3, first 2 shown]
	s_or_b64 exec, exec, s[2:3]
	s_waitcnt vmcnt(0) lgkmcnt(0)
	ds_write2st64_b64 v1, v[2:3], v[6:7] offset1:2
	ds_write2st64_b64 v1, v[8:9], v[10:11] offset0:4 offset1:6
	ds_write2st64_b64 v1, v[12:13], v[14:15] offset0:8 offset1:10
	ds_write_b64 v1, v[16:17] offset:6144
	s_waitcnt lgkmcnt(0)
	s_barrier
.LBB5188_18:
	v_mul_u32_u24_e32 v36, 7, v0
	v_lshlrev_b32_e32 v1, 3, v36
	s_waitcnt lgkmcnt(0)
	ds_read2_b64 v[2:5], v1 offset1:1
	ds_read2_b64 v[10:13], v1 offset0:2 offset1:3
	ds_read2_b64 v[6:9], v1 offset0:4 offset1:5
	ds_read_b64 v[28:29], v1 offset:48
	s_cmp_lg_u32 s6, 0
	v_lshrrev_b32_e32 v37, 5, v0
	v_cmp_gt_u32_e32 vcc, 64, v0
	s_waitcnt lgkmcnt(0)
	s_barrier
	s_cbranch_scc0 .LBB5188_49
; %bb.19:
	v_add_co_u32_e64 v1, s[0:1], v4, v2
	v_addc_co_u32_e64 v14, s[0:1], v5, v3, s[0:1]
	v_add_co_u32_e64 v1, s[0:1], v1, v10
	v_addc_co_u32_e64 v14, s[0:1], v14, v11, s[0:1]
	;; [unrolled: 2-line block ×6, first 2 shown]
	v_add_lshl_u32 v1, v37, v0, 3
	ds_write_b64 v1, v[18:19]
	s_waitcnt lgkmcnt(0)
	s_barrier
	s_and_saveexec_b64 s[8:9], vcc
	s_cbranch_execz .LBB5188_23
; %bb.20:
	v_lshlrev_b32_e32 v1, 1, v0
	v_lshrrev_b32_e32 v14, 4, v0
	v_add_lshl_u32 v20, v14, v1, 3
	ds_read2_b64 v[14:17], v20 offset1:1
	v_mbcnt_lo_u32_b32 v1, -1, 0
	s_waitcnt lgkmcnt(0)
	v_add_co_u32_e64 v21, s[0:1], v16, v14
	v_addc_co_u32_e64 v22, s[0:1], v17, v15, s[0:1]
	s_nop 0
	v_mov_b32_dpp v16, v21 row_shr:1 row_mask:0xf bank_mask:0xf
	v_add_co_u32_e64 v16, s[0:1], v21, v16
	v_addc_co_u32_e64 v24, s[0:1], 0, v22, s[0:1]
	v_mbcnt_hi_u32_b32 v17, -1, v1
	v_mov_b32_dpp v23, v22 row_shr:1 row_mask:0xf bank_mask:0xf
	v_add_co_u32_e64 v25, s[0:1], 0, v16
	v_and_b32_e32 v1, 15, v17
	v_addc_co_u32_e64 v23, s[0:1], v23, v24, s[0:1]
	v_cmp_eq_u32_e64 s[0:1], 0, v1
	v_cndmask_b32_e64 v16, v16, v21, s[0:1]
	v_cndmask_b32_e64 v23, v23, v22, s[0:1]
	v_cndmask_b32_e64 v24, v25, v21, s[0:1]
	v_mov_b32_dpp v25, v16 row_shr:2 row_mask:0xf bank_mask:0xf
	v_mov_b32_dpp v26, v23 row_shr:2 row_mask:0xf bank_mask:0xf
	v_add_co_u32_e64 v25, s[0:1], v25, v24
	v_addc_co_u32_e64 v26, s[0:1], v26, v23, s[0:1]
	v_cmp_lt_u32_e64 s[0:1], 1, v1
	v_cndmask_b32_e64 v16, v16, v25, s[0:1]
	v_cndmask_b32_e64 v23, v23, v26, s[0:1]
	v_cndmask_b32_e64 v24, v24, v25, s[0:1]
	v_mov_b32_dpp v25, v16 row_shr:4 row_mask:0xf bank_mask:0xf
	v_mov_b32_dpp v26, v23 row_shr:4 row_mask:0xf bank_mask:0xf
	v_add_co_u32_e64 v25, s[0:1], v25, v24
	v_addc_co_u32_e64 v26, s[0:1], v26, v23, s[0:1]
	v_cmp_lt_u32_e64 s[0:1], 3, v1
	;; [unrolled: 8-line block ×3, first 2 shown]
	v_cndmask_b32_e64 v27, v16, v25, s[0:1]
	v_cndmask_b32_e64 v1, v23, v26, s[0:1]
	;; [unrolled: 1-line block ×3, first 2 shown]
	v_mov_b32_dpp v23, v27 row_bcast:15 row_mask:0xf bank_mask:0xf
	v_mov_b32_dpp v24, v1 row_bcast:15 row_mask:0xf bank_mask:0xf
	v_add_co_u32_e64 v23, s[0:1], v23, v16
	v_and_b32_e32 v26, 16, v17
	v_addc_co_u32_e64 v25, s[0:1], v24, v1, s[0:1]
	v_cmp_eq_u32_e64 s[0:1], 0, v26
	v_cndmask_b32_e64 v26, v25, v1, s[0:1]
	v_cndmask_b32_e64 v24, v23, v27, s[0:1]
	v_cmp_ne_u32_e64 s[2:3], 0, v17
	v_mov_b32_dpp v26, v26 row_bcast:31 row_mask:0xf bank_mask:0xf
	v_mov_b32_dpp v24, v24 row_bcast:31 row_mask:0xf bank_mask:0xf
	s_and_saveexec_b64 s[10:11], s[2:3]
; %bb.21:
	v_cndmask_b32_e64 v1, v25, v1, s[0:1]
	v_cndmask_b32_e64 v16, v23, v16, s[0:1]
	v_cmp_lt_u32_e64 s[0:1], 31, v17
	v_cndmask_b32_e64 v21, 0, v24, s[0:1]
	v_cndmask_b32_e64 v22, 0, v26, s[0:1]
	v_add_co_u32_e64 v21, s[0:1], v21, v16
	v_addc_co_u32_e64 v22, s[0:1], v22, v1, s[0:1]
; %bb.22:
	s_or_b64 exec, exec, s[10:11]
	v_add_u32_e32 v1, -1, v17
	v_and_b32_e32 v16, 64, v17
	v_cmp_lt_i32_e64 s[0:1], v1, v16
	v_cndmask_b32_e64 v1, v1, v17, s[0:1]
	v_lshlrev_b32_e32 v1, 2, v1
	ds_bpermute_b32 v16, v1, v21
	ds_bpermute_b32 v1, v1, v22
	; wave barrier
	s_waitcnt lgkmcnt(1)
	v_add_co_u32_e64 v14, s[0:1], v14, v16
	v_addc_co_u32_e64 v15, s[0:1], 0, v15, s[0:1]
	v_add_co_u32_e64 v14, s[0:1], 0, v14
	s_waitcnt lgkmcnt(0)
	v_addc_co_u32_e64 v1, s[0:1], v15, v1, s[0:1]
	v_cmp_eq_u32_e64 s[0:1], 0, v0
	v_cndmask_b32_e64 v15, v1, v19, s[0:1]
	v_cndmask_b32_e64 v14, v14, v18, s[0:1]
	ds_write_b64 v20, v[14:15]
	; wave barrier
	ds_read_b64 v[16:17], v20 offset:8
	s_waitcnt lgkmcnt(0)
	v_add_co_u32_e64 v14, s[0:1], v16, v14
	v_addc_co_u32_e64 v15, s[0:1], v17, v15, s[0:1]
	ds_write_b64 v20, v[14:15] offset:8
.LBB5188_23:
	s_or_b64 exec, exec, s[8:9]
	v_cmp_eq_u32_e64 s[0:1], 0, v0
	v_cmp_ne_u32_e64 s[2:3], 0, v0
	v_pk_mov_b32 v[22:23], 0, 0
	s_waitcnt lgkmcnt(0)
	s_barrier
	s_and_saveexec_b64 s[8:9], s[2:3]
	s_cbranch_execz .LBB5188_25
; %bb.24:
	v_add_u32_e32 v1, -1, v0
	v_lshrrev_b32_e32 v14, 5, v1
	v_add_lshl_u32 v1, v14, v1, 3
	ds_read_b64 v[22:23], v1
.LBB5188_25:
	s_or_b64 exec, exec, s[8:9]
	s_and_saveexec_b64 s[16:17], vcc
	s_cbranch_execz .LBB5188_48
; %bb.26:
	v_mov_b32_e32 v17, 0
	ds_read_b64 v[14:15], v17 offset:1040
	v_mbcnt_lo_u32_b32 v1, -1, 0
	v_mbcnt_hi_u32_b32 v30, -1, v1
	s_mov_b32 s11, 0
	v_cmp_eq_u32_e64 s[2:3], 0, v30
	s_and_saveexec_b64 s[8:9], s[2:3]
	s_cbranch_execz .LBB5188_28
; %bb.27:
	s_add_i32 s10, s6, 64
	s_lshl_b64 s[10:11], s[10:11], 4
	s_add_u32 s10, s14, s10
	s_addc_u32 s11, s15, s11
	v_mov_b32_e32 v16, 1
	v_pk_mov_b32 v[18:19], s[10:11], s[10:11] op_sel:[0,1]
	s_waitcnt lgkmcnt(0)
	;;#ASMSTART
	global_store_dwordx4 v[18:19], v[14:17] off	
s_waitcnt vmcnt(0)
	;;#ASMEND
.LBB5188_28:
	s_or_b64 exec, exec, s[8:9]
	v_xad_u32 v24, v30, -1, s6
	v_add_u32_e32 v16, 64, v24
	v_lshlrev_b64 v[18:19], 4, v[16:17]
	v_mov_b32_e32 v1, s15
	v_add_co_u32_e32 v26, vcc, s14, v18
	v_addc_co_u32_e32 v27, vcc, v1, v19, vcc
	;;#ASMSTART
	global_load_dwordx4 v[18:21], v[26:27] off glc	
s_waitcnt vmcnt(0)
	;;#ASMEND
	v_and_b32_e32 v1, 0xff, v19
	v_and_b32_e32 v16, 0xff00, v19
	v_or3_b32 v1, 0, v1, v16
	v_or3_b32 v16, v18, 0, 0
	v_and_b32_e32 v18, 0xff000000, v19
	v_and_b32_e32 v19, 0xff0000, v19
	v_or3_b32 v19, v1, v19, v18
	v_or3_b32 v18, v16, 0, 0
	v_cmp_eq_u16_sdwa s[10:11], v20, v17 src0_sel:BYTE_0 src1_sel:DWORD
	s_and_saveexec_b64 s[8:9], s[10:11]
	s_cbranch_execz .LBB5188_34
; %bb.29:
	s_mov_b32 s7, 1
	s_mov_b64 s[10:11], 0
	v_mov_b32_e32 v1, 0
.LBB5188_30:                            ; =>This Loop Header: Depth=1
                                        ;     Child Loop BB5188_31 Depth 2
	s_max_u32 s20, s7, 1
.LBB5188_31:                            ;   Parent Loop BB5188_30 Depth=1
                                        ; =>  This Inner Loop Header: Depth=2
	s_add_i32 s20, s20, -1
	s_cmp_eq_u32 s20, 0
	s_sleep 1
	s_cbranch_scc0 .LBB5188_31
; %bb.32:                               ;   in Loop: Header=BB5188_30 Depth=1
	s_cmp_lt_u32 s7, 32
	s_cselect_b64 s[20:21], -1, 0
	s_cmp_lg_u64 s[20:21], 0
	s_addc_u32 s7, s7, 0
	;;#ASMSTART
	global_load_dwordx4 v[18:21], v[26:27] off glc	
s_waitcnt vmcnt(0)
	;;#ASMEND
	v_cmp_ne_u16_sdwa s[20:21], v20, v1 src0_sel:BYTE_0 src1_sel:DWORD
	s_or_b64 s[10:11], s[20:21], s[10:11]
	s_andn2_b64 exec, exec, s[10:11]
	s_cbranch_execnz .LBB5188_30
; %bb.33:
	s_or_b64 exec, exec, s[10:11]
.LBB5188_34:
	s_or_b64 exec, exec, s[8:9]
	v_and_b32_e32 v32, 63, v30
	v_cmp_ne_u32_e32 vcc, 63, v32
	v_addc_co_u32_e32 v26, vcc, 0, v30, vcc
	v_lshlrev_b32_e32 v33, 2, v26
	ds_bpermute_b32 v26, v33, v18
	v_mov_b32_e32 v1, 2
	v_cmp_eq_u16_sdwa s[8:9], v20, v1 src0_sel:BYTE_0 src1_sel:DWORD
	v_lshlrev_b64 v[16:17], v30, -1
	ds_bpermute_b32 v27, v33, v19
	v_and_b32_e32 v21, s9, v17
	v_or_b32_e32 v21, 0x80000000, v21
	s_waitcnt lgkmcnt(1)
	v_add_co_u32_e32 v26, vcc, v18, v26
	v_and_b32_e32 v25, s8, v16
	v_ffbl_b32_e32 v21, v21
	v_addc_co_u32_e32 v31, vcc, 0, v19, vcc
	v_add_u32_e32 v21, 32, v21
	v_ffbl_b32_e32 v25, v25
	v_add_co_u32_e32 v35, vcc, 0, v26
	v_cmp_gt_u32_e64 s[8:9], 62, v32
	v_min_u32_e32 v21, v25, v21
	s_waitcnt lgkmcnt(0)
	v_addc_co_u32_e32 v27, vcc, v27, v31, vcc
	v_cndmask_b32_e64 v31, 0, 1, s[8:9]
	v_cmp_lt_u32_e32 vcc, v32, v21
	v_lshlrev_b32_e32 v31, 1, v31
	v_cndmask_b32_e32 v26, v18, v26, vcc
	v_add_lshl_u32 v34, v31, v30, 2
	v_cndmask_b32_e32 v27, v19, v27, vcc
	ds_bpermute_b32 v31, v34, v26
	ds_bpermute_b32 v38, v34, v27
	v_cndmask_b32_e32 v39, v18, v35, vcc
	v_add_u32_e32 v35, 2, v32
	v_cmp_gt_u32_e64 s[10:11], 60, v32
	s_waitcnt lgkmcnt(1)
	v_add_co_u32_e64 v31, s[8:9], v31, v39
	s_waitcnt lgkmcnt(0)
	v_addc_co_u32_e64 v38, s[8:9], v38, v27, s[8:9]
	v_cmp_gt_u32_e64 s[8:9], v35, v21
	v_cndmask_b32_e64 v27, v38, v27, s[8:9]
	v_cndmask_b32_e64 v38, 0, 1, s[10:11]
	v_lshlrev_b32_e32 v38, 2, v38
	v_cndmask_b32_e64 v26, v31, v26, s[8:9]
	v_add_lshl_u32 v38, v38, v30, 2
	ds_bpermute_b32 v40, v38, v26
	ds_bpermute_b32 v41, v38, v27
	v_cndmask_b32_e64 v31, v31, v39, s[8:9]
	v_add_u32_e32 v39, 4, v32
	v_cmp_gt_u32_e64 s[10:11], 56, v32
	s_waitcnt lgkmcnt(1)
	v_add_co_u32_e64 v42, s[8:9], v40, v31
	s_waitcnt lgkmcnt(0)
	v_addc_co_u32_e64 v40, s[8:9], v41, v27, s[8:9]
	v_cmp_gt_u32_e64 s[8:9], v39, v21
	v_cndmask_b32_e64 v27, v40, v27, s[8:9]
	v_cndmask_b32_e64 v40, 0, 1, s[10:11]
	v_lshlrev_b32_e32 v40, 3, v40
	v_cndmask_b32_e64 v26, v42, v26, s[8:9]
	v_add_lshl_u32 v40, v40, v30, 2
	ds_bpermute_b32 v43, v40, v26
	v_cndmask_b32_e64 v31, v42, v31, s[8:9]
	ds_bpermute_b32 v42, v40, v27
	v_add_u32_e32 v41, 8, v32
	v_cmp_gt_u32_e64 s[10:11], 48, v32
	s_waitcnt lgkmcnt(1)
	v_add_co_u32_e64 v43, s[8:9], v43, v31
	s_waitcnt lgkmcnt(0)
	v_addc_co_u32_e64 v42, s[8:9], v42, v27, s[8:9]
	v_cmp_gt_u32_e64 s[8:9], v41, v21
	v_cndmask_b32_e64 v27, v42, v27, s[8:9]
	v_cndmask_b32_e64 v42, 0, 1, s[10:11]
	v_lshlrev_b32_e32 v42, 4, v42
	v_cndmask_b32_e64 v26, v43, v26, s[8:9]
	v_add_lshl_u32 v42, v42, v30, 2
	ds_bpermute_b32 v44, v42, v26
	ds_bpermute_b32 v45, v42, v27
	v_cndmask_b32_e64 v31, v43, v31, s[8:9]
	v_cmp_gt_u32_e64 s[10:11], 32, v32
	v_add_u32_e32 v43, 16, v32
	s_waitcnt lgkmcnt(1)
	v_add_co_u32_e64 v46, s[8:9], v44, v31
	s_waitcnt lgkmcnt(0)
	v_addc_co_u32_e64 v45, s[8:9], v45, v27, s[8:9]
	v_cndmask_b32_e64 v44, 0, 1, s[10:11]
	v_cmp_gt_u32_e64 s[8:9], v43, v21
	v_lshlrev_b32_e32 v44, 5, v44
	v_cndmask_b32_e64 v26, v46, v26, s[8:9]
	v_add_lshl_u32 v44, v44, v30, 2
	v_cndmask_b32_e64 v27, v45, v27, s[8:9]
	ds_bpermute_b32 v26, v44, v26
	ds_bpermute_b32 v30, v44, v27
	v_add_u32_e32 v45, 32, v32
	v_cndmask_b32_e64 v31, v46, v31, s[8:9]
	v_cmp_le_u32_e64 s[8:9], v45, v21
	s_waitcnt lgkmcnt(1)
	v_cndmask_b32_e64 v26, 0, v26, s[8:9]
	s_waitcnt lgkmcnt(0)
	v_cndmask_b32_e64 v21, 0, v30, s[8:9]
	v_add_co_u32_e64 v26, s[8:9], v26, v31
	v_addc_co_u32_e64 v21, s[8:9], v21, v27, s[8:9]
	v_mov_b32_e32 v25, 0
	v_cndmask_b32_e32 v19, v19, v21, vcc
	v_cndmask_b32_e32 v18, v18, v26, vcc
	s_branch .LBB5188_36
.LBB5188_35:                            ;   in Loop: Header=BB5188_36 Depth=1
	s_or_b64 exec, exec, s[8:9]
	v_cmp_eq_u16_sdwa s[8:9], v20, v1 src0_sel:BYTE_0 src1_sel:DWORD
	v_and_b32_e32 v21, s9, v17
	v_or_b32_e32 v21, 0x80000000, v21
	ds_bpermute_b32 v31, v33, v18
	v_and_b32_e32 v30, s8, v16
	v_ffbl_b32_e32 v21, v21
	v_add_u32_e32 v21, 32, v21
	v_ffbl_b32_e32 v30, v30
	v_min_u32_e32 v21, v30, v21
	ds_bpermute_b32 v30, v33, v19
	s_waitcnt lgkmcnt(1)
	v_add_co_u32_e32 v31, vcc, v18, v31
	v_addc_co_u32_e32 v46, vcc, 0, v19, vcc
	v_add_co_u32_e32 v47, vcc, 0, v31
	s_waitcnt lgkmcnt(0)
	v_addc_co_u32_e32 v30, vcc, v30, v46, vcc
	v_cmp_lt_u32_e32 vcc, v32, v21
	v_cndmask_b32_e32 v31, v18, v31, vcc
	ds_bpermute_b32 v46, v34, v31
	v_cndmask_b32_e32 v30, v19, v30, vcc
	ds_bpermute_b32 v48, v34, v30
	v_cndmask_b32_e32 v47, v18, v47, vcc
	v_subrev_u32_e32 v24, 64, v24
	s_waitcnt lgkmcnt(1)
	v_add_co_u32_e64 v46, s[8:9], v46, v47
	s_waitcnt lgkmcnt(0)
	v_addc_co_u32_e64 v48, s[8:9], v48, v30, s[8:9]
	v_cmp_gt_u32_e64 s[8:9], v35, v21
	v_cndmask_b32_e64 v31, v46, v31, s[8:9]
	ds_bpermute_b32 v49, v38, v31
	v_cndmask_b32_e64 v30, v48, v30, s[8:9]
	ds_bpermute_b32 v48, v38, v30
	v_cndmask_b32_e64 v46, v46, v47, s[8:9]
	s_waitcnt lgkmcnt(1)
	v_add_co_u32_e64 v47, s[8:9], v49, v46
	s_waitcnt lgkmcnt(0)
	v_addc_co_u32_e64 v48, s[8:9], v48, v30, s[8:9]
	v_cmp_gt_u32_e64 s[8:9], v39, v21
	v_cndmask_b32_e64 v31, v47, v31, s[8:9]
	ds_bpermute_b32 v49, v40, v31
	v_cndmask_b32_e64 v30, v48, v30, s[8:9]
	ds_bpermute_b32 v48, v40, v30
	v_cndmask_b32_e64 v46, v47, v46, s[8:9]
	;; [unrolled: 10-line block ×3, first 2 shown]
	s_waitcnt lgkmcnt(1)
	v_add_co_u32_e64 v47, s[8:9], v49, v46
	s_waitcnt lgkmcnt(0)
	v_addc_co_u32_e64 v48, s[8:9], v48, v30, s[8:9]
	v_cmp_gt_u32_e64 s[8:9], v43, v21
	v_cndmask_b32_e64 v31, v47, v31, s[8:9]
	v_cndmask_b32_e64 v30, v48, v30, s[8:9]
	ds_bpermute_b32 v31, v44, v31
	ds_bpermute_b32 v48, v44, v30
	v_cndmask_b32_e64 v46, v47, v46, s[8:9]
	v_cmp_le_u32_e64 s[8:9], v45, v21
	s_waitcnt lgkmcnt(1)
	v_cndmask_b32_e64 v31, 0, v31, s[8:9]
	s_waitcnt lgkmcnt(0)
	v_cndmask_b32_e64 v21, 0, v48, s[8:9]
	v_add_co_u32_e64 v31, s[8:9], v31, v46
	v_addc_co_u32_e64 v21, s[8:9], v21, v30, s[8:9]
	v_cndmask_b32_e32 v18, v18, v31, vcc
	v_cndmask_b32_e32 v19, v19, v21, vcc
	v_add_co_u32_e32 v18, vcc, v18, v26
	v_addc_co_u32_e32 v19, vcc, v19, v27, vcc
.LBB5188_36:                            ; =>This Loop Header: Depth=1
                                        ;     Child Loop BB5188_39 Depth 2
                                        ;       Child Loop BB5188_40 Depth 3
	v_cmp_ne_u16_sdwa s[8:9], v20, v1 src0_sel:BYTE_0 src1_sel:DWORD
	v_cndmask_b32_e64 v20, 0, 1, s[8:9]
	;;#ASMSTART
	;;#ASMEND
	v_cmp_ne_u32_e32 vcc, 0, v20
	s_cmp_lg_u64 vcc, exec
	v_pk_mov_b32 v[26:27], v[18:19], v[18:19] op_sel:[0,1]
	s_cbranch_scc1 .LBB5188_43
; %bb.37:                               ;   in Loop: Header=BB5188_36 Depth=1
	v_lshlrev_b64 v[18:19], 4, v[24:25]
	v_mov_b32_e32 v20, s15
	v_add_co_u32_e32 v30, vcc, s14, v18
	v_addc_co_u32_e32 v31, vcc, v20, v19, vcc
	;;#ASMSTART
	global_load_dwordx4 v[18:21], v[30:31] off glc	
s_waitcnt vmcnt(0)
	;;#ASMEND
	v_and_b32_e32 v21, 0xff, v19
	v_and_b32_e32 v46, 0xff00, v19
	v_or3_b32 v21, 0, v21, v46
	v_or3_b32 v18, v18, 0, 0
	v_and_b32_e32 v46, 0xff000000, v19
	v_and_b32_e32 v19, 0xff0000, v19
	v_or3_b32 v19, v21, v19, v46
	v_or3_b32 v18, v18, 0, 0
	v_cmp_eq_u16_sdwa s[10:11], v20, v25 src0_sel:BYTE_0 src1_sel:DWORD
	s_and_saveexec_b64 s[8:9], s[10:11]
	s_cbranch_execz .LBB5188_35
; %bb.38:                               ;   in Loop: Header=BB5188_36 Depth=1
	s_mov_b32 s7, 1
	s_mov_b64 s[10:11], 0
.LBB5188_39:                            ;   Parent Loop BB5188_36 Depth=1
                                        ; =>  This Loop Header: Depth=2
                                        ;       Child Loop BB5188_40 Depth 3
	s_max_u32 s20, s7, 1
.LBB5188_40:                            ;   Parent Loop BB5188_36 Depth=1
                                        ;     Parent Loop BB5188_39 Depth=2
                                        ; =>    This Inner Loop Header: Depth=3
	s_add_i32 s20, s20, -1
	s_cmp_eq_u32 s20, 0
	s_sleep 1
	s_cbranch_scc0 .LBB5188_40
; %bb.41:                               ;   in Loop: Header=BB5188_39 Depth=2
	s_cmp_lt_u32 s7, 32
	s_cselect_b64 s[20:21], -1, 0
	s_cmp_lg_u64 s[20:21], 0
	s_addc_u32 s7, s7, 0
	;;#ASMSTART
	global_load_dwordx4 v[18:21], v[30:31] off glc	
s_waitcnt vmcnt(0)
	;;#ASMEND
	v_cmp_ne_u16_sdwa s[20:21], v20, v25 src0_sel:BYTE_0 src1_sel:DWORD
	s_or_b64 s[10:11], s[20:21], s[10:11]
	s_andn2_b64 exec, exec, s[10:11]
	s_cbranch_execnz .LBB5188_39
; %bb.42:                               ;   in Loop: Header=BB5188_36 Depth=1
	s_or_b64 exec, exec, s[10:11]
	s_branch .LBB5188_35
.LBB5188_43:                            ;   in Loop: Header=BB5188_36 Depth=1
                                        ; implicit-def: $vgpr18_vgpr19
                                        ; implicit-def: $vgpr20
	s_cbranch_execz .LBB5188_36
; %bb.44:
	s_and_saveexec_b64 s[8:9], s[2:3]
	s_cbranch_execz .LBB5188_46
; %bb.45:
	s_add_i32 s2, s6, 64
	s_mov_b32 s3, 0
	s_lshl_b64 s[2:3], s[2:3], 4
	s_add_u32 s2, s14, s2
	v_add_co_u32_e32 v14, vcc, v26, v14
	s_addc_u32 s3, s15, s3
	v_addc_co_u32_e32 v15, vcc, v27, v15, vcc
	v_mov_b32_e32 v16, 2
	v_mov_b32_e32 v17, 0
	v_pk_mov_b32 v[18:19], s[2:3], s[2:3] op_sel:[0,1]
	;;#ASMSTART
	global_store_dwordx4 v[18:19], v[14:17] off	
s_waitcnt vmcnt(0)
	;;#ASMEND
.LBB5188_46:
	s_or_b64 exec, exec, s[8:9]
	s_and_b64 exec, exec, s[0:1]
	s_cbranch_execz .LBB5188_48
; %bb.47:
	v_mov_b32_e32 v1, 0
	ds_write_b64 v1, v[26:27]
.LBB5188_48:
	s_or_b64 exec, exec, s[16:17]
	v_mov_b32_e32 v1, 0
	s_waitcnt lgkmcnt(0)
	s_barrier
	ds_read_b64 v[14:15], v1
	v_add_co_u32_e32 v1, vcc, v22, v2
	v_addc_co_u32_e32 v16, vcc, v23, v3, vcc
	s_waitcnt lgkmcnt(0)
	v_add_co_u32_e32 v24, vcc, v1, v14
	v_addc_co_u32_e32 v25, vcc, v16, v15, vcc
	v_add_co_u32_e32 v30, vcc, v24, v4
	v_addc_co_u32_e32 v31, vcc, v25, v5, vcc
	;; [unrolled: 2-line block ×7, first 2 shown]
	s_load_dwordx8 s[4:11], s[4:5], 0x48
	s_branch .LBB5188_63
.LBB5188_49:
                                        ; implicit-def: $vgpr22_vgpr23
                                        ; implicit-def: $vgpr34_vgpr35
                                        ; implicit-def: $vgpr32_vgpr33
                                        ; implicit-def: $vgpr30_vgpr31
                                        ; implicit-def: $vgpr18_vgpr19_vgpr20_vgpr21
                                        ; implicit-def: $vgpr14_vgpr15_vgpr16_vgpr17
                                        ; implicit-def: $vgpr24_vgpr25_vgpr26_vgpr27
	s_load_dwordx8 s[4:11], s[4:5], 0x48
	s_cbranch_execz .LBB5188_63
; %bb.50:
	s_waitcnt lgkmcnt(0)
	s_cmp_lg_u64 s[8:9], 0
	s_cselect_b64 s[2:3], -1, 0
	v_cmp_eq_u32_e64 s[0:1], 0, v0
	v_cmp_ne_u32_e32 vcc, 0, v0
	s_and_b64 s[2:3], s[0:1], s[2:3]
	s_and_saveexec_b64 s[8:9], s[2:3]
	s_cbranch_execz .LBB5188_52
; %bb.51:
	v_mov_b32_e32 v1, 0
	global_load_dwordx2 v[14:15], v1, s[4:5]
	s_waitcnt vmcnt(0)
	v_add_co_u32_e64 v2, s[2:3], v14, v2
	v_addc_co_u32_e64 v3, s[2:3], v15, v3, s[2:3]
.LBB5188_52:
	s_or_b64 exec, exec, s[8:9]
	v_add_co_u32_e64 v30, s[2:3], v4, v2
	v_addc_co_u32_e64 v31, s[2:3], v5, v3, s[2:3]
	v_add_co_u32_e64 v14, s[2:3], v30, v10
	v_addc_co_u32_e64 v15, s[2:3], v31, v11, s[2:3]
	;; [unrolled: 2-line block ×6, first 2 shown]
	v_add_lshl_u32 v1, v37, v0, 3
	v_cmp_gt_u32_e64 s[2:3], 64, v0
	ds_write_b64 v1, v[22:23]
	s_waitcnt lgkmcnt(0)
	s_barrier
	s_and_saveexec_b64 s[8:9], s[2:3]
	s_cbranch_execz .LBB5188_56
; %bb.53:
	v_lshlrev_b32_e32 v1, 1, v0
	v_lshrrev_b32_e32 v16, 4, v0
	v_add_lshl_u32 v17, v16, v1, 3
	ds_read2_b64 v[24:27], v17 offset1:1
	v_mbcnt_lo_u32_b32 v1, -1, 0
	v_mbcnt_hi_u32_b32 v20, -1, v1
	v_and_b32_e32 v1, 15, v20
	v_cmp_ne_u32_e64 s[4:5], 0, v20
	s_waitcnt lgkmcnt(0)
	v_add_co_u32_e64 v21, s[2:3], v26, v24
	v_addc_co_u32_e64 v26, s[2:3], v27, v25, s[2:3]
	s_nop 0
	v_mov_b32_dpp v16, v21 row_shr:1 row_mask:0xf bank_mask:0xf
	v_add_co_u32_e64 v16, s[2:3], v21, v16
	v_addc_co_u32_e64 v37, s[2:3], 0, v26, s[2:3]
	v_mov_b32_dpp v27, v26 row_shr:1 row_mask:0xf bank_mask:0xf
	v_add_co_u32_e64 v38, s[2:3], 0, v16
	v_addc_co_u32_e64 v27, s[2:3], v27, v37, s[2:3]
	v_cmp_eq_u32_e64 s[2:3], 0, v1
	v_cndmask_b32_e64 v16, v16, v21, s[2:3]
	v_cndmask_b32_e64 v27, v27, v26, s[2:3]
	v_cndmask_b32_e64 v37, v38, v21, s[2:3]
	v_mov_b32_dpp v38, v16 row_shr:2 row_mask:0xf bank_mask:0xf
	v_mov_b32_dpp v39, v27 row_shr:2 row_mask:0xf bank_mask:0xf
	v_add_co_u32_e64 v38, s[2:3], v38, v37
	v_addc_co_u32_e64 v39, s[2:3], v39, v27, s[2:3]
	v_cmp_lt_u32_e64 s[2:3], 1, v1
	v_cndmask_b32_e64 v16, v16, v38, s[2:3]
	v_cndmask_b32_e64 v27, v27, v39, s[2:3]
	v_cndmask_b32_e64 v37, v37, v38, s[2:3]
	v_mov_b32_dpp v38, v16 row_shr:4 row_mask:0xf bank_mask:0xf
	v_mov_b32_dpp v39, v27 row_shr:4 row_mask:0xf bank_mask:0xf
	v_add_co_u32_e64 v38, s[2:3], v38, v37
	v_addc_co_u32_e64 v39, s[2:3], v39, v27, s[2:3]
	v_cmp_lt_u32_e64 s[2:3], 3, v1
	;; [unrolled: 8-line block ×3, first 2 shown]
	v_cndmask_b32_e64 v40, v16, v38, s[2:3]
	v_cndmask_b32_e64 v1, v27, v39, s[2:3]
	;; [unrolled: 1-line block ×3, first 2 shown]
	v_mov_b32_dpp v27, v40 row_bcast:15 row_mask:0xf bank_mask:0xf
	v_mov_b32_dpp v37, v1 row_bcast:15 row_mask:0xf bank_mask:0xf
	v_add_co_u32_e64 v27, s[2:3], v27, v16
	v_and_b32_e32 v39, 16, v20
	v_addc_co_u32_e64 v38, s[2:3], v37, v1, s[2:3]
	v_cmp_eq_u32_e64 s[2:3], 0, v39
	v_cndmask_b32_e64 v39, v38, v1, s[2:3]
	v_cndmask_b32_e64 v37, v27, v40, s[2:3]
	s_nop 0
	v_mov_b32_dpp v39, v39 row_bcast:31 row_mask:0xf bank_mask:0xf
	v_mov_b32_dpp v37, v37 row_bcast:31 row_mask:0xf bank_mask:0xf
	s_and_saveexec_b64 s[16:17], s[4:5]
; %bb.54:
	v_cndmask_b32_e64 v1, v38, v1, s[2:3]
	v_cndmask_b32_e64 v16, v27, v16, s[2:3]
	v_cmp_lt_u32_e64 s[2:3], 31, v20
	v_cndmask_b32_e64 v21, 0, v37, s[2:3]
	v_cndmask_b32_e64 v26, 0, v39, s[2:3]
	v_add_co_u32_e64 v21, s[2:3], v21, v16
	v_addc_co_u32_e64 v26, s[2:3], v26, v1, s[2:3]
; %bb.55:
	s_or_b64 exec, exec, s[16:17]
	v_add_u32_e32 v1, -1, v20
	v_and_b32_e32 v16, 64, v20
	v_cmp_lt_i32_e64 s[2:3], v1, v16
	v_cndmask_b32_e64 v1, v1, v20, s[2:3]
	v_lshlrev_b32_e32 v1, 2, v1
	ds_bpermute_b32 v16, v1, v21
	ds_bpermute_b32 v1, v1, v26
	; wave barrier
	s_waitcnt lgkmcnt(1)
	v_add_co_u32_e64 v16, s[2:3], v24, v16
	v_addc_co_u32_e64 v20, s[2:3], 0, v25, s[2:3]
	v_add_co_u32_e64 v16, s[2:3], 0, v16
	s_waitcnt lgkmcnt(0)
	v_addc_co_u32_e64 v1, s[2:3], v20, v1, s[2:3]
	v_cndmask_b32_e64 v21, v1, v23, s[0:1]
	v_cndmask_b32_e64 v20, v16, v22, s[0:1]
	ds_write_b64 v17, v[20:21]
	; wave barrier
	ds_read_b64 v[24:25], v17 offset:8
	s_waitcnt lgkmcnt(0)
	v_add_co_u32_e64 v20, s[0:1], v24, v20
	v_addc_co_u32_e64 v21, s[0:1], v25, v21, s[0:1]
	ds_write_b64 v17, v[20:21] offset:8
.LBB5188_56:
	s_or_b64 exec, exec, s[8:9]
	v_pk_mov_b32 v[16:17], v[22:23], v[22:23] op_sel:[0,1]
	s_waitcnt lgkmcnt(0)
	s_barrier
	s_and_saveexec_b64 s[0:1], vcc
	s_cbranch_execz .LBB5188_58
; %bb.57:
	v_add_u32_e32 v1, -1, v0
	v_lshrrev_b32_e32 v16, 5, v1
	v_add_lshl_u32 v1, v16, v1, 3
	ds_read_b64 v[16:17], v1
.LBB5188_58:
	s_or_b64 exec, exec, s[0:1]
	s_and_saveexec_b64 s[0:1], vcc
	s_cbranch_execz .LBB5188_60
; %bb.59:
	s_waitcnt lgkmcnt(0)
	v_add_co_u32_e32 v2, vcc, v16, v2
	v_addc_co_u32_e32 v3, vcc, v17, v3, vcc
	v_add_co_u32_e32 v30, vcc, v2, v4
	v_addc_co_u32_e32 v31, vcc, v3, v5, vcc
	;; [unrolled: 2-line block ×7, first 2 shown]
	;;#ASMSTART
	;;#ASMEND
.LBB5188_60:
	s_or_b64 exec, exec, s[0:1]
	s_movk_i32 s0, 0x7f
	v_cmp_eq_u32_e32 vcc, s0, v0
	s_and_saveexec_b64 s[0:1], vcc
	s_cbranch_execz .LBB5188_62
; %bb.61:
	s_add_u32 s2, s14, 0x400
	s_addc_u32 s3, s15, 0
	v_mov_b32_e32 v24, 2
	v_mov_b32_e32 v25, 0
	v_pk_mov_b32 v[4:5], s[2:3], s[2:3] op_sel:[0,1]
	;;#ASMSTART
	global_store_dwordx4 v[4:5], v[22:25] off	
s_waitcnt vmcnt(0)
	;;#ASMEND
.LBB5188_62:
	s_or_b64 exec, exec, s[0:1]
	v_pk_mov_b32 v[24:25], v[2:3], v[2:3] op_sel:[0,1]
.LBB5188_63:
	v_mul_u32_u24_e32 v2, 56, v0
	s_mov_b64 s[0:1], -1
	s_and_b64 vcc, exec, s[12:13]
	s_waitcnt lgkmcnt(0)
	s_barrier
	ds_write2_b64 v2, v[24:25], v[30:31] offset1:1
	ds_write2_b64 v2, v[14:15], v[32:33] offset0:2 offset1:3
	ds_write2_b64 v2, v[18:19], v[34:35] offset0:4 offset1:5
	ds_write_b64 v2, v[22:23] offset:48
	s_waitcnt lgkmcnt(0)
	s_cbranch_vccz .LBB5188_65
; %bb.64:
	s_barrier
	s_mov_b64 s[0:1], 0
.LBB5188_65:
	s_andn2_b64 vcc, exec, s[0:1]
	s_cbranch_vccnz .LBB5188_90
; %bb.66:
	v_cmp_lt_u64_e64 s[0:1], s[10:11], 2
	s_and_b64 vcc, exec, s[0:1]
	s_barrier
	s_cbranch_vccnz .LBB5188_90
; %bb.67:
	s_add_u32 s0, s18, -1
	s_addc_u32 s1, s19, -1
	s_add_u32 s2, 0, 0x92481000
	s_addc_u32 s3, 0, 0x64
	s_add_i32 s3, s3, 0x249248c0
	s_mul_hi_u32 s9, s2, -7
	s_sub_i32 s9, s9, s2
	s_mul_i32 s10, s3, -7
	s_mul_i32 s4, s2, -7
	s_add_i32 s9, s9, s10
	s_mul_hi_u32 s5, s3, s4
	s_mul_i32 s8, s3, s4
	s_mul_i32 s11, s2, s9
	s_mul_hi_u32 s4, s2, s4
	s_mul_hi_u32 s10, s2, s9
	s_add_u32 s4, s4, s11
	s_addc_u32 s10, 0, s10
	s_add_u32 s4, s4, s8
	s_mul_hi_u32 s11, s3, s9
	s_addc_u32 s4, s10, s5
	s_addc_u32 s5, s11, 0
	s_mul_i32 s8, s3, s9
	s_add_u32 s4, s4, s8
	v_mov_b32_e32 v3, s4
	s_addc_u32 s5, 0, s5
	v_add_co_u32_e32 v3, vcc, s2, v3
	s_cmp_lg_u64 vcc, 0
	s_addc_u32 s2, s3, s5
	v_readfirstlane_b32 s5, v3
	s_mul_i32 s4, s0, s2
	s_mul_hi_u32 s8, s0, s5
	s_mul_hi_u32 s3, s0, s2
	s_add_u32 s4, s8, s4
	s_addc_u32 s3, 0, s3
	s_mul_hi_u32 s9, s1, s5
	s_mul_i32 s5, s1, s5
	s_add_u32 s4, s4, s5
	s_mul_hi_u32 s8, s1, s2
	s_addc_u32 s3, s3, s9
	s_addc_u32 s4, s8, 0
	s_mul_i32 s2, s1, s2
	s_add_u32 s2, s3, s2
	s_addc_u32 s3, 0, s4
	s_add_u32 s4, s2, 1
	s_addc_u32 s5, s3, 0
	s_add_u32 s8, s2, 2
	s_mul_i32 s10, s3, 7
	s_mul_hi_u32 s11, s2, 7
	s_addc_u32 s9, s3, 0
	s_add_i32 s11, s11, s10
	s_mul_i32 s10, s2, 7
	v_mov_b32_e32 v3, s10
	v_sub_co_u32_e32 v3, vcc, s0, v3
	s_cmp_lg_u64 vcc, 0
	s_subb_u32 s10, s1, s11
	v_subrev_co_u32_e32 v4, vcc, 7, v3
	s_cmp_lg_u64 vcc, 0
	s_subb_u32 s11, s10, 0
	v_readfirstlane_b32 s12, v4
	s_cmp_gt_u32 s12, 6
	s_cselect_b32 s12, -1, 0
	s_cmp_eq_u32 s11, 0
	s_cselect_b32 s11, s12, -1
	s_cmp_lg_u32 s11, 0
	s_cselect_b32 s4, s8, s4
	v_readfirstlane_b32 s8, v3
	s_cselect_b32 s5, s9, s5
	s_cmp_gt_u32 s8, 6
	s_cselect_b32 s8, -1, 0
	s_cmp_eq_u32 s10, 0
	s_cselect_b32 s8, s8, -1
	s_cmp_lg_u32 s8, 0
	v_mov_b32_e32 v1, 0
	s_cselect_b32 s3, s5, s3
	s_cselect_b32 s2, s4, s2
	v_cmp_eq_u64_e32 vcc, s[2:3], v[0:1]
	s_and_saveexec_b64 s[2:3], vcc
	s_cbranch_execz .LBB5188_90
; %bb.68:
	s_movk_i32 s2, 0xffd0
	v_mad_i32_i24 v2, v0, s2, v2
	v_mul_hi_u32_u24_e32 v1, 7, v0
	v_mov_b32_e32 v3, s1
	v_sub_co_u32_e32 v0, vcc, s0, v36
	v_subb_co_u32_e32 v1, vcc, v3, v1, vcc
	v_cmp_lt_i64_e32 vcc, 3, v[0:1]
	s_and_saveexec_b64 s[0:1], vcc
	s_xor_b64 s[0:1], exec, s[0:1]
	s_cbranch_execz .LBB5188_78
; %bb.69:
	v_cmp_lt_i64_e32 vcc, 4, v[0:1]
	s_and_saveexec_b64 s[2:3], vcc
	s_xor_b64 s[2:3], exec, s[2:3]
	s_cbranch_execz .LBB5188_75
; %bb.70:
	;; [unrolled: 5-line block ×3, first 2 shown]
	ds_read_b64 v[0:1], v2 offset:6144
	v_mov_b32_e32 v2, 0
	s_waitcnt lgkmcnt(0)
	global_store_dwordx2 v2, v[0:1], s[6:7]
                                        ; implicit-def: $vgpr2
.LBB5188_72:
	s_andn2_saveexec_b64 s[4:5], s[4:5]
	s_cbranch_execz .LBB5188_74
; %bb.73:
	ds_read_b64 v[0:1], v2 offset:5120
	v_mov_b32_e32 v2, 0
	s_waitcnt lgkmcnt(0)
	global_store_dwordx2 v2, v[0:1], s[6:7]
.LBB5188_74:
	s_or_b64 exec, exec, s[4:5]
                                        ; implicit-def: $vgpr2
.LBB5188_75:
	s_andn2_saveexec_b64 s[2:3], s[2:3]
	s_cbranch_execz .LBB5188_77
; %bb.76:
	ds_read_b64 v[0:1], v2 offset:4096
	v_mov_b32_e32 v2, 0
	s_waitcnt lgkmcnt(0)
	global_store_dwordx2 v2, v[0:1], s[6:7]
.LBB5188_77:
	s_or_b64 exec, exec, s[2:3]
                                        ; implicit-def: $vgpr0_vgpr1
                                        ; implicit-def: $vgpr2
.LBB5188_78:
	s_andn2_saveexec_b64 s[0:1], s[0:1]
	s_cbranch_execz .LBB5188_90
; %bb.79:
	v_cmp_lt_i64_e32 vcc, 1, v[0:1]
	s_and_saveexec_b64 s[0:1], vcc
	s_xor_b64 s[0:1], exec, s[0:1]
	s_cbranch_execz .LBB5188_85
; %bb.80:
	v_cmp_lt_i64_e32 vcc, 2, v[0:1]
	s_and_saveexec_b64 s[2:3], vcc
	s_xor_b64 s[2:3], exec, s[2:3]
	s_cbranch_execz .LBB5188_82
; %bb.81:
	ds_read_b64 v[0:1], v2 offset:3072
	v_mov_b32_e32 v2, 0
	s_waitcnt lgkmcnt(0)
	global_store_dwordx2 v2, v[0:1], s[6:7]
                                        ; implicit-def: $vgpr2
.LBB5188_82:
	s_andn2_saveexec_b64 s[2:3], s[2:3]
	s_cbranch_execz .LBB5188_84
; %bb.83:
	ds_read_b64 v[0:1], v2 offset:2048
	v_mov_b32_e32 v2, 0
	s_waitcnt lgkmcnt(0)
	global_store_dwordx2 v2, v[0:1], s[6:7]
.LBB5188_84:
	s_or_b64 exec, exec, s[2:3]
                                        ; implicit-def: $vgpr2
                                        ; implicit-def: $vgpr0_vgpr1
.LBB5188_85:
	s_andn2_saveexec_b64 s[0:1], s[0:1]
	s_cbranch_execz .LBB5188_90
; %bb.86:
	v_cmp_ne_u64_e32 vcc, 1, v[0:1]
	s_and_saveexec_b64 s[0:1], vcc
	s_xor_b64 s[0:1], exec, s[0:1]
	s_cbranch_execz .LBB5188_88
; %bb.87:
	ds_read_b64 v[0:1], v2
	v_mov_b32_e32 v2, 0
	s_waitcnt lgkmcnt(0)
	global_store_dwordx2 v2, v[0:1], s[6:7]
                                        ; implicit-def: $vgpr2
.LBB5188_88:
	s_andn2_saveexec_b64 s[0:1], s[0:1]
	s_cbranch_execz .LBB5188_90
; %bb.89:
	ds_read_b64 v[0:1], v2 offset:1024
	v_mov_b32_e32 v2, 0
	s_waitcnt lgkmcnt(0)
	global_store_dwordx2 v2, v[0:1], s[6:7]
.LBB5188_90:
	s_endpgm
	.section	.rodata,"a",@progbits
	.p2align	6, 0x0
	.amdhsa_kernel _ZN7rocprim17ROCPRIM_400000_NS6detail17trampoline_kernelINS0_14default_configENS1_20scan_config_selectorIyEEZZNS1_9scan_implILNS1_25lookback_scan_determinismE0ELb0ELb0ES3_N6thrust23THRUST_200600_302600_NS6detail15normal_iteratorINS9_10device_ptrIyEEEENS9_16discard_iteratorINS9_11use_defaultEEEyNS9_4plusIvEEyEEDaPvRmT3_T4_T5_mT6_P12ihipStream_tbENKUlT_T0_E_clISt17integral_constantIbLb1EESW_IbLb0EEEEDaSS_ST_EUlSS_E_NS1_11comp_targetILNS1_3genE4ELNS1_11target_archE910ELNS1_3gpuE8ELNS1_3repE0EEENS1_30default_config_static_selectorELNS0_4arch9wavefront6targetE1EEEvT1_
		.amdhsa_group_segment_fixed_size 7168
		.amdhsa_private_segment_fixed_size 0
		.amdhsa_kernarg_size 112
		.amdhsa_user_sgpr_count 6
		.amdhsa_user_sgpr_private_segment_buffer 1
		.amdhsa_user_sgpr_dispatch_ptr 0
		.amdhsa_user_sgpr_queue_ptr 0
		.amdhsa_user_sgpr_kernarg_segment_ptr 1
		.amdhsa_user_sgpr_dispatch_id 0
		.amdhsa_user_sgpr_flat_scratch_init 0
		.amdhsa_user_sgpr_kernarg_preload_length 0
		.amdhsa_user_sgpr_kernarg_preload_offset 0
		.amdhsa_user_sgpr_private_segment_size 0
		.amdhsa_uses_dynamic_stack 0
		.amdhsa_system_sgpr_private_segment_wavefront_offset 0
		.amdhsa_system_sgpr_workgroup_id_x 1
		.amdhsa_system_sgpr_workgroup_id_y 0
		.amdhsa_system_sgpr_workgroup_id_z 0
		.amdhsa_system_sgpr_workgroup_info 0
		.amdhsa_system_vgpr_workitem_id 0
		.amdhsa_next_free_vgpr 50
		.amdhsa_next_free_sgpr 22
		.amdhsa_accum_offset 52
		.amdhsa_reserve_vcc 1
		.amdhsa_reserve_flat_scratch 0
		.amdhsa_float_round_mode_32 0
		.amdhsa_float_round_mode_16_64 0
		.amdhsa_float_denorm_mode_32 3
		.amdhsa_float_denorm_mode_16_64 3
		.amdhsa_dx10_clamp 1
		.amdhsa_ieee_mode 1
		.amdhsa_fp16_overflow 0
		.amdhsa_tg_split 0
		.amdhsa_exception_fp_ieee_invalid_op 0
		.amdhsa_exception_fp_denorm_src 0
		.amdhsa_exception_fp_ieee_div_zero 0
		.amdhsa_exception_fp_ieee_overflow 0
		.amdhsa_exception_fp_ieee_underflow 0
		.amdhsa_exception_fp_ieee_inexact 0
		.amdhsa_exception_int_div_zero 0
	.end_amdhsa_kernel
	.section	.text._ZN7rocprim17ROCPRIM_400000_NS6detail17trampoline_kernelINS0_14default_configENS1_20scan_config_selectorIyEEZZNS1_9scan_implILNS1_25lookback_scan_determinismE0ELb0ELb0ES3_N6thrust23THRUST_200600_302600_NS6detail15normal_iteratorINS9_10device_ptrIyEEEENS9_16discard_iteratorINS9_11use_defaultEEEyNS9_4plusIvEEyEEDaPvRmT3_T4_T5_mT6_P12ihipStream_tbENKUlT_T0_E_clISt17integral_constantIbLb1EESW_IbLb0EEEEDaSS_ST_EUlSS_E_NS1_11comp_targetILNS1_3genE4ELNS1_11target_archE910ELNS1_3gpuE8ELNS1_3repE0EEENS1_30default_config_static_selectorELNS0_4arch9wavefront6targetE1EEEvT1_,"axG",@progbits,_ZN7rocprim17ROCPRIM_400000_NS6detail17trampoline_kernelINS0_14default_configENS1_20scan_config_selectorIyEEZZNS1_9scan_implILNS1_25lookback_scan_determinismE0ELb0ELb0ES3_N6thrust23THRUST_200600_302600_NS6detail15normal_iteratorINS9_10device_ptrIyEEEENS9_16discard_iteratorINS9_11use_defaultEEEyNS9_4plusIvEEyEEDaPvRmT3_T4_T5_mT6_P12ihipStream_tbENKUlT_T0_E_clISt17integral_constantIbLb1EESW_IbLb0EEEEDaSS_ST_EUlSS_E_NS1_11comp_targetILNS1_3genE4ELNS1_11target_archE910ELNS1_3gpuE8ELNS1_3repE0EEENS1_30default_config_static_selectorELNS0_4arch9wavefront6targetE1EEEvT1_,comdat
.Lfunc_end5188:
	.size	_ZN7rocprim17ROCPRIM_400000_NS6detail17trampoline_kernelINS0_14default_configENS1_20scan_config_selectorIyEEZZNS1_9scan_implILNS1_25lookback_scan_determinismE0ELb0ELb0ES3_N6thrust23THRUST_200600_302600_NS6detail15normal_iteratorINS9_10device_ptrIyEEEENS9_16discard_iteratorINS9_11use_defaultEEEyNS9_4plusIvEEyEEDaPvRmT3_T4_T5_mT6_P12ihipStream_tbENKUlT_T0_E_clISt17integral_constantIbLb1EESW_IbLb0EEEEDaSS_ST_EUlSS_E_NS1_11comp_targetILNS1_3genE4ELNS1_11target_archE910ELNS1_3gpuE8ELNS1_3repE0EEENS1_30default_config_static_selectorELNS0_4arch9wavefront6targetE1EEEvT1_, .Lfunc_end5188-_ZN7rocprim17ROCPRIM_400000_NS6detail17trampoline_kernelINS0_14default_configENS1_20scan_config_selectorIyEEZZNS1_9scan_implILNS1_25lookback_scan_determinismE0ELb0ELb0ES3_N6thrust23THRUST_200600_302600_NS6detail15normal_iteratorINS9_10device_ptrIyEEEENS9_16discard_iteratorINS9_11use_defaultEEEyNS9_4plusIvEEyEEDaPvRmT3_T4_T5_mT6_P12ihipStream_tbENKUlT_T0_E_clISt17integral_constantIbLb1EESW_IbLb0EEEEDaSS_ST_EUlSS_E_NS1_11comp_targetILNS1_3genE4ELNS1_11target_archE910ELNS1_3gpuE8ELNS1_3repE0EEENS1_30default_config_static_selectorELNS0_4arch9wavefront6targetE1EEEvT1_
                                        ; -- End function
	.section	.AMDGPU.csdata,"",@progbits
; Kernel info:
; codeLenInByte = 5480
; NumSgprs: 26
; NumVgprs: 50
; NumAgprs: 0
; TotalNumVgprs: 50
; ScratchSize: 0
; MemoryBound: 0
; FloatMode: 240
; IeeeMode: 1
; LDSByteSize: 7168 bytes/workgroup (compile time only)
; SGPRBlocks: 3
; VGPRBlocks: 6
; NumSGPRsForWavesPerEU: 26
; NumVGPRsForWavesPerEU: 50
; AccumOffset: 52
; Occupancy: 5
; WaveLimiterHint : 1
; COMPUTE_PGM_RSRC2:SCRATCH_EN: 0
; COMPUTE_PGM_RSRC2:USER_SGPR: 6
; COMPUTE_PGM_RSRC2:TRAP_HANDLER: 0
; COMPUTE_PGM_RSRC2:TGID_X_EN: 1
; COMPUTE_PGM_RSRC2:TGID_Y_EN: 0
; COMPUTE_PGM_RSRC2:TGID_Z_EN: 0
; COMPUTE_PGM_RSRC2:TIDIG_COMP_CNT: 0
; COMPUTE_PGM_RSRC3_GFX90A:ACCUM_OFFSET: 12
; COMPUTE_PGM_RSRC3_GFX90A:TG_SPLIT: 0
	.section	.text._ZN7rocprim17ROCPRIM_400000_NS6detail17trampoline_kernelINS0_14default_configENS1_20scan_config_selectorIyEEZZNS1_9scan_implILNS1_25lookback_scan_determinismE0ELb0ELb0ES3_N6thrust23THRUST_200600_302600_NS6detail15normal_iteratorINS9_10device_ptrIyEEEENS9_16discard_iteratorINS9_11use_defaultEEEyNS9_4plusIvEEyEEDaPvRmT3_T4_T5_mT6_P12ihipStream_tbENKUlT_T0_E_clISt17integral_constantIbLb1EESW_IbLb0EEEEDaSS_ST_EUlSS_E_NS1_11comp_targetILNS1_3genE3ELNS1_11target_archE908ELNS1_3gpuE7ELNS1_3repE0EEENS1_30default_config_static_selectorELNS0_4arch9wavefront6targetE1EEEvT1_,"axG",@progbits,_ZN7rocprim17ROCPRIM_400000_NS6detail17trampoline_kernelINS0_14default_configENS1_20scan_config_selectorIyEEZZNS1_9scan_implILNS1_25lookback_scan_determinismE0ELb0ELb0ES3_N6thrust23THRUST_200600_302600_NS6detail15normal_iteratorINS9_10device_ptrIyEEEENS9_16discard_iteratorINS9_11use_defaultEEEyNS9_4plusIvEEyEEDaPvRmT3_T4_T5_mT6_P12ihipStream_tbENKUlT_T0_E_clISt17integral_constantIbLb1EESW_IbLb0EEEEDaSS_ST_EUlSS_E_NS1_11comp_targetILNS1_3genE3ELNS1_11target_archE908ELNS1_3gpuE7ELNS1_3repE0EEENS1_30default_config_static_selectorELNS0_4arch9wavefront6targetE1EEEvT1_,comdat
	.protected	_ZN7rocprim17ROCPRIM_400000_NS6detail17trampoline_kernelINS0_14default_configENS1_20scan_config_selectorIyEEZZNS1_9scan_implILNS1_25lookback_scan_determinismE0ELb0ELb0ES3_N6thrust23THRUST_200600_302600_NS6detail15normal_iteratorINS9_10device_ptrIyEEEENS9_16discard_iteratorINS9_11use_defaultEEEyNS9_4plusIvEEyEEDaPvRmT3_T4_T5_mT6_P12ihipStream_tbENKUlT_T0_E_clISt17integral_constantIbLb1EESW_IbLb0EEEEDaSS_ST_EUlSS_E_NS1_11comp_targetILNS1_3genE3ELNS1_11target_archE908ELNS1_3gpuE7ELNS1_3repE0EEENS1_30default_config_static_selectorELNS0_4arch9wavefront6targetE1EEEvT1_ ; -- Begin function _ZN7rocprim17ROCPRIM_400000_NS6detail17trampoline_kernelINS0_14default_configENS1_20scan_config_selectorIyEEZZNS1_9scan_implILNS1_25lookback_scan_determinismE0ELb0ELb0ES3_N6thrust23THRUST_200600_302600_NS6detail15normal_iteratorINS9_10device_ptrIyEEEENS9_16discard_iteratorINS9_11use_defaultEEEyNS9_4plusIvEEyEEDaPvRmT3_T4_T5_mT6_P12ihipStream_tbENKUlT_T0_E_clISt17integral_constantIbLb1EESW_IbLb0EEEEDaSS_ST_EUlSS_E_NS1_11comp_targetILNS1_3genE3ELNS1_11target_archE908ELNS1_3gpuE7ELNS1_3repE0EEENS1_30default_config_static_selectorELNS0_4arch9wavefront6targetE1EEEvT1_
	.globl	_ZN7rocprim17ROCPRIM_400000_NS6detail17trampoline_kernelINS0_14default_configENS1_20scan_config_selectorIyEEZZNS1_9scan_implILNS1_25lookback_scan_determinismE0ELb0ELb0ES3_N6thrust23THRUST_200600_302600_NS6detail15normal_iteratorINS9_10device_ptrIyEEEENS9_16discard_iteratorINS9_11use_defaultEEEyNS9_4plusIvEEyEEDaPvRmT3_T4_T5_mT6_P12ihipStream_tbENKUlT_T0_E_clISt17integral_constantIbLb1EESW_IbLb0EEEEDaSS_ST_EUlSS_E_NS1_11comp_targetILNS1_3genE3ELNS1_11target_archE908ELNS1_3gpuE7ELNS1_3repE0EEENS1_30default_config_static_selectorELNS0_4arch9wavefront6targetE1EEEvT1_
	.p2align	8
	.type	_ZN7rocprim17ROCPRIM_400000_NS6detail17trampoline_kernelINS0_14default_configENS1_20scan_config_selectorIyEEZZNS1_9scan_implILNS1_25lookback_scan_determinismE0ELb0ELb0ES3_N6thrust23THRUST_200600_302600_NS6detail15normal_iteratorINS9_10device_ptrIyEEEENS9_16discard_iteratorINS9_11use_defaultEEEyNS9_4plusIvEEyEEDaPvRmT3_T4_T5_mT6_P12ihipStream_tbENKUlT_T0_E_clISt17integral_constantIbLb1EESW_IbLb0EEEEDaSS_ST_EUlSS_E_NS1_11comp_targetILNS1_3genE3ELNS1_11target_archE908ELNS1_3gpuE7ELNS1_3repE0EEENS1_30default_config_static_selectorELNS0_4arch9wavefront6targetE1EEEvT1_,@function
_ZN7rocprim17ROCPRIM_400000_NS6detail17trampoline_kernelINS0_14default_configENS1_20scan_config_selectorIyEEZZNS1_9scan_implILNS1_25lookback_scan_determinismE0ELb0ELb0ES3_N6thrust23THRUST_200600_302600_NS6detail15normal_iteratorINS9_10device_ptrIyEEEENS9_16discard_iteratorINS9_11use_defaultEEEyNS9_4plusIvEEyEEDaPvRmT3_T4_T5_mT6_P12ihipStream_tbENKUlT_T0_E_clISt17integral_constantIbLb1EESW_IbLb0EEEEDaSS_ST_EUlSS_E_NS1_11comp_targetILNS1_3genE3ELNS1_11target_archE908ELNS1_3gpuE7ELNS1_3repE0EEENS1_30default_config_static_selectorELNS0_4arch9wavefront6targetE1EEEvT1_: ; @_ZN7rocprim17ROCPRIM_400000_NS6detail17trampoline_kernelINS0_14default_configENS1_20scan_config_selectorIyEEZZNS1_9scan_implILNS1_25lookback_scan_determinismE0ELb0ELb0ES3_N6thrust23THRUST_200600_302600_NS6detail15normal_iteratorINS9_10device_ptrIyEEEENS9_16discard_iteratorINS9_11use_defaultEEEyNS9_4plusIvEEyEEDaPvRmT3_T4_T5_mT6_P12ihipStream_tbENKUlT_T0_E_clISt17integral_constantIbLb1EESW_IbLb0EEEEDaSS_ST_EUlSS_E_NS1_11comp_targetILNS1_3genE3ELNS1_11target_archE908ELNS1_3gpuE7ELNS1_3repE0EEENS1_30default_config_static_selectorELNS0_4arch9wavefront6targetE1EEEvT1_
; %bb.0:
	.section	.rodata,"a",@progbits
	.p2align	6, 0x0
	.amdhsa_kernel _ZN7rocprim17ROCPRIM_400000_NS6detail17trampoline_kernelINS0_14default_configENS1_20scan_config_selectorIyEEZZNS1_9scan_implILNS1_25lookback_scan_determinismE0ELb0ELb0ES3_N6thrust23THRUST_200600_302600_NS6detail15normal_iteratorINS9_10device_ptrIyEEEENS9_16discard_iteratorINS9_11use_defaultEEEyNS9_4plusIvEEyEEDaPvRmT3_T4_T5_mT6_P12ihipStream_tbENKUlT_T0_E_clISt17integral_constantIbLb1EESW_IbLb0EEEEDaSS_ST_EUlSS_E_NS1_11comp_targetILNS1_3genE3ELNS1_11target_archE908ELNS1_3gpuE7ELNS1_3repE0EEENS1_30default_config_static_selectorELNS0_4arch9wavefront6targetE1EEEvT1_
		.amdhsa_group_segment_fixed_size 0
		.amdhsa_private_segment_fixed_size 0
		.amdhsa_kernarg_size 112
		.amdhsa_user_sgpr_count 6
		.amdhsa_user_sgpr_private_segment_buffer 1
		.amdhsa_user_sgpr_dispatch_ptr 0
		.amdhsa_user_sgpr_queue_ptr 0
		.amdhsa_user_sgpr_kernarg_segment_ptr 1
		.amdhsa_user_sgpr_dispatch_id 0
		.amdhsa_user_sgpr_flat_scratch_init 0
		.amdhsa_user_sgpr_kernarg_preload_length 0
		.amdhsa_user_sgpr_kernarg_preload_offset 0
		.amdhsa_user_sgpr_private_segment_size 0
		.amdhsa_uses_dynamic_stack 0
		.amdhsa_system_sgpr_private_segment_wavefront_offset 0
		.amdhsa_system_sgpr_workgroup_id_x 1
		.amdhsa_system_sgpr_workgroup_id_y 0
		.amdhsa_system_sgpr_workgroup_id_z 0
		.amdhsa_system_sgpr_workgroup_info 0
		.amdhsa_system_vgpr_workitem_id 0
		.amdhsa_next_free_vgpr 1
		.amdhsa_next_free_sgpr 0
		.amdhsa_accum_offset 4
		.amdhsa_reserve_vcc 0
		.amdhsa_reserve_flat_scratch 0
		.amdhsa_float_round_mode_32 0
		.amdhsa_float_round_mode_16_64 0
		.amdhsa_float_denorm_mode_32 3
		.amdhsa_float_denorm_mode_16_64 3
		.amdhsa_dx10_clamp 1
		.amdhsa_ieee_mode 1
		.amdhsa_fp16_overflow 0
		.amdhsa_tg_split 0
		.amdhsa_exception_fp_ieee_invalid_op 0
		.amdhsa_exception_fp_denorm_src 0
		.amdhsa_exception_fp_ieee_div_zero 0
		.amdhsa_exception_fp_ieee_overflow 0
		.amdhsa_exception_fp_ieee_underflow 0
		.amdhsa_exception_fp_ieee_inexact 0
		.amdhsa_exception_int_div_zero 0
	.end_amdhsa_kernel
	.section	.text._ZN7rocprim17ROCPRIM_400000_NS6detail17trampoline_kernelINS0_14default_configENS1_20scan_config_selectorIyEEZZNS1_9scan_implILNS1_25lookback_scan_determinismE0ELb0ELb0ES3_N6thrust23THRUST_200600_302600_NS6detail15normal_iteratorINS9_10device_ptrIyEEEENS9_16discard_iteratorINS9_11use_defaultEEEyNS9_4plusIvEEyEEDaPvRmT3_T4_T5_mT6_P12ihipStream_tbENKUlT_T0_E_clISt17integral_constantIbLb1EESW_IbLb0EEEEDaSS_ST_EUlSS_E_NS1_11comp_targetILNS1_3genE3ELNS1_11target_archE908ELNS1_3gpuE7ELNS1_3repE0EEENS1_30default_config_static_selectorELNS0_4arch9wavefront6targetE1EEEvT1_,"axG",@progbits,_ZN7rocprim17ROCPRIM_400000_NS6detail17trampoline_kernelINS0_14default_configENS1_20scan_config_selectorIyEEZZNS1_9scan_implILNS1_25lookback_scan_determinismE0ELb0ELb0ES3_N6thrust23THRUST_200600_302600_NS6detail15normal_iteratorINS9_10device_ptrIyEEEENS9_16discard_iteratorINS9_11use_defaultEEEyNS9_4plusIvEEyEEDaPvRmT3_T4_T5_mT6_P12ihipStream_tbENKUlT_T0_E_clISt17integral_constantIbLb1EESW_IbLb0EEEEDaSS_ST_EUlSS_E_NS1_11comp_targetILNS1_3genE3ELNS1_11target_archE908ELNS1_3gpuE7ELNS1_3repE0EEENS1_30default_config_static_selectorELNS0_4arch9wavefront6targetE1EEEvT1_,comdat
.Lfunc_end5189:
	.size	_ZN7rocprim17ROCPRIM_400000_NS6detail17trampoline_kernelINS0_14default_configENS1_20scan_config_selectorIyEEZZNS1_9scan_implILNS1_25lookback_scan_determinismE0ELb0ELb0ES3_N6thrust23THRUST_200600_302600_NS6detail15normal_iteratorINS9_10device_ptrIyEEEENS9_16discard_iteratorINS9_11use_defaultEEEyNS9_4plusIvEEyEEDaPvRmT3_T4_T5_mT6_P12ihipStream_tbENKUlT_T0_E_clISt17integral_constantIbLb1EESW_IbLb0EEEEDaSS_ST_EUlSS_E_NS1_11comp_targetILNS1_3genE3ELNS1_11target_archE908ELNS1_3gpuE7ELNS1_3repE0EEENS1_30default_config_static_selectorELNS0_4arch9wavefront6targetE1EEEvT1_, .Lfunc_end5189-_ZN7rocprim17ROCPRIM_400000_NS6detail17trampoline_kernelINS0_14default_configENS1_20scan_config_selectorIyEEZZNS1_9scan_implILNS1_25lookback_scan_determinismE0ELb0ELb0ES3_N6thrust23THRUST_200600_302600_NS6detail15normal_iteratorINS9_10device_ptrIyEEEENS9_16discard_iteratorINS9_11use_defaultEEEyNS9_4plusIvEEyEEDaPvRmT3_T4_T5_mT6_P12ihipStream_tbENKUlT_T0_E_clISt17integral_constantIbLb1EESW_IbLb0EEEEDaSS_ST_EUlSS_E_NS1_11comp_targetILNS1_3genE3ELNS1_11target_archE908ELNS1_3gpuE7ELNS1_3repE0EEENS1_30default_config_static_selectorELNS0_4arch9wavefront6targetE1EEEvT1_
                                        ; -- End function
	.section	.AMDGPU.csdata,"",@progbits
; Kernel info:
; codeLenInByte = 0
; NumSgprs: 4
; NumVgprs: 0
; NumAgprs: 0
; TotalNumVgprs: 0
; ScratchSize: 0
; MemoryBound: 0
; FloatMode: 240
; IeeeMode: 1
; LDSByteSize: 0 bytes/workgroup (compile time only)
; SGPRBlocks: 0
; VGPRBlocks: 0
; NumSGPRsForWavesPerEU: 4
; NumVGPRsForWavesPerEU: 1
; AccumOffset: 4
; Occupancy: 8
; WaveLimiterHint : 0
; COMPUTE_PGM_RSRC2:SCRATCH_EN: 0
; COMPUTE_PGM_RSRC2:USER_SGPR: 6
; COMPUTE_PGM_RSRC2:TRAP_HANDLER: 0
; COMPUTE_PGM_RSRC2:TGID_X_EN: 1
; COMPUTE_PGM_RSRC2:TGID_Y_EN: 0
; COMPUTE_PGM_RSRC2:TGID_Z_EN: 0
; COMPUTE_PGM_RSRC2:TIDIG_COMP_CNT: 0
; COMPUTE_PGM_RSRC3_GFX90A:ACCUM_OFFSET: 0
; COMPUTE_PGM_RSRC3_GFX90A:TG_SPLIT: 0
	.section	.text._ZN7rocprim17ROCPRIM_400000_NS6detail17trampoline_kernelINS0_14default_configENS1_20scan_config_selectorIyEEZZNS1_9scan_implILNS1_25lookback_scan_determinismE0ELb0ELb0ES3_N6thrust23THRUST_200600_302600_NS6detail15normal_iteratorINS9_10device_ptrIyEEEENS9_16discard_iteratorINS9_11use_defaultEEEyNS9_4plusIvEEyEEDaPvRmT3_T4_T5_mT6_P12ihipStream_tbENKUlT_T0_E_clISt17integral_constantIbLb1EESW_IbLb0EEEEDaSS_ST_EUlSS_E_NS1_11comp_targetILNS1_3genE2ELNS1_11target_archE906ELNS1_3gpuE6ELNS1_3repE0EEENS1_30default_config_static_selectorELNS0_4arch9wavefront6targetE1EEEvT1_,"axG",@progbits,_ZN7rocprim17ROCPRIM_400000_NS6detail17trampoline_kernelINS0_14default_configENS1_20scan_config_selectorIyEEZZNS1_9scan_implILNS1_25lookback_scan_determinismE0ELb0ELb0ES3_N6thrust23THRUST_200600_302600_NS6detail15normal_iteratorINS9_10device_ptrIyEEEENS9_16discard_iteratorINS9_11use_defaultEEEyNS9_4plusIvEEyEEDaPvRmT3_T4_T5_mT6_P12ihipStream_tbENKUlT_T0_E_clISt17integral_constantIbLb1EESW_IbLb0EEEEDaSS_ST_EUlSS_E_NS1_11comp_targetILNS1_3genE2ELNS1_11target_archE906ELNS1_3gpuE6ELNS1_3repE0EEENS1_30default_config_static_selectorELNS0_4arch9wavefront6targetE1EEEvT1_,comdat
	.protected	_ZN7rocprim17ROCPRIM_400000_NS6detail17trampoline_kernelINS0_14default_configENS1_20scan_config_selectorIyEEZZNS1_9scan_implILNS1_25lookback_scan_determinismE0ELb0ELb0ES3_N6thrust23THRUST_200600_302600_NS6detail15normal_iteratorINS9_10device_ptrIyEEEENS9_16discard_iteratorINS9_11use_defaultEEEyNS9_4plusIvEEyEEDaPvRmT3_T4_T5_mT6_P12ihipStream_tbENKUlT_T0_E_clISt17integral_constantIbLb1EESW_IbLb0EEEEDaSS_ST_EUlSS_E_NS1_11comp_targetILNS1_3genE2ELNS1_11target_archE906ELNS1_3gpuE6ELNS1_3repE0EEENS1_30default_config_static_selectorELNS0_4arch9wavefront6targetE1EEEvT1_ ; -- Begin function _ZN7rocprim17ROCPRIM_400000_NS6detail17trampoline_kernelINS0_14default_configENS1_20scan_config_selectorIyEEZZNS1_9scan_implILNS1_25lookback_scan_determinismE0ELb0ELb0ES3_N6thrust23THRUST_200600_302600_NS6detail15normal_iteratorINS9_10device_ptrIyEEEENS9_16discard_iteratorINS9_11use_defaultEEEyNS9_4plusIvEEyEEDaPvRmT3_T4_T5_mT6_P12ihipStream_tbENKUlT_T0_E_clISt17integral_constantIbLb1EESW_IbLb0EEEEDaSS_ST_EUlSS_E_NS1_11comp_targetILNS1_3genE2ELNS1_11target_archE906ELNS1_3gpuE6ELNS1_3repE0EEENS1_30default_config_static_selectorELNS0_4arch9wavefront6targetE1EEEvT1_
	.globl	_ZN7rocprim17ROCPRIM_400000_NS6detail17trampoline_kernelINS0_14default_configENS1_20scan_config_selectorIyEEZZNS1_9scan_implILNS1_25lookback_scan_determinismE0ELb0ELb0ES3_N6thrust23THRUST_200600_302600_NS6detail15normal_iteratorINS9_10device_ptrIyEEEENS9_16discard_iteratorINS9_11use_defaultEEEyNS9_4plusIvEEyEEDaPvRmT3_T4_T5_mT6_P12ihipStream_tbENKUlT_T0_E_clISt17integral_constantIbLb1EESW_IbLb0EEEEDaSS_ST_EUlSS_E_NS1_11comp_targetILNS1_3genE2ELNS1_11target_archE906ELNS1_3gpuE6ELNS1_3repE0EEENS1_30default_config_static_selectorELNS0_4arch9wavefront6targetE1EEEvT1_
	.p2align	8
	.type	_ZN7rocprim17ROCPRIM_400000_NS6detail17trampoline_kernelINS0_14default_configENS1_20scan_config_selectorIyEEZZNS1_9scan_implILNS1_25lookback_scan_determinismE0ELb0ELb0ES3_N6thrust23THRUST_200600_302600_NS6detail15normal_iteratorINS9_10device_ptrIyEEEENS9_16discard_iteratorINS9_11use_defaultEEEyNS9_4plusIvEEyEEDaPvRmT3_T4_T5_mT6_P12ihipStream_tbENKUlT_T0_E_clISt17integral_constantIbLb1EESW_IbLb0EEEEDaSS_ST_EUlSS_E_NS1_11comp_targetILNS1_3genE2ELNS1_11target_archE906ELNS1_3gpuE6ELNS1_3repE0EEENS1_30default_config_static_selectorELNS0_4arch9wavefront6targetE1EEEvT1_,@function
_ZN7rocprim17ROCPRIM_400000_NS6detail17trampoline_kernelINS0_14default_configENS1_20scan_config_selectorIyEEZZNS1_9scan_implILNS1_25lookback_scan_determinismE0ELb0ELb0ES3_N6thrust23THRUST_200600_302600_NS6detail15normal_iteratorINS9_10device_ptrIyEEEENS9_16discard_iteratorINS9_11use_defaultEEEyNS9_4plusIvEEyEEDaPvRmT3_T4_T5_mT6_P12ihipStream_tbENKUlT_T0_E_clISt17integral_constantIbLb1EESW_IbLb0EEEEDaSS_ST_EUlSS_E_NS1_11comp_targetILNS1_3genE2ELNS1_11target_archE906ELNS1_3gpuE6ELNS1_3repE0EEENS1_30default_config_static_selectorELNS0_4arch9wavefront6targetE1EEEvT1_: ; @_ZN7rocprim17ROCPRIM_400000_NS6detail17trampoline_kernelINS0_14default_configENS1_20scan_config_selectorIyEEZZNS1_9scan_implILNS1_25lookback_scan_determinismE0ELb0ELb0ES3_N6thrust23THRUST_200600_302600_NS6detail15normal_iteratorINS9_10device_ptrIyEEEENS9_16discard_iteratorINS9_11use_defaultEEEyNS9_4plusIvEEyEEDaPvRmT3_T4_T5_mT6_P12ihipStream_tbENKUlT_T0_E_clISt17integral_constantIbLb1EESW_IbLb0EEEEDaSS_ST_EUlSS_E_NS1_11comp_targetILNS1_3genE2ELNS1_11target_archE906ELNS1_3gpuE6ELNS1_3repE0EEENS1_30default_config_static_selectorELNS0_4arch9wavefront6targetE1EEEvT1_
; %bb.0:
	.section	.rodata,"a",@progbits
	.p2align	6, 0x0
	.amdhsa_kernel _ZN7rocprim17ROCPRIM_400000_NS6detail17trampoline_kernelINS0_14default_configENS1_20scan_config_selectorIyEEZZNS1_9scan_implILNS1_25lookback_scan_determinismE0ELb0ELb0ES3_N6thrust23THRUST_200600_302600_NS6detail15normal_iteratorINS9_10device_ptrIyEEEENS9_16discard_iteratorINS9_11use_defaultEEEyNS9_4plusIvEEyEEDaPvRmT3_T4_T5_mT6_P12ihipStream_tbENKUlT_T0_E_clISt17integral_constantIbLb1EESW_IbLb0EEEEDaSS_ST_EUlSS_E_NS1_11comp_targetILNS1_3genE2ELNS1_11target_archE906ELNS1_3gpuE6ELNS1_3repE0EEENS1_30default_config_static_selectorELNS0_4arch9wavefront6targetE1EEEvT1_
		.amdhsa_group_segment_fixed_size 0
		.amdhsa_private_segment_fixed_size 0
		.amdhsa_kernarg_size 112
		.amdhsa_user_sgpr_count 6
		.amdhsa_user_sgpr_private_segment_buffer 1
		.amdhsa_user_sgpr_dispatch_ptr 0
		.amdhsa_user_sgpr_queue_ptr 0
		.amdhsa_user_sgpr_kernarg_segment_ptr 1
		.amdhsa_user_sgpr_dispatch_id 0
		.amdhsa_user_sgpr_flat_scratch_init 0
		.amdhsa_user_sgpr_kernarg_preload_length 0
		.amdhsa_user_sgpr_kernarg_preload_offset 0
		.amdhsa_user_sgpr_private_segment_size 0
		.amdhsa_uses_dynamic_stack 0
		.amdhsa_system_sgpr_private_segment_wavefront_offset 0
		.amdhsa_system_sgpr_workgroup_id_x 1
		.amdhsa_system_sgpr_workgroup_id_y 0
		.amdhsa_system_sgpr_workgroup_id_z 0
		.amdhsa_system_sgpr_workgroup_info 0
		.amdhsa_system_vgpr_workitem_id 0
		.amdhsa_next_free_vgpr 1
		.amdhsa_next_free_sgpr 0
		.amdhsa_accum_offset 4
		.amdhsa_reserve_vcc 0
		.amdhsa_reserve_flat_scratch 0
		.amdhsa_float_round_mode_32 0
		.amdhsa_float_round_mode_16_64 0
		.amdhsa_float_denorm_mode_32 3
		.amdhsa_float_denorm_mode_16_64 3
		.amdhsa_dx10_clamp 1
		.amdhsa_ieee_mode 1
		.amdhsa_fp16_overflow 0
		.amdhsa_tg_split 0
		.amdhsa_exception_fp_ieee_invalid_op 0
		.amdhsa_exception_fp_denorm_src 0
		.amdhsa_exception_fp_ieee_div_zero 0
		.amdhsa_exception_fp_ieee_overflow 0
		.amdhsa_exception_fp_ieee_underflow 0
		.amdhsa_exception_fp_ieee_inexact 0
		.amdhsa_exception_int_div_zero 0
	.end_amdhsa_kernel
	.section	.text._ZN7rocprim17ROCPRIM_400000_NS6detail17trampoline_kernelINS0_14default_configENS1_20scan_config_selectorIyEEZZNS1_9scan_implILNS1_25lookback_scan_determinismE0ELb0ELb0ES3_N6thrust23THRUST_200600_302600_NS6detail15normal_iteratorINS9_10device_ptrIyEEEENS9_16discard_iteratorINS9_11use_defaultEEEyNS9_4plusIvEEyEEDaPvRmT3_T4_T5_mT6_P12ihipStream_tbENKUlT_T0_E_clISt17integral_constantIbLb1EESW_IbLb0EEEEDaSS_ST_EUlSS_E_NS1_11comp_targetILNS1_3genE2ELNS1_11target_archE906ELNS1_3gpuE6ELNS1_3repE0EEENS1_30default_config_static_selectorELNS0_4arch9wavefront6targetE1EEEvT1_,"axG",@progbits,_ZN7rocprim17ROCPRIM_400000_NS6detail17trampoline_kernelINS0_14default_configENS1_20scan_config_selectorIyEEZZNS1_9scan_implILNS1_25lookback_scan_determinismE0ELb0ELb0ES3_N6thrust23THRUST_200600_302600_NS6detail15normal_iteratorINS9_10device_ptrIyEEEENS9_16discard_iteratorINS9_11use_defaultEEEyNS9_4plusIvEEyEEDaPvRmT3_T4_T5_mT6_P12ihipStream_tbENKUlT_T0_E_clISt17integral_constantIbLb1EESW_IbLb0EEEEDaSS_ST_EUlSS_E_NS1_11comp_targetILNS1_3genE2ELNS1_11target_archE906ELNS1_3gpuE6ELNS1_3repE0EEENS1_30default_config_static_selectorELNS0_4arch9wavefront6targetE1EEEvT1_,comdat
.Lfunc_end5190:
	.size	_ZN7rocprim17ROCPRIM_400000_NS6detail17trampoline_kernelINS0_14default_configENS1_20scan_config_selectorIyEEZZNS1_9scan_implILNS1_25lookback_scan_determinismE0ELb0ELb0ES3_N6thrust23THRUST_200600_302600_NS6detail15normal_iteratorINS9_10device_ptrIyEEEENS9_16discard_iteratorINS9_11use_defaultEEEyNS9_4plusIvEEyEEDaPvRmT3_T4_T5_mT6_P12ihipStream_tbENKUlT_T0_E_clISt17integral_constantIbLb1EESW_IbLb0EEEEDaSS_ST_EUlSS_E_NS1_11comp_targetILNS1_3genE2ELNS1_11target_archE906ELNS1_3gpuE6ELNS1_3repE0EEENS1_30default_config_static_selectorELNS0_4arch9wavefront6targetE1EEEvT1_, .Lfunc_end5190-_ZN7rocprim17ROCPRIM_400000_NS6detail17trampoline_kernelINS0_14default_configENS1_20scan_config_selectorIyEEZZNS1_9scan_implILNS1_25lookback_scan_determinismE0ELb0ELb0ES3_N6thrust23THRUST_200600_302600_NS6detail15normal_iteratorINS9_10device_ptrIyEEEENS9_16discard_iteratorINS9_11use_defaultEEEyNS9_4plusIvEEyEEDaPvRmT3_T4_T5_mT6_P12ihipStream_tbENKUlT_T0_E_clISt17integral_constantIbLb1EESW_IbLb0EEEEDaSS_ST_EUlSS_E_NS1_11comp_targetILNS1_3genE2ELNS1_11target_archE906ELNS1_3gpuE6ELNS1_3repE0EEENS1_30default_config_static_selectorELNS0_4arch9wavefront6targetE1EEEvT1_
                                        ; -- End function
	.section	.AMDGPU.csdata,"",@progbits
; Kernel info:
; codeLenInByte = 0
; NumSgprs: 4
; NumVgprs: 0
; NumAgprs: 0
; TotalNumVgprs: 0
; ScratchSize: 0
; MemoryBound: 0
; FloatMode: 240
; IeeeMode: 1
; LDSByteSize: 0 bytes/workgroup (compile time only)
; SGPRBlocks: 0
; VGPRBlocks: 0
; NumSGPRsForWavesPerEU: 4
; NumVGPRsForWavesPerEU: 1
; AccumOffset: 4
; Occupancy: 8
; WaveLimiterHint : 0
; COMPUTE_PGM_RSRC2:SCRATCH_EN: 0
; COMPUTE_PGM_RSRC2:USER_SGPR: 6
; COMPUTE_PGM_RSRC2:TRAP_HANDLER: 0
; COMPUTE_PGM_RSRC2:TGID_X_EN: 1
; COMPUTE_PGM_RSRC2:TGID_Y_EN: 0
; COMPUTE_PGM_RSRC2:TGID_Z_EN: 0
; COMPUTE_PGM_RSRC2:TIDIG_COMP_CNT: 0
; COMPUTE_PGM_RSRC3_GFX90A:ACCUM_OFFSET: 0
; COMPUTE_PGM_RSRC3_GFX90A:TG_SPLIT: 0
	.section	.text._ZN7rocprim17ROCPRIM_400000_NS6detail17trampoline_kernelINS0_14default_configENS1_20scan_config_selectorIyEEZZNS1_9scan_implILNS1_25lookback_scan_determinismE0ELb0ELb0ES3_N6thrust23THRUST_200600_302600_NS6detail15normal_iteratorINS9_10device_ptrIyEEEENS9_16discard_iteratorINS9_11use_defaultEEEyNS9_4plusIvEEyEEDaPvRmT3_T4_T5_mT6_P12ihipStream_tbENKUlT_T0_E_clISt17integral_constantIbLb1EESW_IbLb0EEEEDaSS_ST_EUlSS_E_NS1_11comp_targetILNS1_3genE10ELNS1_11target_archE1201ELNS1_3gpuE5ELNS1_3repE0EEENS1_30default_config_static_selectorELNS0_4arch9wavefront6targetE1EEEvT1_,"axG",@progbits,_ZN7rocprim17ROCPRIM_400000_NS6detail17trampoline_kernelINS0_14default_configENS1_20scan_config_selectorIyEEZZNS1_9scan_implILNS1_25lookback_scan_determinismE0ELb0ELb0ES3_N6thrust23THRUST_200600_302600_NS6detail15normal_iteratorINS9_10device_ptrIyEEEENS9_16discard_iteratorINS9_11use_defaultEEEyNS9_4plusIvEEyEEDaPvRmT3_T4_T5_mT6_P12ihipStream_tbENKUlT_T0_E_clISt17integral_constantIbLb1EESW_IbLb0EEEEDaSS_ST_EUlSS_E_NS1_11comp_targetILNS1_3genE10ELNS1_11target_archE1201ELNS1_3gpuE5ELNS1_3repE0EEENS1_30default_config_static_selectorELNS0_4arch9wavefront6targetE1EEEvT1_,comdat
	.protected	_ZN7rocprim17ROCPRIM_400000_NS6detail17trampoline_kernelINS0_14default_configENS1_20scan_config_selectorIyEEZZNS1_9scan_implILNS1_25lookback_scan_determinismE0ELb0ELb0ES3_N6thrust23THRUST_200600_302600_NS6detail15normal_iteratorINS9_10device_ptrIyEEEENS9_16discard_iteratorINS9_11use_defaultEEEyNS9_4plusIvEEyEEDaPvRmT3_T4_T5_mT6_P12ihipStream_tbENKUlT_T0_E_clISt17integral_constantIbLb1EESW_IbLb0EEEEDaSS_ST_EUlSS_E_NS1_11comp_targetILNS1_3genE10ELNS1_11target_archE1201ELNS1_3gpuE5ELNS1_3repE0EEENS1_30default_config_static_selectorELNS0_4arch9wavefront6targetE1EEEvT1_ ; -- Begin function _ZN7rocprim17ROCPRIM_400000_NS6detail17trampoline_kernelINS0_14default_configENS1_20scan_config_selectorIyEEZZNS1_9scan_implILNS1_25lookback_scan_determinismE0ELb0ELb0ES3_N6thrust23THRUST_200600_302600_NS6detail15normal_iteratorINS9_10device_ptrIyEEEENS9_16discard_iteratorINS9_11use_defaultEEEyNS9_4plusIvEEyEEDaPvRmT3_T4_T5_mT6_P12ihipStream_tbENKUlT_T0_E_clISt17integral_constantIbLb1EESW_IbLb0EEEEDaSS_ST_EUlSS_E_NS1_11comp_targetILNS1_3genE10ELNS1_11target_archE1201ELNS1_3gpuE5ELNS1_3repE0EEENS1_30default_config_static_selectorELNS0_4arch9wavefront6targetE1EEEvT1_
	.globl	_ZN7rocprim17ROCPRIM_400000_NS6detail17trampoline_kernelINS0_14default_configENS1_20scan_config_selectorIyEEZZNS1_9scan_implILNS1_25lookback_scan_determinismE0ELb0ELb0ES3_N6thrust23THRUST_200600_302600_NS6detail15normal_iteratorINS9_10device_ptrIyEEEENS9_16discard_iteratorINS9_11use_defaultEEEyNS9_4plusIvEEyEEDaPvRmT3_T4_T5_mT6_P12ihipStream_tbENKUlT_T0_E_clISt17integral_constantIbLb1EESW_IbLb0EEEEDaSS_ST_EUlSS_E_NS1_11comp_targetILNS1_3genE10ELNS1_11target_archE1201ELNS1_3gpuE5ELNS1_3repE0EEENS1_30default_config_static_selectorELNS0_4arch9wavefront6targetE1EEEvT1_
	.p2align	8
	.type	_ZN7rocprim17ROCPRIM_400000_NS6detail17trampoline_kernelINS0_14default_configENS1_20scan_config_selectorIyEEZZNS1_9scan_implILNS1_25lookback_scan_determinismE0ELb0ELb0ES3_N6thrust23THRUST_200600_302600_NS6detail15normal_iteratorINS9_10device_ptrIyEEEENS9_16discard_iteratorINS9_11use_defaultEEEyNS9_4plusIvEEyEEDaPvRmT3_T4_T5_mT6_P12ihipStream_tbENKUlT_T0_E_clISt17integral_constantIbLb1EESW_IbLb0EEEEDaSS_ST_EUlSS_E_NS1_11comp_targetILNS1_3genE10ELNS1_11target_archE1201ELNS1_3gpuE5ELNS1_3repE0EEENS1_30default_config_static_selectorELNS0_4arch9wavefront6targetE1EEEvT1_,@function
_ZN7rocprim17ROCPRIM_400000_NS6detail17trampoline_kernelINS0_14default_configENS1_20scan_config_selectorIyEEZZNS1_9scan_implILNS1_25lookback_scan_determinismE0ELb0ELb0ES3_N6thrust23THRUST_200600_302600_NS6detail15normal_iteratorINS9_10device_ptrIyEEEENS9_16discard_iteratorINS9_11use_defaultEEEyNS9_4plusIvEEyEEDaPvRmT3_T4_T5_mT6_P12ihipStream_tbENKUlT_T0_E_clISt17integral_constantIbLb1EESW_IbLb0EEEEDaSS_ST_EUlSS_E_NS1_11comp_targetILNS1_3genE10ELNS1_11target_archE1201ELNS1_3gpuE5ELNS1_3repE0EEENS1_30default_config_static_selectorELNS0_4arch9wavefront6targetE1EEEvT1_: ; @_ZN7rocprim17ROCPRIM_400000_NS6detail17trampoline_kernelINS0_14default_configENS1_20scan_config_selectorIyEEZZNS1_9scan_implILNS1_25lookback_scan_determinismE0ELb0ELb0ES3_N6thrust23THRUST_200600_302600_NS6detail15normal_iteratorINS9_10device_ptrIyEEEENS9_16discard_iteratorINS9_11use_defaultEEEyNS9_4plusIvEEyEEDaPvRmT3_T4_T5_mT6_P12ihipStream_tbENKUlT_T0_E_clISt17integral_constantIbLb1EESW_IbLb0EEEEDaSS_ST_EUlSS_E_NS1_11comp_targetILNS1_3genE10ELNS1_11target_archE1201ELNS1_3gpuE5ELNS1_3repE0EEENS1_30default_config_static_selectorELNS0_4arch9wavefront6targetE1EEEvT1_
; %bb.0:
	.section	.rodata,"a",@progbits
	.p2align	6, 0x0
	.amdhsa_kernel _ZN7rocprim17ROCPRIM_400000_NS6detail17trampoline_kernelINS0_14default_configENS1_20scan_config_selectorIyEEZZNS1_9scan_implILNS1_25lookback_scan_determinismE0ELb0ELb0ES3_N6thrust23THRUST_200600_302600_NS6detail15normal_iteratorINS9_10device_ptrIyEEEENS9_16discard_iteratorINS9_11use_defaultEEEyNS9_4plusIvEEyEEDaPvRmT3_T4_T5_mT6_P12ihipStream_tbENKUlT_T0_E_clISt17integral_constantIbLb1EESW_IbLb0EEEEDaSS_ST_EUlSS_E_NS1_11comp_targetILNS1_3genE10ELNS1_11target_archE1201ELNS1_3gpuE5ELNS1_3repE0EEENS1_30default_config_static_selectorELNS0_4arch9wavefront6targetE1EEEvT1_
		.amdhsa_group_segment_fixed_size 0
		.amdhsa_private_segment_fixed_size 0
		.amdhsa_kernarg_size 112
		.amdhsa_user_sgpr_count 6
		.amdhsa_user_sgpr_private_segment_buffer 1
		.amdhsa_user_sgpr_dispatch_ptr 0
		.amdhsa_user_sgpr_queue_ptr 0
		.amdhsa_user_sgpr_kernarg_segment_ptr 1
		.amdhsa_user_sgpr_dispatch_id 0
		.amdhsa_user_sgpr_flat_scratch_init 0
		.amdhsa_user_sgpr_kernarg_preload_length 0
		.amdhsa_user_sgpr_kernarg_preload_offset 0
		.amdhsa_user_sgpr_private_segment_size 0
		.amdhsa_uses_dynamic_stack 0
		.amdhsa_system_sgpr_private_segment_wavefront_offset 0
		.amdhsa_system_sgpr_workgroup_id_x 1
		.amdhsa_system_sgpr_workgroup_id_y 0
		.amdhsa_system_sgpr_workgroup_id_z 0
		.amdhsa_system_sgpr_workgroup_info 0
		.amdhsa_system_vgpr_workitem_id 0
		.amdhsa_next_free_vgpr 1
		.amdhsa_next_free_sgpr 0
		.amdhsa_accum_offset 4
		.amdhsa_reserve_vcc 0
		.amdhsa_reserve_flat_scratch 0
		.amdhsa_float_round_mode_32 0
		.amdhsa_float_round_mode_16_64 0
		.amdhsa_float_denorm_mode_32 3
		.amdhsa_float_denorm_mode_16_64 3
		.amdhsa_dx10_clamp 1
		.amdhsa_ieee_mode 1
		.amdhsa_fp16_overflow 0
		.amdhsa_tg_split 0
		.amdhsa_exception_fp_ieee_invalid_op 0
		.amdhsa_exception_fp_denorm_src 0
		.amdhsa_exception_fp_ieee_div_zero 0
		.amdhsa_exception_fp_ieee_overflow 0
		.amdhsa_exception_fp_ieee_underflow 0
		.amdhsa_exception_fp_ieee_inexact 0
		.amdhsa_exception_int_div_zero 0
	.end_amdhsa_kernel
	.section	.text._ZN7rocprim17ROCPRIM_400000_NS6detail17trampoline_kernelINS0_14default_configENS1_20scan_config_selectorIyEEZZNS1_9scan_implILNS1_25lookback_scan_determinismE0ELb0ELb0ES3_N6thrust23THRUST_200600_302600_NS6detail15normal_iteratorINS9_10device_ptrIyEEEENS9_16discard_iteratorINS9_11use_defaultEEEyNS9_4plusIvEEyEEDaPvRmT3_T4_T5_mT6_P12ihipStream_tbENKUlT_T0_E_clISt17integral_constantIbLb1EESW_IbLb0EEEEDaSS_ST_EUlSS_E_NS1_11comp_targetILNS1_3genE10ELNS1_11target_archE1201ELNS1_3gpuE5ELNS1_3repE0EEENS1_30default_config_static_selectorELNS0_4arch9wavefront6targetE1EEEvT1_,"axG",@progbits,_ZN7rocprim17ROCPRIM_400000_NS6detail17trampoline_kernelINS0_14default_configENS1_20scan_config_selectorIyEEZZNS1_9scan_implILNS1_25lookback_scan_determinismE0ELb0ELb0ES3_N6thrust23THRUST_200600_302600_NS6detail15normal_iteratorINS9_10device_ptrIyEEEENS9_16discard_iteratorINS9_11use_defaultEEEyNS9_4plusIvEEyEEDaPvRmT3_T4_T5_mT6_P12ihipStream_tbENKUlT_T0_E_clISt17integral_constantIbLb1EESW_IbLb0EEEEDaSS_ST_EUlSS_E_NS1_11comp_targetILNS1_3genE10ELNS1_11target_archE1201ELNS1_3gpuE5ELNS1_3repE0EEENS1_30default_config_static_selectorELNS0_4arch9wavefront6targetE1EEEvT1_,comdat
.Lfunc_end5191:
	.size	_ZN7rocprim17ROCPRIM_400000_NS6detail17trampoline_kernelINS0_14default_configENS1_20scan_config_selectorIyEEZZNS1_9scan_implILNS1_25lookback_scan_determinismE0ELb0ELb0ES3_N6thrust23THRUST_200600_302600_NS6detail15normal_iteratorINS9_10device_ptrIyEEEENS9_16discard_iteratorINS9_11use_defaultEEEyNS9_4plusIvEEyEEDaPvRmT3_T4_T5_mT6_P12ihipStream_tbENKUlT_T0_E_clISt17integral_constantIbLb1EESW_IbLb0EEEEDaSS_ST_EUlSS_E_NS1_11comp_targetILNS1_3genE10ELNS1_11target_archE1201ELNS1_3gpuE5ELNS1_3repE0EEENS1_30default_config_static_selectorELNS0_4arch9wavefront6targetE1EEEvT1_, .Lfunc_end5191-_ZN7rocprim17ROCPRIM_400000_NS6detail17trampoline_kernelINS0_14default_configENS1_20scan_config_selectorIyEEZZNS1_9scan_implILNS1_25lookback_scan_determinismE0ELb0ELb0ES3_N6thrust23THRUST_200600_302600_NS6detail15normal_iteratorINS9_10device_ptrIyEEEENS9_16discard_iteratorINS9_11use_defaultEEEyNS9_4plusIvEEyEEDaPvRmT3_T4_T5_mT6_P12ihipStream_tbENKUlT_T0_E_clISt17integral_constantIbLb1EESW_IbLb0EEEEDaSS_ST_EUlSS_E_NS1_11comp_targetILNS1_3genE10ELNS1_11target_archE1201ELNS1_3gpuE5ELNS1_3repE0EEENS1_30default_config_static_selectorELNS0_4arch9wavefront6targetE1EEEvT1_
                                        ; -- End function
	.section	.AMDGPU.csdata,"",@progbits
; Kernel info:
; codeLenInByte = 0
; NumSgprs: 4
; NumVgprs: 0
; NumAgprs: 0
; TotalNumVgprs: 0
; ScratchSize: 0
; MemoryBound: 0
; FloatMode: 240
; IeeeMode: 1
; LDSByteSize: 0 bytes/workgroup (compile time only)
; SGPRBlocks: 0
; VGPRBlocks: 0
; NumSGPRsForWavesPerEU: 4
; NumVGPRsForWavesPerEU: 1
; AccumOffset: 4
; Occupancy: 8
; WaveLimiterHint : 0
; COMPUTE_PGM_RSRC2:SCRATCH_EN: 0
; COMPUTE_PGM_RSRC2:USER_SGPR: 6
; COMPUTE_PGM_RSRC2:TRAP_HANDLER: 0
; COMPUTE_PGM_RSRC2:TGID_X_EN: 1
; COMPUTE_PGM_RSRC2:TGID_Y_EN: 0
; COMPUTE_PGM_RSRC2:TGID_Z_EN: 0
; COMPUTE_PGM_RSRC2:TIDIG_COMP_CNT: 0
; COMPUTE_PGM_RSRC3_GFX90A:ACCUM_OFFSET: 0
; COMPUTE_PGM_RSRC3_GFX90A:TG_SPLIT: 0
	.section	.text._ZN7rocprim17ROCPRIM_400000_NS6detail17trampoline_kernelINS0_14default_configENS1_20scan_config_selectorIyEEZZNS1_9scan_implILNS1_25lookback_scan_determinismE0ELb0ELb0ES3_N6thrust23THRUST_200600_302600_NS6detail15normal_iteratorINS9_10device_ptrIyEEEENS9_16discard_iteratorINS9_11use_defaultEEEyNS9_4plusIvEEyEEDaPvRmT3_T4_T5_mT6_P12ihipStream_tbENKUlT_T0_E_clISt17integral_constantIbLb1EESW_IbLb0EEEEDaSS_ST_EUlSS_E_NS1_11comp_targetILNS1_3genE10ELNS1_11target_archE1200ELNS1_3gpuE4ELNS1_3repE0EEENS1_30default_config_static_selectorELNS0_4arch9wavefront6targetE1EEEvT1_,"axG",@progbits,_ZN7rocprim17ROCPRIM_400000_NS6detail17trampoline_kernelINS0_14default_configENS1_20scan_config_selectorIyEEZZNS1_9scan_implILNS1_25lookback_scan_determinismE0ELb0ELb0ES3_N6thrust23THRUST_200600_302600_NS6detail15normal_iteratorINS9_10device_ptrIyEEEENS9_16discard_iteratorINS9_11use_defaultEEEyNS9_4plusIvEEyEEDaPvRmT3_T4_T5_mT6_P12ihipStream_tbENKUlT_T0_E_clISt17integral_constantIbLb1EESW_IbLb0EEEEDaSS_ST_EUlSS_E_NS1_11comp_targetILNS1_3genE10ELNS1_11target_archE1200ELNS1_3gpuE4ELNS1_3repE0EEENS1_30default_config_static_selectorELNS0_4arch9wavefront6targetE1EEEvT1_,comdat
	.protected	_ZN7rocprim17ROCPRIM_400000_NS6detail17trampoline_kernelINS0_14default_configENS1_20scan_config_selectorIyEEZZNS1_9scan_implILNS1_25lookback_scan_determinismE0ELb0ELb0ES3_N6thrust23THRUST_200600_302600_NS6detail15normal_iteratorINS9_10device_ptrIyEEEENS9_16discard_iteratorINS9_11use_defaultEEEyNS9_4plusIvEEyEEDaPvRmT3_T4_T5_mT6_P12ihipStream_tbENKUlT_T0_E_clISt17integral_constantIbLb1EESW_IbLb0EEEEDaSS_ST_EUlSS_E_NS1_11comp_targetILNS1_3genE10ELNS1_11target_archE1200ELNS1_3gpuE4ELNS1_3repE0EEENS1_30default_config_static_selectorELNS0_4arch9wavefront6targetE1EEEvT1_ ; -- Begin function _ZN7rocprim17ROCPRIM_400000_NS6detail17trampoline_kernelINS0_14default_configENS1_20scan_config_selectorIyEEZZNS1_9scan_implILNS1_25lookback_scan_determinismE0ELb0ELb0ES3_N6thrust23THRUST_200600_302600_NS6detail15normal_iteratorINS9_10device_ptrIyEEEENS9_16discard_iteratorINS9_11use_defaultEEEyNS9_4plusIvEEyEEDaPvRmT3_T4_T5_mT6_P12ihipStream_tbENKUlT_T0_E_clISt17integral_constantIbLb1EESW_IbLb0EEEEDaSS_ST_EUlSS_E_NS1_11comp_targetILNS1_3genE10ELNS1_11target_archE1200ELNS1_3gpuE4ELNS1_3repE0EEENS1_30default_config_static_selectorELNS0_4arch9wavefront6targetE1EEEvT1_
	.globl	_ZN7rocprim17ROCPRIM_400000_NS6detail17trampoline_kernelINS0_14default_configENS1_20scan_config_selectorIyEEZZNS1_9scan_implILNS1_25lookback_scan_determinismE0ELb0ELb0ES3_N6thrust23THRUST_200600_302600_NS6detail15normal_iteratorINS9_10device_ptrIyEEEENS9_16discard_iteratorINS9_11use_defaultEEEyNS9_4plusIvEEyEEDaPvRmT3_T4_T5_mT6_P12ihipStream_tbENKUlT_T0_E_clISt17integral_constantIbLb1EESW_IbLb0EEEEDaSS_ST_EUlSS_E_NS1_11comp_targetILNS1_3genE10ELNS1_11target_archE1200ELNS1_3gpuE4ELNS1_3repE0EEENS1_30default_config_static_selectorELNS0_4arch9wavefront6targetE1EEEvT1_
	.p2align	8
	.type	_ZN7rocprim17ROCPRIM_400000_NS6detail17trampoline_kernelINS0_14default_configENS1_20scan_config_selectorIyEEZZNS1_9scan_implILNS1_25lookback_scan_determinismE0ELb0ELb0ES3_N6thrust23THRUST_200600_302600_NS6detail15normal_iteratorINS9_10device_ptrIyEEEENS9_16discard_iteratorINS9_11use_defaultEEEyNS9_4plusIvEEyEEDaPvRmT3_T4_T5_mT6_P12ihipStream_tbENKUlT_T0_E_clISt17integral_constantIbLb1EESW_IbLb0EEEEDaSS_ST_EUlSS_E_NS1_11comp_targetILNS1_3genE10ELNS1_11target_archE1200ELNS1_3gpuE4ELNS1_3repE0EEENS1_30default_config_static_selectorELNS0_4arch9wavefront6targetE1EEEvT1_,@function
_ZN7rocprim17ROCPRIM_400000_NS6detail17trampoline_kernelINS0_14default_configENS1_20scan_config_selectorIyEEZZNS1_9scan_implILNS1_25lookback_scan_determinismE0ELb0ELb0ES3_N6thrust23THRUST_200600_302600_NS6detail15normal_iteratorINS9_10device_ptrIyEEEENS9_16discard_iteratorINS9_11use_defaultEEEyNS9_4plusIvEEyEEDaPvRmT3_T4_T5_mT6_P12ihipStream_tbENKUlT_T0_E_clISt17integral_constantIbLb1EESW_IbLb0EEEEDaSS_ST_EUlSS_E_NS1_11comp_targetILNS1_3genE10ELNS1_11target_archE1200ELNS1_3gpuE4ELNS1_3repE0EEENS1_30default_config_static_selectorELNS0_4arch9wavefront6targetE1EEEvT1_: ; @_ZN7rocprim17ROCPRIM_400000_NS6detail17trampoline_kernelINS0_14default_configENS1_20scan_config_selectorIyEEZZNS1_9scan_implILNS1_25lookback_scan_determinismE0ELb0ELb0ES3_N6thrust23THRUST_200600_302600_NS6detail15normal_iteratorINS9_10device_ptrIyEEEENS9_16discard_iteratorINS9_11use_defaultEEEyNS9_4plusIvEEyEEDaPvRmT3_T4_T5_mT6_P12ihipStream_tbENKUlT_T0_E_clISt17integral_constantIbLb1EESW_IbLb0EEEEDaSS_ST_EUlSS_E_NS1_11comp_targetILNS1_3genE10ELNS1_11target_archE1200ELNS1_3gpuE4ELNS1_3repE0EEENS1_30default_config_static_selectorELNS0_4arch9wavefront6targetE1EEEvT1_
; %bb.0:
	.section	.rodata,"a",@progbits
	.p2align	6, 0x0
	.amdhsa_kernel _ZN7rocprim17ROCPRIM_400000_NS6detail17trampoline_kernelINS0_14default_configENS1_20scan_config_selectorIyEEZZNS1_9scan_implILNS1_25lookback_scan_determinismE0ELb0ELb0ES3_N6thrust23THRUST_200600_302600_NS6detail15normal_iteratorINS9_10device_ptrIyEEEENS9_16discard_iteratorINS9_11use_defaultEEEyNS9_4plusIvEEyEEDaPvRmT3_T4_T5_mT6_P12ihipStream_tbENKUlT_T0_E_clISt17integral_constantIbLb1EESW_IbLb0EEEEDaSS_ST_EUlSS_E_NS1_11comp_targetILNS1_3genE10ELNS1_11target_archE1200ELNS1_3gpuE4ELNS1_3repE0EEENS1_30default_config_static_selectorELNS0_4arch9wavefront6targetE1EEEvT1_
		.amdhsa_group_segment_fixed_size 0
		.amdhsa_private_segment_fixed_size 0
		.amdhsa_kernarg_size 112
		.amdhsa_user_sgpr_count 6
		.amdhsa_user_sgpr_private_segment_buffer 1
		.amdhsa_user_sgpr_dispatch_ptr 0
		.amdhsa_user_sgpr_queue_ptr 0
		.amdhsa_user_sgpr_kernarg_segment_ptr 1
		.amdhsa_user_sgpr_dispatch_id 0
		.amdhsa_user_sgpr_flat_scratch_init 0
		.amdhsa_user_sgpr_kernarg_preload_length 0
		.amdhsa_user_sgpr_kernarg_preload_offset 0
		.amdhsa_user_sgpr_private_segment_size 0
		.amdhsa_uses_dynamic_stack 0
		.amdhsa_system_sgpr_private_segment_wavefront_offset 0
		.amdhsa_system_sgpr_workgroup_id_x 1
		.amdhsa_system_sgpr_workgroup_id_y 0
		.amdhsa_system_sgpr_workgroup_id_z 0
		.amdhsa_system_sgpr_workgroup_info 0
		.amdhsa_system_vgpr_workitem_id 0
		.amdhsa_next_free_vgpr 1
		.amdhsa_next_free_sgpr 0
		.amdhsa_accum_offset 4
		.amdhsa_reserve_vcc 0
		.amdhsa_reserve_flat_scratch 0
		.amdhsa_float_round_mode_32 0
		.amdhsa_float_round_mode_16_64 0
		.amdhsa_float_denorm_mode_32 3
		.amdhsa_float_denorm_mode_16_64 3
		.amdhsa_dx10_clamp 1
		.amdhsa_ieee_mode 1
		.amdhsa_fp16_overflow 0
		.amdhsa_tg_split 0
		.amdhsa_exception_fp_ieee_invalid_op 0
		.amdhsa_exception_fp_denorm_src 0
		.amdhsa_exception_fp_ieee_div_zero 0
		.amdhsa_exception_fp_ieee_overflow 0
		.amdhsa_exception_fp_ieee_underflow 0
		.amdhsa_exception_fp_ieee_inexact 0
		.amdhsa_exception_int_div_zero 0
	.end_amdhsa_kernel
	.section	.text._ZN7rocprim17ROCPRIM_400000_NS6detail17trampoline_kernelINS0_14default_configENS1_20scan_config_selectorIyEEZZNS1_9scan_implILNS1_25lookback_scan_determinismE0ELb0ELb0ES3_N6thrust23THRUST_200600_302600_NS6detail15normal_iteratorINS9_10device_ptrIyEEEENS9_16discard_iteratorINS9_11use_defaultEEEyNS9_4plusIvEEyEEDaPvRmT3_T4_T5_mT6_P12ihipStream_tbENKUlT_T0_E_clISt17integral_constantIbLb1EESW_IbLb0EEEEDaSS_ST_EUlSS_E_NS1_11comp_targetILNS1_3genE10ELNS1_11target_archE1200ELNS1_3gpuE4ELNS1_3repE0EEENS1_30default_config_static_selectorELNS0_4arch9wavefront6targetE1EEEvT1_,"axG",@progbits,_ZN7rocprim17ROCPRIM_400000_NS6detail17trampoline_kernelINS0_14default_configENS1_20scan_config_selectorIyEEZZNS1_9scan_implILNS1_25lookback_scan_determinismE0ELb0ELb0ES3_N6thrust23THRUST_200600_302600_NS6detail15normal_iteratorINS9_10device_ptrIyEEEENS9_16discard_iteratorINS9_11use_defaultEEEyNS9_4plusIvEEyEEDaPvRmT3_T4_T5_mT6_P12ihipStream_tbENKUlT_T0_E_clISt17integral_constantIbLb1EESW_IbLb0EEEEDaSS_ST_EUlSS_E_NS1_11comp_targetILNS1_3genE10ELNS1_11target_archE1200ELNS1_3gpuE4ELNS1_3repE0EEENS1_30default_config_static_selectorELNS0_4arch9wavefront6targetE1EEEvT1_,comdat
.Lfunc_end5192:
	.size	_ZN7rocprim17ROCPRIM_400000_NS6detail17trampoline_kernelINS0_14default_configENS1_20scan_config_selectorIyEEZZNS1_9scan_implILNS1_25lookback_scan_determinismE0ELb0ELb0ES3_N6thrust23THRUST_200600_302600_NS6detail15normal_iteratorINS9_10device_ptrIyEEEENS9_16discard_iteratorINS9_11use_defaultEEEyNS9_4plusIvEEyEEDaPvRmT3_T4_T5_mT6_P12ihipStream_tbENKUlT_T0_E_clISt17integral_constantIbLb1EESW_IbLb0EEEEDaSS_ST_EUlSS_E_NS1_11comp_targetILNS1_3genE10ELNS1_11target_archE1200ELNS1_3gpuE4ELNS1_3repE0EEENS1_30default_config_static_selectorELNS0_4arch9wavefront6targetE1EEEvT1_, .Lfunc_end5192-_ZN7rocprim17ROCPRIM_400000_NS6detail17trampoline_kernelINS0_14default_configENS1_20scan_config_selectorIyEEZZNS1_9scan_implILNS1_25lookback_scan_determinismE0ELb0ELb0ES3_N6thrust23THRUST_200600_302600_NS6detail15normal_iteratorINS9_10device_ptrIyEEEENS9_16discard_iteratorINS9_11use_defaultEEEyNS9_4plusIvEEyEEDaPvRmT3_T4_T5_mT6_P12ihipStream_tbENKUlT_T0_E_clISt17integral_constantIbLb1EESW_IbLb0EEEEDaSS_ST_EUlSS_E_NS1_11comp_targetILNS1_3genE10ELNS1_11target_archE1200ELNS1_3gpuE4ELNS1_3repE0EEENS1_30default_config_static_selectorELNS0_4arch9wavefront6targetE1EEEvT1_
                                        ; -- End function
	.section	.AMDGPU.csdata,"",@progbits
; Kernel info:
; codeLenInByte = 0
; NumSgprs: 4
; NumVgprs: 0
; NumAgprs: 0
; TotalNumVgprs: 0
; ScratchSize: 0
; MemoryBound: 0
; FloatMode: 240
; IeeeMode: 1
; LDSByteSize: 0 bytes/workgroup (compile time only)
; SGPRBlocks: 0
; VGPRBlocks: 0
; NumSGPRsForWavesPerEU: 4
; NumVGPRsForWavesPerEU: 1
; AccumOffset: 4
; Occupancy: 8
; WaveLimiterHint : 0
; COMPUTE_PGM_RSRC2:SCRATCH_EN: 0
; COMPUTE_PGM_RSRC2:USER_SGPR: 6
; COMPUTE_PGM_RSRC2:TRAP_HANDLER: 0
; COMPUTE_PGM_RSRC2:TGID_X_EN: 1
; COMPUTE_PGM_RSRC2:TGID_Y_EN: 0
; COMPUTE_PGM_RSRC2:TGID_Z_EN: 0
; COMPUTE_PGM_RSRC2:TIDIG_COMP_CNT: 0
; COMPUTE_PGM_RSRC3_GFX90A:ACCUM_OFFSET: 0
; COMPUTE_PGM_RSRC3_GFX90A:TG_SPLIT: 0
	.section	.text._ZN7rocprim17ROCPRIM_400000_NS6detail17trampoline_kernelINS0_14default_configENS1_20scan_config_selectorIyEEZZNS1_9scan_implILNS1_25lookback_scan_determinismE0ELb0ELb0ES3_N6thrust23THRUST_200600_302600_NS6detail15normal_iteratorINS9_10device_ptrIyEEEENS9_16discard_iteratorINS9_11use_defaultEEEyNS9_4plusIvEEyEEDaPvRmT3_T4_T5_mT6_P12ihipStream_tbENKUlT_T0_E_clISt17integral_constantIbLb1EESW_IbLb0EEEEDaSS_ST_EUlSS_E_NS1_11comp_targetILNS1_3genE9ELNS1_11target_archE1100ELNS1_3gpuE3ELNS1_3repE0EEENS1_30default_config_static_selectorELNS0_4arch9wavefront6targetE1EEEvT1_,"axG",@progbits,_ZN7rocprim17ROCPRIM_400000_NS6detail17trampoline_kernelINS0_14default_configENS1_20scan_config_selectorIyEEZZNS1_9scan_implILNS1_25lookback_scan_determinismE0ELb0ELb0ES3_N6thrust23THRUST_200600_302600_NS6detail15normal_iteratorINS9_10device_ptrIyEEEENS9_16discard_iteratorINS9_11use_defaultEEEyNS9_4plusIvEEyEEDaPvRmT3_T4_T5_mT6_P12ihipStream_tbENKUlT_T0_E_clISt17integral_constantIbLb1EESW_IbLb0EEEEDaSS_ST_EUlSS_E_NS1_11comp_targetILNS1_3genE9ELNS1_11target_archE1100ELNS1_3gpuE3ELNS1_3repE0EEENS1_30default_config_static_selectorELNS0_4arch9wavefront6targetE1EEEvT1_,comdat
	.protected	_ZN7rocprim17ROCPRIM_400000_NS6detail17trampoline_kernelINS0_14default_configENS1_20scan_config_selectorIyEEZZNS1_9scan_implILNS1_25lookback_scan_determinismE0ELb0ELb0ES3_N6thrust23THRUST_200600_302600_NS6detail15normal_iteratorINS9_10device_ptrIyEEEENS9_16discard_iteratorINS9_11use_defaultEEEyNS9_4plusIvEEyEEDaPvRmT3_T4_T5_mT6_P12ihipStream_tbENKUlT_T0_E_clISt17integral_constantIbLb1EESW_IbLb0EEEEDaSS_ST_EUlSS_E_NS1_11comp_targetILNS1_3genE9ELNS1_11target_archE1100ELNS1_3gpuE3ELNS1_3repE0EEENS1_30default_config_static_selectorELNS0_4arch9wavefront6targetE1EEEvT1_ ; -- Begin function _ZN7rocprim17ROCPRIM_400000_NS6detail17trampoline_kernelINS0_14default_configENS1_20scan_config_selectorIyEEZZNS1_9scan_implILNS1_25lookback_scan_determinismE0ELb0ELb0ES3_N6thrust23THRUST_200600_302600_NS6detail15normal_iteratorINS9_10device_ptrIyEEEENS9_16discard_iteratorINS9_11use_defaultEEEyNS9_4plusIvEEyEEDaPvRmT3_T4_T5_mT6_P12ihipStream_tbENKUlT_T0_E_clISt17integral_constantIbLb1EESW_IbLb0EEEEDaSS_ST_EUlSS_E_NS1_11comp_targetILNS1_3genE9ELNS1_11target_archE1100ELNS1_3gpuE3ELNS1_3repE0EEENS1_30default_config_static_selectorELNS0_4arch9wavefront6targetE1EEEvT1_
	.globl	_ZN7rocprim17ROCPRIM_400000_NS6detail17trampoline_kernelINS0_14default_configENS1_20scan_config_selectorIyEEZZNS1_9scan_implILNS1_25lookback_scan_determinismE0ELb0ELb0ES3_N6thrust23THRUST_200600_302600_NS6detail15normal_iteratorINS9_10device_ptrIyEEEENS9_16discard_iteratorINS9_11use_defaultEEEyNS9_4plusIvEEyEEDaPvRmT3_T4_T5_mT6_P12ihipStream_tbENKUlT_T0_E_clISt17integral_constantIbLb1EESW_IbLb0EEEEDaSS_ST_EUlSS_E_NS1_11comp_targetILNS1_3genE9ELNS1_11target_archE1100ELNS1_3gpuE3ELNS1_3repE0EEENS1_30default_config_static_selectorELNS0_4arch9wavefront6targetE1EEEvT1_
	.p2align	8
	.type	_ZN7rocprim17ROCPRIM_400000_NS6detail17trampoline_kernelINS0_14default_configENS1_20scan_config_selectorIyEEZZNS1_9scan_implILNS1_25lookback_scan_determinismE0ELb0ELb0ES3_N6thrust23THRUST_200600_302600_NS6detail15normal_iteratorINS9_10device_ptrIyEEEENS9_16discard_iteratorINS9_11use_defaultEEEyNS9_4plusIvEEyEEDaPvRmT3_T4_T5_mT6_P12ihipStream_tbENKUlT_T0_E_clISt17integral_constantIbLb1EESW_IbLb0EEEEDaSS_ST_EUlSS_E_NS1_11comp_targetILNS1_3genE9ELNS1_11target_archE1100ELNS1_3gpuE3ELNS1_3repE0EEENS1_30default_config_static_selectorELNS0_4arch9wavefront6targetE1EEEvT1_,@function
_ZN7rocprim17ROCPRIM_400000_NS6detail17trampoline_kernelINS0_14default_configENS1_20scan_config_selectorIyEEZZNS1_9scan_implILNS1_25lookback_scan_determinismE0ELb0ELb0ES3_N6thrust23THRUST_200600_302600_NS6detail15normal_iteratorINS9_10device_ptrIyEEEENS9_16discard_iteratorINS9_11use_defaultEEEyNS9_4plusIvEEyEEDaPvRmT3_T4_T5_mT6_P12ihipStream_tbENKUlT_T0_E_clISt17integral_constantIbLb1EESW_IbLb0EEEEDaSS_ST_EUlSS_E_NS1_11comp_targetILNS1_3genE9ELNS1_11target_archE1100ELNS1_3gpuE3ELNS1_3repE0EEENS1_30default_config_static_selectorELNS0_4arch9wavefront6targetE1EEEvT1_: ; @_ZN7rocprim17ROCPRIM_400000_NS6detail17trampoline_kernelINS0_14default_configENS1_20scan_config_selectorIyEEZZNS1_9scan_implILNS1_25lookback_scan_determinismE0ELb0ELb0ES3_N6thrust23THRUST_200600_302600_NS6detail15normal_iteratorINS9_10device_ptrIyEEEENS9_16discard_iteratorINS9_11use_defaultEEEyNS9_4plusIvEEyEEDaPvRmT3_T4_T5_mT6_P12ihipStream_tbENKUlT_T0_E_clISt17integral_constantIbLb1EESW_IbLb0EEEEDaSS_ST_EUlSS_E_NS1_11comp_targetILNS1_3genE9ELNS1_11target_archE1100ELNS1_3gpuE3ELNS1_3repE0EEENS1_30default_config_static_selectorELNS0_4arch9wavefront6targetE1EEEvT1_
; %bb.0:
	.section	.rodata,"a",@progbits
	.p2align	6, 0x0
	.amdhsa_kernel _ZN7rocprim17ROCPRIM_400000_NS6detail17trampoline_kernelINS0_14default_configENS1_20scan_config_selectorIyEEZZNS1_9scan_implILNS1_25lookback_scan_determinismE0ELb0ELb0ES3_N6thrust23THRUST_200600_302600_NS6detail15normal_iteratorINS9_10device_ptrIyEEEENS9_16discard_iteratorINS9_11use_defaultEEEyNS9_4plusIvEEyEEDaPvRmT3_T4_T5_mT6_P12ihipStream_tbENKUlT_T0_E_clISt17integral_constantIbLb1EESW_IbLb0EEEEDaSS_ST_EUlSS_E_NS1_11comp_targetILNS1_3genE9ELNS1_11target_archE1100ELNS1_3gpuE3ELNS1_3repE0EEENS1_30default_config_static_selectorELNS0_4arch9wavefront6targetE1EEEvT1_
		.amdhsa_group_segment_fixed_size 0
		.amdhsa_private_segment_fixed_size 0
		.amdhsa_kernarg_size 112
		.amdhsa_user_sgpr_count 6
		.amdhsa_user_sgpr_private_segment_buffer 1
		.amdhsa_user_sgpr_dispatch_ptr 0
		.amdhsa_user_sgpr_queue_ptr 0
		.amdhsa_user_sgpr_kernarg_segment_ptr 1
		.amdhsa_user_sgpr_dispatch_id 0
		.amdhsa_user_sgpr_flat_scratch_init 0
		.amdhsa_user_sgpr_kernarg_preload_length 0
		.amdhsa_user_sgpr_kernarg_preload_offset 0
		.amdhsa_user_sgpr_private_segment_size 0
		.amdhsa_uses_dynamic_stack 0
		.amdhsa_system_sgpr_private_segment_wavefront_offset 0
		.amdhsa_system_sgpr_workgroup_id_x 1
		.amdhsa_system_sgpr_workgroup_id_y 0
		.amdhsa_system_sgpr_workgroup_id_z 0
		.amdhsa_system_sgpr_workgroup_info 0
		.amdhsa_system_vgpr_workitem_id 0
		.amdhsa_next_free_vgpr 1
		.amdhsa_next_free_sgpr 0
		.amdhsa_accum_offset 4
		.amdhsa_reserve_vcc 0
		.amdhsa_reserve_flat_scratch 0
		.amdhsa_float_round_mode_32 0
		.amdhsa_float_round_mode_16_64 0
		.amdhsa_float_denorm_mode_32 3
		.amdhsa_float_denorm_mode_16_64 3
		.amdhsa_dx10_clamp 1
		.amdhsa_ieee_mode 1
		.amdhsa_fp16_overflow 0
		.amdhsa_tg_split 0
		.amdhsa_exception_fp_ieee_invalid_op 0
		.amdhsa_exception_fp_denorm_src 0
		.amdhsa_exception_fp_ieee_div_zero 0
		.amdhsa_exception_fp_ieee_overflow 0
		.amdhsa_exception_fp_ieee_underflow 0
		.amdhsa_exception_fp_ieee_inexact 0
		.amdhsa_exception_int_div_zero 0
	.end_amdhsa_kernel
	.section	.text._ZN7rocprim17ROCPRIM_400000_NS6detail17trampoline_kernelINS0_14default_configENS1_20scan_config_selectorIyEEZZNS1_9scan_implILNS1_25lookback_scan_determinismE0ELb0ELb0ES3_N6thrust23THRUST_200600_302600_NS6detail15normal_iteratorINS9_10device_ptrIyEEEENS9_16discard_iteratorINS9_11use_defaultEEEyNS9_4plusIvEEyEEDaPvRmT3_T4_T5_mT6_P12ihipStream_tbENKUlT_T0_E_clISt17integral_constantIbLb1EESW_IbLb0EEEEDaSS_ST_EUlSS_E_NS1_11comp_targetILNS1_3genE9ELNS1_11target_archE1100ELNS1_3gpuE3ELNS1_3repE0EEENS1_30default_config_static_selectorELNS0_4arch9wavefront6targetE1EEEvT1_,"axG",@progbits,_ZN7rocprim17ROCPRIM_400000_NS6detail17trampoline_kernelINS0_14default_configENS1_20scan_config_selectorIyEEZZNS1_9scan_implILNS1_25lookback_scan_determinismE0ELb0ELb0ES3_N6thrust23THRUST_200600_302600_NS6detail15normal_iteratorINS9_10device_ptrIyEEEENS9_16discard_iteratorINS9_11use_defaultEEEyNS9_4plusIvEEyEEDaPvRmT3_T4_T5_mT6_P12ihipStream_tbENKUlT_T0_E_clISt17integral_constantIbLb1EESW_IbLb0EEEEDaSS_ST_EUlSS_E_NS1_11comp_targetILNS1_3genE9ELNS1_11target_archE1100ELNS1_3gpuE3ELNS1_3repE0EEENS1_30default_config_static_selectorELNS0_4arch9wavefront6targetE1EEEvT1_,comdat
.Lfunc_end5193:
	.size	_ZN7rocprim17ROCPRIM_400000_NS6detail17trampoline_kernelINS0_14default_configENS1_20scan_config_selectorIyEEZZNS1_9scan_implILNS1_25lookback_scan_determinismE0ELb0ELb0ES3_N6thrust23THRUST_200600_302600_NS6detail15normal_iteratorINS9_10device_ptrIyEEEENS9_16discard_iteratorINS9_11use_defaultEEEyNS9_4plusIvEEyEEDaPvRmT3_T4_T5_mT6_P12ihipStream_tbENKUlT_T0_E_clISt17integral_constantIbLb1EESW_IbLb0EEEEDaSS_ST_EUlSS_E_NS1_11comp_targetILNS1_3genE9ELNS1_11target_archE1100ELNS1_3gpuE3ELNS1_3repE0EEENS1_30default_config_static_selectorELNS0_4arch9wavefront6targetE1EEEvT1_, .Lfunc_end5193-_ZN7rocprim17ROCPRIM_400000_NS6detail17trampoline_kernelINS0_14default_configENS1_20scan_config_selectorIyEEZZNS1_9scan_implILNS1_25lookback_scan_determinismE0ELb0ELb0ES3_N6thrust23THRUST_200600_302600_NS6detail15normal_iteratorINS9_10device_ptrIyEEEENS9_16discard_iteratorINS9_11use_defaultEEEyNS9_4plusIvEEyEEDaPvRmT3_T4_T5_mT6_P12ihipStream_tbENKUlT_T0_E_clISt17integral_constantIbLb1EESW_IbLb0EEEEDaSS_ST_EUlSS_E_NS1_11comp_targetILNS1_3genE9ELNS1_11target_archE1100ELNS1_3gpuE3ELNS1_3repE0EEENS1_30default_config_static_selectorELNS0_4arch9wavefront6targetE1EEEvT1_
                                        ; -- End function
	.section	.AMDGPU.csdata,"",@progbits
; Kernel info:
; codeLenInByte = 0
; NumSgprs: 4
; NumVgprs: 0
; NumAgprs: 0
; TotalNumVgprs: 0
; ScratchSize: 0
; MemoryBound: 0
; FloatMode: 240
; IeeeMode: 1
; LDSByteSize: 0 bytes/workgroup (compile time only)
; SGPRBlocks: 0
; VGPRBlocks: 0
; NumSGPRsForWavesPerEU: 4
; NumVGPRsForWavesPerEU: 1
; AccumOffset: 4
; Occupancy: 8
; WaveLimiterHint : 0
; COMPUTE_PGM_RSRC2:SCRATCH_EN: 0
; COMPUTE_PGM_RSRC2:USER_SGPR: 6
; COMPUTE_PGM_RSRC2:TRAP_HANDLER: 0
; COMPUTE_PGM_RSRC2:TGID_X_EN: 1
; COMPUTE_PGM_RSRC2:TGID_Y_EN: 0
; COMPUTE_PGM_RSRC2:TGID_Z_EN: 0
; COMPUTE_PGM_RSRC2:TIDIG_COMP_CNT: 0
; COMPUTE_PGM_RSRC3_GFX90A:ACCUM_OFFSET: 0
; COMPUTE_PGM_RSRC3_GFX90A:TG_SPLIT: 0
	.section	.text._ZN7rocprim17ROCPRIM_400000_NS6detail17trampoline_kernelINS0_14default_configENS1_20scan_config_selectorIyEEZZNS1_9scan_implILNS1_25lookback_scan_determinismE0ELb0ELb0ES3_N6thrust23THRUST_200600_302600_NS6detail15normal_iteratorINS9_10device_ptrIyEEEENS9_16discard_iteratorINS9_11use_defaultEEEyNS9_4plusIvEEyEEDaPvRmT3_T4_T5_mT6_P12ihipStream_tbENKUlT_T0_E_clISt17integral_constantIbLb1EESW_IbLb0EEEEDaSS_ST_EUlSS_E_NS1_11comp_targetILNS1_3genE8ELNS1_11target_archE1030ELNS1_3gpuE2ELNS1_3repE0EEENS1_30default_config_static_selectorELNS0_4arch9wavefront6targetE1EEEvT1_,"axG",@progbits,_ZN7rocprim17ROCPRIM_400000_NS6detail17trampoline_kernelINS0_14default_configENS1_20scan_config_selectorIyEEZZNS1_9scan_implILNS1_25lookback_scan_determinismE0ELb0ELb0ES3_N6thrust23THRUST_200600_302600_NS6detail15normal_iteratorINS9_10device_ptrIyEEEENS9_16discard_iteratorINS9_11use_defaultEEEyNS9_4plusIvEEyEEDaPvRmT3_T4_T5_mT6_P12ihipStream_tbENKUlT_T0_E_clISt17integral_constantIbLb1EESW_IbLb0EEEEDaSS_ST_EUlSS_E_NS1_11comp_targetILNS1_3genE8ELNS1_11target_archE1030ELNS1_3gpuE2ELNS1_3repE0EEENS1_30default_config_static_selectorELNS0_4arch9wavefront6targetE1EEEvT1_,comdat
	.protected	_ZN7rocprim17ROCPRIM_400000_NS6detail17trampoline_kernelINS0_14default_configENS1_20scan_config_selectorIyEEZZNS1_9scan_implILNS1_25lookback_scan_determinismE0ELb0ELb0ES3_N6thrust23THRUST_200600_302600_NS6detail15normal_iteratorINS9_10device_ptrIyEEEENS9_16discard_iteratorINS9_11use_defaultEEEyNS9_4plusIvEEyEEDaPvRmT3_T4_T5_mT6_P12ihipStream_tbENKUlT_T0_E_clISt17integral_constantIbLb1EESW_IbLb0EEEEDaSS_ST_EUlSS_E_NS1_11comp_targetILNS1_3genE8ELNS1_11target_archE1030ELNS1_3gpuE2ELNS1_3repE0EEENS1_30default_config_static_selectorELNS0_4arch9wavefront6targetE1EEEvT1_ ; -- Begin function _ZN7rocprim17ROCPRIM_400000_NS6detail17trampoline_kernelINS0_14default_configENS1_20scan_config_selectorIyEEZZNS1_9scan_implILNS1_25lookback_scan_determinismE0ELb0ELb0ES3_N6thrust23THRUST_200600_302600_NS6detail15normal_iteratorINS9_10device_ptrIyEEEENS9_16discard_iteratorINS9_11use_defaultEEEyNS9_4plusIvEEyEEDaPvRmT3_T4_T5_mT6_P12ihipStream_tbENKUlT_T0_E_clISt17integral_constantIbLb1EESW_IbLb0EEEEDaSS_ST_EUlSS_E_NS1_11comp_targetILNS1_3genE8ELNS1_11target_archE1030ELNS1_3gpuE2ELNS1_3repE0EEENS1_30default_config_static_selectorELNS0_4arch9wavefront6targetE1EEEvT1_
	.globl	_ZN7rocprim17ROCPRIM_400000_NS6detail17trampoline_kernelINS0_14default_configENS1_20scan_config_selectorIyEEZZNS1_9scan_implILNS1_25lookback_scan_determinismE0ELb0ELb0ES3_N6thrust23THRUST_200600_302600_NS6detail15normal_iteratorINS9_10device_ptrIyEEEENS9_16discard_iteratorINS9_11use_defaultEEEyNS9_4plusIvEEyEEDaPvRmT3_T4_T5_mT6_P12ihipStream_tbENKUlT_T0_E_clISt17integral_constantIbLb1EESW_IbLb0EEEEDaSS_ST_EUlSS_E_NS1_11comp_targetILNS1_3genE8ELNS1_11target_archE1030ELNS1_3gpuE2ELNS1_3repE0EEENS1_30default_config_static_selectorELNS0_4arch9wavefront6targetE1EEEvT1_
	.p2align	8
	.type	_ZN7rocprim17ROCPRIM_400000_NS6detail17trampoline_kernelINS0_14default_configENS1_20scan_config_selectorIyEEZZNS1_9scan_implILNS1_25lookback_scan_determinismE0ELb0ELb0ES3_N6thrust23THRUST_200600_302600_NS6detail15normal_iteratorINS9_10device_ptrIyEEEENS9_16discard_iteratorINS9_11use_defaultEEEyNS9_4plusIvEEyEEDaPvRmT3_T4_T5_mT6_P12ihipStream_tbENKUlT_T0_E_clISt17integral_constantIbLb1EESW_IbLb0EEEEDaSS_ST_EUlSS_E_NS1_11comp_targetILNS1_3genE8ELNS1_11target_archE1030ELNS1_3gpuE2ELNS1_3repE0EEENS1_30default_config_static_selectorELNS0_4arch9wavefront6targetE1EEEvT1_,@function
_ZN7rocprim17ROCPRIM_400000_NS6detail17trampoline_kernelINS0_14default_configENS1_20scan_config_selectorIyEEZZNS1_9scan_implILNS1_25lookback_scan_determinismE0ELb0ELb0ES3_N6thrust23THRUST_200600_302600_NS6detail15normal_iteratorINS9_10device_ptrIyEEEENS9_16discard_iteratorINS9_11use_defaultEEEyNS9_4plusIvEEyEEDaPvRmT3_T4_T5_mT6_P12ihipStream_tbENKUlT_T0_E_clISt17integral_constantIbLb1EESW_IbLb0EEEEDaSS_ST_EUlSS_E_NS1_11comp_targetILNS1_3genE8ELNS1_11target_archE1030ELNS1_3gpuE2ELNS1_3repE0EEENS1_30default_config_static_selectorELNS0_4arch9wavefront6targetE1EEEvT1_: ; @_ZN7rocprim17ROCPRIM_400000_NS6detail17trampoline_kernelINS0_14default_configENS1_20scan_config_selectorIyEEZZNS1_9scan_implILNS1_25lookback_scan_determinismE0ELb0ELb0ES3_N6thrust23THRUST_200600_302600_NS6detail15normal_iteratorINS9_10device_ptrIyEEEENS9_16discard_iteratorINS9_11use_defaultEEEyNS9_4plusIvEEyEEDaPvRmT3_T4_T5_mT6_P12ihipStream_tbENKUlT_T0_E_clISt17integral_constantIbLb1EESW_IbLb0EEEEDaSS_ST_EUlSS_E_NS1_11comp_targetILNS1_3genE8ELNS1_11target_archE1030ELNS1_3gpuE2ELNS1_3repE0EEENS1_30default_config_static_selectorELNS0_4arch9wavefront6targetE1EEEvT1_
; %bb.0:
	.section	.rodata,"a",@progbits
	.p2align	6, 0x0
	.amdhsa_kernel _ZN7rocprim17ROCPRIM_400000_NS6detail17trampoline_kernelINS0_14default_configENS1_20scan_config_selectorIyEEZZNS1_9scan_implILNS1_25lookback_scan_determinismE0ELb0ELb0ES3_N6thrust23THRUST_200600_302600_NS6detail15normal_iteratorINS9_10device_ptrIyEEEENS9_16discard_iteratorINS9_11use_defaultEEEyNS9_4plusIvEEyEEDaPvRmT3_T4_T5_mT6_P12ihipStream_tbENKUlT_T0_E_clISt17integral_constantIbLb1EESW_IbLb0EEEEDaSS_ST_EUlSS_E_NS1_11comp_targetILNS1_3genE8ELNS1_11target_archE1030ELNS1_3gpuE2ELNS1_3repE0EEENS1_30default_config_static_selectorELNS0_4arch9wavefront6targetE1EEEvT1_
		.amdhsa_group_segment_fixed_size 0
		.amdhsa_private_segment_fixed_size 0
		.amdhsa_kernarg_size 112
		.amdhsa_user_sgpr_count 6
		.amdhsa_user_sgpr_private_segment_buffer 1
		.amdhsa_user_sgpr_dispatch_ptr 0
		.amdhsa_user_sgpr_queue_ptr 0
		.amdhsa_user_sgpr_kernarg_segment_ptr 1
		.amdhsa_user_sgpr_dispatch_id 0
		.amdhsa_user_sgpr_flat_scratch_init 0
		.amdhsa_user_sgpr_kernarg_preload_length 0
		.amdhsa_user_sgpr_kernarg_preload_offset 0
		.amdhsa_user_sgpr_private_segment_size 0
		.amdhsa_uses_dynamic_stack 0
		.amdhsa_system_sgpr_private_segment_wavefront_offset 0
		.amdhsa_system_sgpr_workgroup_id_x 1
		.amdhsa_system_sgpr_workgroup_id_y 0
		.amdhsa_system_sgpr_workgroup_id_z 0
		.amdhsa_system_sgpr_workgroup_info 0
		.amdhsa_system_vgpr_workitem_id 0
		.amdhsa_next_free_vgpr 1
		.amdhsa_next_free_sgpr 0
		.amdhsa_accum_offset 4
		.amdhsa_reserve_vcc 0
		.amdhsa_reserve_flat_scratch 0
		.amdhsa_float_round_mode_32 0
		.amdhsa_float_round_mode_16_64 0
		.amdhsa_float_denorm_mode_32 3
		.amdhsa_float_denorm_mode_16_64 3
		.amdhsa_dx10_clamp 1
		.amdhsa_ieee_mode 1
		.amdhsa_fp16_overflow 0
		.amdhsa_tg_split 0
		.amdhsa_exception_fp_ieee_invalid_op 0
		.amdhsa_exception_fp_denorm_src 0
		.amdhsa_exception_fp_ieee_div_zero 0
		.amdhsa_exception_fp_ieee_overflow 0
		.amdhsa_exception_fp_ieee_underflow 0
		.amdhsa_exception_fp_ieee_inexact 0
		.amdhsa_exception_int_div_zero 0
	.end_amdhsa_kernel
	.section	.text._ZN7rocprim17ROCPRIM_400000_NS6detail17trampoline_kernelINS0_14default_configENS1_20scan_config_selectorIyEEZZNS1_9scan_implILNS1_25lookback_scan_determinismE0ELb0ELb0ES3_N6thrust23THRUST_200600_302600_NS6detail15normal_iteratorINS9_10device_ptrIyEEEENS9_16discard_iteratorINS9_11use_defaultEEEyNS9_4plusIvEEyEEDaPvRmT3_T4_T5_mT6_P12ihipStream_tbENKUlT_T0_E_clISt17integral_constantIbLb1EESW_IbLb0EEEEDaSS_ST_EUlSS_E_NS1_11comp_targetILNS1_3genE8ELNS1_11target_archE1030ELNS1_3gpuE2ELNS1_3repE0EEENS1_30default_config_static_selectorELNS0_4arch9wavefront6targetE1EEEvT1_,"axG",@progbits,_ZN7rocprim17ROCPRIM_400000_NS6detail17trampoline_kernelINS0_14default_configENS1_20scan_config_selectorIyEEZZNS1_9scan_implILNS1_25lookback_scan_determinismE0ELb0ELb0ES3_N6thrust23THRUST_200600_302600_NS6detail15normal_iteratorINS9_10device_ptrIyEEEENS9_16discard_iteratorINS9_11use_defaultEEEyNS9_4plusIvEEyEEDaPvRmT3_T4_T5_mT6_P12ihipStream_tbENKUlT_T0_E_clISt17integral_constantIbLb1EESW_IbLb0EEEEDaSS_ST_EUlSS_E_NS1_11comp_targetILNS1_3genE8ELNS1_11target_archE1030ELNS1_3gpuE2ELNS1_3repE0EEENS1_30default_config_static_selectorELNS0_4arch9wavefront6targetE1EEEvT1_,comdat
.Lfunc_end5194:
	.size	_ZN7rocprim17ROCPRIM_400000_NS6detail17trampoline_kernelINS0_14default_configENS1_20scan_config_selectorIyEEZZNS1_9scan_implILNS1_25lookback_scan_determinismE0ELb0ELb0ES3_N6thrust23THRUST_200600_302600_NS6detail15normal_iteratorINS9_10device_ptrIyEEEENS9_16discard_iteratorINS9_11use_defaultEEEyNS9_4plusIvEEyEEDaPvRmT3_T4_T5_mT6_P12ihipStream_tbENKUlT_T0_E_clISt17integral_constantIbLb1EESW_IbLb0EEEEDaSS_ST_EUlSS_E_NS1_11comp_targetILNS1_3genE8ELNS1_11target_archE1030ELNS1_3gpuE2ELNS1_3repE0EEENS1_30default_config_static_selectorELNS0_4arch9wavefront6targetE1EEEvT1_, .Lfunc_end5194-_ZN7rocprim17ROCPRIM_400000_NS6detail17trampoline_kernelINS0_14default_configENS1_20scan_config_selectorIyEEZZNS1_9scan_implILNS1_25lookback_scan_determinismE0ELb0ELb0ES3_N6thrust23THRUST_200600_302600_NS6detail15normal_iteratorINS9_10device_ptrIyEEEENS9_16discard_iteratorINS9_11use_defaultEEEyNS9_4plusIvEEyEEDaPvRmT3_T4_T5_mT6_P12ihipStream_tbENKUlT_T0_E_clISt17integral_constantIbLb1EESW_IbLb0EEEEDaSS_ST_EUlSS_E_NS1_11comp_targetILNS1_3genE8ELNS1_11target_archE1030ELNS1_3gpuE2ELNS1_3repE0EEENS1_30default_config_static_selectorELNS0_4arch9wavefront6targetE1EEEvT1_
                                        ; -- End function
	.section	.AMDGPU.csdata,"",@progbits
; Kernel info:
; codeLenInByte = 0
; NumSgprs: 4
; NumVgprs: 0
; NumAgprs: 0
; TotalNumVgprs: 0
; ScratchSize: 0
; MemoryBound: 0
; FloatMode: 240
; IeeeMode: 1
; LDSByteSize: 0 bytes/workgroup (compile time only)
; SGPRBlocks: 0
; VGPRBlocks: 0
; NumSGPRsForWavesPerEU: 4
; NumVGPRsForWavesPerEU: 1
; AccumOffset: 4
; Occupancy: 8
; WaveLimiterHint : 0
; COMPUTE_PGM_RSRC2:SCRATCH_EN: 0
; COMPUTE_PGM_RSRC2:USER_SGPR: 6
; COMPUTE_PGM_RSRC2:TRAP_HANDLER: 0
; COMPUTE_PGM_RSRC2:TGID_X_EN: 1
; COMPUTE_PGM_RSRC2:TGID_Y_EN: 0
; COMPUTE_PGM_RSRC2:TGID_Z_EN: 0
; COMPUTE_PGM_RSRC2:TIDIG_COMP_CNT: 0
; COMPUTE_PGM_RSRC3_GFX90A:ACCUM_OFFSET: 0
; COMPUTE_PGM_RSRC3_GFX90A:TG_SPLIT: 0
	.section	.text._ZN7rocprim17ROCPRIM_400000_NS6detail17trampoline_kernelINS0_14default_configENS1_20scan_config_selectorIyEEZZNS1_9scan_implILNS1_25lookback_scan_determinismE0ELb0ELb0ES3_N6thrust23THRUST_200600_302600_NS6detail15normal_iteratorINS9_10device_ptrIyEEEENS9_16discard_iteratorINS9_11use_defaultEEEyNS9_4plusIvEEyEEDaPvRmT3_T4_T5_mT6_P12ihipStream_tbENKUlT_T0_E_clISt17integral_constantIbLb1EESW_IbLb0EEEEDaSS_ST_EUlSS_E0_NS1_11comp_targetILNS1_3genE0ELNS1_11target_archE4294967295ELNS1_3gpuE0ELNS1_3repE0EEENS1_30default_config_static_selectorELNS0_4arch9wavefront6targetE1EEEvT1_,"axG",@progbits,_ZN7rocprim17ROCPRIM_400000_NS6detail17trampoline_kernelINS0_14default_configENS1_20scan_config_selectorIyEEZZNS1_9scan_implILNS1_25lookback_scan_determinismE0ELb0ELb0ES3_N6thrust23THRUST_200600_302600_NS6detail15normal_iteratorINS9_10device_ptrIyEEEENS9_16discard_iteratorINS9_11use_defaultEEEyNS9_4plusIvEEyEEDaPvRmT3_T4_T5_mT6_P12ihipStream_tbENKUlT_T0_E_clISt17integral_constantIbLb1EESW_IbLb0EEEEDaSS_ST_EUlSS_E0_NS1_11comp_targetILNS1_3genE0ELNS1_11target_archE4294967295ELNS1_3gpuE0ELNS1_3repE0EEENS1_30default_config_static_selectorELNS0_4arch9wavefront6targetE1EEEvT1_,comdat
	.protected	_ZN7rocprim17ROCPRIM_400000_NS6detail17trampoline_kernelINS0_14default_configENS1_20scan_config_selectorIyEEZZNS1_9scan_implILNS1_25lookback_scan_determinismE0ELb0ELb0ES3_N6thrust23THRUST_200600_302600_NS6detail15normal_iteratorINS9_10device_ptrIyEEEENS9_16discard_iteratorINS9_11use_defaultEEEyNS9_4plusIvEEyEEDaPvRmT3_T4_T5_mT6_P12ihipStream_tbENKUlT_T0_E_clISt17integral_constantIbLb1EESW_IbLb0EEEEDaSS_ST_EUlSS_E0_NS1_11comp_targetILNS1_3genE0ELNS1_11target_archE4294967295ELNS1_3gpuE0ELNS1_3repE0EEENS1_30default_config_static_selectorELNS0_4arch9wavefront6targetE1EEEvT1_ ; -- Begin function _ZN7rocprim17ROCPRIM_400000_NS6detail17trampoline_kernelINS0_14default_configENS1_20scan_config_selectorIyEEZZNS1_9scan_implILNS1_25lookback_scan_determinismE0ELb0ELb0ES3_N6thrust23THRUST_200600_302600_NS6detail15normal_iteratorINS9_10device_ptrIyEEEENS9_16discard_iteratorINS9_11use_defaultEEEyNS9_4plusIvEEyEEDaPvRmT3_T4_T5_mT6_P12ihipStream_tbENKUlT_T0_E_clISt17integral_constantIbLb1EESW_IbLb0EEEEDaSS_ST_EUlSS_E0_NS1_11comp_targetILNS1_3genE0ELNS1_11target_archE4294967295ELNS1_3gpuE0ELNS1_3repE0EEENS1_30default_config_static_selectorELNS0_4arch9wavefront6targetE1EEEvT1_
	.globl	_ZN7rocprim17ROCPRIM_400000_NS6detail17trampoline_kernelINS0_14default_configENS1_20scan_config_selectorIyEEZZNS1_9scan_implILNS1_25lookback_scan_determinismE0ELb0ELb0ES3_N6thrust23THRUST_200600_302600_NS6detail15normal_iteratorINS9_10device_ptrIyEEEENS9_16discard_iteratorINS9_11use_defaultEEEyNS9_4plusIvEEyEEDaPvRmT3_T4_T5_mT6_P12ihipStream_tbENKUlT_T0_E_clISt17integral_constantIbLb1EESW_IbLb0EEEEDaSS_ST_EUlSS_E0_NS1_11comp_targetILNS1_3genE0ELNS1_11target_archE4294967295ELNS1_3gpuE0ELNS1_3repE0EEENS1_30default_config_static_selectorELNS0_4arch9wavefront6targetE1EEEvT1_
	.p2align	8
	.type	_ZN7rocprim17ROCPRIM_400000_NS6detail17trampoline_kernelINS0_14default_configENS1_20scan_config_selectorIyEEZZNS1_9scan_implILNS1_25lookback_scan_determinismE0ELb0ELb0ES3_N6thrust23THRUST_200600_302600_NS6detail15normal_iteratorINS9_10device_ptrIyEEEENS9_16discard_iteratorINS9_11use_defaultEEEyNS9_4plusIvEEyEEDaPvRmT3_T4_T5_mT6_P12ihipStream_tbENKUlT_T0_E_clISt17integral_constantIbLb1EESW_IbLb0EEEEDaSS_ST_EUlSS_E0_NS1_11comp_targetILNS1_3genE0ELNS1_11target_archE4294967295ELNS1_3gpuE0ELNS1_3repE0EEENS1_30default_config_static_selectorELNS0_4arch9wavefront6targetE1EEEvT1_,@function
_ZN7rocprim17ROCPRIM_400000_NS6detail17trampoline_kernelINS0_14default_configENS1_20scan_config_selectorIyEEZZNS1_9scan_implILNS1_25lookback_scan_determinismE0ELb0ELb0ES3_N6thrust23THRUST_200600_302600_NS6detail15normal_iteratorINS9_10device_ptrIyEEEENS9_16discard_iteratorINS9_11use_defaultEEEyNS9_4plusIvEEyEEDaPvRmT3_T4_T5_mT6_P12ihipStream_tbENKUlT_T0_E_clISt17integral_constantIbLb1EESW_IbLb0EEEEDaSS_ST_EUlSS_E0_NS1_11comp_targetILNS1_3genE0ELNS1_11target_archE4294967295ELNS1_3gpuE0ELNS1_3repE0EEENS1_30default_config_static_selectorELNS0_4arch9wavefront6targetE1EEEvT1_: ; @_ZN7rocprim17ROCPRIM_400000_NS6detail17trampoline_kernelINS0_14default_configENS1_20scan_config_selectorIyEEZZNS1_9scan_implILNS1_25lookback_scan_determinismE0ELb0ELb0ES3_N6thrust23THRUST_200600_302600_NS6detail15normal_iteratorINS9_10device_ptrIyEEEENS9_16discard_iteratorINS9_11use_defaultEEEyNS9_4plusIvEEyEEDaPvRmT3_T4_T5_mT6_P12ihipStream_tbENKUlT_T0_E_clISt17integral_constantIbLb1EESW_IbLb0EEEEDaSS_ST_EUlSS_E0_NS1_11comp_targetILNS1_3genE0ELNS1_11target_archE4294967295ELNS1_3gpuE0ELNS1_3repE0EEENS1_30default_config_static_selectorELNS0_4arch9wavefront6targetE1EEEvT1_
; %bb.0:
	.section	.rodata,"a",@progbits
	.p2align	6, 0x0
	.amdhsa_kernel _ZN7rocprim17ROCPRIM_400000_NS6detail17trampoline_kernelINS0_14default_configENS1_20scan_config_selectorIyEEZZNS1_9scan_implILNS1_25lookback_scan_determinismE0ELb0ELb0ES3_N6thrust23THRUST_200600_302600_NS6detail15normal_iteratorINS9_10device_ptrIyEEEENS9_16discard_iteratorINS9_11use_defaultEEEyNS9_4plusIvEEyEEDaPvRmT3_T4_T5_mT6_P12ihipStream_tbENKUlT_T0_E_clISt17integral_constantIbLb1EESW_IbLb0EEEEDaSS_ST_EUlSS_E0_NS1_11comp_targetILNS1_3genE0ELNS1_11target_archE4294967295ELNS1_3gpuE0ELNS1_3repE0EEENS1_30default_config_static_selectorELNS0_4arch9wavefront6targetE1EEEvT1_
		.amdhsa_group_segment_fixed_size 0
		.amdhsa_private_segment_fixed_size 0
		.amdhsa_kernarg_size 48
		.amdhsa_user_sgpr_count 6
		.amdhsa_user_sgpr_private_segment_buffer 1
		.amdhsa_user_sgpr_dispatch_ptr 0
		.amdhsa_user_sgpr_queue_ptr 0
		.amdhsa_user_sgpr_kernarg_segment_ptr 1
		.amdhsa_user_sgpr_dispatch_id 0
		.amdhsa_user_sgpr_flat_scratch_init 0
		.amdhsa_user_sgpr_kernarg_preload_length 0
		.amdhsa_user_sgpr_kernarg_preload_offset 0
		.amdhsa_user_sgpr_private_segment_size 0
		.amdhsa_uses_dynamic_stack 0
		.amdhsa_system_sgpr_private_segment_wavefront_offset 0
		.amdhsa_system_sgpr_workgroup_id_x 1
		.amdhsa_system_sgpr_workgroup_id_y 0
		.amdhsa_system_sgpr_workgroup_id_z 0
		.amdhsa_system_sgpr_workgroup_info 0
		.amdhsa_system_vgpr_workitem_id 0
		.amdhsa_next_free_vgpr 1
		.amdhsa_next_free_sgpr 0
		.amdhsa_accum_offset 4
		.amdhsa_reserve_vcc 0
		.amdhsa_reserve_flat_scratch 0
		.amdhsa_float_round_mode_32 0
		.amdhsa_float_round_mode_16_64 0
		.amdhsa_float_denorm_mode_32 3
		.amdhsa_float_denorm_mode_16_64 3
		.amdhsa_dx10_clamp 1
		.amdhsa_ieee_mode 1
		.amdhsa_fp16_overflow 0
		.amdhsa_tg_split 0
		.amdhsa_exception_fp_ieee_invalid_op 0
		.amdhsa_exception_fp_denorm_src 0
		.amdhsa_exception_fp_ieee_div_zero 0
		.amdhsa_exception_fp_ieee_overflow 0
		.amdhsa_exception_fp_ieee_underflow 0
		.amdhsa_exception_fp_ieee_inexact 0
		.amdhsa_exception_int_div_zero 0
	.end_amdhsa_kernel
	.section	.text._ZN7rocprim17ROCPRIM_400000_NS6detail17trampoline_kernelINS0_14default_configENS1_20scan_config_selectorIyEEZZNS1_9scan_implILNS1_25lookback_scan_determinismE0ELb0ELb0ES3_N6thrust23THRUST_200600_302600_NS6detail15normal_iteratorINS9_10device_ptrIyEEEENS9_16discard_iteratorINS9_11use_defaultEEEyNS9_4plusIvEEyEEDaPvRmT3_T4_T5_mT6_P12ihipStream_tbENKUlT_T0_E_clISt17integral_constantIbLb1EESW_IbLb0EEEEDaSS_ST_EUlSS_E0_NS1_11comp_targetILNS1_3genE0ELNS1_11target_archE4294967295ELNS1_3gpuE0ELNS1_3repE0EEENS1_30default_config_static_selectorELNS0_4arch9wavefront6targetE1EEEvT1_,"axG",@progbits,_ZN7rocprim17ROCPRIM_400000_NS6detail17trampoline_kernelINS0_14default_configENS1_20scan_config_selectorIyEEZZNS1_9scan_implILNS1_25lookback_scan_determinismE0ELb0ELb0ES3_N6thrust23THRUST_200600_302600_NS6detail15normal_iteratorINS9_10device_ptrIyEEEENS9_16discard_iteratorINS9_11use_defaultEEEyNS9_4plusIvEEyEEDaPvRmT3_T4_T5_mT6_P12ihipStream_tbENKUlT_T0_E_clISt17integral_constantIbLb1EESW_IbLb0EEEEDaSS_ST_EUlSS_E0_NS1_11comp_targetILNS1_3genE0ELNS1_11target_archE4294967295ELNS1_3gpuE0ELNS1_3repE0EEENS1_30default_config_static_selectorELNS0_4arch9wavefront6targetE1EEEvT1_,comdat
.Lfunc_end5195:
	.size	_ZN7rocprim17ROCPRIM_400000_NS6detail17trampoline_kernelINS0_14default_configENS1_20scan_config_selectorIyEEZZNS1_9scan_implILNS1_25lookback_scan_determinismE0ELb0ELb0ES3_N6thrust23THRUST_200600_302600_NS6detail15normal_iteratorINS9_10device_ptrIyEEEENS9_16discard_iteratorINS9_11use_defaultEEEyNS9_4plusIvEEyEEDaPvRmT3_T4_T5_mT6_P12ihipStream_tbENKUlT_T0_E_clISt17integral_constantIbLb1EESW_IbLb0EEEEDaSS_ST_EUlSS_E0_NS1_11comp_targetILNS1_3genE0ELNS1_11target_archE4294967295ELNS1_3gpuE0ELNS1_3repE0EEENS1_30default_config_static_selectorELNS0_4arch9wavefront6targetE1EEEvT1_, .Lfunc_end5195-_ZN7rocprim17ROCPRIM_400000_NS6detail17trampoline_kernelINS0_14default_configENS1_20scan_config_selectorIyEEZZNS1_9scan_implILNS1_25lookback_scan_determinismE0ELb0ELb0ES3_N6thrust23THRUST_200600_302600_NS6detail15normal_iteratorINS9_10device_ptrIyEEEENS9_16discard_iteratorINS9_11use_defaultEEEyNS9_4plusIvEEyEEDaPvRmT3_T4_T5_mT6_P12ihipStream_tbENKUlT_T0_E_clISt17integral_constantIbLb1EESW_IbLb0EEEEDaSS_ST_EUlSS_E0_NS1_11comp_targetILNS1_3genE0ELNS1_11target_archE4294967295ELNS1_3gpuE0ELNS1_3repE0EEENS1_30default_config_static_selectorELNS0_4arch9wavefront6targetE1EEEvT1_
                                        ; -- End function
	.section	.AMDGPU.csdata,"",@progbits
; Kernel info:
; codeLenInByte = 0
; NumSgprs: 4
; NumVgprs: 0
; NumAgprs: 0
; TotalNumVgprs: 0
; ScratchSize: 0
; MemoryBound: 0
; FloatMode: 240
; IeeeMode: 1
; LDSByteSize: 0 bytes/workgroup (compile time only)
; SGPRBlocks: 0
; VGPRBlocks: 0
; NumSGPRsForWavesPerEU: 4
; NumVGPRsForWavesPerEU: 1
; AccumOffset: 4
; Occupancy: 8
; WaveLimiterHint : 0
; COMPUTE_PGM_RSRC2:SCRATCH_EN: 0
; COMPUTE_PGM_RSRC2:USER_SGPR: 6
; COMPUTE_PGM_RSRC2:TRAP_HANDLER: 0
; COMPUTE_PGM_RSRC2:TGID_X_EN: 1
; COMPUTE_PGM_RSRC2:TGID_Y_EN: 0
; COMPUTE_PGM_RSRC2:TGID_Z_EN: 0
; COMPUTE_PGM_RSRC2:TIDIG_COMP_CNT: 0
; COMPUTE_PGM_RSRC3_GFX90A:ACCUM_OFFSET: 0
; COMPUTE_PGM_RSRC3_GFX90A:TG_SPLIT: 0
	.section	.text._ZN7rocprim17ROCPRIM_400000_NS6detail17trampoline_kernelINS0_14default_configENS1_20scan_config_selectorIyEEZZNS1_9scan_implILNS1_25lookback_scan_determinismE0ELb0ELb0ES3_N6thrust23THRUST_200600_302600_NS6detail15normal_iteratorINS9_10device_ptrIyEEEENS9_16discard_iteratorINS9_11use_defaultEEEyNS9_4plusIvEEyEEDaPvRmT3_T4_T5_mT6_P12ihipStream_tbENKUlT_T0_E_clISt17integral_constantIbLb1EESW_IbLb0EEEEDaSS_ST_EUlSS_E0_NS1_11comp_targetILNS1_3genE5ELNS1_11target_archE942ELNS1_3gpuE9ELNS1_3repE0EEENS1_30default_config_static_selectorELNS0_4arch9wavefront6targetE1EEEvT1_,"axG",@progbits,_ZN7rocprim17ROCPRIM_400000_NS6detail17trampoline_kernelINS0_14default_configENS1_20scan_config_selectorIyEEZZNS1_9scan_implILNS1_25lookback_scan_determinismE0ELb0ELb0ES3_N6thrust23THRUST_200600_302600_NS6detail15normal_iteratorINS9_10device_ptrIyEEEENS9_16discard_iteratorINS9_11use_defaultEEEyNS9_4plusIvEEyEEDaPvRmT3_T4_T5_mT6_P12ihipStream_tbENKUlT_T0_E_clISt17integral_constantIbLb1EESW_IbLb0EEEEDaSS_ST_EUlSS_E0_NS1_11comp_targetILNS1_3genE5ELNS1_11target_archE942ELNS1_3gpuE9ELNS1_3repE0EEENS1_30default_config_static_selectorELNS0_4arch9wavefront6targetE1EEEvT1_,comdat
	.protected	_ZN7rocprim17ROCPRIM_400000_NS6detail17trampoline_kernelINS0_14default_configENS1_20scan_config_selectorIyEEZZNS1_9scan_implILNS1_25lookback_scan_determinismE0ELb0ELb0ES3_N6thrust23THRUST_200600_302600_NS6detail15normal_iteratorINS9_10device_ptrIyEEEENS9_16discard_iteratorINS9_11use_defaultEEEyNS9_4plusIvEEyEEDaPvRmT3_T4_T5_mT6_P12ihipStream_tbENKUlT_T0_E_clISt17integral_constantIbLb1EESW_IbLb0EEEEDaSS_ST_EUlSS_E0_NS1_11comp_targetILNS1_3genE5ELNS1_11target_archE942ELNS1_3gpuE9ELNS1_3repE0EEENS1_30default_config_static_selectorELNS0_4arch9wavefront6targetE1EEEvT1_ ; -- Begin function _ZN7rocprim17ROCPRIM_400000_NS6detail17trampoline_kernelINS0_14default_configENS1_20scan_config_selectorIyEEZZNS1_9scan_implILNS1_25lookback_scan_determinismE0ELb0ELb0ES3_N6thrust23THRUST_200600_302600_NS6detail15normal_iteratorINS9_10device_ptrIyEEEENS9_16discard_iteratorINS9_11use_defaultEEEyNS9_4plusIvEEyEEDaPvRmT3_T4_T5_mT6_P12ihipStream_tbENKUlT_T0_E_clISt17integral_constantIbLb1EESW_IbLb0EEEEDaSS_ST_EUlSS_E0_NS1_11comp_targetILNS1_3genE5ELNS1_11target_archE942ELNS1_3gpuE9ELNS1_3repE0EEENS1_30default_config_static_selectorELNS0_4arch9wavefront6targetE1EEEvT1_
	.globl	_ZN7rocprim17ROCPRIM_400000_NS6detail17trampoline_kernelINS0_14default_configENS1_20scan_config_selectorIyEEZZNS1_9scan_implILNS1_25lookback_scan_determinismE0ELb0ELb0ES3_N6thrust23THRUST_200600_302600_NS6detail15normal_iteratorINS9_10device_ptrIyEEEENS9_16discard_iteratorINS9_11use_defaultEEEyNS9_4plusIvEEyEEDaPvRmT3_T4_T5_mT6_P12ihipStream_tbENKUlT_T0_E_clISt17integral_constantIbLb1EESW_IbLb0EEEEDaSS_ST_EUlSS_E0_NS1_11comp_targetILNS1_3genE5ELNS1_11target_archE942ELNS1_3gpuE9ELNS1_3repE0EEENS1_30default_config_static_selectorELNS0_4arch9wavefront6targetE1EEEvT1_
	.p2align	8
	.type	_ZN7rocprim17ROCPRIM_400000_NS6detail17trampoline_kernelINS0_14default_configENS1_20scan_config_selectorIyEEZZNS1_9scan_implILNS1_25lookback_scan_determinismE0ELb0ELb0ES3_N6thrust23THRUST_200600_302600_NS6detail15normal_iteratorINS9_10device_ptrIyEEEENS9_16discard_iteratorINS9_11use_defaultEEEyNS9_4plusIvEEyEEDaPvRmT3_T4_T5_mT6_P12ihipStream_tbENKUlT_T0_E_clISt17integral_constantIbLb1EESW_IbLb0EEEEDaSS_ST_EUlSS_E0_NS1_11comp_targetILNS1_3genE5ELNS1_11target_archE942ELNS1_3gpuE9ELNS1_3repE0EEENS1_30default_config_static_selectorELNS0_4arch9wavefront6targetE1EEEvT1_,@function
_ZN7rocprim17ROCPRIM_400000_NS6detail17trampoline_kernelINS0_14default_configENS1_20scan_config_selectorIyEEZZNS1_9scan_implILNS1_25lookback_scan_determinismE0ELb0ELb0ES3_N6thrust23THRUST_200600_302600_NS6detail15normal_iteratorINS9_10device_ptrIyEEEENS9_16discard_iteratorINS9_11use_defaultEEEyNS9_4plusIvEEyEEDaPvRmT3_T4_T5_mT6_P12ihipStream_tbENKUlT_T0_E_clISt17integral_constantIbLb1EESW_IbLb0EEEEDaSS_ST_EUlSS_E0_NS1_11comp_targetILNS1_3genE5ELNS1_11target_archE942ELNS1_3gpuE9ELNS1_3repE0EEENS1_30default_config_static_selectorELNS0_4arch9wavefront6targetE1EEEvT1_: ; @_ZN7rocprim17ROCPRIM_400000_NS6detail17trampoline_kernelINS0_14default_configENS1_20scan_config_selectorIyEEZZNS1_9scan_implILNS1_25lookback_scan_determinismE0ELb0ELb0ES3_N6thrust23THRUST_200600_302600_NS6detail15normal_iteratorINS9_10device_ptrIyEEEENS9_16discard_iteratorINS9_11use_defaultEEEyNS9_4plusIvEEyEEDaPvRmT3_T4_T5_mT6_P12ihipStream_tbENKUlT_T0_E_clISt17integral_constantIbLb1EESW_IbLb0EEEEDaSS_ST_EUlSS_E0_NS1_11comp_targetILNS1_3genE5ELNS1_11target_archE942ELNS1_3gpuE9ELNS1_3repE0EEENS1_30default_config_static_selectorELNS0_4arch9wavefront6targetE1EEEvT1_
; %bb.0:
	.section	.rodata,"a",@progbits
	.p2align	6, 0x0
	.amdhsa_kernel _ZN7rocprim17ROCPRIM_400000_NS6detail17trampoline_kernelINS0_14default_configENS1_20scan_config_selectorIyEEZZNS1_9scan_implILNS1_25lookback_scan_determinismE0ELb0ELb0ES3_N6thrust23THRUST_200600_302600_NS6detail15normal_iteratorINS9_10device_ptrIyEEEENS9_16discard_iteratorINS9_11use_defaultEEEyNS9_4plusIvEEyEEDaPvRmT3_T4_T5_mT6_P12ihipStream_tbENKUlT_T0_E_clISt17integral_constantIbLb1EESW_IbLb0EEEEDaSS_ST_EUlSS_E0_NS1_11comp_targetILNS1_3genE5ELNS1_11target_archE942ELNS1_3gpuE9ELNS1_3repE0EEENS1_30default_config_static_selectorELNS0_4arch9wavefront6targetE1EEEvT1_
		.amdhsa_group_segment_fixed_size 0
		.amdhsa_private_segment_fixed_size 0
		.amdhsa_kernarg_size 48
		.amdhsa_user_sgpr_count 6
		.amdhsa_user_sgpr_private_segment_buffer 1
		.amdhsa_user_sgpr_dispatch_ptr 0
		.amdhsa_user_sgpr_queue_ptr 0
		.amdhsa_user_sgpr_kernarg_segment_ptr 1
		.amdhsa_user_sgpr_dispatch_id 0
		.amdhsa_user_sgpr_flat_scratch_init 0
		.amdhsa_user_sgpr_kernarg_preload_length 0
		.amdhsa_user_sgpr_kernarg_preload_offset 0
		.amdhsa_user_sgpr_private_segment_size 0
		.amdhsa_uses_dynamic_stack 0
		.amdhsa_system_sgpr_private_segment_wavefront_offset 0
		.amdhsa_system_sgpr_workgroup_id_x 1
		.amdhsa_system_sgpr_workgroup_id_y 0
		.amdhsa_system_sgpr_workgroup_id_z 0
		.amdhsa_system_sgpr_workgroup_info 0
		.amdhsa_system_vgpr_workitem_id 0
		.amdhsa_next_free_vgpr 1
		.amdhsa_next_free_sgpr 0
		.amdhsa_accum_offset 4
		.amdhsa_reserve_vcc 0
		.amdhsa_reserve_flat_scratch 0
		.amdhsa_float_round_mode_32 0
		.amdhsa_float_round_mode_16_64 0
		.amdhsa_float_denorm_mode_32 3
		.amdhsa_float_denorm_mode_16_64 3
		.amdhsa_dx10_clamp 1
		.amdhsa_ieee_mode 1
		.amdhsa_fp16_overflow 0
		.amdhsa_tg_split 0
		.amdhsa_exception_fp_ieee_invalid_op 0
		.amdhsa_exception_fp_denorm_src 0
		.amdhsa_exception_fp_ieee_div_zero 0
		.amdhsa_exception_fp_ieee_overflow 0
		.amdhsa_exception_fp_ieee_underflow 0
		.amdhsa_exception_fp_ieee_inexact 0
		.amdhsa_exception_int_div_zero 0
	.end_amdhsa_kernel
	.section	.text._ZN7rocprim17ROCPRIM_400000_NS6detail17trampoline_kernelINS0_14default_configENS1_20scan_config_selectorIyEEZZNS1_9scan_implILNS1_25lookback_scan_determinismE0ELb0ELb0ES3_N6thrust23THRUST_200600_302600_NS6detail15normal_iteratorINS9_10device_ptrIyEEEENS9_16discard_iteratorINS9_11use_defaultEEEyNS9_4plusIvEEyEEDaPvRmT3_T4_T5_mT6_P12ihipStream_tbENKUlT_T0_E_clISt17integral_constantIbLb1EESW_IbLb0EEEEDaSS_ST_EUlSS_E0_NS1_11comp_targetILNS1_3genE5ELNS1_11target_archE942ELNS1_3gpuE9ELNS1_3repE0EEENS1_30default_config_static_selectorELNS0_4arch9wavefront6targetE1EEEvT1_,"axG",@progbits,_ZN7rocprim17ROCPRIM_400000_NS6detail17trampoline_kernelINS0_14default_configENS1_20scan_config_selectorIyEEZZNS1_9scan_implILNS1_25lookback_scan_determinismE0ELb0ELb0ES3_N6thrust23THRUST_200600_302600_NS6detail15normal_iteratorINS9_10device_ptrIyEEEENS9_16discard_iteratorINS9_11use_defaultEEEyNS9_4plusIvEEyEEDaPvRmT3_T4_T5_mT6_P12ihipStream_tbENKUlT_T0_E_clISt17integral_constantIbLb1EESW_IbLb0EEEEDaSS_ST_EUlSS_E0_NS1_11comp_targetILNS1_3genE5ELNS1_11target_archE942ELNS1_3gpuE9ELNS1_3repE0EEENS1_30default_config_static_selectorELNS0_4arch9wavefront6targetE1EEEvT1_,comdat
.Lfunc_end5196:
	.size	_ZN7rocprim17ROCPRIM_400000_NS6detail17trampoline_kernelINS0_14default_configENS1_20scan_config_selectorIyEEZZNS1_9scan_implILNS1_25lookback_scan_determinismE0ELb0ELb0ES3_N6thrust23THRUST_200600_302600_NS6detail15normal_iteratorINS9_10device_ptrIyEEEENS9_16discard_iteratorINS9_11use_defaultEEEyNS9_4plusIvEEyEEDaPvRmT3_T4_T5_mT6_P12ihipStream_tbENKUlT_T0_E_clISt17integral_constantIbLb1EESW_IbLb0EEEEDaSS_ST_EUlSS_E0_NS1_11comp_targetILNS1_3genE5ELNS1_11target_archE942ELNS1_3gpuE9ELNS1_3repE0EEENS1_30default_config_static_selectorELNS0_4arch9wavefront6targetE1EEEvT1_, .Lfunc_end5196-_ZN7rocprim17ROCPRIM_400000_NS6detail17trampoline_kernelINS0_14default_configENS1_20scan_config_selectorIyEEZZNS1_9scan_implILNS1_25lookback_scan_determinismE0ELb0ELb0ES3_N6thrust23THRUST_200600_302600_NS6detail15normal_iteratorINS9_10device_ptrIyEEEENS9_16discard_iteratorINS9_11use_defaultEEEyNS9_4plusIvEEyEEDaPvRmT3_T4_T5_mT6_P12ihipStream_tbENKUlT_T0_E_clISt17integral_constantIbLb1EESW_IbLb0EEEEDaSS_ST_EUlSS_E0_NS1_11comp_targetILNS1_3genE5ELNS1_11target_archE942ELNS1_3gpuE9ELNS1_3repE0EEENS1_30default_config_static_selectorELNS0_4arch9wavefront6targetE1EEEvT1_
                                        ; -- End function
	.section	.AMDGPU.csdata,"",@progbits
; Kernel info:
; codeLenInByte = 0
; NumSgprs: 4
; NumVgprs: 0
; NumAgprs: 0
; TotalNumVgprs: 0
; ScratchSize: 0
; MemoryBound: 0
; FloatMode: 240
; IeeeMode: 1
; LDSByteSize: 0 bytes/workgroup (compile time only)
; SGPRBlocks: 0
; VGPRBlocks: 0
; NumSGPRsForWavesPerEU: 4
; NumVGPRsForWavesPerEU: 1
; AccumOffset: 4
; Occupancy: 8
; WaveLimiterHint : 0
; COMPUTE_PGM_RSRC2:SCRATCH_EN: 0
; COMPUTE_PGM_RSRC2:USER_SGPR: 6
; COMPUTE_PGM_RSRC2:TRAP_HANDLER: 0
; COMPUTE_PGM_RSRC2:TGID_X_EN: 1
; COMPUTE_PGM_RSRC2:TGID_Y_EN: 0
; COMPUTE_PGM_RSRC2:TGID_Z_EN: 0
; COMPUTE_PGM_RSRC2:TIDIG_COMP_CNT: 0
; COMPUTE_PGM_RSRC3_GFX90A:ACCUM_OFFSET: 0
; COMPUTE_PGM_RSRC3_GFX90A:TG_SPLIT: 0
	.section	.text._ZN7rocprim17ROCPRIM_400000_NS6detail17trampoline_kernelINS0_14default_configENS1_20scan_config_selectorIyEEZZNS1_9scan_implILNS1_25lookback_scan_determinismE0ELb0ELb0ES3_N6thrust23THRUST_200600_302600_NS6detail15normal_iteratorINS9_10device_ptrIyEEEENS9_16discard_iteratorINS9_11use_defaultEEEyNS9_4plusIvEEyEEDaPvRmT3_T4_T5_mT6_P12ihipStream_tbENKUlT_T0_E_clISt17integral_constantIbLb1EESW_IbLb0EEEEDaSS_ST_EUlSS_E0_NS1_11comp_targetILNS1_3genE4ELNS1_11target_archE910ELNS1_3gpuE8ELNS1_3repE0EEENS1_30default_config_static_selectorELNS0_4arch9wavefront6targetE1EEEvT1_,"axG",@progbits,_ZN7rocprim17ROCPRIM_400000_NS6detail17trampoline_kernelINS0_14default_configENS1_20scan_config_selectorIyEEZZNS1_9scan_implILNS1_25lookback_scan_determinismE0ELb0ELb0ES3_N6thrust23THRUST_200600_302600_NS6detail15normal_iteratorINS9_10device_ptrIyEEEENS9_16discard_iteratorINS9_11use_defaultEEEyNS9_4plusIvEEyEEDaPvRmT3_T4_T5_mT6_P12ihipStream_tbENKUlT_T0_E_clISt17integral_constantIbLb1EESW_IbLb0EEEEDaSS_ST_EUlSS_E0_NS1_11comp_targetILNS1_3genE4ELNS1_11target_archE910ELNS1_3gpuE8ELNS1_3repE0EEENS1_30default_config_static_selectorELNS0_4arch9wavefront6targetE1EEEvT1_,comdat
	.protected	_ZN7rocprim17ROCPRIM_400000_NS6detail17trampoline_kernelINS0_14default_configENS1_20scan_config_selectorIyEEZZNS1_9scan_implILNS1_25lookback_scan_determinismE0ELb0ELb0ES3_N6thrust23THRUST_200600_302600_NS6detail15normal_iteratorINS9_10device_ptrIyEEEENS9_16discard_iteratorINS9_11use_defaultEEEyNS9_4plusIvEEyEEDaPvRmT3_T4_T5_mT6_P12ihipStream_tbENKUlT_T0_E_clISt17integral_constantIbLb1EESW_IbLb0EEEEDaSS_ST_EUlSS_E0_NS1_11comp_targetILNS1_3genE4ELNS1_11target_archE910ELNS1_3gpuE8ELNS1_3repE0EEENS1_30default_config_static_selectorELNS0_4arch9wavefront6targetE1EEEvT1_ ; -- Begin function _ZN7rocprim17ROCPRIM_400000_NS6detail17trampoline_kernelINS0_14default_configENS1_20scan_config_selectorIyEEZZNS1_9scan_implILNS1_25lookback_scan_determinismE0ELb0ELb0ES3_N6thrust23THRUST_200600_302600_NS6detail15normal_iteratorINS9_10device_ptrIyEEEENS9_16discard_iteratorINS9_11use_defaultEEEyNS9_4plusIvEEyEEDaPvRmT3_T4_T5_mT6_P12ihipStream_tbENKUlT_T0_E_clISt17integral_constantIbLb1EESW_IbLb0EEEEDaSS_ST_EUlSS_E0_NS1_11comp_targetILNS1_3genE4ELNS1_11target_archE910ELNS1_3gpuE8ELNS1_3repE0EEENS1_30default_config_static_selectorELNS0_4arch9wavefront6targetE1EEEvT1_
	.globl	_ZN7rocprim17ROCPRIM_400000_NS6detail17trampoline_kernelINS0_14default_configENS1_20scan_config_selectorIyEEZZNS1_9scan_implILNS1_25lookback_scan_determinismE0ELb0ELb0ES3_N6thrust23THRUST_200600_302600_NS6detail15normal_iteratorINS9_10device_ptrIyEEEENS9_16discard_iteratorINS9_11use_defaultEEEyNS9_4plusIvEEyEEDaPvRmT3_T4_T5_mT6_P12ihipStream_tbENKUlT_T0_E_clISt17integral_constantIbLb1EESW_IbLb0EEEEDaSS_ST_EUlSS_E0_NS1_11comp_targetILNS1_3genE4ELNS1_11target_archE910ELNS1_3gpuE8ELNS1_3repE0EEENS1_30default_config_static_selectorELNS0_4arch9wavefront6targetE1EEEvT1_
	.p2align	8
	.type	_ZN7rocprim17ROCPRIM_400000_NS6detail17trampoline_kernelINS0_14default_configENS1_20scan_config_selectorIyEEZZNS1_9scan_implILNS1_25lookback_scan_determinismE0ELb0ELb0ES3_N6thrust23THRUST_200600_302600_NS6detail15normal_iteratorINS9_10device_ptrIyEEEENS9_16discard_iteratorINS9_11use_defaultEEEyNS9_4plusIvEEyEEDaPvRmT3_T4_T5_mT6_P12ihipStream_tbENKUlT_T0_E_clISt17integral_constantIbLb1EESW_IbLb0EEEEDaSS_ST_EUlSS_E0_NS1_11comp_targetILNS1_3genE4ELNS1_11target_archE910ELNS1_3gpuE8ELNS1_3repE0EEENS1_30default_config_static_selectorELNS0_4arch9wavefront6targetE1EEEvT1_,@function
_ZN7rocprim17ROCPRIM_400000_NS6detail17trampoline_kernelINS0_14default_configENS1_20scan_config_selectorIyEEZZNS1_9scan_implILNS1_25lookback_scan_determinismE0ELb0ELb0ES3_N6thrust23THRUST_200600_302600_NS6detail15normal_iteratorINS9_10device_ptrIyEEEENS9_16discard_iteratorINS9_11use_defaultEEEyNS9_4plusIvEEyEEDaPvRmT3_T4_T5_mT6_P12ihipStream_tbENKUlT_T0_E_clISt17integral_constantIbLb1EESW_IbLb0EEEEDaSS_ST_EUlSS_E0_NS1_11comp_targetILNS1_3genE4ELNS1_11target_archE910ELNS1_3gpuE8ELNS1_3repE0EEENS1_30default_config_static_selectorELNS0_4arch9wavefront6targetE1EEEvT1_: ; @_ZN7rocprim17ROCPRIM_400000_NS6detail17trampoline_kernelINS0_14default_configENS1_20scan_config_selectorIyEEZZNS1_9scan_implILNS1_25lookback_scan_determinismE0ELb0ELb0ES3_N6thrust23THRUST_200600_302600_NS6detail15normal_iteratorINS9_10device_ptrIyEEEENS9_16discard_iteratorINS9_11use_defaultEEEyNS9_4plusIvEEyEEDaPvRmT3_T4_T5_mT6_P12ihipStream_tbENKUlT_T0_E_clISt17integral_constantIbLb1EESW_IbLb0EEEEDaSS_ST_EUlSS_E0_NS1_11comp_targetILNS1_3genE4ELNS1_11target_archE910ELNS1_3gpuE8ELNS1_3repE0EEENS1_30default_config_static_selectorELNS0_4arch9wavefront6targetE1EEEvT1_
; %bb.0:
	s_load_dwordx4 s[0:3], s[4:5], 0x0
	v_lshlrev_b32_e32 v21, 3, v0
	s_waitcnt lgkmcnt(0)
	s_load_dwordx2 s[4:5], s[0:1], 0x0
	v_cmp_gt_u32_e32 vcc, s2, v0
	s_waitcnt lgkmcnt(0)
	v_pk_mov_b32 v[2:3], s[4:5], s[4:5] op_sel:[0,1]
	s_and_saveexec_b64 s[6:7], vcc
	s_cbranch_execz .LBB5197_2
; %bb.1:
	global_load_dwordx2 v[2:3], v21, s[0:1]
.LBB5197_2:
	s_or_b64 exec, exec, s[6:7]
	v_or_b32_e32 v1, 0x80, v0
	v_cmp_gt_u32_e32 vcc, s2, v1
	v_pk_mov_b32 v[4:5], s[4:5], s[4:5] op_sel:[0,1]
	s_and_saveexec_b64 s[6:7], vcc
	s_cbranch_execz .LBB5197_4
; %bb.3:
	global_load_dwordx2 v[4:5], v21, s[0:1] offset:1024
.LBB5197_4:
	s_or_b64 exec, exec, s[6:7]
	v_or_b32_e32 v1, 0x100, v0
	v_cmp_gt_u32_e32 vcc, s2, v1
	v_pk_mov_b32 v[6:7], s[4:5], s[4:5] op_sel:[0,1]
	s_and_saveexec_b64 s[6:7], vcc
	s_cbranch_execz .LBB5197_6
; %bb.5:
	global_load_dwordx2 v[6:7], v21, s[0:1] offset:2048
.LBB5197_6:
	;; [unrolled: 9-line block ×3, first 2 shown]
	s_or_b64 exec, exec, s[6:7]
	v_or_b32_e32 v1, 0x200, v0
	v_cmp_gt_u32_e32 vcc, s2, v1
	v_pk_mov_b32 v[10:11], s[4:5], s[4:5] op_sel:[0,1]
	s_and_saveexec_b64 s[6:7], vcc
	s_cbranch_execz .LBB5197_10
; %bb.9:
	v_lshlrev_b32_e32 v1, 3, v1
	global_load_dwordx2 v[10:11], v1, s[0:1]
.LBB5197_10:
	s_or_b64 exec, exec, s[6:7]
	v_or_b32_e32 v1, 0x280, v0
	v_cmp_gt_u32_e32 vcc, s2, v1
	v_pk_mov_b32 v[12:13], s[4:5], s[4:5] op_sel:[0,1]
	s_and_saveexec_b64 s[6:7], vcc
	s_cbranch_execz .LBB5197_12
; %bb.11:
	v_lshlrev_b32_e32 v1, 3, v1
	global_load_dwordx2 v[12:13], v1, s[0:1]
.LBB5197_12:
	;; [unrolled: 10-line block ×3, first 2 shown]
	s_or_b64 exec, exec, s[2:3]
	v_mad_u32_u24 v1, v0, 48, v21
	s_waitcnt vmcnt(0)
	ds_write2st64_b64 v21, v[2:3], v[4:5] offset1:2
	ds_write2st64_b64 v21, v[6:7], v[8:9] offset0:4 offset1:6
	ds_write2st64_b64 v21, v[10:11], v[12:13] offset0:8 offset1:10
	ds_write_b64 v21, v[14:15] offset:6144
	s_waitcnt lgkmcnt(0)
	s_barrier
	ds_read2_b64 v[2:5], v1 offset1:1
	ds_read2_b64 v[6:9], v1 offset0:2 offset1:3
	ds_read2_b64 v[10:13], v1 offset0:4 offset1:5
	ds_read_b64 v[28:29], v1 offset:48
	v_lshrrev_b32_e32 v14, 2, v0
	s_waitcnt lgkmcnt(3)
	v_add_co_u32_e32 v20, vcc, v4, v2
	v_addc_co_u32_e32 v1, vcc, v5, v3, vcc
	s_waitcnt lgkmcnt(2)
	v_add_co_u32_e32 v18, vcc, v20, v6
	v_addc_co_u32_e32 v19, vcc, v1, v7, vcc
	v_add_co_u32_e32 v24, vcc, v18, v8
	v_addc_co_u32_e32 v25, vcc, v19, v9, vcc
	s_waitcnt lgkmcnt(1)
	v_add_co_u32_e32 v22, vcc, v24, v10
	v_addc_co_u32_e32 v23, vcc, v25, v11, vcc
	;; [unrolled: 5-line block ×3, first 2 shown]
	v_and_b32_e32 v14, 24, v14
	v_add_u32_e32 v14, v21, v14
	v_cmp_gt_u32_e32 vcc, 64, v0
	s_barrier
	ds_write_b64 v14, v[30:31]
	s_waitcnt lgkmcnt(0)
	s_barrier
	s_and_saveexec_b64 s[2:3], vcc
	s_cbranch_execz .LBB5197_18
; %bb.15:
	v_lshlrev_b32_e32 v14, 1, v0
	v_lshrrev_b32_e32 v15, 4, v0
	v_add_lshl_u32 v32, v15, v14, 3
	ds_read2_b64 v[14:17], v32 offset1:1
	s_waitcnt lgkmcnt(0)
	v_add_co_u32_e32 v34, vcc, v16, v14
	v_addc_co_u32_e32 v35, vcc, v17, v15, vcc
	s_nop 0
	v_mov_b32_dpp v17, v34 row_shr:1 row_mask:0xf bank_mask:0xf
	v_add_co_u32_e32 v17, vcc, v34, v17
	v_mbcnt_lo_u32_b32 v16, -1, 0
	v_addc_co_u32_e32 v37, vcc, 0, v35, vcc
	v_mbcnt_hi_u32_b32 v33, -1, v16
	v_mov_b32_dpp v36, v35 row_shr:1 row_mask:0xf bank_mask:0xf
	v_add_co_u32_e32 v38, vcc, 0, v17
	v_and_b32_e32 v16, 15, v33
	v_addc_co_u32_e32 v36, vcc, v36, v37, vcc
	v_cmp_eq_u32_e32 vcc, 0, v16
	v_cndmask_b32_e32 v17, v17, v34, vcc
	v_cndmask_b32_e32 v36, v36, v35, vcc
	v_cndmask_b32_e32 v37, v38, v34, vcc
	v_mov_b32_dpp v38, v17 row_shr:2 row_mask:0xf bank_mask:0xf
	v_mov_b32_dpp v39, v36 row_shr:2 row_mask:0xf bank_mask:0xf
	v_add_co_u32_e32 v38, vcc, v38, v37
	v_addc_co_u32_e32 v39, vcc, v39, v36, vcc
	v_cmp_lt_u32_e32 vcc, 1, v16
	v_cndmask_b32_e32 v17, v17, v38, vcc
	v_cndmask_b32_e32 v36, v36, v39, vcc
	v_cndmask_b32_e32 v37, v37, v38, vcc
	v_mov_b32_dpp v38, v17 row_shr:4 row_mask:0xf bank_mask:0xf
	v_mov_b32_dpp v39, v36 row_shr:4 row_mask:0xf bank_mask:0xf
	v_add_co_u32_e32 v38, vcc, v38, v37
	v_addc_co_u32_e32 v39, vcc, v39, v36, vcc
	v_cmp_lt_u32_e32 vcc, 3, v16
	;; [unrolled: 8-line block ×3, first 2 shown]
	v_cndmask_b32_e32 v40, v17, v38, vcc
	v_cndmask_b32_e32 v17, v36, v39, vcc
	;; [unrolled: 1-line block ×3, first 2 shown]
	v_mov_b32_dpp v36, v40 row_bcast:15 row_mask:0xf bank_mask:0xf
	v_mov_b32_dpp v37, v17 row_bcast:15 row_mask:0xf bank_mask:0xf
	v_add_co_u32_e32 v36, vcc, v36, v16
	v_and_b32_e32 v39, 16, v33
	v_addc_co_u32_e32 v38, vcc, v37, v17, vcc
	v_cmp_eq_u32_e32 vcc, 0, v39
	v_cndmask_b32_e32 v39, v38, v17, vcc
	v_cndmask_b32_e32 v37, v36, v40, vcc
	v_cmp_ne_u32_e64 s[0:1], 0, v33
	v_mov_b32_dpp v39, v39 row_bcast:31 row_mask:0xf bank_mask:0xf
	v_mov_b32_dpp v37, v37 row_bcast:31 row_mask:0xf bank_mask:0xf
	s_and_saveexec_b64 s[4:5], s[0:1]
; %bb.16:
	v_cndmask_b32_e32 v17, v38, v17, vcc
	v_cndmask_b32_e32 v16, v36, v16, vcc
	v_cmp_lt_u32_e32 vcc, 31, v33
	v_cndmask_b32_e32 v34, 0, v37, vcc
	v_cndmask_b32_e32 v35, 0, v39, vcc
	v_add_co_u32_e32 v34, vcc, v34, v16
	v_addc_co_u32_e32 v35, vcc, v35, v17, vcc
; %bb.17:
	s_or_b64 exec, exec, s[4:5]
	v_add_u32_e32 v16, -1, v33
	v_and_b32_e32 v17, 64, v33
	v_cmp_lt_i32_e32 vcc, v16, v17
	v_cndmask_b32_e32 v16, v16, v33, vcc
	v_lshlrev_b32_e32 v16, 2, v16
	ds_bpermute_b32 v17, v16, v34
	ds_bpermute_b32 v16, v16, v35
	; wave barrier
	s_waitcnt lgkmcnt(1)
	v_add_co_u32_e32 v14, vcc, v14, v17
	v_addc_co_u32_e32 v15, vcc, 0, v15, vcc
	v_add_co_u32_e32 v14, vcc, 0, v14
	s_waitcnt lgkmcnt(0)
	v_addc_co_u32_e32 v15, vcc, v15, v16, vcc
	v_cmp_eq_u32_e32 vcc, 0, v0
	v_cndmask_b32_e32 v15, v15, v31, vcc
	v_cndmask_b32_e32 v14, v14, v30, vcc
	ds_write_b64 v32, v[14:15]
	; wave barrier
	ds_read_b64 v[16:17], v32 offset:8
	s_waitcnt lgkmcnt(0)
	v_add_co_u32_e32 v14, vcc, v16, v14
	v_addc_co_u32_e32 v15, vcc, v17, v15, vcc
	ds_write_b64 v32, v[14:15] offset:8
.LBB5197_18:
	s_or_b64 exec, exec, s[2:3]
	v_mul_u32_u24_e32 v16, 48, v0
	v_cmp_ne_u32_e32 vcc, 0, v0
	v_pk_mov_b32 v[14:15], v[30:31], v[30:31] op_sel:[0,1]
	s_waitcnt lgkmcnt(0)
	s_barrier
	s_and_saveexec_b64 s[0:1], vcc
	s_cbranch_execz .LBB5197_20
; %bb.19:
	v_add_u32_e32 v0, -1, v0
	v_lshrrev_b32_e32 v14, 5, v0
	v_add_lshl_u32 v0, v14, v0, 3
	ds_read_b64 v[14:15], v0
.LBB5197_20:
	s_or_b64 exec, exec, s[0:1]
	s_and_saveexec_b64 s[0:1], vcc
	s_cbranch_execz .LBB5197_22
; %bb.21:
	s_waitcnt lgkmcnt(0)
	v_add_co_u32_e32 v2, vcc, v14, v2
	v_addc_co_u32_e32 v3, vcc, v15, v3, vcc
	v_add_co_u32_e32 v20, vcc, v2, v4
	v_addc_co_u32_e32 v1, vcc, v3, v5, vcc
	;; [unrolled: 2-line block ×7, first 2 shown]
	;;#ASMSTART
	;;#ASMEND
.LBB5197_22:
	s_or_b64 exec, exec, s[0:1]
	v_add_u32_e32 v0, v21, v16
	v_mov_b32_e32 v21, v1
	s_waitcnt lgkmcnt(0)
	s_barrier
	ds_write2_b64 v0, v[2:3], v[20:21] offset1:1
	ds_write2_b64 v0, v[18:19], v[24:25] offset0:2 offset1:3
	ds_write2_b64 v0, v[22:23], v[26:27] offset0:4 offset1:5
	ds_write_b64 v0, v[30:31] offset:48
	s_waitcnt lgkmcnt(0)
	s_barrier
	s_endpgm
	.section	.rodata,"a",@progbits
	.p2align	6, 0x0
	.amdhsa_kernel _ZN7rocprim17ROCPRIM_400000_NS6detail17trampoline_kernelINS0_14default_configENS1_20scan_config_selectorIyEEZZNS1_9scan_implILNS1_25lookback_scan_determinismE0ELb0ELb0ES3_N6thrust23THRUST_200600_302600_NS6detail15normal_iteratorINS9_10device_ptrIyEEEENS9_16discard_iteratorINS9_11use_defaultEEEyNS9_4plusIvEEyEEDaPvRmT3_T4_T5_mT6_P12ihipStream_tbENKUlT_T0_E_clISt17integral_constantIbLb1EESW_IbLb0EEEEDaSS_ST_EUlSS_E0_NS1_11comp_targetILNS1_3genE4ELNS1_11target_archE910ELNS1_3gpuE8ELNS1_3repE0EEENS1_30default_config_static_selectorELNS0_4arch9wavefront6targetE1EEEvT1_
		.amdhsa_group_segment_fixed_size 7168
		.amdhsa_private_segment_fixed_size 0
		.amdhsa_kernarg_size 48
		.amdhsa_user_sgpr_count 6
		.amdhsa_user_sgpr_private_segment_buffer 1
		.amdhsa_user_sgpr_dispatch_ptr 0
		.amdhsa_user_sgpr_queue_ptr 0
		.amdhsa_user_sgpr_kernarg_segment_ptr 1
		.amdhsa_user_sgpr_dispatch_id 0
		.amdhsa_user_sgpr_flat_scratch_init 0
		.amdhsa_user_sgpr_kernarg_preload_length 0
		.amdhsa_user_sgpr_kernarg_preload_offset 0
		.amdhsa_user_sgpr_private_segment_size 0
		.amdhsa_uses_dynamic_stack 0
		.amdhsa_system_sgpr_private_segment_wavefront_offset 0
		.amdhsa_system_sgpr_workgroup_id_x 1
		.amdhsa_system_sgpr_workgroup_id_y 0
		.amdhsa_system_sgpr_workgroup_id_z 0
		.amdhsa_system_sgpr_workgroup_info 0
		.amdhsa_system_vgpr_workitem_id 0
		.amdhsa_next_free_vgpr 41
		.amdhsa_next_free_sgpr 8
		.amdhsa_accum_offset 44
		.amdhsa_reserve_vcc 1
		.amdhsa_reserve_flat_scratch 0
		.amdhsa_float_round_mode_32 0
		.amdhsa_float_round_mode_16_64 0
		.amdhsa_float_denorm_mode_32 3
		.amdhsa_float_denorm_mode_16_64 3
		.amdhsa_dx10_clamp 1
		.amdhsa_ieee_mode 1
		.amdhsa_fp16_overflow 0
		.amdhsa_tg_split 0
		.amdhsa_exception_fp_ieee_invalid_op 0
		.amdhsa_exception_fp_denorm_src 0
		.amdhsa_exception_fp_ieee_div_zero 0
		.amdhsa_exception_fp_ieee_overflow 0
		.amdhsa_exception_fp_ieee_underflow 0
		.amdhsa_exception_fp_ieee_inexact 0
		.amdhsa_exception_int_div_zero 0
	.end_amdhsa_kernel
	.section	.text._ZN7rocprim17ROCPRIM_400000_NS6detail17trampoline_kernelINS0_14default_configENS1_20scan_config_selectorIyEEZZNS1_9scan_implILNS1_25lookback_scan_determinismE0ELb0ELb0ES3_N6thrust23THRUST_200600_302600_NS6detail15normal_iteratorINS9_10device_ptrIyEEEENS9_16discard_iteratorINS9_11use_defaultEEEyNS9_4plusIvEEyEEDaPvRmT3_T4_T5_mT6_P12ihipStream_tbENKUlT_T0_E_clISt17integral_constantIbLb1EESW_IbLb0EEEEDaSS_ST_EUlSS_E0_NS1_11comp_targetILNS1_3genE4ELNS1_11target_archE910ELNS1_3gpuE8ELNS1_3repE0EEENS1_30default_config_static_selectorELNS0_4arch9wavefront6targetE1EEEvT1_,"axG",@progbits,_ZN7rocprim17ROCPRIM_400000_NS6detail17trampoline_kernelINS0_14default_configENS1_20scan_config_selectorIyEEZZNS1_9scan_implILNS1_25lookback_scan_determinismE0ELb0ELb0ES3_N6thrust23THRUST_200600_302600_NS6detail15normal_iteratorINS9_10device_ptrIyEEEENS9_16discard_iteratorINS9_11use_defaultEEEyNS9_4plusIvEEyEEDaPvRmT3_T4_T5_mT6_P12ihipStream_tbENKUlT_T0_E_clISt17integral_constantIbLb1EESW_IbLb0EEEEDaSS_ST_EUlSS_E0_NS1_11comp_targetILNS1_3genE4ELNS1_11target_archE910ELNS1_3gpuE8ELNS1_3repE0EEENS1_30default_config_static_selectorELNS0_4arch9wavefront6targetE1EEEvT1_,comdat
.Lfunc_end5197:
	.size	_ZN7rocprim17ROCPRIM_400000_NS6detail17trampoline_kernelINS0_14default_configENS1_20scan_config_selectorIyEEZZNS1_9scan_implILNS1_25lookback_scan_determinismE0ELb0ELb0ES3_N6thrust23THRUST_200600_302600_NS6detail15normal_iteratorINS9_10device_ptrIyEEEENS9_16discard_iteratorINS9_11use_defaultEEEyNS9_4plusIvEEyEEDaPvRmT3_T4_T5_mT6_P12ihipStream_tbENKUlT_T0_E_clISt17integral_constantIbLb1EESW_IbLb0EEEEDaSS_ST_EUlSS_E0_NS1_11comp_targetILNS1_3genE4ELNS1_11target_archE910ELNS1_3gpuE8ELNS1_3repE0EEENS1_30default_config_static_selectorELNS0_4arch9wavefront6targetE1EEEvT1_, .Lfunc_end5197-_ZN7rocprim17ROCPRIM_400000_NS6detail17trampoline_kernelINS0_14default_configENS1_20scan_config_selectorIyEEZZNS1_9scan_implILNS1_25lookback_scan_determinismE0ELb0ELb0ES3_N6thrust23THRUST_200600_302600_NS6detail15normal_iteratorINS9_10device_ptrIyEEEENS9_16discard_iteratorINS9_11use_defaultEEEyNS9_4plusIvEEyEEDaPvRmT3_T4_T5_mT6_P12ihipStream_tbENKUlT_T0_E_clISt17integral_constantIbLb1EESW_IbLb0EEEEDaSS_ST_EUlSS_E0_NS1_11comp_targetILNS1_3genE4ELNS1_11target_archE910ELNS1_3gpuE8ELNS1_3repE0EEENS1_30default_config_static_selectorELNS0_4arch9wavefront6targetE1EEEvT1_
                                        ; -- End function
	.section	.AMDGPU.csdata,"",@progbits
; Kernel info:
; codeLenInByte = 1136
; NumSgprs: 12
; NumVgprs: 41
; NumAgprs: 0
; TotalNumVgprs: 41
; ScratchSize: 0
; MemoryBound: 0
; FloatMode: 240
; IeeeMode: 1
; LDSByteSize: 7168 bytes/workgroup (compile time only)
; SGPRBlocks: 1
; VGPRBlocks: 5
; NumSGPRsForWavesPerEU: 12
; NumVGPRsForWavesPerEU: 41
; AccumOffset: 44
; Occupancy: 5
; WaveLimiterHint : 0
; COMPUTE_PGM_RSRC2:SCRATCH_EN: 0
; COMPUTE_PGM_RSRC2:USER_SGPR: 6
; COMPUTE_PGM_RSRC2:TRAP_HANDLER: 0
; COMPUTE_PGM_RSRC2:TGID_X_EN: 1
; COMPUTE_PGM_RSRC2:TGID_Y_EN: 0
; COMPUTE_PGM_RSRC2:TGID_Z_EN: 0
; COMPUTE_PGM_RSRC2:TIDIG_COMP_CNT: 0
; COMPUTE_PGM_RSRC3_GFX90A:ACCUM_OFFSET: 10
; COMPUTE_PGM_RSRC3_GFX90A:TG_SPLIT: 0
	.section	.text._ZN7rocprim17ROCPRIM_400000_NS6detail17trampoline_kernelINS0_14default_configENS1_20scan_config_selectorIyEEZZNS1_9scan_implILNS1_25lookback_scan_determinismE0ELb0ELb0ES3_N6thrust23THRUST_200600_302600_NS6detail15normal_iteratorINS9_10device_ptrIyEEEENS9_16discard_iteratorINS9_11use_defaultEEEyNS9_4plusIvEEyEEDaPvRmT3_T4_T5_mT6_P12ihipStream_tbENKUlT_T0_E_clISt17integral_constantIbLb1EESW_IbLb0EEEEDaSS_ST_EUlSS_E0_NS1_11comp_targetILNS1_3genE3ELNS1_11target_archE908ELNS1_3gpuE7ELNS1_3repE0EEENS1_30default_config_static_selectorELNS0_4arch9wavefront6targetE1EEEvT1_,"axG",@progbits,_ZN7rocprim17ROCPRIM_400000_NS6detail17trampoline_kernelINS0_14default_configENS1_20scan_config_selectorIyEEZZNS1_9scan_implILNS1_25lookback_scan_determinismE0ELb0ELb0ES3_N6thrust23THRUST_200600_302600_NS6detail15normal_iteratorINS9_10device_ptrIyEEEENS9_16discard_iteratorINS9_11use_defaultEEEyNS9_4plusIvEEyEEDaPvRmT3_T4_T5_mT6_P12ihipStream_tbENKUlT_T0_E_clISt17integral_constantIbLb1EESW_IbLb0EEEEDaSS_ST_EUlSS_E0_NS1_11comp_targetILNS1_3genE3ELNS1_11target_archE908ELNS1_3gpuE7ELNS1_3repE0EEENS1_30default_config_static_selectorELNS0_4arch9wavefront6targetE1EEEvT1_,comdat
	.protected	_ZN7rocprim17ROCPRIM_400000_NS6detail17trampoline_kernelINS0_14default_configENS1_20scan_config_selectorIyEEZZNS1_9scan_implILNS1_25lookback_scan_determinismE0ELb0ELb0ES3_N6thrust23THRUST_200600_302600_NS6detail15normal_iteratorINS9_10device_ptrIyEEEENS9_16discard_iteratorINS9_11use_defaultEEEyNS9_4plusIvEEyEEDaPvRmT3_T4_T5_mT6_P12ihipStream_tbENKUlT_T0_E_clISt17integral_constantIbLb1EESW_IbLb0EEEEDaSS_ST_EUlSS_E0_NS1_11comp_targetILNS1_3genE3ELNS1_11target_archE908ELNS1_3gpuE7ELNS1_3repE0EEENS1_30default_config_static_selectorELNS0_4arch9wavefront6targetE1EEEvT1_ ; -- Begin function _ZN7rocprim17ROCPRIM_400000_NS6detail17trampoline_kernelINS0_14default_configENS1_20scan_config_selectorIyEEZZNS1_9scan_implILNS1_25lookback_scan_determinismE0ELb0ELb0ES3_N6thrust23THRUST_200600_302600_NS6detail15normal_iteratorINS9_10device_ptrIyEEEENS9_16discard_iteratorINS9_11use_defaultEEEyNS9_4plusIvEEyEEDaPvRmT3_T4_T5_mT6_P12ihipStream_tbENKUlT_T0_E_clISt17integral_constantIbLb1EESW_IbLb0EEEEDaSS_ST_EUlSS_E0_NS1_11comp_targetILNS1_3genE3ELNS1_11target_archE908ELNS1_3gpuE7ELNS1_3repE0EEENS1_30default_config_static_selectorELNS0_4arch9wavefront6targetE1EEEvT1_
	.globl	_ZN7rocprim17ROCPRIM_400000_NS6detail17trampoline_kernelINS0_14default_configENS1_20scan_config_selectorIyEEZZNS1_9scan_implILNS1_25lookback_scan_determinismE0ELb0ELb0ES3_N6thrust23THRUST_200600_302600_NS6detail15normal_iteratorINS9_10device_ptrIyEEEENS9_16discard_iteratorINS9_11use_defaultEEEyNS9_4plusIvEEyEEDaPvRmT3_T4_T5_mT6_P12ihipStream_tbENKUlT_T0_E_clISt17integral_constantIbLb1EESW_IbLb0EEEEDaSS_ST_EUlSS_E0_NS1_11comp_targetILNS1_3genE3ELNS1_11target_archE908ELNS1_3gpuE7ELNS1_3repE0EEENS1_30default_config_static_selectorELNS0_4arch9wavefront6targetE1EEEvT1_
	.p2align	8
	.type	_ZN7rocprim17ROCPRIM_400000_NS6detail17trampoline_kernelINS0_14default_configENS1_20scan_config_selectorIyEEZZNS1_9scan_implILNS1_25lookback_scan_determinismE0ELb0ELb0ES3_N6thrust23THRUST_200600_302600_NS6detail15normal_iteratorINS9_10device_ptrIyEEEENS9_16discard_iteratorINS9_11use_defaultEEEyNS9_4plusIvEEyEEDaPvRmT3_T4_T5_mT6_P12ihipStream_tbENKUlT_T0_E_clISt17integral_constantIbLb1EESW_IbLb0EEEEDaSS_ST_EUlSS_E0_NS1_11comp_targetILNS1_3genE3ELNS1_11target_archE908ELNS1_3gpuE7ELNS1_3repE0EEENS1_30default_config_static_selectorELNS0_4arch9wavefront6targetE1EEEvT1_,@function
_ZN7rocprim17ROCPRIM_400000_NS6detail17trampoline_kernelINS0_14default_configENS1_20scan_config_selectorIyEEZZNS1_9scan_implILNS1_25lookback_scan_determinismE0ELb0ELb0ES3_N6thrust23THRUST_200600_302600_NS6detail15normal_iteratorINS9_10device_ptrIyEEEENS9_16discard_iteratorINS9_11use_defaultEEEyNS9_4plusIvEEyEEDaPvRmT3_T4_T5_mT6_P12ihipStream_tbENKUlT_T0_E_clISt17integral_constantIbLb1EESW_IbLb0EEEEDaSS_ST_EUlSS_E0_NS1_11comp_targetILNS1_3genE3ELNS1_11target_archE908ELNS1_3gpuE7ELNS1_3repE0EEENS1_30default_config_static_selectorELNS0_4arch9wavefront6targetE1EEEvT1_: ; @_ZN7rocprim17ROCPRIM_400000_NS6detail17trampoline_kernelINS0_14default_configENS1_20scan_config_selectorIyEEZZNS1_9scan_implILNS1_25lookback_scan_determinismE0ELb0ELb0ES3_N6thrust23THRUST_200600_302600_NS6detail15normal_iteratorINS9_10device_ptrIyEEEENS9_16discard_iteratorINS9_11use_defaultEEEyNS9_4plusIvEEyEEDaPvRmT3_T4_T5_mT6_P12ihipStream_tbENKUlT_T0_E_clISt17integral_constantIbLb1EESW_IbLb0EEEEDaSS_ST_EUlSS_E0_NS1_11comp_targetILNS1_3genE3ELNS1_11target_archE908ELNS1_3gpuE7ELNS1_3repE0EEENS1_30default_config_static_selectorELNS0_4arch9wavefront6targetE1EEEvT1_
; %bb.0:
	.section	.rodata,"a",@progbits
	.p2align	6, 0x0
	.amdhsa_kernel _ZN7rocprim17ROCPRIM_400000_NS6detail17trampoline_kernelINS0_14default_configENS1_20scan_config_selectorIyEEZZNS1_9scan_implILNS1_25lookback_scan_determinismE0ELb0ELb0ES3_N6thrust23THRUST_200600_302600_NS6detail15normal_iteratorINS9_10device_ptrIyEEEENS9_16discard_iteratorINS9_11use_defaultEEEyNS9_4plusIvEEyEEDaPvRmT3_T4_T5_mT6_P12ihipStream_tbENKUlT_T0_E_clISt17integral_constantIbLb1EESW_IbLb0EEEEDaSS_ST_EUlSS_E0_NS1_11comp_targetILNS1_3genE3ELNS1_11target_archE908ELNS1_3gpuE7ELNS1_3repE0EEENS1_30default_config_static_selectorELNS0_4arch9wavefront6targetE1EEEvT1_
		.amdhsa_group_segment_fixed_size 0
		.amdhsa_private_segment_fixed_size 0
		.amdhsa_kernarg_size 48
		.amdhsa_user_sgpr_count 6
		.amdhsa_user_sgpr_private_segment_buffer 1
		.amdhsa_user_sgpr_dispatch_ptr 0
		.amdhsa_user_sgpr_queue_ptr 0
		.amdhsa_user_sgpr_kernarg_segment_ptr 1
		.amdhsa_user_sgpr_dispatch_id 0
		.amdhsa_user_sgpr_flat_scratch_init 0
		.amdhsa_user_sgpr_kernarg_preload_length 0
		.amdhsa_user_sgpr_kernarg_preload_offset 0
		.amdhsa_user_sgpr_private_segment_size 0
		.amdhsa_uses_dynamic_stack 0
		.amdhsa_system_sgpr_private_segment_wavefront_offset 0
		.amdhsa_system_sgpr_workgroup_id_x 1
		.amdhsa_system_sgpr_workgroup_id_y 0
		.amdhsa_system_sgpr_workgroup_id_z 0
		.amdhsa_system_sgpr_workgroup_info 0
		.amdhsa_system_vgpr_workitem_id 0
		.amdhsa_next_free_vgpr 1
		.amdhsa_next_free_sgpr 0
		.amdhsa_accum_offset 4
		.amdhsa_reserve_vcc 0
		.amdhsa_reserve_flat_scratch 0
		.amdhsa_float_round_mode_32 0
		.amdhsa_float_round_mode_16_64 0
		.amdhsa_float_denorm_mode_32 3
		.amdhsa_float_denorm_mode_16_64 3
		.amdhsa_dx10_clamp 1
		.amdhsa_ieee_mode 1
		.amdhsa_fp16_overflow 0
		.amdhsa_tg_split 0
		.amdhsa_exception_fp_ieee_invalid_op 0
		.amdhsa_exception_fp_denorm_src 0
		.amdhsa_exception_fp_ieee_div_zero 0
		.amdhsa_exception_fp_ieee_overflow 0
		.amdhsa_exception_fp_ieee_underflow 0
		.amdhsa_exception_fp_ieee_inexact 0
		.amdhsa_exception_int_div_zero 0
	.end_amdhsa_kernel
	.section	.text._ZN7rocprim17ROCPRIM_400000_NS6detail17trampoline_kernelINS0_14default_configENS1_20scan_config_selectorIyEEZZNS1_9scan_implILNS1_25lookback_scan_determinismE0ELb0ELb0ES3_N6thrust23THRUST_200600_302600_NS6detail15normal_iteratorINS9_10device_ptrIyEEEENS9_16discard_iteratorINS9_11use_defaultEEEyNS9_4plusIvEEyEEDaPvRmT3_T4_T5_mT6_P12ihipStream_tbENKUlT_T0_E_clISt17integral_constantIbLb1EESW_IbLb0EEEEDaSS_ST_EUlSS_E0_NS1_11comp_targetILNS1_3genE3ELNS1_11target_archE908ELNS1_3gpuE7ELNS1_3repE0EEENS1_30default_config_static_selectorELNS0_4arch9wavefront6targetE1EEEvT1_,"axG",@progbits,_ZN7rocprim17ROCPRIM_400000_NS6detail17trampoline_kernelINS0_14default_configENS1_20scan_config_selectorIyEEZZNS1_9scan_implILNS1_25lookback_scan_determinismE0ELb0ELb0ES3_N6thrust23THRUST_200600_302600_NS6detail15normal_iteratorINS9_10device_ptrIyEEEENS9_16discard_iteratorINS9_11use_defaultEEEyNS9_4plusIvEEyEEDaPvRmT3_T4_T5_mT6_P12ihipStream_tbENKUlT_T0_E_clISt17integral_constantIbLb1EESW_IbLb0EEEEDaSS_ST_EUlSS_E0_NS1_11comp_targetILNS1_3genE3ELNS1_11target_archE908ELNS1_3gpuE7ELNS1_3repE0EEENS1_30default_config_static_selectorELNS0_4arch9wavefront6targetE1EEEvT1_,comdat
.Lfunc_end5198:
	.size	_ZN7rocprim17ROCPRIM_400000_NS6detail17trampoline_kernelINS0_14default_configENS1_20scan_config_selectorIyEEZZNS1_9scan_implILNS1_25lookback_scan_determinismE0ELb0ELb0ES3_N6thrust23THRUST_200600_302600_NS6detail15normal_iteratorINS9_10device_ptrIyEEEENS9_16discard_iteratorINS9_11use_defaultEEEyNS9_4plusIvEEyEEDaPvRmT3_T4_T5_mT6_P12ihipStream_tbENKUlT_T0_E_clISt17integral_constantIbLb1EESW_IbLb0EEEEDaSS_ST_EUlSS_E0_NS1_11comp_targetILNS1_3genE3ELNS1_11target_archE908ELNS1_3gpuE7ELNS1_3repE0EEENS1_30default_config_static_selectorELNS0_4arch9wavefront6targetE1EEEvT1_, .Lfunc_end5198-_ZN7rocprim17ROCPRIM_400000_NS6detail17trampoline_kernelINS0_14default_configENS1_20scan_config_selectorIyEEZZNS1_9scan_implILNS1_25lookback_scan_determinismE0ELb0ELb0ES3_N6thrust23THRUST_200600_302600_NS6detail15normal_iteratorINS9_10device_ptrIyEEEENS9_16discard_iteratorINS9_11use_defaultEEEyNS9_4plusIvEEyEEDaPvRmT3_T4_T5_mT6_P12ihipStream_tbENKUlT_T0_E_clISt17integral_constantIbLb1EESW_IbLb0EEEEDaSS_ST_EUlSS_E0_NS1_11comp_targetILNS1_3genE3ELNS1_11target_archE908ELNS1_3gpuE7ELNS1_3repE0EEENS1_30default_config_static_selectorELNS0_4arch9wavefront6targetE1EEEvT1_
                                        ; -- End function
	.section	.AMDGPU.csdata,"",@progbits
; Kernel info:
; codeLenInByte = 0
; NumSgprs: 4
; NumVgprs: 0
; NumAgprs: 0
; TotalNumVgprs: 0
; ScratchSize: 0
; MemoryBound: 0
; FloatMode: 240
; IeeeMode: 1
; LDSByteSize: 0 bytes/workgroup (compile time only)
; SGPRBlocks: 0
; VGPRBlocks: 0
; NumSGPRsForWavesPerEU: 4
; NumVGPRsForWavesPerEU: 1
; AccumOffset: 4
; Occupancy: 8
; WaveLimiterHint : 0
; COMPUTE_PGM_RSRC2:SCRATCH_EN: 0
; COMPUTE_PGM_RSRC2:USER_SGPR: 6
; COMPUTE_PGM_RSRC2:TRAP_HANDLER: 0
; COMPUTE_PGM_RSRC2:TGID_X_EN: 1
; COMPUTE_PGM_RSRC2:TGID_Y_EN: 0
; COMPUTE_PGM_RSRC2:TGID_Z_EN: 0
; COMPUTE_PGM_RSRC2:TIDIG_COMP_CNT: 0
; COMPUTE_PGM_RSRC3_GFX90A:ACCUM_OFFSET: 0
; COMPUTE_PGM_RSRC3_GFX90A:TG_SPLIT: 0
	.section	.text._ZN7rocprim17ROCPRIM_400000_NS6detail17trampoline_kernelINS0_14default_configENS1_20scan_config_selectorIyEEZZNS1_9scan_implILNS1_25lookback_scan_determinismE0ELb0ELb0ES3_N6thrust23THRUST_200600_302600_NS6detail15normal_iteratorINS9_10device_ptrIyEEEENS9_16discard_iteratorINS9_11use_defaultEEEyNS9_4plusIvEEyEEDaPvRmT3_T4_T5_mT6_P12ihipStream_tbENKUlT_T0_E_clISt17integral_constantIbLb1EESW_IbLb0EEEEDaSS_ST_EUlSS_E0_NS1_11comp_targetILNS1_3genE2ELNS1_11target_archE906ELNS1_3gpuE6ELNS1_3repE0EEENS1_30default_config_static_selectorELNS0_4arch9wavefront6targetE1EEEvT1_,"axG",@progbits,_ZN7rocprim17ROCPRIM_400000_NS6detail17trampoline_kernelINS0_14default_configENS1_20scan_config_selectorIyEEZZNS1_9scan_implILNS1_25lookback_scan_determinismE0ELb0ELb0ES3_N6thrust23THRUST_200600_302600_NS6detail15normal_iteratorINS9_10device_ptrIyEEEENS9_16discard_iteratorINS9_11use_defaultEEEyNS9_4plusIvEEyEEDaPvRmT3_T4_T5_mT6_P12ihipStream_tbENKUlT_T0_E_clISt17integral_constantIbLb1EESW_IbLb0EEEEDaSS_ST_EUlSS_E0_NS1_11comp_targetILNS1_3genE2ELNS1_11target_archE906ELNS1_3gpuE6ELNS1_3repE0EEENS1_30default_config_static_selectorELNS0_4arch9wavefront6targetE1EEEvT1_,comdat
	.protected	_ZN7rocprim17ROCPRIM_400000_NS6detail17trampoline_kernelINS0_14default_configENS1_20scan_config_selectorIyEEZZNS1_9scan_implILNS1_25lookback_scan_determinismE0ELb0ELb0ES3_N6thrust23THRUST_200600_302600_NS6detail15normal_iteratorINS9_10device_ptrIyEEEENS9_16discard_iteratorINS9_11use_defaultEEEyNS9_4plusIvEEyEEDaPvRmT3_T4_T5_mT6_P12ihipStream_tbENKUlT_T0_E_clISt17integral_constantIbLb1EESW_IbLb0EEEEDaSS_ST_EUlSS_E0_NS1_11comp_targetILNS1_3genE2ELNS1_11target_archE906ELNS1_3gpuE6ELNS1_3repE0EEENS1_30default_config_static_selectorELNS0_4arch9wavefront6targetE1EEEvT1_ ; -- Begin function _ZN7rocprim17ROCPRIM_400000_NS6detail17trampoline_kernelINS0_14default_configENS1_20scan_config_selectorIyEEZZNS1_9scan_implILNS1_25lookback_scan_determinismE0ELb0ELb0ES3_N6thrust23THRUST_200600_302600_NS6detail15normal_iteratorINS9_10device_ptrIyEEEENS9_16discard_iteratorINS9_11use_defaultEEEyNS9_4plusIvEEyEEDaPvRmT3_T4_T5_mT6_P12ihipStream_tbENKUlT_T0_E_clISt17integral_constantIbLb1EESW_IbLb0EEEEDaSS_ST_EUlSS_E0_NS1_11comp_targetILNS1_3genE2ELNS1_11target_archE906ELNS1_3gpuE6ELNS1_3repE0EEENS1_30default_config_static_selectorELNS0_4arch9wavefront6targetE1EEEvT1_
	.globl	_ZN7rocprim17ROCPRIM_400000_NS6detail17trampoline_kernelINS0_14default_configENS1_20scan_config_selectorIyEEZZNS1_9scan_implILNS1_25lookback_scan_determinismE0ELb0ELb0ES3_N6thrust23THRUST_200600_302600_NS6detail15normal_iteratorINS9_10device_ptrIyEEEENS9_16discard_iteratorINS9_11use_defaultEEEyNS9_4plusIvEEyEEDaPvRmT3_T4_T5_mT6_P12ihipStream_tbENKUlT_T0_E_clISt17integral_constantIbLb1EESW_IbLb0EEEEDaSS_ST_EUlSS_E0_NS1_11comp_targetILNS1_3genE2ELNS1_11target_archE906ELNS1_3gpuE6ELNS1_3repE0EEENS1_30default_config_static_selectorELNS0_4arch9wavefront6targetE1EEEvT1_
	.p2align	8
	.type	_ZN7rocprim17ROCPRIM_400000_NS6detail17trampoline_kernelINS0_14default_configENS1_20scan_config_selectorIyEEZZNS1_9scan_implILNS1_25lookback_scan_determinismE0ELb0ELb0ES3_N6thrust23THRUST_200600_302600_NS6detail15normal_iteratorINS9_10device_ptrIyEEEENS9_16discard_iteratorINS9_11use_defaultEEEyNS9_4plusIvEEyEEDaPvRmT3_T4_T5_mT6_P12ihipStream_tbENKUlT_T0_E_clISt17integral_constantIbLb1EESW_IbLb0EEEEDaSS_ST_EUlSS_E0_NS1_11comp_targetILNS1_3genE2ELNS1_11target_archE906ELNS1_3gpuE6ELNS1_3repE0EEENS1_30default_config_static_selectorELNS0_4arch9wavefront6targetE1EEEvT1_,@function
_ZN7rocprim17ROCPRIM_400000_NS6detail17trampoline_kernelINS0_14default_configENS1_20scan_config_selectorIyEEZZNS1_9scan_implILNS1_25lookback_scan_determinismE0ELb0ELb0ES3_N6thrust23THRUST_200600_302600_NS6detail15normal_iteratorINS9_10device_ptrIyEEEENS9_16discard_iteratorINS9_11use_defaultEEEyNS9_4plusIvEEyEEDaPvRmT3_T4_T5_mT6_P12ihipStream_tbENKUlT_T0_E_clISt17integral_constantIbLb1EESW_IbLb0EEEEDaSS_ST_EUlSS_E0_NS1_11comp_targetILNS1_3genE2ELNS1_11target_archE906ELNS1_3gpuE6ELNS1_3repE0EEENS1_30default_config_static_selectorELNS0_4arch9wavefront6targetE1EEEvT1_: ; @_ZN7rocprim17ROCPRIM_400000_NS6detail17trampoline_kernelINS0_14default_configENS1_20scan_config_selectorIyEEZZNS1_9scan_implILNS1_25lookback_scan_determinismE0ELb0ELb0ES3_N6thrust23THRUST_200600_302600_NS6detail15normal_iteratorINS9_10device_ptrIyEEEENS9_16discard_iteratorINS9_11use_defaultEEEyNS9_4plusIvEEyEEDaPvRmT3_T4_T5_mT6_P12ihipStream_tbENKUlT_T0_E_clISt17integral_constantIbLb1EESW_IbLb0EEEEDaSS_ST_EUlSS_E0_NS1_11comp_targetILNS1_3genE2ELNS1_11target_archE906ELNS1_3gpuE6ELNS1_3repE0EEENS1_30default_config_static_selectorELNS0_4arch9wavefront6targetE1EEEvT1_
; %bb.0:
	.section	.rodata,"a",@progbits
	.p2align	6, 0x0
	.amdhsa_kernel _ZN7rocprim17ROCPRIM_400000_NS6detail17trampoline_kernelINS0_14default_configENS1_20scan_config_selectorIyEEZZNS1_9scan_implILNS1_25lookback_scan_determinismE0ELb0ELb0ES3_N6thrust23THRUST_200600_302600_NS6detail15normal_iteratorINS9_10device_ptrIyEEEENS9_16discard_iteratorINS9_11use_defaultEEEyNS9_4plusIvEEyEEDaPvRmT3_T4_T5_mT6_P12ihipStream_tbENKUlT_T0_E_clISt17integral_constantIbLb1EESW_IbLb0EEEEDaSS_ST_EUlSS_E0_NS1_11comp_targetILNS1_3genE2ELNS1_11target_archE906ELNS1_3gpuE6ELNS1_3repE0EEENS1_30default_config_static_selectorELNS0_4arch9wavefront6targetE1EEEvT1_
		.amdhsa_group_segment_fixed_size 0
		.amdhsa_private_segment_fixed_size 0
		.amdhsa_kernarg_size 48
		.amdhsa_user_sgpr_count 6
		.amdhsa_user_sgpr_private_segment_buffer 1
		.amdhsa_user_sgpr_dispatch_ptr 0
		.amdhsa_user_sgpr_queue_ptr 0
		.amdhsa_user_sgpr_kernarg_segment_ptr 1
		.amdhsa_user_sgpr_dispatch_id 0
		.amdhsa_user_sgpr_flat_scratch_init 0
		.amdhsa_user_sgpr_kernarg_preload_length 0
		.amdhsa_user_sgpr_kernarg_preload_offset 0
		.amdhsa_user_sgpr_private_segment_size 0
		.amdhsa_uses_dynamic_stack 0
		.amdhsa_system_sgpr_private_segment_wavefront_offset 0
		.amdhsa_system_sgpr_workgroup_id_x 1
		.amdhsa_system_sgpr_workgroup_id_y 0
		.amdhsa_system_sgpr_workgroup_id_z 0
		.amdhsa_system_sgpr_workgroup_info 0
		.amdhsa_system_vgpr_workitem_id 0
		.amdhsa_next_free_vgpr 1
		.amdhsa_next_free_sgpr 0
		.amdhsa_accum_offset 4
		.amdhsa_reserve_vcc 0
		.amdhsa_reserve_flat_scratch 0
		.amdhsa_float_round_mode_32 0
		.amdhsa_float_round_mode_16_64 0
		.amdhsa_float_denorm_mode_32 3
		.amdhsa_float_denorm_mode_16_64 3
		.amdhsa_dx10_clamp 1
		.amdhsa_ieee_mode 1
		.amdhsa_fp16_overflow 0
		.amdhsa_tg_split 0
		.amdhsa_exception_fp_ieee_invalid_op 0
		.amdhsa_exception_fp_denorm_src 0
		.amdhsa_exception_fp_ieee_div_zero 0
		.amdhsa_exception_fp_ieee_overflow 0
		.amdhsa_exception_fp_ieee_underflow 0
		.amdhsa_exception_fp_ieee_inexact 0
		.amdhsa_exception_int_div_zero 0
	.end_amdhsa_kernel
	.section	.text._ZN7rocprim17ROCPRIM_400000_NS6detail17trampoline_kernelINS0_14default_configENS1_20scan_config_selectorIyEEZZNS1_9scan_implILNS1_25lookback_scan_determinismE0ELb0ELb0ES3_N6thrust23THRUST_200600_302600_NS6detail15normal_iteratorINS9_10device_ptrIyEEEENS9_16discard_iteratorINS9_11use_defaultEEEyNS9_4plusIvEEyEEDaPvRmT3_T4_T5_mT6_P12ihipStream_tbENKUlT_T0_E_clISt17integral_constantIbLb1EESW_IbLb0EEEEDaSS_ST_EUlSS_E0_NS1_11comp_targetILNS1_3genE2ELNS1_11target_archE906ELNS1_3gpuE6ELNS1_3repE0EEENS1_30default_config_static_selectorELNS0_4arch9wavefront6targetE1EEEvT1_,"axG",@progbits,_ZN7rocprim17ROCPRIM_400000_NS6detail17trampoline_kernelINS0_14default_configENS1_20scan_config_selectorIyEEZZNS1_9scan_implILNS1_25lookback_scan_determinismE0ELb0ELb0ES3_N6thrust23THRUST_200600_302600_NS6detail15normal_iteratorINS9_10device_ptrIyEEEENS9_16discard_iteratorINS9_11use_defaultEEEyNS9_4plusIvEEyEEDaPvRmT3_T4_T5_mT6_P12ihipStream_tbENKUlT_T0_E_clISt17integral_constantIbLb1EESW_IbLb0EEEEDaSS_ST_EUlSS_E0_NS1_11comp_targetILNS1_3genE2ELNS1_11target_archE906ELNS1_3gpuE6ELNS1_3repE0EEENS1_30default_config_static_selectorELNS0_4arch9wavefront6targetE1EEEvT1_,comdat
.Lfunc_end5199:
	.size	_ZN7rocprim17ROCPRIM_400000_NS6detail17trampoline_kernelINS0_14default_configENS1_20scan_config_selectorIyEEZZNS1_9scan_implILNS1_25lookback_scan_determinismE0ELb0ELb0ES3_N6thrust23THRUST_200600_302600_NS6detail15normal_iteratorINS9_10device_ptrIyEEEENS9_16discard_iteratorINS9_11use_defaultEEEyNS9_4plusIvEEyEEDaPvRmT3_T4_T5_mT6_P12ihipStream_tbENKUlT_T0_E_clISt17integral_constantIbLb1EESW_IbLb0EEEEDaSS_ST_EUlSS_E0_NS1_11comp_targetILNS1_3genE2ELNS1_11target_archE906ELNS1_3gpuE6ELNS1_3repE0EEENS1_30default_config_static_selectorELNS0_4arch9wavefront6targetE1EEEvT1_, .Lfunc_end5199-_ZN7rocprim17ROCPRIM_400000_NS6detail17trampoline_kernelINS0_14default_configENS1_20scan_config_selectorIyEEZZNS1_9scan_implILNS1_25lookback_scan_determinismE0ELb0ELb0ES3_N6thrust23THRUST_200600_302600_NS6detail15normal_iteratorINS9_10device_ptrIyEEEENS9_16discard_iteratorINS9_11use_defaultEEEyNS9_4plusIvEEyEEDaPvRmT3_T4_T5_mT6_P12ihipStream_tbENKUlT_T0_E_clISt17integral_constantIbLb1EESW_IbLb0EEEEDaSS_ST_EUlSS_E0_NS1_11comp_targetILNS1_3genE2ELNS1_11target_archE906ELNS1_3gpuE6ELNS1_3repE0EEENS1_30default_config_static_selectorELNS0_4arch9wavefront6targetE1EEEvT1_
                                        ; -- End function
	.section	.AMDGPU.csdata,"",@progbits
; Kernel info:
; codeLenInByte = 0
; NumSgprs: 4
; NumVgprs: 0
; NumAgprs: 0
; TotalNumVgprs: 0
; ScratchSize: 0
; MemoryBound: 0
; FloatMode: 240
; IeeeMode: 1
; LDSByteSize: 0 bytes/workgroup (compile time only)
; SGPRBlocks: 0
; VGPRBlocks: 0
; NumSGPRsForWavesPerEU: 4
; NumVGPRsForWavesPerEU: 1
; AccumOffset: 4
; Occupancy: 8
; WaveLimiterHint : 0
; COMPUTE_PGM_RSRC2:SCRATCH_EN: 0
; COMPUTE_PGM_RSRC2:USER_SGPR: 6
; COMPUTE_PGM_RSRC2:TRAP_HANDLER: 0
; COMPUTE_PGM_RSRC2:TGID_X_EN: 1
; COMPUTE_PGM_RSRC2:TGID_Y_EN: 0
; COMPUTE_PGM_RSRC2:TGID_Z_EN: 0
; COMPUTE_PGM_RSRC2:TIDIG_COMP_CNT: 0
; COMPUTE_PGM_RSRC3_GFX90A:ACCUM_OFFSET: 0
; COMPUTE_PGM_RSRC3_GFX90A:TG_SPLIT: 0
	.section	.text._ZN7rocprim17ROCPRIM_400000_NS6detail17trampoline_kernelINS0_14default_configENS1_20scan_config_selectorIyEEZZNS1_9scan_implILNS1_25lookback_scan_determinismE0ELb0ELb0ES3_N6thrust23THRUST_200600_302600_NS6detail15normal_iteratorINS9_10device_ptrIyEEEENS9_16discard_iteratorINS9_11use_defaultEEEyNS9_4plusIvEEyEEDaPvRmT3_T4_T5_mT6_P12ihipStream_tbENKUlT_T0_E_clISt17integral_constantIbLb1EESW_IbLb0EEEEDaSS_ST_EUlSS_E0_NS1_11comp_targetILNS1_3genE10ELNS1_11target_archE1201ELNS1_3gpuE5ELNS1_3repE0EEENS1_30default_config_static_selectorELNS0_4arch9wavefront6targetE1EEEvT1_,"axG",@progbits,_ZN7rocprim17ROCPRIM_400000_NS6detail17trampoline_kernelINS0_14default_configENS1_20scan_config_selectorIyEEZZNS1_9scan_implILNS1_25lookback_scan_determinismE0ELb0ELb0ES3_N6thrust23THRUST_200600_302600_NS6detail15normal_iteratorINS9_10device_ptrIyEEEENS9_16discard_iteratorINS9_11use_defaultEEEyNS9_4plusIvEEyEEDaPvRmT3_T4_T5_mT6_P12ihipStream_tbENKUlT_T0_E_clISt17integral_constantIbLb1EESW_IbLb0EEEEDaSS_ST_EUlSS_E0_NS1_11comp_targetILNS1_3genE10ELNS1_11target_archE1201ELNS1_3gpuE5ELNS1_3repE0EEENS1_30default_config_static_selectorELNS0_4arch9wavefront6targetE1EEEvT1_,comdat
	.protected	_ZN7rocprim17ROCPRIM_400000_NS6detail17trampoline_kernelINS0_14default_configENS1_20scan_config_selectorIyEEZZNS1_9scan_implILNS1_25lookback_scan_determinismE0ELb0ELb0ES3_N6thrust23THRUST_200600_302600_NS6detail15normal_iteratorINS9_10device_ptrIyEEEENS9_16discard_iteratorINS9_11use_defaultEEEyNS9_4plusIvEEyEEDaPvRmT3_T4_T5_mT6_P12ihipStream_tbENKUlT_T0_E_clISt17integral_constantIbLb1EESW_IbLb0EEEEDaSS_ST_EUlSS_E0_NS1_11comp_targetILNS1_3genE10ELNS1_11target_archE1201ELNS1_3gpuE5ELNS1_3repE0EEENS1_30default_config_static_selectorELNS0_4arch9wavefront6targetE1EEEvT1_ ; -- Begin function _ZN7rocprim17ROCPRIM_400000_NS6detail17trampoline_kernelINS0_14default_configENS1_20scan_config_selectorIyEEZZNS1_9scan_implILNS1_25lookback_scan_determinismE0ELb0ELb0ES3_N6thrust23THRUST_200600_302600_NS6detail15normal_iteratorINS9_10device_ptrIyEEEENS9_16discard_iteratorINS9_11use_defaultEEEyNS9_4plusIvEEyEEDaPvRmT3_T4_T5_mT6_P12ihipStream_tbENKUlT_T0_E_clISt17integral_constantIbLb1EESW_IbLb0EEEEDaSS_ST_EUlSS_E0_NS1_11comp_targetILNS1_3genE10ELNS1_11target_archE1201ELNS1_3gpuE5ELNS1_3repE0EEENS1_30default_config_static_selectorELNS0_4arch9wavefront6targetE1EEEvT1_
	.globl	_ZN7rocprim17ROCPRIM_400000_NS6detail17trampoline_kernelINS0_14default_configENS1_20scan_config_selectorIyEEZZNS1_9scan_implILNS1_25lookback_scan_determinismE0ELb0ELb0ES3_N6thrust23THRUST_200600_302600_NS6detail15normal_iteratorINS9_10device_ptrIyEEEENS9_16discard_iteratorINS9_11use_defaultEEEyNS9_4plusIvEEyEEDaPvRmT3_T4_T5_mT6_P12ihipStream_tbENKUlT_T0_E_clISt17integral_constantIbLb1EESW_IbLb0EEEEDaSS_ST_EUlSS_E0_NS1_11comp_targetILNS1_3genE10ELNS1_11target_archE1201ELNS1_3gpuE5ELNS1_3repE0EEENS1_30default_config_static_selectorELNS0_4arch9wavefront6targetE1EEEvT1_
	.p2align	8
	.type	_ZN7rocprim17ROCPRIM_400000_NS6detail17trampoline_kernelINS0_14default_configENS1_20scan_config_selectorIyEEZZNS1_9scan_implILNS1_25lookback_scan_determinismE0ELb0ELb0ES3_N6thrust23THRUST_200600_302600_NS6detail15normal_iteratorINS9_10device_ptrIyEEEENS9_16discard_iteratorINS9_11use_defaultEEEyNS9_4plusIvEEyEEDaPvRmT3_T4_T5_mT6_P12ihipStream_tbENKUlT_T0_E_clISt17integral_constantIbLb1EESW_IbLb0EEEEDaSS_ST_EUlSS_E0_NS1_11comp_targetILNS1_3genE10ELNS1_11target_archE1201ELNS1_3gpuE5ELNS1_3repE0EEENS1_30default_config_static_selectorELNS0_4arch9wavefront6targetE1EEEvT1_,@function
_ZN7rocprim17ROCPRIM_400000_NS6detail17trampoline_kernelINS0_14default_configENS1_20scan_config_selectorIyEEZZNS1_9scan_implILNS1_25lookback_scan_determinismE0ELb0ELb0ES3_N6thrust23THRUST_200600_302600_NS6detail15normal_iteratorINS9_10device_ptrIyEEEENS9_16discard_iteratorINS9_11use_defaultEEEyNS9_4plusIvEEyEEDaPvRmT3_T4_T5_mT6_P12ihipStream_tbENKUlT_T0_E_clISt17integral_constantIbLb1EESW_IbLb0EEEEDaSS_ST_EUlSS_E0_NS1_11comp_targetILNS1_3genE10ELNS1_11target_archE1201ELNS1_3gpuE5ELNS1_3repE0EEENS1_30default_config_static_selectorELNS0_4arch9wavefront6targetE1EEEvT1_: ; @_ZN7rocprim17ROCPRIM_400000_NS6detail17trampoline_kernelINS0_14default_configENS1_20scan_config_selectorIyEEZZNS1_9scan_implILNS1_25lookback_scan_determinismE0ELb0ELb0ES3_N6thrust23THRUST_200600_302600_NS6detail15normal_iteratorINS9_10device_ptrIyEEEENS9_16discard_iteratorINS9_11use_defaultEEEyNS9_4plusIvEEyEEDaPvRmT3_T4_T5_mT6_P12ihipStream_tbENKUlT_T0_E_clISt17integral_constantIbLb1EESW_IbLb0EEEEDaSS_ST_EUlSS_E0_NS1_11comp_targetILNS1_3genE10ELNS1_11target_archE1201ELNS1_3gpuE5ELNS1_3repE0EEENS1_30default_config_static_selectorELNS0_4arch9wavefront6targetE1EEEvT1_
; %bb.0:
	.section	.rodata,"a",@progbits
	.p2align	6, 0x0
	.amdhsa_kernel _ZN7rocprim17ROCPRIM_400000_NS6detail17trampoline_kernelINS0_14default_configENS1_20scan_config_selectorIyEEZZNS1_9scan_implILNS1_25lookback_scan_determinismE0ELb0ELb0ES3_N6thrust23THRUST_200600_302600_NS6detail15normal_iteratorINS9_10device_ptrIyEEEENS9_16discard_iteratorINS9_11use_defaultEEEyNS9_4plusIvEEyEEDaPvRmT3_T4_T5_mT6_P12ihipStream_tbENKUlT_T0_E_clISt17integral_constantIbLb1EESW_IbLb0EEEEDaSS_ST_EUlSS_E0_NS1_11comp_targetILNS1_3genE10ELNS1_11target_archE1201ELNS1_3gpuE5ELNS1_3repE0EEENS1_30default_config_static_selectorELNS0_4arch9wavefront6targetE1EEEvT1_
		.amdhsa_group_segment_fixed_size 0
		.amdhsa_private_segment_fixed_size 0
		.amdhsa_kernarg_size 48
		.amdhsa_user_sgpr_count 6
		.amdhsa_user_sgpr_private_segment_buffer 1
		.amdhsa_user_sgpr_dispatch_ptr 0
		.amdhsa_user_sgpr_queue_ptr 0
		.amdhsa_user_sgpr_kernarg_segment_ptr 1
		.amdhsa_user_sgpr_dispatch_id 0
		.amdhsa_user_sgpr_flat_scratch_init 0
		.amdhsa_user_sgpr_kernarg_preload_length 0
		.amdhsa_user_sgpr_kernarg_preload_offset 0
		.amdhsa_user_sgpr_private_segment_size 0
		.amdhsa_uses_dynamic_stack 0
		.amdhsa_system_sgpr_private_segment_wavefront_offset 0
		.amdhsa_system_sgpr_workgroup_id_x 1
		.amdhsa_system_sgpr_workgroup_id_y 0
		.amdhsa_system_sgpr_workgroup_id_z 0
		.amdhsa_system_sgpr_workgroup_info 0
		.amdhsa_system_vgpr_workitem_id 0
		.amdhsa_next_free_vgpr 1
		.amdhsa_next_free_sgpr 0
		.amdhsa_accum_offset 4
		.amdhsa_reserve_vcc 0
		.amdhsa_reserve_flat_scratch 0
		.amdhsa_float_round_mode_32 0
		.amdhsa_float_round_mode_16_64 0
		.amdhsa_float_denorm_mode_32 3
		.amdhsa_float_denorm_mode_16_64 3
		.amdhsa_dx10_clamp 1
		.amdhsa_ieee_mode 1
		.amdhsa_fp16_overflow 0
		.amdhsa_tg_split 0
		.amdhsa_exception_fp_ieee_invalid_op 0
		.amdhsa_exception_fp_denorm_src 0
		.amdhsa_exception_fp_ieee_div_zero 0
		.amdhsa_exception_fp_ieee_overflow 0
		.amdhsa_exception_fp_ieee_underflow 0
		.amdhsa_exception_fp_ieee_inexact 0
		.amdhsa_exception_int_div_zero 0
	.end_amdhsa_kernel
	.section	.text._ZN7rocprim17ROCPRIM_400000_NS6detail17trampoline_kernelINS0_14default_configENS1_20scan_config_selectorIyEEZZNS1_9scan_implILNS1_25lookback_scan_determinismE0ELb0ELb0ES3_N6thrust23THRUST_200600_302600_NS6detail15normal_iteratorINS9_10device_ptrIyEEEENS9_16discard_iteratorINS9_11use_defaultEEEyNS9_4plusIvEEyEEDaPvRmT3_T4_T5_mT6_P12ihipStream_tbENKUlT_T0_E_clISt17integral_constantIbLb1EESW_IbLb0EEEEDaSS_ST_EUlSS_E0_NS1_11comp_targetILNS1_3genE10ELNS1_11target_archE1201ELNS1_3gpuE5ELNS1_3repE0EEENS1_30default_config_static_selectorELNS0_4arch9wavefront6targetE1EEEvT1_,"axG",@progbits,_ZN7rocprim17ROCPRIM_400000_NS6detail17trampoline_kernelINS0_14default_configENS1_20scan_config_selectorIyEEZZNS1_9scan_implILNS1_25lookback_scan_determinismE0ELb0ELb0ES3_N6thrust23THRUST_200600_302600_NS6detail15normal_iteratorINS9_10device_ptrIyEEEENS9_16discard_iteratorINS9_11use_defaultEEEyNS9_4plusIvEEyEEDaPvRmT3_T4_T5_mT6_P12ihipStream_tbENKUlT_T0_E_clISt17integral_constantIbLb1EESW_IbLb0EEEEDaSS_ST_EUlSS_E0_NS1_11comp_targetILNS1_3genE10ELNS1_11target_archE1201ELNS1_3gpuE5ELNS1_3repE0EEENS1_30default_config_static_selectorELNS0_4arch9wavefront6targetE1EEEvT1_,comdat
.Lfunc_end5200:
	.size	_ZN7rocprim17ROCPRIM_400000_NS6detail17trampoline_kernelINS0_14default_configENS1_20scan_config_selectorIyEEZZNS1_9scan_implILNS1_25lookback_scan_determinismE0ELb0ELb0ES3_N6thrust23THRUST_200600_302600_NS6detail15normal_iteratorINS9_10device_ptrIyEEEENS9_16discard_iteratorINS9_11use_defaultEEEyNS9_4plusIvEEyEEDaPvRmT3_T4_T5_mT6_P12ihipStream_tbENKUlT_T0_E_clISt17integral_constantIbLb1EESW_IbLb0EEEEDaSS_ST_EUlSS_E0_NS1_11comp_targetILNS1_3genE10ELNS1_11target_archE1201ELNS1_3gpuE5ELNS1_3repE0EEENS1_30default_config_static_selectorELNS0_4arch9wavefront6targetE1EEEvT1_, .Lfunc_end5200-_ZN7rocprim17ROCPRIM_400000_NS6detail17trampoline_kernelINS0_14default_configENS1_20scan_config_selectorIyEEZZNS1_9scan_implILNS1_25lookback_scan_determinismE0ELb0ELb0ES3_N6thrust23THRUST_200600_302600_NS6detail15normal_iteratorINS9_10device_ptrIyEEEENS9_16discard_iteratorINS9_11use_defaultEEEyNS9_4plusIvEEyEEDaPvRmT3_T4_T5_mT6_P12ihipStream_tbENKUlT_T0_E_clISt17integral_constantIbLb1EESW_IbLb0EEEEDaSS_ST_EUlSS_E0_NS1_11comp_targetILNS1_3genE10ELNS1_11target_archE1201ELNS1_3gpuE5ELNS1_3repE0EEENS1_30default_config_static_selectorELNS0_4arch9wavefront6targetE1EEEvT1_
                                        ; -- End function
	.section	.AMDGPU.csdata,"",@progbits
; Kernel info:
; codeLenInByte = 0
; NumSgprs: 4
; NumVgprs: 0
; NumAgprs: 0
; TotalNumVgprs: 0
; ScratchSize: 0
; MemoryBound: 0
; FloatMode: 240
; IeeeMode: 1
; LDSByteSize: 0 bytes/workgroup (compile time only)
; SGPRBlocks: 0
; VGPRBlocks: 0
; NumSGPRsForWavesPerEU: 4
; NumVGPRsForWavesPerEU: 1
; AccumOffset: 4
; Occupancy: 8
; WaveLimiterHint : 0
; COMPUTE_PGM_RSRC2:SCRATCH_EN: 0
; COMPUTE_PGM_RSRC2:USER_SGPR: 6
; COMPUTE_PGM_RSRC2:TRAP_HANDLER: 0
; COMPUTE_PGM_RSRC2:TGID_X_EN: 1
; COMPUTE_PGM_RSRC2:TGID_Y_EN: 0
; COMPUTE_PGM_RSRC2:TGID_Z_EN: 0
; COMPUTE_PGM_RSRC2:TIDIG_COMP_CNT: 0
; COMPUTE_PGM_RSRC3_GFX90A:ACCUM_OFFSET: 0
; COMPUTE_PGM_RSRC3_GFX90A:TG_SPLIT: 0
	.section	.text._ZN7rocprim17ROCPRIM_400000_NS6detail17trampoline_kernelINS0_14default_configENS1_20scan_config_selectorIyEEZZNS1_9scan_implILNS1_25lookback_scan_determinismE0ELb0ELb0ES3_N6thrust23THRUST_200600_302600_NS6detail15normal_iteratorINS9_10device_ptrIyEEEENS9_16discard_iteratorINS9_11use_defaultEEEyNS9_4plusIvEEyEEDaPvRmT3_T4_T5_mT6_P12ihipStream_tbENKUlT_T0_E_clISt17integral_constantIbLb1EESW_IbLb0EEEEDaSS_ST_EUlSS_E0_NS1_11comp_targetILNS1_3genE10ELNS1_11target_archE1200ELNS1_3gpuE4ELNS1_3repE0EEENS1_30default_config_static_selectorELNS0_4arch9wavefront6targetE1EEEvT1_,"axG",@progbits,_ZN7rocprim17ROCPRIM_400000_NS6detail17trampoline_kernelINS0_14default_configENS1_20scan_config_selectorIyEEZZNS1_9scan_implILNS1_25lookback_scan_determinismE0ELb0ELb0ES3_N6thrust23THRUST_200600_302600_NS6detail15normal_iteratorINS9_10device_ptrIyEEEENS9_16discard_iteratorINS9_11use_defaultEEEyNS9_4plusIvEEyEEDaPvRmT3_T4_T5_mT6_P12ihipStream_tbENKUlT_T0_E_clISt17integral_constantIbLb1EESW_IbLb0EEEEDaSS_ST_EUlSS_E0_NS1_11comp_targetILNS1_3genE10ELNS1_11target_archE1200ELNS1_3gpuE4ELNS1_3repE0EEENS1_30default_config_static_selectorELNS0_4arch9wavefront6targetE1EEEvT1_,comdat
	.protected	_ZN7rocprim17ROCPRIM_400000_NS6detail17trampoline_kernelINS0_14default_configENS1_20scan_config_selectorIyEEZZNS1_9scan_implILNS1_25lookback_scan_determinismE0ELb0ELb0ES3_N6thrust23THRUST_200600_302600_NS6detail15normal_iteratorINS9_10device_ptrIyEEEENS9_16discard_iteratorINS9_11use_defaultEEEyNS9_4plusIvEEyEEDaPvRmT3_T4_T5_mT6_P12ihipStream_tbENKUlT_T0_E_clISt17integral_constantIbLb1EESW_IbLb0EEEEDaSS_ST_EUlSS_E0_NS1_11comp_targetILNS1_3genE10ELNS1_11target_archE1200ELNS1_3gpuE4ELNS1_3repE0EEENS1_30default_config_static_selectorELNS0_4arch9wavefront6targetE1EEEvT1_ ; -- Begin function _ZN7rocprim17ROCPRIM_400000_NS6detail17trampoline_kernelINS0_14default_configENS1_20scan_config_selectorIyEEZZNS1_9scan_implILNS1_25lookback_scan_determinismE0ELb0ELb0ES3_N6thrust23THRUST_200600_302600_NS6detail15normal_iteratorINS9_10device_ptrIyEEEENS9_16discard_iteratorINS9_11use_defaultEEEyNS9_4plusIvEEyEEDaPvRmT3_T4_T5_mT6_P12ihipStream_tbENKUlT_T0_E_clISt17integral_constantIbLb1EESW_IbLb0EEEEDaSS_ST_EUlSS_E0_NS1_11comp_targetILNS1_3genE10ELNS1_11target_archE1200ELNS1_3gpuE4ELNS1_3repE0EEENS1_30default_config_static_selectorELNS0_4arch9wavefront6targetE1EEEvT1_
	.globl	_ZN7rocprim17ROCPRIM_400000_NS6detail17trampoline_kernelINS0_14default_configENS1_20scan_config_selectorIyEEZZNS1_9scan_implILNS1_25lookback_scan_determinismE0ELb0ELb0ES3_N6thrust23THRUST_200600_302600_NS6detail15normal_iteratorINS9_10device_ptrIyEEEENS9_16discard_iteratorINS9_11use_defaultEEEyNS9_4plusIvEEyEEDaPvRmT3_T4_T5_mT6_P12ihipStream_tbENKUlT_T0_E_clISt17integral_constantIbLb1EESW_IbLb0EEEEDaSS_ST_EUlSS_E0_NS1_11comp_targetILNS1_3genE10ELNS1_11target_archE1200ELNS1_3gpuE4ELNS1_3repE0EEENS1_30default_config_static_selectorELNS0_4arch9wavefront6targetE1EEEvT1_
	.p2align	8
	.type	_ZN7rocprim17ROCPRIM_400000_NS6detail17trampoline_kernelINS0_14default_configENS1_20scan_config_selectorIyEEZZNS1_9scan_implILNS1_25lookback_scan_determinismE0ELb0ELb0ES3_N6thrust23THRUST_200600_302600_NS6detail15normal_iteratorINS9_10device_ptrIyEEEENS9_16discard_iteratorINS9_11use_defaultEEEyNS9_4plusIvEEyEEDaPvRmT3_T4_T5_mT6_P12ihipStream_tbENKUlT_T0_E_clISt17integral_constantIbLb1EESW_IbLb0EEEEDaSS_ST_EUlSS_E0_NS1_11comp_targetILNS1_3genE10ELNS1_11target_archE1200ELNS1_3gpuE4ELNS1_3repE0EEENS1_30default_config_static_selectorELNS0_4arch9wavefront6targetE1EEEvT1_,@function
_ZN7rocprim17ROCPRIM_400000_NS6detail17trampoline_kernelINS0_14default_configENS1_20scan_config_selectorIyEEZZNS1_9scan_implILNS1_25lookback_scan_determinismE0ELb0ELb0ES3_N6thrust23THRUST_200600_302600_NS6detail15normal_iteratorINS9_10device_ptrIyEEEENS9_16discard_iteratorINS9_11use_defaultEEEyNS9_4plusIvEEyEEDaPvRmT3_T4_T5_mT6_P12ihipStream_tbENKUlT_T0_E_clISt17integral_constantIbLb1EESW_IbLb0EEEEDaSS_ST_EUlSS_E0_NS1_11comp_targetILNS1_3genE10ELNS1_11target_archE1200ELNS1_3gpuE4ELNS1_3repE0EEENS1_30default_config_static_selectorELNS0_4arch9wavefront6targetE1EEEvT1_: ; @_ZN7rocprim17ROCPRIM_400000_NS6detail17trampoline_kernelINS0_14default_configENS1_20scan_config_selectorIyEEZZNS1_9scan_implILNS1_25lookback_scan_determinismE0ELb0ELb0ES3_N6thrust23THRUST_200600_302600_NS6detail15normal_iteratorINS9_10device_ptrIyEEEENS9_16discard_iteratorINS9_11use_defaultEEEyNS9_4plusIvEEyEEDaPvRmT3_T4_T5_mT6_P12ihipStream_tbENKUlT_T0_E_clISt17integral_constantIbLb1EESW_IbLb0EEEEDaSS_ST_EUlSS_E0_NS1_11comp_targetILNS1_3genE10ELNS1_11target_archE1200ELNS1_3gpuE4ELNS1_3repE0EEENS1_30default_config_static_selectorELNS0_4arch9wavefront6targetE1EEEvT1_
; %bb.0:
	.section	.rodata,"a",@progbits
	.p2align	6, 0x0
	.amdhsa_kernel _ZN7rocprim17ROCPRIM_400000_NS6detail17trampoline_kernelINS0_14default_configENS1_20scan_config_selectorIyEEZZNS1_9scan_implILNS1_25lookback_scan_determinismE0ELb0ELb0ES3_N6thrust23THRUST_200600_302600_NS6detail15normal_iteratorINS9_10device_ptrIyEEEENS9_16discard_iteratorINS9_11use_defaultEEEyNS9_4plusIvEEyEEDaPvRmT3_T4_T5_mT6_P12ihipStream_tbENKUlT_T0_E_clISt17integral_constantIbLb1EESW_IbLb0EEEEDaSS_ST_EUlSS_E0_NS1_11comp_targetILNS1_3genE10ELNS1_11target_archE1200ELNS1_3gpuE4ELNS1_3repE0EEENS1_30default_config_static_selectorELNS0_4arch9wavefront6targetE1EEEvT1_
		.amdhsa_group_segment_fixed_size 0
		.amdhsa_private_segment_fixed_size 0
		.amdhsa_kernarg_size 48
		.amdhsa_user_sgpr_count 6
		.amdhsa_user_sgpr_private_segment_buffer 1
		.amdhsa_user_sgpr_dispatch_ptr 0
		.amdhsa_user_sgpr_queue_ptr 0
		.amdhsa_user_sgpr_kernarg_segment_ptr 1
		.amdhsa_user_sgpr_dispatch_id 0
		.amdhsa_user_sgpr_flat_scratch_init 0
		.amdhsa_user_sgpr_kernarg_preload_length 0
		.amdhsa_user_sgpr_kernarg_preload_offset 0
		.amdhsa_user_sgpr_private_segment_size 0
		.amdhsa_uses_dynamic_stack 0
		.amdhsa_system_sgpr_private_segment_wavefront_offset 0
		.amdhsa_system_sgpr_workgroup_id_x 1
		.amdhsa_system_sgpr_workgroup_id_y 0
		.amdhsa_system_sgpr_workgroup_id_z 0
		.amdhsa_system_sgpr_workgroup_info 0
		.amdhsa_system_vgpr_workitem_id 0
		.amdhsa_next_free_vgpr 1
		.amdhsa_next_free_sgpr 0
		.amdhsa_accum_offset 4
		.amdhsa_reserve_vcc 0
		.amdhsa_reserve_flat_scratch 0
		.amdhsa_float_round_mode_32 0
		.amdhsa_float_round_mode_16_64 0
		.amdhsa_float_denorm_mode_32 3
		.amdhsa_float_denorm_mode_16_64 3
		.amdhsa_dx10_clamp 1
		.amdhsa_ieee_mode 1
		.amdhsa_fp16_overflow 0
		.amdhsa_tg_split 0
		.amdhsa_exception_fp_ieee_invalid_op 0
		.amdhsa_exception_fp_denorm_src 0
		.amdhsa_exception_fp_ieee_div_zero 0
		.amdhsa_exception_fp_ieee_overflow 0
		.amdhsa_exception_fp_ieee_underflow 0
		.amdhsa_exception_fp_ieee_inexact 0
		.amdhsa_exception_int_div_zero 0
	.end_amdhsa_kernel
	.section	.text._ZN7rocprim17ROCPRIM_400000_NS6detail17trampoline_kernelINS0_14default_configENS1_20scan_config_selectorIyEEZZNS1_9scan_implILNS1_25lookback_scan_determinismE0ELb0ELb0ES3_N6thrust23THRUST_200600_302600_NS6detail15normal_iteratorINS9_10device_ptrIyEEEENS9_16discard_iteratorINS9_11use_defaultEEEyNS9_4plusIvEEyEEDaPvRmT3_T4_T5_mT6_P12ihipStream_tbENKUlT_T0_E_clISt17integral_constantIbLb1EESW_IbLb0EEEEDaSS_ST_EUlSS_E0_NS1_11comp_targetILNS1_3genE10ELNS1_11target_archE1200ELNS1_3gpuE4ELNS1_3repE0EEENS1_30default_config_static_selectorELNS0_4arch9wavefront6targetE1EEEvT1_,"axG",@progbits,_ZN7rocprim17ROCPRIM_400000_NS6detail17trampoline_kernelINS0_14default_configENS1_20scan_config_selectorIyEEZZNS1_9scan_implILNS1_25lookback_scan_determinismE0ELb0ELb0ES3_N6thrust23THRUST_200600_302600_NS6detail15normal_iteratorINS9_10device_ptrIyEEEENS9_16discard_iteratorINS9_11use_defaultEEEyNS9_4plusIvEEyEEDaPvRmT3_T4_T5_mT6_P12ihipStream_tbENKUlT_T0_E_clISt17integral_constantIbLb1EESW_IbLb0EEEEDaSS_ST_EUlSS_E0_NS1_11comp_targetILNS1_3genE10ELNS1_11target_archE1200ELNS1_3gpuE4ELNS1_3repE0EEENS1_30default_config_static_selectorELNS0_4arch9wavefront6targetE1EEEvT1_,comdat
.Lfunc_end5201:
	.size	_ZN7rocprim17ROCPRIM_400000_NS6detail17trampoline_kernelINS0_14default_configENS1_20scan_config_selectorIyEEZZNS1_9scan_implILNS1_25lookback_scan_determinismE0ELb0ELb0ES3_N6thrust23THRUST_200600_302600_NS6detail15normal_iteratorINS9_10device_ptrIyEEEENS9_16discard_iteratorINS9_11use_defaultEEEyNS9_4plusIvEEyEEDaPvRmT3_T4_T5_mT6_P12ihipStream_tbENKUlT_T0_E_clISt17integral_constantIbLb1EESW_IbLb0EEEEDaSS_ST_EUlSS_E0_NS1_11comp_targetILNS1_3genE10ELNS1_11target_archE1200ELNS1_3gpuE4ELNS1_3repE0EEENS1_30default_config_static_selectorELNS0_4arch9wavefront6targetE1EEEvT1_, .Lfunc_end5201-_ZN7rocprim17ROCPRIM_400000_NS6detail17trampoline_kernelINS0_14default_configENS1_20scan_config_selectorIyEEZZNS1_9scan_implILNS1_25lookback_scan_determinismE0ELb0ELb0ES3_N6thrust23THRUST_200600_302600_NS6detail15normal_iteratorINS9_10device_ptrIyEEEENS9_16discard_iteratorINS9_11use_defaultEEEyNS9_4plusIvEEyEEDaPvRmT3_T4_T5_mT6_P12ihipStream_tbENKUlT_T0_E_clISt17integral_constantIbLb1EESW_IbLb0EEEEDaSS_ST_EUlSS_E0_NS1_11comp_targetILNS1_3genE10ELNS1_11target_archE1200ELNS1_3gpuE4ELNS1_3repE0EEENS1_30default_config_static_selectorELNS0_4arch9wavefront6targetE1EEEvT1_
                                        ; -- End function
	.section	.AMDGPU.csdata,"",@progbits
; Kernel info:
; codeLenInByte = 0
; NumSgprs: 4
; NumVgprs: 0
; NumAgprs: 0
; TotalNumVgprs: 0
; ScratchSize: 0
; MemoryBound: 0
; FloatMode: 240
; IeeeMode: 1
; LDSByteSize: 0 bytes/workgroup (compile time only)
; SGPRBlocks: 0
; VGPRBlocks: 0
; NumSGPRsForWavesPerEU: 4
; NumVGPRsForWavesPerEU: 1
; AccumOffset: 4
; Occupancy: 8
; WaveLimiterHint : 0
; COMPUTE_PGM_RSRC2:SCRATCH_EN: 0
; COMPUTE_PGM_RSRC2:USER_SGPR: 6
; COMPUTE_PGM_RSRC2:TRAP_HANDLER: 0
; COMPUTE_PGM_RSRC2:TGID_X_EN: 1
; COMPUTE_PGM_RSRC2:TGID_Y_EN: 0
; COMPUTE_PGM_RSRC2:TGID_Z_EN: 0
; COMPUTE_PGM_RSRC2:TIDIG_COMP_CNT: 0
; COMPUTE_PGM_RSRC3_GFX90A:ACCUM_OFFSET: 0
; COMPUTE_PGM_RSRC3_GFX90A:TG_SPLIT: 0
	.section	.text._ZN7rocprim17ROCPRIM_400000_NS6detail17trampoline_kernelINS0_14default_configENS1_20scan_config_selectorIyEEZZNS1_9scan_implILNS1_25lookback_scan_determinismE0ELb0ELb0ES3_N6thrust23THRUST_200600_302600_NS6detail15normal_iteratorINS9_10device_ptrIyEEEENS9_16discard_iteratorINS9_11use_defaultEEEyNS9_4plusIvEEyEEDaPvRmT3_T4_T5_mT6_P12ihipStream_tbENKUlT_T0_E_clISt17integral_constantIbLb1EESW_IbLb0EEEEDaSS_ST_EUlSS_E0_NS1_11comp_targetILNS1_3genE9ELNS1_11target_archE1100ELNS1_3gpuE3ELNS1_3repE0EEENS1_30default_config_static_selectorELNS0_4arch9wavefront6targetE1EEEvT1_,"axG",@progbits,_ZN7rocprim17ROCPRIM_400000_NS6detail17trampoline_kernelINS0_14default_configENS1_20scan_config_selectorIyEEZZNS1_9scan_implILNS1_25lookback_scan_determinismE0ELb0ELb0ES3_N6thrust23THRUST_200600_302600_NS6detail15normal_iteratorINS9_10device_ptrIyEEEENS9_16discard_iteratorINS9_11use_defaultEEEyNS9_4plusIvEEyEEDaPvRmT3_T4_T5_mT6_P12ihipStream_tbENKUlT_T0_E_clISt17integral_constantIbLb1EESW_IbLb0EEEEDaSS_ST_EUlSS_E0_NS1_11comp_targetILNS1_3genE9ELNS1_11target_archE1100ELNS1_3gpuE3ELNS1_3repE0EEENS1_30default_config_static_selectorELNS0_4arch9wavefront6targetE1EEEvT1_,comdat
	.protected	_ZN7rocprim17ROCPRIM_400000_NS6detail17trampoline_kernelINS0_14default_configENS1_20scan_config_selectorIyEEZZNS1_9scan_implILNS1_25lookback_scan_determinismE0ELb0ELb0ES3_N6thrust23THRUST_200600_302600_NS6detail15normal_iteratorINS9_10device_ptrIyEEEENS9_16discard_iteratorINS9_11use_defaultEEEyNS9_4plusIvEEyEEDaPvRmT3_T4_T5_mT6_P12ihipStream_tbENKUlT_T0_E_clISt17integral_constantIbLb1EESW_IbLb0EEEEDaSS_ST_EUlSS_E0_NS1_11comp_targetILNS1_3genE9ELNS1_11target_archE1100ELNS1_3gpuE3ELNS1_3repE0EEENS1_30default_config_static_selectorELNS0_4arch9wavefront6targetE1EEEvT1_ ; -- Begin function _ZN7rocprim17ROCPRIM_400000_NS6detail17trampoline_kernelINS0_14default_configENS1_20scan_config_selectorIyEEZZNS1_9scan_implILNS1_25lookback_scan_determinismE0ELb0ELb0ES3_N6thrust23THRUST_200600_302600_NS6detail15normal_iteratorINS9_10device_ptrIyEEEENS9_16discard_iteratorINS9_11use_defaultEEEyNS9_4plusIvEEyEEDaPvRmT3_T4_T5_mT6_P12ihipStream_tbENKUlT_T0_E_clISt17integral_constantIbLb1EESW_IbLb0EEEEDaSS_ST_EUlSS_E0_NS1_11comp_targetILNS1_3genE9ELNS1_11target_archE1100ELNS1_3gpuE3ELNS1_3repE0EEENS1_30default_config_static_selectorELNS0_4arch9wavefront6targetE1EEEvT1_
	.globl	_ZN7rocprim17ROCPRIM_400000_NS6detail17trampoline_kernelINS0_14default_configENS1_20scan_config_selectorIyEEZZNS1_9scan_implILNS1_25lookback_scan_determinismE0ELb0ELb0ES3_N6thrust23THRUST_200600_302600_NS6detail15normal_iteratorINS9_10device_ptrIyEEEENS9_16discard_iteratorINS9_11use_defaultEEEyNS9_4plusIvEEyEEDaPvRmT3_T4_T5_mT6_P12ihipStream_tbENKUlT_T0_E_clISt17integral_constantIbLb1EESW_IbLb0EEEEDaSS_ST_EUlSS_E0_NS1_11comp_targetILNS1_3genE9ELNS1_11target_archE1100ELNS1_3gpuE3ELNS1_3repE0EEENS1_30default_config_static_selectorELNS0_4arch9wavefront6targetE1EEEvT1_
	.p2align	8
	.type	_ZN7rocprim17ROCPRIM_400000_NS6detail17trampoline_kernelINS0_14default_configENS1_20scan_config_selectorIyEEZZNS1_9scan_implILNS1_25lookback_scan_determinismE0ELb0ELb0ES3_N6thrust23THRUST_200600_302600_NS6detail15normal_iteratorINS9_10device_ptrIyEEEENS9_16discard_iteratorINS9_11use_defaultEEEyNS9_4plusIvEEyEEDaPvRmT3_T4_T5_mT6_P12ihipStream_tbENKUlT_T0_E_clISt17integral_constantIbLb1EESW_IbLb0EEEEDaSS_ST_EUlSS_E0_NS1_11comp_targetILNS1_3genE9ELNS1_11target_archE1100ELNS1_3gpuE3ELNS1_3repE0EEENS1_30default_config_static_selectorELNS0_4arch9wavefront6targetE1EEEvT1_,@function
_ZN7rocprim17ROCPRIM_400000_NS6detail17trampoline_kernelINS0_14default_configENS1_20scan_config_selectorIyEEZZNS1_9scan_implILNS1_25lookback_scan_determinismE0ELb0ELb0ES3_N6thrust23THRUST_200600_302600_NS6detail15normal_iteratorINS9_10device_ptrIyEEEENS9_16discard_iteratorINS9_11use_defaultEEEyNS9_4plusIvEEyEEDaPvRmT3_T4_T5_mT6_P12ihipStream_tbENKUlT_T0_E_clISt17integral_constantIbLb1EESW_IbLb0EEEEDaSS_ST_EUlSS_E0_NS1_11comp_targetILNS1_3genE9ELNS1_11target_archE1100ELNS1_3gpuE3ELNS1_3repE0EEENS1_30default_config_static_selectorELNS0_4arch9wavefront6targetE1EEEvT1_: ; @_ZN7rocprim17ROCPRIM_400000_NS6detail17trampoline_kernelINS0_14default_configENS1_20scan_config_selectorIyEEZZNS1_9scan_implILNS1_25lookback_scan_determinismE0ELb0ELb0ES3_N6thrust23THRUST_200600_302600_NS6detail15normal_iteratorINS9_10device_ptrIyEEEENS9_16discard_iteratorINS9_11use_defaultEEEyNS9_4plusIvEEyEEDaPvRmT3_T4_T5_mT6_P12ihipStream_tbENKUlT_T0_E_clISt17integral_constantIbLb1EESW_IbLb0EEEEDaSS_ST_EUlSS_E0_NS1_11comp_targetILNS1_3genE9ELNS1_11target_archE1100ELNS1_3gpuE3ELNS1_3repE0EEENS1_30default_config_static_selectorELNS0_4arch9wavefront6targetE1EEEvT1_
; %bb.0:
	.section	.rodata,"a",@progbits
	.p2align	6, 0x0
	.amdhsa_kernel _ZN7rocprim17ROCPRIM_400000_NS6detail17trampoline_kernelINS0_14default_configENS1_20scan_config_selectorIyEEZZNS1_9scan_implILNS1_25lookback_scan_determinismE0ELb0ELb0ES3_N6thrust23THRUST_200600_302600_NS6detail15normal_iteratorINS9_10device_ptrIyEEEENS9_16discard_iteratorINS9_11use_defaultEEEyNS9_4plusIvEEyEEDaPvRmT3_T4_T5_mT6_P12ihipStream_tbENKUlT_T0_E_clISt17integral_constantIbLb1EESW_IbLb0EEEEDaSS_ST_EUlSS_E0_NS1_11comp_targetILNS1_3genE9ELNS1_11target_archE1100ELNS1_3gpuE3ELNS1_3repE0EEENS1_30default_config_static_selectorELNS0_4arch9wavefront6targetE1EEEvT1_
		.amdhsa_group_segment_fixed_size 0
		.amdhsa_private_segment_fixed_size 0
		.amdhsa_kernarg_size 48
		.amdhsa_user_sgpr_count 6
		.amdhsa_user_sgpr_private_segment_buffer 1
		.amdhsa_user_sgpr_dispatch_ptr 0
		.amdhsa_user_sgpr_queue_ptr 0
		.amdhsa_user_sgpr_kernarg_segment_ptr 1
		.amdhsa_user_sgpr_dispatch_id 0
		.amdhsa_user_sgpr_flat_scratch_init 0
		.amdhsa_user_sgpr_kernarg_preload_length 0
		.amdhsa_user_sgpr_kernarg_preload_offset 0
		.amdhsa_user_sgpr_private_segment_size 0
		.amdhsa_uses_dynamic_stack 0
		.amdhsa_system_sgpr_private_segment_wavefront_offset 0
		.amdhsa_system_sgpr_workgroup_id_x 1
		.amdhsa_system_sgpr_workgroup_id_y 0
		.amdhsa_system_sgpr_workgroup_id_z 0
		.amdhsa_system_sgpr_workgroup_info 0
		.amdhsa_system_vgpr_workitem_id 0
		.amdhsa_next_free_vgpr 1
		.amdhsa_next_free_sgpr 0
		.amdhsa_accum_offset 4
		.amdhsa_reserve_vcc 0
		.amdhsa_reserve_flat_scratch 0
		.amdhsa_float_round_mode_32 0
		.amdhsa_float_round_mode_16_64 0
		.amdhsa_float_denorm_mode_32 3
		.amdhsa_float_denorm_mode_16_64 3
		.amdhsa_dx10_clamp 1
		.amdhsa_ieee_mode 1
		.amdhsa_fp16_overflow 0
		.amdhsa_tg_split 0
		.amdhsa_exception_fp_ieee_invalid_op 0
		.amdhsa_exception_fp_denorm_src 0
		.amdhsa_exception_fp_ieee_div_zero 0
		.amdhsa_exception_fp_ieee_overflow 0
		.amdhsa_exception_fp_ieee_underflow 0
		.amdhsa_exception_fp_ieee_inexact 0
		.amdhsa_exception_int_div_zero 0
	.end_amdhsa_kernel
	.section	.text._ZN7rocprim17ROCPRIM_400000_NS6detail17trampoline_kernelINS0_14default_configENS1_20scan_config_selectorIyEEZZNS1_9scan_implILNS1_25lookback_scan_determinismE0ELb0ELb0ES3_N6thrust23THRUST_200600_302600_NS6detail15normal_iteratorINS9_10device_ptrIyEEEENS9_16discard_iteratorINS9_11use_defaultEEEyNS9_4plusIvEEyEEDaPvRmT3_T4_T5_mT6_P12ihipStream_tbENKUlT_T0_E_clISt17integral_constantIbLb1EESW_IbLb0EEEEDaSS_ST_EUlSS_E0_NS1_11comp_targetILNS1_3genE9ELNS1_11target_archE1100ELNS1_3gpuE3ELNS1_3repE0EEENS1_30default_config_static_selectorELNS0_4arch9wavefront6targetE1EEEvT1_,"axG",@progbits,_ZN7rocprim17ROCPRIM_400000_NS6detail17trampoline_kernelINS0_14default_configENS1_20scan_config_selectorIyEEZZNS1_9scan_implILNS1_25lookback_scan_determinismE0ELb0ELb0ES3_N6thrust23THRUST_200600_302600_NS6detail15normal_iteratorINS9_10device_ptrIyEEEENS9_16discard_iteratorINS9_11use_defaultEEEyNS9_4plusIvEEyEEDaPvRmT3_T4_T5_mT6_P12ihipStream_tbENKUlT_T0_E_clISt17integral_constantIbLb1EESW_IbLb0EEEEDaSS_ST_EUlSS_E0_NS1_11comp_targetILNS1_3genE9ELNS1_11target_archE1100ELNS1_3gpuE3ELNS1_3repE0EEENS1_30default_config_static_selectorELNS0_4arch9wavefront6targetE1EEEvT1_,comdat
.Lfunc_end5202:
	.size	_ZN7rocprim17ROCPRIM_400000_NS6detail17trampoline_kernelINS0_14default_configENS1_20scan_config_selectorIyEEZZNS1_9scan_implILNS1_25lookback_scan_determinismE0ELb0ELb0ES3_N6thrust23THRUST_200600_302600_NS6detail15normal_iteratorINS9_10device_ptrIyEEEENS9_16discard_iteratorINS9_11use_defaultEEEyNS9_4plusIvEEyEEDaPvRmT3_T4_T5_mT6_P12ihipStream_tbENKUlT_T0_E_clISt17integral_constantIbLb1EESW_IbLb0EEEEDaSS_ST_EUlSS_E0_NS1_11comp_targetILNS1_3genE9ELNS1_11target_archE1100ELNS1_3gpuE3ELNS1_3repE0EEENS1_30default_config_static_selectorELNS0_4arch9wavefront6targetE1EEEvT1_, .Lfunc_end5202-_ZN7rocprim17ROCPRIM_400000_NS6detail17trampoline_kernelINS0_14default_configENS1_20scan_config_selectorIyEEZZNS1_9scan_implILNS1_25lookback_scan_determinismE0ELb0ELb0ES3_N6thrust23THRUST_200600_302600_NS6detail15normal_iteratorINS9_10device_ptrIyEEEENS9_16discard_iteratorINS9_11use_defaultEEEyNS9_4plusIvEEyEEDaPvRmT3_T4_T5_mT6_P12ihipStream_tbENKUlT_T0_E_clISt17integral_constantIbLb1EESW_IbLb0EEEEDaSS_ST_EUlSS_E0_NS1_11comp_targetILNS1_3genE9ELNS1_11target_archE1100ELNS1_3gpuE3ELNS1_3repE0EEENS1_30default_config_static_selectorELNS0_4arch9wavefront6targetE1EEEvT1_
                                        ; -- End function
	.section	.AMDGPU.csdata,"",@progbits
; Kernel info:
; codeLenInByte = 0
; NumSgprs: 4
; NumVgprs: 0
; NumAgprs: 0
; TotalNumVgprs: 0
; ScratchSize: 0
; MemoryBound: 0
; FloatMode: 240
; IeeeMode: 1
; LDSByteSize: 0 bytes/workgroup (compile time only)
; SGPRBlocks: 0
; VGPRBlocks: 0
; NumSGPRsForWavesPerEU: 4
; NumVGPRsForWavesPerEU: 1
; AccumOffset: 4
; Occupancy: 8
; WaveLimiterHint : 0
; COMPUTE_PGM_RSRC2:SCRATCH_EN: 0
; COMPUTE_PGM_RSRC2:USER_SGPR: 6
; COMPUTE_PGM_RSRC2:TRAP_HANDLER: 0
; COMPUTE_PGM_RSRC2:TGID_X_EN: 1
; COMPUTE_PGM_RSRC2:TGID_Y_EN: 0
; COMPUTE_PGM_RSRC2:TGID_Z_EN: 0
; COMPUTE_PGM_RSRC2:TIDIG_COMP_CNT: 0
; COMPUTE_PGM_RSRC3_GFX90A:ACCUM_OFFSET: 0
; COMPUTE_PGM_RSRC3_GFX90A:TG_SPLIT: 0
	.section	.text._ZN7rocprim17ROCPRIM_400000_NS6detail17trampoline_kernelINS0_14default_configENS1_20scan_config_selectorIyEEZZNS1_9scan_implILNS1_25lookback_scan_determinismE0ELb0ELb0ES3_N6thrust23THRUST_200600_302600_NS6detail15normal_iteratorINS9_10device_ptrIyEEEENS9_16discard_iteratorINS9_11use_defaultEEEyNS9_4plusIvEEyEEDaPvRmT3_T4_T5_mT6_P12ihipStream_tbENKUlT_T0_E_clISt17integral_constantIbLb1EESW_IbLb0EEEEDaSS_ST_EUlSS_E0_NS1_11comp_targetILNS1_3genE8ELNS1_11target_archE1030ELNS1_3gpuE2ELNS1_3repE0EEENS1_30default_config_static_selectorELNS0_4arch9wavefront6targetE1EEEvT1_,"axG",@progbits,_ZN7rocprim17ROCPRIM_400000_NS6detail17trampoline_kernelINS0_14default_configENS1_20scan_config_selectorIyEEZZNS1_9scan_implILNS1_25lookback_scan_determinismE0ELb0ELb0ES3_N6thrust23THRUST_200600_302600_NS6detail15normal_iteratorINS9_10device_ptrIyEEEENS9_16discard_iteratorINS9_11use_defaultEEEyNS9_4plusIvEEyEEDaPvRmT3_T4_T5_mT6_P12ihipStream_tbENKUlT_T0_E_clISt17integral_constantIbLb1EESW_IbLb0EEEEDaSS_ST_EUlSS_E0_NS1_11comp_targetILNS1_3genE8ELNS1_11target_archE1030ELNS1_3gpuE2ELNS1_3repE0EEENS1_30default_config_static_selectorELNS0_4arch9wavefront6targetE1EEEvT1_,comdat
	.protected	_ZN7rocprim17ROCPRIM_400000_NS6detail17trampoline_kernelINS0_14default_configENS1_20scan_config_selectorIyEEZZNS1_9scan_implILNS1_25lookback_scan_determinismE0ELb0ELb0ES3_N6thrust23THRUST_200600_302600_NS6detail15normal_iteratorINS9_10device_ptrIyEEEENS9_16discard_iteratorINS9_11use_defaultEEEyNS9_4plusIvEEyEEDaPvRmT3_T4_T5_mT6_P12ihipStream_tbENKUlT_T0_E_clISt17integral_constantIbLb1EESW_IbLb0EEEEDaSS_ST_EUlSS_E0_NS1_11comp_targetILNS1_3genE8ELNS1_11target_archE1030ELNS1_3gpuE2ELNS1_3repE0EEENS1_30default_config_static_selectorELNS0_4arch9wavefront6targetE1EEEvT1_ ; -- Begin function _ZN7rocprim17ROCPRIM_400000_NS6detail17trampoline_kernelINS0_14default_configENS1_20scan_config_selectorIyEEZZNS1_9scan_implILNS1_25lookback_scan_determinismE0ELb0ELb0ES3_N6thrust23THRUST_200600_302600_NS6detail15normal_iteratorINS9_10device_ptrIyEEEENS9_16discard_iteratorINS9_11use_defaultEEEyNS9_4plusIvEEyEEDaPvRmT3_T4_T5_mT6_P12ihipStream_tbENKUlT_T0_E_clISt17integral_constantIbLb1EESW_IbLb0EEEEDaSS_ST_EUlSS_E0_NS1_11comp_targetILNS1_3genE8ELNS1_11target_archE1030ELNS1_3gpuE2ELNS1_3repE0EEENS1_30default_config_static_selectorELNS0_4arch9wavefront6targetE1EEEvT1_
	.globl	_ZN7rocprim17ROCPRIM_400000_NS6detail17trampoline_kernelINS0_14default_configENS1_20scan_config_selectorIyEEZZNS1_9scan_implILNS1_25lookback_scan_determinismE0ELb0ELb0ES3_N6thrust23THRUST_200600_302600_NS6detail15normal_iteratorINS9_10device_ptrIyEEEENS9_16discard_iteratorINS9_11use_defaultEEEyNS9_4plusIvEEyEEDaPvRmT3_T4_T5_mT6_P12ihipStream_tbENKUlT_T0_E_clISt17integral_constantIbLb1EESW_IbLb0EEEEDaSS_ST_EUlSS_E0_NS1_11comp_targetILNS1_3genE8ELNS1_11target_archE1030ELNS1_3gpuE2ELNS1_3repE0EEENS1_30default_config_static_selectorELNS0_4arch9wavefront6targetE1EEEvT1_
	.p2align	8
	.type	_ZN7rocprim17ROCPRIM_400000_NS6detail17trampoline_kernelINS0_14default_configENS1_20scan_config_selectorIyEEZZNS1_9scan_implILNS1_25lookback_scan_determinismE0ELb0ELb0ES3_N6thrust23THRUST_200600_302600_NS6detail15normal_iteratorINS9_10device_ptrIyEEEENS9_16discard_iteratorINS9_11use_defaultEEEyNS9_4plusIvEEyEEDaPvRmT3_T4_T5_mT6_P12ihipStream_tbENKUlT_T0_E_clISt17integral_constantIbLb1EESW_IbLb0EEEEDaSS_ST_EUlSS_E0_NS1_11comp_targetILNS1_3genE8ELNS1_11target_archE1030ELNS1_3gpuE2ELNS1_3repE0EEENS1_30default_config_static_selectorELNS0_4arch9wavefront6targetE1EEEvT1_,@function
_ZN7rocprim17ROCPRIM_400000_NS6detail17trampoline_kernelINS0_14default_configENS1_20scan_config_selectorIyEEZZNS1_9scan_implILNS1_25lookback_scan_determinismE0ELb0ELb0ES3_N6thrust23THRUST_200600_302600_NS6detail15normal_iteratorINS9_10device_ptrIyEEEENS9_16discard_iteratorINS9_11use_defaultEEEyNS9_4plusIvEEyEEDaPvRmT3_T4_T5_mT6_P12ihipStream_tbENKUlT_T0_E_clISt17integral_constantIbLb1EESW_IbLb0EEEEDaSS_ST_EUlSS_E0_NS1_11comp_targetILNS1_3genE8ELNS1_11target_archE1030ELNS1_3gpuE2ELNS1_3repE0EEENS1_30default_config_static_selectorELNS0_4arch9wavefront6targetE1EEEvT1_: ; @_ZN7rocprim17ROCPRIM_400000_NS6detail17trampoline_kernelINS0_14default_configENS1_20scan_config_selectorIyEEZZNS1_9scan_implILNS1_25lookback_scan_determinismE0ELb0ELb0ES3_N6thrust23THRUST_200600_302600_NS6detail15normal_iteratorINS9_10device_ptrIyEEEENS9_16discard_iteratorINS9_11use_defaultEEEyNS9_4plusIvEEyEEDaPvRmT3_T4_T5_mT6_P12ihipStream_tbENKUlT_T0_E_clISt17integral_constantIbLb1EESW_IbLb0EEEEDaSS_ST_EUlSS_E0_NS1_11comp_targetILNS1_3genE8ELNS1_11target_archE1030ELNS1_3gpuE2ELNS1_3repE0EEENS1_30default_config_static_selectorELNS0_4arch9wavefront6targetE1EEEvT1_
; %bb.0:
	.section	.rodata,"a",@progbits
	.p2align	6, 0x0
	.amdhsa_kernel _ZN7rocprim17ROCPRIM_400000_NS6detail17trampoline_kernelINS0_14default_configENS1_20scan_config_selectorIyEEZZNS1_9scan_implILNS1_25lookback_scan_determinismE0ELb0ELb0ES3_N6thrust23THRUST_200600_302600_NS6detail15normal_iteratorINS9_10device_ptrIyEEEENS9_16discard_iteratorINS9_11use_defaultEEEyNS9_4plusIvEEyEEDaPvRmT3_T4_T5_mT6_P12ihipStream_tbENKUlT_T0_E_clISt17integral_constantIbLb1EESW_IbLb0EEEEDaSS_ST_EUlSS_E0_NS1_11comp_targetILNS1_3genE8ELNS1_11target_archE1030ELNS1_3gpuE2ELNS1_3repE0EEENS1_30default_config_static_selectorELNS0_4arch9wavefront6targetE1EEEvT1_
		.amdhsa_group_segment_fixed_size 0
		.amdhsa_private_segment_fixed_size 0
		.amdhsa_kernarg_size 48
		.amdhsa_user_sgpr_count 6
		.amdhsa_user_sgpr_private_segment_buffer 1
		.amdhsa_user_sgpr_dispatch_ptr 0
		.amdhsa_user_sgpr_queue_ptr 0
		.amdhsa_user_sgpr_kernarg_segment_ptr 1
		.amdhsa_user_sgpr_dispatch_id 0
		.amdhsa_user_sgpr_flat_scratch_init 0
		.amdhsa_user_sgpr_kernarg_preload_length 0
		.amdhsa_user_sgpr_kernarg_preload_offset 0
		.amdhsa_user_sgpr_private_segment_size 0
		.amdhsa_uses_dynamic_stack 0
		.amdhsa_system_sgpr_private_segment_wavefront_offset 0
		.amdhsa_system_sgpr_workgroup_id_x 1
		.amdhsa_system_sgpr_workgroup_id_y 0
		.amdhsa_system_sgpr_workgroup_id_z 0
		.amdhsa_system_sgpr_workgroup_info 0
		.amdhsa_system_vgpr_workitem_id 0
		.amdhsa_next_free_vgpr 1
		.amdhsa_next_free_sgpr 0
		.amdhsa_accum_offset 4
		.amdhsa_reserve_vcc 0
		.amdhsa_reserve_flat_scratch 0
		.amdhsa_float_round_mode_32 0
		.amdhsa_float_round_mode_16_64 0
		.amdhsa_float_denorm_mode_32 3
		.amdhsa_float_denorm_mode_16_64 3
		.amdhsa_dx10_clamp 1
		.amdhsa_ieee_mode 1
		.amdhsa_fp16_overflow 0
		.amdhsa_tg_split 0
		.amdhsa_exception_fp_ieee_invalid_op 0
		.amdhsa_exception_fp_denorm_src 0
		.amdhsa_exception_fp_ieee_div_zero 0
		.amdhsa_exception_fp_ieee_overflow 0
		.amdhsa_exception_fp_ieee_underflow 0
		.amdhsa_exception_fp_ieee_inexact 0
		.amdhsa_exception_int_div_zero 0
	.end_amdhsa_kernel
	.section	.text._ZN7rocprim17ROCPRIM_400000_NS6detail17trampoline_kernelINS0_14default_configENS1_20scan_config_selectorIyEEZZNS1_9scan_implILNS1_25lookback_scan_determinismE0ELb0ELb0ES3_N6thrust23THRUST_200600_302600_NS6detail15normal_iteratorINS9_10device_ptrIyEEEENS9_16discard_iteratorINS9_11use_defaultEEEyNS9_4plusIvEEyEEDaPvRmT3_T4_T5_mT6_P12ihipStream_tbENKUlT_T0_E_clISt17integral_constantIbLb1EESW_IbLb0EEEEDaSS_ST_EUlSS_E0_NS1_11comp_targetILNS1_3genE8ELNS1_11target_archE1030ELNS1_3gpuE2ELNS1_3repE0EEENS1_30default_config_static_selectorELNS0_4arch9wavefront6targetE1EEEvT1_,"axG",@progbits,_ZN7rocprim17ROCPRIM_400000_NS6detail17trampoline_kernelINS0_14default_configENS1_20scan_config_selectorIyEEZZNS1_9scan_implILNS1_25lookback_scan_determinismE0ELb0ELb0ES3_N6thrust23THRUST_200600_302600_NS6detail15normal_iteratorINS9_10device_ptrIyEEEENS9_16discard_iteratorINS9_11use_defaultEEEyNS9_4plusIvEEyEEDaPvRmT3_T4_T5_mT6_P12ihipStream_tbENKUlT_T0_E_clISt17integral_constantIbLb1EESW_IbLb0EEEEDaSS_ST_EUlSS_E0_NS1_11comp_targetILNS1_3genE8ELNS1_11target_archE1030ELNS1_3gpuE2ELNS1_3repE0EEENS1_30default_config_static_selectorELNS0_4arch9wavefront6targetE1EEEvT1_,comdat
.Lfunc_end5203:
	.size	_ZN7rocprim17ROCPRIM_400000_NS6detail17trampoline_kernelINS0_14default_configENS1_20scan_config_selectorIyEEZZNS1_9scan_implILNS1_25lookback_scan_determinismE0ELb0ELb0ES3_N6thrust23THRUST_200600_302600_NS6detail15normal_iteratorINS9_10device_ptrIyEEEENS9_16discard_iteratorINS9_11use_defaultEEEyNS9_4plusIvEEyEEDaPvRmT3_T4_T5_mT6_P12ihipStream_tbENKUlT_T0_E_clISt17integral_constantIbLb1EESW_IbLb0EEEEDaSS_ST_EUlSS_E0_NS1_11comp_targetILNS1_3genE8ELNS1_11target_archE1030ELNS1_3gpuE2ELNS1_3repE0EEENS1_30default_config_static_selectorELNS0_4arch9wavefront6targetE1EEEvT1_, .Lfunc_end5203-_ZN7rocprim17ROCPRIM_400000_NS6detail17trampoline_kernelINS0_14default_configENS1_20scan_config_selectorIyEEZZNS1_9scan_implILNS1_25lookback_scan_determinismE0ELb0ELb0ES3_N6thrust23THRUST_200600_302600_NS6detail15normal_iteratorINS9_10device_ptrIyEEEENS9_16discard_iteratorINS9_11use_defaultEEEyNS9_4plusIvEEyEEDaPvRmT3_T4_T5_mT6_P12ihipStream_tbENKUlT_T0_E_clISt17integral_constantIbLb1EESW_IbLb0EEEEDaSS_ST_EUlSS_E0_NS1_11comp_targetILNS1_3genE8ELNS1_11target_archE1030ELNS1_3gpuE2ELNS1_3repE0EEENS1_30default_config_static_selectorELNS0_4arch9wavefront6targetE1EEEvT1_
                                        ; -- End function
	.section	.AMDGPU.csdata,"",@progbits
; Kernel info:
; codeLenInByte = 0
; NumSgprs: 4
; NumVgprs: 0
; NumAgprs: 0
; TotalNumVgprs: 0
; ScratchSize: 0
; MemoryBound: 0
; FloatMode: 240
; IeeeMode: 1
; LDSByteSize: 0 bytes/workgroup (compile time only)
; SGPRBlocks: 0
; VGPRBlocks: 0
; NumSGPRsForWavesPerEU: 4
; NumVGPRsForWavesPerEU: 1
; AccumOffset: 4
; Occupancy: 8
; WaveLimiterHint : 0
; COMPUTE_PGM_RSRC2:SCRATCH_EN: 0
; COMPUTE_PGM_RSRC2:USER_SGPR: 6
; COMPUTE_PGM_RSRC2:TRAP_HANDLER: 0
; COMPUTE_PGM_RSRC2:TGID_X_EN: 1
; COMPUTE_PGM_RSRC2:TGID_Y_EN: 0
; COMPUTE_PGM_RSRC2:TGID_Z_EN: 0
; COMPUTE_PGM_RSRC2:TIDIG_COMP_CNT: 0
; COMPUTE_PGM_RSRC3_GFX90A:ACCUM_OFFSET: 0
; COMPUTE_PGM_RSRC3_GFX90A:TG_SPLIT: 0
	.section	.text._ZN7rocprim17ROCPRIM_400000_NS6detail17trampoline_kernelINS0_14default_configENS1_20scan_config_selectorIyEEZZNS1_9scan_implILNS1_25lookback_scan_determinismE0ELb0ELb0ES3_N6thrust23THRUST_200600_302600_NS6detail15normal_iteratorINS9_10device_ptrIyEEEENS9_16discard_iteratorINS9_11use_defaultEEEyNS9_4plusIvEEyEEDaPvRmT3_T4_T5_mT6_P12ihipStream_tbENKUlT_T0_E_clISt17integral_constantIbLb0EESW_IbLb1EEEEDaSS_ST_EUlSS_E_NS1_11comp_targetILNS1_3genE0ELNS1_11target_archE4294967295ELNS1_3gpuE0ELNS1_3repE0EEENS1_30default_config_static_selectorELNS0_4arch9wavefront6targetE1EEEvT1_,"axG",@progbits,_ZN7rocprim17ROCPRIM_400000_NS6detail17trampoline_kernelINS0_14default_configENS1_20scan_config_selectorIyEEZZNS1_9scan_implILNS1_25lookback_scan_determinismE0ELb0ELb0ES3_N6thrust23THRUST_200600_302600_NS6detail15normal_iteratorINS9_10device_ptrIyEEEENS9_16discard_iteratorINS9_11use_defaultEEEyNS9_4plusIvEEyEEDaPvRmT3_T4_T5_mT6_P12ihipStream_tbENKUlT_T0_E_clISt17integral_constantIbLb0EESW_IbLb1EEEEDaSS_ST_EUlSS_E_NS1_11comp_targetILNS1_3genE0ELNS1_11target_archE4294967295ELNS1_3gpuE0ELNS1_3repE0EEENS1_30default_config_static_selectorELNS0_4arch9wavefront6targetE1EEEvT1_,comdat
	.protected	_ZN7rocprim17ROCPRIM_400000_NS6detail17trampoline_kernelINS0_14default_configENS1_20scan_config_selectorIyEEZZNS1_9scan_implILNS1_25lookback_scan_determinismE0ELb0ELb0ES3_N6thrust23THRUST_200600_302600_NS6detail15normal_iteratorINS9_10device_ptrIyEEEENS9_16discard_iteratorINS9_11use_defaultEEEyNS9_4plusIvEEyEEDaPvRmT3_T4_T5_mT6_P12ihipStream_tbENKUlT_T0_E_clISt17integral_constantIbLb0EESW_IbLb1EEEEDaSS_ST_EUlSS_E_NS1_11comp_targetILNS1_3genE0ELNS1_11target_archE4294967295ELNS1_3gpuE0ELNS1_3repE0EEENS1_30default_config_static_selectorELNS0_4arch9wavefront6targetE1EEEvT1_ ; -- Begin function _ZN7rocprim17ROCPRIM_400000_NS6detail17trampoline_kernelINS0_14default_configENS1_20scan_config_selectorIyEEZZNS1_9scan_implILNS1_25lookback_scan_determinismE0ELb0ELb0ES3_N6thrust23THRUST_200600_302600_NS6detail15normal_iteratorINS9_10device_ptrIyEEEENS9_16discard_iteratorINS9_11use_defaultEEEyNS9_4plusIvEEyEEDaPvRmT3_T4_T5_mT6_P12ihipStream_tbENKUlT_T0_E_clISt17integral_constantIbLb0EESW_IbLb1EEEEDaSS_ST_EUlSS_E_NS1_11comp_targetILNS1_3genE0ELNS1_11target_archE4294967295ELNS1_3gpuE0ELNS1_3repE0EEENS1_30default_config_static_selectorELNS0_4arch9wavefront6targetE1EEEvT1_
	.globl	_ZN7rocprim17ROCPRIM_400000_NS6detail17trampoline_kernelINS0_14default_configENS1_20scan_config_selectorIyEEZZNS1_9scan_implILNS1_25lookback_scan_determinismE0ELb0ELb0ES3_N6thrust23THRUST_200600_302600_NS6detail15normal_iteratorINS9_10device_ptrIyEEEENS9_16discard_iteratorINS9_11use_defaultEEEyNS9_4plusIvEEyEEDaPvRmT3_T4_T5_mT6_P12ihipStream_tbENKUlT_T0_E_clISt17integral_constantIbLb0EESW_IbLb1EEEEDaSS_ST_EUlSS_E_NS1_11comp_targetILNS1_3genE0ELNS1_11target_archE4294967295ELNS1_3gpuE0ELNS1_3repE0EEENS1_30default_config_static_selectorELNS0_4arch9wavefront6targetE1EEEvT1_
	.p2align	8
	.type	_ZN7rocprim17ROCPRIM_400000_NS6detail17trampoline_kernelINS0_14default_configENS1_20scan_config_selectorIyEEZZNS1_9scan_implILNS1_25lookback_scan_determinismE0ELb0ELb0ES3_N6thrust23THRUST_200600_302600_NS6detail15normal_iteratorINS9_10device_ptrIyEEEENS9_16discard_iteratorINS9_11use_defaultEEEyNS9_4plusIvEEyEEDaPvRmT3_T4_T5_mT6_P12ihipStream_tbENKUlT_T0_E_clISt17integral_constantIbLb0EESW_IbLb1EEEEDaSS_ST_EUlSS_E_NS1_11comp_targetILNS1_3genE0ELNS1_11target_archE4294967295ELNS1_3gpuE0ELNS1_3repE0EEENS1_30default_config_static_selectorELNS0_4arch9wavefront6targetE1EEEvT1_,@function
_ZN7rocprim17ROCPRIM_400000_NS6detail17trampoline_kernelINS0_14default_configENS1_20scan_config_selectorIyEEZZNS1_9scan_implILNS1_25lookback_scan_determinismE0ELb0ELb0ES3_N6thrust23THRUST_200600_302600_NS6detail15normal_iteratorINS9_10device_ptrIyEEEENS9_16discard_iteratorINS9_11use_defaultEEEyNS9_4plusIvEEyEEDaPvRmT3_T4_T5_mT6_P12ihipStream_tbENKUlT_T0_E_clISt17integral_constantIbLb0EESW_IbLb1EEEEDaSS_ST_EUlSS_E_NS1_11comp_targetILNS1_3genE0ELNS1_11target_archE4294967295ELNS1_3gpuE0ELNS1_3repE0EEENS1_30default_config_static_selectorELNS0_4arch9wavefront6targetE1EEEvT1_: ; @_ZN7rocprim17ROCPRIM_400000_NS6detail17trampoline_kernelINS0_14default_configENS1_20scan_config_selectorIyEEZZNS1_9scan_implILNS1_25lookback_scan_determinismE0ELb0ELb0ES3_N6thrust23THRUST_200600_302600_NS6detail15normal_iteratorINS9_10device_ptrIyEEEENS9_16discard_iteratorINS9_11use_defaultEEEyNS9_4plusIvEEyEEDaPvRmT3_T4_T5_mT6_P12ihipStream_tbENKUlT_T0_E_clISt17integral_constantIbLb0EESW_IbLb1EEEEDaSS_ST_EUlSS_E_NS1_11comp_targetILNS1_3genE0ELNS1_11target_archE4294967295ELNS1_3gpuE0ELNS1_3repE0EEENS1_30default_config_static_selectorELNS0_4arch9wavefront6targetE1EEEvT1_
; %bb.0:
	.section	.rodata,"a",@progbits
	.p2align	6, 0x0
	.amdhsa_kernel _ZN7rocprim17ROCPRIM_400000_NS6detail17trampoline_kernelINS0_14default_configENS1_20scan_config_selectorIyEEZZNS1_9scan_implILNS1_25lookback_scan_determinismE0ELb0ELb0ES3_N6thrust23THRUST_200600_302600_NS6detail15normal_iteratorINS9_10device_ptrIyEEEENS9_16discard_iteratorINS9_11use_defaultEEEyNS9_4plusIvEEyEEDaPvRmT3_T4_T5_mT6_P12ihipStream_tbENKUlT_T0_E_clISt17integral_constantIbLb0EESW_IbLb1EEEEDaSS_ST_EUlSS_E_NS1_11comp_targetILNS1_3genE0ELNS1_11target_archE4294967295ELNS1_3gpuE0ELNS1_3repE0EEENS1_30default_config_static_selectorELNS0_4arch9wavefront6targetE1EEEvT1_
		.amdhsa_group_segment_fixed_size 0
		.amdhsa_private_segment_fixed_size 0
		.amdhsa_kernarg_size 112
		.amdhsa_user_sgpr_count 6
		.amdhsa_user_sgpr_private_segment_buffer 1
		.amdhsa_user_sgpr_dispatch_ptr 0
		.amdhsa_user_sgpr_queue_ptr 0
		.amdhsa_user_sgpr_kernarg_segment_ptr 1
		.amdhsa_user_sgpr_dispatch_id 0
		.amdhsa_user_sgpr_flat_scratch_init 0
		.amdhsa_user_sgpr_kernarg_preload_length 0
		.amdhsa_user_sgpr_kernarg_preload_offset 0
		.amdhsa_user_sgpr_private_segment_size 0
		.amdhsa_uses_dynamic_stack 0
		.amdhsa_system_sgpr_private_segment_wavefront_offset 0
		.amdhsa_system_sgpr_workgroup_id_x 1
		.amdhsa_system_sgpr_workgroup_id_y 0
		.amdhsa_system_sgpr_workgroup_id_z 0
		.amdhsa_system_sgpr_workgroup_info 0
		.amdhsa_system_vgpr_workitem_id 0
		.amdhsa_next_free_vgpr 1
		.amdhsa_next_free_sgpr 0
		.amdhsa_accum_offset 4
		.amdhsa_reserve_vcc 0
		.amdhsa_reserve_flat_scratch 0
		.amdhsa_float_round_mode_32 0
		.amdhsa_float_round_mode_16_64 0
		.amdhsa_float_denorm_mode_32 3
		.amdhsa_float_denorm_mode_16_64 3
		.amdhsa_dx10_clamp 1
		.amdhsa_ieee_mode 1
		.amdhsa_fp16_overflow 0
		.amdhsa_tg_split 0
		.amdhsa_exception_fp_ieee_invalid_op 0
		.amdhsa_exception_fp_denorm_src 0
		.amdhsa_exception_fp_ieee_div_zero 0
		.amdhsa_exception_fp_ieee_overflow 0
		.amdhsa_exception_fp_ieee_underflow 0
		.amdhsa_exception_fp_ieee_inexact 0
		.amdhsa_exception_int_div_zero 0
	.end_amdhsa_kernel
	.section	.text._ZN7rocprim17ROCPRIM_400000_NS6detail17trampoline_kernelINS0_14default_configENS1_20scan_config_selectorIyEEZZNS1_9scan_implILNS1_25lookback_scan_determinismE0ELb0ELb0ES3_N6thrust23THRUST_200600_302600_NS6detail15normal_iteratorINS9_10device_ptrIyEEEENS9_16discard_iteratorINS9_11use_defaultEEEyNS9_4plusIvEEyEEDaPvRmT3_T4_T5_mT6_P12ihipStream_tbENKUlT_T0_E_clISt17integral_constantIbLb0EESW_IbLb1EEEEDaSS_ST_EUlSS_E_NS1_11comp_targetILNS1_3genE0ELNS1_11target_archE4294967295ELNS1_3gpuE0ELNS1_3repE0EEENS1_30default_config_static_selectorELNS0_4arch9wavefront6targetE1EEEvT1_,"axG",@progbits,_ZN7rocprim17ROCPRIM_400000_NS6detail17trampoline_kernelINS0_14default_configENS1_20scan_config_selectorIyEEZZNS1_9scan_implILNS1_25lookback_scan_determinismE0ELb0ELb0ES3_N6thrust23THRUST_200600_302600_NS6detail15normal_iteratorINS9_10device_ptrIyEEEENS9_16discard_iteratorINS9_11use_defaultEEEyNS9_4plusIvEEyEEDaPvRmT3_T4_T5_mT6_P12ihipStream_tbENKUlT_T0_E_clISt17integral_constantIbLb0EESW_IbLb1EEEEDaSS_ST_EUlSS_E_NS1_11comp_targetILNS1_3genE0ELNS1_11target_archE4294967295ELNS1_3gpuE0ELNS1_3repE0EEENS1_30default_config_static_selectorELNS0_4arch9wavefront6targetE1EEEvT1_,comdat
.Lfunc_end5204:
	.size	_ZN7rocprim17ROCPRIM_400000_NS6detail17trampoline_kernelINS0_14default_configENS1_20scan_config_selectorIyEEZZNS1_9scan_implILNS1_25lookback_scan_determinismE0ELb0ELb0ES3_N6thrust23THRUST_200600_302600_NS6detail15normal_iteratorINS9_10device_ptrIyEEEENS9_16discard_iteratorINS9_11use_defaultEEEyNS9_4plusIvEEyEEDaPvRmT3_T4_T5_mT6_P12ihipStream_tbENKUlT_T0_E_clISt17integral_constantIbLb0EESW_IbLb1EEEEDaSS_ST_EUlSS_E_NS1_11comp_targetILNS1_3genE0ELNS1_11target_archE4294967295ELNS1_3gpuE0ELNS1_3repE0EEENS1_30default_config_static_selectorELNS0_4arch9wavefront6targetE1EEEvT1_, .Lfunc_end5204-_ZN7rocprim17ROCPRIM_400000_NS6detail17trampoline_kernelINS0_14default_configENS1_20scan_config_selectorIyEEZZNS1_9scan_implILNS1_25lookback_scan_determinismE0ELb0ELb0ES3_N6thrust23THRUST_200600_302600_NS6detail15normal_iteratorINS9_10device_ptrIyEEEENS9_16discard_iteratorINS9_11use_defaultEEEyNS9_4plusIvEEyEEDaPvRmT3_T4_T5_mT6_P12ihipStream_tbENKUlT_T0_E_clISt17integral_constantIbLb0EESW_IbLb1EEEEDaSS_ST_EUlSS_E_NS1_11comp_targetILNS1_3genE0ELNS1_11target_archE4294967295ELNS1_3gpuE0ELNS1_3repE0EEENS1_30default_config_static_selectorELNS0_4arch9wavefront6targetE1EEEvT1_
                                        ; -- End function
	.section	.AMDGPU.csdata,"",@progbits
; Kernel info:
; codeLenInByte = 0
; NumSgprs: 4
; NumVgprs: 0
; NumAgprs: 0
; TotalNumVgprs: 0
; ScratchSize: 0
; MemoryBound: 0
; FloatMode: 240
; IeeeMode: 1
; LDSByteSize: 0 bytes/workgroup (compile time only)
; SGPRBlocks: 0
; VGPRBlocks: 0
; NumSGPRsForWavesPerEU: 4
; NumVGPRsForWavesPerEU: 1
; AccumOffset: 4
; Occupancy: 8
; WaveLimiterHint : 0
; COMPUTE_PGM_RSRC2:SCRATCH_EN: 0
; COMPUTE_PGM_RSRC2:USER_SGPR: 6
; COMPUTE_PGM_RSRC2:TRAP_HANDLER: 0
; COMPUTE_PGM_RSRC2:TGID_X_EN: 1
; COMPUTE_PGM_RSRC2:TGID_Y_EN: 0
; COMPUTE_PGM_RSRC2:TGID_Z_EN: 0
; COMPUTE_PGM_RSRC2:TIDIG_COMP_CNT: 0
; COMPUTE_PGM_RSRC3_GFX90A:ACCUM_OFFSET: 0
; COMPUTE_PGM_RSRC3_GFX90A:TG_SPLIT: 0
	.section	.text._ZN7rocprim17ROCPRIM_400000_NS6detail17trampoline_kernelINS0_14default_configENS1_20scan_config_selectorIyEEZZNS1_9scan_implILNS1_25lookback_scan_determinismE0ELb0ELb0ES3_N6thrust23THRUST_200600_302600_NS6detail15normal_iteratorINS9_10device_ptrIyEEEENS9_16discard_iteratorINS9_11use_defaultEEEyNS9_4plusIvEEyEEDaPvRmT3_T4_T5_mT6_P12ihipStream_tbENKUlT_T0_E_clISt17integral_constantIbLb0EESW_IbLb1EEEEDaSS_ST_EUlSS_E_NS1_11comp_targetILNS1_3genE5ELNS1_11target_archE942ELNS1_3gpuE9ELNS1_3repE0EEENS1_30default_config_static_selectorELNS0_4arch9wavefront6targetE1EEEvT1_,"axG",@progbits,_ZN7rocprim17ROCPRIM_400000_NS6detail17trampoline_kernelINS0_14default_configENS1_20scan_config_selectorIyEEZZNS1_9scan_implILNS1_25lookback_scan_determinismE0ELb0ELb0ES3_N6thrust23THRUST_200600_302600_NS6detail15normal_iteratorINS9_10device_ptrIyEEEENS9_16discard_iteratorINS9_11use_defaultEEEyNS9_4plusIvEEyEEDaPvRmT3_T4_T5_mT6_P12ihipStream_tbENKUlT_T0_E_clISt17integral_constantIbLb0EESW_IbLb1EEEEDaSS_ST_EUlSS_E_NS1_11comp_targetILNS1_3genE5ELNS1_11target_archE942ELNS1_3gpuE9ELNS1_3repE0EEENS1_30default_config_static_selectorELNS0_4arch9wavefront6targetE1EEEvT1_,comdat
	.protected	_ZN7rocprim17ROCPRIM_400000_NS6detail17trampoline_kernelINS0_14default_configENS1_20scan_config_selectorIyEEZZNS1_9scan_implILNS1_25lookback_scan_determinismE0ELb0ELb0ES3_N6thrust23THRUST_200600_302600_NS6detail15normal_iteratorINS9_10device_ptrIyEEEENS9_16discard_iteratorINS9_11use_defaultEEEyNS9_4plusIvEEyEEDaPvRmT3_T4_T5_mT6_P12ihipStream_tbENKUlT_T0_E_clISt17integral_constantIbLb0EESW_IbLb1EEEEDaSS_ST_EUlSS_E_NS1_11comp_targetILNS1_3genE5ELNS1_11target_archE942ELNS1_3gpuE9ELNS1_3repE0EEENS1_30default_config_static_selectorELNS0_4arch9wavefront6targetE1EEEvT1_ ; -- Begin function _ZN7rocprim17ROCPRIM_400000_NS6detail17trampoline_kernelINS0_14default_configENS1_20scan_config_selectorIyEEZZNS1_9scan_implILNS1_25lookback_scan_determinismE0ELb0ELb0ES3_N6thrust23THRUST_200600_302600_NS6detail15normal_iteratorINS9_10device_ptrIyEEEENS9_16discard_iteratorINS9_11use_defaultEEEyNS9_4plusIvEEyEEDaPvRmT3_T4_T5_mT6_P12ihipStream_tbENKUlT_T0_E_clISt17integral_constantIbLb0EESW_IbLb1EEEEDaSS_ST_EUlSS_E_NS1_11comp_targetILNS1_3genE5ELNS1_11target_archE942ELNS1_3gpuE9ELNS1_3repE0EEENS1_30default_config_static_selectorELNS0_4arch9wavefront6targetE1EEEvT1_
	.globl	_ZN7rocprim17ROCPRIM_400000_NS6detail17trampoline_kernelINS0_14default_configENS1_20scan_config_selectorIyEEZZNS1_9scan_implILNS1_25lookback_scan_determinismE0ELb0ELb0ES3_N6thrust23THRUST_200600_302600_NS6detail15normal_iteratorINS9_10device_ptrIyEEEENS9_16discard_iteratorINS9_11use_defaultEEEyNS9_4plusIvEEyEEDaPvRmT3_T4_T5_mT6_P12ihipStream_tbENKUlT_T0_E_clISt17integral_constantIbLb0EESW_IbLb1EEEEDaSS_ST_EUlSS_E_NS1_11comp_targetILNS1_3genE5ELNS1_11target_archE942ELNS1_3gpuE9ELNS1_3repE0EEENS1_30default_config_static_selectorELNS0_4arch9wavefront6targetE1EEEvT1_
	.p2align	8
	.type	_ZN7rocprim17ROCPRIM_400000_NS6detail17trampoline_kernelINS0_14default_configENS1_20scan_config_selectorIyEEZZNS1_9scan_implILNS1_25lookback_scan_determinismE0ELb0ELb0ES3_N6thrust23THRUST_200600_302600_NS6detail15normal_iteratorINS9_10device_ptrIyEEEENS9_16discard_iteratorINS9_11use_defaultEEEyNS9_4plusIvEEyEEDaPvRmT3_T4_T5_mT6_P12ihipStream_tbENKUlT_T0_E_clISt17integral_constantIbLb0EESW_IbLb1EEEEDaSS_ST_EUlSS_E_NS1_11comp_targetILNS1_3genE5ELNS1_11target_archE942ELNS1_3gpuE9ELNS1_3repE0EEENS1_30default_config_static_selectorELNS0_4arch9wavefront6targetE1EEEvT1_,@function
_ZN7rocprim17ROCPRIM_400000_NS6detail17trampoline_kernelINS0_14default_configENS1_20scan_config_selectorIyEEZZNS1_9scan_implILNS1_25lookback_scan_determinismE0ELb0ELb0ES3_N6thrust23THRUST_200600_302600_NS6detail15normal_iteratorINS9_10device_ptrIyEEEENS9_16discard_iteratorINS9_11use_defaultEEEyNS9_4plusIvEEyEEDaPvRmT3_T4_T5_mT6_P12ihipStream_tbENKUlT_T0_E_clISt17integral_constantIbLb0EESW_IbLb1EEEEDaSS_ST_EUlSS_E_NS1_11comp_targetILNS1_3genE5ELNS1_11target_archE942ELNS1_3gpuE9ELNS1_3repE0EEENS1_30default_config_static_selectorELNS0_4arch9wavefront6targetE1EEEvT1_: ; @_ZN7rocprim17ROCPRIM_400000_NS6detail17trampoline_kernelINS0_14default_configENS1_20scan_config_selectorIyEEZZNS1_9scan_implILNS1_25lookback_scan_determinismE0ELb0ELb0ES3_N6thrust23THRUST_200600_302600_NS6detail15normal_iteratorINS9_10device_ptrIyEEEENS9_16discard_iteratorINS9_11use_defaultEEEyNS9_4plusIvEEyEEDaPvRmT3_T4_T5_mT6_P12ihipStream_tbENKUlT_T0_E_clISt17integral_constantIbLb0EESW_IbLb1EEEEDaSS_ST_EUlSS_E_NS1_11comp_targetILNS1_3genE5ELNS1_11target_archE942ELNS1_3gpuE9ELNS1_3repE0EEENS1_30default_config_static_selectorELNS0_4arch9wavefront6targetE1EEEvT1_
; %bb.0:
	.section	.rodata,"a",@progbits
	.p2align	6, 0x0
	.amdhsa_kernel _ZN7rocprim17ROCPRIM_400000_NS6detail17trampoline_kernelINS0_14default_configENS1_20scan_config_selectorIyEEZZNS1_9scan_implILNS1_25lookback_scan_determinismE0ELb0ELb0ES3_N6thrust23THRUST_200600_302600_NS6detail15normal_iteratorINS9_10device_ptrIyEEEENS9_16discard_iteratorINS9_11use_defaultEEEyNS9_4plusIvEEyEEDaPvRmT3_T4_T5_mT6_P12ihipStream_tbENKUlT_T0_E_clISt17integral_constantIbLb0EESW_IbLb1EEEEDaSS_ST_EUlSS_E_NS1_11comp_targetILNS1_3genE5ELNS1_11target_archE942ELNS1_3gpuE9ELNS1_3repE0EEENS1_30default_config_static_selectorELNS0_4arch9wavefront6targetE1EEEvT1_
		.amdhsa_group_segment_fixed_size 0
		.amdhsa_private_segment_fixed_size 0
		.amdhsa_kernarg_size 112
		.amdhsa_user_sgpr_count 6
		.amdhsa_user_sgpr_private_segment_buffer 1
		.amdhsa_user_sgpr_dispatch_ptr 0
		.amdhsa_user_sgpr_queue_ptr 0
		.amdhsa_user_sgpr_kernarg_segment_ptr 1
		.amdhsa_user_sgpr_dispatch_id 0
		.amdhsa_user_sgpr_flat_scratch_init 0
		.amdhsa_user_sgpr_kernarg_preload_length 0
		.amdhsa_user_sgpr_kernarg_preload_offset 0
		.amdhsa_user_sgpr_private_segment_size 0
		.amdhsa_uses_dynamic_stack 0
		.amdhsa_system_sgpr_private_segment_wavefront_offset 0
		.amdhsa_system_sgpr_workgroup_id_x 1
		.amdhsa_system_sgpr_workgroup_id_y 0
		.amdhsa_system_sgpr_workgroup_id_z 0
		.amdhsa_system_sgpr_workgroup_info 0
		.amdhsa_system_vgpr_workitem_id 0
		.amdhsa_next_free_vgpr 1
		.amdhsa_next_free_sgpr 0
		.amdhsa_accum_offset 4
		.amdhsa_reserve_vcc 0
		.amdhsa_reserve_flat_scratch 0
		.amdhsa_float_round_mode_32 0
		.amdhsa_float_round_mode_16_64 0
		.amdhsa_float_denorm_mode_32 3
		.amdhsa_float_denorm_mode_16_64 3
		.amdhsa_dx10_clamp 1
		.amdhsa_ieee_mode 1
		.amdhsa_fp16_overflow 0
		.amdhsa_tg_split 0
		.amdhsa_exception_fp_ieee_invalid_op 0
		.amdhsa_exception_fp_denorm_src 0
		.amdhsa_exception_fp_ieee_div_zero 0
		.amdhsa_exception_fp_ieee_overflow 0
		.amdhsa_exception_fp_ieee_underflow 0
		.amdhsa_exception_fp_ieee_inexact 0
		.amdhsa_exception_int_div_zero 0
	.end_amdhsa_kernel
	.section	.text._ZN7rocprim17ROCPRIM_400000_NS6detail17trampoline_kernelINS0_14default_configENS1_20scan_config_selectorIyEEZZNS1_9scan_implILNS1_25lookback_scan_determinismE0ELb0ELb0ES3_N6thrust23THRUST_200600_302600_NS6detail15normal_iteratorINS9_10device_ptrIyEEEENS9_16discard_iteratorINS9_11use_defaultEEEyNS9_4plusIvEEyEEDaPvRmT3_T4_T5_mT6_P12ihipStream_tbENKUlT_T0_E_clISt17integral_constantIbLb0EESW_IbLb1EEEEDaSS_ST_EUlSS_E_NS1_11comp_targetILNS1_3genE5ELNS1_11target_archE942ELNS1_3gpuE9ELNS1_3repE0EEENS1_30default_config_static_selectorELNS0_4arch9wavefront6targetE1EEEvT1_,"axG",@progbits,_ZN7rocprim17ROCPRIM_400000_NS6detail17trampoline_kernelINS0_14default_configENS1_20scan_config_selectorIyEEZZNS1_9scan_implILNS1_25lookback_scan_determinismE0ELb0ELb0ES3_N6thrust23THRUST_200600_302600_NS6detail15normal_iteratorINS9_10device_ptrIyEEEENS9_16discard_iteratorINS9_11use_defaultEEEyNS9_4plusIvEEyEEDaPvRmT3_T4_T5_mT6_P12ihipStream_tbENKUlT_T0_E_clISt17integral_constantIbLb0EESW_IbLb1EEEEDaSS_ST_EUlSS_E_NS1_11comp_targetILNS1_3genE5ELNS1_11target_archE942ELNS1_3gpuE9ELNS1_3repE0EEENS1_30default_config_static_selectorELNS0_4arch9wavefront6targetE1EEEvT1_,comdat
.Lfunc_end5205:
	.size	_ZN7rocprim17ROCPRIM_400000_NS6detail17trampoline_kernelINS0_14default_configENS1_20scan_config_selectorIyEEZZNS1_9scan_implILNS1_25lookback_scan_determinismE0ELb0ELb0ES3_N6thrust23THRUST_200600_302600_NS6detail15normal_iteratorINS9_10device_ptrIyEEEENS9_16discard_iteratorINS9_11use_defaultEEEyNS9_4plusIvEEyEEDaPvRmT3_T4_T5_mT6_P12ihipStream_tbENKUlT_T0_E_clISt17integral_constantIbLb0EESW_IbLb1EEEEDaSS_ST_EUlSS_E_NS1_11comp_targetILNS1_3genE5ELNS1_11target_archE942ELNS1_3gpuE9ELNS1_3repE0EEENS1_30default_config_static_selectorELNS0_4arch9wavefront6targetE1EEEvT1_, .Lfunc_end5205-_ZN7rocprim17ROCPRIM_400000_NS6detail17trampoline_kernelINS0_14default_configENS1_20scan_config_selectorIyEEZZNS1_9scan_implILNS1_25lookback_scan_determinismE0ELb0ELb0ES3_N6thrust23THRUST_200600_302600_NS6detail15normal_iteratorINS9_10device_ptrIyEEEENS9_16discard_iteratorINS9_11use_defaultEEEyNS9_4plusIvEEyEEDaPvRmT3_T4_T5_mT6_P12ihipStream_tbENKUlT_T0_E_clISt17integral_constantIbLb0EESW_IbLb1EEEEDaSS_ST_EUlSS_E_NS1_11comp_targetILNS1_3genE5ELNS1_11target_archE942ELNS1_3gpuE9ELNS1_3repE0EEENS1_30default_config_static_selectorELNS0_4arch9wavefront6targetE1EEEvT1_
                                        ; -- End function
	.section	.AMDGPU.csdata,"",@progbits
; Kernel info:
; codeLenInByte = 0
; NumSgprs: 4
; NumVgprs: 0
; NumAgprs: 0
; TotalNumVgprs: 0
; ScratchSize: 0
; MemoryBound: 0
; FloatMode: 240
; IeeeMode: 1
; LDSByteSize: 0 bytes/workgroup (compile time only)
; SGPRBlocks: 0
; VGPRBlocks: 0
; NumSGPRsForWavesPerEU: 4
; NumVGPRsForWavesPerEU: 1
; AccumOffset: 4
; Occupancy: 8
; WaveLimiterHint : 0
; COMPUTE_PGM_RSRC2:SCRATCH_EN: 0
; COMPUTE_PGM_RSRC2:USER_SGPR: 6
; COMPUTE_PGM_RSRC2:TRAP_HANDLER: 0
; COMPUTE_PGM_RSRC2:TGID_X_EN: 1
; COMPUTE_PGM_RSRC2:TGID_Y_EN: 0
; COMPUTE_PGM_RSRC2:TGID_Z_EN: 0
; COMPUTE_PGM_RSRC2:TIDIG_COMP_CNT: 0
; COMPUTE_PGM_RSRC3_GFX90A:ACCUM_OFFSET: 0
; COMPUTE_PGM_RSRC3_GFX90A:TG_SPLIT: 0
	.section	.text._ZN7rocprim17ROCPRIM_400000_NS6detail17trampoline_kernelINS0_14default_configENS1_20scan_config_selectorIyEEZZNS1_9scan_implILNS1_25lookback_scan_determinismE0ELb0ELb0ES3_N6thrust23THRUST_200600_302600_NS6detail15normal_iteratorINS9_10device_ptrIyEEEENS9_16discard_iteratorINS9_11use_defaultEEEyNS9_4plusIvEEyEEDaPvRmT3_T4_T5_mT6_P12ihipStream_tbENKUlT_T0_E_clISt17integral_constantIbLb0EESW_IbLb1EEEEDaSS_ST_EUlSS_E_NS1_11comp_targetILNS1_3genE4ELNS1_11target_archE910ELNS1_3gpuE8ELNS1_3repE0EEENS1_30default_config_static_selectorELNS0_4arch9wavefront6targetE1EEEvT1_,"axG",@progbits,_ZN7rocprim17ROCPRIM_400000_NS6detail17trampoline_kernelINS0_14default_configENS1_20scan_config_selectorIyEEZZNS1_9scan_implILNS1_25lookback_scan_determinismE0ELb0ELb0ES3_N6thrust23THRUST_200600_302600_NS6detail15normal_iteratorINS9_10device_ptrIyEEEENS9_16discard_iteratorINS9_11use_defaultEEEyNS9_4plusIvEEyEEDaPvRmT3_T4_T5_mT6_P12ihipStream_tbENKUlT_T0_E_clISt17integral_constantIbLb0EESW_IbLb1EEEEDaSS_ST_EUlSS_E_NS1_11comp_targetILNS1_3genE4ELNS1_11target_archE910ELNS1_3gpuE8ELNS1_3repE0EEENS1_30default_config_static_selectorELNS0_4arch9wavefront6targetE1EEEvT1_,comdat
	.protected	_ZN7rocprim17ROCPRIM_400000_NS6detail17trampoline_kernelINS0_14default_configENS1_20scan_config_selectorIyEEZZNS1_9scan_implILNS1_25lookback_scan_determinismE0ELb0ELb0ES3_N6thrust23THRUST_200600_302600_NS6detail15normal_iteratorINS9_10device_ptrIyEEEENS9_16discard_iteratorINS9_11use_defaultEEEyNS9_4plusIvEEyEEDaPvRmT3_T4_T5_mT6_P12ihipStream_tbENKUlT_T0_E_clISt17integral_constantIbLb0EESW_IbLb1EEEEDaSS_ST_EUlSS_E_NS1_11comp_targetILNS1_3genE4ELNS1_11target_archE910ELNS1_3gpuE8ELNS1_3repE0EEENS1_30default_config_static_selectorELNS0_4arch9wavefront6targetE1EEEvT1_ ; -- Begin function _ZN7rocprim17ROCPRIM_400000_NS6detail17trampoline_kernelINS0_14default_configENS1_20scan_config_selectorIyEEZZNS1_9scan_implILNS1_25lookback_scan_determinismE0ELb0ELb0ES3_N6thrust23THRUST_200600_302600_NS6detail15normal_iteratorINS9_10device_ptrIyEEEENS9_16discard_iteratorINS9_11use_defaultEEEyNS9_4plusIvEEyEEDaPvRmT3_T4_T5_mT6_P12ihipStream_tbENKUlT_T0_E_clISt17integral_constantIbLb0EESW_IbLb1EEEEDaSS_ST_EUlSS_E_NS1_11comp_targetILNS1_3genE4ELNS1_11target_archE910ELNS1_3gpuE8ELNS1_3repE0EEENS1_30default_config_static_selectorELNS0_4arch9wavefront6targetE1EEEvT1_
	.globl	_ZN7rocprim17ROCPRIM_400000_NS6detail17trampoline_kernelINS0_14default_configENS1_20scan_config_selectorIyEEZZNS1_9scan_implILNS1_25lookback_scan_determinismE0ELb0ELb0ES3_N6thrust23THRUST_200600_302600_NS6detail15normal_iteratorINS9_10device_ptrIyEEEENS9_16discard_iteratorINS9_11use_defaultEEEyNS9_4plusIvEEyEEDaPvRmT3_T4_T5_mT6_P12ihipStream_tbENKUlT_T0_E_clISt17integral_constantIbLb0EESW_IbLb1EEEEDaSS_ST_EUlSS_E_NS1_11comp_targetILNS1_3genE4ELNS1_11target_archE910ELNS1_3gpuE8ELNS1_3repE0EEENS1_30default_config_static_selectorELNS0_4arch9wavefront6targetE1EEEvT1_
	.p2align	8
	.type	_ZN7rocprim17ROCPRIM_400000_NS6detail17trampoline_kernelINS0_14default_configENS1_20scan_config_selectorIyEEZZNS1_9scan_implILNS1_25lookback_scan_determinismE0ELb0ELb0ES3_N6thrust23THRUST_200600_302600_NS6detail15normal_iteratorINS9_10device_ptrIyEEEENS9_16discard_iteratorINS9_11use_defaultEEEyNS9_4plusIvEEyEEDaPvRmT3_T4_T5_mT6_P12ihipStream_tbENKUlT_T0_E_clISt17integral_constantIbLb0EESW_IbLb1EEEEDaSS_ST_EUlSS_E_NS1_11comp_targetILNS1_3genE4ELNS1_11target_archE910ELNS1_3gpuE8ELNS1_3repE0EEENS1_30default_config_static_selectorELNS0_4arch9wavefront6targetE1EEEvT1_,@function
_ZN7rocprim17ROCPRIM_400000_NS6detail17trampoline_kernelINS0_14default_configENS1_20scan_config_selectorIyEEZZNS1_9scan_implILNS1_25lookback_scan_determinismE0ELb0ELb0ES3_N6thrust23THRUST_200600_302600_NS6detail15normal_iteratorINS9_10device_ptrIyEEEENS9_16discard_iteratorINS9_11use_defaultEEEyNS9_4plusIvEEyEEDaPvRmT3_T4_T5_mT6_P12ihipStream_tbENKUlT_T0_E_clISt17integral_constantIbLb0EESW_IbLb1EEEEDaSS_ST_EUlSS_E_NS1_11comp_targetILNS1_3genE4ELNS1_11target_archE910ELNS1_3gpuE8ELNS1_3repE0EEENS1_30default_config_static_selectorELNS0_4arch9wavefront6targetE1EEEvT1_: ; @_ZN7rocprim17ROCPRIM_400000_NS6detail17trampoline_kernelINS0_14default_configENS1_20scan_config_selectorIyEEZZNS1_9scan_implILNS1_25lookback_scan_determinismE0ELb0ELb0ES3_N6thrust23THRUST_200600_302600_NS6detail15normal_iteratorINS9_10device_ptrIyEEEENS9_16discard_iteratorINS9_11use_defaultEEEyNS9_4plusIvEEyEEDaPvRmT3_T4_T5_mT6_P12ihipStream_tbENKUlT_T0_E_clISt17integral_constantIbLb0EESW_IbLb1EEEEDaSS_ST_EUlSS_E_NS1_11comp_targetILNS1_3genE4ELNS1_11target_archE910ELNS1_3gpuE8ELNS1_3repE0EEENS1_30default_config_static_selectorELNS0_4arch9wavefront6targetE1EEEvT1_
; %bb.0:
	s_load_dwordx2 s[6:7], s[4:5], 0x20
	s_load_dwordx2 s[20:21], s[4:5], 0x38
	v_cmp_ne_u32_e64 s[0:1], 0, v0
	v_cmp_eq_u32_e64 s[2:3], 0, v0
	s_and_saveexec_b64 s[8:9], s[2:3]
	s_cbranch_execz .LBB5206_4
; %bb.1:
	s_mov_b64 s[12:13], exec
	v_mbcnt_lo_u32_b32 v1, s12, 0
	v_mbcnt_hi_u32_b32 v1, s13, v1
	v_cmp_eq_u32_e32 vcc, 0, v1
                                        ; implicit-def: $vgpr2
	s_and_saveexec_b64 s[10:11], vcc
	s_cbranch_execz .LBB5206_3
; %bb.2:
	s_load_dwordx2 s[14:15], s[4:5], 0x68
	s_bcnt1_i32_b64 s12, s[12:13]
	v_mov_b32_e32 v2, 0
	v_mov_b32_e32 v3, s12
	s_waitcnt lgkmcnt(0)
	global_atomic_add v2, v2, v3, s[14:15] glc
.LBB5206_3:
	s_or_b64 exec, exec, s[10:11]
	s_waitcnt vmcnt(0)
	v_readfirstlane_b32 s10, v2
	v_add_u32_e32 v1, s10, v1
	v_mov_b32_e32 v2, 0
	ds_write_b32 v2, v1
.LBB5206_4:
	s_or_b64 exec, exec, s[8:9]
	v_mov_b32_e32 v3, 0
	s_load_dwordx4 s[8:11], s[4:5], 0x0
	s_load_dword s22, s[4:5], 0x40
	s_load_dwordx8 s[12:19], s[4:5], 0x48
	s_waitcnt lgkmcnt(0)
	s_barrier
	ds_read_b32 v1, v3
	s_lshl_b64 s[4:5], s[10:11], 3
	s_add_u32 s4, s8, s4
	s_movk_i32 s8, 0x380
	s_addc_u32 s5, s9, s5
	s_waitcnt lgkmcnt(0)
	v_mul_lo_u32 v2, v1, s8
	s_add_i32 s8, s22, -1
	s_mul_i32 s9, s8, 0x380
	s_sub_u32 s24, s6, s9
	v_readfirstlane_b32 s26, v1
	s_subb_u32 s25, s7, 0
	v_lshlrev_b64 v[2:3], 3, v[2:3]
	s_cmp_lg_u32 s26, s8
	v_mov_b32_e32 v1, s5
	v_add_co_u32_e32 v20, vcc, s4, v2
	s_cselect_b64 s[10:11], -1, 0
	v_addc_co_u32_e32 v21, vcc, v1, v3, vcc
	s_mov_b64 s[4:5], -1
	s_and_b64 vcc, exec, s[10:11]
	v_lshlrev_b32_e32 v1, 3, v0
	s_barrier
	s_cbranch_vccz .LBB5206_6
; %bb.5:
	v_add_co_u32_e32 v2, vcc, v20, v1
	v_addc_co_u32_e32 v3, vcc, 0, v21, vcc
	flat_load_dwordx2 v[4:5], v[2:3]
	flat_load_dwordx2 v[6:7], v[2:3] offset:1024
	flat_load_dwordx2 v[8:9], v[2:3] offset:2048
	;; [unrolled: 1-line block ×3, first 2 shown]
	v_add_co_u32_e32 v2, vcc, 0x1000, v2
	v_addc_co_u32_e32 v3, vcc, 0, v3, vcc
	flat_load_dwordx2 v[12:13], v[2:3]
	flat_load_dwordx2 v[14:15], v[2:3] offset:1024
	flat_load_dwordx2 v[16:17], v[2:3] offset:2048
	s_mov_b64 s[4:5], 0
	s_waitcnt vmcnt(0) lgkmcnt(0)
	ds_write2st64_b64 v1, v[4:5], v[6:7] offset1:2
	ds_write2st64_b64 v1, v[8:9], v[10:11] offset0:4 offset1:6
	ds_write2st64_b64 v1, v[12:13], v[14:15] offset0:8 offset1:10
	ds_write_b64 v1, v[16:17] offset:6144
	s_waitcnt lgkmcnt(0)
	s_barrier
.LBB5206_6:
	s_andn2_b64 vcc, exec, s[4:5]
	s_cbranch_vccnz .LBB5206_22
; %bb.7:
	flat_load_dwordx2 v[2:3], v[20:21]
	v_cmp_gt_u32_e32 vcc, s24, v0
	s_waitcnt vmcnt(0) lgkmcnt(0)
	v_mov_b32_e32 v4, v2
	v_mov_b32_e32 v5, v3
	v_mov_b32_e32 v6, v2
	v_mov_b32_e32 v7, v3
	v_mov_b32_e32 v8, v2
	v_mov_b32_e32 v9, v3
	v_mov_b32_e32 v10, v2
	v_mov_b32_e32 v11, v3
	v_mov_b32_e32 v12, v2
	v_mov_b32_e32 v13, v3
	v_pk_mov_b32 v[18:19], v[14:15], v[14:15] op_sel:[0,1]
	v_pk_mov_b32 v[16:17], v[12:13], v[12:13] op_sel:[0,1]
	;; [unrolled: 1-line block ×8, first 2 shown]
	s_and_saveexec_b64 s[4:5], vcc
	s_cbranch_execz .LBB5206_9
; %bb.8:
	v_add_co_u32_e32 v4, vcc, v20, v1
	v_addc_co_u32_e32 v5, vcc, 0, v21, vcc
	flat_load_dwordx2 v[22:23], v[4:5]
	v_mov_b32_e32 v4, v2
	v_mov_b32_e32 v5, v3
	;; [unrolled: 1-line block ×10, first 2 shown]
	v_pk_mov_b32 v[18:19], v[14:15], v[14:15] op_sel:[0,1]
	v_pk_mov_b32 v[16:17], v[12:13], v[12:13] op_sel:[0,1]
	;; [unrolled: 1-line block ×8, first 2 shown]
	s_waitcnt vmcnt(0) lgkmcnt(0)
	v_pk_mov_b32 v[2:3], v[22:23], v[22:23] op_sel:[0,1]
.LBB5206_9:
	s_or_b64 exec, exec, s[4:5]
	v_or_b32_e32 v4, 0x80, v0
	v_cmp_gt_u32_e32 vcc, s24, v4
	s_and_saveexec_b64 s[4:5], vcc
	s_cbranch_execz .LBB5206_11
; %bb.10:
	v_add_co_u32_e32 v4, vcc, v20, v1
	v_addc_co_u32_e32 v5, vcc, 0, v21, vcc
	flat_load_dwordx2 v[6:7], v[4:5] offset:1024
.LBB5206_11:
	s_or_b64 exec, exec, s[4:5]
	v_or_b32_e32 v4, 0x100, v0
	v_cmp_gt_u32_e32 vcc, s24, v4
	s_and_saveexec_b64 s[4:5], vcc
	s_cbranch_execz .LBB5206_13
; %bb.12:
	v_add_co_u32_e32 v4, vcc, v20, v1
	v_addc_co_u32_e32 v5, vcc, 0, v21, vcc
	flat_load_dwordx2 v[8:9], v[4:5] offset:2048
.LBB5206_13:
	;; [unrolled: 10-line block ×3, first 2 shown]
	s_or_b64 exec, exec, s[4:5]
	v_or_b32_e32 v4, 0x200, v0
	v_cmp_gt_u32_e32 vcc, s24, v4
	s_and_saveexec_b64 s[4:5], vcc
	s_cbranch_execz .LBB5206_17
; %bb.16:
	v_lshlrev_b32_e32 v4, 3, v4
	v_add_co_u32_e32 v4, vcc, v20, v4
	v_addc_co_u32_e32 v5, vcc, 0, v21, vcc
	flat_load_dwordx2 v[12:13], v[4:5]
.LBB5206_17:
	s_or_b64 exec, exec, s[4:5]
	v_or_b32_e32 v4, 0x280, v0
	v_cmp_gt_u32_e32 vcc, s24, v4
	s_and_saveexec_b64 s[4:5], vcc
	s_cbranch_execz .LBB5206_19
; %bb.18:
	v_lshlrev_b32_e32 v4, 3, v4
	v_add_co_u32_e32 v4, vcc, v20, v4
	v_addc_co_u32_e32 v5, vcc, 0, v21, vcc
	flat_load_dwordx2 v[14:15], v[4:5]
.LBB5206_19:
	;; [unrolled: 11-line block ×3, first 2 shown]
	s_or_b64 exec, exec, s[4:5]
	s_waitcnt vmcnt(0) lgkmcnt(0)
	ds_write2st64_b64 v1, v[2:3], v[6:7] offset1:2
	ds_write2st64_b64 v1, v[8:9], v[10:11] offset0:4 offset1:6
	ds_write2st64_b64 v1, v[12:13], v[14:15] offset0:8 offset1:10
	ds_write_b64 v1, v[16:17] offset:6144
	s_waitcnt lgkmcnt(0)
	s_barrier
.LBB5206_22:
	v_mul_u32_u24_e32 v36, 7, v0
	v_lshlrev_b32_e32 v1, 3, v36
	ds_read2_b64 v[2:5], v1 offset1:1
	ds_read2_b64 v[10:13], v1 offset0:2 offset1:3
	ds_read2_b64 v[6:9], v1 offset0:4 offset1:5
	ds_read_b64 v[28:29], v1 offset:48
	s_cmp_lg_u32 s26, 0
	v_lshrrev_b32_e32 v37, 5, v0
	v_cmp_gt_u32_e32 vcc, 64, v0
	s_waitcnt lgkmcnt(0)
	s_barrier
	s_cbranch_scc0 .LBB5206_49
; %bb.23:
	v_add_co_u32_e64 v1, s[4:5], v4, v2
	v_addc_co_u32_e64 v14, s[4:5], v5, v3, s[4:5]
	v_add_co_u32_e64 v1, s[4:5], v1, v10
	v_addc_co_u32_e64 v14, s[4:5], v14, v11, s[4:5]
	v_add_co_u32_e64 v1, s[4:5], v1, v12
	v_addc_co_u32_e64 v14, s[4:5], v14, v13, s[4:5]
	v_add_co_u32_e64 v1, s[4:5], v1, v6
	v_addc_co_u32_e64 v14, s[4:5], v14, v7, s[4:5]
	v_add_co_u32_e64 v1, s[4:5], v1, v8
	v_addc_co_u32_e64 v14, s[4:5], v14, v9, s[4:5]
	v_add_co_u32_e64 v18, s[4:5], v1, v28
	v_addc_co_u32_e64 v19, s[4:5], v14, v29, s[4:5]
	v_add_lshl_u32 v1, v37, v0, 3
	ds_write_b64 v1, v[18:19]
	s_waitcnt lgkmcnt(0)
	s_barrier
	s_and_saveexec_b64 s[8:9], vcc
	s_cbranch_execz .LBB5206_27
; %bb.24:
	v_lshlrev_b32_e32 v1, 1, v0
	v_lshrrev_b32_e32 v14, 4, v0
	v_add_lshl_u32 v20, v14, v1, 3
	ds_read2_b64 v[14:17], v20 offset1:1
	v_mbcnt_lo_u32_b32 v1, -1, 0
	s_waitcnt lgkmcnt(0)
	v_add_co_u32_e64 v21, s[4:5], v16, v14
	v_addc_co_u32_e64 v22, s[4:5], v17, v15, s[4:5]
	s_nop 0
	v_mov_b32_dpp v16, v21 row_shr:1 row_mask:0xf bank_mask:0xf
	v_add_co_u32_e64 v16, s[4:5], v21, v16
	v_addc_co_u32_e64 v24, s[4:5], 0, v22, s[4:5]
	v_mbcnt_hi_u32_b32 v17, -1, v1
	v_mov_b32_dpp v23, v22 row_shr:1 row_mask:0xf bank_mask:0xf
	v_add_co_u32_e64 v25, s[4:5], 0, v16
	v_and_b32_e32 v1, 15, v17
	v_addc_co_u32_e64 v23, s[4:5], v23, v24, s[4:5]
	v_cmp_eq_u32_e64 s[4:5], 0, v1
	v_cndmask_b32_e64 v16, v16, v21, s[4:5]
	v_cndmask_b32_e64 v23, v23, v22, s[4:5]
	v_cndmask_b32_e64 v24, v25, v21, s[4:5]
	v_mov_b32_dpp v25, v16 row_shr:2 row_mask:0xf bank_mask:0xf
	v_mov_b32_dpp v26, v23 row_shr:2 row_mask:0xf bank_mask:0xf
	v_add_co_u32_e64 v25, s[4:5], v25, v24
	v_addc_co_u32_e64 v26, s[4:5], v26, v23, s[4:5]
	v_cmp_lt_u32_e64 s[4:5], 1, v1
	v_cndmask_b32_e64 v16, v16, v25, s[4:5]
	v_cndmask_b32_e64 v23, v23, v26, s[4:5]
	v_cndmask_b32_e64 v24, v24, v25, s[4:5]
	v_mov_b32_dpp v25, v16 row_shr:4 row_mask:0xf bank_mask:0xf
	v_mov_b32_dpp v26, v23 row_shr:4 row_mask:0xf bank_mask:0xf
	v_add_co_u32_e64 v25, s[4:5], v25, v24
	v_addc_co_u32_e64 v26, s[4:5], v26, v23, s[4:5]
	v_cmp_lt_u32_e64 s[4:5], 3, v1
	;; [unrolled: 8-line block ×3, first 2 shown]
	v_cndmask_b32_e64 v27, v16, v25, s[4:5]
	v_cndmask_b32_e64 v1, v23, v26, s[4:5]
	;; [unrolled: 1-line block ×3, first 2 shown]
	v_mov_b32_dpp v23, v27 row_bcast:15 row_mask:0xf bank_mask:0xf
	v_mov_b32_dpp v24, v1 row_bcast:15 row_mask:0xf bank_mask:0xf
	v_add_co_u32_e64 v23, s[4:5], v23, v16
	v_and_b32_e32 v26, 16, v17
	v_addc_co_u32_e64 v25, s[4:5], v24, v1, s[4:5]
	v_cmp_eq_u32_e64 s[4:5], 0, v26
	v_cndmask_b32_e64 v26, v25, v1, s[4:5]
	v_cndmask_b32_e64 v24, v23, v27, s[4:5]
	v_cmp_ne_u32_e64 s[6:7], 0, v17
	v_mov_b32_dpp v26, v26 row_bcast:31 row_mask:0xf bank_mask:0xf
	v_mov_b32_dpp v24, v24 row_bcast:31 row_mask:0xf bank_mask:0xf
	s_and_saveexec_b64 s[22:23], s[6:7]
; %bb.25:
	v_cndmask_b32_e64 v1, v25, v1, s[4:5]
	v_cndmask_b32_e64 v16, v23, v16, s[4:5]
	v_cmp_lt_u32_e64 s[4:5], 31, v17
	v_cndmask_b32_e64 v21, 0, v24, s[4:5]
	v_cndmask_b32_e64 v22, 0, v26, s[4:5]
	v_add_co_u32_e64 v21, s[4:5], v21, v16
	v_addc_co_u32_e64 v22, s[4:5], v22, v1, s[4:5]
; %bb.26:
	s_or_b64 exec, exec, s[22:23]
	v_add_u32_e32 v1, -1, v17
	v_and_b32_e32 v16, 64, v17
	v_cmp_lt_i32_e64 s[4:5], v1, v16
	v_cndmask_b32_e64 v1, v1, v17, s[4:5]
	v_lshlrev_b32_e32 v1, 2, v1
	ds_bpermute_b32 v16, v1, v21
	ds_bpermute_b32 v1, v1, v22
	; wave barrier
	s_waitcnt lgkmcnt(1)
	v_add_co_u32_e64 v14, s[4:5], v14, v16
	v_addc_co_u32_e64 v15, s[4:5], 0, v15, s[4:5]
	v_add_co_u32_e64 v14, s[4:5], 0, v14
	s_waitcnt lgkmcnt(0)
	v_addc_co_u32_e64 v1, s[4:5], v15, v1, s[4:5]
	v_cndmask_b32_e64 v15, v1, v19, s[2:3]
	v_cndmask_b32_e64 v14, v14, v18, s[2:3]
	ds_write_b64 v20, v[14:15]
	; wave barrier
	ds_read_b64 v[16:17], v20 offset:8
	s_waitcnt lgkmcnt(0)
	v_add_co_u32_e64 v14, s[4:5], v16, v14
	v_addc_co_u32_e64 v15, s[4:5], v17, v15, s[4:5]
	ds_write_b64 v20, v[14:15] offset:8
.LBB5206_27:
	s_or_b64 exec, exec, s[8:9]
	v_pk_mov_b32 v[22:23], 0, 0
	s_waitcnt lgkmcnt(0)
	s_barrier
	s_and_saveexec_b64 s[4:5], s[0:1]
	s_cbranch_execz .LBB5206_29
; %bb.28:
	v_add_u32_e32 v1, -1, v0
	v_lshrrev_b32_e32 v14, 5, v1
	v_add_lshl_u32 v1, v14, v1, 3
	ds_read_b64 v[22:23], v1
.LBB5206_29:
	s_or_b64 exec, exec, s[4:5]
	s_and_saveexec_b64 s[22:23], vcc
	s_cbranch_execz .LBB5206_48
; %bb.30:
	v_mov_b32_e32 v17, 0
	ds_read_b64 v[14:15], v17 offset:1040
	v_mbcnt_lo_u32_b32 v1, -1, 0
	v_mbcnt_hi_u32_b32 v30, -1, v1
	s_mov_b32 s9, 0
	v_cmp_eq_u32_e64 s[4:5], 0, v30
	s_and_saveexec_b64 s[6:7], s[4:5]
	s_cbranch_execz .LBB5206_32
; %bb.31:
	s_add_i32 s8, s26, 64
	s_lshl_b64 s[8:9], s[8:9], 4
	s_add_u32 s8, s20, s8
	s_addc_u32 s9, s21, s9
	v_mov_b32_e32 v16, 1
	v_pk_mov_b32 v[18:19], s[8:9], s[8:9] op_sel:[0,1]
	s_waitcnt lgkmcnt(0)
	;;#ASMSTART
	global_store_dwordx4 v[18:19], v[14:17] off	
s_waitcnt vmcnt(0)
	;;#ASMEND
.LBB5206_32:
	s_or_b64 exec, exec, s[6:7]
	v_xad_u32 v24, v30, -1, s26
	v_add_u32_e32 v16, 64, v24
	v_lshlrev_b64 v[18:19], 4, v[16:17]
	v_mov_b32_e32 v1, s21
	v_add_co_u32_e32 v26, vcc, s20, v18
	v_addc_co_u32_e32 v27, vcc, v1, v19, vcc
	;;#ASMSTART
	global_load_dwordx4 v[18:21], v[26:27] off glc	
s_waitcnt vmcnt(0)
	;;#ASMEND
	v_and_b32_e32 v1, 0xff, v19
	v_and_b32_e32 v16, 0xff00, v19
	v_or3_b32 v1, 0, v1, v16
	v_or3_b32 v16, v18, 0, 0
	v_and_b32_e32 v18, 0xff000000, v19
	v_and_b32_e32 v19, 0xff0000, v19
	v_or3_b32 v19, v1, v19, v18
	v_or3_b32 v18, v16, 0, 0
	v_cmp_eq_u16_sdwa s[8:9], v20, v17 src0_sel:BYTE_0 src1_sel:DWORD
	s_and_saveexec_b64 s[6:7], s[8:9]
	s_cbranch_execz .LBB5206_36
; %bb.33:
	s_mov_b64 s[8:9], 0
	v_mov_b32_e32 v1, 0
.LBB5206_34:                            ; =>This Inner Loop Header: Depth=1
	;;#ASMSTART
	global_load_dwordx4 v[18:21], v[26:27] off glc	
s_waitcnt vmcnt(0)
	;;#ASMEND
	v_cmp_ne_u16_sdwa s[28:29], v20, v1 src0_sel:BYTE_0 src1_sel:DWORD
	s_or_b64 s[8:9], s[28:29], s[8:9]
	s_andn2_b64 exec, exec, s[8:9]
	s_cbranch_execnz .LBB5206_34
; %bb.35:
	s_or_b64 exec, exec, s[8:9]
.LBB5206_36:
	s_or_b64 exec, exec, s[6:7]
	v_and_b32_e32 v32, 63, v30
	v_cmp_ne_u32_e32 vcc, 63, v32
	v_addc_co_u32_e32 v26, vcc, 0, v30, vcc
	v_lshlrev_b32_e32 v33, 2, v26
	ds_bpermute_b32 v26, v33, v18
	v_mov_b32_e32 v1, 2
	v_cmp_eq_u16_sdwa s[6:7], v20, v1 src0_sel:BYTE_0 src1_sel:DWORD
	v_lshlrev_b64 v[16:17], v30, -1
	ds_bpermute_b32 v27, v33, v19
	v_and_b32_e32 v21, s7, v17
	v_or_b32_e32 v21, 0x80000000, v21
	s_waitcnt lgkmcnt(1)
	v_add_co_u32_e32 v26, vcc, v18, v26
	v_and_b32_e32 v25, s6, v16
	v_ffbl_b32_e32 v21, v21
	v_addc_co_u32_e32 v31, vcc, 0, v19, vcc
	v_add_u32_e32 v21, 32, v21
	v_ffbl_b32_e32 v25, v25
	v_add_co_u32_e32 v35, vcc, 0, v26
	v_cmp_gt_u32_e64 s[6:7], 62, v32
	v_min_u32_e32 v21, v25, v21
	s_waitcnt lgkmcnt(0)
	v_addc_co_u32_e32 v27, vcc, v27, v31, vcc
	v_cndmask_b32_e64 v31, 0, 1, s[6:7]
	v_cmp_lt_u32_e32 vcc, v32, v21
	v_lshlrev_b32_e32 v31, 1, v31
	v_cndmask_b32_e32 v26, v18, v26, vcc
	v_add_lshl_u32 v34, v31, v30, 2
	v_cndmask_b32_e32 v27, v19, v27, vcc
	ds_bpermute_b32 v31, v34, v26
	ds_bpermute_b32 v38, v34, v27
	v_cndmask_b32_e32 v39, v18, v35, vcc
	v_add_u32_e32 v35, 2, v32
	v_cmp_gt_u32_e64 s[8:9], 60, v32
	s_waitcnt lgkmcnt(1)
	v_add_co_u32_e64 v31, s[6:7], v31, v39
	s_waitcnt lgkmcnt(0)
	v_addc_co_u32_e64 v38, s[6:7], v38, v27, s[6:7]
	v_cmp_gt_u32_e64 s[6:7], v35, v21
	v_cndmask_b32_e64 v27, v38, v27, s[6:7]
	v_cndmask_b32_e64 v38, 0, 1, s[8:9]
	v_lshlrev_b32_e32 v38, 2, v38
	v_cndmask_b32_e64 v26, v31, v26, s[6:7]
	v_add_lshl_u32 v38, v38, v30, 2
	ds_bpermute_b32 v40, v38, v26
	ds_bpermute_b32 v41, v38, v27
	v_cndmask_b32_e64 v31, v31, v39, s[6:7]
	v_add_u32_e32 v39, 4, v32
	v_cmp_gt_u32_e64 s[8:9], 56, v32
	s_waitcnt lgkmcnt(1)
	v_add_co_u32_e64 v42, s[6:7], v40, v31
	s_waitcnt lgkmcnt(0)
	v_addc_co_u32_e64 v40, s[6:7], v41, v27, s[6:7]
	v_cmp_gt_u32_e64 s[6:7], v39, v21
	v_cndmask_b32_e64 v27, v40, v27, s[6:7]
	v_cndmask_b32_e64 v40, 0, 1, s[8:9]
	v_lshlrev_b32_e32 v40, 3, v40
	v_cndmask_b32_e64 v26, v42, v26, s[6:7]
	v_add_lshl_u32 v40, v40, v30, 2
	ds_bpermute_b32 v43, v40, v26
	v_cndmask_b32_e64 v31, v42, v31, s[6:7]
	ds_bpermute_b32 v42, v40, v27
	v_add_u32_e32 v41, 8, v32
	v_cmp_gt_u32_e64 s[8:9], 48, v32
	s_waitcnt lgkmcnt(1)
	v_add_co_u32_e64 v43, s[6:7], v43, v31
	s_waitcnt lgkmcnt(0)
	v_addc_co_u32_e64 v42, s[6:7], v42, v27, s[6:7]
	v_cmp_gt_u32_e64 s[6:7], v41, v21
	v_cndmask_b32_e64 v27, v42, v27, s[6:7]
	v_cndmask_b32_e64 v42, 0, 1, s[8:9]
	v_lshlrev_b32_e32 v42, 4, v42
	v_cndmask_b32_e64 v26, v43, v26, s[6:7]
	v_add_lshl_u32 v42, v42, v30, 2
	ds_bpermute_b32 v44, v42, v26
	ds_bpermute_b32 v45, v42, v27
	v_cndmask_b32_e64 v31, v43, v31, s[6:7]
	v_cmp_gt_u32_e64 s[8:9], 32, v32
	v_add_u32_e32 v43, 16, v32
	s_waitcnt lgkmcnt(1)
	v_add_co_u32_e64 v46, s[6:7], v44, v31
	s_waitcnt lgkmcnt(0)
	v_addc_co_u32_e64 v45, s[6:7], v45, v27, s[6:7]
	v_cndmask_b32_e64 v44, 0, 1, s[8:9]
	v_cmp_gt_u32_e64 s[6:7], v43, v21
	v_lshlrev_b32_e32 v44, 5, v44
	v_cndmask_b32_e64 v26, v46, v26, s[6:7]
	v_add_lshl_u32 v44, v44, v30, 2
	v_cndmask_b32_e64 v27, v45, v27, s[6:7]
	ds_bpermute_b32 v26, v44, v26
	ds_bpermute_b32 v30, v44, v27
	v_add_u32_e32 v45, 32, v32
	v_cndmask_b32_e64 v31, v46, v31, s[6:7]
	v_cmp_le_u32_e64 s[6:7], v45, v21
	s_waitcnt lgkmcnt(1)
	v_cndmask_b32_e64 v26, 0, v26, s[6:7]
	s_waitcnt lgkmcnt(0)
	v_cndmask_b32_e64 v21, 0, v30, s[6:7]
	v_add_co_u32_e64 v26, s[6:7], v26, v31
	v_addc_co_u32_e64 v21, s[6:7], v21, v27, s[6:7]
	v_mov_b32_e32 v25, 0
	v_cndmask_b32_e32 v19, v19, v21, vcc
	v_cndmask_b32_e32 v18, v18, v26, vcc
	s_branch .LBB5206_38
.LBB5206_37:                            ;   in Loop: Header=BB5206_38 Depth=1
	s_or_b64 exec, exec, s[6:7]
	v_cmp_eq_u16_sdwa s[6:7], v20, v1 src0_sel:BYTE_0 src1_sel:DWORD
	v_and_b32_e32 v21, s7, v17
	v_or_b32_e32 v21, 0x80000000, v21
	ds_bpermute_b32 v31, v33, v18
	v_and_b32_e32 v30, s6, v16
	v_ffbl_b32_e32 v21, v21
	v_add_u32_e32 v21, 32, v21
	v_ffbl_b32_e32 v30, v30
	v_min_u32_e32 v21, v30, v21
	ds_bpermute_b32 v30, v33, v19
	s_waitcnt lgkmcnt(1)
	v_add_co_u32_e32 v31, vcc, v18, v31
	v_addc_co_u32_e32 v46, vcc, 0, v19, vcc
	v_add_co_u32_e32 v47, vcc, 0, v31
	s_waitcnt lgkmcnt(0)
	v_addc_co_u32_e32 v30, vcc, v30, v46, vcc
	v_cmp_lt_u32_e32 vcc, v32, v21
	v_cndmask_b32_e32 v31, v18, v31, vcc
	ds_bpermute_b32 v46, v34, v31
	v_cndmask_b32_e32 v30, v19, v30, vcc
	ds_bpermute_b32 v48, v34, v30
	v_cndmask_b32_e32 v47, v18, v47, vcc
	v_subrev_u32_e32 v24, 64, v24
	s_waitcnt lgkmcnt(1)
	v_add_co_u32_e64 v46, s[6:7], v46, v47
	s_waitcnt lgkmcnt(0)
	v_addc_co_u32_e64 v48, s[6:7], v48, v30, s[6:7]
	v_cmp_gt_u32_e64 s[6:7], v35, v21
	v_cndmask_b32_e64 v31, v46, v31, s[6:7]
	ds_bpermute_b32 v49, v38, v31
	v_cndmask_b32_e64 v30, v48, v30, s[6:7]
	ds_bpermute_b32 v48, v38, v30
	v_cndmask_b32_e64 v46, v46, v47, s[6:7]
	s_waitcnt lgkmcnt(1)
	v_add_co_u32_e64 v47, s[6:7], v49, v46
	s_waitcnt lgkmcnt(0)
	v_addc_co_u32_e64 v48, s[6:7], v48, v30, s[6:7]
	v_cmp_gt_u32_e64 s[6:7], v39, v21
	v_cndmask_b32_e64 v31, v47, v31, s[6:7]
	ds_bpermute_b32 v49, v40, v31
	v_cndmask_b32_e64 v30, v48, v30, s[6:7]
	ds_bpermute_b32 v48, v40, v30
	v_cndmask_b32_e64 v46, v47, v46, s[6:7]
	;; [unrolled: 10-line block ×3, first 2 shown]
	s_waitcnt lgkmcnt(1)
	v_add_co_u32_e64 v47, s[6:7], v49, v46
	s_waitcnt lgkmcnt(0)
	v_addc_co_u32_e64 v48, s[6:7], v48, v30, s[6:7]
	v_cmp_gt_u32_e64 s[6:7], v43, v21
	v_cndmask_b32_e64 v31, v47, v31, s[6:7]
	v_cndmask_b32_e64 v30, v48, v30, s[6:7]
	ds_bpermute_b32 v31, v44, v31
	ds_bpermute_b32 v48, v44, v30
	v_cndmask_b32_e64 v46, v47, v46, s[6:7]
	v_cmp_le_u32_e64 s[6:7], v45, v21
	s_waitcnt lgkmcnt(1)
	v_cndmask_b32_e64 v31, 0, v31, s[6:7]
	s_waitcnt lgkmcnt(0)
	v_cndmask_b32_e64 v21, 0, v48, s[6:7]
	v_add_co_u32_e64 v31, s[6:7], v31, v46
	v_addc_co_u32_e64 v21, s[6:7], v21, v30, s[6:7]
	v_cndmask_b32_e32 v18, v18, v31, vcc
	v_cndmask_b32_e32 v19, v19, v21, vcc
	v_add_co_u32_e32 v18, vcc, v18, v26
	v_addc_co_u32_e32 v19, vcc, v19, v27, vcc
.LBB5206_38:                            ; =>This Loop Header: Depth=1
                                        ;     Child Loop BB5206_41 Depth 2
	v_cmp_ne_u16_sdwa s[6:7], v20, v1 src0_sel:BYTE_0 src1_sel:DWORD
	v_cndmask_b32_e64 v20, 0, 1, s[6:7]
	;;#ASMSTART
	;;#ASMEND
	v_cmp_ne_u32_e32 vcc, 0, v20
	s_cmp_lg_u64 vcc, exec
	v_pk_mov_b32 v[26:27], v[18:19], v[18:19] op_sel:[0,1]
	s_cbranch_scc1 .LBB5206_43
; %bb.39:                               ;   in Loop: Header=BB5206_38 Depth=1
	v_lshlrev_b64 v[18:19], 4, v[24:25]
	v_mov_b32_e32 v20, s21
	v_add_co_u32_e32 v30, vcc, s20, v18
	v_addc_co_u32_e32 v31, vcc, v20, v19, vcc
	;;#ASMSTART
	global_load_dwordx4 v[18:21], v[30:31] off glc	
s_waitcnt vmcnt(0)
	;;#ASMEND
	v_and_b32_e32 v21, 0xff, v19
	v_and_b32_e32 v46, 0xff00, v19
	v_or3_b32 v21, 0, v21, v46
	v_or3_b32 v18, v18, 0, 0
	v_and_b32_e32 v46, 0xff000000, v19
	v_and_b32_e32 v19, 0xff0000, v19
	v_or3_b32 v19, v21, v19, v46
	v_or3_b32 v18, v18, 0, 0
	v_cmp_eq_u16_sdwa s[8:9], v20, v25 src0_sel:BYTE_0 src1_sel:DWORD
	s_and_saveexec_b64 s[6:7], s[8:9]
	s_cbranch_execz .LBB5206_37
; %bb.40:                               ;   in Loop: Header=BB5206_38 Depth=1
	s_mov_b64 s[8:9], 0
.LBB5206_41:                            ;   Parent Loop BB5206_38 Depth=1
                                        ; =>  This Inner Loop Header: Depth=2
	;;#ASMSTART
	global_load_dwordx4 v[18:21], v[30:31] off glc	
s_waitcnt vmcnt(0)
	;;#ASMEND
	v_cmp_ne_u16_sdwa s[28:29], v20, v25 src0_sel:BYTE_0 src1_sel:DWORD
	s_or_b64 s[8:9], s[28:29], s[8:9]
	s_andn2_b64 exec, exec, s[8:9]
	s_cbranch_execnz .LBB5206_41
; %bb.42:                               ;   in Loop: Header=BB5206_38 Depth=1
	s_or_b64 exec, exec, s[8:9]
	s_branch .LBB5206_37
.LBB5206_43:                            ;   in Loop: Header=BB5206_38 Depth=1
                                        ; implicit-def: $vgpr18_vgpr19
                                        ; implicit-def: $vgpr20
	s_cbranch_execz .LBB5206_38
; %bb.44:
	s_and_saveexec_b64 s[6:7], s[4:5]
	s_cbranch_execz .LBB5206_46
; %bb.45:
	s_add_i32 s4, s26, 64
	s_mov_b32 s5, 0
	s_lshl_b64 s[4:5], s[4:5], 4
	s_add_u32 s4, s20, s4
	v_add_co_u32_e32 v14, vcc, v26, v14
	s_addc_u32 s5, s21, s5
	v_addc_co_u32_e32 v15, vcc, v27, v15, vcc
	v_mov_b32_e32 v16, 2
	v_mov_b32_e32 v17, 0
	v_pk_mov_b32 v[18:19], s[4:5], s[4:5] op_sel:[0,1]
	;;#ASMSTART
	global_store_dwordx4 v[18:19], v[14:17] off	
s_waitcnt vmcnt(0)
	;;#ASMEND
.LBB5206_46:
	s_or_b64 exec, exec, s[6:7]
	s_and_b64 exec, exec, s[2:3]
	s_cbranch_execz .LBB5206_48
; %bb.47:
	v_mov_b32_e32 v1, 0
	ds_write_b64 v1, v[26:27]
.LBB5206_48:
	s_or_b64 exec, exec, s[22:23]
	v_mov_b32_e32 v1, 0
	s_waitcnt lgkmcnt(0)
	s_barrier
	ds_read_b64 v[14:15], v1
	v_add_co_u32_e32 v1, vcc, v22, v2
	v_addc_co_u32_e32 v16, vcc, v23, v3, vcc
	s_waitcnt lgkmcnt(0)
	v_add_co_u32_e32 v24, vcc, v1, v14
	v_addc_co_u32_e32 v25, vcc, v16, v15, vcc
	v_add_co_u32_e32 v30, vcc, v24, v4
	v_addc_co_u32_e32 v31, vcc, v25, v5, vcc
	;; [unrolled: 2-line block ×7, first 2 shown]
	s_branch .LBB5206_63
.LBB5206_49:
                                        ; implicit-def: $vgpr22_vgpr23
                                        ; implicit-def: $vgpr34_vgpr35
                                        ; implicit-def: $vgpr32_vgpr33
                                        ; implicit-def: $vgpr30_vgpr31
                                        ; implicit-def: $vgpr18_vgpr19_vgpr20_vgpr21
                                        ; implicit-def: $vgpr14_vgpr15_vgpr16_vgpr17
                                        ; implicit-def: $vgpr24_vgpr25_vgpr26_vgpr27
	s_cbranch_execz .LBB5206_63
; %bb.50:
	s_cmp_lg_u64 s[16:17], 0
	s_cselect_b64 s[4:5], -1, 0
	s_and_b64 s[6:7], s[2:3], s[4:5]
	s_and_saveexec_b64 s[4:5], s[6:7]
	s_cbranch_execz .LBB5206_52
; %bb.51:
	v_mov_b32_e32 v1, 0
	global_load_dwordx2 v[14:15], v1, s[12:13]
	s_waitcnt vmcnt(0)
	v_add_co_u32_e32 v2, vcc, v14, v2
	v_addc_co_u32_e32 v3, vcc, v15, v3, vcc
.LBB5206_52:
	s_or_b64 exec, exec, s[4:5]
	v_add_co_u32_e32 v30, vcc, v4, v2
	v_addc_co_u32_e32 v31, vcc, v5, v3, vcc
	v_add_co_u32_e32 v14, vcc, v30, v10
	v_addc_co_u32_e32 v15, vcc, v31, v11, vcc
	;; [unrolled: 2-line block ×6, first 2 shown]
	v_add_lshl_u32 v1, v37, v0, 3
	v_cmp_gt_u32_e32 vcc, 64, v0
	ds_write_b64 v1, v[22:23]
	s_waitcnt lgkmcnt(0)
	s_barrier
	s_and_saveexec_b64 s[6:7], vcc
	s_cbranch_execz .LBB5206_56
; %bb.53:
	v_lshlrev_b32_e32 v1, 1, v0
	v_lshrrev_b32_e32 v16, 4, v0
	v_add_lshl_u32 v17, v16, v1, 3
	ds_read2_b64 v[24:27], v17 offset1:1
	v_mbcnt_lo_u32_b32 v1, -1, 0
	v_mbcnt_hi_u32_b32 v20, -1, v1
	v_and_b32_e32 v1, 15, v20
	v_cmp_ne_u32_e64 s[4:5], 0, v20
	s_waitcnt lgkmcnt(0)
	v_add_co_u32_e32 v21, vcc, v26, v24
	v_addc_co_u32_e32 v26, vcc, v27, v25, vcc
	s_nop 0
	v_mov_b32_dpp v16, v21 row_shr:1 row_mask:0xf bank_mask:0xf
	v_add_co_u32_e32 v16, vcc, v21, v16
	v_addc_co_u32_e32 v37, vcc, 0, v26, vcc
	v_mov_b32_dpp v27, v26 row_shr:1 row_mask:0xf bank_mask:0xf
	v_add_co_u32_e32 v38, vcc, 0, v16
	v_addc_co_u32_e32 v27, vcc, v27, v37, vcc
	v_cmp_eq_u32_e32 vcc, 0, v1
	v_cndmask_b32_e32 v16, v16, v21, vcc
	v_cndmask_b32_e32 v27, v27, v26, vcc
	v_cndmask_b32_e32 v37, v38, v21, vcc
	v_mov_b32_dpp v38, v16 row_shr:2 row_mask:0xf bank_mask:0xf
	v_mov_b32_dpp v39, v27 row_shr:2 row_mask:0xf bank_mask:0xf
	v_add_co_u32_e32 v38, vcc, v38, v37
	v_addc_co_u32_e32 v39, vcc, v39, v27, vcc
	v_cmp_lt_u32_e32 vcc, 1, v1
	v_cndmask_b32_e32 v16, v16, v38, vcc
	v_cndmask_b32_e32 v27, v27, v39, vcc
	v_cndmask_b32_e32 v37, v37, v38, vcc
	v_mov_b32_dpp v38, v16 row_shr:4 row_mask:0xf bank_mask:0xf
	v_mov_b32_dpp v39, v27 row_shr:4 row_mask:0xf bank_mask:0xf
	v_add_co_u32_e32 v38, vcc, v38, v37
	v_addc_co_u32_e32 v39, vcc, v39, v27, vcc
	v_cmp_lt_u32_e32 vcc, 3, v1
	;; [unrolled: 8-line block ×3, first 2 shown]
	v_cndmask_b32_e32 v40, v16, v38, vcc
	v_cndmask_b32_e32 v1, v27, v39, vcc
	;; [unrolled: 1-line block ×3, first 2 shown]
	v_mov_b32_dpp v27, v40 row_bcast:15 row_mask:0xf bank_mask:0xf
	v_mov_b32_dpp v37, v1 row_bcast:15 row_mask:0xf bank_mask:0xf
	v_add_co_u32_e32 v27, vcc, v27, v16
	v_and_b32_e32 v39, 16, v20
	v_addc_co_u32_e32 v38, vcc, v37, v1, vcc
	v_cmp_eq_u32_e32 vcc, 0, v39
	v_cndmask_b32_e32 v39, v38, v1, vcc
	v_cndmask_b32_e32 v37, v27, v40, vcc
	s_nop 0
	v_mov_b32_dpp v39, v39 row_bcast:31 row_mask:0xf bank_mask:0xf
	v_mov_b32_dpp v37, v37 row_bcast:31 row_mask:0xf bank_mask:0xf
	s_and_saveexec_b64 s[8:9], s[4:5]
; %bb.54:
	v_cndmask_b32_e32 v1, v38, v1, vcc
	v_cndmask_b32_e32 v16, v27, v16, vcc
	v_cmp_lt_u32_e32 vcc, 31, v20
	v_cndmask_b32_e32 v21, 0, v37, vcc
	v_cndmask_b32_e32 v26, 0, v39, vcc
	v_add_co_u32_e32 v21, vcc, v21, v16
	v_addc_co_u32_e32 v26, vcc, v26, v1, vcc
; %bb.55:
	s_or_b64 exec, exec, s[8:9]
	v_add_u32_e32 v1, -1, v20
	v_and_b32_e32 v16, 64, v20
	v_cmp_lt_i32_e32 vcc, v1, v16
	v_cndmask_b32_e32 v1, v1, v20, vcc
	v_lshlrev_b32_e32 v1, 2, v1
	ds_bpermute_b32 v16, v1, v21
	ds_bpermute_b32 v1, v1, v26
	; wave barrier
	s_waitcnt lgkmcnt(1)
	v_add_co_u32_e32 v16, vcc, v24, v16
	v_addc_co_u32_e32 v20, vcc, 0, v25, vcc
	v_add_co_u32_e32 v16, vcc, 0, v16
	s_waitcnt lgkmcnt(0)
	v_addc_co_u32_e32 v1, vcc, v20, v1, vcc
	v_cndmask_b32_e64 v21, v1, v23, s[2:3]
	v_cndmask_b32_e64 v20, v16, v22, s[2:3]
	ds_write_b64 v17, v[20:21]
	; wave barrier
	ds_read_b64 v[24:25], v17 offset:8
	s_waitcnt lgkmcnt(0)
	v_add_co_u32_e32 v20, vcc, v24, v20
	v_addc_co_u32_e32 v21, vcc, v25, v21, vcc
	ds_write_b64 v17, v[20:21] offset:8
.LBB5206_56:
	s_or_b64 exec, exec, s[6:7]
	v_pk_mov_b32 v[16:17], v[22:23], v[22:23] op_sel:[0,1]
	s_waitcnt lgkmcnt(0)
	s_barrier
	s_and_saveexec_b64 s[2:3], s[0:1]
	s_cbranch_execz .LBB5206_58
; %bb.57:
	v_add_u32_e32 v1, -1, v0
	v_lshrrev_b32_e32 v16, 5, v1
	v_add_lshl_u32 v1, v16, v1, 3
	ds_read_b64 v[16:17], v1
.LBB5206_58:
	s_or_b64 exec, exec, s[2:3]
	s_and_saveexec_b64 s[2:3], s[0:1]
	s_cbranch_execz .LBB5206_60
; %bb.59:
	s_waitcnt lgkmcnt(0)
	v_add_co_u32_e32 v2, vcc, v16, v2
	v_addc_co_u32_e32 v3, vcc, v17, v3, vcc
	v_add_co_u32_e32 v30, vcc, v2, v4
	v_addc_co_u32_e32 v31, vcc, v3, v5, vcc
	;; [unrolled: 2-line block ×7, first 2 shown]
	;;#ASMSTART
	;;#ASMEND
.LBB5206_60:
	s_or_b64 exec, exec, s[2:3]
	s_movk_i32 s0, 0x7f
	v_cmp_eq_u32_e32 vcc, s0, v0
	s_and_saveexec_b64 s[0:1], vcc
	s_cbranch_execz .LBB5206_62
; %bb.61:
	s_add_u32 s2, s20, 0x400
	s_addc_u32 s3, s21, 0
	v_mov_b32_e32 v24, 2
	v_mov_b32_e32 v25, 0
	v_pk_mov_b32 v[4:5], s[2:3], s[2:3] op_sel:[0,1]
	;;#ASMSTART
	global_store_dwordx4 v[4:5], v[22:25] off	
s_waitcnt vmcnt(0)
	;;#ASMEND
.LBB5206_62:
	s_or_b64 exec, exec, s[0:1]
	v_pk_mov_b32 v[24:25], v[2:3], v[2:3] op_sel:[0,1]
.LBB5206_63:
	v_mul_u32_u24_e32 v2, 56, v0
	s_mov_b64 s[0:1], -1
	s_and_b64 vcc, exec, s[10:11]
	s_waitcnt lgkmcnt(0)
	s_barrier
	ds_write2_b64 v2, v[24:25], v[30:31] offset1:1
	ds_write2_b64 v2, v[14:15], v[32:33] offset0:2 offset1:3
	ds_write2_b64 v2, v[18:19], v[34:35] offset0:4 offset1:5
	ds_write_b64 v2, v[22:23] offset:48
	s_waitcnt lgkmcnt(0)
	s_cbranch_vccz .LBB5206_65
; %bb.64:
	s_barrier
	s_mov_b64 s[0:1], 0
.LBB5206_65:
	s_andn2_b64 vcc, exec, s[0:1]
	s_cbranch_vccnz .LBB5206_90
; %bb.66:
	v_cmp_lt_u64_e64 s[0:1], s[18:19], 2
	s_and_b64 vcc, exec, s[0:1]
	s_barrier
	s_cbranch_vccnz .LBB5206_90
; %bb.67:
	s_add_u32 s0, s24, -1
	s_addc_u32 s1, s25, -1
	s_add_u32 s2, 0, 0x92481000
	s_addc_u32 s3, 0, 0x64
	s_add_i32 s3, s3, 0x249248c0
	s_mul_hi_u32 s7, s2, -7
	s_sub_i32 s7, s7, s2
	s_mul_i32 s8, s3, -7
	s_mul_i32 s4, s2, -7
	s_add_i32 s7, s7, s8
	s_mul_hi_u32 s5, s3, s4
	s_mul_i32 s6, s3, s4
	s_mul_i32 s9, s2, s7
	s_mul_hi_u32 s4, s2, s4
	s_mul_hi_u32 s8, s2, s7
	s_add_u32 s4, s4, s9
	s_addc_u32 s8, 0, s8
	s_add_u32 s4, s4, s6
	s_mul_hi_u32 s9, s3, s7
	s_addc_u32 s4, s8, s5
	s_addc_u32 s5, s9, 0
	s_mul_i32 s6, s3, s7
	s_add_u32 s4, s4, s6
	v_mov_b32_e32 v3, s4
	s_addc_u32 s5, 0, s5
	v_add_co_u32_e32 v3, vcc, s2, v3
	s_cmp_lg_u64 vcc, 0
	s_addc_u32 s2, s3, s5
	v_readfirstlane_b32 s5, v3
	s_mul_i32 s4, s0, s2
	s_mul_hi_u32 s6, s0, s5
	s_mul_hi_u32 s3, s0, s2
	s_add_u32 s4, s6, s4
	s_addc_u32 s3, 0, s3
	s_mul_hi_u32 s7, s1, s5
	s_mul_i32 s5, s1, s5
	s_add_u32 s4, s4, s5
	s_mul_hi_u32 s6, s1, s2
	s_addc_u32 s3, s3, s7
	s_addc_u32 s4, s6, 0
	s_mul_i32 s2, s1, s2
	s_add_u32 s2, s3, s2
	s_addc_u32 s3, 0, s4
	s_add_u32 s4, s2, 1
	s_addc_u32 s5, s3, 0
	s_add_u32 s6, s2, 2
	s_mul_i32 s8, s3, 7
	s_mul_hi_u32 s9, s2, 7
	s_addc_u32 s7, s3, 0
	s_add_i32 s9, s9, s8
	s_mul_i32 s8, s2, 7
	v_mov_b32_e32 v3, s8
	v_sub_co_u32_e32 v3, vcc, s0, v3
	s_cmp_lg_u64 vcc, 0
	s_subb_u32 s8, s1, s9
	v_subrev_co_u32_e32 v4, vcc, 7, v3
	s_cmp_lg_u64 vcc, 0
	s_subb_u32 s9, s8, 0
	v_readfirstlane_b32 s10, v4
	s_cmp_gt_u32 s10, 6
	s_cselect_b32 s10, -1, 0
	s_cmp_eq_u32 s9, 0
	s_cselect_b32 s9, s10, -1
	s_cmp_lg_u32 s9, 0
	s_cselect_b32 s4, s6, s4
	v_readfirstlane_b32 s6, v3
	s_cselect_b32 s5, s7, s5
	s_cmp_gt_u32 s6, 6
	s_cselect_b32 s6, -1, 0
	s_cmp_eq_u32 s8, 0
	s_cselect_b32 s6, s6, -1
	s_cmp_lg_u32 s6, 0
	v_mov_b32_e32 v1, 0
	s_cselect_b32 s3, s5, s3
	s_cselect_b32 s2, s4, s2
	v_cmp_eq_u64_e32 vcc, s[2:3], v[0:1]
	s_and_saveexec_b64 s[2:3], vcc
	s_cbranch_execz .LBB5206_90
; %bb.68:
	s_movk_i32 s2, 0xffd0
	v_mad_i32_i24 v2, v0, s2, v2
	v_mul_hi_u32_u24_e32 v1, 7, v0
	v_mov_b32_e32 v3, s1
	v_sub_co_u32_e32 v0, vcc, s0, v36
	v_subb_co_u32_e32 v1, vcc, v3, v1, vcc
	v_cmp_lt_i64_e32 vcc, 3, v[0:1]
	s_and_saveexec_b64 s[0:1], vcc
	s_xor_b64 s[0:1], exec, s[0:1]
	s_cbranch_execz .LBB5206_78
; %bb.69:
	v_cmp_lt_i64_e32 vcc, 4, v[0:1]
	s_and_saveexec_b64 s[2:3], vcc
	s_xor_b64 s[2:3], exec, s[2:3]
	s_cbranch_execz .LBB5206_75
; %bb.70:
	;; [unrolled: 5-line block ×3, first 2 shown]
	ds_read_b64 v[0:1], v2 offset:6144
	v_mov_b32_e32 v2, 0
	s_waitcnt lgkmcnt(0)
	global_store_dwordx2 v2, v[0:1], s[14:15]
                                        ; implicit-def: $vgpr2
.LBB5206_72:
	s_andn2_saveexec_b64 s[4:5], s[4:5]
	s_cbranch_execz .LBB5206_74
; %bb.73:
	ds_read_b64 v[0:1], v2 offset:5120
	v_mov_b32_e32 v2, 0
	s_waitcnt lgkmcnt(0)
	global_store_dwordx2 v2, v[0:1], s[14:15]
.LBB5206_74:
	s_or_b64 exec, exec, s[4:5]
                                        ; implicit-def: $vgpr2
.LBB5206_75:
	s_andn2_saveexec_b64 s[2:3], s[2:3]
	s_cbranch_execz .LBB5206_77
; %bb.76:
	ds_read_b64 v[0:1], v2 offset:4096
	v_mov_b32_e32 v2, 0
	s_waitcnt lgkmcnt(0)
	global_store_dwordx2 v2, v[0:1], s[14:15]
.LBB5206_77:
	s_or_b64 exec, exec, s[2:3]
                                        ; implicit-def: $vgpr0_vgpr1
                                        ; implicit-def: $vgpr2
.LBB5206_78:
	s_andn2_saveexec_b64 s[0:1], s[0:1]
	s_cbranch_execz .LBB5206_90
; %bb.79:
	v_cmp_lt_i64_e32 vcc, 1, v[0:1]
	s_and_saveexec_b64 s[0:1], vcc
	s_xor_b64 s[0:1], exec, s[0:1]
	s_cbranch_execz .LBB5206_85
; %bb.80:
	v_cmp_lt_i64_e32 vcc, 2, v[0:1]
	s_and_saveexec_b64 s[2:3], vcc
	s_xor_b64 s[2:3], exec, s[2:3]
	s_cbranch_execz .LBB5206_82
; %bb.81:
	ds_read_b64 v[0:1], v2 offset:3072
	v_mov_b32_e32 v2, 0
	s_waitcnt lgkmcnt(0)
	global_store_dwordx2 v2, v[0:1], s[14:15]
                                        ; implicit-def: $vgpr2
.LBB5206_82:
	s_andn2_saveexec_b64 s[2:3], s[2:3]
	s_cbranch_execz .LBB5206_84
; %bb.83:
	ds_read_b64 v[0:1], v2 offset:2048
	v_mov_b32_e32 v2, 0
	s_waitcnt lgkmcnt(0)
	global_store_dwordx2 v2, v[0:1], s[14:15]
.LBB5206_84:
	s_or_b64 exec, exec, s[2:3]
                                        ; implicit-def: $vgpr2
                                        ; implicit-def: $vgpr0_vgpr1
.LBB5206_85:
	s_andn2_saveexec_b64 s[0:1], s[0:1]
	s_cbranch_execz .LBB5206_90
; %bb.86:
	v_cmp_ne_u64_e32 vcc, 1, v[0:1]
	s_and_saveexec_b64 s[0:1], vcc
	s_xor_b64 s[0:1], exec, s[0:1]
	s_cbranch_execz .LBB5206_88
; %bb.87:
	ds_read_b64 v[0:1], v2
	v_mov_b32_e32 v2, 0
	s_waitcnt lgkmcnt(0)
	global_store_dwordx2 v2, v[0:1], s[14:15]
                                        ; implicit-def: $vgpr2
.LBB5206_88:
	s_andn2_saveexec_b64 s[0:1], s[0:1]
	s_cbranch_execz .LBB5206_90
; %bb.89:
	ds_read_b64 v[0:1], v2 offset:1024
	v_mov_b32_e32 v2, 0
	s_waitcnt lgkmcnt(0)
	global_store_dwordx2 v2, v[0:1], s[14:15]
.LBB5206_90:
	s_endpgm
	.section	.rodata,"a",@progbits
	.p2align	6, 0x0
	.amdhsa_kernel _ZN7rocprim17ROCPRIM_400000_NS6detail17trampoline_kernelINS0_14default_configENS1_20scan_config_selectorIyEEZZNS1_9scan_implILNS1_25lookback_scan_determinismE0ELb0ELb0ES3_N6thrust23THRUST_200600_302600_NS6detail15normal_iteratorINS9_10device_ptrIyEEEENS9_16discard_iteratorINS9_11use_defaultEEEyNS9_4plusIvEEyEEDaPvRmT3_T4_T5_mT6_P12ihipStream_tbENKUlT_T0_E_clISt17integral_constantIbLb0EESW_IbLb1EEEEDaSS_ST_EUlSS_E_NS1_11comp_targetILNS1_3genE4ELNS1_11target_archE910ELNS1_3gpuE8ELNS1_3repE0EEENS1_30default_config_static_selectorELNS0_4arch9wavefront6targetE1EEEvT1_
		.amdhsa_group_segment_fixed_size 7168
		.amdhsa_private_segment_fixed_size 0
		.amdhsa_kernarg_size 112
		.amdhsa_user_sgpr_count 6
		.amdhsa_user_sgpr_private_segment_buffer 1
		.amdhsa_user_sgpr_dispatch_ptr 0
		.amdhsa_user_sgpr_queue_ptr 0
		.amdhsa_user_sgpr_kernarg_segment_ptr 1
		.amdhsa_user_sgpr_dispatch_id 0
		.amdhsa_user_sgpr_flat_scratch_init 0
		.amdhsa_user_sgpr_kernarg_preload_length 0
		.amdhsa_user_sgpr_kernarg_preload_offset 0
		.amdhsa_user_sgpr_private_segment_size 0
		.amdhsa_uses_dynamic_stack 0
		.amdhsa_system_sgpr_private_segment_wavefront_offset 0
		.amdhsa_system_sgpr_workgroup_id_x 1
		.amdhsa_system_sgpr_workgroup_id_y 0
		.amdhsa_system_sgpr_workgroup_id_z 0
		.amdhsa_system_sgpr_workgroup_info 0
		.amdhsa_system_vgpr_workitem_id 0
		.amdhsa_next_free_vgpr 50
		.amdhsa_next_free_sgpr 30
		.amdhsa_accum_offset 52
		.amdhsa_reserve_vcc 1
		.amdhsa_reserve_flat_scratch 0
		.amdhsa_float_round_mode_32 0
		.amdhsa_float_round_mode_16_64 0
		.amdhsa_float_denorm_mode_32 3
		.amdhsa_float_denorm_mode_16_64 3
		.amdhsa_dx10_clamp 1
		.amdhsa_ieee_mode 1
		.amdhsa_fp16_overflow 0
		.amdhsa_tg_split 0
		.amdhsa_exception_fp_ieee_invalid_op 0
		.amdhsa_exception_fp_denorm_src 0
		.amdhsa_exception_fp_ieee_div_zero 0
		.amdhsa_exception_fp_ieee_overflow 0
		.amdhsa_exception_fp_ieee_underflow 0
		.amdhsa_exception_fp_ieee_inexact 0
		.amdhsa_exception_int_div_zero 0
	.end_amdhsa_kernel
	.section	.text._ZN7rocprim17ROCPRIM_400000_NS6detail17trampoline_kernelINS0_14default_configENS1_20scan_config_selectorIyEEZZNS1_9scan_implILNS1_25lookback_scan_determinismE0ELb0ELb0ES3_N6thrust23THRUST_200600_302600_NS6detail15normal_iteratorINS9_10device_ptrIyEEEENS9_16discard_iteratorINS9_11use_defaultEEEyNS9_4plusIvEEyEEDaPvRmT3_T4_T5_mT6_P12ihipStream_tbENKUlT_T0_E_clISt17integral_constantIbLb0EESW_IbLb1EEEEDaSS_ST_EUlSS_E_NS1_11comp_targetILNS1_3genE4ELNS1_11target_archE910ELNS1_3gpuE8ELNS1_3repE0EEENS1_30default_config_static_selectorELNS0_4arch9wavefront6targetE1EEEvT1_,"axG",@progbits,_ZN7rocprim17ROCPRIM_400000_NS6detail17trampoline_kernelINS0_14default_configENS1_20scan_config_selectorIyEEZZNS1_9scan_implILNS1_25lookback_scan_determinismE0ELb0ELb0ES3_N6thrust23THRUST_200600_302600_NS6detail15normal_iteratorINS9_10device_ptrIyEEEENS9_16discard_iteratorINS9_11use_defaultEEEyNS9_4plusIvEEyEEDaPvRmT3_T4_T5_mT6_P12ihipStream_tbENKUlT_T0_E_clISt17integral_constantIbLb0EESW_IbLb1EEEEDaSS_ST_EUlSS_E_NS1_11comp_targetILNS1_3genE4ELNS1_11target_archE910ELNS1_3gpuE8ELNS1_3repE0EEENS1_30default_config_static_selectorELNS0_4arch9wavefront6targetE1EEEvT1_,comdat
.Lfunc_end5206:
	.size	_ZN7rocprim17ROCPRIM_400000_NS6detail17trampoline_kernelINS0_14default_configENS1_20scan_config_selectorIyEEZZNS1_9scan_implILNS1_25lookback_scan_determinismE0ELb0ELb0ES3_N6thrust23THRUST_200600_302600_NS6detail15normal_iteratorINS9_10device_ptrIyEEEENS9_16discard_iteratorINS9_11use_defaultEEEyNS9_4plusIvEEyEEDaPvRmT3_T4_T5_mT6_P12ihipStream_tbENKUlT_T0_E_clISt17integral_constantIbLb0EESW_IbLb1EEEEDaSS_ST_EUlSS_E_NS1_11comp_targetILNS1_3genE4ELNS1_11target_archE910ELNS1_3gpuE8ELNS1_3repE0EEENS1_30default_config_static_selectorELNS0_4arch9wavefront6targetE1EEEvT1_, .Lfunc_end5206-_ZN7rocprim17ROCPRIM_400000_NS6detail17trampoline_kernelINS0_14default_configENS1_20scan_config_selectorIyEEZZNS1_9scan_implILNS1_25lookback_scan_determinismE0ELb0ELb0ES3_N6thrust23THRUST_200600_302600_NS6detail15normal_iteratorINS9_10device_ptrIyEEEENS9_16discard_iteratorINS9_11use_defaultEEEyNS9_4plusIvEEyEEDaPvRmT3_T4_T5_mT6_P12ihipStream_tbENKUlT_T0_E_clISt17integral_constantIbLb0EESW_IbLb1EEEEDaSS_ST_EUlSS_E_NS1_11comp_targetILNS1_3genE4ELNS1_11target_archE910ELNS1_3gpuE8ELNS1_3repE0EEENS1_30default_config_static_selectorELNS0_4arch9wavefront6targetE1EEEvT1_
                                        ; -- End function
	.section	.AMDGPU.csdata,"",@progbits
; Kernel info:
; codeLenInByte = 5212
; NumSgprs: 34
; NumVgprs: 50
; NumAgprs: 0
; TotalNumVgprs: 50
; ScratchSize: 0
; MemoryBound: 0
; FloatMode: 240
; IeeeMode: 1
; LDSByteSize: 7168 bytes/workgroup (compile time only)
; SGPRBlocks: 4
; VGPRBlocks: 6
; NumSGPRsForWavesPerEU: 34
; NumVGPRsForWavesPerEU: 50
; AccumOffset: 52
; Occupancy: 5
; WaveLimiterHint : 1
; COMPUTE_PGM_RSRC2:SCRATCH_EN: 0
; COMPUTE_PGM_RSRC2:USER_SGPR: 6
; COMPUTE_PGM_RSRC2:TRAP_HANDLER: 0
; COMPUTE_PGM_RSRC2:TGID_X_EN: 1
; COMPUTE_PGM_RSRC2:TGID_Y_EN: 0
; COMPUTE_PGM_RSRC2:TGID_Z_EN: 0
; COMPUTE_PGM_RSRC2:TIDIG_COMP_CNT: 0
; COMPUTE_PGM_RSRC3_GFX90A:ACCUM_OFFSET: 12
; COMPUTE_PGM_RSRC3_GFX90A:TG_SPLIT: 0
	.section	.text._ZN7rocprim17ROCPRIM_400000_NS6detail17trampoline_kernelINS0_14default_configENS1_20scan_config_selectorIyEEZZNS1_9scan_implILNS1_25lookback_scan_determinismE0ELb0ELb0ES3_N6thrust23THRUST_200600_302600_NS6detail15normal_iteratorINS9_10device_ptrIyEEEENS9_16discard_iteratorINS9_11use_defaultEEEyNS9_4plusIvEEyEEDaPvRmT3_T4_T5_mT6_P12ihipStream_tbENKUlT_T0_E_clISt17integral_constantIbLb0EESW_IbLb1EEEEDaSS_ST_EUlSS_E_NS1_11comp_targetILNS1_3genE3ELNS1_11target_archE908ELNS1_3gpuE7ELNS1_3repE0EEENS1_30default_config_static_selectorELNS0_4arch9wavefront6targetE1EEEvT1_,"axG",@progbits,_ZN7rocprim17ROCPRIM_400000_NS6detail17trampoline_kernelINS0_14default_configENS1_20scan_config_selectorIyEEZZNS1_9scan_implILNS1_25lookback_scan_determinismE0ELb0ELb0ES3_N6thrust23THRUST_200600_302600_NS6detail15normal_iteratorINS9_10device_ptrIyEEEENS9_16discard_iteratorINS9_11use_defaultEEEyNS9_4plusIvEEyEEDaPvRmT3_T4_T5_mT6_P12ihipStream_tbENKUlT_T0_E_clISt17integral_constantIbLb0EESW_IbLb1EEEEDaSS_ST_EUlSS_E_NS1_11comp_targetILNS1_3genE3ELNS1_11target_archE908ELNS1_3gpuE7ELNS1_3repE0EEENS1_30default_config_static_selectorELNS0_4arch9wavefront6targetE1EEEvT1_,comdat
	.protected	_ZN7rocprim17ROCPRIM_400000_NS6detail17trampoline_kernelINS0_14default_configENS1_20scan_config_selectorIyEEZZNS1_9scan_implILNS1_25lookback_scan_determinismE0ELb0ELb0ES3_N6thrust23THRUST_200600_302600_NS6detail15normal_iteratorINS9_10device_ptrIyEEEENS9_16discard_iteratorINS9_11use_defaultEEEyNS9_4plusIvEEyEEDaPvRmT3_T4_T5_mT6_P12ihipStream_tbENKUlT_T0_E_clISt17integral_constantIbLb0EESW_IbLb1EEEEDaSS_ST_EUlSS_E_NS1_11comp_targetILNS1_3genE3ELNS1_11target_archE908ELNS1_3gpuE7ELNS1_3repE0EEENS1_30default_config_static_selectorELNS0_4arch9wavefront6targetE1EEEvT1_ ; -- Begin function _ZN7rocprim17ROCPRIM_400000_NS6detail17trampoline_kernelINS0_14default_configENS1_20scan_config_selectorIyEEZZNS1_9scan_implILNS1_25lookback_scan_determinismE0ELb0ELb0ES3_N6thrust23THRUST_200600_302600_NS6detail15normal_iteratorINS9_10device_ptrIyEEEENS9_16discard_iteratorINS9_11use_defaultEEEyNS9_4plusIvEEyEEDaPvRmT3_T4_T5_mT6_P12ihipStream_tbENKUlT_T0_E_clISt17integral_constantIbLb0EESW_IbLb1EEEEDaSS_ST_EUlSS_E_NS1_11comp_targetILNS1_3genE3ELNS1_11target_archE908ELNS1_3gpuE7ELNS1_3repE0EEENS1_30default_config_static_selectorELNS0_4arch9wavefront6targetE1EEEvT1_
	.globl	_ZN7rocprim17ROCPRIM_400000_NS6detail17trampoline_kernelINS0_14default_configENS1_20scan_config_selectorIyEEZZNS1_9scan_implILNS1_25lookback_scan_determinismE0ELb0ELb0ES3_N6thrust23THRUST_200600_302600_NS6detail15normal_iteratorINS9_10device_ptrIyEEEENS9_16discard_iteratorINS9_11use_defaultEEEyNS9_4plusIvEEyEEDaPvRmT3_T4_T5_mT6_P12ihipStream_tbENKUlT_T0_E_clISt17integral_constantIbLb0EESW_IbLb1EEEEDaSS_ST_EUlSS_E_NS1_11comp_targetILNS1_3genE3ELNS1_11target_archE908ELNS1_3gpuE7ELNS1_3repE0EEENS1_30default_config_static_selectorELNS0_4arch9wavefront6targetE1EEEvT1_
	.p2align	8
	.type	_ZN7rocprim17ROCPRIM_400000_NS6detail17trampoline_kernelINS0_14default_configENS1_20scan_config_selectorIyEEZZNS1_9scan_implILNS1_25lookback_scan_determinismE0ELb0ELb0ES3_N6thrust23THRUST_200600_302600_NS6detail15normal_iteratorINS9_10device_ptrIyEEEENS9_16discard_iteratorINS9_11use_defaultEEEyNS9_4plusIvEEyEEDaPvRmT3_T4_T5_mT6_P12ihipStream_tbENKUlT_T0_E_clISt17integral_constantIbLb0EESW_IbLb1EEEEDaSS_ST_EUlSS_E_NS1_11comp_targetILNS1_3genE3ELNS1_11target_archE908ELNS1_3gpuE7ELNS1_3repE0EEENS1_30default_config_static_selectorELNS0_4arch9wavefront6targetE1EEEvT1_,@function
_ZN7rocprim17ROCPRIM_400000_NS6detail17trampoline_kernelINS0_14default_configENS1_20scan_config_selectorIyEEZZNS1_9scan_implILNS1_25lookback_scan_determinismE0ELb0ELb0ES3_N6thrust23THRUST_200600_302600_NS6detail15normal_iteratorINS9_10device_ptrIyEEEENS9_16discard_iteratorINS9_11use_defaultEEEyNS9_4plusIvEEyEEDaPvRmT3_T4_T5_mT6_P12ihipStream_tbENKUlT_T0_E_clISt17integral_constantIbLb0EESW_IbLb1EEEEDaSS_ST_EUlSS_E_NS1_11comp_targetILNS1_3genE3ELNS1_11target_archE908ELNS1_3gpuE7ELNS1_3repE0EEENS1_30default_config_static_selectorELNS0_4arch9wavefront6targetE1EEEvT1_: ; @_ZN7rocprim17ROCPRIM_400000_NS6detail17trampoline_kernelINS0_14default_configENS1_20scan_config_selectorIyEEZZNS1_9scan_implILNS1_25lookback_scan_determinismE0ELb0ELb0ES3_N6thrust23THRUST_200600_302600_NS6detail15normal_iteratorINS9_10device_ptrIyEEEENS9_16discard_iteratorINS9_11use_defaultEEEyNS9_4plusIvEEyEEDaPvRmT3_T4_T5_mT6_P12ihipStream_tbENKUlT_T0_E_clISt17integral_constantIbLb0EESW_IbLb1EEEEDaSS_ST_EUlSS_E_NS1_11comp_targetILNS1_3genE3ELNS1_11target_archE908ELNS1_3gpuE7ELNS1_3repE0EEENS1_30default_config_static_selectorELNS0_4arch9wavefront6targetE1EEEvT1_
; %bb.0:
	.section	.rodata,"a",@progbits
	.p2align	6, 0x0
	.amdhsa_kernel _ZN7rocprim17ROCPRIM_400000_NS6detail17trampoline_kernelINS0_14default_configENS1_20scan_config_selectorIyEEZZNS1_9scan_implILNS1_25lookback_scan_determinismE0ELb0ELb0ES3_N6thrust23THRUST_200600_302600_NS6detail15normal_iteratorINS9_10device_ptrIyEEEENS9_16discard_iteratorINS9_11use_defaultEEEyNS9_4plusIvEEyEEDaPvRmT3_T4_T5_mT6_P12ihipStream_tbENKUlT_T0_E_clISt17integral_constantIbLb0EESW_IbLb1EEEEDaSS_ST_EUlSS_E_NS1_11comp_targetILNS1_3genE3ELNS1_11target_archE908ELNS1_3gpuE7ELNS1_3repE0EEENS1_30default_config_static_selectorELNS0_4arch9wavefront6targetE1EEEvT1_
		.amdhsa_group_segment_fixed_size 0
		.amdhsa_private_segment_fixed_size 0
		.amdhsa_kernarg_size 112
		.amdhsa_user_sgpr_count 6
		.amdhsa_user_sgpr_private_segment_buffer 1
		.amdhsa_user_sgpr_dispatch_ptr 0
		.amdhsa_user_sgpr_queue_ptr 0
		.amdhsa_user_sgpr_kernarg_segment_ptr 1
		.amdhsa_user_sgpr_dispatch_id 0
		.amdhsa_user_sgpr_flat_scratch_init 0
		.amdhsa_user_sgpr_kernarg_preload_length 0
		.amdhsa_user_sgpr_kernarg_preload_offset 0
		.amdhsa_user_sgpr_private_segment_size 0
		.amdhsa_uses_dynamic_stack 0
		.amdhsa_system_sgpr_private_segment_wavefront_offset 0
		.amdhsa_system_sgpr_workgroup_id_x 1
		.amdhsa_system_sgpr_workgroup_id_y 0
		.amdhsa_system_sgpr_workgroup_id_z 0
		.amdhsa_system_sgpr_workgroup_info 0
		.amdhsa_system_vgpr_workitem_id 0
		.amdhsa_next_free_vgpr 1
		.amdhsa_next_free_sgpr 0
		.amdhsa_accum_offset 4
		.amdhsa_reserve_vcc 0
		.amdhsa_reserve_flat_scratch 0
		.amdhsa_float_round_mode_32 0
		.amdhsa_float_round_mode_16_64 0
		.amdhsa_float_denorm_mode_32 3
		.amdhsa_float_denorm_mode_16_64 3
		.amdhsa_dx10_clamp 1
		.amdhsa_ieee_mode 1
		.amdhsa_fp16_overflow 0
		.amdhsa_tg_split 0
		.amdhsa_exception_fp_ieee_invalid_op 0
		.amdhsa_exception_fp_denorm_src 0
		.amdhsa_exception_fp_ieee_div_zero 0
		.amdhsa_exception_fp_ieee_overflow 0
		.amdhsa_exception_fp_ieee_underflow 0
		.amdhsa_exception_fp_ieee_inexact 0
		.amdhsa_exception_int_div_zero 0
	.end_amdhsa_kernel
	.section	.text._ZN7rocprim17ROCPRIM_400000_NS6detail17trampoline_kernelINS0_14default_configENS1_20scan_config_selectorIyEEZZNS1_9scan_implILNS1_25lookback_scan_determinismE0ELb0ELb0ES3_N6thrust23THRUST_200600_302600_NS6detail15normal_iteratorINS9_10device_ptrIyEEEENS9_16discard_iteratorINS9_11use_defaultEEEyNS9_4plusIvEEyEEDaPvRmT3_T4_T5_mT6_P12ihipStream_tbENKUlT_T0_E_clISt17integral_constantIbLb0EESW_IbLb1EEEEDaSS_ST_EUlSS_E_NS1_11comp_targetILNS1_3genE3ELNS1_11target_archE908ELNS1_3gpuE7ELNS1_3repE0EEENS1_30default_config_static_selectorELNS0_4arch9wavefront6targetE1EEEvT1_,"axG",@progbits,_ZN7rocprim17ROCPRIM_400000_NS6detail17trampoline_kernelINS0_14default_configENS1_20scan_config_selectorIyEEZZNS1_9scan_implILNS1_25lookback_scan_determinismE0ELb0ELb0ES3_N6thrust23THRUST_200600_302600_NS6detail15normal_iteratorINS9_10device_ptrIyEEEENS9_16discard_iteratorINS9_11use_defaultEEEyNS9_4plusIvEEyEEDaPvRmT3_T4_T5_mT6_P12ihipStream_tbENKUlT_T0_E_clISt17integral_constantIbLb0EESW_IbLb1EEEEDaSS_ST_EUlSS_E_NS1_11comp_targetILNS1_3genE3ELNS1_11target_archE908ELNS1_3gpuE7ELNS1_3repE0EEENS1_30default_config_static_selectorELNS0_4arch9wavefront6targetE1EEEvT1_,comdat
.Lfunc_end5207:
	.size	_ZN7rocprim17ROCPRIM_400000_NS6detail17trampoline_kernelINS0_14default_configENS1_20scan_config_selectorIyEEZZNS1_9scan_implILNS1_25lookback_scan_determinismE0ELb0ELb0ES3_N6thrust23THRUST_200600_302600_NS6detail15normal_iteratorINS9_10device_ptrIyEEEENS9_16discard_iteratorINS9_11use_defaultEEEyNS9_4plusIvEEyEEDaPvRmT3_T4_T5_mT6_P12ihipStream_tbENKUlT_T0_E_clISt17integral_constantIbLb0EESW_IbLb1EEEEDaSS_ST_EUlSS_E_NS1_11comp_targetILNS1_3genE3ELNS1_11target_archE908ELNS1_3gpuE7ELNS1_3repE0EEENS1_30default_config_static_selectorELNS0_4arch9wavefront6targetE1EEEvT1_, .Lfunc_end5207-_ZN7rocprim17ROCPRIM_400000_NS6detail17trampoline_kernelINS0_14default_configENS1_20scan_config_selectorIyEEZZNS1_9scan_implILNS1_25lookback_scan_determinismE0ELb0ELb0ES3_N6thrust23THRUST_200600_302600_NS6detail15normal_iteratorINS9_10device_ptrIyEEEENS9_16discard_iteratorINS9_11use_defaultEEEyNS9_4plusIvEEyEEDaPvRmT3_T4_T5_mT6_P12ihipStream_tbENKUlT_T0_E_clISt17integral_constantIbLb0EESW_IbLb1EEEEDaSS_ST_EUlSS_E_NS1_11comp_targetILNS1_3genE3ELNS1_11target_archE908ELNS1_3gpuE7ELNS1_3repE0EEENS1_30default_config_static_selectorELNS0_4arch9wavefront6targetE1EEEvT1_
                                        ; -- End function
	.section	.AMDGPU.csdata,"",@progbits
; Kernel info:
; codeLenInByte = 0
; NumSgprs: 4
; NumVgprs: 0
; NumAgprs: 0
; TotalNumVgprs: 0
; ScratchSize: 0
; MemoryBound: 0
; FloatMode: 240
; IeeeMode: 1
; LDSByteSize: 0 bytes/workgroup (compile time only)
; SGPRBlocks: 0
; VGPRBlocks: 0
; NumSGPRsForWavesPerEU: 4
; NumVGPRsForWavesPerEU: 1
; AccumOffset: 4
; Occupancy: 8
; WaveLimiterHint : 0
; COMPUTE_PGM_RSRC2:SCRATCH_EN: 0
; COMPUTE_PGM_RSRC2:USER_SGPR: 6
; COMPUTE_PGM_RSRC2:TRAP_HANDLER: 0
; COMPUTE_PGM_RSRC2:TGID_X_EN: 1
; COMPUTE_PGM_RSRC2:TGID_Y_EN: 0
; COMPUTE_PGM_RSRC2:TGID_Z_EN: 0
; COMPUTE_PGM_RSRC2:TIDIG_COMP_CNT: 0
; COMPUTE_PGM_RSRC3_GFX90A:ACCUM_OFFSET: 0
; COMPUTE_PGM_RSRC3_GFX90A:TG_SPLIT: 0
	.section	.text._ZN7rocprim17ROCPRIM_400000_NS6detail17trampoline_kernelINS0_14default_configENS1_20scan_config_selectorIyEEZZNS1_9scan_implILNS1_25lookback_scan_determinismE0ELb0ELb0ES3_N6thrust23THRUST_200600_302600_NS6detail15normal_iteratorINS9_10device_ptrIyEEEENS9_16discard_iteratorINS9_11use_defaultEEEyNS9_4plusIvEEyEEDaPvRmT3_T4_T5_mT6_P12ihipStream_tbENKUlT_T0_E_clISt17integral_constantIbLb0EESW_IbLb1EEEEDaSS_ST_EUlSS_E_NS1_11comp_targetILNS1_3genE2ELNS1_11target_archE906ELNS1_3gpuE6ELNS1_3repE0EEENS1_30default_config_static_selectorELNS0_4arch9wavefront6targetE1EEEvT1_,"axG",@progbits,_ZN7rocprim17ROCPRIM_400000_NS6detail17trampoline_kernelINS0_14default_configENS1_20scan_config_selectorIyEEZZNS1_9scan_implILNS1_25lookback_scan_determinismE0ELb0ELb0ES3_N6thrust23THRUST_200600_302600_NS6detail15normal_iteratorINS9_10device_ptrIyEEEENS9_16discard_iteratorINS9_11use_defaultEEEyNS9_4plusIvEEyEEDaPvRmT3_T4_T5_mT6_P12ihipStream_tbENKUlT_T0_E_clISt17integral_constantIbLb0EESW_IbLb1EEEEDaSS_ST_EUlSS_E_NS1_11comp_targetILNS1_3genE2ELNS1_11target_archE906ELNS1_3gpuE6ELNS1_3repE0EEENS1_30default_config_static_selectorELNS0_4arch9wavefront6targetE1EEEvT1_,comdat
	.protected	_ZN7rocprim17ROCPRIM_400000_NS6detail17trampoline_kernelINS0_14default_configENS1_20scan_config_selectorIyEEZZNS1_9scan_implILNS1_25lookback_scan_determinismE0ELb0ELb0ES3_N6thrust23THRUST_200600_302600_NS6detail15normal_iteratorINS9_10device_ptrIyEEEENS9_16discard_iteratorINS9_11use_defaultEEEyNS9_4plusIvEEyEEDaPvRmT3_T4_T5_mT6_P12ihipStream_tbENKUlT_T0_E_clISt17integral_constantIbLb0EESW_IbLb1EEEEDaSS_ST_EUlSS_E_NS1_11comp_targetILNS1_3genE2ELNS1_11target_archE906ELNS1_3gpuE6ELNS1_3repE0EEENS1_30default_config_static_selectorELNS0_4arch9wavefront6targetE1EEEvT1_ ; -- Begin function _ZN7rocprim17ROCPRIM_400000_NS6detail17trampoline_kernelINS0_14default_configENS1_20scan_config_selectorIyEEZZNS1_9scan_implILNS1_25lookback_scan_determinismE0ELb0ELb0ES3_N6thrust23THRUST_200600_302600_NS6detail15normal_iteratorINS9_10device_ptrIyEEEENS9_16discard_iteratorINS9_11use_defaultEEEyNS9_4plusIvEEyEEDaPvRmT3_T4_T5_mT6_P12ihipStream_tbENKUlT_T0_E_clISt17integral_constantIbLb0EESW_IbLb1EEEEDaSS_ST_EUlSS_E_NS1_11comp_targetILNS1_3genE2ELNS1_11target_archE906ELNS1_3gpuE6ELNS1_3repE0EEENS1_30default_config_static_selectorELNS0_4arch9wavefront6targetE1EEEvT1_
	.globl	_ZN7rocprim17ROCPRIM_400000_NS6detail17trampoline_kernelINS0_14default_configENS1_20scan_config_selectorIyEEZZNS1_9scan_implILNS1_25lookback_scan_determinismE0ELb0ELb0ES3_N6thrust23THRUST_200600_302600_NS6detail15normal_iteratorINS9_10device_ptrIyEEEENS9_16discard_iteratorINS9_11use_defaultEEEyNS9_4plusIvEEyEEDaPvRmT3_T4_T5_mT6_P12ihipStream_tbENKUlT_T0_E_clISt17integral_constantIbLb0EESW_IbLb1EEEEDaSS_ST_EUlSS_E_NS1_11comp_targetILNS1_3genE2ELNS1_11target_archE906ELNS1_3gpuE6ELNS1_3repE0EEENS1_30default_config_static_selectorELNS0_4arch9wavefront6targetE1EEEvT1_
	.p2align	8
	.type	_ZN7rocprim17ROCPRIM_400000_NS6detail17trampoline_kernelINS0_14default_configENS1_20scan_config_selectorIyEEZZNS1_9scan_implILNS1_25lookback_scan_determinismE0ELb0ELb0ES3_N6thrust23THRUST_200600_302600_NS6detail15normal_iteratorINS9_10device_ptrIyEEEENS9_16discard_iteratorINS9_11use_defaultEEEyNS9_4plusIvEEyEEDaPvRmT3_T4_T5_mT6_P12ihipStream_tbENKUlT_T0_E_clISt17integral_constantIbLb0EESW_IbLb1EEEEDaSS_ST_EUlSS_E_NS1_11comp_targetILNS1_3genE2ELNS1_11target_archE906ELNS1_3gpuE6ELNS1_3repE0EEENS1_30default_config_static_selectorELNS0_4arch9wavefront6targetE1EEEvT1_,@function
_ZN7rocprim17ROCPRIM_400000_NS6detail17trampoline_kernelINS0_14default_configENS1_20scan_config_selectorIyEEZZNS1_9scan_implILNS1_25lookback_scan_determinismE0ELb0ELb0ES3_N6thrust23THRUST_200600_302600_NS6detail15normal_iteratorINS9_10device_ptrIyEEEENS9_16discard_iteratorINS9_11use_defaultEEEyNS9_4plusIvEEyEEDaPvRmT3_T4_T5_mT6_P12ihipStream_tbENKUlT_T0_E_clISt17integral_constantIbLb0EESW_IbLb1EEEEDaSS_ST_EUlSS_E_NS1_11comp_targetILNS1_3genE2ELNS1_11target_archE906ELNS1_3gpuE6ELNS1_3repE0EEENS1_30default_config_static_selectorELNS0_4arch9wavefront6targetE1EEEvT1_: ; @_ZN7rocprim17ROCPRIM_400000_NS6detail17trampoline_kernelINS0_14default_configENS1_20scan_config_selectorIyEEZZNS1_9scan_implILNS1_25lookback_scan_determinismE0ELb0ELb0ES3_N6thrust23THRUST_200600_302600_NS6detail15normal_iteratorINS9_10device_ptrIyEEEENS9_16discard_iteratorINS9_11use_defaultEEEyNS9_4plusIvEEyEEDaPvRmT3_T4_T5_mT6_P12ihipStream_tbENKUlT_T0_E_clISt17integral_constantIbLb0EESW_IbLb1EEEEDaSS_ST_EUlSS_E_NS1_11comp_targetILNS1_3genE2ELNS1_11target_archE906ELNS1_3gpuE6ELNS1_3repE0EEENS1_30default_config_static_selectorELNS0_4arch9wavefront6targetE1EEEvT1_
; %bb.0:
	.section	.rodata,"a",@progbits
	.p2align	6, 0x0
	.amdhsa_kernel _ZN7rocprim17ROCPRIM_400000_NS6detail17trampoline_kernelINS0_14default_configENS1_20scan_config_selectorIyEEZZNS1_9scan_implILNS1_25lookback_scan_determinismE0ELb0ELb0ES3_N6thrust23THRUST_200600_302600_NS6detail15normal_iteratorINS9_10device_ptrIyEEEENS9_16discard_iteratorINS9_11use_defaultEEEyNS9_4plusIvEEyEEDaPvRmT3_T4_T5_mT6_P12ihipStream_tbENKUlT_T0_E_clISt17integral_constantIbLb0EESW_IbLb1EEEEDaSS_ST_EUlSS_E_NS1_11comp_targetILNS1_3genE2ELNS1_11target_archE906ELNS1_3gpuE6ELNS1_3repE0EEENS1_30default_config_static_selectorELNS0_4arch9wavefront6targetE1EEEvT1_
		.amdhsa_group_segment_fixed_size 0
		.amdhsa_private_segment_fixed_size 0
		.amdhsa_kernarg_size 112
		.amdhsa_user_sgpr_count 6
		.amdhsa_user_sgpr_private_segment_buffer 1
		.amdhsa_user_sgpr_dispatch_ptr 0
		.amdhsa_user_sgpr_queue_ptr 0
		.amdhsa_user_sgpr_kernarg_segment_ptr 1
		.amdhsa_user_sgpr_dispatch_id 0
		.amdhsa_user_sgpr_flat_scratch_init 0
		.amdhsa_user_sgpr_kernarg_preload_length 0
		.amdhsa_user_sgpr_kernarg_preload_offset 0
		.amdhsa_user_sgpr_private_segment_size 0
		.amdhsa_uses_dynamic_stack 0
		.amdhsa_system_sgpr_private_segment_wavefront_offset 0
		.amdhsa_system_sgpr_workgroup_id_x 1
		.amdhsa_system_sgpr_workgroup_id_y 0
		.amdhsa_system_sgpr_workgroup_id_z 0
		.amdhsa_system_sgpr_workgroup_info 0
		.amdhsa_system_vgpr_workitem_id 0
		.amdhsa_next_free_vgpr 1
		.amdhsa_next_free_sgpr 0
		.amdhsa_accum_offset 4
		.amdhsa_reserve_vcc 0
		.amdhsa_reserve_flat_scratch 0
		.amdhsa_float_round_mode_32 0
		.amdhsa_float_round_mode_16_64 0
		.amdhsa_float_denorm_mode_32 3
		.amdhsa_float_denorm_mode_16_64 3
		.amdhsa_dx10_clamp 1
		.amdhsa_ieee_mode 1
		.amdhsa_fp16_overflow 0
		.amdhsa_tg_split 0
		.amdhsa_exception_fp_ieee_invalid_op 0
		.amdhsa_exception_fp_denorm_src 0
		.amdhsa_exception_fp_ieee_div_zero 0
		.amdhsa_exception_fp_ieee_overflow 0
		.amdhsa_exception_fp_ieee_underflow 0
		.amdhsa_exception_fp_ieee_inexact 0
		.amdhsa_exception_int_div_zero 0
	.end_amdhsa_kernel
	.section	.text._ZN7rocprim17ROCPRIM_400000_NS6detail17trampoline_kernelINS0_14default_configENS1_20scan_config_selectorIyEEZZNS1_9scan_implILNS1_25lookback_scan_determinismE0ELb0ELb0ES3_N6thrust23THRUST_200600_302600_NS6detail15normal_iteratorINS9_10device_ptrIyEEEENS9_16discard_iteratorINS9_11use_defaultEEEyNS9_4plusIvEEyEEDaPvRmT3_T4_T5_mT6_P12ihipStream_tbENKUlT_T0_E_clISt17integral_constantIbLb0EESW_IbLb1EEEEDaSS_ST_EUlSS_E_NS1_11comp_targetILNS1_3genE2ELNS1_11target_archE906ELNS1_3gpuE6ELNS1_3repE0EEENS1_30default_config_static_selectorELNS0_4arch9wavefront6targetE1EEEvT1_,"axG",@progbits,_ZN7rocprim17ROCPRIM_400000_NS6detail17trampoline_kernelINS0_14default_configENS1_20scan_config_selectorIyEEZZNS1_9scan_implILNS1_25lookback_scan_determinismE0ELb0ELb0ES3_N6thrust23THRUST_200600_302600_NS6detail15normal_iteratorINS9_10device_ptrIyEEEENS9_16discard_iteratorINS9_11use_defaultEEEyNS9_4plusIvEEyEEDaPvRmT3_T4_T5_mT6_P12ihipStream_tbENKUlT_T0_E_clISt17integral_constantIbLb0EESW_IbLb1EEEEDaSS_ST_EUlSS_E_NS1_11comp_targetILNS1_3genE2ELNS1_11target_archE906ELNS1_3gpuE6ELNS1_3repE0EEENS1_30default_config_static_selectorELNS0_4arch9wavefront6targetE1EEEvT1_,comdat
.Lfunc_end5208:
	.size	_ZN7rocprim17ROCPRIM_400000_NS6detail17trampoline_kernelINS0_14default_configENS1_20scan_config_selectorIyEEZZNS1_9scan_implILNS1_25lookback_scan_determinismE0ELb0ELb0ES3_N6thrust23THRUST_200600_302600_NS6detail15normal_iteratorINS9_10device_ptrIyEEEENS9_16discard_iteratorINS9_11use_defaultEEEyNS9_4plusIvEEyEEDaPvRmT3_T4_T5_mT6_P12ihipStream_tbENKUlT_T0_E_clISt17integral_constantIbLb0EESW_IbLb1EEEEDaSS_ST_EUlSS_E_NS1_11comp_targetILNS1_3genE2ELNS1_11target_archE906ELNS1_3gpuE6ELNS1_3repE0EEENS1_30default_config_static_selectorELNS0_4arch9wavefront6targetE1EEEvT1_, .Lfunc_end5208-_ZN7rocprim17ROCPRIM_400000_NS6detail17trampoline_kernelINS0_14default_configENS1_20scan_config_selectorIyEEZZNS1_9scan_implILNS1_25lookback_scan_determinismE0ELb0ELb0ES3_N6thrust23THRUST_200600_302600_NS6detail15normal_iteratorINS9_10device_ptrIyEEEENS9_16discard_iteratorINS9_11use_defaultEEEyNS9_4plusIvEEyEEDaPvRmT3_T4_T5_mT6_P12ihipStream_tbENKUlT_T0_E_clISt17integral_constantIbLb0EESW_IbLb1EEEEDaSS_ST_EUlSS_E_NS1_11comp_targetILNS1_3genE2ELNS1_11target_archE906ELNS1_3gpuE6ELNS1_3repE0EEENS1_30default_config_static_selectorELNS0_4arch9wavefront6targetE1EEEvT1_
                                        ; -- End function
	.section	.AMDGPU.csdata,"",@progbits
; Kernel info:
; codeLenInByte = 0
; NumSgprs: 4
; NumVgprs: 0
; NumAgprs: 0
; TotalNumVgprs: 0
; ScratchSize: 0
; MemoryBound: 0
; FloatMode: 240
; IeeeMode: 1
; LDSByteSize: 0 bytes/workgroup (compile time only)
; SGPRBlocks: 0
; VGPRBlocks: 0
; NumSGPRsForWavesPerEU: 4
; NumVGPRsForWavesPerEU: 1
; AccumOffset: 4
; Occupancy: 8
; WaveLimiterHint : 0
; COMPUTE_PGM_RSRC2:SCRATCH_EN: 0
; COMPUTE_PGM_RSRC2:USER_SGPR: 6
; COMPUTE_PGM_RSRC2:TRAP_HANDLER: 0
; COMPUTE_PGM_RSRC2:TGID_X_EN: 1
; COMPUTE_PGM_RSRC2:TGID_Y_EN: 0
; COMPUTE_PGM_RSRC2:TGID_Z_EN: 0
; COMPUTE_PGM_RSRC2:TIDIG_COMP_CNT: 0
; COMPUTE_PGM_RSRC3_GFX90A:ACCUM_OFFSET: 0
; COMPUTE_PGM_RSRC3_GFX90A:TG_SPLIT: 0
	.section	.text._ZN7rocprim17ROCPRIM_400000_NS6detail17trampoline_kernelINS0_14default_configENS1_20scan_config_selectorIyEEZZNS1_9scan_implILNS1_25lookback_scan_determinismE0ELb0ELb0ES3_N6thrust23THRUST_200600_302600_NS6detail15normal_iteratorINS9_10device_ptrIyEEEENS9_16discard_iteratorINS9_11use_defaultEEEyNS9_4plusIvEEyEEDaPvRmT3_T4_T5_mT6_P12ihipStream_tbENKUlT_T0_E_clISt17integral_constantIbLb0EESW_IbLb1EEEEDaSS_ST_EUlSS_E_NS1_11comp_targetILNS1_3genE10ELNS1_11target_archE1201ELNS1_3gpuE5ELNS1_3repE0EEENS1_30default_config_static_selectorELNS0_4arch9wavefront6targetE1EEEvT1_,"axG",@progbits,_ZN7rocprim17ROCPRIM_400000_NS6detail17trampoline_kernelINS0_14default_configENS1_20scan_config_selectorIyEEZZNS1_9scan_implILNS1_25lookback_scan_determinismE0ELb0ELb0ES3_N6thrust23THRUST_200600_302600_NS6detail15normal_iteratorINS9_10device_ptrIyEEEENS9_16discard_iteratorINS9_11use_defaultEEEyNS9_4plusIvEEyEEDaPvRmT3_T4_T5_mT6_P12ihipStream_tbENKUlT_T0_E_clISt17integral_constantIbLb0EESW_IbLb1EEEEDaSS_ST_EUlSS_E_NS1_11comp_targetILNS1_3genE10ELNS1_11target_archE1201ELNS1_3gpuE5ELNS1_3repE0EEENS1_30default_config_static_selectorELNS0_4arch9wavefront6targetE1EEEvT1_,comdat
	.protected	_ZN7rocprim17ROCPRIM_400000_NS6detail17trampoline_kernelINS0_14default_configENS1_20scan_config_selectorIyEEZZNS1_9scan_implILNS1_25lookback_scan_determinismE0ELb0ELb0ES3_N6thrust23THRUST_200600_302600_NS6detail15normal_iteratorINS9_10device_ptrIyEEEENS9_16discard_iteratorINS9_11use_defaultEEEyNS9_4plusIvEEyEEDaPvRmT3_T4_T5_mT6_P12ihipStream_tbENKUlT_T0_E_clISt17integral_constantIbLb0EESW_IbLb1EEEEDaSS_ST_EUlSS_E_NS1_11comp_targetILNS1_3genE10ELNS1_11target_archE1201ELNS1_3gpuE5ELNS1_3repE0EEENS1_30default_config_static_selectorELNS0_4arch9wavefront6targetE1EEEvT1_ ; -- Begin function _ZN7rocprim17ROCPRIM_400000_NS6detail17trampoline_kernelINS0_14default_configENS1_20scan_config_selectorIyEEZZNS1_9scan_implILNS1_25lookback_scan_determinismE0ELb0ELb0ES3_N6thrust23THRUST_200600_302600_NS6detail15normal_iteratorINS9_10device_ptrIyEEEENS9_16discard_iteratorINS9_11use_defaultEEEyNS9_4plusIvEEyEEDaPvRmT3_T4_T5_mT6_P12ihipStream_tbENKUlT_T0_E_clISt17integral_constantIbLb0EESW_IbLb1EEEEDaSS_ST_EUlSS_E_NS1_11comp_targetILNS1_3genE10ELNS1_11target_archE1201ELNS1_3gpuE5ELNS1_3repE0EEENS1_30default_config_static_selectorELNS0_4arch9wavefront6targetE1EEEvT1_
	.globl	_ZN7rocprim17ROCPRIM_400000_NS6detail17trampoline_kernelINS0_14default_configENS1_20scan_config_selectorIyEEZZNS1_9scan_implILNS1_25lookback_scan_determinismE0ELb0ELb0ES3_N6thrust23THRUST_200600_302600_NS6detail15normal_iteratorINS9_10device_ptrIyEEEENS9_16discard_iteratorINS9_11use_defaultEEEyNS9_4plusIvEEyEEDaPvRmT3_T4_T5_mT6_P12ihipStream_tbENKUlT_T0_E_clISt17integral_constantIbLb0EESW_IbLb1EEEEDaSS_ST_EUlSS_E_NS1_11comp_targetILNS1_3genE10ELNS1_11target_archE1201ELNS1_3gpuE5ELNS1_3repE0EEENS1_30default_config_static_selectorELNS0_4arch9wavefront6targetE1EEEvT1_
	.p2align	8
	.type	_ZN7rocprim17ROCPRIM_400000_NS6detail17trampoline_kernelINS0_14default_configENS1_20scan_config_selectorIyEEZZNS1_9scan_implILNS1_25lookback_scan_determinismE0ELb0ELb0ES3_N6thrust23THRUST_200600_302600_NS6detail15normal_iteratorINS9_10device_ptrIyEEEENS9_16discard_iteratorINS9_11use_defaultEEEyNS9_4plusIvEEyEEDaPvRmT3_T4_T5_mT6_P12ihipStream_tbENKUlT_T0_E_clISt17integral_constantIbLb0EESW_IbLb1EEEEDaSS_ST_EUlSS_E_NS1_11comp_targetILNS1_3genE10ELNS1_11target_archE1201ELNS1_3gpuE5ELNS1_3repE0EEENS1_30default_config_static_selectorELNS0_4arch9wavefront6targetE1EEEvT1_,@function
_ZN7rocprim17ROCPRIM_400000_NS6detail17trampoline_kernelINS0_14default_configENS1_20scan_config_selectorIyEEZZNS1_9scan_implILNS1_25lookback_scan_determinismE0ELb0ELb0ES3_N6thrust23THRUST_200600_302600_NS6detail15normal_iteratorINS9_10device_ptrIyEEEENS9_16discard_iteratorINS9_11use_defaultEEEyNS9_4plusIvEEyEEDaPvRmT3_T4_T5_mT6_P12ihipStream_tbENKUlT_T0_E_clISt17integral_constantIbLb0EESW_IbLb1EEEEDaSS_ST_EUlSS_E_NS1_11comp_targetILNS1_3genE10ELNS1_11target_archE1201ELNS1_3gpuE5ELNS1_3repE0EEENS1_30default_config_static_selectorELNS0_4arch9wavefront6targetE1EEEvT1_: ; @_ZN7rocprim17ROCPRIM_400000_NS6detail17trampoline_kernelINS0_14default_configENS1_20scan_config_selectorIyEEZZNS1_9scan_implILNS1_25lookback_scan_determinismE0ELb0ELb0ES3_N6thrust23THRUST_200600_302600_NS6detail15normal_iteratorINS9_10device_ptrIyEEEENS9_16discard_iteratorINS9_11use_defaultEEEyNS9_4plusIvEEyEEDaPvRmT3_T4_T5_mT6_P12ihipStream_tbENKUlT_T0_E_clISt17integral_constantIbLb0EESW_IbLb1EEEEDaSS_ST_EUlSS_E_NS1_11comp_targetILNS1_3genE10ELNS1_11target_archE1201ELNS1_3gpuE5ELNS1_3repE0EEENS1_30default_config_static_selectorELNS0_4arch9wavefront6targetE1EEEvT1_
; %bb.0:
	.section	.rodata,"a",@progbits
	.p2align	6, 0x0
	.amdhsa_kernel _ZN7rocprim17ROCPRIM_400000_NS6detail17trampoline_kernelINS0_14default_configENS1_20scan_config_selectorIyEEZZNS1_9scan_implILNS1_25lookback_scan_determinismE0ELb0ELb0ES3_N6thrust23THRUST_200600_302600_NS6detail15normal_iteratorINS9_10device_ptrIyEEEENS9_16discard_iteratorINS9_11use_defaultEEEyNS9_4plusIvEEyEEDaPvRmT3_T4_T5_mT6_P12ihipStream_tbENKUlT_T0_E_clISt17integral_constantIbLb0EESW_IbLb1EEEEDaSS_ST_EUlSS_E_NS1_11comp_targetILNS1_3genE10ELNS1_11target_archE1201ELNS1_3gpuE5ELNS1_3repE0EEENS1_30default_config_static_selectorELNS0_4arch9wavefront6targetE1EEEvT1_
		.amdhsa_group_segment_fixed_size 0
		.amdhsa_private_segment_fixed_size 0
		.amdhsa_kernarg_size 112
		.amdhsa_user_sgpr_count 6
		.amdhsa_user_sgpr_private_segment_buffer 1
		.amdhsa_user_sgpr_dispatch_ptr 0
		.amdhsa_user_sgpr_queue_ptr 0
		.amdhsa_user_sgpr_kernarg_segment_ptr 1
		.amdhsa_user_sgpr_dispatch_id 0
		.amdhsa_user_sgpr_flat_scratch_init 0
		.amdhsa_user_sgpr_kernarg_preload_length 0
		.amdhsa_user_sgpr_kernarg_preload_offset 0
		.amdhsa_user_sgpr_private_segment_size 0
		.amdhsa_uses_dynamic_stack 0
		.amdhsa_system_sgpr_private_segment_wavefront_offset 0
		.amdhsa_system_sgpr_workgroup_id_x 1
		.amdhsa_system_sgpr_workgroup_id_y 0
		.amdhsa_system_sgpr_workgroup_id_z 0
		.amdhsa_system_sgpr_workgroup_info 0
		.amdhsa_system_vgpr_workitem_id 0
		.amdhsa_next_free_vgpr 1
		.amdhsa_next_free_sgpr 0
		.amdhsa_accum_offset 4
		.amdhsa_reserve_vcc 0
		.amdhsa_reserve_flat_scratch 0
		.amdhsa_float_round_mode_32 0
		.amdhsa_float_round_mode_16_64 0
		.amdhsa_float_denorm_mode_32 3
		.amdhsa_float_denorm_mode_16_64 3
		.amdhsa_dx10_clamp 1
		.amdhsa_ieee_mode 1
		.amdhsa_fp16_overflow 0
		.amdhsa_tg_split 0
		.amdhsa_exception_fp_ieee_invalid_op 0
		.amdhsa_exception_fp_denorm_src 0
		.amdhsa_exception_fp_ieee_div_zero 0
		.amdhsa_exception_fp_ieee_overflow 0
		.amdhsa_exception_fp_ieee_underflow 0
		.amdhsa_exception_fp_ieee_inexact 0
		.amdhsa_exception_int_div_zero 0
	.end_amdhsa_kernel
	.section	.text._ZN7rocprim17ROCPRIM_400000_NS6detail17trampoline_kernelINS0_14default_configENS1_20scan_config_selectorIyEEZZNS1_9scan_implILNS1_25lookback_scan_determinismE0ELb0ELb0ES3_N6thrust23THRUST_200600_302600_NS6detail15normal_iteratorINS9_10device_ptrIyEEEENS9_16discard_iteratorINS9_11use_defaultEEEyNS9_4plusIvEEyEEDaPvRmT3_T4_T5_mT6_P12ihipStream_tbENKUlT_T0_E_clISt17integral_constantIbLb0EESW_IbLb1EEEEDaSS_ST_EUlSS_E_NS1_11comp_targetILNS1_3genE10ELNS1_11target_archE1201ELNS1_3gpuE5ELNS1_3repE0EEENS1_30default_config_static_selectorELNS0_4arch9wavefront6targetE1EEEvT1_,"axG",@progbits,_ZN7rocprim17ROCPRIM_400000_NS6detail17trampoline_kernelINS0_14default_configENS1_20scan_config_selectorIyEEZZNS1_9scan_implILNS1_25lookback_scan_determinismE0ELb0ELb0ES3_N6thrust23THRUST_200600_302600_NS6detail15normal_iteratorINS9_10device_ptrIyEEEENS9_16discard_iteratorINS9_11use_defaultEEEyNS9_4plusIvEEyEEDaPvRmT3_T4_T5_mT6_P12ihipStream_tbENKUlT_T0_E_clISt17integral_constantIbLb0EESW_IbLb1EEEEDaSS_ST_EUlSS_E_NS1_11comp_targetILNS1_3genE10ELNS1_11target_archE1201ELNS1_3gpuE5ELNS1_3repE0EEENS1_30default_config_static_selectorELNS0_4arch9wavefront6targetE1EEEvT1_,comdat
.Lfunc_end5209:
	.size	_ZN7rocprim17ROCPRIM_400000_NS6detail17trampoline_kernelINS0_14default_configENS1_20scan_config_selectorIyEEZZNS1_9scan_implILNS1_25lookback_scan_determinismE0ELb0ELb0ES3_N6thrust23THRUST_200600_302600_NS6detail15normal_iteratorINS9_10device_ptrIyEEEENS9_16discard_iteratorINS9_11use_defaultEEEyNS9_4plusIvEEyEEDaPvRmT3_T4_T5_mT6_P12ihipStream_tbENKUlT_T0_E_clISt17integral_constantIbLb0EESW_IbLb1EEEEDaSS_ST_EUlSS_E_NS1_11comp_targetILNS1_3genE10ELNS1_11target_archE1201ELNS1_3gpuE5ELNS1_3repE0EEENS1_30default_config_static_selectorELNS0_4arch9wavefront6targetE1EEEvT1_, .Lfunc_end5209-_ZN7rocprim17ROCPRIM_400000_NS6detail17trampoline_kernelINS0_14default_configENS1_20scan_config_selectorIyEEZZNS1_9scan_implILNS1_25lookback_scan_determinismE0ELb0ELb0ES3_N6thrust23THRUST_200600_302600_NS6detail15normal_iteratorINS9_10device_ptrIyEEEENS9_16discard_iteratorINS9_11use_defaultEEEyNS9_4plusIvEEyEEDaPvRmT3_T4_T5_mT6_P12ihipStream_tbENKUlT_T0_E_clISt17integral_constantIbLb0EESW_IbLb1EEEEDaSS_ST_EUlSS_E_NS1_11comp_targetILNS1_3genE10ELNS1_11target_archE1201ELNS1_3gpuE5ELNS1_3repE0EEENS1_30default_config_static_selectorELNS0_4arch9wavefront6targetE1EEEvT1_
                                        ; -- End function
	.section	.AMDGPU.csdata,"",@progbits
; Kernel info:
; codeLenInByte = 0
; NumSgprs: 4
; NumVgprs: 0
; NumAgprs: 0
; TotalNumVgprs: 0
; ScratchSize: 0
; MemoryBound: 0
; FloatMode: 240
; IeeeMode: 1
; LDSByteSize: 0 bytes/workgroup (compile time only)
; SGPRBlocks: 0
; VGPRBlocks: 0
; NumSGPRsForWavesPerEU: 4
; NumVGPRsForWavesPerEU: 1
; AccumOffset: 4
; Occupancy: 8
; WaveLimiterHint : 0
; COMPUTE_PGM_RSRC2:SCRATCH_EN: 0
; COMPUTE_PGM_RSRC2:USER_SGPR: 6
; COMPUTE_PGM_RSRC2:TRAP_HANDLER: 0
; COMPUTE_PGM_RSRC2:TGID_X_EN: 1
; COMPUTE_PGM_RSRC2:TGID_Y_EN: 0
; COMPUTE_PGM_RSRC2:TGID_Z_EN: 0
; COMPUTE_PGM_RSRC2:TIDIG_COMP_CNT: 0
; COMPUTE_PGM_RSRC3_GFX90A:ACCUM_OFFSET: 0
; COMPUTE_PGM_RSRC3_GFX90A:TG_SPLIT: 0
	.section	.text._ZN7rocprim17ROCPRIM_400000_NS6detail17trampoline_kernelINS0_14default_configENS1_20scan_config_selectorIyEEZZNS1_9scan_implILNS1_25lookback_scan_determinismE0ELb0ELb0ES3_N6thrust23THRUST_200600_302600_NS6detail15normal_iteratorINS9_10device_ptrIyEEEENS9_16discard_iteratorINS9_11use_defaultEEEyNS9_4plusIvEEyEEDaPvRmT3_T4_T5_mT6_P12ihipStream_tbENKUlT_T0_E_clISt17integral_constantIbLb0EESW_IbLb1EEEEDaSS_ST_EUlSS_E_NS1_11comp_targetILNS1_3genE10ELNS1_11target_archE1200ELNS1_3gpuE4ELNS1_3repE0EEENS1_30default_config_static_selectorELNS0_4arch9wavefront6targetE1EEEvT1_,"axG",@progbits,_ZN7rocprim17ROCPRIM_400000_NS6detail17trampoline_kernelINS0_14default_configENS1_20scan_config_selectorIyEEZZNS1_9scan_implILNS1_25lookback_scan_determinismE0ELb0ELb0ES3_N6thrust23THRUST_200600_302600_NS6detail15normal_iteratorINS9_10device_ptrIyEEEENS9_16discard_iteratorINS9_11use_defaultEEEyNS9_4plusIvEEyEEDaPvRmT3_T4_T5_mT6_P12ihipStream_tbENKUlT_T0_E_clISt17integral_constantIbLb0EESW_IbLb1EEEEDaSS_ST_EUlSS_E_NS1_11comp_targetILNS1_3genE10ELNS1_11target_archE1200ELNS1_3gpuE4ELNS1_3repE0EEENS1_30default_config_static_selectorELNS0_4arch9wavefront6targetE1EEEvT1_,comdat
	.protected	_ZN7rocprim17ROCPRIM_400000_NS6detail17trampoline_kernelINS0_14default_configENS1_20scan_config_selectorIyEEZZNS1_9scan_implILNS1_25lookback_scan_determinismE0ELb0ELb0ES3_N6thrust23THRUST_200600_302600_NS6detail15normal_iteratorINS9_10device_ptrIyEEEENS9_16discard_iteratorINS9_11use_defaultEEEyNS9_4plusIvEEyEEDaPvRmT3_T4_T5_mT6_P12ihipStream_tbENKUlT_T0_E_clISt17integral_constantIbLb0EESW_IbLb1EEEEDaSS_ST_EUlSS_E_NS1_11comp_targetILNS1_3genE10ELNS1_11target_archE1200ELNS1_3gpuE4ELNS1_3repE0EEENS1_30default_config_static_selectorELNS0_4arch9wavefront6targetE1EEEvT1_ ; -- Begin function _ZN7rocprim17ROCPRIM_400000_NS6detail17trampoline_kernelINS0_14default_configENS1_20scan_config_selectorIyEEZZNS1_9scan_implILNS1_25lookback_scan_determinismE0ELb0ELb0ES3_N6thrust23THRUST_200600_302600_NS6detail15normal_iteratorINS9_10device_ptrIyEEEENS9_16discard_iteratorINS9_11use_defaultEEEyNS9_4plusIvEEyEEDaPvRmT3_T4_T5_mT6_P12ihipStream_tbENKUlT_T0_E_clISt17integral_constantIbLb0EESW_IbLb1EEEEDaSS_ST_EUlSS_E_NS1_11comp_targetILNS1_3genE10ELNS1_11target_archE1200ELNS1_3gpuE4ELNS1_3repE0EEENS1_30default_config_static_selectorELNS0_4arch9wavefront6targetE1EEEvT1_
	.globl	_ZN7rocprim17ROCPRIM_400000_NS6detail17trampoline_kernelINS0_14default_configENS1_20scan_config_selectorIyEEZZNS1_9scan_implILNS1_25lookback_scan_determinismE0ELb0ELb0ES3_N6thrust23THRUST_200600_302600_NS6detail15normal_iteratorINS9_10device_ptrIyEEEENS9_16discard_iteratorINS9_11use_defaultEEEyNS9_4plusIvEEyEEDaPvRmT3_T4_T5_mT6_P12ihipStream_tbENKUlT_T0_E_clISt17integral_constantIbLb0EESW_IbLb1EEEEDaSS_ST_EUlSS_E_NS1_11comp_targetILNS1_3genE10ELNS1_11target_archE1200ELNS1_3gpuE4ELNS1_3repE0EEENS1_30default_config_static_selectorELNS0_4arch9wavefront6targetE1EEEvT1_
	.p2align	8
	.type	_ZN7rocprim17ROCPRIM_400000_NS6detail17trampoline_kernelINS0_14default_configENS1_20scan_config_selectorIyEEZZNS1_9scan_implILNS1_25lookback_scan_determinismE0ELb0ELb0ES3_N6thrust23THRUST_200600_302600_NS6detail15normal_iteratorINS9_10device_ptrIyEEEENS9_16discard_iteratorINS9_11use_defaultEEEyNS9_4plusIvEEyEEDaPvRmT3_T4_T5_mT6_P12ihipStream_tbENKUlT_T0_E_clISt17integral_constantIbLb0EESW_IbLb1EEEEDaSS_ST_EUlSS_E_NS1_11comp_targetILNS1_3genE10ELNS1_11target_archE1200ELNS1_3gpuE4ELNS1_3repE0EEENS1_30default_config_static_selectorELNS0_4arch9wavefront6targetE1EEEvT1_,@function
_ZN7rocprim17ROCPRIM_400000_NS6detail17trampoline_kernelINS0_14default_configENS1_20scan_config_selectorIyEEZZNS1_9scan_implILNS1_25lookback_scan_determinismE0ELb0ELb0ES3_N6thrust23THRUST_200600_302600_NS6detail15normal_iteratorINS9_10device_ptrIyEEEENS9_16discard_iteratorINS9_11use_defaultEEEyNS9_4plusIvEEyEEDaPvRmT3_T4_T5_mT6_P12ihipStream_tbENKUlT_T0_E_clISt17integral_constantIbLb0EESW_IbLb1EEEEDaSS_ST_EUlSS_E_NS1_11comp_targetILNS1_3genE10ELNS1_11target_archE1200ELNS1_3gpuE4ELNS1_3repE0EEENS1_30default_config_static_selectorELNS0_4arch9wavefront6targetE1EEEvT1_: ; @_ZN7rocprim17ROCPRIM_400000_NS6detail17trampoline_kernelINS0_14default_configENS1_20scan_config_selectorIyEEZZNS1_9scan_implILNS1_25lookback_scan_determinismE0ELb0ELb0ES3_N6thrust23THRUST_200600_302600_NS6detail15normal_iteratorINS9_10device_ptrIyEEEENS9_16discard_iteratorINS9_11use_defaultEEEyNS9_4plusIvEEyEEDaPvRmT3_T4_T5_mT6_P12ihipStream_tbENKUlT_T0_E_clISt17integral_constantIbLb0EESW_IbLb1EEEEDaSS_ST_EUlSS_E_NS1_11comp_targetILNS1_3genE10ELNS1_11target_archE1200ELNS1_3gpuE4ELNS1_3repE0EEENS1_30default_config_static_selectorELNS0_4arch9wavefront6targetE1EEEvT1_
; %bb.0:
	.section	.rodata,"a",@progbits
	.p2align	6, 0x0
	.amdhsa_kernel _ZN7rocprim17ROCPRIM_400000_NS6detail17trampoline_kernelINS0_14default_configENS1_20scan_config_selectorIyEEZZNS1_9scan_implILNS1_25lookback_scan_determinismE0ELb0ELb0ES3_N6thrust23THRUST_200600_302600_NS6detail15normal_iteratorINS9_10device_ptrIyEEEENS9_16discard_iteratorINS9_11use_defaultEEEyNS9_4plusIvEEyEEDaPvRmT3_T4_T5_mT6_P12ihipStream_tbENKUlT_T0_E_clISt17integral_constantIbLb0EESW_IbLb1EEEEDaSS_ST_EUlSS_E_NS1_11comp_targetILNS1_3genE10ELNS1_11target_archE1200ELNS1_3gpuE4ELNS1_3repE0EEENS1_30default_config_static_selectorELNS0_4arch9wavefront6targetE1EEEvT1_
		.amdhsa_group_segment_fixed_size 0
		.amdhsa_private_segment_fixed_size 0
		.amdhsa_kernarg_size 112
		.amdhsa_user_sgpr_count 6
		.amdhsa_user_sgpr_private_segment_buffer 1
		.amdhsa_user_sgpr_dispatch_ptr 0
		.amdhsa_user_sgpr_queue_ptr 0
		.amdhsa_user_sgpr_kernarg_segment_ptr 1
		.amdhsa_user_sgpr_dispatch_id 0
		.amdhsa_user_sgpr_flat_scratch_init 0
		.amdhsa_user_sgpr_kernarg_preload_length 0
		.amdhsa_user_sgpr_kernarg_preload_offset 0
		.amdhsa_user_sgpr_private_segment_size 0
		.amdhsa_uses_dynamic_stack 0
		.amdhsa_system_sgpr_private_segment_wavefront_offset 0
		.amdhsa_system_sgpr_workgroup_id_x 1
		.amdhsa_system_sgpr_workgroup_id_y 0
		.amdhsa_system_sgpr_workgroup_id_z 0
		.amdhsa_system_sgpr_workgroup_info 0
		.amdhsa_system_vgpr_workitem_id 0
		.amdhsa_next_free_vgpr 1
		.amdhsa_next_free_sgpr 0
		.amdhsa_accum_offset 4
		.amdhsa_reserve_vcc 0
		.amdhsa_reserve_flat_scratch 0
		.amdhsa_float_round_mode_32 0
		.amdhsa_float_round_mode_16_64 0
		.amdhsa_float_denorm_mode_32 3
		.amdhsa_float_denorm_mode_16_64 3
		.amdhsa_dx10_clamp 1
		.amdhsa_ieee_mode 1
		.amdhsa_fp16_overflow 0
		.amdhsa_tg_split 0
		.amdhsa_exception_fp_ieee_invalid_op 0
		.amdhsa_exception_fp_denorm_src 0
		.amdhsa_exception_fp_ieee_div_zero 0
		.amdhsa_exception_fp_ieee_overflow 0
		.amdhsa_exception_fp_ieee_underflow 0
		.amdhsa_exception_fp_ieee_inexact 0
		.amdhsa_exception_int_div_zero 0
	.end_amdhsa_kernel
	.section	.text._ZN7rocprim17ROCPRIM_400000_NS6detail17trampoline_kernelINS0_14default_configENS1_20scan_config_selectorIyEEZZNS1_9scan_implILNS1_25lookback_scan_determinismE0ELb0ELb0ES3_N6thrust23THRUST_200600_302600_NS6detail15normal_iteratorINS9_10device_ptrIyEEEENS9_16discard_iteratorINS9_11use_defaultEEEyNS9_4plusIvEEyEEDaPvRmT3_T4_T5_mT6_P12ihipStream_tbENKUlT_T0_E_clISt17integral_constantIbLb0EESW_IbLb1EEEEDaSS_ST_EUlSS_E_NS1_11comp_targetILNS1_3genE10ELNS1_11target_archE1200ELNS1_3gpuE4ELNS1_3repE0EEENS1_30default_config_static_selectorELNS0_4arch9wavefront6targetE1EEEvT1_,"axG",@progbits,_ZN7rocprim17ROCPRIM_400000_NS6detail17trampoline_kernelINS0_14default_configENS1_20scan_config_selectorIyEEZZNS1_9scan_implILNS1_25lookback_scan_determinismE0ELb0ELb0ES3_N6thrust23THRUST_200600_302600_NS6detail15normal_iteratorINS9_10device_ptrIyEEEENS9_16discard_iteratorINS9_11use_defaultEEEyNS9_4plusIvEEyEEDaPvRmT3_T4_T5_mT6_P12ihipStream_tbENKUlT_T0_E_clISt17integral_constantIbLb0EESW_IbLb1EEEEDaSS_ST_EUlSS_E_NS1_11comp_targetILNS1_3genE10ELNS1_11target_archE1200ELNS1_3gpuE4ELNS1_3repE0EEENS1_30default_config_static_selectorELNS0_4arch9wavefront6targetE1EEEvT1_,comdat
.Lfunc_end5210:
	.size	_ZN7rocprim17ROCPRIM_400000_NS6detail17trampoline_kernelINS0_14default_configENS1_20scan_config_selectorIyEEZZNS1_9scan_implILNS1_25lookback_scan_determinismE0ELb0ELb0ES3_N6thrust23THRUST_200600_302600_NS6detail15normal_iteratorINS9_10device_ptrIyEEEENS9_16discard_iteratorINS9_11use_defaultEEEyNS9_4plusIvEEyEEDaPvRmT3_T4_T5_mT6_P12ihipStream_tbENKUlT_T0_E_clISt17integral_constantIbLb0EESW_IbLb1EEEEDaSS_ST_EUlSS_E_NS1_11comp_targetILNS1_3genE10ELNS1_11target_archE1200ELNS1_3gpuE4ELNS1_3repE0EEENS1_30default_config_static_selectorELNS0_4arch9wavefront6targetE1EEEvT1_, .Lfunc_end5210-_ZN7rocprim17ROCPRIM_400000_NS6detail17trampoline_kernelINS0_14default_configENS1_20scan_config_selectorIyEEZZNS1_9scan_implILNS1_25lookback_scan_determinismE0ELb0ELb0ES3_N6thrust23THRUST_200600_302600_NS6detail15normal_iteratorINS9_10device_ptrIyEEEENS9_16discard_iteratorINS9_11use_defaultEEEyNS9_4plusIvEEyEEDaPvRmT3_T4_T5_mT6_P12ihipStream_tbENKUlT_T0_E_clISt17integral_constantIbLb0EESW_IbLb1EEEEDaSS_ST_EUlSS_E_NS1_11comp_targetILNS1_3genE10ELNS1_11target_archE1200ELNS1_3gpuE4ELNS1_3repE0EEENS1_30default_config_static_selectorELNS0_4arch9wavefront6targetE1EEEvT1_
                                        ; -- End function
	.section	.AMDGPU.csdata,"",@progbits
; Kernel info:
; codeLenInByte = 0
; NumSgprs: 4
; NumVgprs: 0
; NumAgprs: 0
; TotalNumVgprs: 0
; ScratchSize: 0
; MemoryBound: 0
; FloatMode: 240
; IeeeMode: 1
; LDSByteSize: 0 bytes/workgroup (compile time only)
; SGPRBlocks: 0
; VGPRBlocks: 0
; NumSGPRsForWavesPerEU: 4
; NumVGPRsForWavesPerEU: 1
; AccumOffset: 4
; Occupancy: 8
; WaveLimiterHint : 0
; COMPUTE_PGM_RSRC2:SCRATCH_EN: 0
; COMPUTE_PGM_RSRC2:USER_SGPR: 6
; COMPUTE_PGM_RSRC2:TRAP_HANDLER: 0
; COMPUTE_PGM_RSRC2:TGID_X_EN: 1
; COMPUTE_PGM_RSRC2:TGID_Y_EN: 0
; COMPUTE_PGM_RSRC2:TGID_Z_EN: 0
; COMPUTE_PGM_RSRC2:TIDIG_COMP_CNT: 0
; COMPUTE_PGM_RSRC3_GFX90A:ACCUM_OFFSET: 0
; COMPUTE_PGM_RSRC3_GFX90A:TG_SPLIT: 0
	.section	.text._ZN7rocprim17ROCPRIM_400000_NS6detail17trampoline_kernelINS0_14default_configENS1_20scan_config_selectorIyEEZZNS1_9scan_implILNS1_25lookback_scan_determinismE0ELb0ELb0ES3_N6thrust23THRUST_200600_302600_NS6detail15normal_iteratorINS9_10device_ptrIyEEEENS9_16discard_iteratorINS9_11use_defaultEEEyNS9_4plusIvEEyEEDaPvRmT3_T4_T5_mT6_P12ihipStream_tbENKUlT_T0_E_clISt17integral_constantIbLb0EESW_IbLb1EEEEDaSS_ST_EUlSS_E_NS1_11comp_targetILNS1_3genE9ELNS1_11target_archE1100ELNS1_3gpuE3ELNS1_3repE0EEENS1_30default_config_static_selectorELNS0_4arch9wavefront6targetE1EEEvT1_,"axG",@progbits,_ZN7rocprim17ROCPRIM_400000_NS6detail17trampoline_kernelINS0_14default_configENS1_20scan_config_selectorIyEEZZNS1_9scan_implILNS1_25lookback_scan_determinismE0ELb0ELb0ES3_N6thrust23THRUST_200600_302600_NS6detail15normal_iteratorINS9_10device_ptrIyEEEENS9_16discard_iteratorINS9_11use_defaultEEEyNS9_4plusIvEEyEEDaPvRmT3_T4_T5_mT6_P12ihipStream_tbENKUlT_T0_E_clISt17integral_constantIbLb0EESW_IbLb1EEEEDaSS_ST_EUlSS_E_NS1_11comp_targetILNS1_3genE9ELNS1_11target_archE1100ELNS1_3gpuE3ELNS1_3repE0EEENS1_30default_config_static_selectorELNS0_4arch9wavefront6targetE1EEEvT1_,comdat
	.protected	_ZN7rocprim17ROCPRIM_400000_NS6detail17trampoline_kernelINS0_14default_configENS1_20scan_config_selectorIyEEZZNS1_9scan_implILNS1_25lookback_scan_determinismE0ELb0ELb0ES3_N6thrust23THRUST_200600_302600_NS6detail15normal_iteratorINS9_10device_ptrIyEEEENS9_16discard_iteratorINS9_11use_defaultEEEyNS9_4plusIvEEyEEDaPvRmT3_T4_T5_mT6_P12ihipStream_tbENKUlT_T0_E_clISt17integral_constantIbLb0EESW_IbLb1EEEEDaSS_ST_EUlSS_E_NS1_11comp_targetILNS1_3genE9ELNS1_11target_archE1100ELNS1_3gpuE3ELNS1_3repE0EEENS1_30default_config_static_selectorELNS0_4arch9wavefront6targetE1EEEvT1_ ; -- Begin function _ZN7rocprim17ROCPRIM_400000_NS6detail17trampoline_kernelINS0_14default_configENS1_20scan_config_selectorIyEEZZNS1_9scan_implILNS1_25lookback_scan_determinismE0ELb0ELb0ES3_N6thrust23THRUST_200600_302600_NS6detail15normal_iteratorINS9_10device_ptrIyEEEENS9_16discard_iteratorINS9_11use_defaultEEEyNS9_4plusIvEEyEEDaPvRmT3_T4_T5_mT6_P12ihipStream_tbENKUlT_T0_E_clISt17integral_constantIbLb0EESW_IbLb1EEEEDaSS_ST_EUlSS_E_NS1_11comp_targetILNS1_3genE9ELNS1_11target_archE1100ELNS1_3gpuE3ELNS1_3repE0EEENS1_30default_config_static_selectorELNS0_4arch9wavefront6targetE1EEEvT1_
	.globl	_ZN7rocprim17ROCPRIM_400000_NS6detail17trampoline_kernelINS0_14default_configENS1_20scan_config_selectorIyEEZZNS1_9scan_implILNS1_25lookback_scan_determinismE0ELb0ELb0ES3_N6thrust23THRUST_200600_302600_NS6detail15normal_iteratorINS9_10device_ptrIyEEEENS9_16discard_iteratorINS9_11use_defaultEEEyNS9_4plusIvEEyEEDaPvRmT3_T4_T5_mT6_P12ihipStream_tbENKUlT_T0_E_clISt17integral_constantIbLb0EESW_IbLb1EEEEDaSS_ST_EUlSS_E_NS1_11comp_targetILNS1_3genE9ELNS1_11target_archE1100ELNS1_3gpuE3ELNS1_3repE0EEENS1_30default_config_static_selectorELNS0_4arch9wavefront6targetE1EEEvT1_
	.p2align	8
	.type	_ZN7rocprim17ROCPRIM_400000_NS6detail17trampoline_kernelINS0_14default_configENS1_20scan_config_selectorIyEEZZNS1_9scan_implILNS1_25lookback_scan_determinismE0ELb0ELb0ES3_N6thrust23THRUST_200600_302600_NS6detail15normal_iteratorINS9_10device_ptrIyEEEENS9_16discard_iteratorINS9_11use_defaultEEEyNS9_4plusIvEEyEEDaPvRmT3_T4_T5_mT6_P12ihipStream_tbENKUlT_T0_E_clISt17integral_constantIbLb0EESW_IbLb1EEEEDaSS_ST_EUlSS_E_NS1_11comp_targetILNS1_3genE9ELNS1_11target_archE1100ELNS1_3gpuE3ELNS1_3repE0EEENS1_30default_config_static_selectorELNS0_4arch9wavefront6targetE1EEEvT1_,@function
_ZN7rocprim17ROCPRIM_400000_NS6detail17trampoline_kernelINS0_14default_configENS1_20scan_config_selectorIyEEZZNS1_9scan_implILNS1_25lookback_scan_determinismE0ELb0ELb0ES3_N6thrust23THRUST_200600_302600_NS6detail15normal_iteratorINS9_10device_ptrIyEEEENS9_16discard_iteratorINS9_11use_defaultEEEyNS9_4plusIvEEyEEDaPvRmT3_T4_T5_mT6_P12ihipStream_tbENKUlT_T0_E_clISt17integral_constantIbLb0EESW_IbLb1EEEEDaSS_ST_EUlSS_E_NS1_11comp_targetILNS1_3genE9ELNS1_11target_archE1100ELNS1_3gpuE3ELNS1_3repE0EEENS1_30default_config_static_selectorELNS0_4arch9wavefront6targetE1EEEvT1_: ; @_ZN7rocprim17ROCPRIM_400000_NS6detail17trampoline_kernelINS0_14default_configENS1_20scan_config_selectorIyEEZZNS1_9scan_implILNS1_25lookback_scan_determinismE0ELb0ELb0ES3_N6thrust23THRUST_200600_302600_NS6detail15normal_iteratorINS9_10device_ptrIyEEEENS9_16discard_iteratorINS9_11use_defaultEEEyNS9_4plusIvEEyEEDaPvRmT3_T4_T5_mT6_P12ihipStream_tbENKUlT_T0_E_clISt17integral_constantIbLb0EESW_IbLb1EEEEDaSS_ST_EUlSS_E_NS1_11comp_targetILNS1_3genE9ELNS1_11target_archE1100ELNS1_3gpuE3ELNS1_3repE0EEENS1_30default_config_static_selectorELNS0_4arch9wavefront6targetE1EEEvT1_
; %bb.0:
	.section	.rodata,"a",@progbits
	.p2align	6, 0x0
	.amdhsa_kernel _ZN7rocprim17ROCPRIM_400000_NS6detail17trampoline_kernelINS0_14default_configENS1_20scan_config_selectorIyEEZZNS1_9scan_implILNS1_25lookback_scan_determinismE0ELb0ELb0ES3_N6thrust23THRUST_200600_302600_NS6detail15normal_iteratorINS9_10device_ptrIyEEEENS9_16discard_iteratorINS9_11use_defaultEEEyNS9_4plusIvEEyEEDaPvRmT3_T4_T5_mT6_P12ihipStream_tbENKUlT_T0_E_clISt17integral_constantIbLb0EESW_IbLb1EEEEDaSS_ST_EUlSS_E_NS1_11comp_targetILNS1_3genE9ELNS1_11target_archE1100ELNS1_3gpuE3ELNS1_3repE0EEENS1_30default_config_static_selectorELNS0_4arch9wavefront6targetE1EEEvT1_
		.amdhsa_group_segment_fixed_size 0
		.amdhsa_private_segment_fixed_size 0
		.amdhsa_kernarg_size 112
		.amdhsa_user_sgpr_count 6
		.amdhsa_user_sgpr_private_segment_buffer 1
		.amdhsa_user_sgpr_dispatch_ptr 0
		.amdhsa_user_sgpr_queue_ptr 0
		.amdhsa_user_sgpr_kernarg_segment_ptr 1
		.amdhsa_user_sgpr_dispatch_id 0
		.amdhsa_user_sgpr_flat_scratch_init 0
		.amdhsa_user_sgpr_kernarg_preload_length 0
		.amdhsa_user_sgpr_kernarg_preload_offset 0
		.amdhsa_user_sgpr_private_segment_size 0
		.amdhsa_uses_dynamic_stack 0
		.amdhsa_system_sgpr_private_segment_wavefront_offset 0
		.amdhsa_system_sgpr_workgroup_id_x 1
		.amdhsa_system_sgpr_workgroup_id_y 0
		.amdhsa_system_sgpr_workgroup_id_z 0
		.amdhsa_system_sgpr_workgroup_info 0
		.amdhsa_system_vgpr_workitem_id 0
		.amdhsa_next_free_vgpr 1
		.amdhsa_next_free_sgpr 0
		.amdhsa_accum_offset 4
		.amdhsa_reserve_vcc 0
		.amdhsa_reserve_flat_scratch 0
		.amdhsa_float_round_mode_32 0
		.amdhsa_float_round_mode_16_64 0
		.amdhsa_float_denorm_mode_32 3
		.amdhsa_float_denorm_mode_16_64 3
		.amdhsa_dx10_clamp 1
		.amdhsa_ieee_mode 1
		.amdhsa_fp16_overflow 0
		.amdhsa_tg_split 0
		.amdhsa_exception_fp_ieee_invalid_op 0
		.amdhsa_exception_fp_denorm_src 0
		.amdhsa_exception_fp_ieee_div_zero 0
		.amdhsa_exception_fp_ieee_overflow 0
		.amdhsa_exception_fp_ieee_underflow 0
		.amdhsa_exception_fp_ieee_inexact 0
		.amdhsa_exception_int_div_zero 0
	.end_amdhsa_kernel
	.section	.text._ZN7rocprim17ROCPRIM_400000_NS6detail17trampoline_kernelINS0_14default_configENS1_20scan_config_selectorIyEEZZNS1_9scan_implILNS1_25lookback_scan_determinismE0ELb0ELb0ES3_N6thrust23THRUST_200600_302600_NS6detail15normal_iteratorINS9_10device_ptrIyEEEENS9_16discard_iteratorINS9_11use_defaultEEEyNS9_4plusIvEEyEEDaPvRmT3_T4_T5_mT6_P12ihipStream_tbENKUlT_T0_E_clISt17integral_constantIbLb0EESW_IbLb1EEEEDaSS_ST_EUlSS_E_NS1_11comp_targetILNS1_3genE9ELNS1_11target_archE1100ELNS1_3gpuE3ELNS1_3repE0EEENS1_30default_config_static_selectorELNS0_4arch9wavefront6targetE1EEEvT1_,"axG",@progbits,_ZN7rocprim17ROCPRIM_400000_NS6detail17trampoline_kernelINS0_14default_configENS1_20scan_config_selectorIyEEZZNS1_9scan_implILNS1_25lookback_scan_determinismE0ELb0ELb0ES3_N6thrust23THRUST_200600_302600_NS6detail15normal_iteratorINS9_10device_ptrIyEEEENS9_16discard_iteratorINS9_11use_defaultEEEyNS9_4plusIvEEyEEDaPvRmT3_T4_T5_mT6_P12ihipStream_tbENKUlT_T0_E_clISt17integral_constantIbLb0EESW_IbLb1EEEEDaSS_ST_EUlSS_E_NS1_11comp_targetILNS1_3genE9ELNS1_11target_archE1100ELNS1_3gpuE3ELNS1_3repE0EEENS1_30default_config_static_selectorELNS0_4arch9wavefront6targetE1EEEvT1_,comdat
.Lfunc_end5211:
	.size	_ZN7rocprim17ROCPRIM_400000_NS6detail17trampoline_kernelINS0_14default_configENS1_20scan_config_selectorIyEEZZNS1_9scan_implILNS1_25lookback_scan_determinismE0ELb0ELb0ES3_N6thrust23THRUST_200600_302600_NS6detail15normal_iteratorINS9_10device_ptrIyEEEENS9_16discard_iteratorINS9_11use_defaultEEEyNS9_4plusIvEEyEEDaPvRmT3_T4_T5_mT6_P12ihipStream_tbENKUlT_T0_E_clISt17integral_constantIbLb0EESW_IbLb1EEEEDaSS_ST_EUlSS_E_NS1_11comp_targetILNS1_3genE9ELNS1_11target_archE1100ELNS1_3gpuE3ELNS1_3repE0EEENS1_30default_config_static_selectorELNS0_4arch9wavefront6targetE1EEEvT1_, .Lfunc_end5211-_ZN7rocprim17ROCPRIM_400000_NS6detail17trampoline_kernelINS0_14default_configENS1_20scan_config_selectorIyEEZZNS1_9scan_implILNS1_25lookback_scan_determinismE0ELb0ELb0ES3_N6thrust23THRUST_200600_302600_NS6detail15normal_iteratorINS9_10device_ptrIyEEEENS9_16discard_iteratorINS9_11use_defaultEEEyNS9_4plusIvEEyEEDaPvRmT3_T4_T5_mT6_P12ihipStream_tbENKUlT_T0_E_clISt17integral_constantIbLb0EESW_IbLb1EEEEDaSS_ST_EUlSS_E_NS1_11comp_targetILNS1_3genE9ELNS1_11target_archE1100ELNS1_3gpuE3ELNS1_3repE0EEENS1_30default_config_static_selectorELNS0_4arch9wavefront6targetE1EEEvT1_
                                        ; -- End function
	.section	.AMDGPU.csdata,"",@progbits
; Kernel info:
; codeLenInByte = 0
; NumSgprs: 4
; NumVgprs: 0
; NumAgprs: 0
; TotalNumVgprs: 0
; ScratchSize: 0
; MemoryBound: 0
; FloatMode: 240
; IeeeMode: 1
; LDSByteSize: 0 bytes/workgroup (compile time only)
; SGPRBlocks: 0
; VGPRBlocks: 0
; NumSGPRsForWavesPerEU: 4
; NumVGPRsForWavesPerEU: 1
; AccumOffset: 4
; Occupancy: 8
; WaveLimiterHint : 0
; COMPUTE_PGM_RSRC2:SCRATCH_EN: 0
; COMPUTE_PGM_RSRC2:USER_SGPR: 6
; COMPUTE_PGM_RSRC2:TRAP_HANDLER: 0
; COMPUTE_PGM_RSRC2:TGID_X_EN: 1
; COMPUTE_PGM_RSRC2:TGID_Y_EN: 0
; COMPUTE_PGM_RSRC2:TGID_Z_EN: 0
; COMPUTE_PGM_RSRC2:TIDIG_COMP_CNT: 0
; COMPUTE_PGM_RSRC3_GFX90A:ACCUM_OFFSET: 0
; COMPUTE_PGM_RSRC3_GFX90A:TG_SPLIT: 0
	.section	.text._ZN7rocprim17ROCPRIM_400000_NS6detail17trampoline_kernelINS0_14default_configENS1_20scan_config_selectorIyEEZZNS1_9scan_implILNS1_25lookback_scan_determinismE0ELb0ELb0ES3_N6thrust23THRUST_200600_302600_NS6detail15normal_iteratorINS9_10device_ptrIyEEEENS9_16discard_iteratorINS9_11use_defaultEEEyNS9_4plusIvEEyEEDaPvRmT3_T4_T5_mT6_P12ihipStream_tbENKUlT_T0_E_clISt17integral_constantIbLb0EESW_IbLb1EEEEDaSS_ST_EUlSS_E_NS1_11comp_targetILNS1_3genE8ELNS1_11target_archE1030ELNS1_3gpuE2ELNS1_3repE0EEENS1_30default_config_static_selectorELNS0_4arch9wavefront6targetE1EEEvT1_,"axG",@progbits,_ZN7rocprim17ROCPRIM_400000_NS6detail17trampoline_kernelINS0_14default_configENS1_20scan_config_selectorIyEEZZNS1_9scan_implILNS1_25lookback_scan_determinismE0ELb0ELb0ES3_N6thrust23THRUST_200600_302600_NS6detail15normal_iteratorINS9_10device_ptrIyEEEENS9_16discard_iteratorINS9_11use_defaultEEEyNS9_4plusIvEEyEEDaPvRmT3_T4_T5_mT6_P12ihipStream_tbENKUlT_T0_E_clISt17integral_constantIbLb0EESW_IbLb1EEEEDaSS_ST_EUlSS_E_NS1_11comp_targetILNS1_3genE8ELNS1_11target_archE1030ELNS1_3gpuE2ELNS1_3repE0EEENS1_30default_config_static_selectorELNS0_4arch9wavefront6targetE1EEEvT1_,comdat
	.protected	_ZN7rocprim17ROCPRIM_400000_NS6detail17trampoline_kernelINS0_14default_configENS1_20scan_config_selectorIyEEZZNS1_9scan_implILNS1_25lookback_scan_determinismE0ELb0ELb0ES3_N6thrust23THRUST_200600_302600_NS6detail15normal_iteratorINS9_10device_ptrIyEEEENS9_16discard_iteratorINS9_11use_defaultEEEyNS9_4plusIvEEyEEDaPvRmT3_T4_T5_mT6_P12ihipStream_tbENKUlT_T0_E_clISt17integral_constantIbLb0EESW_IbLb1EEEEDaSS_ST_EUlSS_E_NS1_11comp_targetILNS1_3genE8ELNS1_11target_archE1030ELNS1_3gpuE2ELNS1_3repE0EEENS1_30default_config_static_selectorELNS0_4arch9wavefront6targetE1EEEvT1_ ; -- Begin function _ZN7rocprim17ROCPRIM_400000_NS6detail17trampoline_kernelINS0_14default_configENS1_20scan_config_selectorIyEEZZNS1_9scan_implILNS1_25lookback_scan_determinismE0ELb0ELb0ES3_N6thrust23THRUST_200600_302600_NS6detail15normal_iteratorINS9_10device_ptrIyEEEENS9_16discard_iteratorINS9_11use_defaultEEEyNS9_4plusIvEEyEEDaPvRmT3_T4_T5_mT6_P12ihipStream_tbENKUlT_T0_E_clISt17integral_constantIbLb0EESW_IbLb1EEEEDaSS_ST_EUlSS_E_NS1_11comp_targetILNS1_3genE8ELNS1_11target_archE1030ELNS1_3gpuE2ELNS1_3repE0EEENS1_30default_config_static_selectorELNS0_4arch9wavefront6targetE1EEEvT1_
	.globl	_ZN7rocprim17ROCPRIM_400000_NS6detail17trampoline_kernelINS0_14default_configENS1_20scan_config_selectorIyEEZZNS1_9scan_implILNS1_25lookback_scan_determinismE0ELb0ELb0ES3_N6thrust23THRUST_200600_302600_NS6detail15normal_iteratorINS9_10device_ptrIyEEEENS9_16discard_iteratorINS9_11use_defaultEEEyNS9_4plusIvEEyEEDaPvRmT3_T4_T5_mT6_P12ihipStream_tbENKUlT_T0_E_clISt17integral_constantIbLb0EESW_IbLb1EEEEDaSS_ST_EUlSS_E_NS1_11comp_targetILNS1_3genE8ELNS1_11target_archE1030ELNS1_3gpuE2ELNS1_3repE0EEENS1_30default_config_static_selectorELNS0_4arch9wavefront6targetE1EEEvT1_
	.p2align	8
	.type	_ZN7rocprim17ROCPRIM_400000_NS6detail17trampoline_kernelINS0_14default_configENS1_20scan_config_selectorIyEEZZNS1_9scan_implILNS1_25lookback_scan_determinismE0ELb0ELb0ES3_N6thrust23THRUST_200600_302600_NS6detail15normal_iteratorINS9_10device_ptrIyEEEENS9_16discard_iteratorINS9_11use_defaultEEEyNS9_4plusIvEEyEEDaPvRmT3_T4_T5_mT6_P12ihipStream_tbENKUlT_T0_E_clISt17integral_constantIbLb0EESW_IbLb1EEEEDaSS_ST_EUlSS_E_NS1_11comp_targetILNS1_3genE8ELNS1_11target_archE1030ELNS1_3gpuE2ELNS1_3repE0EEENS1_30default_config_static_selectorELNS0_4arch9wavefront6targetE1EEEvT1_,@function
_ZN7rocprim17ROCPRIM_400000_NS6detail17trampoline_kernelINS0_14default_configENS1_20scan_config_selectorIyEEZZNS1_9scan_implILNS1_25lookback_scan_determinismE0ELb0ELb0ES3_N6thrust23THRUST_200600_302600_NS6detail15normal_iteratorINS9_10device_ptrIyEEEENS9_16discard_iteratorINS9_11use_defaultEEEyNS9_4plusIvEEyEEDaPvRmT3_T4_T5_mT6_P12ihipStream_tbENKUlT_T0_E_clISt17integral_constantIbLb0EESW_IbLb1EEEEDaSS_ST_EUlSS_E_NS1_11comp_targetILNS1_3genE8ELNS1_11target_archE1030ELNS1_3gpuE2ELNS1_3repE0EEENS1_30default_config_static_selectorELNS0_4arch9wavefront6targetE1EEEvT1_: ; @_ZN7rocprim17ROCPRIM_400000_NS6detail17trampoline_kernelINS0_14default_configENS1_20scan_config_selectorIyEEZZNS1_9scan_implILNS1_25lookback_scan_determinismE0ELb0ELb0ES3_N6thrust23THRUST_200600_302600_NS6detail15normal_iteratorINS9_10device_ptrIyEEEENS9_16discard_iteratorINS9_11use_defaultEEEyNS9_4plusIvEEyEEDaPvRmT3_T4_T5_mT6_P12ihipStream_tbENKUlT_T0_E_clISt17integral_constantIbLb0EESW_IbLb1EEEEDaSS_ST_EUlSS_E_NS1_11comp_targetILNS1_3genE8ELNS1_11target_archE1030ELNS1_3gpuE2ELNS1_3repE0EEENS1_30default_config_static_selectorELNS0_4arch9wavefront6targetE1EEEvT1_
; %bb.0:
	.section	.rodata,"a",@progbits
	.p2align	6, 0x0
	.amdhsa_kernel _ZN7rocprim17ROCPRIM_400000_NS6detail17trampoline_kernelINS0_14default_configENS1_20scan_config_selectorIyEEZZNS1_9scan_implILNS1_25lookback_scan_determinismE0ELb0ELb0ES3_N6thrust23THRUST_200600_302600_NS6detail15normal_iteratorINS9_10device_ptrIyEEEENS9_16discard_iteratorINS9_11use_defaultEEEyNS9_4plusIvEEyEEDaPvRmT3_T4_T5_mT6_P12ihipStream_tbENKUlT_T0_E_clISt17integral_constantIbLb0EESW_IbLb1EEEEDaSS_ST_EUlSS_E_NS1_11comp_targetILNS1_3genE8ELNS1_11target_archE1030ELNS1_3gpuE2ELNS1_3repE0EEENS1_30default_config_static_selectorELNS0_4arch9wavefront6targetE1EEEvT1_
		.amdhsa_group_segment_fixed_size 0
		.amdhsa_private_segment_fixed_size 0
		.amdhsa_kernarg_size 112
		.amdhsa_user_sgpr_count 6
		.amdhsa_user_sgpr_private_segment_buffer 1
		.amdhsa_user_sgpr_dispatch_ptr 0
		.amdhsa_user_sgpr_queue_ptr 0
		.amdhsa_user_sgpr_kernarg_segment_ptr 1
		.amdhsa_user_sgpr_dispatch_id 0
		.amdhsa_user_sgpr_flat_scratch_init 0
		.amdhsa_user_sgpr_kernarg_preload_length 0
		.amdhsa_user_sgpr_kernarg_preload_offset 0
		.amdhsa_user_sgpr_private_segment_size 0
		.amdhsa_uses_dynamic_stack 0
		.amdhsa_system_sgpr_private_segment_wavefront_offset 0
		.amdhsa_system_sgpr_workgroup_id_x 1
		.amdhsa_system_sgpr_workgroup_id_y 0
		.amdhsa_system_sgpr_workgroup_id_z 0
		.amdhsa_system_sgpr_workgroup_info 0
		.amdhsa_system_vgpr_workitem_id 0
		.amdhsa_next_free_vgpr 1
		.amdhsa_next_free_sgpr 0
		.amdhsa_accum_offset 4
		.amdhsa_reserve_vcc 0
		.amdhsa_reserve_flat_scratch 0
		.amdhsa_float_round_mode_32 0
		.amdhsa_float_round_mode_16_64 0
		.amdhsa_float_denorm_mode_32 3
		.amdhsa_float_denorm_mode_16_64 3
		.amdhsa_dx10_clamp 1
		.amdhsa_ieee_mode 1
		.amdhsa_fp16_overflow 0
		.amdhsa_tg_split 0
		.amdhsa_exception_fp_ieee_invalid_op 0
		.amdhsa_exception_fp_denorm_src 0
		.amdhsa_exception_fp_ieee_div_zero 0
		.amdhsa_exception_fp_ieee_overflow 0
		.amdhsa_exception_fp_ieee_underflow 0
		.amdhsa_exception_fp_ieee_inexact 0
		.amdhsa_exception_int_div_zero 0
	.end_amdhsa_kernel
	.section	.text._ZN7rocprim17ROCPRIM_400000_NS6detail17trampoline_kernelINS0_14default_configENS1_20scan_config_selectorIyEEZZNS1_9scan_implILNS1_25lookback_scan_determinismE0ELb0ELb0ES3_N6thrust23THRUST_200600_302600_NS6detail15normal_iteratorINS9_10device_ptrIyEEEENS9_16discard_iteratorINS9_11use_defaultEEEyNS9_4plusIvEEyEEDaPvRmT3_T4_T5_mT6_P12ihipStream_tbENKUlT_T0_E_clISt17integral_constantIbLb0EESW_IbLb1EEEEDaSS_ST_EUlSS_E_NS1_11comp_targetILNS1_3genE8ELNS1_11target_archE1030ELNS1_3gpuE2ELNS1_3repE0EEENS1_30default_config_static_selectorELNS0_4arch9wavefront6targetE1EEEvT1_,"axG",@progbits,_ZN7rocprim17ROCPRIM_400000_NS6detail17trampoline_kernelINS0_14default_configENS1_20scan_config_selectorIyEEZZNS1_9scan_implILNS1_25lookback_scan_determinismE0ELb0ELb0ES3_N6thrust23THRUST_200600_302600_NS6detail15normal_iteratorINS9_10device_ptrIyEEEENS9_16discard_iteratorINS9_11use_defaultEEEyNS9_4plusIvEEyEEDaPvRmT3_T4_T5_mT6_P12ihipStream_tbENKUlT_T0_E_clISt17integral_constantIbLb0EESW_IbLb1EEEEDaSS_ST_EUlSS_E_NS1_11comp_targetILNS1_3genE8ELNS1_11target_archE1030ELNS1_3gpuE2ELNS1_3repE0EEENS1_30default_config_static_selectorELNS0_4arch9wavefront6targetE1EEEvT1_,comdat
.Lfunc_end5212:
	.size	_ZN7rocprim17ROCPRIM_400000_NS6detail17trampoline_kernelINS0_14default_configENS1_20scan_config_selectorIyEEZZNS1_9scan_implILNS1_25lookback_scan_determinismE0ELb0ELb0ES3_N6thrust23THRUST_200600_302600_NS6detail15normal_iteratorINS9_10device_ptrIyEEEENS9_16discard_iteratorINS9_11use_defaultEEEyNS9_4plusIvEEyEEDaPvRmT3_T4_T5_mT6_P12ihipStream_tbENKUlT_T0_E_clISt17integral_constantIbLb0EESW_IbLb1EEEEDaSS_ST_EUlSS_E_NS1_11comp_targetILNS1_3genE8ELNS1_11target_archE1030ELNS1_3gpuE2ELNS1_3repE0EEENS1_30default_config_static_selectorELNS0_4arch9wavefront6targetE1EEEvT1_, .Lfunc_end5212-_ZN7rocprim17ROCPRIM_400000_NS6detail17trampoline_kernelINS0_14default_configENS1_20scan_config_selectorIyEEZZNS1_9scan_implILNS1_25lookback_scan_determinismE0ELb0ELb0ES3_N6thrust23THRUST_200600_302600_NS6detail15normal_iteratorINS9_10device_ptrIyEEEENS9_16discard_iteratorINS9_11use_defaultEEEyNS9_4plusIvEEyEEDaPvRmT3_T4_T5_mT6_P12ihipStream_tbENKUlT_T0_E_clISt17integral_constantIbLb0EESW_IbLb1EEEEDaSS_ST_EUlSS_E_NS1_11comp_targetILNS1_3genE8ELNS1_11target_archE1030ELNS1_3gpuE2ELNS1_3repE0EEENS1_30default_config_static_selectorELNS0_4arch9wavefront6targetE1EEEvT1_
                                        ; -- End function
	.section	.AMDGPU.csdata,"",@progbits
; Kernel info:
; codeLenInByte = 0
; NumSgprs: 4
; NumVgprs: 0
; NumAgprs: 0
; TotalNumVgprs: 0
; ScratchSize: 0
; MemoryBound: 0
; FloatMode: 240
; IeeeMode: 1
; LDSByteSize: 0 bytes/workgroup (compile time only)
; SGPRBlocks: 0
; VGPRBlocks: 0
; NumSGPRsForWavesPerEU: 4
; NumVGPRsForWavesPerEU: 1
; AccumOffset: 4
; Occupancy: 8
; WaveLimiterHint : 0
; COMPUTE_PGM_RSRC2:SCRATCH_EN: 0
; COMPUTE_PGM_RSRC2:USER_SGPR: 6
; COMPUTE_PGM_RSRC2:TRAP_HANDLER: 0
; COMPUTE_PGM_RSRC2:TGID_X_EN: 1
; COMPUTE_PGM_RSRC2:TGID_Y_EN: 0
; COMPUTE_PGM_RSRC2:TGID_Z_EN: 0
; COMPUTE_PGM_RSRC2:TIDIG_COMP_CNT: 0
; COMPUTE_PGM_RSRC3_GFX90A:ACCUM_OFFSET: 0
; COMPUTE_PGM_RSRC3_GFX90A:TG_SPLIT: 0
	.section	.text._ZN7rocprim17ROCPRIM_400000_NS6detail17trampoline_kernelINS0_14default_configENS1_20scan_config_selectorIyEEZZNS1_9scan_implILNS1_25lookback_scan_determinismE0ELb0ELb0ES3_N6thrust23THRUST_200600_302600_NS6detail15normal_iteratorINS9_10device_ptrIyEEEENS9_16discard_iteratorINS9_11use_defaultEEEyNS9_4plusIvEEyEEDaPvRmT3_T4_T5_mT6_P12ihipStream_tbENKUlT_T0_E_clISt17integral_constantIbLb0EESW_IbLb1EEEEDaSS_ST_EUlSS_E0_NS1_11comp_targetILNS1_3genE0ELNS1_11target_archE4294967295ELNS1_3gpuE0ELNS1_3repE0EEENS1_30default_config_static_selectorELNS0_4arch9wavefront6targetE1EEEvT1_,"axG",@progbits,_ZN7rocprim17ROCPRIM_400000_NS6detail17trampoline_kernelINS0_14default_configENS1_20scan_config_selectorIyEEZZNS1_9scan_implILNS1_25lookback_scan_determinismE0ELb0ELb0ES3_N6thrust23THRUST_200600_302600_NS6detail15normal_iteratorINS9_10device_ptrIyEEEENS9_16discard_iteratorINS9_11use_defaultEEEyNS9_4plusIvEEyEEDaPvRmT3_T4_T5_mT6_P12ihipStream_tbENKUlT_T0_E_clISt17integral_constantIbLb0EESW_IbLb1EEEEDaSS_ST_EUlSS_E0_NS1_11comp_targetILNS1_3genE0ELNS1_11target_archE4294967295ELNS1_3gpuE0ELNS1_3repE0EEENS1_30default_config_static_selectorELNS0_4arch9wavefront6targetE1EEEvT1_,comdat
	.protected	_ZN7rocprim17ROCPRIM_400000_NS6detail17trampoline_kernelINS0_14default_configENS1_20scan_config_selectorIyEEZZNS1_9scan_implILNS1_25lookback_scan_determinismE0ELb0ELb0ES3_N6thrust23THRUST_200600_302600_NS6detail15normal_iteratorINS9_10device_ptrIyEEEENS9_16discard_iteratorINS9_11use_defaultEEEyNS9_4plusIvEEyEEDaPvRmT3_T4_T5_mT6_P12ihipStream_tbENKUlT_T0_E_clISt17integral_constantIbLb0EESW_IbLb1EEEEDaSS_ST_EUlSS_E0_NS1_11comp_targetILNS1_3genE0ELNS1_11target_archE4294967295ELNS1_3gpuE0ELNS1_3repE0EEENS1_30default_config_static_selectorELNS0_4arch9wavefront6targetE1EEEvT1_ ; -- Begin function _ZN7rocprim17ROCPRIM_400000_NS6detail17trampoline_kernelINS0_14default_configENS1_20scan_config_selectorIyEEZZNS1_9scan_implILNS1_25lookback_scan_determinismE0ELb0ELb0ES3_N6thrust23THRUST_200600_302600_NS6detail15normal_iteratorINS9_10device_ptrIyEEEENS9_16discard_iteratorINS9_11use_defaultEEEyNS9_4plusIvEEyEEDaPvRmT3_T4_T5_mT6_P12ihipStream_tbENKUlT_T0_E_clISt17integral_constantIbLb0EESW_IbLb1EEEEDaSS_ST_EUlSS_E0_NS1_11comp_targetILNS1_3genE0ELNS1_11target_archE4294967295ELNS1_3gpuE0ELNS1_3repE0EEENS1_30default_config_static_selectorELNS0_4arch9wavefront6targetE1EEEvT1_
	.globl	_ZN7rocprim17ROCPRIM_400000_NS6detail17trampoline_kernelINS0_14default_configENS1_20scan_config_selectorIyEEZZNS1_9scan_implILNS1_25lookback_scan_determinismE0ELb0ELb0ES3_N6thrust23THRUST_200600_302600_NS6detail15normal_iteratorINS9_10device_ptrIyEEEENS9_16discard_iteratorINS9_11use_defaultEEEyNS9_4plusIvEEyEEDaPvRmT3_T4_T5_mT6_P12ihipStream_tbENKUlT_T0_E_clISt17integral_constantIbLb0EESW_IbLb1EEEEDaSS_ST_EUlSS_E0_NS1_11comp_targetILNS1_3genE0ELNS1_11target_archE4294967295ELNS1_3gpuE0ELNS1_3repE0EEENS1_30default_config_static_selectorELNS0_4arch9wavefront6targetE1EEEvT1_
	.p2align	8
	.type	_ZN7rocprim17ROCPRIM_400000_NS6detail17trampoline_kernelINS0_14default_configENS1_20scan_config_selectorIyEEZZNS1_9scan_implILNS1_25lookback_scan_determinismE0ELb0ELb0ES3_N6thrust23THRUST_200600_302600_NS6detail15normal_iteratorINS9_10device_ptrIyEEEENS9_16discard_iteratorINS9_11use_defaultEEEyNS9_4plusIvEEyEEDaPvRmT3_T4_T5_mT6_P12ihipStream_tbENKUlT_T0_E_clISt17integral_constantIbLb0EESW_IbLb1EEEEDaSS_ST_EUlSS_E0_NS1_11comp_targetILNS1_3genE0ELNS1_11target_archE4294967295ELNS1_3gpuE0ELNS1_3repE0EEENS1_30default_config_static_selectorELNS0_4arch9wavefront6targetE1EEEvT1_,@function
_ZN7rocprim17ROCPRIM_400000_NS6detail17trampoline_kernelINS0_14default_configENS1_20scan_config_selectorIyEEZZNS1_9scan_implILNS1_25lookback_scan_determinismE0ELb0ELb0ES3_N6thrust23THRUST_200600_302600_NS6detail15normal_iteratorINS9_10device_ptrIyEEEENS9_16discard_iteratorINS9_11use_defaultEEEyNS9_4plusIvEEyEEDaPvRmT3_T4_T5_mT6_P12ihipStream_tbENKUlT_T0_E_clISt17integral_constantIbLb0EESW_IbLb1EEEEDaSS_ST_EUlSS_E0_NS1_11comp_targetILNS1_3genE0ELNS1_11target_archE4294967295ELNS1_3gpuE0ELNS1_3repE0EEENS1_30default_config_static_selectorELNS0_4arch9wavefront6targetE1EEEvT1_: ; @_ZN7rocprim17ROCPRIM_400000_NS6detail17trampoline_kernelINS0_14default_configENS1_20scan_config_selectorIyEEZZNS1_9scan_implILNS1_25lookback_scan_determinismE0ELb0ELb0ES3_N6thrust23THRUST_200600_302600_NS6detail15normal_iteratorINS9_10device_ptrIyEEEENS9_16discard_iteratorINS9_11use_defaultEEEyNS9_4plusIvEEyEEDaPvRmT3_T4_T5_mT6_P12ihipStream_tbENKUlT_T0_E_clISt17integral_constantIbLb0EESW_IbLb1EEEEDaSS_ST_EUlSS_E0_NS1_11comp_targetILNS1_3genE0ELNS1_11target_archE4294967295ELNS1_3gpuE0ELNS1_3repE0EEENS1_30default_config_static_selectorELNS0_4arch9wavefront6targetE1EEEvT1_
; %bb.0:
	.section	.rodata,"a",@progbits
	.p2align	6, 0x0
	.amdhsa_kernel _ZN7rocprim17ROCPRIM_400000_NS6detail17trampoline_kernelINS0_14default_configENS1_20scan_config_selectorIyEEZZNS1_9scan_implILNS1_25lookback_scan_determinismE0ELb0ELb0ES3_N6thrust23THRUST_200600_302600_NS6detail15normal_iteratorINS9_10device_ptrIyEEEENS9_16discard_iteratorINS9_11use_defaultEEEyNS9_4plusIvEEyEEDaPvRmT3_T4_T5_mT6_P12ihipStream_tbENKUlT_T0_E_clISt17integral_constantIbLb0EESW_IbLb1EEEEDaSS_ST_EUlSS_E0_NS1_11comp_targetILNS1_3genE0ELNS1_11target_archE4294967295ELNS1_3gpuE0ELNS1_3repE0EEENS1_30default_config_static_selectorELNS0_4arch9wavefront6targetE1EEEvT1_
		.amdhsa_group_segment_fixed_size 0
		.amdhsa_private_segment_fixed_size 0
		.amdhsa_kernarg_size 48
		.amdhsa_user_sgpr_count 6
		.amdhsa_user_sgpr_private_segment_buffer 1
		.amdhsa_user_sgpr_dispatch_ptr 0
		.amdhsa_user_sgpr_queue_ptr 0
		.amdhsa_user_sgpr_kernarg_segment_ptr 1
		.amdhsa_user_sgpr_dispatch_id 0
		.amdhsa_user_sgpr_flat_scratch_init 0
		.amdhsa_user_sgpr_kernarg_preload_length 0
		.amdhsa_user_sgpr_kernarg_preload_offset 0
		.amdhsa_user_sgpr_private_segment_size 0
		.amdhsa_uses_dynamic_stack 0
		.amdhsa_system_sgpr_private_segment_wavefront_offset 0
		.amdhsa_system_sgpr_workgroup_id_x 1
		.amdhsa_system_sgpr_workgroup_id_y 0
		.amdhsa_system_sgpr_workgroup_id_z 0
		.amdhsa_system_sgpr_workgroup_info 0
		.amdhsa_system_vgpr_workitem_id 0
		.amdhsa_next_free_vgpr 1
		.amdhsa_next_free_sgpr 0
		.amdhsa_accum_offset 4
		.amdhsa_reserve_vcc 0
		.amdhsa_reserve_flat_scratch 0
		.amdhsa_float_round_mode_32 0
		.amdhsa_float_round_mode_16_64 0
		.amdhsa_float_denorm_mode_32 3
		.amdhsa_float_denorm_mode_16_64 3
		.amdhsa_dx10_clamp 1
		.amdhsa_ieee_mode 1
		.amdhsa_fp16_overflow 0
		.amdhsa_tg_split 0
		.amdhsa_exception_fp_ieee_invalid_op 0
		.amdhsa_exception_fp_denorm_src 0
		.amdhsa_exception_fp_ieee_div_zero 0
		.amdhsa_exception_fp_ieee_overflow 0
		.amdhsa_exception_fp_ieee_underflow 0
		.amdhsa_exception_fp_ieee_inexact 0
		.amdhsa_exception_int_div_zero 0
	.end_amdhsa_kernel
	.section	.text._ZN7rocprim17ROCPRIM_400000_NS6detail17trampoline_kernelINS0_14default_configENS1_20scan_config_selectorIyEEZZNS1_9scan_implILNS1_25lookback_scan_determinismE0ELb0ELb0ES3_N6thrust23THRUST_200600_302600_NS6detail15normal_iteratorINS9_10device_ptrIyEEEENS9_16discard_iteratorINS9_11use_defaultEEEyNS9_4plusIvEEyEEDaPvRmT3_T4_T5_mT6_P12ihipStream_tbENKUlT_T0_E_clISt17integral_constantIbLb0EESW_IbLb1EEEEDaSS_ST_EUlSS_E0_NS1_11comp_targetILNS1_3genE0ELNS1_11target_archE4294967295ELNS1_3gpuE0ELNS1_3repE0EEENS1_30default_config_static_selectorELNS0_4arch9wavefront6targetE1EEEvT1_,"axG",@progbits,_ZN7rocprim17ROCPRIM_400000_NS6detail17trampoline_kernelINS0_14default_configENS1_20scan_config_selectorIyEEZZNS1_9scan_implILNS1_25lookback_scan_determinismE0ELb0ELb0ES3_N6thrust23THRUST_200600_302600_NS6detail15normal_iteratorINS9_10device_ptrIyEEEENS9_16discard_iteratorINS9_11use_defaultEEEyNS9_4plusIvEEyEEDaPvRmT3_T4_T5_mT6_P12ihipStream_tbENKUlT_T0_E_clISt17integral_constantIbLb0EESW_IbLb1EEEEDaSS_ST_EUlSS_E0_NS1_11comp_targetILNS1_3genE0ELNS1_11target_archE4294967295ELNS1_3gpuE0ELNS1_3repE0EEENS1_30default_config_static_selectorELNS0_4arch9wavefront6targetE1EEEvT1_,comdat
.Lfunc_end5213:
	.size	_ZN7rocprim17ROCPRIM_400000_NS6detail17trampoline_kernelINS0_14default_configENS1_20scan_config_selectorIyEEZZNS1_9scan_implILNS1_25lookback_scan_determinismE0ELb0ELb0ES3_N6thrust23THRUST_200600_302600_NS6detail15normal_iteratorINS9_10device_ptrIyEEEENS9_16discard_iteratorINS9_11use_defaultEEEyNS9_4plusIvEEyEEDaPvRmT3_T4_T5_mT6_P12ihipStream_tbENKUlT_T0_E_clISt17integral_constantIbLb0EESW_IbLb1EEEEDaSS_ST_EUlSS_E0_NS1_11comp_targetILNS1_3genE0ELNS1_11target_archE4294967295ELNS1_3gpuE0ELNS1_3repE0EEENS1_30default_config_static_selectorELNS0_4arch9wavefront6targetE1EEEvT1_, .Lfunc_end5213-_ZN7rocprim17ROCPRIM_400000_NS6detail17trampoline_kernelINS0_14default_configENS1_20scan_config_selectorIyEEZZNS1_9scan_implILNS1_25lookback_scan_determinismE0ELb0ELb0ES3_N6thrust23THRUST_200600_302600_NS6detail15normal_iteratorINS9_10device_ptrIyEEEENS9_16discard_iteratorINS9_11use_defaultEEEyNS9_4plusIvEEyEEDaPvRmT3_T4_T5_mT6_P12ihipStream_tbENKUlT_T0_E_clISt17integral_constantIbLb0EESW_IbLb1EEEEDaSS_ST_EUlSS_E0_NS1_11comp_targetILNS1_3genE0ELNS1_11target_archE4294967295ELNS1_3gpuE0ELNS1_3repE0EEENS1_30default_config_static_selectorELNS0_4arch9wavefront6targetE1EEEvT1_
                                        ; -- End function
	.section	.AMDGPU.csdata,"",@progbits
; Kernel info:
; codeLenInByte = 0
; NumSgprs: 4
; NumVgprs: 0
; NumAgprs: 0
; TotalNumVgprs: 0
; ScratchSize: 0
; MemoryBound: 0
; FloatMode: 240
; IeeeMode: 1
; LDSByteSize: 0 bytes/workgroup (compile time only)
; SGPRBlocks: 0
; VGPRBlocks: 0
; NumSGPRsForWavesPerEU: 4
; NumVGPRsForWavesPerEU: 1
; AccumOffset: 4
; Occupancy: 8
; WaveLimiterHint : 0
; COMPUTE_PGM_RSRC2:SCRATCH_EN: 0
; COMPUTE_PGM_RSRC2:USER_SGPR: 6
; COMPUTE_PGM_RSRC2:TRAP_HANDLER: 0
; COMPUTE_PGM_RSRC2:TGID_X_EN: 1
; COMPUTE_PGM_RSRC2:TGID_Y_EN: 0
; COMPUTE_PGM_RSRC2:TGID_Z_EN: 0
; COMPUTE_PGM_RSRC2:TIDIG_COMP_CNT: 0
; COMPUTE_PGM_RSRC3_GFX90A:ACCUM_OFFSET: 0
; COMPUTE_PGM_RSRC3_GFX90A:TG_SPLIT: 0
	.section	.text._ZN7rocprim17ROCPRIM_400000_NS6detail17trampoline_kernelINS0_14default_configENS1_20scan_config_selectorIyEEZZNS1_9scan_implILNS1_25lookback_scan_determinismE0ELb0ELb0ES3_N6thrust23THRUST_200600_302600_NS6detail15normal_iteratorINS9_10device_ptrIyEEEENS9_16discard_iteratorINS9_11use_defaultEEEyNS9_4plusIvEEyEEDaPvRmT3_T4_T5_mT6_P12ihipStream_tbENKUlT_T0_E_clISt17integral_constantIbLb0EESW_IbLb1EEEEDaSS_ST_EUlSS_E0_NS1_11comp_targetILNS1_3genE5ELNS1_11target_archE942ELNS1_3gpuE9ELNS1_3repE0EEENS1_30default_config_static_selectorELNS0_4arch9wavefront6targetE1EEEvT1_,"axG",@progbits,_ZN7rocprim17ROCPRIM_400000_NS6detail17trampoline_kernelINS0_14default_configENS1_20scan_config_selectorIyEEZZNS1_9scan_implILNS1_25lookback_scan_determinismE0ELb0ELb0ES3_N6thrust23THRUST_200600_302600_NS6detail15normal_iteratorINS9_10device_ptrIyEEEENS9_16discard_iteratorINS9_11use_defaultEEEyNS9_4plusIvEEyEEDaPvRmT3_T4_T5_mT6_P12ihipStream_tbENKUlT_T0_E_clISt17integral_constantIbLb0EESW_IbLb1EEEEDaSS_ST_EUlSS_E0_NS1_11comp_targetILNS1_3genE5ELNS1_11target_archE942ELNS1_3gpuE9ELNS1_3repE0EEENS1_30default_config_static_selectorELNS0_4arch9wavefront6targetE1EEEvT1_,comdat
	.protected	_ZN7rocprim17ROCPRIM_400000_NS6detail17trampoline_kernelINS0_14default_configENS1_20scan_config_selectorIyEEZZNS1_9scan_implILNS1_25lookback_scan_determinismE0ELb0ELb0ES3_N6thrust23THRUST_200600_302600_NS6detail15normal_iteratorINS9_10device_ptrIyEEEENS9_16discard_iteratorINS9_11use_defaultEEEyNS9_4plusIvEEyEEDaPvRmT3_T4_T5_mT6_P12ihipStream_tbENKUlT_T0_E_clISt17integral_constantIbLb0EESW_IbLb1EEEEDaSS_ST_EUlSS_E0_NS1_11comp_targetILNS1_3genE5ELNS1_11target_archE942ELNS1_3gpuE9ELNS1_3repE0EEENS1_30default_config_static_selectorELNS0_4arch9wavefront6targetE1EEEvT1_ ; -- Begin function _ZN7rocprim17ROCPRIM_400000_NS6detail17trampoline_kernelINS0_14default_configENS1_20scan_config_selectorIyEEZZNS1_9scan_implILNS1_25lookback_scan_determinismE0ELb0ELb0ES3_N6thrust23THRUST_200600_302600_NS6detail15normal_iteratorINS9_10device_ptrIyEEEENS9_16discard_iteratorINS9_11use_defaultEEEyNS9_4plusIvEEyEEDaPvRmT3_T4_T5_mT6_P12ihipStream_tbENKUlT_T0_E_clISt17integral_constantIbLb0EESW_IbLb1EEEEDaSS_ST_EUlSS_E0_NS1_11comp_targetILNS1_3genE5ELNS1_11target_archE942ELNS1_3gpuE9ELNS1_3repE0EEENS1_30default_config_static_selectorELNS0_4arch9wavefront6targetE1EEEvT1_
	.globl	_ZN7rocprim17ROCPRIM_400000_NS6detail17trampoline_kernelINS0_14default_configENS1_20scan_config_selectorIyEEZZNS1_9scan_implILNS1_25lookback_scan_determinismE0ELb0ELb0ES3_N6thrust23THRUST_200600_302600_NS6detail15normal_iteratorINS9_10device_ptrIyEEEENS9_16discard_iteratorINS9_11use_defaultEEEyNS9_4plusIvEEyEEDaPvRmT3_T4_T5_mT6_P12ihipStream_tbENKUlT_T0_E_clISt17integral_constantIbLb0EESW_IbLb1EEEEDaSS_ST_EUlSS_E0_NS1_11comp_targetILNS1_3genE5ELNS1_11target_archE942ELNS1_3gpuE9ELNS1_3repE0EEENS1_30default_config_static_selectorELNS0_4arch9wavefront6targetE1EEEvT1_
	.p2align	8
	.type	_ZN7rocprim17ROCPRIM_400000_NS6detail17trampoline_kernelINS0_14default_configENS1_20scan_config_selectorIyEEZZNS1_9scan_implILNS1_25lookback_scan_determinismE0ELb0ELb0ES3_N6thrust23THRUST_200600_302600_NS6detail15normal_iteratorINS9_10device_ptrIyEEEENS9_16discard_iteratorINS9_11use_defaultEEEyNS9_4plusIvEEyEEDaPvRmT3_T4_T5_mT6_P12ihipStream_tbENKUlT_T0_E_clISt17integral_constantIbLb0EESW_IbLb1EEEEDaSS_ST_EUlSS_E0_NS1_11comp_targetILNS1_3genE5ELNS1_11target_archE942ELNS1_3gpuE9ELNS1_3repE0EEENS1_30default_config_static_selectorELNS0_4arch9wavefront6targetE1EEEvT1_,@function
_ZN7rocprim17ROCPRIM_400000_NS6detail17trampoline_kernelINS0_14default_configENS1_20scan_config_selectorIyEEZZNS1_9scan_implILNS1_25lookback_scan_determinismE0ELb0ELb0ES3_N6thrust23THRUST_200600_302600_NS6detail15normal_iteratorINS9_10device_ptrIyEEEENS9_16discard_iteratorINS9_11use_defaultEEEyNS9_4plusIvEEyEEDaPvRmT3_T4_T5_mT6_P12ihipStream_tbENKUlT_T0_E_clISt17integral_constantIbLb0EESW_IbLb1EEEEDaSS_ST_EUlSS_E0_NS1_11comp_targetILNS1_3genE5ELNS1_11target_archE942ELNS1_3gpuE9ELNS1_3repE0EEENS1_30default_config_static_selectorELNS0_4arch9wavefront6targetE1EEEvT1_: ; @_ZN7rocprim17ROCPRIM_400000_NS6detail17trampoline_kernelINS0_14default_configENS1_20scan_config_selectorIyEEZZNS1_9scan_implILNS1_25lookback_scan_determinismE0ELb0ELb0ES3_N6thrust23THRUST_200600_302600_NS6detail15normal_iteratorINS9_10device_ptrIyEEEENS9_16discard_iteratorINS9_11use_defaultEEEyNS9_4plusIvEEyEEDaPvRmT3_T4_T5_mT6_P12ihipStream_tbENKUlT_T0_E_clISt17integral_constantIbLb0EESW_IbLb1EEEEDaSS_ST_EUlSS_E0_NS1_11comp_targetILNS1_3genE5ELNS1_11target_archE942ELNS1_3gpuE9ELNS1_3repE0EEENS1_30default_config_static_selectorELNS0_4arch9wavefront6targetE1EEEvT1_
; %bb.0:
	.section	.rodata,"a",@progbits
	.p2align	6, 0x0
	.amdhsa_kernel _ZN7rocprim17ROCPRIM_400000_NS6detail17trampoline_kernelINS0_14default_configENS1_20scan_config_selectorIyEEZZNS1_9scan_implILNS1_25lookback_scan_determinismE0ELb0ELb0ES3_N6thrust23THRUST_200600_302600_NS6detail15normal_iteratorINS9_10device_ptrIyEEEENS9_16discard_iteratorINS9_11use_defaultEEEyNS9_4plusIvEEyEEDaPvRmT3_T4_T5_mT6_P12ihipStream_tbENKUlT_T0_E_clISt17integral_constantIbLb0EESW_IbLb1EEEEDaSS_ST_EUlSS_E0_NS1_11comp_targetILNS1_3genE5ELNS1_11target_archE942ELNS1_3gpuE9ELNS1_3repE0EEENS1_30default_config_static_selectorELNS0_4arch9wavefront6targetE1EEEvT1_
		.amdhsa_group_segment_fixed_size 0
		.amdhsa_private_segment_fixed_size 0
		.amdhsa_kernarg_size 48
		.amdhsa_user_sgpr_count 6
		.amdhsa_user_sgpr_private_segment_buffer 1
		.amdhsa_user_sgpr_dispatch_ptr 0
		.amdhsa_user_sgpr_queue_ptr 0
		.amdhsa_user_sgpr_kernarg_segment_ptr 1
		.amdhsa_user_sgpr_dispatch_id 0
		.amdhsa_user_sgpr_flat_scratch_init 0
		.amdhsa_user_sgpr_kernarg_preload_length 0
		.amdhsa_user_sgpr_kernarg_preload_offset 0
		.amdhsa_user_sgpr_private_segment_size 0
		.amdhsa_uses_dynamic_stack 0
		.amdhsa_system_sgpr_private_segment_wavefront_offset 0
		.amdhsa_system_sgpr_workgroup_id_x 1
		.amdhsa_system_sgpr_workgroup_id_y 0
		.amdhsa_system_sgpr_workgroup_id_z 0
		.amdhsa_system_sgpr_workgroup_info 0
		.amdhsa_system_vgpr_workitem_id 0
		.amdhsa_next_free_vgpr 1
		.amdhsa_next_free_sgpr 0
		.amdhsa_accum_offset 4
		.amdhsa_reserve_vcc 0
		.amdhsa_reserve_flat_scratch 0
		.amdhsa_float_round_mode_32 0
		.amdhsa_float_round_mode_16_64 0
		.amdhsa_float_denorm_mode_32 3
		.amdhsa_float_denorm_mode_16_64 3
		.amdhsa_dx10_clamp 1
		.amdhsa_ieee_mode 1
		.amdhsa_fp16_overflow 0
		.amdhsa_tg_split 0
		.amdhsa_exception_fp_ieee_invalid_op 0
		.amdhsa_exception_fp_denorm_src 0
		.amdhsa_exception_fp_ieee_div_zero 0
		.amdhsa_exception_fp_ieee_overflow 0
		.amdhsa_exception_fp_ieee_underflow 0
		.amdhsa_exception_fp_ieee_inexact 0
		.amdhsa_exception_int_div_zero 0
	.end_amdhsa_kernel
	.section	.text._ZN7rocprim17ROCPRIM_400000_NS6detail17trampoline_kernelINS0_14default_configENS1_20scan_config_selectorIyEEZZNS1_9scan_implILNS1_25lookback_scan_determinismE0ELb0ELb0ES3_N6thrust23THRUST_200600_302600_NS6detail15normal_iteratorINS9_10device_ptrIyEEEENS9_16discard_iteratorINS9_11use_defaultEEEyNS9_4plusIvEEyEEDaPvRmT3_T4_T5_mT6_P12ihipStream_tbENKUlT_T0_E_clISt17integral_constantIbLb0EESW_IbLb1EEEEDaSS_ST_EUlSS_E0_NS1_11comp_targetILNS1_3genE5ELNS1_11target_archE942ELNS1_3gpuE9ELNS1_3repE0EEENS1_30default_config_static_selectorELNS0_4arch9wavefront6targetE1EEEvT1_,"axG",@progbits,_ZN7rocprim17ROCPRIM_400000_NS6detail17trampoline_kernelINS0_14default_configENS1_20scan_config_selectorIyEEZZNS1_9scan_implILNS1_25lookback_scan_determinismE0ELb0ELb0ES3_N6thrust23THRUST_200600_302600_NS6detail15normal_iteratorINS9_10device_ptrIyEEEENS9_16discard_iteratorINS9_11use_defaultEEEyNS9_4plusIvEEyEEDaPvRmT3_T4_T5_mT6_P12ihipStream_tbENKUlT_T0_E_clISt17integral_constantIbLb0EESW_IbLb1EEEEDaSS_ST_EUlSS_E0_NS1_11comp_targetILNS1_3genE5ELNS1_11target_archE942ELNS1_3gpuE9ELNS1_3repE0EEENS1_30default_config_static_selectorELNS0_4arch9wavefront6targetE1EEEvT1_,comdat
.Lfunc_end5214:
	.size	_ZN7rocprim17ROCPRIM_400000_NS6detail17trampoline_kernelINS0_14default_configENS1_20scan_config_selectorIyEEZZNS1_9scan_implILNS1_25lookback_scan_determinismE0ELb0ELb0ES3_N6thrust23THRUST_200600_302600_NS6detail15normal_iteratorINS9_10device_ptrIyEEEENS9_16discard_iteratorINS9_11use_defaultEEEyNS9_4plusIvEEyEEDaPvRmT3_T4_T5_mT6_P12ihipStream_tbENKUlT_T0_E_clISt17integral_constantIbLb0EESW_IbLb1EEEEDaSS_ST_EUlSS_E0_NS1_11comp_targetILNS1_3genE5ELNS1_11target_archE942ELNS1_3gpuE9ELNS1_3repE0EEENS1_30default_config_static_selectorELNS0_4arch9wavefront6targetE1EEEvT1_, .Lfunc_end5214-_ZN7rocprim17ROCPRIM_400000_NS6detail17trampoline_kernelINS0_14default_configENS1_20scan_config_selectorIyEEZZNS1_9scan_implILNS1_25lookback_scan_determinismE0ELb0ELb0ES3_N6thrust23THRUST_200600_302600_NS6detail15normal_iteratorINS9_10device_ptrIyEEEENS9_16discard_iteratorINS9_11use_defaultEEEyNS9_4plusIvEEyEEDaPvRmT3_T4_T5_mT6_P12ihipStream_tbENKUlT_T0_E_clISt17integral_constantIbLb0EESW_IbLb1EEEEDaSS_ST_EUlSS_E0_NS1_11comp_targetILNS1_3genE5ELNS1_11target_archE942ELNS1_3gpuE9ELNS1_3repE0EEENS1_30default_config_static_selectorELNS0_4arch9wavefront6targetE1EEEvT1_
                                        ; -- End function
	.section	.AMDGPU.csdata,"",@progbits
; Kernel info:
; codeLenInByte = 0
; NumSgprs: 4
; NumVgprs: 0
; NumAgprs: 0
; TotalNumVgprs: 0
; ScratchSize: 0
; MemoryBound: 0
; FloatMode: 240
; IeeeMode: 1
; LDSByteSize: 0 bytes/workgroup (compile time only)
; SGPRBlocks: 0
; VGPRBlocks: 0
; NumSGPRsForWavesPerEU: 4
; NumVGPRsForWavesPerEU: 1
; AccumOffset: 4
; Occupancy: 8
; WaveLimiterHint : 0
; COMPUTE_PGM_RSRC2:SCRATCH_EN: 0
; COMPUTE_PGM_RSRC2:USER_SGPR: 6
; COMPUTE_PGM_RSRC2:TRAP_HANDLER: 0
; COMPUTE_PGM_RSRC2:TGID_X_EN: 1
; COMPUTE_PGM_RSRC2:TGID_Y_EN: 0
; COMPUTE_PGM_RSRC2:TGID_Z_EN: 0
; COMPUTE_PGM_RSRC2:TIDIG_COMP_CNT: 0
; COMPUTE_PGM_RSRC3_GFX90A:ACCUM_OFFSET: 0
; COMPUTE_PGM_RSRC3_GFX90A:TG_SPLIT: 0
	.section	.text._ZN7rocprim17ROCPRIM_400000_NS6detail17trampoline_kernelINS0_14default_configENS1_20scan_config_selectorIyEEZZNS1_9scan_implILNS1_25lookback_scan_determinismE0ELb0ELb0ES3_N6thrust23THRUST_200600_302600_NS6detail15normal_iteratorINS9_10device_ptrIyEEEENS9_16discard_iteratorINS9_11use_defaultEEEyNS9_4plusIvEEyEEDaPvRmT3_T4_T5_mT6_P12ihipStream_tbENKUlT_T0_E_clISt17integral_constantIbLb0EESW_IbLb1EEEEDaSS_ST_EUlSS_E0_NS1_11comp_targetILNS1_3genE4ELNS1_11target_archE910ELNS1_3gpuE8ELNS1_3repE0EEENS1_30default_config_static_selectorELNS0_4arch9wavefront6targetE1EEEvT1_,"axG",@progbits,_ZN7rocprim17ROCPRIM_400000_NS6detail17trampoline_kernelINS0_14default_configENS1_20scan_config_selectorIyEEZZNS1_9scan_implILNS1_25lookback_scan_determinismE0ELb0ELb0ES3_N6thrust23THRUST_200600_302600_NS6detail15normal_iteratorINS9_10device_ptrIyEEEENS9_16discard_iteratorINS9_11use_defaultEEEyNS9_4plusIvEEyEEDaPvRmT3_T4_T5_mT6_P12ihipStream_tbENKUlT_T0_E_clISt17integral_constantIbLb0EESW_IbLb1EEEEDaSS_ST_EUlSS_E0_NS1_11comp_targetILNS1_3genE4ELNS1_11target_archE910ELNS1_3gpuE8ELNS1_3repE0EEENS1_30default_config_static_selectorELNS0_4arch9wavefront6targetE1EEEvT1_,comdat
	.protected	_ZN7rocprim17ROCPRIM_400000_NS6detail17trampoline_kernelINS0_14default_configENS1_20scan_config_selectorIyEEZZNS1_9scan_implILNS1_25lookback_scan_determinismE0ELb0ELb0ES3_N6thrust23THRUST_200600_302600_NS6detail15normal_iteratorINS9_10device_ptrIyEEEENS9_16discard_iteratorINS9_11use_defaultEEEyNS9_4plusIvEEyEEDaPvRmT3_T4_T5_mT6_P12ihipStream_tbENKUlT_T0_E_clISt17integral_constantIbLb0EESW_IbLb1EEEEDaSS_ST_EUlSS_E0_NS1_11comp_targetILNS1_3genE4ELNS1_11target_archE910ELNS1_3gpuE8ELNS1_3repE0EEENS1_30default_config_static_selectorELNS0_4arch9wavefront6targetE1EEEvT1_ ; -- Begin function _ZN7rocprim17ROCPRIM_400000_NS6detail17trampoline_kernelINS0_14default_configENS1_20scan_config_selectorIyEEZZNS1_9scan_implILNS1_25lookback_scan_determinismE0ELb0ELb0ES3_N6thrust23THRUST_200600_302600_NS6detail15normal_iteratorINS9_10device_ptrIyEEEENS9_16discard_iteratorINS9_11use_defaultEEEyNS9_4plusIvEEyEEDaPvRmT3_T4_T5_mT6_P12ihipStream_tbENKUlT_T0_E_clISt17integral_constantIbLb0EESW_IbLb1EEEEDaSS_ST_EUlSS_E0_NS1_11comp_targetILNS1_3genE4ELNS1_11target_archE910ELNS1_3gpuE8ELNS1_3repE0EEENS1_30default_config_static_selectorELNS0_4arch9wavefront6targetE1EEEvT1_
	.globl	_ZN7rocprim17ROCPRIM_400000_NS6detail17trampoline_kernelINS0_14default_configENS1_20scan_config_selectorIyEEZZNS1_9scan_implILNS1_25lookback_scan_determinismE0ELb0ELb0ES3_N6thrust23THRUST_200600_302600_NS6detail15normal_iteratorINS9_10device_ptrIyEEEENS9_16discard_iteratorINS9_11use_defaultEEEyNS9_4plusIvEEyEEDaPvRmT3_T4_T5_mT6_P12ihipStream_tbENKUlT_T0_E_clISt17integral_constantIbLb0EESW_IbLb1EEEEDaSS_ST_EUlSS_E0_NS1_11comp_targetILNS1_3genE4ELNS1_11target_archE910ELNS1_3gpuE8ELNS1_3repE0EEENS1_30default_config_static_selectorELNS0_4arch9wavefront6targetE1EEEvT1_
	.p2align	8
	.type	_ZN7rocprim17ROCPRIM_400000_NS6detail17trampoline_kernelINS0_14default_configENS1_20scan_config_selectorIyEEZZNS1_9scan_implILNS1_25lookback_scan_determinismE0ELb0ELb0ES3_N6thrust23THRUST_200600_302600_NS6detail15normal_iteratorINS9_10device_ptrIyEEEENS9_16discard_iteratorINS9_11use_defaultEEEyNS9_4plusIvEEyEEDaPvRmT3_T4_T5_mT6_P12ihipStream_tbENKUlT_T0_E_clISt17integral_constantIbLb0EESW_IbLb1EEEEDaSS_ST_EUlSS_E0_NS1_11comp_targetILNS1_3genE4ELNS1_11target_archE910ELNS1_3gpuE8ELNS1_3repE0EEENS1_30default_config_static_selectorELNS0_4arch9wavefront6targetE1EEEvT1_,@function
_ZN7rocprim17ROCPRIM_400000_NS6detail17trampoline_kernelINS0_14default_configENS1_20scan_config_selectorIyEEZZNS1_9scan_implILNS1_25lookback_scan_determinismE0ELb0ELb0ES3_N6thrust23THRUST_200600_302600_NS6detail15normal_iteratorINS9_10device_ptrIyEEEENS9_16discard_iteratorINS9_11use_defaultEEEyNS9_4plusIvEEyEEDaPvRmT3_T4_T5_mT6_P12ihipStream_tbENKUlT_T0_E_clISt17integral_constantIbLb0EESW_IbLb1EEEEDaSS_ST_EUlSS_E0_NS1_11comp_targetILNS1_3genE4ELNS1_11target_archE910ELNS1_3gpuE8ELNS1_3repE0EEENS1_30default_config_static_selectorELNS0_4arch9wavefront6targetE1EEEvT1_: ; @_ZN7rocprim17ROCPRIM_400000_NS6detail17trampoline_kernelINS0_14default_configENS1_20scan_config_selectorIyEEZZNS1_9scan_implILNS1_25lookback_scan_determinismE0ELb0ELb0ES3_N6thrust23THRUST_200600_302600_NS6detail15normal_iteratorINS9_10device_ptrIyEEEENS9_16discard_iteratorINS9_11use_defaultEEEyNS9_4plusIvEEyEEDaPvRmT3_T4_T5_mT6_P12ihipStream_tbENKUlT_T0_E_clISt17integral_constantIbLb0EESW_IbLb1EEEEDaSS_ST_EUlSS_E0_NS1_11comp_targetILNS1_3genE4ELNS1_11target_archE910ELNS1_3gpuE8ELNS1_3repE0EEENS1_30default_config_static_selectorELNS0_4arch9wavefront6targetE1EEEvT1_
; %bb.0:
	s_load_dwordx4 s[0:3], s[4:5], 0x0
	v_lshlrev_b32_e32 v21, 3, v0
	s_waitcnt lgkmcnt(0)
	s_load_dwordx2 s[4:5], s[0:1], 0x0
	v_cmp_gt_u32_e32 vcc, s2, v0
	s_waitcnt lgkmcnt(0)
	v_pk_mov_b32 v[2:3], s[4:5], s[4:5] op_sel:[0,1]
	s_and_saveexec_b64 s[6:7], vcc
	s_cbranch_execz .LBB5215_2
; %bb.1:
	global_load_dwordx2 v[2:3], v21, s[0:1]
.LBB5215_2:
	s_or_b64 exec, exec, s[6:7]
	v_or_b32_e32 v1, 0x80, v0
	v_cmp_gt_u32_e32 vcc, s2, v1
	v_pk_mov_b32 v[4:5], s[4:5], s[4:5] op_sel:[0,1]
	s_and_saveexec_b64 s[6:7], vcc
	s_cbranch_execz .LBB5215_4
; %bb.3:
	global_load_dwordx2 v[4:5], v21, s[0:1] offset:1024
.LBB5215_4:
	s_or_b64 exec, exec, s[6:7]
	v_or_b32_e32 v1, 0x100, v0
	v_cmp_gt_u32_e32 vcc, s2, v1
	v_pk_mov_b32 v[6:7], s[4:5], s[4:5] op_sel:[0,1]
	s_and_saveexec_b64 s[6:7], vcc
	s_cbranch_execz .LBB5215_6
; %bb.5:
	global_load_dwordx2 v[6:7], v21, s[0:1] offset:2048
.LBB5215_6:
	;; [unrolled: 9-line block ×3, first 2 shown]
	s_or_b64 exec, exec, s[6:7]
	v_or_b32_e32 v1, 0x200, v0
	v_cmp_gt_u32_e32 vcc, s2, v1
	v_pk_mov_b32 v[10:11], s[4:5], s[4:5] op_sel:[0,1]
	s_and_saveexec_b64 s[6:7], vcc
	s_cbranch_execz .LBB5215_10
; %bb.9:
	v_lshlrev_b32_e32 v1, 3, v1
	global_load_dwordx2 v[10:11], v1, s[0:1]
.LBB5215_10:
	s_or_b64 exec, exec, s[6:7]
	v_or_b32_e32 v1, 0x280, v0
	v_cmp_gt_u32_e32 vcc, s2, v1
	v_pk_mov_b32 v[12:13], s[4:5], s[4:5] op_sel:[0,1]
	s_and_saveexec_b64 s[6:7], vcc
	s_cbranch_execz .LBB5215_12
; %bb.11:
	v_lshlrev_b32_e32 v1, 3, v1
	global_load_dwordx2 v[12:13], v1, s[0:1]
.LBB5215_12:
	;; [unrolled: 10-line block ×3, first 2 shown]
	s_or_b64 exec, exec, s[2:3]
	v_mad_u32_u24 v1, v0, 48, v21
	s_waitcnt vmcnt(0)
	ds_write2st64_b64 v21, v[2:3], v[4:5] offset1:2
	ds_write2st64_b64 v21, v[6:7], v[8:9] offset0:4 offset1:6
	ds_write2st64_b64 v21, v[10:11], v[12:13] offset0:8 offset1:10
	ds_write_b64 v21, v[14:15] offset:6144
	s_waitcnt lgkmcnt(0)
	s_barrier
	ds_read2_b64 v[2:5], v1 offset1:1
	ds_read2_b64 v[6:9], v1 offset0:2 offset1:3
	ds_read2_b64 v[10:13], v1 offset0:4 offset1:5
	ds_read_b64 v[28:29], v1 offset:48
	v_lshrrev_b32_e32 v14, 2, v0
	s_waitcnt lgkmcnt(3)
	v_add_co_u32_e32 v20, vcc, v4, v2
	v_addc_co_u32_e32 v1, vcc, v5, v3, vcc
	s_waitcnt lgkmcnt(2)
	v_add_co_u32_e32 v18, vcc, v20, v6
	v_addc_co_u32_e32 v19, vcc, v1, v7, vcc
	v_add_co_u32_e32 v24, vcc, v18, v8
	v_addc_co_u32_e32 v25, vcc, v19, v9, vcc
	s_waitcnt lgkmcnt(1)
	v_add_co_u32_e32 v22, vcc, v24, v10
	v_addc_co_u32_e32 v23, vcc, v25, v11, vcc
	;; [unrolled: 5-line block ×3, first 2 shown]
	v_and_b32_e32 v14, 24, v14
	v_add_u32_e32 v14, v21, v14
	v_cmp_gt_u32_e32 vcc, 64, v0
	s_barrier
	ds_write_b64 v14, v[30:31]
	s_waitcnt lgkmcnt(0)
	s_barrier
	s_and_saveexec_b64 s[2:3], vcc
	s_cbranch_execz .LBB5215_18
; %bb.15:
	v_lshlrev_b32_e32 v14, 1, v0
	v_lshrrev_b32_e32 v15, 4, v0
	v_add_lshl_u32 v32, v15, v14, 3
	ds_read2_b64 v[14:17], v32 offset1:1
	s_waitcnt lgkmcnt(0)
	v_add_co_u32_e32 v34, vcc, v16, v14
	v_addc_co_u32_e32 v35, vcc, v17, v15, vcc
	s_nop 0
	v_mov_b32_dpp v17, v34 row_shr:1 row_mask:0xf bank_mask:0xf
	v_add_co_u32_e32 v17, vcc, v34, v17
	v_mbcnt_lo_u32_b32 v16, -1, 0
	v_addc_co_u32_e32 v37, vcc, 0, v35, vcc
	v_mbcnt_hi_u32_b32 v33, -1, v16
	v_mov_b32_dpp v36, v35 row_shr:1 row_mask:0xf bank_mask:0xf
	v_add_co_u32_e32 v38, vcc, 0, v17
	v_and_b32_e32 v16, 15, v33
	v_addc_co_u32_e32 v36, vcc, v36, v37, vcc
	v_cmp_eq_u32_e32 vcc, 0, v16
	v_cndmask_b32_e32 v17, v17, v34, vcc
	v_cndmask_b32_e32 v36, v36, v35, vcc
	v_cndmask_b32_e32 v37, v38, v34, vcc
	v_mov_b32_dpp v38, v17 row_shr:2 row_mask:0xf bank_mask:0xf
	v_mov_b32_dpp v39, v36 row_shr:2 row_mask:0xf bank_mask:0xf
	v_add_co_u32_e32 v38, vcc, v38, v37
	v_addc_co_u32_e32 v39, vcc, v39, v36, vcc
	v_cmp_lt_u32_e32 vcc, 1, v16
	v_cndmask_b32_e32 v17, v17, v38, vcc
	v_cndmask_b32_e32 v36, v36, v39, vcc
	v_cndmask_b32_e32 v37, v37, v38, vcc
	v_mov_b32_dpp v38, v17 row_shr:4 row_mask:0xf bank_mask:0xf
	v_mov_b32_dpp v39, v36 row_shr:4 row_mask:0xf bank_mask:0xf
	v_add_co_u32_e32 v38, vcc, v38, v37
	v_addc_co_u32_e32 v39, vcc, v39, v36, vcc
	v_cmp_lt_u32_e32 vcc, 3, v16
	;; [unrolled: 8-line block ×3, first 2 shown]
	v_cndmask_b32_e32 v40, v17, v38, vcc
	v_cndmask_b32_e32 v17, v36, v39, vcc
	;; [unrolled: 1-line block ×3, first 2 shown]
	v_mov_b32_dpp v36, v40 row_bcast:15 row_mask:0xf bank_mask:0xf
	v_mov_b32_dpp v37, v17 row_bcast:15 row_mask:0xf bank_mask:0xf
	v_add_co_u32_e32 v36, vcc, v36, v16
	v_and_b32_e32 v39, 16, v33
	v_addc_co_u32_e32 v38, vcc, v37, v17, vcc
	v_cmp_eq_u32_e32 vcc, 0, v39
	v_cndmask_b32_e32 v39, v38, v17, vcc
	v_cndmask_b32_e32 v37, v36, v40, vcc
	v_cmp_ne_u32_e64 s[0:1], 0, v33
	v_mov_b32_dpp v39, v39 row_bcast:31 row_mask:0xf bank_mask:0xf
	v_mov_b32_dpp v37, v37 row_bcast:31 row_mask:0xf bank_mask:0xf
	s_and_saveexec_b64 s[4:5], s[0:1]
; %bb.16:
	v_cndmask_b32_e32 v17, v38, v17, vcc
	v_cndmask_b32_e32 v16, v36, v16, vcc
	v_cmp_lt_u32_e32 vcc, 31, v33
	v_cndmask_b32_e32 v34, 0, v37, vcc
	v_cndmask_b32_e32 v35, 0, v39, vcc
	v_add_co_u32_e32 v34, vcc, v34, v16
	v_addc_co_u32_e32 v35, vcc, v35, v17, vcc
; %bb.17:
	s_or_b64 exec, exec, s[4:5]
	v_add_u32_e32 v16, -1, v33
	v_and_b32_e32 v17, 64, v33
	v_cmp_lt_i32_e32 vcc, v16, v17
	v_cndmask_b32_e32 v16, v16, v33, vcc
	v_lshlrev_b32_e32 v16, 2, v16
	ds_bpermute_b32 v17, v16, v34
	ds_bpermute_b32 v16, v16, v35
	; wave barrier
	s_waitcnt lgkmcnt(1)
	v_add_co_u32_e32 v14, vcc, v14, v17
	v_addc_co_u32_e32 v15, vcc, 0, v15, vcc
	v_add_co_u32_e32 v14, vcc, 0, v14
	s_waitcnt lgkmcnt(0)
	v_addc_co_u32_e32 v15, vcc, v15, v16, vcc
	v_cmp_eq_u32_e32 vcc, 0, v0
	v_cndmask_b32_e32 v15, v15, v31, vcc
	v_cndmask_b32_e32 v14, v14, v30, vcc
	ds_write_b64 v32, v[14:15]
	; wave barrier
	ds_read_b64 v[16:17], v32 offset:8
	s_waitcnt lgkmcnt(0)
	v_add_co_u32_e32 v14, vcc, v16, v14
	v_addc_co_u32_e32 v15, vcc, v17, v15, vcc
	ds_write_b64 v32, v[14:15] offset:8
.LBB5215_18:
	s_or_b64 exec, exec, s[2:3]
	v_mul_u32_u24_e32 v16, 48, v0
	v_cmp_ne_u32_e32 vcc, 0, v0
	v_pk_mov_b32 v[14:15], v[30:31], v[30:31] op_sel:[0,1]
	s_waitcnt lgkmcnt(0)
	s_barrier
	s_and_saveexec_b64 s[0:1], vcc
	s_cbranch_execz .LBB5215_20
; %bb.19:
	v_add_u32_e32 v0, -1, v0
	v_lshrrev_b32_e32 v14, 5, v0
	v_add_lshl_u32 v0, v14, v0, 3
	ds_read_b64 v[14:15], v0
.LBB5215_20:
	s_or_b64 exec, exec, s[0:1]
	s_and_saveexec_b64 s[0:1], vcc
	s_cbranch_execz .LBB5215_22
; %bb.21:
	s_waitcnt lgkmcnt(0)
	v_add_co_u32_e32 v2, vcc, v14, v2
	v_addc_co_u32_e32 v3, vcc, v15, v3, vcc
	v_add_co_u32_e32 v20, vcc, v2, v4
	v_addc_co_u32_e32 v1, vcc, v3, v5, vcc
	;; [unrolled: 2-line block ×7, first 2 shown]
	;;#ASMSTART
	;;#ASMEND
.LBB5215_22:
	s_or_b64 exec, exec, s[0:1]
	v_add_u32_e32 v0, v21, v16
	v_mov_b32_e32 v21, v1
	s_waitcnt lgkmcnt(0)
	s_barrier
	ds_write2_b64 v0, v[2:3], v[20:21] offset1:1
	ds_write2_b64 v0, v[18:19], v[24:25] offset0:2 offset1:3
	ds_write2_b64 v0, v[22:23], v[26:27] offset0:4 offset1:5
	ds_write_b64 v0, v[30:31] offset:48
	s_waitcnt lgkmcnt(0)
	s_barrier
	s_endpgm
	.section	.rodata,"a",@progbits
	.p2align	6, 0x0
	.amdhsa_kernel _ZN7rocprim17ROCPRIM_400000_NS6detail17trampoline_kernelINS0_14default_configENS1_20scan_config_selectorIyEEZZNS1_9scan_implILNS1_25lookback_scan_determinismE0ELb0ELb0ES3_N6thrust23THRUST_200600_302600_NS6detail15normal_iteratorINS9_10device_ptrIyEEEENS9_16discard_iteratorINS9_11use_defaultEEEyNS9_4plusIvEEyEEDaPvRmT3_T4_T5_mT6_P12ihipStream_tbENKUlT_T0_E_clISt17integral_constantIbLb0EESW_IbLb1EEEEDaSS_ST_EUlSS_E0_NS1_11comp_targetILNS1_3genE4ELNS1_11target_archE910ELNS1_3gpuE8ELNS1_3repE0EEENS1_30default_config_static_selectorELNS0_4arch9wavefront6targetE1EEEvT1_
		.amdhsa_group_segment_fixed_size 7168
		.amdhsa_private_segment_fixed_size 0
		.amdhsa_kernarg_size 48
		.amdhsa_user_sgpr_count 6
		.amdhsa_user_sgpr_private_segment_buffer 1
		.amdhsa_user_sgpr_dispatch_ptr 0
		.amdhsa_user_sgpr_queue_ptr 0
		.amdhsa_user_sgpr_kernarg_segment_ptr 1
		.amdhsa_user_sgpr_dispatch_id 0
		.amdhsa_user_sgpr_flat_scratch_init 0
		.amdhsa_user_sgpr_kernarg_preload_length 0
		.amdhsa_user_sgpr_kernarg_preload_offset 0
		.amdhsa_user_sgpr_private_segment_size 0
		.amdhsa_uses_dynamic_stack 0
		.amdhsa_system_sgpr_private_segment_wavefront_offset 0
		.amdhsa_system_sgpr_workgroup_id_x 1
		.amdhsa_system_sgpr_workgroup_id_y 0
		.amdhsa_system_sgpr_workgroup_id_z 0
		.amdhsa_system_sgpr_workgroup_info 0
		.amdhsa_system_vgpr_workitem_id 0
		.amdhsa_next_free_vgpr 41
		.amdhsa_next_free_sgpr 8
		.amdhsa_accum_offset 44
		.amdhsa_reserve_vcc 1
		.amdhsa_reserve_flat_scratch 0
		.amdhsa_float_round_mode_32 0
		.amdhsa_float_round_mode_16_64 0
		.amdhsa_float_denorm_mode_32 3
		.amdhsa_float_denorm_mode_16_64 3
		.amdhsa_dx10_clamp 1
		.amdhsa_ieee_mode 1
		.amdhsa_fp16_overflow 0
		.amdhsa_tg_split 0
		.amdhsa_exception_fp_ieee_invalid_op 0
		.amdhsa_exception_fp_denorm_src 0
		.amdhsa_exception_fp_ieee_div_zero 0
		.amdhsa_exception_fp_ieee_overflow 0
		.amdhsa_exception_fp_ieee_underflow 0
		.amdhsa_exception_fp_ieee_inexact 0
		.amdhsa_exception_int_div_zero 0
	.end_amdhsa_kernel
	.section	.text._ZN7rocprim17ROCPRIM_400000_NS6detail17trampoline_kernelINS0_14default_configENS1_20scan_config_selectorIyEEZZNS1_9scan_implILNS1_25lookback_scan_determinismE0ELb0ELb0ES3_N6thrust23THRUST_200600_302600_NS6detail15normal_iteratorINS9_10device_ptrIyEEEENS9_16discard_iteratorINS9_11use_defaultEEEyNS9_4plusIvEEyEEDaPvRmT3_T4_T5_mT6_P12ihipStream_tbENKUlT_T0_E_clISt17integral_constantIbLb0EESW_IbLb1EEEEDaSS_ST_EUlSS_E0_NS1_11comp_targetILNS1_3genE4ELNS1_11target_archE910ELNS1_3gpuE8ELNS1_3repE0EEENS1_30default_config_static_selectorELNS0_4arch9wavefront6targetE1EEEvT1_,"axG",@progbits,_ZN7rocprim17ROCPRIM_400000_NS6detail17trampoline_kernelINS0_14default_configENS1_20scan_config_selectorIyEEZZNS1_9scan_implILNS1_25lookback_scan_determinismE0ELb0ELb0ES3_N6thrust23THRUST_200600_302600_NS6detail15normal_iteratorINS9_10device_ptrIyEEEENS9_16discard_iteratorINS9_11use_defaultEEEyNS9_4plusIvEEyEEDaPvRmT3_T4_T5_mT6_P12ihipStream_tbENKUlT_T0_E_clISt17integral_constantIbLb0EESW_IbLb1EEEEDaSS_ST_EUlSS_E0_NS1_11comp_targetILNS1_3genE4ELNS1_11target_archE910ELNS1_3gpuE8ELNS1_3repE0EEENS1_30default_config_static_selectorELNS0_4arch9wavefront6targetE1EEEvT1_,comdat
.Lfunc_end5215:
	.size	_ZN7rocprim17ROCPRIM_400000_NS6detail17trampoline_kernelINS0_14default_configENS1_20scan_config_selectorIyEEZZNS1_9scan_implILNS1_25lookback_scan_determinismE0ELb0ELb0ES3_N6thrust23THRUST_200600_302600_NS6detail15normal_iteratorINS9_10device_ptrIyEEEENS9_16discard_iteratorINS9_11use_defaultEEEyNS9_4plusIvEEyEEDaPvRmT3_T4_T5_mT6_P12ihipStream_tbENKUlT_T0_E_clISt17integral_constantIbLb0EESW_IbLb1EEEEDaSS_ST_EUlSS_E0_NS1_11comp_targetILNS1_3genE4ELNS1_11target_archE910ELNS1_3gpuE8ELNS1_3repE0EEENS1_30default_config_static_selectorELNS0_4arch9wavefront6targetE1EEEvT1_, .Lfunc_end5215-_ZN7rocprim17ROCPRIM_400000_NS6detail17trampoline_kernelINS0_14default_configENS1_20scan_config_selectorIyEEZZNS1_9scan_implILNS1_25lookback_scan_determinismE0ELb0ELb0ES3_N6thrust23THRUST_200600_302600_NS6detail15normal_iteratorINS9_10device_ptrIyEEEENS9_16discard_iteratorINS9_11use_defaultEEEyNS9_4plusIvEEyEEDaPvRmT3_T4_T5_mT6_P12ihipStream_tbENKUlT_T0_E_clISt17integral_constantIbLb0EESW_IbLb1EEEEDaSS_ST_EUlSS_E0_NS1_11comp_targetILNS1_3genE4ELNS1_11target_archE910ELNS1_3gpuE8ELNS1_3repE0EEENS1_30default_config_static_selectorELNS0_4arch9wavefront6targetE1EEEvT1_
                                        ; -- End function
	.section	.AMDGPU.csdata,"",@progbits
; Kernel info:
; codeLenInByte = 1136
; NumSgprs: 12
; NumVgprs: 41
; NumAgprs: 0
; TotalNumVgprs: 41
; ScratchSize: 0
; MemoryBound: 0
; FloatMode: 240
; IeeeMode: 1
; LDSByteSize: 7168 bytes/workgroup (compile time only)
; SGPRBlocks: 1
; VGPRBlocks: 5
; NumSGPRsForWavesPerEU: 12
; NumVGPRsForWavesPerEU: 41
; AccumOffset: 44
; Occupancy: 5
; WaveLimiterHint : 0
; COMPUTE_PGM_RSRC2:SCRATCH_EN: 0
; COMPUTE_PGM_RSRC2:USER_SGPR: 6
; COMPUTE_PGM_RSRC2:TRAP_HANDLER: 0
; COMPUTE_PGM_RSRC2:TGID_X_EN: 1
; COMPUTE_PGM_RSRC2:TGID_Y_EN: 0
; COMPUTE_PGM_RSRC2:TGID_Z_EN: 0
; COMPUTE_PGM_RSRC2:TIDIG_COMP_CNT: 0
; COMPUTE_PGM_RSRC3_GFX90A:ACCUM_OFFSET: 10
; COMPUTE_PGM_RSRC3_GFX90A:TG_SPLIT: 0
	.section	.text._ZN7rocprim17ROCPRIM_400000_NS6detail17trampoline_kernelINS0_14default_configENS1_20scan_config_selectorIyEEZZNS1_9scan_implILNS1_25lookback_scan_determinismE0ELb0ELb0ES3_N6thrust23THRUST_200600_302600_NS6detail15normal_iteratorINS9_10device_ptrIyEEEENS9_16discard_iteratorINS9_11use_defaultEEEyNS9_4plusIvEEyEEDaPvRmT3_T4_T5_mT6_P12ihipStream_tbENKUlT_T0_E_clISt17integral_constantIbLb0EESW_IbLb1EEEEDaSS_ST_EUlSS_E0_NS1_11comp_targetILNS1_3genE3ELNS1_11target_archE908ELNS1_3gpuE7ELNS1_3repE0EEENS1_30default_config_static_selectorELNS0_4arch9wavefront6targetE1EEEvT1_,"axG",@progbits,_ZN7rocprim17ROCPRIM_400000_NS6detail17trampoline_kernelINS0_14default_configENS1_20scan_config_selectorIyEEZZNS1_9scan_implILNS1_25lookback_scan_determinismE0ELb0ELb0ES3_N6thrust23THRUST_200600_302600_NS6detail15normal_iteratorINS9_10device_ptrIyEEEENS9_16discard_iteratorINS9_11use_defaultEEEyNS9_4plusIvEEyEEDaPvRmT3_T4_T5_mT6_P12ihipStream_tbENKUlT_T0_E_clISt17integral_constantIbLb0EESW_IbLb1EEEEDaSS_ST_EUlSS_E0_NS1_11comp_targetILNS1_3genE3ELNS1_11target_archE908ELNS1_3gpuE7ELNS1_3repE0EEENS1_30default_config_static_selectorELNS0_4arch9wavefront6targetE1EEEvT1_,comdat
	.protected	_ZN7rocprim17ROCPRIM_400000_NS6detail17trampoline_kernelINS0_14default_configENS1_20scan_config_selectorIyEEZZNS1_9scan_implILNS1_25lookback_scan_determinismE0ELb0ELb0ES3_N6thrust23THRUST_200600_302600_NS6detail15normal_iteratorINS9_10device_ptrIyEEEENS9_16discard_iteratorINS9_11use_defaultEEEyNS9_4plusIvEEyEEDaPvRmT3_T4_T5_mT6_P12ihipStream_tbENKUlT_T0_E_clISt17integral_constantIbLb0EESW_IbLb1EEEEDaSS_ST_EUlSS_E0_NS1_11comp_targetILNS1_3genE3ELNS1_11target_archE908ELNS1_3gpuE7ELNS1_3repE0EEENS1_30default_config_static_selectorELNS0_4arch9wavefront6targetE1EEEvT1_ ; -- Begin function _ZN7rocprim17ROCPRIM_400000_NS6detail17trampoline_kernelINS0_14default_configENS1_20scan_config_selectorIyEEZZNS1_9scan_implILNS1_25lookback_scan_determinismE0ELb0ELb0ES3_N6thrust23THRUST_200600_302600_NS6detail15normal_iteratorINS9_10device_ptrIyEEEENS9_16discard_iteratorINS9_11use_defaultEEEyNS9_4plusIvEEyEEDaPvRmT3_T4_T5_mT6_P12ihipStream_tbENKUlT_T0_E_clISt17integral_constantIbLb0EESW_IbLb1EEEEDaSS_ST_EUlSS_E0_NS1_11comp_targetILNS1_3genE3ELNS1_11target_archE908ELNS1_3gpuE7ELNS1_3repE0EEENS1_30default_config_static_selectorELNS0_4arch9wavefront6targetE1EEEvT1_
	.globl	_ZN7rocprim17ROCPRIM_400000_NS6detail17trampoline_kernelINS0_14default_configENS1_20scan_config_selectorIyEEZZNS1_9scan_implILNS1_25lookback_scan_determinismE0ELb0ELb0ES3_N6thrust23THRUST_200600_302600_NS6detail15normal_iteratorINS9_10device_ptrIyEEEENS9_16discard_iteratorINS9_11use_defaultEEEyNS9_4plusIvEEyEEDaPvRmT3_T4_T5_mT6_P12ihipStream_tbENKUlT_T0_E_clISt17integral_constantIbLb0EESW_IbLb1EEEEDaSS_ST_EUlSS_E0_NS1_11comp_targetILNS1_3genE3ELNS1_11target_archE908ELNS1_3gpuE7ELNS1_3repE0EEENS1_30default_config_static_selectorELNS0_4arch9wavefront6targetE1EEEvT1_
	.p2align	8
	.type	_ZN7rocprim17ROCPRIM_400000_NS6detail17trampoline_kernelINS0_14default_configENS1_20scan_config_selectorIyEEZZNS1_9scan_implILNS1_25lookback_scan_determinismE0ELb0ELb0ES3_N6thrust23THRUST_200600_302600_NS6detail15normal_iteratorINS9_10device_ptrIyEEEENS9_16discard_iteratorINS9_11use_defaultEEEyNS9_4plusIvEEyEEDaPvRmT3_T4_T5_mT6_P12ihipStream_tbENKUlT_T0_E_clISt17integral_constantIbLb0EESW_IbLb1EEEEDaSS_ST_EUlSS_E0_NS1_11comp_targetILNS1_3genE3ELNS1_11target_archE908ELNS1_3gpuE7ELNS1_3repE0EEENS1_30default_config_static_selectorELNS0_4arch9wavefront6targetE1EEEvT1_,@function
_ZN7rocprim17ROCPRIM_400000_NS6detail17trampoline_kernelINS0_14default_configENS1_20scan_config_selectorIyEEZZNS1_9scan_implILNS1_25lookback_scan_determinismE0ELb0ELb0ES3_N6thrust23THRUST_200600_302600_NS6detail15normal_iteratorINS9_10device_ptrIyEEEENS9_16discard_iteratorINS9_11use_defaultEEEyNS9_4plusIvEEyEEDaPvRmT3_T4_T5_mT6_P12ihipStream_tbENKUlT_T0_E_clISt17integral_constantIbLb0EESW_IbLb1EEEEDaSS_ST_EUlSS_E0_NS1_11comp_targetILNS1_3genE3ELNS1_11target_archE908ELNS1_3gpuE7ELNS1_3repE0EEENS1_30default_config_static_selectorELNS0_4arch9wavefront6targetE1EEEvT1_: ; @_ZN7rocprim17ROCPRIM_400000_NS6detail17trampoline_kernelINS0_14default_configENS1_20scan_config_selectorIyEEZZNS1_9scan_implILNS1_25lookback_scan_determinismE0ELb0ELb0ES3_N6thrust23THRUST_200600_302600_NS6detail15normal_iteratorINS9_10device_ptrIyEEEENS9_16discard_iteratorINS9_11use_defaultEEEyNS9_4plusIvEEyEEDaPvRmT3_T4_T5_mT6_P12ihipStream_tbENKUlT_T0_E_clISt17integral_constantIbLb0EESW_IbLb1EEEEDaSS_ST_EUlSS_E0_NS1_11comp_targetILNS1_3genE3ELNS1_11target_archE908ELNS1_3gpuE7ELNS1_3repE0EEENS1_30default_config_static_selectorELNS0_4arch9wavefront6targetE1EEEvT1_
; %bb.0:
	.section	.rodata,"a",@progbits
	.p2align	6, 0x0
	.amdhsa_kernel _ZN7rocprim17ROCPRIM_400000_NS6detail17trampoline_kernelINS0_14default_configENS1_20scan_config_selectorIyEEZZNS1_9scan_implILNS1_25lookback_scan_determinismE0ELb0ELb0ES3_N6thrust23THRUST_200600_302600_NS6detail15normal_iteratorINS9_10device_ptrIyEEEENS9_16discard_iteratorINS9_11use_defaultEEEyNS9_4plusIvEEyEEDaPvRmT3_T4_T5_mT6_P12ihipStream_tbENKUlT_T0_E_clISt17integral_constantIbLb0EESW_IbLb1EEEEDaSS_ST_EUlSS_E0_NS1_11comp_targetILNS1_3genE3ELNS1_11target_archE908ELNS1_3gpuE7ELNS1_3repE0EEENS1_30default_config_static_selectorELNS0_4arch9wavefront6targetE1EEEvT1_
		.amdhsa_group_segment_fixed_size 0
		.amdhsa_private_segment_fixed_size 0
		.amdhsa_kernarg_size 48
		.amdhsa_user_sgpr_count 6
		.amdhsa_user_sgpr_private_segment_buffer 1
		.amdhsa_user_sgpr_dispatch_ptr 0
		.amdhsa_user_sgpr_queue_ptr 0
		.amdhsa_user_sgpr_kernarg_segment_ptr 1
		.amdhsa_user_sgpr_dispatch_id 0
		.amdhsa_user_sgpr_flat_scratch_init 0
		.amdhsa_user_sgpr_kernarg_preload_length 0
		.amdhsa_user_sgpr_kernarg_preload_offset 0
		.amdhsa_user_sgpr_private_segment_size 0
		.amdhsa_uses_dynamic_stack 0
		.amdhsa_system_sgpr_private_segment_wavefront_offset 0
		.amdhsa_system_sgpr_workgroup_id_x 1
		.amdhsa_system_sgpr_workgroup_id_y 0
		.amdhsa_system_sgpr_workgroup_id_z 0
		.amdhsa_system_sgpr_workgroup_info 0
		.amdhsa_system_vgpr_workitem_id 0
		.amdhsa_next_free_vgpr 1
		.amdhsa_next_free_sgpr 0
		.amdhsa_accum_offset 4
		.amdhsa_reserve_vcc 0
		.amdhsa_reserve_flat_scratch 0
		.amdhsa_float_round_mode_32 0
		.amdhsa_float_round_mode_16_64 0
		.amdhsa_float_denorm_mode_32 3
		.amdhsa_float_denorm_mode_16_64 3
		.amdhsa_dx10_clamp 1
		.amdhsa_ieee_mode 1
		.amdhsa_fp16_overflow 0
		.amdhsa_tg_split 0
		.amdhsa_exception_fp_ieee_invalid_op 0
		.amdhsa_exception_fp_denorm_src 0
		.amdhsa_exception_fp_ieee_div_zero 0
		.amdhsa_exception_fp_ieee_overflow 0
		.amdhsa_exception_fp_ieee_underflow 0
		.amdhsa_exception_fp_ieee_inexact 0
		.amdhsa_exception_int_div_zero 0
	.end_amdhsa_kernel
	.section	.text._ZN7rocprim17ROCPRIM_400000_NS6detail17trampoline_kernelINS0_14default_configENS1_20scan_config_selectorIyEEZZNS1_9scan_implILNS1_25lookback_scan_determinismE0ELb0ELb0ES3_N6thrust23THRUST_200600_302600_NS6detail15normal_iteratorINS9_10device_ptrIyEEEENS9_16discard_iteratorINS9_11use_defaultEEEyNS9_4plusIvEEyEEDaPvRmT3_T4_T5_mT6_P12ihipStream_tbENKUlT_T0_E_clISt17integral_constantIbLb0EESW_IbLb1EEEEDaSS_ST_EUlSS_E0_NS1_11comp_targetILNS1_3genE3ELNS1_11target_archE908ELNS1_3gpuE7ELNS1_3repE0EEENS1_30default_config_static_selectorELNS0_4arch9wavefront6targetE1EEEvT1_,"axG",@progbits,_ZN7rocprim17ROCPRIM_400000_NS6detail17trampoline_kernelINS0_14default_configENS1_20scan_config_selectorIyEEZZNS1_9scan_implILNS1_25lookback_scan_determinismE0ELb0ELb0ES3_N6thrust23THRUST_200600_302600_NS6detail15normal_iteratorINS9_10device_ptrIyEEEENS9_16discard_iteratorINS9_11use_defaultEEEyNS9_4plusIvEEyEEDaPvRmT3_T4_T5_mT6_P12ihipStream_tbENKUlT_T0_E_clISt17integral_constantIbLb0EESW_IbLb1EEEEDaSS_ST_EUlSS_E0_NS1_11comp_targetILNS1_3genE3ELNS1_11target_archE908ELNS1_3gpuE7ELNS1_3repE0EEENS1_30default_config_static_selectorELNS0_4arch9wavefront6targetE1EEEvT1_,comdat
.Lfunc_end5216:
	.size	_ZN7rocprim17ROCPRIM_400000_NS6detail17trampoline_kernelINS0_14default_configENS1_20scan_config_selectorIyEEZZNS1_9scan_implILNS1_25lookback_scan_determinismE0ELb0ELb0ES3_N6thrust23THRUST_200600_302600_NS6detail15normal_iteratorINS9_10device_ptrIyEEEENS9_16discard_iteratorINS9_11use_defaultEEEyNS9_4plusIvEEyEEDaPvRmT3_T4_T5_mT6_P12ihipStream_tbENKUlT_T0_E_clISt17integral_constantIbLb0EESW_IbLb1EEEEDaSS_ST_EUlSS_E0_NS1_11comp_targetILNS1_3genE3ELNS1_11target_archE908ELNS1_3gpuE7ELNS1_3repE0EEENS1_30default_config_static_selectorELNS0_4arch9wavefront6targetE1EEEvT1_, .Lfunc_end5216-_ZN7rocprim17ROCPRIM_400000_NS6detail17trampoline_kernelINS0_14default_configENS1_20scan_config_selectorIyEEZZNS1_9scan_implILNS1_25lookback_scan_determinismE0ELb0ELb0ES3_N6thrust23THRUST_200600_302600_NS6detail15normal_iteratorINS9_10device_ptrIyEEEENS9_16discard_iteratorINS9_11use_defaultEEEyNS9_4plusIvEEyEEDaPvRmT3_T4_T5_mT6_P12ihipStream_tbENKUlT_T0_E_clISt17integral_constantIbLb0EESW_IbLb1EEEEDaSS_ST_EUlSS_E0_NS1_11comp_targetILNS1_3genE3ELNS1_11target_archE908ELNS1_3gpuE7ELNS1_3repE0EEENS1_30default_config_static_selectorELNS0_4arch9wavefront6targetE1EEEvT1_
                                        ; -- End function
	.section	.AMDGPU.csdata,"",@progbits
; Kernel info:
; codeLenInByte = 0
; NumSgprs: 4
; NumVgprs: 0
; NumAgprs: 0
; TotalNumVgprs: 0
; ScratchSize: 0
; MemoryBound: 0
; FloatMode: 240
; IeeeMode: 1
; LDSByteSize: 0 bytes/workgroup (compile time only)
; SGPRBlocks: 0
; VGPRBlocks: 0
; NumSGPRsForWavesPerEU: 4
; NumVGPRsForWavesPerEU: 1
; AccumOffset: 4
; Occupancy: 8
; WaveLimiterHint : 0
; COMPUTE_PGM_RSRC2:SCRATCH_EN: 0
; COMPUTE_PGM_RSRC2:USER_SGPR: 6
; COMPUTE_PGM_RSRC2:TRAP_HANDLER: 0
; COMPUTE_PGM_RSRC2:TGID_X_EN: 1
; COMPUTE_PGM_RSRC2:TGID_Y_EN: 0
; COMPUTE_PGM_RSRC2:TGID_Z_EN: 0
; COMPUTE_PGM_RSRC2:TIDIG_COMP_CNT: 0
; COMPUTE_PGM_RSRC3_GFX90A:ACCUM_OFFSET: 0
; COMPUTE_PGM_RSRC3_GFX90A:TG_SPLIT: 0
	.section	.text._ZN7rocprim17ROCPRIM_400000_NS6detail17trampoline_kernelINS0_14default_configENS1_20scan_config_selectorIyEEZZNS1_9scan_implILNS1_25lookback_scan_determinismE0ELb0ELb0ES3_N6thrust23THRUST_200600_302600_NS6detail15normal_iteratorINS9_10device_ptrIyEEEENS9_16discard_iteratorINS9_11use_defaultEEEyNS9_4plusIvEEyEEDaPvRmT3_T4_T5_mT6_P12ihipStream_tbENKUlT_T0_E_clISt17integral_constantIbLb0EESW_IbLb1EEEEDaSS_ST_EUlSS_E0_NS1_11comp_targetILNS1_3genE2ELNS1_11target_archE906ELNS1_3gpuE6ELNS1_3repE0EEENS1_30default_config_static_selectorELNS0_4arch9wavefront6targetE1EEEvT1_,"axG",@progbits,_ZN7rocprim17ROCPRIM_400000_NS6detail17trampoline_kernelINS0_14default_configENS1_20scan_config_selectorIyEEZZNS1_9scan_implILNS1_25lookback_scan_determinismE0ELb0ELb0ES3_N6thrust23THRUST_200600_302600_NS6detail15normal_iteratorINS9_10device_ptrIyEEEENS9_16discard_iteratorINS9_11use_defaultEEEyNS9_4plusIvEEyEEDaPvRmT3_T4_T5_mT6_P12ihipStream_tbENKUlT_T0_E_clISt17integral_constantIbLb0EESW_IbLb1EEEEDaSS_ST_EUlSS_E0_NS1_11comp_targetILNS1_3genE2ELNS1_11target_archE906ELNS1_3gpuE6ELNS1_3repE0EEENS1_30default_config_static_selectorELNS0_4arch9wavefront6targetE1EEEvT1_,comdat
	.protected	_ZN7rocprim17ROCPRIM_400000_NS6detail17trampoline_kernelINS0_14default_configENS1_20scan_config_selectorIyEEZZNS1_9scan_implILNS1_25lookback_scan_determinismE0ELb0ELb0ES3_N6thrust23THRUST_200600_302600_NS6detail15normal_iteratorINS9_10device_ptrIyEEEENS9_16discard_iteratorINS9_11use_defaultEEEyNS9_4plusIvEEyEEDaPvRmT3_T4_T5_mT6_P12ihipStream_tbENKUlT_T0_E_clISt17integral_constantIbLb0EESW_IbLb1EEEEDaSS_ST_EUlSS_E0_NS1_11comp_targetILNS1_3genE2ELNS1_11target_archE906ELNS1_3gpuE6ELNS1_3repE0EEENS1_30default_config_static_selectorELNS0_4arch9wavefront6targetE1EEEvT1_ ; -- Begin function _ZN7rocprim17ROCPRIM_400000_NS6detail17trampoline_kernelINS0_14default_configENS1_20scan_config_selectorIyEEZZNS1_9scan_implILNS1_25lookback_scan_determinismE0ELb0ELb0ES3_N6thrust23THRUST_200600_302600_NS6detail15normal_iteratorINS9_10device_ptrIyEEEENS9_16discard_iteratorINS9_11use_defaultEEEyNS9_4plusIvEEyEEDaPvRmT3_T4_T5_mT6_P12ihipStream_tbENKUlT_T0_E_clISt17integral_constantIbLb0EESW_IbLb1EEEEDaSS_ST_EUlSS_E0_NS1_11comp_targetILNS1_3genE2ELNS1_11target_archE906ELNS1_3gpuE6ELNS1_3repE0EEENS1_30default_config_static_selectorELNS0_4arch9wavefront6targetE1EEEvT1_
	.globl	_ZN7rocprim17ROCPRIM_400000_NS6detail17trampoline_kernelINS0_14default_configENS1_20scan_config_selectorIyEEZZNS1_9scan_implILNS1_25lookback_scan_determinismE0ELb0ELb0ES3_N6thrust23THRUST_200600_302600_NS6detail15normal_iteratorINS9_10device_ptrIyEEEENS9_16discard_iteratorINS9_11use_defaultEEEyNS9_4plusIvEEyEEDaPvRmT3_T4_T5_mT6_P12ihipStream_tbENKUlT_T0_E_clISt17integral_constantIbLb0EESW_IbLb1EEEEDaSS_ST_EUlSS_E0_NS1_11comp_targetILNS1_3genE2ELNS1_11target_archE906ELNS1_3gpuE6ELNS1_3repE0EEENS1_30default_config_static_selectorELNS0_4arch9wavefront6targetE1EEEvT1_
	.p2align	8
	.type	_ZN7rocprim17ROCPRIM_400000_NS6detail17trampoline_kernelINS0_14default_configENS1_20scan_config_selectorIyEEZZNS1_9scan_implILNS1_25lookback_scan_determinismE0ELb0ELb0ES3_N6thrust23THRUST_200600_302600_NS6detail15normal_iteratorINS9_10device_ptrIyEEEENS9_16discard_iteratorINS9_11use_defaultEEEyNS9_4plusIvEEyEEDaPvRmT3_T4_T5_mT6_P12ihipStream_tbENKUlT_T0_E_clISt17integral_constantIbLb0EESW_IbLb1EEEEDaSS_ST_EUlSS_E0_NS1_11comp_targetILNS1_3genE2ELNS1_11target_archE906ELNS1_3gpuE6ELNS1_3repE0EEENS1_30default_config_static_selectorELNS0_4arch9wavefront6targetE1EEEvT1_,@function
_ZN7rocprim17ROCPRIM_400000_NS6detail17trampoline_kernelINS0_14default_configENS1_20scan_config_selectorIyEEZZNS1_9scan_implILNS1_25lookback_scan_determinismE0ELb0ELb0ES3_N6thrust23THRUST_200600_302600_NS6detail15normal_iteratorINS9_10device_ptrIyEEEENS9_16discard_iteratorINS9_11use_defaultEEEyNS9_4plusIvEEyEEDaPvRmT3_T4_T5_mT6_P12ihipStream_tbENKUlT_T0_E_clISt17integral_constantIbLb0EESW_IbLb1EEEEDaSS_ST_EUlSS_E0_NS1_11comp_targetILNS1_3genE2ELNS1_11target_archE906ELNS1_3gpuE6ELNS1_3repE0EEENS1_30default_config_static_selectorELNS0_4arch9wavefront6targetE1EEEvT1_: ; @_ZN7rocprim17ROCPRIM_400000_NS6detail17trampoline_kernelINS0_14default_configENS1_20scan_config_selectorIyEEZZNS1_9scan_implILNS1_25lookback_scan_determinismE0ELb0ELb0ES3_N6thrust23THRUST_200600_302600_NS6detail15normal_iteratorINS9_10device_ptrIyEEEENS9_16discard_iteratorINS9_11use_defaultEEEyNS9_4plusIvEEyEEDaPvRmT3_T4_T5_mT6_P12ihipStream_tbENKUlT_T0_E_clISt17integral_constantIbLb0EESW_IbLb1EEEEDaSS_ST_EUlSS_E0_NS1_11comp_targetILNS1_3genE2ELNS1_11target_archE906ELNS1_3gpuE6ELNS1_3repE0EEENS1_30default_config_static_selectorELNS0_4arch9wavefront6targetE1EEEvT1_
; %bb.0:
	.section	.rodata,"a",@progbits
	.p2align	6, 0x0
	.amdhsa_kernel _ZN7rocprim17ROCPRIM_400000_NS6detail17trampoline_kernelINS0_14default_configENS1_20scan_config_selectorIyEEZZNS1_9scan_implILNS1_25lookback_scan_determinismE0ELb0ELb0ES3_N6thrust23THRUST_200600_302600_NS6detail15normal_iteratorINS9_10device_ptrIyEEEENS9_16discard_iteratorINS9_11use_defaultEEEyNS9_4plusIvEEyEEDaPvRmT3_T4_T5_mT6_P12ihipStream_tbENKUlT_T0_E_clISt17integral_constantIbLb0EESW_IbLb1EEEEDaSS_ST_EUlSS_E0_NS1_11comp_targetILNS1_3genE2ELNS1_11target_archE906ELNS1_3gpuE6ELNS1_3repE0EEENS1_30default_config_static_selectorELNS0_4arch9wavefront6targetE1EEEvT1_
		.amdhsa_group_segment_fixed_size 0
		.amdhsa_private_segment_fixed_size 0
		.amdhsa_kernarg_size 48
		.amdhsa_user_sgpr_count 6
		.amdhsa_user_sgpr_private_segment_buffer 1
		.amdhsa_user_sgpr_dispatch_ptr 0
		.amdhsa_user_sgpr_queue_ptr 0
		.amdhsa_user_sgpr_kernarg_segment_ptr 1
		.amdhsa_user_sgpr_dispatch_id 0
		.amdhsa_user_sgpr_flat_scratch_init 0
		.amdhsa_user_sgpr_kernarg_preload_length 0
		.amdhsa_user_sgpr_kernarg_preload_offset 0
		.amdhsa_user_sgpr_private_segment_size 0
		.amdhsa_uses_dynamic_stack 0
		.amdhsa_system_sgpr_private_segment_wavefront_offset 0
		.amdhsa_system_sgpr_workgroup_id_x 1
		.amdhsa_system_sgpr_workgroup_id_y 0
		.amdhsa_system_sgpr_workgroup_id_z 0
		.amdhsa_system_sgpr_workgroup_info 0
		.amdhsa_system_vgpr_workitem_id 0
		.amdhsa_next_free_vgpr 1
		.amdhsa_next_free_sgpr 0
		.amdhsa_accum_offset 4
		.amdhsa_reserve_vcc 0
		.amdhsa_reserve_flat_scratch 0
		.amdhsa_float_round_mode_32 0
		.amdhsa_float_round_mode_16_64 0
		.amdhsa_float_denorm_mode_32 3
		.amdhsa_float_denorm_mode_16_64 3
		.amdhsa_dx10_clamp 1
		.amdhsa_ieee_mode 1
		.amdhsa_fp16_overflow 0
		.amdhsa_tg_split 0
		.amdhsa_exception_fp_ieee_invalid_op 0
		.amdhsa_exception_fp_denorm_src 0
		.amdhsa_exception_fp_ieee_div_zero 0
		.amdhsa_exception_fp_ieee_overflow 0
		.amdhsa_exception_fp_ieee_underflow 0
		.amdhsa_exception_fp_ieee_inexact 0
		.amdhsa_exception_int_div_zero 0
	.end_amdhsa_kernel
	.section	.text._ZN7rocprim17ROCPRIM_400000_NS6detail17trampoline_kernelINS0_14default_configENS1_20scan_config_selectorIyEEZZNS1_9scan_implILNS1_25lookback_scan_determinismE0ELb0ELb0ES3_N6thrust23THRUST_200600_302600_NS6detail15normal_iteratorINS9_10device_ptrIyEEEENS9_16discard_iteratorINS9_11use_defaultEEEyNS9_4plusIvEEyEEDaPvRmT3_T4_T5_mT6_P12ihipStream_tbENKUlT_T0_E_clISt17integral_constantIbLb0EESW_IbLb1EEEEDaSS_ST_EUlSS_E0_NS1_11comp_targetILNS1_3genE2ELNS1_11target_archE906ELNS1_3gpuE6ELNS1_3repE0EEENS1_30default_config_static_selectorELNS0_4arch9wavefront6targetE1EEEvT1_,"axG",@progbits,_ZN7rocprim17ROCPRIM_400000_NS6detail17trampoline_kernelINS0_14default_configENS1_20scan_config_selectorIyEEZZNS1_9scan_implILNS1_25lookback_scan_determinismE0ELb0ELb0ES3_N6thrust23THRUST_200600_302600_NS6detail15normal_iteratorINS9_10device_ptrIyEEEENS9_16discard_iteratorINS9_11use_defaultEEEyNS9_4plusIvEEyEEDaPvRmT3_T4_T5_mT6_P12ihipStream_tbENKUlT_T0_E_clISt17integral_constantIbLb0EESW_IbLb1EEEEDaSS_ST_EUlSS_E0_NS1_11comp_targetILNS1_3genE2ELNS1_11target_archE906ELNS1_3gpuE6ELNS1_3repE0EEENS1_30default_config_static_selectorELNS0_4arch9wavefront6targetE1EEEvT1_,comdat
.Lfunc_end5217:
	.size	_ZN7rocprim17ROCPRIM_400000_NS6detail17trampoline_kernelINS0_14default_configENS1_20scan_config_selectorIyEEZZNS1_9scan_implILNS1_25lookback_scan_determinismE0ELb0ELb0ES3_N6thrust23THRUST_200600_302600_NS6detail15normal_iteratorINS9_10device_ptrIyEEEENS9_16discard_iteratorINS9_11use_defaultEEEyNS9_4plusIvEEyEEDaPvRmT3_T4_T5_mT6_P12ihipStream_tbENKUlT_T0_E_clISt17integral_constantIbLb0EESW_IbLb1EEEEDaSS_ST_EUlSS_E0_NS1_11comp_targetILNS1_3genE2ELNS1_11target_archE906ELNS1_3gpuE6ELNS1_3repE0EEENS1_30default_config_static_selectorELNS0_4arch9wavefront6targetE1EEEvT1_, .Lfunc_end5217-_ZN7rocprim17ROCPRIM_400000_NS6detail17trampoline_kernelINS0_14default_configENS1_20scan_config_selectorIyEEZZNS1_9scan_implILNS1_25lookback_scan_determinismE0ELb0ELb0ES3_N6thrust23THRUST_200600_302600_NS6detail15normal_iteratorINS9_10device_ptrIyEEEENS9_16discard_iteratorINS9_11use_defaultEEEyNS9_4plusIvEEyEEDaPvRmT3_T4_T5_mT6_P12ihipStream_tbENKUlT_T0_E_clISt17integral_constantIbLb0EESW_IbLb1EEEEDaSS_ST_EUlSS_E0_NS1_11comp_targetILNS1_3genE2ELNS1_11target_archE906ELNS1_3gpuE6ELNS1_3repE0EEENS1_30default_config_static_selectorELNS0_4arch9wavefront6targetE1EEEvT1_
                                        ; -- End function
	.section	.AMDGPU.csdata,"",@progbits
; Kernel info:
; codeLenInByte = 0
; NumSgprs: 4
; NumVgprs: 0
; NumAgprs: 0
; TotalNumVgprs: 0
; ScratchSize: 0
; MemoryBound: 0
; FloatMode: 240
; IeeeMode: 1
; LDSByteSize: 0 bytes/workgroup (compile time only)
; SGPRBlocks: 0
; VGPRBlocks: 0
; NumSGPRsForWavesPerEU: 4
; NumVGPRsForWavesPerEU: 1
; AccumOffset: 4
; Occupancy: 8
; WaveLimiterHint : 0
; COMPUTE_PGM_RSRC2:SCRATCH_EN: 0
; COMPUTE_PGM_RSRC2:USER_SGPR: 6
; COMPUTE_PGM_RSRC2:TRAP_HANDLER: 0
; COMPUTE_PGM_RSRC2:TGID_X_EN: 1
; COMPUTE_PGM_RSRC2:TGID_Y_EN: 0
; COMPUTE_PGM_RSRC2:TGID_Z_EN: 0
; COMPUTE_PGM_RSRC2:TIDIG_COMP_CNT: 0
; COMPUTE_PGM_RSRC3_GFX90A:ACCUM_OFFSET: 0
; COMPUTE_PGM_RSRC3_GFX90A:TG_SPLIT: 0
	.section	.text._ZN7rocprim17ROCPRIM_400000_NS6detail17trampoline_kernelINS0_14default_configENS1_20scan_config_selectorIyEEZZNS1_9scan_implILNS1_25lookback_scan_determinismE0ELb0ELb0ES3_N6thrust23THRUST_200600_302600_NS6detail15normal_iteratorINS9_10device_ptrIyEEEENS9_16discard_iteratorINS9_11use_defaultEEEyNS9_4plusIvEEyEEDaPvRmT3_T4_T5_mT6_P12ihipStream_tbENKUlT_T0_E_clISt17integral_constantIbLb0EESW_IbLb1EEEEDaSS_ST_EUlSS_E0_NS1_11comp_targetILNS1_3genE10ELNS1_11target_archE1201ELNS1_3gpuE5ELNS1_3repE0EEENS1_30default_config_static_selectorELNS0_4arch9wavefront6targetE1EEEvT1_,"axG",@progbits,_ZN7rocprim17ROCPRIM_400000_NS6detail17trampoline_kernelINS0_14default_configENS1_20scan_config_selectorIyEEZZNS1_9scan_implILNS1_25lookback_scan_determinismE0ELb0ELb0ES3_N6thrust23THRUST_200600_302600_NS6detail15normal_iteratorINS9_10device_ptrIyEEEENS9_16discard_iteratorINS9_11use_defaultEEEyNS9_4plusIvEEyEEDaPvRmT3_T4_T5_mT6_P12ihipStream_tbENKUlT_T0_E_clISt17integral_constantIbLb0EESW_IbLb1EEEEDaSS_ST_EUlSS_E0_NS1_11comp_targetILNS1_3genE10ELNS1_11target_archE1201ELNS1_3gpuE5ELNS1_3repE0EEENS1_30default_config_static_selectorELNS0_4arch9wavefront6targetE1EEEvT1_,comdat
	.protected	_ZN7rocprim17ROCPRIM_400000_NS6detail17trampoline_kernelINS0_14default_configENS1_20scan_config_selectorIyEEZZNS1_9scan_implILNS1_25lookback_scan_determinismE0ELb0ELb0ES3_N6thrust23THRUST_200600_302600_NS6detail15normal_iteratorINS9_10device_ptrIyEEEENS9_16discard_iteratorINS9_11use_defaultEEEyNS9_4plusIvEEyEEDaPvRmT3_T4_T5_mT6_P12ihipStream_tbENKUlT_T0_E_clISt17integral_constantIbLb0EESW_IbLb1EEEEDaSS_ST_EUlSS_E0_NS1_11comp_targetILNS1_3genE10ELNS1_11target_archE1201ELNS1_3gpuE5ELNS1_3repE0EEENS1_30default_config_static_selectorELNS0_4arch9wavefront6targetE1EEEvT1_ ; -- Begin function _ZN7rocprim17ROCPRIM_400000_NS6detail17trampoline_kernelINS0_14default_configENS1_20scan_config_selectorIyEEZZNS1_9scan_implILNS1_25lookback_scan_determinismE0ELb0ELb0ES3_N6thrust23THRUST_200600_302600_NS6detail15normal_iteratorINS9_10device_ptrIyEEEENS9_16discard_iteratorINS9_11use_defaultEEEyNS9_4plusIvEEyEEDaPvRmT3_T4_T5_mT6_P12ihipStream_tbENKUlT_T0_E_clISt17integral_constantIbLb0EESW_IbLb1EEEEDaSS_ST_EUlSS_E0_NS1_11comp_targetILNS1_3genE10ELNS1_11target_archE1201ELNS1_3gpuE5ELNS1_3repE0EEENS1_30default_config_static_selectorELNS0_4arch9wavefront6targetE1EEEvT1_
	.globl	_ZN7rocprim17ROCPRIM_400000_NS6detail17trampoline_kernelINS0_14default_configENS1_20scan_config_selectorIyEEZZNS1_9scan_implILNS1_25lookback_scan_determinismE0ELb0ELb0ES3_N6thrust23THRUST_200600_302600_NS6detail15normal_iteratorINS9_10device_ptrIyEEEENS9_16discard_iteratorINS9_11use_defaultEEEyNS9_4plusIvEEyEEDaPvRmT3_T4_T5_mT6_P12ihipStream_tbENKUlT_T0_E_clISt17integral_constantIbLb0EESW_IbLb1EEEEDaSS_ST_EUlSS_E0_NS1_11comp_targetILNS1_3genE10ELNS1_11target_archE1201ELNS1_3gpuE5ELNS1_3repE0EEENS1_30default_config_static_selectorELNS0_4arch9wavefront6targetE1EEEvT1_
	.p2align	8
	.type	_ZN7rocprim17ROCPRIM_400000_NS6detail17trampoline_kernelINS0_14default_configENS1_20scan_config_selectorIyEEZZNS1_9scan_implILNS1_25lookback_scan_determinismE0ELb0ELb0ES3_N6thrust23THRUST_200600_302600_NS6detail15normal_iteratorINS9_10device_ptrIyEEEENS9_16discard_iteratorINS9_11use_defaultEEEyNS9_4plusIvEEyEEDaPvRmT3_T4_T5_mT6_P12ihipStream_tbENKUlT_T0_E_clISt17integral_constantIbLb0EESW_IbLb1EEEEDaSS_ST_EUlSS_E0_NS1_11comp_targetILNS1_3genE10ELNS1_11target_archE1201ELNS1_3gpuE5ELNS1_3repE0EEENS1_30default_config_static_selectorELNS0_4arch9wavefront6targetE1EEEvT1_,@function
_ZN7rocprim17ROCPRIM_400000_NS6detail17trampoline_kernelINS0_14default_configENS1_20scan_config_selectorIyEEZZNS1_9scan_implILNS1_25lookback_scan_determinismE0ELb0ELb0ES3_N6thrust23THRUST_200600_302600_NS6detail15normal_iteratorINS9_10device_ptrIyEEEENS9_16discard_iteratorINS9_11use_defaultEEEyNS9_4plusIvEEyEEDaPvRmT3_T4_T5_mT6_P12ihipStream_tbENKUlT_T0_E_clISt17integral_constantIbLb0EESW_IbLb1EEEEDaSS_ST_EUlSS_E0_NS1_11comp_targetILNS1_3genE10ELNS1_11target_archE1201ELNS1_3gpuE5ELNS1_3repE0EEENS1_30default_config_static_selectorELNS0_4arch9wavefront6targetE1EEEvT1_: ; @_ZN7rocprim17ROCPRIM_400000_NS6detail17trampoline_kernelINS0_14default_configENS1_20scan_config_selectorIyEEZZNS1_9scan_implILNS1_25lookback_scan_determinismE0ELb0ELb0ES3_N6thrust23THRUST_200600_302600_NS6detail15normal_iteratorINS9_10device_ptrIyEEEENS9_16discard_iteratorINS9_11use_defaultEEEyNS9_4plusIvEEyEEDaPvRmT3_T4_T5_mT6_P12ihipStream_tbENKUlT_T0_E_clISt17integral_constantIbLb0EESW_IbLb1EEEEDaSS_ST_EUlSS_E0_NS1_11comp_targetILNS1_3genE10ELNS1_11target_archE1201ELNS1_3gpuE5ELNS1_3repE0EEENS1_30default_config_static_selectorELNS0_4arch9wavefront6targetE1EEEvT1_
; %bb.0:
	.section	.rodata,"a",@progbits
	.p2align	6, 0x0
	.amdhsa_kernel _ZN7rocprim17ROCPRIM_400000_NS6detail17trampoline_kernelINS0_14default_configENS1_20scan_config_selectorIyEEZZNS1_9scan_implILNS1_25lookback_scan_determinismE0ELb0ELb0ES3_N6thrust23THRUST_200600_302600_NS6detail15normal_iteratorINS9_10device_ptrIyEEEENS9_16discard_iteratorINS9_11use_defaultEEEyNS9_4plusIvEEyEEDaPvRmT3_T4_T5_mT6_P12ihipStream_tbENKUlT_T0_E_clISt17integral_constantIbLb0EESW_IbLb1EEEEDaSS_ST_EUlSS_E0_NS1_11comp_targetILNS1_3genE10ELNS1_11target_archE1201ELNS1_3gpuE5ELNS1_3repE0EEENS1_30default_config_static_selectorELNS0_4arch9wavefront6targetE1EEEvT1_
		.amdhsa_group_segment_fixed_size 0
		.amdhsa_private_segment_fixed_size 0
		.amdhsa_kernarg_size 48
		.amdhsa_user_sgpr_count 6
		.amdhsa_user_sgpr_private_segment_buffer 1
		.amdhsa_user_sgpr_dispatch_ptr 0
		.amdhsa_user_sgpr_queue_ptr 0
		.amdhsa_user_sgpr_kernarg_segment_ptr 1
		.amdhsa_user_sgpr_dispatch_id 0
		.amdhsa_user_sgpr_flat_scratch_init 0
		.amdhsa_user_sgpr_kernarg_preload_length 0
		.amdhsa_user_sgpr_kernarg_preload_offset 0
		.amdhsa_user_sgpr_private_segment_size 0
		.amdhsa_uses_dynamic_stack 0
		.amdhsa_system_sgpr_private_segment_wavefront_offset 0
		.amdhsa_system_sgpr_workgroup_id_x 1
		.amdhsa_system_sgpr_workgroup_id_y 0
		.amdhsa_system_sgpr_workgroup_id_z 0
		.amdhsa_system_sgpr_workgroup_info 0
		.amdhsa_system_vgpr_workitem_id 0
		.amdhsa_next_free_vgpr 1
		.amdhsa_next_free_sgpr 0
		.amdhsa_accum_offset 4
		.amdhsa_reserve_vcc 0
		.amdhsa_reserve_flat_scratch 0
		.amdhsa_float_round_mode_32 0
		.amdhsa_float_round_mode_16_64 0
		.amdhsa_float_denorm_mode_32 3
		.amdhsa_float_denorm_mode_16_64 3
		.amdhsa_dx10_clamp 1
		.amdhsa_ieee_mode 1
		.amdhsa_fp16_overflow 0
		.amdhsa_tg_split 0
		.amdhsa_exception_fp_ieee_invalid_op 0
		.amdhsa_exception_fp_denorm_src 0
		.amdhsa_exception_fp_ieee_div_zero 0
		.amdhsa_exception_fp_ieee_overflow 0
		.amdhsa_exception_fp_ieee_underflow 0
		.amdhsa_exception_fp_ieee_inexact 0
		.amdhsa_exception_int_div_zero 0
	.end_amdhsa_kernel
	.section	.text._ZN7rocprim17ROCPRIM_400000_NS6detail17trampoline_kernelINS0_14default_configENS1_20scan_config_selectorIyEEZZNS1_9scan_implILNS1_25lookback_scan_determinismE0ELb0ELb0ES3_N6thrust23THRUST_200600_302600_NS6detail15normal_iteratorINS9_10device_ptrIyEEEENS9_16discard_iteratorINS9_11use_defaultEEEyNS9_4plusIvEEyEEDaPvRmT3_T4_T5_mT6_P12ihipStream_tbENKUlT_T0_E_clISt17integral_constantIbLb0EESW_IbLb1EEEEDaSS_ST_EUlSS_E0_NS1_11comp_targetILNS1_3genE10ELNS1_11target_archE1201ELNS1_3gpuE5ELNS1_3repE0EEENS1_30default_config_static_selectorELNS0_4arch9wavefront6targetE1EEEvT1_,"axG",@progbits,_ZN7rocprim17ROCPRIM_400000_NS6detail17trampoline_kernelINS0_14default_configENS1_20scan_config_selectorIyEEZZNS1_9scan_implILNS1_25lookback_scan_determinismE0ELb0ELb0ES3_N6thrust23THRUST_200600_302600_NS6detail15normal_iteratorINS9_10device_ptrIyEEEENS9_16discard_iteratorINS9_11use_defaultEEEyNS9_4plusIvEEyEEDaPvRmT3_T4_T5_mT6_P12ihipStream_tbENKUlT_T0_E_clISt17integral_constantIbLb0EESW_IbLb1EEEEDaSS_ST_EUlSS_E0_NS1_11comp_targetILNS1_3genE10ELNS1_11target_archE1201ELNS1_3gpuE5ELNS1_3repE0EEENS1_30default_config_static_selectorELNS0_4arch9wavefront6targetE1EEEvT1_,comdat
.Lfunc_end5218:
	.size	_ZN7rocprim17ROCPRIM_400000_NS6detail17trampoline_kernelINS0_14default_configENS1_20scan_config_selectorIyEEZZNS1_9scan_implILNS1_25lookback_scan_determinismE0ELb0ELb0ES3_N6thrust23THRUST_200600_302600_NS6detail15normal_iteratorINS9_10device_ptrIyEEEENS9_16discard_iteratorINS9_11use_defaultEEEyNS9_4plusIvEEyEEDaPvRmT3_T4_T5_mT6_P12ihipStream_tbENKUlT_T0_E_clISt17integral_constantIbLb0EESW_IbLb1EEEEDaSS_ST_EUlSS_E0_NS1_11comp_targetILNS1_3genE10ELNS1_11target_archE1201ELNS1_3gpuE5ELNS1_3repE0EEENS1_30default_config_static_selectorELNS0_4arch9wavefront6targetE1EEEvT1_, .Lfunc_end5218-_ZN7rocprim17ROCPRIM_400000_NS6detail17trampoline_kernelINS0_14default_configENS1_20scan_config_selectorIyEEZZNS1_9scan_implILNS1_25lookback_scan_determinismE0ELb0ELb0ES3_N6thrust23THRUST_200600_302600_NS6detail15normal_iteratorINS9_10device_ptrIyEEEENS9_16discard_iteratorINS9_11use_defaultEEEyNS9_4plusIvEEyEEDaPvRmT3_T4_T5_mT6_P12ihipStream_tbENKUlT_T0_E_clISt17integral_constantIbLb0EESW_IbLb1EEEEDaSS_ST_EUlSS_E0_NS1_11comp_targetILNS1_3genE10ELNS1_11target_archE1201ELNS1_3gpuE5ELNS1_3repE0EEENS1_30default_config_static_selectorELNS0_4arch9wavefront6targetE1EEEvT1_
                                        ; -- End function
	.section	.AMDGPU.csdata,"",@progbits
; Kernel info:
; codeLenInByte = 0
; NumSgprs: 4
; NumVgprs: 0
; NumAgprs: 0
; TotalNumVgprs: 0
; ScratchSize: 0
; MemoryBound: 0
; FloatMode: 240
; IeeeMode: 1
; LDSByteSize: 0 bytes/workgroup (compile time only)
; SGPRBlocks: 0
; VGPRBlocks: 0
; NumSGPRsForWavesPerEU: 4
; NumVGPRsForWavesPerEU: 1
; AccumOffset: 4
; Occupancy: 8
; WaveLimiterHint : 0
; COMPUTE_PGM_RSRC2:SCRATCH_EN: 0
; COMPUTE_PGM_RSRC2:USER_SGPR: 6
; COMPUTE_PGM_RSRC2:TRAP_HANDLER: 0
; COMPUTE_PGM_RSRC2:TGID_X_EN: 1
; COMPUTE_PGM_RSRC2:TGID_Y_EN: 0
; COMPUTE_PGM_RSRC2:TGID_Z_EN: 0
; COMPUTE_PGM_RSRC2:TIDIG_COMP_CNT: 0
; COMPUTE_PGM_RSRC3_GFX90A:ACCUM_OFFSET: 0
; COMPUTE_PGM_RSRC3_GFX90A:TG_SPLIT: 0
	.section	.text._ZN7rocprim17ROCPRIM_400000_NS6detail17trampoline_kernelINS0_14default_configENS1_20scan_config_selectorIyEEZZNS1_9scan_implILNS1_25lookback_scan_determinismE0ELb0ELb0ES3_N6thrust23THRUST_200600_302600_NS6detail15normal_iteratorINS9_10device_ptrIyEEEENS9_16discard_iteratorINS9_11use_defaultEEEyNS9_4plusIvEEyEEDaPvRmT3_T4_T5_mT6_P12ihipStream_tbENKUlT_T0_E_clISt17integral_constantIbLb0EESW_IbLb1EEEEDaSS_ST_EUlSS_E0_NS1_11comp_targetILNS1_3genE10ELNS1_11target_archE1200ELNS1_3gpuE4ELNS1_3repE0EEENS1_30default_config_static_selectorELNS0_4arch9wavefront6targetE1EEEvT1_,"axG",@progbits,_ZN7rocprim17ROCPRIM_400000_NS6detail17trampoline_kernelINS0_14default_configENS1_20scan_config_selectorIyEEZZNS1_9scan_implILNS1_25lookback_scan_determinismE0ELb0ELb0ES3_N6thrust23THRUST_200600_302600_NS6detail15normal_iteratorINS9_10device_ptrIyEEEENS9_16discard_iteratorINS9_11use_defaultEEEyNS9_4plusIvEEyEEDaPvRmT3_T4_T5_mT6_P12ihipStream_tbENKUlT_T0_E_clISt17integral_constantIbLb0EESW_IbLb1EEEEDaSS_ST_EUlSS_E0_NS1_11comp_targetILNS1_3genE10ELNS1_11target_archE1200ELNS1_3gpuE4ELNS1_3repE0EEENS1_30default_config_static_selectorELNS0_4arch9wavefront6targetE1EEEvT1_,comdat
	.protected	_ZN7rocprim17ROCPRIM_400000_NS6detail17trampoline_kernelINS0_14default_configENS1_20scan_config_selectorIyEEZZNS1_9scan_implILNS1_25lookback_scan_determinismE0ELb0ELb0ES3_N6thrust23THRUST_200600_302600_NS6detail15normal_iteratorINS9_10device_ptrIyEEEENS9_16discard_iteratorINS9_11use_defaultEEEyNS9_4plusIvEEyEEDaPvRmT3_T4_T5_mT6_P12ihipStream_tbENKUlT_T0_E_clISt17integral_constantIbLb0EESW_IbLb1EEEEDaSS_ST_EUlSS_E0_NS1_11comp_targetILNS1_3genE10ELNS1_11target_archE1200ELNS1_3gpuE4ELNS1_3repE0EEENS1_30default_config_static_selectorELNS0_4arch9wavefront6targetE1EEEvT1_ ; -- Begin function _ZN7rocprim17ROCPRIM_400000_NS6detail17trampoline_kernelINS0_14default_configENS1_20scan_config_selectorIyEEZZNS1_9scan_implILNS1_25lookback_scan_determinismE0ELb0ELb0ES3_N6thrust23THRUST_200600_302600_NS6detail15normal_iteratorINS9_10device_ptrIyEEEENS9_16discard_iteratorINS9_11use_defaultEEEyNS9_4plusIvEEyEEDaPvRmT3_T4_T5_mT6_P12ihipStream_tbENKUlT_T0_E_clISt17integral_constantIbLb0EESW_IbLb1EEEEDaSS_ST_EUlSS_E0_NS1_11comp_targetILNS1_3genE10ELNS1_11target_archE1200ELNS1_3gpuE4ELNS1_3repE0EEENS1_30default_config_static_selectorELNS0_4arch9wavefront6targetE1EEEvT1_
	.globl	_ZN7rocprim17ROCPRIM_400000_NS6detail17trampoline_kernelINS0_14default_configENS1_20scan_config_selectorIyEEZZNS1_9scan_implILNS1_25lookback_scan_determinismE0ELb0ELb0ES3_N6thrust23THRUST_200600_302600_NS6detail15normal_iteratorINS9_10device_ptrIyEEEENS9_16discard_iteratorINS9_11use_defaultEEEyNS9_4plusIvEEyEEDaPvRmT3_T4_T5_mT6_P12ihipStream_tbENKUlT_T0_E_clISt17integral_constantIbLb0EESW_IbLb1EEEEDaSS_ST_EUlSS_E0_NS1_11comp_targetILNS1_3genE10ELNS1_11target_archE1200ELNS1_3gpuE4ELNS1_3repE0EEENS1_30default_config_static_selectorELNS0_4arch9wavefront6targetE1EEEvT1_
	.p2align	8
	.type	_ZN7rocprim17ROCPRIM_400000_NS6detail17trampoline_kernelINS0_14default_configENS1_20scan_config_selectorIyEEZZNS1_9scan_implILNS1_25lookback_scan_determinismE0ELb0ELb0ES3_N6thrust23THRUST_200600_302600_NS6detail15normal_iteratorINS9_10device_ptrIyEEEENS9_16discard_iteratorINS9_11use_defaultEEEyNS9_4plusIvEEyEEDaPvRmT3_T4_T5_mT6_P12ihipStream_tbENKUlT_T0_E_clISt17integral_constantIbLb0EESW_IbLb1EEEEDaSS_ST_EUlSS_E0_NS1_11comp_targetILNS1_3genE10ELNS1_11target_archE1200ELNS1_3gpuE4ELNS1_3repE0EEENS1_30default_config_static_selectorELNS0_4arch9wavefront6targetE1EEEvT1_,@function
_ZN7rocprim17ROCPRIM_400000_NS6detail17trampoline_kernelINS0_14default_configENS1_20scan_config_selectorIyEEZZNS1_9scan_implILNS1_25lookback_scan_determinismE0ELb0ELb0ES3_N6thrust23THRUST_200600_302600_NS6detail15normal_iteratorINS9_10device_ptrIyEEEENS9_16discard_iteratorINS9_11use_defaultEEEyNS9_4plusIvEEyEEDaPvRmT3_T4_T5_mT6_P12ihipStream_tbENKUlT_T0_E_clISt17integral_constantIbLb0EESW_IbLb1EEEEDaSS_ST_EUlSS_E0_NS1_11comp_targetILNS1_3genE10ELNS1_11target_archE1200ELNS1_3gpuE4ELNS1_3repE0EEENS1_30default_config_static_selectorELNS0_4arch9wavefront6targetE1EEEvT1_: ; @_ZN7rocprim17ROCPRIM_400000_NS6detail17trampoline_kernelINS0_14default_configENS1_20scan_config_selectorIyEEZZNS1_9scan_implILNS1_25lookback_scan_determinismE0ELb0ELb0ES3_N6thrust23THRUST_200600_302600_NS6detail15normal_iteratorINS9_10device_ptrIyEEEENS9_16discard_iteratorINS9_11use_defaultEEEyNS9_4plusIvEEyEEDaPvRmT3_T4_T5_mT6_P12ihipStream_tbENKUlT_T0_E_clISt17integral_constantIbLb0EESW_IbLb1EEEEDaSS_ST_EUlSS_E0_NS1_11comp_targetILNS1_3genE10ELNS1_11target_archE1200ELNS1_3gpuE4ELNS1_3repE0EEENS1_30default_config_static_selectorELNS0_4arch9wavefront6targetE1EEEvT1_
; %bb.0:
	.section	.rodata,"a",@progbits
	.p2align	6, 0x0
	.amdhsa_kernel _ZN7rocprim17ROCPRIM_400000_NS6detail17trampoline_kernelINS0_14default_configENS1_20scan_config_selectorIyEEZZNS1_9scan_implILNS1_25lookback_scan_determinismE0ELb0ELb0ES3_N6thrust23THRUST_200600_302600_NS6detail15normal_iteratorINS9_10device_ptrIyEEEENS9_16discard_iteratorINS9_11use_defaultEEEyNS9_4plusIvEEyEEDaPvRmT3_T4_T5_mT6_P12ihipStream_tbENKUlT_T0_E_clISt17integral_constantIbLb0EESW_IbLb1EEEEDaSS_ST_EUlSS_E0_NS1_11comp_targetILNS1_3genE10ELNS1_11target_archE1200ELNS1_3gpuE4ELNS1_3repE0EEENS1_30default_config_static_selectorELNS0_4arch9wavefront6targetE1EEEvT1_
		.amdhsa_group_segment_fixed_size 0
		.amdhsa_private_segment_fixed_size 0
		.amdhsa_kernarg_size 48
		.amdhsa_user_sgpr_count 6
		.amdhsa_user_sgpr_private_segment_buffer 1
		.amdhsa_user_sgpr_dispatch_ptr 0
		.amdhsa_user_sgpr_queue_ptr 0
		.amdhsa_user_sgpr_kernarg_segment_ptr 1
		.amdhsa_user_sgpr_dispatch_id 0
		.amdhsa_user_sgpr_flat_scratch_init 0
		.amdhsa_user_sgpr_kernarg_preload_length 0
		.amdhsa_user_sgpr_kernarg_preload_offset 0
		.amdhsa_user_sgpr_private_segment_size 0
		.amdhsa_uses_dynamic_stack 0
		.amdhsa_system_sgpr_private_segment_wavefront_offset 0
		.amdhsa_system_sgpr_workgroup_id_x 1
		.amdhsa_system_sgpr_workgroup_id_y 0
		.amdhsa_system_sgpr_workgroup_id_z 0
		.amdhsa_system_sgpr_workgroup_info 0
		.amdhsa_system_vgpr_workitem_id 0
		.amdhsa_next_free_vgpr 1
		.amdhsa_next_free_sgpr 0
		.amdhsa_accum_offset 4
		.amdhsa_reserve_vcc 0
		.amdhsa_reserve_flat_scratch 0
		.amdhsa_float_round_mode_32 0
		.amdhsa_float_round_mode_16_64 0
		.amdhsa_float_denorm_mode_32 3
		.amdhsa_float_denorm_mode_16_64 3
		.amdhsa_dx10_clamp 1
		.amdhsa_ieee_mode 1
		.amdhsa_fp16_overflow 0
		.amdhsa_tg_split 0
		.amdhsa_exception_fp_ieee_invalid_op 0
		.amdhsa_exception_fp_denorm_src 0
		.amdhsa_exception_fp_ieee_div_zero 0
		.amdhsa_exception_fp_ieee_overflow 0
		.amdhsa_exception_fp_ieee_underflow 0
		.amdhsa_exception_fp_ieee_inexact 0
		.amdhsa_exception_int_div_zero 0
	.end_amdhsa_kernel
	.section	.text._ZN7rocprim17ROCPRIM_400000_NS6detail17trampoline_kernelINS0_14default_configENS1_20scan_config_selectorIyEEZZNS1_9scan_implILNS1_25lookback_scan_determinismE0ELb0ELb0ES3_N6thrust23THRUST_200600_302600_NS6detail15normal_iteratorINS9_10device_ptrIyEEEENS9_16discard_iteratorINS9_11use_defaultEEEyNS9_4plusIvEEyEEDaPvRmT3_T4_T5_mT6_P12ihipStream_tbENKUlT_T0_E_clISt17integral_constantIbLb0EESW_IbLb1EEEEDaSS_ST_EUlSS_E0_NS1_11comp_targetILNS1_3genE10ELNS1_11target_archE1200ELNS1_3gpuE4ELNS1_3repE0EEENS1_30default_config_static_selectorELNS0_4arch9wavefront6targetE1EEEvT1_,"axG",@progbits,_ZN7rocprim17ROCPRIM_400000_NS6detail17trampoline_kernelINS0_14default_configENS1_20scan_config_selectorIyEEZZNS1_9scan_implILNS1_25lookback_scan_determinismE0ELb0ELb0ES3_N6thrust23THRUST_200600_302600_NS6detail15normal_iteratorINS9_10device_ptrIyEEEENS9_16discard_iteratorINS9_11use_defaultEEEyNS9_4plusIvEEyEEDaPvRmT3_T4_T5_mT6_P12ihipStream_tbENKUlT_T0_E_clISt17integral_constantIbLb0EESW_IbLb1EEEEDaSS_ST_EUlSS_E0_NS1_11comp_targetILNS1_3genE10ELNS1_11target_archE1200ELNS1_3gpuE4ELNS1_3repE0EEENS1_30default_config_static_selectorELNS0_4arch9wavefront6targetE1EEEvT1_,comdat
.Lfunc_end5219:
	.size	_ZN7rocprim17ROCPRIM_400000_NS6detail17trampoline_kernelINS0_14default_configENS1_20scan_config_selectorIyEEZZNS1_9scan_implILNS1_25lookback_scan_determinismE0ELb0ELb0ES3_N6thrust23THRUST_200600_302600_NS6detail15normal_iteratorINS9_10device_ptrIyEEEENS9_16discard_iteratorINS9_11use_defaultEEEyNS9_4plusIvEEyEEDaPvRmT3_T4_T5_mT6_P12ihipStream_tbENKUlT_T0_E_clISt17integral_constantIbLb0EESW_IbLb1EEEEDaSS_ST_EUlSS_E0_NS1_11comp_targetILNS1_3genE10ELNS1_11target_archE1200ELNS1_3gpuE4ELNS1_3repE0EEENS1_30default_config_static_selectorELNS0_4arch9wavefront6targetE1EEEvT1_, .Lfunc_end5219-_ZN7rocprim17ROCPRIM_400000_NS6detail17trampoline_kernelINS0_14default_configENS1_20scan_config_selectorIyEEZZNS1_9scan_implILNS1_25lookback_scan_determinismE0ELb0ELb0ES3_N6thrust23THRUST_200600_302600_NS6detail15normal_iteratorINS9_10device_ptrIyEEEENS9_16discard_iteratorINS9_11use_defaultEEEyNS9_4plusIvEEyEEDaPvRmT3_T4_T5_mT6_P12ihipStream_tbENKUlT_T0_E_clISt17integral_constantIbLb0EESW_IbLb1EEEEDaSS_ST_EUlSS_E0_NS1_11comp_targetILNS1_3genE10ELNS1_11target_archE1200ELNS1_3gpuE4ELNS1_3repE0EEENS1_30default_config_static_selectorELNS0_4arch9wavefront6targetE1EEEvT1_
                                        ; -- End function
	.section	.AMDGPU.csdata,"",@progbits
; Kernel info:
; codeLenInByte = 0
; NumSgprs: 4
; NumVgprs: 0
; NumAgprs: 0
; TotalNumVgprs: 0
; ScratchSize: 0
; MemoryBound: 0
; FloatMode: 240
; IeeeMode: 1
; LDSByteSize: 0 bytes/workgroup (compile time only)
; SGPRBlocks: 0
; VGPRBlocks: 0
; NumSGPRsForWavesPerEU: 4
; NumVGPRsForWavesPerEU: 1
; AccumOffset: 4
; Occupancy: 8
; WaveLimiterHint : 0
; COMPUTE_PGM_RSRC2:SCRATCH_EN: 0
; COMPUTE_PGM_RSRC2:USER_SGPR: 6
; COMPUTE_PGM_RSRC2:TRAP_HANDLER: 0
; COMPUTE_PGM_RSRC2:TGID_X_EN: 1
; COMPUTE_PGM_RSRC2:TGID_Y_EN: 0
; COMPUTE_PGM_RSRC2:TGID_Z_EN: 0
; COMPUTE_PGM_RSRC2:TIDIG_COMP_CNT: 0
; COMPUTE_PGM_RSRC3_GFX90A:ACCUM_OFFSET: 0
; COMPUTE_PGM_RSRC3_GFX90A:TG_SPLIT: 0
	.section	.text._ZN7rocprim17ROCPRIM_400000_NS6detail17trampoline_kernelINS0_14default_configENS1_20scan_config_selectorIyEEZZNS1_9scan_implILNS1_25lookback_scan_determinismE0ELb0ELb0ES3_N6thrust23THRUST_200600_302600_NS6detail15normal_iteratorINS9_10device_ptrIyEEEENS9_16discard_iteratorINS9_11use_defaultEEEyNS9_4plusIvEEyEEDaPvRmT3_T4_T5_mT6_P12ihipStream_tbENKUlT_T0_E_clISt17integral_constantIbLb0EESW_IbLb1EEEEDaSS_ST_EUlSS_E0_NS1_11comp_targetILNS1_3genE9ELNS1_11target_archE1100ELNS1_3gpuE3ELNS1_3repE0EEENS1_30default_config_static_selectorELNS0_4arch9wavefront6targetE1EEEvT1_,"axG",@progbits,_ZN7rocprim17ROCPRIM_400000_NS6detail17trampoline_kernelINS0_14default_configENS1_20scan_config_selectorIyEEZZNS1_9scan_implILNS1_25lookback_scan_determinismE0ELb0ELb0ES3_N6thrust23THRUST_200600_302600_NS6detail15normal_iteratorINS9_10device_ptrIyEEEENS9_16discard_iteratorINS9_11use_defaultEEEyNS9_4plusIvEEyEEDaPvRmT3_T4_T5_mT6_P12ihipStream_tbENKUlT_T0_E_clISt17integral_constantIbLb0EESW_IbLb1EEEEDaSS_ST_EUlSS_E0_NS1_11comp_targetILNS1_3genE9ELNS1_11target_archE1100ELNS1_3gpuE3ELNS1_3repE0EEENS1_30default_config_static_selectorELNS0_4arch9wavefront6targetE1EEEvT1_,comdat
	.protected	_ZN7rocprim17ROCPRIM_400000_NS6detail17trampoline_kernelINS0_14default_configENS1_20scan_config_selectorIyEEZZNS1_9scan_implILNS1_25lookback_scan_determinismE0ELb0ELb0ES3_N6thrust23THRUST_200600_302600_NS6detail15normal_iteratorINS9_10device_ptrIyEEEENS9_16discard_iteratorINS9_11use_defaultEEEyNS9_4plusIvEEyEEDaPvRmT3_T4_T5_mT6_P12ihipStream_tbENKUlT_T0_E_clISt17integral_constantIbLb0EESW_IbLb1EEEEDaSS_ST_EUlSS_E0_NS1_11comp_targetILNS1_3genE9ELNS1_11target_archE1100ELNS1_3gpuE3ELNS1_3repE0EEENS1_30default_config_static_selectorELNS0_4arch9wavefront6targetE1EEEvT1_ ; -- Begin function _ZN7rocprim17ROCPRIM_400000_NS6detail17trampoline_kernelINS0_14default_configENS1_20scan_config_selectorIyEEZZNS1_9scan_implILNS1_25lookback_scan_determinismE0ELb0ELb0ES3_N6thrust23THRUST_200600_302600_NS6detail15normal_iteratorINS9_10device_ptrIyEEEENS9_16discard_iteratorINS9_11use_defaultEEEyNS9_4plusIvEEyEEDaPvRmT3_T4_T5_mT6_P12ihipStream_tbENKUlT_T0_E_clISt17integral_constantIbLb0EESW_IbLb1EEEEDaSS_ST_EUlSS_E0_NS1_11comp_targetILNS1_3genE9ELNS1_11target_archE1100ELNS1_3gpuE3ELNS1_3repE0EEENS1_30default_config_static_selectorELNS0_4arch9wavefront6targetE1EEEvT1_
	.globl	_ZN7rocprim17ROCPRIM_400000_NS6detail17trampoline_kernelINS0_14default_configENS1_20scan_config_selectorIyEEZZNS1_9scan_implILNS1_25lookback_scan_determinismE0ELb0ELb0ES3_N6thrust23THRUST_200600_302600_NS6detail15normal_iteratorINS9_10device_ptrIyEEEENS9_16discard_iteratorINS9_11use_defaultEEEyNS9_4plusIvEEyEEDaPvRmT3_T4_T5_mT6_P12ihipStream_tbENKUlT_T0_E_clISt17integral_constantIbLb0EESW_IbLb1EEEEDaSS_ST_EUlSS_E0_NS1_11comp_targetILNS1_3genE9ELNS1_11target_archE1100ELNS1_3gpuE3ELNS1_3repE0EEENS1_30default_config_static_selectorELNS0_4arch9wavefront6targetE1EEEvT1_
	.p2align	8
	.type	_ZN7rocprim17ROCPRIM_400000_NS6detail17trampoline_kernelINS0_14default_configENS1_20scan_config_selectorIyEEZZNS1_9scan_implILNS1_25lookback_scan_determinismE0ELb0ELb0ES3_N6thrust23THRUST_200600_302600_NS6detail15normal_iteratorINS9_10device_ptrIyEEEENS9_16discard_iteratorINS9_11use_defaultEEEyNS9_4plusIvEEyEEDaPvRmT3_T4_T5_mT6_P12ihipStream_tbENKUlT_T0_E_clISt17integral_constantIbLb0EESW_IbLb1EEEEDaSS_ST_EUlSS_E0_NS1_11comp_targetILNS1_3genE9ELNS1_11target_archE1100ELNS1_3gpuE3ELNS1_3repE0EEENS1_30default_config_static_selectorELNS0_4arch9wavefront6targetE1EEEvT1_,@function
_ZN7rocprim17ROCPRIM_400000_NS6detail17trampoline_kernelINS0_14default_configENS1_20scan_config_selectorIyEEZZNS1_9scan_implILNS1_25lookback_scan_determinismE0ELb0ELb0ES3_N6thrust23THRUST_200600_302600_NS6detail15normal_iteratorINS9_10device_ptrIyEEEENS9_16discard_iteratorINS9_11use_defaultEEEyNS9_4plusIvEEyEEDaPvRmT3_T4_T5_mT6_P12ihipStream_tbENKUlT_T0_E_clISt17integral_constantIbLb0EESW_IbLb1EEEEDaSS_ST_EUlSS_E0_NS1_11comp_targetILNS1_3genE9ELNS1_11target_archE1100ELNS1_3gpuE3ELNS1_3repE0EEENS1_30default_config_static_selectorELNS0_4arch9wavefront6targetE1EEEvT1_: ; @_ZN7rocprim17ROCPRIM_400000_NS6detail17trampoline_kernelINS0_14default_configENS1_20scan_config_selectorIyEEZZNS1_9scan_implILNS1_25lookback_scan_determinismE0ELb0ELb0ES3_N6thrust23THRUST_200600_302600_NS6detail15normal_iteratorINS9_10device_ptrIyEEEENS9_16discard_iteratorINS9_11use_defaultEEEyNS9_4plusIvEEyEEDaPvRmT3_T4_T5_mT6_P12ihipStream_tbENKUlT_T0_E_clISt17integral_constantIbLb0EESW_IbLb1EEEEDaSS_ST_EUlSS_E0_NS1_11comp_targetILNS1_3genE9ELNS1_11target_archE1100ELNS1_3gpuE3ELNS1_3repE0EEENS1_30default_config_static_selectorELNS0_4arch9wavefront6targetE1EEEvT1_
; %bb.0:
	.section	.rodata,"a",@progbits
	.p2align	6, 0x0
	.amdhsa_kernel _ZN7rocprim17ROCPRIM_400000_NS6detail17trampoline_kernelINS0_14default_configENS1_20scan_config_selectorIyEEZZNS1_9scan_implILNS1_25lookback_scan_determinismE0ELb0ELb0ES3_N6thrust23THRUST_200600_302600_NS6detail15normal_iteratorINS9_10device_ptrIyEEEENS9_16discard_iteratorINS9_11use_defaultEEEyNS9_4plusIvEEyEEDaPvRmT3_T4_T5_mT6_P12ihipStream_tbENKUlT_T0_E_clISt17integral_constantIbLb0EESW_IbLb1EEEEDaSS_ST_EUlSS_E0_NS1_11comp_targetILNS1_3genE9ELNS1_11target_archE1100ELNS1_3gpuE3ELNS1_3repE0EEENS1_30default_config_static_selectorELNS0_4arch9wavefront6targetE1EEEvT1_
		.amdhsa_group_segment_fixed_size 0
		.amdhsa_private_segment_fixed_size 0
		.amdhsa_kernarg_size 48
		.amdhsa_user_sgpr_count 6
		.amdhsa_user_sgpr_private_segment_buffer 1
		.amdhsa_user_sgpr_dispatch_ptr 0
		.amdhsa_user_sgpr_queue_ptr 0
		.amdhsa_user_sgpr_kernarg_segment_ptr 1
		.amdhsa_user_sgpr_dispatch_id 0
		.amdhsa_user_sgpr_flat_scratch_init 0
		.amdhsa_user_sgpr_kernarg_preload_length 0
		.amdhsa_user_sgpr_kernarg_preload_offset 0
		.amdhsa_user_sgpr_private_segment_size 0
		.amdhsa_uses_dynamic_stack 0
		.amdhsa_system_sgpr_private_segment_wavefront_offset 0
		.amdhsa_system_sgpr_workgroup_id_x 1
		.amdhsa_system_sgpr_workgroup_id_y 0
		.amdhsa_system_sgpr_workgroup_id_z 0
		.amdhsa_system_sgpr_workgroup_info 0
		.amdhsa_system_vgpr_workitem_id 0
		.amdhsa_next_free_vgpr 1
		.amdhsa_next_free_sgpr 0
		.amdhsa_accum_offset 4
		.amdhsa_reserve_vcc 0
		.amdhsa_reserve_flat_scratch 0
		.amdhsa_float_round_mode_32 0
		.amdhsa_float_round_mode_16_64 0
		.amdhsa_float_denorm_mode_32 3
		.amdhsa_float_denorm_mode_16_64 3
		.amdhsa_dx10_clamp 1
		.amdhsa_ieee_mode 1
		.amdhsa_fp16_overflow 0
		.amdhsa_tg_split 0
		.amdhsa_exception_fp_ieee_invalid_op 0
		.amdhsa_exception_fp_denorm_src 0
		.amdhsa_exception_fp_ieee_div_zero 0
		.amdhsa_exception_fp_ieee_overflow 0
		.amdhsa_exception_fp_ieee_underflow 0
		.amdhsa_exception_fp_ieee_inexact 0
		.amdhsa_exception_int_div_zero 0
	.end_amdhsa_kernel
	.section	.text._ZN7rocprim17ROCPRIM_400000_NS6detail17trampoline_kernelINS0_14default_configENS1_20scan_config_selectorIyEEZZNS1_9scan_implILNS1_25lookback_scan_determinismE0ELb0ELb0ES3_N6thrust23THRUST_200600_302600_NS6detail15normal_iteratorINS9_10device_ptrIyEEEENS9_16discard_iteratorINS9_11use_defaultEEEyNS9_4plusIvEEyEEDaPvRmT3_T4_T5_mT6_P12ihipStream_tbENKUlT_T0_E_clISt17integral_constantIbLb0EESW_IbLb1EEEEDaSS_ST_EUlSS_E0_NS1_11comp_targetILNS1_3genE9ELNS1_11target_archE1100ELNS1_3gpuE3ELNS1_3repE0EEENS1_30default_config_static_selectorELNS0_4arch9wavefront6targetE1EEEvT1_,"axG",@progbits,_ZN7rocprim17ROCPRIM_400000_NS6detail17trampoline_kernelINS0_14default_configENS1_20scan_config_selectorIyEEZZNS1_9scan_implILNS1_25lookback_scan_determinismE0ELb0ELb0ES3_N6thrust23THRUST_200600_302600_NS6detail15normal_iteratorINS9_10device_ptrIyEEEENS9_16discard_iteratorINS9_11use_defaultEEEyNS9_4plusIvEEyEEDaPvRmT3_T4_T5_mT6_P12ihipStream_tbENKUlT_T0_E_clISt17integral_constantIbLb0EESW_IbLb1EEEEDaSS_ST_EUlSS_E0_NS1_11comp_targetILNS1_3genE9ELNS1_11target_archE1100ELNS1_3gpuE3ELNS1_3repE0EEENS1_30default_config_static_selectorELNS0_4arch9wavefront6targetE1EEEvT1_,comdat
.Lfunc_end5220:
	.size	_ZN7rocprim17ROCPRIM_400000_NS6detail17trampoline_kernelINS0_14default_configENS1_20scan_config_selectorIyEEZZNS1_9scan_implILNS1_25lookback_scan_determinismE0ELb0ELb0ES3_N6thrust23THRUST_200600_302600_NS6detail15normal_iteratorINS9_10device_ptrIyEEEENS9_16discard_iteratorINS9_11use_defaultEEEyNS9_4plusIvEEyEEDaPvRmT3_T4_T5_mT6_P12ihipStream_tbENKUlT_T0_E_clISt17integral_constantIbLb0EESW_IbLb1EEEEDaSS_ST_EUlSS_E0_NS1_11comp_targetILNS1_3genE9ELNS1_11target_archE1100ELNS1_3gpuE3ELNS1_3repE0EEENS1_30default_config_static_selectorELNS0_4arch9wavefront6targetE1EEEvT1_, .Lfunc_end5220-_ZN7rocprim17ROCPRIM_400000_NS6detail17trampoline_kernelINS0_14default_configENS1_20scan_config_selectorIyEEZZNS1_9scan_implILNS1_25lookback_scan_determinismE0ELb0ELb0ES3_N6thrust23THRUST_200600_302600_NS6detail15normal_iteratorINS9_10device_ptrIyEEEENS9_16discard_iteratorINS9_11use_defaultEEEyNS9_4plusIvEEyEEDaPvRmT3_T4_T5_mT6_P12ihipStream_tbENKUlT_T0_E_clISt17integral_constantIbLb0EESW_IbLb1EEEEDaSS_ST_EUlSS_E0_NS1_11comp_targetILNS1_3genE9ELNS1_11target_archE1100ELNS1_3gpuE3ELNS1_3repE0EEENS1_30default_config_static_selectorELNS0_4arch9wavefront6targetE1EEEvT1_
                                        ; -- End function
	.section	.AMDGPU.csdata,"",@progbits
; Kernel info:
; codeLenInByte = 0
; NumSgprs: 4
; NumVgprs: 0
; NumAgprs: 0
; TotalNumVgprs: 0
; ScratchSize: 0
; MemoryBound: 0
; FloatMode: 240
; IeeeMode: 1
; LDSByteSize: 0 bytes/workgroup (compile time only)
; SGPRBlocks: 0
; VGPRBlocks: 0
; NumSGPRsForWavesPerEU: 4
; NumVGPRsForWavesPerEU: 1
; AccumOffset: 4
; Occupancy: 8
; WaveLimiterHint : 0
; COMPUTE_PGM_RSRC2:SCRATCH_EN: 0
; COMPUTE_PGM_RSRC2:USER_SGPR: 6
; COMPUTE_PGM_RSRC2:TRAP_HANDLER: 0
; COMPUTE_PGM_RSRC2:TGID_X_EN: 1
; COMPUTE_PGM_RSRC2:TGID_Y_EN: 0
; COMPUTE_PGM_RSRC2:TGID_Z_EN: 0
; COMPUTE_PGM_RSRC2:TIDIG_COMP_CNT: 0
; COMPUTE_PGM_RSRC3_GFX90A:ACCUM_OFFSET: 0
; COMPUTE_PGM_RSRC3_GFX90A:TG_SPLIT: 0
	.section	.text._ZN7rocprim17ROCPRIM_400000_NS6detail17trampoline_kernelINS0_14default_configENS1_20scan_config_selectorIyEEZZNS1_9scan_implILNS1_25lookback_scan_determinismE0ELb0ELb0ES3_N6thrust23THRUST_200600_302600_NS6detail15normal_iteratorINS9_10device_ptrIyEEEENS9_16discard_iteratorINS9_11use_defaultEEEyNS9_4plusIvEEyEEDaPvRmT3_T4_T5_mT6_P12ihipStream_tbENKUlT_T0_E_clISt17integral_constantIbLb0EESW_IbLb1EEEEDaSS_ST_EUlSS_E0_NS1_11comp_targetILNS1_3genE8ELNS1_11target_archE1030ELNS1_3gpuE2ELNS1_3repE0EEENS1_30default_config_static_selectorELNS0_4arch9wavefront6targetE1EEEvT1_,"axG",@progbits,_ZN7rocprim17ROCPRIM_400000_NS6detail17trampoline_kernelINS0_14default_configENS1_20scan_config_selectorIyEEZZNS1_9scan_implILNS1_25lookback_scan_determinismE0ELb0ELb0ES3_N6thrust23THRUST_200600_302600_NS6detail15normal_iteratorINS9_10device_ptrIyEEEENS9_16discard_iteratorINS9_11use_defaultEEEyNS9_4plusIvEEyEEDaPvRmT3_T4_T5_mT6_P12ihipStream_tbENKUlT_T0_E_clISt17integral_constantIbLb0EESW_IbLb1EEEEDaSS_ST_EUlSS_E0_NS1_11comp_targetILNS1_3genE8ELNS1_11target_archE1030ELNS1_3gpuE2ELNS1_3repE0EEENS1_30default_config_static_selectorELNS0_4arch9wavefront6targetE1EEEvT1_,comdat
	.protected	_ZN7rocprim17ROCPRIM_400000_NS6detail17trampoline_kernelINS0_14default_configENS1_20scan_config_selectorIyEEZZNS1_9scan_implILNS1_25lookback_scan_determinismE0ELb0ELb0ES3_N6thrust23THRUST_200600_302600_NS6detail15normal_iteratorINS9_10device_ptrIyEEEENS9_16discard_iteratorINS9_11use_defaultEEEyNS9_4plusIvEEyEEDaPvRmT3_T4_T5_mT6_P12ihipStream_tbENKUlT_T0_E_clISt17integral_constantIbLb0EESW_IbLb1EEEEDaSS_ST_EUlSS_E0_NS1_11comp_targetILNS1_3genE8ELNS1_11target_archE1030ELNS1_3gpuE2ELNS1_3repE0EEENS1_30default_config_static_selectorELNS0_4arch9wavefront6targetE1EEEvT1_ ; -- Begin function _ZN7rocprim17ROCPRIM_400000_NS6detail17trampoline_kernelINS0_14default_configENS1_20scan_config_selectorIyEEZZNS1_9scan_implILNS1_25lookback_scan_determinismE0ELb0ELb0ES3_N6thrust23THRUST_200600_302600_NS6detail15normal_iteratorINS9_10device_ptrIyEEEENS9_16discard_iteratorINS9_11use_defaultEEEyNS9_4plusIvEEyEEDaPvRmT3_T4_T5_mT6_P12ihipStream_tbENKUlT_T0_E_clISt17integral_constantIbLb0EESW_IbLb1EEEEDaSS_ST_EUlSS_E0_NS1_11comp_targetILNS1_3genE8ELNS1_11target_archE1030ELNS1_3gpuE2ELNS1_3repE0EEENS1_30default_config_static_selectorELNS0_4arch9wavefront6targetE1EEEvT1_
	.globl	_ZN7rocprim17ROCPRIM_400000_NS6detail17trampoline_kernelINS0_14default_configENS1_20scan_config_selectorIyEEZZNS1_9scan_implILNS1_25lookback_scan_determinismE0ELb0ELb0ES3_N6thrust23THRUST_200600_302600_NS6detail15normal_iteratorINS9_10device_ptrIyEEEENS9_16discard_iteratorINS9_11use_defaultEEEyNS9_4plusIvEEyEEDaPvRmT3_T4_T5_mT6_P12ihipStream_tbENKUlT_T0_E_clISt17integral_constantIbLb0EESW_IbLb1EEEEDaSS_ST_EUlSS_E0_NS1_11comp_targetILNS1_3genE8ELNS1_11target_archE1030ELNS1_3gpuE2ELNS1_3repE0EEENS1_30default_config_static_selectorELNS0_4arch9wavefront6targetE1EEEvT1_
	.p2align	8
	.type	_ZN7rocprim17ROCPRIM_400000_NS6detail17trampoline_kernelINS0_14default_configENS1_20scan_config_selectorIyEEZZNS1_9scan_implILNS1_25lookback_scan_determinismE0ELb0ELb0ES3_N6thrust23THRUST_200600_302600_NS6detail15normal_iteratorINS9_10device_ptrIyEEEENS9_16discard_iteratorINS9_11use_defaultEEEyNS9_4plusIvEEyEEDaPvRmT3_T4_T5_mT6_P12ihipStream_tbENKUlT_T0_E_clISt17integral_constantIbLb0EESW_IbLb1EEEEDaSS_ST_EUlSS_E0_NS1_11comp_targetILNS1_3genE8ELNS1_11target_archE1030ELNS1_3gpuE2ELNS1_3repE0EEENS1_30default_config_static_selectorELNS0_4arch9wavefront6targetE1EEEvT1_,@function
_ZN7rocprim17ROCPRIM_400000_NS6detail17trampoline_kernelINS0_14default_configENS1_20scan_config_selectorIyEEZZNS1_9scan_implILNS1_25lookback_scan_determinismE0ELb0ELb0ES3_N6thrust23THRUST_200600_302600_NS6detail15normal_iteratorINS9_10device_ptrIyEEEENS9_16discard_iteratorINS9_11use_defaultEEEyNS9_4plusIvEEyEEDaPvRmT3_T4_T5_mT6_P12ihipStream_tbENKUlT_T0_E_clISt17integral_constantIbLb0EESW_IbLb1EEEEDaSS_ST_EUlSS_E0_NS1_11comp_targetILNS1_3genE8ELNS1_11target_archE1030ELNS1_3gpuE2ELNS1_3repE0EEENS1_30default_config_static_selectorELNS0_4arch9wavefront6targetE1EEEvT1_: ; @_ZN7rocprim17ROCPRIM_400000_NS6detail17trampoline_kernelINS0_14default_configENS1_20scan_config_selectorIyEEZZNS1_9scan_implILNS1_25lookback_scan_determinismE0ELb0ELb0ES3_N6thrust23THRUST_200600_302600_NS6detail15normal_iteratorINS9_10device_ptrIyEEEENS9_16discard_iteratorINS9_11use_defaultEEEyNS9_4plusIvEEyEEDaPvRmT3_T4_T5_mT6_P12ihipStream_tbENKUlT_T0_E_clISt17integral_constantIbLb0EESW_IbLb1EEEEDaSS_ST_EUlSS_E0_NS1_11comp_targetILNS1_3genE8ELNS1_11target_archE1030ELNS1_3gpuE2ELNS1_3repE0EEENS1_30default_config_static_selectorELNS0_4arch9wavefront6targetE1EEEvT1_
; %bb.0:
	.section	.rodata,"a",@progbits
	.p2align	6, 0x0
	.amdhsa_kernel _ZN7rocprim17ROCPRIM_400000_NS6detail17trampoline_kernelINS0_14default_configENS1_20scan_config_selectorIyEEZZNS1_9scan_implILNS1_25lookback_scan_determinismE0ELb0ELb0ES3_N6thrust23THRUST_200600_302600_NS6detail15normal_iteratorINS9_10device_ptrIyEEEENS9_16discard_iteratorINS9_11use_defaultEEEyNS9_4plusIvEEyEEDaPvRmT3_T4_T5_mT6_P12ihipStream_tbENKUlT_T0_E_clISt17integral_constantIbLb0EESW_IbLb1EEEEDaSS_ST_EUlSS_E0_NS1_11comp_targetILNS1_3genE8ELNS1_11target_archE1030ELNS1_3gpuE2ELNS1_3repE0EEENS1_30default_config_static_selectorELNS0_4arch9wavefront6targetE1EEEvT1_
		.amdhsa_group_segment_fixed_size 0
		.amdhsa_private_segment_fixed_size 0
		.amdhsa_kernarg_size 48
		.amdhsa_user_sgpr_count 6
		.amdhsa_user_sgpr_private_segment_buffer 1
		.amdhsa_user_sgpr_dispatch_ptr 0
		.amdhsa_user_sgpr_queue_ptr 0
		.amdhsa_user_sgpr_kernarg_segment_ptr 1
		.amdhsa_user_sgpr_dispatch_id 0
		.amdhsa_user_sgpr_flat_scratch_init 0
		.amdhsa_user_sgpr_kernarg_preload_length 0
		.amdhsa_user_sgpr_kernarg_preload_offset 0
		.amdhsa_user_sgpr_private_segment_size 0
		.amdhsa_uses_dynamic_stack 0
		.amdhsa_system_sgpr_private_segment_wavefront_offset 0
		.amdhsa_system_sgpr_workgroup_id_x 1
		.amdhsa_system_sgpr_workgroup_id_y 0
		.amdhsa_system_sgpr_workgroup_id_z 0
		.amdhsa_system_sgpr_workgroup_info 0
		.amdhsa_system_vgpr_workitem_id 0
		.amdhsa_next_free_vgpr 1
		.amdhsa_next_free_sgpr 0
		.amdhsa_accum_offset 4
		.amdhsa_reserve_vcc 0
		.amdhsa_reserve_flat_scratch 0
		.amdhsa_float_round_mode_32 0
		.amdhsa_float_round_mode_16_64 0
		.amdhsa_float_denorm_mode_32 3
		.amdhsa_float_denorm_mode_16_64 3
		.amdhsa_dx10_clamp 1
		.amdhsa_ieee_mode 1
		.amdhsa_fp16_overflow 0
		.amdhsa_tg_split 0
		.amdhsa_exception_fp_ieee_invalid_op 0
		.amdhsa_exception_fp_denorm_src 0
		.amdhsa_exception_fp_ieee_div_zero 0
		.amdhsa_exception_fp_ieee_overflow 0
		.amdhsa_exception_fp_ieee_underflow 0
		.amdhsa_exception_fp_ieee_inexact 0
		.amdhsa_exception_int_div_zero 0
	.end_amdhsa_kernel
	.section	.text._ZN7rocprim17ROCPRIM_400000_NS6detail17trampoline_kernelINS0_14default_configENS1_20scan_config_selectorIyEEZZNS1_9scan_implILNS1_25lookback_scan_determinismE0ELb0ELb0ES3_N6thrust23THRUST_200600_302600_NS6detail15normal_iteratorINS9_10device_ptrIyEEEENS9_16discard_iteratorINS9_11use_defaultEEEyNS9_4plusIvEEyEEDaPvRmT3_T4_T5_mT6_P12ihipStream_tbENKUlT_T0_E_clISt17integral_constantIbLb0EESW_IbLb1EEEEDaSS_ST_EUlSS_E0_NS1_11comp_targetILNS1_3genE8ELNS1_11target_archE1030ELNS1_3gpuE2ELNS1_3repE0EEENS1_30default_config_static_selectorELNS0_4arch9wavefront6targetE1EEEvT1_,"axG",@progbits,_ZN7rocprim17ROCPRIM_400000_NS6detail17trampoline_kernelINS0_14default_configENS1_20scan_config_selectorIyEEZZNS1_9scan_implILNS1_25lookback_scan_determinismE0ELb0ELb0ES3_N6thrust23THRUST_200600_302600_NS6detail15normal_iteratorINS9_10device_ptrIyEEEENS9_16discard_iteratorINS9_11use_defaultEEEyNS9_4plusIvEEyEEDaPvRmT3_T4_T5_mT6_P12ihipStream_tbENKUlT_T0_E_clISt17integral_constantIbLb0EESW_IbLb1EEEEDaSS_ST_EUlSS_E0_NS1_11comp_targetILNS1_3genE8ELNS1_11target_archE1030ELNS1_3gpuE2ELNS1_3repE0EEENS1_30default_config_static_selectorELNS0_4arch9wavefront6targetE1EEEvT1_,comdat
.Lfunc_end5221:
	.size	_ZN7rocprim17ROCPRIM_400000_NS6detail17trampoline_kernelINS0_14default_configENS1_20scan_config_selectorIyEEZZNS1_9scan_implILNS1_25lookback_scan_determinismE0ELb0ELb0ES3_N6thrust23THRUST_200600_302600_NS6detail15normal_iteratorINS9_10device_ptrIyEEEENS9_16discard_iteratorINS9_11use_defaultEEEyNS9_4plusIvEEyEEDaPvRmT3_T4_T5_mT6_P12ihipStream_tbENKUlT_T0_E_clISt17integral_constantIbLb0EESW_IbLb1EEEEDaSS_ST_EUlSS_E0_NS1_11comp_targetILNS1_3genE8ELNS1_11target_archE1030ELNS1_3gpuE2ELNS1_3repE0EEENS1_30default_config_static_selectorELNS0_4arch9wavefront6targetE1EEEvT1_, .Lfunc_end5221-_ZN7rocprim17ROCPRIM_400000_NS6detail17trampoline_kernelINS0_14default_configENS1_20scan_config_selectorIyEEZZNS1_9scan_implILNS1_25lookback_scan_determinismE0ELb0ELb0ES3_N6thrust23THRUST_200600_302600_NS6detail15normal_iteratorINS9_10device_ptrIyEEEENS9_16discard_iteratorINS9_11use_defaultEEEyNS9_4plusIvEEyEEDaPvRmT3_T4_T5_mT6_P12ihipStream_tbENKUlT_T0_E_clISt17integral_constantIbLb0EESW_IbLb1EEEEDaSS_ST_EUlSS_E0_NS1_11comp_targetILNS1_3genE8ELNS1_11target_archE1030ELNS1_3gpuE2ELNS1_3repE0EEENS1_30default_config_static_selectorELNS0_4arch9wavefront6targetE1EEEvT1_
                                        ; -- End function
	.section	.AMDGPU.csdata,"",@progbits
; Kernel info:
; codeLenInByte = 0
; NumSgprs: 4
; NumVgprs: 0
; NumAgprs: 0
; TotalNumVgprs: 0
; ScratchSize: 0
; MemoryBound: 0
; FloatMode: 240
; IeeeMode: 1
; LDSByteSize: 0 bytes/workgroup (compile time only)
; SGPRBlocks: 0
; VGPRBlocks: 0
; NumSGPRsForWavesPerEU: 4
; NumVGPRsForWavesPerEU: 1
; AccumOffset: 4
; Occupancy: 8
; WaveLimiterHint : 0
; COMPUTE_PGM_RSRC2:SCRATCH_EN: 0
; COMPUTE_PGM_RSRC2:USER_SGPR: 6
; COMPUTE_PGM_RSRC2:TRAP_HANDLER: 0
; COMPUTE_PGM_RSRC2:TGID_X_EN: 1
; COMPUTE_PGM_RSRC2:TGID_Y_EN: 0
; COMPUTE_PGM_RSRC2:TGID_Z_EN: 0
; COMPUTE_PGM_RSRC2:TIDIG_COMP_CNT: 0
; COMPUTE_PGM_RSRC3_GFX90A:ACCUM_OFFSET: 0
; COMPUTE_PGM_RSRC3_GFX90A:TG_SPLIT: 0
	.section	.text._ZN7rocprim17ROCPRIM_400000_NS6detail17trampoline_kernelINS0_14default_configENS1_20scan_config_selectorIyEEZZNS1_9scan_implILNS1_25lookback_scan_determinismE0ELb1ELb1ES3_N6thrust23THRUST_200600_302600_NS6detail15normal_iteratorINS9_10device_ptrIyEEEENS9_16discard_iteratorINS9_11use_defaultEEEyNS9_4plusIvEEyEEDaPvRmT3_T4_T5_mT6_P12ihipStream_tbENKUlT_T0_E_clISt17integral_constantIbLb0EESX_EEDaSS_ST_EUlSS_E_NS1_11comp_targetILNS1_3genE0ELNS1_11target_archE4294967295ELNS1_3gpuE0ELNS1_3repE0EEENS1_30default_config_static_selectorELNS0_4arch9wavefront6targetE1EEEvT1_,"axG",@progbits,_ZN7rocprim17ROCPRIM_400000_NS6detail17trampoline_kernelINS0_14default_configENS1_20scan_config_selectorIyEEZZNS1_9scan_implILNS1_25lookback_scan_determinismE0ELb1ELb1ES3_N6thrust23THRUST_200600_302600_NS6detail15normal_iteratorINS9_10device_ptrIyEEEENS9_16discard_iteratorINS9_11use_defaultEEEyNS9_4plusIvEEyEEDaPvRmT3_T4_T5_mT6_P12ihipStream_tbENKUlT_T0_E_clISt17integral_constantIbLb0EESX_EEDaSS_ST_EUlSS_E_NS1_11comp_targetILNS1_3genE0ELNS1_11target_archE4294967295ELNS1_3gpuE0ELNS1_3repE0EEENS1_30default_config_static_selectorELNS0_4arch9wavefront6targetE1EEEvT1_,comdat
	.protected	_ZN7rocprim17ROCPRIM_400000_NS6detail17trampoline_kernelINS0_14default_configENS1_20scan_config_selectorIyEEZZNS1_9scan_implILNS1_25lookback_scan_determinismE0ELb1ELb1ES3_N6thrust23THRUST_200600_302600_NS6detail15normal_iteratorINS9_10device_ptrIyEEEENS9_16discard_iteratorINS9_11use_defaultEEEyNS9_4plusIvEEyEEDaPvRmT3_T4_T5_mT6_P12ihipStream_tbENKUlT_T0_E_clISt17integral_constantIbLb0EESX_EEDaSS_ST_EUlSS_E_NS1_11comp_targetILNS1_3genE0ELNS1_11target_archE4294967295ELNS1_3gpuE0ELNS1_3repE0EEENS1_30default_config_static_selectorELNS0_4arch9wavefront6targetE1EEEvT1_ ; -- Begin function _ZN7rocprim17ROCPRIM_400000_NS6detail17trampoline_kernelINS0_14default_configENS1_20scan_config_selectorIyEEZZNS1_9scan_implILNS1_25lookback_scan_determinismE0ELb1ELb1ES3_N6thrust23THRUST_200600_302600_NS6detail15normal_iteratorINS9_10device_ptrIyEEEENS9_16discard_iteratorINS9_11use_defaultEEEyNS9_4plusIvEEyEEDaPvRmT3_T4_T5_mT6_P12ihipStream_tbENKUlT_T0_E_clISt17integral_constantIbLb0EESX_EEDaSS_ST_EUlSS_E_NS1_11comp_targetILNS1_3genE0ELNS1_11target_archE4294967295ELNS1_3gpuE0ELNS1_3repE0EEENS1_30default_config_static_selectorELNS0_4arch9wavefront6targetE1EEEvT1_
	.globl	_ZN7rocprim17ROCPRIM_400000_NS6detail17trampoline_kernelINS0_14default_configENS1_20scan_config_selectorIyEEZZNS1_9scan_implILNS1_25lookback_scan_determinismE0ELb1ELb1ES3_N6thrust23THRUST_200600_302600_NS6detail15normal_iteratorINS9_10device_ptrIyEEEENS9_16discard_iteratorINS9_11use_defaultEEEyNS9_4plusIvEEyEEDaPvRmT3_T4_T5_mT6_P12ihipStream_tbENKUlT_T0_E_clISt17integral_constantIbLb0EESX_EEDaSS_ST_EUlSS_E_NS1_11comp_targetILNS1_3genE0ELNS1_11target_archE4294967295ELNS1_3gpuE0ELNS1_3repE0EEENS1_30default_config_static_selectorELNS0_4arch9wavefront6targetE1EEEvT1_
	.p2align	8
	.type	_ZN7rocprim17ROCPRIM_400000_NS6detail17trampoline_kernelINS0_14default_configENS1_20scan_config_selectorIyEEZZNS1_9scan_implILNS1_25lookback_scan_determinismE0ELb1ELb1ES3_N6thrust23THRUST_200600_302600_NS6detail15normal_iteratorINS9_10device_ptrIyEEEENS9_16discard_iteratorINS9_11use_defaultEEEyNS9_4plusIvEEyEEDaPvRmT3_T4_T5_mT6_P12ihipStream_tbENKUlT_T0_E_clISt17integral_constantIbLb0EESX_EEDaSS_ST_EUlSS_E_NS1_11comp_targetILNS1_3genE0ELNS1_11target_archE4294967295ELNS1_3gpuE0ELNS1_3repE0EEENS1_30default_config_static_selectorELNS0_4arch9wavefront6targetE1EEEvT1_,@function
_ZN7rocprim17ROCPRIM_400000_NS6detail17trampoline_kernelINS0_14default_configENS1_20scan_config_selectorIyEEZZNS1_9scan_implILNS1_25lookback_scan_determinismE0ELb1ELb1ES3_N6thrust23THRUST_200600_302600_NS6detail15normal_iteratorINS9_10device_ptrIyEEEENS9_16discard_iteratorINS9_11use_defaultEEEyNS9_4plusIvEEyEEDaPvRmT3_T4_T5_mT6_P12ihipStream_tbENKUlT_T0_E_clISt17integral_constantIbLb0EESX_EEDaSS_ST_EUlSS_E_NS1_11comp_targetILNS1_3genE0ELNS1_11target_archE4294967295ELNS1_3gpuE0ELNS1_3repE0EEENS1_30default_config_static_selectorELNS0_4arch9wavefront6targetE1EEEvT1_: ; @_ZN7rocprim17ROCPRIM_400000_NS6detail17trampoline_kernelINS0_14default_configENS1_20scan_config_selectorIyEEZZNS1_9scan_implILNS1_25lookback_scan_determinismE0ELb1ELb1ES3_N6thrust23THRUST_200600_302600_NS6detail15normal_iteratorINS9_10device_ptrIyEEEENS9_16discard_iteratorINS9_11use_defaultEEEyNS9_4plusIvEEyEEDaPvRmT3_T4_T5_mT6_P12ihipStream_tbENKUlT_T0_E_clISt17integral_constantIbLb0EESX_EEDaSS_ST_EUlSS_E_NS1_11comp_targetILNS1_3genE0ELNS1_11target_archE4294967295ELNS1_3gpuE0ELNS1_3repE0EEENS1_30default_config_static_selectorELNS0_4arch9wavefront6targetE1EEEvT1_
; %bb.0:
	.section	.rodata,"a",@progbits
	.p2align	6, 0x0
	.amdhsa_kernel _ZN7rocprim17ROCPRIM_400000_NS6detail17trampoline_kernelINS0_14default_configENS1_20scan_config_selectorIyEEZZNS1_9scan_implILNS1_25lookback_scan_determinismE0ELb1ELb1ES3_N6thrust23THRUST_200600_302600_NS6detail15normal_iteratorINS9_10device_ptrIyEEEENS9_16discard_iteratorINS9_11use_defaultEEEyNS9_4plusIvEEyEEDaPvRmT3_T4_T5_mT6_P12ihipStream_tbENKUlT_T0_E_clISt17integral_constantIbLb0EESX_EEDaSS_ST_EUlSS_E_NS1_11comp_targetILNS1_3genE0ELNS1_11target_archE4294967295ELNS1_3gpuE0ELNS1_3repE0EEENS1_30default_config_static_selectorELNS0_4arch9wavefront6targetE1EEEvT1_
		.amdhsa_group_segment_fixed_size 0
		.amdhsa_private_segment_fixed_size 0
		.amdhsa_kernarg_size 112
		.amdhsa_user_sgpr_count 6
		.amdhsa_user_sgpr_private_segment_buffer 1
		.amdhsa_user_sgpr_dispatch_ptr 0
		.amdhsa_user_sgpr_queue_ptr 0
		.amdhsa_user_sgpr_kernarg_segment_ptr 1
		.amdhsa_user_sgpr_dispatch_id 0
		.amdhsa_user_sgpr_flat_scratch_init 0
		.amdhsa_user_sgpr_kernarg_preload_length 0
		.amdhsa_user_sgpr_kernarg_preload_offset 0
		.amdhsa_user_sgpr_private_segment_size 0
		.amdhsa_uses_dynamic_stack 0
		.amdhsa_system_sgpr_private_segment_wavefront_offset 0
		.amdhsa_system_sgpr_workgroup_id_x 1
		.amdhsa_system_sgpr_workgroup_id_y 0
		.amdhsa_system_sgpr_workgroup_id_z 0
		.amdhsa_system_sgpr_workgroup_info 0
		.amdhsa_system_vgpr_workitem_id 0
		.amdhsa_next_free_vgpr 1
		.amdhsa_next_free_sgpr 0
		.amdhsa_accum_offset 4
		.amdhsa_reserve_vcc 0
		.amdhsa_reserve_flat_scratch 0
		.amdhsa_float_round_mode_32 0
		.amdhsa_float_round_mode_16_64 0
		.amdhsa_float_denorm_mode_32 3
		.amdhsa_float_denorm_mode_16_64 3
		.amdhsa_dx10_clamp 1
		.amdhsa_ieee_mode 1
		.amdhsa_fp16_overflow 0
		.amdhsa_tg_split 0
		.amdhsa_exception_fp_ieee_invalid_op 0
		.amdhsa_exception_fp_denorm_src 0
		.amdhsa_exception_fp_ieee_div_zero 0
		.amdhsa_exception_fp_ieee_overflow 0
		.amdhsa_exception_fp_ieee_underflow 0
		.amdhsa_exception_fp_ieee_inexact 0
		.amdhsa_exception_int_div_zero 0
	.end_amdhsa_kernel
	.section	.text._ZN7rocprim17ROCPRIM_400000_NS6detail17trampoline_kernelINS0_14default_configENS1_20scan_config_selectorIyEEZZNS1_9scan_implILNS1_25lookback_scan_determinismE0ELb1ELb1ES3_N6thrust23THRUST_200600_302600_NS6detail15normal_iteratorINS9_10device_ptrIyEEEENS9_16discard_iteratorINS9_11use_defaultEEEyNS9_4plusIvEEyEEDaPvRmT3_T4_T5_mT6_P12ihipStream_tbENKUlT_T0_E_clISt17integral_constantIbLb0EESX_EEDaSS_ST_EUlSS_E_NS1_11comp_targetILNS1_3genE0ELNS1_11target_archE4294967295ELNS1_3gpuE0ELNS1_3repE0EEENS1_30default_config_static_selectorELNS0_4arch9wavefront6targetE1EEEvT1_,"axG",@progbits,_ZN7rocprim17ROCPRIM_400000_NS6detail17trampoline_kernelINS0_14default_configENS1_20scan_config_selectorIyEEZZNS1_9scan_implILNS1_25lookback_scan_determinismE0ELb1ELb1ES3_N6thrust23THRUST_200600_302600_NS6detail15normal_iteratorINS9_10device_ptrIyEEEENS9_16discard_iteratorINS9_11use_defaultEEEyNS9_4plusIvEEyEEDaPvRmT3_T4_T5_mT6_P12ihipStream_tbENKUlT_T0_E_clISt17integral_constantIbLb0EESX_EEDaSS_ST_EUlSS_E_NS1_11comp_targetILNS1_3genE0ELNS1_11target_archE4294967295ELNS1_3gpuE0ELNS1_3repE0EEENS1_30default_config_static_selectorELNS0_4arch9wavefront6targetE1EEEvT1_,comdat
.Lfunc_end5222:
	.size	_ZN7rocprim17ROCPRIM_400000_NS6detail17trampoline_kernelINS0_14default_configENS1_20scan_config_selectorIyEEZZNS1_9scan_implILNS1_25lookback_scan_determinismE0ELb1ELb1ES3_N6thrust23THRUST_200600_302600_NS6detail15normal_iteratorINS9_10device_ptrIyEEEENS9_16discard_iteratorINS9_11use_defaultEEEyNS9_4plusIvEEyEEDaPvRmT3_T4_T5_mT6_P12ihipStream_tbENKUlT_T0_E_clISt17integral_constantIbLb0EESX_EEDaSS_ST_EUlSS_E_NS1_11comp_targetILNS1_3genE0ELNS1_11target_archE4294967295ELNS1_3gpuE0ELNS1_3repE0EEENS1_30default_config_static_selectorELNS0_4arch9wavefront6targetE1EEEvT1_, .Lfunc_end5222-_ZN7rocprim17ROCPRIM_400000_NS6detail17trampoline_kernelINS0_14default_configENS1_20scan_config_selectorIyEEZZNS1_9scan_implILNS1_25lookback_scan_determinismE0ELb1ELb1ES3_N6thrust23THRUST_200600_302600_NS6detail15normal_iteratorINS9_10device_ptrIyEEEENS9_16discard_iteratorINS9_11use_defaultEEEyNS9_4plusIvEEyEEDaPvRmT3_T4_T5_mT6_P12ihipStream_tbENKUlT_T0_E_clISt17integral_constantIbLb0EESX_EEDaSS_ST_EUlSS_E_NS1_11comp_targetILNS1_3genE0ELNS1_11target_archE4294967295ELNS1_3gpuE0ELNS1_3repE0EEENS1_30default_config_static_selectorELNS0_4arch9wavefront6targetE1EEEvT1_
                                        ; -- End function
	.section	.AMDGPU.csdata,"",@progbits
; Kernel info:
; codeLenInByte = 0
; NumSgprs: 4
; NumVgprs: 0
; NumAgprs: 0
; TotalNumVgprs: 0
; ScratchSize: 0
; MemoryBound: 0
; FloatMode: 240
; IeeeMode: 1
; LDSByteSize: 0 bytes/workgroup (compile time only)
; SGPRBlocks: 0
; VGPRBlocks: 0
; NumSGPRsForWavesPerEU: 4
; NumVGPRsForWavesPerEU: 1
; AccumOffset: 4
; Occupancy: 8
; WaveLimiterHint : 0
; COMPUTE_PGM_RSRC2:SCRATCH_EN: 0
; COMPUTE_PGM_RSRC2:USER_SGPR: 6
; COMPUTE_PGM_RSRC2:TRAP_HANDLER: 0
; COMPUTE_PGM_RSRC2:TGID_X_EN: 1
; COMPUTE_PGM_RSRC2:TGID_Y_EN: 0
; COMPUTE_PGM_RSRC2:TGID_Z_EN: 0
; COMPUTE_PGM_RSRC2:TIDIG_COMP_CNT: 0
; COMPUTE_PGM_RSRC3_GFX90A:ACCUM_OFFSET: 0
; COMPUTE_PGM_RSRC3_GFX90A:TG_SPLIT: 0
	.section	.text._ZN7rocprim17ROCPRIM_400000_NS6detail17trampoline_kernelINS0_14default_configENS1_20scan_config_selectorIyEEZZNS1_9scan_implILNS1_25lookback_scan_determinismE0ELb1ELb1ES3_N6thrust23THRUST_200600_302600_NS6detail15normal_iteratorINS9_10device_ptrIyEEEENS9_16discard_iteratorINS9_11use_defaultEEEyNS9_4plusIvEEyEEDaPvRmT3_T4_T5_mT6_P12ihipStream_tbENKUlT_T0_E_clISt17integral_constantIbLb0EESX_EEDaSS_ST_EUlSS_E_NS1_11comp_targetILNS1_3genE5ELNS1_11target_archE942ELNS1_3gpuE9ELNS1_3repE0EEENS1_30default_config_static_selectorELNS0_4arch9wavefront6targetE1EEEvT1_,"axG",@progbits,_ZN7rocprim17ROCPRIM_400000_NS6detail17trampoline_kernelINS0_14default_configENS1_20scan_config_selectorIyEEZZNS1_9scan_implILNS1_25lookback_scan_determinismE0ELb1ELb1ES3_N6thrust23THRUST_200600_302600_NS6detail15normal_iteratorINS9_10device_ptrIyEEEENS9_16discard_iteratorINS9_11use_defaultEEEyNS9_4plusIvEEyEEDaPvRmT3_T4_T5_mT6_P12ihipStream_tbENKUlT_T0_E_clISt17integral_constantIbLb0EESX_EEDaSS_ST_EUlSS_E_NS1_11comp_targetILNS1_3genE5ELNS1_11target_archE942ELNS1_3gpuE9ELNS1_3repE0EEENS1_30default_config_static_selectorELNS0_4arch9wavefront6targetE1EEEvT1_,comdat
	.protected	_ZN7rocprim17ROCPRIM_400000_NS6detail17trampoline_kernelINS0_14default_configENS1_20scan_config_selectorIyEEZZNS1_9scan_implILNS1_25lookback_scan_determinismE0ELb1ELb1ES3_N6thrust23THRUST_200600_302600_NS6detail15normal_iteratorINS9_10device_ptrIyEEEENS9_16discard_iteratorINS9_11use_defaultEEEyNS9_4plusIvEEyEEDaPvRmT3_T4_T5_mT6_P12ihipStream_tbENKUlT_T0_E_clISt17integral_constantIbLb0EESX_EEDaSS_ST_EUlSS_E_NS1_11comp_targetILNS1_3genE5ELNS1_11target_archE942ELNS1_3gpuE9ELNS1_3repE0EEENS1_30default_config_static_selectorELNS0_4arch9wavefront6targetE1EEEvT1_ ; -- Begin function _ZN7rocprim17ROCPRIM_400000_NS6detail17trampoline_kernelINS0_14default_configENS1_20scan_config_selectorIyEEZZNS1_9scan_implILNS1_25lookback_scan_determinismE0ELb1ELb1ES3_N6thrust23THRUST_200600_302600_NS6detail15normal_iteratorINS9_10device_ptrIyEEEENS9_16discard_iteratorINS9_11use_defaultEEEyNS9_4plusIvEEyEEDaPvRmT3_T4_T5_mT6_P12ihipStream_tbENKUlT_T0_E_clISt17integral_constantIbLb0EESX_EEDaSS_ST_EUlSS_E_NS1_11comp_targetILNS1_3genE5ELNS1_11target_archE942ELNS1_3gpuE9ELNS1_3repE0EEENS1_30default_config_static_selectorELNS0_4arch9wavefront6targetE1EEEvT1_
	.globl	_ZN7rocprim17ROCPRIM_400000_NS6detail17trampoline_kernelINS0_14default_configENS1_20scan_config_selectorIyEEZZNS1_9scan_implILNS1_25lookback_scan_determinismE0ELb1ELb1ES3_N6thrust23THRUST_200600_302600_NS6detail15normal_iteratorINS9_10device_ptrIyEEEENS9_16discard_iteratorINS9_11use_defaultEEEyNS9_4plusIvEEyEEDaPvRmT3_T4_T5_mT6_P12ihipStream_tbENKUlT_T0_E_clISt17integral_constantIbLb0EESX_EEDaSS_ST_EUlSS_E_NS1_11comp_targetILNS1_3genE5ELNS1_11target_archE942ELNS1_3gpuE9ELNS1_3repE0EEENS1_30default_config_static_selectorELNS0_4arch9wavefront6targetE1EEEvT1_
	.p2align	8
	.type	_ZN7rocprim17ROCPRIM_400000_NS6detail17trampoline_kernelINS0_14default_configENS1_20scan_config_selectorIyEEZZNS1_9scan_implILNS1_25lookback_scan_determinismE0ELb1ELb1ES3_N6thrust23THRUST_200600_302600_NS6detail15normal_iteratorINS9_10device_ptrIyEEEENS9_16discard_iteratorINS9_11use_defaultEEEyNS9_4plusIvEEyEEDaPvRmT3_T4_T5_mT6_P12ihipStream_tbENKUlT_T0_E_clISt17integral_constantIbLb0EESX_EEDaSS_ST_EUlSS_E_NS1_11comp_targetILNS1_3genE5ELNS1_11target_archE942ELNS1_3gpuE9ELNS1_3repE0EEENS1_30default_config_static_selectorELNS0_4arch9wavefront6targetE1EEEvT1_,@function
_ZN7rocprim17ROCPRIM_400000_NS6detail17trampoline_kernelINS0_14default_configENS1_20scan_config_selectorIyEEZZNS1_9scan_implILNS1_25lookback_scan_determinismE0ELb1ELb1ES3_N6thrust23THRUST_200600_302600_NS6detail15normal_iteratorINS9_10device_ptrIyEEEENS9_16discard_iteratorINS9_11use_defaultEEEyNS9_4plusIvEEyEEDaPvRmT3_T4_T5_mT6_P12ihipStream_tbENKUlT_T0_E_clISt17integral_constantIbLb0EESX_EEDaSS_ST_EUlSS_E_NS1_11comp_targetILNS1_3genE5ELNS1_11target_archE942ELNS1_3gpuE9ELNS1_3repE0EEENS1_30default_config_static_selectorELNS0_4arch9wavefront6targetE1EEEvT1_: ; @_ZN7rocprim17ROCPRIM_400000_NS6detail17trampoline_kernelINS0_14default_configENS1_20scan_config_selectorIyEEZZNS1_9scan_implILNS1_25lookback_scan_determinismE0ELb1ELb1ES3_N6thrust23THRUST_200600_302600_NS6detail15normal_iteratorINS9_10device_ptrIyEEEENS9_16discard_iteratorINS9_11use_defaultEEEyNS9_4plusIvEEyEEDaPvRmT3_T4_T5_mT6_P12ihipStream_tbENKUlT_T0_E_clISt17integral_constantIbLb0EESX_EEDaSS_ST_EUlSS_E_NS1_11comp_targetILNS1_3genE5ELNS1_11target_archE942ELNS1_3gpuE9ELNS1_3repE0EEENS1_30default_config_static_selectorELNS0_4arch9wavefront6targetE1EEEvT1_
; %bb.0:
	.section	.rodata,"a",@progbits
	.p2align	6, 0x0
	.amdhsa_kernel _ZN7rocprim17ROCPRIM_400000_NS6detail17trampoline_kernelINS0_14default_configENS1_20scan_config_selectorIyEEZZNS1_9scan_implILNS1_25lookback_scan_determinismE0ELb1ELb1ES3_N6thrust23THRUST_200600_302600_NS6detail15normal_iteratorINS9_10device_ptrIyEEEENS9_16discard_iteratorINS9_11use_defaultEEEyNS9_4plusIvEEyEEDaPvRmT3_T4_T5_mT6_P12ihipStream_tbENKUlT_T0_E_clISt17integral_constantIbLb0EESX_EEDaSS_ST_EUlSS_E_NS1_11comp_targetILNS1_3genE5ELNS1_11target_archE942ELNS1_3gpuE9ELNS1_3repE0EEENS1_30default_config_static_selectorELNS0_4arch9wavefront6targetE1EEEvT1_
		.amdhsa_group_segment_fixed_size 0
		.amdhsa_private_segment_fixed_size 0
		.amdhsa_kernarg_size 112
		.amdhsa_user_sgpr_count 6
		.amdhsa_user_sgpr_private_segment_buffer 1
		.amdhsa_user_sgpr_dispatch_ptr 0
		.amdhsa_user_sgpr_queue_ptr 0
		.amdhsa_user_sgpr_kernarg_segment_ptr 1
		.amdhsa_user_sgpr_dispatch_id 0
		.amdhsa_user_sgpr_flat_scratch_init 0
		.amdhsa_user_sgpr_kernarg_preload_length 0
		.amdhsa_user_sgpr_kernarg_preload_offset 0
		.amdhsa_user_sgpr_private_segment_size 0
		.amdhsa_uses_dynamic_stack 0
		.amdhsa_system_sgpr_private_segment_wavefront_offset 0
		.amdhsa_system_sgpr_workgroup_id_x 1
		.amdhsa_system_sgpr_workgroup_id_y 0
		.amdhsa_system_sgpr_workgroup_id_z 0
		.amdhsa_system_sgpr_workgroup_info 0
		.amdhsa_system_vgpr_workitem_id 0
		.amdhsa_next_free_vgpr 1
		.amdhsa_next_free_sgpr 0
		.amdhsa_accum_offset 4
		.amdhsa_reserve_vcc 0
		.amdhsa_reserve_flat_scratch 0
		.amdhsa_float_round_mode_32 0
		.amdhsa_float_round_mode_16_64 0
		.amdhsa_float_denorm_mode_32 3
		.amdhsa_float_denorm_mode_16_64 3
		.amdhsa_dx10_clamp 1
		.amdhsa_ieee_mode 1
		.amdhsa_fp16_overflow 0
		.amdhsa_tg_split 0
		.amdhsa_exception_fp_ieee_invalid_op 0
		.amdhsa_exception_fp_denorm_src 0
		.amdhsa_exception_fp_ieee_div_zero 0
		.amdhsa_exception_fp_ieee_overflow 0
		.amdhsa_exception_fp_ieee_underflow 0
		.amdhsa_exception_fp_ieee_inexact 0
		.amdhsa_exception_int_div_zero 0
	.end_amdhsa_kernel
	.section	.text._ZN7rocprim17ROCPRIM_400000_NS6detail17trampoline_kernelINS0_14default_configENS1_20scan_config_selectorIyEEZZNS1_9scan_implILNS1_25lookback_scan_determinismE0ELb1ELb1ES3_N6thrust23THRUST_200600_302600_NS6detail15normal_iteratorINS9_10device_ptrIyEEEENS9_16discard_iteratorINS9_11use_defaultEEEyNS9_4plusIvEEyEEDaPvRmT3_T4_T5_mT6_P12ihipStream_tbENKUlT_T0_E_clISt17integral_constantIbLb0EESX_EEDaSS_ST_EUlSS_E_NS1_11comp_targetILNS1_3genE5ELNS1_11target_archE942ELNS1_3gpuE9ELNS1_3repE0EEENS1_30default_config_static_selectorELNS0_4arch9wavefront6targetE1EEEvT1_,"axG",@progbits,_ZN7rocprim17ROCPRIM_400000_NS6detail17trampoline_kernelINS0_14default_configENS1_20scan_config_selectorIyEEZZNS1_9scan_implILNS1_25lookback_scan_determinismE0ELb1ELb1ES3_N6thrust23THRUST_200600_302600_NS6detail15normal_iteratorINS9_10device_ptrIyEEEENS9_16discard_iteratorINS9_11use_defaultEEEyNS9_4plusIvEEyEEDaPvRmT3_T4_T5_mT6_P12ihipStream_tbENKUlT_T0_E_clISt17integral_constantIbLb0EESX_EEDaSS_ST_EUlSS_E_NS1_11comp_targetILNS1_3genE5ELNS1_11target_archE942ELNS1_3gpuE9ELNS1_3repE0EEENS1_30default_config_static_selectorELNS0_4arch9wavefront6targetE1EEEvT1_,comdat
.Lfunc_end5223:
	.size	_ZN7rocprim17ROCPRIM_400000_NS6detail17trampoline_kernelINS0_14default_configENS1_20scan_config_selectorIyEEZZNS1_9scan_implILNS1_25lookback_scan_determinismE0ELb1ELb1ES3_N6thrust23THRUST_200600_302600_NS6detail15normal_iteratorINS9_10device_ptrIyEEEENS9_16discard_iteratorINS9_11use_defaultEEEyNS9_4plusIvEEyEEDaPvRmT3_T4_T5_mT6_P12ihipStream_tbENKUlT_T0_E_clISt17integral_constantIbLb0EESX_EEDaSS_ST_EUlSS_E_NS1_11comp_targetILNS1_3genE5ELNS1_11target_archE942ELNS1_3gpuE9ELNS1_3repE0EEENS1_30default_config_static_selectorELNS0_4arch9wavefront6targetE1EEEvT1_, .Lfunc_end5223-_ZN7rocprim17ROCPRIM_400000_NS6detail17trampoline_kernelINS0_14default_configENS1_20scan_config_selectorIyEEZZNS1_9scan_implILNS1_25lookback_scan_determinismE0ELb1ELb1ES3_N6thrust23THRUST_200600_302600_NS6detail15normal_iteratorINS9_10device_ptrIyEEEENS9_16discard_iteratorINS9_11use_defaultEEEyNS9_4plusIvEEyEEDaPvRmT3_T4_T5_mT6_P12ihipStream_tbENKUlT_T0_E_clISt17integral_constantIbLb0EESX_EEDaSS_ST_EUlSS_E_NS1_11comp_targetILNS1_3genE5ELNS1_11target_archE942ELNS1_3gpuE9ELNS1_3repE0EEENS1_30default_config_static_selectorELNS0_4arch9wavefront6targetE1EEEvT1_
                                        ; -- End function
	.section	.AMDGPU.csdata,"",@progbits
; Kernel info:
; codeLenInByte = 0
; NumSgprs: 4
; NumVgprs: 0
; NumAgprs: 0
; TotalNumVgprs: 0
; ScratchSize: 0
; MemoryBound: 0
; FloatMode: 240
; IeeeMode: 1
; LDSByteSize: 0 bytes/workgroup (compile time only)
; SGPRBlocks: 0
; VGPRBlocks: 0
; NumSGPRsForWavesPerEU: 4
; NumVGPRsForWavesPerEU: 1
; AccumOffset: 4
; Occupancy: 8
; WaveLimiterHint : 0
; COMPUTE_PGM_RSRC2:SCRATCH_EN: 0
; COMPUTE_PGM_RSRC2:USER_SGPR: 6
; COMPUTE_PGM_RSRC2:TRAP_HANDLER: 0
; COMPUTE_PGM_RSRC2:TGID_X_EN: 1
; COMPUTE_PGM_RSRC2:TGID_Y_EN: 0
; COMPUTE_PGM_RSRC2:TGID_Z_EN: 0
; COMPUTE_PGM_RSRC2:TIDIG_COMP_CNT: 0
; COMPUTE_PGM_RSRC3_GFX90A:ACCUM_OFFSET: 0
; COMPUTE_PGM_RSRC3_GFX90A:TG_SPLIT: 0
	.section	.text._ZN7rocprim17ROCPRIM_400000_NS6detail17trampoline_kernelINS0_14default_configENS1_20scan_config_selectorIyEEZZNS1_9scan_implILNS1_25lookback_scan_determinismE0ELb1ELb1ES3_N6thrust23THRUST_200600_302600_NS6detail15normal_iteratorINS9_10device_ptrIyEEEENS9_16discard_iteratorINS9_11use_defaultEEEyNS9_4plusIvEEyEEDaPvRmT3_T4_T5_mT6_P12ihipStream_tbENKUlT_T0_E_clISt17integral_constantIbLb0EESX_EEDaSS_ST_EUlSS_E_NS1_11comp_targetILNS1_3genE4ELNS1_11target_archE910ELNS1_3gpuE8ELNS1_3repE0EEENS1_30default_config_static_selectorELNS0_4arch9wavefront6targetE1EEEvT1_,"axG",@progbits,_ZN7rocprim17ROCPRIM_400000_NS6detail17trampoline_kernelINS0_14default_configENS1_20scan_config_selectorIyEEZZNS1_9scan_implILNS1_25lookback_scan_determinismE0ELb1ELb1ES3_N6thrust23THRUST_200600_302600_NS6detail15normal_iteratorINS9_10device_ptrIyEEEENS9_16discard_iteratorINS9_11use_defaultEEEyNS9_4plusIvEEyEEDaPvRmT3_T4_T5_mT6_P12ihipStream_tbENKUlT_T0_E_clISt17integral_constantIbLb0EESX_EEDaSS_ST_EUlSS_E_NS1_11comp_targetILNS1_3genE4ELNS1_11target_archE910ELNS1_3gpuE8ELNS1_3repE0EEENS1_30default_config_static_selectorELNS0_4arch9wavefront6targetE1EEEvT1_,comdat
	.protected	_ZN7rocprim17ROCPRIM_400000_NS6detail17trampoline_kernelINS0_14default_configENS1_20scan_config_selectorIyEEZZNS1_9scan_implILNS1_25lookback_scan_determinismE0ELb1ELb1ES3_N6thrust23THRUST_200600_302600_NS6detail15normal_iteratorINS9_10device_ptrIyEEEENS9_16discard_iteratorINS9_11use_defaultEEEyNS9_4plusIvEEyEEDaPvRmT3_T4_T5_mT6_P12ihipStream_tbENKUlT_T0_E_clISt17integral_constantIbLb0EESX_EEDaSS_ST_EUlSS_E_NS1_11comp_targetILNS1_3genE4ELNS1_11target_archE910ELNS1_3gpuE8ELNS1_3repE0EEENS1_30default_config_static_selectorELNS0_4arch9wavefront6targetE1EEEvT1_ ; -- Begin function _ZN7rocprim17ROCPRIM_400000_NS6detail17trampoline_kernelINS0_14default_configENS1_20scan_config_selectorIyEEZZNS1_9scan_implILNS1_25lookback_scan_determinismE0ELb1ELb1ES3_N6thrust23THRUST_200600_302600_NS6detail15normal_iteratorINS9_10device_ptrIyEEEENS9_16discard_iteratorINS9_11use_defaultEEEyNS9_4plusIvEEyEEDaPvRmT3_T4_T5_mT6_P12ihipStream_tbENKUlT_T0_E_clISt17integral_constantIbLb0EESX_EEDaSS_ST_EUlSS_E_NS1_11comp_targetILNS1_3genE4ELNS1_11target_archE910ELNS1_3gpuE8ELNS1_3repE0EEENS1_30default_config_static_selectorELNS0_4arch9wavefront6targetE1EEEvT1_
	.globl	_ZN7rocprim17ROCPRIM_400000_NS6detail17trampoline_kernelINS0_14default_configENS1_20scan_config_selectorIyEEZZNS1_9scan_implILNS1_25lookback_scan_determinismE0ELb1ELb1ES3_N6thrust23THRUST_200600_302600_NS6detail15normal_iteratorINS9_10device_ptrIyEEEENS9_16discard_iteratorINS9_11use_defaultEEEyNS9_4plusIvEEyEEDaPvRmT3_T4_T5_mT6_P12ihipStream_tbENKUlT_T0_E_clISt17integral_constantIbLb0EESX_EEDaSS_ST_EUlSS_E_NS1_11comp_targetILNS1_3genE4ELNS1_11target_archE910ELNS1_3gpuE8ELNS1_3repE0EEENS1_30default_config_static_selectorELNS0_4arch9wavefront6targetE1EEEvT1_
	.p2align	8
	.type	_ZN7rocprim17ROCPRIM_400000_NS6detail17trampoline_kernelINS0_14default_configENS1_20scan_config_selectorIyEEZZNS1_9scan_implILNS1_25lookback_scan_determinismE0ELb1ELb1ES3_N6thrust23THRUST_200600_302600_NS6detail15normal_iteratorINS9_10device_ptrIyEEEENS9_16discard_iteratorINS9_11use_defaultEEEyNS9_4plusIvEEyEEDaPvRmT3_T4_T5_mT6_P12ihipStream_tbENKUlT_T0_E_clISt17integral_constantIbLb0EESX_EEDaSS_ST_EUlSS_E_NS1_11comp_targetILNS1_3genE4ELNS1_11target_archE910ELNS1_3gpuE8ELNS1_3repE0EEENS1_30default_config_static_selectorELNS0_4arch9wavefront6targetE1EEEvT1_,@function
_ZN7rocprim17ROCPRIM_400000_NS6detail17trampoline_kernelINS0_14default_configENS1_20scan_config_selectorIyEEZZNS1_9scan_implILNS1_25lookback_scan_determinismE0ELb1ELb1ES3_N6thrust23THRUST_200600_302600_NS6detail15normal_iteratorINS9_10device_ptrIyEEEENS9_16discard_iteratorINS9_11use_defaultEEEyNS9_4plusIvEEyEEDaPvRmT3_T4_T5_mT6_P12ihipStream_tbENKUlT_T0_E_clISt17integral_constantIbLb0EESX_EEDaSS_ST_EUlSS_E_NS1_11comp_targetILNS1_3genE4ELNS1_11target_archE910ELNS1_3gpuE8ELNS1_3repE0EEENS1_30default_config_static_selectorELNS0_4arch9wavefront6targetE1EEEvT1_: ; @_ZN7rocprim17ROCPRIM_400000_NS6detail17trampoline_kernelINS0_14default_configENS1_20scan_config_selectorIyEEZZNS1_9scan_implILNS1_25lookback_scan_determinismE0ELb1ELb1ES3_N6thrust23THRUST_200600_302600_NS6detail15normal_iteratorINS9_10device_ptrIyEEEENS9_16discard_iteratorINS9_11use_defaultEEEyNS9_4plusIvEEyEEDaPvRmT3_T4_T5_mT6_P12ihipStream_tbENKUlT_T0_E_clISt17integral_constantIbLb0EESX_EEDaSS_ST_EUlSS_E_NS1_11comp_targetILNS1_3genE4ELNS1_11target_archE910ELNS1_3gpuE8ELNS1_3repE0EEENS1_30default_config_static_selectorELNS0_4arch9wavefront6targetE1EEEvT1_
; %bb.0:
	s_load_dwordx4 s[0:3], s[4:5], 0x0
	s_load_dwordx4 s[12:15], s[4:5], 0x20
	s_load_dword s7, s[4:5], 0x40
	v_lshlrev_b32_e32 v1, 3, v0
	s_waitcnt lgkmcnt(0)
	s_lshl_b64 s[2:3], s[2:3], 3
	s_add_u32 s22, s0, s2
	s_addc_u32 s23, s1, s3
	s_add_i32 s2, s7, -1
	s_mul_i32 s3, s2, 0x380
	s_sub_u32 s20, s12, s3
	s_subb_u32 s21, s13, 0
	s_mul_i32 s0, s6, 0x380
	s_mov_b32 s1, 0
	s_cmp_lg_u32 s6, s2
	s_cselect_b64 s[12:13], -1, 0
	s_lshl_b64 s[0:1], s[0:1], 3
	s_add_u32 s0, s22, s0
	s_addc_u32 s1, s23, s1
	s_mov_b64 s[2:3], -1
	s_and_b64 vcc, exec, s[12:13]
	s_cbranch_vccz .LBB5224_2
; %bb.1:
	v_mov_b32_e32 v3, s1
	v_add_co_u32_e32 v2, vcc, s0, v1
	v_addc_co_u32_e32 v3, vcc, 0, v3, vcc
	flat_load_dwordx2 v[4:5], v[2:3]
	flat_load_dwordx2 v[6:7], v[2:3] offset:1024
	flat_load_dwordx2 v[8:9], v[2:3] offset:2048
	;; [unrolled: 1-line block ×3, first 2 shown]
	v_add_co_u32_e32 v2, vcc, 0x1000, v2
	v_addc_co_u32_e32 v3, vcc, 0, v3, vcc
	flat_load_dwordx2 v[12:13], v[2:3]
	flat_load_dwordx2 v[14:15], v[2:3] offset:1024
	flat_load_dwordx2 v[16:17], v[2:3] offset:2048
	s_mov_b64 s[2:3], 0
	s_waitcnt vmcnt(0) lgkmcnt(0)
	ds_write2st64_b64 v1, v[4:5], v[6:7] offset1:2
	ds_write2st64_b64 v1, v[8:9], v[10:11] offset0:4 offset1:6
	ds_write2st64_b64 v1, v[12:13], v[14:15] offset0:8 offset1:10
	ds_write_b64 v1, v[16:17] offset:6144
	s_waitcnt lgkmcnt(0)
	s_barrier
.LBB5224_2:
	s_load_dwordx2 s[16:17], s[4:5], 0x38
	s_andn2_b64 vcc, exec, s[2:3]
	s_cbranch_vccnz .LBB5224_18
; %bb.3:
	v_pk_mov_b32 v[2:3], s[0:1], s[0:1] op_sel:[0,1]
	flat_load_dwordx2 v[2:3], v[2:3]
	v_cmp_gt_u32_e32 vcc, s20, v0
	s_waitcnt vmcnt(0) lgkmcnt(0)
	v_mov_b32_e32 v4, v2
	v_mov_b32_e32 v5, v3
	;; [unrolled: 1-line block ×10, first 2 shown]
	v_pk_mov_b32 v[18:19], v[14:15], v[14:15] op_sel:[0,1]
	v_pk_mov_b32 v[16:17], v[12:13], v[12:13] op_sel:[0,1]
	;; [unrolled: 1-line block ×8, first 2 shown]
	s_and_saveexec_b64 s[2:3], vcc
	s_cbranch_execz .LBB5224_5
; %bb.4:
	v_mov_b32_e32 v5, s1
	v_add_co_u32_e32 v4, vcc, s0, v1
	v_addc_co_u32_e32 v5, vcc, 0, v5, vcc
	flat_load_dwordx2 v[20:21], v[4:5]
	v_mov_b32_e32 v4, v2
	v_mov_b32_e32 v5, v3
	;; [unrolled: 1-line block ×10, first 2 shown]
	v_pk_mov_b32 v[18:19], v[14:15], v[14:15] op_sel:[0,1]
	v_pk_mov_b32 v[16:17], v[12:13], v[12:13] op_sel:[0,1]
	v_pk_mov_b32 v[14:15], v[10:11], v[10:11] op_sel:[0,1]
	v_pk_mov_b32 v[12:13], v[8:9], v[8:9] op_sel:[0,1]
	v_pk_mov_b32 v[10:11], v[6:7], v[6:7] op_sel:[0,1]
	v_pk_mov_b32 v[8:9], v[4:5], v[4:5] op_sel:[0,1]
	v_pk_mov_b32 v[6:7], v[2:3], v[2:3] op_sel:[0,1]
	v_pk_mov_b32 v[4:5], v[0:1], v[0:1] op_sel:[0,1]
	s_waitcnt vmcnt(0) lgkmcnt(0)
	v_pk_mov_b32 v[2:3], v[20:21], v[20:21] op_sel:[0,1]
.LBB5224_5:
	s_or_b64 exec, exec, s[2:3]
	v_or_b32_e32 v4, 0x80, v0
	v_cmp_gt_u32_e32 vcc, s20, v4
	s_and_saveexec_b64 s[2:3], vcc
	s_cbranch_execz .LBB5224_7
; %bb.6:
	v_mov_b32_e32 v5, s1
	v_add_co_u32_e32 v4, vcc, s0, v1
	v_addc_co_u32_e32 v5, vcc, 0, v5, vcc
	flat_load_dwordx2 v[6:7], v[4:5] offset:1024
.LBB5224_7:
	s_or_b64 exec, exec, s[2:3]
	v_or_b32_e32 v4, 0x100, v0
	v_cmp_gt_u32_e32 vcc, s20, v4
	s_and_saveexec_b64 s[2:3], vcc
	s_cbranch_execz .LBB5224_9
; %bb.8:
	v_mov_b32_e32 v5, s1
	v_add_co_u32_e32 v4, vcc, s0, v1
	v_addc_co_u32_e32 v5, vcc, 0, v5, vcc
	flat_load_dwordx2 v[8:9], v[4:5] offset:2048
.LBB5224_9:
	;; [unrolled: 11-line block ×3, first 2 shown]
	s_or_b64 exec, exec, s[2:3]
	v_or_b32_e32 v4, 0x200, v0
	v_cmp_gt_u32_e32 vcc, s20, v4
	s_and_saveexec_b64 s[2:3], vcc
	s_cbranch_execz .LBB5224_13
; %bb.12:
	v_lshlrev_b32_e32 v4, 3, v4
	v_mov_b32_e32 v5, s1
	v_add_co_u32_e32 v4, vcc, s0, v4
	v_addc_co_u32_e32 v5, vcc, 0, v5, vcc
	flat_load_dwordx2 v[12:13], v[4:5]
.LBB5224_13:
	s_or_b64 exec, exec, s[2:3]
	v_or_b32_e32 v4, 0x280, v0
	v_cmp_gt_u32_e32 vcc, s20, v4
	s_and_saveexec_b64 s[2:3], vcc
	s_cbranch_execz .LBB5224_15
; %bb.14:
	v_lshlrev_b32_e32 v4, 3, v4
	v_mov_b32_e32 v5, s1
	v_add_co_u32_e32 v4, vcc, s0, v4
	v_addc_co_u32_e32 v5, vcc, 0, v5, vcc
	flat_load_dwordx2 v[14:15], v[4:5]
.LBB5224_15:
	;; [unrolled: 12-line block ×3, first 2 shown]
	s_or_b64 exec, exec, s[2:3]
	s_waitcnt vmcnt(0) lgkmcnt(0)
	ds_write2st64_b64 v1, v[2:3], v[6:7] offset1:2
	ds_write2st64_b64 v1, v[8:9], v[10:11] offset0:4 offset1:6
	ds_write2st64_b64 v1, v[12:13], v[14:15] offset0:8 offset1:10
	ds_write_b64 v1, v[16:17] offset:6144
	s_waitcnt lgkmcnt(0)
	s_barrier
.LBB5224_18:
	v_mul_u32_u24_e32 v36, 7, v0
	v_lshlrev_b32_e32 v1, 3, v36
	s_waitcnt lgkmcnt(0)
	ds_read2_b64 v[10:13], v1 offset1:1
	ds_read2_b64 v[6:9], v1 offset0:2 offset1:3
	ds_read2_b64 v[2:5], v1 offset0:4 offset1:5
	ds_read_b64 v[26:27], v1 offset:48
	s_cmp_lg_u32 s6, 0
	v_lshrrev_b32_e32 v37, 5, v0
	v_cmp_gt_u32_e32 vcc, 64, v0
	s_waitcnt lgkmcnt(0)
	s_barrier
	s_cbranch_scc0 .LBB5224_45
; %bb.19:
	v_add_co_u32_e64 v1, s[0:1], v12, v10
	v_addc_co_u32_e64 v14, s[0:1], v13, v11, s[0:1]
	v_add_co_u32_e64 v1, s[0:1], v1, v6
	v_addc_co_u32_e64 v14, s[0:1], v14, v7, s[0:1]
	;; [unrolled: 2-line block ×6, first 2 shown]
	v_add_lshl_u32 v1, v37, v0, 3
	ds_write_b64 v1, v[18:19]
	s_waitcnt lgkmcnt(0)
	s_barrier
	s_and_saveexec_b64 s[8:9], vcc
	s_cbranch_execz .LBB5224_23
; %bb.20:
	v_lshlrev_b32_e32 v1, 1, v0
	v_lshrrev_b32_e32 v14, 4, v0
	v_add_lshl_u32 v20, v14, v1, 3
	ds_read2_b64 v[14:17], v20 offset1:1
	v_mbcnt_lo_u32_b32 v1, -1, 0
	s_waitcnt lgkmcnt(0)
	v_add_co_u32_e64 v21, s[0:1], v16, v14
	v_addc_co_u32_e64 v22, s[0:1], v17, v15, s[0:1]
	s_nop 0
	v_mov_b32_dpp v16, v21 row_shr:1 row_mask:0xf bank_mask:0xf
	v_add_co_u32_e64 v16, s[0:1], v21, v16
	v_addc_co_u32_e64 v24, s[0:1], 0, v22, s[0:1]
	v_mbcnt_hi_u32_b32 v17, -1, v1
	v_mov_b32_dpp v23, v22 row_shr:1 row_mask:0xf bank_mask:0xf
	v_add_co_u32_e64 v25, s[0:1], 0, v16
	v_and_b32_e32 v1, 15, v17
	v_addc_co_u32_e64 v23, s[0:1], v23, v24, s[0:1]
	v_cmp_eq_u32_e64 s[0:1], 0, v1
	v_cndmask_b32_e64 v16, v16, v21, s[0:1]
	v_cndmask_b32_e64 v23, v23, v22, s[0:1]
	v_cndmask_b32_e64 v24, v25, v21, s[0:1]
	v_mov_b32_dpp v25, v16 row_shr:2 row_mask:0xf bank_mask:0xf
	v_mov_b32_dpp v28, v23 row_shr:2 row_mask:0xf bank_mask:0xf
	v_add_co_u32_e64 v25, s[0:1], v25, v24
	v_addc_co_u32_e64 v28, s[0:1], v28, v23, s[0:1]
	v_cmp_lt_u32_e64 s[0:1], 1, v1
	v_cndmask_b32_e64 v16, v16, v25, s[0:1]
	v_cndmask_b32_e64 v23, v23, v28, s[0:1]
	v_cndmask_b32_e64 v24, v24, v25, s[0:1]
	v_mov_b32_dpp v25, v16 row_shr:4 row_mask:0xf bank_mask:0xf
	v_mov_b32_dpp v28, v23 row_shr:4 row_mask:0xf bank_mask:0xf
	v_add_co_u32_e64 v25, s[0:1], v25, v24
	v_addc_co_u32_e64 v28, s[0:1], v28, v23, s[0:1]
	v_cmp_lt_u32_e64 s[0:1], 3, v1
	;; [unrolled: 8-line block ×3, first 2 shown]
	v_cndmask_b32_e64 v29, v16, v25, s[0:1]
	v_cndmask_b32_e64 v1, v23, v28, s[0:1]
	;; [unrolled: 1-line block ×3, first 2 shown]
	v_mov_b32_dpp v23, v29 row_bcast:15 row_mask:0xf bank_mask:0xf
	v_mov_b32_dpp v24, v1 row_bcast:15 row_mask:0xf bank_mask:0xf
	v_add_co_u32_e64 v23, s[0:1], v23, v16
	v_and_b32_e32 v28, 16, v17
	v_addc_co_u32_e64 v25, s[0:1], v24, v1, s[0:1]
	v_cmp_eq_u32_e64 s[0:1], 0, v28
	v_cndmask_b32_e64 v28, v25, v1, s[0:1]
	v_cndmask_b32_e64 v24, v23, v29, s[0:1]
	v_cmp_ne_u32_e64 s[2:3], 0, v17
	v_mov_b32_dpp v28, v28 row_bcast:31 row_mask:0xf bank_mask:0xf
	v_mov_b32_dpp v24, v24 row_bcast:31 row_mask:0xf bank_mask:0xf
	s_and_saveexec_b64 s[10:11], s[2:3]
; %bb.21:
	v_cndmask_b32_e64 v1, v25, v1, s[0:1]
	v_cndmask_b32_e64 v16, v23, v16, s[0:1]
	v_cmp_lt_u32_e64 s[0:1], 31, v17
	v_cndmask_b32_e64 v21, 0, v24, s[0:1]
	v_cndmask_b32_e64 v22, 0, v28, s[0:1]
	v_add_co_u32_e64 v21, s[0:1], v21, v16
	v_addc_co_u32_e64 v22, s[0:1], v22, v1, s[0:1]
; %bb.22:
	s_or_b64 exec, exec, s[10:11]
	v_add_u32_e32 v1, -1, v17
	v_and_b32_e32 v16, 64, v17
	v_cmp_lt_i32_e64 s[0:1], v1, v16
	v_cndmask_b32_e64 v1, v1, v17, s[0:1]
	v_lshlrev_b32_e32 v1, 2, v1
	ds_bpermute_b32 v16, v1, v21
	ds_bpermute_b32 v1, v1, v22
	; wave barrier
	s_waitcnt lgkmcnt(1)
	v_add_co_u32_e64 v14, s[0:1], v14, v16
	v_addc_co_u32_e64 v15, s[0:1], 0, v15, s[0:1]
	v_add_co_u32_e64 v14, s[0:1], 0, v14
	s_waitcnt lgkmcnt(0)
	v_addc_co_u32_e64 v1, s[0:1], v15, v1, s[0:1]
	v_cmp_eq_u32_e64 s[0:1], 0, v0
	v_cndmask_b32_e64 v15, v1, v19, s[0:1]
	v_cndmask_b32_e64 v14, v14, v18, s[0:1]
	ds_write_b64 v20, v[14:15]
	; wave barrier
	ds_read_b64 v[16:17], v20 offset:8
	s_waitcnt lgkmcnt(0)
	v_add_co_u32_e64 v14, s[0:1], v16, v14
	v_addc_co_u32_e64 v15, s[0:1], v17, v15, s[0:1]
	ds_write_b64 v20, v[14:15] offset:8
.LBB5224_23:
	s_or_b64 exec, exec, s[8:9]
	v_cmp_eq_u32_e64 s[0:1], 0, v0
	v_cmp_ne_u32_e64 s[2:3], 0, v0
	v_pk_mov_b32 v[22:23], 0, 0
	s_waitcnt lgkmcnt(0)
	s_barrier
	s_and_saveexec_b64 s[8:9], s[2:3]
	s_cbranch_execz .LBB5224_25
; %bb.24:
	v_add_u32_e32 v1, -1, v0
	v_lshrrev_b32_e32 v14, 5, v1
	v_add_lshl_u32 v1, v14, v1, 3
	ds_read_b64 v[22:23], v1
.LBB5224_25:
	s_or_b64 exec, exec, s[8:9]
	s_and_saveexec_b64 s[18:19], vcc
	s_cbranch_execz .LBB5224_44
; %bb.26:
	v_mov_b32_e32 v17, 0
	ds_read_b64 v[14:15], v17 offset:1040
	v_mbcnt_lo_u32_b32 v1, -1, 0
	v_mbcnt_hi_u32_b32 v30, -1, v1
	s_mov_b32 s11, 0
	v_cmp_eq_u32_e64 s[2:3], 0, v30
	s_and_saveexec_b64 s[8:9], s[2:3]
	s_cbranch_execz .LBB5224_28
; %bb.27:
	s_add_i32 s10, s6, 64
	s_lshl_b64 s[10:11], s[10:11], 4
	s_add_u32 s10, s16, s10
	s_addc_u32 s11, s17, s11
	v_mov_b32_e32 v16, 1
	v_pk_mov_b32 v[18:19], s[10:11], s[10:11] op_sel:[0,1]
	s_waitcnt lgkmcnt(0)
	;;#ASMSTART
	global_store_dwordx4 v[18:19], v[14:17] off	
s_waitcnt vmcnt(0)
	;;#ASMEND
.LBB5224_28:
	s_or_b64 exec, exec, s[8:9]
	v_xad_u32 v24, v30, -1, s6
	v_add_u32_e32 v16, 64, v24
	v_lshlrev_b64 v[18:19], 4, v[16:17]
	v_mov_b32_e32 v1, s17
	v_add_co_u32_e32 v28, vcc, s16, v18
	v_addc_co_u32_e32 v29, vcc, v1, v19, vcc
	;;#ASMSTART
	global_load_dwordx4 v[18:21], v[28:29] off glc	
s_waitcnt vmcnt(0)
	;;#ASMEND
	v_and_b32_e32 v1, 0xff, v19
	v_and_b32_e32 v16, 0xff00, v19
	v_or3_b32 v1, 0, v1, v16
	v_or3_b32 v16, v18, 0, 0
	v_and_b32_e32 v18, 0xff000000, v19
	v_and_b32_e32 v19, 0xff0000, v19
	v_or3_b32 v19, v1, v19, v18
	v_or3_b32 v18, v16, 0, 0
	v_cmp_eq_u16_sdwa s[10:11], v20, v17 src0_sel:BYTE_0 src1_sel:DWORD
	s_and_saveexec_b64 s[8:9], s[10:11]
	s_cbranch_execz .LBB5224_32
; %bb.29:
	s_mov_b64 s[10:11], 0
	v_mov_b32_e32 v1, 0
.LBB5224_30:                            ; =>This Inner Loop Header: Depth=1
	;;#ASMSTART
	global_load_dwordx4 v[18:21], v[28:29] off glc	
s_waitcnt vmcnt(0)
	;;#ASMEND
	v_cmp_ne_u16_sdwa s[24:25], v20, v1 src0_sel:BYTE_0 src1_sel:DWORD
	s_or_b64 s[10:11], s[24:25], s[10:11]
	s_andn2_b64 exec, exec, s[10:11]
	s_cbranch_execnz .LBB5224_30
; %bb.31:
	s_or_b64 exec, exec, s[10:11]
.LBB5224_32:
	s_or_b64 exec, exec, s[8:9]
	v_and_b32_e32 v32, 63, v30
	v_cmp_ne_u32_e32 vcc, 63, v32
	v_addc_co_u32_e32 v28, vcc, 0, v30, vcc
	v_lshlrev_b32_e32 v33, 2, v28
	ds_bpermute_b32 v28, v33, v18
	v_mov_b32_e32 v1, 2
	v_cmp_eq_u16_sdwa s[8:9], v20, v1 src0_sel:BYTE_0 src1_sel:DWORD
	v_lshlrev_b64 v[16:17], v30, -1
	ds_bpermute_b32 v29, v33, v19
	v_and_b32_e32 v21, s9, v17
	v_or_b32_e32 v21, 0x80000000, v21
	s_waitcnt lgkmcnt(1)
	v_add_co_u32_e32 v28, vcc, v18, v28
	v_and_b32_e32 v25, s8, v16
	v_ffbl_b32_e32 v21, v21
	v_addc_co_u32_e32 v31, vcc, 0, v19, vcc
	v_add_u32_e32 v21, 32, v21
	v_ffbl_b32_e32 v25, v25
	v_add_co_u32_e32 v35, vcc, 0, v28
	v_cmp_gt_u32_e64 s[8:9], 62, v32
	v_min_u32_e32 v21, v25, v21
	s_waitcnt lgkmcnt(0)
	v_addc_co_u32_e32 v29, vcc, v29, v31, vcc
	v_cndmask_b32_e64 v31, 0, 1, s[8:9]
	v_cmp_lt_u32_e32 vcc, v32, v21
	v_lshlrev_b32_e32 v31, 1, v31
	v_cndmask_b32_e32 v28, v18, v28, vcc
	v_add_lshl_u32 v34, v31, v30, 2
	v_cndmask_b32_e32 v29, v19, v29, vcc
	ds_bpermute_b32 v31, v34, v28
	ds_bpermute_b32 v38, v34, v29
	v_cndmask_b32_e32 v39, v18, v35, vcc
	v_add_u32_e32 v35, 2, v32
	v_cmp_gt_u32_e64 s[10:11], 60, v32
	s_waitcnt lgkmcnt(1)
	v_add_co_u32_e64 v31, s[8:9], v31, v39
	s_waitcnt lgkmcnt(0)
	v_addc_co_u32_e64 v38, s[8:9], v38, v29, s[8:9]
	v_cmp_gt_u32_e64 s[8:9], v35, v21
	v_cndmask_b32_e64 v29, v38, v29, s[8:9]
	v_cndmask_b32_e64 v38, 0, 1, s[10:11]
	v_lshlrev_b32_e32 v38, 2, v38
	v_cndmask_b32_e64 v28, v31, v28, s[8:9]
	v_add_lshl_u32 v38, v38, v30, 2
	ds_bpermute_b32 v40, v38, v28
	ds_bpermute_b32 v41, v38, v29
	v_cndmask_b32_e64 v31, v31, v39, s[8:9]
	v_add_u32_e32 v39, 4, v32
	v_cmp_gt_u32_e64 s[10:11], 56, v32
	s_waitcnt lgkmcnt(1)
	v_add_co_u32_e64 v42, s[8:9], v40, v31
	s_waitcnt lgkmcnt(0)
	v_addc_co_u32_e64 v40, s[8:9], v41, v29, s[8:9]
	v_cmp_gt_u32_e64 s[8:9], v39, v21
	v_cndmask_b32_e64 v29, v40, v29, s[8:9]
	v_cndmask_b32_e64 v40, 0, 1, s[10:11]
	v_lshlrev_b32_e32 v40, 3, v40
	v_cndmask_b32_e64 v28, v42, v28, s[8:9]
	v_add_lshl_u32 v40, v40, v30, 2
	ds_bpermute_b32 v43, v40, v28
	v_cndmask_b32_e64 v31, v42, v31, s[8:9]
	ds_bpermute_b32 v42, v40, v29
	v_add_u32_e32 v41, 8, v32
	v_cmp_gt_u32_e64 s[10:11], 48, v32
	s_waitcnt lgkmcnt(1)
	v_add_co_u32_e64 v43, s[8:9], v43, v31
	s_waitcnt lgkmcnt(0)
	v_addc_co_u32_e64 v42, s[8:9], v42, v29, s[8:9]
	v_cmp_gt_u32_e64 s[8:9], v41, v21
	v_cndmask_b32_e64 v29, v42, v29, s[8:9]
	v_cndmask_b32_e64 v42, 0, 1, s[10:11]
	v_lshlrev_b32_e32 v42, 4, v42
	v_cndmask_b32_e64 v28, v43, v28, s[8:9]
	v_add_lshl_u32 v42, v42, v30, 2
	ds_bpermute_b32 v44, v42, v28
	ds_bpermute_b32 v45, v42, v29
	v_cndmask_b32_e64 v31, v43, v31, s[8:9]
	v_cmp_gt_u32_e64 s[10:11], 32, v32
	v_add_u32_e32 v43, 16, v32
	s_waitcnt lgkmcnt(1)
	v_add_co_u32_e64 v46, s[8:9], v44, v31
	s_waitcnt lgkmcnt(0)
	v_addc_co_u32_e64 v45, s[8:9], v45, v29, s[8:9]
	v_cndmask_b32_e64 v44, 0, 1, s[10:11]
	v_cmp_gt_u32_e64 s[8:9], v43, v21
	v_lshlrev_b32_e32 v44, 5, v44
	v_cndmask_b32_e64 v28, v46, v28, s[8:9]
	v_add_lshl_u32 v44, v44, v30, 2
	v_cndmask_b32_e64 v29, v45, v29, s[8:9]
	ds_bpermute_b32 v28, v44, v28
	ds_bpermute_b32 v30, v44, v29
	v_add_u32_e32 v45, 32, v32
	v_cndmask_b32_e64 v31, v46, v31, s[8:9]
	v_cmp_le_u32_e64 s[8:9], v45, v21
	s_waitcnt lgkmcnt(1)
	v_cndmask_b32_e64 v28, 0, v28, s[8:9]
	s_waitcnt lgkmcnt(0)
	v_cndmask_b32_e64 v21, 0, v30, s[8:9]
	v_add_co_u32_e64 v28, s[8:9], v28, v31
	v_addc_co_u32_e64 v21, s[8:9], v21, v29, s[8:9]
	v_mov_b32_e32 v25, 0
	v_cndmask_b32_e32 v19, v19, v21, vcc
	v_cndmask_b32_e32 v18, v18, v28, vcc
	s_branch .LBB5224_34
.LBB5224_33:                            ;   in Loop: Header=BB5224_34 Depth=1
	s_or_b64 exec, exec, s[8:9]
	v_cmp_eq_u16_sdwa s[8:9], v20, v1 src0_sel:BYTE_0 src1_sel:DWORD
	v_and_b32_e32 v21, s9, v17
	v_or_b32_e32 v21, 0x80000000, v21
	ds_bpermute_b32 v31, v33, v18
	v_and_b32_e32 v30, s8, v16
	v_ffbl_b32_e32 v21, v21
	v_add_u32_e32 v21, 32, v21
	v_ffbl_b32_e32 v30, v30
	v_min_u32_e32 v21, v30, v21
	ds_bpermute_b32 v30, v33, v19
	s_waitcnt lgkmcnt(1)
	v_add_co_u32_e32 v31, vcc, v18, v31
	v_addc_co_u32_e32 v46, vcc, 0, v19, vcc
	v_add_co_u32_e32 v47, vcc, 0, v31
	s_waitcnt lgkmcnt(0)
	v_addc_co_u32_e32 v30, vcc, v30, v46, vcc
	v_cmp_lt_u32_e32 vcc, v32, v21
	v_cndmask_b32_e32 v31, v18, v31, vcc
	ds_bpermute_b32 v46, v34, v31
	v_cndmask_b32_e32 v30, v19, v30, vcc
	ds_bpermute_b32 v48, v34, v30
	v_cndmask_b32_e32 v47, v18, v47, vcc
	v_subrev_u32_e32 v24, 64, v24
	s_waitcnt lgkmcnt(1)
	v_add_co_u32_e64 v46, s[8:9], v46, v47
	s_waitcnt lgkmcnt(0)
	v_addc_co_u32_e64 v48, s[8:9], v48, v30, s[8:9]
	v_cmp_gt_u32_e64 s[8:9], v35, v21
	v_cndmask_b32_e64 v31, v46, v31, s[8:9]
	ds_bpermute_b32 v49, v38, v31
	v_cndmask_b32_e64 v30, v48, v30, s[8:9]
	ds_bpermute_b32 v48, v38, v30
	v_cndmask_b32_e64 v46, v46, v47, s[8:9]
	s_waitcnt lgkmcnt(1)
	v_add_co_u32_e64 v47, s[8:9], v49, v46
	s_waitcnt lgkmcnt(0)
	v_addc_co_u32_e64 v48, s[8:9], v48, v30, s[8:9]
	v_cmp_gt_u32_e64 s[8:9], v39, v21
	v_cndmask_b32_e64 v31, v47, v31, s[8:9]
	ds_bpermute_b32 v49, v40, v31
	v_cndmask_b32_e64 v30, v48, v30, s[8:9]
	ds_bpermute_b32 v48, v40, v30
	v_cndmask_b32_e64 v46, v47, v46, s[8:9]
	;; [unrolled: 10-line block ×3, first 2 shown]
	s_waitcnt lgkmcnt(1)
	v_add_co_u32_e64 v47, s[8:9], v49, v46
	s_waitcnt lgkmcnt(0)
	v_addc_co_u32_e64 v48, s[8:9], v48, v30, s[8:9]
	v_cmp_gt_u32_e64 s[8:9], v43, v21
	v_cndmask_b32_e64 v31, v47, v31, s[8:9]
	v_cndmask_b32_e64 v30, v48, v30, s[8:9]
	ds_bpermute_b32 v31, v44, v31
	ds_bpermute_b32 v48, v44, v30
	v_cndmask_b32_e64 v46, v47, v46, s[8:9]
	v_cmp_le_u32_e64 s[8:9], v45, v21
	s_waitcnt lgkmcnt(1)
	v_cndmask_b32_e64 v31, 0, v31, s[8:9]
	s_waitcnt lgkmcnt(0)
	v_cndmask_b32_e64 v21, 0, v48, s[8:9]
	v_add_co_u32_e64 v31, s[8:9], v31, v46
	v_addc_co_u32_e64 v21, s[8:9], v21, v30, s[8:9]
	v_cndmask_b32_e32 v18, v18, v31, vcc
	v_cndmask_b32_e32 v19, v19, v21, vcc
	v_add_co_u32_e32 v18, vcc, v18, v28
	v_addc_co_u32_e32 v19, vcc, v19, v29, vcc
.LBB5224_34:                            ; =>This Loop Header: Depth=1
                                        ;     Child Loop BB5224_37 Depth 2
	v_cmp_ne_u16_sdwa s[8:9], v20, v1 src0_sel:BYTE_0 src1_sel:DWORD
	v_cndmask_b32_e64 v20, 0, 1, s[8:9]
	;;#ASMSTART
	;;#ASMEND
	v_cmp_ne_u32_e32 vcc, 0, v20
	s_cmp_lg_u64 vcc, exec
	v_pk_mov_b32 v[28:29], v[18:19], v[18:19] op_sel:[0,1]
	s_cbranch_scc1 .LBB5224_39
; %bb.35:                               ;   in Loop: Header=BB5224_34 Depth=1
	v_lshlrev_b64 v[18:19], 4, v[24:25]
	v_mov_b32_e32 v20, s17
	v_add_co_u32_e32 v30, vcc, s16, v18
	v_addc_co_u32_e32 v31, vcc, v20, v19, vcc
	;;#ASMSTART
	global_load_dwordx4 v[18:21], v[30:31] off glc	
s_waitcnt vmcnt(0)
	;;#ASMEND
	v_and_b32_e32 v21, 0xff, v19
	v_and_b32_e32 v46, 0xff00, v19
	v_or3_b32 v21, 0, v21, v46
	v_or3_b32 v18, v18, 0, 0
	v_and_b32_e32 v46, 0xff000000, v19
	v_and_b32_e32 v19, 0xff0000, v19
	v_or3_b32 v19, v21, v19, v46
	v_or3_b32 v18, v18, 0, 0
	v_cmp_eq_u16_sdwa s[10:11], v20, v25 src0_sel:BYTE_0 src1_sel:DWORD
	s_and_saveexec_b64 s[8:9], s[10:11]
	s_cbranch_execz .LBB5224_33
; %bb.36:                               ;   in Loop: Header=BB5224_34 Depth=1
	s_mov_b64 s[10:11], 0
.LBB5224_37:                            ;   Parent Loop BB5224_34 Depth=1
                                        ; =>  This Inner Loop Header: Depth=2
	;;#ASMSTART
	global_load_dwordx4 v[18:21], v[30:31] off glc	
s_waitcnt vmcnt(0)
	;;#ASMEND
	v_cmp_ne_u16_sdwa s[24:25], v20, v25 src0_sel:BYTE_0 src1_sel:DWORD
	s_or_b64 s[10:11], s[24:25], s[10:11]
	s_andn2_b64 exec, exec, s[10:11]
	s_cbranch_execnz .LBB5224_37
; %bb.38:                               ;   in Loop: Header=BB5224_34 Depth=1
	s_or_b64 exec, exec, s[10:11]
	s_branch .LBB5224_33
.LBB5224_39:                            ;   in Loop: Header=BB5224_34 Depth=1
                                        ; implicit-def: $vgpr18_vgpr19
                                        ; implicit-def: $vgpr20
	s_cbranch_execz .LBB5224_34
; %bb.40:
	s_and_saveexec_b64 s[8:9], s[2:3]
	s_cbranch_execz .LBB5224_42
; %bb.41:
	s_add_i32 s2, s6, 64
	s_mov_b32 s3, 0
	s_lshl_b64 s[2:3], s[2:3], 4
	s_add_u32 s2, s16, s2
	v_add_co_u32_e32 v14, vcc, v28, v14
	s_addc_u32 s3, s17, s3
	v_addc_co_u32_e32 v15, vcc, v29, v15, vcc
	v_mov_b32_e32 v16, 2
	v_mov_b32_e32 v17, 0
	v_pk_mov_b32 v[18:19], s[2:3], s[2:3] op_sel:[0,1]
	;;#ASMSTART
	global_store_dwordx4 v[18:19], v[14:17] off	
s_waitcnt vmcnt(0)
	;;#ASMEND
.LBB5224_42:
	s_or_b64 exec, exec, s[8:9]
	s_and_b64 exec, exec, s[0:1]
	s_cbranch_execz .LBB5224_44
; %bb.43:
	v_mov_b32_e32 v1, 0
	ds_write_b64 v1, v[28:29]
.LBB5224_44:
	s_or_b64 exec, exec, s[18:19]
	v_mov_b32_e32 v1, 0
	s_waitcnt lgkmcnt(0)
	s_barrier
	ds_read_b64 v[14:15], v1
	s_waitcnt lgkmcnt(0)
	v_add_co_u32_e32 v14, vcc, v14, v22
	v_addc_co_u32_e32 v15, vcc, v15, v23, vcc
	v_add_co_u32_e32 v28, vcc, v14, v10
	v_addc_co_u32_e32 v29, vcc, v15, v11, vcc
	;; [unrolled: 2-line block ×7, first 2 shown]
	s_load_dwordx8 s[0:7], s[4:5], 0x48
	s_branch .LBB5224_57
.LBB5224_45:
                                        ; implicit-def: $vgpr34_vgpr35
                                        ; implicit-def: $vgpr32_vgpr33
                                        ; implicit-def: $vgpr30_vgpr31
                                        ; implicit-def: $vgpr28_vgpr29
                                        ; implicit-def: $vgpr22_vgpr23_vgpr24_vgpr25
                                        ; implicit-def: $vgpr18_vgpr19_vgpr20_vgpr21
                                        ; implicit-def: $vgpr14_vgpr15_vgpr16_vgpr17
	s_load_dwordx8 s[0:7], s[4:5], 0x48
	s_cbranch_execz .LBB5224_57
; %bb.46:
	s_waitcnt lgkmcnt(0)
	s_cmp_eq_u64 s[4:5], 0
	v_pk_mov_b32 v[20:21], s[14:15], s[14:15] op_sel:[0,1]
	s_cbranch_scc1 .LBB5224_48
; %bb.47:
	v_mov_b32_e32 v1, 0
	v_mov_b32_e32 v15, s23
	v_add_co_u32_e64 v14, vcc, -8, s22
	v_addc_co_u32_e32 v15, vcc, -1, v15, vcc
	global_load_dwordx2 v[16:17], v1, s[0:1]
	flat_load_dwordx2 v[18:19], v[14:15]
	s_waitcnt vmcnt(0) lgkmcnt(0)
	v_add_co_u32_e32 v20, vcc, v16, v18
	v_addc_co_u32_e32 v21, vcc, v17, v19, vcc
.LBB5224_48:
	v_add_co_u32_e32 v1, vcc, v12, v10
	v_addc_co_u32_e32 v14, vcc, v13, v11, vcc
	v_add_co_u32_e32 v1, vcc, v1, v6
	v_addc_co_u32_e32 v14, vcc, v14, v7, vcc
	;; [unrolled: 2-line block ×6, first 2 shown]
	v_add_lshl_u32 v1, v37, v0, 3
	v_cmp_gt_u32_e32 vcc, 64, v0
	ds_write_b64 v1, v[18:19]
	s_waitcnt lgkmcnt(0)
	s_barrier
	s_and_saveexec_b64 s[4:5], vcc
	s_cbranch_execz .LBB5224_52
; %bb.49:
	v_lshlrev_b32_e32 v1, 1, v0
	v_lshrrev_b32_e32 v14, 4, v0
	v_add_lshl_u32 v22, v14, v1, 3
	ds_read2_b64 v[14:17], v22 offset1:1
	v_mbcnt_lo_u32_b32 v1, -1, 0
	s_waitcnt lgkmcnt(0)
	v_add_co_u32_e32 v23, vcc, v16, v14
	v_addc_co_u32_e32 v24, vcc, v17, v15, vcc
	s_nop 0
	v_mov_b32_dpp v16, v23 row_shr:1 row_mask:0xf bank_mask:0xf
	v_add_co_u32_e32 v16, vcc, v23, v16
	v_addc_co_u32_e32 v26, vcc, 0, v24, vcc
	v_mbcnt_hi_u32_b32 v17, -1, v1
	v_mov_b32_dpp v25, v24 row_shr:1 row_mask:0xf bank_mask:0xf
	v_add_co_u32_e32 v27, vcc, 0, v16
	v_and_b32_e32 v1, 15, v17
	v_addc_co_u32_e32 v25, vcc, v25, v26, vcc
	v_cmp_eq_u32_e32 vcc, 0, v1
	v_cndmask_b32_e32 v16, v16, v23, vcc
	v_cndmask_b32_e32 v25, v25, v24, vcc
	v_cndmask_b32_e32 v26, v27, v23, vcc
	v_mov_b32_dpp v27, v16 row_shr:2 row_mask:0xf bank_mask:0xf
	v_mov_b32_dpp v28, v25 row_shr:2 row_mask:0xf bank_mask:0xf
	v_add_co_u32_e32 v27, vcc, v27, v26
	v_addc_co_u32_e32 v28, vcc, v28, v25, vcc
	v_cmp_lt_u32_e32 vcc, 1, v1
	v_cndmask_b32_e32 v16, v16, v27, vcc
	v_cndmask_b32_e32 v25, v25, v28, vcc
	v_cndmask_b32_e32 v26, v26, v27, vcc
	v_mov_b32_dpp v27, v16 row_shr:4 row_mask:0xf bank_mask:0xf
	v_mov_b32_dpp v28, v25 row_shr:4 row_mask:0xf bank_mask:0xf
	v_add_co_u32_e32 v27, vcc, v27, v26
	v_addc_co_u32_e32 v28, vcc, v28, v25, vcc
	v_cmp_lt_u32_e32 vcc, 3, v1
	;; [unrolled: 8-line block ×3, first 2 shown]
	v_cndmask_b32_e32 v29, v16, v27, vcc
	v_cndmask_b32_e32 v1, v25, v28, vcc
	;; [unrolled: 1-line block ×3, first 2 shown]
	v_mov_b32_dpp v25, v29 row_bcast:15 row_mask:0xf bank_mask:0xf
	v_mov_b32_dpp v26, v1 row_bcast:15 row_mask:0xf bank_mask:0xf
	v_add_co_u32_e32 v25, vcc, v25, v16
	v_and_b32_e32 v28, 16, v17
	v_addc_co_u32_e32 v27, vcc, v26, v1, vcc
	v_cmp_eq_u32_e32 vcc, 0, v28
	v_cndmask_b32_e32 v28, v27, v1, vcc
	v_cndmask_b32_e32 v26, v25, v29, vcc
	v_cmp_ne_u32_e64 s[0:1], 0, v17
	v_mov_b32_dpp v28, v28 row_bcast:31 row_mask:0xf bank_mask:0xf
	v_mov_b32_dpp v26, v26 row_bcast:31 row_mask:0xf bank_mask:0xf
	s_and_saveexec_b64 s[8:9], s[0:1]
; %bb.50:
	v_cndmask_b32_e32 v1, v27, v1, vcc
	v_cndmask_b32_e32 v16, v25, v16, vcc
	v_cmp_lt_u32_e32 vcc, 31, v17
	v_cndmask_b32_e32 v23, 0, v26, vcc
	v_cndmask_b32_e32 v24, 0, v28, vcc
	v_add_co_u32_e32 v23, vcc, v23, v16
	v_addc_co_u32_e32 v24, vcc, v24, v1, vcc
; %bb.51:
	s_or_b64 exec, exec, s[8:9]
	v_add_u32_e32 v1, -1, v17
	v_and_b32_e32 v16, 64, v17
	v_cmp_lt_i32_e32 vcc, v1, v16
	v_cndmask_b32_e32 v1, v1, v17, vcc
	v_lshlrev_b32_e32 v1, 2, v1
	ds_bpermute_b32 v16, v1, v23
	ds_bpermute_b32 v1, v1, v24
	; wave barrier
	s_waitcnt lgkmcnt(1)
	v_add_co_u32_e32 v14, vcc, v14, v16
	v_addc_co_u32_e32 v15, vcc, 0, v15, vcc
	v_add_co_u32_e32 v14, vcc, 0, v14
	s_waitcnt lgkmcnt(0)
	v_addc_co_u32_e32 v1, vcc, v15, v1, vcc
	v_cmp_eq_u32_e32 vcc, 0, v0
	v_cndmask_b32_e32 v15, v1, v19, vcc
	v_cndmask_b32_e32 v14, v14, v18, vcc
	ds_write_b64 v22, v[14:15]
	; wave barrier
	ds_read_b64 v[16:17], v22 offset:8
	s_waitcnt lgkmcnt(0)
	v_add_co_u32_e32 v14, vcc, v16, v14
	v_addc_co_u32_e32 v15, vcc, v17, v15, vcc
	ds_write_b64 v22, v[14:15] offset:8
.LBB5224_52:
	s_or_b64 exec, exec, s[4:5]
	v_cmp_eq_u32_e32 vcc, 0, v0
	v_cmp_ne_u32_e64 s[0:1], 0, v0
	v_pk_mov_b32 v[14:15], v[20:21], v[20:21] op_sel:[0,1]
	s_waitcnt lgkmcnt(0)
	s_barrier
	s_and_saveexec_b64 s[4:5], s[0:1]
	s_cbranch_execz .LBB5224_54
; %bb.53:
	v_add_u32_e32 v1, -1, v0
	v_lshrrev_b32_e32 v14, 5, v1
	v_add_lshl_u32 v1, v14, v1, 3
	ds_read_b64 v[14:15], v1
	s_waitcnt lgkmcnt(0)
	v_add_co_u32_e64 v14, s[0:1], v14, v20
	v_addc_co_u32_e64 v15, s[0:1], v15, v21, s[0:1]
.LBB5224_54:
	s_or_b64 exec, exec, s[4:5]
	v_add_co_u32_e64 v28, s[0:1], v14, v10
	v_addc_co_u32_e64 v29, s[0:1], v15, v11, s[0:1]
	v_add_co_u32_e64 v18, s[0:1], v28, v12
	v_addc_co_u32_e64 v19, s[0:1], v29, v13, s[0:1]
	;; [unrolled: 2-line block ×6, first 2 shown]
	s_and_saveexec_b64 s[0:1], vcc
	s_cbranch_execz .LBB5224_56
; %bb.55:
	v_mov_b32_e32 v5, 0
	ds_read_b64 v[2:3], v5 offset:1040
	s_add_u32 s4, s16, 0x400
	s_addc_u32 s5, s17, 0
	v_mov_b32_e32 v4, 2
	v_pk_mov_b32 v[6:7], s[4:5], s[4:5] op_sel:[0,1]
	s_waitcnt lgkmcnt(0)
	v_add_co_u32_e32 v2, vcc, v2, v20
	v_addc_co_u32_e32 v3, vcc, v3, v21, vcc
	;;#ASMSTART
	global_store_dwordx4 v[6:7], v[2:5] off	
s_waitcnt vmcnt(0)
	;;#ASMEND
.LBB5224_56:
	s_or_b64 exec, exec, s[0:1]
.LBB5224_57:
	v_mul_u32_u24_e32 v2, 56, v0
	s_waitcnt lgkmcnt(0)
	s_mov_b64 s[0:1], -1
	s_and_b64 vcc, exec, s[12:13]
	s_barrier
	ds_write2_b64 v2, v[14:15], v[28:29] offset1:1
	ds_write2_b64 v2, v[18:19], v[30:31] offset0:2 offset1:3
	ds_write2_b64 v2, v[22:23], v[32:33] offset0:4 offset1:5
	ds_write_b64 v2, v[34:35] offset:48
	s_waitcnt lgkmcnt(0)
	s_cbranch_vccz .LBB5224_59
; %bb.58:
	s_barrier
	s_mov_b64 s[0:1], 0
.LBB5224_59:
	s_andn2_b64 vcc, exec, s[0:1]
	s_cbranch_vccnz .LBB5224_84
; %bb.60:
	v_cmp_lt_u64_e64 s[0:1], s[6:7], 2
	s_and_b64 vcc, exec, s[0:1]
	s_barrier
	s_cbranch_vccnz .LBB5224_84
; %bb.61:
	s_add_u32 s0, s20, -1
	s_addc_u32 s1, s21, -1
	s_add_u32 s4, 0, 0x92481000
	s_addc_u32 s5, 0, 0x64
	s_add_i32 s5, s5, 0x249248c0
	s_mul_hi_u32 s9, s4, -7
	s_sub_i32 s9, s9, s4
	s_mul_i32 s10, s5, -7
	s_mul_i32 s6, s4, -7
	s_add_i32 s9, s9, s10
	s_mul_hi_u32 s7, s5, s6
	s_mul_i32 s8, s5, s6
	s_mul_i32 s11, s4, s9
	s_mul_hi_u32 s6, s4, s6
	s_mul_hi_u32 s10, s4, s9
	s_add_u32 s6, s6, s11
	s_addc_u32 s10, 0, s10
	s_add_u32 s6, s6, s8
	s_mul_hi_u32 s11, s5, s9
	s_addc_u32 s6, s10, s7
	s_addc_u32 s7, s11, 0
	s_mul_i32 s8, s5, s9
	s_add_u32 s6, s6, s8
	v_mov_b32_e32 v3, s6
	s_addc_u32 s7, 0, s7
	v_add_co_u32_e32 v3, vcc, s4, v3
	s_cmp_lg_u64 vcc, 0
	s_addc_u32 s4, s5, s7
	v_readfirstlane_b32 s7, v3
	s_mul_i32 s6, s0, s4
	s_mul_hi_u32 s8, s0, s7
	s_mul_hi_u32 s5, s0, s4
	s_add_u32 s6, s8, s6
	s_addc_u32 s5, 0, s5
	s_mul_hi_u32 s9, s1, s7
	s_mul_i32 s7, s1, s7
	s_add_u32 s6, s6, s7
	s_mul_hi_u32 s8, s1, s4
	s_addc_u32 s5, s5, s9
	s_addc_u32 s6, s8, 0
	s_mul_i32 s4, s1, s4
	s_add_u32 s4, s5, s4
	s_addc_u32 s5, 0, s6
	s_add_u32 s6, s4, 1
	s_addc_u32 s7, s5, 0
	s_add_u32 s8, s4, 2
	s_mul_i32 s10, s5, 7
	s_mul_hi_u32 s11, s4, 7
	s_addc_u32 s9, s5, 0
	s_add_i32 s11, s11, s10
	s_mul_i32 s10, s4, 7
	v_mov_b32_e32 v3, s10
	v_sub_co_u32_e32 v3, vcc, s0, v3
	s_cmp_lg_u64 vcc, 0
	s_subb_u32 s10, s1, s11
	v_subrev_co_u32_e32 v4, vcc, 7, v3
	s_cmp_lg_u64 vcc, 0
	s_subb_u32 s11, s10, 0
	v_readfirstlane_b32 s12, v4
	s_cmp_gt_u32 s12, 6
	s_cselect_b32 s12, -1, 0
	s_cmp_eq_u32 s11, 0
	s_cselect_b32 s11, s12, -1
	s_cmp_lg_u32 s11, 0
	s_cselect_b32 s6, s8, s6
	v_readfirstlane_b32 s8, v3
	s_cselect_b32 s7, s9, s7
	s_cmp_gt_u32 s8, 6
	s_cselect_b32 s8, -1, 0
	s_cmp_eq_u32 s10, 0
	s_cselect_b32 s8, s8, -1
	s_cmp_lg_u32 s8, 0
	v_mov_b32_e32 v1, 0
	s_cselect_b32 s5, s7, s5
	s_cselect_b32 s4, s6, s4
	v_cmp_eq_u64_e32 vcc, s[4:5], v[0:1]
	s_and_saveexec_b64 s[4:5], vcc
	s_cbranch_execz .LBB5224_84
; %bb.62:
	s_movk_i32 s4, 0xffd0
	v_mad_i32_i24 v2, v0, s4, v2
	v_mul_hi_u32_u24_e32 v1, 7, v0
	v_mov_b32_e32 v3, s1
	v_sub_co_u32_e32 v0, vcc, s0, v36
	v_subb_co_u32_e32 v1, vcc, v3, v1, vcc
	v_cmp_lt_i64_e32 vcc, 3, v[0:1]
	s_and_saveexec_b64 s[0:1], vcc
	s_xor_b64 s[0:1], exec, s[0:1]
	s_cbranch_execz .LBB5224_72
; %bb.63:
	v_cmp_lt_i64_e32 vcc, 4, v[0:1]
	s_and_saveexec_b64 s[4:5], vcc
	s_xor_b64 s[4:5], exec, s[4:5]
	s_cbranch_execz .LBB5224_69
; %bb.64:
	;; [unrolled: 5-line block ×3, first 2 shown]
	ds_read_b64 v[0:1], v2 offset:6144
	v_mov_b32_e32 v2, 0
	s_waitcnt lgkmcnt(0)
	global_store_dwordx2 v2, v[0:1], s[2:3]
                                        ; implicit-def: $vgpr2
.LBB5224_66:
	s_andn2_saveexec_b64 s[6:7], s[6:7]
	s_cbranch_execz .LBB5224_68
; %bb.67:
	ds_read_b64 v[0:1], v2 offset:5120
	v_mov_b32_e32 v2, 0
	s_waitcnt lgkmcnt(0)
	global_store_dwordx2 v2, v[0:1], s[2:3]
.LBB5224_68:
	s_or_b64 exec, exec, s[6:7]
                                        ; implicit-def: $vgpr2
.LBB5224_69:
	s_andn2_saveexec_b64 s[4:5], s[4:5]
	s_cbranch_execz .LBB5224_71
; %bb.70:
	ds_read_b64 v[0:1], v2 offset:4096
	v_mov_b32_e32 v2, 0
	s_waitcnt lgkmcnt(0)
	global_store_dwordx2 v2, v[0:1], s[2:3]
.LBB5224_71:
	s_or_b64 exec, exec, s[4:5]
                                        ; implicit-def: $vgpr0_vgpr1
                                        ; implicit-def: $vgpr2
.LBB5224_72:
	s_andn2_saveexec_b64 s[0:1], s[0:1]
	s_cbranch_execz .LBB5224_84
; %bb.73:
	v_cmp_lt_i64_e32 vcc, 1, v[0:1]
	s_and_saveexec_b64 s[0:1], vcc
	s_xor_b64 s[0:1], exec, s[0:1]
	s_cbranch_execz .LBB5224_79
; %bb.74:
	v_cmp_lt_i64_e32 vcc, 2, v[0:1]
	s_and_saveexec_b64 s[4:5], vcc
	s_xor_b64 s[4:5], exec, s[4:5]
	s_cbranch_execz .LBB5224_76
; %bb.75:
	ds_read_b64 v[0:1], v2 offset:3072
	v_mov_b32_e32 v2, 0
	s_waitcnt lgkmcnt(0)
	global_store_dwordx2 v2, v[0:1], s[2:3]
                                        ; implicit-def: $vgpr2
.LBB5224_76:
	s_andn2_saveexec_b64 s[4:5], s[4:5]
	s_cbranch_execz .LBB5224_78
; %bb.77:
	ds_read_b64 v[0:1], v2 offset:2048
	v_mov_b32_e32 v2, 0
	s_waitcnt lgkmcnt(0)
	global_store_dwordx2 v2, v[0:1], s[2:3]
.LBB5224_78:
	s_or_b64 exec, exec, s[4:5]
                                        ; implicit-def: $vgpr2
                                        ; implicit-def: $vgpr0_vgpr1
.LBB5224_79:
	s_andn2_saveexec_b64 s[0:1], s[0:1]
	s_cbranch_execz .LBB5224_84
; %bb.80:
	v_cmp_ne_u64_e32 vcc, 1, v[0:1]
	s_and_saveexec_b64 s[0:1], vcc
	s_xor_b64 s[0:1], exec, s[0:1]
	s_cbranch_execz .LBB5224_82
; %bb.81:
	ds_read_b64 v[0:1], v2
	v_mov_b32_e32 v2, 0
	s_waitcnt lgkmcnt(0)
	global_store_dwordx2 v2, v[0:1], s[2:3]
                                        ; implicit-def: $vgpr2
.LBB5224_82:
	s_andn2_saveexec_b64 s[0:1], s[0:1]
	s_cbranch_execz .LBB5224_84
; %bb.83:
	ds_read_b64 v[0:1], v2 offset:1024
	v_mov_b32_e32 v2, 0
	s_waitcnt lgkmcnt(0)
	global_store_dwordx2 v2, v[0:1], s[2:3]
.LBB5224_84:
	s_endpgm
	.section	.rodata,"a",@progbits
	.p2align	6, 0x0
	.amdhsa_kernel _ZN7rocprim17ROCPRIM_400000_NS6detail17trampoline_kernelINS0_14default_configENS1_20scan_config_selectorIyEEZZNS1_9scan_implILNS1_25lookback_scan_determinismE0ELb1ELb1ES3_N6thrust23THRUST_200600_302600_NS6detail15normal_iteratorINS9_10device_ptrIyEEEENS9_16discard_iteratorINS9_11use_defaultEEEyNS9_4plusIvEEyEEDaPvRmT3_T4_T5_mT6_P12ihipStream_tbENKUlT_T0_E_clISt17integral_constantIbLb0EESX_EEDaSS_ST_EUlSS_E_NS1_11comp_targetILNS1_3genE4ELNS1_11target_archE910ELNS1_3gpuE8ELNS1_3repE0EEENS1_30default_config_static_selectorELNS0_4arch9wavefront6targetE1EEEvT1_
		.amdhsa_group_segment_fixed_size 7168
		.amdhsa_private_segment_fixed_size 0
		.amdhsa_kernarg_size 112
		.amdhsa_user_sgpr_count 6
		.amdhsa_user_sgpr_private_segment_buffer 1
		.amdhsa_user_sgpr_dispatch_ptr 0
		.amdhsa_user_sgpr_queue_ptr 0
		.amdhsa_user_sgpr_kernarg_segment_ptr 1
		.amdhsa_user_sgpr_dispatch_id 0
		.amdhsa_user_sgpr_flat_scratch_init 0
		.amdhsa_user_sgpr_kernarg_preload_length 0
		.amdhsa_user_sgpr_kernarg_preload_offset 0
		.amdhsa_user_sgpr_private_segment_size 0
		.amdhsa_uses_dynamic_stack 0
		.amdhsa_system_sgpr_private_segment_wavefront_offset 0
		.amdhsa_system_sgpr_workgroup_id_x 1
		.amdhsa_system_sgpr_workgroup_id_y 0
		.amdhsa_system_sgpr_workgroup_id_z 0
		.amdhsa_system_sgpr_workgroup_info 0
		.amdhsa_system_vgpr_workitem_id 0
		.amdhsa_next_free_vgpr 50
		.amdhsa_next_free_sgpr 26
		.amdhsa_accum_offset 52
		.amdhsa_reserve_vcc 1
		.amdhsa_reserve_flat_scratch 0
		.amdhsa_float_round_mode_32 0
		.amdhsa_float_round_mode_16_64 0
		.amdhsa_float_denorm_mode_32 3
		.amdhsa_float_denorm_mode_16_64 3
		.amdhsa_dx10_clamp 1
		.amdhsa_ieee_mode 1
		.amdhsa_fp16_overflow 0
		.amdhsa_tg_split 0
		.amdhsa_exception_fp_ieee_invalid_op 0
		.amdhsa_exception_fp_denorm_src 0
		.amdhsa_exception_fp_ieee_div_zero 0
		.amdhsa_exception_fp_ieee_overflow 0
		.amdhsa_exception_fp_ieee_underflow 0
		.amdhsa_exception_fp_ieee_inexact 0
		.amdhsa_exception_int_div_zero 0
	.end_amdhsa_kernel
	.section	.text._ZN7rocprim17ROCPRIM_400000_NS6detail17trampoline_kernelINS0_14default_configENS1_20scan_config_selectorIyEEZZNS1_9scan_implILNS1_25lookback_scan_determinismE0ELb1ELb1ES3_N6thrust23THRUST_200600_302600_NS6detail15normal_iteratorINS9_10device_ptrIyEEEENS9_16discard_iteratorINS9_11use_defaultEEEyNS9_4plusIvEEyEEDaPvRmT3_T4_T5_mT6_P12ihipStream_tbENKUlT_T0_E_clISt17integral_constantIbLb0EESX_EEDaSS_ST_EUlSS_E_NS1_11comp_targetILNS1_3genE4ELNS1_11target_archE910ELNS1_3gpuE8ELNS1_3repE0EEENS1_30default_config_static_selectorELNS0_4arch9wavefront6targetE1EEEvT1_,"axG",@progbits,_ZN7rocprim17ROCPRIM_400000_NS6detail17trampoline_kernelINS0_14default_configENS1_20scan_config_selectorIyEEZZNS1_9scan_implILNS1_25lookback_scan_determinismE0ELb1ELb1ES3_N6thrust23THRUST_200600_302600_NS6detail15normal_iteratorINS9_10device_ptrIyEEEENS9_16discard_iteratorINS9_11use_defaultEEEyNS9_4plusIvEEyEEDaPvRmT3_T4_T5_mT6_P12ihipStream_tbENKUlT_T0_E_clISt17integral_constantIbLb0EESX_EEDaSS_ST_EUlSS_E_NS1_11comp_targetILNS1_3genE4ELNS1_11target_archE910ELNS1_3gpuE8ELNS1_3repE0EEENS1_30default_config_static_selectorELNS0_4arch9wavefront6targetE1EEEvT1_,comdat
.Lfunc_end5224:
	.size	_ZN7rocprim17ROCPRIM_400000_NS6detail17trampoline_kernelINS0_14default_configENS1_20scan_config_selectorIyEEZZNS1_9scan_implILNS1_25lookback_scan_determinismE0ELb1ELb1ES3_N6thrust23THRUST_200600_302600_NS6detail15normal_iteratorINS9_10device_ptrIyEEEENS9_16discard_iteratorINS9_11use_defaultEEEyNS9_4plusIvEEyEEDaPvRmT3_T4_T5_mT6_P12ihipStream_tbENKUlT_T0_E_clISt17integral_constantIbLb0EESX_EEDaSS_ST_EUlSS_E_NS1_11comp_targetILNS1_3genE4ELNS1_11target_archE910ELNS1_3gpuE8ELNS1_3repE0EEENS1_30default_config_static_selectorELNS0_4arch9wavefront6targetE1EEEvT1_, .Lfunc_end5224-_ZN7rocprim17ROCPRIM_400000_NS6detail17trampoline_kernelINS0_14default_configENS1_20scan_config_selectorIyEEZZNS1_9scan_implILNS1_25lookback_scan_determinismE0ELb1ELb1ES3_N6thrust23THRUST_200600_302600_NS6detail15normal_iteratorINS9_10device_ptrIyEEEENS9_16discard_iteratorINS9_11use_defaultEEEyNS9_4plusIvEEyEEDaPvRmT3_T4_T5_mT6_P12ihipStream_tbENKUlT_T0_E_clISt17integral_constantIbLb0EESX_EEDaSS_ST_EUlSS_E_NS1_11comp_targetILNS1_3genE4ELNS1_11target_archE910ELNS1_3gpuE8ELNS1_3repE0EEENS1_30default_config_static_selectorELNS0_4arch9wavefront6targetE1EEEvT1_
                                        ; -- End function
	.section	.AMDGPU.csdata,"",@progbits
; Kernel info:
; codeLenInByte = 5196
; NumSgprs: 30
; NumVgprs: 50
; NumAgprs: 0
; TotalNumVgprs: 50
; ScratchSize: 0
; MemoryBound: 0
; FloatMode: 240
; IeeeMode: 1
; LDSByteSize: 7168 bytes/workgroup (compile time only)
; SGPRBlocks: 3
; VGPRBlocks: 6
; NumSGPRsForWavesPerEU: 30
; NumVGPRsForWavesPerEU: 50
; AccumOffset: 52
; Occupancy: 5
; WaveLimiterHint : 1
; COMPUTE_PGM_RSRC2:SCRATCH_EN: 0
; COMPUTE_PGM_RSRC2:USER_SGPR: 6
; COMPUTE_PGM_RSRC2:TRAP_HANDLER: 0
; COMPUTE_PGM_RSRC2:TGID_X_EN: 1
; COMPUTE_PGM_RSRC2:TGID_Y_EN: 0
; COMPUTE_PGM_RSRC2:TGID_Z_EN: 0
; COMPUTE_PGM_RSRC2:TIDIG_COMP_CNT: 0
; COMPUTE_PGM_RSRC3_GFX90A:ACCUM_OFFSET: 12
; COMPUTE_PGM_RSRC3_GFX90A:TG_SPLIT: 0
	.section	.text._ZN7rocprim17ROCPRIM_400000_NS6detail17trampoline_kernelINS0_14default_configENS1_20scan_config_selectorIyEEZZNS1_9scan_implILNS1_25lookback_scan_determinismE0ELb1ELb1ES3_N6thrust23THRUST_200600_302600_NS6detail15normal_iteratorINS9_10device_ptrIyEEEENS9_16discard_iteratorINS9_11use_defaultEEEyNS9_4plusIvEEyEEDaPvRmT3_T4_T5_mT6_P12ihipStream_tbENKUlT_T0_E_clISt17integral_constantIbLb0EESX_EEDaSS_ST_EUlSS_E_NS1_11comp_targetILNS1_3genE3ELNS1_11target_archE908ELNS1_3gpuE7ELNS1_3repE0EEENS1_30default_config_static_selectorELNS0_4arch9wavefront6targetE1EEEvT1_,"axG",@progbits,_ZN7rocprim17ROCPRIM_400000_NS6detail17trampoline_kernelINS0_14default_configENS1_20scan_config_selectorIyEEZZNS1_9scan_implILNS1_25lookback_scan_determinismE0ELb1ELb1ES3_N6thrust23THRUST_200600_302600_NS6detail15normal_iteratorINS9_10device_ptrIyEEEENS9_16discard_iteratorINS9_11use_defaultEEEyNS9_4plusIvEEyEEDaPvRmT3_T4_T5_mT6_P12ihipStream_tbENKUlT_T0_E_clISt17integral_constantIbLb0EESX_EEDaSS_ST_EUlSS_E_NS1_11comp_targetILNS1_3genE3ELNS1_11target_archE908ELNS1_3gpuE7ELNS1_3repE0EEENS1_30default_config_static_selectorELNS0_4arch9wavefront6targetE1EEEvT1_,comdat
	.protected	_ZN7rocprim17ROCPRIM_400000_NS6detail17trampoline_kernelINS0_14default_configENS1_20scan_config_selectorIyEEZZNS1_9scan_implILNS1_25lookback_scan_determinismE0ELb1ELb1ES3_N6thrust23THRUST_200600_302600_NS6detail15normal_iteratorINS9_10device_ptrIyEEEENS9_16discard_iteratorINS9_11use_defaultEEEyNS9_4plusIvEEyEEDaPvRmT3_T4_T5_mT6_P12ihipStream_tbENKUlT_T0_E_clISt17integral_constantIbLb0EESX_EEDaSS_ST_EUlSS_E_NS1_11comp_targetILNS1_3genE3ELNS1_11target_archE908ELNS1_3gpuE7ELNS1_3repE0EEENS1_30default_config_static_selectorELNS0_4arch9wavefront6targetE1EEEvT1_ ; -- Begin function _ZN7rocprim17ROCPRIM_400000_NS6detail17trampoline_kernelINS0_14default_configENS1_20scan_config_selectorIyEEZZNS1_9scan_implILNS1_25lookback_scan_determinismE0ELb1ELb1ES3_N6thrust23THRUST_200600_302600_NS6detail15normal_iteratorINS9_10device_ptrIyEEEENS9_16discard_iteratorINS9_11use_defaultEEEyNS9_4plusIvEEyEEDaPvRmT3_T4_T5_mT6_P12ihipStream_tbENKUlT_T0_E_clISt17integral_constantIbLb0EESX_EEDaSS_ST_EUlSS_E_NS1_11comp_targetILNS1_3genE3ELNS1_11target_archE908ELNS1_3gpuE7ELNS1_3repE0EEENS1_30default_config_static_selectorELNS0_4arch9wavefront6targetE1EEEvT1_
	.globl	_ZN7rocprim17ROCPRIM_400000_NS6detail17trampoline_kernelINS0_14default_configENS1_20scan_config_selectorIyEEZZNS1_9scan_implILNS1_25lookback_scan_determinismE0ELb1ELb1ES3_N6thrust23THRUST_200600_302600_NS6detail15normal_iteratorINS9_10device_ptrIyEEEENS9_16discard_iteratorINS9_11use_defaultEEEyNS9_4plusIvEEyEEDaPvRmT3_T4_T5_mT6_P12ihipStream_tbENKUlT_T0_E_clISt17integral_constantIbLb0EESX_EEDaSS_ST_EUlSS_E_NS1_11comp_targetILNS1_3genE3ELNS1_11target_archE908ELNS1_3gpuE7ELNS1_3repE0EEENS1_30default_config_static_selectorELNS0_4arch9wavefront6targetE1EEEvT1_
	.p2align	8
	.type	_ZN7rocprim17ROCPRIM_400000_NS6detail17trampoline_kernelINS0_14default_configENS1_20scan_config_selectorIyEEZZNS1_9scan_implILNS1_25lookback_scan_determinismE0ELb1ELb1ES3_N6thrust23THRUST_200600_302600_NS6detail15normal_iteratorINS9_10device_ptrIyEEEENS9_16discard_iteratorINS9_11use_defaultEEEyNS9_4plusIvEEyEEDaPvRmT3_T4_T5_mT6_P12ihipStream_tbENKUlT_T0_E_clISt17integral_constantIbLb0EESX_EEDaSS_ST_EUlSS_E_NS1_11comp_targetILNS1_3genE3ELNS1_11target_archE908ELNS1_3gpuE7ELNS1_3repE0EEENS1_30default_config_static_selectorELNS0_4arch9wavefront6targetE1EEEvT1_,@function
_ZN7rocprim17ROCPRIM_400000_NS6detail17trampoline_kernelINS0_14default_configENS1_20scan_config_selectorIyEEZZNS1_9scan_implILNS1_25lookback_scan_determinismE0ELb1ELb1ES3_N6thrust23THRUST_200600_302600_NS6detail15normal_iteratorINS9_10device_ptrIyEEEENS9_16discard_iteratorINS9_11use_defaultEEEyNS9_4plusIvEEyEEDaPvRmT3_T4_T5_mT6_P12ihipStream_tbENKUlT_T0_E_clISt17integral_constantIbLb0EESX_EEDaSS_ST_EUlSS_E_NS1_11comp_targetILNS1_3genE3ELNS1_11target_archE908ELNS1_3gpuE7ELNS1_3repE0EEENS1_30default_config_static_selectorELNS0_4arch9wavefront6targetE1EEEvT1_: ; @_ZN7rocprim17ROCPRIM_400000_NS6detail17trampoline_kernelINS0_14default_configENS1_20scan_config_selectorIyEEZZNS1_9scan_implILNS1_25lookback_scan_determinismE0ELb1ELb1ES3_N6thrust23THRUST_200600_302600_NS6detail15normal_iteratorINS9_10device_ptrIyEEEENS9_16discard_iteratorINS9_11use_defaultEEEyNS9_4plusIvEEyEEDaPvRmT3_T4_T5_mT6_P12ihipStream_tbENKUlT_T0_E_clISt17integral_constantIbLb0EESX_EEDaSS_ST_EUlSS_E_NS1_11comp_targetILNS1_3genE3ELNS1_11target_archE908ELNS1_3gpuE7ELNS1_3repE0EEENS1_30default_config_static_selectorELNS0_4arch9wavefront6targetE1EEEvT1_
; %bb.0:
	.section	.rodata,"a",@progbits
	.p2align	6, 0x0
	.amdhsa_kernel _ZN7rocprim17ROCPRIM_400000_NS6detail17trampoline_kernelINS0_14default_configENS1_20scan_config_selectorIyEEZZNS1_9scan_implILNS1_25lookback_scan_determinismE0ELb1ELb1ES3_N6thrust23THRUST_200600_302600_NS6detail15normal_iteratorINS9_10device_ptrIyEEEENS9_16discard_iteratorINS9_11use_defaultEEEyNS9_4plusIvEEyEEDaPvRmT3_T4_T5_mT6_P12ihipStream_tbENKUlT_T0_E_clISt17integral_constantIbLb0EESX_EEDaSS_ST_EUlSS_E_NS1_11comp_targetILNS1_3genE3ELNS1_11target_archE908ELNS1_3gpuE7ELNS1_3repE0EEENS1_30default_config_static_selectorELNS0_4arch9wavefront6targetE1EEEvT1_
		.amdhsa_group_segment_fixed_size 0
		.amdhsa_private_segment_fixed_size 0
		.amdhsa_kernarg_size 112
		.amdhsa_user_sgpr_count 6
		.amdhsa_user_sgpr_private_segment_buffer 1
		.amdhsa_user_sgpr_dispatch_ptr 0
		.amdhsa_user_sgpr_queue_ptr 0
		.amdhsa_user_sgpr_kernarg_segment_ptr 1
		.amdhsa_user_sgpr_dispatch_id 0
		.amdhsa_user_sgpr_flat_scratch_init 0
		.amdhsa_user_sgpr_kernarg_preload_length 0
		.amdhsa_user_sgpr_kernarg_preload_offset 0
		.amdhsa_user_sgpr_private_segment_size 0
		.amdhsa_uses_dynamic_stack 0
		.amdhsa_system_sgpr_private_segment_wavefront_offset 0
		.amdhsa_system_sgpr_workgroup_id_x 1
		.amdhsa_system_sgpr_workgroup_id_y 0
		.amdhsa_system_sgpr_workgroup_id_z 0
		.amdhsa_system_sgpr_workgroup_info 0
		.amdhsa_system_vgpr_workitem_id 0
		.amdhsa_next_free_vgpr 1
		.amdhsa_next_free_sgpr 0
		.amdhsa_accum_offset 4
		.amdhsa_reserve_vcc 0
		.amdhsa_reserve_flat_scratch 0
		.amdhsa_float_round_mode_32 0
		.amdhsa_float_round_mode_16_64 0
		.amdhsa_float_denorm_mode_32 3
		.amdhsa_float_denorm_mode_16_64 3
		.amdhsa_dx10_clamp 1
		.amdhsa_ieee_mode 1
		.amdhsa_fp16_overflow 0
		.amdhsa_tg_split 0
		.amdhsa_exception_fp_ieee_invalid_op 0
		.amdhsa_exception_fp_denorm_src 0
		.amdhsa_exception_fp_ieee_div_zero 0
		.amdhsa_exception_fp_ieee_overflow 0
		.amdhsa_exception_fp_ieee_underflow 0
		.amdhsa_exception_fp_ieee_inexact 0
		.amdhsa_exception_int_div_zero 0
	.end_amdhsa_kernel
	.section	.text._ZN7rocprim17ROCPRIM_400000_NS6detail17trampoline_kernelINS0_14default_configENS1_20scan_config_selectorIyEEZZNS1_9scan_implILNS1_25lookback_scan_determinismE0ELb1ELb1ES3_N6thrust23THRUST_200600_302600_NS6detail15normal_iteratorINS9_10device_ptrIyEEEENS9_16discard_iteratorINS9_11use_defaultEEEyNS9_4plusIvEEyEEDaPvRmT3_T4_T5_mT6_P12ihipStream_tbENKUlT_T0_E_clISt17integral_constantIbLb0EESX_EEDaSS_ST_EUlSS_E_NS1_11comp_targetILNS1_3genE3ELNS1_11target_archE908ELNS1_3gpuE7ELNS1_3repE0EEENS1_30default_config_static_selectorELNS0_4arch9wavefront6targetE1EEEvT1_,"axG",@progbits,_ZN7rocprim17ROCPRIM_400000_NS6detail17trampoline_kernelINS0_14default_configENS1_20scan_config_selectorIyEEZZNS1_9scan_implILNS1_25lookback_scan_determinismE0ELb1ELb1ES3_N6thrust23THRUST_200600_302600_NS6detail15normal_iteratorINS9_10device_ptrIyEEEENS9_16discard_iteratorINS9_11use_defaultEEEyNS9_4plusIvEEyEEDaPvRmT3_T4_T5_mT6_P12ihipStream_tbENKUlT_T0_E_clISt17integral_constantIbLb0EESX_EEDaSS_ST_EUlSS_E_NS1_11comp_targetILNS1_3genE3ELNS1_11target_archE908ELNS1_3gpuE7ELNS1_3repE0EEENS1_30default_config_static_selectorELNS0_4arch9wavefront6targetE1EEEvT1_,comdat
.Lfunc_end5225:
	.size	_ZN7rocprim17ROCPRIM_400000_NS6detail17trampoline_kernelINS0_14default_configENS1_20scan_config_selectorIyEEZZNS1_9scan_implILNS1_25lookback_scan_determinismE0ELb1ELb1ES3_N6thrust23THRUST_200600_302600_NS6detail15normal_iteratorINS9_10device_ptrIyEEEENS9_16discard_iteratorINS9_11use_defaultEEEyNS9_4plusIvEEyEEDaPvRmT3_T4_T5_mT6_P12ihipStream_tbENKUlT_T0_E_clISt17integral_constantIbLb0EESX_EEDaSS_ST_EUlSS_E_NS1_11comp_targetILNS1_3genE3ELNS1_11target_archE908ELNS1_3gpuE7ELNS1_3repE0EEENS1_30default_config_static_selectorELNS0_4arch9wavefront6targetE1EEEvT1_, .Lfunc_end5225-_ZN7rocprim17ROCPRIM_400000_NS6detail17trampoline_kernelINS0_14default_configENS1_20scan_config_selectorIyEEZZNS1_9scan_implILNS1_25lookback_scan_determinismE0ELb1ELb1ES3_N6thrust23THRUST_200600_302600_NS6detail15normal_iteratorINS9_10device_ptrIyEEEENS9_16discard_iteratorINS9_11use_defaultEEEyNS9_4plusIvEEyEEDaPvRmT3_T4_T5_mT6_P12ihipStream_tbENKUlT_T0_E_clISt17integral_constantIbLb0EESX_EEDaSS_ST_EUlSS_E_NS1_11comp_targetILNS1_3genE3ELNS1_11target_archE908ELNS1_3gpuE7ELNS1_3repE0EEENS1_30default_config_static_selectorELNS0_4arch9wavefront6targetE1EEEvT1_
                                        ; -- End function
	.section	.AMDGPU.csdata,"",@progbits
; Kernel info:
; codeLenInByte = 0
; NumSgprs: 4
; NumVgprs: 0
; NumAgprs: 0
; TotalNumVgprs: 0
; ScratchSize: 0
; MemoryBound: 0
; FloatMode: 240
; IeeeMode: 1
; LDSByteSize: 0 bytes/workgroup (compile time only)
; SGPRBlocks: 0
; VGPRBlocks: 0
; NumSGPRsForWavesPerEU: 4
; NumVGPRsForWavesPerEU: 1
; AccumOffset: 4
; Occupancy: 8
; WaveLimiterHint : 0
; COMPUTE_PGM_RSRC2:SCRATCH_EN: 0
; COMPUTE_PGM_RSRC2:USER_SGPR: 6
; COMPUTE_PGM_RSRC2:TRAP_HANDLER: 0
; COMPUTE_PGM_RSRC2:TGID_X_EN: 1
; COMPUTE_PGM_RSRC2:TGID_Y_EN: 0
; COMPUTE_PGM_RSRC2:TGID_Z_EN: 0
; COMPUTE_PGM_RSRC2:TIDIG_COMP_CNT: 0
; COMPUTE_PGM_RSRC3_GFX90A:ACCUM_OFFSET: 0
; COMPUTE_PGM_RSRC3_GFX90A:TG_SPLIT: 0
	.section	.text._ZN7rocprim17ROCPRIM_400000_NS6detail17trampoline_kernelINS0_14default_configENS1_20scan_config_selectorIyEEZZNS1_9scan_implILNS1_25lookback_scan_determinismE0ELb1ELb1ES3_N6thrust23THRUST_200600_302600_NS6detail15normal_iteratorINS9_10device_ptrIyEEEENS9_16discard_iteratorINS9_11use_defaultEEEyNS9_4plusIvEEyEEDaPvRmT3_T4_T5_mT6_P12ihipStream_tbENKUlT_T0_E_clISt17integral_constantIbLb0EESX_EEDaSS_ST_EUlSS_E_NS1_11comp_targetILNS1_3genE2ELNS1_11target_archE906ELNS1_3gpuE6ELNS1_3repE0EEENS1_30default_config_static_selectorELNS0_4arch9wavefront6targetE1EEEvT1_,"axG",@progbits,_ZN7rocprim17ROCPRIM_400000_NS6detail17trampoline_kernelINS0_14default_configENS1_20scan_config_selectorIyEEZZNS1_9scan_implILNS1_25lookback_scan_determinismE0ELb1ELb1ES3_N6thrust23THRUST_200600_302600_NS6detail15normal_iteratorINS9_10device_ptrIyEEEENS9_16discard_iteratorINS9_11use_defaultEEEyNS9_4plusIvEEyEEDaPvRmT3_T4_T5_mT6_P12ihipStream_tbENKUlT_T0_E_clISt17integral_constantIbLb0EESX_EEDaSS_ST_EUlSS_E_NS1_11comp_targetILNS1_3genE2ELNS1_11target_archE906ELNS1_3gpuE6ELNS1_3repE0EEENS1_30default_config_static_selectorELNS0_4arch9wavefront6targetE1EEEvT1_,comdat
	.protected	_ZN7rocprim17ROCPRIM_400000_NS6detail17trampoline_kernelINS0_14default_configENS1_20scan_config_selectorIyEEZZNS1_9scan_implILNS1_25lookback_scan_determinismE0ELb1ELb1ES3_N6thrust23THRUST_200600_302600_NS6detail15normal_iteratorINS9_10device_ptrIyEEEENS9_16discard_iteratorINS9_11use_defaultEEEyNS9_4plusIvEEyEEDaPvRmT3_T4_T5_mT6_P12ihipStream_tbENKUlT_T0_E_clISt17integral_constantIbLb0EESX_EEDaSS_ST_EUlSS_E_NS1_11comp_targetILNS1_3genE2ELNS1_11target_archE906ELNS1_3gpuE6ELNS1_3repE0EEENS1_30default_config_static_selectorELNS0_4arch9wavefront6targetE1EEEvT1_ ; -- Begin function _ZN7rocprim17ROCPRIM_400000_NS6detail17trampoline_kernelINS0_14default_configENS1_20scan_config_selectorIyEEZZNS1_9scan_implILNS1_25lookback_scan_determinismE0ELb1ELb1ES3_N6thrust23THRUST_200600_302600_NS6detail15normal_iteratorINS9_10device_ptrIyEEEENS9_16discard_iteratorINS9_11use_defaultEEEyNS9_4plusIvEEyEEDaPvRmT3_T4_T5_mT6_P12ihipStream_tbENKUlT_T0_E_clISt17integral_constantIbLb0EESX_EEDaSS_ST_EUlSS_E_NS1_11comp_targetILNS1_3genE2ELNS1_11target_archE906ELNS1_3gpuE6ELNS1_3repE0EEENS1_30default_config_static_selectorELNS0_4arch9wavefront6targetE1EEEvT1_
	.globl	_ZN7rocprim17ROCPRIM_400000_NS6detail17trampoline_kernelINS0_14default_configENS1_20scan_config_selectorIyEEZZNS1_9scan_implILNS1_25lookback_scan_determinismE0ELb1ELb1ES3_N6thrust23THRUST_200600_302600_NS6detail15normal_iteratorINS9_10device_ptrIyEEEENS9_16discard_iteratorINS9_11use_defaultEEEyNS9_4plusIvEEyEEDaPvRmT3_T4_T5_mT6_P12ihipStream_tbENKUlT_T0_E_clISt17integral_constantIbLb0EESX_EEDaSS_ST_EUlSS_E_NS1_11comp_targetILNS1_3genE2ELNS1_11target_archE906ELNS1_3gpuE6ELNS1_3repE0EEENS1_30default_config_static_selectorELNS0_4arch9wavefront6targetE1EEEvT1_
	.p2align	8
	.type	_ZN7rocprim17ROCPRIM_400000_NS6detail17trampoline_kernelINS0_14default_configENS1_20scan_config_selectorIyEEZZNS1_9scan_implILNS1_25lookback_scan_determinismE0ELb1ELb1ES3_N6thrust23THRUST_200600_302600_NS6detail15normal_iteratorINS9_10device_ptrIyEEEENS9_16discard_iteratorINS9_11use_defaultEEEyNS9_4plusIvEEyEEDaPvRmT3_T4_T5_mT6_P12ihipStream_tbENKUlT_T0_E_clISt17integral_constantIbLb0EESX_EEDaSS_ST_EUlSS_E_NS1_11comp_targetILNS1_3genE2ELNS1_11target_archE906ELNS1_3gpuE6ELNS1_3repE0EEENS1_30default_config_static_selectorELNS0_4arch9wavefront6targetE1EEEvT1_,@function
_ZN7rocprim17ROCPRIM_400000_NS6detail17trampoline_kernelINS0_14default_configENS1_20scan_config_selectorIyEEZZNS1_9scan_implILNS1_25lookback_scan_determinismE0ELb1ELb1ES3_N6thrust23THRUST_200600_302600_NS6detail15normal_iteratorINS9_10device_ptrIyEEEENS9_16discard_iteratorINS9_11use_defaultEEEyNS9_4plusIvEEyEEDaPvRmT3_T4_T5_mT6_P12ihipStream_tbENKUlT_T0_E_clISt17integral_constantIbLb0EESX_EEDaSS_ST_EUlSS_E_NS1_11comp_targetILNS1_3genE2ELNS1_11target_archE906ELNS1_3gpuE6ELNS1_3repE0EEENS1_30default_config_static_selectorELNS0_4arch9wavefront6targetE1EEEvT1_: ; @_ZN7rocprim17ROCPRIM_400000_NS6detail17trampoline_kernelINS0_14default_configENS1_20scan_config_selectorIyEEZZNS1_9scan_implILNS1_25lookback_scan_determinismE0ELb1ELb1ES3_N6thrust23THRUST_200600_302600_NS6detail15normal_iteratorINS9_10device_ptrIyEEEENS9_16discard_iteratorINS9_11use_defaultEEEyNS9_4plusIvEEyEEDaPvRmT3_T4_T5_mT6_P12ihipStream_tbENKUlT_T0_E_clISt17integral_constantIbLb0EESX_EEDaSS_ST_EUlSS_E_NS1_11comp_targetILNS1_3genE2ELNS1_11target_archE906ELNS1_3gpuE6ELNS1_3repE0EEENS1_30default_config_static_selectorELNS0_4arch9wavefront6targetE1EEEvT1_
; %bb.0:
	.section	.rodata,"a",@progbits
	.p2align	6, 0x0
	.amdhsa_kernel _ZN7rocprim17ROCPRIM_400000_NS6detail17trampoline_kernelINS0_14default_configENS1_20scan_config_selectorIyEEZZNS1_9scan_implILNS1_25lookback_scan_determinismE0ELb1ELb1ES3_N6thrust23THRUST_200600_302600_NS6detail15normal_iteratorINS9_10device_ptrIyEEEENS9_16discard_iteratorINS9_11use_defaultEEEyNS9_4plusIvEEyEEDaPvRmT3_T4_T5_mT6_P12ihipStream_tbENKUlT_T0_E_clISt17integral_constantIbLb0EESX_EEDaSS_ST_EUlSS_E_NS1_11comp_targetILNS1_3genE2ELNS1_11target_archE906ELNS1_3gpuE6ELNS1_3repE0EEENS1_30default_config_static_selectorELNS0_4arch9wavefront6targetE1EEEvT1_
		.amdhsa_group_segment_fixed_size 0
		.amdhsa_private_segment_fixed_size 0
		.amdhsa_kernarg_size 112
		.amdhsa_user_sgpr_count 6
		.amdhsa_user_sgpr_private_segment_buffer 1
		.amdhsa_user_sgpr_dispatch_ptr 0
		.amdhsa_user_sgpr_queue_ptr 0
		.amdhsa_user_sgpr_kernarg_segment_ptr 1
		.amdhsa_user_sgpr_dispatch_id 0
		.amdhsa_user_sgpr_flat_scratch_init 0
		.amdhsa_user_sgpr_kernarg_preload_length 0
		.amdhsa_user_sgpr_kernarg_preload_offset 0
		.amdhsa_user_sgpr_private_segment_size 0
		.amdhsa_uses_dynamic_stack 0
		.amdhsa_system_sgpr_private_segment_wavefront_offset 0
		.amdhsa_system_sgpr_workgroup_id_x 1
		.amdhsa_system_sgpr_workgroup_id_y 0
		.amdhsa_system_sgpr_workgroup_id_z 0
		.amdhsa_system_sgpr_workgroup_info 0
		.amdhsa_system_vgpr_workitem_id 0
		.amdhsa_next_free_vgpr 1
		.amdhsa_next_free_sgpr 0
		.amdhsa_accum_offset 4
		.amdhsa_reserve_vcc 0
		.amdhsa_reserve_flat_scratch 0
		.amdhsa_float_round_mode_32 0
		.amdhsa_float_round_mode_16_64 0
		.amdhsa_float_denorm_mode_32 3
		.amdhsa_float_denorm_mode_16_64 3
		.amdhsa_dx10_clamp 1
		.amdhsa_ieee_mode 1
		.amdhsa_fp16_overflow 0
		.amdhsa_tg_split 0
		.amdhsa_exception_fp_ieee_invalid_op 0
		.amdhsa_exception_fp_denorm_src 0
		.amdhsa_exception_fp_ieee_div_zero 0
		.amdhsa_exception_fp_ieee_overflow 0
		.amdhsa_exception_fp_ieee_underflow 0
		.amdhsa_exception_fp_ieee_inexact 0
		.amdhsa_exception_int_div_zero 0
	.end_amdhsa_kernel
	.section	.text._ZN7rocprim17ROCPRIM_400000_NS6detail17trampoline_kernelINS0_14default_configENS1_20scan_config_selectorIyEEZZNS1_9scan_implILNS1_25lookback_scan_determinismE0ELb1ELb1ES3_N6thrust23THRUST_200600_302600_NS6detail15normal_iteratorINS9_10device_ptrIyEEEENS9_16discard_iteratorINS9_11use_defaultEEEyNS9_4plusIvEEyEEDaPvRmT3_T4_T5_mT6_P12ihipStream_tbENKUlT_T0_E_clISt17integral_constantIbLb0EESX_EEDaSS_ST_EUlSS_E_NS1_11comp_targetILNS1_3genE2ELNS1_11target_archE906ELNS1_3gpuE6ELNS1_3repE0EEENS1_30default_config_static_selectorELNS0_4arch9wavefront6targetE1EEEvT1_,"axG",@progbits,_ZN7rocprim17ROCPRIM_400000_NS6detail17trampoline_kernelINS0_14default_configENS1_20scan_config_selectorIyEEZZNS1_9scan_implILNS1_25lookback_scan_determinismE0ELb1ELb1ES3_N6thrust23THRUST_200600_302600_NS6detail15normal_iteratorINS9_10device_ptrIyEEEENS9_16discard_iteratorINS9_11use_defaultEEEyNS9_4plusIvEEyEEDaPvRmT3_T4_T5_mT6_P12ihipStream_tbENKUlT_T0_E_clISt17integral_constantIbLb0EESX_EEDaSS_ST_EUlSS_E_NS1_11comp_targetILNS1_3genE2ELNS1_11target_archE906ELNS1_3gpuE6ELNS1_3repE0EEENS1_30default_config_static_selectorELNS0_4arch9wavefront6targetE1EEEvT1_,comdat
.Lfunc_end5226:
	.size	_ZN7rocprim17ROCPRIM_400000_NS6detail17trampoline_kernelINS0_14default_configENS1_20scan_config_selectorIyEEZZNS1_9scan_implILNS1_25lookback_scan_determinismE0ELb1ELb1ES3_N6thrust23THRUST_200600_302600_NS6detail15normal_iteratorINS9_10device_ptrIyEEEENS9_16discard_iteratorINS9_11use_defaultEEEyNS9_4plusIvEEyEEDaPvRmT3_T4_T5_mT6_P12ihipStream_tbENKUlT_T0_E_clISt17integral_constantIbLb0EESX_EEDaSS_ST_EUlSS_E_NS1_11comp_targetILNS1_3genE2ELNS1_11target_archE906ELNS1_3gpuE6ELNS1_3repE0EEENS1_30default_config_static_selectorELNS0_4arch9wavefront6targetE1EEEvT1_, .Lfunc_end5226-_ZN7rocprim17ROCPRIM_400000_NS6detail17trampoline_kernelINS0_14default_configENS1_20scan_config_selectorIyEEZZNS1_9scan_implILNS1_25lookback_scan_determinismE0ELb1ELb1ES3_N6thrust23THRUST_200600_302600_NS6detail15normal_iteratorINS9_10device_ptrIyEEEENS9_16discard_iteratorINS9_11use_defaultEEEyNS9_4plusIvEEyEEDaPvRmT3_T4_T5_mT6_P12ihipStream_tbENKUlT_T0_E_clISt17integral_constantIbLb0EESX_EEDaSS_ST_EUlSS_E_NS1_11comp_targetILNS1_3genE2ELNS1_11target_archE906ELNS1_3gpuE6ELNS1_3repE0EEENS1_30default_config_static_selectorELNS0_4arch9wavefront6targetE1EEEvT1_
                                        ; -- End function
	.section	.AMDGPU.csdata,"",@progbits
; Kernel info:
; codeLenInByte = 0
; NumSgprs: 4
; NumVgprs: 0
; NumAgprs: 0
; TotalNumVgprs: 0
; ScratchSize: 0
; MemoryBound: 0
; FloatMode: 240
; IeeeMode: 1
; LDSByteSize: 0 bytes/workgroup (compile time only)
; SGPRBlocks: 0
; VGPRBlocks: 0
; NumSGPRsForWavesPerEU: 4
; NumVGPRsForWavesPerEU: 1
; AccumOffset: 4
; Occupancy: 8
; WaveLimiterHint : 0
; COMPUTE_PGM_RSRC2:SCRATCH_EN: 0
; COMPUTE_PGM_RSRC2:USER_SGPR: 6
; COMPUTE_PGM_RSRC2:TRAP_HANDLER: 0
; COMPUTE_PGM_RSRC2:TGID_X_EN: 1
; COMPUTE_PGM_RSRC2:TGID_Y_EN: 0
; COMPUTE_PGM_RSRC2:TGID_Z_EN: 0
; COMPUTE_PGM_RSRC2:TIDIG_COMP_CNT: 0
; COMPUTE_PGM_RSRC3_GFX90A:ACCUM_OFFSET: 0
; COMPUTE_PGM_RSRC3_GFX90A:TG_SPLIT: 0
	.section	.text._ZN7rocprim17ROCPRIM_400000_NS6detail17trampoline_kernelINS0_14default_configENS1_20scan_config_selectorIyEEZZNS1_9scan_implILNS1_25lookback_scan_determinismE0ELb1ELb1ES3_N6thrust23THRUST_200600_302600_NS6detail15normal_iteratorINS9_10device_ptrIyEEEENS9_16discard_iteratorINS9_11use_defaultEEEyNS9_4plusIvEEyEEDaPvRmT3_T4_T5_mT6_P12ihipStream_tbENKUlT_T0_E_clISt17integral_constantIbLb0EESX_EEDaSS_ST_EUlSS_E_NS1_11comp_targetILNS1_3genE10ELNS1_11target_archE1201ELNS1_3gpuE5ELNS1_3repE0EEENS1_30default_config_static_selectorELNS0_4arch9wavefront6targetE1EEEvT1_,"axG",@progbits,_ZN7rocprim17ROCPRIM_400000_NS6detail17trampoline_kernelINS0_14default_configENS1_20scan_config_selectorIyEEZZNS1_9scan_implILNS1_25lookback_scan_determinismE0ELb1ELb1ES3_N6thrust23THRUST_200600_302600_NS6detail15normal_iteratorINS9_10device_ptrIyEEEENS9_16discard_iteratorINS9_11use_defaultEEEyNS9_4plusIvEEyEEDaPvRmT3_T4_T5_mT6_P12ihipStream_tbENKUlT_T0_E_clISt17integral_constantIbLb0EESX_EEDaSS_ST_EUlSS_E_NS1_11comp_targetILNS1_3genE10ELNS1_11target_archE1201ELNS1_3gpuE5ELNS1_3repE0EEENS1_30default_config_static_selectorELNS0_4arch9wavefront6targetE1EEEvT1_,comdat
	.protected	_ZN7rocprim17ROCPRIM_400000_NS6detail17trampoline_kernelINS0_14default_configENS1_20scan_config_selectorIyEEZZNS1_9scan_implILNS1_25lookback_scan_determinismE0ELb1ELb1ES3_N6thrust23THRUST_200600_302600_NS6detail15normal_iteratorINS9_10device_ptrIyEEEENS9_16discard_iteratorINS9_11use_defaultEEEyNS9_4plusIvEEyEEDaPvRmT3_T4_T5_mT6_P12ihipStream_tbENKUlT_T0_E_clISt17integral_constantIbLb0EESX_EEDaSS_ST_EUlSS_E_NS1_11comp_targetILNS1_3genE10ELNS1_11target_archE1201ELNS1_3gpuE5ELNS1_3repE0EEENS1_30default_config_static_selectorELNS0_4arch9wavefront6targetE1EEEvT1_ ; -- Begin function _ZN7rocprim17ROCPRIM_400000_NS6detail17trampoline_kernelINS0_14default_configENS1_20scan_config_selectorIyEEZZNS1_9scan_implILNS1_25lookback_scan_determinismE0ELb1ELb1ES3_N6thrust23THRUST_200600_302600_NS6detail15normal_iteratorINS9_10device_ptrIyEEEENS9_16discard_iteratorINS9_11use_defaultEEEyNS9_4plusIvEEyEEDaPvRmT3_T4_T5_mT6_P12ihipStream_tbENKUlT_T0_E_clISt17integral_constantIbLb0EESX_EEDaSS_ST_EUlSS_E_NS1_11comp_targetILNS1_3genE10ELNS1_11target_archE1201ELNS1_3gpuE5ELNS1_3repE0EEENS1_30default_config_static_selectorELNS0_4arch9wavefront6targetE1EEEvT1_
	.globl	_ZN7rocprim17ROCPRIM_400000_NS6detail17trampoline_kernelINS0_14default_configENS1_20scan_config_selectorIyEEZZNS1_9scan_implILNS1_25lookback_scan_determinismE0ELb1ELb1ES3_N6thrust23THRUST_200600_302600_NS6detail15normal_iteratorINS9_10device_ptrIyEEEENS9_16discard_iteratorINS9_11use_defaultEEEyNS9_4plusIvEEyEEDaPvRmT3_T4_T5_mT6_P12ihipStream_tbENKUlT_T0_E_clISt17integral_constantIbLb0EESX_EEDaSS_ST_EUlSS_E_NS1_11comp_targetILNS1_3genE10ELNS1_11target_archE1201ELNS1_3gpuE5ELNS1_3repE0EEENS1_30default_config_static_selectorELNS0_4arch9wavefront6targetE1EEEvT1_
	.p2align	8
	.type	_ZN7rocprim17ROCPRIM_400000_NS6detail17trampoline_kernelINS0_14default_configENS1_20scan_config_selectorIyEEZZNS1_9scan_implILNS1_25lookback_scan_determinismE0ELb1ELb1ES3_N6thrust23THRUST_200600_302600_NS6detail15normal_iteratorINS9_10device_ptrIyEEEENS9_16discard_iteratorINS9_11use_defaultEEEyNS9_4plusIvEEyEEDaPvRmT3_T4_T5_mT6_P12ihipStream_tbENKUlT_T0_E_clISt17integral_constantIbLb0EESX_EEDaSS_ST_EUlSS_E_NS1_11comp_targetILNS1_3genE10ELNS1_11target_archE1201ELNS1_3gpuE5ELNS1_3repE0EEENS1_30default_config_static_selectorELNS0_4arch9wavefront6targetE1EEEvT1_,@function
_ZN7rocprim17ROCPRIM_400000_NS6detail17trampoline_kernelINS0_14default_configENS1_20scan_config_selectorIyEEZZNS1_9scan_implILNS1_25lookback_scan_determinismE0ELb1ELb1ES3_N6thrust23THRUST_200600_302600_NS6detail15normal_iteratorINS9_10device_ptrIyEEEENS9_16discard_iteratorINS9_11use_defaultEEEyNS9_4plusIvEEyEEDaPvRmT3_T4_T5_mT6_P12ihipStream_tbENKUlT_T0_E_clISt17integral_constantIbLb0EESX_EEDaSS_ST_EUlSS_E_NS1_11comp_targetILNS1_3genE10ELNS1_11target_archE1201ELNS1_3gpuE5ELNS1_3repE0EEENS1_30default_config_static_selectorELNS0_4arch9wavefront6targetE1EEEvT1_: ; @_ZN7rocprim17ROCPRIM_400000_NS6detail17trampoline_kernelINS0_14default_configENS1_20scan_config_selectorIyEEZZNS1_9scan_implILNS1_25lookback_scan_determinismE0ELb1ELb1ES3_N6thrust23THRUST_200600_302600_NS6detail15normal_iteratorINS9_10device_ptrIyEEEENS9_16discard_iteratorINS9_11use_defaultEEEyNS9_4plusIvEEyEEDaPvRmT3_T4_T5_mT6_P12ihipStream_tbENKUlT_T0_E_clISt17integral_constantIbLb0EESX_EEDaSS_ST_EUlSS_E_NS1_11comp_targetILNS1_3genE10ELNS1_11target_archE1201ELNS1_3gpuE5ELNS1_3repE0EEENS1_30default_config_static_selectorELNS0_4arch9wavefront6targetE1EEEvT1_
; %bb.0:
	.section	.rodata,"a",@progbits
	.p2align	6, 0x0
	.amdhsa_kernel _ZN7rocprim17ROCPRIM_400000_NS6detail17trampoline_kernelINS0_14default_configENS1_20scan_config_selectorIyEEZZNS1_9scan_implILNS1_25lookback_scan_determinismE0ELb1ELb1ES3_N6thrust23THRUST_200600_302600_NS6detail15normal_iteratorINS9_10device_ptrIyEEEENS9_16discard_iteratorINS9_11use_defaultEEEyNS9_4plusIvEEyEEDaPvRmT3_T4_T5_mT6_P12ihipStream_tbENKUlT_T0_E_clISt17integral_constantIbLb0EESX_EEDaSS_ST_EUlSS_E_NS1_11comp_targetILNS1_3genE10ELNS1_11target_archE1201ELNS1_3gpuE5ELNS1_3repE0EEENS1_30default_config_static_selectorELNS0_4arch9wavefront6targetE1EEEvT1_
		.amdhsa_group_segment_fixed_size 0
		.amdhsa_private_segment_fixed_size 0
		.amdhsa_kernarg_size 112
		.amdhsa_user_sgpr_count 6
		.amdhsa_user_sgpr_private_segment_buffer 1
		.amdhsa_user_sgpr_dispatch_ptr 0
		.amdhsa_user_sgpr_queue_ptr 0
		.amdhsa_user_sgpr_kernarg_segment_ptr 1
		.amdhsa_user_sgpr_dispatch_id 0
		.amdhsa_user_sgpr_flat_scratch_init 0
		.amdhsa_user_sgpr_kernarg_preload_length 0
		.amdhsa_user_sgpr_kernarg_preload_offset 0
		.amdhsa_user_sgpr_private_segment_size 0
		.amdhsa_uses_dynamic_stack 0
		.amdhsa_system_sgpr_private_segment_wavefront_offset 0
		.amdhsa_system_sgpr_workgroup_id_x 1
		.amdhsa_system_sgpr_workgroup_id_y 0
		.amdhsa_system_sgpr_workgroup_id_z 0
		.amdhsa_system_sgpr_workgroup_info 0
		.amdhsa_system_vgpr_workitem_id 0
		.amdhsa_next_free_vgpr 1
		.amdhsa_next_free_sgpr 0
		.amdhsa_accum_offset 4
		.amdhsa_reserve_vcc 0
		.amdhsa_reserve_flat_scratch 0
		.amdhsa_float_round_mode_32 0
		.amdhsa_float_round_mode_16_64 0
		.amdhsa_float_denorm_mode_32 3
		.amdhsa_float_denorm_mode_16_64 3
		.amdhsa_dx10_clamp 1
		.amdhsa_ieee_mode 1
		.amdhsa_fp16_overflow 0
		.amdhsa_tg_split 0
		.amdhsa_exception_fp_ieee_invalid_op 0
		.amdhsa_exception_fp_denorm_src 0
		.amdhsa_exception_fp_ieee_div_zero 0
		.amdhsa_exception_fp_ieee_overflow 0
		.amdhsa_exception_fp_ieee_underflow 0
		.amdhsa_exception_fp_ieee_inexact 0
		.amdhsa_exception_int_div_zero 0
	.end_amdhsa_kernel
	.section	.text._ZN7rocprim17ROCPRIM_400000_NS6detail17trampoline_kernelINS0_14default_configENS1_20scan_config_selectorIyEEZZNS1_9scan_implILNS1_25lookback_scan_determinismE0ELb1ELb1ES3_N6thrust23THRUST_200600_302600_NS6detail15normal_iteratorINS9_10device_ptrIyEEEENS9_16discard_iteratorINS9_11use_defaultEEEyNS9_4plusIvEEyEEDaPvRmT3_T4_T5_mT6_P12ihipStream_tbENKUlT_T0_E_clISt17integral_constantIbLb0EESX_EEDaSS_ST_EUlSS_E_NS1_11comp_targetILNS1_3genE10ELNS1_11target_archE1201ELNS1_3gpuE5ELNS1_3repE0EEENS1_30default_config_static_selectorELNS0_4arch9wavefront6targetE1EEEvT1_,"axG",@progbits,_ZN7rocprim17ROCPRIM_400000_NS6detail17trampoline_kernelINS0_14default_configENS1_20scan_config_selectorIyEEZZNS1_9scan_implILNS1_25lookback_scan_determinismE0ELb1ELb1ES3_N6thrust23THRUST_200600_302600_NS6detail15normal_iteratorINS9_10device_ptrIyEEEENS9_16discard_iteratorINS9_11use_defaultEEEyNS9_4plusIvEEyEEDaPvRmT3_T4_T5_mT6_P12ihipStream_tbENKUlT_T0_E_clISt17integral_constantIbLb0EESX_EEDaSS_ST_EUlSS_E_NS1_11comp_targetILNS1_3genE10ELNS1_11target_archE1201ELNS1_3gpuE5ELNS1_3repE0EEENS1_30default_config_static_selectorELNS0_4arch9wavefront6targetE1EEEvT1_,comdat
.Lfunc_end5227:
	.size	_ZN7rocprim17ROCPRIM_400000_NS6detail17trampoline_kernelINS0_14default_configENS1_20scan_config_selectorIyEEZZNS1_9scan_implILNS1_25lookback_scan_determinismE0ELb1ELb1ES3_N6thrust23THRUST_200600_302600_NS6detail15normal_iteratorINS9_10device_ptrIyEEEENS9_16discard_iteratorINS9_11use_defaultEEEyNS9_4plusIvEEyEEDaPvRmT3_T4_T5_mT6_P12ihipStream_tbENKUlT_T0_E_clISt17integral_constantIbLb0EESX_EEDaSS_ST_EUlSS_E_NS1_11comp_targetILNS1_3genE10ELNS1_11target_archE1201ELNS1_3gpuE5ELNS1_3repE0EEENS1_30default_config_static_selectorELNS0_4arch9wavefront6targetE1EEEvT1_, .Lfunc_end5227-_ZN7rocprim17ROCPRIM_400000_NS6detail17trampoline_kernelINS0_14default_configENS1_20scan_config_selectorIyEEZZNS1_9scan_implILNS1_25lookback_scan_determinismE0ELb1ELb1ES3_N6thrust23THRUST_200600_302600_NS6detail15normal_iteratorINS9_10device_ptrIyEEEENS9_16discard_iteratorINS9_11use_defaultEEEyNS9_4plusIvEEyEEDaPvRmT3_T4_T5_mT6_P12ihipStream_tbENKUlT_T0_E_clISt17integral_constantIbLb0EESX_EEDaSS_ST_EUlSS_E_NS1_11comp_targetILNS1_3genE10ELNS1_11target_archE1201ELNS1_3gpuE5ELNS1_3repE0EEENS1_30default_config_static_selectorELNS0_4arch9wavefront6targetE1EEEvT1_
                                        ; -- End function
	.section	.AMDGPU.csdata,"",@progbits
; Kernel info:
; codeLenInByte = 0
; NumSgprs: 4
; NumVgprs: 0
; NumAgprs: 0
; TotalNumVgprs: 0
; ScratchSize: 0
; MemoryBound: 0
; FloatMode: 240
; IeeeMode: 1
; LDSByteSize: 0 bytes/workgroup (compile time only)
; SGPRBlocks: 0
; VGPRBlocks: 0
; NumSGPRsForWavesPerEU: 4
; NumVGPRsForWavesPerEU: 1
; AccumOffset: 4
; Occupancy: 8
; WaveLimiterHint : 0
; COMPUTE_PGM_RSRC2:SCRATCH_EN: 0
; COMPUTE_PGM_RSRC2:USER_SGPR: 6
; COMPUTE_PGM_RSRC2:TRAP_HANDLER: 0
; COMPUTE_PGM_RSRC2:TGID_X_EN: 1
; COMPUTE_PGM_RSRC2:TGID_Y_EN: 0
; COMPUTE_PGM_RSRC2:TGID_Z_EN: 0
; COMPUTE_PGM_RSRC2:TIDIG_COMP_CNT: 0
; COMPUTE_PGM_RSRC3_GFX90A:ACCUM_OFFSET: 0
; COMPUTE_PGM_RSRC3_GFX90A:TG_SPLIT: 0
	.section	.text._ZN7rocprim17ROCPRIM_400000_NS6detail17trampoline_kernelINS0_14default_configENS1_20scan_config_selectorIyEEZZNS1_9scan_implILNS1_25lookback_scan_determinismE0ELb1ELb1ES3_N6thrust23THRUST_200600_302600_NS6detail15normal_iteratorINS9_10device_ptrIyEEEENS9_16discard_iteratorINS9_11use_defaultEEEyNS9_4plusIvEEyEEDaPvRmT3_T4_T5_mT6_P12ihipStream_tbENKUlT_T0_E_clISt17integral_constantIbLb0EESX_EEDaSS_ST_EUlSS_E_NS1_11comp_targetILNS1_3genE10ELNS1_11target_archE1200ELNS1_3gpuE4ELNS1_3repE0EEENS1_30default_config_static_selectorELNS0_4arch9wavefront6targetE1EEEvT1_,"axG",@progbits,_ZN7rocprim17ROCPRIM_400000_NS6detail17trampoline_kernelINS0_14default_configENS1_20scan_config_selectorIyEEZZNS1_9scan_implILNS1_25lookback_scan_determinismE0ELb1ELb1ES3_N6thrust23THRUST_200600_302600_NS6detail15normal_iteratorINS9_10device_ptrIyEEEENS9_16discard_iteratorINS9_11use_defaultEEEyNS9_4plusIvEEyEEDaPvRmT3_T4_T5_mT6_P12ihipStream_tbENKUlT_T0_E_clISt17integral_constantIbLb0EESX_EEDaSS_ST_EUlSS_E_NS1_11comp_targetILNS1_3genE10ELNS1_11target_archE1200ELNS1_3gpuE4ELNS1_3repE0EEENS1_30default_config_static_selectorELNS0_4arch9wavefront6targetE1EEEvT1_,comdat
	.protected	_ZN7rocprim17ROCPRIM_400000_NS6detail17trampoline_kernelINS0_14default_configENS1_20scan_config_selectorIyEEZZNS1_9scan_implILNS1_25lookback_scan_determinismE0ELb1ELb1ES3_N6thrust23THRUST_200600_302600_NS6detail15normal_iteratorINS9_10device_ptrIyEEEENS9_16discard_iteratorINS9_11use_defaultEEEyNS9_4plusIvEEyEEDaPvRmT3_T4_T5_mT6_P12ihipStream_tbENKUlT_T0_E_clISt17integral_constantIbLb0EESX_EEDaSS_ST_EUlSS_E_NS1_11comp_targetILNS1_3genE10ELNS1_11target_archE1200ELNS1_3gpuE4ELNS1_3repE0EEENS1_30default_config_static_selectorELNS0_4arch9wavefront6targetE1EEEvT1_ ; -- Begin function _ZN7rocprim17ROCPRIM_400000_NS6detail17trampoline_kernelINS0_14default_configENS1_20scan_config_selectorIyEEZZNS1_9scan_implILNS1_25lookback_scan_determinismE0ELb1ELb1ES3_N6thrust23THRUST_200600_302600_NS6detail15normal_iteratorINS9_10device_ptrIyEEEENS9_16discard_iteratorINS9_11use_defaultEEEyNS9_4plusIvEEyEEDaPvRmT3_T4_T5_mT6_P12ihipStream_tbENKUlT_T0_E_clISt17integral_constantIbLb0EESX_EEDaSS_ST_EUlSS_E_NS1_11comp_targetILNS1_3genE10ELNS1_11target_archE1200ELNS1_3gpuE4ELNS1_3repE0EEENS1_30default_config_static_selectorELNS0_4arch9wavefront6targetE1EEEvT1_
	.globl	_ZN7rocprim17ROCPRIM_400000_NS6detail17trampoline_kernelINS0_14default_configENS1_20scan_config_selectorIyEEZZNS1_9scan_implILNS1_25lookback_scan_determinismE0ELb1ELb1ES3_N6thrust23THRUST_200600_302600_NS6detail15normal_iteratorINS9_10device_ptrIyEEEENS9_16discard_iteratorINS9_11use_defaultEEEyNS9_4plusIvEEyEEDaPvRmT3_T4_T5_mT6_P12ihipStream_tbENKUlT_T0_E_clISt17integral_constantIbLb0EESX_EEDaSS_ST_EUlSS_E_NS1_11comp_targetILNS1_3genE10ELNS1_11target_archE1200ELNS1_3gpuE4ELNS1_3repE0EEENS1_30default_config_static_selectorELNS0_4arch9wavefront6targetE1EEEvT1_
	.p2align	8
	.type	_ZN7rocprim17ROCPRIM_400000_NS6detail17trampoline_kernelINS0_14default_configENS1_20scan_config_selectorIyEEZZNS1_9scan_implILNS1_25lookback_scan_determinismE0ELb1ELb1ES3_N6thrust23THRUST_200600_302600_NS6detail15normal_iteratorINS9_10device_ptrIyEEEENS9_16discard_iteratorINS9_11use_defaultEEEyNS9_4plusIvEEyEEDaPvRmT3_T4_T5_mT6_P12ihipStream_tbENKUlT_T0_E_clISt17integral_constantIbLb0EESX_EEDaSS_ST_EUlSS_E_NS1_11comp_targetILNS1_3genE10ELNS1_11target_archE1200ELNS1_3gpuE4ELNS1_3repE0EEENS1_30default_config_static_selectorELNS0_4arch9wavefront6targetE1EEEvT1_,@function
_ZN7rocprim17ROCPRIM_400000_NS6detail17trampoline_kernelINS0_14default_configENS1_20scan_config_selectorIyEEZZNS1_9scan_implILNS1_25lookback_scan_determinismE0ELb1ELb1ES3_N6thrust23THRUST_200600_302600_NS6detail15normal_iteratorINS9_10device_ptrIyEEEENS9_16discard_iteratorINS9_11use_defaultEEEyNS9_4plusIvEEyEEDaPvRmT3_T4_T5_mT6_P12ihipStream_tbENKUlT_T0_E_clISt17integral_constantIbLb0EESX_EEDaSS_ST_EUlSS_E_NS1_11comp_targetILNS1_3genE10ELNS1_11target_archE1200ELNS1_3gpuE4ELNS1_3repE0EEENS1_30default_config_static_selectorELNS0_4arch9wavefront6targetE1EEEvT1_: ; @_ZN7rocprim17ROCPRIM_400000_NS6detail17trampoline_kernelINS0_14default_configENS1_20scan_config_selectorIyEEZZNS1_9scan_implILNS1_25lookback_scan_determinismE0ELb1ELb1ES3_N6thrust23THRUST_200600_302600_NS6detail15normal_iteratorINS9_10device_ptrIyEEEENS9_16discard_iteratorINS9_11use_defaultEEEyNS9_4plusIvEEyEEDaPvRmT3_T4_T5_mT6_P12ihipStream_tbENKUlT_T0_E_clISt17integral_constantIbLb0EESX_EEDaSS_ST_EUlSS_E_NS1_11comp_targetILNS1_3genE10ELNS1_11target_archE1200ELNS1_3gpuE4ELNS1_3repE0EEENS1_30default_config_static_selectorELNS0_4arch9wavefront6targetE1EEEvT1_
; %bb.0:
	.section	.rodata,"a",@progbits
	.p2align	6, 0x0
	.amdhsa_kernel _ZN7rocprim17ROCPRIM_400000_NS6detail17trampoline_kernelINS0_14default_configENS1_20scan_config_selectorIyEEZZNS1_9scan_implILNS1_25lookback_scan_determinismE0ELb1ELb1ES3_N6thrust23THRUST_200600_302600_NS6detail15normal_iteratorINS9_10device_ptrIyEEEENS9_16discard_iteratorINS9_11use_defaultEEEyNS9_4plusIvEEyEEDaPvRmT3_T4_T5_mT6_P12ihipStream_tbENKUlT_T0_E_clISt17integral_constantIbLb0EESX_EEDaSS_ST_EUlSS_E_NS1_11comp_targetILNS1_3genE10ELNS1_11target_archE1200ELNS1_3gpuE4ELNS1_3repE0EEENS1_30default_config_static_selectorELNS0_4arch9wavefront6targetE1EEEvT1_
		.amdhsa_group_segment_fixed_size 0
		.amdhsa_private_segment_fixed_size 0
		.amdhsa_kernarg_size 112
		.amdhsa_user_sgpr_count 6
		.amdhsa_user_sgpr_private_segment_buffer 1
		.amdhsa_user_sgpr_dispatch_ptr 0
		.amdhsa_user_sgpr_queue_ptr 0
		.amdhsa_user_sgpr_kernarg_segment_ptr 1
		.amdhsa_user_sgpr_dispatch_id 0
		.amdhsa_user_sgpr_flat_scratch_init 0
		.amdhsa_user_sgpr_kernarg_preload_length 0
		.amdhsa_user_sgpr_kernarg_preload_offset 0
		.amdhsa_user_sgpr_private_segment_size 0
		.amdhsa_uses_dynamic_stack 0
		.amdhsa_system_sgpr_private_segment_wavefront_offset 0
		.amdhsa_system_sgpr_workgroup_id_x 1
		.amdhsa_system_sgpr_workgroup_id_y 0
		.amdhsa_system_sgpr_workgroup_id_z 0
		.amdhsa_system_sgpr_workgroup_info 0
		.amdhsa_system_vgpr_workitem_id 0
		.amdhsa_next_free_vgpr 1
		.amdhsa_next_free_sgpr 0
		.amdhsa_accum_offset 4
		.amdhsa_reserve_vcc 0
		.amdhsa_reserve_flat_scratch 0
		.amdhsa_float_round_mode_32 0
		.amdhsa_float_round_mode_16_64 0
		.amdhsa_float_denorm_mode_32 3
		.amdhsa_float_denorm_mode_16_64 3
		.amdhsa_dx10_clamp 1
		.amdhsa_ieee_mode 1
		.amdhsa_fp16_overflow 0
		.amdhsa_tg_split 0
		.amdhsa_exception_fp_ieee_invalid_op 0
		.amdhsa_exception_fp_denorm_src 0
		.amdhsa_exception_fp_ieee_div_zero 0
		.amdhsa_exception_fp_ieee_overflow 0
		.amdhsa_exception_fp_ieee_underflow 0
		.amdhsa_exception_fp_ieee_inexact 0
		.amdhsa_exception_int_div_zero 0
	.end_amdhsa_kernel
	.section	.text._ZN7rocprim17ROCPRIM_400000_NS6detail17trampoline_kernelINS0_14default_configENS1_20scan_config_selectorIyEEZZNS1_9scan_implILNS1_25lookback_scan_determinismE0ELb1ELb1ES3_N6thrust23THRUST_200600_302600_NS6detail15normal_iteratorINS9_10device_ptrIyEEEENS9_16discard_iteratorINS9_11use_defaultEEEyNS9_4plusIvEEyEEDaPvRmT3_T4_T5_mT6_P12ihipStream_tbENKUlT_T0_E_clISt17integral_constantIbLb0EESX_EEDaSS_ST_EUlSS_E_NS1_11comp_targetILNS1_3genE10ELNS1_11target_archE1200ELNS1_3gpuE4ELNS1_3repE0EEENS1_30default_config_static_selectorELNS0_4arch9wavefront6targetE1EEEvT1_,"axG",@progbits,_ZN7rocprim17ROCPRIM_400000_NS6detail17trampoline_kernelINS0_14default_configENS1_20scan_config_selectorIyEEZZNS1_9scan_implILNS1_25lookback_scan_determinismE0ELb1ELb1ES3_N6thrust23THRUST_200600_302600_NS6detail15normal_iteratorINS9_10device_ptrIyEEEENS9_16discard_iteratorINS9_11use_defaultEEEyNS9_4plusIvEEyEEDaPvRmT3_T4_T5_mT6_P12ihipStream_tbENKUlT_T0_E_clISt17integral_constantIbLb0EESX_EEDaSS_ST_EUlSS_E_NS1_11comp_targetILNS1_3genE10ELNS1_11target_archE1200ELNS1_3gpuE4ELNS1_3repE0EEENS1_30default_config_static_selectorELNS0_4arch9wavefront6targetE1EEEvT1_,comdat
.Lfunc_end5228:
	.size	_ZN7rocprim17ROCPRIM_400000_NS6detail17trampoline_kernelINS0_14default_configENS1_20scan_config_selectorIyEEZZNS1_9scan_implILNS1_25lookback_scan_determinismE0ELb1ELb1ES3_N6thrust23THRUST_200600_302600_NS6detail15normal_iteratorINS9_10device_ptrIyEEEENS9_16discard_iteratorINS9_11use_defaultEEEyNS9_4plusIvEEyEEDaPvRmT3_T4_T5_mT6_P12ihipStream_tbENKUlT_T0_E_clISt17integral_constantIbLb0EESX_EEDaSS_ST_EUlSS_E_NS1_11comp_targetILNS1_3genE10ELNS1_11target_archE1200ELNS1_3gpuE4ELNS1_3repE0EEENS1_30default_config_static_selectorELNS0_4arch9wavefront6targetE1EEEvT1_, .Lfunc_end5228-_ZN7rocprim17ROCPRIM_400000_NS6detail17trampoline_kernelINS0_14default_configENS1_20scan_config_selectorIyEEZZNS1_9scan_implILNS1_25lookback_scan_determinismE0ELb1ELb1ES3_N6thrust23THRUST_200600_302600_NS6detail15normal_iteratorINS9_10device_ptrIyEEEENS9_16discard_iteratorINS9_11use_defaultEEEyNS9_4plusIvEEyEEDaPvRmT3_T4_T5_mT6_P12ihipStream_tbENKUlT_T0_E_clISt17integral_constantIbLb0EESX_EEDaSS_ST_EUlSS_E_NS1_11comp_targetILNS1_3genE10ELNS1_11target_archE1200ELNS1_3gpuE4ELNS1_3repE0EEENS1_30default_config_static_selectorELNS0_4arch9wavefront6targetE1EEEvT1_
                                        ; -- End function
	.section	.AMDGPU.csdata,"",@progbits
; Kernel info:
; codeLenInByte = 0
; NumSgprs: 4
; NumVgprs: 0
; NumAgprs: 0
; TotalNumVgprs: 0
; ScratchSize: 0
; MemoryBound: 0
; FloatMode: 240
; IeeeMode: 1
; LDSByteSize: 0 bytes/workgroup (compile time only)
; SGPRBlocks: 0
; VGPRBlocks: 0
; NumSGPRsForWavesPerEU: 4
; NumVGPRsForWavesPerEU: 1
; AccumOffset: 4
; Occupancy: 8
; WaveLimiterHint : 0
; COMPUTE_PGM_RSRC2:SCRATCH_EN: 0
; COMPUTE_PGM_RSRC2:USER_SGPR: 6
; COMPUTE_PGM_RSRC2:TRAP_HANDLER: 0
; COMPUTE_PGM_RSRC2:TGID_X_EN: 1
; COMPUTE_PGM_RSRC2:TGID_Y_EN: 0
; COMPUTE_PGM_RSRC2:TGID_Z_EN: 0
; COMPUTE_PGM_RSRC2:TIDIG_COMP_CNT: 0
; COMPUTE_PGM_RSRC3_GFX90A:ACCUM_OFFSET: 0
; COMPUTE_PGM_RSRC3_GFX90A:TG_SPLIT: 0
	.section	.text._ZN7rocprim17ROCPRIM_400000_NS6detail17trampoline_kernelINS0_14default_configENS1_20scan_config_selectorIyEEZZNS1_9scan_implILNS1_25lookback_scan_determinismE0ELb1ELb1ES3_N6thrust23THRUST_200600_302600_NS6detail15normal_iteratorINS9_10device_ptrIyEEEENS9_16discard_iteratorINS9_11use_defaultEEEyNS9_4plusIvEEyEEDaPvRmT3_T4_T5_mT6_P12ihipStream_tbENKUlT_T0_E_clISt17integral_constantIbLb0EESX_EEDaSS_ST_EUlSS_E_NS1_11comp_targetILNS1_3genE9ELNS1_11target_archE1100ELNS1_3gpuE3ELNS1_3repE0EEENS1_30default_config_static_selectorELNS0_4arch9wavefront6targetE1EEEvT1_,"axG",@progbits,_ZN7rocprim17ROCPRIM_400000_NS6detail17trampoline_kernelINS0_14default_configENS1_20scan_config_selectorIyEEZZNS1_9scan_implILNS1_25lookback_scan_determinismE0ELb1ELb1ES3_N6thrust23THRUST_200600_302600_NS6detail15normal_iteratorINS9_10device_ptrIyEEEENS9_16discard_iteratorINS9_11use_defaultEEEyNS9_4plusIvEEyEEDaPvRmT3_T4_T5_mT6_P12ihipStream_tbENKUlT_T0_E_clISt17integral_constantIbLb0EESX_EEDaSS_ST_EUlSS_E_NS1_11comp_targetILNS1_3genE9ELNS1_11target_archE1100ELNS1_3gpuE3ELNS1_3repE0EEENS1_30default_config_static_selectorELNS0_4arch9wavefront6targetE1EEEvT1_,comdat
	.protected	_ZN7rocprim17ROCPRIM_400000_NS6detail17trampoline_kernelINS0_14default_configENS1_20scan_config_selectorIyEEZZNS1_9scan_implILNS1_25lookback_scan_determinismE0ELb1ELb1ES3_N6thrust23THRUST_200600_302600_NS6detail15normal_iteratorINS9_10device_ptrIyEEEENS9_16discard_iteratorINS9_11use_defaultEEEyNS9_4plusIvEEyEEDaPvRmT3_T4_T5_mT6_P12ihipStream_tbENKUlT_T0_E_clISt17integral_constantIbLb0EESX_EEDaSS_ST_EUlSS_E_NS1_11comp_targetILNS1_3genE9ELNS1_11target_archE1100ELNS1_3gpuE3ELNS1_3repE0EEENS1_30default_config_static_selectorELNS0_4arch9wavefront6targetE1EEEvT1_ ; -- Begin function _ZN7rocprim17ROCPRIM_400000_NS6detail17trampoline_kernelINS0_14default_configENS1_20scan_config_selectorIyEEZZNS1_9scan_implILNS1_25lookback_scan_determinismE0ELb1ELb1ES3_N6thrust23THRUST_200600_302600_NS6detail15normal_iteratorINS9_10device_ptrIyEEEENS9_16discard_iteratorINS9_11use_defaultEEEyNS9_4plusIvEEyEEDaPvRmT3_T4_T5_mT6_P12ihipStream_tbENKUlT_T0_E_clISt17integral_constantIbLb0EESX_EEDaSS_ST_EUlSS_E_NS1_11comp_targetILNS1_3genE9ELNS1_11target_archE1100ELNS1_3gpuE3ELNS1_3repE0EEENS1_30default_config_static_selectorELNS0_4arch9wavefront6targetE1EEEvT1_
	.globl	_ZN7rocprim17ROCPRIM_400000_NS6detail17trampoline_kernelINS0_14default_configENS1_20scan_config_selectorIyEEZZNS1_9scan_implILNS1_25lookback_scan_determinismE0ELb1ELb1ES3_N6thrust23THRUST_200600_302600_NS6detail15normal_iteratorINS9_10device_ptrIyEEEENS9_16discard_iteratorINS9_11use_defaultEEEyNS9_4plusIvEEyEEDaPvRmT3_T4_T5_mT6_P12ihipStream_tbENKUlT_T0_E_clISt17integral_constantIbLb0EESX_EEDaSS_ST_EUlSS_E_NS1_11comp_targetILNS1_3genE9ELNS1_11target_archE1100ELNS1_3gpuE3ELNS1_3repE0EEENS1_30default_config_static_selectorELNS0_4arch9wavefront6targetE1EEEvT1_
	.p2align	8
	.type	_ZN7rocprim17ROCPRIM_400000_NS6detail17trampoline_kernelINS0_14default_configENS1_20scan_config_selectorIyEEZZNS1_9scan_implILNS1_25lookback_scan_determinismE0ELb1ELb1ES3_N6thrust23THRUST_200600_302600_NS6detail15normal_iteratorINS9_10device_ptrIyEEEENS9_16discard_iteratorINS9_11use_defaultEEEyNS9_4plusIvEEyEEDaPvRmT3_T4_T5_mT6_P12ihipStream_tbENKUlT_T0_E_clISt17integral_constantIbLb0EESX_EEDaSS_ST_EUlSS_E_NS1_11comp_targetILNS1_3genE9ELNS1_11target_archE1100ELNS1_3gpuE3ELNS1_3repE0EEENS1_30default_config_static_selectorELNS0_4arch9wavefront6targetE1EEEvT1_,@function
_ZN7rocprim17ROCPRIM_400000_NS6detail17trampoline_kernelINS0_14default_configENS1_20scan_config_selectorIyEEZZNS1_9scan_implILNS1_25lookback_scan_determinismE0ELb1ELb1ES3_N6thrust23THRUST_200600_302600_NS6detail15normal_iteratorINS9_10device_ptrIyEEEENS9_16discard_iteratorINS9_11use_defaultEEEyNS9_4plusIvEEyEEDaPvRmT3_T4_T5_mT6_P12ihipStream_tbENKUlT_T0_E_clISt17integral_constantIbLb0EESX_EEDaSS_ST_EUlSS_E_NS1_11comp_targetILNS1_3genE9ELNS1_11target_archE1100ELNS1_3gpuE3ELNS1_3repE0EEENS1_30default_config_static_selectorELNS0_4arch9wavefront6targetE1EEEvT1_: ; @_ZN7rocprim17ROCPRIM_400000_NS6detail17trampoline_kernelINS0_14default_configENS1_20scan_config_selectorIyEEZZNS1_9scan_implILNS1_25lookback_scan_determinismE0ELb1ELb1ES3_N6thrust23THRUST_200600_302600_NS6detail15normal_iteratorINS9_10device_ptrIyEEEENS9_16discard_iteratorINS9_11use_defaultEEEyNS9_4plusIvEEyEEDaPvRmT3_T4_T5_mT6_P12ihipStream_tbENKUlT_T0_E_clISt17integral_constantIbLb0EESX_EEDaSS_ST_EUlSS_E_NS1_11comp_targetILNS1_3genE9ELNS1_11target_archE1100ELNS1_3gpuE3ELNS1_3repE0EEENS1_30default_config_static_selectorELNS0_4arch9wavefront6targetE1EEEvT1_
; %bb.0:
	.section	.rodata,"a",@progbits
	.p2align	6, 0x0
	.amdhsa_kernel _ZN7rocprim17ROCPRIM_400000_NS6detail17trampoline_kernelINS0_14default_configENS1_20scan_config_selectorIyEEZZNS1_9scan_implILNS1_25lookback_scan_determinismE0ELb1ELb1ES3_N6thrust23THRUST_200600_302600_NS6detail15normal_iteratorINS9_10device_ptrIyEEEENS9_16discard_iteratorINS9_11use_defaultEEEyNS9_4plusIvEEyEEDaPvRmT3_T4_T5_mT6_P12ihipStream_tbENKUlT_T0_E_clISt17integral_constantIbLb0EESX_EEDaSS_ST_EUlSS_E_NS1_11comp_targetILNS1_3genE9ELNS1_11target_archE1100ELNS1_3gpuE3ELNS1_3repE0EEENS1_30default_config_static_selectorELNS0_4arch9wavefront6targetE1EEEvT1_
		.amdhsa_group_segment_fixed_size 0
		.amdhsa_private_segment_fixed_size 0
		.amdhsa_kernarg_size 112
		.amdhsa_user_sgpr_count 6
		.amdhsa_user_sgpr_private_segment_buffer 1
		.amdhsa_user_sgpr_dispatch_ptr 0
		.amdhsa_user_sgpr_queue_ptr 0
		.amdhsa_user_sgpr_kernarg_segment_ptr 1
		.amdhsa_user_sgpr_dispatch_id 0
		.amdhsa_user_sgpr_flat_scratch_init 0
		.amdhsa_user_sgpr_kernarg_preload_length 0
		.amdhsa_user_sgpr_kernarg_preload_offset 0
		.amdhsa_user_sgpr_private_segment_size 0
		.amdhsa_uses_dynamic_stack 0
		.amdhsa_system_sgpr_private_segment_wavefront_offset 0
		.amdhsa_system_sgpr_workgroup_id_x 1
		.amdhsa_system_sgpr_workgroup_id_y 0
		.amdhsa_system_sgpr_workgroup_id_z 0
		.amdhsa_system_sgpr_workgroup_info 0
		.amdhsa_system_vgpr_workitem_id 0
		.amdhsa_next_free_vgpr 1
		.amdhsa_next_free_sgpr 0
		.amdhsa_accum_offset 4
		.amdhsa_reserve_vcc 0
		.amdhsa_reserve_flat_scratch 0
		.amdhsa_float_round_mode_32 0
		.amdhsa_float_round_mode_16_64 0
		.amdhsa_float_denorm_mode_32 3
		.amdhsa_float_denorm_mode_16_64 3
		.amdhsa_dx10_clamp 1
		.amdhsa_ieee_mode 1
		.amdhsa_fp16_overflow 0
		.amdhsa_tg_split 0
		.amdhsa_exception_fp_ieee_invalid_op 0
		.amdhsa_exception_fp_denorm_src 0
		.amdhsa_exception_fp_ieee_div_zero 0
		.amdhsa_exception_fp_ieee_overflow 0
		.amdhsa_exception_fp_ieee_underflow 0
		.amdhsa_exception_fp_ieee_inexact 0
		.amdhsa_exception_int_div_zero 0
	.end_amdhsa_kernel
	.section	.text._ZN7rocprim17ROCPRIM_400000_NS6detail17trampoline_kernelINS0_14default_configENS1_20scan_config_selectorIyEEZZNS1_9scan_implILNS1_25lookback_scan_determinismE0ELb1ELb1ES3_N6thrust23THRUST_200600_302600_NS6detail15normal_iteratorINS9_10device_ptrIyEEEENS9_16discard_iteratorINS9_11use_defaultEEEyNS9_4plusIvEEyEEDaPvRmT3_T4_T5_mT6_P12ihipStream_tbENKUlT_T0_E_clISt17integral_constantIbLb0EESX_EEDaSS_ST_EUlSS_E_NS1_11comp_targetILNS1_3genE9ELNS1_11target_archE1100ELNS1_3gpuE3ELNS1_3repE0EEENS1_30default_config_static_selectorELNS0_4arch9wavefront6targetE1EEEvT1_,"axG",@progbits,_ZN7rocprim17ROCPRIM_400000_NS6detail17trampoline_kernelINS0_14default_configENS1_20scan_config_selectorIyEEZZNS1_9scan_implILNS1_25lookback_scan_determinismE0ELb1ELb1ES3_N6thrust23THRUST_200600_302600_NS6detail15normal_iteratorINS9_10device_ptrIyEEEENS9_16discard_iteratorINS9_11use_defaultEEEyNS9_4plusIvEEyEEDaPvRmT3_T4_T5_mT6_P12ihipStream_tbENKUlT_T0_E_clISt17integral_constantIbLb0EESX_EEDaSS_ST_EUlSS_E_NS1_11comp_targetILNS1_3genE9ELNS1_11target_archE1100ELNS1_3gpuE3ELNS1_3repE0EEENS1_30default_config_static_selectorELNS0_4arch9wavefront6targetE1EEEvT1_,comdat
.Lfunc_end5229:
	.size	_ZN7rocprim17ROCPRIM_400000_NS6detail17trampoline_kernelINS0_14default_configENS1_20scan_config_selectorIyEEZZNS1_9scan_implILNS1_25lookback_scan_determinismE0ELb1ELb1ES3_N6thrust23THRUST_200600_302600_NS6detail15normal_iteratorINS9_10device_ptrIyEEEENS9_16discard_iteratorINS9_11use_defaultEEEyNS9_4plusIvEEyEEDaPvRmT3_T4_T5_mT6_P12ihipStream_tbENKUlT_T0_E_clISt17integral_constantIbLb0EESX_EEDaSS_ST_EUlSS_E_NS1_11comp_targetILNS1_3genE9ELNS1_11target_archE1100ELNS1_3gpuE3ELNS1_3repE0EEENS1_30default_config_static_selectorELNS0_4arch9wavefront6targetE1EEEvT1_, .Lfunc_end5229-_ZN7rocprim17ROCPRIM_400000_NS6detail17trampoline_kernelINS0_14default_configENS1_20scan_config_selectorIyEEZZNS1_9scan_implILNS1_25lookback_scan_determinismE0ELb1ELb1ES3_N6thrust23THRUST_200600_302600_NS6detail15normal_iteratorINS9_10device_ptrIyEEEENS9_16discard_iteratorINS9_11use_defaultEEEyNS9_4plusIvEEyEEDaPvRmT3_T4_T5_mT6_P12ihipStream_tbENKUlT_T0_E_clISt17integral_constantIbLb0EESX_EEDaSS_ST_EUlSS_E_NS1_11comp_targetILNS1_3genE9ELNS1_11target_archE1100ELNS1_3gpuE3ELNS1_3repE0EEENS1_30default_config_static_selectorELNS0_4arch9wavefront6targetE1EEEvT1_
                                        ; -- End function
	.section	.AMDGPU.csdata,"",@progbits
; Kernel info:
; codeLenInByte = 0
; NumSgprs: 4
; NumVgprs: 0
; NumAgprs: 0
; TotalNumVgprs: 0
; ScratchSize: 0
; MemoryBound: 0
; FloatMode: 240
; IeeeMode: 1
; LDSByteSize: 0 bytes/workgroup (compile time only)
; SGPRBlocks: 0
; VGPRBlocks: 0
; NumSGPRsForWavesPerEU: 4
; NumVGPRsForWavesPerEU: 1
; AccumOffset: 4
; Occupancy: 8
; WaveLimiterHint : 0
; COMPUTE_PGM_RSRC2:SCRATCH_EN: 0
; COMPUTE_PGM_RSRC2:USER_SGPR: 6
; COMPUTE_PGM_RSRC2:TRAP_HANDLER: 0
; COMPUTE_PGM_RSRC2:TGID_X_EN: 1
; COMPUTE_PGM_RSRC2:TGID_Y_EN: 0
; COMPUTE_PGM_RSRC2:TGID_Z_EN: 0
; COMPUTE_PGM_RSRC2:TIDIG_COMP_CNT: 0
; COMPUTE_PGM_RSRC3_GFX90A:ACCUM_OFFSET: 0
; COMPUTE_PGM_RSRC3_GFX90A:TG_SPLIT: 0
	.section	.text._ZN7rocprim17ROCPRIM_400000_NS6detail17trampoline_kernelINS0_14default_configENS1_20scan_config_selectorIyEEZZNS1_9scan_implILNS1_25lookback_scan_determinismE0ELb1ELb1ES3_N6thrust23THRUST_200600_302600_NS6detail15normal_iteratorINS9_10device_ptrIyEEEENS9_16discard_iteratorINS9_11use_defaultEEEyNS9_4plusIvEEyEEDaPvRmT3_T4_T5_mT6_P12ihipStream_tbENKUlT_T0_E_clISt17integral_constantIbLb0EESX_EEDaSS_ST_EUlSS_E_NS1_11comp_targetILNS1_3genE8ELNS1_11target_archE1030ELNS1_3gpuE2ELNS1_3repE0EEENS1_30default_config_static_selectorELNS0_4arch9wavefront6targetE1EEEvT1_,"axG",@progbits,_ZN7rocprim17ROCPRIM_400000_NS6detail17trampoline_kernelINS0_14default_configENS1_20scan_config_selectorIyEEZZNS1_9scan_implILNS1_25lookback_scan_determinismE0ELb1ELb1ES3_N6thrust23THRUST_200600_302600_NS6detail15normal_iteratorINS9_10device_ptrIyEEEENS9_16discard_iteratorINS9_11use_defaultEEEyNS9_4plusIvEEyEEDaPvRmT3_T4_T5_mT6_P12ihipStream_tbENKUlT_T0_E_clISt17integral_constantIbLb0EESX_EEDaSS_ST_EUlSS_E_NS1_11comp_targetILNS1_3genE8ELNS1_11target_archE1030ELNS1_3gpuE2ELNS1_3repE0EEENS1_30default_config_static_selectorELNS0_4arch9wavefront6targetE1EEEvT1_,comdat
	.protected	_ZN7rocprim17ROCPRIM_400000_NS6detail17trampoline_kernelINS0_14default_configENS1_20scan_config_selectorIyEEZZNS1_9scan_implILNS1_25lookback_scan_determinismE0ELb1ELb1ES3_N6thrust23THRUST_200600_302600_NS6detail15normal_iteratorINS9_10device_ptrIyEEEENS9_16discard_iteratorINS9_11use_defaultEEEyNS9_4plusIvEEyEEDaPvRmT3_T4_T5_mT6_P12ihipStream_tbENKUlT_T0_E_clISt17integral_constantIbLb0EESX_EEDaSS_ST_EUlSS_E_NS1_11comp_targetILNS1_3genE8ELNS1_11target_archE1030ELNS1_3gpuE2ELNS1_3repE0EEENS1_30default_config_static_selectorELNS0_4arch9wavefront6targetE1EEEvT1_ ; -- Begin function _ZN7rocprim17ROCPRIM_400000_NS6detail17trampoline_kernelINS0_14default_configENS1_20scan_config_selectorIyEEZZNS1_9scan_implILNS1_25lookback_scan_determinismE0ELb1ELb1ES3_N6thrust23THRUST_200600_302600_NS6detail15normal_iteratorINS9_10device_ptrIyEEEENS9_16discard_iteratorINS9_11use_defaultEEEyNS9_4plusIvEEyEEDaPvRmT3_T4_T5_mT6_P12ihipStream_tbENKUlT_T0_E_clISt17integral_constantIbLb0EESX_EEDaSS_ST_EUlSS_E_NS1_11comp_targetILNS1_3genE8ELNS1_11target_archE1030ELNS1_3gpuE2ELNS1_3repE0EEENS1_30default_config_static_selectorELNS0_4arch9wavefront6targetE1EEEvT1_
	.globl	_ZN7rocprim17ROCPRIM_400000_NS6detail17trampoline_kernelINS0_14default_configENS1_20scan_config_selectorIyEEZZNS1_9scan_implILNS1_25lookback_scan_determinismE0ELb1ELb1ES3_N6thrust23THRUST_200600_302600_NS6detail15normal_iteratorINS9_10device_ptrIyEEEENS9_16discard_iteratorINS9_11use_defaultEEEyNS9_4plusIvEEyEEDaPvRmT3_T4_T5_mT6_P12ihipStream_tbENKUlT_T0_E_clISt17integral_constantIbLb0EESX_EEDaSS_ST_EUlSS_E_NS1_11comp_targetILNS1_3genE8ELNS1_11target_archE1030ELNS1_3gpuE2ELNS1_3repE0EEENS1_30default_config_static_selectorELNS0_4arch9wavefront6targetE1EEEvT1_
	.p2align	8
	.type	_ZN7rocprim17ROCPRIM_400000_NS6detail17trampoline_kernelINS0_14default_configENS1_20scan_config_selectorIyEEZZNS1_9scan_implILNS1_25lookback_scan_determinismE0ELb1ELb1ES3_N6thrust23THRUST_200600_302600_NS6detail15normal_iteratorINS9_10device_ptrIyEEEENS9_16discard_iteratorINS9_11use_defaultEEEyNS9_4plusIvEEyEEDaPvRmT3_T4_T5_mT6_P12ihipStream_tbENKUlT_T0_E_clISt17integral_constantIbLb0EESX_EEDaSS_ST_EUlSS_E_NS1_11comp_targetILNS1_3genE8ELNS1_11target_archE1030ELNS1_3gpuE2ELNS1_3repE0EEENS1_30default_config_static_selectorELNS0_4arch9wavefront6targetE1EEEvT1_,@function
_ZN7rocprim17ROCPRIM_400000_NS6detail17trampoline_kernelINS0_14default_configENS1_20scan_config_selectorIyEEZZNS1_9scan_implILNS1_25lookback_scan_determinismE0ELb1ELb1ES3_N6thrust23THRUST_200600_302600_NS6detail15normal_iteratorINS9_10device_ptrIyEEEENS9_16discard_iteratorINS9_11use_defaultEEEyNS9_4plusIvEEyEEDaPvRmT3_T4_T5_mT6_P12ihipStream_tbENKUlT_T0_E_clISt17integral_constantIbLb0EESX_EEDaSS_ST_EUlSS_E_NS1_11comp_targetILNS1_3genE8ELNS1_11target_archE1030ELNS1_3gpuE2ELNS1_3repE0EEENS1_30default_config_static_selectorELNS0_4arch9wavefront6targetE1EEEvT1_: ; @_ZN7rocprim17ROCPRIM_400000_NS6detail17trampoline_kernelINS0_14default_configENS1_20scan_config_selectorIyEEZZNS1_9scan_implILNS1_25lookback_scan_determinismE0ELb1ELb1ES3_N6thrust23THRUST_200600_302600_NS6detail15normal_iteratorINS9_10device_ptrIyEEEENS9_16discard_iteratorINS9_11use_defaultEEEyNS9_4plusIvEEyEEDaPvRmT3_T4_T5_mT6_P12ihipStream_tbENKUlT_T0_E_clISt17integral_constantIbLb0EESX_EEDaSS_ST_EUlSS_E_NS1_11comp_targetILNS1_3genE8ELNS1_11target_archE1030ELNS1_3gpuE2ELNS1_3repE0EEENS1_30default_config_static_selectorELNS0_4arch9wavefront6targetE1EEEvT1_
; %bb.0:
	.section	.rodata,"a",@progbits
	.p2align	6, 0x0
	.amdhsa_kernel _ZN7rocprim17ROCPRIM_400000_NS6detail17trampoline_kernelINS0_14default_configENS1_20scan_config_selectorIyEEZZNS1_9scan_implILNS1_25lookback_scan_determinismE0ELb1ELb1ES3_N6thrust23THRUST_200600_302600_NS6detail15normal_iteratorINS9_10device_ptrIyEEEENS9_16discard_iteratorINS9_11use_defaultEEEyNS9_4plusIvEEyEEDaPvRmT3_T4_T5_mT6_P12ihipStream_tbENKUlT_T0_E_clISt17integral_constantIbLb0EESX_EEDaSS_ST_EUlSS_E_NS1_11comp_targetILNS1_3genE8ELNS1_11target_archE1030ELNS1_3gpuE2ELNS1_3repE0EEENS1_30default_config_static_selectorELNS0_4arch9wavefront6targetE1EEEvT1_
		.amdhsa_group_segment_fixed_size 0
		.amdhsa_private_segment_fixed_size 0
		.amdhsa_kernarg_size 112
		.amdhsa_user_sgpr_count 6
		.amdhsa_user_sgpr_private_segment_buffer 1
		.amdhsa_user_sgpr_dispatch_ptr 0
		.amdhsa_user_sgpr_queue_ptr 0
		.amdhsa_user_sgpr_kernarg_segment_ptr 1
		.amdhsa_user_sgpr_dispatch_id 0
		.amdhsa_user_sgpr_flat_scratch_init 0
		.amdhsa_user_sgpr_kernarg_preload_length 0
		.amdhsa_user_sgpr_kernarg_preload_offset 0
		.amdhsa_user_sgpr_private_segment_size 0
		.amdhsa_uses_dynamic_stack 0
		.amdhsa_system_sgpr_private_segment_wavefront_offset 0
		.amdhsa_system_sgpr_workgroup_id_x 1
		.amdhsa_system_sgpr_workgroup_id_y 0
		.amdhsa_system_sgpr_workgroup_id_z 0
		.amdhsa_system_sgpr_workgroup_info 0
		.amdhsa_system_vgpr_workitem_id 0
		.amdhsa_next_free_vgpr 1
		.amdhsa_next_free_sgpr 0
		.amdhsa_accum_offset 4
		.amdhsa_reserve_vcc 0
		.amdhsa_reserve_flat_scratch 0
		.amdhsa_float_round_mode_32 0
		.amdhsa_float_round_mode_16_64 0
		.amdhsa_float_denorm_mode_32 3
		.amdhsa_float_denorm_mode_16_64 3
		.amdhsa_dx10_clamp 1
		.amdhsa_ieee_mode 1
		.amdhsa_fp16_overflow 0
		.amdhsa_tg_split 0
		.amdhsa_exception_fp_ieee_invalid_op 0
		.amdhsa_exception_fp_denorm_src 0
		.amdhsa_exception_fp_ieee_div_zero 0
		.amdhsa_exception_fp_ieee_overflow 0
		.amdhsa_exception_fp_ieee_underflow 0
		.amdhsa_exception_fp_ieee_inexact 0
		.amdhsa_exception_int_div_zero 0
	.end_amdhsa_kernel
	.section	.text._ZN7rocprim17ROCPRIM_400000_NS6detail17trampoline_kernelINS0_14default_configENS1_20scan_config_selectorIyEEZZNS1_9scan_implILNS1_25lookback_scan_determinismE0ELb1ELb1ES3_N6thrust23THRUST_200600_302600_NS6detail15normal_iteratorINS9_10device_ptrIyEEEENS9_16discard_iteratorINS9_11use_defaultEEEyNS9_4plusIvEEyEEDaPvRmT3_T4_T5_mT6_P12ihipStream_tbENKUlT_T0_E_clISt17integral_constantIbLb0EESX_EEDaSS_ST_EUlSS_E_NS1_11comp_targetILNS1_3genE8ELNS1_11target_archE1030ELNS1_3gpuE2ELNS1_3repE0EEENS1_30default_config_static_selectorELNS0_4arch9wavefront6targetE1EEEvT1_,"axG",@progbits,_ZN7rocprim17ROCPRIM_400000_NS6detail17trampoline_kernelINS0_14default_configENS1_20scan_config_selectorIyEEZZNS1_9scan_implILNS1_25lookback_scan_determinismE0ELb1ELb1ES3_N6thrust23THRUST_200600_302600_NS6detail15normal_iteratorINS9_10device_ptrIyEEEENS9_16discard_iteratorINS9_11use_defaultEEEyNS9_4plusIvEEyEEDaPvRmT3_T4_T5_mT6_P12ihipStream_tbENKUlT_T0_E_clISt17integral_constantIbLb0EESX_EEDaSS_ST_EUlSS_E_NS1_11comp_targetILNS1_3genE8ELNS1_11target_archE1030ELNS1_3gpuE2ELNS1_3repE0EEENS1_30default_config_static_selectorELNS0_4arch9wavefront6targetE1EEEvT1_,comdat
.Lfunc_end5230:
	.size	_ZN7rocprim17ROCPRIM_400000_NS6detail17trampoline_kernelINS0_14default_configENS1_20scan_config_selectorIyEEZZNS1_9scan_implILNS1_25lookback_scan_determinismE0ELb1ELb1ES3_N6thrust23THRUST_200600_302600_NS6detail15normal_iteratorINS9_10device_ptrIyEEEENS9_16discard_iteratorINS9_11use_defaultEEEyNS9_4plusIvEEyEEDaPvRmT3_T4_T5_mT6_P12ihipStream_tbENKUlT_T0_E_clISt17integral_constantIbLb0EESX_EEDaSS_ST_EUlSS_E_NS1_11comp_targetILNS1_3genE8ELNS1_11target_archE1030ELNS1_3gpuE2ELNS1_3repE0EEENS1_30default_config_static_selectorELNS0_4arch9wavefront6targetE1EEEvT1_, .Lfunc_end5230-_ZN7rocprim17ROCPRIM_400000_NS6detail17trampoline_kernelINS0_14default_configENS1_20scan_config_selectorIyEEZZNS1_9scan_implILNS1_25lookback_scan_determinismE0ELb1ELb1ES3_N6thrust23THRUST_200600_302600_NS6detail15normal_iteratorINS9_10device_ptrIyEEEENS9_16discard_iteratorINS9_11use_defaultEEEyNS9_4plusIvEEyEEDaPvRmT3_T4_T5_mT6_P12ihipStream_tbENKUlT_T0_E_clISt17integral_constantIbLb0EESX_EEDaSS_ST_EUlSS_E_NS1_11comp_targetILNS1_3genE8ELNS1_11target_archE1030ELNS1_3gpuE2ELNS1_3repE0EEENS1_30default_config_static_selectorELNS0_4arch9wavefront6targetE1EEEvT1_
                                        ; -- End function
	.section	.AMDGPU.csdata,"",@progbits
; Kernel info:
; codeLenInByte = 0
; NumSgprs: 4
; NumVgprs: 0
; NumAgprs: 0
; TotalNumVgprs: 0
; ScratchSize: 0
; MemoryBound: 0
; FloatMode: 240
; IeeeMode: 1
; LDSByteSize: 0 bytes/workgroup (compile time only)
; SGPRBlocks: 0
; VGPRBlocks: 0
; NumSGPRsForWavesPerEU: 4
; NumVGPRsForWavesPerEU: 1
; AccumOffset: 4
; Occupancy: 8
; WaveLimiterHint : 0
; COMPUTE_PGM_RSRC2:SCRATCH_EN: 0
; COMPUTE_PGM_RSRC2:USER_SGPR: 6
; COMPUTE_PGM_RSRC2:TRAP_HANDLER: 0
; COMPUTE_PGM_RSRC2:TGID_X_EN: 1
; COMPUTE_PGM_RSRC2:TGID_Y_EN: 0
; COMPUTE_PGM_RSRC2:TGID_Z_EN: 0
; COMPUTE_PGM_RSRC2:TIDIG_COMP_CNT: 0
; COMPUTE_PGM_RSRC3_GFX90A:ACCUM_OFFSET: 0
; COMPUTE_PGM_RSRC3_GFX90A:TG_SPLIT: 0
	.section	.text._ZN7rocprim17ROCPRIM_400000_NS6detail17trampoline_kernelINS0_14default_configENS1_20scan_config_selectorIyEEZZNS1_9scan_implILNS1_25lookback_scan_determinismE0ELb1ELb1ES3_N6thrust23THRUST_200600_302600_NS6detail15normal_iteratorINS9_10device_ptrIyEEEENS9_16discard_iteratorINS9_11use_defaultEEEyNS9_4plusIvEEyEEDaPvRmT3_T4_T5_mT6_P12ihipStream_tbENKUlT_T0_E_clISt17integral_constantIbLb0EESX_EEDaSS_ST_EUlSS_E0_NS1_11comp_targetILNS1_3genE0ELNS1_11target_archE4294967295ELNS1_3gpuE0ELNS1_3repE0EEENS1_30default_config_static_selectorELNS0_4arch9wavefront6targetE1EEEvT1_,"axG",@progbits,_ZN7rocprim17ROCPRIM_400000_NS6detail17trampoline_kernelINS0_14default_configENS1_20scan_config_selectorIyEEZZNS1_9scan_implILNS1_25lookback_scan_determinismE0ELb1ELb1ES3_N6thrust23THRUST_200600_302600_NS6detail15normal_iteratorINS9_10device_ptrIyEEEENS9_16discard_iteratorINS9_11use_defaultEEEyNS9_4plusIvEEyEEDaPvRmT3_T4_T5_mT6_P12ihipStream_tbENKUlT_T0_E_clISt17integral_constantIbLb0EESX_EEDaSS_ST_EUlSS_E0_NS1_11comp_targetILNS1_3genE0ELNS1_11target_archE4294967295ELNS1_3gpuE0ELNS1_3repE0EEENS1_30default_config_static_selectorELNS0_4arch9wavefront6targetE1EEEvT1_,comdat
	.protected	_ZN7rocprim17ROCPRIM_400000_NS6detail17trampoline_kernelINS0_14default_configENS1_20scan_config_selectorIyEEZZNS1_9scan_implILNS1_25lookback_scan_determinismE0ELb1ELb1ES3_N6thrust23THRUST_200600_302600_NS6detail15normal_iteratorINS9_10device_ptrIyEEEENS9_16discard_iteratorINS9_11use_defaultEEEyNS9_4plusIvEEyEEDaPvRmT3_T4_T5_mT6_P12ihipStream_tbENKUlT_T0_E_clISt17integral_constantIbLb0EESX_EEDaSS_ST_EUlSS_E0_NS1_11comp_targetILNS1_3genE0ELNS1_11target_archE4294967295ELNS1_3gpuE0ELNS1_3repE0EEENS1_30default_config_static_selectorELNS0_4arch9wavefront6targetE1EEEvT1_ ; -- Begin function _ZN7rocprim17ROCPRIM_400000_NS6detail17trampoline_kernelINS0_14default_configENS1_20scan_config_selectorIyEEZZNS1_9scan_implILNS1_25lookback_scan_determinismE0ELb1ELb1ES3_N6thrust23THRUST_200600_302600_NS6detail15normal_iteratorINS9_10device_ptrIyEEEENS9_16discard_iteratorINS9_11use_defaultEEEyNS9_4plusIvEEyEEDaPvRmT3_T4_T5_mT6_P12ihipStream_tbENKUlT_T0_E_clISt17integral_constantIbLb0EESX_EEDaSS_ST_EUlSS_E0_NS1_11comp_targetILNS1_3genE0ELNS1_11target_archE4294967295ELNS1_3gpuE0ELNS1_3repE0EEENS1_30default_config_static_selectorELNS0_4arch9wavefront6targetE1EEEvT1_
	.globl	_ZN7rocprim17ROCPRIM_400000_NS6detail17trampoline_kernelINS0_14default_configENS1_20scan_config_selectorIyEEZZNS1_9scan_implILNS1_25lookback_scan_determinismE0ELb1ELb1ES3_N6thrust23THRUST_200600_302600_NS6detail15normal_iteratorINS9_10device_ptrIyEEEENS9_16discard_iteratorINS9_11use_defaultEEEyNS9_4plusIvEEyEEDaPvRmT3_T4_T5_mT6_P12ihipStream_tbENKUlT_T0_E_clISt17integral_constantIbLb0EESX_EEDaSS_ST_EUlSS_E0_NS1_11comp_targetILNS1_3genE0ELNS1_11target_archE4294967295ELNS1_3gpuE0ELNS1_3repE0EEENS1_30default_config_static_selectorELNS0_4arch9wavefront6targetE1EEEvT1_
	.p2align	8
	.type	_ZN7rocprim17ROCPRIM_400000_NS6detail17trampoline_kernelINS0_14default_configENS1_20scan_config_selectorIyEEZZNS1_9scan_implILNS1_25lookback_scan_determinismE0ELb1ELb1ES3_N6thrust23THRUST_200600_302600_NS6detail15normal_iteratorINS9_10device_ptrIyEEEENS9_16discard_iteratorINS9_11use_defaultEEEyNS9_4plusIvEEyEEDaPvRmT3_T4_T5_mT6_P12ihipStream_tbENKUlT_T0_E_clISt17integral_constantIbLb0EESX_EEDaSS_ST_EUlSS_E0_NS1_11comp_targetILNS1_3genE0ELNS1_11target_archE4294967295ELNS1_3gpuE0ELNS1_3repE0EEENS1_30default_config_static_selectorELNS0_4arch9wavefront6targetE1EEEvT1_,@function
_ZN7rocprim17ROCPRIM_400000_NS6detail17trampoline_kernelINS0_14default_configENS1_20scan_config_selectorIyEEZZNS1_9scan_implILNS1_25lookback_scan_determinismE0ELb1ELb1ES3_N6thrust23THRUST_200600_302600_NS6detail15normal_iteratorINS9_10device_ptrIyEEEENS9_16discard_iteratorINS9_11use_defaultEEEyNS9_4plusIvEEyEEDaPvRmT3_T4_T5_mT6_P12ihipStream_tbENKUlT_T0_E_clISt17integral_constantIbLb0EESX_EEDaSS_ST_EUlSS_E0_NS1_11comp_targetILNS1_3genE0ELNS1_11target_archE4294967295ELNS1_3gpuE0ELNS1_3repE0EEENS1_30default_config_static_selectorELNS0_4arch9wavefront6targetE1EEEvT1_: ; @_ZN7rocprim17ROCPRIM_400000_NS6detail17trampoline_kernelINS0_14default_configENS1_20scan_config_selectorIyEEZZNS1_9scan_implILNS1_25lookback_scan_determinismE0ELb1ELb1ES3_N6thrust23THRUST_200600_302600_NS6detail15normal_iteratorINS9_10device_ptrIyEEEENS9_16discard_iteratorINS9_11use_defaultEEEyNS9_4plusIvEEyEEDaPvRmT3_T4_T5_mT6_P12ihipStream_tbENKUlT_T0_E_clISt17integral_constantIbLb0EESX_EEDaSS_ST_EUlSS_E0_NS1_11comp_targetILNS1_3genE0ELNS1_11target_archE4294967295ELNS1_3gpuE0ELNS1_3repE0EEENS1_30default_config_static_selectorELNS0_4arch9wavefront6targetE1EEEvT1_
; %bb.0:
	.section	.rodata,"a",@progbits
	.p2align	6, 0x0
	.amdhsa_kernel _ZN7rocprim17ROCPRIM_400000_NS6detail17trampoline_kernelINS0_14default_configENS1_20scan_config_selectorIyEEZZNS1_9scan_implILNS1_25lookback_scan_determinismE0ELb1ELb1ES3_N6thrust23THRUST_200600_302600_NS6detail15normal_iteratorINS9_10device_ptrIyEEEENS9_16discard_iteratorINS9_11use_defaultEEEyNS9_4plusIvEEyEEDaPvRmT3_T4_T5_mT6_P12ihipStream_tbENKUlT_T0_E_clISt17integral_constantIbLb0EESX_EEDaSS_ST_EUlSS_E0_NS1_11comp_targetILNS1_3genE0ELNS1_11target_archE4294967295ELNS1_3gpuE0ELNS1_3repE0EEENS1_30default_config_static_selectorELNS0_4arch9wavefront6targetE1EEEvT1_
		.amdhsa_group_segment_fixed_size 0
		.amdhsa_private_segment_fixed_size 0
		.amdhsa_kernarg_size 48
		.amdhsa_user_sgpr_count 6
		.amdhsa_user_sgpr_private_segment_buffer 1
		.amdhsa_user_sgpr_dispatch_ptr 0
		.amdhsa_user_sgpr_queue_ptr 0
		.amdhsa_user_sgpr_kernarg_segment_ptr 1
		.amdhsa_user_sgpr_dispatch_id 0
		.amdhsa_user_sgpr_flat_scratch_init 0
		.amdhsa_user_sgpr_kernarg_preload_length 0
		.amdhsa_user_sgpr_kernarg_preload_offset 0
		.amdhsa_user_sgpr_private_segment_size 0
		.amdhsa_uses_dynamic_stack 0
		.amdhsa_system_sgpr_private_segment_wavefront_offset 0
		.amdhsa_system_sgpr_workgroup_id_x 1
		.amdhsa_system_sgpr_workgroup_id_y 0
		.amdhsa_system_sgpr_workgroup_id_z 0
		.amdhsa_system_sgpr_workgroup_info 0
		.amdhsa_system_vgpr_workitem_id 0
		.amdhsa_next_free_vgpr 1
		.amdhsa_next_free_sgpr 0
		.amdhsa_accum_offset 4
		.amdhsa_reserve_vcc 0
		.amdhsa_reserve_flat_scratch 0
		.amdhsa_float_round_mode_32 0
		.amdhsa_float_round_mode_16_64 0
		.amdhsa_float_denorm_mode_32 3
		.amdhsa_float_denorm_mode_16_64 3
		.amdhsa_dx10_clamp 1
		.amdhsa_ieee_mode 1
		.amdhsa_fp16_overflow 0
		.amdhsa_tg_split 0
		.amdhsa_exception_fp_ieee_invalid_op 0
		.amdhsa_exception_fp_denorm_src 0
		.amdhsa_exception_fp_ieee_div_zero 0
		.amdhsa_exception_fp_ieee_overflow 0
		.amdhsa_exception_fp_ieee_underflow 0
		.amdhsa_exception_fp_ieee_inexact 0
		.amdhsa_exception_int_div_zero 0
	.end_amdhsa_kernel
	.section	.text._ZN7rocprim17ROCPRIM_400000_NS6detail17trampoline_kernelINS0_14default_configENS1_20scan_config_selectorIyEEZZNS1_9scan_implILNS1_25lookback_scan_determinismE0ELb1ELb1ES3_N6thrust23THRUST_200600_302600_NS6detail15normal_iteratorINS9_10device_ptrIyEEEENS9_16discard_iteratorINS9_11use_defaultEEEyNS9_4plusIvEEyEEDaPvRmT3_T4_T5_mT6_P12ihipStream_tbENKUlT_T0_E_clISt17integral_constantIbLb0EESX_EEDaSS_ST_EUlSS_E0_NS1_11comp_targetILNS1_3genE0ELNS1_11target_archE4294967295ELNS1_3gpuE0ELNS1_3repE0EEENS1_30default_config_static_selectorELNS0_4arch9wavefront6targetE1EEEvT1_,"axG",@progbits,_ZN7rocprim17ROCPRIM_400000_NS6detail17trampoline_kernelINS0_14default_configENS1_20scan_config_selectorIyEEZZNS1_9scan_implILNS1_25lookback_scan_determinismE0ELb1ELb1ES3_N6thrust23THRUST_200600_302600_NS6detail15normal_iteratorINS9_10device_ptrIyEEEENS9_16discard_iteratorINS9_11use_defaultEEEyNS9_4plusIvEEyEEDaPvRmT3_T4_T5_mT6_P12ihipStream_tbENKUlT_T0_E_clISt17integral_constantIbLb0EESX_EEDaSS_ST_EUlSS_E0_NS1_11comp_targetILNS1_3genE0ELNS1_11target_archE4294967295ELNS1_3gpuE0ELNS1_3repE0EEENS1_30default_config_static_selectorELNS0_4arch9wavefront6targetE1EEEvT1_,comdat
.Lfunc_end5231:
	.size	_ZN7rocprim17ROCPRIM_400000_NS6detail17trampoline_kernelINS0_14default_configENS1_20scan_config_selectorIyEEZZNS1_9scan_implILNS1_25lookback_scan_determinismE0ELb1ELb1ES3_N6thrust23THRUST_200600_302600_NS6detail15normal_iteratorINS9_10device_ptrIyEEEENS9_16discard_iteratorINS9_11use_defaultEEEyNS9_4plusIvEEyEEDaPvRmT3_T4_T5_mT6_P12ihipStream_tbENKUlT_T0_E_clISt17integral_constantIbLb0EESX_EEDaSS_ST_EUlSS_E0_NS1_11comp_targetILNS1_3genE0ELNS1_11target_archE4294967295ELNS1_3gpuE0ELNS1_3repE0EEENS1_30default_config_static_selectorELNS0_4arch9wavefront6targetE1EEEvT1_, .Lfunc_end5231-_ZN7rocprim17ROCPRIM_400000_NS6detail17trampoline_kernelINS0_14default_configENS1_20scan_config_selectorIyEEZZNS1_9scan_implILNS1_25lookback_scan_determinismE0ELb1ELb1ES3_N6thrust23THRUST_200600_302600_NS6detail15normal_iteratorINS9_10device_ptrIyEEEENS9_16discard_iteratorINS9_11use_defaultEEEyNS9_4plusIvEEyEEDaPvRmT3_T4_T5_mT6_P12ihipStream_tbENKUlT_T0_E_clISt17integral_constantIbLb0EESX_EEDaSS_ST_EUlSS_E0_NS1_11comp_targetILNS1_3genE0ELNS1_11target_archE4294967295ELNS1_3gpuE0ELNS1_3repE0EEENS1_30default_config_static_selectorELNS0_4arch9wavefront6targetE1EEEvT1_
                                        ; -- End function
	.section	.AMDGPU.csdata,"",@progbits
; Kernel info:
; codeLenInByte = 0
; NumSgprs: 4
; NumVgprs: 0
; NumAgprs: 0
; TotalNumVgprs: 0
; ScratchSize: 0
; MemoryBound: 0
; FloatMode: 240
; IeeeMode: 1
; LDSByteSize: 0 bytes/workgroup (compile time only)
; SGPRBlocks: 0
; VGPRBlocks: 0
; NumSGPRsForWavesPerEU: 4
; NumVGPRsForWavesPerEU: 1
; AccumOffset: 4
; Occupancy: 8
; WaveLimiterHint : 0
; COMPUTE_PGM_RSRC2:SCRATCH_EN: 0
; COMPUTE_PGM_RSRC2:USER_SGPR: 6
; COMPUTE_PGM_RSRC2:TRAP_HANDLER: 0
; COMPUTE_PGM_RSRC2:TGID_X_EN: 1
; COMPUTE_PGM_RSRC2:TGID_Y_EN: 0
; COMPUTE_PGM_RSRC2:TGID_Z_EN: 0
; COMPUTE_PGM_RSRC2:TIDIG_COMP_CNT: 0
; COMPUTE_PGM_RSRC3_GFX90A:ACCUM_OFFSET: 0
; COMPUTE_PGM_RSRC3_GFX90A:TG_SPLIT: 0
	.section	.text._ZN7rocprim17ROCPRIM_400000_NS6detail17trampoline_kernelINS0_14default_configENS1_20scan_config_selectorIyEEZZNS1_9scan_implILNS1_25lookback_scan_determinismE0ELb1ELb1ES3_N6thrust23THRUST_200600_302600_NS6detail15normal_iteratorINS9_10device_ptrIyEEEENS9_16discard_iteratorINS9_11use_defaultEEEyNS9_4plusIvEEyEEDaPvRmT3_T4_T5_mT6_P12ihipStream_tbENKUlT_T0_E_clISt17integral_constantIbLb0EESX_EEDaSS_ST_EUlSS_E0_NS1_11comp_targetILNS1_3genE5ELNS1_11target_archE942ELNS1_3gpuE9ELNS1_3repE0EEENS1_30default_config_static_selectorELNS0_4arch9wavefront6targetE1EEEvT1_,"axG",@progbits,_ZN7rocprim17ROCPRIM_400000_NS6detail17trampoline_kernelINS0_14default_configENS1_20scan_config_selectorIyEEZZNS1_9scan_implILNS1_25lookback_scan_determinismE0ELb1ELb1ES3_N6thrust23THRUST_200600_302600_NS6detail15normal_iteratorINS9_10device_ptrIyEEEENS9_16discard_iteratorINS9_11use_defaultEEEyNS9_4plusIvEEyEEDaPvRmT3_T4_T5_mT6_P12ihipStream_tbENKUlT_T0_E_clISt17integral_constantIbLb0EESX_EEDaSS_ST_EUlSS_E0_NS1_11comp_targetILNS1_3genE5ELNS1_11target_archE942ELNS1_3gpuE9ELNS1_3repE0EEENS1_30default_config_static_selectorELNS0_4arch9wavefront6targetE1EEEvT1_,comdat
	.protected	_ZN7rocprim17ROCPRIM_400000_NS6detail17trampoline_kernelINS0_14default_configENS1_20scan_config_selectorIyEEZZNS1_9scan_implILNS1_25lookback_scan_determinismE0ELb1ELb1ES3_N6thrust23THRUST_200600_302600_NS6detail15normal_iteratorINS9_10device_ptrIyEEEENS9_16discard_iteratorINS9_11use_defaultEEEyNS9_4plusIvEEyEEDaPvRmT3_T4_T5_mT6_P12ihipStream_tbENKUlT_T0_E_clISt17integral_constantIbLb0EESX_EEDaSS_ST_EUlSS_E0_NS1_11comp_targetILNS1_3genE5ELNS1_11target_archE942ELNS1_3gpuE9ELNS1_3repE0EEENS1_30default_config_static_selectorELNS0_4arch9wavefront6targetE1EEEvT1_ ; -- Begin function _ZN7rocprim17ROCPRIM_400000_NS6detail17trampoline_kernelINS0_14default_configENS1_20scan_config_selectorIyEEZZNS1_9scan_implILNS1_25lookback_scan_determinismE0ELb1ELb1ES3_N6thrust23THRUST_200600_302600_NS6detail15normal_iteratorINS9_10device_ptrIyEEEENS9_16discard_iteratorINS9_11use_defaultEEEyNS9_4plusIvEEyEEDaPvRmT3_T4_T5_mT6_P12ihipStream_tbENKUlT_T0_E_clISt17integral_constantIbLb0EESX_EEDaSS_ST_EUlSS_E0_NS1_11comp_targetILNS1_3genE5ELNS1_11target_archE942ELNS1_3gpuE9ELNS1_3repE0EEENS1_30default_config_static_selectorELNS0_4arch9wavefront6targetE1EEEvT1_
	.globl	_ZN7rocprim17ROCPRIM_400000_NS6detail17trampoline_kernelINS0_14default_configENS1_20scan_config_selectorIyEEZZNS1_9scan_implILNS1_25lookback_scan_determinismE0ELb1ELb1ES3_N6thrust23THRUST_200600_302600_NS6detail15normal_iteratorINS9_10device_ptrIyEEEENS9_16discard_iteratorINS9_11use_defaultEEEyNS9_4plusIvEEyEEDaPvRmT3_T4_T5_mT6_P12ihipStream_tbENKUlT_T0_E_clISt17integral_constantIbLb0EESX_EEDaSS_ST_EUlSS_E0_NS1_11comp_targetILNS1_3genE5ELNS1_11target_archE942ELNS1_3gpuE9ELNS1_3repE0EEENS1_30default_config_static_selectorELNS0_4arch9wavefront6targetE1EEEvT1_
	.p2align	8
	.type	_ZN7rocprim17ROCPRIM_400000_NS6detail17trampoline_kernelINS0_14default_configENS1_20scan_config_selectorIyEEZZNS1_9scan_implILNS1_25lookback_scan_determinismE0ELb1ELb1ES3_N6thrust23THRUST_200600_302600_NS6detail15normal_iteratorINS9_10device_ptrIyEEEENS9_16discard_iteratorINS9_11use_defaultEEEyNS9_4plusIvEEyEEDaPvRmT3_T4_T5_mT6_P12ihipStream_tbENKUlT_T0_E_clISt17integral_constantIbLb0EESX_EEDaSS_ST_EUlSS_E0_NS1_11comp_targetILNS1_3genE5ELNS1_11target_archE942ELNS1_3gpuE9ELNS1_3repE0EEENS1_30default_config_static_selectorELNS0_4arch9wavefront6targetE1EEEvT1_,@function
_ZN7rocprim17ROCPRIM_400000_NS6detail17trampoline_kernelINS0_14default_configENS1_20scan_config_selectorIyEEZZNS1_9scan_implILNS1_25lookback_scan_determinismE0ELb1ELb1ES3_N6thrust23THRUST_200600_302600_NS6detail15normal_iteratorINS9_10device_ptrIyEEEENS9_16discard_iteratorINS9_11use_defaultEEEyNS9_4plusIvEEyEEDaPvRmT3_T4_T5_mT6_P12ihipStream_tbENKUlT_T0_E_clISt17integral_constantIbLb0EESX_EEDaSS_ST_EUlSS_E0_NS1_11comp_targetILNS1_3genE5ELNS1_11target_archE942ELNS1_3gpuE9ELNS1_3repE0EEENS1_30default_config_static_selectorELNS0_4arch9wavefront6targetE1EEEvT1_: ; @_ZN7rocprim17ROCPRIM_400000_NS6detail17trampoline_kernelINS0_14default_configENS1_20scan_config_selectorIyEEZZNS1_9scan_implILNS1_25lookback_scan_determinismE0ELb1ELb1ES3_N6thrust23THRUST_200600_302600_NS6detail15normal_iteratorINS9_10device_ptrIyEEEENS9_16discard_iteratorINS9_11use_defaultEEEyNS9_4plusIvEEyEEDaPvRmT3_T4_T5_mT6_P12ihipStream_tbENKUlT_T0_E_clISt17integral_constantIbLb0EESX_EEDaSS_ST_EUlSS_E0_NS1_11comp_targetILNS1_3genE5ELNS1_11target_archE942ELNS1_3gpuE9ELNS1_3repE0EEENS1_30default_config_static_selectorELNS0_4arch9wavefront6targetE1EEEvT1_
; %bb.0:
	.section	.rodata,"a",@progbits
	.p2align	6, 0x0
	.amdhsa_kernel _ZN7rocprim17ROCPRIM_400000_NS6detail17trampoline_kernelINS0_14default_configENS1_20scan_config_selectorIyEEZZNS1_9scan_implILNS1_25lookback_scan_determinismE0ELb1ELb1ES3_N6thrust23THRUST_200600_302600_NS6detail15normal_iteratorINS9_10device_ptrIyEEEENS9_16discard_iteratorINS9_11use_defaultEEEyNS9_4plusIvEEyEEDaPvRmT3_T4_T5_mT6_P12ihipStream_tbENKUlT_T0_E_clISt17integral_constantIbLb0EESX_EEDaSS_ST_EUlSS_E0_NS1_11comp_targetILNS1_3genE5ELNS1_11target_archE942ELNS1_3gpuE9ELNS1_3repE0EEENS1_30default_config_static_selectorELNS0_4arch9wavefront6targetE1EEEvT1_
		.amdhsa_group_segment_fixed_size 0
		.amdhsa_private_segment_fixed_size 0
		.amdhsa_kernarg_size 48
		.amdhsa_user_sgpr_count 6
		.amdhsa_user_sgpr_private_segment_buffer 1
		.amdhsa_user_sgpr_dispatch_ptr 0
		.amdhsa_user_sgpr_queue_ptr 0
		.amdhsa_user_sgpr_kernarg_segment_ptr 1
		.amdhsa_user_sgpr_dispatch_id 0
		.amdhsa_user_sgpr_flat_scratch_init 0
		.amdhsa_user_sgpr_kernarg_preload_length 0
		.amdhsa_user_sgpr_kernarg_preload_offset 0
		.amdhsa_user_sgpr_private_segment_size 0
		.amdhsa_uses_dynamic_stack 0
		.amdhsa_system_sgpr_private_segment_wavefront_offset 0
		.amdhsa_system_sgpr_workgroup_id_x 1
		.amdhsa_system_sgpr_workgroup_id_y 0
		.amdhsa_system_sgpr_workgroup_id_z 0
		.amdhsa_system_sgpr_workgroup_info 0
		.amdhsa_system_vgpr_workitem_id 0
		.amdhsa_next_free_vgpr 1
		.amdhsa_next_free_sgpr 0
		.amdhsa_accum_offset 4
		.amdhsa_reserve_vcc 0
		.amdhsa_reserve_flat_scratch 0
		.amdhsa_float_round_mode_32 0
		.amdhsa_float_round_mode_16_64 0
		.amdhsa_float_denorm_mode_32 3
		.amdhsa_float_denorm_mode_16_64 3
		.amdhsa_dx10_clamp 1
		.amdhsa_ieee_mode 1
		.amdhsa_fp16_overflow 0
		.amdhsa_tg_split 0
		.amdhsa_exception_fp_ieee_invalid_op 0
		.amdhsa_exception_fp_denorm_src 0
		.amdhsa_exception_fp_ieee_div_zero 0
		.amdhsa_exception_fp_ieee_overflow 0
		.amdhsa_exception_fp_ieee_underflow 0
		.amdhsa_exception_fp_ieee_inexact 0
		.amdhsa_exception_int_div_zero 0
	.end_amdhsa_kernel
	.section	.text._ZN7rocprim17ROCPRIM_400000_NS6detail17trampoline_kernelINS0_14default_configENS1_20scan_config_selectorIyEEZZNS1_9scan_implILNS1_25lookback_scan_determinismE0ELb1ELb1ES3_N6thrust23THRUST_200600_302600_NS6detail15normal_iteratorINS9_10device_ptrIyEEEENS9_16discard_iteratorINS9_11use_defaultEEEyNS9_4plusIvEEyEEDaPvRmT3_T4_T5_mT6_P12ihipStream_tbENKUlT_T0_E_clISt17integral_constantIbLb0EESX_EEDaSS_ST_EUlSS_E0_NS1_11comp_targetILNS1_3genE5ELNS1_11target_archE942ELNS1_3gpuE9ELNS1_3repE0EEENS1_30default_config_static_selectorELNS0_4arch9wavefront6targetE1EEEvT1_,"axG",@progbits,_ZN7rocprim17ROCPRIM_400000_NS6detail17trampoline_kernelINS0_14default_configENS1_20scan_config_selectorIyEEZZNS1_9scan_implILNS1_25lookback_scan_determinismE0ELb1ELb1ES3_N6thrust23THRUST_200600_302600_NS6detail15normal_iteratorINS9_10device_ptrIyEEEENS9_16discard_iteratorINS9_11use_defaultEEEyNS9_4plusIvEEyEEDaPvRmT3_T4_T5_mT6_P12ihipStream_tbENKUlT_T0_E_clISt17integral_constantIbLb0EESX_EEDaSS_ST_EUlSS_E0_NS1_11comp_targetILNS1_3genE5ELNS1_11target_archE942ELNS1_3gpuE9ELNS1_3repE0EEENS1_30default_config_static_selectorELNS0_4arch9wavefront6targetE1EEEvT1_,comdat
.Lfunc_end5232:
	.size	_ZN7rocprim17ROCPRIM_400000_NS6detail17trampoline_kernelINS0_14default_configENS1_20scan_config_selectorIyEEZZNS1_9scan_implILNS1_25lookback_scan_determinismE0ELb1ELb1ES3_N6thrust23THRUST_200600_302600_NS6detail15normal_iteratorINS9_10device_ptrIyEEEENS9_16discard_iteratorINS9_11use_defaultEEEyNS9_4plusIvEEyEEDaPvRmT3_T4_T5_mT6_P12ihipStream_tbENKUlT_T0_E_clISt17integral_constantIbLb0EESX_EEDaSS_ST_EUlSS_E0_NS1_11comp_targetILNS1_3genE5ELNS1_11target_archE942ELNS1_3gpuE9ELNS1_3repE0EEENS1_30default_config_static_selectorELNS0_4arch9wavefront6targetE1EEEvT1_, .Lfunc_end5232-_ZN7rocprim17ROCPRIM_400000_NS6detail17trampoline_kernelINS0_14default_configENS1_20scan_config_selectorIyEEZZNS1_9scan_implILNS1_25lookback_scan_determinismE0ELb1ELb1ES3_N6thrust23THRUST_200600_302600_NS6detail15normal_iteratorINS9_10device_ptrIyEEEENS9_16discard_iteratorINS9_11use_defaultEEEyNS9_4plusIvEEyEEDaPvRmT3_T4_T5_mT6_P12ihipStream_tbENKUlT_T0_E_clISt17integral_constantIbLb0EESX_EEDaSS_ST_EUlSS_E0_NS1_11comp_targetILNS1_3genE5ELNS1_11target_archE942ELNS1_3gpuE9ELNS1_3repE0EEENS1_30default_config_static_selectorELNS0_4arch9wavefront6targetE1EEEvT1_
                                        ; -- End function
	.section	.AMDGPU.csdata,"",@progbits
; Kernel info:
; codeLenInByte = 0
; NumSgprs: 4
; NumVgprs: 0
; NumAgprs: 0
; TotalNumVgprs: 0
; ScratchSize: 0
; MemoryBound: 0
; FloatMode: 240
; IeeeMode: 1
; LDSByteSize: 0 bytes/workgroup (compile time only)
; SGPRBlocks: 0
; VGPRBlocks: 0
; NumSGPRsForWavesPerEU: 4
; NumVGPRsForWavesPerEU: 1
; AccumOffset: 4
; Occupancy: 8
; WaveLimiterHint : 0
; COMPUTE_PGM_RSRC2:SCRATCH_EN: 0
; COMPUTE_PGM_RSRC2:USER_SGPR: 6
; COMPUTE_PGM_RSRC2:TRAP_HANDLER: 0
; COMPUTE_PGM_RSRC2:TGID_X_EN: 1
; COMPUTE_PGM_RSRC2:TGID_Y_EN: 0
; COMPUTE_PGM_RSRC2:TGID_Z_EN: 0
; COMPUTE_PGM_RSRC2:TIDIG_COMP_CNT: 0
; COMPUTE_PGM_RSRC3_GFX90A:ACCUM_OFFSET: 0
; COMPUTE_PGM_RSRC3_GFX90A:TG_SPLIT: 0
	.section	.text._ZN7rocprim17ROCPRIM_400000_NS6detail17trampoline_kernelINS0_14default_configENS1_20scan_config_selectorIyEEZZNS1_9scan_implILNS1_25lookback_scan_determinismE0ELb1ELb1ES3_N6thrust23THRUST_200600_302600_NS6detail15normal_iteratorINS9_10device_ptrIyEEEENS9_16discard_iteratorINS9_11use_defaultEEEyNS9_4plusIvEEyEEDaPvRmT3_T4_T5_mT6_P12ihipStream_tbENKUlT_T0_E_clISt17integral_constantIbLb0EESX_EEDaSS_ST_EUlSS_E0_NS1_11comp_targetILNS1_3genE4ELNS1_11target_archE910ELNS1_3gpuE8ELNS1_3repE0EEENS1_30default_config_static_selectorELNS0_4arch9wavefront6targetE1EEEvT1_,"axG",@progbits,_ZN7rocprim17ROCPRIM_400000_NS6detail17trampoline_kernelINS0_14default_configENS1_20scan_config_selectorIyEEZZNS1_9scan_implILNS1_25lookback_scan_determinismE0ELb1ELb1ES3_N6thrust23THRUST_200600_302600_NS6detail15normal_iteratorINS9_10device_ptrIyEEEENS9_16discard_iteratorINS9_11use_defaultEEEyNS9_4plusIvEEyEEDaPvRmT3_T4_T5_mT6_P12ihipStream_tbENKUlT_T0_E_clISt17integral_constantIbLb0EESX_EEDaSS_ST_EUlSS_E0_NS1_11comp_targetILNS1_3genE4ELNS1_11target_archE910ELNS1_3gpuE8ELNS1_3repE0EEENS1_30default_config_static_selectorELNS0_4arch9wavefront6targetE1EEEvT1_,comdat
	.protected	_ZN7rocprim17ROCPRIM_400000_NS6detail17trampoline_kernelINS0_14default_configENS1_20scan_config_selectorIyEEZZNS1_9scan_implILNS1_25lookback_scan_determinismE0ELb1ELb1ES3_N6thrust23THRUST_200600_302600_NS6detail15normal_iteratorINS9_10device_ptrIyEEEENS9_16discard_iteratorINS9_11use_defaultEEEyNS9_4plusIvEEyEEDaPvRmT3_T4_T5_mT6_P12ihipStream_tbENKUlT_T0_E_clISt17integral_constantIbLb0EESX_EEDaSS_ST_EUlSS_E0_NS1_11comp_targetILNS1_3genE4ELNS1_11target_archE910ELNS1_3gpuE8ELNS1_3repE0EEENS1_30default_config_static_selectorELNS0_4arch9wavefront6targetE1EEEvT1_ ; -- Begin function _ZN7rocprim17ROCPRIM_400000_NS6detail17trampoline_kernelINS0_14default_configENS1_20scan_config_selectorIyEEZZNS1_9scan_implILNS1_25lookback_scan_determinismE0ELb1ELb1ES3_N6thrust23THRUST_200600_302600_NS6detail15normal_iteratorINS9_10device_ptrIyEEEENS9_16discard_iteratorINS9_11use_defaultEEEyNS9_4plusIvEEyEEDaPvRmT3_T4_T5_mT6_P12ihipStream_tbENKUlT_T0_E_clISt17integral_constantIbLb0EESX_EEDaSS_ST_EUlSS_E0_NS1_11comp_targetILNS1_3genE4ELNS1_11target_archE910ELNS1_3gpuE8ELNS1_3repE0EEENS1_30default_config_static_selectorELNS0_4arch9wavefront6targetE1EEEvT1_
	.globl	_ZN7rocprim17ROCPRIM_400000_NS6detail17trampoline_kernelINS0_14default_configENS1_20scan_config_selectorIyEEZZNS1_9scan_implILNS1_25lookback_scan_determinismE0ELb1ELb1ES3_N6thrust23THRUST_200600_302600_NS6detail15normal_iteratorINS9_10device_ptrIyEEEENS9_16discard_iteratorINS9_11use_defaultEEEyNS9_4plusIvEEyEEDaPvRmT3_T4_T5_mT6_P12ihipStream_tbENKUlT_T0_E_clISt17integral_constantIbLb0EESX_EEDaSS_ST_EUlSS_E0_NS1_11comp_targetILNS1_3genE4ELNS1_11target_archE910ELNS1_3gpuE8ELNS1_3repE0EEENS1_30default_config_static_selectorELNS0_4arch9wavefront6targetE1EEEvT1_
	.p2align	8
	.type	_ZN7rocprim17ROCPRIM_400000_NS6detail17trampoline_kernelINS0_14default_configENS1_20scan_config_selectorIyEEZZNS1_9scan_implILNS1_25lookback_scan_determinismE0ELb1ELb1ES3_N6thrust23THRUST_200600_302600_NS6detail15normal_iteratorINS9_10device_ptrIyEEEENS9_16discard_iteratorINS9_11use_defaultEEEyNS9_4plusIvEEyEEDaPvRmT3_T4_T5_mT6_P12ihipStream_tbENKUlT_T0_E_clISt17integral_constantIbLb0EESX_EEDaSS_ST_EUlSS_E0_NS1_11comp_targetILNS1_3genE4ELNS1_11target_archE910ELNS1_3gpuE8ELNS1_3repE0EEENS1_30default_config_static_selectorELNS0_4arch9wavefront6targetE1EEEvT1_,@function
_ZN7rocprim17ROCPRIM_400000_NS6detail17trampoline_kernelINS0_14default_configENS1_20scan_config_selectorIyEEZZNS1_9scan_implILNS1_25lookback_scan_determinismE0ELb1ELb1ES3_N6thrust23THRUST_200600_302600_NS6detail15normal_iteratorINS9_10device_ptrIyEEEENS9_16discard_iteratorINS9_11use_defaultEEEyNS9_4plusIvEEyEEDaPvRmT3_T4_T5_mT6_P12ihipStream_tbENKUlT_T0_E_clISt17integral_constantIbLb0EESX_EEDaSS_ST_EUlSS_E0_NS1_11comp_targetILNS1_3genE4ELNS1_11target_archE910ELNS1_3gpuE8ELNS1_3repE0EEENS1_30default_config_static_selectorELNS0_4arch9wavefront6targetE1EEEvT1_: ; @_ZN7rocprim17ROCPRIM_400000_NS6detail17trampoline_kernelINS0_14default_configENS1_20scan_config_selectorIyEEZZNS1_9scan_implILNS1_25lookback_scan_determinismE0ELb1ELb1ES3_N6thrust23THRUST_200600_302600_NS6detail15normal_iteratorINS9_10device_ptrIyEEEENS9_16discard_iteratorINS9_11use_defaultEEEyNS9_4plusIvEEyEEDaPvRmT3_T4_T5_mT6_P12ihipStream_tbENKUlT_T0_E_clISt17integral_constantIbLb0EESX_EEDaSS_ST_EUlSS_E0_NS1_11comp_targetILNS1_3genE4ELNS1_11target_archE910ELNS1_3gpuE8ELNS1_3repE0EEENS1_30default_config_static_selectorELNS0_4arch9wavefront6targetE1EEEvT1_
; %bb.0:
	s_load_dwordx4 s[0:3], s[4:5], 0x0
	v_lshlrev_b32_e32 v20, 3, v0
	s_waitcnt lgkmcnt(0)
	s_load_dwordx2 s[6:7], s[0:1], 0x0
	v_cmp_gt_u32_e32 vcc, s2, v0
	s_waitcnt lgkmcnt(0)
	v_pk_mov_b32 v[2:3], s[6:7], s[6:7] op_sel:[0,1]
	s_and_saveexec_b64 s[8:9], vcc
	s_cbranch_execz .LBB5233_2
; %bb.1:
	global_load_dwordx2 v[2:3], v20, s[0:1]
.LBB5233_2:
	s_or_b64 exec, exec, s[8:9]
	v_or_b32_e32 v1, 0x80, v0
	v_cmp_gt_u32_e32 vcc, s2, v1
	v_pk_mov_b32 v[4:5], s[6:7], s[6:7] op_sel:[0,1]
	s_and_saveexec_b64 s[8:9], vcc
	s_cbranch_execz .LBB5233_4
; %bb.3:
	global_load_dwordx2 v[4:5], v20, s[0:1] offset:1024
.LBB5233_4:
	s_or_b64 exec, exec, s[8:9]
	v_or_b32_e32 v1, 0x100, v0
	v_cmp_gt_u32_e32 vcc, s2, v1
	v_pk_mov_b32 v[6:7], s[6:7], s[6:7] op_sel:[0,1]
	s_and_saveexec_b64 s[8:9], vcc
	s_cbranch_execz .LBB5233_6
; %bb.5:
	global_load_dwordx2 v[6:7], v20, s[0:1] offset:2048
.LBB5233_6:
	;; [unrolled: 9-line block ×3, first 2 shown]
	s_or_b64 exec, exec, s[8:9]
	v_or_b32_e32 v1, 0x200, v0
	v_cmp_gt_u32_e32 vcc, s2, v1
	v_pk_mov_b32 v[10:11], s[6:7], s[6:7] op_sel:[0,1]
	s_and_saveexec_b64 s[8:9], vcc
	s_cbranch_execz .LBB5233_10
; %bb.9:
	v_lshlrev_b32_e32 v1, 3, v1
	global_load_dwordx2 v[10:11], v1, s[0:1]
.LBB5233_10:
	s_or_b64 exec, exec, s[8:9]
	v_or_b32_e32 v1, 0x280, v0
	v_cmp_gt_u32_e32 vcc, s2, v1
	v_pk_mov_b32 v[12:13], s[6:7], s[6:7] op_sel:[0,1]
	s_and_saveexec_b64 s[8:9], vcc
	s_cbranch_execz .LBB5233_12
; %bb.11:
	v_lshlrev_b32_e32 v1, 3, v1
	global_load_dwordx2 v[12:13], v1, s[0:1]
.LBB5233_12:
	s_or_b64 exec, exec, s[8:9]
	s_load_dwordx2 s[4:5], s[4:5], 0x10
	v_or_b32_e32 v1, 0x300, v0
	v_cmp_gt_u32_e32 vcc, s2, v1
	v_pk_mov_b32 v[14:15], s[6:7], s[6:7] op_sel:[0,1]
	s_and_saveexec_b64 s[2:3], vcc
	s_cbranch_execz .LBB5233_14
; %bb.13:
	v_lshlrev_b32_e32 v1, 3, v1
	global_load_dwordx2 v[14:15], v1, s[0:1]
.LBB5233_14:
	s_or_b64 exec, exec, s[2:3]
	v_mad_u32_u24 v1, v0, 48, v20
	s_waitcnt vmcnt(0)
	ds_write2st64_b64 v20, v[2:3], v[4:5] offset1:2
	ds_write2st64_b64 v20, v[6:7], v[8:9] offset0:4 offset1:6
	ds_write2st64_b64 v20, v[10:11], v[12:13] offset0:8 offset1:10
	ds_write_b64 v20, v[14:15] offset:6144
	s_waitcnt lgkmcnt(0)
	s_barrier
	ds_read2_b64 v[2:5], v1 offset1:1
	ds_read2_b64 v[6:9], v1 offset0:2 offset1:3
	ds_read2_b64 v[10:13], v1 offset0:4 offset1:5
	ds_read_b64 v[14:15], v1 offset:48
	s_waitcnt lgkmcnt(0)
	v_add_co_u32_e32 v1, vcc, v4, v2
	v_addc_co_u32_e32 v16, vcc, v5, v3, vcc
	v_add_co_u32_e32 v1, vcc, v1, v6
	v_addc_co_u32_e32 v16, vcc, v16, v7, vcc
	;; [unrolled: 2-line block ×5, first 2 shown]
	v_add_co_u32_e32 v18, vcc, v1, v14
	v_lshrrev_b32_e32 v1, 2, v0
	v_addc_co_u32_e32 v19, vcc, v16, v15, vcc
	v_and_b32_e32 v1, 24, v1
	v_add_u32_e32 v1, v20, v1
	v_cmp_gt_u32_e32 vcc, 64, v0
	s_barrier
	ds_write_b64 v1, v[18:19]
	s_waitcnt lgkmcnt(0)
	s_barrier
	s_and_saveexec_b64 s[2:3], vcc
	s_cbranch_execz .LBB5233_18
; %bb.15:
	v_lshlrev_b32_e32 v1, 1, v0
	v_lshrrev_b32_e32 v14, 4, v0
	v_add_lshl_u32 v21, v14, v1, 3
	ds_read2_b64 v[14:17], v21 offset1:1
	v_mbcnt_lo_u32_b32 v1, -1, 0
	s_waitcnt lgkmcnt(0)
	v_add_co_u32_e32 v22, vcc, v16, v14
	v_addc_co_u32_e32 v23, vcc, v17, v15, vcc
	s_nop 0
	v_mov_b32_dpp v16, v22 row_shr:1 row_mask:0xf bank_mask:0xf
	v_add_co_u32_e32 v16, vcc, v22, v16
	v_addc_co_u32_e32 v25, vcc, 0, v23, vcc
	v_mbcnt_hi_u32_b32 v17, -1, v1
	v_mov_b32_dpp v24, v23 row_shr:1 row_mask:0xf bank_mask:0xf
	v_add_co_u32_e32 v26, vcc, 0, v16
	v_and_b32_e32 v1, 15, v17
	v_addc_co_u32_e32 v24, vcc, v24, v25, vcc
	v_cmp_eq_u32_e32 vcc, 0, v1
	v_cndmask_b32_e32 v16, v16, v22, vcc
	v_cndmask_b32_e32 v24, v24, v23, vcc
	v_cndmask_b32_e32 v25, v26, v22, vcc
	v_mov_b32_dpp v26, v16 row_shr:2 row_mask:0xf bank_mask:0xf
	v_mov_b32_dpp v27, v24 row_shr:2 row_mask:0xf bank_mask:0xf
	v_add_co_u32_e32 v26, vcc, v26, v25
	v_addc_co_u32_e32 v27, vcc, v27, v24, vcc
	v_cmp_lt_u32_e32 vcc, 1, v1
	v_cndmask_b32_e32 v16, v16, v26, vcc
	v_cndmask_b32_e32 v24, v24, v27, vcc
	v_cndmask_b32_e32 v25, v25, v26, vcc
	v_mov_b32_dpp v26, v16 row_shr:4 row_mask:0xf bank_mask:0xf
	v_mov_b32_dpp v27, v24 row_shr:4 row_mask:0xf bank_mask:0xf
	v_add_co_u32_e32 v26, vcc, v26, v25
	v_addc_co_u32_e32 v27, vcc, v27, v24, vcc
	v_cmp_lt_u32_e32 vcc, 3, v1
	;; [unrolled: 8-line block ×3, first 2 shown]
	v_cndmask_b32_e32 v28, v16, v26, vcc
	v_cndmask_b32_e32 v1, v24, v27, vcc
	;; [unrolled: 1-line block ×3, first 2 shown]
	v_mov_b32_dpp v24, v28 row_bcast:15 row_mask:0xf bank_mask:0xf
	v_mov_b32_dpp v25, v1 row_bcast:15 row_mask:0xf bank_mask:0xf
	v_add_co_u32_e32 v24, vcc, v24, v16
	v_and_b32_e32 v27, 16, v17
	v_addc_co_u32_e32 v26, vcc, v25, v1, vcc
	v_cmp_eq_u32_e32 vcc, 0, v27
	v_cndmask_b32_e32 v27, v26, v1, vcc
	v_cndmask_b32_e32 v25, v24, v28, vcc
	v_cmp_ne_u32_e64 s[0:1], 0, v17
	v_mov_b32_dpp v27, v27 row_bcast:31 row_mask:0xf bank_mask:0xf
	v_mov_b32_dpp v25, v25 row_bcast:31 row_mask:0xf bank_mask:0xf
	s_and_saveexec_b64 s[6:7], s[0:1]
; %bb.16:
	v_cndmask_b32_e32 v1, v26, v1, vcc
	v_cndmask_b32_e32 v16, v24, v16, vcc
	v_cmp_lt_u32_e32 vcc, 31, v17
	v_cndmask_b32_e32 v22, 0, v25, vcc
	v_cndmask_b32_e32 v23, 0, v27, vcc
	v_add_co_u32_e32 v22, vcc, v22, v16
	v_addc_co_u32_e32 v23, vcc, v23, v1, vcc
; %bb.17:
	s_or_b64 exec, exec, s[6:7]
	v_add_u32_e32 v1, -1, v17
	v_and_b32_e32 v16, 64, v17
	v_cmp_lt_i32_e32 vcc, v1, v16
	v_cndmask_b32_e32 v1, v1, v17, vcc
	v_lshlrev_b32_e32 v1, 2, v1
	ds_bpermute_b32 v16, v1, v22
	ds_bpermute_b32 v1, v1, v23
	; wave barrier
	s_waitcnt lgkmcnt(1)
	v_add_co_u32_e32 v14, vcc, v14, v16
	v_addc_co_u32_e32 v15, vcc, 0, v15, vcc
	v_add_co_u32_e32 v14, vcc, 0, v14
	s_waitcnt lgkmcnt(0)
	v_addc_co_u32_e32 v1, vcc, v15, v1, vcc
	v_cmp_eq_u32_e32 vcc, 0, v0
	v_cndmask_b32_e32 v15, v1, v19, vcc
	v_cndmask_b32_e32 v14, v14, v18, vcc
	ds_write_b64 v21, v[14:15]
	; wave barrier
	ds_read_b64 v[16:17], v21 offset:8
	s_waitcnt lgkmcnt(0)
	v_add_co_u32_e32 v14, vcc, v16, v14
	v_addc_co_u32_e32 v15, vcc, v17, v15, vcc
	ds_write_b64 v21, v[14:15] offset:8
.LBB5233_18:
	s_or_b64 exec, exec, s[2:3]
	v_mul_u32_u24_e32 v1, 48, v0
	v_cmp_ne_u32_e32 vcc, 0, v0
	v_pk_mov_b32 v[14:15], s[4:5], s[4:5] op_sel:[0,1]
	s_waitcnt lgkmcnt(0)
	s_barrier
	s_and_saveexec_b64 s[0:1], vcc
	s_cbranch_execz .LBB5233_20
; %bb.19:
	v_add_u32_e32 v0, -1, v0
	v_lshrrev_b32_e32 v14, 5, v0
	v_add_lshl_u32 v0, v14, v0, 3
	ds_read_b64 v[14:15], v0
	v_mov_b32_e32 v0, s5
	s_waitcnt lgkmcnt(0)
	v_add_co_u32_e32 v14, vcc, s4, v14
	v_addc_co_u32_e32 v15, vcc, v15, v0, vcc
.LBB5233_20:
	s_or_b64 exec, exec, s[0:1]
	v_add_co_u32_e32 v2, vcc, v14, v2
	v_addc_co_u32_e32 v3, vcc, v15, v3, vcc
	v_add_co_u32_e32 v4, vcc, v2, v4
	v_addc_co_u32_e32 v5, vcc, v3, v5, vcc
	;; [unrolled: 2-line block ×5, first 2 shown]
	v_add_co_u32_e32 v12, vcc, v10, v12
	v_add_u32_e32 v0, v20, v1
	v_addc_co_u32_e32 v13, vcc, v11, v13, vcc
	s_barrier
	ds_write2_b64 v0, v[14:15], v[2:3] offset1:1
	ds_write2_b64 v0, v[4:5], v[6:7] offset0:2 offset1:3
	ds_write2_b64 v0, v[8:9], v[10:11] offset0:4 offset1:5
	ds_write_b64 v0, v[12:13] offset:48
	s_waitcnt lgkmcnt(0)
	s_barrier
	s_endpgm
	.section	.rodata,"a",@progbits
	.p2align	6, 0x0
	.amdhsa_kernel _ZN7rocprim17ROCPRIM_400000_NS6detail17trampoline_kernelINS0_14default_configENS1_20scan_config_selectorIyEEZZNS1_9scan_implILNS1_25lookback_scan_determinismE0ELb1ELb1ES3_N6thrust23THRUST_200600_302600_NS6detail15normal_iteratorINS9_10device_ptrIyEEEENS9_16discard_iteratorINS9_11use_defaultEEEyNS9_4plusIvEEyEEDaPvRmT3_T4_T5_mT6_P12ihipStream_tbENKUlT_T0_E_clISt17integral_constantIbLb0EESX_EEDaSS_ST_EUlSS_E0_NS1_11comp_targetILNS1_3genE4ELNS1_11target_archE910ELNS1_3gpuE8ELNS1_3repE0EEENS1_30default_config_static_selectorELNS0_4arch9wavefront6targetE1EEEvT1_
		.amdhsa_group_segment_fixed_size 7168
		.amdhsa_private_segment_fixed_size 0
		.amdhsa_kernarg_size 48
		.amdhsa_user_sgpr_count 6
		.amdhsa_user_sgpr_private_segment_buffer 1
		.amdhsa_user_sgpr_dispatch_ptr 0
		.amdhsa_user_sgpr_queue_ptr 0
		.amdhsa_user_sgpr_kernarg_segment_ptr 1
		.amdhsa_user_sgpr_dispatch_id 0
		.amdhsa_user_sgpr_flat_scratch_init 0
		.amdhsa_user_sgpr_kernarg_preload_length 0
		.amdhsa_user_sgpr_kernarg_preload_offset 0
		.amdhsa_user_sgpr_private_segment_size 0
		.amdhsa_uses_dynamic_stack 0
		.amdhsa_system_sgpr_private_segment_wavefront_offset 0
		.amdhsa_system_sgpr_workgroup_id_x 1
		.amdhsa_system_sgpr_workgroup_id_y 0
		.amdhsa_system_sgpr_workgroup_id_z 0
		.amdhsa_system_sgpr_workgroup_info 0
		.amdhsa_system_vgpr_workitem_id 0
		.amdhsa_next_free_vgpr 29
		.amdhsa_next_free_sgpr 10
		.amdhsa_accum_offset 32
		.amdhsa_reserve_vcc 1
		.amdhsa_reserve_flat_scratch 0
		.amdhsa_float_round_mode_32 0
		.amdhsa_float_round_mode_16_64 0
		.amdhsa_float_denorm_mode_32 3
		.amdhsa_float_denorm_mode_16_64 3
		.amdhsa_dx10_clamp 1
		.amdhsa_ieee_mode 1
		.amdhsa_fp16_overflow 0
		.amdhsa_tg_split 0
		.amdhsa_exception_fp_ieee_invalid_op 0
		.amdhsa_exception_fp_denorm_src 0
		.amdhsa_exception_fp_ieee_div_zero 0
		.amdhsa_exception_fp_ieee_overflow 0
		.amdhsa_exception_fp_ieee_underflow 0
		.amdhsa_exception_fp_ieee_inexact 0
		.amdhsa_exception_int_div_zero 0
	.end_amdhsa_kernel
	.section	.text._ZN7rocprim17ROCPRIM_400000_NS6detail17trampoline_kernelINS0_14default_configENS1_20scan_config_selectorIyEEZZNS1_9scan_implILNS1_25lookback_scan_determinismE0ELb1ELb1ES3_N6thrust23THRUST_200600_302600_NS6detail15normal_iteratorINS9_10device_ptrIyEEEENS9_16discard_iteratorINS9_11use_defaultEEEyNS9_4plusIvEEyEEDaPvRmT3_T4_T5_mT6_P12ihipStream_tbENKUlT_T0_E_clISt17integral_constantIbLb0EESX_EEDaSS_ST_EUlSS_E0_NS1_11comp_targetILNS1_3genE4ELNS1_11target_archE910ELNS1_3gpuE8ELNS1_3repE0EEENS1_30default_config_static_selectorELNS0_4arch9wavefront6targetE1EEEvT1_,"axG",@progbits,_ZN7rocprim17ROCPRIM_400000_NS6detail17trampoline_kernelINS0_14default_configENS1_20scan_config_selectorIyEEZZNS1_9scan_implILNS1_25lookback_scan_determinismE0ELb1ELb1ES3_N6thrust23THRUST_200600_302600_NS6detail15normal_iteratorINS9_10device_ptrIyEEEENS9_16discard_iteratorINS9_11use_defaultEEEyNS9_4plusIvEEyEEDaPvRmT3_T4_T5_mT6_P12ihipStream_tbENKUlT_T0_E_clISt17integral_constantIbLb0EESX_EEDaSS_ST_EUlSS_E0_NS1_11comp_targetILNS1_3genE4ELNS1_11target_archE910ELNS1_3gpuE8ELNS1_3repE0EEENS1_30default_config_static_selectorELNS0_4arch9wavefront6targetE1EEEvT1_,comdat
.Lfunc_end5233:
	.size	_ZN7rocprim17ROCPRIM_400000_NS6detail17trampoline_kernelINS0_14default_configENS1_20scan_config_selectorIyEEZZNS1_9scan_implILNS1_25lookback_scan_determinismE0ELb1ELb1ES3_N6thrust23THRUST_200600_302600_NS6detail15normal_iteratorINS9_10device_ptrIyEEEENS9_16discard_iteratorINS9_11use_defaultEEEyNS9_4plusIvEEyEEDaPvRmT3_T4_T5_mT6_P12ihipStream_tbENKUlT_T0_E_clISt17integral_constantIbLb0EESX_EEDaSS_ST_EUlSS_E0_NS1_11comp_targetILNS1_3genE4ELNS1_11target_archE910ELNS1_3gpuE8ELNS1_3repE0EEENS1_30default_config_static_selectorELNS0_4arch9wavefront6targetE1EEEvT1_, .Lfunc_end5233-_ZN7rocprim17ROCPRIM_400000_NS6detail17trampoline_kernelINS0_14default_configENS1_20scan_config_selectorIyEEZZNS1_9scan_implILNS1_25lookback_scan_determinismE0ELb1ELb1ES3_N6thrust23THRUST_200600_302600_NS6detail15normal_iteratorINS9_10device_ptrIyEEEENS9_16discard_iteratorINS9_11use_defaultEEEyNS9_4plusIvEEyEEDaPvRmT3_T4_T5_mT6_P12ihipStream_tbENKUlT_T0_E_clISt17integral_constantIbLb0EESX_EEDaSS_ST_EUlSS_E0_NS1_11comp_targetILNS1_3genE4ELNS1_11target_archE910ELNS1_3gpuE8ELNS1_3repE0EEENS1_30default_config_static_selectorELNS0_4arch9wavefront6targetE1EEEvT1_
                                        ; -- End function
	.section	.AMDGPU.csdata,"",@progbits
; Kernel info:
; codeLenInByte = 1116
; NumSgprs: 14
; NumVgprs: 29
; NumAgprs: 0
; TotalNumVgprs: 29
; ScratchSize: 0
; MemoryBound: 0
; FloatMode: 240
; IeeeMode: 1
; LDSByteSize: 7168 bytes/workgroup (compile time only)
; SGPRBlocks: 1
; VGPRBlocks: 3
; NumSGPRsForWavesPerEU: 14
; NumVGPRsForWavesPerEU: 29
; AccumOffset: 32
; Occupancy: 5
; WaveLimiterHint : 0
; COMPUTE_PGM_RSRC2:SCRATCH_EN: 0
; COMPUTE_PGM_RSRC2:USER_SGPR: 6
; COMPUTE_PGM_RSRC2:TRAP_HANDLER: 0
; COMPUTE_PGM_RSRC2:TGID_X_EN: 1
; COMPUTE_PGM_RSRC2:TGID_Y_EN: 0
; COMPUTE_PGM_RSRC2:TGID_Z_EN: 0
; COMPUTE_PGM_RSRC2:TIDIG_COMP_CNT: 0
; COMPUTE_PGM_RSRC3_GFX90A:ACCUM_OFFSET: 7
; COMPUTE_PGM_RSRC3_GFX90A:TG_SPLIT: 0
	.section	.text._ZN7rocprim17ROCPRIM_400000_NS6detail17trampoline_kernelINS0_14default_configENS1_20scan_config_selectorIyEEZZNS1_9scan_implILNS1_25lookback_scan_determinismE0ELb1ELb1ES3_N6thrust23THRUST_200600_302600_NS6detail15normal_iteratorINS9_10device_ptrIyEEEENS9_16discard_iteratorINS9_11use_defaultEEEyNS9_4plusIvEEyEEDaPvRmT3_T4_T5_mT6_P12ihipStream_tbENKUlT_T0_E_clISt17integral_constantIbLb0EESX_EEDaSS_ST_EUlSS_E0_NS1_11comp_targetILNS1_3genE3ELNS1_11target_archE908ELNS1_3gpuE7ELNS1_3repE0EEENS1_30default_config_static_selectorELNS0_4arch9wavefront6targetE1EEEvT1_,"axG",@progbits,_ZN7rocprim17ROCPRIM_400000_NS6detail17trampoline_kernelINS0_14default_configENS1_20scan_config_selectorIyEEZZNS1_9scan_implILNS1_25lookback_scan_determinismE0ELb1ELb1ES3_N6thrust23THRUST_200600_302600_NS6detail15normal_iteratorINS9_10device_ptrIyEEEENS9_16discard_iteratorINS9_11use_defaultEEEyNS9_4plusIvEEyEEDaPvRmT3_T4_T5_mT6_P12ihipStream_tbENKUlT_T0_E_clISt17integral_constantIbLb0EESX_EEDaSS_ST_EUlSS_E0_NS1_11comp_targetILNS1_3genE3ELNS1_11target_archE908ELNS1_3gpuE7ELNS1_3repE0EEENS1_30default_config_static_selectorELNS0_4arch9wavefront6targetE1EEEvT1_,comdat
	.protected	_ZN7rocprim17ROCPRIM_400000_NS6detail17trampoline_kernelINS0_14default_configENS1_20scan_config_selectorIyEEZZNS1_9scan_implILNS1_25lookback_scan_determinismE0ELb1ELb1ES3_N6thrust23THRUST_200600_302600_NS6detail15normal_iteratorINS9_10device_ptrIyEEEENS9_16discard_iteratorINS9_11use_defaultEEEyNS9_4plusIvEEyEEDaPvRmT3_T4_T5_mT6_P12ihipStream_tbENKUlT_T0_E_clISt17integral_constantIbLb0EESX_EEDaSS_ST_EUlSS_E0_NS1_11comp_targetILNS1_3genE3ELNS1_11target_archE908ELNS1_3gpuE7ELNS1_3repE0EEENS1_30default_config_static_selectorELNS0_4arch9wavefront6targetE1EEEvT1_ ; -- Begin function _ZN7rocprim17ROCPRIM_400000_NS6detail17trampoline_kernelINS0_14default_configENS1_20scan_config_selectorIyEEZZNS1_9scan_implILNS1_25lookback_scan_determinismE0ELb1ELb1ES3_N6thrust23THRUST_200600_302600_NS6detail15normal_iteratorINS9_10device_ptrIyEEEENS9_16discard_iteratorINS9_11use_defaultEEEyNS9_4plusIvEEyEEDaPvRmT3_T4_T5_mT6_P12ihipStream_tbENKUlT_T0_E_clISt17integral_constantIbLb0EESX_EEDaSS_ST_EUlSS_E0_NS1_11comp_targetILNS1_3genE3ELNS1_11target_archE908ELNS1_3gpuE7ELNS1_3repE0EEENS1_30default_config_static_selectorELNS0_4arch9wavefront6targetE1EEEvT1_
	.globl	_ZN7rocprim17ROCPRIM_400000_NS6detail17trampoline_kernelINS0_14default_configENS1_20scan_config_selectorIyEEZZNS1_9scan_implILNS1_25lookback_scan_determinismE0ELb1ELb1ES3_N6thrust23THRUST_200600_302600_NS6detail15normal_iteratorINS9_10device_ptrIyEEEENS9_16discard_iteratorINS9_11use_defaultEEEyNS9_4plusIvEEyEEDaPvRmT3_T4_T5_mT6_P12ihipStream_tbENKUlT_T0_E_clISt17integral_constantIbLb0EESX_EEDaSS_ST_EUlSS_E0_NS1_11comp_targetILNS1_3genE3ELNS1_11target_archE908ELNS1_3gpuE7ELNS1_3repE0EEENS1_30default_config_static_selectorELNS0_4arch9wavefront6targetE1EEEvT1_
	.p2align	8
	.type	_ZN7rocprim17ROCPRIM_400000_NS6detail17trampoline_kernelINS0_14default_configENS1_20scan_config_selectorIyEEZZNS1_9scan_implILNS1_25lookback_scan_determinismE0ELb1ELb1ES3_N6thrust23THRUST_200600_302600_NS6detail15normal_iteratorINS9_10device_ptrIyEEEENS9_16discard_iteratorINS9_11use_defaultEEEyNS9_4plusIvEEyEEDaPvRmT3_T4_T5_mT6_P12ihipStream_tbENKUlT_T0_E_clISt17integral_constantIbLb0EESX_EEDaSS_ST_EUlSS_E0_NS1_11comp_targetILNS1_3genE3ELNS1_11target_archE908ELNS1_3gpuE7ELNS1_3repE0EEENS1_30default_config_static_selectorELNS0_4arch9wavefront6targetE1EEEvT1_,@function
_ZN7rocprim17ROCPRIM_400000_NS6detail17trampoline_kernelINS0_14default_configENS1_20scan_config_selectorIyEEZZNS1_9scan_implILNS1_25lookback_scan_determinismE0ELb1ELb1ES3_N6thrust23THRUST_200600_302600_NS6detail15normal_iteratorINS9_10device_ptrIyEEEENS9_16discard_iteratorINS9_11use_defaultEEEyNS9_4plusIvEEyEEDaPvRmT3_T4_T5_mT6_P12ihipStream_tbENKUlT_T0_E_clISt17integral_constantIbLb0EESX_EEDaSS_ST_EUlSS_E0_NS1_11comp_targetILNS1_3genE3ELNS1_11target_archE908ELNS1_3gpuE7ELNS1_3repE0EEENS1_30default_config_static_selectorELNS0_4arch9wavefront6targetE1EEEvT1_: ; @_ZN7rocprim17ROCPRIM_400000_NS6detail17trampoline_kernelINS0_14default_configENS1_20scan_config_selectorIyEEZZNS1_9scan_implILNS1_25lookback_scan_determinismE0ELb1ELb1ES3_N6thrust23THRUST_200600_302600_NS6detail15normal_iteratorINS9_10device_ptrIyEEEENS9_16discard_iteratorINS9_11use_defaultEEEyNS9_4plusIvEEyEEDaPvRmT3_T4_T5_mT6_P12ihipStream_tbENKUlT_T0_E_clISt17integral_constantIbLb0EESX_EEDaSS_ST_EUlSS_E0_NS1_11comp_targetILNS1_3genE3ELNS1_11target_archE908ELNS1_3gpuE7ELNS1_3repE0EEENS1_30default_config_static_selectorELNS0_4arch9wavefront6targetE1EEEvT1_
; %bb.0:
	.section	.rodata,"a",@progbits
	.p2align	6, 0x0
	.amdhsa_kernel _ZN7rocprim17ROCPRIM_400000_NS6detail17trampoline_kernelINS0_14default_configENS1_20scan_config_selectorIyEEZZNS1_9scan_implILNS1_25lookback_scan_determinismE0ELb1ELb1ES3_N6thrust23THRUST_200600_302600_NS6detail15normal_iteratorINS9_10device_ptrIyEEEENS9_16discard_iteratorINS9_11use_defaultEEEyNS9_4plusIvEEyEEDaPvRmT3_T4_T5_mT6_P12ihipStream_tbENKUlT_T0_E_clISt17integral_constantIbLb0EESX_EEDaSS_ST_EUlSS_E0_NS1_11comp_targetILNS1_3genE3ELNS1_11target_archE908ELNS1_3gpuE7ELNS1_3repE0EEENS1_30default_config_static_selectorELNS0_4arch9wavefront6targetE1EEEvT1_
		.amdhsa_group_segment_fixed_size 0
		.amdhsa_private_segment_fixed_size 0
		.amdhsa_kernarg_size 48
		.amdhsa_user_sgpr_count 6
		.amdhsa_user_sgpr_private_segment_buffer 1
		.amdhsa_user_sgpr_dispatch_ptr 0
		.amdhsa_user_sgpr_queue_ptr 0
		.amdhsa_user_sgpr_kernarg_segment_ptr 1
		.amdhsa_user_sgpr_dispatch_id 0
		.amdhsa_user_sgpr_flat_scratch_init 0
		.amdhsa_user_sgpr_kernarg_preload_length 0
		.amdhsa_user_sgpr_kernarg_preload_offset 0
		.amdhsa_user_sgpr_private_segment_size 0
		.amdhsa_uses_dynamic_stack 0
		.amdhsa_system_sgpr_private_segment_wavefront_offset 0
		.amdhsa_system_sgpr_workgroup_id_x 1
		.amdhsa_system_sgpr_workgroup_id_y 0
		.amdhsa_system_sgpr_workgroup_id_z 0
		.amdhsa_system_sgpr_workgroup_info 0
		.amdhsa_system_vgpr_workitem_id 0
		.amdhsa_next_free_vgpr 1
		.amdhsa_next_free_sgpr 0
		.amdhsa_accum_offset 4
		.amdhsa_reserve_vcc 0
		.amdhsa_reserve_flat_scratch 0
		.amdhsa_float_round_mode_32 0
		.amdhsa_float_round_mode_16_64 0
		.amdhsa_float_denorm_mode_32 3
		.amdhsa_float_denorm_mode_16_64 3
		.amdhsa_dx10_clamp 1
		.amdhsa_ieee_mode 1
		.amdhsa_fp16_overflow 0
		.amdhsa_tg_split 0
		.amdhsa_exception_fp_ieee_invalid_op 0
		.amdhsa_exception_fp_denorm_src 0
		.amdhsa_exception_fp_ieee_div_zero 0
		.amdhsa_exception_fp_ieee_overflow 0
		.amdhsa_exception_fp_ieee_underflow 0
		.amdhsa_exception_fp_ieee_inexact 0
		.amdhsa_exception_int_div_zero 0
	.end_amdhsa_kernel
	.section	.text._ZN7rocprim17ROCPRIM_400000_NS6detail17trampoline_kernelINS0_14default_configENS1_20scan_config_selectorIyEEZZNS1_9scan_implILNS1_25lookback_scan_determinismE0ELb1ELb1ES3_N6thrust23THRUST_200600_302600_NS6detail15normal_iteratorINS9_10device_ptrIyEEEENS9_16discard_iteratorINS9_11use_defaultEEEyNS9_4plusIvEEyEEDaPvRmT3_T4_T5_mT6_P12ihipStream_tbENKUlT_T0_E_clISt17integral_constantIbLb0EESX_EEDaSS_ST_EUlSS_E0_NS1_11comp_targetILNS1_3genE3ELNS1_11target_archE908ELNS1_3gpuE7ELNS1_3repE0EEENS1_30default_config_static_selectorELNS0_4arch9wavefront6targetE1EEEvT1_,"axG",@progbits,_ZN7rocprim17ROCPRIM_400000_NS6detail17trampoline_kernelINS0_14default_configENS1_20scan_config_selectorIyEEZZNS1_9scan_implILNS1_25lookback_scan_determinismE0ELb1ELb1ES3_N6thrust23THRUST_200600_302600_NS6detail15normal_iteratorINS9_10device_ptrIyEEEENS9_16discard_iteratorINS9_11use_defaultEEEyNS9_4plusIvEEyEEDaPvRmT3_T4_T5_mT6_P12ihipStream_tbENKUlT_T0_E_clISt17integral_constantIbLb0EESX_EEDaSS_ST_EUlSS_E0_NS1_11comp_targetILNS1_3genE3ELNS1_11target_archE908ELNS1_3gpuE7ELNS1_3repE0EEENS1_30default_config_static_selectorELNS0_4arch9wavefront6targetE1EEEvT1_,comdat
.Lfunc_end5234:
	.size	_ZN7rocprim17ROCPRIM_400000_NS6detail17trampoline_kernelINS0_14default_configENS1_20scan_config_selectorIyEEZZNS1_9scan_implILNS1_25lookback_scan_determinismE0ELb1ELb1ES3_N6thrust23THRUST_200600_302600_NS6detail15normal_iteratorINS9_10device_ptrIyEEEENS9_16discard_iteratorINS9_11use_defaultEEEyNS9_4plusIvEEyEEDaPvRmT3_T4_T5_mT6_P12ihipStream_tbENKUlT_T0_E_clISt17integral_constantIbLb0EESX_EEDaSS_ST_EUlSS_E0_NS1_11comp_targetILNS1_3genE3ELNS1_11target_archE908ELNS1_3gpuE7ELNS1_3repE0EEENS1_30default_config_static_selectorELNS0_4arch9wavefront6targetE1EEEvT1_, .Lfunc_end5234-_ZN7rocprim17ROCPRIM_400000_NS6detail17trampoline_kernelINS0_14default_configENS1_20scan_config_selectorIyEEZZNS1_9scan_implILNS1_25lookback_scan_determinismE0ELb1ELb1ES3_N6thrust23THRUST_200600_302600_NS6detail15normal_iteratorINS9_10device_ptrIyEEEENS9_16discard_iteratorINS9_11use_defaultEEEyNS9_4plusIvEEyEEDaPvRmT3_T4_T5_mT6_P12ihipStream_tbENKUlT_T0_E_clISt17integral_constantIbLb0EESX_EEDaSS_ST_EUlSS_E0_NS1_11comp_targetILNS1_3genE3ELNS1_11target_archE908ELNS1_3gpuE7ELNS1_3repE0EEENS1_30default_config_static_selectorELNS0_4arch9wavefront6targetE1EEEvT1_
                                        ; -- End function
	.section	.AMDGPU.csdata,"",@progbits
; Kernel info:
; codeLenInByte = 0
; NumSgprs: 4
; NumVgprs: 0
; NumAgprs: 0
; TotalNumVgprs: 0
; ScratchSize: 0
; MemoryBound: 0
; FloatMode: 240
; IeeeMode: 1
; LDSByteSize: 0 bytes/workgroup (compile time only)
; SGPRBlocks: 0
; VGPRBlocks: 0
; NumSGPRsForWavesPerEU: 4
; NumVGPRsForWavesPerEU: 1
; AccumOffset: 4
; Occupancy: 8
; WaveLimiterHint : 0
; COMPUTE_PGM_RSRC2:SCRATCH_EN: 0
; COMPUTE_PGM_RSRC2:USER_SGPR: 6
; COMPUTE_PGM_RSRC2:TRAP_HANDLER: 0
; COMPUTE_PGM_RSRC2:TGID_X_EN: 1
; COMPUTE_PGM_RSRC2:TGID_Y_EN: 0
; COMPUTE_PGM_RSRC2:TGID_Z_EN: 0
; COMPUTE_PGM_RSRC2:TIDIG_COMP_CNT: 0
; COMPUTE_PGM_RSRC3_GFX90A:ACCUM_OFFSET: 0
; COMPUTE_PGM_RSRC3_GFX90A:TG_SPLIT: 0
	.section	.text._ZN7rocprim17ROCPRIM_400000_NS6detail17trampoline_kernelINS0_14default_configENS1_20scan_config_selectorIyEEZZNS1_9scan_implILNS1_25lookback_scan_determinismE0ELb1ELb1ES3_N6thrust23THRUST_200600_302600_NS6detail15normal_iteratorINS9_10device_ptrIyEEEENS9_16discard_iteratorINS9_11use_defaultEEEyNS9_4plusIvEEyEEDaPvRmT3_T4_T5_mT6_P12ihipStream_tbENKUlT_T0_E_clISt17integral_constantIbLb0EESX_EEDaSS_ST_EUlSS_E0_NS1_11comp_targetILNS1_3genE2ELNS1_11target_archE906ELNS1_3gpuE6ELNS1_3repE0EEENS1_30default_config_static_selectorELNS0_4arch9wavefront6targetE1EEEvT1_,"axG",@progbits,_ZN7rocprim17ROCPRIM_400000_NS6detail17trampoline_kernelINS0_14default_configENS1_20scan_config_selectorIyEEZZNS1_9scan_implILNS1_25lookback_scan_determinismE0ELb1ELb1ES3_N6thrust23THRUST_200600_302600_NS6detail15normal_iteratorINS9_10device_ptrIyEEEENS9_16discard_iteratorINS9_11use_defaultEEEyNS9_4plusIvEEyEEDaPvRmT3_T4_T5_mT6_P12ihipStream_tbENKUlT_T0_E_clISt17integral_constantIbLb0EESX_EEDaSS_ST_EUlSS_E0_NS1_11comp_targetILNS1_3genE2ELNS1_11target_archE906ELNS1_3gpuE6ELNS1_3repE0EEENS1_30default_config_static_selectorELNS0_4arch9wavefront6targetE1EEEvT1_,comdat
	.protected	_ZN7rocprim17ROCPRIM_400000_NS6detail17trampoline_kernelINS0_14default_configENS1_20scan_config_selectorIyEEZZNS1_9scan_implILNS1_25lookback_scan_determinismE0ELb1ELb1ES3_N6thrust23THRUST_200600_302600_NS6detail15normal_iteratorINS9_10device_ptrIyEEEENS9_16discard_iteratorINS9_11use_defaultEEEyNS9_4plusIvEEyEEDaPvRmT3_T4_T5_mT6_P12ihipStream_tbENKUlT_T0_E_clISt17integral_constantIbLb0EESX_EEDaSS_ST_EUlSS_E0_NS1_11comp_targetILNS1_3genE2ELNS1_11target_archE906ELNS1_3gpuE6ELNS1_3repE0EEENS1_30default_config_static_selectorELNS0_4arch9wavefront6targetE1EEEvT1_ ; -- Begin function _ZN7rocprim17ROCPRIM_400000_NS6detail17trampoline_kernelINS0_14default_configENS1_20scan_config_selectorIyEEZZNS1_9scan_implILNS1_25lookback_scan_determinismE0ELb1ELb1ES3_N6thrust23THRUST_200600_302600_NS6detail15normal_iteratorINS9_10device_ptrIyEEEENS9_16discard_iteratorINS9_11use_defaultEEEyNS9_4plusIvEEyEEDaPvRmT3_T4_T5_mT6_P12ihipStream_tbENKUlT_T0_E_clISt17integral_constantIbLb0EESX_EEDaSS_ST_EUlSS_E0_NS1_11comp_targetILNS1_3genE2ELNS1_11target_archE906ELNS1_3gpuE6ELNS1_3repE0EEENS1_30default_config_static_selectorELNS0_4arch9wavefront6targetE1EEEvT1_
	.globl	_ZN7rocprim17ROCPRIM_400000_NS6detail17trampoline_kernelINS0_14default_configENS1_20scan_config_selectorIyEEZZNS1_9scan_implILNS1_25lookback_scan_determinismE0ELb1ELb1ES3_N6thrust23THRUST_200600_302600_NS6detail15normal_iteratorINS9_10device_ptrIyEEEENS9_16discard_iteratorINS9_11use_defaultEEEyNS9_4plusIvEEyEEDaPvRmT3_T4_T5_mT6_P12ihipStream_tbENKUlT_T0_E_clISt17integral_constantIbLb0EESX_EEDaSS_ST_EUlSS_E0_NS1_11comp_targetILNS1_3genE2ELNS1_11target_archE906ELNS1_3gpuE6ELNS1_3repE0EEENS1_30default_config_static_selectorELNS0_4arch9wavefront6targetE1EEEvT1_
	.p2align	8
	.type	_ZN7rocprim17ROCPRIM_400000_NS6detail17trampoline_kernelINS0_14default_configENS1_20scan_config_selectorIyEEZZNS1_9scan_implILNS1_25lookback_scan_determinismE0ELb1ELb1ES3_N6thrust23THRUST_200600_302600_NS6detail15normal_iteratorINS9_10device_ptrIyEEEENS9_16discard_iteratorINS9_11use_defaultEEEyNS9_4plusIvEEyEEDaPvRmT3_T4_T5_mT6_P12ihipStream_tbENKUlT_T0_E_clISt17integral_constantIbLb0EESX_EEDaSS_ST_EUlSS_E0_NS1_11comp_targetILNS1_3genE2ELNS1_11target_archE906ELNS1_3gpuE6ELNS1_3repE0EEENS1_30default_config_static_selectorELNS0_4arch9wavefront6targetE1EEEvT1_,@function
_ZN7rocprim17ROCPRIM_400000_NS6detail17trampoline_kernelINS0_14default_configENS1_20scan_config_selectorIyEEZZNS1_9scan_implILNS1_25lookback_scan_determinismE0ELb1ELb1ES3_N6thrust23THRUST_200600_302600_NS6detail15normal_iteratorINS9_10device_ptrIyEEEENS9_16discard_iteratorINS9_11use_defaultEEEyNS9_4plusIvEEyEEDaPvRmT3_T4_T5_mT6_P12ihipStream_tbENKUlT_T0_E_clISt17integral_constantIbLb0EESX_EEDaSS_ST_EUlSS_E0_NS1_11comp_targetILNS1_3genE2ELNS1_11target_archE906ELNS1_3gpuE6ELNS1_3repE0EEENS1_30default_config_static_selectorELNS0_4arch9wavefront6targetE1EEEvT1_: ; @_ZN7rocprim17ROCPRIM_400000_NS6detail17trampoline_kernelINS0_14default_configENS1_20scan_config_selectorIyEEZZNS1_9scan_implILNS1_25lookback_scan_determinismE0ELb1ELb1ES3_N6thrust23THRUST_200600_302600_NS6detail15normal_iteratorINS9_10device_ptrIyEEEENS9_16discard_iteratorINS9_11use_defaultEEEyNS9_4plusIvEEyEEDaPvRmT3_T4_T5_mT6_P12ihipStream_tbENKUlT_T0_E_clISt17integral_constantIbLb0EESX_EEDaSS_ST_EUlSS_E0_NS1_11comp_targetILNS1_3genE2ELNS1_11target_archE906ELNS1_3gpuE6ELNS1_3repE0EEENS1_30default_config_static_selectorELNS0_4arch9wavefront6targetE1EEEvT1_
; %bb.0:
	.section	.rodata,"a",@progbits
	.p2align	6, 0x0
	.amdhsa_kernel _ZN7rocprim17ROCPRIM_400000_NS6detail17trampoline_kernelINS0_14default_configENS1_20scan_config_selectorIyEEZZNS1_9scan_implILNS1_25lookback_scan_determinismE0ELb1ELb1ES3_N6thrust23THRUST_200600_302600_NS6detail15normal_iteratorINS9_10device_ptrIyEEEENS9_16discard_iteratorINS9_11use_defaultEEEyNS9_4plusIvEEyEEDaPvRmT3_T4_T5_mT6_P12ihipStream_tbENKUlT_T0_E_clISt17integral_constantIbLb0EESX_EEDaSS_ST_EUlSS_E0_NS1_11comp_targetILNS1_3genE2ELNS1_11target_archE906ELNS1_3gpuE6ELNS1_3repE0EEENS1_30default_config_static_selectorELNS0_4arch9wavefront6targetE1EEEvT1_
		.amdhsa_group_segment_fixed_size 0
		.amdhsa_private_segment_fixed_size 0
		.amdhsa_kernarg_size 48
		.amdhsa_user_sgpr_count 6
		.amdhsa_user_sgpr_private_segment_buffer 1
		.amdhsa_user_sgpr_dispatch_ptr 0
		.amdhsa_user_sgpr_queue_ptr 0
		.amdhsa_user_sgpr_kernarg_segment_ptr 1
		.amdhsa_user_sgpr_dispatch_id 0
		.amdhsa_user_sgpr_flat_scratch_init 0
		.amdhsa_user_sgpr_kernarg_preload_length 0
		.amdhsa_user_sgpr_kernarg_preload_offset 0
		.amdhsa_user_sgpr_private_segment_size 0
		.amdhsa_uses_dynamic_stack 0
		.amdhsa_system_sgpr_private_segment_wavefront_offset 0
		.amdhsa_system_sgpr_workgroup_id_x 1
		.amdhsa_system_sgpr_workgroup_id_y 0
		.amdhsa_system_sgpr_workgroup_id_z 0
		.amdhsa_system_sgpr_workgroup_info 0
		.amdhsa_system_vgpr_workitem_id 0
		.amdhsa_next_free_vgpr 1
		.amdhsa_next_free_sgpr 0
		.amdhsa_accum_offset 4
		.amdhsa_reserve_vcc 0
		.amdhsa_reserve_flat_scratch 0
		.amdhsa_float_round_mode_32 0
		.amdhsa_float_round_mode_16_64 0
		.amdhsa_float_denorm_mode_32 3
		.amdhsa_float_denorm_mode_16_64 3
		.amdhsa_dx10_clamp 1
		.amdhsa_ieee_mode 1
		.amdhsa_fp16_overflow 0
		.amdhsa_tg_split 0
		.amdhsa_exception_fp_ieee_invalid_op 0
		.amdhsa_exception_fp_denorm_src 0
		.amdhsa_exception_fp_ieee_div_zero 0
		.amdhsa_exception_fp_ieee_overflow 0
		.amdhsa_exception_fp_ieee_underflow 0
		.amdhsa_exception_fp_ieee_inexact 0
		.amdhsa_exception_int_div_zero 0
	.end_amdhsa_kernel
	.section	.text._ZN7rocprim17ROCPRIM_400000_NS6detail17trampoline_kernelINS0_14default_configENS1_20scan_config_selectorIyEEZZNS1_9scan_implILNS1_25lookback_scan_determinismE0ELb1ELb1ES3_N6thrust23THRUST_200600_302600_NS6detail15normal_iteratorINS9_10device_ptrIyEEEENS9_16discard_iteratorINS9_11use_defaultEEEyNS9_4plusIvEEyEEDaPvRmT3_T4_T5_mT6_P12ihipStream_tbENKUlT_T0_E_clISt17integral_constantIbLb0EESX_EEDaSS_ST_EUlSS_E0_NS1_11comp_targetILNS1_3genE2ELNS1_11target_archE906ELNS1_3gpuE6ELNS1_3repE0EEENS1_30default_config_static_selectorELNS0_4arch9wavefront6targetE1EEEvT1_,"axG",@progbits,_ZN7rocprim17ROCPRIM_400000_NS6detail17trampoline_kernelINS0_14default_configENS1_20scan_config_selectorIyEEZZNS1_9scan_implILNS1_25lookback_scan_determinismE0ELb1ELb1ES3_N6thrust23THRUST_200600_302600_NS6detail15normal_iteratorINS9_10device_ptrIyEEEENS9_16discard_iteratorINS9_11use_defaultEEEyNS9_4plusIvEEyEEDaPvRmT3_T4_T5_mT6_P12ihipStream_tbENKUlT_T0_E_clISt17integral_constantIbLb0EESX_EEDaSS_ST_EUlSS_E0_NS1_11comp_targetILNS1_3genE2ELNS1_11target_archE906ELNS1_3gpuE6ELNS1_3repE0EEENS1_30default_config_static_selectorELNS0_4arch9wavefront6targetE1EEEvT1_,comdat
.Lfunc_end5235:
	.size	_ZN7rocprim17ROCPRIM_400000_NS6detail17trampoline_kernelINS0_14default_configENS1_20scan_config_selectorIyEEZZNS1_9scan_implILNS1_25lookback_scan_determinismE0ELb1ELb1ES3_N6thrust23THRUST_200600_302600_NS6detail15normal_iteratorINS9_10device_ptrIyEEEENS9_16discard_iteratorINS9_11use_defaultEEEyNS9_4plusIvEEyEEDaPvRmT3_T4_T5_mT6_P12ihipStream_tbENKUlT_T0_E_clISt17integral_constantIbLb0EESX_EEDaSS_ST_EUlSS_E0_NS1_11comp_targetILNS1_3genE2ELNS1_11target_archE906ELNS1_3gpuE6ELNS1_3repE0EEENS1_30default_config_static_selectorELNS0_4arch9wavefront6targetE1EEEvT1_, .Lfunc_end5235-_ZN7rocprim17ROCPRIM_400000_NS6detail17trampoline_kernelINS0_14default_configENS1_20scan_config_selectorIyEEZZNS1_9scan_implILNS1_25lookback_scan_determinismE0ELb1ELb1ES3_N6thrust23THRUST_200600_302600_NS6detail15normal_iteratorINS9_10device_ptrIyEEEENS9_16discard_iteratorINS9_11use_defaultEEEyNS9_4plusIvEEyEEDaPvRmT3_T4_T5_mT6_P12ihipStream_tbENKUlT_T0_E_clISt17integral_constantIbLb0EESX_EEDaSS_ST_EUlSS_E0_NS1_11comp_targetILNS1_3genE2ELNS1_11target_archE906ELNS1_3gpuE6ELNS1_3repE0EEENS1_30default_config_static_selectorELNS0_4arch9wavefront6targetE1EEEvT1_
                                        ; -- End function
	.section	.AMDGPU.csdata,"",@progbits
; Kernel info:
; codeLenInByte = 0
; NumSgprs: 4
; NumVgprs: 0
; NumAgprs: 0
; TotalNumVgprs: 0
; ScratchSize: 0
; MemoryBound: 0
; FloatMode: 240
; IeeeMode: 1
; LDSByteSize: 0 bytes/workgroup (compile time only)
; SGPRBlocks: 0
; VGPRBlocks: 0
; NumSGPRsForWavesPerEU: 4
; NumVGPRsForWavesPerEU: 1
; AccumOffset: 4
; Occupancy: 8
; WaveLimiterHint : 0
; COMPUTE_PGM_RSRC2:SCRATCH_EN: 0
; COMPUTE_PGM_RSRC2:USER_SGPR: 6
; COMPUTE_PGM_RSRC2:TRAP_HANDLER: 0
; COMPUTE_PGM_RSRC2:TGID_X_EN: 1
; COMPUTE_PGM_RSRC2:TGID_Y_EN: 0
; COMPUTE_PGM_RSRC2:TGID_Z_EN: 0
; COMPUTE_PGM_RSRC2:TIDIG_COMP_CNT: 0
; COMPUTE_PGM_RSRC3_GFX90A:ACCUM_OFFSET: 0
; COMPUTE_PGM_RSRC3_GFX90A:TG_SPLIT: 0
	.section	.text._ZN7rocprim17ROCPRIM_400000_NS6detail17trampoline_kernelINS0_14default_configENS1_20scan_config_selectorIyEEZZNS1_9scan_implILNS1_25lookback_scan_determinismE0ELb1ELb1ES3_N6thrust23THRUST_200600_302600_NS6detail15normal_iteratorINS9_10device_ptrIyEEEENS9_16discard_iteratorINS9_11use_defaultEEEyNS9_4plusIvEEyEEDaPvRmT3_T4_T5_mT6_P12ihipStream_tbENKUlT_T0_E_clISt17integral_constantIbLb0EESX_EEDaSS_ST_EUlSS_E0_NS1_11comp_targetILNS1_3genE10ELNS1_11target_archE1201ELNS1_3gpuE5ELNS1_3repE0EEENS1_30default_config_static_selectorELNS0_4arch9wavefront6targetE1EEEvT1_,"axG",@progbits,_ZN7rocprim17ROCPRIM_400000_NS6detail17trampoline_kernelINS0_14default_configENS1_20scan_config_selectorIyEEZZNS1_9scan_implILNS1_25lookback_scan_determinismE0ELb1ELb1ES3_N6thrust23THRUST_200600_302600_NS6detail15normal_iteratorINS9_10device_ptrIyEEEENS9_16discard_iteratorINS9_11use_defaultEEEyNS9_4plusIvEEyEEDaPvRmT3_T4_T5_mT6_P12ihipStream_tbENKUlT_T0_E_clISt17integral_constantIbLb0EESX_EEDaSS_ST_EUlSS_E0_NS1_11comp_targetILNS1_3genE10ELNS1_11target_archE1201ELNS1_3gpuE5ELNS1_3repE0EEENS1_30default_config_static_selectorELNS0_4arch9wavefront6targetE1EEEvT1_,comdat
	.protected	_ZN7rocprim17ROCPRIM_400000_NS6detail17trampoline_kernelINS0_14default_configENS1_20scan_config_selectorIyEEZZNS1_9scan_implILNS1_25lookback_scan_determinismE0ELb1ELb1ES3_N6thrust23THRUST_200600_302600_NS6detail15normal_iteratorINS9_10device_ptrIyEEEENS9_16discard_iteratorINS9_11use_defaultEEEyNS9_4plusIvEEyEEDaPvRmT3_T4_T5_mT6_P12ihipStream_tbENKUlT_T0_E_clISt17integral_constantIbLb0EESX_EEDaSS_ST_EUlSS_E0_NS1_11comp_targetILNS1_3genE10ELNS1_11target_archE1201ELNS1_3gpuE5ELNS1_3repE0EEENS1_30default_config_static_selectorELNS0_4arch9wavefront6targetE1EEEvT1_ ; -- Begin function _ZN7rocprim17ROCPRIM_400000_NS6detail17trampoline_kernelINS0_14default_configENS1_20scan_config_selectorIyEEZZNS1_9scan_implILNS1_25lookback_scan_determinismE0ELb1ELb1ES3_N6thrust23THRUST_200600_302600_NS6detail15normal_iteratorINS9_10device_ptrIyEEEENS9_16discard_iteratorINS9_11use_defaultEEEyNS9_4plusIvEEyEEDaPvRmT3_T4_T5_mT6_P12ihipStream_tbENKUlT_T0_E_clISt17integral_constantIbLb0EESX_EEDaSS_ST_EUlSS_E0_NS1_11comp_targetILNS1_3genE10ELNS1_11target_archE1201ELNS1_3gpuE5ELNS1_3repE0EEENS1_30default_config_static_selectorELNS0_4arch9wavefront6targetE1EEEvT1_
	.globl	_ZN7rocprim17ROCPRIM_400000_NS6detail17trampoline_kernelINS0_14default_configENS1_20scan_config_selectorIyEEZZNS1_9scan_implILNS1_25lookback_scan_determinismE0ELb1ELb1ES3_N6thrust23THRUST_200600_302600_NS6detail15normal_iteratorINS9_10device_ptrIyEEEENS9_16discard_iteratorINS9_11use_defaultEEEyNS9_4plusIvEEyEEDaPvRmT3_T4_T5_mT6_P12ihipStream_tbENKUlT_T0_E_clISt17integral_constantIbLb0EESX_EEDaSS_ST_EUlSS_E0_NS1_11comp_targetILNS1_3genE10ELNS1_11target_archE1201ELNS1_3gpuE5ELNS1_3repE0EEENS1_30default_config_static_selectorELNS0_4arch9wavefront6targetE1EEEvT1_
	.p2align	8
	.type	_ZN7rocprim17ROCPRIM_400000_NS6detail17trampoline_kernelINS0_14default_configENS1_20scan_config_selectorIyEEZZNS1_9scan_implILNS1_25lookback_scan_determinismE0ELb1ELb1ES3_N6thrust23THRUST_200600_302600_NS6detail15normal_iteratorINS9_10device_ptrIyEEEENS9_16discard_iteratorINS9_11use_defaultEEEyNS9_4plusIvEEyEEDaPvRmT3_T4_T5_mT6_P12ihipStream_tbENKUlT_T0_E_clISt17integral_constantIbLb0EESX_EEDaSS_ST_EUlSS_E0_NS1_11comp_targetILNS1_3genE10ELNS1_11target_archE1201ELNS1_3gpuE5ELNS1_3repE0EEENS1_30default_config_static_selectorELNS0_4arch9wavefront6targetE1EEEvT1_,@function
_ZN7rocprim17ROCPRIM_400000_NS6detail17trampoline_kernelINS0_14default_configENS1_20scan_config_selectorIyEEZZNS1_9scan_implILNS1_25lookback_scan_determinismE0ELb1ELb1ES3_N6thrust23THRUST_200600_302600_NS6detail15normal_iteratorINS9_10device_ptrIyEEEENS9_16discard_iteratorINS9_11use_defaultEEEyNS9_4plusIvEEyEEDaPvRmT3_T4_T5_mT6_P12ihipStream_tbENKUlT_T0_E_clISt17integral_constantIbLb0EESX_EEDaSS_ST_EUlSS_E0_NS1_11comp_targetILNS1_3genE10ELNS1_11target_archE1201ELNS1_3gpuE5ELNS1_3repE0EEENS1_30default_config_static_selectorELNS0_4arch9wavefront6targetE1EEEvT1_: ; @_ZN7rocprim17ROCPRIM_400000_NS6detail17trampoline_kernelINS0_14default_configENS1_20scan_config_selectorIyEEZZNS1_9scan_implILNS1_25lookback_scan_determinismE0ELb1ELb1ES3_N6thrust23THRUST_200600_302600_NS6detail15normal_iteratorINS9_10device_ptrIyEEEENS9_16discard_iteratorINS9_11use_defaultEEEyNS9_4plusIvEEyEEDaPvRmT3_T4_T5_mT6_P12ihipStream_tbENKUlT_T0_E_clISt17integral_constantIbLb0EESX_EEDaSS_ST_EUlSS_E0_NS1_11comp_targetILNS1_3genE10ELNS1_11target_archE1201ELNS1_3gpuE5ELNS1_3repE0EEENS1_30default_config_static_selectorELNS0_4arch9wavefront6targetE1EEEvT1_
; %bb.0:
	.section	.rodata,"a",@progbits
	.p2align	6, 0x0
	.amdhsa_kernel _ZN7rocprim17ROCPRIM_400000_NS6detail17trampoline_kernelINS0_14default_configENS1_20scan_config_selectorIyEEZZNS1_9scan_implILNS1_25lookback_scan_determinismE0ELb1ELb1ES3_N6thrust23THRUST_200600_302600_NS6detail15normal_iteratorINS9_10device_ptrIyEEEENS9_16discard_iteratorINS9_11use_defaultEEEyNS9_4plusIvEEyEEDaPvRmT3_T4_T5_mT6_P12ihipStream_tbENKUlT_T0_E_clISt17integral_constantIbLb0EESX_EEDaSS_ST_EUlSS_E0_NS1_11comp_targetILNS1_3genE10ELNS1_11target_archE1201ELNS1_3gpuE5ELNS1_3repE0EEENS1_30default_config_static_selectorELNS0_4arch9wavefront6targetE1EEEvT1_
		.amdhsa_group_segment_fixed_size 0
		.amdhsa_private_segment_fixed_size 0
		.amdhsa_kernarg_size 48
		.amdhsa_user_sgpr_count 6
		.amdhsa_user_sgpr_private_segment_buffer 1
		.amdhsa_user_sgpr_dispatch_ptr 0
		.amdhsa_user_sgpr_queue_ptr 0
		.amdhsa_user_sgpr_kernarg_segment_ptr 1
		.amdhsa_user_sgpr_dispatch_id 0
		.amdhsa_user_sgpr_flat_scratch_init 0
		.amdhsa_user_sgpr_kernarg_preload_length 0
		.amdhsa_user_sgpr_kernarg_preload_offset 0
		.amdhsa_user_sgpr_private_segment_size 0
		.amdhsa_uses_dynamic_stack 0
		.amdhsa_system_sgpr_private_segment_wavefront_offset 0
		.amdhsa_system_sgpr_workgroup_id_x 1
		.amdhsa_system_sgpr_workgroup_id_y 0
		.amdhsa_system_sgpr_workgroup_id_z 0
		.amdhsa_system_sgpr_workgroup_info 0
		.amdhsa_system_vgpr_workitem_id 0
		.amdhsa_next_free_vgpr 1
		.amdhsa_next_free_sgpr 0
		.amdhsa_accum_offset 4
		.amdhsa_reserve_vcc 0
		.amdhsa_reserve_flat_scratch 0
		.amdhsa_float_round_mode_32 0
		.amdhsa_float_round_mode_16_64 0
		.amdhsa_float_denorm_mode_32 3
		.amdhsa_float_denorm_mode_16_64 3
		.amdhsa_dx10_clamp 1
		.amdhsa_ieee_mode 1
		.amdhsa_fp16_overflow 0
		.amdhsa_tg_split 0
		.amdhsa_exception_fp_ieee_invalid_op 0
		.amdhsa_exception_fp_denorm_src 0
		.amdhsa_exception_fp_ieee_div_zero 0
		.amdhsa_exception_fp_ieee_overflow 0
		.amdhsa_exception_fp_ieee_underflow 0
		.amdhsa_exception_fp_ieee_inexact 0
		.amdhsa_exception_int_div_zero 0
	.end_amdhsa_kernel
	.section	.text._ZN7rocprim17ROCPRIM_400000_NS6detail17trampoline_kernelINS0_14default_configENS1_20scan_config_selectorIyEEZZNS1_9scan_implILNS1_25lookback_scan_determinismE0ELb1ELb1ES3_N6thrust23THRUST_200600_302600_NS6detail15normal_iteratorINS9_10device_ptrIyEEEENS9_16discard_iteratorINS9_11use_defaultEEEyNS9_4plusIvEEyEEDaPvRmT3_T4_T5_mT6_P12ihipStream_tbENKUlT_T0_E_clISt17integral_constantIbLb0EESX_EEDaSS_ST_EUlSS_E0_NS1_11comp_targetILNS1_3genE10ELNS1_11target_archE1201ELNS1_3gpuE5ELNS1_3repE0EEENS1_30default_config_static_selectorELNS0_4arch9wavefront6targetE1EEEvT1_,"axG",@progbits,_ZN7rocprim17ROCPRIM_400000_NS6detail17trampoline_kernelINS0_14default_configENS1_20scan_config_selectorIyEEZZNS1_9scan_implILNS1_25lookback_scan_determinismE0ELb1ELb1ES3_N6thrust23THRUST_200600_302600_NS6detail15normal_iteratorINS9_10device_ptrIyEEEENS9_16discard_iteratorINS9_11use_defaultEEEyNS9_4plusIvEEyEEDaPvRmT3_T4_T5_mT6_P12ihipStream_tbENKUlT_T0_E_clISt17integral_constantIbLb0EESX_EEDaSS_ST_EUlSS_E0_NS1_11comp_targetILNS1_3genE10ELNS1_11target_archE1201ELNS1_3gpuE5ELNS1_3repE0EEENS1_30default_config_static_selectorELNS0_4arch9wavefront6targetE1EEEvT1_,comdat
.Lfunc_end5236:
	.size	_ZN7rocprim17ROCPRIM_400000_NS6detail17trampoline_kernelINS0_14default_configENS1_20scan_config_selectorIyEEZZNS1_9scan_implILNS1_25lookback_scan_determinismE0ELb1ELb1ES3_N6thrust23THRUST_200600_302600_NS6detail15normal_iteratorINS9_10device_ptrIyEEEENS9_16discard_iteratorINS9_11use_defaultEEEyNS9_4plusIvEEyEEDaPvRmT3_T4_T5_mT6_P12ihipStream_tbENKUlT_T0_E_clISt17integral_constantIbLb0EESX_EEDaSS_ST_EUlSS_E0_NS1_11comp_targetILNS1_3genE10ELNS1_11target_archE1201ELNS1_3gpuE5ELNS1_3repE0EEENS1_30default_config_static_selectorELNS0_4arch9wavefront6targetE1EEEvT1_, .Lfunc_end5236-_ZN7rocprim17ROCPRIM_400000_NS6detail17trampoline_kernelINS0_14default_configENS1_20scan_config_selectorIyEEZZNS1_9scan_implILNS1_25lookback_scan_determinismE0ELb1ELb1ES3_N6thrust23THRUST_200600_302600_NS6detail15normal_iteratorINS9_10device_ptrIyEEEENS9_16discard_iteratorINS9_11use_defaultEEEyNS9_4plusIvEEyEEDaPvRmT3_T4_T5_mT6_P12ihipStream_tbENKUlT_T0_E_clISt17integral_constantIbLb0EESX_EEDaSS_ST_EUlSS_E0_NS1_11comp_targetILNS1_3genE10ELNS1_11target_archE1201ELNS1_3gpuE5ELNS1_3repE0EEENS1_30default_config_static_selectorELNS0_4arch9wavefront6targetE1EEEvT1_
                                        ; -- End function
	.section	.AMDGPU.csdata,"",@progbits
; Kernel info:
; codeLenInByte = 0
; NumSgprs: 4
; NumVgprs: 0
; NumAgprs: 0
; TotalNumVgprs: 0
; ScratchSize: 0
; MemoryBound: 0
; FloatMode: 240
; IeeeMode: 1
; LDSByteSize: 0 bytes/workgroup (compile time only)
; SGPRBlocks: 0
; VGPRBlocks: 0
; NumSGPRsForWavesPerEU: 4
; NumVGPRsForWavesPerEU: 1
; AccumOffset: 4
; Occupancy: 8
; WaveLimiterHint : 0
; COMPUTE_PGM_RSRC2:SCRATCH_EN: 0
; COMPUTE_PGM_RSRC2:USER_SGPR: 6
; COMPUTE_PGM_RSRC2:TRAP_HANDLER: 0
; COMPUTE_PGM_RSRC2:TGID_X_EN: 1
; COMPUTE_PGM_RSRC2:TGID_Y_EN: 0
; COMPUTE_PGM_RSRC2:TGID_Z_EN: 0
; COMPUTE_PGM_RSRC2:TIDIG_COMP_CNT: 0
; COMPUTE_PGM_RSRC3_GFX90A:ACCUM_OFFSET: 0
; COMPUTE_PGM_RSRC3_GFX90A:TG_SPLIT: 0
	.section	.text._ZN7rocprim17ROCPRIM_400000_NS6detail17trampoline_kernelINS0_14default_configENS1_20scan_config_selectorIyEEZZNS1_9scan_implILNS1_25lookback_scan_determinismE0ELb1ELb1ES3_N6thrust23THRUST_200600_302600_NS6detail15normal_iteratorINS9_10device_ptrIyEEEENS9_16discard_iteratorINS9_11use_defaultEEEyNS9_4plusIvEEyEEDaPvRmT3_T4_T5_mT6_P12ihipStream_tbENKUlT_T0_E_clISt17integral_constantIbLb0EESX_EEDaSS_ST_EUlSS_E0_NS1_11comp_targetILNS1_3genE10ELNS1_11target_archE1200ELNS1_3gpuE4ELNS1_3repE0EEENS1_30default_config_static_selectorELNS0_4arch9wavefront6targetE1EEEvT1_,"axG",@progbits,_ZN7rocprim17ROCPRIM_400000_NS6detail17trampoline_kernelINS0_14default_configENS1_20scan_config_selectorIyEEZZNS1_9scan_implILNS1_25lookback_scan_determinismE0ELb1ELb1ES3_N6thrust23THRUST_200600_302600_NS6detail15normal_iteratorINS9_10device_ptrIyEEEENS9_16discard_iteratorINS9_11use_defaultEEEyNS9_4plusIvEEyEEDaPvRmT3_T4_T5_mT6_P12ihipStream_tbENKUlT_T0_E_clISt17integral_constantIbLb0EESX_EEDaSS_ST_EUlSS_E0_NS1_11comp_targetILNS1_3genE10ELNS1_11target_archE1200ELNS1_3gpuE4ELNS1_3repE0EEENS1_30default_config_static_selectorELNS0_4arch9wavefront6targetE1EEEvT1_,comdat
	.protected	_ZN7rocprim17ROCPRIM_400000_NS6detail17trampoline_kernelINS0_14default_configENS1_20scan_config_selectorIyEEZZNS1_9scan_implILNS1_25lookback_scan_determinismE0ELb1ELb1ES3_N6thrust23THRUST_200600_302600_NS6detail15normal_iteratorINS9_10device_ptrIyEEEENS9_16discard_iteratorINS9_11use_defaultEEEyNS9_4plusIvEEyEEDaPvRmT3_T4_T5_mT6_P12ihipStream_tbENKUlT_T0_E_clISt17integral_constantIbLb0EESX_EEDaSS_ST_EUlSS_E0_NS1_11comp_targetILNS1_3genE10ELNS1_11target_archE1200ELNS1_3gpuE4ELNS1_3repE0EEENS1_30default_config_static_selectorELNS0_4arch9wavefront6targetE1EEEvT1_ ; -- Begin function _ZN7rocprim17ROCPRIM_400000_NS6detail17trampoline_kernelINS0_14default_configENS1_20scan_config_selectorIyEEZZNS1_9scan_implILNS1_25lookback_scan_determinismE0ELb1ELb1ES3_N6thrust23THRUST_200600_302600_NS6detail15normal_iteratorINS9_10device_ptrIyEEEENS9_16discard_iteratorINS9_11use_defaultEEEyNS9_4plusIvEEyEEDaPvRmT3_T4_T5_mT6_P12ihipStream_tbENKUlT_T0_E_clISt17integral_constantIbLb0EESX_EEDaSS_ST_EUlSS_E0_NS1_11comp_targetILNS1_3genE10ELNS1_11target_archE1200ELNS1_3gpuE4ELNS1_3repE0EEENS1_30default_config_static_selectorELNS0_4arch9wavefront6targetE1EEEvT1_
	.globl	_ZN7rocprim17ROCPRIM_400000_NS6detail17trampoline_kernelINS0_14default_configENS1_20scan_config_selectorIyEEZZNS1_9scan_implILNS1_25lookback_scan_determinismE0ELb1ELb1ES3_N6thrust23THRUST_200600_302600_NS6detail15normal_iteratorINS9_10device_ptrIyEEEENS9_16discard_iteratorINS9_11use_defaultEEEyNS9_4plusIvEEyEEDaPvRmT3_T4_T5_mT6_P12ihipStream_tbENKUlT_T0_E_clISt17integral_constantIbLb0EESX_EEDaSS_ST_EUlSS_E0_NS1_11comp_targetILNS1_3genE10ELNS1_11target_archE1200ELNS1_3gpuE4ELNS1_3repE0EEENS1_30default_config_static_selectorELNS0_4arch9wavefront6targetE1EEEvT1_
	.p2align	8
	.type	_ZN7rocprim17ROCPRIM_400000_NS6detail17trampoline_kernelINS0_14default_configENS1_20scan_config_selectorIyEEZZNS1_9scan_implILNS1_25lookback_scan_determinismE0ELb1ELb1ES3_N6thrust23THRUST_200600_302600_NS6detail15normal_iteratorINS9_10device_ptrIyEEEENS9_16discard_iteratorINS9_11use_defaultEEEyNS9_4plusIvEEyEEDaPvRmT3_T4_T5_mT6_P12ihipStream_tbENKUlT_T0_E_clISt17integral_constantIbLb0EESX_EEDaSS_ST_EUlSS_E0_NS1_11comp_targetILNS1_3genE10ELNS1_11target_archE1200ELNS1_3gpuE4ELNS1_3repE0EEENS1_30default_config_static_selectorELNS0_4arch9wavefront6targetE1EEEvT1_,@function
_ZN7rocprim17ROCPRIM_400000_NS6detail17trampoline_kernelINS0_14default_configENS1_20scan_config_selectorIyEEZZNS1_9scan_implILNS1_25lookback_scan_determinismE0ELb1ELb1ES3_N6thrust23THRUST_200600_302600_NS6detail15normal_iteratorINS9_10device_ptrIyEEEENS9_16discard_iteratorINS9_11use_defaultEEEyNS9_4plusIvEEyEEDaPvRmT3_T4_T5_mT6_P12ihipStream_tbENKUlT_T0_E_clISt17integral_constantIbLb0EESX_EEDaSS_ST_EUlSS_E0_NS1_11comp_targetILNS1_3genE10ELNS1_11target_archE1200ELNS1_3gpuE4ELNS1_3repE0EEENS1_30default_config_static_selectorELNS0_4arch9wavefront6targetE1EEEvT1_: ; @_ZN7rocprim17ROCPRIM_400000_NS6detail17trampoline_kernelINS0_14default_configENS1_20scan_config_selectorIyEEZZNS1_9scan_implILNS1_25lookback_scan_determinismE0ELb1ELb1ES3_N6thrust23THRUST_200600_302600_NS6detail15normal_iteratorINS9_10device_ptrIyEEEENS9_16discard_iteratorINS9_11use_defaultEEEyNS9_4plusIvEEyEEDaPvRmT3_T4_T5_mT6_P12ihipStream_tbENKUlT_T0_E_clISt17integral_constantIbLb0EESX_EEDaSS_ST_EUlSS_E0_NS1_11comp_targetILNS1_3genE10ELNS1_11target_archE1200ELNS1_3gpuE4ELNS1_3repE0EEENS1_30default_config_static_selectorELNS0_4arch9wavefront6targetE1EEEvT1_
; %bb.0:
	.section	.rodata,"a",@progbits
	.p2align	6, 0x0
	.amdhsa_kernel _ZN7rocprim17ROCPRIM_400000_NS6detail17trampoline_kernelINS0_14default_configENS1_20scan_config_selectorIyEEZZNS1_9scan_implILNS1_25lookback_scan_determinismE0ELb1ELb1ES3_N6thrust23THRUST_200600_302600_NS6detail15normal_iteratorINS9_10device_ptrIyEEEENS9_16discard_iteratorINS9_11use_defaultEEEyNS9_4plusIvEEyEEDaPvRmT3_T4_T5_mT6_P12ihipStream_tbENKUlT_T0_E_clISt17integral_constantIbLb0EESX_EEDaSS_ST_EUlSS_E0_NS1_11comp_targetILNS1_3genE10ELNS1_11target_archE1200ELNS1_3gpuE4ELNS1_3repE0EEENS1_30default_config_static_selectorELNS0_4arch9wavefront6targetE1EEEvT1_
		.amdhsa_group_segment_fixed_size 0
		.amdhsa_private_segment_fixed_size 0
		.amdhsa_kernarg_size 48
		.amdhsa_user_sgpr_count 6
		.amdhsa_user_sgpr_private_segment_buffer 1
		.amdhsa_user_sgpr_dispatch_ptr 0
		.amdhsa_user_sgpr_queue_ptr 0
		.amdhsa_user_sgpr_kernarg_segment_ptr 1
		.amdhsa_user_sgpr_dispatch_id 0
		.amdhsa_user_sgpr_flat_scratch_init 0
		.amdhsa_user_sgpr_kernarg_preload_length 0
		.amdhsa_user_sgpr_kernarg_preload_offset 0
		.amdhsa_user_sgpr_private_segment_size 0
		.amdhsa_uses_dynamic_stack 0
		.amdhsa_system_sgpr_private_segment_wavefront_offset 0
		.amdhsa_system_sgpr_workgroup_id_x 1
		.amdhsa_system_sgpr_workgroup_id_y 0
		.amdhsa_system_sgpr_workgroup_id_z 0
		.amdhsa_system_sgpr_workgroup_info 0
		.amdhsa_system_vgpr_workitem_id 0
		.amdhsa_next_free_vgpr 1
		.amdhsa_next_free_sgpr 0
		.amdhsa_accum_offset 4
		.amdhsa_reserve_vcc 0
		.amdhsa_reserve_flat_scratch 0
		.amdhsa_float_round_mode_32 0
		.amdhsa_float_round_mode_16_64 0
		.amdhsa_float_denorm_mode_32 3
		.amdhsa_float_denorm_mode_16_64 3
		.amdhsa_dx10_clamp 1
		.amdhsa_ieee_mode 1
		.amdhsa_fp16_overflow 0
		.amdhsa_tg_split 0
		.amdhsa_exception_fp_ieee_invalid_op 0
		.amdhsa_exception_fp_denorm_src 0
		.amdhsa_exception_fp_ieee_div_zero 0
		.amdhsa_exception_fp_ieee_overflow 0
		.amdhsa_exception_fp_ieee_underflow 0
		.amdhsa_exception_fp_ieee_inexact 0
		.amdhsa_exception_int_div_zero 0
	.end_amdhsa_kernel
	.section	.text._ZN7rocprim17ROCPRIM_400000_NS6detail17trampoline_kernelINS0_14default_configENS1_20scan_config_selectorIyEEZZNS1_9scan_implILNS1_25lookback_scan_determinismE0ELb1ELb1ES3_N6thrust23THRUST_200600_302600_NS6detail15normal_iteratorINS9_10device_ptrIyEEEENS9_16discard_iteratorINS9_11use_defaultEEEyNS9_4plusIvEEyEEDaPvRmT3_T4_T5_mT6_P12ihipStream_tbENKUlT_T0_E_clISt17integral_constantIbLb0EESX_EEDaSS_ST_EUlSS_E0_NS1_11comp_targetILNS1_3genE10ELNS1_11target_archE1200ELNS1_3gpuE4ELNS1_3repE0EEENS1_30default_config_static_selectorELNS0_4arch9wavefront6targetE1EEEvT1_,"axG",@progbits,_ZN7rocprim17ROCPRIM_400000_NS6detail17trampoline_kernelINS0_14default_configENS1_20scan_config_selectorIyEEZZNS1_9scan_implILNS1_25lookback_scan_determinismE0ELb1ELb1ES3_N6thrust23THRUST_200600_302600_NS6detail15normal_iteratorINS9_10device_ptrIyEEEENS9_16discard_iteratorINS9_11use_defaultEEEyNS9_4plusIvEEyEEDaPvRmT3_T4_T5_mT6_P12ihipStream_tbENKUlT_T0_E_clISt17integral_constantIbLb0EESX_EEDaSS_ST_EUlSS_E0_NS1_11comp_targetILNS1_3genE10ELNS1_11target_archE1200ELNS1_3gpuE4ELNS1_3repE0EEENS1_30default_config_static_selectorELNS0_4arch9wavefront6targetE1EEEvT1_,comdat
.Lfunc_end5237:
	.size	_ZN7rocprim17ROCPRIM_400000_NS6detail17trampoline_kernelINS0_14default_configENS1_20scan_config_selectorIyEEZZNS1_9scan_implILNS1_25lookback_scan_determinismE0ELb1ELb1ES3_N6thrust23THRUST_200600_302600_NS6detail15normal_iteratorINS9_10device_ptrIyEEEENS9_16discard_iteratorINS9_11use_defaultEEEyNS9_4plusIvEEyEEDaPvRmT3_T4_T5_mT6_P12ihipStream_tbENKUlT_T0_E_clISt17integral_constantIbLb0EESX_EEDaSS_ST_EUlSS_E0_NS1_11comp_targetILNS1_3genE10ELNS1_11target_archE1200ELNS1_3gpuE4ELNS1_3repE0EEENS1_30default_config_static_selectorELNS0_4arch9wavefront6targetE1EEEvT1_, .Lfunc_end5237-_ZN7rocprim17ROCPRIM_400000_NS6detail17trampoline_kernelINS0_14default_configENS1_20scan_config_selectorIyEEZZNS1_9scan_implILNS1_25lookback_scan_determinismE0ELb1ELb1ES3_N6thrust23THRUST_200600_302600_NS6detail15normal_iteratorINS9_10device_ptrIyEEEENS9_16discard_iteratorINS9_11use_defaultEEEyNS9_4plusIvEEyEEDaPvRmT3_T4_T5_mT6_P12ihipStream_tbENKUlT_T0_E_clISt17integral_constantIbLb0EESX_EEDaSS_ST_EUlSS_E0_NS1_11comp_targetILNS1_3genE10ELNS1_11target_archE1200ELNS1_3gpuE4ELNS1_3repE0EEENS1_30default_config_static_selectorELNS0_4arch9wavefront6targetE1EEEvT1_
                                        ; -- End function
	.section	.AMDGPU.csdata,"",@progbits
; Kernel info:
; codeLenInByte = 0
; NumSgprs: 4
; NumVgprs: 0
; NumAgprs: 0
; TotalNumVgprs: 0
; ScratchSize: 0
; MemoryBound: 0
; FloatMode: 240
; IeeeMode: 1
; LDSByteSize: 0 bytes/workgroup (compile time only)
; SGPRBlocks: 0
; VGPRBlocks: 0
; NumSGPRsForWavesPerEU: 4
; NumVGPRsForWavesPerEU: 1
; AccumOffset: 4
; Occupancy: 8
; WaveLimiterHint : 0
; COMPUTE_PGM_RSRC2:SCRATCH_EN: 0
; COMPUTE_PGM_RSRC2:USER_SGPR: 6
; COMPUTE_PGM_RSRC2:TRAP_HANDLER: 0
; COMPUTE_PGM_RSRC2:TGID_X_EN: 1
; COMPUTE_PGM_RSRC2:TGID_Y_EN: 0
; COMPUTE_PGM_RSRC2:TGID_Z_EN: 0
; COMPUTE_PGM_RSRC2:TIDIG_COMP_CNT: 0
; COMPUTE_PGM_RSRC3_GFX90A:ACCUM_OFFSET: 0
; COMPUTE_PGM_RSRC3_GFX90A:TG_SPLIT: 0
	.section	.text._ZN7rocprim17ROCPRIM_400000_NS6detail17trampoline_kernelINS0_14default_configENS1_20scan_config_selectorIyEEZZNS1_9scan_implILNS1_25lookback_scan_determinismE0ELb1ELb1ES3_N6thrust23THRUST_200600_302600_NS6detail15normal_iteratorINS9_10device_ptrIyEEEENS9_16discard_iteratorINS9_11use_defaultEEEyNS9_4plusIvEEyEEDaPvRmT3_T4_T5_mT6_P12ihipStream_tbENKUlT_T0_E_clISt17integral_constantIbLb0EESX_EEDaSS_ST_EUlSS_E0_NS1_11comp_targetILNS1_3genE9ELNS1_11target_archE1100ELNS1_3gpuE3ELNS1_3repE0EEENS1_30default_config_static_selectorELNS0_4arch9wavefront6targetE1EEEvT1_,"axG",@progbits,_ZN7rocprim17ROCPRIM_400000_NS6detail17trampoline_kernelINS0_14default_configENS1_20scan_config_selectorIyEEZZNS1_9scan_implILNS1_25lookback_scan_determinismE0ELb1ELb1ES3_N6thrust23THRUST_200600_302600_NS6detail15normal_iteratorINS9_10device_ptrIyEEEENS9_16discard_iteratorINS9_11use_defaultEEEyNS9_4plusIvEEyEEDaPvRmT3_T4_T5_mT6_P12ihipStream_tbENKUlT_T0_E_clISt17integral_constantIbLb0EESX_EEDaSS_ST_EUlSS_E0_NS1_11comp_targetILNS1_3genE9ELNS1_11target_archE1100ELNS1_3gpuE3ELNS1_3repE0EEENS1_30default_config_static_selectorELNS0_4arch9wavefront6targetE1EEEvT1_,comdat
	.protected	_ZN7rocprim17ROCPRIM_400000_NS6detail17trampoline_kernelINS0_14default_configENS1_20scan_config_selectorIyEEZZNS1_9scan_implILNS1_25lookback_scan_determinismE0ELb1ELb1ES3_N6thrust23THRUST_200600_302600_NS6detail15normal_iteratorINS9_10device_ptrIyEEEENS9_16discard_iteratorINS9_11use_defaultEEEyNS9_4plusIvEEyEEDaPvRmT3_T4_T5_mT6_P12ihipStream_tbENKUlT_T0_E_clISt17integral_constantIbLb0EESX_EEDaSS_ST_EUlSS_E0_NS1_11comp_targetILNS1_3genE9ELNS1_11target_archE1100ELNS1_3gpuE3ELNS1_3repE0EEENS1_30default_config_static_selectorELNS0_4arch9wavefront6targetE1EEEvT1_ ; -- Begin function _ZN7rocprim17ROCPRIM_400000_NS6detail17trampoline_kernelINS0_14default_configENS1_20scan_config_selectorIyEEZZNS1_9scan_implILNS1_25lookback_scan_determinismE0ELb1ELb1ES3_N6thrust23THRUST_200600_302600_NS6detail15normal_iteratorINS9_10device_ptrIyEEEENS9_16discard_iteratorINS9_11use_defaultEEEyNS9_4plusIvEEyEEDaPvRmT3_T4_T5_mT6_P12ihipStream_tbENKUlT_T0_E_clISt17integral_constantIbLb0EESX_EEDaSS_ST_EUlSS_E0_NS1_11comp_targetILNS1_3genE9ELNS1_11target_archE1100ELNS1_3gpuE3ELNS1_3repE0EEENS1_30default_config_static_selectorELNS0_4arch9wavefront6targetE1EEEvT1_
	.globl	_ZN7rocprim17ROCPRIM_400000_NS6detail17trampoline_kernelINS0_14default_configENS1_20scan_config_selectorIyEEZZNS1_9scan_implILNS1_25lookback_scan_determinismE0ELb1ELb1ES3_N6thrust23THRUST_200600_302600_NS6detail15normal_iteratorINS9_10device_ptrIyEEEENS9_16discard_iteratorINS9_11use_defaultEEEyNS9_4plusIvEEyEEDaPvRmT3_T4_T5_mT6_P12ihipStream_tbENKUlT_T0_E_clISt17integral_constantIbLb0EESX_EEDaSS_ST_EUlSS_E0_NS1_11comp_targetILNS1_3genE9ELNS1_11target_archE1100ELNS1_3gpuE3ELNS1_3repE0EEENS1_30default_config_static_selectorELNS0_4arch9wavefront6targetE1EEEvT1_
	.p2align	8
	.type	_ZN7rocprim17ROCPRIM_400000_NS6detail17trampoline_kernelINS0_14default_configENS1_20scan_config_selectorIyEEZZNS1_9scan_implILNS1_25lookback_scan_determinismE0ELb1ELb1ES3_N6thrust23THRUST_200600_302600_NS6detail15normal_iteratorINS9_10device_ptrIyEEEENS9_16discard_iteratorINS9_11use_defaultEEEyNS9_4plusIvEEyEEDaPvRmT3_T4_T5_mT6_P12ihipStream_tbENKUlT_T0_E_clISt17integral_constantIbLb0EESX_EEDaSS_ST_EUlSS_E0_NS1_11comp_targetILNS1_3genE9ELNS1_11target_archE1100ELNS1_3gpuE3ELNS1_3repE0EEENS1_30default_config_static_selectorELNS0_4arch9wavefront6targetE1EEEvT1_,@function
_ZN7rocprim17ROCPRIM_400000_NS6detail17trampoline_kernelINS0_14default_configENS1_20scan_config_selectorIyEEZZNS1_9scan_implILNS1_25lookback_scan_determinismE0ELb1ELb1ES3_N6thrust23THRUST_200600_302600_NS6detail15normal_iteratorINS9_10device_ptrIyEEEENS9_16discard_iteratorINS9_11use_defaultEEEyNS9_4plusIvEEyEEDaPvRmT3_T4_T5_mT6_P12ihipStream_tbENKUlT_T0_E_clISt17integral_constantIbLb0EESX_EEDaSS_ST_EUlSS_E0_NS1_11comp_targetILNS1_3genE9ELNS1_11target_archE1100ELNS1_3gpuE3ELNS1_3repE0EEENS1_30default_config_static_selectorELNS0_4arch9wavefront6targetE1EEEvT1_: ; @_ZN7rocprim17ROCPRIM_400000_NS6detail17trampoline_kernelINS0_14default_configENS1_20scan_config_selectorIyEEZZNS1_9scan_implILNS1_25lookback_scan_determinismE0ELb1ELb1ES3_N6thrust23THRUST_200600_302600_NS6detail15normal_iteratorINS9_10device_ptrIyEEEENS9_16discard_iteratorINS9_11use_defaultEEEyNS9_4plusIvEEyEEDaPvRmT3_T4_T5_mT6_P12ihipStream_tbENKUlT_T0_E_clISt17integral_constantIbLb0EESX_EEDaSS_ST_EUlSS_E0_NS1_11comp_targetILNS1_3genE9ELNS1_11target_archE1100ELNS1_3gpuE3ELNS1_3repE0EEENS1_30default_config_static_selectorELNS0_4arch9wavefront6targetE1EEEvT1_
; %bb.0:
	.section	.rodata,"a",@progbits
	.p2align	6, 0x0
	.amdhsa_kernel _ZN7rocprim17ROCPRIM_400000_NS6detail17trampoline_kernelINS0_14default_configENS1_20scan_config_selectorIyEEZZNS1_9scan_implILNS1_25lookback_scan_determinismE0ELb1ELb1ES3_N6thrust23THRUST_200600_302600_NS6detail15normal_iteratorINS9_10device_ptrIyEEEENS9_16discard_iteratorINS9_11use_defaultEEEyNS9_4plusIvEEyEEDaPvRmT3_T4_T5_mT6_P12ihipStream_tbENKUlT_T0_E_clISt17integral_constantIbLb0EESX_EEDaSS_ST_EUlSS_E0_NS1_11comp_targetILNS1_3genE9ELNS1_11target_archE1100ELNS1_3gpuE3ELNS1_3repE0EEENS1_30default_config_static_selectorELNS0_4arch9wavefront6targetE1EEEvT1_
		.amdhsa_group_segment_fixed_size 0
		.amdhsa_private_segment_fixed_size 0
		.amdhsa_kernarg_size 48
		.amdhsa_user_sgpr_count 6
		.amdhsa_user_sgpr_private_segment_buffer 1
		.amdhsa_user_sgpr_dispatch_ptr 0
		.amdhsa_user_sgpr_queue_ptr 0
		.amdhsa_user_sgpr_kernarg_segment_ptr 1
		.amdhsa_user_sgpr_dispatch_id 0
		.amdhsa_user_sgpr_flat_scratch_init 0
		.amdhsa_user_sgpr_kernarg_preload_length 0
		.amdhsa_user_sgpr_kernarg_preload_offset 0
		.amdhsa_user_sgpr_private_segment_size 0
		.amdhsa_uses_dynamic_stack 0
		.amdhsa_system_sgpr_private_segment_wavefront_offset 0
		.amdhsa_system_sgpr_workgroup_id_x 1
		.amdhsa_system_sgpr_workgroup_id_y 0
		.amdhsa_system_sgpr_workgroup_id_z 0
		.amdhsa_system_sgpr_workgroup_info 0
		.amdhsa_system_vgpr_workitem_id 0
		.amdhsa_next_free_vgpr 1
		.amdhsa_next_free_sgpr 0
		.amdhsa_accum_offset 4
		.amdhsa_reserve_vcc 0
		.amdhsa_reserve_flat_scratch 0
		.amdhsa_float_round_mode_32 0
		.amdhsa_float_round_mode_16_64 0
		.amdhsa_float_denorm_mode_32 3
		.amdhsa_float_denorm_mode_16_64 3
		.amdhsa_dx10_clamp 1
		.amdhsa_ieee_mode 1
		.amdhsa_fp16_overflow 0
		.amdhsa_tg_split 0
		.amdhsa_exception_fp_ieee_invalid_op 0
		.amdhsa_exception_fp_denorm_src 0
		.amdhsa_exception_fp_ieee_div_zero 0
		.amdhsa_exception_fp_ieee_overflow 0
		.amdhsa_exception_fp_ieee_underflow 0
		.amdhsa_exception_fp_ieee_inexact 0
		.amdhsa_exception_int_div_zero 0
	.end_amdhsa_kernel
	.section	.text._ZN7rocprim17ROCPRIM_400000_NS6detail17trampoline_kernelINS0_14default_configENS1_20scan_config_selectorIyEEZZNS1_9scan_implILNS1_25lookback_scan_determinismE0ELb1ELb1ES3_N6thrust23THRUST_200600_302600_NS6detail15normal_iteratorINS9_10device_ptrIyEEEENS9_16discard_iteratorINS9_11use_defaultEEEyNS9_4plusIvEEyEEDaPvRmT3_T4_T5_mT6_P12ihipStream_tbENKUlT_T0_E_clISt17integral_constantIbLb0EESX_EEDaSS_ST_EUlSS_E0_NS1_11comp_targetILNS1_3genE9ELNS1_11target_archE1100ELNS1_3gpuE3ELNS1_3repE0EEENS1_30default_config_static_selectorELNS0_4arch9wavefront6targetE1EEEvT1_,"axG",@progbits,_ZN7rocprim17ROCPRIM_400000_NS6detail17trampoline_kernelINS0_14default_configENS1_20scan_config_selectorIyEEZZNS1_9scan_implILNS1_25lookback_scan_determinismE0ELb1ELb1ES3_N6thrust23THRUST_200600_302600_NS6detail15normal_iteratorINS9_10device_ptrIyEEEENS9_16discard_iteratorINS9_11use_defaultEEEyNS9_4plusIvEEyEEDaPvRmT3_T4_T5_mT6_P12ihipStream_tbENKUlT_T0_E_clISt17integral_constantIbLb0EESX_EEDaSS_ST_EUlSS_E0_NS1_11comp_targetILNS1_3genE9ELNS1_11target_archE1100ELNS1_3gpuE3ELNS1_3repE0EEENS1_30default_config_static_selectorELNS0_4arch9wavefront6targetE1EEEvT1_,comdat
.Lfunc_end5238:
	.size	_ZN7rocprim17ROCPRIM_400000_NS6detail17trampoline_kernelINS0_14default_configENS1_20scan_config_selectorIyEEZZNS1_9scan_implILNS1_25lookback_scan_determinismE0ELb1ELb1ES3_N6thrust23THRUST_200600_302600_NS6detail15normal_iteratorINS9_10device_ptrIyEEEENS9_16discard_iteratorINS9_11use_defaultEEEyNS9_4plusIvEEyEEDaPvRmT3_T4_T5_mT6_P12ihipStream_tbENKUlT_T0_E_clISt17integral_constantIbLb0EESX_EEDaSS_ST_EUlSS_E0_NS1_11comp_targetILNS1_3genE9ELNS1_11target_archE1100ELNS1_3gpuE3ELNS1_3repE0EEENS1_30default_config_static_selectorELNS0_4arch9wavefront6targetE1EEEvT1_, .Lfunc_end5238-_ZN7rocprim17ROCPRIM_400000_NS6detail17trampoline_kernelINS0_14default_configENS1_20scan_config_selectorIyEEZZNS1_9scan_implILNS1_25lookback_scan_determinismE0ELb1ELb1ES3_N6thrust23THRUST_200600_302600_NS6detail15normal_iteratorINS9_10device_ptrIyEEEENS9_16discard_iteratorINS9_11use_defaultEEEyNS9_4plusIvEEyEEDaPvRmT3_T4_T5_mT6_P12ihipStream_tbENKUlT_T0_E_clISt17integral_constantIbLb0EESX_EEDaSS_ST_EUlSS_E0_NS1_11comp_targetILNS1_3genE9ELNS1_11target_archE1100ELNS1_3gpuE3ELNS1_3repE0EEENS1_30default_config_static_selectorELNS0_4arch9wavefront6targetE1EEEvT1_
                                        ; -- End function
	.section	.AMDGPU.csdata,"",@progbits
; Kernel info:
; codeLenInByte = 0
; NumSgprs: 4
; NumVgprs: 0
; NumAgprs: 0
; TotalNumVgprs: 0
; ScratchSize: 0
; MemoryBound: 0
; FloatMode: 240
; IeeeMode: 1
; LDSByteSize: 0 bytes/workgroup (compile time only)
; SGPRBlocks: 0
; VGPRBlocks: 0
; NumSGPRsForWavesPerEU: 4
; NumVGPRsForWavesPerEU: 1
; AccumOffset: 4
; Occupancy: 8
; WaveLimiterHint : 0
; COMPUTE_PGM_RSRC2:SCRATCH_EN: 0
; COMPUTE_PGM_RSRC2:USER_SGPR: 6
; COMPUTE_PGM_RSRC2:TRAP_HANDLER: 0
; COMPUTE_PGM_RSRC2:TGID_X_EN: 1
; COMPUTE_PGM_RSRC2:TGID_Y_EN: 0
; COMPUTE_PGM_RSRC2:TGID_Z_EN: 0
; COMPUTE_PGM_RSRC2:TIDIG_COMP_CNT: 0
; COMPUTE_PGM_RSRC3_GFX90A:ACCUM_OFFSET: 0
; COMPUTE_PGM_RSRC3_GFX90A:TG_SPLIT: 0
	.section	.text._ZN7rocprim17ROCPRIM_400000_NS6detail17trampoline_kernelINS0_14default_configENS1_20scan_config_selectorIyEEZZNS1_9scan_implILNS1_25lookback_scan_determinismE0ELb1ELb1ES3_N6thrust23THRUST_200600_302600_NS6detail15normal_iteratorINS9_10device_ptrIyEEEENS9_16discard_iteratorINS9_11use_defaultEEEyNS9_4plusIvEEyEEDaPvRmT3_T4_T5_mT6_P12ihipStream_tbENKUlT_T0_E_clISt17integral_constantIbLb0EESX_EEDaSS_ST_EUlSS_E0_NS1_11comp_targetILNS1_3genE8ELNS1_11target_archE1030ELNS1_3gpuE2ELNS1_3repE0EEENS1_30default_config_static_selectorELNS0_4arch9wavefront6targetE1EEEvT1_,"axG",@progbits,_ZN7rocprim17ROCPRIM_400000_NS6detail17trampoline_kernelINS0_14default_configENS1_20scan_config_selectorIyEEZZNS1_9scan_implILNS1_25lookback_scan_determinismE0ELb1ELb1ES3_N6thrust23THRUST_200600_302600_NS6detail15normal_iteratorINS9_10device_ptrIyEEEENS9_16discard_iteratorINS9_11use_defaultEEEyNS9_4plusIvEEyEEDaPvRmT3_T4_T5_mT6_P12ihipStream_tbENKUlT_T0_E_clISt17integral_constantIbLb0EESX_EEDaSS_ST_EUlSS_E0_NS1_11comp_targetILNS1_3genE8ELNS1_11target_archE1030ELNS1_3gpuE2ELNS1_3repE0EEENS1_30default_config_static_selectorELNS0_4arch9wavefront6targetE1EEEvT1_,comdat
	.protected	_ZN7rocprim17ROCPRIM_400000_NS6detail17trampoline_kernelINS0_14default_configENS1_20scan_config_selectorIyEEZZNS1_9scan_implILNS1_25lookback_scan_determinismE0ELb1ELb1ES3_N6thrust23THRUST_200600_302600_NS6detail15normal_iteratorINS9_10device_ptrIyEEEENS9_16discard_iteratorINS9_11use_defaultEEEyNS9_4plusIvEEyEEDaPvRmT3_T4_T5_mT6_P12ihipStream_tbENKUlT_T0_E_clISt17integral_constantIbLb0EESX_EEDaSS_ST_EUlSS_E0_NS1_11comp_targetILNS1_3genE8ELNS1_11target_archE1030ELNS1_3gpuE2ELNS1_3repE0EEENS1_30default_config_static_selectorELNS0_4arch9wavefront6targetE1EEEvT1_ ; -- Begin function _ZN7rocprim17ROCPRIM_400000_NS6detail17trampoline_kernelINS0_14default_configENS1_20scan_config_selectorIyEEZZNS1_9scan_implILNS1_25lookback_scan_determinismE0ELb1ELb1ES3_N6thrust23THRUST_200600_302600_NS6detail15normal_iteratorINS9_10device_ptrIyEEEENS9_16discard_iteratorINS9_11use_defaultEEEyNS9_4plusIvEEyEEDaPvRmT3_T4_T5_mT6_P12ihipStream_tbENKUlT_T0_E_clISt17integral_constantIbLb0EESX_EEDaSS_ST_EUlSS_E0_NS1_11comp_targetILNS1_3genE8ELNS1_11target_archE1030ELNS1_3gpuE2ELNS1_3repE0EEENS1_30default_config_static_selectorELNS0_4arch9wavefront6targetE1EEEvT1_
	.globl	_ZN7rocprim17ROCPRIM_400000_NS6detail17trampoline_kernelINS0_14default_configENS1_20scan_config_selectorIyEEZZNS1_9scan_implILNS1_25lookback_scan_determinismE0ELb1ELb1ES3_N6thrust23THRUST_200600_302600_NS6detail15normal_iteratorINS9_10device_ptrIyEEEENS9_16discard_iteratorINS9_11use_defaultEEEyNS9_4plusIvEEyEEDaPvRmT3_T4_T5_mT6_P12ihipStream_tbENKUlT_T0_E_clISt17integral_constantIbLb0EESX_EEDaSS_ST_EUlSS_E0_NS1_11comp_targetILNS1_3genE8ELNS1_11target_archE1030ELNS1_3gpuE2ELNS1_3repE0EEENS1_30default_config_static_selectorELNS0_4arch9wavefront6targetE1EEEvT1_
	.p2align	8
	.type	_ZN7rocprim17ROCPRIM_400000_NS6detail17trampoline_kernelINS0_14default_configENS1_20scan_config_selectorIyEEZZNS1_9scan_implILNS1_25lookback_scan_determinismE0ELb1ELb1ES3_N6thrust23THRUST_200600_302600_NS6detail15normal_iteratorINS9_10device_ptrIyEEEENS9_16discard_iteratorINS9_11use_defaultEEEyNS9_4plusIvEEyEEDaPvRmT3_T4_T5_mT6_P12ihipStream_tbENKUlT_T0_E_clISt17integral_constantIbLb0EESX_EEDaSS_ST_EUlSS_E0_NS1_11comp_targetILNS1_3genE8ELNS1_11target_archE1030ELNS1_3gpuE2ELNS1_3repE0EEENS1_30default_config_static_selectorELNS0_4arch9wavefront6targetE1EEEvT1_,@function
_ZN7rocprim17ROCPRIM_400000_NS6detail17trampoline_kernelINS0_14default_configENS1_20scan_config_selectorIyEEZZNS1_9scan_implILNS1_25lookback_scan_determinismE0ELb1ELb1ES3_N6thrust23THRUST_200600_302600_NS6detail15normal_iteratorINS9_10device_ptrIyEEEENS9_16discard_iteratorINS9_11use_defaultEEEyNS9_4plusIvEEyEEDaPvRmT3_T4_T5_mT6_P12ihipStream_tbENKUlT_T0_E_clISt17integral_constantIbLb0EESX_EEDaSS_ST_EUlSS_E0_NS1_11comp_targetILNS1_3genE8ELNS1_11target_archE1030ELNS1_3gpuE2ELNS1_3repE0EEENS1_30default_config_static_selectorELNS0_4arch9wavefront6targetE1EEEvT1_: ; @_ZN7rocprim17ROCPRIM_400000_NS6detail17trampoline_kernelINS0_14default_configENS1_20scan_config_selectorIyEEZZNS1_9scan_implILNS1_25lookback_scan_determinismE0ELb1ELb1ES3_N6thrust23THRUST_200600_302600_NS6detail15normal_iteratorINS9_10device_ptrIyEEEENS9_16discard_iteratorINS9_11use_defaultEEEyNS9_4plusIvEEyEEDaPvRmT3_T4_T5_mT6_P12ihipStream_tbENKUlT_T0_E_clISt17integral_constantIbLb0EESX_EEDaSS_ST_EUlSS_E0_NS1_11comp_targetILNS1_3genE8ELNS1_11target_archE1030ELNS1_3gpuE2ELNS1_3repE0EEENS1_30default_config_static_selectorELNS0_4arch9wavefront6targetE1EEEvT1_
; %bb.0:
	.section	.rodata,"a",@progbits
	.p2align	6, 0x0
	.amdhsa_kernel _ZN7rocprim17ROCPRIM_400000_NS6detail17trampoline_kernelINS0_14default_configENS1_20scan_config_selectorIyEEZZNS1_9scan_implILNS1_25lookback_scan_determinismE0ELb1ELb1ES3_N6thrust23THRUST_200600_302600_NS6detail15normal_iteratorINS9_10device_ptrIyEEEENS9_16discard_iteratorINS9_11use_defaultEEEyNS9_4plusIvEEyEEDaPvRmT3_T4_T5_mT6_P12ihipStream_tbENKUlT_T0_E_clISt17integral_constantIbLb0EESX_EEDaSS_ST_EUlSS_E0_NS1_11comp_targetILNS1_3genE8ELNS1_11target_archE1030ELNS1_3gpuE2ELNS1_3repE0EEENS1_30default_config_static_selectorELNS0_4arch9wavefront6targetE1EEEvT1_
		.amdhsa_group_segment_fixed_size 0
		.amdhsa_private_segment_fixed_size 0
		.amdhsa_kernarg_size 48
		.amdhsa_user_sgpr_count 6
		.amdhsa_user_sgpr_private_segment_buffer 1
		.amdhsa_user_sgpr_dispatch_ptr 0
		.amdhsa_user_sgpr_queue_ptr 0
		.amdhsa_user_sgpr_kernarg_segment_ptr 1
		.amdhsa_user_sgpr_dispatch_id 0
		.amdhsa_user_sgpr_flat_scratch_init 0
		.amdhsa_user_sgpr_kernarg_preload_length 0
		.amdhsa_user_sgpr_kernarg_preload_offset 0
		.amdhsa_user_sgpr_private_segment_size 0
		.amdhsa_uses_dynamic_stack 0
		.amdhsa_system_sgpr_private_segment_wavefront_offset 0
		.amdhsa_system_sgpr_workgroup_id_x 1
		.amdhsa_system_sgpr_workgroup_id_y 0
		.amdhsa_system_sgpr_workgroup_id_z 0
		.amdhsa_system_sgpr_workgroup_info 0
		.amdhsa_system_vgpr_workitem_id 0
		.amdhsa_next_free_vgpr 1
		.amdhsa_next_free_sgpr 0
		.amdhsa_accum_offset 4
		.amdhsa_reserve_vcc 0
		.amdhsa_reserve_flat_scratch 0
		.amdhsa_float_round_mode_32 0
		.amdhsa_float_round_mode_16_64 0
		.amdhsa_float_denorm_mode_32 3
		.amdhsa_float_denorm_mode_16_64 3
		.amdhsa_dx10_clamp 1
		.amdhsa_ieee_mode 1
		.amdhsa_fp16_overflow 0
		.amdhsa_tg_split 0
		.amdhsa_exception_fp_ieee_invalid_op 0
		.amdhsa_exception_fp_denorm_src 0
		.amdhsa_exception_fp_ieee_div_zero 0
		.amdhsa_exception_fp_ieee_overflow 0
		.amdhsa_exception_fp_ieee_underflow 0
		.amdhsa_exception_fp_ieee_inexact 0
		.amdhsa_exception_int_div_zero 0
	.end_amdhsa_kernel
	.section	.text._ZN7rocprim17ROCPRIM_400000_NS6detail17trampoline_kernelINS0_14default_configENS1_20scan_config_selectorIyEEZZNS1_9scan_implILNS1_25lookback_scan_determinismE0ELb1ELb1ES3_N6thrust23THRUST_200600_302600_NS6detail15normal_iteratorINS9_10device_ptrIyEEEENS9_16discard_iteratorINS9_11use_defaultEEEyNS9_4plusIvEEyEEDaPvRmT3_T4_T5_mT6_P12ihipStream_tbENKUlT_T0_E_clISt17integral_constantIbLb0EESX_EEDaSS_ST_EUlSS_E0_NS1_11comp_targetILNS1_3genE8ELNS1_11target_archE1030ELNS1_3gpuE2ELNS1_3repE0EEENS1_30default_config_static_selectorELNS0_4arch9wavefront6targetE1EEEvT1_,"axG",@progbits,_ZN7rocprim17ROCPRIM_400000_NS6detail17trampoline_kernelINS0_14default_configENS1_20scan_config_selectorIyEEZZNS1_9scan_implILNS1_25lookback_scan_determinismE0ELb1ELb1ES3_N6thrust23THRUST_200600_302600_NS6detail15normal_iteratorINS9_10device_ptrIyEEEENS9_16discard_iteratorINS9_11use_defaultEEEyNS9_4plusIvEEyEEDaPvRmT3_T4_T5_mT6_P12ihipStream_tbENKUlT_T0_E_clISt17integral_constantIbLb0EESX_EEDaSS_ST_EUlSS_E0_NS1_11comp_targetILNS1_3genE8ELNS1_11target_archE1030ELNS1_3gpuE2ELNS1_3repE0EEENS1_30default_config_static_selectorELNS0_4arch9wavefront6targetE1EEEvT1_,comdat
.Lfunc_end5239:
	.size	_ZN7rocprim17ROCPRIM_400000_NS6detail17trampoline_kernelINS0_14default_configENS1_20scan_config_selectorIyEEZZNS1_9scan_implILNS1_25lookback_scan_determinismE0ELb1ELb1ES3_N6thrust23THRUST_200600_302600_NS6detail15normal_iteratorINS9_10device_ptrIyEEEENS9_16discard_iteratorINS9_11use_defaultEEEyNS9_4plusIvEEyEEDaPvRmT3_T4_T5_mT6_P12ihipStream_tbENKUlT_T0_E_clISt17integral_constantIbLb0EESX_EEDaSS_ST_EUlSS_E0_NS1_11comp_targetILNS1_3genE8ELNS1_11target_archE1030ELNS1_3gpuE2ELNS1_3repE0EEENS1_30default_config_static_selectorELNS0_4arch9wavefront6targetE1EEEvT1_, .Lfunc_end5239-_ZN7rocprim17ROCPRIM_400000_NS6detail17trampoline_kernelINS0_14default_configENS1_20scan_config_selectorIyEEZZNS1_9scan_implILNS1_25lookback_scan_determinismE0ELb1ELb1ES3_N6thrust23THRUST_200600_302600_NS6detail15normal_iteratorINS9_10device_ptrIyEEEENS9_16discard_iteratorINS9_11use_defaultEEEyNS9_4plusIvEEyEEDaPvRmT3_T4_T5_mT6_P12ihipStream_tbENKUlT_T0_E_clISt17integral_constantIbLb0EESX_EEDaSS_ST_EUlSS_E0_NS1_11comp_targetILNS1_3genE8ELNS1_11target_archE1030ELNS1_3gpuE2ELNS1_3repE0EEENS1_30default_config_static_selectorELNS0_4arch9wavefront6targetE1EEEvT1_
                                        ; -- End function
	.section	.AMDGPU.csdata,"",@progbits
; Kernel info:
; codeLenInByte = 0
; NumSgprs: 4
; NumVgprs: 0
; NumAgprs: 0
; TotalNumVgprs: 0
; ScratchSize: 0
; MemoryBound: 0
; FloatMode: 240
; IeeeMode: 1
; LDSByteSize: 0 bytes/workgroup (compile time only)
; SGPRBlocks: 0
; VGPRBlocks: 0
; NumSGPRsForWavesPerEU: 4
; NumVGPRsForWavesPerEU: 1
; AccumOffset: 4
; Occupancy: 8
; WaveLimiterHint : 0
; COMPUTE_PGM_RSRC2:SCRATCH_EN: 0
; COMPUTE_PGM_RSRC2:USER_SGPR: 6
; COMPUTE_PGM_RSRC2:TRAP_HANDLER: 0
; COMPUTE_PGM_RSRC2:TGID_X_EN: 1
; COMPUTE_PGM_RSRC2:TGID_Y_EN: 0
; COMPUTE_PGM_RSRC2:TGID_Z_EN: 0
; COMPUTE_PGM_RSRC2:TIDIG_COMP_CNT: 0
; COMPUTE_PGM_RSRC3_GFX90A:ACCUM_OFFSET: 0
; COMPUTE_PGM_RSRC3_GFX90A:TG_SPLIT: 0
	.section	.text._ZN7rocprim17ROCPRIM_400000_NS6detail17trampoline_kernelINS0_14default_configENS1_20scan_config_selectorIyEEZZNS1_9scan_implILNS1_25lookback_scan_determinismE0ELb1ELb1ES3_N6thrust23THRUST_200600_302600_NS6detail15normal_iteratorINS9_10device_ptrIyEEEENS9_16discard_iteratorINS9_11use_defaultEEEyNS9_4plusIvEEyEEDaPvRmT3_T4_T5_mT6_P12ihipStream_tbENKUlT_T0_E_clISt17integral_constantIbLb1EESX_EEDaSS_ST_EUlSS_E_NS1_11comp_targetILNS1_3genE0ELNS1_11target_archE4294967295ELNS1_3gpuE0ELNS1_3repE0EEENS1_30default_config_static_selectorELNS0_4arch9wavefront6targetE1EEEvT1_,"axG",@progbits,_ZN7rocprim17ROCPRIM_400000_NS6detail17trampoline_kernelINS0_14default_configENS1_20scan_config_selectorIyEEZZNS1_9scan_implILNS1_25lookback_scan_determinismE0ELb1ELb1ES3_N6thrust23THRUST_200600_302600_NS6detail15normal_iteratorINS9_10device_ptrIyEEEENS9_16discard_iteratorINS9_11use_defaultEEEyNS9_4plusIvEEyEEDaPvRmT3_T4_T5_mT6_P12ihipStream_tbENKUlT_T0_E_clISt17integral_constantIbLb1EESX_EEDaSS_ST_EUlSS_E_NS1_11comp_targetILNS1_3genE0ELNS1_11target_archE4294967295ELNS1_3gpuE0ELNS1_3repE0EEENS1_30default_config_static_selectorELNS0_4arch9wavefront6targetE1EEEvT1_,comdat
	.protected	_ZN7rocprim17ROCPRIM_400000_NS6detail17trampoline_kernelINS0_14default_configENS1_20scan_config_selectorIyEEZZNS1_9scan_implILNS1_25lookback_scan_determinismE0ELb1ELb1ES3_N6thrust23THRUST_200600_302600_NS6detail15normal_iteratorINS9_10device_ptrIyEEEENS9_16discard_iteratorINS9_11use_defaultEEEyNS9_4plusIvEEyEEDaPvRmT3_T4_T5_mT6_P12ihipStream_tbENKUlT_T0_E_clISt17integral_constantIbLb1EESX_EEDaSS_ST_EUlSS_E_NS1_11comp_targetILNS1_3genE0ELNS1_11target_archE4294967295ELNS1_3gpuE0ELNS1_3repE0EEENS1_30default_config_static_selectorELNS0_4arch9wavefront6targetE1EEEvT1_ ; -- Begin function _ZN7rocprim17ROCPRIM_400000_NS6detail17trampoline_kernelINS0_14default_configENS1_20scan_config_selectorIyEEZZNS1_9scan_implILNS1_25lookback_scan_determinismE0ELb1ELb1ES3_N6thrust23THRUST_200600_302600_NS6detail15normal_iteratorINS9_10device_ptrIyEEEENS9_16discard_iteratorINS9_11use_defaultEEEyNS9_4plusIvEEyEEDaPvRmT3_T4_T5_mT6_P12ihipStream_tbENKUlT_T0_E_clISt17integral_constantIbLb1EESX_EEDaSS_ST_EUlSS_E_NS1_11comp_targetILNS1_3genE0ELNS1_11target_archE4294967295ELNS1_3gpuE0ELNS1_3repE0EEENS1_30default_config_static_selectorELNS0_4arch9wavefront6targetE1EEEvT1_
	.globl	_ZN7rocprim17ROCPRIM_400000_NS6detail17trampoline_kernelINS0_14default_configENS1_20scan_config_selectorIyEEZZNS1_9scan_implILNS1_25lookback_scan_determinismE0ELb1ELb1ES3_N6thrust23THRUST_200600_302600_NS6detail15normal_iteratorINS9_10device_ptrIyEEEENS9_16discard_iteratorINS9_11use_defaultEEEyNS9_4plusIvEEyEEDaPvRmT3_T4_T5_mT6_P12ihipStream_tbENKUlT_T0_E_clISt17integral_constantIbLb1EESX_EEDaSS_ST_EUlSS_E_NS1_11comp_targetILNS1_3genE0ELNS1_11target_archE4294967295ELNS1_3gpuE0ELNS1_3repE0EEENS1_30default_config_static_selectorELNS0_4arch9wavefront6targetE1EEEvT1_
	.p2align	8
	.type	_ZN7rocprim17ROCPRIM_400000_NS6detail17trampoline_kernelINS0_14default_configENS1_20scan_config_selectorIyEEZZNS1_9scan_implILNS1_25lookback_scan_determinismE0ELb1ELb1ES3_N6thrust23THRUST_200600_302600_NS6detail15normal_iteratorINS9_10device_ptrIyEEEENS9_16discard_iteratorINS9_11use_defaultEEEyNS9_4plusIvEEyEEDaPvRmT3_T4_T5_mT6_P12ihipStream_tbENKUlT_T0_E_clISt17integral_constantIbLb1EESX_EEDaSS_ST_EUlSS_E_NS1_11comp_targetILNS1_3genE0ELNS1_11target_archE4294967295ELNS1_3gpuE0ELNS1_3repE0EEENS1_30default_config_static_selectorELNS0_4arch9wavefront6targetE1EEEvT1_,@function
_ZN7rocprim17ROCPRIM_400000_NS6detail17trampoline_kernelINS0_14default_configENS1_20scan_config_selectorIyEEZZNS1_9scan_implILNS1_25lookback_scan_determinismE0ELb1ELb1ES3_N6thrust23THRUST_200600_302600_NS6detail15normal_iteratorINS9_10device_ptrIyEEEENS9_16discard_iteratorINS9_11use_defaultEEEyNS9_4plusIvEEyEEDaPvRmT3_T4_T5_mT6_P12ihipStream_tbENKUlT_T0_E_clISt17integral_constantIbLb1EESX_EEDaSS_ST_EUlSS_E_NS1_11comp_targetILNS1_3genE0ELNS1_11target_archE4294967295ELNS1_3gpuE0ELNS1_3repE0EEENS1_30default_config_static_selectorELNS0_4arch9wavefront6targetE1EEEvT1_: ; @_ZN7rocprim17ROCPRIM_400000_NS6detail17trampoline_kernelINS0_14default_configENS1_20scan_config_selectorIyEEZZNS1_9scan_implILNS1_25lookback_scan_determinismE0ELb1ELb1ES3_N6thrust23THRUST_200600_302600_NS6detail15normal_iteratorINS9_10device_ptrIyEEEENS9_16discard_iteratorINS9_11use_defaultEEEyNS9_4plusIvEEyEEDaPvRmT3_T4_T5_mT6_P12ihipStream_tbENKUlT_T0_E_clISt17integral_constantIbLb1EESX_EEDaSS_ST_EUlSS_E_NS1_11comp_targetILNS1_3genE0ELNS1_11target_archE4294967295ELNS1_3gpuE0ELNS1_3repE0EEENS1_30default_config_static_selectorELNS0_4arch9wavefront6targetE1EEEvT1_
; %bb.0:
	.section	.rodata,"a",@progbits
	.p2align	6, 0x0
	.amdhsa_kernel _ZN7rocprim17ROCPRIM_400000_NS6detail17trampoline_kernelINS0_14default_configENS1_20scan_config_selectorIyEEZZNS1_9scan_implILNS1_25lookback_scan_determinismE0ELb1ELb1ES3_N6thrust23THRUST_200600_302600_NS6detail15normal_iteratorINS9_10device_ptrIyEEEENS9_16discard_iteratorINS9_11use_defaultEEEyNS9_4plusIvEEyEEDaPvRmT3_T4_T5_mT6_P12ihipStream_tbENKUlT_T0_E_clISt17integral_constantIbLb1EESX_EEDaSS_ST_EUlSS_E_NS1_11comp_targetILNS1_3genE0ELNS1_11target_archE4294967295ELNS1_3gpuE0ELNS1_3repE0EEENS1_30default_config_static_selectorELNS0_4arch9wavefront6targetE1EEEvT1_
		.amdhsa_group_segment_fixed_size 0
		.amdhsa_private_segment_fixed_size 0
		.amdhsa_kernarg_size 112
		.amdhsa_user_sgpr_count 6
		.amdhsa_user_sgpr_private_segment_buffer 1
		.amdhsa_user_sgpr_dispatch_ptr 0
		.amdhsa_user_sgpr_queue_ptr 0
		.amdhsa_user_sgpr_kernarg_segment_ptr 1
		.amdhsa_user_sgpr_dispatch_id 0
		.amdhsa_user_sgpr_flat_scratch_init 0
		.amdhsa_user_sgpr_kernarg_preload_length 0
		.amdhsa_user_sgpr_kernarg_preload_offset 0
		.amdhsa_user_sgpr_private_segment_size 0
		.amdhsa_uses_dynamic_stack 0
		.amdhsa_system_sgpr_private_segment_wavefront_offset 0
		.amdhsa_system_sgpr_workgroup_id_x 1
		.amdhsa_system_sgpr_workgroup_id_y 0
		.amdhsa_system_sgpr_workgroup_id_z 0
		.amdhsa_system_sgpr_workgroup_info 0
		.amdhsa_system_vgpr_workitem_id 0
		.amdhsa_next_free_vgpr 1
		.amdhsa_next_free_sgpr 0
		.amdhsa_accum_offset 4
		.amdhsa_reserve_vcc 0
		.amdhsa_reserve_flat_scratch 0
		.amdhsa_float_round_mode_32 0
		.amdhsa_float_round_mode_16_64 0
		.amdhsa_float_denorm_mode_32 3
		.amdhsa_float_denorm_mode_16_64 3
		.amdhsa_dx10_clamp 1
		.amdhsa_ieee_mode 1
		.amdhsa_fp16_overflow 0
		.amdhsa_tg_split 0
		.amdhsa_exception_fp_ieee_invalid_op 0
		.amdhsa_exception_fp_denorm_src 0
		.amdhsa_exception_fp_ieee_div_zero 0
		.amdhsa_exception_fp_ieee_overflow 0
		.amdhsa_exception_fp_ieee_underflow 0
		.amdhsa_exception_fp_ieee_inexact 0
		.amdhsa_exception_int_div_zero 0
	.end_amdhsa_kernel
	.section	.text._ZN7rocprim17ROCPRIM_400000_NS6detail17trampoline_kernelINS0_14default_configENS1_20scan_config_selectorIyEEZZNS1_9scan_implILNS1_25lookback_scan_determinismE0ELb1ELb1ES3_N6thrust23THRUST_200600_302600_NS6detail15normal_iteratorINS9_10device_ptrIyEEEENS9_16discard_iteratorINS9_11use_defaultEEEyNS9_4plusIvEEyEEDaPvRmT3_T4_T5_mT6_P12ihipStream_tbENKUlT_T0_E_clISt17integral_constantIbLb1EESX_EEDaSS_ST_EUlSS_E_NS1_11comp_targetILNS1_3genE0ELNS1_11target_archE4294967295ELNS1_3gpuE0ELNS1_3repE0EEENS1_30default_config_static_selectorELNS0_4arch9wavefront6targetE1EEEvT1_,"axG",@progbits,_ZN7rocprim17ROCPRIM_400000_NS6detail17trampoline_kernelINS0_14default_configENS1_20scan_config_selectorIyEEZZNS1_9scan_implILNS1_25lookback_scan_determinismE0ELb1ELb1ES3_N6thrust23THRUST_200600_302600_NS6detail15normal_iteratorINS9_10device_ptrIyEEEENS9_16discard_iteratorINS9_11use_defaultEEEyNS9_4plusIvEEyEEDaPvRmT3_T4_T5_mT6_P12ihipStream_tbENKUlT_T0_E_clISt17integral_constantIbLb1EESX_EEDaSS_ST_EUlSS_E_NS1_11comp_targetILNS1_3genE0ELNS1_11target_archE4294967295ELNS1_3gpuE0ELNS1_3repE0EEENS1_30default_config_static_selectorELNS0_4arch9wavefront6targetE1EEEvT1_,comdat
.Lfunc_end5240:
	.size	_ZN7rocprim17ROCPRIM_400000_NS6detail17trampoline_kernelINS0_14default_configENS1_20scan_config_selectorIyEEZZNS1_9scan_implILNS1_25lookback_scan_determinismE0ELb1ELb1ES3_N6thrust23THRUST_200600_302600_NS6detail15normal_iteratorINS9_10device_ptrIyEEEENS9_16discard_iteratorINS9_11use_defaultEEEyNS9_4plusIvEEyEEDaPvRmT3_T4_T5_mT6_P12ihipStream_tbENKUlT_T0_E_clISt17integral_constantIbLb1EESX_EEDaSS_ST_EUlSS_E_NS1_11comp_targetILNS1_3genE0ELNS1_11target_archE4294967295ELNS1_3gpuE0ELNS1_3repE0EEENS1_30default_config_static_selectorELNS0_4arch9wavefront6targetE1EEEvT1_, .Lfunc_end5240-_ZN7rocprim17ROCPRIM_400000_NS6detail17trampoline_kernelINS0_14default_configENS1_20scan_config_selectorIyEEZZNS1_9scan_implILNS1_25lookback_scan_determinismE0ELb1ELb1ES3_N6thrust23THRUST_200600_302600_NS6detail15normal_iteratorINS9_10device_ptrIyEEEENS9_16discard_iteratorINS9_11use_defaultEEEyNS9_4plusIvEEyEEDaPvRmT3_T4_T5_mT6_P12ihipStream_tbENKUlT_T0_E_clISt17integral_constantIbLb1EESX_EEDaSS_ST_EUlSS_E_NS1_11comp_targetILNS1_3genE0ELNS1_11target_archE4294967295ELNS1_3gpuE0ELNS1_3repE0EEENS1_30default_config_static_selectorELNS0_4arch9wavefront6targetE1EEEvT1_
                                        ; -- End function
	.section	.AMDGPU.csdata,"",@progbits
; Kernel info:
; codeLenInByte = 0
; NumSgprs: 4
; NumVgprs: 0
; NumAgprs: 0
; TotalNumVgprs: 0
; ScratchSize: 0
; MemoryBound: 0
; FloatMode: 240
; IeeeMode: 1
; LDSByteSize: 0 bytes/workgroup (compile time only)
; SGPRBlocks: 0
; VGPRBlocks: 0
; NumSGPRsForWavesPerEU: 4
; NumVGPRsForWavesPerEU: 1
; AccumOffset: 4
; Occupancy: 8
; WaveLimiterHint : 0
; COMPUTE_PGM_RSRC2:SCRATCH_EN: 0
; COMPUTE_PGM_RSRC2:USER_SGPR: 6
; COMPUTE_PGM_RSRC2:TRAP_HANDLER: 0
; COMPUTE_PGM_RSRC2:TGID_X_EN: 1
; COMPUTE_PGM_RSRC2:TGID_Y_EN: 0
; COMPUTE_PGM_RSRC2:TGID_Z_EN: 0
; COMPUTE_PGM_RSRC2:TIDIG_COMP_CNT: 0
; COMPUTE_PGM_RSRC3_GFX90A:ACCUM_OFFSET: 0
; COMPUTE_PGM_RSRC3_GFX90A:TG_SPLIT: 0
	.section	.text._ZN7rocprim17ROCPRIM_400000_NS6detail17trampoline_kernelINS0_14default_configENS1_20scan_config_selectorIyEEZZNS1_9scan_implILNS1_25lookback_scan_determinismE0ELb1ELb1ES3_N6thrust23THRUST_200600_302600_NS6detail15normal_iteratorINS9_10device_ptrIyEEEENS9_16discard_iteratorINS9_11use_defaultEEEyNS9_4plusIvEEyEEDaPvRmT3_T4_T5_mT6_P12ihipStream_tbENKUlT_T0_E_clISt17integral_constantIbLb1EESX_EEDaSS_ST_EUlSS_E_NS1_11comp_targetILNS1_3genE5ELNS1_11target_archE942ELNS1_3gpuE9ELNS1_3repE0EEENS1_30default_config_static_selectorELNS0_4arch9wavefront6targetE1EEEvT1_,"axG",@progbits,_ZN7rocprim17ROCPRIM_400000_NS6detail17trampoline_kernelINS0_14default_configENS1_20scan_config_selectorIyEEZZNS1_9scan_implILNS1_25lookback_scan_determinismE0ELb1ELb1ES3_N6thrust23THRUST_200600_302600_NS6detail15normal_iteratorINS9_10device_ptrIyEEEENS9_16discard_iteratorINS9_11use_defaultEEEyNS9_4plusIvEEyEEDaPvRmT3_T4_T5_mT6_P12ihipStream_tbENKUlT_T0_E_clISt17integral_constantIbLb1EESX_EEDaSS_ST_EUlSS_E_NS1_11comp_targetILNS1_3genE5ELNS1_11target_archE942ELNS1_3gpuE9ELNS1_3repE0EEENS1_30default_config_static_selectorELNS0_4arch9wavefront6targetE1EEEvT1_,comdat
	.protected	_ZN7rocprim17ROCPRIM_400000_NS6detail17trampoline_kernelINS0_14default_configENS1_20scan_config_selectorIyEEZZNS1_9scan_implILNS1_25lookback_scan_determinismE0ELb1ELb1ES3_N6thrust23THRUST_200600_302600_NS6detail15normal_iteratorINS9_10device_ptrIyEEEENS9_16discard_iteratorINS9_11use_defaultEEEyNS9_4plusIvEEyEEDaPvRmT3_T4_T5_mT6_P12ihipStream_tbENKUlT_T0_E_clISt17integral_constantIbLb1EESX_EEDaSS_ST_EUlSS_E_NS1_11comp_targetILNS1_3genE5ELNS1_11target_archE942ELNS1_3gpuE9ELNS1_3repE0EEENS1_30default_config_static_selectorELNS0_4arch9wavefront6targetE1EEEvT1_ ; -- Begin function _ZN7rocprim17ROCPRIM_400000_NS6detail17trampoline_kernelINS0_14default_configENS1_20scan_config_selectorIyEEZZNS1_9scan_implILNS1_25lookback_scan_determinismE0ELb1ELb1ES3_N6thrust23THRUST_200600_302600_NS6detail15normal_iteratorINS9_10device_ptrIyEEEENS9_16discard_iteratorINS9_11use_defaultEEEyNS9_4plusIvEEyEEDaPvRmT3_T4_T5_mT6_P12ihipStream_tbENKUlT_T0_E_clISt17integral_constantIbLb1EESX_EEDaSS_ST_EUlSS_E_NS1_11comp_targetILNS1_3genE5ELNS1_11target_archE942ELNS1_3gpuE9ELNS1_3repE0EEENS1_30default_config_static_selectorELNS0_4arch9wavefront6targetE1EEEvT1_
	.globl	_ZN7rocprim17ROCPRIM_400000_NS6detail17trampoline_kernelINS0_14default_configENS1_20scan_config_selectorIyEEZZNS1_9scan_implILNS1_25lookback_scan_determinismE0ELb1ELb1ES3_N6thrust23THRUST_200600_302600_NS6detail15normal_iteratorINS9_10device_ptrIyEEEENS9_16discard_iteratorINS9_11use_defaultEEEyNS9_4plusIvEEyEEDaPvRmT3_T4_T5_mT6_P12ihipStream_tbENKUlT_T0_E_clISt17integral_constantIbLb1EESX_EEDaSS_ST_EUlSS_E_NS1_11comp_targetILNS1_3genE5ELNS1_11target_archE942ELNS1_3gpuE9ELNS1_3repE0EEENS1_30default_config_static_selectorELNS0_4arch9wavefront6targetE1EEEvT1_
	.p2align	8
	.type	_ZN7rocprim17ROCPRIM_400000_NS6detail17trampoline_kernelINS0_14default_configENS1_20scan_config_selectorIyEEZZNS1_9scan_implILNS1_25lookback_scan_determinismE0ELb1ELb1ES3_N6thrust23THRUST_200600_302600_NS6detail15normal_iteratorINS9_10device_ptrIyEEEENS9_16discard_iteratorINS9_11use_defaultEEEyNS9_4plusIvEEyEEDaPvRmT3_T4_T5_mT6_P12ihipStream_tbENKUlT_T0_E_clISt17integral_constantIbLb1EESX_EEDaSS_ST_EUlSS_E_NS1_11comp_targetILNS1_3genE5ELNS1_11target_archE942ELNS1_3gpuE9ELNS1_3repE0EEENS1_30default_config_static_selectorELNS0_4arch9wavefront6targetE1EEEvT1_,@function
_ZN7rocprim17ROCPRIM_400000_NS6detail17trampoline_kernelINS0_14default_configENS1_20scan_config_selectorIyEEZZNS1_9scan_implILNS1_25lookback_scan_determinismE0ELb1ELb1ES3_N6thrust23THRUST_200600_302600_NS6detail15normal_iteratorINS9_10device_ptrIyEEEENS9_16discard_iteratorINS9_11use_defaultEEEyNS9_4plusIvEEyEEDaPvRmT3_T4_T5_mT6_P12ihipStream_tbENKUlT_T0_E_clISt17integral_constantIbLb1EESX_EEDaSS_ST_EUlSS_E_NS1_11comp_targetILNS1_3genE5ELNS1_11target_archE942ELNS1_3gpuE9ELNS1_3repE0EEENS1_30default_config_static_selectorELNS0_4arch9wavefront6targetE1EEEvT1_: ; @_ZN7rocprim17ROCPRIM_400000_NS6detail17trampoline_kernelINS0_14default_configENS1_20scan_config_selectorIyEEZZNS1_9scan_implILNS1_25lookback_scan_determinismE0ELb1ELb1ES3_N6thrust23THRUST_200600_302600_NS6detail15normal_iteratorINS9_10device_ptrIyEEEENS9_16discard_iteratorINS9_11use_defaultEEEyNS9_4plusIvEEyEEDaPvRmT3_T4_T5_mT6_P12ihipStream_tbENKUlT_T0_E_clISt17integral_constantIbLb1EESX_EEDaSS_ST_EUlSS_E_NS1_11comp_targetILNS1_3genE5ELNS1_11target_archE942ELNS1_3gpuE9ELNS1_3repE0EEENS1_30default_config_static_selectorELNS0_4arch9wavefront6targetE1EEEvT1_
; %bb.0:
	.section	.rodata,"a",@progbits
	.p2align	6, 0x0
	.amdhsa_kernel _ZN7rocprim17ROCPRIM_400000_NS6detail17trampoline_kernelINS0_14default_configENS1_20scan_config_selectorIyEEZZNS1_9scan_implILNS1_25lookback_scan_determinismE0ELb1ELb1ES3_N6thrust23THRUST_200600_302600_NS6detail15normal_iteratorINS9_10device_ptrIyEEEENS9_16discard_iteratorINS9_11use_defaultEEEyNS9_4plusIvEEyEEDaPvRmT3_T4_T5_mT6_P12ihipStream_tbENKUlT_T0_E_clISt17integral_constantIbLb1EESX_EEDaSS_ST_EUlSS_E_NS1_11comp_targetILNS1_3genE5ELNS1_11target_archE942ELNS1_3gpuE9ELNS1_3repE0EEENS1_30default_config_static_selectorELNS0_4arch9wavefront6targetE1EEEvT1_
		.amdhsa_group_segment_fixed_size 0
		.amdhsa_private_segment_fixed_size 0
		.amdhsa_kernarg_size 112
		.amdhsa_user_sgpr_count 6
		.amdhsa_user_sgpr_private_segment_buffer 1
		.amdhsa_user_sgpr_dispatch_ptr 0
		.amdhsa_user_sgpr_queue_ptr 0
		.amdhsa_user_sgpr_kernarg_segment_ptr 1
		.amdhsa_user_sgpr_dispatch_id 0
		.amdhsa_user_sgpr_flat_scratch_init 0
		.amdhsa_user_sgpr_kernarg_preload_length 0
		.amdhsa_user_sgpr_kernarg_preload_offset 0
		.amdhsa_user_sgpr_private_segment_size 0
		.amdhsa_uses_dynamic_stack 0
		.amdhsa_system_sgpr_private_segment_wavefront_offset 0
		.amdhsa_system_sgpr_workgroup_id_x 1
		.amdhsa_system_sgpr_workgroup_id_y 0
		.amdhsa_system_sgpr_workgroup_id_z 0
		.amdhsa_system_sgpr_workgroup_info 0
		.amdhsa_system_vgpr_workitem_id 0
		.amdhsa_next_free_vgpr 1
		.amdhsa_next_free_sgpr 0
		.amdhsa_accum_offset 4
		.amdhsa_reserve_vcc 0
		.amdhsa_reserve_flat_scratch 0
		.amdhsa_float_round_mode_32 0
		.amdhsa_float_round_mode_16_64 0
		.amdhsa_float_denorm_mode_32 3
		.amdhsa_float_denorm_mode_16_64 3
		.amdhsa_dx10_clamp 1
		.amdhsa_ieee_mode 1
		.amdhsa_fp16_overflow 0
		.amdhsa_tg_split 0
		.amdhsa_exception_fp_ieee_invalid_op 0
		.amdhsa_exception_fp_denorm_src 0
		.amdhsa_exception_fp_ieee_div_zero 0
		.amdhsa_exception_fp_ieee_overflow 0
		.amdhsa_exception_fp_ieee_underflow 0
		.amdhsa_exception_fp_ieee_inexact 0
		.amdhsa_exception_int_div_zero 0
	.end_amdhsa_kernel
	.section	.text._ZN7rocprim17ROCPRIM_400000_NS6detail17trampoline_kernelINS0_14default_configENS1_20scan_config_selectorIyEEZZNS1_9scan_implILNS1_25lookback_scan_determinismE0ELb1ELb1ES3_N6thrust23THRUST_200600_302600_NS6detail15normal_iteratorINS9_10device_ptrIyEEEENS9_16discard_iteratorINS9_11use_defaultEEEyNS9_4plusIvEEyEEDaPvRmT3_T4_T5_mT6_P12ihipStream_tbENKUlT_T0_E_clISt17integral_constantIbLb1EESX_EEDaSS_ST_EUlSS_E_NS1_11comp_targetILNS1_3genE5ELNS1_11target_archE942ELNS1_3gpuE9ELNS1_3repE0EEENS1_30default_config_static_selectorELNS0_4arch9wavefront6targetE1EEEvT1_,"axG",@progbits,_ZN7rocprim17ROCPRIM_400000_NS6detail17trampoline_kernelINS0_14default_configENS1_20scan_config_selectorIyEEZZNS1_9scan_implILNS1_25lookback_scan_determinismE0ELb1ELb1ES3_N6thrust23THRUST_200600_302600_NS6detail15normal_iteratorINS9_10device_ptrIyEEEENS9_16discard_iteratorINS9_11use_defaultEEEyNS9_4plusIvEEyEEDaPvRmT3_T4_T5_mT6_P12ihipStream_tbENKUlT_T0_E_clISt17integral_constantIbLb1EESX_EEDaSS_ST_EUlSS_E_NS1_11comp_targetILNS1_3genE5ELNS1_11target_archE942ELNS1_3gpuE9ELNS1_3repE0EEENS1_30default_config_static_selectorELNS0_4arch9wavefront6targetE1EEEvT1_,comdat
.Lfunc_end5241:
	.size	_ZN7rocprim17ROCPRIM_400000_NS6detail17trampoline_kernelINS0_14default_configENS1_20scan_config_selectorIyEEZZNS1_9scan_implILNS1_25lookback_scan_determinismE0ELb1ELb1ES3_N6thrust23THRUST_200600_302600_NS6detail15normal_iteratorINS9_10device_ptrIyEEEENS9_16discard_iteratorINS9_11use_defaultEEEyNS9_4plusIvEEyEEDaPvRmT3_T4_T5_mT6_P12ihipStream_tbENKUlT_T0_E_clISt17integral_constantIbLb1EESX_EEDaSS_ST_EUlSS_E_NS1_11comp_targetILNS1_3genE5ELNS1_11target_archE942ELNS1_3gpuE9ELNS1_3repE0EEENS1_30default_config_static_selectorELNS0_4arch9wavefront6targetE1EEEvT1_, .Lfunc_end5241-_ZN7rocprim17ROCPRIM_400000_NS6detail17trampoline_kernelINS0_14default_configENS1_20scan_config_selectorIyEEZZNS1_9scan_implILNS1_25lookback_scan_determinismE0ELb1ELb1ES3_N6thrust23THRUST_200600_302600_NS6detail15normal_iteratorINS9_10device_ptrIyEEEENS9_16discard_iteratorINS9_11use_defaultEEEyNS9_4plusIvEEyEEDaPvRmT3_T4_T5_mT6_P12ihipStream_tbENKUlT_T0_E_clISt17integral_constantIbLb1EESX_EEDaSS_ST_EUlSS_E_NS1_11comp_targetILNS1_3genE5ELNS1_11target_archE942ELNS1_3gpuE9ELNS1_3repE0EEENS1_30default_config_static_selectorELNS0_4arch9wavefront6targetE1EEEvT1_
                                        ; -- End function
	.section	.AMDGPU.csdata,"",@progbits
; Kernel info:
; codeLenInByte = 0
; NumSgprs: 4
; NumVgprs: 0
; NumAgprs: 0
; TotalNumVgprs: 0
; ScratchSize: 0
; MemoryBound: 0
; FloatMode: 240
; IeeeMode: 1
; LDSByteSize: 0 bytes/workgroup (compile time only)
; SGPRBlocks: 0
; VGPRBlocks: 0
; NumSGPRsForWavesPerEU: 4
; NumVGPRsForWavesPerEU: 1
; AccumOffset: 4
; Occupancy: 8
; WaveLimiterHint : 0
; COMPUTE_PGM_RSRC2:SCRATCH_EN: 0
; COMPUTE_PGM_RSRC2:USER_SGPR: 6
; COMPUTE_PGM_RSRC2:TRAP_HANDLER: 0
; COMPUTE_PGM_RSRC2:TGID_X_EN: 1
; COMPUTE_PGM_RSRC2:TGID_Y_EN: 0
; COMPUTE_PGM_RSRC2:TGID_Z_EN: 0
; COMPUTE_PGM_RSRC2:TIDIG_COMP_CNT: 0
; COMPUTE_PGM_RSRC3_GFX90A:ACCUM_OFFSET: 0
; COMPUTE_PGM_RSRC3_GFX90A:TG_SPLIT: 0
	.section	.text._ZN7rocprim17ROCPRIM_400000_NS6detail17trampoline_kernelINS0_14default_configENS1_20scan_config_selectorIyEEZZNS1_9scan_implILNS1_25lookback_scan_determinismE0ELb1ELb1ES3_N6thrust23THRUST_200600_302600_NS6detail15normal_iteratorINS9_10device_ptrIyEEEENS9_16discard_iteratorINS9_11use_defaultEEEyNS9_4plusIvEEyEEDaPvRmT3_T4_T5_mT6_P12ihipStream_tbENKUlT_T0_E_clISt17integral_constantIbLb1EESX_EEDaSS_ST_EUlSS_E_NS1_11comp_targetILNS1_3genE4ELNS1_11target_archE910ELNS1_3gpuE8ELNS1_3repE0EEENS1_30default_config_static_selectorELNS0_4arch9wavefront6targetE1EEEvT1_,"axG",@progbits,_ZN7rocprim17ROCPRIM_400000_NS6detail17trampoline_kernelINS0_14default_configENS1_20scan_config_selectorIyEEZZNS1_9scan_implILNS1_25lookback_scan_determinismE0ELb1ELb1ES3_N6thrust23THRUST_200600_302600_NS6detail15normal_iteratorINS9_10device_ptrIyEEEENS9_16discard_iteratorINS9_11use_defaultEEEyNS9_4plusIvEEyEEDaPvRmT3_T4_T5_mT6_P12ihipStream_tbENKUlT_T0_E_clISt17integral_constantIbLb1EESX_EEDaSS_ST_EUlSS_E_NS1_11comp_targetILNS1_3genE4ELNS1_11target_archE910ELNS1_3gpuE8ELNS1_3repE0EEENS1_30default_config_static_selectorELNS0_4arch9wavefront6targetE1EEEvT1_,comdat
	.protected	_ZN7rocprim17ROCPRIM_400000_NS6detail17trampoline_kernelINS0_14default_configENS1_20scan_config_selectorIyEEZZNS1_9scan_implILNS1_25lookback_scan_determinismE0ELb1ELb1ES3_N6thrust23THRUST_200600_302600_NS6detail15normal_iteratorINS9_10device_ptrIyEEEENS9_16discard_iteratorINS9_11use_defaultEEEyNS9_4plusIvEEyEEDaPvRmT3_T4_T5_mT6_P12ihipStream_tbENKUlT_T0_E_clISt17integral_constantIbLb1EESX_EEDaSS_ST_EUlSS_E_NS1_11comp_targetILNS1_3genE4ELNS1_11target_archE910ELNS1_3gpuE8ELNS1_3repE0EEENS1_30default_config_static_selectorELNS0_4arch9wavefront6targetE1EEEvT1_ ; -- Begin function _ZN7rocprim17ROCPRIM_400000_NS6detail17trampoline_kernelINS0_14default_configENS1_20scan_config_selectorIyEEZZNS1_9scan_implILNS1_25lookback_scan_determinismE0ELb1ELb1ES3_N6thrust23THRUST_200600_302600_NS6detail15normal_iteratorINS9_10device_ptrIyEEEENS9_16discard_iteratorINS9_11use_defaultEEEyNS9_4plusIvEEyEEDaPvRmT3_T4_T5_mT6_P12ihipStream_tbENKUlT_T0_E_clISt17integral_constantIbLb1EESX_EEDaSS_ST_EUlSS_E_NS1_11comp_targetILNS1_3genE4ELNS1_11target_archE910ELNS1_3gpuE8ELNS1_3repE0EEENS1_30default_config_static_selectorELNS0_4arch9wavefront6targetE1EEEvT1_
	.globl	_ZN7rocprim17ROCPRIM_400000_NS6detail17trampoline_kernelINS0_14default_configENS1_20scan_config_selectorIyEEZZNS1_9scan_implILNS1_25lookback_scan_determinismE0ELb1ELb1ES3_N6thrust23THRUST_200600_302600_NS6detail15normal_iteratorINS9_10device_ptrIyEEEENS9_16discard_iteratorINS9_11use_defaultEEEyNS9_4plusIvEEyEEDaPvRmT3_T4_T5_mT6_P12ihipStream_tbENKUlT_T0_E_clISt17integral_constantIbLb1EESX_EEDaSS_ST_EUlSS_E_NS1_11comp_targetILNS1_3genE4ELNS1_11target_archE910ELNS1_3gpuE8ELNS1_3repE0EEENS1_30default_config_static_selectorELNS0_4arch9wavefront6targetE1EEEvT1_
	.p2align	8
	.type	_ZN7rocprim17ROCPRIM_400000_NS6detail17trampoline_kernelINS0_14default_configENS1_20scan_config_selectorIyEEZZNS1_9scan_implILNS1_25lookback_scan_determinismE0ELb1ELb1ES3_N6thrust23THRUST_200600_302600_NS6detail15normal_iteratorINS9_10device_ptrIyEEEENS9_16discard_iteratorINS9_11use_defaultEEEyNS9_4plusIvEEyEEDaPvRmT3_T4_T5_mT6_P12ihipStream_tbENKUlT_T0_E_clISt17integral_constantIbLb1EESX_EEDaSS_ST_EUlSS_E_NS1_11comp_targetILNS1_3genE4ELNS1_11target_archE910ELNS1_3gpuE8ELNS1_3repE0EEENS1_30default_config_static_selectorELNS0_4arch9wavefront6targetE1EEEvT1_,@function
_ZN7rocprim17ROCPRIM_400000_NS6detail17trampoline_kernelINS0_14default_configENS1_20scan_config_selectorIyEEZZNS1_9scan_implILNS1_25lookback_scan_determinismE0ELb1ELb1ES3_N6thrust23THRUST_200600_302600_NS6detail15normal_iteratorINS9_10device_ptrIyEEEENS9_16discard_iteratorINS9_11use_defaultEEEyNS9_4plusIvEEyEEDaPvRmT3_T4_T5_mT6_P12ihipStream_tbENKUlT_T0_E_clISt17integral_constantIbLb1EESX_EEDaSS_ST_EUlSS_E_NS1_11comp_targetILNS1_3genE4ELNS1_11target_archE910ELNS1_3gpuE8ELNS1_3repE0EEENS1_30default_config_static_selectorELNS0_4arch9wavefront6targetE1EEEvT1_: ; @_ZN7rocprim17ROCPRIM_400000_NS6detail17trampoline_kernelINS0_14default_configENS1_20scan_config_selectorIyEEZZNS1_9scan_implILNS1_25lookback_scan_determinismE0ELb1ELb1ES3_N6thrust23THRUST_200600_302600_NS6detail15normal_iteratorINS9_10device_ptrIyEEEENS9_16discard_iteratorINS9_11use_defaultEEEyNS9_4plusIvEEyEEDaPvRmT3_T4_T5_mT6_P12ihipStream_tbENKUlT_T0_E_clISt17integral_constantIbLb1EESX_EEDaSS_ST_EUlSS_E_NS1_11comp_targetILNS1_3genE4ELNS1_11target_archE910ELNS1_3gpuE8ELNS1_3repE0EEENS1_30default_config_static_selectorELNS0_4arch9wavefront6targetE1EEEvT1_
; %bb.0:
	s_load_dwordx2 s[24:25], s[4:5], 0x38
	v_cmp_ne_u32_e64 s[2:3], 0, v0
	v_cmp_eq_u32_e64 s[0:1], 0, v0
	s_and_saveexec_b64 s[6:7], s[0:1]
	s_cbranch_execz .LBB5242_4
; %bb.1:
	s_mov_b64 s[10:11], exec
	v_mbcnt_lo_u32_b32 v1, s10, 0
	v_mbcnt_hi_u32_b32 v1, s11, v1
	v_cmp_eq_u32_e32 vcc, 0, v1
                                        ; implicit-def: $vgpr2
	s_and_saveexec_b64 s[8:9], vcc
	s_cbranch_execz .LBB5242_3
; %bb.2:
	s_load_dwordx2 s[12:13], s[4:5], 0x68
	s_bcnt1_i32_b64 s10, s[10:11]
	v_mov_b32_e32 v2, 0
	v_mov_b32_e32 v3, s10
	s_waitcnt lgkmcnt(0)
	global_atomic_add v2, v2, v3, s[12:13] glc
.LBB5242_3:
	s_or_b64 exec, exec, s[8:9]
	s_waitcnt vmcnt(0)
	v_readfirstlane_b32 s8, v2
	v_add_u32_e32 v1, s8, v1
	v_mov_b32_e32 v2, 0
	ds_write_b32 v2, v1
.LBB5242_4:
	s_or_b64 exec, exec, s[6:7]
	v_mov_b32_e32 v3, 0
	s_load_dwordx4 s[20:23], s[4:5], 0x0
	s_load_dwordx4 s[8:11], s[4:5], 0x20
	s_load_dword s6, s[4:5], 0x40
	s_load_dwordx8 s[12:19], s[4:5], 0x48
	s_waitcnt lgkmcnt(0)
	s_barrier
	ds_read_b32 v1, v3
	s_lshl_b64 s[4:5], s[22:23], 3
	s_add_u32 s28, s20, s4
	s_movk_i32 s4, 0x380
	s_addc_u32 s29, s21, s5
	s_waitcnt lgkmcnt(0)
	v_mul_lo_u32 v2, v1, s4
	s_add_i32 s4, s6, -1
	s_mul_i32 s5, s4, 0x380
	s_sub_u32 s26, s8, s5
	v_readfirstlane_b32 s30, v1
	s_subb_u32 s27, s9, 0
	v_lshlrev_b64 v[2:3], 3, v[2:3]
	s_cmp_lg_u32 s30, s4
	v_mov_b32_e32 v1, s29
	v_add_co_u32_e32 v20, vcc, s28, v2
	s_cselect_b64 s[20:21], -1, 0
	v_addc_co_u32_e32 v21, vcc, v1, v3, vcc
	s_mov_b64 s[4:5], -1
	s_and_b64 vcc, exec, s[20:21]
	v_lshlrev_b32_e32 v1, 3, v0
	s_barrier
	s_cbranch_vccz .LBB5242_6
; %bb.5:
	v_add_co_u32_e32 v2, vcc, v20, v1
	v_addc_co_u32_e32 v3, vcc, 0, v21, vcc
	flat_load_dwordx2 v[4:5], v[2:3]
	flat_load_dwordx2 v[6:7], v[2:3] offset:1024
	flat_load_dwordx2 v[8:9], v[2:3] offset:2048
	;; [unrolled: 1-line block ×3, first 2 shown]
	v_add_co_u32_e32 v2, vcc, 0x1000, v2
	v_addc_co_u32_e32 v3, vcc, 0, v3, vcc
	flat_load_dwordx2 v[12:13], v[2:3]
	flat_load_dwordx2 v[14:15], v[2:3] offset:1024
	flat_load_dwordx2 v[16:17], v[2:3] offset:2048
	s_mov_b64 s[4:5], 0
	s_waitcnt vmcnt(0) lgkmcnt(0)
	ds_write2st64_b64 v1, v[4:5], v[6:7] offset1:2
	ds_write2st64_b64 v1, v[8:9], v[10:11] offset0:4 offset1:6
	ds_write2st64_b64 v1, v[12:13], v[14:15] offset0:8 offset1:10
	ds_write_b64 v1, v[16:17] offset:6144
	s_waitcnt lgkmcnt(0)
	s_barrier
.LBB5242_6:
	s_andn2_b64 vcc, exec, s[4:5]
	s_cbranch_vccnz .LBB5242_22
; %bb.7:
	flat_load_dwordx2 v[2:3], v[20:21]
	v_cmp_gt_u32_e32 vcc, s26, v0
	s_waitcnt vmcnt(0) lgkmcnt(0)
	v_mov_b32_e32 v4, v2
	v_mov_b32_e32 v5, v3
	;; [unrolled: 1-line block ×10, first 2 shown]
	v_pk_mov_b32 v[18:19], v[14:15], v[14:15] op_sel:[0,1]
	v_pk_mov_b32 v[16:17], v[12:13], v[12:13] op_sel:[0,1]
	;; [unrolled: 1-line block ×8, first 2 shown]
	s_and_saveexec_b64 s[4:5], vcc
	s_cbranch_execz .LBB5242_9
; %bb.8:
	v_add_co_u32_e32 v4, vcc, v20, v1
	v_addc_co_u32_e32 v5, vcc, 0, v21, vcc
	flat_load_dwordx2 v[22:23], v[4:5]
	v_mov_b32_e32 v4, v2
	v_mov_b32_e32 v5, v3
	;; [unrolled: 1-line block ×10, first 2 shown]
	v_pk_mov_b32 v[18:19], v[14:15], v[14:15] op_sel:[0,1]
	v_pk_mov_b32 v[16:17], v[12:13], v[12:13] op_sel:[0,1]
	v_pk_mov_b32 v[14:15], v[10:11], v[10:11] op_sel:[0,1]
	v_pk_mov_b32 v[12:13], v[8:9], v[8:9] op_sel:[0,1]
	v_pk_mov_b32 v[10:11], v[6:7], v[6:7] op_sel:[0,1]
	v_pk_mov_b32 v[8:9], v[4:5], v[4:5] op_sel:[0,1]
	v_pk_mov_b32 v[6:7], v[2:3], v[2:3] op_sel:[0,1]
	v_pk_mov_b32 v[4:5], v[0:1], v[0:1] op_sel:[0,1]
	s_waitcnt vmcnt(0) lgkmcnt(0)
	v_pk_mov_b32 v[2:3], v[22:23], v[22:23] op_sel:[0,1]
.LBB5242_9:
	s_or_b64 exec, exec, s[4:5]
	v_or_b32_e32 v4, 0x80, v0
	v_cmp_gt_u32_e32 vcc, s26, v4
	s_and_saveexec_b64 s[4:5], vcc
	s_cbranch_execz .LBB5242_11
; %bb.10:
	v_add_co_u32_e32 v4, vcc, v20, v1
	v_addc_co_u32_e32 v5, vcc, 0, v21, vcc
	flat_load_dwordx2 v[6:7], v[4:5] offset:1024
.LBB5242_11:
	s_or_b64 exec, exec, s[4:5]
	v_or_b32_e32 v4, 0x100, v0
	v_cmp_gt_u32_e32 vcc, s26, v4
	s_and_saveexec_b64 s[4:5], vcc
	s_cbranch_execz .LBB5242_13
; %bb.12:
	v_add_co_u32_e32 v4, vcc, v20, v1
	v_addc_co_u32_e32 v5, vcc, 0, v21, vcc
	flat_load_dwordx2 v[8:9], v[4:5] offset:2048
.LBB5242_13:
	;; [unrolled: 10-line block ×3, first 2 shown]
	s_or_b64 exec, exec, s[4:5]
	v_or_b32_e32 v4, 0x200, v0
	v_cmp_gt_u32_e32 vcc, s26, v4
	s_and_saveexec_b64 s[4:5], vcc
	s_cbranch_execz .LBB5242_17
; %bb.16:
	v_lshlrev_b32_e32 v4, 3, v4
	v_add_co_u32_e32 v4, vcc, v20, v4
	v_addc_co_u32_e32 v5, vcc, 0, v21, vcc
	flat_load_dwordx2 v[12:13], v[4:5]
.LBB5242_17:
	s_or_b64 exec, exec, s[4:5]
	v_or_b32_e32 v4, 0x280, v0
	v_cmp_gt_u32_e32 vcc, s26, v4
	s_and_saveexec_b64 s[4:5], vcc
	s_cbranch_execz .LBB5242_19
; %bb.18:
	v_lshlrev_b32_e32 v4, 3, v4
	v_add_co_u32_e32 v4, vcc, v20, v4
	v_addc_co_u32_e32 v5, vcc, 0, v21, vcc
	flat_load_dwordx2 v[14:15], v[4:5]
.LBB5242_19:
	;; [unrolled: 11-line block ×3, first 2 shown]
	s_or_b64 exec, exec, s[4:5]
	s_waitcnt vmcnt(0) lgkmcnt(0)
	ds_write2st64_b64 v1, v[2:3], v[6:7] offset1:2
	ds_write2st64_b64 v1, v[8:9], v[10:11] offset0:4 offset1:6
	ds_write2st64_b64 v1, v[12:13], v[14:15] offset0:8 offset1:10
	ds_write_b64 v1, v[16:17] offset:6144
	s_waitcnt lgkmcnt(0)
	s_barrier
.LBB5242_22:
	v_mul_u32_u24_e32 v36, 7, v0
	v_lshlrev_b32_e32 v1, 3, v36
	ds_read2_b64 v[10:13], v1 offset1:1
	ds_read2_b64 v[6:9], v1 offset0:2 offset1:3
	ds_read2_b64 v[2:5], v1 offset0:4 offset1:5
	ds_read_b64 v[26:27], v1 offset:48
	s_cmp_lg_u32 s30, 0
	v_lshrrev_b32_e32 v37, 5, v0
	v_cmp_gt_u32_e32 vcc, 64, v0
	s_waitcnt lgkmcnt(0)
	s_barrier
	s_cbranch_scc0 .LBB5242_53
; %bb.23:
	v_add_co_u32_e64 v1, s[4:5], v12, v10
	v_addc_co_u32_e64 v14, s[4:5], v13, v11, s[4:5]
	v_add_co_u32_e64 v1, s[4:5], v1, v6
	v_addc_co_u32_e64 v14, s[4:5], v14, v7, s[4:5]
	v_add_co_u32_e64 v1, s[4:5], v1, v8
	v_addc_co_u32_e64 v14, s[4:5], v14, v9, s[4:5]
	v_add_co_u32_e64 v1, s[4:5], v1, v2
	v_addc_co_u32_e64 v14, s[4:5], v14, v3, s[4:5]
	v_add_co_u32_e64 v1, s[4:5], v1, v4
	v_addc_co_u32_e64 v14, s[4:5], v14, v5, s[4:5]
	v_add_co_u32_e64 v18, s[4:5], v1, v26
	v_addc_co_u32_e64 v19, s[4:5], v14, v27, s[4:5]
	v_add_lshl_u32 v1, v37, v0, 3
	ds_write_b64 v1, v[18:19]
	s_waitcnt lgkmcnt(0)
	s_barrier
	s_and_saveexec_b64 s[8:9], vcc
	s_cbranch_execz .LBB5242_27
; %bb.24:
	v_lshlrev_b32_e32 v1, 1, v0
	v_lshrrev_b32_e32 v14, 4, v0
	v_add_lshl_u32 v20, v14, v1, 3
	ds_read2_b64 v[14:17], v20 offset1:1
	v_mbcnt_lo_u32_b32 v1, -1, 0
	s_waitcnt lgkmcnt(0)
	v_add_co_u32_e64 v21, s[4:5], v16, v14
	v_addc_co_u32_e64 v22, s[4:5], v17, v15, s[4:5]
	s_nop 0
	v_mov_b32_dpp v16, v21 row_shr:1 row_mask:0xf bank_mask:0xf
	v_add_co_u32_e64 v16, s[4:5], v21, v16
	v_addc_co_u32_e64 v24, s[4:5], 0, v22, s[4:5]
	v_mbcnt_hi_u32_b32 v17, -1, v1
	v_mov_b32_dpp v23, v22 row_shr:1 row_mask:0xf bank_mask:0xf
	v_add_co_u32_e64 v25, s[4:5], 0, v16
	v_and_b32_e32 v1, 15, v17
	v_addc_co_u32_e64 v23, s[4:5], v23, v24, s[4:5]
	v_cmp_eq_u32_e64 s[4:5], 0, v1
	v_cndmask_b32_e64 v16, v16, v21, s[4:5]
	v_cndmask_b32_e64 v23, v23, v22, s[4:5]
	v_cndmask_b32_e64 v24, v25, v21, s[4:5]
	v_mov_b32_dpp v25, v16 row_shr:2 row_mask:0xf bank_mask:0xf
	v_mov_b32_dpp v28, v23 row_shr:2 row_mask:0xf bank_mask:0xf
	v_add_co_u32_e64 v25, s[4:5], v25, v24
	v_addc_co_u32_e64 v28, s[4:5], v28, v23, s[4:5]
	v_cmp_lt_u32_e64 s[4:5], 1, v1
	v_cndmask_b32_e64 v16, v16, v25, s[4:5]
	v_cndmask_b32_e64 v23, v23, v28, s[4:5]
	v_cndmask_b32_e64 v24, v24, v25, s[4:5]
	v_mov_b32_dpp v25, v16 row_shr:4 row_mask:0xf bank_mask:0xf
	v_mov_b32_dpp v28, v23 row_shr:4 row_mask:0xf bank_mask:0xf
	v_add_co_u32_e64 v25, s[4:5], v25, v24
	v_addc_co_u32_e64 v28, s[4:5], v28, v23, s[4:5]
	v_cmp_lt_u32_e64 s[4:5], 3, v1
	;; [unrolled: 8-line block ×3, first 2 shown]
	v_cndmask_b32_e64 v29, v16, v25, s[4:5]
	v_cndmask_b32_e64 v1, v23, v28, s[4:5]
	v_cndmask_b32_e64 v16, v24, v25, s[4:5]
	v_mov_b32_dpp v23, v29 row_bcast:15 row_mask:0xf bank_mask:0xf
	v_mov_b32_dpp v24, v1 row_bcast:15 row_mask:0xf bank_mask:0xf
	v_add_co_u32_e64 v23, s[4:5], v23, v16
	v_and_b32_e32 v28, 16, v17
	v_addc_co_u32_e64 v25, s[4:5], v24, v1, s[4:5]
	v_cmp_eq_u32_e64 s[4:5], 0, v28
	v_cndmask_b32_e64 v28, v25, v1, s[4:5]
	v_cndmask_b32_e64 v24, v23, v29, s[4:5]
	v_cmp_ne_u32_e64 s[6:7], 0, v17
	v_mov_b32_dpp v28, v28 row_bcast:31 row_mask:0xf bank_mask:0xf
	v_mov_b32_dpp v24, v24 row_bcast:31 row_mask:0xf bank_mask:0xf
	s_and_saveexec_b64 s[22:23], s[6:7]
; %bb.25:
	v_cndmask_b32_e64 v1, v25, v1, s[4:5]
	v_cndmask_b32_e64 v16, v23, v16, s[4:5]
	v_cmp_lt_u32_e64 s[4:5], 31, v17
	v_cndmask_b32_e64 v21, 0, v24, s[4:5]
	v_cndmask_b32_e64 v22, 0, v28, s[4:5]
	v_add_co_u32_e64 v21, s[4:5], v21, v16
	v_addc_co_u32_e64 v22, s[4:5], v22, v1, s[4:5]
; %bb.26:
	s_or_b64 exec, exec, s[22:23]
	v_add_u32_e32 v1, -1, v17
	v_and_b32_e32 v16, 64, v17
	v_cmp_lt_i32_e64 s[4:5], v1, v16
	v_cndmask_b32_e64 v1, v1, v17, s[4:5]
	v_lshlrev_b32_e32 v1, 2, v1
	ds_bpermute_b32 v16, v1, v21
	ds_bpermute_b32 v1, v1, v22
	; wave barrier
	s_waitcnt lgkmcnt(1)
	v_add_co_u32_e64 v14, s[4:5], v14, v16
	v_addc_co_u32_e64 v15, s[4:5], 0, v15, s[4:5]
	v_add_co_u32_e64 v14, s[4:5], 0, v14
	s_waitcnt lgkmcnt(0)
	v_addc_co_u32_e64 v1, s[4:5], v15, v1, s[4:5]
	v_cndmask_b32_e64 v15, v1, v19, s[0:1]
	v_cndmask_b32_e64 v14, v14, v18, s[0:1]
	ds_write_b64 v20, v[14:15]
	; wave barrier
	ds_read_b64 v[16:17], v20 offset:8
	s_waitcnt lgkmcnt(0)
	v_add_co_u32_e64 v14, s[4:5], v16, v14
	v_addc_co_u32_e64 v15, s[4:5], v17, v15, s[4:5]
	ds_write_b64 v20, v[14:15] offset:8
.LBB5242_27:
	s_or_b64 exec, exec, s[8:9]
	v_pk_mov_b32 v[22:23], 0, 0
	s_waitcnt lgkmcnt(0)
	s_barrier
	s_and_saveexec_b64 s[4:5], s[2:3]
	s_cbranch_execz .LBB5242_29
; %bb.28:
	v_add_u32_e32 v1, -1, v0
	v_lshrrev_b32_e32 v14, 5, v1
	v_add_lshl_u32 v1, v14, v1, 3
	ds_read_b64 v[22:23], v1
.LBB5242_29:
	s_or_b64 exec, exec, s[4:5]
	s_and_saveexec_b64 s[22:23], vcc
	s_cbranch_execz .LBB5242_52
; %bb.30:
	v_mov_b32_e32 v17, 0
	ds_read_b64 v[14:15], v17 offset:1040
	v_mbcnt_lo_u32_b32 v1, -1, 0
	v_mbcnt_hi_u32_b32 v30, -1, v1
	s_mov_b32 s9, 0
	v_cmp_eq_u32_e64 s[4:5], 0, v30
	s_and_saveexec_b64 s[6:7], s[4:5]
	s_cbranch_execz .LBB5242_32
; %bb.31:
	s_add_i32 s8, s30, 64
	s_lshl_b64 s[8:9], s[8:9], 4
	s_add_u32 s8, s24, s8
	s_addc_u32 s9, s25, s9
	v_mov_b32_e32 v16, 1
	v_pk_mov_b32 v[18:19], s[8:9], s[8:9] op_sel:[0,1]
	s_waitcnt lgkmcnt(0)
	;;#ASMSTART
	global_store_dwordx4 v[18:19], v[14:17] off	
s_waitcnt vmcnt(0)
	;;#ASMEND
.LBB5242_32:
	s_or_b64 exec, exec, s[6:7]
	v_xad_u32 v24, v30, -1, s30
	v_add_u32_e32 v16, 64, v24
	v_lshlrev_b64 v[18:19], 4, v[16:17]
	v_mov_b32_e32 v1, s25
	v_add_co_u32_e32 v28, vcc, s24, v18
	v_addc_co_u32_e32 v29, vcc, v1, v19, vcc
	;;#ASMSTART
	global_load_dwordx4 v[18:21], v[28:29] off glc	
s_waitcnt vmcnt(0)
	;;#ASMEND
	v_and_b32_e32 v1, 0xff, v19
	v_and_b32_e32 v16, 0xff00, v19
	v_or3_b32 v1, 0, v1, v16
	v_or3_b32 v16, v18, 0, 0
	v_and_b32_e32 v18, 0xff000000, v19
	v_and_b32_e32 v19, 0xff0000, v19
	v_or3_b32 v19, v1, v19, v18
	v_or3_b32 v18, v16, 0, 0
	v_cmp_eq_u16_sdwa s[8:9], v20, v17 src0_sel:BYTE_0 src1_sel:DWORD
	s_and_saveexec_b64 s[6:7], s[8:9]
	s_cbranch_execz .LBB5242_38
; %bb.33:
	s_mov_b32 s31, 1
	s_mov_b64 s[8:9], 0
	v_mov_b32_e32 v1, 0
.LBB5242_34:                            ; =>This Loop Header: Depth=1
                                        ;     Child Loop BB5242_35 Depth 2
	s_max_u32 s33, s31, 1
.LBB5242_35:                            ;   Parent Loop BB5242_34 Depth=1
                                        ; =>  This Inner Loop Header: Depth=2
	s_add_i32 s33, s33, -1
	s_cmp_eq_u32 s33, 0
	s_sleep 1
	s_cbranch_scc0 .LBB5242_35
; %bb.36:                               ;   in Loop: Header=BB5242_34 Depth=1
	s_cmp_lt_u32 s31, 32
	s_cselect_b64 s[34:35], -1, 0
	s_cmp_lg_u64 s[34:35], 0
	s_addc_u32 s31, s31, 0
	;;#ASMSTART
	global_load_dwordx4 v[18:21], v[28:29] off glc	
s_waitcnt vmcnt(0)
	;;#ASMEND
	v_cmp_ne_u16_sdwa s[34:35], v20, v1 src0_sel:BYTE_0 src1_sel:DWORD
	s_or_b64 s[8:9], s[34:35], s[8:9]
	s_andn2_b64 exec, exec, s[8:9]
	s_cbranch_execnz .LBB5242_34
; %bb.37:
	s_or_b64 exec, exec, s[8:9]
.LBB5242_38:
	s_or_b64 exec, exec, s[6:7]
	v_and_b32_e32 v32, 63, v30
	v_cmp_ne_u32_e32 vcc, 63, v32
	v_addc_co_u32_e32 v28, vcc, 0, v30, vcc
	v_lshlrev_b32_e32 v33, 2, v28
	ds_bpermute_b32 v28, v33, v18
	v_mov_b32_e32 v1, 2
	v_cmp_eq_u16_sdwa s[6:7], v20, v1 src0_sel:BYTE_0 src1_sel:DWORD
	v_lshlrev_b64 v[16:17], v30, -1
	ds_bpermute_b32 v29, v33, v19
	v_and_b32_e32 v21, s7, v17
	v_or_b32_e32 v21, 0x80000000, v21
	s_waitcnt lgkmcnt(1)
	v_add_co_u32_e32 v28, vcc, v18, v28
	v_and_b32_e32 v25, s6, v16
	v_ffbl_b32_e32 v21, v21
	v_addc_co_u32_e32 v31, vcc, 0, v19, vcc
	v_add_u32_e32 v21, 32, v21
	v_ffbl_b32_e32 v25, v25
	v_add_co_u32_e32 v35, vcc, 0, v28
	v_cmp_gt_u32_e64 s[6:7], 62, v32
	v_min_u32_e32 v21, v25, v21
	s_waitcnt lgkmcnt(0)
	v_addc_co_u32_e32 v29, vcc, v29, v31, vcc
	v_cndmask_b32_e64 v31, 0, 1, s[6:7]
	v_cmp_lt_u32_e32 vcc, v32, v21
	v_lshlrev_b32_e32 v31, 1, v31
	v_cndmask_b32_e32 v28, v18, v28, vcc
	v_add_lshl_u32 v34, v31, v30, 2
	v_cndmask_b32_e32 v29, v19, v29, vcc
	ds_bpermute_b32 v31, v34, v28
	ds_bpermute_b32 v38, v34, v29
	v_cndmask_b32_e32 v39, v18, v35, vcc
	v_add_u32_e32 v35, 2, v32
	v_cmp_gt_u32_e64 s[8:9], 60, v32
	s_waitcnt lgkmcnt(1)
	v_add_co_u32_e64 v31, s[6:7], v31, v39
	s_waitcnt lgkmcnt(0)
	v_addc_co_u32_e64 v38, s[6:7], v38, v29, s[6:7]
	v_cmp_gt_u32_e64 s[6:7], v35, v21
	v_cndmask_b32_e64 v29, v38, v29, s[6:7]
	v_cndmask_b32_e64 v38, 0, 1, s[8:9]
	v_lshlrev_b32_e32 v38, 2, v38
	v_cndmask_b32_e64 v28, v31, v28, s[6:7]
	v_add_lshl_u32 v38, v38, v30, 2
	ds_bpermute_b32 v40, v38, v28
	ds_bpermute_b32 v41, v38, v29
	v_cndmask_b32_e64 v31, v31, v39, s[6:7]
	v_add_u32_e32 v39, 4, v32
	v_cmp_gt_u32_e64 s[8:9], 56, v32
	s_waitcnt lgkmcnt(1)
	v_add_co_u32_e64 v42, s[6:7], v40, v31
	s_waitcnt lgkmcnt(0)
	v_addc_co_u32_e64 v40, s[6:7], v41, v29, s[6:7]
	v_cmp_gt_u32_e64 s[6:7], v39, v21
	v_cndmask_b32_e64 v29, v40, v29, s[6:7]
	v_cndmask_b32_e64 v40, 0, 1, s[8:9]
	v_lshlrev_b32_e32 v40, 3, v40
	v_cndmask_b32_e64 v28, v42, v28, s[6:7]
	v_add_lshl_u32 v40, v40, v30, 2
	ds_bpermute_b32 v43, v40, v28
	v_cndmask_b32_e64 v31, v42, v31, s[6:7]
	ds_bpermute_b32 v42, v40, v29
	v_add_u32_e32 v41, 8, v32
	v_cmp_gt_u32_e64 s[8:9], 48, v32
	s_waitcnt lgkmcnt(1)
	v_add_co_u32_e64 v43, s[6:7], v43, v31
	s_waitcnt lgkmcnt(0)
	v_addc_co_u32_e64 v42, s[6:7], v42, v29, s[6:7]
	v_cmp_gt_u32_e64 s[6:7], v41, v21
	v_cndmask_b32_e64 v29, v42, v29, s[6:7]
	v_cndmask_b32_e64 v42, 0, 1, s[8:9]
	v_lshlrev_b32_e32 v42, 4, v42
	v_cndmask_b32_e64 v28, v43, v28, s[6:7]
	v_add_lshl_u32 v42, v42, v30, 2
	ds_bpermute_b32 v44, v42, v28
	ds_bpermute_b32 v45, v42, v29
	v_cndmask_b32_e64 v31, v43, v31, s[6:7]
	v_cmp_gt_u32_e64 s[8:9], 32, v32
	v_add_u32_e32 v43, 16, v32
	s_waitcnt lgkmcnt(1)
	v_add_co_u32_e64 v46, s[6:7], v44, v31
	s_waitcnt lgkmcnt(0)
	v_addc_co_u32_e64 v45, s[6:7], v45, v29, s[6:7]
	v_cndmask_b32_e64 v44, 0, 1, s[8:9]
	v_cmp_gt_u32_e64 s[6:7], v43, v21
	v_lshlrev_b32_e32 v44, 5, v44
	v_cndmask_b32_e64 v28, v46, v28, s[6:7]
	v_add_lshl_u32 v44, v44, v30, 2
	v_cndmask_b32_e64 v29, v45, v29, s[6:7]
	ds_bpermute_b32 v28, v44, v28
	ds_bpermute_b32 v30, v44, v29
	v_add_u32_e32 v45, 32, v32
	v_cndmask_b32_e64 v31, v46, v31, s[6:7]
	v_cmp_le_u32_e64 s[6:7], v45, v21
	s_waitcnt lgkmcnt(1)
	v_cndmask_b32_e64 v28, 0, v28, s[6:7]
	s_waitcnt lgkmcnt(0)
	v_cndmask_b32_e64 v21, 0, v30, s[6:7]
	v_add_co_u32_e64 v28, s[6:7], v28, v31
	v_addc_co_u32_e64 v21, s[6:7], v21, v29, s[6:7]
	v_mov_b32_e32 v25, 0
	v_cndmask_b32_e32 v19, v19, v21, vcc
	v_cndmask_b32_e32 v18, v18, v28, vcc
	s_branch .LBB5242_40
.LBB5242_39:                            ;   in Loop: Header=BB5242_40 Depth=1
	s_or_b64 exec, exec, s[6:7]
	v_cmp_eq_u16_sdwa s[6:7], v20, v1 src0_sel:BYTE_0 src1_sel:DWORD
	v_and_b32_e32 v21, s7, v17
	v_or_b32_e32 v21, 0x80000000, v21
	ds_bpermute_b32 v31, v33, v18
	v_and_b32_e32 v30, s6, v16
	v_ffbl_b32_e32 v21, v21
	v_add_u32_e32 v21, 32, v21
	v_ffbl_b32_e32 v30, v30
	v_min_u32_e32 v21, v30, v21
	ds_bpermute_b32 v30, v33, v19
	s_waitcnt lgkmcnt(1)
	v_add_co_u32_e32 v31, vcc, v18, v31
	v_addc_co_u32_e32 v46, vcc, 0, v19, vcc
	v_add_co_u32_e32 v47, vcc, 0, v31
	s_waitcnt lgkmcnt(0)
	v_addc_co_u32_e32 v30, vcc, v30, v46, vcc
	v_cmp_lt_u32_e32 vcc, v32, v21
	v_cndmask_b32_e32 v31, v18, v31, vcc
	ds_bpermute_b32 v46, v34, v31
	v_cndmask_b32_e32 v30, v19, v30, vcc
	ds_bpermute_b32 v48, v34, v30
	v_cndmask_b32_e32 v47, v18, v47, vcc
	v_subrev_u32_e32 v24, 64, v24
	s_waitcnt lgkmcnt(1)
	v_add_co_u32_e64 v46, s[6:7], v46, v47
	s_waitcnt lgkmcnt(0)
	v_addc_co_u32_e64 v48, s[6:7], v48, v30, s[6:7]
	v_cmp_gt_u32_e64 s[6:7], v35, v21
	v_cndmask_b32_e64 v31, v46, v31, s[6:7]
	ds_bpermute_b32 v49, v38, v31
	v_cndmask_b32_e64 v30, v48, v30, s[6:7]
	ds_bpermute_b32 v48, v38, v30
	v_cndmask_b32_e64 v46, v46, v47, s[6:7]
	s_waitcnt lgkmcnt(1)
	v_add_co_u32_e64 v47, s[6:7], v49, v46
	s_waitcnt lgkmcnt(0)
	v_addc_co_u32_e64 v48, s[6:7], v48, v30, s[6:7]
	v_cmp_gt_u32_e64 s[6:7], v39, v21
	v_cndmask_b32_e64 v31, v47, v31, s[6:7]
	ds_bpermute_b32 v49, v40, v31
	v_cndmask_b32_e64 v30, v48, v30, s[6:7]
	ds_bpermute_b32 v48, v40, v30
	v_cndmask_b32_e64 v46, v47, v46, s[6:7]
	;; [unrolled: 10-line block ×3, first 2 shown]
	s_waitcnt lgkmcnt(1)
	v_add_co_u32_e64 v47, s[6:7], v49, v46
	s_waitcnt lgkmcnt(0)
	v_addc_co_u32_e64 v48, s[6:7], v48, v30, s[6:7]
	v_cmp_gt_u32_e64 s[6:7], v43, v21
	v_cndmask_b32_e64 v31, v47, v31, s[6:7]
	v_cndmask_b32_e64 v30, v48, v30, s[6:7]
	ds_bpermute_b32 v31, v44, v31
	ds_bpermute_b32 v48, v44, v30
	v_cndmask_b32_e64 v46, v47, v46, s[6:7]
	v_cmp_le_u32_e64 s[6:7], v45, v21
	s_waitcnt lgkmcnt(1)
	v_cndmask_b32_e64 v31, 0, v31, s[6:7]
	s_waitcnt lgkmcnt(0)
	v_cndmask_b32_e64 v21, 0, v48, s[6:7]
	v_add_co_u32_e64 v31, s[6:7], v31, v46
	v_addc_co_u32_e64 v21, s[6:7], v21, v30, s[6:7]
	v_cndmask_b32_e32 v18, v18, v31, vcc
	v_cndmask_b32_e32 v19, v19, v21, vcc
	v_add_co_u32_e32 v18, vcc, v18, v28
	v_addc_co_u32_e32 v19, vcc, v19, v29, vcc
.LBB5242_40:                            ; =>This Loop Header: Depth=1
                                        ;     Child Loop BB5242_43 Depth 2
                                        ;       Child Loop BB5242_44 Depth 3
	v_cmp_ne_u16_sdwa s[6:7], v20, v1 src0_sel:BYTE_0 src1_sel:DWORD
	v_cndmask_b32_e64 v20, 0, 1, s[6:7]
	;;#ASMSTART
	;;#ASMEND
	v_cmp_ne_u32_e32 vcc, 0, v20
	s_cmp_lg_u64 vcc, exec
	v_pk_mov_b32 v[28:29], v[18:19], v[18:19] op_sel:[0,1]
	s_cbranch_scc1 .LBB5242_47
; %bb.41:                               ;   in Loop: Header=BB5242_40 Depth=1
	v_lshlrev_b64 v[18:19], 4, v[24:25]
	v_mov_b32_e32 v20, s25
	v_add_co_u32_e32 v30, vcc, s24, v18
	v_addc_co_u32_e32 v31, vcc, v20, v19, vcc
	;;#ASMSTART
	global_load_dwordx4 v[18:21], v[30:31] off glc	
s_waitcnt vmcnt(0)
	;;#ASMEND
	v_and_b32_e32 v21, 0xff, v19
	v_and_b32_e32 v46, 0xff00, v19
	v_or3_b32 v21, 0, v21, v46
	v_or3_b32 v18, v18, 0, 0
	v_and_b32_e32 v46, 0xff000000, v19
	v_and_b32_e32 v19, 0xff0000, v19
	v_or3_b32 v19, v21, v19, v46
	v_or3_b32 v18, v18, 0, 0
	v_cmp_eq_u16_sdwa s[8:9], v20, v25 src0_sel:BYTE_0 src1_sel:DWORD
	s_and_saveexec_b64 s[6:7], s[8:9]
	s_cbranch_execz .LBB5242_39
; %bb.42:                               ;   in Loop: Header=BB5242_40 Depth=1
	s_mov_b32 s31, 1
	s_mov_b64 s[8:9], 0
.LBB5242_43:                            ;   Parent Loop BB5242_40 Depth=1
                                        ; =>  This Loop Header: Depth=2
                                        ;       Child Loop BB5242_44 Depth 3
	s_max_u32 s33, s31, 1
.LBB5242_44:                            ;   Parent Loop BB5242_40 Depth=1
                                        ;     Parent Loop BB5242_43 Depth=2
                                        ; =>    This Inner Loop Header: Depth=3
	s_add_i32 s33, s33, -1
	s_cmp_eq_u32 s33, 0
	s_sleep 1
	s_cbranch_scc0 .LBB5242_44
; %bb.45:                               ;   in Loop: Header=BB5242_43 Depth=2
	s_cmp_lt_u32 s31, 32
	s_cselect_b64 s[34:35], -1, 0
	s_cmp_lg_u64 s[34:35], 0
	s_addc_u32 s31, s31, 0
	;;#ASMSTART
	global_load_dwordx4 v[18:21], v[30:31] off glc	
s_waitcnt vmcnt(0)
	;;#ASMEND
	v_cmp_ne_u16_sdwa s[34:35], v20, v25 src0_sel:BYTE_0 src1_sel:DWORD
	s_or_b64 s[8:9], s[34:35], s[8:9]
	s_andn2_b64 exec, exec, s[8:9]
	s_cbranch_execnz .LBB5242_43
; %bb.46:                               ;   in Loop: Header=BB5242_40 Depth=1
	s_or_b64 exec, exec, s[8:9]
	s_branch .LBB5242_39
.LBB5242_47:                            ;   in Loop: Header=BB5242_40 Depth=1
                                        ; implicit-def: $vgpr18_vgpr19
                                        ; implicit-def: $vgpr20
	s_cbranch_execz .LBB5242_40
; %bb.48:
	s_and_saveexec_b64 s[6:7], s[4:5]
	s_cbranch_execz .LBB5242_50
; %bb.49:
	s_add_i32 s4, s30, 64
	s_mov_b32 s5, 0
	s_lshl_b64 s[4:5], s[4:5], 4
	s_add_u32 s4, s24, s4
	v_add_co_u32_e32 v14, vcc, v28, v14
	s_addc_u32 s5, s25, s5
	v_addc_co_u32_e32 v15, vcc, v29, v15, vcc
	v_mov_b32_e32 v16, 2
	v_mov_b32_e32 v17, 0
	v_pk_mov_b32 v[18:19], s[4:5], s[4:5] op_sel:[0,1]
	;;#ASMSTART
	global_store_dwordx4 v[18:19], v[14:17] off	
s_waitcnt vmcnt(0)
	;;#ASMEND
.LBB5242_50:
	s_or_b64 exec, exec, s[6:7]
	s_and_b64 exec, exec, s[0:1]
	s_cbranch_execz .LBB5242_52
; %bb.51:
	v_mov_b32_e32 v1, 0
	ds_write_b64 v1, v[28:29]
.LBB5242_52:
	s_or_b64 exec, exec, s[22:23]
	v_mov_b32_e32 v1, 0
	s_waitcnt lgkmcnt(0)
	s_barrier
	ds_read_b64 v[14:15], v1
	s_waitcnt lgkmcnt(0)
	v_add_co_u32_e32 v14, vcc, v14, v22
	v_addc_co_u32_e32 v15, vcc, v15, v23, vcc
	v_add_co_u32_e32 v28, vcc, v14, v10
	v_addc_co_u32_e32 v29, vcc, v15, v11, vcc
	;; [unrolled: 2-line block ×7, first 2 shown]
	s_branch .LBB5242_65
.LBB5242_53:
                                        ; implicit-def: $vgpr34_vgpr35
                                        ; implicit-def: $vgpr32_vgpr33
                                        ; implicit-def: $vgpr30_vgpr31
                                        ; implicit-def: $vgpr28_vgpr29
                                        ; implicit-def: $vgpr22_vgpr23_vgpr24_vgpr25
                                        ; implicit-def: $vgpr18_vgpr19_vgpr20_vgpr21
                                        ; implicit-def: $vgpr14_vgpr15_vgpr16_vgpr17
	s_cbranch_execz .LBB5242_65
; %bb.54:
	s_cmp_eq_u64 s[16:17], 0
	v_pk_mov_b32 v[20:21], s[10:11], s[10:11] op_sel:[0,1]
	s_cbranch_scc1 .LBB5242_56
; %bb.55:
	v_mov_b32_e32 v1, 0
	v_mov_b32_e32 v15, s29
	v_add_co_u32_e64 v14, vcc, -8, s28
	v_addc_co_u32_e32 v15, vcc, -1, v15, vcc
	global_load_dwordx2 v[16:17], v1, s[12:13]
	flat_load_dwordx2 v[18:19], v[14:15]
	s_waitcnt vmcnt(0) lgkmcnt(0)
	v_add_co_u32_e32 v20, vcc, v16, v18
	v_addc_co_u32_e32 v21, vcc, v17, v19, vcc
.LBB5242_56:
	v_add_co_u32_e32 v1, vcc, v12, v10
	v_addc_co_u32_e32 v14, vcc, v13, v11, vcc
	v_add_co_u32_e32 v1, vcc, v1, v6
	v_addc_co_u32_e32 v14, vcc, v14, v7, vcc
	;; [unrolled: 2-line block ×6, first 2 shown]
	v_add_lshl_u32 v1, v37, v0, 3
	v_cmp_gt_u32_e32 vcc, 64, v0
	ds_write_b64 v1, v[18:19]
	s_waitcnt lgkmcnt(0)
	s_barrier
	s_and_saveexec_b64 s[6:7], vcc
	s_cbranch_execz .LBB5242_60
; %bb.57:
	v_lshlrev_b32_e32 v1, 1, v0
	v_lshrrev_b32_e32 v14, 4, v0
	v_add_lshl_u32 v22, v14, v1, 3
	ds_read2_b64 v[14:17], v22 offset1:1
	v_mbcnt_lo_u32_b32 v1, -1, 0
	s_waitcnt lgkmcnt(0)
	v_add_co_u32_e32 v23, vcc, v16, v14
	v_addc_co_u32_e32 v24, vcc, v17, v15, vcc
	s_nop 0
	v_mov_b32_dpp v16, v23 row_shr:1 row_mask:0xf bank_mask:0xf
	v_add_co_u32_e32 v16, vcc, v23, v16
	v_addc_co_u32_e32 v26, vcc, 0, v24, vcc
	v_mbcnt_hi_u32_b32 v17, -1, v1
	v_mov_b32_dpp v25, v24 row_shr:1 row_mask:0xf bank_mask:0xf
	v_add_co_u32_e32 v27, vcc, 0, v16
	v_and_b32_e32 v1, 15, v17
	v_addc_co_u32_e32 v25, vcc, v25, v26, vcc
	v_cmp_eq_u32_e32 vcc, 0, v1
	v_cndmask_b32_e32 v16, v16, v23, vcc
	v_cndmask_b32_e32 v25, v25, v24, vcc
	v_cndmask_b32_e32 v26, v27, v23, vcc
	v_mov_b32_dpp v27, v16 row_shr:2 row_mask:0xf bank_mask:0xf
	v_mov_b32_dpp v28, v25 row_shr:2 row_mask:0xf bank_mask:0xf
	v_add_co_u32_e32 v27, vcc, v27, v26
	v_addc_co_u32_e32 v28, vcc, v28, v25, vcc
	v_cmp_lt_u32_e32 vcc, 1, v1
	v_cndmask_b32_e32 v16, v16, v27, vcc
	v_cndmask_b32_e32 v25, v25, v28, vcc
	v_cndmask_b32_e32 v26, v26, v27, vcc
	v_mov_b32_dpp v27, v16 row_shr:4 row_mask:0xf bank_mask:0xf
	v_mov_b32_dpp v28, v25 row_shr:4 row_mask:0xf bank_mask:0xf
	v_add_co_u32_e32 v27, vcc, v27, v26
	v_addc_co_u32_e32 v28, vcc, v28, v25, vcc
	v_cmp_lt_u32_e32 vcc, 3, v1
	v_cndmask_b32_e32 v16, v16, v27, vcc
	v_cndmask_b32_e32 v25, v25, v28, vcc
	v_cndmask_b32_e32 v26, v26, v27, vcc
	v_mov_b32_dpp v27, v16 row_shr:8 row_mask:0xf bank_mask:0xf
	v_mov_b32_dpp v28, v25 row_shr:8 row_mask:0xf bank_mask:0xf
	v_add_co_u32_e32 v27, vcc, v27, v26
	v_addc_co_u32_e32 v28, vcc, v28, v25, vcc
	v_cmp_lt_u32_e32 vcc, 7, v1
	v_cndmask_b32_e32 v29, v16, v27, vcc
	v_cndmask_b32_e32 v1, v25, v28, vcc
	;; [unrolled: 1-line block ×3, first 2 shown]
	v_mov_b32_dpp v25, v29 row_bcast:15 row_mask:0xf bank_mask:0xf
	v_mov_b32_dpp v26, v1 row_bcast:15 row_mask:0xf bank_mask:0xf
	v_add_co_u32_e32 v25, vcc, v25, v16
	v_and_b32_e32 v28, 16, v17
	v_addc_co_u32_e32 v27, vcc, v26, v1, vcc
	v_cmp_eq_u32_e32 vcc, 0, v28
	v_cndmask_b32_e32 v28, v27, v1, vcc
	v_cndmask_b32_e32 v26, v25, v29, vcc
	v_cmp_ne_u32_e64 s[4:5], 0, v17
	v_mov_b32_dpp v28, v28 row_bcast:31 row_mask:0xf bank_mask:0xf
	v_mov_b32_dpp v26, v26 row_bcast:31 row_mask:0xf bank_mask:0xf
	s_and_saveexec_b64 s[8:9], s[4:5]
; %bb.58:
	v_cndmask_b32_e32 v1, v27, v1, vcc
	v_cndmask_b32_e32 v16, v25, v16, vcc
	v_cmp_lt_u32_e32 vcc, 31, v17
	v_cndmask_b32_e32 v23, 0, v26, vcc
	v_cndmask_b32_e32 v24, 0, v28, vcc
	v_add_co_u32_e32 v23, vcc, v23, v16
	v_addc_co_u32_e32 v24, vcc, v24, v1, vcc
; %bb.59:
	s_or_b64 exec, exec, s[8:9]
	v_add_u32_e32 v1, -1, v17
	v_and_b32_e32 v16, 64, v17
	v_cmp_lt_i32_e32 vcc, v1, v16
	v_cndmask_b32_e32 v1, v1, v17, vcc
	v_lshlrev_b32_e32 v1, 2, v1
	ds_bpermute_b32 v16, v1, v23
	ds_bpermute_b32 v1, v1, v24
	; wave barrier
	s_waitcnt lgkmcnt(1)
	v_add_co_u32_e32 v14, vcc, v14, v16
	v_addc_co_u32_e32 v15, vcc, 0, v15, vcc
	v_add_co_u32_e32 v14, vcc, 0, v14
	s_waitcnt lgkmcnt(0)
	v_addc_co_u32_e32 v1, vcc, v15, v1, vcc
	v_cndmask_b32_e64 v15, v1, v19, s[0:1]
	v_cndmask_b32_e64 v14, v14, v18, s[0:1]
	ds_write_b64 v22, v[14:15]
	; wave barrier
	ds_read_b64 v[16:17], v22 offset:8
	s_waitcnt lgkmcnt(0)
	v_add_co_u32_e32 v14, vcc, v16, v14
	v_addc_co_u32_e32 v15, vcc, v17, v15, vcc
	ds_write_b64 v22, v[14:15] offset:8
.LBB5242_60:
	s_or_b64 exec, exec, s[6:7]
	v_pk_mov_b32 v[14:15], v[20:21], v[20:21] op_sel:[0,1]
	s_waitcnt lgkmcnt(0)
	s_barrier
	s_and_saveexec_b64 s[4:5], s[2:3]
	s_cbranch_execz .LBB5242_62
; %bb.61:
	v_add_u32_e32 v1, -1, v0
	v_lshrrev_b32_e32 v14, 5, v1
	v_add_lshl_u32 v1, v14, v1, 3
	ds_read_b64 v[14:15], v1
	s_waitcnt lgkmcnt(0)
	v_add_co_u32_e32 v14, vcc, v14, v20
	v_addc_co_u32_e32 v15, vcc, v15, v21, vcc
.LBB5242_62:
	s_or_b64 exec, exec, s[4:5]
	v_add_co_u32_e32 v28, vcc, v14, v10
	v_addc_co_u32_e32 v29, vcc, v15, v11, vcc
	v_add_co_u32_e32 v18, vcc, v28, v12
	v_addc_co_u32_e32 v19, vcc, v29, v13, vcc
	v_add_co_u32_e32 v30, vcc, v18, v6
	v_addc_co_u32_e32 v31, vcc, v19, v7, vcc
	v_add_co_u32_e32 v22, vcc, v30, v8
	v_addc_co_u32_e32 v23, vcc, v31, v9, vcc
	v_add_co_u32_e32 v32, vcc, v22, v2
	v_addc_co_u32_e32 v33, vcc, v23, v3, vcc
	v_add_co_u32_e32 v34, vcc, v32, v4
	v_addc_co_u32_e32 v35, vcc, v33, v5, vcc
	s_and_saveexec_b64 s[2:3], s[0:1]
	s_cbranch_execz .LBB5242_64
; %bb.63:
	v_mov_b32_e32 v5, 0
	ds_read_b64 v[2:3], v5 offset:1040
	s_add_u32 s0, s24, 0x400
	s_addc_u32 s1, s25, 0
	v_mov_b32_e32 v4, 2
	v_pk_mov_b32 v[6:7], s[0:1], s[0:1] op_sel:[0,1]
	s_waitcnt lgkmcnt(0)
	v_add_co_u32_e32 v2, vcc, v2, v20
	v_addc_co_u32_e32 v3, vcc, v3, v21, vcc
	;;#ASMSTART
	global_store_dwordx4 v[6:7], v[2:5] off	
s_waitcnt vmcnt(0)
	;;#ASMEND
.LBB5242_64:
	s_or_b64 exec, exec, s[2:3]
.LBB5242_65:
	v_mul_u32_u24_e32 v2, 56, v0
	s_mov_b64 s[0:1], -1
	s_and_b64 vcc, exec, s[20:21]
	s_barrier
	ds_write2_b64 v2, v[14:15], v[28:29] offset1:1
	ds_write2_b64 v2, v[18:19], v[30:31] offset0:2 offset1:3
	ds_write2_b64 v2, v[22:23], v[32:33] offset0:4 offset1:5
	ds_write_b64 v2, v[34:35] offset:48
	s_waitcnt lgkmcnt(0)
	s_cbranch_vccz .LBB5242_67
; %bb.66:
	s_barrier
	s_mov_b64 s[0:1], 0
.LBB5242_67:
	s_andn2_b64 vcc, exec, s[0:1]
	s_cbranch_vccnz .LBB5242_92
; %bb.68:
	v_cmp_lt_u64_e64 s[0:1], s[18:19], 2
	s_and_b64 vcc, exec, s[0:1]
	s_barrier
	s_cbranch_vccnz .LBB5242_92
; %bb.69:
	s_add_u32 s0, s26, -1
	s_addc_u32 s1, s27, -1
	s_add_u32 s2, 0, 0x92481000
	s_addc_u32 s3, 0, 0x64
	s_add_i32 s3, s3, 0x249248c0
	s_mul_hi_u32 s7, s2, -7
	s_sub_i32 s7, s7, s2
	s_mul_i32 s8, s3, -7
	s_mul_i32 s4, s2, -7
	s_add_i32 s7, s7, s8
	s_mul_hi_u32 s5, s3, s4
	s_mul_i32 s6, s3, s4
	s_mul_i32 s9, s2, s7
	s_mul_hi_u32 s4, s2, s4
	s_mul_hi_u32 s8, s2, s7
	s_add_u32 s4, s4, s9
	s_addc_u32 s8, 0, s8
	s_add_u32 s4, s4, s6
	s_mul_hi_u32 s9, s3, s7
	s_addc_u32 s4, s8, s5
	s_addc_u32 s5, s9, 0
	s_mul_i32 s6, s3, s7
	s_add_u32 s4, s4, s6
	v_mov_b32_e32 v3, s4
	s_addc_u32 s5, 0, s5
	v_add_co_u32_e32 v3, vcc, s2, v3
	s_cmp_lg_u64 vcc, 0
	s_addc_u32 s2, s3, s5
	v_readfirstlane_b32 s5, v3
	s_mul_i32 s4, s0, s2
	s_mul_hi_u32 s6, s0, s5
	s_mul_hi_u32 s3, s0, s2
	s_add_u32 s4, s6, s4
	s_addc_u32 s3, 0, s3
	s_mul_hi_u32 s7, s1, s5
	s_mul_i32 s5, s1, s5
	s_add_u32 s4, s4, s5
	s_mul_hi_u32 s6, s1, s2
	s_addc_u32 s3, s3, s7
	s_addc_u32 s4, s6, 0
	s_mul_i32 s2, s1, s2
	s_add_u32 s2, s3, s2
	s_addc_u32 s3, 0, s4
	s_add_u32 s4, s2, 1
	s_addc_u32 s5, s3, 0
	s_add_u32 s6, s2, 2
	s_mul_i32 s8, s3, 7
	s_mul_hi_u32 s9, s2, 7
	s_addc_u32 s7, s3, 0
	s_add_i32 s9, s9, s8
	s_mul_i32 s8, s2, 7
	v_mov_b32_e32 v3, s8
	v_sub_co_u32_e32 v3, vcc, s0, v3
	s_cmp_lg_u64 vcc, 0
	s_subb_u32 s8, s1, s9
	v_subrev_co_u32_e32 v4, vcc, 7, v3
	s_cmp_lg_u64 vcc, 0
	s_subb_u32 s9, s8, 0
	v_readfirstlane_b32 s10, v4
	s_cmp_gt_u32 s10, 6
	s_cselect_b32 s10, -1, 0
	s_cmp_eq_u32 s9, 0
	s_cselect_b32 s9, s10, -1
	s_cmp_lg_u32 s9, 0
	s_cselect_b32 s4, s6, s4
	v_readfirstlane_b32 s6, v3
	s_cselect_b32 s5, s7, s5
	s_cmp_gt_u32 s6, 6
	s_cselect_b32 s6, -1, 0
	s_cmp_eq_u32 s8, 0
	s_cselect_b32 s6, s6, -1
	s_cmp_lg_u32 s6, 0
	v_mov_b32_e32 v1, 0
	s_cselect_b32 s3, s5, s3
	s_cselect_b32 s2, s4, s2
	v_cmp_eq_u64_e32 vcc, s[2:3], v[0:1]
	s_and_saveexec_b64 s[2:3], vcc
	s_cbranch_execz .LBB5242_92
; %bb.70:
	s_movk_i32 s2, 0xffd0
	v_mad_i32_i24 v2, v0, s2, v2
	v_mul_hi_u32_u24_e32 v1, 7, v0
	v_mov_b32_e32 v3, s1
	v_sub_co_u32_e32 v0, vcc, s0, v36
	v_subb_co_u32_e32 v1, vcc, v3, v1, vcc
	v_cmp_lt_i64_e32 vcc, 3, v[0:1]
	s_and_saveexec_b64 s[0:1], vcc
	s_xor_b64 s[0:1], exec, s[0:1]
	s_cbranch_execz .LBB5242_80
; %bb.71:
	v_cmp_lt_i64_e32 vcc, 4, v[0:1]
	s_and_saveexec_b64 s[2:3], vcc
	s_xor_b64 s[2:3], exec, s[2:3]
	s_cbranch_execz .LBB5242_77
; %bb.72:
	;; [unrolled: 5-line block ×3, first 2 shown]
	ds_read_b64 v[0:1], v2 offset:6144
	v_mov_b32_e32 v2, 0
	s_waitcnt lgkmcnt(0)
	global_store_dwordx2 v2, v[0:1], s[14:15]
                                        ; implicit-def: $vgpr2
.LBB5242_74:
	s_andn2_saveexec_b64 s[4:5], s[4:5]
	s_cbranch_execz .LBB5242_76
; %bb.75:
	ds_read_b64 v[0:1], v2 offset:5120
	v_mov_b32_e32 v2, 0
	s_waitcnt lgkmcnt(0)
	global_store_dwordx2 v2, v[0:1], s[14:15]
.LBB5242_76:
	s_or_b64 exec, exec, s[4:5]
                                        ; implicit-def: $vgpr2
.LBB5242_77:
	s_andn2_saveexec_b64 s[2:3], s[2:3]
	s_cbranch_execz .LBB5242_79
; %bb.78:
	ds_read_b64 v[0:1], v2 offset:4096
	v_mov_b32_e32 v2, 0
	s_waitcnt lgkmcnt(0)
	global_store_dwordx2 v2, v[0:1], s[14:15]
.LBB5242_79:
	s_or_b64 exec, exec, s[2:3]
                                        ; implicit-def: $vgpr0_vgpr1
                                        ; implicit-def: $vgpr2
.LBB5242_80:
	s_andn2_saveexec_b64 s[0:1], s[0:1]
	s_cbranch_execz .LBB5242_92
; %bb.81:
	v_cmp_lt_i64_e32 vcc, 1, v[0:1]
	s_and_saveexec_b64 s[0:1], vcc
	s_xor_b64 s[0:1], exec, s[0:1]
	s_cbranch_execz .LBB5242_87
; %bb.82:
	v_cmp_lt_i64_e32 vcc, 2, v[0:1]
	s_and_saveexec_b64 s[2:3], vcc
	s_xor_b64 s[2:3], exec, s[2:3]
	s_cbranch_execz .LBB5242_84
; %bb.83:
	ds_read_b64 v[0:1], v2 offset:3072
	v_mov_b32_e32 v2, 0
	s_waitcnt lgkmcnt(0)
	global_store_dwordx2 v2, v[0:1], s[14:15]
                                        ; implicit-def: $vgpr2
.LBB5242_84:
	s_andn2_saveexec_b64 s[2:3], s[2:3]
	s_cbranch_execz .LBB5242_86
; %bb.85:
	ds_read_b64 v[0:1], v2 offset:2048
	v_mov_b32_e32 v2, 0
	s_waitcnt lgkmcnt(0)
	global_store_dwordx2 v2, v[0:1], s[14:15]
.LBB5242_86:
	s_or_b64 exec, exec, s[2:3]
                                        ; implicit-def: $vgpr2
                                        ; implicit-def: $vgpr0_vgpr1
.LBB5242_87:
	s_andn2_saveexec_b64 s[0:1], s[0:1]
	s_cbranch_execz .LBB5242_92
; %bb.88:
	v_cmp_ne_u64_e32 vcc, 1, v[0:1]
	s_and_saveexec_b64 s[0:1], vcc
	s_xor_b64 s[0:1], exec, s[0:1]
	s_cbranch_execz .LBB5242_90
; %bb.89:
	ds_read_b64 v[0:1], v2
	v_mov_b32_e32 v2, 0
	s_waitcnt lgkmcnt(0)
	global_store_dwordx2 v2, v[0:1], s[14:15]
                                        ; implicit-def: $vgpr2
.LBB5242_90:
	s_andn2_saveexec_b64 s[0:1], s[0:1]
	s_cbranch_execz .LBB5242_92
; %bb.91:
	ds_read_b64 v[0:1], v2 offset:1024
	v_mov_b32_e32 v2, 0
	s_waitcnt lgkmcnt(0)
	global_store_dwordx2 v2, v[0:1], s[14:15]
.LBB5242_92:
	s_endpgm
	.section	.rodata,"a",@progbits
	.p2align	6, 0x0
	.amdhsa_kernel _ZN7rocprim17ROCPRIM_400000_NS6detail17trampoline_kernelINS0_14default_configENS1_20scan_config_selectorIyEEZZNS1_9scan_implILNS1_25lookback_scan_determinismE0ELb1ELb1ES3_N6thrust23THRUST_200600_302600_NS6detail15normal_iteratorINS9_10device_ptrIyEEEENS9_16discard_iteratorINS9_11use_defaultEEEyNS9_4plusIvEEyEEDaPvRmT3_T4_T5_mT6_P12ihipStream_tbENKUlT_T0_E_clISt17integral_constantIbLb1EESX_EEDaSS_ST_EUlSS_E_NS1_11comp_targetILNS1_3genE4ELNS1_11target_archE910ELNS1_3gpuE8ELNS1_3repE0EEENS1_30default_config_static_selectorELNS0_4arch9wavefront6targetE1EEEvT1_
		.amdhsa_group_segment_fixed_size 7168
		.amdhsa_private_segment_fixed_size 0
		.amdhsa_kernarg_size 112
		.amdhsa_user_sgpr_count 6
		.amdhsa_user_sgpr_private_segment_buffer 1
		.amdhsa_user_sgpr_dispatch_ptr 0
		.amdhsa_user_sgpr_queue_ptr 0
		.amdhsa_user_sgpr_kernarg_segment_ptr 1
		.amdhsa_user_sgpr_dispatch_id 0
		.amdhsa_user_sgpr_flat_scratch_init 0
		.amdhsa_user_sgpr_kernarg_preload_length 0
		.amdhsa_user_sgpr_kernarg_preload_offset 0
		.amdhsa_user_sgpr_private_segment_size 0
		.amdhsa_uses_dynamic_stack 0
		.amdhsa_system_sgpr_private_segment_wavefront_offset 0
		.amdhsa_system_sgpr_workgroup_id_x 1
		.amdhsa_system_sgpr_workgroup_id_y 0
		.amdhsa_system_sgpr_workgroup_id_z 0
		.amdhsa_system_sgpr_workgroup_info 0
		.amdhsa_system_vgpr_workitem_id 0
		.amdhsa_next_free_vgpr 50
		.amdhsa_next_free_sgpr 36
		.amdhsa_accum_offset 52
		.amdhsa_reserve_vcc 1
		.amdhsa_reserve_flat_scratch 0
		.amdhsa_float_round_mode_32 0
		.amdhsa_float_round_mode_16_64 0
		.amdhsa_float_denorm_mode_32 3
		.amdhsa_float_denorm_mode_16_64 3
		.amdhsa_dx10_clamp 1
		.amdhsa_ieee_mode 1
		.amdhsa_fp16_overflow 0
		.amdhsa_tg_split 0
		.amdhsa_exception_fp_ieee_invalid_op 0
		.amdhsa_exception_fp_denorm_src 0
		.amdhsa_exception_fp_ieee_div_zero 0
		.amdhsa_exception_fp_ieee_overflow 0
		.amdhsa_exception_fp_ieee_underflow 0
		.amdhsa_exception_fp_ieee_inexact 0
		.amdhsa_exception_int_div_zero 0
	.end_amdhsa_kernel
	.section	.text._ZN7rocprim17ROCPRIM_400000_NS6detail17trampoline_kernelINS0_14default_configENS1_20scan_config_selectorIyEEZZNS1_9scan_implILNS1_25lookback_scan_determinismE0ELb1ELb1ES3_N6thrust23THRUST_200600_302600_NS6detail15normal_iteratorINS9_10device_ptrIyEEEENS9_16discard_iteratorINS9_11use_defaultEEEyNS9_4plusIvEEyEEDaPvRmT3_T4_T5_mT6_P12ihipStream_tbENKUlT_T0_E_clISt17integral_constantIbLb1EESX_EEDaSS_ST_EUlSS_E_NS1_11comp_targetILNS1_3genE4ELNS1_11target_archE910ELNS1_3gpuE8ELNS1_3repE0EEENS1_30default_config_static_selectorELNS0_4arch9wavefront6targetE1EEEvT1_,"axG",@progbits,_ZN7rocprim17ROCPRIM_400000_NS6detail17trampoline_kernelINS0_14default_configENS1_20scan_config_selectorIyEEZZNS1_9scan_implILNS1_25lookback_scan_determinismE0ELb1ELb1ES3_N6thrust23THRUST_200600_302600_NS6detail15normal_iteratorINS9_10device_ptrIyEEEENS9_16discard_iteratorINS9_11use_defaultEEEyNS9_4plusIvEEyEEDaPvRmT3_T4_T5_mT6_P12ihipStream_tbENKUlT_T0_E_clISt17integral_constantIbLb1EESX_EEDaSS_ST_EUlSS_E_NS1_11comp_targetILNS1_3genE4ELNS1_11target_archE910ELNS1_3gpuE8ELNS1_3repE0EEENS1_30default_config_static_selectorELNS0_4arch9wavefront6targetE1EEEvT1_,comdat
.Lfunc_end5242:
	.size	_ZN7rocprim17ROCPRIM_400000_NS6detail17trampoline_kernelINS0_14default_configENS1_20scan_config_selectorIyEEZZNS1_9scan_implILNS1_25lookback_scan_determinismE0ELb1ELb1ES3_N6thrust23THRUST_200600_302600_NS6detail15normal_iteratorINS9_10device_ptrIyEEEENS9_16discard_iteratorINS9_11use_defaultEEEyNS9_4plusIvEEyEEDaPvRmT3_T4_T5_mT6_P12ihipStream_tbENKUlT_T0_E_clISt17integral_constantIbLb1EESX_EEDaSS_ST_EUlSS_E_NS1_11comp_targetILNS1_3genE4ELNS1_11target_archE910ELNS1_3gpuE8ELNS1_3repE0EEENS1_30default_config_static_selectorELNS0_4arch9wavefront6targetE1EEEvT1_, .Lfunc_end5242-_ZN7rocprim17ROCPRIM_400000_NS6detail17trampoline_kernelINS0_14default_configENS1_20scan_config_selectorIyEEZZNS1_9scan_implILNS1_25lookback_scan_determinismE0ELb1ELb1ES3_N6thrust23THRUST_200600_302600_NS6detail15normal_iteratorINS9_10device_ptrIyEEEENS9_16discard_iteratorINS9_11use_defaultEEEyNS9_4plusIvEEyEEDaPvRmT3_T4_T5_mT6_P12ihipStream_tbENKUlT_T0_E_clISt17integral_constantIbLb1EESX_EEDaSS_ST_EUlSS_E_NS1_11comp_targetILNS1_3genE4ELNS1_11target_archE910ELNS1_3gpuE8ELNS1_3repE0EEENS1_30default_config_static_selectorELNS0_4arch9wavefront6targetE1EEEvT1_
                                        ; -- End function
	.section	.AMDGPU.csdata,"",@progbits
; Kernel info:
; codeLenInByte = 5284
; NumSgprs: 40
; NumVgprs: 50
; NumAgprs: 0
; TotalNumVgprs: 50
; ScratchSize: 0
; MemoryBound: 0
; FloatMode: 240
; IeeeMode: 1
; LDSByteSize: 7168 bytes/workgroup (compile time only)
; SGPRBlocks: 4
; VGPRBlocks: 6
; NumSGPRsForWavesPerEU: 40
; NumVGPRsForWavesPerEU: 50
; AccumOffset: 52
; Occupancy: 5
; WaveLimiterHint : 1
; COMPUTE_PGM_RSRC2:SCRATCH_EN: 0
; COMPUTE_PGM_RSRC2:USER_SGPR: 6
; COMPUTE_PGM_RSRC2:TRAP_HANDLER: 0
; COMPUTE_PGM_RSRC2:TGID_X_EN: 1
; COMPUTE_PGM_RSRC2:TGID_Y_EN: 0
; COMPUTE_PGM_RSRC2:TGID_Z_EN: 0
; COMPUTE_PGM_RSRC2:TIDIG_COMP_CNT: 0
; COMPUTE_PGM_RSRC3_GFX90A:ACCUM_OFFSET: 12
; COMPUTE_PGM_RSRC3_GFX90A:TG_SPLIT: 0
	.section	.text._ZN7rocprim17ROCPRIM_400000_NS6detail17trampoline_kernelINS0_14default_configENS1_20scan_config_selectorIyEEZZNS1_9scan_implILNS1_25lookback_scan_determinismE0ELb1ELb1ES3_N6thrust23THRUST_200600_302600_NS6detail15normal_iteratorINS9_10device_ptrIyEEEENS9_16discard_iteratorINS9_11use_defaultEEEyNS9_4plusIvEEyEEDaPvRmT3_T4_T5_mT6_P12ihipStream_tbENKUlT_T0_E_clISt17integral_constantIbLb1EESX_EEDaSS_ST_EUlSS_E_NS1_11comp_targetILNS1_3genE3ELNS1_11target_archE908ELNS1_3gpuE7ELNS1_3repE0EEENS1_30default_config_static_selectorELNS0_4arch9wavefront6targetE1EEEvT1_,"axG",@progbits,_ZN7rocprim17ROCPRIM_400000_NS6detail17trampoline_kernelINS0_14default_configENS1_20scan_config_selectorIyEEZZNS1_9scan_implILNS1_25lookback_scan_determinismE0ELb1ELb1ES3_N6thrust23THRUST_200600_302600_NS6detail15normal_iteratorINS9_10device_ptrIyEEEENS9_16discard_iteratorINS9_11use_defaultEEEyNS9_4plusIvEEyEEDaPvRmT3_T4_T5_mT6_P12ihipStream_tbENKUlT_T0_E_clISt17integral_constantIbLb1EESX_EEDaSS_ST_EUlSS_E_NS1_11comp_targetILNS1_3genE3ELNS1_11target_archE908ELNS1_3gpuE7ELNS1_3repE0EEENS1_30default_config_static_selectorELNS0_4arch9wavefront6targetE1EEEvT1_,comdat
	.protected	_ZN7rocprim17ROCPRIM_400000_NS6detail17trampoline_kernelINS0_14default_configENS1_20scan_config_selectorIyEEZZNS1_9scan_implILNS1_25lookback_scan_determinismE0ELb1ELb1ES3_N6thrust23THRUST_200600_302600_NS6detail15normal_iteratorINS9_10device_ptrIyEEEENS9_16discard_iteratorINS9_11use_defaultEEEyNS9_4plusIvEEyEEDaPvRmT3_T4_T5_mT6_P12ihipStream_tbENKUlT_T0_E_clISt17integral_constantIbLb1EESX_EEDaSS_ST_EUlSS_E_NS1_11comp_targetILNS1_3genE3ELNS1_11target_archE908ELNS1_3gpuE7ELNS1_3repE0EEENS1_30default_config_static_selectorELNS0_4arch9wavefront6targetE1EEEvT1_ ; -- Begin function _ZN7rocprim17ROCPRIM_400000_NS6detail17trampoline_kernelINS0_14default_configENS1_20scan_config_selectorIyEEZZNS1_9scan_implILNS1_25lookback_scan_determinismE0ELb1ELb1ES3_N6thrust23THRUST_200600_302600_NS6detail15normal_iteratorINS9_10device_ptrIyEEEENS9_16discard_iteratorINS9_11use_defaultEEEyNS9_4plusIvEEyEEDaPvRmT3_T4_T5_mT6_P12ihipStream_tbENKUlT_T0_E_clISt17integral_constantIbLb1EESX_EEDaSS_ST_EUlSS_E_NS1_11comp_targetILNS1_3genE3ELNS1_11target_archE908ELNS1_3gpuE7ELNS1_3repE0EEENS1_30default_config_static_selectorELNS0_4arch9wavefront6targetE1EEEvT1_
	.globl	_ZN7rocprim17ROCPRIM_400000_NS6detail17trampoline_kernelINS0_14default_configENS1_20scan_config_selectorIyEEZZNS1_9scan_implILNS1_25lookback_scan_determinismE0ELb1ELb1ES3_N6thrust23THRUST_200600_302600_NS6detail15normal_iteratorINS9_10device_ptrIyEEEENS9_16discard_iteratorINS9_11use_defaultEEEyNS9_4plusIvEEyEEDaPvRmT3_T4_T5_mT6_P12ihipStream_tbENKUlT_T0_E_clISt17integral_constantIbLb1EESX_EEDaSS_ST_EUlSS_E_NS1_11comp_targetILNS1_3genE3ELNS1_11target_archE908ELNS1_3gpuE7ELNS1_3repE0EEENS1_30default_config_static_selectorELNS0_4arch9wavefront6targetE1EEEvT1_
	.p2align	8
	.type	_ZN7rocprim17ROCPRIM_400000_NS6detail17trampoline_kernelINS0_14default_configENS1_20scan_config_selectorIyEEZZNS1_9scan_implILNS1_25lookback_scan_determinismE0ELb1ELb1ES3_N6thrust23THRUST_200600_302600_NS6detail15normal_iteratorINS9_10device_ptrIyEEEENS9_16discard_iteratorINS9_11use_defaultEEEyNS9_4plusIvEEyEEDaPvRmT3_T4_T5_mT6_P12ihipStream_tbENKUlT_T0_E_clISt17integral_constantIbLb1EESX_EEDaSS_ST_EUlSS_E_NS1_11comp_targetILNS1_3genE3ELNS1_11target_archE908ELNS1_3gpuE7ELNS1_3repE0EEENS1_30default_config_static_selectorELNS0_4arch9wavefront6targetE1EEEvT1_,@function
_ZN7rocprim17ROCPRIM_400000_NS6detail17trampoline_kernelINS0_14default_configENS1_20scan_config_selectorIyEEZZNS1_9scan_implILNS1_25lookback_scan_determinismE0ELb1ELb1ES3_N6thrust23THRUST_200600_302600_NS6detail15normal_iteratorINS9_10device_ptrIyEEEENS9_16discard_iteratorINS9_11use_defaultEEEyNS9_4plusIvEEyEEDaPvRmT3_T4_T5_mT6_P12ihipStream_tbENKUlT_T0_E_clISt17integral_constantIbLb1EESX_EEDaSS_ST_EUlSS_E_NS1_11comp_targetILNS1_3genE3ELNS1_11target_archE908ELNS1_3gpuE7ELNS1_3repE0EEENS1_30default_config_static_selectorELNS0_4arch9wavefront6targetE1EEEvT1_: ; @_ZN7rocprim17ROCPRIM_400000_NS6detail17trampoline_kernelINS0_14default_configENS1_20scan_config_selectorIyEEZZNS1_9scan_implILNS1_25lookback_scan_determinismE0ELb1ELb1ES3_N6thrust23THRUST_200600_302600_NS6detail15normal_iteratorINS9_10device_ptrIyEEEENS9_16discard_iteratorINS9_11use_defaultEEEyNS9_4plusIvEEyEEDaPvRmT3_T4_T5_mT6_P12ihipStream_tbENKUlT_T0_E_clISt17integral_constantIbLb1EESX_EEDaSS_ST_EUlSS_E_NS1_11comp_targetILNS1_3genE3ELNS1_11target_archE908ELNS1_3gpuE7ELNS1_3repE0EEENS1_30default_config_static_selectorELNS0_4arch9wavefront6targetE1EEEvT1_
; %bb.0:
	.section	.rodata,"a",@progbits
	.p2align	6, 0x0
	.amdhsa_kernel _ZN7rocprim17ROCPRIM_400000_NS6detail17trampoline_kernelINS0_14default_configENS1_20scan_config_selectorIyEEZZNS1_9scan_implILNS1_25lookback_scan_determinismE0ELb1ELb1ES3_N6thrust23THRUST_200600_302600_NS6detail15normal_iteratorINS9_10device_ptrIyEEEENS9_16discard_iteratorINS9_11use_defaultEEEyNS9_4plusIvEEyEEDaPvRmT3_T4_T5_mT6_P12ihipStream_tbENKUlT_T0_E_clISt17integral_constantIbLb1EESX_EEDaSS_ST_EUlSS_E_NS1_11comp_targetILNS1_3genE3ELNS1_11target_archE908ELNS1_3gpuE7ELNS1_3repE0EEENS1_30default_config_static_selectorELNS0_4arch9wavefront6targetE1EEEvT1_
		.amdhsa_group_segment_fixed_size 0
		.amdhsa_private_segment_fixed_size 0
		.amdhsa_kernarg_size 112
		.amdhsa_user_sgpr_count 6
		.amdhsa_user_sgpr_private_segment_buffer 1
		.amdhsa_user_sgpr_dispatch_ptr 0
		.amdhsa_user_sgpr_queue_ptr 0
		.amdhsa_user_sgpr_kernarg_segment_ptr 1
		.amdhsa_user_sgpr_dispatch_id 0
		.amdhsa_user_sgpr_flat_scratch_init 0
		.amdhsa_user_sgpr_kernarg_preload_length 0
		.amdhsa_user_sgpr_kernarg_preload_offset 0
		.amdhsa_user_sgpr_private_segment_size 0
		.amdhsa_uses_dynamic_stack 0
		.amdhsa_system_sgpr_private_segment_wavefront_offset 0
		.amdhsa_system_sgpr_workgroup_id_x 1
		.amdhsa_system_sgpr_workgroup_id_y 0
		.amdhsa_system_sgpr_workgroup_id_z 0
		.amdhsa_system_sgpr_workgroup_info 0
		.amdhsa_system_vgpr_workitem_id 0
		.amdhsa_next_free_vgpr 1
		.amdhsa_next_free_sgpr 0
		.amdhsa_accum_offset 4
		.amdhsa_reserve_vcc 0
		.amdhsa_reserve_flat_scratch 0
		.amdhsa_float_round_mode_32 0
		.amdhsa_float_round_mode_16_64 0
		.amdhsa_float_denorm_mode_32 3
		.amdhsa_float_denorm_mode_16_64 3
		.amdhsa_dx10_clamp 1
		.amdhsa_ieee_mode 1
		.amdhsa_fp16_overflow 0
		.amdhsa_tg_split 0
		.amdhsa_exception_fp_ieee_invalid_op 0
		.amdhsa_exception_fp_denorm_src 0
		.amdhsa_exception_fp_ieee_div_zero 0
		.amdhsa_exception_fp_ieee_overflow 0
		.amdhsa_exception_fp_ieee_underflow 0
		.amdhsa_exception_fp_ieee_inexact 0
		.amdhsa_exception_int_div_zero 0
	.end_amdhsa_kernel
	.section	.text._ZN7rocprim17ROCPRIM_400000_NS6detail17trampoline_kernelINS0_14default_configENS1_20scan_config_selectorIyEEZZNS1_9scan_implILNS1_25lookback_scan_determinismE0ELb1ELb1ES3_N6thrust23THRUST_200600_302600_NS6detail15normal_iteratorINS9_10device_ptrIyEEEENS9_16discard_iteratorINS9_11use_defaultEEEyNS9_4plusIvEEyEEDaPvRmT3_T4_T5_mT6_P12ihipStream_tbENKUlT_T0_E_clISt17integral_constantIbLb1EESX_EEDaSS_ST_EUlSS_E_NS1_11comp_targetILNS1_3genE3ELNS1_11target_archE908ELNS1_3gpuE7ELNS1_3repE0EEENS1_30default_config_static_selectorELNS0_4arch9wavefront6targetE1EEEvT1_,"axG",@progbits,_ZN7rocprim17ROCPRIM_400000_NS6detail17trampoline_kernelINS0_14default_configENS1_20scan_config_selectorIyEEZZNS1_9scan_implILNS1_25lookback_scan_determinismE0ELb1ELb1ES3_N6thrust23THRUST_200600_302600_NS6detail15normal_iteratorINS9_10device_ptrIyEEEENS9_16discard_iteratorINS9_11use_defaultEEEyNS9_4plusIvEEyEEDaPvRmT3_T4_T5_mT6_P12ihipStream_tbENKUlT_T0_E_clISt17integral_constantIbLb1EESX_EEDaSS_ST_EUlSS_E_NS1_11comp_targetILNS1_3genE3ELNS1_11target_archE908ELNS1_3gpuE7ELNS1_3repE0EEENS1_30default_config_static_selectorELNS0_4arch9wavefront6targetE1EEEvT1_,comdat
.Lfunc_end5243:
	.size	_ZN7rocprim17ROCPRIM_400000_NS6detail17trampoline_kernelINS0_14default_configENS1_20scan_config_selectorIyEEZZNS1_9scan_implILNS1_25lookback_scan_determinismE0ELb1ELb1ES3_N6thrust23THRUST_200600_302600_NS6detail15normal_iteratorINS9_10device_ptrIyEEEENS9_16discard_iteratorINS9_11use_defaultEEEyNS9_4plusIvEEyEEDaPvRmT3_T4_T5_mT6_P12ihipStream_tbENKUlT_T0_E_clISt17integral_constantIbLb1EESX_EEDaSS_ST_EUlSS_E_NS1_11comp_targetILNS1_3genE3ELNS1_11target_archE908ELNS1_3gpuE7ELNS1_3repE0EEENS1_30default_config_static_selectorELNS0_4arch9wavefront6targetE1EEEvT1_, .Lfunc_end5243-_ZN7rocprim17ROCPRIM_400000_NS6detail17trampoline_kernelINS0_14default_configENS1_20scan_config_selectorIyEEZZNS1_9scan_implILNS1_25lookback_scan_determinismE0ELb1ELb1ES3_N6thrust23THRUST_200600_302600_NS6detail15normal_iteratorINS9_10device_ptrIyEEEENS9_16discard_iteratorINS9_11use_defaultEEEyNS9_4plusIvEEyEEDaPvRmT3_T4_T5_mT6_P12ihipStream_tbENKUlT_T0_E_clISt17integral_constantIbLb1EESX_EEDaSS_ST_EUlSS_E_NS1_11comp_targetILNS1_3genE3ELNS1_11target_archE908ELNS1_3gpuE7ELNS1_3repE0EEENS1_30default_config_static_selectorELNS0_4arch9wavefront6targetE1EEEvT1_
                                        ; -- End function
	.section	.AMDGPU.csdata,"",@progbits
; Kernel info:
; codeLenInByte = 0
; NumSgprs: 4
; NumVgprs: 0
; NumAgprs: 0
; TotalNumVgprs: 0
; ScratchSize: 0
; MemoryBound: 0
; FloatMode: 240
; IeeeMode: 1
; LDSByteSize: 0 bytes/workgroup (compile time only)
; SGPRBlocks: 0
; VGPRBlocks: 0
; NumSGPRsForWavesPerEU: 4
; NumVGPRsForWavesPerEU: 1
; AccumOffset: 4
; Occupancy: 8
; WaveLimiterHint : 0
; COMPUTE_PGM_RSRC2:SCRATCH_EN: 0
; COMPUTE_PGM_RSRC2:USER_SGPR: 6
; COMPUTE_PGM_RSRC2:TRAP_HANDLER: 0
; COMPUTE_PGM_RSRC2:TGID_X_EN: 1
; COMPUTE_PGM_RSRC2:TGID_Y_EN: 0
; COMPUTE_PGM_RSRC2:TGID_Z_EN: 0
; COMPUTE_PGM_RSRC2:TIDIG_COMP_CNT: 0
; COMPUTE_PGM_RSRC3_GFX90A:ACCUM_OFFSET: 0
; COMPUTE_PGM_RSRC3_GFX90A:TG_SPLIT: 0
	.section	.text._ZN7rocprim17ROCPRIM_400000_NS6detail17trampoline_kernelINS0_14default_configENS1_20scan_config_selectorIyEEZZNS1_9scan_implILNS1_25lookback_scan_determinismE0ELb1ELb1ES3_N6thrust23THRUST_200600_302600_NS6detail15normal_iteratorINS9_10device_ptrIyEEEENS9_16discard_iteratorINS9_11use_defaultEEEyNS9_4plusIvEEyEEDaPvRmT3_T4_T5_mT6_P12ihipStream_tbENKUlT_T0_E_clISt17integral_constantIbLb1EESX_EEDaSS_ST_EUlSS_E_NS1_11comp_targetILNS1_3genE2ELNS1_11target_archE906ELNS1_3gpuE6ELNS1_3repE0EEENS1_30default_config_static_selectorELNS0_4arch9wavefront6targetE1EEEvT1_,"axG",@progbits,_ZN7rocprim17ROCPRIM_400000_NS6detail17trampoline_kernelINS0_14default_configENS1_20scan_config_selectorIyEEZZNS1_9scan_implILNS1_25lookback_scan_determinismE0ELb1ELb1ES3_N6thrust23THRUST_200600_302600_NS6detail15normal_iteratorINS9_10device_ptrIyEEEENS9_16discard_iteratorINS9_11use_defaultEEEyNS9_4plusIvEEyEEDaPvRmT3_T4_T5_mT6_P12ihipStream_tbENKUlT_T0_E_clISt17integral_constantIbLb1EESX_EEDaSS_ST_EUlSS_E_NS1_11comp_targetILNS1_3genE2ELNS1_11target_archE906ELNS1_3gpuE6ELNS1_3repE0EEENS1_30default_config_static_selectorELNS0_4arch9wavefront6targetE1EEEvT1_,comdat
	.protected	_ZN7rocprim17ROCPRIM_400000_NS6detail17trampoline_kernelINS0_14default_configENS1_20scan_config_selectorIyEEZZNS1_9scan_implILNS1_25lookback_scan_determinismE0ELb1ELb1ES3_N6thrust23THRUST_200600_302600_NS6detail15normal_iteratorINS9_10device_ptrIyEEEENS9_16discard_iteratorINS9_11use_defaultEEEyNS9_4plusIvEEyEEDaPvRmT3_T4_T5_mT6_P12ihipStream_tbENKUlT_T0_E_clISt17integral_constantIbLb1EESX_EEDaSS_ST_EUlSS_E_NS1_11comp_targetILNS1_3genE2ELNS1_11target_archE906ELNS1_3gpuE6ELNS1_3repE0EEENS1_30default_config_static_selectorELNS0_4arch9wavefront6targetE1EEEvT1_ ; -- Begin function _ZN7rocprim17ROCPRIM_400000_NS6detail17trampoline_kernelINS0_14default_configENS1_20scan_config_selectorIyEEZZNS1_9scan_implILNS1_25lookback_scan_determinismE0ELb1ELb1ES3_N6thrust23THRUST_200600_302600_NS6detail15normal_iteratorINS9_10device_ptrIyEEEENS9_16discard_iteratorINS9_11use_defaultEEEyNS9_4plusIvEEyEEDaPvRmT3_T4_T5_mT6_P12ihipStream_tbENKUlT_T0_E_clISt17integral_constantIbLb1EESX_EEDaSS_ST_EUlSS_E_NS1_11comp_targetILNS1_3genE2ELNS1_11target_archE906ELNS1_3gpuE6ELNS1_3repE0EEENS1_30default_config_static_selectorELNS0_4arch9wavefront6targetE1EEEvT1_
	.globl	_ZN7rocprim17ROCPRIM_400000_NS6detail17trampoline_kernelINS0_14default_configENS1_20scan_config_selectorIyEEZZNS1_9scan_implILNS1_25lookback_scan_determinismE0ELb1ELb1ES3_N6thrust23THRUST_200600_302600_NS6detail15normal_iteratorINS9_10device_ptrIyEEEENS9_16discard_iteratorINS9_11use_defaultEEEyNS9_4plusIvEEyEEDaPvRmT3_T4_T5_mT6_P12ihipStream_tbENKUlT_T0_E_clISt17integral_constantIbLb1EESX_EEDaSS_ST_EUlSS_E_NS1_11comp_targetILNS1_3genE2ELNS1_11target_archE906ELNS1_3gpuE6ELNS1_3repE0EEENS1_30default_config_static_selectorELNS0_4arch9wavefront6targetE1EEEvT1_
	.p2align	8
	.type	_ZN7rocprim17ROCPRIM_400000_NS6detail17trampoline_kernelINS0_14default_configENS1_20scan_config_selectorIyEEZZNS1_9scan_implILNS1_25lookback_scan_determinismE0ELb1ELb1ES3_N6thrust23THRUST_200600_302600_NS6detail15normal_iteratorINS9_10device_ptrIyEEEENS9_16discard_iteratorINS9_11use_defaultEEEyNS9_4plusIvEEyEEDaPvRmT3_T4_T5_mT6_P12ihipStream_tbENKUlT_T0_E_clISt17integral_constantIbLb1EESX_EEDaSS_ST_EUlSS_E_NS1_11comp_targetILNS1_3genE2ELNS1_11target_archE906ELNS1_3gpuE6ELNS1_3repE0EEENS1_30default_config_static_selectorELNS0_4arch9wavefront6targetE1EEEvT1_,@function
_ZN7rocprim17ROCPRIM_400000_NS6detail17trampoline_kernelINS0_14default_configENS1_20scan_config_selectorIyEEZZNS1_9scan_implILNS1_25lookback_scan_determinismE0ELb1ELb1ES3_N6thrust23THRUST_200600_302600_NS6detail15normal_iteratorINS9_10device_ptrIyEEEENS9_16discard_iteratorINS9_11use_defaultEEEyNS9_4plusIvEEyEEDaPvRmT3_T4_T5_mT6_P12ihipStream_tbENKUlT_T0_E_clISt17integral_constantIbLb1EESX_EEDaSS_ST_EUlSS_E_NS1_11comp_targetILNS1_3genE2ELNS1_11target_archE906ELNS1_3gpuE6ELNS1_3repE0EEENS1_30default_config_static_selectorELNS0_4arch9wavefront6targetE1EEEvT1_: ; @_ZN7rocprim17ROCPRIM_400000_NS6detail17trampoline_kernelINS0_14default_configENS1_20scan_config_selectorIyEEZZNS1_9scan_implILNS1_25lookback_scan_determinismE0ELb1ELb1ES3_N6thrust23THRUST_200600_302600_NS6detail15normal_iteratorINS9_10device_ptrIyEEEENS9_16discard_iteratorINS9_11use_defaultEEEyNS9_4plusIvEEyEEDaPvRmT3_T4_T5_mT6_P12ihipStream_tbENKUlT_T0_E_clISt17integral_constantIbLb1EESX_EEDaSS_ST_EUlSS_E_NS1_11comp_targetILNS1_3genE2ELNS1_11target_archE906ELNS1_3gpuE6ELNS1_3repE0EEENS1_30default_config_static_selectorELNS0_4arch9wavefront6targetE1EEEvT1_
; %bb.0:
	.section	.rodata,"a",@progbits
	.p2align	6, 0x0
	.amdhsa_kernel _ZN7rocprim17ROCPRIM_400000_NS6detail17trampoline_kernelINS0_14default_configENS1_20scan_config_selectorIyEEZZNS1_9scan_implILNS1_25lookback_scan_determinismE0ELb1ELb1ES3_N6thrust23THRUST_200600_302600_NS6detail15normal_iteratorINS9_10device_ptrIyEEEENS9_16discard_iteratorINS9_11use_defaultEEEyNS9_4plusIvEEyEEDaPvRmT3_T4_T5_mT6_P12ihipStream_tbENKUlT_T0_E_clISt17integral_constantIbLb1EESX_EEDaSS_ST_EUlSS_E_NS1_11comp_targetILNS1_3genE2ELNS1_11target_archE906ELNS1_3gpuE6ELNS1_3repE0EEENS1_30default_config_static_selectorELNS0_4arch9wavefront6targetE1EEEvT1_
		.amdhsa_group_segment_fixed_size 0
		.amdhsa_private_segment_fixed_size 0
		.amdhsa_kernarg_size 112
		.amdhsa_user_sgpr_count 6
		.amdhsa_user_sgpr_private_segment_buffer 1
		.amdhsa_user_sgpr_dispatch_ptr 0
		.amdhsa_user_sgpr_queue_ptr 0
		.amdhsa_user_sgpr_kernarg_segment_ptr 1
		.amdhsa_user_sgpr_dispatch_id 0
		.amdhsa_user_sgpr_flat_scratch_init 0
		.amdhsa_user_sgpr_kernarg_preload_length 0
		.amdhsa_user_sgpr_kernarg_preload_offset 0
		.amdhsa_user_sgpr_private_segment_size 0
		.amdhsa_uses_dynamic_stack 0
		.amdhsa_system_sgpr_private_segment_wavefront_offset 0
		.amdhsa_system_sgpr_workgroup_id_x 1
		.amdhsa_system_sgpr_workgroup_id_y 0
		.amdhsa_system_sgpr_workgroup_id_z 0
		.amdhsa_system_sgpr_workgroup_info 0
		.amdhsa_system_vgpr_workitem_id 0
		.amdhsa_next_free_vgpr 1
		.amdhsa_next_free_sgpr 0
		.amdhsa_accum_offset 4
		.amdhsa_reserve_vcc 0
		.amdhsa_reserve_flat_scratch 0
		.amdhsa_float_round_mode_32 0
		.amdhsa_float_round_mode_16_64 0
		.amdhsa_float_denorm_mode_32 3
		.amdhsa_float_denorm_mode_16_64 3
		.amdhsa_dx10_clamp 1
		.amdhsa_ieee_mode 1
		.amdhsa_fp16_overflow 0
		.amdhsa_tg_split 0
		.amdhsa_exception_fp_ieee_invalid_op 0
		.amdhsa_exception_fp_denorm_src 0
		.amdhsa_exception_fp_ieee_div_zero 0
		.amdhsa_exception_fp_ieee_overflow 0
		.amdhsa_exception_fp_ieee_underflow 0
		.amdhsa_exception_fp_ieee_inexact 0
		.amdhsa_exception_int_div_zero 0
	.end_amdhsa_kernel
	.section	.text._ZN7rocprim17ROCPRIM_400000_NS6detail17trampoline_kernelINS0_14default_configENS1_20scan_config_selectorIyEEZZNS1_9scan_implILNS1_25lookback_scan_determinismE0ELb1ELb1ES3_N6thrust23THRUST_200600_302600_NS6detail15normal_iteratorINS9_10device_ptrIyEEEENS9_16discard_iteratorINS9_11use_defaultEEEyNS9_4plusIvEEyEEDaPvRmT3_T4_T5_mT6_P12ihipStream_tbENKUlT_T0_E_clISt17integral_constantIbLb1EESX_EEDaSS_ST_EUlSS_E_NS1_11comp_targetILNS1_3genE2ELNS1_11target_archE906ELNS1_3gpuE6ELNS1_3repE0EEENS1_30default_config_static_selectorELNS0_4arch9wavefront6targetE1EEEvT1_,"axG",@progbits,_ZN7rocprim17ROCPRIM_400000_NS6detail17trampoline_kernelINS0_14default_configENS1_20scan_config_selectorIyEEZZNS1_9scan_implILNS1_25lookback_scan_determinismE0ELb1ELb1ES3_N6thrust23THRUST_200600_302600_NS6detail15normal_iteratorINS9_10device_ptrIyEEEENS9_16discard_iteratorINS9_11use_defaultEEEyNS9_4plusIvEEyEEDaPvRmT3_T4_T5_mT6_P12ihipStream_tbENKUlT_T0_E_clISt17integral_constantIbLb1EESX_EEDaSS_ST_EUlSS_E_NS1_11comp_targetILNS1_3genE2ELNS1_11target_archE906ELNS1_3gpuE6ELNS1_3repE0EEENS1_30default_config_static_selectorELNS0_4arch9wavefront6targetE1EEEvT1_,comdat
.Lfunc_end5244:
	.size	_ZN7rocprim17ROCPRIM_400000_NS6detail17trampoline_kernelINS0_14default_configENS1_20scan_config_selectorIyEEZZNS1_9scan_implILNS1_25lookback_scan_determinismE0ELb1ELb1ES3_N6thrust23THRUST_200600_302600_NS6detail15normal_iteratorINS9_10device_ptrIyEEEENS9_16discard_iteratorINS9_11use_defaultEEEyNS9_4plusIvEEyEEDaPvRmT3_T4_T5_mT6_P12ihipStream_tbENKUlT_T0_E_clISt17integral_constantIbLb1EESX_EEDaSS_ST_EUlSS_E_NS1_11comp_targetILNS1_3genE2ELNS1_11target_archE906ELNS1_3gpuE6ELNS1_3repE0EEENS1_30default_config_static_selectorELNS0_4arch9wavefront6targetE1EEEvT1_, .Lfunc_end5244-_ZN7rocprim17ROCPRIM_400000_NS6detail17trampoline_kernelINS0_14default_configENS1_20scan_config_selectorIyEEZZNS1_9scan_implILNS1_25lookback_scan_determinismE0ELb1ELb1ES3_N6thrust23THRUST_200600_302600_NS6detail15normal_iteratorINS9_10device_ptrIyEEEENS9_16discard_iteratorINS9_11use_defaultEEEyNS9_4plusIvEEyEEDaPvRmT3_T4_T5_mT6_P12ihipStream_tbENKUlT_T0_E_clISt17integral_constantIbLb1EESX_EEDaSS_ST_EUlSS_E_NS1_11comp_targetILNS1_3genE2ELNS1_11target_archE906ELNS1_3gpuE6ELNS1_3repE0EEENS1_30default_config_static_selectorELNS0_4arch9wavefront6targetE1EEEvT1_
                                        ; -- End function
	.section	.AMDGPU.csdata,"",@progbits
; Kernel info:
; codeLenInByte = 0
; NumSgprs: 4
; NumVgprs: 0
; NumAgprs: 0
; TotalNumVgprs: 0
; ScratchSize: 0
; MemoryBound: 0
; FloatMode: 240
; IeeeMode: 1
; LDSByteSize: 0 bytes/workgroup (compile time only)
; SGPRBlocks: 0
; VGPRBlocks: 0
; NumSGPRsForWavesPerEU: 4
; NumVGPRsForWavesPerEU: 1
; AccumOffset: 4
; Occupancy: 8
; WaveLimiterHint : 0
; COMPUTE_PGM_RSRC2:SCRATCH_EN: 0
; COMPUTE_PGM_RSRC2:USER_SGPR: 6
; COMPUTE_PGM_RSRC2:TRAP_HANDLER: 0
; COMPUTE_PGM_RSRC2:TGID_X_EN: 1
; COMPUTE_PGM_RSRC2:TGID_Y_EN: 0
; COMPUTE_PGM_RSRC2:TGID_Z_EN: 0
; COMPUTE_PGM_RSRC2:TIDIG_COMP_CNT: 0
; COMPUTE_PGM_RSRC3_GFX90A:ACCUM_OFFSET: 0
; COMPUTE_PGM_RSRC3_GFX90A:TG_SPLIT: 0
	.section	.text._ZN7rocprim17ROCPRIM_400000_NS6detail17trampoline_kernelINS0_14default_configENS1_20scan_config_selectorIyEEZZNS1_9scan_implILNS1_25lookback_scan_determinismE0ELb1ELb1ES3_N6thrust23THRUST_200600_302600_NS6detail15normal_iteratorINS9_10device_ptrIyEEEENS9_16discard_iteratorINS9_11use_defaultEEEyNS9_4plusIvEEyEEDaPvRmT3_T4_T5_mT6_P12ihipStream_tbENKUlT_T0_E_clISt17integral_constantIbLb1EESX_EEDaSS_ST_EUlSS_E_NS1_11comp_targetILNS1_3genE10ELNS1_11target_archE1201ELNS1_3gpuE5ELNS1_3repE0EEENS1_30default_config_static_selectorELNS0_4arch9wavefront6targetE1EEEvT1_,"axG",@progbits,_ZN7rocprim17ROCPRIM_400000_NS6detail17trampoline_kernelINS0_14default_configENS1_20scan_config_selectorIyEEZZNS1_9scan_implILNS1_25lookback_scan_determinismE0ELb1ELb1ES3_N6thrust23THRUST_200600_302600_NS6detail15normal_iteratorINS9_10device_ptrIyEEEENS9_16discard_iteratorINS9_11use_defaultEEEyNS9_4plusIvEEyEEDaPvRmT3_T4_T5_mT6_P12ihipStream_tbENKUlT_T0_E_clISt17integral_constantIbLb1EESX_EEDaSS_ST_EUlSS_E_NS1_11comp_targetILNS1_3genE10ELNS1_11target_archE1201ELNS1_3gpuE5ELNS1_3repE0EEENS1_30default_config_static_selectorELNS0_4arch9wavefront6targetE1EEEvT1_,comdat
	.protected	_ZN7rocprim17ROCPRIM_400000_NS6detail17trampoline_kernelINS0_14default_configENS1_20scan_config_selectorIyEEZZNS1_9scan_implILNS1_25lookback_scan_determinismE0ELb1ELb1ES3_N6thrust23THRUST_200600_302600_NS6detail15normal_iteratorINS9_10device_ptrIyEEEENS9_16discard_iteratorINS9_11use_defaultEEEyNS9_4plusIvEEyEEDaPvRmT3_T4_T5_mT6_P12ihipStream_tbENKUlT_T0_E_clISt17integral_constantIbLb1EESX_EEDaSS_ST_EUlSS_E_NS1_11comp_targetILNS1_3genE10ELNS1_11target_archE1201ELNS1_3gpuE5ELNS1_3repE0EEENS1_30default_config_static_selectorELNS0_4arch9wavefront6targetE1EEEvT1_ ; -- Begin function _ZN7rocprim17ROCPRIM_400000_NS6detail17trampoline_kernelINS0_14default_configENS1_20scan_config_selectorIyEEZZNS1_9scan_implILNS1_25lookback_scan_determinismE0ELb1ELb1ES3_N6thrust23THRUST_200600_302600_NS6detail15normal_iteratorINS9_10device_ptrIyEEEENS9_16discard_iteratorINS9_11use_defaultEEEyNS9_4plusIvEEyEEDaPvRmT3_T4_T5_mT6_P12ihipStream_tbENKUlT_T0_E_clISt17integral_constantIbLb1EESX_EEDaSS_ST_EUlSS_E_NS1_11comp_targetILNS1_3genE10ELNS1_11target_archE1201ELNS1_3gpuE5ELNS1_3repE0EEENS1_30default_config_static_selectorELNS0_4arch9wavefront6targetE1EEEvT1_
	.globl	_ZN7rocprim17ROCPRIM_400000_NS6detail17trampoline_kernelINS0_14default_configENS1_20scan_config_selectorIyEEZZNS1_9scan_implILNS1_25lookback_scan_determinismE0ELb1ELb1ES3_N6thrust23THRUST_200600_302600_NS6detail15normal_iteratorINS9_10device_ptrIyEEEENS9_16discard_iteratorINS9_11use_defaultEEEyNS9_4plusIvEEyEEDaPvRmT3_T4_T5_mT6_P12ihipStream_tbENKUlT_T0_E_clISt17integral_constantIbLb1EESX_EEDaSS_ST_EUlSS_E_NS1_11comp_targetILNS1_3genE10ELNS1_11target_archE1201ELNS1_3gpuE5ELNS1_3repE0EEENS1_30default_config_static_selectorELNS0_4arch9wavefront6targetE1EEEvT1_
	.p2align	8
	.type	_ZN7rocprim17ROCPRIM_400000_NS6detail17trampoline_kernelINS0_14default_configENS1_20scan_config_selectorIyEEZZNS1_9scan_implILNS1_25lookback_scan_determinismE0ELb1ELb1ES3_N6thrust23THRUST_200600_302600_NS6detail15normal_iteratorINS9_10device_ptrIyEEEENS9_16discard_iteratorINS9_11use_defaultEEEyNS9_4plusIvEEyEEDaPvRmT3_T4_T5_mT6_P12ihipStream_tbENKUlT_T0_E_clISt17integral_constantIbLb1EESX_EEDaSS_ST_EUlSS_E_NS1_11comp_targetILNS1_3genE10ELNS1_11target_archE1201ELNS1_3gpuE5ELNS1_3repE0EEENS1_30default_config_static_selectorELNS0_4arch9wavefront6targetE1EEEvT1_,@function
_ZN7rocprim17ROCPRIM_400000_NS6detail17trampoline_kernelINS0_14default_configENS1_20scan_config_selectorIyEEZZNS1_9scan_implILNS1_25lookback_scan_determinismE0ELb1ELb1ES3_N6thrust23THRUST_200600_302600_NS6detail15normal_iteratorINS9_10device_ptrIyEEEENS9_16discard_iteratorINS9_11use_defaultEEEyNS9_4plusIvEEyEEDaPvRmT3_T4_T5_mT6_P12ihipStream_tbENKUlT_T0_E_clISt17integral_constantIbLb1EESX_EEDaSS_ST_EUlSS_E_NS1_11comp_targetILNS1_3genE10ELNS1_11target_archE1201ELNS1_3gpuE5ELNS1_3repE0EEENS1_30default_config_static_selectorELNS0_4arch9wavefront6targetE1EEEvT1_: ; @_ZN7rocprim17ROCPRIM_400000_NS6detail17trampoline_kernelINS0_14default_configENS1_20scan_config_selectorIyEEZZNS1_9scan_implILNS1_25lookback_scan_determinismE0ELb1ELb1ES3_N6thrust23THRUST_200600_302600_NS6detail15normal_iteratorINS9_10device_ptrIyEEEENS9_16discard_iteratorINS9_11use_defaultEEEyNS9_4plusIvEEyEEDaPvRmT3_T4_T5_mT6_P12ihipStream_tbENKUlT_T0_E_clISt17integral_constantIbLb1EESX_EEDaSS_ST_EUlSS_E_NS1_11comp_targetILNS1_3genE10ELNS1_11target_archE1201ELNS1_3gpuE5ELNS1_3repE0EEENS1_30default_config_static_selectorELNS0_4arch9wavefront6targetE1EEEvT1_
; %bb.0:
	.section	.rodata,"a",@progbits
	.p2align	6, 0x0
	.amdhsa_kernel _ZN7rocprim17ROCPRIM_400000_NS6detail17trampoline_kernelINS0_14default_configENS1_20scan_config_selectorIyEEZZNS1_9scan_implILNS1_25lookback_scan_determinismE0ELb1ELb1ES3_N6thrust23THRUST_200600_302600_NS6detail15normal_iteratorINS9_10device_ptrIyEEEENS9_16discard_iteratorINS9_11use_defaultEEEyNS9_4plusIvEEyEEDaPvRmT3_T4_T5_mT6_P12ihipStream_tbENKUlT_T0_E_clISt17integral_constantIbLb1EESX_EEDaSS_ST_EUlSS_E_NS1_11comp_targetILNS1_3genE10ELNS1_11target_archE1201ELNS1_3gpuE5ELNS1_3repE0EEENS1_30default_config_static_selectorELNS0_4arch9wavefront6targetE1EEEvT1_
		.amdhsa_group_segment_fixed_size 0
		.amdhsa_private_segment_fixed_size 0
		.amdhsa_kernarg_size 112
		.amdhsa_user_sgpr_count 6
		.amdhsa_user_sgpr_private_segment_buffer 1
		.amdhsa_user_sgpr_dispatch_ptr 0
		.amdhsa_user_sgpr_queue_ptr 0
		.amdhsa_user_sgpr_kernarg_segment_ptr 1
		.amdhsa_user_sgpr_dispatch_id 0
		.amdhsa_user_sgpr_flat_scratch_init 0
		.amdhsa_user_sgpr_kernarg_preload_length 0
		.amdhsa_user_sgpr_kernarg_preload_offset 0
		.amdhsa_user_sgpr_private_segment_size 0
		.amdhsa_uses_dynamic_stack 0
		.amdhsa_system_sgpr_private_segment_wavefront_offset 0
		.amdhsa_system_sgpr_workgroup_id_x 1
		.amdhsa_system_sgpr_workgroup_id_y 0
		.amdhsa_system_sgpr_workgroup_id_z 0
		.amdhsa_system_sgpr_workgroup_info 0
		.amdhsa_system_vgpr_workitem_id 0
		.amdhsa_next_free_vgpr 1
		.amdhsa_next_free_sgpr 0
		.amdhsa_accum_offset 4
		.amdhsa_reserve_vcc 0
		.amdhsa_reserve_flat_scratch 0
		.amdhsa_float_round_mode_32 0
		.amdhsa_float_round_mode_16_64 0
		.amdhsa_float_denorm_mode_32 3
		.amdhsa_float_denorm_mode_16_64 3
		.amdhsa_dx10_clamp 1
		.amdhsa_ieee_mode 1
		.amdhsa_fp16_overflow 0
		.amdhsa_tg_split 0
		.amdhsa_exception_fp_ieee_invalid_op 0
		.amdhsa_exception_fp_denorm_src 0
		.amdhsa_exception_fp_ieee_div_zero 0
		.amdhsa_exception_fp_ieee_overflow 0
		.amdhsa_exception_fp_ieee_underflow 0
		.amdhsa_exception_fp_ieee_inexact 0
		.amdhsa_exception_int_div_zero 0
	.end_amdhsa_kernel
	.section	.text._ZN7rocprim17ROCPRIM_400000_NS6detail17trampoline_kernelINS0_14default_configENS1_20scan_config_selectorIyEEZZNS1_9scan_implILNS1_25lookback_scan_determinismE0ELb1ELb1ES3_N6thrust23THRUST_200600_302600_NS6detail15normal_iteratorINS9_10device_ptrIyEEEENS9_16discard_iteratorINS9_11use_defaultEEEyNS9_4plusIvEEyEEDaPvRmT3_T4_T5_mT6_P12ihipStream_tbENKUlT_T0_E_clISt17integral_constantIbLb1EESX_EEDaSS_ST_EUlSS_E_NS1_11comp_targetILNS1_3genE10ELNS1_11target_archE1201ELNS1_3gpuE5ELNS1_3repE0EEENS1_30default_config_static_selectorELNS0_4arch9wavefront6targetE1EEEvT1_,"axG",@progbits,_ZN7rocprim17ROCPRIM_400000_NS6detail17trampoline_kernelINS0_14default_configENS1_20scan_config_selectorIyEEZZNS1_9scan_implILNS1_25lookback_scan_determinismE0ELb1ELb1ES3_N6thrust23THRUST_200600_302600_NS6detail15normal_iteratorINS9_10device_ptrIyEEEENS9_16discard_iteratorINS9_11use_defaultEEEyNS9_4plusIvEEyEEDaPvRmT3_T4_T5_mT6_P12ihipStream_tbENKUlT_T0_E_clISt17integral_constantIbLb1EESX_EEDaSS_ST_EUlSS_E_NS1_11comp_targetILNS1_3genE10ELNS1_11target_archE1201ELNS1_3gpuE5ELNS1_3repE0EEENS1_30default_config_static_selectorELNS0_4arch9wavefront6targetE1EEEvT1_,comdat
.Lfunc_end5245:
	.size	_ZN7rocprim17ROCPRIM_400000_NS6detail17trampoline_kernelINS0_14default_configENS1_20scan_config_selectorIyEEZZNS1_9scan_implILNS1_25lookback_scan_determinismE0ELb1ELb1ES3_N6thrust23THRUST_200600_302600_NS6detail15normal_iteratorINS9_10device_ptrIyEEEENS9_16discard_iteratorINS9_11use_defaultEEEyNS9_4plusIvEEyEEDaPvRmT3_T4_T5_mT6_P12ihipStream_tbENKUlT_T0_E_clISt17integral_constantIbLb1EESX_EEDaSS_ST_EUlSS_E_NS1_11comp_targetILNS1_3genE10ELNS1_11target_archE1201ELNS1_3gpuE5ELNS1_3repE0EEENS1_30default_config_static_selectorELNS0_4arch9wavefront6targetE1EEEvT1_, .Lfunc_end5245-_ZN7rocprim17ROCPRIM_400000_NS6detail17trampoline_kernelINS0_14default_configENS1_20scan_config_selectorIyEEZZNS1_9scan_implILNS1_25lookback_scan_determinismE0ELb1ELb1ES3_N6thrust23THRUST_200600_302600_NS6detail15normal_iteratorINS9_10device_ptrIyEEEENS9_16discard_iteratorINS9_11use_defaultEEEyNS9_4plusIvEEyEEDaPvRmT3_T4_T5_mT6_P12ihipStream_tbENKUlT_T0_E_clISt17integral_constantIbLb1EESX_EEDaSS_ST_EUlSS_E_NS1_11comp_targetILNS1_3genE10ELNS1_11target_archE1201ELNS1_3gpuE5ELNS1_3repE0EEENS1_30default_config_static_selectorELNS0_4arch9wavefront6targetE1EEEvT1_
                                        ; -- End function
	.section	.AMDGPU.csdata,"",@progbits
; Kernel info:
; codeLenInByte = 0
; NumSgprs: 4
; NumVgprs: 0
; NumAgprs: 0
; TotalNumVgprs: 0
; ScratchSize: 0
; MemoryBound: 0
; FloatMode: 240
; IeeeMode: 1
; LDSByteSize: 0 bytes/workgroup (compile time only)
; SGPRBlocks: 0
; VGPRBlocks: 0
; NumSGPRsForWavesPerEU: 4
; NumVGPRsForWavesPerEU: 1
; AccumOffset: 4
; Occupancy: 8
; WaveLimiterHint : 0
; COMPUTE_PGM_RSRC2:SCRATCH_EN: 0
; COMPUTE_PGM_RSRC2:USER_SGPR: 6
; COMPUTE_PGM_RSRC2:TRAP_HANDLER: 0
; COMPUTE_PGM_RSRC2:TGID_X_EN: 1
; COMPUTE_PGM_RSRC2:TGID_Y_EN: 0
; COMPUTE_PGM_RSRC2:TGID_Z_EN: 0
; COMPUTE_PGM_RSRC2:TIDIG_COMP_CNT: 0
; COMPUTE_PGM_RSRC3_GFX90A:ACCUM_OFFSET: 0
; COMPUTE_PGM_RSRC3_GFX90A:TG_SPLIT: 0
	.section	.text._ZN7rocprim17ROCPRIM_400000_NS6detail17trampoline_kernelINS0_14default_configENS1_20scan_config_selectorIyEEZZNS1_9scan_implILNS1_25lookback_scan_determinismE0ELb1ELb1ES3_N6thrust23THRUST_200600_302600_NS6detail15normal_iteratorINS9_10device_ptrIyEEEENS9_16discard_iteratorINS9_11use_defaultEEEyNS9_4plusIvEEyEEDaPvRmT3_T4_T5_mT6_P12ihipStream_tbENKUlT_T0_E_clISt17integral_constantIbLb1EESX_EEDaSS_ST_EUlSS_E_NS1_11comp_targetILNS1_3genE10ELNS1_11target_archE1200ELNS1_3gpuE4ELNS1_3repE0EEENS1_30default_config_static_selectorELNS0_4arch9wavefront6targetE1EEEvT1_,"axG",@progbits,_ZN7rocprim17ROCPRIM_400000_NS6detail17trampoline_kernelINS0_14default_configENS1_20scan_config_selectorIyEEZZNS1_9scan_implILNS1_25lookback_scan_determinismE0ELb1ELb1ES3_N6thrust23THRUST_200600_302600_NS6detail15normal_iteratorINS9_10device_ptrIyEEEENS9_16discard_iteratorINS9_11use_defaultEEEyNS9_4plusIvEEyEEDaPvRmT3_T4_T5_mT6_P12ihipStream_tbENKUlT_T0_E_clISt17integral_constantIbLb1EESX_EEDaSS_ST_EUlSS_E_NS1_11comp_targetILNS1_3genE10ELNS1_11target_archE1200ELNS1_3gpuE4ELNS1_3repE0EEENS1_30default_config_static_selectorELNS0_4arch9wavefront6targetE1EEEvT1_,comdat
	.protected	_ZN7rocprim17ROCPRIM_400000_NS6detail17trampoline_kernelINS0_14default_configENS1_20scan_config_selectorIyEEZZNS1_9scan_implILNS1_25lookback_scan_determinismE0ELb1ELb1ES3_N6thrust23THRUST_200600_302600_NS6detail15normal_iteratorINS9_10device_ptrIyEEEENS9_16discard_iteratorINS9_11use_defaultEEEyNS9_4plusIvEEyEEDaPvRmT3_T4_T5_mT6_P12ihipStream_tbENKUlT_T0_E_clISt17integral_constantIbLb1EESX_EEDaSS_ST_EUlSS_E_NS1_11comp_targetILNS1_3genE10ELNS1_11target_archE1200ELNS1_3gpuE4ELNS1_3repE0EEENS1_30default_config_static_selectorELNS0_4arch9wavefront6targetE1EEEvT1_ ; -- Begin function _ZN7rocprim17ROCPRIM_400000_NS6detail17trampoline_kernelINS0_14default_configENS1_20scan_config_selectorIyEEZZNS1_9scan_implILNS1_25lookback_scan_determinismE0ELb1ELb1ES3_N6thrust23THRUST_200600_302600_NS6detail15normal_iteratorINS9_10device_ptrIyEEEENS9_16discard_iteratorINS9_11use_defaultEEEyNS9_4plusIvEEyEEDaPvRmT3_T4_T5_mT6_P12ihipStream_tbENKUlT_T0_E_clISt17integral_constantIbLb1EESX_EEDaSS_ST_EUlSS_E_NS1_11comp_targetILNS1_3genE10ELNS1_11target_archE1200ELNS1_3gpuE4ELNS1_3repE0EEENS1_30default_config_static_selectorELNS0_4arch9wavefront6targetE1EEEvT1_
	.globl	_ZN7rocprim17ROCPRIM_400000_NS6detail17trampoline_kernelINS0_14default_configENS1_20scan_config_selectorIyEEZZNS1_9scan_implILNS1_25lookback_scan_determinismE0ELb1ELb1ES3_N6thrust23THRUST_200600_302600_NS6detail15normal_iteratorINS9_10device_ptrIyEEEENS9_16discard_iteratorINS9_11use_defaultEEEyNS9_4plusIvEEyEEDaPvRmT3_T4_T5_mT6_P12ihipStream_tbENKUlT_T0_E_clISt17integral_constantIbLb1EESX_EEDaSS_ST_EUlSS_E_NS1_11comp_targetILNS1_3genE10ELNS1_11target_archE1200ELNS1_3gpuE4ELNS1_3repE0EEENS1_30default_config_static_selectorELNS0_4arch9wavefront6targetE1EEEvT1_
	.p2align	8
	.type	_ZN7rocprim17ROCPRIM_400000_NS6detail17trampoline_kernelINS0_14default_configENS1_20scan_config_selectorIyEEZZNS1_9scan_implILNS1_25lookback_scan_determinismE0ELb1ELb1ES3_N6thrust23THRUST_200600_302600_NS6detail15normal_iteratorINS9_10device_ptrIyEEEENS9_16discard_iteratorINS9_11use_defaultEEEyNS9_4plusIvEEyEEDaPvRmT3_T4_T5_mT6_P12ihipStream_tbENKUlT_T0_E_clISt17integral_constantIbLb1EESX_EEDaSS_ST_EUlSS_E_NS1_11comp_targetILNS1_3genE10ELNS1_11target_archE1200ELNS1_3gpuE4ELNS1_3repE0EEENS1_30default_config_static_selectorELNS0_4arch9wavefront6targetE1EEEvT1_,@function
_ZN7rocprim17ROCPRIM_400000_NS6detail17trampoline_kernelINS0_14default_configENS1_20scan_config_selectorIyEEZZNS1_9scan_implILNS1_25lookback_scan_determinismE0ELb1ELb1ES3_N6thrust23THRUST_200600_302600_NS6detail15normal_iteratorINS9_10device_ptrIyEEEENS9_16discard_iteratorINS9_11use_defaultEEEyNS9_4plusIvEEyEEDaPvRmT3_T4_T5_mT6_P12ihipStream_tbENKUlT_T0_E_clISt17integral_constantIbLb1EESX_EEDaSS_ST_EUlSS_E_NS1_11comp_targetILNS1_3genE10ELNS1_11target_archE1200ELNS1_3gpuE4ELNS1_3repE0EEENS1_30default_config_static_selectorELNS0_4arch9wavefront6targetE1EEEvT1_: ; @_ZN7rocprim17ROCPRIM_400000_NS6detail17trampoline_kernelINS0_14default_configENS1_20scan_config_selectorIyEEZZNS1_9scan_implILNS1_25lookback_scan_determinismE0ELb1ELb1ES3_N6thrust23THRUST_200600_302600_NS6detail15normal_iteratorINS9_10device_ptrIyEEEENS9_16discard_iteratorINS9_11use_defaultEEEyNS9_4plusIvEEyEEDaPvRmT3_T4_T5_mT6_P12ihipStream_tbENKUlT_T0_E_clISt17integral_constantIbLb1EESX_EEDaSS_ST_EUlSS_E_NS1_11comp_targetILNS1_3genE10ELNS1_11target_archE1200ELNS1_3gpuE4ELNS1_3repE0EEENS1_30default_config_static_selectorELNS0_4arch9wavefront6targetE1EEEvT1_
; %bb.0:
	.section	.rodata,"a",@progbits
	.p2align	6, 0x0
	.amdhsa_kernel _ZN7rocprim17ROCPRIM_400000_NS6detail17trampoline_kernelINS0_14default_configENS1_20scan_config_selectorIyEEZZNS1_9scan_implILNS1_25lookback_scan_determinismE0ELb1ELb1ES3_N6thrust23THRUST_200600_302600_NS6detail15normal_iteratorINS9_10device_ptrIyEEEENS9_16discard_iteratorINS9_11use_defaultEEEyNS9_4plusIvEEyEEDaPvRmT3_T4_T5_mT6_P12ihipStream_tbENKUlT_T0_E_clISt17integral_constantIbLb1EESX_EEDaSS_ST_EUlSS_E_NS1_11comp_targetILNS1_3genE10ELNS1_11target_archE1200ELNS1_3gpuE4ELNS1_3repE0EEENS1_30default_config_static_selectorELNS0_4arch9wavefront6targetE1EEEvT1_
		.amdhsa_group_segment_fixed_size 0
		.amdhsa_private_segment_fixed_size 0
		.amdhsa_kernarg_size 112
		.amdhsa_user_sgpr_count 6
		.amdhsa_user_sgpr_private_segment_buffer 1
		.amdhsa_user_sgpr_dispatch_ptr 0
		.amdhsa_user_sgpr_queue_ptr 0
		.amdhsa_user_sgpr_kernarg_segment_ptr 1
		.amdhsa_user_sgpr_dispatch_id 0
		.amdhsa_user_sgpr_flat_scratch_init 0
		.amdhsa_user_sgpr_kernarg_preload_length 0
		.amdhsa_user_sgpr_kernarg_preload_offset 0
		.amdhsa_user_sgpr_private_segment_size 0
		.amdhsa_uses_dynamic_stack 0
		.amdhsa_system_sgpr_private_segment_wavefront_offset 0
		.amdhsa_system_sgpr_workgroup_id_x 1
		.amdhsa_system_sgpr_workgroup_id_y 0
		.amdhsa_system_sgpr_workgroup_id_z 0
		.amdhsa_system_sgpr_workgroup_info 0
		.amdhsa_system_vgpr_workitem_id 0
		.amdhsa_next_free_vgpr 1
		.amdhsa_next_free_sgpr 0
		.amdhsa_accum_offset 4
		.amdhsa_reserve_vcc 0
		.amdhsa_reserve_flat_scratch 0
		.amdhsa_float_round_mode_32 0
		.amdhsa_float_round_mode_16_64 0
		.amdhsa_float_denorm_mode_32 3
		.amdhsa_float_denorm_mode_16_64 3
		.amdhsa_dx10_clamp 1
		.amdhsa_ieee_mode 1
		.amdhsa_fp16_overflow 0
		.amdhsa_tg_split 0
		.amdhsa_exception_fp_ieee_invalid_op 0
		.amdhsa_exception_fp_denorm_src 0
		.amdhsa_exception_fp_ieee_div_zero 0
		.amdhsa_exception_fp_ieee_overflow 0
		.amdhsa_exception_fp_ieee_underflow 0
		.amdhsa_exception_fp_ieee_inexact 0
		.amdhsa_exception_int_div_zero 0
	.end_amdhsa_kernel
	.section	.text._ZN7rocprim17ROCPRIM_400000_NS6detail17trampoline_kernelINS0_14default_configENS1_20scan_config_selectorIyEEZZNS1_9scan_implILNS1_25lookback_scan_determinismE0ELb1ELb1ES3_N6thrust23THRUST_200600_302600_NS6detail15normal_iteratorINS9_10device_ptrIyEEEENS9_16discard_iteratorINS9_11use_defaultEEEyNS9_4plusIvEEyEEDaPvRmT3_T4_T5_mT6_P12ihipStream_tbENKUlT_T0_E_clISt17integral_constantIbLb1EESX_EEDaSS_ST_EUlSS_E_NS1_11comp_targetILNS1_3genE10ELNS1_11target_archE1200ELNS1_3gpuE4ELNS1_3repE0EEENS1_30default_config_static_selectorELNS0_4arch9wavefront6targetE1EEEvT1_,"axG",@progbits,_ZN7rocprim17ROCPRIM_400000_NS6detail17trampoline_kernelINS0_14default_configENS1_20scan_config_selectorIyEEZZNS1_9scan_implILNS1_25lookback_scan_determinismE0ELb1ELb1ES3_N6thrust23THRUST_200600_302600_NS6detail15normal_iteratorINS9_10device_ptrIyEEEENS9_16discard_iteratorINS9_11use_defaultEEEyNS9_4plusIvEEyEEDaPvRmT3_T4_T5_mT6_P12ihipStream_tbENKUlT_T0_E_clISt17integral_constantIbLb1EESX_EEDaSS_ST_EUlSS_E_NS1_11comp_targetILNS1_3genE10ELNS1_11target_archE1200ELNS1_3gpuE4ELNS1_3repE0EEENS1_30default_config_static_selectorELNS0_4arch9wavefront6targetE1EEEvT1_,comdat
.Lfunc_end5246:
	.size	_ZN7rocprim17ROCPRIM_400000_NS6detail17trampoline_kernelINS0_14default_configENS1_20scan_config_selectorIyEEZZNS1_9scan_implILNS1_25lookback_scan_determinismE0ELb1ELb1ES3_N6thrust23THRUST_200600_302600_NS6detail15normal_iteratorINS9_10device_ptrIyEEEENS9_16discard_iteratorINS9_11use_defaultEEEyNS9_4plusIvEEyEEDaPvRmT3_T4_T5_mT6_P12ihipStream_tbENKUlT_T0_E_clISt17integral_constantIbLb1EESX_EEDaSS_ST_EUlSS_E_NS1_11comp_targetILNS1_3genE10ELNS1_11target_archE1200ELNS1_3gpuE4ELNS1_3repE0EEENS1_30default_config_static_selectorELNS0_4arch9wavefront6targetE1EEEvT1_, .Lfunc_end5246-_ZN7rocprim17ROCPRIM_400000_NS6detail17trampoline_kernelINS0_14default_configENS1_20scan_config_selectorIyEEZZNS1_9scan_implILNS1_25lookback_scan_determinismE0ELb1ELb1ES3_N6thrust23THRUST_200600_302600_NS6detail15normal_iteratorINS9_10device_ptrIyEEEENS9_16discard_iteratorINS9_11use_defaultEEEyNS9_4plusIvEEyEEDaPvRmT3_T4_T5_mT6_P12ihipStream_tbENKUlT_T0_E_clISt17integral_constantIbLb1EESX_EEDaSS_ST_EUlSS_E_NS1_11comp_targetILNS1_3genE10ELNS1_11target_archE1200ELNS1_3gpuE4ELNS1_3repE0EEENS1_30default_config_static_selectorELNS0_4arch9wavefront6targetE1EEEvT1_
                                        ; -- End function
	.section	.AMDGPU.csdata,"",@progbits
; Kernel info:
; codeLenInByte = 0
; NumSgprs: 4
; NumVgprs: 0
; NumAgprs: 0
; TotalNumVgprs: 0
; ScratchSize: 0
; MemoryBound: 0
; FloatMode: 240
; IeeeMode: 1
; LDSByteSize: 0 bytes/workgroup (compile time only)
; SGPRBlocks: 0
; VGPRBlocks: 0
; NumSGPRsForWavesPerEU: 4
; NumVGPRsForWavesPerEU: 1
; AccumOffset: 4
; Occupancy: 8
; WaveLimiterHint : 0
; COMPUTE_PGM_RSRC2:SCRATCH_EN: 0
; COMPUTE_PGM_RSRC2:USER_SGPR: 6
; COMPUTE_PGM_RSRC2:TRAP_HANDLER: 0
; COMPUTE_PGM_RSRC2:TGID_X_EN: 1
; COMPUTE_PGM_RSRC2:TGID_Y_EN: 0
; COMPUTE_PGM_RSRC2:TGID_Z_EN: 0
; COMPUTE_PGM_RSRC2:TIDIG_COMP_CNT: 0
; COMPUTE_PGM_RSRC3_GFX90A:ACCUM_OFFSET: 0
; COMPUTE_PGM_RSRC3_GFX90A:TG_SPLIT: 0
	.section	.text._ZN7rocprim17ROCPRIM_400000_NS6detail17trampoline_kernelINS0_14default_configENS1_20scan_config_selectorIyEEZZNS1_9scan_implILNS1_25lookback_scan_determinismE0ELb1ELb1ES3_N6thrust23THRUST_200600_302600_NS6detail15normal_iteratorINS9_10device_ptrIyEEEENS9_16discard_iteratorINS9_11use_defaultEEEyNS9_4plusIvEEyEEDaPvRmT3_T4_T5_mT6_P12ihipStream_tbENKUlT_T0_E_clISt17integral_constantIbLb1EESX_EEDaSS_ST_EUlSS_E_NS1_11comp_targetILNS1_3genE9ELNS1_11target_archE1100ELNS1_3gpuE3ELNS1_3repE0EEENS1_30default_config_static_selectorELNS0_4arch9wavefront6targetE1EEEvT1_,"axG",@progbits,_ZN7rocprim17ROCPRIM_400000_NS6detail17trampoline_kernelINS0_14default_configENS1_20scan_config_selectorIyEEZZNS1_9scan_implILNS1_25lookback_scan_determinismE0ELb1ELb1ES3_N6thrust23THRUST_200600_302600_NS6detail15normal_iteratorINS9_10device_ptrIyEEEENS9_16discard_iteratorINS9_11use_defaultEEEyNS9_4plusIvEEyEEDaPvRmT3_T4_T5_mT6_P12ihipStream_tbENKUlT_T0_E_clISt17integral_constantIbLb1EESX_EEDaSS_ST_EUlSS_E_NS1_11comp_targetILNS1_3genE9ELNS1_11target_archE1100ELNS1_3gpuE3ELNS1_3repE0EEENS1_30default_config_static_selectorELNS0_4arch9wavefront6targetE1EEEvT1_,comdat
	.protected	_ZN7rocprim17ROCPRIM_400000_NS6detail17trampoline_kernelINS0_14default_configENS1_20scan_config_selectorIyEEZZNS1_9scan_implILNS1_25lookback_scan_determinismE0ELb1ELb1ES3_N6thrust23THRUST_200600_302600_NS6detail15normal_iteratorINS9_10device_ptrIyEEEENS9_16discard_iteratorINS9_11use_defaultEEEyNS9_4plusIvEEyEEDaPvRmT3_T4_T5_mT6_P12ihipStream_tbENKUlT_T0_E_clISt17integral_constantIbLb1EESX_EEDaSS_ST_EUlSS_E_NS1_11comp_targetILNS1_3genE9ELNS1_11target_archE1100ELNS1_3gpuE3ELNS1_3repE0EEENS1_30default_config_static_selectorELNS0_4arch9wavefront6targetE1EEEvT1_ ; -- Begin function _ZN7rocprim17ROCPRIM_400000_NS6detail17trampoline_kernelINS0_14default_configENS1_20scan_config_selectorIyEEZZNS1_9scan_implILNS1_25lookback_scan_determinismE0ELb1ELb1ES3_N6thrust23THRUST_200600_302600_NS6detail15normal_iteratorINS9_10device_ptrIyEEEENS9_16discard_iteratorINS9_11use_defaultEEEyNS9_4plusIvEEyEEDaPvRmT3_T4_T5_mT6_P12ihipStream_tbENKUlT_T0_E_clISt17integral_constantIbLb1EESX_EEDaSS_ST_EUlSS_E_NS1_11comp_targetILNS1_3genE9ELNS1_11target_archE1100ELNS1_3gpuE3ELNS1_3repE0EEENS1_30default_config_static_selectorELNS0_4arch9wavefront6targetE1EEEvT1_
	.globl	_ZN7rocprim17ROCPRIM_400000_NS6detail17trampoline_kernelINS0_14default_configENS1_20scan_config_selectorIyEEZZNS1_9scan_implILNS1_25lookback_scan_determinismE0ELb1ELb1ES3_N6thrust23THRUST_200600_302600_NS6detail15normal_iteratorINS9_10device_ptrIyEEEENS9_16discard_iteratorINS9_11use_defaultEEEyNS9_4plusIvEEyEEDaPvRmT3_T4_T5_mT6_P12ihipStream_tbENKUlT_T0_E_clISt17integral_constantIbLb1EESX_EEDaSS_ST_EUlSS_E_NS1_11comp_targetILNS1_3genE9ELNS1_11target_archE1100ELNS1_3gpuE3ELNS1_3repE0EEENS1_30default_config_static_selectorELNS0_4arch9wavefront6targetE1EEEvT1_
	.p2align	8
	.type	_ZN7rocprim17ROCPRIM_400000_NS6detail17trampoline_kernelINS0_14default_configENS1_20scan_config_selectorIyEEZZNS1_9scan_implILNS1_25lookback_scan_determinismE0ELb1ELb1ES3_N6thrust23THRUST_200600_302600_NS6detail15normal_iteratorINS9_10device_ptrIyEEEENS9_16discard_iteratorINS9_11use_defaultEEEyNS9_4plusIvEEyEEDaPvRmT3_T4_T5_mT6_P12ihipStream_tbENKUlT_T0_E_clISt17integral_constantIbLb1EESX_EEDaSS_ST_EUlSS_E_NS1_11comp_targetILNS1_3genE9ELNS1_11target_archE1100ELNS1_3gpuE3ELNS1_3repE0EEENS1_30default_config_static_selectorELNS0_4arch9wavefront6targetE1EEEvT1_,@function
_ZN7rocprim17ROCPRIM_400000_NS6detail17trampoline_kernelINS0_14default_configENS1_20scan_config_selectorIyEEZZNS1_9scan_implILNS1_25lookback_scan_determinismE0ELb1ELb1ES3_N6thrust23THRUST_200600_302600_NS6detail15normal_iteratorINS9_10device_ptrIyEEEENS9_16discard_iteratorINS9_11use_defaultEEEyNS9_4plusIvEEyEEDaPvRmT3_T4_T5_mT6_P12ihipStream_tbENKUlT_T0_E_clISt17integral_constantIbLb1EESX_EEDaSS_ST_EUlSS_E_NS1_11comp_targetILNS1_3genE9ELNS1_11target_archE1100ELNS1_3gpuE3ELNS1_3repE0EEENS1_30default_config_static_selectorELNS0_4arch9wavefront6targetE1EEEvT1_: ; @_ZN7rocprim17ROCPRIM_400000_NS6detail17trampoline_kernelINS0_14default_configENS1_20scan_config_selectorIyEEZZNS1_9scan_implILNS1_25lookback_scan_determinismE0ELb1ELb1ES3_N6thrust23THRUST_200600_302600_NS6detail15normal_iteratorINS9_10device_ptrIyEEEENS9_16discard_iteratorINS9_11use_defaultEEEyNS9_4plusIvEEyEEDaPvRmT3_T4_T5_mT6_P12ihipStream_tbENKUlT_T0_E_clISt17integral_constantIbLb1EESX_EEDaSS_ST_EUlSS_E_NS1_11comp_targetILNS1_3genE9ELNS1_11target_archE1100ELNS1_3gpuE3ELNS1_3repE0EEENS1_30default_config_static_selectorELNS0_4arch9wavefront6targetE1EEEvT1_
; %bb.0:
	.section	.rodata,"a",@progbits
	.p2align	6, 0x0
	.amdhsa_kernel _ZN7rocprim17ROCPRIM_400000_NS6detail17trampoline_kernelINS0_14default_configENS1_20scan_config_selectorIyEEZZNS1_9scan_implILNS1_25lookback_scan_determinismE0ELb1ELb1ES3_N6thrust23THRUST_200600_302600_NS6detail15normal_iteratorINS9_10device_ptrIyEEEENS9_16discard_iteratorINS9_11use_defaultEEEyNS9_4plusIvEEyEEDaPvRmT3_T4_T5_mT6_P12ihipStream_tbENKUlT_T0_E_clISt17integral_constantIbLb1EESX_EEDaSS_ST_EUlSS_E_NS1_11comp_targetILNS1_3genE9ELNS1_11target_archE1100ELNS1_3gpuE3ELNS1_3repE0EEENS1_30default_config_static_selectorELNS0_4arch9wavefront6targetE1EEEvT1_
		.amdhsa_group_segment_fixed_size 0
		.amdhsa_private_segment_fixed_size 0
		.amdhsa_kernarg_size 112
		.amdhsa_user_sgpr_count 6
		.amdhsa_user_sgpr_private_segment_buffer 1
		.amdhsa_user_sgpr_dispatch_ptr 0
		.amdhsa_user_sgpr_queue_ptr 0
		.amdhsa_user_sgpr_kernarg_segment_ptr 1
		.amdhsa_user_sgpr_dispatch_id 0
		.amdhsa_user_sgpr_flat_scratch_init 0
		.amdhsa_user_sgpr_kernarg_preload_length 0
		.amdhsa_user_sgpr_kernarg_preload_offset 0
		.amdhsa_user_sgpr_private_segment_size 0
		.amdhsa_uses_dynamic_stack 0
		.amdhsa_system_sgpr_private_segment_wavefront_offset 0
		.amdhsa_system_sgpr_workgroup_id_x 1
		.amdhsa_system_sgpr_workgroup_id_y 0
		.amdhsa_system_sgpr_workgroup_id_z 0
		.amdhsa_system_sgpr_workgroup_info 0
		.amdhsa_system_vgpr_workitem_id 0
		.amdhsa_next_free_vgpr 1
		.amdhsa_next_free_sgpr 0
		.amdhsa_accum_offset 4
		.amdhsa_reserve_vcc 0
		.amdhsa_reserve_flat_scratch 0
		.amdhsa_float_round_mode_32 0
		.amdhsa_float_round_mode_16_64 0
		.amdhsa_float_denorm_mode_32 3
		.amdhsa_float_denorm_mode_16_64 3
		.amdhsa_dx10_clamp 1
		.amdhsa_ieee_mode 1
		.amdhsa_fp16_overflow 0
		.amdhsa_tg_split 0
		.amdhsa_exception_fp_ieee_invalid_op 0
		.amdhsa_exception_fp_denorm_src 0
		.amdhsa_exception_fp_ieee_div_zero 0
		.amdhsa_exception_fp_ieee_overflow 0
		.amdhsa_exception_fp_ieee_underflow 0
		.amdhsa_exception_fp_ieee_inexact 0
		.amdhsa_exception_int_div_zero 0
	.end_amdhsa_kernel
	.section	.text._ZN7rocprim17ROCPRIM_400000_NS6detail17trampoline_kernelINS0_14default_configENS1_20scan_config_selectorIyEEZZNS1_9scan_implILNS1_25lookback_scan_determinismE0ELb1ELb1ES3_N6thrust23THRUST_200600_302600_NS6detail15normal_iteratorINS9_10device_ptrIyEEEENS9_16discard_iteratorINS9_11use_defaultEEEyNS9_4plusIvEEyEEDaPvRmT3_T4_T5_mT6_P12ihipStream_tbENKUlT_T0_E_clISt17integral_constantIbLb1EESX_EEDaSS_ST_EUlSS_E_NS1_11comp_targetILNS1_3genE9ELNS1_11target_archE1100ELNS1_3gpuE3ELNS1_3repE0EEENS1_30default_config_static_selectorELNS0_4arch9wavefront6targetE1EEEvT1_,"axG",@progbits,_ZN7rocprim17ROCPRIM_400000_NS6detail17trampoline_kernelINS0_14default_configENS1_20scan_config_selectorIyEEZZNS1_9scan_implILNS1_25lookback_scan_determinismE0ELb1ELb1ES3_N6thrust23THRUST_200600_302600_NS6detail15normal_iteratorINS9_10device_ptrIyEEEENS9_16discard_iteratorINS9_11use_defaultEEEyNS9_4plusIvEEyEEDaPvRmT3_T4_T5_mT6_P12ihipStream_tbENKUlT_T0_E_clISt17integral_constantIbLb1EESX_EEDaSS_ST_EUlSS_E_NS1_11comp_targetILNS1_3genE9ELNS1_11target_archE1100ELNS1_3gpuE3ELNS1_3repE0EEENS1_30default_config_static_selectorELNS0_4arch9wavefront6targetE1EEEvT1_,comdat
.Lfunc_end5247:
	.size	_ZN7rocprim17ROCPRIM_400000_NS6detail17trampoline_kernelINS0_14default_configENS1_20scan_config_selectorIyEEZZNS1_9scan_implILNS1_25lookback_scan_determinismE0ELb1ELb1ES3_N6thrust23THRUST_200600_302600_NS6detail15normal_iteratorINS9_10device_ptrIyEEEENS9_16discard_iteratorINS9_11use_defaultEEEyNS9_4plusIvEEyEEDaPvRmT3_T4_T5_mT6_P12ihipStream_tbENKUlT_T0_E_clISt17integral_constantIbLb1EESX_EEDaSS_ST_EUlSS_E_NS1_11comp_targetILNS1_3genE9ELNS1_11target_archE1100ELNS1_3gpuE3ELNS1_3repE0EEENS1_30default_config_static_selectorELNS0_4arch9wavefront6targetE1EEEvT1_, .Lfunc_end5247-_ZN7rocprim17ROCPRIM_400000_NS6detail17trampoline_kernelINS0_14default_configENS1_20scan_config_selectorIyEEZZNS1_9scan_implILNS1_25lookback_scan_determinismE0ELb1ELb1ES3_N6thrust23THRUST_200600_302600_NS6detail15normal_iteratorINS9_10device_ptrIyEEEENS9_16discard_iteratorINS9_11use_defaultEEEyNS9_4plusIvEEyEEDaPvRmT3_T4_T5_mT6_P12ihipStream_tbENKUlT_T0_E_clISt17integral_constantIbLb1EESX_EEDaSS_ST_EUlSS_E_NS1_11comp_targetILNS1_3genE9ELNS1_11target_archE1100ELNS1_3gpuE3ELNS1_3repE0EEENS1_30default_config_static_selectorELNS0_4arch9wavefront6targetE1EEEvT1_
                                        ; -- End function
	.section	.AMDGPU.csdata,"",@progbits
; Kernel info:
; codeLenInByte = 0
; NumSgprs: 4
; NumVgprs: 0
; NumAgprs: 0
; TotalNumVgprs: 0
; ScratchSize: 0
; MemoryBound: 0
; FloatMode: 240
; IeeeMode: 1
; LDSByteSize: 0 bytes/workgroup (compile time only)
; SGPRBlocks: 0
; VGPRBlocks: 0
; NumSGPRsForWavesPerEU: 4
; NumVGPRsForWavesPerEU: 1
; AccumOffset: 4
; Occupancy: 8
; WaveLimiterHint : 0
; COMPUTE_PGM_RSRC2:SCRATCH_EN: 0
; COMPUTE_PGM_RSRC2:USER_SGPR: 6
; COMPUTE_PGM_RSRC2:TRAP_HANDLER: 0
; COMPUTE_PGM_RSRC2:TGID_X_EN: 1
; COMPUTE_PGM_RSRC2:TGID_Y_EN: 0
; COMPUTE_PGM_RSRC2:TGID_Z_EN: 0
; COMPUTE_PGM_RSRC2:TIDIG_COMP_CNT: 0
; COMPUTE_PGM_RSRC3_GFX90A:ACCUM_OFFSET: 0
; COMPUTE_PGM_RSRC3_GFX90A:TG_SPLIT: 0
	.section	.text._ZN7rocprim17ROCPRIM_400000_NS6detail17trampoline_kernelINS0_14default_configENS1_20scan_config_selectorIyEEZZNS1_9scan_implILNS1_25lookback_scan_determinismE0ELb1ELb1ES3_N6thrust23THRUST_200600_302600_NS6detail15normal_iteratorINS9_10device_ptrIyEEEENS9_16discard_iteratorINS9_11use_defaultEEEyNS9_4plusIvEEyEEDaPvRmT3_T4_T5_mT6_P12ihipStream_tbENKUlT_T0_E_clISt17integral_constantIbLb1EESX_EEDaSS_ST_EUlSS_E_NS1_11comp_targetILNS1_3genE8ELNS1_11target_archE1030ELNS1_3gpuE2ELNS1_3repE0EEENS1_30default_config_static_selectorELNS0_4arch9wavefront6targetE1EEEvT1_,"axG",@progbits,_ZN7rocprim17ROCPRIM_400000_NS6detail17trampoline_kernelINS0_14default_configENS1_20scan_config_selectorIyEEZZNS1_9scan_implILNS1_25lookback_scan_determinismE0ELb1ELb1ES3_N6thrust23THRUST_200600_302600_NS6detail15normal_iteratorINS9_10device_ptrIyEEEENS9_16discard_iteratorINS9_11use_defaultEEEyNS9_4plusIvEEyEEDaPvRmT3_T4_T5_mT6_P12ihipStream_tbENKUlT_T0_E_clISt17integral_constantIbLb1EESX_EEDaSS_ST_EUlSS_E_NS1_11comp_targetILNS1_3genE8ELNS1_11target_archE1030ELNS1_3gpuE2ELNS1_3repE0EEENS1_30default_config_static_selectorELNS0_4arch9wavefront6targetE1EEEvT1_,comdat
	.protected	_ZN7rocprim17ROCPRIM_400000_NS6detail17trampoline_kernelINS0_14default_configENS1_20scan_config_selectorIyEEZZNS1_9scan_implILNS1_25lookback_scan_determinismE0ELb1ELb1ES3_N6thrust23THRUST_200600_302600_NS6detail15normal_iteratorINS9_10device_ptrIyEEEENS9_16discard_iteratorINS9_11use_defaultEEEyNS9_4plusIvEEyEEDaPvRmT3_T4_T5_mT6_P12ihipStream_tbENKUlT_T0_E_clISt17integral_constantIbLb1EESX_EEDaSS_ST_EUlSS_E_NS1_11comp_targetILNS1_3genE8ELNS1_11target_archE1030ELNS1_3gpuE2ELNS1_3repE0EEENS1_30default_config_static_selectorELNS0_4arch9wavefront6targetE1EEEvT1_ ; -- Begin function _ZN7rocprim17ROCPRIM_400000_NS6detail17trampoline_kernelINS0_14default_configENS1_20scan_config_selectorIyEEZZNS1_9scan_implILNS1_25lookback_scan_determinismE0ELb1ELb1ES3_N6thrust23THRUST_200600_302600_NS6detail15normal_iteratorINS9_10device_ptrIyEEEENS9_16discard_iteratorINS9_11use_defaultEEEyNS9_4plusIvEEyEEDaPvRmT3_T4_T5_mT6_P12ihipStream_tbENKUlT_T0_E_clISt17integral_constantIbLb1EESX_EEDaSS_ST_EUlSS_E_NS1_11comp_targetILNS1_3genE8ELNS1_11target_archE1030ELNS1_3gpuE2ELNS1_3repE0EEENS1_30default_config_static_selectorELNS0_4arch9wavefront6targetE1EEEvT1_
	.globl	_ZN7rocprim17ROCPRIM_400000_NS6detail17trampoline_kernelINS0_14default_configENS1_20scan_config_selectorIyEEZZNS1_9scan_implILNS1_25lookback_scan_determinismE0ELb1ELb1ES3_N6thrust23THRUST_200600_302600_NS6detail15normal_iteratorINS9_10device_ptrIyEEEENS9_16discard_iteratorINS9_11use_defaultEEEyNS9_4plusIvEEyEEDaPvRmT3_T4_T5_mT6_P12ihipStream_tbENKUlT_T0_E_clISt17integral_constantIbLb1EESX_EEDaSS_ST_EUlSS_E_NS1_11comp_targetILNS1_3genE8ELNS1_11target_archE1030ELNS1_3gpuE2ELNS1_3repE0EEENS1_30default_config_static_selectorELNS0_4arch9wavefront6targetE1EEEvT1_
	.p2align	8
	.type	_ZN7rocprim17ROCPRIM_400000_NS6detail17trampoline_kernelINS0_14default_configENS1_20scan_config_selectorIyEEZZNS1_9scan_implILNS1_25lookback_scan_determinismE0ELb1ELb1ES3_N6thrust23THRUST_200600_302600_NS6detail15normal_iteratorINS9_10device_ptrIyEEEENS9_16discard_iteratorINS9_11use_defaultEEEyNS9_4plusIvEEyEEDaPvRmT3_T4_T5_mT6_P12ihipStream_tbENKUlT_T0_E_clISt17integral_constantIbLb1EESX_EEDaSS_ST_EUlSS_E_NS1_11comp_targetILNS1_3genE8ELNS1_11target_archE1030ELNS1_3gpuE2ELNS1_3repE0EEENS1_30default_config_static_selectorELNS0_4arch9wavefront6targetE1EEEvT1_,@function
_ZN7rocprim17ROCPRIM_400000_NS6detail17trampoline_kernelINS0_14default_configENS1_20scan_config_selectorIyEEZZNS1_9scan_implILNS1_25lookback_scan_determinismE0ELb1ELb1ES3_N6thrust23THRUST_200600_302600_NS6detail15normal_iteratorINS9_10device_ptrIyEEEENS9_16discard_iteratorINS9_11use_defaultEEEyNS9_4plusIvEEyEEDaPvRmT3_T4_T5_mT6_P12ihipStream_tbENKUlT_T0_E_clISt17integral_constantIbLb1EESX_EEDaSS_ST_EUlSS_E_NS1_11comp_targetILNS1_3genE8ELNS1_11target_archE1030ELNS1_3gpuE2ELNS1_3repE0EEENS1_30default_config_static_selectorELNS0_4arch9wavefront6targetE1EEEvT1_: ; @_ZN7rocprim17ROCPRIM_400000_NS6detail17trampoline_kernelINS0_14default_configENS1_20scan_config_selectorIyEEZZNS1_9scan_implILNS1_25lookback_scan_determinismE0ELb1ELb1ES3_N6thrust23THRUST_200600_302600_NS6detail15normal_iteratorINS9_10device_ptrIyEEEENS9_16discard_iteratorINS9_11use_defaultEEEyNS9_4plusIvEEyEEDaPvRmT3_T4_T5_mT6_P12ihipStream_tbENKUlT_T0_E_clISt17integral_constantIbLb1EESX_EEDaSS_ST_EUlSS_E_NS1_11comp_targetILNS1_3genE8ELNS1_11target_archE1030ELNS1_3gpuE2ELNS1_3repE0EEENS1_30default_config_static_selectorELNS0_4arch9wavefront6targetE1EEEvT1_
; %bb.0:
	.section	.rodata,"a",@progbits
	.p2align	6, 0x0
	.amdhsa_kernel _ZN7rocprim17ROCPRIM_400000_NS6detail17trampoline_kernelINS0_14default_configENS1_20scan_config_selectorIyEEZZNS1_9scan_implILNS1_25lookback_scan_determinismE0ELb1ELb1ES3_N6thrust23THRUST_200600_302600_NS6detail15normal_iteratorINS9_10device_ptrIyEEEENS9_16discard_iteratorINS9_11use_defaultEEEyNS9_4plusIvEEyEEDaPvRmT3_T4_T5_mT6_P12ihipStream_tbENKUlT_T0_E_clISt17integral_constantIbLb1EESX_EEDaSS_ST_EUlSS_E_NS1_11comp_targetILNS1_3genE8ELNS1_11target_archE1030ELNS1_3gpuE2ELNS1_3repE0EEENS1_30default_config_static_selectorELNS0_4arch9wavefront6targetE1EEEvT1_
		.amdhsa_group_segment_fixed_size 0
		.amdhsa_private_segment_fixed_size 0
		.amdhsa_kernarg_size 112
		.amdhsa_user_sgpr_count 6
		.amdhsa_user_sgpr_private_segment_buffer 1
		.amdhsa_user_sgpr_dispatch_ptr 0
		.amdhsa_user_sgpr_queue_ptr 0
		.amdhsa_user_sgpr_kernarg_segment_ptr 1
		.amdhsa_user_sgpr_dispatch_id 0
		.amdhsa_user_sgpr_flat_scratch_init 0
		.amdhsa_user_sgpr_kernarg_preload_length 0
		.amdhsa_user_sgpr_kernarg_preload_offset 0
		.amdhsa_user_sgpr_private_segment_size 0
		.amdhsa_uses_dynamic_stack 0
		.amdhsa_system_sgpr_private_segment_wavefront_offset 0
		.amdhsa_system_sgpr_workgroup_id_x 1
		.amdhsa_system_sgpr_workgroup_id_y 0
		.amdhsa_system_sgpr_workgroup_id_z 0
		.amdhsa_system_sgpr_workgroup_info 0
		.amdhsa_system_vgpr_workitem_id 0
		.amdhsa_next_free_vgpr 1
		.amdhsa_next_free_sgpr 0
		.amdhsa_accum_offset 4
		.amdhsa_reserve_vcc 0
		.amdhsa_reserve_flat_scratch 0
		.amdhsa_float_round_mode_32 0
		.amdhsa_float_round_mode_16_64 0
		.amdhsa_float_denorm_mode_32 3
		.amdhsa_float_denorm_mode_16_64 3
		.amdhsa_dx10_clamp 1
		.amdhsa_ieee_mode 1
		.amdhsa_fp16_overflow 0
		.amdhsa_tg_split 0
		.amdhsa_exception_fp_ieee_invalid_op 0
		.amdhsa_exception_fp_denorm_src 0
		.amdhsa_exception_fp_ieee_div_zero 0
		.amdhsa_exception_fp_ieee_overflow 0
		.amdhsa_exception_fp_ieee_underflow 0
		.amdhsa_exception_fp_ieee_inexact 0
		.amdhsa_exception_int_div_zero 0
	.end_amdhsa_kernel
	.section	.text._ZN7rocprim17ROCPRIM_400000_NS6detail17trampoline_kernelINS0_14default_configENS1_20scan_config_selectorIyEEZZNS1_9scan_implILNS1_25lookback_scan_determinismE0ELb1ELb1ES3_N6thrust23THRUST_200600_302600_NS6detail15normal_iteratorINS9_10device_ptrIyEEEENS9_16discard_iteratorINS9_11use_defaultEEEyNS9_4plusIvEEyEEDaPvRmT3_T4_T5_mT6_P12ihipStream_tbENKUlT_T0_E_clISt17integral_constantIbLb1EESX_EEDaSS_ST_EUlSS_E_NS1_11comp_targetILNS1_3genE8ELNS1_11target_archE1030ELNS1_3gpuE2ELNS1_3repE0EEENS1_30default_config_static_selectorELNS0_4arch9wavefront6targetE1EEEvT1_,"axG",@progbits,_ZN7rocprim17ROCPRIM_400000_NS6detail17trampoline_kernelINS0_14default_configENS1_20scan_config_selectorIyEEZZNS1_9scan_implILNS1_25lookback_scan_determinismE0ELb1ELb1ES3_N6thrust23THRUST_200600_302600_NS6detail15normal_iteratorINS9_10device_ptrIyEEEENS9_16discard_iteratorINS9_11use_defaultEEEyNS9_4plusIvEEyEEDaPvRmT3_T4_T5_mT6_P12ihipStream_tbENKUlT_T0_E_clISt17integral_constantIbLb1EESX_EEDaSS_ST_EUlSS_E_NS1_11comp_targetILNS1_3genE8ELNS1_11target_archE1030ELNS1_3gpuE2ELNS1_3repE0EEENS1_30default_config_static_selectorELNS0_4arch9wavefront6targetE1EEEvT1_,comdat
.Lfunc_end5248:
	.size	_ZN7rocprim17ROCPRIM_400000_NS6detail17trampoline_kernelINS0_14default_configENS1_20scan_config_selectorIyEEZZNS1_9scan_implILNS1_25lookback_scan_determinismE0ELb1ELb1ES3_N6thrust23THRUST_200600_302600_NS6detail15normal_iteratorINS9_10device_ptrIyEEEENS9_16discard_iteratorINS9_11use_defaultEEEyNS9_4plusIvEEyEEDaPvRmT3_T4_T5_mT6_P12ihipStream_tbENKUlT_T0_E_clISt17integral_constantIbLb1EESX_EEDaSS_ST_EUlSS_E_NS1_11comp_targetILNS1_3genE8ELNS1_11target_archE1030ELNS1_3gpuE2ELNS1_3repE0EEENS1_30default_config_static_selectorELNS0_4arch9wavefront6targetE1EEEvT1_, .Lfunc_end5248-_ZN7rocprim17ROCPRIM_400000_NS6detail17trampoline_kernelINS0_14default_configENS1_20scan_config_selectorIyEEZZNS1_9scan_implILNS1_25lookback_scan_determinismE0ELb1ELb1ES3_N6thrust23THRUST_200600_302600_NS6detail15normal_iteratorINS9_10device_ptrIyEEEENS9_16discard_iteratorINS9_11use_defaultEEEyNS9_4plusIvEEyEEDaPvRmT3_T4_T5_mT6_P12ihipStream_tbENKUlT_T0_E_clISt17integral_constantIbLb1EESX_EEDaSS_ST_EUlSS_E_NS1_11comp_targetILNS1_3genE8ELNS1_11target_archE1030ELNS1_3gpuE2ELNS1_3repE0EEENS1_30default_config_static_selectorELNS0_4arch9wavefront6targetE1EEEvT1_
                                        ; -- End function
	.section	.AMDGPU.csdata,"",@progbits
; Kernel info:
; codeLenInByte = 0
; NumSgprs: 4
; NumVgprs: 0
; NumAgprs: 0
; TotalNumVgprs: 0
; ScratchSize: 0
; MemoryBound: 0
; FloatMode: 240
; IeeeMode: 1
; LDSByteSize: 0 bytes/workgroup (compile time only)
; SGPRBlocks: 0
; VGPRBlocks: 0
; NumSGPRsForWavesPerEU: 4
; NumVGPRsForWavesPerEU: 1
; AccumOffset: 4
; Occupancy: 8
; WaveLimiterHint : 0
; COMPUTE_PGM_RSRC2:SCRATCH_EN: 0
; COMPUTE_PGM_RSRC2:USER_SGPR: 6
; COMPUTE_PGM_RSRC2:TRAP_HANDLER: 0
; COMPUTE_PGM_RSRC2:TGID_X_EN: 1
; COMPUTE_PGM_RSRC2:TGID_Y_EN: 0
; COMPUTE_PGM_RSRC2:TGID_Z_EN: 0
; COMPUTE_PGM_RSRC2:TIDIG_COMP_CNT: 0
; COMPUTE_PGM_RSRC3_GFX90A:ACCUM_OFFSET: 0
; COMPUTE_PGM_RSRC3_GFX90A:TG_SPLIT: 0
	.section	.text._ZN7rocprim17ROCPRIM_400000_NS6detail17trampoline_kernelINS0_14default_configENS1_20scan_config_selectorIyEEZZNS1_9scan_implILNS1_25lookback_scan_determinismE0ELb1ELb1ES3_N6thrust23THRUST_200600_302600_NS6detail15normal_iteratorINS9_10device_ptrIyEEEENS9_16discard_iteratorINS9_11use_defaultEEEyNS9_4plusIvEEyEEDaPvRmT3_T4_T5_mT6_P12ihipStream_tbENKUlT_T0_E_clISt17integral_constantIbLb1EESX_EEDaSS_ST_EUlSS_E0_NS1_11comp_targetILNS1_3genE0ELNS1_11target_archE4294967295ELNS1_3gpuE0ELNS1_3repE0EEENS1_30default_config_static_selectorELNS0_4arch9wavefront6targetE1EEEvT1_,"axG",@progbits,_ZN7rocprim17ROCPRIM_400000_NS6detail17trampoline_kernelINS0_14default_configENS1_20scan_config_selectorIyEEZZNS1_9scan_implILNS1_25lookback_scan_determinismE0ELb1ELb1ES3_N6thrust23THRUST_200600_302600_NS6detail15normal_iteratorINS9_10device_ptrIyEEEENS9_16discard_iteratorINS9_11use_defaultEEEyNS9_4plusIvEEyEEDaPvRmT3_T4_T5_mT6_P12ihipStream_tbENKUlT_T0_E_clISt17integral_constantIbLb1EESX_EEDaSS_ST_EUlSS_E0_NS1_11comp_targetILNS1_3genE0ELNS1_11target_archE4294967295ELNS1_3gpuE0ELNS1_3repE0EEENS1_30default_config_static_selectorELNS0_4arch9wavefront6targetE1EEEvT1_,comdat
	.protected	_ZN7rocprim17ROCPRIM_400000_NS6detail17trampoline_kernelINS0_14default_configENS1_20scan_config_selectorIyEEZZNS1_9scan_implILNS1_25lookback_scan_determinismE0ELb1ELb1ES3_N6thrust23THRUST_200600_302600_NS6detail15normal_iteratorINS9_10device_ptrIyEEEENS9_16discard_iteratorINS9_11use_defaultEEEyNS9_4plusIvEEyEEDaPvRmT3_T4_T5_mT6_P12ihipStream_tbENKUlT_T0_E_clISt17integral_constantIbLb1EESX_EEDaSS_ST_EUlSS_E0_NS1_11comp_targetILNS1_3genE0ELNS1_11target_archE4294967295ELNS1_3gpuE0ELNS1_3repE0EEENS1_30default_config_static_selectorELNS0_4arch9wavefront6targetE1EEEvT1_ ; -- Begin function _ZN7rocprim17ROCPRIM_400000_NS6detail17trampoline_kernelINS0_14default_configENS1_20scan_config_selectorIyEEZZNS1_9scan_implILNS1_25lookback_scan_determinismE0ELb1ELb1ES3_N6thrust23THRUST_200600_302600_NS6detail15normal_iteratorINS9_10device_ptrIyEEEENS9_16discard_iteratorINS9_11use_defaultEEEyNS9_4plusIvEEyEEDaPvRmT3_T4_T5_mT6_P12ihipStream_tbENKUlT_T0_E_clISt17integral_constantIbLb1EESX_EEDaSS_ST_EUlSS_E0_NS1_11comp_targetILNS1_3genE0ELNS1_11target_archE4294967295ELNS1_3gpuE0ELNS1_3repE0EEENS1_30default_config_static_selectorELNS0_4arch9wavefront6targetE1EEEvT1_
	.globl	_ZN7rocprim17ROCPRIM_400000_NS6detail17trampoline_kernelINS0_14default_configENS1_20scan_config_selectorIyEEZZNS1_9scan_implILNS1_25lookback_scan_determinismE0ELb1ELb1ES3_N6thrust23THRUST_200600_302600_NS6detail15normal_iteratorINS9_10device_ptrIyEEEENS9_16discard_iteratorINS9_11use_defaultEEEyNS9_4plusIvEEyEEDaPvRmT3_T4_T5_mT6_P12ihipStream_tbENKUlT_T0_E_clISt17integral_constantIbLb1EESX_EEDaSS_ST_EUlSS_E0_NS1_11comp_targetILNS1_3genE0ELNS1_11target_archE4294967295ELNS1_3gpuE0ELNS1_3repE0EEENS1_30default_config_static_selectorELNS0_4arch9wavefront6targetE1EEEvT1_
	.p2align	8
	.type	_ZN7rocprim17ROCPRIM_400000_NS6detail17trampoline_kernelINS0_14default_configENS1_20scan_config_selectorIyEEZZNS1_9scan_implILNS1_25lookback_scan_determinismE0ELb1ELb1ES3_N6thrust23THRUST_200600_302600_NS6detail15normal_iteratorINS9_10device_ptrIyEEEENS9_16discard_iteratorINS9_11use_defaultEEEyNS9_4plusIvEEyEEDaPvRmT3_T4_T5_mT6_P12ihipStream_tbENKUlT_T0_E_clISt17integral_constantIbLb1EESX_EEDaSS_ST_EUlSS_E0_NS1_11comp_targetILNS1_3genE0ELNS1_11target_archE4294967295ELNS1_3gpuE0ELNS1_3repE0EEENS1_30default_config_static_selectorELNS0_4arch9wavefront6targetE1EEEvT1_,@function
_ZN7rocprim17ROCPRIM_400000_NS6detail17trampoline_kernelINS0_14default_configENS1_20scan_config_selectorIyEEZZNS1_9scan_implILNS1_25lookback_scan_determinismE0ELb1ELb1ES3_N6thrust23THRUST_200600_302600_NS6detail15normal_iteratorINS9_10device_ptrIyEEEENS9_16discard_iteratorINS9_11use_defaultEEEyNS9_4plusIvEEyEEDaPvRmT3_T4_T5_mT6_P12ihipStream_tbENKUlT_T0_E_clISt17integral_constantIbLb1EESX_EEDaSS_ST_EUlSS_E0_NS1_11comp_targetILNS1_3genE0ELNS1_11target_archE4294967295ELNS1_3gpuE0ELNS1_3repE0EEENS1_30default_config_static_selectorELNS0_4arch9wavefront6targetE1EEEvT1_: ; @_ZN7rocprim17ROCPRIM_400000_NS6detail17trampoline_kernelINS0_14default_configENS1_20scan_config_selectorIyEEZZNS1_9scan_implILNS1_25lookback_scan_determinismE0ELb1ELb1ES3_N6thrust23THRUST_200600_302600_NS6detail15normal_iteratorINS9_10device_ptrIyEEEENS9_16discard_iteratorINS9_11use_defaultEEEyNS9_4plusIvEEyEEDaPvRmT3_T4_T5_mT6_P12ihipStream_tbENKUlT_T0_E_clISt17integral_constantIbLb1EESX_EEDaSS_ST_EUlSS_E0_NS1_11comp_targetILNS1_3genE0ELNS1_11target_archE4294967295ELNS1_3gpuE0ELNS1_3repE0EEENS1_30default_config_static_selectorELNS0_4arch9wavefront6targetE1EEEvT1_
; %bb.0:
	.section	.rodata,"a",@progbits
	.p2align	6, 0x0
	.amdhsa_kernel _ZN7rocprim17ROCPRIM_400000_NS6detail17trampoline_kernelINS0_14default_configENS1_20scan_config_selectorIyEEZZNS1_9scan_implILNS1_25lookback_scan_determinismE0ELb1ELb1ES3_N6thrust23THRUST_200600_302600_NS6detail15normal_iteratorINS9_10device_ptrIyEEEENS9_16discard_iteratorINS9_11use_defaultEEEyNS9_4plusIvEEyEEDaPvRmT3_T4_T5_mT6_P12ihipStream_tbENKUlT_T0_E_clISt17integral_constantIbLb1EESX_EEDaSS_ST_EUlSS_E0_NS1_11comp_targetILNS1_3genE0ELNS1_11target_archE4294967295ELNS1_3gpuE0ELNS1_3repE0EEENS1_30default_config_static_selectorELNS0_4arch9wavefront6targetE1EEEvT1_
		.amdhsa_group_segment_fixed_size 0
		.amdhsa_private_segment_fixed_size 0
		.amdhsa_kernarg_size 48
		.amdhsa_user_sgpr_count 6
		.amdhsa_user_sgpr_private_segment_buffer 1
		.amdhsa_user_sgpr_dispatch_ptr 0
		.amdhsa_user_sgpr_queue_ptr 0
		.amdhsa_user_sgpr_kernarg_segment_ptr 1
		.amdhsa_user_sgpr_dispatch_id 0
		.amdhsa_user_sgpr_flat_scratch_init 0
		.amdhsa_user_sgpr_kernarg_preload_length 0
		.amdhsa_user_sgpr_kernarg_preload_offset 0
		.amdhsa_user_sgpr_private_segment_size 0
		.amdhsa_uses_dynamic_stack 0
		.amdhsa_system_sgpr_private_segment_wavefront_offset 0
		.amdhsa_system_sgpr_workgroup_id_x 1
		.amdhsa_system_sgpr_workgroup_id_y 0
		.amdhsa_system_sgpr_workgroup_id_z 0
		.amdhsa_system_sgpr_workgroup_info 0
		.amdhsa_system_vgpr_workitem_id 0
		.amdhsa_next_free_vgpr 1
		.amdhsa_next_free_sgpr 0
		.amdhsa_accum_offset 4
		.amdhsa_reserve_vcc 0
		.amdhsa_reserve_flat_scratch 0
		.amdhsa_float_round_mode_32 0
		.amdhsa_float_round_mode_16_64 0
		.amdhsa_float_denorm_mode_32 3
		.amdhsa_float_denorm_mode_16_64 3
		.amdhsa_dx10_clamp 1
		.amdhsa_ieee_mode 1
		.amdhsa_fp16_overflow 0
		.amdhsa_tg_split 0
		.amdhsa_exception_fp_ieee_invalid_op 0
		.amdhsa_exception_fp_denorm_src 0
		.amdhsa_exception_fp_ieee_div_zero 0
		.amdhsa_exception_fp_ieee_overflow 0
		.amdhsa_exception_fp_ieee_underflow 0
		.amdhsa_exception_fp_ieee_inexact 0
		.amdhsa_exception_int_div_zero 0
	.end_amdhsa_kernel
	.section	.text._ZN7rocprim17ROCPRIM_400000_NS6detail17trampoline_kernelINS0_14default_configENS1_20scan_config_selectorIyEEZZNS1_9scan_implILNS1_25lookback_scan_determinismE0ELb1ELb1ES3_N6thrust23THRUST_200600_302600_NS6detail15normal_iteratorINS9_10device_ptrIyEEEENS9_16discard_iteratorINS9_11use_defaultEEEyNS9_4plusIvEEyEEDaPvRmT3_T4_T5_mT6_P12ihipStream_tbENKUlT_T0_E_clISt17integral_constantIbLb1EESX_EEDaSS_ST_EUlSS_E0_NS1_11comp_targetILNS1_3genE0ELNS1_11target_archE4294967295ELNS1_3gpuE0ELNS1_3repE0EEENS1_30default_config_static_selectorELNS0_4arch9wavefront6targetE1EEEvT1_,"axG",@progbits,_ZN7rocprim17ROCPRIM_400000_NS6detail17trampoline_kernelINS0_14default_configENS1_20scan_config_selectorIyEEZZNS1_9scan_implILNS1_25lookback_scan_determinismE0ELb1ELb1ES3_N6thrust23THRUST_200600_302600_NS6detail15normal_iteratorINS9_10device_ptrIyEEEENS9_16discard_iteratorINS9_11use_defaultEEEyNS9_4plusIvEEyEEDaPvRmT3_T4_T5_mT6_P12ihipStream_tbENKUlT_T0_E_clISt17integral_constantIbLb1EESX_EEDaSS_ST_EUlSS_E0_NS1_11comp_targetILNS1_3genE0ELNS1_11target_archE4294967295ELNS1_3gpuE0ELNS1_3repE0EEENS1_30default_config_static_selectorELNS0_4arch9wavefront6targetE1EEEvT1_,comdat
.Lfunc_end5249:
	.size	_ZN7rocprim17ROCPRIM_400000_NS6detail17trampoline_kernelINS0_14default_configENS1_20scan_config_selectorIyEEZZNS1_9scan_implILNS1_25lookback_scan_determinismE0ELb1ELb1ES3_N6thrust23THRUST_200600_302600_NS6detail15normal_iteratorINS9_10device_ptrIyEEEENS9_16discard_iteratorINS9_11use_defaultEEEyNS9_4plusIvEEyEEDaPvRmT3_T4_T5_mT6_P12ihipStream_tbENKUlT_T0_E_clISt17integral_constantIbLb1EESX_EEDaSS_ST_EUlSS_E0_NS1_11comp_targetILNS1_3genE0ELNS1_11target_archE4294967295ELNS1_3gpuE0ELNS1_3repE0EEENS1_30default_config_static_selectorELNS0_4arch9wavefront6targetE1EEEvT1_, .Lfunc_end5249-_ZN7rocprim17ROCPRIM_400000_NS6detail17trampoline_kernelINS0_14default_configENS1_20scan_config_selectorIyEEZZNS1_9scan_implILNS1_25lookback_scan_determinismE0ELb1ELb1ES3_N6thrust23THRUST_200600_302600_NS6detail15normal_iteratorINS9_10device_ptrIyEEEENS9_16discard_iteratorINS9_11use_defaultEEEyNS9_4plusIvEEyEEDaPvRmT3_T4_T5_mT6_P12ihipStream_tbENKUlT_T0_E_clISt17integral_constantIbLb1EESX_EEDaSS_ST_EUlSS_E0_NS1_11comp_targetILNS1_3genE0ELNS1_11target_archE4294967295ELNS1_3gpuE0ELNS1_3repE0EEENS1_30default_config_static_selectorELNS0_4arch9wavefront6targetE1EEEvT1_
                                        ; -- End function
	.section	.AMDGPU.csdata,"",@progbits
; Kernel info:
; codeLenInByte = 0
; NumSgprs: 4
; NumVgprs: 0
; NumAgprs: 0
; TotalNumVgprs: 0
; ScratchSize: 0
; MemoryBound: 0
; FloatMode: 240
; IeeeMode: 1
; LDSByteSize: 0 bytes/workgroup (compile time only)
; SGPRBlocks: 0
; VGPRBlocks: 0
; NumSGPRsForWavesPerEU: 4
; NumVGPRsForWavesPerEU: 1
; AccumOffset: 4
; Occupancy: 8
; WaveLimiterHint : 0
; COMPUTE_PGM_RSRC2:SCRATCH_EN: 0
; COMPUTE_PGM_RSRC2:USER_SGPR: 6
; COMPUTE_PGM_RSRC2:TRAP_HANDLER: 0
; COMPUTE_PGM_RSRC2:TGID_X_EN: 1
; COMPUTE_PGM_RSRC2:TGID_Y_EN: 0
; COMPUTE_PGM_RSRC2:TGID_Z_EN: 0
; COMPUTE_PGM_RSRC2:TIDIG_COMP_CNT: 0
; COMPUTE_PGM_RSRC3_GFX90A:ACCUM_OFFSET: 0
; COMPUTE_PGM_RSRC3_GFX90A:TG_SPLIT: 0
	.section	.text._ZN7rocprim17ROCPRIM_400000_NS6detail17trampoline_kernelINS0_14default_configENS1_20scan_config_selectorIyEEZZNS1_9scan_implILNS1_25lookback_scan_determinismE0ELb1ELb1ES3_N6thrust23THRUST_200600_302600_NS6detail15normal_iteratorINS9_10device_ptrIyEEEENS9_16discard_iteratorINS9_11use_defaultEEEyNS9_4plusIvEEyEEDaPvRmT3_T4_T5_mT6_P12ihipStream_tbENKUlT_T0_E_clISt17integral_constantIbLb1EESX_EEDaSS_ST_EUlSS_E0_NS1_11comp_targetILNS1_3genE5ELNS1_11target_archE942ELNS1_3gpuE9ELNS1_3repE0EEENS1_30default_config_static_selectorELNS0_4arch9wavefront6targetE1EEEvT1_,"axG",@progbits,_ZN7rocprim17ROCPRIM_400000_NS6detail17trampoline_kernelINS0_14default_configENS1_20scan_config_selectorIyEEZZNS1_9scan_implILNS1_25lookback_scan_determinismE0ELb1ELb1ES3_N6thrust23THRUST_200600_302600_NS6detail15normal_iteratorINS9_10device_ptrIyEEEENS9_16discard_iteratorINS9_11use_defaultEEEyNS9_4plusIvEEyEEDaPvRmT3_T4_T5_mT6_P12ihipStream_tbENKUlT_T0_E_clISt17integral_constantIbLb1EESX_EEDaSS_ST_EUlSS_E0_NS1_11comp_targetILNS1_3genE5ELNS1_11target_archE942ELNS1_3gpuE9ELNS1_3repE0EEENS1_30default_config_static_selectorELNS0_4arch9wavefront6targetE1EEEvT1_,comdat
	.protected	_ZN7rocprim17ROCPRIM_400000_NS6detail17trampoline_kernelINS0_14default_configENS1_20scan_config_selectorIyEEZZNS1_9scan_implILNS1_25lookback_scan_determinismE0ELb1ELb1ES3_N6thrust23THRUST_200600_302600_NS6detail15normal_iteratorINS9_10device_ptrIyEEEENS9_16discard_iteratorINS9_11use_defaultEEEyNS9_4plusIvEEyEEDaPvRmT3_T4_T5_mT6_P12ihipStream_tbENKUlT_T0_E_clISt17integral_constantIbLb1EESX_EEDaSS_ST_EUlSS_E0_NS1_11comp_targetILNS1_3genE5ELNS1_11target_archE942ELNS1_3gpuE9ELNS1_3repE0EEENS1_30default_config_static_selectorELNS0_4arch9wavefront6targetE1EEEvT1_ ; -- Begin function _ZN7rocprim17ROCPRIM_400000_NS6detail17trampoline_kernelINS0_14default_configENS1_20scan_config_selectorIyEEZZNS1_9scan_implILNS1_25lookback_scan_determinismE0ELb1ELb1ES3_N6thrust23THRUST_200600_302600_NS6detail15normal_iteratorINS9_10device_ptrIyEEEENS9_16discard_iteratorINS9_11use_defaultEEEyNS9_4plusIvEEyEEDaPvRmT3_T4_T5_mT6_P12ihipStream_tbENKUlT_T0_E_clISt17integral_constantIbLb1EESX_EEDaSS_ST_EUlSS_E0_NS1_11comp_targetILNS1_3genE5ELNS1_11target_archE942ELNS1_3gpuE9ELNS1_3repE0EEENS1_30default_config_static_selectorELNS0_4arch9wavefront6targetE1EEEvT1_
	.globl	_ZN7rocprim17ROCPRIM_400000_NS6detail17trampoline_kernelINS0_14default_configENS1_20scan_config_selectorIyEEZZNS1_9scan_implILNS1_25lookback_scan_determinismE0ELb1ELb1ES3_N6thrust23THRUST_200600_302600_NS6detail15normal_iteratorINS9_10device_ptrIyEEEENS9_16discard_iteratorINS9_11use_defaultEEEyNS9_4plusIvEEyEEDaPvRmT3_T4_T5_mT6_P12ihipStream_tbENKUlT_T0_E_clISt17integral_constantIbLb1EESX_EEDaSS_ST_EUlSS_E0_NS1_11comp_targetILNS1_3genE5ELNS1_11target_archE942ELNS1_3gpuE9ELNS1_3repE0EEENS1_30default_config_static_selectorELNS0_4arch9wavefront6targetE1EEEvT1_
	.p2align	8
	.type	_ZN7rocprim17ROCPRIM_400000_NS6detail17trampoline_kernelINS0_14default_configENS1_20scan_config_selectorIyEEZZNS1_9scan_implILNS1_25lookback_scan_determinismE0ELb1ELb1ES3_N6thrust23THRUST_200600_302600_NS6detail15normal_iteratorINS9_10device_ptrIyEEEENS9_16discard_iteratorINS9_11use_defaultEEEyNS9_4plusIvEEyEEDaPvRmT3_T4_T5_mT6_P12ihipStream_tbENKUlT_T0_E_clISt17integral_constantIbLb1EESX_EEDaSS_ST_EUlSS_E0_NS1_11comp_targetILNS1_3genE5ELNS1_11target_archE942ELNS1_3gpuE9ELNS1_3repE0EEENS1_30default_config_static_selectorELNS0_4arch9wavefront6targetE1EEEvT1_,@function
_ZN7rocprim17ROCPRIM_400000_NS6detail17trampoline_kernelINS0_14default_configENS1_20scan_config_selectorIyEEZZNS1_9scan_implILNS1_25lookback_scan_determinismE0ELb1ELb1ES3_N6thrust23THRUST_200600_302600_NS6detail15normal_iteratorINS9_10device_ptrIyEEEENS9_16discard_iteratorINS9_11use_defaultEEEyNS9_4plusIvEEyEEDaPvRmT3_T4_T5_mT6_P12ihipStream_tbENKUlT_T0_E_clISt17integral_constantIbLb1EESX_EEDaSS_ST_EUlSS_E0_NS1_11comp_targetILNS1_3genE5ELNS1_11target_archE942ELNS1_3gpuE9ELNS1_3repE0EEENS1_30default_config_static_selectorELNS0_4arch9wavefront6targetE1EEEvT1_: ; @_ZN7rocprim17ROCPRIM_400000_NS6detail17trampoline_kernelINS0_14default_configENS1_20scan_config_selectorIyEEZZNS1_9scan_implILNS1_25lookback_scan_determinismE0ELb1ELb1ES3_N6thrust23THRUST_200600_302600_NS6detail15normal_iteratorINS9_10device_ptrIyEEEENS9_16discard_iteratorINS9_11use_defaultEEEyNS9_4plusIvEEyEEDaPvRmT3_T4_T5_mT6_P12ihipStream_tbENKUlT_T0_E_clISt17integral_constantIbLb1EESX_EEDaSS_ST_EUlSS_E0_NS1_11comp_targetILNS1_3genE5ELNS1_11target_archE942ELNS1_3gpuE9ELNS1_3repE0EEENS1_30default_config_static_selectorELNS0_4arch9wavefront6targetE1EEEvT1_
; %bb.0:
	.section	.rodata,"a",@progbits
	.p2align	6, 0x0
	.amdhsa_kernel _ZN7rocprim17ROCPRIM_400000_NS6detail17trampoline_kernelINS0_14default_configENS1_20scan_config_selectorIyEEZZNS1_9scan_implILNS1_25lookback_scan_determinismE0ELb1ELb1ES3_N6thrust23THRUST_200600_302600_NS6detail15normal_iteratorINS9_10device_ptrIyEEEENS9_16discard_iteratorINS9_11use_defaultEEEyNS9_4plusIvEEyEEDaPvRmT3_T4_T5_mT6_P12ihipStream_tbENKUlT_T0_E_clISt17integral_constantIbLb1EESX_EEDaSS_ST_EUlSS_E0_NS1_11comp_targetILNS1_3genE5ELNS1_11target_archE942ELNS1_3gpuE9ELNS1_3repE0EEENS1_30default_config_static_selectorELNS0_4arch9wavefront6targetE1EEEvT1_
		.amdhsa_group_segment_fixed_size 0
		.amdhsa_private_segment_fixed_size 0
		.amdhsa_kernarg_size 48
		.amdhsa_user_sgpr_count 6
		.amdhsa_user_sgpr_private_segment_buffer 1
		.amdhsa_user_sgpr_dispatch_ptr 0
		.amdhsa_user_sgpr_queue_ptr 0
		.amdhsa_user_sgpr_kernarg_segment_ptr 1
		.amdhsa_user_sgpr_dispatch_id 0
		.amdhsa_user_sgpr_flat_scratch_init 0
		.amdhsa_user_sgpr_kernarg_preload_length 0
		.amdhsa_user_sgpr_kernarg_preload_offset 0
		.amdhsa_user_sgpr_private_segment_size 0
		.amdhsa_uses_dynamic_stack 0
		.amdhsa_system_sgpr_private_segment_wavefront_offset 0
		.amdhsa_system_sgpr_workgroup_id_x 1
		.amdhsa_system_sgpr_workgroup_id_y 0
		.amdhsa_system_sgpr_workgroup_id_z 0
		.amdhsa_system_sgpr_workgroup_info 0
		.amdhsa_system_vgpr_workitem_id 0
		.amdhsa_next_free_vgpr 1
		.amdhsa_next_free_sgpr 0
		.amdhsa_accum_offset 4
		.amdhsa_reserve_vcc 0
		.amdhsa_reserve_flat_scratch 0
		.amdhsa_float_round_mode_32 0
		.amdhsa_float_round_mode_16_64 0
		.amdhsa_float_denorm_mode_32 3
		.amdhsa_float_denorm_mode_16_64 3
		.amdhsa_dx10_clamp 1
		.amdhsa_ieee_mode 1
		.amdhsa_fp16_overflow 0
		.amdhsa_tg_split 0
		.amdhsa_exception_fp_ieee_invalid_op 0
		.amdhsa_exception_fp_denorm_src 0
		.amdhsa_exception_fp_ieee_div_zero 0
		.amdhsa_exception_fp_ieee_overflow 0
		.amdhsa_exception_fp_ieee_underflow 0
		.amdhsa_exception_fp_ieee_inexact 0
		.amdhsa_exception_int_div_zero 0
	.end_amdhsa_kernel
	.section	.text._ZN7rocprim17ROCPRIM_400000_NS6detail17trampoline_kernelINS0_14default_configENS1_20scan_config_selectorIyEEZZNS1_9scan_implILNS1_25lookback_scan_determinismE0ELb1ELb1ES3_N6thrust23THRUST_200600_302600_NS6detail15normal_iteratorINS9_10device_ptrIyEEEENS9_16discard_iteratorINS9_11use_defaultEEEyNS9_4plusIvEEyEEDaPvRmT3_T4_T5_mT6_P12ihipStream_tbENKUlT_T0_E_clISt17integral_constantIbLb1EESX_EEDaSS_ST_EUlSS_E0_NS1_11comp_targetILNS1_3genE5ELNS1_11target_archE942ELNS1_3gpuE9ELNS1_3repE0EEENS1_30default_config_static_selectorELNS0_4arch9wavefront6targetE1EEEvT1_,"axG",@progbits,_ZN7rocprim17ROCPRIM_400000_NS6detail17trampoline_kernelINS0_14default_configENS1_20scan_config_selectorIyEEZZNS1_9scan_implILNS1_25lookback_scan_determinismE0ELb1ELb1ES3_N6thrust23THRUST_200600_302600_NS6detail15normal_iteratorINS9_10device_ptrIyEEEENS9_16discard_iteratorINS9_11use_defaultEEEyNS9_4plusIvEEyEEDaPvRmT3_T4_T5_mT6_P12ihipStream_tbENKUlT_T0_E_clISt17integral_constantIbLb1EESX_EEDaSS_ST_EUlSS_E0_NS1_11comp_targetILNS1_3genE5ELNS1_11target_archE942ELNS1_3gpuE9ELNS1_3repE0EEENS1_30default_config_static_selectorELNS0_4arch9wavefront6targetE1EEEvT1_,comdat
.Lfunc_end5250:
	.size	_ZN7rocprim17ROCPRIM_400000_NS6detail17trampoline_kernelINS0_14default_configENS1_20scan_config_selectorIyEEZZNS1_9scan_implILNS1_25lookback_scan_determinismE0ELb1ELb1ES3_N6thrust23THRUST_200600_302600_NS6detail15normal_iteratorINS9_10device_ptrIyEEEENS9_16discard_iteratorINS9_11use_defaultEEEyNS9_4plusIvEEyEEDaPvRmT3_T4_T5_mT6_P12ihipStream_tbENKUlT_T0_E_clISt17integral_constantIbLb1EESX_EEDaSS_ST_EUlSS_E0_NS1_11comp_targetILNS1_3genE5ELNS1_11target_archE942ELNS1_3gpuE9ELNS1_3repE0EEENS1_30default_config_static_selectorELNS0_4arch9wavefront6targetE1EEEvT1_, .Lfunc_end5250-_ZN7rocprim17ROCPRIM_400000_NS6detail17trampoline_kernelINS0_14default_configENS1_20scan_config_selectorIyEEZZNS1_9scan_implILNS1_25lookback_scan_determinismE0ELb1ELb1ES3_N6thrust23THRUST_200600_302600_NS6detail15normal_iteratorINS9_10device_ptrIyEEEENS9_16discard_iteratorINS9_11use_defaultEEEyNS9_4plusIvEEyEEDaPvRmT3_T4_T5_mT6_P12ihipStream_tbENKUlT_T0_E_clISt17integral_constantIbLb1EESX_EEDaSS_ST_EUlSS_E0_NS1_11comp_targetILNS1_3genE5ELNS1_11target_archE942ELNS1_3gpuE9ELNS1_3repE0EEENS1_30default_config_static_selectorELNS0_4arch9wavefront6targetE1EEEvT1_
                                        ; -- End function
	.section	.AMDGPU.csdata,"",@progbits
; Kernel info:
; codeLenInByte = 0
; NumSgprs: 4
; NumVgprs: 0
; NumAgprs: 0
; TotalNumVgprs: 0
; ScratchSize: 0
; MemoryBound: 0
; FloatMode: 240
; IeeeMode: 1
; LDSByteSize: 0 bytes/workgroup (compile time only)
; SGPRBlocks: 0
; VGPRBlocks: 0
; NumSGPRsForWavesPerEU: 4
; NumVGPRsForWavesPerEU: 1
; AccumOffset: 4
; Occupancy: 8
; WaveLimiterHint : 0
; COMPUTE_PGM_RSRC2:SCRATCH_EN: 0
; COMPUTE_PGM_RSRC2:USER_SGPR: 6
; COMPUTE_PGM_RSRC2:TRAP_HANDLER: 0
; COMPUTE_PGM_RSRC2:TGID_X_EN: 1
; COMPUTE_PGM_RSRC2:TGID_Y_EN: 0
; COMPUTE_PGM_RSRC2:TGID_Z_EN: 0
; COMPUTE_PGM_RSRC2:TIDIG_COMP_CNT: 0
; COMPUTE_PGM_RSRC3_GFX90A:ACCUM_OFFSET: 0
; COMPUTE_PGM_RSRC3_GFX90A:TG_SPLIT: 0
	.section	.text._ZN7rocprim17ROCPRIM_400000_NS6detail17trampoline_kernelINS0_14default_configENS1_20scan_config_selectorIyEEZZNS1_9scan_implILNS1_25lookback_scan_determinismE0ELb1ELb1ES3_N6thrust23THRUST_200600_302600_NS6detail15normal_iteratorINS9_10device_ptrIyEEEENS9_16discard_iteratorINS9_11use_defaultEEEyNS9_4plusIvEEyEEDaPvRmT3_T4_T5_mT6_P12ihipStream_tbENKUlT_T0_E_clISt17integral_constantIbLb1EESX_EEDaSS_ST_EUlSS_E0_NS1_11comp_targetILNS1_3genE4ELNS1_11target_archE910ELNS1_3gpuE8ELNS1_3repE0EEENS1_30default_config_static_selectorELNS0_4arch9wavefront6targetE1EEEvT1_,"axG",@progbits,_ZN7rocprim17ROCPRIM_400000_NS6detail17trampoline_kernelINS0_14default_configENS1_20scan_config_selectorIyEEZZNS1_9scan_implILNS1_25lookback_scan_determinismE0ELb1ELb1ES3_N6thrust23THRUST_200600_302600_NS6detail15normal_iteratorINS9_10device_ptrIyEEEENS9_16discard_iteratorINS9_11use_defaultEEEyNS9_4plusIvEEyEEDaPvRmT3_T4_T5_mT6_P12ihipStream_tbENKUlT_T0_E_clISt17integral_constantIbLb1EESX_EEDaSS_ST_EUlSS_E0_NS1_11comp_targetILNS1_3genE4ELNS1_11target_archE910ELNS1_3gpuE8ELNS1_3repE0EEENS1_30default_config_static_selectorELNS0_4arch9wavefront6targetE1EEEvT1_,comdat
	.protected	_ZN7rocprim17ROCPRIM_400000_NS6detail17trampoline_kernelINS0_14default_configENS1_20scan_config_selectorIyEEZZNS1_9scan_implILNS1_25lookback_scan_determinismE0ELb1ELb1ES3_N6thrust23THRUST_200600_302600_NS6detail15normal_iteratorINS9_10device_ptrIyEEEENS9_16discard_iteratorINS9_11use_defaultEEEyNS9_4plusIvEEyEEDaPvRmT3_T4_T5_mT6_P12ihipStream_tbENKUlT_T0_E_clISt17integral_constantIbLb1EESX_EEDaSS_ST_EUlSS_E0_NS1_11comp_targetILNS1_3genE4ELNS1_11target_archE910ELNS1_3gpuE8ELNS1_3repE0EEENS1_30default_config_static_selectorELNS0_4arch9wavefront6targetE1EEEvT1_ ; -- Begin function _ZN7rocprim17ROCPRIM_400000_NS6detail17trampoline_kernelINS0_14default_configENS1_20scan_config_selectorIyEEZZNS1_9scan_implILNS1_25lookback_scan_determinismE0ELb1ELb1ES3_N6thrust23THRUST_200600_302600_NS6detail15normal_iteratorINS9_10device_ptrIyEEEENS9_16discard_iteratorINS9_11use_defaultEEEyNS9_4plusIvEEyEEDaPvRmT3_T4_T5_mT6_P12ihipStream_tbENKUlT_T0_E_clISt17integral_constantIbLb1EESX_EEDaSS_ST_EUlSS_E0_NS1_11comp_targetILNS1_3genE4ELNS1_11target_archE910ELNS1_3gpuE8ELNS1_3repE0EEENS1_30default_config_static_selectorELNS0_4arch9wavefront6targetE1EEEvT1_
	.globl	_ZN7rocprim17ROCPRIM_400000_NS6detail17trampoline_kernelINS0_14default_configENS1_20scan_config_selectorIyEEZZNS1_9scan_implILNS1_25lookback_scan_determinismE0ELb1ELb1ES3_N6thrust23THRUST_200600_302600_NS6detail15normal_iteratorINS9_10device_ptrIyEEEENS9_16discard_iteratorINS9_11use_defaultEEEyNS9_4plusIvEEyEEDaPvRmT3_T4_T5_mT6_P12ihipStream_tbENKUlT_T0_E_clISt17integral_constantIbLb1EESX_EEDaSS_ST_EUlSS_E0_NS1_11comp_targetILNS1_3genE4ELNS1_11target_archE910ELNS1_3gpuE8ELNS1_3repE0EEENS1_30default_config_static_selectorELNS0_4arch9wavefront6targetE1EEEvT1_
	.p2align	8
	.type	_ZN7rocprim17ROCPRIM_400000_NS6detail17trampoline_kernelINS0_14default_configENS1_20scan_config_selectorIyEEZZNS1_9scan_implILNS1_25lookback_scan_determinismE0ELb1ELb1ES3_N6thrust23THRUST_200600_302600_NS6detail15normal_iteratorINS9_10device_ptrIyEEEENS9_16discard_iteratorINS9_11use_defaultEEEyNS9_4plusIvEEyEEDaPvRmT3_T4_T5_mT6_P12ihipStream_tbENKUlT_T0_E_clISt17integral_constantIbLb1EESX_EEDaSS_ST_EUlSS_E0_NS1_11comp_targetILNS1_3genE4ELNS1_11target_archE910ELNS1_3gpuE8ELNS1_3repE0EEENS1_30default_config_static_selectorELNS0_4arch9wavefront6targetE1EEEvT1_,@function
_ZN7rocprim17ROCPRIM_400000_NS6detail17trampoline_kernelINS0_14default_configENS1_20scan_config_selectorIyEEZZNS1_9scan_implILNS1_25lookback_scan_determinismE0ELb1ELb1ES3_N6thrust23THRUST_200600_302600_NS6detail15normal_iteratorINS9_10device_ptrIyEEEENS9_16discard_iteratorINS9_11use_defaultEEEyNS9_4plusIvEEyEEDaPvRmT3_T4_T5_mT6_P12ihipStream_tbENKUlT_T0_E_clISt17integral_constantIbLb1EESX_EEDaSS_ST_EUlSS_E0_NS1_11comp_targetILNS1_3genE4ELNS1_11target_archE910ELNS1_3gpuE8ELNS1_3repE0EEENS1_30default_config_static_selectorELNS0_4arch9wavefront6targetE1EEEvT1_: ; @_ZN7rocprim17ROCPRIM_400000_NS6detail17trampoline_kernelINS0_14default_configENS1_20scan_config_selectorIyEEZZNS1_9scan_implILNS1_25lookback_scan_determinismE0ELb1ELb1ES3_N6thrust23THRUST_200600_302600_NS6detail15normal_iteratorINS9_10device_ptrIyEEEENS9_16discard_iteratorINS9_11use_defaultEEEyNS9_4plusIvEEyEEDaPvRmT3_T4_T5_mT6_P12ihipStream_tbENKUlT_T0_E_clISt17integral_constantIbLb1EESX_EEDaSS_ST_EUlSS_E0_NS1_11comp_targetILNS1_3genE4ELNS1_11target_archE910ELNS1_3gpuE8ELNS1_3repE0EEENS1_30default_config_static_selectorELNS0_4arch9wavefront6targetE1EEEvT1_
; %bb.0:
	s_load_dwordx4 s[0:3], s[4:5], 0x0
	v_lshlrev_b32_e32 v20, 3, v0
	s_waitcnt lgkmcnt(0)
	s_load_dwordx2 s[6:7], s[0:1], 0x0
	v_cmp_gt_u32_e32 vcc, s2, v0
	s_waitcnt lgkmcnt(0)
	v_pk_mov_b32 v[2:3], s[6:7], s[6:7] op_sel:[0,1]
	s_and_saveexec_b64 s[8:9], vcc
	s_cbranch_execz .LBB5251_2
; %bb.1:
	global_load_dwordx2 v[2:3], v20, s[0:1]
.LBB5251_2:
	s_or_b64 exec, exec, s[8:9]
	v_or_b32_e32 v1, 0x80, v0
	v_cmp_gt_u32_e32 vcc, s2, v1
	v_pk_mov_b32 v[4:5], s[6:7], s[6:7] op_sel:[0,1]
	s_and_saveexec_b64 s[8:9], vcc
	s_cbranch_execz .LBB5251_4
; %bb.3:
	global_load_dwordx2 v[4:5], v20, s[0:1] offset:1024
.LBB5251_4:
	s_or_b64 exec, exec, s[8:9]
	v_or_b32_e32 v1, 0x100, v0
	v_cmp_gt_u32_e32 vcc, s2, v1
	v_pk_mov_b32 v[6:7], s[6:7], s[6:7] op_sel:[0,1]
	s_and_saveexec_b64 s[8:9], vcc
	s_cbranch_execz .LBB5251_6
; %bb.5:
	global_load_dwordx2 v[6:7], v20, s[0:1] offset:2048
.LBB5251_6:
	;; [unrolled: 9-line block ×3, first 2 shown]
	s_or_b64 exec, exec, s[8:9]
	v_or_b32_e32 v1, 0x200, v0
	v_cmp_gt_u32_e32 vcc, s2, v1
	v_pk_mov_b32 v[10:11], s[6:7], s[6:7] op_sel:[0,1]
	s_and_saveexec_b64 s[8:9], vcc
	s_cbranch_execz .LBB5251_10
; %bb.9:
	v_lshlrev_b32_e32 v1, 3, v1
	global_load_dwordx2 v[10:11], v1, s[0:1]
.LBB5251_10:
	s_or_b64 exec, exec, s[8:9]
	v_or_b32_e32 v1, 0x280, v0
	v_cmp_gt_u32_e32 vcc, s2, v1
	v_pk_mov_b32 v[12:13], s[6:7], s[6:7] op_sel:[0,1]
	s_and_saveexec_b64 s[8:9], vcc
	s_cbranch_execz .LBB5251_12
; %bb.11:
	v_lshlrev_b32_e32 v1, 3, v1
	global_load_dwordx2 v[12:13], v1, s[0:1]
.LBB5251_12:
	s_or_b64 exec, exec, s[8:9]
	s_load_dwordx2 s[4:5], s[4:5], 0x10
	v_or_b32_e32 v1, 0x300, v0
	v_cmp_gt_u32_e32 vcc, s2, v1
	v_pk_mov_b32 v[14:15], s[6:7], s[6:7] op_sel:[0,1]
	s_and_saveexec_b64 s[2:3], vcc
	s_cbranch_execz .LBB5251_14
; %bb.13:
	v_lshlrev_b32_e32 v1, 3, v1
	global_load_dwordx2 v[14:15], v1, s[0:1]
.LBB5251_14:
	s_or_b64 exec, exec, s[2:3]
	v_mad_u32_u24 v1, v0, 48, v20
	s_waitcnt vmcnt(0)
	ds_write2st64_b64 v20, v[2:3], v[4:5] offset1:2
	ds_write2st64_b64 v20, v[6:7], v[8:9] offset0:4 offset1:6
	ds_write2st64_b64 v20, v[10:11], v[12:13] offset0:8 offset1:10
	ds_write_b64 v20, v[14:15] offset:6144
	s_waitcnt lgkmcnt(0)
	s_barrier
	ds_read2_b64 v[2:5], v1 offset1:1
	ds_read2_b64 v[6:9], v1 offset0:2 offset1:3
	ds_read2_b64 v[10:13], v1 offset0:4 offset1:5
	ds_read_b64 v[14:15], v1 offset:48
	s_waitcnt lgkmcnt(0)
	v_add_co_u32_e32 v1, vcc, v4, v2
	v_addc_co_u32_e32 v16, vcc, v5, v3, vcc
	v_add_co_u32_e32 v1, vcc, v1, v6
	v_addc_co_u32_e32 v16, vcc, v16, v7, vcc
	;; [unrolled: 2-line block ×5, first 2 shown]
	v_add_co_u32_e32 v18, vcc, v1, v14
	v_lshrrev_b32_e32 v1, 2, v0
	v_addc_co_u32_e32 v19, vcc, v16, v15, vcc
	v_and_b32_e32 v1, 24, v1
	v_add_u32_e32 v1, v20, v1
	v_cmp_gt_u32_e32 vcc, 64, v0
	s_barrier
	ds_write_b64 v1, v[18:19]
	s_waitcnt lgkmcnt(0)
	s_barrier
	s_and_saveexec_b64 s[2:3], vcc
	s_cbranch_execz .LBB5251_18
; %bb.15:
	v_lshlrev_b32_e32 v1, 1, v0
	v_lshrrev_b32_e32 v14, 4, v0
	v_add_lshl_u32 v21, v14, v1, 3
	ds_read2_b64 v[14:17], v21 offset1:1
	v_mbcnt_lo_u32_b32 v1, -1, 0
	s_waitcnt lgkmcnt(0)
	v_add_co_u32_e32 v22, vcc, v16, v14
	v_addc_co_u32_e32 v23, vcc, v17, v15, vcc
	s_nop 0
	v_mov_b32_dpp v16, v22 row_shr:1 row_mask:0xf bank_mask:0xf
	v_add_co_u32_e32 v16, vcc, v22, v16
	v_addc_co_u32_e32 v25, vcc, 0, v23, vcc
	v_mbcnt_hi_u32_b32 v17, -1, v1
	v_mov_b32_dpp v24, v23 row_shr:1 row_mask:0xf bank_mask:0xf
	v_add_co_u32_e32 v26, vcc, 0, v16
	v_and_b32_e32 v1, 15, v17
	v_addc_co_u32_e32 v24, vcc, v24, v25, vcc
	v_cmp_eq_u32_e32 vcc, 0, v1
	v_cndmask_b32_e32 v16, v16, v22, vcc
	v_cndmask_b32_e32 v24, v24, v23, vcc
	v_cndmask_b32_e32 v25, v26, v22, vcc
	v_mov_b32_dpp v26, v16 row_shr:2 row_mask:0xf bank_mask:0xf
	v_mov_b32_dpp v27, v24 row_shr:2 row_mask:0xf bank_mask:0xf
	v_add_co_u32_e32 v26, vcc, v26, v25
	v_addc_co_u32_e32 v27, vcc, v27, v24, vcc
	v_cmp_lt_u32_e32 vcc, 1, v1
	v_cndmask_b32_e32 v16, v16, v26, vcc
	v_cndmask_b32_e32 v24, v24, v27, vcc
	v_cndmask_b32_e32 v25, v25, v26, vcc
	v_mov_b32_dpp v26, v16 row_shr:4 row_mask:0xf bank_mask:0xf
	v_mov_b32_dpp v27, v24 row_shr:4 row_mask:0xf bank_mask:0xf
	v_add_co_u32_e32 v26, vcc, v26, v25
	v_addc_co_u32_e32 v27, vcc, v27, v24, vcc
	v_cmp_lt_u32_e32 vcc, 3, v1
	;; [unrolled: 8-line block ×3, first 2 shown]
	v_cndmask_b32_e32 v28, v16, v26, vcc
	v_cndmask_b32_e32 v1, v24, v27, vcc
	;; [unrolled: 1-line block ×3, first 2 shown]
	v_mov_b32_dpp v24, v28 row_bcast:15 row_mask:0xf bank_mask:0xf
	v_mov_b32_dpp v25, v1 row_bcast:15 row_mask:0xf bank_mask:0xf
	v_add_co_u32_e32 v24, vcc, v24, v16
	v_and_b32_e32 v27, 16, v17
	v_addc_co_u32_e32 v26, vcc, v25, v1, vcc
	v_cmp_eq_u32_e32 vcc, 0, v27
	v_cndmask_b32_e32 v27, v26, v1, vcc
	v_cndmask_b32_e32 v25, v24, v28, vcc
	v_cmp_ne_u32_e64 s[0:1], 0, v17
	v_mov_b32_dpp v27, v27 row_bcast:31 row_mask:0xf bank_mask:0xf
	v_mov_b32_dpp v25, v25 row_bcast:31 row_mask:0xf bank_mask:0xf
	s_and_saveexec_b64 s[6:7], s[0:1]
; %bb.16:
	v_cndmask_b32_e32 v1, v26, v1, vcc
	v_cndmask_b32_e32 v16, v24, v16, vcc
	v_cmp_lt_u32_e32 vcc, 31, v17
	v_cndmask_b32_e32 v22, 0, v25, vcc
	v_cndmask_b32_e32 v23, 0, v27, vcc
	v_add_co_u32_e32 v22, vcc, v22, v16
	v_addc_co_u32_e32 v23, vcc, v23, v1, vcc
; %bb.17:
	s_or_b64 exec, exec, s[6:7]
	v_add_u32_e32 v1, -1, v17
	v_and_b32_e32 v16, 64, v17
	v_cmp_lt_i32_e32 vcc, v1, v16
	v_cndmask_b32_e32 v1, v1, v17, vcc
	v_lshlrev_b32_e32 v1, 2, v1
	ds_bpermute_b32 v16, v1, v22
	ds_bpermute_b32 v1, v1, v23
	; wave barrier
	s_waitcnt lgkmcnt(1)
	v_add_co_u32_e32 v14, vcc, v14, v16
	v_addc_co_u32_e32 v15, vcc, 0, v15, vcc
	v_add_co_u32_e32 v14, vcc, 0, v14
	s_waitcnt lgkmcnt(0)
	v_addc_co_u32_e32 v1, vcc, v15, v1, vcc
	v_cmp_eq_u32_e32 vcc, 0, v0
	v_cndmask_b32_e32 v15, v1, v19, vcc
	v_cndmask_b32_e32 v14, v14, v18, vcc
	ds_write_b64 v21, v[14:15]
	; wave barrier
	ds_read_b64 v[16:17], v21 offset:8
	s_waitcnt lgkmcnt(0)
	v_add_co_u32_e32 v14, vcc, v16, v14
	v_addc_co_u32_e32 v15, vcc, v17, v15, vcc
	ds_write_b64 v21, v[14:15] offset:8
.LBB5251_18:
	s_or_b64 exec, exec, s[2:3]
	v_mul_u32_u24_e32 v1, 48, v0
	v_cmp_ne_u32_e32 vcc, 0, v0
	v_pk_mov_b32 v[14:15], s[4:5], s[4:5] op_sel:[0,1]
	s_waitcnt lgkmcnt(0)
	s_barrier
	s_and_saveexec_b64 s[0:1], vcc
	s_cbranch_execz .LBB5251_20
; %bb.19:
	v_add_u32_e32 v0, -1, v0
	v_lshrrev_b32_e32 v14, 5, v0
	v_add_lshl_u32 v0, v14, v0, 3
	ds_read_b64 v[14:15], v0
	v_mov_b32_e32 v0, s5
	s_waitcnt lgkmcnt(0)
	v_add_co_u32_e32 v14, vcc, s4, v14
	v_addc_co_u32_e32 v15, vcc, v15, v0, vcc
.LBB5251_20:
	s_or_b64 exec, exec, s[0:1]
	v_add_co_u32_e32 v2, vcc, v14, v2
	v_addc_co_u32_e32 v3, vcc, v15, v3, vcc
	v_add_co_u32_e32 v4, vcc, v2, v4
	v_addc_co_u32_e32 v5, vcc, v3, v5, vcc
	;; [unrolled: 2-line block ×5, first 2 shown]
	v_add_co_u32_e32 v12, vcc, v10, v12
	v_add_u32_e32 v0, v20, v1
	v_addc_co_u32_e32 v13, vcc, v11, v13, vcc
	s_barrier
	ds_write2_b64 v0, v[14:15], v[2:3] offset1:1
	ds_write2_b64 v0, v[4:5], v[6:7] offset0:2 offset1:3
	ds_write2_b64 v0, v[8:9], v[10:11] offset0:4 offset1:5
	ds_write_b64 v0, v[12:13] offset:48
	s_waitcnt lgkmcnt(0)
	s_barrier
	s_endpgm
	.section	.rodata,"a",@progbits
	.p2align	6, 0x0
	.amdhsa_kernel _ZN7rocprim17ROCPRIM_400000_NS6detail17trampoline_kernelINS0_14default_configENS1_20scan_config_selectorIyEEZZNS1_9scan_implILNS1_25lookback_scan_determinismE0ELb1ELb1ES3_N6thrust23THRUST_200600_302600_NS6detail15normal_iteratorINS9_10device_ptrIyEEEENS9_16discard_iteratorINS9_11use_defaultEEEyNS9_4plusIvEEyEEDaPvRmT3_T4_T5_mT6_P12ihipStream_tbENKUlT_T0_E_clISt17integral_constantIbLb1EESX_EEDaSS_ST_EUlSS_E0_NS1_11comp_targetILNS1_3genE4ELNS1_11target_archE910ELNS1_3gpuE8ELNS1_3repE0EEENS1_30default_config_static_selectorELNS0_4arch9wavefront6targetE1EEEvT1_
		.amdhsa_group_segment_fixed_size 7168
		.amdhsa_private_segment_fixed_size 0
		.amdhsa_kernarg_size 48
		.amdhsa_user_sgpr_count 6
		.amdhsa_user_sgpr_private_segment_buffer 1
		.amdhsa_user_sgpr_dispatch_ptr 0
		.amdhsa_user_sgpr_queue_ptr 0
		.amdhsa_user_sgpr_kernarg_segment_ptr 1
		.amdhsa_user_sgpr_dispatch_id 0
		.amdhsa_user_sgpr_flat_scratch_init 0
		.amdhsa_user_sgpr_kernarg_preload_length 0
		.amdhsa_user_sgpr_kernarg_preload_offset 0
		.amdhsa_user_sgpr_private_segment_size 0
		.amdhsa_uses_dynamic_stack 0
		.amdhsa_system_sgpr_private_segment_wavefront_offset 0
		.amdhsa_system_sgpr_workgroup_id_x 1
		.amdhsa_system_sgpr_workgroup_id_y 0
		.amdhsa_system_sgpr_workgroup_id_z 0
		.amdhsa_system_sgpr_workgroup_info 0
		.amdhsa_system_vgpr_workitem_id 0
		.amdhsa_next_free_vgpr 29
		.amdhsa_next_free_sgpr 10
		.amdhsa_accum_offset 32
		.amdhsa_reserve_vcc 1
		.amdhsa_reserve_flat_scratch 0
		.amdhsa_float_round_mode_32 0
		.amdhsa_float_round_mode_16_64 0
		.amdhsa_float_denorm_mode_32 3
		.amdhsa_float_denorm_mode_16_64 3
		.amdhsa_dx10_clamp 1
		.amdhsa_ieee_mode 1
		.amdhsa_fp16_overflow 0
		.amdhsa_tg_split 0
		.amdhsa_exception_fp_ieee_invalid_op 0
		.amdhsa_exception_fp_denorm_src 0
		.amdhsa_exception_fp_ieee_div_zero 0
		.amdhsa_exception_fp_ieee_overflow 0
		.amdhsa_exception_fp_ieee_underflow 0
		.amdhsa_exception_fp_ieee_inexact 0
		.amdhsa_exception_int_div_zero 0
	.end_amdhsa_kernel
	.section	.text._ZN7rocprim17ROCPRIM_400000_NS6detail17trampoline_kernelINS0_14default_configENS1_20scan_config_selectorIyEEZZNS1_9scan_implILNS1_25lookback_scan_determinismE0ELb1ELb1ES3_N6thrust23THRUST_200600_302600_NS6detail15normal_iteratorINS9_10device_ptrIyEEEENS9_16discard_iteratorINS9_11use_defaultEEEyNS9_4plusIvEEyEEDaPvRmT3_T4_T5_mT6_P12ihipStream_tbENKUlT_T0_E_clISt17integral_constantIbLb1EESX_EEDaSS_ST_EUlSS_E0_NS1_11comp_targetILNS1_3genE4ELNS1_11target_archE910ELNS1_3gpuE8ELNS1_3repE0EEENS1_30default_config_static_selectorELNS0_4arch9wavefront6targetE1EEEvT1_,"axG",@progbits,_ZN7rocprim17ROCPRIM_400000_NS6detail17trampoline_kernelINS0_14default_configENS1_20scan_config_selectorIyEEZZNS1_9scan_implILNS1_25lookback_scan_determinismE0ELb1ELb1ES3_N6thrust23THRUST_200600_302600_NS6detail15normal_iteratorINS9_10device_ptrIyEEEENS9_16discard_iteratorINS9_11use_defaultEEEyNS9_4plusIvEEyEEDaPvRmT3_T4_T5_mT6_P12ihipStream_tbENKUlT_T0_E_clISt17integral_constantIbLb1EESX_EEDaSS_ST_EUlSS_E0_NS1_11comp_targetILNS1_3genE4ELNS1_11target_archE910ELNS1_3gpuE8ELNS1_3repE0EEENS1_30default_config_static_selectorELNS0_4arch9wavefront6targetE1EEEvT1_,comdat
.Lfunc_end5251:
	.size	_ZN7rocprim17ROCPRIM_400000_NS6detail17trampoline_kernelINS0_14default_configENS1_20scan_config_selectorIyEEZZNS1_9scan_implILNS1_25lookback_scan_determinismE0ELb1ELb1ES3_N6thrust23THRUST_200600_302600_NS6detail15normal_iteratorINS9_10device_ptrIyEEEENS9_16discard_iteratorINS9_11use_defaultEEEyNS9_4plusIvEEyEEDaPvRmT3_T4_T5_mT6_P12ihipStream_tbENKUlT_T0_E_clISt17integral_constantIbLb1EESX_EEDaSS_ST_EUlSS_E0_NS1_11comp_targetILNS1_3genE4ELNS1_11target_archE910ELNS1_3gpuE8ELNS1_3repE0EEENS1_30default_config_static_selectorELNS0_4arch9wavefront6targetE1EEEvT1_, .Lfunc_end5251-_ZN7rocprim17ROCPRIM_400000_NS6detail17trampoline_kernelINS0_14default_configENS1_20scan_config_selectorIyEEZZNS1_9scan_implILNS1_25lookback_scan_determinismE0ELb1ELb1ES3_N6thrust23THRUST_200600_302600_NS6detail15normal_iteratorINS9_10device_ptrIyEEEENS9_16discard_iteratorINS9_11use_defaultEEEyNS9_4plusIvEEyEEDaPvRmT3_T4_T5_mT6_P12ihipStream_tbENKUlT_T0_E_clISt17integral_constantIbLb1EESX_EEDaSS_ST_EUlSS_E0_NS1_11comp_targetILNS1_3genE4ELNS1_11target_archE910ELNS1_3gpuE8ELNS1_3repE0EEENS1_30default_config_static_selectorELNS0_4arch9wavefront6targetE1EEEvT1_
                                        ; -- End function
	.section	.AMDGPU.csdata,"",@progbits
; Kernel info:
; codeLenInByte = 1116
; NumSgprs: 14
; NumVgprs: 29
; NumAgprs: 0
; TotalNumVgprs: 29
; ScratchSize: 0
; MemoryBound: 0
; FloatMode: 240
; IeeeMode: 1
; LDSByteSize: 7168 bytes/workgroup (compile time only)
; SGPRBlocks: 1
; VGPRBlocks: 3
; NumSGPRsForWavesPerEU: 14
; NumVGPRsForWavesPerEU: 29
; AccumOffset: 32
; Occupancy: 5
; WaveLimiterHint : 0
; COMPUTE_PGM_RSRC2:SCRATCH_EN: 0
; COMPUTE_PGM_RSRC2:USER_SGPR: 6
; COMPUTE_PGM_RSRC2:TRAP_HANDLER: 0
; COMPUTE_PGM_RSRC2:TGID_X_EN: 1
; COMPUTE_PGM_RSRC2:TGID_Y_EN: 0
; COMPUTE_PGM_RSRC2:TGID_Z_EN: 0
; COMPUTE_PGM_RSRC2:TIDIG_COMP_CNT: 0
; COMPUTE_PGM_RSRC3_GFX90A:ACCUM_OFFSET: 7
; COMPUTE_PGM_RSRC3_GFX90A:TG_SPLIT: 0
	.section	.text._ZN7rocprim17ROCPRIM_400000_NS6detail17trampoline_kernelINS0_14default_configENS1_20scan_config_selectorIyEEZZNS1_9scan_implILNS1_25lookback_scan_determinismE0ELb1ELb1ES3_N6thrust23THRUST_200600_302600_NS6detail15normal_iteratorINS9_10device_ptrIyEEEENS9_16discard_iteratorINS9_11use_defaultEEEyNS9_4plusIvEEyEEDaPvRmT3_T4_T5_mT6_P12ihipStream_tbENKUlT_T0_E_clISt17integral_constantIbLb1EESX_EEDaSS_ST_EUlSS_E0_NS1_11comp_targetILNS1_3genE3ELNS1_11target_archE908ELNS1_3gpuE7ELNS1_3repE0EEENS1_30default_config_static_selectorELNS0_4arch9wavefront6targetE1EEEvT1_,"axG",@progbits,_ZN7rocprim17ROCPRIM_400000_NS6detail17trampoline_kernelINS0_14default_configENS1_20scan_config_selectorIyEEZZNS1_9scan_implILNS1_25lookback_scan_determinismE0ELb1ELb1ES3_N6thrust23THRUST_200600_302600_NS6detail15normal_iteratorINS9_10device_ptrIyEEEENS9_16discard_iteratorINS9_11use_defaultEEEyNS9_4plusIvEEyEEDaPvRmT3_T4_T5_mT6_P12ihipStream_tbENKUlT_T0_E_clISt17integral_constantIbLb1EESX_EEDaSS_ST_EUlSS_E0_NS1_11comp_targetILNS1_3genE3ELNS1_11target_archE908ELNS1_3gpuE7ELNS1_3repE0EEENS1_30default_config_static_selectorELNS0_4arch9wavefront6targetE1EEEvT1_,comdat
	.protected	_ZN7rocprim17ROCPRIM_400000_NS6detail17trampoline_kernelINS0_14default_configENS1_20scan_config_selectorIyEEZZNS1_9scan_implILNS1_25lookback_scan_determinismE0ELb1ELb1ES3_N6thrust23THRUST_200600_302600_NS6detail15normal_iteratorINS9_10device_ptrIyEEEENS9_16discard_iteratorINS9_11use_defaultEEEyNS9_4plusIvEEyEEDaPvRmT3_T4_T5_mT6_P12ihipStream_tbENKUlT_T0_E_clISt17integral_constantIbLb1EESX_EEDaSS_ST_EUlSS_E0_NS1_11comp_targetILNS1_3genE3ELNS1_11target_archE908ELNS1_3gpuE7ELNS1_3repE0EEENS1_30default_config_static_selectorELNS0_4arch9wavefront6targetE1EEEvT1_ ; -- Begin function _ZN7rocprim17ROCPRIM_400000_NS6detail17trampoline_kernelINS0_14default_configENS1_20scan_config_selectorIyEEZZNS1_9scan_implILNS1_25lookback_scan_determinismE0ELb1ELb1ES3_N6thrust23THRUST_200600_302600_NS6detail15normal_iteratorINS9_10device_ptrIyEEEENS9_16discard_iteratorINS9_11use_defaultEEEyNS9_4plusIvEEyEEDaPvRmT3_T4_T5_mT6_P12ihipStream_tbENKUlT_T0_E_clISt17integral_constantIbLb1EESX_EEDaSS_ST_EUlSS_E0_NS1_11comp_targetILNS1_3genE3ELNS1_11target_archE908ELNS1_3gpuE7ELNS1_3repE0EEENS1_30default_config_static_selectorELNS0_4arch9wavefront6targetE1EEEvT1_
	.globl	_ZN7rocprim17ROCPRIM_400000_NS6detail17trampoline_kernelINS0_14default_configENS1_20scan_config_selectorIyEEZZNS1_9scan_implILNS1_25lookback_scan_determinismE0ELb1ELb1ES3_N6thrust23THRUST_200600_302600_NS6detail15normal_iteratorINS9_10device_ptrIyEEEENS9_16discard_iteratorINS9_11use_defaultEEEyNS9_4plusIvEEyEEDaPvRmT3_T4_T5_mT6_P12ihipStream_tbENKUlT_T0_E_clISt17integral_constantIbLb1EESX_EEDaSS_ST_EUlSS_E0_NS1_11comp_targetILNS1_3genE3ELNS1_11target_archE908ELNS1_3gpuE7ELNS1_3repE0EEENS1_30default_config_static_selectorELNS0_4arch9wavefront6targetE1EEEvT1_
	.p2align	8
	.type	_ZN7rocprim17ROCPRIM_400000_NS6detail17trampoline_kernelINS0_14default_configENS1_20scan_config_selectorIyEEZZNS1_9scan_implILNS1_25lookback_scan_determinismE0ELb1ELb1ES3_N6thrust23THRUST_200600_302600_NS6detail15normal_iteratorINS9_10device_ptrIyEEEENS9_16discard_iteratorINS9_11use_defaultEEEyNS9_4plusIvEEyEEDaPvRmT3_T4_T5_mT6_P12ihipStream_tbENKUlT_T0_E_clISt17integral_constantIbLb1EESX_EEDaSS_ST_EUlSS_E0_NS1_11comp_targetILNS1_3genE3ELNS1_11target_archE908ELNS1_3gpuE7ELNS1_3repE0EEENS1_30default_config_static_selectorELNS0_4arch9wavefront6targetE1EEEvT1_,@function
_ZN7rocprim17ROCPRIM_400000_NS6detail17trampoline_kernelINS0_14default_configENS1_20scan_config_selectorIyEEZZNS1_9scan_implILNS1_25lookback_scan_determinismE0ELb1ELb1ES3_N6thrust23THRUST_200600_302600_NS6detail15normal_iteratorINS9_10device_ptrIyEEEENS9_16discard_iteratorINS9_11use_defaultEEEyNS9_4plusIvEEyEEDaPvRmT3_T4_T5_mT6_P12ihipStream_tbENKUlT_T0_E_clISt17integral_constantIbLb1EESX_EEDaSS_ST_EUlSS_E0_NS1_11comp_targetILNS1_3genE3ELNS1_11target_archE908ELNS1_3gpuE7ELNS1_3repE0EEENS1_30default_config_static_selectorELNS0_4arch9wavefront6targetE1EEEvT1_: ; @_ZN7rocprim17ROCPRIM_400000_NS6detail17trampoline_kernelINS0_14default_configENS1_20scan_config_selectorIyEEZZNS1_9scan_implILNS1_25lookback_scan_determinismE0ELb1ELb1ES3_N6thrust23THRUST_200600_302600_NS6detail15normal_iteratorINS9_10device_ptrIyEEEENS9_16discard_iteratorINS9_11use_defaultEEEyNS9_4plusIvEEyEEDaPvRmT3_T4_T5_mT6_P12ihipStream_tbENKUlT_T0_E_clISt17integral_constantIbLb1EESX_EEDaSS_ST_EUlSS_E0_NS1_11comp_targetILNS1_3genE3ELNS1_11target_archE908ELNS1_3gpuE7ELNS1_3repE0EEENS1_30default_config_static_selectorELNS0_4arch9wavefront6targetE1EEEvT1_
; %bb.0:
	.section	.rodata,"a",@progbits
	.p2align	6, 0x0
	.amdhsa_kernel _ZN7rocprim17ROCPRIM_400000_NS6detail17trampoline_kernelINS0_14default_configENS1_20scan_config_selectorIyEEZZNS1_9scan_implILNS1_25lookback_scan_determinismE0ELb1ELb1ES3_N6thrust23THRUST_200600_302600_NS6detail15normal_iteratorINS9_10device_ptrIyEEEENS9_16discard_iteratorINS9_11use_defaultEEEyNS9_4plusIvEEyEEDaPvRmT3_T4_T5_mT6_P12ihipStream_tbENKUlT_T0_E_clISt17integral_constantIbLb1EESX_EEDaSS_ST_EUlSS_E0_NS1_11comp_targetILNS1_3genE3ELNS1_11target_archE908ELNS1_3gpuE7ELNS1_3repE0EEENS1_30default_config_static_selectorELNS0_4arch9wavefront6targetE1EEEvT1_
		.amdhsa_group_segment_fixed_size 0
		.amdhsa_private_segment_fixed_size 0
		.amdhsa_kernarg_size 48
		.amdhsa_user_sgpr_count 6
		.amdhsa_user_sgpr_private_segment_buffer 1
		.amdhsa_user_sgpr_dispatch_ptr 0
		.amdhsa_user_sgpr_queue_ptr 0
		.amdhsa_user_sgpr_kernarg_segment_ptr 1
		.amdhsa_user_sgpr_dispatch_id 0
		.amdhsa_user_sgpr_flat_scratch_init 0
		.amdhsa_user_sgpr_kernarg_preload_length 0
		.amdhsa_user_sgpr_kernarg_preload_offset 0
		.amdhsa_user_sgpr_private_segment_size 0
		.amdhsa_uses_dynamic_stack 0
		.amdhsa_system_sgpr_private_segment_wavefront_offset 0
		.amdhsa_system_sgpr_workgroup_id_x 1
		.amdhsa_system_sgpr_workgroup_id_y 0
		.amdhsa_system_sgpr_workgroup_id_z 0
		.amdhsa_system_sgpr_workgroup_info 0
		.amdhsa_system_vgpr_workitem_id 0
		.amdhsa_next_free_vgpr 1
		.amdhsa_next_free_sgpr 0
		.amdhsa_accum_offset 4
		.amdhsa_reserve_vcc 0
		.amdhsa_reserve_flat_scratch 0
		.amdhsa_float_round_mode_32 0
		.amdhsa_float_round_mode_16_64 0
		.amdhsa_float_denorm_mode_32 3
		.amdhsa_float_denorm_mode_16_64 3
		.amdhsa_dx10_clamp 1
		.amdhsa_ieee_mode 1
		.amdhsa_fp16_overflow 0
		.amdhsa_tg_split 0
		.amdhsa_exception_fp_ieee_invalid_op 0
		.amdhsa_exception_fp_denorm_src 0
		.amdhsa_exception_fp_ieee_div_zero 0
		.amdhsa_exception_fp_ieee_overflow 0
		.amdhsa_exception_fp_ieee_underflow 0
		.amdhsa_exception_fp_ieee_inexact 0
		.amdhsa_exception_int_div_zero 0
	.end_amdhsa_kernel
	.section	.text._ZN7rocprim17ROCPRIM_400000_NS6detail17trampoline_kernelINS0_14default_configENS1_20scan_config_selectorIyEEZZNS1_9scan_implILNS1_25lookback_scan_determinismE0ELb1ELb1ES3_N6thrust23THRUST_200600_302600_NS6detail15normal_iteratorINS9_10device_ptrIyEEEENS9_16discard_iteratorINS9_11use_defaultEEEyNS9_4plusIvEEyEEDaPvRmT3_T4_T5_mT6_P12ihipStream_tbENKUlT_T0_E_clISt17integral_constantIbLb1EESX_EEDaSS_ST_EUlSS_E0_NS1_11comp_targetILNS1_3genE3ELNS1_11target_archE908ELNS1_3gpuE7ELNS1_3repE0EEENS1_30default_config_static_selectorELNS0_4arch9wavefront6targetE1EEEvT1_,"axG",@progbits,_ZN7rocprim17ROCPRIM_400000_NS6detail17trampoline_kernelINS0_14default_configENS1_20scan_config_selectorIyEEZZNS1_9scan_implILNS1_25lookback_scan_determinismE0ELb1ELb1ES3_N6thrust23THRUST_200600_302600_NS6detail15normal_iteratorINS9_10device_ptrIyEEEENS9_16discard_iteratorINS9_11use_defaultEEEyNS9_4plusIvEEyEEDaPvRmT3_T4_T5_mT6_P12ihipStream_tbENKUlT_T0_E_clISt17integral_constantIbLb1EESX_EEDaSS_ST_EUlSS_E0_NS1_11comp_targetILNS1_3genE3ELNS1_11target_archE908ELNS1_3gpuE7ELNS1_3repE0EEENS1_30default_config_static_selectorELNS0_4arch9wavefront6targetE1EEEvT1_,comdat
.Lfunc_end5252:
	.size	_ZN7rocprim17ROCPRIM_400000_NS6detail17trampoline_kernelINS0_14default_configENS1_20scan_config_selectorIyEEZZNS1_9scan_implILNS1_25lookback_scan_determinismE0ELb1ELb1ES3_N6thrust23THRUST_200600_302600_NS6detail15normal_iteratorINS9_10device_ptrIyEEEENS9_16discard_iteratorINS9_11use_defaultEEEyNS9_4plusIvEEyEEDaPvRmT3_T4_T5_mT6_P12ihipStream_tbENKUlT_T0_E_clISt17integral_constantIbLb1EESX_EEDaSS_ST_EUlSS_E0_NS1_11comp_targetILNS1_3genE3ELNS1_11target_archE908ELNS1_3gpuE7ELNS1_3repE0EEENS1_30default_config_static_selectorELNS0_4arch9wavefront6targetE1EEEvT1_, .Lfunc_end5252-_ZN7rocprim17ROCPRIM_400000_NS6detail17trampoline_kernelINS0_14default_configENS1_20scan_config_selectorIyEEZZNS1_9scan_implILNS1_25lookback_scan_determinismE0ELb1ELb1ES3_N6thrust23THRUST_200600_302600_NS6detail15normal_iteratorINS9_10device_ptrIyEEEENS9_16discard_iteratorINS9_11use_defaultEEEyNS9_4plusIvEEyEEDaPvRmT3_T4_T5_mT6_P12ihipStream_tbENKUlT_T0_E_clISt17integral_constantIbLb1EESX_EEDaSS_ST_EUlSS_E0_NS1_11comp_targetILNS1_3genE3ELNS1_11target_archE908ELNS1_3gpuE7ELNS1_3repE0EEENS1_30default_config_static_selectorELNS0_4arch9wavefront6targetE1EEEvT1_
                                        ; -- End function
	.section	.AMDGPU.csdata,"",@progbits
; Kernel info:
; codeLenInByte = 0
; NumSgprs: 4
; NumVgprs: 0
; NumAgprs: 0
; TotalNumVgprs: 0
; ScratchSize: 0
; MemoryBound: 0
; FloatMode: 240
; IeeeMode: 1
; LDSByteSize: 0 bytes/workgroup (compile time only)
; SGPRBlocks: 0
; VGPRBlocks: 0
; NumSGPRsForWavesPerEU: 4
; NumVGPRsForWavesPerEU: 1
; AccumOffset: 4
; Occupancy: 8
; WaveLimiterHint : 0
; COMPUTE_PGM_RSRC2:SCRATCH_EN: 0
; COMPUTE_PGM_RSRC2:USER_SGPR: 6
; COMPUTE_PGM_RSRC2:TRAP_HANDLER: 0
; COMPUTE_PGM_RSRC2:TGID_X_EN: 1
; COMPUTE_PGM_RSRC2:TGID_Y_EN: 0
; COMPUTE_PGM_RSRC2:TGID_Z_EN: 0
; COMPUTE_PGM_RSRC2:TIDIG_COMP_CNT: 0
; COMPUTE_PGM_RSRC3_GFX90A:ACCUM_OFFSET: 0
; COMPUTE_PGM_RSRC3_GFX90A:TG_SPLIT: 0
	.section	.text._ZN7rocprim17ROCPRIM_400000_NS6detail17trampoline_kernelINS0_14default_configENS1_20scan_config_selectorIyEEZZNS1_9scan_implILNS1_25lookback_scan_determinismE0ELb1ELb1ES3_N6thrust23THRUST_200600_302600_NS6detail15normal_iteratorINS9_10device_ptrIyEEEENS9_16discard_iteratorINS9_11use_defaultEEEyNS9_4plusIvEEyEEDaPvRmT3_T4_T5_mT6_P12ihipStream_tbENKUlT_T0_E_clISt17integral_constantIbLb1EESX_EEDaSS_ST_EUlSS_E0_NS1_11comp_targetILNS1_3genE2ELNS1_11target_archE906ELNS1_3gpuE6ELNS1_3repE0EEENS1_30default_config_static_selectorELNS0_4arch9wavefront6targetE1EEEvT1_,"axG",@progbits,_ZN7rocprim17ROCPRIM_400000_NS6detail17trampoline_kernelINS0_14default_configENS1_20scan_config_selectorIyEEZZNS1_9scan_implILNS1_25lookback_scan_determinismE0ELb1ELb1ES3_N6thrust23THRUST_200600_302600_NS6detail15normal_iteratorINS9_10device_ptrIyEEEENS9_16discard_iteratorINS9_11use_defaultEEEyNS9_4plusIvEEyEEDaPvRmT3_T4_T5_mT6_P12ihipStream_tbENKUlT_T0_E_clISt17integral_constantIbLb1EESX_EEDaSS_ST_EUlSS_E0_NS1_11comp_targetILNS1_3genE2ELNS1_11target_archE906ELNS1_3gpuE6ELNS1_3repE0EEENS1_30default_config_static_selectorELNS0_4arch9wavefront6targetE1EEEvT1_,comdat
	.protected	_ZN7rocprim17ROCPRIM_400000_NS6detail17trampoline_kernelINS0_14default_configENS1_20scan_config_selectorIyEEZZNS1_9scan_implILNS1_25lookback_scan_determinismE0ELb1ELb1ES3_N6thrust23THRUST_200600_302600_NS6detail15normal_iteratorINS9_10device_ptrIyEEEENS9_16discard_iteratorINS9_11use_defaultEEEyNS9_4plusIvEEyEEDaPvRmT3_T4_T5_mT6_P12ihipStream_tbENKUlT_T0_E_clISt17integral_constantIbLb1EESX_EEDaSS_ST_EUlSS_E0_NS1_11comp_targetILNS1_3genE2ELNS1_11target_archE906ELNS1_3gpuE6ELNS1_3repE0EEENS1_30default_config_static_selectorELNS0_4arch9wavefront6targetE1EEEvT1_ ; -- Begin function _ZN7rocprim17ROCPRIM_400000_NS6detail17trampoline_kernelINS0_14default_configENS1_20scan_config_selectorIyEEZZNS1_9scan_implILNS1_25lookback_scan_determinismE0ELb1ELb1ES3_N6thrust23THRUST_200600_302600_NS6detail15normal_iteratorINS9_10device_ptrIyEEEENS9_16discard_iteratorINS9_11use_defaultEEEyNS9_4plusIvEEyEEDaPvRmT3_T4_T5_mT6_P12ihipStream_tbENKUlT_T0_E_clISt17integral_constantIbLb1EESX_EEDaSS_ST_EUlSS_E0_NS1_11comp_targetILNS1_3genE2ELNS1_11target_archE906ELNS1_3gpuE6ELNS1_3repE0EEENS1_30default_config_static_selectorELNS0_4arch9wavefront6targetE1EEEvT1_
	.globl	_ZN7rocprim17ROCPRIM_400000_NS6detail17trampoline_kernelINS0_14default_configENS1_20scan_config_selectorIyEEZZNS1_9scan_implILNS1_25lookback_scan_determinismE0ELb1ELb1ES3_N6thrust23THRUST_200600_302600_NS6detail15normal_iteratorINS9_10device_ptrIyEEEENS9_16discard_iteratorINS9_11use_defaultEEEyNS9_4plusIvEEyEEDaPvRmT3_T4_T5_mT6_P12ihipStream_tbENKUlT_T0_E_clISt17integral_constantIbLb1EESX_EEDaSS_ST_EUlSS_E0_NS1_11comp_targetILNS1_3genE2ELNS1_11target_archE906ELNS1_3gpuE6ELNS1_3repE0EEENS1_30default_config_static_selectorELNS0_4arch9wavefront6targetE1EEEvT1_
	.p2align	8
	.type	_ZN7rocprim17ROCPRIM_400000_NS6detail17trampoline_kernelINS0_14default_configENS1_20scan_config_selectorIyEEZZNS1_9scan_implILNS1_25lookback_scan_determinismE0ELb1ELb1ES3_N6thrust23THRUST_200600_302600_NS6detail15normal_iteratorINS9_10device_ptrIyEEEENS9_16discard_iteratorINS9_11use_defaultEEEyNS9_4plusIvEEyEEDaPvRmT3_T4_T5_mT6_P12ihipStream_tbENKUlT_T0_E_clISt17integral_constantIbLb1EESX_EEDaSS_ST_EUlSS_E0_NS1_11comp_targetILNS1_3genE2ELNS1_11target_archE906ELNS1_3gpuE6ELNS1_3repE0EEENS1_30default_config_static_selectorELNS0_4arch9wavefront6targetE1EEEvT1_,@function
_ZN7rocprim17ROCPRIM_400000_NS6detail17trampoline_kernelINS0_14default_configENS1_20scan_config_selectorIyEEZZNS1_9scan_implILNS1_25lookback_scan_determinismE0ELb1ELb1ES3_N6thrust23THRUST_200600_302600_NS6detail15normal_iteratorINS9_10device_ptrIyEEEENS9_16discard_iteratorINS9_11use_defaultEEEyNS9_4plusIvEEyEEDaPvRmT3_T4_T5_mT6_P12ihipStream_tbENKUlT_T0_E_clISt17integral_constantIbLb1EESX_EEDaSS_ST_EUlSS_E0_NS1_11comp_targetILNS1_3genE2ELNS1_11target_archE906ELNS1_3gpuE6ELNS1_3repE0EEENS1_30default_config_static_selectorELNS0_4arch9wavefront6targetE1EEEvT1_: ; @_ZN7rocprim17ROCPRIM_400000_NS6detail17trampoline_kernelINS0_14default_configENS1_20scan_config_selectorIyEEZZNS1_9scan_implILNS1_25lookback_scan_determinismE0ELb1ELb1ES3_N6thrust23THRUST_200600_302600_NS6detail15normal_iteratorINS9_10device_ptrIyEEEENS9_16discard_iteratorINS9_11use_defaultEEEyNS9_4plusIvEEyEEDaPvRmT3_T4_T5_mT6_P12ihipStream_tbENKUlT_T0_E_clISt17integral_constantIbLb1EESX_EEDaSS_ST_EUlSS_E0_NS1_11comp_targetILNS1_3genE2ELNS1_11target_archE906ELNS1_3gpuE6ELNS1_3repE0EEENS1_30default_config_static_selectorELNS0_4arch9wavefront6targetE1EEEvT1_
; %bb.0:
	.section	.rodata,"a",@progbits
	.p2align	6, 0x0
	.amdhsa_kernel _ZN7rocprim17ROCPRIM_400000_NS6detail17trampoline_kernelINS0_14default_configENS1_20scan_config_selectorIyEEZZNS1_9scan_implILNS1_25lookback_scan_determinismE0ELb1ELb1ES3_N6thrust23THRUST_200600_302600_NS6detail15normal_iteratorINS9_10device_ptrIyEEEENS9_16discard_iteratorINS9_11use_defaultEEEyNS9_4plusIvEEyEEDaPvRmT3_T4_T5_mT6_P12ihipStream_tbENKUlT_T0_E_clISt17integral_constantIbLb1EESX_EEDaSS_ST_EUlSS_E0_NS1_11comp_targetILNS1_3genE2ELNS1_11target_archE906ELNS1_3gpuE6ELNS1_3repE0EEENS1_30default_config_static_selectorELNS0_4arch9wavefront6targetE1EEEvT1_
		.amdhsa_group_segment_fixed_size 0
		.amdhsa_private_segment_fixed_size 0
		.amdhsa_kernarg_size 48
		.amdhsa_user_sgpr_count 6
		.amdhsa_user_sgpr_private_segment_buffer 1
		.amdhsa_user_sgpr_dispatch_ptr 0
		.amdhsa_user_sgpr_queue_ptr 0
		.amdhsa_user_sgpr_kernarg_segment_ptr 1
		.amdhsa_user_sgpr_dispatch_id 0
		.amdhsa_user_sgpr_flat_scratch_init 0
		.amdhsa_user_sgpr_kernarg_preload_length 0
		.amdhsa_user_sgpr_kernarg_preload_offset 0
		.amdhsa_user_sgpr_private_segment_size 0
		.amdhsa_uses_dynamic_stack 0
		.amdhsa_system_sgpr_private_segment_wavefront_offset 0
		.amdhsa_system_sgpr_workgroup_id_x 1
		.amdhsa_system_sgpr_workgroup_id_y 0
		.amdhsa_system_sgpr_workgroup_id_z 0
		.amdhsa_system_sgpr_workgroup_info 0
		.amdhsa_system_vgpr_workitem_id 0
		.amdhsa_next_free_vgpr 1
		.amdhsa_next_free_sgpr 0
		.amdhsa_accum_offset 4
		.amdhsa_reserve_vcc 0
		.amdhsa_reserve_flat_scratch 0
		.amdhsa_float_round_mode_32 0
		.amdhsa_float_round_mode_16_64 0
		.amdhsa_float_denorm_mode_32 3
		.amdhsa_float_denorm_mode_16_64 3
		.amdhsa_dx10_clamp 1
		.amdhsa_ieee_mode 1
		.amdhsa_fp16_overflow 0
		.amdhsa_tg_split 0
		.amdhsa_exception_fp_ieee_invalid_op 0
		.amdhsa_exception_fp_denorm_src 0
		.amdhsa_exception_fp_ieee_div_zero 0
		.amdhsa_exception_fp_ieee_overflow 0
		.amdhsa_exception_fp_ieee_underflow 0
		.amdhsa_exception_fp_ieee_inexact 0
		.amdhsa_exception_int_div_zero 0
	.end_amdhsa_kernel
	.section	.text._ZN7rocprim17ROCPRIM_400000_NS6detail17trampoline_kernelINS0_14default_configENS1_20scan_config_selectorIyEEZZNS1_9scan_implILNS1_25lookback_scan_determinismE0ELb1ELb1ES3_N6thrust23THRUST_200600_302600_NS6detail15normal_iteratorINS9_10device_ptrIyEEEENS9_16discard_iteratorINS9_11use_defaultEEEyNS9_4plusIvEEyEEDaPvRmT3_T4_T5_mT6_P12ihipStream_tbENKUlT_T0_E_clISt17integral_constantIbLb1EESX_EEDaSS_ST_EUlSS_E0_NS1_11comp_targetILNS1_3genE2ELNS1_11target_archE906ELNS1_3gpuE6ELNS1_3repE0EEENS1_30default_config_static_selectorELNS0_4arch9wavefront6targetE1EEEvT1_,"axG",@progbits,_ZN7rocprim17ROCPRIM_400000_NS6detail17trampoline_kernelINS0_14default_configENS1_20scan_config_selectorIyEEZZNS1_9scan_implILNS1_25lookback_scan_determinismE0ELb1ELb1ES3_N6thrust23THRUST_200600_302600_NS6detail15normal_iteratorINS9_10device_ptrIyEEEENS9_16discard_iteratorINS9_11use_defaultEEEyNS9_4plusIvEEyEEDaPvRmT3_T4_T5_mT6_P12ihipStream_tbENKUlT_T0_E_clISt17integral_constantIbLb1EESX_EEDaSS_ST_EUlSS_E0_NS1_11comp_targetILNS1_3genE2ELNS1_11target_archE906ELNS1_3gpuE6ELNS1_3repE0EEENS1_30default_config_static_selectorELNS0_4arch9wavefront6targetE1EEEvT1_,comdat
.Lfunc_end5253:
	.size	_ZN7rocprim17ROCPRIM_400000_NS6detail17trampoline_kernelINS0_14default_configENS1_20scan_config_selectorIyEEZZNS1_9scan_implILNS1_25lookback_scan_determinismE0ELb1ELb1ES3_N6thrust23THRUST_200600_302600_NS6detail15normal_iteratorINS9_10device_ptrIyEEEENS9_16discard_iteratorINS9_11use_defaultEEEyNS9_4plusIvEEyEEDaPvRmT3_T4_T5_mT6_P12ihipStream_tbENKUlT_T0_E_clISt17integral_constantIbLb1EESX_EEDaSS_ST_EUlSS_E0_NS1_11comp_targetILNS1_3genE2ELNS1_11target_archE906ELNS1_3gpuE6ELNS1_3repE0EEENS1_30default_config_static_selectorELNS0_4arch9wavefront6targetE1EEEvT1_, .Lfunc_end5253-_ZN7rocprim17ROCPRIM_400000_NS6detail17trampoline_kernelINS0_14default_configENS1_20scan_config_selectorIyEEZZNS1_9scan_implILNS1_25lookback_scan_determinismE0ELb1ELb1ES3_N6thrust23THRUST_200600_302600_NS6detail15normal_iteratorINS9_10device_ptrIyEEEENS9_16discard_iteratorINS9_11use_defaultEEEyNS9_4plusIvEEyEEDaPvRmT3_T4_T5_mT6_P12ihipStream_tbENKUlT_T0_E_clISt17integral_constantIbLb1EESX_EEDaSS_ST_EUlSS_E0_NS1_11comp_targetILNS1_3genE2ELNS1_11target_archE906ELNS1_3gpuE6ELNS1_3repE0EEENS1_30default_config_static_selectorELNS0_4arch9wavefront6targetE1EEEvT1_
                                        ; -- End function
	.section	.AMDGPU.csdata,"",@progbits
; Kernel info:
; codeLenInByte = 0
; NumSgprs: 4
; NumVgprs: 0
; NumAgprs: 0
; TotalNumVgprs: 0
; ScratchSize: 0
; MemoryBound: 0
; FloatMode: 240
; IeeeMode: 1
; LDSByteSize: 0 bytes/workgroup (compile time only)
; SGPRBlocks: 0
; VGPRBlocks: 0
; NumSGPRsForWavesPerEU: 4
; NumVGPRsForWavesPerEU: 1
; AccumOffset: 4
; Occupancy: 8
; WaveLimiterHint : 0
; COMPUTE_PGM_RSRC2:SCRATCH_EN: 0
; COMPUTE_PGM_RSRC2:USER_SGPR: 6
; COMPUTE_PGM_RSRC2:TRAP_HANDLER: 0
; COMPUTE_PGM_RSRC2:TGID_X_EN: 1
; COMPUTE_PGM_RSRC2:TGID_Y_EN: 0
; COMPUTE_PGM_RSRC2:TGID_Z_EN: 0
; COMPUTE_PGM_RSRC2:TIDIG_COMP_CNT: 0
; COMPUTE_PGM_RSRC3_GFX90A:ACCUM_OFFSET: 0
; COMPUTE_PGM_RSRC3_GFX90A:TG_SPLIT: 0
	.section	.text._ZN7rocprim17ROCPRIM_400000_NS6detail17trampoline_kernelINS0_14default_configENS1_20scan_config_selectorIyEEZZNS1_9scan_implILNS1_25lookback_scan_determinismE0ELb1ELb1ES3_N6thrust23THRUST_200600_302600_NS6detail15normal_iteratorINS9_10device_ptrIyEEEENS9_16discard_iteratorINS9_11use_defaultEEEyNS9_4plusIvEEyEEDaPvRmT3_T4_T5_mT6_P12ihipStream_tbENKUlT_T0_E_clISt17integral_constantIbLb1EESX_EEDaSS_ST_EUlSS_E0_NS1_11comp_targetILNS1_3genE10ELNS1_11target_archE1201ELNS1_3gpuE5ELNS1_3repE0EEENS1_30default_config_static_selectorELNS0_4arch9wavefront6targetE1EEEvT1_,"axG",@progbits,_ZN7rocprim17ROCPRIM_400000_NS6detail17trampoline_kernelINS0_14default_configENS1_20scan_config_selectorIyEEZZNS1_9scan_implILNS1_25lookback_scan_determinismE0ELb1ELb1ES3_N6thrust23THRUST_200600_302600_NS6detail15normal_iteratorINS9_10device_ptrIyEEEENS9_16discard_iteratorINS9_11use_defaultEEEyNS9_4plusIvEEyEEDaPvRmT3_T4_T5_mT6_P12ihipStream_tbENKUlT_T0_E_clISt17integral_constantIbLb1EESX_EEDaSS_ST_EUlSS_E0_NS1_11comp_targetILNS1_3genE10ELNS1_11target_archE1201ELNS1_3gpuE5ELNS1_3repE0EEENS1_30default_config_static_selectorELNS0_4arch9wavefront6targetE1EEEvT1_,comdat
	.protected	_ZN7rocprim17ROCPRIM_400000_NS6detail17trampoline_kernelINS0_14default_configENS1_20scan_config_selectorIyEEZZNS1_9scan_implILNS1_25lookback_scan_determinismE0ELb1ELb1ES3_N6thrust23THRUST_200600_302600_NS6detail15normal_iteratorINS9_10device_ptrIyEEEENS9_16discard_iteratorINS9_11use_defaultEEEyNS9_4plusIvEEyEEDaPvRmT3_T4_T5_mT6_P12ihipStream_tbENKUlT_T0_E_clISt17integral_constantIbLb1EESX_EEDaSS_ST_EUlSS_E0_NS1_11comp_targetILNS1_3genE10ELNS1_11target_archE1201ELNS1_3gpuE5ELNS1_3repE0EEENS1_30default_config_static_selectorELNS0_4arch9wavefront6targetE1EEEvT1_ ; -- Begin function _ZN7rocprim17ROCPRIM_400000_NS6detail17trampoline_kernelINS0_14default_configENS1_20scan_config_selectorIyEEZZNS1_9scan_implILNS1_25lookback_scan_determinismE0ELb1ELb1ES3_N6thrust23THRUST_200600_302600_NS6detail15normal_iteratorINS9_10device_ptrIyEEEENS9_16discard_iteratorINS9_11use_defaultEEEyNS9_4plusIvEEyEEDaPvRmT3_T4_T5_mT6_P12ihipStream_tbENKUlT_T0_E_clISt17integral_constantIbLb1EESX_EEDaSS_ST_EUlSS_E0_NS1_11comp_targetILNS1_3genE10ELNS1_11target_archE1201ELNS1_3gpuE5ELNS1_3repE0EEENS1_30default_config_static_selectorELNS0_4arch9wavefront6targetE1EEEvT1_
	.globl	_ZN7rocprim17ROCPRIM_400000_NS6detail17trampoline_kernelINS0_14default_configENS1_20scan_config_selectorIyEEZZNS1_9scan_implILNS1_25lookback_scan_determinismE0ELb1ELb1ES3_N6thrust23THRUST_200600_302600_NS6detail15normal_iteratorINS9_10device_ptrIyEEEENS9_16discard_iteratorINS9_11use_defaultEEEyNS9_4plusIvEEyEEDaPvRmT3_T4_T5_mT6_P12ihipStream_tbENKUlT_T0_E_clISt17integral_constantIbLb1EESX_EEDaSS_ST_EUlSS_E0_NS1_11comp_targetILNS1_3genE10ELNS1_11target_archE1201ELNS1_3gpuE5ELNS1_3repE0EEENS1_30default_config_static_selectorELNS0_4arch9wavefront6targetE1EEEvT1_
	.p2align	8
	.type	_ZN7rocprim17ROCPRIM_400000_NS6detail17trampoline_kernelINS0_14default_configENS1_20scan_config_selectorIyEEZZNS1_9scan_implILNS1_25lookback_scan_determinismE0ELb1ELb1ES3_N6thrust23THRUST_200600_302600_NS6detail15normal_iteratorINS9_10device_ptrIyEEEENS9_16discard_iteratorINS9_11use_defaultEEEyNS9_4plusIvEEyEEDaPvRmT3_T4_T5_mT6_P12ihipStream_tbENKUlT_T0_E_clISt17integral_constantIbLb1EESX_EEDaSS_ST_EUlSS_E0_NS1_11comp_targetILNS1_3genE10ELNS1_11target_archE1201ELNS1_3gpuE5ELNS1_3repE0EEENS1_30default_config_static_selectorELNS0_4arch9wavefront6targetE1EEEvT1_,@function
_ZN7rocprim17ROCPRIM_400000_NS6detail17trampoline_kernelINS0_14default_configENS1_20scan_config_selectorIyEEZZNS1_9scan_implILNS1_25lookback_scan_determinismE0ELb1ELb1ES3_N6thrust23THRUST_200600_302600_NS6detail15normal_iteratorINS9_10device_ptrIyEEEENS9_16discard_iteratorINS9_11use_defaultEEEyNS9_4plusIvEEyEEDaPvRmT3_T4_T5_mT6_P12ihipStream_tbENKUlT_T0_E_clISt17integral_constantIbLb1EESX_EEDaSS_ST_EUlSS_E0_NS1_11comp_targetILNS1_3genE10ELNS1_11target_archE1201ELNS1_3gpuE5ELNS1_3repE0EEENS1_30default_config_static_selectorELNS0_4arch9wavefront6targetE1EEEvT1_: ; @_ZN7rocprim17ROCPRIM_400000_NS6detail17trampoline_kernelINS0_14default_configENS1_20scan_config_selectorIyEEZZNS1_9scan_implILNS1_25lookback_scan_determinismE0ELb1ELb1ES3_N6thrust23THRUST_200600_302600_NS6detail15normal_iteratorINS9_10device_ptrIyEEEENS9_16discard_iteratorINS9_11use_defaultEEEyNS9_4plusIvEEyEEDaPvRmT3_T4_T5_mT6_P12ihipStream_tbENKUlT_T0_E_clISt17integral_constantIbLb1EESX_EEDaSS_ST_EUlSS_E0_NS1_11comp_targetILNS1_3genE10ELNS1_11target_archE1201ELNS1_3gpuE5ELNS1_3repE0EEENS1_30default_config_static_selectorELNS0_4arch9wavefront6targetE1EEEvT1_
; %bb.0:
	.section	.rodata,"a",@progbits
	.p2align	6, 0x0
	.amdhsa_kernel _ZN7rocprim17ROCPRIM_400000_NS6detail17trampoline_kernelINS0_14default_configENS1_20scan_config_selectorIyEEZZNS1_9scan_implILNS1_25lookback_scan_determinismE0ELb1ELb1ES3_N6thrust23THRUST_200600_302600_NS6detail15normal_iteratorINS9_10device_ptrIyEEEENS9_16discard_iteratorINS9_11use_defaultEEEyNS9_4plusIvEEyEEDaPvRmT3_T4_T5_mT6_P12ihipStream_tbENKUlT_T0_E_clISt17integral_constantIbLb1EESX_EEDaSS_ST_EUlSS_E0_NS1_11comp_targetILNS1_3genE10ELNS1_11target_archE1201ELNS1_3gpuE5ELNS1_3repE0EEENS1_30default_config_static_selectorELNS0_4arch9wavefront6targetE1EEEvT1_
		.amdhsa_group_segment_fixed_size 0
		.amdhsa_private_segment_fixed_size 0
		.amdhsa_kernarg_size 48
		.amdhsa_user_sgpr_count 6
		.amdhsa_user_sgpr_private_segment_buffer 1
		.amdhsa_user_sgpr_dispatch_ptr 0
		.amdhsa_user_sgpr_queue_ptr 0
		.amdhsa_user_sgpr_kernarg_segment_ptr 1
		.amdhsa_user_sgpr_dispatch_id 0
		.amdhsa_user_sgpr_flat_scratch_init 0
		.amdhsa_user_sgpr_kernarg_preload_length 0
		.amdhsa_user_sgpr_kernarg_preload_offset 0
		.amdhsa_user_sgpr_private_segment_size 0
		.amdhsa_uses_dynamic_stack 0
		.amdhsa_system_sgpr_private_segment_wavefront_offset 0
		.amdhsa_system_sgpr_workgroup_id_x 1
		.amdhsa_system_sgpr_workgroup_id_y 0
		.amdhsa_system_sgpr_workgroup_id_z 0
		.amdhsa_system_sgpr_workgroup_info 0
		.amdhsa_system_vgpr_workitem_id 0
		.amdhsa_next_free_vgpr 1
		.amdhsa_next_free_sgpr 0
		.amdhsa_accum_offset 4
		.amdhsa_reserve_vcc 0
		.amdhsa_reserve_flat_scratch 0
		.amdhsa_float_round_mode_32 0
		.amdhsa_float_round_mode_16_64 0
		.amdhsa_float_denorm_mode_32 3
		.amdhsa_float_denorm_mode_16_64 3
		.amdhsa_dx10_clamp 1
		.amdhsa_ieee_mode 1
		.amdhsa_fp16_overflow 0
		.amdhsa_tg_split 0
		.amdhsa_exception_fp_ieee_invalid_op 0
		.amdhsa_exception_fp_denorm_src 0
		.amdhsa_exception_fp_ieee_div_zero 0
		.amdhsa_exception_fp_ieee_overflow 0
		.amdhsa_exception_fp_ieee_underflow 0
		.amdhsa_exception_fp_ieee_inexact 0
		.amdhsa_exception_int_div_zero 0
	.end_amdhsa_kernel
	.section	.text._ZN7rocprim17ROCPRIM_400000_NS6detail17trampoline_kernelINS0_14default_configENS1_20scan_config_selectorIyEEZZNS1_9scan_implILNS1_25lookback_scan_determinismE0ELb1ELb1ES3_N6thrust23THRUST_200600_302600_NS6detail15normal_iteratorINS9_10device_ptrIyEEEENS9_16discard_iteratorINS9_11use_defaultEEEyNS9_4plusIvEEyEEDaPvRmT3_T4_T5_mT6_P12ihipStream_tbENKUlT_T0_E_clISt17integral_constantIbLb1EESX_EEDaSS_ST_EUlSS_E0_NS1_11comp_targetILNS1_3genE10ELNS1_11target_archE1201ELNS1_3gpuE5ELNS1_3repE0EEENS1_30default_config_static_selectorELNS0_4arch9wavefront6targetE1EEEvT1_,"axG",@progbits,_ZN7rocprim17ROCPRIM_400000_NS6detail17trampoline_kernelINS0_14default_configENS1_20scan_config_selectorIyEEZZNS1_9scan_implILNS1_25lookback_scan_determinismE0ELb1ELb1ES3_N6thrust23THRUST_200600_302600_NS6detail15normal_iteratorINS9_10device_ptrIyEEEENS9_16discard_iteratorINS9_11use_defaultEEEyNS9_4plusIvEEyEEDaPvRmT3_T4_T5_mT6_P12ihipStream_tbENKUlT_T0_E_clISt17integral_constantIbLb1EESX_EEDaSS_ST_EUlSS_E0_NS1_11comp_targetILNS1_3genE10ELNS1_11target_archE1201ELNS1_3gpuE5ELNS1_3repE0EEENS1_30default_config_static_selectorELNS0_4arch9wavefront6targetE1EEEvT1_,comdat
.Lfunc_end5254:
	.size	_ZN7rocprim17ROCPRIM_400000_NS6detail17trampoline_kernelINS0_14default_configENS1_20scan_config_selectorIyEEZZNS1_9scan_implILNS1_25lookback_scan_determinismE0ELb1ELb1ES3_N6thrust23THRUST_200600_302600_NS6detail15normal_iteratorINS9_10device_ptrIyEEEENS9_16discard_iteratorINS9_11use_defaultEEEyNS9_4plusIvEEyEEDaPvRmT3_T4_T5_mT6_P12ihipStream_tbENKUlT_T0_E_clISt17integral_constantIbLb1EESX_EEDaSS_ST_EUlSS_E0_NS1_11comp_targetILNS1_3genE10ELNS1_11target_archE1201ELNS1_3gpuE5ELNS1_3repE0EEENS1_30default_config_static_selectorELNS0_4arch9wavefront6targetE1EEEvT1_, .Lfunc_end5254-_ZN7rocprim17ROCPRIM_400000_NS6detail17trampoline_kernelINS0_14default_configENS1_20scan_config_selectorIyEEZZNS1_9scan_implILNS1_25lookback_scan_determinismE0ELb1ELb1ES3_N6thrust23THRUST_200600_302600_NS6detail15normal_iteratorINS9_10device_ptrIyEEEENS9_16discard_iteratorINS9_11use_defaultEEEyNS9_4plusIvEEyEEDaPvRmT3_T4_T5_mT6_P12ihipStream_tbENKUlT_T0_E_clISt17integral_constantIbLb1EESX_EEDaSS_ST_EUlSS_E0_NS1_11comp_targetILNS1_3genE10ELNS1_11target_archE1201ELNS1_3gpuE5ELNS1_3repE0EEENS1_30default_config_static_selectorELNS0_4arch9wavefront6targetE1EEEvT1_
                                        ; -- End function
	.section	.AMDGPU.csdata,"",@progbits
; Kernel info:
; codeLenInByte = 0
; NumSgprs: 4
; NumVgprs: 0
; NumAgprs: 0
; TotalNumVgprs: 0
; ScratchSize: 0
; MemoryBound: 0
; FloatMode: 240
; IeeeMode: 1
; LDSByteSize: 0 bytes/workgroup (compile time only)
; SGPRBlocks: 0
; VGPRBlocks: 0
; NumSGPRsForWavesPerEU: 4
; NumVGPRsForWavesPerEU: 1
; AccumOffset: 4
; Occupancy: 8
; WaveLimiterHint : 0
; COMPUTE_PGM_RSRC2:SCRATCH_EN: 0
; COMPUTE_PGM_RSRC2:USER_SGPR: 6
; COMPUTE_PGM_RSRC2:TRAP_HANDLER: 0
; COMPUTE_PGM_RSRC2:TGID_X_EN: 1
; COMPUTE_PGM_RSRC2:TGID_Y_EN: 0
; COMPUTE_PGM_RSRC2:TGID_Z_EN: 0
; COMPUTE_PGM_RSRC2:TIDIG_COMP_CNT: 0
; COMPUTE_PGM_RSRC3_GFX90A:ACCUM_OFFSET: 0
; COMPUTE_PGM_RSRC3_GFX90A:TG_SPLIT: 0
	.section	.text._ZN7rocprim17ROCPRIM_400000_NS6detail17trampoline_kernelINS0_14default_configENS1_20scan_config_selectorIyEEZZNS1_9scan_implILNS1_25lookback_scan_determinismE0ELb1ELb1ES3_N6thrust23THRUST_200600_302600_NS6detail15normal_iteratorINS9_10device_ptrIyEEEENS9_16discard_iteratorINS9_11use_defaultEEEyNS9_4plusIvEEyEEDaPvRmT3_T4_T5_mT6_P12ihipStream_tbENKUlT_T0_E_clISt17integral_constantIbLb1EESX_EEDaSS_ST_EUlSS_E0_NS1_11comp_targetILNS1_3genE10ELNS1_11target_archE1200ELNS1_3gpuE4ELNS1_3repE0EEENS1_30default_config_static_selectorELNS0_4arch9wavefront6targetE1EEEvT1_,"axG",@progbits,_ZN7rocprim17ROCPRIM_400000_NS6detail17trampoline_kernelINS0_14default_configENS1_20scan_config_selectorIyEEZZNS1_9scan_implILNS1_25lookback_scan_determinismE0ELb1ELb1ES3_N6thrust23THRUST_200600_302600_NS6detail15normal_iteratorINS9_10device_ptrIyEEEENS9_16discard_iteratorINS9_11use_defaultEEEyNS9_4plusIvEEyEEDaPvRmT3_T4_T5_mT6_P12ihipStream_tbENKUlT_T0_E_clISt17integral_constantIbLb1EESX_EEDaSS_ST_EUlSS_E0_NS1_11comp_targetILNS1_3genE10ELNS1_11target_archE1200ELNS1_3gpuE4ELNS1_3repE0EEENS1_30default_config_static_selectorELNS0_4arch9wavefront6targetE1EEEvT1_,comdat
	.protected	_ZN7rocprim17ROCPRIM_400000_NS6detail17trampoline_kernelINS0_14default_configENS1_20scan_config_selectorIyEEZZNS1_9scan_implILNS1_25lookback_scan_determinismE0ELb1ELb1ES3_N6thrust23THRUST_200600_302600_NS6detail15normal_iteratorINS9_10device_ptrIyEEEENS9_16discard_iteratorINS9_11use_defaultEEEyNS9_4plusIvEEyEEDaPvRmT3_T4_T5_mT6_P12ihipStream_tbENKUlT_T0_E_clISt17integral_constantIbLb1EESX_EEDaSS_ST_EUlSS_E0_NS1_11comp_targetILNS1_3genE10ELNS1_11target_archE1200ELNS1_3gpuE4ELNS1_3repE0EEENS1_30default_config_static_selectorELNS0_4arch9wavefront6targetE1EEEvT1_ ; -- Begin function _ZN7rocprim17ROCPRIM_400000_NS6detail17trampoline_kernelINS0_14default_configENS1_20scan_config_selectorIyEEZZNS1_9scan_implILNS1_25lookback_scan_determinismE0ELb1ELb1ES3_N6thrust23THRUST_200600_302600_NS6detail15normal_iteratorINS9_10device_ptrIyEEEENS9_16discard_iteratorINS9_11use_defaultEEEyNS9_4plusIvEEyEEDaPvRmT3_T4_T5_mT6_P12ihipStream_tbENKUlT_T0_E_clISt17integral_constantIbLb1EESX_EEDaSS_ST_EUlSS_E0_NS1_11comp_targetILNS1_3genE10ELNS1_11target_archE1200ELNS1_3gpuE4ELNS1_3repE0EEENS1_30default_config_static_selectorELNS0_4arch9wavefront6targetE1EEEvT1_
	.globl	_ZN7rocprim17ROCPRIM_400000_NS6detail17trampoline_kernelINS0_14default_configENS1_20scan_config_selectorIyEEZZNS1_9scan_implILNS1_25lookback_scan_determinismE0ELb1ELb1ES3_N6thrust23THRUST_200600_302600_NS6detail15normal_iteratorINS9_10device_ptrIyEEEENS9_16discard_iteratorINS9_11use_defaultEEEyNS9_4plusIvEEyEEDaPvRmT3_T4_T5_mT6_P12ihipStream_tbENKUlT_T0_E_clISt17integral_constantIbLb1EESX_EEDaSS_ST_EUlSS_E0_NS1_11comp_targetILNS1_3genE10ELNS1_11target_archE1200ELNS1_3gpuE4ELNS1_3repE0EEENS1_30default_config_static_selectorELNS0_4arch9wavefront6targetE1EEEvT1_
	.p2align	8
	.type	_ZN7rocprim17ROCPRIM_400000_NS6detail17trampoline_kernelINS0_14default_configENS1_20scan_config_selectorIyEEZZNS1_9scan_implILNS1_25lookback_scan_determinismE0ELb1ELb1ES3_N6thrust23THRUST_200600_302600_NS6detail15normal_iteratorINS9_10device_ptrIyEEEENS9_16discard_iteratorINS9_11use_defaultEEEyNS9_4plusIvEEyEEDaPvRmT3_T4_T5_mT6_P12ihipStream_tbENKUlT_T0_E_clISt17integral_constantIbLb1EESX_EEDaSS_ST_EUlSS_E0_NS1_11comp_targetILNS1_3genE10ELNS1_11target_archE1200ELNS1_3gpuE4ELNS1_3repE0EEENS1_30default_config_static_selectorELNS0_4arch9wavefront6targetE1EEEvT1_,@function
_ZN7rocprim17ROCPRIM_400000_NS6detail17trampoline_kernelINS0_14default_configENS1_20scan_config_selectorIyEEZZNS1_9scan_implILNS1_25lookback_scan_determinismE0ELb1ELb1ES3_N6thrust23THRUST_200600_302600_NS6detail15normal_iteratorINS9_10device_ptrIyEEEENS9_16discard_iteratorINS9_11use_defaultEEEyNS9_4plusIvEEyEEDaPvRmT3_T4_T5_mT6_P12ihipStream_tbENKUlT_T0_E_clISt17integral_constantIbLb1EESX_EEDaSS_ST_EUlSS_E0_NS1_11comp_targetILNS1_3genE10ELNS1_11target_archE1200ELNS1_3gpuE4ELNS1_3repE0EEENS1_30default_config_static_selectorELNS0_4arch9wavefront6targetE1EEEvT1_: ; @_ZN7rocprim17ROCPRIM_400000_NS6detail17trampoline_kernelINS0_14default_configENS1_20scan_config_selectorIyEEZZNS1_9scan_implILNS1_25lookback_scan_determinismE0ELb1ELb1ES3_N6thrust23THRUST_200600_302600_NS6detail15normal_iteratorINS9_10device_ptrIyEEEENS9_16discard_iteratorINS9_11use_defaultEEEyNS9_4plusIvEEyEEDaPvRmT3_T4_T5_mT6_P12ihipStream_tbENKUlT_T0_E_clISt17integral_constantIbLb1EESX_EEDaSS_ST_EUlSS_E0_NS1_11comp_targetILNS1_3genE10ELNS1_11target_archE1200ELNS1_3gpuE4ELNS1_3repE0EEENS1_30default_config_static_selectorELNS0_4arch9wavefront6targetE1EEEvT1_
; %bb.0:
	.section	.rodata,"a",@progbits
	.p2align	6, 0x0
	.amdhsa_kernel _ZN7rocprim17ROCPRIM_400000_NS6detail17trampoline_kernelINS0_14default_configENS1_20scan_config_selectorIyEEZZNS1_9scan_implILNS1_25lookback_scan_determinismE0ELb1ELb1ES3_N6thrust23THRUST_200600_302600_NS6detail15normal_iteratorINS9_10device_ptrIyEEEENS9_16discard_iteratorINS9_11use_defaultEEEyNS9_4plusIvEEyEEDaPvRmT3_T4_T5_mT6_P12ihipStream_tbENKUlT_T0_E_clISt17integral_constantIbLb1EESX_EEDaSS_ST_EUlSS_E0_NS1_11comp_targetILNS1_3genE10ELNS1_11target_archE1200ELNS1_3gpuE4ELNS1_3repE0EEENS1_30default_config_static_selectorELNS0_4arch9wavefront6targetE1EEEvT1_
		.amdhsa_group_segment_fixed_size 0
		.amdhsa_private_segment_fixed_size 0
		.amdhsa_kernarg_size 48
		.amdhsa_user_sgpr_count 6
		.amdhsa_user_sgpr_private_segment_buffer 1
		.amdhsa_user_sgpr_dispatch_ptr 0
		.amdhsa_user_sgpr_queue_ptr 0
		.amdhsa_user_sgpr_kernarg_segment_ptr 1
		.amdhsa_user_sgpr_dispatch_id 0
		.amdhsa_user_sgpr_flat_scratch_init 0
		.amdhsa_user_sgpr_kernarg_preload_length 0
		.amdhsa_user_sgpr_kernarg_preload_offset 0
		.amdhsa_user_sgpr_private_segment_size 0
		.amdhsa_uses_dynamic_stack 0
		.amdhsa_system_sgpr_private_segment_wavefront_offset 0
		.amdhsa_system_sgpr_workgroup_id_x 1
		.amdhsa_system_sgpr_workgroup_id_y 0
		.amdhsa_system_sgpr_workgroup_id_z 0
		.amdhsa_system_sgpr_workgroup_info 0
		.amdhsa_system_vgpr_workitem_id 0
		.amdhsa_next_free_vgpr 1
		.amdhsa_next_free_sgpr 0
		.amdhsa_accum_offset 4
		.amdhsa_reserve_vcc 0
		.amdhsa_reserve_flat_scratch 0
		.amdhsa_float_round_mode_32 0
		.amdhsa_float_round_mode_16_64 0
		.amdhsa_float_denorm_mode_32 3
		.amdhsa_float_denorm_mode_16_64 3
		.amdhsa_dx10_clamp 1
		.amdhsa_ieee_mode 1
		.amdhsa_fp16_overflow 0
		.amdhsa_tg_split 0
		.amdhsa_exception_fp_ieee_invalid_op 0
		.amdhsa_exception_fp_denorm_src 0
		.amdhsa_exception_fp_ieee_div_zero 0
		.amdhsa_exception_fp_ieee_overflow 0
		.amdhsa_exception_fp_ieee_underflow 0
		.amdhsa_exception_fp_ieee_inexact 0
		.amdhsa_exception_int_div_zero 0
	.end_amdhsa_kernel
	.section	.text._ZN7rocprim17ROCPRIM_400000_NS6detail17trampoline_kernelINS0_14default_configENS1_20scan_config_selectorIyEEZZNS1_9scan_implILNS1_25lookback_scan_determinismE0ELb1ELb1ES3_N6thrust23THRUST_200600_302600_NS6detail15normal_iteratorINS9_10device_ptrIyEEEENS9_16discard_iteratorINS9_11use_defaultEEEyNS9_4plusIvEEyEEDaPvRmT3_T4_T5_mT6_P12ihipStream_tbENKUlT_T0_E_clISt17integral_constantIbLb1EESX_EEDaSS_ST_EUlSS_E0_NS1_11comp_targetILNS1_3genE10ELNS1_11target_archE1200ELNS1_3gpuE4ELNS1_3repE0EEENS1_30default_config_static_selectorELNS0_4arch9wavefront6targetE1EEEvT1_,"axG",@progbits,_ZN7rocprim17ROCPRIM_400000_NS6detail17trampoline_kernelINS0_14default_configENS1_20scan_config_selectorIyEEZZNS1_9scan_implILNS1_25lookback_scan_determinismE0ELb1ELb1ES3_N6thrust23THRUST_200600_302600_NS6detail15normal_iteratorINS9_10device_ptrIyEEEENS9_16discard_iteratorINS9_11use_defaultEEEyNS9_4plusIvEEyEEDaPvRmT3_T4_T5_mT6_P12ihipStream_tbENKUlT_T0_E_clISt17integral_constantIbLb1EESX_EEDaSS_ST_EUlSS_E0_NS1_11comp_targetILNS1_3genE10ELNS1_11target_archE1200ELNS1_3gpuE4ELNS1_3repE0EEENS1_30default_config_static_selectorELNS0_4arch9wavefront6targetE1EEEvT1_,comdat
.Lfunc_end5255:
	.size	_ZN7rocprim17ROCPRIM_400000_NS6detail17trampoline_kernelINS0_14default_configENS1_20scan_config_selectorIyEEZZNS1_9scan_implILNS1_25lookback_scan_determinismE0ELb1ELb1ES3_N6thrust23THRUST_200600_302600_NS6detail15normal_iteratorINS9_10device_ptrIyEEEENS9_16discard_iteratorINS9_11use_defaultEEEyNS9_4plusIvEEyEEDaPvRmT3_T4_T5_mT6_P12ihipStream_tbENKUlT_T0_E_clISt17integral_constantIbLb1EESX_EEDaSS_ST_EUlSS_E0_NS1_11comp_targetILNS1_3genE10ELNS1_11target_archE1200ELNS1_3gpuE4ELNS1_3repE0EEENS1_30default_config_static_selectorELNS0_4arch9wavefront6targetE1EEEvT1_, .Lfunc_end5255-_ZN7rocprim17ROCPRIM_400000_NS6detail17trampoline_kernelINS0_14default_configENS1_20scan_config_selectorIyEEZZNS1_9scan_implILNS1_25lookback_scan_determinismE0ELb1ELb1ES3_N6thrust23THRUST_200600_302600_NS6detail15normal_iteratorINS9_10device_ptrIyEEEENS9_16discard_iteratorINS9_11use_defaultEEEyNS9_4plusIvEEyEEDaPvRmT3_T4_T5_mT6_P12ihipStream_tbENKUlT_T0_E_clISt17integral_constantIbLb1EESX_EEDaSS_ST_EUlSS_E0_NS1_11comp_targetILNS1_3genE10ELNS1_11target_archE1200ELNS1_3gpuE4ELNS1_3repE0EEENS1_30default_config_static_selectorELNS0_4arch9wavefront6targetE1EEEvT1_
                                        ; -- End function
	.section	.AMDGPU.csdata,"",@progbits
; Kernel info:
; codeLenInByte = 0
; NumSgprs: 4
; NumVgprs: 0
; NumAgprs: 0
; TotalNumVgprs: 0
; ScratchSize: 0
; MemoryBound: 0
; FloatMode: 240
; IeeeMode: 1
; LDSByteSize: 0 bytes/workgroup (compile time only)
; SGPRBlocks: 0
; VGPRBlocks: 0
; NumSGPRsForWavesPerEU: 4
; NumVGPRsForWavesPerEU: 1
; AccumOffset: 4
; Occupancy: 8
; WaveLimiterHint : 0
; COMPUTE_PGM_RSRC2:SCRATCH_EN: 0
; COMPUTE_PGM_RSRC2:USER_SGPR: 6
; COMPUTE_PGM_RSRC2:TRAP_HANDLER: 0
; COMPUTE_PGM_RSRC2:TGID_X_EN: 1
; COMPUTE_PGM_RSRC2:TGID_Y_EN: 0
; COMPUTE_PGM_RSRC2:TGID_Z_EN: 0
; COMPUTE_PGM_RSRC2:TIDIG_COMP_CNT: 0
; COMPUTE_PGM_RSRC3_GFX90A:ACCUM_OFFSET: 0
; COMPUTE_PGM_RSRC3_GFX90A:TG_SPLIT: 0
	.section	.text._ZN7rocprim17ROCPRIM_400000_NS6detail17trampoline_kernelINS0_14default_configENS1_20scan_config_selectorIyEEZZNS1_9scan_implILNS1_25lookback_scan_determinismE0ELb1ELb1ES3_N6thrust23THRUST_200600_302600_NS6detail15normal_iteratorINS9_10device_ptrIyEEEENS9_16discard_iteratorINS9_11use_defaultEEEyNS9_4plusIvEEyEEDaPvRmT3_T4_T5_mT6_P12ihipStream_tbENKUlT_T0_E_clISt17integral_constantIbLb1EESX_EEDaSS_ST_EUlSS_E0_NS1_11comp_targetILNS1_3genE9ELNS1_11target_archE1100ELNS1_3gpuE3ELNS1_3repE0EEENS1_30default_config_static_selectorELNS0_4arch9wavefront6targetE1EEEvT1_,"axG",@progbits,_ZN7rocprim17ROCPRIM_400000_NS6detail17trampoline_kernelINS0_14default_configENS1_20scan_config_selectorIyEEZZNS1_9scan_implILNS1_25lookback_scan_determinismE0ELb1ELb1ES3_N6thrust23THRUST_200600_302600_NS6detail15normal_iteratorINS9_10device_ptrIyEEEENS9_16discard_iteratorINS9_11use_defaultEEEyNS9_4plusIvEEyEEDaPvRmT3_T4_T5_mT6_P12ihipStream_tbENKUlT_T0_E_clISt17integral_constantIbLb1EESX_EEDaSS_ST_EUlSS_E0_NS1_11comp_targetILNS1_3genE9ELNS1_11target_archE1100ELNS1_3gpuE3ELNS1_3repE0EEENS1_30default_config_static_selectorELNS0_4arch9wavefront6targetE1EEEvT1_,comdat
	.protected	_ZN7rocprim17ROCPRIM_400000_NS6detail17trampoline_kernelINS0_14default_configENS1_20scan_config_selectorIyEEZZNS1_9scan_implILNS1_25lookback_scan_determinismE0ELb1ELb1ES3_N6thrust23THRUST_200600_302600_NS6detail15normal_iteratorINS9_10device_ptrIyEEEENS9_16discard_iteratorINS9_11use_defaultEEEyNS9_4plusIvEEyEEDaPvRmT3_T4_T5_mT6_P12ihipStream_tbENKUlT_T0_E_clISt17integral_constantIbLb1EESX_EEDaSS_ST_EUlSS_E0_NS1_11comp_targetILNS1_3genE9ELNS1_11target_archE1100ELNS1_3gpuE3ELNS1_3repE0EEENS1_30default_config_static_selectorELNS0_4arch9wavefront6targetE1EEEvT1_ ; -- Begin function _ZN7rocprim17ROCPRIM_400000_NS6detail17trampoline_kernelINS0_14default_configENS1_20scan_config_selectorIyEEZZNS1_9scan_implILNS1_25lookback_scan_determinismE0ELb1ELb1ES3_N6thrust23THRUST_200600_302600_NS6detail15normal_iteratorINS9_10device_ptrIyEEEENS9_16discard_iteratorINS9_11use_defaultEEEyNS9_4plusIvEEyEEDaPvRmT3_T4_T5_mT6_P12ihipStream_tbENKUlT_T0_E_clISt17integral_constantIbLb1EESX_EEDaSS_ST_EUlSS_E0_NS1_11comp_targetILNS1_3genE9ELNS1_11target_archE1100ELNS1_3gpuE3ELNS1_3repE0EEENS1_30default_config_static_selectorELNS0_4arch9wavefront6targetE1EEEvT1_
	.globl	_ZN7rocprim17ROCPRIM_400000_NS6detail17trampoline_kernelINS0_14default_configENS1_20scan_config_selectorIyEEZZNS1_9scan_implILNS1_25lookback_scan_determinismE0ELb1ELb1ES3_N6thrust23THRUST_200600_302600_NS6detail15normal_iteratorINS9_10device_ptrIyEEEENS9_16discard_iteratorINS9_11use_defaultEEEyNS9_4plusIvEEyEEDaPvRmT3_T4_T5_mT6_P12ihipStream_tbENKUlT_T0_E_clISt17integral_constantIbLb1EESX_EEDaSS_ST_EUlSS_E0_NS1_11comp_targetILNS1_3genE9ELNS1_11target_archE1100ELNS1_3gpuE3ELNS1_3repE0EEENS1_30default_config_static_selectorELNS0_4arch9wavefront6targetE1EEEvT1_
	.p2align	8
	.type	_ZN7rocprim17ROCPRIM_400000_NS6detail17trampoline_kernelINS0_14default_configENS1_20scan_config_selectorIyEEZZNS1_9scan_implILNS1_25lookback_scan_determinismE0ELb1ELb1ES3_N6thrust23THRUST_200600_302600_NS6detail15normal_iteratorINS9_10device_ptrIyEEEENS9_16discard_iteratorINS9_11use_defaultEEEyNS9_4plusIvEEyEEDaPvRmT3_T4_T5_mT6_P12ihipStream_tbENKUlT_T0_E_clISt17integral_constantIbLb1EESX_EEDaSS_ST_EUlSS_E0_NS1_11comp_targetILNS1_3genE9ELNS1_11target_archE1100ELNS1_3gpuE3ELNS1_3repE0EEENS1_30default_config_static_selectorELNS0_4arch9wavefront6targetE1EEEvT1_,@function
_ZN7rocprim17ROCPRIM_400000_NS6detail17trampoline_kernelINS0_14default_configENS1_20scan_config_selectorIyEEZZNS1_9scan_implILNS1_25lookback_scan_determinismE0ELb1ELb1ES3_N6thrust23THRUST_200600_302600_NS6detail15normal_iteratorINS9_10device_ptrIyEEEENS9_16discard_iteratorINS9_11use_defaultEEEyNS9_4plusIvEEyEEDaPvRmT3_T4_T5_mT6_P12ihipStream_tbENKUlT_T0_E_clISt17integral_constantIbLb1EESX_EEDaSS_ST_EUlSS_E0_NS1_11comp_targetILNS1_3genE9ELNS1_11target_archE1100ELNS1_3gpuE3ELNS1_3repE0EEENS1_30default_config_static_selectorELNS0_4arch9wavefront6targetE1EEEvT1_: ; @_ZN7rocprim17ROCPRIM_400000_NS6detail17trampoline_kernelINS0_14default_configENS1_20scan_config_selectorIyEEZZNS1_9scan_implILNS1_25lookback_scan_determinismE0ELb1ELb1ES3_N6thrust23THRUST_200600_302600_NS6detail15normal_iteratorINS9_10device_ptrIyEEEENS9_16discard_iteratorINS9_11use_defaultEEEyNS9_4plusIvEEyEEDaPvRmT3_T4_T5_mT6_P12ihipStream_tbENKUlT_T0_E_clISt17integral_constantIbLb1EESX_EEDaSS_ST_EUlSS_E0_NS1_11comp_targetILNS1_3genE9ELNS1_11target_archE1100ELNS1_3gpuE3ELNS1_3repE0EEENS1_30default_config_static_selectorELNS0_4arch9wavefront6targetE1EEEvT1_
; %bb.0:
	.section	.rodata,"a",@progbits
	.p2align	6, 0x0
	.amdhsa_kernel _ZN7rocprim17ROCPRIM_400000_NS6detail17trampoline_kernelINS0_14default_configENS1_20scan_config_selectorIyEEZZNS1_9scan_implILNS1_25lookback_scan_determinismE0ELb1ELb1ES3_N6thrust23THRUST_200600_302600_NS6detail15normal_iteratorINS9_10device_ptrIyEEEENS9_16discard_iteratorINS9_11use_defaultEEEyNS9_4plusIvEEyEEDaPvRmT3_T4_T5_mT6_P12ihipStream_tbENKUlT_T0_E_clISt17integral_constantIbLb1EESX_EEDaSS_ST_EUlSS_E0_NS1_11comp_targetILNS1_3genE9ELNS1_11target_archE1100ELNS1_3gpuE3ELNS1_3repE0EEENS1_30default_config_static_selectorELNS0_4arch9wavefront6targetE1EEEvT1_
		.amdhsa_group_segment_fixed_size 0
		.amdhsa_private_segment_fixed_size 0
		.amdhsa_kernarg_size 48
		.amdhsa_user_sgpr_count 6
		.amdhsa_user_sgpr_private_segment_buffer 1
		.amdhsa_user_sgpr_dispatch_ptr 0
		.amdhsa_user_sgpr_queue_ptr 0
		.amdhsa_user_sgpr_kernarg_segment_ptr 1
		.amdhsa_user_sgpr_dispatch_id 0
		.amdhsa_user_sgpr_flat_scratch_init 0
		.amdhsa_user_sgpr_kernarg_preload_length 0
		.amdhsa_user_sgpr_kernarg_preload_offset 0
		.amdhsa_user_sgpr_private_segment_size 0
		.amdhsa_uses_dynamic_stack 0
		.amdhsa_system_sgpr_private_segment_wavefront_offset 0
		.amdhsa_system_sgpr_workgroup_id_x 1
		.amdhsa_system_sgpr_workgroup_id_y 0
		.amdhsa_system_sgpr_workgroup_id_z 0
		.amdhsa_system_sgpr_workgroup_info 0
		.amdhsa_system_vgpr_workitem_id 0
		.amdhsa_next_free_vgpr 1
		.amdhsa_next_free_sgpr 0
		.amdhsa_accum_offset 4
		.amdhsa_reserve_vcc 0
		.amdhsa_reserve_flat_scratch 0
		.amdhsa_float_round_mode_32 0
		.amdhsa_float_round_mode_16_64 0
		.amdhsa_float_denorm_mode_32 3
		.amdhsa_float_denorm_mode_16_64 3
		.amdhsa_dx10_clamp 1
		.amdhsa_ieee_mode 1
		.amdhsa_fp16_overflow 0
		.amdhsa_tg_split 0
		.amdhsa_exception_fp_ieee_invalid_op 0
		.amdhsa_exception_fp_denorm_src 0
		.amdhsa_exception_fp_ieee_div_zero 0
		.amdhsa_exception_fp_ieee_overflow 0
		.amdhsa_exception_fp_ieee_underflow 0
		.amdhsa_exception_fp_ieee_inexact 0
		.amdhsa_exception_int_div_zero 0
	.end_amdhsa_kernel
	.section	.text._ZN7rocprim17ROCPRIM_400000_NS6detail17trampoline_kernelINS0_14default_configENS1_20scan_config_selectorIyEEZZNS1_9scan_implILNS1_25lookback_scan_determinismE0ELb1ELb1ES3_N6thrust23THRUST_200600_302600_NS6detail15normal_iteratorINS9_10device_ptrIyEEEENS9_16discard_iteratorINS9_11use_defaultEEEyNS9_4plusIvEEyEEDaPvRmT3_T4_T5_mT6_P12ihipStream_tbENKUlT_T0_E_clISt17integral_constantIbLb1EESX_EEDaSS_ST_EUlSS_E0_NS1_11comp_targetILNS1_3genE9ELNS1_11target_archE1100ELNS1_3gpuE3ELNS1_3repE0EEENS1_30default_config_static_selectorELNS0_4arch9wavefront6targetE1EEEvT1_,"axG",@progbits,_ZN7rocprim17ROCPRIM_400000_NS6detail17trampoline_kernelINS0_14default_configENS1_20scan_config_selectorIyEEZZNS1_9scan_implILNS1_25lookback_scan_determinismE0ELb1ELb1ES3_N6thrust23THRUST_200600_302600_NS6detail15normal_iteratorINS9_10device_ptrIyEEEENS9_16discard_iteratorINS9_11use_defaultEEEyNS9_4plusIvEEyEEDaPvRmT3_T4_T5_mT6_P12ihipStream_tbENKUlT_T0_E_clISt17integral_constantIbLb1EESX_EEDaSS_ST_EUlSS_E0_NS1_11comp_targetILNS1_3genE9ELNS1_11target_archE1100ELNS1_3gpuE3ELNS1_3repE0EEENS1_30default_config_static_selectorELNS0_4arch9wavefront6targetE1EEEvT1_,comdat
.Lfunc_end5256:
	.size	_ZN7rocprim17ROCPRIM_400000_NS6detail17trampoline_kernelINS0_14default_configENS1_20scan_config_selectorIyEEZZNS1_9scan_implILNS1_25lookback_scan_determinismE0ELb1ELb1ES3_N6thrust23THRUST_200600_302600_NS6detail15normal_iteratorINS9_10device_ptrIyEEEENS9_16discard_iteratorINS9_11use_defaultEEEyNS9_4plusIvEEyEEDaPvRmT3_T4_T5_mT6_P12ihipStream_tbENKUlT_T0_E_clISt17integral_constantIbLb1EESX_EEDaSS_ST_EUlSS_E0_NS1_11comp_targetILNS1_3genE9ELNS1_11target_archE1100ELNS1_3gpuE3ELNS1_3repE0EEENS1_30default_config_static_selectorELNS0_4arch9wavefront6targetE1EEEvT1_, .Lfunc_end5256-_ZN7rocprim17ROCPRIM_400000_NS6detail17trampoline_kernelINS0_14default_configENS1_20scan_config_selectorIyEEZZNS1_9scan_implILNS1_25lookback_scan_determinismE0ELb1ELb1ES3_N6thrust23THRUST_200600_302600_NS6detail15normal_iteratorINS9_10device_ptrIyEEEENS9_16discard_iteratorINS9_11use_defaultEEEyNS9_4plusIvEEyEEDaPvRmT3_T4_T5_mT6_P12ihipStream_tbENKUlT_T0_E_clISt17integral_constantIbLb1EESX_EEDaSS_ST_EUlSS_E0_NS1_11comp_targetILNS1_3genE9ELNS1_11target_archE1100ELNS1_3gpuE3ELNS1_3repE0EEENS1_30default_config_static_selectorELNS0_4arch9wavefront6targetE1EEEvT1_
                                        ; -- End function
	.section	.AMDGPU.csdata,"",@progbits
; Kernel info:
; codeLenInByte = 0
; NumSgprs: 4
; NumVgprs: 0
; NumAgprs: 0
; TotalNumVgprs: 0
; ScratchSize: 0
; MemoryBound: 0
; FloatMode: 240
; IeeeMode: 1
; LDSByteSize: 0 bytes/workgroup (compile time only)
; SGPRBlocks: 0
; VGPRBlocks: 0
; NumSGPRsForWavesPerEU: 4
; NumVGPRsForWavesPerEU: 1
; AccumOffset: 4
; Occupancy: 8
; WaveLimiterHint : 0
; COMPUTE_PGM_RSRC2:SCRATCH_EN: 0
; COMPUTE_PGM_RSRC2:USER_SGPR: 6
; COMPUTE_PGM_RSRC2:TRAP_HANDLER: 0
; COMPUTE_PGM_RSRC2:TGID_X_EN: 1
; COMPUTE_PGM_RSRC2:TGID_Y_EN: 0
; COMPUTE_PGM_RSRC2:TGID_Z_EN: 0
; COMPUTE_PGM_RSRC2:TIDIG_COMP_CNT: 0
; COMPUTE_PGM_RSRC3_GFX90A:ACCUM_OFFSET: 0
; COMPUTE_PGM_RSRC3_GFX90A:TG_SPLIT: 0
	.section	.text._ZN7rocprim17ROCPRIM_400000_NS6detail17trampoline_kernelINS0_14default_configENS1_20scan_config_selectorIyEEZZNS1_9scan_implILNS1_25lookback_scan_determinismE0ELb1ELb1ES3_N6thrust23THRUST_200600_302600_NS6detail15normal_iteratorINS9_10device_ptrIyEEEENS9_16discard_iteratorINS9_11use_defaultEEEyNS9_4plusIvEEyEEDaPvRmT3_T4_T5_mT6_P12ihipStream_tbENKUlT_T0_E_clISt17integral_constantIbLb1EESX_EEDaSS_ST_EUlSS_E0_NS1_11comp_targetILNS1_3genE8ELNS1_11target_archE1030ELNS1_3gpuE2ELNS1_3repE0EEENS1_30default_config_static_selectorELNS0_4arch9wavefront6targetE1EEEvT1_,"axG",@progbits,_ZN7rocprim17ROCPRIM_400000_NS6detail17trampoline_kernelINS0_14default_configENS1_20scan_config_selectorIyEEZZNS1_9scan_implILNS1_25lookback_scan_determinismE0ELb1ELb1ES3_N6thrust23THRUST_200600_302600_NS6detail15normal_iteratorINS9_10device_ptrIyEEEENS9_16discard_iteratorINS9_11use_defaultEEEyNS9_4plusIvEEyEEDaPvRmT3_T4_T5_mT6_P12ihipStream_tbENKUlT_T0_E_clISt17integral_constantIbLb1EESX_EEDaSS_ST_EUlSS_E0_NS1_11comp_targetILNS1_3genE8ELNS1_11target_archE1030ELNS1_3gpuE2ELNS1_3repE0EEENS1_30default_config_static_selectorELNS0_4arch9wavefront6targetE1EEEvT1_,comdat
	.protected	_ZN7rocprim17ROCPRIM_400000_NS6detail17trampoline_kernelINS0_14default_configENS1_20scan_config_selectorIyEEZZNS1_9scan_implILNS1_25lookback_scan_determinismE0ELb1ELb1ES3_N6thrust23THRUST_200600_302600_NS6detail15normal_iteratorINS9_10device_ptrIyEEEENS9_16discard_iteratorINS9_11use_defaultEEEyNS9_4plusIvEEyEEDaPvRmT3_T4_T5_mT6_P12ihipStream_tbENKUlT_T0_E_clISt17integral_constantIbLb1EESX_EEDaSS_ST_EUlSS_E0_NS1_11comp_targetILNS1_3genE8ELNS1_11target_archE1030ELNS1_3gpuE2ELNS1_3repE0EEENS1_30default_config_static_selectorELNS0_4arch9wavefront6targetE1EEEvT1_ ; -- Begin function _ZN7rocprim17ROCPRIM_400000_NS6detail17trampoline_kernelINS0_14default_configENS1_20scan_config_selectorIyEEZZNS1_9scan_implILNS1_25lookback_scan_determinismE0ELb1ELb1ES3_N6thrust23THRUST_200600_302600_NS6detail15normal_iteratorINS9_10device_ptrIyEEEENS9_16discard_iteratorINS9_11use_defaultEEEyNS9_4plusIvEEyEEDaPvRmT3_T4_T5_mT6_P12ihipStream_tbENKUlT_T0_E_clISt17integral_constantIbLb1EESX_EEDaSS_ST_EUlSS_E0_NS1_11comp_targetILNS1_3genE8ELNS1_11target_archE1030ELNS1_3gpuE2ELNS1_3repE0EEENS1_30default_config_static_selectorELNS0_4arch9wavefront6targetE1EEEvT1_
	.globl	_ZN7rocprim17ROCPRIM_400000_NS6detail17trampoline_kernelINS0_14default_configENS1_20scan_config_selectorIyEEZZNS1_9scan_implILNS1_25lookback_scan_determinismE0ELb1ELb1ES3_N6thrust23THRUST_200600_302600_NS6detail15normal_iteratorINS9_10device_ptrIyEEEENS9_16discard_iteratorINS9_11use_defaultEEEyNS9_4plusIvEEyEEDaPvRmT3_T4_T5_mT6_P12ihipStream_tbENKUlT_T0_E_clISt17integral_constantIbLb1EESX_EEDaSS_ST_EUlSS_E0_NS1_11comp_targetILNS1_3genE8ELNS1_11target_archE1030ELNS1_3gpuE2ELNS1_3repE0EEENS1_30default_config_static_selectorELNS0_4arch9wavefront6targetE1EEEvT1_
	.p2align	8
	.type	_ZN7rocprim17ROCPRIM_400000_NS6detail17trampoline_kernelINS0_14default_configENS1_20scan_config_selectorIyEEZZNS1_9scan_implILNS1_25lookback_scan_determinismE0ELb1ELb1ES3_N6thrust23THRUST_200600_302600_NS6detail15normal_iteratorINS9_10device_ptrIyEEEENS9_16discard_iteratorINS9_11use_defaultEEEyNS9_4plusIvEEyEEDaPvRmT3_T4_T5_mT6_P12ihipStream_tbENKUlT_T0_E_clISt17integral_constantIbLb1EESX_EEDaSS_ST_EUlSS_E0_NS1_11comp_targetILNS1_3genE8ELNS1_11target_archE1030ELNS1_3gpuE2ELNS1_3repE0EEENS1_30default_config_static_selectorELNS0_4arch9wavefront6targetE1EEEvT1_,@function
_ZN7rocprim17ROCPRIM_400000_NS6detail17trampoline_kernelINS0_14default_configENS1_20scan_config_selectorIyEEZZNS1_9scan_implILNS1_25lookback_scan_determinismE0ELb1ELb1ES3_N6thrust23THRUST_200600_302600_NS6detail15normal_iteratorINS9_10device_ptrIyEEEENS9_16discard_iteratorINS9_11use_defaultEEEyNS9_4plusIvEEyEEDaPvRmT3_T4_T5_mT6_P12ihipStream_tbENKUlT_T0_E_clISt17integral_constantIbLb1EESX_EEDaSS_ST_EUlSS_E0_NS1_11comp_targetILNS1_3genE8ELNS1_11target_archE1030ELNS1_3gpuE2ELNS1_3repE0EEENS1_30default_config_static_selectorELNS0_4arch9wavefront6targetE1EEEvT1_: ; @_ZN7rocprim17ROCPRIM_400000_NS6detail17trampoline_kernelINS0_14default_configENS1_20scan_config_selectorIyEEZZNS1_9scan_implILNS1_25lookback_scan_determinismE0ELb1ELb1ES3_N6thrust23THRUST_200600_302600_NS6detail15normal_iteratorINS9_10device_ptrIyEEEENS9_16discard_iteratorINS9_11use_defaultEEEyNS9_4plusIvEEyEEDaPvRmT3_T4_T5_mT6_P12ihipStream_tbENKUlT_T0_E_clISt17integral_constantIbLb1EESX_EEDaSS_ST_EUlSS_E0_NS1_11comp_targetILNS1_3genE8ELNS1_11target_archE1030ELNS1_3gpuE2ELNS1_3repE0EEENS1_30default_config_static_selectorELNS0_4arch9wavefront6targetE1EEEvT1_
; %bb.0:
	.section	.rodata,"a",@progbits
	.p2align	6, 0x0
	.amdhsa_kernel _ZN7rocprim17ROCPRIM_400000_NS6detail17trampoline_kernelINS0_14default_configENS1_20scan_config_selectorIyEEZZNS1_9scan_implILNS1_25lookback_scan_determinismE0ELb1ELb1ES3_N6thrust23THRUST_200600_302600_NS6detail15normal_iteratorINS9_10device_ptrIyEEEENS9_16discard_iteratorINS9_11use_defaultEEEyNS9_4plusIvEEyEEDaPvRmT3_T4_T5_mT6_P12ihipStream_tbENKUlT_T0_E_clISt17integral_constantIbLb1EESX_EEDaSS_ST_EUlSS_E0_NS1_11comp_targetILNS1_3genE8ELNS1_11target_archE1030ELNS1_3gpuE2ELNS1_3repE0EEENS1_30default_config_static_selectorELNS0_4arch9wavefront6targetE1EEEvT1_
		.amdhsa_group_segment_fixed_size 0
		.amdhsa_private_segment_fixed_size 0
		.amdhsa_kernarg_size 48
		.amdhsa_user_sgpr_count 6
		.amdhsa_user_sgpr_private_segment_buffer 1
		.amdhsa_user_sgpr_dispatch_ptr 0
		.amdhsa_user_sgpr_queue_ptr 0
		.amdhsa_user_sgpr_kernarg_segment_ptr 1
		.amdhsa_user_sgpr_dispatch_id 0
		.amdhsa_user_sgpr_flat_scratch_init 0
		.amdhsa_user_sgpr_kernarg_preload_length 0
		.amdhsa_user_sgpr_kernarg_preload_offset 0
		.amdhsa_user_sgpr_private_segment_size 0
		.amdhsa_uses_dynamic_stack 0
		.amdhsa_system_sgpr_private_segment_wavefront_offset 0
		.amdhsa_system_sgpr_workgroup_id_x 1
		.amdhsa_system_sgpr_workgroup_id_y 0
		.amdhsa_system_sgpr_workgroup_id_z 0
		.amdhsa_system_sgpr_workgroup_info 0
		.amdhsa_system_vgpr_workitem_id 0
		.amdhsa_next_free_vgpr 1
		.amdhsa_next_free_sgpr 0
		.amdhsa_accum_offset 4
		.amdhsa_reserve_vcc 0
		.amdhsa_reserve_flat_scratch 0
		.amdhsa_float_round_mode_32 0
		.amdhsa_float_round_mode_16_64 0
		.amdhsa_float_denorm_mode_32 3
		.amdhsa_float_denorm_mode_16_64 3
		.amdhsa_dx10_clamp 1
		.amdhsa_ieee_mode 1
		.amdhsa_fp16_overflow 0
		.amdhsa_tg_split 0
		.amdhsa_exception_fp_ieee_invalid_op 0
		.amdhsa_exception_fp_denorm_src 0
		.amdhsa_exception_fp_ieee_div_zero 0
		.amdhsa_exception_fp_ieee_overflow 0
		.amdhsa_exception_fp_ieee_underflow 0
		.amdhsa_exception_fp_ieee_inexact 0
		.amdhsa_exception_int_div_zero 0
	.end_amdhsa_kernel
	.section	.text._ZN7rocprim17ROCPRIM_400000_NS6detail17trampoline_kernelINS0_14default_configENS1_20scan_config_selectorIyEEZZNS1_9scan_implILNS1_25lookback_scan_determinismE0ELb1ELb1ES3_N6thrust23THRUST_200600_302600_NS6detail15normal_iteratorINS9_10device_ptrIyEEEENS9_16discard_iteratorINS9_11use_defaultEEEyNS9_4plusIvEEyEEDaPvRmT3_T4_T5_mT6_P12ihipStream_tbENKUlT_T0_E_clISt17integral_constantIbLb1EESX_EEDaSS_ST_EUlSS_E0_NS1_11comp_targetILNS1_3genE8ELNS1_11target_archE1030ELNS1_3gpuE2ELNS1_3repE0EEENS1_30default_config_static_selectorELNS0_4arch9wavefront6targetE1EEEvT1_,"axG",@progbits,_ZN7rocprim17ROCPRIM_400000_NS6detail17trampoline_kernelINS0_14default_configENS1_20scan_config_selectorIyEEZZNS1_9scan_implILNS1_25lookback_scan_determinismE0ELb1ELb1ES3_N6thrust23THRUST_200600_302600_NS6detail15normal_iteratorINS9_10device_ptrIyEEEENS9_16discard_iteratorINS9_11use_defaultEEEyNS9_4plusIvEEyEEDaPvRmT3_T4_T5_mT6_P12ihipStream_tbENKUlT_T0_E_clISt17integral_constantIbLb1EESX_EEDaSS_ST_EUlSS_E0_NS1_11comp_targetILNS1_3genE8ELNS1_11target_archE1030ELNS1_3gpuE2ELNS1_3repE0EEENS1_30default_config_static_selectorELNS0_4arch9wavefront6targetE1EEEvT1_,comdat
.Lfunc_end5257:
	.size	_ZN7rocprim17ROCPRIM_400000_NS6detail17trampoline_kernelINS0_14default_configENS1_20scan_config_selectorIyEEZZNS1_9scan_implILNS1_25lookback_scan_determinismE0ELb1ELb1ES3_N6thrust23THRUST_200600_302600_NS6detail15normal_iteratorINS9_10device_ptrIyEEEENS9_16discard_iteratorINS9_11use_defaultEEEyNS9_4plusIvEEyEEDaPvRmT3_T4_T5_mT6_P12ihipStream_tbENKUlT_T0_E_clISt17integral_constantIbLb1EESX_EEDaSS_ST_EUlSS_E0_NS1_11comp_targetILNS1_3genE8ELNS1_11target_archE1030ELNS1_3gpuE2ELNS1_3repE0EEENS1_30default_config_static_selectorELNS0_4arch9wavefront6targetE1EEEvT1_, .Lfunc_end5257-_ZN7rocprim17ROCPRIM_400000_NS6detail17trampoline_kernelINS0_14default_configENS1_20scan_config_selectorIyEEZZNS1_9scan_implILNS1_25lookback_scan_determinismE0ELb1ELb1ES3_N6thrust23THRUST_200600_302600_NS6detail15normal_iteratorINS9_10device_ptrIyEEEENS9_16discard_iteratorINS9_11use_defaultEEEyNS9_4plusIvEEyEEDaPvRmT3_T4_T5_mT6_P12ihipStream_tbENKUlT_T0_E_clISt17integral_constantIbLb1EESX_EEDaSS_ST_EUlSS_E0_NS1_11comp_targetILNS1_3genE8ELNS1_11target_archE1030ELNS1_3gpuE2ELNS1_3repE0EEENS1_30default_config_static_selectorELNS0_4arch9wavefront6targetE1EEEvT1_
                                        ; -- End function
	.section	.AMDGPU.csdata,"",@progbits
; Kernel info:
; codeLenInByte = 0
; NumSgprs: 4
; NumVgprs: 0
; NumAgprs: 0
; TotalNumVgprs: 0
; ScratchSize: 0
; MemoryBound: 0
; FloatMode: 240
; IeeeMode: 1
; LDSByteSize: 0 bytes/workgroup (compile time only)
; SGPRBlocks: 0
; VGPRBlocks: 0
; NumSGPRsForWavesPerEU: 4
; NumVGPRsForWavesPerEU: 1
; AccumOffset: 4
; Occupancy: 8
; WaveLimiterHint : 0
; COMPUTE_PGM_RSRC2:SCRATCH_EN: 0
; COMPUTE_PGM_RSRC2:USER_SGPR: 6
; COMPUTE_PGM_RSRC2:TRAP_HANDLER: 0
; COMPUTE_PGM_RSRC2:TGID_X_EN: 1
; COMPUTE_PGM_RSRC2:TGID_Y_EN: 0
; COMPUTE_PGM_RSRC2:TGID_Z_EN: 0
; COMPUTE_PGM_RSRC2:TIDIG_COMP_CNT: 0
; COMPUTE_PGM_RSRC3_GFX90A:ACCUM_OFFSET: 0
; COMPUTE_PGM_RSRC3_GFX90A:TG_SPLIT: 0
	.section	.text._ZN7rocprim17ROCPRIM_400000_NS6detail17trampoline_kernelINS0_14default_configENS1_20scan_config_selectorIyEEZZNS1_9scan_implILNS1_25lookback_scan_determinismE0ELb1ELb1ES3_N6thrust23THRUST_200600_302600_NS6detail15normal_iteratorINS9_10device_ptrIyEEEENS9_16discard_iteratorINS9_11use_defaultEEEyNS9_4plusIvEEyEEDaPvRmT3_T4_T5_mT6_P12ihipStream_tbENKUlT_T0_E_clISt17integral_constantIbLb1EESW_IbLb0EEEEDaSS_ST_EUlSS_E_NS1_11comp_targetILNS1_3genE0ELNS1_11target_archE4294967295ELNS1_3gpuE0ELNS1_3repE0EEENS1_30default_config_static_selectorELNS0_4arch9wavefront6targetE1EEEvT1_,"axG",@progbits,_ZN7rocprim17ROCPRIM_400000_NS6detail17trampoline_kernelINS0_14default_configENS1_20scan_config_selectorIyEEZZNS1_9scan_implILNS1_25lookback_scan_determinismE0ELb1ELb1ES3_N6thrust23THRUST_200600_302600_NS6detail15normal_iteratorINS9_10device_ptrIyEEEENS9_16discard_iteratorINS9_11use_defaultEEEyNS9_4plusIvEEyEEDaPvRmT3_T4_T5_mT6_P12ihipStream_tbENKUlT_T0_E_clISt17integral_constantIbLb1EESW_IbLb0EEEEDaSS_ST_EUlSS_E_NS1_11comp_targetILNS1_3genE0ELNS1_11target_archE4294967295ELNS1_3gpuE0ELNS1_3repE0EEENS1_30default_config_static_selectorELNS0_4arch9wavefront6targetE1EEEvT1_,comdat
	.protected	_ZN7rocprim17ROCPRIM_400000_NS6detail17trampoline_kernelINS0_14default_configENS1_20scan_config_selectorIyEEZZNS1_9scan_implILNS1_25lookback_scan_determinismE0ELb1ELb1ES3_N6thrust23THRUST_200600_302600_NS6detail15normal_iteratorINS9_10device_ptrIyEEEENS9_16discard_iteratorINS9_11use_defaultEEEyNS9_4plusIvEEyEEDaPvRmT3_T4_T5_mT6_P12ihipStream_tbENKUlT_T0_E_clISt17integral_constantIbLb1EESW_IbLb0EEEEDaSS_ST_EUlSS_E_NS1_11comp_targetILNS1_3genE0ELNS1_11target_archE4294967295ELNS1_3gpuE0ELNS1_3repE0EEENS1_30default_config_static_selectorELNS0_4arch9wavefront6targetE1EEEvT1_ ; -- Begin function _ZN7rocprim17ROCPRIM_400000_NS6detail17trampoline_kernelINS0_14default_configENS1_20scan_config_selectorIyEEZZNS1_9scan_implILNS1_25lookback_scan_determinismE0ELb1ELb1ES3_N6thrust23THRUST_200600_302600_NS6detail15normal_iteratorINS9_10device_ptrIyEEEENS9_16discard_iteratorINS9_11use_defaultEEEyNS9_4plusIvEEyEEDaPvRmT3_T4_T5_mT6_P12ihipStream_tbENKUlT_T0_E_clISt17integral_constantIbLb1EESW_IbLb0EEEEDaSS_ST_EUlSS_E_NS1_11comp_targetILNS1_3genE0ELNS1_11target_archE4294967295ELNS1_3gpuE0ELNS1_3repE0EEENS1_30default_config_static_selectorELNS0_4arch9wavefront6targetE1EEEvT1_
	.globl	_ZN7rocprim17ROCPRIM_400000_NS6detail17trampoline_kernelINS0_14default_configENS1_20scan_config_selectorIyEEZZNS1_9scan_implILNS1_25lookback_scan_determinismE0ELb1ELb1ES3_N6thrust23THRUST_200600_302600_NS6detail15normal_iteratorINS9_10device_ptrIyEEEENS9_16discard_iteratorINS9_11use_defaultEEEyNS9_4plusIvEEyEEDaPvRmT3_T4_T5_mT6_P12ihipStream_tbENKUlT_T0_E_clISt17integral_constantIbLb1EESW_IbLb0EEEEDaSS_ST_EUlSS_E_NS1_11comp_targetILNS1_3genE0ELNS1_11target_archE4294967295ELNS1_3gpuE0ELNS1_3repE0EEENS1_30default_config_static_selectorELNS0_4arch9wavefront6targetE1EEEvT1_
	.p2align	8
	.type	_ZN7rocprim17ROCPRIM_400000_NS6detail17trampoline_kernelINS0_14default_configENS1_20scan_config_selectorIyEEZZNS1_9scan_implILNS1_25lookback_scan_determinismE0ELb1ELb1ES3_N6thrust23THRUST_200600_302600_NS6detail15normal_iteratorINS9_10device_ptrIyEEEENS9_16discard_iteratorINS9_11use_defaultEEEyNS9_4plusIvEEyEEDaPvRmT3_T4_T5_mT6_P12ihipStream_tbENKUlT_T0_E_clISt17integral_constantIbLb1EESW_IbLb0EEEEDaSS_ST_EUlSS_E_NS1_11comp_targetILNS1_3genE0ELNS1_11target_archE4294967295ELNS1_3gpuE0ELNS1_3repE0EEENS1_30default_config_static_selectorELNS0_4arch9wavefront6targetE1EEEvT1_,@function
_ZN7rocprim17ROCPRIM_400000_NS6detail17trampoline_kernelINS0_14default_configENS1_20scan_config_selectorIyEEZZNS1_9scan_implILNS1_25lookback_scan_determinismE0ELb1ELb1ES3_N6thrust23THRUST_200600_302600_NS6detail15normal_iteratorINS9_10device_ptrIyEEEENS9_16discard_iteratorINS9_11use_defaultEEEyNS9_4plusIvEEyEEDaPvRmT3_T4_T5_mT6_P12ihipStream_tbENKUlT_T0_E_clISt17integral_constantIbLb1EESW_IbLb0EEEEDaSS_ST_EUlSS_E_NS1_11comp_targetILNS1_3genE0ELNS1_11target_archE4294967295ELNS1_3gpuE0ELNS1_3repE0EEENS1_30default_config_static_selectorELNS0_4arch9wavefront6targetE1EEEvT1_: ; @_ZN7rocprim17ROCPRIM_400000_NS6detail17trampoline_kernelINS0_14default_configENS1_20scan_config_selectorIyEEZZNS1_9scan_implILNS1_25lookback_scan_determinismE0ELb1ELb1ES3_N6thrust23THRUST_200600_302600_NS6detail15normal_iteratorINS9_10device_ptrIyEEEENS9_16discard_iteratorINS9_11use_defaultEEEyNS9_4plusIvEEyEEDaPvRmT3_T4_T5_mT6_P12ihipStream_tbENKUlT_T0_E_clISt17integral_constantIbLb1EESW_IbLb0EEEEDaSS_ST_EUlSS_E_NS1_11comp_targetILNS1_3genE0ELNS1_11target_archE4294967295ELNS1_3gpuE0ELNS1_3repE0EEENS1_30default_config_static_selectorELNS0_4arch9wavefront6targetE1EEEvT1_
; %bb.0:
	.section	.rodata,"a",@progbits
	.p2align	6, 0x0
	.amdhsa_kernel _ZN7rocprim17ROCPRIM_400000_NS6detail17trampoline_kernelINS0_14default_configENS1_20scan_config_selectorIyEEZZNS1_9scan_implILNS1_25lookback_scan_determinismE0ELb1ELb1ES3_N6thrust23THRUST_200600_302600_NS6detail15normal_iteratorINS9_10device_ptrIyEEEENS9_16discard_iteratorINS9_11use_defaultEEEyNS9_4plusIvEEyEEDaPvRmT3_T4_T5_mT6_P12ihipStream_tbENKUlT_T0_E_clISt17integral_constantIbLb1EESW_IbLb0EEEEDaSS_ST_EUlSS_E_NS1_11comp_targetILNS1_3genE0ELNS1_11target_archE4294967295ELNS1_3gpuE0ELNS1_3repE0EEENS1_30default_config_static_selectorELNS0_4arch9wavefront6targetE1EEEvT1_
		.amdhsa_group_segment_fixed_size 0
		.amdhsa_private_segment_fixed_size 0
		.amdhsa_kernarg_size 112
		.amdhsa_user_sgpr_count 6
		.amdhsa_user_sgpr_private_segment_buffer 1
		.amdhsa_user_sgpr_dispatch_ptr 0
		.amdhsa_user_sgpr_queue_ptr 0
		.amdhsa_user_sgpr_kernarg_segment_ptr 1
		.amdhsa_user_sgpr_dispatch_id 0
		.amdhsa_user_sgpr_flat_scratch_init 0
		.amdhsa_user_sgpr_kernarg_preload_length 0
		.amdhsa_user_sgpr_kernarg_preload_offset 0
		.amdhsa_user_sgpr_private_segment_size 0
		.amdhsa_uses_dynamic_stack 0
		.amdhsa_system_sgpr_private_segment_wavefront_offset 0
		.amdhsa_system_sgpr_workgroup_id_x 1
		.amdhsa_system_sgpr_workgroup_id_y 0
		.amdhsa_system_sgpr_workgroup_id_z 0
		.amdhsa_system_sgpr_workgroup_info 0
		.amdhsa_system_vgpr_workitem_id 0
		.amdhsa_next_free_vgpr 1
		.amdhsa_next_free_sgpr 0
		.amdhsa_accum_offset 4
		.amdhsa_reserve_vcc 0
		.amdhsa_reserve_flat_scratch 0
		.amdhsa_float_round_mode_32 0
		.amdhsa_float_round_mode_16_64 0
		.amdhsa_float_denorm_mode_32 3
		.amdhsa_float_denorm_mode_16_64 3
		.amdhsa_dx10_clamp 1
		.amdhsa_ieee_mode 1
		.amdhsa_fp16_overflow 0
		.amdhsa_tg_split 0
		.amdhsa_exception_fp_ieee_invalid_op 0
		.amdhsa_exception_fp_denorm_src 0
		.amdhsa_exception_fp_ieee_div_zero 0
		.amdhsa_exception_fp_ieee_overflow 0
		.amdhsa_exception_fp_ieee_underflow 0
		.amdhsa_exception_fp_ieee_inexact 0
		.amdhsa_exception_int_div_zero 0
	.end_amdhsa_kernel
	.section	.text._ZN7rocprim17ROCPRIM_400000_NS6detail17trampoline_kernelINS0_14default_configENS1_20scan_config_selectorIyEEZZNS1_9scan_implILNS1_25lookback_scan_determinismE0ELb1ELb1ES3_N6thrust23THRUST_200600_302600_NS6detail15normal_iteratorINS9_10device_ptrIyEEEENS9_16discard_iteratorINS9_11use_defaultEEEyNS9_4plusIvEEyEEDaPvRmT3_T4_T5_mT6_P12ihipStream_tbENKUlT_T0_E_clISt17integral_constantIbLb1EESW_IbLb0EEEEDaSS_ST_EUlSS_E_NS1_11comp_targetILNS1_3genE0ELNS1_11target_archE4294967295ELNS1_3gpuE0ELNS1_3repE0EEENS1_30default_config_static_selectorELNS0_4arch9wavefront6targetE1EEEvT1_,"axG",@progbits,_ZN7rocprim17ROCPRIM_400000_NS6detail17trampoline_kernelINS0_14default_configENS1_20scan_config_selectorIyEEZZNS1_9scan_implILNS1_25lookback_scan_determinismE0ELb1ELb1ES3_N6thrust23THRUST_200600_302600_NS6detail15normal_iteratorINS9_10device_ptrIyEEEENS9_16discard_iteratorINS9_11use_defaultEEEyNS9_4plusIvEEyEEDaPvRmT3_T4_T5_mT6_P12ihipStream_tbENKUlT_T0_E_clISt17integral_constantIbLb1EESW_IbLb0EEEEDaSS_ST_EUlSS_E_NS1_11comp_targetILNS1_3genE0ELNS1_11target_archE4294967295ELNS1_3gpuE0ELNS1_3repE0EEENS1_30default_config_static_selectorELNS0_4arch9wavefront6targetE1EEEvT1_,comdat
.Lfunc_end5258:
	.size	_ZN7rocprim17ROCPRIM_400000_NS6detail17trampoline_kernelINS0_14default_configENS1_20scan_config_selectorIyEEZZNS1_9scan_implILNS1_25lookback_scan_determinismE0ELb1ELb1ES3_N6thrust23THRUST_200600_302600_NS6detail15normal_iteratorINS9_10device_ptrIyEEEENS9_16discard_iteratorINS9_11use_defaultEEEyNS9_4plusIvEEyEEDaPvRmT3_T4_T5_mT6_P12ihipStream_tbENKUlT_T0_E_clISt17integral_constantIbLb1EESW_IbLb0EEEEDaSS_ST_EUlSS_E_NS1_11comp_targetILNS1_3genE0ELNS1_11target_archE4294967295ELNS1_3gpuE0ELNS1_3repE0EEENS1_30default_config_static_selectorELNS0_4arch9wavefront6targetE1EEEvT1_, .Lfunc_end5258-_ZN7rocprim17ROCPRIM_400000_NS6detail17trampoline_kernelINS0_14default_configENS1_20scan_config_selectorIyEEZZNS1_9scan_implILNS1_25lookback_scan_determinismE0ELb1ELb1ES3_N6thrust23THRUST_200600_302600_NS6detail15normal_iteratorINS9_10device_ptrIyEEEENS9_16discard_iteratorINS9_11use_defaultEEEyNS9_4plusIvEEyEEDaPvRmT3_T4_T5_mT6_P12ihipStream_tbENKUlT_T0_E_clISt17integral_constantIbLb1EESW_IbLb0EEEEDaSS_ST_EUlSS_E_NS1_11comp_targetILNS1_3genE0ELNS1_11target_archE4294967295ELNS1_3gpuE0ELNS1_3repE0EEENS1_30default_config_static_selectorELNS0_4arch9wavefront6targetE1EEEvT1_
                                        ; -- End function
	.section	.AMDGPU.csdata,"",@progbits
; Kernel info:
; codeLenInByte = 0
; NumSgprs: 4
; NumVgprs: 0
; NumAgprs: 0
; TotalNumVgprs: 0
; ScratchSize: 0
; MemoryBound: 0
; FloatMode: 240
; IeeeMode: 1
; LDSByteSize: 0 bytes/workgroup (compile time only)
; SGPRBlocks: 0
; VGPRBlocks: 0
; NumSGPRsForWavesPerEU: 4
; NumVGPRsForWavesPerEU: 1
; AccumOffset: 4
; Occupancy: 8
; WaveLimiterHint : 0
; COMPUTE_PGM_RSRC2:SCRATCH_EN: 0
; COMPUTE_PGM_RSRC2:USER_SGPR: 6
; COMPUTE_PGM_RSRC2:TRAP_HANDLER: 0
; COMPUTE_PGM_RSRC2:TGID_X_EN: 1
; COMPUTE_PGM_RSRC2:TGID_Y_EN: 0
; COMPUTE_PGM_RSRC2:TGID_Z_EN: 0
; COMPUTE_PGM_RSRC2:TIDIG_COMP_CNT: 0
; COMPUTE_PGM_RSRC3_GFX90A:ACCUM_OFFSET: 0
; COMPUTE_PGM_RSRC3_GFX90A:TG_SPLIT: 0
	.section	.text._ZN7rocprim17ROCPRIM_400000_NS6detail17trampoline_kernelINS0_14default_configENS1_20scan_config_selectorIyEEZZNS1_9scan_implILNS1_25lookback_scan_determinismE0ELb1ELb1ES3_N6thrust23THRUST_200600_302600_NS6detail15normal_iteratorINS9_10device_ptrIyEEEENS9_16discard_iteratorINS9_11use_defaultEEEyNS9_4plusIvEEyEEDaPvRmT3_T4_T5_mT6_P12ihipStream_tbENKUlT_T0_E_clISt17integral_constantIbLb1EESW_IbLb0EEEEDaSS_ST_EUlSS_E_NS1_11comp_targetILNS1_3genE5ELNS1_11target_archE942ELNS1_3gpuE9ELNS1_3repE0EEENS1_30default_config_static_selectorELNS0_4arch9wavefront6targetE1EEEvT1_,"axG",@progbits,_ZN7rocprim17ROCPRIM_400000_NS6detail17trampoline_kernelINS0_14default_configENS1_20scan_config_selectorIyEEZZNS1_9scan_implILNS1_25lookback_scan_determinismE0ELb1ELb1ES3_N6thrust23THRUST_200600_302600_NS6detail15normal_iteratorINS9_10device_ptrIyEEEENS9_16discard_iteratorINS9_11use_defaultEEEyNS9_4plusIvEEyEEDaPvRmT3_T4_T5_mT6_P12ihipStream_tbENKUlT_T0_E_clISt17integral_constantIbLb1EESW_IbLb0EEEEDaSS_ST_EUlSS_E_NS1_11comp_targetILNS1_3genE5ELNS1_11target_archE942ELNS1_3gpuE9ELNS1_3repE0EEENS1_30default_config_static_selectorELNS0_4arch9wavefront6targetE1EEEvT1_,comdat
	.protected	_ZN7rocprim17ROCPRIM_400000_NS6detail17trampoline_kernelINS0_14default_configENS1_20scan_config_selectorIyEEZZNS1_9scan_implILNS1_25lookback_scan_determinismE0ELb1ELb1ES3_N6thrust23THRUST_200600_302600_NS6detail15normal_iteratorINS9_10device_ptrIyEEEENS9_16discard_iteratorINS9_11use_defaultEEEyNS9_4plusIvEEyEEDaPvRmT3_T4_T5_mT6_P12ihipStream_tbENKUlT_T0_E_clISt17integral_constantIbLb1EESW_IbLb0EEEEDaSS_ST_EUlSS_E_NS1_11comp_targetILNS1_3genE5ELNS1_11target_archE942ELNS1_3gpuE9ELNS1_3repE0EEENS1_30default_config_static_selectorELNS0_4arch9wavefront6targetE1EEEvT1_ ; -- Begin function _ZN7rocprim17ROCPRIM_400000_NS6detail17trampoline_kernelINS0_14default_configENS1_20scan_config_selectorIyEEZZNS1_9scan_implILNS1_25lookback_scan_determinismE0ELb1ELb1ES3_N6thrust23THRUST_200600_302600_NS6detail15normal_iteratorINS9_10device_ptrIyEEEENS9_16discard_iteratorINS9_11use_defaultEEEyNS9_4plusIvEEyEEDaPvRmT3_T4_T5_mT6_P12ihipStream_tbENKUlT_T0_E_clISt17integral_constantIbLb1EESW_IbLb0EEEEDaSS_ST_EUlSS_E_NS1_11comp_targetILNS1_3genE5ELNS1_11target_archE942ELNS1_3gpuE9ELNS1_3repE0EEENS1_30default_config_static_selectorELNS0_4arch9wavefront6targetE1EEEvT1_
	.globl	_ZN7rocprim17ROCPRIM_400000_NS6detail17trampoline_kernelINS0_14default_configENS1_20scan_config_selectorIyEEZZNS1_9scan_implILNS1_25lookback_scan_determinismE0ELb1ELb1ES3_N6thrust23THRUST_200600_302600_NS6detail15normal_iteratorINS9_10device_ptrIyEEEENS9_16discard_iteratorINS9_11use_defaultEEEyNS9_4plusIvEEyEEDaPvRmT3_T4_T5_mT6_P12ihipStream_tbENKUlT_T0_E_clISt17integral_constantIbLb1EESW_IbLb0EEEEDaSS_ST_EUlSS_E_NS1_11comp_targetILNS1_3genE5ELNS1_11target_archE942ELNS1_3gpuE9ELNS1_3repE0EEENS1_30default_config_static_selectorELNS0_4arch9wavefront6targetE1EEEvT1_
	.p2align	8
	.type	_ZN7rocprim17ROCPRIM_400000_NS6detail17trampoline_kernelINS0_14default_configENS1_20scan_config_selectorIyEEZZNS1_9scan_implILNS1_25lookback_scan_determinismE0ELb1ELb1ES3_N6thrust23THRUST_200600_302600_NS6detail15normal_iteratorINS9_10device_ptrIyEEEENS9_16discard_iteratorINS9_11use_defaultEEEyNS9_4plusIvEEyEEDaPvRmT3_T4_T5_mT6_P12ihipStream_tbENKUlT_T0_E_clISt17integral_constantIbLb1EESW_IbLb0EEEEDaSS_ST_EUlSS_E_NS1_11comp_targetILNS1_3genE5ELNS1_11target_archE942ELNS1_3gpuE9ELNS1_3repE0EEENS1_30default_config_static_selectorELNS0_4arch9wavefront6targetE1EEEvT1_,@function
_ZN7rocprim17ROCPRIM_400000_NS6detail17trampoline_kernelINS0_14default_configENS1_20scan_config_selectorIyEEZZNS1_9scan_implILNS1_25lookback_scan_determinismE0ELb1ELb1ES3_N6thrust23THRUST_200600_302600_NS6detail15normal_iteratorINS9_10device_ptrIyEEEENS9_16discard_iteratorINS9_11use_defaultEEEyNS9_4plusIvEEyEEDaPvRmT3_T4_T5_mT6_P12ihipStream_tbENKUlT_T0_E_clISt17integral_constantIbLb1EESW_IbLb0EEEEDaSS_ST_EUlSS_E_NS1_11comp_targetILNS1_3genE5ELNS1_11target_archE942ELNS1_3gpuE9ELNS1_3repE0EEENS1_30default_config_static_selectorELNS0_4arch9wavefront6targetE1EEEvT1_: ; @_ZN7rocprim17ROCPRIM_400000_NS6detail17trampoline_kernelINS0_14default_configENS1_20scan_config_selectorIyEEZZNS1_9scan_implILNS1_25lookback_scan_determinismE0ELb1ELb1ES3_N6thrust23THRUST_200600_302600_NS6detail15normal_iteratorINS9_10device_ptrIyEEEENS9_16discard_iteratorINS9_11use_defaultEEEyNS9_4plusIvEEyEEDaPvRmT3_T4_T5_mT6_P12ihipStream_tbENKUlT_T0_E_clISt17integral_constantIbLb1EESW_IbLb0EEEEDaSS_ST_EUlSS_E_NS1_11comp_targetILNS1_3genE5ELNS1_11target_archE942ELNS1_3gpuE9ELNS1_3repE0EEENS1_30default_config_static_selectorELNS0_4arch9wavefront6targetE1EEEvT1_
; %bb.0:
	.section	.rodata,"a",@progbits
	.p2align	6, 0x0
	.amdhsa_kernel _ZN7rocprim17ROCPRIM_400000_NS6detail17trampoline_kernelINS0_14default_configENS1_20scan_config_selectorIyEEZZNS1_9scan_implILNS1_25lookback_scan_determinismE0ELb1ELb1ES3_N6thrust23THRUST_200600_302600_NS6detail15normal_iteratorINS9_10device_ptrIyEEEENS9_16discard_iteratorINS9_11use_defaultEEEyNS9_4plusIvEEyEEDaPvRmT3_T4_T5_mT6_P12ihipStream_tbENKUlT_T0_E_clISt17integral_constantIbLb1EESW_IbLb0EEEEDaSS_ST_EUlSS_E_NS1_11comp_targetILNS1_3genE5ELNS1_11target_archE942ELNS1_3gpuE9ELNS1_3repE0EEENS1_30default_config_static_selectorELNS0_4arch9wavefront6targetE1EEEvT1_
		.amdhsa_group_segment_fixed_size 0
		.amdhsa_private_segment_fixed_size 0
		.amdhsa_kernarg_size 112
		.amdhsa_user_sgpr_count 6
		.amdhsa_user_sgpr_private_segment_buffer 1
		.amdhsa_user_sgpr_dispatch_ptr 0
		.amdhsa_user_sgpr_queue_ptr 0
		.amdhsa_user_sgpr_kernarg_segment_ptr 1
		.amdhsa_user_sgpr_dispatch_id 0
		.amdhsa_user_sgpr_flat_scratch_init 0
		.amdhsa_user_sgpr_kernarg_preload_length 0
		.amdhsa_user_sgpr_kernarg_preload_offset 0
		.amdhsa_user_sgpr_private_segment_size 0
		.amdhsa_uses_dynamic_stack 0
		.amdhsa_system_sgpr_private_segment_wavefront_offset 0
		.amdhsa_system_sgpr_workgroup_id_x 1
		.amdhsa_system_sgpr_workgroup_id_y 0
		.amdhsa_system_sgpr_workgroup_id_z 0
		.amdhsa_system_sgpr_workgroup_info 0
		.amdhsa_system_vgpr_workitem_id 0
		.amdhsa_next_free_vgpr 1
		.amdhsa_next_free_sgpr 0
		.amdhsa_accum_offset 4
		.amdhsa_reserve_vcc 0
		.amdhsa_reserve_flat_scratch 0
		.amdhsa_float_round_mode_32 0
		.amdhsa_float_round_mode_16_64 0
		.amdhsa_float_denorm_mode_32 3
		.amdhsa_float_denorm_mode_16_64 3
		.amdhsa_dx10_clamp 1
		.amdhsa_ieee_mode 1
		.amdhsa_fp16_overflow 0
		.amdhsa_tg_split 0
		.amdhsa_exception_fp_ieee_invalid_op 0
		.amdhsa_exception_fp_denorm_src 0
		.amdhsa_exception_fp_ieee_div_zero 0
		.amdhsa_exception_fp_ieee_overflow 0
		.amdhsa_exception_fp_ieee_underflow 0
		.amdhsa_exception_fp_ieee_inexact 0
		.amdhsa_exception_int_div_zero 0
	.end_amdhsa_kernel
	.section	.text._ZN7rocprim17ROCPRIM_400000_NS6detail17trampoline_kernelINS0_14default_configENS1_20scan_config_selectorIyEEZZNS1_9scan_implILNS1_25lookback_scan_determinismE0ELb1ELb1ES3_N6thrust23THRUST_200600_302600_NS6detail15normal_iteratorINS9_10device_ptrIyEEEENS9_16discard_iteratorINS9_11use_defaultEEEyNS9_4plusIvEEyEEDaPvRmT3_T4_T5_mT6_P12ihipStream_tbENKUlT_T0_E_clISt17integral_constantIbLb1EESW_IbLb0EEEEDaSS_ST_EUlSS_E_NS1_11comp_targetILNS1_3genE5ELNS1_11target_archE942ELNS1_3gpuE9ELNS1_3repE0EEENS1_30default_config_static_selectorELNS0_4arch9wavefront6targetE1EEEvT1_,"axG",@progbits,_ZN7rocprim17ROCPRIM_400000_NS6detail17trampoline_kernelINS0_14default_configENS1_20scan_config_selectorIyEEZZNS1_9scan_implILNS1_25lookback_scan_determinismE0ELb1ELb1ES3_N6thrust23THRUST_200600_302600_NS6detail15normal_iteratorINS9_10device_ptrIyEEEENS9_16discard_iteratorINS9_11use_defaultEEEyNS9_4plusIvEEyEEDaPvRmT3_T4_T5_mT6_P12ihipStream_tbENKUlT_T0_E_clISt17integral_constantIbLb1EESW_IbLb0EEEEDaSS_ST_EUlSS_E_NS1_11comp_targetILNS1_3genE5ELNS1_11target_archE942ELNS1_3gpuE9ELNS1_3repE0EEENS1_30default_config_static_selectorELNS0_4arch9wavefront6targetE1EEEvT1_,comdat
.Lfunc_end5259:
	.size	_ZN7rocprim17ROCPRIM_400000_NS6detail17trampoline_kernelINS0_14default_configENS1_20scan_config_selectorIyEEZZNS1_9scan_implILNS1_25lookback_scan_determinismE0ELb1ELb1ES3_N6thrust23THRUST_200600_302600_NS6detail15normal_iteratorINS9_10device_ptrIyEEEENS9_16discard_iteratorINS9_11use_defaultEEEyNS9_4plusIvEEyEEDaPvRmT3_T4_T5_mT6_P12ihipStream_tbENKUlT_T0_E_clISt17integral_constantIbLb1EESW_IbLb0EEEEDaSS_ST_EUlSS_E_NS1_11comp_targetILNS1_3genE5ELNS1_11target_archE942ELNS1_3gpuE9ELNS1_3repE0EEENS1_30default_config_static_selectorELNS0_4arch9wavefront6targetE1EEEvT1_, .Lfunc_end5259-_ZN7rocprim17ROCPRIM_400000_NS6detail17trampoline_kernelINS0_14default_configENS1_20scan_config_selectorIyEEZZNS1_9scan_implILNS1_25lookback_scan_determinismE0ELb1ELb1ES3_N6thrust23THRUST_200600_302600_NS6detail15normal_iteratorINS9_10device_ptrIyEEEENS9_16discard_iteratorINS9_11use_defaultEEEyNS9_4plusIvEEyEEDaPvRmT3_T4_T5_mT6_P12ihipStream_tbENKUlT_T0_E_clISt17integral_constantIbLb1EESW_IbLb0EEEEDaSS_ST_EUlSS_E_NS1_11comp_targetILNS1_3genE5ELNS1_11target_archE942ELNS1_3gpuE9ELNS1_3repE0EEENS1_30default_config_static_selectorELNS0_4arch9wavefront6targetE1EEEvT1_
                                        ; -- End function
	.section	.AMDGPU.csdata,"",@progbits
; Kernel info:
; codeLenInByte = 0
; NumSgprs: 4
; NumVgprs: 0
; NumAgprs: 0
; TotalNumVgprs: 0
; ScratchSize: 0
; MemoryBound: 0
; FloatMode: 240
; IeeeMode: 1
; LDSByteSize: 0 bytes/workgroup (compile time only)
; SGPRBlocks: 0
; VGPRBlocks: 0
; NumSGPRsForWavesPerEU: 4
; NumVGPRsForWavesPerEU: 1
; AccumOffset: 4
; Occupancy: 8
; WaveLimiterHint : 0
; COMPUTE_PGM_RSRC2:SCRATCH_EN: 0
; COMPUTE_PGM_RSRC2:USER_SGPR: 6
; COMPUTE_PGM_RSRC2:TRAP_HANDLER: 0
; COMPUTE_PGM_RSRC2:TGID_X_EN: 1
; COMPUTE_PGM_RSRC2:TGID_Y_EN: 0
; COMPUTE_PGM_RSRC2:TGID_Z_EN: 0
; COMPUTE_PGM_RSRC2:TIDIG_COMP_CNT: 0
; COMPUTE_PGM_RSRC3_GFX90A:ACCUM_OFFSET: 0
; COMPUTE_PGM_RSRC3_GFX90A:TG_SPLIT: 0
	.section	.text._ZN7rocprim17ROCPRIM_400000_NS6detail17trampoline_kernelINS0_14default_configENS1_20scan_config_selectorIyEEZZNS1_9scan_implILNS1_25lookback_scan_determinismE0ELb1ELb1ES3_N6thrust23THRUST_200600_302600_NS6detail15normal_iteratorINS9_10device_ptrIyEEEENS9_16discard_iteratorINS9_11use_defaultEEEyNS9_4plusIvEEyEEDaPvRmT3_T4_T5_mT6_P12ihipStream_tbENKUlT_T0_E_clISt17integral_constantIbLb1EESW_IbLb0EEEEDaSS_ST_EUlSS_E_NS1_11comp_targetILNS1_3genE4ELNS1_11target_archE910ELNS1_3gpuE8ELNS1_3repE0EEENS1_30default_config_static_selectorELNS0_4arch9wavefront6targetE1EEEvT1_,"axG",@progbits,_ZN7rocprim17ROCPRIM_400000_NS6detail17trampoline_kernelINS0_14default_configENS1_20scan_config_selectorIyEEZZNS1_9scan_implILNS1_25lookback_scan_determinismE0ELb1ELb1ES3_N6thrust23THRUST_200600_302600_NS6detail15normal_iteratorINS9_10device_ptrIyEEEENS9_16discard_iteratorINS9_11use_defaultEEEyNS9_4plusIvEEyEEDaPvRmT3_T4_T5_mT6_P12ihipStream_tbENKUlT_T0_E_clISt17integral_constantIbLb1EESW_IbLb0EEEEDaSS_ST_EUlSS_E_NS1_11comp_targetILNS1_3genE4ELNS1_11target_archE910ELNS1_3gpuE8ELNS1_3repE0EEENS1_30default_config_static_selectorELNS0_4arch9wavefront6targetE1EEEvT1_,comdat
	.protected	_ZN7rocprim17ROCPRIM_400000_NS6detail17trampoline_kernelINS0_14default_configENS1_20scan_config_selectorIyEEZZNS1_9scan_implILNS1_25lookback_scan_determinismE0ELb1ELb1ES3_N6thrust23THRUST_200600_302600_NS6detail15normal_iteratorINS9_10device_ptrIyEEEENS9_16discard_iteratorINS9_11use_defaultEEEyNS9_4plusIvEEyEEDaPvRmT3_T4_T5_mT6_P12ihipStream_tbENKUlT_T0_E_clISt17integral_constantIbLb1EESW_IbLb0EEEEDaSS_ST_EUlSS_E_NS1_11comp_targetILNS1_3genE4ELNS1_11target_archE910ELNS1_3gpuE8ELNS1_3repE0EEENS1_30default_config_static_selectorELNS0_4arch9wavefront6targetE1EEEvT1_ ; -- Begin function _ZN7rocprim17ROCPRIM_400000_NS6detail17trampoline_kernelINS0_14default_configENS1_20scan_config_selectorIyEEZZNS1_9scan_implILNS1_25lookback_scan_determinismE0ELb1ELb1ES3_N6thrust23THRUST_200600_302600_NS6detail15normal_iteratorINS9_10device_ptrIyEEEENS9_16discard_iteratorINS9_11use_defaultEEEyNS9_4plusIvEEyEEDaPvRmT3_T4_T5_mT6_P12ihipStream_tbENKUlT_T0_E_clISt17integral_constantIbLb1EESW_IbLb0EEEEDaSS_ST_EUlSS_E_NS1_11comp_targetILNS1_3genE4ELNS1_11target_archE910ELNS1_3gpuE8ELNS1_3repE0EEENS1_30default_config_static_selectorELNS0_4arch9wavefront6targetE1EEEvT1_
	.globl	_ZN7rocprim17ROCPRIM_400000_NS6detail17trampoline_kernelINS0_14default_configENS1_20scan_config_selectorIyEEZZNS1_9scan_implILNS1_25lookback_scan_determinismE0ELb1ELb1ES3_N6thrust23THRUST_200600_302600_NS6detail15normal_iteratorINS9_10device_ptrIyEEEENS9_16discard_iteratorINS9_11use_defaultEEEyNS9_4plusIvEEyEEDaPvRmT3_T4_T5_mT6_P12ihipStream_tbENKUlT_T0_E_clISt17integral_constantIbLb1EESW_IbLb0EEEEDaSS_ST_EUlSS_E_NS1_11comp_targetILNS1_3genE4ELNS1_11target_archE910ELNS1_3gpuE8ELNS1_3repE0EEENS1_30default_config_static_selectorELNS0_4arch9wavefront6targetE1EEEvT1_
	.p2align	8
	.type	_ZN7rocprim17ROCPRIM_400000_NS6detail17trampoline_kernelINS0_14default_configENS1_20scan_config_selectorIyEEZZNS1_9scan_implILNS1_25lookback_scan_determinismE0ELb1ELb1ES3_N6thrust23THRUST_200600_302600_NS6detail15normal_iteratorINS9_10device_ptrIyEEEENS9_16discard_iteratorINS9_11use_defaultEEEyNS9_4plusIvEEyEEDaPvRmT3_T4_T5_mT6_P12ihipStream_tbENKUlT_T0_E_clISt17integral_constantIbLb1EESW_IbLb0EEEEDaSS_ST_EUlSS_E_NS1_11comp_targetILNS1_3genE4ELNS1_11target_archE910ELNS1_3gpuE8ELNS1_3repE0EEENS1_30default_config_static_selectorELNS0_4arch9wavefront6targetE1EEEvT1_,@function
_ZN7rocprim17ROCPRIM_400000_NS6detail17trampoline_kernelINS0_14default_configENS1_20scan_config_selectorIyEEZZNS1_9scan_implILNS1_25lookback_scan_determinismE0ELb1ELb1ES3_N6thrust23THRUST_200600_302600_NS6detail15normal_iteratorINS9_10device_ptrIyEEEENS9_16discard_iteratorINS9_11use_defaultEEEyNS9_4plusIvEEyEEDaPvRmT3_T4_T5_mT6_P12ihipStream_tbENKUlT_T0_E_clISt17integral_constantIbLb1EESW_IbLb0EEEEDaSS_ST_EUlSS_E_NS1_11comp_targetILNS1_3genE4ELNS1_11target_archE910ELNS1_3gpuE8ELNS1_3repE0EEENS1_30default_config_static_selectorELNS0_4arch9wavefront6targetE1EEEvT1_: ; @_ZN7rocprim17ROCPRIM_400000_NS6detail17trampoline_kernelINS0_14default_configENS1_20scan_config_selectorIyEEZZNS1_9scan_implILNS1_25lookback_scan_determinismE0ELb1ELb1ES3_N6thrust23THRUST_200600_302600_NS6detail15normal_iteratorINS9_10device_ptrIyEEEENS9_16discard_iteratorINS9_11use_defaultEEEyNS9_4plusIvEEyEEDaPvRmT3_T4_T5_mT6_P12ihipStream_tbENKUlT_T0_E_clISt17integral_constantIbLb1EESW_IbLb0EEEEDaSS_ST_EUlSS_E_NS1_11comp_targetILNS1_3genE4ELNS1_11target_archE910ELNS1_3gpuE8ELNS1_3repE0EEENS1_30default_config_static_selectorELNS0_4arch9wavefront6targetE1EEEvT1_
; %bb.0:
	s_load_dwordx4 s[0:3], s[4:5], 0x0
	s_load_dwordx4 s[12:15], s[4:5], 0x20
	s_load_dword s7, s[4:5], 0x40
	v_lshlrev_b32_e32 v1, 3, v0
	s_waitcnt lgkmcnt(0)
	s_lshl_b64 s[2:3], s[2:3], 3
	s_add_u32 s22, s0, s2
	s_addc_u32 s23, s1, s3
	s_add_i32 s2, s7, -1
	s_mul_i32 s3, s2, 0x380
	s_sub_u32 s20, s12, s3
	s_subb_u32 s21, s13, 0
	s_mul_i32 s0, s6, 0x380
	s_mov_b32 s1, 0
	s_cmp_lg_u32 s6, s2
	s_cselect_b64 s[12:13], -1, 0
	s_lshl_b64 s[0:1], s[0:1], 3
	s_add_u32 s0, s22, s0
	s_addc_u32 s1, s23, s1
	s_mov_b64 s[2:3], -1
	s_and_b64 vcc, exec, s[12:13]
	s_cbranch_vccz .LBB5260_2
; %bb.1:
	v_mov_b32_e32 v3, s1
	v_add_co_u32_e32 v2, vcc, s0, v1
	v_addc_co_u32_e32 v3, vcc, 0, v3, vcc
	flat_load_dwordx2 v[4:5], v[2:3]
	flat_load_dwordx2 v[6:7], v[2:3] offset:1024
	flat_load_dwordx2 v[8:9], v[2:3] offset:2048
	;; [unrolled: 1-line block ×3, first 2 shown]
	v_add_co_u32_e32 v2, vcc, 0x1000, v2
	v_addc_co_u32_e32 v3, vcc, 0, v3, vcc
	flat_load_dwordx2 v[12:13], v[2:3]
	flat_load_dwordx2 v[14:15], v[2:3] offset:1024
	flat_load_dwordx2 v[16:17], v[2:3] offset:2048
	s_mov_b64 s[2:3], 0
	s_waitcnt vmcnt(0) lgkmcnt(0)
	ds_write2st64_b64 v1, v[4:5], v[6:7] offset1:2
	ds_write2st64_b64 v1, v[8:9], v[10:11] offset0:4 offset1:6
	ds_write2st64_b64 v1, v[12:13], v[14:15] offset0:8 offset1:10
	ds_write_b64 v1, v[16:17] offset:6144
	s_waitcnt lgkmcnt(0)
	s_barrier
.LBB5260_2:
	s_load_dwordx2 s[16:17], s[4:5], 0x38
	s_andn2_b64 vcc, exec, s[2:3]
	s_cbranch_vccnz .LBB5260_18
; %bb.3:
	v_pk_mov_b32 v[2:3], s[0:1], s[0:1] op_sel:[0,1]
	flat_load_dwordx2 v[2:3], v[2:3]
	v_cmp_gt_u32_e32 vcc, s20, v0
	s_waitcnt vmcnt(0) lgkmcnt(0)
	v_mov_b32_e32 v4, v2
	v_mov_b32_e32 v5, v3
	;; [unrolled: 1-line block ×10, first 2 shown]
	v_pk_mov_b32 v[18:19], v[14:15], v[14:15] op_sel:[0,1]
	v_pk_mov_b32 v[16:17], v[12:13], v[12:13] op_sel:[0,1]
	;; [unrolled: 1-line block ×8, first 2 shown]
	s_and_saveexec_b64 s[2:3], vcc
	s_cbranch_execz .LBB5260_5
; %bb.4:
	v_mov_b32_e32 v5, s1
	v_add_co_u32_e32 v4, vcc, s0, v1
	v_addc_co_u32_e32 v5, vcc, 0, v5, vcc
	flat_load_dwordx2 v[20:21], v[4:5]
	v_mov_b32_e32 v4, v2
	v_mov_b32_e32 v5, v3
	v_mov_b32_e32 v6, v2
	v_mov_b32_e32 v7, v3
	v_mov_b32_e32 v8, v2
	v_mov_b32_e32 v9, v3
	v_mov_b32_e32 v10, v2
	v_mov_b32_e32 v11, v3
	v_mov_b32_e32 v12, v2
	v_mov_b32_e32 v13, v3
	v_pk_mov_b32 v[18:19], v[14:15], v[14:15] op_sel:[0,1]
	v_pk_mov_b32 v[16:17], v[12:13], v[12:13] op_sel:[0,1]
	;; [unrolled: 1-line block ×8, first 2 shown]
	s_waitcnt vmcnt(0) lgkmcnt(0)
	v_pk_mov_b32 v[2:3], v[20:21], v[20:21] op_sel:[0,1]
.LBB5260_5:
	s_or_b64 exec, exec, s[2:3]
	v_or_b32_e32 v4, 0x80, v0
	v_cmp_gt_u32_e32 vcc, s20, v4
	s_and_saveexec_b64 s[2:3], vcc
	s_cbranch_execz .LBB5260_7
; %bb.6:
	v_mov_b32_e32 v5, s1
	v_add_co_u32_e32 v4, vcc, s0, v1
	v_addc_co_u32_e32 v5, vcc, 0, v5, vcc
	flat_load_dwordx2 v[6:7], v[4:5] offset:1024
.LBB5260_7:
	s_or_b64 exec, exec, s[2:3]
	v_or_b32_e32 v4, 0x100, v0
	v_cmp_gt_u32_e32 vcc, s20, v4
	s_and_saveexec_b64 s[2:3], vcc
	s_cbranch_execz .LBB5260_9
; %bb.8:
	v_mov_b32_e32 v5, s1
	v_add_co_u32_e32 v4, vcc, s0, v1
	v_addc_co_u32_e32 v5, vcc, 0, v5, vcc
	flat_load_dwordx2 v[8:9], v[4:5] offset:2048
.LBB5260_9:
	;; [unrolled: 11-line block ×3, first 2 shown]
	s_or_b64 exec, exec, s[2:3]
	v_or_b32_e32 v4, 0x200, v0
	v_cmp_gt_u32_e32 vcc, s20, v4
	s_and_saveexec_b64 s[2:3], vcc
	s_cbranch_execz .LBB5260_13
; %bb.12:
	v_lshlrev_b32_e32 v4, 3, v4
	v_mov_b32_e32 v5, s1
	v_add_co_u32_e32 v4, vcc, s0, v4
	v_addc_co_u32_e32 v5, vcc, 0, v5, vcc
	flat_load_dwordx2 v[12:13], v[4:5]
.LBB5260_13:
	s_or_b64 exec, exec, s[2:3]
	v_or_b32_e32 v4, 0x280, v0
	v_cmp_gt_u32_e32 vcc, s20, v4
	s_and_saveexec_b64 s[2:3], vcc
	s_cbranch_execz .LBB5260_15
; %bb.14:
	v_lshlrev_b32_e32 v4, 3, v4
	v_mov_b32_e32 v5, s1
	v_add_co_u32_e32 v4, vcc, s0, v4
	v_addc_co_u32_e32 v5, vcc, 0, v5, vcc
	flat_load_dwordx2 v[14:15], v[4:5]
.LBB5260_15:
	;; [unrolled: 12-line block ×3, first 2 shown]
	s_or_b64 exec, exec, s[2:3]
	s_waitcnt vmcnt(0) lgkmcnt(0)
	ds_write2st64_b64 v1, v[2:3], v[6:7] offset1:2
	ds_write2st64_b64 v1, v[8:9], v[10:11] offset0:4 offset1:6
	ds_write2st64_b64 v1, v[12:13], v[14:15] offset0:8 offset1:10
	ds_write_b64 v1, v[16:17] offset:6144
	s_waitcnt lgkmcnt(0)
	s_barrier
.LBB5260_18:
	v_mul_u32_u24_e32 v36, 7, v0
	v_lshlrev_b32_e32 v1, 3, v36
	s_waitcnt lgkmcnt(0)
	ds_read2_b64 v[10:13], v1 offset1:1
	ds_read2_b64 v[6:9], v1 offset0:2 offset1:3
	ds_read2_b64 v[2:5], v1 offset0:4 offset1:5
	ds_read_b64 v[26:27], v1 offset:48
	s_cmp_lg_u32 s6, 0
	v_lshrrev_b32_e32 v37, 5, v0
	v_cmp_gt_u32_e32 vcc, 64, v0
	s_waitcnt lgkmcnt(0)
	s_barrier
	s_cbranch_scc0 .LBB5260_49
; %bb.19:
	v_add_co_u32_e64 v1, s[0:1], v12, v10
	v_addc_co_u32_e64 v14, s[0:1], v13, v11, s[0:1]
	v_add_co_u32_e64 v1, s[0:1], v1, v6
	v_addc_co_u32_e64 v14, s[0:1], v14, v7, s[0:1]
	;; [unrolled: 2-line block ×6, first 2 shown]
	v_add_lshl_u32 v1, v37, v0, 3
	ds_write_b64 v1, v[18:19]
	s_waitcnt lgkmcnt(0)
	s_barrier
	s_and_saveexec_b64 s[8:9], vcc
	s_cbranch_execz .LBB5260_23
; %bb.20:
	v_lshlrev_b32_e32 v1, 1, v0
	v_lshrrev_b32_e32 v14, 4, v0
	v_add_lshl_u32 v20, v14, v1, 3
	ds_read2_b64 v[14:17], v20 offset1:1
	v_mbcnt_lo_u32_b32 v1, -1, 0
	s_waitcnt lgkmcnt(0)
	v_add_co_u32_e64 v21, s[0:1], v16, v14
	v_addc_co_u32_e64 v22, s[0:1], v17, v15, s[0:1]
	s_nop 0
	v_mov_b32_dpp v16, v21 row_shr:1 row_mask:0xf bank_mask:0xf
	v_add_co_u32_e64 v16, s[0:1], v21, v16
	v_addc_co_u32_e64 v24, s[0:1], 0, v22, s[0:1]
	v_mbcnt_hi_u32_b32 v17, -1, v1
	v_mov_b32_dpp v23, v22 row_shr:1 row_mask:0xf bank_mask:0xf
	v_add_co_u32_e64 v25, s[0:1], 0, v16
	v_and_b32_e32 v1, 15, v17
	v_addc_co_u32_e64 v23, s[0:1], v23, v24, s[0:1]
	v_cmp_eq_u32_e64 s[0:1], 0, v1
	v_cndmask_b32_e64 v16, v16, v21, s[0:1]
	v_cndmask_b32_e64 v23, v23, v22, s[0:1]
	v_cndmask_b32_e64 v24, v25, v21, s[0:1]
	v_mov_b32_dpp v25, v16 row_shr:2 row_mask:0xf bank_mask:0xf
	v_mov_b32_dpp v28, v23 row_shr:2 row_mask:0xf bank_mask:0xf
	v_add_co_u32_e64 v25, s[0:1], v25, v24
	v_addc_co_u32_e64 v28, s[0:1], v28, v23, s[0:1]
	v_cmp_lt_u32_e64 s[0:1], 1, v1
	v_cndmask_b32_e64 v16, v16, v25, s[0:1]
	v_cndmask_b32_e64 v23, v23, v28, s[0:1]
	v_cndmask_b32_e64 v24, v24, v25, s[0:1]
	v_mov_b32_dpp v25, v16 row_shr:4 row_mask:0xf bank_mask:0xf
	v_mov_b32_dpp v28, v23 row_shr:4 row_mask:0xf bank_mask:0xf
	v_add_co_u32_e64 v25, s[0:1], v25, v24
	v_addc_co_u32_e64 v28, s[0:1], v28, v23, s[0:1]
	v_cmp_lt_u32_e64 s[0:1], 3, v1
	;; [unrolled: 8-line block ×3, first 2 shown]
	v_cndmask_b32_e64 v29, v16, v25, s[0:1]
	v_cndmask_b32_e64 v1, v23, v28, s[0:1]
	;; [unrolled: 1-line block ×3, first 2 shown]
	v_mov_b32_dpp v23, v29 row_bcast:15 row_mask:0xf bank_mask:0xf
	v_mov_b32_dpp v24, v1 row_bcast:15 row_mask:0xf bank_mask:0xf
	v_add_co_u32_e64 v23, s[0:1], v23, v16
	v_and_b32_e32 v28, 16, v17
	v_addc_co_u32_e64 v25, s[0:1], v24, v1, s[0:1]
	v_cmp_eq_u32_e64 s[0:1], 0, v28
	v_cndmask_b32_e64 v28, v25, v1, s[0:1]
	v_cndmask_b32_e64 v24, v23, v29, s[0:1]
	v_cmp_ne_u32_e64 s[2:3], 0, v17
	v_mov_b32_dpp v28, v28 row_bcast:31 row_mask:0xf bank_mask:0xf
	v_mov_b32_dpp v24, v24 row_bcast:31 row_mask:0xf bank_mask:0xf
	s_and_saveexec_b64 s[10:11], s[2:3]
; %bb.21:
	v_cndmask_b32_e64 v1, v25, v1, s[0:1]
	v_cndmask_b32_e64 v16, v23, v16, s[0:1]
	v_cmp_lt_u32_e64 s[0:1], 31, v17
	v_cndmask_b32_e64 v21, 0, v24, s[0:1]
	v_cndmask_b32_e64 v22, 0, v28, s[0:1]
	v_add_co_u32_e64 v21, s[0:1], v21, v16
	v_addc_co_u32_e64 v22, s[0:1], v22, v1, s[0:1]
; %bb.22:
	s_or_b64 exec, exec, s[10:11]
	v_add_u32_e32 v1, -1, v17
	v_and_b32_e32 v16, 64, v17
	v_cmp_lt_i32_e64 s[0:1], v1, v16
	v_cndmask_b32_e64 v1, v1, v17, s[0:1]
	v_lshlrev_b32_e32 v1, 2, v1
	ds_bpermute_b32 v16, v1, v21
	ds_bpermute_b32 v1, v1, v22
	; wave barrier
	s_waitcnt lgkmcnt(1)
	v_add_co_u32_e64 v14, s[0:1], v14, v16
	v_addc_co_u32_e64 v15, s[0:1], 0, v15, s[0:1]
	v_add_co_u32_e64 v14, s[0:1], 0, v14
	s_waitcnt lgkmcnt(0)
	v_addc_co_u32_e64 v1, s[0:1], v15, v1, s[0:1]
	v_cmp_eq_u32_e64 s[0:1], 0, v0
	v_cndmask_b32_e64 v15, v1, v19, s[0:1]
	v_cndmask_b32_e64 v14, v14, v18, s[0:1]
	ds_write_b64 v20, v[14:15]
	; wave barrier
	ds_read_b64 v[16:17], v20 offset:8
	s_waitcnt lgkmcnt(0)
	v_add_co_u32_e64 v14, s[0:1], v16, v14
	v_addc_co_u32_e64 v15, s[0:1], v17, v15, s[0:1]
	ds_write_b64 v20, v[14:15] offset:8
.LBB5260_23:
	s_or_b64 exec, exec, s[8:9]
	v_cmp_eq_u32_e64 s[0:1], 0, v0
	v_cmp_ne_u32_e64 s[2:3], 0, v0
	v_pk_mov_b32 v[22:23], 0, 0
	s_waitcnt lgkmcnt(0)
	s_barrier
	s_and_saveexec_b64 s[8:9], s[2:3]
	s_cbranch_execz .LBB5260_25
; %bb.24:
	v_add_u32_e32 v1, -1, v0
	v_lshrrev_b32_e32 v14, 5, v1
	v_add_lshl_u32 v1, v14, v1, 3
	ds_read_b64 v[22:23], v1
.LBB5260_25:
	s_or_b64 exec, exec, s[8:9]
	s_and_saveexec_b64 s[18:19], vcc
	s_cbranch_execz .LBB5260_48
; %bb.26:
	v_mov_b32_e32 v17, 0
	ds_read_b64 v[14:15], v17 offset:1040
	v_mbcnt_lo_u32_b32 v1, -1, 0
	v_mbcnt_hi_u32_b32 v30, -1, v1
	s_mov_b32 s11, 0
	v_cmp_eq_u32_e64 s[2:3], 0, v30
	s_and_saveexec_b64 s[8:9], s[2:3]
	s_cbranch_execz .LBB5260_28
; %bb.27:
	s_add_i32 s10, s6, 64
	s_lshl_b64 s[10:11], s[10:11], 4
	s_add_u32 s10, s16, s10
	s_addc_u32 s11, s17, s11
	v_mov_b32_e32 v16, 1
	v_pk_mov_b32 v[18:19], s[10:11], s[10:11] op_sel:[0,1]
	s_waitcnt lgkmcnt(0)
	;;#ASMSTART
	global_store_dwordx4 v[18:19], v[14:17] off	
s_waitcnt vmcnt(0)
	;;#ASMEND
.LBB5260_28:
	s_or_b64 exec, exec, s[8:9]
	v_xad_u32 v24, v30, -1, s6
	v_add_u32_e32 v16, 64, v24
	v_lshlrev_b64 v[18:19], 4, v[16:17]
	v_mov_b32_e32 v1, s17
	v_add_co_u32_e32 v28, vcc, s16, v18
	v_addc_co_u32_e32 v29, vcc, v1, v19, vcc
	;;#ASMSTART
	global_load_dwordx4 v[18:21], v[28:29] off glc	
s_waitcnt vmcnt(0)
	;;#ASMEND
	v_and_b32_e32 v1, 0xff, v19
	v_and_b32_e32 v16, 0xff00, v19
	v_or3_b32 v1, 0, v1, v16
	v_or3_b32 v16, v18, 0, 0
	v_and_b32_e32 v18, 0xff000000, v19
	v_and_b32_e32 v19, 0xff0000, v19
	v_or3_b32 v19, v1, v19, v18
	v_or3_b32 v18, v16, 0, 0
	v_cmp_eq_u16_sdwa s[10:11], v20, v17 src0_sel:BYTE_0 src1_sel:DWORD
	s_and_saveexec_b64 s[8:9], s[10:11]
	s_cbranch_execz .LBB5260_34
; %bb.29:
	s_mov_b32 s7, 1
	s_mov_b64 s[10:11], 0
	v_mov_b32_e32 v1, 0
.LBB5260_30:                            ; =>This Loop Header: Depth=1
                                        ;     Child Loop BB5260_31 Depth 2
	s_max_u32 s24, s7, 1
.LBB5260_31:                            ;   Parent Loop BB5260_30 Depth=1
                                        ; =>  This Inner Loop Header: Depth=2
	s_add_i32 s24, s24, -1
	s_cmp_eq_u32 s24, 0
	s_sleep 1
	s_cbranch_scc0 .LBB5260_31
; %bb.32:                               ;   in Loop: Header=BB5260_30 Depth=1
	s_cmp_lt_u32 s7, 32
	s_cselect_b64 s[24:25], -1, 0
	s_cmp_lg_u64 s[24:25], 0
	s_addc_u32 s7, s7, 0
	;;#ASMSTART
	global_load_dwordx4 v[18:21], v[28:29] off glc	
s_waitcnt vmcnt(0)
	;;#ASMEND
	v_cmp_ne_u16_sdwa s[24:25], v20, v1 src0_sel:BYTE_0 src1_sel:DWORD
	s_or_b64 s[10:11], s[24:25], s[10:11]
	s_andn2_b64 exec, exec, s[10:11]
	s_cbranch_execnz .LBB5260_30
; %bb.33:
	s_or_b64 exec, exec, s[10:11]
.LBB5260_34:
	s_or_b64 exec, exec, s[8:9]
	v_and_b32_e32 v32, 63, v30
	v_cmp_ne_u32_e32 vcc, 63, v32
	v_addc_co_u32_e32 v28, vcc, 0, v30, vcc
	v_lshlrev_b32_e32 v33, 2, v28
	ds_bpermute_b32 v28, v33, v18
	v_mov_b32_e32 v1, 2
	v_cmp_eq_u16_sdwa s[8:9], v20, v1 src0_sel:BYTE_0 src1_sel:DWORD
	v_lshlrev_b64 v[16:17], v30, -1
	ds_bpermute_b32 v29, v33, v19
	v_and_b32_e32 v21, s9, v17
	v_or_b32_e32 v21, 0x80000000, v21
	s_waitcnt lgkmcnt(1)
	v_add_co_u32_e32 v28, vcc, v18, v28
	v_and_b32_e32 v25, s8, v16
	v_ffbl_b32_e32 v21, v21
	v_addc_co_u32_e32 v31, vcc, 0, v19, vcc
	v_add_u32_e32 v21, 32, v21
	v_ffbl_b32_e32 v25, v25
	v_add_co_u32_e32 v35, vcc, 0, v28
	v_cmp_gt_u32_e64 s[8:9], 62, v32
	v_min_u32_e32 v21, v25, v21
	s_waitcnt lgkmcnt(0)
	v_addc_co_u32_e32 v29, vcc, v29, v31, vcc
	v_cndmask_b32_e64 v31, 0, 1, s[8:9]
	v_cmp_lt_u32_e32 vcc, v32, v21
	v_lshlrev_b32_e32 v31, 1, v31
	v_cndmask_b32_e32 v28, v18, v28, vcc
	v_add_lshl_u32 v34, v31, v30, 2
	v_cndmask_b32_e32 v29, v19, v29, vcc
	ds_bpermute_b32 v31, v34, v28
	ds_bpermute_b32 v38, v34, v29
	v_cndmask_b32_e32 v39, v18, v35, vcc
	v_add_u32_e32 v35, 2, v32
	v_cmp_gt_u32_e64 s[10:11], 60, v32
	s_waitcnt lgkmcnt(1)
	v_add_co_u32_e64 v31, s[8:9], v31, v39
	s_waitcnt lgkmcnt(0)
	v_addc_co_u32_e64 v38, s[8:9], v38, v29, s[8:9]
	v_cmp_gt_u32_e64 s[8:9], v35, v21
	v_cndmask_b32_e64 v29, v38, v29, s[8:9]
	v_cndmask_b32_e64 v38, 0, 1, s[10:11]
	v_lshlrev_b32_e32 v38, 2, v38
	v_cndmask_b32_e64 v28, v31, v28, s[8:9]
	v_add_lshl_u32 v38, v38, v30, 2
	ds_bpermute_b32 v40, v38, v28
	ds_bpermute_b32 v41, v38, v29
	v_cndmask_b32_e64 v31, v31, v39, s[8:9]
	v_add_u32_e32 v39, 4, v32
	v_cmp_gt_u32_e64 s[10:11], 56, v32
	s_waitcnt lgkmcnt(1)
	v_add_co_u32_e64 v42, s[8:9], v40, v31
	s_waitcnt lgkmcnt(0)
	v_addc_co_u32_e64 v40, s[8:9], v41, v29, s[8:9]
	v_cmp_gt_u32_e64 s[8:9], v39, v21
	v_cndmask_b32_e64 v29, v40, v29, s[8:9]
	v_cndmask_b32_e64 v40, 0, 1, s[10:11]
	v_lshlrev_b32_e32 v40, 3, v40
	v_cndmask_b32_e64 v28, v42, v28, s[8:9]
	v_add_lshl_u32 v40, v40, v30, 2
	ds_bpermute_b32 v43, v40, v28
	v_cndmask_b32_e64 v31, v42, v31, s[8:9]
	ds_bpermute_b32 v42, v40, v29
	v_add_u32_e32 v41, 8, v32
	v_cmp_gt_u32_e64 s[10:11], 48, v32
	s_waitcnt lgkmcnt(1)
	v_add_co_u32_e64 v43, s[8:9], v43, v31
	s_waitcnt lgkmcnt(0)
	v_addc_co_u32_e64 v42, s[8:9], v42, v29, s[8:9]
	v_cmp_gt_u32_e64 s[8:9], v41, v21
	v_cndmask_b32_e64 v29, v42, v29, s[8:9]
	v_cndmask_b32_e64 v42, 0, 1, s[10:11]
	v_lshlrev_b32_e32 v42, 4, v42
	v_cndmask_b32_e64 v28, v43, v28, s[8:9]
	v_add_lshl_u32 v42, v42, v30, 2
	ds_bpermute_b32 v44, v42, v28
	ds_bpermute_b32 v45, v42, v29
	v_cndmask_b32_e64 v31, v43, v31, s[8:9]
	v_cmp_gt_u32_e64 s[10:11], 32, v32
	v_add_u32_e32 v43, 16, v32
	s_waitcnt lgkmcnt(1)
	v_add_co_u32_e64 v46, s[8:9], v44, v31
	s_waitcnt lgkmcnt(0)
	v_addc_co_u32_e64 v45, s[8:9], v45, v29, s[8:9]
	v_cndmask_b32_e64 v44, 0, 1, s[10:11]
	v_cmp_gt_u32_e64 s[8:9], v43, v21
	v_lshlrev_b32_e32 v44, 5, v44
	v_cndmask_b32_e64 v28, v46, v28, s[8:9]
	v_add_lshl_u32 v44, v44, v30, 2
	v_cndmask_b32_e64 v29, v45, v29, s[8:9]
	ds_bpermute_b32 v28, v44, v28
	ds_bpermute_b32 v30, v44, v29
	v_add_u32_e32 v45, 32, v32
	v_cndmask_b32_e64 v31, v46, v31, s[8:9]
	v_cmp_le_u32_e64 s[8:9], v45, v21
	s_waitcnt lgkmcnt(1)
	v_cndmask_b32_e64 v28, 0, v28, s[8:9]
	s_waitcnt lgkmcnt(0)
	v_cndmask_b32_e64 v21, 0, v30, s[8:9]
	v_add_co_u32_e64 v28, s[8:9], v28, v31
	v_addc_co_u32_e64 v21, s[8:9], v21, v29, s[8:9]
	v_mov_b32_e32 v25, 0
	v_cndmask_b32_e32 v19, v19, v21, vcc
	v_cndmask_b32_e32 v18, v18, v28, vcc
	s_branch .LBB5260_36
.LBB5260_35:                            ;   in Loop: Header=BB5260_36 Depth=1
	s_or_b64 exec, exec, s[8:9]
	v_cmp_eq_u16_sdwa s[8:9], v20, v1 src0_sel:BYTE_0 src1_sel:DWORD
	v_and_b32_e32 v21, s9, v17
	v_or_b32_e32 v21, 0x80000000, v21
	ds_bpermute_b32 v31, v33, v18
	v_and_b32_e32 v30, s8, v16
	v_ffbl_b32_e32 v21, v21
	v_add_u32_e32 v21, 32, v21
	v_ffbl_b32_e32 v30, v30
	v_min_u32_e32 v21, v30, v21
	ds_bpermute_b32 v30, v33, v19
	s_waitcnt lgkmcnt(1)
	v_add_co_u32_e32 v31, vcc, v18, v31
	v_addc_co_u32_e32 v46, vcc, 0, v19, vcc
	v_add_co_u32_e32 v47, vcc, 0, v31
	s_waitcnt lgkmcnt(0)
	v_addc_co_u32_e32 v30, vcc, v30, v46, vcc
	v_cmp_lt_u32_e32 vcc, v32, v21
	v_cndmask_b32_e32 v31, v18, v31, vcc
	ds_bpermute_b32 v46, v34, v31
	v_cndmask_b32_e32 v30, v19, v30, vcc
	ds_bpermute_b32 v48, v34, v30
	v_cndmask_b32_e32 v47, v18, v47, vcc
	v_subrev_u32_e32 v24, 64, v24
	s_waitcnt lgkmcnt(1)
	v_add_co_u32_e64 v46, s[8:9], v46, v47
	s_waitcnt lgkmcnt(0)
	v_addc_co_u32_e64 v48, s[8:9], v48, v30, s[8:9]
	v_cmp_gt_u32_e64 s[8:9], v35, v21
	v_cndmask_b32_e64 v31, v46, v31, s[8:9]
	ds_bpermute_b32 v49, v38, v31
	v_cndmask_b32_e64 v30, v48, v30, s[8:9]
	ds_bpermute_b32 v48, v38, v30
	v_cndmask_b32_e64 v46, v46, v47, s[8:9]
	s_waitcnt lgkmcnt(1)
	v_add_co_u32_e64 v47, s[8:9], v49, v46
	s_waitcnt lgkmcnt(0)
	v_addc_co_u32_e64 v48, s[8:9], v48, v30, s[8:9]
	v_cmp_gt_u32_e64 s[8:9], v39, v21
	v_cndmask_b32_e64 v31, v47, v31, s[8:9]
	ds_bpermute_b32 v49, v40, v31
	v_cndmask_b32_e64 v30, v48, v30, s[8:9]
	ds_bpermute_b32 v48, v40, v30
	v_cndmask_b32_e64 v46, v47, v46, s[8:9]
	;; [unrolled: 10-line block ×3, first 2 shown]
	s_waitcnt lgkmcnt(1)
	v_add_co_u32_e64 v47, s[8:9], v49, v46
	s_waitcnt lgkmcnt(0)
	v_addc_co_u32_e64 v48, s[8:9], v48, v30, s[8:9]
	v_cmp_gt_u32_e64 s[8:9], v43, v21
	v_cndmask_b32_e64 v31, v47, v31, s[8:9]
	v_cndmask_b32_e64 v30, v48, v30, s[8:9]
	ds_bpermute_b32 v31, v44, v31
	ds_bpermute_b32 v48, v44, v30
	v_cndmask_b32_e64 v46, v47, v46, s[8:9]
	v_cmp_le_u32_e64 s[8:9], v45, v21
	s_waitcnt lgkmcnt(1)
	v_cndmask_b32_e64 v31, 0, v31, s[8:9]
	s_waitcnt lgkmcnt(0)
	v_cndmask_b32_e64 v21, 0, v48, s[8:9]
	v_add_co_u32_e64 v31, s[8:9], v31, v46
	v_addc_co_u32_e64 v21, s[8:9], v21, v30, s[8:9]
	v_cndmask_b32_e32 v18, v18, v31, vcc
	v_cndmask_b32_e32 v19, v19, v21, vcc
	v_add_co_u32_e32 v18, vcc, v18, v28
	v_addc_co_u32_e32 v19, vcc, v19, v29, vcc
.LBB5260_36:                            ; =>This Loop Header: Depth=1
                                        ;     Child Loop BB5260_39 Depth 2
                                        ;       Child Loop BB5260_40 Depth 3
	v_cmp_ne_u16_sdwa s[8:9], v20, v1 src0_sel:BYTE_0 src1_sel:DWORD
	v_cndmask_b32_e64 v20, 0, 1, s[8:9]
	;;#ASMSTART
	;;#ASMEND
	v_cmp_ne_u32_e32 vcc, 0, v20
	s_cmp_lg_u64 vcc, exec
	v_pk_mov_b32 v[28:29], v[18:19], v[18:19] op_sel:[0,1]
	s_cbranch_scc1 .LBB5260_43
; %bb.37:                               ;   in Loop: Header=BB5260_36 Depth=1
	v_lshlrev_b64 v[18:19], 4, v[24:25]
	v_mov_b32_e32 v20, s17
	v_add_co_u32_e32 v30, vcc, s16, v18
	v_addc_co_u32_e32 v31, vcc, v20, v19, vcc
	;;#ASMSTART
	global_load_dwordx4 v[18:21], v[30:31] off glc	
s_waitcnt vmcnt(0)
	;;#ASMEND
	v_and_b32_e32 v21, 0xff, v19
	v_and_b32_e32 v46, 0xff00, v19
	v_or3_b32 v21, 0, v21, v46
	v_or3_b32 v18, v18, 0, 0
	v_and_b32_e32 v46, 0xff000000, v19
	v_and_b32_e32 v19, 0xff0000, v19
	v_or3_b32 v19, v21, v19, v46
	v_or3_b32 v18, v18, 0, 0
	v_cmp_eq_u16_sdwa s[10:11], v20, v25 src0_sel:BYTE_0 src1_sel:DWORD
	s_and_saveexec_b64 s[8:9], s[10:11]
	s_cbranch_execz .LBB5260_35
; %bb.38:                               ;   in Loop: Header=BB5260_36 Depth=1
	s_mov_b32 s7, 1
	s_mov_b64 s[10:11], 0
.LBB5260_39:                            ;   Parent Loop BB5260_36 Depth=1
                                        ; =>  This Loop Header: Depth=2
                                        ;       Child Loop BB5260_40 Depth 3
	s_max_u32 s24, s7, 1
.LBB5260_40:                            ;   Parent Loop BB5260_36 Depth=1
                                        ;     Parent Loop BB5260_39 Depth=2
                                        ; =>    This Inner Loop Header: Depth=3
	s_add_i32 s24, s24, -1
	s_cmp_eq_u32 s24, 0
	s_sleep 1
	s_cbranch_scc0 .LBB5260_40
; %bb.41:                               ;   in Loop: Header=BB5260_39 Depth=2
	s_cmp_lt_u32 s7, 32
	s_cselect_b64 s[24:25], -1, 0
	s_cmp_lg_u64 s[24:25], 0
	s_addc_u32 s7, s7, 0
	;;#ASMSTART
	global_load_dwordx4 v[18:21], v[30:31] off glc	
s_waitcnt vmcnt(0)
	;;#ASMEND
	v_cmp_ne_u16_sdwa s[24:25], v20, v25 src0_sel:BYTE_0 src1_sel:DWORD
	s_or_b64 s[10:11], s[24:25], s[10:11]
	s_andn2_b64 exec, exec, s[10:11]
	s_cbranch_execnz .LBB5260_39
; %bb.42:                               ;   in Loop: Header=BB5260_36 Depth=1
	s_or_b64 exec, exec, s[10:11]
	s_branch .LBB5260_35
.LBB5260_43:                            ;   in Loop: Header=BB5260_36 Depth=1
                                        ; implicit-def: $vgpr18_vgpr19
                                        ; implicit-def: $vgpr20
	s_cbranch_execz .LBB5260_36
; %bb.44:
	s_and_saveexec_b64 s[8:9], s[2:3]
	s_cbranch_execz .LBB5260_46
; %bb.45:
	s_add_i32 s2, s6, 64
	s_mov_b32 s3, 0
	s_lshl_b64 s[2:3], s[2:3], 4
	s_add_u32 s2, s16, s2
	v_add_co_u32_e32 v14, vcc, v28, v14
	s_addc_u32 s3, s17, s3
	v_addc_co_u32_e32 v15, vcc, v29, v15, vcc
	v_mov_b32_e32 v16, 2
	v_mov_b32_e32 v17, 0
	v_pk_mov_b32 v[18:19], s[2:3], s[2:3] op_sel:[0,1]
	;;#ASMSTART
	global_store_dwordx4 v[18:19], v[14:17] off	
s_waitcnt vmcnt(0)
	;;#ASMEND
.LBB5260_46:
	s_or_b64 exec, exec, s[8:9]
	s_and_b64 exec, exec, s[0:1]
	s_cbranch_execz .LBB5260_48
; %bb.47:
	v_mov_b32_e32 v1, 0
	ds_write_b64 v1, v[28:29]
.LBB5260_48:
	s_or_b64 exec, exec, s[18:19]
	v_mov_b32_e32 v1, 0
	s_waitcnt lgkmcnt(0)
	s_barrier
	ds_read_b64 v[14:15], v1
	s_waitcnt lgkmcnt(0)
	v_add_co_u32_e32 v14, vcc, v14, v22
	v_addc_co_u32_e32 v15, vcc, v15, v23, vcc
	v_add_co_u32_e32 v28, vcc, v14, v10
	v_addc_co_u32_e32 v29, vcc, v15, v11, vcc
	;; [unrolled: 2-line block ×7, first 2 shown]
	s_load_dwordx8 s[0:7], s[4:5], 0x48
	s_branch .LBB5260_61
.LBB5260_49:
                                        ; implicit-def: $vgpr34_vgpr35
                                        ; implicit-def: $vgpr32_vgpr33
                                        ; implicit-def: $vgpr30_vgpr31
                                        ; implicit-def: $vgpr28_vgpr29
                                        ; implicit-def: $vgpr22_vgpr23_vgpr24_vgpr25
                                        ; implicit-def: $vgpr18_vgpr19_vgpr20_vgpr21
                                        ; implicit-def: $vgpr14_vgpr15_vgpr16_vgpr17
	s_load_dwordx8 s[0:7], s[4:5], 0x48
	s_cbranch_execz .LBB5260_61
; %bb.50:
	s_waitcnt lgkmcnt(0)
	s_cmp_eq_u64 s[4:5], 0
	v_pk_mov_b32 v[20:21], s[14:15], s[14:15] op_sel:[0,1]
	s_cbranch_scc1 .LBB5260_52
; %bb.51:
	v_mov_b32_e32 v1, 0
	v_mov_b32_e32 v15, s23
	v_add_co_u32_e64 v14, vcc, -8, s22
	v_addc_co_u32_e32 v15, vcc, -1, v15, vcc
	global_load_dwordx2 v[16:17], v1, s[0:1]
	flat_load_dwordx2 v[18:19], v[14:15]
	s_waitcnt vmcnt(0) lgkmcnt(0)
	v_add_co_u32_e32 v20, vcc, v16, v18
	v_addc_co_u32_e32 v21, vcc, v17, v19, vcc
.LBB5260_52:
	v_add_co_u32_e32 v1, vcc, v12, v10
	v_addc_co_u32_e32 v14, vcc, v13, v11, vcc
	v_add_co_u32_e32 v1, vcc, v1, v6
	v_addc_co_u32_e32 v14, vcc, v14, v7, vcc
	;; [unrolled: 2-line block ×6, first 2 shown]
	v_add_lshl_u32 v1, v37, v0, 3
	v_cmp_gt_u32_e32 vcc, 64, v0
	ds_write_b64 v1, v[18:19]
	s_waitcnt lgkmcnt(0)
	s_barrier
	s_and_saveexec_b64 s[4:5], vcc
	s_cbranch_execz .LBB5260_56
; %bb.53:
	v_lshlrev_b32_e32 v1, 1, v0
	v_lshrrev_b32_e32 v14, 4, v0
	v_add_lshl_u32 v22, v14, v1, 3
	ds_read2_b64 v[14:17], v22 offset1:1
	v_mbcnt_lo_u32_b32 v1, -1, 0
	s_waitcnt lgkmcnt(0)
	v_add_co_u32_e32 v23, vcc, v16, v14
	v_addc_co_u32_e32 v24, vcc, v17, v15, vcc
	s_nop 0
	v_mov_b32_dpp v16, v23 row_shr:1 row_mask:0xf bank_mask:0xf
	v_add_co_u32_e32 v16, vcc, v23, v16
	v_addc_co_u32_e32 v26, vcc, 0, v24, vcc
	v_mbcnt_hi_u32_b32 v17, -1, v1
	v_mov_b32_dpp v25, v24 row_shr:1 row_mask:0xf bank_mask:0xf
	v_add_co_u32_e32 v27, vcc, 0, v16
	v_and_b32_e32 v1, 15, v17
	v_addc_co_u32_e32 v25, vcc, v25, v26, vcc
	v_cmp_eq_u32_e32 vcc, 0, v1
	v_cndmask_b32_e32 v16, v16, v23, vcc
	v_cndmask_b32_e32 v25, v25, v24, vcc
	v_cndmask_b32_e32 v26, v27, v23, vcc
	v_mov_b32_dpp v27, v16 row_shr:2 row_mask:0xf bank_mask:0xf
	v_mov_b32_dpp v28, v25 row_shr:2 row_mask:0xf bank_mask:0xf
	v_add_co_u32_e32 v27, vcc, v27, v26
	v_addc_co_u32_e32 v28, vcc, v28, v25, vcc
	v_cmp_lt_u32_e32 vcc, 1, v1
	v_cndmask_b32_e32 v16, v16, v27, vcc
	v_cndmask_b32_e32 v25, v25, v28, vcc
	v_cndmask_b32_e32 v26, v26, v27, vcc
	v_mov_b32_dpp v27, v16 row_shr:4 row_mask:0xf bank_mask:0xf
	v_mov_b32_dpp v28, v25 row_shr:4 row_mask:0xf bank_mask:0xf
	v_add_co_u32_e32 v27, vcc, v27, v26
	v_addc_co_u32_e32 v28, vcc, v28, v25, vcc
	v_cmp_lt_u32_e32 vcc, 3, v1
	;; [unrolled: 8-line block ×3, first 2 shown]
	v_cndmask_b32_e32 v29, v16, v27, vcc
	v_cndmask_b32_e32 v1, v25, v28, vcc
	;; [unrolled: 1-line block ×3, first 2 shown]
	v_mov_b32_dpp v25, v29 row_bcast:15 row_mask:0xf bank_mask:0xf
	v_mov_b32_dpp v26, v1 row_bcast:15 row_mask:0xf bank_mask:0xf
	v_add_co_u32_e32 v25, vcc, v25, v16
	v_and_b32_e32 v28, 16, v17
	v_addc_co_u32_e32 v27, vcc, v26, v1, vcc
	v_cmp_eq_u32_e32 vcc, 0, v28
	v_cndmask_b32_e32 v28, v27, v1, vcc
	v_cndmask_b32_e32 v26, v25, v29, vcc
	v_cmp_ne_u32_e64 s[0:1], 0, v17
	v_mov_b32_dpp v28, v28 row_bcast:31 row_mask:0xf bank_mask:0xf
	v_mov_b32_dpp v26, v26 row_bcast:31 row_mask:0xf bank_mask:0xf
	s_and_saveexec_b64 s[8:9], s[0:1]
; %bb.54:
	v_cndmask_b32_e32 v1, v27, v1, vcc
	v_cndmask_b32_e32 v16, v25, v16, vcc
	v_cmp_lt_u32_e32 vcc, 31, v17
	v_cndmask_b32_e32 v23, 0, v26, vcc
	v_cndmask_b32_e32 v24, 0, v28, vcc
	v_add_co_u32_e32 v23, vcc, v23, v16
	v_addc_co_u32_e32 v24, vcc, v24, v1, vcc
; %bb.55:
	s_or_b64 exec, exec, s[8:9]
	v_add_u32_e32 v1, -1, v17
	v_and_b32_e32 v16, 64, v17
	v_cmp_lt_i32_e32 vcc, v1, v16
	v_cndmask_b32_e32 v1, v1, v17, vcc
	v_lshlrev_b32_e32 v1, 2, v1
	ds_bpermute_b32 v16, v1, v23
	ds_bpermute_b32 v1, v1, v24
	; wave barrier
	s_waitcnt lgkmcnt(1)
	v_add_co_u32_e32 v14, vcc, v14, v16
	v_addc_co_u32_e32 v15, vcc, 0, v15, vcc
	v_add_co_u32_e32 v14, vcc, 0, v14
	s_waitcnt lgkmcnt(0)
	v_addc_co_u32_e32 v1, vcc, v15, v1, vcc
	v_cmp_eq_u32_e32 vcc, 0, v0
	v_cndmask_b32_e32 v15, v1, v19, vcc
	v_cndmask_b32_e32 v14, v14, v18, vcc
	ds_write_b64 v22, v[14:15]
	; wave barrier
	ds_read_b64 v[16:17], v22 offset:8
	s_waitcnt lgkmcnt(0)
	v_add_co_u32_e32 v14, vcc, v16, v14
	v_addc_co_u32_e32 v15, vcc, v17, v15, vcc
	ds_write_b64 v22, v[14:15] offset:8
.LBB5260_56:
	s_or_b64 exec, exec, s[4:5]
	v_cmp_eq_u32_e32 vcc, 0, v0
	v_cmp_ne_u32_e64 s[0:1], 0, v0
	v_pk_mov_b32 v[14:15], v[20:21], v[20:21] op_sel:[0,1]
	s_waitcnt lgkmcnt(0)
	s_barrier
	s_and_saveexec_b64 s[4:5], s[0:1]
	s_cbranch_execz .LBB5260_58
; %bb.57:
	v_add_u32_e32 v1, -1, v0
	v_lshrrev_b32_e32 v14, 5, v1
	v_add_lshl_u32 v1, v14, v1, 3
	ds_read_b64 v[14:15], v1
	s_waitcnt lgkmcnt(0)
	v_add_co_u32_e64 v14, s[0:1], v14, v20
	v_addc_co_u32_e64 v15, s[0:1], v15, v21, s[0:1]
.LBB5260_58:
	s_or_b64 exec, exec, s[4:5]
	v_add_co_u32_e64 v28, s[0:1], v14, v10
	v_addc_co_u32_e64 v29, s[0:1], v15, v11, s[0:1]
	v_add_co_u32_e64 v18, s[0:1], v28, v12
	v_addc_co_u32_e64 v19, s[0:1], v29, v13, s[0:1]
	;; [unrolled: 2-line block ×6, first 2 shown]
	s_and_saveexec_b64 s[0:1], vcc
	s_cbranch_execz .LBB5260_60
; %bb.59:
	v_mov_b32_e32 v5, 0
	ds_read_b64 v[2:3], v5 offset:1040
	s_add_u32 s4, s16, 0x400
	s_addc_u32 s5, s17, 0
	v_mov_b32_e32 v4, 2
	v_pk_mov_b32 v[6:7], s[4:5], s[4:5] op_sel:[0,1]
	s_waitcnt lgkmcnt(0)
	v_add_co_u32_e32 v2, vcc, v2, v20
	v_addc_co_u32_e32 v3, vcc, v3, v21, vcc
	;;#ASMSTART
	global_store_dwordx4 v[6:7], v[2:5] off	
s_waitcnt vmcnt(0)
	;;#ASMEND
.LBB5260_60:
	s_or_b64 exec, exec, s[0:1]
.LBB5260_61:
	v_mul_u32_u24_e32 v2, 56, v0
	s_waitcnt lgkmcnt(0)
	s_mov_b64 s[0:1], -1
	s_and_b64 vcc, exec, s[12:13]
	s_barrier
	ds_write2_b64 v2, v[14:15], v[28:29] offset1:1
	ds_write2_b64 v2, v[18:19], v[30:31] offset0:2 offset1:3
	ds_write2_b64 v2, v[22:23], v[32:33] offset0:4 offset1:5
	ds_write_b64 v2, v[34:35] offset:48
	s_waitcnt lgkmcnt(0)
	s_cbranch_vccz .LBB5260_63
; %bb.62:
	s_barrier
	s_mov_b64 s[0:1], 0
.LBB5260_63:
	s_andn2_b64 vcc, exec, s[0:1]
	s_cbranch_vccnz .LBB5260_88
; %bb.64:
	v_cmp_lt_u64_e64 s[0:1], s[6:7], 2
	s_and_b64 vcc, exec, s[0:1]
	s_barrier
	s_cbranch_vccnz .LBB5260_88
; %bb.65:
	s_add_u32 s0, s20, -1
	s_addc_u32 s1, s21, -1
	s_add_u32 s4, 0, 0x92481000
	s_addc_u32 s5, 0, 0x64
	s_add_i32 s5, s5, 0x249248c0
	s_mul_hi_u32 s9, s4, -7
	s_sub_i32 s9, s9, s4
	s_mul_i32 s10, s5, -7
	s_mul_i32 s6, s4, -7
	s_add_i32 s9, s9, s10
	s_mul_hi_u32 s7, s5, s6
	s_mul_i32 s8, s5, s6
	s_mul_i32 s11, s4, s9
	s_mul_hi_u32 s6, s4, s6
	s_mul_hi_u32 s10, s4, s9
	s_add_u32 s6, s6, s11
	s_addc_u32 s10, 0, s10
	s_add_u32 s6, s6, s8
	s_mul_hi_u32 s11, s5, s9
	s_addc_u32 s6, s10, s7
	s_addc_u32 s7, s11, 0
	s_mul_i32 s8, s5, s9
	s_add_u32 s6, s6, s8
	v_mov_b32_e32 v3, s6
	s_addc_u32 s7, 0, s7
	v_add_co_u32_e32 v3, vcc, s4, v3
	s_cmp_lg_u64 vcc, 0
	s_addc_u32 s4, s5, s7
	v_readfirstlane_b32 s7, v3
	s_mul_i32 s6, s0, s4
	s_mul_hi_u32 s8, s0, s7
	s_mul_hi_u32 s5, s0, s4
	s_add_u32 s6, s8, s6
	s_addc_u32 s5, 0, s5
	s_mul_hi_u32 s9, s1, s7
	s_mul_i32 s7, s1, s7
	s_add_u32 s6, s6, s7
	s_mul_hi_u32 s8, s1, s4
	s_addc_u32 s5, s5, s9
	s_addc_u32 s6, s8, 0
	s_mul_i32 s4, s1, s4
	s_add_u32 s4, s5, s4
	s_addc_u32 s5, 0, s6
	s_add_u32 s6, s4, 1
	s_addc_u32 s7, s5, 0
	s_add_u32 s8, s4, 2
	s_mul_i32 s10, s5, 7
	s_mul_hi_u32 s11, s4, 7
	s_addc_u32 s9, s5, 0
	s_add_i32 s11, s11, s10
	s_mul_i32 s10, s4, 7
	v_mov_b32_e32 v3, s10
	v_sub_co_u32_e32 v3, vcc, s0, v3
	s_cmp_lg_u64 vcc, 0
	s_subb_u32 s10, s1, s11
	v_subrev_co_u32_e32 v4, vcc, 7, v3
	s_cmp_lg_u64 vcc, 0
	s_subb_u32 s11, s10, 0
	v_readfirstlane_b32 s12, v4
	s_cmp_gt_u32 s12, 6
	s_cselect_b32 s12, -1, 0
	s_cmp_eq_u32 s11, 0
	s_cselect_b32 s11, s12, -1
	s_cmp_lg_u32 s11, 0
	s_cselect_b32 s6, s8, s6
	v_readfirstlane_b32 s8, v3
	s_cselect_b32 s7, s9, s7
	s_cmp_gt_u32 s8, 6
	s_cselect_b32 s8, -1, 0
	s_cmp_eq_u32 s10, 0
	s_cselect_b32 s8, s8, -1
	s_cmp_lg_u32 s8, 0
	v_mov_b32_e32 v1, 0
	s_cselect_b32 s5, s7, s5
	s_cselect_b32 s4, s6, s4
	v_cmp_eq_u64_e32 vcc, s[4:5], v[0:1]
	s_and_saveexec_b64 s[4:5], vcc
	s_cbranch_execz .LBB5260_88
; %bb.66:
	s_movk_i32 s4, 0xffd0
	v_mad_i32_i24 v2, v0, s4, v2
	v_mul_hi_u32_u24_e32 v1, 7, v0
	v_mov_b32_e32 v3, s1
	v_sub_co_u32_e32 v0, vcc, s0, v36
	v_subb_co_u32_e32 v1, vcc, v3, v1, vcc
	v_cmp_lt_i64_e32 vcc, 3, v[0:1]
	s_and_saveexec_b64 s[0:1], vcc
	s_xor_b64 s[0:1], exec, s[0:1]
	s_cbranch_execz .LBB5260_76
; %bb.67:
	v_cmp_lt_i64_e32 vcc, 4, v[0:1]
	s_and_saveexec_b64 s[4:5], vcc
	s_xor_b64 s[4:5], exec, s[4:5]
	s_cbranch_execz .LBB5260_73
; %bb.68:
	;; [unrolled: 5-line block ×3, first 2 shown]
	ds_read_b64 v[0:1], v2 offset:6144
	v_mov_b32_e32 v2, 0
	s_waitcnt lgkmcnt(0)
	global_store_dwordx2 v2, v[0:1], s[2:3]
                                        ; implicit-def: $vgpr2
.LBB5260_70:
	s_andn2_saveexec_b64 s[6:7], s[6:7]
	s_cbranch_execz .LBB5260_72
; %bb.71:
	ds_read_b64 v[0:1], v2 offset:5120
	v_mov_b32_e32 v2, 0
	s_waitcnt lgkmcnt(0)
	global_store_dwordx2 v2, v[0:1], s[2:3]
.LBB5260_72:
	s_or_b64 exec, exec, s[6:7]
                                        ; implicit-def: $vgpr2
.LBB5260_73:
	s_andn2_saveexec_b64 s[4:5], s[4:5]
	s_cbranch_execz .LBB5260_75
; %bb.74:
	ds_read_b64 v[0:1], v2 offset:4096
	v_mov_b32_e32 v2, 0
	s_waitcnt lgkmcnt(0)
	global_store_dwordx2 v2, v[0:1], s[2:3]
.LBB5260_75:
	s_or_b64 exec, exec, s[4:5]
                                        ; implicit-def: $vgpr0_vgpr1
                                        ; implicit-def: $vgpr2
.LBB5260_76:
	s_andn2_saveexec_b64 s[0:1], s[0:1]
	s_cbranch_execz .LBB5260_88
; %bb.77:
	v_cmp_lt_i64_e32 vcc, 1, v[0:1]
	s_and_saveexec_b64 s[0:1], vcc
	s_xor_b64 s[0:1], exec, s[0:1]
	s_cbranch_execz .LBB5260_83
; %bb.78:
	v_cmp_lt_i64_e32 vcc, 2, v[0:1]
	s_and_saveexec_b64 s[4:5], vcc
	s_xor_b64 s[4:5], exec, s[4:5]
	s_cbranch_execz .LBB5260_80
; %bb.79:
	ds_read_b64 v[0:1], v2 offset:3072
	v_mov_b32_e32 v2, 0
	s_waitcnt lgkmcnt(0)
	global_store_dwordx2 v2, v[0:1], s[2:3]
                                        ; implicit-def: $vgpr2
.LBB5260_80:
	s_andn2_saveexec_b64 s[4:5], s[4:5]
	s_cbranch_execz .LBB5260_82
; %bb.81:
	ds_read_b64 v[0:1], v2 offset:2048
	v_mov_b32_e32 v2, 0
	s_waitcnt lgkmcnt(0)
	global_store_dwordx2 v2, v[0:1], s[2:3]
.LBB5260_82:
	s_or_b64 exec, exec, s[4:5]
                                        ; implicit-def: $vgpr2
                                        ; implicit-def: $vgpr0_vgpr1
.LBB5260_83:
	s_andn2_saveexec_b64 s[0:1], s[0:1]
	s_cbranch_execz .LBB5260_88
; %bb.84:
	v_cmp_ne_u64_e32 vcc, 1, v[0:1]
	s_and_saveexec_b64 s[0:1], vcc
	s_xor_b64 s[0:1], exec, s[0:1]
	s_cbranch_execz .LBB5260_86
; %bb.85:
	ds_read_b64 v[0:1], v2
	v_mov_b32_e32 v2, 0
	s_waitcnt lgkmcnt(0)
	global_store_dwordx2 v2, v[0:1], s[2:3]
                                        ; implicit-def: $vgpr2
.LBB5260_86:
	s_andn2_saveexec_b64 s[0:1], s[0:1]
	s_cbranch_execz .LBB5260_88
; %bb.87:
	ds_read_b64 v[0:1], v2 offset:1024
	v_mov_b32_e32 v2, 0
	s_waitcnt lgkmcnt(0)
	global_store_dwordx2 v2, v[0:1], s[2:3]
.LBB5260_88:
	s_endpgm
	.section	.rodata,"a",@progbits
	.p2align	6, 0x0
	.amdhsa_kernel _ZN7rocprim17ROCPRIM_400000_NS6detail17trampoline_kernelINS0_14default_configENS1_20scan_config_selectorIyEEZZNS1_9scan_implILNS1_25lookback_scan_determinismE0ELb1ELb1ES3_N6thrust23THRUST_200600_302600_NS6detail15normal_iteratorINS9_10device_ptrIyEEEENS9_16discard_iteratorINS9_11use_defaultEEEyNS9_4plusIvEEyEEDaPvRmT3_T4_T5_mT6_P12ihipStream_tbENKUlT_T0_E_clISt17integral_constantIbLb1EESW_IbLb0EEEEDaSS_ST_EUlSS_E_NS1_11comp_targetILNS1_3genE4ELNS1_11target_archE910ELNS1_3gpuE8ELNS1_3repE0EEENS1_30default_config_static_selectorELNS0_4arch9wavefront6targetE1EEEvT1_
		.amdhsa_group_segment_fixed_size 7168
		.amdhsa_private_segment_fixed_size 0
		.amdhsa_kernarg_size 112
		.amdhsa_user_sgpr_count 6
		.amdhsa_user_sgpr_private_segment_buffer 1
		.amdhsa_user_sgpr_dispatch_ptr 0
		.amdhsa_user_sgpr_queue_ptr 0
		.amdhsa_user_sgpr_kernarg_segment_ptr 1
		.amdhsa_user_sgpr_dispatch_id 0
		.amdhsa_user_sgpr_flat_scratch_init 0
		.amdhsa_user_sgpr_kernarg_preload_length 0
		.amdhsa_user_sgpr_kernarg_preload_offset 0
		.amdhsa_user_sgpr_private_segment_size 0
		.amdhsa_uses_dynamic_stack 0
		.amdhsa_system_sgpr_private_segment_wavefront_offset 0
		.amdhsa_system_sgpr_workgroup_id_x 1
		.amdhsa_system_sgpr_workgroup_id_y 0
		.amdhsa_system_sgpr_workgroup_id_z 0
		.amdhsa_system_sgpr_workgroup_info 0
		.amdhsa_system_vgpr_workitem_id 0
		.amdhsa_next_free_vgpr 50
		.amdhsa_next_free_sgpr 26
		.amdhsa_accum_offset 52
		.amdhsa_reserve_vcc 1
		.amdhsa_reserve_flat_scratch 0
		.amdhsa_float_round_mode_32 0
		.amdhsa_float_round_mode_16_64 0
		.amdhsa_float_denorm_mode_32 3
		.amdhsa_float_denorm_mode_16_64 3
		.amdhsa_dx10_clamp 1
		.amdhsa_ieee_mode 1
		.amdhsa_fp16_overflow 0
		.amdhsa_tg_split 0
		.amdhsa_exception_fp_ieee_invalid_op 0
		.amdhsa_exception_fp_denorm_src 0
		.amdhsa_exception_fp_ieee_div_zero 0
		.amdhsa_exception_fp_ieee_overflow 0
		.amdhsa_exception_fp_ieee_underflow 0
		.amdhsa_exception_fp_ieee_inexact 0
		.amdhsa_exception_int_div_zero 0
	.end_amdhsa_kernel
	.section	.text._ZN7rocprim17ROCPRIM_400000_NS6detail17trampoline_kernelINS0_14default_configENS1_20scan_config_selectorIyEEZZNS1_9scan_implILNS1_25lookback_scan_determinismE0ELb1ELb1ES3_N6thrust23THRUST_200600_302600_NS6detail15normal_iteratorINS9_10device_ptrIyEEEENS9_16discard_iteratorINS9_11use_defaultEEEyNS9_4plusIvEEyEEDaPvRmT3_T4_T5_mT6_P12ihipStream_tbENKUlT_T0_E_clISt17integral_constantIbLb1EESW_IbLb0EEEEDaSS_ST_EUlSS_E_NS1_11comp_targetILNS1_3genE4ELNS1_11target_archE910ELNS1_3gpuE8ELNS1_3repE0EEENS1_30default_config_static_selectorELNS0_4arch9wavefront6targetE1EEEvT1_,"axG",@progbits,_ZN7rocprim17ROCPRIM_400000_NS6detail17trampoline_kernelINS0_14default_configENS1_20scan_config_selectorIyEEZZNS1_9scan_implILNS1_25lookback_scan_determinismE0ELb1ELb1ES3_N6thrust23THRUST_200600_302600_NS6detail15normal_iteratorINS9_10device_ptrIyEEEENS9_16discard_iteratorINS9_11use_defaultEEEyNS9_4plusIvEEyEEDaPvRmT3_T4_T5_mT6_P12ihipStream_tbENKUlT_T0_E_clISt17integral_constantIbLb1EESW_IbLb0EEEEDaSS_ST_EUlSS_E_NS1_11comp_targetILNS1_3genE4ELNS1_11target_archE910ELNS1_3gpuE8ELNS1_3repE0EEENS1_30default_config_static_selectorELNS0_4arch9wavefront6targetE1EEEvT1_,comdat
.Lfunc_end5260:
	.size	_ZN7rocprim17ROCPRIM_400000_NS6detail17trampoline_kernelINS0_14default_configENS1_20scan_config_selectorIyEEZZNS1_9scan_implILNS1_25lookback_scan_determinismE0ELb1ELb1ES3_N6thrust23THRUST_200600_302600_NS6detail15normal_iteratorINS9_10device_ptrIyEEEENS9_16discard_iteratorINS9_11use_defaultEEEyNS9_4plusIvEEyEEDaPvRmT3_T4_T5_mT6_P12ihipStream_tbENKUlT_T0_E_clISt17integral_constantIbLb1EESW_IbLb0EEEEDaSS_ST_EUlSS_E_NS1_11comp_targetILNS1_3genE4ELNS1_11target_archE910ELNS1_3gpuE8ELNS1_3repE0EEENS1_30default_config_static_selectorELNS0_4arch9wavefront6targetE1EEEvT1_, .Lfunc_end5260-_ZN7rocprim17ROCPRIM_400000_NS6detail17trampoline_kernelINS0_14default_configENS1_20scan_config_selectorIyEEZZNS1_9scan_implILNS1_25lookback_scan_determinismE0ELb1ELb1ES3_N6thrust23THRUST_200600_302600_NS6detail15normal_iteratorINS9_10device_ptrIyEEEENS9_16discard_iteratorINS9_11use_defaultEEEyNS9_4plusIvEEyEEDaPvRmT3_T4_T5_mT6_P12ihipStream_tbENKUlT_T0_E_clISt17integral_constantIbLb1EESW_IbLb0EEEEDaSS_ST_EUlSS_E_NS1_11comp_targetILNS1_3genE4ELNS1_11target_archE910ELNS1_3gpuE8ELNS1_3repE0EEENS1_30default_config_static_selectorELNS0_4arch9wavefront6targetE1EEEvT1_
                                        ; -- End function
	.section	.AMDGPU.csdata,"",@progbits
; Kernel info:
; codeLenInByte = 5276
; NumSgprs: 30
; NumVgprs: 50
; NumAgprs: 0
; TotalNumVgprs: 50
; ScratchSize: 0
; MemoryBound: 0
; FloatMode: 240
; IeeeMode: 1
; LDSByteSize: 7168 bytes/workgroup (compile time only)
; SGPRBlocks: 3
; VGPRBlocks: 6
; NumSGPRsForWavesPerEU: 30
; NumVGPRsForWavesPerEU: 50
; AccumOffset: 52
; Occupancy: 5
; WaveLimiterHint : 1
; COMPUTE_PGM_RSRC2:SCRATCH_EN: 0
; COMPUTE_PGM_RSRC2:USER_SGPR: 6
; COMPUTE_PGM_RSRC2:TRAP_HANDLER: 0
; COMPUTE_PGM_RSRC2:TGID_X_EN: 1
; COMPUTE_PGM_RSRC2:TGID_Y_EN: 0
; COMPUTE_PGM_RSRC2:TGID_Z_EN: 0
; COMPUTE_PGM_RSRC2:TIDIG_COMP_CNT: 0
; COMPUTE_PGM_RSRC3_GFX90A:ACCUM_OFFSET: 12
; COMPUTE_PGM_RSRC3_GFX90A:TG_SPLIT: 0
	.section	.text._ZN7rocprim17ROCPRIM_400000_NS6detail17trampoline_kernelINS0_14default_configENS1_20scan_config_selectorIyEEZZNS1_9scan_implILNS1_25lookback_scan_determinismE0ELb1ELb1ES3_N6thrust23THRUST_200600_302600_NS6detail15normal_iteratorINS9_10device_ptrIyEEEENS9_16discard_iteratorINS9_11use_defaultEEEyNS9_4plusIvEEyEEDaPvRmT3_T4_T5_mT6_P12ihipStream_tbENKUlT_T0_E_clISt17integral_constantIbLb1EESW_IbLb0EEEEDaSS_ST_EUlSS_E_NS1_11comp_targetILNS1_3genE3ELNS1_11target_archE908ELNS1_3gpuE7ELNS1_3repE0EEENS1_30default_config_static_selectorELNS0_4arch9wavefront6targetE1EEEvT1_,"axG",@progbits,_ZN7rocprim17ROCPRIM_400000_NS6detail17trampoline_kernelINS0_14default_configENS1_20scan_config_selectorIyEEZZNS1_9scan_implILNS1_25lookback_scan_determinismE0ELb1ELb1ES3_N6thrust23THRUST_200600_302600_NS6detail15normal_iteratorINS9_10device_ptrIyEEEENS9_16discard_iteratorINS9_11use_defaultEEEyNS9_4plusIvEEyEEDaPvRmT3_T4_T5_mT6_P12ihipStream_tbENKUlT_T0_E_clISt17integral_constantIbLb1EESW_IbLb0EEEEDaSS_ST_EUlSS_E_NS1_11comp_targetILNS1_3genE3ELNS1_11target_archE908ELNS1_3gpuE7ELNS1_3repE0EEENS1_30default_config_static_selectorELNS0_4arch9wavefront6targetE1EEEvT1_,comdat
	.protected	_ZN7rocprim17ROCPRIM_400000_NS6detail17trampoline_kernelINS0_14default_configENS1_20scan_config_selectorIyEEZZNS1_9scan_implILNS1_25lookback_scan_determinismE0ELb1ELb1ES3_N6thrust23THRUST_200600_302600_NS6detail15normal_iteratorINS9_10device_ptrIyEEEENS9_16discard_iteratorINS9_11use_defaultEEEyNS9_4plusIvEEyEEDaPvRmT3_T4_T5_mT6_P12ihipStream_tbENKUlT_T0_E_clISt17integral_constantIbLb1EESW_IbLb0EEEEDaSS_ST_EUlSS_E_NS1_11comp_targetILNS1_3genE3ELNS1_11target_archE908ELNS1_3gpuE7ELNS1_3repE0EEENS1_30default_config_static_selectorELNS0_4arch9wavefront6targetE1EEEvT1_ ; -- Begin function _ZN7rocprim17ROCPRIM_400000_NS6detail17trampoline_kernelINS0_14default_configENS1_20scan_config_selectorIyEEZZNS1_9scan_implILNS1_25lookback_scan_determinismE0ELb1ELb1ES3_N6thrust23THRUST_200600_302600_NS6detail15normal_iteratorINS9_10device_ptrIyEEEENS9_16discard_iteratorINS9_11use_defaultEEEyNS9_4plusIvEEyEEDaPvRmT3_T4_T5_mT6_P12ihipStream_tbENKUlT_T0_E_clISt17integral_constantIbLb1EESW_IbLb0EEEEDaSS_ST_EUlSS_E_NS1_11comp_targetILNS1_3genE3ELNS1_11target_archE908ELNS1_3gpuE7ELNS1_3repE0EEENS1_30default_config_static_selectorELNS0_4arch9wavefront6targetE1EEEvT1_
	.globl	_ZN7rocprim17ROCPRIM_400000_NS6detail17trampoline_kernelINS0_14default_configENS1_20scan_config_selectorIyEEZZNS1_9scan_implILNS1_25lookback_scan_determinismE0ELb1ELb1ES3_N6thrust23THRUST_200600_302600_NS6detail15normal_iteratorINS9_10device_ptrIyEEEENS9_16discard_iteratorINS9_11use_defaultEEEyNS9_4plusIvEEyEEDaPvRmT3_T4_T5_mT6_P12ihipStream_tbENKUlT_T0_E_clISt17integral_constantIbLb1EESW_IbLb0EEEEDaSS_ST_EUlSS_E_NS1_11comp_targetILNS1_3genE3ELNS1_11target_archE908ELNS1_3gpuE7ELNS1_3repE0EEENS1_30default_config_static_selectorELNS0_4arch9wavefront6targetE1EEEvT1_
	.p2align	8
	.type	_ZN7rocprim17ROCPRIM_400000_NS6detail17trampoline_kernelINS0_14default_configENS1_20scan_config_selectorIyEEZZNS1_9scan_implILNS1_25lookback_scan_determinismE0ELb1ELb1ES3_N6thrust23THRUST_200600_302600_NS6detail15normal_iteratorINS9_10device_ptrIyEEEENS9_16discard_iteratorINS9_11use_defaultEEEyNS9_4plusIvEEyEEDaPvRmT3_T4_T5_mT6_P12ihipStream_tbENKUlT_T0_E_clISt17integral_constantIbLb1EESW_IbLb0EEEEDaSS_ST_EUlSS_E_NS1_11comp_targetILNS1_3genE3ELNS1_11target_archE908ELNS1_3gpuE7ELNS1_3repE0EEENS1_30default_config_static_selectorELNS0_4arch9wavefront6targetE1EEEvT1_,@function
_ZN7rocprim17ROCPRIM_400000_NS6detail17trampoline_kernelINS0_14default_configENS1_20scan_config_selectorIyEEZZNS1_9scan_implILNS1_25lookback_scan_determinismE0ELb1ELb1ES3_N6thrust23THRUST_200600_302600_NS6detail15normal_iteratorINS9_10device_ptrIyEEEENS9_16discard_iteratorINS9_11use_defaultEEEyNS9_4plusIvEEyEEDaPvRmT3_T4_T5_mT6_P12ihipStream_tbENKUlT_T0_E_clISt17integral_constantIbLb1EESW_IbLb0EEEEDaSS_ST_EUlSS_E_NS1_11comp_targetILNS1_3genE3ELNS1_11target_archE908ELNS1_3gpuE7ELNS1_3repE0EEENS1_30default_config_static_selectorELNS0_4arch9wavefront6targetE1EEEvT1_: ; @_ZN7rocprim17ROCPRIM_400000_NS6detail17trampoline_kernelINS0_14default_configENS1_20scan_config_selectorIyEEZZNS1_9scan_implILNS1_25lookback_scan_determinismE0ELb1ELb1ES3_N6thrust23THRUST_200600_302600_NS6detail15normal_iteratorINS9_10device_ptrIyEEEENS9_16discard_iteratorINS9_11use_defaultEEEyNS9_4plusIvEEyEEDaPvRmT3_T4_T5_mT6_P12ihipStream_tbENKUlT_T0_E_clISt17integral_constantIbLb1EESW_IbLb0EEEEDaSS_ST_EUlSS_E_NS1_11comp_targetILNS1_3genE3ELNS1_11target_archE908ELNS1_3gpuE7ELNS1_3repE0EEENS1_30default_config_static_selectorELNS0_4arch9wavefront6targetE1EEEvT1_
; %bb.0:
	.section	.rodata,"a",@progbits
	.p2align	6, 0x0
	.amdhsa_kernel _ZN7rocprim17ROCPRIM_400000_NS6detail17trampoline_kernelINS0_14default_configENS1_20scan_config_selectorIyEEZZNS1_9scan_implILNS1_25lookback_scan_determinismE0ELb1ELb1ES3_N6thrust23THRUST_200600_302600_NS6detail15normal_iteratorINS9_10device_ptrIyEEEENS9_16discard_iteratorINS9_11use_defaultEEEyNS9_4plusIvEEyEEDaPvRmT3_T4_T5_mT6_P12ihipStream_tbENKUlT_T0_E_clISt17integral_constantIbLb1EESW_IbLb0EEEEDaSS_ST_EUlSS_E_NS1_11comp_targetILNS1_3genE3ELNS1_11target_archE908ELNS1_3gpuE7ELNS1_3repE0EEENS1_30default_config_static_selectorELNS0_4arch9wavefront6targetE1EEEvT1_
		.amdhsa_group_segment_fixed_size 0
		.amdhsa_private_segment_fixed_size 0
		.amdhsa_kernarg_size 112
		.amdhsa_user_sgpr_count 6
		.amdhsa_user_sgpr_private_segment_buffer 1
		.amdhsa_user_sgpr_dispatch_ptr 0
		.amdhsa_user_sgpr_queue_ptr 0
		.amdhsa_user_sgpr_kernarg_segment_ptr 1
		.amdhsa_user_sgpr_dispatch_id 0
		.amdhsa_user_sgpr_flat_scratch_init 0
		.amdhsa_user_sgpr_kernarg_preload_length 0
		.amdhsa_user_sgpr_kernarg_preload_offset 0
		.amdhsa_user_sgpr_private_segment_size 0
		.amdhsa_uses_dynamic_stack 0
		.amdhsa_system_sgpr_private_segment_wavefront_offset 0
		.amdhsa_system_sgpr_workgroup_id_x 1
		.amdhsa_system_sgpr_workgroup_id_y 0
		.amdhsa_system_sgpr_workgroup_id_z 0
		.amdhsa_system_sgpr_workgroup_info 0
		.amdhsa_system_vgpr_workitem_id 0
		.amdhsa_next_free_vgpr 1
		.amdhsa_next_free_sgpr 0
		.amdhsa_accum_offset 4
		.amdhsa_reserve_vcc 0
		.amdhsa_reserve_flat_scratch 0
		.amdhsa_float_round_mode_32 0
		.amdhsa_float_round_mode_16_64 0
		.amdhsa_float_denorm_mode_32 3
		.amdhsa_float_denorm_mode_16_64 3
		.amdhsa_dx10_clamp 1
		.amdhsa_ieee_mode 1
		.amdhsa_fp16_overflow 0
		.amdhsa_tg_split 0
		.amdhsa_exception_fp_ieee_invalid_op 0
		.amdhsa_exception_fp_denorm_src 0
		.amdhsa_exception_fp_ieee_div_zero 0
		.amdhsa_exception_fp_ieee_overflow 0
		.amdhsa_exception_fp_ieee_underflow 0
		.amdhsa_exception_fp_ieee_inexact 0
		.amdhsa_exception_int_div_zero 0
	.end_amdhsa_kernel
	.section	.text._ZN7rocprim17ROCPRIM_400000_NS6detail17trampoline_kernelINS0_14default_configENS1_20scan_config_selectorIyEEZZNS1_9scan_implILNS1_25lookback_scan_determinismE0ELb1ELb1ES3_N6thrust23THRUST_200600_302600_NS6detail15normal_iteratorINS9_10device_ptrIyEEEENS9_16discard_iteratorINS9_11use_defaultEEEyNS9_4plusIvEEyEEDaPvRmT3_T4_T5_mT6_P12ihipStream_tbENKUlT_T0_E_clISt17integral_constantIbLb1EESW_IbLb0EEEEDaSS_ST_EUlSS_E_NS1_11comp_targetILNS1_3genE3ELNS1_11target_archE908ELNS1_3gpuE7ELNS1_3repE0EEENS1_30default_config_static_selectorELNS0_4arch9wavefront6targetE1EEEvT1_,"axG",@progbits,_ZN7rocprim17ROCPRIM_400000_NS6detail17trampoline_kernelINS0_14default_configENS1_20scan_config_selectorIyEEZZNS1_9scan_implILNS1_25lookback_scan_determinismE0ELb1ELb1ES3_N6thrust23THRUST_200600_302600_NS6detail15normal_iteratorINS9_10device_ptrIyEEEENS9_16discard_iteratorINS9_11use_defaultEEEyNS9_4plusIvEEyEEDaPvRmT3_T4_T5_mT6_P12ihipStream_tbENKUlT_T0_E_clISt17integral_constantIbLb1EESW_IbLb0EEEEDaSS_ST_EUlSS_E_NS1_11comp_targetILNS1_3genE3ELNS1_11target_archE908ELNS1_3gpuE7ELNS1_3repE0EEENS1_30default_config_static_selectorELNS0_4arch9wavefront6targetE1EEEvT1_,comdat
.Lfunc_end5261:
	.size	_ZN7rocprim17ROCPRIM_400000_NS6detail17trampoline_kernelINS0_14default_configENS1_20scan_config_selectorIyEEZZNS1_9scan_implILNS1_25lookback_scan_determinismE0ELb1ELb1ES3_N6thrust23THRUST_200600_302600_NS6detail15normal_iteratorINS9_10device_ptrIyEEEENS9_16discard_iteratorINS9_11use_defaultEEEyNS9_4plusIvEEyEEDaPvRmT3_T4_T5_mT6_P12ihipStream_tbENKUlT_T0_E_clISt17integral_constantIbLb1EESW_IbLb0EEEEDaSS_ST_EUlSS_E_NS1_11comp_targetILNS1_3genE3ELNS1_11target_archE908ELNS1_3gpuE7ELNS1_3repE0EEENS1_30default_config_static_selectorELNS0_4arch9wavefront6targetE1EEEvT1_, .Lfunc_end5261-_ZN7rocprim17ROCPRIM_400000_NS6detail17trampoline_kernelINS0_14default_configENS1_20scan_config_selectorIyEEZZNS1_9scan_implILNS1_25lookback_scan_determinismE0ELb1ELb1ES3_N6thrust23THRUST_200600_302600_NS6detail15normal_iteratorINS9_10device_ptrIyEEEENS9_16discard_iteratorINS9_11use_defaultEEEyNS9_4plusIvEEyEEDaPvRmT3_T4_T5_mT6_P12ihipStream_tbENKUlT_T0_E_clISt17integral_constantIbLb1EESW_IbLb0EEEEDaSS_ST_EUlSS_E_NS1_11comp_targetILNS1_3genE3ELNS1_11target_archE908ELNS1_3gpuE7ELNS1_3repE0EEENS1_30default_config_static_selectorELNS0_4arch9wavefront6targetE1EEEvT1_
                                        ; -- End function
	.section	.AMDGPU.csdata,"",@progbits
; Kernel info:
; codeLenInByte = 0
; NumSgprs: 4
; NumVgprs: 0
; NumAgprs: 0
; TotalNumVgprs: 0
; ScratchSize: 0
; MemoryBound: 0
; FloatMode: 240
; IeeeMode: 1
; LDSByteSize: 0 bytes/workgroup (compile time only)
; SGPRBlocks: 0
; VGPRBlocks: 0
; NumSGPRsForWavesPerEU: 4
; NumVGPRsForWavesPerEU: 1
; AccumOffset: 4
; Occupancy: 8
; WaveLimiterHint : 0
; COMPUTE_PGM_RSRC2:SCRATCH_EN: 0
; COMPUTE_PGM_RSRC2:USER_SGPR: 6
; COMPUTE_PGM_RSRC2:TRAP_HANDLER: 0
; COMPUTE_PGM_RSRC2:TGID_X_EN: 1
; COMPUTE_PGM_RSRC2:TGID_Y_EN: 0
; COMPUTE_PGM_RSRC2:TGID_Z_EN: 0
; COMPUTE_PGM_RSRC2:TIDIG_COMP_CNT: 0
; COMPUTE_PGM_RSRC3_GFX90A:ACCUM_OFFSET: 0
; COMPUTE_PGM_RSRC3_GFX90A:TG_SPLIT: 0
	.section	.text._ZN7rocprim17ROCPRIM_400000_NS6detail17trampoline_kernelINS0_14default_configENS1_20scan_config_selectorIyEEZZNS1_9scan_implILNS1_25lookback_scan_determinismE0ELb1ELb1ES3_N6thrust23THRUST_200600_302600_NS6detail15normal_iteratorINS9_10device_ptrIyEEEENS9_16discard_iteratorINS9_11use_defaultEEEyNS9_4plusIvEEyEEDaPvRmT3_T4_T5_mT6_P12ihipStream_tbENKUlT_T0_E_clISt17integral_constantIbLb1EESW_IbLb0EEEEDaSS_ST_EUlSS_E_NS1_11comp_targetILNS1_3genE2ELNS1_11target_archE906ELNS1_3gpuE6ELNS1_3repE0EEENS1_30default_config_static_selectorELNS0_4arch9wavefront6targetE1EEEvT1_,"axG",@progbits,_ZN7rocprim17ROCPRIM_400000_NS6detail17trampoline_kernelINS0_14default_configENS1_20scan_config_selectorIyEEZZNS1_9scan_implILNS1_25lookback_scan_determinismE0ELb1ELb1ES3_N6thrust23THRUST_200600_302600_NS6detail15normal_iteratorINS9_10device_ptrIyEEEENS9_16discard_iteratorINS9_11use_defaultEEEyNS9_4plusIvEEyEEDaPvRmT3_T4_T5_mT6_P12ihipStream_tbENKUlT_T0_E_clISt17integral_constantIbLb1EESW_IbLb0EEEEDaSS_ST_EUlSS_E_NS1_11comp_targetILNS1_3genE2ELNS1_11target_archE906ELNS1_3gpuE6ELNS1_3repE0EEENS1_30default_config_static_selectorELNS0_4arch9wavefront6targetE1EEEvT1_,comdat
	.protected	_ZN7rocprim17ROCPRIM_400000_NS6detail17trampoline_kernelINS0_14default_configENS1_20scan_config_selectorIyEEZZNS1_9scan_implILNS1_25lookback_scan_determinismE0ELb1ELb1ES3_N6thrust23THRUST_200600_302600_NS6detail15normal_iteratorINS9_10device_ptrIyEEEENS9_16discard_iteratorINS9_11use_defaultEEEyNS9_4plusIvEEyEEDaPvRmT3_T4_T5_mT6_P12ihipStream_tbENKUlT_T0_E_clISt17integral_constantIbLb1EESW_IbLb0EEEEDaSS_ST_EUlSS_E_NS1_11comp_targetILNS1_3genE2ELNS1_11target_archE906ELNS1_3gpuE6ELNS1_3repE0EEENS1_30default_config_static_selectorELNS0_4arch9wavefront6targetE1EEEvT1_ ; -- Begin function _ZN7rocprim17ROCPRIM_400000_NS6detail17trampoline_kernelINS0_14default_configENS1_20scan_config_selectorIyEEZZNS1_9scan_implILNS1_25lookback_scan_determinismE0ELb1ELb1ES3_N6thrust23THRUST_200600_302600_NS6detail15normal_iteratorINS9_10device_ptrIyEEEENS9_16discard_iteratorINS9_11use_defaultEEEyNS9_4plusIvEEyEEDaPvRmT3_T4_T5_mT6_P12ihipStream_tbENKUlT_T0_E_clISt17integral_constantIbLb1EESW_IbLb0EEEEDaSS_ST_EUlSS_E_NS1_11comp_targetILNS1_3genE2ELNS1_11target_archE906ELNS1_3gpuE6ELNS1_3repE0EEENS1_30default_config_static_selectorELNS0_4arch9wavefront6targetE1EEEvT1_
	.globl	_ZN7rocprim17ROCPRIM_400000_NS6detail17trampoline_kernelINS0_14default_configENS1_20scan_config_selectorIyEEZZNS1_9scan_implILNS1_25lookback_scan_determinismE0ELb1ELb1ES3_N6thrust23THRUST_200600_302600_NS6detail15normal_iteratorINS9_10device_ptrIyEEEENS9_16discard_iteratorINS9_11use_defaultEEEyNS9_4plusIvEEyEEDaPvRmT3_T4_T5_mT6_P12ihipStream_tbENKUlT_T0_E_clISt17integral_constantIbLb1EESW_IbLb0EEEEDaSS_ST_EUlSS_E_NS1_11comp_targetILNS1_3genE2ELNS1_11target_archE906ELNS1_3gpuE6ELNS1_3repE0EEENS1_30default_config_static_selectorELNS0_4arch9wavefront6targetE1EEEvT1_
	.p2align	8
	.type	_ZN7rocprim17ROCPRIM_400000_NS6detail17trampoline_kernelINS0_14default_configENS1_20scan_config_selectorIyEEZZNS1_9scan_implILNS1_25lookback_scan_determinismE0ELb1ELb1ES3_N6thrust23THRUST_200600_302600_NS6detail15normal_iteratorINS9_10device_ptrIyEEEENS9_16discard_iteratorINS9_11use_defaultEEEyNS9_4plusIvEEyEEDaPvRmT3_T4_T5_mT6_P12ihipStream_tbENKUlT_T0_E_clISt17integral_constantIbLb1EESW_IbLb0EEEEDaSS_ST_EUlSS_E_NS1_11comp_targetILNS1_3genE2ELNS1_11target_archE906ELNS1_3gpuE6ELNS1_3repE0EEENS1_30default_config_static_selectorELNS0_4arch9wavefront6targetE1EEEvT1_,@function
_ZN7rocprim17ROCPRIM_400000_NS6detail17trampoline_kernelINS0_14default_configENS1_20scan_config_selectorIyEEZZNS1_9scan_implILNS1_25lookback_scan_determinismE0ELb1ELb1ES3_N6thrust23THRUST_200600_302600_NS6detail15normal_iteratorINS9_10device_ptrIyEEEENS9_16discard_iteratorINS9_11use_defaultEEEyNS9_4plusIvEEyEEDaPvRmT3_T4_T5_mT6_P12ihipStream_tbENKUlT_T0_E_clISt17integral_constantIbLb1EESW_IbLb0EEEEDaSS_ST_EUlSS_E_NS1_11comp_targetILNS1_3genE2ELNS1_11target_archE906ELNS1_3gpuE6ELNS1_3repE0EEENS1_30default_config_static_selectorELNS0_4arch9wavefront6targetE1EEEvT1_: ; @_ZN7rocprim17ROCPRIM_400000_NS6detail17trampoline_kernelINS0_14default_configENS1_20scan_config_selectorIyEEZZNS1_9scan_implILNS1_25lookback_scan_determinismE0ELb1ELb1ES3_N6thrust23THRUST_200600_302600_NS6detail15normal_iteratorINS9_10device_ptrIyEEEENS9_16discard_iteratorINS9_11use_defaultEEEyNS9_4plusIvEEyEEDaPvRmT3_T4_T5_mT6_P12ihipStream_tbENKUlT_T0_E_clISt17integral_constantIbLb1EESW_IbLb0EEEEDaSS_ST_EUlSS_E_NS1_11comp_targetILNS1_3genE2ELNS1_11target_archE906ELNS1_3gpuE6ELNS1_3repE0EEENS1_30default_config_static_selectorELNS0_4arch9wavefront6targetE1EEEvT1_
; %bb.0:
	.section	.rodata,"a",@progbits
	.p2align	6, 0x0
	.amdhsa_kernel _ZN7rocprim17ROCPRIM_400000_NS6detail17trampoline_kernelINS0_14default_configENS1_20scan_config_selectorIyEEZZNS1_9scan_implILNS1_25lookback_scan_determinismE0ELb1ELb1ES3_N6thrust23THRUST_200600_302600_NS6detail15normal_iteratorINS9_10device_ptrIyEEEENS9_16discard_iteratorINS9_11use_defaultEEEyNS9_4plusIvEEyEEDaPvRmT3_T4_T5_mT6_P12ihipStream_tbENKUlT_T0_E_clISt17integral_constantIbLb1EESW_IbLb0EEEEDaSS_ST_EUlSS_E_NS1_11comp_targetILNS1_3genE2ELNS1_11target_archE906ELNS1_3gpuE6ELNS1_3repE0EEENS1_30default_config_static_selectorELNS0_4arch9wavefront6targetE1EEEvT1_
		.amdhsa_group_segment_fixed_size 0
		.amdhsa_private_segment_fixed_size 0
		.amdhsa_kernarg_size 112
		.amdhsa_user_sgpr_count 6
		.amdhsa_user_sgpr_private_segment_buffer 1
		.amdhsa_user_sgpr_dispatch_ptr 0
		.amdhsa_user_sgpr_queue_ptr 0
		.amdhsa_user_sgpr_kernarg_segment_ptr 1
		.amdhsa_user_sgpr_dispatch_id 0
		.amdhsa_user_sgpr_flat_scratch_init 0
		.amdhsa_user_sgpr_kernarg_preload_length 0
		.amdhsa_user_sgpr_kernarg_preload_offset 0
		.amdhsa_user_sgpr_private_segment_size 0
		.amdhsa_uses_dynamic_stack 0
		.amdhsa_system_sgpr_private_segment_wavefront_offset 0
		.amdhsa_system_sgpr_workgroup_id_x 1
		.amdhsa_system_sgpr_workgroup_id_y 0
		.amdhsa_system_sgpr_workgroup_id_z 0
		.amdhsa_system_sgpr_workgroup_info 0
		.amdhsa_system_vgpr_workitem_id 0
		.amdhsa_next_free_vgpr 1
		.amdhsa_next_free_sgpr 0
		.amdhsa_accum_offset 4
		.amdhsa_reserve_vcc 0
		.amdhsa_reserve_flat_scratch 0
		.amdhsa_float_round_mode_32 0
		.amdhsa_float_round_mode_16_64 0
		.amdhsa_float_denorm_mode_32 3
		.amdhsa_float_denorm_mode_16_64 3
		.amdhsa_dx10_clamp 1
		.amdhsa_ieee_mode 1
		.amdhsa_fp16_overflow 0
		.amdhsa_tg_split 0
		.amdhsa_exception_fp_ieee_invalid_op 0
		.amdhsa_exception_fp_denorm_src 0
		.amdhsa_exception_fp_ieee_div_zero 0
		.amdhsa_exception_fp_ieee_overflow 0
		.amdhsa_exception_fp_ieee_underflow 0
		.amdhsa_exception_fp_ieee_inexact 0
		.amdhsa_exception_int_div_zero 0
	.end_amdhsa_kernel
	.section	.text._ZN7rocprim17ROCPRIM_400000_NS6detail17trampoline_kernelINS0_14default_configENS1_20scan_config_selectorIyEEZZNS1_9scan_implILNS1_25lookback_scan_determinismE0ELb1ELb1ES3_N6thrust23THRUST_200600_302600_NS6detail15normal_iteratorINS9_10device_ptrIyEEEENS9_16discard_iteratorINS9_11use_defaultEEEyNS9_4plusIvEEyEEDaPvRmT3_T4_T5_mT6_P12ihipStream_tbENKUlT_T0_E_clISt17integral_constantIbLb1EESW_IbLb0EEEEDaSS_ST_EUlSS_E_NS1_11comp_targetILNS1_3genE2ELNS1_11target_archE906ELNS1_3gpuE6ELNS1_3repE0EEENS1_30default_config_static_selectorELNS0_4arch9wavefront6targetE1EEEvT1_,"axG",@progbits,_ZN7rocprim17ROCPRIM_400000_NS6detail17trampoline_kernelINS0_14default_configENS1_20scan_config_selectorIyEEZZNS1_9scan_implILNS1_25lookback_scan_determinismE0ELb1ELb1ES3_N6thrust23THRUST_200600_302600_NS6detail15normal_iteratorINS9_10device_ptrIyEEEENS9_16discard_iteratorINS9_11use_defaultEEEyNS9_4plusIvEEyEEDaPvRmT3_T4_T5_mT6_P12ihipStream_tbENKUlT_T0_E_clISt17integral_constantIbLb1EESW_IbLb0EEEEDaSS_ST_EUlSS_E_NS1_11comp_targetILNS1_3genE2ELNS1_11target_archE906ELNS1_3gpuE6ELNS1_3repE0EEENS1_30default_config_static_selectorELNS0_4arch9wavefront6targetE1EEEvT1_,comdat
.Lfunc_end5262:
	.size	_ZN7rocprim17ROCPRIM_400000_NS6detail17trampoline_kernelINS0_14default_configENS1_20scan_config_selectorIyEEZZNS1_9scan_implILNS1_25lookback_scan_determinismE0ELb1ELb1ES3_N6thrust23THRUST_200600_302600_NS6detail15normal_iteratorINS9_10device_ptrIyEEEENS9_16discard_iteratorINS9_11use_defaultEEEyNS9_4plusIvEEyEEDaPvRmT3_T4_T5_mT6_P12ihipStream_tbENKUlT_T0_E_clISt17integral_constantIbLb1EESW_IbLb0EEEEDaSS_ST_EUlSS_E_NS1_11comp_targetILNS1_3genE2ELNS1_11target_archE906ELNS1_3gpuE6ELNS1_3repE0EEENS1_30default_config_static_selectorELNS0_4arch9wavefront6targetE1EEEvT1_, .Lfunc_end5262-_ZN7rocprim17ROCPRIM_400000_NS6detail17trampoline_kernelINS0_14default_configENS1_20scan_config_selectorIyEEZZNS1_9scan_implILNS1_25lookback_scan_determinismE0ELb1ELb1ES3_N6thrust23THRUST_200600_302600_NS6detail15normal_iteratorINS9_10device_ptrIyEEEENS9_16discard_iteratorINS9_11use_defaultEEEyNS9_4plusIvEEyEEDaPvRmT3_T4_T5_mT6_P12ihipStream_tbENKUlT_T0_E_clISt17integral_constantIbLb1EESW_IbLb0EEEEDaSS_ST_EUlSS_E_NS1_11comp_targetILNS1_3genE2ELNS1_11target_archE906ELNS1_3gpuE6ELNS1_3repE0EEENS1_30default_config_static_selectorELNS0_4arch9wavefront6targetE1EEEvT1_
                                        ; -- End function
	.section	.AMDGPU.csdata,"",@progbits
; Kernel info:
; codeLenInByte = 0
; NumSgprs: 4
; NumVgprs: 0
; NumAgprs: 0
; TotalNumVgprs: 0
; ScratchSize: 0
; MemoryBound: 0
; FloatMode: 240
; IeeeMode: 1
; LDSByteSize: 0 bytes/workgroup (compile time only)
; SGPRBlocks: 0
; VGPRBlocks: 0
; NumSGPRsForWavesPerEU: 4
; NumVGPRsForWavesPerEU: 1
; AccumOffset: 4
; Occupancy: 8
; WaveLimiterHint : 0
; COMPUTE_PGM_RSRC2:SCRATCH_EN: 0
; COMPUTE_PGM_RSRC2:USER_SGPR: 6
; COMPUTE_PGM_RSRC2:TRAP_HANDLER: 0
; COMPUTE_PGM_RSRC2:TGID_X_EN: 1
; COMPUTE_PGM_RSRC2:TGID_Y_EN: 0
; COMPUTE_PGM_RSRC2:TGID_Z_EN: 0
; COMPUTE_PGM_RSRC2:TIDIG_COMP_CNT: 0
; COMPUTE_PGM_RSRC3_GFX90A:ACCUM_OFFSET: 0
; COMPUTE_PGM_RSRC3_GFX90A:TG_SPLIT: 0
	.section	.text._ZN7rocprim17ROCPRIM_400000_NS6detail17trampoline_kernelINS0_14default_configENS1_20scan_config_selectorIyEEZZNS1_9scan_implILNS1_25lookback_scan_determinismE0ELb1ELb1ES3_N6thrust23THRUST_200600_302600_NS6detail15normal_iteratorINS9_10device_ptrIyEEEENS9_16discard_iteratorINS9_11use_defaultEEEyNS9_4plusIvEEyEEDaPvRmT3_T4_T5_mT6_P12ihipStream_tbENKUlT_T0_E_clISt17integral_constantIbLb1EESW_IbLb0EEEEDaSS_ST_EUlSS_E_NS1_11comp_targetILNS1_3genE10ELNS1_11target_archE1201ELNS1_3gpuE5ELNS1_3repE0EEENS1_30default_config_static_selectorELNS0_4arch9wavefront6targetE1EEEvT1_,"axG",@progbits,_ZN7rocprim17ROCPRIM_400000_NS6detail17trampoline_kernelINS0_14default_configENS1_20scan_config_selectorIyEEZZNS1_9scan_implILNS1_25lookback_scan_determinismE0ELb1ELb1ES3_N6thrust23THRUST_200600_302600_NS6detail15normal_iteratorINS9_10device_ptrIyEEEENS9_16discard_iteratorINS9_11use_defaultEEEyNS9_4plusIvEEyEEDaPvRmT3_T4_T5_mT6_P12ihipStream_tbENKUlT_T0_E_clISt17integral_constantIbLb1EESW_IbLb0EEEEDaSS_ST_EUlSS_E_NS1_11comp_targetILNS1_3genE10ELNS1_11target_archE1201ELNS1_3gpuE5ELNS1_3repE0EEENS1_30default_config_static_selectorELNS0_4arch9wavefront6targetE1EEEvT1_,comdat
	.protected	_ZN7rocprim17ROCPRIM_400000_NS6detail17trampoline_kernelINS0_14default_configENS1_20scan_config_selectorIyEEZZNS1_9scan_implILNS1_25lookback_scan_determinismE0ELb1ELb1ES3_N6thrust23THRUST_200600_302600_NS6detail15normal_iteratorINS9_10device_ptrIyEEEENS9_16discard_iteratorINS9_11use_defaultEEEyNS9_4plusIvEEyEEDaPvRmT3_T4_T5_mT6_P12ihipStream_tbENKUlT_T0_E_clISt17integral_constantIbLb1EESW_IbLb0EEEEDaSS_ST_EUlSS_E_NS1_11comp_targetILNS1_3genE10ELNS1_11target_archE1201ELNS1_3gpuE5ELNS1_3repE0EEENS1_30default_config_static_selectorELNS0_4arch9wavefront6targetE1EEEvT1_ ; -- Begin function _ZN7rocprim17ROCPRIM_400000_NS6detail17trampoline_kernelINS0_14default_configENS1_20scan_config_selectorIyEEZZNS1_9scan_implILNS1_25lookback_scan_determinismE0ELb1ELb1ES3_N6thrust23THRUST_200600_302600_NS6detail15normal_iteratorINS9_10device_ptrIyEEEENS9_16discard_iteratorINS9_11use_defaultEEEyNS9_4plusIvEEyEEDaPvRmT3_T4_T5_mT6_P12ihipStream_tbENKUlT_T0_E_clISt17integral_constantIbLb1EESW_IbLb0EEEEDaSS_ST_EUlSS_E_NS1_11comp_targetILNS1_3genE10ELNS1_11target_archE1201ELNS1_3gpuE5ELNS1_3repE0EEENS1_30default_config_static_selectorELNS0_4arch9wavefront6targetE1EEEvT1_
	.globl	_ZN7rocprim17ROCPRIM_400000_NS6detail17trampoline_kernelINS0_14default_configENS1_20scan_config_selectorIyEEZZNS1_9scan_implILNS1_25lookback_scan_determinismE0ELb1ELb1ES3_N6thrust23THRUST_200600_302600_NS6detail15normal_iteratorINS9_10device_ptrIyEEEENS9_16discard_iteratorINS9_11use_defaultEEEyNS9_4plusIvEEyEEDaPvRmT3_T4_T5_mT6_P12ihipStream_tbENKUlT_T0_E_clISt17integral_constantIbLb1EESW_IbLb0EEEEDaSS_ST_EUlSS_E_NS1_11comp_targetILNS1_3genE10ELNS1_11target_archE1201ELNS1_3gpuE5ELNS1_3repE0EEENS1_30default_config_static_selectorELNS0_4arch9wavefront6targetE1EEEvT1_
	.p2align	8
	.type	_ZN7rocprim17ROCPRIM_400000_NS6detail17trampoline_kernelINS0_14default_configENS1_20scan_config_selectorIyEEZZNS1_9scan_implILNS1_25lookback_scan_determinismE0ELb1ELb1ES3_N6thrust23THRUST_200600_302600_NS6detail15normal_iteratorINS9_10device_ptrIyEEEENS9_16discard_iteratorINS9_11use_defaultEEEyNS9_4plusIvEEyEEDaPvRmT3_T4_T5_mT6_P12ihipStream_tbENKUlT_T0_E_clISt17integral_constantIbLb1EESW_IbLb0EEEEDaSS_ST_EUlSS_E_NS1_11comp_targetILNS1_3genE10ELNS1_11target_archE1201ELNS1_3gpuE5ELNS1_3repE0EEENS1_30default_config_static_selectorELNS0_4arch9wavefront6targetE1EEEvT1_,@function
_ZN7rocprim17ROCPRIM_400000_NS6detail17trampoline_kernelINS0_14default_configENS1_20scan_config_selectorIyEEZZNS1_9scan_implILNS1_25lookback_scan_determinismE0ELb1ELb1ES3_N6thrust23THRUST_200600_302600_NS6detail15normal_iteratorINS9_10device_ptrIyEEEENS9_16discard_iteratorINS9_11use_defaultEEEyNS9_4plusIvEEyEEDaPvRmT3_T4_T5_mT6_P12ihipStream_tbENKUlT_T0_E_clISt17integral_constantIbLb1EESW_IbLb0EEEEDaSS_ST_EUlSS_E_NS1_11comp_targetILNS1_3genE10ELNS1_11target_archE1201ELNS1_3gpuE5ELNS1_3repE0EEENS1_30default_config_static_selectorELNS0_4arch9wavefront6targetE1EEEvT1_: ; @_ZN7rocprim17ROCPRIM_400000_NS6detail17trampoline_kernelINS0_14default_configENS1_20scan_config_selectorIyEEZZNS1_9scan_implILNS1_25lookback_scan_determinismE0ELb1ELb1ES3_N6thrust23THRUST_200600_302600_NS6detail15normal_iteratorINS9_10device_ptrIyEEEENS9_16discard_iteratorINS9_11use_defaultEEEyNS9_4plusIvEEyEEDaPvRmT3_T4_T5_mT6_P12ihipStream_tbENKUlT_T0_E_clISt17integral_constantIbLb1EESW_IbLb0EEEEDaSS_ST_EUlSS_E_NS1_11comp_targetILNS1_3genE10ELNS1_11target_archE1201ELNS1_3gpuE5ELNS1_3repE0EEENS1_30default_config_static_selectorELNS0_4arch9wavefront6targetE1EEEvT1_
; %bb.0:
	.section	.rodata,"a",@progbits
	.p2align	6, 0x0
	.amdhsa_kernel _ZN7rocprim17ROCPRIM_400000_NS6detail17trampoline_kernelINS0_14default_configENS1_20scan_config_selectorIyEEZZNS1_9scan_implILNS1_25lookback_scan_determinismE0ELb1ELb1ES3_N6thrust23THRUST_200600_302600_NS6detail15normal_iteratorINS9_10device_ptrIyEEEENS9_16discard_iteratorINS9_11use_defaultEEEyNS9_4plusIvEEyEEDaPvRmT3_T4_T5_mT6_P12ihipStream_tbENKUlT_T0_E_clISt17integral_constantIbLb1EESW_IbLb0EEEEDaSS_ST_EUlSS_E_NS1_11comp_targetILNS1_3genE10ELNS1_11target_archE1201ELNS1_3gpuE5ELNS1_3repE0EEENS1_30default_config_static_selectorELNS0_4arch9wavefront6targetE1EEEvT1_
		.amdhsa_group_segment_fixed_size 0
		.amdhsa_private_segment_fixed_size 0
		.amdhsa_kernarg_size 112
		.amdhsa_user_sgpr_count 6
		.amdhsa_user_sgpr_private_segment_buffer 1
		.amdhsa_user_sgpr_dispatch_ptr 0
		.amdhsa_user_sgpr_queue_ptr 0
		.amdhsa_user_sgpr_kernarg_segment_ptr 1
		.amdhsa_user_sgpr_dispatch_id 0
		.amdhsa_user_sgpr_flat_scratch_init 0
		.amdhsa_user_sgpr_kernarg_preload_length 0
		.amdhsa_user_sgpr_kernarg_preload_offset 0
		.amdhsa_user_sgpr_private_segment_size 0
		.amdhsa_uses_dynamic_stack 0
		.amdhsa_system_sgpr_private_segment_wavefront_offset 0
		.amdhsa_system_sgpr_workgroup_id_x 1
		.amdhsa_system_sgpr_workgroup_id_y 0
		.amdhsa_system_sgpr_workgroup_id_z 0
		.amdhsa_system_sgpr_workgroup_info 0
		.amdhsa_system_vgpr_workitem_id 0
		.amdhsa_next_free_vgpr 1
		.amdhsa_next_free_sgpr 0
		.amdhsa_accum_offset 4
		.amdhsa_reserve_vcc 0
		.amdhsa_reserve_flat_scratch 0
		.amdhsa_float_round_mode_32 0
		.amdhsa_float_round_mode_16_64 0
		.amdhsa_float_denorm_mode_32 3
		.amdhsa_float_denorm_mode_16_64 3
		.amdhsa_dx10_clamp 1
		.amdhsa_ieee_mode 1
		.amdhsa_fp16_overflow 0
		.amdhsa_tg_split 0
		.amdhsa_exception_fp_ieee_invalid_op 0
		.amdhsa_exception_fp_denorm_src 0
		.amdhsa_exception_fp_ieee_div_zero 0
		.amdhsa_exception_fp_ieee_overflow 0
		.amdhsa_exception_fp_ieee_underflow 0
		.amdhsa_exception_fp_ieee_inexact 0
		.amdhsa_exception_int_div_zero 0
	.end_amdhsa_kernel
	.section	.text._ZN7rocprim17ROCPRIM_400000_NS6detail17trampoline_kernelINS0_14default_configENS1_20scan_config_selectorIyEEZZNS1_9scan_implILNS1_25lookback_scan_determinismE0ELb1ELb1ES3_N6thrust23THRUST_200600_302600_NS6detail15normal_iteratorINS9_10device_ptrIyEEEENS9_16discard_iteratorINS9_11use_defaultEEEyNS9_4plusIvEEyEEDaPvRmT3_T4_T5_mT6_P12ihipStream_tbENKUlT_T0_E_clISt17integral_constantIbLb1EESW_IbLb0EEEEDaSS_ST_EUlSS_E_NS1_11comp_targetILNS1_3genE10ELNS1_11target_archE1201ELNS1_3gpuE5ELNS1_3repE0EEENS1_30default_config_static_selectorELNS0_4arch9wavefront6targetE1EEEvT1_,"axG",@progbits,_ZN7rocprim17ROCPRIM_400000_NS6detail17trampoline_kernelINS0_14default_configENS1_20scan_config_selectorIyEEZZNS1_9scan_implILNS1_25lookback_scan_determinismE0ELb1ELb1ES3_N6thrust23THRUST_200600_302600_NS6detail15normal_iteratorINS9_10device_ptrIyEEEENS9_16discard_iteratorINS9_11use_defaultEEEyNS9_4plusIvEEyEEDaPvRmT3_T4_T5_mT6_P12ihipStream_tbENKUlT_T0_E_clISt17integral_constantIbLb1EESW_IbLb0EEEEDaSS_ST_EUlSS_E_NS1_11comp_targetILNS1_3genE10ELNS1_11target_archE1201ELNS1_3gpuE5ELNS1_3repE0EEENS1_30default_config_static_selectorELNS0_4arch9wavefront6targetE1EEEvT1_,comdat
.Lfunc_end5263:
	.size	_ZN7rocprim17ROCPRIM_400000_NS6detail17trampoline_kernelINS0_14default_configENS1_20scan_config_selectorIyEEZZNS1_9scan_implILNS1_25lookback_scan_determinismE0ELb1ELb1ES3_N6thrust23THRUST_200600_302600_NS6detail15normal_iteratorINS9_10device_ptrIyEEEENS9_16discard_iteratorINS9_11use_defaultEEEyNS9_4plusIvEEyEEDaPvRmT3_T4_T5_mT6_P12ihipStream_tbENKUlT_T0_E_clISt17integral_constantIbLb1EESW_IbLb0EEEEDaSS_ST_EUlSS_E_NS1_11comp_targetILNS1_3genE10ELNS1_11target_archE1201ELNS1_3gpuE5ELNS1_3repE0EEENS1_30default_config_static_selectorELNS0_4arch9wavefront6targetE1EEEvT1_, .Lfunc_end5263-_ZN7rocprim17ROCPRIM_400000_NS6detail17trampoline_kernelINS0_14default_configENS1_20scan_config_selectorIyEEZZNS1_9scan_implILNS1_25lookback_scan_determinismE0ELb1ELb1ES3_N6thrust23THRUST_200600_302600_NS6detail15normal_iteratorINS9_10device_ptrIyEEEENS9_16discard_iteratorINS9_11use_defaultEEEyNS9_4plusIvEEyEEDaPvRmT3_T4_T5_mT6_P12ihipStream_tbENKUlT_T0_E_clISt17integral_constantIbLb1EESW_IbLb0EEEEDaSS_ST_EUlSS_E_NS1_11comp_targetILNS1_3genE10ELNS1_11target_archE1201ELNS1_3gpuE5ELNS1_3repE0EEENS1_30default_config_static_selectorELNS0_4arch9wavefront6targetE1EEEvT1_
                                        ; -- End function
	.section	.AMDGPU.csdata,"",@progbits
; Kernel info:
; codeLenInByte = 0
; NumSgprs: 4
; NumVgprs: 0
; NumAgprs: 0
; TotalNumVgprs: 0
; ScratchSize: 0
; MemoryBound: 0
; FloatMode: 240
; IeeeMode: 1
; LDSByteSize: 0 bytes/workgroup (compile time only)
; SGPRBlocks: 0
; VGPRBlocks: 0
; NumSGPRsForWavesPerEU: 4
; NumVGPRsForWavesPerEU: 1
; AccumOffset: 4
; Occupancy: 8
; WaveLimiterHint : 0
; COMPUTE_PGM_RSRC2:SCRATCH_EN: 0
; COMPUTE_PGM_RSRC2:USER_SGPR: 6
; COMPUTE_PGM_RSRC2:TRAP_HANDLER: 0
; COMPUTE_PGM_RSRC2:TGID_X_EN: 1
; COMPUTE_PGM_RSRC2:TGID_Y_EN: 0
; COMPUTE_PGM_RSRC2:TGID_Z_EN: 0
; COMPUTE_PGM_RSRC2:TIDIG_COMP_CNT: 0
; COMPUTE_PGM_RSRC3_GFX90A:ACCUM_OFFSET: 0
; COMPUTE_PGM_RSRC3_GFX90A:TG_SPLIT: 0
	.section	.text._ZN7rocprim17ROCPRIM_400000_NS6detail17trampoline_kernelINS0_14default_configENS1_20scan_config_selectorIyEEZZNS1_9scan_implILNS1_25lookback_scan_determinismE0ELb1ELb1ES3_N6thrust23THRUST_200600_302600_NS6detail15normal_iteratorINS9_10device_ptrIyEEEENS9_16discard_iteratorINS9_11use_defaultEEEyNS9_4plusIvEEyEEDaPvRmT3_T4_T5_mT6_P12ihipStream_tbENKUlT_T0_E_clISt17integral_constantIbLb1EESW_IbLb0EEEEDaSS_ST_EUlSS_E_NS1_11comp_targetILNS1_3genE10ELNS1_11target_archE1200ELNS1_3gpuE4ELNS1_3repE0EEENS1_30default_config_static_selectorELNS0_4arch9wavefront6targetE1EEEvT1_,"axG",@progbits,_ZN7rocprim17ROCPRIM_400000_NS6detail17trampoline_kernelINS0_14default_configENS1_20scan_config_selectorIyEEZZNS1_9scan_implILNS1_25lookback_scan_determinismE0ELb1ELb1ES3_N6thrust23THRUST_200600_302600_NS6detail15normal_iteratorINS9_10device_ptrIyEEEENS9_16discard_iteratorINS9_11use_defaultEEEyNS9_4plusIvEEyEEDaPvRmT3_T4_T5_mT6_P12ihipStream_tbENKUlT_T0_E_clISt17integral_constantIbLb1EESW_IbLb0EEEEDaSS_ST_EUlSS_E_NS1_11comp_targetILNS1_3genE10ELNS1_11target_archE1200ELNS1_3gpuE4ELNS1_3repE0EEENS1_30default_config_static_selectorELNS0_4arch9wavefront6targetE1EEEvT1_,comdat
	.protected	_ZN7rocprim17ROCPRIM_400000_NS6detail17trampoline_kernelINS0_14default_configENS1_20scan_config_selectorIyEEZZNS1_9scan_implILNS1_25lookback_scan_determinismE0ELb1ELb1ES3_N6thrust23THRUST_200600_302600_NS6detail15normal_iteratorINS9_10device_ptrIyEEEENS9_16discard_iteratorINS9_11use_defaultEEEyNS9_4plusIvEEyEEDaPvRmT3_T4_T5_mT6_P12ihipStream_tbENKUlT_T0_E_clISt17integral_constantIbLb1EESW_IbLb0EEEEDaSS_ST_EUlSS_E_NS1_11comp_targetILNS1_3genE10ELNS1_11target_archE1200ELNS1_3gpuE4ELNS1_3repE0EEENS1_30default_config_static_selectorELNS0_4arch9wavefront6targetE1EEEvT1_ ; -- Begin function _ZN7rocprim17ROCPRIM_400000_NS6detail17trampoline_kernelINS0_14default_configENS1_20scan_config_selectorIyEEZZNS1_9scan_implILNS1_25lookback_scan_determinismE0ELb1ELb1ES3_N6thrust23THRUST_200600_302600_NS6detail15normal_iteratorINS9_10device_ptrIyEEEENS9_16discard_iteratorINS9_11use_defaultEEEyNS9_4plusIvEEyEEDaPvRmT3_T4_T5_mT6_P12ihipStream_tbENKUlT_T0_E_clISt17integral_constantIbLb1EESW_IbLb0EEEEDaSS_ST_EUlSS_E_NS1_11comp_targetILNS1_3genE10ELNS1_11target_archE1200ELNS1_3gpuE4ELNS1_3repE0EEENS1_30default_config_static_selectorELNS0_4arch9wavefront6targetE1EEEvT1_
	.globl	_ZN7rocprim17ROCPRIM_400000_NS6detail17trampoline_kernelINS0_14default_configENS1_20scan_config_selectorIyEEZZNS1_9scan_implILNS1_25lookback_scan_determinismE0ELb1ELb1ES3_N6thrust23THRUST_200600_302600_NS6detail15normal_iteratorINS9_10device_ptrIyEEEENS9_16discard_iteratorINS9_11use_defaultEEEyNS9_4plusIvEEyEEDaPvRmT3_T4_T5_mT6_P12ihipStream_tbENKUlT_T0_E_clISt17integral_constantIbLb1EESW_IbLb0EEEEDaSS_ST_EUlSS_E_NS1_11comp_targetILNS1_3genE10ELNS1_11target_archE1200ELNS1_3gpuE4ELNS1_3repE0EEENS1_30default_config_static_selectorELNS0_4arch9wavefront6targetE1EEEvT1_
	.p2align	8
	.type	_ZN7rocprim17ROCPRIM_400000_NS6detail17trampoline_kernelINS0_14default_configENS1_20scan_config_selectorIyEEZZNS1_9scan_implILNS1_25lookback_scan_determinismE0ELb1ELb1ES3_N6thrust23THRUST_200600_302600_NS6detail15normal_iteratorINS9_10device_ptrIyEEEENS9_16discard_iteratorINS9_11use_defaultEEEyNS9_4plusIvEEyEEDaPvRmT3_T4_T5_mT6_P12ihipStream_tbENKUlT_T0_E_clISt17integral_constantIbLb1EESW_IbLb0EEEEDaSS_ST_EUlSS_E_NS1_11comp_targetILNS1_3genE10ELNS1_11target_archE1200ELNS1_3gpuE4ELNS1_3repE0EEENS1_30default_config_static_selectorELNS0_4arch9wavefront6targetE1EEEvT1_,@function
_ZN7rocprim17ROCPRIM_400000_NS6detail17trampoline_kernelINS0_14default_configENS1_20scan_config_selectorIyEEZZNS1_9scan_implILNS1_25lookback_scan_determinismE0ELb1ELb1ES3_N6thrust23THRUST_200600_302600_NS6detail15normal_iteratorINS9_10device_ptrIyEEEENS9_16discard_iteratorINS9_11use_defaultEEEyNS9_4plusIvEEyEEDaPvRmT3_T4_T5_mT6_P12ihipStream_tbENKUlT_T0_E_clISt17integral_constantIbLb1EESW_IbLb0EEEEDaSS_ST_EUlSS_E_NS1_11comp_targetILNS1_3genE10ELNS1_11target_archE1200ELNS1_3gpuE4ELNS1_3repE0EEENS1_30default_config_static_selectorELNS0_4arch9wavefront6targetE1EEEvT1_: ; @_ZN7rocprim17ROCPRIM_400000_NS6detail17trampoline_kernelINS0_14default_configENS1_20scan_config_selectorIyEEZZNS1_9scan_implILNS1_25lookback_scan_determinismE0ELb1ELb1ES3_N6thrust23THRUST_200600_302600_NS6detail15normal_iteratorINS9_10device_ptrIyEEEENS9_16discard_iteratorINS9_11use_defaultEEEyNS9_4plusIvEEyEEDaPvRmT3_T4_T5_mT6_P12ihipStream_tbENKUlT_T0_E_clISt17integral_constantIbLb1EESW_IbLb0EEEEDaSS_ST_EUlSS_E_NS1_11comp_targetILNS1_3genE10ELNS1_11target_archE1200ELNS1_3gpuE4ELNS1_3repE0EEENS1_30default_config_static_selectorELNS0_4arch9wavefront6targetE1EEEvT1_
; %bb.0:
	.section	.rodata,"a",@progbits
	.p2align	6, 0x0
	.amdhsa_kernel _ZN7rocprim17ROCPRIM_400000_NS6detail17trampoline_kernelINS0_14default_configENS1_20scan_config_selectorIyEEZZNS1_9scan_implILNS1_25lookback_scan_determinismE0ELb1ELb1ES3_N6thrust23THRUST_200600_302600_NS6detail15normal_iteratorINS9_10device_ptrIyEEEENS9_16discard_iteratorINS9_11use_defaultEEEyNS9_4plusIvEEyEEDaPvRmT3_T4_T5_mT6_P12ihipStream_tbENKUlT_T0_E_clISt17integral_constantIbLb1EESW_IbLb0EEEEDaSS_ST_EUlSS_E_NS1_11comp_targetILNS1_3genE10ELNS1_11target_archE1200ELNS1_3gpuE4ELNS1_3repE0EEENS1_30default_config_static_selectorELNS0_4arch9wavefront6targetE1EEEvT1_
		.amdhsa_group_segment_fixed_size 0
		.amdhsa_private_segment_fixed_size 0
		.amdhsa_kernarg_size 112
		.amdhsa_user_sgpr_count 6
		.amdhsa_user_sgpr_private_segment_buffer 1
		.amdhsa_user_sgpr_dispatch_ptr 0
		.amdhsa_user_sgpr_queue_ptr 0
		.amdhsa_user_sgpr_kernarg_segment_ptr 1
		.amdhsa_user_sgpr_dispatch_id 0
		.amdhsa_user_sgpr_flat_scratch_init 0
		.amdhsa_user_sgpr_kernarg_preload_length 0
		.amdhsa_user_sgpr_kernarg_preload_offset 0
		.amdhsa_user_sgpr_private_segment_size 0
		.amdhsa_uses_dynamic_stack 0
		.amdhsa_system_sgpr_private_segment_wavefront_offset 0
		.amdhsa_system_sgpr_workgroup_id_x 1
		.amdhsa_system_sgpr_workgroup_id_y 0
		.amdhsa_system_sgpr_workgroup_id_z 0
		.amdhsa_system_sgpr_workgroup_info 0
		.amdhsa_system_vgpr_workitem_id 0
		.amdhsa_next_free_vgpr 1
		.amdhsa_next_free_sgpr 0
		.amdhsa_accum_offset 4
		.amdhsa_reserve_vcc 0
		.amdhsa_reserve_flat_scratch 0
		.amdhsa_float_round_mode_32 0
		.amdhsa_float_round_mode_16_64 0
		.amdhsa_float_denorm_mode_32 3
		.amdhsa_float_denorm_mode_16_64 3
		.amdhsa_dx10_clamp 1
		.amdhsa_ieee_mode 1
		.amdhsa_fp16_overflow 0
		.amdhsa_tg_split 0
		.amdhsa_exception_fp_ieee_invalid_op 0
		.amdhsa_exception_fp_denorm_src 0
		.amdhsa_exception_fp_ieee_div_zero 0
		.amdhsa_exception_fp_ieee_overflow 0
		.amdhsa_exception_fp_ieee_underflow 0
		.amdhsa_exception_fp_ieee_inexact 0
		.amdhsa_exception_int_div_zero 0
	.end_amdhsa_kernel
	.section	.text._ZN7rocprim17ROCPRIM_400000_NS6detail17trampoline_kernelINS0_14default_configENS1_20scan_config_selectorIyEEZZNS1_9scan_implILNS1_25lookback_scan_determinismE0ELb1ELb1ES3_N6thrust23THRUST_200600_302600_NS6detail15normal_iteratorINS9_10device_ptrIyEEEENS9_16discard_iteratorINS9_11use_defaultEEEyNS9_4plusIvEEyEEDaPvRmT3_T4_T5_mT6_P12ihipStream_tbENKUlT_T0_E_clISt17integral_constantIbLb1EESW_IbLb0EEEEDaSS_ST_EUlSS_E_NS1_11comp_targetILNS1_3genE10ELNS1_11target_archE1200ELNS1_3gpuE4ELNS1_3repE0EEENS1_30default_config_static_selectorELNS0_4arch9wavefront6targetE1EEEvT1_,"axG",@progbits,_ZN7rocprim17ROCPRIM_400000_NS6detail17trampoline_kernelINS0_14default_configENS1_20scan_config_selectorIyEEZZNS1_9scan_implILNS1_25lookback_scan_determinismE0ELb1ELb1ES3_N6thrust23THRUST_200600_302600_NS6detail15normal_iteratorINS9_10device_ptrIyEEEENS9_16discard_iteratorINS9_11use_defaultEEEyNS9_4plusIvEEyEEDaPvRmT3_T4_T5_mT6_P12ihipStream_tbENKUlT_T0_E_clISt17integral_constantIbLb1EESW_IbLb0EEEEDaSS_ST_EUlSS_E_NS1_11comp_targetILNS1_3genE10ELNS1_11target_archE1200ELNS1_3gpuE4ELNS1_3repE0EEENS1_30default_config_static_selectorELNS0_4arch9wavefront6targetE1EEEvT1_,comdat
.Lfunc_end5264:
	.size	_ZN7rocprim17ROCPRIM_400000_NS6detail17trampoline_kernelINS0_14default_configENS1_20scan_config_selectorIyEEZZNS1_9scan_implILNS1_25lookback_scan_determinismE0ELb1ELb1ES3_N6thrust23THRUST_200600_302600_NS6detail15normal_iteratorINS9_10device_ptrIyEEEENS9_16discard_iteratorINS9_11use_defaultEEEyNS9_4plusIvEEyEEDaPvRmT3_T4_T5_mT6_P12ihipStream_tbENKUlT_T0_E_clISt17integral_constantIbLb1EESW_IbLb0EEEEDaSS_ST_EUlSS_E_NS1_11comp_targetILNS1_3genE10ELNS1_11target_archE1200ELNS1_3gpuE4ELNS1_3repE0EEENS1_30default_config_static_selectorELNS0_4arch9wavefront6targetE1EEEvT1_, .Lfunc_end5264-_ZN7rocprim17ROCPRIM_400000_NS6detail17trampoline_kernelINS0_14default_configENS1_20scan_config_selectorIyEEZZNS1_9scan_implILNS1_25lookback_scan_determinismE0ELb1ELb1ES3_N6thrust23THRUST_200600_302600_NS6detail15normal_iteratorINS9_10device_ptrIyEEEENS9_16discard_iteratorINS9_11use_defaultEEEyNS9_4plusIvEEyEEDaPvRmT3_T4_T5_mT6_P12ihipStream_tbENKUlT_T0_E_clISt17integral_constantIbLb1EESW_IbLb0EEEEDaSS_ST_EUlSS_E_NS1_11comp_targetILNS1_3genE10ELNS1_11target_archE1200ELNS1_3gpuE4ELNS1_3repE0EEENS1_30default_config_static_selectorELNS0_4arch9wavefront6targetE1EEEvT1_
                                        ; -- End function
	.section	.AMDGPU.csdata,"",@progbits
; Kernel info:
; codeLenInByte = 0
; NumSgprs: 4
; NumVgprs: 0
; NumAgprs: 0
; TotalNumVgprs: 0
; ScratchSize: 0
; MemoryBound: 0
; FloatMode: 240
; IeeeMode: 1
; LDSByteSize: 0 bytes/workgroup (compile time only)
; SGPRBlocks: 0
; VGPRBlocks: 0
; NumSGPRsForWavesPerEU: 4
; NumVGPRsForWavesPerEU: 1
; AccumOffset: 4
; Occupancy: 8
; WaveLimiterHint : 0
; COMPUTE_PGM_RSRC2:SCRATCH_EN: 0
; COMPUTE_PGM_RSRC2:USER_SGPR: 6
; COMPUTE_PGM_RSRC2:TRAP_HANDLER: 0
; COMPUTE_PGM_RSRC2:TGID_X_EN: 1
; COMPUTE_PGM_RSRC2:TGID_Y_EN: 0
; COMPUTE_PGM_RSRC2:TGID_Z_EN: 0
; COMPUTE_PGM_RSRC2:TIDIG_COMP_CNT: 0
; COMPUTE_PGM_RSRC3_GFX90A:ACCUM_OFFSET: 0
; COMPUTE_PGM_RSRC3_GFX90A:TG_SPLIT: 0
	.section	.text._ZN7rocprim17ROCPRIM_400000_NS6detail17trampoline_kernelINS0_14default_configENS1_20scan_config_selectorIyEEZZNS1_9scan_implILNS1_25lookback_scan_determinismE0ELb1ELb1ES3_N6thrust23THRUST_200600_302600_NS6detail15normal_iteratorINS9_10device_ptrIyEEEENS9_16discard_iteratorINS9_11use_defaultEEEyNS9_4plusIvEEyEEDaPvRmT3_T4_T5_mT6_P12ihipStream_tbENKUlT_T0_E_clISt17integral_constantIbLb1EESW_IbLb0EEEEDaSS_ST_EUlSS_E_NS1_11comp_targetILNS1_3genE9ELNS1_11target_archE1100ELNS1_3gpuE3ELNS1_3repE0EEENS1_30default_config_static_selectorELNS0_4arch9wavefront6targetE1EEEvT1_,"axG",@progbits,_ZN7rocprim17ROCPRIM_400000_NS6detail17trampoline_kernelINS0_14default_configENS1_20scan_config_selectorIyEEZZNS1_9scan_implILNS1_25lookback_scan_determinismE0ELb1ELb1ES3_N6thrust23THRUST_200600_302600_NS6detail15normal_iteratorINS9_10device_ptrIyEEEENS9_16discard_iteratorINS9_11use_defaultEEEyNS9_4plusIvEEyEEDaPvRmT3_T4_T5_mT6_P12ihipStream_tbENKUlT_T0_E_clISt17integral_constantIbLb1EESW_IbLb0EEEEDaSS_ST_EUlSS_E_NS1_11comp_targetILNS1_3genE9ELNS1_11target_archE1100ELNS1_3gpuE3ELNS1_3repE0EEENS1_30default_config_static_selectorELNS0_4arch9wavefront6targetE1EEEvT1_,comdat
	.protected	_ZN7rocprim17ROCPRIM_400000_NS6detail17trampoline_kernelINS0_14default_configENS1_20scan_config_selectorIyEEZZNS1_9scan_implILNS1_25lookback_scan_determinismE0ELb1ELb1ES3_N6thrust23THRUST_200600_302600_NS6detail15normal_iteratorINS9_10device_ptrIyEEEENS9_16discard_iteratorINS9_11use_defaultEEEyNS9_4plusIvEEyEEDaPvRmT3_T4_T5_mT6_P12ihipStream_tbENKUlT_T0_E_clISt17integral_constantIbLb1EESW_IbLb0EEEEDaSS_ST_EUlSS_E_NS1_11comp_targetILNS1_3genE9ELNS1_11target_archE1100ELNS1_3gpuE3ELNS1_3repE0EEENS1_30default_config_static_selectorELNS0_4arch9wavefront6targetE1EEEvT1_ ; -- Begin function _ZN7rocprim17ROCPRIM_400000_NS6detail17trampoline_kernelINS0_14default_configENS1_20scan_config_selectorIyEEZZNS1_9scan_implILNS1_25lookback_scan_determinismE0ELb1ELb1ES3_N6thrust23THRUST_200600_302600_NS6detail15normal_iteratorINS9_10device_ptrIyEEEENS9_16discard_iteratorINS9_11use_defaultEEEyNS9_4plusIvEEyEEDaPvRmT3_T4_T5_mT6_P12ihipStream_tbENKUlT_T0_E_clISt17integral_constantIbLb1EESW_IbLb0EEEEDaSS_ST_EUlSS_E_NS1_11comp_targetILNS1_3genE9ELNS1_11target_archE1100ELNS1_3gpuE3ELNS1_3repE0EEENS1_30default_config_static_selectorELNS0_4arch9wavefront6targetE1EEEvT1_
	.globl	_ZN7rocprim17ROCPRIM_400000_NS6detail17trampoline_kernelINS0_14default_configENS1_20scan_config_selectorIyEEZZNS1_9scan_implILNS1_25lookback_scan_determinismE0ELb1ELb1ES3_N6thrust23THRUST_200600_302600_NS6detail15normal_iteratorINS9_10device_ptrIyEEEENS9_16discard_iteratorINS9_11use_defaultEEEyNS9_4plusIvEEyEEDaPvRmT3_T4_T5_mT6_P12ihipStream_tbENKUlT_T0_E_clISt17integral_constantIbLb1EESW_IbLb0EEEEDaSS_ST_EUlSS_E_NS1_11comp_targetILNS1_3genE9ELNS1_11target_archE1100ELNS1_3gpuE3ELNS1_3repE0EEENS1_30default_config_static_selectorELNS0_4arch9wavefront6targetE1EEEvT1_
	.p2align	8
	.type	_ZN7rocprim17ROCPRIM_400000_NS6detail17trampoline_kernelINS0_14default_configENS1_20scan_config_selectorIyEEZZNS1_9scan_implILNS1_25lookback_scan_determinismE0ELb1ELb1ES3_N6thrust23THRUST_200600_302600_NS6detail15normal_iteratorINS9_10device_ptrIyEEEENS9_16discard_iteratorINS9_11use_defaultEEEyNS9_4plusIvEEyEEDaPvRmT3_T4_T5_mT6_P12ihipStream_tbENKUlT_T0_E_clISt17integral_constantIbLb1EESW_IbLb0EEEEDaSS_ST_EUlSS_E_NS1_11comp_targetILNS1_3genE9ELNS1_11target_archE1100ELNS1_3gpuE3ELNS1_3repE0EEENS1_30default_config_static_selectorELNS0_4arch9wavefront6targetE1EEEvT1_,@function
_ZN7rocprim17ROCPRIM_400000_NS6detail17trampoline_kernelINS0_14default_configENS1_20scan_config_selectorIyEEZZNS1_9scan_implILNS1_25lookback_scan_determinismE0ELb1ELb1ES3_N6thrust23THRUST_200600_302600_NS6detail15normal_iteratorINS9_10device_ptrIyEEEENS9_16discard_iteratorINS9_11use_defaultEEEyNS9_4plusIvEEyEEDaPvRmT3_T4_T5_mT6_P12ihipStream_tbENKUlT_T0_E_clISt17integral_constantIbLb1EESW_IbLb0EEEEDaSS_ST_EUlSS_E_NS1_11comp_targetILNS1_3genE9ELNS1_11target_archE1100ELNS1_3gpuE3ELNS1_3repE0EEENS1_30default_config_static_selectorELNS0_4arch9wavefront6targetE1EEEvT1_: ; @_ZN7rocprim17ROCPRIM_400000_NS6detail17trampoline_kernelINS0_14default_configENS1_20scan_config_selectorIyEEZZNS1_9scan_implILNS1_25lookback_scan_determinismE0ELb1ELb1ES3_N6thrust23THRUST_200600_302600_NS6detail15normal_iteratorINS9_10device_ptrIyEEEENS9_16discard_iteratorINS9_11use_defaultEEEyNS9_4plusIvEEyEEDaPvRmT3_T4_T5_mT6_P12ihipStream_tbENKUlT_T0_E_clISt17integral_constantIbLb1EESW_IbLb0EEEEDaSS_ST_EUlSS_E_NS1_11comp_targetILNS1_3genE9ELNS1_11target_archE1100ELNS1_3gpuE3ELNS1_3repE0EEENS1_30default_config_static_selectorELNS0_4arch9wavefront6targetE1EEEvT1_
; %bb.0:
	.section	.rodata,"a",@progbits
	.p2align	6, 0x0
	.amdhsa_kernel _ZN7rocprim17ROCPRIM_400000_NS6detail17trampoline_kernelINS0_14default_configENS1_20scan_config_selectorIyEEZZNS1_9scan_implILNS1_25lookback_scan_determinismE0ELb1ELb1ES3_N6thrust23THRUST_200600_302600_NS6detail15normal_iteratorINS9_10device_ptrIyEEEENS9_16discard_iteratorINS9_11use_defaultEEEyNS9_4plusIvEEyEEDaPvRmT3_T4_T5_mT6_P12ihipStream_tbENKUlT_T0_E_clISt17integral_constantIbLb1EESW_IbLb0EEEEDaSS_ST_EUlSS_E_NS1_11comp_targetILNS1_3genE9ELNS1_11target_archE1100ELNS1_3gpuE3ELNS1_3repE0EEENS1_30default_config_static_selectorELNS0_4arch9wavefront6targetE1EEEvT1_
		.amdhsa_group_segment_fixed_size 0
		.amdhsa_private_segment_fixed_size 0
		.amdhsa_kernarg_size 112
		.amdhsa_user_sgpr_count 6
		.amdhsa_user_sgpr_private_segment_buffer 1
		.amdhsa_user_sgpr_dispatch_ptr 0
		.amdhsa_user_sgpr_queue_ptr 0
		.amdhsa_user_sgpr_kernarg_segment_ptr 1
		.amdhsa_user_sgpr_dispatch_id 0
		.amdhsa_user_sgpr_flat_scratch_init 0
		.amdhsa_user_sgpr_kernarg_preload_length 0
		.amdhsa_user_sgpr_kernarg_preload_offset 0
		.amdhsa_user_sgpr_private_segment_size 0
		.amdhsa_uses_dynamic_stack 0
		.amdhsa_system_sgpr_private_segment_wavefront_offset 0
		.amdhsa_system_sgpr_workgroup_id_x 1
		.amdhsa_system_sgpr_workgroup_id_y 0
		.amdhsa_system_sgpr_workgroup_id_z 0
		.amdhsa_system_sgpr_workgroup_info 0
		.amdhsa_system_vgpr_workitem_id 0
		.amdhsa_next_free_vgpr 1
		.amdhsa_next_free_sgpr 0
		.amdhsa_accum_offset 4
		.amdhsa_reserve_vcc 0
		.amdhsa_reserve_flat_scratch 0
		.amdhsa_float_round_mode_32 0
		.amdhsa_float_round_mode_16_64 0
		.amdhsa_float_denorm_mode_32 3
		.amdhsa_float_denorm_mode_16_64 3
		.amdhsa_dx10_clamp 1
		.amdhsa_ieee_mode 1
		.amdhsa_fp16_overflow 0
		.amdhsa_tg_split 0
		.amdhsa_exception_fp_ieee_invalid_op 0
		.amdhsa_exception_fp_denorm_src 0
		.amdhsa_exception_fp_ieee_div_zero 0
		.amdhsa_exception_fp_ieee_overflow 0
		.amdhsa_exception_fp_ieee_underflow 0
		.amdhsa_exception_fp_ieee_inexact 0
		.amdhsa_exception_int_div_zero 0
	.end_amdhsa_kernel
	.section	.text._ZN7rocprim17ROCPRIM_400000_NS6detail17trampoline_kernelINS0_14default_configENS1_20scan_config_selectorIyEEZZNS1_9scan_implILNS1_25lookback_scan_determinismE0ELb1ELb1ES3_N6thrust23THRUST_200600_302600_NS6detail15normal_iteratorINS9_10device_ptrIyEEEENS9_16discard_iteratorINS9_11use_defaultEEEyNS9_4plusIvEEyEEDaPvRmT3_T4_T5_mT6_P12ihipStream_tbENKUlT_T0_E_clISt17integral_constantIbLb1EESW_IbLb0EEEEDaSS_ST_EUlSS_E_NS1_11comp_targetILNS1_3genE9ELNS1_11target_archE1100ELNS1_3gpuE3ELNS1_3repE0EEENS1_30default_config_static_selectorELNS0_4arch9wavefront6targetE1EEEvT1_,"axG",@progbits,_ZN7rocprim17ROCPRIM_400000_NS6detail17trampoline_kernelINS0_14default_configENS1_20scan_config_selectorIyEEZZNS1_9scan_implILNS1_25lookback_scan_determinismE0ELb1ELb1ES3_N6thrust23THRUST_200600_302600_NS6detail15normal_iteratorINS9_10device_ptrIyEEEENS9_16discard_iteratorINS9_11use_defaultEEEyNS9_4plusIvEEyEEDaPvRmT3_T4_T5_mT6_P12ihipStream_tbENKUlT_T0_E_clISt17integral_constantIbLb1EESW_IbLb0EEEEDaSS_ST_EUlSS_E_NS1_11comp_targetILNS1_3genE9ELNS1_11target_archE1100ELNS1_3gpuE3ELNS1_3repE0EEENS1_30default_config_static_selectorELNS0_4arch9wavefront6targetE1EEEvT1_,comdat
.Lfunc_end5265:
	.size	_ZN7rocprim17ROCPRIM_400000_NS6detail17trampoline_kernelINS0_14default_configENS1_20scan_config_selectorIyEEZZNS1_9scan_implILNS1_25lookback_scan_determinismE0ELb1ELb1ES3_N6thrust23THRUST_200600_302600_NS6detail15normal_iteratorINS9_10device_ptrIyEEEENS9_16discard_iteratorINS9_11use_defaultEEEyNS9_4plusIvEEyEEDaPvRmT3_T4_T5_mT6_P12ihipStream_tbENKUlT_T0_E_clISt17integral_constantIbLb1EESW_IbLb0EEEEDaSS_ST_EUlSS_E_NS1_11comp_targetILNS1_3genE9ELNS1_11target_archE1100ELNS1_3gpuE3ELNS1_3repE0EEENS1_30default_config_static_selectorELNS0_4arch9wavefront6targetE1EEEvT1_, .Lfunc_end5265-_ZN7rocprim17ROCPRIM_400000_NS6detail17trampoline_kernelINS0_14default_configENS1_20scan_config_selectorIyEEZZNS1_9scan_implILNS1_25lookback_scan_determinismE0ELb1ELb1ES3_N6thrust23THRUST_200600_302600_NS6detail15normal_iteratorINS9_10device_ptrIyEEEENS9_16discard_iteratorINS9_11use_defaultEEEyNS9_4plusIvEEyEEDaPvRmT3_T4_T5_mT6_P12ihipStream_tbENKUlT_T0_E_clISt17integral_constantIbLb1EESW_IbLb0EEEEDaSS_ST_EUlSS_E_NS1_11comp_targetILNS1_3genE9ELNS1_11target_archE1100ELNS1_3gpuE3ELNS1_3repE0EEENS1_30default_config_static_selectorELNS0_4arch9wavefront6targetE1EEEvT1_
                                        ; -- End function
	.section	.AMDGPU.csdata,"",@progbits
; Kernel info:
; codeLenInByte = 0
; NumSgprs: 4
; NumVgprs: 0
; NumAgprs: 0
; TotalNumVgprs: 0
; ScratchSize: 0
; MemoryBound: 0
; FloatMode: 240
; IeeeMode: 1
; LDSByteSize: 0 bytes/workgroup (compile time only)
; SGPRBlocks: 0
; VGPRBlocks: 0
; NumSGPRsForWavesPerEU: 4
; NumVGPRsForWavesPerEU: 1
; AccumOffset: 4
; Occupancy: 8
; WaveLimiterHint : 0
; COMPUTE_PGM_RSRC2:SCRATCH_EN: 0
; COMPUTE_PGM_RSRC2:USER_SGPR: 6
; COMPUTE_PGM_RSRC2:TRAP_HANDLER: 0
; COMPUTE_PGM_RSRC2:TGID_X_EN: 1
; COMPUTE_PGM_RSRC2:TGID_Y_EN: 0
; COMPUTE_PGM_RSRC2:TGID_Z_EN: 0
; COMPUTE_PGM_RSRC2:TIDIG_COMP_CNT: 0
; COMPUTE_PGM_RSRC3_GFX90A:ACCUM_OFFSET: 0
; COMPUTE_PGM_RSRC3_GFX90A:TG_SPLIT: 0
	.section	.text._ZN7rocprim17ROCPRIM_400000_NS6detail17trampoline_kernelINS0_14default_configENS1_20scan_config_selectorIyEEZZNS1_9scan_implILNS1_25lookback_scan_determinismE0ELb1ELb1ES3_N6thrust23THRUST_200600_302600_NS6detail15normal_iteratorINS9_10device_ptrIyEEEENS9_16discard_iteratorINS9_11use_defaultEEEyNS9_4plusIvEEyEEDaPvRmT3_T4_T5_mT6_P12ihipStream_tbENKUlT_T0_E_clISt17integral_constantIbLb1EESW_IbLb0EEEEDaSS_ST_EUlSS_E_NS1_11comp_targetILNS1_3genE8ELNS1_11target_archE1030ELNS1_3gpuE2ELNS1_3repE0EEENS1_30default_config_static_selectorELNS0_4arch9wavefront6targetE1EEEvT1_,"axG",@progbits,_ZN7rocprim17ROCPRIM_400000_NS6detail17trampoline_kernelINS0_14default_configENS1_20scan_config_selectorIyEEZZNS1_9scan_implILNS1_25lookback_scan_determinismE0ELb1ELb1ES3_N6thrust23THRUST_200600_302600_NS6detail15normal_iteratorINS9_10device_ptrIyEEEENS9_16discard_iteratorINS9_11use_defaultEEEyNS9_4plusIvEEyEEDaPvRmT3_T4_T5_mT6_P12ihipStream_tbENKUlT_T0_E_clISt17integral_constantIbLb1EESW_IbLb0EEEEDaSS_ST_EUlSS_E_NS1_11comp_targetILNS1_3genE8ELNS1_11target_archE1030ELNS1_3gpuE2ELNS1_3repE0EEENS1_30default_config_static_selectorELNS0_4arch9wavefront6targetE1EEEvT1_,comdat
	.protected	_ZN7rocprim17ROCPRIM_400000_NS6detail17trampoline_kernelINS0_14default_configENS1_20scan_config_selectorIyEEZZNS1_9scan_implILNS1_25lookback_scan_determinismE0ELb1ELb1ES3_N6thrust23THRUST_200600_302600_NS6detail15normal_iteratorINS9_10device_ptrIyEEEENS9_16discard_iteratorINS9_11use_defaultEEEyNS9_4plusIvEEyEEDaPvRmT3_T4_T5_mT6_P12ihipStream_tbENKUlT_T0_E_clISt17integral_constantIbLb1EESW_IbLb0EEEEDaSS_ST_EUlSS_E_NS1_11comp_targetILNS1_3genE8ELNS1_11target_archE1030ELNS1_3gpuE2ELNS1_3repE0EEENS1_30default_config_static_selectorELNS0_4arch9wavefront6targetE1EEEvT1_ ; -- Begin function _ZN7rocprim17ROCPRIM_400000_NS6detail17trampoline_kernelINS0_14default_configENS1_20scan_config_selectorIyEEZZNS1_9scan_implILNS1_25lookback_scan_determinismE0ELb1ELb1ES3_N6thrust23THRUST_200600_302600_NS6detail15normal_iteratorINS9_10device_ptrIyEEEENS9_16discard_iteratorINS9_11use_defaultEEEyNS9_4plusIvEEyEEDaPvRmT3_T4_T5_mT6_P12ihipStream_tbENKUlT_T0_E_clISt17integral_constantIbLb1EESW_IbLb0EEEEDaSS_ST_EUlSS_E_NS1_11comp_targetILNS1_3genE8ELNS1_11target_archE1030ELNS1_3gpuE2ELNS1_3repE0EEENS1_30default_config_static_selectorELNS0_4arch9wavefront6targetE1EEEvT1_
	.globl	_ZN7rocprim17ROCPRIM_400000_NS6detail17trampoline_kernelINS0_14default_configENS1_20scan_config_selectorIyEEZZNS1_9scan_implILNS1_25lookback_scan_determinismE0ELb1ELb1ES3_N6thrust23THRUST_200600_302600_NS6detail15normal_iteratorINS9_10device_ptrIyEEEENS9_16discard_iteratorINS9_11use_defaultEEEyNS9_4plusIvEEyEEDaPvRmT3_T4_T5_mT6_P12ihipStream_tbENKUlT_T0_E_clISt17integral_constantIbLb1EESW_IbLb0EEEEDaSS_ST_EUlSS_E_NS1_11comp_targetILNS1_3genE8ELNS1_11target_archE1030ELNS1_3gpuE2ELNS1_3repE0EEENS1_30default_config_static_selectorELNS0_4arch9wavefront6targetE1EEEvT1_
	.p2align	8
	.type	_ZN7rocprim17ROCPRIM_400000_NS6detail17trampoline_kernelINS0_14default_configENS1_20scan_config_selectorIyEEZZNS1_9scan_implILNS1_25lookback_scan_determinismE0ELb1ELb1ES3_N6thrust23THRUST_200600_302600_NS6detail15normal_iteratorINS9_10device_ptrIyEEEENS9_16discard_iteratorINS9_11use_defaultEEEyNS9_4plusIvEEyEEDaPvRmT3_T4_T5_mT6_P12ihipStream_tbENKUlT_T0_E_clISt17integral_constantIbLb1EESW_IbLb0EEEEDaSS_ST_EUlSS_E_NS1_11comp_targetILNS1_3genE8ELNS1_11target_archE1030ELNS1_3gpuE2ELNS1_3repE0EEENS1_30default_config_static_selectorELNS0_4arch9wavefront6targetE1EEEvT1_,@function
_ZN7rocprim17ROCPRIM_400000_NS6detail17trampoline_kernelINS0_14default_configENS1_20scan_config_selectorIyEEZZNS1_9scan_implILNS1_25lookback_scan_determinismE0ELb1ELb1ES3_N6thrust23THRUST_200600_302600_NS6detail15normal_iteratorINS9_10device_ptrIyEEEENS9_16discard_iteratorINS9_11use_defaultEEEyNS9_4plusIvEEyEEDaPvRmT3_T4_T5_mT6_P12ihipStream_tbENKUlT_T0_E_clISt17integral_constantIbLb1EESW_IbLb0EEEEDaSS_ST_EUlSS_E_NS1_11comp_targetILNS1_3genE8ELNS1_11target_archE1030ELNS1_3gpuE2ELNS1_3repE0EEENS1_30default_config_static_selectorELNS0_4arch9wavefront6targetE1EEEvT1_: ; @_ZN7rocprim17ROCPRIM_400000_NS6detail17trampoline_kernelINS0_14default_configENS1_20scan_config_selectorIyEEZZNS1_9scan_implILNS1_25lookback_scan_determinismE0ELb1ELb1ES3_N6thrust23THRUST_200600_302600_NS6detail15normal_iteratorINS9_10device_ptrIyEEEENS9_16discard_iteratorINS9_11use_defaultEEEyNS9_4plusIvEEyEEDaPvRmT3_T4_T5_mT6_P12ihipStream_tbENKUlT_T0_E_clISt17integral_constantIbLb1EESW_IbLb0EEEEDaSS_ST_EUlSS_E_NS1_11comp_targetILNS1_3genE8ELNS1_11target_archE1030ELNS1_3gpuE2ELNS1_3repE0EEENS1_30default_config_static_selectorELNS0_4arch9wavefront6targetE1EEEvT1_
; %bb.0:
	.section	.rodata,"a",@progbits
	.p2align	6, 0x0
	.amdhsa_kernel _ZN7rocprim17ROCPRIM_400000_NS6detail17trampoline_kernelINS0_14default_configENS1_20scan_config_selectorIyEEZZNS1_9scan_implILNS1_25lookback_scan_determinismE0ELb1ELb1ES3_N6thrust23THRUST_200600_302600_NS6detail15normal_iteratorINS9_10device_ptrIyEEEENS9_16discard_iteratorINS9_11use_defaultEEEyNS9_4plusIvEEyEEDaPvRmT3_T4_T5_mT6_P12ihipStream_tbENKUlT_T0_E_clISt17integral_constantIbLb1EESW_IbLb0EEEEDaSS_ST_EUlSS_E_NS1_11comp_targetILNS1_3genE8ELNS1_11target_archE1030ELNS1_3gpuE2ELNS1_3repE0EEENS1_30default_config_static_selectorELNS0_4arch9wavefront6targetE1EEEvT1_
		.amdhsa_group_segment_fixed_size 0
		.amdhsa_private_segment_fixed_size 0
		.amdhsa_kernarg_size 112
		.amdhsa_user_sgpr_count 6
		.amdhsa_user_sgpr_private_segment_buffer 1
		.amdhsa_user_sgpr_dispatch_ptr 0
		.amdhsa_user_sgpr_queue_ptr 0
		.amdhsa_user_sgpr_kernarg_segment_ptr 1
		.amdhsa_user_sgpr_dispatch_id 0
		.amdhsa_user_sgpr_flat_scratch_init 0
		.amdhsa_user_sgpr_kernarg_preload_length 0
		.amdhsa_user_sgpr_kernarg_preload_offset 0
		.amdhsa_user_sgpr_private_segment_size 0
		.amdhsa_uses_dynamic_stack 0
		.amdhsa_system_sgpr_private_segment_wavefront_offset 0
		.amdhsa_system_sgpr_workgroup_id_x 1
		.amdhsa_system_sgpr_workgroup_id_y 0
		.amdhsa_system_sgpr_workgroup_id_z 0
		.amdhsa_system_sgpr_workgroup_info 0
		.amdhsa_system_vgpr_workitem_id 0
		.amdhsa_next_free_vgpr 1
		.amdhsa_next_free_sgpr 0
		.amdhsa_accum_offset 4
		.amdhsa_reserve_vcc 0
		.amdhsa_reserve_flat_scratch 0
		.amdhsa_float_round_mode_32 0
		.amdhsa_float_round_mode_16_64 0
		.amdhsa_float_denorm_mode_32 3
		.amdhsa_float_denorm_mode_16_64 3
		.amdhsa_dx10_clamp 1
		.amdhsa_ieee_mode 1
		.amdhsa_fp16_overflow 0
		.amdhsa_tg_split 0
		.amdhsa_exception_fp_ieee_invalid_op 0
		.amdhsa_exception_fp_denorm_src 0
		.amdhsa_exception_fp_ieee_div_zero 0
		.amdhsa_exception_fp_ieee_overflow 0
		.amdhsa_exception_fp_ieee_underflow 0
		.amdhsa_exception_fp_ieee_inexact 0
		.amdhsa_exception_int_div_zero 0
	.end_amdhsa_kernel
	.section	.text._ZN7rocprim17ROCPRIM_400000_NS6detail17trampoline_kernelINS0_14default_configENS1_20scan_config_selectorIyEEZZNS1_9scan_implILNS1_25lookback_scan_determinismE0ELb1ELb1ES3_N6thrust23THRUST_200600_302600_NS6detail15normal_iteratorINS9_10device_ptrIyEEEENS9_16discard_iteratorINS9_11use_defaultEEEyNS9_4plusIvEEyEEDaPvRmT3_T4_T5_mT6_P12ihipStream_tbENKUlT_T0_E_clISt17integral_constantIbLb1EESW_IbLb0EEEEDaSS_ST_EUlSS_E_NS1_11comp_targetILNS1_3genE8ELNS1_11target_archE1030ELNS1_3gpuE2ELNS1_3repE0EEENS1_30default_config_static_selectorELNS0_4arch9wavefront6targetE1EEEvT1_,"axG",@progbits,_ZN7rocprim17ROCPRIM_400000_NS6detail17trampoline_kernelINS0_14default_configENS1_20scan_config_selectorIyEEZZNS1_9scan_implILNS1_25lookback_scan_determinismE0ELb1ELb1ES3_N6thrust23THRUST_200600_302600_NS6detail15normal_iteratorINS9_10device_ptrIyEEEENS9_16discard_iteratorINS9_11use_defaultEEEyNS9_4plusIvEEyEEDaPvRmT3_T4_T5_mT6_P12ihipStream_tbENKUlT_T0_E_clISt17integral_constantIbLb1EESW_IbLb0EEEEDaSS_ST_EUlSS_E_NS1_11comp_targetILNS1_3genE8ELNS1_11target_archE1030ELNS1_3gpuE2ELNS1_3repE0EEENS1_30default_config_static_selectorELNS0_4arch9wavefront6targetE1EEEvT1_,comdat
.Lfunc_end5266:
	.size	_ZN7rocprim17ROCPRIM_400000_NS6detail17trampoline_kernelINS0_14default_configENS1_20scan_config_selectorIyEEZZNS1_9scan_implILNS1_25lookback_scan_determinismE0ELb1ELb1ES3_N6thrust23THRUST_200600_302600_NS6detail15normal_iteratorINS9_10device_ptrIyEEEENS9_16discard_iteratorINS9_11use_defaultEEEyNS9_4plusIvEEyEEDaPvRmT3_T4_T5_mT6_P12ihipStream_tbENKUlT_T0_E_clISt17integral_constantIbLb1EESW_IbLb0EEEEDaSS_ST_EUlSS_E_NS1_11comp_targetILNS1_3genE8ELNS1_11target_archE1030ELNS1_3gpuE2ELNS1_3repE0EEENS1_30default_config_static_selectorELNS0_4arch9wavefront6targetE1EEEvT1_, .Lfunc_end5266-_ZN7rocprim17ROCPRIM_400000_NS6detail17trampoline_kernelINS0_14default_configENS1_20scan_config_selectorIyEEZZNS1_9scan_implILNS1_25lookback_scan_determinismE0ELb1ELb1ES3_N6thrust23THRUST_200600_302600_NS6detail15normal_iteratorINS9_10device_ptrIyEEEENS9_16discard_iteratorINS9_11use_defaultEEEyNS9_4plusIvEEyEEDaPvRmT3_T4_T5_mT6_P12ihipStream_tbENKUlT_T0_E_clISt17integral_constantIbLb1EESW_IbLb0EEEEDaSS_ST_EUlSS_E_NS1_11comp_targetILNS1_3genE8ELNS1_11target_archE1030ELNS1_3gpuE2ELNS1_3repE0EEENS1_30default_config_static_selectorELNS0_4arch9wavefront6targetE1EEEvT1_
                                        ; -- End function
	.section	.AMDGPU.csdata,"",@progbits
; Kernel info:
; codeLenInByte = 0
; NumSgprs: 4
; NumVgprs: 0
; NumAgprs: 0
; TotalNumVgprs: 0
; ScratchSize: 0
; MemoryBound: 0
; FloatMode: 240
; IeeeMode: 1
; LDSByteSize: 0 bytes/workgroup (compile time only)
; SGPRBlocks: 0
; VGPRBlocks: 0
; NumSGPRsForWavesPerEU: 4
; NumVGPRsForWavesPerEU: 1
; AccumOffset: 4
; Occupancy: 8
; WaveLimiterHint : 0
; COMPUTE_PGM_RSRC2:SCRATCH_EN: 0
; COMPUTE_PGM_RSRC2:USER_SGPR: 6
; COMPUTE_PGM_RSRC2:TRAP_HANDLER: 0
; COMPUTE_PGM_RSRC2:TGID_X_EN: 1
; COMPUTE_PGM_RSRC2:TGID_Y_EN: 0
; COMPUTE_PGM_RSRC2:TGID_Z_EN: 0
; COMPUTE_PGM_RSRC2:TIDIG_COMP_CNT: 0
; COMPUTE_PGM_RSRC3_GFX90A:ACCUM_OFFSET: 0
; COMPUTE_PGM_RSRC3_GFX90A:TG_SPLIT: 0
	.section	.text._ZN7rocprim17ROCPRIM_400000_NS6detail17trampoline_kernelINS0_14default_configENS1_20scan_config_selectorIyEEZZNS1_9scan_implILNS1_25lookback_scan_determinismE0ELb1ELb1ES3_N6thrust23THRUST_200600_302600_NS6detail15normal_iteratorINS9_10device_ptrIyEEEENS9_16discard_iteratorINS9_11use_defaultEEEyNS9_4plusIvEEyEEDaPvRmT3_T4_T5_mT6_P12ihipStream_tbENKUlT_T0_E_clISt17integral_constantIbLb1EESW_IbLb0EEEEDaSS_ST_EUlSS_E0_NS1_11comp_targetILNS1_3genE0ELNS1_11target_archE4294967295ELNS1_3gpuE0ELNS1_3repE0EEENS1_30default_config_static_selectorELNS0_4arch9wavefront6targetE1EEEvT1_,"axG",@progbits,_ZN7rocprim17ROCPRIM_400000_NS6detail17trampoline_kernelINS0_14default_configENS1_20scan_config_selectorIyEEZZNS1_9scan_implILNS1_25lookback_scan_determinismE0ELb1ELb1ES3_N6thrust23THRUST_200600_302600_NS6detail15normal_iteratorINS9_10device_ptrIyEEEENS9_16discard_iteratorINS9_11use_defaultEEEyNS9_4plusIvEEyEEDaPvRmT3_T4_T5_mT6_P12ihipStream_tbENKUlT_T0_E_clISt17integral_constantIbLb1EESW_IbLb0EEEEDaSS_ST_EUlSS_E0_NS1_11comp_targetILNS1_3genE0ELNS1_11target_archE4294967295ELNS1_3gpuE0ELNS1_3repE0EEENS1_30default_config_static_selectorELNS0_4arch9wavefront6targetE1EEEvT1_,comdat
	.protected	_ZN7rocprim17ROCPRIM_400000_NS6detail17trampoline_kernelINS0_14default_configENS1_20scan_config_selectorIyEEZZNS1_9scan_implILNS1_25lookback_scan_determinismE0ELb1ELb1ES3_N6thrust23THRUST_200600_302600_NS6detail15normal_iteratorINS9_10device_ptrIyEEEENS9_16discard_iteratorINS9_11use_defaultEEEyNS9_4plusIvEEyEEDaPvRmT3_T4_T5_mT6_P12ihipStream_tbENKUlT_T0_E_clISt17integral_constantIbLb1EESW_IbLb0EEEEDaSS_ST_EUlSS_E0_NS1_11comp_targetILNS1_3genE0ELNS1_11target_archE4294967295ELNS1_3gpuE0ELNS1_3repE0EEENS1_30default_config_static_selectorELNS0_4arch9wavefront6targetE1EEEvT1_ ; -- Begin function _ZN7rocprim17ROCPRIM_400000_NS6detail17trampoline_kernelINS0_14default_configENS1_20scan_config_selectorIyEEZZNS1_9scan_implILNS1_25lookback_scan_determinismE0ELb1ELb1ES3_N6thrust23THRUST_200600_302600_NS6detail15normal_iteratorINS9_10device_ptrIyEEEENS9_16discard_iteratorINS9_11use_defaultEEEyNS9_4plusIvEEyEEDaPvRmT3_T4_T5_mT6_P12ihipStream_tbENKUlT_T0_E_clISt17integral_constantIbLb1EESW_IbLb0EEEEDaSS_ST_EUlSS_E0_NS1_11comp_targetILNS1_3genE0ELNS1_11target_archE4294967295ELNS1_3gpuE0ELNS1_3repE0EEENS1_30default_config_static_selectorELNS0_4arch9wavefront6targetE1EEEvT1_
	.globl	_ZN7rocprim17ROCPRIM_400000_NS6detail17trampoline_kernelINS0_14default_configENS1_20scan_config_selectorIyEEZZNS1_9scan_implILNS1_25lookback_scan_determinismE0ELb1ELb1ES3_N6thrust23THRUST_200600_302600_NS6detail15normal_iteratorINS9_10device_ptrIyEEEENS9_16discard_iteratorINS9_11use_defaultEEEyNS9_4plusIvEEyEEDaPvRmT3_T4_T5_mT6_P12ihipStream_tbENKUlT_T0_E_clISt17integral_constantIbLb1EESW_IbLb0EEEEDaSS_ST_EUlSS_E0_NS1_11comp_targetILNS1_3genE0ELNS1_11target_archE4294967295ELNS1_3gpuE0ELNS1_3repE0EEENS1_30default_config_static_selectorELNS0_4arch9wavefront6targetE1EEEvT1_
	.p2align	8
	.type	_ZN7rocprim17ROCPRIM_400000_NS6detail17trampoline_kernelINS0_14default_configENS1_20scan_config_selectorIyEEZZNS1_9scan_implILNS1_25lookback_scan_determinismE0ELb1ELb1ES3_N6thrust23THRUST_200600_302600_NS6detail15normal_iteratorINS9_10device_ptrIyEEEENS9_16discard_iteratorINS9_11use_defaultEEEyNS9_4plusIvEEyEEDaPvRmT3_T4_T5_mT6_P12ihipStream_tbENKUlT_T0_E_clISt17integral_constantIbLb1EESW_IbLb0EEEEDaSS_ST_EUlSS_E0_NS1_11comp_targetILNS1_3genE0ELNS1_11target_archE4294967295ELNS1_3gpuE0ELNS1_3repE0EEENS1_30default_config_static_selectorELNS0_4arch9wavefront6targetE1EEEvT1_,@function
_ZN7rocprim17ROCPRIM_400000_NS6detail17trampoline_kernelINS0_14default_configENS1_20scan_config_selectorIyEEZZNS1_9scan_implILNS1_25lookback_scan_determinismE0ELb1ELb1ES3_N6thrust23THRUST_200600_302600_NS6detail15normal_iteratorINS9_10device_ptrIyEEEENS9_16discard_iteratorINS9_11use_defaultEEEyNS9_4plusIvEEyEEDaPvRmT3_T4_T5_mT6_P12ihipStream_tbENKUlT_T0_E_clISt17integral_constantIbLb1EESW_IbLb0EEEEDaSS_ST_EUlSS_E0_NS1_11comp_targetILNS1_3genE0ELNS1_11target_archE4294967295ELNS1_3gpuE0ELNS1_3repE0EEENS1_30default_config_static_selectorELNS0_4arch9wavefront6targetE1EEEvT1_: ; @_ZN7rocprim17ROCPRIM_400000_NS6detail17trampoline_kernelINS0_14default_configENS1_20scan_config_selectorIyEEZZNS1_9scan_implILNS1_25lookback_scan_determinismE0ELb1ELb1ES3_N6thrust23THRUST_200600_302600_NS6detail15normal_iteratorINS9_10device_ptrIyEEEENS9_16discard_iteratorINS9_11use_defaultEEEyNS9_4plusIvEEyEEDaPvRmT3_T4_T5_mT6_P12ihipStream_tbENKUlT_T0_E_clISt17integral_constantIbLb1EESW_IbLb0EEEEDaSS_ST_EUlSS_E0_NS1_11comp_targetILNS1_3genE0ELNS1_11target_archE4294967295ELNS1_3gpuE0ELNS1_3repE0EEENS1_30default_config_static_selectorELNS0_4arch9wavefront6targetE1EEEvT1_
; %bb.0:
	.section	.rodata,"a",@progbits
	.p2align	6, 0x0
	.amdhsa_kernel _ZN7rocprim17ROCPRIM_400000_NS6detail17trampoline_kernelINS0_14default_configENS1_20scan_config_selectorIyEEZZNS1_9scan_implILNS1_25lookback_scan_determinismE0ELb1ELb1ES3_N6thrust23THRUST_200600_302600_NS6detail15normal_iteratorINS9_10device_ptrIyEEEENS9_16discard_iteratorINS9_11use_defaultEEEyNS9_4plusIvEEyEEDaPvRmT3_T4_T5_mT6_P12ihipStream_tbENKUlT_T0_E_clISt17integral_constantIbLb1EESW_IbLb0EEEEDaSS_ST_EUlSS_E0_NS1_11comp_targetILNS1_3genE0ELNS1_11target_archE4294967295ELNS1_3gpuE0ELNS1_3repE0EEENS1_30default_config_static_selectorELNS0_4arch9wavefront6targetE1EEEvT1_
		.amdhsa_group_segment_fixed_size 0
		.amdhsa_private_segment_fixed_size 0
		.amdhsa_kernarg_size 48
		.amdhsa_user_sgpr_count 6
		.amdhsa_user_sgpr_private_segment_buffer 1
		.amdhsa_user_sgpr_dispatch_ptr 0
		.amdhsa_user_sgpr_queue_ptr 0
		.amdhsa_user_sgpr_kernarg_segment_ptr 1
		.amdhsa_user_sgpr_dispatch_id 0
		.amdhsa_user_sgpr_flat_scratch_init 0
		.amdhsa_user_sgpr_kernarg_preload_length 0
		.amdhsa_user_sgpr_kernarg_preload_offset 0
		.amdhsa_user_sgpr_private_segment_size 0
		.amdhsa_uses_dynamic_stack 0
		.amdhsa_system_sgpr_private_segment_wavefront_offset 0
		.amdhsa_system_sgpr_workgroup_id_x 1
		.amdhsa_system_sgpr_workgroup_id_y 0
		.amdhsa_system_sgpr_workgroup_id_z 0
		.amdhsa_system_sgpr_workgroup_info 0
		.amdhsa_system_vgpr_workitem_id 0
		.amdhsa_next_free_vgpr 1
		.amdhsa_next_free_sgpr 0
		.amdhsa_accum_offset 4
		.amdhsa_reserve_vcc 0
		.amdhsa_reserve_flat_scratch 0
		.amdhsa_float_round_mode_32 0
		.amdhsa_float_round_mode_16_64 0
		.amdhsa_float_denorm_mode_32 3
		.amdhsa_float_denorm_mode_16_64 3
		.amdhsa_dx10_clamp 1
		.amdhsa_ieee_mode 1
		.amdhsa_fp16_overflow 0
		.amdhsa_tg_split 0
		.amdhsa_exception_fp_ieee_invalid_op 0
		.amdhsa_exception_fp_denorm_src 0
		.amdhsa_exception_fp_ieee_div_zero 0
		.amdhsa_exception_fp_ieee_overflow 0
		.amdhsa_exception_fp_ieee_underflow 0
		.amdhsa_exception_fp_ieee_inexact 0
		.amdhsa_exception_int_div_zero 0
	.end_amdhsa_kernel
	.section	.text._ZN7rocprim17ROCPRIM_400000_NS6detail17trampoline_kernelINS0_14default_configENS1_20scan_config_selectorIyEEZZNS1_9scan_implILNS1_25lookback_scan_determinismE0ELb1ELb1ES3_N6thrust23THRUST_200600_302600_NS6detail15normal_iteratorINS9_10device_ptrIyEEEENS9_16discard_iteratorINS9_11use_defaultEEEyNS9_4plusIvEEyEEDaPvRmT3_T4_T5_mT6_P12ihipStream_tbENKUlT_T0_E_clISt17integral_constantIbLb1EESW_IbLb0EEEEDaSS_ST_EUlSS_E0_NS1_11comp_targetILNS1_3genE0ELNS1_11target_archE4294967295ELNS1_3gpuE0ELNS1_3repE0EEENS1_30default_config_static_selectorELNS0_4arch9wavefront6targetE1EEEvT1_,"axG",@progbits,_ZN7rocprim17ROCPRIM_400000_NS6detail17trampoline_kernelINS0_14default_configENS1_20scan_config_selectorIyEEZZNS1_9scan_implILNS1_25lookback_scan_determinismE0ELb1ELb1ES3_N6thrust23THRUST_200600_302600_NS6detail15normal_iteratorINS9_10device_ptrIyEEEENS9_16discard_iteratorINS9_11use_defaultEEEyNS9_4plusIvEEyEEDaPvRmT3_T4_T5_mT6_P12ihipStream_tbENKUlT_T0_E_clISt17integral_constantIbLb1EESW_IbLb0EEEEDaSS_ST_EUlSS_E0_NS1_11comp_targetILNS1_3genE0ELNS1_11target_archE4294967295ELNS1_3gpuE0ELNS1_3repE0EEENS1_30default_config_static_selectorELNS0_4arch9wavefront6targetE1EEEvT1_,comdat
.Lfunc_end5267:
	.size	_ZN7rocprim17ROCPRIM_400000_NS6detail17trampoline_kernelINS0_14default_configENS1_20scan_config_selectorIyEEZZNS1_9scan_implILNS1_25lookback_scan_determinismE0ELb1ELb1ES3_N6thrust23THRUST_200600_302600_NS6detail15normal_iteratorINS9_10device_ptrIyEEEENS9_16discard_iteratorINS9_11use_defaultEEEyNS9_4plusIvEEyEEDaPvRmT3_T4_T5_mT6_P12ihipStream_tbENKUlT_T0_E_clISt17integral_constantIbLb1EESW_IbLb0EEEEDaSS_ST_EUlSS_E0_NS1_11comp_targetILNS1_3genE0ELNS1_11target_archE4294967295ELNS1_3gpuE0ELNS1_3repE0EEENS1_30default_config_static_selectorELNS0_4arch9wavefront6targetE1EEEvT1_, .Lfunc_end5267-_ZN7rocprim17ROCPRIM_400000_NS6detail17trampoline_kernelINS0_14default_configENS1_20scan_config_selectorIyEEZZNS1_9scan_implILNS1_25lookback_scan_determinismE0ELb1ELb1ES3_N6thrust23THRUST_200600_302600_NS6detail15normal_iteratorINS9_10device_ptrIyEEEENS9_16discard_iteratorINS9_11use_defaultEEEyNS9_4plusIvEEyEEDaPvRmT3_T4_T5_mT6_P12ihipStream_tbENKUlT_T0_E_clISt17integral_constantIbLb1EESW_IbLb0EEEEDaSS_ST_EUlSS_E0_NS1_11comp_targetILNS1_3genE0ELNS1_11target_archE4294967295ELNS1_3gpuE0ELNS1_3repE0EEENS1_30default_config_static_selectorELNS0_4arch9wavefront6targetE1EEEvT1_
                                        ; -- End function
	.section	.AMDGPU.csdata,"",@progbits
; Kernel info:
; codeLenInByte = 0
; NumSgprs: 4
; NumVgprs: 0
; NumAgprs: 0
; TotalNumVgprs: 0
; ScratchSize: 0
; MemoryBound: 0
; FloatMode: 240
; IeeeMode: 1
; LDSByteSize: 0 bytes/workgroup (compile time only)
; SGPRBlocks: 0
; VGPRBlocks: 0
; NumSGPRsForWavesPerEU: 4
; NumVGPRsForWavesPerEU: 1
; AccumOffset: 4
; Occupancy: 8
; WaveLimiterHint : 0
; COMPUTE_PGM_RSRC2:SCRATCH_EN: 0
; COMPUTE_PGM_RSRC2:USER_SGPR: 6
; COMPUTE_PGM_RSRC2:TRAP_HANDLER: 0
; COMPUTE_PGM_RSRC2:TGID_X_EN: 1
; COMPUTE_PGM_RSRC2:TGID_Y_EN: 0
; COMPUTE_PGM_RSRC2:TGID_Z_EN: 0
; COMPUTE_PGM_RSRC2:TIDIG_COMP_CNT: 0
; COMPUTE_PGM_RSRC3_GFX90A:ACCUM_OFFSET: 0
; COMPUTE_PGM_RSRC3_GFX90A:TG_SPLIT: 0
	.section	.text._ZN7rocprim17ROCPRIM_400000_NS6detail17trampoline_kernelINS0_14default_configENS1_20scan_config_selectorIyEEZZNS1_9scan_implILNS1_25lookback_scan_determinismE0ELb1ELb1ES3_N6thrust23THRUST_200600_302600_NS6detail15normal_iteratorINS9_10device_ptrIyEEEENS9_16discard_iteratorINS9_11use_defaultEEEyNS9_4plusIvEEyEEDaPvRmT3_T4_T5_mT6_P12ihipStream_tbENKUlT_T0_E_clISt17integral_constantIbLb1EESW_IbLb0EEEEDaSS_ST_EUlSS_E0_NS1_11comp_targetILNS1_3genE5ELNS1_11target_archE942ELNS1_3gpuE9ELNS1_3repE0EEENS1_30default_config_static_selectorELNS0_4arch9wavefront6targetE1EEEvT1_,"axG",@progbits,_ZN7rocprim17ROCPRIM_400000_NS6detail17trampoline_kernelINS0_14default_configENS1_20scan_config_selectorIyEEZZNS1_9scan_implILNS1_25lookback_scan_determinismE0ELb1ELb1ES3_N6thrust23THRUST_200600_302600_NS6detail15normal_iteratorINS9_10device_ptrIyEEEENS9_16discard_iteratorINS9_11use_defaultEEEyNS9_4plusIvEEyEEDaPvRmT3_T4_T5_mT6_P12ihipStream_tbENKUlT_T0_E_clISt17integral_constantIbLb1EESW_IbLb0EEEEDaSS_ST_EUlSS_E0_NS1_11comp_targetILNS1_3genE5ELNS1_11target_archE942ELNS1_3gpuE9ELNS1_3repE0EEENS1_30default_config_static_selectorELNS0_4arch9wavefront6targetE1EEEvT1_,comdat
	.protected	_ZN7rocprim17ROCPRIM_400000_NS6detail17trampoline_kernelINS0_14default_configENS1_20scan_config_selectorIyEEZZNS1_9scan_implILNS1_25lookback_scan_determinismE0ELb1ELb1ES3_N6thrust23THRUST_200600_302600_NS6detail15normal_iteratorINS9_10device_ptrIyEEEENS9_16discard_iteratorINS9_11use_defaultEEEyNS9_4plusIvEEyEEDaPvRmT3_T4_T5_mT6_P12ihipStream_tbENKUlT_T0_E_clISt17integral_constantIbLb1EESW_IbLb0EEEEDaSS_ST_EUlSS_E0_NS1_11comp_targetILNS1_3genE5ELNS1_11target_archE942ELNS1_3gpuE9ELNS1_3repE0EEENS1_30default_config_static_selectorELNS0_4arch9wavefront6targetE1EEEvT1_ ; -- Begin function _ZN7rocprim17ROCPRIM_400000_NS6detail17trampoline_kernelINS0_14default_configENS1_20scan_config_selectorIyEEZZNS1_9scan_implILNS1_25lookback_scan_determinismE0ELb1ELb1ES3_N6thrust23THRUST_200600_302600_NS6detail15normal_iteratorINS9_10device_ptrIyEEEENS9_16discard_iteratorINS9_11use_defaultEEEyNS9_4plusIvEEyEEDaPvRmT3_T4_T5_mT6_P12ihipStream_tbENKUlT_T0_E_clISt17integral_constantIbLb1EESW_IbLb0EEEEDaSS_ST_EUlSS_E0_NS1_11comp_targetILNS1_3genE5ELNS1_11target_archE942ELNS1_3gpuE9ELNS1_3repE0EEENS1_30default_config_static_selectorELNS0_4arch9wavefront6targetE1EEEvT1_
	.globl	_ZN7rocprim17ROCPRIM_400000_NS6detail17trampoline_kernelINS0_14default_configENS1_20scan_config_selectorIyEEZZNS1_9scan_implILNS1_25lookback_scan_determinismE0ELb1ELb1ES3_N6thrust23THRUST_200600_302600_NS6detail15normal_iteratorINS9_10device_ptrIyEEEENS9_16discard_iteratorINS9_11use_defaultEEEyNS9_4plusIvEEyEEDaPvRmT3_T4_T5_mT6_P12ihipStream_tbENKUlT_T0_E_clISt17integral_constantIbLb1EESW_IbLb0EEEEDaSS_ST_EUlSS_E0_NS1_11comp_targetILNS1_3genE5ELNS1_11target_archE942ELNS1_3gpuE9ELNS1_3repE0EEENS1_30default_config_static_selectorELNS0_4arch9wavefront6targetE1EEEvT1_
	.p2align	8
	.type	_ZN7rocprim17ROCPRIM_400000_NS6detail17trampoline_kernelINS0_14default_configENS1_20scan_config_selectorIyEEZZNS1_9scan_implILNS1_25lookback_scan_determinismE0ELb1ELb1ES3_N6thrust23THRUST_200600_302600_NS6detail15normal_iteratorINS9_10device_ptrIyEEEENS9_16discard_iteratorINS9_11use_defaultEEEyNS9_4plusIvEEyEEDaPvRmT3_T4_T5_mT6_P12ihipStream_tbENKUlT_T0_E_clISt17integral_constantIbLb1EESW_IbLb0EEEEDaSS_ST_EUlSS_E0_NS1_11comp_targetILNS1_3genE5ELNS1_11target_archE942ELNS1_3gpuE9ELNS1_3repE0EEENS1_30default_config_static_selectorELNS0_4arch9wavefront6targetE1EEEvT1_,@function
_ZN7rocprim17ROCPRIM_400000_NS6detail17trampoline_kernelINS0_14default_configENS1_20scan_config_selectorIyEEZZNS1_9scan_implILNS1_25lookback_scan_determinismE0ELb1ELb1ES3_N6thrust23THRUST_200600_302600_NS6detail15normal_iteratorINS9_10device_ptrIyEEEENS9_16discard_iteratorINS9_11use_defaultEEEyNS9_4plusIvEEyEEDaPvRmT3_T4_T5_mT6_P12ihipStream_tbENKUlT_T0_E_clISt17integral_constantIbLb1EESW_IbLb0EEEEDaSS_ST_EUlSS_E0_NS1_11comp_targetILNS1_3genE5ELNS1_11target_archE942ELNS1_3gpuE9ELNS1_3repE0EEENS1_30default_config_static_selectorELNS0_4arch9wavefront6targetE1EEEvT1_: ; @_ZN7rocprim17ROCPRIM_400000_NS6detail17trampoline_kernelINS0_14default_configENS1_20scan_config_selectorIyEEZZNS1_9scan_implILNS1_25lookback_scan_determinismE0ELb1ELb1ES3_N6thrust23THRUST_200600_302600_NS6detail15normal_iteratorINS9_10device_ptrIyEEEENS9_16discard_iteratorINS9_11use_defaultEEEyNS9_4plusIvEEyEEDaPvRmT3_T4_T5_mT6_P12ihipStream_tbENKUlT_T0_E_clISt17integral_constantIbLb1EESW_IbLb0EEEEDaSS_ST_EUlSS_E0_NS1_11comp_targetILNS1_3genE5ELNS1_11target_archE942ELNS1_3gpuE9ELNS1_3repE0EEENS1_30default_config_static_selectorELNS0_4arch9wavefront6targetE1EEEvT1_
; %bb.0:
	.section	.rodata,"a",@progbits
	.p2align	6, 0x0
	.amdhsa_kernel _ZN7rocprim17ROCPRIM_400000_NS6detail17trampoline_kernelINS0_14default_configENS1_20scan_config_selectorIyEEZZNS1_9scan_implILNS1_25lookback_scan_determinismE0ELb1ELb1ES3_N6thrust23THRUST_200600_302600_NS6detail15normal_iteratorINS9_10device_ptrIyEEEENS9_16discard_iteratorINS9_11use_defaultEEEyNS9_4plusIvEEyEEDaPvRmT3_T4_T5_mT6_P12ihipStream_tbENKUlT_T0_E_clISt17integral_constantIbLb1EESW_IbLb0EEEEDaSS_ST_EUlSS_E0_NS1_11comp_targetILNS1_3genE5ELNS1_11target_archE942ELNS1_3gpuE9ELNS1_3repE0EEENS1_30default_config_static_selectorELNS0_4arch9wavefront6targetE1EEEvT1_
		.amdhsa_group_segment_fixed_size 0
		.amdhsa_private_segment_fixed_size 0
		.amdhsa_kernarg_size 48
		.amdhsa_user_sgpr_count 6
		.amdhsa_user_sgpr_private_segment_buffer 1
		.amdhsa_user_sgpr_dispatch_ptr 0
		.amdhsa_user_sgpr_queue_ptr 0
		.amdhsa_user_sgpr_kernarg_segment_ptr 1
		.amdhsa_user_sgpr_dispatch_id 0
		.amdhsa_user_sgpr_flat_scratch_init 0
		.amdhsa_user_sgpr_kernarg_preload_length 0
		.amdhsa_user_sgpr_kernarg_preload_offset 0
		.amdhsa_user_sgpr_private_segment_size 0
		.amdhsa_uses_dynamic_stack 0
		.amdhsa_system_sgpr_private_segment_wavefront_offset 0
		.amdhsa_system_sgpr_workgroup_id_x 1
		.amdhsa_system_sgpr_workgroup_id_y 0
		.amdhsa_system_sgpr_workgroup_id_z 0
		.amdhsa_system_sgpr_workgroup_info 0
		.amdhsa_system_vgpr_workitem_id 0
		.amdhsa_next_free_vgpr 1
		.amdhsa_next_free_sgpr 0
		.amdhsa_accum_offset 4
		.amdhsa_reserve_vcc 0
		.amdhsa_reserve_flat_scratch 0
		.amdhsa_float_round_mode_32 0
		.amdhsa_float_round_mode_16_64 0
		.amdhsa_float_denorm_mode_32 3
		.amdhsa_float_denorm_mode_16_64 3
		.amdhsa_dx10_clamp 1
		.amdhsa_ieee_mode 1
		.amdhsa_fp16_overflow 0
		.amdhsa_tg_split 0
		.amdhsa_exception_fp_ieee_invalid_op 0
		.amdhsa_exception_fp_denorm_src 0
		.amdhsa_exception_fp_ieee_div_zero 0
		.amdhsa_exception_fp_ieee_overflow 0
		.amdhsa_exception_fp_ieee_underflow 0
		.amdhsa_exception_fp_ieee_inexact 0
		.amdhsa_exception_int_div_zero 0
	.end_amdhsa_kernel
	.section	.text._ZN7rocprim17ROCPRIM_400000_NS6detail17trampoline_kernelINS0_14default_configENS1_20scan_config_selectorIyEEZZNS1_9scan_implILNS1_25lookback_scan_determinismE0ELb1ELb1ES3_N6thrust23THRUST_200600_302600_NS6detail15normal_iteratorINS9_10device_ptrIyEEEENS9_16discard_iteratorINS9_11use_defaultEEEyNS9_4plusIvEEyEEDaPvRmT3_T4_T5_mT6_P12ihipStream_tbENKUlT_T0_E_clISt17integral_constantIbLb1EESW_IbLb0EEEEDaSS_ST_EUlSS_E0_NS1_11comp_targetILNS1_3genE5ELNS1_11target_archE942ELNS1_3gpuE9ELNS1_3repE0EEENS1_30default_config_static_selectorELNS0_4arch9wavefront6targetE1EEEvT1_,"axG",@progbits,_ZN7rocprim17ROCPRIM_400000_NS6detail17trampoline_kernelINS0_14default_configENS1_20scan_config_selectorIyEEZZNS1_9scan_implILNS1_25lookback_scan_determinismE0ELb1ELb1ES3_N6thrust23THRUST_200600_302600_NS6detail15normal_iteratorINS9_10device_ptrIyEEEENS9_16discard_iteratorINS9_11use_defaultEEEyNS9_4plusIvEEyEEDaPvRmT3_T4_T5_mT6_P12ihipStream_tbENKUlT_T0_E_clISt17integral_constantIbLb1EESW_IbLb0EEEEDaSS_ST_EUlSS_E0_NS1_11comp_targetILNS1_3genE5ELNS1_11target_archE942ELNS1_3gpuE9ELNS1_3repE0EEENS1_30default_config_static_selectorELNS0_4arch9wavefront6targetE1EEEvT1_,comdat
.Lfunc_end5268:
	.size	_ZN7rocprim17ROCPRIM_400000_NS6detail17trampoline_kernelINS0_14default_configENS1_20scan_config_selectorIyEEZZNS1_9scan_implILNS1_25lookback_scan_determinismE0ELb1ELb1ES3_N6thrust23THRUST_200600_302600_NS6detail15normal_iteratorINS9_10device_ptrIyEEEENS9_16discard_iteratorINS9_11use_defaultEEEyNS9_4plusIvEEyEEDaPvRmT3_T4_T5_mT6_P12ihipStream_tbENKUlT_T0_E_clISt17integral_constantIbLb1EESW_IbLb0EEEEDaSS_ST_EUlSS_E0_NS1_11comp_targetILNS1_3genE5ELNS1_11target_archE942ELNS1_3gpuE9ELNS1_3repE0EEENS1_30default_config_static_selectorELNS0_4arch9wavefront6targetE1EEEvT1_, .Lfunc_end5268-_ZN7rocprim17ROCPRIM_400000_NS6detail17trampoline_kernelINS0_14default_configENS1_20scan_config_selectorIyEEZZNS1_9scan_implILNS1_25lookback_scan_determinismE0ELb1ELb1ES3_N6thrust23THRUST_200600_302600_NS6detail15normal_iteratorINS9_10device_ptrIyEEEENS9_16discard_iteratorINS9_11use_defaultEEEyNS9_4plusIvEEyEEDaPvRmT3_T4_T5_mT6_P12ihipStream_tbENKUlT_T0_E_clISt17integral_constantIbLb1EESW_IbLb0EEEEDaSS_ST_EUlSS_E0_NS1_11comp_targetILNS1_3genE5ELNS1_11target_archE942ELNS1_3gpuE9ELNS1_3repE0EEENS1_30default_config_static_selectorELNS0_4arch9wavefront6targetE1EEEvT1_
                                        ; -- End function
	.section	.AMDGPU.csdata,"",@progbits
; Kernel info:
; codeLenInByte = 0
; NumSgprs: 4
; NumVgprs: 0
; NumAgprs: 0
; TotalNumVgprs: 0
; ScratchSize: 0
; MemoryBound: 0
; FloatMode: 240
; IeeeMode: 1
; LDSByteSize: 0 bytes/workgroup (compile time only)
; SGPRBlocks: 0
; VGPRBlocks: 0
; NumSGPRsForWavesPerEU: 4
; NumVGPRsForWavesPerEU: 1
; AccumOffset: 4
; Occupancy: 8
; WaveLimiterHint : 0
; COMPUTE_PGM_RSRC2:SCRATCH_EN: 0
; COMPUTE_PGM_RSRC2:USER_SGPR: 6
; COMPUTE_PGM_RSRC2:TRAP_HANDLER: 0
; COMPUTE_PGM_RSRC2:TGID_X_EN: 1
; COMPUTE_PGM_RSRC2:TGID_Y_EN: 0
; COMPUTE_PGM_RSRC2:TGID_Z_EN: 0
; COMPUTE_PGM_RSRC2:TIDIG_COMP_CNT: 0
; COMPUTE_PGM_RSRC3_GFX90A:ACCUM_OFFSET: 0
; COMPUTE_PGM_RSRC3_GFX90A:TG_SPLIT: 0
	.section	.text._ZN7rocprim17ROCPRIM_400000_NS6detail17trampoline_kernelINS0_14default_configENS1_20scan_config_selectorIyEEZZNS1_9scan_implILNS1_25lookback_scan_determinismE0ELb1ELb1ES3_N6thrust23THRUST_200600_302600_NS6detail15normal_iteratorINS9_10device_ptrIyEEEENS9_16discard_iteratorINS9_11use_defaultEEEyNS9_4plusIvEEyEEDaPvRmT3_T4_T5_mT6_P12ihipStream_tbENKUlT_T0_E_clISt17integral_constantIbLb1EESW_IbLb0EEEEDaSS_ST_EUlSS_E0_NS1_11comp_targetILNS1_3genE4ELNS1_11target_archE910ELNS1_3gpuE8ELNS1_3repE0EEENS1_30default_config_static_selectorELNS0_4arch9wavefront6targetE1EEEvT1_,"axG",@progbits,_ZN7rocprim17ROCPRIM_400000_NS6detail17trampoline_kernelINS0_14default_configENS1_20scan_config_selectorIyEEZZNS1_9scan_implILNS1_25lookback_scan_determinismE0ELb1ELb1ES3_N6thrust23THRUST_200600_302600_NS6detail15normal_iteratorINS9_10device_ptrIyEEEENS9_16discard_iteratorINS9_11use_defaultEEEyNS9_4plusIvEEyEEDaPvRmT3_T4_T5_mT6_P12ihipStream_tbENKUlT_T0_E_clISt17integral_constantIbLb1EESW_IbLb0EEEEDaSS_ST_EUlSS_E0_NS1_11comp_targetILNS1_3genE4ELNS1_11target_archE910ELNS1_3gpuE8ELNS1_3repE0EEENS1_30default_config_static_selectorELNS0_4arch9wavefront6targetE1EEEvT1_,comdat
	.protected	_ZN7rocprim17ROCPRIM_400000_NS6detail17trampoline_kernelINS0_14default_configENS1_20scan_config_selectorIyEEZZNS1_9scan_implILNS1_25lookback_scan_determinismE0ELb1ELb1ES3_N6thrust23THRUST_200600_302600_NS6detail15normal_iteratorINS9_10device_ptrIyEEEENS9_16discard_iteratorINS9_11use_defaultEEEyNS9_4plusIvEEyEEDaPvRmT3_T4_T5_mT6_P12ihipStream_tbENKUlT_T0_E_clISt17integral_constantIbLb1EESW_IbLb0EEEEDaSS_ST_EUlSS_E0_NS1_11comp_targetILNS1_3genE4ELNS1_11target_archE910ELNS1_3gpuE8ELNS1_3repE0EEENS1_30default_config_static_selectorELNS0_4arch9wavefront6targetE1EEEvT1_ ; -- Begin function _ZN7rocprim17ROCPRIM_400000_NS6detail17trampoline_kernelINS0_14default_configENS1_20scan_config_selectorIyEEZZNS1_9scan_implILNS1_25lookback_scan_determinismE0ELb1ELb1ES3_N6thrust23THRUST_200600_302600_NS6detail15normal_iteratorINS9_10device_ptrIyEEEENS9_16discard_iteratorINS9_11use_defaultEEEyNS9_4plusIvEEyEEDaPvRmT3_T4_T5_mT6_P12ihipStream_tbENKUlT_T0_E_clISt17integral_constantIbLb1EESW_IbLb0EEEEDaSS_ST_EUlSS_E0_NS1_11comp_targetILNS1_3genE4ELNS1_11target_archE910ELNS1_3gpuE8ELNS1_3repE0EEENS1_30default_config_static_selectorELNS0_4arch9wavefront6targetE1EEEvT1_
	.globl	_ZN7rocprim17ROCPRIM_400000_NS6detail17trampoline_kernelINS0_14default_configENS1_20scan_config_selectorIyEEZZNS1_9scan_implILNS1_25lookback_scan_determinismE0ELb1ELb1ES3_N6thrust23THRUST_200600_302600_NS6detail15normal_iteratorINS9_10device_ptrIyEEEENS9_16discard_iteratorINS9_11use_defaultEEEyNS9_4plusIvEEyEEDaPvRmT3_T4_T5_mT6_P12ihipStream_tbENKUlT_T0_E_clISt17integral_constantIbLb1EESW_IbLb0EEEEDaSS_ST_EUlSS_E0_NS1_11comp_targetILNS1_3genE4ELNS1_11target_archE910ELNS1_3gpuE8ELNS1_3repE0EEENS1_30default_config_static_selectorELNS0_4arch9wavefront6targetE1EEEvT1_
	.p2align	8
	.type	_ZN7rocprim17ROCPRIM_400000_NS6detail17trampoline_kernelINS0_14default_configENS1_20scan_config_selectorIyEEZZNS1_9scan_implILNS1_25lookback_scan_determinismE0ELb1ELb1ES3_N6thrust23THRUST_200600_302600_NS6detail15normal_iteratorINS9_10device_ptrIyEEEENS9_16discard_iteratorINS9_11use_defaultEEEyNS9_4plusIvEEyEEDaPvRmT3_T4_T5_mT6_P12ihipStream_tbENKUlT_T0_E_clISt17integral_constantIbLb1EESW_IbLb0EEEEDaSS_ST_EUlSS_E0_NS1_11comp_targetILNS1_3genE4ELNS1_11target_archE910ELNS1_3gpuE8ELNS1_3repE0EEENS1_30default_config_static_selectorELNS0_4arch9wavefront6targetE1EEEvT1_,@function
_ZN7rocprim17ROCPRIM_400000_NS6detail17trampoline_kernelINS0_14default_configENS1_20scan_config_selectorIyEEZZNS1_9scan_implILNS1_25lookback_scan_determinismE0ELb1ELb1ES3_N6thrust23THRUST_200600_302600_NS6detail15normal_iteratorINS9_10device_ptrIyEEEENS9_16discard_iteratorINS9_11use_defaultEEEyNS9_4plusIvEEyEEDaPvRmT3_T4_T5_mT6_P12ihipStream_tbENKUlT_T0_E_clISt17integral_constantIbLb1EESW_IbLb0EEEEDaSS_ST_EUlSS_E0_NS1_11comp_targetILNS1_3genE4ELNS1_11target_archE910ELNS1_3gpuE8ELNS1_3repE0EEENS1_30default_config_static_selectorELNS0_4arch9wavefront6targetE1EEEvT1_: ; @_ZN7rocprim17ROCPRIM_400000_NS6detail17trampoline_kernelINS0_14default_configENS1_20scan_config_selectorIyEEZZNS1_9scan_implILNS1_25lookback_scan_determinismE0ELb1ELb1ES3_N6thrust23THRUST_200600_302600_NS6detail15normal_iteratorINS9_10device_ptrIyEEEENS9_16discard_iteratorINS9_11use_defaultEEEyNS9_4plusIvEEyEEDaPvRmT3_T4_T5_mT6_P12ihipStream_tbENKUlT_T0_E_clISt17integral_constantIbLb1EESW_IbLb0EEEEDaSS_ST_EUlSS_E0_NS1_11comp_targetILNS1_3genE4ELNS1_11target_archE910ELNS1_3gpuE8ELNS1_3repE0EEENS1_30default_config_static_selectorELNS0_4arch9wavefront6targetE1EEEvT1_
; %bb.0:
	s_load_dwordx4 s[0:3], s[4:5], 0x0
	v_lshlrev_b32_e32 v20, 3, v0
	s_waitcnt lgkmcnt(0)
	s_load_dwordx2 s[6:7], s[0:1], 0x0
	v_cmp_gt_u32_e32 vcc, s2, v0
	s_waitcnt lgkmcnt(0)
	v_pk_mov_b32 v[2:3], s[6:7], s[6:7] op_sel:[0,1]
	s_and_saveexec_b64 s[8:9], vcc
	s_cbranch_execz .LBB5269_2
; %bb.1:
	global_load_dwordx2 v[2:3], v20, s[0:1]
.LBB5269_2:
	s_or_b64 exec, exec, s[8:9]
	v_or_b32_e32 v1, 0x80, v0
	v_cmp_gt_u32_e32 vcc, s2, v1
	v_pk_mov_b32 v[4:5], s[6:7], s[6:7] op_sel:[0,1]
	s_and_saveexec_b64 s[8:9], vcc
	s_cbranch_execz .LBB5269_4
; %bb.3:
	global_load_dwordx2 v[4:5], v20, s[0:1] offset:1024
.LBB5269_4:
	s_or_b64 exec, exec, s[8:9]
	v_or_b32_e32 v1, 0x100, v0
	v_cmp_gt_u32_e32 vcc, s2, v1
	v_pk_mov_b32 v[6:7], s[6:7], s[6:7] op_sel:[0,1]
	s_and_saveexec_b64 s[8:9], vcc
	s_cbranch_execz .LBB5269_6
; %bb.5:
	global_load_dwordx2 v[6:7], v20, s[0:1] offset:2048
.LBB5269_6:
	;; [unrolled: 9-line block ×3, first 2 shown]
	s_or_b64 exec, exec, s[8:9]
	v_or_b32_e32 v1, 0x200, v0
	v_cmp_gt_u32_e32 vcc, s2, v1
	v_pk_mov_b32 v[10:11], s[6:7], s[6:7] op_sel:[0,1]
	s_and_saveexec_b64 s[8:9], vcc
	s_cbranch_execz .LBB5269_10
; %bb.9:
	v_lshlrev_b32_e32 v1, 3, v1
	global_load_dwordx2 v[10:11], v1, s[0:1]
.LBB5269_10:
	s_or_b64 exec, exec, s[8:9]
	v_or_b32_e32 v1, 0x280, v0
	v_cmp_gt_u32_e32 vcc, s2, v1
	v_pk_mov_b32 v[12:13], s[6:7], s[6:7] op_sel:[0,1]
	s_and_saveexec_b64 s[8:9], vcc
	s_cbranch_execz .LBB5269_12
; %bb.11:
	v_lshlrev_b32_e32 v1, 3, v1
	global_load_dwordx2 v[12:13], v1, s[0:1]
.LBB5269_12:
	s_or_b64 exec, exec, s[8:9]
	s_load_dwordx2 s[4:5], s[4:5], 0x10
	v_or_b32_e32 v1, 0x300, v0
	v_cmp_gt_u32_e32 vcc, s2, v1
	v_pk_mov_b32 v[14:15], s[6:7], s[6:7] op_sel:[0,1]
	s_and_saveexec_b64 s[2:3], vcc
	s_cbranch_execz .LBB5269_14
; %bb.13:
	v_lshlrev_b32_e32 v1, 3, v1
	global_load_dwordx2 v[14:15], v1, s[0:1]
.LBB5269_14:
	s_or_b64 exec, exec, s[2:3]
	v_mad_u32_u24 v1, v0, 48, v20
	s_waitcnt vmcnt(0)
	ds_write2st64_b64 v20, v[2:3], v[4:5] offset1:2
	ds_write2st64_b64 v20, v[6:7], v[8:9] offset0:4 offset1:6
	ds_write2st64_b64 v20, v[10:11], v[12:13] offset0:8 offset1:10
	ds_write_b64 v20, v[14:15] offset:6144
	s_waitcnt lgkmcnt(0)
	s_barrier
	ds_read2_b64 v[2:5], v1 offset1:1
	ds_read2_b64 v[6:9], v1 offset0:2 offset1:3
	ds_read2_b64 v[10:13], v1 offset0:4 offset1:5
	ds_read_b64 v[14:15], v1 offset:48
	s_waitcnt lgkmcnt(0)
	v_add_co_u32_e32 v1, vcc, v4, v2
	v_addc_co_u32_e32 v16, vcc, v5, v3, vcc
	v_add_co_u32_e32 v1, vcc, v1, v6
	v_addc_co_u32_e32 v16, vcc, v16, v7, vcc
	;; [unrolled: 2-line block ×5, first 2 shown]
	v_add_co_u32_e32 v18, vcc, v1, v14
	v_lshrrev_b32_e32 v1, 2, v0
	v_addc_co_u32_e32 v19, vcc, v16, v15, vcc
	v_and_b32_e32 v1, 24, v1
	v_add_u32_e32 v1, v20, v1
	v_cmp_gt_u32_e32 vcc, 64, v0
	s_barrier
	ds_write_b64 v1, v[18:19]
	s_waitcnt lgkmcnt(0)
	s_barrier
	s_and_saveexec_b64 s[2:3], vcc
	s_cbranch_execz .LBB5269_18
; %bb.15:
	v_lshlrev_b32_e32 v1, 1, v0
	v_lshrrev_b32_e32 v14, 4, v0
	v_add_lshl_u32 v21, v14, v1, 3
	ds_read2_b64 v[14:17], v21 offset1:1
	v_mbcnt_lo_u32_b32 v1, -1, 0
	s_waitcnt lgkmcnt(0)
	v_add_co_u32_e32 v22, vcc, v16, v14
	v_addc_co_u32_e32 v23, vcc, v17, v15, vcc
	s_nop 0
	v_mov_b32_dpp v16, v22 row_shr:1 row_mask:0xf bank_mask:0xf
	v_add_co_u32_e32 v16, vcc, v22, v16
	v_addc_co_u32_e32 v25, vcc, 0, v23, vcc
	v_mbcnt_hi_u32_b32 v17, -1, v1
	v_mov_b32_dpp v24, v23 row_shr:1 row_mask:0xf bank_mask:0xf
	v_add_co_u32_e32 v26, vcc, 0, v16
	v_and_b32_e32 v1, 15, v17
	v_addc_co_u32_e32 v24, vcc, v24, v25, vcc
	v_cmp_eq_u32_e32 vcc, 0, v1
	v_cndmask_b32_e32 v16, v16, v22, vcc
	v_cndmask_b32_e32 v24, v24, v23, vcc
	v_cndmask_b32_e32 v25, v26, v22, vcc
	v_mov_b32_dpp v26, v16 row_shr:2 row_mask:0xf bank_mask:0xf
	v_mov_b32_dpp v27, v24 row_shr:2 row_mask:0xf bank_mask:0xf
	v_add_co_u32_e32 v26, vcc, v26, v25
	v_addc_co_u32_e32 v27, vcc, v27, v24, vcc
	v_cmp_lt_u32_e32 vcc, 1, v1
	v_cndmask_b32_e32 v16, v16, v26, vcc
	v_cndmask_b32_e32 v24, v24, v27, vcc
	v_cndmask_b32_e32 v25, v25, v26, vcc
	v_mov_b32_dpp v26, v16 row_shr:4 row_mask:0xf bank_mask:0xf
	v_mov_b32_dpp v27, v24 row_shr:4 row_mask:0xf bank_mask:0xf
	v_add_co_u32_e32 v26, vcc, v26, v25
	v_addc_co_u32_e32 v27, vcc, v27, v24, vcc
	v_cmp_lt_u32_e32 vcc, 3, v1
	;; [unrolled: 8-line block ×3, first 2 shown]
	v_cndmask_b32_e32 v28, v16, v26, vcc
	v_cndmask_b32_e32 v1, v24, v27, vcc
	v_cndmask_b32_e32 v16, v25, v26, vcc
	v_mov_b32_dpp v24, v28 row_bcast:15 row_mask:0xf bank_mask:0xf
	v_mov_b32_dpp v25, v1 row_bcast:15 row_mask:0xf bank_mask:0xf
	v_add_co_u32_e32 v24, vcc, v24, v16
	v_and_b32_e32 v27, 16, v17
	v_addc_co_u32_e32 v26, vcc, v25, v1, vcc
	v_cmp_eq_u32_e32 vcc, 0, v27
	v_cndmask_b32_e32 v27, v26, v1, vcc
	v_cndmask_b32_e32 v25, v24, v28, vcc
	v_cmp_ne_u32_e64 s[0:1], 0, v17
	v_mov_b32_dpp v27, v27 row_bcast:31 row_mask:0xf bank_mask:0xf
	v_mov_b32_dpp v25, v25 row_bcast:31 row_mask:0xf bank_mask:0xf
	s_and_saveexec_b64 s[6:7], s[0:1]
; %bb.16:
	v_cndmask_b32_e32 v1, v26, v1, vcc
	v_cndmask_b32_e32 v16, v24, v16, vcc
	v_cmp_lt_u32_e32 vcc, 31, v17
	v_cndmask_b32_e32 v22, 0, v25, vcc
	v_cndmask_b32_e32 v23, 0, v27, vcc
	v_add_co_u32_e32 v22, vcc, v22, v16
	v_addc_co_u32_e32 v23, vcc, v23, v1, vcc
; %bb.17:
	s_or_b64 exec, exec, s[6:7]
	v_add_u32_e32 v1, -1, v17
	v_and_b32_e32 v16, 64, v17
	v_cmp_lt_i32_e32 vcc, v1, v16
	v_cndmask_b32_e32 v1, v1, v17, vcc
	v_lshlrev_b32_e32 v1, 2, v1
	ds_bpermute_b32 v16, v1, v22
	ds_bpermute_b32 v1, v1, v23
	; wave barrier
	s_waitcnt lgkmcnt(1)
	v_add_co_u32_e32 v14, vcc, v14, v16
	v_addc_co_u32_e32 v15, vcc, 0, v15, vcc
	v_add_co_u32_e32 v14, vcc, 0, v14
	s_waitcnt lgkmcnt(0)
	v_addc_co_u32_e32 v1, vcc, v15, v1, vcc
	v_cmp_eq_u32_e32 vcc, 0, v0
	v_cndmask_b32_e32 v15, v1, v19, vcc
	v_cndmask_b32_e32 v14, v14, v18, vcc
	ds_write_b64 v21, v[14:15]
	; wave barrier
	ds_read_b64 v[16:17], v21 offset:8
	s_waitcnt lgkmcnt(0)
	v_add_co_u32_e32 v14, vcc, v16, v14
	v_addc_co_u32_e32 v15, vcc, v17, v15, vcc
	ds_write_b64 v21, v[14:15] offset:8
.LBB5269_18:
	s_or_b64 exec, exec, s[2:3]
	v_mul_u32_u24_e32 v1, 48, v0
	v_cmp_ne_u32_e32 vcc, 0, v0
	v_pk_mov_b32 v[14:15], s[4:5], s[4:5] op_sel:[0,1]
	s_waitcnt lgkmcnt(0)
	s_barrier
	s_and_saveexec_b64 s[0:1], vcc
	s_cbranch_execz .LBB5269_20
; %bb.19:
	v_add_u32_e32 v0, -1, v0
	v_lshrrev_b32_e32 v14, 5, v0
	v_add_lshl_u32 v0, v14, v0, 3
	ds_read_b64 v[14:15], v0
	v_mov_b32_e32 v0, s5
	s_waitcnt lgkmcnt(0)
	v_add_co_u32_e32 v14, vcc, s4, v14
	v_addc_co_u32_e32 v15, vcc, v15, v0, vcc
.LBB5269_20:
	s_or_b64 exec, exec, s[0:1]
	v_add_co_u32_e32 v2, vcc, v14, v2
	v_addc_co_u32_e32 v3, vcc, v15, v3, vcc
	v_add_co_u32_e32 v4, vcc, v2, v4
	v_addc_co_u32_e32 v5, vcc, v3, v5, vcc
	;; [unrolled: 2-line block ×5, first 2 shown]
	v_add_co_u32_e32 v12, vcc, v10, v12
	v_add_u32_e32 v0, v20, v1
	v_addc_co_u32_e32 v13, vcc, v11, v13, vcc
	s_barrier
	ds_write2_b64 v0, v[14:15], v[2:3] offset1:1
	ds_write2_b64 v0, v[4:5], v[6:7] offset0:2 offset1:3
	ds_write2_b64 v0, v[8:9], v[10:11] offset0:4 offset1:5
	ds_write_b64 v0, v[12:13] offset:48
	s_waitcnt lgkmcnt(0)
	s_barrier
	s_endpgm
	.section	.rodata,"a",@progbits
	.p2align	6, 0x0
	.amdhsa_kernel _ZN7rocprim17ROCPRIM_400000_NS6detail17trampoline_kernelINS0_14default_configENS1_20scan_config_selectorIyEEZZNS1_9scan_implILNS1_25lookback_scan_determinismE0ELb1ELb1ES3_N6thrust23THRUST_200600_302600_NS6detail15normal_iteratorINS9_10device_ptrIyEEEENS9_16discard_iteratorINS9_11use_defaultEEEyNS9_4plusIvEEyEEDaPvRmT3_T4_T5_mT6_P12ihipStream_tbENKUlT_T0_E_clISt17integral_constantIbLb1EESW_IbLb0EEEEDaSS_ST_EUlSS_E0_NS1_11comp_targetILNS1_3genE4ELNS1_11target_archE910ELNS1_3gpuE8ELNS1_3repE0EEENS1_30default_config_static_selectorELNS0_4arch9wavefront6targetE1EEEvT1_
		.amdhsa_group_segment_fixed_size 7168
		.amdhsa_private_segment_fixed_size 0
		.amdhsa_kernarg_size 48
		.amdhsa_user_sgpr_count 6
		.amdhsa_user_sgpr_private_segment_buffer 1
		.amdhsa_user_sgpr_dispatch_ptr 0
		.amdhsa_user_sgpr_queue_ptr 0
		.amdhsa_user_sgpr_kernarg_segment_ptr 1
		.amdhsa_user_sgpr_dispatch_id 0
		.amdhsa_user_sgpr_flat_scratch_init 0
		.amdhsa_user_sgpr_kernarg_preload_length 0
		.amdhsa_user_sgpr_kernarg_preload_offset 0
		.amdhsa_user_sgpr_private_segment_size 0
		.amdhsa_uses_dynamic_stack 0
		.amdhsa_system_sgpr_private_segment_wavefront_offset 0
		.amdhsa_system_sgpr_workgroup_id_x 1
		.amdhsa_system_sgpr_workgroup_id_y 0
		.amdhsa_system_sgpr_workgroup_id_z 0
		.amdhsa_system_sgpr_workgroup_info 0
		.amdhsa_system_vgpr_workitem_id 0
		.amdhsa_next_free_vgpr 29
		.amdhsa_next_free_sgpr 10
		.amdhsa_accum_offset 32
		.amdhsa_reserve_vcc 1
		.amdhsa_reserve_flat_scratch 0
		.amdhsa_float_round_mode_32 0
		.amdhsa_float_round_mode_16_64 0
		.amdhsa_float_denorm_mode_32 3
		.amdhsa_float_denorm_mode_16_64 3
		.amdhsa_dx10_clamp 1
		.amdhsa_ieee_mode 1
		.amdhsa_fp16_overflow 0
		.amdhsa_tg_split 0
		.amdhsa_exception_fp_ieee_invalid_op 0
		.amdhsa_exception_fp_denorm_src 0
		.amdhsa_exception_fp_ieee_div_zero 0
		.amdhsa_exception_fp_ieee_overflow 0
		.amdhsa_exception_fp_ieee_underflow 0
		.amdhsa_exception_fp_ieee_inexact 0
		.amdhsa_exception_int_div_zero 0
	.end_amdhsa_kernel
	.section	.text._ZN7rocprim17ROCPRIM_400000_NS6detail17trampoline_kernelINS0_14default_configENS1_20scan_config_selectorIyEEZZNS1_9scan_implILNS1_25lookback_scan_determinismE0ELb1ELb1ES3_N6thrust23THRUST_200600_302600_NS6detail15normal_iteratorINS9_10device_ptrIyEEEENS9_16discard_iteratorINS9_11use_defaultEEEyNS9_4plusIvEEyEEDaPvRmT3_T4_T5_mT6_P12ihipStream_tbENKUlT_T0_E_clISt17integral_constantIbLb1EESW_IbLb0EEEEDaSS_ST_EUlSS_E0_NS1_11comp_targetILNS1_3genE4ELNS1_11target_archE910ELNS1_3gpuE8ELNS1_3repE0EEENS1_30default_config_static_selectorELNS0_4arch9wavefront6targetE1EEEvT1_,"axG",@progbits,_ZN7rocprim17ROCPRIM_400000_NS6detail17trampoline_kernelINS0_14default_configENS1_20scan_config_selectorIyEEZZNS1_9scan_implILNS1_25lookback_scan_determinismE0ELb1ELb1ES3_N6thrust23THRUST_200600_302600_NS6detail15normal_iteratorINS9_10device_ptrIyEEEENS9_16discard_iteratorINS9_11use_defaultEEEyNS9_4plusIvEEyEEDaPvRmT3_T4_T5_mT6_P12ihipStream_tbENKUlT_T0_E_clISt17integral_constantIbLb1EESW_IbLb0EEEEDaSS_ST_EUlSS_E0_NS1_11comp_targetILNS1_3genE4ELNS1_11target_archE910ELNS1_3gpuE8ELNS1_3repE0EEENS1_30default_config_static_selectorELNS0_4arch9wavefront6targetE1EEEvT1_,comdat
.Lfunc_end5269:
	.size	_ZN7rocprim17ROCPRIM_400000_NS6detail17trampoline_kernelINS0_14default_configENS1_20scan_config_selectorIyEEZZNS1_9scan_implILNS1_25lookback_scan_determinismE0ELb1ELb1ES3_N6thrust23THRUST_200600_302600_NS6detail15normal_iteratorINS9_10device_ptrIyEEEENS9_16discard_iteratorINS9_11use_defaultEEEyNS9_4plusIvEEyEEDaPvRmT3_T4_T5_mT6_P12ihipStream_tbENKUlT_T0_E_clISt17integral_constantIbLb1EESW_IbLb0EEEEDaSS_ST_EUlSS_E0_NS1_11comp_targetILNS1_3genE4ELNS1_11target_archE910ELNS1_3gpuE8ELNS1_3repE0EEENS1_30default_config_static_selectorELNS0_4arch9wavefront6targetE1EEEvT1_, .Lfunc_end5269-_ZN7rocprim17ROCPRIM_400000_NS6detail17trampoline_kernelINS0_14default_configENS1_20scan_config_selectorIyEEZZNS1_9scan_implILNS1_25lookback_scan_determinismE0ELb1ELb1ES3_N6thrust23THRUST_200600_302600_NS6detail15normal_iteratorINS9_10device_ptrIyEEEENS9_16discard_iteratorINS9_11use_defaultEEEyNS9_4plusIvEEyEEDaPvRmT3_T4_T5_mT6_P12ihipStream_tbENKUlT_T0_E_clISt17integral_constantIbLb1EESW_IbLb0EEEEDaSS_ST_EUlSS_E0_NS1_11comp_targetILNS1_3genE4ELNS1_11target_archE910ELNS1_3gpuE8ELNS1_3repE0EEENS1_30default_config_static_selectorELNS0_4arch9wavefront6targetE1EEEvT1_
                                        ; -- End function
	.section	.AMDGPU.csdata,"",@progbits
; Kernel info:
; codeLenInByte = 1116
; NumSgprs: 14
; NumVgprs: 29
; NumAgprs: 0
; TotalNumVgprs: 29
; ScratchSize: 0
; MemoryBound: 0
; FloatMode: 240
; IeeeMode: 1
; LDSByteSize: 7168 bytes/workgroup (compile time only)
; SGPRBlocks: 1
; VGPRBlocks: 3
; NumSGPRsForWavesPerEU: 14
; NumVGPRsForWavesPerEU: 29
; AccumOffset: 32
; Occupancy: 5
; WaveLimiterHint : 0
; COMPUTE_PGM_RSRC2:SCRATCH_EN: 0
; COMPUTE_PGM_RSRC2:USER_SGPR: 6
; COMPUTE_PGM_RSRC2:TRAP_HANDLER: 0
; COMPUTE_PGM_RSRC2:TGID_X_EN: 1
; COMPUTE_PGM_RSRC2:TGID_Y_EN: 0
; COMPUTE_PGM_RSRC2:TGID_Z_EN: 0
; COMPUTE_PGM_RSRC2:TIDIG_COMP_CNT: 0
; COMPUTE_PGM_RSRC3_GFX90A:ACCUM_OFFSET: 7
; COMPUTE_PGM_RSRC3_GFX90A:TG_SPLIT: 0
	.section	.text._ZN7rocprim17ROCPRIM_400000_NS6detail17trampoline_kernelINS0_14default_configENS1_20scan_config_selectorIyEEZZNS1_9scan_implILNS1_25lookback_scan_determinismE0ELb1ELb1ES3_N6thrust23THRUST_200600_302600_NS6detail15normal_iteratorINS9_10device_ptrIyEEEENS9_16discard_iteratorINS9_11use_defaultEEEyNS9_4plusIvEEyEEDaPvRmT3_T4_T5_mT6_P12ihipStream_tbENKUlT_T0_E_clISt17integral_constantIbLb1EESW_IbLb0EEEEDaSS_ST_EUlSS_E0_NS1_11comp_targetILNS1_3genE3ELNS1_11target_archE908ELNS1_3gpuE7ELNS1_3repE0EEENS1_30default_config_static_selectorELNS0_4arch9wavefront6targetE1EEEvT1_,"axG",@progbits,_ZN7rocprim17ROCPRIM_400000_NS6detail17trampoline_kernelINS0_14default_configENS1_20scan_config_selectorIyEEZZNS1_9scan_implILNS1_25lookback_scan_determinismE0ELb1ELb1ES3_N6thrust23THRUST_200600_302600_NS6detail15normal_iteratorINS9_10device_ptrIyEEEENS9_16discard_iteratorINS9_11use_defaultEEEyNS9_4plusIvEEyEEDaPvRmT3_T4_T5_mT6_P12ihipStream_tbENKUlT_T0_E_clISt17integral_constantIbLb1EESW_IbLb0EEEEDaSS_ST_EUlSS_E0_NS1_11comp_targetILNS1_3genE3ELNS1_11target_archE908ELNS1_3gpuE7ELNS1_3repE0EEENS1_30default_config_static_selectorELNS0_4arch9wavefront6targetE1EEEvT1_,comdat
	.protected	_ZN7rocprim17ROCPRIM_400000_NS6detail17trampoline_kernelINS0_14default_configENS1_20scan_config_selectorIyEEZZNS1_9scan_implILNS1_25lookback_scan_determinismE0ELb1ELb1ES3_N6thrust23THRUST_200600_302600_NS6detail15normal_iteratorINS9_10device_ptrIyEEEENS9_16discard_iteratorINS9_11use_defaultEEEyNS9_4plusIvEEyEEDaPvRmT3_T4_T5_mT6_P12ihipStream_tbENKUlT_T0_E_clISt17integral_constantIbLb1EESW_IbLb0EEEEDaSS_ST_EUlSS_E0_NS1_11comp_targetILNS1_3genE3ELNS1_11target_archE908ELNS1_3gpuE7ELNS1_3repE0EEENS1_30default_config_static_selectorELNS0_4arch9wavefront6targetE1EEEvT1_ ; -- Begin function _ZN7rocprim17ROCPRIM_400000_NS6detail17trampoline_kernelINS0_14default_configENS1_20scan_config_selectorIyEEZZNS1_9scan_implILNS1_25lookback_scan_determinismE0ELb1ELb1ES3_N6thrust23THRUST_200600_302600_NS6detail15normal_iteratorINS9_10device_ptrIyEEEENS9_16discard_iteratorINS9_11use_defaultEEEyNS9_4plusIvEEyEEDaPvRmT3_T4_T5_mT6_P12ihipStream_tbENKUlT_T0_E_clISt17integral_constantIbLb1EESW_IbLb0EEEEDaSS_ST_EUlSS_E0_NS1_11comp_targetILNS1_3genE3ELNS1_11target_archE908ELNS1_3gpuE7ELNS1_3repE0EEENS1_30default_config_static_selectorELNS0_4arch9wavefront6targetE1EEEvT1_
	.globl	_ZN7rocprim17ROCPRIM_400000_NS6detail17trampoline_kernelINS0_14default_configENS1_20scan_config_selectorIyEEZZNS1_9scan_implILNS1_25lookback_scan_determinismE0ELb1ELb1ES3_N6thrust23THRUST_200600_302600_NS6detail15normal_iteratorINS9_10device_ptrIyEEEENS9_16discard_iteratorINS9_11use_defaultEEEyNS9_4plusIvEEyEEDaPvRmT3_T4_T5_mT6_P12ihipStream_tbENKUlT_T0_E_clISt17integral_constantIbLb1EESW_IbLb0EEEEDaSS_ST_EUlSS_E0_NS1_11comp_targetILNS1_3genE3ELNS1_11target_archE908ELNS1_3gpuE7ELNS1_3repE0EEENS1_30default_config_static_selectorELNS0_4arch9wavefront6targetE1EEEvT1_
	.p2align	8
	.type	_ZN7rocprim17ROCPRIM_400000_NS6detail17trampoline_kernelINS0_14default_configENS1_20scan_config_selectorIyEEZZNS1_9scan_implILNS1_25lookback_scan_determinismE0ELb1ELb1ES3_N6thrust23THRUST_200600_302600_NS6detail15normal_iteratorINS9_10device_ptrIyEEEENS9_16discard_iteratorINS9_11use_defaultEEEyNS9_4plusIvEEyEEDaPvRmT3_T4_T5_mT6_P12ihipStream_tbENKUlT_T0_E_clISt17integral_constantIbLb1EESW_IbLb0EEEEDaSS_ST_EUlSS_E0_NS1_11comp_targetILNS1_3genE3ELNS1_11target_archE908ELNS1_3gpuE7ELNS1_3repE0EEENS1_30default_config_static_selectorELNS0_4arch9wavefront6targetE1EEEvT1_,@function
_ZN7rocprim17ROCPRIM_400000_NS6detail17trampoline_kernelINS0_14default_configENS1_20scan_config_selectorIyEEZZNS1_9scan_implILNS1_25lookback_scan_determinismE0ELb1ELb1ES3_N6thrust23THRUST_200600_302600_NS6detail15normal_iteratorINS9_10device_ptrIyEEEENS9_16discard_iteratorINS9_11use_defaultEEEyNS9_4plusIvEEyEEDaPvRmT3_T4_T5_mT6_P12ihipStream_tbENKUlT_T0_E_clISt17integral_constantIbLb1EESW_IbLb0EEEEDaSS_ST_EUlSS_E0_NS1_11comp_targetILNS1_3genE3ELNS1_11target_archE908ELNS1_3gpuE7ELNS1_3repE0EEENS1_30default_config_static_selectorELNS0_4arch9wavefront6targetE1EEEvT1_: ; @_ZN7rocprim17ROCPRIM_400000_NS6detail17trampoline_kernelINS0_14default_configENS1_20scan_config_selectorIyEEZZNS1_9scan_implILNS1_25lookback_scan_determinismE0ELb1ELb1ES3_N6thrust23THRUST_200600_302600_NS6detail15normal_iteratorINS9_10device_ptrIyEEEENS9_16discard_iteratorINS9_11use_defaultEEEyNS9_4plusIvEEyEEDaPvRmT3_T4_T5_mT6_P12ihipStream_tbENKUlT_T0_E_clISt17integral_constantIbLb1EESW_IbLb0EEEEDaSS_ST_EUlSS_E0_NS1_11comp_targetILNS1_3genE3ELNS1_11target_archE908ELNS1_3gpuE7ELNS1_3repE0EEENS1_30default_config_static_selectorELNS0_4arch9wavefront6targetE1EEEvT1_
; %bb.0:
	.section	.rodata,"a",@progbits
	.p2align	6, 0x0
	.amdhsa_kernel _ZN7rocprim17ROCPRIM_400000_NS6detail17trampoline_kernelINS0_14default_configENS1_20scan_config_selectorIyEEZZNS1_9scan_implILNS1_25lookback_scan_determinismE0ELb1ELb1ES3_N6thrust23THRUST_200600_302600_NS6detail15normal_iteratorINS9_10device_ptrIyEEEENS9_16discard_iteratorINS9_11use_defaultEEEyNS9_4plusIvEEyEEDaPvRmT3_T4_T5_mT6_P12ihipStream_tbENKUlT_T0_E_clISt17integral_constantIbLb1EESW_IbLb0EEEEDaSS_ST_EUlSS_E0_NS1_11comp_targetILNS1_3genE3ELNS1_11target_archE908ELNS1_3gpuE7ELNS1_3repE0EEENS1_30default_config_static_selectorELNS0_4arch9wavefront6targetE1EEEvT1_
		.amdhsa_group_segment_fixed_size 0
		.amdhsa_private_segment_fixed_size 0
		.amdhsa_kernarg_size 48
		.amdhsa_user_sgpr_count 6
		.amdhsa_user_sgpr_private_segment_buffer 1
		.amdhsa_user_sgpr_dispatch_ptr 0
		.amdhsa_user_sgpr_queue_ptr 0
		.amdhsa_user_sgpr_kernarg_segment_ptr 1
		.amdhsa_user_sgpr_dispatch_id 0
		.amdhsa_user_sgpr_flat_scratch_init 0
		.amdhsa_user_sgpr_kernarg_preload_length 0
		.amdhsa_user_sgpr_kernarg_preload_offset 0
		.amdhsa_user_sgpr_private_segment_size 0
		.amdhsa_uses_dynamic_stack 0
		.amdhsa_system_sgpr_private_segment_wavefront_offset 0
		.amdhsa_system_sgpr_workgroup_id_x 1
		.amdhsa_system_sgpr_workgroup_id_y 0
		.amdhsa_system_sgpr_workgroup_id_z 0
		.amdhsa_system_sgpr_workgroup_info 0
		.amdhsa_system_vgpr_workitem_id 0
		.amdhsa_next_free_vgpr 1
		.amdhsa_next_free_sgpr 0
		.amdhsa_accum_offset 4
		.amdhsa_reserve_vcc 0
		.amdhsa_reserve_flat_scratch 0
		.amdhsa_float_round_mode_32 0
		.amdhsa_float_round_mode_16_64 0
		.amdhsa_float_denorm_mode_32 3
		.amdhsa_float_denorm_mode_16_64 3
		.amdhsa_dx10_clamp 1
		.amdhsa_ieee_mode 1
		.amdhsa_fp16_overflow 0
		.amdhsa_tg_split 0
		.amdhsa_exception_fp_ieee_invalid_op 0
		.amdhsa_exception_fp_denorm_src 0
		.amdhsa_exception_fp_ieee_div_zero 0
		.amdhsa_exception_fp_ieee_overflow 0
		.amdhsa_exception_fp_ieee_underflow 0
		.amdhsa_exception_fp_ieee_inexact 0
		.amdhsa_exception_int_div_zero 0
	.end_amdhsa_kernel
	.section	.text._ZN7rocprim17ROCPRIM_400000_NS6detail17trampoline_kernelINS0_14default_configENS1_20scan_config_selectorIyEEZZNS1_9scan_implILNS1_25lookback_scan_determinismE0ELb1ELb1ES3_N6thrust23THRUST_200600_302600_NS6detail15normal_iteratorINS9_10device_ptrIyEEEENS9_16discard_iteratorINS9_11use_defaultEEEyNS9_4plusIvEEyEEDaPvRmT3_T4_T5_mT6_P12ihipStream_tbENKUlT_T0_E_clISt17integral_constantIbLb1EESW_IbLb0EEEEDaSS_ST_EUlSS_E0_NS1_11comp_targetILNS1_3genE3ELNS1_11target_archE908ELNS1_3gpuE7ELNS1_3repE0EEENS1_30default_config_static_selectorELNS0_4arch9wavefront6targetE1EEEvT1_,"axG",@progbits,_ZN7rocprim17ROCPRIM_400000_NS6detail17trampoline_kernelINS0_14default_configENS1_20scan_config_selectorIyEEZZNS1_9scan_implILNS1_25lookback_scan_determinismE0ELb1ELb1ES3_N6thrust23THRUST_200600_302600_NS6detail15normal_iteratorINS9_10device_ptrIyEEEENS9_16discard_iteratorINS9_11use_defaultEEEyNS9_4plusIvEEyEEDaPvRmT3_T4_T5_mT6_P12ihipStream_tbENKUlT_T0_E_clISt17integral_constantIbLb1EESW_IbLb0EEEEDaSS_ST_EUlSS_E0_NS1_11comp_targetILNS1_3genE3ELNS1_11target_archE908ELNS1_3gpuE7ELNS1_3repE0EEENS1_30default_config_static_selectorELNS0_4arch9wavefront6targetE1EEEvT1_,comdat
.Lfunc_end5270:
	.size	_ZN7rocprim17ROCPRIM_400000_NS6detail17trampoline_kernelINS0_14default_configENS1_20scan_config_selectorIyEEZZNS1_9scan_implILNS1_25lookback_scan_determinismE0ELb1ELb1ES3_N6thrust23THRUST_200600_302600_NS6detail15normal_iteratorINS9_10device_ptrIyEEEENS9_16discard_iteratorINS9_11use_defaultEEEyNS9_4plusIvEEyEEDaPvRmT3_T4_T5_mT6_P12ihipStream_tbENKUlT_T0_E_clISt17integral_constantIbLb1EESW_IbLb0EEEEDaSS_ST_EUlSS_E0_NS1_11comp_targetILNS1_3genE3ELNS1_11target_archE908ELNS1_3gpuE7ELNS1_3repE0EEENS1_30default_config_static_selectorELNS0_4arch9wavefront6targetE1EEEvT1_, .Lfunc_end5270-_ZN7rocprim17ROCPRIM_400000_NS6detail17trampoline_kernelINS0_14default_configENS1_20scan_config_selectorIyEEZZNS1_9scan_implILNS1_25lookback_scan_determinismE0ELb1ELb1ES3_N6thrust23THRUST_200600_302600_NS6detail15normal_iteratorINS9_10device_ptrIyEEEENS9_16discard_iteratorINS9_11use_defaultEEEyNS9_4plusIvEEyEEDaPvRmT3_T4_T5_mT6_P12ihipStream_tbENKUlT_T0_E_clISt17integral_constantIbLb1EESW_IbLb0EEEEDaSS_ST_EUlSS_E0_NS1_11comp_targetILNS1_3genE3ELNS1_11target_archE908ELNS1_3gpuE7ELNS1_3repE0EEENS1_30default_config_static_selectorELNS0_4arch9wavefront6targetE1EEEvT1_
                                        ; -- End function
	.section	.AMDGPU.csdata,"",@progbits
; Kernel info:
; codeLenInByte = 0
; NumSgprs: 4
; NumVgprs: 0
; NumAgprs: 0
; TotalNumVgprs: 0
; ScratchSize: 0
; MemoryBound: 0
; FloatMode: 240
; IeeeMode: 1
; LDSByteSize: 0 bytes/workgroup (compile time only)
; SGPRBlocks: 0
; VGPRBlocks: 0
; NumSGPRsForWavesPerEU: 4
; NumVGPRsForWavesPerEU: 1
; AccumOffset: 4
; Occupancy: 8
; WaveLimiterHint : 0
; COMPUTE_PGM_RSRC2:SCRATCH_EN: 0
; COMPUTE_PGM_RSRC2:USER_SGPR: 6
; COMPUTE_PGM_RSRC2:TRAP_HANDLER: 0
; COMPUTE_PGM_RSRC2:TGID_X_EN: 1
; COMPUTE_PGM_RSRC2:TGID_Y_EN: 0
; COMPUTE_PGM_RSRC2:TGID_Z_EN: 0
; COMPUTE_PGM_RSRC2:TIDIG_COMP_CNT: 0
; COMPUTE_PGM_RSRC3_GFX90A:ACCUM_OFFSET: 0
; COMPUTE_PGM_RSRC3_GFX90A:TG_SPLIT: 0
	.section	.text._ZN7rocprim17ROCPRIM_400000_NS6detail17trampoline_kernelINS0_14default_configENS1_20scan_config_selectorIyEEZZNS1_9scan_implILNS1_25lookback_scan_determinismE0ELb1ELb1ES3_N6thrust23THRUST_200600_302600_NS6detail15normal_iteratorINS9_10device_ptrIyEEEENS9_16discard_iteratorINS9_11use_defaultEEEyNS9_4plusIvEEyEEDaPvRmT3_T4_T5_mT6_P12ihipStream_tbENKUlT_T0_E_clISt17integral_constantIbLb1EESW_IbLb0EEEEDaSS_ST_EUlSS_E0_NS1_11comp_targetILNS1_3genE2ELNS1_11target_archE906ELNS1_3gpuE6ELNS1_3repE0EEENS1_30default_config_static_selectorELNS0_4arch9wavefront6targetE1EEEvT1_,"axG",@progbits,_ZN7rocprim17ROCPRIM_400000_NS6detail17trampoline_kernelINS0_14default_configENS1_20scan_config_selectorIyEEZZNS1_9scan_implILNS1_25lookback_scan_determinismE0ELb1ELb1ES3_N6thrust23THRUST_200600_302600_NS6detail15normal_iteratorINS9_10device_ptrIyEEEENS9_16discard_iteratorINS9_11use_defaultEEEyNS9_4plusIvEEyEEDaPvRmT3_T4_T5_mT6_P12ihipStream_tbENKUlT_T0_E_clISt17integral_constantIbLb1EESW_IbLb0EEEEDaSS_ST_EUlSS_E0_NS1_11comp_targetILNS1_3genE2ELNS1_11target_archE906ELNS1_3gpuE6ELNS1_3repE0EEENS1_30default_config_static_selectorELNS0_4arch9wavefront6targetE1EEEvT1_,comdat
	.protected	_ZN7rocprim17ROCPRIM_400000_NS6detail17trampoline_kernelINS0_14default_configENS1_20scan_config_selectorIyEEZZNS1_9scan_implILNS1_25lookback_scan_determinismE0ELb1ELb1ES3_N6thrust23THRUST_200600_302600_NS6detail15normal_iteratorINS9_10device_ptrIyEEEENS9_16discard_iteratorINS9_11use_defaultEEEyNS9_4plusIvEEyEEDaPvRmT3_T4_T5_mT6_P12ihipStream_tbENKUlT_T0_E_clISt17integral_constantIbLb1EESW_IbLb0EEEEDaSS_ST_EUlSS_E0_NS1_11comp_targetILNS1_3genE2ELNS1_11target_archE906ELNS1_3gpuE6ELNS1_3repE0EEENS1_30default_config_static_selectorELNS0_4arch9wavefront6targetE1EEEvT1_ ; -- Begin function _ZN7rocprim17ROCPRIM_400000_NS6detail17trampoline_kernelINS0_14default_configENS1_20scan_config_selectorIyEEZZNS1_9scan_implILNS1_25lookback_scan_determinismE0ELb1ELb1ES3_N6thrust23THRUST_200600_302600_NS6detail15normal_iteratorINS9_10device_ptrIyEEEENS9_16discard_iteratorINS9_11use_defaultEEEyNS9_4plusIvEEyEEDaPvRmT3_T4_T5_mT6_P12ihipStream_tbENKUlT_T0_E_clISt17integral_constantIbLb1EESW_IbLb0EEEEDaSS_ST_EUlSS_E0_NS1_11comp_targetILNS1_3genE2ELNS1_11target_archE906ELNS1_3gpuE6ELNS1_3repE0EEENS1_30default_config_static_selectorELNS0_4arch9wavefront6targetE1EEEvT1_
	.globl	_ZN7rocprim17ROCPRIM_400000_NS6detail17trampoline_kernelINS0_14default_configENS1_20scan_config_selectorIyEEZZNS1_9scan_implILNS1_25lookback_scan_determinismE0ELb1ELb1ES3_N6thrust23THRUST_200600_302600_NS6detail15normal_iteratorINS9_10device_ptrIyEEEENS9_16discard_iteratorINS9_11use_defaultEEEyNS9_4plusIvEEyEEDaPvRmT3_T4_T5_mT6_P12ihipStream_tbENKUlT_T0_E_clISt17integral_constantIbLb1EESW_IbLb0EEEEDaSS_ST_EUlSS_E0_NS1_11comp_targetILNS1_3genE2ELNS1_11target_archE906ELNS1_3gpuE6ELNS1_3repE0EEENS1_30default_config_static_selectorELNS0_4arch9wavefront6targetE1EEEvT1_
	.p2align	8
	.type	_ZN7rocprim17ROCPRIM_400000_NS6detail17trampoline_kernelINS0_14default_configENS1_20scan_config_selectorIyEEZZNS1_9scan_implILNS1_25lookback_scan_determinismE0ELb1ELb1ES3_N6thrust23THRUST_200600_302600_NS6detail15normal_iteratorINS9_10device_ptrIyEEEENS9_16discard_iteratorINS9_11use_defaultEEEyNS9_4plusIvEEyEEDaPvRmT3_T4_T5_mT6_P12ihipStream_tbENKUlT_T0_E_clISt17integral_constantIbLb1EESW_IbLb0EEEEDaSS_ST_EUlSS_E0_NS1_11comp_targetILNS1_3genE2ELNS1_11target_archE906ELNS1_3gpuE6ELNS1_3repE0EEENS1_30default_config_static_selectorELNS0_4arch9wavefront6targetE1EEEvT1_,@function
_ZN7rocprim17ROCPRIM_400000_NS6detail17trampoline_kernelINS0_14default_configENS1_20scan_config_selectorIyEEZZNS1_9scan_implILNS1_25lookback_scan_determinismE0ELb1ELb1ES3_N6thrust23THRUST_200600_302600_NS6detail15normal_iteratorINS9_10device_ptrIyEEEENS9_16discard_iteratorINS9_11use_defaultEEEyNS9_4plusIvEEyEEDaPvRmT3_T4_T5_mT6_P12ihipStream_tbENKUlT_T0_E_clISt17integral_constantIbLb1EESW_IbLb0EEEEDaSS_ST_EUlSS_E0_NS1_11comp_targetILNS1_3genE2ELNS1_11target_archE906ELNS1_3gpuE6ELNS1_3repE0EEENS1_30default_config_static_selectorELNS0_4arch9wavefront6targetE1EEEvT1_: ; @_ZN7rocprim17ROCPRIM_400000_NS6detail17trampoline_kernelINS0_14default_configENS1_20scan_config_selectorIyEEZZNS1_9scan_implILNS1_25lookback_scan_determinismE0ELb1ELb1ES3_N6thrust23THRUST_200600_302600_NS6detail15normal_iteratorINS9_10device_ptrIyEEEENS9_16discard_iteratorINS9_11use_defaultEEEyNS9_4plusIvEEyEEDaPvRmT3_T4_T5_mT6_P12ihipStream_tbENKUlT_T0_E_clISt17integral_constantIbLb1EESW_IbLb0EEEEDaSS_ST_EUlSS_E0_NS1_11comp_targetILNS1_3genE2ELNS1_11target_archE906ELNS1_3gpuE6ELNS1_3repE0EEENS1_30default_config_static_selectorELNS0_4arch9wavefront6targetE1EEEvT1_
; %bb.0:
	.section	.rodata,"a",@progbits
	.p2align	6, 0x0
	.amdhsa_kernel _ZN7rocprim17ROCPRIM_400000_NS6detail17trampoline_kernelINS0_14default_configENS1_20scan_config_selectorIyEEZZNS1_9scan_implILNS1_25lookback_scan_determinismE0ELb1ELb1ES3_N6thrust23THRUST_200600_302600_NS6detail15normal_iteratorINS9_10device_ptrIyEEEENS9_16discard_iteratorINS9_11use_defaultEEEyNS9_4plusIvEEyEEDaPvRmT3_T4_T5_mT6_P12ihipStream_tbENKUlT_T0_E_clISt17integral_constantIbLb1EESW_IbLb0EEEEDaSS_ST_EUlSS_E0_NS1_11comp_targetILNS1_3genE2ELNS1_11target_archE906ELNS1_3gpuE6ELNS1_3repE0EEENS1_30default_config_static_selectorELNS0_4arch9wavefront6targetE1EEEvT1_
		.amdhsa_group_segment_fixed_size 0
		.amdhsa_private_segment_fixed_size 0
		.amdhsa_kernarg_size 48
		.amdhsa_user_sgpr_count 6
		.amdhsa_user_sgpr_private_segment_buffer 1
		.amdhsa_user_sgpr_dispatch_ptr 0
		.amdhsa_user_sgpr_queue_ptr 0
		.amdhsa_user_sgpr_kernarg_segment_ptr 1
		.amdhsa_user_sgpr_dispatch_id 0
		.amdhsa_user_sgpr_flat_scratch_init 0
		.amdhsa_user_sgpr_kernarg_preload_length 0
		.amdhsa_user_sgpr_kernarg_preload_offset 0
		.amdhsa_user_sgpr_private_segment_size 0
		.amdhsa_uses_dynamic_stack 0
		.amdhsa_system_sgpr_private_segment_wavefront_offset 0
		.amdhsa_system_sgpr_workgroup_id_x 1
		.amdhsa_system_sgpr_workgroup_id_y 0
		.amdhsa_system_sgpr_workgroup_id_z 0
		.amdhsa_system_sgpr_workgroup_info 0
		.amdhsa_system_vgpr_workitem_id 0
		.amdhsa_next_free_vgpr 1
		.amdhsa_next_free_sgpr 0
		.amdhsa_accum_offset 4
		.amdhsa_reserve_vcc 0
		.amdhsa_reserve_flat_scratch 0
		.amdhsa_float_round_mode_32 0
		.amdhsa_float_round_mode_16_64 0
		.amdhsa_float_denorm_mode_32 3
		.amdhsa_float_denorm_mode_16_64 3
		.amdhsa_dx10_clamp 1
		.amdhsa_ieee_mode 1
		.amdhsa_fp16_overflow 0
		.amdhsa_tg_split 0
		.amdhsa_exception_fp_ieee_invalid_op 0
		.amdhsa_exception_fp_denorm_src 0
		.amdhsa_exception_fp_ieee_div_zero 0
		.amdhsa_exception_fp_ieee_overflow 0
		.amdhsa_exception_fp_ieee_underflow 0
		.amdhsa_exception_fp_ieee_inexact 0
		.amdhsa_exception_int_div_zero 0
	.end_amdhsa_kernel
	.section	.text._ZN7rocprim17ROCPRIM_400000_NS6detail17trampoline_kernelINS0_14default_configENS1_20scan_config_selectorIyEEZZNS1_9scan_implILNS1_25lookback_scan_determinismE0ELb1ELb1ES3_N6thrust23THRUST_200600_302600_NS6detail15normal_iteratorINS9_10device_ptrIyEEEENS9_16discard_iteratorINS9_11use_defaultEEEyNS9_4plusIvEEyEEDaPvRmT3_T4_T5_mT6_P12ihipStream_tbENKUlT_T0_E_clISt17integral_constantIbLb1EESW_IbLb0EEEEDaSS_ST_EUlSS_E0_NS1_11comp_targetILNS1_3genE2ELNS1_11target_archE906ELNS1_3gpuE6ELNS1_3repE0EEENS1_30default_config_static_selectorELNS0_4arch9wavefront6targetE1EEEvT1_,"axG",@progbits,_ZN7rocprim17ROCPRIM_400000_NS6detail17trampoline_kernelINS0_14default_configENS1_20scan_config_selectorIyEEZZNS1_9scan_implILNS1_25lookback_scan_determinismE0ELb1ELb1ES3_N6thrust23THRUST_200600_302600_NS6detail15normal_iteratorINS9_10device_ptrIyEEEENS9_16discard_iteratorINS9_11use_defaultEEEyNS9_4plusIvEEyEEDaPvRmT3_T4_T5_mT6_P12ihipStream_tbENKUlT_T0_E_clISt17integral_constantIbLb1EESW_IbLb0EEEEDaSS_ST_EUlSS_E0_NS1_11comp_targetILNS1_3genE2ELNS1_11target_archE906ELNS1_3gpuE6ELNS1_3repE0EEENS1_30default_config_static_selectorELNS0_4arch9wavefront6targetE1EEEvT1_,comdat
.Lfunc_end5271:
	.size	_ZN7rocprim17ROCPRIM_400000_NS6detail17trampoline_kernelINS0_14default_configENS1_20scan_config_selectorIyEEZZNS1_9scan_implILNS1_25lookback_scan_determinismE0ELb1ELb1ES3_N6thrust23THRUST_200600_302600_NS6detail15normal_iteratorINS9_10device_ptrIyEEEENS9_16discard_iteratorINS9_11use_defaultEEEyNS9_4plusIvEEyEEDaPvRmT3_T4_T5_mT6_P12ihipStream_tbENKUlT_T0_E_clISt17integral_constantIbLb1EESW_IbLb0EEEEDaSS_ST_EUlSS_E0_NS1_11comp_targetILNS1_3genE2ELNS1_11target_archE906ELNS1_3gpuE6ELNS1_3repE0EEENS1_30default_config_static_selectorELNS0_4arch9wavefront6targetE1EEEvT1_, .Lfunc_end5271-_ZN7rocprim17ROCPRIM_400000_NS6detail17trampoline_kernelINS0_14default_configENS1_20scan_config_selectorIyEEZZNS1_9scan_implILNS1_25lookback_scan_determinismE0ELb1ELb1ES3_N6thrust23THRUST_200600_302600_NS6detail15normal_iteratorINS9_10device_ptrIyEEEENS9_16discard_iteratorINS9_11use_defaultEEEyNS9_4plusIvEEyEEDaPvRmT3_T4_T5_mT6_P12ihipStream_tbENKUlT_T0_E_clISt17integral_constantIbLb1EESW_IbLb0EEEEDaSS_ST_EUlSS_E0_NS1_11comp_targetILNS1_3genE2ELNS1_11target_archE906ELNS1_3gpuE6ELNS1_3repE0EEENS1_30default_config_static_selectorELNS0_4arch9wavefront6targetE1EEEvT1_
                                        ; -- End function
	.section	.AMDGPU.csdata,"",@progbits
; Kernel info:
; codeLenInByte = 0
; NumSgprs: 4
; NumVgprs: 0
; NumAgprs: 0
; TotalNumVgprs: 0
; ScratchSize: 0
; MemoryBound: 0
; FloatMode: 240
; IeeeMode: 1
; LDSByteSize: 0 bytes/workgroup (compile time only)
; SGPRBlocks: 0
; VGPRBlocks: 0
; NumSGPRsForWavesPerEU: 4
; NumVGPRsForWavesPerEU: 1
; AccumOffset: 4
; Occupancy: 8
; WaveLimiterHint : 0
; COMPUTE_PGM_RSRC2:SCRATCH_EN: 0
; COMPUTE_PGM_RSRC2:USER_SGPR: 6
; COMPUTE_PGM_RSRC2:TRAP_HANDLER: 0
; COMPUTE_PGM_RSRC2:TGID_X_EN: 1
; COMPUTE_PGM_RSRC2:TGID_Y_EN: 0
; COMPUTE_PGM_RSRC2:TGID_Z_EN: 0
; COMPUTE_PGM_RSRC2:TIDIG_COMP_CNT: 0
; COMPUTE_PGM_RSRC3_GFX90A:ACCUM_OFFSET: 0
; COMPUTE_PGM_RSRC3_GFX90A:TG_SPLIT: 0
	.section	.text._ZN7rocprim17ROCPRIM_400000_NS6detail17trampoline_kernelINS0_14default_configENS1_20scan_config_selectorIyEEZZNS1_9scan_implILNS1_25lookback_scan_determinismE0ELb1ELb1ES3_N6thrust23THRUST_200600_302600_NS6detail15normal_iteratorINS9_10device_ptrIyEEEENS9_16discard_iteratorINS9_11use_defaultEEEyNS9_4plusIvEEyEEDaPvRmT3_T4_T5_mT6_P12ihipStream_tbENKUlT_T0_E_clISt17integral_constantIbLb1EESW_IbLb0EEEEDaSS_ST_EUlSS_E0_NS1_11comp_targetILNS1_3genE10ELNS1_11target_archE1201ELNS1_3gpuE5ELNS1_3repE0EEENS1_30default_config_static_selectorELNS0_4arch9wavefront6targetE1EEEvT1_,"axG",@progbits,_ZN7rocprim17ROCPRIM_400000_NS6detail17trampoline_kernelINS0_14default_configENS1_20scan_config_selectorIyEEZZNS1_9scan_implILNS1_25lookback_scan_determinismE0ELb1ELb1ES3_N6thrust23THRUST_200600_302600_NS6detail15normal_iteratorINS9_10device_ptrIyEEEENS9_16discard_iteratorINS9_11use_defaultEEEyNS9_4plusIvEEyEEDaPvRmT3_T4_T5_mT6_P12ihipStream_tbENKUlT_T0_E_clISt17integral_constantIbLb1EESW_IbLb0EEEEDaSS_ST_EUlSS_E0_NS1_11comp_targetILNS1_3genE10ELNS1_11target_archE1201ELNS1_3gpuE5ELNS1_3repE0EEENS1_30default_config_static_selectorELNS0_4arch9wavefront6targetE1EEEvT1_,comdat
	.protected	_ZN7rocprim17ROCPRIM_400000_NS6detail17trampoline_kernelINS0_14default_configENS1_20scan_config_selectorIyEEZZNS1_9scan_implILNS1_25lookback_scan_determinismE0ELb1ELb1ES3_N6thrust23THRUST_200600_302600_NS6detail15normal_iteratorINS9_10device_ptrIyEEEENS9_16discard_iteratorINS9_11use_defaultEEEyNS9_4plusIvEEyEEDaPvRmT3_T4_T5_mT6_P12ihipStream_tbENKUlT_T0_E_clISt17integral_constantIbLb1EESW_IbLb0EEEEDaSS_ST_EUlSS_E0_NS1_11comp_targetILNS1_3genE10ELNS1_11target_archE1201ELNS1_3gpuE5ELNS1_3repE0EEENS1_30default_config_static_selectorELNS0_4arch9wavefront6targetE1EEEvT1_ ; -- Begin function _ZN7rocprim17ROCPRIM_400000_NS6detail17trampoline_kernelINS0_14default_configENS1_20scan_config_selectorIyEEZZNS1_9scan_implILNS1_25lookback_scan_determinismE0ELb1ELb1ES3_N6thrust23THRUST_200600_302600_NS6detail15normal_iteratorINS9_10device_ptrIyEEEENS9_16discard_iteratorINS9_11use_defaultEEEyNS9_4plusIvEEyEEDaPvRmT3_T4_T5_mT6_P12ihipStream_tbENKUlT_T0_E_clISt17integral_constantIbLb1EESW_IbLb0EEEEDaSS_ST_EUlSS_E0_NS1_11comp_targetILNS1_3genE10ELNS1_11target_archE1201ELNS1_3gpuE5ELNS1_3repE0EEENS1_30default_config_static_selectorELNS0_4arch9wavefront6targetE1EEEvT1_
	.globl	_ZN7rocprim17ROCPRIM_400000_NS6detail17trampoline_kernelINS0_14default_configENS1_20scan_config_selectorIyEEZZNS1_9scan_implILNS1_25lookback_scan_determinismE0ELb1ELb1ES3_N6thrust23THRUST_200600_302600_NS6detail15normal_iteratorINS9_10device_ptrIyEEEENS9_16discard_iteratorINS9_11use_defaultEEEyNS9_4plusIvEEyEEDaPvRmT3_T4_T5_mT6_P12ihipStream_tbENKUlT_T0_E_clISt17integral_constantIbLb1EESW_IbLb0EEEEDaSS_ST_EUlSS_E0_NS1_11comp_targetILNS1_3genE10ELNS1_11target_archE1201ELNS1_3gpuE5ELNS1_3repE0EEENS1_30default_config_static_selectorELNS0_4arch9wavefront6targetE1EEEvT1_
	.p2align	8
	.type	_ZN7rocprim17ROCPRIM_400000_NS6detail17trampoline_kernelINS0_14default_configENS1_20scan_config_selectorIyEEZZNS1_9scan_implILNS1_25lookback_scan_determinismE0ELb1ELb1ES3_N6thrust23THRUST_200600_302600_NS6detail15normal_iteratorINS9_10device_ptrIyEEEENS9_16discard_iteratorINS9_11use_defaultEEEyNS9_4plusIvEEyEEDaPvRmT3_T4_T5_mT6_P12ihipStream_tbENKUlT_T0_E_clISt17integral_constantIbLb1EESW_IbLb0EEEEDaSS_ST_EUlSS_E0_NS1_11comp_targetILNS1_3genE10ELNS1_11target_archE1201ELNS1_3gpuE5ELNS1_3repE0EEENS1_30default_config_static_selectorELNS0_4arch9wavefront6targetE1EEEvT1_,@function
_ZN7rocprim17ROCPRIM_400000_NS6detail17trampoline_kernelINS0_14default_configENS1_20scan_config_selectorIyEEZZNS1_9scan_implILNS1_25lookback_scan_determinismE0ELb1ELb1ES3_N6thrust23THRUST_200600_302600_NS6detail15normal_iteratorINS9_10device_ptrIyEEEENS9_16discard_iteratorINS9_11use_defaultEEEyNS9_4plusIvEEyEEDaPvRmT3_T4_T5_mT6_P12ihipStream_tbENKUlT_T0_E_clISt17integral_constantIbLb1EESW_IbLb0EEEEDaSS_ST_EUlSS_E0_NS1_11comp_targetILNS1_3genE10ELNS1_11target_archE1201ELNS1_3gpuE5ELNS1_3repE0EEENS1_30default_config_static_selectorELNS0_4arch9wavefront6targetE1EEEvT1_: ; @_ZN7rocprim17ROCPRIM_400000_NS6detail17trampoline_kernelINS0_14default_configENS1_20scan_config_selectorIyEEZZNS1_9scan_implILNS1_25lookback_scan_determinismE0ELb1ELb1ES3_N6thrust23THRUST_200600_302600_NS6detail15normal_iteratorINS9_10device_ptrIyEEEENS9_16discard_iteratorINS9_11use_defaultEEEyNS9_4plusIvEEyEEDaPvRmT3_T4_T5_mT6_P12ihipStream_tbENKUlT_T0_E_clISt17integral_constantIbLb1EESW_IbLb0EEEEDaSS_ST_EUlSS_E0_NS1_11comp_targetILNS1_3genE10ELNS1_11target_archE1201ELNS1_3gpuE5ELNS1_3repE0EEENS1_30default_config_static_selectorELNS0_4arch9wavefront6targetE1EEEvT1_
; %bb.0:
	.section	.rodata,"a",@progbits
	.p2align	6, 0x0
	.amdhsa_kernel _ZN7rocprim17ROCPRIM_400000_NS6detail17trampoline_kernelINS0_14default_configENS1_20scan_config_selectorIyEEZZNS1_9scan_implILNS1_25lookback_scan_determinismE0ELb1ELb1ES3_N6thrust23THRUST_200600_302600_NS6detail15normal_iteratorINS9_10device_ptrIyEEEENS9_16discard_iteratorINS9_11use_defaultEEEyNS9_4plusIvEEyEEDaPvRmT3_T4_T5_mT6_P12ihipStream_tbENKUlT_T0_E_clISt17integral_constantIbLb1EESW_IbLb0EEEEDaSS_ST_EUlSS_E0_NS1_11comp_targetILNS1_3genE10ELNS1_11target_archE1201ELNS1_3gpuE5ELNS1_3repE0EEENS1_30default_config_static_selectorELNS0_4arch9wavefront6targetE1EEEvT1_
		.amdhsa_group_segment_fixed_size 0
		.amdhsa_private_segment_fixed_size 0
		.amdhsa_kernarg_size 48
		.amdhsa_user_sgpr_count 6
		.amdhsa_user_sgpr_private_segment_buffer 1
		.amdhsa_user_sgpr_dispatch_ptr 0
		.amdhsa_user_sgpr_queue_ptr 0
		.amdhsa_user_sgpr_kernarg_segment_ptr 1
		.amdhsa_user_sgpr_dispatch_id 0
		.amdhsa_user_sgpr_flat_scratch_init 0
		.amdhsa_user_sgpr_kernarg_preload_length 0
		.amdhsa_user_sgpr_kernarg_preload_offset 0
		.amdhsa_user_sgpr_private_segment_size 0
		.amdhsa_uses_dynamic_stack 0
		.amdhsa_system_sgpr_private_segment_wavefront_offset 0
		.amdhsa_system_sgpr_workgroup_id_x 1
		.amdhsa_system_sgpr_workgroup_id_y 0
		.amdhsa_system_sgpr_workgroup_id_z 0
		.amdhsa_system_sgpr_workgroup_info 0
		.amdhsa_system_vgpr_workitem_id 0
		.amdhsa_next_free_vgpr 1
		.amdhsa_next_free_sgpr 0
		.amdhsa_accum_offset 4
		.amdhsa_reserve_vcc 0
		.amdhsa_reserve_flat_scratch 0
		.amdhsa_float_round_mode_32 0
		.amdhsa_float_round_mode_16_64 0
		.amdhsa_float_denorm_mode_32 3
		.amdhsa_float_denorm_mode_16_64 3
		.amdhsa_dx10_clamp 1
		.amdhsa_ieee_mode 1
		.amdhsa_fp16_overflow 0
		.amdhsa_tg_split 0
		.amdhsa_exception_fp_ieee_invalid_op 0
		.amdhsa_exception_fp_denorm_src 0
		.amdhsa_exception_fp_ieee_div_zero 0
		.amdhsa_exception_fp_ieee_overflow 0
		.amdhsa_exception_fp_ieee_underflow 0
		.amdhsa_exception_fp_ieee_inexact 0
		.amdhsa_exception_int_div_zero 0
	.end_amdhsa_kernel
	.section	.text._ZN7rocprim17ROCPRIM_400000_NS6detail17trampoline_kernelINS0_14default_configENS1_20scan_config_selectorIyEEZZNS1_9scan_implILNS1_25lookback_scan_determinismE0ELb1ELb1ES3_N6thrust23THRUST_200600_302600_NS6detail15normal_iteratorINS9_10device_ptrIyEEEENS9_16discard_iteratorINS9_11use_defaultEEEyNS9_4plusIvEEyEEDaPvRmT3_T4_T5_mT6_P12ihipStream_tbENKUlT_T0_E_clISt17integral_constantIbLb1EESW_IbLb0EEEEDaSS_ST_EUlSS_E0_NS1_11comp_targetILNS1_3genE10ELNS1_11target_archE1201ELNS1_3gpuE5ELNS1_3repE0EEENS1_30default_config_static_selectorELNS0_4arch9wavefront6targetE1EEEvT1_,"axG",@progbits,_ZN7rocprim17ROCPRIM_400000_NS6detail17trampoline_kernelINS0_14default_configENS1_20scan_config_selectorIyEEZZNS1_9scan_implILNS1_25lookback_scan_determinismE0ELb1ELb1ES3_N6thrust23THRUST_200600_302600_NS6detail15normal_iteratorINS9_10device_ptrIyEEEENS9_16discard_iteratorINS9_11use_defaultEEEyNS9_4plusIvEEyEEDaPvRmT3_T4_T5_mT6_P12ihipStream_tbENKUlT_T0_E_clISt17integral_constantIbLb1EESW_IbLb0EEEEDaSS_ST_EUlSS_E0_NS1_11comp_targetILNS1_3genE10ELNS1_11target_archE1201ELNS1_3gpuE5ELNS1_3repE0EEENS1_30default_config_static_selectorELNS0_4arch9wavefront6targetE1EEEvT1_,comdat
.Lfunc_end5272:
	.size	_ZN7rocprim17ROCPRIM_400000_NS6detail17trampoline_kernelINS0_14default_configENS1_20scan_config_selectorIyEEZZNS1_9scan_implILNS1_25lookback_scan_determinismE0ELb1ELb1ES3_N6thrust23THRUST_200600_302600_NS6detail15normal_iteratorINS9_10device_ptrIyEEEENS9_16discard_iteratorINS9_11use_defaultEEEyNS9_4plusIvEEyEEDaPvRmT3_T4_T5_mT6_P12ihipStream_tbENKUlT_T0_E_clISt17integral_constantIbLb1EESW_IbLb0EEEEDaSS_ST_EUlSS_E0_NS1_11comp_targetILNS1_3genE10ELNS1_11target_archE1201ELNS1_3gpuE5ELNS1_3repE0EEENS1_30default_config_static_selectorELNS0_4arch9wavefront6targetE1EEEvT1_, .Lfunc_end5272-_ZN7rocprim17ROCPRIM_400000_NS6detail17trampoline_kernelINS0_14default_configENS1_20scan_config_selectorIyEEZZNS1_9scan_implILNS1_25lookback_scan_determinismE0ELb1ELb1ES3_N6thrust23THRUST_200600_302600_NS6detail15normal_iteratorINS9_10device_ptrIyEEEENS9_16discard_iteratorINS9_11use_defaultEEEyNS9_4plusIvEEyEEDaPvRmT3_T4_T5_mT6_P12ihipStream_tbENKUlT_T0_E_clISt17integral_constantIbLb1EESW_IbLb0EEEEDaSS_ST_EUlSS_E0_NS1_11comp_targetILNS1_3genE10ELNS1_11target_archE1201ELNS1_3gpuE5ELNS1_3repE0EEENS1_30default_config_static_selectorELNS0_4arch9wavefront6targetE1EEEvT1_
                                        ; -- End function
	.section	.AMDGPU.csdata,"",@progbits
; Kernel info:
; codeLenInByte = 0
; NumSgprs: 4
; NumVgprs: 0
; NumAgprs: 0
; TotalNumVgprs: 0
; ScratchSize: 0
; MemoryBound: 0
; FloatMode: 240
; IeeeMode: 1
; LDSByteSize: 0 bytes/workgroup (compile time only)
; SGPRBlocks: 0
; VGPRBlocks: 0
; NumSGPRsForWavesPerEU: 4
; NumVGPRsForWavesPerEU: 1
; AccumOffset: 4
; Occupancy: 8
; WaveLimiterHint : 0
; COMPUTE_PGM_RSRC2:SCRATCH_EN: 0
; COMPUTE_PGM_RSRC2:USER_SGPR: 6
; COMPUTE_PGM_RSRC2:TRAP_HANDLER: 0
; COMPUTE_PGM_RSRC2:TGID_X_EN: 1
; COMPUTE_PGM_RSRC2:TGID_Y_EN: 0
; COMPUTE_PGM_RSRC2:TGID_Z_EN: 0
; COMPUTE_PGM_RSRC2:TIDIG_COMP_CNT: 0
; COMPUTE_PGM_RSRC3_GFX90A:ACCUM_OFFSET: 0
; COMPUTE_PGM_RSRC3_GFX90A:TG_SPLIT: 0
	.section	.text._ZN7rocprim17ROCPRIM_400000_NS6detail17trampoline_kernelINS0_14default_configENS1_20scan_config_selectorIyEEZZNS1_9scan_implILNS1_25lookback_scan_determinismE0ELb1ELb1ES3_N6thrust23THRUST_200600_302600_NS6detail15normal_iteratorINS9_10device_ptrIyEEEENS9_16discard_iteratorINS9_11use_defaultEEEyNS9_4plusIvEEyEEDaPvRmT3_T4_T5_mT6_P12ihipStream_tbENKUlT_T0_E_clISt17integral_constantIbLb1EESW_IbLb0EEEEDaSS_ST_EUlSS_E0_NS1_11comp_targetILNS1_3genE10ELNS1_11target_archE1200ELNS1_3gpuE4ELNS1_3repE0EEENS1_30default_config_static_selectorELNS0_4arch9wavefront6targetE1EEEvT1_,"axG",@progbits,_ZN7rocprim17ROCPRIM_400000_NS6detail17trampoline_kernelINS0_14default_configENS1_20scan_config_selectorIyEEZZNS1_9scan_implILNS1_25lookback_scan_determinismE0ELb1ELb1ES3_N6thrust23THRUST_200600_302600_NS6detail15normal_iteratorINS9_10device_ptrIyEEEENS9_16discard_iteratorINS9_11use_defaultEEEyNS9_4plusIvEEyEEDaPvRmT3_T4_T5_mT6_P12ihipStream_tbENKUlT_T0_E_clISt17integral_constantIbLb1EESW_IbLb0EEEEDaSS_ST_EUlSS_E0_NS1_11comp_targetILNS1_3genE10ELNS1_11target_archE1200ELNS1_3gpuE4ELNS1_3repE0EEENS1_30default_config_static_selectorELNS0_4arch9wavefront6targetE1EEEvT1_,comdat
	.protected	_ZN7rocprim17ROCPRIM_400000_NS6detail17trampoline_kernelINS0_14default_configENS1_20scan_config_selectorIyEEZZNS1_9scan_implILNS1_25lookback_scan_determinismE0ELb1ELb1ES3_N6thrust23THRUST_200600_302600_NS6detail15normal_iteratorINS9_10device_ptrIyEEEENS9_16discard_iteratorINS9_11use_defaultEEEyNS9_4plusIvEEyEEDaPvRmT3_T4_T5_mT6_P12ihipStream_tbENKUlT_T0_E_clISt17integral_constantIbLb1EESW_IbLb0EEEEDaSS_ST_EUlSS_E0_NS1_11comp_targetILNS1_3genE10ELNS1_11target_archE1200ELNS1_3gpuE4ELNS1_3repE0EEENS1_30default_config_static_selectorELNS0_4arch9wavefront6targetE1EEEvT1_ ; -- Begin function _ZN7rocprim17ROCPRIM_400000_NS6detail17trampoline_kernelINS0_14default_configENS1_20scan_config_selectorIyEEZZNS1_9scan_implILNS1_25lookback_scan_determinismE0ELb1ELb1ES3_N6thrust23THRUST_200600_302600_NS6detail15normal_iteratorINS9_10device_ptrIyEEEENS9_16discard_iteratorINS9_11use_defaultEEEyNS9_4plusIvEEyEEDaPvRmT3_T4_T5_mT6_P12ihipStream_tbENKUlT_T0_E_clISt17integral_constantIbLb1EESW_IbLb0EEEEDaSS_ST_EUlSS_E0_NS1_11comp_targetILNS1_3genE10ELNS1_11target_archE1200ELNS1_3gpuE4ELNS1_3repE0EEENS1_30default_config_static_selectorELNS0_4arch9wavefront6targetE1EEEvT1_
	.globl	_ZN7rocprim17ROCPRIM_400000_NS6detail17trampoline_kernelINS0_14default_configENS1_20scan_config_selectorIyEEZZNS1_9scan_implILNS1_25lookback_scan_determinismE0ELb1ELb1ES3_N6thrust23THRUST_200600_302600_NS6detail15normal_iteratorINS9_10device_ptrIyEEEENS9_16discard_iteratorINS9_11use_defaultEEEyNS9_4plusIvEEyEEDaPvRmT3_T4_T5_mT6_P12ihipStream_tbENKUlT_T0_E_clISt17integral_constantIbLb1EESW_IbLb0EEEEDaSS_ST_EUlSS_E0_NS1_11comp_targetILNS1_3genE10ELNS1_11target_archE1200ELNS1_3gpuE4ELNS1_3repE0EEENS1_30default_config_static_selectorELNS0_4arch9wavefront6targetE1EEEvT1_
	.p2align	8
	.type	_ZN7rocprim17ROCPRIM_400000_NS6detail17trampoline_kernelINS0_14default_configENS1_20scan_config_selectorIyEEZZNS1_9scan_implILNS1_25lookback_scan_determinismE0ELb1ELb1ES3_N6thrust23THRUST_200600_302600_NS6detail15normal_iteratorINS9_10device_ptrIyEEEENS9_16discard_iteratorINS9_11use_defaultEEEyNS9_4plusIvEEyEEDaPvRmT3_T4_T5_mT6_P12ihipStream_tbENKUlT_T0_E_clISt17integral_constantIbLb1EESW_IbLb0EEEEDaSS_ST_EUlSS_E0_NS1_11comp_targetILNS1_3genE10ELNS1_11target_archE1200ELNS1_3gpuE4ELNS1_3repE0EEENS1_30default_config_static_selectorELNS0_4arch9wavefront6targetE1EEEvT1_,@function
_ZN7rocprim17ROCPRIM_400000_NS6detail17trampoline_kernelINS0_14default_configENS1_20scan_config_selectorIyEEZZNS1_9scan_implILNS1_25lookback_scan_determinismE0ELb1ELb1ES3_N6thrust23THRUST_200600_302600_NS6detail15normal_iteratorINS9_10device_ptrIyEEEENS9_16discard_iteratorINS9_11use_defaultEEEyNS9_4plusIvEEyEEDaPvRmT3_T4_T5_mT6_P12ihipStream_tbENKUlT_T0_E_clISt17integral_constantIbLb1EESW_IbLb0EEEEDaSS_ST_EUlSS_E0_NS1_11comp_targetILNS1_3genE10ELNS1_11target_archE1200ELNS1_3gpuE4ELNS1_3repE0EEENS1_30default_config_static_selectorELNS0_4arch9wavefront6targetE1EEEvT1_: ; @_ZN7rocprim17ROCPRIM_400000_NS6detail17trampoline_kernelINS0_14default_configENS1_20scan_config_selectorIyEEZZNS1_9scan_implILNS1_25lookback_scan_determinismE0ELb1ELb1ES3_N6thrust23THRUST_200600_302600_NS6detail15normal_iteratorINS9_10device_ptrIyEEEENS9_16discard_iteratorINS9_11use_defaultEEEyNS9_4plusIvEEyEEDaPvRmT3_T4_T5_mT6_P12ihipStream_tbENKUlT_T0_E_clISt17integral_constantIbLb1EESW_IbLb0EEEEDaSS_ST_EUlSS_E0_NS1_11comp_targetILNS1_3genE10ELNS1_11target_archE1200ELNS1_3gpuE4ELNS1_3repE0EEENS1_30default_config_static_selectorELNS0_4arch9wavefront6targetE1EEEvT1_
; %bb.0:
	.section	.rodata,"a",@progbits
	.p2align	6, 0x0
	.amdhsa_kernel _ZN7rocprim17ROCPRIM_400000_NS6detail17trampoline_kernelINS0_14default_configENS1_20scan_config_selectorIyEEZZNS1_9scan_implILNS1_25lookback_scan_determinismE0ELb1ELb1ES3_N6thrust23THRUST_200600_302600_NS6detail15normal_iteratorINS9_10device_ptrIyEEEENS9_16discard_iteratorINS9_11use_defaultEEEyNS9_4plusIvEEyEEDaPvRmT3_T4_T5_mT6_P12ihipStream_tbENKUlT_T0_E_clISt17integral_constantIbLb1EESW_IbLb0EEEEDaSS_ST_EUlSS_E0_NS1_11comp_targetILNS1_3genE10ELNS1_11target_archE1200ELNS1_3gpuE4ELNS1_3repE0EEENS1_30default_config_static_selectorELNS0_4arch9wavefront6targetE1EEEvT1_
		.amdhsa_group_segment_fixed_size 0
		.amdhsa_private_segment_fixed_size 0
		.amdhsa_kernarg_size 48
		.amdhsa_user_sgpr_count 6
		.amdhsa_user_sgpr_private_segment_buffer 1
		.amdhsa_user_sgpr_dispatch_ptr 0
		.amdhsa_user_sgpr_queue_ptr 0
		.amdhsa_user_sgpr_kernarg_segment_ptr 1
		.amdhsa_user_sgpr_dispatch_id 0
		.amdhsa_user_sgpr_flat_scratch_init 0
		.amdhsa_user_sgpr_kernarg_preload_length 0
		.amdhsa_user_sgpr_kernarg_preload_offset 0
		.amdhsa_user_sgpr_private_segment_size 0
		.amdhsa_uses_dynamic_stack 0
		.amdhsa_system_sgpr_private_segment_wavefront_offset 0
		.amdhsa_system_sgpr_workgroup_id_x 1
		.amdhsa_system_sgpr_workgroup_id_y 0
		.amdhsa_system_sgpr_workgroup_id_z 0
		.amdhsa_system_sgpr_workgroup_info 0
		.amdhsa_system_vgpr_workitem_id 0
		.amdhsa_next_free_vgpr 1
		.amdhsa_next_free_sgpr 0
		.amdhsa_accum_offset 4
		.amdhsa_reserve_vcc 0
		.amdhsa_reserve_flat_scratch 0
		.amdhsa_float_round_mode_32 0
		.amdhsa_float_round_mode_16_64 0
		.amdhsa_float_denorm_mode_32 3
		.amdhsa_float_denorm_mode_16_64 3
		.amdhsa_dx10_clamp 1
		.amdhsa_ieee_mode 1
		.amdhsa_fp16_overflow 0
		.amdhsa_tg_split 0
		.amdhsa_exception_fp_ieee_invalid_op 0
		.amdhsa_exception_fp_denorm_src 0
		.amdhsa_exception_fp_ieee_div_zero 0
		.amdhsa_exception_fp_ieee_overflow 0
		.amdhsa_exception_fp_ieee_underflow 0
		.amdhsa_exception_fp_ieee_inexact 0
		.amdhsa_exception_int_div_zero 0
	.end_amdhsa_kernel
	.section	.text._ZN7rocprim17ROCPRIM_400000_NS6detail17trampoline_kernelINS0_14default_configENS1_20scan_config_selectorIyEEZZNS1_9scan_implILNS1_25lookback_scan_determinismE0ELb1ELb1ES3_N6thrust23THRUST_200600_302600_NS6detail15normal_iteratorINS9_10device_ptrIyEEEENS9_16discard_iteratorINS9_11use_defaultEEEyNS9_4plusIvEEyEEDaPvRmT3_T4_T5_mT6_P12ihipStream_tbENKUlT_T0_E_clISt17integral_constantIbLb1EESW_IbLb0EEEEDaSS_ST_EUlSS_E0_NS1_11comp_targetILNS1_3genE10ELNS1_11target_archE1200ELNS1_3gpuE4ELNS1_3repE0EEENS1_30default_config_static_selectorELNS0_4arch9wavefront6targetE1EEEvT1_,"axG",@progbits,_ZN7rocprim17ROCPRIM_400000_NS6detail17trampoline_kernelINS0_14default_configENS1_20scan_config_selectorIyEEZZNS1_9scan_implILNS1_25lookback_scan_determinismE0ELb1ELb1ES3_N6thrust23THRUST_200600_302600_NS6detail15normal_iteratorINS9_10device_ptrIyEEEENS9_16discard_iteratorINS9_11use_defaultEEEyNS9_4plusIvEEyEEDaPvRmT3_T4_T5_mT6_P12ihipStream_tbENKUlT_T0_E_clISt17integral_constantIbLb1EESW_IbLb0EEEEDaSS_ST_EUlSS_E0_NS1_11comp_targetILNS1_3genE10ELNS1_11target_archE1200ELNS1_3gpuE4ELNS1_3repE0EEENS1_30default_config_static_selectorELNS0_4arch9wavefront6targetE1EEEvT1_,comdat
.Lfunc_end5273:
	.size	_ZN7rocprim17ROCPRIM_400000_NS6detail17trampoline_kernelINS0_14default_configENS1_20scan_config_selectorIyEEZZNS1_9scan_implILNS1_25lookback_scan_determinismE0ELb1ELb1ES3_N6thrust23THRUST_200600_302600_NS6detail15normal_iteratorINS9_10device_ptrIyEEEENS9_16discard_iteratorINS9_11use_defaultEEEyNS9_4plusIvEEyEEDaPvRmT3_T4_T5_mT6_P12ihipStream_tbENKUlT_T0_E_clISt17integral_constantIbLb1EESW_IbLb0EEEEDaSS_ST_EUlSS_E0_NS1_11comp_targetILNS1_3genE10ELNS1_11target_archE1200ELNS1_3gpuE4ELNS1_3repE0EEENS1_30default_config_static_selectorELNS0_4arch9wavefront6targetE1EEEvT1_, .Lfunc_end5273-_ZN7rocprim17ROCPRIM_400000_NS6detail17trampoline_kernelINS0_14default_configENS1_20scan_config_selectorIyEEZZNS1_9scan_implILNS1_25lookback_scan_determinismE0ELb1ELb1ES3_N6thrust23THRUST_200600_302600_NS6detail15normal_iteratorINS9_10device_ptrIyEEEENS9_16discard_iteratorINS9_11use_defaultEEEyNS9_4plusIvEEyEEDaPvRmT3_T4_T5_mT6_P12ihipStream_tbENKUlT_T0_E_clISt17integral_constantIbLb1EESW_IbLb0EEEEDaSS_ST_EUlSS_E0_NS1_11comp_targetILNS1_3genE10ELNS1_11target_archE1200ELNS1_3gpuE4ELNS1_3repE0EEENS1_30default_config_static_selectorELNS0_4arch9wavefront6targetE1EEEvT1_
                                        ; -- End function
	.section	.AMDGPU.csdata,"",@progbits
; Kernel info:
; codeLenInByte = 0
; NumSgprs: 4
; NumVgprs: 0
; NumAgprs: 0
; TotalNumVgprs: 0
; ScratchSize: 0
; MemoryBound: 0
; FloatMode: 240
; IeeeMode: 1
; LDSByteSize: 0 bytes/workgroup (compile time only)
; SGPRBlocks: 0
; VGPRBlocks: 0
; NumSGPRsForWavesPerEU: 4
; NumVGPRsForWavesPerEU: 1
; AccumOffset: 4
; Occupancy: 8
; WaveLimiterHint : 0
; COMPUTE_PGM_RSRC2:SCRATCH_EN: 0
; COMPUTE_PGM_RSRC2:USER_SGPR: 6
; COMPUTE_PGM_RSRC2:TRAP_HANDLER: 0
; COMPUTE_PGM_RSRC2:TGID_X_EN: 1
; COMPUTE_PGM_RSRC2:TGID_Y_EN: 0
; COMPUTE_PGM_RSRC2:TGID_Z_EN: 0
; COMPUTE_PGM_RSRC2:TIDIG_COMP_CNT: 0
; COMPUTE_PGM_RSRC3_GFX90A:ACCUM_OFFSET: 0
; COMPUTE_PGM_RSRC3_GFX90A:TG_SPLIT: 0
	.section	.text._ZN7rocprim17ROCPRIM_400000_NS6detail17trampoline_kernelINS0_14default_configENS1_20scan_config_selectorIyEEZZNS1_9scan_implILNS1_25lookback_scan_determinismE0ELb1ELb1ES3_N6thrust23THRUST_200600_302600_NS6detail15normal_iteratorINS9_10device_ptrIyEEEENS9_16discard_iteratorINS9_11use_defaultEEEyNS9_4plusIvEEyEEDaPvRmT3_T4_T5_mT6_P12ihipStream_tbENKUlT_T0_E_clISt17integral_constantIbLb1EESW_IbLb0EEEEDaSS_ST_EUlSS_E0_NS1_11comp_targetILNS1_3genE9ELNS1_11target_archE1100ELNS1_3gpuE3ELNS1_3repE0EEENS1_30default_config_static_selectorELNS0_4arch9wavefront6targetE1EEEvT1_,"axG",@progbits,_ZN7rocprim17ROCPRIM_400000_NS6detail17trampoline_kernelINS0_14default_configENS1_20scan_config_selectorIyEEZZNS1_9scan_implILNS1_25lookback_scan_determinismE0ELb1ELb1ES3_N6thrust23THRUST_200600_302600_NS6detail15normal_iteratorINS9_10device_ptrIyEEEENS9_16discard_iteratorINS9_11use_defaultEEEyNS9_4plusIvEEyEEDaPvRmT3_T4_T5_mT6_P12ihipStream_tbENKUlT_T0_E_clISt17integral_constantIbLb1EESW_IbLb0EEEEDaSS_ST_EUlSS_E0_NS1_11comp_targetILNS1_3genE9ELNS1_11target_archE1100ELNS1_3gpuE3ELNS1_3repE0EEENS1_30default_config_static_selectorELNS0_4arch9wavefront6targetE1EEEvT1_,comdat
	.protected	_ZN7rocprim17ROCPRIM_400000_NS6detail17trampoline_kernelINS0_14default_configENS1_20scan_config_selectorIyEEZZNS1_9scan_implILNS1_25lookback_scan_determinismE0ELb1ELb1ES3_N6thrust23THRUST_200600_302600_NS6detail15normal_iteratorINS9_10device_ptrIyEEEENS9_16discard_iteratorINS9_11use_defaultEEEyNS9_4plusIvEEyEEDaPvRmT3_T4_T5_mT6_P12ihipStream_tbENKUlT_T0_E_clISt17integral_constantIbLb1EESW_IbLb0EEEEDaSS_ST_EUlSS_E0_NS1_11comp_targetILNS1_3genE9ELNS1_11target_archE1100ELNS1_3gpuE3ELNS1_3repE0EEENS1_30default_config_static_selectorELNS0_4arch9wavefront6targetE1EEEvT1_ ; -- Begin function _ZN7rocprim17ROCPRIM_400000_NS6detail17trampoline_kernelINS0_14default_configENS1_20scan_config_selectorIyEEZZNS1_9scan_implILNS1_25lookback_scan_determinismE0ELb1ELb1ES3_N6thrust23THRUST_200600_302600_NS6detail15normal_iteratorINS9_10device_ptrIyEEEENS9_16discard_iteratorINS9_11use_defaultEEEyNS9_4plusIvEEyEEDaPvRmT3_T4_T5_mT6_P12ihipStream_tbENKUlT_T0_E_clISt17integral_constantIbLb1EESW_IbLb0EEEEDaSS_ST_EUlSS_E0_NS1_11comp_targetILNS1_3genE9ELNS1_11target_archE1100ELNS1_3gpuE3ELNS1_3repE0EEENS1_30default_config_static_selectorELNS0_4arch9wavefront6targetE1EEEvT1_
	.globl	_ZN7rocprim17ROCPRIM_400000_NS6detail17trampoline_kernelINS0_14default_configENS1_20scan_config_selectorIyEEZZNS1_9scan_implILNS1_25lookback_scan_determinismE0ELb1ELb1ES3_N6thrust23THRUST_200600_302600_NS6detail15normal_iteratorINS9_10device_ptrIyEEEENS9_16discard_iteratorINS9_11use_defaultEEEyNS9_4plusIvEEyEEDaPvRmT3_T4_T5_mT6_P12ihipStream_tbENKUlT_T0_E_clISt17integral_constantIbLb1EESW_IbLb0EEEEDaSS_ST_EUlSS_E0_NS1_11comp_targetILNS1_3genE9ELNS1_11target_archE1100ELNS1_3gpuE3ELNS1_3repE0EEENS1_30default_config_static_selectorELNS0_4arch9wavefront6targetE1EEEvT1_
	.p2align	8
	.type	_ZN7rocprim17ROCPRIM_400000_NS6detail17trampoline_kernelINS0_14default_configENS1_20scan_config_selectorIyEEZZNS1_9scan_implILNS1_25lookback_scan_determinismE0ELb1ELb1ES3_N6thrust23THRUST_200600_302600_NS6detail15normal_iteratorINS9_10device_ptrIyEEEENS9_16discard_iteratorINS9_11use_defaultEEEyNS9_4plusIvEEyEEDaPvRmT3_T4_T5_mT6_P12ihipStream_tbENKUlT_T0_E_clISt17integral_constantIbLb1EESW_IbLb0EEEEDaSS_ST_EUlSS_E0_NS1_11comp_targetILNS1_3genE9ELNS1_11target_archE1100ELNS1_3gpuE3ELNS1_3repE0EEENS1_30default_config_static_selectorELNS0_4arch9wavefront6targetE1EEEvT1_,@function
_ZN7rocprim17ROCPRIM_400000_NS6detail17trampoline_kernelINS0_14default_configENS1_20scan_config_selectorIyEEZZNS1_9scan_implILNS1_25lookback_scan_determinismE0ELb1ELb1ES3_N6thrust23THRUST_200600_302600_NS6detail15normal_iteratorINS9_10device_ptrIyEEEENS9_16discard_iteratorINS9_11use_defaultEEEyNS9_4plusIvEEyEEDaPvRmT3_T4_T5_mT6_P12ihipStream_tbENKUlT_T0_E_clISt17integral_constantIbLb1EESW_IbLb0EEEEDaSS_ST_EUlSS_E0_NS1_11comp_targetILNS1_3genE9ELNS1_11target_archE1100ELNS1_3gpuE3ELNS1_3repE0EEENS1_30default_config_static_selectorELNS0_4arch9wavefront6targetE1EEEvT1_: ; @_ZN7rocprim17ROCPRIM_400000_NS6detail17trampoline_kernelINS0_14default_configENS1_20scan_config_selectorIyEEZZNS1_9scan_implILNS1_25lookback_scan_determinismE0ELb1ELb1ES3_N6thrust23THRUST_200600_302600_NS6detail15normal_iteratorINS9_10device_ptrIyEEEENS9_16discard_iteratorINS9_11use_defaultEEEyNS9_4plusIvEEyEEDaPvRmT3_T4_T5_mT6_P12ihipStream_tbENKUlT_T0_E_clISt17integral_constantIbLb1EESW_IbLb0EEEEDaSS_ST_EUlSS_E0_NS1_11comp_targetILNS1_3genE9ELNS1_11target_archE1100ELNS1_3gpuE3ELNS1_3repE0EEENS1_30default_config_static_selectorELNS0_4arch9wavefront6targetE1EEEvT1_
; %bb.0:
	.section	.rodata,"a",@progbits
	.p2align	6, 0x0
	.amdhsa_kernel _ZN7rocprim17ROCPRIM_400000_NS6detail17trampoline_kernelINS0_14default_configENS1_20scan_config_selectorIyEEZZNS1_9scan_implILNS1_25lookback_scan_determinismE0ELb1ELb1ES3_N6thrust23THRUST_200600_302600_NS6detail15normal_iteratorINS9_10device_ptrIyEEEENS9_16discard_iteratorINS9_11use_defaultEEEyNS9_4plusIvEEyEEDaPvRmT3_T4_T5_mT6_P12ihipStream_tbENKUlT_T0_E_clISt17integral_constantIbLb1EESW_IbLb0EEEEDaSS_ST_EUlSS_E0_NS1_11comp_targetILNS1_3genE9ELNS1_11target_archE1100ELNS1_3gpuE3ELNS1_3repE0EEENS1_30default_config_static_selectorELNS0_4arch9wavefront6targetE1EEEvT1_
		.amdhsa_group_segment_fixed_size 0
		.amdhsa_private_segment_fixed_size 0
		.amdhsa_kernarg_size 48
		.amdhsa_user_sgpr_count 6
		.amdhsa_user_sgpr_private_segment_buffer 1
		.amdhsa_user_sgpr_dispatch_ptr 0
		.amdhsa_user_sgpr_queue_ptr 0
		.amdhsa_user_sgpr_kernarg_segment_ptr 1
		.amdhsa_user_sgpr_dispatch_id 0
		.amdhsa_user_sgpr_flat_scratch_init 0
		.amdhsa_user_sgpr_kernarg_preload_length 0
		.amdhsa_user_sgpr_kernarg_preload_offset 0
		.amdhsa_user_sgpr_private_segment_size 0
		.amdhsa_uses_dynamic_stack 0
		.amdhsa_system_sgpr_private_segment_wavefront_offset 0
		.amdhsa_system_sgpr_workgroup_id_x 1
		.amdhsa_system_sgpr_workgroup_id_y 0
		.amdhsa_system_sgpr_workgroup_id_z 0
		.amdhsa_system_sgpr_workgroup_info 0
		.amdhsa_system_vgpr_workitem_id 0
		.amdhsa_next_free_vgpr 1
		.amdhsa_next_free_sgpr 0
		.amdhsa_accum_offset 4
		.amdhsa_reserve_vcc 0
		.amdhsa_reserve_flat_scratch 0
		.amdhsa_float_round_mode_32 0
		.amdhsa_float_round_mode_16_64 0
		.amdhsa_float_denorm_mode_32 3
		.amdhsa_float_denorm_mode_16_64 3
		.amdhsa_dx10_clamp 1
		.amdhsa_ieee_mode 1
		.amdhsa_fp16_overflow 0
		.amdhsa_tg_split 0
		.amdhsa_exception_fp_ieee_invalid_op 0
		.amdhsa_exception_fp_denorm_src 0
		.amdhsa_exception_fp_ieee_div_zero 0
		.amdhsa_exception_fp_ieee_overflow 0
		.amdhsa_exception_fp_ieee_underflow 0
		.amdhsa_exception_fp_ieee_inexact 0
		.amdhsa_exception_int_div_zero 0
	.end_amdhsa_kernel
	.section	.text._ZN7rocprim17ROCPRIM_400000_NS6detail17trampoline_kernelINS0_14default_configENS1_20scan_config_selectorIyEEZZNS1_9scan_implILNS1_25lookback_scan_determinismE0ELb1ELb1ES3_N6thrust23THRUST_200600_302600_NS6detail15normal_iteratorINS9_10device_ptrIyEEEENS9_16discard_iteratorINS9_11use_defaultEEEyNS9_4plusIvEEyEEDaPvRmT3_T4_T5_mT6_P12ihipStream_tbENKUlT_T0_E_clISt17integral_constantIbLb1EESW_IbLb0EEEEDaSS_ST_EUlSS_E0_NS1_11comp_targetILNS1_3genE9ELNS1_11target_archE1100ELNS1_3gpuE3ELNS1_3repE0EEENS1_30default_config_static_selectorELNS0_4arch9wavefront6targetE1EEEvT1_,"axG",@progbits,_ZN7rocprim17ROCPRIM_400000_NS6detail17trampoline_kernelINS0_14default_configENS1_20scan_config_selectorIyEEZZNS1_9scan_implILNS1_25lookback_scan_determinismE0ELb1ELb1ES3_N6thrust23THRUST_200600_302600_NS6detail15normal_iteratorINS9_10device_ptrIyEEEENS9_16discard_iteratorINS9_11use_defaultEEEyNS9_4plusIvEEyEEDaPvRmT3_T4_T5_mT6_P12ihipStream_tbENKUlT_T0_E_clISt17integral_constantIbLb1EESW_IbLb0EEEEDaSS_ST_EUlSS_E0_NS1_11comp_targetILNS1_3genE9ELNS1_11target_archE1100ELNS1_3gpuE3ELNS1_3repE0EEENS1_30default_config_static_selectorELNS0_4arch9wavefront6targetE1EEEvT1_,comdat
.Lfunc_end5274:
	.size	_ZN7rocprim17ROCPRIM_400000_NS6detail17trampoline_kernelINS0_14default_configENS1_20scan_config_selectorIyEEZZNS1_9scan_implILNS1_25lookback_scan_determinismE0ELb1ELb1ES3_N6thrust23THRUST_200600_302600_NS6detail15normal_iteratorINS9_10device_ptrIyEEEENS9_16discard_iteratorINS9_11use_defaultEEEyNS9_4plusIvEEyEEDaPvRmT3_T4_T5_mT6_P12ihipStream_tbENKUlT_T0_E_clISt17integral_constantIbLb1EESW_IbLb0EEEEDaSS_ST_EUlSS_E0_NS1_11comp_targetILNS1_3genE9ELNS1_11target_archE1100ELNS1_3gpuE3ELNS1_3repE0EEENS1_30default_config_static_selectorELNS0_4arch9wavefront6targetE1EEEvT1_, .Lfunc_end5274-_ZN7rocprim17ROCPRIM_400000_NS6detail17trampoline_kernelINS0_14default_configENS1_20scan_config_selectorIyEEZZNS1_9scan_implILNS1_25lookback_scan_determinismE0ELb1ELb1ES3_N6thrust23THRUST_200600_302600_NS6detail15normal_iteratorINS9_10device_ptrIyEEEENS9_16discard_iteratorINS9_11use_defaultEEEyNS9_4plusIvEEyEEDaPvRmT3_T4_T5_mT6_P12ihipStream_tbENKUlT_T0_E_clISt17integral_constantIbLb1EESW_IbLb0EEEEDaSS_ST_EUlSS_E0_NS1_11comp_targetILNS1_3genE9ELNS1_11target_archE1100ELNS1_3gpuE3ELNS1_3repE0EEENS1_30default_config_static_selectorELNS0_4arch9wavefront6targetE1EEEvT1_
                                        ; -- End function
	.section	.AMDGPU.csdata,"",@progbits
; Kernel info:
; codeLenInByte = 0
; NumSgprs: 4
; NumVgprs: 0
; NumAgprs: 0
; TotalNumVgprs: 0
; ScratchSize: 0
; MemoryBound: 0
; FloatMode: 240
; IeeeMode: 1
; LDSByteSize: 0 bytes/workgroup (compile time only)
; SGPRBlocks: 0
; VGPRBlocks: 0
; NumSGPRsForWavesPerEU: 4
; NumVGPRsForWavesPerEU: 1
; AccumOffset: 4
; Occupancy: 8
; WaveLimiterHint : 0
; COMPUTE_PGM_RSRC2:SCRATCH_EN: 0
; COMPUTE_PGM_RSRC2:USER_SGPR: 6
; COMPUTE_PGM_RSRC2:TRAP_HANDLER: 0
; COMPUTE_PGM_RSRC2:TGID_X_EN: 1
; COMPUTE_PGM_RSRC2:TGID_Y_EN: 0
; COMPUTE_PGM_RSRC2:TGID_Z_EN: 0
; COMPUTE_PGM_RSRC2:TIDIG_COMP_CNT: 0
; COMPUTE_PGM_RSRC3_GFX90A:ACCUM_OFFSET: 0
; COMPUTE_PGM_RSRC3_GFX90A:TG_SPLIT: 0
	.section	.text._ZN7rocprim17ROCPRIM_400000_NS6detail17trampoline_kernelINS0_14default_configENS1_20scan_config_selectorIyEEZZNS1_9scan_implILNS1_25lookback_scan_determinismE0ELb1ELb1ES3_N6thrust23THRUST_200600_302600_NS6detail15normal_iteratorINS9_10device_ptrIyEEEENS9_16discard_iteratorINS9_11use_defaultEEEyNS9_4plusIvEEyEEDaPvRmT3_T4_T5_mT6_P12ihipStream_tbENKUlT_T0_E_clISt17integral_constantIbLb1EESW_IbLb0EEEEDaSS_ST_EUlSS_E0_NS1_11comp_targetILNS1_3genE8ELNS1_11target_archE1030ELNS1_3gpuE2ELNS1_3repE0EEENS1_30default_config_static_selectorELNS0_4arch9wavefront6targetE1EEEvT1_,"axG",@progbits,_ZN7rocprim17ROCPRIM_400000_NS6detail17trampoline_kernelINS0_14default_configENS1_20scan_config_selectorIyEEZZNS1_9scan_implILNS1_25lookback_scan_determinismE0ELb1ELb1ES3_N6thrust23THRUST_200600_302600_NS6detail15normal_iteratorINS9_10device_ptrIyEEEENS9_16discard_iteratorINS9_11use_defaultEEEyNS9_4plusIvEEyEEDaPvRmT3_T4_T5_mT6_P12ihipStream_tbENKUlT_T0_E_clISt17integral_constantIbLb1EESW_IbLb0EEEEDaSS_ST_EUlSS_E0_NS1_11comp_targetILNS1_3genE8ELNS1_11target_archE1030ELNS1_3gpuE2ELNS1_3repE0EEENS1_30default_config_static_selectorELNS0_4arch9wavefront6targetE1EEEvT1_,comdat
	.protected	_ZN7rocprim17ROCPRIM_400000_NS6detail17trampoline_kernelINS0_14default_configENS1_20scan_config_selectorIyEEZZNS1_9scan_implILNS1_25lookback_scan_determinismE0ELb1ELb1ES3_N6thrust23THRUST_200600_302600_NS6detail15normal_iteratorINS9_10device_ptrIyEEEENS9_16discard_iteratorINS9_11use_defaultEEEyNS9_4plusIvEEyEEDaPvRmT3_T4_T5_mT6_P12ihipStream_tbENKUlT_T0_E_clISt17integral_constantIbLb1EESW_IbLb0EEEEDaSS_ST_EUlSS_E0_NS1_11comp_targetILNS1_3genE8ELNS1_11target_archE1030ELNS1_3gpuE2ELNS1_3repE0EEENS1_30default_config_static_selectorELNS0_4arch9wavefront6targetE1EEEvT1_ ; -- Begin function _ZN7rocprim17ROCPRIM_400000_NS6detail17trampoline_kernelINS0_14default_configENS1_20scan_config_selectorIyEEZZNS1_9scan_implILNS1_25lookback_scan_determinismE0ELb1ELb1ES3_N6thrust23THRUST_200600_302600_NS6detail15normal_iteratorINS9_10device_ptrIyEEEENS9_16discard_iteratorINS9_11use_defaultEEEyNS9_4plusIvEEyEEDaPvRmT3_T4_T5_mT6_P12ihipStream_tbENKUlT_T0_E_clISt17integral_constantIbLb1EESW_IbLb0EEEEDaSS_ST_EUlSS_E0_NS1_11comp_targetILNS1_3genE8ELNS1_11target_archE1030ELNS1_3gpuE2ELNS1_3repE0EEENS1_30default_config_static_selectorELNS0_4arch9wavefront6targetE1EEEvT1_
	.globl	_ZN7rocprim17ROCPRIM_400000_NS6detail17trampoline_kernelINS0_14default_configENS1_20scan_config_selectorIyEEZZNS1_9scan_implILNS1_25lookback_scan_determinismE0ELb1ELb1ES3_N6thrust23THRUST_200600_302600_NS6detail15normal_iteratorINS9_10device_ptrIyEEEENS9_16discard_iteratorINS9_11use_defaultEEEyNS9_4plusIvEEyEEDaPvRmT3_T4_T5_mT6_P12ihipStream_tbENKUlT_T0_E_clISt17integral_constantIbLb1EESW_IbLb0EEEEDaSS_ST_EUlSS_E0_NS1_11comp_targetILNS1_3genE8ELNS1_11target_archE1030ELNS1_3gpuE2ELNS1_3repE0EEENS1_30default_config_static_selectorELNS0_4arch9wavefront6targetE1EEEvT1_
	.p2align	8
	.type	_ZN7rocprim17ROCPRIM_400000_NS6detail17trampoline_kernelINS0_14default_configENS1_20scan_config_selectorIyEEZZNS1_9scan_implILNS1_25lookback_scan_determinismE0ELb1ELb1ES3_N6thrust23THRUST_200600_302600_NS6detail15normal_iteratorINS9_10device_ptrIyEEEENS9_16discard_iteratorINS9_11use_defaultEEEyNS9_4plusIvEEyEEDaPvRmT3_T4_T5_mT6_P12ihipStream_tbENKUlT_T0_E_clISt17integral_constantIbLb1EESW_IbLb0EEEEDaSS_ST_EUlSS_E0_NS1_11comp_targetILNS1_3genE8ELNS1_11target_archE1030ELNS1_3gpuE2ELNS1_3repE0EEENS1_30default_config_static_selectorELNS0_4arch9wavefront6targetE1EEEvT1_,@function
_ZN7rocprim17ROCPRIM_400000_NS6detail17trampoline_kernelINS0_14default_configENS1_20scan_config_selectorIyEEZZNS1_9scan_implILNS1_25lookback_scan_determinismE0ELb1ELb1ES3_N6thrust23THRUST_200600_302600_NS6detail15normal_iteratorINS9_10device_ptrIyEEEENS9_16discard_iteratorINS9_11use_defaultEEEyNS9_4plusIvEEyEEDaPvRmT3_T4_T5_mT6_P12ihipStream_tbENKUlT_T0_E_clISt17integral_constantIbLb1EESW_IbLb0EEEEDaSS_ST_EUlSS_E0_NS1_11comp_targetILNS1_3genE8ELNS1_11target_archE1030ELNS1_3gpuE2ELNS1_3repE0EEENS1_30default_config_static_selectorELNS0_4arch9wavefront6targetE1EEEvT1_: ; @_ZN7rocprim17ROCPRIM_400000_NS6detail17trampoline_kernelINS0_14default_configENS1_20scan_config_selectorIyEEZZNS1_9scan_implILNS1_25lookback_scan_determinismE0ELb1ELb1ES3_N6thrust23THRUST_200600_302600_NS6detail15normal_iteratorINS9_10device_ptrIyEEEENS9_16discard_iteratorINS9_11use_defaultEEEyNS9_4plusIvEEyEEDaPvRmT3_T4_T5_mT6_P12ihipStream_tbENKUlT_T0_E_clISt17integral_constantIbLb1EESW_IbLb0EEEEDaSS_ST_EUlSS_E0_NS1_11comp_targetILNS1_3genE8ELNS1_11target_archE1030ELNS1_3gpuE2ELNS1_3repE0EEENS1_30default_config_static_selectorELNS0_4arch9wavefront6targetE1EEEvT1_
; %bb.0:
	.section	.rodata,"a",@progbits
	.p2align	6, 0x0
	.amdhsa_kernel _ZN7rocprim17ROCPRIM_400000_NS6detail17trampoline_kernelINS0_14default_configENS1_20scan_config_selectorIyEEZZNS1_9scan_implILNS1_25lookback_scan_determinismE0ELb1ELb1ES3_N6thrust23THRUST_200600_302600_NS6detail15normal_iteratorINS9_10device_ptrIyEEEENS9_16discard_iteratorINS9_11use_defaultEEEyNS9_4plusIvEEyEEDaPvRmT3_T4_T5_mT6_P12ihipStream_tbENKUlT_T0_E_clISt17integral_constantIbLb1EESW_IbLb0EEEEDaSS_ST_EUlSS_E0_NS1_11comp_targetILNS1_3genE8ELNS1_11target_archE1030ELNS1_3gpuE2ELNS1_3repE0EEENS1_30default_config_static_selectorELNS0_4arch9wavefront6targetE1EEEvT1_
		.amdhsa_group_segment_fixed_size 0
		.amdhsa_private_segment_fixed_size 0
		.amdhsa_kernarg_size 48
		.amdhsa_user_sgpr_count 6
		.amdhsa_user_sgpr_private_segment_buffer 1
		.amdhsa_user_sgpr_dispatch_ptr 0
		.amdhsa_user_sgpr_queue_ptr 0
		.amdhsa_user_sgpr_kernarg_segment_ptr 1
		.amdhsa_user_sgpr_dispatch_id 0
		.amdhsa_user_sgpr_flat_scratch_init 0
		.amdhsa_user_sgpr_kernarg_preload_length 0
		.amdhsa_user_sgpr_kernarg_preload_offset 0
		.amdhsa_user_sgpr_private_segment_size 0
		.amdhsa_uses_dynamic_stack 0
		.amdhsa_system_sgpr_private_segment_wavefront_offset 0
		.amdhsa_system_sgpr_workgroup_id_x 1
		.amdhsa_system_sgpr_workgroup_id_y 0
		.amdhsa_system_sgpr_workgroup_id_z 0
		.amdhsa_system_sgpr_workgroup_info 0
		.amdhsa_system_vgpr_workitem_id 0
		.amdhsa_next_free_vgpr 1
		.amdhsa_next_free_sgpr 0
		.amdhsa_accum_offset 4
		.amdhsa_reserve_vcc 0
		.amdhsa_reserve_flat_scratch 0
		.amdhsa_float_round_mode_32 0
		.amdhsa_float_round_mode_16_64 0
		.amdhsa_float_denorm_mode_32 3
		.amdhsa_float_denorm_mode_16_64 3
		.amdhsa_dx10_clamp 1
		.amdhsa_ieee_mode 1
		.amdhsa_fp16_overflow 0
		.amdhsa_tg_split 0
		.amdhsa_exception_fp_ieee_invalid_op 0
		.amdhsa_exception_fp_denorm_src 0
		.amdhsa_exception_fp_ieee_div_zero 0
		.amdhsa_exception_fp_ieee_overflow 0
		.amdhsa_exception_fp_ieee_underflow 0
		.amdhsa_exception_fp_ieee_inexact 0
		.amdhsa_exception_int_div_zero 0
	.end_amdhsa_kernel
	.section	.text._ZN7rocprim17ROCPRIM_400000_NS6detail17trampoline_kernelINS0_14default_configENS1_20scan_config_selectorIyEEZZNS1_9scan_implILNS1_25lookback_scan_determinismE0ELb1ELb1ES3_N6thrust23THRUST_200600_302600_NS6detail15normal_iteratorINS9_10device_ptrIyEEEENS9_16discard_iteratorINS9_11use_defaultEEEyNS9_4plusIvEEyEEDaPvRmT3_T4_T5_mT6_P12ihipStream_tbENKUlT_T0_E_clISt17integral_constantIbLb1EESW_IbLb0EEEEDaSS_ST_EUlSS_E0_NS1_11comp_targetILNS1_3genE8ELNS1_11target_archE1030ELNS1_3gpuE2ELNS1_3repE0EEENS1_30default_config_static_selectorELNS0_4arch9wavefront6targetE1EEEvT1_,"axG",@progbits,_ZN7rocprim17ROCPRIM_400000_NS6detail17trampoline_kernelINS0_14default_configENS1_20scan_config_selectorIyEEZZNS1_9scan_implILNS1_25lookback_scan_determinismE0ELb1ELb1ES3_N6thrust23THRUST_200600_302600_NS6detail15normal_iteratorINS9_10device_ptrIyEEEENS9_16discard_iteratorINS9_11use_defaultEEEyNS9_4plusIvEEyEEDaPvRmT3_T4_T5_mT6_P12ihipStream_tbENKUlT_T0_E_clISt17integral_constantIbLb1EESW_IbLb0EEEEDaSS_ST_EUlSS_E0_NS1_11comp_targetILNS1_3genE8ELNS1_11target_archE1030ELNS1_3gpuE2ELNS1_3repE0EEENS1_30default_config_static_selectorELNS0_4arch9wavefront6targetE1EEEvT1_,comdat
.Lfunc_end5275:
	.size	_ZN7rocprim17ROCPRIM_400000_NS6detail17trampoline_kernelINS0_14default_configENS1_20scan_config_selectorIyEEZZNS1_9scan_implILNS1_25lookback_scan_determinismE0ELb1ELb1ES3_N6thrust23THRUST_200600_302600_NS6detail15normal_iteratorINS9_10device_ptrIyEEEENS9_16discard_iteratorINS9_11use_defaultEEEyNS9_4plusIvEEyEEDaPvRmT3_T4_T5_mT6_P12ihipStream_tbENKUlT_T0_E_clISt17integral_constantIbLb1EESW_IbLb0EEEEDaSS_ST_EUlSS_E0_NS1_11comp_targetILNS1_3genE8ELNS1_11target_archE1030ELNS1_3gpuE2ELNS1_3repE0EEENS1_30default_config_static_selectorELNS0_4arch9wavefront6targetE1EEEvT1_, .Lfunc_end5275-_ZN7rocprim17ROCPRIM_400000_NS6detail17trampoline_kernelINS0_14default_configENS1_20scan_config_selectorIyEEZZNS1_9scan_implILNS1_25lookback_scan_determinismE0ELb1ELb1ES3_N6thrust23THRUST_200600_302600_NS6detail15normal_iteratorINS9_10device_ptrIyEEEENS9_16discard_iteratorINS9_11use_defaultEEEyNS9_4plusIvEEyEEDaPvRmT3_T4_T5_mT6_P12ihipStream_tbENKUlT_T0_E_clISt17integral_constantIbLb1EESW_IbLb0EEEEDaSS_ST_EUlSS_E0_NS1_11comp_targetILNS1_3genE8ELNS1_11target_archE1030ELNS1_3gpuE2ELNS1_3repE0EEENS1_30default_config_static_selectorELNS0_4arch9wavefront6targetE1EEEvT1_
                                        ; -- End function
	.section	.AMDGPU.csdata,"",@progbits
; Kernel info:
; codeLenInByte = 0
; NumSgprs: 4
; NumVgprs: 0
; NumAgprs: 0
; TotalNumVgprs: 0
; ScratchSize: 0
; MemoryBound: 0
; FloatMode: 240
; IeeeMode: 1
; LDSByteSize: 0 bytes/workgroup (compile time only)
; SGPRBlocks: 0
; VGPRBlocks: 0
; NumSGPRsForWavesPerEU: 4
; NumVGPRsForWavesPerEU: 1
; AccumOffset: 4
; Occupancy: 8
; WaveLimiterHint : 0
; COMPUTE_PGM_RSRC2:SCRATCH_EN: 0
; COMPUTE_PGM_RSRC2:USER_SGPR: 6
; COMPUTE_PGM_RSRC2:TRAP_HANDLER: 0
; COMPUTE_PGM_RSRC2:TGID_X_EN: 1
; COMPUTE_PGM_RSRC2:TGID_Y_EN: 0
; COMPUTE_PGM_RSRC2:TGID_Z_EN: 0
; COMPUTE_PGM_RSRC2:TIDIG_COMP_CNT: 0
; COMPUTE_PGM_RSRC3_GFX90A:ACCUM_OFFSET: 0
; COMPUTE_PGM_RSRC3_GFX90A:TG_SPLIT: 0
	.section	.text._ZN7rocprim17ROCPRIM_400000_NS6detail17trampoline_kernelINS0_14default_configENS1_20scan_config_selectorIyEEZZNS1_9scan_implILNS1_25lookback_scan_determinismE0ELb1ELb1ES3_N6thrust23THRUST_200600_302600_NS6detail15normal_iteratorINS9_10device_ptrIyEEEENS9_16discard_iteratorINS9_11use_defaultEEEyNS9_4plusIvEEyEEDaPvRmT3_T4_T5_mT6_P12ihipStream_tbENKUlT_T0_E_clISt17integral_constantIbLb0EESW_IbLb1EEEEDaSS_ST_EUlSS_E_NS1_11comp_targetILNS1_3genE0ELNS1_11target_archE4294967295ELNS1_3gpuE0ELNS1_3repE0EEENS1_30default_config_static_selectorELNS0_4arch9wavefront6targetE1EEEvT1_,"axG",@progbits,_ZN7rocprim17ROCPRIM_400000_NS6detail17trampoline_kernelINS0_14default_configENS1_20scan_config_selectorIyEEZZNS1_9scan_implILNS1_25lookback_scan_determinismE0ELb1ELb1ES3_N6thrust23THRUST_200600_302600_NS6detail15normal_iteratorINS9_10device_ptrIyEEEENS9_16discard_iteratorINS9_11use_defaultEEEyNS9_4plusIvEEyEEDaPvRmT3_T4_T5_mT6_P12ihipStream_tbENKUlT_T0_E_clISt17integral_constantIbLb0EESW_IbLb1EEEEDaSS_ST_EUlSS_E_NS1_11comp_targetILNS1_3genE0ELNS1_11target_archE4294967295ELNS1_3gpuE0ELNS1_3repE0EEENS1_30default_config_static_selectorELNS0_4arch9wavefront6targetE1EEEvT1_,comdat
	.protected	_ZN7rocprim17ROCPRIM_400000_NS6detail17trampoline_kernelINS0_14default_configENS1_20scan_config_selectorIyEEZZNS1_9scan_implILNS1_25lookback_scan_determinismE0ELb1ELb1ES3_N6thrust23THRUST_200600_302600_NS6detail15normal_iteratorINS9_10device_ptrIyEEEENS9_16discard_iteratorINS9_11use_defaultEEEyNS9_4plusIvEEyEEDaPvRmT3_T4_T5_mT6_P12ihipStream_tbENKUlT_T0_E_clISt17integral_constantIbLb0EESW_IbLb1EEEEDaSS_ST_EUlSS_E_NS1_11comp_targetILNS1_3genE0ELNS1_11target_archE4294967295ELNS1_3gpuE0ELNS1_3repE0EEENS1_30default_config_static_selectorELNS0_4arch9wavefront6targetE1EEEvT1_ ; -- Begin function _ZN7rocprim17ROCPRIM_400000_NS6detail17trampoline_kernelINS0_14default_configENS1_20scan_config_selectorIyEEZZNS1_9scan_implILNS1_25lookback_scan_determinismE0ELb1ELb1ES3_N6thrust23THRUST_200600_302600_NS6detail15normal_iteratorINS9_10device_ptrIyEEEENS9_16discard_iteratorINS9_11use_defaultEEEyNS9_4plusIvEEyEEDaPvRmT3_T4_T5_mT6_P12ihipStream_tbENKUlT_T0_E_clISt17integral_constantIbLb0EESW_IbLb1EEEEDaSS_ST_EUlSS_E_NS1_11comp_targetILNS1_3genE0ELNS1_11target_archE4294967295ELNS1_3gpuE0ELNS1_3repE0EEENS1_30default_config_static_selectorELNS0_4arch9wavefront6targetE1EEEvT1_
	.globl	_ZN7rocprim17ROCPRIM_400000_NS6detail17trampoline_kernelINS0_14default_configENS1_20scan_config_selectorIyEEZZNS1_9scan_implILNS1_25lookback_scan_determinismE0ELb1ELb1ES3_N6thrust23THRUST_200600_302600_NS6detail15normal_iteratorINS9_10device_ptrIyEEEENS9_16discard_iteratorINS9_11use_defaultEEEyNS9_4plusIvEEyEEDaPvRmT3_T4_T5_mT6_P12ihipStream_tbENKUlT_T0_E_clISt17integral_constantIbLb0EESW_IbLb1EEEEDaSS_ST_EUlSS_E_NS1_11comp_targetILNS1_3genE0ELNS1_11target_archE4294967295ELNS1_3gpuE0ELNS1_3repE0EEENS1_30default_config_static_selectorELNS0_4arch9wavefront6targetE1EEEvT1_
	.p2align	8
	.type	_ZN7rocprim17ROCPRIM_400000_NS6detail17trampoline_kernelINS0_14default_configENS1_20scan_config_selectorIyEEZZNS1_9scan_implILNS1_25lookback_scan_determinismE0ELb1ELb1ES3_N6thrust23THRUST_200600_302600_NS6detail15normal_iteratorINS9_10device_ptrIyEEEENS9_16discard_iteratorINS9_11use_defaultEEEyNS9_4plusIvEEyEEDaPvRmT3_T4_T5_mT6_P12ihipStream_tbENKUlT_T0_E_clISt17integral_constantIbLb0EESW_IbLb1EEEEDaSS_ST_EUlSS_E_NS1_11comp_targetILNS1_3genE0ELNS1_11target_archE4294967295ELNS1_3gpuE0ELNS1_3repE0EEENS1_30default_config_static_selectorELNS0_4arch9wavefront6targetE1EEEvT1_,@function
_ZN7rocprim17ROCPRIM_400000_NS6detail17trampoline_kernelINS0_14default_configENS1_20scan_config_selectorIyEEZZNS1_9scan_implILNS1_25lookback_scan_determinismE0ELb1ELb1ES3_N6thrust23THRUST_200600_302600_NS6detail15normal_iteratorINS9_10device_ptrIyEEEENS9_16discard_iteratorINS9_11use_defaultEEEyNS9_4plusIvEEyEEDaPvRmT3_T4_T5_mT6_P12ihipStream_tbENKUlT_T0_E_clISt17integral_constantIbLb0EESW_IbLb1EEEEDaSS_ST_EUlSS_E_NS1_11comp_targetILNS1_3genE0ELNS1_11target_archE4294967295ELNS1_3gpuE0ELNS1_3repE0EEENS1_30default_config_static_selectorELNS0_4arch9wavefront6targetE1EEEvT1_: ; @_ZN7rocprim17ROCPRIM_400000_NS6detail17trampoline_kernelINS0_14default_configENS1_20scan_config_selectorIyEEZZNS1_9scan_implILNS1_25lookback_scan_determinismE0ELb1ELb1ES3_N6thrust23THRUST_200600_302600_NS6detail15normal_iteratorINS9_10device_ptrIyEEEENS9_16discard_iteratorINS9_11use_defaultEEEyNS9_4plusIvEEyEEDaPvRmT3_T4_T5_mT6_P12ihipStream_tbENKUlT_T0_E_clISt17integral_constantIbLb0EESW_IbLb1EEEEDaSS_ST_EUlSS_E_NS1_11comp_targetILNS1_3genE0ELNS1_11target_archE4294967295ELNS1_3gpuE0ELNS1_3repE0EEENS1_30default_config_static_selectorELNS0_4arch9wavefront6targetE1EEEvT1_
; %bb.0:
	.section	.rodata,"a",@progbits
	.p2align	6, 0x0
	.amdhsa_kernel _ZN7rocprim17ROCPRIM_400000_NS6detail17trampoline_kernelINS0_14default_configENS1_20scan_config_selectorIyEEZZNS1_9scan_implILNS1_25lookback_scan_determinismE0ELb1ELb1ES3_N6thrust23THRUST_200600_302600_NS6detail15normal_iteratorINS9_10device_ptrIyEEEENS9_16discard_iteratorINS9_11use_defaultEEEyNS9_4plusIvEEyEEDaPvRmT3_T4_T5_mT6_P12ihipStream_tbENKUlT_T0_E_clISt17integral_constantIbLb0EESW_IbLb1EEEEDaSS_ST_EUlSS_E_NS1_11comp_targetILNS1_3genE0ELNS1_11target_archE4294967295ELNS1_3gpuE0ELNS1_3repE0EEENS1_30default_config_static_selectorELNS0_4arch9wavefront6targetE1EEEvT1_
		.amdhsa_group_segment_fixed_size 0
		.amdhsa_private_segment_fixed_size 0
		.amdhsa_kernarg_size 112
		.amdhsa_user_sgpr_count 6
		.amdhsa_user_sgpr_private_segment_buffer 1
		.amdhsa_user_sgpr_dispatch_ptr 0
		.amdhsa_user_sgpr_queue_ptr 0
		.amdhsa_user_sgpr_kernarg_segment_ptr 1
		.amdhsa_user_sgpr_dispatch_id 0
		.amdhsa_user_sgpr_flat_scratch_init 0
		.amdhsa_user_sgpr_kernarg_preload_length 0
		.amdhsa_user_sgpr_kernarg_preload_offset 0
		.amdhsa_user_sgpr_private_segment_size 0
		.amdhsa_uses_dynamic_stack 0
		.amdhsa_system_sgpr_private_segment_wavefront_offset 0
		.amdhsa_system_sgpr_workgroup_id_x 1
		.amdhsa_system_sgpr_workgroup_id_y 0
		.amdhsa_system_sgpr_workgroup_id_z 0
		.amdhsa_system_sgpr_workgroup_info 0
		.amdhsa_system_vgpr_workitem_id 0
		.amdhsa_next_free_vgpr 1
		.amdhsa_next_free_sgpr 0
		.amdhsa_accum_offset 4
		.amdhsa_reserve_vcc 0
		.amdhsa_reserve_flat_scratch 0
		.amdhsa_float_round_mode_32 0
		.amdhsa_float_round_mode_16_64 0
		.amdhsa_float_denorm_mode_32 3
		.amdhsa_float_denorm_mode_16_64 3
		.amdhsa_dx10_clamp 1
		.amdhsa_ieee_mode 1
		.amdhsa_fp16_overflow 0
		.amdhsa_tg_split 0
		.amdhsa_exception_fp_ieee_invalid_op 0
		.amdhsa_exception_fp_denorm_src 0
		.amdhsa_exception_fp_ieee_div_zero 0
		.amdhsa_exception_fp_ieee_overflow 0
		.amdhsa_exception_fp_ieee_underflow 0
		.amdhsa_exception_fp_ieee_inexact 0
		.amdhsa_exception_int_div_zero 0
	.end_amdhsa_kernel
	.section	.text._ZN7rocprim17ROCPRIM_400000_NS6detail17trampoline_kernelINS0_14default_configENS1_20scan_config_selectorIyEEZZNS1_9scan_implILNS1_25lookback_scan_determinismE0ELb1ELb1ES3_N6thrust23THRUST_200600_302600_NS6detail15normal_iteratorINS9_10device_ptrIyEEEENS9_16discard_iteratorINS9_11use_defaultEEEyNS9_4plusIvEEyEEDaPvRmT3_T4_T5_mT6_P12ihipStream_tbENKUlT_T0_E_clISt17integral_constantIbLb0EESW_IbLb1EEEEDaSS_ST_EUlSS_E_NS1_11comp_targetILNS1_3genE0ELNS1_11target_archE4294967295ELNS1_3gpuE0ELNS1_3repE0EEENS1_30default_config_static_selectorELNS0_4arch9wavefront6targetE1EEEvT1_,"axG",@progbits,_ZN7rocprim17ROCPRIM_400000_NS6detail17trampoline_kernelINS0_14default_configENS1_20scan_config_selectorIyEEZZNS1_9scan_implILNS1_25lookback_scan_determinismE0ELb1ELb1ES3_N6thrust23THRUST_200600_302600_NS6detail15normal_iteratorINS9_10device_ptrIyEEEENS9_16discard_iteratorINS9_11use_defaultEEEyNS9_4plusIvEEyEEDaPvRmT3_T4_T5_mT6_P12ihipStream_tbENKUlT_T0_E_clISt17integral_constantIbLb0EESW_IbLb1EEEEDaSS_ST_EUlSS_E_NS1_11comp_targetILNS1_3genE0ELNS1_11target_archE4294967295ELNS1_3gpuE0ELNS1_3repE0EEENS1_30default_config_static_selectorELNS0_4arch9wavefront6targetE1EEEvT1_,comdat
.Lfunc_end5276:
	.size	_ZN7rocprim17ROCPRIM_400000_NS6detail17trampoline_kernelINS0_14default_configENS1_20scan_config_selectorIyEEZZNS1_9scan_implILNS1_25lookback_scan_determinismE0ELb1ELb1ES3_N6thrust23THRUST_200600_302600_NS6detail15normal_iteratorINS9_10device_ptrIyEEEENS9_16discard_iteratorINS9_11use_defaultEEEyNS9_4plusIvEEyEEDaPvRmT3_T4_T5_mT6_P12ihipStream_tbENKUlT_T0_E_clISt17integral_constantIbLb0EESW_IbLb1EEEEDaSS_ST_EUlSS_E_NS1_11comp_targetILNS1_3genE0ELNS1_11target_archE4294967295ELNS1_3gpuE0ELNS1_3repE0EEENS1_30default_config_static_selectorELNS0_4arch9wavefront6targetE1EEEvT1_, .Lfunc_end5276-_ZN7rocprim17ROCPRIM_400000_NS6detail17trampoline_kernelINS0_14default_configENS1_20scan_config_selectorIyEEZZNS1_9scan_implILNS1_25lookback_scan_determinismE0ELb1ELb1ES3_N6thrust23THRUST_200600_302600_NS6detail15normal_iteratorINS9_10device_ptrIyEEEENS9_16discard_iteratorINS9_11use_defaultEEEyNS9_4plusIvEEyEEDaPvRmT3_T4_T5_mT6_P12ihipStream_tbENKUlT_T0_E_clISt17integral_constantIbLb0EESW_IbLb1EEEEDaSS_ST_EUlSS_E_NS1_11comp_targetILNS1_3genE0ELNS1_11target_archE4294967295ELNS1_3gpuE0ELNS1_3repE0EEENS1_30default_config_static_selectorELNS0_4arch9wavefront6targetE1EEEvT1_
                                        ; -- End function
	.section	.AMDGPU.csdata,"",@progbits
; Kernel info:
; codeLenInByte = 0
; NumSgprs: 4
; NumVgprs: 0
; NumAgprs: 0
; TotalNumVgprs: 0
; ScratchSize: 0
; MemoryBound: 0
; FloatMode: 240
; IeeeMode: 1
; LDSByteSize: 0 bytes/workgroup (compile time only)
; SGPRBlocks: 0
; VGPRBlocks: 0
; NumSGPRsForWavesPerEU: 4
; NumVGPRsForWavesPerEU: 1
; AccumOffset: 4
; Occupancy: 8
; WaveLimiterHint : 0
; COMPUTE_PGM_RSRC2:SCRATCH_EN: 0
; COMPUTE_PGM_RSRC2:USER_SGPR: 6
; COMPUTE_PGM_RSRC2:TRAP_HANDLER: 0
; COMPUTE_PGM_RSRC2:TGID_X_EN: 1
; COMPUTE_PGM_RSRC2:TGID_Y_EN: 0
; COMPUTE_PGM_RSRC2:TGID_Z_EN: 0
; COMPUTE_PGM_RSRC2:TIDIG_COMP_CNT: 0
; COMPUTE_PGM_RSRC3_GFX90A:ACCUM_OFFSET: 0
; COMPUTE_PGM_RSRC3_GFX90A:TG_SPLIT: 0
	.section	.text._ZN7rocprim17ROCPRIM_400000_NS6detail17trampoline_kernelINS0_14default_configENS1_20scan_config_selectorIyEEZZNS1_9scan_implILNS1_25lookback_scan_determinismE0ELb1ELb1ES3_N6thrust23THRUST_200600_302600_NS6detail15normal_iteratorINS9_10device_ptrIyEEEENS9_16discard_iteratorINS9_11use_defaultEEEyNS9_4plusIvEEyEEDaPvRmT3_T4_T5_mT6_P12ihipStream_tbENKUlT_T0_E_clISt17integral_constantIbLb0EESW_IbLb1EEEEDaSS_ST_EUlSS_E_NS1_11comp_targetILNS1_3genE5ELNS1_11target_archE942ELNS1_3gpuE9ELNS1_3repE0EEENS1_30default_config_static_selectorELNS0_4arch9wavefront6targetE1EEEvT1_,"axG",@progbits,_ZN7rocprim17ROCPRIM_400000_NS6detail17trampoline_kernelINS0_14default_configENS1_20scan_config_selectorIyEEZZNS1_9scan_implILNS1_25lookback_scan_determinismE0ELb1ELb1ES3_N6thrust23THRUST_200600_302600_NS6detail15normal_iteratorINS9_10device_ptrIyEEEENS9_16discard_iteratorINS9_11use_defaultEEEyNS9_4plusIvEEyEEDaPvRmT3_T4_T5_mT6_P12ihipStream_tbENKUlT_T0_E_clISt17integral_constantIbLb0EESW_IbLb1EEEEDaSS_ST_EUlSS_E_NS1_11comp_targetILNS1_3genE5ELNS1_11target_archE942ELNS1_3gpuE9ELNS1_3repE0EEENS1_30default_config_static_selectorELNS0_4arch9wavefront6targetE1EEEvT1_,comdat
	.protected	_ZN7rocprim17ROCPRIM_400000_NS6detail17trampoline_kernelINS0_14default_configENS1_20scan_config_selectorIyEEZZNS1_9scan_implILNS1_25lookback_scan_determinismE0ELb1ELb1ES3_N6thrust23THRUST_200600_302600_NS6detail15normal_iteratorINS9_10device_ptrIyEEEENS9_16discard_iteratorINS9_11use_defaultEEEyNS9_4plusIvEEyEEDaPvRmT3_T4_T5_mT6_P12ihipStream_tbENKUlT_T0_E_clISt17integral_constantIbLb0EESW_IbLb1EEEEDaSS_ST_EUlSS_E_NS1_11comp_targetILNS1_3genE5ELNS1_11target_archE942ELNS1_3gpuE9ELNS1_3repE0EEENS1_30default_config_static_selectorELNS0_4arch9wavefront6targetE1EEEvT1_ ; -- Begin function _ZN7rocprim17ROCPRIM_400000_NS6detail17trampoline_kernelINS0_14default_configENS1_20scan_config_selectorIyEEZZNS1_9scan_implILNS1_25lookback_scan_determinismE0ELb1ELb1ES3_N6thrust23THRUST_200600_302600_NS6detail15normal_iteratorINS9_10device_ptrIyEEEENS9_16discard_iteratorINS9_11use_defaultEEEyNS9_4plusIvEEyEEDaPvRmT3_T4_T5_mT6_P12ihipStream_tbENKUlT_T0_E_clISt17integral_constantIbLb0EESW_IbLb1EEEEDaSS_ST_EUlSS_E_NS1_11comp_targetILNS1_3genE5ELNS1_11target_archE942ELNS1_3gpuE9ELNS1_3repE0EEENS1_30default_config_static_selectorELNS0_4arch9wavefront6targetE1EEEvT1_
	.globl	_ZN7rocprim17ROCPRIM_400000_NS6detail17trampoline_kernelINS0_14default_configENS1_20scan_config_selectorIyEEZZNS1_9scan_implILNS1_25lookback_scan_determinismE0ELb1ELb1ES3_N6thrust23THRUST_200600_302600_NS6detail15normal_iteratorINS9_10device_ptrIyEEEENS9_16discard_iteratorINS9_11use_defaultEEEyNS9_4plusIvEEyEEDaPvRmT3_T4_T5_mT6_P12ihipStream_tbENKUlT_T0_E_clISt17integral_constantIbLb0EESW_IbLb1EEEEDaSS_ST_EUlSS_E_NS1_11comp_targetILNS1_3genE5ELNS1_11target_archE942ELNS1_3gpuE9ELNS1_3repE0EEENS1_30default_config_static_selectorELNS0_4arch9wavefront6targetE1EEEvT1_
	.p2align	8
	.type	_ZN7rocprim17ROCPRIM_400000_NS6detail17trampoline_kernelINS0_14default_configENS1_20scan_config_selectorIyEEZZNS1_9scan_implILNS1_25lookback_scan_determinismE0ELb1ELb1ES3_N6thrust23THRUST_200600_302600_NS6detail15normal_iteratorINS9_10device_ptrIyEEEENS9_16discard_iteratorINS9_11use_defaultEEEyNS9_4plusIvEEyEEDaPvRmT3_T4_T5_mT6_P12ihipStream_tbENKUlT_T0_E_clISt17integral_constantIbLb0EESW_IbLb1EEEEDaSS_ST_EUlSS_E_NS1_11comp_targetILNS1_3genE5ELNS1_11target_archE942ELNS1_3gpuE9ELNS1_3repE0EEENS1_30default_config_static_selectorELNS0_4arch9wavefront6targetE1EEEvT1_,@function
_ZN7rocprim17ROCPRIM_400000_NS6detail17trampoline_kernelINS0_14default_configENS1_20scan_config_selectorIyEEZZNS1_9scan_implILNS1_25lookback_scan_determinismE0ELb1ELb1ES3_N6thrust23THRUST_200600_302600_NS6detail15normal_iteratorINS9_10device_ptrIyEEEENS9_16discard_iteratorINS9_11use_defaultEEEyNS9_4plusIvEEyEEDaPvRmT3_T4_T5_mT6_P12ihipStream_tbENKUlT_T0_E_clISt17integral_constantIbLb0EESW_IbLb1EEEEDaSS_ST_EUlSS_E_NS1_11comp_targetILNS1_3genE5ELNS1_11target_archE942ELNS1_3gpuE9ELNS1_3repE0EEENS1_30default_config_static_selectorELNS0_4arch9wavefront6targetE1EEEvT1_: ; @_ZN7rocprim17ROCPRIM_400000_NS6detail17trampoline_kernelINS0_14default_configENS1_20scan_config_selectorIyEEZZNS1_9scan_implILNS1_25lookback_scan_determinismE0ELb1ELb1ES3_N6thrust23THRUST_200600_302600_NS6detail15normal_iteratorINS9_10device_ptrIyEEEENS9_16discard_iteratorINS9_11use_defaultEEEyNS9_4plusIvEEyEEDaPvRmT3_T4_T5_mT6_P12ihipStream_tbENKUlT_T0_E_clISt17integral_constantIbLb0EESW_IbLb1EEEEDaSS_ST_EUlSS_E_NS1_11comp_targetILNS1_3genE5ELNS1_11target_archE942ELNS1_3gpuE9ELNS1_3repE0EEENS1_30default_config_static_selectorELNS0_4arch9wavefront6targetE1EEEvT1_
; %bb.0:
	.section	.rodata,"a",@progbits
	.p2align	6, 0x0
	.amdhsa_kernel _ZN7rocprim17ROCPRIM_400000_NS6detail17trampoline_kernelINS0_14default_configENS1_20scan_config_selectorIyEEZZNS1_9scan_implILNS1_25lookback_scan_determinismE0ELb1ELb1ES3_N6thrust23THRUST_200600_302600_NS6detail15normal_iteratorINS9_10device_ptrIyEEEENS9_16discard_iteratorINS9_11use_defaultEEEyNS9_4plusIvEEyEEDaPvRmT3_T4_T5_mT6_P12ihipStream_tbENKUlT_T0_E_clISt17integral_constantIbLb0EESW_IbLb1EEEEDaSS_ST_EUlSS_E_NS1_11comp_targetILNS1_3genE5ELNS1_11target_archE942ELNS1_3gpuE9ELNS1_3repE0EEENS1_30default_config_static_selectorELNS0_4arch9wavefront6targetE1EEEvT1_
		.amdhsa_group_segment_fixed_size 0
		.amdhsa_private_segment_fixed_size 0
		.amdhsa_kernarg_size 112
		.amdhsa_user_sgpr_count 6
		.amdhsa_user_sgpr_private_segment_buffer 1
		.amdhsa_user_sgpr_dispatch_ptr 0
		.amdhsa_user_sgpr_queue_ptr 0
		.amdhsa_user_sgpr_kernarg_segment_ptr 1
		.amdhsa_user_sgpr_dispatch_id 0
		.amdhsa_user_sgpr_flat_scratch_init 0
		.amdhsa_user_sgpr_kernarg_preload_length 0
		.amdhsa_user_sgpr_kernarg_preload_offset 0
		.amdhsa_user_sgpr_private_segment_size 0
		.amdhsa_uses_dynamic_stack 0
		.amdhsa_system_sgpr_private_segment_wavefront_offset 0
		.amdhsa_system_sgpr_workgroup_id_x 1
		.amdhsa_system_sgpr_workgroup_id_y 0
		.amdhsa_system_sgpr_workgroup_id_z 0
		.amdhsa_system_sgpr_workgroup_info 0
		.amdhsa_system_vgpr_workitem_id 0
		.amdhsa_next_free_vgpr 1
		.amdhsa_next_free_sgpr 0
		.amdhsa_accum_offset 4
		.amdhsa_reserve_vcc 0
		.amdhsa_reserve_flat_scratch 0
		.amdhsa_float_round_mode_32 0
		.amdhsa_float_round_mode_16_64 0
		.amdhsa_float_denorm_mode_32 3
		.amdhsa_float_denorm_mode_16_64 3
		.amdhsa_dx10_clamp 1
		.amdhsa_ieee_mode 1
		.amdhsa_fp16_overflow 0
		.amdhsa_tg_split 0
		.amdhsa_exception_fp_ieee_invalid_op 0
		.amdhsa_exception_fp_denorm_src 0
		.amdhsa_exception_fp_ieee_div_zero 0
		.amdhsa_exception_fp_ieee_overflow 0
		.amdhsa_exception_fp_ieee_underflow 0
		.amdhsa_exception_fp_ieee_inexact 0
		.amdhsa_exception_int_div_zero 0
	.end_amdhsa_kernel
	.section	.text._ZN7rocprim17ROCPRIM_400000_NS6detail17trampoline_kernelINS0_14default_configENS1_20scan_config_selectorIyEEZZNS1_9scan_implILNS1_25lookback_scan_determinismE0ELb1ELb1ES3_N6thrust23THRUST_200600_302600_NS6detail15normal_iteratorINS9_10device_ptrIyEEEENS9_16discard_iteratorINS9_11use_defaultEEEyNS9_4plusIvEEyEEDaPvRmT3_T4_T5_mT6_P12ihipStream_tbENKUlT_T0_E_clISt17integral_constantIbLb0EESW_IbLb1EEEEDaSS_ST_EUlSS_E_NS1_11comp_targetILNS1_3genE5ELNS1_11target_archE942ELNS1_3gpuE9ELNS1_3repE0EEENS1_30default_config_static_selectorELNS0_4arch9wavefront6targetE1EEEvT1_,"axG",@progbits,_ZN7rocprim17ROCPRIM_400000_NS6detail17trampoline_kernelINS0_14default_configENS1_20scan_config_selectorIyEEZZNS1_9scan_implILNS1_25lookback_scan_determinismE0ELb1ELb1ES3_N6thrust23THRUST_200600_302600_NS6detail15normal_iteratorINS9_10device_ptrIyEEEENS9_16discard_iteratorINS9_11use_defaultEEEyNS9_4plusIvEEyEEDaPvRmT3_T4_T5_mT6_P12ihipStream_tbENKUlT_T0_E_clISt17integral_constantIbLb0EESW_IbLb1EEEEDaSS_ST_EUlSS_E_NS1_11comp_targetILNS1_3genE5ELNS1_11target_archE942ELNS1_3gpuE9ELNS1_3repE0EEENS1_30default_config_static_selectorELNS0_4arch9wavefront6targetE1EEEvT1_,comdat
.Lfunc_end5277:
	.size	_ZN7rocprim17ROCPRIM_400000_NS6detail17trampoline_kernelINS0_14default_configENS1_20scan_config_selectorIyEEZZNS1_9scan_implILNS1_25lookback_scan_determinismE0ELb1ELb1ES3_N6thrust23THRUST_200600_302600_NS6detail15normal_iteratorINS9_10device_ptrIyEEEENS9_16discard_iteratorINS9_11use_defaultEEEyNS9_4plusIvEEyEEDaPvRmT3_T4_T5_mT6_P12ihipStream_tbENKUlT_T0_E_clISt17integral_constantIbLb0EESW_IbLb1EEEEDaSS_ST_EUlSS_E_NS1_11comp_targetILNS1_3genE5ELNS1_11target_archE942ELNS1_3gpuE9ELNS1_3repE0EEENS1_30default_config_static_selectorELNS0_4arch9wavefront6targetE1EEEvT1_, .Lfunc_end5277-_ZN7rocprim17ROCPRIM_400000_NS6detail17trampoline_kernelINS0_14default_configENS1_20scan_config_selectorIyEEZZNS1_9scan_implILNS1_25lookback_scan_determinismE0ELb1ELb1ES3_N6thrust23THRUST_200600_302600_NS6detail15normal_iteratorINS9_10device_ptrIyEEEENS9_16discard_iteratorINS9_11use_defaultEEEyNS9_4plusIvEEyEEDaPvRmT3_T4_T5_mT6_P12ihipStream_tbENKUlT_T0_E_clISt17integral_constantIbLb0EESW_IbLb1EEEEDaSS_ST_EUlSS_E_NS1_11comp_targetILNS1_3genE5ELNS1_11target_archE942ELNS1_3gpuE9ELNS1_3repE0EEENS1_30default_config_static_selectorELNS0_4arch9wavefront6targetE1EEEvT1_
                                        ; -- End function
	.section	.AMDGPU.csdata,"",@progbits
; Kernel info:
; codeLenInByte = 0
; NumSgprs: 4
; NumVgprs: 0
; NumAgprs: 0
; TotalNumVgprs: 0
; ScratchSize: 0
; MemoryBound: 0
; FloatMode: 240
; IeeeMode: 1
; LDSByteSize: 0 bytes/workgroup (compile time only)
; SGPRBlocks: 0
; VGPRBlocks: 0
; NumSGPRsForWavesPerEU: 4
; NumVGPRsForWavesPerEU: 1
; AccumOffset: 4
; Occupancy: 8
; WaveLimiterHint : 0
; COMPUTE_PGM_RSRC2:SCRATCH_EN: 0
; COMPUTE_PGM_RSRC2:USER_SGPR: 6
; COMPUTE_PGM_RSRC2:TRAP_HANDLER: 0
; COMPUTE_PGM_RSRC2:TGID_X_EN: 1
; COMPUTE_PGM_RSRC2:TGID_Y_EN: 0
; COMPUTE_PGM_RSRC2:TGID_Z_EN: 0
; COMPUTE_PGM_RSRC2:TIDIG_COMP_CNT: 0
; COMPUTE_PGM_RSRC3_GFX90A:ACCUM_OFFSET: 0
; COMPUTE_PGM_RSRC3_GFX90A:TG_SPLIT: 0
	.section	.text._ZN7rocprim17ROCPRIM_400000_NS6detail17trampoline_kernelINS0_14default_configENS1_20scan_config_selectorIyEEZZNS1_9scan_implILNS1_25lookback_scan_determinismE0ELb1ELb1ES3_N6thrust23THRUST_200600_302600_NS6detail15normal_iteratorINS9_10device_ptrIyEEEENS9_16discard_iteratorINS9_11use_defaultEEEyNS9_4plusIvEEyEEDaPvRmT3_T4_T5_mT6_P12ihipStream_tbENKUlT_T0_E_clISt17integral_constantIbLb0EESW_IbLb1EEEEDaSS_ST_EUlSS_E_NS1_11comp_targetILNS1_3genE4ELNS1_11target_archE910ELNS1_3gpuE8ELNS1_3repE0EEENS1_30default_config_static_selectorELNS0_4arch9wavefront6targetE1EEEvT1_,"axG",@progbits,_ZN7rocprim17ROCPRIM_400000_NS6detail17trampoline_kernelINS0_14default_configENS1_20scan_config_selectorIyEEZZNS1_9scan_implILNS1_25lookback_scan_determinismE0ELb1ELb1ES3_N6thrust23THRUST_200600_302600_NS6detail15normal_iteratorINS9_10device_ptrIyEEEENS9_16discard_iteratorINS9_11use_defaultEEEyNS9_4plusIvEEyEEDaPvRmT3_T4_T5_mT6_P12ihipStream_tbENKUlT_T0_E_clISt17integral_constantIbLb0EESW_IbLb1EEEEDaSS_ST_EUlSS_E_NS1_11comp_targetILNS1_3genE4ELNS1_11target_archE910ELNS1_3gpuE8ELNS1_3repE0EEENS1_30default_config_static_selectorELNS0_4arch9wavefront6targetE1EEEvT1_,comdat
	.protected	_ZN7rocprim17ROCPRIM_400000_NS6detail17trampoline_kernelINS0_14default_configENS1_20scan_config_selectorIyEEZZNS1_9scan_implILNS1_25lookback_scan_determinismE0ELb1ELb1ES3_N6thrust23THRUST_200600_302600_NS6detail15normal_iteratorINS9_10device_ptrIyEEEENS9_16discard_iteratorINS9_11use_defaultEEEyNS9_4plusIvEEyEEDaPvRmT3_T4_T5_mT6_P12ihipStream_tbENKUlT_T0_E_clISt17integral_constantIbLb0EESW_IbLb1EEEEDaSS_ST_EUlSS_E_NS1_11comp_targetILNS1_3genE4ELNS1_11target_archE910ELNS1_3gpuE8ELNS1_3repE0EEENS1_30default_config_static_selectorELNS0_4arch9wavefront6targetE1EEEvT1_ ; -- Begin function _ZN7rocprim17ROCPRIM_400000_NS6detail17trampoline_kernelINS0_14default_configENS1_20scan_config_selectorIyEEZZNS1_9scan_implILNS1_25lookback_scan_determinismE0ELb1ELb1ES3_N6thrust23THRUST_200600_302600_NS6detail15normal_iteratorINS9_10device_ptrIyEEEENS9_16discard_iteratorINS9_11use_defaultEEEyNS9_4plusIvEEyEEDaPvRmT3_T4_T5_mT6_P12ihipStream_tbENKUlT_T0_E_clISt17integral_constantIbLb0EESW_IbLb1EEEEDaSS_ST_EUlSS_E_NS1_11comp_targetILNS1_3genE4ELNS1_11target_archE910ELNS1_3gpuE8ELNS1_3repE0EEENS1_30default_config_static_selectorELNS0_4arch9wavefront6targetE1EEEvT1_
	.globl	_ZN7rocprim17ROCPRIM_400000_NS6detail17trampoline_kernelINS0_14default_configENS1_20scan_config_selectorIyEEZZNS1_9scan_implILNS1_25lookback_scan_determinismE0ELb1ELb1ES3_N6thrust23THRUST_200600_302600_NS6detail15normal_iteratorINS9_10device_ptrIyEEEENS9_16discard_iteratorINS9_11use_defaultEEEyNS9_4plusIvEEyEEDaPvRmT3_T4_T5_mT6_P12ihipStream_tbENKUlT_T0_E_clISt17integral_constantIbLb0EESW_IbLb1EEEEDaSS_ST_EUlSS_E_NS1_11comp_targetILNS1_3genE4ELNS1_11target_archE910ELNS1_3gpuE8ELNS1_3repE0EEENS1_30default_config_static_selectorELNS0_4arch9wavefront6targetE1EEEvT1_
	.p2align	8
	.type	_ZN7rocprim17ROCPRIM_400000_NS6detail17trampoline_kernelINS0_14default_configENS1_20scan_config_selectorIyEEZZNS1_9scan_implILNS1_25lookback_scan_determinismE0ELb1ELb1ES3_N6thrust23THRUST_200600_302600_NS6detail15normal_iteratorINS9_10device_ptrIyEEEENS9_16discard_iteratorINS9_11use_defaultEEEyNS9_4plusIvEEyEEDaPvRmT3_T4_T5_mT6_P12ihipStream_tbENKUlT_T0_E_clISt17integral_constantIbLb0EESW_IbLb1EEEEDaSS_ST_EUlSS_E_NS1_11comp_targetILNS1_3genE4ELNS1_11target_archE910ELNS1_3gpuE8ELNS1_3repE0EEENS1_30default_config_static_selectorELNS0_4arch9wavefront6targetE1EEEvT1_,@function
_ZN7rocprim17ROCPRIM_400000_NS6detail17trampoline_kernelINS0_14default_configENS1_20scan_config_selectorIyEEZZNS1_9scan_implILNS1_25lookback_scan_determinismE0ELb1ELb1ES3_N6thrust23THRUST_200600_302600_NS6detail15normal_iteratorINS9_10device_ptrIyEEEENS9_16discard_iteratorINS9_11use_defaultEEEyNS9_4plusIvEEyEEDaPvRmT3_T4_T5_mT6_P12ihipStream_tbENKUlT_T0_E_clISt17integral_constantIbLb0EESW_IbLb1EEEEDaSS_ST_EUlSS_E_NS1_11comp_targetILNS1_3genE4ELNS1_11target_archE910ELNS1_3gpuE8ELNS1_3repE0EEENS1_30default_config_static_selectorELNS0_4arch9wavefront6targetE1EEEvT1_: ; @_ZN7rocprim17ROCPRIM_400000_NS6detail17trampoline_kernelINS0_14default_configENS1_20scan_config_selectorIyEEZZNS1_9scan_implILNS1_25lookback_scan_determinismE0ELb1ELb1ES3_N6thrust23THRUST_200600_302600_NS6detail15normal_iteratorINS9_10device_ptrIyEEEENS9_16discard_iteratorINS9_11use_defaultEEEyNS9_4plusIvEEyEEDaPvRmT3_T4_T5_mT6_P12ihipStream_tbENKUlT_T0_E_clISt17integral_constantIbLb0EESW_IbLb1EEEEDaSS_ST_EUlSS_E_NS1_11comp_targetILNS1_3genE4ELNS1_11target_archE910ELNS1_3gpuE8ELNS1_3repE0EEENS1_30default_config_static_selectorELNS0_4arch9wavefront6targetE1EEEvT1_
; %bb.0:
	s_load_dwordx2 s[24:25], s[4:5], 0x38
	v_cmp_ne_u32_e64 s[2:3], 0, v0
	v_cmp_eq_u32_e64 s[0:1], 0, v0
	s_and_saveexec_b64 s[6:7], s[0:1]
	s_cbranch_execz .LBB5278_4
; %bb.1:
	s_mov_b64 s[10:11], exec
	v_mbcnt_lo_u32_b32 v1, s10, 0
	v_mbcnt_hi_u32_b32 v1, s11, v1
	v_cmp_eq_u32_e32 vcc, 0, v1
                                        ; implicit-def: $vgpr2
	s_and_saveexec_b64 s[8:9], vcc
	s_cbranch_execz .LBB5278_3
; %bb.2:
	s_load_dwordx2 s[12:13], s[4:5], 0x68
	s_bcnt1_i32_b64 s10, s[10:11]
	v_mov_b32_e32 v2, 0
	v_mov_b32_e32 v3, s10
	s_waitcnt lgkmcnt(0)
	global_atomic_add v2, v2, v3, s[12:13] glc
.LBB5278_3:
	s_or_b64 exec, exec, s[8:9]
	s_waitcnt vmcnt(0)
	v_readfirstlane_b32 s8, v2
	v_add_u32_e32 v1, s8, v1
	v_mov_b32_e32 v2, 0
	ds_write_b32 v2, v1
.LBB5278_4:
	s_or_b64 exec, exec, s[6:7]
	v_mov_b32_e32 v3, 0
	s_load_dwordx4 s[20:23], s[4:5], 0x0
	s_load_dwordx4 s[8:11], s[4:5], 0x20
	s_load_dword s6, s[4:5], 0x40
	s_load_dwordx8 s[12:19], s[4:5], 0x48
	s_waitcnt lgkmcnt(0)
	s_barrier
	ds_read_b32 v1, v3
	s_lshl_b64 s[4:5], s[22:23], 3
	s_add_u32 s28, s20, s4
	s_movk_i32 s4, 0x380
	s_addc_u32 s29, s21, s5
	s_waitcnt lgkmcnt(0)
	v_mul_lo_u32 v2, v1, s4
	s_add_i32 s4, s6, -1
	s_mul_i32 s5, s4, 0x380
	s_sub_u32 s26, s8, s5
	v_readfirstlane_b32 s30, v1
	s_subb_u32 s27, s9, 0
	v_lshlrev_b64 v[2:3], 3, v[2:3]
	s_cmp_lg_u32 s30, s4
	v_mov_b32_e32 v1, s29
	v_add_co_u32_e32 v20, vcc, s28, v2
	s_cselect_b64 s[20:21], -1, 0
	v_addc_co_u32_e32 v21, vcc, v1, v3, vcc
	s_mov_b64 s[4:5], -1
	s_and_b64 vcc, exec, s[20:21]
	v_lshlrev_b32_e32 v1, 3, v0
	s_barrier
	s_cbranch_vccz .LBB5278_6
; %bb.5:
	v_add_co_u32_e32 v2, vcc, v20, v1
	v_addc_co_u32_e32 v3, vcc, 0, v21, vcc
	flat_load_dwordx2 v[4:5], v[2:3]
	flat_load_dwordx2 v[6:7], v[2:3] offset:1024
	flat_load_dwordx2 v[8:9], v[2:3] offset:2048
	;; [unrolled: 1-line block ×3, first 2 shown]
	v_add_co_u32_e32 v2, vcc, 0x1000, v2
	v_addc_co_u32_e32 v3, vcc, 0, v3, vcc
	flat_load_dwordx2 v[12:13], v[2:3]
	flat_load_dwordx2 v[14:15], v[2:3] offset:1024
	flat_load_dwordx2 v[16:17], v[2:3] offset:2048
	s_mov_b64 s[4:5], 0
	s_waitcnt vmcnt(0) lgkmcnt(0)
	ds_write2st64_b64 v1, v[4:5], v[6:7] offset1:2
	ds_write2st64_b64 v1, v[8:9], v[10:11] offset0:4 offset1:6
	ds_write2st64_b64 v1, v[12:13], v[14:15] offset0:8 offset1:10
	ds_write_b64 v1, v[16:17] offset:6144
	s_waitcnt lgkmcnt(0)
	s_barrier
.LBB5278_6:
	s_andn2_b64 vcc, exec, s[4:5]
	s_cbranch_vccnz .LBB5278_22
; %bb.7:
	flat_load_dwordx2 v[2:3], v[20:21]
	v_cmp_gt_u32_e32 vcc, s26, v0
	s_waitcnt vmcnt(0) lgkmcnt(0)
	v_mov_b32_e32 v4, v2
	v_mov_b32_e32 v5, v3
	;; [unrolled: 1-line block ×10, first 2 shown]
	v_pk_mov_b32 v[18:19], v[14:15], v[14:15] op_sel:[0,1]
	v_pk_mov_b32 v[16:17], v[12:13], v[12:13] op_sel:[0,1]
	;; [unrolled: 1-line block ×8, first 2 shown]
	s_and_saveexec_b64 s[4:5], vcc
	s_cbranch_execz .LBB5278_9
; %bb.8:
	v_add_co_u32_e32 v4, vcc, v20, v1
	v_addc_co_u32_e32 v5, vcc, 0, v21, vcc
	flat_load_dwordx2 v[22:23], v[4:5]
	v_mov_b32_e32 v4, v2
	v_mov_b32_e32 v5, v3
	;; [unrolled: 1-line block ×10, first 2 shown]
	v_pk_mov_b32 v[18:19], v[14:15], v[14:15] op_sel:[0,1]
	v_pk_mov_b32 v[16:17], v[12:13], v[12:13] op_sel:[0,1]
	;; [unrolled: 1-line block ×8, first 2 shown]
	s_waitcnt vmcnt(0) lgkmcnt(0)
	v_pk_mov_b32 v[2:3], v[22:23], v[22:23] op_sel:[0,1]
.LBB5278_9:
	s_or_b64 exec, exec, s[4:5]
	v_or_b32_e32 v4, 0x80, v0
	v_cmp_gt_u32_e32 vcc, s26, v4
	s_and_saveexec_b64 s[4:5], vcc
	s_cbranch_execz .LBB5278_11
; %bb.10:
	v_add_co_u32_e32 v4, vcc, v20, v1
	v_addc_co_u32_e32 v5, vcc, 0, v21, vcc
	flat_load_dwordx2 v[6:7], v[4:5] offset:1024
.LBB5278_11:
	s_or_b64 exec, exec, s[4:5]
	v_or_b32_e32 v4, 0x100, v0
	v_cmp_gt_u32_e32 vcc, s26, v4
	s_and_saveexec_b64 s[4:5], vcc
	s_cbranch_execz .LBB5278_13
; %bb.12:
	v_add_co_u32_e32 v4, vcc, v20, v1
	v_addc_co_u32_e32 v5, vcc, 0, v21, vcc
	flat_load_dwordx2 v[8:9], v[4:5] offset:2048
.LBB5278_13:
	;; [unrolled: 10-line block ×3, first 2 shown]
	s_or_b64 exec, exec, s[4:5]
	v_or_b32_e32 v4, 0x200, v0
	v_cmp_gt_u32_e32 vcc, s26, v4
	s_and_saveexec_b64 s[4:5], vcc
	s_cbranch_execz .LBB5278_17
; %bb.16:
	v_lshlrev_b32_e32 v4, 3, v4
	v_add_co_u32_e32 v4, vcc, v20, v4
	v_addc_co_u32_e32 v5, vcc, 0, v21, vcc
	flat_load_dwordx2 v[12:13], v[4:5]
.LBB5278_17:
	s_or_b64 exec, exec, s[4:5]
	v_or_b32_e32 v4, 0x280, v0
	v_cmp_gt_u32_e32 vcc, s26, v4
	s_and_saveexec_b64 s[4:5], vcc
	s_cbranch_execz .LBB5278_19
; %bb.18:
	v_lshlrev_b32_e32 v4, 3, v4
	v_add_co_u32_e32 v4, vcc, v20, v4
	v_addc_co_u32_e32 v5, vcc, 0, v21, vcc
	flat_load_dwordx2 v[14:15], v[4:5]
.LBB5278_19:
	;; [unrolled: 11-line block ×3, first 2 shown]
	s_or_b64 exec, exec, s[4:5]
	s_waitcnt vmcnt(0) lgkmcnt(0)
	ds_write2st64_b64 v1, v[2:3], v[6:7] offset1:2
	ds_write2st64_b64 v1, v[8:9], v[10:11] offset0:4 offset1:6
	ds_write2st64_b64 v1, v[12:13], v[14:15] offset0:8 offset1:10
	ds_write_b64 v1, v[16:17] offset:6144
	s_waitcnt lgkmcnt(0)
	s_barrier
.LBB5278_22:
	v_mul_u32_u24_e32 v36, 7, v0
	v_lshlrev_b32_e32 v1, 3, v36
	ds_read2_b64 v[10:13], v1 offset1:1
	ds_read2_b64 v[6:9], v1 offset0:2 offset1:3
	ds_read2_b64 v[2:5], v1 offset0:4 offset1:5
	ds_read_b64 v[26:27], v1 offset:48
	s_cmp_lg_u32 s30, 0
	v_lshrrev_b32_e32 v37, 5, v0
	v_cmp_gt_u32_e32 vcc, 64, v0
	s_waitcnt lgkmcnt(0)
	s_barrier
	s_cbranch_scc0 .LBB5278_49
; %bb.23:
	v_add_co_u32_e64 v1, s[4:5], v12, v10
	v_addc_co_u32_e64 v14, s[4:5], v13, v11, s[4:5]
	v_add_co_u32_e64 v1, s[4:5], v1, v6
	v_addc_co_u32_e64 v14, s[4:5], v14, v7, s[4:5]
	;; [unrolled: 2-line block ×6, first 2 shown]
	v_add_lshl_u32 v1, v37, v0, 3
	ds_write_b64 v1, v[18:19]
	s_waitcnt lgkmcnt(0)
	s_barrier
	s_and_saveexec_b64 s[8:9], vcc
	s_cbranch_execz .LBB5278_27
; %bb.24:
	v_lshlrev_b32_e32 v1, 1, v0
	v_lshrrev_b32_e32 v14, 4, v0
	v_add_lshl_u32 v20, v14, v1, 3
	ds_read2_b64 v[14:17], v20 offset1:1
	v_mbcnt_lo_u32_b32 v1, -1, 0
	s_waitcnt lgkmcnt(0)
	v_add_co_u32_e64 v21, s[4:5], v16, v14
	v_addc_co_u32_e64 v22, s[4:5], v17, v15, s[4:5]
	s_nop 0
	v_mov_b32_dpp v16, v21 row_shr:1 row_mask:0xf bank_mask:0xf
	v_add_co_u32_e64 v16, s[4:5], v21, v16
	v_addc_co_u32_e64 v24, s[4:5], 0, v22, s[4:5]
	v_mbcnt_hi_u32_b32 v17, -1, v1
	v_mov_b32_dpp v23, v22 row_shr:1 row_mask:0xf bank_mask:0xf
	v_add_co_u32_e64 v25, s[4:5], 0, v16
	v_and_b32_e32 v1, 15, v17
	v_addc_co_u32_e64 v23, s[4:5], v23, v24, s[4:5]
	v_cmp_eq_u32_e64 s[4:5], 0, v1
	v_cndmask_b32_e64 v16, v16, v21, s[4:5]
	v_cndmask_b32_e64 v23, v23, v22, s[4:5]
	v_cndmask_b32_e64 v24, v25, v21, s[4:5]
	v_mov_b32_dpp v25, v16 row_shr:2 row_mask:0xf bank_mask:0xf
	v_mov_b32_dpp v28, v23 row_shr:2 row_mask:0xf bank_mask:0xf
	v_add_co_u32_e64 v25, s[4:5], v25, v24
	v_addc_co_u32_e64 v28, s[4:5], v28, v23, s[4:5]
	v_cmp_lt_u32_e64 s[4:5], 1, v1
	v_cndmask_b32_e64 v16, v16, v25, s[4:5]
	v_cndmask_b32_e64 v23, v23, v28, s[4:5]
	v_cndmask_b32_e64 v24, v24, v25, s[4:5]
	v_mov_b32_dpp v25, v16 row_shr:4 row_mask:0xf bank_mask:0xf
	v_mov_b32_dpp v28, v23 row_shr:4 row_mask:0xf bank_mask:0xf
	v_add_co_u32_e64 v25, s[4:5], v25, v24
	v_addc_co_u32_e64 v28, s[4:5], v28, v23, s[4:5]
	v_cmp_lt_u32_e64 s[4:5], 3, v1
	;; [unrolled: 8-line block ×3, first 2 shown]
	v_cndmask_b32_e64 v29, v16, v25, s[4:5]
	v_cndmask_b32_e64 v1, v23, v28, s[4:5]
	v_cndmask_b32_e64 v16, v24, v25, s[4:5]
	v_mov_b32_dpp v23, v29 row_bcast:15 row_mask:0xf bank_mask:0xf
	v_mov_b32_dpp v24, v1 row_bcast:15 row_mask:0xf bank_mask:0xf
	v_add_co_u32_e64 v23, s[4:5], v23, v16
	v_and_b32_e32 v28, 16, v17
	v_addc_co_u32_e64 v25, s[4:5], v24, v1, s[4:5]
	v_cmp_eq_u32_e64 s[4:5], 0, v28
	v_cndmask_b32_e64 v28, v25, v1, s[4:5]
	v_cndmask_b32_e64 v24, v23, v29, s[4:5]
	v_cmp_ne_u32_e64 s[6:7], 0, v17
	v_mov_b32_dpp v28, v28 row_bcast:31 row_mask:0xf bank_mask:0xf
	v_mov_b32_dpp v24, v24 row_bcast:31 row_mask:0xf bank_mask:0xf
	s_and_saveexec_b64 s[22:23], s[6:7]
; %bb.25:
	v_cndmask_b32_e64 v1, v25, v1, s[4:5]
	v_cndmask_b32_e64 v16, v23, v16, s[4:5]
	v_cmp_lt_u32_e64 s[4:5], 31, v17
	v_cndmask_b32_e64 v21, 0, v24, s[4:5]
	v_cndmask_b32_e64 v22, 0, v28, s[4:5]
	v_add_co_u32_e64 v21, s[4:5], v21, v16
	v_addc_co_u32_e64 v22, s[4:5], v22, v1, s[4:5]
; %bb.26:
	s_or_b64 exec, exec, s[22:23]
	v_add_u32_e32 v1, -1, v17
	v_and_b32_e32 v16, 64, v17
	v_cmp_lt_i32_e64 s[4:5], v1, v16
	v_cndmask_b32_e64 v1, v1, v17, s[4:5]
	v_lshlrev_b32_e32 v1, 2, v1
	ds_bpermute_b32 v16, v1, v21
	ds_bpermute_b32 v1, v1, v22
	; wave barrier
	s_waitcnt lgkmcnt(1)
	v_add_co_u32_e64 v14, s[4:5], v14, v16
	v_addc_co_u32_e64 v15, s[4:5], 0, v15, s[4:5]
	v_add_co_u32_e64 v14, s[4:5], 0, v14
	s_waitcnt lgkmcnt(0)
	v_addc_co_u32_e64 v1, s[4:5], v15, v1, s[4:5]
	v_cndmask_b32_e64 v15, v1, v19, s[0:1]
	v_cndmask_b32_e64 v14, v14, v18, s[0:1]
	ds_write_b64 v20, v[14:15]
	; wave barrier
	ds_read_b64 v[16:17], v20 offset:8
	s_waitcnt lgkmcnt(0)
	v_add_co_u32_e64 v14, s[4:5], v16, v14
	v_addc_co_u32_e64 v15, s[4:5], v17, v15, s[4:5]
	ds_write_b64 v20, v[14:15] offset:8
.LBB5278_27:
	s_or_b64 exec, exec, s[8:9]
	v_pk_mov_b32 v[22:23], 0, 0
	s_waitcnt lgkmcnt(0)
	s_barrier
	s_and_saveexec_b64 s[4:5], s[2:3]
	s_cbranch_execz .LBB5278_29
; %bb.28:
	v_add_u32_e32 v1, -1, v0
	v_lshrrev_b32_e32 v14, 5, v1
	v_add_lshl_u32 v1, v14, v1, 3
	ds_read_b64 v[22:23], v1
.LBB5278_29:
	s_or_b64 exec, exec, s[4:5]
	s_and_saveexec_b64 s[22:23], vcc
	s_cbranch_execz .LBB5278_48
; %bb.30:
	v_mov_b32_e32 v17, 0
	ds_read_b64 v[14:15], v17 offset:1040
	v_mbcnt_lo_u32_b32 v1, -1, 0
	v_mbcnt_hi_u32_b32 v30, -1, v1
	s_mov_b32 s9, 0
	v_cmp_eq_u32_e64 s[4:5], 0, v30
	s_and_saveexec_b64 s[6:7], s[4:5]
	s_cbranch_execz .LBB5278_32
; %bb.31:
	s_add_i32 s8, s30, 64
	s_lshl_b64 s[8:9], s[8:9], 4
	s_add_u32 s8, s24, s8
	s_addc_u32 s9, s25, s9
	v_mov_b32_e32 v16, 1
	v_pk_mov_b32 v[18:19], s[8:9], s[8:9] op_sel:[0,1]
	s_waitcnt lgkmcnt(0)
	;;#ASMSTART
	global_store_dwordx4 v[18:19], v[14:17] off	
s_waitcnt vmcnt(0)
	;;#ASMEND
.LBB5278_32:
	s_or_b64 exec, exec, s[6:7]
	v_xad_u32 v24, v30, -1, s30
	v_add_u32_e32 v16, 64, v24
	v_lshlrev_b64 v[18:19], 4, v[16:17]
	v_mov_b32_e32 v1, s25
	v_add_co_u32_e32 v28, vcc, s24, v18
	v_addc_co_u32_e32 v29, vcc, v1, v19, vcc
	;;#ASMSTART
	global_load_dwordx4 v[18:21], v[28:29] off glc	
s_waitcnt vmcnt(0)
	;;#ASMEND
	v_and_b32_e32 v1, 0xff, v19
	v_and_b32_e32 v16, 0xff00, v19
	v_or3_b32 v1, 0, v1, v16
	v_or3_b32 v16, v18, 0, 0
	v_and_b32_e32 v18, 0xff000000, v19
	v_and_b32_e32 v19, 0xff0000, v19
	v_or3_b32 v19, v1, v19, v18
	v_or3_b32 v18, v16, 0, 0
	v_cmp_eq_u16_sdwa s[8:9], v20, v17 src0_sel:BYTE_0 src1_sel:DWORD
	s_and_saveexec_b64 s[6:7], s[8:9]
	s_cbranch_execz .LBB5278_36
; %bb.33:
	s_mov_b64 s[8:9], 0
	v_mov_b32_e32 v1, 0
.LBB5278_34:                            ; =>This Inner Loop Header: Depth=1
	;;#ASMSTART
	global_load_dwordx4 v[18:21], v[28:29] off glc	
s_waitcnt vmcnt(0)
	;;#ASMEND
	v_cmp_ne_u16_sdwa s[34:35], v20, v1 src0_sel:BYTE_0 src1_sel:DWORD
	s_or_b64 s[8:9], s[34:35], s[8:9]
	s_andn2_b64 exec, exec, s[8:9]
	s_cbranch_execnz .LBB5278_34
; %bb.35:
	s_or_b64 exec, exec, s[8:9]
.LBB5278_36:
	s_or_b64 exec, exec, s[6:7]
	v_and_b32_e32 v32, 63, v30
	v_cmp_ne_u32_e32 vcc, 63, v32
	v_addc_co_u32_e32 v28, vcc, 0, v30, vcc
	v_lshlrev_b32_e32 v33, 2, v28
	ds_bpermute_b32 v28, v33, v18
	v_mov_b32_e32 v1, 2
	v_cmp_eq_u16_sdwa s[6:7], v20, v1 src0_sel:BYTE_0 src1_sel:DWORD
	v_lshlrev_b64 v[16:17], v30, -1
	ds_bpermute_b32 v29, v33, v19
	v_and_b32_e32 v21, s7, v17
	v_or_b32_e32 v21, 0x80000000, v21
	s_waitcnt lgkmcnt(1)
	v_add_co_u32_e32 v28, vcc, v18, v28
	v_and_b32_e32 v25, s6, v16
	v_ffbl_b32_e32 v21, v21
	v_addc_co_u32_e32 v31, vcc, 0, v19, vcc
	v_add_u32_e32 v21, 32, v21
	v_ffbl_b32_e32 v25, v25
	v_add_co_u32_e32 v35, vcc, 0, v28
	v_cmp_gt_u32_e64 s[6:7], 62, v32
	v_min_u32_e32 v21, v25, v21
	s_waitcnt lgkmcnt(0)
	v_addc_co_u32_e32 v29, vcc, v29, v31, vcc
	v_cndmask_b32_e64 v31, 0, 1, s[6:7]
	v_cmp_lt_u32_e32 vcc, v32, v21
	v_lshlrev_b32_e32 v31, 1, v31
	v_cndmask_b32_e32 v28, v18, v28, vcc
	v_add_lshl_u32 v34, v31, v30, 2
	v_cndmask_b32_e32 v29, v19, v29, vcc
	ds_bpermute_b32 v31, v34, v28
	ds_bpermute_b32 v38, v34, v29
	v_cndmask_b32_e32 v39, v18, v35, vcc
	v_add_u32_e32 v35, 2, v32
	v_cmp_gt_u32_e64 s[8:9], 60, v32
	s_waitcnt lgkmcnt(1)
	v_add_co_u32_e64 v31, s[6:7], v31, v39
	s_waitcnt lgkmcnt(0)
	v_addc_co_u32_e64 v38, s[6:7], v38, v29, s[6:7]
	v_cmp_gt_u32_e64 s[6:7], v35, v21
	v_cndmask_b32_e64 v29, v38, v29, s[6:7]
	v_cndmask_b32_e64 v38, 0, 1, s[8:9]
	v_lshlrev_b32_e32 v38, 2, v38
	v_cndmask_b32_e64 v28, v31, v28, s[6:7]
	v_add_lshl_u32 v38, v38, v30, 2
	ds_bpermute_b32 v40, v38, v28
	ds_bpermute_b32 v41, v38, v29
	v_cndmask_b32_e64 v31, v31, v39, s[6:7]
	v_add_u32_e32 v39, 4, v32
	v_cmp_gt_u32_e64 s[8:9], 56, v32
	s_waitcnt lgkmcnt(1)
	v_add_co_u32_e64 v42, s[6:7], v40, v31
	s_waitcnt lgkmcnt(0)
	v_addc_co_u32_e64 v40, s[6:7], v41, v29, s[6:7]
	v_cmp_gt_u32_e64 s[6:7], v39, v21
	v_cndmask_b32_e64 v29, v40, v29, s[6:7]
	v_cndmask_b32_e64 v40, 0, 1, s[8:9]
	v_lshlrev_b32_e32 v40, 3, v40
	v_cndmask_b32_e64 v28, v42, v28, s[6:7]
	v_add_lshl_u32 v40, v40, v30, 2
	ds_bpermute_b32 v43, v40, v28
	v_cndmask_b32_e64 v31, v42, v31, s[6:7]
	ds_bpermute_b32 v42, v40, v29
	v_add_u32_e32 v41, 8, v32
	v_cmp_gt_u32_e64 s[8:9], 48, v32
	s_waitcnt lgkmcnt(1)
	v_add_co_u32_e64 v43, s[6:7], v43, v31
	s_waitcnt lgkmcnt(0)
	v_addc_co_u32_e64 v42, s[6:7], v42, v29, s[6:7]
	v_cmp_gt_u32_e64 s[6:7], v41, v21
	v_cndmask_b32_e64 v29, v42, v29, s[6:7]
	v_cndmask_b32_e64 v42, 0, 1, s[8:9]
	v_lshlrev_b32_e32 v42, 4, v42
	v_cndmask_b32_e64 v28, v43, v28, s[6:7]
	v_add_lshl_u32 v42, v42, v30, 2
	ds_bpermute_b32 v44, v42, v28
	ds_bpermute_b32 v45, v42, v29
	v_cndmask_b32_e64 v31, v43, v31, s[6:7]
	v_cmp_gt_u32_e64 s[8:9], 32, v32
	v_add_u32_e32 v43, 16, v32
	s_waitcnt lgkmcnt(1)
	v_add_co_u32_e64 v46, s[6:7], v44, v31
	s_waitcnt lgkmcnt(0)
	v_addc_co_u32_e64 v45, s[6:7], v45, v29, s[6:7]
	v_cndmask_b32_e64 v44, 0, 1, s[8:9]
	v_cmp_gt_u32_e64 s[6:7], v43, v21
	v_lshlrev_b32_e32 v44, 5, v44
	v_cndmask_b32_e64 v28, v46, v28, s[6:7]
	v_add_lshl_u32 v44, v44, v30, 2
	v_cndmask_b32_e64 v29, v45, v29, s[6:7]
	ds_bpermute_b32 v28, v44, v28
	ds_bpermute_b32 v30, v44, v29
	v_add_u32_e32 v45, 32, v32
	v_cndmask_b32_e64 v31, v46, v31, s[6:7]
	v_cmp_le_u32_e64 s[6:7], v45, v21
	s_waitcnt lgkmcnt(1)
	v_cndmask_b32_e64 v28, 0, v28, s[6:7]
	s_waitcnt lgkmcnt(0)
	v_cndmask_b32_e64 v21, 0, v30, s[6:7]
	v_add_co_u32_e64 v28, s[6:7], v28, v31
	v_addc_co_u32_e64 v21, s[6:7], v21, v29, s[6:7]
	v_mov_b32_e32 v25, 0
	v_cndmask_b32_e32 v19, v19, v21, vcc
	v_cndmask_b32_e32 v18, v18, v28, vcc
	s_branch .LBB5278_38
.LBB5278_37:                            ;   in Loop: Header=BB5278_38 Depth=1
	s_or_b64 exec, exec, s[6:7]
	v_cmp_eq_u16_sdwa s[6:7], v20, v1 src0_sel:BYTE_0 src1_sel:DWORD
	v_and_b32_e32 v21, s7, v17
	v_or_b32_e32 v21, 0x80000000, v21
	ds_bpermute_b32 v31, v33, v18
	v_and_b32_e32 v30, s6, v16
	v_ffbl_b32_e32 v21, v21
	v_add_u32_e32 v21, 32, v21
	v_ffbl_b32_e32 v30, v30
	v_min_u32_e32 v21, v30, v21
	ds_bpermute_b32 v30, v33, v19
	s_waitcnt lgkmcnt(1)
	v_add_co_u32_e32 v31, vcc, v18, v31
	v_addc_co_u32_e32 v46, vcc, 0, v19, vcc
	v_add_co_u32_e32 v47, vcc, 0, v31
	s_waitcnt lgkmcnt(0)
	v_addc_co_u32_e32 v30, vcc, v30, v46, vcc
	v_cmp_lt_u32_e32 vcc, v32, v21
	v_cndmask_b32_e32 v31, v18, v31, vcc
	ds_bpermute_b32 v46, v34, v31
	v_cndmask_b32_e32 v30, v19, v30, vcc
	ds_bpermute_b32 v48, v34, v30
	v_cndmask_b32_e32 v47, v18, v47, vcc
	v_subrev_u32_e32 v24, 64, v24
	s_waitcnt lgkmcnt(1)
	v_add_co_u32_e64 v46, s[6:7], v46, v47
	s_waitcnt lgkmcnt(0)
	v_addc_co_u32_e64 v48, s[6:7], v48, v30, s[6:7]
	v_cmp_gt_u32_e64 s[6:7], v35, v21
	v_cndmask_b32_e64 v31, v46, v31, s[6:7]
	ds_bpermute_b32 v49, v38, v31
	v_cndmask_b32_e64 v30, v48, v30, s[6:7]
	ds_bpermute_b32 v48, v38, v30
	v_cndmask_b32_e64 v46, v46, v47, s[6:7]
	s_waitcnt lgkmcnt(1)
	v_add_co_u32_e64 v47, s[6:7], v49, v46
	s_waitcnt lgkmcnt(0)
	v_addc_co_u32_e64 v48, s[6:7], v48, v30, s[6:7]
	v_cmp_gt_u32_e64 s[6:7], v39, v21
	v_cndmask_b32_e64 v31, v47, v31, s[6:7]
	ds_bpermute_b32 v49, v40, v31
	v_cndmask_b32_e64 v30, v48, v30, s[6:7]
	ds_bpermute_b32 v48, v40, v30
	v_cndmask_b32_e64 v46, v47, v46, s[6:7]
	;; [unrolled: 10-line block ×3, first 2 shown]
	s_waitcnt lgkmcnt(1)
	v_add_co_u32_e64 v47, s[6:7], v49, v46
	s_waitcnt lgkmcnt(0)
	v_addc_co_u32_e64 v48, s[6:7], v48, v30, s[6:7]
	v_cmp_gt_u32_e64 s[6:7], v43, v21
	v_cndmask_b32_e64 v31, v47, v31, s[6:7]
	v_cndmask_b32_e64 v30, v48, v30, s[6:7]
	ds_bpermute_b32 v31, v44, v31
	ds_bpermute_b32 v48, v44, v30
	v_cndmask_b32_e64 v46, v47, v46, s[6:7]
	v_cmp_le_u32_e64 s[6:7], v45, v21
	s_waitcnt lgkmcnt(1)
	v_cndmask_b32_e64 v31, 0, v31, s[6:7]
	s_waitcnt lgkmcnt(0)
	v_cndmask_b32_e64 v21, 0, v48, s[6:7]
	v_add_co_u32_e64 v31, s[6:7], v31, v46
	v_addc_co_u32_e64 v21, s[6:7], v21, v30, s[6:7]
	v_cndmask_b32_e32 v18, v18, v31, vcc
	v_cndmask_b32_e32 v19, v19, v21, vcc
	v_add_co_u32_e32 v18, vcc, v18, v28
	v_addc_co_u32_e32 v19, vcc, v19, v29, vcc
.LBB5278_38:                            ; =>This Loop Header: Depth=1
                                        ;     Child Loop BB5278_41 Depth 2
	v_cmp_ne_u16_sdwa s[6:7], v20, v1 src0_sel:BYTE_0 src1_sel:DWORD
	v_cndmask_b32_e64 v20, 0, 1, s[6:7]
	;;#ASMSTART
	;;#ASMEND
	v_cmp_ne_u32_e32 vcc, 0, v20
	s_cmp_lg_u64 vcc, exec
	v_pk_mov_b32 v[28:29], v[18:19], v[18:19] op_sel:[0,1]
	s_cbranch_scc1 .LBB5278_43
; %bb.39:                               ;   in Loop: Header=BB5278_38 Depth=1
	v_lshlrev_b64 v[18:19], 4, v[24:25]
	v_mov_b32_e32 v20, s25
	v_add_co_u32_e32 v30, vcc, s24, v18
	v_addc_co_u32_e32 v31, vcc, v20, v19, vcc
	;;#ASMSTART
	global_load_dwordx4 v[18:21], v[30:31] off glc	
s_waitcnt vmcnt(0)
	;;#ASMEND
	v_and_b32_e32 v21, 0xff, v19
	v_and_b32_e32 v46, 0xff00, v19
	v_or3_b32 v21, 0, v21, v46
	v_or3_b32 v18, v18, 0, 0
	v_and_b32_e32 v46, 0xff000000, v19
	v_and_b32_e32 v19, 0xff0000, v19
	v_or3_b32 v19, v21, v19, v46
	v_or3_b32 v18, v18, 0, 0
	v_cmp_eq_u16_sdwa s[8:9], v20, v25 src0_sel:BYTE_0 src1_sel:DWORD
	s_and_saveexec_b64 s[6:7], s[8:9]
	s_cbranch_execz .LBB5278_37
; %bb.40:                               ;   in Loop: Header=BB5278_38 Depth=1
	s_mov_b64 s[8:9], 0
.LBB5278_41:                            ;   Parent Loop BB5278_38 Depth=1
                                        ; =>  This Inner Loop Header: Depth=2
	;;#ASMSTART
	global_load_dwordx4 v[18:21], v[30:31] off glc	
s_waitcnt vmcnt(0)
	;;#ASMEND
	v_cmp_ne_u16_sdwa s[34:35], v20, v25 src0_sel:BYTE_0 src1_sel:DWORD
	s_or_b64 s[8:9], s[34:35], s[8:9]
	s_andn2_b64 exec, exec, s[8:9]
	s_cbranch_execnz .LBB5278_41
; %bb.42:                               ;   in Loop: Header=BB5278_38 Depth=1
	s_or_b64 exec, exec, s[8:9]
	s_branch .LBB5278_37
.LBB5278_43:                            ;   in Loop: Header=BB5278_38 Depth=1
                                        ; implicit-def: $vgpr18_vgpr19
                                        ; implicit-def: $vgpr20
	s_cbranch_execz .LBB5278_38
; %bb.44:
	s_and_saveexec_b64 s[6:7], s[4:5]
	s_cbranch_execz .LBB5278_46
; %bb.45:
	s_add_i32 s4, s30, 64
	s_mov_b32 s5, 0
	s_lshl_b64 s[4:5], s[4:5], 4
	s_add_u32 s4, s24, s4
	v_add_co_u32_e32 v14, vcc, v28, v14
	s_addc_u32 s5, s25, s5
	v_addc_co_u32_e32 v15, vcc, v29, v15, vcc
	v_mov_b32_e32 v16, 2
	v_mov_b32_e32 v17, 0
	v_pk_mov_b32 v[18:19], s[4:5], s[4:5] op_sel:[0,1]
	;;#ASMSTART
	global_store_dwordx4 v[18:19], v[14:17] off	
s_waitcnt vmcnt(0)
	;;#ASMEND
.LBB5278_46:
	s_or_b64 exec, exec, s[6:7]
	s_and_b64 exec, exec, s[0:1]
	s_cbranch_execz .LBB5278_48
; %bb.47:
	v_mov_b32_e32 v1, 0
	ds_write_b64 v1, v[28:29]
.LBB5278_48:
	s_or_b64 exec, exec, s[22:23]
	v_mov_b32_e32 v1, 0
	s_waitcnt lgkmcnt(0)
	s_barrier
	ds_read_b64 v[14:15], v1
	s_waitcnt lgkmcnt(0)
	v_add_co_u32_e32 v14, vcc, v14, v22
	v_addc_co_u32_e32 v15, vcc, v15, v23, vcc
	v_add_co_u32_e32 v28, vcc, v14, v10
	v_addc_co_u32_e32 v29, vcc, v15, v11, vcc
	;; [unrolled: 2-line block ×7, first 2 shown]
	s_branch .LBB5278_61
.LBB5278_49:
                                        ; implicit-def: $vgpr34_vgpr35
                                        ; implicit-def: $vgpr32_vgpr33
                                        ; implicit-def: $vgpr30_vgpr31
                                        ; implicit-def: $vgpr28_vgpr29
                                        ; implicit-def: $vgpr22_vgpr23_vgpr24_vgpr25
                                        ; implicit-def: $vgpr18_vgpr19_vgpr20_vgpr21
                                        ; implicit-def: $vgpr14_vgpr15_vgpr16_vgpr17
	s_cbranch_execz .LBB5278_61
; %bb.50:
	s_cmp_eq_u64 s[16:17], 0
	v_pk_mov_b32 v[20:21], s[10:11], s[10:11] op_sel:[0,1]
	s_cbranch_scc1 .LBB5278_52
; %bb.51:
	v_mov_b32_e32 v1, 0
	v_mov_b32_e32 v15, s29
	v_add_co_u32_e64 v14, vcc, -8, s28
	v_addc_co_u32_e32 v15, vcc, -1, v15, vcc
	global_load_dwordx2 v[16:17], v1, s[12:13]
	flat_load_dwordx2 v[18:19], v[14:15]
	s_waitcnt vmcnt(0) lgkmcnt(0)
	v_add_co_u32_e32 v20, vcc, v16, v18
	v_addc_co_u32_e32 v21, vcc, v17, v19, vcc
.LBB5278_52:
	v_add_co_u32_e32 v1, vcc, v12, v10
	v_addc_co_u32_e32 v14, vcc, v13, v11, vcc
	v_add_co_u32_e32 v1, vcc, v1, v6
	v_addc_co_u32_e32 v14, vcc, v14, v7, vcc
	;; [unrolled: 2-line block ×6, first 2 shown]
	v_add_lshl_u32 v1, v37, v0, 3
	v_cmp_gt_u32_e32 vcc, 64, v0
	ds_write_b64 v1, v[18:19]
	s_waitcnt lgkmcnt(0)
	s_barrier
	s_and_saveexec_b64 s[6:7], vcc
	s_cbranch_execz .LBB5278_56
; %bb.53:
	v_lshlrev_b32_e32 v1, 1, v0
	v_lshrrev_b32_e32 v14, 4, v0
	v_add_lshl_u32 v22, v14, v1, 3
	ds_read2_b64 v[14:17], v22 offset1:1
	v_mbcnt_lo_u32_b32 v1, -1, 0
	s_waitcnt lgkmcnt(0)
	v_add_co_u32_e32 v23, vcc, v16, v14
	v_addc_co_u32_e32 v24, vcc, v17, v15, vcc
	s_nop 0
	v_mov_b32_dpp v16, v23 row_shr:1 row_mask:0xf bank_mask:0xf
	v_add_co_u32_e32 v16, vcc, v23, v16
	v_addc_co_u32_e32 v26, vcc, 0, v24, vcc
	v_mbcnt_hi_u32_b32 v17, -1, v1
	v_mov_b32_dpp v25, v24 row_shr:1 row_mask:0xf bank_mask:0xf
	v_add_co_u32_e32 v27, vcc, 0, v16
	v_and_b32_e32 v1, 15, v17
	v_addc_co_u32_e32 v25, vcc, v25, v26, vcc
	v_cmp_eq_u32_e32 vcc, 0, v1
	v_cndmask_b32_e32 v16, v16, v23, vcc
	v_cndmask_b32_e32 v25, v25, v24, vcc
	v_cndmask_b32_e32 v26, v27, v23, vcc
	v_mov_b32_dpp v27, v16 row_shr:2 row_mask:0xf bank_mask:0xf
	v_mov_b32_dpp v28, v25 row_shr:2 row_mask:0xf bank_mask:0xf
	v_add_co_u32_e32 v27, vcc, v27, v26
	v_addc_co_u32_e32 v28, vcc, v28, v25, vcc
	v_cmp_lt_u32_e32 vcc, 1, v1
	v_cndmask_b32_e32 v16, v16, v27, vcc
	v_cndmask_b32_e32 v25, v25, v28, vcc
	v_cndmask_b32_e32 v26, v26, v27, vcc
	v_mov_b32_dpp v27, v16 row_shr:4 row_mask:0xf bank_mask:0xf
	v_mov_b32_dpp v28, v25 row_shr:4 row_mask:0xf bank_mask:0xf
	v_add_co_u32_e32 v27, vcc, v27, v26
	v_addc_co_u32_e32 v28, vcc, v28, v25, vcc
	v_cmp_lt_u32_e32 vcc, 3, v1
	;; [unrolled: 8-line block ×3, first 2 shown]
	v_cndmask_b32_e32 v29, v16, v27, vcc
	v_cndmask_b32_e32 v1, v25, v28, vcc
	;; [unrolled: 1-line block ×3, first 2 shown]
	v_mov_b32_dpp v25, v29 row_bcast:15 row_mask:0xf bank_mask:0xf
	v_mov_b32_dpp v26, v1 row_bcast:15 row_mask:0xf bank_mask:0xf
	v_add_co_u32_e32 v25, vcc, v25, v16
	v_and_b32_e32 v28, 16, v17
	v_addc_co_u32_e32 v27, vcc, v26, v1, vcc
	v_cmp_eq_u32_e32 vcc, 0, v28
	v_cndmask_b32_e32 v28, v27, v1, vcc
	v_cndmask_b32_e32 v26, v25, v29, vcc
	v_cmp_ne_u32_e64 s[4:5], 0, v17
	v_mov_b32_dpp v28, v28 row_bcast:31 row_mask:0xf bank_mask:0xf
	v_mov_b32_dpp v26, v26 row_bcast:31 row_mask:0xf bank_mask:0xf
	s_and_saveexec_b64 s[8:9], s[4:5]
; %bb.54:
	v_cndmask_b32_e32 v1, v27, v1, vcc
	v_cndmask_b32_e32 v16, v25, v16, vcc
	v_cmp_lt_u32_e32 vcc, 31, v17
	v_cndmask_b32_e32 v23, 0, v26, vcc
	v_cndmask_b32_e32 v24, 0, v28, vcc
	v_add_co_u32_e32 v23, vcc, v23, v16
	v_addc_co_u32_e32 v24, vcc, v24, v1, vcc
; %bb.55:
	s_or_b64 exec, exec, s[8:9]
	v_add_u32_e32 v1, -1, v17
	v_and_b32_e32 v16, 64, v17
	v_cmp_lt_i32_e32 vcc, v1, v16
	v_cndmask_b32_e32 v1, v1, v17, vcc
	v_lshlrev_b32_e32 v1, 2, v1
	ds_bpermute_b32 v16, v1, v23
	ds_bpermute_b32 v1, v1, v24
	; wave barrier
	s_waitcnt lgkmcnt(1)
	v_add_co_u32_e32 v14, vcc, v14, v16
	v_addc_co_u32_e32 v15, vcc, 0, v15, vcc
	v_add_co_u32_e32 v14, vcc, 0, v14
	s_waitcnt lgkmcnt(0)
	v_addc_co_u32_e32 v1, vcc, v15, v1, vcc
	v_cndmask_b32_e64 v15, v1, v19, s[0:1]
	v_cndmask_b32_e64 v14, v14, v18, s[0:1]
	ds_write_b64 v22, v[14:15]
	; wave barrier
	ds_read_b64 v[16:17], v22 offset:8
	s_waitcnt lgkmcnt(0)
	v_add_co_u32_e32 v14, vcc, v16, v14
	v_addc_co_u32_e32 v15, vcc, v17, v15, vcc
	ds_write_b64 v22, v[14:15] offset:8
.LBB5278_56:
	s_or_b64 exec, exec, s[6:7]
	v_pk_mov_b32 v[14:15], v[20:21], v[20:21] op_sel:[0,1]
	s_waitcnt lgkmcnt(0)
	s_barrier
	s_and_saveexec_b64 s[4:5], s[2:3]
	s_cbranch_execz .LBB5278_58
; %bb.57:
	v_add_u32_e32 v1, -1, v0
	v_lshrrev_b32_e32 v14, 5, v1
	v_add_lshl_u32 v1, v14, v1, 3
	ds_read_b64 v[14:15], v1
	s_waitcnt lgkmcnt(0)
	v_add_co_u32_e32 v14, vcc, v14, v20
	v_addc_co_u32_e32 v15, vcc, v15, v21, vcc
.LBB5278_58:
	s_or_b64 exec, exec, s[4:5]
	v_add_co_u32_e32 v28, vcc, v14, v10
	v_addc_co_u32_e32 v29, vcc, v15, v11, vcc
	v_add_co_u32_e32 v18, vcc, v28, v12
	v_addc_co_u32_e32 v19, vcc, v29, v13, vcc
	;; [unrolled: 2-line block ×6, first 2 shown]
	s_and_saveexec_b64 s[2:3], s[0:1]
	s_cbranch_execz .LBB5278_60
; %bb.59:
	v_mov_b32_e32 v5, 0
	ds_read_b64 v[2:3], v5 offset:1040
	s_add_u32 s0, s24, 0x400
	s_addc_u32 s1, s25, 0
	v_mov_b32_e32 v4, 2
	v_pk_mov_b32 v[6:7], s[0:1], s[0:1] op_sel:[0,1]
	s_waitcnt lgkmcnt(0)
	v_add_co_u32_e32 v2, vcc, v2, v20
	v_addc_co_u32_e32 v3, vcc, v3, v21, vcc
	;;#ASMSTART
	global_store_dwordx4 v[6:7], v[2:5] off	
s_waitcnt vmcnt(0)
	;;#ASMEND
.LBB5278_60:
	s_or_b64 exec, exec, s[2:3]
.LBB5278_61:
	v_mul_u32_u24_e32 v2, 56, v0
	s_mov_b64 s[0:1], -1
	s_and_b64 vcc, exec, s[20:21]
	s_barrier
	ds_write2_b64 v2, v[14:15], v[28:29] offset1:1
	ds_write2_b64 v2, v[18:19], v[30:31] offset0:2 offset1:3
	ds_write2_b64 v2, v[22:23], v[32:33] offset0:4 offset1:5
	ds_write_b64 v2, v[34:35] offset:48
	s_waitcnt lgkmcnt(0)
	s_cbranch_vccz .LBB5278_63
; %bb.62:
	s_barrier
	s_mov_b64 s[0:1], 0
.LBB5278_63:
	s_andn2_b64 vcc, exec, s[0:1]
	s_cbranch_vccnz .LBB5278_88
; %bb.64:
	v_cmp_lt_u64_e64 s[0:1], s[18:19], 2
	s_and_b64 vcc, exec, s[0:1]
	s_barrier
	s_cbranch_vccnz .LBB5278_88
; %bb.65:
	s_add_u32 s0, s26, -1
	s_addc_u32 s1, s27, -1
	s_add_u32 s2, 0, 0x92481000
	s_addc_u32 s3, 0, 0x64
	s_add_i32 s3, s3, 0x249248c0
	s_mul_hi_u32 s7, s2, -7
	s_sub_i32 s7, s7, s2
	s_mul_i32 s8, s3, -7
	s_mul_i32 s4, s2, -7
	s_add_i32 s7, s7, s8
	s_mul_hi_u32 s5, s3, s4
	s_mul_i32 s6, s3, s4
	s_mul_i32 s9, s2, s7
	s_mul_hi_u32 s4, s2, s4
	s_mul_hi_u32 s8, s2, s7
	s_add_u32 s4, s4, s9
	s_addc_u32 s8, 0, s8
	s_add_u32 s4, s4, s6
	s_mul_hi_u32 s9, s3, s7
	s_addc_u32 s4, s8, s5
	s_addc_u32 s5, s9, 0
	s_mul_i32 s6, s3, s7
	s_add_u32 s4, s4, s6
	v_mov_b32_e32 v3, s4
	s_addc_u32 s5, 0, s5
	v_add_co_u32_e32 v3, vcc, s2, v3
	s_cmp_lg_u64 vcc, 0
	s_addc_u32 s2, s3, s5
	v_readfirstlane_b32 s5, v3
	s_mul_i32 s4, s0, s2
	s_mul_hi_u32 s6, s0, s5
	s_mul_hi_u32 s3, s0, s2
	s_add_u32 s4, s6, s4
	s_addc_u32 s3, 0, s3
	s_mul_hi_u32 s7, s1, s5
	s_mul_i32 s5, s1, s5
	s_add_u32 s4, s4, s5
	s_mul_hi_u32 s6, s1, s2
	s_addc_u32 s3, s3, s7
	s_addc_u32 s4, s6, 0
	s_mul_i32 s2, s1, s2
	s_add_u32 s2, s3, s2
	s_addc_u32 s3, 0, s4
	s_add_u32 s4, s2, 1
	s_addc_u32 s5, s3, 0
	s_add_u32 s6, s2, 2
	s_mul_i32 s8, s3, 7
	s_mul_hi_u32 s9, s2, 7
	s_addc_u32 s7, s3, 0
	s_add_i32 s9, s9, s8
	s_mul_i32 s8, s2, 7
	v_mov_b32_e32 v3, s8
	v_sub_co_u32_e32 v3, vcc, s0, v3
	s_cmp_lg_u64 vcc, 0
	s_subb_u32 s8, s1, s9
	v_subrev_co_u32_e32 v4, vcc, 7, v3
	s_cmp_lg_u64 vcc, 0
	s_subb_u32 s9, s8, 0
	v_readfirstlane_b32 s10, v4
	s_cmp_gt_u32 s10, 6
	s_cselect_b32 s10, -1, 0
	s_cmp_eq_u32 s9, 0
	s_cselect_b32 s9, s10, -1
	s_cmp_lg_u32 s9, 0
	s_cselect_b32 s4, s6, s4
	v_readfirstlane_b32 s6, v3
	s_cselect_b32 s5, s7, s5
	s_cmp_gt_u32 s6, 6
	s_cselect_b32 s6, -1, 0
	s_cmp_eq_u32 s8, 0
	s_cselect_b32 s6, s6, -1
	s_cmp_lg_u32 s6, 0
	v_mov_b32_e32 v1, 0
	s_cselect_b32 s3, s5, s3
	s_cselect_b32 s2, s4, s2
	v_cmp_eq_u64_e32 vcc, s[2:3], v[0:1]
	s_and_saveexec_b64 s[2:3], vcc
	s_cbranch_execz .LBB5278_88
; %bb.66:
	s_movk_i32 s2, 0xffd0
	v_mad_i32_i24 v2, v0, s2, v2
	v_mul_hi_u32_u24_e32 v1, 7, v0
	v_mov_b32_e32 v3, s1
	v_sub_co_u32_e32 v0, vcc, s0, v36
	v_subb_co_u32_e32 v1, vcc, v3, v1, vcc
	v_cmp_lt_i64_e32 vcc, 3, v[0:1]
	s_and_saveexec_b64 s[0:1], vcc
	s_xor_b64 s[0:1], exec, s[0:1]
	s_cbranch_execz .LBB5278_76
; %bb.67:
	v_cmp_lt_i64_e32 vcc, 4, v[0:1]
	s_and_saveexec_b64 s[2:3], vcc
	s_xor_b64 s[2:3], exec, s[2:3]
	s_cbranch_execz .LBB5278_73
; %bb.68:
	v_cmp_lt_i64_e32 vcc, 5, v[0:1]
	s_and_saveexec_b64 s[4:5], vcc
	s_xor_b64 s[4:5], exec, s[4:5]
	s_cbranch_execz .LBB5278_70
; %bb.69:
	ds_read_b64 v[0:1], v2 offset:6144
	v_mov_b32_e32 v2, 0
	s_waitcnt lgkmcnt(0)
	global_store_dwordx2 v2, v[0:1], s[14:15]
                                        ; implicit-def: $vgpr2
.LBB5278_70:
	s_andn2_saveexec_b64 s[4:5], s[4:5]
	s_cbranch_execz .LBB5278_72
; %bb.71:
	ds_read_b64 v[0:1], v2 offset:5120
	v_mov_b32_e32 v2, 0
	s_waitcnt lgkmcnt(0)
	global_store_dwordx2 v2, v[0:1], s[14:15]
.LBB5278_72:
	s_or_b64 exec, exec, s[4:5]
                                        ; implicit-def: $vgpr2
.LBB5278_73:
	s_andn2_saveexec_b64 s[2:3], s[2:3]
	s_cbranch_execz .LBB5278_75
; %bb.74:
	ds_read_b64 v[0:1], v2 offset:4096
	v_mov_b32_e32 v2, 0
	s_waitcnt lgkmcnt(0)
	global_store_dwordx2 v2, v[0:1], s[14:15]
.LBB5278_75:
	s_or_b64 exec, exec, s[2:3]
                                        ; implicit-def: $vgpr0_vgpr1
                                        ; implicit-def: $vgpr2
.LBB5278_76:
	s_andn2_saveexec_b64 s[0:1], s[0:1]
	s_cbranch_execz .LBB5278_88
; %bb.77:
	v_cmp_lt_i64_e32 vcc, 1, v[0:1]
	s_and_saveexec_b64 s[0:1], vcc
	s_xor_b64 s[0:1], exec, s[0:1]
	s_cbranch_execz .LBB5278_83
; %bb.78:
	v_cmp_lt_i64_e32 vcc, 2, v[0:1]
	s_and_saveexec_b64 s[2:3], vcc
	s_xor_b64 s[2:3], exec, s[2:3]
	s_cbranch_execz .LBB5278_80
; %bb.79:
	ds_read_b64 v[0:1], v2 offset:3072
	v_mov_b32_e32 v2, 0
	s_waitcnt lgkmcnt(0)
	global_store_dwordx2 v2, v[0:1], s[14:15]
                                        ; implicit-def: $vgpr2
.LBB5278_80:
	s_andn2_saveexec_b64 s[2:3], s[2:3]
	s_cbranch_execz .LBB5278_82
; %bb.81:
	ds_read_b64 v[0:1], v2 offset:2048
	v_mov_b32_e32 v2, 0
	s_waitcnt lgkmcnt(0)
	global_store_dwordx2 v2, v[0:1], s[14:15]
.LBB5278_82:
	s_or_b64 exec, exec, s[2:3]
                                        ; implicit-def: $vgpr2
                                        ; implicit-def: $vgpr0_vgpr1
.LBB5278_83:
	s_andn2_saveexec_b64 s[0:1], s[0:1]
	s_cbranch_execz .LBB5278_88
; %bb.84:
	v_cmp_ne_u64_e32 vcc, 1, v[0:1]
	s_and_saveexec_b64 s[0:1], vcc
	s_xor_b64 s[0:1], exec, s[0:1]
	s_cbranch_execz .LBB5278_86
; %bb.85:
	ds_read_b64 v[0:1], v2
	v_mov_b32_e32 v2, 0
	s_waitcnt lgkmcnt(0)
	global_store_dwordx2 v2, v[0:1], s[14:15]
                                        ; implicit-def: $vgpr2
.LBB5278_86:
	s_andn2_saveexec_b64 s[0:1], s[0:1]
	s_cbranch_execz .LBB5278_88
; %bb.87:
	ds_read_b64 v[0:1], v2 offset:1024
	v_mov_b32_e32 v2, 0
	s_waitcnt lgkmcnt(0)
	global_store_dwordx2 v2, v[0:1], s[14:15]
.LBB5278_88:
	s_endpgm
	.section	.rodata,"a",@progbits
	.p2align	6, 0x0
	.amdhsa_kernel _ZN7rocprim17ROCPRIM_400000_NS6detail17trampoline_kernelINS0_14default_configENS1_20scan_config_selectorIyEEZZNS1_9scan_implILNS1_25lookback_scan_determinismE0ELb1ELb1ES3_N6thrust23THRUST_200600_302600_NS6detail15normal_iteratorINS9_10device_ptrIyEEEENS9_16discard_iteratorINS9_11use_defaultEEEyNS9_4plusIvEEyEEDaPvRmT3_T4_T5_mT6_P12ihipStream_tbENKUlT_T0_E_clISt17integral_constantIbLb0EESW_IbLb1EEEEDaSS_ST_EUlSS_E_NS1_11comp_targetILNS1_3genE4ELNS1_11target_archE910ELNS1_3gpuE8ELNS1_3repE0EEENS1_30default_config_static_selectorELNS0_4arch9wavefront6targetE1EEEvT1_
		.amdhsa_group_segment_fixed_size 7168
		.amdhsa_private_segment_fixed_size 0
		.amdhsa_kernarg_size 112
		.amdhsa_user_sgpr_count 6
		.amdhsa_user_sgpr_private_segment_buffer 1
		.amdhsa_user_sgpr_dispatch_ptr 0
		.amdhsa_user_sgpr_queue_ptr 0
		.amdhsa_user_sgpr_kernarg_segment_ptr 1
		.amdhsa_user_sgpr_dispatch_id 0
		.amdhsa_user_sgpr_flat_scratch_init 0
		.amdhsa_user_sgpr_kernarg_preload_length 0
		.amdhsa_user_sgpr_kernarg_preload_offset 0
		.amdhsa_user_sgpr_private_segment_size 0
		.amdhsa_uses_dynamic_stack 0
		.amdhsa_system_sgpr_private_segment_wavefront_offset 0
		.amdhsa_system_sgpr_workgroup_id_x 1
		.amdhsa_system_sgpr_workgroup_id_y 0
		.amdhsa_system_sgpr_workgroup_id_z 0
		.amdhsa_system_sgpr_workgroup_info 0
		.amdhsa_system_vgpr_workitem_id 0
		.amdhsa_next_free_vgpr 50
		.amdhsa_next_free_sgpr 36
		.amdhsa_accum_offset 52
		.amdhsa_reserve_vcc 1
		.amdhsa_reserve_flat_scratch 0
		.amdhsa_float_round_mode_32 0
		.amdhsa_float_round_mode_16_64 0
		.amdhsa_float_denorm_mode_32 3
		.amdhsa_float_denorm_mode_16_64 3
		.amdhsa_dx10_clamp 1
		.amdhsa_ieee_mode 1
		.amdhsa_fp16_overflow 0
		.amdhsa_tg_split 0
		.amdhsa_exception_fp_ieee_invalid_op 0
		.amdhsa_exception_fp_denorm_src 0
		.amdhsa_exception_fp_ieee_div_zero 0
		.amdhsa_exception_fp_ieee_overflow 0
		.amdhsa_exception_fp_ieee_underflow 0
		.amdhsa_exception_fp_ieee_inexact 0
		.amdhsa_exception_int_div_zero 0
	.end_amdhsa_kernel
	.section	.text._ZN7rocprim17ROCPRIM_400000_NS6detail17trampoline_kernelINS0_14default_configENS1_20scan_config_selectorIyEEZZNS1_9scan_implILNS1_25lookback_scan_determinismE0ELb1ELb1ES3_N6thrust23THRUST_200600_302600_NS6detail15normal_iteratorINS9_10device_ptrIyEEEENS9_16discard_iteratorINS9_11use_defaultEEEyNS9_4plusIvEEyEEDaPvRmT3_T4_T5_mT6_P12ihipStream_tbENKUlT_T0_E_clISt17integral_constantIbLb0EESW_IbLb1EEEEDaSS_ST_EUlSS_E_NS1_11comp_targetILNS1_3genE4ELNS1_11target_archE910ELNS1_3gpuE8ELNS1_3repE0EEENS1_30default_config_static_selectorELNS0_4arch9wavefront6targetE1EEEvT1_,"axG",@progbits,_ZN7rocprim17ROCPRIM_400000_NS6detail17trampoline_kernelINS0_14default_configENS1_20scan_config_selectorIyEEZZNS1_9scan_implILNS1_25lookback_scan_determinismE0ELb1ELb1ES3_N6thrust23THRUST_200600_302600_NS6detail15normal_iteratorINS9_10device_ptrIyEEEENS9_16discard_iteratorINS9_11use_defaultEEEyNS9_4plusIvEEyEEDaPvRmT3_T4_T5_mT6_P12ihipStream_tbENKUlT_T0_E_clISt17integral_constantIbLb0EESW_IbLb1EEEEDaSS_ST_EUlSS_E_NS1_11comp_targetILNS1_3genE4ELNS1_11target_archE910ELNS1_3gpuE8ELNS1_3repE0EEENS1_30default_config_static_selectorELNS0_4arch9wavefront6targetE1EEEvT1_,comdat
.Lfunc_end5278:
	.size	_ZN7rocprim17ROCPRIM_400000_NS6detail17trampoline_kernelINS0_14default_configENS1_20scan_config_selectorIyEEZZNS1_9scan_implILNS1_25lookback_scan_determinismE0ELb1ELb1ES3_N6thrust23THRUST_200600_302600_NS6detail15normal_iteratorINS9_10device_ptrIyEEEENS9_16discard_iteratorINS9_11use_defaultEEEyNS9_4plusIvEEyEEDaPvRmT3_T4_T5_mT6_P12ihipStream_tbENKUlT_T0_E_clISt17integral_constantIbLb0EESW_IbLb1EEEEDaSS_ST_EUlSS_E_NS1_11comp_targetILNS1_3genE4ELNS1_11target_archE910ELNS1_3gpuE8ELNS1_3repE0EEENS1_30default_config_static_selectorELNS0_4arch9wavefront6targetE1EEEvT1_, .Lfunc_end5278-_ZN7rocprim17ROCPRIM_400000_NS6detail17trampoline_kernelINS0_14default_configENS1_20scan_config_selectorIyEEZZNS1_9scan_implILNS1_25lookback_scan_determinismE0ELb1ELb1ES3_N6thrust23THRUST_200600_302600_NS6detail15normal_iteratorINS9_10device_ptrIyEEEENS9_16discard_iteratorINS9_11use_defaultEEEyNS9_4plusIvEEyEEDaPvRmT3_T4_T5_mT6_P12ihipStream_tbENKUlT_T0_E_clISt17integral_constantIbLb0EESW_IbLb1EEEEDaSS_ST_EUlSS_E_NS1_11comp_targetILNS1_3genE4ELNS1_11target_archE910ELNS1_3gpuE8ELNS1_3repE0EEENS1_30default_config_static_selectorELNS0_4arch9wavefront6targetE1EEEvT1_
                                        ; -- End function
	.section	.AMDGPU.csdata,"",@progbits
; Kernel info:
; codeLenInByte = 5204
; NumSgprs: 40
; NumVgprs: 50
; NumAgprs: 0
; TotalNumVgprs: 50
; ScratchSize: 0
; MemoryBound: 0
; FloatMode: 240
; IeeeMode: 1
; LDSByteSize: 7168 bytes/workgroup (compile time only)
; SGPRBlocks: 4
; VGPRBlocks: 6
; NumSGPRsForWavesPerEU: 40
; NumVGPRsForWavesPerEU: 50
; AccumOffset: 52
; Occupancy: 5
; WaveLimiterHint : 1
; COMPUTE_PGM_RSRC2:SCRATCH_EN: 0
; COMPUTE_PGM_RSRC2:USER_SGPR: 6
; COMPUTE_PGM_RSRC2:TRAP_HANDLER: 0
; COMPUTE_PGM_RSRC2:TGID_X_EN: 1
; COMPUTE_PGM_RSRC2:TGID_Y_EN: 0
; COMPUTE_PGM_RSRC2:TGID_Z_EN: 0
; COMPUTE_PGM_RSRC2:TIDIG_COMP_CNT: 0
; COMPUTE_PGM_RSRC3_GFX90A:ACCUM_OFFSET: 12
; COMPUTE_PGM_RSRC3_GFX90A:TG_SPLIT: 0
	.section	.text._ZN7rocprim17ROCPRIM_400000_NS6detail17trampoline_kernelINS0_14default_configENS1_20scan_config_selectorIyEEZZNS1_9scan_implILNS1_25lookback_scan_determinismE0ELb1ELb1ES3_N6thrust23THRUST_200600_302600_NS6detail15normal_iteratorINS9_10device_ptrIyEEEENS9_16discard_iteratorINS9_11use_defaultEEEyNS9_4plusIvEEyEEDaPvRmT3_T4_T5_mT6_P12ihipStream_tbENKUlT_T0_E_clISt17integral_constantIbLb0EESW_IbLb1EEEEDaSS_ST_EUlSS_E_NS1_11comp_targetILNS1_3genE3ELNS1_11target_archE908ELNS1_3gpuE7ELNS1_3repE0EEENS1_30default_config_static_selectorELNS0_4arch9wavefront6targetE1EEEvT1_,"axG",@progbits,_ZN7rocprim17ROCPRIM_400000_NS6detail17trampoline_kernelINS0_14default_configENS1_20scan_config_selectorIyEEZZNS1_9scan_implILNS1_25lookback_scan_determinismE0ELb1ELb1ES3_N6thrust23THRUST_200600_302600_NS6detail15normal_iteratorINS9_10device_ptrIyEEEENS9_16discard_iteratorINS9_11use_defaultEEEyNS9_4plusIvEEyEEDaPvRmT3_T4_T5_mT6_P12ihipStream_tbENKUlT_T0_E_clISt17integral_constantIbLb0EESW_IbLb1EEEEDaSS_ST_EUlSS_E_NS1_11comp_targetILNS1_3genE3ELNS1_11target_archE908ELNS1_3gpuE7ELNS1_3repE0EEENS1_30default_config_static_selectorELNS0_4arch9wavefront6targetE1EEEvT1_,comdat
	.protected	_ZN7rocprim17ROCPRIM_400000_NS6detail17trampoline_kernelINS0_14default_configENS1_20scan_config_selectorIyEEZZNS1_9scan_implILNS1_25lookback_scan_determinismE0ELb1ELb1ES3_N6thrust23THRUST_200600_302600_NS6detail15normal_iteratorINS9_10device_ptrIyEEEENS9_16discard_iteratorINS9_11use_defaultEEEyNS9_4plusIvEEyEEDaPvRmT3_T4_T5_mT6_P12ihipStream_tbENKUlT_T0_E_clISt17integral_constantIbLb0EESW_IbLb1EEEEDaSS_ST_EUlSS_E_NS1_11comp_targetILNS1_3genE3ELNS1_11target_archE908ELNS1_3gpuE7ELNS1_3repE0EEENS1_30default_config_static_selectorELNS0_4arch9wavefront6targetE1EEEvT1_ ; -- Begin function _ZN7rocprim17ROCPRIM_400000_NS6detail17trampoline_kernelINS0_14default_configENS1_20scan_config_selectorIyEEZZNS1_9scan_implILNS1_25lookback_scan_determinismE0ELb1ELb1ES3_N6thrust23THRUST_200600_302600_NS6detail15normal_iteratorINS9_10device_ptrIyEEEENS9_16discard_iteratorINS9_11use_defaultEEEyNS9_4plusIvEEyEEDaPvRmT3_T4_T5_mT6_P12ihipStream_tbENKUlT_T0_E_clISt17integral_constantIbLb0EESW_IbLb1EEEEDaSS_ST_EUlSS_E_NS1_11comp_targetILNS1_3genE3ELNS1_11target_archE908ELNS1_3gpuE7ELNS1_3repE0EEENS1_30default_config_static_selectorELNS0_4arch9wavefront6targetE1EEEvT1_
	.globl	_ZN7rocprim17ROCPRIM_400000_NS6detail17trampoline_kernelINS0_14default_configENS1_20scan_config_selectorIyEEZZNS1_9scan_implILNS1_25lookback_scan_determinismE0ELb1ELb1ES3_N6thrust23THRUST_200600_302600_NS6detail15normal_iteratorINS9_10device_ptrIyEEEENS9_16discard_iteratorINS9_11use_defaultEEEyNS9_4plusIvEEyEEDaPvRmT3_T4_T5_mT6_P12ihipStream_tbENKUlT_T0_E_clISt17integral_constantIbLb0EESW_IbLb1EEEEDaSS_ST_EUlSS_E_NS1_11comp_targetILNS1_3genE3ELNS1_11target_archE908ELNS1_3gpuE7ELNS1_3repE0EEENS1_30default_config_static_selectorELNS0_4arch9wavefront6targetE1EEEvT1_
	.p2align	8
	.type	_ZN7rocprim17ROCPRIM_400000_NS6detail17trampoline_kernelINS0_14default_configENS1_20scan_config_selectorIyEEZZNS1_9scan_implILNS1_25lookback_scan_determinismE0ELb1ELb1ES3_N6thrust23THRUST_200600_302600_NS6detail15normal_iteratorINS9_10device_ptrIyEEEENS9_16discard_iteratorINS9_11use_defaultEEEyNS9_4plusIvEEyEEDaPvRmT3_T4_T5_mT6_P12ihipStream_tbENKUlT_T0_E_clISt17integral_constantIbLb0EESW_IbLb1EEEEDaSS_ST_EUlSS_E_NS1_11comp_targetILNS1_3genE3ELNS1_11target_archE908ELNS1_3gpuE7ELNS1_3repE0EEENS1_30default_config_static_selectorELNS0_4arch9wavefront6targetE1EEEvT1_,@function
_ZN7rocprim17ROCPRIM_400000_NS6detail17trampoline_kernelINS0_14default_configENS1_20scan_config_selectorIyEEZZNS1_9scan_implILNS1_25lookback_scan_determinismE0ELb1ELb1ES3_N6thrust23THRUST_200600_302600_NS6detail15normal_iteratorINS9_10device_ptrIyEEEENS9_16discard_iteratorINS9_11use_defaultEEEyNS9_4plusIvEEyEEDaPvRmT3_T4_T5_mT6_P12ihipStream_tbENKUlT_T0_E_clISt17integral_constantIbLb0EESW_IbLb1EEEEDaSS_ST_EUlSS_E_NS1_11comp_targetILNS1_3genE3ELNS1_11target_archE908ELNS1_3gpuE7ELNS1_3repE0EEENS1_30default_config_static_selectorELNS0_4arch9wavefront6targetE1EEEvT1_: ; @_ZN7rocprim17ROCPRIM_400000_NS6detail17trampoline_kernelINS0_14default_configENS1_20scan_config_selectorIyEEZZNS1_9scan_implILNS1_25lookback_scan_determinismE0ELb1ELb1ES3_N6thrust23THRUST_200600_302600_NS6detail15normal_iteratorINS9_10device_ptrIyEEEENS9_16discard_iteratorINS9_11use_defaultEEEyNS9_4plusIvEEyEEDaPvRmT3_T4_T5_mT6_P12ihipStream_tbENKUlT_T0_E_clISt17integral_constantIbLb0EESW_IbLb1EEEEDaSS_ST_EUlSS_E_NS1_11comp_targetILNS1_3genE3ELNS1_11target_archE908ELNS1_3gpuE7ELNS1_3repE0EEENS1_30default_config_static_selectorELNS0_4arch9wavefront6targetE1EEEvT1_
; %bb.0:
	.section	.rodata,"a",@progbits
	.p2align	6, 0x0
	.amdhsa_kernel _ZN7rocprim17ROCPRIM_400000_NS6detail17trampoline_kernelINS0_14default_configENS1_20scan_config_selectorIyEEZZNS1_9scan_implILNS1_25lookback_scan_determinismE0ELb1ELb1ES3_N6thrust23THRUST_200600_302600_NS6detail15normal_iteratorINS9_10device_ptrIyEEEENS9_16discard_iteratorINS9_11use_defaultEEEyNS9_4plusIvEEyEEDaPvRmT3_T4_T5_mT6_P12ihipStream_tbENKUlT_T0_E_clISt17integral_constantIbLb0EESW_IbLb1EEEEDaSS_ST_EUlSS_E_NS1_11comp_targetILNS1_3genE3ELNS1_11target_archE908ELNS1_3gpuE7ELNS1_3repE0EEENS1_30default_config_static_selectorELNS0_4arch9wavefront6targetE1EEEvT1_
		.amdhsa_group_segment_fixed_size 0
		.amdhsa_private_segment_fixed_size 0
		.amdhsa_kernarg_size 112
		.amdhsa_user_sgpr_count 6
		.amdhsa_user_sgpr_private_segment_buffer 1
		.amdhsa_user_sgpr_dispatch_ptr 0
		.amdhsa_user_sgpr_queue_ptr 0
		.amdhsa_user_sgpr_kernarg_segment_ptr 1
		.amdhsa_user_sgpr_dispatch_id 0
		.amdhsa_user_sgpr_flat_scratch_init 0
		.amdhsa_user_sgpr_kernarg_preload_length 0
		.amdhsa_user_sgpr_kernarg_preload_offset 0
		.amdhsa_user_sgpr_private_segment_size 0
		.amdhsa_uses_dynamic_stack 0
		.amdhsa_system_sgpr_private_segment_wavefront_offset 0
		.amdhsa_system_sgpr_workgroup_id_x 1
		.amdhsa_system_sgpr_workgroup_id_y 0
		.amdhsa_system_sgpr_workgroup_id_z 0
		.amdhsa_system_sgpr_workgroup_info 0
		.amdhsa_system_vgpr_workitem_id 0
		.amdhsa_next_free_vgpr 1
		.amdhsa_next_free_sgpr 0
		.amdhsa_accum_offset 4
		.amdhsa_reserve_vcc 0
		.amdhsa_reserve_flat_scratch 0
		.amdhsa_float_round_mode_32 0
		.amdhsa_float_round_mode_16_64 0
		.amdhsa_float_denorm_mode_32 3
		.amdhsa_float_denorm_mode_16_64 3
		.amdhsa_dx10_clamp 1
		.amdhsa_ieee_mode 1
		.amdhsa_fp16_overflow 0
		.amdhsa_tg_split 0
		.amdhsa_exception_fp_ieee_invalid_op 0
		.amdhsa_exception_fp_denorm_src 0
		.amdhsa_exception_fp_ieee_div_zero 0
		.amdhsa_exception_fp_ieee_overflow 0
		.amdhsa_exception_fp_ieee_underflow 0
		.amdhsa_exception_fp_ieee_inexact 0
		.amdhsa_exception_int_div_zero 0
	.end_amdhsa_kernel
	.section	.text._ZN7rocprim17ROCPRIM_400000_NS6detail17trampoline_kernelINS0_14default_configENS1_20scan_config_selectorIyEEZZNS1_9scan_implILNS1_25lookback_scan_determinismE0ELb1ELb1ES3_N6thrust23THRUST_200600_302600_NS6detail15normal_iteratorINS9_10device_ptrIyEEEENS9_16discard_iteratorINS9_11use_defaultEEEyNS9_4plusIvEEyEEDaPvRmT3_T4_T5_mT6_P12ihipStream_tbENKUlT_T0_E_clISt17integral_constantIbLb0EESW_IbLb1EEEEDaSS_ST_EUlSS_E_NS1_11comp_targetILNS1_3genE3ELNS1_11target_archE908ELNS1_3gpuE7ELNS1_3repE0EEENS1_30default_config_static_selectorELNS0_4arch9wavefront6targetE1EEEvT1_,"axG",@progbits,_ZN7rocprim17ROCPRIM_400000_NS6detail17trampoline_kernelINS0_14default_configENS1_20scan_config_selectorIyEEZZNS1_9scan_implILNS1_25lookback_scan_determinismE0ELb1ELb1ES3_N6thrust23THRUST_200600_302600_NS6detail15normal_iteratorINS9_10device_ptrIyEEEENS9_16discard_iteratorINS9_11use_defaultEEEyNS9_4plusIvEEyEEDaPvRmT3_T4_T5_mT6_P12ihipStream_tbENKUlT_T0_E_clISt17integral_constantIbLb0EESW_IbLb1EEEEDaSS_ST_EUlSS_E_NS1_11comp_targetILNS1_3genE3ELNS1_11target_archE908ELNS1_3gpuE7ELNS1_3repE0EEENS1_30default_config_static_selectorELNS0_4arch9wavefront6targetE1EEEvT1_,comdat
.Lfunc_end5279:
	.size	_ZN7rocprim17ROCPRIM_400000_NS6detail17trampoline_kernelINS0_14default_configENS1_20scan_config_selectorIyEEZZNS1_9scan_implILNS1_25lookback_scan_determinismE0ELb1ELb1ES3_N6thrust23THRUST_200600_302600_NS6detail15normal_iteratorINS9_10device_ptrIyEEEENS9_16discard_iteratorINS9_11use_defaultEEEyNS9_4plusIvEEyEEDaPvRmT3_T4_T5_mT6_P12ihipStream_tbENKUlT_T0_E_clISt17integral_constantIbLb0EESW_IbLb1EEEEDaSS_ST_EUlSS_E_NS1_11comp_targetILNS1_3genE3ELNS1_11target_archE908ELNS1_3gpuE7ELNS1_3repE0EEENS1_30default_config_static_selectorELNS0_4arch9wavefront6targetE1EEEvT1_, .Lfunc_end5279-_ZN7rocprim17ROCPRIM_400000_NS6detail17trampoline_kernelINS0_14default_configENS1_20scan_config_selectorIyEEZZNS1_9scan_implILNS1_25lookback_scan_determinismE0ELb1ELb1ES3_N6thrust23THRUST_200600_302600_NS6detail15normal_iteratorINS9_10device_ptrIyEEEENS9_16discard_iteratorINS9_11use_defaultEEEyNS9_4plusIvEEyEEDaPvRmT3_T4_T5_mT6_P12ihipStream_tbENKUlT_T0_E_clISt17integral_constantIbLb0EESW_IbLb1EEEEDaSS_ST_EUlSS_E_NS1_11comp_targetILNS1_3genE3ELNS1_11target_archE908ELNS1_3gpuE7ELNS1_3repE0EEENS1_30default_config_static_selectorELNS0_4arch9wavefront6targetE1EEEvT1_
                                        ; -- End function
	.section	.AMDGPU.csdata,"",@progbits
; Kernel info:
; codeLenInByte = 0
; NumSgprs: 4
; NumVgprs: 0
; NumAgprs: 0
; TotalNumVgprs: 0
; ScratchSize: 0
; MemoryBound: 0
; FloatMode: 240
; IeeeMode: 1
; LDSByteSize: 0 bytes/workgroup (compile time only)
; SGPRBlocks: 0
; VGPRBlocks: 0
; NumSGPRsForWavesPerEU: 4
; NumVGPRsForWavesPerEU: 1
; AccumOffset: 4
; Occupancy: 8
; WaveLimiterHint : 0
; COMPUTE_PGM_RSRC2:SCRATCH_EN: 0
; COMPUTE_PGM_RSRC2:USER_SGPR: 6
; COMPUTE_PGM_RSRC2:TRAP_HANDLER: 0
; COMPUTE_PGM_RSRC2:TGID_X_EN: 1
; COMPUTE_PGM_RSRC2:TGID_Y_EN: 0
; COMPUTE_PGM_RSRC2:TGID_Z_EN: 0
; COMPUTE_PGM_RSRC2:TIDIG_COMP_CNT: 0
; COMPUTE_PGM_RSRC3_GFX90A:ACCUM_OFFSET: 0
; COMPUTE_PGM_RSRC3_GFX90A:TG_SPLIT: 0
	.section	.text._ZN7rocprim17ROCPRIM_400000_NS6detail17trampoline_kernelINS0_14default_configENS1_20scan_config_selectorIyEEZZNS1_9scan_implILNS1_25lookback_scan_determinismE0ELb1ELb1ES3_N6thrust23THRUST_200600_302600_NS6detail15normal_iteratorINS9_10device_ptrIyEEEENS9_16discard_iteratorINS9_11use_defaultEEEyNS9_4plusIvEEyEEDaPvRmT3_T4_T5_mT6_P12ihipStream_tbENKUlT_T0_E_clISt17integral_constantIbLb0EESW_IbLb1EEEEDaSS_ST_EUlSS_E_NS1_11comp_targetILNS1_3genE2ELNS1_11target_archE906ELNS1_3gpuE6ELNS1_3repE0EEENS1_30default_config_static_selectorELNS0_4arch9wavefront6targetE1EEEvT1_,"axG",@progbits,_ZN7rocprim17ROCPRIM_400000_NS6detail17trampoline_kernelINS0_14default_configENS1_20scan_config_selectorIyEEZZNS1_9scan_implILNS1_25lookback_scan_determinismE0ELb1ELb1ES3_N6thrust23THRUST_200600_302600_NS6detail15normal_iteratorINS9_10device_ptrIyEEEENS9_16discard_iteratorINS9_11use_defaultEEEyNS9_4plusIvEEyEEDaPvRmT3_T4_T5_mT6_P12ihipStream_tbENKUlT_T0_E_clISt17integral_constantIbLb0EESW_IbLb1EEEEDaSS_ST_EUlSS_E_NS1_11comp_targetILNS1_3genE2ELNS1_11target_archE906ELNS1_3gpuE6ELNS1_3repE0EEENS1_30default_config_static_selectorELNS0_4arch9wavefront6targetE1EEEvT1_,comdat
	.protected	_ZN7rocprim17ROCPRIM_400000_NS6detail17trampoline_kernelINS0_14default_configENS1_20scan_config_selectorIyEEZZNS1_9scan_implILNS1_25lookback_scan_determinismE0ELb1ELb1ES3_N6thrust23THRUST_200600_302600_NS6detail15normal_iteratorINS9_10device_ptrIyEEEENS9_16discard_iteratorINS9_11use_defaultEEEyNS9_4plusIvEEyEEDaPvRmT3_T4_T5_mT6_P12ihipStream_tbENKUlT_T0_E_clISt17integral_constantIbLb0EESW_IbLb1EEEEDaSS_ST_EUlSS_E_NS1_11comp_targetILNS1_3genE2ELNS1_11target_archE906ELNS1_3gpuE6ELNS1_3repE0EEENS1_30default_config_static_selectorELNS0_4arch9wavefront6targetE1EEEvT1_ ; -- Begin function _ZN7rocprim17ROCPRIM_400000_NS6detail17trampoline_kernelINS0_14default_configENS1_20scan_config_selectorIyEEZZNS1_9scan_implILNS1_25lookback_scan_determinismE0ELb1ELb1ES3_N6thrust23THRUST_200600_302600_NS6detail15normal_iteratorINS9_10device_ptrIyEEEENS9_16discard_iteratorINS9_11use_defaultEEEyNS9_4plusIvEEyEEDaPvRmT3_T4_T5_mT6_P12ihipStream_tbENKUlT_T0_E_clISt17integral_constantIbLb0EESW_IbLb1EEEEDaSS_ST_EUlSS_E_NS1_11comp_targetILNS1_3genE2ELNS1_11target_archE906ELNS1_3gpuE6ELNS1_3repE0EEENS1_30default_config_static_selectorELNS0_4arch9wavefront6targetE1EEEvT1_
	.globl	_ZN7rocprim17ROCPRIM_400000_NS6detail17trampoline_kernelINS0_14default_configENS1_20scan_config_selectorIyEEZZNS1_9scan_implILNS1_25lookback_scan_determinismE0ELb1ELb1ES3_N6thrust23THRUST_200600_302600_NS6detail15normal_iteratorINS9_10device_ptrIyEEEENS9_16discard_iteratorINS9_11use_defaultEEEyNS9_4plusIvEEyEEDaPvRmT3_T4_T5_mT6_P12ihipStream_tbENKUlT_T0_E_clISt17integral_constantIbLb0EESW_IbLb1EEEEDaSS_ST_EUlSS_E_NS1_11comp_targetILNS1_3genE2ELNS1_11target_archE906ELNS1_3gpuE6ELNS1_3repE0EEENS1_30default_config_static_selectorELNS0_4arch9wavefront6targetE1EEEvT1_
	.p2align	8
	.type	_ZN7rocprim17ROCPRIM_400000_NS6detail17trampoline_kernelINS0_14default_configENS1_20scan_config_selectorIyEEZZNS1_9scan_implILNS1_25lookback_scan_determinismE0ELb1ELb1ES3_N6thrust23THRUST_200600_302600_NS6detail15normal_iteratorINS9_10device_ptrIyEEEENS9_16discard_iteratorINS9_11use_defaultEEEyNS9_4plusIvEEyEEDaPvRmT3_T4_T5_mT6_P12ihipStream_tbENKUlT_T0_E_clISt17integral_constantIbLb0EESW_IbLb1EEEEDaSS_ST_EUlSS_E_NS1_11comp_targetILNS1_3genE2ELNS1_11target_archE906ELNS1_3gpuE6ELNS1_3repE0EEENS1_30default_config_static_selectorELNS0_4arch9wavefront6targetE1EEEvT1_,@function
_ZN7rocprim17ROCPRIM_400000_NS6detail17trampoline_kernelINS0_14default_configENS1_20scan_config_selectorIyEEZZNS1_9scan_implILNS1_25lookback_scan_determinismE0ELb1ELb1ES3_N6thrust23THRUST_200600_302600_NS6detail15normal_iteratorINS9_10device_ptrIyEEEENS9_16discard_iteratorINS9_11use_defaultEEEyNS9_4plusIvEEyEEDaPvRmT3_T4_T5_mT6_P12ihipStream_tbENKUlT_T0_E_clISt17integral_constantIbLb0EESW_IbLb1EEEEDaSS_ST_EUlSS_E_NS1_11comp_targetILNS1_3genE2ELNS1_11target_archE906ELNS1_3gpuE6ELNS1_3repE0EEENS1_30default_config_static_selectorELNS0_4arch9wavefront6targetE1EEEvT1_: ; @_ZN7rocprim17ROCPRIM_400000_NS6detail17trampoline_kernelINS0_14default_configENS1_20scan_config_selectorIyEEZZNS1_9scan_implILNS1_25lookback_scan_determinismE0ELb1ELb1ES3_N6thrust23THRUST_200600_302600_NS6detail15normal_iteratorINS9_10device_ptrIyEEEENS9_16discard_iteratorINS9_11use_defaultEEEyNS9_4plusIvEEyEEDaPvRmT3_T4_T5_mT6_P12ihipStream_tbENKUlT_T0_E_clISt17integral_constantIbLb0EESW_IbLb1EEEEDaSS_ST_EUlSS_E_NS1_11comp_targetILNS1_3genE2ELNS1_11target_archE906ELNS1_3gpuE6ELNS1_3repE0EEENS1_30default_config_static_selectorELNS0_4arch9wavefront6targetE1EEEvT1_
; %bb.0:
	.section	.rodata,"a",@progbits
	.p2align	6, 0x0
	.amdhsa_kernel _ZN7rocprim17ROCPRIM_400000_NS6detail17trampoline_kernelINS0_14default_configENS1_20scan_config_selectorIyEEZZNS1_9scan_implILNS1_25lookback_scan_determinismE0ELb1ELb1ES3_N6thrust23THRUST_200600_302600_NS6detail15normal_iteratorINS9_10device_ptrIyEEEENS9_16discard_iteratorINS9_11use_defaultEEEyNS9_4plusIvEEyEEDaPvRmT3_T4_T5_mT6_P12ihipStream_tbENKUlT_T0_E_clISt17integral_constantIbLb0EESW_IbLb1EEEEDaSS_ST_EUlSS_E_NS1_11comp_targetILNS1_3genE2ELNS1_11target_archE906ELNS1_3gpuE6ELNS1_3repE0EEENS1_30default_config_static_selectorELNS0_4arch9wavefront6targetE1EEEvT1_
		.amdhsa_group_segment_fixed_size 0
		.amdhsa_private_segment_fixed_size 0
		.amdhsa_kernarg_size 112
		.amdhsa_user_sgpr_count 6
		.amdhsa_user_sgpr_private_segment_buffer 1
		.amdhsa_user_sgpr_dispatch_ptr 0
		.amdhsa_user_sgpr_queue_ptr 0
		.amdhsa_user_sgpr_kernarg_segment_ptr 1
		.amdhsa_user_sgpr_dispatch_id 0
		.amdhsa_user_sgpr_flat_scratch_init 0
		.amdhsa_user_sgpr_kernarg_preload_length 0
		.amdhsa_user_sgpr_kernarg_preload_offset 0
		.amdhsa_user_sgpr_private_segment_size 0
		.amdhsa_uses_dynamic_stack 0
		.amdhsa_system_sgpr_private_segment_wavefront_offset 0
		.amdhsa_system_sgpr_workgroup_id_x 1
		.amdhsa_system_sgpr_workgroup_id_y 0
		.amdhsa_system_sgpr_workgroup_id_z 0
		.amdhsa_system_sgpr_workgroup_info 0
		.amdhsa_system_vgpr_workitem_id 0
		.amdhsa_next_free_vgpr 1
		.amdhsa_next_free_sgpr 0
		.amdhsa_accum_offset 4
		.amdhsa_reserve_vcc 0
		.amdhsa_reserve_flat_scratch 0
		.amdhsa_float_round_mode_32 0
		.amdhsa_float_round_mode_16_64 0
		.amdhsa_float_denorm_mode_32 3
		.amdhsa_float_denorm_mode_16_64 3
		.amdhsa_dx10_clamp 1
		.amdhsa_ieee_mode 1
		.amdhsa_fp16_overflow 0
		.amdhsa_tg_split 0
		.amdhsa_exception_fp_ieee_invalid_op 0
		.amdhsa_exception_fp_denorm_src 0
		.amdhsa_exception_fp_ieee_div_zero 0
		.amdhsa_exception_fp_ieee_overflow 0
		.amdhsa_exception_fp_ieee_underflow 0
		.amdhsa_exception_fp_ieee_inexact 0
		.amdhsa_exception_int_div_zero 0
	.end_amdhsa_kernel
	.section	.text._ZN7rocprim17ROCPRIM_400000_NS6detail17trampoline_kernelINS0_14default_configENS1_20scan_config_selectorIyEEZZNS1_9scan_implILNS1_25lookback_scan_determinismE0ELb1ELb1ES3_N6thrust23THRUST_200600_302600_NS6detail15normal_iteratorINS9_10device_ptrIyEEEENS9_16discard_iteratorINS9_11use_defaultEEEyNS9_4plusIvEEyEEDaPvRmT3_T4_T5_mT6_P12ihipStream_tbENKUlT_T0_E_clISt17integral_constantIbLb0EESW_IbLb1EEEEDaSS_ST_EUlSS_E_NS1_11comp_targetILNS1_3genE2ELNS1_11target_archE906ELNS1_3gpuE6ELNS1_3repE0EEENS1_30default_config_static_selectorELNS0_4arch9wavefront6targetE1EEEvT1_,"axG",@progbits,_ZN7rocprim17ROCPRIM_400000_NS6detail17trampoline_kernelINS0_14default_configENS1_20scan_config_selectorIyEEZZNS1_9scan_implILNS1_25lookback_scan_determinismE0ELb1ELb1ES3_N6thrust23THRUST_200600_302600_NS6detail15normal_iteratorINS9_10device_ptrIyEEEENS9_16discard_iteratorINS9_11use_defaultEEEyNS9_4plusIvEEyEEDaPvRmT3_T4_T5_mT6_P12ihipStream_tbENKUlT_T0_E_clISt17integral_constantIbLb0EESW_IbLb1EEEEDaSS_ST_EUlSS_E_NS1_11comp_targetILNS1_3genE2ELNS1_11target_archE906ELNS1_3gpuE6ELNS1_3repE0EEENS1_30default_config_static_selectorELNS0_4arch9wavefront6targetE1EEEvT1_,comdat
.Lfunc_end5280:
	.size	_ZN7rocprim17ROCPRIM_400000_NS6detail17trampoline_kernelINS0_14default_configENS1_20scan_config_selectorIyEEZZNS1_9scan_implILNS1_25lookback_scan_determinismE0ELb1ELb1ES3_N6thrust23THRUST_200600_302600_NS6detail15normal_iteratorINS9_10device_ptrIyEEEENS9_16discard_iteratorINS9_11use_defaultEEEyNS9_4plusIvEEyEEDaPvRmT3_T4_T5_mT6_P12ihipStream_tbENKUlT_T0_E_clISt17integral_constantIbLb0EESW_IbLb1EEEEDaSS_ST_EUlSS_E_NS1_11comp_targetILNS1_3genE2ELNS1_11target_archE906ELNS1_3gpuE6ELNS1_3repE0EEENS1_30default_config_static_selectorELNS0_4arch9wavefront6targetE1EEEvT1_, .Lfunc_end5280-_ZN7rocprim17ROCPRIM_400000_NS6detail17trampoline_kernelINS0_14default_configENS1_20scan_config_selectorIyEEZZNS1_9scan_implILNS1_25lookback_scan_determinismE0ELb1ELb1ES3_N6thrust23THRUST_200600_302600_NS6detail15normal_iteratorINS9_10device_ptrIyEEEENS9_16discard_iteratorINS9_11use_defaultEEEyNS9_4plusIvEEyEEDaPvRmT3_T4_T5_mT6_P12ihipStream_tbENKUlT_T0_E_clISt17integral_constantIbLb0EESW_IbLb1EEEEDaSS_ST_EUlSS_E_NS1_11comp_targetILNS1_3genE2ELNS1_11target_archE906ELNS1_3gpuE6ELNS1_3repE0EEENS1_30default_config_static_selectorELNS0_4arch9wavefront6targetE1EEEvT1_
                                        ; -- End function
	.section	.AMDGPU.csdata,"",@progbits
; Kernel info:
; codeLenInByte = 0
; NumSgprs: 4
; NumVgprs: 0
; NumAgprs: 0
; TotalNumVgprs: 0
; ScratchSize: 0
; MemoryBound: 0
; FloatMode: 240
; IeeeMode: 1
; LDSByteSize: 0 bytes/workgroup (compile time only)
; SGPRBlocks: 0
; VGPRBlocks: 0
; NumSGPRsForWavesPerEU: 4
; NumVGPRsForWavesPerEU: 1
; AccumOffset: 4
; Occupancy: 8
; WaveLimiterHint : 0
; COMPUTE_PGM_RSRC2:SCRATCH_EN: 0
; COMPUTE_PGM_RSRC2:USER_SGPR: 6
; COMPUTE_PGM_RSRC2:TRAP_HANDLER: 0
; COMPUTE_PGM_RSRC2:TGID_X_EN: 1
; COMPUTE_PGM_RSRC2:TGID_Y_EN: 0
; COMPUTE_PGM_RSRC2:TGID_Z_EN: 0
; COMPUTE_PGM_RSRC2:TIDIG_COMP_CNT: 0
; COMPUTE_PGM_RSRC3_GFX90A:ACCUM_OFFSET: 0
; COMPUTE_PGM_RSRC3_GFX90A:TG_SPLIT: 0
	.section	.text._ZN7rocprim17ROCPRIM_400000_NS6detail17trampoline_kernelINS0_14default_configENS1_20scan_config_selectorIyEEZZNS1_9scan_implILNS1_25lookback_scan_determinismE0ELb1ELb1ES3_N6thrust23THRUST_200600_302600_NS6detail15normal_iteratorINS9_10device_ptrIyEEEENS9_16discard_iteratorINS9_11use_defaultEEEyNS9_4plusIvEEyEEDaPvRmT3_T4_T5_mT6_P12ihipStream_tbENKUlT_T0_E_clISt17integral_constantIbLb0EESW_IbLb1EEEEDaSS_ST_EUlSS_E_NS1_11comp_targetILNS1_3genE10ELNS1_11target_archE1201ELNS1_3gpuE5ELNS1_3repE0EEENS1_30default_config_static_selectorELNS0_4arch9wavefront6targetE1EEEvT1_,"axG",@progbits,_ZN7rocprim17ROCPRIM_400000_NS6detail17trampoline_kernelINS0_14default_configENS1_20scan_config_selectorIyEEZZNS1_9scan_implILNS1_25lookback_scan_determinismE0ELb1ELb1ES3_N6thrust23THRUST_200600_302600_NS6detail15normal_iteratorINS9_10device_ptrIyEEEENS9_16discard_iteratorINS9_11use_defaultEEEyNS9_4plusIvEEyEEDaPvRmT3_T4_T5_mT6_P12ihipStream_tbENKUlT_T0_E_clISt17integral_constantIbLb0EESW_IbLb1EEEEDaSS_ST_EUlSS_E_NS1_11comp_targetILNS1_3genE10ELNS1_11target_archE1201ELNS1_3gpuE5ELNS1_3repE0EEENS1_30default_config_static_selectorELNS0_4arch9wavefront6targetE1EEEvT1_,comdat
	.protected	_ZN7rocprim17ROCPRIM_400000_NS6detail17trampoline_kernelINS0_14default_configENS1_20scan_config_selectorIyEEZZNS1_9scan_implILNS1_25lookback_scan_determinismE0ELb1ELb1ES3_N6thrust23THRUST_200600_302600_NS6detail15normal_iteratorINS9_10device_ptrIyEEEENS9_16discard_iteratorINS9_11use_defaultEEEyNS9_4plusIvEEyEEDaPvRmT3_T4_T5_mT6_P12ihipStream_tbENKUlT_T0_E_clISt17integral_constantIbLb0EESW_IbLb1EEEEDaSS_ST_EUlSS_E_NS1_11comp_targetILNS1_3genE10ELNS1_11target_archE1201ELNS1_3gpuE5ELNS1_3repE0EEENS1_30default_config_static_selectorELNS0_4arch9wavefront6targetE1EEEvT1_ ; -- Begin function _ZN7rocprim17ROCPRIM_400000_NS6detail17trampoline_kernelINS0_14default_configENS1_20scan_config_selectorIyEEZZNS1_9scan_implILNS1_25lookback_scan_determinismE0ELb1ELb1ES3_N6thrust23THRUST_200600_302600_NS6detail15normal_iteratorINS9_10device_ptrIyEEEENS9_16discard_iteratorINS9_11use_defaultEEEyNS9_4plusIvEEyEEDaPvRmT3_T4_T5_mT6_P12ihipStream_tbENKUlT_T0_E_clISt17integral_constantIbLb0EESW_IbLb1EEEEDaSS_ST_EUlSS_E_NS1_11comp_targetILNS1_3genE10ELNS1_11target_archE1201ELNS1_3gpuE5ELNS1_3repE0EEENS1_30default_config_static_selectorELNS0_4arch9wavefront6targetE1EEEvT1_
	.globl	_ZN7rocprim17ROCPRIM_400000_NS6detail17trampoline_kernelINS0_14default_configENS1_20scan_config_selectorIyEEZZNS1_9scan_implILNS1_25lookback_scan_determinismE0ELb1ELb1ES3_N6thrust23THRUST_200600_302600_NS6detail15normal_iteratorINS9_10device_ptrIyEEEENS9_16discard_iteratorINS9_11use_defaultEEEyNS9_4plusIvEEyEEDaPvRmT3_T4_T5_mT6_P12ihipStream_tbENKUlT_T0_E_clISt17integral_constantIbLb0EESW_IbLb1EEEEDaSS_ST_EUlSS_E_NS1_11comp_targetILNS1_3genE10ELNS1_11target_archE1201ELNS1_3gpuE5ELNS1_3repE0EEENS1_30default_config_static_selectorELNS0_4arch9wavefront6targetE1EEEvT1_
	.p2align	8
	.type	_ZN7rocprim17ROCPRIM_400000_NS6detail17trampoline_kernelINS0_14default_configENS1_20scan_config_selectorIyEEZZNS1_9scan_implILNS1_25lookback_scan_determinismE0ELb1ELb1ES3_N6thrust23THRUST_200600_302600_NS6detail15normal_iteratorINS9_10device_ptrIyEEEENS9_16discard_iteratorINS9_11use_defaultEEEyNS9_4plusIvEEyEEDaPvRmT3_T4_T5_mT6_P12ihipStream_tbENKUlT_T0_E_clISt17integral_constantIbLb0EESW_IbLb1EEEEDaSS_ST_EUlSS_E_NS1_11comp_targetILNS1_3genE10ELNS1_11target_archE1201ELNS1_3gpuE5ELNS1_3repE0EEENS1_30default_config_static_selectorELNS0_4arch9wavefront6targetE1EEEvT1_,@function
_ZN7rocprim17ROCPRIM_400000_NS6detail17trampoline_kernelINS0_14default_configENS1_20scan_config_selectorIyEEZZNS1_9scan_implILNS1_25lookback_scan_determinismE0ELb1ELb1ES3_N6thrust23THRUST_200600_302600_NS6detail15normal_iteratorINS9_10device_ptrIyEEEENS9_16discard_iteratorINS9_11use_defaultEEEyNS9_4plusIvEEyEEDaPvRmT3_T4_T5_mT6_P12ihipStream_tbENKUlT_T0_E_clISt17integral_constantIbLb0EESW_IbLb1EEEEDaSS_ST_EUlSS_E_NS1_11comp_targetILNS1_3genE10ELNS1_11target_archE1201ELNS1_3gpuE5ELNS1_3repE0EEENS1_30default_config_static_selectorELNS0_4arch9wavefront6targetE1EEEvT1_: ; @_ZN7rocprim17ROCPRIM_400000_NS6detail17trampoline_kernelINS0_14default_configENS1_20scan_config_selectorIyEEZZNS1_9scan_implILNS1_25lookback_scan_determinismE0ELb1ELb1ES3_N6thrust23THRUST_200600_302600_NS6detail15normal_iteratorINS9_10device_ptrIyEEEENS9_16discard_iteratorINS9_11use_defaultEEEyNS9_4plusIvEEyEEDaPvRmT3_T4_T5_mT6_P12ihipStream_tbENKUlT_T0_E_clISt17integral_constantIbLb0EESW_IbLb1EEEEDaSS_ST_EUlSS_E_NS1_11comp_targetILNS1_3genE10ELNS1_11target_archE1201ELNS1_3gpuE5ELNS1_3repE0EEENS1_30default_config_static_selectorELNS0_4arch9wavefront6targetE1EEEvT1_
; %bb.0:
	.section	.rodata,"a",@progbits
	.p2align	6, 0x0
	.amdhsa_kernel _ZN7rocprim17ROCPRIM_400000_NS6detail17trampoline_kernelINS0_14default_configENS1_20scan_config_selectorIyEEZZNS1_9scan_implILNS1_25lookback_scan_determinismE0ELb1ELb1ES3_N6thrust23THRUST_200600_302600_NS6detail15normal_iteratorINS9_10device_ptrIyEEEENS9_16discard_iteratorINS9_11use_defaultEEEyNS9_4plusIvEEyEEDaPvRmT3_T4_T5_mT6_P12ihipStream_tbENKUlT_T0_E_clISt17integral_constantIbLb0EESW_IbLb1EEEEDaSS_ST_EUlSS_E_NS1_11comp_targetILNS1_3genE10ELNS1_11target_archE1201ELNS1_3gpuE5ELNS1_3repE0EEENS1_30default_config_static_selectorELNS0_4arch9wavefront6targetE1EEEvT1_
		.amdhsa_group_segment_fixed_size 0
		.amdhsa_private_segment_fixed_size 0
		.amdhsa_kernarg_size 112
		.amdhsa_user_sgpr_count 6
		.amdhsa_user_sgpr_private_segment_buffer 1
		.amdhsa_user_sgpr_dispatch_ptr 0
		.amdhsa_user_sgpr_queue_ptr 0
		.amdhsa_user_sgpr_kernarg_segment_ptr 1
		.amdhsa_user_sgpr_dispatch_id 0
		.amdhsa_user_sgpr_flat_scratch_init 0
		.amdhsa_user_sgpr_kernarg_preload_length 0
		.amdhsa_user_sgpr_kernarg_preload_offset 0
		.amdhsa_user_sgpr_private_segment_size 0
		.amdhsa_uses_dynamic_stack 0
		.amdhsa_system_sgpr_private_segment_wavefront_offset 0
		.amdhsa_system_sgpr_workgroup_id_x 1
		.amdhsa_system_sgpr_workgroup_id_y 0
		.amdhsa_system_sgpr_workgroup_id_z 0
		.amdhsa_system_sgpr_workgroup_info 0
		.amdhsa_system_vgpr_workitem_id 0
		.amdhsa_next_free_vgpr 1
		.amdhsa_next_free_sgpr 0
		.amdhsa_accum_offset 4
		.amdhsa_reserve_vcc 0
		.amdhsa_reserve_flat_scratch 0
		.amdhsa_float_round_mode_32 0
		.amdhsa_float_round_mode_16_64 0
		.amdhsa_float_denorm_mode_32 3
		.amdhsa_float_denorm_mode_16_64 3
		.amdhsa_dx10_clamp 1
		.amdhsa_ieee_mode 1
		.amdhsa_fp16_overflow 0
		.amdhsa_tg_split 0
		.amdhsa_exception_fp_ieee_invalid_op 0
		.amdhsa_exception_fp_denorm_src 0
		.amdhsa_exception_fp_ieee_div_zero 0
		.amdhsa_exception_fp_ieee_overflow 0
		.amdhsa_exception_fp_ieee_underflow 0
		.amdhsa_exception_fp_ieee_inexact 0
		.amdhsa_exception_int_div_zero 0
	.end_amdhsa_kernel
	.section	.text._ZN7rocprim17ROCPRIM_400000_NS6detail17trampoline_kernelINS0_14default_configENS1_20scan_config_selectorIyEEZZNS1_9scan_implILNS1_25lookback_scan_determinismE0ELb1ELb1ES3_N6thrust23THRUST_200600_302600_NS6detail15normal_iteratorINS9_10device_ptrIyEEEENS9_16discard_iteratorINS9_11use_defaultEEEyNS9_4plusIvEEyEEDaPvRmT3_T4_T5_mT6_P12ihipStream_tbENKUlT_T0_E_clISt17integral_constantIbLb0EESW_IbLb1EEEEDaSS_ST_EUlSS_E_NS1_11comp_targetILNS1_3genE10ELNS1_11target_archE1201ELNS1_3gpuE5ELNS1_3repE0EEENS1_30default_config_static_selectorELNS0_4arch9wavefront6targetE1EEEvT1_,"axG",@progbits,_ZN7rocprim17ROCPRIM_400000_NS6detail17trampoline_kernelINS0_14default_configENS1_20scan_config_selectorIyEEZZNS1_9scan_implILNS1_25lookback_scan_determinismE0ELb1ELb1ES3_N6thrust23THRUST_200600_302600_NS6detail15normal_iteratorINS9_10device_ptrIyEEEENS9_16discard_iteratorINS9_11use_defaultEEEyNS9_4plusIvEEyEEDaPvRmT3_T4_T5_mT6_P12ihipStream_tbENKUlT_T0_E_clISt17integral_constantIbLb0EESW_IbLb1EEEEDaSS_ST_EUlSS_E_NS1_11comp_targetILNS1_3genE10ELNS1_11target_archE1201ELNS1_3gpuE5ELNS1_3repE0EEENS1_30default_config_static_selectorELNS0_4arch9wavefront6targetE1EEEvT1_,comdat
.Lfunc_end5281:
	.size	_ZN7rocprim17ROCPRIM_400000_NS6detail17trampoline_kernelINS0_14default_configENS1_20scan_config_selectorIyEEZZNS1_9scan_implILNS1_25lookback_scan_determinismE0ELb1ELb1ES3_N6thrust23THRUST_200600_302600_NS6detail15normal_iteratorINS9_10device_ptrIyEEEENS9_16discard_iteratorINS9_11use_defaultEEEyNS9_4plusIvEEyEEDaPvRmT3_T4_T5_mT6_P12ihipStream_tbENKUlT_T0_E_clISt17integral_constantIbLb0EESW_IbLb1EEEEDaSS_ST_EUlSS_E_NS1_11comp_targetILNS1_3genE10ELNS1_11target_archE1201ELNS1_3gpuE5ELNS1_3repE0EEENS1_30default_config_static_selectorELNS0_4arch9wavefront6targetE1EEEvT1_, .Lfunc_end5281-_ZN7rocprim17ROCPRIM_400000_NS6detail17trampoline_kernelINS0_14default_configENS1_20scan_config_selectorIyEEZZNS1_9scan_implILNS1_25lookback_scan_determinismE0ELb1ELb1ES3_N6thrust23THRUST_200600_302600_NS6detail15normal_iteratorINS9_10device_ptrIyEEEENS9_16discard_iteratorINS9_11use_defaultEEEyNS9_4plusIvEEyEEDaPvRmT3_T4_T5_mT6_P12ihipStream_tbENKUlT_T0_E_clISt17integral_constantIbLb0EESW_IbLb1EEEEDaSS_ST_EUlSS_E_NS1_11comp_targetILNS1_3genE10ELNS1_11target_archE1201ELNS1_3gpuE5ELNS1_3repE0EEENS1_30default_config_static_selectorELNS0_4arch9wavefront6targetE1EEEvT1_
                                        ; -- End function
	.section	.AMDGPU.csdata,"",@progbits
; Kernel info:
; codeLenInByte = 0
; NumSgprs: 4
; NumVgprs: 0
; NumAgprs: 0
; TotalNumVgprs: 0
; ScratchSize: 0
; MemoryBound: 0
; FloatMode: 240
; IeeeMode: 1
; LDSByteSize: 0 bytes/workgroup (compile time only)
; SGPRBlocks: 0
; VGPRBlocks: 0
; NumSGPRsForWavesPerEU: 4
; NumVGPRsForWavesPerEU: 1
; AccumOffset: 4
; Occupancy: 8
; WaveLimiterHint : 0
; COMPUTE_PGM_RSRC2:SCRATCH_EN: 0
; COMPUTE_PGM_RSRC2:USER_SGPR: 6
; COMPUTE_PGM_RSRC2:TRAP_HANDLER: 0
; COMPUTE_PGM_RSRC2:TGID_X_EN: 1
; COMPUTE_PGM_RSRC2:TGID_Y_EN: 0
; COMPUTE_PGM_RSRC2:TGID_Z_EN: 0
; COMPUTE_PGM_RSRC2:TIDIG_COMP_CNT: 0
; COMPUTE_PGM_RSRC3_GFX90A:ACCUM_OFFSET: 0
; COMPUTE_PGM_RSRC3_GFX90A:TG_SPLIT: 0
	.section	.text._ZN7rocprim17ROCPRIM_400000_NS6detail17trampoline_kernelINS0_14default_configENS1_20scan_config_selectorIyEEZZNS1_9scan_implILNS1_25lookback_scan_determinismE0ELb1ELb1ES3_N6thrust23THRUST_200600_302600_NS6detail15normal_iteratorINS9_10device_ptrIyEEEENS9_16discard_iteratorINS9_11use_defaultEEEyNS9_4plusIvEEyEEDaPvRmT3_T4_T5_mT6_P12ihipStream_tbENKUlT_T0_E_clISt17integral_constantIbLb0EESW_IbLb1EEEEDaSS_ST_EUlSS_E_NS1_11comp_targetILNS1_3genE10ELNS1_11target_archE1200ELNS1_3gpuE4ELNS1_3repE0EEENS1_30default_config_static_selectorELNS0_4arch9wavefront6targetE1EEEvT1_,"axG",@progbits,_ZN7rocprim17ROCPRIM_400000_NS6detail17trampoline_kernelINS0_14default_configENS1_20scan_config_selectorIyEEZZNS1_9scan_implILNS1_25lookback_scan_determinismE0ELb1ELb1ES3_N6thrust23THRUST_200600_302600_NS6detail15normal_iteratorINS9_10device_ptrIyEEEENS9_16discard_iteratorINS9_11use_defaultEEEyNS9_4plusIvEEyEEDaPvRmT3_T4_T5_mT6_P12ihipStream_tbENKUlT_T0_E_clISt17integral_constantIbLb0EESW_IbLb1EEEEDaSS_ST_EUlSS_E_NS1_11comp_targetILNS1_3genE10ELNS1_11target_archE1200ELNS1_3gpuE4ELNS1_3repE0EEENS1_30default_config_static_selectorELNS0_4arch9wavefront6targetE1EEEvT1_,comdat
	.protected	_ZN7rocprim17ROCPRIM_400000_NS6detail17trampoline_kernelINS0_14default_configENS1_20scan_config_selectorIyEEZZNS1_9scan_implILNS1_25lookback_scan_determinismE0ELb1ELb1ES3_N6thrust23THRUST_200600_302600_NS6detail15normal_iteratorINS9_10device_ptrIyEEEENS9_16discard_iteratorINS9_11use_defaultEEEyNS9_4plusIvEEyEEDaPvRmT3_T4_T5_mT6_P12ihipStream_tbENKUlT_T0_E_clISt17integral_constantIbLb0EESW_IbLb1EEEEDaSS_ST_EUlSS_E_NS1_11comp_targetILNS1_3genE10ELNS1_11target_archE1200ELNS1_3gpuE4ELNS1_3repE0EEENS1_30default_config_static_selectorELNS0_4arch9wavefront6targetE1EEEvT1_ ; -- Begin function _ZN7rocprim17ROCPRIM_400000_NS6detail17trampoline_kernelINS0_14default_configENS1_20scan_config_selectorIyEEZZNS1_9scan_implILNS1_25lookback_scan_determinismE0ELb1ELb1ES3_N6thrust23THRUST_200600_302600_NS6detail15normal_iteratorINS9_10device_ptrIyEEEENS9_16discard_iteratorINS9_11use_defaultEEEyNS9_4plusIvEEyEEDaPvRmT3_T4_T5_mT6_P12ihipStream_tbENKUlT_T0_E_clISt17integral_constantIbLb0EESW_IbLb1EEEEDaSS_ST_EUlSS_E_NS1_11comp_targetILNS1_3genE10ELNS1_11target_archE1200ELNS1_3gpuE4ELNS1_3repE0EEENS1_30default_config_static_selectorELNS0_4arch9wavefront6targetE1EEEvT1_
	.globl	_ZN7rocprim17ROCPRIM_400000_NS6detail17trampoline_kernelINS0_14default_configENS1_20scan_config_selectorIyEEZZNS1_9scan_implILNS1_25lookback_scan_determinismE0ELb1ELb1ES3_N6thrust23THRUST_200600_302600_NS6detail15normal_iteratorINS9_10device_ptrIyEEEENS9_16discard_iteratorINS9_11use_defaultEEEyNS9_4plusIvEEyEEDaPvRmT3_T4_T5_mT6_P12ihipStream_tbENKUlT_T0_E_clISt17integral_constantIbLb0EESW_IbLb1EEEEDaSS_ST_EUlSS_E_NS1_11comp_targetILNS1_3genE10ELNS1_11target_archE1200ELNS1_3gpuE4ELNS1_3repE0EEENS1_30default_config_static_selectorELNS0_4arch9wavefront6targetE1EEEvT1_
	.p2align	8
	.type	_ZN7rocprim17ROCPRIM_400000_NS6detail17trampoline_kernelINS0_14default_configENS1_20scan_config_selectorIyEEZZNS1_9scan_implILNS1_25lookback_scan_determinismE0ELb1ELb1ES3_N6thrust23THRUST_200600_302600_NS6detail15normal_iteratorINS9_10device_ptrIyEEEENS9_16discard_iteratorINS9_11use_defaultEEEyNS9_4plusIvEEyEEDaPvRmT3_T4_T5_mT6_P12ihipStream_tbENKUlT_T0_E_clISt17integral_constantIbLb0EESW_IbLb1EEEEDaSS_ST_EUlSS_E_NS1_11comp_targetILNS1_3genE10ELNS1_11target_archE1200ELNS1_3gpuE4ELNS1_3repE0EEENS1_30default_config_static_selectorELNS0_4arch9wavefront6targetE1EEEvT1_,@function
_ZN7rocprim17ROCPRIM_400000_NS6detail17trampoline_kernelINS0_14default_configENS1_20scan_config_selectorIyEEZZNS1_9scan_implILNS1_25lookback_scan_determinismE0ELb1ELb1ES3_N6thrust23THRUST_200600_302600_NS6detail15normal_iteratorINS9_10device_ptrIyEEEENS9_16discard_iteratorINS9_11use_defaultEEEyNS9_4plusIvEEyEEDaPvRmT3_T4_T5_mT6_P12ihipStream_tbENKUlT_T0_E_clISt17integral_constantIbLb0EESW_IbLb1EEEEDaSS_ST_EUlSS_E_NS1_11comp_targetILNS1_3genE10ELNS1_11target_archE1200ELNS1_3gpuE4ELNS1_3repE0EEENS1_30default_config_static_selectorELNS0_4arch9wavefront6targetE1EEEvT1_: ; @_ZN7rocprim17ROCPRIM_400000_NS6detail17trampoline_kernelINS0_14default_configENS1_20scan_config_selectorIyEEZZNS1_9scan_implILNS1_25lookback_scan_determinismE0ELb1ELb1ES3_N6thrust23THRUST_200600_302600_NS6detail15normal_iteratorINS9_10device_ptrIyEEEENS9_16discard_iteratorINS9_11use_defaultEEEyNS9_4plusIvEEyEEDaPvRmT3_T4_T5_mT6_P12ihipStream_tbENKUlT_T0_E_clISt17integral_constantIbLb0EESW_IbLb1EEEEDaSS_ST_EUlSS_E_NS1_11comp_targetILNS1_3genE10ELNS1_11target_archE1200ELNS1_3gpuE4ELNS1_3repE0EEENS1_30default_config_static_selectorELNS0_4arch9wavefront6targetE1EEEvT1_
; %bb.0:
	.section	.rodata,"a",@progbits
	.p2align	6, 0x0
	.amdhsa_kernel _ZN7rocprim17ROCPRIM_400000_NS6detail17trampoline_kernelINS0_14default_configENS1_20scan_config_selectorIyEEZZNS1_9scan_implILNS1_25lookback_scan_determinismE0ELb1ELb1ES3_N6thrust23THRUST_200600_302600_NS6detail15normal_iteratorINS9_10device_ptrIyEEEENS9_16discard_iteratorINS9_11use_defaultEEEyNS9_4plusIvEEyEEDaPvRmT3_T4_T5_mT6_P12ihipStream_tbENKUlT_T0_E_clISt17integral_constantIbLb0EESW_IbLb1EEEEDaSS_ST_EUlSS_E_NS1_11comp_targetILNS1_3genE10ELNS1_11target_archE1200ELNS1_3gpuE4ELNS1_3repE0EEENS1_30default_config_static_selectorELNS0_4arch9wavefront6targetE1EEEvT1_
		.amdhsa_group_segment_fixed_size 0
		.amdhsa_private_segment_fixed_size 0
		.amdhsa_kernarg_size 112
		.amdhsa_user_sgpr_count 6
		.amdhsa_user_sgpr_private_segment_buffer 1
		.amdhsa_user_sgpr_dispatch_ptr 0
		.amdhsa_user_sgpr_queue_ptr 0
		.amdhsa_user_sgpr_kernarg_segment_ptr 1
		.amdhsa_user_sgpr_dispatch_id 0
		.amdhsa_user_sgpr_flat_scratch_init 0
		.amdhsa_user_sgpr_kernarg_preload_length 0
		.amdhsa_user_sgpr_kernarg_preload_offset 0
		.amdhsa_user_sgpr_private_segment_size 0
		.amdhsa_uses_dynamic_stack 0
		.amdhsa_system_sgpr_private_segment_wavefront_offset 0
		.amdhsa_system_sgpr_workgroup_id_x 1
		.amdhsa_system_sgpr_workgroup_id_y 0
		.amdhsa_system_sgpr_workgroup_id_z 0
		.amdhsa_system_sgpr_workgroup_info 0
		.amdhsa_system_vgpr_workitem_id 0
		.amdhsa_next_free_vgpr 1
		.amdhsa_next_free_sgpr 0
		.amdhsa_accum_offset 4
		.amdhsa_reserve_vcc 0
		.amdhsa_reserve_flat_scratch 0
		.amdhsa_float_round_mode_32 0
		.amdhsa_float_round_mode_16_64 0
		.amdhsa_float_denorm_mode_32 3
		.amdhsa_float_denorm_mode_16_64 3
		.amdhsa_dx10_clamp 1
		.amdhsa_ieee_mode 1
		.amdhsa_fp16_overflow 0
		.amdhsa_tg_split 0
		.amdhsa_exception_fp_ieee_invalid_op 0
		.amdhsa_exception_fp_denorm_src 0
		.amdhsa_exception_fp_ieee_div_zero 0
		.amdhsa_exception_fp_ieee_overflow 0
		.amdhsa_exception_fp_ieee_underflow 0
		.amdhsa_exception_fp_ieee_inexact 0
		.amdhsa_exception_int_div_zero 0
	.end_amdhsa_kernel
	.section	.text._ZN7rocprim17ROCPRIM_400000_NS6detail17trampoline_kernelINS0_14default_configENS1_20scan_config_selectorIyEEZZNS1_9scan_implILNS1_25lookback_scan_determinismE0ELb1ELb1ES3_N6thrust23THRUST_200600_302600_NS6detail15normal_iteratorINS9_10device_ptrIyEEEENS9_16discard_iteratorINS9_11use_defaultEEEyNS9_4plusIvEEyEEDaPvRmT3_T4_T5_mT6_P12ihipStream_tbENKUlT_T0_E_clISt17integral_constantIbLb0EESW_IbLb1EEEEDaSS_ST_EUlSS_E_NS1_11comp_targetILNS1_3genE10ELNS1_11target_archE1200ELNS1_3gpuE4ELNS1_3repE0EEENS1_30default_config_static_selectorELNS0_4arch9wavefront6targetE1EEEvT1_,"axG",@progbits,_ZN7rocprim17ROCPRIM_400000_NS6detail17trampoline_kernelINS0_14default_configENS1_20scan_config_selectorIyEEZZNS1_9scan_implILNS1_25lookback_scan_determinismE0ELb1ELb1ES3_N6thrust23THRUST_200600_302600_NS6detail15normal_iteratorINS9_10device_ptrIyEEEENS9_16discard_iteratorINS9_11use_defaultEEEyNS9_4plusIvEEyEEDaPvRmT3_T4_T5_mT6_P12ihipStream_tbENKUlT_T0_E_clISt17integral_constantIbLb0EESW_IbLb1EEEEDaSS_ST_EUlSS_E_NS1_11comp_targetILNS1_3genE10ELNS1_11target_archE1200ELNS1_3gpuE4ELNS1_3repE0EEENS1_30default_config_static_selectorELNS0_4arch9wavefront6targetE1EEEvT1_,comdat
.Lfunc_end5282:
	.size	_ZN7rocprim17ROCPRIM_400000_NS6detail17trampoline_kernelINS0_14default_configENS1_20scan_config_selectorIyEEZZNS1_9scan_implILNS1_25lookback_scan_determinismE0ELb1ELb1ES3_N6thrust23THRUST_200600_302600_NS6detail15normal_iteratorINS9_10device_ptrIyEEEENS9_16discard_iteratorINS9_11use_defaultEEEyNS9_4plusIvEEyEEDaPvRmT3_T4_T5_mT6_P12ihipStream_tbENKUlT_T0_E_clISt17integral_constantIbLb0EESW_IbLb1EEEEDaSS_ST_EUlSS_E_NS1_11comp_targetILNS1_3genE10ELNS1_11target_archE1200ELNS1_3gpuE4ELNS1_3repE0EEENS1_30default_config_static_selectorELNS0_4arch9wavefront6targetE1EEEvT1_, .Lfunc_end5282-_ZN7rocprim17ROCPRIM_400000_NS6detail17trampoline_kernelINS0_14default_configENS1_20scan_config_selectorIyEEZZNS1_9scan_implILNS1_25lookback_scan_determinismE0ELb1ELb1ES3_N6thrust23THRUST_200600_302600_NS6detail15normal_iteratorINS9_10device_ptrIyEEEENS9_16discard_iteratorINS9_11use_defaultEEEyNS9_4plusIvEEyEEDaPvRmT3_T4_T5_mT6_P12ihipStream_tbENKUlT_T0_E_clISt17integral_constantIbLb0EESW_IbLb1EEEEDaSS_ST_EUlSS_E_NS1_11comp_targetILNS1_3genE10ELNS1_11target_archE1200ELNS1_3gpuE4ELNS1_3repE0EEENS1_30default_config_static_selectorELNS0_4arch9wavefront6targetE1EEEvT1_
                                        ; -- End function
	.section	.AMDGPU.csdata,"",@progbits
; Kernel info:
; codeLenInByte = 0
; NumSgprs: 4
; NumVgprs: 0
; NumAgprs: 0
; TotalNumVgprs: 0
; ScratchSize: 0
; MemoryBound: 0
; FloatMode: 240
; IeeeMode: 1
; LDSByteSize: 0 bytes/workgroup (compile time only)
; SGPRBlocks: 0
; VGPRBlocks: 0
; NumSGPRsForWavesPerEU: 4
; NumVGPRsForWavesPerEU: 1
; AccumOffset: 4
; Occupancy: 8
; WaveLimiterHint : 0
; COMPUTE_PGM_RSRC2:SCRATCH_EN: 0
; COMPUTE_PGM_RSRC2:USER_SGPR: 6
; COMPUTE_PGM_RSRC2:TRAP_HANDLER: 0
; COMPUTE_PGM_RSRC2:TGID_X_EN: 1
; COMPUTE_PGM_RSRC2:TGID_Y_EN: 0
; COMPUTE_PGM_RSRC2:TGID_Z_EN: 0
; COMPUTE_PGM_RSRC2:TIDIG_COMP_CNT: 0
; COMPUTE_PGM_RSRC3_GFX90A:ACCUM_OFFSET: 0
; COMPUTE_PGM_RSRC3_GFX90A:TG_SPLIT: 0
	.section	.text._ZN7rocprim17ROCPRIM_400000_NS6detail17trampoline_kernelINS0_14default_configENS1_20scan_config_selectorIyEEZZNS1_9scan_implILNS1_25lookback_scan_determinismE0ELb1ELb1ES3_N6thrust23THRUST_200600_302600_NS6detail15normal_iteratorINS9_10device_ptrIyEEEENS9_16discard_iteratorINS9_11use_defaultEEEyNS9_4plusIvEEyEEDaPvRmT3_T4_T5_mT6_P12ihipStream_tbENKUlT_T0_E_clISt17integral_constantIbLb0EESW_IbLb1EEEEDaSS_ST_EUlSS_E_NS1_11comp_targetILNS1_3genE9ELNS1_11target_archE1100ELNS1_3gpuE3ELNS1_3repE0EEENS1_30default_config_static_selectorELNS0_4arch9wavefront6targetE1EEEvT1_,"axG",@progbits,_ZN7rocprim17ROCPRIM_400000_NS6detail17trampoline_kernelINS0_14default_configENS1_20scan_config_selectorIyEEZZNS1_9scan_implILNS1_25lookback_scan_determinismE0ELb1ELb1ES3_N6thrust23THRUST_200600_302600_NS6detail15normal_iteratorINS9_10device_ptrIyEEEENS9_16discard_iteratorINS9_11use_defaultEEEyNS9_4plusIvEEyEEDaPvRmT3_T4_T5_mT6_P12ihipStream_tbENKUlT_T0_E_clISt17integral_constantIbLb0EESW_IbLb1EEEEDaSS_ST_EUlSS_E_NS1_11comp_targetILNS1_3genE9ELNS1_11target_archE1100ELNS1_3gpuE3ELNS1_3repE0EEENS1_30default_config_static_selectorELNS0_4arch9wavefront6targetE1EEEvT1_,comdat
	.protected	_ZN7rocprim17ROCPRIM_400000_NS6detail17trampoline_kernelINS0_14default_configENS1_20scan_config_selectorIyEEZZNS1_9scan_implILNS1_25lookback_scan_determinismE0ELb1ELb1ES3_N6thrust23THRUST_200600_302600_NS6detail15normal_iteratorINS9_10device_ptrIyEEEENS9_16discard_iteratorINS9_11use_defaultEEEyNS9_4plusIvEEyEEDaPvRmT3_T4_T5_mT6_P12ihipStream_tbENKUlT_T0_E_clISt17integral_constantIbLb0EESW_IbLb1EEEEDaSS_ST_EUlSS_E_NS1_11comp_targetILNS1_3genE9ELNS1_11target_archE1100ELNS1_3gpuE3ELNS1_3repE0EEENS1_30default_config_static_selectorELNS0_4arch9wavefront6targetE1EEEvT1_ ; -- Begin function _ZN7rocprim17ROCPRIM_400000_NS6detail17trampoline_kernelINS0_14default_configENS1_20scan_config_selectorIyEEZZNS1_9scan_implILNS1_25lookback_scan_determinismE0ELb1ELb1ES3_N6thrust23THRUST_200600_302600_NS6detail15normal_iteratorINS9_10device_ptrIyEEEENS9_16discard_iteratorINS9_11use_defaultEEEyNS9_4plusIvEEyEEDaPvRmT3_T4_T5_mT6_P12ihipStream_tbENKUlT_T0_E_clISt17integral_constantIbLb0EESW_IbLb1EEEEDaSS_ST_EUlSS_E_NS1_11comp_targetILNS1_3genE9ELNS1_11target_archE1100ELNS1_3gpuE3ELNS1_3repE0EEENS1_30default_config_static_selectorELNS0_4arch9wavefront6targetE1EEEvT1_
	.globl	_ZN7rocprim17ROCPRIM_400000_NS6detail17trampoline_kernelINS0_14default_configENS1_20scan_config_selectorIyEEZZNS1_9scan_implILNS1_25lookback_scan_determinismE0ELb1ELb1ES3_N6thrust23THRUST_200600_302600_NS6detail15normal_iteratorINS9_10device_ptrIyEEEENS9_16discard_iteratorINS9_11use_defaultEEEyNS9_4plusIvEEyEEDaPvRmT3_T4_T5_mT6_P12ihipStream_tbENKUlT_T0_E_clISt17integral_constantIbLb0EESW_IbLb1EEEEDaSS_ST_EUlSS_E_NS1_11comp_targetILNS1_3genE9ELNS1_11target_archE1100ELNS1_3gpuE3ELNS1_3repE0EEENS1_30default_config_static_selectorELNS0_4arch9wavefront6targetE1EEEvT1_
	.p2align	8
	.type	_ZN7rocprim17ROCPRIM_400000_NS6detail17trampoline_kernelINS0_14default_configENS1_20scan_config_selectorIyEEZZNS1_9scan_implILNS1_25lookback_scan_determinismE0ELb1ELb1ES3_N6thrust23THRUST_200600_302600_NS6detail15normal_iteratorINS9_10device_ptrIyEEEENS9_16discard_iteratorINS9_11use_defaultEEEyNS9_4plusIvEEyEEDaPvRmT3_T4_T5_mT6_P12ihipStream_tbENKUlT_T0_E_clISt17integral_constantIbLb0EESW_IbLb1EEEEDaSS_ST_EUlSS_E_NS1_11comp_targetILNS1_3genE9ELNS1_11target_archE1100ELNS1_3gpuE3ELNS1_3repE0EEENS1_30default_config_static_selectorELNS0_4arch9wavefront6targetE1EEEvT1_,@function
_ZN7rocprim17ROCPRIM_400000_NS6detail17trampoline_kernelINS0_14default_configENS1_20scan_config_selectorIyEEZZNS1_9scan_implILNS1_25lookback_scan_determinismE0ELb1ELb1ES3_N6thrust23THRUST_200600_302600_NS6detail15normal_iteratorINS9_10device_ptrIyEEEENS9_16discard_iteratorINS9_11use_defaultEEEyNS9_4plusIvEEyEEDaPvRmT3_T4_T5_mT6_P12ihipStream_tbENKUlT_T0_E_clISt17integral_constantIbLb0EESW_IbLb1EEEEDaSS_ST_EUlSS_E_NS1_11comp_targetILNS1_3genE9ELNS1_11target_archE1100ELNS1_3gpuE3ELNS1_3repE0EEENS1_30default_config_static_selectorELNS0_4arch9wavefront6targetE1EEEvT1_: ; @_ZN7rocprim17ROCPRIM_400000_NS6detail17trampoline_kernelINS0_14default_configENS1_20scan_config_selectorIyEEZZNS1_9scan_implILNS1_25lookback_scan_determinismE0ELb1ELb1ES3_N6thrust23THRUST_200600_302600_NS6detail15normal_iteratorINS9_10device_ptrIyEEEENS9_16discard_iteratorINS9_11use_defaultEEEyNS9_4plusIvEEyEEDaPvRmT3_T4_T5_mT6_P12ihipStream_tbENKUlT_T0_E_clISt17integral_constantIbLb0EESW_IbLb1EEEEDaSS_ST_EUlSS_E_NS1_11comp_targetILNS1_3genE9ELNS1_11target_archE1100ELNS1_3gpuE3ELNS1_3repE0EEENS1_30default_config_static_selectorELNS0_4arch9wavefront6targetE1EEEvT1_
; %bb.0:
	.section	.rodata,"a",@progbits
	.p2align	6, 0x0
	.amdhsa_kernel _ZN7rocprim17ROCPRIM_400000_NS6detail17trampoline_kernelINS0_14default_configENS1_20scan_config_selectorIyEEZZNS1_9scan_implILNS1_25lookback_scan_determinismE0ELb1ELb1ES3_N6thrust23THRUST_200600_302600_NS6detail15normal_iteratorINS9_10device_ptrIyEEEENS9_16discard_iteratorINS9_11use_defaultEEEyNS9_4plusIvEEyEEDaPvRmT3_T4_T5_mT6_P12ihipStream_tbENKUlT_T0_E_clISt17integral_constantIbLb0EESW_IbLb1EEEEDaSS_ST_EUlSS_E_NS1_11comp_targetILNS1_3genE9ELNS1_11target_archE1100ELNS1_3gpuE3ELNS1_3repE0EEENS1_30default_config_static_selectorELNS0_4arch9wavefront6targetE1EEEvT1_
		.amdhsa_group_segment_fixed_size 0
		.amdhsa_private_segment_fixed_size 0
		.amdhsa_kernarg_size 112
		.amdhsa_user_sgpr_count 6
		.amdhsa_user_sgpr_private_segment_buffer 1
		.amdhsa_user_sgpr_dispatch_ptr 0
		.amdhsa_user_sgpr_queue_ptr 0
		.amdhsa_user_sgpr_kernarg_segment_ptr 1
		.amdhsa_user_sgpr_dispatch_id 0
		.amdhsa_user_sgpr_flat_scratch_init 0
		.amdhsa_user_sgpr_kernarg_preload_length 0
		.amdhsa_user_sgpr_kernarg_preload_offset 0
		.amdhsa_user_sgpr_private_segment_size 0
		.amdhsa_uses_dynamic_stack 0
		.amdhsa_system_sgpr_private_segment_wavefront_offset 0
		.amdhsa_system_sgpr_workgroup_id_x 1
		.amdhsa_system_sgpr_workgroup_id_y 0
		.amdhsa_system_sgpr_workgroup_id_z 0
		.amdhsa_system_sgpr_workgroup_info 0
		.amdhsa_system_vgpr_workitem_id 0
		.amdhsa_next_free_vgpr 1
		.amdhsa_next_free_sgpr 0
		.amdhsa_accum_offset 4
		.amdhsa_reserve_vcc 0
		.amdhsa_reserve_flat_scratch 0
		.amdhsa_float_round_mode_32 0
		.amdhsa_float_round_mode_16_64 0
		.amdhsa_float_denorm_mode_32 3
		.amdhsa_float_denorm_mode_16_64 3
		.amdhsa_dx10_clamp 1
		.amdhsa_ieee_mode 1
		.amdhsa_fp16_overflow 0
		.amdhsa_tg_split 0
		.amdhsa_exception_fp_ieee_invalid_op 0
		.amdhsa_exception_fp_denorm_src 0
		.amdhsa_exception_fp_ieee_div_zero 0
		.amdhsa_exception_fp_ieee_overflow 0
		.amdhsa_exception_fp_ieee_underflow 0
		.amdhsa_exception_fp_ieee_inexact 0
		.amdhsa_exception_int_div_zero 0
	.end_amdhsa_kernel
	.section	.text._ZN7rocprim17ROCPRIM_400000_NS6detail17trampoline_kernelINS0_14default_configENS1_20scan_config_selectorIyEEZZNS1_9scan_implILNS1_25lookback_scan_determinismE0ELb1ELb1ES3_N6thrust23THRUST_200600_302600_NS6detail15normal_iteratorINS9_10device_ptrIyEEEENS9_16discard_iteratorINS9_11use_defaultEEEyNS9_4plusIvEEyEEDaPvRmT3_T4_T5_mT6_P12ihipStream_tbENKUlT_T0_E_clISt17integral_constantIbLb0EESW_IbLb1EEEEDaSS_ST_EUlSS_E_NS1_11comp_targetILNS1_3genE9ELNS1_11target_archE1100ELNS1_3gpuE3ELNS1_3repE0EEENS1_30default_config_static_selectorELNS0_4arch9wavefront6targetE1EEEvT1_,"axG",@progbits,_ZN7rocprim17ROCPRIM_400000_NS6detail17trampoline_kernelINS0_14default_configENS1_20scan_config_selectorIyEEZZNS1_9scan_implILNS1_25lookback_scan_determinismE0ELb1ELb1ES3_N6thrust23THRUST_200600_302600_NS6detail15normal_iteratorINS9_10device_ptrIyEEEENS9_16discard_iteratorINS9_11use_defaultEEEyNS9_4plusIvEEyEEDaPvRmT3_T4_T5_mT6_P12ihipStream_tbENKUlT_T0_E_clISt17integral_constantIbLb0EESW_IbLb1EEEEDaSS_ST_EUlSS_E_NS1_11comp_targetILNS1_3genE9ELNS1_11target_archE1100ELNS1_3gpuE3ELNS1_3repE0EEENS1_30default_config_static_selectorELNS0_4arch9wavefront6targetE1EEEvT1_,comdat
.Lfunc_end5283:
	.size	_ZN7rocprim17ROCPRIM_400000_NS6detail17trampoline_kernelINS0_14default_configENS1_20scan_config_selectorIyEEZZNS1_9scan_implILNS1_25lookback_scan_determinismE0ELb1ELb1ES3_N6thrust23THRUST_200600_302600_NS6detail15normal_iteratorINS9_10device_ptrIyEEEENS9_16discard_iteratorINS9_11use_defaultEEEyNS9_4plusIvEEyEEDaPvRmT3_T4_T5_mT6_P12ihipStream_tbENKUlT_T0_E_clISt17integral_constantIbLb0EESW_IbLb1EEEEDaSS_ST_EUlSS_E_NS1_11comp_targetILNS1_3genE9ELNS1_11target_archE1100ELNS1_3gpuE3ELNS1_3repE0EEENS1_30default_config_static_selectorELNS0_4arch9wavefront6targetE1EEEvT1_, .Lfunc_end5283-_ZN7rocprim17ROCPRIM_400000_NS6detail17trampoline_kernelINS0_14default_configENS1_20scan_config_selectorIyEEZZNS1_9scan_implILNS1_25lookback_scan_determinismE0ELb1ELb1ES3_N6thrust23THRUST_200600_302600_NS6detail15normal_iteratorINS9_10device_ptrIyEEEENS9_16discard_iteratorINS9_11use_defaultEEEyNS9_4plusIvEEyEEDaPvRmT3_T4_T5_mT6_P12ihipStream_tbENKUlT_T0_E_clISt17integral_constantIbLb0EESW_IbLb1EEEEDaSS_ST_EUlSS_E_NS1_11comp_targetILNS1_3genE9ELNS1_11target_archE1100ELNS1_3gpuE3ELNS1_3repE0EEENS1_30default_config_static_selectorELNS0_4arch9wavefront6targetE1EEEvT1_
                                        ; -- End function
	.section	.AMDGPU.csdata,"",@progbits
; Kernel info:
; codeLenInByte = 0
; NumSgprs: 4
; NumVgprs: 0
; NumAgprs: 0
; TotalNumVgprs: 0
; ScratchSize: 0
; MemoryBound: 0
; FloatMode: 240
; IeeeMode: 1
; LDSByteSize: 0 bytes/workgroup (compile time only)
; SGPRBlocks: 0
; VGPRBlocks: 0
; NumSGPRsForWavesPerEU: 4
; NumVGPRsForWavesPerEU: 1
; AccumOffset: 4
; Occupancy: 8
; WaveLimiterHint : 0
; COMPUTE_PGM_RSRC2:SCRATCH_EN: 0
; COMPUTE_PGM_RSRC2:USER_SGPR: 6
; COMPUTE_PGM_RSRC2:TRAP_HANDLER: 0
; COMPUTE_PGM_RSRC2:TGID_X_EN: 1
; COMPUTE_PGM_RSRC2:TGID_Y_EN: 0
; COMPUTE_PGM_RSRC2:TGID_Z_EN: 0
; COMPUTE_PGM_RSRC2:TIDIG_COMP_CNT: 0
; COMPUTE_PGM_RSRC3_GFX90A:ACCUM_OFFSET: 0
; COMPUTE_PGM_RSRC3_GFX90A:TG_SPLIT: 0
	.section	.text._ZN7rocprim17ROCPRIM_400000_NS6detail17trampoline_kernelINS0_14default_configENS1_20scan_config_selectorIyEEZZNS1_9scan_implILNS1_25lookback_scan_determinismE0ELb1ELb1ES3_N6thrust23THRUST_200600_302600_NS6detail15normal_iteratorINS9_10device_ptrIyEEEENS9_16discard_iteratorINS9_11use_defaultEEEyNS9_4plusIvEEyEEDaPvRmT3_T4_T5_mT6_P12ihipStream_tbENKUlT_T0_E_clISt17integral_constantIbLb0EESW_IbLb1EEEEDaSS_ST_EUlSS_E_NS1_11comp_targetILNS1_3genE8ELNS1_11target_archE1030ELNS1_3gpuE2ELNS1_3repE0EEENS1_30default_config_static_selectorELNS0_4arch9wavefront6targetE1EEEvT1_,"axG",@progbits,_ZN7rocprim17ROCPRIM_400000_NS6detail17trampoline_kernelINS0_14default_configENS1_20scan_config_selectorIyEEZZNS1_9scan_implILNS1_25lookback_scan_determinismE0ELb1ELb1ES3_N6thrust23THRUST_200600_302600_NS6detail15normal_iteratorINS9_10device_ptrIyEEEENS9_16discard_iteratorINS9_11use_defaultEEEyNS9_4plusIvEEyEEDaPvRmT3_T4_T5_mT6_P12ihipStream_tbENKUlT_T0_E_clISt17integral_constantIbLb0EESW_IbLb1EEEEDaSS_ST_EUlSS_E_NS1_11comp_targetILNS1_3genE8ELNS1_11target_archE1030ELNS1_3gpuE2ELNS1_3repE0EEENS1_30default_config_static_selectorELNS0_4arch9wavefront6targetE1EEEvT1_,comdat
	.protected	_ZN7rocprim17ROCPRIM_400000_NS6detail17trampoline_kernelINS0_14default_configENS1_20scan_config_selectorIyEEZZNS1_9scan_implILNS1_25lookback_scan_determinismE0ELb1ELb1ES3_N6thrust23THRUST_200600_302600_NS6detail15normal_iteratorINS9_10device_ptrIyEEEENS9_16discard_iteratorINS9_11use_defaultEEEyNS9_4plusIvEEyEEDaPvRmT3_T4_T5_mT6_P12ihipStream_tbENKUlT_T0_E_clISt17integral_constantIbLb0EESW_IbLb1EEEEDaSS_ST_EUlSS_E_NS1_11comp_targetILNS1_3genE8ELNS1_11target_archE1030ELNS1_3gpuE2ELNS1_3repE0EEENS1_30default_config_static_selectorELNS0_4arch9wavefront6targetE1EEEvT1_ ; -- Begin function _ZN7rocprim17ROCPRIM_400000_NS6detail17trampoline_kernelINS0_14default_configENS1_20scan_config_selectorIyEEZZNS1_9scan_implILNS1_25lookback_scan_determinismE0ELb1ELb1ES3_N6thrust23THRUST_200600_302600_NS6detail15normal_iteratorINS9_10device_ptrIyEEEENS9_16discard_iteratorINS9_11use_defaultEEEyNS9_4plusIvEEyEEDaPvRmT3_T4_T5_mT6_P12ihipStream_tbENKUlT_T0_E_clISt17integral_constantIbLb0EESW_IbLb1EEEEDaSS_ST_EUlSS_E_NS1_11comp_targetILNS1_3genE8ELNS1_11target_archE1030ELNS1_3gpuE2ELNS1_3repE0EEENS1_30default_config_static_selectorELNS0_4arch9wavefront6targetE1EEEvT1_
	.globl	_ZN7rocprim17ROCPRIM_400000_NS6detail17trampoline_kernelINS0_14default_configENS1_20scan_config_selectorIyEEZZNS1_9scan_implILNS1_25lookback_scan_determinismE0ELb1ELb1ES3_N6thrust23THRUST_200600_302600_NS6detail15normal_iteratorINS9_10device_ptrIyEEEENS9_16discard_iteratorINS9_11use_defaultEEEyNS9_4plusIvEEyEEDaPvRmT3_T4_T5_mT6_P12ihipStream_tbENKUlT_T0_E_clISt17integral_constantIbLb0EESW_IbLb1EEEEDaSS_ST_EUlSS_E_NS1_11comp_targetILNS1_3genE8ELNS1_11target_archE1030ELNS1_3gpuE2ELNS1_3repE0EEENS1_30default_config_static_selectorELNS0_4arch9wavefront6targetE1EEEvT1_
	.p2align	8
	.type	_ZN7rocprim17ROCPRIM_400000_NS6detail17trampoline_kernelINS0_14default_configENS1_20scan_config_selectorIyEEZZNS1_9scan_implILNS1_25lookback_scan_determinismE0ELb1ELb1ES3_N6thrust23THRUST_200600_302600_NS6detail15normal_iteratorINS9_10device_ptrIyEEEENS9_16discard_iteratorINS9_11use_defaultEEEyNS9_4plusIvEEyEEDaPvRmT3_T4_T5_mT6_P12ihipStream_tbENKUlT_T0_E_clISt17integral_constantIbLb0EESW_IbLb1EEEEDaSS_ST_EUlSS_E_NS1_11comp_targetILNS1_3genE8ELNS1_11target_archE1030ELNS1_3gpuE2ELNS1_3repE0EEENS1_30default_config_static_selectorELNS0_4arch9wavefront6targetE1EEEvT1_,@function
_ZN7rocprim17ROCPRIM_400000_NS6detail17trampoline_kernelINS0_14default_configENS1_20scan_config_selectorIyEEZZNS1_9scan_implILNS1_25lookback_scan_determinismE0ELb1ELb1ES3_N6thrust23THRUST_200600_302600_NS6detail15normal_iteratorINS9_10device_ptrIyEEEENS9_16discard_iteratorINS9_11use_defaultEEEyNS9_4plusIvEEyEEDaPvRmT3_T4_T5_mT6_P12ihipStream_tbENKUlT_T0_E_clISt17integral_constantIbLb0EESW_IbLb1EEEEDaSS_ST_EUlSS_E_NS1_11comp_targetILNS1_3genE8ELNS1_11target_archE1030ELNS1_3gpuE2ELNS1_3repE0EEENS1_30default_config_static_selectorELNS0_4arch9wavefront6targetE1EEEvT1_: ; @_ZN7rocprim17ROCPRIM_400000_NS6detail17trampoline_kernelINS0_14default_configENS1_20scan_config_selectorIyEEZZNS1_9scan_implILNS1_25lookback_scan_determinismE0ELb1ELb1ES3_N6thrust23THRUST_200600_302600_NS6detail15normal_iteratorINS9_10device_ptrIyEEEENS9_16discard_iteratorINS9_11use_defaultEEEyNS9_4plusIvEEyEEDaPvRmT3_T4_T5_mT6_P12ihipStream_tbENKUlT_T0_E_clISt17integral_constantIbLb0EESW_IbLb1EEEEDaSS_ST_EUlSS_E_NS1_11comp_targetILNS1_3genE8ELNS1_11target_archE1030ELNS1_3gpuE2ELNS1_3repE0EEENS1_30default_config_static_selectorELNS0_4arch9wavefront6targetE1EEEvT1_
; %bb.0:
	.section	.rodata,"a",@progbits
	.p2align	6, 0x0
	.amdhsa_kernel _ZN7rocprim17ROCPRIM_400000_NS6detail17trampoline_kernelINS0_14default_configENS1_20scan_config_selectorIyEEZZNS1_9scan_implILNS1_25lookback_scan_determinismE0ELb1ELb1ES3_N6thrust23THRUST_200600_302600_NS6detail15normal_iteratorINS9_10device_ptrIyEEEENS9_16discard_iteratorINS9_11use_defaultEEEyNS9_4plusIvEEyEEDaPvRmT3_T4_T5_mT6_P12ihipStream_tbENKUlT_T0_E_clISt17integral_constantIbLb0EESW_IbLb1EEEEDaSS_ST_EUlSS_E_NS1_11comp_targetILNS1_3genE8ELNS1_11target_archE1030ELNS1_3gpuE2ELNS1_3repE0EEENS1_30default_config_static_selectorELNS0_4arch9wavefront6targetE1EEEvT1_
		.amdhsa_group_segment_fixed_size 0
		.amdhsa_private_segment_fixed_size 0
		.amdhsa_kernarg_size 112
		.amdhsa_user_sgpr_count 6
		.amdhsa_user_sgpr_private_segment_buffer 1
		.amdhsa_user_sgpr_dispatch_ptr 0
		.amdhsa_user_sgpr_queue_ptr 0
		.amdhsa_user_sgpr_kernarg_segment_ptr 1
		.amdhsa_user_sgpr_dispatch_id 0
		.amdhsa_user_sgpr_flat_scratch_init 0
		.amdhsa_user_sgpr_kernarg_preload_length 0
		.amdhsa_user_sgpr_kernarg_preload_offset 0
		.amdhsa_user_sgpr_private_segment_size 0
		.amdhsa_uses_dynamic_stack 0
		.amdhsa_system_sgpr_private_segment_wavefront_offset 0
		.amdhsa_system_sgpr_workgroup_id_x 1
		.amdhsa_system_sgpr_workgroup_id_y 0
		.amdhsa_system_sgpr_workgroup_id_z 0
		.amdhsa_system_sgpr_workgroup_info 0
		.amdhsa_system_vgpr_workitem_id 0
		.amdhsa_next_free_vgpr 1
		.amdhsa_next_free_sgpr 0
		.amdhsa_accum_offset 4
		.amdhsa_reserve_vcc 0
		.amdhsa_reserve_flat_scratch 0
		.amdhsa_float_round_mode_32 0
		.amdhsa_float_round_mode_16_64 0
		.amdhsa_float_denorm_mode_32 3
		.amdhsa_float_denorm_mode_16_64 3
		.amdhsa_dx10_clamp 1
		.amdhsa_ieee_mode 1
		.amdhsa_fp16_overflow 0
		.amdhsa_tg_split 0
		.amdhsa_exception_fp_ieee_invalid_op 0
		.amdhsa_exception_fp_denorm_src 0
		.amdhsa_exception_fp_ieee_div_zero 0
		.amdhsa_exception_fp_ieee_overflow 0
		.amdhsa_exception_fp_ieee_underflow 0
		.amdhsa_exception_fp_ieee_inexact 0
		.amdhsa_exception_int_div_zero 0
	.end_amdhsa_kernel
	.section	.text._ZN7rocprim17ROCPRIM_400000_NS6detail17trampoline_kernelINS0_14default_configENS1_20scan_config_selectorIyEEZZNS1_9scan_implILNS1_25lookback_scan_determinismE0ELb1ELb1ES3_N6thrust23THRUST_200600_302600_NS6detail15normal_iteratorINS9_10device_ptrIyEEEENS9_16discard_iteratorINS9_11use_defaultEEEyNS9_4plusIvEEyEEDaPvRmT3_T4_T5_mT6_P12ihipStream_tbENKUlT_T0_E_clISt17integral_constantIbLb0EESW_IbLb1EEEEDaSS_ST_EUlSS_E_NS1_11comp_targetILNS1_3genE8ELNS1_11target_archE1030ELNS1_3gpuE2ELNS1_3repE0EEENS1_30default_config_static_selectorELNS0_4arch9wavefront6targetE1EEEvT1_,"axG",@progbits,_ZN7rocprim17ROCPRIM_400000_NS6detail17trampoline_kernelINS0_14default_configENS1_20scan_config_selectorIyEEZZNS1_9scan_implILNS1_25lookback_scan_determinismE0ELb1ELb1ES3_N6thrust23THRUST_200600_302600_NS6detail15normal_iteratorINS9_10device_ptrIyEEEENS9_16discard_iteratorINS9_11use_defaultEEEyNS9_4plusIvEEyEEDaPvRmT3_T4_T5_mT6_P12ihipStream_tbENKUlT_T0_E_clISt17integral_constantIbLb0EESW_IbLb1EEEEDaSS_ST_EUlSS_E_NS1_11comp_targetILNS1_3genE8ELNS1_11target_archE1030ELNS1_3gpuE2ELNS1_3repE0EEENS1_30default_config_static_selectorELNS0_4arch9wavefront6targetE1EEEvT1_,comdat
.Lfunc_end5284:
	.size	_ZN7rocprim17ROCPRIM_400000_NS6detail17trampoline_kernelINS0_14default_configENS1_20scan_config_selectorIyEEZZNS1_9scan_implILNS1_25lookback_scan_determinismE0ELb1ELb1ES3_N6thrust23THRUST_200600_302600_NS6detail15normal_iteratorINS9_10device_ptrIyEEEENS9_16discard_iteratorINS9_11use_defaultEEEyNS9_4plusIvEEyEEDaPvRmT3_T4_T5_mT6_P12ihipStream_tbENKUlT_T0_E_clISt17integral_constantIbLb0EESW_IbLb1EEEEDaSS_ST_EUlSS_E_NS1_11comp_targetILNS1_3genE8ELNS1_11target_archE1030ELNS1_3gpuE2ELNS1_3repE0EEENS1_30default_config_static_selectorELNS0_4arch9wavefront6targetE1EEEvT1_, .Lfunc_end5284-_ZN7rocprim17ROCPRIM_400000_NS6detail17trampoline_kernelINS0_14default_configENS1_20scan_config_selectorIyEEZZNS1_9scan_implILNS1_25lookback_scan_determinismE0ELb1ELb1ES3_N6thrust23THRUST_200600_302600_NS6detail15normal_iteratorINS9_10device_ptrIyEEEENS9_16discard_iteratorINS9_11use_defaultEEEyNS9_4plusIvEEyEEDaPvRmT3_T4_T5_mT6_P12ihipStream_tbENKUlT_T0_E_clISt17integral_constantIbLb0EESW_IbLb1EEEEDaSS_ST_EUlSS_E_NS1_11comp_targetILNS1_3genE8ELNS1_11target_archE1030ELNS1_3gpuE2ELNS1_3repE0EEENS1_30default_config_static_selectorELNS0_4arch9wavefront6targetE1EEEvT1_
                                        ; -- End function
	.section	.AMDGPU.csdata,"",@progbits
; Kernel info:
; codeLenInByte = 0
; NumSgprs: 4
; NumVgprs: 0
; NumAgprs: 0
; TotalNumVgprs: 0
; ScratchSize: 0
; MemoryBound: 0
; FloatMode: 240
; IeeeMode: 1
; LDSByteSize: 0 bytes/workgroup (compile time only)
; SGPRBlocks: 0
; VGPRBlocks: 0
; NumSGPRsForWavesPerEU: 4
; NumVGPRsForWavesPerEU: 1
; AccumOffset: 4
; Occupancy: 8
; WaveLimiterHint : 0
; COMPUTE_PGM_RSRC2:SCRATCH_EN: 0
; COMPUTE_PGM_RSRC2:USER_SGPR: 6
; COMPUTE_PGM_RSRC2:TRAP_HANDLER: 0
; COMPUTE_PGM_RSRC2:TGID_X_EN: 1
; COMPUTE_PGM_RSRC2:TGID_Y_EN: 0
; COMPUTE_PGM_RSRC2:TGID_Z_EN: 0
; COMPUTE_PGM_RSRC2:TIDIG_COMP_CNT: 0
; COMPUTE_PGM_RSRC3_GFX90A:ACCUM_OFFSET: 0
; COMPUTE_PGM_RSRC3_GFX90A:TG_SPLIT: 0
	.section	.text._ZN7rocprim17ROCPRIM_400000_NS6detail17trampoline_kernelINS0_14default_configENS1_20scan_config_selectorIyEEZZNS1_9scan_implILNS1_25lookback_scan_determinismE0ELb1ELb1ES3_N6thrust23THRUST_200600_302600_NS6detail15normal_iteratorINS9_10device_ptrIyEEEENS9_16discard_iteratorINS9_11use_defaultEEEyNS9_4plusIvEEyEEDaPvRmT3_T4_T5_mT6_P12ihipStream_tbENKUlT_T0_E_clISt17integral_constantIbLb0EESW_IbLb1EEEEDaSS_ST_EUlSS_E0_NS1_11comp_targetILNS1_3genE0ELNS1_11target_archE4294967295ELNS1_3gpuE0ELNS1_3repE0EEENS1_30default_config_static_selectorELNS0_4arch9wavefront6targetE1EEEvT1_,"axG",@progbits,_ZN7rocprim17ROCPRIM_400000_NS6detail17trampoline_kernelINS0_14default_configENS1_20scan_config_selectorIyEEZZNS1_9scan_implILNS1_25lookback_scan_determinismE0ELb1ELb1ES3_N6thrust23THRUST_200600_302600_NS6detail15normal_iteratorINS9_10device_ptrIyEEEENS9_16discard_iteratorINS9_11use_defaultEEEyNS9_4plusIvEEyEEDaPvRmT3_T4_T5_mT6_P12ihipStream_tbENKUlT_T0_E_clISt17integral_constantIbLb0EESW_IbLb1EEEEDaSS_ST_EUlSS_E0_NS1_11comp_targetILNS1_3genE0ELNS1_11target_archE4294967295ELNS1_3gpuE0ELNS1_3repE0EEENS1_30default_config_static_selectorELNS0_4arch9wavefront6targetE1EEEvT1_,comdat
	.protected	_ZN7rocprim17ROCPRIM_400000_NS6detail17trampoline_kernelINS0_14default_configENS1_20scan_config_selectorIyEEZZNS1_9scan_implILNS1_25lookback_scan_determinismE0ELb1ELb1ES3_N6thrust23THRUST_200600_302600_NS6detail15normal_iteratorINS9_10device_ptrIyEEEENS9_16discard_iteratorINS9_11use_defaultEEEyNS9_4plusIvEEyEEDaPvRmT3_T4_T5_mT6_P12ihipStream_tbENKUlT_T0_E_clISt17integral_constantIbLb0EESW_IbLb1EEEEDaSS_ST_EUlSS_E0_NS1_11comp_targetILNS1_3genE0ELNS1_11target_archE4294967295ELNS1_3gpuE0ELNS1_3repE0EEENS1_30default_config_static_selectorELNS0_4arch9wavefront6targetE1EEEvT1_ ; -- Begin function _ZN7rocprim17ROCPRIM_400000_NS6detail17trampoline_kernelINS0_14default_configENS1_20scan_config_selectorIyEEZZNS1_9scan_implILNS1_25lookback_scan_determinismE0ELb1ELb1ES3_N6thrust23THRUST_200600_302600_NS6detail15normal_iteratorINS9_10device_ptrIyEEEENS9_16discard_iteratorINS9_11use_defaultEEEyNS9_4plusIvEEyEEDaPvRmT3_T4_T5_mT6_P12ihipStream_tbENKUlT_T0_E_clISt17integral_constantIbLb0EESW_IbLb1EEEEDaSS_ST_EUlSS_E0_NS1_11comp_targetILNS1_3genE0ELNS1_11target_archE4294967295ELNS1_3gpuE0ELNS1_3repE0EEENS1_30default_config_static_selectorELNS0_4arch9wavefront6targetE1EEEvT1_
	.globl	_ZN7rocprim17ROCPRIM_400000_NS6detail17trampoline_kernelINS0_14default_configENS1_20scan_config_selectorIyEEZZNS1_9scan_implILNS1_25lookback_scan_determinismE0ELb1ELb1ES3_N6thrust23THRUST_200600_302600_NS6detail15normal_iteratorINS9_10device_ptrIyEEEENS9_16discard_iteratorINS9_11use_defaultEEEyNS9_4plusIvEEyEEDaPvRmT3_T4_T5_mT6_P12ihipStream_tbENKUlT_T0_E_clISt17integral_constantIbLb0EESW_IbLb1EEEEDaSS_ST_EUlSS_E0_NS1_11comp_targetILNS1_3genE0ELNS1_11target_archE4294967295ELNS1_3gpuE0ELNS1_3repE0EEENS1_30default_config_static_selectorELNS0_4arch9wavefront6targetE1EEEvT1_
	.p2align	8
	.type	_ZN7rocprim17ROCPRIM_400000_NS6detail17trampoline_kernelINS0_14default_configENS1_20scan_config_selectorIyEEZZNS1_9scan_implILNS1_25lookback_scan_determinismE0ELb1ELb1ES3_N6thrust23THRUST_200600_302600_NS6detail15normal_iteratorINS9_10device_ptrIyEEEENS9_16discard_iteratorINS9_11use_defaultEEEyNS9_4plusIvEEyEEDaPvRmT3_T4_T5_mT6_P12ihipStream_tbENKUlT_T0_E_clISt17integral_constantIbLb0EESW_IbLb1EEEEDaSS_ST_EUlSS_E0_NS1_11comp_targetILNS1_3genE0ELNS1_11target_archE4294967295ELNS1_3gpuE0ELNS1_3repE0EEENS1_30default_config_static_selectorELNS0_4arch9wavefront6targetE1EEEvT1_,@function
_ZN7rocprim17ROCPRIM_400000_NS6detail17trampoline_kernelINS0_14default_configENS1_20scan_config_selectorIyEEZZNS1_9scan_implILNS1_25lookback_scan_determinismE0ELb1ELb1ES3_N6thrust23THRUST_200600_302600_NS6detail15normal_iteratorINS9_10device_ptrIyEEEENS9_16discard_iteratorINS9_11use_defaultEEEyNS9_4plusIvEEyEEDaPvRmT3_T4_T5_mT6_P12ihipStream_tbENKUlT_T0_E_clISt17integral_constantIbLb0EESW_IbLb1EEEEDaSS_ST_EUlSS_E0_NS1_11comp_targetILNS1_3genE0ELNS1_11target_archE4294967295ELNS1_3gpuE0ELNS1_3repE0EEENS1_30default_config_static_selectorELNS0_4arch9wavefront6targetE1EEEvT1_: ; @_ZN7rocprim17ROCPRIM_400000_NS6detail17trampoline_kernelINS0_14default_configENS1_20scan_config_selectorIyEEZZNS1_9scan_implILNS1_25lookback_scan_determinismE0ELb1ELb1ES3_N6thrust23THRUST_200600_302600_NS6detail15normal_iteratorINS9_10device_ptrIyEEEENS9_16discard_iteratorINS9_11use_defaultEEEyNS9_4plusIvEEyEEDaPvRmT3_T4_T5_mT6_P12ihipStream_tbENKUlT_T0_E_clISt17integral_constantIbLb0EESW_IbLb1EEEEDaSS_ST_EUlSS_E0_NS1_11comp_targetILNS1_3genE0ELNS1_11target_archE4294967295ELNS1_3gpuE0ELNS1_3repE0EEENS1_30default_config_static_selectorELNS0_4arch9wavefront6targetE1EEEvT1_
; %bb.0:
	.section	.rodata,"a",@progbits
	.p2align	6, 0x0
	.amdhsa_kernel _ZN7rocprim17ROCPRIM_400000_NS6detail17trampoline_kernelINS0_14default_configENS1_20scan_config_selectorIyEEZZNS1_9scan_implILNS1_25lookback_scan_determinismE0ELb1ELb1ES3_N6thrust23THRUST_200600_302600_NS6detail15normal_iteratorINS9_10device_ptrIyEEEENS9_16discard_iteratorINS9_11use_defaultEEEyNS9_4plusIvEEyEEDaPvRmT3_T4_T5_mT6_P12ihipStream_tbENKUlT_T0_E_clISt17integral_constantIbLb0EESW_IbLb1EEEEDaSS_ST_EUlSS_E0_NS1_11comp_targetILNS1_3genE0ELNS1_11target_archE4294967295ELNS1_3gpuE0ELNS1_3repE0EEENS1_30default_config_static_selectorELNS0_4arch9wavefront6targetE1EEEvT1_
		.amdhsa_group_segment_fixed_size 0
		.amdhsa_private_segment_fixed_size 0
		.amdhsa_kernarg_size 48
		.amdhsa_user_sgpr_count 6
		.amdhsa_user_sgpr_private_segment_buffer 1
		.amdhsa_user_sgpr_dispatch_ptr 0
		.amdhsa_user_sgpr_queue_ptr 0
		.amdhsa_user_sgpr_kernarg_segment_ptr 1
		.amdhsa_user_sgpr_dispatch_id 0
		.amdhsa_user_sgpr_flat_scratch_init 0
		.amdhsa_user_sgpr_kernarg_preload_length 0
		.amdhsa_user_sgpr_kernarg_preload_offset 0
		.amdhsa_user_sgpr_private_segment_size 0
		.amdhsa_uses_dynamic_stack 0
		.amdhsa_system_sgpr_private_segment_wavefront_offset 0
		.amdhsa_system_sgpr_workgroup_id_x 1
		.amdhsa_system_sgpr_workgroup_id_y 0
		.amdhsa_system_sgpr_workgroup_id_z 0
		.amdhsa_system_sgpr_workgroup_info 0
		.amdhsa_system_vgpr_workitem_id 0
		.amdhsa_next_free_vgpr 1
		.amdhsa_next_free_sgpr 0
		.amdhsa_accum_offset 4
		.amdhsa_reserve_vcc 0
		.amdhsa_reserve_flat_scratch 0
		.amdhsa_float_round_mode_32 0
		.amdhsa_float_round_mode_16_64 0
		.amdhsa_float_denorm_mode_32 3
		.amdhsa_float_denorm_mode_16_64 3
		.amdhsa_dx10_clamp 1
		.amdhsa_ieee_mode 1
		.amdhsa_fp16_overflow 0
		.amdhsa_tg_split 0
		.amdhsa_exception_fp_ieee_invalid_op 0
		.amdhsa_exception_fp_denorm_src 0
		.amdhsa_exception_fp_ieee_div_zero 0
		.amdhsa_exception_fp_ieee_overflow 0
		.amdhsa_exception_fp_ieee_underflow 0
		.amdhsa_exception_fp_ieee_inexact 0
		.amdhsa_exception_int_div_zero 0
	.end_amdhsa_kernel
	.section	.text._ZN7rocprim17ROCPRIM_400000_NS6detail17trampoline_kernelINS0_14default_configENS1_20scan_config_selectorIyEEZZNS1_9scan_implILNS1_25lookback_scan_determinismE0ELb1ELb1ES3_N6thrust23THRUST_200600_302600_NS6detail15normal_iteratorINS9_10device_ptrIyEEEENS9_16discard_iteratorINS9_11use_defaultEEEyNS9_4plusIvEEyEEDaPvRmT3_T4_T5_mT6_P12ihipStream_tbENKUlT_T0_E_clISt17integral_constantIbLb0EESW_IbLb1EEEEDaSS_ST_EUlSS_E0_NS1_11comp_targetILNS1_3genE0ELNS1_11target_archE4294967295ELNS1_3gpuE0ELNS1_3repE0EEENS1_30default_config_static_selectorELNS0_4arch9wavefront6targetE1EEEvT1_,"axG",@progbits,_ZN7rocprim17ROCPRIM_400000_NS6detail17trampoline_kernelINS0_14default_configENS1_20scan_config_selectorIyEEZZNS1_9scan_implILNS1_25lookback_scan_determinismE0ELb1ELb1ES3_N6thrust23THRUST_200600_302600_NS6detail15normal_iteratorINS9_10device_ptrIyEEEENS9_16discard_iteratorINS9_11use_defaultEEEyNS9_4plusIvEEyEEDaPvRmT3_T4_T5_mT6_P12ihipStream_tbENKUlT_T0_E_clISt17integral_constantIbLb0EESW_IbLb1EEEEDaSS_ST_EUlSS_E0_NS1_11comp_targetILNS1_3genE0ELNS1_11target_archE4294967295ELNS1_3gpuE0ELNS1_3repE0EEENS1_30default_config_static_selectorELNS0_4arch9wavefront6targetE1EEEvT1_,comdat
.Lfunc_end5285:
	.size	_ZN7rocprim17ROCPRIM_400000_NS6detail17trampoline_kernelINS0_14default_configENS1_20scan_config_selectorIyEEZZNS1_9scan_implILNS1_25lookback_scan_determinismE0ELb1ELb1ES3_N6thrust23THRUST_200600_302600_NS6detail15normal_iteratorINS9_10device_ptrIyEEEENS9_16discard_iteratorINS9_11use_defaultEEEyNS9_4plusIvEEyEEDaPvRmT3_T4_T5_mT6_P12ihipStream_tbENKUlT_T0_E_clISt17integral_constantIbLb0EESW_IbLb1EEEEDaSS_ST_EUlSS_E0_NS1_11comp_targetILNS1_3genE0ELNS1_11target_archE4294967295ELNS1_3gpuE0ELNS1_3repE0EEENS1_30default_config_static_selectorELNS0_4arch9wavefront6targetE1EEEvT1_, .Lfunc_end5285-_ZN7rocprim17ROCPRIM_400000_NS6detail17trampoline_kernelINS0_14default_configENS1_20scan_config_selectorIyEEZZNS1_9scan_implILNS1_25lookback_scan_determinismE0ELb1ELb1ES3_N6thrust23THRUST_200600_302600_NS6detail15normal_iteratorINS9_10device_ptrIyEEEENS9_16discard_iteratorINS9_11use_defaultEEEyNS9_4plusIvEEyEEDaPvRmT3_T4_T5_mT6_P12ihipStream_tbENKUlT_T0_E_clISt17integral_constantIbLb0EESW_IbLb1EEEEDaSS_ST_EUlSS_E0_NS1_11comp_targetILNS1_3genE0ELNS1_11target_archE4294967295ELNS1_3gpuE0ELNS1_3repE0EEENS1_30default_config_static_selectorELNS0_4arch9wavefront6targetE1EEEvT1_
                                        ; -- End function
	.section	.AMDGPU.csdata,"",@progbits
; Kernel info:
; codeLenInByte = 0
; NumSgprs: 4
; NumVgprs: 0
; NumAgprs: 0
; TotalNumVgprs: 0
; ScratchSize: 0
; MemoryBound: 0
; FloatMode: 240
; IeeeMode: 1
; LDSByteSize: 0 bytes/workgroup (compile time only)
; SGPRBlocks: 0
; VGPRBlocks: 0
; NumSGPRsForWavesPerEU: 4
; NumVGPRsForWavesPerEU: 1
; AccumOffset: 4
; Occupancy: 8
; WaveLimiterHint : 0
; COMPUTE_PGM_RSRC2:SCRATCH_EN: 0
; COMPUTE_PGM_RSRC2:USER_SGPR: 6
; COMPUTE_PGM_RSRC2:TRAP_HANDLER: 0
; COMPUTE_PGM_RSRC2:TGID_X_EN: 1
; COMPUTE_PGM_RSRC2:TGID_Y_EN: 0
; COMPUTE_PGM_RSRC2:TGID_Z_EN: 0
; COMPUTE_PGM_RSRC2:TIDIG_COMP_CNT: 0
; COMPUTE_PGM_RSRC3_GFX90A:ACCUM_OFFSET: 0
; COMPUTE_PGM_RSRC3_GFX90A:TG_SPLIT: 0
	.section	.text._ZN7rocprim17ROCPRIM_400000_NS6detail17trampoline_kernelINS0_14default_configENS1_20scan_config_selectorIyEEZZNS1_9scan_implILNS1_25lookback_scan_determinismE0ELb1ELb1ES3_N6thrust23THRUST_200600_302600_NS6detail15normal_iteratorINS9_10device_ptrIyEEEENS9_16discard_iteratorINS9_11use_defaultEEEyNS9_4plusIvEEyEEDaPvRmT3_T4_T5_mT6_P12ihipStream_tbENKUlT_T0_E_clISt17integral_constantIbLb0EESW_IbLb1EEEEDaSS_ST_EUlSS_E0_NS1_11comp_targetILNS1_3genE5ELNS1_11target_archE942ELNS1_3gpuE9ELNS1_3repE0EEENS1_30default_config_static_selectorELNS0_4arch9wavefront6targetE1EEEvT1_,"axG",@progbits,_ZN7rocprim17ROCPRIM_400000_NS6detail17trampoline_kernelINS0_14default_configENS1_20scan_config_selectorIyEEZZNS1_9scan_implILNS1_25lookback_scan_determinismE0ELb1ELb1ES3_N6thrust23THRUST_200600_302600_NS6detail15normal_iteratorINS9_10device_ptrIyEEEENS9_16discard_iteratorINS9_11use_defaultEEEyNS9_4plusIvEEyEEDaPvRmT3_T4_T5_mT6_P12ihipStream_tbENKUlT_T0_E_clISt17integral_constantIbLb0EESW_IbLb1EEEEDaSS_ST_EUlSS_E0_NS1_11comp_targetILNS1_3genE5ELNS1_11target_archE942ELNS1_3gpuE9ELNS1_3repE0EEENS1_30default_config_static_selectorELNS0_4arch9wavefront6targetE1EEEvT1_,comdat
	.protected	_ZN7rocprim17ROCPRIM_400000_NS6detail17trampoline_kernelINS0_14default_configENS1_20scan_config_selectorIyEEZZNS1_9scan_implILNS1_25lookback_scan_determinismE0ELb1ELb1ES3_N6thrust23THRUST_200600_302600_NS6detail15normal_iteratorINS9_10device_ptrIyEEEENS9_16discard_iteratorINS9_11use_defaultEEEyNS9_4plusIvEEyEEDaPvRmT3_T4_T5_mT6_P12ihipStream_tbENKUlT_T0_E_clISt17integral_constantIbLb0EESW_IbLb1EEEEDaSS_ST_EUlSS_E0_NS1_11comp_targetILNS1_3genE5ELNS1_11target_archE942ELNS1_3gpuE9ELNS1_3repE0EEENS1_30default_config_static_selectorELNS0_4arch9wavefront6targetE1EEEvT1_ ; -- Begin function _ZN7rocprim17ROCPRIM_400000_NS6detail17trampoline_kernelINS0_14default_configENS1_20scan_config_selectorIyEEZZNS1_9scan_implILNS1_25lookback_scan_determinismE0ELb1ELb1ES3_N6thrust23THRUST_200600_302600_NS6detail15normal_iteratorINS9_10device_ptrIyEEEENS9_16discard_iteratorINS9_11use_defaultEEEyNS9_4plusIvEEyEEDaPvRmT3_T4_T5_mT6_P12ihipStream_tbENKUlT_T0_E_clISt17integral_constantIbLb0EESW_IbLb1EEEEDaSS_ST_EUlSS_E0_NS1_11comp_targetILNS1_3genE5ELNS1_11target_archE942ELNS1_3gpuE9ELNS1_3repE0EEENS1_30default_config_static_selectorELNS0_4arch9wavefront6targetE1EEEvT1_
	.globl	_ZN7rocprim17ROCPRIM_400000_NS6detail17trampoline_kernelINS0_14default_configENS1_20scan_config_selectorIyEEZZNS1_9scan_implILNS1_25lookback_scan_determinismE0ELb1ELb1ES3_N6thrust23THRUST_200600_302600_NS6detail15normal_iteratorINS9_10device_ptrIyEEEENS9_16discard_iteratorINS9_11use_defaultEEEyNS9_4plusIvEEyEEDaPvRmT3_T4_T5_mT6_P12ihipStream_tbENKUlT_T0_E_clISt17integral_constantIbLb0EESW_IbLb1EEEEDaSS_ST_EUlSS_E0_NS1_11comp_targetILNS1_3genE5ELNS1_11target_archE942ELNS1_3gpuE9ELNS1_3repE0EEENS1_30default_config_static_selectorELNS0_4arch9wavefront6targetE1EEEvT1_
	.p2align	8
	.type	_ZN7rocprim17ROCPRIM_400000_NS6detail17trampoline_kernelINS0_14default_configENS1_20scan_config_selectorIyEEZZNS1_9scan_implILNS1_25lookback_scan_determinismE0ELb1ELb1ES3_N6thrust23THRUST_200600_302600_NS6detail15normal_iteratorINS9_10device_ptrIyEEEENS9_16discard_iteratorINS9_11use_defaultEEEyNS9_4plusIvEEyEEDaPvRmT3_T4_T5_mT6_P12ihipStream_tbENKUlT_T0_E_clISt17integral_constantIbLb0EESW_IbLb1EEEEDaSS_ST_EUlSS_E0_NS1_11comp_targetILNS1_3genE5ELNS1_11target_archE942ELNS1_3gpuE9ELNS1_3repE0EEENS1_30default_config_static_selectorELNS0_4arch9wavefront6targetE1EEEvT1_,@function
_ZN7rocprim17ROCPRIM_400000_NS6detail17trampoline_kernelINS0_14default_configENS1_20scan_config_selectorIyEEZZNS1_9scan_implILNS1_25lookback_scan_determinismE0ELb1ELb1ES3_N6thrust23THRUST_200600_302600_NS6detail15normal_iteratorINS9_10device_ptrIyEEEENS9_16discard_iteratorINS9_11use_defaultEEEyNS9_4plusIvEEyEEDaPvRmT3_T4_T5_mT6_P12ihipStream_tbENKUlT_T0_E_clISt17integral_constantIbLb0EESW_IbLb1EEEEDaSS_ST_EUlSS_E0_NS1_11comp_targetILNS1_3genE5ELNS1_11target_archE942ELNS1_3gpuE9ELNS1_3repE0EEENS1_30default_config_static_selectorELNS0_4arch9wavefront6targetE1EEEvT1_: ; @_ZN7rocprim17ROCPRIM_400000_NS6detail17trampoline_kernelINS0_14default_configENS1_20scan_config_selectorIyEEZZNS1_9scan_implILNS1_25lookback_scan_determinismE0ELb1ELb1ES3_N6thrust23THRUST_200600_302600_NS6detail15normal_iteratorINS9_10device_ptrIyEEEENS9_16discard_iteratorINS9_11use_defaultEEEyNS9_4plusIvEEyEEDaPvRmT3_T4_T5_mT6_P12ihipStream_tbENKUlT_T0_E_clISt17integral_constantIbLb0EESW_IbLb1EEEEDaSS_ST_EUlSS_E0_NS1_11comp_targetILNS1_3genE5ELNS1_11target_archE942ELNS1_3gpuE9ELNS1_3repE0EEENS1_30default_config_static_selectorELNS0_4arch9wavefront6targetE1EEEvT1_
; %bb.0:
	.section	.rodata,"a",@progbits
	.p2align	6, 0x0
	.amdhsa_kernel _ZN7rocprim17ROCPRIM_400000_NS6detail17trampoline_kernelINS0_14default_configENS1_20scan_config_selectorIyEEZZNS1_9scan_implILNS1_25lookback_scan_determinismE0ELb1ELb1ES3_N6thrust23THRUST_200600_302600_NS6detail15normal_iteratorINS9_10device_ptrIyEEEENS9_16discard_iteratorINS9_11use_defaultEEEyNS9_4plusIvEEyEEDaPvRmT3_T4_T5_mT6_P12ihipStream_tbENKUlT_T0_E_clISt17integral_constantIbLb0EESW_IbLb1EEEEDaSS_ST_EUlSS_E0_NS1_11comp_targetILNS1_3genE5ELNS1_11target_archE942ELNS1_3gpuE9ELNS1_3repE0EEENS1_30default_config_static_selectorELNS0_4arch9wavefront6targetE1EEEvT1_
		.amdhsa_group_segment_fixed_size 0
		.amdhsa_private_segment_fixed_size 0
		.amdhsa_kernarg_size 48
		.amdhsa_user_sgpr_count 6
		.amdhsa_user_sgpr_private_segment_buffer 1
		.amdhsa_user_sgpr_dispatch_ptr 0
		.amdhsa_user_sgpr_queue_ptr 0
		.amdhsa_user_sgpr_kernarg_segment_ptr 1
		.amdhsa_user_sgpr_dispatch_id 0
		.amdhsa_user_sgpr_flat_scratch_init 0
		.amdhsa_user_sgpr_kernarg_preload_length 0
		.amdhsa_user_sgpr_kernarg_preload_offset 0
		.amdhsa_user_sgpr_private_segment_size 0
		.amdhsa_uses_dynamic_stack 0
		.amdhsa_system_sgpr_private_segment_wavefront_offset 0
		.amdhsa_system_sgpr_workgroup_id_x 1
		.amdhsa_system_sgpr_workgroup_id_y 0
		.amdhsa_system_sgpr_workgroup_id_z 0
		.amdhsa_system_sgpr_workgroup_info 0
		.amdhsa_system_vgpr_workitem_id 0
		.amdhsa_next_free_vgpr 1
		.amdhsa_next_free_sgpr 0
		.amdhsa_accum_offset 4
		.amdhsa_reserve_vcc 0
		.amdhsa_reserve_flat_scratch 0
		.amdhsa_float_round_mode_32 0
		.amdhsa_float_round_mode_16_64 0
		.amdhsa_float_denorm_mode_32 3
		.amdhsa_float_denorm_mode_16_64 3
		.amdhsa_dx10_clamp 1
		.amdhsa_ieee_mode 1
		.amdhsa_fp16_overflow 0
		.amdhsa_tg_split 0
		.amdhsa_exception_fp_ieee_invalid_op 0
		.amdhsa_exception_fp_denorm_src 0
		.amdhsa_exception_fp_ieee_div_zero 0
		.amdhsa_exception_fp_ieee_overflow 0
		.amdhsa_exception_fp_ieee_underflow 0
		.amdhsa_exception_fp_ieee_inexact 0
		.amdhsa_exception_int_div_zero 0
	.end_amdhsa_kernel
	.section	.text._ZN7rocprim17ROCPRIM_400000_NS6detail17trampoline_kernelINS0_14default_configENS1_20scan_config_selectorIyEEZZNS1_9scan_implILNS1_25lookback_scan_determinismE0ELb1ELb1ES3_N6thrust23THRUST_200600_302600_NS6detail15normal_iteratorINS9_10device_ptrIyEEEENS9_16discard_iteratorINS9_11use_defaultEEEyNS9_4plusIvEEyEEDaPvRmT3_T4_T5_mT6_P12ihipStream_tbENKUlT_T0_E_clISt17integral_constantIbLb0EESW_IbLb1EEEEDaSS_ST_EUlSS_E0_NS1_11comp_targetILNS1_3genE5ELNS1_11target_archE942ELNS1_3gpuE9ELNS1_3repE0EEENS1_30default_config_static_selectorELNS0_4arch9wavefront6targetE1EEEvT1_,"axG",@progbits,_ZN7rocprim17ROCPRIM_400000_NS6detail17trampoline_kernelINS0_14default_configENS1_20scan_config_selectorIyEEZZNS1_9scan_implILNS1_25lookback_scan_determinismE0ELb1ELb1ES3_N6thrust23THRUST_200600_302600_NS6detail15normal_iteratorINS9_10device_ptrIyEEEENS9_16discard_iteratorINS9_11use_defaultEEEyNS9_4plusIvEEyEEDaPvRmT3_T4_T5_mT6_P12ihipStream_tbENKUlT_T0_E_clISt17integral_constantIbLb0EESW_IbLb1EEEEDaSS_ST_EUlSS_E0_NS1_11comp_targetILNS1_3genE5ELNS1_11target_archE942ELNS1_3gpuE9ELNS1_3repE0EEENS1_30default_config_static_selectorELNS0_4arch9wavefront6targetE1EEEvT1_,comdat
.Lfunc_end5286:
	.size	_ZN7rocprim17ROCPRIM_400000_NS6detail17trampoline_kernelINS0_14default_configENS1_20scan_config_selectorIyEEZZNS1_9scan_implILNS1_25lookback_scan_determinismE0ELb1ELb1ES3_N6thrust23THRUST_200600_302600_NS6detail15normal_iteratorINS9_10device_ptrIyEEEENS9_16discard_iteratorINS9_11use_defaultEEEyNS9_4plusIvEEyEEDaPvRmT3_T4_T5_mT6_P12ihipStream_tbENKUlT_T0_E_clISt17integral_constantIbLb0EESW_IbLb1EEEEDaSS_ST_EUlSS_E0_NS1_11comp_targetILNS1_3genE5ELNS1_11target_archE942ELNS1_3gpuE9ELNS1_3repE0EEENS1_30default_config_static_selectorELNS0_4arch9wavefront6targetE1EEEvT1_, .Lfunc_end5286-_ZN7rocprim17ROCPRIM_400000_NS6detail17trampoline_kernelINS0_14default_configENS1_20scan_config_selectorIyEEZZNS1_9scan_implILNS1_25lookback_scan_determinismE0ELb1ELb1ES3_N6thrust23THRUST_200600_302600_NS6detail15normal_iteratorINS9_10device_ptrIyEEEENS9_16discard_iteratorINS9_11use_defaultEEEyNS9_4plusIvEEyEEDaPvRmT3_T4_T5_mT6_P12ihipStream_tbENKUlT_T0_E_clISt17integral_constantIbLb0EESW_IbLb1EEEEDaSS_ST_EUlSS_E0_NS1_11comp_targetILNS1_3genE5ELNS1_11target_archE942ELNS1_3gpuE9ELNS1_3repE0EEENS1_30default_config_static_selectorELNS0_4arch9wavefront6targetE1EEEvT1_
                                        ; -- End function
	.section	.AMDGPU.csdata,"",@progbits
; Kernel info:
; codeLenInByte = 0
; NumSgprs: 4
; NumVgprs: 0
; NumAgprs: 0
; TotalNumVgprs: 0
; ScratchSize: 0
; MemoryBound: 0
; FloatMode: 240
; IeeeMode: 1
; LDSByteSize: 0 bytes/workgroup (compile time only)
; SGPRBlocks: 0
; VGPRBlocks: 0
; NumSGPRsForWavesPerEU: 4
; NumVGPRsForWavesPerEU: 1
; AccumOffset: 4
; Occupancy: 8
; WaveLimiterHint : 0
; COMPUTE_PGM_RSRC2:SCRATCH_EN: 0
; COMPUTE_PGM_RSRC2:USER_SGPR: 6
; COMPUTE_PGM_RSRC2:TRAP_HANDLER: 0
; COMPUTE_PGM_RSRC2:TGID_X_EN: 1
; COMPUTE_PGM_RSRC2:TGID_Y_EN: 0
; COMPUTE_PGM_RSRC2:TGID_Z_EN: 0
; COMPUTE_PGM_RSRC2:TIDIG_COMP_CNT: 0
; COMPUTE_PGM_RSRC3_GFX90A:ACCUM_OFFSET: 0
; COMPUTE_PGM_RSRC3_GFX90A:TG_SPLIT: 0
	.section	.text._ZN7rocprim17ROCPRIM_400000_NS6detail17trampoline_kernelINS0_14default_configENS1_20scan_config_selectorIyEEZZNS1_9scan_implILNS1_25lookback_scan_determinismE0ELb1ELb1ES3_N6thrust23THRUST_200600_302600_NS6detail15normal_iteratorINS9_10device_ptrIyEEEENS9_16discard_iteratorINS9_11use_defaultEEEyNS9_4plusIvEEyEEDaPvRmT3_T4_T5_mT6_P12ihipStream_tbENKUlT_T0_E_clISt17integral_constantIbLb0EESW_IbLb1EEEEDaSS_ST_EUlSS_E0_NS1_11comp_targetILNS1_3genE4ELNS1_11target_archE910ELNS1_3gpuE8ELNS1_3repE0EEENS1_30default_config_static_selectorELNS0_4arch9wavefront6targetE1EEEvT1_,"axG",@progbits,_ZN7rocprim17ROCPRIM_400000_NS6detail17trampoline_kernelINS0_14default_configENS1_20scan_config_selectorIyEEZZNS1_9scan_implILNS1_25lookback_scan_determinismE0ELb1ELb1ES3_N6thrust23THRUST_200600_302600_NS6detail15normal_iteratorINS9_10device_ptrIyEEEENS9_16discard_iteratorINS9_11use_defaultEEEyNS9_4plusIvEEyEEDaPvRmT3_T4_T5_mT6_P12ihipStream_tbENKUlT_T0_E_clISt17integral_constantIbLb0EESW_IbLb1EEEEDaSS_ST_EUlSS_E0_NS1_11comp_targetILNS1_3genE4ELNS1_11target_archE910ELNS1_3gpuE8ELNS1_3repE0EEENS1_30default_config_static_selectorELNS0_4arch9wavefront6targetE1EEEvT1_,comdat
	.protected	_ZN7rocprim17ROCPRIM_400000_NS6detail17trampoline_kernelINS0_14default_configENS1_20scan_config_selectorIyEEZZNS1_9scan_implILNS1_25lookback_scan_determinismE0ELb1ELb1ES3_N6thrust23THRUST_200600_302600_NS6detail15normal_iteratorINS9_10device_ptrIyEEEENS9_16discard_iteratorINS9_11use_defaultEEEyNS9_4plusIvEEyEEDaPvRmT3_T4_T5_mT6_P12ihipStream_tbENKUlT_T0_E_clISt17integral_constantIbLb0EESW_IbLb1EEEEDaSS_ST_EUlSS_E0_NS1_11comp_targetILNS1_3genE4ELNS1_11target_archE910ELNS1_3gpuE8ELNS1_3repE0EEENS1_30default_config_static_selectorELNS0_4arch9wavefront6targetE1EEEvT1_ ; -- Begin function _ZN7rocprim17ROCPRIM_400000_NS6detail17trampoline_kernelINS0_14default_configENS1_20scan_config_selectorIyEEZZNS1_9scan_implILNS1_25lookback_scan_determinismE0ELb1ELb1ES3_N6thrust23THRUST_200600_302600_NS6detail15normal_iteratorINS9_10device_ptrIyEEEENS9_16discard_iteratorINS9_11use_defaultEEEyNS9_4plusIvEEyEEDaPvRmT3_T4_T5_mT6_P12ihipStream_tbENKUlT_T0_E_clISt17integral_constantIbLb0EESW_IbLb1EEEEDaSS_ST_EUlSS_E0_NS1_11comp_targetILNS1_3genE4ELNS1_11target_archE910ELNS1_3gpuE8ELNS1_3repE0EEENS1_30default_config_static_selectorELNS0_4arch9wavefront6targetE1EEEvT1_
	.globl	_ZN7rocprim17ROCPRIM_400000_NS6detail17trampoline_kernelINS0_14default_configENS1_20scan_config_selectorIyEEZZNS1_9scan_implILNS1_25lookback_scan_determinismE0ELb1ELb1ES3_N6thrust23THRUST_200600_302600_NS6detail15normal_iteratorINS9_10device_ptrIyEEEENS9_16discard_iteratorINS9_11use_defaultEEEyNS9_4plusIvEEyEEDaPvRmT3_T4_T5_mT6_P12ihipStream_tbENKUlT_T0_E_clISt17integral_constantIbLb0EESW_IbLb1EEEEDaSS_ST_EUlSS_E0_NS1_11comp_targetILNS1_3genE4ELNS1_11target_archE910ELNS1_3gpuE8ELNS1_3repE0EEENS1_30default_config_static_selectorELNS0_4arch9wavefront6targetE1EEEvT1_
	.p2align	8
	.type	_ZN7rocprim17ROCPRIM_400000_NS6detail17trampoline_kernelINS0_14default_configENS1_20scan_config_selectorIyEEZZNS1_9scan_implILNS1_25lookback_scan_determinismE0ELb1ELb1ES3_N6thrust23THRUST_200600_302600_NS6detail15normal_iteratorINS9_10device_ptrIyEEEENS9_16discard_iteratorINS9_11use_defaultEEEyNS9_4plusIvEEyEEDaPvRmT3_T4_T5_mT6_P12ihipStream_tbENKUlT_T0_E_clISt17integral_constantIbLb0EESW_IbLb1EEEEDaSS_ST_EUlSS_E0_NS1_11comp_targetILNS1_3genE4ELNS1_11target_archE910ELNS1_3gpuE8ELNS1_3repE0EEENS1_30default_config_static_selectorELNS0_4arch9wavefront6targetE1EEEvT1_,@function
_ZN7rocprim17ROCPRIM_400000_NS6detail17trampoline_kernelINS0_14default_configENS1_20scan_config_selectorIyEEZZNS1_9scan_implILNS1_25lookback_scan_determinismE0ELb1ELb1ES3_N6thrust23THRUST_200600_302600_NS6detail15normal_iteratorINS9_10device_ptrIyEEEENS9_16discard_iteratorINS9_11use_defaultEEEyNS9_4plusIvEEyEEDaPvRmT3_T4_T5_mT6_P12ihipStream_tbENKUlT_T0_E_clISt17integral_constantIbLb0EESW_IbLb1EEEEDaSS_ST_EUlSS_E0_NS1_11comp_targetILNS1_3genE4ELNS1_11target_archE910ELNS1_3gpuE8ELNS1_3repE0EEENS1_30default_config_static_selectorELNS0_4arch9wavefront6targetE1EEEvT1_: ; @_ZN7rocprim17ROCPRIM_400000_NS6detail17trampoline_kernelINS0_14default_configENS1_20scan_config_selectorIyEEZZNS1_9scan_implILNS1_25lookback_scan_determinismE0ELb1ELb1ES3_N6thrust23THRUST_200600_302600_NS6detail15normal_iteratorINS9_10device_ptrIyEEEENS9_16discard_iteratorINS9_11use_defaultEEEyNS9_4plusIvEEyEEDaPvRmT3_T4_T5_mT6_P12ihipStream_tbENKUlT_T0_E_clISt17integral_constantIbLb0EESW_IbLb1EEEEDaSS_ST_EUlSS_E0_NS1_11comp_targetILNS1_3genE4ELNS1_11target_archE910ELNS1_3gpuE8ELNS1_3repE0EEENS1_30default_config_static_selectorELNS0_4arch9wavefront6targetE1EEEvT1_
; %bb.0:
	s_load_dwordx4 s[0:3], s[4:5], 0x0
	v_lshlrev_b32_e32 v20, 3, v0
	s_waitcnt lgkmcnt(0)
	s_load_dwordx2 s[6:7], s[0:1], 0x0
	v_cmp_gt_u32_e32 vcc, s2, v0
	s_waitcnt lgkmcnt(0)
	v_pk_mov_b32 v[2:3], s[6:7], s[6:7] op_sel:[0,1]
	s_and_saveexec_b64 s[8:9], vcc
	s_cbranch_execz .LBB5287_2
; %bb.1:
	global_load_dwordx2 v[2:3], v20, s[0:1]
.LBB5287_2:
	s_or_b64 exec, exec, s[8:9]
	v_or_b32_e32 v1, 0x80, v0
	v_cmp_gt_u32_e32 vcc, s2, v1
	v_pk_mov_b32 v[4:5], s[6:7], s[6:7] op_sel:[0,1]
	s_and_saveexec_b64 s[8:9], vcc
	s_cbranch_execz .LBB5287_4
; %bb.3:
	global_load_dwordx2 v[4:5], v20, s[0:1] offset:1024
.LBB5287_4:
	s_or_b64 exec, exec, s[8:9]
	v_or_b32_e32 v1, 0x100, v0
	v_cmp_gt_u32_e32 vcc, s2, v1
	v_pk_mov_b32 v[6:7], s[6:7], s[6:7] op_sel:[0,1]
	s_and_saveexec_b64 s[8:9], vcc
	s_cbranch_execz .LBB5287_6
; %bb.5:
	global_load_dwordx2 v[6:7], v20, s[0:1] offset:2048
.LBB5287_6:
	;; [unrolled: 9-line block ×3, first 2 shown]
	s_or_b64 exec, exec, s[8:9]
	v_or_b32_e32 v1, 0x200, v0
	v_cmp_gt_u32_e32 vcc, s2, v1
	v_pk_mov_b32 v[10:11], s[6:7], s[6:7] op_sel:[0,1]
	s_and_saveexec_b64 s[8:9], vcc
	s_cbranch_execz .LBB5287_10
; %bb.9:
	v_lshlrev_b32_e32 v1, 3, v1
	global_load_dwordx2 v[10:11], v1, s[0:1]
.LBB5287_10:
	s_or_b64 exec, exec, s[8:9]
	v_or_b32_e32 v1, 0x280, v0
	v_cmp_gt_u32_e32 vcc, s2, v1
	v_pk_mov_b32 v[12:13], s[6:7], s[6:7] op_sel:[0,1]
	s_and_saveexec_b64 s[8:9], vcc
	s_cbranch_execz .LBB5287_12
; %bb.11:
	v_lshlrev_b32_e32 v1, 3, v1
	global_load_dwordx2 v[12:13], v1, s[0:1]
.LBB5287_12:
	s_or_b64 exec, exec, s[8:9]
	s_load_dwordx2 s[4:5], s[4:5], 0x10
	v_or_b32_e32 v1, 0x300, v0
	v_cmp_gt_u32_e32 vcc, s2, v1
	v_pk_mov_b32 v[14:15], s[6:7], s[6:7] op_sel:[0,1]
	s_and_saveexec_b64 s[2:3], vcc
	s_cbranch_execz .LBB5287_14
; %bb.13:
	v_lshlrev_b32_e32 v1, 3, v1
	global_load_dwordx2 v[14:15], v1, s[0:1]
.LBB5287_14:
	s_or_b64 exec, exec, s[2:3]
	v_mad_u32_u24 v1, v0, 48, v20
	s_waitcnt vmcnt(0)
	ds_write2st64_b64 v20, v[2:3], v[4:5] offset1:2
	ds_write2st64_b64 v20, v[6:7], v[8:9] offset0:4 offset1:6
	ds_write2st64_b64 v20, v[10:11], v[12:13] offset0:8 offset1:10
	ds_write_b64 v20, v[14:15] offset:6144
	s_waitcnt lgkmcnt(0)
	s_barrier
	ds_read2_b64 v[2:5], v1 offset1:1
	ds_read2_b64 v[6:9], v1 offset0:2 offset1:3
	ds_read2_b64 v[10:13], v1 offset0:4 offset1:5
	ds_read_b64 v[14:15], v1 offset:48
	s_waitcnt lgkmcnt(0)
	v_add_co_u32_e32 v1, vcc, v4, v2
	v_addc_co_u32_e32 v16, vcc, v5, v3, vcc
	v_add_co_u32_e32 v1, vcc, v1, v6
	v_addc_co_u32_e32 v16, vcc, v16, v7, vcc
	;; [unrolled: 2-line block ×5, first 2 shown]
	v_add_co_u32_e32 v18, vcc, v1, v14
	v_lshrrev_b32_e32 v1, 2, v0
	v_addc_co_u32_e32 v19, vcc, v16, v15, vcc
	v_and_b32_e32 v1, 24, v1
	v_add_u32_e32 v1, v20, v1
	v_cmp_gt_u32_e32 vcc, 64, v0
	s_barrier
	ds_write_b64 v1, v[18:19]
	s_waitcnt lgkmcnt(0)
	s_barrier
	s_and_saveexec_b64 s[2:3], vcc
	s_cbranch_execz .LBB5287_18
; %bb.15:
	v_lshlrev_b32_e32 v1, 1, v0
	v_lshrrev_b32_e32 v14, 4, v0
	v_add_lshl_u32 v21, v14, v1, 3
	ds_read2_b64 v[14:17], v21 offset1:1
	v_mbcnt_lo_u32_b32 v1, -1, 0
	s_waitcnt lgkmcnt(0)
	v_add_co_u32_e32 v22, vcc, v16, v14
	v_addc_co_u32_e32 v23, vcc, v17, v15, vcc
	s_nop 0
	v_mov_b32_dpp v16, v22 row_shr:1 row_mask:0xf bank_mask:0xf
	v_add_co_u32_e32 v16, vcc, v22, v16
	v_addc_co_u32_e32 v25, vcc, 0, v23, vcc
	v_mbcnt_hi_u32_b32 v17, -1, v1
	v_mov_b32_dpp v24, v23 row_shr:1 row_mask:0xf bank_mask:0xf
	v_add_co_u32_e32 v26, vcc, 0, v16
	v_and_b32_e32 v1, 15, v17
	v_addc_co_u32_e32 v24, vcc, v24, v25, vcc
	v_cmp_eq_u32_e32 vcc, 0, v1
	v_cndmask_b32_e32 v16, v16, v22, vcc
	v_cndmask_b32_e32 v24, v24, v23, vcc
	v_cndmask_b32_e32 v25, v26, v22, vcc
	v_mov_b32_dpp v26, v16 row_shr:2 row_mask:0xf bank_mask:0xf
	v_mov_b32_dpp v27, v24 row_shr:2 row_mask:0xf bank_mask:0xf
	v_add_co_u32_e32 v26, vcc, v26, v25
	v_addc_co_u32_e32 v27, vcc, v27, v24, vcc
	v_cmp_lt_u32_e32 vcc, 1, v1
	v_cndmask_b32_e32 v16, v16, v26, vcc
	v_cndmask_b32_e32 v24, v24, v27, vcc
	v_cndmask_b32_e32 v25, v25, v26, vcc
	v_mov_b32_dpp v26, v16 row_shr:4 row_mask:0xf bank_mask:0xf
	v_mov_b32_dpp v27, v24 row_shr:4 row_mask:0xf bank_mask:0xf
	v_add_co_u32_e32 v26, vcc, v26, v25
	v_addc_co_u32_e32 v27, vcc, v27, v24, vcc
	v_cmp_lt_u32_e32 vcc, 3, v1
	;; [unrolled: 8-line block ×3, first 2 shown]
	v_cndmask_b32_e32 v28, v16, v26, vcc
	v_cndmask_b32_e32 v1, v24, v27, vcc
	;; [unrolled: 1-line block ×3, first 2 shown]
	v_mov_b32_dpp v24, v28 row_bcast:15 row_mask:0xf bank_mask:0xf
	v_mov_b32_dpp v25, v1 row_bcast:15 row_mask:0xf bank_mask:0xf
	v_add_co_u32_e32 v24, vcc, v24, v16
	v_and_b32_e32 v27, 16, v17
	v_addc_co_u32_e32 v26, vcc, v25, v1, vcc
	v_cmp_eq_u32_e32 vcc, 0, v27
	v_cndmask_b32_e32 v27, v26, v1, vcc
	v_cndmask_b32_e32 v25, v24, v28, vcc
	v_cmp_ne_u32_e64 s[0:1], 0, v17
	v_mov_b32_dpp v27, v27 row_bcast:31 row_mask:0xf bank_mask:0xf
	v_mov_b32_dpp v25, v25 row_bcast:31 row_mask:0xf bank_mask:0xf
	s_and_saveexec_b64 s[6:7], s[0:1]
; %bb.16:
	v_cndmask_b32_e32 v1, v26, v1, vcc
	v_cndmask_b32_e32 v16, v24, v16, vcc
	v_cmp_lt_u32_e32 vcc, 31, v17
	v_cndmask_b32_e32 v22, 0, v25, vcc
	v_cndmask_b32_e32 v23, 0, v27, vcc
	v_add_co_u32_e32 v22, vcc, v22, v16
	v_addc_co_u32_e32 v23, vcc, v23, v1, vcc
; %bb.17:
	s_or_b64 exec, exec, s[6:7]
	v_add_u32_e32 v1, -1, v17
	v_and_b32_e32 v16, 64, v17
	v_cmp_lt_i32_e32 vcc, v1, v16
	v_cndmask_b32_e32 v1, v1, v17, vcc
	v_lshlrev_b32_e32 v1, 2, v1
	ds_bpermute_b32 v16, v1, v22
	ds_bpermute_b32 v1, v1, v23
	; wave barrier
	s_waitcnt lgkmcnt(1)
	v_add_co_u32_e32 v14, vcc, v14, v16
	v_addc_co_u32_e32 v15, vcc, 0, v15, vcc
	v_add_co_u32_e32 v14, vcc, 0, v14
	s_waitcnt lgkmcnt(0)
	v_addc_co_u32_e32 v1, vcc, v15, v1, vcc
	v_cmp_eq_u32_e32 vcc, 0, v0
	v_cndmask_b32_e32 v15, v1, v19, vcc
	v_cndmask_b32_e32 v14, v14, v18, vcc
	ds_write_b64 v21, v[14:15]
	; wave barrier
	ds_read_b64 v[16:17], v21 offset:8
	s_waitcnt lgkmcnt(0)
	v_add_co_u32_e32 v14, vcc, v16, v14
	v_addc_co_u32_e32 v15, vcc, v17, v15, vcc
	ds_write_b64 v21, v[14:15] offset:8
.LBB5287_18:
	s_or_b64 exec, exec, s[2:3]
	v_mul_u32_u24_e32 v1, 48, v0
	v_cmp_ne_u32_e32 vcc, 0, v0
	v_pk_mov_b32 v[14:15], s[4:5], s[4:5] op_sel:[0,1]
	s_waitcnt lgkmcnt(0)
	s_barrier
	s_and_saveexec_b64 s[0:1], vcc
	s_cbranch_execz .LBB5287_20
; %bb.19:
	v_add_u32_e32 v0, -1, v0
	v_lshrrev_b32_e32 v14, 5, v0
	v_add_lshl_u32 v0, v14, v0, 3
	ds_read_b64 v[14:15], v0
	v_mov_b32_e32 v0, s5
	s_waitcnt lgkmcnt(0)
	v_add_co_u32_e32 v14, vcc, s4, v14
	v_addc_co_u32_e32 v15, vcc, v15, v0, vcc
.LBB5287_20:
	s_or_b64 exec, exec, s[0:1]
	v_add_co_u32_e32 v2, vcc, v14, v2
	v_addc_co_u32_e32 v3, vcc, v15, v3, vcc
	v_add_co_u32_e32 v4, vcc, v2, v4
	v_addc_co_u32_e32 v5, vcc, v3, v5, vcc
	v_add_co_u32_e32 v6, vcc, v4, v6
	v_addc_co_u32_e32 v7, vcc, v5, v7, vcc
	v_add_co_u32_e32 v8, vcc, v6, v8
	v_addc_co_u32_e32 v9, vcc, v7, v9, vcc
	v_add_co_u32_e32 v10, vcc, v8, v10
	v_addc_co_u32_e32 v11, vcc, v9, v11, vcc
	v_add_co_u32_e32 v12, vcc, v10, v12
	v_add_u32_e32 v0, v20, v1
	v_addc_co_u32_e32 v13, vcc, v11, v13, vcc
	s_barrier
	ds_write2_b64 v0, v[14:15], v[2:3] offset1:1
	ds_write2_b64 v0, v[4:5], v[6:7] offset0:2 offset1:3
	ds_write2_b64 v0, v[8:9], v[10:11] offset0:4 offset1:5
	ds_write_b64 v0, v[12:13] offset:48
	s_waitcnt lgkmcnt(0)
	s_barrier
	s_endpgm
	.section	.rodata,"a",@progbits
	.p2align	6, 0x0
	.amdhsa_kernel _ZN7rocprim17ROCPRIM_400000_NS6detail17trampoline_kernelINS0_14default_configENS1_20scan_config_selectorIyEEZZNS1_9scan_implILNS1_25lookback_scan_determinismE0ELb1ELb1ES3_N6thrust23THRUST_200600_302600_NS6detail15normal_iteratorINS9_10device_ptrIyEEEENS9_16discard_iteratorINS9_11use_defaultEEEyNS9_4plusIvEEyEEDaPvRmT3_T4_T5_mT6_P12ihipStream_tbENKUlT_T0_E_clISt17integral_constantIbLb0EESW_IbLb1EEEEDaSS_ST_EUlSS_E0_NS1_11comp_targetILNS1_3genE4ELNS1_11target_archE910ELNS1_3gpuE8ELNS1_3repE0EEENS1_30default_config_static_selectorELNS0_4arch9wavefront6targetE1EEEvT1_
		.amdhsa_group_segment_fixed_size 7168
		.amdhsa_private_segment_fixed_size 0
		.amdhsa_kernarg_size 48
		.amdhsa_user_sgpr_count 6
		.amdhsa_user_sgpr_private_segment_buffer 1
		.amdhsa_user_sgpr_dispatch_ptr 0
		.amdhsa_user_sgpr_queue_ptr 0
		.amdhsa_user_sgpr_kernarg_segment_ptr 1
		.amdhsa_user_sgpr_dispatch_id 0
		.amdhsa_user_sgpr_flat_scratch_init 0
		.amdhsa_user_sgpr_kernarg_preload_length 0
		.amdhsa_user_sgpr_kernarg_preload_offset 0
		.amdhsa_user_sgpr_private_segment_size 0
		.amdhsa_uses_dynamic_stack 0
		.amdhsa_system_sgpr_private_segment_wavefront_offset 0
		.amdhsa_system_sgpr_workgroup_id_x 1
		.amdhsa_system_sgpr_workgroup_id_y 0
		.amdhsa_system_sgpr_workgroup_id_z 0
		.amdhsa_system_sgpr_workgroup_info 0
		.amdhsa_system_vgpr_workitem_id 0
		.amdhsa_next_free_vgpr 29
		.amdhsa_next_free_sgpr 10
		.amdhsa_accum_offset 32
		.amdhsa_reserve_vcc 1
		.amdhsa_reserve_flat_scratch 0
		.amdhsa_float_round_mode_32 0
		.amdhsa_float_round_mode_16_64 0
		.amdhsa_float_denorm_mode_32 3
		.amdhsa_float_denorm_mode_16_64 3
		.amdhsa_dx10_clamp 1
		.amdhsa_ieee_mode 1
		.amdhsa_fp16_overflow 0
		.amdhsa_tg_split 0
		.amdhsa_exception_fp_ieee_invalid_op 0
		.amdhsa_exception_fp_denorm_src 0
		.amdhsa_exception_fp_ieee_div_zero 0
		.amdhsa_exception_fp_ieee_overflow 0
		.amdhsa_exception_fp_ieee_underflow 0
		.amdhsa_exception_fp_ieee_inexact 0
		.amdhsa_exception_int_div_zero 0
	.end_amdhsa_kernel
	.section	.text._ZN7rocprim17ROCPRIM_400000_NS6detail17trampoline_kernelINS0_14default_configENS1_20scan_config_selectorIyEEZZNS1_9scan_implILNS1_25lookback_scan_determinismE0ELb1ELb1ES3_N6thrust23THRUST_200600_302600_NS6detail15normal_iteratorINS9_10device_ptrIyEEEENS9_16discard_iteratorINS9_11use_defaultEEEyNS9_4plusIvEEyEEDaPvRmT3_T4_T5_mT6_P12ihipStream_tbENKUlT_T0_E_clISt17integral_constantIbLb0EESW_IbLb1EEEEDaSS_ST_EUlSS_E0_NS1_11comp_targetILNS1_3genE4ELNS1_11target_archE910ELNS1_3gpuE8ELNS1_3repE0EEENS1_30default_config_static_selectorELNS0_4arch9wavefront6targetE1EEEvT1_,"axG",@progbits,_ZN7rocprim17ROCPRIM_400000_NS6detail17trampoline_kernelINS0_14default_configENS1_20scan_config_selectorIyEEZZNS1_9scan_implILNS1_25lookback_scan_determinismE0ELb1ELb1ES3_N6thrust23THRUST_200600_302600_NS6detail15normal_iteratorINS9_10device_ptrIyEEEENS9_16discard_iteratorINS9_11use_defaultEEEyNS9_4plusIvEEyEEDaPvRmT3_T4_T5_mT6_P12ihipStream_tbENKUlT_T0_E_clISt17integral_constantIbLb0EESW_IbLb1EEEEDaSS_ST_EUlSS_E0_NS1_11comp_targetILNS1_3genE4ELNS1_11target_archE910ELNS1_3gpuE8ELNS1_3repE0EEENS1_30default_config_static_selectorELNS0_4arch9wavefront6targetE1EEEvT1_,comdat
.Lfunc_end5287:
	.size	_ZN7rocprim17ROCPRIM_400000_NS6detail17trampoline_kernelINS0_14default_configENS1_20scan_config_selectorIyEEZZNS1_9scan_implILNS1_25lookback_scan_determinismE0ELb1ELb1ES3_N6thrust23THRUST_200600_302600_NS6detail15normal_iteratorINS9_10device_ptrIyEEEENS9_16discard_iteratorINS9_11use_defaultEEEyNS9_4plusIvEEyEEDaPvRmT3_T4_T5_mT6_P12ihipStream_tbENKUlT_T0_E_clISt17integral_constantIbLb0EESW_IbLb1EEEEDaSS_ST_EUlSS_E0_NS1_11comp_targetILNS1_3genE4ELNS1_11target_archE910ELNS1_3gpuE8ELNS1_3repE0EEENS1_30default_config_static_selectorELNS0_4arch9wavefront6targetE1EEEvT1_, .Lfunc_end5287-_ZN7rocprim17ROCPRIM_400000_NS6detail17trampoline_kernelINS0_14default_configENS1_20scan_config_selectorIyEEZZNS1_9scan_implILNS1_25lookback_scan_determinismE0ELb1ELb1ES3_N6thrust23THRUST_200600_302600_NS6detail15normal_iteratorINS9_10device_ptrIyEEEENS9_16discard_iteratorINS9_11use_defaultEEEyNS9_4plusIvEEyEEDaPvRmT3_T4_T5_mT6_P12ihipStream_tbENKUlT_T0_E_clISt17integral_constantIbLb0EESW_IbLb1EEEEDaSS_ST_EUlSS_E0_NS1_11comp_targetILNS1_3genE4ELNS1_11target_archE910ELNS1_3gpuE8ELNS1_3repE0EEENS1_30default_config_static_selectorELNS0_4arch9wavefront6targetE1EEEvT1_
                                        ; -- End function
	.section	.AMDGPU.csdata,"",@progbits
; Kernel info:
; codeLenInByte = 1116
; NumSgprs: 14
; NumVgprs: 29
; NumAgprs: 0
; TotalNumVgprs: 29
; ScratchSize: 0
; MemoryBound: 0
; FloatMode: 240
; IeeeMode: 1
; LDSByteSize: 7168 bytes/workgroup (compile time only)
; SGPRBlocks: 1
; VGPRBlocks: 3
; NumSGPRsForWavesPerEU: 14
; NumVGPRsForWavesPerEU: 29
; AccumOffset: 32
; Occupancy: 5
; WaveLimiterHint : 0
; COMPUTE_PGM_RSRC2:SCRATCH_EN: 0
; COMPUTE_PGM_RSRC2:USER_SGPR: 6
; COMPUTE_PGM_RSRC2:TRAP_HANDLER: 0
; COMPUTE_PGM_RSRC2:TGID_X_EN: 1
; COMPUTE_PGM_RSRC2:TGID_Y_EN: 0
; COMPUTE_PGM_RSRC2:TGID_Z_EN: 0
; COMPUTE_PGM_RSRC2:TIDIG_COMP_CNT: 0
; COMPUTE_PGM_RSRC3_GFX90A:ACCUM_OFFSET: 7
; COMPUTE_PGM_RSRC3_GFX90A:TG_SPLIT: 0
	.section	.text._ZN7rocprim17ROCPRIM_400000_NS6detail17trampoline_kernelINS0_14default_configENS1_20scan_config_selectorIyEEZZNS1_9scan_implILNS1_25lookback_scan_determinismE0ELb1ELb1ES3_N6thrust23THRUST_200600_302600_NS6detail15normal_iteratorINS9_10device_ptrIyEEEENS9_16discard_iteratorINS9_11use_defaultEEEyNS9_4plusIvEEyEEDaPvRmT3_T4_T5_mT6_P12ihipStream_tbENKUlT_T0_E_clISt17integral_constantIbLb0EESW_IbLb1EEEEDaSS_ST_EUlSS_E0_NS1_11comp_targetILNS1_3genE3ELNS1_11target_archE908ELNS1_3gpuE7ELNS1_3repE0EEENS1_30default_config_static_selectorELNS0_4arch9wavefront6targetE1EEEvT1_,"axG",@progbits,_ZN7rocprim17ROCPRIM_400000_NS6detail17trampoline_kernelINS0_14default_configENS1_20scan_config_selectorIyEEZZNS1_9scan_implILNS1_25lookback_scan_determinismE0ELb1ELb1ES3_N6thrust23THRUST_200600_302600_NS6detail15normal_iteratorINS9_10device_ptrIyEEEENS9_16discard_iteratorINS9_11use_defaultEEEyNS9_4plusIvEEyEEDaPvRmT3_T4_T5_mT6_P12ihipStream_tbENKUlT_T0_E_clISt17integral_constantIbLb0EESW_IbLb1EEEEDaSS_ST_EUlSS_E0_NS1_11comp_targetILNS1_3genE3ELNS1_11target_archE908ELNS1_3gpuE7ELNS1_3repE0EEENS1_30default_config_static_selectorELNS0_4arch9wavefront6targetE1EEEvT1_,comdat
	.protected	_ZN7rocprim17ROCPRIM_400000_NS6detail17trampoline_kernelINS0_14default_configENS1_20scan_config_selectorIyEEZZNS1_9scan_implILNS1_25lookback_scan_determinismE0ELb1ELb1ES3_N6thrust23THRUST_200600_302600_NS6detail15normal_iteratorINS9_10device_ptrIyEEEENS9_16discard_iteratorINS9_11use_defaultEEEyNS9_4plusIvEEyEEDaPvRmT3_T4_T5_mT6_P12ihipStream_tbENKUlT_T0_E_clISt17integral_constantIbLb0EESW_IbLb1EEEEDaSS_ST_EUlSS_E0_NS1_11comp_targetILNS1_3genE3ELNS1_11target_archE908ELNS1_3gpuE7ELNS1_3repE0EEENS1_30default_config_static_selectorELNS0_4arch9wavefront6targetE1EEEvT1_ ; -- Begin function _ZN7rocprim17ROCPRIM_400000_NS6detail17trampoline_kernelINS0_14default_configENS1_20scan_config_selectorIyEEZZNS1_9scan_implILNS1_25lookback_scan_determinismE0ELb1ELb1ES3_N6thrust23THRUST_200600_302600_NS6detail15normal_iteratorINS9_10device_ptrIyEEEENS9_16discard_iteratorINS9_11use_defaultEEEyNS9_4plusIvEEyEEDaPvRmT3_T4_T5_mT6_P12ihipStream_tbENKUlT_T0_E_clISt17integral_constantIbLb0EESW_IbLb1EEEEDaSS_ST_EUlSS_E0_NS1_11comp_targetILNS1_3genE3ELNS1_11target_archE908ELNS1_3gpuE7ELNS1_3repE0EEENS1_30default_config_static_selectorELNS0_4arch9wavefront6targetE1EEEvT1_
	.globl	_ZN7rocprim17ROCPRIM_400000_NS6detail17trampoline_kernelINS0_14default_configENS1_20scan_config_selectorIyEEZZNS1_9scan_implILNS1_25lookback_scan_determinismE0ELb1ELb1ES3_N6thrust23THRUST_200600_302600_NS6detail15normal_iteratorINS9_10device_ptrIyEEEENS9_16discard_iteratorINS9_11use_defaultEEEyNS9_4plusIvEEyEEDaPvRmT3_T4_T5_mT6_P12ihipStream_tbENKUlT_T0_E_clISt17integral_constantIbLb0EESW_IbLb1EEEEDaSS_ST_EUlSS_E0_NS1_11comp_targetILNS1_3genE3ELNS1_11target_archE908ELNS1_3gpuE7ELNS1_3repE0EEENS1_30default_config_static_selectorELNS0_4arch9wavefront6targetE1EEEvT1_
	.p2align	8
	.type	_ZN7rocprim17ROCPRIM_400000_NS6detail17trampoline_kernelINS0_14default_configENS1_20scan_config_selectorIyEEZZNS1_9scan_implILNS1_25lookback_scan_determinismE0ELb1ELb1ES3_N6thrust23THRUST_200600_302600_NS6detail15normal_iteratorINS9_10device_ptrIyEEEENS9_16discard_iteratorINS9_11use_defaultEEEyNS9_4plusIvEEyEEDaPvRmT3_T4_T5_mT6_P12ihipStream_tbENKUlT_T0_E_clISt17integral_constantIbLb0EESW_IbLb1EEEEDaSS_ST_EUlSS_E0_NS1_11comp_targetILNS1_3genE3ELNS1_11target_archE908ELNS1_3gpuE7ELNS1_3repE0EEENS1_30default_config_static_selectorELNS0_4arch9wavefront6targetE1EEEvT1_,@function
_ZN7rocprim17ROCPRIM_400000_NS6detail17trampoline_kernelINS0_14default_configENS1_20scan_config_selectorIyEEZZNS1_9scan_implILNS1_25lookback_scan_determinismE0ELb1ELb1ES3_N6thrust23THRUST_200600_302600_NS6detail15normal_iteratorINS9_10device_ptrIyEEEENS9_16discard_iteratorINS9_11use_defaultEEEyNS9_4plusIvEEyEEDaPvRmT3_T4_T5_mT6_P12ihipStream_tbENKUlT_T0_E_clISt17integral_constantIbLb0EESW_IbLb1EEEEDaSS_ST_EUlSS_E0_NS1_11comp_targetILNS1_3genE3ELNS1_11target_archE908ELNS1_3gpuE7ELNS1_3repE0EEENS1_30default_config_static_selectorELNS0_4arch9wavefront6targetE1EEEvT1_: ; @_ZN7rocprim17ROCPRIM_400000_NS6detail17trampoline_kernelINS0_14default_configENS1_20scan_config_selectorIyEEZZNS1_9scan_implILNS1_25lookback_scan_determinismE0ELb1ELb1ES3_N6thrust23THRUST_200600_302600_NS6detail15normal_iteratorINS9_10device_ptrIyEEEENS9_16discard_iteratorINS9_11use_defaultEEEyNS9_4plusIvEEyEEDaPvRmT3_T4_T5_mT6_P12ihipStream_tbENKUlT_T0_E_clISt17integral_constantIbLb0EESW_IbLb1EEEEDaSS_ST_EUlSS_E0_NS1_11comp_targetILNS1_3genE3ELNS1_11target_archE908ELNS1_3gpuE7ELNS1_3repE0EEENS1_30default_config_static_selectorELNS0_4arch9wavefront6targetE1EEEvT1_
; %bb.0:
	.section	.rodata,"a",@progbits
	.p2align	6, 0x0
	.amdhsa_kernel _ZN7rocprim17ROCPRIM_400000_NS6detail17trampoline_kernelINS0_14default_configENS1_20scan_config_selectorIyEEZZNS1_9scan_implILNS1_25lookback_scan_determinismE0ELb1ELb1ES3_N6thrust23THRUST_200600_302600_NS6detail15normal_iteratorINS9_10device_ptrIyEEEENS9_16discard_iteratorINS9_11use_defaultEEEyNS9_4plusIvEEyEEDaPvRmT3_T4_T5_mT6_P12ihipStream_tbENKUlT_T0_E_clISt17integral_constantIbLb0EESW_IbLb1EEEEDaSS_ST_EUlSS_E0_NS1_11comp_targetILNS1_3genE3ELNS1_11target_archE908ELNS1_3gpuE7ELNS1_3repE0EEENS1_30default_config_static_selectorELNS0_4arch9wavefront6targetE1EEEvT1_
		.amdhsa_group_segment_fixed_size 0
		.amdhsa_private_segment_fixed_size 0
		.amdhsa_kernarg_size 48
		.amdhsa_user_sgpr_count 6
		.amdhsa_user_sgpr_private_segment_buffer 1
		.amdhsa_user_sgpr_dispatch_ptr 0
		.amdhsa_user_sgpr_queue_ptr 0
		.amdhsa_user_sgpr_kernarg_segment_ptr 1
		.amdhsa_user_sgpr_dispatch_id 0
		.amdhsa_user_sgpr_flat_scratch_init 0
		.amdhsa_user_sgpr_kernarg_preload_length 0
		.amdhsa_user_sgpr_kernarg_preload_offset 0
		.amdhsa_user_sgpr_private_segment_size 0
		.amdhsa_uses_dynamic_stack 0
		.amdhsa_system_sgpr_private_segment_wavefront_offset 0
		.amdhsa_system_sgpr_workgroup_id_x 1
		.amdhsa_system_sgpr_workgroup_id_y 0
		.amdhsa_system_sgpr_workgroup_id_z 0
		.amdhsa_system_sgpr_workgroup_info 0
		.amdhsa_system_vgpr_workitem_id 0
		.amdhsa_next_free_vgpr 1
		.amdhsa_next_free_sgpr 0
		.amdhsa_accum_offset 4
		.amdhsa_reserve_vcc 0
		.amdhsa_reserve_flat_scratch 0
		.amdhsa_float_round_mode_32 0
		.amdhsa_float_round_mode_16_64 0
		.amdhsa_float_denorm_mode_32 3
		.amdhsa_float_denorm_mode_16_64 3
		.amdhsa_dx10_clamp 1
		.amdhsa_ieee_mode 1
		.amdhsa_fp16_overflow 0
		.amdhsa_tg_split 0
		.amdhsa_exception_fp_ieee_invalid_op 0
		.amdhsa_exception_fp_denorm_src 0
		.amdhsa_exception_fp_ieee_div_zero 0
		.amdhsa_exception_fp_ieee_overflow 0
		.amdhsa_exception_fp_ieee_underflow 0
		.amdhsa_exception_fp_ieee_inexact 0
		.amdhsa_exception_int_div_zero 0
	.end_amdhsa_kernel
	.section	.text._ZN7rocprim17ROCPRIM_400000_NS6detail17trampoline_kernelINS0_14default_configENS1_20scan_config_selectorIyEEZZNS1_9scan_implILNS1_25lookback_scan_determinismE0ELb1ELb1ES3_N6thrust23THRUST_200600_302600_NS6detail15normal_iteratorINS9_10device_ptrIyEEEENS9_16discard_iteratorINS9_11use_defaultEEEyNS9_4plusIvEEyEEDaPvRmT3_T4_T5_mT6_P12ihipStream_tbENKUlT_T0_E_clISt17integral_constantIbLb0EESW_IbLb1EEEEDaSS_ST_EUlSS_E0_NS1_11comp_targetILNS1_3genE3ELNS1_11target_archE908ELNS1_3gpuE7ELNS1_3repE0EEENS1_30default_config_static_selectorELNS0_4arch9wavefront6targetE1EEEvT1_,"axG",@progbits,_ZN7rocprim17ROCPRIM_400000_NS6detail17trampoline_kernelINS0_14default_configENS1_20scan_config_selectorIyEEZZNS1_9scan_implILNS1_25lookback_scan_determinismE0ELb1ELb1ES3_N6thrust23THRUST_200600_302600_NS6detail15normal_iteratorINS9_10device_ptrIyEEEENS9_16discard_iteratorINS9_11use_defaultEEEyNS9_4plusIvEEyEEDaPvRmT3_T4_T5_mT6_P12ihipStream_tbENKUlT_T0_E_clISt17integral_constantIbLb0EESW_IbLb1EEEEDaSS_ST_EUlSS_E0_NS1_11comp_targetILNS1_3genE3ELNS1_11target_archE908ELNS1_3gpuE7ELNS1_3repE0EEENS1_30default_config_static_selectorELNS0_4arch9wavefront6targetE1EEEvT1_,comdat
.Lfunc_end5288:
	.size	_ZN7rocprim17ROCPRIM_400000_NS6detail17trampoline_kernelINS0_14default_configENS1_20scan_config_selectorIyEEZZNS1_9scan_implILNS1_25lookback_scan_determinismE0ELb1ELb1ES3_N6thrust23THRUST_200600_302600_NS6detail15normal_iteratorINS9_10device_ptrIyEEEENS9_16discard_iteratorINS9_11use_defaultEEEyNS9_4plusIvEEyEEDaPvRmT3_T4_T5_mT6_P12ihipStream_tbENKUlT_T0_E_clISt17integral_constantIbLb0EESW_IbLb1EEEEDaSS_ST_EUlSS_E0_NS1_11comp_targetILNS1_3genE3ELNS1_11target_archE908ELNS1_3gpuE7ELNS1_3repE0EEENS1_30default_config_static_selectorELNS0_4arch9wavefront6targetE1EEEvT1_, .Lfunc_end5288-_ZN7rocprim17ROCPRIM_400000_NS6detail17trampoline_kernelINS0_14default_configENS1_20scan_config_selectorIyEEZZNS1_9scan_implILNS1_25lookback_scan_determinismE0ELb1ELb1ES3_N6thrust23THRUST_200600_302600_NS6detail15normal_iteratorINS9_10device_ptrIyEEEENS9_16discard_iteratorINS9_11use_defaultEEEyNS9_4plusIvEEyEEDaPvRmT3_T4_T5_mT6_P12ihipStream_tbENKUlT_T0_E_clISt17integral_constantIbLb0EESW_IbLb1EEEEDaSS_ST_EUlSS_E0_NS1_11comp_targetILNS1_3genE3ELNS1_11target_archE908ELNS1_3gpuE7ELNS1_3repE0EEENS1_30default_config_static_selectorELNS0_4arch9wavefront6targetE1EEEvT1_
                                        ; -- End function
	.section	.AMDGPU.csdata,"",@progbits
; Kernel info:
; codeLenInByte = 0
; NumSgprs: 4
; NumVgprs: 0
; NumAgprs: 0
; TotalNumVgprs: 0
; ScratchSize: 0
; MemoryBound: 0
; FloatMode: 240
; IeeeMode: 1
; LDSByteSize: 0 bytes/workgroup (compile time only)
; SGPRBlocks: 0
; VGPRBlocks: 0
; NumSGPRsForWavesPerEU: 4
; NumVGPRsForWavesPerEU: 1
; AccumOffset: 4
; Occupancy: 8
; WaveLimiterHint : 0
; COMPUTE_PGM_RSRC2:SCRATCH_EN: 0
; COMPUTE_PGM_RSRC2:USER_SGPR: 6
; COMPUTE_PGM_RSRC2:TRAP_HANDLER: 0
; COMPUTE_PGM_RSRC2:TGID_X_EN: 1
; COMPUTE_PGM_RSRC2:TGID_Y_EN: 0
; COMPUTE_PGM_RSRC2:TGID_Z_EN: 0
; COMPUTE_PGM_RSRC2:TIDIG_COMP_CNT: 0
; COMPUTE_PGM_RSRC3_GFX90A:ACCUM_OFFSET: 0
; COMPUTE_PGM_RSRC3_GFX90A:TG_SPLIT: 0
	.section	.text._ZN7rocprim17ROCPRIM_400000_NS6detail17trampoline_kernelINS0_14default_configENS1_20scan_config_selectorIyEEZZNS1_9scan_implILNS1_25lookback_scan_determinismE0ELb1ELb1ES3_N6thrust23THRUST_200600_302600_NS6detail15normal_iteratorINS9_10device_ptrIyEEEENS9_16discard_iteratorINS9_11use_defaultEEEyNS9_4plusIvEEyEEDaPvRmT3_T4_T5_mT6_P12ihipStream_tbENKUlT_T0_E_clISt17integral_constantIbLb0EESW_IbLb1EEEEDaSS_ST_EUlSS_E0_NS1_11comp_targetILNS1_3genE2ELNS1_11target_archE906ELNS1_3gpuE6ELNS1_3repE0EEENS1_30default_config_static_selectorELNS0_4arch9wavefront6targetE1EEEvT1_,"axG",@progbits,_ZN7rocprim17ROCPRIM_400000_NS6detail17trampoline_kernelINS0_14default_configENS1_20scan_config_selectorIyEEZZNS1_9scan_implILNS1_25lookback_scan_determinismE0ELb1ELb1ES3_N6thrust23THRUST_200600_302600_NS6detail15normal_iteratorINS9_10device_ptrIyEEEENS9_16discard_iteratorINS9_11use_defaultEEEyNS9_4plusIvEEyEEDaPvRmT3_T4_T5_mT6_P12ihipStream_tbENKUlT_T0_E_clISt17integral_constantIbLb0EESW_IbLb1EEEEDaSS_ST_EUlSS_E0_NS1_11comp_targetILNS1_3genE2ELNS1_11target_archE906ELNS1_3gpuE6ELNS1_3repE0EEENS1_30default_config_static_selectorELNS0_4arch9wavefront6targetE1EEEvT1_,comdat
	.protected	_ZN7rocprim17ROCPRIM_400000_NS6detail17trampoline_kernelINS0_14default_configENS1_20scan_config_selectorIyEEZZNS1_9scan_implILNS1_25lookback_scan_determinismE0ELb1ELb1ES3_N6thrust23THRUST_200600_302600_NS6detail15normal_iteratorINS9_10device_ptrIyEEEENS9_16discard_iteratorINS9_11use_defaultEEEyNS9_4plusIvEEyEEDaPvRmT3_T4_T5_mT6_P12ihipStream_tbENKUlT_T0_E_clISt17integral_constantIbLb0EESW_IbLb1EEEEDaSS_ST_EUlSS_E0_NS1_11comp_targetILNS1_3genE2ELNS1_11target_archE906ELNS1_3gpuE6ELNS1_3repE0EEENS1_30default_config_static_selectorELNS0_4arch9wavefront6targetE1EEEvT1_ ; -- Begin function _ZN7rocprim17ROCPRIM_400000_NS6detail17trampoline_kernelINS0_14default_configENS1_20scan_config_selectorIyEEZZNS1_9scan_implILNS1_25lookback_scan_determinismE0ELb1ELb1ES3_N6thrust23THRUST_200600_302600_NS6detail15normal_iteratorINS9_10device_ptrIyEEEENS9_16discard_iteratorINS9_11use_defaultEEEyNS9_4plusIvEEyEEDaPvRmT3_T4_T5_mT6_P12ihipStream_tbENKUlT_T0_E_clISt17integral_constantIbLb0EESW_IbLb1EEEEDaSS_ST_EUlSS_E0_NS1_11comp_targetILNS1_3genE2ELNS1_11target_archE906ELNS1_3gpuE6ELNS1_3repE0EEENS1_30default_config_static_selectorELNS0_4arch9wavefront6targetE1EEEvT1_
	.globl	_ZN7rocprim17ROCPRIM_400000_NS6detail17trampoline_kernelINS0_14default_configENS1_20scan_config_selectorIyEEZZNS1_9scan_implILNS1_25lookback_scan_determinismE0ELb1ELb1ES3_N6thrust23THRUST_200600_302600_NS6detail15normal_iteratorINS9_10device_ptrIyEEEENS9_16discard_iteratorINS9_11use_defaultEEEyNS9_4plusIvEEyEEDaPvRmT3_T4_T5_mT6_P12ihipStream_tbENKUlT_T0_E_clISt17integral_constantIbLb0EESW_IbLb1EEEEDaSS_ST_EUlSS_E0_NS1_11comp_targetILNS1_3genE2ELNS1_11target_archE906ELNS1_3gpuE6ELNS1_3repE0EEENS1_30default_config_static_selectorELNS0_4arch9wavefront6targetE1EEEvT1_
	.p2align	8
	.type	_ZN7rocprim17ROCPRIM_400000_NS6detail17trampoline_kernelINS0_14default_configENS1_20scan_config_selectorIyEEZZNS1_9scan_implILNS1_25lookback_scan_determinismE0ELb1ELb1ES3_N6thrust23THRUST_200600_302600_NS6detail15normal_iteratorINS9_10device_ptrIyEEEENS9_16discard_iteratorINS9_11use_defaultEEEyNS9_4plusIvEEyEEDaPvRmT3_T4_T5_mT6_P12ihipStream_tbENKUlT_T0_E_clISt17integral_constantIbLb0EESW_IbLb1EEEEDaSS_ST_EUlSS_E0_NS1_11comp_targetILNS1_3genE2ELNS1_11target_archE906ELNS1_3gpuE6ELNS1_3repE0EEENS1_30default_config_static_selectorELNS0_4arch9wavefront6targetE1EEEvT1_,@function
_ZN7rocprim17ROCPRIM_400000_NS6detail17trampoline_kernelINS0_14default_configENS1_20scan_config_selectorIyEEZZNS1_9scan_implILNS1_25lookback_scan_determinismE0ELb1ELb1ES3_N6thrust23THRUST_200600_302600_NS6detail15normal_iteratorINS9_10device_ptrIyEEEENS9_16discard_iteratorINS9_11use_defaultEEEyNS9_4plusIvEEyEEDaPvRmT3_T4_T5_mT6_P12ihipStream_tbENKUlT_T0_E_clISt17integral_constantIbLb0EESW_IbLb1EEEEDaSS_ST_EUlSS_E0_NS1_11comp_targetILNS1_3genE2ELNS1_11target_archE906ELNS1_3gpuE6ELNS1_3repE0EEENS1_30default_config_static_selectorELNS0_4arch9wavefront6targetE1EEEvT1_: ; @_ZN7rocprim17ROCPRIM_400000_NS6detail17trampoline_kernelINS0_14default_configENS1_20scan_config_selectorIyEEZZNS1_9scan_implILNS1_25lookback_scan_determinismE0ELb1ELb1ES3_N6thrust23THRUST_200600_302600_NS6detail15normal_iteratorINS9_10device_ptrIyEEEENS9_16discard_iteratorINS9_11use_defaultEEEyNS9_4plusIvEEyEEDaPvRmT3_T4_T5_mT6_P12ihipStream_tbENKUlT_T0_E_clISt17integral_constantIbLb0EESW_IbLb1EEEEDaSS_ST_EUlSS_E0_NS1_11comp_targetILNS1_3genE2ELNS1_11target_archE906ELNS1_3gpuE6ELNS1_3repE0EEENS1_30default_config_static_selectorELNS0_4arch9wavefront6targetE1EEEvT1_
; %bb.0:
	.section	.rodata,"a",@progbits
	.p2align	6, 0x0
	.amdhsa_kernel _ZN7rocprim17ROCPRIM_400000_NS6detail17trampoline_kernelINS0_14default_configENS1_20scan_config_selectorIyEEZZNS1_9scan_implILNS1_25lookback_scan_determinismE0ELb1ELb1ES3_N6thrust23THRUST_200600_302600_NS6detail15normal_iteratorINS9_10device_ptrIyEEEENS9_16discard_iteratorINS9_11use_defaultEEEyNS9_4plusIvEEyEEDaPvRmT3_T4_T5_mT6_P12ihipStream_tbENKUlT_T0_E_clISt17integral_constantIbLb0EESW_IbLb1EEEEDaSS_ST_EUlSS_E0_NS1_11comp_targetILNS1_3genE2ELNS1_11target_archE906ELNS1_3gpuE6ELNS1_3repE0EEENS1_30default_config_static_selectorELNS0_4arch9wavefront6targetE1EEEvT1_
		.amdhsa_group_segment_fixed_size 0
		.amdhsa_private_segment_fixed_size 0
		.amdhsa_kernarg_size 48
		.amdhsa_user_sgpr_count 6
		.amdhsa_user_sgpr_private_segment_buffer 1
		.amdhsa_user_sgpr_dispatch_ptr 0
		.amdhsa_user_sgpr_queue_ptr 0
		.amdhsa_user_sgpr_kernarg_segment_ptr 1
		.amdhsa_user_sgpr_dispatch_id 0
		.amdhsa_user_sgpr_flat_scratch_init 0
		.amdhsa_user_sgpr_kernarg_preload_length 0
		.amdhsa_user_sgpr_kernarg_preload_offset 0
		.amdhsa_user_sgpr_private_segment_size 0
		.amdhsa_uses_dynamic_stack 0
		.amdhsa_system_sgpr_private_segment_wavefront_offset 0
		.amdhsa_system_sgpr_workgroup_id_x 1
		.amdhsa_system_sgpr_workgroup_id_y 0
		.amdhsa_system_sgpr_workgroup_id_z 0
		.amdhsa_system_sgpr_workgroup_info 0
		.amdhsa_system_vgpr_workitem_id 0
		.amdhsa_next_free_vgpr 1
		.amdhsa_next_free_sgpr 0
		.amdhsa_accum_offset 4
		.amdhsa_reserve_vcc 0
		.amdhsa_reserve_flat_scratch 0
		.amdhsa_float_round_mode_32 0
		.amdhsa_float_round_mode_16_64 0
		.amdhsa_float_denorm_mode_32 3
		.amdhsa_float_denorm_mode_16_64 3
		.amdhsa_dx10_clamp 1
		.amdhsa_ieee_mode 1
		.amdhsa_fp16_overflow 0
		.amdhsa_tg_split 0
		.amdhsa_exception_fp_ieee_invalid_op 0
		.amdhsa_exception_fp_denorm_src 0
		.amdhsa_exception_fp_ieee_div_zero 0
		.amdhsa_exception_fp_ieee_overflow 0
		.amdhsa_exception_fp_ieee_underflow 0
		.amdhsa_exception_fp_ieee_inexact 0
		.amdhsa_exception_int_div_zero 0
	.end_amdhsa_kernel
	.section	.text._ZN7rocprim17ROCPRIM_400000_NS6detail17trampoline_kernelINS0_14default_configENS1_20scan_config_selectorIyEEZZNS1_9scan_implILNS1_25lookback_scan_determinismE0ELb1ELb1ES3_N6thrust23THRUST_200600_302600_NS6detail15normal_iteratorINS9_10device_ptrIyEEEENS9_16discard_iteratorINS9_11use_defaultEEEyNS9_4plusIvEEyEEDaPvRmT3_T4_T5_mT6_P12ihipStream_tbENKUlT_T0_E_clISt17integral_constantIbLb0EESW_IbLb1EEEEDaSS_ST_EUlSS_E0_NS1_11comp_targetILNS1_3genE2ELNS1_11target_archE906ELNS1_3gpuE6ELNS1_3repE0EEENS1_30default_config_static_selectorELNS0_4arch9wavefront6targetE1EEEvT1_,"axG",@progbits,_ZN7rocprim17ROCPRIM_400000_NS6detail17trampoline_kernelINS0_14default_configENS1_20scan_config_selectorIyEEZZNS1_9scan_implILNS1_25lookback_scan_determinismE0ELb1ELb1ES3_N6thrust23THRUST_200600_302600_NS6detail15normal_iteratorINS9_10device_ptrIyEEEENS9_16discard_iteratorINS9_11use_defaultEEEyNS9_4plusIvEEyEEDaPvRmT3_T4_T5_mT6_P12ihipStream_tbENKUlT_T0_E_clISt17integral_constantIbLb0EESW_IbLb1EEEEDaSS_ST_EUlSS_E0_NS1_11comp_targetILNS1_3genE2ELNS1_11target_archE906ELNS1_3gpuE6ELNS1_3repE0EEENS1_30default_config_static_selectorELNS0_4arch9wavefront6targetE1EEEvT1_,comdat
.Lfunc_end5289:
	.size	_ZN7rocprim17ROCPRIM_400000_NS6detail17trampoline_kernelINS0_14default_configENS1_20scan_config_selectorIyEEZZNS1_9scan_implILNS1_25lookback_scan_determinismE0ELb1ELb1ES3_N6thrust23THRUST_200600_302600_NS6detail15normal_iteratorINS9_10device_ptrIyEEEENS9_16discard_iteratorINS9_11use_defaultEEEyNS9_4plusIvEEyEEDaPvRmT3_T4_T5_mT6_P12ihipStream_tbENKUlT_T0_E_clISt17integral_constantIbLb0EESW_IbLb1EEEEDaSS_ST_EUlSS_E0_NS1_11comp_targetILNS1_3genE2ELNS1_11target_archE906ELNS1_3gpuE6ELNS1_3repE0EEENS1_30default_config_static_selectorELNS0_4arch9wavefront6targetE1EEEvT1_, .Lfunc_end5289-_ZN7rocprim17ROCPRIM_400000_NS6detail17trampoline_kernelINS0_14default_configENS1_20scan_config_selectorIyEEZZNS1_9scan_implILNS1_25lookback_scan_determinismE0ELb1ELb1ES3_N6thrust23THRUST_200600_302600_NS6detail15normal_iteratorINS9_10device_ptrIyEEEENS9_16discard_iteratorINS9_11use_defaultEEEyNS9_4plusIvEEyEEDaPvRmT3_T4_T5_mT6_P12ihipStream_tbENKUlT_T0_E_clISt17integral_constantIbLb0EESW_IbLb1EEEEDaSS_ST_EUlSS_E0_NS1_11comp_targetILNS1_3genE2ELNS1_11target_archE906ELNS1_3gpuE6ELNS1_3repE0EEENS1_30default_config_static_selectorELNS0_4arch9wavefront6targetE1EEEvT1_
                                        ; -- End function
	.section	.AMDGPU.csdata,"",@progbits
; Kernel info:
; codeLenInByte = 0
; NumSgprs: 4
; NumVgprs: 0
; NumAgprs: 0
; TotalNumVgprs: 0
; ScratchSize: 0
; MemoryBound: 0
; FloatMode: 240
; IeeeMode: 1
; LDSByteSize: 0 bytes/workgroup (compile time only)
; SGPRBlocks: 0
; VGPRBlocks: 0
; NumSGPRsForWavesPerEU: 4
; NumVGPRsForWavesPerEU: 1
; AccumOffset: 4
; Occupancy: 8
; WaveLimiterHint : 0
; COMPUTE_PGM_RSRC2:SCRATCH_EN: 0
; COMPUTE_PGM_RSRC2:USER_SGPR: 6
; COMPUTE_PGM_RSRC2:TRAP_HANDLER: 0
; COMPUTE_PGM_RSRC2:TGID_X_EN: 1
; COMPUTE_PGM_RSRC2:TGID_Y_EN: 0
; COMPUTE_PGM_RSRC2:TGID_Z_EN: 0
; COMPUTE_PGM_RSRC2:TIDIG_COMP_CNT: 0
; COMPUTE_PGM_RSRC3_GFX90A:ACCUM_OFFSET: 0
; COMPUTE_PGM_RSRC3_GFX90A:TG_SPLIT: 0
	.section	.text._ZN7rocprim17ROCPRIM_400000_NS6detail17trampoline_kernelINS0_14default_configENS1_20scan_config_selectorIyEEZZNS1_9scan_implILNS1_25lookback_scan_determinismE0ELb1ELb1ES3_N6thrust23THRUST_200600_302600_NS6detail15normal_iteratorINS9_10device_ptrIyEEEENS9_16discard_iteratorINS9_11use_defaultEEEyNS9_4plusIvEEyEEDaPvRmT3_T4_T5_mT6_P12ihipStream_tbENKUlT_T0_E_clISt17integral_constantIbLb0EESW_IbLb1EEEEDaSS_ST_EUlSS_E0_NS1_11comp_targetILNS1_3genE10ELNS1_11target_archE1201ELNS1_3gpuE5ELNS1_3repE0EEENS1_30default_config_static_selectorELNS0_4arch9wavefront6targetE1EEEvT1_,"axG",@progbits,_ZN7rocprim17ROCPRIM_400000_NS6detail17trampoline_kernelINS0_14default_configENS1_20scan_config_selectorIyEEZZNS1_9scan_implILNS1_25lookback_scan_determinismE0ELb1ELb1ES3_N6thrust23THRUST_200600_302600_NS6detail15normal_iteratorINS9_10device_ptrIyEEEENS9_16discard_iteratorINS9_11use_defaultEEEyNS9_4plusIvEEyEEDaPvRmT3_T4_T5_mT6_P12ihipStream_tbENKUlT_T0_E_clISt17integral_constantIbLb0EESW_IbLb1EEEEDaSS_ST_EUlSS_E0_NS1_11comp_targetILNS1_3genE10ELNS1_11target_archE1201ELNS1_3gpuE5ELNS1_3repE0EEENS1_30default_config_static_selectorELNS0_4arch9wavefront6targetE1EEEvT1_,comdat
	.protected	_ZN7rocprim17ROCPRIM_400000_NS6detail17trampoline_kernelINS0_14default_configENS1_20scan_config_selectorIyEEZZNS1_9scan_implILNS1_25lookback_scan_determinismE0ELb1ELb1ES3_N6thrust23THRUST_200600_302600_NS6detail15normal_iteratorINS9_10device_ptrIyEEEENS9_16discard_iteratorINS9_11use_defaultEEEyNS9_4plusIvEEyEEDaPvRmT3_T4_T5_mT6_P12ihipStream_tbENKUlT_T0_E_clISt17integral_constantIbLb0EESW_IbLb1EEEEDaSS_ST_EUlSS_E0_NS1_11comp_targetILNS1_3genE10ELNS1_11target_archE1201ELNS1_3gpuE5ELNS1_3repE0EEENS1_30default_config_static_selectorELNS0_4arch9wavefront6targetE1EEEvT1_ ; -- Begin function _ZN7rocprim17ROCPRIM_400000_NS6detail17trampoline_kernelINS0_14default_configENS1_20scan_config_selectorIyEEZZNS1_9scan_implILNS1_25lookback_scan_determinismE0ELb1ELb1ES3_N6thrust23THRUST_200600_302600_NS6detail15normal_iteratorINS9_10device_ptrIyEEEENS9_16discard_iteratorINS9_11use_defaultEEEyNS9_4plusIvEEyEEDaPvRmT3_T4_T5_mT6_P12ihipStream_tbENKUlT_T0_E_clISt17integral_constantIbLb0EESW_IbLb1EEEEDaSS_ST_EUlSS_E0_NS1_11comp_targetILNS1_3genE10ELNS1_11target_archE1201ELNS1_3gpuE5ELNS1_3repE0EEENS1_30default_config_static_selectorELNS0_4arch9wavefront6targetE1EEEvT1_
	.globl	_ZN7rocprim17ROCPRIM_400000_NS6detail17trampoline_kernelINS0_14default_configENS1_20scan_config_selectorIyEEZZNS1_9scan_implILNS1_25lookback_scan_determinismE0ELb1ELb1ES3_N6thrust23THRUST_200600_302600_NS6detail15normal_iteratorINS9_10device_ptrIyEEEENS9_16discard_iteratorINS9_11use_defaultEEEyNS9_4plusIvEEyEEDaPvRmT3_T4_T5_mT6_P12ihipStream_tbENKUlT_T0_E_clISt17integral_constantIbLb0EESW_IbLb1EEEEDaSS_ST_EUlSS_E0_NS1_11comp_targetILNS1_3genE10ELNS1_11target_archE1201ELNS1_3gpuE5ELNS1_3repE0EEENS1_30default_config_static_selectorELNS0_4arch9wavefront6targetE1EEEvT1_
	.p2align	8
	.type	_ZN7rocprim17ROCPRIM_400000_NS6detail17trampoline_kernelINS0_14default_configENS1_20scan_config_selectorIyEEZZNS1_9scan_implILNS1_25lookback_scan_determinismE0ELb1ELb1ES3_N6thrust23THRUST_200600_302600_NS6detail15normal_iteratorINS9_10device_ptrIyEEEENS9_16discard_iteratorINS9_11use_defaultEEEyNS9_4plusIvEEyEEDaPvRmT3_T4_T5_mT6_P12ihipStream_tbENKUlT_T0_E_clISt17integral_constantIbLb0EESW_IbLb1EEEEDaSS_ST_EUlSS_E0_NS1_11comp_targetILNS1_3genE10ELNS1_11target_archE1201ELNS1_3gpuE5ELNS1_3repE0EEENS1_30default_config_static_selectorELNS0_4arch9wavefront6targetE1EEEvT1_,@function
_ZN7rocprim17ROCPRIM_400000_NS6detail17trampoline_kernelINS0_14default_configENS1_20scan_config_selectorIyEEZZNS1_9scan_implILNS1_25lookback_scan_determinismE0ELb1ELb1ES3_N6thrust23THRUST_200600_302600_NS6detail15normal_iteratorINS9_10device_ptrIyEEEENS9_16discard_iteratorINS9_11use_defaultEEEyNS9_4plusIvEEyEEDaPvRmT3_T4_T5_mT6_P12ihipStream_tbENKUlT_T0_E_clISt17integral_constantIbLb0EESW_IbLb1EEEEDaSS_ST_EUlSS_E0_NS1_11comp_targetILNS1_3genE10ELNS1_11target_archE1201ELNS1_3gpuE5ELNS1_3repE0EEENS1_30default_config_static_selectorELNS0_4arch9wavefront6targetE1EEEvT1_: ; @_ZN7rocprim17ROCPRIM_400000_NS6detail17trampoline_kernelINS0_14default_configENS1_20scan_config_selectorIyEEZZNS1_9scan_implILNS1_25lookback_scan_determinismE0ELb1ELb1ES3_N6thrust23THRUST_200600_302600_NS6detail15normal_iteratorINS9_10device_ptrIyEEEENS9_16discard_iteratorINS9_11use_defaultEEEyNS9_4plusIvEEyEEDaPvRmT3_T4_T5_mT6_P12ihipStream_tbENKUlT_T0_E_clISt17integral_constantIbLb0EESW_IbLb1EEEEDaSS_ST_EUlSS_E0_NS1_11comp_targetILNS1_3genE10ELNS1_11target_archE1201ELNS1_3gpuE5ELNS1_3repE0EEENS1_30default_config_static_selectorELNS0_4arch9wavefront6targetE1EEEvT1_
; %bb.0:
	.section	.rodata,"a",@progbits
	.p2align	6, 0x0
	.amdhsa_kernel _ZN7rocprim17ROCPRIM_400000_NS6detail17trampoline_kernelINS0_14default_configENS1_20scan_config_selectorIyEEZZNS1_9scan_implILNS1_25lookback_scan_determinismE0ELb1ELb1ES3_N6thrust23THRUST_200600_302600_NS6detail15normal_iteratorINS9_10device_ptrIyEEEENS9_16discard_iteratorINS9_11use_defaultEEEyNS9_4plusIvEEyEEDaPvRmT3_T4_T5_mT6_P12ihipStream_tbENKUlT_T0_E_clISt17integral_constantIbLb0EESW_IbLb1EEEEDaSS_ST_EUlSS_E0_NS1_11comp_targetILNS1_3genE10ELNS1_11target_archE1201ELNS1_3gpuE5ELNS1_3repE0EEENS1_30default_config_static_selectorELNS0_4arch9wavefront6targetE1EEEvT1_
		.amdhsa_group_segment_fixed_size 0
		.amdhsa_private_segment_fixed_size 0
		.amdhsa_kernarg_size 48
		.amdhsa_user_sgpr_count 6
		.amdhsa_user_sgpr_private_segment_buffer 1
		.amdhsa_user_sgpr_dispatch_ptr 0
		.amdhsa_user_sgpr_queue_ptr 0
		.amdhsa_user_sgpr_kernarg_segment_ptr 1
		.amdhsa_user_sgpr_dispatch_id 0
		.amdhsa_user_sgpr_flat_scratch_init 0
		.amdhsa_user_sgpr_kernarg_preload_length 0
		.amdhsa_user_sgpr_kernarg_preload_offset 0
		.amdhsa_user_sgpr_private_segment_size 0
		.amdhsa_uses_dynamic_stack 0
		.amdhsa_system_sgpr_private_segment_wavefront_offset 0
		.amdhsa_system_sgpr_workgroup_id_x 1
		.amdhsa_system_sgpr_workgroup_id_y 0
		.amdhsa_system_sgpr_workgroup_id_z 0
		.amdhsa_system_sgpr_workgroup_info 0
		.amdhsa_system_vgpr_workitem_id 0
		.amdhsa_next_free_vgpr 1
		.amdhsa_next_free_sgpr 0
		.amdhsa_accum_offset 4
		.amdhsa_reserve_vcc 0
		.amdhsa_reserve_flat_scratch 0
		.amdhsa_float_round_mode_32 0
		.amdhsa_float_round_mode_16_64 0
		.amdhsa_float_denorm_mode_32 3
		.amdhsa_float_denorm_mode_16_64 3
		.amdhsa_dx10_clamp 1
		.amdhsa_ieee_mode 1
		.amdhsa_fp16_overflow 0
		.amdhsa_tg_split 0
		.amdhsa_exception_fp_ieee_invalid_op 0
		.amdhsa_exception_fp_denorm_src 0
		.amdhsa_exception_fp_ieee_div_zero 0
		.amdhsa_exception_fp_ieee_overflow 0
		.amdhsa_exception_fp_ieee_underflow 0
		.amdhsa_exception_fp_ieee_inexact 0
		.amdhsa_exception_int_div_zero 0
	.end_amdhsa_kernel
	.section	.text._ZN7rocprim17ROCPRIM_400000_NS6detail17trampoline_kernelINS0_14default_configENS1_20scan_config_selectorIyEEZZNS1_9scan_implILNS1_25lookback_scan_determinismE0ELb1ELb1ES3_N6thrust23THRUST_200600_302600_NS6detail15normal_iteratorINS9_10device_ptrIyEEEENS9_16discard_iteratorINS9_11use_defaultEEEyNS9_4plusIvEEyEEDaPvRmT3_T4_T5_mT6_P12ihipStream_tbENKUlT_T0_E_clISt17integral_constantIbLb0EESW_IbLb1EEEEDaSS_ST_EUlSS_E0_NS1_11comp_targetILNS1_3genE10ELNS1_11target_archE1201ELNS1_3gpuE5ELNS1_3repE0EEENS1_30default_config_static_selectorELNS0_4arch9wavefront6targetE1EEEvT1_,"axG",@progbits,_ZN7rocprim17ROCPRIM_400000_NS6detail17trampoline_kernelINS0_14default_configENS1_20scan_config_selectorIyEEZZNS1_9scan_implILNS1_25lookback_scan_determinismE0ELb1ELb1ES3_N6thrust23THRUST_200600_302600_NS6detail15normal_iteratorINS9_10device_ptrIyEEEENS9_16discard_iteratorINS9_11use_defaultEEEyNS9_4plusIvEEyEEDaPvRmT3_T4_T5_mT6_P12ihipStream_tbENKUlT_T0_E_clISt17integral_constantIbLb0EESW_IbLb1EEEEDaSS_ST_EUlSS_E0_NS1_11comp_targetILNS1_3genE10ELNS1_11target_archE1201ELNS1_3gpuE5ELNS1_3repE0EEENS1_30default_config_static_selectorELNS0_4arch9wavefront6targetE1EEEvT1_,comdat
.Lfunc_end5290:
	.size	_ZN7rocprim17ROCPRIM_400000_NS6detail17trampoline_kernelINS0_14default_configENS1_20scan_config_selectorIyEEZZNS1_9scan_implILNS1_25lookback_scan_determinismE0ELb1ELb1ES3_N6thrust23THRUST_200600_302600_NS6detail15normal_iteratorINS9_10device_ptrIyEEEENS9_16discard_iteratorINS9_11use_defaultEEEyNS9_4plusIvEEyEEDaPvRmT3_T4_T5_mT6_P12ihipStream_tbENKUlT_T0_E_clISt17integral_constantIbLb0EESW_IbLb1EEEEDaSS_ST_EUlSS_E0_NS1_11comp_targetILNS1_3genE10ELNS1_11target_archE1201ELNS1_3gpuE5ELNS1_3repE0EEENS1_30default_config_static_selectorELNS0_4arch9wavefront6targetE1EEEvT1_, .Lfunc_end5290-_ZN7rocprim17ROCPRIM_400000_NS6detail17trampoline_kernelINS0_14default_configENS1_20scan_config_selectorIyEEZZNS1_9scan_implILNS1_25lookback_scan_determinismE0ELb1ELb1ES3_N6thrust23THRUST_200600_302600_NS6detail15normal_iteratorINS9_10device_ptrIyEEEENS9_16discard_iteratorINS9_11use_defaultEEEyNS9_4plusIvEEyEEDaPvRmT3_T4_T5_mT6_P12ihipStream_tbENKUlT_T0_E_clISt17integral_constantIbLb0EESW_IbLb1EEEEDaSS_ST_EUlSS_E0_NS1_11comp_targetILNS1_3genE10ELNS1_11target_archE1201ELNS1_3gpuE5ELNS1_3repE0EEENS1_30default_config_static_selectorELNS0_4arch9wavefront6targetE1EEEvT1_
                                        ; -- End function
	.section	.AMDGPU.csdata,"",@progbits
; Kernel info:
; codeLenInByte = 0
; NumSgprs: 4
; NumVgprs: 0
; NumAgprs: 0
; TotalNumVgprs: 0
; ScratchSize: 0
; MemoryBound: 0
; FloatMode: 240
; IeeeMode: 1
; LDSByteSize: 0 bytes/workgroup (compile time only)
; SGPRBlocks: 0
; VGPRBlocks: 0
; NumSGPRsForWavesPerEU: 4
; NumVGPRsForWavesPerEU: 1
; AccumOffset: 4
; Occupancy: 8
; WaveLimiterHint : 0
; COMPUTE_PGM_RSRC2:SCRATCH_EN: 0
; COMPUTE_PGM_RSRC2:USER_SGPR: 6
; COMPUTE_PGM_RSRC2:TRAP_HANDLER: 0
; COMPUTE_PGM_RSRC2:TGID_X_EN: 1
; COMPUTE_PGM_RSRC2:TGID_Y_EN: 0
; COMPUTE_PGM_RSRC2:TGID_Z_EN: 0
; COMPUTE_PGM_RSRC2:TIDIG_COMP_CNT: 0
; COMPUTE_PGM_RSRC3_GFX90A:ACCUM_OFFSET: 0
; COMPUTE_PGM_RSRC3_GFX90A:TG_SPLIT: 0
	.section	.text._ZN7rocprim17ROCPRIM_400000_NS6detail17trampoline_kernelINS0_14default_configENS1_20scan_config_selectorIyEEZZNS1_9scan_implILNS1_25lookback_scan_determinismE0ELb1ELb1ES3_N6thrust23THRUST_200600_302600_NS6detail15normal_iteratorINS9_10device_ptrIyEEEENS9_16discard_iteratorINS9_11use_defaultEEEyNS9_4plusIvEEyEEDaPvRmT3_T4_T5_mT6_P12ihipStream_tbENKUlT_T0_E_clISt17integral_constantIbLb0EESW_IbLb1EEEEDaSS_ST_EUlSS_E0_NS1_11comp_targetILNS1_3genE10ELNS1_11target_archE1200ELNS1_3gpuE4ELNS1_3repE0EEENS1_30default_config_static_selectorELNS0_4arch9wavefront6targetE1EEEvT1_,"axG",@progbits,_ZN7rocprim17ROCPRIM_400000_NS6detail17trampoline_kernelINS0_14default_configENS1_20scan_config_selectorIyEEZZNS1_9scan_implILNS1_25lookback_scan_determinismE0ELb1ELb1ES3_N6thrust23THRUST_200600_302600_NS6detail15normal_iteratorINS9_10device_ptrIyEEEENS9_16discard_iteratorINS9_11use_defaultEEEyNS9_4plusIvEEyEEDaPvRmT3_T4_T5_mT6_P12ihipStream_tbENKUlT_T0_E_clISt17integral_constantIbLb0EESW_IbLb1EEEEDaSS_ST_EUlSS_E0_NS1_11comp_targetILNS1_3genE10ELNS1_11target_archE1200ELNS1_3gpuE4ELNS1_3repE0EEENS1_30default_config_static_selectorELNS0_4arch9wavefront6targetE1EEEvT1_,comdat
	.protected	_ZN7rocprim17ROCPRIM_400000_NS6detail17trampoline_kernelINS0_14default_configENS1_20scan_config_selectorIyEEZZNS1_9scan_implILNS1_25lookback_scan_determinismE0ELb1ELb1ES3_N6thrust23THRUST_200600_302600_NS6detail15normal_iteratorINS9_10device_ptrIyEEEENS9_16discard_iteratorINS9_11use_defaultEEEyNS9_4plusIvEEyEEDaPvRmT3_T4_T5_mT6_P12ihipStream_tbENKUlT_T0_E_clISt17integral_constantIbLb0EESW_IbLb1EEEEDaSS_ST_EUlSS_E0_NS1_11comp_targetILNS1_3genE10ELNS1_11target_archE1200ELNS1_3gpuE4ELNS1_3repE0EEENS1_30default_config_static_selectorELNS0_4arch9wavefront6targetE1EEEvT1_ ; -- Begin function _ZN7rocprim17ROCPRIM_400000_NS6detail17trampoline_kernelINS0_14default_configENS1_20scan_config_selectorIyEEZZNS1_9scan_implILNS1_25lookback_scan_determinismE0ELb1ELb1ES3_N6thrust23THRUST_200600_302600_NS6detail15normal_iteratorINS9_10device_ptrIyEEEENS9_16discard_iteratorINS9_11use_defaultEEEyNS9_4plusIvEEyEEDaPvRmT3_T4_T5_mT6_P12ihipStream_tbENKUlT_T0_E_clISt17integral_constantIbLb0EESW_IbLb1EEEEDaSS_ST_EUlSS_E0_NS1_11comp_targetILNS1_3genE10ELNS1_11target_archE1200ELNS1_3gpuE4ELNS1_3repE0EEENS1_30default_config_static_selectorELNS0_4arch9wavefront6targetE1EEEvT1_
	.globl	_ZN7rocprim17ROCPRIM_400000_NS6detail17trampoline_kernelINS0_14default_configENS1_20scan_config_selectorIyEEZZNS1_9scan_implILNS1_25lookback_scan_determinismE0ELb1ELb1ES3_N6thrust23THRUST_200600_302600_NS6detail15normal_iteratorINS9_10device_ptrIyEEEENS9_16discard_iteratorINS9_11use_defaultEEEyNS9_4plusIvEEyEEDaPvRmT3_T4_T5_mT6_P12ihipStream_tbENKUlT_T0_E_clISt17integral_constantIbLb0EESW_IbLb1EEEEDaSS_ST_EUlSS_E0_NS1_11comp_targetILNS1_3genE10ELNS1_11target_archE1200ELNS1_3gpuE4ELNS1_3repE0EEENS1_30default_config_static_selectorELNS0_4arch9wavefront6targetE1EEEvT1_
	.p2align	8
	.type	_ZN7rocprim17ROCPRIM_400000_NS6detail17trampoline_kernelINS0_14default_configENS1_20scan_config_selectorIyEEZZNS1_9scan_implILNS1_25lookback_scan_determinismE0ELb1ELb1ES3_N6thrust23THRUST_200600_302600_NS6detail15normal_iteratorINS9_10device_ptrIyEEEENS9_16discard_iteratorINS9_11use_defaultEEEyNS9_4plusIvEEyEEDaPvRmT3_T4_T5_mT6_P12ihipStream_tbENKUlT_T0_E_clISt17integral_constantIbLb0EESW_IbLb1EEEEDaSS_ST_EUlSS_E0_NS1_11comp_targetILNS1_3genE10ELNS1_11target_archE1200ELNS1_3gpuE4ELNS1_3repE0EEENS1_30default_config_static_selectorELNS0_4arch9wavefront6targetE1EEEvT1_,@function
_ZN7rocprim17ROCPRIM_400000_NS6detail17trampoline_kernelINS0_14default_configENS1_20scan_config_selectorIyEEZZNS1_9scan_implILNS1_25lookback_scan_determinismE0ELb1ELb1ES3_N6thrust23THRUST_200600_302600_NS6detail15normal_iteratorINS9_10device_ptrIyEEEENS9_16discard_iteratorINS9_11use_defaultEEEyNS9_4plusIvEEyEEDaPvRmT3_T4_T5_mT6_P12ihipStream_tbENKUlT_T0_E_clISt17integral_constantIbLb0EESW_IbLb1EEEEDaSS_ST_EUlSS_E0_NS1_11comp_targetILNS1_3genE10ELNS1_11target_archE1200ELNS1_3gpuE4ELNS1_3repE0EEENS1_30default_config_static_selectorELNS0_4arch9wavefront6targetE1EEEvT1_: ; @_ZN7rocprim17ROCPRIM_400000_NS6detail17trampoline_kernelINS0_14default_configENS1_20scan_config_selectorIyEEZZNS1_9scan_implILNS1_25lookback_scan_determinismE0ELb1ELb1ES3_N6thrust23THRUST_200600_302600_NS6detail15normal_iteratorINS9_10device_ptrIyEEEENS9_16discard_iteratorINS9_11use_defaultEEEyNS9_4plusIvEEyEEDaPvRmT3_T4_T5_mT6_P12ihipStream_tbENKUlT_T0_E_clISt17integral_constantIbLb0EESW_IbLb1EEEEDaSS_ST_EUlSS_E0_NS1_11comp_targetILNS1_3genE10ELNS1_11target_archE1200ELNS1_3gpuE4ELNS1_3repE0EEENS1_30default_config_static_selectorELNS0_4arch9wavefront6targetE1EEEvT1_
; %bb.0:
	.section	.rodata,"a",@progbits
	.p2align	6, 0x0
	.amdhsa_kernel _ZN7rocprim17ROCPRIM_400000_NS6detail17trampoline_kernelINS0_14default_configENS1_20scan_config_selectorIyEEZZNS1_9scan_implILNS1_25lookback_scan_determinismE0ELb1ELb1ES3_N6thrust23THRUST_200600_302600_NS6detail15normal_iteratorINS9_10device_ptrIyEEEENS9_16discard_iteratorINS9_11use_defaultEEEyNS9_4plusIvEEyEEDaPvRmT3_T4_T5_mT6_P12ihipStream_tbENKUlT_T0_E_clISt17integral_constantIbLb0EESW_IbLb1EEEEDaSS_ST_EUlSS_E0_NS1_11comp_targetILNS1_3genE10ELNS1_11target_archE1200ELNS1_3gpuE4ELNS1_3repE0EEENS1_30default_config_static_selectorELNS0_4arch9wavefront6targetE1EEEvT1_
		.amdhsa_group_segment_fixed_size 0
		.amdhsa_private_segment_fixed_size 0
		.amdhsa_kernarg_size 48
		.amdhsa_user_sgpr_count 6
		.amdhsa_user_sgpr_private_segment_buffer 1
		.amdhsa_user_sgpr_dispatch_ptr 0
		.amdhsa_user_sgpr_queue_ptr 0
		.amdhsa_user_sgpr_kernarg_segment_ptr 1
		.amdhsa_user_sgpr_dispatch_id 0
		.amdhsa_user_sgpr_flat_scratch_init 0
		.amdhsa_user_sgpr_kernarg_preload_length 0
		.amdhsa_user_sgpr_kernarg_preload_offset 0
		.amdhsa_user_sgpr_private_segment_size 0
		.amdhsa_uses_dynamic_stack 0
		.amdhsa_system_sgpr_private_segment_wavefront_offset 0
		.amdhsa_system_sgpr_workgroup_id_x 1
		.amdhsa_system_sgpr_workgroup_id_y 0
		.amdhsa_system_sgpr_workgroup_id_z 0
		.amdhsa_system_sgpr_workgroup_info 0
		.amdhsa_system_vgpr_workitem_id 0
		.amdhsa_next_free_vgpr 1
		.amdhsa_next_free_sgpr 0
		.amdhsa_accum_offset 4
		.amdhsa_reserve_vcc 0
		.amdhsa_reserve_flat_scratch 0
		.amdhsa_float_round_mode_32 0
		.amdhsa_float_round_mode_16_64 0
		.amdhsa_float_denorm_mode_32 3
		.amdhsa_float_denorm_mode_16_64 3
		.amdhsa_dx10_clamp 1
		.amdhsa_ieee_mode 1
		.amdhsa_fp16_overflow 0
		.amdhsa_tg_split 0
		.amdhsa_exception_fp_ieee_invalid_op 0
		.amdhsa_exception_fp_denorm_src 0
		.amdhsa_exception_fp_ieee_div_zero 0
		.amdhsa_exception_fp_ieee_overflow 0
		.amdhsa_exception_fp_ieee_underflow 0
		.amdhsa_exception_fp_ieee_inexact 0
		.amdhsa_exception_int_div_zero 0
	.end_amdhsa_kernel
	.section	.text._ZN7rocprim17ROCPRIM_400000_NS6detail17trampoline_kernelINS0_14default_configENS1_20scan_config_selectorIyEEZZNS1_9scan_implILNS1_25lookback_scan_determinismE0ELb1ELb1ES3_N6thrust23THRUST_200600_302600_NS6detail15normal_iteratorINS9_10device_ptrIyEEEENS9_16discard_iteratorINS9_11use_defaultEEEyNS9_4plusIvEEyEEDaPvRmT3_T4_T5_mT6_P12ihipStream_tbENKUlT_T0_E_clISt17integral_constantIbLb0EESW_IbLb1EEEEDaSS_ST_EUlSS_E0_NS1_11comp_targetILNS1_3genE10ELNS1_11target_archE1200ELNS1_3gpuE4ELNS1_3repE0EEENS1_30default_config_static_selectorELNS0_4arch9wavefront6targetE1EEEvT1_,"axG",@progbits,_ZN7rocprim17ROCPRIM_400000_NS6detail17trampoline_kernelINS0_14default_configENS1_20scan_config_selectorIyEEZZNS1_9scan_implILNS1_25lookback_scan_determinismE0ELb1ELb1ES3_N6thrust23THRUST_200600_302600_NS6detail15normal_iteratorINS9_10device_ptrIyEEEENS9_16discard_iteratorINS9_11use_defaultEEEyNS9_4plusIvEEyEEDaPvRmT3_T4_T5_mT6_P12ihipStream_tbENKUlT_T0_E_clISt17integral_constantIbLb0EESW_IbLb1EEEEDaSS_ST_EUlSS_E0_NS1_11comp_targetILNS1_3genE10ELNS1_11target_archE1200ELNS1_3gpuE4ELNS1_3repE0EEENS1_30default_config_static_selectorELNS0_4arch9wavefront6targetE1EEEvT1_,comdat
.Lfunc_end5291:
	.size	_ZN7rocprim17ROCPRIM_400000_NS6detail17trampoline_kernelINS0_14default_configENS1_20scan_config_selectorIyEEZZNS1_9scan_implILNS1_25lookback_scan_determinismE0ELb1ELb1ES3_N6thrust23THRUST_200600_302600_NS6detail15normal_iteratorINS9_10device_ptrIyEEEENS9_16discard_iteratorINS9_11use_defaultEEEyNS9_4plusIvEEyEEDaPvRmT3_T4_T5_mT6_P12ihipStream_tbENKUlT_T0_E_clISt17integral_constantIbLb0EESW_IbLb1EEEEDaSS_ST_EUlSS_E0_NS1_11comp_targetILNS1_3genE10ELNS1_11target_archE1200ELNS1_3gpuE4ELNS1_3repE0EEENS1_30default_config_static_selectorELNS0_4arch9wavefront6targetE1EEEvT1_, .Lfunc_end5291-_ZN7rocprim17ROCPRIM_400000_NS6detail17trampoline_kernelINS0_14default_configENS1_20scan_config_selectorIyEEZZNS1_9scan_implILNS1_25lookback_scan_determinismE0ELb1ELb1ES3_N6thrust23THRUST_200600_302600_NS6detail15normal_iteratorINS9_10device_ptrIyEEEENS9_16discard_iteratorINS9_11use_defaultEEEyNS9_4plusIvEEyEEDaPvRmT3_T4_T5_mT6_P12ihipStream_tbENKUlT_T0_E_clISt17integral_constantIbLb0EESW_IbLb1EEEEDaSS_ST_EUlSS_E0_NS1_11comp_targetILNS1_3genE10ELNS1_11target_archE1200ELNS1_3gpuE4ELNS1_3repE0EEENS1_30default_config_static_selectorELNS0_4arch9wavefront6targetE1EEEvT1_
                                        ; -- End function
	.section	.AMDGPU.csdata,"",@progbits
; Kernel info:
; codeLenInByte = 0
; NumSgprs: 4
; NumVgprs: 0
; NumAgprs: 0
; TotalNumVgprs: 0
; ScratchSize: 0
; MemoryBound: 0
; FloatMode: 240
; IeeeMode: 1
; LDSByteSize: 0 bytes/workgroup (compile time only)
; SGPRBlocks: 0
; VGPRBlocks: 0
; NumSGPRsForWavesPerEU: 4
; NumVGPRsForWavesPerEU: 1
; AccumOffset: 4
; Occupancy: 8
; WaveLimiterHint : 0
; COMPUTE_PGM_RSRC2:SCRATCH_EN: 0
; COMPUTE_PGM_RSRC2:USER_SGPR: 6
; COMPUTE_PGM_RSRC2:TRAP_HANDLER: 0
; COMPUTE_PGM_RSRC2:TGID_X_EN: 1
; COMPUTE_PGM_RSRC2:TGID_Y_EN: 0
; COMPUTE_PGM_RSRC2:TGID_Z_EN: 0
; COMPUTE_PGM_RSRC2:TIDIG_COMP_CNT: 0
; COMPUTE_PGM_RSRC3_GFX90A:ACCUM_OFFSET: 0
; COMPUTE_PGM_RSRC3_GFX90A:TG_SPLIT: 0
	.section	.text._ZN7rocprim17ROCPRIM_400000_NS6detail17trampoline_kernelINS0_14default_configENS1_20scan_config_selectorIyEEZZNS1_9scan_implILNS1_25lookback_scan_determinismE0ELb1ELb1ES3_N6thrust23THRUST_200600_302600_NS6detail15normal_iteratorINS9_10device_ptrIyEEEENS9_16discard_iteratorINS9_11use_defaultEEEyNS9_4plusIvEEyEEDaPvRmT3_T4_T5_mT6_P12ihipStream_tbENKUlT_T0_E_clISt17integral_constantIbLb0EESW_IbLb1EEEEDaSS_ST_EUlSS_E0_NS1_11comp_targetILNS1_3genE9ELNS1_11target_archE1100ELNS1_3gpuE3ELNS1_3repE0EEENS1_30default_config_static_selectorELNS0_4arch9wavefront6targetE1EEEvT1_,"axG",@progbits,_ZN7rocprim17ROCPRIM_400000_NS6detail17trampoline_kernelINS0_14default_configENS1_20scan_config_selectorIyEEZZNS1_9scan_implILNS1_25lookback_scan_determinismE0ELb1ELb1ES3_N6thrust23THRUST_200600_302600_NS6detail15normal_iteratorINS9_10device_ptrIyEEEENS9_16discard_iteratorINS9_11use_defaultEEEyNS9_4plusIvEEyEEDaPvRmT3_T4_T5_mT6_P12ihipStream_tbENKUlT_T0_E_clISt17integral_constantIbLb0EESW_IbLb1EEEEDaSS_ST_EUlSS_E0_NS1_11comp_targetILNS1_3genE9ELNS1_11target_archE1100ELNS1_3gpuE3ELNS1_3repE0EEENS1_30default_config_static_selectorELNS0_4arch9wavefront6targetE1EEEvT1_,comdat
	.protected	_ZN7rocprim17ROCPRIM_400000_NS6detail17trampoline_kernelINS0_14default_configENS1_20scan_config_selectorIyEEZZNS1_9scan_implILNS1_25lookback_scan_determinismE0ELb1ELb1ES3_N6thrust23THRUST_200600_302600_NS6detail15normal_iteratorINS9_10device_ptrIyEEEENS9_16discard_iteratorINS9_11use_defaultEEEyNS9_4plusIvEEyEEDaPvRmT3_T4_T5_mT6_P12ihipStream_tbENKUlT_T0_E_clISt17integral_constantIbLb0EESW_IbLb1EEEEDaSS_ST_EUlSS_E0_NS1_11comp_targetILNS1_3genE9ELNS1_11target_archE1100ELNS1_3gpuE3ELNS1_3repE0EEENS1_30default_config_static_selectorELNS0_4arch9wavefront6targetE1EEEvT1_ ; -- Begin function _ZN7rocprim17ROCPRIM_400000_NS6detail17trampoline_kernelINS0_14default_configENS1_20scan_config_selectorIyEEZZNS1_9scan_implILNS1_25lookback_scan_determinismE0ELb1ELb1ES3_N6thrust23THRUST_200600_302600_NS6detail15normal_iteratorINS9_10device_ptrIyEEEENS9_16discard_iteratorINS9_11use_defaultEEEyNS9_4plusIvEEyEEDaPvRmT3_T4_T5_mT6_P12ihipStream_tbENKUlT_T0_E_clISt17integral_constantIbLb0EESW_IbLb1EEEEDaSS_ST_EUlSS_E0_NS1_11comp_targetILNS1_3genE9ELNS1_11target_archE1100ELNS1_3gpuE3ELNS1_3repE0EEENS1_30default_config_static_selectorELNS0_4arch9wavefront6targetE1EEEvT1_
	.globl	_ZN7rocprim17ROCPRIM_400000_NS6detail17trampoline_kernelINS0_14default_configENS1_20scan_config_selectorIyEEZZNS1_9scan_implILNS1_25lookback_scan_determinismE0ELb1ELb1ES3_N6thrust23THRUST_200600_302600_NS6detail15normal_iteratorINS9_10device_ptrIyEEEENS9_16discard_iteratorINS9_11use_defaultEEEyNS9_4plusIvEEyEEDaPvRmT3_T4_T5_mT6_P12ihipStream_tbENKUlT_T0_E_clISt17integral_constantIbLb0EESW_IbLb1EEEEDaSS_ST_EUlSS_E0_NS1_11comp_targetILNS1_3genE9ELNS1_11target_archE1100ELNS1_3gpuE3ELNS1_3repE0EEENS1_30default_config_static_selectorELNS0_4arch9wavefront6targetE1EEEvT1_
	.p2align	8
	.type	_ZN7rocprim17ROCPRIM_400000_NS6detail17trampoline_kernelINS0_14default_configENS1_20scan_config_selectorIyEEZZNS1_9scan_implILNS1_25lookback_scan_determinismE0ELb1ELb1ES3_N6thrust23THRUST_200600_302600_NS6detail15normal_iteratorINS9_10device_ptrIyEEEENS9_16discard_iteratorINS9_11use_defaultEEEyNS9_4plusIvEEyEEDaPvRmT3_T4_T5_mT6_P12ihipStream_tbENKUlT_T0_E_clISt17integral_constantIbLb0EESW_IbLb1EEEEDaSS_ST_EUlSS_E0_NS1_11comp_targetILNS1_3genE9ELNS1_11target_archE1100ELNS1_3gpuE3ELNS1_3repE0EEENS1_30default_config_static_selectorELNS0_4arch9wavefront6targetE1EEEvT1_,@function
_ZN7rocprim17ROCPRIM_400000_NS6detail17trampoline_kernelINS0_14default_configENS1_20scan_config_selectorIyEEZZNS1_9scan_implILNS1_25lookback_scan_determinismE0ELb1ELb1ES3_N6thrust23THRUST_200600_302600_NS6detail15normal_iteratorINS9_10device_ptrIyEEEENS9_16discard_iteratorINS9_11use_defaultEEEyNS9_4plusIvEEyEEDaPvRmT3_T4_T5_mT6_P12ihipStream_tbENKUlT_T0_E_clISt17integral_constantIbLb0EESW_IbLb1EEEEDaSS_ST_EUlSS_E0_NS1_11comp_targetILNS1_3genE9ELNS1_11target_archE1100ELNS1_3gpuE3ELNS1_3repE0EEENS1_30default_config_static_selectorELNS0_4arch9wavefront6targetE1EEEvT1_: ; @_ZN7rocprim17ROCPRIM_400000_NS6detail17trampoline_kernelINS0_14default_configENS1_20scan_config_selectorIyEEZZNS1_9scan_implILNS1_25lookback_scan_determinismE0ELb1ELb1ES3_N6thrust23THRUST_200600_302600_NS6detail15normal_iteratorINS9_10device_ptrIyEEEENS9_16discard_iteratorINS9_11use_defaultEEEyNS9_4plusIvEEyEEDaPvRmT3_T4_T5_mT6_P12ihipStream_tbENKUlT_T0_E_clISt17integral_constantIbLb0EESW_IbLb1EEEEDaSS_ST_EUlSS_E0_NS1_11comp_targetILNS1_3genE9ELNS1_11target_archE1100ELNS1_3gpuE3ELNS1_3repE0EEENS1_30default_config_static_selectorELNS0_4arch9wavefront6targetE1EEEvT1_
; %bb.0:
	.section	.rodata,"a",@progbits
	.p2align	6, 0x0
	.amdhsa_kernel _ZN7rocprim17ROCPRIM_400000_NS6detail17trampoline_kernelINS0_14default_configENS1_20scan_config_selectorIyEEZZNS1_9scan_implILNS1_25lookback_scan_determinismE0ELb1ELb1ES3_N6thrust23THRUST_200600_302600_NS6detail15normal_iteratorINS9_10device_ptrIyEEEENS9_16discard_iteratorINS9_11use_defaultEEEyNS9_4plusIvEEyEEDaPvRmT3_T4_T5_mT6_P12ihipStream_tbENKUlT_T0_E_clISt17integral_constantIbLb0EESW_IbLb1EEEEDaSS_ST_EUlSS_E0_NS1_11comp_targetILNS1_3genE9ELNS1_11target_archE1100ELNS1_3gpuE3ELNS1_3repE0EEENS1_30default_config_static_selectorELNS0_4arch9wavefront6targetE1EEEvT1_
		.amdhsa_group_segment_fixed_size 0
		.amdhsa_private_segment_fixed_size 0
		.amdhsa_kernarg_size 48
		.amdhsa_user_sgpr_count 6
		.amdhsa_user_sgpr_private_segment_buffer 1
		.amdhsa_user_sgpr_dispatch_ptr 0
		.amdhsa_user_sgpr_queue_ptr 0
		.amdhsa_user_sgpr_kernarg_segment_ptr 1
		.amdhsa_user_sgpr_dispatch_id 0
		.amdhsa_user_sgpr_flat_scratch_init 0
		.amdhsa_user_sgpr_kernarg_preload_length 0
		.amdhsa_user_sgpr_kernarg_preload_offset 0
		.amdhsa_user_sgpr_private_segment_size 0
		.amdhsa_uses_dynamic_stack 0
		.amdhsa_system_sgpr_private_segment_wavefront_offset 0
		.amdhsa_system_sgpr_workgroup_id_x 1
		.amdhsa_system_sgpr_workgroup_id_y 0
		.amdhsa_system_sgpr_workgroup_id_z 0
		.amdhsa_system_sgpr_workgroup_info 0
		.amdhsa_system_vgpr_workitem_id 0
		.amdhsa_next_free_vgpr 1
		.amdhsa_next_free_sgpr 0
		.amdhsa_accum_offset 4
		.amdhsa_reserve_vcc 0
		.amdhsa_reserve_flat_scratch 0
		.amdhsa_float_round_mode_32 0
		.amdhsa_float_round_mode_16_64 0
		.amdhsa_float_denorm_mode_32 3
		.amdhsa_float_denorm_mode_16_64 3
		.amdhsa_dx10_clamp 1
		.amdhsa_ieee_mode 1
		.amdhsa_fp16_overflow 0
		.amdhsa_tg_split 0
		.amdhsa_exception_fp_ieee_invalid_op 0
		.amdhsa_exception_fp_denorm_src 0
		.amdhsa_exception_fp_ieee_div_zero 0
		.amdhsa_exception_fp_ieee_overflow 0
		.amdhsa_exception_fp_ieee_underflow 0
		.amdhsa_exception_fp_ieee_inexact 0
		.amdhsa_exception_int_div_zero 0
	.end_amdhsa_kernel
	.section	.text._ZN7rocprim17ROCPRIM_400000_NS6detail17trampoline_kernelINS0_14default_configENS1_20scan_config_selectorIyEEZZNS1_9scan_implILNS1_25lookback_scan_determinismE0ELb1ELb1ES3_N6thrust23THRUST_200600_302600_NS6detail15normal_iteratorINS9_10device_ptrIyEEEENS9_16discard_iteratorINS9_11use_defaultEEEyNS9_4plusIvEEyEEDaPvRmT3_T4_T5_mT6_P12ihipStream_tbENKUlT_T0_E_clISt17integral_constantIbLb0EESW_IbLb1EEEEDaSS_ST_EUlSS_E0_NS1_11comp_targetILNS1_3genE9ELNS1_11target_archE1100ELNS1_3gpuE3ELNS1_3repE0EEENS1_30default_config_static_selectorELNS0_4arch9wavefront6targetE1EEEvT1_,"axG",@progbits,_ZN7rocprim17ROCPRIM_400000_NS6detail17trampoline_kernelINS0_14default_configENS1_20scan_config_selectorIyEEZZNS1_9scan_implILNS1_25lookback_scan_determinismE0ELb1ELb1ES3_N6thrust23THRUST_200600_302600_NS6detail15normal_iteratorINS9_10device_ptrIyEEEENS9_16discard_iteratorINS9_11use_defaultEEEyNS9_4plusIvEEyEEDaPvRmT3_T4_T5_mT6_P12ihipStream_tbENKUlT_T0_E_clISt17integral_constantIbLb0EESW_IbLb1EEEEDaSS_ST_EUlSS_E0_NS1_11comp_targetILNS1_3genE9ELNS1_11target_archE1100ELNS1_3gpuE3ELNS1_3repE0EEENS1_30default_config_static_selectorELNS0_4arch9wavefront6targetE1EEEvT1_,comdat
.Lfunc_end5292:
	.size	_ZN7rocprim17ROCPRIM_400000_NS6detail17trampoline_kernelINS0_14default_configENS1_20scan_config_selectorIyEEZZNS1_9scan_implILNS1_25lookback_scan_determinismE0ELb1ELb1ES3_N6thrust23THRUST_200600_302600_NS6detail15normal_iteratorINS9_10device_ptrIyEEEENS9_16discard_iteratorINS9_11use_defaultEEEyNS9_4plusIvEEyEEDaPvRmT3_T4_T5_mT6_P12ihipStream_tbENKUlT_T0_E_clISt17integral_constantIbLb0EESW_IbLb1EEEEDaSS_ST_EUlSS_E0_NS1_11comp_targetILNS1_3genE9ELNS1_11target_archE1100ELNS1_3gpuE3ELNS1_3repE0EEENS1_30default_config_static_selectorELNS0_4arch9wavefront6targetE1EEEvT1_, .Lfunc_end5292-_ZN7rocprim17ROCPRIM_400000_NS6detail17trampoline_kernelINS0_14default_configENS1_20scan_config_selectorIyEEZZNS1_9scan_implILNS1_25lookback_scan_determinismE0ELb1ELb1ES3_N6thrust23THRUST_200600_302600_NS6detail15normal_iteratorINS9_10device_ptrIyEEEENS9_16discard_iteratorINS9_11use_defaultEEEyNS9_4plusIvEEyEEDaPvRmT3_T4_T5_mT6_P12ihipStream_tbENKUlT_T0_E_clISt17integral_constantIbLb0EESW_IbLb1EEEEDaSS_ST_EUlSS_E0_NS1_11comp_targetILNS1_3genE9ELNS1_11target_archE1100ELNS1_3gpuE3ELNS1_3repE0EEENS1_30default_config_static_selectorELNS0_4arch9wavefront6targetE1EEEvT1_
                                        ; -- End function
	.section	.AMDGPU.csdata,"",@progbits
; Kernel info:
; codeLenInByte = 0
; NumSgprs: 4
; NumVgprs: 0
; NumAgprs: 0
; TotalNumVgprs: 0
; ScratchSize: 0
; MemoryBound: 0
; FloatMode: 240
; IeeeMode: 1
; LDSByteSize: 0 bytes/workgroup (compile time only)
; SGPRBlocks: 0
; VGPRBlocks: 0
; NumSGPRsForWavesPerEU: 4
; NumVGPRsForWavesPerEU: 1
; AccumOffset: 4
; Occupancy: 8
; WaveLimiterHint : 0
; COMPUTE_PGM_RSRC2:SCRATCH_EN: 0
; COMPUTE_PGM_RSRC2:USER_SGPR: 6
; COMPUTE_PGM_RSRC2:TRAP_HANDLER: 0
; COMPUTE_PGM_RSRC2:TGID_X_EN: 1
; COMPUTE_PGM_RSRC2:TGID_Y_EN: 0
; COMPUTE_PGM_RSRC2:TGID_Z_EN: 0
; COMPUTE_PGM_RSRC2:TIDIG_COMP_CNT: 0
; COMPUTE_PGM_RSRC3_GFX90A:ACCUM_OFFSET: 0
; COMPUTE_PGM_RSRC3_GFX90A:TG_SPLIT: 0
	.section	.text._ZN7rocprim17ROCPRIM_400000_NS6detail17trampoline_kernelINS0_14default_configENS1_20scan_config_selectorIyEEZZNS1_9scan_implILNS1_25lookback_scan_determinismE0ELb1ELb1ES3_N6thrust23THRUST_200600_302600_NS6detail15normal_iteratorINS9_10device_ptrIyEEEENS9_16discard_iteratorINS9_11use_defaultEEEyNS9_4plusIvEEyEEDaPvRmT3_T4_T5_mT6_P12ihipStream_tbENKUlT_T0_E_clISt17integral_constantIbLb0EESW_IbLb1EEEEDaSS_ST_EUlSS_E0_NS1_11comp_targetILNS1_3genE8ELNS1_11target_archE1030ELNS1_3gpuE2ELNS1_3repE0EEENS1_30default_config_static_selectorELNS0_4arch9wavefront6targetE1EEEvT1_,"axG",@progbits,_ZN7rocprim17ROCPRIM_400000_NS6detail17trampoline_kernelINS0_14default_configENS1_20scan_config_selectorIyEEZZNS1_9scan_implILNS1_25lookback_scan_determinismE0ELb1ELb1ES3_N6thrust23THRUST_200600_302600_NS6detail15normal_iteratorINS9_10device_ptrIyEEEENS9_16discard_iteratorINS9_11use_defaultEEEyNS9_4plusIvEEyEEDaPvRmT3_T4_T5_mT6_P12ihipStream_tbENKUlT_T0_E_clISt17integral_constantIbLb0EESW_IbLb1EEEEDaSS_ST_EUlSS_E0_NS1_11comp_targetILNS1_3genE8ELNS1_11target_archE1030ELNS1_3gpuE2ELNS1_3repE0EEENS1_30default_config_static_selectorELNS0_4arch9wavefront6targetE1EEEvT1_,comdat
	.protected	_ZN7rocprim17ROCPRIM_400000_NS6detail17trampoline_kernelINS0_14default_configENS1_20scan_config_selectorIyEEZZNS1_9scan_implILNS1_25lookback_scan_determinismE0ELb1ELb1ES3_N6thrust23THRUST_200600_302600_NS6detail15normal_iteratorINS9_10device_ptrIyEEEENS9_16discard_iteratorINS9_11use_defaultEEEyNS9_4plusIvEEyEEDaPvRmT3_T4_T5_mT6_P12ihipStream_tbENKUlT_T0_E_clISt17integral_constantIbLb0EESW_IbLb1EEEEDaSS_ST_EUlSS_E0_NS1_11comp_targetILNS1_3genE8ELNS1_11target_archE1030ELNS1_3gpuE2ELNS1_3repE0EEENS1_30default_config_static_selectorELNS0_4arch9wavefront6targetE1EEEvT1_ ; -- Begin function _ZN7rocprim17ROCPRIM_400000_NS6detail17trampoline_kernelINS0_14default_configENS1_20scan_config_selectorIyEEZZNS1_9scan_implILNS1_25lookback_scan_determinismE0ELb1ELb1ES3_N6thrust23THRUST_200600_302600_NS6detail15normal_iteratorINS9_10device_ptrIyEEEENS9_16discard_iteratorINS9_11use_defaultEEEyNS9_4plusIvEEyEEDaPvRmT3_T4_T5_mT6_P12ihipStream_tbENKUlT_T0_E_clISt17integral_constantIbLb0EESW_IbLb1EEEEDaSS_ST_EUlSS_E0_NS1_11comp_targetILNS1_3genE8ELNS1_11target_archE1030ELNS1_3gpuE2ELNS1_3repE0EEENS1_30default_config_static_selectorELNS0_4arch9wavefront6targetE1EEEvT1_
	.globl	_ZN7rocprim17ROCPRIM_400000_NS6detail17trampoline_kernelINS0_14default_configENS1_20scan_config_selectorIyEEZZNS1_9scan_implILNS1_25lookback_scan_determinismE0ELb1ELb1ES3_N6thrust23THRUST_200600_302600_NS6detail15normal_iteratorINS9_10device_ptrIyEEEENS9_16discard_iteratorINS9_11use_defaultEEEyNS9_4plusIvEEyEEDaPvRmT3_T4_T5_mT6_P12ihipStream_tbENKUlT_T0_E_clISt17integral_constantIbLb0EESW_IbLb1EEEEDaSS_ST_EUlSS_E0_NS1_11comp_targetILNS1_3genE8ELNS1_11target_archE1030ELNS1_3gpuE2ELNS1_3repE0EEENS1_30default_config_static_selectorELNS0_4arch9wavefront6targetE1EEEvT1_
	.p2align	8
	.type	_ZN7rocprim17ROCPRIM_400000_NS6detail17trampoline_kernelINS0_14default_configENS1_20scan_config_selectorIyEEZZNS1_9scan_implILNS1_25lookback_scan_determinismE0ELb1ELb1ES3_N6thrust23THRUST_200600_302600_NS6detail15normal_iteratorINS9_10device_ptrIyEEEENS9_16discard_iteratorINS9_11use_defaultEEEyNS9_4plusIvEEyEEDaPvRmT3_T4_T5_mT6_P12ihipStream_tbENKUlT_T0_E_clISt17integral_constantIbLb0EESW_IbLb1EEEEDaSS_ST_EUlSS_E0_NS1_11comp_targetILNS1_3genE8ELNS1_11target_archE1030ELNS1_3gpuE2ELNS1_3repE0EEENS1_30default_config_static_selectorELNS0_4arch9wavefront6targetE1EEEvT1_,@function
_ZN7rocprim17ROCPRIM_400000_NS6detail17trampoline_kernelINS0_14default_configENS1_20scan_config_selectorIyEEZZNS1_9scan_implILNS1_25lookback_scan_determinismE0ELb1ELb1ES3_N6thrust23THRUST_200600_302600_NS6detail15normal_iteratorINS9_10device_ptrIyEEEENS9_16discard_iteratorINS9_11use_defaultEEEyNS9_4plusIvEEyEEDaPvRmT3_T4_T5_mT6_P12ihipStream_tbENKUlT_T0_E_clISt17integral_constantIbLb0EESW_IbLb1EEEEDaSS_ST_EUlSS_E0_NS1_11comp_targetILNS1_3genE8ELNS1_11target_archE1030ELNS1_3gpuE2ELNS1_3repE0EEENS1_30default_config_static_selectorELNS0_4arch9wavefront6targetE1EEEvT1_: ; @_ZN7rocprim17ROCPRIM_400000_NS6detail17trampoline_kernelINS0_14default_configENS1_20scan_config_selectorIyEEZZNS1_9scan_implILNS1_25lookback_scan_determinismE0ELb1ELb1ES3_N6thrust23THRUST_200600_302600_NS6detail15normal_iteratorINS9_10device_ptrIyEEEENS9_16discard_iteratorINS9_11use_defaultEEEyNS9_4plusIvEEyEEDaPvRmT3_T4_T5_mT6_P12ihipStream_tbENKUlT_T0_E_clISt17integral_constantIbLb0EESW_IbLb1EEEEDaSS_ST_EUlSS_E0_NS1_11comp_targetILNS1_3genE8ELNS1_11target_archE1030ELNS1_3gpuE2ELNS1_3repE0EEENS1_30default_config_static_selectorELNS0_4arch9wavefront6targetE1EEEvT1_
; %bb.0:
	.section	.rodata,"a",@progbits
	.p2align	6, 0x0
	.amdhsa_kernel _ZN7rocprim17ROCPRIM_400000_NS6detail17trampoline_kernelINS0_14default_configENS1_20scan_config_selectorIyEEZZNS1_9scan_implILNS1_25lookback_scan_determinismE0ELb1ELb1ES3_N6thrust23THRUST_200600_302600_NS6detail15normal_iteratorINS9_10device_ptrIyEEEENS9_16discard_iteratorINS9_11use_defaultEEEyNS9_4plusIvEEyEEDaPvRmT3_T4_T5_mT6_P12ihipStream_tbENKUlT_T0_E_clISt17integral_constantIbLb0EESW_IbLb1EEEEDaSS_ST_EUlSS_E0_NS1_11comp_targetILNS1_3genE8ELNS1_11target_archE1030ELNS1_3gpuE2ELNS1_3repE0EEENS1_30default_config_static_selectorELNS0_4arch9wavefront6targetE1EEEvT1_
		.amdhsa_group_segment_fixed_size 0
		.amdhsa_private_segment_fixed_size 0
		.amdhsa_kernarg_size 48
		.amdhsa_user_sgpr_count 6
		.amdhsa_user_sgpr_private_segment_buffer 1
		.amdhsa_user_sgpr_dispatch_ptr 0
		.amdhsa_user_sgpr_queue_ptr 0
		.amdhsa_user_sgpr_kernarg_segment_ptr 1
		.amdhsa_user_sgpr_dispatch_id 0
		.amdhsa_user_sgpr_flat_scratch_init 0
		.amdhsa_user_sgpr_kernarg_preload_length 0
		.amdhsa_user_sgpr_kernarg_preload_offset 0
		.amdhsa_user_sgpr_private_segment_size 0
		.amdhsa_uses_dynamic_stack 0
		.amdhsa_system_sgpr_private_segment_wavefront_offset 0
		.amdhsa_system_sgpr_workgroup_id_x 1
		.amdhsa_system_sgpr_workgroup_id_y 0
		.amdhsa_system_sgpr_workgroup_id_z 0
		.amdhsa_system_sgpr_workgroup_info 0
		.amdhsa_system_vgpr_workitem_id 0
		.amdhsa_next_free_vgpr 1
		.amdhsa_next_free_sgpr 0
		.amdhsa_accum_offset 4
		.amdhsa_reserve_vcc 0
		.amdhsa_reserve_flat_scratch 0
		.amdhsa_float_round_mode_32 0
		.amdhsa_float_round_mode_16_64 0
		.amdhsa_float_denorm_mode_32 3
		.amdhsa_float_denorm_mode_16_64 3
		.amdhsa_dx10_clamp 1
		.amdhsa_ieee_mode 1
		.amdhsa_fp16_overflow 0
		.amdhsa_tg_split 0
		.amdhsa_exception_fp_ieee_invalid_op 0
		.amdhsa_exception_fp_denorm_src 0
		.amdhsa_exception_fp_ieee_div_zero 0
		.amdhsa_exception_fp_ieee_overflow 0
		.amdhsa_exception_fp_ieee_underflow 0
		.amdhsa_exception_fp_ieee_inexact 0
		.amdhsa_exception_int_div_zero 0
	.end_amdhsa_kernel
	.section	.text._ZN7rocprim17ROCPRIM_400000_NS6detail17trampoline_kernelINS0_14default_configENS1_20scan_config_selectorIyEEZZNS1_9scan_implILNS1_25lookback_scan_determinismE0ELb1ELb1ES3_N6thrust23THRUST_200600_302600_NS6detail15normal_iteratorINS9_10device_ptrIyEEEENS9_16discard_iteratorINS9_11use_defaultEEEyNS9_4plusIvEEyEEDaPvRmT3_T4_T5_mT6_P12ihipStream_tbENKUlT_T0_E_clISt17integral_constantIbLb0EESW_IbLb1EEEEDaSS_ST_EUlSS_E0_NS1_11comp_targetILNS1_3genE8ELNS1_11target_archE1030ELNS1_3gpuE2ELNS1_3repE0EEENS1_30default_config_static_selectorELNS0_4arch9wavefront6targetE1EEEvT1_,"axG",@progbits,_ZN7rocprim17ROCPRIM_400000_NS6detail17trampoline_kernelINS0_14default_configENS1_20scan_config_selectorIyEEZZNS1_9scan_implILNS1_25lookback_scan_determinismE0ELb1ELb1ES3_N6thrust23THRUST_200600_302600_NS6detail15normal_iteratorINS9_10device_ptrIyEEEENS9_16discard_iteratorINS9_11use_defaultEEEyNS9_4plusIvEEyEEDaPvRmT3_T4_T5_mT6_P12ihipStream_tbENKUlT_T0_E_clISt17integral_constantIbLb0EESW_IbLb1EEEEDaSS_ST_EUlSS_E0_NS1_11comp_targetILNS1_3genE8ELNS1_11target_archE1030ELNS1_3gpuE2ELNS1_3repE0EEENS1_30default_config_static_selectorELNS0_4arch9wavefront6targetE1EEEvT1_,comdat
.Lfunc_end5293:
	.size	_ZN7rocprim17ROCPRIM_400000_NS6detail17trampoline_kernelINS0_14default_configENS1_20scan_config_selectorIyEEZZNS1_9scan_implILNS1_25lookback_scan_determinismE0ELb1ELb1ES3_N6thrust23THRUST_200600_302600_NS6detail15normal_iteratorINS9_10device_ptrIyEEEENS9_16discard_iteratorINS9_11use_defaultEEEyNS9_4plusIvEEyEEDaPvRmT3_T4_T5_mT6_P12ihipStream_tbENKUlT_T0_E_clISt17integral_constantIbLb0EESW_IbLb1EEEEDaSS_ST_EUlSS_E0_NS1_11comp_targetILNS1_3genE8ELNS1_11target_archE1030ELNS1_3gpuE2ELNS1_3repE0EEENS1_30default_config_static_selectorELNS0_4arch9wavefront6targetE1EEEvT1_, .Lfunc_end5293-_ZN7rocprim17ROCPRIM_400000_NS6detail17trampoline_kernelINS0_14default_configENS1_20scan_config_selectorIyEEZZNS1_9scan_implILNS1_25lookback_scan_determinismE0ELb1ELb1ES3_N6thrust23THRUST_200600_302600_NS6detail15normal_iteratorINS9_10device_ptrIyEEEENS9_16discard_iteratorINS9_11use_defaultEEEyNS9_4plusIvEEyEEDaPvRmT3_T4_T5_mT6_P12ihipStream_tbENKUlT_T0_E_clISt17integral_constantIbLb0EESW_IbLb1EEEEDaSS_ST_EUlSS_E0_NS1_11comp_targetILNS1_3genE8ELNS1_11target_archE1030ELNS1_3gpuE2ELNS1_3repE0EEENS1_30default_config_static_selectorELNS0_4arch9wavefront6targetE1EEEvT1_
                                        ; -- End function
	.section	.AMDGPU.csdata,"",@progbits
; Kernel info:
; codeLenInByte = 0
; NumSgprs: 4
; NumVgprs: 0
; NumAgprs: 0
; TotalNumVgprs: 0
; ScratchSize: 0
; MemoryBound: 0
; FloatMode: 240
; IeeeMode: 1
; LDSByteSize: 0 bytes/workgroup (compile time only)
; SGPRBlocks: 0
; VGPRBlocks: 0
; NumSGPRsForWavesPerEU: 4
; NumVGPRsForWavesPerEU: 1
; AccumOffset: 4
; Occupancy: 8
; WaveLimiterHint : 0
; COMPUTE_PGM_RSRC2:SCRATCH_EN: 0
; COMPUTE_PGM_RSRC2:USER_SGPR: 6
; COMPUTE_PGM_RSRC2:TRAP_HANDLER: 0
; COMPUTE_PGM_RSRC2:TGID_X_EN: 1
; COMPUTE_PGM_RSRC2:TGID_Y_EN: 0
; COMPUTE_PGM_RSRC2:TGID_Z_EN: 0
; COMPUTE_PGM_RSRC2:TIDIG_COMP_CNT: 0
; COMPUTE_PGM_RSRC3_GFX90A:ACCUM_OFFSET: 0
; COMPUTE_PGM_RSRC3_GFX90A:TG_SPLIT: 0
	.section	.text._ZN7rocprim17ROCPRIM_400000_NS6detail17trampoline_kernelINS0_14default_configENS1_20scan_config_selectorIjEEZZNS1_9scan_implILNS1_25lookback_scan_determinismE0ELb0ELb0ES3_N6thrust23THRUST_200600_302600_NS6detail15normal_iteratorINS9_10device_ptrIjEEEENS9_16discard_iteratorINS9_11use_defaultEEEjNS9_4plusIvEEjEEDaPvRmT3_T4_T5_mT6_P12ihipStream_tbENKUlT_T0_E_clISt17integral_constantIbLb0EESX_EEDaSS_ST_EUlSS_E_NS1_11comp_targetILNS1_3genE0ELNS1_11target_archE4294967295ELNS1_3gpuE0ELNS1_3repE0EEENS1_30default_config_static_selectorELNS0_4arch9wavefront6targetE1EEEvT1_,"axG",@progbits,_ZN7rocprim17ROCPRIM_400000_NS6detail17trampoline_kernelINS0_14default_configENS1_20scan_config_selectorIjEEZZNS1_9scan_implILNS1_25lookback_scan_determinismE0ELb0ELb0ES3_N6thrust23THRUST_200600_302600_NS6detail15normal_iteratorINS9_10device_ptrIjEEEENS9_16discard_iteratorINS9_11use_defaultEEEjNS9_4plusIvEEjEEDaPvRmT3_T4_T5_mT6_P12ihipStream_tbENKUlT_T0_E_clISt17integral_constantIbLb0EESX_EEDaSS_ST_EUlSS_E_NS1_11comp_targetILNS1_3genE0ELNS1_11target_archE4294967295ELNS1_3gpuE0ELNS1_3repE0EEENS1_30default_config_static_selectorELNS0_4arch9wavefront6targetE1EEEvT1_,comdat
	.protected	_ZN7rocprim17ROCPRIM_400000_NS6detail17trampoline_kernelINS0_14default_configENS1_20scan_config_selectorIjEEZZNS1_9scan_implILNS1_25lookback_scan_determinismE0ELb0ELb0ES3_N6thrust23THRUST_200600_302600_NS6detail15normal_iteratorINS9_10device_ptrIjEEEENS9_16discard_iteratorINS9_11use_defaultEEEjNS9_4plusIvEEjEEDaPvRmT3_T4_T5_mT6_P12ihipStream_tbENKUlT_T0_E_clISt17integral_constantIbLb0EESX_EEDaSS_ST_EUlSS_E_NS1_11comp_targetILNS1_3genE0ELNS1_11target_archE4294967295ELNS1_3gpuE0ELNS1_3repE0EEENS1_30default_config_static_selectorELNS0_4arch9wavefront6targetE1EEEvT1_ ; -- Begin function _ZN7rocprim17ROCPRIM_400000_NS6detail17trampoline_kernelINS0_14default_configENS1_20scan_config_selectorIjEEZZNS1_9scan_implILNS1_25lookback_scan_determinismE0ELb0ELb0ES3_N6thrust23THRUST_200600_302600_NS6detail15normal_iteratorINS9_10device_ptrIjEEEENS9_16discard_iteratorINS9_11use_defaultEEEjNS9_4plusIvEEjEEDaPvRmT3_T4_T5_mT6_P12ihipStream_tbENKUlT_T0_E_clISt17integral_constantIbLb0EESX_EEDaSS_ST_EUlSS_E_NS1_11comp_targetILNS1_3genE0ELNS1_11target_archE4294967295ELNS1_3gpuE0ELNS1_3repE0EEENS1_30default_config_static_selectorELNS0_4arch9wavefront6targetE1EEEvT1_
	.globl	_ZN7rocprim17ROCPRIM_400000_NS6detail17trampoline_kernelINS0_14default_configENS1_20scan_config_selectorIjEEZZNS1_9scan_implILNS1_25lookback_scan_determinismE0ELb0ELb0ES3_N6thrust23THRUST_200600_302600_NS6detail15normal_iteratorINS9_10device_ptrIjEEEENS9_16discard_iteratorINS9_11use_defaultEEEjNS9_4plusIvEEjEEDaPvRmT3_T4_T5_mT6_P12ihipStream_tbENKUlT_T0_E_clISt17integral_constantIbLb0EESX_EEDaSS_ST_EUlSS_E_NS1_11comp_targetILNS1_3genE0ELNS1_11target_archE4294967295ELNS1_3gpuE0ELNS1_3repE0EEENS1_30default_config_static_selectorELNS0_4arch9wavefront6targetE1EEEvT1_
	.p2align	8
	.type	_ZN7rocprim17ROCPRIM_400000_NS6detail17trampoline_kernelINS0_14default_configENS1_20scan_config_selectorIjEEZZNS1_9scan_implILNS1_25lookback_scan_determinismE0ELb0ELb0ES3_N6thrust23THRUST_200600_302600_NS6detail15normal_iteratorINS9_10device_ptrIjEEEENS9_16discard_iteratorINS9_11use_defaultEEEjNS9_4plusIvEEjEEDaPvRmT3_T4_T5_mT6_P12ihipStream_tbENKUlT_T0_E_clISt17integral_constantIbLb0EESX_EEDaSS_ST_EUlSS_E_NS1_11comp_targetILNS1_3genE0ELNS1_11target_archE4294967295ELNS1_3gpuE0ELNS1_3repE0EEENS1_30default_config_static_selectorELNS0_4arch9wavefront6targetE1EEEvT1_,@function
_ZN7rocprim17ROCPRIM_400000_NS6detail17trampoline_kernelINS0_14default_configENS1_20scan_config_selectorIjEEZZNS1_9scan_implILNS1_25lookback_scan_determinismE0ELb0ELb0ES3_N6thrust23THRUST_200600_302600_NS6detail15normal_iteratorINS9_10device_ptrIjEEEENS9_16discard_iteratorINS9_11use_defaultEEEjNS9_4plusIvEEjEEDaPvRmT3_T4_T5_mT6_P12ihipStream_tbENKUlT_T0_E_clISt17integral_constantIbLb0EESX_EEDaSS_ST_EUlSS_E_NS1_11comp_targetILNS1_3genE0ELNS1_11target_archE4294967295ELNS1_3gpuE0ELNS1_3repE0EEENS1_30default_config_static_selectorELNS0_4arch9wavefront6targetE1EEEvT1_: ; @_ZN7rocprim17ROCPRIM_400000_NS6detail17trampoline_kernelINS0_14default_configENS1_20scan_config_selectorIjEEZZNS1_9scan_implILNS1_25lookback_scan_determinismE0ELb0ELb0ES3_N6thrust23THRUST_200600_302600_NS6detail15normal_iteratorINS9_10device_ptrIjEEEENS9_16discard_iteratorINS9_11use_defaultEEEjNS9_4plusIvEEjEEDaPvRmT3_T4_T5_mT6_P12ihipStream_tbENKUlT_T0_E_clISt17integral_constantIbLb0EESX_EEDaSS_ST_EUlSS_E_NS1_11comp_targetILNS1_3genE0ELNS1_11target_archE4294967295ELNS1_3gpuE0ELNS1_3repE0EEENS1_30default_config_static_selectorELNS0_4arch9wavefront6targetE1EEEvT1_
; %bb.0:
	.section	.rodata,"a",@progbits
	.p2align	6, 0x0
	.amdhsa_kernel _ZN7rocprim17ROCPRIM_400000_NS6detail17trampoline_kernelINS0_14default_configENS1_20scan_config_selectorIjEEZZNS1_9scan_implILNS1_25lookback_scan_determinismE0ELb0ELb0ES3_N6thrust23THRUST_200600_302600_NS6detail15normal_iteratorINS9_10device_ptrIjEEEENS9_16discard_iteratorINS9_11use_defaultEEEjNS9_4plusIvEEjEEDaPvRmT3_T4_T5_mT6_P12ihipStream_tbENKUlT_T0_E_clISt17integral_constantIbLb0EESX_EEDaSS_ST_EUlSS_E_NS1_11comp_targetILNS1_3genE0ELNS1_11target_archE4294967295ELNS1_3gpuE0ELNS1_3repE0EEENS1_30default_config_static_selectorELNS0_4arch9wavefront6targetE1EEEvT1_
		.amdhsa_group_segment_fixed_size 0
		.amdhsa_private_segment_fixed_size 0
		.amdhsa_kernarg_size 104
		.amdhsa_user_sgpr_count 6
		.amdhsa_user_sgpr_private_segment_buffer 1
		.amdhsa_user_sgpr_dispatch_ptr 0
		.amdhsa_user_sgpr_queue_ptr 0
		.amdhsa_user_sgpr_kernarg_segment_ptr 1
		.amdhsa_user_sgpr_dispatch_id 0
		.amdhsa_user_sgpr_flat_scratch_init 0
		.amdhsa_user_sgpr_kernarg_preload_length 0
		.amdhsa_user_sgpr_kernarg_preload_offset 0
		.amdhsa_user_sgpr_private_segment_size 0
		.amdhsa_uses_dynamic_stack 0
		.amdhsa_system_sgpr_private_segment_wavefront_offset 0
		.amdhsa_system_sgpr_workgroup_id_x 1
		.amdhsa_system_sgpr_workgroup_id_y 0
		.amdhsa_system_sgpr_workgroup_id_z 0
		.amdhsa_system_sgpr_workgroup_info 0
		.amdhsa_system_vgpr_workitem_id 0
		.amdhsa_next_free_vgpr 1
		.amdhsa_next_free_sgpr 0
		.amdhsa_accum_offset 4
		.amdhsa_reserve_vcc 0
		.amdhsa_reserve_flat_scratch 0
		.amdhsa_float_round_mode_32 0
		.amdhsa_float_round_mode_16_64 0
		.amdhsa_float_denorm_mode_32 3
		.amdhsa_float_denorm_mode_16_64 3
		.amdhsa_dx10_clamp 1
		.amdhsa_ieee_mode 1
		.amdhsa_fp16_overflow 0
		.amdhsa_tg_split 0
		.amdhsa_exception_fp_ieee_invalid_op 0
		.amdhsa_exception_fp_denorm_src 0
		.amdhsa_exception_fp_ieee_div_zero 0
		.amdhsa_exception_fp_ieee_overflow 0
		.amdhsa_exception_fp_ieee_underflow 0
		.amdhsa_exception_fp_ieee_inexact 0
		.amdhsa_exception_int_div_zero 0
	.end_amdhsa_kernel
	.section	.text._ZN7rocprim17ROCPRIM_400000_NS6detail17trampoline_kernelINS0_14default_configENS1_20scan_config_selectorIjEEZZNS1_9scan_implILNS1_25lookback_scan_determinismE0ELb0ELb0ES3_N6thrust23THRUST_200600_302600_NS6detail15normal_iteratorINS9_10device_ptrIjEEEENS9_16discard_iteratorINS9_11use_defaultEEEjNS9_4plusIvEEjEEDaPvRmT3_T4_T5_mT6_P12ihipStream_tbENKUlT_T0_E_clISt17integral_constantIbLb0EESX_EEDaSS_ST_EUlSS_E_NS1_11comp_targetILNS1_3genE0ELNS1_11target_archE4294967295ELNS1_3gpuE0ELNS1_3repE0EEENS1_30default_config_static_selectorELNS0_4arch9wavefront6targetE1EEEvT1_,"axG",@progbits,_ZN7rocprim17ROCPRIM_400000_NS6detail17trampoline_kernelINS0_14default_configENS1_20scan_config_selectorIjEEZZNS1_9scan_implILNS1_25lookback_scan_determinismE0ELb0ELb0ES3_N6thrust23THRUST_200600_302600_NS6detail15normal_iteratorINS9_10device_ptrIjEEEENS9_16discard_iteratorINS9_11use_defaultEEEjNS9_4plusIvEEjEEDaPvRmT3_T4_T5_mT6_P12ihipStream_tbENKUlT_T0_E_clISt17integral_constantIbLb0EESX_EEDaSS_ST_EUlSS_E_NS1_11comp_targetILNS1_3genE0ELNS1_11target_archE4294967295ELNS1_3gpuE0ELNS1_3repE0EEENS1_30default_config_static_selectorELNS0_4arch9wavefront6targetE1EEEvT1_,comdat
.Lfunc_end5294:
	.size	_ZN7rocprim17ROCPRIM_400000_NS6detail17trampoline_kernelINS0_14default_configENS1_20scan_config_selectorIjEEZZNS1_9scan_implILNS1_25lookback_scan_determinismE0ELb0ELb0ES3_N6thrust23THRUST_200600_302600_NS6detail15normal_iteratorINS9_10device_ptrIjEEEENS9_16discard_iteratorINS9_11use_defaultEEEjNS9_4plusIvEEjEEDaPvRmT3_T4_T5_mT6_P12ihipStream_tbENKUlT_T0_E_clISt17integral_constantIbLb0EESX_EEDaSS_ST_EUlSS_E_NS1_11comp_targetILNS1_3genE0ELNS1_11target_archE4294967295ELNS1_3gpuE0ELNS1_3repE0EEENS1_30default_config_static_selectorELNS0_4arch9wavefront6targetE1EEEvT1_, .Lfunc_end5294-_ZN7rocprim17ROCPRIM_400000_NS6detail17trampoline_kernelINS0_14default_configENS1_20scan_config_selectorIjEEZZNS1_9scan_implILNS1_25lookback_scan_determinismE0ELb0ELb0ES3_N6thrust23THRUST_200600_302600_NS6detail15normal_iteratorINS9_10device_ptrIjEEEENS9_16discard_iteratorINS9_11use_defaultEEEjNS9_4plusIvEEjEEDaPvRmT3_T4_T5_mT6_P12ihipStream_tbENKUlT_T0_E_clISt17integral_constantIbLb0EESX_EEDaSS_ST_EUlSS_E_NS1_11comp_targetILNS1_3genE0ELNS1_11target_archE4294967295ELNS1_3gpuE0ELNS1_3repE0EEENS1_30default_config_static_selectorELNS0_4arch9wavefront6targetE1EEEvT1_
                                        ; -- End function
	.section	.AMDGPU.csdata,"",@progbits
; Kernel info:
; codeLenInByte = 0
; NumSgprs: 4
; NumVgprs: 0
; NumAgprs: 0
; TotalNumVgprs: 0
; ScratchSize: 0
; MemoryBound: 0
; FloatMode: 240
; IeeeMode: 1
; LDSByteSize: 0 bytes/workgroup (compile time only)
; SGPRBlocks: 0
; VGPRBlocks: 0
; NumSGPRsForWavesPerEU: 4
; NumVGPRsForWavesPerEU: 1
; AccumOffset: 4
; Occupancy: 8
; WaveLimiterHint : 0
; COMPUTE_PGM_RSRC2:SCRATCH_EN: 0
; COMPUTE_PGM_RSRC2:USER_SGPR: 6
; COMPUTE_PGM_RSRC2:TRAP_HANDLER: 0
; COMPUTE_PGM_RSRC2:TGID_X_EN: 1
; COMPUTE_PGM_RSRC2:TGID_Y_EN: 0
; COMPUTE_PGM_RSRC2:TGID_Z_EN: 0
; COMPUTE_PGM_RSRC2:TIDIG_COMP_CNT: 0
; COMPUTE_PGM_RSRC3_GFX90A:ACCUM_OFFSET: 0
; COMPUTE_PGM_RSRC3_GFX90A:TG_SPLIT: 0
	.section	.text._ZN7rocprim17ROCPRIM_400000_NS6detail17trampoline_kernelINS0_14default_configENS1_20scan_config_selectorIjEEZZNS1_9scan_implILNS1_25lookback_scan_determinismE0ELb0ELb0ES3_N6thrust23THRUST_200600_302600_NS6detail15normal_iteratorINS9_10device_ptrIjEEEENS9_16discard_iteratorINS9_11use_defaultEEEjNS9_4plusIvEEjEEDaPvRmT3_T4_T5_mT6_P12ihipStream_tbENKUlT_T0_E_clISt17integral_constantIbLb0EESX_EEDaSS_ST_EUlSS_E_NS1_11comp_targetILNS1_3genE5ELNS1_11target_archE942ELNS1_3gpuE9ELNS1_3repE0EEENS1_30default_config_static_selectorELNS0_4arch9wavefront6targetE1EEEvT1_,"axG",@progbits,_ZN7rocprim17ROCPRIM_400000_NS6detail17trampoline_kernelINS0_14default_configENS1_20scan_config_selectorIjEEZZNS1_9scan_implILNS1_25lookback_scan_determinismE0ELb0ELb0ES3_N6thrust23THRUST_200600_302600_NS6detail15normal_iteratorINS9_10device_ptrIjEEEENS9_16discard_iteratorINS9_11use_defaultEEEjNS9_4plusIvEEjEEDaPvRmT3_T4_T5_mT6_P12ihipStream_tbENKUlT_T0_E_clISt17integral_constantIbLb0EESX_EEDaSS_ST_EUlSS_E_NS1_11comp_targetILNS1_3genE5ELNS1_11target_archE942ELNS1_3gpuE9ELNS1_3repE0EEENS1_30default_config_static_selectorELNS0_4arch9wavefront6targetE1EEEvT1_,comdat
	.protected	_ZN7rocprim17ROCPRIM_400000_NS6detail17trampoline_kernelINS0_14default_configENS1_20scan_config_selectorIjEEZZNS1_9scan_implILNS1_25lookback_scan_determinismE0ELb0ELb0ES3_N6thrust23THRUST_200600_302600_NS6detail15normal_iteratorINS9_10device_ptrIjEEEENS9_16discard_iteratorINS9_11use_defaultEEEjNS9_4plusIvEEjEEDaPvRmT3_T4_T5_mT6_P12ihipStream_tbENKUlT_T0_E_clISt17integral_constantIbLb0EESX_EEDaSS_ST_EUlSS_E_NS1_11comp_targetILNS1_3genE5ELNS1_11target_archE942ELNS1_3gpuE9ELNS1_3repE0EEENS1_30default_config_static_selectorELNS0_4arch9wavefront6targetE1EEEvT1_ ; -- Begin function _ZN7rocprim17ROCPRIM_400000_NS6detail17trampoline_kernelINS0_14default_configENS1_20scan_config_selectorIjEEZZNS1_9scan_implILNS1_25lookback_scan_determinismE0ELb0ELb0ES3_N6thrust23THRUST_200600_302600_NS6detail15normal_iteratorINS9_10device_ptrIjEEEENS9_16discard_iteratorINS9_11use_defaultEEEjNS9_4plusIvEEjEEDaPvRmT3_T4_T5_mT6_P12ihipStream_tbENKUlT_T0_E_clISt17integral_constantIbLb0EESX_EEDaSS_ST_EUlSS_E_NS1_11comp_targetILNS1_3genE5ELNS1_11target_archE942ELNS1_3gpuE9ELNS1_3repE0EEENS1_30default_config_static_selectorELNS0_4arch9wavefront6targetE1EEEvT1_
	.globl	_ZN7rocprim17ROCPRIM_400000_NS6detail17trampoline_kernelINS0_14default_configENS1_20scan_config_selectorIjEEZZNS1_9scan_implILNS1_25lookback_scan_determinismE0ELb0ELb0ES3_N6thrust23THRUST_200600_302600_NS6detail15normal_iteratorINS9_10device_ptrIjEEEENS9_16discard_iteratorINS9_11use_defaultEEEjNS9_4plusIvEEjEEDaPvRmT3_T4_T5_mT6_P12ihipStream_tbENKUlT_T0_E_clISt17integral_constantIbLb0EESX_EEDaSS_ST_EUlSS_E_NS1_11comp_targetILNS1_3genE5ELNS1_11target_archE942ELNS1_3gpuE9ELNS1_3repE0EEENS1_30default_config_static_selectorELNS0_4arch9wavefront6targetE1EEEvT1_
	.p2align	8
	.type	_ZN7rocprim17ROCPRIM_400000_NS6detail17trampoline_kernelINS0_14default_configENS1_20scan_config_selectorIjEEZZNS1_9scan_implILNS1_25lookback_scan_determinismE0ELb0ELb0ES3_N6thrust23THRUST_200600_302600_NS6detail15normal_iteratorINS9_10device_ptrIjEEEENS9_16discard_iteratorINS9_11use_defaultEEEjNS9_4plusIvEEjEEDaPvRmT3_T4_T5_mT6_P12ihipStream_tbENKUlT_T0_E_clISt17integral_constantIbLb0EESX_EEDaSS_ST_EUlSS_E_NS1_11comp_targetILNS1_3genE5ELNS1_11target_archE942ELNS1_3gpuE9ELNS1_3repE0EEENS1_30default_config_static_selectorELNS0_4arch9wavefront6targetE1EEEvT1_,@function
_ZN7rocprim17ROCPRIM_400000_NS6detail17trampoline_kernelINS0_14default_configENS1_20scan_config_selectorIjEEZZNS1_9scan_implILNS1_25lookback_scan_determinismE0ELb0ELb0ES3_N6thrust23THRUST_200600_302600_NS6detail15normal_iteratorINS9_10device_ptrIjEEEENS9_16discard_iteratorINS9_11use_defaultEEEjNS9_4plusIvEEjEEDaPvRmT3_T4_T5_mT6_P12ihipStream_tbENKUlT_T0_E_clISt17integral_constantIbLb0EESX_EEDaSS_ST_EUlSS_E_NS1_11comp_targetILNS1_3genE5ELNS1_11target_archE942ELNS1_3gpuE9ELNS1_3repE0EEENS1_30default_config_static_selectorELNS0_4arch9wavefront6targetE1EEEvT1_: ; @_ZN7rocprim17ROCPRIM_400000_NS6detail17trampoline_kernelINS0_14default_configENS1_20scan_config_selectorIjEEZZNS1_9scan_implILNS1_25lookback_scan_determinismE0ELb0ELb0ES3_N6thrust23THRUST_200600_302600_NS6detail15normal_iteratorINS9_10device_ptrIjEEEENS9_16discard_iteratorINS9_11use_defaultEEEjNS9_4plusIvEEjEEDaPvRmT3_T4_T5_mT6_P12ihipStream_tbENKUlT_T0_E_clISt17integral_constantIbLb0EESX_EEDaSS_ST_EUlSS_E_NS1_11comp_targetILNS1_3genE5ELNS1_11target_archE942ELNS1_3gpuE9ELNS1_3repE0EEENS1_30default_config_static_selectorELNS0_4arch9wavefront6targetE1EEEvT1_
; %bb.0:
	.section	.rodata,"a",@progbits
	.p2align	6, 0x0
	.amdhsa_kernel _ZN7rocprim17ROCPRIM_400000_NS6detail17trampoline_kernelINS0_14default_configENS1_20scan_config_selectorIjEEZZNS1_9scan_implILNS1_25lookback_scan_determinismE0ELb0ELb0ES3_N6thrust23THRUST_200600_302600_NS6detail15normal_iteratorINS9_10device_ptrIjEEEENS9_16discard_iteratorINS9_11use_defaultEEEjNS9_4plusIvEEjEEDaPvRmT3_T4_T5_mT6_P12ihipStream_tbENKUlT_T0_E_clISt17integral_constantIbLb0EESX_EEDaSS_ST_EUlSS_E_NS1_11comp_targetILNS1_3genE5ELNS1_11target_archE942ELNS1_3gpuE9ELNS1_3repE0EEENS1_30default_config_static_selectorELNS0_4arch9wavefront6targetE1EEEvT1_
		.amdhsa_group_segment_fixed_size 0
		.amdhsa_private_segment_fixed_size 0
		.amdhsa_kernarg_size 104
		.amdhsa_user_sgpr_count 6
		.amdhsa_user_sgpr_private_segment_buffer 1
		.amdhsa_user_sgpr_dispatch_ptr 0
		.amdhsa_user_sgpr_queue_ptr 0
		.amdhsa_user_sgpr_kernarg_segment_ptr 1
		.amdhsa_user_sgpr_dispatch_id 0
		.amdhsa_user_sgpr_flat_scratch_init 0
		.amdhsa_user_sgpr_kernarg_preload_length 0
		.amdhsa_user_sgpr_kernarg_preload_offset 0
		.amdhsa_user_sgpr_private_segment_size 0
		.amdhsa_uses_dynamic_stack 0
		.amdhsa_system_sgpr_private_segment_wavefront_offset 0
		.amdhsa_system_sgpr_workgroup_id_x 1
		.amdhsa_system_sgpr_workgroup_id_y 0
		.amdhsa_system_sgpr_workgroup_id_z 0
		.amdhsa_system_sgpr_workgroup_info 0
		.amdhsa_system_vgpr_workitem_id 0
		.amdhsa_next_free_vgpr 1
		.amdhsa_next_free_sgpr 0
		.amdhsa_accum_offset 4
		.amdhsa_reserve_vcc 0
		.amdhsa_reserve_flat_scratch 0
		.amdhsa_float_round_mode_32 0
		.amdhsa_float_round_mode_16_64 0
		.amdhsa_float_denorm_mode_32 3
		.amdhsa_float_denorm_mode_16_64 3
		.amdhsa_dx10_clamp 1
		.amdhsa_ieee_mode 1
		.amdhsa_fp16_overflow 0
		.amdhsa_tg_split 0
		.amdhsa_exception_fp_ieee_invalid_op 0
		.amdhsa_exception_fp_denorm_src 0
		.amdhsa_exception_fp_ieee_div_zero 0
		.amdhsa_exception_fp_ieee_overflow 0
		.amdhsa_exception_fp_ieee_underflow 0
		.amdhsa_exception_fp_ieee_inexact 0
		.amdhsa_exception_int_div_zero 0
	.end_amdhsa_kernel
	.section	.text._ZN7rocprim17ROCPRIM_400000_NS6detail17trampoline_kernelINS0_14default_configENS1_20scan_config_selectorIjEEZZNS1_9scan_implILNS1_25lookback_scan_determinismE0ELb0ELb0ES3_N6thrust23THRUST_200600_302600_NS6detail15normal_iteratorINS9_10device_ptrIjEEEENS9_16discard_iteratorINS9_11use_defaultEEEjNS9_4plusIvEEjEEDaPvRmT3_T4_T5_mT6_P12ihipStream_tbENKUlT_T0_E_clISt17integral_constantIbLb0EESX_EEDaSS_ST_EUlSS_E_NS1_11comp_targetILNS1_3genE5ELNS1_11target_archE942ELNS1_3gpuE9ELNS1_3repE0EEENS1_30default_config_static_selectorELNS0_4arch9wavefront6targetE1EEEvT1_,"axG",@progbits,_ZN7rocprim17ROCPRIM_400000_NS6detail17trampoline_kernelINS0_14default_configENS1_20scan_config_selectorIjEEZZNS1_9scan_implILNS1_25lookback_scan_determinismE0ELb0ELb0ES3_N6thrust23THRUST_200600_302600_NS6detail15normal_iteratorINS9_10device_ptrIjEEEENS9_16discard_iteratorINS9_11use_defaultEEEjNS9_4plusIvEEjEEDaPvRmT3_T4_T5_mT6_P12ihipStream_tbENKUlT_T0_E_clISt17integral_constantIbLb0EESX_EEDaSS_ST_EUlSS_E_NS1_11comp_targetILNS1_3genE5ELNS1_11target_archE942ELNS1_3gpuE9ELNS1_3repE0EEENS1_30default_config_static_selectorELNS0_4arch9wavefront6targetE1EEEvT1_,comdat
.Lfunc_end5295:
	.size	_ZN7rocprim17ROCPRIM_400000_NS6detail17trampoline_kernelINS0_14default_configENS1_20scan_config_selectorIjEEZZNS1_9scan_implILNS1_25lookback_scan_determinismE0ELb0ELb0ES3_N6thrust23THRUST_200600_302600_NS6detail15normal_iteratorINS9_10device_ptrIjEEEENS9_16discard_iteratorINS9_11use_defaultEEEjNS9_4plusIvEEjEEDaPvRmT3_T4_T5_mT6_P12ihipStream_tbENKUlT_T0_E_clISt17integral_constantIbLb0EESX_EEDaSS_ST_EUlSS_E_NS1_11comp_targetILNS1_3genE5ELNS1_11target_archE942ELNS1_3gpuE9ELNS1_3repE0EEENS1_30default_config_static_selectorELNS0_4arch9wavefront6targetE1EEEvT1_, .Lfunc_end5295-_ZN7rocprim17ROCPRIM_400000_NS6detail17trampoline_kernelINS0_14default_configENS1_20scan_config_selectorIjEEZZNS1_9scan_implILNS1_25lookback_scan_determinismE0ELb0ELb0ES3_N6thrust23THRUST_200600_302600_NS6detail15normal_iteratorINS9_10device_ptrIjEEEENS9_16discard_iteratorINS9_11use_defaultEEEjNS9_4plusIvEEjEEDaPvRmT3_T4_T5_mT6_P12ihipStream_tbENKUlT_T0_E_clISt17integral_constantIbLb0EESX_EEDaSS_ST_EUlSS_E_NS1_11comp_targetILNS1_3genE5ELNS1_11target_archE942ELNS1_3gpuE9ELNS1_3repE0EEENS1_30default_config_static_selectorELNS0_4arch9wavefront6targetE1EEEvT1_
                                        ; -- End function
	.section	.AMDGPU.csdata,"",@progbits
; Kernel info:
; codeLenInByte = 0
; NumSgprs: 4
; NumVgprs: 0
; NumAgprs: 0
; TotalNumVgprs: 0
; ScratchSize: 0
; MemoryBound: 0
; FloatMode: 240
; IeeeMode: 1
; LDSByteSize: 0 bytes/workgroup (compile time only)
; SGPRBlocks: 0
; VGPRBlocks: 0
; NumSGPRsForWavesPerEU: 4
; NumVGPRsForWavesPerEU: 1
; AccumOffset: 4
; Occupancy: 8
; WaveLimiterHint : 0
; COMPUTE_PGM_RSRC2:SCRATCH_EN: 0
; COMPUTE_PGM_RSRC2:USER_SGPR: 6
; COMPUTE_PGM_RSRC2:TRAP_HANDLER: 0
; COMPUTE_PGM_RSRC2:TGID_X_EN: 1
; COMPUTE_PGM_RSRC2:TGID_Y_EN: 0
; COMPUTE_PGM_RSRC2:TGID_Z_EN: 0
; COMPUTE_PGM_RSRC2:TIDIG_COMP_CNT: 0
; COMPUTE_PGM_RSRC3_GFX90A:ACCUM_OFFSET: 0
; COMPUTE_PGM_RSRC3_GFX90A:TG_SPLIT: 0
	.section	.text._ZN7rocprim17ROCPRIM_400000_NS6detail17trampoline_kernelINS0_14default_configENS1_20scan_config_selectorIjEEZZNS1_9scan_implILNS1_25lookback_scan_determinismE0ELb0ELb0ES3_N6thrust23THRUST_200600_302600_NS6detail15normal_iteratorINS9_10device_ptrIjEEEENS9_16discard_iteratorINS9_11use_defaultEEEjNS9_4plusIvEEjEEDaPvRmT3_T4_T5_mT6_P12ihipStream_tbENKUlT_T0_E_clISt17integral_constantIbLb0EESX_EEDaSS_ST_EUlSS_E_NS1_11comp_targetILNS1_3genE4ELNS1_11target_archE910ELNS1_3gpuE8ELNS1_3repE0EEENS1_30default_config_static_selectorELNS0_4arch9wavefront6targetE1EEEvT1_,"axG",@progbits,_ZN7rocprim17ROCPRIM_400000_NS6detail17trampoline_kernelINS0_14default_configENS1_20scan_config_selectorIjEEZZNS1_9scan_implILNS1_25lookback_scan_determinismE0ELb0ELb0ES3_N6thrust23THRUST_200600_302600_NS6detail15normal_iteratorINS9_10device_ptrIjEEEENS9_16discard_iteratorINS9_11use_defaultEEEjNS9_4plusIvEEjEEDaPvRmT3_T4_T5_mT6_P12ihipStream_tbENKUlT_T0_E_clISt17integral_constantIbLb0EESX_EEDaSS_ST_EUlSS_E_NS1_11comp_targetILNS1_3genE4ELNS1_11target_archE910ELNS1_3gpuE8ELNS1_3repE0EEENS1_30default_config_static_selectorELNS0_4arch9wavefront6targetE1EEEvT1_,comdat
	.protected	_ZN7rocprim17ROCPRIM_400000_NS6detail17trampoline_kernelINS0_14default_configENS1_20scan_config_selectorIjEEZZNS1_9scan_implILNS1_25lookback_scan_determinismE0ELb0ELb0ES3_N6thrust23THRUST_200600_302600_NS6detail15normal_iteratorINS9_10device_ptrIjEEEENS9_16discard_iteratorINS9_11use_defaultEEEjNS9_4plusIvEEjEEDaPvRmT3_T4_T5_mT6_P12ihipStream_tbENKUlT_T0_E_clISt17integral_constantIbLb0EESX_EEDaSS_ST_EUlSS_E_NS1_11comp_targetILNS1_3genE4ELNS1_11target_archE910ELNS1_3gpuE8ELNS1_3repE0EEENS1_30default_config_static_selectorELNS0_4arch9wavefront6targetE1EEEvT1_ ; -- Begin function _ZN7rocprim17ROCPRIM_400000_NS6detail17trampoline_kernelINS0_14default_configENS1_20scan_config_selectorIjEEZZNS1_9scan_implILNS1_25lookback_scan_determinismE0ELb0ELb0ES3_N6thrust23THRUST_200600_302600_NS6detail15normal_iteratorINS9_10device_ptrIjEEEENS9_16discard_iteratorINS9_11use_defaultEEEjNS9_4plusIvEEjEEDaPvRmT3_T4_T5_mT6_P12ihipStream_tbENKUlT_T0_E_clISt17integral_constantIbLb0EESX_EEDaSS_ST_EUlSS_E_NS1_11comp_targetILNS1_3genE4ELNS1_11target_archE910ELNS1_3gpuE8ELNS1_3repE0EEENS1_30default_config_static_selectorELNS0_4arch9wavefront6targetE1EEEvT1_
	.globl	_ZN7rocprim17ROCPRIM_400000_NS6detail17trampoline_kernelINS0_14default_configENS1_20scan_config_selectorIjEEZZNS1_9scan_implILNS1_25lookback_scan_determinismE0ELb0ELb0ES3_N6thrust23THRUST_200600_302600_NS6detail15normal_iteratorINS9_10device_ptrIjEEEENS9_16discard_iteratorINS9_11use_defaultEEEjNS9_4plusIvEEjEEDaPvRmT3_T4_T5_mT6_P12ihipStream_tbENKUlT_T0_E_clISt17integral_constantIbLb0EESX_EEDaSS_ST_EUlSS_E_NS1_11comp_targetILNS1_3genE4ELNS1_11target_archE910ELNS1_3gpuE8ELNS1_3repE0EEENS1_30default_config_static_selectorELNS0_4arch9wavefront6targetE1EEEvT1_
	.p2align	8
	.type	_ZN7rocprim17ROCPRIM_400000_NS6detail17trampoline_kernelINS0_14default_configENS1_20scan_config_selectorIjEEZZNS1_9scan_implILNS1_25lookback_scan_determinismE0ELb0ELb0ES3_N6thrust23THRUST_200600_302600_NS6detail15normal_iteratorINS9_10device_ptrIjEEEENS9_16discard_iteratorINS9_11use_defaultEEEjNS9_4plusIvEEjEEDaPvRmT3_T4_T5_mT6_P12ihipStream_tbENKUlT_T0_E_clISt17integral_constantIbLb0EESX_EEDaSS_ST_EUlSS_E_NS1_11comp_targetILNS1_3genE4ELNS1_11target_archE910ELNS1_3gpuE8ELNS1_3repE0EEENS1_30default_config_static_selectorELNS0_4arch9wavefront6targetE1EEEvT1_,@function
_ZN7rocprim17ROCPRIM_400000_NS6detail17trampoline_kernelINS0_14default_configENS1_20scan_config_selectorIjEEZZNS1_9scan_implILNS1_25lookback_scan_determinismE0ELb0ELb0ES3_N6thrust23THRUST_200600_302600_NS6detail15normal_iteratorINS9_10device_ptrIjEEEENS9_16discard_iteratorINS9_11use_defaultEEEjNS9_4plusIvEEjEEDaPvRmT3_T4_T5_mT6_P12ihipStream_tbENKUlT_T0_E_clISt17integral_constantIbLb0EESX_EEDaSS_ST_EUlSS_E_NS1_11comp_targetILNS1_3genE4ELNS1_11target_archE910ELNS1_3gpuE8ELNS1_3repE0EEENS1_30default_config_static_selectorELNS0_4arch9wavefront6targetE1EEEvT1_: ; @_ZN7rocprim17ROCPRIM_400000_NS6detail17trampoline_kernelINS0_14default_configENS1_20scan_config_selectorIjEEZZNS1_9scan_implILNS1_25lookback_scan_determinismE0ELb0ELb0ES3_N6thrust23THRUST_200600_302600_NS6detail15normal_iteratorINS9_10device_ptrIjEEEENS9_16discard_iteratorINS9_11use_defaultEEEjNS9_4plusIvEEjEEDaPvRmT3_T4_T5_mT6_P12ihipStream_tbENKUlT_T0_E_clISt17integral_constantIbLb0EESX_EEDaSS_ST_EUlSS_E_NS1_11comp_targetILNS1_3genE4ELNS1_11target_archE910ELNS1_3gpuE8ELNS1_3repE0EEENS1_30default_config_static_selectorELNS0_4arch9wavefront6targetE1EEEvT1_
; %bb.0:
	s_load_dwordx4 s[0:3], s[4:5], 0x0
	s_load_dwordx2 s[8:9], s[4:5], 0x20
	s_load_dword s7, s[4:5], 0x38
	s_waitcnt lgkmcnt(0)
	s_lshl_b64 s[2:3], s[2:3], 2
	s_add_u32 s2, s0, s2
	s_addc_u32 s3, s1, s3
	s_add_i32 s7, s7, -1
	s_mul_i32 s10, s7, 0x500
	s_sub_u32 s18, s8, s10
	s_subb_u32 s19, s9, 0
	s_mul_i32 s0, s6, 0x500
	s_mov_b32 s1, 0
	s_cmp_lg_u32 s6, s7
	s_cselect_b64 s[12:13], -1, 0
	s_lshl_b64 s[0:1], s[0:1], 2
	s_add_u32 s0, s2, s0
	s_addc_u32 s1, s3, s1
	s_mov_b64 s[2:3], -1
	s_and_b64 vcc, exec, s[12:13]
	s_cbranch_vccz .LBB5296_2
; %bb.1:
	v_lshlrev_b32_e32 v1, 2, v0
	v_mov_b32_e32 v3, s1
	v_add_co_u32_e32 v2, vcc, s0, v1
	v_addc_co_u32_e32 v3, vcc, 0, v3, vcc
	flat_load_dword v4, v[2:3]
	flat_load_dword v5, v[2:3] offset:512
	flat_load_dword v6, v[2:3] offset:1024
	;; [unrolled: 1-line block ×7, first 2 shown]
	v_add_co_u32_e32 v2, vcc, 0x1000, v2
	v_addc_co_u32_e32 v3, vcc, 0, v3, vcc
	flat_load_dword v12, v[2:3]
	flat_load_dword v13, v[2:3] offset:512
	s_mov_b64 s[2:3], 0
	s_waitcnt vmcnt(0) lgkmcnt(0)
	ds_write2st64_b32 v1, v4, v5 offset1:2
	ds_write2st64_b32 v1, v6, v7 offset0:4 offset1:6
	ds_write2st64_b32 v1, v8, v9 offset0:8 offset1:10
	;; [unrolled: 1-line block ×4, first 2 shown]
	s_waitcnt lgkmcnt(0)
	s_barrier
.LBB5296_2:
	s_load_dwordx2 s[14:15], s[4:5], 0x30
	s_andn2_b64 vcc, exec, s[2:3]
	s_cbranch_vccnz .LBB5296_24
; %bb.3:
	v_pk_mov_b32 v[2:3], s[0:1], s[0:1] op_sel:[0,1]
	flat_load_dword v1, v[2:3]
	v_cmp_gt_u32_e32 vcc, s18, v0
	s_waitcnt vmcnt(0) lgkmcnt(0)
	v_mov_b32_e32 v2, v1
	v_mov_b32_e32 v3, v1
	;; [unrolled: 1-line block ×9, first 2 shown]
	s_and_saveexec_b64 s[2:3], vcc
	s_cbranch_execz .LBB5296_5
; %bb.4:
	v_lshlrev_b32_e32 v10, 2, v0
	v_mov_b32_e32 v11, s1
	v_add_co_u32_e32 v10, vcc, s0, v10
	v_addc_co_u32_e32 v11, vcc, 0, v11, vcc
	flat_load_dword v10, v[10:11]
.LBB5296_5:
	s_or_b64 exec, exec, s[2:3]
	v_or_b32_e32 v11, 0x80, v0
	v_cmp_gt_u32_e32 vcc, s18, v11
	s_and_saveexec_b64 s[2:3], vcc
	s_cbranch_execz .LBB5296_7
; %bb.6:
	v_lshlrev_b32_e32 v1, 2, v0
	v_mov_b32_e32 v11, s1
	v_add_co_u32_e32 v12, vcc, s0, v1
	v_addc_co_u32_e32 v13, vcc, 0, v11, vcc
	flat_load_dword v1, v[12:13] offset:512
.LBB5296_7:
	s_or_b64 exec, exec, s[2:3]
	v_or_b32_e32 v11, 0x100, v0
	v_cmp_gt_u32_e32 vcc, s18, v11
	s_and_saveexec_b64 s[2:3], vcc
	s_cbranch_execz .LBB5296_9
; %bb.8:
	v_lshlrev_b32_e32 v2, 2, v0
	v_mov_b32_e32 v11, s1
	v_add_co_u32_e32 v12, vcc, s0, v2
	v_addc_co_u32_e32 v13, vcc, 0, v11, vcc
	flat_load_dword v2, v[12:13] offset:1024
.LBB5296_9:
	;; [unrolled: 12-line block ×7, first 2 shown]
	s_or_b64 exec, exec, s[2:3]
	v_or_b32_e32 v11, 0x400, v0
	v_cmp_gt_u32_e32 vcc, s18, v11
	s_and_saveexec_b64 s[2:3], vcc
	s_cbranch_execz .LBB5296_21
; %bb.20:
	v_lshlrev_b32_e32 v8, 2, v11
	v_mov_b32_e32 v11, s1
	v_add_co_u32_e32 v12, vcc, s0, v8
	v_addc_co_u32_e32 v13, vcc, 0, v11, vcc
	flat_load_dword v8, v[12:13]
.LBB5296_21:
	s_or_b64 exec, exec, s[2:3]
	v_or_b32_e32 v11, 0x480, v0
	v_cmp_gt_u32_e32 vcc, s18, v11
	s_and_saveexec_b64 s[2:3], vcc
	s_cbranch_execz .LBB5296_23
; %bb.22:
	v_lshlrev_b32_e32 v9, 2, v11
	v_mov_b32_e32 v11, s1
	v_add_co_u32_e32 v12, vcc, s0, v9
	v_addc_co_u32_e32 v13, vcc, 0, v11, vcc
	flat_load_dword v9, v[12:13]
.LBB5296_23:
	s_or_b64 exec, exec, s[2:3]
	v_lshlrev_b32_e32 v11, 2, v0
	s_waitcnt vmcnt(0) lgkmcnt(0)
	ds_write2st64_b32 v11, v10, v1 offset1:2
	ds_write2st64_b32 v11, v2, v3 offset0:4 offset1:6
	ds_write2st64_b32 v11, v4, v5 offset0:8 offset1:10
	;; [unrolled: 1-line block ×4, first 2 shown]
	s_waitcnt lgkmcnt(0)
	s_barrier
.LBB5296_24:
	v_mul_u32_u24_e32 v22, 10, v0
	v_lshlrev_b32_e32 v1, 2, v22
	s_waitcnt lgkmcnt(0)
	ds_read2_b64 v[2:5], v1 offset1:1
	ds_read2_b64 v[16:19], v1 offset0:2 offset1:3
	ds_read_b64 v[20:21], v1 offset:32
	s_cmp_lg_u32 s6, 0
	v_lshrrev_b32_e32 v23, 5, v0
	v_cmp_gt_u32_e32 vcc, 64, v0
	s_waitcnt lgkmcnt(0)
	s_barrier
	s_cbranch_scc0 .LBB5296_49
; %bb.25:
	v_add_u32_e32 v6, v3, v2
	v_add3_u32 v6, v6, v4, v5
	v_add3_u32 v6, v6, v16, v17
	;; [unrolled: 1-line block ×4, first 2 shown]
	v_add_lshl_u32 v7, v23, v0, 2
	ds_write_b32 v7, v6
	s_waitcnt lgkmcnt(0)
	s_barrier
	s_and_saveexec_b64 s[2:3], vcc
	s_cbranch_execz .LBB5296_27
; %bb.26:
	v_lshlrev_b32_e32 v7, 1, v0
	v_lshrrev_b32_e32 v8, 4, v0
	v_add_lshl_u32 v7, v8, v7, 2
	ds_read2_b32 v[8:9], v7 offset1:1
	v_mbcnt_lo_u32_b32 v10, -1, 0
	v_mbcnt_hi_u32_b32 v10, -1, v10
	v_and_b32_e32 v11, 15, v10
	v_cmp_ne_u32_e64 s[0:1], 0, v11
	s_waitcnt lgkmcnt(0)
	v_add_u32_e32 v9, v9, v8
	; wave barrier
	s_nop 1
	v_mov_b32_dpp v12, v9 row_shr:1 row_mask:0xf bank_mask:0xf
	v_cndmask_b32_e64 v12, 0, v12, s[0:1]
	v_add_u32_e32 v9, v12, v9
	v_cmp_lt_u32_e64 s[0:1], 1, v11
	s_nop 0
	v_mov_b32_dpp v12, v9 row_shr:2 row_mask:0xf bank_mask:0xf
	v_cndmask_b32_e64 v12, 0, v12, s[0:1]
	v_add_u32_e32 v9, v9, v12
	v_cmp_lt_u32_e64 s[0:1], 3, v11
	;; [unrolled: 5-line block ×3, first 2 shown]
	s_nop 0
	v_mov_b32_dpp v12, v9 row_shr:8 row_mask:0xf bank_mask:0xf
	v_cndmask_b32_e64 v11, 0, v12, s[0:1]
	v_add_u32_e32 v9, v9, v11
	v_bfe_i32 v12, v10, 4, 1
	v_cmp_lt_u32_e64 s[0:1], 31, v10
	v_mov_b32_dpp v11, v9 row_bcast:15 row_mask:0xf bank_mask:0xf
	v_and_b32_e32 v11, v12, v11
	v_add_u32_e32 v9, v9, v11
	v_and_b32_e32 v12, 64, v10
	s_nop 0
	v_mov_b32_dpp v11, v9 row_bcast:31 row_mask:0xf bank_mask:0xf
	v_cndmask_b32_e64 v11, 0, v11, s[0:1]
	v_add_u32_e32 v9, v9, v11
	v_add_u32_e32 v11, -1, v10
	v_cmp_lt_i32_e64 s[0:1], v11, v12
	v_cndmask_b32_e64 v10, v11, v10, s[0:1]
	v_lshlrev_b32_e32 v10, 2, v10
	ds_bpermute_b32 v9, v10, v9
	v_cmp_eq_u32_e64 s[0:1], 0, v0
	s_waitcnt lgkmcnt(0)
	v_add_u32_e32 v8, v9, v8
	v_cndmask_b32_e64 v6, v8, v6, s[0:1]
	ds_write_b32 v7, v6
	; wave barrier
	ds_read_b32 v8, v7 offset:4
	s_waitcnt lgkmcnt(0)
	v_add_u32_e32 v6, v8, v6
	ds_write_b32 v7, v6 offset:4
.LBB5296_27:
	s_or_b64 exec, exec, s[2:3]
	v_cmp_eq_u32_e64 s[0:1], 0, v0
	v_cmp_ne_u32_e64 s[2:3], 0, v0
	v_mov_b32_e32 v24, 0
	s_waitcnt lgkmcnt(0)
	s_barrier
	s_and_saveexec_b64 s[8:9], s[2:3]
	s_cbranch_execz .LBB5296_29
; %bb.28:
	v_add_u32_e32 v6, -1, v0
	v_lshrrev_b32_e32 v7, 5, v6
	v_add_lshl_u32 v6, v7, v6, 2
	ds_read_b32 v24, v6
.LBB5296_29:
	s_or_b64 exec, exec, s[8:9]
	s_and_saveexec_b64 s[8:9], vcc
	s_cbranch_execz .LBB5296_48
; %bb.30:
	v_mov_b32_e32 v13, 0
	ds_read_b32 v6, v13 offset:520
	v_mbcnt_lo_u32_b32 v7, -1, 0
	v_mbcnt_hi_u32_b32 v9, -1, v7
	s_mov_b32 s17, 0
	v_cmp_eq_u32_e64 s[2:3], 0, v9
	s_and_saveexec_b64 s[10:11], s[2:3]
	s_cbranch_execz .LBB5296_32
; %bb.31:
	s_add_i32 s16, s6, 64
	s_lshl_b64 s[16:17], s[16:17], 3
	s_add_u32 s16, s14, s16
	v_mov_b32_e32 v7, 1
	s_addc_u32 s17, s15, s17
	s_waitcnt lgkmcnt(0)
	global_store_dwordx2 v13, v[6:7], s[16:17]
.LBB5296_32:
	s_or_b64 exec, exec, s[10:11]
	v_xad_u32 v8, v9, -1, s6
	v_add_u32_e32 v12, 64, v8
	v_lshlrev_b64 v[10:11], 3, v[12:13]
	v_mov_b32_e32 v7, s15
	v_add_co_u32_e32 v14, vcc, s14, v10
	v_addc_co_u32_e32 v15, vcc, v7, v11, vcc
	global_load_dwordx2 v[10:11], v[14:15], off glc
	s_waitcnt vmcnt(0)
	v_cmp_eq_u16_sdwa s[16:17], v11, v13 src0_sel:BYTE_0 src1_sel:DWORD
	s_and_saveexec_b64 s[10:11], s[16:17]
	s_cbranch_execz .LBB5296_36
; %bb.33:
	s_mov_b64 s[16:17], 0
	v_mov_b32_e32 v7, 0
.LBB5296_34:                            ; =>This Inner Loop Header: Depth=1
	global_load_dwordx2 v[10:11], v[14:15], off glc
	s_waitcnt vmcnt(0)
	v_cmp_ne_u16_sdwa s[20:21], v11, v7 src0_sel:BYTE_0 src1_sel:DWORD
	s_or_b64 s[16:17], s[20:21], s[16:17]
	s_andn2_b64 exec, exec, s[16:17]
	s_cbranch_execnz .LBB5296_34
; %bb.35:
	s_or_b64 exec, exec, s[16:17]
.LBB5296_36:
	s_or_b64 exec, exec, s[10:11]
	v_and_b32_e32 v25, 63, v9
	v_mov_b32_e32 v7, 2
	v_cmp_ne_u32_e32 vcc, 63, v25
	v_cmp_eq_u16_sdwa s[10:11], v11, v7 src0_sel:BYTE_0 src1_sel:DWORD
	v_lshlrev_b64 v[12:13], v9, -1
	v_addc_co_u32_e32 v26, vcc, 0, v9, vcc
	v_and_b32_e32 v14, s11, v13
	v_lshlrev_b32_e32 v26, 2, v26
	v_or_b32_e32 v14, 0x80000000, v14
	ds_bpermute_b32 v27, v26, v10
	v_and_b32_e32 v15, s10, v12
	v_ffbl_b32_e32 v14, v14
	v_add_u32_e32 v14, 32, v14
	v_ffbl_b32_e32 v15, v15
	v_min_u32_e32 v14, v15, v14
	v_cmp_lt_u32_e32 vcc, v25, v14
	s_waitcnt lgkmcnt(0)
	v_cndmask_b32_e32 v15, 0, v27, vcc
	v_cmp_gt_u32_e32 vcc, 62, v25
	v_add_u32_e32 v10, v15, v10
	v_cndmask_b32_e64 v15, 0, 1, vcc
	v_lshlrev_b32_e32 v15, 1, v15
	v_add_lshl_u32 v27, v15, v9, 2
	ds_bpermute_b32 v15, v27, v10
	v_add_u32_e32 v28, 2, v25
	v_cmp_le_u32_e32 vcc, v28, v14
	v_add_u32_e32 v30, 4, v25
	v_add_u32_e32 v32, 8, v25
	s_waitcnt lgkmcnt(0)
	v_cndmask_b32_e32 v15, 0, v15, vcc
	v_cmp_gt_u32_e32 vcc, 60, v25
	v_add_u32_e32 v10, v10, v15
	v_cndmask_b32_e64 v15, 0, 1, vcc
	v_lshlrev_b32_e32 v15, 2, v15
	v_add_lshl_u32 v29, v15, v9, 2
	ds_bpermute_b32 v15, v29, v10
	v_cmp_le_u32_e32 vcc, v30, v14
	v_add_u32_e32 v35, 16, v25
	v_add_u32_e32 v37, 32, v25
	s_waitcnt lgkmcnt(0)
	v_cndmask_b32_e32 v15, 0, v15, vcc
	v_cmp_gt_u32_e32 vcc, 56, v25
	v_add_u32_e32 v10, v10, v15
	v_cndmask_b32_e64 v15, 0, 1, vcc
	v_lshlrev_b32_e32 v15, 3, v15
	v_add_lshl_u32 v31, v15, v9, 2
	ds_bpermute_b32 v15, v31, v10
	v_cmp_le_u32_e32 vcc, v32, v14
	s_waitcnt lgkmcnt(0)
	v_cndmask_b32_e32 v15, 0, v15, vcc
	v_cmp_gt_u32_e32 vcc, 48, v25
	v_add_u32_e32 v10, v10, v15
	v_cndmask_b32_e64 v15, 0, 1, vcc
	v_lshlrev_b32_e32 v15, 4, v15
	v_add_lshl_u32 v34, v15, v9, 2
	ds_bpermute_b32 v15, v34, v10
	v_cmp_le_u32_e32 vcc, v35, v14
	;; [unrolled: 9-line block ×3, first 2 shown]
	s_waitcnt lgkmcnt(0)
	v_cndmask_b32_e32 v9, 0, v9, vcc
	v_add_u32_e32 v10, v10, v9
	v_mov_b32_e32 v9, 0
	s_branch .LBB5296_38
.LBB5296_37:                            ;   in Loop: Header=BB5296_38 Depth=1
	s_or_b64 exec, exec, s[10:11]
	v_cmp_eq_u16_sdwa s[10:11], v11, v7 src0_sel:BYTE_0 src1_sel:DWORD
	v_and_b32_e32 v14, s11, v13
	v_or_b32_e32 v14, 0x80000000, v14
	ds_bpermute_b32 v38, v26, v10
	v_and_b32_e32 v15, s10, v12
	v_ffbl_b32_e32 v14, v14
	v_add_u32_e32 v14, 32, v14
	v_ffbl_b32_e32 v15, v15
	v_min_u32_e32 v14, v15, v14
	v_cmp_lt_u32_e32 vcc, v25, v14
	s_waitcnt lgkmcnt(0)
	v_cndmask_b32_e32 v15, 0, v38, vcc
	v_add_u32_e32 v10, v15, v10
	ds_bpermute_b32 v15, v27, v10
	v_cmp_le_u32_e32 vcc, v28, v14
	v_subrev_u32_e32 v8, 64, v8
	s_waitcnt lgkmcnt(0)
	v_cndmask_b32_e32 v15, 0, v15, vcc
	v_add_u32_e32 v10, v10, v15
	ds_bpermute_b32 v15, v29, v10
	v_cmp_le_u32_e32 vcc, v30, v14
	s_waitcnt lgkmcnt(0)
	v_cndmask_b32_e32 v15, 0, v15, vcc
	v_add_u32_e32 v10, v10, v15
	ds_bpermute_b32 v15, v31, v10
	v_cmp_le_u32_e32 vcc, v32, v14
	;; [unrolled: 5-line block ×4, first 2 shown]
	s_waitcnt lgkmcnt(0)
	v_cndmask_b32_e32 v14, 0, v15, vcc
	v_add3_u32 v10, v14, v33, v10
.LBB5296_38:                            ; =>This Loop Header: Depth=1
                                        ;     Child Loop BB5296_41 Depth 2
	v_cmp_ne_u16_sdwa s[10:11], v11, v7 src0_sel:BYTE_0 src1_sel:DWORD
	v_cndmask_b32_e64 v11, 0, 1, s[10:11]
	;;#ASMSTART
	;;#ASMEND
	v_cmp_ne_u32_e32 vcc, 0, v11
	s_cmp_lg_u64 vcc, exec
	v_mov_b32_e32 v33, v10
	s_cbranch_scc1 .LBB5296_43
; %bb.39:                               ;   in Loop: Header=BB5296_38 Depth=1
	v_lshlrev_b64 v[10:11], 3, v[8:9]
	v_mov_b32_e32 v15, s15
	v_add_co_u32_e32 v14, vcc, s14, v10
	v_addc_co_u32_e32 v15, vcc, v15, v11, vcc
	global_load_dwordx2 v[10:11], v[14:15], off glc
	s_waitcnt vmcnt(0)
	v_cmp_eq_u16_sdwa s[16:17], v11, v9 src0_sel:BYTE_0 src1_sel:DWORD
	s_and_saveexec_b64 s[10:11], s[16:17]
	s_cbranch_execz .LBB5296_37
; %bb.40:                               ;   in Loop: Header=BB5296_38 Depth=1
	s_mov_b64 s[16:17], 0
.LBB5296_41:                            ;   Parent Loop BB5296_38 Depth=1
                                        ; =>  This Inner Loop Header: Depth=2
	global_load_dwordx2 v[10:11], v[14:15], off glc
	s_waitcnt vmcnt(0)
	v_cmp_ne_u16_sdwa s[20:21], v11, v9 src0_sel:BYTE_0 src1_sel:DWORD
	s_or_b64 s[16:17], s[20:21], s[16:17]
	s_andn2_b64 exec, exec, s[16:17]
	s_cbranch_execnz .LBB5296_41
; %bb.42:                               ;   in Loop: Header=BB5296_38 Depth=1
	s_or_b64 exec, exec, s[16:17]
	s_branch .LBB5296_37
.LBB5296_43:                            ;   in Loop: Header=BB5296_38 Depth=1
                                        ; implicit-def: $vgpr10
                                        ; implicit-def: $vgpr11
	s_cbranch_execz .LBB5296_38
; %bb.44:
	s_and_saveexec_b64 s[10:11], s[2:3]
	s_cbranch_execz .LBB5296_46
; %bb.45:
	s_add_i32 s2, s6, 64
	s_mov_b32 s3, 0
	s_lshl_b64 s[2:3], s[2:3], 3
	s_add_u32 s2, s14, s2
	v_add_u32_e32 v6, v33, v6
	v_mov_b32_e32 v7, 2
	s_addc_u32 s3, s15, s3
	v_mov_b32_e32 v8, 0
	global_store_dwordx2 v8, v[6:7], s[2:3]
.LBB5296_46:
	s_or_b64 exec, exec, s[10:11]
	s_and_b64 exec, exec, s[0:1]
	s_cbranch_execz .LBB5296_48
; %bb.47:
	v_mov_b32_e32 v6, 0
	ds_write_b32 v6, v33
.LBB5296_48:
	s_or_b64 exec, exec, s[8:9]
	v_mov_b32_e32 v6, 0
	s_waitcnt lgkmcnt(0)
	s_barrier
	ds_read_b32 v6, v6
	s_waitcnt lgkmcnt(0)
	v_add3_u32 v6, v24, v2, v6
	v_add_u32_e32 v7, v6, v3
	v_add_u32_e32 v8, v7, v4
	;; [unrolled: 1-line block ×9, first 2 shown]
	s_load_dwordx8 s[4:11], s[4:5], 0x40
	s_branch .LBB5296_61
.LBB5296_49:
                                        ; implicit-def: $vgpr6_vgpr7_vgpr8_vgpr9_vgpr10_vgpr11_vgpr12_vgpr13_vgpr14_vgpr15
	s_load_dwordx8 s[4:11], s[4:5], 0x40
	s_cbranch_execz .LBB5296_61
; %bb.50:
	s_waitcnt lgkmcnt(0)
	s_cmp_lg_u64 s[8:9], 0
	s_cselect_b64 s[2:3], -1, 0
	v_cmp_eq_u32_e64 s[0:1], 0, v0
	v_cmp_ne_u32_e32 vcc, 0, v0
	s_and_b64 s[8:9], s[0:1], s[2:3]
	v_mov_b32_e32 v12, v3
	v_mov_b32_e32 v13, v4
	;; [unrolled: 1-line block ×3, first 2 shown]
	s_and_saveexec_b64 s[2:3], s[8:9]
	s_cbranch_execz .LBB5296_52
; %bb.51:
	v_mov_b32_e32 v6, 0
	global_load_dword v6, v6, s[4:5]
	v_mov_b32_e32 v12, v3
	v_mov_b32_e32 v13, v4
	;; [unrolled: 1-line block ×3, first 2 shown]
	s_waitcnt vmcnt(0)
	v_add_u32_e32 v2, v6, v2
.LBB5296_52:
	s_or_b64 exec, exec, s[2:3]
	v_add_u32_e32 v3, v12, v2
	v_add_u32_e32 v4, v3, v13
	;; [unrolled: 1-line block ×9, first 2 shown]
	v_add_lshl_u32 v15, v23, v0, 2
	v_cmp_gt_u32_e64 s[2:3], 64, v0
	ds_write_b32 v15, v11
	s_waitcnt lgkmcnt(0)
	s_barrier
	s_and_saveexec_b64 s[4:5], s[2:3]
	s_cbranch_execz .LBB5296_54
; %bb.53:
	v_lshlrev_b32_e32 v15, 1, v0
	v_lshrrev_b32_e32 v23, 4, v0
	v_add_lshl_u32 v15, v23, v15, 2
	ds_read2_b32 v[24:25], v15 offset1:1
	v_mbcnt_lo_u32_b32 v23, -1, 0
	v_mbcnt_hi_u32_b32 v23, -1, v23
	v_and_b32_e32 v26, 15, v23
	v_cmp_ne_u32_e64 s[2:3], 0, v26
	s_waitcnt lgkmcnt(0)
	v_add_u32_e32 v25, v25, v24
	; wave barrier
	s_nop 1
	v_mov_b32_dpp v27, v25 row_shr:1 row_mask:0xf bank_mask:0xf
	v_cndmask_b32_e64 v27, 0, v27, s[2:3]
	v_add_u32_e32 v25, v27, v25
	v_cmp_lt_u32_e64 s[2:3], 1, v26
	s_nop 0
	v_mov_b32_dpp v27, v25 row_shr:2 row_mask:0xf bank_mask:0xf
	v_cndmask_b32_e64 v27, 0, v27, s[2:3]
	v_add_u32_e32 v25, v25, v27
	v_cmp_lt_u32_e64 s[2:3], 3, v26
	;; [unrolled: 5-line block ×3, first 2 shown]
	s_nop 0
	v_mov_b32_dpp v27, v25 row_shr:8 row_mask:0xf bank_mask:0xf
	v_cndmask_b32_e64 v26, 0, v27, s[2:3]
	v_add_u32_e32 v25, v25, v26
	v_bfe_i32 v27, v23, 4, 1
	v_cmp_lt_u32_e64 s[2:3], 31, v23
	v_mov_b32_dpp v26, v25 row_bcast:15 row_mask:0xf bank_mask:0xf
	v_and_b32_e32 v26, v27, v26
	v_add_u32_e32 v25, v25, v26
	v_and_b32_e32 v27, 64, v23
	s_nop 0
	v_mov_b32_dpp v26, v25 row_bcast:31 row_mask:0xf bank_mask:0xf
	v_cndmask_b32_e64 v26, 0, v26, s[2:3]
	v_add_u32_e32 v25, v25, v26
	v_add_u32_e32 v26, -1, v23
	v_cmp_lt_i32_e64 s[2:3], v26, v27
	v_cndmask_b32_e64 v23, v26, v23, s[2:3]
	v_lshlrev_b32_e32 v23, 2, v23
	ds_bpermute_b32 v23, v23, v25
	s_waitcnt lgkmcnt(0)
	v_add_u32_e32 v23, v23, v24
	v_cndmask_b32_e64 v23, v23, v11, s[0:1]
	ds_write_b32 v15, v23
	; wave barrier
	ds_read_b32 v24, v15 offset:4
	s_waitcnt lgkmcnt(0)
	v_add_u32_e32 v23, v24, v23
	ds_write_b32 v15, v23 offset:4
.LBB5296_54:
	s_or_b64 exec, exec, s[4:5]
	v_mov_b32_e32 v15, v11
	s_waitcnt lgkmcnt(0)
	s_barrier
	s_and_saveexec_b64 s[0:1], vcc
	s_cbranch_execz .LBB5296_56
; %bb.55:
	v_add_u32_e32 v15, -1, v0
	v_lshrrev_b32_e32 v23, 5, v15
	v_add_lshl_u32 v15, v23, v15, 2
	ds_read_b32 v15, v15
.LBB5296_56:
	s_or_b64 exec, exec, s[0:1]
	s_and_saveexec_b64 s[0:1], vcc
	s_cbranch_execz .LBB5296_58
; %bb.57:
	s_waitcnt lgkmcnt(0)
	v_add_u32_e32 v2, v15, v2
	v_add_u32_e32 v3, v2, v12
	;; [unrolled: 1-line block ×10, first 2 shown]
	;;#ASMSTART
	;;#ASMEND
.LBB5296_58:
	s_or_b64 exec, exec, s[0:1]
	s_movk_i32 s0, 0x7f
	v_cmp_eq_u32_e32 vcc, s0, v0
	s_and_saveexec_b64 s[0:1], vcc
	s_cbranch_execz .LBB5296_60
; %bb.59:
	v_mov_b32_e32 v14, 0
	v_mov_b32_e32 v13, 2
	;; [unrolled: 1-line block ×3, first 2 shown]
	global_store_dwordx2 v14, v[12:13], s[14:15] offset:512
.LBB5296_60:
	s_or_b64 exec, exec, s[0:1]
	s_waitcnt lgkmcnt(0)
	v_pk_mov_b32 v[14:15], v[10:11], v[10:11] op_sel:[0,1]
	v_pk_mov_b32 v[12:13], v[8:9], v[8:9] op_sel:[0,1]
	;; [unrolled: 1-line block ×5, first 2 shown]
.LBB5296_61:
	s_mov_b64 s[0:1], -1
	s_and_b64 vcc, exec, s[12:13]
	s_waitcnt lgkmcnt(0)
	s_barrier
	ds_write2_b64 v1, v[6:7], v[8:9] offset1:1
	ds_write2_b64 v1, v[10:11], v[12:13] offset0:2 offset1:3
	ds_write_b64 v1, v[14:15] offset:32
	s_waitcnt lgkmcnt(0)
	s_cbranch_vccz .LBB5296_63
; %bb.62:
	s_barrier
	s_mov_b64 s[0:1], 0
.LBB5296_63:
	s_andn2_b64 vcc, exec, s[0:1]
	s_cbranch_vccnz .LBB5296_99
; %bb.64:
	v_cmp_lt_u64_e64 s[0:1], s[10:11], 2
	s_and_b64 vcc, exec, s[0:1]
	s_barrier
	s_cbranch_vccnz .LBB5296_99
; %bb.65:
	s_add_u32 s0, s18, -1
	s_addc_u32 s1, s19, -1
	s_add_u32 s2, 0, 0x99986000
	s_addc_u32 s3, 0, 0x59
	s_add_i32 s3, s3, 0x19999940
	s_mul_hi_u32 s9, s2, -10
	s_sub_i32 s9, s9, s2
	s_mul_i32 s10, s3, -10
	s_mul_i32 s4, s2, -10
	s_add_i32 s9, s9, s10
	s_mul_hi_u32 s5, s3, s4
	s_mul_i32 s8, s3, s4
	s_mul_i32 s11, s2, s9
	s_mul_hi_u32 s4, s2, s4
	s_mul_hi_u32 s10, s2, s9
	s_add_u32 s4, s4, s11
	s_addc_u32 s10, 0, s10
	s_add_u32 s4, s4, s8
	s_mul_hi_u32 s11, s3, s9
	s_addc_u32 s4, s10, s5
	s_addc_u32 s5, s11, 0
	s_mul_i32 s8, s3, s9
	s_add_u32 s4, s4, s8
	v_mov_b32_e32 v2, s4
	s_addc_u32 s5, 0, s5
	v_add_co_u32_e32 v2, vcc, s2, v2
	s_cmp_lg_u64 vcc, 0
	s_addc_u32 s2, s3, s5
	v_readfirstlane_b32 s5, v2
	s_mul_i32 s4, s0, s2
	s_mul_hi_u32 s8, s0, s5
	s_mul_hi_u32 s3, s0, s2
	s_add_u32 s4, s8, s4
	s_addc_u32 s3, 0, s3
	s_mul_hi_u32 s9, s1, s5
	s_mul_i32 s5, s1, s5
	s_add_u32 s4, s4, s5
	s_mul_hi_u32 s8, s1, s2
	s_addc_u32 s3, s3, s9
	s_addc_u32 s4, s8, 0
	s_mul_i32 s2, s1, s2
	s_add_u32 s2, s3, s2
	s_addc_u32 s3, 0, s4
	s_add_u32 s4, s2, 1
	s_addc_u32 s5, s3, 0
	s_add_u32 s8, s2, 2
	s_mul_i32 s10, s3, 10
	s_mul_hi_u32 s11, s2, 10
	s_addc_u32 s9, s3, 0
	s_add_i32 s11, s11, s10
	s_mul_i32 s10, s2, 10
	v_mov_b32_e32 v2, s10
	v_sub_co_u32_e32 v2, vcc, s0, v2
	s_cmp_lg_u64 vcc, 0
	s_subb_u32 s10, s1, s11
	v_subrev_co_u32_e32 v3, vcc, 10, v2
	s_cmp_lg_u64 vcc, 0
	s_subb_u32 s11, s10, 0
	v_readfirstlane_b32 s12, v3
	s_cmp_gt_u32 s12, 9
	s_cselect_b32 s12, -1, 0
	s_cmp_eq_u32 s11, 0
	s_cselect_b32 s11, s12, -1
	s_cmp_lg_u32 s11, 0
	s_cselect_b32 s4, s8, s4
	v_readfirstlane_b32 s8, v2
	s_cselect_b32 s5, s9, s5
	s_cmp_gt_u32 s8, 9
	s_cselect_b32 s8, -1, 0
	s_cmp_eq_u32 s10, 0
	s_cselect_b32 s8, s8, -1
	s_cmp_lg_u32 s8, 0
	v_mov_b32_e32 v1, 0
	s_cselect_b32 s3, s5, s3
	s_cselect_b32 s2, s4, s2
	v_cmp_eq_u64_e32 vcc, s[2:3], v[0:1]
	s_and_saveexec_b64 s[2:3], vcc
	s_cbranch_execz .LBB5296_99
; %bb.66:
	v_lshlrev_b32_e32 v2, 2, v0
	v_mul_hi_u32_u24_e32 v1, 10, v0
	v_mov_b32_e32 v3, s1
	v_sub_co_u32_e32 v0, vcc, s0, v22
	v_subb_co_u32_e32 v1, vcc, v3, v1, vcc
	v_cmp_lt_i64_e32 vcc, 4, v[0:1]
	s_and_saveexec_b64 s[0:1], vcc
	s_xor_b64 s[0:1], exec, s[0:1]
	s_cbranch_execz .LBB5296_84
; %bb.67:
	v_cmp_lt_i64_e32 vcc, 6, v[0:1]
	s_and_saveexec_b64 s[2:3], vcc
	s_xor_b64 s[2:3], exec, s[2:3]
	s_cbranch_execz .LBB5296_77
; %bb.68:
	;; [unrolled: 5-line block ×4, first 2 shown]
	ds_read_b32 v0, v2 offset:4608
	v_mov_b32_e32 v1, 0
                                        ; implicit-def: $vgpr2
	s_waitcnt lgkmcnt(0)
	global_store_dword v1, v0, s[6:7]
.LBB5296_71:
	s_andn2_saveexec_b64 s[8:9], s[8:9]
	s_cbranch_execz .LBB5296_73
; %bb.72:
	ds_read_b32 v0, v2 offset:4096
	v_mov_b32_e32 v1, 0
	s_waitcnt lgkmcnt(0)
	global_store_dword v1, v0, s[6:7]
.LBB5296_73:
	s_or_b64 exec, exec, s[8:9]
                                        ; implicit-def: $vgpr2
.LBB5296_74:
	s_andn2_saveexec_b64 s[4:5], s[4:5]
	s_cbranch_execz .LBB5296_76
; %bb.75:
	ds_read_b32 v0, v2 offset:3584
	v_mov_b32_e32 v1, 0
	s_waitcnt lgkmcnt(0)
	global_store_dword v1, v0, s[6:7]
.LBB5296_76:
	s_or_b64 exec, exec, s[4:5]
                                        ; implicit-def: $vgpr2
                                        ; implicit-def: $vgpr0_vgpr1
.LBB5296_77:
	s_andn2_saveexec_b64 s[2:3], s[2:3]
	s_cbranch_execz .LBB5296_83
; %bb.78:
	v_cmp_lt_i64_e32 vcc, 5, v[0:1]
	s_and_saveexec_b64 s[4:5], vcc
	s_xor_b64 s[4:5], exec, s[4:5]
	s_cbranch_execz .LBB5296_80
; %bb.79:
	ds_read_b32 v0, v2 offset:3072
	v_mov_b32_e32 v1, 0
                                        ; implicit-def: $vgpr2
	s_waitcnt lgkmcnt(0)
	global_store_dword v1, v0, s[6:7]
.LBB5296_80:
	s_andn2_saveexec_b64 s[4:5], s[4:5]
	s_cbranch_execz .LBB5296_82
; %bb.81:
	ds_read_b32 v0, v2 offset:2560
	v_mov_b32_e32 v1, 0
	s_waitcnt lgkmcnt(0)
	global_store_dword v1, v0, s[6:7]
.LBB5296_82:
	s_or_b64 exec, exec, s[4:5]
.LBB5296_83:
	s_or_b64 exec, exec, s[2:3]
                                        ; implicit-def: $vgpr0_vgpr1
                                        ; implicit-def: $vgpr2
.LBB5296_84:
	s_andn2_saveexec_b64 s[0:1], s[0:1]
	s_cbranch_execz .LBB5296_99
; %bb.85:
	v_cmp_lt_i64_e32 vcc, 2, v[0:1]
	s_and_saveexec_b64 s[0:1], vcc
	s_xor_b64 s[0:1], exec, s[0:1]
	s_cbranch_execz .LBB5296_91
; %bb.86:
	v_cmp_lt_i64_e32 vcc, 3, v[0:1]
	s_and_saveexec_b64 s[2:3], vcc
	s_xor_b64 s[2:3], exec, s[2:3]
	s_cbranch_execz .LBB5296_88
; %bb.87:
	ds_read_b32 v0, v2 offset:2048
	v_mov_b32_e32 v1, 0
                                        ; implicit-def: $vgpr2
	s_waitcnt lgkmcnt(0)
	global_store_dword v1, v0, s[6:7]
.LBB5296_88:
	s_andn2_saveexec_b64 s[2:3], s[2:3]
	s_cbranch_execz .LBB5296_90
; %bb.89:
	ds_read_b32 v0, v2 offset:1536
	v_mov_b32_e32 v1, 0
	s_waitcnt lgkmcnt(0)
	global_store_dword v1, v0, s[6:7]
.LBB5296_90:
	s_or_b64 exec, exec, s[2:3]
                                        ; implicit-def: $vgpr0_vgpr1
                                        ; implicit-def: $vgpr2
.LBB5296_91:
	s_andn2_saveexec_b64 s[0:1], s[0:1]
	s_cbranch_execz .LBB5296_99
; %bb.92:
	v_cmp_lt_i64_e32 vcc, 1, v[0:1]
	s_and_saveexec_b64 s[0:1], vcc
	s_xor_b64 s[0:1], exec, s[0:1]
	s_cbranch_execz .LBB5296_94
; %bb.93:
	ds_read_b32 v0, v2 offset:1024
	v_mov_b32_e32 v1, 0
                                        ; implicit-def: $vgpr2
	s_waitcnt lgkmcnt(0)
	global_store_dword v1, v0, s[6:7]
                                        ; implicit-def: $vgpr0_vgpr1
.LBB5296_94:
	s_andn2_saveexec_b64 s[0:1], s[0:1]
	s_cbranch_execz .LBB5296_99
; %bb.95:
	v_cmp_ne_u64_e32 vcc, 1, v[0:1]
	s_and_saveexec_b64 s[0:1], vcc
	s_xor_b64 s[0:1], exec, s[0:1]
	s_cbranch_execz .LBB5296_97
; %bb.96:
	ds_read_b32 v0, v2
	v_mov_b32_e32 v1, 0
                                        ; implicit-def: $vgpr2
	s_waitcnt lgkmcnt(0)
	global_store_dword v1, v0, s[6:7]
.LBB5296_97:
	s_andn2_saveexec_b64 s[0:1], s[0:1]
	s_cbranch_execz .LBB5296_99
; %bb.98:
	ds_read_b32 v0, v2 offset:512
	v_mov_b32_e32 v1, 0
	s_waitcnt lgkmcnt(0)
	global_store_dword v1, v0, s[6:7]
.LBB5296_99:
	s_endpgm
	.section	.rodata,"a",@progbits
	.p2align	6, 0x0
	.amdhsa_kernel _ZN7rocprim17ROCPRIM_400000_NS6detail17trampoline_kernelINS0_14default_configENS1_20scan_config_selectorIjEEZZNS1_9scan_implILNS1_25lookback_scan_determinismE0ELb0ELb0ES3_N6thrust23THRUST_200600_302600_NS6detail15normal_iteratorINS9_10device_ptrIjEEEENS9_16discard_iteratorINS9_11use_defaultEEEjNS9_4plusIvEEjEEDaPvRmT3_T4_T5_mT6_P12ihipStream_tbENKUlT_T0_E_clISt17integral_constantIbLb0EESX_EEDaSS_ST_EUlSS_E_NS1_11comp_targetILNS1_3genE4ELNS1_11target_archE910ELNS1_3gpuE8ELNS1_3repE0EEENS1_30default_config_static_selectorELNS0_4arch9wavefront6targetE1EEEvT1_
		.amdhsa_group_segment_fixed_size 5120
		.amdhsa_private_segment_fixed_size 0
		.amdhsa_kernarg_size 104
		.amdhsa_user_sgpr_count 6
		.amdhsa_user_sgpr_private_segment_buffer 1
		.amdhsa_user_sgpr_dispatch_ptr 0
		.amdhsa_user_sgpr_queue_ptr 0
		.amdhsa_user_sgpr_kernarg_segment_ptr 1
		.amdhsa_user_sgpr_dispatch_id 0
		.amdhsa_user_sgpr_flat_scratch_init 0
		.amdhsa_user_sgpr_kernarg_preload_length 0
		.amdhsa_user_sgpr_kernarg_preload_offset 0
		.amdhsa_user_sgpr_private_segment_size 0
		.amdhsa_uses_dynamic_stack 0
		.amdhsa_system_sgpr_private_segment_wavefront_offset 0
		.amdhsa_system_sgpr_workgroup_id_x 1
		.amdhsa_system_sgpr_workgroup_id_y 0
		.amdhsa_system_sgpr_workgroup_id_z 0
		.amdhsa_system_sgpr_workgroup_info 0
		.amdhsa_system_vgpr_workitem_id 0
		.amdhsa_next_free_vgpr 39
		.amdhsa_next_free_sgpr 22
		.amdhsa_accum_offset 40
		.amdhsa_reserve_vcc 1
		.amdhsa_reserve_flat_scratch 0
		.amdhsa_float_round_mode_32 0
		.amdhsa_float_round_mode_16_64 0
		.amdhsa_float_denorm_mode_32 3
		.amdhsa_float_denorm_mode_16_64 3
		.amdhsa_dx10_clamp 1
		.amdhsa_ieee_mode 1
		.amdhsa_fp16_overflow 0
		.amdhsa_tg_split 0
		.amdhsa_exception_fp_ieee_invalid_op 0
		.amdhsa_exception_fp_denorm_src 0
		.amdhsa_exception_fp_ieee_div_zero 0
		.amdhsa_exception_fp_ieee_overflow 0
		.amdhsa_exception_fp_ieee_underflow 0
		.amdhsa_exception_fp_ieee_inexact 0
		.amdhsa_exception_int_div_zero 0
	.end_amdhsa_kernel
	.section	.text._ZN7rocprim17ROCPRIM_400000_NS6detail17trampoline_kernelINS0_14default_configENS1_20scan_config_selectorIjEEZZNS1_9scan_implILNS1_25lookback_scan_determinismE0ELb0ELb0ES3_N6thrust23THRUST_200600_302600_NS6detail15normal_iteratorINS9_10device_ptrIjEEEENS9_16discard_iteratorINS9_11use_defaultEEEjNS9_4plusIvEEjEEDaPvRmT3_T4_T5_mT6_P12ihipStream_tbENKUlT_T0_E_clISt17integral_constantIbLb0EESX_EEDaSS_ST_EUlSS_E_NS1_11comp_targetILNS1_3genE4ELNS1_11target_archE910ELNS1_3gpuE8ELNS1_3repE0EEENS1_30default_config_static_selectorELNS0_4arch9wavefront6targetE1EEEvT1_,"axG",@progbits,_ZN7rocprim17ROCPRIM_400000_NS6detail17trampoline_kernelINS0_14default_configENS1_20scan_config_selectorIjEEZZNS1_9scan_implILNS1_25lookback_scan_determinismE0ELb0ELb0ES3_N6thrust23THRUST_200600_302600_NS6detail15normal_iteratorINS9_10device_ptrIjEEEENS9_16discard_iteratorINS9_11use_defaultEEEjNS9_4plusIvEEjEEDaPvRmT3_T4_T5_mT6_P12ihipStream_tbENKUlT_T0_E_clISt17integral_constantIbLb0EESX_EEDaSS_ST_EUlSS_E_NS1_11comp_targetILNS1_3genE4ELNS1_11target_archE910ELNS1_3gpuE8ELNS1_3repE0EEENS1_30default_config_static_selectorELNS0_4arch9wavefront6targetE1EEEvT1_,comdat
.Lfunc_end5296:
	.size	_ZN7rocprim17ROCPRIM_400000_NS6detail17trampoline_kernelINS0_14default_configENS1_20scan_config_selectorIjEEZZNS1_9scan_implILNS1_25lookback_scan_determinismE0ELb0ELb0ES3_N6thrust23THRUST_200600_302600_NS6detail15normal_iteratorINS9_10device_ptrIjEEEENS9_16discard_iteratorINS9_11use_defaultEEEjNS9_4plusIvEEjEEDaPvRmT3_T4_T5_mT6_P12ihipStream_tbENKUlT_T0_E_clISt17integral_constantIbLb0EESX_EEDaSS_ST_EUlSS_E_NS1_11comp_targetILNS1_3genE4ELNS1_11target_archE910ELNS1_3gpuE8ELNS1_3repE0EEENS1_30default_config_static_selectorELNS0_4arch9wavefront6targetE1EEEvT1_, .Lfunc_end5296-_ZN7rocprim17ROCPRIM_400000_NS6detail17trampoline_kernelINS0_14default_configENS1_20scan_config_selectorIjEEZZNS1_9scan_implILNS1_25lookback_scan_determinismE0ELb0ELb0ES3_N6thrust23THRUST_200600_302600_NS6detail15normal_iteratorINS9_10device_ptrIjEEEENS9_16discard_iteratorINS9_11use_defaultEEEjNS9_4plusIvEEjEEDaPvRmT3_T4_T5_mT6_P12ihipStream_tbENKUlT_T0_E_clISt17integral_constantIbLb0EESX_EEDaSS_ST_EUlSS_E_NS1_11comp_targetILNS1_3genE4ELNS1_11target_archE910ELNS1_3gpuE8ELNS1_3repE0EEENS1_30default_config_static_selectorELNS0_4arch9wavefront6targetE1EEEvT1_
                                        ; -- End function
	.section	.AMDGPU.csdata,"",@progbits
; Kernel info:
; codeLenInByte = 4024
; NumSgprs: 26
; NumVgprs: 39
; NumAgprs: 0
; TotalNumVgprs: 39
; ScratchSize: 0
; MemoryBound: 0
; FloatMode: 240
; IeeeMode: 1
; LDSByteSize: 5120 bytes/workgroup (compile time only)
; SGPRBlocks: 3
; VGPRBlocks: 4
; NumSGPRsForWavesPerEU: 26
; NumVGPRsForWavesPerEU: 39
; AccumOffset: 40
; Occupancy: 6
; WaveLimiterHint : 1
; COMPUTE_PGM_RSRC2:SCRATCH_EN: 0
; COMPUTE_PGM_RSRC2:USER_SGPR: 6
; COMPUTE_PGM_RSRC2:TRAP_HANDLER: 0
; COMPUTE_PGM_RSRC2:TGID_X_EN: 1
; COMPUTE_PGM_RSRC2:TGID_Y_EN: 0
; COMPUTE_PGM_RSRC2:TGID_Z_EN: 0
; COMPUTE_PGM_RSRC2:TIDIG_COMP_CNT: 0
; COMPUTE_PGM_RSRC3_GFX90A:ACCUM_OFFSET: 9
; COMPUTE_PGM_RSRC3_GFX90A:TG_SPLIT: 0
	.section	.text._ZN7rocprim17ROCPRIM_400000_NS6detail17trampoline_kernelINS0_14default_configENS1_20scan_config_selectorIjEEZZNS1_9scan_implILNS1_25lookback_scan_determinismE0ELb0ELb0ES3_N6thrust23THRUST_200600_302600_NS6detail15normal_iteratorINS9_10device_ptrIjEEEENS9_16discard_iteratorINS9_11use_defaultEEEjNS9_4plusIvEEjEEDaPvRmT3_T4_T5_mT6_P12ihipStream_tbENKUlT_T0_E_clISt17integral_constantIbLb0EESX_EEDaSS_ST_EUlSS_E_NS1_11comp_targetILNS1_3genE3ELNS1_11target_archE908ELNS1_3gpuE7ELNS1_3repE0EEENS1_30default_config_static_selectorELNS0_4arch9wavefront6targetE1EEEvT1_,"axG",@progbits,_ZN7rocprim17ROCPRIM_400000_NS6detail17trampoline_kernelINS0_14default_configENS1_20scan_config_selectorIjEEZZNS1_9scan_implILNS1_25lookback_scan_determinismE0ELb0ELb0ES3_N6thrust23THRUST_200600_302600_NS6detail15normal_iteratorINS9_10device_ptrIjEEEENS9_16discard_iteratorINS9_11use_defaultEEEjNS9_4plusIvEEjEEDaPvRmT3_T4_T5_mT6_P12ihipStream_tbENKUlT_T0_E_clISt17integral_constantIbLb0EESX_EEDaSS_ST_EUlSS_E_NS1_11comp_targetILNS1_3genE3ELNS1_11target_archE908ELNS1_3gpuE7ELNS1_3repE0EEENS1_30default_config_static_selectorELNS0_4arch9wavefront6targetE1EEEvT1_,comdat
	.protected	_ZN7rocprim17ROCPRIM_400000_NS6detail17trampoline_kernelINS0_14default_configENS1_20scan_config_selectorIjEEZZNS1_9scan_implILNS1_25lookback_scan_determinismE0ELb0ELb0ES3_N6thrust23THRUST_200600_302600_NS6detail15normal_iteratorINS9_10device_ptrIjEEEENS9_16discard_iteratorINS9_11use_defaultEEEjNS9_4plusIvEEjEEDaPvRmT3_T4_T5_mT6_P12ihipStream_tbENKUlT_T0_E_clISt17integral_constantIbLb0EESX_EEDaSS_ST_EUlSS_E_NS1_11comp_targetILNS1_3genE3ELNS1_11target_archE908ELNS1_3gpuE7ELNS1_3repE0EEENS1_30default_config_static_selectorELNS0_4arch9wavefront6targetE1EEEvT1_ ; -- Begin function _ZN7rocprim17ROCPRIM_400000_NS6detail17trampoline_kernelINS0_14default_configENS1_20scan_config_selectorIjEEZZNS1_9scan_implILNS1_25lookback_scan_determinismE0ELb0ELb0ES3_N6thrust23THRUST_200600_302600_NS6detail15normal_iteratorINS9_10device_ptrIjEEEENS9_16discard_iteratorINS9_11use_defaultEEEjNS9_4plusIvEEjEEDaPvRmT3_T4_T5_mT6_P12ihipStream_tbENKUlT_T0_E_clISt17integral_constantIbLb0EESX_EEDaSS_ST_EUlSS_E_NS1_11comp_targetILNS1_3genE3ELNS1_11target_archE908ELNS1_3gpuE7ELNS1_3repE0EEENS1_30default_config_static_selectorELNS0_4arch9wavefront6targetE1EEEvT1_
	.globl	_ZN7rocprim17ROCPRIM_400000_NS6detail17trampoline_kernelINS0_14default_configENS1_20scan_config_selectorIjEEZZNS1_9scan_implILNS1_25lookback_scan_determinismE0ELb0ELb0ES3_N6thrust23THRUST_200600_302600_NS6detail15normal_iteratorINS9_10device_ptrIjEEEENS9_16discard_iteratorINS9_11use_defaultEEEjNS9_4plusIvEEjEEDaPvRmT3_T4_T5_mT6_P12ihipStream_tbENKUlT_T0_E_clISt17integral_constantIbLb0EESX_EEDaSS_ST_EUlSS_E_NS1_11comp_targetILNS1_3genE3ELNS1_11target_archE908ELNS1_3gpuE7ELNS1_3repE0EEENS1_30default_config_static_selectorELNS0_4arch9wavefront6targetE1EEEvT1_
	.p2align	8
	.type	_ZN7rocprim17ROCPRIM_400000_NS6detail17trampoline_kernelINS0_14default_configENS1_20scan_config_selectorIjEEZZNS1_9scan_implILNS1_25lookback_scan_determinismE0ELb0ELb0ES3_N6thrust23THRUST_200600_302600_NS6detail15normal_iteratorINS9_10device_ptrIjEEEENS9_16discard_iteratorINS9_11use_defaultEEEjNS9_4plusIvEEjEEDaPvRmT3_T4_T5_mT6_P12ihipStream_tbENKUlT_T0_E_clISt17integral_constantIbLb0EESX_EEDaSS_ST_EUlSS_E_NS1_11comp_targetILNS1_3genE3ELNS1_11target_archE908ELNS1_3gpuE7ELNS1_3repE0EEENS1_30default_config_static_selectorELNS0_4arch9wavefront6targetE1EEEvT1_,@function
_ZN7rocprim17ROCPRIM_400000_NS6detail17trampoline_kernelINS0_14default_configENS1_20scan_config_selectorIjEEZZNS1_9scan_implILNS1_25lookback_scan_determinismE0ELb0ELb0ES3_N6thrust23THRUST_200600_302600_NS6detail15normal_iteratorINS9_10device_ptrIjEEEENS9_16discard_iteratorINS9_11use_defaultEEEjNS9_4plusIvEEjEEDaPvRmT3_T4_T5_mT6_P12ihipStream_tbENKUlT_T0_E_clISt17integral_constantIbLb0EESX_EEDaSS_ST_EUlSS_E_NS1_11comp_targetILNS1_3genE3ELNS1_11target_archE908ELNS1_3gpuE7ELNS1_3repE0EEENS1_30default_config_static_selectorELNS0_4arch9wavefront6targetE1EEEvT1_: ; @_ZN7rocprim17ROCPRIM_400000_NS6detail17trampoline_kernelINS0_14default_configENS1_20scan_config_selectorIjEEZZNS1_9scan_implILNS1_25lookback_scan_determinismE0ELb0ELb0ES3_N6thrust23THRUST_200600_302600_NS6detail15normal_iteratorINS9_10device_ptrIjEEEENS9_16discard_iteratorINS9_11use_defaultEEEjNS9_4plusIvEEjEEDaPvRmT3_T4_T5_mT6_P12ihipStream_tbENKUlT_T0_E_clISt17integral_constantIbLb0EESX_EEDaSS_ST_EUlSS_E_NS1_11comp_targetILNS1_3genE3ELNS1_11target_archE908ELNS1_3gpuE7ELNS1_3repE0EEENS1_30default_config_static_selectorELNS0_4arch9wavefront6targetE1EEEvT1_
; %bb.0:
	.section	.rodata,"a",@progbits
	.p2align	6, 0x0
	.amdhsa_kernel _ZN7rocprim17ROCPRIM_400000_NS6detail17trampoline_kernelINS0_14default_configENS1_20scan_config_selectorIjEEZZNS1_9scan_implILNS1_25lookback_scan_determinismE0ELb0ELb0ES3_N6thrust23THRUST_200600_302600_NS6detail15normal_iteratorINS9_10device_ptrIjEEEENS9_16discard_iteratorINS9_11use_defaultEEEjNS9_4plusIvEEjEEDaPvRmT3_T4_T5_mT6_P12ihipStream_tbENKUlT_T0_E_clISt17integral_constantIbLb0EESX_EEDaSS_ST_EUlSS_E_NS1_11comp_targetILNS1_3genE3ELNS1_11target_archE908ELNS1_3gpuE7ELNS1_3repE0EEENS1_30default_config_static_selectorELNS0_4arch9wavefront6targetE1EEEvT1_
		.amdhsa_group_segment_fixed_size 0
		.amdhsa_private_segment_fixed_size 0
		.amdhsa_kernarg_size 104
		.amdhsa_user_sgpr_count 6
		.amdhsa_user_sgpr_private_segment_buffer 1
		.amdhsa_user_sgpr_dispatch_ptr 0
		.amdhsa_user_sgpr_queue_ptr 0
		.amdhsa_user_sgpr_kernarg_segment_ptr 1
		.amdhsa_user_sgpr_dispatch_id 0
		.amdhsa_user_sgpr_flat_scratch_init 0
		.amdhsa_user_sgpr_kernarg_preload_length 0
		.amdhsa_user_sgpr_kernarg_preload_offset 0
		.amdhsa_user_sgpr_private_segment_size 0
		.amdhsa_uses_dynamic_stack 0
		.amdhsa_system_sgpr_private_segment_wavefront_offset 0
		.amdhsa_system_sgpr_workgroup_id_x 1
		.amdhsa_system_sgpr_workgroup_id_y 0
		.amdhsa_system_sgpr_workgroup_id_z 0
		.amdhsa_system_sgpr_workgroup_info 0
		.amdhsa_system_vgpr_workitem_id 0
		.amdhsa_next_free_vgpr 1
		.amdhsa_next_free_sgpr 0
		.amdhsa_accum_offset 4
		.amdhsa_reserve_vcc 0
		.amdhsa_reserve_flat_scratch 0
		.amdhsa_float_round_mode_32 0
		.amdhsa_float_round_mode_16_64 0
		.amdhsa_float_denorm_mode_32 3
		.amdhsa_float_denorm_mode_16_64 3
		.amdhsa_dx10_clamp 1
		.amdhsa_ieee_mode 1
		.amdhsa_fp16_overflow 0
		.amdhsa_tg_split 0
		.amdhsa_exception_fp_ieee_invalid_op 0
		.amdhsa_exception_fp_denorm_src 0
		.amdhsa_exception_fp_ieee_div_zero 0
		.amdhsa_exception_fp_ieee_overflow 0
		.amdhsa_exception_fp_ieee_underflow 0
		.amdhsa_exception_fp_ieee_inexact 0
		.amdhsa_exception_int_div_zero 0
	.end_amdhsa_kernel
	.section	.text._ZN7rocprim17ROCPRIM_400000_NS6detail17trampoline_kernelINS0_14default_configENS1_20scan_config_selectorIjEEZZNS1_9scan_implILNS1_25lookback_scan_determinismE0ELb0ELb0ES3_N6thrust23THRUST_200600_302600_NS6detail15normal_iteratorINS9_10device_ptrIjEEEENS9_16discard_iteratorINS9_11use_defaultEEEjNS9_4plusIvEEjEEDaPvRmT3_T4_T5_mT6_P12ihipStream_tbENKUlT_T0_E_clISt17integral_constantIbLb0EESX_EEDaSS_ST_EUlSS_E_NS1_11comp_targetILNS1_3genE3ELNS1_11target_archE908ELNS1_3gpuE7ELNS1_3repE0EEENS1_30default_config_static_selectorELNS0_4arch9wavefront6targetE1EEEvT1_,"axG",@progbits,_ZN7rocprim17ROCPRIM_400000_NS6detail17trampoline_kernelINS0_14default_configENS1_20scan_config_selectorIjEEZZNS1_9scan_implILNS1_25lookback_scan_determinismE0ELb0ELb0ES3_N6thrust23THRUST_200600_302600_NS6detail15normal_iteratorINS9_10device_ptrIjEEEENS9_16discard_iteratorINS9_11use_defaultEEEjNS9_4plusIvEEjEEDaPvRmT3_T4_T5_mT6_P12ihipStream_tbENKUlT_T0_E_clISt17integral_constantIbLb0EESX_EEDaSS_ST_EUlSS_E_NS1_11comp_targetILNS1_3genE3ELNS1_11target_archE908ELNS1_3gpuE7ELNS1_3repE0EEENS1_30default_config_static_selectorELNS0_4arch9wavefront6targetE1EEEvT1_,comdat
.Lfunc_end5297:
	.size	_ZN7rocprim17ROCPRIM_400000_NS6detail17trampoline_kernelINS0_14default_configENS1_20scan_config_selectorIjEEZZNS1_9scan_implILNS1_25lookback_scan_determinismE0ELb0ELb0ES3_N6thrust23THRUST_200600_302600_NS6detail15normal_iteratorINS9_10device_ptrIjEEEENS9_16discard_iteratorINS9_11use_defaultEEEjNS9_4plusIvEEjEEDaPvRmT3_T4_T5_mT6_P12ihipStream_tbENKUlT_T0_E_clISt17integral_constantIbLb0EESX_EEDaSS_ST_EUlSS_E_NS1_11comp_targetILNS1_3genE3ELNS1_11target_archE908ELNS1_3gpuE7ELNS1_3repE0EEENS1_30default_config_static_selectorELNS0_4arch9wavefront6targetE1EEEvT1_, .Lfunc_end5297-_ZN7rocprim17ROCPRIM_400000_NS6detail17trampoline_kernelINS0_14default_configENS1_20scan_config_selectorIjEEZZNS1_9scan_implILNS1_25lookback_scan_determinismE0ELb0ELb0ES3_N6thrust23THRUST_200600_302600_NS6detail15normal_iteratorINS9_10device_ptrIjEEEENS9_16discard_iteratorINS9_11use_defaultEEEjNS9_4plusIvEEjEEDaPvRmT3_T4_T5_mT6_P12ihipStream_tbENKUlT_T0_E_clISt17integral_constantIbLb0EESX_EEDaSS_ST_EUlSS_E_NS1_11comp_targetILNS1_3genE3ELNS1_11target_archE908ELNS1_3gpuE7ELNS1_3repE0EEENS1_30default_config_static_selectorELNS0_4arch9wavefront6targetE1EEEvT1_
                                        ; -- End function
	.section	.AMDGPU.csdata,"",@progbits
; Kernel info:
; codeLenInByte = 0
; NumSgprs: 4
; NumVgprs: 0
; NumAgprs: 0
; TotalNumVgprs: 0
; ScratchSize: 0
; MemoryBound: 0
; FloatMode: 240
; IeeeMode: 1
; LDSByteSize: 0 bytes/workgroup (compile time only)
; SGPRBlocks: 0
; VGPRBlocks: 0
; NumSGPRsForWavesPerEU: 4
; NumVGPRsForWavesPerEU: 1
; AccumOffset: 4
; Occupancy: 8
; WaveLimiterHint : 0
; COMPUTE_PGM_RSRC2:SCRATCH_EN: 0
; COMPUTE_PGM_RSRC2:USER_SGPR: 6
; COMPUTE_PGM_RSRC2:TRAP_HANDLER: 0
; COMPUTE_PGM_RSRC2:TGID_X_EN: 1
; COMPUTE_PGM_RSRC2:TGID_Y_EN: 0
; COMPUTE_PGM_RSRC2:TGID_Z_EN: 0
; COMPUTE_PGM_RSRC2:TIDIG_COMP_CNT: 0
; COMPUTE_PGM_RSRC3_GFX90A:ACCUM_OFFSET: 0
; COMPUTE_PGM_RSRC3_GFX90A:TG_SPLIT: 0
	.section	.text._ZN7rocprim17ROCPRIM_400000_NS6detail17trampoline_kernelINS0_14default_configENS1_20scan_config_selectorIjEEZZNS1_9scan_implILNS1_25lookback_scan_determinismE0ELb0ELb0ES3_N6thrust23THRUST_200600_302600_NS6detail15normal_iteratorINS9_10device_ptrIjEEEENS9_16discard_iteratorINS9_11use_defaultEEEjNS9_4plusIvEEjEEDaPvRmT3_T4_T5_mT6_P12ihipStream_tbENKUlT_T0_E_clISt17integral_constantIbLb0EESX_EEDaSS_ST_EUlSS_E_NS1_11comp_targetILNS1_3genE2ELNS1_11target_archE906ELNS1_3gpuE6ELNS1_3repE0EEENS1_30default_config_static_selectorELNS0_4arch9wavefront6targetE1EEEvT1_,"axG",@progbits,_ZN7rocprim17ROCPRIM_400000_NS6detail17trampoline_kernelINS0_14default_configENS1_20scan_config_selectorIjEEZZNS1_9scan_implILNS1_25lookback_scan_determinismE0ELb0ELb0ES3_N6thrust23THRUST_200600_302600_NS6detail15normal_iteratorINS9_10device_ptrIjEEEENS9_16discard_iteratorINS9_11use_defaultEEEjNS9_4plusIvEEjEEDaPvRmT3_T4_T5_mT6_P12ihipStream_tbENKUlT_T0_E_clISt17integral_constantIbLb0EESX_EEDaSS_ST_EUlSS_E_NS1_11comp_targetILNS1_3genE2ELNS1_11target_archE906ELNS1_3gpuE6ELNS1_3repE0EEENS1_30default_config_static_selectorELNS0_4arch9wavefront6targetE1EEEvT1_,comdat
	.protected	_ZN7rocprim17ROCPRIM_400000_NS6detail17trampoline_kernelINS0_14default_configENS1_20scan_config_selectorIjEEZZNS1_9scan_implILNS1_25lookback_scan_determinismE0ELb0ELb0ES3_N6thrust23THRUST_200600_302600_NS6detail15normal_iteratorINS9_10device_ptrIjEEEENS9_16discard_iteratorINS9_11use_defaultEEEjNS9_4plusIvEEjEEDaPvRmT3_T4_T5_mT6_P12ihipStream_tbENKUlT_T0_E_clISt17integral_constantIbLb0EESX_EEDaSS_ST_EUlSS_E_NS1_11comp_targetILNS1_3genE2ELNS1_11target_archE906ELNS1_3gpuE6ELNS1_3repE0EEENS1_30default_config_static_selectorELNS0_4arch9wavefront6targetE1EEEvT1_ ; -- Begin function _ZN7rocprim17ROCPRIM_400000_NS6detail17trampoline_kernelINS0_14default_configENS1_20scan_config_selectorIjEEZZNS1_9scan_implILNS1_25lookback_scan_determinismE0ELb0ELb0ES3_N6thrust23THRUST_200600_302600_NS6detail15normal_iteratorINS9_10device_ptrIjEEEENS9_16discard_iteratorINS9_11use_defaultEEEjNS9_4plusIvEEjEEDaPvRmT3_T4_T5_mT6_P12ihipStream_tbENKUlT_T0_E_clISt17integral_constantIbLb0EESX_EEDaSS_ST_EUlSS_E_NS1_11comp_targetILNS1_3genE2ELNS1_11target_archE906ELNS1_3gpuE6ELNS1_3repE0EEENS1_30default_config_static_selectorELNS0_4arch9wavefront6targetE1EEEvT1_
	.globl	_ZN7rocprim17ROCPRIM_400000_NS6detail17trampoline_kernelINS0_14default_configENS1_20scan_config_selectorIjEEZZNS1_9scan_implILNS1_25lookback_scan_determinismE0ELb0ELb0ES3_N6thrust23THRUST_200600_302600_NS6detail15normal_iteratorINS9_10device_ptrIjEEEENS9_16discard_iteratorINS9_11use_defaultEEEjNS9_4plusIvEEjEEDaPvRmT3_T4_T5_mT6_P12ihipStream_tbENKUlT_T0_E_clISt17integral_constantIbLb0EESX_EEDaSS_ST_EUlSS_E_NS1_11comp_targetILNS1_3genE2ELNS1_11target_archE906ELNS1_3gpuE6ELNS1_3repE0EEENS1_30default_config_static_selectorELNS0_4arch9wavefront6targetE1EEEvT1_
	.p2align	8
	.type	_ZN7rocprim17ROCPRIM_400000_NS6detail17trampoline_kernelINS0_14default_configENS1_20scan_config_selectorIjEEZZNS1_9scan_implILNS1_25lookback_scan_determinismE0ELb0ELb0ES3_N6thrust23THRUST_200600_302600_NS6detail15normal_iteratorINS9_10device_ptrIjEEEENS9_16discard_iteratorINS9_11use_defaultEEEjNS9_4plusIvEEjEEDaPvRmT3_T4_T5_mT6_P12ihipStream_tbENKUlT_T0_E_clISt17integral_constantIbLb0EESX_EEDaSS_ST_EUlSS_E_NS1_11comp_targetILNS1_3genE2ELNS1_11target_archE906ELNS1_3gpuE6ELNS1_3repE0EEENS1_30default_config_static_selectorELNS0_4arch9wavefront6targetE1EEEvT1_,@function
_ZN7rocprim17ROCPRIM_400000_NS6detail17trampoline_kernelINS0_14default_configENS1_20scan_config_selectorIjEEZZNS1_9scan_implILNS1_25lookback_scan_determinismE0ELb0ELb0ES3_N6thrust23THRUST_200600_302600_NS6detail15normal_iteratorINS9_10device_ptrIjEEEENS9_16discard_iteratorINS9_11use_defaultEEEjNS9_4plusIvEEjEEDaPvRmT3_T4_T5_mT6_P12ihipStream_tbENKUlT_T0_E_clISt17integral_constantIbLb0EESX_EEDaSS_ST_EUlSS_E_NS1_11comp_targetILNS1_3genE2ELNS1_11target_archE906ELNS1_3gpuE6ELNS1_3repE0EEENS1_30default_config_static_selectorELNS0_4arch9wavefront6targetE1EEEvT1_: ; @_ZN7rocprim17ROCPRIM_400000_NS6detail17trampoline_kernelINS0_14default_configENS1_20scan_config_selectorIjEEZZNS1_9scan_implILNS1_25lookback_scan_determinismE0ELb0ELb0ES3_N6thrust23THRUST_200600_302600_NS6detail15normal_iteratorINS9_10device_ptrIjEEEENS9_16discard_iteratorINS9_11use_defaultEEEjNS9_4plusIvEEjEEDaPvRmT3_T4_T5_mT6_P12ihipStream_tbENKUlT_T0_E_clISt17integral_constantIbLb0EESX_EEDaSS_ST_EUlSS_E_NS1_11comp_targetILNS1_3genE2ELNS1_11target_archE906ELNS1_3gpuE6ELNS1_3repE0EEENS1_30default_config_static_selectorELNS0_4arch9wavefront6targetE1EEEvT1_
; %bb.0:
	.section	.rodata,"a",@progbits
	.p2align	6, 0x0
	.amdhsa_kernel _ZN7rocprim17ROCPRIM_400000_NS6detail17trampoline_kernelINS0_14default_configENS1_20scan_config_selectorIjEEZZNS1_9scan_implILNS1_25lookback_scan_determinismE0ELb0ELb0ES3_N6thrust23THRUST_200600_302600_NS6detail15normal_iteratorINS9_10device_ptrIjEEEENS9_16discard_iteratorINS9_11use_defaultEEEjNS9_4plusIvEEjEEDaPvRmT3_T4_T5_mT6_P12ihipStream_tbENKUlT_T0_E_clISt17integral_constantIbLb0EESX_EEDaSS_ST_EUlSS_E_NS1_11comp_targetILNS1_3genE2ELNS1_11target_archE906ELNS1_3gpuE6ELNS1_3repE0EEENS1_30default_config_static_selectorELNS0_4arch9wavefront6targetE1EEEvT1_
		.amdhsa_group_segment_fixed_size 0
		.amdhsa_private_segment_fixed_size 0
		.amdhsa_kernarg_size 104
		.amdhsa_user_sgpr_count 6
		.amdhsa_user_sgpr_private_segment_buffer 1
		.amdhsa_user_sgpr_dispatch_ptr 0
		.amdhsa_user_sgpr_queue_ptr 0
		.amdhsa_user_sgpr_kernarg_segment_ptr 1
		.amdhsa_user_sgpr_dispatch_id 0
		.amdhsa_user_sgpr_flat_scratch_init 0
		.amdhsa_user_sgpr_kernarg_preload_length 0
		.amdhsa_user_sgpr_kernarg_preload_offset 0
		.amdhsa_user_sgpr_private_segment_size 0
		.amdhsa_uses_dynamic_stack 0
		.amdhsa_system_sgpr_private_segment_wavefront_offset 0
		.amdhsa_system_sgpr_workgroup_id_x 1
		.amdhsa_system_sgpr_workgroup_id_y 0
		.amdhsa_system_sgpr_workgroup_id_z 0
		.amdhsa_system_sgpr_workgroup_info 0
		.amdhsa_system_vgpr_workitem_id 0
		.amdhsa_next_free_vgpr 1
		.amdhsa_next_free_sgpr 0
		.amdhsa_accum_offset 4
		.amdhsa_reserve_vcc 0
		.amdhsa_reserve_flat_scratch 0
		.amdhsa_float_round_mode_32 0
		.amdhsa_float_round_mode_16_64 0
		.amdhsa_float_denorm_mode_32 3
		.amdhsa_float_denorm_mode_16_64 3
		.amdhsa_dx10_clamp 1
		.amdhsa_ieee_mode 1
		.amdhsa_fp16_overflow 0
		.amdhsa_tg_split 0
		.amdhsa_exception_fp_ieee_invalid_op 0
		.amdhsa_exception_fp_denorm_src 0
		.amdhsa_exception_fp_ieee_div_zero 0
		.amdhsa_exception_fp_ieee_overflow 0
		.amdhsa_exception_fp_ieee_underflow 0
		.amdhsa_exception_fp_ieee_inexact 0
		.amdhsa_exception_int_div_zero 0
	.end_amdhsa_kernel
	.section	.text._ZN7rocprim17ROCPRIM_400000_NS6detail17trampoline_kernelINS0_14default_configENS1_20scan_config_selectorIjEEZZNS1_9scan_implILNS1_25lookback_scan_determinismE0ELb0ELb0ES3_N6thrust23THRUST_200600_302600_NS6detail15normal_iteratorINS9_10device_ptrIjEEEENS9_16discard_iteratorINS9_11use_defaultEEEjNS9_4plusIvEEjEEDaPvRmT3_T4_T5_mT6_P12ihipStream_tbENKUlT_T0_E_clISt17integral_constantIbLb0EESX_EEDaSS_ST_EUlSS_E_NS1_11comp_targetILNS1_3genE2ELNS1_11target_archE906ELNS1_3gpuE6ELNS1_3repE0EEENS1_30default_config_static_selectorELNS0_4arch9wavefront6targetE1EEEvT1_,"axG",@progbits,_ZN7rocprim17ROCPRIM_400000_NS6detail17trampoline_kernelINS0_14default_configENS1_20scan_config_selectorIjEEZZNS1_9scan_implILNS1_25lookback_scan_determinismE0ELb0ELb0ES3_N6thrust23THRUST_200600_302600_NS6detail15normal_iteratorINS9_10device_ptrIjEEEENS9_16discard_iteratorINS9_11use_defaultEEEjNS9_4plusIvEEjEEDaPvRmT3_T4_T5_mT6_P12ihipStream_tbENKUlT_T0_E_clISt17integral_constantIbLb0EESX_EEDaSS_ST_EUlSS_E_NS1_11comp_targetILNS1_3genE2ELNS1_11target_archE906ELNS1_3gpuE6ELNS1_3repE0EEENS1_30default_config_static_selectorELNS0_4arch9wavefront6targetE1EEEvT1_,comdat
.Lfunc_end5298:
	.size	_ZN7rocprim17ROCPRIM_400000_NS6detail17trampoline_kernelINS0_14default_configENS1_20scan_config_selectorIjEEZZNS1_9scan_implILNS1_25lookback_scan_determinismE0ELb0ELb0ES3_N6thrust23THRUST_200600_302600_NS6detail15normal_iteratorINS9_10device_ptrIjEEEENS9_16discard_iteratorINS9_11use_defaultEEEjNS9_4plusIvEEjEEDaPvRmT3_T4_T5_mT6_P12ihipStream_tbENKUlT_T0_E_clISt17integral_constantIbLb0EESX_EEDaSS_ST_EUlSS_E_NS1_11comp_targetILNS1_3genE2ELNS1_11target_archE906ELNS1_3gpuE6ELNS1_3repE0EEENS1_30default_config_static_selectorELNS0_4arch9wavefront6targetE1EEEvT1_, .Lfunc_end5298-_ZN7rocprim17ROCPRIM_400000_NS6detail17trampoline_kernelINS0_14default_configENS1_20scan_config_selectorIjEEZZNS1_9scan_implILNS1_25lookback_scan_determinismE0ELb0ELb0ES3_N6thrust23THRUST_200600_302600_NS6detail15normal_iteratorINS9_10device_ptrIjEEEENS9_16discard_iteratorINS9_11use_defaultEEEjNS9_4plusIvEEjEEDaPvRmT3_T4_T5_mT6_P12ihipStream_tbENKUlT_T0_E_clISt17integral_constantIbLb0EESX_EEDaSS_ST_EUlSS_E_NS1_11comp_targetILNS1_3genE2ELNS1_11target_archE906ELNS1_3gpuE6ELNS1_3repE0EEENS1_30default_config_static_selectorELNS0_4arch9wavefront6targetE1EEEvT1_
                                        ; -- End function
	.section	.AMDGPU.csdata,"",@progbits
; Kernel info:
; codeLenInByte = 0
; NumSgprs: 4
; NumVgprs: 0
; NumAgprs: 0
; TotalNumVgprs: 0
; ScratchSize: 0
; MemoryBound: 0
; FloatMode: 240
; IeeeMode: 1
; LDSByteSize: 0 bytes/workgroup (compile time only)
; SGPRBlocks: 0
; VGPRBlocks: 0
; NumSGPRsForWavesPerEU: 4
; NumVGPRsForWavesPerEU: 1
; AccumOffset: 4
; Occupancy: 8
; WaveLimiterHint : 0
; COMPUTE_PGM_RSRC2:SCRATCH_EN: 0
; COMPUTE_PGM_RSRC2:USER_SGPR: 6
; COMPUTE_PGM_RSRC2:TRAP_HANDLER: 0
; COMPUTE_PGM_RSRC2:TGID_X_EN: 1
; COMPUTE_PGM_RSRC2:TGID_Y_EN: 0
; COMPUTE_PGM_RSRC2:TGID_Z_EN: 0
; COMPUTE_PGM_RSRC2:TIDIG_COMP_CNT: 0
; COMPUTE_PGM_RSRC3_GFX90A:ACCUM_OFFSET: 0
; COMPUTE_PGM_RSRC3_GFX90A:TG_SPLIT: 0
	.section	.text._ZN7rocprim17ROCPRIM_400000_NS6detail17trampoline_kernelINS0_14default_configENS1_20scan_config_selectorIjEEZZNS1_9scan_implILNS1_25lookback_scan_determinismE0ELb0ELb0ES3_N6thrust23THRUST_200600_302600_NS6detail15normal_iteratorINS9_10device_ptrIjEEEENS9_16discard_iteratorINS9_11use_defaultEEEjNS9_4plusIvEEjEEDaPvRmT3_T4_T5_mT6_P12ihipStream_tbENKUlT_T0_E_clISt17integral_constantIbLb0EESX_EEDaSS_ST_EUlSS_E_NS1_11comp_targetILNS1_3genE10ELNS1_11target_archE1201ELNS1_3gpuE5ELNS1_3repE0EEENS1_30default_config_static_selectorELNS0_4arch9wavefront6targetE1EEEvT1_,"axG",@progbits,_ZN7rocprim17ROCPRIM_400000_NS6detail17trampoline_kernelINS0_14default_configENS1_20scan_config_selectorIjEEZZNS1_9scan_implILNS1_25lookback_scan_determinismE0ELb0ELb0ES3_N6thrust23THRUST_200600_302600_NS6detail15normal_iteratorINS9_10device_ptrIjEEEENS9_16discard_iteratorINS9_11use_defaultEEEjNS9_4plusIvEEjEEDaPvRmT3_T4_T5_mT6_P12ihipStream_tbENKUlT_T0_E_clISt17integral_constantIbLb0EESX_EEDaSS_ST_EUlSS_E_NS1_11comp_targetILNS1_3genE10ELNS1_11target_archE1201ELNS1_3gpuE5ELNS1_3repE0EEENS1_30default_config_static_selectorELNS0_4arch9wavefront6targetE1EEEvT1_,comdat
	.protected	_ZN7rocprim17ROCPRIM_400000_NS6detail17trampoline_kernelINS0_14default_configENS1_20scan_config_selectorIjEEZZNS1_9scan_implILNS1_25lookback_scan_determinismE0ELb0ELb0ES3_N6thrust23THRUST_200600_302600_NS6detail15normal_iteratorINS9_10device_ptrIjEEEENS9_16discard_iteratorINS9_11use_defaultEEEjNS9_4plusIvEEjEEDaPvRmT3_T4_T5_mT6_P12ihipStream_tbENKUlT_T0_E_clISt17integral_constantIbLb0EESX_EEDaSS_ST_EUlSS_E_NS1_11comp_targetILNS1_3genE10ELNS1_11target_archE1201ELNS1_3gpuE5ELNS1_3repE0EEENS1_30default_config_static_selectorELNS0_4arch9wavefront6targetE1EEEvT1_ ; -- Begin function _ZN7rocprim17ROCPRIM_400000_NS6detail17trampoline_kernelINS0_14default_configENS1_20scan_config_selectorIjEEZZNS1_9scan_implILNS1_25lookback_scan_determinismE0ELb0ELb0ES3_N6thrust23THRUST_200600_302600_NS6detail15normal_iteratorINS9_10device_ptrIjEEEENS9_16discard_iteratorINS9_11use_defaultEEEjNS9_4plusIvEEjEEDaPvRmT3_T4_T5_mT6_P12ihipStream_tbENKUlT_T0_E_clISt17integral_constantIbLb0EESX_EEDaSS_ST_EUlSS_E_NS1_11comp_targetILNS1_3genE10ELNS1_11target_archE1201ELNS1_3gpuE5ELNS1_3repE0EEENS1_30default_config_static_selectorELNS0_4arch9wavefront6targetE1EEEvT1_
	.globl	_ZN7rocprim17ROCPRIM_400000_NS6detail17trampoline_kernelINS0_14default_configENS1_20scan_config_selectorIjEEZZNS1_9scan_implILNS1_25lookback_scan_determinismE0ELb0ELb0ES3_N6thrust23THRUST_200600_302600_NS6detail15normal_iteratorINS9_10device_ptrIjEEEENS9_16discard_iteratorINS9_11use_defaultEEEjNS9_4plusIvEEjEEDaPvRmT3_T4_T5_mT6_P12ihipStream_tbENKUlT_T0_E_clISt17integral_constantIbLb0EESX_EEDaSS_ST_EUlSS_E_NS1_11comp_targetILNS1_3genE10ELNS1_11target_archE1201ELNS1_3gpuE5ELNS1_3repE0EEENS1_30default_config_static_selectorELNS0_4arch9wavefront6targetE1EEEvT1_
	.p2align	8
	.type	_ZN7rocprim17ROCPRIM_400000_NS6detail17trampoline_kernelINS0_14default_configENS1_20scan_config_selectorIjEEZZNS1_9scan_implILNS1_25lookback_scan_determinismE0ELb0ELb0ES3_N6thrust23THRUST_200600_302600_NS6detail15normal_iteratorINS9_10device_ptrIjEEEENS9_16discard_iteratorINS9_11use_defaultEEEjNS9_4plusIvEEjEEDaPvRmT3_T4_T5_mT6_P12ihipStream_tbENKUlT_T0_E_clISt17integral_constantIbLb0EESX_EEDaSS_ST_EUlSS_E_NS1_11comp_targetILNS1_3genE10ELNS1_11target_archE1201ELNS1_3gpuE5ELNS1_3repE0EEENS1_30default_config_static_selectorELNS0_4arch9wavefront6targetE1EEEvT1_,@function
_ZN7rocprim17ROCPRIM_400000_NS6detail17trampoline_kernelINS0_14default_configENS1_20scan_config_selectorIjEEZZNS1_9scan_implILNS1_25lookback_scan_determinismE0ELb0ELb0ES3_N6thrust23THRUST_200600_302600_NS6detail15normal_iteratorINS9_10device_ptrIjEEEENS9_16discard_iteratorINS9_11use_defaultEEEjNS9_4plusIvEEjEEDaPvRmT3_T4_T5_mT6_P12ihipStream_tbENKUlT_T0_E_clISt17integral_constantIbLb0EESX_EEDaSS_ST_EUlSS_E_NS1_11comp_targetILNS1_3genE10ELNS1_11target_archE1201ELNS1_3gpuE5ELNS1_3repE0EEENS1_30default_config_static_selectorELNS0_4arch9wavefront6targetE1EEEvT1_: ; @_ZN7rocprim17ROCPRIM_400000_NS6detail17trampoline_kernelINS0_14default_configENS1_20scan_config_selectorIjEEZZNS1_9scan_implILNS1_25lookback_scan_determinismE0ELb0ELb0ES3_N6thrust23THRUST_200600_302600_NS6detail15normal_iteratorINS9_10device_ptrIjEEEENS9_16discard_iteratorINS9_11use_defaultEEEjNS9_4plusIvEEjEEDaPvRmT3_T4_T5_mT6_P12ihipStream_tbENKUlT_T0_E_clISt17integral_constantIbLb0EESX_EEDaSS_ST_EUlSS_E_NS1_11comp_targetILNS1_3genE10ELNS1_11target_archE1201ELNS1_3gpuE5ELNS1_3repE0EEENS1_30default_config_static_selectorELNS0_4arch9wavefront6targetE1EEEvT1_
; %bb.0:
	.section	.rodata,"a",@progbits
	.p2align	6, 0x0
	.amdhsa_kernel _ZN7rocprim17ROCPRIM_400000_NS6detail17trampoline_kernelINS0_14default_configENS1_20scan_config_selectorIjEEZZNS1_9scan_implILNS1_25lookback_scan_determinismE0ELb0ELb0ES3_N6thrust23THRUST_200600_302600_NS6detail15normal_iteratorINS9_10device_ptrIjEEEENS9_16discard_iteratorINS9_11use_defaultEEEjNS9_4plusIvEEjEEDaPvRmT3_T4_T5_mT6_P12ihipStream_tbENKUlT_T0_E_clISt17integral_constantIbLb0EESX_EEDaSS_ST_EUlSS_E_NS1_11comp_targetILNS1_3genE10ELNS1_11target_archE1201ELNS1_3gpuE5ELNS1_3repE0EEENS1_30default_config_static_selectorELNS0_4arch9wavefront6targetE1EEEvT1_
		.amdhsa_group_segment_fixed_size 0
		.amdhsa_private_segment_fixed_size 0
		.amdhsa_kernarg_size 104
		.amdhsa_user_sgpr_count 6
		.amdhsa_user_sgpr_private_segment_buffer 1
		.amdhsa_user_sgpr_dispatch_ptr 0
		.amdhsa_user_sgpr_queue_ptr 0
		.amdhsa_user_sgpr_kernarg_segment_ptr 1
		.amdhsa_user_sgpr_dispatch_id 0
		.amdhsa_user_sgpr_flat_scratch_init 0
		.amdhsa_user_sgpr_kernarg_preload_length 0
		.amdhsa_user_sgpr_kernarg_preload_offset 0
		.amdhsa_user_sgpr_private_segment_size 0
		.amdhsa_uses_dynamic_stack 0
		.amdhsa_system_sgpr_private_segment_wavefront_offset 0
		.amdhsa_system_sgpr_workgroup_id_x 1
		.amdhsa_system_sgpr_workgroup_id_y 0
		.amdhsa_system_sgpr_workgroup_id_z 0
		.amdhsa_system_sgpr_workgroup_info 0
		.amdhsa_system_vgpr_workitem_id 0
		.amdhsa_next_free_vgpr 1
		.amdhsa_next_free_sgpr 0
		.amdhsa_accum_offset 4
		.amdhsa_reserve_vcc 0
		.amdhsa_reserve_flat_scratch 0
		.amdhsa_float_round_mode_32 0
		.amdhsa_float_round_mode_16_64 0
		.amdhsa_float_denorm_mode_32 3
		.amdhsa_float_denorm_mode_16_64 3
		.amdhsa_dx10_clamp 1
		.amdhsa_ieee_mode 1
		.amdhsa_fp16_overflow 0
		.amdhsa_tg_split 0
		.amdhsa_exception_fp_ieee_invalid_op 0
		.amdhsa_exception_fp_denorm_src 0
		.amdhsa_exception_fp_ieee_div_zero 0
		.amdhsa_exception_fp_ieee_overflow 0
		.amdhsa_exception_fp_ieee_underflow 0
		.amdhsa_exception_fp_ieee_inexact 0
		.amdhsa_exception_int_div_zero 0
	.end_amdhsa_kernel
	.section	.text._ZN7rocprim17ROCPRIM_400000_NS6detail17trampoline_kernelINS0_14default_configENS1_20scan_config_selectorIjEEZZNS1_9scan_implILNS1_25lookback_scan_determinismE0ELb0ELb0ES3_N6thrust23THRUST_200600_302600_NS6detail15normal_iteratorINS9_10device_ptrIjEEEENS9_16discard_iteratorINS9_11use_defaultEEEjNS9_4plusIvEEjEEDaPvRmT3_T4_T5_mT6_P12ihipStream_tbENKUlT_T0_E_clISt17integral_constantIbLb0EESX_EEDaSS_ST_EUlSS_E_NS1_11comp_targetILNS1_3genE10ELNS1_11target_archE1201ELNS1_3gpuE5ELNS1_3repE0EEENS1_30default_config_static_selectorELNS0_4arch9wavefront6targetE1EEEvT1_,"axG",@progbits,_ZN7rocprim17ROCPRIM_400000_NS6detail17trampoline_kernelINS0_14default_configENS1_20scan_config_selectorIjEEZZNS1_9scan_implILNS1_25lookback_scan_determinismE0ELb0ELb0ES3_N6thrust23THRUST_200600_302600_NS6detail15normal_iteratorINS9_10device_ptrIjEEEENS9_16discard_iteratorINS9_11use_defaultEEEjNS9_4plusIvEEjEEDaPvRmT3_T4_T5_mT6_P12ihipStream_tbENKUlT_T0_E_clISt17integral_constantIbLb0EESX_EEDaSS_ST_EUlSS_E_NS1_11comp_targetILNS1_3genE10ELNS1_11target_archE1201ELNS1_3gpuE5ELNS1_3repE0EEENS1_30default_config_static_selectorELNS0_4arch9wavefront6targetE1EEEvT1_,comdat
.Lfunc_end5299:
	.size	_ZN7rocprim17ROCPRIM_400000_NS6detail17trampoline_kernelINS0_14default_configENS1_20scan_config_selectorIjEEZZNS1_9scan_implILNS1_25lookback_scan_determinismE0ELb0ELb0ES3_N6thrust23THRUST_200600_302600_NS6detail15normal_iteratorINS9_10device_ptrIjEEEENS9_16discard_iteratorINS9_11use_defaultEEEjNS9_4plusIvEEjEEDaPvRmT3_T4_T5_mT6_P12ihipStream_tbENKUlT_T0_E_clISt17integral_constantIbLb0EESX_EEDaSS_ST_EUlSS_E_NS1_11comp_targetILNS1_3genE10ELNS1_11target_archE1201ELNS1_3gpuE5ELNS1_3repE0EEENS1_30default_config_static_selectorELNS0_4arch9wavefront6targetE1EEEvT1_, .Lfunc_end5299-_ZN7rocprim17ROCPRIM_400000_NS6detail17trampoline_kernelINS0_14default_configENS1_20scan_config_selectorIjEEZZNS1_9scan_implILNS1_25lookback_scan_determinismE0ELb0ELb0ES3_N6thrust23THRUST_200600_302600_NS6detail15normal_iteratorINS9_10device_ptrIjEEEENS9_16discard_iteratorINS9_11use_defaultEEEjNS9_4plusIvEEjEEDaPvRmT3_T4_T5_mT6_P12ihipStream_tbENKUlT_T0_E_clISt17integral_constantIbLb0EESX_EEDaSS_ST_EUlSS_E_NS1_11comp_targetILNS1_3genE10ELNS1_11target_archE1201ELNS1_3gpuE5ELNS1_3repE0EEENS1_30default_config_static_selectorELNS0_4arch9wavefront6targetE1EEEvT1_
                                        ; -- End function
	.section	.AMDGPU.csdata,"",@progbits
; Kernel info:
; codeLenInByte = 0
; NumSgprs: 4
; NumVgprs: 0
; NumAgprs: 0
; TotalNumVgprs: 0
; ScratchSize: 0
; MemoryBound: 0
; FloatMode: 240
; IeeeMode: 1
; LDSByteSize: 0 bytes/workgroup (compile time only)
; SGPRBlocks: 0
; VGPRBlocks: 0
; NumSGPRsForWavesPerEU: 4
; NumVGPRsForWavesPerEU: 1
; AccumOffset: 4
; Occupancy: 8
; WaveLimiterHint : 0
; COMPUTE_PGM_RSRC2:SCRATCH_EN: 0
; COMPUTE_PGM_RSRC2:USER_SGPR: 6
; COMPUTE_PGM_RSRC2:TRAP_HANDLER: 0
; COMPUTE_PGM_RSRC2:TGID_X_EN: 1
; COMPUTE_PGM_RSRC2:TGID_Y_EN: 0
; COMPUTE_PGM_RSRC2:TGID_Z_EN: 0
; COMPUTE_PGM_RSRC2:TIDIG_COMP_CNT: 0
; COMPUTE_PGM_RSRC3_GFX90A:ACCUM_OFFSET: 0
; COMPUTE_PGM_RSRC3_GFX90A:TG_SPLIT: 0
	.section	.text._ZN7rocprim17ROCPRIM_400000_NS6detail17trampoline_kernelINS0_14default_configENS1_20scan_config_selectorIjEEZZNS1_9scan_implILNS1_25lookback_scan_determinismE0ELb0ELb0ES3_N6thrust23THRUST_200600_302600_NS6detail15normal_iteratorINS9_10device_ptrIjEEEENS9_16discard_iteratorINS9_11use_defaultEEEjNS9_4plusIvEEjEEDaPvRmT3_T4_T5_mT6_P12ihipStream_tbENKUlT_T0_E_clISt17integral_constantIbLb0EESX_EEDaSS_ST_EUlSS_E_NS1_11comp_targetILNS1_3genE10ELNS1_11target_archE1200ELNS1_3gpuE4ELNS1_3repE0EEENS1_30default_config_static_selectorELNS0_4arch9wavefront6targetE1EEEvT1_,"axG",@progbits,_ZN7rocprim17ROCPRIM_400000_NS6detail17trampoline_kernelINS0_14default_configENS1_20scan_config_selectorIjEEZZNS1_9scan_implILNS1_25lookback_scan_determinismE0ELb0ELb0ES3_N6thrust23THRUST_200600_302600_NS6detail15normal_iteratorINS9_10device_ptrIjEEEENS9_16discard_iteratorINS9_11use_defaultEEEjNS9_4plusIvEEjEEDaPvRmT3_T4_T5_mT6_P12ihipStream_tbENKUlT_T0_E_clISt17integral_constantIbLb0EESX_EEDaSS_ST_EUlSS_E_NS1_11comp_targetILNS1_3genE10ELNS1_11target_archE1200ELNS1_3gpuE4ELNS1_3repE0EEENS1_30default_config_static_selectorELNS0_4arch9wavefront6targetE1EEEvT1_,comdat
	.protected	_ZN7rocprim17ROCPRIM_400000_NS6detail17trampoline_kernelINS0_14default_configENS1_20scan_config_selectorIjEEZZNS1_9scan_implILNS1_25lookback_scan_determinismE0ELb0ELb0ES3_N6thrust23THRUST_200600_302600_NS6detail15normal_iteratorINS9_10device_ptrIjEEEENS9_16discard_iteratorINS9_11use_defaultEEEjNS9_4plusIvEEjEEDaPvRmT3_T4_T5_mT6_P12ihipStream_tbENKUlT_T0_E_clISt17integral_constantIbLb0EESX_EEDaSS_ST_EUlSS_E_NS1_11comp_targetILNS1_3genE10ELNS1_11target_archE1200ELNS1_3gpuE4ELNS1_3repE0EEENS1_30default_config_static_selectorELNS0_4arch9wavefront6targetE1EEEvT1_ ; -- Begin function _ZN7rocprim17ROCPRIM_400000_NS6detail17trampoline_kernelINS0_14default_configENS1_20scan_config_selectorIjEEZZNS1_9scan_implILNS1_25lookback_scan_determinismE0ELb0ELb0ES3_N6thrust23THRUST_200600_302600_NS6detail15normal_iteratorINS9_10device_ptrIjEEEENS9_16discard_iteratorINS9_11use_defaultEEEjNS9_4plusIvEEjEEDaPvRmT3_T4_T5_mT6_P12ihipStream_tbENKUlT_T0_E_clISt17integral_constantIbLb0EESX_EEDaSS_ST_EUlSS_E_NS1_11comp_targetILNS1_3genE10ELNS1_11target_archE1200ELNS1_3gpuE4ELNS1_3repE0EEENS1_30default_config_static_selectorELNS0_4arch9wavefront6targetE1EEEvT1_
	.globl	_ZN7rocprim17ROCPRIM_400000_NS6detail17trampoline_kernelINS0_14default_configENS1_20scan_config_selectorIjEEZZNS1_9scan_implILNS1_25lookback_scan_determinismE0ELb0ELb0ES3_N6thrust23THRUST_200600_302600_NS6detail15normal_iteratorINS9_10device_ptrIjEEEENS9_16discard_iteratorINS9_11use_defaultEEEjNS9_4plusIvEEjEEDaPvRmT3_T4_T5_mT6_P12ihipStream_tbENKUlT_T0_E_clISt17integral_constantIbLb0EESX_EEDaSS_ST_EUlSS_E_NS1_11comp_targetILNS1_3genE10ELNS1_11target_archE1200ELNS1_3gpuE4ELNS1_3repE0EEENS1_30default_config_static_selectorELNS0_4arch9wavefront6targetE1EEEvT1_
	.p2align	8
	.type	_ZN7rocprim17ROCPRIM_400000_NS6detail17trampoline_kernelINS0_14default_configENS1_20scan_config_selectorIjEEZZNS1_9scan_implILNS1_25lookback_scan_determinismE0ELb0ELb0ES3_N6thrust23THRUST_200600_302600_NS6detail15normal_iteratorINS9_10device_ptrIjEEEENS9_16discard_iteratorINS9_11use_defaultEEEjNS9_4plusIvEEjEEDaPvRmT3_T4_T5_mT6_P12ihipStream_tbENKUlT_T0_E_clISt17integral_constantIbLb0EESX_EEDaSS_ST_EUlSS_E_NS1_11comp_targetILNS1_3genE10ELNS1_11target_archE1200ELNS1_3gpuE4ELNS1_3repE0EEENS1_30default_config_static_selectorELNS0_4arch9wavefront6targetE1EEEvT1_,@function
_ZN7rocprim17ROCPRIM_400000_NS6detail17trampoline_kernelINS0_14default_configENS1_20scan_config_selectorIjEEZZNS1_9scan_implILNS1_25lookback_scan_determinismE0ELb0ELb0ES3_N6thrust23THRUST_200600_302600_NS6detail15normal_iteratorINS9_10device_ptrIjEEEENS9_16discard_iteratorINS9_11use_defaultEEEjNS9_4plusIvEEjEEDaPvRmT3_T4_T5_mT6_P12ihipStream_tbENKUlT_T0_E_clISt17integral_constantIbLb0EESX_EEDaSS_ST_EUlSS_E_NS1_11comp_targetILNS1_3genE10ELNS1_11target_archE1200ELNS1_3gpuE4ELNS1_3repE0EEENS1_30default_config_static_selectorELNS0_4arch9wavefront6targetE1EEEvT1_: ; @_ZN7rocprim17ROCPRIM_400000_NS6detail17trampoline_kernelINS0_14default_configENS1_20scan_config_selectorIjEEZZNS1_9scan_implILNS1_25lookback_scan_determinismE0ELb0ELb0ES3_N6thrust23THRUST_200600_302600_NS6detail15normal_iteratorINS9_10device_ptrIjEEEENS9_16discard_iteratorINS9_11use_defaultEEEjNS9_4plusIvEEjEEDaPvRmT3_T4_T5_mT6_P12ihipStream_tbENKUlT_T0_E_clISt17integral_constantIbLb0EESX_EEDaSS_ST_EUlSS_E_NS1_11comp_targetILNS1_3genE10ELNS1_11target_archE1200ELNS1_3gpuE4ELNS1_3repE0EEENS1_30default_config_static_selectorELNS0_4arch9wavefront6targetE1EEEvT1_
; %bb.0:
	.section	.rodata,"a",@progbits
	.p2align	6, 0x0
	.amdhsa_kernel _ZN7rocprim17ROCPRIM_400000_NS6detail17trampoline_kernelINS0_14default_configENS1_20scan_config_selectorIjEEZZNS1_9scan_implILNS1_25lookback_scan_determinismE0ELb0ELb0ES3_N6thrust23THRUST_200600_302600_NS6detail15normal_iteratorINS9_10device_ptrIjEEEENS9_16discard_iteratorINS9_11use_defaultEEEjNS9_4plusIvEEjEEDaPvRmT3_T4_T5_mT6_P12ihipStream_tbENKUlT_T0_E_clISt17integral_constantIbLb0EESX_EEDaSS_ST_EUlSS_E_NS1_11comp_targetILNS1_3genE10ELNS1_11target_archE1200ELNS1_3gpuE4ELNS1_3repE0EEENS1_30default_config_static_selectorELNS0_4arch9wavefront6targetE1EEEvT1_
		.amdhsa_group_segment_fixed_size 0
		.amdhsa_private_segment_fixed_size 0
		.amdhsa_kernarg_size 104
		.amdhsa_user_sgpr_count 6
		.amdhsa_user_sgpr_private_segment_buffer 1
		.amdhsa_user_sgpr_dispatch_ptr 0
		.amdhsa_user_sgpr_queue_ptr 0
		.amdhsa_user_sgpr_kernarg_segment_ptr 1
		.amdhsa_user_sgpr_dispatch_id 0
		.amdhsa_user_sgpr_flat_scratch_init 0
		.amdhsa_user_sgpr_kernarg_preload_length 0
		.amdhsa_user_sgpr_kernarg_preload_offset 0
		.amdhsa_user_sgpr_private_segment_size 0
		.amdhsa_uses_dynamic_stack 0
		.amdhsa_system_sgpr_private_segment_wavefront_offset 0
		.amdhsa_system_sgpr_workgroup_id_x 1
		.amdhsa_system_sgpr_workgroup_id_y 0
		.amdhsa_system_sgpr_workgroup_id_z 0
		.amdhsa_system_sgpr_workgroup_info 0
		.amdhsa_system_vgpr_workitem_id 0
		.amdhsa_next_free_vgpr 1
		.amdhsa_next_free_sgpr 0
		.amdhsa_accum_offset 4
		.amdhsa_reserve_vcc 0
		.amdhsa_reserve_flat_scratch 0
		.amdhsa_float_round_mode_32 0
		.amdhsa_float_round_mode_16_64 0
		.amdhsa_float_denorm_mode_32 3
		.amdhsa_float_denorm_mode_16_64 3
		.amdhsa_dx10_clamp 1
		.amdhsa_ieee_mode 1
		.amdhsa_fp16_overflow 0
		.amdhsa_tg_split 0
		.amdhsa_exception_fp_ieee_invalid_op 0
		.amdhsa_exception_fp_denorm_src 0
		.amdhsa_exception_fp_ieee_div_zero 0
		.amdhsa_exception_fp_ieee_overflow 0
		.amdhsa_exception_fp_ieee_underflow 0
		.amdhsa_exception_fp_ieee_inexact 0
		.amdhsa_exception_int_div_zero 0
	.end_amdhsa_kernel
	.section	.text._ZN7rocprim17ROCPRIM_400000_NS6detail17trampoline_kernelINS0_14default_configENS1_20scan_config_selectorIjEEZZNS1_9scan_implILNS1_25lookback_scan_determinismE0ELb0ELb0ES3_N6thrust23THRUST_200600_302600_NS6detail15normal_iteratorINS9_10device_ptrIjEEEENS9_16discard_iteratorINS9_11use_defaultEEEjNS9_4plusIvEEjEEDaPvRmT3_T4_T5_mT6_P12ihipStream_tbENKUlT_T0_E_clISt17integral_constantIbLb0EESX_EEDaSS_ST_EUlSS_E_NS1_11comp_targetILNS1_3genE10ELNS1_11target_archE1200ELNS1_3gpuE4ELNS1_3repE0EEENS1_30default_config_static_selectorELNS0_4arch9wavefront6targetE1EEEvT1_,"axG",@progbits,_ZN7rocprim17ROCPRIM_400000_NS6detail17trampoline_kernelINS0_14default_configENS1_20scan_config_selectorIjEEZZNS1_9scan_implILNS1_25lookback_scan_determinismE0ELb0ELb0ES3_N6thrust23THRUST_200600_302600_NS6detail15normal_iteratorINS9_10device_ptrIjEEEENS9_16discard_iteratorINS9_11use_defaultEEEjNS9_4plusIvEEjEEDaPvRmT3_T4_T5_mT6_P12ihipStream_tbENKUlT_T0_E_clISt17integral_constantIbLb0EESX_EEDaSS_ST_EUlSS_E_NS1_11comp_targetILNS1_3genE10ELNS1_11target_archE1200ELNS1_3gpuE4ELNS1_3repE0EEENS1_30default_config_static_selectorELNS0_4arch9wavefront6targetE1EEEvT1_,comdat
.Lfunc_end5300:
	.size	_ZN7rocprim17ROCPRIM_400000_NS6detail17trampoline_kernelINS0_14default_configENS1_20scan_config_selectorIjEEZZNS1_9scan_implILNS1_25lookback_scan_determinismE0ELb0ELb0ES3_N6thrust23THRUST_200600_302600_NS6detail15normal_iteratorINS9_10device_ptrIjEEEENS9_16discard_iteratorINS9_11use_defaultEEEjNS9_4plusIvEEjEEDaPvRmT3_T4_T5_mT6_P12ihipStream_tbENKUlT_T0_E_clISt17integral_constantIbLb0EESX_EEDaSS_ST_EUlSS_E_NS1_11comp_targetILNS1_3genE10ELNS1_11target_archE1200ELNS1_3gpuE4ELNS1_3repE0EEENS1_30default_config_static_selectorELNS0_4arch9wavefront6targetE1EEEvT1_, .Lfunc_end5300-_ZN7rocprim17ROCPRIM_400000_NS6detail17trampoline_kernelINS0_14default_configENS1_20scan_config_selectorIjEEZZNS1_9scan_implILNS1_25lookback_scan_determinismE0ELb0ELb0ES3_N6thrust23THRUST_200600_302600_NS6detail15normal_iteratorINS9_10device_ptrIjEEEENS9_16discard_iteratorINS9_11use_defaultEEEjNS9_4plusIvEEjEEDaPvRmT3_T4_T5_mT6_P12ihipStream_tbENKUlT_T0_E_clISt17integral_constantIbLb0EESX_EEDaSS_ST_EUlSS_E_NS1_11comp_targetILNS1_3genE10ELNS1_11target_archE1200ELNS1_3gpuE4ELNS1_3repE0EEENS1_30default_config_static_selectorELNS0_4arch9wavefront6targetE1EEEvT1_
                                        ; -- End function
	.section	.AMDGPU.csdata,"",@progbits
; Kernel info:
; codeLenInByte = 0
; NumSgprs: 4
; NumVgprs: 0
; NumAgprs: 0
; TotalNumVgprs: 0
; ScratchSize: 0
; MemoryBound: 0
; FloatMode: 240
; IeeeMode: 1
; LDSByteSize: 0 bytes/workgroup (compile time only)
; SGPRBlocks: 0
; VGPRBlocks: 0
; NumSGPRsForWavesPerEU: 4
; NumVGPRsForWavesPerEU: 1
; AccumOffset: 4
; Occupancy: 8
; WaveLimiterHint : 0
; COMPUTE_PGM_RSRC2:SCRATCH_EN: 0
; COMPUTE_PGM_RSRC2:USER_SGPR: 6
; COMPUTE_PGM_RSRC2:TRAP_HANDLER: 0
; COMPUTE_PGM_RSRC2:TGID_X_EN: 1
; COMPUTE_PGM_RSRC2:TGID_Y_EN: 0
; COMPUTE_PGM_RSRC2:TGID_Z_EN: 0
; COMPUTE_PGM_RSRC2:TIDIG_COMP_CNT: 0
; COMPUTE_PGM_RSRC3_GFX90A:ACCUM_OFFSET: 0
; COMPUTE_PGM_RSRC3_GFX90A:TG_SPLIT: 0
	.section	.text._ZN7rocprim17ROCPRIM_400000_NS6detail17trampoline_kernelINS0_14default_configENS1_20scan_config_selectorIjEEZZNS1_9scan_implILNS1_25lookback_scan_determinismE0ELb0ELb0ES3_N6thrust23THRUST_200600_302600_NS6detail15normal_iteratorINS9_10device_ptrIjEEEENS9_16discard_iteratorINS9_11use_defaultEEEjNS9_4plusIvEEjEEDaPvRmT3_T4_T5_mT6_P12ihipStream_tbENKUlT_T0_E_clISt17integral_constantIbLb0EESX_EEDaSS_ST_EUlSS_E_NS1_11comp_targetILNS1_3genE9ELNS1_11target_archE1100ELNS1_3gpuE3ELNS1_3repE0EEENS1_30default_config_static_selectorELNS0_4arch9wavefront6targetE1EEEvT1_,"axG",@progbits,_ZN7rocprim17ROCPRIM_400000_NS6detail17trampoline_kernelINS0_14default_configENS1_20scan_config_selectorIjEEZZNS1_9scan_implILNS1_25lookback_scan_determinismE0ELb0ELb0ES3_N6thrust23THRUST_200600_302600_NS6detail15normal_iteratorINS9_10device_ptrIjEEEENS9_16discard_iteratorINS9_11use_defaultEEEjNS9_4plusIvEEjEEDaPvRmT3_T4_T5_mT6_P12ihipStream_tbENKUlT_T0_E_clISt17integral_constantIbLb0EESX_EEDaSS_ST_EUlSS_E_NS1_11comp_targetILNS1_3genE9ELNS1_11target_archE1100ELNS1_3gpuE3ELNS1_3repE0EEENS1_30default_config_static_selectorELNS0_4arch9wavefront6targetE1EEEvT1_,comdat
	.protected	_ZN7rocprim17ROCPRIM_400000_NS6detail17trampoline_kernelINS0_14default_configENS1_20scan_config_selectorIjEEZZNS1_9scan_implILNS1_25lookback_scan_determinismE0ELb0ELb0ES3_N6thrust23THRUST_200600_302600_NS6detail15normal_iteratorINS9_10device_ptrIjEEEENS9_16discard_iteratorINS9_11use_defaultEEEjNS9_4plusIvEEjEEDaPvRmT3_T4_T5_mT6_P12ihipStream_tbENKUlT_T0_E_clISt17integral_constantIbLb0EESX_EEDaSS_ST_EUlSS_E_NS1_11comp_targetILNS1_3genE9ELNS1_11target_archE1100ELNS1_3gpuE3ELNS1_3repE0EEENS1_30default_config_static_selectorELNS0_4arch9wavefront6targetE1EEEvT1_ ; -- Begin function _ZN7rocprim17ROCPRIM_400000_NS6detail17trampoline_kernelINS0_14default_configENS1_20scan_config_selectorIjEEZZNS1_9scan_implILNS1_25lookback_scan_determinismE0ELb0ELb0ES3_N6thrust23THRUST_200600_302600_NS6detail15normal_iteratorINS9_10device_ptrIjEEEENS9_16discard_iteratorINS9_11use_defaultEEEjNS9_4plusIvEEjEEDaPvRmT3_T4_T5_mT6_P12ihipStream_tbENKUlT_T0_E_clISt17integral_constantIbLb0EESX_EEDaSS_ST_EUlSS_E_NS1_11comp_targetILNS1_3genE9ELNS1_11target_archE1100ELNS1_3gpuE3ELNS1_3repE0EEENS1_30default_config_static_selectorELNS0_4arch9wavefront6targetE1EEEvT1_
	.globl	_ZN7rocprim17ROCPRIM_400000_NS6detail17trampoline_kernelINS0_14default_configENS1_20scan_config_selectorIjEEZZNS1_9scan_implILNS1_25lookback_scan_determinismE0ELb0ELb0ES3_N6thrust23THRUST_200600_302600_NS6detail15normal_iteratorINS9_10device_ptrIjEEEENS9_16discard_iteratorINS9_11use_defaultEEEjNS9_4plusIvEEjEEDaPvRmT3_T4_T5_mT6_P12ihipStream_tbENKUlT_T0_E_clISt17integral_constantIbLb0EESX_EEDaSS_ST_EUlSS_E_NS1_11comp_targetILNS1_3genE9ELNS1_11target_archE1100ELNS1_3gpuE3ELNS1_3repE0EEENS1_30default_config_static_selectorELNS0_4arch9wavefront6targetE1EEEvT1_
	.p2align	8
	.type	_ZN7rocprim17ROCPRIM_400000_NS6detail17trampoline_kernelINS0_14default_configENS1_20scan_config_selectorIjEEZZNS1_9scan_implILNS1_25lookback_scan_determinismE0ELb0ELb0ES3_N6thrust23THRUST_200600_302600_NS6detail15normal_iteratorINS9_10device_ptrIjEEEENS9_16discard_iteratorINS9_11use_defaultEEEjNS9_4plusIvEEjEEDaPvRmT3_T4_T5_mT6_P12ihipStream_tbENKUlT_T0_E_clISt17integral_constantIbLb0EESX_EEDaSS_ST_EUlSS_E_NS1_11comp_targetILNS1_3genE9ELNS1_11target_archE1100ELNS1_3gpuE3ELNS1_3repE0EEENS1_30default_config_static_selectorELNS0_4arch9wavefront6targetE1EEEvT1_,@function
_ZN7rocprim17ROCPRIM_400000_NS6detail17trampoline_kernelINS0_14default_configENS1_20scan_config_selectorIjEEZZNS1_9scan_implILNS1_25lookback_scan_determinismE0ELb0ELb0ES3_N6thrust23THRUST_200600_302600_NS6detail15normal_iteratorINS9_10device_ptrIjEEEENS9_16discard_iteratorINS9_11use_defaultEEEjNS9_4plusIvEEjEEDaPvRmT3_T4_T5_mT6_P12ihipStream_tbENKUlT_T0_E_clISt17integral_constantIbLb0EESX_EEDaSS_ST_EUlSS_E_NS1_11comp_targetILNS1_3genE9ELNS1_11target_archE1100ELNS1_3gpuE3ELNS1_3repE0EEENS1_30default_config_static_selectorELNS0_4arch9wavefront6targetE1EEEvT1_: ; @_ZN7rocprim17ROCPRIM_400000_NS6detail17trampoline_kernelINS0_14default_configENS1_20scan_config_selectorIjEEZZNS1_9scan_implILNS1_25lookback_scan_determinismE0ELb0ELb0ES3_N6thrust23THRUST_200600_302600_NS6detail15normal_iteratorINS9_10device_ptrIjEEEENS9_16discard_iteratorINS9_11use_defaultEEEjNS9_4plusIvEEjEEDaPvRmT3_T4_T5_mT6_P12ihipStream_tbENKUlT_T0_E_clISt17integral_constantIbLb0EESX_EEDaSS_ST_EUlSS_E_NS1_11comp_targetILNS1_3genE9ELNS1_11target_archE1100ELNS1_3gpuE3ELNS1_3repE0EEENS1_30default_config_static_selectorELNS0_4arch9wavefront6targetE1EEEvT1_
; %bb.0:
	.section	.rodata,"a",@progbits
	.p2align	6, 0x0
	.amdhsa_kernel _ZN7rocprim17ROCPRIM_400000_NS6detail17trampoline_kernelINS0_14default_configENS1_20scan_config_selectorIjEEZZNS1_9scan_implILNS1_25lookback_scan_determinismE0ELb0ELb0ES3_N6thrust23THRUST_200600_302600_NS6detail15normal_iteratorINS9_10device_ptrIjEEEENS9_16discard_iteratorINS9_11use_defaultEEEjNS9_4plusIvEEjEEDaPvRmT3_T4_T5_mT6_P12ihipStream_tbENKUlT_T0_E_clISt17integral_constantIbLb0EESX_EEDaSS_ST_EUlSS_E_NS1_11comp_targetILNS1_3genE9ELNS1_11target_archE1100ELNS1_3gpuE3ELNS1_3repE0EEENS1_30default_config_static_selectorELNS0_4arch9wavefront6targetE1EEEvT1_
		.amdhsa_group_segment_fixed_size 0
		.amdhsa_private_segment_fixed_size 0
		.amdhsa_kernarg_size 104
		.amdhsa_user_sgpr_count 6
		.amdhsa_user_sgpr_private_segment_buffer 1
		.amdhsa_user_sgpr_dispatch_ptr 0
		.amdhsa_user_sgpr_queue_ptr 0
		.amdhsa_user_sgpr_kernarg_segment_ptr 1
		.amdhsa_user_sgpr_dispatch_id 0
		.amdhsa_user_sgpr_flat_scratch_init 0
		.amdhsa_user_sgpr_kernarg_preload_length 0
		.amdhsa_user_sgpr_kernarg_preload_offset 0
		.amdhsa_user_sgpr_private_segment_size 0
		.amdhsa_uses_dynamic_stack 0
		.amdhsa_system_sgpr_private_segment_wavefront_offset 0
		.amdhsa_system_sgpr_workgroup_id_x 1
		.amdhsa_system_sgpr_workgroup_id_y 0
		.amdhsa_system_sgpr_workgroup_id_z 0
		.amdhsa_system_sgpr_workgroup_info 0
		.amdhsa_system_vgpr_workitem_id 0
		.amdhsa_next_free_vgpr 1
		.amdhsa_next_free_sgpr 0
		.amdhsa_accum_offset 4
		.amdhsa_reserve_vcc 0
		.amdhsa_reserve_flat_scratch 0
		.amdhsa_float_round_mode_32 0
		.amdhsa_float_round_mode_16_64 0
		.amdhsa_float_denorm_mode_32 3
		.amdhsa_float_denorm_mode_16_64 3
		.amdhsa_dx10_clamp 1
		.amdhsa_ieee_mode 1
		.amdhsa_fp16_overflow 0
		.amdhsa_tg_split 0
		.amdhsa_exception_fp_ieee_invalid_op 0
		.amdhsa_exception_fp_denorm_src 0
		.amdhsa_exception_fp_ieee_div_zero 0
		.amdhsa_exception_fp_ieee_overflow 0
		.amdhsa_exception_fp_ieee_underflow 0
		.amdhsa_exception_fp_ieee_inexact 0
		.amdhsa_exception_int_div_zero 0
	.end_amdhsa_kernel
	.section	.text._ZN7rocprim17ROCPRIM_400000_NS6detail17trampoline_kernelINS0_14default_configENS1_20scan_config_selectorIjEEZZNS1_9scan_implILNS1_25lookback_scan_determinismE0ELb0ELb0ES3_N6thrust23THRUST_200600_302600_NS6detail15normal_iteratorINS9_10device_ptrIjEEEENS9_16discard_iteratorINS9_11use_defaultEEEjNS9_4plusIvEEjEEDaPvRmT3_T4_T5_mT6_P12ihipStream_tbENKUlT_T0_E_clISt17integral_constantIbLb0EESX_EEDaSS_ST_EUlSS_E_NS1_11comp_targetILNS1_3genE9ELNS1_11target_archE1100ELNS1_3gpuE3ELNS1_3repE0EEENS1_30default_config_static_selectorELNS0_4arch9wavefront6targetE1EEEvT1_,"axG",@progbits,_ZN7rocprim17ROCPRIM_400000_NS6detail17trampoline_kernelINS0_14default_configENS1_20scan_config_selectorIjEEZZNS1_9scan_implILNS1_25lookback_scan_determinismE0ELb0ELb0ES3_N6thrust23THRUST_200600_302600_NS6detail15normal_iteratorINS9_10device_ptrIjEEEENS9_16discard_iteratorINS9_11use_defaultEEEjNS9_4plusIvEEjEEDaPvRmT3_T4_T5_mT6_P12ihipStream_tbENKUlT_T0_E_clISt17integral_constantIbLb0EESX_EEDaSS_ST_EUlSS_E_NS1_11comp_targetILNS1_3genE9ELNS1_11target_archE1100ELNS1_3gpuE3ELNS1_3repE0EEENS1_30default_config_static_selectorELNS0_4arch9wavefront6targetE1EEEvT1_,comdat
.Lfunc_end5301:
	.size	_ZN7rocprim17ROCPRIM_400000_NS6detail17trampoline_kernelINS0_14default_configENS1_20scan_config_selectorIjEEZZNS1_9scan_implILNS1_25lookback_scan_determinismE0ELb0ELb0ES3_N6thrust23THRUST_200600_302600_NS6detail15normal_iteratorINS9_10device_ptrIjEEEENS9_16discard_iteratorINS9_11use_defaultEEEjNS9_4plusIvEEjEEDaPvRmT3_T4_T5_mT6_P12ihipStream_tbENKUlT_T0_E_clISt17integral_constantIbLb0EESX_EEDaSS_ST_EUlSS_E_NS1_11comp_targetILNS1_3genE9ELNS1_11target_archE1100ELNS1_3gpuE3ELNS1_3repE0EEENS1_30default_config_static_selectorELNS0_4arch9wavefront6targetE1EEEvT1_, .Lfunc_end5301-_ZN7rocprim17ROCPRIM_400000_NS6detail17trampoline_kernelINS0_14default_configENS1_20scan_config_selectorIjEEZZNS1_9scan_implILNS1_25lookback_scan_determinismE0ELb0ELb0ES3_N6thrust23THRUST_200600_302600_NS6detail15normal_iteratorINS9_10device_ptrIjEEEENS9_16discard_iteratorINS9_11use_defaultEEEjNS9_4plusIvEEjEEDaPvRmT3_T4_T5_mT6_P12ihipStream_tbENKUlT_T0_E_clISt17integral_constantIbLb0EESX_EEDaSS_ST_EUlSS_E_NS1_11comp_targetILNS1_3genE9ELNS1_11target_archE1100ELNS1_3gpuE3ELNS1_3repE0EEENS1_30default_config_static_selectorELNS0_4arch9wavefront6targetE1EEEvT1_
                                        ; -- End function
	.section	.AMDGPU.csdata,"",@progbits
; Kernel info:
; codeLenInByte = 0
; NumSgprs: 4
; NumVgprs: 0
; NumAgprs: 0
; TotalNumVgprs: 0
; ScratchSize: 0
; MemoryBound: 0
; FloatMode: 240
; IeeeMode: 1
; LDSByteSize: 0 bytes/workgroup (compile time only)
; SGPRBlocks: 0
; VGPRBlocks: 0
; NumSGPRsForWavesPerEU: 4
; NumVGPRsForWavesPerEU: 1
; AccumOffset: 4
; Occupancy: 8
; WaveLimiterHint : 0
; COMPUTE_PGM_RSRC2:SCRATCH_EN: 0
; COMPUTE_PGM_RSRC2:USER_SGPR: 6
; COMPUTE_PGM_RSRC2:TRAP_HANDLER: 0
; COMPUTE_PGM_RSRC2:TGID_X_EN: 1
; COMPUTE_PGM_RSRC2:TGID_Y_EN: 0
; COMPUTE_PGM_RSRC2:TGID_Z_EN: 0
; COMPUTE_PGM_RSRC2:TIDIG_COMP_CNT: 0
; COMPUTE_PGM_RSRC3_GFX90A:ACCUM_OFFSET: 0
; COMPUTE_PGM_RSRC3_GFX90A:TG_SPLIT: 0
	.section	.text._ZN7rocprim17ROCPRIM_400000_NS6detail17trampoline_kernelINS0_14default_configENS1_20scan_config_selectorIjEEZZNS1_9scan_implILNS1_25lookback_scan_determinismE0ELb0ELb0ES3_N6thrust23THRUST_200600_302600_NS6detail15normal_iteratorINS9_10device_ptrIjEEEENS9_16discard_iteratorINS9_11use_defaultEEEjNS9_4plusIvEEjEEDaPvRmT3_T4_T5_mT6_P12ihipStream_tbENKUlT_T0_E_clISt17integral_constantIbLb0EESX_EEDaSS_ST_EUlSS_E_NS1_11comp_targetILNS1_3genE8ELNS1_11target_archE1030ELNS1_3gpuE2ELNS1_3repE0EEENS1_30default_config_static_selectorELNS0_4arch9wavefront6targetE1EEEvT1_,"axG",@progbits,_ZN7rocprim17ROCPRIM_400000_NS6detail17trampoline_kernelINS0_14default_configENS1_20scan_config_selectorIjEEZZNS1_9scan_implILNS1_25lookback_scan_determinismE0ELb0ELb0ES3_N6thrust23THRUST_200600_302600_NS6detail15normal_iteratorINS9_10device_ptrIjEEEENS9_16discard_iteratorINS9_11use_defaultEEEjNS9_4plusIvEEjEEDaPvRmT3_T4_T5_mT6_P12ihipStream_tbENKUlT_T0_E_clISt17integral_constantIbLb0EESX_EEDaSS_ST_EUlSS_E_NS1_11comp_targetILNS1_3genE8ELNS1_11target_archE1030ELNS1_3gpuE2ELNS1_3repE0EEENS1_30default_config_static_selectorELNS0_4arch9wavefront6targetE1EEEvT1_,comdat
	.protected	_ZN7rocprim17ROCPRIM_400000_NS6detail17trampoline_kernelINS0_14default_configENS1_20scan_config_selectorIjEEZZNS1_9scan_implILNS1_25lookback_scan_determinismE0ELb0ELb0ES3_N6thrust23THRUST_200600_302600_NS6detail15normal_iteratorINS9_10device_ptrIjEEEENS9_16discard_iteratorINS9_11use_defaultEEEjNS9_4plusIvEEjEEDaPvRmT3_T4_T5_mT6_P12ihipStream_tbENKUlT_T0_E_clISt17integral_constantIbLb0EESX_EEDaSS_ST_EUlSS_E_NS1_11comp_targetILNS1_3genE8ELNS1_11target_archE1030ELNS1_3gpuE2ELNS1_3repE0EEENS1_30default_config_static_selectorELNS0_4arch9wavefront6targetE1EEEvT1_ ; -- Begin function _ZN7rocprim17ROCPRIM_400000_NS6detail17trampoline_kernelINS0_14default_configENS1_20scan_config_selectorIjEEZZNS1_9scan_implILNS1_25lookback_scan_determinismE0ELb0ELb0ES3_N6thrust23THRUST_200600_302600_NS6detail15normal_iteratorINS9_10device_ptrIjEEEENS9_16discard_iteratorINS9_11use_defaultEEEjNS9_4plusIvEEjEEDaPvRmT3_T4_T5_mT6_P12ihipStream_tbENKUlT_T0_E_clISt17integral_constantIbLb0EESX_EEDaSS_ST_EUlSS_E_NS1_11comp_targetILNS1_3genE8ELNS1_11target_archE1030ELNS1_3gpuE2ELNS1_3repE0EEENS1_30default_config_static_selectorELNS0_4arch9wavefront6targetE1EEEvT1_
	.globl	_ZN7rocprim17ROCPRIM_400000_NS6detail17trampoline_kernelINS0_14default_configENS1_20scan_config_selectorIjEEZZNS1_9scan_implILNS1_25lookback_scan_determinismE0ELb0ELb0ES3_N6thrust23THRUST_200600_302600_NS6detail15normal_iteratorINS9_10device_ptrIjEEEENS9_16discard_iteratorINS9_11use_defaultEEEjNS9_4plusIvEEjEEDaPvRmT3_T4_T5_mT6_P12ihipStream_tbENKUlT_T0_E_clISt17integral_constantIbLb0EESX_EEDaSS_ST_EUlSS_E_NS1_11comp_targetILNS1_3genE8ELNS1_11target_archE1030ELNS1_3gpuE2ELNS1_3repE0EEENS1_30default_config_static_selectorELNS0_4arch9wavefront6targetE1EEEvT1_
	.p2align	8
	.type	_ZN7rocprim17ROCPRIM_400000_NS6detail17trampoline_kernelINS0_14default_configENS1_20scan_config_selectorIjEEZZNS1_9scan_implILNS1_25lookback_scan_determinismE0ELb0ELb0ES3_N6thrust23THRUST_200600_302600_NS6detail15normal_iteratorINS9_10device_ptrIjEEEENS9_16discard_iteratorINS9_11use_defaultEEEjNS9_4plusIvEEjEEDaPvRmT3_T4_T5_mT6_P12ihipStream_tbENKUlT_T0_E_clISt17integral_constantIbLb0EESX_EEDaSS_ST_EUlSS_E_NS1_11comp_targetILNS1_3genE8ELNS1_11target_archE1030ELNS1_3gpuE2ELNS1_3repE0EEENS1_30default_config_static_selectorELNS0_4arch9wavefront6targetE1EEEvT1_,@function
_ZN7rocprim17ROCPRIM_400000_NS6detail17trampoline_kernelINS0_14default_configENS1_20scan_config_selectorIjEEZZNS1_9scan_implILNS1_25lookback_scan_determinismE0ELb0ELb0ES3_N6thrust23THRUST_200600_302600_NS6detail15normal_iteratorINS9_10device_ptrIjEEEENS9_16discard_iteratorINS9_11use_defaultEEEjNS9_4plusIvEEjEEDaPvRmT3_T4_T5_mT6_P12ihipStream_tbENKUlT_T0_E_clISt17integral_constantIbLb0EESX_EEDaSS_ST_EUlSS_E_NS1_11comp_targetILNS1_3genE8ELNS1_11target_archE1030ELNS1_3gpuE2ELNS1_3repE0EEENS1_30default_config_static_selectorELNS0_4arch9wavefront6targetE1EEEvT1_: ; @_ZN7rocprim17ROCPRIM_400000_NS6detail17trampoline_kernelINS0_14default_configENS1_20scan_config_selectorIjEEZZNS1_9scan_implILNS1_25lookback_scan_determinismE0ELb0ELb0ES3_N6thrust23THRUST_200600_302600_NS6detail15normal_iteratorINS9_10device_ptrIjEEEENS9_16discard_iteratorINS9_11use_defaultEEEjNS9_4plusIvEEjEEDaPvRmT3_T4_T5_mT6_P12ihipStream_tbENKUlT_T0_E_clISt17integral_constantIbLb0EESX_EEDaSS_ST_EUlSS_E_NS1_11comp_targetILNS1_3genE8ELNS1_11target_archE1030ELNS1_3gpuE2ELNS1_3repE0EEENS1_30default_config_static_selectorELNS0_4arch9wavefront6targetE1EEEvT1_
; %bb.0:
	.section	.rodata,"a",@progbits
	.p2align	6, 0x0
	.amdhsa_kernel _ZN7rocprim17ROCPRIM_400000_NS6detail17trampoline_kernelINS0_14default_configENS1_20scan_config_selectorIjEEZZNS1_9scan_implILNS1_25lookback_scan_determinismE0ELb0ELb0ES3_N6thrust23THRUST_200600_302600_NS6detail15normal_iteratorINS9_10device_ptrIjEEEENS9_16discard_iteratorINS9_11use_defaultEEEjNS9_4plusIvEEjEEDaPvRmT3_T4_T5_mT6_P12ihipStream_tbENKUlT_T0_E_clISt17integral_constantIbLb0EESX_EEDaSS_ST_EUlSS_E_NS1_11comp_targetILNS1_3genE8ELNS1_11target_archE1030ELNS1_3gpuE2ELNS1_3repE0EEENS1_30default_config_static_selectorELNS0_4arch9wavefront6targetE1EEEvT1_
		.amdhsa_group_segment_fixed_size 0
		.amdhsa_private_segment_fixed_size 0
		.amdhsa_kernarg_size 104
		.amdhsa_user_sgpr_count 6
		.amdhsa_user_sgpr_private_segment_buffer 1
		.amdhsa_user_sgpr_dispatch_ptr 0
		.amdhsa_user_sgpr_queue_ptr 0
		.amdhsa_user_sgpr_kernarg_segment_ptr 1
		.amdhsa_user_sgpr_dispatch_id 0
		.amdhsa_user_sgpr_flat_scratch_init 0
		.amdhsa_user_sgpr_kernarg_preload_length 0
		.amdhsa_user_sgpr_kernarg_preload_offset 0
		.amdhsa_user_sgpr_private_segment_size 0
		.amdhsa_uses_dynamic_stack 0
		.amdhsa_system_sgpr_private_segment_wavefront_offset 0
		.amdhsa_system_sgpr_workgroup_id_x 1
		.amdhsa_system_sgpr_workgroup_id_y 0
		.amdhsa_system_sgpr_workgroup_id_z 0
		.amdhsa_system_sgpr_workgroup_info 0
		.amdhsa_system_vgpr_workitem_id 0
		.amdhsa_next_free_vgpr 1
		.amdhsa_next_free_sgpr 0
		.amdhsa_accum_offset 4
		.amdhsa_reserve_vcc 0
		.amdhsa_reserve_flat_scratch 0
		.amdhsa_float_round_mode_32 0
		.amdhsa_float_round_mode_16_64 0
		.amdhsa_float_denorm_mode_32 3
		.amdhsa_float_denorm_mode_16_64 3
		.amdhsa_dx10_clamp 1
		.amdhsa_ieee_mode 1
		.amdhsa_fp16_overflow 0
		.amdhsa_tg_split 0
		.amdhsa_exception_fp_ieee_invalid_op 0
		.amdhsa_exception_fp_denorm_src 0
		.amdhsa_exception_fp_ieee_div_zero 0
		.amdhsa_exception_fp_ieee_overflow 0
		.amdhsa_exception_fp_ieee_underflow 0
		.amdhsa_exception_fp_ieee_inexact 0
		.amdhsa_exception_int_div_zero 0
	.end_amdhsa_kernel
	.section	.text._ZN7rocprim17ROCPRIM_400000_NS6detail17trampoline_kernelINS0_14default_configENS1_20scan_config_selectorIjEEZZNS1_9scan_implILNS1_25lookback_scan_determinismE0ELb0ELb0ES3_N6thrust23THRUST_200600_302600_NS6detail15normal_iteratorINS9_10device_ptrIjEEEENS9_16discard_iteratorINS9_11use_defaultEEEjNS9_4plusIvEEjEEDaPvRmT3_T4_T5_mT6_P12ihipStream_tbENKUlT_T0_E_clISt17integral_constantIbLb0EESX_EEDaSS_ST_EUlSS_E_NS1_11comp_targetILNS1_3genE8ELNS1_11target_archE1030ELNS1_3gpuE2ELNS1_3repE0EEENS1_30default_config_static_selectorELNS0_4arch9wavefront6targetE1EEEvT1_,"axG",@progbits,_ZN7rocprim17ROCPRIM_400000_NS6detail17trampoline_kernelINS0_14default_configENS1_20scan_config_selectorIjEEZZNS1_9scan_implILNS1_25lookback_scan_determinismE0ELb0ELb0ES3_N6thrust23THRUST_200600_302600_NS6detail15normal_iteratorINS9_10device_ptrIjEEEENS9_16discard_iteratorINS9_11use_defaultEEEjNS9_4plusIvEEjEEDaPvRmT3_T4_T5_mT6_P12ihipStream_tbENKUlT_T0_E_clISt17integral_constantIbLb0EESX_EEDaSS_ST_EUlSS_E_NS1_11comp_targetILNS1_3genE8ELNS1_11target_archE1030ELNS1_3gpuE2ELNS1_3repE0EEENS1_30default_config_static_selectorELNS0_4arch9wavefront6targetE1EEEvT1_,comdat
.Lfunc_end5302:
	.size	_ZN7rocprim17ROCPRIM_400000_NS6detail17trampoline_kernelINS0_14default_configENS1_20scan_config_selectorIjEEZZNS1_9scan_implILNS1_25lookback_scan_determinismE0ELb0ELb0ES3_N6thrust23THRUST_200600_302600_NS6detail15normal_iteratorINS9_10device_ptrIjEEEENS9_16discard_iteratorINS9_11use_defaultEEEjNS9_4plusIvEEjEEDaPvRmT3_T4_T5_mT6_P12ihipStream_tbENKUlT_T0_E_clISt17integral_constantIbLb0EESX_EEDaSS_ST_EUlSS_E_NS1_11comp_targetILNS1_3genE8ELNS1_11target_archE1030ELNS1_3gpuE2ELNS1_3repE0EEENS1_30default_config_static_selectorELNS0_4arch9wavefront6targetE1EEEvT1_, .Lfunc_end5302-_ZN7rocprim17ROCPRIM_400000_NS6detail17trampoline_kernelINS0_14default_configENS1_20scan_config_selectorIjEEZZNS1_9scan_implILNS1_25lookback_scan_determinismE0ELb0ELb0ES3_N6thrust23THRUST_200600_302600_NS6detail15normal_iteratorINS9_10device_ptrIjEEEENS9_16discard_iteratorINS9_11use_defaultEEEjNS9_4plusIvEEjEEDaPvRmT3_T4_T5_mT6_P12ihipStream_tbENKUlT_T0_E_clISt17integral_constantIbLb0EESX_EEDaSS_ST_EUlSS_E_NS1_11comp_targetILNS1_3genE8ELNS1_11target_archE1030ELNS1_3gpuE2ELNS1_3repE0EEENS1_30default_config_static_selectorELNS0_4arch9wavefront6targetE1EEEvT1_
                                        ; -- End function
	.section	.AMDGPU.csdata,"",@progbits
; Kernel info:
; codeLenInByte = 0
; NumSgprs: 4
; NumVgprs: 0
; NumAgprs: 0
; TotalNumVgprs: 0
; ScratchSize: 0
; MemoryBound: 0
; FloatMode: 240
; IeeeMode: 1
; LDSByteSize: 0 bytes/workgroup (compile time only)
; SGPRBlocks: 0
; VGPRBlocks: 0
; NumSGPRsForWavesPerEU: 4
; NumVGPRsForWavesPerEU: 1
; AccumOffset: 4
; Occupancy: 8
; WaveLimiterHint : 0
; COMPUTE_PGM_RSRC2:SCRATCH_EN: 0
; COMPUTE_PGM_RSRC2:USER_SGPR: 6
; COMPUTE_PGM_RSRC2:TRAP_HANDLER: 0
; COMPUTE_PGM_RSRC2:TGID_X_EN: 1
; COMPUTE_PGM_RSRC2:TGID_Y_EN: 0
; COMPUTE_PGM_RSRC2:TGID_Z_EN: 0
; COMPUTE_PGM_RSRC2:TIDIG_COMP_CNT: 0
; COMPUTE_PGM_RSRC3_GFX90A:ACCUM_OFFSET: 0
; COMPUTE_PGM_RSRC3_GFX90A:TG_SPLIT: 0
	.section	.text._ZN7rocprim17ROCPRIM_400000_NS6detail17trampoline_kernelINS0_14default_configENS1_20scan_config_selectorIjEEZZNS1_9scan_implILNS1_25lookback_scan_determinismE0ELb0ELb0ES3_N6thrust23THRUST_200600_302600_NS6detail15normal_iteratorINS9_10device_ptrIjEEEENS9_16discard_iteratorINS9_11use_defaultEEEjNS9_4plusIvEEjEEDaPvRmT3_T4_T5_mT6_P12ihipStream_tbENKUlT_T0_E_clISt17integral_constantIbLb0EESX_EEDaSS_ST_EUlSS_E0_NS1_11comp_targetILNS1_3genE0ELNS1_11target_archE4294967295ELNS1_3gpuE0ELNS1_3repE0EEENS1_30default_config_static_selectorELNS0_4arch9wavefront6targetE1EEEvT1_,"axG",@progbits,_ZN7rocprim17ROCPRIM_400000_NS6detail17trampoline_kernelINS0_14default_configENS1_20scan_config_selectorIjEEZZNS1_9scan_implILNS1_25lookback_scan_determinismE0ELb0ELb0ES3_N6thrust23THRUST_200600_302600_NS6detail15normal_iteratorINS9_10device_ptrIjEEEENS9_16discard_iteratorINS9_11use_defaultEEEjNS9_4plusIvEEjEEDaPvRmT3_T4_T5_mT6_P12ihipStream_tbENKUlT_T0_E_clISt17integral_constantIbLb0EESX_EEDaSS_ST_EUlSS_E0_NS1_11comp_targetILNS1_3genE0ELNS1_11target_archE4294967295ELNS1_3gpuE0ELNS1_3repE0EEENS1_30default_config_static_selectorELNS0_4arch9wavefront6targetE1EEEvT1_,comdat
	.protected	_ZN7rocprim17ROCPRIM_400000_NS6detail17trampoline_kernelINS0_14default_configENS1_20scan_config_selectorIjEEZZNS1_9scan_implILNS1_25lookback_scan_determinismE0ELb0ELb0ES3_N6thrust23THRUST_200600_302600_NS6detail15normal_iteratorINS9_10device_ptrIjEEEENS9_16discard_iteratorINS9_11use_defaultEEEjNS9_4plusIvEEjEEDaPvRmT3_T4_T5_mT6_P12ihipStream_tbENKUlT_T0_E_clISt17integral_constantIbLb0EESX_EEDaSS_ST_EUlSS_E0_NS1_11comp_targetILNS1_3genE0ELNS1_11target_archE4294967295ELNS1_3gpuE0ELNS1_3repE0EEENS1_30default_config_static_selectorELNS0_4arch9wavefront6targetE1EEEvT1_ ; -- Begin function _ZN7rocprim17ROCPRIM_400000_NS6detail17trampoline_kernelINS0_14default_configENS1_20scan_config_selectorIjEEZZNS1_9scan_implILNS1_25lookback_scan_determinismE0ELb0ELb0ES3_N6thrust23THRUST_200600_302600_NS6detail15normal_iteratorINS9_10device_ptrIjEEEENS9_16discard_iteratorINS9_11use_defaultEEEjNS9_4plusIvEEjEEDaPvRmT3_T4_T5_mT6_P12ihipStream_tbENKUlT_T0_E_clISt17integral_constantIbLb0EESX_EEDaSS_ST_EUlSS_E0_NS1_11comp_targetILNS1_3genE0ELNS1_11target_archE4294967295ELNS1_3gpuE0ELNS1_3repE0EEENS1_30default_config_static_selectorELNS0_4arch9wavefront6targetE1EEEvT1_
	.globl	_ZN7rocprim17ROCPRIM_400000_NS6detail17trampoline_kernelINS0_14default_configENS1_20scan_config_selectorIjEEZZNS1_9scan_implILNS1_25lookback_scan_determinismE0ELb0ELb0ES3_N6thrust23THRUST_200600_302600_NS6detail15normal_iteratorINS9_10device_ptrIjEEEENS9_16discard_iteratorINS9_11use_defaultEEEjNS9_4plusIvEEjEEDaPvRmT3_T4_T5_mT6_P12ihipStream_tbENKUlT_T0_E_clISt17integral_constantIbLb0EESX_EEDaSS_ST_EUlSS_E0_NS1_11comp_targetILNS1_3genE0ELNS1_11target_archE4294967295ELNS1_3gpuE0ELNS1_3repE0EEENS1_30default_config_static_selectorELNS0_4arch9wavefront6targetE1EEEvT1_
	.p2align	8
	.type	_ZN7rocprim17ROCPRIM_400000_NS6detail17trampoline_kernelINS0_14default_configENS1_20scan_config_selectorIjEEZZNS1_9scan_implILNS1_25lookback_scan_determinismE0ELb0ELb0ES3_N6thrust23THRUST_200600_302600_NS6detail15normal_iteratorINS9_10device_ptrIjEEEENS9_16discard_iteratorINS9_11use_defaultEEEjNS9_4plusIvEEjEEDaPvRmT3_T4_T5_mT6_P12ihipStream_tbENKUlT_T0_E_clISt17integral_constantIbLb0EESX_EEDaSS_ST_EUlSS_E0_NS1_11comp_targetILNS1_3genE0ELNS1_11target_archE4294967295ELNS1_3gpuE0ELNS1_3repE0EEENS1_30default_config_static_selectorELNS0_4arch9wavefront6targetE1EEEvT1_,@function
_ZN7rocprim17ROCPRIM_400000_NS6detail17trampoline_kernelINS0_14default_configENS1_20scan_config_selectorIjEEZZNS1_9scan_implILNS1_25lookback_scan_determinismE0ELb0ELb0ES3_N6thrust23THRUST_200600_302600_NS6detail15normal_iteratorINS9_10device_ptrIjEEEENS9_16discard_iteratorINS9_11use_defaultEEEjNS9_4plusIvEEjEEDaPvRmT3_T4_T5_mT6_P12ihipStream_tbENKUlT_T0_E_clISt17integral_constantIbLb0EESX_EEDaSS_ST_EUlSS_E0_NS1_11comp_targetILNS1_3genE0ELNS1_11target_archE4294967295ELNS1_3gpuE0ELNS1_3repE0EEENS1_30default_config_static_selectorELNS0_4arch9wavefront6targetE1EEEvT1_: ; @_ZN7rocprim17ROCPRIM_400000_NS6detail17trampoline_kernelINS0_14default_configENS1_20scan_config_selectorIjEEZZNS1_9scan_implILNS1_25lookback_scan_determinismE0ELb0ELb0ES3_N6thrust23THRUST_200600_302600_NS6detail15normal_iteratorINS9_10device_ptrIjEEEENS9_16discard_iteratorINS9_11use_defaultEEEjNS9_4plusIvEEjEEDaPvRmT3_T4_T5_mT6_P12ihipStream_tbENKUlT_T0_E_clISt17integral_constantIbLb0EESX_EEDaSS_ST_EUlSS_E0_NS1_11comp_targetILNS1_3genE0ELNS1_11target_archE4294967295ELNS1_3gpuE0ELNS1_3repE0EEENS1_30default_config_static_selectorELNS0_4arch9wavefront6targetE1EEEvT1_
; %bb.0:
	.section	.rodata,"a",@progbits
	.p2align	6, 0x0
	.amdhsa_kernel _ZN7rocprim17ROCPRIM_400000_NS6detail17trampoline_kernelINS0_14default_configENS1_20scan_config_selectorIjEEZZNS1_9scan_implILNS1_25lookback_scan_determinismE0ELb0ELb0ES3_N6thrust23THRUST_200600_302600_NS6detail15normal_iteratorINS9_10device_ptrIjEEEENS9_16discard_iteratorINS9_11use_defaultEEEjNS9_4plusIvEEjEEDaPvRmT3_T4_T5_mT6_P12ihipStream_tbENKUlT_T0_E_clISt17integral_constantIbLb0EESX_EEDaSS_ST_EUlSS_E0_NS1_11comp_targetILNS1_3genE0ELNS1_11target_archE4294967295ELNS1_3gpuE0ELNS1_3repE0EEENS1_30default_config_static_selectorELNS0_4arch9wavefront6targetE1EEEvT1_
		.amdhsa_group_segment_fixed_size 0
		.amdhsa_private_segment_fixed_size 0
		.amdhsa_kernarg_size 40
		.amdhsa_user_sgpr_count 6
		.amdhsa_user_sgpr_private_segment_buffer 1
		.amdhsa_user_sgpr_dispatch_ptr 0
		.amdhsa_user_sgpr_queue_ptr 0
		.amdhsa_user_sgpr_kernarg_segment_ptr 1
		.amdhsa_user_sgpr_dispatch_id 0
		.amdhsa_user_sgpr_flat_scratch_init 0
		.amdhsa_user_sgpr_kernarg_preload_length 0
		.amdhsa_user_sgpr_kernarg_preload_offset 0
		.amdhsa_user_sgpr_private_segment_size 0
		.amdhsa_uses_dynamic_stack 0
		.amdhsa_system_sgpr_private_segment_wavefront_offset 0
		.amdhsa_system_sgpr_workgroup_id_x 1
		.amdhsa_system_sgpr_workgroup_id_y 0
		.amdhsa_system_sgpr_workgroup_id_z 0
		.amdhsa_system_sgpr_workgroup_info 0
		.amdhsa_system_vgpr_workitem_id 0
		.amdhsa_next_free_vgpr 1
		.amdhsa_next_free_sgpr 0
		.amdhsa_accum_offset 4
		.amdhsa_reserve_vcc 0
		.amdhsa_reserve_flat_scratch 0
		.amdhsa_float_round_mode_32 0
		.amdhsa_float_round_mode_16_64 0
		.amdhsa_float_denorm_mode_32 3
		.amdhsa_float_denorm_mode_16_64 3
		.amdhsa_dx10_clamp 1
		.amdhsa_ieee_mode 1
		.amdhsa_fp16_overflow 0
		.amdhsa_tg_split 0
		.amdhsa_exception_fp_ieee_invalid_op 0
		.amdhsa_exception_fp_denorm_src 0
		.amdhsa_exception_fp_ieee_div_zero 0
		.amdhsa_exception_fp_ieee_overflow 0
		.amdhsa_exception_fp_ieee_underflow 0
		.amdhsa_exception_fp_ieee_inexact 0
		.amdhsa_exception_int_div_zero 0
	.end_amdhsa_kernel
	.section	.text._ZN7rocprim17ROCPRIM_400000_NS6detail17trampoline_kernelINS0_14default_configENS1_20scan_config_selectorIjEEZZNS1_9scan_implILNS1_25lookback_scan_determinismE0ELb0ELb0ES3_N6thrust23THRUST_200600_302600_NS6detail15normal_iteratorINS9_10device_ptrIjEEEENS9_16discard_iteratorINS9_11use_defaultEEEjNS9_4plusIvEEjEEDaPvRmT3_T4_T5_mT6_P12ihipStream_tbENKUlT_T0_E_clISt17integral_constantIbLb0EESX_EEDaSS_ST_EUlSS_E0_NS1_11comp_targetILNS1_3genE0ELNS1_11target_archE4294967295ELNS1_3gpuE0ELNS1_3repE0EEENS1_30default_config_static_selectorELNS0_4arch9wavefront6targetE1EEEvT1_,"axG",@progbits,_ZN7rocprim17ROCPRIM_400000_NS6detail17trampoline_kernelINS0_14default_configENS1_20scan_config_selectorIjEEZZNS1_9scan_implILNS1_25lookback_scan_determinismE0ELb0ELb0ES3_N6thrust23THRUST_200600_302600_NS6detail15normal_iteratorINS9_10device_ptrIjEEEENS9_16discard_iteratorINS9_11use_defaultEEEjNS9_4plusIvEEjEEDaPvRmT3_T4_T5_mT6_P12ihipStream_tbENKUlT_T0_E_clISt17integral_constantIbLb0EESX_EEDaSS_ST_EUlSS_E0_NS1_11comp_targetILNS1_3genE0ELNS1_11target_archE4294967295ELNS1_3gpuE0ELNS1_3repE0EEENS1_30default_config_static_selectorELNS0_4arch9wavefront6targetE1EEEvT1_,comdat
.Lfunc_end5303:
	.size	_ZN7rocprim17ROCPRIM_400000_NS6detail17trampoline_kernelINS0_14default_configENS1_20scan_config_selectorIjEEZZNS1_9scan_implILNS1_25lookback_scan_determinismE0ELb0ELb0ES3_N6thrust23THRUST_200600_302600_NS6detail15normal_iteratorINS9_10device_ptrIjEEEENS9_16discard_iteratorINS9_11use_defaultEEEjNS9_4plusIvEEjEEDaPvRmT3_T4_T5_mT6_P12ihipStream_tbENKUlT_T0_E_clISt17integral_constantIbLb0EESX_EEDaSS_ST_EUlSS_E0_NS1_11comp_targetILNS1_3genE0ELNS1_11target_archE4294967295ELNS1_3gpuE0ELNS1_3repE0EEENS1_30default_config_static_selectorELNS0_4arch9wavefront6targetE1EEEvT1_, .Lfunc_end5303-_ZN7rocprim17ROCPRIM_400000_NS6detail17trampoline_kernelINS0_14default_configENS1_20scan_config_selectorIjEEZZNS1_9scan_implILNS1_25lookback_scan_determinismE0ELb0ELb0ES3_N6thrust23THRUST_200600_302600_NS6detail15normal_iteratorINS9_10device_ptrIjEEEENS9_16discard_iteratorINS9_11use_defaultEEEjNS9_4plusIvEEjEEDaPvRmT3_T4_T5_mT6_P12ihipStream_tbENKUlT_T0_E_clISt17integral_constantIbLb0EESX_EEDaSS_ST_EUlSS_E0_NS1_11comp_targetILNS1_3genE0ELNS1_11target_archE4294967295ELNS1_3gpuE0ELNS1_3repE0EEENS1_30default_config_static_selectorELNS0_4arch9wavefront6targetE1EEEvT1_
                                        ; -- End function
	.section	.AMDGPU.csdata,"",@progbits
; Kernel info:
; codeLenInByte = 0
; NumSgprs: 4
; NumVgprs: 0
; NumAgprs: 0
; TotalNumVgprs: 0
; ScratchSize: 0
; MemoryBound: 0
; FloatMode: 240
; IeeeMode: 1
; LDSByteSize: 0 bytes/workgroup (compile time only)
; SGPRBlocks: 0
; VGPRBlocks: 0
; NumSGPRsForWavesPerEU: 4
; NumVGPRsForWavesPerEU: 1
; AccumOffset: 4
; Occupancy: 8
; WaveLimiterHint : 0
; COMPUTE_PGM_RSRC2:SCRATCH_EN: 0
; COMPUTE_PGM_RSRC2:USER_SGPR: 6
; COMPUTE_PGM_RSRC2:TRAP_HANDLER: 0
; COMPUTE_PGM_RSRC2:TGID_X_EN: 1
; COMPUTE_PGM_RSRC2:TGID_Y_EN: 0
; COMPUTE_PGM_RSRC2:TGID_Z_EN: 0
; COMPUTE_PGM_RSRC2:TIDIG_COMP_CNT: 0
; COMPUTE_PGM_RSRC3_GFX90A:ACCUM_OFFSET: 0
; COMPUTE_PGM_RSRC3_GFX90A:TG_SPLIT: 0
	.section	.text._ZN7rocprim17ROCPRIM_400000_NS6detail17trampoline_kernelINS0_14default_configENS1_20scan_config_selectorIjEEZZNS1_9scan_implILNS1_25lookback_scan_determinismE0ELb0ELb0ES3_N6thrust23THRUST_200600_302600_NS6detail15normal_iteratorINS9_10device_ptrIjEEEENS9_16discard_iteratorINS9_11use_defaultEEEjNS9_4plusIvEEjEEDaPvRmT3_T4_T5_mT6_P12ihipStream_tbENKUlT_T0_E_clISt17integral_constantIbLb0EESX_EEDaSS_ST_EUlSS_E0_NS1_11comp_targetILNS1_3genE5ELNS1_11target_archE942ELNS1_3gpuE9ELNS1_3repE0EEENS1_30default_config_static_selectorELNS0_4arch9wavefront6targetE1EEEvT1_,"axG",@progbits,_ZN7rocprim17ROCPRIM_400000_NS6detail17trampoline_kernelINS0_14default_configENS1_20scan_config_selectorIjEEZZNS1_9scan_implILNS1_25lookback_scan_determinismE0ELb0ELb0ES3_N6thrust23THRUST_200600_302600_NS6detail15normal_iteratorINS9_10device_ptrIjEEEENS9_16discard_iteratorINS9_11use_defaultEEEjNS9_4plusIvEEjEEDaPvRmT3_T4_T5_mT6_P12ihipStream_tbENKUlT_T0_E_clISt17integral_constantIbLb0EESX_EEDaSS_ST_EUlSS_E0_NS1_11comp_targetILNS1_3genE5ELNS1_11target_archE942ELNS1_3gpuE9ELNS1_3repE0EEENS1_30default_config_static_selectorELNS0_4arch9wavefront6targetE1EEEvT1_,comdat
	.protected	_ZN7rocprim17ROCPRIM_400000_NS6detail17trampoline_kernelINS0_14default_configENS1_20scan_config_selectorIjEEZZNS1_9scan_implILNS1_25lookback_scan_determinismE0ELb0ELb0ES3_N6thrust23THRUST_200600_302600_NS6detail15normal_iteratorINS9_10device_ptrIjEEEENS9_16discard_iteratorINS9_11use_defaultEEEjNS9_4plusIvEEjEEDaPvRmT3_T4_T5_mT6_P12ihipStream_tbENKUlT_T0_E_clISt17integral_constantIbLb0EESX_EEDaSS_ST_EUlSS_E0_NS1_11comp_targetILNS1_3genE5ELNS1_11target_archE942ELNS1_3gpuE9ELNS1_3repE0EEENS1_30default_config_static_selectorELNS0_4arch9wavefront6targetE1EEEvT1_ ; -- Begin function _ZN7rocprim17ROCPRIM_400000_NS6detail17trampoline_kernelINS0_14default_configENS1_20scan_config_selectorIjEEZZNS1_9scan_implILNS1_25lookback_scan_determinismE0ELb0ELb0ES3_N6thrust23THRUST_200600_302600_NS6detail15normal_iteratorINS9_10device_ptrIjEEEENS9_16discard_iteratorINS9_11use_defaultEEEjNS9_4plusIvEEjEEDaPvRmT3_T4_T5_mT6_P12ihipStream_tbENKUlT_T0_E_clISt17integral_constantIbLb0EESX_EEDaSS_ST_EUlSS_E0_NS1_11comp_targetILNS1_3genE5ELNS1_11target_archE942ELNS1_3gpuE9ELNS1_3repE0EEENS1_30default_config_static_selectorELNS0_4arch9wavefront6targetE1EEEvT1_
	.globl	_ZN7rocprim17ROCPRIM_400000_NS6detail17trampoline_kernelINS0_14default_configENS1_20scan_config_selectorIjEEZZNS1_9scan_implILNS1_25lookback_scan_determinismE0ELb0ELb0ES3_N6thrust23THRUST_200600_302600_NS6detail15normal_iteratorINS9_10device_ptrIjEEEENS9_16discard_iteratorINS9_11use_defaultEEEjNS9_4plusIvEEjEEDaPvRmT3_T4_T5_mT6_P12ihipStream_tbENKUlT_T0_E_clISt17integral_constantIbLb0EESX_EEDaSS_ST_EUlSS_E0_NS1_11comp_targetILNS1_3genE5ELNS1_11target_archE942ELNS1_3gpuE9ELNS1_3repE0EEENS1_30default_config_static_selectorELNS0_4arch9wavefront6targetE1EEEvT1_
	.p2align	8
	.type	_ZN7rocprim17ROCPRIM_400000_NS6detail17trampoline_kernelINS0_14default_configENS1_20scan_config_selectorIjEEZZNS1_9scan_implILNS1_25lookback_scan_determinismE0ELb0ELb0ES3_N6thrust23THRUST_200600_302600_NS6detail15normal_iteratorINS9_10device_ptrIjEEEENS9_16discard_iteratorINS9_11use_defaultEEEjNS9_4plusIvEEjEEDaPvRmT3_T4_T5_mT6_P12ihipStream_tbENKUlT_T0_E_clISt17integral_constantIbLb0EESX_EEDaSS_ST_EUlSS_E0_NS1_11comp_targetILNS1_3genE5ELNS1_11target_archE942ELNS1_3gpuE9ELNS1_3repE0EEENS1_30default_config_static_selectorELNS0_4arch9wavefront6targetE1EEEvT1_,@function
_ZN7rocprim17ROCPRIM_400000_NS6detail17trampoline_kernelINS0_14default_configENS1_20scan_config_selectorIjEEZZNS1_9scan_implILNS1_25lookback_scan_determinismE0ELb0ELb0ES3_N6thrust23THRUST_200600_302600_NS6detail15normal_iteratorINS9_10device_ptrIjEEEENS9_16discard_iteratorINS9_11use_defaultEEEjNS9_4plusIvEEjEEDaPvRmT3_T4_T5_mT6_P12ihipStream_tbENKUlT_T0_E_clISt17integral_constantIbLb0EESX_EEDaSS_ST_EUlSS_E0_NS1_11comp_targetILNS1_3genE5ELNS1_11target_archE942ELNS1_3gpuE9ELNS1_3repE0EEENS1_30default_config_static_selectorELNS0_4arch9wavefront6targetE1EEEvT1_: ; @_ZN7rocprim17ROCPRIM_400000_NS6detail17trampoline_kernelINS0_14default_configENS1_20scan_config_selectorIjEEZZNS1_9scan_implILNS1_25lookback_scan_determinismE0ELb0ELb0ES3_N6thrust23THRUST_200600_302600_NS6detail15normal_iteratorINS9_10device_ptrIjEEEENS9_16discard_iteratorINS9_11use_defaultEEEjNS9_4plusIvEEjEEDaPvRmT3_T4_T5_mT6_P12ihipStream_tbENKUlT_T0_E_clISt17integral_constantIbLb0EESX_EEDaSS_ST_EUlSS_E0_NS1_11comp_targetILNS1_3genE5ELNS1_11target_archE942ELNS1_3gpuE9ELNS1_3repE0EEENS1_30default_config_static_selectorELNS0_4arch9wavefront6targetE1EEEvT1_
; %bb.0:
	.section	.rodata,"a",@progbits
	.p2align	6, 0x0
	.amdhsa_kernel _ZN7rocprim17ROCPRIM_400000_NS6detail17trampoline_kernelINS0_14default_configENS1_20scan_config_selectorIjEEZZNS1_9scan_implILNS1_25lookback_scan_determinismE0ELb0ELb0ES3_N6thrust23THRUST_200600_302600_NS6detail15normal_iteratorINS9_10device_ptrIjEEEENS9_16discard_iteratorINS9_11use_defaultEEEjNS9_4plusIvEEjEEDaPvRmT3_T4_T5_mT6_P12ihipStream_tbENKUlT_T0_E_clISt17integral_constantIbLb0EESX_EEDaSS_ST_EUlSS_E0_NS1_11comp_targetILNS1_3genE5ELNS1_11target_archE942ELNS1_3gpuE9ELNS1_3repE0EEENS1_30default_config_static_selectorELNS0_4arch9wavefront6targetE1EEEvT1_
		.amdhsa_group_segment_fixed_size 0
		.amdhsa_private_segment_fixed_size 0
		.amdhsa_kernarg_size 40
		.amdhsa_user_sgpr_count 6
		.amdhsa_user_sgpr_private_segment_buffer 1
		.amdhsa_user_sgpr_dispatch_ptr 0
		.amdhsa_user_sgpr_queue_ptr 0
		.amdhsa_user_sgpr_kernarg_segment_ptr 1
		.amdhsa_user_sgpr_dispatch_id 0
		.amdhsa_user_sgpr_flat_scratch_init 0
		.amdhsa_user_sgpr_kernarg_preload_length 0
		.amdhsa_user_sgpr_kernarg_preload_offset 0
		.amdhsa_user_sgpr_private_segment_size 0
		.amdhsa_uses_dynamic_stack 0
		.amdhsa_system_sgpr_private_segment_wavefront_offset 0
		.amdhsa_system_sgpr_workgroup_id_x 1
		.amdhsa_system_sgpr_workgroup_id_y 0
		.amdhsa_system_sgpr_workgroup_id_z 0
		.amdhsa_system_sgpr_workgroup_info 0
		.amdhsa_system_vgpr_workitem_id 0
		.amdhsa_next_free_vgpr 1
		.amdhsa_next_free_sgpr 0
		.amdhsa_accum_offset 4
		.amdhsa_reserve_vcc 0
		.amdhsa_reserve_flat_scratch 0
		.amdhsa_float_round_mode_32 0
		.amdhsa_float_round_mode_16_64 0
		.amdhsa_float_denorm_mode_32 3
		.amdhsa_float_denorm_mode_16_64 3
		.amdhsa_dx10_clamp 1
		.amdhsa_ieee_mode 1
		.amdhsa_fp16_overflow 0
		.amdhsa_tg_split 0
		.amdhsa_exception_fp_ieee_invalid_op 0
		.amdhsa_exception_fp_denorm_src 0
		.amdhsa_exception_fp_ieee_div_zero 0
		.amdhsa_exception_fp_ieee_overflow 0
		.amdhsa_exception_fp_ieee_underflow 0
		.amdhsa_exception_fp_ieee_inexact 0
		.amdhsa_exception_int_div_zero 0
	.end_amdhsa_kernel
	.section	.text._ZN7rocprim17ROCPRIM_400000_NS6detail17trampoline_kernelINS0_14default_configENS1_20scan_config_selectorIjEEZZNS1_9scan_implILNS1_25lookback_scan_determinismE0ELb0ELb0ES3_N6thrust23THRUST_200600_302600_NS6detail15normal_iteratorINS9_10device_ptrIjEEEENS9_16discard_iteratorINS9_11use_defaultEEEjNS9_4plusIvEEjEEDaPvRmT3_T4_T5_mT6_P12ihipStream_tbENKUlT_T0_E_clISt17integral_constantIbLb0EESX_EEDaSS_ST_EUlSS_E0_NS1_11comp_targetILNS1_3genE5ELNS1_11target_archE942ELNS1_3gpuE9ELNS1_3repE0EEENS1_30default_config_static_selectorELNS0_4arch9wavefront6targetE1EEEvT1_,"axG",@progbits,_ZN7rocprim17ROCPRIM_400000_NS6detail17trampoline_kernelINS0_14default_configENS1_20scan_config_selectorIjEEZZNS1_9scan_implILNS1_25lookback_scan_determinismE0ELb0ELb0ES3_N6thrust23THRUST_200600_302600_NS6detail15normal_iteratorINS9_10device_ptrIjEEEENS9_16discard_iteratorINS9_11use_defaultEEEjNS9_4plusIvEEjEEDaPvRmT3_T4_T5_mT6_P12ihipStream_tbENKUlT_T0_E_clISt17integral_constantIbLb0EESX_EEDaSS_ST_EUlSS_E0_NS1_11comp_targetILNS1_3genE5ELNS1_11target_archE942ELNS1_3gpuE9ELNS1_3repE0EEENS1_30default_config_static_selectorELNS0_4arch9wavefront6targetE1EEEvT1_,comdat
.Lfunc_end5304:
	.size	_ZN7rocprim17ROCPRIM_400000_NS6detail17trampoline_kernelINS0_14default_configENS1_20scan_config_selectorIjEEZZNS1_9scan_implILNS1_25lookback_scan_determinismE0ELb0ELb0ES3_N6thrust23THRUST_200600_302600_NS6detail15normal_iteratorINS9_10device_ptrIjEEEENS9_16discard_iteratorINS9_11use_defaultEEEjNS9_4plusIvEEjEEDaPvRmT3_T4_T5_mT6_P12ihipStream_tbENKUlT_T0_E_clISt17integral_constantIbLb0EESX_EEDaSS_ST_EUlSS_E0_NS1_11comp_targetILNS1_3genE5ELNS1_11target_archE942ELNS1_3gpuE9ELNS1_3repE0EEENS1_30default_config_static_selectorELNS0_4arch9wavefront6targetE1EEEvT1_, .Lfunc_end5304-_ZN7rocprim17ROCPRIM_400000_NS6detail17trampoline_kernelINS0_14default_configENS1_20scan_config_selectorIjEEZZNS1_9scan_implILNS1_25lookback_scan_determinismE0ELb0ELb0ES3_N6thrust23THRUST_200600_302600_NS6detail15normal_iteratorINS9_10device_ptrIjEEEENS9_16discard_iteratorINS9_11use_defaultEEEjNS9_4plusIvEEjEEDaPvRmT3_T4_T5_mT6_P12ihipStream_tbENKUlT_T0_E_clISt17integral_constantIbLb0EESX_EEDaSS_ST_EUlSS_E0_NS1_11comp_targetILNS1_3genE5ELNS1_11target_archE942ELNS1_3gpuE9ELNS1_3repE0EEENS1_30default_config_static_selectorELNS0_4arch9wavefront6targetE1EEEvT1_
                                        ; -- End function
	.section	.AMDGPU.csdata,"",@progbits
; Kernel info:
; codeLenInByte = 0
; NumSgprs: 4
; NumVgprs: 0
; NumAgprs: 0
; TotalNumVgprs: 0
; ScratchSize: 0
; MemoryBound: 0
; FloatMode: 240
; IeeeMode: 1
; LDSByteSize: 0 bytes/workgroup (compile time only)
; SGPRBlocks: 0
; VGPRBlocks: 0
; NumSGPRsForWavesPerEU: 4
; NumVGPRsForWavesPerEU: 1
; AccumOffset: 4
; Occupancy: 8
; WaveLimiterHint : 0
; COMPUTE_PGM_RSRC2:SCRATCH_EN: 0
; COMPUTE_PGM_RSRC2:USER_SGPR: 6
; COMPUTE_PGM_RSRC2:TRAP_HANDLER: 0
; COMPUTE_PGM_RSRC2:TGID_X_EN: 1
; COMPUTE_PGM_RSRC2:TGID_Y_EN: 0
; COMPUTE_PGM_RSRC2:TGID_Z_EN: 0
; COMPUTE_PGM_RSRC2:TIDIG_COMP_CNT: 0
; COMPUTE_PGM_RSRC3_GFX90A:ACCUM_OFFSET: 0
; COMPUTE_PGM_RSRC3_GFX90A:TG_SPLIT: 0
	.section	.text._ZN7rocprim17ROCPRIM_400000_NS6detail17trampoline_kernelINS0_14default_configENS1_20scan_config_selectorIjEEZZNS1_9scan_implILNS1_25lookback_scan_determinismE0ELb0ELb0ES3_N6thrust23THRUST_200600_302600_NS6detail15normal_iteratorINS9_10device_ptrIjEEEENS9_16discard_iteratorINS9_11use_defaultEEEjNS9_4plusIvEEjEEDaPvRmT3_T4_T5_mT6_P12ihipStream_tbENKUlT_T0_E_clISt17integral_constantIbLb0EESX_EEDaSS_ST_EUlSS_E0_NS1_11comp_targetILNS1_3genE4ELNS1_11target_archE910ELNS1_3gpuE8ELNS1_3repE0EEENS1_30default_config_static_selectorELNS0_4arch9wavefront6targetE1EEEvT1_,"axG",@progbits,_ZN7rocprim17ROCPRIM_400000_NS6detail17trampoline_kernelINS0_14default_configENS1_20scan_config_selectorIjEEZZNS1_9scan_implILNS1_25lookback_scan_determinismE0ELb0ELb0ES3_N6thrust23THRUST_200600_302600_NS6detail15normal_iteratorINS9_10device_ptrIjEEEENS9_16discard_iteratorINS9_11use_defaultEEEjNS9_4plusIvEEjEEDaPvRmT3_T4_T5_mT6_P12ihipStream_tbENKUlT_T0_E_clISt17integral_constantIbLb0EESX_EEDaSS_ST_EUlSS_E0_NS1_11comp_targetILNS1_3genE4ELNS1_11target_archE910ELNS1_3gpuE8ELNS1_3repE0EEENS1_30default_config_static_selectorELNS0_4arch9wavefront6targetE1EEEvT1_,comdat
	.protected	_ZN7rocprim17ROCPRIM_400000_NS6detail17trampoline_kernelINS0_14default_configENS1_20scan_config_selectorIjEEZZNS1_9scan_implILNS1_25lookback_scan_determinismE0ELb0ELb0ES3_N6thrust23THRUST_200600_302600_NS6detail15normal_iteratorINS9_10device_ptrIjEEEENS9_16discard_iteratorINS9_11use_defaultEEEjNS9_4plusIvEEjEEDaPvRmT3_T4_T5_mT6_P12ihipStream_tbENKUlT_T0_E_clISt17integral_constantIbLb0EESX_EEDaSS_ST_EUlSS_E0_NS1_11comp_targetILNS1_3genE4ELNS1_11target_archE910ELNS1_3gpuE8ELNS1_3repE0EEENS1_30default_config_static_selectorELNS0_4arch9wavefront6targetE1EEEvT1_ ; -- Begin function _ZN7rocprim17ROCPRIM_400000_NS6detail17trampoline_kernelINS0_14default_configENS1_20scan_config_selectorIjEEZZNS1_9scan_implILNS1_25lookback_scan_determinismE0ELb0ELb0ES3_N6thrust23THRUST_200600_302600_NS6detail15normal_iteratorINS9_10device_ptrIjEEEENS9_16discard_iteratorINS9_11use_defaultEEEjNS9_4plusIvEEjEEDaPvRmT3_T4_T5_mT6_P12ihipStream_tbENKUlT_T0_E_clISt17integral_constantIbLb0EESX_EEDaSS_ST_EUlSS_E0_NS1_11comp_targetILNS1_3genE4ELNS1_11target_archE910ELNS1_3gpuE8ELNS1_3repE0EEENS1_30default_config_static_selectorELNS0_4arch9wavefront6targetE1EEEvT1_
	.globl	_ZN7rocprim17ROCPRIM_400000_NS6detail17trampoline_kernelINS0_14default_configENS1_20scan_config_selectorIjEEZZNS1_9scan_implILNS1_25lookback_scan_determinismE0ELb0ELb0ES3_N6thrust23THRUST_200600_302600_NS6detail15normal_iteratorINS9_10device_ptrIjEEEENS9_16discard_iteratorINS9_11use_defaultEEEjNS9_4plusIvEEjEEDaPvRmT3_T4_T5_mT6_P12ihipStream_tbENKUlT_T0_E_clISt17integral_constantIbLb0EESX_EEDaSS_ST_EUlSS_E0_NS1_11comp_targetILNS1_3genE4ELNS1_11target_archE910ELNS1_3gpuE8ELNS1_3repE0EEENS1_30default_config_static_selectorELNS0_4arch9wavefront6targetE1EEEvT1_
	.p2align	8
	.type	_ZN7rocprim17ROCPRIM_400000_NS6detail17trampoline_kernelINS0_14default_configENS1_20scan_config_selectorIjEEZZNS1_9scan_implILNS1_25lookback_scan_determinismE0ELb0ELb0ES3_N6thrust23THRUST_200600_302600_NS6detail15normal_iteratorINS9_10device_ptrIjEEEENS9_16discard_iteratorINS9_11use_defaultEEEjNS9_4plusIvEEjEEDaPvRmT3_T4_T5_mT6_P12ihipStream_tbENKUlT_T0_E_clISt17integral_constantIbLb0EESX_EEDaSS_ST_EUlSS_E0_NS1_11comp_targetILNS1_3genE4ELNS1_11target_archE910ELNS1_3gpuE8ELNS1_3repE0EEENS1_30default_config_static_selectorELNS0_4arch9wavefront6targetE1EEEvT1_,@function
_ZN7rocprim17ROCPRIM_400000_NS6detail17trampoline_kernelINS0_14default_configENS1_20scan_config_selectorIjEEZZNS1_9scan_implILNS1_25lookback_scan_determinismE0ELb0ELb0ES3_N6thrust23THRUST_200600_302600_NS6detail15normal_iteratorINS9_10device_ptrIjEEEENS9_16discard_iteratorINS9_11use_defaultEEEjNS9_4plusIvEEjEEDaPvRmT3_T4_T5_mT6_P12ihipStream_tbENKUlT_T0_E_clISt17integral_constantIbLb0EESX_EEDaSS_ST_EUlSS_E0_NS1_11comp_targetILNS1_3genE4ELNS1_11target_archE910ELNS1_3gpuE8ELNS1_3repE0EEENS1_30default_config_static_selectorELNS0_4arch9wavefront6targetE1EEEvT1_: ; @_ZN7rocprim17ROCPRIM_400000_NS6detail17trampoline_kernelINS0_14default_configENS1_20scan_config_selectorIjEEZZNS1_9scan_implILNS1_25lookback_scan_determinismE0ELb0ELb0ES3_N6thrust23THRUST_200600_302600_NS6detail15normal_iteratorINS9_10device_ptrIjEEEENS9_16discard_iteratorINS9_11use_defaultEEEjNS9_4plusIvEEjEEDaPvRmT3_T4_T5_mT6_P12ihipStream_tbENKUlT_T0_E_clISt17integral_constantIbLb0EESX_EEDaSS_ST_EUlSS_E0_NS1_11comp_targetILNS1_3genE4ELNS1_11target_archE910ELNS1_3gpuE8ELNS1_3repE0EEENS1_30default_config_static_selectorELNS0_4arch9wavefront6targetE1EEEvT1_
; %bb.0:
	s_load_dwordx4 s[0:3], s[4:5], 0x0
	v_lshlrev_b32_e32 v20, 2, v0
	s_waitcnt lgkmcnt(0)
	s_load_dword s3, s[0:1], 0x0
	v_cmp_gt_u32_e32 vcc, s2, v0
	s_waitcnt lgkmcnt(0)
	v_mov_b32_e32 v1, s3
	s_and_saveexec_b64 s[4:5], vcc
	s_cbranch_execz .LBB5305_2
; %bb.1:
	global_load_dword v1, v20, s[0:1]
.LBB5305_2:
	s_or_b64 exec, exec, s[4:5]
	v_or_b32_e32 v2, 0x80, v0
	v_cmp_gt_u32_e32 vcc, s2, v2
	v_mov_b32_e32 v2, s3
	s_and_saveexec_b64 s[4:5], vcc
	s_cbranch_execz .LBB5305_4
; %bb.3:
	global_load_dword v2, v20, s[0:1] offset:512
.LBB5305_4:
	s_or_b64 exec, exec, s[4:5]
	v_or_b32_e32 v3, 0x100, v0
	v_cmp_gt_u32_e32 vcc, s2, v3
	v_mov_b32_e32 v3, s3
	s_and_saveexec_b64 s[4:5], vcc
	s_cbranch_execz .LBB5305_6
; %bb.5:
	global_load_dword v3, v20, s[0:1] offset:1024
.LBB5305_6:
	;; [unrolled: 9-line block ×7, first 2 shown]
	s_or_b64 exec, exec, s[4:5]
	v_or_b32_e32 v10, 0x400, v0
	v_cmp_gt_u32_e32 vcc, s2, v10
	v_mov_b32_e32 v9, s3
	s_and_saveexec_b64 s[4:5], vcc
	s_cbranch_execz .LBB5305_18
; %bb.17:
	v_lshlrev_b32_e32 v9, 2, v10
	global_load_dword v9, v9, s[0:1]
.LBB5305_18:
	s_or_b64 exec, exec, s[4:5]
	v_or_b32_e32 v11, 0x480, v0
	v_cmp_gt_u32_e32 vcc, s2, v11
	v_mov_b32_e32 v10, s3
	s_and_saveexec_b64 s[2:3], vcc
	s_cbranch_execz .LBB5305_20
; %bb.19:
	v_lshlrev_b32_e32 v10, 2, v11
	global_load_dword v10, v10, s[0:1]
.LBB5305_20:
	s_or_b64 exec, exec, s[2:3]
	s_waitcnt vmcnt(0)
	ds_write2st64_b32 v20, v1, v2 offset1:2
	ds_write2st64_b32 v20, v3, v4 offset0:4 offset1:6
	ds_write2st64_b32 v20, v5, v6 offset0:8 offset1:10
	;; [unrolled: 1-line block ×4, first 2 shown]
	v_mad_u32_u24 v1, v0, 36, v20
	s_waitcnt lgkmcnt(0)
	s_barrier
	ds_read2_b64 v[6:9], v1 offset1:1
	ds_read2_b64 v[2:5], v1 offset0:2 offset1:3
	ds_read_b64 v[18:19], v1 offset:32
	v_lshrrev_b32_e32 v21, 3, v0
	v_and_b32_e32 v21, 12, v21
	s_waitcnt lgkmcnt(2)
	v_add_u32_e32 v1, v7, v6
	v_add_u32_e32 v14, v1, v8
	;; [unrolled: 1-line block ×3, first 2 shown]
	s_waitcnt lgkmcnt(1)
	v_add_u32_e32 v10, v15, v2
	v_add_u32_e32 v11, v10, v3
	;; [unrolled: 1-line block ×4, first 2 shown]
	s_waitcnt lgkmcnt(0)
	v_add_u32_e32 v16, v13, v18
	v_add_u32_e32 v17, v16, v19
	;; [unrolled: 1-line block ×3, first 2 shown]
	v_cmp_gt_u32_e32 vcc, 64, v0
	s_barrier
	ds_write_b32 v21, v17
	s_waitcnt lgkmcnt(0)
	s_barrier
	s_and_saveexec_b64 s[0:1], vcc
	s_cbranch_execz .LBB5305_22
; %bb.21:
	v_lshlrev_b32_e32 v21, 1, v0
	v_lshrrev_b32_e32 v22, 4, v0
	v_add_lshl_u32 v21, v22, v21, 2
	ds_read2_b32 v[22:23], v21 offset1:1
	v_mbcnt_lo_u32_b32 v24, -1, 0
	v_mbcnt_hi_u32_b32 v24, -1, v24
	v_and_b32_e32 v25, 15, v24
	v_cmp_ne_u32_e32 vcc, 0, v25
	s_waitcnt lgkmcnt(0)
	v_add_u32_e32 v23, v23, v22
	; wave barrier
	s_nop 1
	v_mov_b32_dpp v26, v23 row_shr:1 row_mask:0xf bank_mask:0xf
	v_cndmask_b32_e32 v26, 0, v26, vcc
	v_add_u32_e32 v23, v26, v23
	v_cmp_lt_u32_e32 vcc, 1, v25
	s_nop 0
	v_mov_b32_dpp v26, v23 row_shr:2 row_mask:0xf bank_mask:0xf
	v_cndmask_b32_e32 v26, 0, v26, vcc
	v_add_u32_e32 v23, v23, v26
	v_cmp_lt_u32_e32 vcc, 3, v25
	;; [unrolled: 5-line block ×3, first 2 shown]
	s_nop 0
	v_mov_b32_dpp v26, v23 row_shr:8 row_mask:0xf bank_mask:0xf
	v_cndmask_b32_e32 v25, 0, v26, vcc
	v_add_u32_e32 v23, v23, v25
	v_bfe_i32 v26, v24, 4, 1
	v_cmp_lt_u32_e32 vcc, 31, v24
	v_mov_b32_dpp v25, v23 row_bcast:15 row_mask:0xf bank_mask:0xf
	v_and_b32_e32 v25, v26, v25
	v_add_u32_e32 v23, v23, v25
	v_and_b32_e32 v26, 64, v24
	s_nop 0
	v_mov_b32_dpp v25, v23 row_bcast:31 row_mask:0xf bank_mask:0xf
	v_cndmask_b32_e32 v25, 0, v25, vcc
	v_add_u32_e32 v23, v23, v25
	v_add_u32_e32 v25, -1, v24
	v_cmp_lt_i32_e32 vcc, v25, v26
	v_cndmask_b32_e32 v24, v25, v24, vcc
	v_lshlrev_b32_e32 v24, 2, v24
	ds_bpermute_b32 v23, v24, v23
	v_cmp_eq_u32_e32 vcc, 0, v0
	s_waitcnt lgkmcnt(0)
	v_add_u32_e32 v22, v23, v22
	v_cndmask_b32_e32 v22, v22, v17, vcc
	ds_write_b32 v21, v22
	; wave barrier
	ds_read_b32 v23, v21 offset:4
	s_waitcnt lgkmcnt(0)
	v_add_u32_e32 v22, v23, v22
	ds_write_b32 v21, v22 offset:4
.LBB5305_22:
	s_or_b64 exec, exec, s[0:1]
	v_cmp_ne_u32_e32 vcc, 0, v0
	v_mov_b32_e32 v22, v17
	s_waitcnt lgkmcnt(0)
	s_barrier
	s_and_saveexec_b64 s[0:1], vcc
	s_cbranch_execz .LBB5305_24
; %bb.23:
	v_add_u32_e32 v21, -1, v0
	v_lshrrev_b32_e32 v22, 5, v21
	v_add_lshl_u32 v21, v22, v21, 2
	ds_read_b32 v22, v21
.LBB5305_24:
	s_or_b64 exec, exec, s[0:1]
	v_mul_u32_u24_e32 v21, 36, v0
	v_mov_b32_e32 v0, v6
	s_and_saveexec_b64 s[0:1], vcc
	s_cbranch_execz .LBB5305_26
; %bb.25:
	s_waitcnt lgkmcnt(0)
	v_add_u32_e32 v0, v22, v6
	v_add_u32_e32 v1, v0, v7
	;; [unrolled: 1-line block ×10, first 2 shown]
	;;#ASMSTART
	;;#ASMEND
.LBB5305_26:
	s_or_b64 exec, exec, s[0:1]
	v_add_u32_e32 v2, v20, v21
	s_waitcnt lgkmcnt(0)
	s_barrier
	ds_write2_b64 v2, v[0:1], v[14:15] offset1:1
	ds_write2_b64 v2, v[10:11], v[12:13] offset0:2 offset1:3
	ds_write_b64 v2, v[16:17] offset:32
	s_waitcnt lgkmcnt(0)
	s_barrier
	s_endpgm
	.section	.rodata,"a",@progbits
	.p2align	6, 0x0
	.amdhsa_kernel _ZN7rocprim17ROCPRIM_400000_NS6detail17trampoline_kernelINS0_14default_configENS1_20scan_config_selectorIjEEZZNS1_9scan_implILNS1_25lookback_scan_determinismE0ELb0ELb0ES3_N6thrust23THRUST_200600_302600_NS6detail15normal_iteratorINS9_10device_ptrIjEEEENS9_16discard_iteratorINS9_11use_defaultEEEjNS9_4plusIvEEjEEDaPvRmT3_T4_T5_mT6_P12ihipStream_tbENKUlT_T0_E_clISt17integral_constantIbLb0EESX_EEDaSS_ST_EUlSS_E0_NS1_11comp_targetILNS1_3genE4ELNS1_11target_archE910ELNS1_3gpuE8ELNS1_3repE0EEENS1_30default_config_static_selectorELNS0_4arch9wavefront6targetE1EEEvT1_
		.amdhsa_group_segment_fixed_size 5120
		.amdhsa_private_segment_fixed_size 0
		.amdhsa_kernarg_size 40
		.amdhsa_user_sgpr_count 6
		.amdhsa_user_sgpr_private_segment_buffer 1
		.amdhsa_user_sgpr_dispatch_ptr 0
		.amdhsa_user_sgpr_queue_ptr 0
		.amdhsa_user_sgpr_kernarg_segment_ptr 1
		.amdhsa_user_sgpr_dispatch_id 0
		.amdhsa_user_sgpr_flat_scratch_init 0
		.amdhsa_user_sgpr_kernarg_preload_length 0
		.amdhsa_user_sgpr_kernarg_preload_offset 0
		.amdhsa_user_sgpr_private_segment_size 0
		.amdhsa_uses_dynamic_stack 0
		.amdhsa_system_sgpr_private_segment_wavefront_offset 0
		.amdhsa_system_sgpr_workgroup_id_x 1
		.amdhsa_system_sgpr_workgroup_id_y 0
		.amdhsa_system_sgpr_workgroup_id_z 0
		.amdhsa_system_sgpr_workgroup_info 0
		.amdhsa_system_vgpr_workitem_id 0
		.amdhsa_next_free_vgpr 27
		.amdhsa_next_free_sgpr 6
		.amdhsa_accum_offset 28
		.amdhsa_reserve_vcc 1
		.amdhsa_reserve_flat_scratch 0
		.amdhsa_float_round_mode_32 0
		.amdhsa_float_round_mode_16_64 0
		.amdhsa_float_denorm_mode_32 3
		.amdhsa_float_denorm_mode_16_64 3
		.amdhsa_dx10_clamp 1
		.amdhsa_ieee_mode 1
		.amdhsa_fp16_overflow 0
		.amdhsa_tg_split 0
		.amdhsa_exception_fp_ieee_invalid_op 0
		.amdhsa_exception_fp_denorm_src 0
		.amdhsa_exception_fp_ieee_div_zero 0
		.amdhsa_exception_fp_ieee_overflow 0
		.amdhsa_exception_fp_ieee_underflow 0
		.amdhsa_exception_fp_ieee_inexact 0
		.amdhsa_exception_int_div_zero 0
	.end_amdhsa_kernel
	.section	.text._ZN7rocprim17ROCPRIM_400000_NS6detail17trampoline_kernelINS0_14default_configENS1_20scan_config_selectorIjEEZZNS1_9scan_implILNS1_25lookback_scan_determinismE0ELb0ELb0ES3_N6thrust23THRUST_200600_302600_NS6detail15normal_iteratorINS9_10device_ptrIjEEEENS9_16discard_iteratorINS9_11use_defaultEEEjNS9_4plusIvEEjEEDaPvRmT3_T4_T5_mT6_P12ihipStream_tbENKUlT_T0_E_clISt17integral_constantIbLb0EESX_EEDaSS_ST_EUlSS_E0_NS1_11comp_targetILNS1_3genE4ELNS1_11target_archE910ELNS1_3gpuE8ELNS1_3repE0EEENS1_30default_config_static_selectorELNS0_4arch9wavefront6targetE1EEEvT1_,"axG",@progbits,_ZN7rocprim17ROCPRIM_400000_NS6detail17trampoline_kernelINS0_14default_configENS1_20scan_config_selectorIjEEZZNS1_9scan_implILNS1_25lookback_scan_determinismE0ELb0ELb0ES3_N6thrust23THRUST_200600_302600_NS6detail15normal_iteratorINS9_10device_ptrIjEEEENS9_16discard_iteratorINS9_11use_defaultEEEjNS9_4plusIvEEjEEDaPvRmT3_T4_T5_mT6_P12ihipStream_tbENKUlT_T0_E_clISt17integral_constantIbLb0EESX_EEDaSS_ST_EUlSS_E0_NS1_11comp_targetILNS1_3genE4ELNS1_11target_archE910ELNS1_3gpuE8ELNS1_3repE0EEENS1_30default_config_static_selectorELNS0_4arch9wavefront6targetE1EEEvT1_,comdat
.Lfunc_end5305:
	.size	_ZN7rocprim17ROCPRIM_400000_NS6detail17trampoline_kernelINS0_14default_configENS1_20scan_config_selectorIjEEZZNS1_9scan_implILNS1_25lookback_scan_determinismE0ELb0ELb0ES3_N6thrust23THRUST_200600_302600_NS6detail15normal_iteratorINS9_10device_ptrIjEEEENS9_16discard_iteratorINS9_11use_defaultEEEjNS9_4plusIvEEjEEDaPvRmT3_T4_T5_mT6_P12ihipStream_tbENKUlT_T0_E_clISt17integral_constantIbLb0EESX_EEDaSS_ST_EUlSS_E0_NS1_11comp_targetILNS1_3genE4ELNS1_11target_archE910ELNS1_3gpuE8ELNS1_3repE0EEENS1_30default_config_static_selectorELNS0_4arch9wavefront6targetE1EEEvT1_, .Lfunc_end5305-_ZN7rocprim17ROCPRIM_400000_NS6detail17trampoline_kernelINS0_14default_configENS1_20scan_config_selectorIjEEZZNS1_9scan_implILNS1_25lookback_scan_determinismE0ELb0ELb0ES3_N6thrust23THRUST_200600_302600_NS6detail15normal_iteratorINS9_10device_ptrIjEEEENS9_16discard_iteratorINS9_11use_defaultEEEjNS9_4plusIvEEjEEDaPvRmT3_T4_T5_mT6_P12ihipStream_tbENKUlT_T0_E_clISt17integral_constantIbLb0EESX_EEDaSS_ST_EUlSS_E0_NS1_11comp_targetILNS1_3genE4ELNS1_11target_archE910ELNS1_3gpuE8ELNS1_3repE0EEENS1_30default_config_static_selectorELNS0_4arch9wavefront6targetE1EEEvT1_
                                        ; -- End function
	.section	.AMDGPU.csdata,"",@progbits
; Kernel info:
; codeLenInByte = 1004
; NumSgprs: 10
; NumVgprs: 27
; NumAgprs: 0
; TotalNumVgprs: 27
; ScratchSize: 0
; MemoryBound: 0
; FloatMode: 240
; IeeeMode: 1
; LDSByteSize: 5120 bytes/workgroup (compile time only)
; SGPRBlocks: 1
; VGPRBlocks: 3
; NumSGPRsForWavesPerEU: 10
; NumVGPRsForWavesPerEU: 27
; AccumOffset: 28
; Occupancy: 6
; WaveLimiterHint : 0
; COMPUTE_PGM_RSRC2:SCRATCH_EN: 0
; COMPUTE_PGM_RSRC2:USER_SGPR: 6
; COMPUTE_PGM_RSRC2:TRAP_HANDLER: 0
; COMPUTE_PGM_RSRC2:TGID_X_EN: 1
; COMPUTE_PGM_RSRC2:TGID_Y_EN: 0
; COMPUTE_PGM_RSRC2:TGID_Z_EN: 0
; COMPUTE_PGM_RSRC2:TIDIG_COMP_CNT: 0
; COMPUTE_PGM_RSRC3_GFX90A:ACCUM_OFFSET: 6
; COMPUTE_PGM_RSRC3_GFX90A:TG_SPLIT: 0
	.section	.text._ZN7rocprim17ROCPRIM_400000_NS6detail17trampoline_kernelINS0_14default_configENS1_20scan_config_selectorIjEEZZNS1_9scan_implILNS1_25lookback_scan_determinismE0ELb0ELb0ES3_N6thrust23THRUST_200600_302600_NS6detail15normal_iteratorINS9_10device_ptrIjEEEENS9_16discard_iteratorINS9_11use_defaultEEEjNS9_4plusIvEEjEEDaPvRmT3_T4_T5_mT6_P12ihipStream_tbENKUlT_T0_E_clISt17integral_constantIbLb0EESX_EEDaSS_ST_EUlSS_E0_NS1_11comp_targetILNS1_3genE3ELNS1_11target_archE908ELNS1_3gpuE7ELNS1_3repE0EEENS1_30default_config_static_selectorELNS0_4arch9wavefront6targetE1EEEvT1_,"axG",@progbits,_ZN7rocprim17ROCPRIM_400000_NS6detail17trampoline_kernelINS0_14default_configENS1_20scan_config_selectorIjEEZZNS1_9scan_implILNS1_25lookback_scan_determinismE0ELb0ELb0ES3_N6thrust23THRUST_200600_302600_NS6detail15normal_iteratorINS9_10device_ptrIjEEEENS9_16discard_iteratorINS9_11use_defaultEEEjNS9_4plusIvEEjEEDaPvRmT3_T4_T5_mT6_P12ihipStream_tbENKUlT_T0_E_clISt17integral_constantIbLb0EESX_EEDaSS_ST_EUlSS_E0_NS1_11comp_targetILNS1_3genE3ELNS1_11target_archE908ELNS1_3gpuE7ELNS1_3repE0EEENS1_30default_config_static_selectorELNS0_4arch9wavefront6targetE1EEEvT1_,comdat
	.protected	_ZN7rocprim17ROCPRIM_400000_NS6detail17trampoline_kernelINS0_14default_configENS1_20scan_config_selectorIjEEZZNS1_9scan_implILNS1_25lookback_scan_determinismE0ELb0ELb0ES3_N6thrust23THRUST_200600_302600_NS6detail15normal_iteratorINS9_10device_ptrIjEEEENS9_16discard_iteratorINS9_11use_defaultEEEjNS9_4plusIvEEjEEDaPvRmT3_T4_T5_mT6_P12ihipStream_tbENKUlT_T0_E_clISt17integral_constantIbLb0EESX_EEDaSS_ST_EUlSS_E0_NS1_11comp_targetILNS1_3genE3ELNS1_11target_archE908ELNS1_3gpuE7ELNS1_3repE0EEENS1_30default_config_static_selectorELNS0_4arch9wavefront6targetE1EEEvT1_ ; -- Begin function _ZN7rocprim17ROCPRIM_400000_NS6detail17trampoline_kernelINS0_14default_configENS1_20scan_config_selectorIjEEZZNS1_9scan_implILNS1_25lookback_scan_determinismE0ELb0ELb0ES3_N6thrust23THRUST_200600_302600_NS6detail15normal_iteratorINS9_10device_ptrIjEEEENS9_16discard_iteratorINS9_11use_defaultEEEjNS9_4plusIvEEjEEDaPvRmT3_T4_T5_mT6_P12ihipStream_tbENKUlT_T0_E_clISt17integral_constantIbLb0EESX_EEDaSS_ST_EUlSS_E0_NS1_11comp_targetILNS1_3genE3ELNS1_11target_archE908ELNS1_3gpuE7ELNS1_3repE0EEENS1_30default_config_static_selectorELNS0_4arch9wavefront6targetE1EEEvT1_
	.globl	_ZN7rocprim17ROCPRIM_400000_NS6detail17trampoline_kernelINS0_14default_configENS1_20scan_config_selectorIjEEZZNS1_9scan_implILNS1_25lookback_scan_determinismE0ELb0ELb0ES3_N6thrust23THRUST_200600_302600_NS6detail15normal_iteratorINS9_10device_ptrIjEEEENS9_16discard_iteratorINS9_11use_defaultEEEjNS9_4plusIvEEjEEDaPvRmT3_T4_T5_mT6_P12ihipStream_tbENKUlT_T0_E_clISt17integral_constantIbLb0EESX_EEDaSS_ST_EUlSS_E0_NS1_11comp_targetILNS1_3genE3ELNS1_11target_archE908ELNS1_3gpuE7ELNS1_3repE0EEENS1_30default_config_static_selectorELNS0_4arch9wavefront6targetE1EEEvT1_
	.p2align	8
	.type	_ZN7rocprim17ROCPRIM_400000_NS6detail17trampoline_kernelINS0_14default_configENS1_20scan_config_selectorIjEEZZNS1_9scan_implILNS1_25lookback_scan_determinismE0ELb0ELb0ES3_N6thrust23THRUST_200600_302600_NS6detail15normal_iteratorINS9_10device_ptrIjEEEENS9_16discard_iteratorINS9_11use_defaultEEEjNS9_4plusIvEEjEEDaPvRmT3_T4_T5_mT6_P12ihipStream_tbENKUlT_T0_E_clISt17integral_constantIbLb0EESX_EEDaSS_ST_EUlSS_E0_NS1_11comp_targetILNS1_3genE3ELNS1_11target_archE908ELNS1_3gpuE7ELNS1_3repE0EEENS1_30default_config_static_selectorELNS0_4arch9wavefront6targetE1EEEvT1_,@function
_ZN7rocprim17ROCPRIM_400000_NS6detail17trampoline_kernelINS0_14default_configENS1_20scan_config_selectorIjEEZZNS1_9scan_implILNS1_25lookback_scan_determinismE0ELb0ELb0ES3_N6thrust23THRUST_200600_302600_NS6detail15normal_iteratorINS9_10device_ptrIjEEEENS9_16discard_iteratorINS9_11use_defaultEEEjNS9_4plusIvEEjEEDaPvRmT3_T4_T5_mT6_P12ihipStream_tbENKUlT_T0_E_clISt17integral_constantIbLb0EESX_EEDaSS_ST_EUlSS_E0_NS1_11comp_targetILNS1_3genE3ELNS1_11target_archE908ELNS1_3gpuE7ELNS1_3repE0EEENS1_30default_config_static_selectorELNS0_4arch9wavefront6targetE1EEEvT1_: ; @_ZN7rocprim17ROCPRIM_400000_NS6detail17trampoline_kernelINS0_14default_configENS1_20scan_config_selectorIjEEZZNS1_9scan_implILNS1_25lookback_scan_determinismE0ELb0ELb0ES3_N6thrust23THRUST_200600_302600_NS6detail15normal_iteratorINS9_10device_ptrIjEEEENS9_16discard_iteratorINS9_11use_defaultEEEjNS9_4plusIvEEjEEDaPvRmT3_T4_T5_mT6_P12ihipStream_tbENKUlT_T0_E_clISt17integral_constantIbLb0EESX_EEDaSS_ST_EUlSS_E0_NS1_11comp_targetILNS1_3genE3ELNS1_11target_archE908ELNS1_3gpuE7ELNS1_3repE0EEENS1_30default_config_static_selectorELNS0_4arch9wavefront6targetE1EEEvT1_
; %bb.0:
	.section	.rodata,"a",@progbits
	.p2align	6, 0x0
	.amdhsa_kernel _ZN7rocprim17ROCPRIM_400000_NS6detail17trampoline_kernelINS0_14default_configENS1_20scan_config_selectorIjEEZZNS1_9scan_implILNS1_25lookback_scan_determinismE0ELb0ELb0ES3_N6thrust23THRUST_200600_302600_NS6detail15normal_iteratorINS9_10device_ptrIjEEEENS9_16discard_iteratorINS9_11use_defaultEEEjNS9_4plusIvEEjEEDaPvRmT3_T4_T5_mT6_P12ihipStream_tbENKUlT_T0_E_clISt17integral_constantIbLb0EESX_EEDaSS_ST_EUlSS_E0_NS1_11comp_targetILNS1_3genE3ELNS1_11target_archE908ELNS1_3gpuE7ELNS1_3repE0EEENS1_30default_config_static_selectorELNS0_4arch9wavefront6targetE1EEEvT1_
		.amdhsa_group_segment_fixed_size 0
		.amdhsa_private_segment_fixed_size 0
		.amdhsa_kernarg_size 40
		.amdhsa_user_sgpr_count 6
		.amdhsa_user_sgpr_private_segment_buffer 1
		.amdhsa_user_sgpr_dispatch_ptr 0
		.amdhsa_user_sgpr_queue_ptr 0
		.amdhsa_user_sgpr_kernarg_segment_ptr 1
		.amdhsa_user_sgpr_dispatch_id 0
		.amdhsa_user_sgpr_flat_scratch_init 0
		.amdhsa_user_sgpr_kernarg_preload_length 0
		.amdhsa_user_sgpr_kernarg_preload_offset 0
		.amdhsa_user_sgpr_private_segment_size 0
		.amdhsa_uses_dynamic_stack 0
		.amdhsa_system_sgpr_private_segment_wavefront_offset 0
		.amdhsa_system_sgpr_workgroup_id_x 1
		.amdhsa_system_sgpr_workgroup_id_y 0
		.amdhsa_system_sgpr_workgroup_id_z 0
		.amdhsa_system_sgpr_workgroup_info 0
		.amdhsa_system_vgpr_workitem_id 0
		.amdhsa_next_free_vgpr 1
		.amdhsa_next_free_sgpr 0
		.amdhsa_accum_offset 4
		.amdhsa_reserve_vcc 0
		.amdhsa_reserve_flat_scratch 0
		.amdhsa_float_round_mode_32 0
		.amdhsa_float_round_mode_16_64 0
		.amdhsa_float_denorm_mode_32 3
		.amdhsa_float_denorm_mode_16_64 3
		.amdhsa_dx10_clamp 1
		.amdhsa_ieee_mode 1
		.amdhsa_fp16_overflow 0
		.amdhsa_tg_split 0
		.amdhsa_exception_fp_ieee_invalid_op 0
		.amdhsa_exception_fp_denorm_src 0
		.amdhsa_exception_fp_ieee_div_zero 0
		.amdhsa_exception_fp_ieee_overflow 0
		.amdhsa_exception_fp_ieee_underflow 0
		.amdhsa_exception_fp_ieee_inexact 0
		.amdhsa_exception_int_div_zero 0
	.end_amdhsa_kernel
	.section	.text._ZN7rocprim17ROCPRIM_400000_NS6detail17trampoline_kernelINS0_14default_configENS1_20scan_config_selectorIjEEZZNS1_9scan_implILNS1_25lookback_scan_determinismE0ELb0ELb0ES3_N6thrust23THRUST_200600_302600_NS6detail15normal_iteratorINS9_10device_ptrIjEEEENS9_16discard_iteratorINS9_11use_defaultEEEjNS9_4plusIvEEjEEDaPvRmT3_T4_T5_mT6_P12ihipStream_tbENKUlT_T0_E_clISt17integral_constantIbLb0EESX_EEDaSS_ST_EUlSS_E0_NS1_11comp_targetILNS1_3genE3ELNS1_11target_archE908ELNS1_3gpuE7ELNS1_3repE0EEENS1_30default_config_static_selectorELNS0_4arch9wavefront6targetE1EEEvT1_,"axG",@progbits,_ZN7rocprim17ROCPRIM_400000_NS6detail17trampoline_kernelINS0_14default_configENS1_20scan_config_selectorIjEEZZNS1_9scan_implILNS1_25lookback_scan_determinismE0ELb0ELb0ES3_N6thrust23THRUST_200600_302600_NS6detail15normal_iteratorINS9_10device_ptrIjEEEENS9_16discard_iteratorINS9_11use_defaultEEEjNS9_4plusIvEEjEEDaPvRmT3_T4_T5_mT6_P12ihipStream_tbENKUlT_T0_E_clISt17integral_constantIbLb0EESX_EEDaSS_ST_EUlSS_E0_NS1_11comp_targetILNS1_3genE3ELNS1_11target_archE908ELNS1_3gpuE7ELNS1_3repE0EEENS1_30default_config_static_selectorELNS0_4arch9wavefront6targetE1EEEvT1_,comdat
.Lfunc_end5306:
	.size	_ZN7rocprim17ROCPRIM_400000_NS6detail17trampoline_kernelINS0_14default_configENS1_20scan_config_selectorIjEEZZNS1_9scan_implILNS1_25lookback_scan_determinismE0ELb0ELb0ES3_N6thrust23THRUST_200600_302600_NS6detail15normal_iteratorINS9_10device_ptrIjEEEENS9_16discard_iteratorINS9_11use_defaultEEEjNS9_4plusIvEEjEEDaPvRmT3_T4_T5_mT6_P12ihipStream_tbENKUlT_T0_E_clISt17integral_constantIbLb0EESX_EEDaSS_ST_EUlSS_E0_NS1_11comp_targetILNS1_3genE3ELNS1_11target_archE908ELNS1_3gpuE7ELNS1_3repE0EEENS1_30default_config_static_selectorELNS0_4arch9wavefront6targetE1EEEvT1_, .Lfunc_end5306-_ZN7rocprim17ROCPRIM_400000_NS6detail17trampoline_kernelINS0_14default_configENS1_20scan_config_selectorIjEEZZNS1_9scan_implILNS1_25lookback_scan_determinismE0ELb0ELb0ES3_N6thrust23THRUST_200600_302600_NS6detail15normal_iteratorINS9_10device_ptrIjEEEENS9_16discard_iteratorINS9_11use_defaultEEEjNS9_4plusIvEEjEEDaPvRmT3_T4_T5_mT6_P12ihipStream_tbENKUlT_T0_E_clISt17integral_constantIbLb0EESX_EEDaSS_ST_EUlSS_E0_NS1_11comp_targetILNS1_3genE3ELNS1_11target_archE908ELNS1_3gpuE7ELNS1_3repE0EEENS1_30default_config_static_selectorELNS0_4arch9wavefront6targetE1EEEvT1_
                                        ; -- End function
	.section	.AMDGPU.csdata,"",@progbits
; Kernel info:
; codeLenInByte = 0
; NumSgprs: 4
; NumVgprs: 0
; NumAgprs: 0
; TotalNumVgprs: 0
; ScratchSize: 0
; MemoryBound: 0
; FloatMode: 240
; IeeeMode: 1
; LDSByteSize: 0 bytes/workgroup (compile time only)
; SGPRBlocks: 0
; VGPRBlocks: 0
; NumSGPRsForWavesPerEU: 4
; NumVGPRsForWavesPerEU: 1
; AccumOffset: 4
; Occupancy: 8
; WaveLimiterHint : 0
; COMPUTE_PGM_RSRC2:SCRATCH_EN: 0
; COMPUTE_PGM_RSRC2:USER_SGPR: 6
; COMPUTE_PGM_RSRC2:TRAP_HANDLER: 0
; COMPUTE_PGM_RSRC2:TGID_X_EN: 1
; COMPUTE_PGM_RSRC2:TGID_Y_EN: 0
; COMPUTE_PGM_RSRC2:TGID_Z_EN: 0
; COMPUTE_PGM_RSRC2:TIDIG_COMP_CNT: 0
; COMPUTE_PGM_RSRC3_GFX90A:ACCUM_OFFSET: 0
; COMPUTE_PGM_RSRC3_GFX90A:TG_SPLIT: 0
	.section	.text._ZN7rocprim17ROCPRIM_400000_NS6detail17trampoline_kernelINS0_14default_configENS1_20scan_config_selectorIjEEZZNS1_9scan_implILNS1_25lookback_scan_determinismE0ELb0ELb0ES3_N6thrust23THRUST_200600_302600_NS6detail15normal_iteratorINS9_10device_ptrIjEEEENS9_16discard_iteratorINS9_11use_defaultEEEjNS9_4plusIvEEjEEDaPvRmT3_T4_T5_mT6_P12ihipStream_tbENKUlT_T0_E_clISt17integral_constantIbLb0EESX_EEDaSS_ST_EUlSS_E0_NS1_11comp_targetILNS1_3genE2ELNS1_11target_archE906ELNS1_3gpuE6ELNS1_3repE0EEENS1_30default_config_static_selectorELNS0_4arch9wavefront6targetE1EEEvT1_,"axG",@progbits,_ZN7rocprim17ROCPRIM_400000_NS6detail17trampoline_kernelINS0_14default_configENS1_20scan_config_selectorIjEEZZNS1_9scan_implILNS1_25lookback_scan_determinismE0ELb0ELb0ES3_N6thrust23THRUST_200600_302600_NS6detail15normal_iteratorINS9_10device_ptrIjEEEENS9_16discard_iteratorINS9_11use_defaultEEEjNS9_4plusIvEEjEEDaPvRmT3_T4_T5_mT6_P12ihipStream_tbENKUlT_T0_E_clISt17integral_constantIbLb0EESX_EEDaSS_ST_EUlSS_E0_NS1_11comp_targetILNS1_3genE2ELNS1_11target_archE906ELNS1_3gpuE6ELNS1_3repE0EEENS1_30default_config_static_selectorELNS0_4arch9wavefront6targetE1EEEvT1_,comdat
	.protected	_ZN7rocprim17ROCPRIM_400000_NS6detail17trampoline_kernelINS0_14default_configENS1_20scan_config_selectorIjEEZZNS1_9scan_implILNS1_25lookback_scan_determinismE0ELb0ELb0ES3_N6thrust23THRUST_200600_302600_NS6detail15normal_iteratorINS9_10device_ptrIjEEEENS9_16discard_iteratorINS9_11use_defaultEEEjNS9_4plusIvEEjEEDaPvRmT3_T4_T5_mT6_P12ihipStream_tbENKUlT_T0_E_clISt17integral_constantIbLb0EESX_EEDaSS_ST_EUlSS_E0_NS1_11comp_targetILNS1_3genE2ELNS1_11target_archE906ELNS1_3gpuE6ELNS1_3repE0EEENS1_30default_config_static_selectorELNS0_4arch9wavefront6targetE1EEEvT1_ ; -- Begin function _ZN7rocprim17ROCPRIM_400000_NS6detail17trampoline_kernelINS0_14default_configENS1_20scan_config_selectorIjEEZZNS1_9scan_implILNS1_25lookback_scan_determinismE0ELb0ELb0ES3_N6thrust23THRUST_200600_302600_NS6detail15normal_iteratorINS9_10device_ptrIjEEEENS9_16discard_iteratorINS9_11use_defaultEEEjNS9_4plusIvEEjEEDaPvRmT3_T4_T5_mT6_P12ihipStream_tbENKUlT_T0_E_clISt17integral_constantIbLb0EESX_EEDaSS_ST_EUlSS_E0_NS1_11comp_targetILNS1_3genE2ELNS1_11target_archE906ELNS1_3gpuE6ELNS1_3repE0EEENS1_30default_config_static_selectorELNS0_4arch9wavefront6targetE1EEEvT1_
	.globl	_ZN7rocprim17ROCPRIM_400000_NS6detail17trampoline_kernelINS0_14default_configENS1_20scan_config_selectorIjEEZZNS1_9scan_implILNS1_25lookback_scan_determinismE0ELb0ELb0ES3_N6thrust23THRUST_200600_302600_NS6detail15normal_iteratorINS9_10device_ptrIjEEEENS9_16discard_iteratorINS9_11use_defaultEEEjNS9_4plusIvEEjEEDaPvRmT3_T4_T5_mT6_P12ihipStream_tbENKUlT_T0_E_clISt17integral_constantIbLb0EESX_EEDaSS_ST_EUlSS_E0_NS1_11comp_targetILNS1_3genE2ELNS1_11target_archE906ELNS1_3gpuE6ELNS1_3repE0EEENS1_30default_config_static_selectorELNS0_4arch9wavefront6targetE1EEEvT1_
	.p2align	8
	.type	_ZN7rocprim17ROCPRIM_400000_NS6detail17trampoline_kernelINS0_14default_configENS1_20scan_config_selectorIjEEZZNS1_9scan_implILNS1_25lookback_scan_determinismE0ELb0ELb0ES3_N6thrust23THRUST_200600_302600_NS6detail15normal_iteratorINS9_10device_ptrIjEEEENS9_16discard_iteratorINS9_11use_defaultEEEjNS9_4plusIvEEjEEDaPvRmT3_T4_T5_mT6_P12ihipStream_tbENKUlT_T0_E_clISt17integral_constantIbLb0EESX_EEDaSS_ST_EUlSS_E0_NS1_11comp_targetILNS1_3genE2ELNS1_11target_archE906ELNS1_3gpuE6ELNS1_3repE0EEENS1_30default_config_static_selectorELNS0_4arch9wavefront6targetE1EEEvT1_,@function
_ZN7rocprim17ROCPRIM_400000_NS6detail17trampoline_kernelINS0_14default_configENS1_20scan_config_selectorIjEEZZNS1_9scan_implILNS1_25lookback_scan_determinismE0ELb0ELb0ES3_N6thrust23THRUST_200600_302600_NS6detail15normal_iteratorINS9_10device_ptrIjEEEENS9_16discard_iteratorINS9_11use_defaultEEEjNS9_4plusIvEEjEEDaPvRmT3_T4_T5_mT6_P12ihipStream_tbENKUlT_T0_E_clISt17integral_constantIbLb0EESX_EEDaSS_ST_EUlSS_E0_NS1_11comp_targetILNS1_3genE2ELNS1_11target_archE906ELNS1_3gpuE6ELNS1_3repE0EEENS1_30default_config_static_selectorELNS0_4arch9wavefront6targetE1EEEvT1_: ; @_ZN7rocprim17ROCPRIM_400000_NS6detail17trampoline_kernelINS0_14default_configENS1_20scan_config_selectorIjEEZZNS1_9scan_implILNS1_25lookback_scan_determinismE0ELb0ELb0ES3_N6thrust23THRUST_200600_302600_NS6detail15normal_iteratorINS9_10device_ptrIjEEEENS9_16discard_iteratorINS9_11use_defaultEEEjNS9_4plusIvEEjEEDaPvRmT3_T4_T5_mT6_P12ihipStream_tbENKUlT_T0_E_clISt17integral_constantIbLb0EESX_EEDaSS_ST_EUlSS_E0_NS1_11comp_targetILNS1_3genE2ELNS1_11target_archE906ELNS1_3gpuE6ELNS1_3repE0EEENS1_30default_config_static_selectorELNS0_4arch9wavefront6targetE1EEEvT1_
; %bb.0:
	.section	.rodata,"a",@progbits
	.p2align	6, 0x0
	.amdhsa_kernel _ZN7rocprim17ROCPRIM_400000_NS6detail17trampoline_kernelINS0_14default_configENS1_20scan_config_selectorIjEEZZNS1_9scan_implILNS1_25lookback_scan_determinismE0ELb0ELb0ES3_N6thrust23THRUST_200600_302600_NS6detail15normal_iteratorINS9_10device_ptrIjEEEENS9_16discard_iteratorINS9_11use_defaultEEEjNS9_4plusIvEEjEEDaPvRmT3_T4_T5_mT6_P12ihipStream_tbENKUlT_T0_E_clISt17integral_constantIbLb0EESX_EEDaSS_ST_EUlSS_E0_NS1_11comp_targetILNS1_3genE2ELNS1_11target_archE906ELNS1_3gpuE6ELNS1_3repE0EEENS1_30default_config_static_selectorELNS0_4arch9wavefront6targetE1EEEvT1_
		.amdhsa_group_segment_fixed_size 0
		.amdhsa_private_segment_fixed_size 0
		.amdhsa_kernarg_size 40
		.amdhsa_user_sgpr_count 6
		.amdhsa_user_sgpr_private_segment_buffer 1
		.amdhsa_user_sgpr_dispatch_ptr 0
		.amdhsa_user_sgpr_queue_ptr 0
		.amdhsa_user_sgpr_kernarg_segment_ptr 1
		.amdhsa_user_sgpr_dispatch_id 0
		.amdhsa_user_sgpr_flat_scratch_init 0
		.amdhsa_user_sgpr_kernarg_preload_length 0
		.amdhsa_user_sgpr_kernarg_preload_offset 0
		.amdhsa_user_sgpr_private_segment_size 0
		.amdhsa_uses_dynamic_stack 0
		.amdhsa_system_sgpr_private_segment_wavefront_offset 0
		.amdhsa_system_sgpr_workgroup_id_x 1
		.amdhsa_system_sgpr_workgroup_id_y 0
		.amdhsa_system_sgpr_workgroup_id_z 0
		.amdhsa_system_sgpr_workgroup_info 0
		.amdhsa_system_vgpr_workitem_id 0
		.amdhsa_next_free_vgpr 1
		.amdhsa_next_free_sgpr 0
		.amdhsa_accum_offset 4
		.amdhsa_reserve_vcc 0
		.amdhsa_reserve_flat_scratch 0
		.amdhsa_float_round_mode_32 0
		.amdhsa_float_round_mode_16_64 0
		.amdhsa_float_denorm_mode_32 3
		.amdhsa_float_denorm_mode_16_64 3
		.amdhsa_dx10_clamp 1
		.amdhsa_ieee_mode 1
		.amdhsa_fp16_overflow 0
		.amdhsa_tg_split 0
		.amdhsa_exception_fp_ieee_invalid_op 0
		.amdhsa_exception_fp_denorm_src 0
		.amdhsa_exception_fp_ieee_div_zero 0
		.amdhsa_exception_fp_ieee_overflow 0
		.amdhsa_exception_fp_ieee_underflow 0
		.amdhsa_exception_fp_ieee_inexact 0
		.amdhsa_exception_int_div_zero 0
	.end_amdhsa_kernel
	.section	.text._ZN7rocprim17ROCPRIM_400000_NS6detail17trampoline_kernelINS0_14default_configENS1_20scan_config_selectorIjEEZZNS1_9scan_implILNS1_25lookback_scan_determinismE0ELb0ELb0ES3_N6thrust23THRUST_200600_302600_NS6detail15normal_iteratorINS9_10device_ptrIjEEEENS9_16discard_iteratorINS9_11use_defaultEEEjNS9_4plusIvEEjEEDaPvRmT3_T4_T5_mT6_P12ihipStream_tbENKUlT_T0_E_clISt17integral_constantIbLb0EESX_EEDaSS_ST_EUlSS_E0_NS1_11comp_targetILNS1_3genE2ELNS1_11target_archE906ELNS1_3gpuE6ELNS1_3repE0EEENS1_30default_config_static_selectorELNS0_4arch9wavefront6targetE1EEEvT1_,"axG",@progbits,_ZN7rocprim17ROCPRIM_400000_NS6detail17trampoline_kernelINS0_14default_configENS1_20scan_config_selectorIjEEZZNS1_9scan_implILNS1_25lookback_scan_determinismE0ELb0ELb0ES3_N6thrust23THRUST_200600_302600_NS6detail15normal_iteratorINS9_10device_ptrIjEEEENS9_16discard_iteratorINS9_11use_defaultEEEjNS9_4plusIvEEjEEDaPvRmT3_T4_T5_mT6_P12ihipStream_tbENKUlT_T0_E_clISt17integral_constantIbLb0EESX_EEDaSS_ST_EUlSS_E0_NS1_11comp_targetILNS1_3genE2ELNS1_11target_archE906ELNS1_3gpuE6ELNS1_3repE0EEENS1_30default_config_static_selectorELNS0_4arch9wavefront6targetE1EEEvT1_,comdat
.Lfunc_end5307:
	.size	_ZN7rocprim17ROCPRIM_400000_NS6detail17trampoline_kernelINS0_14default_configENS1_20scan_config_selectorIjEEZZNS1_9scan_implILNS1_25lookback_scan_determinismE0ELb0ELb0ES3_N6thrust23THRUST_200600_302600_NS6detail15normal_iteratorINS9_10device_ptrIjEEEENS9_16discard_iteratorINS9_11use_defaultEEEjNS9_4plusIvEEjEEDaPvRmT3_T4_T5_mT6_P12ihipStream_tbENKUlT_T0_E_clISt17integral_constantIbLb0EESX_EEDaSS_ST_EUlSS_E0_NS1_11comp_targetILNS1_3genE2ELNS1_11target_archE906ELNS1_3gpuE6ELNS1_3repE0EEENS1_30default_config_static_selectorELNS0_4arch9wavefront6targetE1EEEvT1_, .Lfunc_end5307-_ZN7rocprim17ROCPRIM_400000_NS6detail17trampoline_kernelINS0_14default_configENS1_20scan_config_selectorIjEEZZNS1_9scan_implILNS1_25lookback_scan_determinismE0ELb0ELb0ES3_N6thrust23THRUST_200600_302600_NS6detail15normal_iteratorINS9_10device_ptrIjEEEENS9_16discard_iteratorINS9_11use_defaultEEEjNS9_4plusIvEEjEEDaPvRmT3_T4_T5_mT6_P12ihipStream_tbENKUlT_T0_E_clISt17integral_constantIbLb0EESX_EEDaSS_ST_EUlSS_E0_NS1_11comp_targetILNS1_3genE2ELNS1_11target_archE906ELNS1_3gpuE6ELNS1_3repE0EEENS1_30default_config_static_selectorELNS0_4arch9wavefront6targetE1EEEvT1_
                                        ; -- End function
	.section	.AMDGPU.csdata,"",@progbits
; Kernel info:
; codeLenInByte = 0
; NumSgprs: 4
; NumVgprs: 0
; NumAgprs: 0
; TotalNumVgprs: 0
; ScratchSize: 0
; MemoryBound: 0
; FloatMode: 240
; IeeeMode: 1
; LDSByteSize: 0 bytes/workgroup (compile time only)
; SGPRBlocks: 0
; VGPRBlocks: 0
; NumSGPRsForWavesPerEU: 4
; NumVGPRsForWavesPerEU: 1
; AccumOffset: 4
; Occupancy: 8
; WaveLimiterHint : 0
; COMPUTE_PGM_RSRC2:SCRATCH_EN: 0
; COMPUTE_PGM_RSRC2:USER_SGPR: 6
; COMPUTE_PGM_RSRC2:TRAP_HANDLER: 0
; COMPUTE_PGM_RSRC2:TGID_X_EN: 1
; COMPUTE_PGM_RSRC2:TGID_Y_EN: 0
; COMPUTE_PGM_RSRC2:TGID_Z_EN: 0
; COMPUTE_PGM_RSRC2:TIDIG_COMP_CNT: 0
; COMPUTE_PGM_RSRC3_GFX90A:ACCUM_OFFSET: 0
; COMPUTE_PGM_RSRC3_GFX90A:TG_SPLIT: 0
	.section	.text._ZN7rocprim17ROCPRIM_400000_NS6detail17trampoline_kernelINS0_14default_configENS1_20scan_config_selectorIjEEZZNS1_9scan_implILNS1_25lookback_scan_determinismE0ELb0ELb0ES3_N6thrust23THRUST_200600_302600_NS6detail15normal_iteratorINS9_10device_ptrIjEEEENS9_16discard_iteratorINS9_11use_defaultEEEjNS9_4plusIvEEjEEDaPvRmT3_T4_T5_mT6_P12ihipStream_tbENKUlT_T0_E_clISt17integral_constantIbLb0EESX_EEDaSS_ST_EUlSS_E0_NS1_11comp_targetILNS1_3genE10ELNS1_11target_archE1201ELNS1_3gpuE5ELNS1_3repE0EEENS1_30default_config_static_selectorELNS0_4arch9wavefront6targetE1EEEvT1_,"axG",@progbits,_ZN7rocprim17ROCPRIM_400000_NS6detail17trampoline_kernelINS0_14default_configENS1_20scan_config_selectorIjEEZZNS1_9scan_implILNS1_25lookback_scan_determinismE0ELb0ELb0ES3_N6thrust23THRUST_200600_302600_NS6detail15normal_iteratorINS9_10device_ptrIjEEEENS9_16discard_iteratorINS9_11use_defaultEEEjNS9_4plusIvEEjEEDaPvRmT3_T4_T5_mT6_P12ihipStream_tbENKUlT_T0_E_clISt17integral_constantIbLb0EESX_EEDaSS_ST_EUlSS_E0_NS1_11comp_targetILNS1_3genE10ELNS1_11target_archE1201ELNS1_3gpuE5ELNS1_3repE0EEENS1_30default_config_static_selectorELNS0_4arch9wavefront6targetE1EEEvT1_,comdat
	.protected	_ZN7rocprim17ROCPRIM_400000_NS6detail17trampoline_kernelINS0_14default_configENS1_20scan_config_selectorIjEEZZNS1_9scan_implILNS1_25lookback_scan_determinismE0ELb0ELb0ES3_N6thrust23THRUST_200600_302600_NS6detail15normal_iteratorINS9_10device_ptrIjEEEENS9_16discard_iteratorINS9_11use_defaultEEEjNS9_4plusIvEEjEEDaPvRmT3_T4_T5_mT6_P12ihipStream_tbENKUlT_T0_E_clISt17integral_constantIbLb0EESX_EEDaSS_ST_EUlSS_E0_NS1_11comp_targetILNS1_3genE10ELNS1_11target_archE1201ELNS1_3gpuE5ELNS1_3repE0EEENS1_30default_config_static_selectorELNS0_4arch9wavefront6targetE1EEEvT1_ ; -- Begin function _ZN7rocprim17ROCPRIM_400000_NS6detail17trampoline_kernelINS0_14default_configENS1_20scan_config_selectorIjEEZZNS1_9scan_implILNS1_25lookback_scan_determinismE0ELb0ELb0ES3_N6thrust23THRUST_200600_302600_NS6detail15normal_iteratorINS9_10device_ptrIjEEEENS9_16discard_iteratorINS9_11use_defaultEEEjNS9_4plusIvEEjEEDaPvRmT3_T4_T5_mT6_P12ihipStream_tbENKUlT_T0_E_clISt17integral_constantIbLb0EESX_EEDaSS_ST_EUlSS_E0_NS1_11comp_targetILNS1_3genE10ELNS1_11target_archE1201ELNS1_3gpuE5ELNS1_3repE0EEENS1_30default_config_static_selectorELNS0_4arch9wavefront6targetE1EEEvT1_
	.globl	_ZN7rocprim17ROCPRIM_400000_NS6detail17trampoline_kernelINS0_14default_configENS1_20scan_config_selectorIjEEZZNS1_9scan_implILNS1_25lookback_scan_determinismE0ELb0ELb0ES3_N6thrust23THRUST_200600_302600_NS6detail15normal_iteratorINS9_10device_ptrIjEEEENS9_16discard_iteratorINS9_11use_defaultEEEjNS9_4plusIvEEjEEDaPvRmT3_T4_T5_mT6_P12ihipStream_tbENKUlT_T0_E_clISt17integral_constantIbLb0EESX_EEDaSS_ST_EUlSS_E0_NS1_11comp_targetILNS1_3genE10ELNS1_11target_archE1201ELNS1_3gpuE5ELNS1_3repE0EEENS1_30default_config_static_selectorELNS0_4arch9wavefront6targetE1EEEvT1_
	.p2align	8
	.type	_ZN7rocprim17ROCPRIM_400000_NS6detail17trampoline_kernelINS0_14default_configENS1_20scan_config_selectorIjEEZZNS1_9scan_implILNS1_25lookback_scan_determinismE0ELb0ELb0ES3_N6thrust23THRUST_200600_302600_NS6detail15normal_iteratorINS9_10device_ptrIjEEEENS9_16discard_iteratorINS9_11use_defaultEEEjNS9_4plusIvEEjEEDaPvRmT3_T4_T5_mT6_P12ihipStream_tbENKUlT_T0_E_clISt17integral_constantIbLb0EESX_EEDaSS_ST_EUlSS_E0_NS1_11comp_targetILNS1_3genE10ELNS1_11target_archE1201ELNS1_3gpuE5ELNS1_3repE0EEENS1_30default_config_static_selectorELNS0_4arch9wavefront6targetE1EEEvT1_,@function
_ZN7rocprim17ROCPRIM_400000_NS6detail17trampoline_kernelINS0_14default_configENS1_20scan_config_selectorIjEEZZNS1_9scan_implILNS1_25lookback_scan_determinismE0ELb0ELb0ES3_N6thrust23THRUST_200600_302600_NS6detail15normal_iteratorINS9_10device_ptrIjEEEENS9_16discard_iteratorINS9_11use_defaultEEEjNS9_4plusIvEEjEEDaPvRmT3_T4_T5_mT6_P12ihipStream_tbENKUlT_T0_E_clISt17integral_constantIbLb0EESX_EEDaSS_ST_EUlSS_E0_NS1_11comp_targetILNS1_3genE10ELNS1_11target_archE1201ELNS1_3gpuE5ELNS1_3repE0EEENS1_30default_config_static_selectorELNS0_4arch9wavefront6targetE1EEEvT1_: ; @_ZN7rocprim17ROCPRIM_400000_NS6detail17trampoline_kernelINS0_14default_configENS1_20scan_config_selectorIjEEZZNS1_9scan_implILNS1_25lookback_scan_determinismE0ELb0ELb0ES3_N6thrust23THRUST_200600_302600_NS6detail15normal_iteratorINS9_10device_ptrIjEEEENS9_16discard_iteratorINS9_11use_defaultEEEjNS9_4plusIvEEjEEDaPvRmT3_T4_T5_mT6_P12ihipStream_tbENKUlT_T0_E_clISt17integral_constantIbLb0EESX_EEDaSS_ST_EUlSS_E0_NS1_11comp_targetILNS1_3genE10ELNS1_11target_archE1201ELNS1_3gpuE5ELNS1_3repE0EEENS1_30default_config_static_selectorELNS0_4arch9wavefront6targetE1EEEvT1_
; %bb.0:
	.section	.rodata,"a",@progbits
	.p2align	6, 0x0
	.amdhsa_kernel _ZN7rocprim17ROCPRIM_400000_NS6detail17trampoline_kernelINS0_14default_configENS1_20scan_config_selectorIjEEZZNS1_9scan_implILNS1_25lookback_scan_determinismE0ELb0ELb0ES3_N6thrust23THRUST_200600_302600_NS6detail15normal_iteratorINS9_10device_ptrIjEEEENS9_16discard_iteratorINS9_11use_defaultEEEjNS9_4plusIvEEjEEDaPvRmT3_T4_T5_mT6_P12ihipStream_tbENKUlT_T0_E_clISt17integral_constantIbLb0EESX_EEDaSS_ST_EUlSS_E0_NS1_11comp_targetILNS1_3genE10ELNS1_11target_archE1201ELNS1_3gpuE5ELNS1_3repE0EEENS1_30default_config_static_selectorELNS0_4arch9wavefront6targetE1EEEvT1_
		.amdhsa_group_segment_fixed_size 0
		.amdhsa_private_segment_fixed_size 0
		.amdhsa_kernarg_size 40
		.amdhsa_user_sgpr_count 6
		.amdhsa_user_sgpr_private_segment_buffer 1
		.amdhsa_user_sgpr_dispatch_ptr 0
		.amdhsa_user_sgpr_queue_ptr 0
		.amdhsa_user_sgpr_kernarg_segment_ptr 1
		.amdhsa_user_sgpr_dispatch_id 0
		.amdhsa_user_sgpr_flat_scratch_init 0
		.amdhsa_user_sgpr_kernarg_preload_length 0
		.amdhsa_user_sgpr_kernarg_preload_offset 0
		.amdhsa_user_sgpr_private_segment_size 0
		.amdhsa_uses_dynamic_stack 0
		.amdhsa_system_sgpr_private_segment_wavefront_offset 0
		.amdhsa_system_sgpr_workgroup_id_x 1
		.amdhsa_system_sgpr_workgroup_id_y 0
		.amdhsa_system_sgpr_workgroup_id_z 0
		.amdhsa_system_sgpr_workgroup_info 0
		.amdhsa_system_vgpr_workitem_id 0
		.amdhsa_next_free_vgpr 1
		.amdhsa_next_free_sgpr 0
		.amdhsa_accum_offset 4
		.amdhsa_reserve_vcc 0
		.amdhsa_reserve_flat_scratch 0
		.amdhsa_float_round_mode_32 0
		.amdhsa_float_round_mode_16_64 0
		.amdhsa_float_denorm_mode_32 3
		.amdhsa_float_denorm_mode_16_64 3
		.amdhsa_dx10_clamp 1
		.amdhsa_ieee_mode 1
		.amdhsa_fp16_overflow 0
		.amdhsa_tg_split 0
		.amdhsa_exception_fp_ieee_invalid_op 0
		.amdhsa_exception_fp_denorm_src 0
		.amdhsa_exception_fp_ieee_div_zero 0
		.amdhsa_exception_fp_ieee_overflow 0
		.amdhsa_exception_fp_ieee_underflow 0
		.amdhsa_exception_fp_ieee_inexact 0
		.amdhsa_exception_int_div_zero 0
	.end_amdhsa_kernel
	.section	.text._ZN7rocprim17ROCPRIM_400000_NS6detail17trampoline_kernelINS0_14default_configENS1_20scan_config_selectorIjEEZZNS1_9scan_implILNS1_25lookback_scan_determinismE0ELb0ELb0ES3_N6thrust23THRUST_200600_302600_NS6detail15normal_iteratorINS9_10device_ptrIjEEEENS9_16discard_iteratorINS9_11use_defaultEEEjNS9_4plusIvEEjEEDaPvRmT3_T4_T5_mT6_P12ihipStream_tbENKUlT_T0_E_clISt17integral_constantIbLb0EESX_EEDaSS_ST_EUlSS_E0_NS1_11comp_targetILNS1_3genE10ELNS1_11target_archE1201ELNS1_3gpuE5ELNS1_3repE0EEENS1_30default_config_static_selectorELNS0_4arch9wavefront6targetE1EEEvT1_,"axG",@progbits,_ZN7rocprim17ROCPRIM_400000_NS6detail17trampoline_kernelINS0_14default_configENS1_20scan_config_selectorIjEEZZNS1_9scan_implILNS1_25lookback_scan_determinismE0ELb0ELb0ES3_N6thrust23THRUST_200600_302600_NS6detail15normal_iteratorINS9_10device_ptrIjEEEENS9_16discard_iteratorINS9_11use_defaultEEEjNS9_4plusIvEEjEEDaPvRmT3_T4_T5_mT6_P12ihipStream_tbENKUlT_T0_E_clISt17integral_constantIbLb0EESX_EEDaSS_ST_EUlSS_E0_NS1_11comp_targetILNS1_3genE10ELNS1_11target_archE1201ELNS1_3gpuE5ELNS1_3repE0EEENS1_30default_config_static_selectorELNS0_4arch9wavefront6targetE1EEEvT1_,comdat
.Lfunc_end5308:
	.size	_ZN7rocprim17ROCPRIM_400000_NS6detail17trampoline_kernelINS0_14default_configENS1_20scan_config_selectorIjEEZZNS1_9scan_implILNS1_25lookback_scan_determinismE0ELb0ELb0ES3_N6thrust23THRUST_200600_302600_NS6detail15normal_iteratorINS9_10device_ptrIjEEEENS9_16discard_iteratorINS9_11use_defaultEEEjNS9_4plusIvEEjEEDaPvRmT3_T4_T5_mT6_P12ihipStream_tbENKUlT_T0_E_clISt17integral_constantIbLb0EESX_EEDaSS_ST_EUlSS_E0_NS1_11comp_targetILNS1_3genE10ELNS1_11target_archE1201ELNS1_3gpuE5ELNS1_3repE0EEENS1_30default_config_static_selectorELNS0_4arch9wavefront6targetE1EEEvT1_, .Lfunc_end5308-_ZN7rocprim17ROCPRIM_400000_NS6detail17trampoline_kernelINS0_14default_configENS1_20scan_config_selectorIjEEZZNS1_9scan_implILNS1_25lookback_scan_determinismE0ELb0ELb0ES3_N6thrust23THRUST_200600_302600_NS6detail15normal_iteratorINS9_10device_ptrIjEEEENS9_16discard_iteratorINS9_11use_defaultEEEjNS9_4plusIvEEjEEDaPvRmT3_T4_T5_mT6_P12ihipStream_tbENKUlT_T0_E_clISt17integral_constantIbLb0EESX_EEDaSS_ST_EUlSS_E0_NS1_11comp_targetILNS1_3genE10ELNS1_11target_archE1201ELNS1_3gpuE5ELNS1_3repE0EEENS1_30default_config_static_selectorELNS0_4arch9wavefront6targetE1EEEvT1_
                                        ; -- End function
	.section	.AMDGPU.csdata,"",@progbits
; Kernel info:
; codeLenInByte = 0
; NumSgprs: 4
; NumVgprs: 0
; NumAgprs: 0
; TotalNumVgprs: 0
; ScratchSize: 0
; MemoryBound: 0
; FloatMode: 240
; IeeeMode: 1
; LDSByteSize: 0 bytes/workgroup (compile time only)
; SGPRBlocks: 0
; VGPRBlocks: 0
; NumSGPRsForWavesPerEU: 4
; NumVGPRsForWavesPerEU: 1
; AccumOffset: 4
; Occupancy: 8
; WaveLimiterHint : 0
; COMPUTE_PGM_RSRC2:SCRATCH_EN: 0
; COMPUTE_PGM_RSRC2:USER_SGPR: 6
; COMPUTE_PGM_RSRC2:TRAP_HANDLER: 0
; COMPUTE_PGM_RSRC2:TGID_X_EN: 1
; COMPUTE_PGM_RSRC2:TGID_Y_EN: 0
; COMPUTE_PGM_RSRC2:TGID_Z_EN: 0
; COMPUTE_PGM_RSRC2:TIDIG_COMP_CNT: 0
; COMPUTE_PGM_RSRC3_GFX90A:ACCUM_OFFSET: 0
; COMPUTE_PGM_RSRC3_GFX90A:TG_SPLIT: 0
	.section	.text._ZN7rocprim17ROCPRIM_400000_NS6detail17trampoline_kernelINS0_14default_configENS1_20scan_config_selectorIjEEZZNS1_9scan_implILNS1_25lookback_scan_determinismE0ELb0ELb0ES3_N6thrust23THRUST_200600_302600_NS6detail15normal_iteratorINS9_10device_ptrIjEEEENS9_16discard_iteratorINS9_11use_defaultEEEjNS9_4plusIvEEjEEDaPvRmT3_T4_T5_mT6_P12ihipStream_tbENKUlT_T0_E_clISt17integral_constantIbLb0EESX_EEDaSS_ST_EUlSS_E0_NS1_11comp_targetILNS1_3genE10ELNS1_11target_archE1200ELNS1_3gpuE4ELNS1_3repE0EEENS1_30default_config_static_selectorELNS0_4arch9wavefront6targetE1EEEvT1_,"axG",@progbits,_ZN7rocprim17ROCPRIM_400000_NS6detail17trampoline_kernelINS0_14default_configENS1_20scan_config_selectorIjEEZZNS1_9scan_implILNS1_25lookback_scan_determinismE0ELb0ELb0ES3_N6thrust23THRUST_200600_302600_NS6detail15normal_iteratorINS9_10device_ptrIjEEEENS9_16discard_iteratorINS9_11use_defaultEEEjNS9_4plusIvEEjEEDaPvRmT3_T4_T5_mT6_P12ihipStream_tbENKUlT_T0_E_clISt17integral_constantIbLb0EESX_EEDaSS_ST_EUlSS_E0_NS1_11comp_targetILNS1_3genE10ELNS1_11target_archE1200ELNS1_3gpuE4ELNS1_3repE0EEENS1_30default_config_static_selectorELNS0_4arch9wavefront6targetE1EEEvT1_,comdat
	.protected	_ZN7rocprim17ROCPRIM_400000_NS6detail17trampoline_kernelINS0_14default_configENS1_20scan_config_selectorIjEEZZNS1_9scan_implILNS1_25lookback_scan_determinismE0ELb0ELb0ES3_N6thrust23THRUST_200600_302600_NS6detail15normal_iteratorINS9_10device_ptrIjEEEENS9_16discard_iteratorINS9_11use_defaultEEEjNS9_4plusIvEEjEEDaPvRmT3_T4_T5_mT6_P12ihipStream_tbENKUlT_T0_E_clISt17integral_constantIbLb0EESX_EEDaSS_ST_EUlSS_E0_NS1_11comp_targetILNS1_3genE10ELNS1_11target_archE1200ELNS1_3gpuE4ELNS1_3repE0EEENS1_30default_config_static_selectorELNS0_4arch9wavefront6targetE1EEEvT1_ ; -- Begin function _ZN7rocprim17ROCPRIM_400000_NS6detail17trampoline_kernelINS0_14default_configENS1_20scan_config_selectorIjEEZZNS1_9scan_implILNS1_25lookback_scan_determinismE0ELb0ELb0ES3_N6thrust23THRUST_200600_302600_NS6detail15normal_iteratorINS9_10device_ptrIjEEEENS9_16discard_iteratorINS9_11use_defaultEEEjNS9_4plusIvEEjEEDaPvRmT3_T4_T5_mT6_P12ihipStream_tbENKUlT_T0_E_clISt17integral_constantIbLb0EESX_EEDaSS_ST_EUlSS_E0_NS1_11comp_targetILNS1_3genE10ELNS1_11target_archE1200ELNS1_3gpuE4ELNS1_3repE0EEENS1_30default_config_static_selectorELNS0_4arch9wavefront6targetE1EEEvT1_
	.globl	_ZN7rocprim17ROCPRIM_400000_NS6detail17trampoline_kernelINS0_14default_configENS1_20scan_config_selectorIjEEZZNS1_9scan_implILNS1_25lookback_scan_determinismE0ELb0ELb0ES3_N6thrust23THRUST_200600_302600_NS6detail15normal_iteratorINS9_10device_ptrIjEEEENS9_16discard_iteratorINS9_11use_defaultEEEjNS9_4plusIvEEjEEDaPvRmT3_T4_T5_mT6_P12ihipStream_tbENKUlT_T0_E_clISt17integral_constantIbLb0EESX_EEDaSS_ST_EUlSS_E0_NS1_11comp_targetILNS1_3genE10ELNS1_11target_archE1200ELNS1_3gpuE4ELNS1_3repE0EEENS1_30default_config_static_selectorELNS0_4arch9wavefront6targetE1EEEvT1_
	.p2align	8
	.type	_ZN7rocprim17ROCPRIM_400000_NS6detail17trampoline_kernelINS0_14default_configENS1_20scan_config_selectorIjEEZZNS1_9scan_implILNS1_25lookback_scan_determinismE0ELb0ELb0ES3_N6thrust23THRUST_200600_302600_NS6detail15normal_iteratorINS9_10device_ptrIjEEEENS9_16discard_iteratorINS9_11use_defaultEEEjNS9_4plusIvEEjEEDaPvRmT3_T4_T5_mT6_P12ihipStream_tbENKUlT_T0_E_clISt17integral_constantIbLb0EESX_EEDaSS_ST_EUlSS_E0_NS1_11comp_targetILNS1_3genE10ELNS1_11target_archE1200ELNS1_3gpuE4ELNS1_3repE0EEENS1_30default_config_static_selectorELNS0_4arch9wavefront6targetE1EEEvT1_,@function
_ZN7rocprim17ROCPRIM_400000_NS6detail17trampoline_kernelINS0_14default_configENS1_20scan_config_selectorIjEEZZNS1_9scan_implILNS1_25lookback_scan_determinismE0ELb0ELb0ES3_N6thrust23THRUST_200600_302600_NS6detail15normal_iteratorINS9_10device_ptrIjEEEENS9_16discard_iteratorINS9_11use_defaultEEEjNS9_4plusIvEEjEEDaPvRmT3_T4_T5_mT6_P12ihipStream_tbENKUlT_T0_E_clISt17integral_constantIbLb0EESX_EEDaSS_ST_EUlSS_E0_NS1_11comp_targetILNS1_3genE10ELNS1_11target_archE1200ELNS1_3gpuE4ELNS1_3repE0EEENS1_30default_config_static_selectorELNS0_4arch9wavefront6targetE1EEEvT1_: ; @_ZN7rocprim17ROCPRIM_400000_NS6detail17trampoline_kernelINS0_14default_configENS1_20scan_config_selectorIjEEZZNS1_9scan_implILNS1_25lookback_scan_determinismE0ELb0ELb0ES3_N6thrust23THRUST_200600_302600_NS6detail15normal_iteratorINS9_10device_ptrIjEEEENS9_16discard_iteratorINS9_11use_defaultEEEjNS9_4plusIvEEjEEDaPvRmT3_T4_T5_mT6_P12ihipStream_tbENKUlT_T0_E_clISt17integral_constantIbLb0EESX_EEDaSS_ST_EUlSS_E0_NS1_11comp_targetILNS1_3genE10ELNS1_11target_archE1200ELNS1_3gpuE4ELNS1_3repE0EEENS1_30default_config_static_selectorELNS0_4arch9wavefront6targetE1EEEvT1_
; %bb.0:
	.section	.rodata,"a",@progbits
	.p2align	6, 0x0
	.amdhsa_kernel _ZN7rocprim17ROCPRIM_400000_NS6detail17trampoline_kernelINS0_14default_configENS1_20scan_config_selectorIjEEZZNS1_9scan_implILNS1_25lookback_scan_determinismE0ELb0ELb0ES3_N6thrust23THRUST_200600_302600_NS6detail15normal_iteratorINS9_10device_ptrIjEEEENS9_16discard_iteratorINS9_11use_defaultEEEjNS9_4plusIvEEjEEDaPvRmT3_T4_T5_mT6_P12ihipStream_tbENKUlT_T0_E_clISt17integral_constantIbLb0EESX_EEDaSS_ST_EUlSS_E0_NS1_11comp_targetILNS1_3genE10ELNS1_11target_archE1200ELNS1_3gpuE4ELNS1_3repE0EEENS1_30default_config_static_selectorELNS0_4arch9wavefront6targetE1EEEvT1_
		.amdhsa_group_segment_fixed_size 0
		.amdhsa_private_segment_fixed_size 0
		.amdhsa_kernarg_size 40
		.amdhsa_user_sgpr_count 6
		.amdhsa_user_sgpr_private_segment_buffer 1
		.amdhsa_user_sgpr_dispatch_ptr 0
		.amdhsa_user_sgpr_queue_ptr 0
		.amdhsa_user_sgpr_kernarg_segment_ptr 1
		.amdhsa_user_sgpr_dispatch_id 0
		.amdhsa_user_sgpr_flat_scratch_init 0
		.amdhsa_user_sgpr_kernarg_preload_length 0
		.amdhsa_user_sgpr_kernarg_preload_offset 0
		.amdhsa_user_sgpr_private_segment_size 0
		.amdhsa_uses_dynamic_stack 0
		.amdhsa_system_sgpr_private_segment_wavefront_offset 0
		.amdhsa_system_sgpr_workgroup_id_x 1
		.amdhsa_system_sgpr_workgroup_id_y 0
		.amdhsa_system_sgpr_workgroup_id_z 0
		.amdhsa_system_sgpr_workgroup_info 0
		.amdhsa_system_vgpr_workitem_id 0
		.amdhsa_next_free_vgpr 1
		.amdhsa_next_free_sgpr 0
		.amdhsa_accum_offset 4
		.amdhsa_reserve_vcc 0
		.amdhsa_reserve_flat_scratch 0
		.amdhsa_float_round_mode_32 0
		.amdhsa_float_round_mode_16_64 0
		.amdhsa_float_denorm_mode_32 3
		.amdhsa_float_denorm_mode_16_64 3
		.amdhsa_dx10_clamp 1
		.amdhsa_ieee_mode 1
		.amdhsa_fp16_overflow 0
		.amdhsa_tg_split 0
		.amdhsa_exception_fp_ieee_invalid_op 0
		.amdhsa_exception_fp_denorm_src 0
		.amdhsa_exception_fp_ieee_div_zero 0
		.amdhsa_exception_fp_ieee_overflow 0
		.amdhsa_exception_fp_ieee_underflow 0
		.amdhsa_exception_fp_ieee_inexact 0
		.amdhsa_exception_int_div_zero 0
	.end_amdhsa_kernel
	.section	.text._ZN7rocprim17ROCPRIM_400000_NS6detail17trampoline_kernelINS0_14default_configENS1_20scan_config_selectorIjEEZZNS1_9scan_implILNS1_25lookback_scan_determinismE0ELb0ELb0ES3_N6thrust23THRUST_200600_302600_NS6detail15normal_iteratorINS9_10device_ptrIjEEEENS9_16discard_iteratorINS9_11use_defaultEEEjNS9_4plusIvEEjEEDaPvRmT3_T4_T5_mT6_P12ihipStream_tbENKUlT_T0_E_clISt17integral_constantIbLb0EESX_EEDaSS_ST_EUlSS_E0_NS1_11comp_targetILNS1_3genE10ELNS1_11target_archE1200ELNS1_3gpuE4ELNS1_3repE0EEENS1_30default_config_static_selectorELNS0_4arch9wavefront6targetE1EEEvT1_,"axG",@progbits,_ZN7rocprim17ROCPRIM_400000_NS6detail17trampoline_kernelINS0_14default_configENS1_20scan_config_selectorIjEEZZNS1_9scan_implILNS1_25lookback_scan_determinismE0ELb0ELb0ES3_N6thrust23THRUST_200600_302600_NS6detail15normal_iteratorINS9_10device_ptrIjEEEENS9_16discard_iteratorINS9_11use_defaultEEEjNS9_4plusIvEEjEEDaPvRmT3_T4_T5_mT6_P12ihipStream_tbENKUlT_T0_E_clISt17integral_constantIbLb0EESX_EEDaSS_ST_EUlSS_E0_NS1_11comp_targetILNS1_3genE10ELNS1_11target_archE1200ELNS1_3gpuE4ELNS1_3repE0EEENS1_30default_config_static_selectorELNS0_4arch9wavefront6targetE1EEEvT1_,comdat
.Lfunc_end5309:
	.size	_ZN7rocprim17ROCPRIM_400000_NS6detail17trampoline_kernelINS0_14default_configENS1_20scan_config_selectorIjEEZZNS1_9scan_implILNS1_25lookback_scan_determinismE0ELb0ELb0ES3_N6thrust23THRUST_200600_302600_NS6detail15normal_iteratorINS9_10device_ptrIjEEEENS9_16discard_iteratorINS9_11use_defaultEEEjNS9_4plusIvEEjEEDaPvRmT3_T4_T5_mT6_P12ihipStream_tbENKUlT_T0_E_clISt17integral_constantIbLb0EESX_EEDaSS_ST_EUlSS_E0_NS1_11comp_targetILNS1_3genE10ELNS1_11target_archE1200ELNS1_3gpuE4ELNS1_3repE0EEENS1_30default_config_static_selectorELNS0_4arch9wavefront6targetE1EEEvT1_, .Lfunc_end5309-_ZN7rocprim17ROCPRIM_400000_NS6detail17trampoline_kernelINS0_14default_configENS1_20scan_config_selectorIjEEZZNS1_9scan_implILNS1_25lookback_scan_determinismE0ELb0ELb0ES3_N6thrust23THRUST_200600_302600_NS6detail15normal_iteratorINS9_10device_ptrIjEEEENS9_16discard_iteratorINS9_11use_defaultEEEjNS9_4plusIvEEjEEDaPvRmT3_T4_T5_mT6_P12ihipStream_tbENKUlT_T0_E_clISt17integral_constantIbLb0EESX_EEDaSS_ST_EUlSS_E0_NS1_11comp_targetILNS1_3genE10ELNS1_11target_archE1200ELNS1_3gpuE4ELNS1_3repE0EEENS1_30default_config_static_selectorELNS0_4arch9wavefront6targetE1EEEvT1_
                                        ; -- End function
	.section	.AMDGPU.csdata,"",@progbits
; Kernel info:
; codeLenInByte = 0
; NumSgprs: 4
; NumVgprs: 0
; NumAgprs: 0
; TotalNumVgprs: 0
; ScratchSize: 0
; MemoryBound: 0
; FloatMode: 240
; IeeeMode: 1
; LDSByteSize: 0 bytes/workgroup (compile time only)
; SGPRBlocks: 0
; VGPRBlocks: 0
; NumSGPRsForWavesPerEU: 4
; NumVGPRsForWavesPerEU: 1
; AccumOffset: 4
; Occupancy: 8
; WaveLimiterHint : 0
; COMPUTE_PGM_RSRC2:SCRATCH_EN: 0
; COMPUTE_PGM_RSRC2:USER_SGPR: 6
; COMPUTE_PGM_RSRC2:TRAP_HANDLER: 0
; COMPUTE_PGM_RSRC2:TGID_X_EN: 1
; COMPUTE_PGM_RSRC2:TGID_Y_EN: 0
; COMPUTE_PGM_RSRC2:TGID_Z_EN: 0
; COMPUTE_PGM_RSRC2:TIDIG_COMP_CNT: 0
; COMPUTE_PGM_RSRC3_GFX90A:ACCUM_OFFSET: 0
; COMPUTE_PGM_RSRC3_GFX90A:TG_SPLIT: 0
	.section	.text._ZN7rocprim17ROCPRIM_400000_NS6detail17trampoline_kernelINS0_14default_configENS1_20scan_config_selectorIjEEZZNS1_9scan_implILNS1_25lookback_scan_determinismE0ELb0ELb0ES3_N6thrust23THRUST_200600_302600_NS6detail15normal_iteratorINS9_10device_ptrIjEEEENS9_16discard_iteratorINS9_11use_defaultEEEjNS9_4plusIvEEjEEDaPvRmT3_T4_T5_mT6_P12ihipStream_tbENKUlT_T0_E_clISt17integral_constantIbLb0EESX_EEDaSS_ST_EUlSS_E0_NS1_11comp_targetILNS1_3genE9ELNS1_11target_archE1100ELNS1_3gpuE3ELNS1_3repE0EEENS1_30default_config_static_selectorELNS0_4arch9wavefront6targetE1EEEvT1_,"axG",@progbits,_ZN7rocprim17ROCPRIM_400000_NS6detail17trampoline_kernelINS0_14default_configENS1_20scan_config_selectorIjEEZZNS1_9scan_implILNS1_25lookback_scan_determinismE0ELb0ELb0ES3_N6thrust23THRUST_200600_302600_NS6detail15normal_iteratorINS9_10device_ptrIjEEEENS9_16discard_iteratorINS9_11use_defaultEEEjNS9_4plusIvEEjEEDaPvRmT3_T4_T5_mT6_P12ihipStream_tbENKUlT_T0_E_clISt17integral_constantIbLb0EESX_EEDaSS_ST_EUlSS_E0_NS1_11comp_targetILNS1_3genE9ELNS1_11target_archE1100ELNS1_3gpuE3ELNS1_3repE0EEENS1_30default_config_static_selectorELNS0_4arch9wavefront6targetE1EEEvT1_,comdat
	.protected	_ZN7rocprim17ROCPRIM_400000_NS6detail17trampoline_kernelINS0_14default_configENS1_20scan_config_selectorIjEEZZNS1_9scan_implILNS1_25lookback_scan_determinismE0ELb0ELb0ES3_N6thrust23THRUST_200600_302600_NS6detail15normal_iteratorINS9_10device_ptrIjEEEENS9_16discard_iteratorINS9_11use_defaultEEEjNS9_4plusIvEEjEEDaPvRmT3_T4_T5_mT6_P12ihipStream_tbENKUlT_T0_E_clISt17integral_constantIbLb0EESX_EEDaSS_ST_EUlSS_E0_NS1_11comp_targetILNS1_3genE9ELNS1_11target_archE1100ELNS1_3gpuE3ELNS1_3repE0EEENS1_30default_config_static_selectorELNS0_4arch9wavefront6targetE1EEEvT1_ ; -- Begin function _ZN7rocprim17ROCPRIM_400000_NS6detail17trampoline_kernelINS0_14default_configENS1_20scan_config_selectorIjEEZZNS1_9scan_implILNS1_25lookback_scan_determinismE0ELb0ELb0ES3_N6thrust23THRUST_200600_302600_NS6detail15normal_iteratorINS9_10device_ptrIjEEEENS9_16discard_iteratorINS9_11use_defaultEEEjNS9_4plusIvEEjEEDaPvRmT3_T4_T5_mT6_P12ihipStream_tbENKUlT_T0_E_clISt17integral_constantIbLb0EESX_EEDaSS_ST_EUlSS_E0_NS1_11comp_targetILNS1_3genE9ELNS1_11target_archE1100ELNS1_3gpuE3ELNS1_3repE0EEENS1_30default_config_static_selectorELNS0_4arch9wavefront6targetE1EEEvT1_
	.globl	_ZN7rocprim17ROCPRIM_400000_NS6detail17trampoline_kernelINS0_14default_configENS1_20scan_config_selectorIjEEZZNS1_9scan_implILNS1_25lookback_scan_determinismE0ELb0ELb0ES3_N6thrust23THRUST_200600_302600_NS6detail15normal_iteratorINS9_10device_ptrIjEEEENS9_16discard_iteratorINS9_11use_defaultEEEjNS9_4plusIvEEjEEDaPvRmT3_T4_T5_mT6_P12ihipStream_tbENKUlT_T0_E_clISt17integral_constantIbLb0EESX_EEDaSS_ST_EUlSS_E0_NS1_11comp_targetILNS1_3genE9ELNS1_11target_archE1100ELNS1_3gpuE3ELNS1_3repE0EEENS1_30default_config_static_selectorELNS0_4arch9wavefront6targetE1EEEvT1_
	.p2align	8
	.type	_ZN7rocprim17ROCPRIM_400000_NS6detail17trampoline_kernelINS0_14default_configENS1_20scan_config_selectorIjEEZZNS1_9scan_implILNS1_25lookback_scan_determinismE0ELb0ELb0ES3_N6thrust23THRUST_200600_302600_NS6detail15normal_iteratorINS9_10device_ptrIjEEEENS9_16discard_iteratorINS9_11use_defaultEEEjNS9_4plusIvEEjEEDaPvRmT3_T4_T5_mT6_P12ihipStream_tbENKUlT_T0_E_clISt17integral_constantIbLb0EESX_EEDaSS_ST_EUlSS_E0_NS1_11comp_targetILNS1_3genE9ELNS1_11target_archE1100ELNS1_3gpuE3ELNS1_3repE0EEENS1_30default_config_static_selectorELNS0_4arch9wavefront6targetE1EEEvT1_,@function
_ZN7rocprim17ROCPRIM_400000_NS6detail17trampoline_kernelINS0_14default_configENS1_20scan_config_selectorIjEEZZNS1_9scan_implILNS1_25lookback_scan_determinismE0ELb0ELb0ES3_N6thrust23THRUST_200600_302600_NS6detail15normal_iteratorINS9_10device_ptrIjEEEENS9_16discard_iteratorINS9_11use_defaultEEEjNS9_4plusIvEEjEEDaPvRmT3_T4_T5_mT6_P12ihipStream_tbENKUlT_T0_E_clISt17integral_constantIbLb0EESX_EEDaSS_ST_EUlSS_E0_NS1_11comp_targetILNS1_3genE9ELNS1_11target_archE1100ELNS1_3gpuE3ELNS1_3repE0EEENS1_30default_config_static_selectorELNS0_4arch9wavefront6targetE1EEEvT1_: ; @_ZN7rocprim17ROCPRIM_400000_NS6detail17trampoline_kernelINS0_14default_configENS1_20scan_config_selectorIjEEZZNS1_9scan_implILNS1_25lookback_scan_determinismE0ELb0ELb0ES3_N6thrust23THRUST_200600_302600_NS6detail15normal_iteratorINS9_10device_ptrIjEEEENS9_16discard_iteratorINS9_11use_defaultEEEjNS9_4plusIvEEjEEDaPvRmT3_T4_T5_mT6_P12ihipStream_tbENKUlT_T0_E_clISt17integral_constantIbLb0EESX_EEDaSS_ST_EUlSS_E0_NS1_11comp_targetILNS1_3genE9ELNS1_11target_archE1100ELNS1_3gpuE3ELNS1_3repE0EEENS1_30default_config_static_selectorELNS0_4arch9wavefront6targetE1EEEvT1_
; %bb.0:
	.section	.rodata,"a",@progbits
	.p2align	6, 0x0
	.amdhsa_kernel _ZN7rocprim17ROCPRIM_400000_NS6detail17trampoline_kernelINS0_14default_configENS1_20scan_config_selectorIjEEZZNS1_9scan_implILNS1_25lookback_scan_determinismE0ELb0ELb0ES3_N6thrust23THRUST_200600_302600_NS6detail15normal_iteratorINS9_10device_ptrIjEEEENS9_16discard_iteratorINS9_11use_defaultEEEjNS9_4plusIvEEjEEDaPvRmT3_T4_T5_mT6_P12ihipStream_tbENKUlT_T0_E_clISt17integral_constantIbLb0EESX_EEDaSS_ST_EUlSS_E0_NS1_11comp_targetILNS1_3genE9ELNS1_11target_archE1100ELNS1_3gpuE3ELNS1_3repE0EEENS1_30default_config_static_selectorELNS0_4arch9wavefront6targetE1EEEvT1_
		.amdhsa_group_segment_fixed_size 0
		.amdhsa_private_segment_fixed_size 0
		.amdhsa_kernarg_size 40
		.amdhsa_user_sgpr_count 6
		.amdhsa_user_sgpr_private_segment_buffer 1
		.amdhsa_user_sgpr_dispatch_ptr 0
		.amdhsa_user_sgpr_queue_ptr 0
		.amdhsa_user_sgpr_kernarg_segment_ptr 1
		.amdhsa_user_sgpr_dispatch_id 0
		.amdhsa_user_sgpr_flat_scratch_init 0
		.amdhsa_user_sgpr_kernarg_preload_length 0
		.amdhsa_user_sgpr_kernarg_preload_offset 0
		.amdhsa_user_sgpr_private_segment_size 0
		.amdhsa_uses_dynamic_stack 0
		.amdhsa_system_sgpr_private_segment_wavefront_offset 0
		.amdhsa_system_sgpr_workgroup_id_x 1
		.amdhsa_system_sgpr_workgroup_id_y 0
		.amdhsa_system_sgpr_workgroup_id_z 0
		.amdhsa_system_sgpr_workgroup_info 0
		.amdhsa_system_vgpr_workitem_id 0
		.amdhsa_next_free_vgpr 1
		.amdhsa_next_free_sgpr 0
		.amdhsa_accum_offset 4
		.amdhsa_reserve_vcc 0
		.amdhsa_reserve_flat_scratch 0
		.amdhsa_float_round_mode_32 0
		.amdhsa_float_round_mode_16_64 0
		.amdhsa_float_denorm_mode_32 3
		.amdhsa_float_denorm_mode_16_64 3
		.amdhsa_dx10_clamp 1
		.amdhsa_ieee_mode 1
		.amdhsa_fp16_overflow 0
		.amdhsa_tg_split 0
		.amdhsa_exception_fp_ieee_invalid_op 0
		.amdhsa_exception_fp_denorm_src 0
		.amdhsa_exception_fp_ieee_div_zero 0
		.amdhsa_exception_fp_ieee_overflow 0
		.amdhsa_exception_fp_ieee_underflow 0
		.amdhsa_exception_fp_ieee_inexact 0
		.amdhsa_exception_int_div_zero 0
	.end_amdhsa_kernel
	.section	.text._ZN7rocprim17ROCPRIM_400000_NS6detail17trampoline_kernelINS0_14default_configENS1_20scan_config_selectorIjEEZZNS1_9scan_implILNS1_25lookback_scan_determinismE0ELb0ELb0ES3_N6thrust23THRUST_200600_302600_NS6detail15normal_iteratorINS9_10device_ptrIjEEEENS9_16discard_iteratorINS9_11use_defaultEEEjNS9_4plusIvEEjEEDaPvRmT3_T4_T5_mT6_P12ihipStream_tbENKUlT_T0_E_clISt17integral_constantIbLb0EESX_EEDaSS_ST_EUlSS_E0_NS1_11comp_targetILNS1_3genE9ELNS1_11target_archE1100ELNS1_3gpuE3ELNS1_3repE0EEENS1_30default_config_static_selectorELNS0_4arch9wavefront6targetE1EEEvT1_,"axG",@progbits,_ZN7rocprim17ROCPRIM_400000_NS6detail17trampoline_kernelINS0_14default_configENS1_20scan_config_selectorIjEEZZNS1_9scan_implILNS1_25lookback_scan_determinismE0ELb0ELb0ES3_N6thrust23THRUST_200600_302600_NS6detail15normal_iteratorINS9_10device_ptrIjEEEENS9_16discard_iteratorINS9_11use_defaultEEEjNS9_4plusIvEEjEEDaPvRmT3_T4_T5_mT6_P12ihipStream_tbENKUlT_T0_E_clISt17integral_constantIbLb0EESX_EEDaSS_ST_EUlSS_E0_NS1_11comp_targetILNS1_3genE9ELNS1_11target_archE1100ELNS1_3gpuE3ELNS1_3repE0EEENS1_30default_config_static_selectorELNS0_4arch9wavefront6targetE1EEEvT1_,comdat
.Lfunc_end5310:
	.size	_ZN7rocprim17ROCPRIM_400000_NS6detail17trampoline_kernelINS0_14default_configENS1_20scan_config_selectorIjEEZZNS1_9scan_implILNS1_25lookback_scan_determinismE0ELb0ELb0ES3_N6thrust23THRUST_200600_302600_NS6detail15normal_iteratorINS9_10device_ptrIjEEEENS9_16discard_iteratorINS9_11use_defaultEEEjNS9_4plusIvEEjEEDaPvRmT3_T4_T5_mT6_P12ihipStream_tbENKUlT_T0_E_clISt17integral_constantIbLb0EESX_EEDaSS_ST_EUlSS_E0_NS1_11comp_targetILNS1_3genE9ELNS1_11target_archE1100ELNS1_3gpuE3ELNS1_3repE0EEENS1_30default_config_static_selectorELNS0_4arch9wavefront6targetE1EEEvT1_, .Lfunc_end5310-_ZN7rocprim17ROCPRIM_400000_NS6detail17trampoline_kernelINS0_14default_configENS1_20scan_config_selectorIjEEZZNS1_9scan_implILNS1_25lookback_scan_determinismE0ELb0ELb0ES3_N6thrust23THRUST_200600_302600_NS6detail15normal_iteratorINS9_10device_ptrIjEEEENS9_16discard_iteratorINS9_11use_defaultEEEjNS9_4plusIvEEjEEDaPvRmT3_T4_T5_mT6_P12ihipStream_tbENKUlT_T0_E_clISt17integral_constantIbLb0EESX_EEDaSS_ST_EUlSS_E0_NS1_11comp_targetILNS1_3genE9ELNS1_11target_archE1100ELNS1_3gpuE3ELNS1_3repE0EEENS1_30default_config_static_selectorELNS0_4arch9wavefront6targetE1EEEvT1_
                                        ; -- End function
	.section	.AMDGPU.csdata,"",@progbits
; Kernel info:
; codeLenInByte = 0
; NumSgprs: 4
; NumVgprs: 0
; NumAgprs: 0
; TotalNumVgprs: 0
; ScratchSize: 0
; MemoryBound: 0
; FloatMode: 240
; IeeeMode: 1
; LDSByteSize: 0 bytes/workgroup (compile time only)
; SGPRBlocks: 0
; VGPRBlocks: 0
; NumSGPRsForWavesPerEU: 4
; NumVGPRsForWavesPerEU: 1
; AccumOffset: 4
; Occupancy: 8
; WaveLimiterHint : 0
; COMPUTE_PGM_RSRC2:SCRATCH_EN: 0
; COMPUTE_PGM_RSRC2:USER_SGPR: 6
; COMPUTE_PGM_RSRC2:TRAP_HANDLER: 0
; COMPUTE_PGM_RSRC2:TGID_X_EN: 1
; COMPUTE_PGM_RSRC2:TGID_Y_EN: 0
; COMPUTE_PGM_RSRC2:TGID_Z_EN: 0
; COMPUTE_PGM_RSRC2:TIDIG_COMP_CNT: 0
; COMPUTE_PGM_RSRC3_GFX90A:ACCUM_OFFSET: 0
; COMPUTE_PGM_RSRC3_GFX90A:TG_SPLIT: 0
	.section	.text._ZN7rocprim17ROCPRIM_400000_NS6detail17trampoline_kernelINS0_14default_configENS1_20scan_config_selectorIjEEZZNS1_9scan_implILNS1_25lookback_scan_determinismE0ELb0ELb0ES3_N6thrust23THRUST_200600_302600_NS6detail15normal_iteratorINS9_10device_ptrIjEEEENS9_16discard_iteratorINS9_11use_defaultEEEjNS9_4plusIvEEjEEDaPvRmT3_T4_T5_mT6_P12ihipStream_tbENKUlT_T0_E_clISt17integral_constantIbLb0EESX_EEDaSS_ST_EUlSS_E0_NS1_11comp_targetILNS1_3genE8ELNS1_11target_archE1030ELNS1_3gpuE2ELNS1_3repE0EEENS1_30default_config_static_selectorELNS0_4arch9wavefront6targetE1EEEvT1_,"axG",@progbits,_ZN7rocprim17ROCPRIM_400000_NS6detail17trampoline_kernelINS0_14default_configENS1_20scan_config_selectorIjEEZZNS1_9scan_implILNS1_25lookback_scan_determinismE0ELb0ELb0ES3_N6thrust23THRUST_200600_302600_NS6detail15normal_iteratorINS9_10device_ptrIjEEEENS9_16discard_iteratorINS9_11use_defaultEEEjNS9_4plusIvEEjEEDaPvRmT3_T4_T5_mT6_P12ihipStream_tbENKUlT_T0_E_clISt17integral_constantIbLb0EESX_EEDaSS_ST_EUlSS_E0_NS1_11comp_targetILNS1_3genE8ELNS1_11target_archE1030ELNS1_3gpuE2ELNS1_3repE0EEENS1_30default_config_static_selectorELNS0_4arch9wavefront6targetE1EEEvT1_,comdat
	.protected	_ZN7rocprim17ROCPRIM_400000_NS6detail17trampoline_kernelINS0_14default_configENS1_20scan_config_selectorIjEEZZNS1_9scan_implILNS1_25lookback_scan_determinismE0ELb0ELb0ES3_N6thrust23THRUST_200600_302600_NS6detail15normal_iteratorINS9_10device_ptrIjEEEENS9_16discard_iteratorINS9_11use_defaultEEEjNS9_4plusIvEEjEEDaPvRmT3_T4_T5_mT6_P12ihipStream_tbENKUlT_T0_E_clISt17integral_constantIbLb0EESX_EEDaSS_ST_EUlSS_E0_NS1_11comp_targetILNS1_3genE8ELNS1_11target_archE1030ELNS1_3gpuE2ELNS1_3repE0EEENS1_30default_config_static_selectorELNS0_4arch9wavefront6targetE1EEEvT1_ ; -- Begin function _ZN7rocprim17ROCPRIM_400000_NS6detail17trampoline_kernelINS0_14default_configENS1_20scan_config_selectorIjEEZZNS1_9scan_implILNS1_25lookback_scan_determinismE0ELb0ELb0ES3_N6thrust23THRUST_200600_302600_NS6detail15normal_iteratorINS9_10device_ptrIjEEEENS9_16discard_iteratorINS9_11use_defaultEEEjNS9_4plusIvEEjEEDaPvRmT3_T4_T5_mT6_P12ihipStream_tbENKUlT_T0_E_clISt17integral_constantIbLb0EESX_EEDaSS_ST_EUlSS_E0_NS1_11comp_targetILNS1_3genE8ELNS1_11target_archE1030ELNS1_3gpuE2ELNS1_3repE0EEENS1_30default_config_static_selectorELNS0_4arch9wavefront6targetE1EEEvT1_
	.globl	_ZN7rocprim17ROCPRIM_400000_NS6detail17trampoline_kernelINS0_14default_configENS1_20scan_config_selectorIjEEZZNS1_9scan_implILNS1_25lookback_scan_determinismE0ELb0ELb0ES3_N6thrust23THRUST_200600_302600_NS6detail15normal_iteratorINS9_10device_ptrIjEEEENS9_16discard_iteratorINS9_11use_defaultEEEjNS9_4plusIvEEjEEDaPvRmT3_T4_T5_mT6_P12ihipStream_tbENKUlT_T0_E_clISt17integral_constantIbLb0EESX_EEDaSS_ST_EUlSS_E0_NS1_11comp_targetILNS1_3genE8ELNS1_11target_archE1030ELNS1_3gpuE2ELNS1_3repE0EEENS1_30default_config_static_selectorELNS0_4arch9wavefront6targetE1EEEvT1_
	.p2align	8
	.type	_ZN7rocprim17ROCPRIM_400000_NS6detail17trampoline_kernelINS0_14default_configENS1_20scan_config_selectorIjEEZZNS1_9scan_implILNS1_25lookback_scan_determinismE0ELb0ELb0ES3_N6thrust23THRUST_200600_302600_NS6detail15normal_iteratorINS9_10device_ptrIjEEEENS9_16discard_iteratorINS9_11use_defaultEEEjNS9_4plusIvEEjEEDaPvRmT3_T4_T5_mT6_P12ihipStream_tbENKUlT_T0_E_clISt17integral_constantIbLb0EESX_EEDaSS_ST_EUlSS_E0_NS1_11comp_targetILNS1_3genE8ELNS1_11target_archE1030ELNS1_3gpuE2ELNS1_3repE0EEENS1_30default_config_static_selectorELNS0_4arch9wavefront6targetE1EEEvT1_,@function
_ZN7rocprim17ROCPRIM_400000_NS6detail17trampoline_kernelINS0_14default_configENS1_20scan_config_selectorIjEEZZNS1_9scan_implILNS1_25lookback_scan_determinismE0ELb0ELb0ES3_N6thrust23THRUST_200600_302600_NS6detail15normal_iteratorINS9_10device_ptrIjEEEENS9_16discard_iteratorINS9_11use_defaultEEEjNS9_4plusIvEEjEEDaPvRmT3_T4_T5_mT6_P12ihipStream_tbENKUlT_T0_E_clISt17integral_constantIbLb0EESX_EEDaSS_ST_EUlSS_E0_NS1_11comp_targetILNS1_3genE8ELNS1_11target_archE1030ELNS1_3gpuE2ELNS1_3repE0EEENS1_30default_config_static_selectorELNS0_4arch9wavefront6targetE1EEEvT1_: ; @_ZN7rocprim17ROCPRIM_400000_NS6detail17trampoline_kernelINS0_14default_configENS1_20scan_config_selectorIjEEZZNS1_9scan_implILNS1_25lookback_scan_determinismE0ELb0ELb0ES3_N6thrust23THRUST_200600_302600_NS6detail15normal_iteratorINS9_10device_ptrIjEEEENS9_16discard_iteratorINS9_11use_defaultEEEjNS9_4plusIvEEjEEDaPvRmT3_T4_T5_mT6_P12ihipStream_tbENKUlT_T0_E_clISt17integral_constantIbLb0EESX_EEDaSS_ST_EUlSS_E0_NS1_11comp_targetILNS1_3genE8ELNS1_11target_archE1030ELNS1_3gpuE2ELNS1_3repE0EEENS1_30default_config_static_selectorELNS0_4arch9wavefront6targetE1EEEvT1_
; %bb.0:
	.section	.rodata,"a",@progbits
	.p2align	6, 0x0
	.amdhsa_kernel _ZN7rocprim17ROCPRIM_400000_NS6detail17trampoline_kernelINS0_14default_configENS1_20scan_config_selectorIjEEZZNS1_9scan_implILNS1_25lookback_scan_determinismE0ELb0ELb0ES3_N6thrust23THRUST_200600_302600_NS6detail15normal_iteratorINS9_10device_ptrIjEEEENS9_16discard_iteratorINS9_11use_defaultEEEjNS9_4plusIvEEjEEDaPvRmT3_T4_T5_mT6_P12ihipStream_tbENKUlT_T0_E_clISt17integral_constantIbLb0EESX_EEDaSS_ST_EUlSS_E0_NS1_11comp_targetILNS1_3genE8ELNS1_11target_archE1030ELNS1_3gpuE2ELNS1_3repE0EEENS1_30default_config_static_selectorELNS0_4arch9wavefront6targetE1EEEvT1_
		.amdhsa_group_segment_fixed_size 0
		.amdhsa_private_segment_fixed_size 0
		.amdhsa_kernarg_size 40
		.amdhsa_user_sgpr_count 6
		.amdhsa_user_sgpr_private_segment_buffer 1
		.amdhsa_user_sgpr_dispatch_ptr 0
		.amdhsa_user_sgpr_queue_ptr 0
		.amdhsa_user_sgpr_kernarg_segment_ptr 1
		.amdhsa_user_sgpr_dispatch_id 0
		.amdhsa_user_sgpr_flat_scratch_init 0
		.amdhsa_user_sgpr_kernarg_preload_length 0
		.amdhsa_user_sgpr_kernarg_preload_offset 0
		.amdhsa_user_sgpr_private_segment_size 0
		.amdhsa_uses_dynamic_stack 0
		.amdhsa_system_sgpr_private_segment_wavefront_offset 0
		.amdhsa_system_sgpr_workgroup_id_x 1
		.amdhsa_system_sgpr_workgroup_id_y 0
		.amdhsa_system_sgpr_workgroup_id_z 0
		.amdhsa_system_sgpr_workgroup_info 0
		.amdhsa_system_vgpr_workitem_id 0
		.amdhsa_next_free_vgpr 1
		.amdhsa_next_free_sgpr 0
		.amdhsa_accum_offset 4
		.amdhsa_reserve_vcc 0
		.amdhsa_reserve_flat_scratch 0
		.amdhsa_float_round_mode_32 0
		.amdhsa_float_round_mode_16_64 0
		.amdhsa_float_denorm_mode_32 3
		.amdhsa_float_denorm_mode_16_64 3
		.amdhsa_dx10_clamp 1
		.amdhsa_ieee_mode 1
		.amdhsa_fp16_overflow 0
		.amdhsa_tg_split 0
		.amdhsa_exception_fp_ieee_invalid_op 0
		.amdhsa_exception_fp_denorm_src 0
		.amdhsa_exception_fp_ieee_div_zero 0
		.amdhsa_exception_fp_ieee_overflow 0
		.amdhsa_exception_fp_ieee_underflow 0
		.amdhsa_exception_fp_ieee_inexact 0
		.amdhsa_exception_int_div_zero 0
	.end_amdhsa_kernel
	.section	.text._ZN7rocprim17ROCPRIM_400000_NS6detail17trampoline_kernelINS0_14default_configENS1_20scan_config_selectorIjEEZZNS1_9scan_implILNS1_25lookback_scan_determinismE0ELb0ELb0ES3_N6thrust23THRUST_200600_302600_NS6detail15normal_iteratorINS9_10device_ptrIjEEEENS9_16discard_iteratorINS9_11use_defaultEEEjNS9_4plusIvEEjEEDaPvRmT3_T4_T5_mT6_P12ihipStream_tbENKUlT_T0_E_clISt17integral_constantIbLb0EESX_EEDaSS_ST_EUlSS_E0_NS1_11comp_targetILNS1_3genE8ELNS1_11target_archE1030ELNS1_3gpuE2ELNS1_3repE0EEENS1_30default_config_static_selectorELNS0_4arch9wavefront6targetE1EEEvT1_,"axG",@progbits,_ZN7rocprim17ROCPRIM_400000_NS6detail17trampoline_kernelINS0_14default_configENS1_20scan_config_selectorIjEEZZNS1_9scan_implILNS1_25lookback_scan_determinismE0ELb0ELb0ES3_N6thrust23THRUST_200600_302600_NS6detail15normal_iteratorINS9_10device_ptrIjEEEENS9_16discard_iteratorINS9_11use_defaultEEEjNS9_4plusIvEEjEEDaPvRmT3_T4_T5_mT6_P12ihipStream_tbENKUlT_T0_E_clISt17integral_constantIbLb0EESX_EEDaSS_ST_EUlSS_E0_NS1_11comp_targetILNS1_3genE8ELNS1_11target_archE1030ELNS1_3gpuE2ELNS1_3repE0EEENS1_30default_config_static_selectorELNS0_4arch9wavefront6targetE1EEEvT1_,comdat
.Lfunc_end5311:
	.size	_ZN7rocprim17ROCPRIM_400000_NS6detail17trampoline_kernelINS0_14default_configENS1_20scan_config_selectorIjEEZZNS1_9scan_implILNS1_25lookback_scan_determinismE0ELb0ELb0ES3_N6thrust23THRUST_200600_302600_NS6detail15normal_iteratorINS9_10device_ptrIjEEEENS9_16discard_iteratorINS9_11use_defaultEEEjNS9_4plusIvEEjEEDaPvRmT3_T4_T5_mT6_P12ihipStream_tbENKUlT_T0_E_clISt17integral_constantIbLb0EESX_EEDaSS_ST_EUlSS_E0_NS1_11comp_targetILNS1_3genE8ELNS1_11target_archE1030ELNS1_3gpuE2ELNS1_3repE0EEENS1_30default_config_static_selectorELNS0_4arch9wavefront6targetE1EEEvT1_, .Lfunc_end5311-_ZN7rocprim17ROCPRIM_400000_NS6detail17trampoline_kernelINS0_14default_configENS1_20scan_config_selectorIjEEZZNS1_9scan_implILNS1_25lookback_scan_determinismE0ELb0ELb0ES3_N6thrust23THRUST_200600_302600_NS6detail15normal_iteratorINS9_10device_ptrIjEEEENS9_16discard_iteratorINS9_11use_defaultEEEjNS9_4plusIvEEjEEDaPvRmT3_T4_T5_mT6_P12ihipStream_tbENKUlT_T0_E_clISt17integral_constantIbLb0EESX_EEDaSS_ST_EUlSS_E0_NS1_11comp_targetILNS1_3genE8ELNS1_11target_archE1030ELNS1_3gpuE2ELNS1_3repE0EEENS1_30default_config_static_selectorELNS0_4arch9wavefront6targetE1EEEvT1_
                                        ; -- End function
	.section	.AMDGPU.csdata,"",@progbits
; Kernel info:
; codeLenInByte = 0
; NumSgprs: 4
; NumVgprs: 0
; NumAgprs: 0
; TotalNumVgprs: 0
; ScratchSize: 0
; MemoryBound: 0
; FloatMode: 240
; IeeeMode: 1
; LDSByteSize: 0 bytes/workgroup (compile time only)
; SGPRBlocks: 0
; VGPRBlocks: 0
; NumSGPRsForWavesPerEU: 4
; NumVGPRsForWavesPerEU: 1
; AccumOffset: 4
; Occupancy: 8
; WaveLimiterHint : 0
; COMPUTE_PGM_RSRC2:SCRATCH_EN: 0
; COMPUTE_PGM_RSRC2:USER_SGPR: 6
; COMPUTE_PGM_RSRC2:TRAP_HANDLER: 0
; COMPUTE_PGM_RSRC2:TGID_X_EN: 1
; COMPUTE_PGM_RSRC2:TGID_Y_EN: 0
; COMPUTE_PGM_RSRC2:TGID_Z_EN: 0
; COMPUTE_PGM_RSRC2:TIDIG_COMP_CNT: 0
; COMPUTE_PGM_RSRC3_GFX90A:ACCUM_OFFSET: 0
; COMPUTE_PGM_RSRC3_GFX90A:TG_SPLIT: 0
	.section	.text._ZN7rocprim17ROCPRIM_400000_NS6detail17trampoline_kernelINS0_14default_configENS1_20scan_config_selectorIjEEZZNS1_9scan_implILNS1_25lookback_scan_determinismE0ELb0ELb0ES3_N6thrust23THRUST_200600_302600_NS6detail15normal_iteratorINS9_10device_ptrIjEEEENS9_16discard_iteratorINS9_11use_defaultEEEjNS9_4plusIvEEjEEDaPvRmT3_T4_T5_mT6_P12ihipStream_tbENKUlT_T0_E_clISt17integral_constantIbLb1EESX_EEDaSS_ST_EUlSS_E_NS1_11comp_targetILNS1_3genE0ELNS1_11target_archE4294967295ELNS1_3gpuE0ELNS1_3repE0EEENS1_30default_config_static_selectorELNS0_4arch9wavefront6targetE1EEEvT1_,"axG",@progbits,_ZN7rocprim17ROCPRIM_400000_NS6detail17trampoline_kernelINS0_14default_configENS1_20scan_config_selectorIjEEZZNS1_9scan_implILNS1_25lookback_scan_determinismE0ELb0ELb0ES3_N6thrust23THRUST_200600_302600_NS6detail15normal_iteratorINS9_10device_ptrIjEEEENS9_16discard_iteratorINS9_11use_defaultEEEjNS9_4plusIvEEjEEDaPvRmT3_T4_T5_mT6_P12ihipStream_tbENKUlT_T0_E_clISt17integral_constantIbLb1EESX_EEDaSS_ST_EUlSS_E_NS1_11comp_targetILNS1_3genE0ELNS1_11target_archE4294967295ELNS1_3gpuE0ELNS1_3repE0EEENS1_30default_config_static_selectorELNS0_4arch9wavefront6targetE1EEEvT1_,comdat
	.protected	_ZN7rocprim17ROCPRIM_400000_NS6detail17trampoline_kernelINS0_14default_configENS1_20scan_config_selectorIjEEZZNS1_9scan_implILNS1_25lookback_scan_determinismE0ELb0ELb0ES3_N6thrust23THRUST_200600_302600_NS6detail15normal_iteratorINS9_10device_ptrIjEEEENS9_16discard_iteratorINS9_11use_defaultEEEjNS9_4plusIvEEjEEDaPvRmT3_T4_T5_mT6_P12ihipStream_tbENKUlT_T0_E_clISt17integral_constantIbLb1EESX_EEDaSS_ST_EUlSS_E_NS1_11comp_targetILNS1_3genE0ELNS1_11target_archE4294967295ELNS1_3gpuE0ELNS1_3repE0EEENS1_30default_config_static_selectorELNS0_4arch9wavefront6targetE1EEEvT1_ ; -- Begin function _ZN7rocprim17ROCPRIM_400000_NS6detail17trampoline_kernelINS0_14default_configENS1_20scan_config_selectorIjEEZZNS1_9scan_implILNS1_25lookback_scan_determinismE0ELb0ELb0ES3_N6thrust23THRUST_200600_302600_NS6detail15normal_iteratorINS9_10device_ptrIjEEEENS9_16discard_iteratorINS9_11use_defaultEEEjNS9_4plusIvEEjEEDaPvRmT3_T4_T5_mT6_P12ihipStream_tbENKUlT_T0_E_clISt17integral_constantIbLb1EESX_EEDaSS_ST_EUlSS_E_NS1_11comp_targetILNS1_3genE0ELNS1_11target_archE4294967295ELNS1_3gpuE0ELNS1_3repE0EEENS1_30default_config_static_selectorELNS0_4arch9wavefront6targetE1EEEvT1_
	.globl	_ZN7rocprim17ROCPRIM_400000_NS6detail17trampoline_kernelINS0_14default_configENS1_20scan_config_selectorIjEEZZNS1_9scan_implILNS1_25lookback_scan_determinismE0ELb0ELb0ES3_N6thrust23THRUST_200600_302600_NS6detail15normal_iteratorINS9_10device_ptrIjEEEENS9_16discard_iteratorINS9_11use_defaultEEEjNS9_4plusIvEEjEEDaPvRmT3_T4_T5_mT6_P12ihipStream_tbENKUlT_T0_E_clISt17integral_constantIbLb1EESX_EEDaSS_ST_EUlSS_E_NS1_11comp_targetILNS1_3genE0ELNS1_11target_archE4294967295ELNS1_3gpuE0ELNS1_3repE0EEENS1_30default_config_static_selectorELNS0_4arch9wavefront6targetE1EEEvT1_
	.p2align	8
	.type	_ZN7rocprim17ROCPRIM_400000_NS6detail17trampoline_kernelINS0_14default_configENS1_20scan_config_selectorIjEEZZNS1_9scan_implILNS1_25lookback_scan_determinismE0ELb0ELb0ES3_N6thrust23THRUST_200600_302600_NS6detail15normal_iteratorINS9_10device_ptrIjEEEENS9_16discard_iteratorINS9_11use_defaultEEEjNS9_4plusIvEEjEEDaPvRmT3_T4_T5_mT6_P12ihipStream_tbENKUlT_T0_E_clISt17integral_constantIbLb1EESX_EEDaSS_ST_EUlSS_E_NS1_11comp_targetILNS1_3genE0ELNS1_11target_archE4294967295ELNS1_3gpuE0ELNS1_3repE0EEENS1_30default_config_static_selectorELNS0_4arch9wavefront6targetE1EEEvT1_,@function
_ZN7rocprim17ROCPRIM_400000_NS6detail17trampoline_kernelINS0_14default_configENS1_20scan_config_selectorIjEEZZNS1_9scan_implILNS1_25lookback_scan_determinismE0ELb0ELb0ES3_N6thrust23THRUST_200600_302600_NS6detail15normal_iteratorINS9_10device_ptrIjEEEENS9_16discard_iteratorINS9_11use_defaultEEEjNS9_4plusIvEEjEEDaPvRmT3_T4_T5_mT6_P12ihipStream_tbENKUlT_T0_E_clISt17integral_constantIbLb1EESX_EEDaSS_ST_EUlSS_E_NS1_11comp_targetILNS1_3genE0ELNS1_11target_archE4294967295ELNS1_3gpuE0ELNS1_3repE0EEENS1_30default_config_static_selectorELNS0_4arch9wavefront6targetE1EEEvT1_: ; @_ZN7rocprim17ROCPRIM_400000_NS6detail17trampoline_kernelINS0_14default_configENS1_20scan_config_selectorIjEEZZNS1_9scan_implILNS1_25lookback_scan_determinismE0ELb0ELb0ES3_N6thrust23THRUST_200600_302600_NS6detail15normal_iteratorINS9_10device_ptrIjEEEENS9_16discard_iteratorINS9_11use_defaultEEEjNS9_4plusIvEEjEEDaPvRmT3_T4_T5_mT6_P12ihipStream_tbENKUlT_T0_E_clISt17integral_constantIbLb1EESX_EEDaSS_ST_EUlSS_E_NS1_11comp_targetILNS1_3genE0ELNS1_11target_archE4294967295ELNS1_3gpuE0ELNS1_3repE0EEENS1_30default_config_static_selectorELNS0_4arch9wavefront6targetE1EEEvT1_
; %bb.0:
	.section	.rodata,"a",@progbits
	.p2align	6, 0x0
	.amdhsa_kernel _ZN7rocprim17ROCPRIM_400000_NS6detail17trampoline_kernelINS0_14default_configENS1_20scan_config_selectorIjEEZZNS1_9scan_implILNS1_25lookback_scan_determinismE0ELb0ELb0ES3_N6thrust23THRUST_200600_302600_NS6detail15normal_iteratorINS9_10device_ptrIjEEEENS9_16discard_iteratorINS9_11use_defaultEEEjNS9_4plusIvEEjEEDaPvRmT3_T4_T5_mT6_P12ihipStream_tbENKUlT_T0_E_clISt17integral_constantIbLb1EESX_EEDaSS_ST_EUlSS_E_NS1_11comp_targetILNS1_3genE0ELNS1_11target_archE4294967295ELNS1_3gpuE0ELNS1_3repE0EEENS1_30default_config_static_selectorELNS0_4arch9wavefront6targetE1EEEvT1_
		.amdhsa_group_segment_fixed_size 0
		.amdhsa_private_segment_fixed_size 0
		.amdhsa_kernarg_size 104
		.amdhsa_user_sgpr_count 6
		.amdhsa_user_sgpr_private_segment_buffer 1
		.amdhsa_user_sgpr_dispatch_ptr 0
		.amdhsa_user_sgpr_queue_ptr 0
		.amdhsa_user_sgpr_kernarg_segment_ptr 1
		.amdhsa_user_sgpr_dispatch_id 0
		.amdhsa_user_sgpr_flat_scratch_init 0
		.amdhsa_user_sgpr_kernarg_preload_length 0
		.amdhsa_user_sgpr_kernarg_preload_offset 0
		.amdhsa_user_sgpr_private_segment_size 0
		.amdhsa_uses_dynamic_stack 0
		.amdhsa_system_sgpr_private_segment_wavefront_offset 0
		.amdhsa_system_sgpr_workgroup_id_x 1
		.amdhsa_system_sgpr_workgroup_id_y 0
		.amdhsa_system_sgpr_workgroup_id_z 0
		.amdhsa_system_sgpr_workgroup_info 0
		.amdhsa_system_vgpr_workitem_id 0
		.amdhsa_next_free_vgpr 1
		.amdhsa_next_free_sgpr 0
		.amdhsa_accum_offset 4
		.amdhsa_reserve_vcc 0
		.amdhsa_reserve_flat_scratch 0
		.amdhsa_float_round_mode_32 0
		.amdhsa_float_round_mode_16_64 0
		.amdhsa_float_denorm_mode_32 3
		.amdhsa_float_denorm_mode_16_64 3
		.amdhsa_dx10_clamp 1
		.amdhsa_ieee_mode 1
		.amdhsa_fp16_overflow 0
		.amdhsa_tg_split 0
		.amdhsa_exception_fp_ieee_invalid_op 0
		.amdhsa_exception_fp_denorm_src 0
		.amdhsa_exception_fp_ieee_div_zero 0
		.amdhsa_exception_fp_ieee_overflow 0
		.amdhsa_exception_fp_ieee_underflow 0
		.amdhsa_exception_fp_ieee_inexact 0
		.amdhsa_exception_int_div_zero 0
	.end_amdhsa_kernel
	.section	.text._ZN7rocprim17ROCPRIM_400000_NS6detail17trampoline_kernelINS0_14default_configENS1_20scan_config_selectorIjEEZZNS1_9scan_implILNS1_25lookback_scan_determinismE0ELb0ELb0ES3_N6thrust23THRUST_200600_302600_NS6detail15normal_iteratorINS9_10device_ptrIjEEEENS9_16discard_iteratorINS9_11use_defaultEEEjNS9_4plusIvEEjEEDaPvRmT3_T4_T5_mT6_P12ihipStream_tbENKUlT_T0_E_clISt17integral_constantIbLb1EESX_EEDaSS_ST_EUlSS_E_NS1_11comp_targetILNS1_3genE0ELNS1_11target_archE4294967295ELNS1_3gpuE0ELNS1_3repE0EEENS1_30default_config_static_selectorELNS0_4arch9wavefront6targetE1EEEvT1_,"axG",@progbits,_ZN7rocprim17ROCPRIM_400000_NS6detail17trampoline_kernelINS0_14default_configENS1_20scan_config_selectorIjEEZZNS1_9scan_implILNS1_25lookback_scan_determinismE0ELb0ELb0ES3_N6thrust23THRUST_200600_302600_NS6detail15normal_iteratorINS9_10device_ptrIjEEEENS9_16discard_iteratorINS9_11use_defaultEEEjNS9_4plusIvEEjEEDaPvRmT3_T4_T5_mT6_P12ihipStream_tbENKUlT_T0_E_clISt17integral_constantIbLb1EESX_EEDaSS_ST_EUlSS_E_NS1_11comp_targetILNS1_3genE0ELNS1_11target_archE4294967295ELNS1_3gpuE0ELNS1_3repE0EEENS1_30default_config_static_selectorELNS0_4arch9wavefront6targetE1EEEvT1_,comdat
.Lfunc_end5312:
	.size	_ZN7rocprim17ROCPRIM_400000_NS6detail17trampoline_kernelINS0_14default_configENS1_20scan_config_selectorIjEEZZNS1_9scan_implILNS1_25lookback_scan_determinismE0ELb0ELb0ES3_N6thrust23THRUST_200600_302600_NS6detail15normal_iteratorINS9_10device_ptrIjEEEENS9_16discard_iteratorINS9_11use_defaultEEEjNS9_4plusIvEEjEEDaPvRmT3_T4_T5_mT6_P12ihipStream_tbENKUlT_T0_E_clISt17integral_constantIbLb1EESX_EEDaSS_ST_EUlSS_E_NS1_11comp_targetILNS1_3genE0ELNS1_11target_archE4294967295ELNS1_3gpuE0ELNS1_3repE0EEENS1_30default_config_static_selectorELNS0_4arch9wavefront6targetE1EEEvT1_, .Lfunc_end5312-_ZN7rocprim17ROCPRIM_400000_NS6detail17trampoline_kernelINS0_14default_configENS1_20scan_config_selectorIjEEZZNS1_9scan_implILNS1_25lookback_scan_determinismE0ELb0ELb0ES3_N6thrust23THRUST_200600_302600_NS6detail15normal_iteratorINS9_10device_ptrIjEEEENS9_16discard_iteratorINS9_11use_defaultEEEjNS9_4plusIvEEjEEDaPvRmT3_T4_T5_mT6_P12ihipStream_tbENKUlT_T0_E_clISt17integral_constantIbLb1EESX_EEDaSS_ST_EUlSS_E_NS1_11comp_targetILNS1_3genE0ELNS1_11target_archE4294967295ELNS1_3gpuE0ELNS1_3repE0EEENS1_30default_config_static_selectorELNS0_4arch9wavefront6targetE1EEEvT1_
                                        ; -- End function
	.section	.AMDGPU.csdata,"",@progbits
; Kernel info:
; codeLenInByte = 0
; NumSgprs: 4
; NumVgprs: 0
; NumAgprs: 0
; TotalNumVgprs: 0
; ScratchSize: 0
; MemoryBound: 0
; FloatMode: 240
; IeeeMode: 1
; LDSByteSize: 0 bytes/workgroup (compile time only)
; SGPRBlocks: 0
; VGPRBlocks: 0
; NumSGPRsForWavesPerEU: 4
; NumVGPRsForWavesPerEU: 1
; AccumOffset: 4
; Occupancy: 8
; WaveLimiterHint : 0
; COMPUTE_PGM_RSRC2:SCRATCH_EN: 0
; COMPUTE_PGM_RSRC2:USER_SGPR: 6
; COMPUTE_PGM_RSRC2:TRAP_HANDLER: 0
; COMPUTE_PGM_RSRC2:TGID_X_EN: 1
; COMPUTE_PGM_RSRC2:TGID_Y_EN: 0
; COMPUTE_PGM_RSRC2:TGID_Z_EN: 0
; COMPUTE_PGM_RSRC2:TIDIG_COMP_CNT: 0
; COMPUTE_PGM_RSRC3_GFX90A:ACCUM_OFFSET: 0
; COMPUTE_PGM_RSRC3_GFX90A:TG_SPLIT: 0
	.section	.text._ZN7rocprim17ROCPRIM_400000_NS6detail17trampoline_kernelINS0_14default_configENS1_20scan_config_selectorIjEEZZNS1_9scan_implILNS1_25lookback_scan_determinismE0ELb0ELb0ES3_N6thrust23THRUST_200600_302600_NS6detail15normal_iteratorINS9_10device_ptrIjEEEENS9_16discard_iteratorINS9_11use_defaultEEEjNS9_4plusIvEEjEEDaPvRmT3_T4_T5_mT6_P12ihipStream_tbENKUlT_T0_E_clISt17integral_constantIbLb1EESX_EEDaSS_ST_EUlSS_E_NS1_11comp_targetILNS1_3genE5ELNS1_11target_archE942ELNS1_3gpuE9ELNS1_3repE0EEENS1_30default_config_static_selectorELNS0_4arch9wavefront6targetE1EEEvT1_,"axG",@progbits,_ZN7rocprim17ROCPRIM_400000_NS6detail17trampoline_kernelINS0_14default_configENS1_20scan_config_selectorIjEEZZNS1_9scan_implILNS1_25lookback_scan_determinismE0ELb0ELb0ES3_N6thrust23THRUST_200600_302600_NS6detail15normal_iteratorINS9_10device_ptrIjEEEENS9_16discard_iteratorINS9_11use_defaultEEEjNS9_4plusIvEEjEEDaPvRmT3_T4_T5_mT6_P12ihipStream_tbENKUlT_T0_E_clISt17integral_constantIbLb1EESX_EEDaSS_ST_EUlSS_E_NS1_11comp_targetILNS1_3genE5ELNS1_11target_archE942ELNS1_3gpuE9ELNS1_3repE0EEENS1_30default_config_static_selectorELNS0_4arch9wavefront6targetE1EEEvT1_,comdat
	.protected	_ZN7rocprim17ROCPRIM_400000_NS6detail17trampoline_kernelINS0_14default_configENS1_20scan_config_selectorIjEEZZNS1_9scan_implILNS1_25lookback_scan_determinismE0ELb0ELb0ES3_N6thrust23THRUST_200600_302600_NS6detail15normal_iteratorINS9_10device_ptrIjEEEENS9_16discard_iteratorINS9_11use_defaultEEEjNS9_4plusIvEEjEEDaPvRmT3_T4_T5_mT6_P12ihipStream_tbENKUlT_T0_E_clISt17integral_constantIbLb1EESX_EEDaSS_ST_EUlSS_E_NS1_11comp_targetILNS1_3genE5ELNS1_11target_archE942ELNS1_3gpuE9ELNS1_3repE0EEENS1_30default_config_static_selectorELNS0_4arch9wavefront6targetE1EEEvT1_ ; -- Begin function _ZN7rocprim17ROCPRIM_400000_NS6detail17trampoline_kernelINS0_14default_configENS1_20scan_config_selectorIjEEZZNS1_9scan_implILNS1_25lookback_scan_determinismE0ELb0ELb0ES3_N6thrust23THRUST_200600_302600_NS6detail15normal_iteratorINS9_10device_ptrIjEEEENS9_16discard_iteratorINS9_11use_defaultEEEjNS9_4plusIvEEjEEDaPvRmT3_T4_T5_mT6_P12ihipStream_tbENKUlT_T0_E_clISt17integral_constantIbLb1EESX_EEDaSS_ST_EUlSS_E_NS1_11comp_targetILNS1_3genE5ELNS1_11target_archE942ELNS1_3gpuE9ELNS1_3repE0EEENS1_30default_config_static_selectorELNS0_4arch9wavefront6targetE1EEEvT1_
	.globl	_ZN7rocprim17ROCPRIM_400000_NS6detail17trampoline_kernelINS0_14default_configENS1_20scan_config_selectorIjEEZZNS1_9scan_implILNS1_25lookback_scan_determinismE0ELb0ELb0ES3_N6thrust23THRUST_200600_302600_NS6detail15normal_iteratorINS9_10device_ptrIjEEEENS9_16discard_iteratorINS9_11use_defaultEEEjNS9_4plusIvEEjEEDaPvRmT3_T4_T5_mT6_P12ihipStream_tbENKUlT_T0_E_clISt17integral_constantIbLb1EESX_EEDaSS_ST_EUlSS_E_NS1_11comp_targetILNS1_3genE5ELNS1_11target_archE942ELNS1_3gpuE9ELNS1_3repE0EEENS1_30default_config_static_selectorELNS0_4arch9wavefront6targetE1EEEvT1_
	.p2align	8
	.type	_ZN7rocprim17ROCPRIM_400000_NS6detail17trampoline_kernelINS0_14default_configENS1_20scan_config_selectorIjEEZZNS1_9scan_implILNS1_25lookback_scan_determinismE0ELb0ELb0ES3_N6thrust23THRUST_200600_302600_NS6detail15normal_iteratorINS9_10device_ptrIjEEEENS9_16discard_iteratorINS9_11use_defaultEEEjNS9_4plusIvEEjEEDaPvRmT3_T4_T5_mT6_P12ihipStream_tbENKUlT_T0_E_clISt17integral_constantIbLb1EESX_EEDaSS_ST_EUlSS_E_NS1_11comp_targetILNS1_3genE5ELNS1_11target_archE942ELNS1_3gpuE9ELNS1_3repE0EEENS1_30default_config_static_selectorELNS0_4arch9wavefront6targetE1EEEvT1_,@function
_ZN7rocprim17ROCPRIM_400000_NS6detail17trampoline_kernelINS0_14default_configENS1_20scan_config_selectorIjEEZZNS1_9scan_implILNS1_25lookback_scan_determinismE0ELb0ELb0ES3_N6thrust23THRUST_200600_302600_NS6detail15normal_iteratorINS9_10device_ptrIjEEEENS9_16discard_iteratorINS9_11use_defaultEEEjNS9_4plusIvEEjEEDaPvRmT3_T4_T5_mT6_P12ihipStream_tbENKUlT_T0_E_clISt17integral_constantIbLb1EESX_EEDaSS_ST_EUlSS_E_NS1_11comp_targetILNS1_3genE5ELNS1_11target_archE942ELNS1_3gpuE9ELNS1_3repE0EEENS1_30default_config_static_selectorELNS0_4arch9wavefront6targetE1EEEvT1_: ; @_ZN7rocprim17ROCPRIM_400000_NS6detail17trampoline_kernelINS0_14default_configENS1_20scan_config_selectorIjEEZZNS1_9scan_implILNS1_25lookback_scan_determinismE0ELb0ELb0ES3_N6thrust23THRUST_200600_302600_NS6detail15normal_iteratorINS9_10device_ptrIjEEEENS9_16discard_iteratorINS9_11use_defaultEEEjNS9_4plusIvEEjEEDaPvRmT3_T4_T5_mT6_P12ihipStream_tbENKUlT_T0_E_clISt17integral_constantIbLb1EESX_EEDaSS_ST_EUlSS_E_NS1_11comp_targetILNS1_3genE5ELNS1_11target_archE942ELNS1_3gpuE9ELNS1_3repE0EEENS1_30default_config_static_selectorELNS0_4arch9wavefront6targetE1EEEvT1_
; %bb.0:
	.section	.rodata,"a",@progbits
	.p2align	6, 0x0
	.amdhsa_kernel _ZN7rocprim17ROCPRIM_400000_NS6detail17trampoline_kernelINS0_14default_configENS1_20scan_config_selectorIjEEZZNS1_9scan_implILNS1_25lookback_scan_determinismE0ELb0ELb0ES3_N6thrust23THRUST_200600_302600_NS6detail15normal_iteratorINS9_10device_ptrIjEEEENS9_16discard_iteratorINS9_11use_defaultEEEjNS9_4plusIvEEjEEDaPvRmT3_T4_T5_mT6_P12ihipStream_tbENKUlT_T0_E_clISt17integral_constantIbLb1EESX_EEDaSS_ST_EUlSS_E_NS1_11comp_targetILNS1_3genE5ELNS1_11target_archE942ELNS1_3gpuE9ELNS1_3repE0EEENS1_30default_config_static_selectorELNS0_4arch9wavefront6targetE1EEEvT1_
		.amdhsa_group_segment_fixed_size 0
		.amdhsa_private_segment_fixed_size 0
		.amdhsa_kernarg_size 104
		.amdhsa_user_sgpr_count 6
		.amdhsa_user_sgpr_private_segment_buffer 1
		.amdhsa_user_sgpr_dispatch_ptr 0
		.amdhsa_user_sgpr_queue_ptr 0
		.amdhsa_user_sgpr_kernarg_segment_ptr 1
		.amdhsa_user_sgpr_dispatch_id 0
		.amdhsa_user_sgpr_flat_scratch_init 0
		.amdhsa_user_sgpr_kernarg_preload_length 0
		.amdhsa_user_sgpr_kernarg_preload_offset 0
		.amdhsa_user_sgpr_private_segment_size 0
		.amdhsa_uses_dynamic_stack 0
		.amdhsa_system_sgpr_private_segment_wavefront_offset 0
		.amdhsa_system_sgpr_workgroup_id_x 1
		.amdhsa_system_sgpr_workgroup_id_y 0
		.amdhsa_system_sgpr_workgroup_id_z 0
		.amdhsa_system_sgpr_workgroup_info 0
		.amdhsa_system_vgpr_workitem_id 0
		.amdhsa_next_free_vgpr 1
		.amdhsa_next_free_sgpr 0
		.amdhsa_accum_offset 4
		.amdhsa_reserve_vcc 0
		.amdhsa_reserve_flat_scratch 0
		.amdhsa_float_round_mode_32 0
		.amdhsa_float_round_mode_16_64 0
		.amdhsa_float_denorm_mode_32 3
		.amdhsa_float_denorm_mode_16_64 3
		.amdhsa_dx10_clamp 1
		.amdhsa_ieee_mode 1
		.amdhsa_fp16_overflow 0
		.amdhsa_tg_split 0
		.amdhsa_exception_fp_ieee_invalid_op 0
		.amdhsa_exception_fp_denorm_src 0
		.amdhsa_exception_fp_ieee_div_zero 0
		.amdhsa_exception_fp_ieee_overflow 0
		.amdhsa_exception_fp_ieee_underflow 0
		.amdhsa_exception_fp_ieee_inexact 0
		.amdhsa_exception_int_div_zero 0
	.end_amdhsa_kernel
	.section	.text._ZN7rocprim17ROCPRIM_400000_NS6detail17trampoline_kernelINS0_14default_configENS1_20scan_config_selectorIjEEZZNS1_9scan_implILNS1_25lookback_scan_determinismE0ELb0ELb0ES3_N6thrust23THRUST_200600_302600_NS6detail15normal_iteratorINS9_10device_ptrIjEEEENS9_16discard_iteratorINS9_11use_defaultEEEjNS9_4plusIvEEjEEDaPvRmT3_T4_T5_mT6_P12ihipStream_tbENKUlT_T0_E_clISt17integral_constantIbLb1EESX_EEDaSS_ST_EUlSS_E_NS1_11comp_targetILNS1_3genE5ELNS1_11target_archE942ELNS1_3gpuE9ELNS1_3repE0EEENS1_30default_config_static_selectorELNS0_4arch9wavefront6targetE1EEEvT1_,"axG",@progbits,_ZN7rocprim17ROCPRIM_400000_NS6detail17trampoline_kernelINS0_14default_configENS1_20scan_config_selectorIjEEZZNS1_9scan_implILNS1_25lookback_scan_determinismE0ELb0ELb0ES3_N6thrust23THRUST_200600_302600_NS6detail15normal_iteratorINS9_10device_ptrIjEEEENS9_16discard_iteratorINS9_11use_defaultEEEjNS9_4plusIvEEjEEDaPvRmT3_T4_T5_mT6_P12ihipStream_tbENKUlT_T0_E_clISt17integral_constantIbLb1EESX_EEDaSS_ST_EUlSS_E_NS1_11comp_targetILNS1_3genE5ELNS1_11target_archE942ELNS1_3gpuE9ELNS1_3repE0EEENS1_30default_config_static_selectorELNS0_4arch9wavefront6targetE1EEEvT1_,comdat
.Lfunc_end5313:
	.size	_ZN7rocprim17ROCPRIM_400000_NS6detail17trampoline_kernelINS0_14default_configENS1_20scan_config_selectorIjEEZZNS1_9scan_implILNS1_25lookback_scan_determinismE0ELb0ELb0ES3_N6thrust23THRUST_200600_302600_NS6detail15normal_iteratorINS9_10device_ptrIjEEEENS9_16discard_iteratorINS9_11use_defaultEEEjNS9_4plusIvEEjEEDaPvRmT3_T4_T5_mT6_P12ihipStream_tbENKUlT_T0_E_clISt17integral_constantIbLb1EESX_EEDaSS_ST_EUlSS_E_NS1_11comp_targetILNS1_3genE5ELNS1_11target_archE942ELNS1_3gpuE9ELNS1_3repE0EEENS1_30default_config_static_selectorELNS0_4arch9wavefront6targetE1EEEvT1_, .Lfunc_end5313-_ZN7rocprim17ROCPRIM_400000_NS6detail17trampoline_kernelINS0_14default_configENS1_20scan_config_selectorIjEEZZNS1_9scan_implILNS1_25lookback_scan_determinismE0ELb0ELb0ES3_N6thrust23THRUST_200600_302600_NS6detail15normal_iteratorINS9_10device_ptrIjEEEENS9_16discard_iteratorINS9_11use_defaultEEEjNS9_4plusIvEEjEEDaPvRmT3_T4_T5_mT6_P12ihipStream_tbENKUlT_T0_E_clISt17integral_constantIbLb1EESX_EEDaSS_ST_EUlSS_E_NS1_11comp_targetILNS1_3genE5ELNS1_11target_archE942ELNS1_3gpuE9ELNS1_3repE0EEENS1_30default_config_static_selectorELNS0_4arch9wavefront6targetE1EEEvT1_
                                        ; -- End function
	.section	.AMDGPU.csdata,"",@progbits
; Kernel info:
; codeLenInByte = 0
; NumSgprs: 4
; NumVgprs: 0
; NumAgprs: 0
; TotalNumVgprs: 0
; ScratchSize: 0
; MemoryBound: 0
; FloatMode: 240
; IeeeMode: 1
; LDSByteSize: 0 bytes/workgroup (compile time only)
; SGPRBlocks: 0
; VGPRBlocks: 0
; NumSGPRsForWavesPerEU: 4
; NumVGPRsForWavesPerEU: 1
; AccumOffset: 4
; Occupancy: 8
; WaveLimiterHint : 0
; COMPUTE_PGM_RSRC2:SCRATCH_EN: 0
; COMPUTE_PGM_RSRC2:USER_SGPR: 6
; COMPUTE_PGM_RSRC2:TRAP_HANDLER: 0
; COMPUTE_PGM_RSRC2:TGID_X_EN: 1
; COMPUTE_PGM_RSRC2:TGID_Y_EN: 0
; COMPUTE_PGM_RSRC2:TGID_Z_EN: 0
; COMPUTE_PGM_RSRC2:TIDIG_COMP_CNT: 0
; COMPUTE_PGM_RSRC3_GFX90A:ACCUM_OFFSET: 0
; COMPUTE_PGM_RSRC3_GFX90A:TG_SPLIT: 0
	.section	.text._ZN7rocprim17ROCPRIM_400000_NS6detail17trampoline_kernelINS0_14default_configENS1_20scan_config_selectorIjEEZZNS1_9scan_implILNS1_25lookback_scan_determinismE0ELb0ELb0ES3_N6thrust23THRUST_200600_302600_NS6detail15normal_iteratorINS9_10device_ptrIjEEEENS9_16discard_iteratorINS9_11use_defaultEEEjNS9_4plusIvEEjEEDaPvRmT3_T4_T5_mT6_P12ihipStream_tbENKUlT_T0_E_clISt17integral_constantIbLb1EESX_EEDaSS_ST_EUlSS_E_NS1_11comp_targetILNS1_3genE4ELNS1_11target_archE910ELNS1_3gpuE8ELNS1_3repE0EEENS1_30default_config_static_selectorELNS0_4arch9wavefront6targetE1EEEvT1_,"axG",@progbits,_ZN7rocprim17ROCPRIM_400000_NS6detail17trampoline_kernelINS0_14default_configENS1_20scan_config_selectorIjEEZZNS1_9scan_implILNS1_25lookback_scan_determinismE0ELb0ELb0ES3_N6thrust23THRUST_200600_302600_NS6detail15normal_iteratorINS9_10device_ptrIjEEEENS9_16discard_iteratorINS9_11use_defaultEEEjNS9_4plusIvEEjEEDaPvRmT3_T4_T5_mT6_P12ihipStream_tbENKUlT_T0_E_clISt17integral_constantIbLb1EESX_EEDaSS_ST_EUlSS_E_NS1_11comp_targetILNS1_3genE4ELNS1_11target_archE910ELNS1_3gpuE8ELNS1_3repE0EEENS1_30default_config_static_selectorELNS0_4arch9wavefront6targetE1EEEvT1_,comdat
	.protected	_ZN7rocprim17ROCPRIM_400000_NS6detail17trampoline_kernelINS0_14default_configENS1_20scan_config_selectorIjEEZZNS1_9scan_implILNS1_25lookback_scan_determinismE0ELb0ELb0ES3_N6thrust23THRUST_200600_302600_NS6detail15normal_iteratorINS9_10device_ptrIjEEEENS9_16discard_iteratorINS9_11use_defaultEEEjNS9_4plusIvEEjEEDaPvRmT3_T4_T5_mT6_P12ihipStream_tbENKUlT_T0_E_clISt17integral_constantIbLb1EESX_EEDaSS_ST_EUlSS_E_NS1_11comp_targetILNS1_3genE4ELNS1_11target_archE910ELNS1_3gpuE8ELNS1_3repE0EEENS1_30default_config_static_selectorELNS0_4arch9wavefront6targetE1EEEvT1_ ; -- Begin function _ZN7rocprim17ROCPRIM_400000_NS6detail17trampoline_kernelINS0_14default_configENS1_20scan_config_selectorIjEEZZNS1_9scan_implILNS1_25lookback_scan_determinismE0ELb0ELb0ES3_N6thrust23THRUST_200600_302600_NS6detail15normal_iteratorINS9_10device_ptrIjEEEENS9_16discard_iteratorINS9_11use_defaultEEEjNS9_4plusIvEEjEEDaPvRmT3_T4_T5_mT6_P12ihipStream_tbENKUlT_T0_E_clISt17integral_constantIbLb1EESX_EEDaSS_ST_EUlSS_E_NS1_11comp_targetILNS1_3genE4ELNS1_11target_archE910ELNS1_3gpuE8ELNS1_3repE0EEENS1_30default_config_static_selectorELNS0_4arch9wavefront6targetE1EEEvT1_
	.globl	_ZN7rocprim17ROCPRIM_400000_NS6detail17trampoline_kernelINS0_14default_configENS1_20scan_config_selectorIjEEZZNS1_9scan_implILNS1_25lookback_scan_determinismE0ELb0ELb0ES3_N6thrust23THRUST_200600_302600_NS6detail15normal_iteratorINS9_10device_ptrIjEEEENS9_16discard_iteratorINS9_11use_defaultEEEjNS9_4plusIvEEjEEDaPvRmT3_T4_T5_mT6_P12ihipStream_tbENKUlT_T0_E_clISt17integral_constantIbLb1EESX_EEDaSS_ST_EUlSS_E_NS1_11comp_targetILNS1_3genE4ELNS1_11target_archE910ELNS1_3gpuE8ELNS1_3repE0EEENS1_30default_config_static_selectorELNS0_4arch9wavefront6targetE1EEEvT1_
	.p2align	8
	.type	_ZN7rocprim17ROCPRIM_400000_NS6detail17trampoline_kernelINS0_14default_configENS1_20scan_config_selectorIjEEZZNS1_9scan_implILNS1_25lookback_scan_determinismE0ELb0ELb0ES3_N6thrust23THRUST_200600_302600_NS6detail15normal_iteratorINS9_10device_ptrIjEEEENS9_16discard_iteratorINS9_11use_defaultEEEjNS9_4plusIvEEjEEDaPvRmT3_T4_T5_mT6_P12ihipStream_tbENKUlT_T0_E_clISt17integral_constantIbLb1EESX_EEDaSS_ST_EUlSS_E_NS1_11comp_targetILNS1_3genE4ELNS1_11target_archE910ELNS1_3gpuE8ELNS1_3repE0EEENS1_30default_config_static_selectorELNS0_4arch9wavefront6targetE1EEEvT1_,@function
_ZN7rocprim17ROCPRIM_400000_NS6detail17trampoline_kernelINS0_14default_configENS1_20scan_config_selectorIjEEZZNS1_9scan_implILNS1_25lookback_scan_determinismE0ELb0ELb0ES3_N6thrust23THRUST_200600_302600_NS6detail15normal_iteratorINS9_10device_ptrIjEEEENS9_16discard_iteratorINS9_11use_defaultEEEjNS9_4plusIvEEjEEDaPvRmT3_T4_T5_mT6_P12ihipStream_tbENKUlT_T0_E_clISt17integral_constantIbLb1EESX_EEDaSS_ST_EUlSS_E_NS1_11comp_targetILNS1_3genE4ELNS1_11target_archE910ELNS1_3gpuE8ELNS1_3repE0EEENS1_30default_config_static_selectorELNS0_4arch9wavefront6targetE1EEEvT1_: ; @_ZN7rocprim17ROCPRIM_400000_NS6detail17trampoline_kernelINS0_14default_configENS1_20scan_config_selectorIjEEZZNS1_9scan_implILNS1_25lookback_scan_determinismE0ELb0ELb0ES3_N6thrust23THRUST_200600_302600_NS6detail15normal_iteratorINS9_10device_ptrIjEEEENS9_16discard_iteratorINS9_11use_defaultEEEjNS9_4plusIvEEjEEDaPvRmT3_T4_T5_mT6_P12ihipStream_tbENKUlT_T0_E_clISt17integral_constantIbLb1EESX_EEDaSS_ST_EUlSS_E_NS1_11comp_targetILNS1_3genE4ELNS1_11target_archE910ELNS1_3gpuE8ELNS1_3repE0EEENS1_30default_config_static_selectorELNS0_4arch9wavefront6targetE1EEEvT1_
; %bb.0:
	s_load_dwordx2 s[20:21], s[4:5], 0x20
	s_load_dwordx2 s[6:7], s[4:5], 0x30
	v_cmp_ne_u32_e64 s[0:1], 0, v0
	v_cmp_eq_u32_e64 s[2:3], 0, v0
	s_and_saveexec_b64 s[8:9], s[2:3]
	s_cbranch_execz .LBB5314_4
; %bb.1:
	s_mov_b64 s[12:13], exec
	v_mbcnt_lo_u32_b32 v1, s12, 0
	v_mbcnt_hi_u32_b32 v1, s13, v1
	v_cmp_eq_u32_e32 vcc, 0, v1
                                        ; implicit-def: $vgpr2
	s_and_saveexec_b64 s[10:11], vcc
	s_cbranch_execz .LBB5314_3
; %bb.2:
	s_load_dwordx2 s[14:15], s[4:5], 0x60
	s_bcnt1_i32_b64 s12, s[12:13]
	v_mov_b32_e32 v2, 0
	v_mov_b32_e32 v3, s12
	s_waitcnt lgkmcnt(0)
	global_atomic_add v2, v2, v3, s[14:15] glc
.LBB5314_3:
	s_or_b64 exec, exec, s[10:11]
	s_waitcnt vmcnt(0)
	v_readfirstlane_b32 s10, v2
	v_add_u32_e32 v1, s10, v1
	v_mov_b32_e32 v2, 0
	ds_write_b32 v2, v1
.LBB5314_4:
	s_or_b64 exec, exec, s[8:9]
	v_mov_b32_e32 v3, 0
	s_load_dwordx4 s[16:19], s[4:5], 0x0
	s_load_dword s22, s[4:5], 0x38
	s_load_dwordx8 s[8:15], s[4:5], 0x40
	s_waitcnt lgkmcnt(0)
	s_barrier
	ds_read_b32 v1, v3
	s_lshl_b64 s[4:5], s[18:19], 2
	s_add_u32 s4, s16, s4
	s_movk_i32 s16, 0x500
	s_addc_u32 s5, s17, s5
	s_waitcnt lgkmcnt(0)
	v_mul_lo_u32 v2, v1, s16
	s_add_i32 s16, s22, -1
	s_mul_i32 s17, s16, 0x500
	s_sub_u32 s24, s20, s17
	v_readfirstlane_b32 s26, v1
	s_subb_u32 s25, s21, 0
	v_lshlrev_b64 v[2:3], 2, v[2:3]
	s_cmp_lg_u32 s26, s16
	v_mov_b32_e32 v1, s5
	v_add_co_u32_e32 v12, vcc, s4, v2
	s_cselect_b64 s[16:17], -1, 0
	v_addc_co_u32_e32 v13, vcc, v1, v3, vcc
	s_mov_b64 s[4:5], -1
	s_and_b64 vcc, exec, s[16:17]
	s_barrier
	s_cbranch_vccz .LBB5314_6
; %bb.5:
	v_lshlrev_b32_e32 v1, 2, v0
	v_add_co_u32_e32 v2, vcc, v12, v1
	v_addc_co_u32_e32 v3, vcc, 0, v13, vcc
	flat_load_dword v4, v[2:3]
	flat_load_dword v5, v[2:3] offset:512
	flat_load_dword v6, v[2:3] offset:1024
	flat_load_dword v7, v[2:3] offset:1536
	flat_load_dword v8, v[2:3] offset:2048
	flat_load_dword v9, v[2:3] offset:2560
	flat_load_dword v10, v[2:3] offset:3072
	flat_load_dword v11, v[2:3] offset:3584
	v_add_co_u32_e32 v2, vcc, 0x1000, v2
	v_addc_co_u32_e32 v3, vcc, 0, v3, vcc
	flat_load_dword v14, v[2:3]
	flat_load_dword v15, v[2:3] offset:512
	s_mov_b64 s[4:5], 0
	s_waitcnt vmcnt(0) lgkmcnt(0)
	ds_write2st64_b32 v1, v4, v5 offset1:2
	ds_write2st64_b32 v1, v6, v7 offset0:4 offset1:6
	ds_write2st64_b32 v1, v8, v9 offset0:8 offset1:10
	;; [unrolled: 1-line block ×4, first 2 shown]
	s_waitcnt lgkmcnt(0)
	s_barrier
.LBB5314_6:
	s_andn2_b64 vcc, exec, s[4:5]
	s_cbranch_vccnz .LBB5314_28
; %bb.7:
	flat_load_dword v1, v[12:13]
	v_cmp_gt_u32_e32 vcc, s24, v0
	s_waitcnt vmcnt(0) lgkmcnt(0)
	v_mov_b32_e32 v2, v1
	v_mov_b32_e32 v3, v1
	;; [unrolled: 1-line block ×9, first 2 shown]
	s_and_saveexec_b64 s[4:5], vcc
	s_cbranch_execz .LBB5314_9
; %bb.8:
	v_lshlrev_b32_e32 v10, 2, v0
	v_add_co_u32_e32 v10, vcc, v12, v10
	v_addc_co_u32_e32 v11, vcc, 0, v13, vcc
	flat_load_dword v10, v[10:11]
.LBB5314_9:
	s_or_b64 exec, exec, s[4:5]
	v_or_b32_e32 v11, 0x80, v0
	v_cmp_gt_u32_e32 vcc, s24, v11
	s_and_saveexec_b64 s[4:5], vcc
	s_cbranch_execz .LBB5314_11
; %bb.10:
	v_lshlrev_b32_e32 v1, 2, v0
	v_add_co_u32_e32 v14, vcc, v12, v1
	v_addc_co_u32_e32 v15, vcc, 0, v13, vcc
	flat_load_dword v1, v[14:15] offset:512
.LBB5314_11:
	s_or_b64 exec, exec, s[4:5]
	v_or_b32_e32 v11, 0x100, v0
	v_cmp_gt_u32_e32 vcc, s24, v11
	s_and_saveexec_b64 s[4:5], vcc
	s_cbranch_execz .LBB5314_13
; %bb.12:
	v_lshlrev_b32_e32 v2, 2, v0
	v_add_co_u32_e32 v14, vcc, v12, v2
	v_addc_co_u32_e32 v15, vcc, 0, v13, vcc
	flat_load_dword v2, v[14:15] offset:1024
.LBB5314_13:
	;; [unrolled: 11-line block ×7, first 2 shown]
	s_or_b64 exec, exec, s[4:5]
	v_or_b32_e32 v11, 0x400, v0
	v_cmp_gt_u32_e32 vcc, s24, v11
	s_and_saveexec_b64 s[4:5], vcc
	s_cbranch_execz .LBB5314_25
; %bb.24:
	v_lshlrev_b32_e32 v8, 2, v11
	v_add_co_u32_e32 v14, vcc, v12, v8
	v_addc_co_u32_e32 v15, vcc, 0, v13, vcc
	flat_load_dword v8, v[14:15]
.LBB5314_25:
	s_or_b64 exec, exec, s[4:5]
	v_or_b32_e32 v11, 0x480, v0
	v_cmp_gt_u32_e32 vcc, s24, v11
	s_and_saveexec_b64 s[4:5], vcc
	s_cbranch_execz .LBB5314_27
; %bb.26:
	v_lshlrev_b32_e32 v9, 2, v11
	v_add_co_u32_e32 v12, vcc, v12, v9
	v_addc_co_u32_e32 v13, vcc, 0, v13, vcc
	flat_load_dword v9, v[12:13]
.LBB5314_27:
	s_or_b64 exec, exec, s[4:5]
	v_lshlrev_b32_e32 v11, 2, v0
	s_waitcnt vmcnt(0) lgkmcnt(0)
	ds_write2st64_b32 v11, v10, v1 offset1:2
	ds_write2st64_b32 v11, v2, v3 offset0:4 offset1:6
	ds_write2st64_b32 v11, v4, v5 offset0:8 offset1:10
	;; [unrolled: 1-line block ×4, first 2 shown]
	s_waitcnt lgkmcnt(0)
	s_barrier
.LBB5314_28:
	v_mul_u32_u24_e32 v22, 10, v0
	v_lshlrev_b32_e32 v1, 2, v22
	ds_read2_b64 v[2:5], v1 offset1:1
	ds_read2_b64 v[16:19], v1 offset0:2 offset1:3
	ds_read_b64 v[20:21], v1 offset:32
	s_cmp_lg_u32 s26, 0
	v_lshrrev_b32_e32 v23, 5, v0
	v_cmp_gt_u32_e32 vcc, 64, v0
	s_waitcnt lgkmcnt(0)
	s_barrier
	s_cbranch_scc0 .LBB5314_57
; %bb.29:
	v_add_u32_e32 v6, v3, v2
	v_add3_u32 v6, v6, v4, v5
	v_add3_u32 v6, v6, v16, v17
	;; [unrolled: 1-line block ×4, first 2 shown]
	v_add_lshl_u32 v7, v23, v0, 2
	ds_write_b32 v7, v6
	s_waitcnt lgkmcnt(0)
	s_barrier
	s_and_saveexec_b64 s[18:19], vcc
	s_cbranch_execz .LBB5314_31
; %bb.30:
	v_lshlrev_b32_e32 v7, 1, v0
	v_lshrrev_b32_e32 v8, 4, v0
	v_add_lshl_u32 v7, v8, v7, 2
	ds_read2_b32 v[8:9], v7 offset1:1
	v_mbcnt_lo_u32_b32 v10, -1, 0
	v_mbcnt_hi_u32_b32 v10, -1, v10
	v_and_b32_e32 v11, 15, v10
	v_cmp_ne_u32_e64 s[4:5], 0, v11
	s_waitcnt lgkmcnt(0)
	v_add_u32_e32 v9, v9, v8
	; wave barrier
	s_nop 1
	v_mov_b32_dpp v12, v9 row_shr:1 row_mask:0xf bank_mask:0xf
	v_cndmask_b32_e64 v12, 0, v12, s[4:5]
	v_add_u32_e32 v9, v12, v9
	v_cmp_lt_u32_e64 s[4:5], 1, v11
	s_nop 0
	v_mov_b32_dpp v12, v9 row_shr:2 row_mask:0xf bank_mask:0xf
	v_cndmask_b32_e64 v12, 0, v12, s[4:5]
	v_add_u32_e32 v9, v9, v12
	v_cmp_lt_u32_e64 s[4:5], 3, v11
	;; [unrolled: 5-line block ×3, first 2 shown]
	s_nop 0
	v_mov_b32_dpp v12, v9 row_shr:8 row_mask:0xf bank_mask:0xf
	v_cndmask_b32_e64 v11, 0, v12, s[4:5]
	v_add_u32_e32 v9, v9, v11
	v_bfe_i32 v12, v10, 4, 1
	v_cmp_lt_u32_e64 s[4:5], 31, v10
	v_mov_b32_dpp v11, v9 row_bcast:15 row_mask:0xf bank_mask:0xf
	v_and_b32_e32 v11, v12, v11
	v_add_u32_e32 v9, v9, v11
	v_and_b32_e32 v12, 64, v10
	s_nop 0
	v_mov_b32_dpp v11, v9 row_bcast:31 row_mask:0xf bank_mask:0xf
	v_cndmask_b32_e64 v11, 0, v11, s[4:5]
	v_add_u32_e32 v9, v9, v11
	v_add_u32_e32 v11, -1, v10
	v_cmp_lt_i32_e64 s[4:5], v11, v12
	v_cndmask_b32_e64 v10, v11, v10, s[4:5]
	v_lshlrev_b32_e32 v10, 2, v10
	ds_bpermute_b32 v9, v10, v9
	s_waitcnt lgkmcnt(0)
	v_add_u32_e32 v8, v9, v8
	v_cndmask_b32_e64 v6, v8, v6, s[2:3]
	ds_write_b32 v7, v6
	; wave barrier
	ds_read_b32 v8, v7 offset:4
	s_waitcnt lgkmcnt(0)
	v_add_u32_e32 v6, v8, v6
	ds_write_b32 v7, v6 offset:4
.LBB5314_31:
	s_or_b64 exec, exec, s[18:19]
	v_mov_b32_e32 v24, 0
	s_waitcnt lgkmcnt(0)
	s_barrier
	s_and_saveexec_b64 s[4:5], s[0:1]
	s_cbranch_execz .LBB5314_33
; %bb.32:
	v_add_u32_e32 v6, -1, v0
	v_lshrrev_b32_e32 v7, 5, v6
	v_add_lshl_u32 v6, v7, v6, 2
	ds_read_b32 v24, v6
.LBB5314_33:
	s_or_b64 exec, exec, s[4:5]
	s_and_saveexec_b64 s[18:19], vcc
	s_cbranch_execz .LBB5314_56
; %bb.34:
	v_mov_b32_e32 v15, 0
	ds_read_b32 v6, v15 offset:520
	v_mbcnt_lo_u32_b32 v7, -1, 0
	v_mbcnt_hi_u32_b32 v9, -1, v7
	s_mov_b32 s23, 0
	v_cmp_eq_u32_e64 s[4:5], 0, v9
	s_and_saveexec_b64 s[20:21], s[4:5]
	s_cbranch_execz .LBB5314_36
; %bb.35:
	s_add_i32 s22, s26, 64
	s_lshl_b64 s[22:23], s[22:23], 3
	s_add_u32 s22, s6, s22
	v_mov_b32_e32 v7, 1
	s_addc_u32 s23, s7, s23
	s_waitcnt lgkmcnt(0)
	global_store_dwordx2 v15, v[6:7], s[22:23]
.LBB5314_36:
	s_or_b64 exec, exec, s[20:21]
	v_xad_u32 v8, v9, -1, s26
	v_add_u32_e32 v14, 64, v8
	v_lshlrev_b64 v[10:11], 3, v[14:15]
	v_mov_b32_e32 v7, s7
	v_add_co_u32_e32 v10, vcc, s6, v10
	v_addc_co_u32_e32 v11, vcc, v7, v11, vcc
	global_load_dwordx2 v[12:13], v[10:11], off glc
	s_waitcnt vmcnt(0)
	v_cmp_eq_u16_sdwa s[22:23], v13, v15 src0_sel:BYTE_0 src1_sel:DWORD
	s_and_saveexec_b64 s[20:21], s[22:23]
	s_cbranch_execz .LBB5314_42
; %bb.37:
	s_mov_b32 s27, 1
	s_mov_b64 s[22:23], 0
	v_mov_b32_e32 v7, 0
.LBB5314_38:                            ; =>This Loop Header: Depth=1
                                        ;     Child Loop BB5314_39 Depth 2
	s_max_u32 s28, s27, 1
.LBB5314_39:                            ;   Parent Loop BB5314_38 Depth=1
                                        ; =>  This Inner Loop Header: Depth=2
	s_add_i32 s28, s28, -1
	s_cmp_eq_u32 s28, 0
	s_sleep 1
	s_cbranch_scc0 .LBB5314_39
; %bb.40:                               ;   in Loop: Header=BB5314_38 Depth=1
	global_load_dwordx2 v[12:13], v[10:11], off glc
	s_cmp_lt_u32 s27, 32
	s_cselect_b64 s[28:29], -1, 0
	s_cmp_lg_u64 s[28:29], 0
	s_addc_u32 s27, s27, 0
	s_waitcnt vmcnt(0)
	v_cmp_ne_u16_sdwa s[28:29], v13, v7 src0_sel:BYTE_0 src1_sel:DWORD
	s_or_b64 s[22:23], s[28:29], s[22:23]
	s_andn2_b64 exec, exec, s[22:23]
	s_cbranch_execnz .LBB5314_38
; %bb.41:
	s_or_b64 exec, exec, s[22:23]
.LBB5314_42:
	s_or_b64 exec, exec, s[20:21]
	v_and_b32_e32 v25, 63, v9
	v_mov_b32_e32 v7, 2
	v_cmp_ne_u32_e32 vcc, 63, v25
	v_cmp_eq_u16_sdwa s[20:21], v13, v7 src0_sel:BYTE_0 src1_sel:DWORD
	v_lshlrev_b64 v[10:11], v9, -1
	v_addc_co_u32_e32 v26, vcc, 0, v9, vcc
	v_and_b32_e32 v14, s21, v11
	v_lshlrev_b32_e32 v26, 2, v26
	v_or_b32_e32 v14, 0x80000000, v14
	ds_bpermute_b32 v27, v26, v12
	v_and_b32_e32 v15, s20, v10
	v_ffbl_b32_e32 v14, v14
	v_add_u32_e32 v14, 32, v14
	v_ffbl_b32_e32 v15, v15
	v_min_u32_e32 v14, v15, v14
	v_cmp_lt_u32_e32 vcc, v25, v14
	s_waitcnt lgkmcnt(0)
	v_cndmask_b32_e32 v15, 0, v27, vcc
	v_cmp_gt_u32_e32 vcc, 62, v25
	v_add_u32_e32 v12, v15, v12
	v_cndmask_b32_e64 v15, 0, 1, vcc
	v_lshlrev_b32_e32 v15, 1, v15
	v_add_lshl_u32 v27, v15, v9, 2
	ds_bpermute_b32 v15, v27, v12
	v_add_u32_e32 v28, 2, v25
	v_cmp_le_u32_e32 vcc, v28, v14
	v_add_u32_e32 v30, 4, v25
	v_add_u32_e32 v32, 8, v25
	s_waitcnt lgkmcnt(0)
	v_cndmask_b32_e32 v15, 0, v15, vcc
	v_cmp_gt_u32_e32 vcc, 60, v25
	v_add_u32_e32 v12, v12, v15
	v_cndmask_b32_e64 v15, 0, 1, vcc
	v_lshlrev_b32_e32 v15, 2, v15
	v_add_lshl_u32 v29, v15, v9, 2
	ds_bpermute_b32 v15, v29, v12
	v_cmp_le_u32_e32 vcc, v30, v14
	v_add_u32_e32 v35, 16, v25
	v_add_u32_e32 v37, 32, v25
	s_waitcnt lgkmcnt(0)
	v_cndmask_b32_e32 v15, 0, v15, vcc
	v_cmp_gt_u32_e32 vcc, 56, v25
	v_add_u32_e32 v12, v12, v15
	v_cndmask_b32_e64 v15, 0, 1, vcc
	v_lshlrev_b32_e32 v15, 3, v15
	v_add_lshl_u32 v31, v15, v9, 2
	ds_bpermute_b32 v15, v31, v12
	v_cmp_le_u32_e32 vcc, v32, v14
	s_waitcnt lgkmcnt(0)
	v_cndmask_b32_e32 v15, 0, v15, vcc
	v_cmp_gt_u32_e32 vcc, 48, v25
	v_add_u32_e32 v12, v12, v15
	v_cndmask_b32_e64 v15, 0, 1, vcc
	v_lshlrev_b32_e32 v15, 4, v15
	v_add_lshl_u32 v34, v15, v9, 2
	ds_bpermute_b32 v15, v34, v12
	v_cmp_le_u32_e32 vcc, v35, v14
	;; [unrolled: 9-line block ×3, first 2 shown]
	s_waitcnt lgkmcnt(0)
	v_cndmask_b32_e32 v9, 0, v9, vcc
	v_add_u32_e32 v12, v12, v9
	v_mov_b32_e32 v9, 0
	s_branch .LBB5314_44
.LBB5314_43:                            ;   in Loop: Header=BB5314_44 Depth=1
	s_or_b64 exec, exec, s[20:21]
	v_cmp_eq_u16_sdwa s[20:21], v13, v7 src0_sel:BYTE_0 src1_sel:DWORD
	v_and_b32_e32 v14, s21, v11
	v_or_b32_e32 v14, 0x80000000, v14
	ds_bpermute_b32 v38, v26, v12
	v_and_b32_e32 v15, s20, v10
	v_ffbl_b32_e32 v14, v14
	v_add_u32_e32 v14, 32, v14
	v_ffbl_b32_e32 v15, v15
	v_min_u32_e32 v14, v15, v14
	v_cmp_lt_u32_e32 vcc, v25, v14
	s_waitcnt lgkmcnt(0)
	v_cndmask_b32_e32 v15, 0, v38, vcc
	v_add_u32_e32 v12, v15, v12
	ds_bpermute_b32 v15, v27, v12
	v_cmp_le_u32_e32 vcc, v28, v14
	v_subrev_u32_e32 v8, 64, v8
	s_waitcnt lgkmcnt(0)
	v_cndmask_b32_e32 v15, 0, v15, vcc
	v_add_u32_e32 v12, v12, v15
	ds_bpermute_b32 v15, v29, v12
	v_cmp_le_u32_e32 vcc, v30, v14
	s_waitcnt lgkmcnt(0)
	v_cndmask_b32_e32 v15, 0, v15, vcc
	v_add_u32_e32 v12, v12, v15
	ds_bpermute_b32 v15, v31, v12
	v_cmp_le_u32_e32 vcc, v32, v14
	;; [unrolled: 5-line block ×4, first 2 shown]
	s_waitcnt lgkmcnt(0)
	v_cndmask_b32_e32 v14, 0, v15, vcc
	v_add3_u32 v12, v14, v33, v12
.LBB5314_44:                            ; =>This Loop Header: Depth=1
                                        ;     Child Loop BB5314_47 Depth 2
                                        ;       Child Loop BB5314_48 Depth 3
	v_cmp_ne_u16_sdwa s[20:21], v13, v7 src0_sel:BYTE_0 src1_sel:DWORD
	v_cndmask_b32_e64 v13, 0, 1, s[20:21]
	;;#ASMSTART
	;;#ASMEND
	v_cmp_ne_u32_e32 vcc, 0, v13
	s_cmp_lg_u64 vcc, exec
	v_mov_b32_e32 v33, v12
	s_cbranch_scc1 .LBB5314_51
; %bb.45:                               ;   in Loop: Header=BB5314_44 Depth=1
	v_lshlrev_b64 v[12:13], 3, v[8:9]
	v_mov_b32_e32 v15, s7
	v_add_co_u32_e32 v14, vcc, s6, v12
	v_addc_co_u32_e32 v15, vcc, v15, v13, vcc
	global_load_dwordx2 v[12:13], v[14:15], off glc
	s_waitcnt vmcnt(0)
	v_cmp_eq_u16_sdwa s[22:23], v13, v9 src0_sel:BYTE_0 src1_sel:DWORD
	s_and_saveexec_b64 s[20:21], s[22:23]
	s_cbranch_execz .LBB5314_43
; %bb.46:                               ;   in Loop: Header=BB5314_44 Depth=1
	s_mov_b32 s27, 1
	s_mov_b64 s[22:23], 0
.LBB5314_47:                            ;   Parent Loop BB5314_44 Depth=1
                                        ; =>  This Loop Header: Depth=2
                                        ;       Child Loop BB5314_48 Depth 3
	s_max_u32 s28, s27, 1
.LBB5314_48:                            ;   Parent Loop BB5314_44 Depth=1
                                        ;     Parent Loop BB5314_47 Depth=2
                                        ; =>    This Inner Loop Header: Depth=3
	s_add_i32 s28, s28, -1
	s_cmp_eq_u32 s28, 0
	s_sleep 1
	s_cbranch_scc0 .LBB5314_48
; %bb.49:                               ;   in Loop: Header=BB5314_47 Depth=2
	global_load_dwordx2 v[12:13], v[14:15], off glc
	s_cmp_lt_u32 s27, 32
	s_cselect_b64 s[28:29], -1, 0
	s_cmp_lg_u64 s[28:29], 0
	s_addc_u32 s27, s27, 0
	s_waitcnt vmcnt(0)
	v_cmp_ne_u16_sdwa s[28:29], v13, v9 src0_sel:BYTE_0 src1_sel:DWORD
	s_or_b64 s[22:23], s[28:29], s[22:23]
	s_andn2_b64 exec, exec, s[22:23]
	s_cbranch_execnz .LBB5314_47
; %bb.50:                               ;   in Loop: Header=BB5314_44 Depth=1
	s_or_b64 exec, exec, s[22:23]
	s_branch .LBB5314_43
.LBB5314_51:                            ;   in Loop: Header=BB5314_44 Depth=1
                                        ; implicit-def: $vgpr12
                                        ; implicit-def: $vgpr13
	s_cbranch_execz .LBB5314_44
; %bb.52:
	s_and_saveexec_b64 s[20:21], s[4:5]
	s_cbranch_execz .LBB5314_54
; %bb.53:
	s_add_i32 s4, s26, 64
	s_mov_b32 s5, 0
	s_lshl_b64 s[4:5], s[4:5], 3
	s_add_u32 s4, s6, s4
	v_add_u32_e32 v6, v33, v6
	v_mov_b32_e32 v7, 2
	s_addc_u32 s5, s7, s5
	v_mov_b32_e32 v8, 0
	global_store_dwordx2 v8, v[6:7], s[4:5]
.LBB5314_54:
	s_or_b64 exec, exec, s[20:21]
	s_and_b64 exec, exec, s[2:3]
	s_cbranch_execz .LBB5314_56
; %bb.55:
	v_mov_b32_e32 v6, 0
	ds_write_b32 v6, v33
.LBB5314_56:
	s_or_b64 exec, exec, s[18:19]
	v_mov_b32_e32 v6, 0
	s_waitcnt lgkmcnt(0)
	s_barrier
	ds_read_b32 v6, v6
	s_waitcnt lgkmcnt(0)
	v_add3_u32 v6, v24, v2, v6
	v_add_u32_e32 v7, v6, v3
	v_add_u32_e32 v8, v7, v4
	;; [unrolled: 1-line block ×9, first 2 shown]
	s_branch .LBB5314_69
.LBB5314_57:
                                        ; implicit-def: $vgpr6_vgpr7_vgpr8_vgpr9_vgpr10_vgpr11_vgpr12_vgpr13_vgpr14_vgpr15
	s_cbranch_execz .LBB5314_69
; %bb.58:
	s_cmp_lg_u64 s[12:13], 0
	s_cselect_b64 s[4:5], -1, 0
	s_and_b64 s[12:13], s[2:3], s[4:5]
	v_mov_b32_e32 v12, v3
	v_mov_b32_e32 v13, v4
	;; [unrolled: 1-line block ×3, first 2 shown]
	s_and_saveexec_b64 s[4:5], s[12:13]
	s_cbranch_execz .LBB5314_60
; %bb.59:
	v_mov_b32_e32 v6, 0
	global_load_dword v6, v6, s[8:9]
	v_mov_b32_e32 v12, v3
	v_mov_b32_e32 v13, v4
	;; [unrolled: 1-line block ×3, first 2 shown]
	s_waitcnt vmcnt(0)
	v_add_u32_e32 v2, v6, v2
.LBB5314_60:
	s_or_b64 exec, exec, s[4:5]
	v_add_u32_e32 v3, v12, v2
	v_add_u32_e32 v4, v3, v13
	;; [unrolled: 1-line block ×9, first 2 shown]
	v_add_lshl_u32 v15, v23, v0, 2
	v_cmp_gt_u32_e32 vcc, 64, v0
	ds_write_b32 v15, v11
	s_waitcnt lgkmcnt(0)
	s_barrier
	s_and_saveexec_b64 s[4:5], vcc
	s_cbranch_execz .LBB5314_62
; %bb.61:
	v_lshlrev_b32_e32 v15, 1, v0
	v_lshrrev_b32_e32 v23, 4, v0
	v_add_lshl_u32 v15, v23, v15, 2
	ds_read2_b32 v[24:25], v15 offset1:1
	v_mbcnt_lo_u32_b32 v23, -1, 0
	v_mbcnt_hi_u32_b32 v23, -1, v23
	v_and_b32_e32 v26, 15, v23
	v_cmp_ne_u32_e32 vcc, 0, v26
	s_waitcnt lgkmcnt(0)
	v_add_u32_e32 v25, v25, v24
	; wave barrier
	s_nop 1
	v_mov_b32_dpp v27, v25 row_shr:1 row_mask:0xf bank_mask:0xf
	v_cndmask_b32_e32 v27, 0, v27, vcc
	v_add_u32_e32 v25, v27, v25
	v_cmp_lt_u32_e32 vcc, 1, v26
	s_nop 0
	v_mov_b32_dpp v27, v25 row_shr:2 row_mask:0xf bank_mask:0xf
	v_cndmask_b32_e32 v27, 0, v27, vcc
	v_add_u32_e32 v25, v25, v27
	v_cmp_lt_u32_e32 vcc, 3, v26
	;; [unrolled: 5-line block ×3, first 2 shown]
	s_nop 0
	v_mov_b32_dpp v27, v25 row_shr:8 row_mask:0xf bank_mask:0xf
	v_cndmask_b32_e32 v26, 0, v27, vcc
	v_add_u32_e32 v25, v25, v26
	v_bfe_i32 v27, v23, 4, 1
	v_cmp_lt_u32_e32 vcc, 31, v23
	v_mov_b32_dpp v26, v25 row_bcast:15 row_mask:0xf bank_mask:0xf
	v_and_b32_e32 v26, v27, v26
	v_add_u32_e32 v25, v25, v26
	v_and_b32_e32 v27, 64, v23
	s_nop 0
	v_mov_b32_dpp v26, v25 row_bcast:31 row_mask:0xf bank_mask:0xf
	v_cndmask_b32_e32 v26, 0, v26, vcc
	v_add_u32_e32 v25, v25, v26
	v_add_u32_e32 v26, -1, v23
	v_cmp_lt_i32_e32 vcc, v26, v27
	v_cndmask_b32_e32 v23, v26, v23, vcc
	v_lshlrev_b32_e32 v23, 2, v23
	ds_bpermute_b32 v23, v23, v25
	s_waitcnt lgkmcnt(0)
	v_add_u32_e32 v23, v23, v24
	v_cndmask_b32_e64 v23, v23, v11, s[2:3]
	ds_write_b32 v15, v23
	; wave barrier
	ds_read_b32 v24, v15 offset:4
	s_waitcnt lgkmcnt(0)
	v_add_u32_e32 v23, v24, v23
	ds_write_b32 v15, v23 offset:4
.LBB5314_62:
	s_or_b64 exec, exec, s[4:5]
	v_mov_b32_e32 v15, v11
	s_waitcnt lgkmcnt(0)
	s_barrier
	s_and_saveexec_b64 s[2:3], s[0:1]
	s_cbranch_execz .LBB5314_64
; %bb.63:
	v_add_u32_e32 v15, -1, v0
	v_lshrrev_b32_e32 v23, 5, v15
	v_add_lshl_u32 v15, v23, v15, 2
	ds_read_b32 v15, v15
.LBB5314_64:
	s_or_b64 exec, exec, s[2:3]
	s_and_saveexec_b64 s[2:3], s[0:1]
	s_cbranch_execz .LBB5314_66
; %bb.65:
	s_waitcnt lgkmcnt(0)
	v_add_u32_e32 v2, v15, v2
	v_add_u32_e32 v3, v2, v12
	;; [unrolled: 1-line block ×10, first 2 shown]
	;;#ASMSTART
	;;#ASMEND
.LBB5314_66:
	s_or_b64 exec, exec, s[2:3]
	s_movk_i32 s0, 0x7f
	v_cmp_eq_u32_e32 vcc, s0, v0
	s_and_saveexec_b64 s[0:1], vcc
	s_cbranch_execz .LBB5314_68
; %bb.67:
	v_mov_b32_e32 v14, 0
	v_mov_b32_e32 v13, 2
	;; [unrolled: 1-line block ×3, first 2 shown]
	global_store_dwordx2 v14, v[12:13], s[6:7] offset:512
.LBB5314_68:
	s_or_b64 exec, exec, s[0:1]
	s_waitcnt lgkmcnt(0)
	v_pk_mov_b32 v[14:15], v[10:11], v[10:11] op_sel:[0,1]
	v_pk_mov_b32 v[12:13], v[8:9], v[8:9] op_sel:[0,1]
	;; [unrolled: 1-line block ×5, first 2 shown]
.LBB5314_69:
	s_mov_b64 s[0:1], -1
	s_and_b64 vcc, exec, s[16:17]
	s_barrier
	ds_write2_b64 v1, v[6:7], v[8:9] offset1:1
	ds_write2_b64 v1, v[10:11], v[12:13] offset0:2 offset1:3
	ds_write_b64 v1, v[14:15] offset:32
	s_waitcnt lgkmcnt(0)
	s_cbranch_vccz .LBB5314_71
; %bb.70:
	s_barrier
	s_mov_b64 s[0:1], 0
.LBB5314_71:
	s_andn2_b64 vcc, exec, s[0:1]
	s_cbranch_vccnz .LBB5314_107
; %bb.72:
	v_cmp_lt_u64_e64 s[0:1], s[14:15], 2
	s_and_b64 vcc, exec, s[0:1]
	s_barrier
	s_cbranch_vccnz .LBB5314_107
; %bb.73:
	s_add_u32 s0, s24, -1
	s_addc_u32 s1, s25, -1
	s_add_u32 s2, 0, 0x99986000
	s_addc_u32 s3, 0, 0x59
	s_add_i32 s3, s3, 0x19999940
	s_mul_hi_u32 s7, s2, -10
	s_sub_i32 s7, s7, s2
	s_mul_i32 s8, s3, -10
	s_mul_i32 s4, s2, -10
	s_add_i32 s7, s7, s8
	s_mul_hi_u32 s5, s3, s4
	s_mul_i32 s6, s3, s4
	s_mul_i32 s9, s2, s7
	s_mul_hi_u32 s4, s2, s4
	s_mul_hi_u32 s8, s2, s7
	s_add_u32 s4, s4, s9
	s_addc_u32 s8, 0, s8
	s_add_u32 s4, s4, s6
	s_mul_hi_u32 s9, s3, s7
	s_addc_u32 s4, s8, s5
	s_addc_u32 s5, s9, 0
	s_mul_i32 s6, s3, s7
	s_add_u32 s4, s4, s6
	v_mov_b32_e32 v2, s4
	s_addc_u32 s5, 0, s5
	v_add_co_u32_e32 v2, vcc, s2, v2
	s_cmp_lg_u64 vcc, 0
	s_addc_u32 s2, s3, s5
	v_readfirstlane_b32 s5, v2
	s_mul_i32 s4, s0, s2
	s_mul_hi_u32 s6, s0, s5
	s_mul_hi_u32 s3, s0, s2
	s_add_u32 s4, s6, s4
	s_addc_u32 s3, 0, s3
	s_mul_hi_u32 s7, s1, s5
	s_mul_i32 s5, s1, s5
	s_add_u32 s4, s4, s5
	s_mul_hi_u32 s6, s1, s2
	s_addc_u32 s3, s3, s7
	s_addc_u32 s4, s6, 0
	s_mul_i32 s2, s1, s2
	s_add_u32 s2, s3, s2
	s_addc_u32 s3, 0, s4
	s_add_u32 s4, s2, 1
	s_addc_u32 s5, s3, 0
	s_add_u32 s6, s2, 2
	s_mul_i32 s8, s3, 10
	s_mul_hi_u32 s9, s2, 10
	s_addc_u32 s7, s3, 0
	s_add_i32 s9, s9, s8
	s_mul_i32 s8, s2, 10
	v_mov_b32_e32 v2, s8
	v_sub_co_u32_e32 v2, vcc, s0, v2
	s_cmp_lg_u64 vcc, 0
	s_subb_u32 s8, s1, s9
	v_subrev_co_u32_e32 v3, vcc, 10, v2
	s_cmp_lg_u64 vcc, 0
	s_subb_u32 s9, s8, 0
	v_readfirstlane_b32 s12, v3
	s_cmp_gt_u32 s12, 9
	s_cselect_b32 s12, -1, 0
	s_cmp_eq_u32 s9, 0
	s_cselect_b32 s9, s12, -1
	s_cmp_lg_u32 s9, 0
	s_cselect_b32 s4, s6, s4
	v_readfirstlane_b32 s6, v2
	s_cselect_b32 s5, s7, s5
	s_cmp_gt_u32 s6, 9
	s_cselect_b32 s6, -1, 0
	s_cmp_eq_u32 s8, 0
	s_cselect_b32 s6, s6, -1
	s_cmp_lg_u32 s6, 0
	v_mov_b32_e32 v1, 0
	s_cselect_b32 s3, s5, s3
	s_cselect_b32 s2, s4, s2
	v_cmp_eq_u64_e32 vcc, s[2:3], v[0:1]
	s_and_saveexec_b64 s[2:3], vcc
	s_cbranch_execz .LBB5314_107
; %bb.74:
	v_lshlrev_b32_e32 v2, 2, v0
	v_mul_hi_u32_u24_e32 v1, 10, v0
	v_mov_b32_e32 v3, s1
	v_sub_co_u32_e32 v0, vcc, s0, v22
	v_subb_co_u32_e32 v1, vcc, v3, v1, vcc
	v_cmp_lt_i64_e32 vcc, 4, v[0:1]
	s_and_saveexec_b64 s[0:1], vcc
	s_xor_b64 s[0:1], exec, s[0:1]
	s_cbranch_execz .LBB5314_92
; %bb.75:
	v_cmp_lt_i64_e32 vcc, 6, v[0:1]
	s_and_saveexec_b64 s[2:3], vcc
	s_xor_b64 s[2:3], exec, s[2:3]
	s_cbranch_execz .LBB5314_85
; %bb.76:
	;; [unrolled: 5-line block ×4, first 2 shown]
	ds_read_b32 v0, v2 offset:4608
	v_mov_b32_e32 v1, 0
                                        ; implicit-def: $vgpr2
	s_waitcnt lgkmcnt(0)
	global_store_dword v1, v0, s[10:11]
.LBB5314_79:
	s_andn2_saveexec_b64 s[6:7], s[6:7]
	s_cbranch_execz .LBB5314_81
; %bb.80:
	ds_read_b32 v0, v2 offset:4096
	v_mov_b32_e32 v1, 0
	s_waitcnt lgkmcnt(0)
	global_store_dword v1, v0, s[10:11]
.LBB5314_81:
	s_or_b64 exec, exec, s[6:7]
                                        ; implicit-def: $vgpr2
.LBB5314_82:
	s_andn2_saveexec_b64 s[4:5], s[4:5]
	s_cbranch_execz .LBB5314_84
; %bb.83:
	ds_read_b32 v0, v2 offset:3584
	v_mov_b32_e32 v1, 0
	s_waitcnt lgkmcnt(0)
	global_store_dword v1, v0, s[10:11]
.LBB5314_84:
	s_or_b64 exec, exec, s[4:5]
                                        ; implicit-def: $vgpr2
                                        ; implicit-def: $vgpr0_vgpr1
.LBB5314_85:
	s_andn2_saveexec_b64 s[2:3], s[2:3]
	s_cbranch_execz .LBB5314_91
; %bb.86:
	v_cmp_lt_i64_e32 vcc, 5, v[0:1]
	s_and_saveexec_b64 s[4:5], vcc
	s_xor_b64 s[4:5], exec, s[4:5]
	s_cbranch_execz .LBB5314_88
; %bb.87:
	ds_read_b32 v0, v2 offset:3072
	v_mov_b32_e32 v1, 0
                                        ; implicit-def: $vgpr2
	s_waitcnt lgkmcnt(0)
	global_store_dword v1, v0, s[10:11]
.LBB5314_88:
	s_andn2_saveexec_b64 s[4:5], s[4:5]
	s_cbranch_execz .LBB5314_90
; %bb.89:
	ds_read_b32 v0, v2 offset:2560
	v_mov_b32_e32 v1, 0
	s_waitcnt lgkmcnt(0)
	global_store_dword v1, v0, s[10:11]
.LBB5314_90:
	s_or_b64 exec, exec, s[4:5]
.LBB5314_91:
	s_or_b64 exec, exec, s[2:3]
                                        ; implicit-def: $vgpr0_vgpr1
                                        ; implicit-def: $vgpr2
.LBB5314_92:
	s_andn2_saveexec_b64 s[0:1], s[0:1]
	s_cbranch_execz .LBB5314_107
; %bb.93:
	v_cmp_lt_i64_e32 vcc, 2, v[0:1]
	s_and_saveexec_b64 s[0:1], vcc
	s_xor_b64 s[0:1], exec, s[0:1]
	s_cbranch_execz .LBB5314_99
; %bb.94:
	v_cmp_lt_i64_e32 vcc, 3, v[0:1]
	s_and_saveexec_b64 s[2:3], vcc
	s_xor_b64 s[2:3], exec, s[2:3]
	s_cbranch_execz .LBB5314_96
; %bb.95:
	ds_read_b32 v0, v2 offset:2048
	v_mov_b32_e32 v1, 0
                                        ; implicit-def: $vgpr2
	s_waitcnt lgkmcnt(0)
	global_store_dword v1, v0, s[10:11]
.LBB5314_96:
	s_andn2_saveexec_b64 s[2:3], s[2:3]
	s_cbranch_execz .LBB5314_98
; %bb.97:
	ds_read_b32 v0, v2 offset:1536
	v_mov_b32_e32 v1, 0
	s_waitcnt lgkmcnt(0)
	global_store_dword v1, v0, s[10:11]
.LBB5314_98:
	s_or_b64 exec, exec, s[2:3]
                                        ; implicit-def: $vgpr0_vgpr1
                                        ; implicit-def: $vgpr2
.LBB5314_99:
	s_andn2_saveexec_b64 s[0:1], s[0:1]
	s_cbranch_execz .LBB5314_107
; %bb.100:
	v_cmp_lt_i64_e32 vcc, 1, v[0:1]
	s_and_saveexec_b64 s[0:1], vcc
	s_xor_b64 s[0:1], exec, s[0:1]
	s_cbranch_execz .LBB5314_102
; %bb.101:
	ds_read_b32 v0, v2 offset:1024
	v_mov_b32_e32 v1, 0
                                        ; implicit-def: $vgpr2
	s_waitcnt lgkmcnt(0)
	global_store_dword v1, v0, s[10:11]
                                        ; implicit-def: $vgpr0_vgpr1
.LBB5314_102:
	s_andn2_saveexec_b64 s[0:1], s[0:1]
	s_cbranch_execz .LBB5314_107
; %bb.103:
	v_cmp_ne_u64_e32 vcc, 1, v[0:1]
	s_and_saveexec_b64 s[0:1], vcc
	s_xor_b64 s[0:1], exec, s[0:1]
	s_cbranch_execz .LBB5314_105
; %bb.104:
	ds_read_b32 v0, v2
	v_mov_b32_e32 v1, 0
                                        ; implicit-def: $vgpr2
	s_waitcnt lgkmcnt(0)
	global_store_dword v1, v0, s[10:11]
.LBB5314_105:
	s_andn2_saveexec_b64 s[0:1], s[0:1]
	s_cbranch_execz .LBB5314_107
; %bb.106:
	ds_read_b32 v0, v2 offset:512
	v_mov_b32_e32 v1, 0
	s_waitcnt lgkmcnt(0)
	global_store_dword v1, v0, s[10:11]
.LBB5314_107:
	s_endpgm
	.section	.rodata,"a",@progbits
	.p2align	6, 0x0
	.amdhsa_kernel _ZN7rocprim17ROCPRIM_400000_NS6detail17trampoline_kernelINS0_14default_configENS1_20scan_config_selectorIjEEZZNS1_9scan_implILNS1_25lookback_scan_determinismE0ELb0ELb0ES3_N6thrust23THRUST_200600_302600_NS6detail15normal_iteratorINS9_10device_ptrIjEEEENS9_16discard_iteratorINS9_11use_defaultEEEjNS9_4plusIvEEjEEDaPvRmT3_T4_T5_mT6_P12ihipStream_tbENKUlT_T0_E_clISt17integral_constantIbLb1EESX_EEDaSS_ST_EUlSS_E_NS1_11comp_targetILNS1_3genE4ELNS1_11target_archE910ELNS1_3gpuE8ELNS1_3repE0EEENS1_30default_config_static_selectorELNS0_4arch9wavefront6targetE1EEEvT1_
		.amdhsa_group_segment_fixed_size 5120
		.amdhsa_private_segment_fixed_size 0
		.amdhsa_kernarg_size 104
		.amdhsa_user_sgpr_count 6
		.amdhsa_user_sgpr_private_segment_buffer 1
		.amdhsa_user_sgpr_dispatch_ptr 0
		.amdhsa_user_sgpr_queue_ptr 0
		.amdhsa_user_sgpr_kernarg_segment_ptr 1
		.amdhsa_user_sgpr_dispatch_id 0
		.amdhsa_user_sgpr_flat_scratch_init 0
		.amdhsa_user_sgpr_kernarg_preload_length 0
		.amdhsa_user_sgpr_kernarg_preload_offset 0
		.amdhsa_user_sgpr_private_segment_size 0
		.amdhsa_uses_dynamic_stack 0
		.amdhsa_system_sgpr_private_segment_wavefront_offset 0
		.amdhsa_system_sgpr_workgroup_id_x 1
		.amdhsa_system_sgpr_workgroup_id_y 0
		.amdhsa_system_sgpr_workgroup_id_z 0
		.amdhsa_system_sgpr_workgroup_info 0
		.amdhsa_system_vgpr_workitem_id 0
		.amdhsa_next_free_vgpr 39
		.amdhsa_next_free_sgpr 30
		.amdhsa_accum_offset 40
		.amdhsa_reserve_vcc 1
		.amdhsa_reserve_flat_scratch 0
		.amdhsa_float_round_mode_32 0
		.amdhsa_float_round_mode_16_64 0
		.amdhsa_float_denorm_mode_32 3
		.amdhsa_float_denorm_mode_16_64 3
		.amdhsa_dx10_clamp 1
		.amdhsa_ieee_mode 1
		.amdhsa_fp16_overflow 0
		.amdhsa_tg_split 0
		.amdhsa_exception_fp_ieee_invalid_op 0
		.amdhsa_exception_fp_denorm_src 0
		.amdhsa_exception_fp_ieee_div_zero 0
		.amdhsa_exception_fp_ieee_overflow 0
		.amdhsa_exception_fp_ieee_underflow 0
		.amdhsa_exception_fp_ieee_inexact 0
		.amdhsa_exception_int_div_zero 0
	.end_amdhsa_kernel
	.section	.text._ZN7rocprim17ROCPRIM_400000_NS6detail17trampoline_kernelINS0_14default_configENS1_20scan_config_selectorIjEEZZNS1_9scan_implILNS1_25lookback_scan_determinismE0ELb0ELb0ES3_N6thrust23THRUST_200600_302600_NS6detail15normal_iteratorINS9_10device_ptrIjEEEENS9_16discard_iteratorINS9_11use_defaultEEEjNS9_4plusIvEEjEEDaPvRmT3_T4_T5_mT6_P12ihipStream_tbENKUlT_T0_E_clISt17integral_constantIbLb1EESX_EEDaSS_ST_EUlSS_E_NS1_11comp_targetILNS1_3genE4ELNS1_11target_archE910ELNS1_3gpuE8ELNS1_3repE0EEENS1_30default_config_static_selectorELNS0_4arch9wavefront6targetE1EEEvT1_,"axG",@progbits,_ZN7rocprim17ROCPRIM_400000_NS6detail17trampoline_kernelINS0_14default_configENS1_20scan_config_selectorIjEEZZNS1_9scan_implILNS1_25lookback_scan_determinismE0ELb0ELb0ES3_N6thrust23THRUST_200600_302600_NS6detail15normal_iteratorINS9_10device_ptrIjEEEENS9_16discard_iteratorINS9_11use_defaultEEEjNS9_4plusIvEEjEEDaPvRmT3_T4_T5_mT6_P12ihipStream_tbENKUlT_T0_E_clISt17integral_constantIbLb1EESX_EEDaSS_ST_EUlSS_E_NS1_11comp_targetILNS1_3genE4ELNS1_11target_archE910ELNS1_3gpuE8ELNS1_3repE0EEENS1_30default_config_static_selectorELNS0_4arch9wavefront6targetE1EEEvT1_,comdat
.Lfunc_end5314:
	.size	_ZN7rocprim17ROCPRIM_400000_NS6detail17trampoline_kernelINS0_14default_configENS1_20scan_config_selectorIjEEZZNS1_9scan_implILNS1_25lookback_scan_determinismE0ELb0ELb0ES3_N6thrust23THRUST_200600_302600_NS6detail15normal_iteratorINS9_10device_ptrIjEEEENS9_16discard_iteratorINS9_11use_defaultEEEjNS9_4plusIvEEjEEDaPvRmT3_T4_T5_mT6_P12ihipStream_tbENKUlT_T0_E_clISt17integral_constantIbLb1EESX_EEDaSS_ST_EUlSS_E_NS1_11comp_targetILNS1_3genE4ELNS1_11target_archE910ELNS1_3gpuE8ELNS1_3repE0EEENS1_30default_config_static_selectorELNS0_4arch9wavefront6targetE1EEEvT1_, .Lfunc_end5314-_ZN7rocprim17ROCPRIM_400000_NS6detail17trampoline_kernelINS0_14default_configENS1_20scan_config_selectorIjEEZZNS1_9scan_implILNS1_25lookback_scan_determinismE0ELb0ELb0ES3_N6thrust23THRUST_200600_302600_NS6detail15normal_iteratorINS9_10device_ptrIjEEEENS9_16discard_iteratorINS9_11use_defaultEEEjNS9_4plusIvEEjEEDaPvRmT3_T4_T5_mT6_P12ihipStream_tbENKUlT_T0_E_clISt17integral_constantIbLb1EESX_EEDaSS_ST_EUlSS_E_NS1_11comp_targetILNS1_3genE4ELNS1_11target_archE910ELNS1_3gpuE8ELNS1_3repE0EEENS1_30default_config_static_selectorELNS0_4arch9wavefront6targetE1EEEvT1_
                                        ; -- End function
	.section	.AMDGPU.csdata,"",@progbits
; Kernel info:
; codeLenInByte = 4100
; NumSgprs: 34
; NumVgprs: 39
; NumAgprs: 0
; TotalNumVgprs: 39
; ScratchSize: 0
; MemoryBound: 0
; FloatMode: 240
; IeeeMode: 1
; LDSByteSize: 5120 bytes/workgroup (compile time only)
; SGPRBlocks: 4
; VGPRBlocks: 4
; NumSGPRsForWavesPerEU: 34
; NumVGPRsForWavesPerEU: 39
; AccumOffset: 40
; Occupancy: 6
; WaveLimiterHint : 1
; COMPUTE_PGM_RSRC2:SCRATCH_EN: 0
; COMPUTE_PGM_RSRC2:USER_SGPR: 6
; COMPUTE_PGM_RSRC2:TRAP_HANDLER: 0
; COMPUTE_PGM_RSRC2:TGID_X_EN: 1
; COMPUTE_PGM_RSRC2:TGID_Y_EN: 0
; COMPUTE_PGM_RSRC2:TGID_Z_EN: 0
; COMPUTE_PGM_RSRC2:TIDIG_COMP_CNT: 0
; COMPUTE_PGM_RSRC3_GFX90A:ACCUM_OFFSET: 9
; COMPUTE_PGM_RSRC3_GFX90A:TG_SPLIT: 0
	.section	.text._ZN7rocprim17ROCPRIM_400000_NS6detail17trampoline_kernelINS0_14default_configENS1_20scan_config_selectorIjEEZZNS1_9scan_implILNS1_25lookback_scan_determinismE0ELb0ELb0ES3_N6thrust23THRUST_200600_302600_NS6detail15normal_iteratorINS9_10device_ptrIjEEEENS9_16discard_iteratorINS9_11use_defaultEEEjNS9_4plusIvEEjEEDaPvRmT3_T4_T5_mT6_P12ihipStream_tbENKUlT_T0_E_clISt17integral_constantIbLb1EESX_EEDaSS_ST_EUlSS_E_NS1_11comp_targetILNS1_3genE3ELNS1_11target_archE908ELNS1_3gpuE7ELNS1_3repE0EEENS1_30default_config_static_selectorELNS0_4arch9wavefront6targetE1EEEvT1_,"axG",@progbits,_ZN7rocprim17ROCPRIM_400000_NS6detail17trampoline_kernelINS0_14default_configENS1_20scan_config_selectorIjEEZZNS1_9scan_implILNS1_25lookback_scan_determinismE0ELb0ELb0ES3_N6thrust23THRUST_200600_302600_NS6detail15normal_iteratorINS9_10device_ptrIjEEEENS9_16discard_iteratorINS9_11use_defaultEEEjNS9_4plusIvEEjEEDaPvRmT3_T4_T5_mT6_P12ihipStream_tbENKUlT_T0_E_clISt17integral_constantIbLb1EESX_EEDaSS_ST_EUlSS_E_NS1_11comp_targetILNS1_3genE3ELNS1_11target_archE908ELNS1_3gpuE7ELNS1_3repE0EEENS1_30default_config_static_selectorELNS0_4arch9wavefront6targetE1EEEvT1_,comdat
	.protected	_ZN7rocprim17ROCPRIM_400000_NS6detail17trampoline_kernelINS0_14default_configENS1_20scan_config_selectorIjEEZZNS1_9scan_implILNS1_25lookback_scan_determinismE0ELb0ELb0ES3_N6thrust23THRUST_200600_302600_NS6detail15normal_iteratorINS9_10device_ptrIjEEEENS9_16discard_iteratorINS9_11use_defaultEEEjNS9_4plusIvEEjEEDaPvRmT3_T4_T5_mT6_P12ihipStream_tbENKUlT_T0_E_clISt17integral_constantIbLb1EESX_EEDaSS_ST_EUlSS_E_NS1_11comp_targetILNS1_3genE3ELNS1_11target_archE908ELNS1_3gpuE7ELNS1_3repE0EEENS1_30default_config_static_selectorELNS0_4arch9wavefront6targetE1EEEvT1_ ; -- Begin function _ZN7rocprim17ROCPRIM_400000_NS6detail17trampoline_kernelINS0_14default_configENS1_20scan_config_selectorIjEEZZNS1_9scan_implILNS1_25lookback_scan_determinismE0ELb0ELb0ES3_N6thrust23THRUST_200600_302600_NS6detail15normal_iteratorINS9_10device_ptrIjEEEENS9_16discard_iteratorINS9_11use_defaultEEEjNS9_4plusIvEEjEEDaPvRmT3_T4_T5_mT6_P12ihipStream_tbENKUlT_T0_E_clISt17integral_constantIbLb1EESX_EEDaSS_ST_EUlSS_E_NS1_11comp_targetILNS1_3genE3ELNS1_11target_archE908ELNS1_3gpuE7ELNS1_3repE0EEENS1_30default_config_static_selectorELNS0_4arch9wavefront6targetE1EEEvT1_
	.globl	_ZN7rocprim17ROCPRIM_400000_NS6detail17trampoline_kernelINS0_14default_configENS1_20scan_config_selectorIjEEZZNS1_9scan_implILNS1_25lookback_scan_determinismE0ELb0ELb0ES3_N6thrust23THRUST_200600_302600_NS6detail15normal_iteratorINS9_10device_ptrIjEEEENS9_16discard_iteratorINS9_11use_defaultEEEjNS9_4plusIvEEjEEDaPvRmT3_T4_T5_mT6_P12ihipStream_tbENKUlT_T0_E_clISt17integral_constantIbLb1EESX_EEDaSS_ST_EUlSS_E_NS1_11comp_targetILNS1_3genE3ELNS1_11target_archE908ELNS1_3gpuE7ELNS1_3repE0EEENS1_30default_config_static_selectorELNS0_4arch9wavefront6targetE1EEEvT1_
	.p2align	8
	.type	_ZN7rocprim17ROCPRIM_400000_NS6detail17trampoline_kernelINS0_14default_configENS1_20scan_config_selectorIjEEZZNS1_9scan_implILNS1_25lookback_scan_determinismE0ELb0ELb0ES3_N6thrust23THRUST_200600_302600_NS6detail15normal_iteratorINS9_10device_ptrIjEEEENS9_16discard_iteratorINS9_11use_defaultEEEjNS9_4plusIvEEjEEDaPvRmT3_T4_T5_mT6_P12ihipStream_tbENKUlT_T0_E_clISt17integral_constantIbLb1EESX_EEDaSS_ST_EUlSS_E_NS1_11comp_targetILNS1_3genE3ELNS1_11target_archE908ELNS1_3gpuE7ELNS1_3repE0EEENS1_30default_config_static_selectorELNS0_4arch9wavefront6targetE1EEEvT1_,@function
_ZN7rocprim17ROCPRIM_400000_NS6detail17trampoline_kernelINS0_14default_configENS1_20scan_config_selectorIjEEZZNS1_9scan_implILNS1_25lookback_scan_determinismE0ELb0ELb0ES3_N6thrust23THRUST_200600_302600_NS6detail15normal_iteratorINS9_10device_ptrIjEEEENS9_16discard_iteratorINS9_11use_defaultEEEjNS9_4plusIvEEjEEDaPvRmT3_T4_T5_mT6_P12ihipStream_tbENKUlT_T0_E_clISt17integral_constantIbLb1EESX_EEDaSS_ST_EUlSS_E_NS1_11comp_targetILNS1_3genE3ELNS1_11target_archE908ELNS1_3gpuE7ELNS1_3repE0EEENS1_30default_config_static_selectorELNS0_4arch9wavefront6targetE1EEEvT1_: ; @_ZN7rocprim17ROCPRIM_400000_NS6detail17trampoline_kernelINS0_14default_configENS1_20scan_config_selectorIjEEZZNS1_9scan_implILNS1_25lookback_scan_determinismE0ELb0ELb0ES3_N6thrust23THRUST_200600_302600_NS6detail15normal_iteratorINS9_10device_ptrIjEEEENS9_16discard_iteratorINS9_11use_defaultEEEjNS9_4plusIvEEjEEDaPvRmT3_T4_T5_mT6_P12ihipStream_tbENKUlT_T0_E_clISt17integral_constantIbLb1EESX_EEDaSS_ST_EUlSS_E_NS1_11comp_targetILNS1_3genE3ELNS1_11target_archE908ELNS1_3gpuE7ELNS1_3repE0EEENS1_30default_config_static_selectorELNS0_4arch9wavefront6targetE1EEEvT1_
; %bb.0:
	.section	.rodata,"a",@progbits
	.p2align	6, 0x0
	.amdhsa_kernel _ZN7rocprim17ROCPRIM_400000_NS6detail17trampoline_kernelINS0_14default_configENS1_20scan_config_selectorIjEEZZNS1_9scan_implILNS1_25lookback_scan_determinismE0ELb0ELb0ES3_N6thrust23THRUST_200600_302600_NS6detail15normal_iteratorINS9_10device_ptrIjEEEENS9_16discard_iteratorINS9_11use_defaultEEEjNS9_4plusIvEEjEEDaPvRmT3_T4_T5_mT6_P12ihipStream_tbENKUlT_T0_E_clISt17integral_constantIbLb1EESX_EEDaSS_ST_EUlSS_E_NS1_11comp_targetILNS1_3genE3ELNS1_11target_archE908ELNS1_3gpuE7ELNS1_3repE0EEENS1_30default_config_static_selectorELNS0_4arch9wavefront6targetE1EEEvT1_
		.amdhsa_group_segment_fixed_size 0
		.amdhsa_private_segment_fixed_size 0
		.amdhsa_kernarg_size 104
		.amdhsa_user_sgpr_count 6
		.amdhsa_user_sgpr_private_segment_buffer 1
		.amdhsa_user_sgpr_dispatch_ptr 0
		.amdhsa_user_sgpr_queue_ptr 0
		.amdhsa_user_sgpr_kernarg_segment_ptr 1
		.amdhsa_user_sgpr_dispatch_id 0
		.amdhsa_user_sgpr_flat_scratch_init 0
		.amdhsa_user_sgpr_kernarg_preload_length 0
		.amdhsa_user_sgpr_kernarg_preload_offset 0
		.amdhsa_user_sgpr_private_segment_size 0
		.amdhsa_uses_dynamic_stack 0
		.amdhsa_system_sgpr_private_segment_wavefront_offset 0
		.amdhsa_system_sgpr_workgroup_id_x 1
		.amdhsa_system_sgpr_workgroup_id_y 0
		.amdhsa_system_sgpr_workgroup_id_z 0
		.amdhsa_system_sgpr_workgroup_info 0
		.amdhsa_system_vgpr_workitem_id 0
		.amdhsa_next_free_vgpr 1
		.amdhsa_next_free_sgpr 0
		.amdhsa_accum_offset 4
		.amdhsa_reserve_vcc 0
		.amdhsa_reserve_flat_scratch 0
		.amdhsa_float_round_mode_32 0
		.amdhsa_float_round_mode_16_64 0
		.amdhsa_float_denorm_mode_32 3
		.amdhsa_float_denorm_mode_16_64 3
		.amdhsa_dx10_clamp 1
		.amdhsa_ieee_mode 1
		.amdhsa_fp16_overflow 0
		.amdhsa_tg_split 0
		.amdhsa_exception_fp_ieee_invalid_op 0
		.amdhsa_exception_fp_denorm_src 0
		.amdhsa_exception_fp_ieee_div_zero 0
		.amdhsa_exception_fp_ieee_overflow 0
		.amdhsa_exception_fp_ieee_underflow 0
		.amdhsa_exception_fp_ieee_inexact 0
		.amdhsa_exception_int_div_zero 0
	.end_amdhsa_kernel
	.section	.text._ZN7rocprim17ROCPRIM_400000_NS6detail17trampoline_kernelINS0_14default_configENS1_20scan_config_selectorIjEEZZNS1_9scan_implILNS1_25lookback_scan_determinismE0ELb0ELb0ES3_N6thrust23THRUST_200600_302600_NS6detail15normal_iteratorINS9_10device_ptrIjEEEENS9_16discard_iteratorINS9_11use_defaultEEEjNS9_4plusIvEEjEEDaPvRmT3_T4_T5_mT6_P12ihipStream_tbENKUlT_T0_E_clISt17integral_constantIbLb1EESX_EEDaSS_ST_EUlSS_E_NS1_11comp_targetILNS1_3genE3ELNS1_11target_archE908ELNS1_3gpuE7ELNS1_3repE0EEENS1_30default_config_static_selectorELNS0_4arch9wavefront6targetE1EEEvT1_,"axG",@progbits,_ZN7rocprim17ROCPRIM_400000_NS6detail17trampoline_kernelINS0_14default_configENS1_20scan_config_selectorIjEEZZNS1_9scan_implILNS1_25lookback_scan_determinismE0ELb0ELb0ES3_N6thrust23THRUST_200600_302600_NS6detail15normal_iteratorINS9_10device_ptrIjEEEENS9_16discard_iteratorINS9_11use_defaultEEEjNS9_4plusIvEEjEEDaPvRmT3_T4_T5_mT6_P12ihipStream_tbENKUlT_T0_E_clISt17integral_constantIbLb1EESX_EEDaSS_ST_EUlSS_E_NS1_11comp_targetILNS1_3genE3ELNS1_11target_archE908ELNS1_3gpuE7ELNS1_3repE0EEENS1_30default_config_static_selectorELNS0_4arch9wavefront6targetE1EEEvT1_,comdat
.Lfunc_end5315:
	.size	_ZN7rocprim17ROCPRIM_400000_NS6detail17trampoline_kernelINS0_14default_configENS1_20scan_config_selectorIjEEZZNS1_9scan_implILNS1_25lookback_scan_determinismE0ELb0ELb0ES3_N6thrust23THRUST_200600_302600_NS6detail15normal_iteratorINS9_10device_ptrIjEEEENS9_16discard_iteratorINS9_11use_defaultEEEjNS9_4plusIvEEjEEDaPvRmT3_T4_T5_mT6_P12ihipStream_tbENKUlT_T0_E_clISt17integral_constantIbLb1EESX_EEDaSS_ST_EUlSS_E_NS1_11comp_targetILNS1_3genE3ELNS1_11target_archE908ELNS1_3gpuE7ELNS1_3repE0EEENS1_30default_config_static_selectorELNS0_4arch9wavefront6targetE1EEEvT1_, .Lfunc_end5315-_ZN7rocprim17ROCPRIM_400000_NS6detail17trampoline_kernelINS0_14default_configENS1_20scan_config_selectorIjEEZZNS1_9scan_implILNS1_25lookback_scan_determinismE0ELb0ELb0ES3_N6thrust23THRUST_200600_302600_NS6detail15normal_iteratorINS9_10device_ptrIjEEEENS9_16discard_iteratorINS9_11use_defaultEEEjNS9_4plusIvEEjEEDaPvRmT3_T4_T5_mT6_P12ihipStream_tbENKUlT_T0_E_clISt17integral_constantIbLb1EESX_EEDaSS_ST_EUlSS_E_NS1_11comp_targetILNS1_3genE3ELNS1_11target_archE908ELNS1_3gpuE7ELNS1_3repE0EEENS1_30default_config_static_selectorELNS0_4arch9wavefront6targetE1EEEvT1_
                                        ; -- End function
	.section	.AMDGPU.csdata,"",@progbits
; Kernel info:
; codeLenInByte = 0
; NumSgprs: 4
; NumVgprs: 0
; NumAgprs: 0
; TotalNumVgprs: 0
; ScratchSize: 0
; MemoryBound: 0
; FloatMode: 240
; IeeeMode: 1
; LDSByteSize: 0 bytes/workgroup (compile time only)
; SGPRBlocks: 0
; VGPRBlocks: 0
; NumSGPRsForWavesPerEU: 4
; NumVGPRsForWavesPerEU: 1
; AccumOffset: 4
; Occupancy: 8
; WaveLimiterHint : 0
; COMPUTE_PGM_RSRC2:SCRATCH_EN: 0
; COMPUTE_PGM_RSRC2:USER_SGPR: 6
; COMPUTE_PGM_RSRC2:TRAP_HANDLER: 0
; COMPUTE_PGM_RSRC2:TGID_X_EN: 1
; COMPUTE_PGM_RSRC2:TGID_Y_EN: 0
; COMPUTE_PGM_RSRC2:TGID_Z_EN: 0
; COMPUTE_PGM_RSRC2:TIDIG_COMP_CNT: 0
; COMPUTE_PGM_RSRC3_GFX90A:ACCUM_OFFSET: 0
; COMPUTE_PGM_RSRC3_GFX90A:TG_SPLIT: 0
	.section	.text._ZN7rocprim17ROCPRIM_400000_NS6detail17trampoline_kernelINS0_14default_configENS1_20scan_config_selectorIjEEZZNS1_9scan_implILNS1_25lookback_scan_determinismE0ELb0ELb0ES3_N6thrust23THRUST_200600_302600_NS6detail15normal_iteratorINS9_10device_ptrIjEEEENS9_16discard_iteratorINS9_11use_defaultEEEjNS9_4plusIvEEjEEDaPvRmT3_T4_T5_mT6_P12ihipStream_tbENKUlT_T0_E_clISt17integral_constantIbLb1EESX_EEDaSS_ST_EUlSS_E_NS1_11comp_targetILNS1_3genE2ELNS1_11target_archE906ELNS1_3gpuE6ELNS1_3repE0EEENS1_30default_config_static_selectorELNS0_4arch9wavefront6targetE1EEEvT1_,"axG",@progbits,_ZN7rocprim17ROCPRIM_400000_NS6detail17trampoline_kernelINS0_14default_configENS1_20scan_config_selectorIjEEZZNS1_9scan_implILNS1_25lookback_scan_determinismE0ELb0ELb0ES3_N6thrust23THRUST_200600_302600_NS6detail15normal_iteratorINS9_10device_ptrIjEEEENS9_16discard_iteratorINS9_11use_defaultEEEjNS9_4plusIvEEjEEDaPvRmT3_T4_T5_mT6_P12ihipStream_tbENKUlT_T0_E_clISt17integral_constantIbLb1EESX_EEDaSS_ST_EUlSS_E_NS1_11comp_targetILNS1_3genE2ELNS1_11target_archE906ELNS1_3gpuE6ELNS1_3repE0EEENS1_30default_config_static_selectorELNS0_4arch9wavefront6targetE1EEEvT1_,comdat
	.protected	_ZN7rocprim17ROCPRIM_400000_NS6detail17trampoline_kernelINS0_14default_configENS1_20scan_config_selectorIjEEZZNS1_9scan_implILNS1_25lookback_scan_determinismE0ELb0ELb0ES3_N6thrust23THRUST_200600_302600_NS6detail15normal_iteratorINS9_10device_ptrIjEEEENS9_16discard_iteratorINS9_11use_defaultEEEjNS9_4plusIvEEjEEDaPvRmT3_T4_T5_mT6_P12ihipStream_tbENKUlT_T0_E_clISt17integral_constantIbLb1EESX_EEDaSS_ST_EUlSS_E_NS1_11comp_targetILNS1_3genE2ELNS1_11target_archE906ELNS1_3gpuE6ELNS1_3repE0EEENS1_30default_config_static_selectorELNS0_4arch9wavefront6targetE1EEEvT1_ ; -- Begin function _ZN7rocprim17ROCPRIM_400000_NS6detail17trampoline_kernelINS0_14default_configENS1_20scan_config_selectorIjEEZZNS1_9scan_implILNS1_25lookback_scan_determinismE0ELb0ELb0ES3_N6thrust23THRUST_200600_302600_NS6detail15normal_iteratorINS9_10device_ptrIjEEEENS9_16discard_iteratorINS9_11use_defaultEEEjNS9_4plusIvEEjEEDaPvRmT3_T4_T5_mT6_P12ihipStream_tbENKUlT_T0_E_clISt17integral_constantIbLb1EESX_EEDaSS_ST_EUlSS_E_NS1_11comp_targetILNS1_3genE2ELNS1_11target_archE906ELNS1_3gpuE6ELNS1_3repE0EEENS1_30default_config_static_selectorELNS0_4arch9wavefront6targetE1EEEvT1_
	.globl	_ZN7rocprim17ROCPRIM_400000_NS6detail17trampoline_kernelINS0_14default_configENS1_20scan_config_selectorIjEEZZNS1_9scan_implILNS1_25lookback_scan_determinismE0ELb0ELb0ES3_N6thrust23THRUST_200600_302600_NS6detail15normal_iteratorINS9_10device_ptrIjEEEENS9_16discard_iteratorINS9_11use_defaultEEEjNS9_4plusIvEEjEEDaPvRmT3_T4_T5_mT6_P12ihipStream_tbENKUlT_T0_E_clISt17integral_constantIbLb1EESX_EEDaSS_ST_EUlSS_E_NS1_11comp_targetILNS1_3genE2ELNS1_11target_archE906ELNS1_3gpuE6ELNS1_3repE0EEENS1_30default_config_static_selectorELNS0_4arch9wavefront6targetE1EEEvT1_
	.p2align	8
	.type	_ZN7rocprim17ROCPRIM_400000_NS6detail17trampoline_kernelINS0_14default_configENS1_20scan_config_selectorIjEEZZNS1_9scan_implILNS1_25lookback_scan_determinismE0ELb0ELb0ES3_N6thrust23THRUST_200600_302600_NS6detail15normal_iteratorINS9_10device_ptrIjEEEENS9_16discard_iteratorINS9_11use_defaultEEEjNS9_4plusIvEEjEEDaPvRmT3_T4_T5_mT6_P12ihipStream_tbENKUlT_T0_E_clISt17integral_constantIbLb1EESX_EEDaSS_ST_EUlSS_E_NS1_11comp_targetILNS1_3genE2ELNS1_11target_archE906ELNS1_3gpuE6ELNS1_3repE0EEENS1_30default_config_static_selectorELNS0_4arch9wavefront6targetE1EEEvT1_,@function
_ZN7rocprim17ROCPRIM_400000_NS6detail17trampoline_kernelINS0_14default_configENS1_20scan_config_selectorIjEEZZNS1_9scan_implILNS1_25lookback_scan_determinismE0ELb0ELb0ES3_N6thrust23THRUST_200600_302600_NS6detail15normal_iteratorINS9_10device_ptrIjEEEENS9_16discard_iteratorINS9_11use_defaultEEEjNS9_4plusIvEEjEEDaPvRmT3_T4_T5_mT6_P12ihipStream_tbENKUlT_T0_E_clISt17integral_constantIbLb1EESX_EEDaSS_ST_EUlSS_E_NS1_11comp_targetILNS1_3genE2ELNS1_11target_archE906ELNS1_3gpuE6ELNS1_3repE0EEENS1_30default_config_static_selectorELNS0_4arch9wavefront6targetE1EEEvT1_: ; @_ZN7rocprim17ROCPRIM_400000_NS6detail17trampoline_kernelINS0_14default_configENS1_20scan_config_selectorIjEEZZNS1_9scan_implILNS1_25lookback_scan_determinismE0ELb0ELb0ES3_N6thrust23THRUST_200600_302600_NS6detail15normal_iteratorINS9_10device_ptrIjEEEENS9_16discard_iteratorINS9_11use_defaultEEEjNS9_4plusIvEEjEEDaPvRmT3_T4_T5_mT6_P12ihipStream_tbENKUlT_T0_E_clISt17integral_constantIbLb1EESX_EEDaSS_ST_EUlSS_E_NS1_11comp_targetILNS1_3genE2ELNS1_11target_archE906ELNS1_3gpuE6ELNS1_3repE0EEENS1_30default_config_static_selectorELNS0_4arch9wavefront6targetE1EEEvT1_
; %bb.0:
	.section	.rodata,"a",@progbits
	.p2align	6, 0x0
	.amdhsa_kernel _ZN7rocprim17ROCPRIM_400000_NS6detail17trampoline_kernelINS0_14default_configENS1_20scan_config_selectorIjEEZZNS1_9scan_implILNS1_25lookback_scan_determinismE0ELb0ELb0ES3_N6thrust23THRUST_200600_302600_NS6detail15normal_iteratorINS9_10device_ptrIjEEEENS9_16discard_iteratorINS9_11use_defaultEEEjNS9_4plusIvEEjEEDaPvRmT3_T4_T5_mT6_P12ihipStream_tbENKUlT_T0_E_clISt17integral_constantIbLb1EESX_EEDaSS_ST_EUlSS_E_NS1_11comp_targetILNS1_3genE2ELNS1_11target_archE906ELNS1_3gpuE6ELNS1_3repE0EEENS1_30default_config_static_selectorELNS0_4arch9wavefront6targetE1EEEvT1_
		.amdhsa_group_segment_fixed_size 0
		.amdhsa_private_segment_fixed_size 0
		.amdhsa_kernarg_size 104
		.amdhsa_user_sgpr_count 6
		.amdhsa_user_sgpr_private_segment_buffer 1
		.amdhsa_user_sgpr_dispatch_ptr 0
		.amdhsa_user_sgpr_queue_ptr 0
		.amdhsa_user_sgpr_kernarg_segment_ptr 1
		.amdhsa_user_sgpr_dispatch_id 0
		.amdhsa_user_sgpr_flat_scratch_init 0
		.amdhsa_user_sgpr_kernarg_preload_length 0
		.amdhsa_user_sgpr_kernarg_preload_offset 0
		.amdhsa_user_sgpr_private_segment_size 0
		.amdhsa_uses_dynamic_stack 0
		.amdhsa_system_sgpr_private_segment_wavefront_offset 0
		.amdhsa_system_sgpr_workgroup_id_x 1
		.amdhsa_system_sgpr_workgroup_id_y 0
		.amdhsa_system_sgpr_workgroup_id_z 0
		.amdhsa_system_sgpr_workgroup_info 0
		.amdhsa_system_vgpr_workitem_id 0
		.amdhsa_next_free_vgpr 1
		.amdhsa_next_free_sgpr 0
		.amdhsa_accum_offset 4
		.amdhsa_reserve_vcc 0
		.amdhsa_reserve_flat_scratch 0
		.amdhsa_float_round_mode_32 0
		.amdhsa_float_round_mode_16_64 0
		.amdhsa_float_denorm_mode_32 3
		.amdhsa_float_denorm_mode_16_64 3
		.amdhsa_dx10_clamp 1
		.amdhsa_ieee_mode 1
		.amdhsa_fp16_overflow 0
		.amdhsa_tg_split 0
		.amdhsa_exception_fp_ieee_invalid_op 0
		.amdhsa_exception_fp_denorm_src 0
		.amdhsa_exception_fp_ieee_div_zero 0
		.amdhsa_exception_fp_ieee_overflow 0
		.amdhsa_exception_fp_ieee_underflow 0
		.amdhsa_exception_fp_ieee_inexact 0
		.amdhsa_exception_int_div_zero 0
	.end_amdhsa_kernel
	.section	.text._ZN7rocprim17ROCPRIM_400000_NS6detail17trampoline_kernelINS0_14default_configENS1_20scan_config_selectorIjEEZZNS1_9scan_implILNS1_25lookback_scan_determinismE0ELb0ELb0ES3_N6thrust23THRUST_200600_302600_NS6detail15normal_iteratorINS9_10device_ptrIjEEEENS9_16discard_iteratorINS9_11use_defaultEEEjNS9_4plusIvEEjEEDaPvRmT3_T4_T5_mT6_P12ihipStream_tbENKUlT_T0_E_clISt17integral_constantIbLb1EESX_EEDaSS_ST_EUlSS_E_NS1_11comp_targetILNS1_3genE2ELNS1_11target_archE906ELNS1_3gpuE6ELNS1_3repE0EEENS1_30default_config_static_selectorELNS0_4arch9wavefront6targetE1EEEvT1_,"axG",@progbits,_ZN7rocprim17ROCPRIM_400000_NS6detail17trampoline_kernelINS0_14default_configENS1_20scan_config_selectorIjEEZZNS1_9scan_implILNS1_25lookback_scan_determinismE0ELb0ELb0ES3_N6thrust23THRUST_200600_302600_NS6detail15normal_iteratorINS9_10device_ptrIjEEEENS9_16discard_iteratorINS9_11use_defaultEEEjNS9_4plusIvEEjEEDaPvRmT3_T4_T5_mT6_P12ihipStream_tbENKUlT_T0_E_clISt17integral_constantIbLb1EESX_EEDaSS_ST_EUlSS_E_NS1_11comp_targetILNS1_3genE2ELNS1_11target_archE906ELNS1_3gpuE6ELNS1_3repE0EEENS1_30default_config_static_selectorELNS0_4arch9wavefront6targetE1EEEvT1_,comdat
.Lfunc_end5316:
	.size	_ZN7rocprim17ROCPRIM_400000_NS6detail17trampoline_kernelINS0_14default_configENS1_20scan_config_selectorIjEEZZNS1_9scan_implILNS1_25lookback_scan_determinismE0ELb0ELb0ES3_N6thrust23THRUST_200600_302600_NS6detail15normal_iteratorINS9_10device_ptrIjEEEENS9_16discard_iteratorINS9_11use_defaultEEEjNS9_4plusIvEEjEEDaPvRmT3_T4_T5_mT6_P12ihipStream_tbENKUlT_T0_E_clISt17integral_constantIbLb1EESX_EEDaSS_ST_EUlSS_E_NS1_11comp_targetILNS1_3genE2ELNS1_11target_archE906ELNS1_3gpuE6ELNS1_3repE0EEENS1_30default_config_static_selectorELNS0_4arch9wavefront6targetE1EEEvT1_, .Lfunc_end5316-_ZN7rocprim17ROCPRIM_400000_NS6detail17trampoline_kernelINS0_14default_configENS1_20scan_config_selectorIjEEZZNS1_9scan_implILNS1_25lookback_scan_determinismE0ELb0ELb0ES3_N6thrust23THRUST_200600_302600_NS6detail15normal_iteratorINS9_10device_ptrIjEEEENS9_16discard_iteratorINS9_11use_defaultEEEjNS9_4plusIvEEjEEDaPvRmT3_T4_T5_mT6_P12ihipStream_tbENKUlT_T0_E_clISt17integral_constantIbLb1EESX_EEDaSS_ST_EUlSS_E_NS1_11comp_targetILNS1_3genE2ELNS1_11target_archE906ELNS1_3gpuE6ELNS1_3repE0EEENS1_30default_config_static_selectorELNS0_4arch9wavefront6targetE1EEEvT1_
                                        ; -- End function
	.section	.AMDGPU.csdata,"",@progbits
; Kernel info:
; codeLenInByte = 0
; NumSgprs: 4
; NumVgprs: 0
; NumAgprs: 0
; TotalNumVgprs: 0
; ScratchSize: 0
; MemoryBound: 0
; FloatMode: 240
; IeeeMode: 1
; LDSByteSize: 0 bytes/workgroup (compile time only)
; SGPRBlocks: 0
; VGPRBlocks: 0
; NumSGPRsForWavesPerEU: 4
; NumVGPRsForWavesPerEU: 1
; AccumOffset: 4
; Occupancy: 8
; WaveLimiterHint : 0
; COMPUTE_PGM_RSRC2:SCRATCH_EN: 0
; COMPUTE_PGM_RSRC2:USER_SGPR: 6
; COMPUTE_PGM_RSRC2:TRAP_HANDLER: 0
; COMPUTE_PGM_RSRC2:TGID_X_EN: 1
; COMPUTE_PGM_RSRC2:TGID_Y_EN: 0
; COMPUTE_PGM_RSRC2:TGID_Z_EN: 0
; COMPUTE_PGM_RSRC2:TIDIG_COMP_CNT: 0
; COMPUTE_PGM_RSRC3_GFX90A:ACCUM_OFFSET: 0
; COMPUTE_PGM_RSRC3_GFX90A:TG_SPLIT: 0
	.section	.text._ZN7rocprim17ROCPRIM_400000_NS6detail17trampoline_kernelINS0_14default_configENS1_20scan_config_selectorIjEEZZNS1_9scan_implILNS1_25lookback_scan_determinismE0ELb0ELb0ES3_N6thrust23THRUST_200600_302600_NS6detail15normal_iteratorINS9_10device_ptrIjEEEENS9_16discard_iteratorINS9_11use_defaultEEEjNS9_4plusIvEEjEEDaPvRmT3_T4_T5_mT6_P12ihipStream_tbENKUlT_T0_E_clISt17integral_constantIbLb1EESX_EEDaSS_ST_EUlSS_E_NS1_11comp_targetILNS1_3genE10ELNS1_11target_archE1201ELNS1_3gpuE5ELNS1_3repE0EEENS1_30default_config_static_selectorELNS0_4arch9wavefront6targetE1EEEvT1_,"axG",@progbits,_ZN7rocprim17ROCPRIM_400000_NS6detail17trampoline_kernelINS0_14default_configENS1_20scan_config_selectorIjEEZZNS1_9scan_implILNS1_25lookback_scan_determinismE0ELb0ELb0ES3_N6thrust23THRUST_200600_302600_NS6detail15normal_iteratorINS9_10device_ptrIjEEEENS9_16discard_iteratorINS9_11use_defaultEEEjNS9_4plusIvEEjEEDaPvRmT3_T4_T5_mT6_P12ihipStream_tbENKUlT_T0_E_clISt17integral_constantIbLb1EESX_EEDaSS_ST_EUlSS_E_NS1_11comp_targetILNS1_3genE10ELNS1_11target_archE1201ELNS1_3gpuE5ELNS1_3repE0EEENS1_30default_config_static_selectorELNS0_4arch9wavefront6targetE1EEEvT1_,comdat
	.protected	_ZN7rocprim17ROCPRIM_400000_NS6detail17trampoline_kernelINS0_14default_configENS1_20scan_config_selectorIjEEZZNS1_9scan_implILNS1_25lookback_scan_determinismE0ELb0ELb0ES3_N6thrust23THRUST_200600_302600_NS6detail15normal_iteratorINS9_10device_ptrIjEEEENS9_16discard_iteratorINS9_11use_defaultEEEjNS9_4plusIvEEjEEDaPvRmT3_T4_T5_mT6_P12ihipStream_tbENKUlT_T0_E_clISt17integral_constantIbLb1EESX_EEDaSS_ST_EUlSS_E_NS1_11comp_targetILNS1_3genE10ELNS1_11target_archE1201ELNS1_3gpuE5ELNS1_3repE0EEENS1_30default_config_static_selectorELNS0_4arch9wavefront6targetE1EEEvT1_ ; -- Begin function _ZN7rocprim17ROCPRIM_400000_NS6detail17trampoline_kernelINS0_14default_configENS1_20scan_config_selectorIjEEZZNS1_9scan_implILNS1_25lookback_scan_determinismE0ELb0ELb0ES3_N6thrust23THRUST_200600_302600_NS6detail15normal_iteratorINS9_10device_ptrIjEEEENS9_16discard_iteratorINS9_11use_defaultEEEjNS9_4plusIvEEjEEDaPvRmT3_T4_T5_mT6_P12ihipStream_tbENKUlT_T0_E_clISt17integral_constantIbLb1EESX_EEDaSS_ST_EUlSS_E_NS1_11comp_targetILNS1_3genE10ELNS1_11target_archE1201ELNS1_3gpuE5ELNS1_3repE0EEENS1_30default_config_static_selectorELNS0_4arch9wavefront6targetE1EEEvT1_
	.globl	_ZN7rocprim17ROCPRIM_400000_NS6detail17trampoline_kernelINS0_14default_configENS1_20scan_config_selectorIjEEZZNS1_9scan_implILNS1_25lookback_scan_determinismE0ELb0ELb0ES3_N6thrust23THRUST_200600_302600_NS6detail15normal_iteratorINS9_10device_ptrIjEEEENS9_16discard_iteratorINS9_11use_defaultEEEjNS9_4plusIvEEjEEDaPvRmT3_T4_T5_mT6_P12ihipStream_tbENKUlT_T0_E_clISt17integral_constantIbLb1EESX_EEDaSS_ST_EUlSS_E_NS1_11comp_targetILNS1_3genE10ELNS1_11target_archE1201ELNS1_3gpuE5ELNS1_3repE0EEENS1_30default_config_static_selectorELNS0_4arch9wavefront6targetE1EEEvT1_
	.p2align	8
	.type	_ZN7rocprim17ROCPRIM_400000_NS6detail17trampoline_kernelINS0_14default_configENS1_20scan_config_selectorIjEEZZNS1_9scan_implILNS1_25lookback_scan_determinismE0ELb0ELb0ES3_N6thrust23THRUST_200600_302600_NS6detail15normal_iteratorINS9_10device_ptrIjEEEENS9_16discard_iteratorINS9_11use_defaultEEEjNS9_4plusIvEEjEEDaPvRmT3_T4_T5_mT6_P12ihipStream_tbENKUlT_T0_E_clISt17integral_constantIbLb1EESX_EEDaSS_ST_EUlSS_E_NS1_11comp_targetILNS1_3genE10ELNS1_11target_archE1201ELNS1_3gpuE5ELNS1_3repE0EEENS1_30default_config_static_selectorELNS0_4arch9wavefront6targetE1EEEvT1_,@function
_ZN7rocprim17ROCPRIM_400000_NS6detail17trampoline_kernelINS0_14default_configENS1_20scan_config_selectorIjEEZZNS1_9scan_implILNS1_25lookback_scan_determinismE0ELb0ELb0ES3_N6thrust23THRUST_200600_302600_NS6detail15normal_iteratorINS9_10device_ptrIjEEEENS9_16discard_iteratorINS9_11use_defaultEEEjNS9_4plusIvEEjEEDaPvRmT3_T4_T5_mT6_P12ihipStream_tbENKUlT_T0_E_clISt17integral_constantIbLb1EESX_EEDaSS_ST_EUlSS_E_NS1_11comp_targetILNS1_3genE10ELNS1_11target_archE1201ELNS1_3gpuE5ELNS1_3repE0EEENS1_30default_config_static_selectorELNS0_4arch9wavefront6targetE1EEEvT1_: ; @_ZN7rocprim17ROCPRIM_400000_NS6detail17trampoline_kernelINS0_14default_configENS1_20scan_config_selectorIjEEZZNS1_9scan_implILNS1_25lookback_scan_determinismE0ELb0ELb0ES3_N6thrust23THRUST_200600_302600_NS6detail15normal_iteratorINS9_10device_ptrIjEEEENS9_16discard_iteratorINS9_11use_defaultEEEjNS9_4plusIvEEjEEDaPvRmT3_T4_T5_mT6_P12ihipStream_tbENKUlT_T0_E_clISt17integral_constantIbLb1EESX_EEDaSS_ST_EUlSS_E_NS1_11comp_targetILNS1_3genE10ELNS1_11target_archE1201ELNS1_3gpuE5ELNS1_3repE0EEENS1_30default_config_static_selectorELNS0_4arch9wavefront6targetE1EEEvT1_
; %bb.0:
	.section	.rodata,"a",@progbits
	.p2align	6, 0x0
	.amdhsa_kernel _ZN7rocprim17ROCPRIM_400000_NS6detail17trampoline_kernelINS0_14default_configENS1_20scan_config_selectorIjEEZZNS1_9scan_implILNS1_25lookback_scan_determinismE0ELb0ELb0ES3_N6thrust23THRUST_200600_302600_NS6detail15normal_iteratorINS9_10device_ptrIjEEEENS9_16discard_iteratorINS9_11use_defaultEEEjNS9_4plusIvEEjEEDaPvRmT3_T4_T5_mT6_P12ihipStream_tbENKUlT_T0_E_clISt17integral_constantIbLb1EESX_EEDaSS_ST_EUlSS_E_NS1_11comp_targetILNS1_3genE10ELNS1_11target_archE1201ELNS1_3gpuE5ELNS1_3repE0EEENS1_30default_config_static_selectorELNS0_4arch9wavefront6targetE1EEEvT1_
		.amdhsa_group_segment_fixed_size 0
		.amdhsa_private_segment_fixed_size 0
		.amdhsa_kernarg_size 104
		.amdhsa_user_sgpr_count 6
		.amdhsa_user_sgpr_private_segment_buffer 1
		.amdhsa_user_sgpr_dispatch_ptr 0
		.amdhsa_user_sgpr_queue_ptr 0
		.amdhsa_user_sgpr_kernarg_segment_ptr 1
		.amdhsa_user_sgpr_dispatch_id 0
		.amdhsa_user_sgpr_flat_scratch_init 0
		.amdhsa_user_sgpr_kernarg_preload_length 0
		.amdhsa_user_sgpr_kernarg_preload_offset 0
		.amdhsa_user_sgpr_private_segment_size 0
		.amdhsa_uses_dynamic_stack 0
		.amdhsa_system_sgpr_private_segment_wavefront_offset 0
		.amdhsa_system_sgpr_workgroup_id_x 1
		.amdhsa_system_sgpr_workgroup_id_y 0
		.amdhsa_system_sgpr_workgroup_id_z 0
		.amdhsa_system_sgpr_workgroup_info 0
		.amdhsa_system_vgpr_workitem_id 0
		.amdhsa_next_free_vgpr 1
		.amdhsa_next_free_sgpr 0
		.amdhsa_accum_offset 4
		.amdhsa_reserve_vcc 0
		.amdhsa_reserve_flat_scratch 0
		.amdhsa_float_round_mode_32 0
		.amdhsa_float_round_mode_16_64 0
		.amdhsa_float_denorm_mode_32 3
		.amdhsa_float_denorm_mode_16_64 3
		.amdhsa_dx10_clamp 1
		.amdhsa_ieee_mode 1
		.amdhsa_fp16_overflow 0
		.amdhsa_tg_split 0
		.amdhsa_exception_fp_ieee_invalid_op 0
		.amdhsa_exception_fp_denorm_src 0
		.amdhsa_exception_fp_ieee_div_zero 0
		.amdhsa_exception_fp_ieee_overflow 0
		.amdhsa_exception_fp_ieee_underflow 0
		.amdhsa_exception_fp_ieee_inexact 0
		.amdhsa_exception_int_div_zero 0
	.end_amdhsa_kernel
	.section	.text._ZN7rocprim17ROCPRIM_400000_NS6detail17trampoline_kernelINS0_14default_configENS1_20scan_config_selectorIjEEZZNS1_9scan_implILNS1_25lookback_scan_determinismE0ELb0ELb0ES3_N6thrust23THRUST_200600_302600_NS6detail15normal_iteratorINS9_10device_ptrIjEEEENS9_16discard_iteratorINS9_11use_defaultEEEjNS9_4plusIvEEjEEDaPvRmT3_T4_T5_mT6_P12ihipStream_tbENKUlT_T0_E_clISt17integral_constantIbLb1EESX_EEDaSS_ST_EUlSS_E_NS1_11comp_targetILNS1_3genE10ELNS1_11target_archE1201ELNS1_3gpuE5ELNS1_3repE0EEENS1_30default_config_static_selectorELNS0_4arch9wavefront6targetE1EEEvT1_,"axG",@progbits,_ZN7rocprim17ROCPRIM_400000_NS6detail17trampoline_kernelINS0_14default_configENS1_20scan_config_selectorIjEEZZNS1_9scan_implILNS1_25lookback_scan_determinismE0ELb0ELb0ES3_N6thrust23THRUST_200600_302600_NS6detail15normal_iteratorINS9_10device_ptrIjEEEENS9_16discard_iteratorINS9_11use_defaultEEEjNS9_4plusIvEEjEEDaPvRmT3_T4_T5_mT6_P12ihipStream_tbENKUlT_T0_E_clISt17integral_constantIbLb1EESX_EEDaSS_ST_EUlSS_E_NS1_11comp_targetILNS1_3genE10ELNS1_11target_archE1201ELNS1_3gpuE5ELNS1_3repE0EEENS1_30default_config_static_selectorELNS0_4arch9wavefront6targetE1EEEvT1_,comdat
.Lfunc_end5317:
	.size	_ZN7rocprim17ROCPRIM_400000_NS6detail17trampoline_kernelINS0_14default_configENS1_20scan_config_selectorIjEEZZNS1_9scan_implILNS1_25lookback_scan_determinismE0ELb0ELb0ES3_N6thrust23THRUST_200600_302600_NS6detail15normal_iteratorINS9_10device_ptrIjEEEENS9_16discard_iteratorINS9_11use_defaultEEEjNS9_4plusIvEEjEEDaPvRmT3_T4_T5_mT6_P12ihipStream_tbENKUlT_T0_E_clISt17integral_constantIbLb1EESX_EEDaSS_ST_EUlSS_E_NS1_11comp_targetILNS1_3genE10ELNS1_11target_archE1201ELNS1_3gpuE5ELNS1_3repE0EEENS1_30default_config_static_selectorELNS0_4arch9wavefront6targetE1EEEvT1_, .Lfunc_end5317-_ZN7rocprim17ROCPRIM_400000_NS6detail17trampoline_kernelINS0_14default_configENS1_20scan_config_selectorIjEEZZNS1_9scan_implILNS1_25lookback_scan_determinismE0ELb0ELb0ES3_N6thrust23THRUST_200600_302600_NS6detail15normal_iteratorINS9_10device_ptrIjEEEENS9_16discard_iteratorINS9_11use_defaultEEEjNS9_4plusIvEEjEEDaPvRmT3_T4_T5_mT6_P12ihipStream_tbENKUlT_T0_E_clISt17integral_constantIbLb1EESX_EEDaSS_ST_EUlSS_E_NS1_11comp_targetILNS1_3genE10ELNS1_11target_archE1201ELNS1_3gpuE5ELNS1_3repE0EEENS1_30default_config_static_selectorELNS0_4arch9wavefront6targetE1EEEvT1_
                                        ; -- End function
	.section	.AMDGPU.csdata,"",@progbits
; Kernel info:
; codeLenInByte = 0
; NumSgprs: 4
; NumVgprs: 0
; NumAgprs: 0
; TotalNumVgprs: 0
; ScratchSize: 0
; MemoryBound: 0
; FloatMode: 240
; IeeeMode: 1
; LDSByteSize: 0 bytes/workgroup (compile time only)
; SGPRBlocks: 0
; VGPRBlocks: 0
; NumSGPRsForWavesPerEU: 4
; NumVGPRsForWavesPerEU: 1
; AccumOffset: 4
; Occupancy: 8
; WaveLimiterHint : 0
; COMPUTE_PGM_RSRC2:SCRATCH_EN: 0
; COMPUTE_PGM_RSRC2:USER_SGPR: 6
; COMPUTE_PGM_RSRC2:TRAP_HANDLER: 0
; COMPUTE_PGM_RSRC2:TGID_X_EN: 1
; COMPUTE_PGM_RSRC2:TGID_Y_EN: 0
; COMPUTE_PGM_RSRC2:TGID_Z_EN: 0
; COMPUTE_PGM_RSRC2:TIDIG_COMP_CNT: 0
; COMPUTE_PGM_RSRC3_GFX90A:ACCUM_OFFSET: 0
; COMPUTE_PGM_RSRC3_GFX90A:TG_SPLIT: 0
	.section	.text._ZN7rocprim17ROCPRIM_400000_NS6detail17trampoline_kernelINS0_14default_configENS1_20scan_config_selectorIjEEZZNS1_9scan_implILNS1_25lookback_scan_determinismE0ELb0ELb0ES3_N6thrust23THRUST_200600_302600_NS6detail15normal_iteratorINS9_10device_ptrIjEEEENS9_16discard_iteratorINS9_11use_defaultEEEjNS9_4plusIvEEjEEDaPvRmT3_T4_T5_mT6_P12ihipStream_tbENKUlT_T0_E_clISt17integral_constantIbLb1EESX_EEDaSS_ST_EUlSS_E_NS1_11comp_targetILNS1_3genE10ELNS1_11target_archE1200ELNS1_3gpuE4ELNS1_3repE0EEENS1_30default_config_static_selectorELNS0_4arch9wavefront6targetE1EEEvT1_,"axG",@progbits,_ZN7rocprim17ROCPRIM_400000_NS6detail17trampoline_kernelINS0_14default_configENS1_20scan_config_selectorIjEEZZNS1_9scan_implILNS1_25lookback_scan_determinismE0ELb0ELb0ES3_N6thrust23THRUST_200600_302600_NS6detail15normal_iteratorINS9_10device_ptrIjEEEENS9_16discard_iteratorINS9_11use_defaultEEEjNS9_4plusIvEEjEEDaPvRmT3_T4_T5_mT6_P12ihipStream_tbENKUlT_T0_E_clISt17integral_constantIbLb1EESX_EEDaSS_ST_EUlSS_E_NS1_11comp_targetILNS1_3genE10ELNS1_11target_archE1200ELNS1_3gpuE4ELNS1_3repE0EEENS1_30default_config_static_selectorELNS0_4arch9wavefront6targetE1EEEvT1_,comdat
	.protected	_ZN7rocprim17ROCPRIM_400000_NS6detail17trampoline_kernelINS0_14default_configENS1_20scan_config_selectorIjEEZZNS1_9scan_implILNS1_25lookback_scan_determinismE0ELb0ELb0ES3_N6thrust23THRUST_200600_302600_NS6detail15normal_iteratorINS9_10device_ptrIjEEEENS9_16discard_iteratorINS9_11use_defaultEEEjNS9_4plusIvEEjEEDaPvRmT3_T4_T5_mT6_P12ihipStream_tbENKUlT_T0_E_clISt17integral_constantIbLb1EESX_EEDaSS_ST_EUlSS_E_NS1_11comp_targetILNS1_3genE10ELNS1_11target_archE1200ELNS1_3gpuE4ELNS1_3repE0EEENS1_30default_config_static_selectorELNS0_4arch9wavefront6targetE1EEEvT1_ ; -- Begin function _ZN7rocprim17ROCPRIM_400000_NS6detail17trampoline_kernelINS0_14default_configENS1_20scan_config_selectorIjEEZZNS1_9scan_implILNS1_25lookback_scan_determinismE0ELb0ELb0ES3_N6thrust23THRUST_200600_302600_NS6detail15normal_iteratorINS9_10device_ptrIjEEEENS9_16discard_iteratorINS9_11use_defaultEEEjNS9_4plusIvEEjEEDaPvRmT3_T4_T5_mT6_P12ihipStream_tbENKUlT_T0_E_clISt17integral_constantIbLb1EESX_EEDaSS_ST_EUlSS_E_NS1_11comp_targetILNS1_3genE10ELNS1_11target_archE1200ELNS1_3gpuE4ELNS1_3repE0EEENS1_30default_config_static_selectorELNS0_4arch9wavefront6targetE1EEEvT1_
	.globl	_ZN7rocprim17ROCPRIM_400000_NS6detail17trampoline_kernelINS0_14default_configENS1_20scan_config_selectorIjEEZZNS1_9scan_implILNS1_25lookback_scan_determinismE0ELb0ELb0ES3_N6thrust23THRUST_200600_302600_NS6detail15normal_iteratorINS9_10device_ptrIjEEEENS9_16discard_iteratorINS9_11use_defaultEEEjNS9_4plusIvEEjEEDaPvRmT3_T4_T5_mT6_P12ihipStream_tbENKUlT_T0_E_clISt17integral_constantIbLb1EESX_EEDaSS_ST_EUlSS_E_NS1_11comp_targetILNS1_3genE10ELNS1_11target_archE1200ELNS1_3gpuE4ELNS1_3repE0EEENS1_30default_config_static_selectorELNS0_4arch9wavefront6targetE1EEEvT1_
	.p2align	8
	.type	_ZN7rocprim17ROCPRIM_400000_NS6detail17trampoline_kernelINS0_14default_configENS1_20scan_config_selectorIjEEZZNS1_9scan_implILNS1_25lookback_scan_determinismE0ELb0ELb0ES3_N6thrust23THRUST_200600_302600_NS6detail15normal_iteratorINS9_10device_ptrIjEEEENS9_16discard_iteratorINS9_11use_defaultEEEjNS9_4plusIvEEjEEDaPvRmT3_T4_T5_mT6_P12ihipStream_tbENKUlT_T0_E_clISt17integral_constantIbLb1EESX_EEDaSS_ST_EUlSS_E_NS1_11comp_targetILNS1_3genE10ELNS1_11target_archE1200ELNS1_3gpuE4ELNS1_3repE0EEENS1_30default_config_static_selectorELNS0_4arch9wavefront6targetE1EEEvT1_,@function
_ZN7rocprim17ROCPRIM_400000_NS6detail17trampoline_kernelINS0_14default_configENS1_20scan_config_selectorIjEEZZNS1_9scan_implILNS1_25lookback_scan_determinismE0ELb0ELb0ES3_N6thrust23THRUST_200600_302600_NS6detail15normal_iteratorINS9_10device_ptrIjEEEENS9_16discard_iteratorINS9_11use_defaultEEEjNS9_4plusIvEEjEEDaPvRmT3_T4_T5_mT6_P12ihipStream_tbENKUlT_T0_E_clISt17integral_constantIbLb1EESX_EEDaSS_ST_EUlSS_E_NS1_11comp_targetILNS1_3genE10ELNS1_11target_archE1200ELNS1_3gpuE4ELNS1_3repE0EEENS1_30default_config_static_selectorELNS0_4arch9wavefront6targetE1EEEvT1_: ; @_ZN7rocprim17ROCPRIM_400000_NS6detail17trampoline_kernelINS0_14default_configENS1_20scan_config_selectorIjEEZZNS1_9scan_implILNS1_25lookback_scan_determinismE0ELb0ELb0ES3_N6thrust23THRUST_200600_302600_NS6detail15normal_iteratorINS9_10device_ptrIjEEEENS9_16discard_iteratorINS9_11use_defaultEEEjNS9_4plusIvEEjEEDaPvRmT3_T4_T5_mT6_P12ihipStream_tbENKUlT_T0_E_clISt17integral_constantIbLb1EESX_EEDaSS_ST_EUlSS_E_NS1_11comp_targetILNS1_3genE10ELNS1_11target_archE1200ELNS1_3gpuE4ELNS1_3repE0EEENS1_30default_config_static_selectorELNS0_4arch9wavefront6targetE1EEEvT1_
; %bb.0:
	.section	.rodata,"a",@progbits
	.p2align	6, 0x0
	.amdhsa_kernel _ZN7rocprim17ROCPRIM_400000_NS6detail17trampoline_kernelINS0_14default_configENS1_20scan_config_selectorIjEEZZNS1_9scan_implILNS1_25lookback_scan_determinismE0ELb0ELb0ES3_N6thrust23THRUST_200600_302600_NS6detail15normal_iteratorINS9_10device_ptrIjEEEENS9_16discard_iteratorINS9_11use_defaultEEEjNS9_4plusIvEEjEEDaPvRmT3_T4_T5_mT6_P12ihipStream_tbENKUlT_T0_E_clISt17integral_constantIbLb1EESX_EEDaSS_ST_EUlSS_E_NS1_11comp_targetILNS1_3genE10ELNS1_11target_archE1200ELNS1_3gpuE4ELNS1_3repE0EEENS1_30default_config_static_selectorELNS0_4arch9wavefront6targetE1EEEvT1_
		.amdhsa_group_segment_fixed_size 0
		.amdhsa_private_segment_fixed_size 0
		.amdhsa_kernarg_size 104
		.amdhsa_user_sgpr_count 6
		.amdhsa_user_sgpr_private_segment_buffer 1
		.amdhsa_user_sgpr_dispatch_ptr 0
		.amdhsa_user_sgpr_queue_ptr 0
		.amdhsa_user_sgpr_kernarg_segment_ptr 1
		.amdhsa_user_sgpr_dispatch_id 0
		.amdhsa_user_sgpr_flat_scratch_init 0
		.amdhsa_user_sgpr_kernarg_preload_length 0
		.amdhsa_user_sgpr_kernarg_preload_offset 0
		.amdhsa_user_sgpr_private_segment_size 0
		.amdhsa_uses_dynamic_stack 0
		.amdhsa_system_sgpr_private_segment_wavefront_offset 0
		.amdhsa_system_sgpr_workgroup_id_x 1
		.amdhsa_system_sgpr_workgroup_id_y 0
		.amdhsa_system_sgpr_workgroup_id_z 0
		.amdhsa_system_sgpr_workgroup_info 0
		.amdhsa_system_vgpr_workitem_id 0
		.amdhsa_next_free_vgpr 1
		.amdhsa_next_free_sgpr 0
		.amdhsa_accum_offset 4
		.amdhsa_reserve_vcc 0
		.amdhsa_reserve_flat_scratch 0
		.amdhsa_float_round_mode_32 0
		.amdhsa_float_round_mode_16_64 0
		.amdhsa_float_denorm_mode_32 3
		.amdhsa_float_denorm_mode_16_64 3
		.amdhsa_dx10_clamp 1
		.amdhsa_ieee_mode 1
		.amdhsa_fp16_overflow 0
		.amdhsa_tg_split 0
		.amdhsa_exception_fp_ieee_invalid_op 0
		.amdhsa_exception_fp_denorm_src 0
		.amdhsa_exception_fp_ieee_div_zero 0
		.amdhsa_exception_fp_ieee_overflow 0
		.amdhsa_exception_fp_ieee_underflow 0
		.amdhsa_exception_fp_ieee_inexact 0
		.amdhsa_exception_int_div_zero 0
	.end_amdhsa_kernel
	.section	.text._ZN7rocprim17ROCPRIM_400000_NS6detail17trampoline_kernelINS0_14default_configENS1_20scan_config_selectorIjEEZZNS1_9scan_implILNS1_25lookback_scan_determinismE0ELb0ELb0ES3_N6thrust23THRUST_200600_302600_NS6detail15normal_iteratorINS9_10device_ptrIjEEEENS9_16discard_iteratorINS9_11use_defaultEEEjNS9_4plusIvEEjEEDaPvRmT3_T4_T5_mT6_P12ihipStream_tbENKUlT_T0_E_clISt17integral_constantIbLb1EESX_EEDaSS_ST_EUlSS_E_NS1_11comp_targetILNS1_3genE10ELNS1_11target_archE1200ELNS1_3gpuE4ELNS1_3repE0EEENS1_30default_config_static_selectorELNS0_4arch9wavefront6targetE1EEEvT1_,"axG",@progbits,_ZN7rocprim17ROCPRIM_400000_NS6detail17trampoline_kernelINS0_14default_configENS1_20scan_config_selectorIjEEZZNS1_9scan_implILNS1_25lookback_scan_determinismE0ELb0ELb0ES3_N6thrust23THRUST_200600_302600_NS6detail15normal_iteratorINS9_10device_ptrIjEEEENS9_16discard_iteratorINS9_11use_defaultEEEjNS9_4plusIvEEjEEDaPvRmT3_T4_T5_mT6_P12ihipStream_tbENKUlT_T0_E_clISt17integral_constantIbLb1EESX_EEDaSS_ST_EUlSS_E_NS1_11comp_targetILNS1_3genE10ELNS1_11target_archE1200ELNS1_3gpuE4ELNS1_3repE0EEENS1_30default_config_static_selectorELNS0_4arch9wavefront6targetE1EEEvT1_,comdat
.Lfunc_end5318:
	.size	_ZN7rocprim17ROCPRIM_400000_NS6detail17trampoline_kernelINS0_14default_configENS1_20scan_config_selectorIjEEZZNS1_9scan_implILNS1_25lookback_scan_determinismE0ELb0ELb0ES3_N6thrust23THRUST_200600_302600_NS6detail15normal_iteratorINS9_10device_ptrIjEEEENS9_16discard_iteratorINS9_11use_defaultEEEjNS9_4plusIvEEjEEDaPvRmT3_T4_T5_mT6_P12ihipStream_tbENKUlT_T0_E_clISt17integral_constantIbLb1EESX_EEDaSS_ST_EUlSS_E_NS1_11comp_targetILNS1_3genE10ELNS1_11target_archE1200ELNS1_3gpuE4ELNS1_3repE0EEENS1_30default_config_static_selectorELNS0_4arch9wavefront6targetE1EEEvT1_, .Lfunc_end5318-_ZN7rocprim17ROCPRIM_400000_NS6detail17trampoline_kernelINS0_14default_configENS1_20scan_config_selectorIjEEZZNS1_9scan_implILNS1_25lookback_scan_determinismE0ELb0ELb0ES3_N6thrust23THRUST_200600_302600_NS6detail15normal_iteratorINS9_10device_ptrIjEEEENS9_16discard_iteratorINS9_11use_defaultEEEjNS9_4plusIvEEjEEDaPvRmT3_T4_T5_mT6_P12ihipStream_tbENKUlT_T0_E_clISt17integral_constantIbLb1EESX_EEDaSS_ST_EUlSS_E_NS1_11comp_targetILNS1_3genE10ELNS1_11target_archE1200ELNS1_3gpuE4ELNS1_3repE0EEENS1_30default_config_static_selectorELNS0_4arch9wavefront6targetE1EEEvT1_
                                        ; -- End function
	.section	.AMDGPU.csdata,"",@progbits
; Kernel info:
; codeLenInByte = 0
; NumSgprs: 4
; NumVgprs: 0
; NumAgprs: 0
; TotalNumVgprs: 0
; ScratchSize: 0
; MemoryBound: 0
; FloatMode: 240
; IeeeMode: 1
; LDSByteSize: 0 bytes/workgroup (compile time only)
; SGPRBlocks: 0
; VGPRBlocks: 0
; NumSGPRsForWavesPerEU: 4
; NumVGPRsForWavesPerEU: 1
; AccumOffset: 4
; Occupancy: 8
; WaveLimiterHint : 0
; COMPUTE_PGM_RSRC2:SCRATCH_EN: 0
; COMPUTE_PGM_RSRC2:USER_SGPR: 6
; COMPUTE_PGM_RSRC2:TRAP_HANDLER: 0
; COMPUTE_PGM_RSRC2:TGID_X_EN: 1
; COMPUTE_PGM_RSRC2:TGID_Y_EN: 0
; COMPUTE_PGM_RSRC2:TGID_Z_EN: 0
; COMPUTE_PGM_RSRC2:TIDIG_COMP_CNT: 0
; COMPUTE_PGM_RSRC3_GFX90A:ACCUM_OFFSET: 0
; COMPUTE_PGM_RSRC3_GFX90A:TG_SPLIT: 0
	.section	.text._ZN7rocprim17ROCPRIM_400000_NS6detail17trampoline_kernelINS0_14default_configENS1_20scan_config_selectorIjEEZZNS1_9scan_implILNS1_25lookback_scan_determinismE0ELb0ELb0ES3_N6thrust23THRUST_200600_302600_NS6detail15normal_iteratorINS9_10device_ptrIjEEEENS9_16discard_iteratorINS9_11use_defaultEEEjNS9_4plusIvEEjEEDaPvRmT3_T4_T5_mT6_P12ihipStream_tbENKUlT_T0_E_clISt17integral_constantIbLb1EESX_EEDaSS_ST_EUlSS_E_NS1_11comp_targetILNS1_3genE9ELNS1_11target_archE1100ELNS1_3gpuE3ELNS1_3repE0EEENS1_30default_config_static_selectorELNS0_4arch9wavefront6targetE1EEEvT1_,"axG",@progbits,_ZN7rocprim17ROCPRIM_400000_NS6detail17trampoline_kernelINS0_14default_configENS1_20scan_config_selectorIjEEZZNS1_9scan_implILNS1_25lookback_scan_determinismE0ELb0ELb0ES3_N6thrust23THRUST_200600_302600_NS6detail15normal_iteratorINS9_10device_ptrIjEEEENS9_16discard_iteratorINS9_11use_defaultEEEjNS9_4plusIvEEjEEDaPvRmT3_T4_T5_mT6_P12ihipStream_tbENKUlT_T0_E_clISt17integral_constantIbLb1EESX_EEDaSS_ST_EUlSS_E_NS1_11comp_targetILNS1_3genE9ELNS1_11target_archE1100ELNS1_3gpuE3ELNS1_3repE0EEENS1_30default_config_static_selectorELNS0_4arch9wavefront6targetE1EEEvT1_,comdat
	.protected	_ZN7rocprim17ROCPRIM_400000_NS6detail17trampoline_kernelINS0_14default_configENS1_20scan_config_selectorIjEEZZNS1_9scan_implILNS1_25lookback_scan_determinismE0ELb0ELb0ES3_N6thrust23THRUST_200600_302600_NS6detail15normal_iteratorINS9_10device_ptrIjEEEENS9_16discard_iteratorINS9_11use_defaultEEEjNS9_4plusIvEEjEEDaPvRmT3_T4_T5_mT6_P12ihipStream_tbENKUlT_T0_E_clISt17integral_constantIbLb1EESX_EEDaSS_ST_EUlSS_E_NS1_11comp_targetILNS1_3genE9ELNS1_11target_archE1100ELNS1_3gpuE3ELNS1_3repE0EEENS1_30default_config_static_selectorELNS0_4arch9wavefront6targetE1EEEvT1_ ; -- Begin function _ZN7rocprim17ROCPRIM_400000_NS6detail17trampoline_kernelINS0_14default_configENS1_20scan_config_selectorIjEEZZNS1_9scan_implILNS1_25lookback_scan_determinismE0ELb0ELb0ES3_N6thrust23THRUST_200600_302600_NS6detail15normal_iteratorINS9_10device_ptrIjEEEENS9_16discard_iteratorINS9_11use_defaultEEEjNS9_4plusIvEEjEEDaPvRmT3_T4_T5_mT6_P12ihipStream_tbENKUlT_T0_E_clISt17integral_constantIbLb1EESX_EEDaSS_ST_EUlSS_E_NS1_11comp_targetILNS1_3genE9ELNS1_11target_archE1100ELNS1_3gpuE3ELNS1_3repE0EEENS1_30default_config_static_selectorELNS0_4arch9wavefront6targetE1EEEvT1_
	.globl	_ZN7rocprim17ROCPRIM_400000_NS6detail17trampoline_kernelINS0_14default_configENS1_20scan_config_selectorIjEEZZNS1_9scan_implILNS1_25lookback_scan_determinismE0ELb0ELb0ES3_N6thrust23THRUST_200600_302600_NS6detail15normal_iteratorINS9_10device_ptrIjEEEENS9_16discard_iteratorINS9_11use_defaultEEEjNS9_4plusIvEEjEEDaPvRmT3_T4_T5_mT6_P12ihipStream_tbENKUlT_T0_E_clISt17integral_constantIbLb1EESX_EEDaSS_ST_EUlSS_E_NS1_11comp_targetILNS1_3genE9ELNS1_11target_archE1100ELNS1_3gpuE3ELNS1_3repE0EEENS1_30default_config_static_selectorELNS0_4arch9wavefront6targetE1EEEvT1_
	.p2align	8
	.type	_ZN7rocprim17ROCPRIM_400000_NS6detail17trampoline_kernelINS0_14default_configENS1_20scan_config_selectorIjEEZZNS1_9scan_implILNS1_25lookback_scan_determinismE0ELb0ELb0ES3_N6thrust23THRUST_200600_302600_NS6detail15normal_iteratorINS9_10device_ptrIjEEEENS9_16discard_iteratorINS9_11use_defaultEEEjNS9_4plusIvEEjEEDaPvRmT3_T4_T5_mT6_P12ihipStream_tbENKUlT_T0_E_clISt17integral_constantIbLb1EESX_EEDaSS_ST_EUlSS_E_NS1_11comp_targetILNS1_3genE9ELNS1_11target_archE1100ELNS1_3gpuE3ELNS1_3repE0EEENS1_30default_config_static_selectorELNS0_4arch9wavefront6targetE1EEEvT1_,@function
_ZN7rocprim17ROCPRIM_400000_NS6detail17trampoline_kernelINS0_14default_configENS1_20scan_config_selectorIjEEZZNS1_9scan_implILNS1_25lookback_scan_determinismE0ELb0ELb0ES3_N6thrust23THRUST_200600_302600_NS6detail15normal_iteratorINS9_10device_ptrIjEEEENS9_16discard_iteratorINS9_11use_defaultEEEjNS9_4plusIvEEjEEDaPvRmT3_T4_T5_mT6_P12ihipStream_tbENKUlT_T0_E_clISt17integral_constantIbLb1EESX_EEDaSS_ST_EUlSS_E_NS1_11comp_targetILNS1_3genE9ELNS1_11target_archE1100ELNS1_3gpuE3ELNS1_3repE0EEENS1_30default_config_static_selectorELNS0_4arch9wavefront6targetE1EEEvT1_: ; @_ZN7rocprim17ROCPRIM_400000_NS6detail17trampoline_kernelINS0_14default_configENS1_20scan_config_selectorIjEEZZNS1_9scan_implILNS1_25lookback_scan_determinismE0ELb0ELb0ES3_N6thrust23THRUST_200600_302600_NS6detail15normal_iteratorINS9_10device_ptrIjEEEENS9_16discard_iteratorINS9_11use_defaultEEEjNS9_4plusIvEEjEEDaPvRmT3_T4_T5_mT6_P12ihipStream_tbENKUlT_T0_E_clISt17integral_constantIbLb1EESX_EEDaSS_ST_EUlSS_E_NS1_11comp_targetILNS1_3genE9ELNS1_11target_archE1100ELNS1_3gpuE3ELNS1_3repE0EEENS1_30default_config_static_selectorELNS0_4arch9wavefront6targetE1EEEvT1_
; %bb.0:
	.section	.rodata,"a",@progbits
	.p2align	6, 0x0
	.amdhsa_kernel _ZN7rocprim17ROCPRIM_400000_NS6detail17trampoline_kernelINS0_14default_configENS1_20scan_config_selectorIjEEZZNS1_9scan_implILNS1_25lookback_scan_determinismE0ELb0ELb0ES3_N6thrust23THRUST_200600_302600_NS6detail15normal_iteratorINS9_10device_ptrIjEEEENS9_16discard_iteratorINS9_11use_defaultEEEjNS9_4plusIvEEjEEDaPvRmT3_T4_T5_mT6_P12ihipStream_tbENKUlT_T0_E_clISt17integral_constantIbLb1EESX_EEDaSS_ST_EUlSS_E_NS1_11comp_targetILNS1_3genE9ELNS1_11target_archE1100ELNS1_3gpuE3ELNS1_3repE0EEENS1_30default_config_static_selectorELNS0_4arch9wavefront6targetE1EEEvT1_
		.amdhsa_group_segment_fixed_size 0
		.amdhsa_private_segment_fixed_size 0
		.amdhsa_kernarg_size 104
		.amdhsa_user_sgpr_count 6
		.amdhsa_user_sgpr_private_segment_buffer 1
		.amdhsa_user_sgpr_dispatch_ptr 0
		.amdhsa_user_sgpr_queue_ptr 0
		.amdhsa_user_sgpr_kernarg_segment_ptr 1
		.amdhsa_user_sgpr_dispatch_id 0
		.amdhsa_user_sgpr_flat_scratch_init 0
		.amdhsa_user_sgpr_kernarg_preload_length 0
		.amdhsa_user_sgpr_kernarg_preload_offset 0
		.amdhsa_user_sgpr_private_segment_size 0
		.amdhsa_uses_dynamic_stack 0
		.amdhsa_system_sgpr_private_segment_wavefront_offset 0
		.amdhsa_system_sgpr_workgroup_id_x 1
		.amdhsa_system_sgpr_workgroup_id_y 0
		.amdhsa_system_sgpr_workgroup_id_z 0
		.amdhsa_system_sgpr_workgroup_info 0
		.amdhsa_system_vgpr_workitem_id 0
		.amdhsa_next_free_vgpr 1
		.amdhsa_next_free_sgpr 0
		.amdhsa_accum_offset 4
		.amdhsa_reserve_vcc 0
		.amdhsa_reserve_flat_scratch 0
		.amdhsa_float_round_mode_32 0
		.amdhsa_float_round_mode_16_64 0
		.amdhsa_float_denorm_mode_32 3
		.amdhsa_float_denorm_mode_16_64 3
		.amdhsa_dx10_clamp 1
		.amdhsa_ieee_mode 1
		.amdhsa_fp16_overflow 0
		.amdhsa_tg_split 0
		.amdhsa_exception_fp_ieee_invalid_op 0
		.amdhsa_exception_fp_denorm_src 0
		.amdhsa_exception_fp_ieee_div_zero 0
		.amdhsa_exception_fp_ieee_overflow 0
		.amdhsa_exception_fp_ieee_underflow 0
		.amdhsa_exception_fp_ieee_inexact 0
		.amdhsa_exception_int_div_zero 0
	.end_amdhsa_kernel
	.section	.text._ZN7rocprim17ROCPRIM_400000_NS6detail17trampoline_kernelINS0_14default_configENS1_20scan_config_selectorIjEEZZNS1_9scan_implILNS1_25lookback_scan_determinismE0ELb0ELb0ES3_N6thrust23THRUST_200600_302600_NS6detail15normal_iteratorINS9_10device_ptrIjEEEENS9_16discard_iteratorINS9_11use_defaultEEEjNS9_4plusIvEEjEEDaPvRmT3_T4_T5_mT6_P12ihipStream_tbENKUlT_T0_E_clISt17integral_constantIbLb1EESX_EEDaSS_ST_EUlSS_E_NS1_11comp_targetILNS1_3genE9ELNS1_11target_archE1100ELNS1_3gpuE3ELNS1_3repE0EEENS1_30default_config_static_selectorELNS0_4arch9wavefront6targetE1EEEvT1_,"axG",@progbits,_ZN7rocprim17ROCPRIM_400000_NS6detail17trampoline_kernelINS0_14default_configENS1_20scan_config_selectorIjEEZZNS1_9scan_implILNS1_25lookback_scan_determinismE0ELb0ELb0ES3_N6thrust23THRUST_200600_302600_NS6detail15normal_iteratorINS9_10device_ptrIjEEEENS9_16discard_iteratorINS9_11use_defaultEEEjNS9_4plusIvEEjEEDaPvRmT3_T4_T5_mT6_P12ihipStream_tbENKUlT_T0_E_clISt17integral_constantIbLb1EESX_EEDaSS_ST_EUlSS_E_NS1_11comp_targetILNS1_3genE9ELNS1_11target_archE1100ELNS1_3gpuE3ELNS1_3repE0EEENS1_30default_config_static_selectorELNS0_4arch9wavefront6targetE1EEEvT1_,comdat
.Lfunc_end5319:
	.size	_ZN7rocprim17ROCPRIM_400000_NS6detail17trampoline_kernelINS0_14default_configENS1_20scan_config_selectorIjEEZZNS1_9scan_implILNS1_25lookback_scan_determinismE0ELb0ELb0ES3_N6thrust23THRUST_200600_302600_NS6detail15normal_iteratorINS9_10device_ptrIjEEEENS9_16discard_iteratorINS9_11use_defaultEEEjNS9_4plusIvEEjEEDaPvRmT3_T4_T5_mT6_P12ihipStream_tbENKUlT_T0_E_clISt17integral_constantIbLb1EESX_EEDaSS_ST_EUlSS_E_NS1_11comp_targetILNS1_3genE9ELNS1_11target_archE1100ELNS1_3gpuE3ELNS1_3repE0EEENS1_30default_config_static_selectorELNS0_4arch9wavefront6targetE1EEEvT1_, .Lfunc_end5319-_ZN7rocprim17ROCPRIM_400000_NS6detail17trampoline_kernelINS0_14default_configENS1_20scan_config_selectorIjEEZZNS1_9scan_implILNS1_25lookback_scan_determinismE0ELb0ELb0ES3_N6thrust23THRUST_200600_302600_NS6detail15normal_iteratorINS9_10device_ptrIjEEEENS9_16discard_iteratorINS9_11use_defaultEEEjNS9_4plusIvEEjEEDaPvRmT3_T4_T5_mT6_P12ihipStream_tbENKUlT_T0_E_clISt17integral_constantIbLb1EESX_EEDaSS_ST_EUlSS_E_NS1_11comp_targetILNS1_3genE9ELNS1_11target_archE1100ELNS1_3gpuE3ELNS1_3repE0EEENS1_30default_config_static_selectorELNS0_4arch9wavefront6targetE1EEEvT1_
                                        ; -- End function
	.section	.AMDGPU.csdata,"",@progbits
; Kernel info:
; codeLenInByte = 0
; NumSgprs: 4
; NumVgprs: 0
; NumAgprs: 0
; TotalNumVgprs: 0
; ScratchSize: 0
; MemoryBound: 0
; FloatMode: 240
; IeeeMode: 1
; LDSByteSize: 0 bytes/workgroup (compile time only)
; SGPRBlocks: 0
; VGPRBlocks: 0
; NumSGPRsForWavesPerEU: 4
; NumVGPRsForWavesPerEU: 1
; AccumOffset: 4
; Occupancy: 8
; WaveLimiterHint : 0
; COMPUTE_PGM_RSRC2:SCRATCH_EN: 0
; COMPUTE_PGM_RSRC2:USER_SGPR: 6
; COMPUTE_PGM_RSRC2:TRAP_HANDLER: 0
; COMPUTE_PGM_RSRC2:TGID_X_EN: 1
; COMPUTE_PGM_RSRC2:TGID_Y_EN: 0
; COMPUTE_PGM_RSRC2:TGID_Z_EN: 0
; COMPUTE_PGM_RSRC2:TIDIG_COMP_CNT: 0
; COMPUTE_PGM_RSRC3_GFX90A:ACCUM_OFFSET: 0
; COMPUTE_PGM_RSRC3_GFX90A:TG_SPLIT: 0
	.section	.text._ZN7rocprim17ROCPRIM_400000_NS6detail17trampoline_kernelINS0_14default_configENS1_20scan_config_selectorIjEEZZNS1_9scan_implILNS1_25lookback_scan_determinismE0ELb0ELb0ES3_N6thrust23THRUST_200600_302600_NS6detail15normal_iteratorINS9_10device_ptrIjEEEENS9_16discard_iteratorINS9_11use_defaultEEEjNS9_4plusIvEEjEEDaPvRmT3_T4_T5_mT6_P12ihipStream_tbENKUlT_T0_E_clISt17integral_constantIbLb1EESX_EEDaSS_ST_EUlSS_E_NS1_11comp_targetILNS1_3genE8ELNS1_11target_archE1030ELNS1_3gpuE2ELNS1_3repE0EEENS1_30default_config_static_selectorELNS0_4arch9wavefront6targetE1EEEvT1_,"axG",@progbits,_ZN7rocprim17ROCPRIM_400000_NS6detail17trampoline_kernelINS0_14default_configENS1_20scan_config_selectorIjEEZZNS1_9scan_implILNS1_25lookback_scan_determinismE0ELb0ELb0ES3_N6thrust23THRUST_200600_302600_NS6detail15normal_iteratorINS9_10device_ptrIjEEEENS9_16discard_iteratorINS9_11use_defaultEEEjNS9_4plusIvEEjEEDaPvRmT3_T4_T5_mT6_P12ihipStream_tbENKUlT_T0_E_clISt17integral_constantIbLb1EESX_EEDaSS_ST_EUlSS_E_NS1_11comp_targetILNS1_3genE8ELNS1_11target_archE1030ELNS1_3gpuE2ELNS1_3repE0EEENS1_30default_config_static_selectorELNS0_4arch9wavefront6targetE1EEEvT1_,comdat
	.protected	_ZN7rocprim17ROCPRIM_400000_NS6detail17trampoline_kernelINS0_14default_configENS1_20scan_config_selectorIjEEZZNS1_9scan_implILNS1_25lookback_scan_determinismE0ELb0ELb0ES3_N6thrust23THRUST_200600_302600_NS6detail15normal_iteratorINS9_10device_ptrIjEEEENS9_16discard_iteratorINS9_11use_defaultEEEjNS9_4plusIvEEjEEDaPvRmT3_T4_T5_mT6_P12ihipStream_tbENKUlT_T0_E_clISt17integral_constantIbLb1EESX_EEDaSS_ST_EUlSS_E_NS1_11comp_targetILNS1_3genE8ELNS1_11target_archE1030ELNS1_3gpuE2ELNS1_3repE0EEENS1_30default_config_static_selectorELNS0_4arch9wavefront6targetE1EEEvT1_ ; -- Begin function _ZN7rocprim17ROCPRIM_400000_NS6detail17trampoline_kernelINS0_14default_configENS1_20scan_config_selectorIjEEZZNS1_9scan_implILNS1_25lookback_scan_determinismE0ELb0ELb0ES3_N6thrust23THRUST_200600_302600_NS6detail15normal_iteratorINS9_10device_ptrIjEEEENS9_16discard_iteratorINS9_11use_defaultEEEjNS9_4plusIvEEjEEDaPvRmT3_T4_T5_mT6_P12ihipStream_tbENKUlT_T0_E_clISt17integral_constantIbLb1EESX_EEDaSS_ST_EUlSS_E_NS1_11comp_targetILNS1_3genE8ELNS1_11target_archE1030ELNS1_3gpuE2ELNS1_3repE0EEENS1_30default_config_static_selectorELNS0_4arch9wavefront6targetE1EEEvT1_
	.globl	_ZN7rocprim17ROCPRIM_400000_NS6detail17trampoline_kernelINS0_14default_configENS1_20scan_config_selectorIjEEZZNS1_9scan_implILNS1_25lookback_scan_determinismE0ELb0ELb0ES3_N6thrust23THRUST_200600_302600_NS6detail15normal_iteratorINS9_10device_ptrIjEEEENS9_16discard_iteratorINS9_11use_defaultEEEjNS9_4plusIvEEjEEDaPvRmT3_T4_T5_mT6_P12ihipStream_tbENKUlT_T0_E_clISt17integral_constantIbLb1EESX_EEDaSS_ST_EUlSS_E_NS1_11comp_targetILNS1_3genE8ELNS1_11target_archE1030ELNS1_3gpuE2ELNS1_3repE0EEENS1_30default_config_static_selectorELNS0_4arch9wavefront6targetE1EEEvT1_
	.p2align	8
	.type	_ZN7rocprim17ROCPRIM_400000_NS6detail17trampoline_kernelINS0_14default_configENS1_20scan_config_selectorIjEEZZNS1_9scan_implILNS1_25lookback_scan_determinismE0ELb0ELb0ES3_N6thrust23THRUST_200600_302600_NS6detail15normal_iteratorINS9_10device_ptrIjEEEENS9_16discard_iteratorINS9_11use_defaultEEEjNS9_4plusIvEEjEEDaPvRmT3_T4_T5_mT6_P12ihipStream_tbENKUlT_T0_E_clISt17integral_constantIbLb1EESX_EEDaSS_ST_EUlSS_E_NS1_11comp_targetILNS1_3genE8ELNS1_11target_archE1030ELNS1_3gpuE2ELNS1_3repE0EEENS1_30default_config_static_selectorELNS0_4arch9wavefront6targetE1EEEvT1_,@function
_ZN7rocprim17ROCPRIM_400000_NS6detail17trampoline_kernelINS0_14default_configENS1_20scan_config_selectorIjEEZZNS1_9scan_implILNS1_25lookback_scan_determinismE0ELb0ELb0ES3_N6thrust23THRUST_200600_302600_NS6detail15normal_iteratorINS9_10device_ptrIjEEEENS9_16discard_iteratorINS9_11use_defaultEEEjNS9_4plusIvEEjEEDaPvRmT3_T4_T5_mT6_P12ihipStream_tbENKUlT_T0_E_clISt17integral_constantIbLb1EESX_EEDaSS_ST_EUlSS_E_NS1_11comp_targetILNS1_3genE8ELNS1_11target_archE1030ELNS1_3gpuE2ELNS1_3repE0EEENS1_30default_config_static_selectorELNS0_4arch9wavefront6targetE1EEEvT1_: ; @_ZN7rocprim17ROCPRIM_400000_NS6detail17trampoline_kernelINS0_14default_configENS1_20scan_config_selectorIjEEZZNS1_9scan_implILNS1_25lookback_scan_determinismE0ELb0ELb0ES3_N6thrust23THRUST_200600_302600_NS6detail15normal_iteratorINS9_10device_ptrIjEEEENS9_16discard_iteratorINS9_11use_defaultEEEjNS9_4plusIvEEjEEDaPvRmT3_T4_T5_mT6_P12ihipStream_tbENKUlT_T0_E_clISt17integral_constantIbLb1EESX_EEDaSS_ST_EUlSS_E_NS1_11comp_targetILNS1_3genE8ELNS1_11target_archE1030ELNS1_3gpuE2ELNS1_3repE0EEENS1_30default_config_static_selectorELNS0_4arch9wavefront6targetE1EEEvT1_
; %bb.0:
	.section	.rodata,"a",@progbits
	.p2align	6, 0x0
	.amdhsa_kernel _ZN7rocprim17ROCPRIM_400000_NS6detail17trampoline_kernelINS0_14default_configENS1_20scan_config_selectorIjEEZZNS1_9scan_implILNS1_25lookback_scan_determinismE0ELb0ELb0ES3_N6thrust23THRUST_200600_302600_NS6detail15normal_iteratorINS9_10device_ptrIjEEEENS9_16discard_iteratorINS9_11use_defaultEEEjNS9_4plusIvEEjEEDaPvRmT3_T4_T5_mT6_P12ihipStream_tbENKUlT_T0_E_clISt17integral_constantIbLb1EESX_EEDaSS_ST_EUlSS_E_NS1_11comp_targetILNS1_3genE8ELNS1_11target_archE1030ELNS1_3gpuE2ELNS1_3repE0EEENS1_30default_config_static_selectorELNS0_4arch9wavefront6targetE1EEEvT1_
		.amdhsa_group_segment_fixed_size 0
		.amdhsa_private_segment_fixed_size 0
		.amdhsa_kernarg_size 104
		.amdhsa_user_sgpr_count 6
		.amdhsa_user_sgpr_private_segment_buffer 1
		.amdhsa_user_sgpr_dispatch_ptr 0
		.amdhsa_user_sgpr_queue_ptr 0
		.amdhsa_user_sgpr_kernarg_segment_ptr 1
		.amdhsa_user_sgpr_dispatch_id 0
		.amdhsa_user_sgpr_flat_scratch_init 0
		.amdhsa_user_sgpr_kernarg_preload_length 0
		.amdhsa_user_sgpr_kernarg_preload_offset 0
		.amdhsa_user_sgpr_private_segment_size 0
		.amdhsa_uses_dynamic_stack 0
		.amdhsa_system_sgpr_private_segment_wavefront_offset 0
		.amdhsa_system_sgpr_workgroup_id_x 1
		.amdhsa_system_sgpr_workgroup_id_y 0
		.amdhsa_system_sgpr_workgroup_id_z 0
		.amdhsa_system_sgpr_workgroup_info 0
		.amdhsa_system_vgpr_workitem_id 0
		.amdhsa_next_free_vgpr 1
		.amdhsa_next_free_sgpr 0
		.amdhsa_accum_offset 4
		.amdhsa_reserve_vcc 0
		.amdhsa_reserve_flat_scratch 0
		.amdhsa_float_round_mode_32 0
		.amdhsa_float_round_mode_16_64 0
		.amdhsa_float_denorm_mode_32 3
		.amdhsa_float_denorm_mode_16_64 3
		.amdhsa_dx10_clamp 1
		.amdhsa_ieee_mode 1
		.amdhsa_fp16_overflow 0
		.amdhsa_tg_split 0
		.amdhsa_exception_fp_ieee_invalid_op 0
		.amdhsa_exception_fp_denorm_src 0
		.amdhsa_exception_fp_ieee_div_zero 0
		.amdhsa_exception_fp_ieee_overflow 0
		.amdhsa_exception_fp_ieee_underflow 0
		.amdhsa_exception_fp_ieee_inexact 0
		.amdhsa_exception_int_div_zero 0
	.end_amdhsa_kernel
	.section	.text._ZN7rocprim17ROCPRIM_400000_NS6detail17trampoline_kernelINS0_14default_configENS1_20scan_config_selectorIjEEZZNS1_9scan_implILNS1_25lookback_scan_determinismE0ELb0ELb0ES3_N6thrust23THRUST_200600_302600_NS6detail15normal_iteratorINS9_10device_ptrIjEEEENS9_16discard_iteratorINS9_11use_defaultEEEjNS9_4plusIvEEjEEDaPvRmT3_T4_T5_mT6_P12ihipStream_tbENKUlT_T0_E_clISt17integral_constantIbLb1EESX_EEDaSS_ST_EUlSS_E_NS1_11comp_targetILNS1_3genE8ELNS1_11target_archE1030ELNS1_3gpuE2ELNS1_3repE0EEENS1_30default_config_static_selectorELNS0_4arch9wavefront6targetE1EEEvT1_,"axG",@progbits,_ZN7rocprim17ROCPRIM_400000_NS6detail17trampoline_kernelINS0_14default_configENS1_20scan_config_selectorIjEEZZNS1_9scan_implILNS1_25lookback_scan_determinismE0ELb0ELb0ES3_N6thrust23THRUST_200600_302600_NS6detail15normal_iteratorINS9_10device_ptrIjEEEENS9_16discard_iteratorINS9_11use_defaultEEEjNS9_4plusIvEEjEEDaPvRmT3_T4_T5_mT6_P12ihipStream_tbENKUlT_T0_E_clISt17integral_constantIbLb1EESX_EEDaSS_ST_EUlSS_E_NS1_11comp_targetILNS1_3genE8ELNS1_11target_archE1030ELNS1_3gpuE2ELNS1_3repE0EEENS1_30default_config_static_selectorELNS0_4arch9wavefront6targetE1EEEvT1_,comdat
.Lfunc_end5320:
	.size	_ZN7rocprim17ROCPRIM_400000_NS6detail17trampoline_kernelINS0_14default_configENS1_20scan_config_selectorIjEEZZNS1_9scan_implILNS1_25lookback_scan_determinismE0ELb0ELb0ES3_N6thrust23THRUST_200600_302600_NS6detail15normal_iteratorINS9_10device_ptrIjEEEENS9_16discard_iteratorINS9_11use_defaultEEEjNS9_4plusIvEEjEEDaPvRmT3_T4_T5_mT6_P12ihipStream_tbENKUlT_T0_E_clISt17integral_constantIbLb1EESX_EEDaSS_ST_EUlSS_E_NS1_11comp_targetILNS1_3genE8ELNS1_11target_archE1030ELNS1_3gpuE2ELNS1_3repE0EEENS1_30default_config_static_selectorELNS0_4arch9wavefront6targetE1EEEvT1_, .Lfunc_end5320-_ZN7rocprim17ROCPRIM_400000_NS6detail17trampoline_kernelINS0_14default_configENS1_20scan_config_selectorIjEEZZNS1_9scan_implILNS1_25lookback_scan_determinismE0ELb0ELb0ES3_N6thrust23THRUST_200600_302600_NS6detail15normal_iteratorINS9_10device_ptrIjEEEENS9_16discard_iteratorINS9_11use_defaultEEEjNS9_4plusIvEEjEEDaPvRmT3_T4_T5_mT6_P12ihipStream_tbENKUlT_T0_E_clISt17integral_constantIbLb1EESX_EEDaSS_ST_EUlSS_E_NS1_11comp_targetILNS1_3genE8ELNS1_11target_archE1030ELNS1_3gpuE2ELNS1_3repE0EEENS1_30default_config_static_selectorELNS0_4arch9wavefront6targetE1EEEvT1_
                                        ; -- End function
	.section	.AMDGPU.csdata,"",@progbits
; Kernel info:
; codeLenInByte = 0
; NumSgprs: 4
; NumVgprs: 0
; NumAgprs: 0
; TotalNumVgprs: 0
; ScratchSize: 0
; MemoryBound: 0
; FloatMode: 240
; IeeeMode: 1
; LDSByteSize: 0 bytes/workgroup (compile time only)
; SGPRBlocks: 0
; VGPRBlocks: 0
; NumSGPRsForWavesPerEU: 4
; NumVGPRsForWavesPerEU: 1
; AccumOffset: 4
; Occupancy: 8
; WaveLimiterHint : 0
; COMPUTE_PGM_RSRC2:SCRATCH_EN: 0
; COMPUTE_PGM_RSRC2:USER_SGPR: 6
; COMPUTE_PGM_RSRC2:TRAP_HANDLER: 0
; COMPUTE_PGM_RSRC2:TGID_X_EN: 1
; COMPUTE_PGM_RSRC2:TGID_Y_EN: 0
; COMPUTE_PGM_RSRC2:TGID_Z_EN: 0
; COMPUTE_PGM_RSRC2:TIDIG_COMP_CNT: 0
; COMPUTE_PGM_RSRC3_GFX90A:ACCUM_OFFSET: 0
; COMPUTE_PGM_RSRC3_GFX90A:TG_SPLIT: 0
	.section	.text._ZN7rocprim17ROCPRIM_400000_NS6detail17trampoline_kernelINS0_14default_configENS1_20scan_config_selectorIjEEZZNS1_9scan_implILNS1_25lookback_scan_determinismE0ELb0ELb0ES3_N6thrust23THRUST_200600_302600_NS6detail15normal_iteratorINS9_10device_ptrIjEEEENS9_16discard_iteratorINS9_11use_defaultEEEjNS9_4plusIvEEjEEDaPvRmT3_T4_T5_mT6_P12ihipStream_tbENKUlT_T0_E_clISt17integral_constantIbLb1EESX_EEDaSS_ST_EUlSS_E0_NS1_11comp_targetILNS1_3genE0ELNS1_11target_archE4294967295ELNS1_3gpuE0ELNS1_3repE0EEENS1_30default_config_static_selectorELNS0_4arch9wavefront6targetE1EEEvT1_,"axG",@progbits,_ZN7rocprim17ROCPRIM_400000_NS6detail17trampoline_kernelINS0_14default_configENS1_20scan_config_selectorIjEEZZNS1_9scan_implILNS1_25lookback_scan_determinismE0ELb0ELb0ES3_N6thrust23THRUST_200600_302600_NS6detail15normal_iteratorINS9_10device_ptrIjEEEENS9_16discard_iteratorINS9_11use_defaultEEEjNS9_4plusIvEEjEEDaPvRmT3_T4_T5_mT6_P12ihipStream_tbENKUlT_T0_E_clISt17integral_constantIbLb1EESX_EEDaSS_ST_EUlSS_E0_NS1_11comp_targetILNS1_3genE0ELNS1_11target_archE4294967295ELNS1_3gpuE0ELNS1_3repE0EEENS1_30default_config_static_selectorELNS0_4arch9wavefront6targetE1EEEvT1_,comdat
	.protected	_ZN7rocprim17ROCPRIM_400000_NS6detail17trampoline_kernelINS0_14default_configENS1_20scan_config_selectorIjEEZZNS1_9scan_implILNS1_25lookback_scan_determinismE0ELb0ELb0ES3_N6thrust23THRUST_200600_302600_NS6detail15normal_iteratorINS9_10device_ptrIjEEEENS9_16discard_iteratorINS9_11use_defaultEEEjNS9_4plusIvEEjEEDaPvRmT3_T4_T5_mT6_P12ihipStream_tbENKUlT_T0_E_clISt17integral_constantIbLb1EESX_EEDaSS_ST_EUlSS_E0_NS1_11comp_targetILNS1_3genE0ELNS1_11target_archE4294967295ELNS1_3gpuE0ELNS1_3repE0EEENS1_30default_config_static_selectorELNS0_4arch9wavefront6targetE1EEEvT1_ ; -- Begin function _ZN7rocprim17ROCPRIM_400000_NS6detail17trampoline_kernelINS0_14default_configENS1_20scan_config_selectorIjEEZZNS1_9scan_implILNS1_25lookback_scan_determinismE0ELb0ELb0ES3_N6thrust23THRUST_200600_302600_NS6detail15normal_iteratorINS9_10device_ptrIjEEEENS9_16discard_iteratorINS9_11use_defaultEEEjNS9_4plusIvEEjEEDaPvRmT3_T4_T5_mT6_P12ihipStream_tbENKUlT_T0_E_clISt17integral_constantIbLb1EESX_EEDaSS_ST_EUlSS_E0_NS1_11comp_targetILNS1_3genE0ELNS1_11target_archE4294967295ELNS1_3gpuE0ELNS1_3repE0EEENS1_30default_config_static_selectorELNS0_4arch9wavefront6targetE1EEEvT1_
	.globl	_ZN7rocprim17ROCPRIM_400000_NS6detail17trampoline_kernelINS0_14default_configENS1_20scan_config_selectorIjEEZZNS1_9scan_implILNS1_25lookback_scan_determinismE0ELb0ELb0ES3_N6thrust23THRUST_200600_302600_NS6detail15normal_iteratorINS9_10device_ptrIjEEEENS9_16discard_iteratorINS9_11use_defaultEEEjNS9_4plusIvEEjEEDaPvRmT3_T4_T5_mT6_P12ihipStream_tbENKUlT_T0_E_clISt17integral_constantIbLb1EESX_EEDaSS_ST_EUlSS_E0_NS1_11comp_targetILNS1_3genE0ELNS1_11target_archE4294967295ELNS1_3gpuE0ELNS1_3repE0EEENS1_30default_config_static_selectorELNS0_4arch9wavefront6targetE1EEEvT1_
	.p2align	8
	.type	_ZN7rocprim17ROCPRIM_400000_NS6detail17trampoline_kernelINS0_14default_configENS1_20scan_config_selectorIjEEZZNS1_9scan_implILNS1_25lookback_scan_determinismE0ELb0ELb0ES3_N6thrust23THRUST_200600_302600_NS6detail15normal_iteratorINS9_10device_ptrIjEEEENS9_16discard_iteratorINS9_11use_defaultEEEjNS9_4plusIvEEjEEDaPvRmT3_T4_T5_mT6_P12ihipStream_tbENKUlT_T0_E_clISt17integral_constantIbLb1EESX_EEDaSS_ST_EUlSS_E0_NS1_11comp_targetILNS1_3genE0ELNS1_11target_archE4294967295ELNS1_3gpuE0ELNS1_3repE0EEENS1_30default_config_static_selectorELNS0_4arch9wavefront6targetE1EEEvT1_,@function
_ZN7rocprim17ROCPRIM_400000_NS6detail17trampoline_kernelINS0_14default_configENS1_20scan_config_selectorIjEEZZNS1_9scan_implILNS1_25lookback_scan_determinismE0ELb0ELb0ES3_N6thrust23THRUST_200600_302600_NS6detail15normal_iteratorINS9_10device_ptrIjEEEENS9_16discard_iteratorINS9_11use_defaultEEEjNS9_4plusIvEEjEEDaPvRmT3_T4_T5_mT6_P12ihipStream_tbENKUlT_T0_E_clISt17integral_constantIbLb1EESX_EEDaSS_ST_EUlSS_E0_NS1_11comp_targetILNS1_3genE0ELNS1_11target_archE4294967295ELNS1_3gpuE0ELNS1_3repE0EEENS1_30default_config_static_selectorELNS0_4arch9wavefront6targetE1EEEvT1_: ; @_ZN7rocprim17ROCPRIM_400000_NS6detail17trampoline_kernelINS0_14default_configENS1_20scan_config_selectorIjEEZZNS1_9scan_implILNS1_25lookback_scan_determinismE0ELb0ELb0ES3_N6thrust23THRUST_200600_302600_NS6detail15normal_iteratorINS9_10device_ptrIjEEEENS9_16discard_iteratorINS9_11use_defaultEEEjNS9_4plusIvEEjEEDaPvRmT3_T4_T5_mT6_P12ihipStream_tbENKUlT_T0_E_clISt17integral_constantIbLb1EESX_EEDaSS_ST_EUlSS_E0_NS1_11comp_targetILNS1_3genE0ELNS1_11target_archE4294967295ELNS1_3gpuE0ELNS1_3repE0EEENS1_30default_config_static_selectorELNS0_4arch9wavefront6targetE1EEEvT1_
; %bb.0:
	.section	.rodata,"a",@progbits
	.p2align	6, 0x0
	.amdhsa_kernel _ZN7rocprim17ROCPRIM_400000_NS6detail17trampoline_kernelINS0_14default_configENS1_20scan_config_selectorIjEEZZNS1_9scan_implILNS1_25lookback_scan_determinismE0ELb0ELb0ES3_N6thrust23THRUST_200600_302600_NS6detail15normal_iteratorINS9_10device_ptrIjEEEENS9_16discard_iteratorINS9_11use_defaultEEEjNS9_4plusIvEEjEEDaPvRmT3_T4_T5_mT6_P12ihipStream_tbENKUlT_T0_E_clISt17integral_constantIbLb1EESX_EEDaSS_ST_EUlSS_E0_NS1_11comp_targetILNS1_3genE0ELNS1_11target_archE4294967295ELNS1_3gpuE0ELNS1_3repE0EEENS1_30default_config_static_selectorELNS0_4arch9wavefront6targetE1EEEvT1_
		.amdhsa_group_segment_fixed_size 0
		.amdhsa_private_segment_fixed_size 0
		.amdhsa_kernarg_size 40
		.amdhsa_user_sgpr_count 6
		.amdhsa_user_sgpr_private_segment_buffer 1
		.amdhsa_user_sgpr_dispatch_ptr 0
		.amdhsa_user_sgpr_queue_ptr 0
		.amdhsa_user_sgpr_kernarg_segment_ptr 1
		.amdhsa_user_sgpr_dispatch_id 0
		.amdhsa_user_sgpr_flat_scratch_init 0
		.amdhsa_user_sgpr_kernarg_preload_length 0
		.amdhsa_user_sgpr_kernarg_preload_offset 0
		.amdhsa_user_sgpr_private_segment_size 0
		.amdhsa_uses_dynamic_stack 0
		.amdhsa_system_sgpr_private_segment_wavefront_offset 0
		.amdhsa_system_sgpr_workgroup_id_x 1
		.amdhsa_system_sgpr_workgroup_id_y 0
		.amdhsa_system_sgpr_workgroup_id_z 0
		.amdhsa_system_sgpr_workgroup_info 0
		.amdhsa_system_vgpr_workitem_id 0
		.amdhsa_next_free_vgpr 1
		.amdhsa_next_free_sgpr 0
		.amdhsa_accum_offset 4
		.amdhsa_reserve_vcc 0
		.amdhsa_reserve_flat_scratch 0
		.amdhsa_float_round_mode_32 0
		.amdhsa_float_round_mode_16_64 0
		.amdhsa_float_denorm_mode_32 3
		.amdhsa_float_denorm_mode_16_64 3
		.amdhsa_dx10_clamp 1
		.amdhsa_ieee_mode 1
		.amdhsa_fp16_overflow 0
		.amdhsa_tg_split 0
		.amdhsa_exception_fp_ieee_invalid_op 0
		.amdhsa_exception_fp_denorm_src 0
		.amdhsa_exception_fp_ieee_div_zero 0
		.amdhsa_exception_fp_ieee_overflow 0
		.amdhsa_exception_fp_ieee_underflow 0
		.amdhsa_exception_fp_ieee_inexact 0
		.amdhsa_exception_int_div_zero 0
	.end_amdhsa_kernel
	.section	.text._ZN7rocprim17ROCPRIM_400000_NS6detail17trampoline_kernelINS0_14default_configENS1_20scan_config_selectorIjEEZZNS1_9scan_implILNS1_25lookback_scan_determinismE0ELb0ELb0ES3_N6thrust23THRUST_200600_302600_NS6detail15normal_iteratorINS9_10device_ptrIjEEEENS9_16discard_iteratorINS9_11use_defaultEEEjNS9_4plusIvEEjEEDaPvRmT3_T4_T5_mT6_P12ihipStream_tbENKUlT_T0_E_clISt17integral_constantIbLb1EESX_EEDaSS_ST_EUlSS_E0_NS1_11comp_targetILNS1_3genE0ELNS1_11target_archE4294967295ELNS1_3gpuE0ELNS1_3repE0EEENS1_30default_config_static_selectorELNS0_4arch9wavefront6targetE1EEEvT1_,"axG",@progbits,_ZN7rocprim17ROCPRIM_400000_NS6detail17trampoline_kernelINS0_14default_configENS1_20scan_config_selectorIjEEZZNS1_9scan_implILNS1_25lookback_scan_determinismE0ELb0ELb0ES3_N6thrust23THRUST_200600_302600_NS6detail15normal_iteratorINS9_10device_ptrIjEEEENS9_16discard_iteratorINS9_11use_defaultEEEjNS9_4plusIvEEjEEDaPvRmT3_T4_T5_mT6_P12ihipStream_tbENKUlT_T0_E_clISt17integral_constantIbLb1EESX_EEDaSS_ST_EUlSS_E0_NS1_11comp_targetILNS1_3genE0ELNS1_11target_archE4294967295ELNS1_3gpuE0ELNS1_3repE0EEENS1_30default_config_static_selectorELNS0_4arch9wavefront6targetE1EEEvT1_,comdat
.Lfunc_end5321:
	.size	_ZN7rocprim17ROCPRIM_400000_NS6detail17trampoline_kernelINS0_14default_configENS1_20scan_config_selectorIjEEZZNS1_9scan_implILNS1_25lookback_scan_determinismE0ELb0ELb0ES3_N6thrust23THRUST_200600_302600_NS6detail15normal_iteratorINS9_10device_ptrIjEEEENS9_16discard_iteratorINS9_11use_defaultEEEjNS9_4plusIvEEjEEDaPvRmT3_T4_T5_mT6_P12ihipStream_tbENKUlT_T0_E_clISt17integral_constantIbLb1EESX_EEDaSS_ST_EUlSS_E0_NS1_11comp_targetILNS1_3genE0ELNS1_11target_archE4294967295ELNS1_3gpuE0ELNS1_3repE0EEENS1_30default_config_static_selectorELNS0_4arch9wavefront6targetE1EEEvT1_, .Lfunc_end5321-_ZN7rocprim17ROCPRIM_400000_NS6detail17trampoline_kernelINS0_14default_configENS1_20scan_config_selectorIjEEZZNS1_9scan_implILNS1_25lookback_scan_determinismE0ELb0ELb0ES3_N6thrust23THRUST_200600_302600_NS6detail15normal_iteratorINS9_10device_ptrIjEEEENS9_16discard_iteratorINS9_11use_defaultEEEjNS9_4plusIvEEjEEDaPvRmT3_T4_T5_mT6_P12ihipStream_tbENKUlT_T0_E_clISt17integral_constantIbLb1EESX_EEDaSS_ST_EUlSS_E0_NS1_11comp_targetILNS1_3genE0ELNS1_11target_archE4294967295ELNS1_3gpuE0ELNS1_3repE0EEENS1_30default_config_static_selectorELNS0_4arch9wavefront6targetE1EEEvT1_
                                        ; -- End function
	.section	.AMDGPU.csdata,"",@progbits
; Kernel info:
; codeLenInByte = 0
; NumSgprs: 4
; NumVgprs: 0
; NumAgprs: 0
; TotalNumVgprs: 0
; ScratchSize: 0
; MemoryBound: 0
; FloatMode: 240
; IeeeMode: 1
; LDSByteSize: 0 bytes/workgroup (compile time only)
; SGPRBlocks: 0
; VGPRBlocks: 0
; NumSGPRsForWavesPerEU: 4
; NumVGPRsForWavesPerEU: 1
; AccumOffset: 4
; Occupancy: 8
; WaveLimiterHint : 0
; COMPUTE_PGM_RSRC2:SCRATCH_EN: 0
; COMPUTE_PGM_RSRC2:USER_SGPR: 6
; COMPUTE_PGM_RSRC2:TRAP_HANDLER: 0
; COMPUTE_PGM_RSRC2:TGID_X_EN: 1
; COMPUTE_PGM_RSRC2:TGID_Y_EN: 0
; COMPUTE_PGM_RSRC2:TGID_Z_EN: 0
; COMPUTE_PGM_RSRC2:TIDIG_COMP_CNT: 0
; COMPUTE_PGM_RSRC3_GFX90A:ACCUM_OFFSET: 0
; COMPUTE_PGM_RSRC3_GFX90A:TG_SPLIT: 0
	.section	.text._ZN7rocprim17ROCPRIM_400000_NS6detail17trampoline_kernelINS0_14default_configENS1_20scan_config_selectorIjEEZZNS1_9scan_implILNS1_25lookback_scan_determinismE0ELb0ELb0ES3_N6thrust23THRUST_200600_302600_NS6detail15normal_iteratorINS9_10device_ptrIjEEEENS9_16discard_iteratorINS9_11use_defaultEEEjNS9_4plusIvEEjEEDaPvRmT3_T4_T5_mT6_P12ihipStream_tbENKUlT_T0_E_clISt17integral_constantIbLb1EESX_EEDaSS_ST_EUlSS_E0_NS1_11comp_targetILNS1_3genE5ELNS1_11target_archE942ELNS1_3gpuE9ELNS1_3repE0EEENS1_30default_config_static_selectorELNS0_4arch9wavefront6targetE1EEEvT1_,"axG",@progbits,_ZN7rocprim17ROCPRIM_400000_NS6detail17trampoline_kernelINS0_14default_configENS1_20scan_config_selectorIjEEZZNS1_9scan_implILNS1_25lookback_scan_determinismE0ELb0ELb0ES3_N6thrust23THRUST_200600_302600_NS6detail15normal_iteratorINS9_10device_ptrIjEEEENS9_16discard_iteratorINS9_11use_defaultEEEjNS9_4plusIvEEjEEDaPvRmT3_T4_T5_mT6_P12ihipStream_tbENKUlT_T0_E_clISt17integral_constantIbLb1EESX_EEDaSS_ST_EUlSS_E0_NS1_11comp_targetILNS1_3genE5ELNS1_11target_archE942ELNS1_3gpuE9ELNS1_3repE0EEENS1_30default_config_static_selectorELNS0_4arch9wavefront6targetE1EEEvT1_,comdat
	.protected	_ZN7rocprim17ROCPRIM_400000_NS6detail17trampoline_kernelINS0_14default_configENS1_20scan_config_selectorIjEEZZNS1_9scan_implILNS1_25lookback_scan_determinismE0ELb0ELb0ES3_N6thrust23THRUST_200600_302600_NS6detail15normal_iteratorINS9_10device_ptrIjEEEENS9_16discard_iteratorINS9_11use_defaultEEEjNS9_4plusIvEEjEEDaPvRmT3_T4_T5_mT6_P12ihipStream_tbENKUlT_T0_E_clISt17integral_constantIbLb1EESX_EEDaSS_ST_EUlSS_E0_NS1_11comp_targetILNS1_3genE5ELNS1_11target_archE942ELNS1_3gpuE9ELNS1_3repE0EEENS1_30default_config_static_selectorELNS0_4arch9wavefront6targetE1EEEvT1_ ; -- Begin function _ZN7rocprim17ROCPRIM_400000_NS6detail17trampoline_kernelINS0_14default_configENS1_20scan_config_selectorIjEEZZNS1_9scan_implILNS1_25lookback_scan_determinismE0ELb0ELb0ES3_N6thrust23THRUST_200600_302600_NS6detail15normal_iteratorINS9_10device_ptrIjEEEENS9_16discard_iteratorINS9_11use_defaultEEEjNS9_4plusIvEEjEEDaPvRmT3_T4_T5_mT6_P12ihipStream_tbENKUlT_T0_E_clISt17integral_constantIbLb1EESX_EEDaSS_ST_EUlSS_E0_NS1_11comp_targetILNS1_3genE5ELNS1_11target_archE942ELNS1_3gpuE9ELNS1_3repE0EEENS1_30default_config_static_selectorELNS0_4arch9wavefront6targetE1EEEvT1_
	.globl	_ZN7rocprim17ROCPRIM_400000_NS6detail17trampoline_kernelINS0_14default_configENS1_20scan_config_selectorIjEEZZNS1_9scan_implILNS1_25lookback_scan_determinismE0ELb0ELb0ES3_N6thrust23THRUST_200600_302600_NS6detail15normal_iteratorINS9_10device_ptrIjEEEENS9_16discard_iteratorINS9_11use_defaultEEEjNS9_4plusIvEEjEEDaPvRmT3_T4_T5_mT6_P12ihipStream_tbENKUlT_T0_E_clISt17integral_constantIbLb1EESX_EEDaSS_ST_EUlSS_E0_NS1_11comp_targetILNS1_3genE5ELNS1_11target_archE942ELNS1_3gpuE9ELNS1_3repE0EEENS1_30default_config_static_selectorELNS0_4arch9wavefront6targetE1EEEvT1_
	.p2align	8
	.type	_ZN7rocprim17ROCPRIM_400000_NS6detail17trampoline_kernelINS0_14default_configENS1_20scan_config_selectorIjEEZZNS1_9scan_implILNS1_25lookback_scan_determinismE0ELb0ELb0ES3_N6thrust23THRUST_200600_302600_NS6detail15normal_iteratorINS9_10device_ptrIjEEEENS9_16discard_iteratorINS9_11use_defaultEEEjNS9_4plusIvEEjEEDaPvRmT3_T4_T5_mT6_P12ihipStream_tbENKUlT_T0_E_clISt17integral_constantIbLb1EESX_EEDaSS_ST_EUlSS_E0_NS1_11comp_targetILNS1_3genE5ELNS1_11target_archE942ELNS1_3gpuE9ELNS1_3repE0EEENS1_30default_config_static_selectorELNS0_4arch9wavefront6targetE1EEEvT1_,@function
_ZN7rocprim17ROCPRIM_400000_NS6detail17trampoline_kernelINS0_14default_configENS1_20scan_config_selectorIjEEZZNS1_9scan_implILNS1_25lookback_scan_determinismE0ELb0ELb0ES3_N6thrust23THRUST_200600_302600_NS6detail15normal_iteratorINS9_10device_ptrIjEEEENS9_16discard_iteratorINS9_11use_defaultEEEjNS9_4plusIvEEjEEDaPvRmT3_T4_T5_mT6_P12ihipStream_tbENKUlT_T0_E_clISt17integral_constantIbLb1EESX_EEDaSS_ST_EUlSS_E0_NS1_11comp_targetILNS1_3genE5ELNS1_11target_archE942ELNS1_3gpuE9ELNS1_3repE0EEENS1_30default_config_static_selectorELNS0_4arch9wavefront6targetE1EEEvT1_: ; @_ZN7rocprim17ROCPRIM_400000_NS6detail17trampoline_kernelINS0_14default_configENS1_20scan_config_selectorIjEEZZNS1_9scan_implILNS1_25lookback_scan_determinismE0ELb0ELb0ES3_N6thrust23THRUST_200600_302600_NS6detail15normal_iteratorINS9_10device_ptrIjEEEENS9_16discard_iteratorINS9_11use_defaultEEEjNS9_4plusIvEEjEEDaPvRmT3_T4_T5_mT6_P12ihipStream_tbENKUlT_T0_E_clISt17integral_constantIbLb1EESX_EEDaSS_ST_EUlSS_E0_NS1_11comp_targetILNS1_3genE5ELNS1_11target_archE942ELNS1_3gpuE9ELNS1_3repE0EEENS1_30default_config_static_selectorELNS0_4arch9wavefront6targetE1EEEvT1_
; %bb.0:
	.section	.rodata,"a",@progbits
	.p2align	6, 0x0
	.amdhsa_kernel _ZN7rocprim17ROCPRIM_400000_NS6detail17trampoline_kernelINS0_14default_configENS1_20scan_config_selectorIjEEZZNS1_9scan_implILNS1_25lookback_scan_determinismE0ELb0ELb0ES3_N6thrust23THRUST_200600_302600_NS6detail15normal_iteratorINS9_10device_ptrIjEEEENS9_16discard_iteratorINS9_11use_defaultEEEjNS9_4plusIvEEjEEDaPvRmT3_T4_T5_mT6_P12ihipStream_tbENKUlT_T0_E_clISt17integral_constantIbLb1EESX_EEDaSS_ST_EUlSS_E0_NS1_11comp_targetILNS1_3genE5ELNS1_11target_archE942ELNS1_3gpuE9ELNS1_3repE0EEENS1_30default_config_static_selectorELNS0_4arch9wavefront6targetE1EEEvT1_
		.amdhsa_group_segment_fixed_size 0
		.amdhsa_private_segment_fixed_size 0
		.amdhsa_kernarg_size 40
		.amdhsa_user_sgpr_count 6
		.amdhsa_user_sgpr_private_segment_buffer 1
		.amdhsa_user_sgpr_dispatch_ptr 0
		.amdhsa_user_sgpr_queue_ptr 0
		.amdhsa_user_sgpr_kernarg_segment_ptr 1
		.amdhsa_user_sgpr_dispatch_id 0
		.amdhsa_user_sgpr_flat_scratch_init 0
		.amdhsa_user_sgpr_kernarg_preload_length 0
		.amdhsa_user_sgpr_kernarg_preload_offset 0
		.amdhsa_user_sgpr_private_segment_size 0
		.amdhsa_uses_dynamic_stack 0
		.amdhsa_system_sgpr_private_segment_wavefront_offset 0
		.amdhsa_system_sgpr_workgroup_id_x 1
		.amdhsa_system_sgpr_workgroup_id_y 0
		.amdhsa_system_sgpr_workgroup_id_z 0
		.amdhsa_system_sgpr_workgroup_info 0
		.amdhsa_system_vgpr_workitem_id 0
		.amdhsa_next_free_vgpr 1
		.amdhsa_next_free_sgpr 0
		.amdhsa_accum_offset 4
		.amdhsa_reserve_vcc 0
		.amdhsa_reserve_flat_scratch 0
		.amdhsa_float_round_mode_32 0
		.amdhsa_float_round_mode_16_64 0
		.amdhsa_float_denorm_mode_32 3
		.amdhsa_float_denorm_mode_16_64 3
		.amdhsa_dx10_clamp 1
		.amdhsa_ieee_mode 1
		.amdhsa_fp16_overflow 0
		.amdhsa_tg_split 0
		.amdhsa_exception_fp_ieee_invalid_op 0
		.amdhsa_exception_fp_denorm_src 0
		.amdhsa_exception_fp_ieee_div_zero 0
		.amdhsa_exception_fp_ieee_overflow 0
		.amdhsa_exception_fp_ieee_underflow 0
		.amdhsa_exception_fp_ieee_inexact 0
		.amdhsa_exception_int_div_zero 0
	.end_amdhsa_kernel
	.section	.text._ZN7rocprim17ROCPRIM_400000_NS6detail17trampoline_kernelINS0_14default_configENS1_20scan_config_selectorIjEEZZNS1_9scan_implILNS1_25lookback_scan_determinismE0ELb0ELb0ES3_N6thrust23THRUST_200600_302600_NS6detail15normal_iteratorINS9_10device_ptrIjEEEENS9_16discard_iteratorINS9_11use_defaultEEEjNS9_4plusIvEEjEEDaPvRmT3_T4_T5_mT6_P12ihipStream_tbENKUlT_T0_E_clISt17integral_constantIbLb1EESX_EEDaSS_ST_EUlSS_E0_NS1_11comp_targetILNS1_3genE5ELNS1_11target_archE942ELNS1_3gpuE9ELNS1_3repE0EEENS1_30default_config_static_selectorELNS0_4arch9wavefront6targetE1EEEvT1_,"axG",@progbits,_ZN7rocprim17ROCPRIM_400000_NS6detail17trampoline_kernelINS0_14default_configENS1_20scan_config_selectorIjEEZZNS1_9scan_implILNS1_25lookback_scan_determinismE0ELb0ELb0ES3_N6thrust23THRUST_200600_302600_NS6detail15normal_iteratorINS9_10device_ptrIjEEEENS9_16discard_iteratorINS9_11use_defaultEEEjNS9_4plusIvEEjEEDaPvRmT3_T4_T5_mT6_P12ihipStream_tbENKUlT_T0_E_clISt17integral_constantIbLb1EESX_EEDaSS_ST_EUlSS_E0_NS1_11comp_targetILNS1_3genE5ELNS1_11target_archE942ELNS1_3gpuE9ELNS1_3repE0EEENS1_30default_config_static_selectorELNS0_4arch9wavefront6targetE1EEEvT1_,comdat
.Lfunc_end5322:
	.size	_ZN7rocprim17ROCPRIM_400000_NS6detail17trampoline_kernelINS0_14default_configENS1_20scan_config_selectorIjEEZZNS1_9scan_implILNS1_25lookback_scan_determinismE0ELb0ELb0ES3_N6thrust23THRUST_200600_302600_NS6detail15normal_iteratorINS9_10device_ptrIjEEEENS9_16discard_iteratorINS9_11use_defaultEEEjNS9_4plusIvEEjEEDaPvRmT3_T4_T5_mT6_P12ihipStream_tbENKUlT_T0_E_clISt17integral_constantIbLb1EESX_EEDaSS_ST_EUlSS_E0_NS1_11comp_targetILNS1_3genE5ELNS1_11target_archE942ELNS1_3gpuE9ELNS1_3repE0EEENS1_30default_config_static_selectorELNS0_4arch9wavefront6targetE1EEEvT1_, .Lfunc_end5322-_ZN7rocprim17ROCPRIM_400000_NS6detail17trampoline_kernelINS0_14default_configENS1_20scan_config_selectorIjEEZZNS1_9scan_implILNS1_25lookback_scan_determinismE0ELb0ELb0ES3_N6thrust23THRUST_200600_302600_NS6detail15normal_iteratorINS9_10device_ptrIjEEEENS9_16discard_iteratorINS9_11use_defaultEEEjNS9_4plusIvEEjEEDaPvRmT3_T4_T5_mT6_P12ihipStream_tbENKUlT_T0_E_clISt17integral_constantIbLb1EESX_EEDaSS_ST_EUlSS_E0_NS1_11comp_targetILNS1_3genE5ELNS1_11target_archE942ELNS1_3gpuE9ELNS1_3repE0EEENS1_30default_config_static_selectorELNS0_4arch9wavefront6targetE1EEEvT1_
                                        ; -- End function
	.section	.AMDGPU.csdata,"",@progbits
; Kernel info:
; codeLenInByte = 0
; NumSgprs: 4
; NumVgprs: 0
; NumAgprs: 0
; TotalNumVgprs: 0
; ScratchSize: 0
; MemoryBound: 0
; FloatMode: 240
; IeeeMode: 1
; LDSByteSize: 0 bytes/workgroup (compile time only)
; SGPRBlocks: 0
; VGPRBlocks: 0
; NumSGPRsForWavesPerEU: 4
; NumVGPRsForWavesPerEU: 1
; AccumOffset: 4
; Occupancy: 8
; WaveLimiterHint : 0
; COMPUTE_PGM_RSRC2:SCRATCH_EN: 0
; COMPUTE_PGM_RSRC2:USER_SGPR: 6
; COMPUTE_PGM_RSRC2:TRAP_HANDLER: 0
; COMPUTE_PGM_RSRC2:TGID_X_EN: 1
; COMPUTE_PGM_RSRC2:TGID_Y_EN: 0
; COMPUTE_PGM_RSRC2:TGID_Z_EN: 0
; COMPUTE_PGM_RSRC2:TIDIG_COMP_CNT: 0
; COMPUTE_PGM_RSRC3_GFX90A:ACCUM_OFFSET: 0
; COMPUTE_PGM_RSRC3_GFX90A:TG_SPLIT: 0
	.section	.text._ZN7rocprim17ROCPRIM_400000_NS6detail17trampoline_kernelINS0_14default_configENS1_20scan_config_selectorIjEEZZNS1_9scan_implILNS1_25lookback_scan_determinismE0ELb0ELb0ES3_N6thrust23THRUST_200600_302600_NS6detail15normal_iteratorINS9_10device_ptrIjEEEENS9_16discard_iteratorINS9_11use_defaultEEEjNS9_4plusIvEEjEEDaPvRmT3_T4_T5_mT6_P12ihipStream_tbENKUlT_T0_E_clISt17integral_constantIbLb1EESX_EEDaSS_ST_EUlSS_E0_NS1_11comp_targetILNS1_3genE4ELNS1_11target_archE910ELNS1_3gpuE8ELNS1_3repE0EEENS1_30default_config_static_selectorELNS0_4arch9wavefront6targetE1EEEvT1_,"axG",@progbits,_ZN7rocprim17ROCPRIM_400000_NS6detail17trampoline_kernelINS0_14default_configENS1_20scan_config_selectorIjEEZZNS1_9scan_implILNS1_25lookback_scan_determinismE0ELb0ELb0ES3_N6thrust23THRUST_200600_302600_NS6detail15normal_iteratorINS9_10device_ptrIjEEEENS9_16discard_iteratorINS9_11use_defaultEEEjNS9_4plusIvEEjEEDaPvRmT3_T4_T5_mT6_P12ihipStream_tbENKUlT_T0_E_clISt17integral_constantIbLb1EESX_EEDaSS_ST_EUlSS_E0_NS1_11comp_targetILNS1_3genE4ELNS1_11target_archE910ELNS1_3gpuE8ELNS1_3repE0EEENS1_30default_config_static_selectorELNS0_4arch9wavefront6targetE1EEEvT1_,comdat
	.protected	_ZN7rocprim17ROCPRIM_400000_NS6detail17trampoline_kernelINS0_14default_configENS1_20scan_config_selectorIjEEZZNS1_9scan_implILNS1_25lookback_scan_determinismE0ELb0ELb0ES3_N6thrust23THRUST_200600_302600_NS6detail15normal_iteratorINS9_10device_ptrIjEEEENS9_16discard_iteratorINS9_11use_defaultEEEjNS9_4plusIvEEjEEDaPvRmT3_T4_T5_mT6_P12ihipStream_tbENKUlT_T0_E_clISt17integral_constantIbLb1EESX_EEDaSS_ST_EUlSS_E0_NS1_11comp_targetILNS1_3genE4ELNS1_11target_archE910ELNS1_3gpuE8ELNS1_3repE0EEENS1_30default_config_static_selectorELNS0_4arch9wavefront6targetE1EEEvT1_ ; -- Begin function _ZN7rocprim17ROCPRIM_400000_NS6detail17trampoline_kernelINS0_14default_configENS1_20scan_config_selectorIjEEZZNS1_9scan_implILNS1_25lookback_scan_determinismE0ELb0ELb0ES3_N6thrust23THRUST_200600_302600_NS6detail15normal_iteratorINS9_10device_ptrIjEEEENS9_16discard_iteratorINS9_11use_defaultEEEjNS9_4plusIvEEjEEDaPvRmT3_T4_T5_mT6_P12ihipStream_tbENKUlT_T0_E_clISt17integral_constantIbLb1EESX_EEDaSS_ST_EUlSS_E0_NS1_11comp_targetILNS1_3genE4ELNS1_11target_archE910ELNS1_3gpuE8ELNS1_3repE0EEENS1_30default_config_static_selectorELNS0_4arch9wavefront6targetE1EEEvT1_
	.globl	_ZN7rocprim17ROCPRIM_400000_NS6detail17trampoline_kernelINS0_14default_configENS1_20scan_config_selectorIjEEZZNS1_9scan_implILNS1_25lookback_scan_determinismE0ELb0ELb0ES3_N6thrust23THRUST_200600_302600_NS6detail15normal_iteratorINS9_10device_ptrIjEEEENS9_16discard_iteratorINS9_11use_defaultEEEjNS9_4plusIvEEjEEDaPvRmT3_T4_T5_mT6_P12ihipStream_tbENKUlT_T0_E_clISt17integral_constantIbLb1EESX_EEDaSS_ST_EUlSS_E0_NS1_11comp_targetILNS1_3genE4ELNS1_11target_archE910ELNS1_3gpuE8ELNS1_3repE0EEENS1_30default_config_static_selectorELNS0_4arch9wavefront6targetE1EEEvT1_
	.p2align	8
	.type	_ZN7rocprim17ROCPRIM_400000_NS6detail17trampoline_kernelINS0_14default_configENS1_20scan_config_selectorIjEEZZNS1_9scan_implILNS1_25lookback_scan_determinismE0ELb0ELb0ES3_N6thrust23THRUST_200600_302600_NS6detail15normal_iteratorINS9_10device_ptrIjEEEENS9_16discard_iteratorINS9_11use_defaultEEEjNS9_4plusIvEEjEEDaPvRmT3_T4_T5_mT6_P12ihipStream_tbENKUlT_T0_E_clISt17integral_constantIbLb1EESX_EEDaSS_ST_EUlSS_E0_NS1_11comp_targetILNS1_3genE4ELNS1_11target_archE910ELNS1_3gpuE8ELNS1_3repE0EEENS1_30default_config_static_selectorELNS0_4arch9wavefront6targetE1EEEvT1_,@function
_ZN7rocprim17ROCPRIM_400000_NS6detail17trampoline_kernelINS0_14default_configENS1_20scan_config_selectorIjEEZZNS1_9scan_implILNS1_25lookback_scan_determinismE0ELb0ELb0ES3_N6thrust23THRUST_200600_302600_NS6detail15normal_iteratorINS9_10device_ptrIjEEEENS9_16discard_iteratorINS9_11use_defaultEEEjNS9_4plusIvEEjEEDaPvRmT3_T4_T5_mT6_P12ihipStream_tbENKUlT_T0_E_clISt17integral_constantIbLb1EESX_EEDaSS_ST_EUlSS_E0_NS1_11comp_targetILNS1_3genE4ELNS1_11target_archE910ELNS1_3gpuE8ELNS1_3repE0EEENS1_30default_config_static_selectorELNS0_4arch9wavefront6targetE1EEEvT1_: ; @_ZN7rocprim17ROCPRIM_400000_NS6detail17trampoline_kernelINS0_14default_configENS1_20scan_config_selectorIjEEZZNS1_9scan_implILNS1_25lookback_scan_determinismE0ELb0ELb0ES3_N6thrust23THRUST_200600_302600_NS6detail15normal_iteratorINS9_10device_ptrIjEEEENS9_16discard_iteratorINS9_11use_defaultEEEjNS9_4plusIvEEjEEDaPvRmT3_T4_T5_mT6_P12ihipStream_tbENKUlT_T0_E_clISt17integral_constantIbLb1EESX_EEDaSS_ST_EUlSS_E0_NS1_11comp_targetILNS1_3genE4ELNS1_11target_archE910ELNS1_3gpuE8ELNS1_3repE0EEENS1_30default_config_static_selectorELNS0_4arch9wavefront6targetE1EEEvT1_
; %bb.0:
	s_load_dwordx4 s[0:3], s[4:5], 0x0
	v_lshlrev_b32_e32 v20, 2, v0
	s_waitcnt lgkmcnt(0)
	s_load_dword s3, s[0:1], 0x0
	v_cmp_gt_u32_e32 vcc, s2, v0
	s_waitcnt lgkmcnt(0)
	v_mov_b32_e32 v1, s3
	s_and_saveexec_b64 s[4:5], vcc
	s_cbranch_execz .LBB5323_2
; %bb.1:
	global_load_dword v1, v20, s[0:1]
.LBB5323_2:
	s_or_b64 exec, exec, s[4:5]
	v_or_b32_e32 v2, 0x80, v0
	v_cmp_gt_u32_e32 vcc, s2, v2
	v_mov_b32_e32 v2, s3
	s_and_saveexec_b64 s[4:5], vcc
	s_cbranch_execz .LBB5323_4
; %bb.3:
	global_load_dword v2, v20, s[0:1] offset:512
.LBB5323_4:
	s_or_b64 exec, exec, s[4:5]
	v_or_b32_e32 v3, 0x100, v0
	v_cmp_gt_u32_e32 vcc, s2, v3
	v_mov_b32_e32 v3, s3
	s_and_saveexec_b64 s[4:5], vcc
	s_cbranch_execz .LBB5323_6
; %bb.5:
	global_load_dword v3, v20, s[0:1] offset:1024
.LBB5323_6:
	;; [unrolled: 9-line block ×7, first 2 shown]
	s_or_b64 exec, exec, s[4:5]
	v_or_b32_e32 v10, 0x400, v0
	v_cmp_gt_u32_e32 vcc, s2, v10
	v_mov_b32_e32 v9, s3
	s_and_saveexec_b64 s[4:5], vcc
	s_cbranch_execz .LBB5323_18
; %bb.17:
	v_lshlrev_b32_e32 v9, 2, v10
	global_load_dword v9, v9, s[0:1]
.LBB5323_18:
	s_or_b64 exec, exec, s[4:5]
	v_or_b32_e32 v11, 0x480, v0
	v_cmp_gt_u32_e32 vcc, s2, v11
	v_mov_b32_e32 v10, s3
	s_and_saveexec_b64 s[2:3], vcc
	s_cbranch_execz .LBB5323_20
; %bb.19:
	v_lshlrev_b32_e32 v10, 2, v11
	global_load_dword v10, v10, s[0:1]
.LBB5323_20:
	s_or_b64 exec, exec, s[2:3]
	s_waitcnt vmcnt(0)
	ds_write2st64_b32 v20, v1, v2 offset1:2
	ds_write2st64_b32 v20, v3, v4 offset0:4 offset1:6
	ds_write2st64_b32 v20, v5, v6 offset0:8 offset1:10
	;; [unrolled: 1-line block ×4, first 2 shown]
	v_mad_u32_u24 v1, v0, 36, v20
	s_waitcnt lgkmcnt(0)
	s_barrier
	ds_read2_b64 v[6:9], v1 offset1:1
	ds_read2_b64 v[2:5], v1 offset0:2 offset1:3
	ds_read_b64 v[18:19], v1 offset:32
	v_lshrrev_b32_e32 v21, 3, v0
	v_and_b32_e32 v21, 12, v21
	s_waitcnt lgkmcnt(2)
	v_add_u32_e32 v1, v7, v6
	v_add_u32_e32 v14, v1, v8
	;; [unrolled: 1-line block ×3, first 2 shown]
	s_waitcnt lgkmcnt(1)
	v_add_u32_e32 v10, v15, v2
	v_add_u32_e32 v11, v10, v3
	v_add_u32_e32 v12, v11, v4
	v_add_u32_e32 v13, v12, v5
	s_waitcnt lgkmcnt(0)
	v_add_u32_e32 v16, v13, v18
	v_add_u32_e32 v17, v16, v19
	;; [unrolled: 1-line block ×3, first 2 shown]
	v_cmp_gt_u32_e32 vcc, 64, v0
	s_barrier
	ds_write_b32 v21, v17
	s_waitcnt lgkmcnt(0)
	s_barrier
	s_and_saveexec_b64 s[0:1], vcc
	s_cbranch_execz .LBB5323_22
; %bb.21:
	v_lshlrev_b32_e32 v21, 1, v0
	v_lshrrev_b32_e32 v22, 4, v0
	v_add_lshl_u32 v21, v22, v21, 2
	ds_read2_b32 v[22:23], v21 offset1:1
	v_mbcnt_lo_u32_b32 v24, -1, 0
	v_mbcnt_hi_u32_b32 v24, -1, v24
	v_and_b32_e32 v25, 15, v24
	v_cmp_ne_u32_e32 vcc, 0, v25
	s_waitcnt lgkmcnt(0)
	v_add_u32_e32 v23, v23, v22
	; wave barrier
	s_nop 1
	v_mov_b32_dpp v26, v23 row_shr:1 row_mask:0xf bank_mask:0xf
	v_cndmask_b32_e32 v26, 0, v26, vcc
	v_add_u32_e32 v23, v26, v23
	v_cmp_lt_u32_e32 vcc, 1, v25
	s_nop 0
	v_mov_b32_dpp v26, v23 row_shr:2 row_mask:0xf bank_mask:0xf
	v_cndmask_b32_e32 v26, 0, v26, vcc
	v_add_u32_e32 v23, v23, v26
	v_cmp_lt_u32_e32 vcc, 3, v25
	;; [unrolled: 5-line block ×3, first 2 shown]
	s_nop 0
	v_mov_b32_dpp v26, v23 row_shr:8 row_mask:0xf bank_mask:0xf
	v_cndmask_b32_e32 v25, 0, v26, vcc
	v_add_u32_e32 v23, v23, v25
	v_bfe_i32 v26, v24, 4, 1
	v_cmp_lt_u32_e32 vcc, 31, v24
	v_mov_b32_dpp v25, v23 row_bcast:15 row_mask:0xf bank_mask:0xf
	v_and_b32_e32 v25, v26, v25
	v_add_u32_e32 v23, v23, v25
	v_and_b32_e32 v26, 64, v24
	s_nop 0
	v_mov_b32_dpp v25, v23 row_bcast:31 row_mask:0xf bank_mask:0xf
	v_cndmask_b32_e32 v25, 0, v25, vcc
	v_add_u32_e32 v23, v23, v25
	v_add_u32_e32 v25, -1, v24
	v_cmp_lt_i32_e32 vcc, v25, v26
	v_cndmask_b32_e32 v24, v25, v24, vcc
	v_lshlrev_b32_e32 v24, 2, v24
	ds_bpermute_b32 v23, v24, v23
	v_cmp_eq_u32_e32 vcc, 0, v0
	s_waitcnt lgkmcnt(0)
	v_add_u32_e32 v22, v23, v22
	v_cndmask_b32_e32 v22, v22, v17, vcc
	ds_write_b32 v21, v22
	; wave barrier
	ds_read_b32 v23, v21 offset:4
	s_waitcnt lgkmcnt(0)
	v_add_u32_e32 v22, v23, v22
	ds_write_b32 v21, v22 offset:4
.LBB5323_22:
	s_or_b64 exec, exec, s[0:1]
	v_cmp_ne_u32_e32 vcc, 0, v0
	v_mov_b32_e32 v22, v17
	s_waitcnt lgkmcnt(0)
	s_barrier
	s_and_saveexec_b64 s[0:1], vcc
	s_cbranch_execz .LBB5323_24
; %bb.23:
	v_add_u32_e32 v21, -1, v0
	v_lshrrev_b32_e32 v22, 5, v21
	v_add_lshl_u32 v21, v22, v21, 2
	ds_read_b32 v22, v21
.LBB5323_24:
	s_or_b64 exec, exec, s[0:1]
	v_mul_u32_u24_e32 v21, 36, v0
	v_mov_b32_e32 v0, v6
	s_and_saveexec_b64 s[0:1], vcc
	s_cbranch_execz .LBB5323_26
; %bb.25:
	s_waitcnt lgkmcnt(0)
	v_add_u32_e32 v0, v22, v6
	v_add_u32_e32 v1, v0, v7
	v_add_u32_e32 v14, v1, v8
	v_add_u32_e32 v15, v14, v9
	v_add_u32_e32 v10, v15, v2
	v_add_u32_e32 v11, v10, v3
	v_add_u32_e32 v12, v11, v4
	v_add_u32_e32 v13, v12, v5
	v_add_u32_e32 v16, v13, v18
	v_add_u32_e32 v17, v16, v19
	;;#ASMSTART
	;;#ASMEND
.LBB5323_26:
	s_or_b64 exec, exec, s[0:1]
	v_add_u32_e32 v2, v20, v21
	s_waitcnt lgkmcnt(0)
	s_barrier
	ds_write2_b64 v2, v[0:1], v[14:15] offset1:1
	ds_write2_b64 v2, v[10:11], v[12:13] offset0:2 offset1:3
	ds_write_b64 v2, v[16:17] offset:32
	s_waitcnt lgkmcnt(0)
	s_barrier
	s_endpgm
	.section	.rodata,"a",@progbits
	.p2align	6, 0x0
	.amdhsa_kernel _ZN7rocprim17ROCPRIM_400000_NS6detail17trampoline_kernelINS0_14default_configENS1_20scan_config_selectorIjEEZZNS1_9scan_implILNS1_25lookback_scan_determinismE0ELb0ELb0ES3_N6thrust23THRUST_200600_302600_NS6detail15normal_iteratorINS9_10device_ptrIjEEEENS9_16discard_iteratorINS9_11use_defaultEEEjNS9_4plusIvEEjEEDaPvRmT3_T4_T5_mT6_P12ihipStream_tbENKUlT_T0_E_clISt17integral_constantIbLb1EESX_EEDaSS_ST_EUlSS_E0_NS1_11comp_targetILNS1_3genE4ELNS1_11target_archE910ELNS1_3gpuE8ELNS1_3repE0EEENS1_30default_config_static_selectorELNS0_4arch9wavefront6targetE1EEEvT1_
		.amdhsa_group_segment_fixed_size 5120
		.amdhsa_private_segment_fixed_size 0
		.amdhsa_kernarg_size 40
		.amdhsa_user_sgpr_count 6
		.amdhsa_user_sgpr_private_segment_buffer 1
		.amdhsa_user_sgpr_dispatch_ptr 0
		.amdhsa_user_sgpr_queue_ptr 0
		.amdhsa_user_sgpr_kernarg_segment_ptr 1
		.amdhsa_user_sgpr_dispatch_id 0
		.amdhsa_user_sgpr_flat_scratch_init 0
		.amdhsa_user_sgpr_kernarg_preload_length 0
		.amdhsa_user_sgpr_kernarg_preload_offset 0
		.amdhsa_user_sgpr_private_segment_size 0
		.amdhsa_uses_dynamic_stack 0
		.amdhsa_system_sgpr_private_segment_wavefront_offset 0
		.amdhsa_system_sgpr_workgroup_id_x 1
		.amdhsa_system_sgpr_workgroup_id_y 0
		.amdhsa_system_sgpr_workgroup_id_z 0
		.amdhsa_system_sgpr_workgroup_info 0
		.amdhsa_system_vgpr_workitem_id 0
		.amdhsa_next_free_vgpr 27
		.amdhsa_next_free_sgpr 6
		.amdhsa_accum_offset 28
		.amdhsa_reserve_vcc 1
		.amdhsa_reserve_flat_scratch 0
		.amdhsa_float_round_mode_32 0
		.amdhsa_float_round_mode_16_64 0
		.amdhsa_float_denorm_mode_32 3
		.amdhsa_float_denorm_mode_16_64 3
		.amdhsa_dx10_clamp 1
		.amdhsa_ieee_mode 1
		.amdhsa_fp16_overflow 0
		.amdhsa_tg_split 0
		.amdhsa_exception_fp_ieee_invalid_op 0
		.amdhsa_exception_fp_denorm_src 0
		.amdhsa_exception_fp_ieee_div_zero 0
		.amdhsa_exception_fp_ieee_overflow 0
		.amdhsa_exception_fp_ieee_underflow 0
		.amdhsa_exception_fp_ieee_inexact 0
		.amdhsa_exception_int_div_zero 0
	.end_amdhsa_kernel
	.section	.text._ZN7rocprim17ROCPRIM_400000_NS6detail17trampoline_kernelINS0_14default_configENS1_20scan_config_selectorIjEEZZNS1_9scan_implILNS1_25lookback_scan_determinismE0ELb0ELb0ES3_N6thrust23THRUST_200600_302600_NS6detail15normal_iteratorINS9_10device_ptrIjEEEENS9_16discard_iteratorINS9_11use_defaultEEEjNS9_4plusIvEEjEEDaPvRmT3_T4_T5_mT6_P12ihipStream_tbENKUlT_T0_E_clISt17integral_constantIbLb1EESX_EEDaSS_ST_EUlSS_E0_NS1_11comp_targetILNS1_3genE4ELNS1_11target_archE910ELNS1_3gpuE8ELNS1_3repE0EEENS1_30default_config_static_selectorELNS0_4arch9wavefront6targetE1EEEvT1_,"axG",@progbits,_ZN7rocprim17ROCPRIM_400000_NS6detail17trampoline_kernelINS0_14default_configENS1_20scan_config_selectorIjEEZZNS1_9scan_implILNS1_25lookback_scan_determinismE0ELb0ELb0ES3_N6thrust23THRUST_200600_302600_NS6detail15normal_iteratorINS9_10device_ptrIjEEEENS9_16discard_iteratorINS9_11use_defaultEEEjNS9_4plusIvEEjEEDaPvRmT3_T4_T5_mT6_P12ihipStream_tbENKUlT_T0_E_clISt17integral_constantIbLb1EESX_EEDaSS_ST_EUlSS_E0_NS1_11comp_targetILNS1_3genE4ELNS1_11target_archE910ELNS1_3gpuE8ELNS1_3repE0EEENS1_30default_config_static_selectorELNS0_4arch9wavefront6targetE1EEEvT1_,comdat
.Lfunc_end5323:
	.size	_ZN7rocprim17ROCPRIM_400000_NS6detail17trampoline_kernelINS0_14default_configENS1_20scan_config_selectorIjEEZZNS1_9scan_implILNS1_25lookback_scan_determinismE0ELb0ELb0ES3_N6thrust23THRUST_200600_302600_NS6detail15normal_iteratorINS9_10device_ptrIjEEEENS9_16discard_iteratorINS9_11use_defaultEEEjNS9_4plusIvEEjEEDaPvRmT3_T4_T5_mT6_P12ihipStream_tbENKUlT_T0_E_clISt17integral_constantIbLb1EESX_EEDaSS_ST_EUlSS_E0_NS1_11comp_targetILNS1_3genE4ELNS1_11target_archE910ELNS1_3gpuE8ELNS1_3repE0EEENS1_30default_config_static_selectorELNS0_4arch9wavefront6targetE1EEEvT1_, .Lfunc_end5323-_ZN7rocprim17ROCPRIM_400000_NS6detail17trampoline_kernelINS0_14default_configENS1_20scan_config_selectorIjEEZZNS1_9scan_implILNS1_25lookback_scan_determinismE0ELb0ELb0ES3_N6thrust23THRUST_200600_302600_NS6detail15normal_iteratorINS9_10device_ptrIjEEEENS9_16discard_iteratorINS9_11use_defaultEEEjNS9_4plusIvEEjEEDaPvRmT3_T4_T5_mT6_P12ihipStream_tbENKUlT_T0_E_clISt17integral_constantIbLb1EESX_EEDaSS_ST_EUlSS_E0_NS1_11comp_targetILNS1_3genE4ELNS1_11target_archE910ELNS1_3gpuE8ELNS1_3repE0EEENS1_30default_config_static_selectorELNS0_4arch9wavefront6targetE1EEEvT1_
                                        ; -- End function
	.section	.AMDGPU.csdata,"",@progbits
; Kernel info:
; codeLenInByte = 1004
; NumSgprs: 10
; NumVgprs: 27
; NumAgprs: 0
; TotalNumVgprs: 27
; ScratchSize: 0
; MemoryBound: 0
; FloatMode: 240
; IeeeMode: 1
; LDSByteSize: 5120 bytes/workgroup (compile time only)
; SGPRBlocks: 1
; VGPRBlocks: 3
; NumSGPRsForWavesPerEU: 10
; NumVGPRsForWavesPerEU: 27
; AccumOffset: 28
; Occupancy: 6
; WaveLimiterHint : 0
; COMPUTE_PGM_RSRC2:SCRATCH_EN: 0
; COMPUTE_PGM_RSRC2:USER_SGPR: 6
; COMPUTE_PGM_RSRC2:TRAP_HANDLER: 0
; COMPUTE_PGM_RSRC2:TGID_X_EN: 1
; COMPUTE_PGM_RSRC2:TGID_Y_EN: 0
; COMPUTE_PGM_RSRC2:TGID_Z_EN: 0
; COMPUTE_PGM_RSRC2:TIDIG_COMP_CNT: 0
; COMPUTE_PGM_RSRC3_GFX90A:ACCUM_OFFSET: 6
; COMPUTE_PGM_RSRC3_GFX90A:TG_SPLIT: 0
	.section	.text._ZN7rocprim17ROCPRIM_400000_NS6detail17trampoline_kernelINS0_14default_configENS1_20scan_config_selectorIjEEZZNS1_9scan_implILNS1_25lookback_scan_determinismE0ELb0ELb0ES3_N6thrust23THRUST_200600_302600_NS6detail15normal_iteratorINS9_10device_ptrIjEEEENS9_16discard_iteratorINS9_11use_defaultEEEjNS9_4plusIvEEjEEDaPvRmT3_T4_T5_mT6_P12ihipStream_tbENKUlT_T0_E_clISt17integral_constantIbLb1EESX_EEDaSS_ST_EUlSS_E0_NS1_11comp_targetILNS1_3genE3ELNS1_11target_archE908ELNS1_3gpuE7ELNS1_3repE0EEENS1_30default_config_static_selectorELNS0_4arch9wavefront6targetE1EEEvT1_,"axG",@progbits,_ZN7rocprim17ROCPRIM_400000_NS6detail17trampoline_kernelINS0_14default_configENS1_20scan_config_selectorIjEEZZNS1_9scan_implILNS1_25lookback_scan_determinismE0ELb0ELb0ES3_N6thrust23THRUST_200600_302600_NS6detail15normal_iteratorINS9_10device_ptrIjEEEENS9_16discard_iteratorINS9_11use_defaultEEEjNS9_4plusIvEEjEEDaPvRmT3_T4_T5_mT6_P12ihipStream_tbENKUlT_T0_E_clISt17integral_constantIbLb1EESX_EEDaSS_ST_EUlSS_E0_NS1_11comp_targetILNS1_3genE3ELNS1_11target_archE908ELNS1_3gpuE7ELNS1_3repE0EEENS1_30default_config_static_selectorELNS0_4arch9wavefront6targetE1EEEvT1_,comdat
	.protected	_ZN7rocprim17ROCPRIM_400000_NS6detail17trampoline_kernelINS0_14default_configENS1_20scan_config_selectorIjEEZZNS1_9scan_implILNS1_25lookback_scan_determinismE0ELb0ELb0ES3_N6thrust23THRUST_200600_302600_NS6detail15normal_iteratorINS9_10device_ptrIjEEEENS9_16discard_iteratorINS9_11use_defaultEEEjNS9_4plusIvEEjEEDaPvRmT3_T4_T5_mT6_P12ihipStream_tbENKUlT_T0_E_clISt17integral_constantIbLb1EESX_EEDaSS_ST_EUlSS_E0_NS1_11comp_targetILNS1_3genE3ELNS1_11target_archE908ELNS1_3gpuE7ELNS1_3repE0EEENS1_30default_config_static_selectorELNS0_4arch9wavefront6targetE1EEEvT1_ ; -- Begin function _ZN7rocprim17ROCPRIM_400000_NS6detail17trampoline_kernelINS0_14default_configENS1_20scan_config_selectorIjEEZZNS1_9scan_implILNS1_25lookback_scan_determinismE0ELb0ELb0ES3_N6thrust23THRUST_200600_302600_NS6detail15normal_iteratorINS9_10device_ptrIjEEEENS9_16discard_iteratorINS9_11use_defaultEEEjNS9_4plusIvEEjEEDaPvRmT3_T4_T5_mT6_P12ihipStream_tbENKUlT_T0_E_clISt17integral_constantIbLb1EESX_EEDaSS_ST_EUlSS_E0_NS1_11comp_targetILNS1_3genE3ELNS1_11target_archE908ELNS1_3gpuE7ELNS1_3repE0EEENS1_30default_config_static_selectorELNS0_4arch9wavefront6targetE1EEEvT1_
	.globl	_ZN7rocprim17ROCPRIM_400000_NS6detail17trampoline_kernelINS0_14default_configENS1_20scan_config_selectorIjEEZZNS1_9scan_implILNS1_25lookback_scan_determinismE0ELb0ELb0ES3_N6thrust23THRUST_200600_302600_NS6detail15normal_iteratorINS9_10device_ptrIjEEEENS9_16discard_iteratorINS9_11use_defaultEEEjNS9_4plusIvEEjEEDaPvRmT3_T4_T5_mT6_P12ihipStream_tbENKUlT_T0_E_clISt17integral_constantIbLb1EESX_EEDaSS_ST_EUlSS_E0_NS1_11comp_targetILNS1_3genE3ELNS1_11target_archE908ELNS1_3gpuE7ELNS1_3repE0EEENS1_30default_config_static_selectorELNS0_4arch9wavefront6targetE1EEEvT1_
	.p2align	8
	.type	_ZN7rocprim17ROCPRIM_400000_NS6detail17trampoline_kernelINS0_14default_configENS1_20scan_config_selectorIjEEZZNS1_9scan_implILNS1_25lookback_scan_determinismE0ELb0ELb0ES3_N6thrust23THRUST_200600_302600_NS6detail15normal_iteratorINS9_10device_ptrIjEEEENS9_16discard_iteratorINS9_11use_defaultEEEjNS9_4plusIvEEjEEDaPvRmT3_T4_T5_mT6_P12ihipStream_tbENKUlT_T0_E_clISt17integral_constantIbLb1EESX_EEDaSS_ST_EUlSS_E0_NS1_11comp_targetILNS1_3genE3ELNS1_11target_archE908ELNS1_3gpuE7ELNS1_3repE0EEENS1_30default_config_static_selectorELNS0_4arch9wavefront6targetE1EEEvT1_,@function
_ZN7rocprim17ROCPRIM_400000_NS6detail17trampoline_kernelINS0_14default_configENS1_20scan_config_selectorIjEEZZNS1_9scan_implILNS1_25lookback_scan_determinismE0ELb0ELb0ES3_N6thrust23THRUST_200600_302600_NS6detail15normal_iteratorINS9_10device_ptrIjEEEENS9_16discard_iteratorINS9_11use_defaultEEEjNS9_4plusIvEEjEEDaPvRmT3_T4_T5_mT6_P12ihipStream_tbENKUlT_T0_E_clISt17integral_constantIbLb1EESX_EEDaSS_ST_EUlSS_E0_NS1_11comp_targetILNS1_3genE3ELNS1_11target_archE908ELNS1_3gpuE7ELNS1_3repE0EEENS1_30default_config_static_selectorELNS0_4arch9wavefront6targetE1EEEvT1_: ; @_ZN7rocprim17ROCPRIM_400000_NS6detail17trampoline_kernelINS0_14default_configENS1_20scan_config_selectorIjEEZZNS1_9scan_implILNS1_25lookback_scan_determinismE0ELb0ELb0ES3_N6thrust23THRUST_200600_302600_NS6detail15normal_iteratorINS9_10device_ptrIjEEEENS9_16discard_iteratorINS9_11use_defaultEEEjNS9_4plusIvEEjEEDaPvRmT3_T4_T5_mT6_P12ihipStream_tbENKUlT_T0_E_clISt17integral_constantIbLb1EESX_EEDaSS_ST_EUlSS_E0_NS1_11comp_targetILNS1_3genE3ELNS1_11target_archE908ELNS1_3gpuE7ELNS1_3repE0EEENS1_30default_config_static_selectorELNS0_4arch9wavefront6targetE1EEEvT1_
; %bb.0:
	.section	.rodata,"a",@progbits
	.p2align	6, 0x0
	.amdhsa_kernel _ZN7rocprim17ROCPRIM_400000_NS6detail17trampoline_kernelINS0_14default_configENS1_20scan_config_selectorIjEEZZNS1_9scan_implILNS1_25lookback_scan_determinismE0ELb0ELb0ES3_N6thrust23THRUST_200600_302600_NS6detail15normal_iteratorINS9_10device_ptrIjEEEENS9_16discard_iteratorINS9_11use_defaultEEEjNS9_4plusIvEEjEEDaPvRmT3_T4_T5_mT6_P12ihipStream_tbENKUlT_T0_E_clISt17integral_constantIbLb1EESX_EEDaSS_ST_EUlSS_E0_NS1_11comp_targetILNS1_3genE3ELNS1_11target_archE908ELNS1_3gpuE7ELNS1_3repE0EEENS1_30default_config_static_selectorELNS0_4arch9wavefront6targetE1EEEvT1_
		.amdhsa_group_segment_fixed_size 0
		.amdhsa_private_segment_fixed_size 0
		.amdhsa_kernarg_size 40
		.amdhsa_user_sgpr_count 6
		.amdhsa_user_sgpr_private_segment_buffer 1
		.amdhsa_user_sgpr_dispatch_ptr 0
		.amdhsa_user_sgpr_queue_ptr 0
		.amdhsa_user_sgpr_kernarg_segment_ptr 1
		.amdhsa_user_sgpr_dispatch_id 0
		.amdhsa_user_sgpr_flat_scratch_init 0
		.amdhsa_user_sgpr_kernarg_preload_length 0
		.amdhsa_user_sgpr_kernarg_preload_offset 0
		.amdhsa_user_sgpr_private_segment_size 0
		.amdhsa_uses_dynamic_stack 0
		.amdhsa_system_sgpr_private_segment_wavefront_offset 0
		.amdhsa_system_sgpr_workgroup_id_x 1
		.amdhsa_system_sgpr_workgroup_id_y 0
		.amdhsa_system_sgpr_workgroup_id_z 0
		.amdhsa_system_sgpr_workgroup_info 0
		.amdhsa_system_vgpr_workitem_id 0
		.amdhsa_next_free_vgpr 1
		.amdhsa_next_free_sgpr 0
		.amdhsa_accum_offset 4
		.amdhsa_reserve_vcc 0
		.amdhsa_reserve_flat_scratch 0
		.amdhsa_float_round_mode_32 0
		.amdhsa_float_round_mode_16_64 0
		.amdhsa_float_denorm_mode_32 3
		.amdhsa_float_denorm_mode_16_64 3
		.amdhsa_dx10_clamp 1
		.amdhsa_ieee_mode 1
		.amdhsa_fp16_overflow 0
		.amdhsa_tg_split 0
		.amdhsa_exception_fp_ieee_invalid_op 0
		.amdhsa_exception_fp_denorm_src 0
		.amdhsa_exception_fp_ieee_div_zero 0
		.amdhsa_exception_fp_ieee_overflow 0
		.amdhsa_exception_fp_ieee_underflow 0
		.amdhsa_exception_fp_ieee_inexact 0
		.amdhsa_exception_int_div_zero 0
	.end_amdhsa_kernel
	.section	.text._ZN7rocprim17ROCPRIM_400000_NS6detail17trampoline_kernelINS0_14default_configENS1_20scan_config_selectorIjEEZZNS1_9scan_implILNS1_25lookback_scan_determinismE0ELb0ELb0ES3_N6thrust23THRUST_200600_302600_NS6detail15normal_iteratorINS9_10device_ptrIjEEEENS9_16discard_iteratorINS9_11use_defaultEEEjNS9_4plusIvEEjEEDaPvRmT3_T4_T5_mT6_P12ihipStream_tbENKUlT_T0_E_clISt17integral_constantIbLb1EESX_EEDaSS_ST_EUlSS_E0_NS1_11comp_targetILNS1_3genE3ELNS1_11target_archE908ELNS1_3gpuE7ELNS1_3repE0EEENS1_30default_config_static_selectorELNS0_4arch9wavefront6targetE1EEEvT1_,"axG",@progbits,_ZN7rocprim17ROCPRIM_400000_NS6detail17trampoline_kernelINS0_14default_configENS1_20scan_config_selectorIjEEZZNS1_9scan_implILNS1_25lookback_scan_determinismE0ELb0ELb0ES3_N6thrust23THRUST_200600_302600_NS6detail15normal_iteratorINS9_10device_ptrIjEEEENS9_16discard_iteratorINS9_11use_defaultEEEjNS9_4plusIvEEjEEDaPvRmT3_T4_T5_mT6_P12ihipStream_tbENKUlT_T0_E_clISt17integral_constantIbLb1EESX_EEDaSS_ST_EUlSS_E0_NS1_11comp_targetILNS1_3genE3ELNS1_11target_archE908ELNS1_3gpuE7ELNS1_3repE0EEENS1_30default_config_static_selectorELNS0_4arch9wavefront6targetE1EEEvT1_,comdat
.Lfunc_end5324:
	.size	_ZN7rocprim17ROCPRIM_400000_NS6detail17trampoline_kernelINS0_14default_configENS1_20scan_config_selectorIjEEZZNS1_9scan_implILNS1_25lookback_scan_determinismE0ELb0ELb0ES3_N6thrust23THRUST_200600_302600_NS6detail15normal_iteratorINS9_10device_ptrIjEEEENS9_16discard_iteratorINS9_11use_defaultEEEjNS9_4plusIvEEjEEDaPvRmT3_T4_T5_mT6_P12ihipStream_tbENKUlT_T0_E_clISt17integral_constantIbLb1EESX_EEDaSS_ST_EUlSS_E0_NS1_11comp_targetILNS1_3genE3ELNS1_11target_archE908ELNS1_3gpuE7ELNS1_3repE0EEENS1_30default_config_static_selectorELNS0_4arch9wavefront6targetE1EEEvT1_, .Lfunc_end5324-_ZN7rocprim17ROCPRIM_400000_NS6detail17trampoline_kernelINS0_14default_configENS1_20scan_config_selectorIjEEZZNS1_9scan_implILNS1_25lookback_scan_determinismE0ELb0ELb0ES3_N6thrust23THRUST_200600_302600_NS6detail15normal_iteratorINS9_10device_ptrIjEEEENS9_16discard_iteratorINS9_11use_defaultEEEjNS9_4plusIvEEjEEDaPvRmT3_T4_T5_mT6_P12ihipStream_tbENKUlT_T0_E_clISt17integral_constantIbLb1EESX_EEDaSS_ST_EUlSS_E0_NS1_11comp_targetILNS1_3genE3ELNS1_11target_archE908ELNS1_3gpuE7ELNS1_3repE0EEENS1_30default_config_static_selectorELNS0_4arch9wavefront6targetE1EEEvT1_
                                        ; -- End function
	.section	.AMDGPU.csdata,"",@progbits
; Kernel info:
; codeLenInByte = 0
; NumSgprs: 4
; NumVgprs: 0
; NumAgprs: 0
; TotalNumVgprs: 0
; ScratchSize: 0
; MemoryBound: 0
; FloatMode: 240
; IeeeMode: 1
; LDSByteSize: 0 bytes/workgroup (compile time only)
; SGPRBlocks: 0
; VGPRBlocks: 0
; NumSGPRsForWavesPerEU: 4
; NumVGPRsForWavesPerEU: 1
; AccumOffset: 4
; Occupancy: 8
; WaveLimiterHint : 0
; COMPUTE_PGM_RSRC2:SCRATCH_EN: 0
; COMPUTE_PGM_RSRC2:USER_SGPR: 6
; COMPUTE_PGM_RSRC2:TRAP_HANDLER: 0
; COMPUTE_PGM_RSRC2:TGID_X_EN: 1
; COMPUTE_PGM_RSRC2:TGID_Y_EN: 0
; COMPUTE_PGM_RSRC2:TGID_Z_EN: 0
; COMPUTE_PGM_RSRC2:TIDIG_COMP_CNT: 0
; COMPUTE_PGM_RSRC3_GFX90A:ACCUM_OFFSET: 0
; COMPUTE_PGM_RSRC3_GFX90A:TG_SPLIT: 0
	.section	.text._ZN7rocprim17ROCPRIM_400000_NS6detail17trampoline_kernelINS0_14default_configENS1_20scan_config_selectorIjEEZZNS1_9scan_implILNS1_25lookback_scan_determinismE0ELb0ELb0ES3_N6thrust23THRUST_200600_302600_NS6detail15normal_iteratorINS9_10device_ptrIjEEEENS9_16discard_iteratorINS9_11use_defaultEEEjNS9_4plusIvEEjEEDaPvRmT3_T4_T5_mT6_P12ihipStream_tbENKUlT_T0_E_clISt17integral_constantIbLb1EESX_EEDaSS_ST_EUlSS_E0_NS1_11comp_targetILNS1_3genE2ELNS1_11target_archE906ELNS1_3gpuE6ELNS1_3repE0EEENS1_30default_config_static_selectorELNS0_4arch9wavefront6targetE1EEEvT1_,"axG",@progbits,_ZN7rocprim17ROCPRIM_400000_NS6detail17trampoline_kernelINS0_14default_configENS1_20scan_config_selectorIjEEZZNS1_9scan_implILNS1_25lookback_scan_determinismE0ELb0ELb0ES3_N6thrust23THRUST_200600_302600_NS6detail15normal_iteratorINS9_10device_ptrIjEEEENS9_16discard_iteratorINS9_11use_defaultEEEjNS9_4plusIvEEjEEDaPvRmT3_T4_T5_mT6_P12ihipStream_tbENKUlT_T0_E_clISt17integral_constantIbLb1EESX_EEDaSS_ST_EUlSS_E0_NS1_11comp_targetILNS1_3genE2ELNS1_11target_archE906ELNS1_3gpuE6ELNS1_3repE0EEENS1_30default_config_static_selectorELNS0_4arch9wavefront6targetE1EEEvT1_,comdat
	.protected	_ZN7rocprim17ROCPRIM_400000_NS6detail17trampoline_kernelINS0_14default_configENS1_20scan_config_selectorIjEEZZNS1_9scan_implILNS1_25lookback_scan_determinismE0ELb0ELb0ES3_N6thrust23THRUST_200600_302600_NS6detail15normal_iteratorINS9_10device_ptrIjEEEENS9_16discard_iteratorINS9_11use_defaultEEEjNS9_4plusIvEEjEEDaPvRmT3_T4_T5_mT6_P12ihipStream_tbENKUlT_T0_E_clISt17integral_constantIbLb1EESX_EEDaSS_ST_EUlSS_E0_NS1_11comp_targetILNS1_3genE2ELNS1_11target_archE906ELNS1_3gpuE6ELNS1_3repE0EEENS1_30default_config_static_selectorELNS0_4arch9wavefront6targetE1EEEvT1_ ; -- Begin function _ZN7rocprim17ROCPRIM_400000_NS6detail17trampoline_kernelINS0_14default_configENS1_20scan_config_selectorIjEEZZNS1_9scan_implILNS1_25lookback_scan_determinismE0ELb0ELb0ES3_N6thrust23THRUST_200600_302600_NS6detail15normal_iteratorINS9_10device_ptrIjEEEENS9_16discard_iteratorINS9_11use_defaultEEEjNS9_4plusIvEEjEEDaPvRmT3_T4_T5_mT6_P12ihipStream_tbENKUlT_T0_E_clISt17integral_constantIbLb1EESX_EEDaSS_ST_EUlSS_E0_NS1_11comp_targetILNS1_3genE2ELNS1_11target_archE906ELNS1_3gpuE6ELNS1_3repE0EEENS1_30default_config_static_selectorELNS0_4arch9wavefront6targetE1EEEvT1_
	.globl	_ZN7rocprim17ROCPRIM_400000_NS6detail17trampoline_kernelINS0_14default_configENS1_20scan_config_selectorIjEEZZNS1_9scan_implILNS1_25lookback_scan_determinismE0ELb0ELb0ES3_N6thrust23THRUST_200600_302600_NS6detail15normal_iteratorINS9_10device_ptrIjEEEENS9_16discard_iteratorINS9_11use_defaultEEEjNS9_4plusIvEEjEEDaPvRmT3_T4_T5_mT6_P12ihipStream_tbENKUlT_T0_E_clISt17integral_constantIbLb1EESX_EEDaSS_ST_EUlSS_E0_NS1_11comp_targetILNS1_3genE2ELNS1_11target_archE906ELNS1_3gpuE6ELNS1_3repE0EEENS1_30default_config_static_selectorELNS0_4arch9wavefront6targetE1EEEvT1_
	.p2align	8
	.type	_ZN7rocprim17ROCPRIM_400000_NS6detail17trampoline_kernelINS0_14default_configENS1_20scan_config_selectorIjEEZZNS1_9scan_implILNS1_25lookback_scan_determinismE0ELb0ELb0ES3_N6thrust23THRUST_200600_302600_NS6detail15normal_iteratorINS9_10device_ptrIjEEEENS9_16discard_iteratorINS9_11use_defaultEEEjNS9_4plusIvEEjEEDaPvRmT3_T4_T5_mT6_P12ihipStream_tbENKUlT_T0_E_clISt17integral_constantIbLb1EESX_EEDaSS_ST_EUlSS_E0_NS1_11comp_targetILNS1_3genE2ELNS1_11target_archE906ELNS1_3gpuE6ELNS1_3repE0EEENS1_30default_config_static_selectorELNS0_4arch9wavefront6targetE1EEEvT1_,@function
_ZN7rocprim17ROCPRIM_400000_NS6detail17trampoline_kernelINS0_14default_configENS1_20scan_config_selectorIjEEZZNS1_9scan_implILNS1_25lookback_scan_determinismE0ELb0ELb0ES3_N6thrust23THRUST_200600_302600_NS6detail15normal_iteratorINS9_10device_ptrIjEEEENS9_16discard_iteratorINS9_11use_defaultEEEjNS9_4plusIvEEjEEDaPvRmT3_T4_T5_mT6_P12ihipStream_tbENKUlT_T0_E_clISt17integral_constantIbLb1EESX_EEDaSS_ST_EUlSS_E0_NS1_11comp_targetILNS1_3genE2ELNS1_11target_archE906ELNS1_3gpuE6ELNS1_3repE0EEENS1_30default_config_static_selectorELNS0_4arch9wavefront6targetE1EEEvT1_: ; @_ZN7rocprim17ROCPRIM_400000_NS6detail17trampoline_kernelINS0_14default_configENS1_20scan_config_selectorIjEEZZNS1_9scan_implILNS1_25lookback_scan_determinismE0ELb0ELb0ES3_N6thrust23THRUST_200600_302600_NS6detail15normal_iteratorINS9_10device_ptrIjEEEENS9_16discard_iteratorINS9_11use_defaultEEEjNS9_4plusIvEEjEEDaPvRmT3_T4_T5_mT6_P12ihipStream_tbENKUlT_T0_E_clISt17integral_constantIbLb1EESX_EEDaSS_ST_EUlSS_E0_NS1_11comp_targetILNS1_3genE2ELNS1_11target_archE906ELNS1_3gpuE6ELNS1_3repE0EEENS1_30default_config_static_selectorELNS0_4arch9wavefront6targetE1EEEvT1_
; %bb.0:
	.section	.rodata,"a",@progbits
	.p2align	6, 0x0
	.amdhsa_kernel _ZN7rocprim17ROCPRIM_400000_NS6detail17trampoline_kernelINS0_14default_configENS1_20scan_config_selectorIjEEZZNS1_9scan_implILNS1_25lookback_scan_determinismE0ELb0ELb0ES3_N6thrust23THRUST_200600_302600_NS6detail15normal_iteratorINS9_10device_ptrIjEEEENS9_16discard_iteratorINS9_11use_defaultEEEjNS9_4plusIvEEjEEDaPvRmT3_T4_T5_mT6_P12ihipStream_tbENKUlT_T0_E_clISt17integral_constantIbLb1EESX_EEDaSS_ST_EUlSS_E0_NS1_11comp_targetILNS1_3genE2ELNS1_11target_archE906ELNS1_3gpuE6ELNS1_3repE0EEENS1_30default_config_static_selectorELNS0_4arch9wavefront6targetE1EEEvT1_
		.amdhsa_group_segment_fixed_size 0
		.amdhsa_private_segment_fixed_size 0
		.amdhsa_kernarg_size 40
		.amdhsa_user_sgpr_count 6
		.amdhsa_user_sgpr_private_segment_buffer 1
		.amdhsa_user_sgpr_dispatch_ptr 0
		.amdhsa_user_sgpr_queue_ptr 0
		.amdhsa_user_sgpr_kernarg_segment_ptr 1
		.amdhsa_user_sgpr_dispatch_id 0
		.amdhsa_user_sgpr_flat_scratch_init 0
		.amdhsa_user_sgpr_kernarg_preload_length 0
		.amdhsa_user_sgpr_kernarg_preload_offset 0
		.amdhsa_user_sgpr_private_segment_size 0
		.amdhsa_uses_dynamic_stack 0
		.amdhsa_system_sgpr_private_segment_wavefront_offset 0
		.amdhsa_system_sgpr_workgroup_id_x 1
		.amdhsa_system_sgpr_workgroup_id_y 0
		.amdhsa_system_sgpr_workgroup_id_z 0
		.amdhsa_system_sgpr_workgroup_info 0
		.amdhsa_system_vgpr_workitem_id 0
		.amdhsa_next_free_vgpr 1
		.amdhsa_next_free_sgpr 0
		.amdhsa_accum_offset 4
		.amdhsa_reserve_vcc 0
		.amdhsa_reserve_flat_scratch 0
		.amdhsa_float_round_mode_32 0
		.amdhsa_float_round_mode_16_64 0
		.amdhsa_float_denorm_mode_32 3
		.amdhsa_float_denorm_mode_16_64 3
		.amdhsa_dx10_clamp 1
		.amdhsa_ieee_mode 1
		.amdhsa_fp16_overflow 0
		.amdhsa_tg_split 0
		.amdhsa_exception_fp_ieee_invalid_op 0
		.amdhsa_exception_fp_denorm_src 0
		.amdhsa_exception_fp_ieee_div_zero 0
		.amdhsa_exception_fp_ieee_overflow 0
		.amdhsa_exception_fp_ieee_underflow 0
		.amdhsa_exception_fp_ieee_inexact 0
		.amdhsa_exception_int_div_zero 0
	.end_amdhsa_kernel
	.section	.text._ZN7rocprim17ROCPRIM_400000_NS6detail17trampoline_kernelINS0_14default_configENS1_20scan_config_selectorIjEEZZNS1_9scan_implILNS1_25lookback_scan_determinismE0ELb0ELb0ES3_N6thrust23THRUST_200600_302600_NS6detail15normal_iteratorINS9_10device_ptrIjEEEENS9_16discard_iteratorINS9_11use_defaultEEEjNS9_4plusIvEEjEEDaPvRmT3_T4_T5_mT6_P12ihipStream_tbENKUlT_T0_E_clISt17integral_constantIbLb1EESX_EEDaSS_ST_EUlSS_E0_NS1_11comp_targetILNS1_3genE2ELNS1_11target_archE906ELNS1_3gpuE6ELNS1_3repE0EEENS1_30default_config_static_selectorELNS0_4arch9wavefront6targetE1EEEvT1_,"axG",@progbits,_ZN7rocprim17ROCPRIM_400000_NS6detail17trampoline_kernelINS0_14default_configENS1_20scan_config_selectorIjEEZZNS1_9scan_implILNS1_25lookback_scan_determinismE0ELb0ELb0ES3_N6thrust23THRUST_200600_302600_NS6detail15normal_iteratorINS9_10device_ptrIjEEEENS9_16discard_iteratorINS9_11use_defaultEEEjNS9_4plusIvEEjEEDaPvRmT3_T4_T5_mT6_P12ihipStream_tbENKUlT_T0_E_clISt17integral_constantIbLb1EESX_EEDaSS_ST_EUlSS_E0_NS1_11comp_targetILNS1_3genE2ELNS1_11target_archE906ELNS1_3gpuE6ELNS1_3repE0EEENS1_30default_config_static_selectorELNS0_4arch9wavefront6targetE1EEEvT1_,comdat
.Lfunc_end5325:
	.size	_ZN7rocprim17ROCPRIM_400000_NS6detail17trampoline_kernelINS0_14default_configENS1_20scan_config_selectorIjEEZZNS1_9scan_implILNS1_25lookback_scan_determinismE0ELb0ELb0ES3_N6thrust23THRUST_200600_302600_NS6detail15normal_iteratorINS9_10device_ptrIjEEEENS9_16discard_iteratorINS9_11use_defaultEEEjNS9_4plusIvEEjEEDaPvRmT3_T4_T5_mT6_P12ihipStream_tbENKUlT_T0_E_clISt17integral_constantIbLb1EESX_EEDaSS_ST_EUlSS_E0_NS1_11comp_targetILNS1_3genE2ELNS1_11target_archE906ELNS1_3gpuE6ELNS1_3repE0EEENS1_30default_config_static_selectorELNS0_4arch9wavefront6targetE1EEEvT1_, .Lfunc_end5325-_ZN7rocprim17ROCPRIM_400000_NS6detail17trampoline_kernelINS0_14default_configENS1_20scan_config_selectorIjEEZZNS1_9scan_implILNS1_25lookback_scan_determinismE0ELb0ELb0ES3_N6thrust23THRUST_200600_302600_NS6detail15normal_iteratorINS9_10device_ptrIjEEEENS9_16discard_iteratorINS9_11use_defaultEEEjNS9_4plusIvEEjEEDaPvRmT3_T4_T5_mT6_P12ihipStream_tbENKUlT_T0_E_clISt17integral_constantIbLb1EESX_EEDaSS_ST_EUlSS_E0_NS1_11comp_targetILNS1_3genE2ELNS1_11target_archE906ELNS1_3gpuE6ELNS1_3repE0EEENS1_30default_config_static_selectorELNS0_4arch9wavefront6targetE1EEEvT1_
                                        ; -- End function
	.section	.AMDGPU.csdata,"",@progbits
; Kernel info:
; codeLenInByte = 0
; NumSgprs: 4
; NumVgprs: 0
; NumAgprs: 0
; TotalNumVgprs: 0
; ScratchSize: 0
; MemoryBound: 0
; FloatMode: 240
; IeeeMode: 1
; LDSByteSize: 0 bytes/workgroup (compile time only)
; SGPRBlocks: 0
; VGPRBlocks: 0
; NumSGPRsForWavesPerEU: 4
; NumVGPRsForWavesPerEU: 1
; AccumOffset: 4
; Occupancy: 8
; WaveLimiterHint : 0
; COMPUTE_PGM_RSRC2:SCRATCH_EN: 0
; COMPUTE_PGM_RSRC2:USER_SGPR: 6
; COMPUTE_PGM_RSRC2:TRAP_HANDLER: 0
; COMPUTE_PGM_RSRC2:TGID_X_EN: 1
; COMPUTE_PGM_RSRC2:TGID_Y_EN: 0
; COMPUTE_PGM_RSRC2:TGID_Z_EN: 0
; COMPUTE_PGM_RSRC2:TIDIG_COMP_CNT: 0
; COMPUTE_PGM_RSRC3_GFX90A:ACCUM_OFFSET: 0
; COMPUTE_PGM_RSRC3_GFX90A:TG_SPLIT: 0
	.section	.text._ZN7rocprim17ROCPRIM_400000_NS6detail17trampoline_kernelINS0_14default_configENS1_20scan_config_selectorIjEEZZNS1_9scan_implILNS1_25lookback_scan_determinismE0ELb0ELb0ES3_N6thrust23THRUST_200600_302600_NS6detail15normal_iteratorINS9_10device_ptrIjEEEENS9_16discard_iteratorINS9_11use_defaultEEEjNS9_4plusIvEEjEEDaPvRmT3_T4_T5_mT6_P12ihipStream_tbENKUlT_T0_E_clISt17integral_constantIbLb1EESX_EEDaSS_ST_EUlSS_E0_NS1_11comp_targetILNS1_3genE10ELNS1_11target_archE1201ELNS1_3gpuE5ELNS1_3repE0EEENS1_30default_config_static_selectorELNS0_4arch9wavefront6targetE1EEEvT1_,"axG",@progbits,_ZN7rocprim17ROCPRIM_400000_NS6detail17trampoline_kernelINS0_14default_configENS1_20scan_config_selectorIjEEZZNS1_9scan_implILNS1_25lookback_scan_determinismE0ELb0ELb0ES3_N6thrust23THRUST_200600_302600_NS6detail15normal_iteratorINS9_10device_ptrIjEEEENS9_16discard_iteratorINS9_11use_defaultEEEjNS9_4plusIvEEjEEDaPvRmT3_T4_T5_mT6_P12ihipStream_tbENKUlT_T0_E_clISt17integral_constantIbLb1EESX_EEDaSS_ST_EUlSS_E0_NS1_11comp_targetILNS1_3genE10ELNS1_11target_archE1201ELNS1_3gpuE5ELNS1_3repE0EEENS1_30default_config_static_selectorELNS0_4arch9wavefront6targetE1EEEvT1_,comdat
	.protected	_ZN7rocprim17ROCPRIM_400000_NS6detail17trampoline_kernelINS0_14default_configENS1_20scan_config_selectorIjEEZZNS1_9scan_implILNS1_25lookback_scan_determinismE0ELb0ELb0ES3_N6thrust23THRUST_200600_302600_NS6detail15normal_iteratorINS9_10device_ptrIjEEEENS9_16discard_iteratorINS9_11use_defaultEEEjNS9_4plusIvEEjEEDaPvRmT3_T4_T5_mT6_P12ihipStream_tbENKUlT_T0_E_clISt17integral_constantIbLb1EESX_EEDaSS_ST_EUlSS_E0_NS1_11comp_targetILNS1_3genE10ELNS1_11target_archE1201ELNS1_3gpuE5ELNS1_3repE0EEENS1_30default_config_static_selectorELNS0_4arch9wavefront6targetE1EEEvT1_ ; -- Begin function _ZN7rocprim17ROCPRIM_400000_NS6detail17trampoline_kernelINS0_14default_configENS1_20scan_config_selectorIjEEZZNS1_9scan_implILNS1_25lookback_scan_determinismE0ELb0ELb0ES3_N6thrust23THRUST_200600_302600_NS6detail15normal_iteratorINS9_10device_ptrIjEEEENS9_16discard_iteratorINS9_11use_defaultEEEjNS9_4plusIvEEjEEDaPvRmT3_T4_T5_mT6_P12ihipStream_tbENKUlT_T0_E_clISt17integral_constantIbLb1EESX_EEDaSS_ST_EUlSS_E0_NS1_11comp_targetILNS1_3genE10ELNS1_11target_archE1201ELNS1_3gpuE5ELNS1_3repE0EEENS1_30default_config_static_selectorELNS0_4arch9wavefront6targetE1EEEvT1_
	.globl	_ZN7rocprim17ROCPRIM_400000_NS6detail17trampoline_kernelINS0_14default_configENS1_20scan_config_selectorIjEEZZNS1_9scan_implILNS1_25lookback_scan_determinismE0ELb0ELb0ES3_N6thrust23THRUST_200600_302600_NS6detail15normal_iteratorINS9_10device_ptrIjEEEENS9_16discard_iteratorINS9_11use_defaultEEEjNS9_4plusIvEEjEEDaPvRmT3_T4_T5_mT6_P12ihipStream_tbENKUlT_T0_E_clISt17integral_constantIbLb1EESX_EEDaSS_ST_EUlSS_E0_NS1_11comp_targetILNS1_3genE10ELNS1_11target_archE1201ELNS1_3gpuE5ELNS1_3repE0EEENS1_30default_config_static_selectorELNS0_4arch9wavefront6targetE1EEEvT1_
	.p2align	8
	.type	_ZN7rocprim17ROCPRIM_400000_NS6detail17trampoline_kernelINS0_14default_configENS1_20scan_config_selectorIjEEZZNS1_9scan_implILNS1_25lookback_scan_determinismE0ELb0ELb0ES3_N6thrust23THRUST_200600_302600_NS6detail15normal_iteratorINS9_10device_ptrIjEEEENS9_16discard_iteratorINS9_11use_defaultEEEjNS9_4plusIvEEjEEDaPvRmT3_T4_T5_mT6_P12ihipStream_tbENKUlT_T0_E_clISt17integral_constantIbLb1EESX_EEDaSS_ST_EUlSS_E0_NS1_11comp_targetILNS1_3genE10ELNS1_11target_archE1201ELNS1_3gpuE5ELNS1_3repE0EEENS1_30default_config_static_selectorELNS0_4arch9wavefront6targetE1EEEvT1_,@function
_ZN7rocprim17ROCPRIM_400000_NS6detail17trampoline_kernelINS0_14default_configENS1_20scan_config_selectorIjEEZZNS1_9scan_implILNS1_25lookback_scan_determinismE0ELb0ELb0ES3_N6thrust23THRUST_200600_302600_NS6detail15normal_iteratorINS9_10device_ptrIjEEEENS9_16discard_iteratorINS9_11use_defaultEEEjNS9_4plusIvEEjEEDaPvRmT3_T4_T5_mT6_P12ihipStream_tbENKUlT_T0_E_clISt17integral_constantIbLb1EESX_EEDaSS_ST_EUlSS_E0_NS1_11comp_targetILNS1_3genE10ELNS1_11target_archE1201ELNS1_3gpuE5ELNS1_3repE0EEENS1_30default_config_static_selectorELNS0_4arch9wavefront6targetE1EEEvT1_: ; @_ZN7rocprim17ROCPRIM_400000_NS6detail17trampoline_kernelINS0_14default_configENS1_20scan_config_selectorIjEEZZNS1_9scan_implILNS1_25lookback_scan_determinismE0ELb0ELb0ES3_N6thrust23THRUST_200600_302600_NS6detail15normal_iteratorINS9_10device_ptrIjEEEENS9_16discard_iteratorINS9_11use_defaultEEEjNS9_4plusIvEEjEEDaPvRmT3_T4_T5_mT6_P12ihipStream_tbENKUlT_T0_E_clISt17integral_constantIbLb1EESX_EEDaSS_ST_EUlSS_E0_NS1_11comp_targetILNS1_3genE10ELNS1_11target_archE1201ELNS1_3gpuE5ELNS1_3repE0EEENS1_30default_config_static_selectorELNS0_4arch9wavefront6targetE1EEEvT1_
; %bb.0:
	.section	.rodata,"a",@progbits
	.p2align	6, 0x0
	.amdhsa_kernel _ZN7rocprim17ROCPRIM_400000_NS6detail17trampoline_kernelINS0_14default_configENS1_20scan_config_selectorIjEEZZNS1_9scan_implILNS1_25lookback_scan_determinismE0ELb0ELb0ES3_N6thrust23THRUST_200600_302600_NS6detail15normal_iteratorINS9_10device_ptrIjEEEENS9_16discard_iteratorINS9_11use_defaultEEEjNS9_4plusIvEEjEEDaPvRmT3_T4_T5_mT6_P12ihipStream_tbENKUlT_T0_E_clISt17integral_constantIbLb1EESX_EEDaSS_ST_EUlSS_E0_NS1_11comp_targetILNS1_3genE10ELNS1_11target_archE1201ELNS1_3gpuE5ELNS1_3repE0EEENS1_30default_config_static_selectorELNS0_4arch9wavefront6targetE1EEEvT1_
		.amdhsa_group_segment_fixed_size 0
		.amdhsa_private_segment_fixed_size 0
		.amdhsa_kernarg_size 40
		.amdhsa_user_sgpr_count 6
		.amdhsa_user_sgpr_private_segment_buffer 1
		.amdhsa_user_sgpr_dispatch_ptr 0
		.amdhsa_user_sgpr_queue_ptr 0
		.amdhsa_user_sgpr_kernarg_segment_ptr 1
		.amdhsa_user_sgpr_dispatch_id 0
		.amdhsa_user_sgpr_flat_scratch_init 0
		.amdhsa_user_sgpr_kernarg_preload_length 0
		.amdhsa_user_sgpr_kernarg_preload_offset 0
		.amdhsa_user_sgpr_private_segment_size 0
		.amdhsa_uses_dynamic_stack 0
		.amdhsa_system_sgpr_private_segment_wavefront_offset 0
		.amdhsa_system_sgpr_workgroup_id_x 1
		.amdhsa_system_sgpr_workgroup_id_y 0
		.amdhsa_system_sgpr_workgroup_id_z 0
		.amdhsa_system_sgpr_workgroup_info 0
		.amdhsa_system_vgpr_workitem_id 0
		.amdhsa_next_free_vgpr 1
		.amdhsa_next_free_sgpr 0
		.amdhsa_accum_offset 4
		.amdhsa_reserve_vcc 0
		.amdhsa_reserve_flat_scratch 0
		.amdhsa_float_round_mode_32 0
		.amdhsa_float_round_mode_16_64 0
		.amdhsa_float_denorm_mode_32 3
		.amdhsa_float_denorm_mode_16_64 3
		.amdhsa_dx10_clamp 1
		.amdhsa_ieee_mode 1
		.amdhsa_fp16_overflow 0
		.amdhsa_tg_split 0
		.amdhsa_exception_fp_ieee_invalid_op 0
		.amdhsa_exception_fp_denorm_src 0
		.amdhsa_exception_fp_ieee_div_zero 0
		.amdhsa_exception_fp_ieee_overflow 0
		.amdhsa_exception_fp_ieee_underflow 0
		.amdhsa_exception_fp_ieee_inexact 0
		.amdhsa_exception_int_div_zero 0
	.end_amdhsa_kernel
	.section	.text._ZN7rocprim17ROCPRIM_400000_NS6detail17trampoline_kernelINS0_14default_configENS1_20scan_config_selectorIjEEZZNS1_9scan_implILNS1_25lookback_scan_determinismE0ELb0ELb0ES3_N6thrust23THRUST_200600_302600_NS6detail15normal_iteratorINS9_10device_ptrIjEEEENS9_16discard_iteratorINS9_11use_defaultEEEjNS9_4plusIvEEjEEDaPvRmT3_T4_T5_mT6_P12ihipStream_tbENKUlT_T0_E_clISt17integral_constantIbLb1EESX_EEDaSS_ST_EUlSS_E0_NS1_11comp_targetILNS1_3genE10ELNS1_11target_archE1201ELNS1_3gpuE5ELNS1_3repE0EEENS1_30default_config_static_selectorELNS0_4arch9wavefront6targetE1EEEvT1_,"axG",@progbits,_ZN7rocprim17ROCPRIM_400000_NS6detail17trampoline_kernelINS0_14default_configENS1_20scan_config_selectorIjEEZZNS1_9scan_implILNS1_25lookback_scan_determinismE0ELb0ELb0ES3_N6thrust23THRUST_200600_302600_NS6detail15normal_iteratorINS9_10device_ptrIjEEEENS9_16discard_iteratorINS9_11use_defaultEEEjNS9_4plusIvEEjEEDaPvRmT3_T4_T5_mT6_P12ihipStream_tbENKUlT_T0_E_clISt17integral_constantIbLb1EESX_EEDaSS_ST_EUlSS_E0_NS1_11comp_targetILNS1_3genE10ELNS1_11target_archE1201ELNS1_3gpuE5ELNS1_3repE0EEENS1_30default_config_static_selectorELNS0_4arch9wavefront6targetE1EEEvT1_,comdat
.Lfunc_end5326:
	.size	_ZN7rocprim17ROCPRIM_400000_NS6detail17trampoline_kernelINS0_14default_configENS1_20scan_config_selectorIjEEZZNS1_9scan_implILNS1_25lookback_scan_determinismE0ELb0ELb0ES3_N6thrust23THRUST_200600_302600_NS6detail15normal_iteratorINS9_10device_ptrIjEEEENS9_16discard_iteratorINS9_11use_defaultEEEjNS9_4plusIvEEjEEDaPvRmT3_T4_T5_mT6_P12ihipStream_tbENKUlT_T0_E_clISt17integral_constantIbLb1EESX_EEDaSS_ST_EUlSS_E0_NS1_11comp_targetILNS1_3genE10ELNS1_11target_archE1201ELNS1_3gpuE5ELNS1_3repE0EEENS1_30default_config_static_selectorELNS0_4arch9wavefront6targetE1EEEvT1_, .Lfunc_end5326-_ZN7rocprim17ROCPRIM_400000_NS6detail17trampoline_kernelINS0_14default_configENS1_20scan_config_selectorIjEEZZNS1_9scan_implILNS1_25lookback_scan_determinismE0ELb0ELb0ES3_N6thrust23THRUST_200600_302600_NS6detail15normal_iteratorINS9_10device_ptrIjEEEENS9_16discard_iteratorINS9_11use_defaultEEEjNS9_4plusIvEEjEEDaPvRmT3_T4_T5_mT6_P12ihipStream_tbENKUlT_T0_E_clISt17integral_constantIbLb1EESX_EEDaSS_ST_EUlSS_E0_NS1_11comp_targetILNS1_3genE10ELNS1_11target_archE1201ELNS1_3gpuE5ELNS1_3repE0EEENS1_30default_config_static_selectorELNS0_4arch9wavefront6targetE1EEEvT1_
                                        ; -- End function
	.section	.AMDGPU.csdata,"",@progbits
; Kernel info:
; codeLenInByte = 0
; NumSgprs: 4
; NumVgprs: 0
; NumAgprs: 0
; TotalNumVgprs: 0
; ScratchSize: 0
; MemoryBound: 0
; FloatMode: 240
; IeeeMode: 1
; LDSByteSize: 0 bytes/workgroup (compile time only)
; SGPRBlocks: 0
; VGPRBlocks: 0
; NumSGPRsForWavesPerEU: 4
; NumVGPRsForWavesPerEU: 1
; AccumOffset: 4
; Occupancy: 8
; WaveLimiterHint : 0
; COMPUTE_PGM_RSRC2:SCRATCH_EN: 0
; COMPUTE_PGM_RSRC2:USER_SGPR: 6
; COMPUTE_PGM_RSRC2:TRAP_HANDLER: 0
; COMPUTE_PGM_RSRC2:TGID_X_EN: 1
; COMPUTE_PGM_RSRC2:TGID_Y_EN: 0
; COMPUTE_PGM_RSRC2:TGID_Z_EN: 0
; COMPUTE_PGM_RSRC2:TIDIG_COMP_CNT: 0
; COMPUTE_PGM_RSRC3_GFX90A:ACCUM_OFFSET: 0
; COMPUTE_PGM_RSRC3_GFX90A:TG_SPLIT: 0
	.section	.text._ZN7rocprim17ROCPRIM_400000_NS6detail17trampoline_kernelINS0_14default_configENS1_20scan_config_selectorIjEEZZNS1_9scan_implILNS1_25lookback_scan_determinismE0ELb0ELb0ES3_N6thrust23THRUST_200600_302600_NS6detail15normal_iteratorINS9_10device_ptrIjEEEENS9_16discard_iteratorINS9_11use_defaultEEEjNS9_4plusIvEEjEEDaPvRmT3_T4_T5_mT6_P12ihipStream_tbENKUlT_T0_E_clISt17integral_constantIbLb1EESX_EEDaSS_ST_EUlSS_E0_NS1_11comp_targetILNS1_3genE10ELNS1_11target_archE1200ELNS1_3gpuE4ELNS1_3repE0EEENS1_30default_config_static_selectorELNS0_4arch9wavefront6targetE1EEEvT1_,"axG",@progbits,_ZN7rocprim17ROCPRIM_400000_NS6detail17trampoline_kernelINS0_14default_configENS1_20scan_config_selectorIjEEZZNS1_9scan_implILNS1_25lookback_scan_determinismE0ELb0ELb0ES3_N6thrust23THRUST_200600_302600_NS6detail15normal_iteratorINS9_10device_ptrIjEEEENS9_16discard_iteratorINS9_11use_defaultEEEjNS9_4plusIvEEjEEDaPvRmT3_T4_T5_mT6_P12ihipStream_tbENKUlT_T0_E_clISt17integral_constantIbLb1EESX_EEDaSS_ST_EUlSS_E0_NS1_11comp_targetILNS1_3genE10ELNS1_11target_archE1200ELNS1_3gpuE4ELNS1_3repE0EEENS1_30default_config_static_selectorELNS0_4arch9wavefront6targetE1EEEvT1_,comdat
	.protected	_ZN7rocprim17ROCPRIM_400000_NS6detail17trampoline_kernelINS0_14default_configENS1_20scan_config_selectorIjEEZZNS1_9scan_implILNS1_25lookback_scan_determinismE0ELb0ELb0ES3_N6thrust23THRUST_200600_302600_NS6detail15normal_iteratorINS9_10device_ptrIjEEEENS9_16discard_iteratorINS9_11use_defaultEEEjNS9_4plusIvEEjEEDaPvRmT3_T4_T5_mT6_P12ihipStream_tbENKUlT_T0_E_clISt17integral_constantIbLb1EESX_EEDaSS_ST_EUlSS_E0_NS1_11comp_targetILNS1_3genE10ELNS1_11target_archE1200ELNS1_3gpuE4ELNS1_3repE0EEENS1_30default_config_static_selectorELNS0_4arch9wavefront6targetE1EEEvT1_ ; -- Begin function _ZN7rocprim17ROCPRIM_400000_NS6detail17trampoline_kernelINS0_14default_configENS1_20scan_config_selectorIjEEZZNS1_9scan_implILNS1_25lookback_scan_determinismE0ELb0ELb0ES3_N6thrust23THRUST_200600_302600_NS6detail15normal_iteratorINS9_10device_ptrIjEEEENS9_16discard_iteratorINS9_11use_defaultEEEjNS9_4plusIvEEjEEDaPvRmT3_T4_T5_mT6_P12ihipStream_tbENKUlT_T0_E_clISt17integral_constantIbLb1EESX_EEDaSS_ST_EUlSS_E0_NS1_11comp_targetILNS1_3genE10ELNS1_11target_archE1200ELNS1_3gpuE4ELNS1_3repE0EEENS1_30default_config_static_selectorELNS0_4arch9wavefront6targetE1EEEvT1_
	.globl	_ZN7rocprim17ROCPRIM_400000_NS6detail17trampoline_kernelINS0_14default_configENS1_20scan_config_selectorIjEEZZNS1_9scan_implILNS1_25lookback_scan_determinismE0ELb0ELb0ES3_N6thrust23THRUST_200600_302600_NS6detail15normal_iteratorINS9_10device_ptrIjEEEENS9_16discard_iteratorINS9_11use_defaultEEEjNS9_4plusIvEEjEEDaPvRmT3_T4_T5_mT6_P12ihipStream_tbENKUlT_T0_E_clISt17integral_constantIbLb1EESX_EEDaSS_ST_EUlSS_E0_NS1_11comp_targetILNS1_3genE10ELNS1_11target_archE1200ELNS1_3gpuE4ELNS1_3repE0EEENS1_30default_config_static_selectorELNS0_4arch9wavefront6targetE1EEEvT1_
	.p2align	8
	.type	_ZN7rocprim17ROCPRIM_400000_NS6detail17trampoline_kernelINS0_14default_configENS1_20scan_config_selectorIjEEZZNS1_9scan_implILNS1_25lookback_scan_determinismE0ELb0ELb0ES3_N6thrust23THRUST_200600_302600_NS6detail15normal_iteratorINS9_10device_ptrIjEEEENS9_16discard_iteratorINS9_11use_defaultEEEjNS9_4plusIvEEjEEDaPvRmT3_T4_T5_mT6_P12ihipStream_tbENKUlT_T0_E_clISt17integral_constantIbLb1EESX_EEDaSS_ST_EUlSS_E0_NS1_11comp_targetILNS1_3genE10ELNS1_11target_archE1200ELNS1_3gpuE4ELNS1_3repE0EEENS1_30default_config_static_selectorELNS0_4arch9wavefront6targetE1EEEvT1_,@function
_ZN7rocprim17ROCPRIM_400000_NS6detail17trampoline_kernelINS0_14default_configENS1_20scan_config_selectorIjEEZZNS1_9scan_implILNS1_25lookback_scan_determinismE0ELb0ELb0ES3_N6thrust23THRUST_200600_302600_NS6detail15normal_iteratorINS9_10device_ptrIjEEEENS9_16discard_iteratorINS9_11use_defaultEEEjNS9_4plusIvEEjEEDaPvRmT3_T4_T5_mT6_P12ihipStream_tbENKUlT_T0_E_clISt17integral_constantIbLb1EESX_EEDaSS_ST_EUlSS_E0_NS1_11comp_targetILNS1_3genE10ELNS1_11target_archE1200ELNS1_3gpuE4ELNS1_3repE0EEENS1_30default_config_static_selectorELNS0_4arch9wavefront6targetE1EEEvT1_: ; @_ZN7rocprim17ROCPRIM_400000_NS6detail17trampoline_kernelINS0_14default_configENS1_20scan_config_selectorIjEEZZNS1_9scan_implILNS1_25lookback_scan_determinismE0ELb0ELb0ES3_N6thrust23THRUST_200600_302600_NS6detail15normal_iteratorINS9_10device_ptrIjEEEENS9_16discard_iteratorINS9_11use_defaultEEEjNS9_4plusIvEEjEEDaPvRmT3_T4_T5_mT6_P12ihipStream_tbENKUlT_T0_E_clISt17integral_constantIbLb1EESX_EEDaSS_ST_EUlSS_E0_NS1_11comp_targetILNS1_3genE10ELNS1_11target_archE1200ELNS1_3gpuE4ELNS1_3repE0EEENS1_30default_config_static_selectorELNS0_4arch9wavefront6targetE1EEEvT1_
; %bb.0:
	.section	.rodata,"a",@progbits
	.p2align	6, 0x0
	.amdhsa_kernel _ZN7rocprim17ROCPRIM_400000_NS6detail17trampoline_kernelINS0_14default_configENS1_20scan_config_selectorIjEEZZNS1_9scan_implILNS1_25lookback_scan_determinismE0ELb0ELb0ES3_N6thrust23THRUST_200600_302600_NS6detail15normal_iteratorINS9_10device_ptrIjEEEENS9_16discard_iteratorINS9_11use_defaultEEEjNS9_4plusIvEEjEEDaPvRmT3_T4_T5_mT6_P12ihipStream_tbENKUlT_T0_E_clISt17integral_constantIbLb1EESX_EEDaSS_ST_EUlSS_E0_NS1_11comp_targetILNS1_3genE10ELNS1_11target_archE1200ELNS1_3gpuE4ELNS1_3repE0EEENS1_30default_config_static_selectorELNS0_4arch9wavefront6targetE1EEEvT1_
		.amdhsa_group_segment_fixed_size 0
		.amdhsa_private_segment_fixed_size 0
		.amdhsa_kernarg_size 40
		.amdhsa_user_sgpr_count 6
		.amdhsa_user_sgpr_private_segment_buffer 1
		.amdhsa_user_sgpr_dispatch_ptr 0
		.amdhsa_user_sgpr_queue_ptr 0
		.amdhsa_user_sgpr_kernarg_segment_ptr 1
		.amdhsa_user_sgpr_dispatch_id 0
		.amdhsa_user_sgpr_flat_scratch_init 0
		.amdhsa_user_sgpr_kernarg_preload_length 0
		.amdhsa_user_sgpr_kernarg_preload_offset 0
		.amdhsa_user_sgpr_private_segment_size 0
		.amdhsa_uses_dynamic_stack 0
		.amdhsa_system_sgpr_private_segment_wavefront_offset 0
		.amdhsa_system_sgpr_workgroup_id_x 1
		.amdhsa_system_sgpr_workgroup_id_y 0
		.amdhsa_system_sgpr_workgroup_id_z 0
		.amdhsa_system_sgpr_workgroup_info 0
		.amdhsa_system_vgpr_workitem_id 0
		.amdhsa_next_free_vgpr 1
		.amdhsa_next_free_sgpr 0
		.amdhsa_accum_offset 4
		.amdhsa_reserve_vcc 0
		.amdhsa_reserve_flat_scratch 0
		.amdhsa_float_round_mode_32 0
		.amdhsa_float_round_mode_16_64 0
		.amdhsa_float_denorm_mode_32 3
		.amdhsa_float_denorm_mode_16_64 3
		.amdhsa_dx10_clamp 1
		.amdhsa_ieee_mode 1
		.amdhsa_fp16_overflow 0
		.amdhsa_tg_split 0
		.amdhsa_exception_fp_ieee_invalid_op 0
		.amdhsa_exception_fp_denorm_src 0
		.amdhsa_exception_fp_ieee_div_zero 0
		.amdhsa_exception_fp_ieee_overflow 0
		.amdhsa_exception_fp_ieee_underflow 0
		.amdhsa_exception_fp_ieee_inexact 0
		.amdhsa_exception_int_div_zero 0
	.end_amdhsa_kernel
	.section	.text._ZN7rocprim17ROCPRIM_400000_NS6detail17trampoline_kernelINS0_14default_configENS1_20scan_config_selectorIjEEZZNS1_9scan_implILNS1_25lookback_scan_determinismE0ELb0ELb0ES3_N6thrust23THRUST_200600_302600_NS6detail15normal_iteratorINS9_10device_ptrIjEEEENS9_16discard_iteratorINS9_11use_defaultEEEjNS9_4plusIvEEjEEDaPvRmT3_T4_T5_mT6_P12ihipStream_tbENKUlT_T0_E_clISt17integral_constantIbLb1EESX_EEDaSS_ST_EUlSS_E0_NS1_11comp_targetILNS1_3genE10ELNS1_11target_archE1200ELNS1_3gpuE4ELNS1_3repE0EEENS1_30default_config_static_selectorELNS0_4arch9wavefront6targetE1EEEvT1_,"axG",@progbits,_ZN7rocprim17ROCPRIM_400000_NS6detail17trampoline_kernelINS0_14default_configENS1_20scan_config_selectorIjEEZZNS1_9scan_implILNS1_25lookback_scan_determinismE0ELb0ELb0ES3_N6thrust23THRUST_200600_302600_NS6detail15normal_iteratorINS9_10device_ptrIjEEEENS9_16discard_iteratorINS9_11use_defaultEEEjNS9_4plusIvEEjEEDaPvRmT3_T4_T5_mT6_P12ihipStream_tbENKUlT_T0_E_clISt17integral_constantIbLb1EESX_EEDaSS_ST_EUlSS_E0_NS1_11comp_targetILNS1_3genE10ELNS1_11target_archE1200ELNS1_3gpuE4ELNS1_3repE0EEENS1_30default_config_static_selectorELNS0_4arch9wavefront6targetE1EEEvT1_,comdat
.Lfunc_end5327:
	.size	_ZN7rocprim17ROCPRIM_400000_NS6detail17trampoline_kernelINS0_14default_configENS1_20scan_config_selectorIjEEZZNS1_9scan_implILNS1_25lookback_scan_determinismE0ELb0ELb0ES3_N6thrust23THRUST_200600_302600_NS6detail15normal_iteratorINS9_10device_ptrIjEEEENS9_16discard_iteratorINS9_11use_defaultEEEjNS9_4plusIvEEjEEDaPvRmT3_T4_T5_mT6_P12ihipStream_tbENKUlT_T0_E_clISt17integral_constantIbLb1EESX_EEDaSS_ST_EUlSS_E0_NS1_11comp_targetILNS1_3genE10ELNS1_11target_archE1200ELNS1_3gpuE4ELNS1_3repE0EEENS1_30default_config_static_selectorELNS0_4arch9wavefront6targetE1EEEvT1_, .Lfunc_end5327-_ZN7rocprim17ROCPRIM_400000_NS6detail17trampoline_kernelINS0_14default_configENS1_20scan_config_selectorIjEEZZNS1_9scan_implILNS1_25lookback_scan_determinismE0ELb0ELb0ES3_N6thrust23THRUST_200600_302600_NS6detail15normal_iteratorINS9_10device_ptrIjEEEENS9_16discard_iteratorINS9_11use_defaultEEEjNS9_4plusIvEEjEEDaPvRmT3_T4_T5_mT6_P12ihipStream_tbENKUlT_T0_E_clISt17integral_constantIbLb1EESX_EEDaSS_ST_EUlSS_E0_NS1_11comp_targetILNS1_3genE10ELNS1_11target_archE1200ELNS1_3gpuE4ELNS1_3repE0EEENS1_30default_config_static_selectorELNS0_4arch9wavefront6targetE1EEEvT1_
                                        ; -- End function
	.section	.AMDGPU.csdata,"",@progbits
; Kernel info:
; codeLenInByte = 0
; NumSgprs: 4
; NumVgprs: 0
; NumAgprs: 0
; TotalNumVgprs: 0
; ScratchSize: 0
; MemoryBound: 0
; FloatMode: 240
; IeeeMode: 1
; LDSByteSize: 0 bytes/workgroup (compile time only)
; SGPRBlocks: 0
; VGPRBlocks: 0
; NumSGPRsForWavesPerEU: 4
; NumVGPRsForWavesPerEU: 1
; AccumOffset: 4
; Occupancy: 8
; WaveLimiterHint : 0
; COMPUTE_PGM_RSRC2:SCRATCH_EN: 0
; COMPUTE_PGM_RSRC2:USER_SGPR: 6
; COMPUTE_PGM_RSRC2:TRAP_HANDLER: 0
; COMPUTE_PGM_RSRC2:TGID_X_EN: 1
; COMPUTE_PGM_RSRC2:TGID_Y_EN: 0
; COMPUTE_PGM_RSRC2:TGID_Z_EN: 0
; COMPUTE_PGM_RSRC2:TIDIG_COMP_CNT: 0
; COMPUTE_PGM_RSRC3_GFX90A:ACCUM_OFFSET: 0
; COMPUTE_PGM_RSRC3_GFX90A:TG_SPLIT: 0
	.section	.text._ZN7rocprim17ROCPRIM_400000_NS6detail17trampoline_kernelINS0_14default_configENS1_20scan_config_selectorIjEEZZNS1_9scan_implILNS1_25lookback_scan_determinismE0ELb0ELb0ES3_N6thrust23THRUST_200600_302600_NS6detail15normal_iteratorINS9_10device_ptrIjEEEENS9_16discard_iteratorINS9_11use_defaultEEEjNS9_4plusIvEEjEEDaPvRmT3_T4_T5_mT6_P12ihipStream_tbENKUlT_T0_E_clISt17integral_constantIbLb1EESX_EEDaSS_ST_EUlSS_E0_NS1_11comp_targetILNS1_3genE9ELNS1_11target_archE1100ELNS1_3gpuE3ELNS1_3repE0EEENS1_30default_config_static_selectorELNS0_4arch9wavefront6targetE1EEEvT1_,"axG",@progbits,_ZN7rocprim17ROCPRIM_400000_NS6detail17trampoline_kernelINS0_14default_configENS1_20scan_config_selectorIjEEZZNS1_9scan_implILNS1_25lookback_scan_determinismE0ELb0ELb0ES3_N6thrust23THRUST_200600_302600_NS6detail15normal_iteratorINS9_10device_ptrIjEEEENS9_16discard_iteratorINS9_11use_defaultEEEjNS9_4plusIvEEjEEDaPvRmT3_T4_T5_mT6_P12ihipStream_tbENKUlT_T0_E_clISt17integral_constantIbLb1EESX_EEDaSS_ST_EUlSS_E0_NS1_11comp_targetILNS1_3genE9ELNS1_11target_archE1100ELNS1_3gpuE3ELNS1_3repE0EEENS1_30default_config_static_selectorELNS0_4arch9wavefront6targetE1EEEvT1_,comdat
	.protected	_ZN7rocprim17ROCPRIM_400000_NS6detail17trampoline_kernelINS0_14default_configENS1_20scan_config_selectorIjEEZZNS1_9scan_implILNS1_25lookback_scan_determinismE0ELb0ELb0ES3_N6thrust23THRUST_200600_302600_NS6detail15normal_iteratorINS9_10device_ptrIjEEEENS9_16discard_iteratorINS9_11use_defaultEEEjNS9_4plusIvEEjEEDaPvRmT3_T4_T5_mT6_P12ihipStream_tbENKUlT_T0_E_clISt17integral_constantIbLb1EESX_EEDaSS_ST_EUlSS_E0_NS1_11comp_targetILNS1_3genE9ELNS1_11target_archE1100ELNS1_3gpuE3ELNS1_3repE0EEENS1_30default_config_static_selectorELNS0_4arch9wavefront6targetE1EEEvT1_ ; -- Begin function _ZN7rocprim17ROCPRIM_400000_NS6detail17trampoline_kernelINS0_14default_configENS1_20scan_config_selectorIjEEZZNS1_9scan_implILNS1_25lookback_scan_determinismE0ELb0ELb0ES3_N6thrust23THRUST_200600_302600_NS6detail15normal_iteratorINS9_10device_ptrIjEEEENS9_16discard_iteratorINS9_11use_defaultEEEjNS9_4plusIvEEjEEDaPvRmT3_T4_T5_mT6_P12ihipStream_tbENKUlT_T0_E_clISt17integral_constantIbLb1EESX_EEDaSS_ST_EUlSS_E0_NS1_11comp_targetILNS1_3genE9ELNS1_11target_archE1100ELNS1_3gpuE3ELNS1_3repE0EEENS1_30default_config_static_selectorELNS0_4arch9wavefront6targetE1EEEvT1_
	.globl	_ZN7rocprim17ROCPRIM_400000_NS6detail17trampoline_kernelINS0_14default_configENS1_20scan_config_selectorIjEEZZNS1_9scan_implILNS1_25lookback_scan_determinismE0ELb0ELb0ES3_N6thrust23THRUST_200600_302600_NS6detail15normal_iteratorINS9_10device_ptrIjEEEENS9_16discard_iteratorINS9_11use_defaultEEEjNS9_4plusIvEEjEEDaPvRmT3_T4_T5_mT6_P12ihipStream_tbENKUlT_T0_E_clISt17integral_constantIbLb1EESX_EEDaSS_ST_EUlSS_E0_NS1_11comp_targetILNS1_3genE9ELNS1_11target_archE1100ELNS1_3gpuE3ELNS1_3repE0EEENS1_30default_config_static_selectorELNS0_4arch9wavefront6targetE1EEEvT1_
	.p2align	8
	.type	_ZN7rocprim17ROCPRIM_400000_NS6detail17trampoline_kernelINS0_14default_configENS1_20scan_config_selectorIjEEZZNS1_9scan_implILNS1_25lookback_scan_determinismE0ELb0ELb0ES3_N6thrust23THRUST_200600_302600_NS6detail15normal_iteratorINS9_10device_ptrIjEEEENS9_16discard_iteratorINS9_11use_defaultEEEjNS9_4plusIvEEjEEDaPvRmT3_T4_T5_mT6_P12ihipStream_tbENKUlT_T0_E_clISt17integral_constantIbLb1EESX_EEDaSS_ST_EUlSS_E0_NS1_11comp_targetILNS1_3genE9ELNS1_11target_archE1100ELNS1_3gpuE3ELNS1_3repE0EEENS1_30default_config_static_selectorELNS0_4arch9wavefront6targetE1EEEvT1_,@function
_ZN7rocprim17ROCPRIM_400000_NS6detail17trampoline_kernelINS0_14default_configENS1_20scan_config_selectorIjEEZZNS1_9scan_implILNS1_25lookback_scan_determinismE0ELb0ELb0ES3_N6thrust23THRUST_200600_302600_NS6detail15normal_iteratorINS9_10device_ptrIjEEEENS9_16discard_iteratorINS9_11use_defaultEEEjNS9_4plusIvEEjEEDaPvRmT3_T4_T5_mT6_P12ihipStream_tbENKUlT_T0_E_clISt17integral_constantIbLb1EESX_EEDaSS_ST_EUlSS_E0_NS1_11comp_targetILNS1_3genE9ELNS1_11target_archE1100ELNS1_3gpuE3ELNS1_3repE0EEENS1_30default_config_static_selectorELNS0_4arch9wavefront6targetE1EEEvT1_: ; @_ZN7rocprim17ROCPRIM_400000_NS6detail17trampoline_kernelINS0_14default_configENS1_20scan_config_selectorIjEEZZNS1_9scan_implILNS1_25lookback_scan_determinismE0ELb0ELb0ES3_N6thrust23THRUST_200600_302600_NS6detail15normal_iteratorINS9_10device_ptrIjEEEENS9_16discard_iteratorINS9_11use_defaultEEEjNS9_4plusIvEEjEEDaPvRmT3_T4_T5_mT6_P12ihipStream_tbENKUlT_T0_E_clISt17integral_constantIbLb1EESX_EEDaSS_ST_EUlSS_E0_NS1_11comp_targetILNS1_3genE9ELNS1_11target_archE1100ELNS1_3gpuE3ELNS1_3repE0EEENS1_30default_config_static_selectorELNS0_4arch9wavefront6targetE1EEEvT1_
; %bb.0:
	.section	.rodata,"a",@progbits
	.p2align	6, 0x0
	.amdhsa_kernel _ZN7rocprim17ROCPRIM_400000_NS6detail17trampoline_kernelINS0_14default_configENS1_20scan_config_selectorIjEEZZNS1_9scan_implILNS1_25lookback_scan_determinismE0ELb0ELb0ES3_N6thrust23THRUST_200600_302600_NS6detail15normal_iteratorINS9_10device_ptrIjEEEENS9_16discard_iteratorINS9_11use_defaultEEEjNS9_4plusIvEEjEEDaPvRmT3_T4_T5_mT6_P12ihipStream_tbENKUlT_T0_E_clISt17integral_constantIbLb1EESX_EEDaSS_ST_EUlSS_E0_NS1_11comp_targetILNS1_3genE9ELNS1_11target_archE1100ELNS1_3gpuE3ELNS1_3repE0EEENS1_30default_config_static_selectorELNS0_4arch9wavefront6targetE1EEEvT1_
		.amdhsa_group_segment_fixed_size 0
		.amdhsa_private_segment_fixed_size 0
		.amdhsa_kernarg_size 40
		.amdhsa_user_sgpr_count 6
		.amdhsa_user_sgpr_private_segment_buffer 1
		.amdhsa_user_sgpr_dispatch_ptr 0
		.amdhsa_user_sgpr_queue_ptr 0
		.amdhsa_user_sgpr_kernarg_segment_ptr 1
		.amdhsa_user_sgpr_dispatch_id 0
		.amdhsa_user_sgpr_flat_scratch_init 0
		.amdhsa_user_sgpr_kernarg_preload_length 0
		.amdhsa_user_sgpr_kernarg_preload_offset 0
		.amdhsa_user_sgpr_private_segment_size 0
		.amdhsa_uses_dynamic_stack 0
		.amdhsa_system_sgpr_private_segment_wavefront_offset 0
		.amdhsa_system_sgpr_workgroup_id_x 1
		.amdhsa_system_sgpr_workgroup_id_y 0
		.amdhsa_system_sgpr_workgroup_id_z 0
		.amdhsa_system_sgpr_workgroup_info 0
		.amdhsa_system_vgpr_workitem_id 0
		.amdhsa_next_free_vgpr 1
		.amdhsa_next_free_sgpr 0
		.amdhsa_accum_offset 4
		.amdhsa_reserve_vcc 0
		.amdhsa_reserve_flat_scratch 0
		.amdhsa_float_round_mode_32 0
		.amdhsa_float_round_mode_16_64 0
		.amdhsa_float_denorm_mode_32 3
		.amdhsa_float_denorm_mode_16_64 3
		.amdhsa_dx10_clamp 1
		.amdhsa_ieee_mode 1
		.amdhsa_fp16_overflow 0
		.amdhsa_tg_split 0
		.amdhsa_exception_fp_ieee_invalid_op 0
		.amdhsa_exception_fp_denorm_src 0
		.amdhsa_exception_fp_ieee_div_zero 0
		.amdhsa_exception_fp_ieee_overflow 0
		.amdhsa_exception_fp_ieee_underflow 0
		.amdhsa_exception_fp_ieee_inexact 0
		.amdhsa_exception_int_div_zero 0
	.end_amdhsa_kernel
	.section	.text._ZN7rocprim17ROCPRIM_400000_NS6detail17trampoline_kernelINS0_14default_configENS1_20scan_config_selectorIjEEZZNS1_9scan_implILNS1_25lookback_scan_determinismE0ELb0ELb0ES3_N6thrust23THRUST_200600_302600_NS6detail15normal_iteratorINS9_10device_ptrIjEEEENS9_16discard_iteratorINS9_11use_defaultEEEjNS9_4plusIvEEjEEDaPvRmT3_T4_T5_mT6_P12ihipStream_tbENKUlT_T0_E_clISt17integral_constantIbLb1EESX_EEDaSS_ST_EUlSS_E0_NS1_11comp_targetILNS1_3genE9ELNS1_11target_archE1100ELNS1_3gpuE3ELNS1_3repE0EEENS1_30default_config_static_selectorELNS0_4arch9wavefront6targetE1EEEvT1_,"axG",@progbits,_ZN7rocprim17ROCPRIM_400000_NS6detail17trampoline_kernelINS0_14default_configENS1_20scan_config_selectorIjEEZZNS1_9scan_implILNS1_25lookback_scan_determinismE0ELb0ELb0ES3_N6thrust23THRUST_200600_302600_NS6detail15normal_iteratorINS9_10device_ptrIjEEEENS9_16discard_iteratorINS9_11use_defaultEEEjNS9_4plusIvEEjEEDaPvRmT3_T4_T5_mT6_P12ihipStream_tbENKUlT_T0_E_clISt17integral_constantIbLb1EESX_EEDaSS_ST_EUlSS_E0_NS1_11comp_targetILNS1_3genE9ELNS1_11target_archE1100ELNS1_3gpuE3ELNS1_3repE0EEENS1_30default_config_static_selectorELNS0_4arch9wavefront6targetE1EEEvT1_,comdat
.Lfunc_end5328:
	.size	_ZN7rocprim17ROCPRIM_400000_NS6detail17trampoline_kernelINS0_14default_configENS1_20scan_config_selectorIjEEZZNS1_9scan_implILNS1_25lookback_scan_determinismE0ELb0ELb0ES3_N6thrust23THRUST_200600_302600_NS6detail15normal_iteratorINS9_10device_ptrIjEEEENS9_16discard_iteratorINS9_11use_defaultEEEjNS9_4plusIvEEjEEDaPvRmT3_T4_T5_mT6_P12ihipStream_tbENKUlT_T0_E_clISt17integral_constantIbLb1EESX_EEDaSS_ST_EUlSS_E0_NS1_11comp_targetILNS1_3genE9ELNS1_11target_archE1100ELNS1_3gpuE3ELNS1_3repE0EEENS1_30default_config_static_selectorELNS0_4arch9wavefront6targetE1EEEvT1_, .Lfunc_end5328-_ZN7rocprim17ROCPRIM_400000_NS6detail17trampoline_kernelINS0_14default_configENS1_20scan_config_selectorIjEEZZNS1_9scan_implILNS1_25lookback_scan_determinismE0ELb0ELb0ES3_N6thrust23THRUST_200600_302600_NS6detail15normal_iteratorINS9_10device_ptrIjEEEENS9_16discard_iteratorINS9_11use_defaultEEEjNS9_4plusIvEEjEEDaPvRmT3_T4_T5_mT6_P12ihipStream_tbENKUlT_T0_E_clISt17integral_constantIbLb1EESX_EEDaSS_ST_EUlSS_E0_NS1_11comp_targetILNS1_3genE9ELNS1_11target_archE1100ELNS1_3gpuE3ELNS1_3repE0EEENS1_30default_config_static_selectorELNS0_4arch9wavefront6targetE1EEEvT1_
                                        ; -- End function
	.section	.AMDGPU.csdata,"",@progbits
; Kernel info:
; codeLenInByte = 0
; NumSgprs: 4
; NumVgprs: 0
; NumAgprs: 0
; TotalNumVgprs: 0
; ScratchSize: 0
; MemoryBound: 0
; FloatMode: 240
; IeeeMode: 1
; LDSByteSize: 0 bytes/workgroup (compile time only)
; SGPRBlocks: 0
; VGPRBlocks: 0
; NumSGPRsForWavesPerEU: 4
; NumVGPRsForWavesPerEU: 1
; AccumOffset: 4
; Occupancy: 8
; WaveLimiterHint : 0
; COMPUTE_PGM_RSRC2:SCRATCH_EN: 0
; COMPUTE_PGM_RSRC2:USER_SGPR: 6
; COMPUTE_PGM_RSRC2:TRAP_HANDLER: 0
; COMPUTE_PGM_RSRC2:TGID_X_EN: 1
; COMPUTE_PGM_RSRC2:TGID_Y_EN: 0
; COMPUTE_PGM_RSRC2:TGID_Z_EN: 0
; COMPUTE_PGM_RSRC2:TIDIG_COMP_CNT: 0
; COMPUTE_PGM_RSRC3_GFX90A:ACCUM_OFFSET: 0
; COMPUTE_PGM_RSRC3_GFX90A:TG_SPLIT: 0
	.section	.text._ZN7rocprim17ROCPRIM_400000_NS6detail17trampoline_kernelINS0_14default_configENS1_20scan_config_selectorIjEEZZNS1_9scan_implILNS1_25lookback_scan_determinismE0ELb0ELb0ES3_N6thrust23THRUST_200600_302600_NS6detail15normal_iteratorINS9_10device_ptrIjEEEENS9_16discard_iteratorINS9_11use_defaultEEEjNS9_4plusIvEEjEEDaPvRmT3_T4_T5_mT6_P12ihipStream_tbENKUlT_T0_E_clISt17integral_constantIbLb1EESX_EEDaSS_ST_EUlSS_E0_NS1_11comp_targetILNS1_3genE8ELNS1_11target_archE1030ELNS1_3gpuE2ELNS1_3repE0EEENS1_30default_config_static_selectorELNS0_4arch9wavefront6targetE1EEEvT1_,"axG",@progbits,_ZN7rocprim17ROCPRIM_400000_NS6detail17trampoline_kernelINS0_14default_configENS1_20scan_config_selectorIjEEZZNS1_9scan_implILNS1_25lookback_scan_determinismE0ELb0ELb0ES3_N6thrust23THRUST_200600_302600_NS6detail15normal_iteratorINS9_10device_ptrIjEEEENS9_16discard_iteratorINS9_11use_defaultEEEjNS9_4plusIvEEjEEDaPvRmT3_T4_T5_mT6_P12ihipStream_tbENKUlT_T0_E_clISt17integral_constantIbLb1EESX_EEDaSS_ST_EUlSS_E0_NS1_11comp_targetILNS1_3genE8ELNS1_11target_archE1030ELNS1_3gpuE2ELNS1_3repE0EEENS1_30default_config_static_selectorELNS0_4arch9wavefront6targetE1EEEvT1_,comdat
	.protected	_ZN7rocprim17ROCPRIM_400000_NS6detail17trampoline_kernelINS0_14default_configENS1_20scan_config_selectorIjEEZZNS1_9scan_implILNS1_25lookback_scan_determinismE0ELb0ELb0ES3_N6thrust23THRUST_200600_302600_NS6detail15normal_iteratorINS9_10device_ptrIjEEEENS9_16discard_iteratorINS9_11use_defaultEEEjNS9_4plusIvEEjEEDaPvRmT3_T4_T5_mT6_P12ihipStream_tbENKUlT_T0_E_clISt17integral_constantIbLb1EESX_EEDaSS_ST_EUlSS_E0_NS1_11comp_targetILNS1_3genE8ELNS1_11target_archE1030ELNS1_3gpuE2ELNS1_3repE0EEENS1_30default_config_static_selectorELNS0_4arch9wavefront6targetE1EEEvT1_ ; -- Begin function _ZN7rocprim17ROCPRIM_400000_NS6detail17trampoline_kernelINS0_14default_configENS1_20scan_config_selectorIjEEZZNS1_9scan_implILNS1_25lookback_scan_determinismE0ELb0ELb0ES3_N6thrust23THRUST_200600_302600_NS6detail15normal_iteratorINS9_10device_ptrIjEEEENS9_16discard_iteratorINS9_11use_defaultEEEjNS9_4plusIvEEjEEDaPvRmT3_T4_T5_mT6_P12ihipStream_tbENKUlT_T0_E_clISt17integral_constantIbLb1EESX_EEDaSS_ST_EUlSS_E0_NS1_11comp_targetILNS1_3genE8ELNS1_11target_archE1030ELNS1_3gpuE2ELNS1_3repE0EEENS1_30default_config_static_selectorELNS0_4arch9wavefront6targetE1EEEvT1_
	.globl	_ZN7rocprim17ROCPRIM_400000_NS6detail17trampoline_kernelINS0_14default_configENS1_20scan_config_selectorIjEEZZNS1_9scan_implILNS1_25lookback_scan_determinismE0ELb0ELb0ES3_N6thrust23THRUST_200600_302600_NS6detail15normal_iteratorINS9_10device_ptrIjEEEENS9_16discard_iteratorINS9_11use_defaultEEEjNS9_4plusIvEEjEEDaPvRmT3_T4_T5_mT6_P12ihipStream_tbENKUlT_T0_E_clISt17integral_constantIbLb1EESX_EEDaSS_ST_EUlSS_E0_NS1_11comp_targetILNS1_3genE8ELNS1_11target_archE1030ELNS1_3gpuE2ELNS1_3repE0EEENS1_30default_config_static_selectorELNS0_4arch9wavefront6targetE1EEEvT1_
	.p2align	8
	.type	_ZN7rocprim17ROCPRIM_400000_NS6detail17trampoline_kernelINS0_14default_configENS1_20scan_config_selectorIjEEZZNS1_9scan_implILNS1_25lookback_scan_determinismE0ELb0ELb0ES3_N6thrust23THRUST_200600_302600_NS6detail15normal_iteratorINS9_10device_ptrIjEEEENS9_16discard_iteratorINS9_11use_defaultEEEjNS9_4plusIvEEjEEDaPvRmT3_T4_T5_mT6_P12ihipStream_tbENKUlT_T0_E_clISt17integral_constantIbLb1EESX_EEDaSS_ST_EUlSS_E0_NS1_11comp_targetILNS1_3genE8ELNS1_11target_archE1030ELNS1_3gpuE2ELNS1_3repE0EEENS1_30default_config_static_selectorELNS0_4arch9wavefront6targetE1EEEvT1_,@function
_ZN7rocprim17ROCPRIM_400000_NS6detail17trampoline_kernelINS0_14default_configENS1_20scan_config_selectorIjEEZZNS1_9scan_implILNS1_25lookback_scan_determinismE0ELb0ELb0ES3_N6thrust23THRUST_200600_302600_NS6detail15normal_iteratorINS9_10device_ptrIjEEEENS9_16discard_iteratorINS9_11use_defaultEEEjNS9_4plusIvEEjEEDaPvRmT3_T4_T5_mT6_P12ihipStream_tbENKUlT_T0_E_clISt17integral_constantIbLb1EESX_EEDaSS_ST_EUlSS_E0_NS1_11comp_targetILNS1_3genE8ELNS1_11target_archE1030ELNS1_3gpuE2ELNS1_3repE0EEENS1_30default_config_static_selectorELNS0_4arch9wavefront6targetE1EEEvT1_: ; @_ZN7rocprim17ROCPRIM_400000_NS6detail17trampoline_kernelINS0_14default_configENS1_20scan_config_selectorIjEEZZNS1_9scan_implILNS1_25lookback_scan_determinismE0ELb0ELb0ES3_N6thrust23THRUST_200600_302600_NS6detail15normal_iteratorINS9_10device_ptrIjEEEENS9_16discard_iteratorINS9_11use_defaultEEEjNS9_4plusIvEEjEEDaPvRmT3_T4_T5_mT6_P12ihipStream_tbENKUlT_T0_E_clISt17integral_constantIbLb1EESX_EEDaSS_ST_EUlSS_E0_NS1_11comp_targetILNS1_3genE8ELNS1_11target_archE1030ELNS1_3gpuE2ELNS1_3repE0EEENS1_30default_config_static_selectorELNS0_4arch9wavefront6targetE1EEEvT1_
; %bb.0:
	.section	.rodata,"a",@progbits
	.p2align	6, 0x0
	.amdhsa_kernel _ZN7rocprim17ROCPRIM_400000_NS6detail17trampoline_kernelINS0_14default_configENS1_20scan_config_selectorIjEEZZNS1_9scan_implILNS1_25lookback_scan_determinismE0ELb0ELb0ES3_N6thrust23THRUST_200600_302600_NS6detail15normal_iteratorINS9_10device_ptrIjEEEENS9_16discard_iteratorINS9_11use_defaultEEEjNS9_4plusIvEEjEEDaPvRmT3_T4_T5_mT6_P12ihipStream_tbENKUlT_T0_E_clISt17integral_constantIbLb1EESX_EEDaSS_ST_EUlSS_E0_NS1_11comp_targetILNS1_3genE8ELNS1_11target_archE1030ELNS1_3gpuE2ELNS1_3repE0EEENS1_30default_config_static_selectorELNS0_4arch9wavefront6targetE1EEEvT1_
		.amdhsa_group_segment_fixed_size 0
		.amdhsa_private_segment_fixed_size 0
		.amdhsa_kernarg_size 40
		.amdhsa_user_sgpr_count 6
		.amdhsa_user_sgpr_private_segment_buffer 1
		.amdhsa_user_sgpr_dispatch_ptr 0
		.amdhsa_user_sgpr_queue_ptr 0
		.amdhsa_user_sgpr_kernarg_segment_ptr 1
		.amdhsa_user_sgpr_dispatch_id 0
		.amdhsa_user_sgpr_flat_scratch_init 0
		.amdhsa_user_sgpr_kernarg_preload_length 0
		.amdhsa_user_sgpr_kernarg_preload_offset 0
		.amdhsa_user_sgpr_private_segment_size 0
		.amdhsa_uses_dynamic_stack 0
		.amdhsa_system_sgpr_private_segment_wavefront_offset 0
		.amdhsa_system_sgpr_workgroup_id_x 1
		.amdhsa_system_sgpr_workgroup_id_y 0
		.amdhsa_system_sgpr_workgroup_id_z 0
		.amdhsa_system_sgpr_workgroup_info 0
		.amdhsa_system_vgpr_workitem_id 0
		.amdhsa_next_free_vgpr 1
		.amdhsa_next_free_sgpr 0
		.amdhsa_accum_offset 4
		.amdhsa_reserve_vcc 0
		.amdhsa_reserve_flat_scratch 0
		.amdhsa_float_round_mode_32 0
		.amdhsa_float_round_mode_16_64 0
		.amdhsa_float_denorm_mode_32 3
		.amdhsa_float_denorm_mode_16_64 3
		.amdhsa_dx10_clamp 1
		.amdhsa_ieee_mode 1
		.amdhsa_fp16_overflow 0
		.amdhsa_tg_split 0
		.amdhsa_exception_fp_ieee_invalid_op 0
		.amdhsa_exception_fp_denorm_src 0
		.amdhsa_exception_fp_ieee_div_zero 0
		.amdhsa_exception_fp_ieee_overflow 0
		.amdhsa_exception_fp_ieee_underflow 0
		.amdhsa_exception_fp_ieee_inexact 0
		.amdhsa_exception_int_div_zero 0
	.end_amdhsa_kernel
	.section	.text._ZN7rocprim17ROCPRIM_400000_NS6detail17trampoline_kernelINS0_14default_configENS1_20scan_config_selectorIjEEZZNS1_9scan_implILNS1_25lookback_scan_determinismE0ELb0ELb0ES3_N6thrust23THRUST_200600_302600_NS6detail15normal_iteratorINS9_10device_ptrIjEEEENS9_16discard_iteratorINS9_11use_defaultEEEjNS9_4plusIvEEjEEDaPvRmT3_T4_T5_mT6_P12ihipStream_tbENKUlT_T0_E_clISt17integral_constantIbLb1EESX_EEDaSS_ST_EUlSS_E0_NS1_11comp_targetILNS1_3genE8ELNS1_11target_archE1030ELNS1_3gpuE2ELNS1_3repE0EEENS1_30default_config_static_selectorELNS0_4arch9wavefront6targetE1EEEvT1_,"axG",@progbits,_ZN7rocprim17ROCPRIM_400000_NS6detail17trampoline_kernelINS0_14default_configENS1_20scan_config_selectorIjEEZZNS1_9scan_implILNS1_25lookback_scan_determinismE0ELb0ELb0ES3_N6thrust23THRUST_200600_302600_NS6detail15normal_iteratorINS9_10device_ptrIjEEEENS9_16discard_iteratorINS9_11use_defaultEEEjNS9_4plusIvEEjEEDaPvRmT3_T4_T5_mT6_P12ihipStream_tbENKUlT_T0_E_clISt17integral_constantIbLb1EESX_EEDaSS_ST_EUlSS_E0_NS1_11comp_targetILNS1_3genE8ELNS1_11target_archE1030ELNS1_3gpuE2ELNS1_3repE0EEENS1_30default_config_static_selectorELNS0_4arch9wavefront6targetE1EEEvT1_,comdat
.Lfunc_end5329:
	.size	_ZN7rocprim17ROCPRIM_400000_NS6detail17trampoline_kernelINS0_14default_configENS1_20scan_config_selectorIjEEZZNS1_9scan_implILNS1_25lookback_scan_determinismE0ELb0ELb0ES3_N6thrust23THRUST_200600_302600_NS6detail15normal_iteratorINS9_10device_ptrIjEEEENS9_16discard_iteratorINS9_11use_defaultEEEjNS9_4plusIvEEjEEDaPvRmT3_T4_T5_mT6_P12ihipStream_tbENKUlT_T0_E_clISt17integral_constantIbLb1EESX_EEDaSS_ST_EUlSS_E0_NS1_11comp_targetILNS1_3genE8ELNS1_11target_archE1030ELNS1_3gpuE2ELNS1_3repE0EEENS1_30default_config_static_selectorELNS0_4arch9wavefront6targetE1EEEvT1_, .Lfunc_end5329-_ZN7rocprim17ROCPRIM_400000_NS6detail17trampoline_kernelINS0_14default_configENS1_20scan_config_selectorIjEEZZNS1_9scan_implILNS1_25lookback_scan_determinismE0ELb0ELb0ES3_N6thrust23THRUST_200600_302600_NS6detail15normal_iteratorINS9_10device_ptrIjEEEENS9_16discard_iteratorINS9_11use_defaultEEEjNS9_4plusIvEEjEEDaPvRmT3_T4_T5_mT6_P12ihipStream_tbENKUlT_T0_E_clISt17integral_constantIbLb1EESX_EEDaSS_ST_EUlSS_E0_NS1_11comp_targetILNS1_3genE8ELNS1_11target_archE1030ELNS1_3gpuE2ELNS1_3repE0EEENS1_30default_config_static_selectorELNS0_4arch9wavefront6targetE1EEEvT1_
                                        ; -- End function
	.section	.AMDGPU.csdata,"",@progbits
; Kernel info:
; codeLenInByte = 0
; NumSgprs: 4
; NumVgprs: 0
; NumAgprs: 0
; TotalNumVgprs: 0
; ScratchSize: 0
; MemoryBound: 0
; FloatMode: 240
; IeeeMode: 1
; LDSByteSize: 0 bytes/workgroup (compile time only)
; SGPRBlocks: 0
; VGPRBlocks: 0
; NumSGPRsForWavesPerEU: 4
; NumVGPRsForWavesPerEU: 1
; AccumOffset: 4
; Occupancy: 8
; WaveLimiterHint : 0
; COMPUTE_PGM_RSRC2:SCRATCH_EN: 0
; COMPUTE_PGM_RSRC2:USER_SGPR: 6
; COMPUTE_PGM_RSRC2:TRAP_HANDLER: 0
; COMPUTE_PGM_RSRC2:TGID_X_EN: 1
; COMPUTE_PGM_RSRC2:TGID_Y_EN: 0
; COMPUTE_PGM_RSRC2:TGID_Z_EN: 0
; COMPUTE_PGM_RSRC2:TIDIG_COMP_CNT: 0
; COMPUTE_PGM_RSRC3_GFX90A:ACCUM_OFFSET: 0
; COMPUTE_PGM_RSRC3_GFX90A:TG_SPLIT: 0
	.section	.text._ZN7rocprim17ROCPRIM_400000_NS6detail17trampoline_kernelINS0_14default_configENS1_20scan_config_selectorIjEEZZNS1_9scan_implILNS1_25lookback_scan_determinismE0ELb0ELb0ES3_N6thrust23THRUST_200600_302600_NS6detail15normal_iteratorINS9_10device_ptrIjEEEENS9_16discard_iteratorINS9_11use_defaultEEEjNS9_4plusIvEEjEEDaPvRmT3_T4_T5_mT6_P12ihipStream_tbENKUlT_T0_E_clISt17integral_constantIbLb1EESW_IbLb0EEEEDaSS_ST_EUlSS_E_NS1_11comp_targetILNS1_3genE0ELNS1_11target_archE4294967295ELNS1_3gpuE0ELNS1_3repE0EEENS1_30default_config_static_selectorELNS0_4arch9wavefront6targetE1EEEvT1_,"axG",@progbits,_ZN7rocprim17ROCPRIM_400000_NS6detail17trampoline_kernelINS0_14default_configENS1_20scan_config_selectorIjEEZZNS1_9scan_implILNS1_25lookback_scan_determinismE0ELb0ELb0ES3_N6thrust23THRUST_200600_302600_NS6detail15normal_iteratorINS9_10device_ptrIjEEEENS9_16discard_iteratorINS9_11use_defaultEEEjNS9_4plusIvEEjEEDaPvRmT3_T4_T5_mT6_P12ihipStream_tbENKUlT_T0_E_clISt17integral_constantIbLb1EESW_IbLb0EEEEDaSS_ST_EUlSS_E_NS1_11comp_targetILNS1_3genE0ELNS1_11target_archE4294967295ELNS1_3gpuE0ELNS1_3repE0EEENS1_30default_config_static_selectorELNS0_4arch9wavefront6targetE1EEEvT1_,comdat
	.protected	_ZN7rocprim17ROCPRIM_400000_NS6detail17trampoline_kernelINS0_14default_configENS1_20scan_config_selectorIjEEZZNS1_9scan_implILNS1_25lookback_scan_determinismE0ELb0ELb0ES3_N6thrust23THRUST_200600_302600_NS6detail15normal_iteratorINS9_10device_ptrIjEEEENS9_16discard_iteratorINS9_11use_defaultEEEjNS9_4plusIvEEjEEDaPvRmT3_T4_T5_mT6_P12ihipStream_tbENKUlT_T0_E_clISt17integral_constantIbLb1EESW_IbLb0EEEEDaSS_ST_EUlSS_E_NS1_11comp_targetILNS1_3genE0ELNS1_11target_archE4294967295ELNS1_3gpuE0ELNS1_3repE0EEENS1_30default_config_static_selectorELNS0_4arch9wavefront6targetE1EEEvT1_ ; -- Begin function _ZN7rocprim17ROCPRIM_400000_NS6detail17trampoline_kernelINS0_14default_configENS1_20scan_config_selectorIjEEZZNS1_9scan_implILNS1_25lookback_scan_determinismE0ELb0ELb0ES3_N6thrust23THRUST_200600_302600_NS6detail15normal_iteratorINS9_10device_ptrIjEEEENS9_16discard_iteratorINS9_11use_defaultEEEjNS9_4plusIvEEjEEDaPvRmT3_T4_T5_mT6_P12ihipStream_tbENKUlT_T0_E_clISt17integral_constantIbLb1EESW_IbLb0EEEEDaSS_ST_EUlSS_E_NS1_11comp_targetILNS1_3genE0ELNS1_11target_archE4294967295ELNS1_3gpuE0ELNS1_3repE0EEENS1_30default_config_static_selectorELNS0_4arch9wavefront6targetE1EEEvT1_
	.globl	_ZN7rocprim17ROCPRIM_400000_NS6detail17trampoline_kernelINS0_14default_configENS1_20scan_config_selectorIjEEZZNS1_9scan_implILNS1_25lookback_scan_determinismE0ELb0ELb0ES3_N6thrust23THRUST_200600_302600_NS6detail15normal_iteratorINS9_10device_ptrIjEEEENS9_16discard_iteratorINS9_11use_defaultEEEjNS9_4plusIvEEjEEDaPvRmT3_T4_T5_mT6_P12ihipStream_tbENKUlT_T0_E_clISt17integral_constantIbLb1EESW_IbLb0EEEEDaSS_ST_EUlSS_E_NS1_11comp_targetILNS1_3genE0ELNS1_11target_archE4294967295ELNS1_3gpuE0ELNS1_3repE0EEENS1_30default_config_static_selectorELNS0_4arch9wavefront6targetE1EEEvT1_
	.p2align	8
	.type	_ZN7rocprim17ROCPRIM_400000_NS6detail17trampoline_kernelINS0_14default_configENS1_20scan_config_selectorIjEEZZNS1_9scan_implILNS1_25lookback_scan_determinismE0ELb0ELb0ES3_N6thrust23THRUST_200600_302600_NS6detail15normal_iteratorINS9_10device_ptrIjEEEENS9_16discard_iteratorINS9_11use_defaultEEEjNS9_4plusIvEEjEEDaPvRmT3_T4_T5_mT6_P12ihipStream_tbENKUlT_T0_E_clISt17integral_constantIbLb1EESW_IbLb0EEEEDaSS_ST_EUlSS_E_NS1_11comp_targetILNS1_3genE0ELNS1_11target_archE4294967295ELNS1_3gpuE0ELNS1_3repE0EEENS1_30default_config_static_selectorELNS0_4arch9wavefront6targetE1EEEvT1_,@function
_ZN7rocprim17ROCPRIM_400000_NS6detail17trampoline_kernelINS0_14default_configENS1_20scan_config_selectorIjEEZZNS1_9scan_implILNS1_25lookback_scan_determinismE0ELb0ELb0ES3_N6thrust23THRUST_200600_302600_NS6detail15normal_iteratorINS9_10device_ptrIjEEEENS9_16discard_iteratorINS9_11use_defaultEEEjNS9_4plusIvEEjEEDaPvRmT3_T4_T5_mT6_P12ihipStream_tbENKUlT_T0_E_clISt17integral_constantIbLb1EESW_IbLb0EEEEDaSS_ST_EUlSS_E_NS1_11comp_targetILNS1_3genE0ELNS1_11target_archE4294967295ELNS1_3gpuE0ELNS1_3repE0EEENS1_30default_config_static_selectorELNS0_4arch9wavefront6targetE1EEEvT1_: ; @_ZN7rocprim17ROCPRIM_400000_NS6detail17trampoline_kernelINS0_14default_configENS1_20scan_config_selectorIjEEZZNS1_9scan_implILNS1_25lookback_scan_determinismE0ELb0ELb0ES3_N6thrust23THRUST_200600_302600_NS6detail15normal_iteratorINS9_10device_ptrIjEEEENS9_16discard_iteratorINS9_11use_defaultEEEjNS9_4plusIvEEjEEDaPvRmT3_T4_T5_mT6_P12ihipStream_tbENKUlT_T0_E_clISt17integral_constantIbLb1EESW_IbLb0EEEEDaSS_ST_EUlSS_E_NS1_11comp_targetILNS1_3genE0ELNS1_11target_archE4294967295ELNS1_3gpuE0ELNS1_3repE0EEENS1_30default_config_static_selectorELNS0_4arch9wavefront6targetE1EEEvT1_
; %bb.0:
	.section	.rodata,"a",@progbits
	.p2align	6, 0x0
	.amdhsa_kernel _ZN7rocprim17ROCPRIM_400000_NS6detail17trampoline_kernelINS0_14default_configENS1_20scan_config_selectorIjEEZZNS1_9scan_implILNS1_25lookback_scan_determinismE0ELb0ELb0ES3_N6thrust23THRUST_200600_302600_NS6detail15normal_iteratorINS9_10device_ptrIjEEEENS9_16discard_iteratorINS9_11use_defaultEEEjNS9_4plusIvEEjEEDaPvRmT3_T4_T5_mT6_P12ihipStream_tbENKUlT_T0_E_clISt17integral_constantIbLb1EESW_IbLb0EEEEDaSS_ST_EUlSS_E_NS1_11comp_targetILNS1_3genE0ELNS1_11target_archE4294967295ELNS1_3gpuE0ELNS1_3repE0EEENS1_30default_config_static_selectorELNS0_4arch9wavefront6targetE1EEEvT1_
		.amdhsa_group_segment_fixed_size 0
		.amdhsa_private_segment_fixed_size 0
		.amdhsa_kernarg_size 104
		.amdhsa_user_sgpr_count 6
		.amdhsa_user_sgpr_private_segment_buffer 1
		.amdhsa_user_sgpr_dispatch_ptr 0
		.amdhsa_user_sgpr_queue_ptr 0
		.amdhsa_user_sgpr_kernarg_segment_ptr 1
		.amdhsa_user_sgpr_dispatch_id 0
		.amdhsa_user_sgpr_flat_scratch_init 0
		.amdhsa_user_sgpr_kernarg_preload_length 0
		.amdhsa_user_sgpr_kernarg_preload_offset 0
		.amdhsa_user_sgpr_private_segment_size 0
		.amdhsa_uses_dynamic_stack 0
		.amdhsa_system_sgpr_private_segment_wavefront_offset 0
		.amdhsa_system_sgpr_workgroup_id_x 1
		.amdhsa_system_sgpr_workgroup_id_y 0
		.amdhsa_system_sgpr_workgroup_id_z 0
		.amdhsa_system_sgpr_workgroup_info 0
		.amdhsa_system_vgpr_workitem_id 0
		.amdhsa_next_free_vgpr 1
		.amdhsa_next_free_sgpr 0
		.amdhsa_accum_offset 4
		.amdhsa_reserve_vcc 0
		.amdhsa_reserve_flat_scratch 0
		.amdhsa_float_round_mode_32 0
		.amdhsa_float_round_mode_16_64 0
		.amdhsa_float_denorm_mode_32 3
		.amdhsa_float_denorm_mode_16_64 3
		.amdhsa_dx10_clamp 1
		.amdhsa_ieee_mode 1
		.amdhsa_fp16_overflow 0
		.amdhsa_tg_split 0
		.amdhsa_exception_fp_ieee_invalid_op 0
		.amdhsa_exception_fp_denorm_src 0
		.amdhsa_exception_fp_ieee_div_zero 0
		.amdhsa_exception_fp_ieee_overflow 0
		.amdhsa_exception_fp_ieee_underflow 0
		.amdhsa_exception_fp_ieee_inexact 0
		.amdhsa_exception_int_div_zero 0
	.end_amdhsa_kernel
	.section	.text._ZN7rocprim17ROCPRIM_400000_NS6detail17trampoline_kernelINS0_14default_configENS1_20scan_config_selectorIjEEZZNS1_9scan_implILNS1_25lookback_scan_determinismE0ELb0ELb0ES3_N6thrust23THRUST_200600_302600_NS6detail15normal_iteratorINS9_10device_ptrIjEEEENS9_16discard_iteratorINS9_11use_defaultEEEjNS9_4plusIvEEjEEDaPvRmT3_T4_T5_mT6_P12ihipStream_tbENKUlT_T0_E_clISt17integral_constantIbLb1EESW_IbLb0EEEEDaSS_ST_EUlSS_E_NS1_11comp_targetILNS1_3genE0ELNS1_11target_archE4294967295ELNS1_3gpuE0ELNS1_3repE0EEENS1_30default_config_static_selectorELNS0_4arch9wavefront6targetE1EEEvT1_,"axG",@progbits,_ZN7rocprim17ROCPRIM_400000_NS6detail17trampoline_kernelINS0_14default_configENS1_20scan_config_selectorIjEEZZNS1_9scan_implILNS1_25lookback_scan_determinismE0ELb0ELb0ES3_N6thrust23THRUST_200600_302600_NS6detail15normal_iteratorINS9_10device_ptrIjEEEENS9_16discard_iteratorINS9_11use_defaultEEEjNS9_4plusIvEEjEEDaPvRmT3_T4_T5_mT6_P12ihipStream_tbENKUlT_T0_E_clISt17integral_constantIbLb1EESW_IbLb0EEEEDaSS_ST_EUlSS_E_NS1_11comp_targetILNS1_3genE0ELNS1_11target_archE4294967295ELNS1_3gpuE0ELNS1_3repE0EEENS1_30default_config_static_selectorELNS0_4arch9wavefront6targetE1EEEvT1_,comdat
.Lfunc_end5330:
	.size	_ZN7rocprim17ROCPRIM_400000_NS6detail17trampoline_kernelINS0_14default_configENS1_20scan_config_selectorIjEEZZNS1_9scan_implILNS1_25lookback_scan_determinismE0ELb0ELb0ES3_N6thrust23THRUST_200600_302600_NS6detail15normal_iteratorINS9_10device_ptrIjEEEENS9_16discard_iteratorINS9_11use_defaultEEEjNS9_4plusIvEEjEEDaPvRmT3_T4_T5_mT6_P12ihipStream_tbENKUlT_T0_E_clISt17integral_constantIbLb1EESW_IbLb0EEEEDaSS_ST_EUlSS_E_NS1_11comp_targetILNS1_3genE0ELNS1_11target_archE4294967295ELNS1_3gpuE0ELNS1_3repE0EEENS1_30default_config_static_selectorELNS0_4arch9wavefront6targetE1EEEvT1_, .Lfunc_end5330-_ZN7rocprim17ROCPRIM_400000_NS6detail17trampoline_kernelINS0_14default_configENS1_20scan_config_selectorIjEEZZNS1_9scan_implILNS1_25lookback_scan_determinismE0ELb0ELb0ES3_N6thrust23THRUST_200600_302600_NS6detail15normal_iteratorINS9_10device_ptrIjEEEENS9_16discard_iteratorINS9_11use_defaultEEEjNS9_4plusIvEEjEEDaPvRmT3_T4_T5_mT6_P12ihipStream_tbENKUlT_T0_E_clISt17integral_constantIbLb1EESW_IbLb0EEEEDaSS_ST_EUlSS_E_NS1_11comp_targetILNS1_3genE0ELNS1_11target_archE4294967295ELNS1_3gpuE0ELNS1_3repE0EEENS1_30default_config_static_selectorELNS0_4arch9wavefront6targetE1EEEvT1_
                                        ; -- End function
	.section	.AMDGPU.csdata,"",@progbits
; Kernel info:
; codeLenInByte = 0
; NumSgprs: 4
; NumVgprs: 0
; NumAgprs: 0
; TotalNumVgprs: 0
; ScratchSize: 0
; MemoryBound: 0
; FloatMode: 240
; IeeeMode: 1
; LDSByteSize: 0 bytes/workgroup (compile time only)
; SGPRBlocks: 0
; VGPRBlocks: 0
; NumSGPRsForWavesPerEU: 4
; NumVGPRsForWavesPerEU: 1
; AccumOffset: 4
; Occupancy: 8
; WaveLimiterHint : 0
; COMPUTE_PGM_RSRC2:SCRATCH_EN: 0
; COMPUTE_PGM_RSRC2:USER_SGPR: 6
; COMPUTE_PGM_RSRC2:TRAP_HANDLER: 0
; COMPUTE_PGM_RSRC2:TGID_X_EN: 1
; COMPUTE_PGM_RSRC2:TGID_Y_EN: 0
; COMPUTE_PGM_RSRC2:TGID_Z_EN: 0
; COMPUTE_PGM_RSRC2:TIDIG_COMP_CNT: 0
; COMPUTE_PGM_RSRC3_GFX90A:ACCUM_OFFSET: 0
; COMPUTE_PGM_RSRC3_GFX90A:TG_SPLIT: 0
	.section	.text._ZN7rocprim17ROCPRIM_400000_NS6detail17trampoline_kernelINS0_14default_configENS1_20scan_config_selectorIjEEZZNS1_9scan_implILNS1_25lookback_scan_determinismE0ELb0ELb0ES3_N6thrust23THRUST_200600_302600_NS6detail15normal_iteratorINS9_10device_ptrIjEEEENS9_16discard_iteratorINS9_11use_defaultEEEjNS9_4plusIvEEjEEDaPvRmT3_T4_T5_mT6_P12ihipStream_tbENKUlT_T0_E_clISt17integral_constantIbLb1EESW_IbLb0EEEEDaSS_ST_EUlSS_E_NS1_11comp_targetILNS1_3genE5ELNS1_11target_archE942ELNS1_3gpuE9ELNS1_3repE0EEENS1_30default_config_static_selectorELNS0_4arch9wavefront6targetE1EEEvT1_,"axG",@progbits,_ZN7rocprim17ROCPRIM_400000_NS6detail17trampoline_kernelINS0_14default_configENS1_20scan_config_selectorIjEEZZNS1_9scan_implILNS1_25lookback_scan_determinismE0ELb0ELb0ES3_N6thrust23THRUST_200600_302600_NS6detail15normal_iteratorINS9_10device_ptrIjEEEENS9_16discard_iteratorINS9_11use_defaultEEEjNS9_4plusIvEEjEEDaPvRmT3_T4_T5_mT6_P12ihipStream_tbENKUlT_T0_E_clISt17integral_constantIbLb1EESW_IbLb0EEEEDaSS_ST_EUlSS_E_NS1_11comp_targetILNS1_3genE5ELNS1_11target_archE942ELNS1_3gpuE9ELNS1_3repE0EEENS1_30default_config_static_selectorELNS0_4arch9wavefront6targetE1EEEvT1_,comdat
	.protected	_ZN7rocprim17ROCPRIM_400000_NS6detail17trampoline_kernelINS0_14default_configENS1_20scan_config_selectorIjEEZZNS1_9scan_implILNS1_25lookback_scan_determinismE0ELb0ELb0ES3_N6thrust23THRUST_200600_302600_NS6detail15normal_iteratorINS9_10device_ptrIjEEEENS9_16discard_iteratorINS9_11use_defaultEEEjNS9_4plusIvEEjEEDaPvRmT3_T4_T5_mT6_P12ihipStream_tbENKUlT_T0_E_clISt17integral_constantIbLb1EESW_IbLb0EEEEDaSS_ST_EUlSS_E_NS1_11comp_targetILNS1_3genE5ELNS1_11target_archE942ELNS1_3gpuE9ELNS1_3repE0EEENS1_30default_config_static_selectorELNS0_4arch9wavefront6targetE1EEEvT1_ ; -- Begin function _ZN7rocprim17ROCPRIM_400000_NS6detail17trampoline_kernelINS0_14default_configENS1_20scan_config_selectorIjEEZZNS1_9scan_implILNS1_25lookback_scan_determinismE0ELb0ELb0ES3_N6thrust23THRUST_200600_302600_NS6detail15normal_iteratorINS9_10device_ptrIjEEEENS9_16discard_iteratorINS9_11use_defaultEEEjNS9_4plusIvEEjEEDaPvRmT3_T4_T5_mT6_P12ihipStream_tbENKUlT_T0_E_clISt17integral_constantIbLb1EESW_IbLb0EEEEDaSS_ST_EUlSS_E_NS1_11comp_targetILNS1_3genE5ELNS1_11target_archE942ELNS1_3gpuE9ELNS1_3repE0EEENS1_30default_config_static_selectorELNS0_4arch9wavefront6targetE1EEEvT1_
	.globl	_ZN7rocprim17ROCPRIM_400000_NS6detail17trampoline_kernelINS0_14default_configENS1_20scan_config_selectorIjEEZZNS1_9scan_implILNS1_25lookback_scan_determinismE0ELb0ELb0ES3_N6thrust23THRUST_200600_302600_NS6detail15normal_iteratorINS9_10device_ptrIjEEEENS9_16discard_iteratorINS9_11use_defaultEEEjNS9_4plusIvEEjEEDaPvRmT3_T4_T5_mT6_P12ihipStream_tbENKUlT_T0_E_clISt17integral_constantIbLb1EESW_IbLb0EEEEDaSS_ST_EUlSS_E_NS1_11comp_targetILNS1_3genE5ELNS1_11target_archE942ELNS1_3gpuE9ELNS1_3repE0EEENS1_30default_config_static_selectorELNS0_4arch9wavefront6targetE1EEEvT1_
	.p2align	8
	.type	_ZN7rocprim17ROCPRIM_400000_NS6detail17trampoline_kernelINS0_14default_configENS1_20scan_config_selectorIjEEZZNS1_9scan_implILNS1_25lookback_scan_determinismE0ELb0ELb0ES3_N6thrust23THRUST_200600_302600_NS6detail15normal_iteratorINS9_10device_ptrIjEEEENS9_16discard_iteratorINS9_11use_defaultEEEjNS9_4plusIvEEjEEDaPvRmT3_T4_T5_mT6_P12ihipStream_tbENKUlT_T0_E_clISt17integral_constantIbLb1EESW_IbLb0EEEEDaSS_ST_EUlSS_E_NS1_11comp_targetILNS1_3genE5ELNS1_11target_archE942ELNS1_3gpuE9ELNS1_3repE0EEENS1_30default_config_static_selectorELNS0_4arch9wavefront6targetE1EEEvT1_,@function
_ZN7rocprim17ROCPRIM_400000_NS6detail17trampoline_kernelINS0_14default_configENS1_20scan_config_selectorIjEEZZNS1_9scan_implILNS1_25lookback_scan_determinismE0ELb0ELb0ES3_N6thrust23THRUST_200600_302600_NS6detail15normal_iteratorINS9_10device_ptrIjEEEENS9_16discard_iteratorINS9_11use_defaultEEEjNS9_4plusIvEEjEEDaPvRmT3_T4_T5_mT6_P12ihipStream_tbENKUlT_T0_E_clISt17integral_constantIbLb1EESW_IbLb0EEEEDaSS_ST_EUlSS_E_NS1_11comp_targetILNS1_3genE5ELNS1_11target_archE942ELNS1_3gpuE9ELNS1_3repE0EEENS1_30default_config_static_selectorELNS0_4arch9wavefront6targetE1EEEvT1_: ; @_ZN7rocprim17ROCPRIM_400000_NS6detail17trampoline_kernelINS0_14default_configENS1_20scan_config_selectorIjEEZZNS1_9scan_implILNS1_25lookback_scan_determinismE0ELb0ELb0ES3_N6thrust23THRUST_200600_302600_NS6detail15normal_iteratorINS9_10device_ptrIjEEEENS9_16discard_iteratorINS9_11use_defaultEEEjNS9_4plusIvEEjEEDaPvRmT3_T4_T5_mT6_P12ihipStream_tbENKUlT_T0_E_clISt17integral_constantIbLb1EESW_IbLb0EEEEDaSS_ST_EUlSS_E_NS1_11comp_targetILNS1_3genE5ELNS1_11target_archE942ELNS1_3gpuE9ELNS1_3repE0EEENS1_30default_config_static_selectorELNS0_4arch9wavefront6targetE1EEEvT1_
; %bb.0:
	.section	.rodata,"a",@progbits
	.p2align	6, 0x0
	.amdhsa_kernel _ZN7rocprim17ROCPRIM_400000_NS6detail17trampoline_kernelINS0_14default_configENS1_20scan_config_selectorIjEEZZNS1_9scan_implILNS1_25lookback_scan_determinismE0ELb0ELb0ES3_N6thrust23THRUST_200600_302600_NS6detail15normal_iteratorINS9_10device_ptrIjEEEENS9_16discard_iteratorINS9_11use_defaultEEEjNS9_4plusIvEEjEEDaPvRmT3_T4_T5_mT6_P12ihipStream_tbENKUlT_T0_E_clISt17integral_constantIbLb1EESW_IbLb0EEEEDaSS_ST_EUlSS_E_NS1_11comp_targetILNS1_3genE5ELNS1_11target_archE942ELNS1_3gpuE9ELNS1_3repE0EEENS1_30default_config_static_selectorELNS0_4arch9wavefront6targetE1EEEvT1_
		.amdhsa_group_segment_fixed_size 0
		.amdhsa_private_segment_fixed_size 0
		.amdhsa_kernarg_size 104
		.amdhsa_user_sgpr_count 6
		.amdhsa_user_sgpr_private_segment_buffer 1
		.amdhsa_user_sgpr_dispatch_ptr 0
		.amdhsa_user_sgpr_queue_ptr 0
		.amdhsa_user_sgpr_kernarg_segment_ptr 1
		.amdhsa_user_sgpr_dispatch_id 0
		.amdhsa_user_sgpr_flat_scratch_init 0
		.amdhsa_user_sgpr_kernarg_preload_length 0
		.amdhsa_user_sgpr_kernarg_preload_offset 0
		.amdhsa_user_sgpr_private_segment_size 0
		.amdhsa_uses_dynamic_stack 0
		.amdhsa_system_sgpr_private_segment_wavefront_offset 0
		.amdhsa_system_sgpr_workgroup_id_x 1
		.amdhsa_system_sgpr_workgroup_id_y 0
		.amdhsa_system_sgpr_workgroup_id_z 0
		.amdhsa_system_sgpr_workgroup_info 0
		.amdhsa_system_vgpr_workitem_id 0
		.amdhsa_next_free_vgpr 1
		.amdhsa_next_free_sgpr 0
		.amdhsa_accum_offset 4
		.amdhsa_reserve_vcc 0
		.amdhsa_reserve_flat_scratch 0
		.amdhsa_float_round_mode_32 0
		.amdhsa_float_round_mode_16_64 0
		.amdhsa_float_denorm_mode_32 3
		.amdhsa_float_denorm_mode_16_64 3
		.amdhsa_dx10_clamp 1
		.amdhsa_ieee_mode 1
		.amdhsa_fp16_overflow 0
		.amdhsa_tg_split 0
		.amdhsa_exception_fp_ieee_invalid_op 0
		.amdhsa_exception_fp_denorm_src 0
		.amdhsa_exception_fp_ieee_div_zero 0
		.amdhsa_exception_fp_ieee_overflow 0
		.amdhsa_exception_fp_ieee_underflow 0
		.amdhsa_exception_fp_ieee_inexact 0
		.amdhsa_exception_int_div_zero 0
	.end_amdhsa_kernel
	.section	.text._ZN7rocprim17ROCPRIM_400000_NS6detail17trampoline_kernelINS0_14default_configENS1_20scan_config_selectorIjEEZZNS1_9scan_implILNS1_25lookback_scan_determinismE0ELb0ELb0ES3_N6thrust23THRUST_200600_302600_NS6detail15normal_iteratorINS9_10device_ptrIjEEEENS9_16discard_iteratorINS9_11use_defaultEEEjNS9_4plusIvEEjEEDaPvRmT3_T4_T5_mT6_P12ihipStream_tbENKUlT_T0_E_clISt17integral_constantIbLb1EESW_IbLb0EEEEDaSS_ST_EUlSS_E_NS1_11comp_targetILNS1_3genE5ELNS1_11target_archE942ELNS1_3gpuE9ELNS1_3repE0EEENS1_30default_config_static_selectorELNS0_4arch9wavefront6targetE1EEEvT1_,"axG",@progbits,_ZN7rocprim17ROCPRIM_400000_NS6detail17trampoline_kernelINS0_14default_configENS1_20scan_config_selectorIjEEZZNS1_9scan_implILNS1_25lookback_scan_determinismE0ELb0ELb0ES3_N6thrust23THRUST_200600_302600_NS6detail15normal_iteratorINS9_10device_ptrIjEEEENS9_16discard_iteratorINS9_11use_defaultEEEjNS9_4plusIvEEjEEDaPvRmT3_T4_T5_mT6_P12ihipStream_tbENKUlT_T0_E_clISt17integral_constantIbLb1EESW_IbLb0EEEEDaSS_ST_EUlSS_E_NS1_11comp_targetILNS1_3genE5ELNS1_11target_archE942ELNS1_3gpuE9ELNS1_3repE0EEENS1_30default_config_static_selectorELNS0_4arch9wavefront6targetE1EEEvT1_,comdat
.Lfunc_end5331:
	.size	_ZN7rocprim17ROCPRIM_400000_NS6detail17trampoline_kernelINS0_14default_configENS1_20scan_config_selectorIjEEZZNS1_9scan_implILNS1_25lookback_scan_determinismE0ELb0ELb0ES3_N6thrust23THRUST_200600_302600_NS6detail15normal_iteratorINS9_10device_ptrIjEEEENS9_16discard_iteratorINS9_11use_defaultEEEjNS9_4plusIvEEjEEDaPvRmT3_T4_T5_mT6_P12ihipStream_tbENKUlT_T0_E_clISt17integral_constantIbLb1EESW_IbLb0EEEEDaSS_ST_EUlSS_E_NS1_11comp_targetILNS1_3genE5ELNS1_11target_archE942ELNS1_3gpuE9ELNS1_3repE0EEENS1_30default_config_static_selectorELNS0_4arch9wavefront6targetE1EEEvT1_, .Lfunc_end5331-_ZN7rocprim17ROCPRIM_400000_NS6detail17trampoline_kernelINS0_14default_configENS1_20scan_config_selectorIjEEZZNS1_9scan_implILNS1_25lookback_scan_determinismE0ELb0ELb0ES3_N6thrust23THRUST_200600_302600_NS6detail15normal_iteratorINS9_10device_ptrIjEEEENS9_16discard_iteratorINS9_11use_defaultEEEjNS9_4plusIvEEjEEDaPvRmT3_T4_T5_mT6_P12ihipStream_tbENKUlT_T0_E_clISt17integral_constantIbLb1EESW_IbLb0EEEEDaSS_ST_EUlSS_E_NS1_11comp_targetILNS1_3genE5ELNS1_11target_archE942ELNS1_3gpuE9ELNS1_3repE0EEENS1_30default_config_static_selectorELNS0_4arch9wavefront6targetE1EEEvT1_
                                        ; -- End function
	.section	.AMDGPU.csdata,"",@progbits
; Kernel info:
; codeLenInByte = 0
; NumSgprs: 4
; NumVgprs: 0
; NumAgprs: 0
; TotalNumVgprs: 0
; ScratchSize: 0
; MemoryBound: 0
; FloatMode: 240
; IeeeMode: 1
; LDSByteSize: 0 bytes/workgroup (compile time only)
; SGPRBlocks: 0
; VGPRBlocks: 0
; NumSGPRsForWavesPerEU: 4
; NumVGPRsForWavesPerEU: 1
; AccumOffset: 4
; Occupancy: 8
; WaveLimiterHint : 0
; COMPUTE_PGM_RSRC2:SCRATCH_EN: 0
; COMPUTE_PGM_RSRC2:USER_SGPR: 6
; COMPUTE_PGM_RSRC2:TRAP_HANDLER: 0
; COMPUTE_PGM_RSRC2:TGID_X_EN: 1
; COMPUTE_PGM_RSRC2:TGID_Y_EN: 0
; COMPUTE_PGM_RSRC2:TGID_Z_EN: 0
; COMPUTE_PGM_RSRC2:TIDIG_COMP_CNT: 0
; COMPUTE_PGM_RSRC3_GFX90A:ACCUM_OFFSET: 0
; COMPUTE_PGM_RSRC3_GFX90A:TG_SPLIT: 0
	.section	.text._ZN7rocprim17ROCPRIM_400000_NS6detail17trampoline_kernelINS0_14default_configENS1_20scan_config_selectorIjEEZZNS1_9scan_implILNS1_25lookback_scan_determinismE0ELb0ELb0ES3_N6thrust23THRUST_200600_302600_NS6detail15normal_iteratorINS9_10device_ptrIjEEEENS9_16discard_iteratorINS9_11use_defaultEEEjNS9_4plusIvEEjEEDaPvRmT3_T4_T5_mT6_P12ihipStream_tbENKUlT_T0_E_clISt17integral_constantIbLb1EESW_IbLb0EEEEDaSS_ST_EUlSS_E_NS1_11comp_targetILNS1_3genE4ELNS1_11target_archE910ELNS1_3gpuE8ELNS1_3repE0EEENS1_30default_config_static_selectorELNS0_4arch9wavefront6targetE1EEEvT1_,"axG",@progbits,_ZN7rocprim17ROCPRIM_400000_NS6detail17trampoline_kernelINS0_14default_configENS1_20scan_config_selectorIjEEZZNS1_9scan_implILNS1_25lookback_scan_determinismE0ELb0ELb0ES3_N6thrust23THRUST_200600_302600_NS6detail15normal_iteratorINS9_10device_ptrIjEEEENS9_16discard_iteratorINS9_11use_defaultEEEjNS9_4plusIvEEjEEDaPvRmT3_T4_T5_mT6_P12ihipStream_tbENKUlT_T0_E_clISt17integral_constantIbLb1EESW_IbLb0EEEEDaSS_ST_EUlSS_E_NS1_11comp_targetILNS1_3genE4ELNS1_11target_archE910ELNS1_3gpuE8ELNS1_3repE0EEENS1_30default_config_static_selectorELNS0_4arch9wavefront6targetE1EEEvT1_,comdat
	.protected	_ZN7rocprim17ROCPRIM_400000_NS6detail17trampoline_kernelINS0_14default_configENS1_20scan_config_selectorIjEEZZNS1_9scan_implILNS1_25lookback_scan_determinismE0ELb0ELb0ES3_N6thrust23THRUST_200600_302600_NS6detail15normal_iteratorINS9_10device_ptrIjEEEENS9_16discard_iteratorINS9_11use_defaultEEEjNS9_4plusIvEEjEEDaPvRmT3_T4_T5_mT6_P12ihipStream_tbENKUlT_T0_E_clISt17integral_constantIbLb1EESW_IbLb0EEEEDaSS_ST_EUlSS_E_NS1_11comp_targetILNS1_3genE4ELNS1_11target_archE910ELNS1_3gpuE8ELNS1_3repE0EEENS1_30default_config_static_selectorELNS0_4arch9wavefront6targetE1EEEvT1_ ; -- Begin function _ZN7rocprim17ROCPRIM_400000_NS6detail17trampoline_kernelINS0_14default_configENS1_20scan_config_selectorIjEEZZNS1_9scan_implILNS1_25lookback_scan_determinismE0ELb0ELb0ES3_N6thrust23THRUST_200600_302600_NS6detail15normal_iteratorINS9_10device_ptrIjEEEENS9_16discard_iteratorINS9_11use_defaultEEEjNS9_4plusIvEEjEEDaPvRmT3_T4_T5_mT6_P12ihipStream_tbENKUlT_T0_E_clISt17integral_constantIbLb1EESW_IbLb0EEEEDaSS_ST_EUlSS_E_NS1_11comp_targetILNS1_3genE4ELNS1_11target_archE910ELNS1_3gpuE8ELNS1_3repE0EEENS1_30default_config_static_selectorELNS0_4arch9wavefront6targetE1EEEvT1_
	.globl	_ZN7rocprim17ROCPRIM_400000_NS6detail17trampoline_kernelINS0_14default_configENS1_20scan_config_selectorIjEEZZNS1_9scan_implILNS1_25lookback_scan_determinismE0ELb0ELb0ES3_N6thrust23THRUST_200600_302600_NS6detail15normal_iteratorINS9_10device_ptrIjEEEENS9_16discard_iteratorINS9_11use_defaultEEEjNS9_4plusIvEEjEEDaPvRmT3_T4_T5_mT6_P12ihipStream_tbENKUlT_T0_E_clISt17integral_constantIbLb1EESW_IbLb0EEEEDaSS_ST_EUlSS_E_NS1_11comp_targetILNS1_3genE4ELNS1_11target_archE910ELNS1_3gpuE8ELNS1_3repE0EEENS1_30default_config_static_selectorELNS0_4arch9wavefront6targetE1EEEvT1_
	.p2align	8
	.type	_ZN7rocprim17ROCPRIM_400000_NS6detail17trampoline_kernelINS0_14default_configENS1_20scan_config_selectorIjEEZZNS1_9scan_implILNS1_25lookback_scan_determinismE0ELb0ELb0ES3_N6thrust23THRUST_200600_302600_NS6detail15normal_iteratorINS9_10device_ptrIjEEEENS9_16discard_iteratorINS9_11use_defaultEEEjNS9_4plusIvEEjEEDaPvRmT3_T4_T5_mT6_P12ihipStream_tbENKUlT_T0_E_clISt17integral_constantIbLb1EESW_IbLb0EEEEDaSS_ST_EUlSS_E_NS1_11comp_targetILNS1_3genE4ELNS1_11target_archE910ELNS1_3gpuE8ELNS1_3repE0EEENS1_30default_config_static_selectorELNS0_4arch9wavefront6targetE1EEEvT1_,@function
_ZN7rocprim17ROCPRIM_400000_NS6detail17trampoline_kernelINS0_14default_configENS1_20scan_config_selectorIjEEZZNS1_9scan_implILNS1_25lookback_scan_determinismE0ELb0ELb0ES3_N6thrust23THRUST_200600_302600_NS6detail15normal_iteratorINS9_10device_ptrIjEEEENS9_16discard_iteratorINS9_11use_defaultEEEjNS9_4plusIvEEjEEDaPvRmT3_T4_T5_mT6_P12ihipStream_tbENKUlT_T0_E_clISt17integral_constantIbLb1EESW_IbLb0EEEEDaSS_ST_EUlSS_E_NS1_11comp_targetILNS1_3genE4ELNS1_11target_archE910ELNS1_3gpuE8ELNS1_3repE0EEENS1_30default_config_static_selectorELNS0_4arch9wavefront6targetE1EEEvT1_: ; @_ZN7rocprim17ROCPRIM_400000_NS6detail17trampoline_kernelINS0_14default_configENS1_20scan_config_selectorIjEEZZNS1_9scan_implILNS1_25lookback_scan_determinismE0ELb0ELb0ES3_N6thrust23THRUST_200600_302600_NS6detail15normal_iteratorINS9_10device_ptrIjEEEENS9_16discard_iteratorINS9_11use_defaultEEEjNS9_4plusIvEEjEEDaPvRmT3_T4_T5_mT6_P12ihipStream_tbENKUlT_T0_E_clISt17integral_constantIbLb1EESW_IbLb0EEEEDaSS_ST_EUlSS_E_NS1_11comp_targetILNS1_3genE4ELNS1_11target_archE910ELNS1_3gpuE8ELNS1_3repE0EEENS1_30default_config_static_selectorELNS0_4arch9wavefront6targetE1EEEvT1_
; %bb.0:
	s_load_dwordx4 s[0:3], s[4:5], 0x0
	s_load_dwordx2 s[8:9], s[4:5], 0x20
	s_load_dword s7, s[4:5], 0x38
	s_waitcnt lgkmcnt(0)
	s_lshl_b64 s[2:3], s[2:3], 2
	s_add_u32 s2, s0, s2
	s_addc_u32 s3, s1, s3
	s_add_i32 s7, s7, -1
	s_mul_i32 s10, s7, 0x500
	s_sub_u32 s18, s8, s10
	s_subb_u32 s19, s9, 0
	s_mul_i32 s0, s6, 0x500
	s_mov_b32 s1, 0
	s_cmp_lg_u32 s6, s7
	s_cselect_b64 s[12:13], -1, 0
	s_lshl_b64 s[0:1], s[0:1], 2
	s_add_u32 s0, s2, s0
	s_addc_u32 s1, s3, s1
	s_mov_b64 s[2:3], -1
	s_and_b64 vcc, exec, s[12:13]
	s_cbranch_vccz .LBB5332_2
; %bb.1:
	v_lshlrev_b32_e32 v1, 2, v0
	v_mov_b32_e32 v3, s1
	v_add_co_u32_e32 v2, vcc, s0, v1
	v_addc_co_u32_e32 v3, vcc, 0, v3, vcc
	flat_load_dword v4, v[2:3]
	flat_load_dword v5, v[2:3] offset:512
	flat_load_dword v6, v[2:3] offset:1024
	;; [unrolled: 1-line block ×7, first 2 shown]
	v_add_co_u32_e32 v2, vcc, 0x1000, v2
	v_addc_co_u32_e32 v3, vcc, 0, v3, vcc
	flat_load_dword v12, v[2:3]
	flat_load_dword v13, v[2:3] offset:512
	s_mov_b64 s[2:3], 0
	s_waitcnt vmcnt(0) lgkmcnt(0)
	ds_write2st64_b32 v1, v4, v5 offset1:2
	ds_write2st64_b32 v1, v6, v7 offset0:4 offset1:6
	ds_write2st64_b32 v1, v8, v9 offset0:8 offset1:10
	;; [unrolled: 1-line block ×4, first 2 shown]
	s_waitcnt lgkmcnt(0)
	s_barrier
.LBB5332_2:
	s_load_dwordx2 s[14:15], s[4:5], 0x30
	s_andn2_b64 vcc, exec, s[2:3]
	s_cbranch_vccnz .LBB5332_24
; %bb.3:
	v_pk_mov_b32 v[2:3], s[0:1], s[0:1] op_sel:[0,1]
	flat_load_dword v1, v[2:3]
	v_cmp_gt_u32_e32 vcc, s18, v0
	s_waitcnt vmcnt(0) lgkmcnt(0)
	v_mov_b32_e32 v2, v1
	v_mov_b32_e32 v3, v1
	;; [unrolled: 1-line block ×9, first 2 shown]
	s_and_saveexec_b64 s[2:3], vcc
	s_cbranch_execz .LBB5332_5
; %bb.4:
	v_lshlrev_b32_e32 v10, 2, v0
	v_mov_b32_e32 v11, s1
	v_add_co_u32_e32 v10, vcc, s0, v10
	v_addc_co_u32_e32 v11, vcc, 0, v11, vcc
	flat_load_dword v10, v[10:11]
.LBB5332_5:
	s_or_b64 exec, exec, s[2:3]
	v_or_b32_e32 v11, 0x80, v0
	v_cmp_gt_u32_e32 vcc, s18, v11
	s_and_saveexec_b64 s[2:3], vcc
	s_cbranch_execz .LBB5332_7
; %bb.6:
	v_lshlrev_b32_e32 v1, 2, v0
	v_mov_b32_e32 v11, s1
	v_add_co_u32_e32 v12, vcc, s0, v1
	v_addc_co_u32_e32 v13, vcc, 0, v11, vcc
	flat_load_dword v1, v[12:13] offset:512
.LBB5332_7:
	s_or_b64 exec, exec, s[2:3]
	v_or_b32_e32 v11, 0x100, v0
	v_cmp_gt_u32_e32 vcc, s18, v11
	s_and_saveexec_b64 s[2:3], vcc
	s_cbranch_execz .LBB5332_9
; %bb.8:
	v_lshlrev_b32_e32 v2, 2, v0
	v_mov_b32_e32 v11, s1
	v_add_co_u32_e32 v12, vcc, s0, v2
	v_addc_co_u32_e32 v13, vcc, 0, v11, vcc
	flat_load_dword v2, v[12:13] offset:1024
.LBB5332_9:
	;; [unrolled: 12-line block ×7, first 2 shown]
	s_or_b64 exec, exec, s[2:3]
	v_or_b32_e32 v11, 0x400, v0
	v_cmp_gt_u32_e32 vcc, s18, v11
	s_and_saveexec_b64 s[2:3], vcc
	s_cbranch_execz .LBB5332_21
; %bb.20:
	v_lshlrev_b32_e32 v8, 2, v11
	v_mov_b32_e32 v11, s1
	v_add_co_u32_e32 v12, vcc, s0, v8
	v_addc_co_u32_e32 v13, vcc, 0, v11, vcc
	flat_load_dword v8, v[12:13]
.LBB5332_21:
	s_or_b64 exec, exec, s[2:3]
	v_or_b32_e32 v11, 0x480, v0
	v_cmp_gt_u32_e32 vcc, s18, v11
	s_and_saveexec_b64 s[2:3], vcc
	s_cbranch_execz .LBB5332_23
; %bb.22:
	v_lshlrev_b32_e32 v9, 2, v11
	v_mov_b32_e32 v11, s1
	v_add_co_u32_e32 v12, vcc, s0, v9
	v_addc_co_u32_e32 v13, vcc, 0, v11, vcc
	flat_load_dword v9, v[12:13]
.LBB5332_23:
	s_or_b64 exec, exec, s[2:3]
	v_lshlrev_b32_e32 v11, 2, v0
	s_waitcnt vmcnt(0) lgkmcnt(0)
	ds_write2st64_b32 v11, v10, v1 offset1:2
	ds_write2st64_b32 v11, v2, v3 offset0:4 offset1:6
	ds_write2st64_b32 v11, v4, v5 offset0:8 offset1:10
	;; [unrolled: 1-line block ×4, first 2 shown]
	s_waitcnt lgkmcnt(0)
	s_barrier
.LBB5332_24:
	v_mul_u32_u24_e32 v22, 10, v0
	v_lshlrev_b32_e32 v1, 2, v22
	s_waitcnt lgkmcnt(0)
	ds_read2_b64 v[2:5], v1 offset1:1
	ds_read2_b64 v[16:19], v1 offset0:2 offset1:3
	ds_read_b64 v[20:21], v1 offset:32
	s_cmp_lg_u32 s6, 0
	v_lshrrev_b32_e32 v23, 5, v0
	v_cmp_gt_u32_e32 vcc, 64, v0
	s_waitcnt lgkmcnt(0)
	s_barrier
	s_cbranch_scc0 .LBB5332_53
; %bb.25:
	v_add_u32_e32 v6, v3, v2
	v_add3_u32 v6, v6, v4, v5
	v_add3_u32 v6, v6, v16, v17
	;; [unrolled: 1-line block ×4, first 2 shown]
	v_add_lshl_u32 v7, v23, v0, 2
	ds_write_b32 v7, v6
	s_waitcnt lgkmcnt(0)
	s_barrier
	s_and_saveexec_b64 s[2:3], vcc
	s_cbranch_execz .LBB5332_27
; %bb.26:
	v_lshlrev_b32_e32 v7, 1, v0
	v_lshrrev_b32_e32 v8, 4, v0
	v_add_lshl_u32 v7, v8, v7, 2
	ds_read2_b32 v[8:9], v7 offset1:1
	v_mbcnt_lo_u32_b32 v10, -1, 0
	v_mbcnt_hi_u32_b32 v10, -1, v10
	v_and_b32_e32 v11, 15, v10
	v_cmp_ne_u32_e64 s[0:1], 0, v11
	s_waitcnt lgkmcnt(0)
	v_add_u32_e32 v9, v9, v8
	; wave barrier
	s_nop 1
	v_mov_b32_dpp v12, v9 row_shr:1 row_mask:0xf bank_mask:0xf
	v_cndmask_b32_e64 v12, 0, v12, s[0:1]
	v_add_u32_e32 v9, v12, v9
	v_cmp_lt_u32_e64 s[0:1], 1, v11
	s_nop 0
	v_mov_b32_dpp v12, v9 row_shr:2 row_mask:0xf bank_mask:0xf
	v_cndmask_b32_e64 v12, 0, v12, s[0:1]
	v_add_u32_e32 v9, v9, v12
	v_cmp_lt_u32_e64 s[0:1], 3, v11
	;; [unrolled: 5-line block ×3, first 2 shown]
	s_nop 0
	v_mov_b32_dpp v12, v9 row_shr:8 row_mask:0xf bank_mask:0xf
	v_cndmask_b32_e64 v11, 0, v12, s[0:1]
	v_add_u32_e32 v9, v9, v11
	v_bfe_i32 v12, v10, 4, 1
	v_cmp_lt_u32_e64 s[0:1], 31, v10
	v_mov_b32_dpp v11, v9 row_bcast:15 row_mask:0xf bank_mask:0xf
	v_and_b32_e32 v11, v12, v11
	v_add_u32_e32 v9, v9, v11
	v_and_b32_e32 v12, 64, v10
	s_nop 0
	v_mov_b32_dpp v11, v9 row_bcast:31 row_mask:0xf bank_mask:0xf
	v_cndmask_b32_e64 v11, 0, v11, s[0:1]
	v_add_u32_e32 v9, v9, v11
	v_add_u32_e32 v11, -1, v10
	v_cmp_lt_i32_e64 s[0:1], v11, v12
	v_cndmask_b32_e64 v10, v11, v10, s[0:1]
	v_lshlrev_b32_e32 v10, 2, v10
	ds_bpermute_b32 v9, v10, v9
	v_cmp_eq_u32_e64 s[0:1], 0, v0
	s_waitcnt lgkmcnt(0)
	v_add_u32_e32 v8, v9, v8
	v_cndmask_b32_e64 v6, v8, v6, s[0:1]
	ds_write_b32 v7, v6
	; wave barrier
	ds_read_b32 v8, v7 offset:4
	s_waitcnt lgkmcnt(0)
	v_add_u32_e32 v6, v8, v6
	ds_write_b32 v7, v6 offset:4
.LBB5332_27:
	s_or_b64 exec, exec, s[2:3]
	v_cmp_eq_u32_e64 s[0:1], 0, v0
	v_cmp_ne_u32_e64 s[2:3], 0, v0
	v_mov_b32_e32 v24, 0
	s_waitcnt lgkmcnt(0)
	s_barrier
	s_and_saveexec_b64 s[8:9], s[2:3]
	s_cbranch_execz .LBB5332_29
; %bb.28:
	v_add_u32_e32 v6, -1, v0
	v_lshrrev_b32_e32 v7, 5, v6
	v_add_lshl_u32 v6, v7, v6, 2
	ds_read_b32 v24, v6
.LBB5332_29:
	s_or_b64 exec, exec, s[8:9]
	s_and_saveexec_b64 s[8:9], vcc
	s_cbranch_execz .LBB5332_52
; %bb.30:
	v_mov_b32_e32 v15, 0
	ds_read_b32 v6, v15 offset:520
	v_mbcnt_lo_u32_b32 v7, -1, 0
	v_mbcnt_hi_u32_b32 v9, -1, v7
	s_mov_b32 s17, 0
	v_cmp_eq_u32_e64 s[2:3], 0, v9
	s_and_saveexec_b64 s[10:11], s[2:3]
	s_cbranch_execz .LBB5332_32
; %bb.31:
	s_add_i32 s16, s6, 64
	s_lshl_b64 s[16:17], s[16:17], 3
	s_add_u32 s16, s14, s16
	v_mov_b32_e32 v7, 1
	s_addc_u32 s17, s15, s17
	s_waitcnt lgkmcnt(0)
	global_store_dwordx2 v15, v[6:7], s[16:17]
.LBB5332_32:
	s_or_b64 exec, exec, s[10:11]
	v_xad_u32 v8, v9, -1, s6
	v_add_u32_e32 v14, 64, v8
	v_lshlrev_b64 v[10:11], 3, v[14:15]
	v_mov_b32_e32 v7, s15
	v_add_co_u32_e32 v10, vcc, s14, v10
	v_addc_co_u32_e32 v11, vcc, v7, v11, vcc
	global_load_dwordx2 v[12:13], v[10:11], off glc
	s_waitcnt vmcnt(0)
	v_cmp_eq_u16_sdwa s[16:17], v13, v15 src0_sel:BYTE_0 src1_sel:DWORD
	s_and_saveexec_b64 s[10:11], s[16:17]
	s_cbranch_execz .LBB5332_38
; %bb.33:
	s_mov_b32 s7, 1
	s_mov_b64 s[16:17], 0
	v_mov_b32_e32 v7, 0
.LBB5332_34:                            ; =>This Loop Header: Depth=1
                                        ;     Child Loop BB5332_35 Depth 2
	s_max_u32 s20, s7, 1
.LBB5332_35:                            ;   Parent Loop BB5332_34 Depth=1
                                        ; =>  This Inner Loop Header: Depth=2
	s_add_i32 s20, s20, -1
	s_cmp_eq_u32 s20, 0
	s_sleep 1
	s_cbranch_scc0 .LBB5332_35
; %bb.36:                               ;   in Loop: Header=BB5332_34 Depth=1
	global_load_dwordx2 v[12:13], v[10:11], off glc
	s_cmp_lt_u32 s7, 32
	s_cselect_b64 s[20:21], -1, 0
	s_cmp_lg_u64 s[20:21], 0
	s_addc_u32 s7, s7, 0
	s_waitcnt vmcnt(0)
	v_cmp_ne_u16_sdwa s[20:21], v13, v7 src0_sel:BYTE_0 src1_sel:DWORD
	s_or_b64 s[16:17], s[20:21], s[16:17]
	s_andn2_b64 exec, exec, s[16:17]
	s_cbranch_execnz .LBB5332_34
; %bb.37:
	s_or_b64 exec, exec, s[16:17]
.LBB5332_38:
	s_or_b64 exec, exec, s[10:11]
	v_and_b32_e32 v25, 63, v9
	v_mov_b32_e32 v7, 2
	v_cmp_ne_u32_e32 vcc, 63, v25
	v_cmp_eq_u16_sdwa s[10:11], v13, v7 src0_sel:BYTE_0 src1_sel:DWORD
	v_lshlrev_b64 v[10:11], v9, -1
	v_addc_co_u32_e32 v26, vcc, 0, v9, vcc
	v_and_b32_e32 v14, s11, v11
	v_lshlrev_b32_e32 v26, 2, v26
	v_or_b32_e32 v14, 0x80000000, v14
	ds_bpermute_b32 v27, v26, v12
	v_and_b32_e32 v15, s10, v10
	v_ffbl_b32_e32 v14, v14
	v_add_u32_e32 v14, 32, v14
	v_ffbl_b32_e32 v15, v15
	v_min_u32_e32 v14, v15, v14
	v_cmp_lt_u32_e32 vcc, v25, v14
	s_waitcnt lgkmcnt(0)
	v_cndmask_b32_e32 v15, 0, v27, vcc
	v_cmp_gt_u32_e32 vcc, 62, v25
	v_add_u32_e32 v12, v15, v12
	v_cndmask_b32_e64 v15, 0, 1, vcc
	v_lshlrev_b32_e32 v15, 1, v15
	v_add_lshl_u32 v27, v15, v9, 2
	ds_bpermute_b32 v15, v27, v12
	v_add_u32_e32 v28, 2, v25
	v_cmp_le_u32_e32 vcc, v28, v14
	v_add_u32_e32 v30, 4, v25
	v_add_u32_e32 v32, 8, v25
	s_waitcnt lgkmcnt(0)
	v_cndmask_b32_e32 v15, 0, v15, vcc
	v_cmp_gt_u32_e32 vcc, 60, v25
	v_add_u32_e32 v12, v12, v15
	v_cndmask_b32_e64 v15, 0, 1, vcc
	v_lshlrev_b32_e32 v15, 2, v15
	v_add_lshl_u32 v29, v15, v9, 2
	ds_bpermute_b32 v15, v29, v12
	v_cmp_le_u32_e32 vcc, v30, v14
	v_add_u32_e32 v35, 16, v25
	v_add_u32_e32 v37, 32, v25
	s_waitcnt lgkmcnt(0)
	v_cndmask_b32_e32 v15, 0, v15, vcc
	v_cmp_gt_u32_e32 vcc, 56, v25
	v_add_u32_e32 v12, v12, v15
	v_cndmask_b32_e64 v15, 0, 1, vcc
	v_lshlrev_b32_e32 v15, 3, v15
	v_add_lshl_u32 v31, v15, v9, 2
	ds_bpermute_b32 v15, v31, v12
	v_cmp_le_u32_e32 vcc, v32, v14
	s_waitcnt lgkmcnt(0)
	v_cndmask_b32_e32 v15, 0, v15, vcc
	v_cmp_gt_u32_e32 vcc, 48, v25
	v_add_u32_e32 v12, v12, v15
	v_cndmask_b32_e64 v15, 0, 1, vcc
	v_lshlrev_b32_e32 v15, 4, v15
	v_add_lshl_u32 v34, v15, v9, 2
	ds_bpermute_b32 v15, v34, v12
	v_cmp_le_u32_e32 vcc, v35, v14
	;; [unrolled: 9-line block ×3, first 2 shown]
	s_waitcnt lgkmcnt(0)
	v_cndmask_b32_e32 v9, 0, v9, vcc
	v_add_u32_e32 v12, v12, v9
	v_mov_b32_e32 v9, 0
	s_branch .LBB5332_40
.LBB5332_39:                            ;   in Loop: Header=BB5332_40 Depth=1
	s_or_b64 exec, exec, s[10:11]
	v_cmp_eq_u16_sdwa s[10:11], v13, v7 src0_sel:BYTE_0 src1_sel:DWORD
	v_and_b32_e32 v14, s11, v11
	v_or_b32_e32 v14, 0x80000000, v14
	ds_bpermute_b32 v38, v26, v12
	v_and_b32_e32 v15, s10, v10
	v_ffbl_b32_e32 v14, v14
	v_add_u32_e32 v14, 32, v14
	v_ffbl_b32_e32 v15, v15
	v_min_u32_e32 v14, v15, v14
	v_cmp_lt_u32_e32 vcc, v25, v14
	s_waitcnt lgkmcnt(0)
	v_cndmask_b32_e32 v15, 0, v38, vcc
	v_add_u32_e32 v12, v15, v12
	ds_bpermute_b32 v15, v27, v12
	v_cmp_le_u32_e32 vcc, v28, v14
	v_subrev_u32_e32 v8, 64, v8
	s_waitcnt lgkmcnt(0)
	v_cndmask_b32_e32 v15, 0, v15, vcc
	v_add_u32_e32 v12, v12, v15
	ds_bpermute_b32 v15, v29, v12
	v_cmp_le_u32_e32 vcc, v30, v14
	s_waitcnt lgkmcnt(0)
	v_cndmask_b32_e32 v15, 0, v15, vcc
	v_add_u32_e32 v12, v12, v15
	ds_bpermute_b32 v15, v31, v12
	v_cmp_le_u32_e32 vcc, v32, v14
	;; [unrolled: 5-line block ×4, first 2 shown]
	s_waitcnt lgkmcnt(0)
	v_cndmask_b32_e32 v14, 0, v15, vcc
	v_add3_u32 v12, v14, v33, v12
.LBB5332_40:                            ; =>This Loop Header: Depth=1
                                        ;     Child Loop BB5332_43 Depth 2
                                        ;       Child Loop BB5332_44 Depth 3
	v_cmp_ne_u16_sdwa s[10:11], v13, v7 src0_sel:BYTE_0 src1_sel:DWORD
	v_cndmask_b32_e64 v13, 0, 1, s[10:11]
	;;#ASMSTART
	;;#ASMEND
	v_cmp_ne_u32_e32 vcc, 0, v13
	s_cmp_lg_u64 vcc, exec
	v_mov_b32_e32 v33, v12
	s_cbranch_scc1 .LBB5332_47
; %bb.41:                               ;   in Loop: Header=BB5332_40 Depth=1
	v_lshlrev_b64 v[12:13], 3, v[8:9]
	v_mov_b32_e32 v15, s15
	v_add_co_u32_e32 v14, vcc, s14, v12
	v_addc_co_u32_e32 v15, vcc, v15, v13, vcc
	global_load_dwordx2 v[12:13], v[14:15], off glc
	s_waitcnt vmcnt(0)
	v_cmp_eq_u16_sdwa s[16:17], v13, v9 src0_sel:BYTE_0 src1_sel:DWORD
	s_and_saveexec_b64 s[10:11], s[16:17]
	s_cbranch_execz .LBB5332_39
; %bb.42:                               ;   in Loop: Header=BB5332_40 Depth=1
	s_mov_b32 s7, 1
	s_mov_b64 s[16:17], 0
.LBB5332_43:                            ;   Parent Loop BB5332_40 Depth=1
                                        ; =>  This Loop Header: Depth=2
                                        ;       Child Loop BB5332_44 Depth 3
	s_max_u32 s20, s7, 1
.LBB5332_44:                            ;   Parent Loop BB5332_40 Depth=1
                                        ;     Parent Loop BB5332_43 Depth=2
                                        ; =>    This Inner Loop Header: Depth=3
	s_add_i32 s20, s20, -1
	s_cmp_eq_u32 s20, 0
	s_sleep 1
	s_cbranch_scc0 .LBB5332_44
; %bb.45:                               ;   in Loop: Header=BB5332_43 Depth=2
	global_load_dwordx2 v[12:13], v[14:15], off glc
	s_cmp_lt_u32 s7, 32
	s_cselect_b64 s[20:21], -1, 0
	s_cmp_lg_u64 s[20:21], 0
	s_addc_u32 s7, s7, 0
	s_waitcnt vmcnt(0)
	v_cmp_ne_u16_sdwa s[20:21], v13, v9 src0_sel:BYTE_0 src1_sel:DWORD
	s_or_b64 s[16:17], s[20:21], s[16:17]
	s_andn2_b64 exec, exec, s[16:17]
	s_cbranch_execnz .LBB5332_43
; %bb.46:                               ;   in Loop: Header=BB5332_40 Depth=1
	s_or_b64 exec, exec, s[16:17]
	s_branch .LBB5332_39
.LBB5332_47:                            ;   in Loop: Header=BB5332_40 Depth=1
                                        ; implicit-def: $vgpr12
                                        ; implicit-def: $vgpr13
	s_cbranch_execz .LBB5332_40
; %bb.48:
	s_and_saveexec_b64 s[10:11], s[2:3]
	s_cbranch_execz .LBB5332_50
; %bb.49:
	s_add_i32 s2, s6, 64
	s_mov_b32 s3, 0
	s_lshl_b64 s[2:3], s[2:3], 3
	s_add_u32 s2, s14, s2
	v_add_u32_e32 v6, v33, v6
	v_mov_b32_e32 v7, 2
	s_addc_u32 s3, s15, s3
	v_mov_b32_e32 v8, 0
	global_store_dwordx2 v8, v[6:7], s[2:3]
.LBB5332_50:
	s_or_b64 exec, exec, s[10:11]
	s_and_b64 exec, exec, s[0:1]
	s_cbranch_execz .LBB5332_52
; %bb.51:
	v_mov_b32_e32 v6, 0
	ds_write_b32 v6, v33
.LBB5332_52:
	s_or_b64 exec, exec, s[8:9]
	v_mov_b32_e32 v6, 0
	s_waitcnt lgkmcnt(0)
	s_barrier
	ds_read_b32 v6, v6
	s_waitcnt lgkmcnt(0)
	v_add3_u32 v6, v24, v2, v6
	v_add_u32_e32 v7, v6, v3
	v_add_u32_e32 v8, v7, v4
	;; [unrolled: 1-line block ×9, first 2 shown]
	s_load_dwordx8 s[4:11], s[4:5], 0x40
	s_branch .LBB5332_65
.LBB5332_53:
                                        ; implicit-def: $vgpr6_vgpr7_vgpr8_vgpr9_vgpr10_vgpr11_vgpr12_vgpr13_vgpr14_vgpr15
	s_load_dwordx8 s[4:11], s[4:5], 0x40
	s_cbranch_execz .LBB5332_65
; %bb.54:
	s_waitcnt lgkmcnt(0)
	s_cmp_lg_u64 s[8:9], 0
	s_cselect_b64 s[2:3], -1, 0
	v_cmp_eq_u32_e64 s[0:1], 0, v0
	v_cmp_ne_u32_e32 vcc, 0, v0
	s_and_b64 s[8:9], s[0:1], s[2:3]
	v_mov_b32_e32 v12, v3
	v_mov_b32_e32 v13, v4
	;; [unrolled: 1-line block ×3, first 2 shown]
	s_and_saveexec_b64 s[2:3], s[8:9]
	s_cbranch_execz .LBB5332_56
; %bb.55:
	v_mov_b32_e32 v6, 0
	global_load_dword v6, v6, s[4:5]
	v_mov_b32_e32 v12, v3
	v_mov_b32_e32 v13, v4
	;; [unrolled: 1-line block ×3, first 2 shown]
	s_waitcnt vmcnt(0)
	v_add_u32_e32 v2, v6, v2
.LBB5332_56:
	s_or_b64 exec, exec, s[2:3]
	v_add_u32_e32 v3, v12, v2
	v_add_u32_e32 v4, v3, v13
	;; [unrolled: 1-line block ×9, first 2 shown]
	v_add_lshl_u32 v15, v23, v0, 2
	v_cmp_gt_u32_e64 s[2:3], 64, v0
	ds_write_b32 v15, v11
	s_waitcnt lgkmcnt(0)
	s_barrier
	s_and_saveexec_b64 s[4:5], s[2:3]
	s_cbranch_execz .LBB5332_58
; %bb.57:
	v_lshlrev_b32_e32 v15, 1, v0
	v_lshrrev_b32_e32 v23, 4, v0
	v_add_lshl_u32 v15, v23, v15, 2
	ds_read2_b32 v[24:25], v15 offset1:1
	v_mbcnt_lo_u32_b32 v23, -1, 0
	v_mbcnt_hi_u32_b32 v23, -1, v23
	v_and_b32_e32 v26, 15, v23
	v_cmp_ne_u32_e64 s[2:3], 0, v26
	s_waitcnt lgkmcnt(0)
	v_add_u32_e32 v25, v25, v24
	; wave barrier
	s_nop 1
	v_mov_b32_dpp v27, v25 row_shr:1 row_mask:0xf bank_mask:0xf
	v_cndmask_b32_e64 v27, 0, v27, s[2:3]
	v_add_u32_e32 v25, v27, v25
	v_cmp_lt_u32_e64 s[2:3], 1, v26
	s_nop 0
	v_mov_b32_dpp v27, v25 row_shr:2 row_mask:0xf bank_mask:0xf
	v_cndmask_b32_e64 v27, 0, v27, s[2:3]
	v_add_u32_e32 v25, v25, v27
	v_cmp_lt_u32_e64 s[2:3], 3, v26
	;; [unrolled: 5-line block ×3, first 2 shown]
	s_nop 0
	v_mov_b32_dpp v27, v25 row_shr:8 row_mask:0xf bank_mask:0xf
	v_cndmask_b32_e64 v26, 0, v27, s[2:3]
	v_add_u32_e32 v25, v25, v26
	v_bfe_i32 v27, v23, 4, 1
	v_cmp_lt_u32_e64 s[2:3], 31, v23
	v_mov_b32_dpp v26, v25 row_bcast:15 row_mask:0xf bank_mask:0xf
	v_and_b32_e32 v26, v27, v26
	v_add_u32_e32 v25, v25, v26
	v_and_b32_e32 v27, 64, v23
	s_nop 0
	v_mov_b32_dpp v26, v25 row_bcast:31 row_mask:0xf bank_mask:0xf
	v_cndmask_b32_e64 v26, 0, v26, s[2:3]
	v_add_u32_e32 v25, v25, v26
	v_add_u32_e32 v26, -1, v23
	v_cmp_lt_i32_e64 s[2:3], v26, v27
	v_cndmask_b32_e64 v23, v26, v23, s[2:3]
	v_lshlrev_b32_e32 v23, 2, v23
	ds_bpermute_b32 v23, v23, v25
	s_waitcnt lgkmcnt(0)
	v_add_u32_e32 v23, v23, v24
	v_cndmask_b32_e64 v23, v23, v11, s[0:1]
	ds_write_b32 v15, v23
	; wave barrier
	ds_read_b32 v24, v15 offset:4
	s_waitcnt lgkmcnt(0)
	v_add_u32_e32 v23, v24, v23
	ds_write_b32 v15, v23 offset:4
.LBB5332_58:
	s_or_b64 exec, exec, s[4:5]
	v_mov_b32_e32 v15, v11
	s_waitcnt lgkmcnt(0)
	s_barrier
	s_and_saveexec_b64 s[0:1], vcc
	s_cbranch_execz .LBB5332_60
; %bb.59:
	v_add_u32_e32 v15, -1, v0
	v_lshrrev_b32_e32 v23, 5, v15
	v_add_lshl_u32 v15, v23, v15, 2
	ds_read_b32 v15, v15
.LBB5332_60:
	s_or_b64 exec, exec, s[0:1]
	s_and_saveexec_b64 s[0:1], vcc
	s_cbranch_execz .LBB5332_62
; %bb.61:
	s_waitcnt lgkmcnt(0)
	v_add_u32_e32 v2, v15, v2
	v_add_u32_e32 v3, v2, v12
	;; [unrolled: 1-line block ×10, first 2 shown]
	;;#ASMSTART
	;;#ASMEND
.LBB5332_62:
	s_or_b64 exec, exec, s[0:1]
	s_movk_i32 s0, 0x7f
	v_cmp_eq_u32_e32 vcc, s0, v0
	s_and_saveexec_b64 s[0:1], vcc
	s_cbranch_execz .LBB5332_64
; %bb.63:
	v_mov_b32_e32 v14, 0
	v_mov_b32_e32 v13, 2
	;; [unrolled: 1-line block ×3, first 2 shown]
	global_store_dwordx2 v14, v[12:13], s[14:15] offset:512
.LBB5332_64:
	s_or_b64 exec, exec, s[0:1]
	s_waitcnt lgkmcnt(0)
	v_pk_mov_b32 v[14:15], v[10:11], v[10:11] op_sel:[0,1]
	v_pk_mov_b32 v[12:13], v[8:9], v[8:9] op_sel:[0,1]
	;; [unrolled: 1-line block ×5, first 2 shown]
.LBB5332_65:
	s_mov_b64 s[0:1], -1
	s_and_b64 vcc, exec, s[12:13]
	s_waitcnt lgkmcnt(0)
	s_barrier
	ds_write2_b64 v1, v[6:7], v[8:9] offset1:1
	ds_write2_b64 v1, v[10:11], v[12:13] offset0:2 offset1:3
	ds_write_b64 v1, v[14:15] offset:32
	s_waitcnt lgkmcnt(0)
	s_cbranch_vccz .LBB5332_67
; %bb.66:
	s_barrier
	s_mov_b64 s[0:1], 0
.LBB5332_67:
	s_andn2_b64 vcc, exec, s[0:1]
	s_cbranch_vccnz .LBB5332_103
; %bb.68:
	v_cmp_lt_u64_e64 s[0:1], s[10:11], 2
	s_and_b64 vcc, exec, s[0:1]
	s_barrier
	s_cbranch_vccnz .LBB5332_103
; %bb.69:
	s_add_u32 s0, s18, -1
	s_addc_u32 s1, s19, -1
	s_add_u32 s2, 0, 0x99986000
	s_addc_u32 s3, 0, 0x59
	s_add_i32 s3, s3, 0x19999940
	s_mul_hi_u32 s9, s2, -10
	s_sub_i32 s9, s9, s2
	s_mul_i32 s10, s3, -10
	s_mul_i32 s4, s2, -10
	s_add_i32 s9, s9, s10
	s_mul_hi_u32 s5, s3, s4
	s_mul_i32 s8, s3, s4
	s_mul_i32 s11, s2, s9
	s_mul_hi_u32 s4, s2, s4
	s_mul_hi_u32 s10, s2, s9
	s_add_u32 s4, s4, s11
	s_addc_u32 s10, 0, s10
	s_add_u32 s4, s4, s8
	s_mul_hi_u32 s11, s3, s9
	s_addc_u32 s4, s10, s5
	s_addc_u32 s5, s11, 0
	s_mul_i32 s8, s3, s9
	s_add_u32 s4, s4, s8
	v_mov_b32_e32 v2, s4
	s_addc_u32 s5, 0, s5
	v_add_co_u32_e32 v2, vcc, s2, v2
	s_cmp_lg_u64 vcc, 0
	s_addc_u32 s2, s3, s5
	v_readfirstlane_b32 s5, v2
	s_mul_i32 s4, s0, s2
	s_mul_hi_u32 s8, s0, s5
	s_mul_hi_u32 s3, s0, s2
	s_add_u32 s4, s8, s4
	s_addc_u32 s3, 0, s3
	s_mul_hi_u32 s9, s1, s5
	s_mul_i32 s5, s1, s5
	s_add_u32 s4, s4, s5
	s_mul_hi_u32 s8, s1, s2
	s_addc_u32 s3, s3, s9
	s_addc_u32 s4, s8, 0
	s_mul_i32 s2, s1, s2
	s_add_u32 s2, s3, s2
	s_addc_u32 s3, 0, s4
	s_add_u32 s4, s2, 1
	s_addc_u32 s5, s3, 0
	s_add_u32 s8, s2, 2
	s_mul_i32 s10, s3, 10
	s_mul_hi_u32 s11, s2, 10
	s_addc_u32 s9, s3, 0
	s_add_i32 s11, s11, s10
	s_mul_i32 s10, s2, 10
	v_mov_b32_e32 v2, s10
	v_sub_co_u32_e32 v2, vcc, s0, v2
	s_cmp_lg_u64 vcc, 0
	s_subb_u32 s10, s1, s11
	v_subrev_co_u32_e32 v3, vcc, 10, v2
	s_cmp_lg_u64 vcc, 0
	s_subb_u32 s11, s10, 0
	v_readfirstlane_b32 s12, v3
	s_cmp_gt_u32 s12, 9
	s_cselect_b32 s12, -1, 0
	s_cmp_eq_u32 s11, 0
	s_cselect_b32 s11, s12, -1
	s_cmp_lg_u32 s11, 0
	s_cselect_b32 s4, s8, s4
	v_readfirstlane_b32 s8, v2
	s_cselect_b32 s5, s9, s5
	s_cmp_gt_u32 s8, 9
	s_cselect_b32 s8, -1, 0
	s_cmp_eq_u32 s10, 0
	s_cselect_b32 s8, s8, -1
	s_cmp_lg_u32 s8, 0
	v_mov_b32_e32 v1, 0
	s_cselect_b32 s3, s5, s3
	s_cselect_b32 s2, s4, s2
	v_cmp_eq_u64_e32 vcc, s[2:3], v[0:1]
	s_and_saveexec_b64 s[2:3], vcc
	s_cbranch_execz .LBB5332_103
; %bb.70:
	v_lshlrev_b32_e32 v2, 2, v0
	v_mul_hi_u32_u24_e32 v1, 10, v0
	v_mov_b32_e32 v3, s1
	v_sub_co_u32_e32 v0, vcc, s0, v22
	v_subb_co_u32_e32 v1, vcc, v3, v1, vcc
	v_cmp_lt_i64_e32 vcc, 4, v[0:1]
	s_and_saveexec_b64 s[0:1], vcc
	s_xor_b64 s[0:1], exec, s[0:1]
	s_cbranch_execz .LBB5332_88
; %bb.71:
	v_cmp_lt_i64_e32 vcc, 6, v[0:1]
	s_and_saveexec_b64 s[2:3], vcc
	s_xor_b64 s[2:3], exec, s[2:3]
	s_cbranch_execz .LBB5332_81
; %bb.72:
	;; [unrolled: 5-line block ×4, first 2 shown]
	ds_read_b32 v0, v2 offset:4608
	v_mov_b32_e32 v1, 0
                                        ; implicit-def: $vgpr2
	s_waitcnt lgkmcnt(0)
	global_store_dword v1, v0, s[6:7]
.LBB5332_75:
	s_andn2_saveexec_b64 s[8:9], s[8:9]
	s_cbranch_execz .LBB5332_77
; %bb.76:
	ds_read_b32 v0, v2 offset:4096
	v_mov_b32_e32 v1, 0
	s_waitcnt lgkmcnt(0)
	global_store_dword v1, v0, s[6:7]
.LBB5332_77:
	s_or_b64 exec, exec, s[8:9]
                                        ; implicit-def: $vgpr2
.LBB5332_78:
	s_andn2_saveexec_b64 s[4:5], s[4:5]
	s_cbranch_execz .LBB5332_80
; %bb.79:
	ds_read_b32 v0, v2 offset:3584
	v_mov_b32_e32 v1, 0
	s_waitcnt lgkmcnt(0)
	global_store_dword v1, v0, s[6:7]
.LBB5332_80:
	s_or_b64 exec, exec, s[4:5]
                                        ; implicit-def: $vgpr2
                                        ; implicit-def: $vgpr0_vgpr1
.LBB5332_81:
	s_andn2_saveexec_b64 s[2:3], s[2:3]
	s_cbranch_execz .LBB5332_87
; %bb.82:
	v_cmp_lt_i64_e32 vcc, 5, v[0:1]
	s_and_saveexec_b64 s[4:5], vcc
	s_xor_b64 s[4:5], exec, s[4:5]
	s_cbranch_execz .LBB5332_84
; %bb.83:
	ds_read_b32 v0, v2 offset:3072
	v_mov_b32_e32 v1, 0
                                        ; implicit-def: $vgpr2
	s_waitcnt lgkmcnt(0)
	global_store_dword v1, v0, s[6:7]
.LBB5332_84:
	s_andn2_saveexec_b64 s[4:5], s[4:5]
	s_cbranch_execz .LBB5332_86
; %bb.85:
	ds_read_b32 v0, v2 offset:2560
	v_mov_b32_e32 v1, 0
	s_waitcnt lgkmcnt(0)
	global_store_dword v1, v0, s[6:7]
.LBB5332_86:
	s_or_b64 exec, exec, s[4:5]
.LBB5332_87:
	s_or_b64 exec, exec, s[2:3]
                                        ; implicit-def: $vgpr0_vgpr1
                                        ; implicit-def: $vgpr2
.LBB5332_88:
	s_andn2_saveexec_b64 s[0:1], s[0:1]
	s_cbranch_execz .LBB5332_103
; %bb.89:
	v_cmp_lt_i64_e32 vcc, 2, v[0:1]
	s_and_saveexec_b64 s[0:1], vcc
	s_xor_b64 s[0:1], exec, s[0:1]
	s_cbranch_execz .LBB5332_95
; %bb.90:
	v_cmp_lt_i64_e32 vcc, 3, v[0:1]
	s_and_saveexec_b64 s[2:3], vcc
	s_xor_b64 s[2:3], exec, s[2:3]
	s_cbranch_execz .LBB5332_92
; %bb.91:
	ds_read_b32 v0, v2 offset:2048
	v_mov_b32_e32 v1, 0
                                        ; implicit-def: $vgpr2
	s_waitcnt lgkmcnt(0)
	global_store_dword v1, v0, s[6:7]
.LBB5332_92:
	s_andn2_saveexec_b64 s[2:3], s[2:3]
	s_cbranch_execz .LBB5332_94
; %bb.93:
	ds_read_b32 v0, v2 offset:1536
	v_mov_b32_e32 v1, 0
	s_waitcnt lgkmcnt(0)
	global_store_dword v1, v0, s[6:7]
.LBB5332_94:
	s_or_b64 exec, exec, s[2:3]
                                        ; implicit-def: $vgpr0_vgpr1
                                        ; implicit-def: $vgpr2
.LBB5332_95:
	s_andn2_saveexec_b64 s[0:1], s[0:1]
	s_cbranch_execz .LBB5332_103
; %bb.96:
	v_cmp_lt_i64_e32 vcc, 1, v[0:1]
	s_and_saveexec_b64 s[0:1], vcc
	s_xor_b64 s[0:1], exec, s[0:1]
	s_cbranch_execz .LBB5332_98
; %bb.97:
	ds_read_b32 v0, v2 offset:1024
	v_mov_b32_e32 v1, 0
                                        ; implicit-def: $vgpr2
	s_waitcnt lgkmcnt(0)
	global_store_dword v1, v0, s[6:7]
                                        ; implicit-def: $vgpr0_vgpr1
.LBB5332_98:
	s_andn2_saveexec_b64 s[0:1], s[0:1]
	s_cbranch_execz .LBB5332_103
; %bb.99:
	v_cmp_ne_u64_e32 vcc, 1, v[0:1]
	s_and_saveexec_b64 s[0:1], vcc
	s_xor_b64 s[0:1], exec, s[0:1]
	s_cbranch_execz .LBB5332_101
; %bb.100:
	ds_read_b32 v0, v2
	v_mov_b32_e32 v1, 0
                                        ; implicit-def: $vgpr2
	s_waitcnt lgkmcnt(0)
	global_store_dword v1, v0, s[6:7]
.LBB5332_101:
	s_andn2_saveexec_b64 s[0:1], s[0:1]
	s_cbranch_execz .LBB5332_103
; %bb.102:
	ds_read_b32 v0, v2 offset:512
	v_mov_b32_e32 v1, 0
	s_waitcnt lgkmcnt(0)
	global_store_dword v1, v0, s[6:7]
.LBB5332_103:
	s_endpgm
	.section	.rodata,"a",@progbits
	.p2align	6, 0x0
	.amdhsa_kernel _ZN7rocprim17ROCPRIM_400000_NS6detail17trampoline_kernelINS0_14default_configENS1_20scan_config_selectorIjEEZZNS1_9scan_implILNS1_25lookback_scan_determinismE0ELb0ELb0ES3_N6thrust23THRUST_200600_302600_NS6detail15normal_iteratorINS9_10device_ptrIjEEEENS9_16discard_iteratorINS9_11use_defaultEEEjNS9_4plusIvEEjEEDaPvRmT3_T4_T5_mT6_P12ihipStream_tbENKUlT_T0_E_clISt17integral_constantIbLb1EESW_IbLb0EEEEDaSS_ST_EUlSS_E_NS1_11comp_targetILNS1_3genE4ELNS1_11target_archE910ELNS1_3gpuE8ELNS1_3repE0EEENS1_30default_config_static_selectorELNS0_4arch9wavefront6targetE1EEEvT1_
		.amdhsa_group_segment_fixed_size 5120
		.amdhsa_private_segment_fixed_size 0
		.amdhsa_kernarg_size 104
		.amdhsa_user_sgpr_count 6
		.amdhsa_user_sgpr_private_segment_buffer 1
		.amdhsa_user_sgpr_dispatch_ptr 0
		.amdhsa_user_sgpr_queue_ptr 0
		.amdhsa_user_sgpr_kernarg_segment_ptr 1
		.amdhsa_user_sgpr_dispatch_id 0
		.amdhsa_user_sgpr_flat_scratch_init 0
		.amdhsa_user_sgpr_kernarg_preload_length 0
		.amdhsa_user_sgpr_kernarg_preload_offset 0
		.amdhsa_user_sgpr_private_segment_size 0
		.amdhsa_uses_dynamic_stack 0
		.amdhsa_system_sgpr_private_segment_wavefront_offset 0
		.amdhsa_system_sgpr_workgroup_id_x 1
		.amdhsa_system_sgpr_workgroup_id_y 0
		.amdhsa_system_sgpr_workgroup_id_z 0
		.amdhsa_system_sgpr_workgroup_info 0
		.amdhsa_system_vgpr_workitem_id 0
		.amdhsa_next_free_vgpr 39
		.amdhsa_next_free_sgpr 22
		.amdhsa_accum_offset 40
		.amdhsa_reserve_vcc 1
		.amdhsa_reserve_flat_scratch 0
		.amdhsa_float_round_mode_32 0
		.amdhsa_float_round_mode_16_64 0
		.amdhsa_float_denorm_mode_32 3
		.amdhsa_float_denorm_mode_16_64 3
		.amdhsa_dx10_clamp 1
		.amdhsa_ieee_mode 1
		.amdhsa_fp16_overflow 0
		.amdhsa_tg_split 0
		.amdhsa_exception_fp_ieee_invalid_op 0
		.amdhsa_exception_fp_denorm_src 0
		.amdhsa_exception_fp_ieee_div_zero 0
		.amdhsa_exception_fp_ieee_overflow 0
		.amdhsa_exception_fp_ieee_underflow 0
		.amdhsa_exception_fp_ieee_inexact 0
		.amdhsa_exception_int_div_zero 0
	.end_amdhsa_kernel
	.section	.text._ZN7rocprim17ROCPRIM_400000_NS6detail17trampoline_kernelINS0_14default_configENS1_20scan_config_selectorIjEEZZNS1_9scan_implILNS1_25lookback_scan_determinismE0ELb0ELb0ES3_N6thrust23THRUST_200600_302600_NS6detail15normal_iteratorINS9_10device_ptrIjEEEENS9_16discard_iteratorINS9_11use_defaultEEEjNS9_4plusIvEEjEEDaPvRmT3_T4_T5_mT6_P12ihipStream_tbENKUlT_T0_E_clISt17integral_constantIbLb1EESW_IbLb0EEEEDaSS_ST_EUlSS_E_NS1_11comp_targetILNS1_3genE4ELNS1_11target_archE910ELNS1_3gpuE8ELNS1_3repE0EEENS1_30default_config_static_selectorELNS0_4arch9wavefront6targetE1EEEvT1_,"axG",@progbits,_ZN7rocprim17ROCPRIM_400000_NS6detail17trampoline_kernelINS0_14default_configENS1_20scan_config_selectorIjEEZZNS1_9scan_implILNS1_25lookback_scan_determinismE0ELb0ELb0ES3_N6thrust23THRUST_200600_302600_NS6detail15normal_iteratorINS9_10device_ptrIjEEEENS9_16discard_iteratorINS9_11use_defaultEEEjNS9_4plusIvEEjEEDaPvRmT3_T4_T5_mT6_P12ihipStream_tbENKUlT_T0_E_clISt17integral_constantIbLb1EESW_IbLb0EEEEDaSS_ST_EUlSS_E_NS1_11comp_targetILNS1_3genE4ELNS1_11target_archE910ELNS1_3gpuE8ELNS1_3repE0EEENS1_30default_config_static_selectorELNS0_4arch9wavefront6targetE1EEEvT1_,comdat
.Lfunc_end5332:
	.size	_ZN7rocprim17ROCPRIM_400000_NS6detail17trampoline_kernelINS0_14default_configENS1_20scan_config_selectorIjEEZZNS1_9scan_implILNS1_25lookback_scan_determinismE0ELb0ELb0ES3_N6thrust23THRUST_200600_302600_NS6detail15normal_iteratorINS9_10device_ptrIjEEEENS9_16discard_iteratorINS9_11use_defaultEEEjNS9_4plusIvEEjEEDaPvRmT3_T4_T5_mT6_P12ihipStream_tbENKUlT_T0_E_clISt17integral_constantIbLb1EESW_IbLb0EEEEDaSS_ST_EUlSS_E_NS1_11comp_targetILNS1_3genE4ELNS1_11target_archE910ELNS1_3gpuE8ELNS1_3repE0EEENS1_30default_config_static_selectorELNS0_4arch9wavefront6targetE1EEEvT1_, .Lfunc_end5332-_ZN7rocprim17ROCPRIM_400000_NS6detail17trampoline_kernelINS0_14default_configENS1_20scan_config_selectorIjEEZZNS1_9scan_implILNS1_25lookback_scan_determinismE0ELb0ELb0ES3_N6thrust23THRUST_200600_302600_NS6detail15normal_iteratorINS9_10device_ptrIjEEEENS9_16discard_iteratorINS9_11use_defaultEEEjNS9_4plusIvEEjEEDaPvRmT3_T4_T5_mT6_P12ihipStream_tbENKUlT_T0_E_clISt17integral_constantIbLb1EESW_IbLb0EEEEDaSS_ST_EUlSS_E_NS1_11comp_targetILNS1_3genE4ELNS1_11target_archE910ELNS1_3gpuE8ELNS1_3repE0EEENS1_30default_config_static_selectorELNS0_4arch9wavefront6targetE1EEEvT1_
                                        ; -- End function
	.section	.AMDGPU.csdata,"",@progbits
; Kernel info:
; codeLenInByte = 4104
; NumSgprs: 26
; NumVgprs: 39
; NumAgprs: 0
; TotalNumVgprs: 39
; ScratchSize: 0
; MemoryBound: 0
; FloatMode: 240
; IeeeMode: 1
; LDSByteSize: 5120 bytes/workgroup (compile time only)
; SGPRBlocks: 3
; VGPRBlocks: 4
; NumSGPRsForWavesPerEU: 26
; NumVGPRsForWavesPerEU: 39
; AccumOffset: 40
; Occupancy: 6
; WaveLimiterHint : 1
; COMPUTE_PGM_RSRC2:SCRATCH_EN: 0
; COMPUTE_PGM_RSRC2:USER_SGPR: 6
; COMPUTE_PGM_RSRC2:TRAP_HANDLER: 0
; COMPUTE_PGM_RSRC2:TGID_X_EN: 1
; COMPUTE_PGM_RSRC2:TGID_Y_EN: 0
; COMPUTE_PGM_RSRC2:TGID_Z_EN: 0
; COMPUTE_PGM_RSRC2:TIDIG_COMP_CNT: 0
; COMPUTE_PGM_RSRC3_GFX90A:ACCUM_OFFSET: 9
; COMPUTE_PGM_RSRC3_GFX90A:TG_SPLIT: 0
	.section	.text._ZN7rocprim17ROCPRIM_400000_NS6detail17trampoline_kernelINS0_14default_configENS1_20scan_config_selectorIjEEZZNS1_9scan_implILNS1_25lookback_scan_determinismE0ELb0ELb0ES3_N6thrust23THRUST_200600_302600_NS6detail15normal_iteratorINS9_10device_ptrIjEEEENS9_16discard_iteratorINS9_11use_defaultEEEjNS9_4plusIvEEjEEDaPvRmT3_T4_T5_mT6_P12ihipStream_tbENKUlT_T0_E_clISt17integral_constantIbLb1EESW_IbLb0EEEEDaSS_ST_EUlSS_E_NS1_11comp_targetILNS1_3genE3ELNS1_11target_archE908ELNS1_3gpuE7ELNS1_3repE0EEENS1_30default_config_static_selectorELNS0_4arch9wavefront6targetE1EEEvT1_,"axG",@progbits,_ZN7rocprim17ROCPRIM_400000_NS6detail17trampoline_kernelINS0_14default_configENS1_20scan_config_selectorIjEEZZNS1_9scan_implILNS1_25lookback_scan_determinismE0ELb0ELb0ES3_N6thrust23THRUST_200600_302600_NS6detail15normal_iteratorINS9_10device_ptrIjEEEENS9_16discard_iteratorINS9_11use_defaultEEEjNS9_4plusIvEEjEEDaPvRmT3_T4_T5_mT6_P12ihipStream_tbENKUlT_T0_E_clISt17integral_constantIbLb1EESW_IbLb0EEEEDaSS_ST_EUlSS_E_NS1_11comp_targetILNS1_3genE3ELNS1_11target_archE908ELNS1_3gpuE7ELNS1_3repE0EEENS1_30default_config_static_selectorELNS0_4arch9wavefront6targetE1EEEvT1_,comdat
	.protected	_ZN7rocprim17ROCPRIM_400000_NS6detail17trampoline_kernelINS0_14default_configENS1_20scan_config_selectorIjEEZZNS1_9scan_implILNS1_25lookback_scan_determinismE0ELb0ELb0ES3_N6thrust23THRUST_200600_302600_NS6detail15normal_iteratorINS9_10device_ptrIjEEEENS9_16discard_iteratorINS9_11use_defaultEEEjNS9_4plusIvEEjEEDaPvRmT3_T4_T5_mT6_P12ihipStream_tbENKUlT_T0_E_clISt17integral_constantIbLb1EESW_IbLb0EEEEDaSS_ST_EUlSS_E_NS1_11comp_targetILNS1_3genE3ELNS1_11target_archE908ELNS1_3gpuE7ELNS1_3repE0EEENS1_30default_config_static_selectorELNS0_4arch9wavefront6targetE1EEEvT1_ ; -- Begin function _ZN7rocprim17ROCPRIM_400000_NS6detail17trampoline_kernelINS0_14default_configENS1_20scan_config_selectorIjEEZZNS1_9scan_implILNS1_25lookback_scan_determinismE0ELb0ELb0ES3_N6thrust23THRUST_200600_302600_NS6detail15normal_iteratorINS9_10device_ptrIjEEEENS9_16discard_iteratorINS9_11use_defaultEEEjNS9_4plusIvEEjEEDaPvRmT3_T4_T5_mT6_P12ihipStream_tbENKUlT_T0_E_clISt17integral_constantIbLb1EESW_IbLb0EEEEDaSS_ST_EUlSS_E_NS1_11comp_targetILNS1_3genE3ELNS1_11target_archE908ELNS1_3gpuE7ELNS1_3repE0EEENS1_30default_config_static_selectorELNS0_4arch9wavefront6targetE1EEEvT1_
	.globl	_ZN7rocprim17ROCPRIM_400000_NS6detail17trampoline_kernelINS0_14default_configENS1_20scan_config_selectorIjEEZZNS1_9scan_implILNS1_25lookback_scan_determinismE0ELb0ELb0ES3_N6thrust23THRUST_200600_302600_NS6detail15normal_iteratorINS9_10device_ptrIjEEEENS9_16discard_iteratorINS9_11use_defaultEEEjNS9_4plusIvEEjEEDaPvRmT3_T4_T5_mT6_P12ihipStream_tbENKUlT_T0_E_clISt17integral_constantIbLb1EESW_IbLb0EEEEDaSS_ST_EUlSS_E_NS1_11comp_targetILNS1_3genE3ELNS1_11target_archE908ELNS1_3gpuE7ELNS1_3repE0EEENS1_30default_config_static_selectorELNS0_4arch9wavefront6targetE1EEEvT1_
	.p2align	8
	.type	_ZN7rocprim17ROCPRIM_400000_NS6detail17trampoline_kernelINS0_14default_configENS1_20scan_config_selectorIjEEZZNS1_9scan_implILNS1_25lookback_scan_determinismE0ELb0ELb0ES3_N6thrust23THRUST_200600_302600_NS6detail15normal_iteratorINS9_10device_ptrIjEEEENS9_16discard_iteratorINS9_11use_defaultEEEjNS9_4plusIvEEjEEDaPvRmT3_T4_T5_mT6_P12ihipStream_tbENKUlT_T0_E_clISt17integral_constantIbLb1EESW_IbLb0EEEEDaSS_ST_EUlSS_E_NS1_11comp_targetILNS1_3genE3ELNS1_11target_archE908ELNS1_3gpuE7ELNS1_3repE0EEENS1_30default_config_static_selectorELNS0_4arch9wavefront6targetE1EEEvT1_,@function
_ZN7rocprim17ROCPRIM_400000_NS6detail17trampoline_kernelINS0_14default_configENS1_20scan_config_selectorIjEEZZNS1_9scan_implILNS1_25lookback_scan_determinismE0ELb0ELb0ES3_N6thrust23THRUST_200600_302600_NS6detail15normal_iteratorINS9_10device_ptrIjEEEENS9_16discard_iteratorINS9_11use_defaultEEEjNS9_4plusIvEEjEEDaPvRmT3_T4_T5_mT6_P12ihipStream_tbENKUlT_T0_E_clISt17integral_constantIbLb1EESW_IbLb0EEEEDaSS_ST_EUlSS_E_NS1_11comp_targetILNS1_3genE3ELNS1_11target_archE908ELNS1_3gpuE7ELNS1_3repE0EEENS1_30default_config_static_selectorELNS0_4arch9wavefront6targetE1EEEvT1_: ; @_ZN7rocprim17ROCPRIM_400000_NS6detail17trampoline_kernelINS0_14default_configENS1_20scan_config_selectorIjEEZZNS1_9scan_implILNS1_25lookback_scan_determinismE0ELb0ELb0ES3_N6thrust23THRUST_200600_302600_NS6detail15normal_iteratorINS9_10device_ptrIjEEEENS9_16discard_iteratorINS9_11use_defaultEEEjNS9_4plusIvEEjEEDaPvRmT3_T4_T5_mT6_P12ihipStream_tbENKUlT_T0_E_clISt17integral_constantIbLb1EESW_IbLb0EEEEDaSS_ST_EUlSS_E_NS1_11comp_targetILNS1_3genE3ELNS1_11target_archE908ELNS1_3gpuE7ELNS1_3repE0EEENS1_30default_config_static_selectorELNS0_4arch9wavefront6targetE1EEEvT1_
; %bb.0:
	.section	.rodata,"a",@progbits
	.p2align	6, 0x0
	.amdhsa_kernel _ZN7rocprim17ROCPRIM_400000_NS6detail17trampoline_kernelINS0_14default_configENS1_20scan_config_selectorIjEEZZNS1_9scan_implILNS1_25lookback_scan_determinismE0ELb0ELb0ES3_N6thrust23THRUST_200600_302600_NS6detail15normal_iteratorINS9_10device_ptrIjEEEENS9_16discard_iteratorINS9_11use_defaultEEEjNS9_4plusIvEEjEEDaPvRmT3_T4_T5_mT6_P12ihipStream_tbENKUlT_T0_E_clISt17integral_constantIbLb1EESW_IbLb0EEEEDaSS_ST_EUlSS_E_NS1_11comp_targetILNS1_3genE3ELNS1_11target_archE908ELNS1_3gpuE7ELNS1_3repE0EEENS1_30default_config_static_selectorELNS0_4arch9wavefront6targetE1EEEvT1_
		.amdhsa_group_segment_fixed_size 0
		.amdhsa_private_segment_fixed_size 0
		.amdhsa_kernarg_size 104
		.amdhsa_user_sgpr_count 6
		.amdhsa_user_sgpr_private_segment_buffer 1
		.amdhsa_user_sgpr_dispatch_ptr 0
		.amdhsa_user_sgpr_queue_ptr 0
		.amdhsa_user_sgpr_kernarg_segment_ptr 1
		.amdhsa_user_sgpr_dispatch_id 0
		.amdhsa_user_sgpr_flat_scratch_init 0
		.amdhsa_user_sgpr_kernarg_preload_length 0
		.amdhsa_user_sgpr_kernarg_preload_offset 0
		.amdhsa_user_sgpr_private_segment_size 0
		.amdhsa_uses_dynamic_stack 0
		.amdhsa_system_sgpr_private_segment_wavefront_offset 0
		.amdhsa_system_sgpr_workgroup_id_x 1
		.amdhsa_system_sgpr_workgroup_id_y 0
		.amdhsa_system_sgpr_workgroup_id_z 0
		.amdhsa_system_sgpr_workgroup_info 0
		.amdhsa_system_vgpr_workitem_id 0
		.amdhsa_next_free_vgpr 1
		.amdhsa_next_free_sgpr 0
		.amdhsa_accum_offset 4
		.amdhsa_reserve_vcc 0
		.amdhsa_reserve_flat_scratch 0
		.amdhsa_float_round_mode_32 0
		.amdhsa_float_round_mode_16_64 0
		.amdhsa_float_denorm_mode_32 3
		.amdhsa_float_denorm_mode_16_64 3
		.amdhsa_dx10_clamp 1
		.amdhsa_ieee_mode 1
		.amdhsa_fp16_overflow 0
		.amdhsa_tg_split 0
		.amdhsa_exception_fp_ieee_invalid_op 0
		.amdhsa_exception_fp_denorm_src 0
		.amdhsa_exception_fp_ieee_div_zero 0
		.amdhsa_exception_fp_ieee_overflow 0
		.amdhsa_exception_fp_ieee_underflow 0
		.amdhsa_exception_fp_ieee_inexact 0
		.amdhsa_exception_int_div_zero 0
	.end_amdhsa_kernel
	.section	.text._ZN7rocprim17ROCPRIM_400000_NS6detail17trampoline_kernelINS0_14default_configENS1_20scan_config_selectorIjEEZZNS1_9scan_implILNS1_25lookback_scan_determinismE0ELb0ELb0ES3_N6thrust23THRUST_200600_302600_NS6detail15normal_iteratorINS9_10device_ptrIjEEEENS9_16discard_iteratorINS9_11use_defaultEEEjNS9_4plusIvEEjEEDaPvRmT3_T4_T5_mT6_P12ihipStream_tbENKUlT_T0_E_clISt17integral_constantIbLb1EESW_IbLb0EEEEDaSS_ST_EUlSS_E_NS1_11comp_targetILNS1_3genE3ELNS1_11target_archE908ELNS1_3gpuE7ELNS1_3repE0EEENS1_30default_config_static_selectorELNS0_4arch9wavefront6targetE1EEEvT1_,"axG",@progbits,_ZN7rocprim17ROCPRIM_400000_NS6detail17trampoline_kernelINS0_14default_configENS1_20scan_config_selectorIjEEZZNS1_9scan_implILNS1_25lookback_scan_determinismE0ELb0ELb0ES3_N6thrust23THRUST_200600_302600_NS6detail15normal_iteratorINS9_10device_ptrIjEEEENS9_16discard_iteratorINS9_11use_defaultEEEjNS9_4plusIvEEjEEDaPvRmT3_T4_T5_mT6_P12ihipStream_tbENKUlT_T0_E_clISt17integral_constantIbLb1EESW_IbLb0EEEEDaSS_ST_EUlSS_E_NS1_11comp_targetILNS1_3genE3ELNS1_11target_archE908ELNS1_3gpuE7ELNS1_3repE0EEENS1_30default_config_static_selectorELNS0_4arch9wavefront6targetE1EEEvT1_,comdat
.Lfunc_end5333:
	.size	_ZN7rocprim17ROCPRIM_400000_NS6detail17trampoline_kernelINS0_14default_configENS1_20scan_config_selectorIjEEZZNS1_9scan_implILNS1_25lookback_scan_determinismE0ELb0ELb0ES3_N6thrust23THRUST_200600_302600_NS6detail15normal_iteratorINS9_10device_ptrIjEEEENS9_16discard_iteratorINS9_11use_defaultEEEjNS9_4plusIvEEjEEDaPvRmT3_T4_T5_mT6_P12ihipStream_tbENKUlT_T0_E_clISt17integral_constantIbLb1EESW_IbLb0EEEEDaSS_ST_EUlSS_E_NS1_11comp_targetILNS1_3genE3ELNS1_11target_archE908ELNS1_3gpuE7ELNS1_3repE0EEENS1_30default_config_static_selectorELNS0_4arch9wavefront6targetE1EEEvT1_, .Lfunc_end5333-_ZN7rocprim17ROCPRIM_400000_NS6detail17trampoline_kernelINS0_14default_configENS1_20scan_config_selectorIjEEZZNS1_9scan_implILNS1_25lookback_scan_determinismE0ELb0ELb0ES3_N6thrust23THRUST_200600_302600_NS6detail15normal_iteratorINS9_10device_ptrIjEEEENS9_16discard_iteratorINS9_11use_defaultEEEjNS9_4plusIvEEjEEDaPvRmT3_T4_T5_mT6_P12ihipStream_tbENKUlT_T0_E_clISt17integral_constantIbLb1EESW_IbLb0EEEEDaSS_ST_EUlSS_E_NS1_11comp_targetILNS1_3genE3ELNS1_11target_archE908ELNS1_3gpuE7ELNS1_3repE0EEENS1_30default_config_static_selectorELNS0_4arch9wavefront6targetE1EEEvT1_
                                        ; -- End function
	.section	.AMDGPU.csdata,"",@progbits
; Kernel info:
; codeLenInByte = 0
; NumSgprs: 4
; NumVgprs: 0
; NumAgprs: 0
; TotalNumVgprs: 0
; ScratchSize: 0
; MemoryBound: 0
; FloatMode: 240
; IeeeMode: 1
; LDSByteSize: 0 bytes/workgroup (compile time only)
; SGPRBlocks: 0
; VGPRBlocks: 0
; NumSGPRsForWavesPerEU: 4
; NumVGPRsForWavesPerEU: 1
; AccumOffset: 4
; Occupancy: 8
; WaveLimiterHint : 0
; COMPUTE_PGM_RSRC2:SCRATCH_EN: 0
; COMPUTE_PGM_RSRC2:USER_SGPR: 6
; COMPUTE_PGM_RSRC2:TRAP_HANDLER: 0
; COMPUTE_PGM_RSRC2:TGID_X_EN: 1
; COMPUTE_PGM_RSRC2:TGID_Y_EN: 0
; COMPUTE_PGM_RSRC2:TGID_Z_EN: 0
; COMPUTE_PGM_RSRC2:TIDIG_COMP_CNT: 0
; COMPUTE_PGM_RSRC3_GFX90A:ACCUM_OFFSET: 0
; COMPUTE_PGM_RSRC3_GFX90A:TG_SPLIT: 0
	.section	.text._ZN7rocprim17ROCPRIM_400000_NS6detail17trampoline_kernelINS0_14default_configENS1_20scan_config_selectorIjEEZZNS1_9scan_implILNS1_25lookback_scan_determinismE0ELb0ELb0ES3_N6thrust23THRUST_200600_302600_NS6detail15normal_iteratorINS9_10device_ptrIjEEEENS9_16discard_iteratorINS9_11use_defaultEEEjNS9_4plusIvEEjEEDaPvRmT3_T4_T5_mT6_P12ihipStream_tbENKUlT_T0_E_clISt17integral_constantIbLb1EESW_IbLb0EEEEDaSS_ST_EUlSS_E_NS1_11comp_targetILNS1_3genE2ELNS1_11target_archE906ELNS1_3gpuE6ELNS1_3repE0EEENS1_30default_config_static_selectorELNS0_4arch9wavefront6targetE1EEEvT1_,"axG",@progbits,_ZN7rocprim17ROCPRIM_400000_NS6detail17trampoline_kernelINS0_14default_configENS1_20scan_config_selectorIjEEZZNS1_9scan_implILNS1_25lookback_scan_determinismE0ELb0ELb0ES3_N6thrust23THRUST_200600_302600_NS6detail15normal_iteratorINS9_10device_ptrIjEEEENS9_16discard_iteratorINS9_11use_defaultEEEjNS9_4plusIvEEjEEDaPvRmT3_T4_T5_mT6_P12ihipStream_tbENKUlT_T0_E_clISt17integral_constantIbLb1EESW_IbLb0EEEEDaSS_ST_EUlSS_E_NS1_11comp_targetILNS1_3genE2ELNS1_11target_archE906ELNS1_3gpuE6ELNS1_3repE0EEENS1_30default_config_static_selectorELNS0_4arch9wavefront6targetE1EEEvT1_,comdat
	.protected	_ZN7rocprim17ROCPRIM_400000_NS6detail17trampoline_kernelINS0_14default_configENS1_20scan_config_selectorIjEEZZNS1_9scan_implILNS1_25lookback_scan_determinismE0ELb0ELb0ES3_N6thrust23THRUST_200600_302600_NS6detail15normal_iteratorINS9_10device_ptrIjEEEENS9_16discard_iteratorINS9_11use_defaultEEEjNS9_4plusIvEEjEEDaPvRmT3_T4_T5_mT6_P12ihipStream_tbENKUlT_T0_E_clISt17integral_constantIbLb1EESW_IbLb0EEEEDaSS_ST_EUlSS_E_NS1_11comp_targetILNS1_3genE2ELNS1_11target_archE906ELNS1_3gpuE6ELNS1_3repE0EEENS1_30default_config_static_selectorELNS0_4arch9wavefront6targetE1EEEvT1_ ; -- Begin function _ZN7rocprim17ROCPRIM_400000_NS6detail17trampoline_kernelINS0_14default_configENS1_20scan_config_selectorIjEEZZNS1_9scan_implILNS1_25lookback_scan_determinismE0ELb0ELb0ES3_N6thrust23THRUST_200600_302600_NS6detail15normal_iteratorINS9_10device_ptrIjEEEENS9_16discard_iteratorINS9_11use_defaultEEEjNS9_4plusIvEEjEEDaPvRmT3_T4_T5_mT6_P12ihipStream_tbENKUlT_T0_E_clISt17integral_constantIbLb1EESW_IbLb0EEEEDaSS_ST_EUlSS_E_NS1_11comp_targetILNS1_3genE2ELNS1_11target_archE906ELNS1_3gpuE6ELNS1_3repE0EEENS1_30default_config_static_selectorELNS0_4arch9wavefront6targetE1EEEvT1_
	.globl	_ZN7rocprim17ROCPRIM_400000_NS6detail17trampoline_kernelINS0_14default_configENS1_20scan_config_selectorIjEEZZNS1_9scan_implILNS1_25lookback_scan_determinismE0ELb0ELb0ES3_N6thrust23THRUST_200600_302600_NS6detail15normal_iteratorINS9_10device_ptrIjEEEENS9_16discard_iteratorINS9_11use_defaultEEEjNS9_4plusIvEEjEEDaPvRmT3_T4_T5_mT6_P12ihipStream_tbENKUlT_T0_E_clISt17integral_constantIbLb1EESW_IbLb0EEEEDaSS_ST_EUlSS_E_NS1_11comp_targetILNS1_3genE2ELNS1_11target_archE906ELNS1_3gpuE6ELNS1_3repE0EEENS1_30default_config_static_selectorELNS0_4arch9wavefront6targetE1EEEvT1_
	.p2align	8
	.type	_ZN7rocprim17ROCPRIM_400000_NS6detail17trampoline_kernelINS0_14default_configENS1_20scan_config_selectorIjEEZZNS1_9scan_implILNS1_25lookback_scan_determinismE0ELb0ELb0ES3_N6thrust23THRUST_200600_302600_NS6detail15normal_iteratorINS9_10device_ptrIjEEEENS9_16discard_iteratorINS9_11use_defaultEEEjNS9_4plusIvEEjEEDaPvRmT3_T4_T5_mT6_P12ihipStream_tbENKUlT_T0_E_clISt17integral_constantIbLb1EESW_IbLb0EEEEDaSS_ST_EUlSS_E_NS1_11comp_targetILNS1_3genE2ELNS1_11target_archE906ELNS1_3gpuE6ELNS1_3repE0EEENS1_30default_config_static_selectorELNS0_4arch9wavefront6targetE1EEEvT1_,@function
_ZN7rocprim17ROCPRIM_400000_NS6detail17trampoline_kernelINS0_14default_configENS1_20scan_config_selectorIjEEZZNS1_9scan_implILNS1_25lookback_scan_determinismE0ELb0ELb0ES3_N6thrust23THRUST_200600_302600_NS6detail15normal_iteratorINS9_10device_ptrIjEEEENS9_16discard_iteratorINS9_11use_defaultEEEjNS9_4plusIvEEjEEDaPvRmT3_T4_T5_mT6_P12ihipStream_tbENKUlT_T0_E_clISt17integral_constantIbLb1EESW_IbLb0EEEEDaSS_ST_EUlSS_E_NS1_11comp_targetILNS1_3genE2ELNS1_11target_archE906ELNS1_3gpuE6ELNS1_3repE0EEENS1_30default_config_static_selectorELNS0_4arch9wavefront6targetE1EEEvT1_: ; @_ZN7rocprim17ROCPRIM_400000_NS6detail17trampoline_kernelINS0_14default_configENS1_20scan_config_selectorIjEEZZNS1_9scan_implILNS1_25lookback_scan_determinismE0ELb0ELb0ES3_N6thrust23THRUST_200600_302600_NS6detail15normal_iteratorINS9_10device_ptrIjEEEENS9_16discard_iteratorINS9_11use_defaultEEEjNS9_4plusIvEEjEEDaPvRmT3_T4_T5_mT6_P12ihipStream_tbENKUlT_T0_E_clISt17integral_constantIbLb1EESW_IbLb0EEEEDaSS_ST_EUlSS_E_NS1_11comp_targetILNS1_3genE2ELNS1_11target_archE906ELNS1_3gpuE6ELNS1_3repE0EEENS1_30default_config_static_selectorELNS0_4arch9wavefront6targetE1EEEvT1_
; %bb.0:
	.section	.rodata,"a",@progbits
	.p2align	6, 0x0
	.amdhsa_kernel _ZN7rocprim17ROCPRIM_400000_NS6detail17trampoline_kernelINS0_14default_configENS1_20scan_config_selectorIjEEZZNS1_9scan_implILNS1_25lookback_scan_determinismE0ELb0ELb0ES3_N6thrust23THRUST_200600_302600_NS6detail15normal_iteratorINS9_10device_ptrIjEEEENS9_16discard_iteratorINS9_11use_defaultEEEjNS9_4plusIvEEjEEDaPvRmT3_T4_T5_mT6_P12ihipStream_tbENKUlT_T0_E_clISt17integral_constantIbLb1EESW_IbLb0EEEEDaSS_ST_EUlSS_E_NS1_11comp_targetILNS1_3genE2ELNS1_11target_archE906ELNS1_3gpuE6ELNS1_3repE0EEENS1_30default_config_static_selectorELNS0_4arch9wavefront6targetE1EEEvT1_
		.amdhsa_group_segment_fixed_size 0
		.amdhsa_private_segment_fixed_size 0
		.amdhsa_kernarg_size 104
		.amdhsa_user_sgpr_count 6
		.amdhsa_user_sgpr_private_segment_buffer 1
		.amdhsa_user_sgpr_dispatch_ptr 0
		.amdhsa_user_sgpr_queue_ptr 0
		.amdhsa_user_sgpr_kernarg_segment_ptr 1
		.amdhsa_user_sgpr_dispatch_id 0
		.amdhsa_user_sgpr_flat_scratch_init 0
		.amdhsa_user_sgpr_kernarg_preload_length 0
		.amdhsa_user_sgpr_kernarg_preload_offset 0
		.amdhsa_user_sgpr_private_segment_size 0
		.amdhsa_uses_dynamic_stack 0
		.amdhsa_system_sgpr_private_segment_wavefront_offset 0
		.amdhsa_system_sgpr_workgroup_id_x 1
		.amdhsa_system_sgpr_workgroup_id_y 0
		.amdhsa_system_sgpr_workgroup_id_z 0
		.amdhsa_system_sgpr_workgroup_info 0
		.amdhsa_system_vgpr_workitem_id 0
		.amdhsa_next_free_vgpr 1
		.amdhsa_next_free_sgpr 0
		.amdhsa_accum_offset 4
		.amdhsa_reserve_vcc 0
		.amdhsa_reserve_flat_scratch 0
		.amdhsa_float_round_mode_32 0
		.amdhsa_float_round_mode_16_64 0
		.amdhsa_float_denorm_mode_32 3
		.amdhsa_float_denorm_mode_16_64 3
		.amdhsa_dx10_clamp 1
		.amdhsa_ieee_mode 1
		.amdhsa_fp16_overflow 0
		.amdhsa_tg_split 0
		.amdhsa_exception_fp_ieee_invalid_op 0
		.amdhsa_exception_fp_denorm_src 0
		.amdhsa_exception_fp_ieee_div_zero 0
		.amdhsa_exception_fp_ieee_overflow 0
		.amdhsa_exception_fp_ieee_underflow 0
		.amdhsa_exception_fp_ieee_inexact 0
		.amdhsa_exception_int_div_zero 0
	.end_amdhsa_kernel
	.section	.text._ZN7rocprim17ROCPRIM_400000_NS6detail17trampoline_kernelINS0_14default_configENS1_20scan_config_selectorIjEEZZNS1_9scan_implILNS1_25lookback_scan_determinismE0ELb0ELb0ES3_N6thrust23THRUST_200600_302600_NS6detail15normal_iteratorINS9_10device_ptrIjEEEENS9_16discard_iteratorINS9_11use_defaultEEEjNS9_4plusIvEEjEEDaPvRmT3_T4_T5_mT6_P12ihipStream_tbENKUlT_T0_E_clISt17integral_constantIbLb1EESW_IbLb0EEEEDaSS_ST_EUlSS_E_NS1_11comp_targetILNS1_3genE2ELNS1_11target_archE906ELNS1_3gpuE6ELNS1_3repE0EEENS1_30default_config_static_selectorELNS0_4arch9wavefront6targetE1EEEvT1_,"axG",@progbits,_ZN7rocprim17ROCPRIM_400000_NS6detail17trampoline_kernelINS0_14default_configENS1_20scan_config_selectorIjEEZZNS1_9scan_implILNS1_25lookback_scan_determinismE0ELb0ELb0ES3_N6thrust23THRUST_200600_302600_NS6detail15normal_iteratorINS9_10device_ptrIjEEEENS9_16discard_iteratorINS9_11use_defaultEEEjNS9_4plusIvEEjEEDaPvRmT3_T4_T5_mT6_P12ihipStream_tbENKUlT_T0_E_clISt17integral_constantIbLb1EESW_IbLb0EEEEDaSS_ST_EUlSS_E_NS1_11comp_targetILNS1_3genE2ELNS1_11target_archE906ELNS1_3gpuE6ELNS1_3repE0EEENS1_30default_config_static_selectorELNS0_4arch9wavefront6targetE1EEEvT1_,comdat
.Lfunc_end5334:
	.size	_ZN7rocprim17ROCPRIM_400000_NS6detail17trampoline_kernelINS0_14default_configENS1_20scan_config_selectorIjEEZZNS1_9scan_implILNS1_25lookback_scan_determinismE0ELb0ELb0ES3_N6thrust23THRUST_200600_302600_NS6detail15normal_iteratorINS9_10device_ptrIjEEEENS9_16discard_iteratorINS9_11use_defaultEEEjNS9_4plusIvEEjEEDaPvRmT3_T4_T5_mT6_P12ihipStream_tbENKUlT_T0_E_clISt17integral_constantIbLb1EESW_IbLb0EEEEDaSS_ST_EUlSS_E_NS1_11comp_targetILNS1_3genE2ELNS1_11target_archE906ELNS1_3gpuE6ELNS1_3repE0EEENS1_30default_config_static_selectorELNS0_4arch9wavefront6targetE1EEEvT1_, .Lfunc_end5334-_ZN7rocprim17ROCPRIM_400000_NS6detail17trampoline_kernelINS0_14default_configENS1_20scan_config_selectorIjEEZZNS1_9scan_implILNS1_25lookback_scan_determinismE0ELb0ELb0ES3_N6thrust23THRUST_200600_302600_NS6detail15normal_iteratorINS9_10device_ptrIjEEEENS9_16discard_iteratorINS9_11use_defaultEEEjNS9_4plusIvEEjEEDaPvRmT3_T4_T5_mT6_P12ihipStream_tbENKUlT_T0_E_clISt17integral_constantIbLb1EESW_IbLb0EEEEDaSS_ST_EUlSS_E_NS1_11comp_targetILNS1_3genE2ELNS1_11target_archE906ELNS1_3gpuE6ELNS1_3repE0EEENS1_30default_config_static_selectorELNS0_4arch9wavefront6targetE1EEEvT1_
                                        ; -- End function
	.section	.AMDGPU.csdata,"",@progbits
; Kernel info:
; codeLenInByte = 0
; NumSgprs: 4
; NumVgprs: 0
; NumAgprs: 0
; TotalNumVgprs: 0
; ScratchSize: 0
; MemoryBound: 0
; FloatMode: 240
; IeeeMode: 1
; LDSByteSize: 0 bytes/workgroup (compile time only)
; SGPRBlocks: 0
; VGPRBlocks: 0
; NumSGPRsForWavesPerEU: 4
; NumVGPRsForWavesPerEU: 1
; AccumOffset: 4
; Occupancy: 8
; WaveLimiterHint : 0
; COMPUTE_PGM_RSRC2:SCRATCH_EN: 0
; COMPUTE_PGM_RSRC2:USER_SGPR: 6
; COMPUTE_PGM_RSRC2:TRAP_HANDLER: 0
; COMPUTE_PGM_RSRC2:TGID_X_EN: 1
; COMPUTE_PGM_RSRC2:TGID_Y_EN: 0
; COMPUTE_PGM_RSRC2:TGID_Z_EN: 0
; COMPUTE_PGM_RSRC2:TIDIG_COMP_CNT: 0
; COMPUTE_PGM_RSRC3_GFX90A:ACCUM_OFFSET: 0
; COMPUTE_PGM_RSRC3_GFX90A:TG_SPLIT: 0
	.section	.text._ZN7rocprim17ROCPRIM_400000_NS6detail17trampoline_kernelINS0_14default_configENS1_20scan_config_selectorIjEEZZNS1_9scan_implILNS1_25lookback_scan_determinismE0ELb0ELb0ES3_N6thrust23THRUST_200600_302600_NS6detail15normal_iteratorINS9_10device_ptrIjEEEENS9_16discard_iteratorINS9_11use_defaultEEEjNS9_4plusIvEEjEEDaPvRmT3_T4_T5_mT6_P12ihipStream_tbENKUlT_T0_E_clISt17integral_constantIbLb1EESW_IbLb0EEEEDaSS_ST_EUlSS_E_NS1_11comp_targetILNS1_3genE10ELNS1_11target_archE1201ELNS1_3gpuE5ELNS1_3repE0EEENS1_30default_config_static_selectorELNS0_4arch9wavefront6targetE1EEEvT1_,"axG",@progbits,_ZN7rocprim17ROCPRIM_400000_NS6detail17trampoline_kernelINS0_14default_configENS1_20scan_config_selectorIjEEZZNS1_9scan_implILNS1_25lookback_scan_determinismE0ELb0ELb0ES3_N6thrust23THRUST_200600_302600_NS6detail15normal_iteratorINS9_10device_ptrIjEEEENS9_16discard_iteratorINS9_11use_defaultEEEjNS9_4plusIvEEjEEDaPvRmT3_T4_T5_mT6_P12ihipStream_tbENKUlT_T0_E_clISt17integral_constantIbLb1EESW_IbLb0EEEEDaSS_ST_EUlSS_E_NS1_11comp_targetILNS1_3genE10ELNS1_11target_archE1201ELNS1_3gpuE5ELNS1_3repE0EEENS1_30default_config_static_selectorELNS0_4arch9wavefront6targetE1EEEvT1_,comdat
	.protected	_ZN7rocprim17ROCPRIM_400000_NS6detail17trampoline_kernelINS0_14default_configENS1_20scan_config_selectorIjEEZZNS1_9scan_implILNS1_25lookback_scan_determinismE0ELb0ELb0ES3_N6thrust23THRUST_200600_302600_NS6detail15normal_iteratorINS9_10device_ptrIjEEEENS9_16discard_iteratorINS9_11use_defaultEEEjNS9_4plusIvEEjEEDaPvRmT3_T4_T5_mT6_P12ihipStream_tbENKUlT_T0_E_clISt17integral_constantIbLb1EESW_IbLb0EEEEDaSS_ST_EUlSS_E_NS1_11comp_targetILNS1_3genE10ELNS1_11target_archE1201ELNS1_3gpuE5ELNS1_3repE0EEENS1_30default_config_static_selectorELNS0_4arch9wavefront6targetE1EEEvT1_ ; -- Begin function _ZN7rocprim17ROCPRIM_400000_NS6detail17trampoline_kernelINS0_14default_configENS1_20scan_config_selectorIjEEZZNS1_9scan_implILNS1_25lookback_scan_determinismE0ELb0ELb0ES3_N6thrust23THRUST_200600_302600_NS6detail15normal_iteratorINS9_10device_ptrIjEEEENS9_16discard_iteratorINS9_11use_defaultEEEjNS9_4plusIvEEjEEDaPvRmT3_T4_T5_mT6_P12ihipStream_tbENKUlT_T0_E_clISt17integral_constantIbLb1EESW_IbLb0EEEEDaSS_ST_EUlSS_E_NS1_11comp_targetILNS1_3genE10ELNS1_11target_archE1201ELNS1_3gpuE5ELNS1_3repE0EEENS1_30default_config_static_selectorELNS0_4arch9wavefront6targetE1EEEvT1_
	.globl	_ZN7rocprim17ROCPRIM_400000_NS6detail17trampoline_kernelINS0_14default_configENS1_20scan_config_selectorIjEEZZNS1_9scan_implILNS1_25lookback_scan_determinismE0ELb0ELb0ES3_N6thrust23THRUST_200600_302600_NS6detail15normal_iteratorINS9_10device_ptrIjEEEENS9_16discard_iteratorINS9_11use_defaultEEEjNS9_4plusIvEEjEEDaPvRmT3_T4_T5_mT6_P12ihipStream_tbENKUlT_T0_E_clISt17integral_constantIbLb1EESW_IbLb0EEEEDaSS_ST_EUlSS_E_NS1_11comp_targetILNS1_3genE10ELNS1_11target_archE1201ELNS1_3gpuE5ELNS1_3repE0EEENS1_30default_config_static_selectorELNS0_4arch9wavefront6targetE1EEEvT1_
	.p2align	8
	.type	_ZN7rocprim17ROCPRIM_400000_NS6detail17trampoline_kernelINS0_14default_configENS1_20scan_config_selectorIjEEZZNS1_9scan_implILNS1_25lookback_scan_determinismE0ELb0ELb0ES3_N6thrust23THRUST_200600_302600_NS6detail15normal_iteratorINS9_10device_ptrIjEEEENS9_16discard_iteratorINS9_11use_defaultEEEjNS9_4plusIvEEjEEDaPvRmT3_T4_T5_mT6_P12ihipStream_tbENKUlT_T0_E_clISt17integral_constantIbLb1EESW_IbLb0EEEEDaSS_ST_EUlSS_E_NS1_11comp_targetILNS1_3genE10ELNS1_11target_archE1201ELNS1_3gpuE5ELNS1_3repE0EEENS1_30default_config_static_selectorELNS0_4arch9wavefront6targetE1EEEvT1_,@function
_ZN7rocprim17ROCPRIM_400000_NS6detail17trampoline_kernelINS0_14default_configENS1_20scan_config_selectorIjEEZZNS1_9scan_implILNS1_25lookback_scan_determinismE0ELb0ELb0ES3_N6thrust23THRUST_200600_302600_NS6detail15normal_iteratorINS9_10device_ptrIjEEEENS9_16discard_iteratorINS9_11use_defaultEEEjNS9_4plusIvEEjEEDaPvRmT3_T4_T5_mT6_P12ihipStream_tbENKUlT_T0_E_clISt17integral_constantIbLb1EESW_IbLb0EEEEDaSS_ST_EUlSS_E_NS1_11comp_targetILNS1_3genE10ELNS1_11target_archE1201ELNS1_3gpuE5ELNS1_3repE0EEENS1_30default_config_static_selectorELNS0_4arch9wavefront6targetE1EEEvT1_: ; @_ZN7rocprim17ROCPRIM_400000_NS6detail17trampoline_kernelINS0_14default_configENS1_20scan_config_selectorIjEEZZNS1_9scan_implILNS1_25lookback_scan_determinismE0ELb0ELb0ES3_N6thrust23THRUST_200600_302600_NS6detail15normal_iteratorINS9_10device_ptrIjEEEENS9_16discard_iteratorINS9_11use_defaultEEEjNS9_4plusIvEEjEEDaPvRmT3_T4_T5_mT6_P12ihipStream_tbENKUlT_T0_E_clISt17integral_constantIbLb1EESW_IbLb0EEEEDaSS_ST_EUlSS_E_NS1_11comp_targetILNS1_3genE10ELNS1_11target_archE1201ELNS1_3gpuE5ELNS1_3repE0EEENS1_30default_config_static_selectorELNS0_4arch9wavefront6targetE1EEEvT1_
; %bb.0:
	.section	.rodata,"a",@progbits
	.p2align	6, 0x0
	.amdhsa_kernel _ZN7rocprim17ROCPRIM_400000_NS6detail17trampoline_kernelINS0_14default_configENS1_20scan_config_selectorIjEEZZNS1_9scan_implILNS1_25lookback_scan_determinismE0ELb0ELb0ES3_N6thrust23THRUST_200600_302600_NS6detail15normal_iteratorINS9_10device_ptrIjEEEENS9_16discard_iteratorINS9_11use_defaultEEEjNS9_4plusIvEEjEEDaPvRmT3_T4_T5_mT6_P12ihipStream_tbENKUlT_T0_E_clISt17integral_constantIbLb1EESW_IbLb0EEEEDaSS_ST_EUlSS_E_NS1_11comp_targetILNS1_3genE10ELNS1_11target_archE1201ELNS1_3gpuE5ELNS1_3repE0EEENS1_30default_config_static_selectorELNS0_4arch9wavefront6targetE1EEEvT1_
		.amdhsa_group_segment_fixed_size 0
		.amdhsa_private_segment_fixed_size 0
		.amdhsa_kernarg_size 104
		.amdhsa_user_sgpr_count 6
		.amdhsa_user_sgpr_private_segment_buffer 1
		.amdhsa_user_sgpr_dispatch_ptr 0
		.amdhsa_user_sgpr_queue_ptr 0
		.amdhsa_user_sgpr_kernarg_segment_ptr 1
		.amdhsa_user_sgpr_dispatch_id 0
		.amdhsa_user_sgpr_flat_scratch_init 0
		.amdhsa_user_sgpr_kernarg_preload_length 0
		.amdhsa_user_sgpr_kernarg_preload_offset 0
		.amdhsa_user_sgpr_private_segment_size 0
		.amdhsa_uses_dynamic_stack 0
		.amdhsa_system_sgpr_private_segment_wavefront_offset 0
		.amdhsa_system_sgpr_workgroup_id_x 1
		.amdhsa_system_sgpr_workgroup_id_y 0
		.amdhsa_system_sgpr_workgroup_id_z 0
		.amdhsa_system_sgpr_workgroup_info 0
		.amdhsa_system_vgpr_workitem_id 0
		.amdhsa_next_free_vgpr 1
		.amdhsa_next_free_sgpr 0
		.amdhsa_accum_offset 4
		.amdhsa_reserve_vcc 0
		.amdhsa_reserve_flat_scratch 0
		.amdhsa_float_round_mode_32 0
		.amdhsa_float_round_mode_16_64 0
		.amdhsa_float_denorm_mode_32 3
		.amdhsa_float_denorm_mode_16_64 3
		.amdhsa_dx10_clamp 1
		.amdhsa_ieee_mode 1
		.amdhsa_fp16_overflow 0
		.amdhsa_tg_split 0
		.amdhsa_exception_fp_ieee_invalid_op 0
		.amdhsa_exception_fp_denorm_src 0
		.amdhsa_exception_fp_ieee_div_zero 0
		.amdhsa_exception_fp_ieee_overflow 0
		.amdhsa_exception_fp_ieee_underflow 0
		.amdhsa_exception_fp_ieee_inexact 0
		.amdhsa_exception_int_div_zero 0
	.end_amdhsa_kernel
	.section	.text._ZN7rocprim17ROCPRIM_400000_NS6detail17trampoline_kernelINS0_14default_configENS1_20scan_config_selectorIjEEZZNS1_9scan_implILNS1_25lookback_scan_determinismE0ELb0ELb0ES3_N6thrust23THRUST_200600_302600_NS6detail15normal_iteratorINS9_10device_ptrIjEEEENS9_16discard_iteratorINS9_11use_defaultEEEjNS9_4plusIvEEjEEDaPvRmT3_T4_T5_mT6_P12ihipStream_tbENKUlT_T0_E_clISt17integral_constantIbLb1EESW_IbLb0EEEEDaSS_ST_EUlSS_E_NS1_11comp_targetILNS1_3genE10ELNS1_11target_archE1201ELNS1_3gpuE5ELNS1_3repE0EEENS1_30default_config_static_selectorELNS0_4arch9wavefront6targetE1EEEvT1_,"axG",@progbits,_ZN7rocprim17ROCPRIM_400000_NS6detail17trampoline_kernelINS0_14default_configENS1_20scan_config_selectorIjEEZZNS1_9scan_implILNS1_25lookback_scan_determinismE0ELb0ELb0ES3_N6thrust23THRUST_200600_302600_NS6detail15normal_iteratorINS9_10device_ptrIjEEEENS9_16discard_iteratorINS9_11use_defaultEEEjNS9_4plusIvEEjEEDaPvRmT3_T4_T5_mT6_P12ihipStream_tbENKUlT_T0_E_clISt17integral_constantIbLb1EESW_IbLb0EEEEDaSS_ST_EUlSS_E_NS1_11comp_targetILNS1_3genE10ELNS1_11target_archE1201ELNS1_3gpuE5ELNS1_3repE0EEENS1_30default_config_static_selectorELNS0_4arch9wavefront6targetE1EEEvT1_,comdat
.Lfunc_end5335:
	.size	_ZN7rocprim17ROCPRIM_400000_NS6detail17trampoline_kernelINS0_14default_configENS1_20scan_config_selectorIjEEZZNS1_9scan_implILNS1_25lookback_scan_determinismE0ELb0ELb0ES3_N6thrust23THRUST_200600_302600_NS6detail15normal_iteratorINS9_10device_ptrIjEEEENS9_16discard_iteratorINS9_11use_defaultEEEjNS9_4plusIvEEjEEDaPvRmT3_T4_T5_mT6_P12ihipStream_tbENKUlT_T0_E_clISt17integral_constantIbLb1EESW_IbLb0EEEEDaSS_ST_EUlSS_E_NS1_11comp_targetILNS1_3genE10ELNS1_11target_archE1201ELNS1_3gpuE5ELNS1_3repE0EEENS1_30default_config_static_selectorELNS0_4arch9wavefront6targetE1EEEvT1_, .Lfunc_end5335-_ZN7rocprim17ROCPRIM_400000_NS6detail17trampoline_kernelINS0_14default_configENS1_20scan_config_selectorIjEEZZNS1_9scan_implILNS1_25lookback_scan_determinismE0ELb0ELb0ES3_N6thrust23THRUST_200600_302600_NS6detail15normal_iteratorINS9_10device_ptrIjEEEENS9_16discard_iteratorINS9_11use_defaultEEEjNS9_4plusIvEEjEEDaPvRmT3_T4_T5_mT6_P12ihipStream_tbENKUlT_T0_E_clISt17integral_constantIbLb1EESW_IbLb0EEEEDaSS_ST_EUlSS_E_NS1_11comp_targetILNS1_3genE10ELNS1_11target_archE1201ELNS1_3gpuE5ELNS1_3repE0EEENS1_30default_config_static_selectorELNS0_4arch9wavefront6targetE1EEEvT1_
                                        ; -- End function
	.section	.AMDGPU.csdata,"",@progbits
; Kernel info:
; codeLenInByte = 0
; NumSgprs: 4
; NumVgprs: 0
; NumAgprs: 0
; TotalNumVgprs: 0
; ScratchSize: 0
; MemoryBound: 0
; FloatMode: 240
; IeeeMode: 1
; LDSByteSize: 0 bytes/workgroup (compile time only)
; SGPRBlocks: 0
; VGPRBlocks: 0
; NumSGPRsForWavesPerEU: 4
; NumVGPRsForWavesPerEU: 1
; AccumOffset: 4
; Occupancy: 8
; WaveLimiterHint : 0
; COMPUTE_PGM_RSRC2:SCRATCH_EN: 0
; COMPUTE_PGM_RSRC2:USER_SGPR: 6
; COMPUTE_PGM_RSRC2:TRAP_HANDLER: 0
; COMPUTE_PGM_RSRC2:TGID_X_EN: 1
; COMPUTE_PGM_RSRC2:TGID_Y_EN: 0
; COMPUTE_PGM_RSRC2:TGID_Z_EN: 0
; COMPUTE_PGM_RSRC2:TIDIG_COMP_CNT: 0
; COMPUTE_PGM_RSRC3_GFX90A:ACCUM_OFFSET: 0
; COMPUTE_PGM_RSRC3_GFX90A:TG_SPLIT: 0
	.section	.text._ZN7rocprim17ROCPRIM_400000_NS6detail17trampoline_kernelINS0_14default_configENS1_20scan_config_selectorIjEEZZNS1_9scan_implILNS1_25lookback_scan_determinismE0ELb0ELb0ES3_N6thrust23THRUST_200600_302600_NS6detail15normal_iteratorINS9_10device_ptrIjEEEENS9_16discard_iteratorINS9_11use_defaultEEEjNS9_4plusIvEEjEEDaPvRmT3_T4_T5_mT6_P12ihipStream_tbENKUlT_T0_E_clISt17integral_constantIbLb1EESW_IbLb0EEEEDaSS_ST_EUlSS_E_NS1_11comp_targetILNS1_3genE10ELNS1_11target_archE1200ELNS1_3gpuE4ELNS1_3repE0EEENS1_30default_config_static_selectorELNS0_4arch9wavefront6targetE1EEEvT1_,"axG",@progbits,_ZN7rocprim17ROCPRIM_400000_NS6detail17trampoline_kernelINS0_14default_configENS1_20scan_config_selectorIjEEZZNS1_9scan_implILNS1_25lookback_scan_determinismE0ELb0ELb0ES3_N6thrust23THRUST_200600_302600_NS6detail15normal_iteratorINS9_10device_ptrIjEEEENS9_16discard_iteratorINS9_11use_defaultEEEjNS9_4plusIvEEjEEDaPvRmT3_T4_T5_mT6_P12ihipStream_tbENKUlT_T0_E_clISt17integral_constantIbLb1EESW_IbLb0EEEEDaSS_ST_EUlSS_E_NS1_11comp_targetILNS1_3genE10ELNS1_11target_archE1200ELNS1_3gpuE4ELNS1_3repE0EEENS1_30default_config_static_selectorELNS0_4arch9wavefront6targetE1EEEvT1_,comdat
	.protected	_ZN7rocprim17ROCPRIM_400000_NS6detail17trampoline_kernelINS0_14default_configENS1_20scan_config_selectorIjEEZZNS1_9scan_implILNS1_25lookback_scan_determinismE0ELb0ELb0ES3_N6thrust23THRUST_200600_302600_NS6detail15normal_iteratorINS9_10device_ptrIjEEEENS9_16discard_iteratorINS9_11use_defaultEEEjNS9_4plusIvEEjEEDaPvRmT3_T4_T5_mT6_P12ihipStream_tbENKUlT_T0_E_clISt17integral_constantIbLb1EESW_IbLb0EEEEDaSS_ST_EUlSS_E_NS1_11comp_targetILNS1_3genE10ELNS1_11target_archE1200ELNS1_3gpuE4ELNS1_3repE0EEENS1_30default_config_static_selectorELNS0_4arch9wavefront6targetE1EEEvT1_ ; -- Begin function _ZN7rocprim17ROCPRIM_400000_NS6detail17trampoline_kernelINS0_14default_configENS1_20scan_config_selectorIjEEZZNS1_9scan_implILNS1_25lookback_scan_determinismE0ELb0ELb0ES3_N6thrust23THRUST_200600_302600_NS6detail15normal_iteratorINS9_10device_ptrIjEEEENS9_16discard_iteratorINS9_11use_defaultEEEjNS9_4plusIvEEjEEDaPvRmT3_T4_T5_mT6_P12ihipStream_tbENKUlT_T0_E_clISt17integral_constantIbLb1EESW_IbLb0EEEEDaSS_ST_EUlSS_E_NS1_11comp_targetILNS1_3genE10ELNS1_11target_archE1200ELNS1_3gpuE4ELNS1_3repE0EEENS1_30default_config_static_selectorELNS0_4arch9wavefront6targetE1EEEvT1_
	.globl	_ZN7rocprim17ROCPRIM_400000_NS6detail17trampoline_kernelINS0_14default_configENS1_20scan_config_selectorIjEEZZNS1_9scan_implILNS1_25lookback_scan_determinismE0ELb0ELb0ES3_N6thrust23THRUST_200600_302600_NS6detail15normal_iteratorINS9_10device_ptrIjEEEENS9_16discard_iteratorINS9_11use_defaultEEEjNS9_4plusIvEEjEEDaPvRmT3_T4_T5_mT6_P12ihipStream_tbENKUlT_T0_E_clISt17integral_constantIbLb1EESW_IbLb0EEEEDaSS_ST_EUlSS_E_NS1_11comp_targetILNS1_3genE10ELNS1_11target_archE1200ELNS1_3gpuE4ELNS1_3repE0EEENS1_30default_config_static_selectorELNS0_4arch9wavefront6targetE1EEEvT1_
	.p2align	8
	.type	_ZN7rocprim17ROCPRIM_400000_NS6detail17trampoline_kernelINS0_14default_configENS1_20scan_config_selectorIjEEZZNS1_9scan_implILNS1_25lookback_scan_determinismE0ELb0ELb0ES3_N6thrust23THRUST_200600_302600_NS6detail15normal_iteratorINS9_10device_ptrIjEEEENS9_16discard_iteratorINS9_11use_defaultEEEjNS9_4plusIvEEjEEDaPvRmT3_T4_T5_mT6_P12ihipStream_tbENKUlT_T0_E_clISt17integral_constantIbLb1EESW_IbLb0EEEEDaSS_ST_EUlSS_E_NS1_11comp_targetILNS1_3genE10ELNS1_11target_archE1200ELNS1_3gpuE4ELNS1_3repE0EEENS1_30default_config_static_selectorELNS0_4arch9wavefront6targetE1EEEvT1_,@function
_ZN7rocprim17ROCPRIM_400000_NS6detail17trampoline_kernelINS0_14default_configENS1_20scan_config_selectorIjEEZZNS1_9scan_implILNS1_25lookback_scan_determinismE0ELb0ELb0ES3_N6thrust23THRUST_200600_302600_NS6detail15normal_iteratorINS9_10device_ptrIjEEEENS9_16discard_iteratorINS9_11use_defaultEEEjNS9_4plusIvEEjEEDaPvRmT3_T4_T5_mT6_P12ihipStream_tbENKUlT_T0_E_clISt17integral_constantIbLb1EESW_IbLb0EEEEDaSS_ST_EUlSS_E_NS1_11comp_targetILNS1_3genE10ELNS1_11target_archE1200ELNS1_3gpuE4ELNS1_3repE0EEENS1_30default_config_static_selectorELNS0_4arch9wavefront6targetE1EEEvT1_: ; @_ZN7rocprim17ROCPRIM_400000_NS6detail17trampoline_kernelINS0_14default_configENS1_20scan_config_selectorIjEEZZNS1_9scan_implILNS1_25lookback_scan_determinismE0ELb0ELb0ES3_N6thrust23THRUST_200600_302600_NS6detail15normal_iteratorINS9_10device_ptrIjEEEENS9_16discard_iteratorINS9_11use_defaultEEEjNS9_4plusIvEEjEEDaPvRmT3_T4_T5_mT6_P12ihipStream_tbENKUlT_T0_E_clISt17integral_constantIbLb1EESW_IbLb0EEEEDaSS_ST_EUlSS_E_NS1_11comp_targetILNS1_3genE10ELNS1_11target_archE1200ELNS1_3gpuE4ELNS1_3repE0EEENS1_30default_config_static_selectorELNS0_4arch9wavefront6targetE1EEEvT1_
; %bb.0:
	.section	.rodata,"a",@progbits
	.p2align	6, 0x0
	.amdhsa_kernel _ZN7rocprim17ROCPRIM_400000_NS6detail17trampoline_kernelINS0_14default_configENS1_20scan_config_selectorIjEEZZNS1_9scan_implILNS1_25lookback_scan_determinismE0ELb0ELb0ES3_N6thrust23THRUST_200600_302600_NS6detail15normal_iteratorINS9_10device_ptrIjEEEENS9_16discard_iteratorINS9_11use_defaultEEEjNS9_4plusIvEEjEEDaPvRmT3_T4_T5_mT6_P12ihipStream_tbENKUlT_T0_E_clISt17integral_constantIbLb1EESW_IbLb0EEEEDaSS_ST_EUlSS_E_NS1_11comp_targetILNS1_3genE10ELNS1_11target_archE1200ELNS1_3gpuE4ELNS1_3repE0EEENS1_30default_config_static_selectorELNS0_4arch9wavefront6targetE1EEEvT1_
		.amdhsa_group_segment_fixed_size 0
		.amdhsa_private_segment_fixed_size 0
		.amdhsa_kernarg_size 104
		.amdhsa_user_sgpr_count 6
		.amdhsa_user_sgpr_private_segment_buffer 1
		.amdhsa_user_sgpr_dispatch_ptr 0
		.amdhsa_user_sgpr_queue_ptr 0
		.amdhsa_user_sgpr_kernarg_segment_ptr 1
		.amdhsa_user_sgpr_dispatch_id 0
		.amdhsa_user_sgpr_flat_scratch_init 0
		.amdhsa_user_sgpr_kernarg_preload_length 0
		.amdhsa_user_sgpr_kernarg_preload_offset 0
		.amdhsa_user_sgpr_private_segment_size 0
		.amdhsa_uses_dynamic_stack 0
		.amdhsa_system_sgpr_private_segment_wavefront_offset 0
		.amdhsa_system_sgpr_workgroup_id_x 1
		.amdhsa_system_sgpr_workgroup_id_y 0
		.amdhsa_system_sgpr_workgroup_id_z 0
		.amdhsa_system_sgpr_workgroup_info 0
		.amdhsa_system_vgpr_workitem_id 0
		.amdhsa_next_free_vgpr 1
		.amdhsa_next_free_sgpr 0
		.amdhsa_accum_offset 4
		.amdhsa_reserve_vcc 0
		.amdhsa_reserve_flat_scratch 0
		.amdhsa_float_round_mode_32 0
		.amdhsa_float_round_mode_16_64 0
		.amdhsa_float_denorm_mode_32 3
		.amdhsa_float_denorm_mode_16_64 3
		.amdhsa_dx10_clamp 1
		.amdhsa_ieee_mode 1
		.amdhsa_fp16_overflow 0
		.amdhsa_tg_split 0
		.amdhsa_exception_fp_ieee_invalid_op 0
		.amdhsa_exception_fp_denorm_src 0
		.amdhsa_exception_fp_ieee_div_zero 0
		.amdhsa_exception_fp_ieee_overflow 0
		.amdhsa_exception_fp_ieee_underflow 0
		.amdhsa_exception_fp_ieee_inexact 0
		.amdhsa_exception_int_div_zero 0
	.end_amdhsa_kernel
	.section	.text._ZN7rocprim17ROCPRIM_400000_NS6detail17trampoline_kernelINS0_14default_configENS1_20scan_config_selectorIjEEZZNS1_9scan_implILNS1_25lookback_scan_determinismE0ELb0ELb0ES3_N6thrust23THRUST_200600_302600_NS6detail15normal_iteratorINS9_10device_ptrIjEEEENS9_16discard_iteratorINS9_11use_defaultEEEjNS9_4plusIvEEjEEDaPvRmT3_T4_T5_mT6_P12ihipStream_tbENKUlT_T0_E_clISt17integral_constantIbLb1EESW_IbLb0EEEEDaSS_ST_EUlSS_E_NS1_11comp_targetILNS1_3genE10ELNS1_11target_archE1200ELNS1_3gpuE4ELNS1_3repE0EEENS1_30default_config_static_selectorELNS0_4arch9wavefront6targetE1EEEvT1_,"axG",@progbits,_ZN7rocprim17ROCPRIM_400000_NS6detail17trampoline_kernelINS0_14default_configENS1_20scan_config_selectorIjEEZZNS1_9scan_implILNS1_25lookback_scan_determinismE0ELb0ELb0ES3_N6thrust23THRUST_200600_302600_NS6detail15normal_iteratorINS9_10device_ptrIjEEEENS9_16discard_iteratorINS9_11use_defaultEEEjNS9_4plusIvEEjEEDaPvRmT3_T4_T5_mT6_P12ihipStream_tbENKUlT_T0_E_clISt17integral_constantIbLb1EESW_IbLb0EEEEDaSS_ST_EUlSS_E_NS1_11comp_targetILNS1_3genE10ELNS1_11target_archE1200ELNS1_3gpuE4ELNS1_3repE0EEENS1_30default_config_static_selectorELNS0_4arch9wavefront6targetE1EEEvT1_,comdat
.Lfunc_end5336:
	.size	_ZN7rocprim17ROCPRIM_400000_NS6detail17trampoline_kernelINS0_14default_configENS1_20scan_config_selectorIjEEZZNS1_9scan_implILNS1_25lookback_scan_determinismE0ELb0ELb0ES3_N6thrust23THRUST_200600_302600_NS6detail15normal_iteratorINS9_10device_ptrIjEEEENS9_16discard_iteratorINS9_11use_defaultEEEjNS9_4plusIvEEjEEDaPvRmT3_T4_T5_mT6_P12ihipStream_tbENKUlT_T0_E_clISt17integral_constantIbLb1EESW_IbLb0EEEEDaSS_ST_EUlSS_E_NS1_11comp_targetILNS1_3genE10ELNS1_11target_archE1200ELNS1_3gpuE4ELNS1_3repE0EEENS1_30default_config_static_selectorELNS0_4arch9wavefront6targetE1EEEvT1_, .Lfunc_end5336-_ZN7rocprim17ROCPRIM_400000_NS6detail17trampoline_kernelINS0_14default_configENS1_20scan_config_selectorIjEEZZNS1_9scan_implILNS1_25lookback_scan_determinismE0ELb0ELb0ES3_N6thrust23THRUST_200600_302600_NS6detail15normal_iteratorINS9_10device_ptrIjEEEENS9_16discard_iteratorINS9_11use_defaultEEEjNS9_4plusIvEEjEEDaPvRmT3_T4_T5_mT6_P12ihipStream_tbENKUlT_T0_E_clISt17integral_constantIbLb1EESW_IbLb0EEEEDaSS_ST_EUlSS_E_NS1_11comp_targetILNS1_3genE10ELNS1_11target_archE1200ELNS1_3gpuE4ELNS1_3repE0EEENS1_30default_config_static_selectorELNS0_4arch9wavefront6targetE1EEEvT1_
                                        ; -- End function
	.section	.AMDGPU.csdata,"",@progbits
; Kernel info:
; codeLenInByte = 0
; NumSgprs: 4
; NumVgprs: 0
; NumAgprs: 0
; TotalNumVgprs: 0
; ScratchSize: 0
; MemoryBound: 0
; FloatMode: 240
; IeeeMode: 1
; LDSByteSize: 0 bytes/workgroup (compile time only)
; SGPRBlocks: 0
; VGPRBlocks: 0
; NumSGPRsForWavesPerEU: 4
; NumVGPRsForWavesPerEU: 1
; AccumOffset: 4
; Occupancy: 8
; WaveLimiterHint : 0
; COMPUTE_PGM_RSRC2:SCRATCH_EN: 0
; COMPUTE_PGM_RSRC2:USER_SGPR: 6
; COMPUTE_PGM_RSRC2:TRAP_HANDLER: 0
; COMPUTE_PGM_RSRC2:TGID_X_EN: 1
; COMPUTE_PGM_RSRC2:TGID_Y_EN: 0
; COMPUTE_PGM_RSRC2:TGID_Z_EN: 0
; COMPUTE_PGM_RSRC2:TIDIG_COMP_CNT: 0
; COMPUTE_PGM_RSRC3_GFX90A:ACCUM_OFFSET: 0
; COMPUTE_PGM_RSRC3_GFX90A:TG_SPLIT: 0
	.section	.text._ZN7rocprim17ROCPRIM_400000_NS6detail17trampoline_kernelINS0_14default_configENS1_20scan_config_selectorIjEEZZNS1_9scan_implILNS1_25lookback_scan_determinismE0ELb0ELb0ES3_N6thrust23THRUST_200600_302600_NS6detail15normal_iteratorINS9_10device_ptrIjEEEENS9_16discard_iteratorINS9_11use_defaultEEEjNS9_4plusIvEEjEEDaPvRmT3_T4_T5_mT6_P12ihipStream_tbENKUlT_T0_E_clISt17integral_constantIbLb1EESW_IbLb0EEEEDaSS_ST_EUlSS_E_NS1_11comp_targetILNS1_3genE9ELNS1_11target_archE1100ELNS1_3gpuE3ELNS1_3repE0EEENS1_30default_config_static_selectorELNS0_4arch9wavefront6targetE1EEEvT1_,"axG",@progbits,_ZN7rocprim17ROCPRIM_400000_NS6detail17trampoline_kernelINS0_14default_configENS1_20scan_config_selectorIjEEZZNS1_9scan_implILNS1_25lookback_scan_determinismE0ELb0ELb0ES3_N6thrust23THRUST_200600_302600_NS6detail15normal_iteratorINS9_10device_ptrIjEEEENS9_16discard_iteratorINS9_11use_defaultEEEjNS9_4plusIvEEjEEDaPvRmT3_T4_T5_mT6_P12ihipStream_tbENKUlT_T0_E_clISt17integral_constantIbLb1EESW_IbLb0EEEEDaSS_ST_EUlSS_E_NS1_11comp_targetILNS1_3genE9ELNS1_11target_archE1100ELNS1_3gpuE3ELNS1_3repE0EEENS1_30default_config_static_selectorELNS0_4arch9wavefront6targetE1EEEvT1_,comdat
	.protected	_ZN7rocprim17ROCPRIM_400000_NS6detail17trampoline_kernelINS0_14default_configENS1_20scan_config_selectorIjEEZZNS1_9scan_implILNS1_25lookback_scan_determinismE0ELb0ELb0ES3_N6thrust23THRUST_200600_302600_NS6detail15normal_iteratorINS9_10device_ptrIjEEEENS9_16discard_iteratorINS9_11use_defaultEEEjNS9_4plusIvEEjEEDaPvRmT3_T4_T5_mT6_P12ihipStream_tbENKUlT_T0_E_clISt17integral_constantIbLb1EESW_IbLb0EEEEDaSS_ST_EUlSS_E_NS1_11comp_targetILNS1_3genE9ELNS1_11target_archE1100ELNS1_3gpuE3ELNS1_3repE0EEENS1_30default_config_static_selectorELNS0_4arch9wavefront6targetE1EEEvT1_ ; -- Begin function _ZN7rocprim17ROCPRIM_400000_NS6detail17trampoline_kernelINS0_14default_configENS1_20scan_config_selectorIjEEZZNS1_9scan_implILNS1_25lookback_scan_determinismE0ELb0ELb0ES3_N6thrust23THRUST_200600_302600_NS6detail15normal_iteratorINS9_10device_ptrIjEEEENS9_16discard_iteratorINS9_11use_defaultEEEjNS9_4plusIvEEjEEDaPvRmT3_T4_T5_mT6_P12ihipStream_tbENKUlT_T0_E_clISt17integral_constantIbLb1EESW_IbLb0EEEEDaSS_ST_EUlSS_E_NS1_11comp_targetILNS1_3genE9ELNS1_11target_archE1100ELNS1_3gpuE3ELNS1_3repE0EEENS1_30default_config_static_selectorELNS0_4arch9wavefront6targetE1EEEvT1_
	.globl	_ZN7rocprim17ROCPRIM_400000_NS6detail17trampoline_kernelINS0_14default_configENS1_20scan_config_selectorIjEEZZNS1_9scan_implILNS1_25lookback_scan_determinismE0ELb0ELb0ES3_N6thrust23THRUST_200600_302600_NS6detail15normal_iteratorINS9_10device_ptrIjEEEENS9_16discard_iteratorINS9_11use_defaultEEEjNS9_4plusIvEEjEEDaPvRmT3_T4_T5_mT6_P12ihipStream_tbENKUlT_T0_E_clISt17integral_constantIbLb1EESW_IbLb0EEEEDaSS_ST_EUlSS_E_NS1_11comp_targetILNS1_3genE9ELNS1_11target_archE1100ELNS1_3gpuE3ELNS1_3repE0EEENS1_30default_config_static_selectorELNS0_4arch9wavefront6targetE1EEEvT1_
	.p2align	8
	.type	_ZN7rocprim17ROCPRIM_400000_NS6detail17trampoline_kernelINS0_14default_configENS1_20scan_config_selectorIjEEZZNS1_9scan_implILNS1_25lookback_scan_determinismE0ELb0ELb0ES3_N6thrust23THRUST_200600_302600_NS6detail15normal_iteratorINS9_10device_ptrIjEEEENS9_16discard_iteratorINS9_11use_defaultEEEjNS9_4plusIvEEjEEDaPvRmT3_T4_T5_mT6_P12ihipStream_tbENKUlT_T0_E_clISt17integral_constantIbLb1EESW_IbLb0EEEEDaSS_ST_EUlSS_E_NS1_11comp_targetILNS1_3genE9ELNS1_11target_archE1100ELNS1_3gpuE3ELNS1_3repE0EEENS1_30default_config_static_selectorELNS0_4arch9wavefront6targetE1EEEvT1_,@function
_ZN7rocprim17ROCPRIM_400000_NS6detail17trampoline_kernelINS0_14default_configENS1_20scan_config_selectorIjEEZZNS1_9scan_implILNS1_25lookback_scan_determinismE0ELb0ELb0ES3_N6thrust23THRUST_200600_302600_NS6detail15normal_iteratorINS9_10device_ptrIjEEEENS9_16discard_iteratorINS9_11use_defaultEEEjNS9_4plusIvEEjEEDaPvRmT3_T4_T5_mT6_P12ihipStream_tbENKUlT_T0_E_clISt17integral_constantIbLb1EESW_IbLb0EEEEDaSS_ST_EUlSS_E_NS1_11comp_targetILNS1_3genE9ELNS1_11target_archE1100ELNS1_3gpuE3ELNS1_3repE0EEENS1_30default_config_static_selectorELNS0_4arch9wavefront6targetE1EEEvT1_: ; @_ZN7rocprim17ROCPRIM_400000_NS6detail17trampoline_kernelINS0_14default_configENS1_20scan_config_selectorIjEEZZNS1_9scan_implILNS1_25lookback_scan_determinismE0ELb0ELb0ES3_N6thrust23THRUST_200600_302600_NS6detail15normal_iteratorINS9_10device_ptrIjEEEENS9_16discard_iteratorINS9_11use_defaultEEEjNS9_4plusIvEEjEEDaPvRmT3_T4_T5_mT6_P12ihipStream_tbENKUlT_T0_E_clISt17integral_constantIbLb1EESW_IbLb0EEEEDaSS_ST_EUlSS_E_NS1_11comp_targetILNS1_3genE9ELNS1_11target_archE1100ELNS1_3gpuE3ELNS1_3repE0EEENS1_30default_config_static_selectorELNS0_4arch9wavefront6targetE1EEEvT1_
; %bb.0:
	.section	.rodata,"a",@progbits
	.p2align	6, 0x0
	.amdhsa_kernel _ZN7rocprim17ROCPRIM_400000_NS6detail17trampoline_kernelINS0_14default_configENS1_20scan_config_selectorIjEEZZNS1_9scan_implILNS1_25lookback_scan_determinismE0ELb0ELb0ES3_N6thrust23THRUST_200600_302600_NS6detail15normal_iteratorINS9_10device_ptrIjEEEENS9_16discard_iteratorINS9_11use_defaultEEEjNS9_4plusIvEEjEEDaPvRmT3_T4_T5_mT6_P12ihipStream_tbENKUlT_T0_E_clISt17integral_constantIbLb1EESW_IbLb0EEEEDaSS_ST_EUlSS_E_NS1_11comp_targetILNS1_3genE9ELNS1_11target_archE1100ELNS1_3gpuE3ELNS1_3repE0EEENS1_30default_config_static_selectorELNS0_4arch9wavefront6targetE1EEEvT1_
		.amdhsa_group_segment_fixed_size 0
		.amdhsa_private_segment_fixed_size 0
		.amdhsa_kernarg_size 104
		.amdhsa_user_sgpr_count 6
		.amdhsa_user_sgpr_private_segment_buffer 1
		.amdhsa_user_sgpr_dispatch_ptr 0
		.amdhsa_user_sgpr_queue_ptr 0
		.amdhsa_user_sgpr_kernarg_segment_ptr 1
		.amdhsa_user_sgpr_dispatch_id 0
		.amdhsa_user_sgpr_flat_scratch_init 0
		.amdhsa_user_sgpr_kernarg_preload_length 0
		.amdhsa_user_sgpr_kernarg_preload_offset 0
		.amdhsa_user_sgpr_private_segment_size 0
		.amdhsa_uses_dynamic_stack 0
		.amdhsa_system_sgpr_private_segment_wavefront_offset 0
		.amdhsa_system_sgpr_workgroup_id_x 1
		.amdhsa_system_sgpr_workgroup_id_y 0
		.amdhsa_system_sgpr_workgroup_id_z 0
		.amdhsa_system_sgpr_workgroup_info 0
		.amdhsa_system_vgpr_workitem_id 0
		.amdhsa_next_free_vgpr 1
		.amdhsa_next_free_sgpr 0
		.amdhsa_accum_offset 4
		.amdhsa_reserve_vcc 0
		.amdhsa_reserve_flat_scratch 0
		.amdhsa_float_round_mode_32 0
		.amdhsa_float_round_mode_16_64 0
		.amdhsa_float_denorm_mode_32 3
		.amdhsa_float_denorm_mode_16_64 3
		.amdhsa_dx10_clamp 1
		.amdhsa_ieee_mode 1
		.amdhsa_fp16_overflow 0
		.amdhsa_tg_split 0
		.amdhsa_exception_fp_ieee_invalid_op 0
		.amdhsa_exception_fp_denorm_src 0
		.amdhsa_exception_fp_ieee_div_zero 0
		.amdhsa_exception_fp_ieee_overflow 0
		.amdhsa_exception_fp_ieee_underflow 0
		.amdhsa_exception_fp_ieee_inexact 0
		.amdhsa_exception_int_div_zero 0
	.end_amdhsa_kernel
	.section	.text._ZN7rocprim17ROCPRIM_400000_NS6detail17trampoline_kernelINS0_14default_configENS1_20scan_config_selectorIjEEZZNS1_9scan_implILNS1_25lookback_scan_determinismE0ELb0ELb0ES3_N6thrust23THRUST_200600_302600_NS6detail15normal_iteratorINS9_10device_ptrIjEEEENS9_16discard_iteratorINS9_11use_defaultEEEjNS9_4plusIvEEjEEDaPvRmT3_T4_T5_mT6_P12ihipStream_tbENKUlT_T0_E_clISt17integral_constantIbLb1EESW_IbLb0EEEEDaSS_ST_EUlSS_E_NS1_11comp_targetILNS1_3genE9ELNS1_11target_archE1100ELNS1_3gpuE3ELNS1_3repE0EEENS1_30default_config_static_selectorELNS0_4arch9wavefront6targetE1EEEvT1_,"axG",@progbits,_ZN7rocprim17ROCPRIM_400000_NS6detail17trampoline_kernelINS0_14default_configENS1_20scan_config_selectorIjEEZZNS1_9scan_implILNS1_25lookback_scan_determinismE0ELb0ELb0ES3_N6thrust23THRUST_200600_302600_NS6detail15normal_iteratorINS9_10device_ptrIjEEEENS9_16discard_iteratorINS9_11use_defaultEEEjNS9_4plusIvEEjEEDaPvRmT3_T4_T5_mT6_P12ihipStream_tbENKUlT_T0_E_clISt17integral_constantIbLb1EESW_IbLb0EEEEDaSS_ST_EUlSS_E_NS1_11comp_targetILNS1_3genE9ELNS1_11target_archE1100ELNS1_3gpuE3ELNS1_3repE0EEENS1_30default_config_static_selectorELNS0_4arch9wavefront6targetE1EEEvT1_,comdat
.Lfunc_end5337:
	.size	_ZN7rocprim17ROCPRIM_400000_NS6detail17trampoline_kernelINS0_14default_configENS1_20scan_config_selectorIjEEZZNS1_9scan_implILNS1_25lookback_scan_determinismE0ELb0ELb0ES3_N6thrust23THRUST_200600_302600_NS6detail15normal_iteratorINS9_10device_ptrIjEEEENS9_16discard_iteratorINS9_11use_defaultEEEjNS9_4plusIvEEjEEDaPvRmT3_T4_T5_mT6_P12ihipStream_tbENKUlT_T0_E_clISt17integral_constantIbLb1EESW_IbLb0EEEEDaSS_ST_EUlSS_E_NS1_11comp_targetILNS1_3genE9ELNS1_11target_archE1100ELNS1_3gpuE3ELNS1_3repE0EEENS1_30default_config_static_selectorELNS0_4arch9wavefront6targetE1EEEvT1_, .Lfunc_end5337-_ZN7rocprim17ROCPRIM_400000_NS6detail17trampoline_kernelINS0_14default_configENS1_20scan_config_selectorIjEEZZNS1_9scan_implILNS1_25lookback_scan_determinismE0ELb0ELb0ES3_N6thrust23THRUST_200600_302600_NS6detail15normal_iteratorINS9_10device_ptrIjEEEENS9_16discard_iteratorINS9_11use_defaultEEEjNS9_4plusIvEEjEEDaPvRmT3_T4_T5_mT6_P12ihipStream_tbENKUlT_T0_E_clISt17integral_constantIbLb1EESW_IbLb0EEEEDaSS_ST_EUlSS_E_NS1_11comp_targetILNS1_3genE9ELNS1_11target_archE1100ELNS1_3gpuE3ELNS1_3repE0EEENS1_30default_config_static_selectorELNS0_4arch9wavefront6targetE1EEEvT1_
                                        ; -- End function
	.section	.AMDGPU.csdata,"",@progbits
; Kernel info:
; codeLenInByte = 0
; NumSgprs: 4
; NumVgprs: 0
; NumAgprs: 0
; TotalNumVgprs: 0
; ScratchSize: 0
; MemoryBound: 0
; FloatMode: 240
; IeeeMode: 1
; LDSByteSize: 0 bytes/workgroup (compile time only)
; SGPRBlocks: 0
; VGPRBlocks: 0
; NumSGPRsForWavesPerEU: 4
; NumVGPRsForWavesPerEU: 1
; AccumOffset: 4
; Occupancy: 8
; WaveLimiterHint : 0
; COMPUTE_PGM_RSRC2:SCRATCH_EN: 0
; COMPUTE_PGM_RSRC2:USER_SGPR: 6
; COMPUTE_PGM_RSRC2:TRAP_HANDLER: 0
; COMPUTE_PGM_RSRC2:TGID_X_EN: 1
; COMPUTE_PGM_RSRC2:TGID_Y_EN: 0
; COMPUTE_PGM_RSRC2:TGID_Z_EN: 0
; COMPUTE_PGM_RSRC2:TIDIG_COMP_CNT: 0
; COMPUTE_PGM_RSRC3_GFX90A:ACCUM_OFFSET: 0
; COMPUTE_PGM_RSRC3_GFX90A:TG_SPLIT: 0
	.section	.text._ZN7rocprim17ROCPRIM_400000_NS6detail17trampoline_kernelINS0_14default_configENS1_20scan_config_selectorIjEEZZNS1_9scan_implILNS1_25lookback_scan_determinismE0ELb0ELb0ES3_N6thrust23THRUST_200600_302600_NS6detail15normal_iteratorINS9_10device_ptrIjEEEENS9_16discard_iteratorINS9_11use_defaultEEEjNS9_4plusIvEEjEEDaPvRmT3_T4_T5_mT6_P12ihipStream_tbENKUlT_T0_E_clISt17integral_constantIbLb1EESW_IbLb0EEEEDaSS_ST_EUlSS_E_NS1_11comp_targetILNS1_3genE8ELNS1_11target_archE1030ELNS1_3gpuE2ELNS1_3repE0EEENS1_30default_config_static_selectorELNS0_4arch9wavefront6targetE1EEEvT1_,"axG",@progbits,_ZN7rocprim17ROCPRIM_400000_NS6detail17trampoline_kernelINS0_14default_configENS1_20scan_config_selectorIjEEZZNS1_9scan_implILNS1_25lookback_scan_determinismE0ELb0ELb0ES3_N6thrust23THRUST_200600_302600_NS6detail15normal_iteratorINS9_10device_ptrIjEEEENS9_16discard_iteratorINS9_11use_defaultEEEjNS9_4plusIvEEjEEDaPvRmT3_T4_T5_mT6_P12ihipStream_tbENKUlT_T0_E_clISt17integral_constantIbLb1EESW_IbLb0EEEEDaSS_ST_EUlSS_E_NS1_11comp_targetILNS1_3genE8ELNS1_11target_archE1030ELNS1_3gpuE2ELNS1_3repE0EEENS1_30default_config_static_selectorELNS0_4arch9wavefront6targetE1EEEvT1_,comdat
	.protected	_ZN7rocprim17ROCPRIM_400000_NS6detail17trampoline_kernelINS0_14default_configENS1_20scan_config_selectorIjEEZZNS1_9scan_implILNS1_25lookback_scan_determinismE0ELb0ELb0ES3_N6thrust23THRUST_200600_302600_NS6detail15normal_iteratorINS9_10device_ptrIjEEEENS9_16discard_iteratorINS9_11use_defaultEEEjNS9_4plusIvEEjEEDaPvRmT3_T4_T5_mT6_P12ihipStream_tbENKUlT_T0_E_clISt17integral_constantIbLb1EESW_IbLb0EEEEDaSS_ST_EUlSS_E_NS1_11comp_targetILNS1_3genE8ELNS1_11target_archE1030ELNS1_3gpuE2ELNS1_3repE0EEENS1_30default_config_static_selectorELNS0_4arch9wavefront6targetE1EEEvT1_ ; -- Begin function _ZN7rocprim17ROCPRIM_400000_NS6detail17trampoline_kernelINS0_14default_configENS1_20scan_config_selectorIjEEZZNS1_9scan_implILNS1_25lookback_scan_determinismE0ELb0ELb0ES3_N6thrust23THRUST_200600_302600_NS6detail15normal_iteratorINS9_10device_ptrIjEEEENS9_16discard_iteratorINS9_11use_defaultEEEjNS9_4plusIvEEjEEDaPvRmT3_T4_T5_mT6_P12ihipStream_tbENKUlT_T0_E_clISt17integral_constantIbLb1EESW_IbLb0EEEEDaSS_ST_EUlSS_E_NS1_11comp_targetILNS1_3genE8ELNS1_11target_archE1030ELNS1_3gpuE2ELNS1_3repE0EEENS1_30default_config_static_selectorELNS0_4arch9wavefront6targetE1EEEvT1_
	.globl	_ZN7rocprim17ROCPRIM_400000_NS6detail17trampoline_kernelINS0_14default_configENS1_20scan_config_selectorIjEEZZNS1_9scan_implILNS1_25lookback_scan_determinismE0ELb0ELb0ES3_N6thrust23THRUST_200600_302600_NS6detail15normal_iteratorINS9_10device_ptrIjEEEENS9_16discard_iteratorINS9_11use_defaultEEEjNS9_4plusIvEEjEEDaPvRmT3_T4_T5_mT6_P12ihipStream_tbENKUlT_T0_E_clISt17integral_constantIbLb1EESW_IbLb0EEEEDaSS_ST_EUlSS_E_NS1_11comp_targetILNS1_3genE8ELNS1_11target_archE1030ELNS1_3gpuE2ELNS1_3repE0EEENS1_30default_config_static_selectorELNS0_4arch9wavefront6targetE1EEEvT1_
	.p2align	8
	.type	_ZN7rocprim17ROCPRIM_400000_NS6detail17trampoline_kernelINS0_14default_configENS1_20scan_config_selectorIjEEZZNS1_9scan_implILNS1_25lookback_scan_determinismE0ELb0ELb0ES3_N6thrust23THRUST_200600_302600_NS6detail15normal_iteratorINS9_10device_ptrIjEEEENS9_16discard_iteratorINS9_11use_defaultEEEjNS9_4plusIvEEjEEDaPvRmT3_T4_T5_mT6_P12ihipStream_tbENKUlT_T0_E_clISt17integral_constantIbLb1EESW_IbLb0EEEEDaSS_ST_EUlSS_E_NS1_11comp_targetILNS1_3genE8ELNS1_11target_archE1030ELNS1_3gpuE2ELNS1_3repE0EEENS1_30default_config_static_selectorELNS0_4arch9wavefront6targetE1EEEvT1_,@function
_ZN7rocprim17ROCPRIM_400000_NS6detail17trampoline_kernelINS0_14default_configENS1_20scan_config_selectorIjEEZZNS1_9scan_implILNS1_25lookback_scan_determinismE0ELb0ELb0ES3_N6thrust23THRUST_200600_302600_NS6detail15normal_iteratorINS9_10device_ptrIjEEEENS9_16discard_iteratorINS9_11use_defaultEEEjNS9_4plusIvEEjEEDaPvRmT3_T4_T5_mT6_P12ihipStream_tbENKUlT_T0_E_clISt17integral_constantIbLb1EESW_IbLb0EEEEDaSS_ST_EUlSS_E_NS1_11comp_targetILNS1_3genE8ELNS1_11target_archE1030ELNS1_3gpuE2ELNS1_3repE0EEENS1_30default_config_static_selectorELNS0_4arch9wavefront6targetE1EEEvT1_: ; @_ZN7rocprim17ROCPRIM_400000_NS6detail17trampoline_kernelINS0_14default_configENS1_20scan_config_selectorIjEEZZNS1_9scan_implILNS1_25lookback_scan_determinismE0ELb0ELb0ES3_N6thrust23THRUST_200600_302600_NS6detail15normal_iteratorINS9_10device_ptrIjEEEENS9_16discard_iteratorINS9_11use_defaultEEEjNS9_4plusIvEEjEEDaPvRmT3_T4_T5_mT6_P12ihipStream_tbENKUlT_T0_E_clISt17integral_constantIbLb1EESW_IbLb0EEEEDaSS_ST_EUlSS_E_NS1_11comp_targetILNS1_3genE8ELNS1_11target_archE1030ELNS1_3gpuE2ELNS1_3repE0EEENS1_30default_config_static_selectorELNS0_4arch9wavefront6targetE1EEEvT1_
; %bb.0:
	.section	.rodata,"a",@progbits
	.p2align	6, 0x0
	.amdhsa_kernel _ZN7rocprim17ROCPRIM_400000_NS6detail17trampoline_kernelINS0_14default_configENS1_20scan_config_selectorIjEEZZNS1_9scan_implILNS1_25lookback_scan_determinismE0ELb0ELb0ES3_N6thrust23THRUST_200600_302600_NS6detail15normal_iteratorINS9_10device_ptrIjEEEENS9_16discard_iteratorINS9_11use_defaultEEEjNS9_4plusIvEEjEEDaPvRmT3_T4_T5_mT6_P12ihipStream_tbENKUlT_T0_E_clISt17integral_constantIbLb1EESW_IbLb0EEEEDaSS_ST_EUlSS_E_NS1_11comp_targetILNS1_3genE8ELNS1_11target_archE1030ELNS1_3gpuE2ELNS1_3repE0EEENS1_30default_config_static_selectorELNS0_4arch9wavefront6targetE1EEEvT1_
		.amdhsa_group_segment_fixed_size 0
		.amdhsa_private_segment_fixed_size 0
		.amdhsa_kernarg_size 104
		.amdhsa_user_sgpr_count 6
		.amdhsa_user_sgpr_private_segment_buffer 1
		.amdhsa_user_sgpr_dispatch_ptr 0
		.amdhsa_user_sgpr_queue_ptr 0
		.amdhsa_user_sgpr_kernarg_segment_ptr 1
		.amdhsa_user_sgpr_dispatch_id 0
		.amdhsa_user_sgpr_flat_scratch_init 0
		.amdhsa_user_sgpr_kernarg_preload_length 0
		.amdhsa_user_sgpr_kernarg_preload_offset 0
		.amdhsa_user_sgpr_private_segment_size 0
		.amdhsa_uses_dynamic_stack 0
		.amdhsa_system_sgpr_private_segment_wavefront_offset 0
		.amdhsa_system_sgpr_workgroup_id_x 1
		.amdhsa_system_sgpr_workgroup_id_y 0
		.amdhsa_system_sgpr_workgroup_id_z 0
		.amdhsa_system_sgpr_workgroup_info 0
		.amdhsa_system_vgpr_workitem_id 0
		.amdhsa_next_free_vgpr 1
		.amdhsa_next_free_sgpr 0
		.amdhsa_accum_offset 4
		.amdhsa_reserve_vcc 0
		.amdhsa_reserve_flat_scratch 0
		.amdhsa_float_round_mode_32 0
		.amdhsa_float_round_mode_16_64 0
		.amdhsa_float_denorm_mode_32 3
		.amdhsa_float_denorm_mode_16_64 3
		.amdhsa_dx10_clamp 1
		.amdhsa_ieee_mode 1
		.amdhsa_fp16_overflow 0
		.amdhsa_tg_split 0
		.amdhsa_exception_fp_ieee_invalid_op 0
		.amdhsa_exception_fp_denorm_src 0
		.amdhsa_exception_fp_ieee_div_zero 0
		.amdhsa_exception_fp_ieee_overflow 0
		.amdhsa_exception_fp_ieee_underflow 0
		.amdhsa_exception_fp_ieee_inexact 0
		.amdhsa_exception_int_div_zero 0
	.end_amdhsa_kernel
	.section	.text._ZN7rocprim17ROCPRIM_400000_NS6detail17trampoline_kernelINS0_14default_configENS1_20scan_config_selectorIjEEZZNS1_9scan_implILNS1_25lookback_scan_determinismE0ELb0ELb0ES3_N6thrust23THRUST_200600_302600_NS6detail15normal_iteratorINS9_10device_ptrIjEEEENS9_16discard_iteratorINS9_11use_defaultEEEjNS9_4plusIvEEjEEDaPvRmT3_T4_T5_mT6_P12ihipStream_tbENKUlT_T0_E_clISt17integral_constantIbLb1EESW_IbLb0EEEEDaSS_ST_EUlSS_E_NS1_11comp_targetILNS1_3genE8ELNS1_11target_archE1030ELNS1_3gpuE2ELNS1_3repE0EEENS1_30default_config_static_selectorELNS0_4arch9wavefront6targetE1EEEvT1_,"axG",@progbits,_ZN7rocprim17ROCPRIM_400000_NS6detail17trampoline_kernelINS0_14default_configENS1_20scan_config_selectorIjEEZZNS1_9scan_implILNS1_25lookback_scan_determinismE0ELb0ELb0ES3_N6thrust23THRUST_200600_302600_NS6detail15normal_iteratorINS9_10device_ptrIjEEEENS9_16discard_iteratorINS9_11use_defaultEEEjNS9_4plusIvEEjEEDaPvRmT3_T4_T5_mT6_P12ihipStream_tbENKUlT_T0_E_clISt17integral_constantIbLb1EESW_IbLb0EEEEDaSS_ST_EUlSS_E_NS1_11comp_targetILNS1_3genE8ELNS1_11target_archE1030ELNS1_3gpuE2ELNS1_3repE0EEENS1_30default_config_static_selectorELNS0_4arch9wavefront6targetE1EEEvT1_,comdat
.Lfunc_end5338:
	.size	_ZN7rocprim17ROCPRIM_400000_NS6detail17trampoline_kernelINS0_14default_configENS1_20scan_config_selectorIjEEZZNS1_9scan_implILNS1_25lookback_scan_determinismE0ELb0ELb0ES3_N6thrust23THRUST_200600_302600_NS6detail15normal_iteratorINS9_10device_ptrIjEEEENS9_16discard_iteratorINS9_11use_defaultEEEjNS9_4plusIvEEjEEDaPvRmT3_T4_T5_mT6_P12ihipStream_tbENKUlT_T0_E_clISt17integral_constantIbLb1EESW_IbLb0EEEEDaSS_ST_EUlSS_E_NS1_11comp_targetILNS1_3genE8ELNS1_11target_archE1030ELNS1_3gpuE2ELNS1_3repE0EEENS1_30default_config_static_selectorELNS0_4arch9wavefront6targetE1EEEvT1_, .Lfunc_end5338-_ZN7rocprim17ROCPRIM_400000_NS6detail17trampoline_kernelINS0_14default_configENS1_20scan_config_selectorIjEEZZNS1_9scan_implILNS1_25lookback_scan_determinismE0ELb0ELb0ES3_N6thrust23THRUST_200600_302600_NS6detail15normal_iteratorINS9_10device_ptrIjEEEENS9_16discard_iteratorINS9_11use_defaultEEEjNS9_4plusIvEEjEEDaPvRmT3_T4_T5_mT6_P12ihipStream_tbENKUlT_T0_E_clISt17integral_constantIbLb1EESW_IbLb0EEEEDaSS_ST_EUlSS_E_NS1_11comp_targetILNS1_3genE8ELNS1_11target_archE1030ELNS1_3gpuE2ELNS1_3repE0EEENS1_30default_config_static_selectorELNS0_4arch9wavefront6targetE1EEEvT1_
                                        ; -- End function
	.section	.AMDGPU.csdata,"",@progbits
; Kernel info:
; codeLenInByte = 0
; NumSgprs: 4
; NumVgprs: 0
; NumAgprs: 0
; TotalNumVgprs: 0
; ScratchSize: 0
; MemoryBound: 0
; FloatMode: 240
; IeeeMode: 1
; LDSByteSize: 0 bytes/workgroup (compile time only)
; SGPRBlocks: 0
; VGPRBlocks: 0
; NumSGPRsForWavesPerEU: 4
; NumVGPRsForWavesPerEU: 1
; AccumOffset: 4
; Occupancy: 8
; WaveLimiterHint : 0
; COMPUTE_PGM_RSRC2:SCRATCH_EN: 0
; COMPUTE_PGM_RSRC2:USER_SGPR: 6
; COMPUTE_PGM_RSRC2:TRAP_HANDLER: 0
; COMPUTE_PGM_RSRC2:TGID_X_EN: 1
; COMPUTE_PGM_RSRC2:TGID_Y_EN: 0
; COMPUTE_PGM_RSRC2:TGID_Z_EN: 0
; COMPUTE_PGM_RSRC2:TIDIG_COMP_CNT: 0
; COMPUTE_PGM_RSRC3_GFX90A:ACCUM_OFFSET: 0
; COMPUTE_PGM_RSRC3_GFX90A:TG_SPLIT: 0
	.section	.text._ZN7rocprim17ROCPRIM_400000_NS6detail17trampoline_kernelINS0_14default_configENS1_20scan_config_selectorIjEEZZNS1_9scan_implILNS1_25lookback_scan_determinismE0ELb0ELb0ES3_N6thrust23THRUST_200600_302600_NS6detail15normal_iteratorINS9_10device_ptrIjEEEENS9_16discard_iteratorINS9_11use_defaultEEEjNS9_4plusIvEEjEEDaPvRmT3_T4_T5_mT6_P12ihipStream_tbENKUlT_T0_E_clISt17integral_constantIbLb1EESW_IbLb0EEEEDaSS_ST_EUlSS_E0_NS1_11comp_targetILNS1_3genE0ELNS1_11target_archE4294967295ELNS1_3gpuE0ELNS1_3repE0EEENS1_30default_config_static_selectorELNS0_4arch9wavefront6targetE1EEEvT1_,"axG",@progbits,_ZN7rocprim17ROCPRIM_400000_NS6detail17trampoline_kernelINS0_14default_configENS1_20scan_config_selectorIjEEZZNS1_9scan_implILNS1_25lookback_scan_determinismE0ELb0ELb0ES3_N6thrust23THRUST_200600_302600_NS6detail15normal_iteratorINS9_10device_ptrIjEEEENS9_16discard_iteratorINS9_11use_defaultEEEjNS9_4plusIvEEjEEDaPvRmT3_T4_T5_mT6_P12ihipStream_tbENKUlT_T0_E_clISt17integral_constantIbLb1EESW_IbLb0EEEEDaSS_ST_EUlSS_E0_NS1_11comp_targetILNS1_3genE0ELNS1_11target_archE4294967295ELNS1_3gpuE0ELNS1_3repE0EEENS1_30default_config_static_selectorELNS0_4arch9wavefront6targetE1EEEvT1_,comdat
	.protected	_ZN7rocprim17ROCPRIM_400000_NS6detail17trampoline_kernelINS0_14default_configENS1_20scan_config_selectorIjEEZZNS1_9scan_implILNS1_25lookback_scan_determinismE0ELb0ELb0ES3_N6thrust23THRUST_200600_302600_NS6detail15normal_iteratorINS9_10device_ptrIjEEEENS9_16discard_iteratorINS9_11use_defaultEEEjNS9_4plusIvEEjEEDaPvRmT3_T4_T5_mT6_P12ihipStream_tbENKUlT_T0_E_clISt17integral_constantIbLb1EESW_IbLb0EEEEDaSS_ST_EUlSS_E0_NS1_11comp_targetILNS1_3genE0ELNS1_11target_archE4294967295ELNS1_3gpuE0ELNS1_3repE0EEENS1_30default_config_static_selectorELNS0_4arch9wavefront6targetE1EEEvT1_ ; -- Begin function _ZN7rocprim17ROCPRIM_400000_NS6detail17trampoline_kernelINS0_14default_configENS1_20scan_config_selectorIjEEZZNS1_9scan_implILNS1_25lookback_scan_determinismE0ELb0ELb0ES3_N6thrust23THRUST_200600_302600_NS6detail15normal_iteratorINS9_10device_ptrIjEEEENS9_16discard_iteratorINS9_11use_defaultEEEjNS9_4plusIvEEjEEDaPvRmT3_T4_T5_mT6_P12ihipStream_tbENKUlT_T0_E_clISt17integral_constantIbLb1EESW_IbLb0EEEEDaSS_ST_EUlSS_E0_NS1_11comp_targetILNS1_3genE0ELNS1_11target_archE4294967295ELNS1_3gpuE0ELNS1_3repE0EEENS1_30default_config_static_selectorELNS0_4arch9wavefront6targetE1EEEvT1_
	.globl	_ZN7rocprim17ROCPRIM_400000_NS6detail17trampoline_kernelINS0_14default_configENS1_20scan_config_selectorIjEEZZNS1_9scan_implILNS1_25lookback_scan_determinismE0ELb0ELb0ES3_N6thrust23THRUST_200600_302600_NS6detail15normal_iteratorINS9_10device_ptrIjEEEENS9_16discard_iteratorINS9_11use_defaultEEEjNS9_4plusIvEEjEEDaPvRmT3_T4_T5_mT6_P12ihipStream_tbENKUlT_T0_E_clISt17integral_constantIbLb1EESW_IbLb0EEEEDaSS_ST_EUlSS_E0_NS1_11comp_targetILNS1_3genE0ELNS1_11target_archE4294967295ELNS1_3gpuE0ELNS1_3repE0EEENS1_30default_config_static_selectorELNS0_4arch9wavefront6targetE1EEEvT1_
	.p2align	8
	.type	_ZN7rocprim17ROCPRIM_400000_NS6detail17trampoline_kernelINS0_14default_configENS1_20scan_config_selectorIjEEZZNS1_9scan_implILNS1_25lookback_scan_determinismE0ELb0ELb0ES3_N6thrust23THRUST_200600_302600_NS6detail15normal_iteratorINS9_10device_ptrIjEEEENS9_16discard_iteratorINS9_11use_defaultEEEjNS9_4plusIvEEjEEDaPvRmT3_T4_T5_mT6_P12ihipStream_tbENKUlT_T0_E_clISt17integral_constantIbLb1EESW_IbLb0EEEEDaSS_ST_EUlSS_E0_NS1_11comp_targetILNS1_3genE0ELNS1_11target_archE4294967295ELNS1_3gpuE0ELNS1_3repE0EEENS1_30default_config_static_selectorELNS0_4arch9wavefront6targetE1EEEvT1_,@function
_ZN7rocprim17ROCPRIM_400000_NS6detail17trampoline_kernelINS0_14default_configENS1_20scan_config_selectorIjEEZZNS1_9scan_implILNS1_25lookback_scan_determinismE0ELb0ELb0ES3_N6thrust23THRUST_200600_302600_NS6detail15normal_iteratorINS9_10device_ptrIjEEEENS9_16discard_iteratorINS9_11use_defaultEEEjNS9_4plusIvEEjEEDaPvRmT3_T4_T5_mT6_P12ihipStream_tbENKUlT_T0_E_clISt17integral_constantIbLb1EESW_IbLb0EEEEDaSS_ST_EUlSS_E0_NS1_11comp_targetILNS1_3genE0ELNS1_11target_archE4294967295ELNS1_3gpuE0ELNS1_3repE0EEENS1_30default_config_static_selectorELNS0_4arch9wavefront6targetE1EEEvT1_: ; @_ZN7rocprim17ROCPRIM_400000_NS6detail17trampoline_kernelINS0_14default_configENS1_20scan_config_selectorIjEEZZNS1_9scan_implILNS1_25lookback_scan_determinismE0ELb0ELb0ES3_N6thrust23THRUST_200600_302600_NS6detail15normal_iteratorINS9_10device_ptrIjEEEENS9_16discard_iteratorINS9_11use_defaultEEEjNS9_4plusIvEEjEEDaPvRmT3_T4_T5_mT6_P12ihipStream_tbENKUlT_T0_E_clISt17integral_constantIbLb1EESW_IbLb0EEEEDaSS_ST_EUlSS_E0_NS1_11comp_targetILNS1_3genE0ELNS1_11target_archE4294967295ELNS1_3gpuE0ELNS1_3repE0EEENS1_30default_config_static_selectorELNS0_4arch9wavefront6targetE1EEEvT1_
; %bb.0:
	.section	.rodata,"a",@progbits
	.p2align	6, 0x0
	.amdhsa_kernel _ZN7rocprim17ROCPRIM_400000_NS6detail17trampoline_kernelINS0_14default_configENS1_20scan_config_selectorIjEEZZNS1_9scan_implILNS1_25lookback_scan_determinismE0ELb0ELb0ES3_N6thrust23THRUST_200600_302600_NS6detail15normal_iteratorINS9_10device_ptrIjEEEENS9_16discard_iteratorINS9_11use_defaultEEEjNS9_4plusIvEEjEEDaPvRmT3_T4_T5_mT6_P12ihipStream_tbENKUlT_T0_E_clISt17integral_constantIbLb1EESW_IbLb0EEEEDaSS_ST_EUlSS_E0_NS1_11comp_targetILNS1_3genE0ELNS1_11target_archE4294967295ELNS1_3gpuE0ELNS1_3repE0EEENS1_30default_config_static_selectorELNS0_4arch9wavefront6targetE1EEEvT1_
		.amdhsa_group_segment_fixed_size 0
		.amdhsa_private_segment_fixed_size 0
		.amdhsa_kernarg_size 40
		.amdhsa_user_sgpr_count 6
		.amdhsa_user_sgpr_private_segment_buffer 1
		.amdhsa_user_sgpr_dispatch_ptr 0
		.amdhsa_user_sgpr_queue_ptr 0
		.amdhsa_user_sgpr_kernarg_segment_ptr 1
		.amdhsa_user_sgpr_dispatch_id 0
		.amdhsa_user_sgpr_flat_scratch_init 0
		.amdhsa_user_sgpr_kernarg_preload_length 0
		.amdhsa_user_sgpr_kernarg_preload_offset 0
		.amdhsa_user_sgpr_private_segment_size 0
		.amdhsa_uses_dynamic_stack 0
		.amdhsa_system_sgpr_private_segment_wavefront_offset 0
		.amdhsa_system_sgpr_workgroup_id_x 1
		.amdhsa_system_sgpr_workgroup_id_y 0
		.amdhsa_system_sgpr_workgroup_id_z 0
		.amdhsa_system_sgpr_workgroup_info 0
		.amdhsa_system_vgpr_workitem_id 0
		.amdhsa_next_free_vgpr 1
		.amdhsa_next_free_sgpr 0
		.amdhsa_accum_offset 4
		.amdhsa_reserve_vcc 0
		.amdhsa_reserve_flat_scratch 0
		.amdhsa_float_round_mode_32 0
		.amdhsa_float_round_mode_16_64 0
		.amdhsa_float_denorm_mode_32 3
		.amdhsa_float_denorm_mode_16_64 3
		.amdhsa_dx10_clamp 1
		.amdhsa_ieee_mode 1
		.amdhsa_fp16_overflow 0
		.amdhsa_tg_split 0
		.amdhsa_exception_fp_ieee_invalid_op 0
		.amdhsa_exception_fp_denorm_src 0
		.amdhsa_exception_fp_ieee_div_zero 0
		.amdhsa_exception_fp_ieee_overflow 0
		.amdhsa_exception_fp_ieee_underflow 0
		.amdhsa_exception_fp_ieee_inexact 0
		.amdhsa_exception_int_div_zero 0
	.end_amdhsa_kernel
	.section	.text._ZN7rocprim17ROCPRIM_400000_NS6detail17trampoline_kernelINS0_14default_configENS1_20scan_config_selectorIjEEZZNS1_9scan_implILNS1_25lookback_scan_determinismE0ELb0ELb0ES3_N6thrust23THRUST_200600_302600_NS6detail15normal_iteratorINS9_10device_ptrIjEEEENS9_16discard_iteratorINS9_11use_defaultEEEjNS9_4plusIvEEjEEDaPvRmT3_T4_T5_mT6_P12ihipStream_tbENKUlT_T0_E_clISt17integral_constantIbLb1EESW_IbLb0EEEEDaSS_ST_EUlSS_E0_NS1_11comp_targetILNS1_3genE0ELNS1_11target_archE4294967295ELNS1_3gpuE0ELNS1_3repE0EEENS1_30default_config_static_selectorELNS0_4arch9wavefront6targetE1EEEvT1_,"axG",@progbits,_ZN7rocprim17ROCPRIM_400000_NS6detail17trampoline_kernelINS0_14default_configENS1_20scan_config_selectorIjEEZZNS1_9scan_implILNS1_25lookback_scan_determinismE0ELb0ELb0ES3_N6thrust23THRUST_200600_302600_NS6detail15normal_iteratorINS9_10device_ptrIjEEEENS9_16discard_iteratorINS9_11use_defaultEEEjNS9_4plusIvEEjEEDaPvRmT3_T4_T5_mT6_P12ihipStream_tbENKUlT_T0_E_clISt17integral_constantIbLb1EESW_IbLb0EEEEDaSS_ST_EUlSS_E0_NS1_11comp_targetILNS1_3genE0ELNS1_11target_archE4294967295ELNS1_3gpuE0ELNS1_3repE0EEENS1_30default_config_static_selectorELNS0_4arch9wavefront6targetE1EEEvT1_,comdat
.Lfunc_end5339:
	.size	_ZN7rocprim17ROCPRIM_400000_NS6detail17trampoline_kernelINS0_14default_configENS1_20scan_config_selectorIjEEZZNS1_9scan_implILNS1_25lookback_scan_determinismE0ELb0ELb0ES3_N6thrust23THRUST_200600_302600_NS6detail15normal_iteratorINS9_10device_ptrIjEEEENS9_16discard_iteratorINS9_11use_defaultEEEjNS9_4plusIvEEjEEDaPvRmT3_T4_T5_mT6_P12ihipStream_tbENKUlT_T0_E_clISt17integral_constantIbLb1EESW_IbLb0EEEEDaSS_ST_EUlSS_E0_NS1_11comp_targetILNS1_3genE0ELNS1_11target_archE4294967295ELNS1_3gpuE0ELNS1_3repE0EEENS1_30default_config_static_selectorELNS0_4arch9wavefront6targetE1EEEvT1_, .Lfunc_end5339-_ZN7rocprim17ROCPRIM_400000_NS6detail17trampoline_kernelINS0_14default_configENS1_20scan_config_selectorIjEEZZNS1_9scan_implILNS1_25lookback_scan_determinismE0ELb0ELb0ES3_N6thrust23THRUST_200600_302600_NS6detail15normal_iteratorINS9_10device_ptrIjEEEENS9_16discard_iteratorINS9_11use_defaultEEEjNS9_4plusIvEEjEEDaPvRmT3_T4_T5_mT6_P12ihipStream_tbENKUlT_T0_E_clISt17integral_constantIbLb1EESW_IbLb0EEEEDaSS_ST_EUlSS_E0_NS1_11comp_targetILNS1_3genE0ELNS1_11target_archE4294967295ELNS1_3gpuE0ELNS1_3repE0EEENS1_30default_config_static_selectorELNS0_4arch9wavefront6targetE1EEEvT1_
                                        ; -- End function
	.section	.AMDGPU.csdata,"",@progbits
; Kernel info:
; codeLenInByte = 0
; NumSgprs: 4
; NumVgprs: 0
; NumAgprs: 0
; TotalNumVgprs: 0
; ScratchSize: 0
; MemoryBound: 0
; FloatMode: 240
; IeeeMode: 1
; LDSByteSize: 0 bytes/workgroup (compile time only)
; SGPRBlocks: 0
; VGPRBlocks: 0
; NumSGPRsForWavesPerEU: 4
; NumVGPRsForWavesPerEU: 1
; AccumOffset: 4
; Occupancy: 8
; WaveLimiterHint : 0
; COMPUTE_PGM_RSRC2:SCRATCH_EN: 0
; COMPUTE_PGM_RSRC2:USER_SGPR: 6
; COMPUTE_PGM_RSRC2:TRAP_HANDLER: 0
; COMPUTE_PGM_RSRC2:TGID_X_EN: 1
; COMPUTE_PGM_RSRC2:TGID_Y_EN: 0
; COMPUTE_PGM_RSRC2:TGID_Z_EN: 0
; COMPUTE_PGM_RSRC2:TIDIG_COMP_CNT: 0
; COMPUTE_PGM_RSRC3_GFX90A:ACCUM_OFFSET: 0
; COMPUTE_PGM_RSRC3_GFX90A:TG_SPLIT: 0
	.section	.text._ZN7rocprim17ROCPRIM_400000_NS6detail17trampoline_kernelINS0_14default_configENS1_20scan_config_selectorIjEEZZNS1_9scan_implILNS1_25lookback_scan_determinismE0ELb0ELb0ES3_N6thrust23THRUST_200600_302600_NS6detail15normal_iteratorINS9_10device_ptrIjEEEENS9_16discard_iteratorINS9_11use_defaultEEEjNS9_4plusIvEEjEEDaPvRmT3_T4_T5_mT6_P12ihipStream_tbENKUlT_T0_E_clISt17integral_constantIbLb1EESW_IbLb0EEEEDaSS_ST_EUlSS_E0_NS1_11comp_targetILNS1_3genE5ELNS1_11target_archE942ELNS1_3gpuE9ELNS1_3repE0EEENS1_30default_config_static_selectorELNS0_4arch9wavefront6targetE1EEEvT1_,"axG",@progbits,_ZN7rocprim17ROCPRIM_400000_NS6detail17trampoline_kernelINS0_14default_configENS1_20scan_config_selectorIjEEZZNS1_9scan_implILNS1_25lookback_scan_determinismE0ELb0ELb0ES3_N6thrust23THRUST_200600_302600_NS6detail15normal_iteratorINS9_10device_ptrIjEEEENS9_16discard_iteratorINS9_11use_defaultEEEjNS9_4plusIvEEjEEDaPvRmT3_T4_T5_mT6_P12ihipStream_tbENKUlT_T0_E_clISt17integral_constantIbLb1EESW_IbLb0EEEEDaSS_ST_EUlSS_E0_NS1_11comp_targetILNS1_3genE5ELNS1_11target_archE942ELNS1_3gpuE9ELNS1_3repE0EEENS1_30default_config_static_selectorELNS0_4arch9wavefront6targetE1EEEvT1_,comdat
	.protected	_ZN7rocprim17ROCPRIM_400000_NS6detail17trampoline_kernelINS0_14default_configENS1_20scan_config_selectorIjEEZZNS1_9scan_implILNS1_25lookback_scan_determinismE0ELb0ELb0ES3_N6thrust23THRUST_200600_302600_NS6detail15normal_iteratorINS9_10device_ptrIjEEEENS9_16discard_iteratorINS9_11use_defaultEEEjNS9_4plusIvEEjEEDaPvRmT3_T4_T5_mT6_P12ihipStream_tbENKUlT_T0_E_clISt17integral_constantIbLb1EESW_IbLb0EEEEDaSS_ST_EUlSS_E0_NS1_11comp_targetILNS1_3genE5ELNS1_11target_archE942ELNS1_3gpuE9ELNS1_3repE0EEENS1_30default_config_static_selectorELNS0_4arch9wavefront6targetE1EEEvT1_ ; -- Begin function _ZN7rocprim17ROCPRIM_400000_NS6detail17trampoline_kernelINS0_14default_configENS1_20scan_config_selectorIjEEZZNS1_9scan_implILNS1_25lookback_scan_determinismE0ELb0ELb0ES3_N6thrust23THRUST_200600_302600_NS6detail15normal_iteratorINS9_10device_ptrIjEEEENS9_16discard_iteratorINS9_11use_defaultEEEjNS9_4plusIvEEjEEDaPvRmT3_T4_T5_mT6_P12ihipStream_tbENKUlT_T0_E_clISt17integral_constantIbLb1EESW_IbLb0EEEEDaSS_ST_EUlSS_E0_NS1_11comp_targetILNS1_3genE5ELNS1_11target_archE942ELNS1_3gpuE9ELNS1_3repE0EEENS1_30default_config_static_selectorELNS0_4arch9wavefront6targetE1EEEvT1_
	.globl	_ZN7rocprim17ROCPRIM_400000_NS6detail17trampoline_kernelINS0_14default_configENS1_20scan_config_selectorIjEEZZNS1_9scan_implILNS1_25lookback_scan_determinismE0ELb0ELb0ES3_N6thrust23THRUST_200600_302600_NS6detail15normal_iteratorINS9_10device_ptrIjEEEENS9_16discard_iteratorINS9_11use_defaultEEEjNS9_4plusIvEEjEEDaPvRmT3_T4_T5_mT6_P12ihipStream_tbENKUlT_T0_E_clISt17integral_constantIbLb1EESW_IbLb0EEEEDaSS_ST_EUlSS_E0_NS1_11comp_targetILNS1_3genE5ELNS1_11target_archE942ELNS1_3gpuE9ELNS1_3repE0EEENS1_30default_config_static_selectorELNS0_4arch9wavefront6targetE1EEEvT1_
	.p2align	8
	.type	_ZN7rocprim17ROCPRIM_400000_NS6detail17trampoline_kernelINS0_14default_configENS1_20scan_config_selectorIjEEZZNS1_9scan_implILNS1_25lookback_scan_determinismE0ELb0ELb0ES3_N6thrust23THRUST_200600_302600_NS6detail15normal_iteratorINS9_10device_ptrIjEEEENS9_16discard_iteratorINS9_11use_defaultEEEjNS9_4plusIvEEjEEDaPvRmT3_T4_T5_mT6_P12ihipStream_tbENKUlT_T0_E_clISt17integral_constantIbLb1EESW_IbLb0EEEEDaSS_ST_EUlSS_E0_NS1_11comp_targetILNS1_3genE5ELNS1_11target_archE942ELNS1_3gpuE9ELNS1_3repE0EEENS1_30default_config_static_selectorELNS0_4arch9wavefront6targetE1EEEvT1_,@function
_ZN7rocprim17ROCPRIM_400000_NS6detail17trampoline_kernelINS0_14default_configENS1_20scan_config_selectorIjEEZZNS1_9scan_implILNS1_25lookback_scan_determinismE0ELb0ELb0ES3_N6thrust23THRUST_200600_302600_NS6detail15normal_iteratorINS9_10device_ptrIjEEEENS9_16discard_iteratorINS9_11use_defaultEEEjNS9_4plusIvEEjEEDaPvRmT3_T4_T5_mT6_P12ihipStream_tbENKUlT_T0_E_clISt17integral_constantIbLb1EESW_IbLb0EEEEDaSS_ST_EUlSS_E0_NS1_11comp_targetILNS1_3genE5ELNS1_11target_archE942ELNS1_3gpuE9ELNS1_3repE0EEENS1_30default_config_static_selectorELNS0_4arch9wavefront6targetE1EEEvT1_: ; @_ZN7rocprim17ROCPRIM_400000_NS6detail17trampoline_kernelINS0_14default_configENS1_20scan_config_selectorIjEEZZNS1_9scan_implILNS1_25lookback_scan_determinismE0ELb0ELb0ES3_N6thrust23THRUST_200600_302600_NS6detail15normal_iteratorINS9_10device_ptrIjEEEENS9_16discard_iteratorINS9_11use_defaultEEEjNS9_4plusIvEEjEEDaPvRmT3_T4_T5_mT6_P12ihipStream_tbENKUlT_T0_E_clISt17integral_constantIbLb1EESW_IbLb0EEEEDaSS_ST_EUlSS_E0_NS1_11comp_targetILNS1_3genE5ELNS1_11target_archE942ELNS1_3gpuE9ELNS1_3repE0EEENS1_30default_config_static_selectorELNS0_4arch9wavefront6targetE1EEEvT1_
; %bb.0:
	.section	.rodata,"a",@progbits
	.p2align	6, 0x0
	.amdhsa_kernel _ZN7rocprim17ROCPRIM_400000_NS6detail17trampoline_kernelINS0_14default_configENS1_20scan_config_selectorIjEEZZNS1_9scan_implILNS1_25lookback_scan_determinismE0ELb0ELb0ES3_N6thrust23THRUST_200600_302600_NS6detail15normal_iteratorINS9_10device_ptrIjEEEENS9_16discard_iteratorINS9_11use_defaultEEEjNS9_4plusIvEEjEEDaPvRmT3_T4_T5_mT6_P12ihipStream_tbENKUlT_T0_E_clISt17integral_constantIbLb1EESW_IbLb0EEEEDaSS_ST_EUlSS_E0_NS1_11comp_targetILNS1_3genE5ELNS1_11target_archE942ELNS1_3gpuE9ELNS1_3repE0EEENS1_30default_config_static_selectorELNS0_4arch9wavefront6targetE1EEEvT1_
		.amdhsa_group_segment_fixed_size 0
		.amdhsa_private_segment_fixed_size 0
		.amdhsa_kernarg_size 40
		.amdhsa_user_sgpr_count 6
		.amdhsa_user_sgpr_private_segment_buffer 1
		.amdhsa_user_sgpr_dispatch_ptr 0
		.amdhsa_user_sgpr_queue_ptr 0
		.amdhsa_user_sgpr_kernarg_segment_ptr 1
		.amdhsa_user_sgpr_dispatch_id 0
		.amdhsa_user_sgpr_flat_scratch_init 0
		.amdhsa_user_sgpr_kernarg_preload_length 0
		.amdhsa_user_sgpr_kernarg_preload_offset 0
		.amdhsa_user_sgpr_private_segment_size 0
		.amdhsa_uses_dynamic_stack 0
		.amdhsa_system_sgpr_private_segment_wavefront_offset 0
		.amdhsa_system_sgpr_workgroup_id_x 1
		.amdhsa_system_sgpr_workgroup_id_y 0
		.amdhsa_system_sgpr_workgroup_id_z 0
		.amdhsa_system_sgpr_workgroup_info 0
		.amdhsa_system_vgpr_workitem_id 0
		.amdhsa_next_free_vgpr 1
		.amdhsa_next_free_sgpr 0
		.amdhsa_accum_offset 4
		.amdhsa_reserve_vcc 0
		.amdhsa_reserve_flat_scratch 0
		.amdhsa_float_round_mode_32 0
		.amdhsa_float_round_mode_16_64 0
		.amdhsa_float_denorm_mode_32 3
		.amdhsa_float_denorm_mode_16_64 3
		.amdhsa_dx10_clamp 1
		.amdhsa_ieee_mode 1
		.amdhsa_fp16_overflow 0
		.amdhsa_tg_split 0
		.amdhsa_exception_fp_ieee_invalid_op 0
		.amdhsa_exception_fp_denorm_src 0
		.amdhsa_exception_fp_ieee_div_zero 0
		.amdhsa_exception_fp_ieee_overflow 0
		.amdhsa_exception_fp_ieee_underflow 0
		.amdhsa_exception_fp_ieee_inexact 0
		.amdhsa_exception_int_div_zero 0
	.end_amdhsa_kernel
	.section	.text._ZN7rocprim17ROCPRIM_400000_NS6detail17trampoline_kernelINS0_14default_configENS1_20scan_config_selectorIjEEZZNS1_9scan_implILNS1_25lookback_scan_determinismE0ELb0ELb0ES3_N6thrust23THRUST_200600_302600_NS6detail15normal_iteratorINS9_10device_ptrIjEEEENS9_16discard_iteratorINS9_11use_defaultEEEjNS9_4plusIvEEjEEDaPvRmT3_T4_T5_mT6_P12ihipStream_tbENKUlT_T0_E_clISt17integral_constantIbLb1EESW_IbLb0EEEEDaSS_ST_EUlSS_E0_NS1_11comp_targetILNS1_3genE5ELNS1_11target_archE942ELNS1_3gpuE9ELNS1_3repE0EEENS1_30default_config_static_selectorELNS0_4arch9wavefront6targetE1EEEvT1_,"axG",@progbits,_ZN7rocprim17ROCPRIM_400000_NS6detail17trampoline_kernelINS0_14default_configENS1_20scan_config_selectorIjEEZZNS1_9scan_implILNS1_25lookback_scan_determinismE0ELb0ELb0ES3_N6thrust23THRUST_200600_302600_NS6detail15normal_iteratorINS9_10device_ptrIjEEEENS9_16discard_iteratorINS9_11use_defaultEEEjNS9_4plusIvEEjEEDaPvRmT3_T4_T5_mT6_P12ihipStream_tbENKUlT_T0_E_clISt17integral_constantIbLb1EESW_IbLb0EEEEDaSS_ST_EUlSS_E0_NS1_11comp_targetILNS1_3genE5ELNS1_11target_archE942ELNS1_3gpuE9ELNS1_3repE0EEENS1_30default_config_static_selectorELNS0_4arch9wavefront6targetE1EEEvT1_,comdat
.Lfunc_end5340:
	.size	_ZN7rocprim17ROCPRIM_400000_NS6detail17trampoline_kernelINS0_14default_configENS1_20scan_config_selectorIjEEZZNS1_9scan_implILNS1_25lookback_scan_determinismE0ELb0ELb0ES3_N6thrust23THRUST_200600_302600_NS6detail15normal_iteratorINS9_10device_ptrIjEEEENS9_16discard_iteratorINS9_11use_defaultEEEjNS9_4plusIvEEjEEDaPvRmT3_T4_T5_mT6_P12ihipStream_tbENKUlT_T0_E_clISt17integral_constantIbLb1EESW_IbLb0EEEEDaSS_ST_EUlSS_E0_NS1_11comp_targetILNS1_3genE5ELNS1_11target_archE942ELNS1_3gpuE9ELNS1_3repE0EEENS1_30default_config_static_selectorELNS0_4arch9wavefront6targetE1EEEvT1_, .Lfunc_end5340-_ZN7rocprim17ROCPRIM_400000_NS6detail17trampoline_kernelINS0_14default_configENS1_20scan_config_selectorIjEEZZNS1_9scan_implILNS1_25lookback_scan_determinismE0ELb0ELb0ES3_N6thrust23THRUST_200600_302600_NS6detail15normal_iteratorINS9_10device_ptrIjEEEENS9_16discard_iteratorINS9_11use_defaultEEEjNS9_4plusIvEEjEEDaPvRmT3_T4_T5_mT6_P12ihipStream_tbENKUlT_T0_E_clISt17integral_constantIbLb1EESW_IbLb0EEEEDaSS_ST_EUlSS_E0_NS1_11comp_targetILNS1_3genE5ELNS1_11target_archE942ELNS1_3gpuE9ELNS1_3repE0EEENS1_30default_config_static_selectorELNS0_4arch9wavefront6targetE1EEEvT1_
                                        ; -- End function
	.section	.AMDGPU.csdata,"",@progbits
; Kernel info:
; codeLenInByte = 0
; NumSgprs: 4
; NumVgprs: 0
; NumAgprs: 0
; TotalNumVgprs: 0
; ScratchSize: 0
; MemoryBound: 0
; FloatMode: 240
; IeeeMode: 1
; LDSByteSize: 0 bytes/workgroup (compile time only)
; SGPRBlocks: 0
; VGPRBlocks: 0
; NumSGPRsForWavesPerEU: 4
; NumVGPRsForWavesPerEU: 1
; AccumOffset: 4
; Occupancy: 8
; WaveLimiterHint : 0
; COMPUTE_PGM_RSRC2:SCRATCH_EN: 0
; COMPUTE_PGM_RSRC2:USER_SGPR: 6
; COMPUTE_PGM_RSRC2:TRAP_HANDLER: 0
; COMPUTE_PGM_RSRC2:TGID_X_EN: 1
; COMPUTE_PGM_RSRC2:TGID_Y_EN: 0
; COMPUTE_PGM_RSRC2:TGID_Z_EN: 0
; COMPUTE_PGM_RSRC2:TIDIG_COMP_CNT: 0
; COMPUTE_PGM_RSRC3_GFX90A:ACCUM_OFFSET: 0
; COMPUTE_PGM_RSRC3_GFX90A:TG_SPLIT: 0
	.section	.text._ZN7rocprim17ROCPRIM_400000_NS6detail17trampoline_kernelINS0_14default_configENS1_20scan_config_selectorIjEEZZNS1_9scan_implILNS1_25lookback_scan_determinismE0ELb0ELb0ES3_N6thrust23THRUST_200600_302600_NS6detail15normal_iteratorINS9_10device_ptrIjEEEENS9_16discard_iteratorINS9_11use_defaultEEEjNS9_4plusIvEEjEEDaPvRmT3_T4_T5_mT6_P12ihipStream_tbENKUlT_T0_E_clISt17integral_constantIbLb1EESW_IbLb0EEEEDaSS_ST_EUlSS_E0_NS1_11comp_targetILNS1_3genE4ELNS1_11target_archE910ELNS1_3gpuE8ELNS1_3repE0EEENS1_30default_config_static_selectorELNS0_4arch9wavefront6targetE1EEEvT1_,"axG",@progbits,_ZN7rocprim17ROCPRIM_400000_NS6detail17trampoline_kernelINS0_14default_configENS1_20scan_config_selectorIjEEZZNS1_9scan_implILNS1_25lookback_scan_determinismE0ELb0ELb0ES3_N6thrust23THRUST_200600_302600_NS6detail15normal_iteratorINS9_10device_ptrIjEEEENS9_16discard_iteratorINS9_11use_defaultEEEjNS9_4plusIvEEjEEDaPvRmT3_T4_T5_mT6_P12ihipStream_tbENKUlT_T0_E_clISt17integral_constantIbLb1EESW_IbLb0EEEEDaSS_ST_EUlSS_E0_NS1_11comp_targetILNS1_3genE4ELNS1_11target_archE910ELNS1_3gpuE8ELNS1_3repE0EEENS1_30default_config_static_selectorELNS0_4arch9wavefront6targetE1EEEvT1_,comdat
	.protected	_ZN7rocprim17ROCPRIM_400000_NS6detail17trampoline_kernelINS0_14default_configENS1_20scan_config_selectorIjEEZZNS1_9scan_implILNS1_25lookback_scan_determinismE0ELb0ELb0ES3_N6thrust23THRUST_200600_302600_NS6detail15normal_iteratorINS9_10device_ptrIjEEEENS9_16discard_iteratorINS9_11use_defaultEEEjNS9_4plusIvEEjEEDaPvRmT3_T4_T5_mT6_P12ihipStream_tbENKUlT_T0_E_clISt17integral_constantIbLb1EESW_IbLb0EEEEDaSS_ST_EUlSS_E0_NS1_11comp_targetILNS1_3genE4ELNS1_11target_archE910ELNS1_3gpuE8ELNS1_3repE0EEENS1_30default_config_static_selectorELNS0_4arch9wavefront6targetE1EEEvT1_ ; -- Begin function _ZN7rocprim17ROCPRIM_400000_NS6detail17trampoline_kernelINS0_14default_configENS1_20scan_config_selectorIjEEZZNS1_9scan_implILNS1_25lookback_scan_determinismE0ELb0ELb0ES3_N6thrust23THRUST_200600_302600_NS6detail15normal_iteratorINS9_10device_ptrIjEEEENS9_16discard_iteratorINS9_11use_defaultEEEjNS9_4plusIvEEjEEDaPvRmT3_T4_T5_mT6_P12ihipStream_tbENKUlT_T0_E_clISt17integral_constantIbLb1EESW_IbLb0EEEEDaSS_ST_EUlSS_E0_NS1_11comp_targetILNS1_3genE4ELNS1_11target_archE910ELNS1_3gpuE8ELNS1_3repE0EEENS1_30default_config_static_selectorELNS0_4arch9wavefront6targetE1EEEvT1_
	.globl	_ZN7rocprim17ROCPRIM_400000_NS6detail17trampoline_kernelINS0_14default_configENS1_20scan_config_selectorIjEEZZNS1_9scan_implILNS1_25lookback_scan_determinismE0ELb0ELb0ES3_N6thrust23THRUST_200600_302600_NS6detail15normal_iteratorINS9_10device_ptrIjEEEENS9_16discard_iteratorINS9_11use_defaultEEEjNS9_4plusIvEEjEEDaPvRmT3_T4_T5_mT6_P12ihipStream_tbENKUlT_T0_E_clISt17integral_constantIbLb1EESW_IbLb0EEEEDaSS_ST_EUlSS_E0_NS1_11comp_targetILNS1_3genE4ELNS1_11target_archE910ELNS1_3gpuE8ELNS1_3repE0EEENS1_30default_config_static_selectorELNS0_4arch9wavefront6targetE1EEEvT1_
	.p2align	8
	.type	_ZN7rocprim17ROCPRIM_400000_NS6detail17trampoline_kernelINS0_14default_configENS1_20scan_config_selectorIjEEZZNS1_9scan_implILNS1_25lookback_scan_determinismE0ELb0ELb0ES3_N6thrust23THRUST_200600_302600_NS6detail15normal_iteratorINS9_10device_ptrIjEEEENS9_16discard_iteratorINS9_11use_defaultEEEjNS9_4plusIvEEjEEDaPvRmT3_T4_T5_mT6_P12ihipStream_tbENKUlT_T0_E_clISt17integral_constantIbLb1EESW_IbLb0EEEEDaSS_ST_EUlSS_E0_NS1_11comp_targetILNS1_3genE4ELNS1_11target_archE910ELNS1_3gpuE8ELNS1_3repE0EEENS1_30default_config_static_selectorELNS0_4arch9wavefront6targetE1EEEvT1_,@function
_ZN7rocprim17ROCPRIM_400000_NS6detail17trampoline_kernelINS0_14default_configENS1_20scan_config_selectorIjEEZZNS1_9scan_implILNS1_25lookback_scan_determinismE0ELb0ELb0ES3_N6thrust23THRUST_200600_302600_NS6detail15normal_iteratorINS9_10device_ptrIjEEEENS9_16discard_iteratorINS9_11use_defaultEEEjNS9_4plusIvEEjEEDaPvRmT3_T4_T5_mT6_P12ihipStream_tbENKUlT_T0_E_clISt17integral_constantIbLb1EESW_IbLb0EEEEDaSS_ST_EUlSS_E0_NS1_11comp_targetILNS1_3genE4ELNS1_11target_archE910ELNS1_3gpuE8ELNS1_3repE0EEENS1_30default_config_static_selectorELNS0_4arch9wavefront6targetE1EEEvT1_: ; @_ZN7rocprim17ROCPRIM_400000_NS6detail17trampoline_kernelINS0_14default_configENS1_20scan_config_selectorIjEEZZNS1_9scan_implILNS1_25lookback_scan_determinismE0ELb0ELb0ES3_N6thrust23THRUST_200600_302600_NS6detail15normal_iteratorINS9_10device_ptrIjEEEENS9_16discard_iteratorINS9_11use_defaultEEEjNS9_4plusIvEEjEEDaPvRmT3_T4_T5_mT6_P12ihipStream_tbENKUlT_T0_E_clISt17integral_constantIbLb1EESW_IbLb0EEEEDaSS_ST_EUlSS_E0_NS1_11comp_targetILNS1_3genE4ELNS1_11target_archE910ELNS1_3gpuE8ELNS1_3repE0EEENS1_30default_config_static_selectorELNS0_4arch9wavefront6targetE1EEEvT1_
; %bb.0:
	s_load_dwordx4 s[0:3], s[4:5], 0x0
	v_lshlrev_b32_e32 v20, 2, v0
	s_waitcnt lgkmcnt(0)
	s_load_dword s3, s[0:1], 0x0
	v_cmp_gt_u32_e32 vcc, s2, v0
	s_waitcnt lgkmcnt(0)
	v_mov_b32_e32 v1, s3
	s_and_saveexec_b64 s[4:5], vcc
	s_cbranch_execz .LBB5341_2
; %bb.1:
	global_load_dword v1, v20, s[0:1]
.LBB5341_2:
	s_or_b64 exec, exec, s[4:5]
	v_or_b32_e32 v2, 0x80, v0
	v_cmp_gt_u32_e32 vcc, s2, v2
	v_mov_b32_e32 v2, s3
	s_and_saveexec_b64 s[4:5], vcc
	s_cbranch_execz .LBB5341_4
; %bb.3:
	global_load_dword v2, v20, s[0:1] offset:512
.LBB5341_4:
	s_or_b64 exec, exec, s[4:5]
	v_or_b32_e32 v3, 0x100, v0
	v_cmp_gt_u32_e32 vcc, s2, v3
	v_mov_b32_e32 v3, s3
	s_and_saveexec_b64 s[4:5], vcc
	s_cbranch_execz .LBB5341_6
; %bb.5:
	global_load_dword v3, v20, s[0:1] offset:1024
.LBB5341_6:
	;; [unrolled: 9-line block ×7, first 2 shown]
	s_or_b64 exec, exec, s[4:5]
	v_or_b32_e32 v10, 0x400, v0
	v_cmp_gt_u32_e32 vcc, s2, v10
	v_mov_b32_e32 v9, s3
	s_and_saveexec_b64 s[4:5], vcc
	s_cbranch_execz .LBB5341_18
; %bb.17:
	v_lshlrev_b32_e32 v9, 2, v10
	global_load_dword v9, v9, s[0:1]
.LBB5341_18:
	s_or_b64 exec, exec, s[4:5]
	v_or_b32_e32 v11, 0x480, v0
	v_cmp_gt_u32_e32 vcc, s2, v11
	v_mov_b32_e32 v10, s3
	s_and_saveexec_b64 s[2:3], vcc
	s_cbranch_execz .LBB5341_20
; %bb.19:
	v_lshlrev_b32_e32 v10, 2, v11
	global_load_dword v10, v10, s[0:1]
.LBB5341_20:
	s_or_b64 exec, exec, s[2:3]
	s_waitcnt vmcnt(0)
	ds_write2st64_b32 v20, v1, v2 offset1:2
	ds_write2st64_b32 v20, v3, v4 offset0:4 offset1:6
	ds_write2st64_b32 v20, v5, v6 offset0:8 offset1:10
	;; [unrolled: 1-line block ×4, first 2 shown]
	v_mad_u32_u24 v1, v0, 36, v20
	s_waitcnt lgkmcnt(0)
	s_barrier
	ds_read2_b64 v[6:9], v1 offset1:1
	ds_read2_b64 v[2:5], v1 offset0:2 offset1:3
	ds_read_b64 v[18:19], v1 offset:32
	v_lshrrev_b32_e32 v21, 3, v0
	v_and_b32_e32 v21, 12, v21
	s_waitcnt lgkmcnt(2)
	v_add_u32_e32 v1, v7, v6
	v_add_u32_e32 v14, v1, v8
	;; [unrolled: 1-line block ×3, first 2 shown]
	s_waitcnt lgkmcnt(1)
	v_add_u32_e32 v10, v15, v2
	v_add_u32_e32 v11, v10, v3
	;; [unrolled: 1-line block ×4, first 2 shown]
	s_waitcnt lgkmcnt(0)
	v_add_u32_e32 v16, v13, v18
	v_add_u32_e32 v17, v16, v19
	;; [unrolled: 1-line block ×3, first 2 shown]
	v_cmp_gt_u32_e32 vcc, 64, v0
	s_barrier
	ds_write_b32 v21, v17
	s_waitcnt lgkmcnt(0)
	s_barrier
	s_and_saveexec_b64 s[0:1], vcc
	s_cbranch_execz .LBB5341_22
; %bb.21:
	v_lshlrev_b32_e32 v21, 1, v0
	v_lshrrev_b32_e32 v22, 4, v0
	v_add_lshl_u32 v21, v22, v21, 2
	ds_read2_b32 v[22:23], v21 offset1:1
	v_mbcnt_lo_u32_b32 v24, -1, 0
	v_mbcnt_hi_u32_b32 v24, -1, v24
	v_and_b32_e32 v25, 15, v24
	v_cmp_ne_u32_e32 vcc, 0, v25
	s_waitcnt lgkmcnt(0)
	v_add_u32_e32 v23, v23, v22
	; wave barrier
	s_nop 1
	v_mov_b32_dpp v26, v23 row_shr:1 row_mask:0xf bank_mask:0xf
	v_cndmask_b32_e32 v26, 0, v26, vcc
	v_add_u32_e32 v23, v26, v23
	v_cmp_lt_u32_e32 vcc, 1, v25
	s_nop 0
	v_mov_b32_dpp v26, v23 row_shr:2 row_mask:0xf bank_mask:0xf
	v_cndmask_b32_e32 v26, 0, v26, vcc
	v_add_u32_e32 v23, v23, v26
	v_cmp_lt_u32_e32 vcc, 3, v25
	;; [unrolled: 5-line block ×3, first 2 shown]
	s_nop 0
	v_mov_b32_dpp v26, v23 row_shr:8 row_mask:0xf bank_mask:0xf
	v_cndmask_b32_e32 v25, 0, v26, vcc
	v_add_u32_e32 v23, v23, v25
	v_bfe_i32 v26, v24, 4, 1
	v_cmp_lt_u32_e32 vcc, 31, v24
	v_mov_b32_dpp v25, v23 row_bcast:15 row_mask:0xf bank_mask:0xf
	v_and_b32_e32 v25, v26, v25
	v_add_u32_e32 v23, v23, v25
	v_and_b32_e32 v26, 64, v24
	s_nop 0
	v_mov_b32_dpp v25, v23 row_bcast:31 row_mask:0xf bank_mask:0xf
	v_cndmask_b32_e32 v25, 0, v25, vcc
	v_add_u32_e32 v23, v23, v25
	v_add_u32_e32 v25, -1, v24
	v_cmp_lt_i32_e32 vcc, v25, v26
	v_cndmask_b32_e32 v24, v25, v24, vcc
	v_lshlrev_b32_e32 v24, 2, v24
	ds_bpermute_b32 v23, v24, v23
	v_cmp_eq_u32_e32 vcc, 0, v0
	s_waitcnt lgkmcnt(0)
	v_add_u32_e32 v22, v23, v22
	v_cndmask_b32_e32 v22, v22, v17, vcc
	ds_write_b32 v21, v22
	; wave barrier
	ds_read_b32 v23, v21 offset:4
	s_waitcnt lgkmcnt(0)
	v_add_u32_e32 v22, v23, v22
	ds_write_b32 v21, v22 offset:4
.LBB5341_22:
	s_or_b64 exec, exec, s[0:1]
	v_cmp_ne_u32_e32 vcc, 0, v0
	v_mov_b32_e32 v22, v17
	s_waitcnt lgkmcnt(0)
	s_barrier
	s_and_saveexec_b64 s[0:1], vcc
	s_cbranch_execz .LBB5341_24
; %bb.23:
	v_add_u32_e32 v21, -1, v0
	v_lshrrev_b32_e32 v22, 5, v21
	v_add_lshl_u32 v21, v22, v21, 2
	ds_read_b32 v22, v21
.LBB5341_24:
	s_or_b64 exec, exec, s[0:1]
	v_mul_u32_u24_e32 v21, 36, v0
	v_mov_b32_e32 v0, v6
	s_and_saveexec_b64 s[0:1], vcc
	s_cbranch_execz .LBB5341_26
; %bb.25:
	s_waitcnt lgkmcnt(0)
	v_add_u32_e32 v0, v22, v6
	v_add_u32_e32 v1, v0, v7
	;; [unrolled: 1-line block ×10, first 2 shown]
	;;#ASMSTART
	;;#ASMEND
.LBB5341_26:
	s_or_b64 exec, exec, s[0:1]
	v_add_u32_e32 v2, v20, v21
	s_waitcnt lgkmcnt(0)
	s_barrier
	ds_write2_b64 v2, v[0:1], v[14:15] offset1:1
	ds_write2_b64 v2, v[10:11], v[12:13] offset0:2 offset1:3
	ds_write_b64 v2, v[16:17] offset:32
	s_waitcnt lgkmcnt(0)
	s_barrier
	s_endpgm
	.section	.rodata,"a",@progbits
	.p2align	6, 0x0
	.amdhsa_kernel _ZN7rocprim17ROCPRIM_400000_NS6detail17trampoline_kernelINS0_14default_configENS1_20scan_config_selectorIjEEZZNS1_9scan_implILNS1_25lookback_scan_determinismE0ELb0ELb0ES3_N6thrust23THRUST_200600_302600_NS6detail15normal_iteratorINS9_10device_ptrIjEEEENS9_16discard_iteratorINS9_11use_defaultEEEjNS9_4plusIvEEjEEDaPvRmT3_T4_T5_mT6_P12ihipStream_tbENKUlT_T0_E_clISt17integral_constantIbLb1EESW_IbLb0EEEEDaSS_ST_EUlSS_E0_NS1_11comp_targetILNS1_3genE4ELNS1_11target_archE910ELNS1_3gpuE8ELNS1_3repE0EEENS1_30default_config_static_selectorELNS0_4arch9wavefront6targetE1EEEvT1_
		.amdhsa_group_segment_fixed_size 5120
		.amdhsa_private_segment_fixed_size 0
		.amdhsa_kernarg_size 40
		.amdhsa_user_sgpr_count 6
		.amdhsa_user_sgpr_private_segment_buffer 1
		.amdhsa_user_sgpr_dispatch_ptr 0
		.amdhsa_user_sgpr_queue_ptr 0
		.amdhsa_user_sgpr_kernarg_segment_ptr 1
		.amdhsa_user_sgpr_dispatch_id 0
		.amdhsa_user_sgpr_flat_scratch_init 0
		.amdhsa_user_sgpr_kernarg_preload_length 0
		.amdhsa_user_sgpr_kernarg_preload_offset 0
		.amdhsa_user_sgpr_private_segment_size 0
		.amdhsa_uses_dynamic_stack 0
		.amdhsa_system_sgpr_private_segment_wavefront_offset 0
		.amdhsa_system_sgpr_workgroup_id_x 1
		.amdhsa_system_sgpr_workgroup_id_y 0
		.amdhsa_system_sgpr_workgroup_id_z 0
		.amdhsa_system_sgpr_workgroup_info 0
		.amdhsa_system_vgpr_workitem_id 0
		.amdhsa_next_free_vgpr 27
		.amdhsa_next_free_sgpr 6
		.amdhsa_accum_offset 28
		.amdhsa_reserve_vcc 1
		.amdhsa_reserve_flat_scratch 0
		.amdhsa_float_round_mode_32 0
		.amdhsa_float_round_mode_16_64 0
		.amdhsa_float_denorm_mode_32 3
		.amdhsa_float_denorm_mode_16_64 3
		.amdhsa_dx10_clamp 1
		.amdhsa_ieee_mode 1
		.amdhsa_fp16_overflow 0
		.amdhsa_tg_split 0
		.amdhsa_exception_fp_ieee_invalid_op 0
		.amdhsa_exception_fp_denorm_src 0
		.amdhsa_exception_fp_ieee_div_zero 0
		.amdhsa_exception_fp_ieee_overflow 0
		.amdhsa_exception_fp_ieee_underflow 0
		.amdhsa_exception_fp_ieee_inexact 0
		.amdhsa_exception_int_div_zero 0
	.end_amdhsa_kernel
	.section	.text._ZN7rocprim17ROCPRIM_400000_NS6detail17trampoline_kernelINS0_14default_configENS1_20scan_config_selectorIjEEZZNS1_9scan_implILNS1_25lookback_scan_determinismE0ELb0ELb0ES3_N6thrust23THRUST_200600_302600_NS6detail15normal_iteratorINS9_10device_ptrIjEEEENS9_16discard_iteratorINS9_11use_defaultEEEjNS9_4plusIvEEjEEDaPvRmT3_T4_T5_mT6_P12ihipStream_tbENKUlT_T0_E_clISt17integral_constantIbLb1EESW_IbLb0EEEEDaSS_ST_EUlSS_E0_NS1_11comp_targetILNS1_3genE4ELNS1_11target_archE910ELNS1_3gpuE8ELNS1_3repE0EEENS1_30default_config_static_selectorELNS0_4arch9wavefront6targetE1EEEvT1_,"axG",@progbits,_ZN7rocprim17ROCPRIM_400000_NS6detail17trampoline_kernelINS0_14default_configENS1_20scan_config_selectorIjEEZZNS1_9scan_implILNS1_25lookback_scan_determinismE0ELb0ELb0ES3_N6thrust23THRUST_200600_302600_NS6detail15normal_iteratorINS9_10device_ptrIjEEEENS9_16discard_iteratorINS9_11use_defaultEEEjNS9_4plusIvEEjEEDaPvRmT3_T4_T5_mT6_P12ihipStream_tbENKUlT_T0_E_clISt17integral_constantIbLb1EESW_IbLb0EEEEDaSS_ST_EUlSS_E0_NS1_11comp_targetILNS1_3genE4ELNS1_11target_archE910ELNS1_3gpuE8ELNS1_3repE0EEENS1_30default_config_static_selectorELNS0_4arch9wavefront6targetE1EEEvT1_,comdat
.Lfunc_end5341:
	.size	_ZN7rocprim17ROCPRIM_400000_NS6detail17trampoline_kernelINS0_14default_configENS1_20scan_config_selectorIjEEZZNS1_9scan_implILNS1_25lookback_scan_determinismE0ELb0ELb0ES3_N6thrust23THRUST_200600_302600_NS6detail15normal_iteratorINS9_10device_ptrIjEEEENS9_16discard_iteratorINS9_11use_defaultEEEjNS9_4plusIvEEjEEDaPvRmT3_T4_T5_mT6_P12ihipStream_tbENKUlT_T0_E_clISt17integral_constantIbLb1EESW_IbLb0EEEEDaSS_ST_EUlSS_E0_NS1_11comp_targetILNS1_3genE4ELNS1_11target_archE910ELNS1_3gpuE8ELNS1_3repE0EEENS1_30default_config_static_selectorELNS0_4arch9wavefront6targetE1EEEvT1_, .Lfunc_end5341-_ZN7rocprim17ROCPRIM_400000_NS6detail17trampoline_kernelINS0_14default_configENS1_20scan_config_selectorIjEEZZNS1_9scan_implILNS1_25lookback_scan_determinismE0ELb0ELb0ES3_N6thrust23THRUST_200600_302600_NS6detail15normal_iteratorINS9_10device_ptrIjEEEENS9_16discard_iteratorINS9_11use_defaultEEEjNS9_4plusIvEEjEEDaPvRmT3_T4_T5_mT6_P12ihipStream_tbENKUlT_T0_E_clISt17integral_constantIbLb1EESW_IbLb0EEEEDaSS_ST_EUlSS_E0_NS1_11comp_targetILNS1_3genE4ELNS1_11target_archE910ELNS1_3gpuE8ELNS1_3repE0EEENS1_30default_config_static_selectorELNS0_4arch9wavefront6targetE1EEEvT1_
                                        ; -- End function
	.section	.AMDGPU.csdata,"",@progbits
; Kernel info:
; codeLenInByte = 1004
; NumSgprs: 10
; NumVgprs: 27
; NumAgprs: 0
; TotalNumVgprs: 27
; ScratchSize: 0
; MemoryBound: 0
; FloatMode: 240
; IeeeMode: 1
; LDSByteSize: 5120 bytes/workgroup (compile time only)
; SGPRBlocks: 1
; VGPRBlocks: 3
; NumSGPRsForWavesPerEU: 10
; NumVGPRsForWavesPerEU: 27
; AccumOffset: 28
; Occupancy: 6
; WaveLimiterHint : 0
; COMPUTE_PGM_RSRC2:SCRATCH_EN: 0
; COMPUTE_PGM_RSRC2:USER_SGPR: 6
; COMPUTE_PGM_RSRC2:TRAP_HANDLER: 0
; COMPUTE_PGM_RSRC2:TGID_X_EN: 1
; COMPUTE_PGM_RSRC2:TGID_Y_EN: 0
; COMPUTE_PGM_RSRC2:TGID_Z_EN: 0
; COMPUTE_PGM_RSRC2:TIDIG_COMP_CNT: 0
; COMPUTE_PGM_RSRC3_GFX90A:ACCUM_OFFSET: 6
; COMPUTE_PGM_RSRC3_GFX90A:TG_SPLIT: 0
	.section	.text._ZN7rocprim17ROCPRIM_400000_NS6detail17trampoline_kernelINS0_14default_configENS1_20scan_config_selectorIjEEZZNS1_9scan_implILNS1_25lookback_scan_determinismE0ELb0ELb0ES3_N6thrust23THRUST_200600_302600_NS6detail15normal_iteratorINS9_10device_ptrIjEEEENS9_16discard_iteratorINS9_11use_defaultEEEjNS9_4plusIvEEjEEDaPvRmT3_T4_T5_mT6_P12ihipStream_tbENKUlT_T0_E_clISt17integral_constantIbLb1EESW_IbLb0EEEEDaSS_ST_EUlSS_E0_NS1_11comp_targetILNS1_3genE3ELNS1_11target_archE908ELNS1_3gpuE7ELNS1_3repE0EEENS1_30default_config_static_selectorELNS0_4arch9wavefront6targetE1EEEvT1_,"axG",@progbits,_ZN7rocprim17ROCPRIM_400000_NS6detail17trampoline_kernelINS0_14default_configENS1_20scan_config_selectorIjEEZZNS1_9scan_implILNS1_25lookback_scan_determinismE0ELb0ELb0ES3_N6thrust23THRUST_200600_302600_NS6detail15normal_iteratorINS9_10device_ptrIjEEEENS9_16discard_iteratorINS9_11use_defaultEEEjNS9_4plusIvEEjEEDaPvRmT3_T4_T5_mT6_P12ihipStream_tbENKUlT_T0_E_clISt17integral_constantIbLb1EESW_IbLb0EEEEDaSS_ST_EUlSS_E0_NS1_11comp_targetILNS1_3genE3ELNS1_11target_archE908ELNS1_3gpuE7ELNS1_3repE0EEENS1_30default_config_static_selectorELNS0_4arch9wavefront6targetE1EEEvT1_,comdat
	.protected	_ZN7rocprim17ROCPRIM_400000_NS6detail17trampoline_kernelINS0_14default_configENS1_20scan_config_selectorIjEEZZNS1_9scan_implILNS1_25lookback_scan_determinismE0ELb0ELb0ES3_N6thrust23THRUST_200600_302600_NS6detail15normal_iteratorINS9_10device_ptrIjEEEENS9_16discard_iteratorINS9_11use_defaultEEEjNS9_4plusIvEEjEEDaPvRmT3_T4_T5_mT6_P12ihipStream_tbENKUlT_T0_E_clISt17integral_constantIbLb1EESW_IbLb0EEEEDaSS_ST_EUlSS_E0_NS1_11comp_targetILNS1_3genE3ELNS1_11target_archE908ELNS1_3gpuE7ELNS1_3repE0EEENS1_30default_config_static_selectorELNS0_4arch9wavefront6targetE1EEEvT1_ ; -- Begin function _ZN7rocprim17ROCPRIM_400000_NS6detail17trampoline_kernelINS0_14default_configENS1_20scan_config_selectorIjEEZZNS1_9scan_implILNS1_25lookback_scan_determinismE0ELb0ELb0ES3_N6thrust23THRUST_200600_302600_NS6detail15normal_iteratorINS9_10device_ptrIjEEEENS9_16discard_iteratorINS9_11use_defaultEEEjNS9_4plusIvEEjEEDaPvRmT3_T4_T5_mT6_P12ihipStream_tbENKUlT_T0_E_clISt17integral_constantIbLb1EESW_IbLb0EEEEDaSS_ST_EUlSS_E0_NS1_11comp_targetILNS1_3genE3ELNS1_11target_archE908ELNS1_3gpuE7ELNS1_3repE0EEENS1_30default_config_static_selectorELNS0_4arch9wavefront6targetE1EEEvT1_
	.globl	_ZN7rocprim17ROCPRIM_400000_NS6detail17trampoline_kernelINS0_14default_configENS1_20scan_config_selectorIjEEZZNS1_9scan_implILNS1_25lookback_scan_determinismE0ELb0ELb0ES3_N6thrust23THRUST_200600_302600_NS6detail15normal_iteratorINS9_10device_ptrIjEEEENS9_16discard_iteratorINS9_11use_defaultEEEjNS9_4plusIvEEjEEDaPvRmT3_T4_T5_mT6_P12ihipStream_tbENKUlT_T0_E_clISt17integral_constantIbLb1EESW_IbLb0EEEEDaSS_ST_EUlSS_E0_NS1_11comp_targetILNS1_3genE3ELNS1_11target_archE908ELNS1_3gpuE7ELNS1_3repE0EEENS1_30default_config_static_selectorELNS0_4arch9wavefront6targetE1EEEvT1_
	.p2align	8
	.type	_ZN7rocprim17ROCPRIM_400000_NS6detail17trampoline_kernelINS0_14default_configENS1_20scan_config_selectorIjEEZZNS1_9scan_implILNS1_25lookback_scan_determinismE0ELb0ELb0ES3_N6thrust23THRUST_200600_302600_NS6detail15normal_iteratorINS9_10device_ptrIjEEEENS9_16discard_iteratorINS9_11use_defaultEEEjNS9_4plusIvEEjEEDaPvRmT3_T4_T5_mT6_P12ihipStream_tbENKUlT_T0_E_clISt17integral_constantIbLb1EESW_IbLb0EEEEDaSS_ST_EUlSS_E0_NS1_11comp_targetILNS1_3genE3ELNS1_11target_archE908ELNS1_3gpuE7ELNS1_3repE0EEENS1_30default_config_static_selectorELNS0_4arch9wavefront6targetE1EEEvT1_,@function
_ZN7rocprim17ROCPRIM_400000_NS6detail17trampoline_kernelINS0_14default_configENS1_20scan_config_selectorIjEEZZNS1_9scan_implILNS1_25lookback_scan_determinismE0ELb0ELb0ES3_N6thrust23THRUST_200600_302600_NS6detail15normal_iteratorINS9_10device_ptrIjEEEENS9_16discard_iteratorINS9_11use_defaultEEEjNS9_4plusIvEEjEEDaPvRmT3_T4_T5_mT6_P12ihipStream_tbENKUlT_T0_E_clISt17integral_constantIbLb1EESW_IbLb0EEEEDaSS_ST_EUlSS_E0_NS1_11comp_targetILNS1_3genE3ELNS1_11target_archE908ELNS1_3gpuE7ELNS1_3repE0EEENS1_30default_config_static_selectorELNS0_4arch9wavefront6targetE1EEEvT1_: ; @_ZN7rocprim17ROCPRIM_400000_NS6detail17trampoline_kernelINS0_14default_configENS1_20scan_config_selectorIjEEZZNS1_9scan_implILNS1_25lookback_scan_determinismE0ELb0ELb0ES3_N6thrust23THRUST_200600_302600_NS6detail15normal_iteratorINS9_10device_ptrIjEEEENS9_16discard_iteratorINS9_11use_defaultEEEjNS9_4plusIvEEjEEDaPvRmT3_T4_T5_mT6_P12ihipStream_tbENKUlT_T0_E_clISt17integral_constantIbLb1EESW_IbLb0EEEEDaSS_ST_EUlSS_E0_NS1_11comp_targetILNS1_3genE3ELNS1_11target_archE908ELNS1_3gpuE7ELNS1_3repE0EEENS1_30default_config_static_selectorELNS0_4arch9wavefront6targetE1EEEvT1_
; %bb.0:
	.section	.rodata,"a",@progbits
	.p2align	6, 0x0
	.amdhsa_kernel _ZN7rocprim17ROCPRIM_400000_NS6detail17trampoline_kernelINS0_14default_configENS1_20scan_config_selectorIjEEZZNS1_9scan_implILNS1_25lookback_scan_determinismE0ELb0ELb0ES3_N6thrust23THRUST_200600_302600_NS6detail15normal_iteratorINS9_10device_ptrIjEEEENS9_16discard_iteratorINS9_11use_defaultEEEjNS9_4plusIvEEjEEDaPvRmT3_T4_T5_mT6_P12ihipStream_tbENKUlT_T0_E_clISt17integral_constantIbLb1EESW_IbLb0EEEEDaSS_ST_EUlSS_E0_NS1_11comp_targetILNS1_3genE3ELNS1_11target_archE908ELNS1_3gpuE7ELNS1_3repE0EEENS1_30default_config_static_selectorELNS0_4arch9wavefront6targetE1EEEvT1_
		.amdhsa_group_segment_fixed_size 0
		.amdhsa_private_segment_fixed_size 0
		.amdhsa_kernarg_size 40
		.amdhsa_user_sgpr_count 6
		.amdhsa_user_sgpr_private_segment_buffer 1
		.amdhsa_user_sgpr_dispatch_ptr 0
		.amdhsa_user_sgpr_queue_ptr 0
		.amdhsa_user_sgpr_kernarg_segment_ptr 1
		.amdhsa_user_sgpr_dispatch_id 0
		.amdhsa_user_sgpr_flat_scratch_init 0
		.amdhsa_user_sgpr_kernarg_preload_length 0
		.amdhsa_user_sgpr_kernarg_preload_offset 0
		.amdhsa_user_sgpr_private_segment_size 0
		.amdhsa_uses_dynamic_stack 0
		.amdhsa_system_sgpr_private_segment_wavefront_offset 0
		.amdhsa_system_sgpr_workgroup_id_x 1
		.amdhsa_system_sgpr_workgroup_id_y 0
		.amdhsa_system_sgpr_workgroup_id_z 0
		.amdhsa_system_sgpr_workgroup_info 0
		.amdhsa_system_vgpr_workitem_id 0
		.amdhsa_next_free_vgpr 1
		.amdhsa_next_free_sgpr 0
		.amdhsa_accum_offset 4
		.amdhsa_reserve_vcc 0
		.amdhsa_reserve_flat_scratch 0
		.amdhsa_float_round_mode_32 0
		.amdhsa_float_round_mode_16_64 0
		.amdhsa_float_denorm_mode_32 3
		.amdhsa_float_denorm_mode_16_64 3
		.amdhsa_dx10_clamp 1
		.amdhsa_ieee_mode 1
		.amdhsa_fp16_overflow 0
		.amdhsa_tg_split 0
		.amdhsa_exception_fp_ieee_invalid_op 0
		.amdhsa_exception_fp_denorm_src 0
		.amdhsa_exception_fp_ieee_div_zero 0
		.amdhsa_exception_fp_ieee_overflow 0
		.amdhsa_exception_fp_ieee_underflow 0
		.amdhsa_exception_fp_ieee_inexact 0
		.amdhsa_exception_int_div_zero 0
	.end_amdhsa_kernel
	.section	.text._ZN7rocprim17ROCPRIM_400000_NS6detail17trampoline_kernelINS0_14default_configENS1_20scan_config_selectorIjEEZZNS1_9scan_implILNS1_25lookback_scan_determinismE0ELb0ELb0ES3_N6thrust23THRUST_200600_302600_NS6detail15normal_iteratorINS9_10device_ptrIjEEEENS9_16discard_iteratorINS9_11use_defaultEEEjNS9_4plusIvEEjEEDaPvRmT3_T4_T5_mT6_P12ihipStream_tbENKUlT_T0_E_clISt17integral_constantIbLb1EESW_IbLb0EEEEDaSS_ST_EUlSS_E0_NS1_11comp_targetILNS1_3genE3ELNS1_11target_archE908ELNS1_3gpuE7ELNS1_3repE0EEENS1_30default_config_static_selectorELNS0_4arch9wavefront6targetE1EEEvT1_,"axG",@progbits,_ZN7rocprim17ROCPRIM_400000_NS6detail17trampoline_kernelINS0_14default_configENS1_20scan_config_selectorIjEEZZNS1_9scan_implILNS1_25lookback_scan_determinismE0ELb0ELb0ES3_N6thrust23THRUST_200600_302600_NS6detail15normal_iteratorINS9_10device_ptrIjEEEENS9_16discard_iteratorINS9_11use_defaultEEEjNS9_4plusIvEEjEEDaPvRmT3_T4_T5_mT6_P12ihipStream_tbENKUlT_T0_E_clISt17integral_constantIbLb1EESW_IbLb0EEEEDaSS_ST_EUlSS_E0_NS1_11comp_targetILNS1_3genE3ELNS1_11target_archE908ELNS1_3gpuE7ELNS1_3repE0EEENS1_30default_config_static_selectorELNS0_4arch9wavefront6targetE1EEEvT1_,comdat
.Lfunc_end5342:
	.size	_ZN7rocprim17ROCPRIM_400000_NS6detail17trampoline_kernelINS0_14default_configENS1_20scan_config_selectorIjEEZZNS1_9scan_implILNS1_25lookback_scan_determinismE0ELb0ELb0ES3_N6thrust23THRUST_200600_302600_NS6detail15normal_iteratorINS9_10device_ptrIjEEEENS9_16discard_iteratorINS9_11use_defaultEEEjNS9_4plusIvEEjEEDaPvRmT3_T4_T5_mT6_P12ihipStream_tbENKUlT_T0_E_clISt17integral_constantIbLb1EESW_IbLb0EEEEDaSS_ST_EUlSS_E0_NS1_11comp_targetILNS1_3genE3ELNS1_11target_archE908ELNS1_3gpuE7ELNS1_3repE0EEENS1_30default_config_static_selectorELNS0_4arch9wavefront6targetE1EEEvT1_, .Lfunc_end5342-_ZN7rocprim17ROCPRIM_400000_NS6detail17trampoline_kernelINS0_14default_configENS1_20scan_config_selectorIjEEZZNS1_9scan_implILNS1_25lookback_scan_determinismE0ELb0ELb0ES3_N6thrust23THRUST_200600_302600_NS6detail15normal_iteratorINS9_10device_ptrIjEEEENS9_16discard_iteratorINS9_11use_defaultEEEjNS9_4plusIvEEjEEDaPvRmT3_T4_T5_mT6_P12ihipStream_tbENKUlT_T0_E_clISt17integral_constantIbLb1EESW_IbLb0EEEEDaSS_ST_EUlSS_E0_NS1_11comp_targetILNS1_3genE3ELNS1_11target_archE908ELNS1_3gpuE7ELNS1_3repE0EEENS1_30default_config_static_selectorELNS0_4arch9wavefront6targetE1EEEvT1_
                                        ; -- End function
	.section	.AMDGPU.csdata,"",@progbits
; Kernel info:
; codeLenInByte = 0
; NumSgprs: 4
; NumVgprs: 0
; NumAgprs: 0
; TotalNumVgprs: 0
; ScratchSize: 0
; MemoryBound: 0
; FloatMode: 240
; IeeeMode: 1
; LDSByteSize: 0 bytes/workgroup (compile time only)
; SGPRBlocks: 0
; VGPRBlocks: 0
; NumSGPRsForWavesPerEU: 4
; NumVGPRsForWavesPerEU: 1
; AccumOffset: 4
; Occupancy: 8
; WaveLimiterHint : 0
; COMPUTE_PGM_RSRC2:SCRATCH_EN: 0
; COMPUTE_PGM_RSRC2:USER_SGPR: 6
; COMPUTE_PGM_RSRC2:TRAP_HANDLER: 0
; COMPUTE_PGM_RSRC2:TGID_X_EN: 1
; COMPUTE_PGM_RSRC2:TGID_Y_EN: 0
; COMPUTE_PGM_RSRC2:TGID_Z_EN: 0
; COMPUTE_PGM_RSRC2:TIDIG_COMP_CNT: 0
; COMPUTE_PGM_RSRC3_GFX90A:ACCUM_OFFSET: 0
; COMPUTE_PGM_RSRC3_GFX90A:TG_SPLIT: 0
	.section	.text._ZN7rocprim17ROCPRIM_400000_NS6detail17trampoline_kernelINS0_14default_configENS1_20scan_config_selectorIjEEZZNS1_9scan_implILNS1_25lookback_scan_determinismE0ELb0ELb0ES3_N6thrust23THRUST_200600_302600_NS6detail15normal_iteratorINS9_10device_ptrIjEEEENS9_16discard_iteratorINS9_11use_defaultEEEjNS9_4plusIvEEjEEDaPvRmT3_T4_T5_mT6_P12ihipStream_tbENKUlT_T0_E_clISt17integral_constantIbLb1EESW_IbLb0EEEEDaSS_ST_EUlSS_E0_NS1_11comp_targetILNS1_3genE2ELNS1_11target_archE906ELNS1_3gpuE6ELNS1_3repE0EEENS1_30default_config_static_selectorELNS0_4arch9wavefront6targetE1EEEvT1_,"axG",@progbits,_ZN7rocprim17ROCPRIM_400000_NS6detail17trampoline_kernelINS0_14default_configENS1_20scan_config_selectorIjEEZZNS1_9scan_implILNS1_25lookback_scan_determinismE0ELb0ELb0ES3_N6thrust23THRUST_200600_302600_NS6detail15normal_iteratorINS9_10device_ptrIjEEEENS9_16discard_iteratorINS9_11use_defaultEEEjNS9_4plusIvEEjEEDaPvRmT3_T4_T5_mT6_P12ihipStream_tbENKUlT_T0_E_clISt17integral_constantIbLb1EESW_IbLb0EEEEDaSS_ST_EUlSS_E0_NS1_11comp_targetILNS1_3genE2ELNS1_11target_archE906ELNS1_3gpuE6ELNS1_3repE0EEENS1_30default_config_static_selectorELNS0_4arch9wavefront6targetE1EEEvT1_,comdat
	.protected	_ZN7rocprim17ROCPRIM_400000_NS6detail17trampoline_kernelINS0_14default_configENS1_20scan_config_selectorIjEEZZNS1_9scan_implILNS1_25lookback_scan_determinismE0ELb0ELb0ES3_N6thrust23THRUST_200600_302600_NS6detail15normal_iteratorINS9_10device_ptrIjEEEENS9_16discard_iteratorINS9_11use_defaultEEEjNS9_4plusIvEEjEEDaPvRmT3_T4_T5_mT6_P12ihipStream_tbENKUlT_T0_E_clISt17integral_constantIbLb1EESW_IbLb0EEEEDaSS_ST_EUlSS_E0_NS1_11comp_targetILNS1_3genE2ELNS1_11target_archE906ELNS1_3gpuE6ELNS1_3repE0EEENS1_30default_config_static_selectorELNS0_4arch9wavefront6targetE1EEEvT1_ ; -- Begin function _ZN7rocprim17ROCPRIM_400000_NS6detail17trampoline_kernelINS0_14default_configENS1_20scan_config_selectorIjEEZZNS1_9scan_implILNS1_25lookback_scan_determinismE0ELb0ELb0ES3_N6thrust23THRUST_200600_302600_NS6detail15normal_iteratorINS9_10device_ptrIjEEEENS9_16discard_iteratorINS9_11use_defaultEEEjNS9_4plusIvEEjEEDaPvRmT3_T4_T5_mT6_P12ihipStream_tbENKUlT_T0_E_clISt17integral_constantIbLb1EESW_IbLb0EEEEDaSS_ST_EUlSS_E0_NS1_11comp_targetILNS1_3genE2ELNS1_11target_archE906ELNS1_3gpuE6ELNS1_3repE0EEENS1_30default_config_static_selectorELNS0_4arch9wavefront6targetE1EEEvT1_
	.globl	_ZN7rocprim17ROCPRIM_400000_NS6detail17trampoline_kernelINS0_14default_configENS1_20scan_config_selectorIjEEZZNS1_9scan_implILNS1_25lookback_scan_determinismE0ELb0ELb0ES3_N6thrust23THRUST_200600_302600_NS6detail15normal_iteratorINS9_10device_ptrIjEEEENS9_16discard_iteratorINS9_11use_defaultEEEjNS9_4plusIvEEjEEDaPvRmT3_T4_T5_mT6_P12ihipStream_tbENKUlT_T0_E_clISt17integral_constantIbLb1EESW_IbLb0EEEEDaSS_ST_EUlSS_E0_NS1_11comp_targetILNS1_3genE2ELNS1_11target_archE906ELNS1_3gpuE6ELNS1_3repE0EEENS1_30default_config_static_selectorELNS0_4arch9wavefront6targetE1EEEvT1_
	.p2align	8
	.type	_ZN7rocprim17ROCPRIM_400000_NS6detail17trampoline_kernelINS0_14default_configENS1_20scan_config_selectorIjEEZZNS1_9scan_implILNS1_25lookback_scan_determinismE0ELb0ELb0ES3_N6thrust23THRUST_200600_302600_NS6detail15normal_iteratorINS9_10device_ptrIjEEEENS9_16discard_iteratorINS9_11use_defaultEEEjNS9_4plusIvEEjEEDaPvRmT3_T4_T5_mT6_P12ihipStream_tbENKUlT_T0_E_clISt17integral_constantIbLb1EESW_IbLb0EEEEDaSS_ST_EUlSS_E0_NS1_11comp_targetILNS1_3genE2ELNS1_11target_archE906ELNS1_3gpuE6ELNS1_3repE0EEENS1_30default_config_static_selectorELNS0_4arch9wavefront6targetE1EEEvT1_,@function
_ZN7rocprim17ROCPRIM_400000_NS6detail17trampoline_kernelINS0_14default_configENS1_20scan_config_selectorIjEEZZNS1_9scan_implILNS1_25lookback_scan_determinismE0ELb0ELb0ES3_N6thrust23THRUST_200600_302600_NS6detail15normal_iteratorINS9_10device_ptrIjEEEENS9_16discard_iteratorINS9_11use_defaultEEEjNS9_4plusIvEEjEEDaPvRmT3_T4_T5_mT6_P12ihipStream_tbENKUlT_T0_E_clISt17integral_constantIbLb1EESW_IbLb0EEEEDaSS_ST_EUlSS_E0_NS1_11comp_targetILNS1_3genE2ELNS1_11target_archE906ELNS1_3gpuE6ELNS1_3repE0EEENS1_30default_config_static_selectorELNS0_4arch9wavefront6targetE1EEEvT1_: ; @_ZN7rocprim17ROCPRIM_400000_NS6detail17trampoline_kernelINS0_14default_configENS1_20scan_config_selectorIjEEZZNS1_9scan_implILNS1_25lookback_scan_determinismE0ELb0ELb0ES3_N6thrust23THRUST_200600_302600_NS6detail15normal_iteratorINS9_10device_ptrIjEEEENS9_16discard_iteratorINS9_11use_defaultEEEjNS9_4plusIvEEjEEDaPvRmT3_T4_T5_mT6_P12ihipStream_tbENKUlT_T0_E_clISt17integral_constantIbLb1EESW_IbLb0EEEEDaSS_ST_EUlSS_E0_NS1_11comp_targetILNS1_3genE2ELNS1_11target_archE906ELNS1_3gpuE6ELNS1_3repE0EEENS1_30default_config_static_selectorELNS0_4arch9wavefront6targetE1EEEvT1_
; %bb.0:
	.section	.rodata,"a",@progbits
	.p2align	6, 0x0
	.amdhsa_kernel _ZN7rocprim17ROCPRIM_400000_NS6detail17trampoline_kernelINS0_14default_configENS1_20scan_config_selectorIjEEZZNS1_9scan_implILNS1_25lookback_scan_determinismE0ELb0ELb0ES3_N6thrust23THRUST_200600_302600_NS6detail15normal_iteratorINS9_10device_ptrIjEEEENS9_16discard_iteratorINS9_11use_defaultEEEjNS9_4plusIvEEjEEDaPvRmT3_T4_T5_mT6_P12ihipStream_tbENKUlT_T0_E_clISt17integral_constantIbLb1EESW_IbLb0EEEEDaSS_ST_EUlSS_E0_NS1_11comp_targetILNS1_3genE2ELNS1_11target_archE906ELNS1_3gpuE6ELNS1_3repE0EEENS1_30default_config_static_selectorELNS0_4arch9wavefront6targetE1EEEvT1_
		.amdhsa_group_segment_fixed_size 0
		.amdhsa_private_segment_fixed_size 0
		.amdhsa_kernarg_size 40
		.amdhsa_user_sgpr_count 6
		.amdhsa_user_sgpr_private_segment_buffer 1
		.amdhsa_user_sgpr_dispatch_ptr 0
		.amdhsa_user_sgpr_queue_ptr 0
		.amdhsa_user_sgpr_kernarg_segment_ptr 1
		.amdhsa_user_sgpr_dispatch_id 0
		.amdhsa_user_sgpr_flat_scratch_init 0
		.amdhsa_user_sgpr_kernarg_preload_length 0
		.amdhsa_user_sgpr_kernarg_preload_offset 0
		.amdhsa_user_sgpr_private_segment_size 0
		.amdhsa_uses_dynamic_stack 0
		.amdhsa_system_sgpr_private_segment_wavefront_offset 0
		.amdhsa_system_sgpr_workgroup_id_x 1
		.amdhsa_system_sgpr_workgroup_id_y 0
		.amdhsa_system_sgpr_workgroup_id_z 0
		.amdhsa_system_sgpr_workgroup_info 0
		.amdhsa_system_vgpr_workitem_id 0
		.amdhsa_next_free_vgpr 1
		.amdhsa_next_free_sgpr 0
		.amdhsa_accum_offset 4
		.amdhsa_reserve_vcc 0
		.amdhsa_reserve_flat_scratch 0
		.amdhsa_float_round_mode_32 0
		.amdhsa_float_round_mode_16_64 0
		.amdhsa_float_denorm_mode_32 3
		.amdhsa_float_denorm_mode_16_64 3
		.amdhsa_dx10_clamp 1
		.amdhsa_ieee_mode 1
		.amdhsa_fp16_overflow 0
		.amdhsa_tg_split 0
		.amdhsa_exception_fp_ieee_invalid_op 0
		.amdhsa_exception_fp_denorm_src 0
		.amdhsa_exception_fp_ieee_div_zero 0
		.amdhsa_exception_fp_ieee_overflow 0
		.amdhsa_exception_fp_ieee_underflow 0
		.amdhsa_exception_fp_ieee_inexact 0
		.amdhsa_exception_int_div_zero 0
	.end_amdhsa_kernel
	.section	.text._ZN7rocprim17ROCPRIM_400000_NS6detail17trampoline_kernelINS0_14default_configENS1_20scan_config_selectorIjEEZZNS1_9scan_implILNS1_25lookback_scan_determinismE0ELb0ELb0ES3_N6thrust23THRUST_200600_302600_NS6detail15normal_iteratorINS9_10device_ptrIjEEEENS9_16discard_iteratorINS9_11use_defaultEEEjNS9_4plusIvEEjEEDaPvRmT3_T4_T5_mT6_P12ihipStream_tbENKUlT_T0_E_clISt17integral_constantIbLb1EESW_IbLb0EEEEDaSS_ST_EUlSS_E0_NS1_11comp_targetILNS1_3genE2ELNS1_11target_archE906ELNS1_3gpuE6ELNS1_3repE0EEENS1_30default_config_static_selectorELNS0_4arch9wavefront6targetE1EEEvT1_,"axG",@progbits,_ZN7rocprim17ROCPRIM_400000_NS6detail17trampoline_kernelINS0_14default_configENS1_20scan_config_selectorIjEEZZNS1_9scan_implILNS1_25lookback_scan_determinismE0ELb0ELb0ES3_N6thrust23THRUST_200600_302600_NS6detail15normal_iteratorINS9_10device_ptrIjEEEENS9_16discard_iteratorINS9_11use_defaultEEEjNS9_4plusIvEEjEEDaPvRmT3_T4_T5_mT6_P12ihipStream_tbENKUlT_T0_E_clISt17integral_constantIbLb1EESW_IbLb0EEEEDaSS_ST_EUlSS_E0_NS1_11comp_targetILNS1_3genE2ELNS1_11target_archE906ELNS1_3gpuE6ELNS1_3repE0EEENS1_30default_config_static_selectorELNS0_4arch9wavefront6targetE1EEEvT1_,comdat
.Lfunc_end5343:
	.size	_ZN7rocprim17ROCPRIM_400000_NS6detail17trampoline_kernelINS0_14default_configENS1_20scan_config_selectorIjEEZZNS1_9scan_implILNS1_25lookback_scan_determinismE0ELb0ELb0ES3_N6thrust23THRUST_200600_302600_NS6detail15normal_iteratorINS9_10device_ptrIjEEEENS9_16discard_iteratorINS9_11use_defaultEEEjNS9_4plusIvEEjEEDaPvRmT3_T4_T5_mT6_P12ihipStream_tbENKUlT_T0_E_clISt17integral_constantIbLb1EESW_IbLb0EEEEDaSS_ST_EUlSS_E0_NS1_11comp_targetILNS1_3genE2ELNS1_11target_archE906ELNS1_3gpuE6ELNS1_3repE0EEENS1_30default_config_static_selectorELNS0_4arch9wavefront6targetE1EEEvT1_, .Lfunc_end5343-_ZN7rocprim17ROCPRIM_400000_NS6detail17trampoline_kernelINS0_14default_configENS1_20scan_config_selectorIjEEZZNS1_9scan_implILNS1_25lookback_scan_determinismE0ELb0ELb0ES3_N6thrust23THRUST_200600_302600_NS6detail15normal_iteratorINS9_10device_ptrIjEEEENS9_16discard_iteratorINS9_11use_defaultEEEjNS9_4plusIvEEjEEDaPvRmT3_T4_T5_mT6_P12ihipStream_tbENKUlT_T0_E_clISt17integral_constantIbLb1EESW_IbLb0EEEEDaSS_ST_EUlSS_E0_NS1_11comp_targetILNS1_3genE2ELNS1_11target_archE906ELNS1_3gpuE6ELNS1_3repE0EEENS1_30default_config_static_selectorELNS0_4arch9wavefront6targetE1EEEvT1_
                                        ; -- End function
	.section	.AMDGPU.csdata,"",@progbits
; Kernel info:
; codeLenInByte = 0
; NumSgprs: 4
; NumVgprs: 0
; NumAgprs: 0
; TotalNumVgprs: 0
; ScratchSize: 0
; MemoryBound: 0
; FloatMode: 240
; IeeeMode: 1
; LDSByteSize: 0 bytes/workgroup (compile time only)
; SGPRBlocks: 0
; VGPRBlocks: 0
; NumSGPRsForWavesPerEU: 4
; NumVGPRsForWavesPerEU: 1
; AccumOffset: 4
; Occupancy: 8
; WaveLimiterHint : 0
; COMPUTE_PGM_RSRC2:SCRATCH_EN: 0
; COMPUTE_PGM_RSRC2:USER_SGPR: 6
; COMPUTE_PGM_RSRC2:TRAP_HANDLER: 0
; COMPUTE_PGM_RSRC2:TGID_X_EN: 1
; COMPUTE_PGM_RSRC2:TGID_Y_EN: 0
; COMPUTE_PGM_RSRC2:TGID_Z_EN: 0
; COMPUTE_PGM_RSRC2:TIDIG_COMP_CNT: 0
; COMPUTE_PGM_RSRC3_GFX90A:ACCUM_OFFSET: 0
; COMPUTE_PGM_RSRC3_GFX90A:TG_SPLIT: 0
	.section	.text._ZN7rocprim17ROCPRIM_400000_NS6detail17trampoline_kernelINS0_14default_configENS1_20scan_config_selectorIjEEZZNS1_9scan_implILNS1_25lookback_scan_determinismE0ELb0ELb0ES3_N6thrust23THRUST_200600_302600_NS6detail15normal_iteratorINS9_10device_ptrIjEEEENS9_16discard_iteratorINS9_11use_defaultEEEjNS9_4plusIvEEjEEDaPvRmT3_T4_T5_mT6_P12ihipStream_tbENKUlT_T0_E_clISt17integral_constantIbLb1EESW_IbLb0EEEEDaSS_ST_EUlSS_E0_NS1_11comp_targetILNS1_3genE10ELNS1_11target_archE1201ELNS1_3gpuE5ELNS1_3repE0EEENS1_30default_config_static_selectorELNS0_4arch9wavefront6targetE1EEEvT1_,"axG",@progbits,_ZN7rocprim17ROCPRIM_400000_NS6detail17trampoline_kernelINS0_14default_configENS1_20scan_config_selectorIjEEZZNS1_9scan_implILNS1_25lookback_scan_determinismE0ELb0ELb0ES3_N6thrust23THRUST_200600_302600_NS6detail15normal_iteratorINS9_10device_ptrIjEEEENS9_16discard_iteratorINS9_11use_defaultEEEjNS9_4plusIvEEjEEDaPvRmT3_T4_T5_mT6_P12ihipStream_tbENKUlT_T0_E_clISt17integral_constantIbLb1EESW_IbLb0EEEEDaSS_ST_EUlSS_E0_NS1_11comp_targetILNS1_3genE10ELNS1_11target_archE1201ELNS1_3gpuE5ELNS1_3repE0EEENS1_30default_config_static_selectorELNS0_4arch9wavefront6targetE1EEEvT1_,comdat
	.protected	_ZN7rocprim17ROCPRIM_400000_NS6detail17trampoline_kernelINS0_14default_configENS1_20scan_config_selectorIjEEZZNS1_9scan_implILNS1_25lookback_scan_determinismE0ELb0ELb0ES3_N6thrust23THRUST_200600_302600_NS6detail15normal_iteratorINS9_10device_ptrIjEEEENS9_16discard_iteratorINS9_11use_defaultEEEjNS9_4plusIvEEjEEDaPvRmT3_T4_T5_mT6_P12ihipStream_tbENKUlT_T0_E_clISt17integral_constantIbLb1EESW_IbLb0EEEEDaSS_ST_EUlSS_E0_NS1_11comp_targetILNS1_3genE10ELNS1_11target_archE1201ELNS1_3gpuE5ELNS1_3repE0EEENS1_30default_config_static_selectorELNS0_4arch9wavefront6targetE1EEEvT1_ ; -- Begin function _ZN7rocprim17ROCPRIM_400000_NS6detail17trampoline_kernelINS0_14default_configENS1_20scan_config_selectorIjEEZZNS1_9scan_implILNS1_25lookback_scan_determinismE0ELb0ELb0ES3_N6thrust23THRUST_200600_302600_NS6detail15normal_iteratorINS9_10device_ptrIjEEEENS9_16discard_iteratorINS9_11use_defaultEEEjNS9_4plusIvEEjEEDaPvRmT3_T4_T5_mT6_P12ihipStream_tbENKUlT_T0_E_clISt17integral_constantIbLb1EESW_IbLb0EEEEDaSS_ST_EUlSS_E0_NS1_11comp_targetILNS1_3genE10ELNS1_11target_archE1201ELNS1_3gpuE5ELNS1_3repE0EEENS1_30default_config_static_selectorELNS0_4arch9wavefront6targetE1EEEvT1_
	.globl	_ZN7rocprim17ROCPRIM_400000_NS6detail17trampoline_kernelINS0_14default_configENS1_20scan_config_selectorIjEEZZNS1_9scan_implILNS1_25lookback_scan_determinismE0ELb0ELb0ES3_N6thrust23THRUST_200600_302600_NS6detail15normal_iteratorINS9_10device_ptrIjEEEENS9_16discard_iteratorINS9_11use_defaultEEEjNS9_4plusIvEEjEEDaPvRmT3_T4_T5_mT6_P12ihipStream_tbENKUlT_T0_E_clISt17integral_constantIbLb1EESW_IbLb0EEEEDaSS_ST_EUlSS_E0_NS1_11comp_targetILNS1_3genE10ELNS1_11target_archE1201ELNS1_3gpuE5ELNS1_3repE0EEENS1_30default_config_static_selectorELNS0_4arch9wavefront6targetE1EEEvT1_
	.p2align	8
	.type	_ZN7rocprim17ROCPRIM_400000_NS6detail17trampoline_kernelINS0_14default_configENS1_20scan_config_selectorIjEEZZNS1_9scan_implILNS1_25lookback_scan_determinismE0ELb0ELb0ES3_N6thrust23THRUST_200600_302600_NS6detail15normal_iteratorINS9_10device_ptrIjEEEENS9_16discard_iteratorINS9_11use_defaultEEEjNS9_4plusIvEEjEEDaPvRmT3_T4_T5_mT6_P12ihipStream_tbENKUlT_T0_E_clISt17integral_constantIbLb1EESW_IbLb0EEEEDaSS_ST_EUlSS_E0_NS1_11comp_targetILNS1_3genE10ELNS1_11target_archE1201ELNS1_3gpuE5ELNS1_3repE0EEENS1_30default_config_static_selectorELNS0_4arch9wavefront6targetE1EEEvT1_,@function
_ZN7rocprim17ROCPRIM_400000_NS6detail17trampoline_kernelINS0_14default_configENS1_20scan_config_selectorIjEEZZNS1_9scan_implILNS1_25lookback_scan_determinismE0ELb0ELb0ES3_N6thrust23THRUST_200600_302600_NS6detail15normal_iteratorINS9_10device_ptrIjEEEENS9_16discard_iteratorINS9_11use_defaultEEEjNS9_4plusIvEEjEEDaPvRmT3_T4_T5_mT6_P12ihipStream_tbENKUlT_T0_E_clISt17integral_constantIbLb1EESW_IbLb0EEEEDaSS_ST_EUlSS_E0_NS1_11comp_targetILNS1_3genE10ELNS1_11target_archE1201ELNS1_3gpuE5ELNS1_3repE0EEENS1_30default_config_static_selectorELNS0_4arch9wavefront6targetE1EEEvT1_: ; @_ZN7rocprim17ROCPRIM_400000_NS6detail17trampoline_kernelINS0_14default_configENS1_20scan_config_selectorIjEEZZNS1_9scan_implILNS1_25lookback_scan_determinismE0ELb0ELb0ES3_N6thrust23THRUST_200600_302600_NS6detail15normal_iteratorINS9_10device_ptrIjEEEENS9_16discard_iteratorINS9_11use_defaultEEEjNS9_4plusIvEEjEEDaPvRmT3_T4_T5_mT6_P12ihipStream_tbENKUlT_T0_E_clISt17integral_constantIbLb1EESW_IbLb0EEEEDaSS_ST_EUlSS_E0_NS1_11comp_targetILNS1_3genE10ELNS1_11target_archE1201ELNS1_3gpuE5ELNS1_3repE0EEENS1_30default_config_static_selectorELNS0_4arch9wavefront6targetE1EEEvT1_
; %bb.0:
	.section	.rodata,"a",@progbits
	.p2align	6, 0x0
	.amdhsa_kernel _ZN7rocprim17ROCPRIM_400000_NS6detail17trampoline_kernelINS0_14default_configENS1_20scan_config_selectorIjEEZZNS1_9scan_implILNS1_25lookback_scan_determinismE0ELb0ELb0ES3_N6thrust23THRUST_200600_302600_NS6detail15normal_iteratorINS9_10device_ptrIjEEEENS9_16discard_iteratorINS9_11use_defaultEEEjNS9_4plusIvEEjEEDaPvRmT3_T4_T5_mT6_P12ihipStream_tbENKUlT_T0_E_clISt17integral_constantIbLb1EESW_IbLb0EEEEDaSS_ST_EUlSS_E0_NS1_11comp_targetILNS1_3genE10ELNS1_11target_archE1201ELNS1_3gpuE5ELNS1_3repE0EEENS1_30default_config_static_selectorELNS0_4arch9wavefront6targetE1EEEvT1_
		.amdhsa_group_segment_fixed_size 0
		.amdhsa_private_segment_fixed_size 0
		.amdhsa_kernarg_size 40
		.amdhsa_user_sgpr_count 6
		.amdhsa_user_sgpr_private_segment_buffer 1
		.amdhsa_user_sgpr_dispatch_ptr 0
		.amdhsa_user_sgpr_queue_ptr 0
		.amdhsa_user_sgpr_kernarg_segment_ptr 1
		.amdhsa_user_sgpr_dispatch_id 0
		.amdhsa_user_sgpr_flat_scratch_init 0
		.amdhsa_user_sgpr_kernarg_preload_length 0
		.amdhsa_user_sgpr_kernarg_preload_offset 0
		.amdhsa_user_sgpr_private_segment_size 0
		.amdhsa_uses_dynamic_stack 0
		.amdhsa_system_sgpr_private_segment_wavefront_offset 0
		.amdhsa_system_sgpr_workgroup_id_x 1
		.amdhsa_system_sgpr_workgroup_id_y 0
		.amdhsa_system_sgpr_workgroup_id_z 0
		.amdhsa_system_sgpr_workgroup_info 0
		.amdhsa_system_vgpr_workitem_id 0
		.amdhsa_next_free_vgpr 1
		.amdhsa_next_free_sgpr 0
		.amdhsa_accum_offset 4
		.amdhsa_reserve_vcc 0
		.amdhsa_reserve_flat_scratch 0
		.amdhsa_float_round_mode_32 0
		.amdhsa_float_round_mode_16_64 0
		.amdhsa_float_denorm_mode_32 3
		.amdhsa_float_denorm_mode_16_64 3
		.amdhsa_dx10_clamp 1
		.amdhsa_ieee_mode 1
		.amdhsa_fp16_overflow 0
		.amdhsa_tg_split 0
		.amdhsa_exception_fp_ieee_invalid_op 0
		.amdhsa_exception_fp_denorm_src 0
		.amdhsa_exception_fp_ieee_div_zero 0
		.amdhsa_exception_fp_ieee_overflow 0
		.amdhsa_exception_fp_ieee_underflow 0
		.amdhsa_exception_fp_ieee_inexact 0
		.amdhsa_exception_int_div_zero 0
	.end_amdhsa_kernel
	.section	.text._ZN7rocprim17ROCPRIM_400000_NS6detail17trampoline_kernelINS0_14default_configENS1_20scan_config_selectorIjEEZZNS1_9scan_implILNS1_25lookback_scan_determinismE0ELb0ELb0ES3_N6thrust23THRUST_200600_302600_NS6detail15normal_iteratorINS9_10device_ptrIjEEEENS9_16discard_iteratorINS9_11use_defaultEEEjNS9_4plusIvEEjEEDaPvRmT3_T4_T5_mT6_P12ihipStream_tbENKUlT_T0_E_clISt17integral_constantIbLb1EESW_IbLb0EEEEDaSS_ST_EUlSS_E0_NS1_11comp_targetILNS1_3genE10ELNS1_11target_archE1201ELNS1_3gpuE5ELNS1_3repE0EEENS1_30default_config_static_selectorELNS0_4arch9wavefront6targetE1EEEvT1_,"axG",@progbits,_ZN7rocprim17ROCPRIM_400000_NS6detail17trampoline_kernelINS0_14default_configENS1_20scan_config_selectorIjEEZZNS1_9scan_implILNS1_25lookback_scan_determinismE0ELb0ELb0ES3_N6thrust23THRUST_200600_302600_NS6detail15normal_iteratorINS9_10device_ptrIjEEEENS9_16discard_iteratorINS9_11use_defaultEEEjNS9_4plusIvEEjEEDaPvRmT3_T4_T5_mT6_P12ihipStream_tbENKUlT_T0_E_clISt17integral_constantIbLb1EESW_IbLb0EEEEDaSS_ST_EUlSS_E0_NS1_11comp_targetILNS1_3genE10ELNS1_11target_archE1201ELNS1_3gpuE5ELNS1_3repE0EEENS1_30default_config_static_selectorELNS0_4arch9wavefront6targetE1EEEvT1_,comdat
.Lfunc_end5344:
	.size	_ZN7rocprim17ROCPRIM_400000_NS6detail17trampoline_kernelINS0_14default_configENS1_20scan_config_selectorIjEEZZNS1_9scan_implILNS1_25lookback_scan_determinismE0ELb0ELb0ES3_N6thrust23THRUST_200600_302600_NS6detail15normal_iteratorINS9_10device_ptrIjEEEENS9_16discard_iteratorINS9_11use_defaultEEEjNS9_4plusIvEEjEEDaPvRmT3_T4_T5_mT6_P12ihipStream_tbENKUlT_T0_E_clISt17integral_constantIbLb1EESW_IbLb0EEEEDaSS_ST_EUlSS_E0_NS1_11comp_targetILNS1_3genE10ELNS1_11target_archE1201ELNS1_3gpuE5ELNS1_3repE0EEENS1_30default_config_static_selectorELNS0_4arch9wavefront6targetE1EEEvT1_, .Lfunc_end5344-_ZN7rocprim17ROCPRIM_400000_NS6detail17trampoline_kernelINS0_14default_configENS1_20scan_config_selectorIjEEZZNS1_9scan_implILNS1_25lookback_scan_determinismE0ELb0ELb0ES3_N6thrust23THRUST_200600_302600_NS6detail15normal_iteratorINS9_10device_ptrIjEEEENS9_16discard_iteratorINS9_11use_defaultEEEjNS9_4plusIvEEjEEDaPvRmT3_T4_T5_mT6_P12ihipStream_tbENKUlT_T0_E_clISt17integral_constantIbLb1EESW_IbLb0EEEEDaSS_ST_EUlSS_E0_NS1_11comp_targetILNS1_3genE10ELNS1_11target_archE1201ELNS1_3gpuE5ELNS1_3repE0EEENS1_30default_config_static_selectorELNS0_4arch9wavefront6targetE1EEEvT1_
                                        ; -- End function
	.section	.AMDGPU.csdata,"",@progbits
; Kernel info:
; codeLenInByte = 0
; NumSgprs: 4
; NumVgprs: 0
; NumAgprs: 0
; TotalNumVgprs: 0
; ScratchSize: 0
; MemoryBound: 0
; FloatMode: 240
; IeeeMode: 1
; LDSByteSize: 0 bytes/workgroup (compile time only)
; SGPRBlocks: 0
; VGPRBlocks: 0
; NumSGPRsForWavesPerEU: 4
; NumVGPRsForWavesPerEU: 1
; AccumOffset: 4
; Occupancy: 8
; WaveLimiterHint : 0
; COMPUTE_PGM_RSRC2:SCRATCH_EN: 0
; COMPUTE_PGM_RSRC2:USER_SGPR: 6
; COMPUTE_PGM_RSRC2:TRAP_HANDLER: 0
; COMPUTE_PGM_RSRC2:TGID_X_EN: 1
; COMPUTE_PGM_RSRC2:TGID_Y_EN: 0
; COMPUTE_PGM_RSRC2:TGID_Z_EN: 0
; COMPUTE_PGM_RSRC2:TIDIG_COMP_CNT: 0
; COMPUTE_PGM_RSRC3_GFX90A:ACCUM_OFFSET: 0
; COMPUTE_PGM_RSRC3_GFX90A:TG_SPLIT: 0
	.section	.text._ZN7rocprim17ROCPRIM_400000_NS6detail17trampoline_kernelINS0_14default_configENS1_20scan_config_selectorIjEEZZNS1_9scan_implILNS1_25lookback_scan_determinismE0ELb0ELb0ES3_N6thrust23THRUST_200600_302600_NS6detail15normal_iteratorINS9_10device_ptrIjEEEENS9_16discard_iteratorINS9_11use_defaultEEEjNS9_4plusIvEEjEEDaPvRmT3_T4_T5_mT6_P12ihipStream_tbENKUlT_T0_E_clISt17integral_constantIbLb1EESW_IbLb0EEEEDaSS_ST_EUlSS_E0_NS1_11comp_targetILNS1_3genE10ELNS1_11target_archE1200ELNS1_3gpuE4ELNS1_3repE0EEENS1_30default_config_static_selectorELNS0_4arch9wavefront6targetE1EEEvT1_,"axG",@progbits,_ZN7rocprim17ROCPRIM_400000_NS6detail17trampoline_kernelINS0_14default_configENS1_20scan_config_selectorIjEEZZNS1_9scan_implILNS1_25lookback_scan_determinismE0ELb0ELb0ES3_N6thrust23THRUST_200600_302600_NS6detail15normal_iteratorINS9_10device_ptrIjEEEENS9_16discard_iteratorINS9_11use_defaultEEEjNS9_4plusIvEEjEEDaPvRmT3_T4_T5_mT6_P12ihipStream_tbENKUlT_T0_E_clISt17integral_constantIbLb1EESW_IbLb0EEEEDaSS_ST_EUlSS_E0_NS1_11comp_targetILNS1_3genE10ELNS1_11target_archE1200ELNS1_3gpuE4ELNS1_3repE0EEENS1_30default_config_static_selectorELNS0_4arch9wavefront6targetE1EEEvT1_,comdat
	.protected	_ZN7rocprim17ROCPRIM_400000_NS6detail17trampoline_kernelINS0_14default_configENS1_20scan_config_selectorIjEEZZNS1_9scan_implILNS1_25lookback_scan_determinismE0ELb0ELb0ES3_N6thrust23THRUST_200600_302600_NS6detail15normal_iteratorINS9_10device_ptrIjEEEENS9_16discard_iteratorINS9_11use_defaultEEEjNS9_4plusIvEEjEEDaPvRmT3_T4_T5_mT6_P12ihipStream_tbENKUlT_T0_E_clISt17integral_constantIbLb1EESW_IbLb0EEEEDaSS_ST_EUlSS_E0_NS1_11comp_targetILNS1_3genE10ELNS1_11target_archE1200ELNS1_3gpuE4ELNS1_3repE0EEENS1_30default_config_static_selectorELNS0_4arch9wavefront6targetE1EEEvT1_ ; -- Begin function _ZN7rocprim17ROCPRIM_400000_NS6detail17trampoline_kernelINS0_14default_configENS1_20scan_config_selectorIjEEZZNS1_9scan_implILNS1_25lookback_scan_determinismE0ELb0ELb0ES3_N6thrust23THRUST_200600_302600_NS6detail15normal_iteratorINS9_10device_ptrIjEEEENS9_16discard_iteratorINS9_11use_defaultEEEjNS9_4plusIvEEjEEDaPvRmT3_T4_T5_mT6_P12ihipStream_tbENKUlT_T0_E_clISt17integral_constantIbLb1EESW_IbLb0EEEEDaSS_ST_EUlSS_E0_NS1_11comp_targetILNS1_3genE10ELNS1_11target_archE1200ELNS1_3gpuE4ELNS1_3repE0EEENS1_30default_config_static_selectorELNS0_4arch9wavefront6targetE1EEEvT1_
	.globl	_ZN7rocprim17ROCPRIM_400000_NS6detail17trampoline_kernelINS0_14default_configENS1_20scan_config_selectorIjEEZZNS1_9scan_implILNS1_25lookback_scan_determinismE0ELb0ELb0ES3_N6thrust23THRUST_200600_302600_NS6detail15normal_iteratorINS9_10device_ptrIjEEEENS9_16discard_iteratorINS9_11use_defaultEEEjNS9_4plusIvEEjEEDaPvRmT3_T4_T5_mT6_P12ihipStream_tbENKUlT_T0_E_clISt17integral_constantIbLb1EESW_IbLb0EEEEDaSS_ST_EUlSS_E0_NS1_11comp_targetILNS1_3genE10ELNS1_11target_archE1200ELNS1_3gpuE4ELNS1_3repE0EEENS1_30default_config_static_selectorELNS0_4arch9wavefront6targetE1EEEvT1_
	.p2align	8
	.type	_ZN7rocprim17ROCPRIM_400000_NS6detail17trampoline_kernelINS0_14default_configENS1_20scan_config_selectorIjEEZZNS1_9scan_implILNS1_25lookback_scan_determinismE0ELb0ELb0ES3_N6thrust23THRUST_200600_302600_NS6detail15normal_iteratorINS9_10device_ptrIjEEEENS9_16discard_iteratorINS9_11use_defaultEEEjNS9_4plusIvEEjEEDaPvRmT3_T4_T5_mT6_P12ihipStream_tbENKUlT_T0_E_clISt17integral_constantIbLb1EESW_IbLb0EEEEDaSS_ST_EUlSS_E0_NS1_11comp_targetILNS1_3genE10ELNS1_11target_archE1200ELNS1_3gpuE4ELNS1_3repE0EEENS1_30default_config_static_selectorELNS0_4arch9wavefront6targetE1EEEvT1_,@function
_ZN7rocprim17ROCPRIM_400000_NS6detail17trampoline_kernelINS0_14default_configENS1_20scan_config_selectorIjEEZZNS1_9scan_implILNS1_25lookback_scan_determinismE0ELb0ELb0ES3_N6thrust23THRUST_200600_302600_NS6detail15normal_iteratorINS9_10device_ptrIjEEEENS9_16discard_iteratorINS9_11use_defaultEEEjNS9_4plusIvEEjEEDaPvRmT3_T4_T5_mT6_P12ihipStream_tbENKUlT_T0_E_clISt17integral_constantIbLb1EESW_IbLb0EEEEDaSS_ST_EUlSS_E0_NS1_11comp_targetILNS1_3genE10ELNS1_11target_archE1200ELNS1_3gpuE4ELNS1_3repE0EEENS1_30default_config_static_selectorELNS0_4arch9wavefront6targetE1EEEvT1_: ; @_ZN7rocprim17ROCPRIM_400000_NS6detail17trampoline_kernelINS0_14default_configENS1_20scan_config_selectorIjEEZZNS1_9scan_implILNS1_25lookback_scan_determinismE0ELb0ELb0ES3_N6thrust23THRUST_200600_302600_NS6detail15normal_iteratorINS9_10device_ptrIjEEEENS9_16discard_iteratorINS9_11use_defaultEEEjNS9_4plusIvEEjEEDaPvRmT3_T4_T5_mT6_P12ihipStream_tbENKUlT_T0_E_clISt17integral_constantIbLb1EESW_IbLb0EEEEDaSS_ST_EUlSS_E0_NS1_11comp_targetILNS1_3genE10ELNS1_11target_archE1200ELNS1_3gpuE4ELNS1_3repE0EEENS1_30default_config_static_selectorELNS0_4arch9wavefront6targetE1EEEvT1_
; %bb.0:
	.section	.rodata,"a",@progbits
	.p2align	6, 0x0
	.amdhsa_kernel _ZN7rocprim17ROCPRIM_400000_NS6detail17trampoline_kernelINS0_14default_configENS1_20scan_config_selectorIjEEZZNS1_9scan_implILNS1_25lookback_scan_determinismE0ELb0ELb0ES3_N6thrust23THRUST_200600_302600_NS6detail15normal_iteratorINS9_10device_ptrIjEEEENS9_16discard_iteratorINS9_11use_defaultEEEjNS9_4plusIvEEjEEDaPvRmT3_T4_T5_mT6_P12ihipStream_tbENKUlT_T0_E_clISt17integral_constantIbLb1EESW_IbLb0EEEEDaSS_ST_EUlSS_E0_NS1_11comp_targetILNS1_3genE10ELNS1_11target_archE1200ELNS1_3gpuE4ELNS1_3repE0EEENS1_30default_config_static_selectorELNS0_4arch9wavefront6targetE1EEEvT1_
		.amdhsa_group_segment_fixed_size 0
		.amdhsa_private_segment_fixed_size 0
		.amdhsa_kernarg_size 40
		.amdhsa_user_sgpr_count 6
		.amdhsa_user_sgpr_private_segment_buffer 1
		.amdhsa_user_sgpr_dispatch_ptr 0
		.amdhsa_user_sgpr_queue_ptr 0
		.amdhsa_user_sgpr_kernarg_segment_ptr 1
		.amdhsa_user_sgpr_dispatch_id 0
		.amdhsa_user_sgpr_flat_scratch_init 0
		.amdhsa_user_sgpr_kernarg_preload_length 0
		.amdhsa_user_sgpr_kernarg_preload_offset 0
		.amdhsa_user_sgpr_private_segment_size 0
		.amdhsa_uses_dynamic_stack 0
		.amdhsa_system_sgpr_private_segment_wavefront_offset 0
		.amdhsa_system_sgpr_workgroup_id_x 1
		.amdhsa_system_sgpr_workgroup_id_y 0
		.amdhsa_system_sgpr_workgroup_id_z 0
		.amdhsa_system_sgpr_workgroup_info 0
		.amdhsa_system_vgpr_workitem_id 0
		.amdhsa_next_free_vgpr 1
		.amdhsa_next_free_sgpr 0
		.amdhsa_accum_offset 4
		.amdhsa_reserve_vcc 0
		.amdhsa_reserve_flat_scratch 0
		.amdhsa_float_round_mode_32 0
		.amdhsa_float_round_mode_16_64 0
		.amdhsa_float_denorm_mode_32 3
		.amdhsa_float_denorm_mode_16_64 3
		.amdhsa_dx10_clamp 1
		.amdhsa_ieee_mode 1
		.amdhsa_fp16_overflow 0
		.amdhsa_tg_split 0
		.amdhsa_exception_fp_ieee_invalid_op 0
		.amdhsa_exception_fp_denorm_src 0
		.amdhsa_exception_fp_ieee_div_zero 0
		.amdhsa_exception_fp_ieee_overflow 0
		.amdhsa_exception_fp_ieee_underflow 0
		.amdhsa_exception_fp_ieee_inexact 0
		.amdhsa_exception_int_div_zero 0
	.end_amdhsa_kernel
	.section	.text._ZN7rocprim17ROCPRIM_400000_NS6detail17trampoline_kernelINS0_14default_configENS1_20scan_config_selectorIjEEZZNS1_9scan_implILNS1_25lookback_scan_determinismE0ELb0ELb0ES3_N6thrust23THRUST_200600_302600_NS6detail15normal_iteratorINS9_10device_ptrIjEEEENS9_16discard_iteratorINS9_11use_defaultEEEjNS9_4plusIvEEjEEDaPvRmT3_T4_T5_mT6_P12ihipStream_tbENKUlT_T0_E_clISt17integral_constantIbLb1EESW_IbLb0EEEEDaSS_ST_EUlSS_E0_NS1_11comp_targetILNS1_3genE10ELNS1_11target_archE1200ELNS1_3gpuE4ELNS1_3repE0EEENS1_30default_config_static_selectorELNS0_4arch9wavefront6targetE1EEEvT1_,"axG",@progbits,_ZN7rocprim17ROCPRIM_400000_NS6detail17trampoline_kernelINS0_14default_configENS1_20scan_config_selectorIjEEZZNS1_9scan_implILNS1_25lookback_scan_determinismE0ELb0ELb0ES3_N6thrust23THRUST_200600_302600_NS6detail15normal_iteratorINS9_10device_ptrIjEEEENS9_16discard_iteratorINS9_11use_defaultEEEjNS9_4plusIvEEjEEDaPvRmT3_T4_T5_mT6_P12ihipStream_tbENKUlT_T0_E_clISt17integral_constantIbLb1EESW_IbLb0EEEEDaSS_ST_EUlSS_E0_NS1_11comp_targetILNS1_3genE10ELNS1_11target_archE1200ELNS1_3gpuE4ELNS1_3repE0EEENS1_30default_config_static_selectorELNS0_4arch9wavefront6targetE1EEEvT1_,comdat
.Lfunc_end5345:
	.size	_ZN7rocprim17ROCPRIM_400000_NS6detail17trampoline_kernelINS0_14default_configENS1_20scan_config_selectorIjEEZZNS1_9scan_implILNS1_25lookback_scan_determinismE0ELb0ELb0ES3_N6thrust23THRUST_200600_302600_NS6detail15normal_iteratorINS9_10device_ptrIjEEEENS9_16discard_iteratorINS9_11use_defaultEEEjNS9_4plusIvEEjEEDaPvRmT3_T4_T5_mT6_P12ihipStream_tbENKUlT_T0_E_clISt17integral_constantIbLb1EESW_IbLb0EEEEDaSS_ST_EUlSS_E0_NS1_11comp_targetILNS1_3genE10ELNS1_11target_archE1200ELNS1_3gpuE4ELNS1_3repE0EEENS1_30default_config_static_selectorELNS0_4arch9wavefront6targetE1EEEvT1_, .Lfunc_end5345-_ZN7rocprim17ROCPRIM_400000_NS6detail17trampoline_kernelINS0_14default_configENS1_20scan_config_selectorIjEEZZNS1_9scan_implILNS1_25lookback_scan_determinismE0ELb0ELb0ES3_N6thrust23THRUST_200600_302600_NS6detail15normal_iteratorINS9_10device_ptrIjEEEENS9_16discard_iteratorINS9_11use_defaultEEEjNS9_4plusIvEEjEEDaPvRmT3_T4_T5_mT6_P12ihipStream_tbENKUlT_T0_E_clISt17integral_constantIbLb1EESW_IbLb0EEEEDaSS_ST_EUlSS_E0_NS1_11comp_targetILNS1_3genE10ELNS1_11target_archE1200ELNS1_3gpuE4ELNS1_3repE0EEENS1_30default_config_static_selectorELNS0_4arch9wavefront6targetE1EEEvT1_
                                        ; -- End function
	.section	.AMDGPU.csdata,"",@progbits
; Kernel info:
; codeLenInByte = 0
; NumSgprs: 4
; NumVgprs: 0
; NumAgprs: 0
; TotalNumVgprs: 0
; ScratchSize: 0
; MemoryBound: 0
; FloatMode: 240
; IeeeMode: 1
; LDSByteSize: 0 bytes/workgroup (compile time only)
; SGPRBlocks: 0
; VGPRBlocks: 0
; NumSGPRsForWavesPerEU: 4
; NumVGPRsForWavesPerEU: 1
; AccumOffset: 4
; Occupancy: 8
; WaveLimiterHint : 0
; COMPUTE_PGM_RSRC2:SCRATCH_EN: 0
; COMPUTE_PGM_RSRC2:USER_SGPR: 6
; COMPUTE_PGM_RSRC2:TRAP_HANDLER: 0
; COMPUTE_PGM_RSRC2:TGID_X_EN: 1
; COMPUTE_PGM_RSRC2:TGID_Y_EN: 0
; COMPUTE_PGM_RSRC2:TGID_Z_EN: 0
; COMPUTE_PGM_RSRC2:TIDIG_COMP_CNT: 0
; COMPUTE_PGM_RSRC3_GFX90A:ACCUM_OFFSET: 0
; COMPUTE_PGM_RSRC3_GFX90A:TG_SPLIT: 0
	.section	.text._ZN7rocprim17ROCPRIM_400000_NS6detail17trampoline_kernelINS0_14default_configENS1_20scan_config_selectorIjEEZZNS1_9scan_implILNS1_25lookback_scan_determinismE0ELb0ELb0ES3_N6thrust23THRUST_200600_302600_NS6detail15normal_iteratorINS9_10device_ptrIjEEEENS9_16discard_iteratorINS9_11use_defaultEEEjNS9_4plusIvEEjEEDaPvRmT3_T4_T5_mT6_P12ihipStream_tbENKUlT_T0_E_clISt17integral_constantIbLb1EESW_IbLb0EEEEDaSS_ST_EUlSS_E0_NS1_11comp_targetILNS1_3genE9ELNS1_11target_archE1100ELNS1_3gpuE3ELNS1_3repE0EEENS1_30default_config_static_selectorELNS0_4arch9wavefront6targetE1EEEvT1_,"axG",@progbits,_ZN7rocprim17ROCPRIM_400000_NS6detail17trampoline_kernelINS0_14default_configENS1_20scan_config_selectorIjEEZZNS1_9scan_implILNS1_25lookback_scan_determinismE0ELb0ELb0ES3_N6thrust23THRUST_200600_302600_NS6detail15normal_iteratorINS9_10device_ptrIjEEEENS9_16discard_iteratorINS9_11use_defaultEEEjNS9_4plusIvEEjEEDaPvRmT3_T4_T5_mT6_P12ihipStream_tbENKUlT_T0_E_clISt17integral_constantIbLb1EESW_IbLb0EEEEDaSS_ST_EUlSS_E0_NS1_11comp_targetILNS1_3genE9ELNS1_11target_archE1100ELNS1_3gpuE3ELNS1_3repE0EEENS1_30default_config_static_selectorELNS0_4arch9wavefront6targetE1EEEvT1_,comdat
	.protected	_ZN7rocprim17ROCPRIM_400000_NS6detail17trampoline_kernelINS0_14default_configENS1_20scan_config_selectorIjEEZZNS1_9scan_implILNS1_25lookback_scan_determinismE0ELb0ELb0ES3_N6thrust23THRUST_200600_302600_NS6detail15normal_iteratorINS9_10device_ptrIjEEEENS9_16discard_iteratorINS9_11use_defaultEEEjNS9_4plusIvEEjEEDaPvRmT3_T4_T5_mT6_P12ihipStream_tbENKUlT_T0_E_clISt17integral_constantIbLb1EESW_IbLb0EEEEDaSS_ST_EUlSS_E0_NS1_11comp_targetILNS1_3genE9ELNS1_11target_archE1100ELNS1_3gpuE3ELNS1_3repE0EEENS1_30default_config_static_selectorELNS0_4arch9wavefront6targetE1EEEvT1_ ; -- Begin function _ZN7rocprim17ROCPRIM_400000_NS6detail17trampoline_kernelINS0_14default_configENS1_20scan_config_selectorIjEEZZNS1_9scan_implILNS1_25lookback_scan_determinismE0ELb0ELb0ES3_N6thrust23THRUST_200600_302600_NS6detail15normal_iteratorINS9_10device_ptrIjEEEENS9_16discard_iteratorINS9_11use_defaultEEEjNS9_4plusIvEEjEEDaPvRmT3_T4_T5_mT6_P12ihipStream_tbENKUlT_T0_E_clISt17integral_constantIbLb1EESW_IbLb0EEEEDaSS_ST_EUlSS_E0_NS1_11comp_targetILNS1_3genE9ELNS1_11target_archE1100ELNS1_3gpuE3ELNS1_3repE0EEENS1_30default_config_static_selectorELNS0_4arch9wavefront6targetE1EEEvT1_
	.globl	_ZN7rocprim17ROCPRIM_400000_NS6detail17trampoline_kernelINS0_14default_configENS1_20scan_config_selectorIjEEZZNS1_9scan_implILNS1_25lookback_scan_determinismE0ELb0ELb0ES3_N6thrust23THRUST_200600_302600_NS6detail15normal_iteratorINS9_10device_ptrIjEEEENS9_16discard_iteratorINS9_11use_defaultEEEjNS9_4plusIvEEjEEDaPvRmT3_T4_T5_mT6_P12ihipStream_tbENKUlT_T0_E_clISt17integral_constantIbLb1EESW_IbLb0EEEEDaSS_ST_EUlSS_E0_NS1_11comp_targetILNS1_3genE9ELNS1_11target_archE1100ELNS1_3gpuE3ELNS1_3repE0EEENS1_30default_config_static_selectorELNS0_4arch9wavefront6targetE1EEEvT1_
	.p2align	8
	.type	_ZN7rocprim17ROCPRIM_400000_NS6detail17trampoline_kernelINS0_14default_configENS1_20scan_config_selectorIjEEZZNS1_9scan_implILNS1_25lookback_scan_determinismE0ELb0ELb0ES3_N6thrust23THRUST_200600_302600_NS6detail15normal_iteratorINS9_10device_ptrIjEEEENS9_16discard_iteratorINS9_11use_defaultEEEjNS9_4plusIvEEjEEDaPvRmT3_T4_T5_mT6_P12ihipStream_tbENKUlT_T0_E_clISt17integral_constantIbLb1EESW_IbLb0EEEEDaSS_ST_EUlSS_E0_NS1_11comp_targetILNS1_3genE9ELNS1_11target_archE1100ELNS1_3gpuE3ELNS1_3repE0EEENS1_30default_config_static_selectorELNS0_4arch9wavefront6targetE1EEEvT1_,@function
_ZN7rocprim17ROCPRIM_400000_NS6detail17trampoline_kernelINS0_14default_configENS1_20scan_config_selectorIjEEZZNS1_9scan_implILNS1_25lookback_scan_determinismE0ELb0ELb0ES3_N6thrust23THRUST_200600_302600_NS6detail15normal_iteratorINS9_10device_ptrIjEEEENS9_16discard_iteratorINS9_11use_defaultEEEjNS9_4plusIvEEjEEDaPvRmT3_T4_T5_mT6_P12ihipStream_tbENKUlT_T0_E_clISt17integral_constantIbLb1EESW_IbLb0EEEEDaSS_ST_EUlSS_E0_NS1_11comp_targetILNS1_3genE9ELNS1_11target_archE1100ELNS1_3gpuE3ELNS1_3repE0EEENS1_30default_config_static_selectorELNS0_4arch9wavefront6targetE1EEEvT1_: ; @_ZN7rocprim17ROCPRIM_400000_NS6detail17trampoline_kernelINS0_14default_configENS1_20scan_config_selectorIjEEZZNS1_9scan_implILNS1_25lookback_scan_determinismE0ELb0ELb0ES3_N6thrust23THRUST_200600_302600_NS6detail15normal_iteratorINS9_10device_ptrIjEEEENS9_16discard_iteratorINS9_11use_defaultEEEjNS9_4plusIvEEjEEDaPvRmT3_T4_T5_mT6_P12ihipStream_tbENKUlT_T0_E_clISt17integral_constantIbLb1EESW_IbLb0EEEEDaSS_ST_EUlSS_E0_NS1_11comp_targetILNS1_3genE9ELNS1_11target_archE1100ELNS1_3gpuE3ELNS1_3repE0EEENS1_30default_config_static_selectorELNS0_4arch9wavefront6targetE1EEEvT1_
; %bb.0:
	.section	.rodata,"a",@progbits
	.p2align	6, 0x0
	.amdhsa_kernel _ZN7rocprim17ROCPRIM_400000_NS6detail17trampoline_kernelINS0_14default_configENS1_20scan_config_selectorIjEEZZNS1_9scan_implILNS1_25lookback_scan_determinismE0ELb0ELb0ES3_N6thrust23THRUST_200600_302600_NS6detail15normal_iteratorINS9_10device_ptrIjEEEENS9_16discard_iteratorINS9_11use_defaultEEEjNS9_4plusIvEEjEEDaPvRmT3_T4_T5_mT6_P12ihipStream_tbENKUlT_T0_E_clISt17integral_constantIbLb1EESW_IbLb0EEEEDaSS_ST_EUlSS_E0_NS1_11comp_targetILNS1_3genE9ELNS1_11target_archE1100ELNS1_3gpuE3ELNS1_3repE0EEENS1_30default_config_static_selectorELNS0_4arch9wavefront6targetE1EEEvT1_
		.amdhsa_group_segment_fixed_size 0
		.amdhsa_private_segment_fixed_size 0
		.amdhsa_kernarg_size 40
		.amdhsa_user_sgpr_count 6
		.amdhsa_user_sgpr_private_segment_buffer 1
		.amdhsa_user_sgpr_dispatch_ptr 0
		.amdhsa_user_sgpr_queue_ptr 0
		.amdhsa_user_sgpr_kernarg_segment_ptr 1
		.amdhsa_user_sgpr_dispatch_id 0
		.amdhsa_user_sgpr_flat_scratch_init 0
		.amdhsa_user_sgpr_kernarg_preload_length 0
		.amdhsa_user_sgpr_kernarg_preload_offset 0
		.amdhsa_user_sgpr_private_segment_size 0
		.amdhsa_uses_dynamic_stack 0
		.amdhsa_system_sgpr_private_segment_wavefront_offset 0
		.amdhsa_system_sgpr_workgroup_id_x 1
		.amdhsa_system_sgpr_workgroup_id_y 0
		.amdhsa_system_sgpr_workgroup_id_z 0
		.amdhsa_system_sgpr_workgroup_info 0
		.amdhsa_system_vgpr_workitem_id 0
		.amdhsa_next_free_vgpr 1
		.amdhsa_next_free_sgpr 0
		.amdhsa_accum_offset 4
		.amdhsa_reserve_vcc 0
		.amdhsa_reserve_flat_scratch 0
		.amdhsa_float_round_mode_32 0
		.amdhsa_float_round_mode_16_64 0
		.amdhsa_float_denorm_mode_32 3
		.amdhsa_float_denorm_mode_16_64 3
		.amdhsa_dx10_clamp 1
		.amdhsa_ieee_mode 1
		.amdhsa_fp16_overflow 0
		.amdhsa_tg_split 0
		.amdhsa_exception_fp_ieee_invalid_op 0
		.amdhsa_exception_fp_denorm_src 0
		.amdhsa_exception_fp_ieee_div_zero 0
		.amdhsa_exception_fp_ieee_overflow 0
		.amdhsa_exception_fp_ieee_underflow 0
		.amdhsa_exception_fp_ieee_inexact 0
		.amdhsa_exception_int_div_zero 0
	.end_amdhsa_kernel
	.section	.text._ZN7rocprim17ROCPRIM_400000_NS6detail17trampoline_kernelINS0_14default_configENS1_20scan_config_selectorIjEEZZNS1_9scan_implILNS1_25lookback_scan_determinismE0ELb0ELb0ES3_N6thrust23THRUST_200600_302600_NS6detail15normal_iteratorINS9_10device_ptrIjEEEENS9_16discard_iteratorINS9_11use_defaultEEEjNS9_4plusIvEEjEEDaPvRmT3_T4_T5_mT6_P12ihipStream_tbENKUlT_T0_E_clISt17integral_constantIbLb1EESW_IbLb0EEEEDaSS_ST_EUlSS_E0_NS1_11comp_targetILNS1_3genE9ELNS1_11target_archE1100ELNS1_3gpuE3ELNS1_3repE0EEENS1_30default_config_static_selectorELNS0_4arch9wavefront6targetE1EEEvT1_,"axG",@progbits,_ZN7rocprim17ROCPRIM_400000_NS6detail17trampoline_kernelINS0_14default_configENS1_20scan_config_selectorIjEEZZNS1_9scan_implILNS1_25lookback_scan_determinismE0ELb0ELb0ES3_N6thrust23THRUST_200600_302600_NS6detail15normal_iteratorINS9_10device_ptrIjEEEENS9_16discard_iteratorINS9_11use_defaultEEEjNS9_4plusIvEEjEEDaPvRmT3_T4_T5_mT6_P12ihipStream_tbENKUlT_T0_E_clISt17integral_constantIbLb1EESW_IbLb0EEEEDaSS_ST_EUlSS_E0_NS1_11comp_targetILNS1_3genE9ELNS1_11target_archE1100ELNS1_3gpuE3ELNS1_3repE0EEENS1_30default_config_static_selectorELNS0_4arch9wavefront6targetE1EEEvT1_,comdat
.Lfunc_end5346:
	.size	_ZN7rocprim17ROCPRIM_400000_NS6detail17trampoline_kernelINS0_14default_configENS1_20scan_config_selectorIjEEZZNS1_9scan_implILNS1_25lookback_scan_determinismE0ELb0ELb0ES3_N6thrust23THRUST_200600_302600_NS6detail15normal_iteratorINS9_10device_ptrIjEEEENS9_16discard_iteratorINS9_11use_defaultEEEjNS9_4plusIvEEjEEDaPvRmT3_T4_T5_mT6_P12ihipStream_tbENKUlT_T0_E_clISt17integral_constantIbLb1EESW_IbLb0EEEEDaSS_ST_EUlSS_E0_NS1_11comp_targetILNS1_3genE9ELNS1_11target_archE1100ELNS1_3gpuE3ELNS1_3repE0EEENS1_30default_config_static_selectorELNS0_4arch9wavefront6targetE1EEEvT1_, .Lfunc_end5346-_ZN7rocprim17ROCPRIM_400000_NS6detail17trampoline_kernelINS0_14default_configENS1_20scan_config_selectorIjEEZZNS1_9scan_implILNS1_25lookback_scan_determinismE0ELb0ELb0ES3_N6thrust23THRUST_200600_302600_NS6detail15normal_iteratorINS9_10device_ptrIjEEEENS9_16discard_iteratorINS9_11use_defaultEEEjNS9_4plusIvEEjEEDaPvRmT3_T4_T5_mT6_P12ihipStream_tbENKUlT_T0_E_clISt17integral_constantIbLb1EESW_IbLb0EEEEDaSS_ST_EUlSS_E0_NS1_11comp_targetILNS1_3genE9ELNS1_11target_archE1100ELNS1_3gpuE3ELNS1_3repE0EEENS1_30default_config_static_selectorELNS0_4arch9wavefront6targetE1EEEvT1_
                                        ; -- End function
	.section	.AMDGPU.csdata,"",@progbits
; Kernel info:
; codeLenInByte = 0
; NumSgprs: 4
; NumVgprs: 0
; NumAgprs: 0
; TotalNumVgprs: 0
; ScratchSize: 0
; MemoryBound: 0
; FloatMode: 240
; IeeeMode: 1
; LDSByteSize: 0 bytes/workgroup (compile time only)
; SGPRBlocks: 0
; VGPRBlocks: 0
; NumSGPRsForWavesPerEU: 4
; NumVGPRsForWavesPerEU: 1
; AccumOffset: 4
; Occupancy: 8
; WaveLimiterHint : 0
; COMPUTE_PGM_RSRC2:SCRATCH_EN: 0
; COMPUTE_PGM_RSRC2:USER_SGPR: 6
; COMPUTE_PGM_RSRC2:TRAP_HANDLER: 0
; COMPUTE_PGM_RSRC2:TGID_X_EN: 1
; COMPUTE_PGM_RSRC2:TGID_Y_EN: 0
; COMPUTE_PGM_RSRC2:TGID_Z_EN: 0
; COMPUTE_PGM_RSRC2:TIDIG_COMP_CNT: 0
; COMPUTE_PGM_RSRC3_GFX90A:ACCUM_OFFSET: 0
; COMPUTE_PGM_RSRC3_GFX90A:TG_SPLIT: 0
	.section	.text._ZN7rocprim17ROCPRIM_400000_NS6detail17trampoline_kernelINS0_14default_configENS1_20scan_config_selectorIjEEZZNS1_9scan_implILNS1_25lookback_scan_determinismE0ELb0ELb0ES3_N6thrust23THRUST_200600_302600_NS6detail15normal_iteratorINS9_10device_ptrIjEEEENS9_16discard_iteratorINS9_11use_defaultEEEjNS9_4plusIvEEjEEDaPvRmT3_T4_T5_mT6_P12ihipStream_tbENKUlT_T0_E_clISt17integral_constantIbLb1EESW_IbLb0EEEEDaSS_ST_EUlSS_E0_NS1_11comp_targetILNS1_3genE8ELNS1_11target_archE1030ELNS1_3gpuE2ELNS1_3repE0EEENS1_30default_config_static_selectorELNS0_4arch9wavefront6targetE1EEEvT1_,"axG",@progbits,_ZN7rocprim17ROCPRIM_400000_NS6detail17trampoline_kernelINS0_14default_configENS1_20scan_config_selectorIjEEZZNS1_9scan_implILNS1_25lookback_scan_determinismE0ELb0ELb0ES3_N6thrust23THRUST_200600_302600_NS6detail15normal_iteratorINS9_10device_ptrIjEEEENS9_16discard_iteratorINS9_11use_defaultEEEjNS9_4plusIvEEjEEDaPvRmT3_T4_T5_mT6_P12ihipStream_tbENKUlT_T0_E_clISt17integral_constantIbLb1EESW_IbLb0EEEEDaSS_ST_EUlSS_E0_NS1_11comp_targetILNS1_3genE8ELNS1_11target_archE1030ELNS1_3gpuE2ELNS1_3repE0EEENS1_30default_config_static_selectorELNS0_4arch9wavefront6targetE1EEEvT1_,comdat
	.protected	_ZN7rocprim17ROCPRIM_400000_NS6detail17trampoline_kernelINS0_14default_configENS1_20scan_config_selectorIjEEZZNS1_9scan_implILNS1_25lookback_scan_determinismE0ELb0ELb0ES3_N6thrust23THRUST_200600_302600_NS6detail15normal_iteratorINS9_10device_ptrIjEEEENS9_16discard_iteratorINS9_11use_defaultEEEjNS9_4plusIvEEjEEDaPvRmT3_T4_T5_mT6_P12ihipStream_tbENKUlT_T0_E_clISt17integral_constantIbLb1EESW_IbLb0EEEEDaSS_ST_EUlSS_E0_NS1_11comp_targetILNS1_3genE8ELNS1_11target_archE1030ELNS1_3gpuE2ELNS1_3repE0EEENS1_30default_config_static_selectorELNS0_4arch9wavefront6targetE1EEEvT1_ ; -- Begin function _ZN7rocprim17ROCPRIM_400000_NS6detail17trampoline_kernelINS0_14default_configENS1_20scan_config_selectorIjEEZZNS1_9scan_implILNS1_25lookback_scan_determinismE0ELb0ELb0ES3_N6thrust23THRUST_200600_302600_NS6detail15normal_iteratorINS9_10device_ptrIjEEEENS9_16discard_iteratorINS9_11use_defaultEEEjNS9_4plusIvEEjEEDaPvRmT3_T4_T5_mT6_P12ihipStream_tbENKUlT_T0_E_clISt17integral_constantIbLb1EESW_IbLb0EEEEDaSS_ST_EUlSS_E0_NS1_11comp_targetILNS1_3genE8ELNS1_11target_archE1030ELNS1_3gpuE2ELNS1_3repE0EEENS1_30default_config_static_selectorELNS0_4arch9wavefront6targetE1EEEvT1_
	.globl	_ZN7rocprim17ROCPRIM_400000_NS6detail17trampoline_kernelINS0_14default_configENS1_20scan_config_selectorIjEEZZNS1_9scan_implILNS1_25lookback_scan_determinismE0ELb0ELb0ES3_N6thrust23THRUST_200600_302600_NS6detail15normal_iteratorINS9_10device_ptrIjEEEENS9_16discard_iteratorINS9_11use_defaultEEEjNS9_4plusIvEEjEEDaPvRmT3_T4_T5_mT6_P12ihipStream_tbENKUlT_T0_E_clISt17integral_constantIbLb1EESW_IbLb0EEEEDaSS_ST_EUlSS_E0_NS1_11comp_targetILNS1_3genE8ELNS1_11target_archE1030ELNS1_3gpuE2ELNS1_3repE0EEENS1_30default_config_static_selectorELNS0_4arch9wavefront6targetE1EEEvT1_
	.p2align	8
	.type	_ZN7rocprim17ROCPRIM_400000_NS6detail17trampoline_kernelINS0_14default_configENS1_20scan_config_selectorIjEEZZNS1_9scan_implILNS1_25lookback_scan_determinismE0ELb0ELb0ES3_N6thrust23THRUST_200600_302600_NS6detail15normal_iteratorINS9_10device_ptrIjEEEENS9_16discard_iteratorINS9_11use_defaultEEEjNS9_4plusIvEEjEEDaPvRmT3_T4_T5_mT6_P12ihipStream_tbENKUlT_T0_E_clISt17integral_constantIbLb1EESW_IbLb0EEEEDaSS_ST_EUlSS_E0_NS1_11comp_targetILNS1_3genE8ELNS1_11target_archE1030ELNS1_3gpuE2ELNS1_3repE0EEENS1_30default_config_static_selectorELNS0_4arch9wavefront6targetE1EEEvT1_,@function
_ZN7rocprim17ROCPRIM_400000_NS6detail17trampoline_kernelINS0_14default_configENS1_20scan_config_selectorIjEEZZNS1_9scan_implILNS1_25lookback_scan_determinismE0ELb0ELb0ES3_N6thrust23THRUST_200600_302600_NS6detail15normal_iteratorINS9_10device_ptrIjEEEENS9_16discard_iteratorINS9_11use_defaultEEEjNS9_4plusIvEEjEEDaPvRmT3_T4_T5_mT6_P12ihipStream_tbENKUlT_T0_E_clISt17integral_constantIbLb1EESW_IbLb0EEEEDaSS_ST_EUlSS_E0_NS1_11comp_targetILNS1_3genE8ELNS1_11target_archE1030ELNS1_3gpuE2ELNS1_3repE0EEENS1_30default_config_static_selectorELNS0_4arch9wavefront6targetE1EEEvT1_: ; @_ZN7rocprim17ROCPRIM_400000_NS6detail17trampoline_kernelINS0_14default_configENS1_20scan_config_selectorIjEEZZNS1_9scan_implILNS1_25lookback_scan_determinismE0ELb0ELb0ES3_N6thrust23THRUST_200600_302600_NS6detail15normal_iteratorINS9_10device_ptrIjEEEENS9_16discard_iteratorINS9_11use_defaultEEEjNS9_4plusIvEEjEEDaPvRmT3_T4_T5_mT6_P12ihipStream_tbENKUlT_T0_E_clISt17integral_constantIbLb1EESW_IbLb0EEEEDaSS_ST_EUlSS_E0_NS1_11comp_targetILNS1_3genE8ELNS1_11target_archE1030ELNS1_3gpuE2ELNS1_3repE0EEENS1_30default_config_static_selectorELNS0_4arch9wavefront6targetE1EEEvT1_
; %bb.0:
	.section	.rodata,"a",@progbits
	.p2align	6, 0x0
	.amdhsa_kernel _ZN7rocprim17ROCPRIM_400000_NS6detail17trampoline_kernelINS0_14default_configENS1_20scan_config_selectorIjEEZZNS1_9scan_implILNS1_25lookback_scan_determinismE0ELb0ELb0ES3_N6thrust23THRUST_200600_302600_NS6detail15normal_iteratorINS9_10device_ptrIjEEEENS9_16discard_iteratorINS9_11use_defaultEEEjNS9_4plusIvEEjEEDaPvRmT3_T4_T5_mT6_P12ihipStream_tbENKUlT_T0_E_clISt17integral_constantIbLb1EESW_IbLb0EEEEDaSS_ST_EUlSS_E0_NS1_11comp_targetILNS1_3genE8ELNS1_11target_archE1030ELNS1_3gpuE2ELNS1_3repE0EEENS1_30default_config_static_selectorELNS0_4arch9wavefront6targetE1EEEvT1_
		.amdhsa_group_segment_fixed_size 0
		.amdhsa_private_segment_fixed_size 0
		.amdhsa_kernarg_size 40
		.amdhsa_user_sgpr_count 6
		.amdhsa_user_sgpr_private_segment_buffer 1
		.amdhsa_user_sgpr_dispatch_ptr 0
		.amdhsa_user_sgpr_queue_ptr 0
		.amdhsa_user_sgpr_kernarg_segment_ptr 1
		.amdhsa_user_sgpr_dispatch_id 0
		.amdhsa_user_sgpr_flat_scratch_init 0
		.amdhsa_user_sgpr_kernarg_preload_length 0
		.amdhsa_user_sgpr_kernarg_preload_offset 0
		.amdhsa_user_sgpr_private_segment_size 0
		.amdhsa_uses_dynamic_stack 0
		.amdhsa_system_sgpr_private_segment_wavefront_offset 0
		.amdhsa_system_sgpr_workgroup_id_x 1
		.amdhsa_system_sgpr_workgroup_id_y 0
		.amdhsa_system_sgpr_workgroup_id_z 0
		.amdhsa_system_sgpr_workgroup_info 0
		.amdhsa_system_vgpr_workitem_id 0
		.amdhsa_next_free_vgpr 1
		.amdhsa_next_free_sgpr 0
		.amdhsa_accum_offset 4
		.amdhsa_reserve_vcc 0
		.amdhsa_reserve_flat_scratch 0
		.amdhsa_float_round_mode_32 0
		.amdhsa_float_round_mode_16_64 0
		.amdhsa_float_denorm_mode_32 3
		.amdhsa_float_denorm_mode_16_64 3
		.amdhsa_dx10_clamp 1
		.amdhsa_ieee_mode 1
		.amdhsa_fp16_overflow 0
		.amdhsa_tg_split 0
		.amdhsa_exception_fp_ieee_invalid_op 0
		.amdhsa_exception_fp_denorm_src 0
		.amdhsa_exception_fp_ieee_div_zero 0
		.amdhsa_exception_fp_ieee_overflow 0
		.amdhsa_exception_fp_ieee_underflow 0
		.amdhsa_exception_fp_ieee_inexact 0
		.amdhsa_exception_int_div_zero 0
	.end_amdhsa_kernel
	.section	.text._ZN7rocprim17ROCPRIM_400000_NS6detail17trampoline_kernelINS0_14default_configENS1_20scan_config_selectorIjEEZZNS1_9scan_implILNS1_25lookback_scan_determinismE0ELb0ELb0ES3_N6thrust23THRUST_200600_302600_NS6detail15normal_iteratorINS9_10device_ptrIjEEEENS9_16discard_iteratorINS9_11use_defaultEEEjNS9_4plusIvEEjEEDaPvRmT3_T4_T5_mT6_P12ihipStream_tbENKUlT_T0_E_clISt17integral_constantIbLb1EESW_IbLb0EEEEDaSS_ST_EUlSS_E0_NS1_11comp_targetILNS1_3genE8ELNS1_11target_archE1030ELNS1_3gpuE2ELNS1_3repE0EEENS1_30default_config_static_selectorELNS0_4arch9wavefront6targetE1EEEvT1_,"axG",@progbits,_ZN7rocprim17ROCPRIM_400000_NS6detail17trampoline_kernelINS0_14default_configENS1_20scan_config_selectorIjEEZZNS1_9scan_implILNS1_25lookback_scan_determinismE0ELb0ELb0ES3_N6thrust23THRUST_200600_302600_NS6detail15normal_iteratorINS9_10device_ptrIjEEEENS9_16discard_iteratorINS9_11use_defaultEEEjNS9_4plusIvEEjEEDaPvRmT3_T4_T5_mT6_P12ihipStream_tbENKUlT_T0_E_clISt17integral_constantIbLb1EESW_IbLb0EEEEDaSS_ST_EUlSS_E0_NS1_11comp_targetILNS1_3genE8ELNS1_11target_archE1030ELNS1_3gpuE2ELNS1_3repE0EEENS1_30default_config_static_selectorELNS0_4arch9wavefront6targetE1EEEvT1_,comdat
.Lfunc_end5347:
	.size	_ZN7rocprim17ROCPRIM_400000_NS6detail17trampoline_kernelINS0_14default_configENS1_20scan_config_selectorIjEEZZNS1_9scan_implILNS1_25lookback_scan_determinismE0ELb0ELb0ES3_N6thrust23THRUST_200600_302600_NS6detail15normal_iteratorINS9_10device_ptrIjEEEENS9_16discard_iteratorINS9_11use_defaultEEEjNS9_4plusIvEEjEEDaPvRmT3_T4_T5_mT6_P12ihipStream_tbENKUlT_T0_E_clISt17integral_constantIbLb1EESW_IbLb0EEEEDaSS_ST_EUlSS_E0_NS1_11comp_targetILNS1_3genE8ELNS1_11target_archE1030ELNS1_3gpuE2ELNS1_3repE0EEENS1_30default_config_static_selectorELNS0_4arch9wavefront6targetE1EEEvT1_, .Lfunc_end5347-_ZN7rocprim17ROCPRIM_400000_NS6detail17trampoline_kernelINS0_14default_configENS1_20scan_config_selectorIjEEZZNS1_9scan_implILNS1_25lookback_scan_determinismE0ELb0ELb0ES3_N6thrust23THRUST_200600_302600_NS6detail15normal_iteratorINS9_10device_ptrIjEEEENS9_16discard_iteratorINS9_11use_defaultEEEjNS9_4plusIvEEjEEDaPvRmT3_T4_T5_mT6_P12ihipStream_tbENKUlT_T0_E_clISt17integral_constantIbLb1EESW_IbLb0EEEEDaSS_ST_EUlSS_E0_NS1_11comp_targetILNS1_3genE8ELNS1_11target_archE1030ELNS1_3gpuE2ELNS1_3repE0EEENS1_30default_config_static_selectorELNS0_4arch9wavefront6targetE1EEEvT1_
                                        ; -- End function
	.section	.AMDGPU.csdata,"",@progbits
; Kernel info:
; codeLenInByte = 0
; NumSgprs: 4
; NumVgprs: 0
; NumAgprs: 0
; TotalNumVgprs: 0
; ScratchSize: 0
; MemoryBound: 0
; FloatMode: 240
; IeeeMode: 1
; LDSByteSize: 0 bytes/workgroup (compile time only)
; SGPRBlocks: 0
; VGPRBlocks: 0
; NumSGPRsForWavesPerEU: 4
; NumVGPRsForWavesPerEU: 1
; AccumOffset: 4
; Occupancy: 8
; WaveLimiterHint : 0
; COMPUTE_PGM_RSRC2:SCRATCH_EN: 0
; COMPUTE_PGM_RSRC2:USER_SGPR: 6
; COMPUTE_PGM_RSRC2:TRAP_HANDLER: 0
; COMPUTE_PGM_RSRC2:TGID_X_EN: 1
; COMPUTE_PGM_RSRC2:TGID_Y_EN: 0
; COMPUTE_PGM_RSRC2:TGID_Z_EN: 0
; COMPUTE_PGM_RSRC2:TIDIG_COMP_CNT: 0
; COMPUTE_PGM_RSRC3_GFX90A:ACCUM_OFFSET: 0
; COMPUTE_PGM_RSRC3_GFX90A:TG_SPLIT: 0
	.section	.text._ZN7rocprim17ROCPRIM_400000_NS6detail17trampoline_kernelINS0_14default_configENS1_20scan_config_selectorIjEEZZNS1_9scan_implILNS1_25lookback_scan_determinismE0ELb0ELb0ES3_N6thrust23THRUST_200600_302600_NS6detail15normal_iteratorINS9_10device_ptrIjEEEENS9_16discard_iteratorINS9_11use_defaultEEEjNS9_4plusIvEEjEEDaPvRmT3_T4_T5_mT6_P12ihipStream_tbENKUlT_T0_E_clISt17integral_constantIbLb0EESW_IbLb1EEEEDaSS_ST_EUlSS_E_NS1_11comp_targetILNS1_3genE0ELNS1_11target_archE4294967295ELNS1_3gpuE0ELNS1_3repE0EEENS1_30default_config_static_selectorELNS0_4arch9wavefront6targetE1EEEvT1_,"axG",@progbits,_ZN7rocprim17ROCPRIM_400000_NS6detail17trampoline_kernelINS0_14default_configENS1_20scan_config_selectorIjEEZZNS1_9scan_implILNS1_25lookback_scan_determinismE0ELb0ELb0ES3_N6thrust23THRUST_200600_302600_NS6detail15normal_iteratorINS9_10device_ptrIjEEEENS9_16discard_iteratorINS9_11use_defaultEEEjNS9_4plusIvEEjEEDaPvRmT3_T4_T5_mT6_P12ihipStream_tbENKUlT_T0_E_clISt17integral_constantIbLb0EESW_IbLb1EEEEDaSS_ST_EUlSS_E_NS1_11comp_targetILNS1_3genE0ELNS1_11target_archE4294967295ELNS1_3gpuE0ELNS1_3repE0EEENS1_30default_config_static_selectorELNS0_4arch9wavefront6targetE1EEEvT1_,comdat
	.protected	_ZN7rocprim17ROCPRIM_400000_NS6detail17trampoline_kernelINS0_14default_configENS1_20scan_config_selectorIjEEZZNS1_9scan_implILNS1_25lookback_scan_determinismE0ELb0ELb0ES3_N6thrust23THRUST_200600_302600_NS6detail15normal_iteratorINS9_10device_ptrIjEEEENS9_16discard_iteratorINS9_11use_defaultEEEjNS9_4plusIvEEjEEDaPvRmT3_T4_T5_mT6_P12ihipStream_tbENKUlT_T0_E_clISt17integral_constantIbLb0EESW_IbLb1EEEEDaSS_ST_EUlSS_E_NS1_11comp_targetILNS1_3genE0ELNS1_11target_archE4294967295ELNS1_3gpuE0ELNS1_3repE0EEENS1_30default_config_static_selectorELNS0_4arch9wavefront6targetE1EEEvT1_ ; -- Begin function _ZN7rocprim17ROCPRIM_400000_NS6detail17trampoline_kernelINS0_14default_configENS1_20scan_config_selectorIjEEZZNS1_9scan_implILNS1_25lookback_scan_determinismE0ELb0ELb0ES3_N6thrust23THRUST_200600_302600_NS6detail15normal_iteratorINS9_10device_ptrIjEEEENS9_16discard_iteratorINS9_11use_defaultEEEjNS9_4plusIvEEjEEDaPvRmT3_T4_T5_mT6_P12ihipStream_tbENKUlT_T0_E_clISt17integral_constantIbLb0EESW_IbLb1EEEEDaSS_ST_EUlSS_E_NS1_11comp_targetILNS1_3genE0ELNS1_11target_archE4294967295ELNS1_3gpuE0ELNS1_3repE0EEENS1_30default_config_static_selectorELNS0_4arch9wavefront6targetE1EEEvT1_
	.globl	_ZN7rocprim17ROCPRIM_400000_NS6detail17trampoline_kernelINS0_14default_configENS1_20scan_config_selectorIjEEZZNS1_9scan_implILNS1_25lookback_scan_determinismE0ELb0ELb0ES3_N6thrust23THRUST_200600_302600_NS6detail15normal_iteratorINS9_10device_ptrIjEEEENS9_16discard_iteratorINS9_11use_defaultEEEjNS9_4plusIvEEjEEDaPvRmT3_T4_T5_mT6_P12ihipStream_tbENKUlT_T0_E_clISt17integral_constantIbLb0EESW_IbLb1EEEEDaSS_ST_EUlSS_E_NS1_11comp_targetILNS1_3genE0ELNS1_11target_archE4294967295ELNS1_3gpuE0ELNS1_3repE0EEENS1_30default_config_static_selectorELNS0_4arch9wavefront6targetE1EEEvT1_
	.p2align	8
	.type	_ZN7rocprim17ROCPRIM_400000_NS6detail17trampoline_kernelINS0_14default_configENS1_20scan_config_selectorIjEEZZNS1_9scan_implILNS1_25lookback_scan_determinismE0ELb0ELb0ES3_N6thrust23THRUST_200600_302600_NS6detail15normal_iteratorINS9_10device_ptrIjEEEENS9_16discard_iteratorINS9_11use_defaultEEEjNS9_4plusIvEEjEEDaPvRmT3_T4_T5_mT6_P12ihipStream_tbENKUlT_T0_E_clISt17integral_constantIbLb0EESW_IbLb1EEEEDaSS_ST_EUlSS_E_NS1_11comp_targetILNS1_3genE0ELNS1_11target_archE4294967295ELNS1_3gpuE0ELNS1_3repE0EEENS1_30default_config_static_selectorELNS0_4arch9wavefront6targetE1EEEvT1_,@function
_ZN7rocprim17ROCPRIM_400000_NS6detail17trampoline_kernelINS0_14default_configENS1_20scan_config_selectorIjEEZZNS1_9scan_implILNS1_25lookback_scan_determinismE0ELb0ELb0ES3_N6thrust23THRUST_200600_302600_NS6detail15normal_iteratorINS9_10device_ptrIjEEEENS9_16discard_iteratorINS9_11use_defaultEEEjNS9_4plusIvEEjEEDaPvRmT3_T4_T5_mT6_P12ihipStream_tbENKUlT_T0_E_clISt17integral_constantIbLb0EESW_IbLb1EEEEDaSS_ST_EUlSS_E_NS1_11comp_targetILNS1_3genE0ELNS1_11target_archE4294967295ELNS1_3gpuE0ELNS1_3repE0EEENS1_30default_config_static_selectorELNS0_4arch9wavefront6targetE1EEEvT1_: ; @_ZN7rocprim17ROCPRIM_400000_NS6detail17trampoline_kernelINS0_14default_configENS1_20scan_config_selectorIjEEZZNS1_9scan_implILNS1_25lookback_scan_determinismE0ELb0ELb0ES3_N6thrust23THRUST_200600_302600_NS6detail15normal_iteratorINS9_10device_ptrIjEEEENS9_16discard_iteratorINS9_11use_defaultEEEjNS9_4plusIvEEjEEDaPvRmT3_T4_T5_mT6_P12ihipStream_tbENKUlT_T0_E_clISt17integral_constantIbLb0EESW_IbLb1EEEEDaSS_ST_EUlSS_E_NS1_11comp_targetILNS1_3genE0ELNS1_11target_archE4294967295ELNS1_3gpuE0ELNS1_3repE0EEENS1_30default_config_static_selectorELNS0_4arch9wavefront6targetE1EEEvT1_
; %bb.0:
	.section	.rodata,"a",@progbits
	.p2align	6, 0x0
	.amdhsa_kernel _ZN7rocprim17ROCPRIM_400000_NS6detail17trampoline_kernelINS0_14default_configENS1_20scan_config_selectorIjEEZZNS1_9scan_implILNS1_25lookback_scan_determinismE0ELb0ELb0ES3_N6thrust23THRUST_200600_302600_NS6detail15normal_iteratorINS9_10device_ptrIjEEEENS9_16discard_iteratorINS9_11use_defaultEEEjNS9_4plusIvEEjEEDaPvRmT3_T4_T5_mT6_P12ihipStream_tbENKUlT_T0_E_clISt17integral_constantIbLb0EESW_IbLb1EEEEDaSS_ST_EUlSS_E_NS1_11comp_targetILNS1_3genE0ELNS1_11target_archE4294967295ELNS1_3gpuE0ELNS1_3repE0EEENS1_30default_config_static_selectorELNS0_4arch9wavefront6targetE1EEEvT1_
		.amdhsa_group_segment_fixed_size 0
		.amdhsa_private_segment_fixed_size 0
		.amdhsa_kernarg_size 104
		.amdhsa_user_sgpr_count 6
		.amdhsa_user_sgpr_private_segment_buffer 1
		.amdhsa_user_sgpr_dispatch_ptr 0
		.amdhsa_user_sgpr_queue_ptr 0
		.amdhsa_user_sgpr_kernarg_segment_ptr 1
		.amdhsa_user_sgpr_dispatch_id 0
		.amdhsa_user_sgpr_flat_scratch_init 0
		.amdhsa_user_sgpr_kernarg_preload_length 0
		.amdhsa_user_sgpr_kernarg_preload_offset 0
		.amdhsa_user_sgpr_private_segment_size 0
		.amdhsa_uses_dynamic_stack 0
		.amdhsa_system_sgpr_private_segment_wavefront_offset 0
		.amdhsa_system_sgpr_workgroup_id_x 1
		.amdhsa_system_sgpr_workgroup_id_y 0
		.amdhsa_system_sgpr_workgroup_id_z 0
		.amdhsa_system_sgpr_workgroup_info 0
		.amdhsa_system_vgpr_workitem_id 0
		.amdhsa_next_free_vgpr 1
		.amdhsa_next_free_sgpr 0
		.amdhsa_accum_offset 4
		.amdhsa_reserve_vcc 0
		.amdhsa_reserve_flat_scratch 0
		.amdhsa_float_round_mode_32 0
		.amdhsa_float_round_mode_16_64 0
		.amdhsa_float_denorm_mode_32 3
		.amdhsa_float_denorm_mode_16_64 3
		.amdhsa_dx10_clamp 1
		.amdhsa_ieee_mode 1
		.amdhsa_fp16_overflow 0
		.amdhsa_tg_split 0
		.amdhsa_exception_fp_ieee_invalid_op 0
		.amdhsa_exception_fp_denorm_src 0
		.amdhsa_exception_fp_ieee_div_zero 0
		.amdhsa_exception_fp_ieee_overflow 0
		.amdhsa_exception_fp_ieee_underflow 0
		.amdhsa_exception_fp_ieee_inexact 0
		.amdhsa_exception_int_div_zero 0
	.end_amdhsa_kernel
	.section	.text._ZN7rocprim17ROCPRIM_400000_NS6detail17trampoline_kernelINS0_14default_configENS1_20scan_config_selectorIjEEZZNS1_9scan_implILNS1_25lookback_scan_determinismE0ELb0ELb0ES3_N6thrust23THRUST_200600_302600_NS6detail15normal_iteratorINS9_10device_ptrIjEEEENS9_16discard_iteratorINS9_11use_defaultEEEjNS9_4plusIvEEjEEDaPvRmT3_T4_T5_mT6_P12ihipStream_tbENKUlT_T0_E_clISt17integral_constantIbLb0EESW_IbLb1EEEEDaSS_ST_EUlSS_E_NS1_11comp_targetILNS1_3genE0ELNS1_11target_archE4294967295ELNS1_3gpuE0ELNS1_3repE0EEENS1_30default_config_static_selectorELNS0_4arch9wavefront6targetE1EEEvT1_,"axG",@progbits,_ZN7rocprim17ROCPRIM_400000_NS6detail17trampoline_kernelINS0_14default_configENS1_20scan_config_selectorIjEEZZNS1_9scan_implILNS1_25lookback_scan_determinismE0ELb0ELb0ES3_N6thrust23THRUST_200600_302600_NS6detail15normal_iteratorINS9_10device_ptrIjEEEENS9_16discard_iteratorINS9_11use_defaultEEEjNS9_4plusIvEEjEEDaPvRmT3_T4_T5_mT6_P12ihipStream_tbENKUlT_T0_E_clISt17integral_constantIbLb0EESW_IbLb1EEEEDaSS_ST_EUlSS_E_NS1_11comp_targetILNS1_3genE0ELNS1_11target_archE4294967295ELNS1_3gpuE0ELNS1_3repE0EEENS1_30default_config_static_selectorELNS0_4arch9wavefront6targetE1EEEvT1_,comdat
.Lfunc_end5348:
	.size	_ZN7rocprim17ROCPRIM_400000_NS6detail17trampoline_kernelINS0_14default_configENS1_20scan_config_selectorIjEEZZNS1_9scan_implILNS1_25lookback_scan_determinismE0ELb0ELb0ES3_N6thrust23THRUST_200600_302600_NS6detail15normal_iteratorINS9_10device_ptrIjEEEENS9_16discard_iteratorINS9_11use_defaultEEEjNS9_4plusIvEEjEEDaPvRmT3_T4_T5_mT6_P12ihipStream_tbENKUlT_T0_E_clISt17integral_constantIbLb0EESW_IbLb1EEEEDaSS_ST_EUlSS_E_NS1_11comp_targetILNS1_3genE0ELNS1_11target_archE4294967295ELNS1_3gpuE0ELNS1_3repE0EEENS1_30default_config_static_selectorELNS0_4arch9wavefront6targetE1EEEvT1_, .Lfunc_end5348-_ZN7rocprim17ROCPRIM_400000_NS6detail17trampoline_kernelINS0_14default_configENS1_20scan_config_selectorIjEEZZNS1_9scan_implILNS1_25lookback_scan_determinismE0ELb0ELb0ES3_N6thrust23THRUST_200600_302600_NS6detail15normal_iteratorINS9_10device_ptrIjEEEENS9_16discard_iteratorINS9_11use_defaultEEEjNS9_4plusIvEEjEEDaPvRmT3_T4_T5_mT6_P12ihipStream_tbENKUlT_T0_E_clISt17integral_constantIbLb0EESW_IbLb1EEEEDaSS_ST_EUlSS_E_NS1_11comp_targetILNS1_3genE0ELNS1_11target_archE4294967295ELNS1_3gpuE0ELNS1_3repE0EEENS1_30default_config_static_selectorELNS0_4arch9wavefront6targetE1EEEvT1_
                                        ; -- End function
	.section	.AMDGPU.csdata,"",@progbits
; Kernel info:
; codeLenInByte = 0
; NumSgprs: 4
; NumVgprs: 0
; NumAgprs: 0
; TotalNumVgprs: 0
; ScratchSize: 0
; MemoryBound: 0
; FloatMode: 240
; IeeeMode: 1
; LDSByteSize: 0 bytes/workgroup (compile time only)
; SGPRBlocks: 0
; VGPRBlocks: 0
; NumSGPRsForWavesPerEU: 4
; NumVGPRsForWavesPerEU: 1
; AccumOffset: 4
; Occupancy: 8
; WaveLimiterHint : 0
; COMPUTE_PGM_RSRC2:SCRATCH_EN: 0
; COMPUTE_PGM_RSRC2:USER_SGPR: 6
; COMPUTE_PGM_RSRC2:TRAP_HANDLER: 0
; COMPUTE_PGM_RSRC2:TGID_X_EN: 1
; COMPUTE_PGM_RSRC2:TGID_Y_EN: 0
; COMPUTE_PGM_RSRC2:TGID_Z_EN: 0
; COMPUTE_PGM_RSRC2:TIDIG_COMP_CNT: 0
; COMPUTE_PGM_RSRC3_GFX90A:ACCUM_OFFSET: 0
; COMPUTE_PGM_RSRC3_GFX90A:TG_SPLIT: 0
	.section	.text._ZN7rocprim17ROCPRIM_400000_NS6detail17trampoline_kernelINS0_14default_configENS1_20scan_config_selectorIjEEZZNS1_9scan_implILNS1_25lookback_scan_determinismE0ELb0ELb0ES3_N6thrust23THRUST_200600_302600_NS6detail15normal_iteratorINS9_10device_ptrIjEEEENS9_16discard_iteratorINS9_11use_defaultEEEjNS9_4plusIvEEjEEDaPvRmT3_T4_T5_mT6_P12ihipStream_tbENKUlT_T0_E_clISt17integral_constantIbLb0EESW_IbLb1EEEEDaSS_ST_EUlSS_E_NS1_11comp_targetILNS1_3genE5ELNS1_11target_archE942ELNS1_3gpuE9ELNS1_3repE0EEENS1_30default_config_static_selectorELNS0_4arch9wavefront6targetE1EEEvT1_,"axG",@progbits,_ZN7rocprim17ROCPRIM_400000_NS6detail17trampoline_kernelINS0_14default_configENS1_20scan_config_selectorIjEEZZNS1_9scan_implILNS1_25lookback_scan_determinismE0ELb0ELb0ES3_N6thrust23THRUST_200600_302600_NS6detail15normal_iteratorINS9_10device_ptrIjEEEENS9_16discard_iteratorINS9_11use_defaultEEEjNS9_4plusIvEEjEEDaPvRmT3_T4_T5_mT6_P12ihipStream_tbENKUlT_T0_E_clISt17integral_constantIbLb0EESW_IbLb1EEEEDaSS_ST_EUlSS_E_NS1_11comp_targetILNS1_3genE5ELNS1_11target_archE942ELNS1_3gpuE9ELNS1_3repE0EEENS1_30default_config_static_selectorELNS0_4arch9wavefront6targetE1EEEvT1_,comdat
	.protected	_ZN7rocprim17ROCPRIM_400000_NS6detail17trampoline_kernelINS0_14default_configENS1_20scan_config_selectorIjEEZZNS1_9scan_implILNS1_25lookback_scan_determinismE0ELb0ELb0ES3_N6thrust23THRUST_200600_302600_NS6detail15normal_iteratorINS9_10device_ptrIjEEEENS9_16discard_iteratorINS9_11use_defaultEEEjNS9_4plusIvEEjEEDaPvRmT3_T4_T5_mT6_P12ihipStream_tbENKUlT_T0_E_clISt17integral_constantIbLb0EESW_IbLb1EEEEDaSS_ST_EUlSS_E_NS1_11comp_targetILNS1_3genE5ELNS1_11target_archE942ELNS1_3gpuE9ELNS1_3repE0EEENS1_30default_config_static_selectorELNS0_4arch9wavefront6targetE1EEEvT1_ ; -- Begin function _ZN7rocprim17ROCPRIM_400000_NS6detail17trampoline_kernelINS0_14default_configENS1_20scan_config_selectorIjEEZZNS1_9scan_implILNS1_25lookback_scan_determinismE0ELb0ELb0ES3_N6thrust23THRUST_200600_302600_NS6detail15normal_iteratorINS9_10device_ptrIjEEEENS9_16discard_iteratorINS9_11use_defaultEEEjNS9_4plusIvEEjEEDaPvRmT3_T4_T5_mT6_P12ihipStream_tbENKUlT_T0_E_clISt17integral_constantIbLb0EESW_IbLb1EEEEDaSS_ST_EUlSS_E_NS1_11comp_targetILNS1_3genE5ELNS1_11target_archE942ELNS1_3gpuE9ELNS1_3repE0EEENS1_30default_config_static_selectorELNS0_4arch9wavefront6targetE1EEEvT1_
	.globl	_ZN7rocprim17ROCPRIM_400000_NS6detail17trampoline_kernelINS0_14default_configENS1_20scan_config_selectorIjEEZZNS1_9scan_implILNS1_25lookback_scan_determinismE0ELb0ELb0ES3_N6thrust23THRUST_200600_302600_NS6detail15normal_iteratorINS9_10device_ptrIjEEEENS9_16discard_iteratorINS9_11use_defaultEEEjNS9_4plusIvEEjEEDaPvRmT3_T4_T5_mT6_P12ihipStream_tbENKUlT_T0_E_clISt17integral_constantIbLb0EESW_IbLb1EEEEDaSS_ST_EUlSS_E_NS1_11comp_targetILNS1_3genE5ELNS1_11target_archE942ELNS1_3gpuE9ELNS1_3repE0EEENS1_30default_config_static_selectorELNS0_4arch9wavefront6targetE1EEEvT1_
	.p2align	8
	.type	_ZN7rocprim17ROCPRIM_400000_NS6detail17trampoline_kernelINS0_14default_configENS1_20scan_config_selectorIjEEZZNS1_9scan_implILNS1_25lookback_scan_determinismE0ELb0ELb0ES3_N6thrust23THRUST_200600_302600_NS6detail15normal_iteratorINS9_10device_ptrIjEEEENS9_16discard_iteratorINS9_11use_defaultEEEjNS9_4plusIvEEjEEDaPvRmT3_T4_T5_mT6_P12ihipStream_tbENKUlT_T0_E_clISt17integral_constantIbLb0EESW_IbLb1EEEEDaSS_ST_EUlSS_E_NS1_11comp_targetILNS1_3genE5ELNS1_11target_archE942ELNS1_3gpuE9ELNS1_3repE0EEENS1_30default_config_static_selectorELNS0_4arch9wavefront6targetE1EEEvT1_,@function
_ZN7rocprim17ROCPRIM_400000_NS6detail17trampoline_kernelINS0_14default_configENS1_20scan_config_selectorIjEEZZNS1_9scan_implILNS1_25lookback_scan_determinismE0ELb0ELb0ES3_N6thrust23THRUST_200600_302600_NS6detail15normal_iteratorINS9_10device_ptrIjEEEENS9_16discard_iteratorINS9_11use_defaultEEEjNS9_4plusIvEEjEEDaPvRmT3_T4_T5_mT6_P12ihipStream_tbENKUlT_T0_E_clISt17integral_constantIbLb0EESW_IbLb1EEEEDaSS_ST_EUlSS_E_NS1_11comp_targetILNS1_3genE5ELNS1_11target_archE942ELNS1_3gpuE9ELNS1_3repE0EEENS1_30default_config_static_selectorELNS0_4arch9wavefront6targetE1EEEvT1_: ; @_ZN7rocprim17ROCPRIM_400000_NS6detail17trampoline_kernelINS0_14default_configENS1_20scan_config_selectorIjEEZZNS1_9scan_implILNS1_25lookback_scan_determinismE0ELb0ELb0ES3_N6thrust23THRUST_200600_302600_NS6detail15normal_iteratorINS9_10device_ptrIjEEEENS9_16discard_iteratorINS9_11use_defaultEEEjNS9_4plusIvEEjEEDaPvRmT3_T4_T5_mT6_P12ihipStream_tbENKUlT_T0_E_clISt17integral_constantIbLb0EESW_IbLb1EEEEDaSS_ST_EUlSS_E_NS1_11comp_targetILNS1_3genE5ELNS1_11target_archE942ELNS1_3gpuE9ELNS1_3repE0EEENS1_30default_config_static_selectorELNS0_4arch9wavefront6targetE1EEEvT1_
; %bb.0:
	.section	.rodata,"a",@progbits
	.p2align	6, 0x0
	.amdhsa_kernel _ZN7rocprim17ROCPRIM_400000_NS6detail17trampoline_kernelINS0_14default_configENS1_20scan_config_selectorIjEEZZNS1_9scan_implILNS1_25lookback_scan_determinismE0ELb0ELb0ES3_N6thrust23THRUST_200600_302600_NS6detail15normal_iteratorINS9_10device_ptrIjEEEENS9_16discard_iteratorINS9_11use_defaultEEEjNS9_4plusIvEEjEEDaPvRmT3_T4_T5_mT6_P12ihipStream_tbENKUlT_T0_E_clISt17integral_constantIbLb0EESW_IbLb1EEEEDaSS_ST_EUlSS_E_NS1_11comp_targetILNS1_3genE5ELNS1_11target_archE942ELNS1_3gpuE9ELNS1_3repE0EEENS1_30default_config_static_selectorELNS0_4arch9wavefront6targetE1EEEvT1_
		.amdhsa_group_segment_fixed_size 0
		.amdhsa_private_segment_fixed_size 0
		.amdhsa_kernarg_size 104
		.amdhsa_user_sgpr_count 6
		.amdhsa_user_sgpr_private_segment_buffer 1
		.amdhsa_user_sgpr_dispatch_ptr 0
		.amdhsa_user_sgpr_queue_ptr 0
		.amdhsa_user_sgpr_kernarg_segment_ptr 1
		.amdhsa_user_sgpr_dispatch_id 0
		.amdhsa_user_sgpr_flat_scratch_init 0
		.amdhsa_user_sgpr_kernarg_preload_length 0
		.amdhsa_user_sgpr_kernarg_preload_offset 0
		.amdhsa_user_sgpr_private_segment_size 0
		.amdhsa_uses_dynamic_stack 0
		.amdhsa_system_sgpr_private_segment_wavefront_offset 0
		.amdhsa_system_sgpr_workgroup_id_x 1
		.amdhsa_system_sgpr_workgroup_id_y 0
		.amdhsa_system_sgpr_workgroup_id_z 0
		.amdhsa_system_sgpr_workgroup_info 0
		.amdhsa_system_vgpr_workitem_id 0
		.amdhsa_next_free_vgpr 1
		.amdhsa_next_free_sgpr 0
		.amdhsa_accum_offset 4
		.amdhsa_reserve_vcc 0
		.amdhsa_reserve_flat_scratch 0
		.amdhsa_float_round_mode_32 0
		.amdhsa_float_round_mode_16_64 0
		.amdhsa_float_denorm_mode_32 3
		.amdhsa_float_denorm_mode_16_64 3
		.amdhsa_dx10_clamp 1
		.amdhsa_ieee_mode 1
		.amdhsa_fp16_overflow 0
		.amdhsa_tg_split 0
		.amdhsa_exception_fp_ieee_invalid_op 0
		.amdhsa_exception_fp_denorm_src 0
		.amdhsa_exception_fp_ieee_div_zero 0
		.amdhsa_exception_fp_ieee_overflow 0
		.amdhsa_exception_fp_ieee_underflow 0
		.amdhsa_exception_fp_ieee_inexact 0
		.amdhsa_exception_int_div_zero 0
	.end_amdhsa_kernel
	.section	.text._ZN7rocprim17ROCPRIM_400000_NS6detail17trampoline_kernelINS0_14default_configENS1_20scan_config_selectorIjEEZZNS1_9scan_implILNS1_25lookback_scan_determinismE0ELb0ELb0ES3_N6thrust23THRUST_200600_302600_NS6detail15normal_iteratorINS9_10device_ptrIjEEEENS9_16discard_iteratorINS9_11use_defaultEEEjNS9_4plusIvEEjEEDaPvRmT3_T4_T5_mT6_P12ihipStream_tbENKUlT_T0_E_clISt17integral_constantIbLb0EESW_IbLb1EEEEDaSS_ST_EUlSS_E_NS1_11comp_targetILNS1_3genE5ELNS1_11target_archE942ELNS1_3gpuE9ELNS1_3repE0EEENS1_30default_config_static_selectorELNS0_4arch9wavefront6targetE1EEEvT1_,"axG",@progbits,_ZN7rocprim17ROCPRIM_400000_NS6detail17trampoline_kernelINS0_14default_configENS1_20scan_config_selectorIjEEZZNS1_9scan_implILNS1_25lookback_scan_determinismE0ELb0ELb0ES3_N6thrust23THRUST_200600_302600_NS6detail15normal_iteratorINS9_10device_ptrIjEEEENS9_16discard_iteratorINS9_11use_defaultEEEjNS9_4plusIvEEjEEDaPvRmT3_T4_T5_mT6_P12ihipStream_tbENKUlT_T0_E_clISt17integral_constantIbLb0EESW_IbLb1EEEEDaSS_ST_EUlSS_E_NS1_11comp_targetILNS1_3genE5ELNS1_11target_archE942ELNS1_3gpuE9ELNS1_3repE0EEENS1_30default_config_static_selectorELNS0_4arch9wavefront6targetE1EEEvT1_,comdat
.Lfunc_end5349:
	.size	_ZN7rocprim17ROCPRIM_400000_NS6detail17trampoline_kernelINS0_14default_configENS1_20scan_config_selectorIjEEZZNS1_9scan_implILNS1_25lookback_scan_determinismE0ELb0ELb0ES3_N6thrust23THRUST_200600_302600_NS6detail15normal_iteratorINS9_10device_ptrIjEEEENS9_16discard_iteratorINS9_11use_defaultEEEjNS9_4plusIvEEjEEDaPvRmT3_T4_T5_mT6_P12ihipStream_tbENKUlT_T0_E_clISt17integral_constantIbLb0EESW_IbLb1EEEEDaSS_ST_EUlSS_E_NS1_11comp_targetILNS1_3genE5ELNS1_11target_archE942ELNS1_3gpuE9ELNS1_3repE0EEENS1_30default_config_static_selectorELNS0_4arch9wavefront6targetE1EEEvT1_, .Lfunc_end5349-_ZN7rocprim17ROCPRIM_400000_NS6detail17trampoline_kernelINS0_14default_configENS1_20scan_config_selectorIjEEZZNS1_9scan_implILNS1_25lookback_scan_determinismE0ELb0ELb0ES3_N6thrust23THRUST_200600_302600_NS6detail15normal_iteratorINS9_10device_ptrIjEEEENS9_16discard_iteratorINS9_11use_defaultEEEjNS9_4plusIvEEjEEDaPvRmT3_T4_T5_mT6_P12ihipStream_tbENKUlT_T0_E_clISt17integral_constantIbLb0EESW_IbLb1EEEEDaSS_ST_EUlSS_E_NS1_11comp_targetILNS1_3genE5ELNS1_11target_archE942ELNS1_3gpuE9ELNS1_3repE0EEENS1_30default_config_static_selectorELNS0_4arch9wavefront6targetE1EEEvT1_
                                        ; -- End function
	.section	.AMDGPU.csdata,"",@progbits
; Kernel info:
; codeLenInByte = 0
; NumSgprs: 4
; NumVgprs: 0
; NumAgprs: 0
; TotalNumVgprs: 0
; ScratchSize: 0
; MemoryBound: 0
; FloatMode: 240
; IeeeMode: 1
; LDSByteSize: 0 bytes/workgroup (compile time only)
; SGPRBlocks: 0
; VGPRBlocks: 0
; NumSGPRsForWavesPerEU: 4
; NumVGPRsForWavesPerEU: 1
; AccumOffset: 4
; Occupancy: 8
; WaveLimiterHint : 0
; COMPUTE_PGM_RSRC2:SCRATCH_EN: 0
; COMPUTE_PGM_RSRC2:USER_SGPR: 6
; COMPUTE_PGM_RSRC2:TRAP_HANDLER: 0
; COMPUTE_PGM_RSRC2:TGID_X_EN: 1
; COMPUTE_PGM_RSRC2:TGID_Y_EN: 0
; COMPUTE_PGM_RSRC2:TGID_Z_EN: 0
; COMPUTE_PGM_RSRC2:TIDIG_COMP_CNT: 0
; COMPUTE_PGM_RSRC3_GFX90A:ACCUM_OFFSET: 0
; COMPUTE_PGM_RSRC3_GFX90A:TG_SPLIT: 0
	.section	.text._ZN7rocprim17ROCPRIM_400000_NS6detail17trampoline_kernelINS0_14default_configENS1_20scan_config_selectorIjEEZZNS1_9scan_implILNS1_25lookback_scan_determinismE0ELb0ELb0ES3_N6thrust23THRUST_200600_302600_NS6detail15normal_iteratorINS9_10device_ptrIjEEEENS9_16discard_iteratorINS9_11use_defaultEEEjNS9_4plusIvEEjEEDaPvRmT3_T4_T5_mT6_P12ihipStream_tbENKUlT_T0_E_clISt17integral_constantIbLb0EESW_IbLb1EEEEDaSS_ST_EUlSS_E_NS1_11comp_targetILNS1_3genE4ELNS1_11target_archE910ELNS1_3gpuE8ELNS1_3repE0EEENS1_30default_config_static_selectorELNS0_4arch9wavefront6targetE1EEEvT1_,"axG",@progbits,_ZN7rocprim17ROCPRIM_400000_NS6detail17trampoline_kernelINS0_14default_configENS1_20scan_config_selectorIjEEZZNS1_9scan_implILNS1_25lookback_scan_determinismE0ELb0ELb0ES3_N6thrust23THRUST_200600_302600_NS6detail15normal_iteratorINS9_10device_ptrIjEEEENS9_16discard_iteratorINS9_11use_defaultEEEjNS9_4plusIvEEjEEDaPvRmT3_T4_T5_mT6_P12ihipStream_tbENKUlT_T0_E_clISt17integral_constantIbLb0EESW_IbLb1EEEEDaSS_ST_EUlSS_E_NS1_11comp_targetILNS1_3genE4ELNS1_11target_archE910ELNS1_3gpuE8ELNS1_3repE0EEENS1_30default_config_static_selectorELNS0_4arch9wavefront6targetE1EEEvT1_,comdat
	.protected	_ZN7rocprim17ROCPRIM_400000_NS6detail17trampoline_kernelINS0_14default_configENS1_20scan_config_selectorIjEEZZNS1_9scan_implILNS1_25lookback_scan_determinismE0ELb0ELb0ES3_N6thrust23THRUST_200600_302600_NS6detail15normal_iteratorINS9_10device_ptrIjEEEENS9_16discard_iteratorINS9_11use_defaultEEEjNS9_4plusIvEEjEEDaPvRmT3_T4_T5_mT6_P12ihipStream_tbENKUlT_T0_E_clISt17integral_constantIbLb0EESW_IbLb1EEEEDaSS_ST_EUlSS_E_NS1_11comp_targetILNS1_3genE4ELNS1_11target_archE910ELNS1_3gpuE8ELNS1_3repE0EEENS1_30default_config_static_selectorELNS0_4arch9wavefront6targetE1EEEvT1_ ; -- Begin function _ZN7rocprim17ROCPRIM_400000_NS6detail17trampoline_kernelINS0_14default_configENS1_20scan_config_selectorIjEEZZNS1_9scan_implILNS1_25lookback_scan_determinismE0ELb0ELb0ES3_N6thrust23THRUST_200600_302600_NS6detail15normal_iteratorINS9_10device_ptrIjEEEENS9_16discard_iteratorINS9_11use_defaultEEEjNS9_4plusIvEEjEEDaPvRmT3_T4_T5_mT6_P12ihipStream_tbENKUlT_T0_E_clISt17integral_constantIbLb0EESW_IbLb1EEEEDaSS_ST_EUlSS_E_NS1_11comp_targetILNS1_3genE4ELNS1_11target_archE910ELNS1_3gpuE8ELNS1_3repE0EEENS1_30default_config_static_selectorELNS0_4arch9wavefront6targetE1EEEvT1_
	.globl	_ZN7rocprim17ROCPRIM_400000_NS6detail17trampoline_kernelINS0_14default_configENS1_20scan_config_selectorIjEEZZNS1_9scan_implILNS1_25lookback_scan_determinismE0ELb0ELb0ES3_N6thrust23THRUST_200600_302600_NS6detail15normal_iteratorINS9_10device_ptrIjEEEENS9_16discard_iteratorINS9_11use_defaultEEEjNS9_4plusIvEEjEEDaPvRmT3_T4_T5_mT6_P12ihipStream_tbENKUlT_T0_E_clISt17integral_constantIbLb0EESW_IbLb1EEEEDaSS_ST_EUlSS_E_NS1_11comp_targetILNS1_3genE4ELNS1_11target_archE910ELNS1_3gpuE8ELNS1_3repE0EEENS1_30default_config_static_selectorELNS0_4arch9wavefront6targetE1EEEvT1_
	.p2align	8
	.type	_ZN7rocprim17ROCPRIM_400000_NS6detail17trampoline_kernelINS0_14default_configENS1_20scan_config_selectorIjEEZZNS1_9scan_implILNS1_25lookback_scan_determinismE0ELb0ELb0ES3_N6thrust23THRUST_200600_302600_NS6detail15normal_iteratorINS9_10device_ptrIjEEEENS9_16discard_iteratorINS9_11use_defaultEEEjNS9_4plusIvEEjEEDaPvRmT3_T4_T5_mT6_P12ihipStream_tbENKUlT_T0_E_clISt17integral_constantIbLb0EESW_IbLb1EEEEDaSS_ST_EUlSS_E_NS1_11comp_targetILNS1_3genE4ELNS1_11target_archE910ELNS1_3gpuE8ELNS1_3repE0EEENS1_30default_config_static_selectorELNS0_4arch9wavefront6targetE1EEEvT1_,@function
_ZN7rocprim17ROCPRIM_400000_NS6detail17trampoline_kernelINS0_14default_configENS1_20scan_config_selectorIjEEZZNS1_9scan_implILNS1_25lookback_scan_determinismE0ELb0ELb0ES3_N6thrust23THRUST_200600_302600_NS6detail15normal_iteratorINS9_10device_ptrIjEEEENS9_16discard_iteratorINS9_11use_defaultEEEjNS9_4plusIvEEjEEDaPvRmT3_T4_T5_mT6_P12ihipStream_tbENKUlT_T0_E_clISt17integral_constantIbLb0EESW_IbLb1EEEEDaSS_ST_EUlSS_E_NS1_11comp_targetILNS1_3genE4ELNS1_11target_archE910ELNS1_3gpuE8ELNS1_3repE0EEENS1_30default_config_static_selectorELNS0_4arch9wavefront6targetE1EEEvT1_: ; @_ZN7rocprim17ROCPRIM_400000_NS6detail17trampoline_kernelINS0_14default_configENS1_20scan_config_selectorIjEEZZNS1_9scan_implILNS1_25lookback_scan_determinismE0ELb0ELb0ES3_N6thrust23THRUST_200600_302600_NS6detail15normal_iteratorINS9_10device_ptrIjEEEENS9_16discard_iteratorINS9_11use_defaultEEEjNS9_4plusIvEEjEEDaPvRmT3_T4_T5_mT6_P12ihipStream_tbENKUlT_T0_E_clISt17integral_constantIbLb0EESW_IbLb1EEEEDaSS_ST_EUlSS_E_NS1_11comp_targetILNS1_3genE4ELNS1_11target_archE910ELNS1_3gpuE8ELNS1_3repE0EEENS1_30default_config_static_selectorELNS0_4arch9wavefront6targetE1EEEvT1_
; %bb.0:
	s_load_dwordx2 s[20:21], s[4:5], 0x20
	s_load_dwordx2 s[6:7], s[4:5], 0x30
	v_cmp_ne_u32_e64 s[0:1], 0, v0
	v_cmp_eq_u32_e64 s[2:3], 0, v0
	s_and_saveexec_b64 s[8:9], s[2:3]
	s_cbranch_execz .LBB5350_4
; %bb.1:
	s_mov_b64 s[12:13], exec
	v_mbcnt_lo_u32_b32 v1, s12, 0
	v_mbcnt_hi_u32_b32 v1, s13, v1
	v_cmp_eq_u32_e32 vcc, 0, v1
                                        ; implicit-def: $vgpr2
	s_and_saveexec_b64 s[10:11], vcc
	s_cbranch_execz .LBB5350_3
; %bb.2:
	s_load_dwordx2 s[14:15], s[4:5], 0x60
	s_bcnt1_i32_b64 s12, s[12:13]
	v_mov_b32_e32 v2, 0
	v_mov_b32_e32 v3, s12
	s_waitcnt lgkmcnt(0)
	global_atomic_add v2, v2, v3, s[14:15] glc
.LBB5350_3:
	s_or_b64 exec, exec, s[10:11]
	s_waitcnt vmcnt(0)
	v_readfirstlane_b32 s10, v2
	v_add_u32_e32 v1, s10, v1
	v_mov_b32_e32 v2, 0
	ds_write_b32 v2, v1
.LBB5350_4:
	s_or_b64 exec, exec, s[8:9]
	v_mov_b32_e32 v3, 0
	s_load_dwordx4 s[16:19], s[4:5], 0x0
	s_load_dword s22, s[4:5], 0x38
	s_load_dwordx8 s[8:15], s[4:5], 0x40
	s_waitcnt lgkmcnt(0)
	s_barrier
	ds_read_b32 v1, v3
	s_lshl_b64 s[4:5], s[18:19], 2
	s_add_u32 s4, s16, s4
	s_movk_i32 s16, 0x500
	s_addc_u32 s5, s17, s5
	s_waitcnt lgkmcnt(0)
	v_mul_lo_u32 v2, v1, s16
	s_add_i32 s16, s22, -1
	s_mul_i32 s17, s16, 0x500
	s_sub_u32 s24, s20, s17
	v_readfirstlane_b32 s26, v1
	s_subb_u32 s25, s21, 0
	v_lshlrev_b64 v[2:3], 2, v[2:3]
	s_cmp_lg_u32 s26, s16
	v_mov_b32_e32 v1, s5
	v_add_co_u32_e32 v12, vcc, s4, v2
	s_cselect_b64 s[16:17], -1, 0
	v_addc_co_u32_e32 v13, vcc, v1, v3, vcc
	s_mov_b64 s[4:5], -1
	s_and_b64 vcc, exec, s[16:17]
	s_barrier
	s_cbranch_vccz .LBB5350_6
; %bb.5:
	v_lshlrev_b32_e32 v1, 2, v0
	v_add_co_u32_e32 v2, vcc, v12, v1
	v_addc_co_u32_e32 v3, vcc, 0, v13, vcc
	flat_load_dword v4, v[2:3]
	flat_load_dword v5, v[2:3] offset:512
	flat_load_dword v6, v[2:3] offset:1024
	flat_load_dword v7, v[2:3] offset:1536
	flat_load_dword v8, v[2:3] offset:2048
	flat_load_dword v9, v[2:3] offset:2560
	flat_load_dword v10, v[2:3] offset:3072
	flat_load_dword v11, v[2:3] offset:3584
	v_add_co_u32_e32 v2, vcc, 0x1000, v2
	v_addc_co_u32_e32 v3, vcc, 0, v3, vcc
	flat_load_dword v14, v[2:3]
	flat_load_dword v15, v[2:3] offset:512
	s_mov_b64 s[4:5], 0
	s_waitcnt vmcnt(0) lgkmcnt(0)
	ds_write2st64_b32 v1, v4, v5 offset1:2
	ds_write2st64_b32 v1, v6, v7 offset0:4 offset1:6
	ds_write2st64_b32 v1, v8, v9 offset0:8 offset1:10
	ds_write2st64_b32 v1, v10, v11 offset0:12 offset1:14
	ds_write2st64_b32 v1, v14, v15 offset0:16 offset1:18
	s_waitcnt lgkmcnt(0)
	s_barrier
.LBB5350_6:
	s_andn2_b64 vcc, exec, s[4:5]
	s_cbranch_vccnz .LBB5350_28
; %bb.7:
	flat_load_dword v1, v[12:13]
	v_cmp_gt_u32_e32 vcc, s24, v0
	s_waitcnt vmcnt(0) lgkmcnt(0)
	v_mov_b32_e32 v2, v1
	v_mov_b32_e32 v3, v1
	;; [unrolled: 1-line block ×9, first 2 shown]
	s_and_saveexec_b64 s[4:5], vcc
	s_cbranch_execz .LBB5350_9
; %bb.8:
	v_lshlrev_b32_e32 v10, 2, v0
	v_add_co_u32_e32 v10, vcc, v12, v10
	v_addc_co_u32_e32 v11, vcc, 0, v13, vcc
	flat_load_dword v10, v[10:11]
.LBB5350_9:
	s_or_b64 exec, exec, s[4:5]
	v_or_b32_e32 v11, 0x80, v0
	v_cmp_gt_u32_e32 vcc, s24, v11
	s_and_saveexec_b64 s[4:5], vcc
	s_cbranch_execz .LBB5350_11
; %bb.10:
	v_lshlrev_b32_e32 v1, 2, v0
	v_add_co_u32_e32 v14, vcc, v12, v1
	v_addc_co_u32_e32 v15, vcc, 0, v13, vcc
	flat_load_dword v1, v[14:15] offset:512
.LBB5350_11:
	s_or_b64 exec, exec, s[4:5]
	v_or_b32_e32 v11, 0x100, v0
	v_cmp_gt_u32_e32 vcc, s24, v11
	s_and_saveexec_b64 s[4:5], vcc
	s_cbranch_execz .LBB5350_13
; %bb.12:
	v_lshlrev_b32_e32 v2, 2, v0
	v_add_co_u32_e32 v14, vcc, v12, v2
	v_addc_co_u32_e32 v15, vcc, 0, v13, vcc
	flat_load_dword v2, v[14:15] offset:1024
.LBB5350_13:
	;; [unrolled: 11-line block ×7, first 2 shown]
	s_or_b64 exec, exec, s[4:5]
	v_or_b32_e32 v11, 0x400, v0
	v_cmp_gt_u32_e32 vcc, s24, v11
	s_and_saveexec_b64 s[4:5], vcc
	s_cbranch_execz .LBB5350_25
; %bb.24:
	v_lshlrev_b32_e32 v8, 2, v11
	v_add_co_u32_e32 v14, vcc, v12, v8
	v_addc_co_u32_e32 v15, vcc, 0, v13, vcc
	flat_load_dword v8, v[14:15]
.LBB5350_25:
	s_or_b64 exec, exec, s[4:5]
	v_or_b32_e32 v11, 0x480, v0
	v_cmp_gt_u32_e32 vcc, s24, v11
	s_and_saveexec_b64 s[4:5], vcc
	s_cbranch_execz .LBB5350_27
; %bb.26:
	v_lshlrev_b32_e32 v9, 2, v11
	v_add_co_u32_e32 v12, vcc, v12, v9
	v_addc_co_u32_e32 v13, vcc, 0, v13, vcc
	flat_load_dword v9, v[12:13]
.LBB5350_27:
	s_or_b64 exec, exec, s[4:5]
	v_lshlrev_b32_e32 v11, 2, v0
	s_waitcnt vmcnt(0) lgkmcnt(0)
	ds_write2st64_b32 v11, v10, v1 offset1:2
	ds_write2st64_b32 v11, v2, v3 offset0:4 offset1:6
	ds_write2st64_b32 v11, v4, v5 offset0:8 offset1:10
	;; [unrolled: 1-line block ×4, first 2 shown]
	s_waitcnt lgkmcnt(0)
	s_barrier
.LBB5350_28:
	v_mul_u32_u24_e32 v22, 10, v0
	v_lshlrev_b32_e32 v1, 2, v22
	ds_read2_b64 v[2:5], v1 offset1:1
	ds_read2_b64 v[16:19], v1 offset0:2 offset1:3
	ds_read_b64 v[20:21], v1 offset:32
	s_cmp_lg_u32 s26, 0
	v_lshrrev_b32_e32 v23, 5, v0
	v_cmp_gt_u32_e32 vcc, 64, v0
	s_waitcnt lgkmcnt(0)
	s_barrier
	s_cbranch_scc0 .LBB5350_53
; %bb.29:
	v_add_u32_e32 v6, v3, v2
	v_add3_u32 v6, v6, v4, v5
	v_add3_u32 v6, v6, v16, v17
	;; [unrolled: 1-line block ×4, first 2 shown]
	v_add_lshl_u32 v7, v23, v0, 2
	ds_write_b32 v7, v6
	s_waitcnt lgkmcnt(0)
	s_barrier
	s_and_saveexec_b64 s[18:19], vcc
	s_cbranch_execz .LBB5350_31
; %bb.30:
	v_lshlrev_b32_e32 v7, 1, v0
	v_lshrrev_b32_e32 v8, 4, v0
	v_add_lshl_u32 v7, v8, v7, 2
	ds_read2_b32 v[8:9], v7 offset1:1
	v_mbcnt_lo_u32_b32 v10, -1, 0
	v_mbcnt_hi_u32_b32 v10, -1, v10
	v_and_b32_e32 v11, 15, v10
	v_cmp_ne_u32_e64 s[4:5], 0, v11
	s_waitcnt lgkmcnt(0)
	v_add_u32_e32 v9, v9, v8
	; wave barrier
	s_nop 1
	v_mov_b32_dpp v12, v9 row_shr:1 row_mask:0xf bank_mask:0xf
	v_cndmask_b32_e64 v12, 0, v12, s[4:5]
	v_add_u32_e32 v9, v12, v9
	v_cmp_lt_u32_e64 s[4:5], 1, v11
	s_nop 0
	v_mov_b32_dpp v12, v9 row_shr:2 row_mask:0xf bank_mask:0xf
	v_cndmask_b32_e64 v12, 0, v12, s[4:5]
	v_add_u32_e32 v9, v9, v12
	v_cmp_lt_u32_e64 s[4:5], 3, v11
	s_nop 0
	v_mov_b32_dpp v12, v9 row_shr:4 row_mask:0xf bank_mask:0xf
	v_cndmask_b32_e64 v12, 0, v12, s[4:5]
	v_add_u32_e32 v9, v9, v12
	v_cmp_lt_u32_e64 s[4:5], 7, v11
	s_nop 0
	v_mov_b32_dpp v12, v9 row_shr:8 row_mask:0xf bank_mask:0xf
	v_cndmask_b32_e64 v11, 0, v12, s[4:5]
	v_add_u32_e32 v9, v9, v11
	v_bfe_i32 v12, v10, 4, 1
	v_cmp_lt_u32_e64 s[4:5], 31, v10
	v_mov_b32_dpp v11, v9 row_bcast:15 row_mask:0xf bank_mask:0xf
	v_and_b32_e32 v11, v12, v11
	v_add_u32_e32 v9, v9, v11
	v_and_b32_e32 v12, 64, v10
	s_nop 0
	v_mov_b32_dpp v11, v9 row_bcast:31 row_mask:0xf bank_mask:0xf
	v_cndmask_b32_e64 v11, 0, v11, s[4:5]
	v_add_u32_e32 v9, v9, v11
	v_add_u32_e32 v11, -1, v10
	v_cmp_lt_i32_e64 s[4:5], v11, v12
	v_cndmask_b32_e64 v10, v11, v10, s[4:5]
	v_lshlrev_b32_e32 v10, 2, v10
	ds_bpermute_b32 v9, v10, v9
	s_waitcnt lgkmcnt(0)
	v_add_u32_e32 v8, v9, v8
	v_cndmask_b32_e64 v6, v8, v6, s[2:3]
	ds_write_b32 v7, v6
	; wave barrier
	ds_read_b32 v8, v7 offset:4
	s_waitcnt lgkmcnt(0)
	v_add_u32_e32 v6, v8, v6
	ds_write_b32 v7, v6 offset:4
.LBB5350_31:
	s_or_b64 exec, exec, s[18:19]
	v_mov_b32_e32 v24, 0
	s_waitcnt lgkmcnt(0)
	s_barrier
	s_and_saveexec_b64 s[4:5], s[0:1]
	s_cbranch_execz .LBB5350_33
; %bb.32:
	v_add_u32_e32 v6, -1, v0
	v_lshrrev_b32_e32 v7, 5, v6
	v_add_lshl_u32 v6, v7, v6, 2
	ds_read_b32 v24, v6
.LBB5350_33:
	s_or_b64 exec, exec, s[4:5]
	s_and_saveexec_b64 s[18:19], vcc
	s_cbranch_execz .LBB5350_52
; %bb.34:
	v_mov_b32_e32 v13, 0
	ds_read_b32 v6, v13 offset:520
	v_mbcnt_lo_u32_b32 v7, -1, 0
	v_mbcnt_hi_u32_b32 v9, -1, v7
	s_mov_b32 s23, 0
	v_cmp_eq_u32_e64 s[4:5], 0, v9
	s_and_saveexec_b64 s[20:21], s[4:5]
	s_cbranch_execz .LBB5350_36
; %bb.35:
	s_add_i32 s22, s26, 64
	s_lshl_b64 s[22:23], s[22:23], 3
	s_add_u32 s22, s6, s22
	v_mov_b32_e32 v7, 1
	s_addc_u32 s23, s7, s23
	s_waitcnt lgkmcnt(0)
	global_store_dwordx2 v13, v[6:7], s[22:23]
.LBB5350_36:
	s_or_b64 exec, exec, s[20:21]
	v_xad_u32 v8, v9, -1, s26
	v_add_u32_e32 v12, 64, v8
	v_lshlrev_b64 v[10:11], 3, v[12:13]
	v_mov_b32_e32 v7, s7
	v_add_co_u32_e32 v14, vcc, s6, v10
	v_addc_co_u32_e32 v15, vcc, v7, v11, vcc
	global_load_dwordx2 v[10:11], v[14:15], off glc
	s_waitcnt vmcnt(0)
	v_cmp_eq_u16_sdwa s[22:23], v11, v13 src0_sel:BYTE_0 src1_sel:DWORD
	s_and_saveexec_b64 s[20:21], s[22:23]
	s_cbranch_execz .LBB5350_40
; %bb.37:
	s_mov_b64 s[22:23], 0
	v_mov_b32_e32 v7, 0
.LBB5350_38:                            ; =>This Inner Loop Header: Depth=1
	global_load_dwordx2 v[10:11], v[14:15], off glc
	s_waitcnt vmcnt(0)
	v_cmp_ne_u16_sdwa s[28:29], v11, v7 src0_sel:BYTE_0 src1_sel:DWORD
	s_or_b64 s[22:23], s[28:29], s[22:23]
	s_andn2_b64 exec, exec, s[22:23]
	s_cbranch_execnz .LBB5350_38
; %bb.39:
	s_or_b64 exec, exec, s[22:23]
.LBB5350_40:
	s_or_b64 exec, exec, s[20:21]
	v_and_b32_e32 v25, 63, v9
	v_mov_b32_e32 v7, 2
	v_cmp_ne_u32_e32 vcc, 63, v25
	v_cmp_eq_u16_sdwa s[20:21], v11, v7 src0_sel:BYTE_0 src1_sel:DWORD
	v_lshlrev_b64 v[12:13], v9, -1
	v_addc_co_u32_e32 v26, vcc, 0, v9, vcc
	v_and_b32_e32 v14, s21, v13
	v_lshlrev_b32_e32 v26, 2, v26
	v_or_b32_e32 v14, 0x80000000, v14
	ds_bpermute_b32 v27, v26, v10
	v_and_b32_e32 v15, s20, v12
	v_ffbl_b32_e32 v14, v14
	v_add_u32_e32 v14, 32, v14
	v_ffbl_b32_e32 v15, v15
	v_min_u32_e32 v14, v15, v14
	v_cmp_lt_u32_e32 vcc, v25, v14
	s_waitcnt lgkmcnt(0)
	v_cndmask_b32_e32 v15, 0, v27, vcc
	v_cmp_gt_u32_e32 vcc, 62, v25
	v_add_u32_e32 v10, v15, v10
	v_cndmask_b32_e64 v15, 0, 1, vcc
	v_lshlrev_b32_e32 v15, 1, v15
	v_add_lshl_u32 v27, v15, v9, 2
	ds_bpermute_b32 v15, v27, v10
	v_add_u32_e32 v28, 2, v25
	v_cmp_le_u32_e32 vcc, v28, v14
	v_add_u32_e32 v30, 4, v25
	v_add_u32_e32 v32, 8, v25
	s_waitcnt lgkmcnt(0)
	v_cndmask_b32_e32 v15, 0, v15, vcc
	v_cmp_gt_u32_e32 vcc, 60, v25
	v_add_u32_e32 v10, v10, v15
	v_cndmask_b32_e64 v15, 0, 1, vcc
	v_lshlrev_b32_e32 v15, 2, v15
	v_add_lshl_u32 v29, v15, v9, 2
	ds_bpermute_b32 v15, v29, v10
	v_cmp_le_u32_e32 vcc, v30, v14
	v_add_u32_e32 v35, 16, v25
	v_add_u32_e32 v37, 32, v25
	s_waitcnt lgkmcnt(0)
	v_cndmask_b32_e32 v15, 0, v15, vcc
	v_cmp_gt_u32_e32 vcc, 56, v25
	v_add_u32_e32 v10, v10, v15
	v_cndmask_b32_e64 v15, 0, 1, vcc
	v_lshlrev_b32_e32 v15, 3, v15
	v_add_lshl_u32 v31, v15, v9, 2
	ds_bpermute_b32 v15, v31, v10
	v_cmp_le_u32_e32 vcc, v32, v14
	s_waitcnt lgkmcnt(0)
	v_cndmask_b32_e32 v15, 0, v15, vcc
	v_cmp_gt_u32_e32 vcc, 48, v25
	v_add_u32_e32 v10, v10, v15
	v_cndmask_b32_e64 v15, 0, 1, vcc
	v_lshlrev_b32_e32 v15, 4, v15
	v_add_lshl_u32 v34, v15, v9, 2
	ds_bpermute_b32 v15, v34, v10
	v_cmp_le_u32_e32 vcc, v35, v14
	s_waitcnt lgkmcnt(0)
	v_cndmask_b32_e32 v15, 0, v15, vcc
	v_cmp_gt_u32_e32 vcc, 32, v25
	v_add_u32_e32 v10, v10, v15
	v_cndmask_b32_e64 v15, 0, 1, vcc
	v_lshlrev_b32_e32 v15, 5, v15
	v_add_lshl_u32 v36, v15, v9, 2
	ds_bpermute_b32 v9, v36, v10
	v_cmp_le_u32_e32 vcc, v37, v14
	s_waitcnt lgkmcnt(0)
	v_cndmask_b32_e32 v9, 0, v9, vcc
	v_add_u32_e32 v10, v10, v9
	v_mov_b32_e32 v9, 0
	s_branch .LBB5350_42
.LBB5350_41:                            ;   in Loop: Header=BB5350_42 Depth=1
	s_or_b64 exec, exec, s[20:21]
	v_cmp_eq_u16_sdwa s[20:21], v11, v7 src0_sel:BYTE_0 src1_sel:DWORD
	v_and_b32_e32 v14, s21, v13
	v_or_b32_e32 v14, 0x80000000, v14
	ds_bpermute_b32 v38, v26, v10
	v_and_b32_e32 v15, s20, v12
	v_ffbl_b32_e32 v14, v14
	v_add_u32_e32 v14, 32, v14
	v_ffbl_b32_e32 v15, v15
	v_min_u32_e32 v14, v15, v14
	v_cmp_lt_u32_e32 vcc, v25, v14
	s_waitcnt lgkmcnt(0)
	v_cndmask_b32_e32 v15, 0, v38, vcc
	v_add_u32_e32 v10, v15, v10
	ds_bpermute_b32 v15, v27, v10
	v_cmp_le_u32_e32 vcc, v28, v14
	v_subrev_u32_e32 v8, 64, v8
	s_waitcnt lgkmcnt(0)
	v_cndmask_b32_e32 v15, 0, v15, vcc
	v_add_u32_e32 v10, v10, v15
	ds_bpermute_b32 v15, v29, v10
	v_cmp_le_u32_e32 vcc, v30, v14
	s_waitcnt lgkmcnt(0)
	v_cndmask_b32_e32 v15, 0, v15, vcc
	v_add_u32_e32 v10, v10, v15
	ds_bpermute_b32 v15, v31, v10
	v_cmp_le_u32_e32 vcc, v32, v14
	;; [unrolled: 5-line block ×4, first 2 shown]
	s_waitcnt lgkmcnt(0)
	v_cndmask_b32_e32 v14, 0, v15, vcc
	v_add3_u32 v10, v14, v33, v10
.LBB5350_42:                            ; =>This Loop Header: Depth=1
                                        ;     Child Loop BB5350_45 Depth 2
	v_cmp_ne_u16_sdwa s[20:21], v11, v7 src0_sel:BYTE_0 src1_sel:DWORD
	v_cndmask_b32_e64 v11, 0, 1, s[20:21]
	;;#ASMSTART
	;;#ASMEND
	v_cmp_ne_u32_e32 vcc, 0, v11
	s_cmp_lg_u64 vcc, exec
	v_mov_b32_e32 v33, v10
	s_cbranch_scc1 .LBB5350_47
; %bb.43:                               ;   in Loop: Header=BB5350_42 Depth=1
	v_lshlrev_b64 v[10:11], 3, v[8:9]
	v_mov_b32_e32 v15, s7
	v_add_co_u32_e32 v14, vcc, s6, v10
	v_addc_co_u32_e32 v15, vcc, v15, v11, vcc
	global_load_dwordx2 v[10:11], v[14:15], off glc
	s_waitcnt vmcnt(0)
	v_cmp_eq_u16_sdwa s[22:23], v11, v9 src0_sel:BYTE_0 src1_sel:DWORD
	s_and_saveexec_b64 s[20:21], s[22:23]
	s_cbranch_execz .LBB5350_41
; %bb.44:                               ;   in Loop: Header=BB5350_42 Depth=1
	s_mov_b64 s[22:23], 0
.LBB5350_45:                            ;   Parent Loop BB5350_42 Depth=1
                                        ; =>  This Inner Loop Header: Depth=2
	global_load_dwordx2 v[10:11], v[14:15], off glc
	s_waitcnt vmcnt(0)
	v_cmp_ne_u16_sdwa s[28:29], v11, v9 src0_sel:BYTE_0 src1_sel:DWORD
	s_or_b64 s[22:23], s[28:29], s[22:23]
	s_andn2_b64 exec, exec, s[22:23]
	s_cbranch_execnz .LBB5350_45
; %bb.46:                               ;   in Loop: Header=BB5350_42 Depth=1
	s_or_b64 exec, exec, s[22:23]
	s_branch .LBB5350_41
.LBB5350_47:                            ;   in Loop: Header=BB5350_42 Depth=1
                                        ; implicit-def: $vgpr10
                                        ; implicit-def: $vgpr11
	s_cbranch_execz .LBB5350_42
; %bb.48:
	s_and_saveexec_b64 s[20:21], s[4:5]
	s_cbranch_execz .LBB5350_50
; %bb.49:
	s_add_i32 s4, s26, 64
	s_mov_b32 s5, 0
	s_lshl_b64 s[4:5], s[4:5], 3
	s_add_u32 s4, s6, s4
	v_add_u32_e32 v6, v33, v6
	v_mov_b32_e32 v7, 2
	s_addc_u32 s5, s7, s5
	v_mov_b32_e32 v8, 0
	global_store_dwordx2 v8, v[6:7], s[4:5]
.LBB5350_50:
	s_or_b64 exec, exec, s[20:21]
	s_and_b64 exec, exec, s[2:3]
	s_cbranch_execz .LBB5350_52
; %bb.51:
	v_mov_b32_e32 v6, 0
	ds_write_b32 v6, v33
.LBB5350_52:
	s_or_b64 exec, exec, s[18:19]
	v_mov_b32_e32 v6, 0
	s_waitcnt lgkmcnt(0)
	s_barrier
	ds_read_b32 v6, v6
	s_waitcnt lgkmcnt(0)
	v_add3_u32 v6, v24, v2, v6
	v_add_u32_e32 v7, v6, v3
	v_add_u32_e32 v8, v7, v4
	;; [unrolled: 1-line block ×9, first 2 shown]
	s_branch .LBB5350_65
.LBB5350_53:
                                        ; implicit-def: $vgpr6_vgpr7_vgpr8_vgpr9_vgpr10_vgpr11_vgpr12_vgpr13_vgpr14_vgpr15
	s_cbranch_execz .LBB5350_65
; %bb.54:
	s_cmp_lg_u64 s[12:13], 0
	s_cselect_b64 s[4:5], -1, 0
	s_and_b64 s[12:13], s[2:3], s[4:5]
	v_mov_b32_e32 v12, v3
	v_mov_b32_e32 v13, v4
	;; [unrolled: 1-line block ×3, first 2 shown]
	s_and_saveexec_b64 s[4:5], s[12:13]
	s_cbranch_execz .LBB5350_56
; %bb.55:
	v_mov_b32_e32 v6, 0
	global_load_dword v6, v6, s[8:9]
	v_mov_b32_e32 v12, v3
	v_mov_b32_e32 v13, v4
	;; [unrolled: 1-line block ×3, first 2 shown]
	s_waitcnt vmcnt(0)
	v_add_u32_e32 v2, v6, v2
.LBB5350_56:
	s_or_b64 exec, exec, s[4:5]
	v_add_u32_e32 v3, v12, v2
	v_add_u32_e32 v4, v3, v13
	;; [unrolled: 1-line block ×9, first 2 shown]
	v_add_lshl_u32 v15, v23, v0, 2
	v_cmp_gt_u32_e32 vcc, 64, v0
	ds_write_b32 v15, v11
	s_waitcnt lgkmcnt(0)
	s_barrier
	s_and_saveexec_b64 s[4:5], vcc
	s_cbranch_execz .LBB5350_58
; %bb.57:
	v_lshlrev_b32_e32 v15, 1, v0
	v_lshrrev_b32_e32 v23, 4, v0
	v_add_lshl_u32 v15, v23, v15, 2
	ds_read2_b32 v[24:25], v15 offset1:1
	v_mbcnt_lo_u32_b32 v23, -1, 0
	v_mbcnt_hi_u32_b32 v23, -1, v23
	v_and_b32_e32 v26, 15, v23
	v_cmp_ne_u32_e32 vcc, 0, v26
	s_waitcnt lgkmcnt(0)
	v_add_u32_e32 v25, v25, v24
	; wave barrier
	s_nop 1
	v_mov_b32_dpp v27, v25 row_shr:1 row_mask:0xf bank_mask:0xf
	v_cndmask_b32_e32 v27, 0, v27, vcc
	v_add_u32_e32 v25, v27, v25
	v_cmp_lt_u32_e32 vcc, 1, v26
	s_nop 0
	v_mov_b32_dpp v27, v25 row_shr:2 row_mask:0xf bank_mask:0xf
	v_cndmask_b32_e32 v27, 0, v27, vcc
	v_add_u32_e32 v25, v25, v27
	v_cmp_lt_u32_e32 vcc, 3, v26
	;; [unrolled: 5-line block ×3, first 2 shown]
	s_nop 0
	v_mov_b32_dpp v27, v25 row_shr:8 row_mask:0xf bank_mask:0xf
	v_cndmask_b32_e32 v26, 0, v27, vcc
	v_add_u32_e32 v25, v25, v26
	v_bfe_i32 v27, v23, 4, 1
	v_cmp_lt_u32_e32 vcc, 31, v23
	v_mov_b32_dpp v26, v25 row_bcast:15 row_mask:0xf bank_mask:0xf
	v_and_b32_e32 v26, v27, v26
	v_add_u32_e32 v25, v25, v26
	v_and_b32_e32 v27, 64, v23
	s_nop 0
	v_mov_b32_dpp v26, v25 row_bcast:31 row_mask:0xf bank_mask:0xf
	v_cndmask_b32_e32 v26, 0, v26, vcc
	v_add_u32_e32 v25, v25, v26
	v_add_u32_e32 v26, -1, v23
	v_cmp_lt_i32_e32 vcc, v26, v27
	v_cndmask_b32_e32 v23, v26, v23, vcc
	v_lshlrev_b32_e32 v23, 2, v23
	ds_bpermute_b32 v23, v23, v25
	s_waitcnt lgkmcnt(0)
	v_add_u32_e32 v23, v23, v24
	v_cndmask_b32_e64 v23, v23, v11, s[2:3]
	ds_write_b32 v15, v23
	; wave barrier
	ds_read_b32 v24, v15 offset:4
	s_waitcnt lgkmcnt(0)
	v_add_u32_e32 v23, v24, v23
	ds_write_b32 v15, v23 offset:4
.LBB5350_58:
	s_or_b64 exec, exec, s[4:5]
	v_mov_b32_e32 v15, v11
	s_waitcnt lgkmcnt(0)
	s_barrier
	s_and_saveexec_b64 s[2:3], s[0:1]
	s_cbranch_execz .LBB5350_60
; %bb.59:
	v_add_u32_e32 v15, -1, v0
	v_lshrrev_b32_e32 v23, 5, v15
	v_add_lshl_u32 v15, v23, v15, 2
	ds_read_b32 v15, v15
.LBB5350_60:
	s_or_b64 exec, exec, s[2:3]
	s_and_saveexec_b64 s[2:3], s[0:1]
	s_cbranch_execz .LBB5350_62
; %bb.61:
	s_waitcnt lgkmcnt(0)
	v_add_u32_e32 v2, v15, v2
	v_add_u32_e32 v3, v2, v12
	;; [unrolled: 1-line block ×10, first 2 shown]
	;;#ASMSTART
	;;#ASMEND
.LBB5350_62:
	s_or_b64 exec, exec, s[2:3]
	s_movk_i32 s0, 0x7f
	v_cmp_eq_u32_e32 vcc, s0, v0
	s_and_saveexec_b64 s[0:1], vcc
	s_cbranch_execz .LBB5350_64
; %bb.63:
	v_mov_b32_e32 v14, 0
	v_mov_b32_e32 v13, 2
	;; [unrolled: 1-line block ×3, first 2 shown]
	global_store_dwordx2 v14, v[12:13], s[6:7] offset:512
.LBB5350_64:
	s_or_b64 exec, exec, s[0:1]
	s_waitcnt lgkmcnt(0)
	v_pk_mov_b32 v[14:15], v[10:11], v[10:11] op_sel:[0,1]
	v_pk_mov_b32 v[12:13], v[8:9], v[8:9] op_sel:[0,1]
	;; [unrolled: 1-line block ×5, first 2 shown]
.LBB5350_65:
	s_mov_b64 s[0:1], -1
	s_and_b64 vcc, exec, s[16:17]
	s_barrier
	ds_write2_b64 v1, v[6:7], v[8:9] offset1:1
	ds_write2_b64 v1, v[10:11], v[12:13] offset0:2 offset1:3
	ds_write_b64 v1, v[14:15] offset:32
	s_waitcnt lgkmcnt(0)
	s_cbranch_vccz .LBB5350_67
; %bb.66:
	s_barrier
	s_mov_b64 s[0:1], 0
.LBB5350_67:
	s_andn2_b64 vcc, exec, s[0:1]
	s_cbranch_vccnz .LBB5350_103
; %bb.68:
	v_cmp_lt_u64_e64 s[0:1], s[14:15], 2
	s_and_b64 vcc, exec, s[0:1]
	s_barrier
	s_cbranch_vccnz .LBB5350_103
; %bb.69:
	s_add_u32 s0, s24, -1
	s_addc_u32 s1, s25, -1
	s_add_u32 s2, 0, 0x99986000
	s_addc_u32 s3, 0, 0x59
	s_add_i32 s3, s3, 0x19999940
	s_mul_hi_u32 s7, s2, -10
	s_sub_i32 s7, s7, s2
	s_mul_i32 s8, s3, -10
	s_mul_i32 s4, s2, -10
	s_add_i32 s7, s7, s8
	s_mul_hi_u32 s5, s3, s4
	s_mul_i32 s6, s3, s4
	s_mul_i32 s9, s2, s7
	s_mul_hi_u32 s4, s2, s4
	s_mul_hi_u32 s8, s2, s7
	s_add_u32 s4, s4, s9
	s_addc_u32 s8, 0, s8
	s_add_u32 s4, s4, s6
	s_mul_hi_u32 s9, s3, s7
	s_addc_u32 s4, s8, s5
	s_addc_u32 s5, s9, 0
	s_mul_i32 s6, s3, s7
	s_add_u32 s4, s4, s6
	v_mov_b32_e32 v2, s4
	s_addc_u32 s5, 0, s5
	v_add_co_u32_e32 v2, vcc, s2, v2
	s_cmp_lg_u64 vcc, 0
	s_addc_u32 s2, s3, s5
	v_readfirstlane_b32 s5, v2
	s_mul_i32 s4, s0, s2
	s_mul_hi_u32 s6, s0, s5
	s_mul_hi_u32 s3, s0, s2
	s_add_u32 s4, s6, s4
	s_addc_u32 s3, 0, s3
	s_mul_hi_u32 s7, s1, s5
	s_mul_i32 s5, s1, s5
	s_add_u32 s4, s4, s5
	s_mul_hi_u32 s6, s1, s2
	s_addc_u32 s3, s3, s7
	s_addc_u32 s4, s6, 0
	s_mul_i32 s2, s1, s2
	s_add_u32 s2, s3, s2
	s_addc_u32 s3, 0, s4
	s_add_u32 s4, s2, 1
	s_addc_u32 s5, s3, 0
	s_add_u32 s6, s2, 2
	s_mul_i32 s8, s3, 10
	s_mul_hi_u32 s9, s2, 10
	s_addc_u32 s7, s3, 0
	s_add_i32 s9, s9, s8
	s_mul_i32 s8, s2, 10
	v_mov_b32_e32 v2, s8
	v_sub_co_u32_e32 v2, vcc, s0, v2
	s_cmp_lg_u64 vcc, 0
	s_subb_u32 s8, s1, s9
	v_subrev_co_u32_e32 v3, vcc, 10, v2
	s_cmp_lg_u64 vcc, 0
	s_subb_u32 s9, s8, 0
	v_readfirstlane_b32 s12, v3
	s_cmp_gt_u32 s12, 9
	s_cselect_b32 s12, -1, 0
	s_cmp_eq_u32 s9, 0
	s_cselect_b32 s9, s12, -1
	s_cmp_lg_u32 s9, 0
	s_cselect_b32 s4, s6, s4
	v_readfirstlane_b32 s6, v2
	s_cselect_b32 s5, s7, s5
	s_cmp_gt_u32 s6, 9
	s_cselect_b32 s6, -1, 0
	s_cmp_eq_u32 s8, 0
	s_cselect_b32 s6, s6, -1
	s_cmp_lg_u32 s6, 0
	v_mov_b32_e32 v1, 0
	s_cselect_b32 s3, s5, s3
	s_cselect_b32 s2, s4, s2
	v_cmp_eq_u64_e32 vcc, s[2:3], v[0:1]
	s_and_saveexec_b64 s[2:3], vcc
	s_cbranch_execz .LBB5350_103
; %bb.70:
	v_lshlrev_b32_e32 v2, 2, v0
	v_mul_hi_u32_u24_e32 v1, 10, v0
	v_mov_b32_e32 v3, s1
	v_sub_co_u32_e32 v0, vcc, s0, v22
	v_subb_co_u32_e32 v1, vcc, v3, v1, vcc
	v_cmp_lt_i64_e32 vcc, 4, v[0:1]
	s_and_saveexec_b64 s[0:1], vcc
	s_xor_b64 s[0:1], exec, s[0:1]
	s_cbranch_execz .LBB5350_88
; %bb.71:
	v_cmp_lt_i64_e32 vcc, 6, v[0:1]
	s_and_saveexec_b64 s[2:3], vcc
	s_xor_b64 s[2:3], exec, s[2:3]
	s_cbranch_execz .LBB5350_81
; %bb.72:
	;; [unrolled: 5-line block ×4, first 2 shown]
	ds_read_b32 v0, v2 offset:4608
	v_mov_b32_e32 v1, 0
                                        ; implicit-def: $vgpr2
	s_waitcnt lgkmcnt(0)
	global_store_dword v1, v0, s[10:11]
.LBB5350_75:
	s_andn2_saveexec_b64 s[6:7], s[6:7]
	s_cbranch_execz .LBB5350_77
; %bb.76:
	ds_read_b32 v0, v2 offset:4096
	v_mov_b32_e32 v1, 0
	s_waitcnt lgkmcnt(0)
	global_store_dword v1, v0, s[10:11]
.LBB5350_77:
	s_or_b64 exec, exec, s[6:7]
                                        ; implicit-def: $vgpr2
.LBB5350_78:
	s_andn2_saveexec_b64 s[4:5], s[4:5]
	s_cbranch_execz .LBB5350_80
; %bb.79:
	ds_read_b32 v0, v2 offset:3584
	v_mov_b32_e32 v1, 0
	s_waitcnt lgkmcnt(0)
	global_store_dword v1, v0, s[10:11]
.LBB5350_80:
	s_or_b64 exec, exec, s[4:5]
                                        ; implicit-def: $vgpr2
                                        ; implicit-def: $vgpr0_vgpr1
.LBB5350_81:
	s_andn2_saveexec_b64 s[2:3], s[2:3]
	s_cbranch_execz .LBB5350_87
; %bb.82:
	v_cmp_lt_i64_e32 vcc, 5, v[0:1]
	s_and_saveexec_b64 s[4:5], vcc
	s_xor_b64 s[4:5], exec, s[4:5]
	s_cbranch_execz .LBB5350_84
; %bb.83:
	ds_read_b32 v0, v2 offset:3072
	v_mov_b32_e32 v1, 0
                                        ; implicit-def: $vgpr2
	s_waitcnt lgkmcnt(0)
	global_store_dword v1, v0, s[10:11]
.LBB5350_84:
	s_andn2_saveexec_b64 s[4:5], s[4:5]
	s_cbranch_execz .LBB5350_86
; %bb.85:
	ds_read_b32 v0, v2 offset:2560
	v_mov_b32_e32 v1, 0
	s_waitcnt lgkmcnt(0)
	global_store_dword v1, v0, s[10:11]
.LBB5350_86:
	s_or_b64 exec, exec, s[4:5]
.LBB5350_87:
	s_or_b64 exec, exec, s[2:3]
                                        ; implicit-def: $vgpr0_vgpr1
                                        ; implicit-def: $vgpr2
.LBB5350_88:
	s_andn2_saveexec_b64 s[0:1], s[0:1]
	s_cbranch_execz .LBB5350_103
; %bb.89:
	v_cmp_lt_i64_e32 vcc, 2, v[0:1]
	s_and_saveexec_b64 s[0:1], vcc
	s_xor_b64 s[0:1], exec, s[0:1]
	s_cbranch_execz .LBB5350_95
; %bb.90:
	v_cmp_lt_i64_e32 vcc, 3, v[0:1]
	s_and_saveexec_b64 s[2:3], vcc
	s_xor_b64 s[2:3], exec, s[2:3]
	s_cbranch_execz .LBB5350_92
; %bb.91:
	ds_read_b32 v0, v2 offset:2048
	v_mov_b32_e32 v1, 0
                                        ; implicit-def: $vgpr2
	s_waitcnt lgkmcnt(0)
	global_store_dword v1, v0, s[10:11]
.LBB5350_92:
	s_andn2_saveexec_b64 s[2:3], s[2:3]
	s_cbranch_execz .LBB5350_94
; %bb.93:
	ds_read_b32 v0, v2 offset:1536
	v_mov_b32_e32 v1, 0
	s_waitcnt lgkmcnt(0)
	global_store_dword v1, v0, s[10:11]
.LBB5350_94:
	s_or_b64 exec, exec, s[2:3]
                                        ; implicit-def: $vgpr0_vgpr1
                                        ; implicit-def: $vgpr2
.LBB5350_95:
	s_andn2_saveexec_b64 s[0:1], s[0:1]
	s_cbranch_execz .LBB5350_103
; %bb.96:
	v_cmp_lt_i64_e32 vcc, 1, v[0:1]
	s_and_saveexec_b64 s[0:1], vcc
	s_xor_b64 s[0:1], exec, s[0:1]
	s_cbranch_execz .LBB5350_98
; %bb.97:
	ds_read_b32 v0, v2 offset:1024
	v_mov_b32_e32 v1, 0
                                        ; implicit-def: $vgpr2
	s_waitcnt lgkmcnt(0)
	global_store_dword v1, v0, s[10:11]
                                        ; implicit-def: $vgpr0_vgpr1
.LBB5350_98:
	s_andn2_saveexec_b64 s[0:1], s[0:1]
	s_cbranch_execz .LBB5350_103
; %bb.99:
	v_cmp_ne_u64_e32 vcc, 1, v[0:1]
	s_and_saveexec_b64 s[0:1], vcc
	s_xor_b64 s[0:1], exec, s[0:1]
	s_cbranch_execz .LBB5350_101
; %bb.100:
	ds_read_b32 v0, v2
	v_mov_b32_e32 v1, 0
                                        ; implicit-def: $vgpr2
	s_waitcnt lgkmcnt(0)
	global_store_dword v1, v0, s[10:11]
.LBB5350_101:
	s_andn2_saveexec_b64 s[0:1], s[0:1]
	s_cbranch_execz .LBB5350_103
; %bb.102:
	ds_read_b32 v0, v2 offset:512
	v_mov_b32_e32 v1, 0
	s_waitcnt lgkmcnt(0)
	global_store_dword v1, v0, s[10:11]
.LBB5350_103:
	s_endpgm
	.section	.rodata,"a",@progbits
	.p2align	6, 0x0
	.amdhsa_kernel _ZN7rocprim17ROCPRIM_400000_NS6detail17trampoline_kernelINS0_14default_configENS1_20scan_config_selectorIjEEZZNS1_9scan_implILNS1_25lookback_scan_determinismE0ELb0ELb0ES3_N6thrust23THRUST_200600_302600_NS6detail15normal_iteratorINS9_10device_ptrIjEEEENS9_16discard_iteratorINS9_11use_defaultEEEjNS9_4plusIvEEjEEDaPvRmT3_T4_T5_mT6_P12ihipStream_tbENKUlT_T0_E_clISt17integral_constantIbLb0EESW_IbLb1EEEEDaSS_ST_EUlSS_E_NS1_11comp_targetILNS1_3genE4ELNS1_11target_archE910ELNS1_3gpuE8ELNS1_3repE0EEENS1_30default_config_static_selectorELNS0_4arch9wavefront6targetE1EEEvT1_
		.amdhsa_group_segment_fixed_size 5120
		.amdhsa_private_segment_fixed_size 0
		.amdhsa_kernarg_size 104
		.amdhsa_user_sgpr_count 6
		.amdhsa_user_sgpr_private_segment_buffer 1
		.amdhsa_user_sgpr_dispatch_ptr 0
		.amdhsa_user_sgpr_queue_ptr 0
		.amdhsa_user_sgpr_kernarg_segment_ptr 1
		.amdhsa_user_sgpr_dispatch_id 0
		.amdhsa_user_sgpr_flat_scratch_init 0
		.amdhsa_user_sgpr_kernarg_preload_length 0
		.amdhsa_user_sgpr_kernarg_preload_offset 0
		.amdhsa_user_sgpr_private_segment_size 0
		.amdhsa_uses_dynamic_stack 0
		.amdhsa_system_sgpr_private_segment_wavefront_offset 0
		.amdhsa_system_sgpr_workgroup_id_x 1
		.amdhsa_system_sgpr_workgroup_id_y 0
		.amdhsa_system_sgpr_workgroup_id_z 0
		.amdhsa_system_sgpr_workgroup_info 0
		.amdhsa_system_vgpr_workitem_id 0
		.amdhsa_next_free_vgpr 39
		.amdhsa_next_free_sgpr 30
		.amdhsa_accum_offset 40
		.amdhsa_reserve_vcc 1
		.amdhsa_reserve_flat_scratch 0
		.amdhsa_float_round_mode_32 0
		.amdhsa_float_round_mode_16_64 0
		.amdhsa_float_denorm_mode_32 3
		.amdhsa_float_denorm_mode_16_64 3
		.amdhsa_dx10_clamp 1
		.amdhsa_ieee_mode 1
		.amdhsa_fp16_overflow 0
		.amdhsa_tg_split 0
		.amdhsa_exception_fp_ieee_invalid_op 0
		.amdhsa_exception_fp_denorm_src 0
		.amdhsa_exception_fp_ieee_div_zero 0
		.amdhsa_exception_fp_ieee_overflow 0
		.amdhsa_exception_fp_ieee_underflow 0
		.amdhsa_exception_fp_ieee_inexact 0
		.amdhsa_exception_int_div_zero 0
	.end_amdhsa_kernel
	.section	.text._ZN7rocprim17ROCPRIM_400000_NS6detail17trampoline_kernelINS0_14default_configENS1_20scan_config_selectorIjEEZZNS1_9scan_implILNS1_25lookback_scan_determinismE0ELb0ELb0ES3_N6thrust23THRUST_200600_302600_NS6detail15normal_iteratorINS9_10device_ptrIjEEEENS9_16discard_iteratorINS9_11use_defaultEEEjNS9_4plusIvEEjEEDaPvRmT3_T4_T5_mT6_P12ihipStream_tbENKUlT_T0_E_clISt17integral_constantIbLb0EESW_IbLb1EEEEDaSS_ST_EUlSS_E_NS1_11comp_targetILNS1_3genE4ELNS1_11target_archE910ELNS1_3gpuE8ELNS1_3repE0EEENS1_30default_config_static_selectorELNS0_4arch9wavefront6targetE1EEEvT1_,"axG",@progbits,_ZN7rocprim17ROCPRIM_400000_NS6detail17trampoline_kernelINS0_14default_configENS1_20scan_config_selectorIjEEZZNS1_9scan_implILNS1_25lookback_scan_determinismE0ELb0ELb0ES3_N6thrust23THRUST_200600_302600_NS6detail15normal_iteratorINS9_10device_ptrIjEEEENS9_16discard_iteratorINS9_11use_defaultEEEjNS9_4plusIvEEjEEDaPvRmT3_T4_T5_mT6_P12ihipStream_tbENKUlT_T0_E_clISt17integral_constantIbLb0EESW_IbLb1EEEEDaSS_ST_EUlSS_E_NS1_11comp_targetILNS1_3genE4ELNS1_11target_archE910ELNS1_3gpuE8ELNS1_3repE0EEENS1_30default_config_static_selectorELNS0_4arch9wavefront6targetE1EEEvT1_,comdat
.Lfunc_end5350:
	.size	_ZN7rocprim17ROCPRIM_400000_NS6detail17trampoline_kernelINS0_14default_configENS1_20scan_config_selectorIjEEZZNS1_9scan_implILNS1_25lookback_scan_determinismE0ELb0ELb0ES3_N6thrust23THRUST_200600_302600_NS6detail15normal_iteratorINS9_10device_ptrIjEEEENS9_16discard_iteratorINS9_11use_defaultEEEjNS9_4plusIvEEjEEDaPvRmT3_T4_T5_mT6_P12ihipStream_tbENKUlT_T0_E_clISt17integral_constantIbLb0EESW_IbLb1EEEEDaSS_ST_EUlSS_E_NS1_11comp_targetILNS1_3genE4ELNS1_11target_archE910ELNS1_3gpuE8ELNS1_3repE0EEENS1_30default_config_static_selectorELNS0_4arch9wavefront6targetE1EEEvT1_, .Lfunc_end5350-_ZN7rocprim17ROCPRIM_400000_NS6detail17trampoline_kernelINS0_14default_configENS1_20scan_config_selectorIjEEZZNS1_9scan_implILNS1_25lookback_scan_determinismE0ELb0ELb0ES3_N6thrust23THRUST_200600_302600_NS6detail15normal_iteratorINS9_10device_ptrIjEEEENS9_16discard_iteratorINS9_11use_defaultEEEjNS9_4plusIvEEjEEDaPvRmT3_T4_T5_mT6_P12ihipStream_tbENKUlT_T0_E_clISt17integral_constantIbLb0EESW_IbLb1EEEEDaSS_ST_EUlSS_E_NS1_11comp_targetILNS1_3genE4ELNS1_11target_archE910ELNS1_3gpuE8ELNS1_3repE0EEENS1_30default_config_static_selectorELNS0_4arch9wavefront6targetE1EEEvT1_
                                        ; -- End function
	.section	.AMDGPU.csdata,"",@progbits
; Kernel info:
; codeLenInByte = 4020
; NumSgprs: 34
; NumVgprs: 39
; NumAgprs: 0
; TotalNumVgprs: 39
; ScratchSize: 0
; MemoryBound: 0
; FloatMode: 240
; IeeeMode: 1
; LDSByteSize: 5120 bytes/workgroup (compile time only)
; SGPRBlocks: 4
; VGPRBlocks: 4
; NumSGPRsForWavesPerEU: 34
; NumVGPRsForWavesPerEU: 39
; AccumOffset: 40
; Occupancy: 6
; WaveLimiterHint : 1
; COMPUTE_PGM_RSRC2:SCRATCH_EN: 0
; COMPUTE_PGM_RSRC2:USER_SGPR: 6
; COMPUTE_PGM_RSRC2:TRAP_HANDLER: 0
; COMPUTE_PGM_RSRC2:TGID_X_EN: 1
; COMPUTE_PGM_RSRC2:TGID_Y_EN: 0
; COMPUTE_PGM_RSRC2:TGID_Z_EN: 0
; COMPUTE_PGM_RSRC2:TIDIG_COMP_CNT: 0
; COMPUTE_PGM_RSRC3_GFX90A:ACCUM_OFFSET: 9
; COMPUTE_PGM_RSRC3_GFX90A:TG_SPLIT: 0
	.section	.text._ZN7rocprim17ROCPRIM_400000_NS6detail17trampoline_kernelINS0_14default_configENS1_20scan_config_selectorIjEEZZNS1_9scan_implILNS1_25lookback_scan_determinismE0ELb0ELb0ES3_N6thrust23THRUST_200600_302600_NS6detail15normal_iteratorINS9_10device_ptrIjEEEENS9_16discard_iteratorINS9_11use_defaultEEEjNS9_4plusIvEEjEEDaPvRmT3_T4_T5_mT6_P12ihipStream_tbENKUlT_T0_E_clISt17integral_constantIbLb0EESW_IbLb1EEEEDaSS_ST_EUlSS_E_NS1_11comp_targetILNS1_3genE3ELNS1_11target_archE908ELNS1_3gpuE7ELNS1_3repE0EEENS1_30default_config_static_selectorELNS0_4arch9wavefront6targetE1EEEvT1_,"axG",@progbits,_ZN7rocprim17ROCPRIM_400000_NS6detail17trampoline_kernelINS0_14default_configENS1_20scan_config_selectorIjEEZZNS1_9scan_implILNS1_25lookback_scan_determinismE0ELb0ELb0ES3_N6thrust23THRUST_200600_302600_NS6detail15normal_iteratorINS9_10device_ptrIjEEEENS9_16discard_iteratorINS9_11use_defaultEEEjNS9_4plusIvEEjEEDaPvRmT3_T4_T5_mT6_P12ihipStream_tbENKUlT_T0_E_clISt17integral_constantIbLb0EESW_IbLb1EEEEDaSS_ST_EUlSS_E_NS1_11comp_targetILNS1_3genE3ELNS1_11target_archE908ELNS1_3gpuE7ELNS1_3repE0EEENS1_30default_config_static_selectorELNS0_4arch9wavefront6targetE1EEEvT1_,comdat
	.protected	_ZN7rocprim17ROCPRIM_400000_NS6detail17trampoline_kernelINS0_14default_configENS1_20scan_config_selectorIjEEZZNS1_9scan_implILNS1_25lookback_scan_determinismE0ELb0ELb0ES3_N6thrust23THRUST_200600_302600_NS6detail15normal_iteratorINS9_10device_ptrIjEEEENS9_16discard_iteratorINS9_11use_defaultEEEjNS9_4plusIvEEjEEDaPvRmT3_T4_T5_mT6_P12ihipStream_tbENKUlT_T0_E_clISt17integral_constantIbLb0EESW_IbLb1EEEEDaSS_ST_EUlSS_E_NS1_11comp_targetILNS1_3genE3ELNS1_11target_archE908ELNS1_3gpuE7ELNS1_3repE0EEENS1_30default_config_static_selectorELNS0_4arch9wavefront6targetE1EEEvT1_ ; -- Begin function _ZN7rocprim17ROCPRIM_400000_NS6detail17trampoline_kernelINS0_14default_configENS1_20scan_config_selectorIjEEZZNS1_9scan_implILNS1_25lookback_scan_determinismE0ELb0ELb0ES3_N6thrust23THRUST_200600_302600_NS6detail15normal_iteratorINS9_10device_ptrIjEEEENS9_16discard_iteratorINS9_11use_defaultEEEjNS9_4plusIvEEjEEDaPvRmT3_T4_T5_mT6_P12ihipStream_tbENKUlT_T0_E_clISt17integral_constantIbLb0EESW_IbLb1EEEEDaSS_ST_EUlSS_E_NS1_11comp_targetILNS1_3genE3ELNS1_11target_archE908ELNS1_3gpuE7ELNS1_3repE0EEENS1_30default_config_static_selectorELNS0_4arch9wavefront6targetE1EEEvT1_
	.globl	_ZN7rocprim17ROCPRIM_400000_NS6detail17trampoline_kernelINS0_14default_configENS1_20scan_config_selectorIjEEZZNS1_9scan_implILNS1_25lookback_scan_determinismE0ELb0ELb0ES3_N6thrust23THRUST_200600_302600_NS6detail15normal_iteratorINS9_10device_ptrIjEEEENS9_16discard_iteratorINS9_11use_defaultEEEjNS9_4plusIvEEjEEDaPvRmT3_T4_T5_mT6_P12ihipStream_tbENKUlT_T0_E_clISt17integral_constantIbLb0EESW_IbLb1EEEEDaSS_ST_EUlSS_E_NS1_11comp_targetILNS1_3genE3ELNS1_11target_archE908ELNS1_3gpuE7ELNS1_3repE0EEENS1_30default_config_static_selectorELNS0_4arch9wavefront6targetE1EEEvT1_
	.p2align	8
	.type	_ZN7rocprim17ROCPRIM_400000_NS6detail17trampoline_kernelINS0_14default_configENS1_20scan_config_selectorIjEEZZNS1_9scan_implILNS1_25lookback_scan_determinismE0ELb0ELb0ES3_N6thrust23THRUST_200600_302600_NS6detail15normal_iteratorINS9_10device_ptrIjEEEENS9_16discard_iteratorINS9_11use_defaultEEEjNS9_4plusIvEEjEEDaPvRmT3_T4_T5_mT6_P12ihipStream_tbENKUlT_T0_E_clISt17integral_constantIbLb0EESW_IbLb1EEEEDaSS_ST_EUlSS_E_NS1_11comp_targetILNS1_3genE3ELNS1_11target_archE908ELNS1_3gpuE7ELNS1_3repE0EEENS1_30default_config_static_selectorELNS0_4arch9wavefront6targetE1EEEvT1_,@function
_ZN7rocprim17ROCPRIM_400000_NS6detail17trampoline_kernelINS0_14default_configENS1_20scan_config_selectorIjEEZZNS1_9scan_implILNS1_25lookback_scan_determinismE0ELb0ELb0ES3_N6thrust23THRUST_200600_302600_NS6detail15normal_iteratorINS9_10device_ptrIjEEEENS9_16discard_iteratorINS9_11use_defaultEEEjNS9_4plusIvEEjEEDaPvRmT3_T4_T5_mT6_P12ihipStream_tbENKUlT_T0_E_clISt17integral_constantIbLb0EESW_IbLb1EEEEDaSS_ST_EUlSS_E_NS1_11comp_targetILNS1_3genE3ELNS1_11target_archE908ELNS1_3gpuE7ELNS1_3repE0EEENS1_30default_config_static_selectorELNS0_4arch9wavefront6targetE1EEEvT1_: ; @_ZN7rocprim17ROCPRIM_400000_NS6detail17trampoline_kernelINS0_14default_configENS1_20scan_config_selectorIjEEZZNS1_9scan_implILNS1_25lookback_scan_determinismE0ELb0ELb0ES3_N6thrust23THRUST_200600_302600_NS6detail15normal_iteratorINS9_10device_ptrIjEEEENS9_16discard_iteratorINS9_11use_defaultEEEjNS9_4plusIvEEjEEDaPvRmT3_T4_T5_mT6_P12ihipStream_tbENKUlT_T0_E_clISt17integral_constantIbLb0EESW_IbLb1EEEEDaSS_ST_EUlSS_E_NS1_11comp_targetILNS1_3genE3ELNS1_11target_archE908ELNS1_3gpuE7ELNS1_3repE0EEENS1_30default_config_static_selectorELNS0_4arch9wavefront6targetE1EEEvT1_
; %bb.0:
	.section	.rodata,"a",@progbits
	.p2align	6, 0x0
	.amdhsa_kernel _ZN7rocprim17ROCPRIM_400000_NS6detail17trampoline_kernelINS0_14default_configENS1_20scan_config_selectorIjEEZZNS1_9scan_implILNS1_25lookback_scan_determinismE0ELb0ELb0ES3_N6thrust23THRUST_200600_302600_NS6detail15normal_iteratorINS9_10device_ptrIjEEEENS9_16discard_iteratorINS9_11use_defaultEEEjNS9_4plusIvEEjEEDaPvRmT3_T4_T5_mT6_P12ihipStream_tbENKUlT_T0_E_clISt17integral_constantIbLb0EESW_IbLb1EEEEDaSS_ST_EUlSS_E_NS1_11comp_targetILNS1_3genE3ELNS1_11target_archE908ELNS1_3gpuE7ELNS1_3repE0EEENS1_30default_config_static_selectorELNS0_4arch9wavefront6targetE1EEEvT1_
		.amdhsa_group_segment_fixed_size 0
		.amdhsa_private_segment_fixed_size 0
		.amdhsa_kernarg_size 104
		.amdhsa_user_sgpr_count 6
		.amdhsa_user_sgpr_private_segment_buffer 1
		.amdhsa_user_sgpr_dispatch_ptr 0
		.amdhsa_user_sgpr_queue_ptr 0
		.amdhsa_user_sgpr_kernarg_segment_ptr 1
		.amdhsa_user_sgpr_dispatch_id 0
		.amdhsa_user_sgpr_flat_scratch_init 0
		.amdhsa_user_sgpr_kernarg_preload_length 0
		.amdhsa_user_sgpr_kernarg_preload_offset 0
		.amdhsa_user_sgpr_private_segment_size 0
		.amdhsa_uses_dynamic_stack 0
		.amdhsa_system_sgpr_private_segment_wavefront_offset 0
		.amdhsa_system_sgpr_workgroup_id_x 1
		.amdhsa_system_sgpr_workgroup_id_y 0
		.amdhsa_system_sgpr_workgroup_id_z 0
		.amdhsa_system_sgpr_workgroup_info 0
		.amdhsa_system_vgpr_workitem_id 0
		.amdhsa_next_free_vgpr 1
		.amdhsa_next_free_sgpr 0
		.amdhsa_accum_offset 4
		.amdhsa_reserve_vcc 0
		.amdhsa_reserve_flat_scratch 0
		.amdhsa_float_round_mode_32 0
		.amdhsa_float_round_mode_16_64 0
		.amdhsa_float_denorm_mode_32 3
		.amdhsa_float_denorm_mode_16_64 3
		.amdhsa_dx10_clamp 1
		.amdhsa_ieee_mode 1
		.amdhsa_fp16_overflow 0
		.amdhsa_tg_split 0
		.amdhsa_exception_fp_ieee_invalid_op 0
		.amdhsa_exception_fp_denorm_src 0
		.amdhsa_exception_fp_ieee_div_zero 0
		.amdhsa_exception_fp_ieee_overflow 0
		.amdhsa_exception_fp_ieee_underflow 0
		.amdhsa_exception_fp_ieee_inexact 0
		.amdhsa_exception_int_div_zero 0
	.end_amdhsa_kernel
	.section	.text._ZN7rocprim17ROCPRIM_400000_NS6detail17trampoline_kernelINS0_14default_configENS1_20scan_config_selectorIjEEZZNS1_9scan_implILNS1_25lookback_scan_determinismE0ELb0ELb0ES3_N6thrust23THRUST_200600_302600_NS6detail15normal_iteratorINS9_10device_ptrIjEEEENS9_16discard_iteratorINS9_11use_defaultEEEjNS9_4plusIvEEjEEDaPvRmT3_T4_T5_mT6_P12ihipStream_tbENKUlT_T0_E_clISt17integral_constantIbLb0EESW_IbLb1EEEEDaSS_ST_EUlSS_E_NS1_11comp_targetILNS1_3genE3ELNS1_11target_archE908ELNS1_3gpuE7ELNS1_3repE0EEENS1_30default_config_static_selectorELNS0_4arch9wavefront6targetE1EEEvT1_,"axG",@progbits,_ZN7rocprim17ROCPRIM_400000_NS6detail17trampoline_kernelINS0_14default_configENS1_20scan_config_selectorIjEEZZNS1_9scan_implILNS1_25lookback_scan_determinismE0ELb0ELb0ES3_N6thrust23THRUST_200600_302600_NS6detail15normal_iteratorINS9_10device_ptrIjEEEENS9_16discard_iteratorINS9_11use_defaultEEEjNS9_4plusIvEEjEEDaPvRmT3_T4_T5_mT6_P12ihipStream_tbENKUlT_T0_E_clISt17integral_constantIbLb0EESW_IbLb1EEEEDaSS_ST_EUlSS_E_NS1_11comp_targetILNS1_3genE3ELNS1_11target_archE908ELNS1_3gpuE7ELNS1_3repE0EEENS1_30default_config_static_selectorELNS0_4arch9wavefront6targetE1EEEvT1_,comdat
.Lfunc_end5351:
	.size	_ZN7rocprim17ROCPRIM_400000_NS6detail17trampoline_kernelINS0_14default_configENS1_20scan_config_selectorIjEEZZNS1_9scan_implILNS1_25lookback_scan_determinismE0ELb0ELb0ES3_N6thrust23THRUST_200600_302600_NS6detail15normal_iteratorINS9_10device_ptrIjEEEENS9_16discard_iteratorINS9_11use_defaultEEEjNS9_4plusIvEEjEEDaPvRmT3_T4_T5_mT6_P12ihipStream_tbENKUlT_T0_E_clISt17integral_constantIbLb0EESW_IbLb1EEEEDaSS_ST_EUlSS_E_NS1_11comp_targetILNS1_3genE3ELNS1_11target_archE908ELNS1_3gpuE7ELNS1_3repE0EEENS1_30default_config_static_selectorELNS0_4arch9wavefront6targetE1EEEvT1_, .Lfunc_end5351-_ZN7rocprim17ROCPRIM_400000_NS6detail17trampoline_kernelINS0_14default_configENS1_20scan_config_selectorIjEEZZNS1_9scan_implILNS1_25lookback_scan_determinismE0ELb0ELb0ES3_N6thrust23THRUST_200600_302600_NS6detail15normal_iteratorINS9_10device_ptrIjEEEENS9_16discard_iteratorINS9_11use_defaultEEEjNS9_4plusIvEEjEEDaPvRmT3_T4_T5_mT6_P12ihipStream_tbENKUlT_T0_E_clISt17integral_constantIbLb0EESW_IbLb1EEEEDaSS_ST_EUlSS_E_NS1_11comp_targetILNS1_3genE3ELNS1_11target_archE908ELNS1_3gpuE7ELNS1_3repE0EEENS1_30default_config_static_selectorELNS0_4arch9wavefront6targetE1EEEvT1_
                                        ; -- End function
	.section	.AMDGPU.csdata,"",@progbits
; Kernel info:
; codeLenInByte = 0
; NumSgprs: 4
; NumVgprs: 0
; NumAgprs: 0
; TotalNumVgprs: 0
; ScratchSize: 0
; MemoryBound: 0
; FloatMode: 240
; IeeeMode: 1
; LDSByteSize: 0 bytes/workgroup (compile time only)
; SGPRBlocks: 0
; VGPRBlocks: 0
; NumSGPRsForWavesPerEU: 4
; NumVGPRsForWavesPerEU: 1
; AccumOffset: 4
; Occupancy: 8
; WaveLimiterHint : 0
; COMPUTE_PGM_RSRC2:SCRATCH_EN: 0
; COMPUTE_PGM_RSRC2:USER_SGPR: 6
; COMPUTE_PGM_RSRC2:TRAP_HANDLER: 0
; COMPUTE_PGM_RSRC2:TGID_X_EN: 1
; COMPUTE_PGM_RSRC2:TGID_Y_EN: 0
; COMPUTE_PGM_RSRC2:TGID_Z_EN: 0
; COMPUTE_PGM_RSRC2:TIDIG_COMP_CNT: 0
; COMPUTE_PGM_RSRC3_GFX90A:ACCUM_OFFSET: 0
; COMPUTE_PGM_RSRC3_GFX90A:TG_SPLIT: 0
	.section	.text._ZN7rocprim17ROCPRIM_400000_NS6detail17trampoline_kernelINS0_14default_configENS1_20scan_config_selectorIjEEZZNS1_9scan_implILNS1_25lookback_scan_determinismE0ELb0ELb0ES3_N6thrust23THRUST_200600_302600_NS6detail15normal_iteratorINS9_10device_ptrIjEEEENS9_16discard_iteratorINS9_11use_defaultEEEjNS9_4plusIvEEjEEDaPvRmT3_T4_T5_mT6_P12ihipStream_tbENKUlT_T0_E_clISt17integral_constantIbLb0EESW_IbLb1EEEEDaSS_ST_EUlSS_E_NS1_11comp_targetILNS1_3genE2ELNS1_11target_archE906ELNS1_3gpuE6ELNS1_3repE0EEENS1_30default_config_static_selectorELNS0_4arch9wavefront6targetE1EEEvT1_,"axG",@progbits,_ZN7rocprim17ROCPRIM_400000_NS6detail17trampoline_kernelINS0_14default_configENS1_20scan_config_selectorIjEEZZNS1_9scan_implILNS1_25lookback_scan_determinismE0ELb0ELb0ES3_N6thrust23THRUST_200600_302600_NS6detail15normal_iteratorINS9_10device_ptrIjEEEENS9_16discard_iteratorINS9_11use_defaultEEEjNS9_4plusIvEEjEEDaPvRmT3_T4_T5_mT6_P12ihipStream_tbENKUlT_T0_E_clISt17integral_constantIbLb0EESW_IbLb1EEEEDaSS_ST_EUlSS_E_NS1_11comp_targetILNS1_3genE2ELNS1_11target_archE906ELNS1_3gpuE6ELNS1_3repE0EEENS1_30default_config_static_selectorELNS0_4arch9wavefront6targetE1EEEvT1_,comdat
	.protected	_ZN7rocprim17ROCPRIM_400000_NS6detail17trampoline_kernelINS0_14default_configENS1_20scan_config_selectorIjEEZZNS1_9scan_implILNS1_25lookback_scan_determinismE0ELb0ELb0ES3_N6thrust23THRUST_200600_302600_NS6detail15normal_iteratorINS9_10device_ptrIjEEEENS9_16discard_iteratorINS9_11use_defaultEEEjNS9_4plusIvEEjEEDaPvRmT3_T4_T5_mT6_P12ihipStream_tbENKUlT_T0_E_clISt17integral_constantIbLb0EESW_IbLb1EEEEDaSS_ST_EUlSS_E_NS1_11comp_targetILNS1_3genE2ELNS1_11target_archE906ELNS1_3gpuE6ELNS1_3repE0EEENS1_30default_config_static_selectorELNS0_4arch9wavefront6targetE1EEEvT1_ ; -- Begin function _ZN7rocprim17ROCPRIM_400000_NS6detail17trampoline_kernelINS0_14default_configENS1_20scan_config_selectorIjEEZZNS1_9scan_implILNS1_25lookback_scan_determinismE0ELb0ELb0ES3_N6thrust23THRUST_200600_302600_NS6detail15normal_iteratorINS9_10device_ptrIjEEEENS9_16discard_iteratorINS9_11use_defaultEEEjNS9_4plusIvEEjEEDaPvRmT3_T4_T5_mT6_P12ihipStream_tbENKUlT_T0_E_clISt17integral_constantIbLb0EESW_IbLb1EEEEDaSS_ST_EUlSS_E_NS1_11comp_targetILNS1_3genE2ELNS1_11target_archE906ELNS1_3gpuE6ELNS1_3repE0EEENS1_30default_config_static_selectorELNS0_4arch9wavefront6targetE1EEEvT1_
	.globl	_ZN7rocprim17ROCPRIM_400000_NS6detail17trampoline_kernelINS0_14default_configENS1_20scan_config_selectorIjEEZZNS1_9scan_implILNS1_25lookback_scan_determinismE0ELb0ELb0ES3_N6thrust23THRUST_200600_302600_NS6detail15normal_iteratorINS9_10device_ptrIjEEEENS9_16discard_iteratorINS9_11use_defaultEEEjNS9_4plusIvEEjEEDaPvRmT3_T4_T5_mT6_P12ihipStream_tbENKUlT_T0_E_clISt17integral_constantIbLb0EESW_IbLb1EEEEDaSS_ST_EUlSS_E_NS1_11comp_targetILNS1_3genE2ELNS1_11target_archE906ELNS1_3gpuE6ELNS1_3repE0EEENS1_30default_config_static_selectorELNS0_4arch9wavefront6targetE1EEEvT1_
	.p2align	8
	.type	_ZN7rocprim17ROCPRIM_400000_NS6detail17trampoline_kernelINS0_14default_configENS1_20scan_config_selectorIjEEZZNS1_9scan_implILNS1_25lookback_scan_determinismE0ELb0ELb0ES3_N6thrust23THRUST_200600_302600_NS6detail15normal_iteratorINS9_10device_ptrIjEEEENS9_16discard_iteratorINS9_11use_defaultEEEjNS9_4plusIvEEjEEDaPvRmT3_T4_T5_mT6_P12ihipStream_tbENKUlT_T0_E_clISt17integral_constantIbLb0EESW_IbLb1EEEEDaSS_ST_EUlSS_E_NS1_11comp_targetILNS1_3genE2ELNS1_11target_archE906ELNS1_3gpuE6ELNS1_3repE0EEENS1_30default_config_static_selectorELNS0_4arch9wavefront6targetE1EEEvT1_,@function
_ZN7rocprim17ROCPRIM_400000_NS6detail17trampoline_kernelINS0_14default_configENS1_20scan_config_selectorIjEEZZNS1_9scan_implILNS1_25lookback_scan_determinismE0ELb0ELb0ES3_N6thrust23THRUST_200600_302600_NS6detail15normal_iteratorINS9_10device_ptrIjEEEENS9_16discard_iteratorINS9_11use_defaultEEEjNS9_4plusIvEEjEEDaPvRmT3_T4_T5_mT6_P12ihipStream_tbENKUlT_T0_E_clISt17integral_constantIbLb0EESW_IbLb1EEEEDaSS_ST_EUlSS_E_NS1_11comp_targetILNS1_3genE2ELNS1_11target_archE906ELNS1_3gpuE6ELNS1_3repE0EEENS1_30default_config_static_selectorELNS0_4arch9wavefront6targetE1EEEvT1_: ; @_ZN7rocprim17ROCPRIM_400000_NS6detail17trampoline_kernelINS0_14default_configENS1_20scan_config_selectorIjEEZZNS1_9scan_implILNS1_25lookback_scan_determinismE0ELb0ELb0ES3_N6thrust23THRUST_200600_302600_NS6detail15normal_iteratorINS9_10device_ptrIjEEEENS9_16discard_iteratorINS9_11use_defaultEEEjNS9_4plusIvEEjEEDaPvRmT3_T4_T5_mT6_P12ihipStream_tbENKUlT_T0_E_clISt17integral_constantIbLb0EESW_IbLb1EEEEDaSS_ST_EUlSS_E_NS1_11comp_targetILNS1_3genE2ELNS1_11target_archE906ELNS1_3gpuE6ELNS1_3repE0EEENS1_30default_config_static_selectorELNS0_4arch9wavefront6targetE1EEEvT1_
; %bb.0:
	.section	.rodata,"a",@progbits
	.p2align	6, 0x0
	.amdhsa_kernel _ZN7rocprim17ROCPRIM_400000_NS6detail17trampoline_kernelINS0_14default_configENS1_20scan_config_selectorIjEEZZNS1_9scan_implILNS1_25lookback_scan_determinismE0ELb0ELb0ES3_N6thrust23THRUST_200600_302600_NS6detail15normal_iteratorINS9_10device_ptrIjEEEENS9_16discard_iteratorINS9_11use_defaultEEEjNS9_4plusIvEEjEEDaPvRmT3_T4_T5_mT6_P12ihipStream_tbENKUlT_T0_E_clISt17integral_constantIbLb0EESW_IbLb1EEEEDaSS_ST_EUlSS_E_NS1_11comp_targetILNS1_3genE2ELNS1_11target_archE906ELNS1_3gpuE6ELNS1_3repE0EEENS1_30default_config_static_selectorELNS0_4arch9wavefront6targetE1EEEvT1_
		.amdhsa_group_segment_fixed_size 0
		.amdhsa_private_segment_fixed_size 0
		.amdhsa_kernarg_size 104
		.amdhsa_user_sgpr_count 6
		.amdhsa_user_sgpr_private_segment_buffer 1
		.amdhsa_user_sgpr_dispatch_ptr 0
		.amdhsa_user_sgpr_queue_ptr 0
		.amdhsa_user_sgpr_kernarg_segment_ptr 1
		.amdhsa_user_sgpr_dispatch_id 0
		.amdhsa_user_sgpr_flat_scratch_init 0
		.amdhsa_user_sgpr_kernarg_preload_length 0
		.amdhsa_user_sgpr_kernarg_preload_offset 0
		.amdhsa_user_sgpr_private_segment_size 0
		.amdhsa_uses_dynamic_stack 0
		.amdhsa_system_sgpr_private_segment_wavefront_offset 0
		.amdhsa_system_sgpr_workgroup_id_x 1
		.amdhsa_system_sgpr_workgroup_id_y 0
		.amdhsa_system_sgpr_workgroup_id_z 0
		.amdhsa_system_sgpr_workgroup_info 0
		.amdhsa_system_vgpr_workitem_id 0
		.amdhsa_next_free_vgpr 1
		.amdhsa_next_free_sgpr 0
		.amdhsa_accum_offset 4
		.amdhsa_reserve_vcc 0
		.amdhsa_reserve_flat_scratch 0
		.amdhsa_float_round_mode_32 0
		.amdhsa_float_round_mode_16_64 0
		.amdhsa_float_denorm_mode_32 3
		.amdhsa_float_denorm_mode_16_64 3
		.amdhsa_dx10_clamp 1
		.amdhsa_ieee_mode 1
		.amdhsa_fp16_overflow 0
		.amdhsa_tg_split 0
		.amdhsa_exception_fp_ieee_invalid_op 0
		.amdhsa_exception_fp_denorm_src 0
		.amdhsa_exception_fp_ieee_div_zero 0
		.amdhsa_exception_fp_ieee_overflow 0
		.amdhsa_exception_fp_ieee_underflow 0
		.amdhsa_exception_fp_ieee_inexact 0
		.amdhsa_exception_int_div_zero 0
	.end_amdhsa_kernel
	.section	.text._ZN7rocprim17ROCPRIM_400000_NS6detail17trampoline_kernelINS0_14default_configENS1_20scan_config_selectorIjEEZZNS1_9scan_implILNS1_25lookback_scan_determinismE0ELb0ELb0ES3_N6thrust23THRUST_200600_302600_NS6detail15normal_iteratorINS9_10device_ptrIjEEEENS9_16discard_iteratorINS9_11use_defaultEEEjNS9_4plusIvEEjEEDaPvRmT3_T4_T5_mT6_P12ihipStream_tbENKUlT_T0_E_clISt17integral_constantIbLb0EESW_IbLb1EEEEDaSS_ST_EUlSS_E_NS1_11comp_targetILNS1_3genE2ELNS1_11target_archE906ELNS1_3gpuE6ELNS1_3repE0EEENS1_30default_config_static_selectorELNS0_4arch9wavefront6targetE1EEEvT1_,"axG",@progbits,_ZN7rocprim17ROCPRIM_400000_NS6detail17trampoline_kernelINS0_14default_configENS1_20scan_config_selectorIjEEZZNS1_9scan_implILNS1_25lookback_scan_determinismE0ELb0ELb0ES3_N6thrust23THRUST_200600_302600_NS6detail15normal_iteratorINS9_10device_ptrIjEEEENS9_16discard_iteratorINS9_11use_defaultEEEjNS9_4plusIvEEjEEDaPvRmT3_T4_T5_mT6_P12ihipStream_tbENKUlT_T0_E_clISt17integral_constantIbLb0EESW_IbLb1EEEEDaSS_ST_EUlSS_E_NS1_11comp_targetILNS1_3genE2ELNS1_11target_archE906ELNS1_3gpuE6ELNS1_3repE0EEENS1_30default_config_static_selectorELNS0_4arch9wavefront6targetE1EEEvT1_,comdat
.Lfunc_end5352:
	.size	_ZN7rocprim17ROCPRIM_400000_NS6detail17trampoline_kernelINS0_14default_configENS1_20scan_config_selectorIjEEZZNS1_9scan_implILNS1_25lookback_scan_determinismE0ELb0ELb0ES3_N6thrust23THRUST_200600_302600_NS6detail15normal_iteratorINS9_10device_ptrIjEEEENS9_16discard_iteratorINS9_11use_defaultEEEjNS9_4plusIvEEjEEDaPvRmT3_T4_T5_mT6_P12ihipStream_tbENKUlT_T0_E_clISt17integral_constantIbLb0EESW_IbLb1EEEEDaSS_ST_EUlSS_E_NS1_11comp_targetILNS1_3genE2ELNS1_11target_archE906ELNS1_3gpuE6ELNS1_3repE0EEENS1_30default_config_static_selectorELNS0_4arch9wavefront6targetE1EEEvT1_, .Lfunc_end5352-_ZN7rocprim17ROCPRIM_400000_NS6detail17trampoline_kernelINS0_14default_configENS1_20scan_config_selectorIjEEZZNS1_9scan_implILNS1_25lookback_scan_determinismE0ELb0ELb0ES3_N6thrust23THRUST_200600_302600_NS6detail15normal_iteratorINS9_10device_ptrIjEEEENS9_16discard_iteratorINS9_11use_defaultEEEjNS9_4plusIvEEjEEDaPvRmT3_T4_T5_mT6_P12ihipStream_tbENKUlT_T0_E_clISt17integral_constantIbLb0EESW_IbLb1EEEEDaSS_ST_EUlSS_E_NS1_11comp_targetILNS1_3genE2ELNS1_11target_archE906ELNS1_3gpuE6ELNS1_3repE0EEENS1_30default_config_static_selectorELNS0_4arch9wavefront6targetE1EEEvT1_
                                        ; -- End function
	.section	.AMDGPU.csdata,"",@progbits
; Kernel info:
; codeLenInByte = 0
; NumSgprs: 4
; NumVgprs: 0
; NumAgprs: 0
; TotalNumVgprs: 0
; ScratchSize: 0
; MemoryBound: 0
; FloatMode: 240
; IeeeMode: 1
; LDSByteSize: 0 bytes/workgroup (compile time only)
; SGPRBlocks: 0
; VGPRBlocks: 0
; NumSGPRsForWavesPerEU: 4
; NumVGPRsForWavesPerEU: 1
; AccumOffset: 4
; Occupancy: 8
; WaveLimiterHint : 0
; COMPUTE_PGM_RSRC2:SCRATCH_EN: 0
; COMPUTE_PGM_RSRC2:USER_SGPR: 6
; COMPUTE_PGM_RSRC2:TRAP_HANDLER: 0
; COMPUTE_PGM_RSRC2:TGID_X_EN: 1
; COMPUTE_PGM_RSRC2:TGID_Y_EN: 0
; COMPUTE_PGM_RSRC2:TGID_Z_EN: 0
; COMPUTE_PGM_RSRC2:TIDIG_COMP_CNT: 0
; COMPUTE_PGM_RSRC3_GFX90A:ACCUM_OFFSET: 0
; COMPUTE_PGM_RSRC3_GFX90A:TG_SPLIT: 0
	.section	.text._ZN7rocprim17ROCPRIM_400000_NS6detail17trampoline_kernelINS0_14default_configENS1_20scan_config_selectorIjEEZZNS1_9scan_implILNS1_25lookback_scan_determinismE0ELb0ELb0ES3_N6thrust23THRUST_200600_302600_NS6detail15normal_iteratorINS9_10device_ptrIjEEEENS9_16discard_iteratorINS9_11use_defaultEEEjNS9_4plusIvEEjEEDaPvRmT3_T4_T5_mT6_P12ihipStream_tbENKUlT_T0_E_clISt17integral_constantIbLb0EESW_IbLb1EEEEDaSS_ST_EUlSS_E_NS1_11comp_targetILNS1_3genE10ELNS1_11target_archE1201ELNS1_3gpuE5ELNS1_3repE0EEENS1_30default_config_static_selectorELNS0_4arch9wavefront6targetE1EEEvT1_,"axG",@progbits,_ZN7rocprim17ROCPRIM_400000_NS6detail17trampoline_kernelINS0_14default_configENS1_20scan_config_selectorIjEEZZNS1_9scan_implILNS1_25lookback_scan_determinismE0ELb0ELb0ES3_N6thrust23THRUST_200600_302600_NS6detail15normal_iteratorINS9_10device_ptrIjEEEENS9_16discard_iteratorINS9_11use_defaultEEEjNS9_4plusIvEEjEEDaPvRmT3_T4_T5_mT6_P12ihipStream_tbENKUlT_T0_E_clISt17integral_constantIbLb0EESW_IbLb1EEEEDaSS_ST_EUlSS_E_NS1_11comp_targetILNS1_3genE10ELNS1_11target_archE1201ELNS1_3gpuE5ELNS1_3repE0EEENS1_30default_config_static_selectorELNS0_4arch9wavefront6targetE1EEEvT1_,comdat
	.protected	_ZN7rocprim17ROCPRIM_400000_NS6detail17trampoline_kernelINS0_14default_configENS1_20scan_config_selectorIjEEZZNS1_9scan_implILNS1_25lookback_scan_determinismE0ELb0ELb0ES3_N6thrust23THRUST_200600_302600_NS6detail15normal_iteratorINS9_10device_ptrIjEEEENS9_16discard_iteratorINS9_11use_defaultEEEjNS9_4plusIvEEjEEDaPvRmT3_T4_T5_mT6_P12ihipStream_tbENKUlT_T0_E_clISt17integral_constantIbLb0EESW_IbLb1EEEEDaSS_ST_EUlSS_E_NS1_11comp_targetILNS1_3genE10ELNS1_11target_archE1201ELNS1_3gpuE5ELNS1_3repE0EEENS1_30default_config_static_selectorELNS0_4arch9wavefront6targetE1EEEvT1_ ; -- Begin function _ZN7rocprim17ROCPRIM_400000_NS6detail17trampoline_kernelINS0_14default_configENS1_20scan_config_selectorIjEEZZNS1_9scan_implILNS1_25lookback_scan_determinismE0ELb0ELb0ES3_N6thrust23THRUST_200600_302600_NS6detail15normal_iteratorINS9_10device_ptrIjEEEENS9_16discard_iteratorINS9_11use_defaultEEEjNS9_4plusIvEEjEEDaPvRmT3_T4_T5_mT6_P12ihipStream_tbENKUlT_T0_E_clISt17integral_constantIbLb0EESW_IbLb1EEEEDaSS_ST_EUlSS_E_NS1_11comp_targetILNS1_3genE10ELNS1_11target_archE1201ELNS1_3gpuE5ELNS1_3repE0EEENS1_30default_config_static_selectorELNS0_4arch9wavefront6targetE1EEEvT1_
	.globl	_ZN7rocprim17ROCPRIM_400000_NS6detail17trampoline_kernelINS0_14default_configENS1_20scan_config_selectorIjEEZZNS1_9scan_implILNS1_25lookback_scan_determinismE0ELb0ELb0ES3_N6thrust23THRUST_200600_302600_NS6detail15normal_iteratorINS9_10device_ptrIjEEEENS9_16discard_iteratorINS9_11use_defaultEEEjNS9_4plusIvEEjEEDaPvRmT3_T4_T5_mT6_P12ihipStream_tbENKUlT_T0_E_clISt17integral_constantIbLb0EESW_IbLb1EEEEDaSS_ST_EUlSS_E_NS1_11comp_targetILNS1_3genE10ELNS1_11target_archE1201ELNS1_3gpuE5ELNS1_3repE0EEENS1_30default_config_static_selectorELNS0_4arch9wavefront6targetE1EEEvT1_
	.p2align	8
	.type	_ZN7rocprim17ROCPRIM_400000_NS6detail17trampoline_kernelINS0_14default_configENS1_20scan_config_selectorIjEEZZNS1_9scan_implILNS1_25lookback_scan_determinismE0ELb0ELb0ES3_N6thrust23THRUST_200600_302600_NS6detail15normal_iteratorINS9_10device_ptrIjEEEENS9_16discard_iteratorINS9_11use_defaultEEEjNS9_4plusIvEEjEEDaPvRmT3_T4_T5_mT6_P12ihipStream_tbENKUlT_T0_E_clISt17integral_constantIbLb0EESW_IbLb1EEEEDaSS_ST_EUlSS_E_NS1_11comp_targetILNS1_3genE10ELNS1_11target_archE1201ELNS1_3gpuE5ELNS1_3repE0EEENS1_30default_config_static_selectorELNS0_4arch9wavefront6targetE1EEEvT1_,@function
_ZN7rocprim17ROCPRIM_400000_NS6detail17trampoline_kernelINS0_14default_configENS1_20scan_config_selectorIjEEZZNS1_9scan_implILNS1_25lookback_scan_determinismE0ELb0ELb0ES3_N6thrust23THRUST_200600_302600_NS6detail15normal_iteratorINS9_10device_ptrIjEEEENS9_16discard_iteratorINS9_11use_defaultEEEjNS9_4plusIvEEjEEDaPvRmT3_T4_T5_mT6_P12ihipStream_tbENKUlT_T0_E_clISt17integral_constantIbLb0EESW_IbLb1EEEEDaSS_ST_EUlSS_E_NS1_11comp_targetILNS1_3genE10ELNS1_11target_archE1201ELNS1_3gpuE5ELNS1_3repE0EEENS1_30default_config_static_selectorELNS0_4arch9wavefront6targetE1EEEvT1_: ; @_ZN7rocprim17ROCPRIM_400000_NS6detail17trampoline_kernelINS0_14default_configENS1_20scan_config_selectorIjEEZZNS1_9scan_implILNS1_25lookback_scan_determinismE0ELb0ELb0ES3_N6thrust23THRUST_200600_302600_NS6detail15normal_iteratorINS9_10device_ptrIjEEEENS9_16discard_iteratorINS9_11use_defaultEEEjNS9_4plusIvEEjEEDaPvRmT3_T4_T5_mT6_P12ihipStream_tbENKUlT_T0_E_clISt17integral_constantIbLb0EESW_IbLb1EEEEDaSS_ST_EUlSS_E_NS1_11comp_targetILNS1_3genE10ELNS1_11target_archE1201ELNS1_3gpuE5ELNS1_3repE0EEENS1_30default_config_static_selectorELNS0_4arch9wavefront6targetE1EEEvT1_
; %bb.0:
	.section	.rodata,"a",@progbits
	.p2align	6, 0x0
	.amdhsa_kernel _ZN7rocprim17ROCPRIM_400000_NS6detail17trampoline_kernelINS0_14default_configENS1_20scan_config_selectorIjEEZZNS1_9scan_implILNS1_25lookback_scan_determinismE0ELb0ELb0ES3_N6thrust23THRUST_200600_302600_NS6detail15normal_iteratorINS9_10device_ptrIjEEEENS9_16discard_iteratorINS9_11use_defaultEEEjNS9_4plusIvEEjEEDaPvRmT3_T4_T5_mT6_P12ihipStream_tbENKUlT_T0_E_clISt17integral_constantIbLb0EESW_IbLb1EEEEDaSS_ST_EUlSS_E_NS1_11comp_targetILNS1_3genE10ELNS1_11target_archE1201ELNS1_3gpuE5ELNS1_3repE0EEENS1_30default_config_static_selectorELNS0_4arch9wavefront6targetE1EEEvT1_
		.amdhsa_group_segment_fixed_size 0
		.amdhsa_private_segment_fixed_size 0
		.amdhsa_kernarg_size 104
		.amdhsa_user_sgpr_count 6
		.amdhsa_user_sgpr_private_segment_buffer 1
		.amdhsa_user_sgpr_dispatch_ptr 0
		.amdhsa_user_sgpr_queue_ptr 0
		.amdhsa_user_sgpr_kernarg_segment_ptr 1
		.amdhsa_user_sgpr_dispatch_id 0
		.amdhsa_user_sgpr_flat_scratch_init 0
		.amdhsa_user_sgpr_kernarg_preload_length 0
		.amdhsa_user_sgpr_kernarg_preload_offset 0
		.amdhsa_user_sgpr_private_segment_size 0
		.amdhsa_uses_dynamic_stack 0
		.amdhsa_system_sgpr_private_segment_wavefront_offset 0
		.amdhsa_system_sgpr_workgroup_id_x 1
		.amdhsa_system_sgpr_workgroup_id_y 0
		.amdhsa_system_sgpr_workgroup_id_z 0
		.amdhsa_system_sgpr_workgroup_info 0
		.amdhsa_system_vgpr_workitem_id 0
		.amdhsa_next_free_vgpr 1
		.amdhsa_next_free_sgpr 0
		.amdhsa_accum_offset 4
		.amdhsa_reserve_vcc 0
		.amdhsa_reserve_flat_scratch 0
		.amdhsa_float_round_mode_32 0
		.amdhsa_float_round_mode_16_64 0
		.amdhsa_float_denorm_mode_32 3
		.amdhsa_float_denorm_mode_16_64 3
		.amdhsa_dx10_clamp 1
		.amdhsa_ieee_mode 1
		.amdhsa_fp16_overflow 0
		.amdhsa_tg_split 0
		.amdhsa_exception_fp_ieee_invalid_op 0
		.amdhsa_exception_fp_denorm_src 0
		.amdhsa_exception_fp_ieee_div_zero 0
		.amdhsa_exception_fp_ieee_overflow 0
		.amdhsa_exception_fp_ieee_underflow 0
		.amdhsa_exception_fp_ieee_inexact 0
		.amdhsa_exception_int_div_zero 0
	.end_amdhsa_kernel
	.section	.text._ZN7rocprim17ROCPRIM_400000_NS6detail17trampoline_kernelINS0_14default_configENS1_20scan_config_selectorIjEEZZNS1_9scan_implILNS1_25lookback_scan_determinismE0ELb0ELb0ES3_N6thrust23THRUST_200600_302600_NS6detail15normal_iteratorINS9_10device_ptrIjEEEENS9_16discard_iteratorINS9_11use_defaultEEEjNS9_4plusIvEEjEEDaPvRmT3_T4_T5_mT6_P12ihipStream_tbENKUlT_T0_E_clISt17integral_constantIbLb0EESW_IbLb1EEEEDaSS_ST_EUlSS_E_NS1_11comp_targetILNS1_3genE10ELNS1_11target_archE1201ELNS1_3gpuE5ELNS1_3repE0EEENS1_30default_config_static_selectorELNS0_4arch9wavefront6targetE1EEEvT1_,"axG",@progbits,_ZN7rocprim17ROCPRIM_400000_NS6detail17trampoline_kernelINS0_14default_configENS1_20scan_config_selectorIjEEZZNS1_9scan_implILNS1_25lookback_scan_determinismE0ELb0ELb0ES3_N6thrust23THRUST_200600_302600_NS6detail15normal_iteratorINS9_10device_ptrIjEEEENS9_16discard_iteratorINS9_11use_defaultEEEjNS9_4plusIvEEjEEDaPvRmT3_T4_T5_mT6_P12ihipStream_tbENKUlT_T0_E_clISt17integral_constantIbLb0EESW_IbLb1EEEEDaSS_ST_EUlSS_E_NS1_11comp_targetILNS1_3genE10ELNS1_11target_archE1201ELNS1_3gpuE5ELNS1_3repE0EEENS1_30default_config_static_selectorELNS0_4arch9wavefront6targetE1EEEvT1_,comdat
.Lfunc_end5353:
	.size	_ZN7rocprim17ROCPRIM_400000_NS6detail17trampoline_kernelINS0_14default_configENS1_20scan_config_selectorIjEEZZNS1_9scan_implILNS1_25lookback_scan_determinismE0ELb0ELb0ES3_N6thrust23THRUST_200600_302600_NS6detail15normal_iteratorINS9_10device_ptrIjEEEENS9_16discard_iteratorINS9_11use_defaultEEEjNS9_4plusIvEEjEEDaPvRmT3_T4_T5_mT6_P12ihipStream_tbENKUlT_T0_E_clISt17integral_constantIbLb0EESW_IbLb1EEEEDaSS_ST_EUlSS_E_NS1_11comp_targetILNS1_3genE10ELNS1_11target_archE1201ELNS1_3gpuE5ELNS1_3repE0EEENS1_30default_config_static_selectorELNS0_4arch9wavefront6targetE1EEEvT1_, .Lfunc_end5353-_ZN7rocprim17ROCPRIM_400000_NS6detail17trampoline_kernelINS0_14default_configENS1_20scan_config_selectorIjEEZZNS1_9scan_implILNS1_25lookback_scan_determinismE0ELb0ELb0ES3_N6thrust23THRUST_200600_302600_NS6detail15normal_iteratorINS9_10device_ptrIjEEEENS9_16discard_iteratorINS9_11use_defaultEEEjNS9_4plusIvEEjEEDaPvRmT3_T4_T5_mT6_P12ihipStream_tbENKUlT_T0_E_clISt17integral_constantIbLb0EESW_IbLb1EEEEDaSS_ST_EUlSS_E_NS1_11comp_targetILNS1_3genE10ELNS1_11target_archE1201ELNS1_3gpuE5ELNS1_3repE0EEENS1_30default_config_static_selectorELNS0_4arch9wavefront6targetE1EEEvT1_
                                        ; -- End function
	.section	.AMDGPU.csdata,"",@progbits
; Kernel info:
; codeLenInByte = 0
; NumSgprs: 4
; NumVgprs: 0
; NumAgprs: 0
; TotalNumVgprs: 0
; ScratchSize: 0
; MemoryBound: 0
; FloatMode: 240
; IeeeMode: 1
; LDSByteSize: 0 bytes/workgroup (compile time only)
; SGPRBlocks: 0
; VGPRBlocks: 0
; NumSGPRsForWavesPerEU: 4
; NumVGPRsForWavesPerEU: 1
; AccumOffset: 4
; Occupancy: 8
; WaveLimiterHint : 0
; COMPUTE_PGM_RSRC2:SCRATCH_EN: 0
; COMPUTE_PGM_RSRC2:USER_SGPR: 6
; COMPUTE_PGM_RSRC2:TRAP_HANDLER: 0
; COMPUTE_PGM_RSRC2:TGID_X_EN: 1
; COMPUTE_PGM_RSRC2:TGID_Y_EN: 0
; COMPUTE_PGM_RSRC2:TGID_Z_EN: 0
; COMPUTE_PGM_RSRC2:TIDIG_COMP_CNT: 0
; COMPUTE_PGM_RSRC3_GFX90A:ACCUM_OFFSET: 0
; COMPUTE_PGM_RSRC3_GFX90A:TG_SPLIT: 0
	.section	.text._ZN7rocprim17ROCPRIM_400000_NS6detail17trampoline_kernelINS0_14default_configENS1_20scan_config_selectorIjEEZZNS1_9scan_implILNS1_25lookback_scan_determinismE0ELb0ELb0ES3_N6thrust23THRUST_200600_302600_NS6detail15normal_iteratorINS9_10device_ptrIjEEEENS9_16discard_iteratorINS9_11use_defaultEEEjNS9_4plusIvEEjEEDaPvRmT3_T4_T5_mT6_P12ihipStream_tbENKUlT_T0_E_clISt17integral_constantIbLb0EESW_IbLb1EEEEDaSS_ST_EUlSS_E_NS1_11comp_targetILNS1_3genE10ELNS1_11target_archE1200ELNS1_3gpuE4ELNS1_3repE0EEENS1_30default_config_static_selectorELNS0_4arch9wavefront6targetE1EEEvT1_,"axG",@progbits,_ZN7rocprim17ROCPRIM_400000_NS6detail17trampoline_kernelINS0_14default_configENS1_20scan_config_selectorIjEEZZNS1_9scan_implILNS1_25lookback_scan_determinismE0ELb0ELb0ES3_N6thrust23THRUST_200600_302600_NS6detail15normal_iteratorINS9_10device_ptrIjEEEENS9_16discard_iteratorINS9_11use_defaultEEEjNS9_4plusIvEEjEEDaPvRmT3_T4_T5_mT6_P12ihipStream_tbENKUlT_T0_E_clISt17integral_constantIbLb0EESW_IbLb1EEEEDaSS_ST_EUlSS_E_NS1_11comp_targetILNS1_3genE10ELNS1_11target_archE1200ELNS1_3gpuE4ELNS1_3repE0EEENS1_30default_config_static_selectorELNS0_4arch9wavefront6targetE1EEEvT1_,comdat
	.protected	_ZN7rocprim17ROCPRIM_400000_NS6detail17trampoline_kernelINS0_14default_configENS1_20scan_config_selectorIjEEZZNS1_9scan_implILNS1_25lookback_scan_determinismE0ELb0ELb0ES3_N6thrust23THRUST_200600_302600_NS6detail15normal_iteratorINS9_10device_ptrIjEEEENS9_16discard_iteratorINS9_11use_defaultEEEjNS9_4plusIvEEjEEDaPvRmT3_T4_T5_mT6_P12ihipStream_tbENKUlT_T0_E_clISt17integral_constantIbLb0EESW_IbLb1EEEEDaSS_ST_EUlSS_E_NS1_11comp_targetILNS1_3genE10ELNS1_11target_archE1200ELNS1_3gpuE4ELNS1_3repE0EEENS1_30default_config_static_selectorELNS0_4arch9wavefront6targetE1EEEvT1_ ; -- Begin function _ZN7rocprim17ROCPRIM_400000_NS6detail17trampoline_kernelINS0_14default_configENS1_20scan_config_selectorIjEEZZNS1_9scan_implILNS1_25lookback_scan_determinismE0ELb0ELb0ES3_N6thrust23THRUST_200600_302600_NS6detail15normal_iteratorINS9_10device_ptrIjEEEENS9_16discard_iteratorINS9_11use_defaultEEEjNS9_4plusIvEEjEEDaPvRmT3_T4_T5_mT6_P12ihipStream_tbENKUlT_T0_E_clISt17integral_constantIbLb0EESW_IbLb1EEEEDaSS_ST_EUlSS_E_NS1_11comp_targetILNS1_3genE10ELNS1_11target_archE1200ELNS1_3gpuE4ELNS1_3repE0EEENS1_30default_config_static_selectorELNS0_4arch9wavefront6targetE1EEEvT1_
	.globl	_ZN7rocprim17ROCPRIM_400000_NS6detail17trampoline_kernelINS0_14default_configENS1_20scan_config_selectorIjEEZZNS1_9scan_implILNS1_25lookback_scan_determinismE0ELb0ELb0ES3_N6thrust23THRUST_200600_302600_NS6detail15normal_iteratorINS9_10device_ptrIjEEEENS9_16discard_iteratorINS9_11use_defaultEEEjNS9_4plusIvEEjEEDaPvRmT3_T4_T5_mT6_P12ihipStream_tbENKUlT_T0_E_clISt17integral_constantIbLb0EESW_IbLb1EEEEDaSS_ST_EUlSS_E_NS1_11comp_targetILNS1_3genE10ELNS1_11target_archE1200ELNS1_3gpuE4ELNS1_3repE0EEENS1_30default_config_static_selectorELNS0_4arch9wavefront6targetE1EEEvT1_
	.p2align	8
	.type	_ZN7rocprim17ROCPRIM_400000_NS6detail17trampoline_kernelINS0_14default_configENS1_20scan_config_selectorIjEEZZNS1_9scan_implILNS1_25lookback_scan_determinismE0ELb0ELb0ES3_N6thrust23THRUST_200600_302600_NS6detail15normal_iteratorINS9_10device_ptrIjEEEENS9_16discard_iteratorINS9_11use_defaultEEEjNS9_4plusIvEEjEEDaPvRmT3_T4_T5_mT6_P12ihipStream_tbENKUlT_T0_E_clISt17integral_constantIbLb0EESW_IbLb1EEEEDaSS_ST_EUlSS_E_NS1_11comp_targetILNS1_3genE10ELNS1_11target_archE1200ELNS1_3gpuE4ELNS1_3repE0EEENS1_30default_config_static_selectorELNS0_4arch9wavefront6targetE1EEEvT1_,@function
_ZN7rocprim17ROCPRIM_400000_NS6detail17trampoline_kernelINS0_14default_configENS1_20scan_config_selectorIjEEZZNS1_9scan_implILNS1_25lookback_scan_determinismE0ELb0ELb0ES3_N6thrust23THRUST_200600_302600_NS6detail15normal_iteratorINS9_10device_ptrIjEEEENS9_16discard_iteratorINS9_11use_defaultEEEjNS9_4plusIvEEjEEDaPvRmT3_T4_T5_mT6_P12ihipStream_tbENKUlT_T0_E_clISt17integral_constantIbLb0EESW_IbLb1EEEEDaSS_ST_EUlSS_E_NS1_11comp_targetILNS1_3genE10ELNS1_11target_archE1200ELNS1_3gpuE4ELNS1_3repE0EEENS1_30default_config_static_selectorELNS0_4arch9wavefront6targetE1EEEvT1_: ; @_ZN7rocprim17ROCPRIM_400000_NS6detail17trampoline_kernelINS0_14default_configENS1_20scan_config_selectorIjEEZZNS1_9scan_implILNS1_25lookback_scan_determinismE0ELb0ELb0ES3_N6thrust23THRUST_200600_302600_NS6detail15normal_iteratorINS9_10device_ptrIjEEEENS9_16discard_iteratorINS9_11use_defaultEEEjNS9_4plusIvEEjEEDaPvRmT3_T4_T5_mT6_P12ihipStream_tbENKUlT_T0_E_clISt17integral_constantIbLb0EESW_IbLb1EEEEDaSS_ST_EUlSS_E_NS1_11comp_targetILNS1_3genE10ELNS1_11target_archE1200ELNS1_3gpuE4ELNS1_3repE0EEENS1_30default_config_static_selectorELNS0_4arch9wavefront6targetE1EEEvT1_
; %bb.0:
	.section	.rodata,"a",@progbits
	.p2align	6, 0x0
	.amdhsa_kernel _ZN7rocprim17ROCPRIM_400000_NS6detail17trampoline_kernelINS0_14default_configENS1_20scan_config_selectorIjEEZZNS1_9scan_implILNS1_25lookback_scan_determinismE0ELb0ELb0ES3_N6thrust23THRUST_200600_302600_NS6detail15normal_iteratorINS9_10device_ptrIjEEEENS9_16discard_iteratorINS9_11use_defaultEEEjNS9_4plusIvEEjEEDaPvRmT3_T4_T5_mT6_P12ihipStream_tbENKUlT_T0_E_clISt17integral_constantIbLb0EESW_IbLb1EEEEDaSS_ST_EUlSS_E_NS1_11comp_targetILNS1_3genE10ELNS1_11target_archE1200ELNS1_3gpuE4ELNS1_3repE0EEENS1_30default_config_static_selectorELNS0_4arch9wavefront6targetE1EEEvT1_
		.amdhsa_group_segment_fixed_size 0
		.amdhsa_private_segment_fixed_size 0
		.amdhsa_kernarg_size 104
		.amdhsa_user_sgpr_count 6
		.amdhsa_user_sgpr_private_segment_buffer 1
		.amdhsa_user_sgpr_dispatch_ptr 0
		.amdhsa_user_sgpr_queue_ptr 0
		.amdhsa_user_sgpr_kernarg_segment_ptr 1
		.amdhsa_user_sgpr_dispatch_id 0
		.amdhsa_user_sgpr_flat_scratch_init 0
		.amdhsa_user_sgpr_kernarg_preload_length 0
		.amdhsa_user_sgpr_kernarg_preload_offset 0
		.amdhsa_user_sgpr_private_segment_size 0
		.amdhsa_uses_dynamic_stack 0
		.amdhsa_system_sgpr_private_segment_wavefront_offset 0
		.amdhsa_system_sgpr_workgroup_id_x 1
		.amdhsa_system_sgpr_workgroup_id_y 0
		.amdhsa_system_sgpr_workgroup_id_z 0
		.amdhsa_system_sgpr_workgroup_info 0
		.amdhsa_system_vgpr_workitem_id 0
		.amdhsa_next_free_vgpr 1
		.amdhsa_next_free_sgpr 0
		.amdhsa_accum_offset 4
		.amdhsa_reserve_vcc 0
		.amdhsa_reserve_flat_scratch 0
		.amdhsa_float_round_mode_32 0
		.amdhsa_float_round_mode_16_64 0
		.amdhsa_float_denorm_mode_32 3
		.amdhsa_float_denorm_mode_16_64 3
		.amdhsa_dx10_clamp 1
		.amdhsa_ieee_mode 1
		.amdhsa_fp16_overflow 0
		.amdhsa_tg_split 0
		.amdhsa_exception_fp_ieee_invalid_op 0
		.amdhsa_exception_fp_denorm_src 0
		.amdhsa_exception_fp_ieee_div_zero 0
		.amdhsa_exception_fp_ieee_overflow 0
		.amdhsa_exception_fp_ieee_underflow 0
		.amdhsa_exception_fp_ieee_inexact 0
		.amdhsa_exception_int_div_zero 0
	.end_amdhsa_kernel
	.section	.text._ZN7rocprim17ROCPRIM_400000_NS6detail17trampoline_kernelINS0_14default_configENS1_20scan_config_selectorIjEEZZNS1_9scan_implILNS1_25lookback_scan_determinismE0ELb0ELb0ES3_N6thrust23THRUST_200600_302600_NS6detail15normal_iteratorINS9_10device_ptrIjEEEENS9_16discard_iteratorINS9_11use_defaultEEEjNS9_4plusIvEEjEEDaPvRmT3_T4_T5_mT6_P12ihipStream_tbENKUlT_T0_E_clISt17integral_constantIbLb0EESW_IbLb1EEEEDaSS_ST_EUlSS_E_NS1_11comp_targetILNS1_3genE10ELNS1_11target_archE1200ELNS1_3gpuE4ELNS1_3repE0EEENS1_30default_config_static_selectorELNS0_4arch9wavefront6targetE1EEEvT1_,"axG",@progbits,_ZN7rocprim17ROCPRIM_400000_NS6detail17trampoline_kernelINS0_14default_configENS1_20scan_config_selectorIjEEZZNS1_9scan_implILNS1_25lookback_scan_determinismE0ELb0ELb0ES3_N6thrust23THRUST_200600_302600_NS6detail15normal_iteratorINS9_10device_ptrIjEEEENS9_16discard_iteratorINS9_11use_defaultEEEjNS9_4plusIvEEjEEDaPvRmT3_T4_T5_mT6_P12ihipStream_tbENKUlT_T0_E_clISt17integral_constantIbLb0EESW_IbLb1EEEEDaSS_ST_EUlSS_E_NS1_11comp_targetILNS1_3genE10ELNS1_11target_archE1200ELNS1_3gpuE4ELNS1_3repE0EEENS1_30default_config_static_selectorELNS0_4arch9wavefront6targetE1EEEvT1_,comdat
.Lfunc_end5354:
	.size	_ZN7rocprim17ROCPRIM_400000_NS6detail17trampoline_kernelINS0_14default_configENS1_20scan_config_selectorIjEEZZNS1_9scan_implILNS1_25lookback_scan_determinismE0ELb0ELb0ES3_N6thrust23THRUST_200600_302600_NS6detail15normal_iteratorINS9_10device_ptrIjEEEENS9_16discard_iteratorINS9_11use_defaultEEEjNS9_4plusIvEEjEEDaPvRmT3_T4_T5_mT6_P12ihipStream_tbENKUlT_T0_E_clISt17integral_constantIbLb0EESW_IbLb1EEEEDaSS_ST_EUlSS_E_NS1_11comp_targetILNS1_3genE10ELNS1_11target_archE1200ELNS1_3gpuE4ELNS1_3repE0EEENS1_30default_config_static_selectorELNS0_4arch9wavefront6targetE1EEEvT1_, .Lfunc_end5354-_ZN7rocprim17ROCPRIM_400000_NS6detail17trampoline_kernelINS0_14default_configENS1_20scan_config_selectorIjEEZZNS1_9scan_implILNS1_25lookback_scan_determinismE0ELb0ELb0ES3_N6thrust23THRUST_200600_302600_NS6detail15normal_iteratorINS9_10device_ptrIjEEEENS9_16discard_iteratorINS9_11use_defaultEEEjNS9_4plusIvEEjEEDaPvRmT3_T4_T5_mT6_P12ihipStream_tbENKUlT_T0_E_clISt17integral_constantIbLb0EESW_IbLb1EEEEDaSS_ST_EUlSS_E_NS1_11comp_targetILNS1_3genE10ELNS1_11target_archE1200ELNS1_3gpuE4ELNS1_3repE0EEENS1_30default_config_static_selectorELNS0_4arch9wavefront6targetE1EEEvT1_
                                        ; -- End function
	.section	.AMDGPU.csdata,"",@progbits
; Kernel info:
; codeLenInByte = 0
; NumSgprs: 4
; NumVgprs: 0
; NumAgprs: 0
; TotalNumVgprs: 0
; ScratchSize: 0
; MemoryBound: 0
; FloatMode: 240
; IeeeMode: 1
; LDSByteSize: 0 bytes/workgroup (compile time only)
; SGPRBlocks: 0
; VGPRBlocks: 0
; NumSGPRsForWavesPerEU: 4
; NumVGPRsForWavesPerEU: 1
; AccumOffset: 4
; Occupancy: 8
; WaveLimiterHint : 0
; COMPUTE_PGM_RSRC2:SCRATCH_EN: 0
; COMPUTE_PGM_RSRC2:USER_SGPR: 6
; COMPUTE_PGM_RSRC2:TRAP_HANDLER: 0
; COMPUTE_PGM_RSRC2:TGID_X_EN: 1
; COMPUTE_PGM_RSRC2:TGID_Y_EN: 0
; COMPUTE_PGM_RSRC2:TGID_Z_EN: 0
; COMPUTE_PGM_RSRC2:TIDIG_COMP_CNT: 0
; COMPUTE_PGM_RSRC3_GFX90A:ACCUM_OFFSET: 0
; COMPUTE_PGM_RSRC3_GFX90A:TG_SPLIT: 0
	.section	.text._ZN7rocprim17ROCPRIM_400000_NS6detail17trampoline_kernelINS0_14default_configENS1_20scan_config_selectorIjEEZZNS1_9scan_implILNS1_25lookback_scan_determinismE0ELb0ELb0ES3_N6thrust23THRUST_200600_302600_NS6detail15normal_iteratorINS9_10device_ptrIjEEEENS9_16discard_iteratorINS9_11use_defaultEEEjNS9_4plusIvEEjEEDaPvRmT3_T4_T5_mT6_P12ihipStream_tbENKUlT_T0_E_clISt17integral_constantIbLb0EESW_IbLb1EEEEDaSS_ST_EUlSS_E_NS1_11comp_targetILNS1_3genE9ELNS1_11target_archE1100ELNS1_3gpuE3ELNS1_3repE0EEENS1_30default_config_static_selectorELNS0_4arch9wavefront6targetE1EEEvT1_,"axG",@progbits,_ZN7rocprim17ROCPRIM_400000_NS6detail17trampoline_kernelINS0_14default_configENS1_20scan_config_selectorIjEEZZNS1_9scan_implILNS1_25lookback_scan_determinismE0ELb0ELb0ES3_N6thrust23THRUST_200600_302600_NS6detail15normal_iteratorINS9_10device_ptrIjEEEENS9_16discard_iteratorINS9_11use_defaultEEEjNS9_4plusIvEEjEEDaPvRmT3_T4_T5_mT6_P12ihipStream_tbENKUlT_T0_E_clISt17integral_constantIbLb0EESW_IbLb1EEEEDaSS_ST_EUlSS_E_NS1_11comp_targetILNS1_3genE9ELNS1_11target_archE1100ELNS1_3gpuE3ELNS1_3repE0EEENS1_30default_config_static_selectorELNS0_4arch9wavefront6targetE1EEEvT1_,comdat
	.protected	_ZN7rocprim17ROCPRIM_400000_NS6detail17trampoline_kernelINS0_14default_configENS1_20scan_config_selectorIjEEZZNS1_9scan_implILNS1_25lookback_scan_determinismE0ELb0ELb0ES3_N6thrust23THRUST_200600_302600_NS6detail15normal_iteratorINS9_10device_ptrIjEEEENS9_16discard_iteratorINS9_11use_defaultEEEjNS9_4plusIvEEjEEDaPvRmT3_T4_T5_mT6_P12ihipStream_tbENKUlT_T0_E_clISt17integral_constantIbLb0EESW_IbLb1EEEEDaSS_ST_EUlSS_E_NS1_11comp_targetILNS1_3genE9ELNS1_11target_archE1100ELNS1_3gpuE3ELNS1_3repE0EEENS1_30default_config_static_selectorELNS0_4arch9wavefront6targetE1EEEvT1_ ; -- Begin function _ZN7rocprim17ROCPRIM_400000_NS6detail17trampoline_kernelINS0_14default_configENS1_20scan_config_selectorIjEEZZNS1_9scan_implILNS1_25lookback_scan_determinismE0ELb0ELb0ES3_N6thrust23THRUST_200600_302600_NS6detail15normal_iteratorINS9_10device_ptrIjEEEENS9_16discard_iteratorINS9_11use_defaultEEEjNS9_4plusIvEEjEEDaPvRmT3_T4_T5_mT6_P12ihipStream_tbENKUlT_T0_E_clISt17integral_constantIbLb0EESW_IbLb1EEEEDaSS_ST_EUlSS_E_NS1_11comp_targetILNS1_3genE9ELNS1_11target_archE1100ELNS1_3gpuE3ELNS1_3repE0EEENS1_30default_config_static_selectorELNS0_4arch9wavefront6targetE1EEEvT1_
	.globl	_ZN7rocprim17ROCPRIM_400000_NS6detail17trampoline_kernelINS0_14default_configENS1_20scan_config_selectorIjEEZZNS1_9scan_implILNS1_25lookback_scan_determinismE0ELb0ELb0ES3_N6thrust23THRUST_200600_302600_NS6detail15normal_iteratorINS9_10device_ptrIjEEEENS9_16discard_iteratorINS9_11use_defaultEEEjNS9_4plusIvEEjEEDaPvRmT3_T4_T5_mT6_P12ihipStream_tbENKUlT_T0_E_clISt17integral_constantIbLb0EESW_IbLb1EEEEDaSS_ST_EUlSS_E_NS1_11comp_targetILNS1_3genE9ELNS1_11target_archE1100ELNS1_3gpuE3ELNS1_3repE0EEENS1_30default_config_static_selectorELNS0_4arch9wavefront6targetE1EEEvT1_
	.p2align	8
	.type	_ZN7rocprim17ROCPRIM_400000_NS6detail17trampoline_kernelINS0_14default_configENS1_20scan_config_selectorIjEEZZNS1_9scan_implILNS1_25lookback_scan_determinismE0ELb0ELb0ES3_N6thrust23THRUST_200600_302600_NS6detail15normal_iteratorINS9_10device_ptrIjEEEENS9_16discard_iteratorINS9_11use_defaultEEEjNS9_4plusIvEEjEEDaPvRmT3_T4_T5_mT6_P12ihipStream_tbENKUlT_T0_E_clISt17integral_constantIbLb0EESW_IbLb1EEEEDaSS_ST_EUlSS_E_NS1_11comp_targetILNS1_3genE9ELNS1_11target_archE1100ELNS1_3gpuE3ELNS1_3repE0EEENS1_30default_config_static_selectorELNS0_4arch9wavefront6targetE1EEEvT1_,@function
_ZN7rocprim17ROCPRIM_400000_NS6detail17trampoline_kernelINS0_14default_configENS1_20scan_config_selectorIjEEZZNS1_9scan_implILNS1_25lookback_scan_determinismE0ELb0ELb0ES3_N6thrust23THRUST_200600_302600_NS6detail15normal_iteratorINS9_10device_ptrIjEEEENS9_16discard_iteratorINS9_11use_defaultEEEjNS9_4plusIvEEjEEDaPvRmT3_T4_T5_mT6_P12ihipStream_tbENKUlT_T0_E_clISt17integral_constantIbLb0EESW_IbLb1EEEEDaSS_ST_EUlSS_E_NS1_11comp_targetILNS1_3genE9ELNS1_11target_archE1100ELNS1_3gpuE3ELNS1_3repE0EEENS1_30default_config_static_selectorELNS0_4arch9wavefront6targetE1EEEvT1_: ; @_ZN7rocprim17ROCPRIM_400000_NS6detail17trampoline_kernelINS0_14default_configENS1_20scan_config_selectorIjEEZZNS1_9scan_implILNS1_25lookback_scan_determinismE0ELb0ELb0ES3_N6thrust23THRUST_200600_302600_NS6detail15normal_iteratorINS9_10device_ptrIjEEEENS9_16discard_iteratorINS9_11use_defaultEEEjNS9_4plusIvEEjEEDaPvRmT3_T4_T5_mT6_P12ihipStream_tbENKUlT_T0_E_clISt17integral_constantIbLb0EESW_IbLb1EEEEDaSS_ST_EUlSS_E_NS1_11comp_targetILNS1_3genE9ELNS1_11target_archE1100ELNS1_3gpuE3ELNS1_3repE0EEENS1_30default_config_static_selectorELNS0_4arch9wavefront6targetE1EEEvT1_
; %bb.0:
	.section	.rodata,"a",@progbits
	.p2align	6, 0x0
	.amdhsa_kernel _ZN7rocprim17ROCPRIM_400000_NS6detail17trampoline_kernelINS0_14default_configENS1_20scan_config_selectorIjEEZZNS1_9scan_implILNS1_25lookback_scan_determinismE0ELb0ELb0ES3_N6thrust23THRUST_200600_302600_NS6detail15normal_iteratorINS9_10device_ptrIjEEEENS9_16discard_iteratorINS9_11use_defaultEEEjNS9_4plusIvEEjEEDaPvRmT3_T4_T5_mT6_P12ihipStream_tbENKUlT_T0_E_clISt17integral_constantIbLb0EESW_IbLb1EEEEDaSS_ST_EUlSS_E_NS1_11comp_targetILNS1_3genE9ELNS1_11target_archE1100ELNS1_3gpuE3ELNS1_3repE0EEENS1_30default_config_static_selectorELNS0_4arch9wavefront6targetE1EEEvT1_
		.amdhsa_group_segment_fixed_size 0
		.amdhsa_private_segment_fixed_size 0
		.amdhsa_kernarg_size 104
		.amdhsa_user_sgpr_count 6
		.amdhsa_user_sgpr_private_segment_buffer 1
		.amdhsa_user_sgpr_dispatch_ptr 0
		.amdhsa_user_sgpr_queue_ptr 0
		.amdhsa_user_sgpr_kernarg_segment_ptr 1
		.amdhsa_user_sgpr_dispatch_id 0
		.amdhsa_user_sgpr_flat_scratch_init 0
		.amdhsa_user_sgpr_kernarg_preload_length 0
		.amdhsa_user_sgpr_kernarg_preload_offset 0
		.amdhsa_user_sgpr_private_segment_size 0
		.amdhsa_uses_dynamic_stack 0
		.amdhsa_system_sgpr_private_segment_wavefront_offset 0
		.amdhsa_system_sgpr_workgroup_id_x 1
		.amdhsa_system_sgpr_workgroup_id_y 0
		.amdhsa_system_sgpr_workgroup_id_z 0
		.amdhsa_system_sgpr_workgroup_info 0
		.amdhsa_system_vgpr_workitem_id 0
		.amdhsa_next_free_vgpr 1
		.amdhsa_next_free_sgpr 0
		.amdhsa_accum_offset 4
		.amdhsa_reserve_vcc 0
		.amdhsa_reserve_flat_scratch 0
		.amdhsa_float_round_mode_32 0
		.amdhsa_float_round_mode_16_64 0
		.amdhsa_float_denorm_mode_32 3
		.amdhsa_float_denorm_mode_16_64 3
		.amdhsa_dx10_clamp 1
		.amdhsa_ieee_mode 1
		.amdhsa_fp16_overflow 0
		.amdhsa_tg_split 0
		.amdhsa_exception_fp_ieee_invalid_op 0
		.amdhsa_exception_fp_denorm_src 0
		.amdhsa_exception_fp_ieee_div_zero 0
		.amdhsa_exception_fp_ieee_overflow 0
		.amdhsa_exception_fp_ieee_underflow 0
		.amdhsa_exception_fp_ieee_inexact 0
		.amdhsa_exception_int_div_zero 0
	.end_amdhsa_kernel
	.section	.text._ZN7rocprim17ROCPRIM_400000_NS6detail17trampoline_kernelINS0_14default_configENS1_20scan_config_selectorIjEEZZNS1_9scan_implILNS1_25lookback_scan_determinismE0ELb0ELb0ES3_N6thrust23THRUST_200600_302600_NS6detail15normal_iteratorINS9_10device_ptrIjEEEENS9_16discard_iteratorINS9_11use_defaultEEEjNS9_4plusIvEEjEEDaPvRmT3_T4_T5_mT6_P12ihipStream_tbENKUlT_T0_E_clISt17integral_constantIbLb0EESW_IbLb1EEEEDaSS_ST_EUlSS_E_NS1_11comp_targetILNS1_3genE9ELNS1_11target_archE1100ELNS1_3gpuE3ELNS1_3repE0EEENS1_30default_config_static_selectorELNS0_4arch9wavefront6targetE1EEEvT1_,"axG",@progbits,_ZN7rocprim17ROCPRIM_400000_NS6detail17trampoline_kernelINS0_14default_configENS1_20scan_config_selectorIjEEZZNS1_9scan_implILNS1_25lookback_scan_determinismE0ELb0ELb0ES3_N6thrust23THRUST_200600_302600_NS6detail15normal_iteratorINS9_10device_ptrIjEEEENS9_16discard_iteratorINS9_11use_defaultEEEjNS9_4plusIvEEjEEDaPvRmT3_T4_T5_mT6_P12ihipStream_tbENKUlT_T0_E_clISt17integral_constantIbLb0EESW_IbLb1EEEEDaSS_ST_EUlSS_E_NS1_11comp_targetILNS1_3genE9ELNS1_11target_archE1100ELNS1_3gpuE3ELNS1_3repE0EEENS1_30default_config_static_selectorELNS0_4arch9wavefront6targetE1EEEvT1_,comdat
.Lfunc_end5355:
	.size	_ZN7rocprim17ROCPRIM_400000_NS6detail17trampoline_kernelINS0_14default_configENS1_20scan_config_selectorIjEEZZNS1_9scan_implILNS1_25lookback_scan_determinismE0ELb0ELb0ES3_N6thrust23THRUST_200600_302600_NS6detail15normal_iteratorINS9_10device_ptrIjEEEENS9_16discard_iteratorINS9_11use_defaultEEEjNS9_4plusIvEEjEEDaPvRmT3_T4_T5_mT6_P12ihipStream_tbENKUlT_T0_E_clISt17integral_constantIbLb0EESW_IbLb1EEEEDaSS_ST_EUlSS_E_NS1_11comp_targetILNS1_3genE9ELNS1_11target_archE1100ELNS1_3gpuE3ELNS1_3repE0EEENS1_30default_config_static_selectorELNS0_4arch9wavefront6targetE1EEEvT1_, .Lfunc_end5355-_ZN7rocprim17ROCPRIM_400000_NS6detail17trampoline_kernelINS0_14default_configENS1_20scan_config_selectorIjEEZZNS1_9scan_implILNS1_25lookback_scan_determinismE0ELb0ELb0ES3_N6thrust23THRUST_200600_302600_NS6detail15normal_iteratorINS9_10device_ptrIjEEEENS9_16discard_iteratorINS9_11use_defaultEEEjNS9_4plusIvEEjEEDaPvRmT3_T4_T5_mT6_P12ihipStream_tbENKUlT_T0_E_clISt17integral_constantIbLb0EESW_IbLb1EEEEDaSS_ST_EUlSS_E_NS1_11comp_targetILNS1_3genE9ELNS1_11target_archE1100ELNS1_3gpuE3ELNS1_3repE0EEENS1_30default_config_static_selectorELNS0_4arch9wavefront6targetE1EEEvT1_
                                        ; -- End function
	.section	.AMDGPU.csdata,"",@progbits
; Kernel info:
; codeLenInByte = 0
; NumSgprs: 4
; NumVgprs: 0
; NumAgprs: 0
; TotalNumVgprs: 0
; ScratchSize: 0
; MemoryBound: 0
; FloatMode: 240
; IeeeMode: 1
; LDSByteSize: 0 bytes/workgroup (compile time only)
; SGPRBlocks: 0
; VGPRBlocks: 0
; NumSGPRsForWavesPerEU: 4
; NumVGPRsForWavesPerEU: 1
; AccumOffset: 4
; Occupancy: 8
; WaveLimiterHint : 0
; COMPUTE_PGM_RSRC2:SCRATCH_EN: 0
; COMPUTE_PGM_RSRC2:USER_SGPR: 6
; COMPUTE_PGM_RSRC2:TRAP_HANDLER: 0
; COMPUTE_PGM_RSRC2:TGID_X_EN: 1
; COMPUTE_PGM_RSRC2:TGID_Y_EN: 0
; COMPUTE_PGM_RSRC2:TGID_Z_EN: 0
; COMPUTE_PGM_RSRC2:TIDIG_COMP_CNT: 0
; COMPUTE_PGM_RSRC3_GFX90A:ACCUM_OFFSET: 0
; COMPUTE_PGM_RSRC3_GFX90A:TG_SPLIT: 0
	.section	.text._ZN7rocprim17ROCPRIM_400000_NS6detail17trampoline_kernelINS0_14default_configENS1_20scan_config_selectorIjEEZZNS1_9scan_implILNS1_25lookback_scan_determinismE0ELb0ELb0ES3_N6thrust23THRUST_200600_302600_NS6detail15normal_iteratorINS9_10device_ptrIjEEEENS9_16discard_iteratorINS9_11use_defaultEEEjNS9_4plusIvEEjEEDaPvRmT3_T4_T5_mT6_P12ihipStream_tbENKUlT_T0_E_clISt17integral_constantIbLb0EESW_IbLb1EEEEDaSS_ST_EUlSS_E_NS1_11comp_targetILNS1_3genE8ELNS1_11target_archE1030ELNS1_3gpuE2ELNS1_3repE0EEENS1_30default_config_static_selectorELNS0_4arch9wavefront6targetE1EEEvT1_,"axG",@progbits,_ZN7rocprim17ROCPRIM_400000_NS6detail17trampoline_kernelINS0_14default_configENS1_20scan_config_selectorIjEEZZNS1_9scan_implILNS1_25lookback_scan_determinismE0ELb0ELb0ES3_N6thrust23THRUST_200600_302600_NS6detail15normal_iteratorINS9_10device_ptrIjEEEENS9_16discard_iteratorINS9_11use_defaultEEEjNS9_4plusIvEEjEEDaPvRmT3_T4_T5_mT6_P12ihipStream_tbENKUlT_T0_E_clISt17integral_constantIbLb0EESW_IbLb1EEEEDaSS_ST_EUlSS_E_NS1_11comp_targetILNS1_3genE8ELNS1_11target_archE1030ELNS1_3gpuE2ELNS1_3repE0EEENS1_30default_config_static_selectorELNS0_4arch9wavefront6targetE1EEEvT1_,comdat
	.protected	_ZN7rocprim17ROCPRIM_400000_NS6detail17trampoline_kernelINS0_14default_configENS1_20scan_config_selectorIjEEZZNS1_9scan_implILNS1_25lookback_scan_determinismE0ELb0ELb0ES3_N6thrust23THRUST_200600_302600_NS6detail15normal_iteratorINS9_10device_ptrIjEEEENS9_16discard_iteratorINS9_11use_defaultEEEjNS9_4plusIvEEjEEDaPvRmT3_T4_T5_mT6_P12ihipStream_tbENKUlT_T0_E_clISt17integral_constantIbLb0EESW_IbLb1EEEEDaSS_ST_EUlSS_E_NS1_11comp_targetILNS1_3genE8ELNS1_11target_archE1030ELNS1_3gpuE2ELNS1_3repE0EEENS1_30default_config_static_selectorELNS0_4arch9wavefront6targetE1EEEvT1_ ; -- Begin function _ZN7rocprim17ROCPRIM_400000_NS6detail17trampoline_kernelINS0_14default_configENS1_20scan_config_selectorIjEEZZNS1_9scan_implILNS1_25lookback_scan_determinismE0ELb0ELb0ES3_N6thrust23THRUST_200600_302600_NS6detail15normal_iteratorINS9_10device_ptrIjEEEENS9_16discard_iteratorINS9_11use_defaultEEEjNS9_4plusIvEEjEEDaPvRmT3_T4_T5_mT6_P12ihipStream_tbENKUlT_T0_E_clISt17integral_constantIbLb0EESW_IbLb1EEEEDaSS_ST_EUlSS_E_NS1_11comp_targetILNS1_3genE8ELNS1_11target_archE1030ELNS1_3gpuE2ELNS1_3repE0EEENS1_30default_config_static_selectorELNS0_4arch9wavefront6targetE1EEEvT1_
	.globl	_ZN7rocprim17ROCPRIM_400000_NS6detail17trampoline_kernelINS0_14default_configENS1_20scan_config_selectorIjEEZZNS1_9scan_implILNS1_25lookback_scan_determinismE0ELb0ELb0ES3_N6thrust23THRUST_200600_302600_NS6detail15normal_iteratorINS9_10device_ptrIjEEEENS9_16discard_iteratorINS9_11use_defaultEEEjNS9_4plusIvEEjEEDaPvRmT3_T4_T5_mT6_P12ihipStream_tbENKUlT_T0_E_clISt17integral_constantIbLb0EESW_IbLb1EEEEDaSS_ST_EUlSS_E_NS1_11comp_targetILNS1_3genE8ELNS1_11target_archE1030ELNS1_3gpuE2ELNS1_3repE0EEENS1_30default_config_static_selectorELNS0_4arch9wavefront6targetE1EEEvT1_
	.p2align	8
	.type	_ZN7rocprim17ROCPRIM_400000_NS6detail17trampoline_kernelINS0_14default_configENS1_20scan_config_selectorIjEEZZNS1_9scan_implILNS1_25lookback_scan_determinismE0ELb0ELb0ES3_N6thrust23THRUST_200600_302600_NS6detail15normal_iteratorINS9_10device_ptrIjEEEENS9_16discard_iteratorINS9_11use_defaultEEEjNS9_4plusIvEEjEEDaPvRmT3_T4_T5_mT6_P12ihipStream_tbENKUlT_T0_E_clISt17integral_constantIbLb0EESW_IbLb1EEEEDaSS_ST_EUlSS_E_NS1_11comp_targetILNS1_3genE8ELNS1_11target_archE1030ELNS1_3gpuE2ELNS1_3repE0EEENS1_30default_config_static_selectorELNS0_4arch9wavefront6targetE1EEEvT1_,@function
_ZN7rocprim17ROCPRIM_400000_NS6detail17trampoline_kernelINS0_14default_configENS1_20scan_config_selectorIjEEZZNS1_9scan_implILNS1_25lookback_scan_determinismE0ELb0ELb0ES3_N6thrust23THRUST_200600_302600_NS6detail15normal_iteratorINS9_10device_ptrIjEEEENS9_16discard_iteratorINS9_11use_defaultEEEjNS9_4plusIvEEjEEDaPvRmT3_T4_T5_mT6_P12ihipStream_tbENKUlT_T0_E_clISt17integral_constantIbLb0EESW_IbLb1EEEEDaSS_ST_EUlSS_E_NS1_11comp_targetILNS1_3genE8ELNS1_11target_archE1030ELNS1_3gpuE2ELNS1_3repE0EEENS1_30default_config_static_selectorELNS0_4arch9wavefront6targetE1EEEvT1_: ; @_ZN7rocprim17ROCPRIM_400000_NS6detail17trampoline_kernelINS0_14default_configENS1_20scan_config_selectorIjEEZZNS1_9scan_implILNS1_25lookback_scan_determinismE0ELb0ELb0ES3_N6thrust23THRUST_200600_302600_NS6detail15normal_iteratorINS9_10device_ptrIjEEEENS9_16discard_iteratorINS9_11use_defaultEEEjNS9_4plusIvEEjEEDaPvRmT3_T4_T5_mT6_P12ihipStream_tbENKUlT_T0_E_clISt17integral_constantIbLb0EESW_IbLb1EEEEDaSS_ST_EUlSS_E_NS1_11comp_targetILNS1_3genE8ELNS1_11target_archE1030ELNS1_3gpuE2ELNS1_3repE0EEENS1_30default_config_static_selectorELNS0_4arch9wavefront6targetE1EEEvT1_
; %bb.0:
	.section	.rodata,"a",@progbits
	.p2align	6, 0x0
	.amdhsa_kernel _ZN7rocprim17ROCPRIM_400000_NS6detail17trampoline_kernelINS0_14default_configENS1_20scan_config_selectorIjEEZZNS1_9scan_implILNS1_25lookback_scan_determinismE0ELb0ELb0ES3_N6thrust23THRUST_200600_302600_NS6detail15normal_iteratorINS9_10device_ptrIjEEEENS9_16discard_iteratorINS9_11use_defaultEEEjNS9_4plusIvEEjEEDaPvRmT3_T4_T5_mT6_P12ihipStream_tbENKUlT_T0_E_clISt17integral_constantIbLb0EESW_IbLb1EEEEDaSS_ST_EUlSS_E_NS1_11comp_targetILNS1_3genE8ELNS1_11target_archE1030ELNS1_3gpuE2ELNS1_3repE0EEENS1_30default_config_static_selectorELNS0_4arch9wavefront6targetE1EEEvT1_
		.amdhsa_group_segment_fixed_size 0
		.amdhsa_private_segment_fixed_size 0
		.amdhsa_kernarg_size 104
		.amdhsa_user_sgpr_count 6
		.amdhsa_user_sgpr_private_segment_buffer 1
		.amdhsa_user_sgpr_dispatch_ptr 0
		.amdhsa_user_sgpr_queue_ptr 0
		.amdhsa_user_sgpr_kernarg_segment_ptr 1
		.amdhsa_user_sgpr_dispatch_id 0
		.amdhsa_user_sgpr_flat_scratch_init 0
		.amdhsa_user_sgpr_kernarg_preload_length 0
		.amdhsa_user_sgpr_kernarg_preload_offset 0
		.amdhsa_user_sgpr_private_segment_size 0
		.amdhsa_uses_dynamic_stack 0
		.amdhsa_system_sgpr_private_segment_wavefront_offset 0
		.amdhsa_system_sgpr_workgroup_id_x 1
		.amdhsa_system_sgpr_workgroup_id_y 0
		.amdhsa_system_sgpr_workgroup_id_z 0
		.amdhsa_system_sgpr_workgroup_info 0
		.amdhsa_system_vgpr_workitem_id 0
		.amdhsa_next_free_vgpr 1
		.amdhsa_next_free_sgpr 0
		.amdhsa_accum_offset 4
		.amdhsa_reserve_vcc 0
		.amdhsa_reserve_flat_scratch 0
		.amdhsa_float_round_mode_32 0
		.amdhsa_float_round_mode_16_64 0
		.amdhsa_float_denorm_mode_32 3
		.amdhsa_float_denorm_mode_16_64 3
		.amdhsa_dx10_clamp 1
		.amdhsa_ieee_mode 1
		.amdhsa_fp16_overflow 0
		.amdhsa_tg_split 0
		.amdhsa_exception_fp_ieee_invalid_op 0
		.amdhsa_exception_fp_denorm_src 0
		.amdhsa_exception_fp_ieee_div_zero 0
		.amdhsa_exception_fp_ieee_overflow 0
		.amdhsa_exception_fp_ieee_underflow 0
		.amdhsa_exception_fp_ieee_inexact 0
		.amdhsa_exception_int_div_zero 0
	.end_amdhsa_kernel
	.section	.text._ZN7rocprim17ROCPRIM_400000_NS6detail17trampoline_kernelINS0_14default_configENS1_20scan_config_selectorIjEEZZNS1_9scan_implILNS1_25lookback_scan_determinismE0ELb0ELb0ES3_N6thrust23THRUST_200600_302600_NS6detail15normal_iteratorINS9_10device_ptrIjEEEENS9_16discard_iteratorINS9_11use_defaultEEEjNS9_4plusIvEEjEEDaPvRmT3_T4_T5_mT6_P12ihipStream_tbENKUlT_T0_E_clISt17integral_constantIbLb0EESW_IbLb1EEEEDaSS_ST_EUlSS_E_NS1_11comp_targetILNS1_3genE8ELNS1_11target_archE1030ELNS1_3gpuE2ELNS1_3repE0EEENS1_30default_config_static_selectorELNS0_4arch9wavefront6targetE1EEEvT1_,"axG",@progbits,_ZN7rocprim17ROCPRIM_400000_NS6detail17trampoline_kernelINS0_14default_configENS1_20scan_config_selectorIjEEZZNS1_9scan_implILNS1_25lookback_scan_determinismE0ELb0ELb0ES3_N6thrust23THRUST_200600_302600_NS6detail15normal_iteratorINS9_10device_ptrIjEEEENS9_16discard_iteratorINS9_11use_defaultEEEjNS9_4plusIvEEjEEDaPvRmT3_T4_T5_mT6_P12ihipStream_tbENKUlT_T0_E_clISt17integral_constantIbLb0EESW_IbLb1EEEEDaSS_ST_EUlSS_E_NS1_11comp_targetILNS1_3genE8ELNS1_11target_archE1030ELNS1_3gpuE2ELNS1_3repE0EEENS1_30default_config_static_selectorELNS0_4arch9wavefront6targetE1EEEvT1_,comdat
.Lfunc_end5356:
	.size	_ZN7rocprim17ROCPRIM_400000_NS6detail17trampoline_kernelINS0_14default_configENS1_20scan_config_selectorIjEEZZNS1_9scan_implILNS1_25lookback_scan_determinismE0ELb0ELb0ES3_N6thrust23THRUST_200600_302600_NS6detail15normal_iteratorINS9_10device_ptrIjEEEENS9_16discard_iteratorINS9_11use_defaultEEEjNS9_4plusIvEEjEEDaPvRmT3_T4_T5_mT6_P12ihipStream_tbENKUlT_T0_E_clISt17integral_constantIbLb0EESW_IbLb1EEEEDaSS_ST_EUlSS_E_NS1_11comp_targetILNS1_3genE8ELNS1_11target_archE1030ELNS1_3gpuE2ELNS1_3repE0EEENS1_30default_config_static_selectorELNS0_4arch9wavefront6targetE1EEEvT1_, .Lfunc_end5356-_ZN7rocprim17ROCPRIM_400000_NS6detail17trampoline_kernelINS0_14default_configENS1_20scan_config_selectorIjEEZZNS1_9scan_implILNS1_25lookback_scan_determinismE0ELb0ELb0ES3_N6thrust23THRUST_200600_302600_NS6detail15normal_iteratorINS9_10device_ptrIjEEEENS9_16discard_iteratorINS9_11use_defaultEEEjNS9_4plusIvEEjEEDaPvRmT3_T4_T5_mT6_P12ihipStream_tbENKUlT_T0_E_clISt17integral_constantIbLb0EESW_IbLb1EEEEDaSS_ST_EUlSS_E_NS1_11comp_targetILNS1_3genE8ELNS1_11target_archE1030ELNS1_3gpuE2ELNS1_3repE0EEENS1_30default_config_static_selectorELNS0_4arch9wavefront6targetE1EEEvT1_
                                        ; -- End function
	.section	.AMDGPU.csdata,"",@progbits
; Kernel info:
; codeLenInByte = 0
; NumSgprs: 4
; NumVgprs: 0
; NumAgprs: 0
; TotalNumVgprs: 0
; ScratchSize: 0
; MemoryBound: 0
; FloatMode: 240
; IeeeMode: 1
; LDSByteSize: 0 bytes/workgroup (compile time only)
; SGPRBlocks: 0
; VGPRBlocks: 0
; NumSGPRsForWavesPerEU: 4
; NumVGPRsForWavesPerEU: 1
; AccumOffset: 4
; Occupancy: 8
; WaveLimiterHint : 0
; COMPUTE_PGM_RSRC2:SCRATCH_EN: 0
; COMPUTE_PGM_RSRC2:USER_SGPR: 6
; COMPUTE_PGM_RSRC2:TRAP_HANDLER: 0
; COMPUTE_PGM_RSRC2:TGID_X_EN: 1
; COMPUTE_PGM_RSRC2:TGID_Y_EN: 0
; COMPUTE_PGM_RSRC2:TGID_Z_EN: 0
; COMPUTE_PGM_RSRC2:TIDIG_COMP_CNT: 0
; COMPUTE_PGM_RSRC3_GFX90A:ACCUM_OFFSET: 0
; COMPUTE_PGM_RSRC3_GFX90A:TG_SPLIT: 0
	.section	.text._ZN7rocprim17ROCPRIM_400000_NS6detail17trampoline_kernelINS0_14default_configENS1_20scan_config_selectorIjEEZZNS1_9scan_implILNS1_25lookback_scan_determinismE0ELb0ELb0ES3_N6thrust23THRUST_200600_302600_NS6detail15normal_iteratorINS9_10device_ptrIjEEEENS9_16discard_iteratorINS9_11use_defaultEEEjNS9_4plusIvEEjEEDaPvRmT3_T4_T5_mT6_P12ihipStream_tbENKUlT_T0_E_clISt17integral_constantIbLb0EESW_IbLb1EEEEDaSS_ST_EUlSS_E0_NS1_11comp_targetILNS1_3genE0ELNS1_11target_archE4294967295ELNS1_3gpuE0ELNS1_3repE0EEENS1_30default_config_static_selectorELNS0_4arch9wavefront6targetE1EEEvT1_,"axG",@progbits,_ZN7rocprim17ROCPRIM_400000_NS6detail17trampoline_kernelINS0_14default_configENS1_20scan_config_selectorIjEEZZNS1_9scan_implILNS1_25lookback_scan_determinismE0ELb0ELb0ES3_N6thrust23THRUST_200600_302600_NS6detail15normal_iteratorINS9_10device_ptrIjEEEENS9_16discard_iteratorINS9_11use_defaultEEEjNS9_4plusIvEEjEEDaPvRmT3_T4_T5_mT6_P12ihipStream_tbENKUlT_T0_E_clISt17integral_constantIbLb0EESW_IbLb1EEEEDaSS_ST_EUlSS_E0_NS1_11comp_targetILNS1_3genE0ELNS1_11target_archE4294967295ELNS1_3gpuE0ELNS1_3repE0EEENS1_30default_config_static_selectorELNS0_4arch9wavefront6targetE1EEEvT1_,comdat
	.protected	_ZN7rocprim17ROCPRIM_400000_NS6detail17trampoline_kernelINS0_14default_configENS1_20scan_config_selectorIjEEZZNS1_9scan_implILNS1_25lookback_scan_determinismE0ELb0ELb0ES3_N6thrust23THRUST_200600_302600_NS6detail15normal_iteratorINS9_10device_ptrIjEEEENS9_16discard_iteratorINS9_11use_defaultEEEjNS9_4plusIvEEjEEDaPvRmT3_T4_T5_mT6_P12ihipStream_tbENKUlT_T0_E_clISt17integral_constantIbLb0EESW_IbLb1EEEEDaSS_ST_EUlSS_E0_NS1_11comp_targetILNS1_3genE0ELNS1_11target_archE4294967295ELNS1_3gpuE0ELNS1_3repE0EEENS1_30default_config_static_selectorELNS0_4arch9wavefront6targetE1EEEvT1_ ; -- Begin function _ZN7rocprim17ROCPRIM_400000_NS6detail17trampoline_kernelINS0_14default_configENS1_20scan_config_selectorIjEEZZNS1_9scan_implILNS1_25lookback_scan_determinismE0ELb0ELb0ES3_N6thrust23THRUST_200600_302600_NS6detail15normal_iteratorINS9_10device_ptrIjEEEENS9_16discard_iteratorINS9_11use_defaultEEEjNS9_4plusIvEEjEEDaPvRmT3_T4_T5_mT6_P12ihipStream_tbENKUlT_T0_E_clISt17integral_constantIbLb0EESW_IbLb1EEEEDaSS_ST_EUlSS_E0_NS1_11comp_targetILNS1_3genE0ELNS1_11target_archE4294967295ELNS1_3gpuE0ELNS1_3repE0EEENS1_30default_config_static_selectorELNS0_4arch9wavefront6targetE1EEEvT1_
	.globl	_ZN7rocprim17ROCPRIM_400000_NS6detail17trampoline_kernelINS0_14default_configENS1_20scan_config_selectorIjEEZZNS1_9scan_implILNS1_25lookback_scan_determinismE0ELb0ELb0ES3_N6thrust23THRUST_200600_302600_NS6detail15normal_iteratorINS9_10device_ptrIjEEEENS9_16discard_iteratorINS9_11use_defaultEEEjNS9_4plusIvEEjEEDaPvRmT3_T4_T5_mT6_P12ihipStream_tbENKUlT_T0_E_clISt17integral_constantIbLb0EESW_IbLb1EEEEDaSS_ST_EUlSS_E0_NS1_11comp_targetILNS1_3genE0ELNS1_11target_archE4294967295ELNS1_3gpuE0ELNS1_3repE0EEENS1_30default_config_static_selectorELNS0_4arch9wavefront6targetE1EEEvT1_
	.p2align	8
	.type	_ZN7rocprim17ROCPRIM_400000_NS6detail17trampoline_kernelINS0_14default_configENS1_20scan_config_selectorIjEEZZNS1_9scan_implILNS1_25lookback_scan_determinismE0ELb0ELb0ES3_N6thrust23THRUST_200600_302600_NS6detail15normal_iteratorINS9_10device_ptrIjEEEENS9_16discard_iteratorINS9_11use_defaultEEEjNS9_4plusIvEEjEEDaPvRmT3_T4_T5_mT6_P12ihipStream_tbENKUlT_T0_E_clISt17integral_constantIbLb0EESW_IbLb1EEEEDaSS_ST_EUlSS_E0_NS1_11comp_targetILNS1_3genE0ELNS1_11target_archE4294967295ELNS1_3gpuE0ELNS1_3repE0EEENS1_30default_config_static_selectorELNS0_4arch9wavefront6targetE1EEEvT1_,@function
_ZN7rocprim17ROCPRIM_400000_NS6detail17trampoline_kernelINS0_14default_configENS1_20scan_config_selectorIjEEZZNS1_9scan_implILNS1_25lookback_scan_determinismE0ELb0ELb0ES3_N6thrust23THRUST_200600_302600_NS6detail15normal_iteratorINS9_10device_ptrIjEEEENS9_16discard_iteratorINS9_11use_defaultEEEjNS9_4plusIvEEjEEDaPvRmT3_T4_T5_mT6_P12ihipStream_tbENKUlT_T0_E_clISt17integral_constantIbLb0EESW_IbLb1EEEEDaSS_ST_EUlSS_E0_NS1_11comp_targetILNS1_3genE0ELNS1_11target_archE4294967295ELNS1_3gpuE0ELNS1_3repE0EEENS1_30default_config_static_selectorELNS0_4arch9wavefront6targetE1EEEvT1_: ; @_ZN7rocprim17ROCPRIM_400000_NS6detail17trampoline_kernelINS0_14default_configENS1_20scan_config_selectorIjEEZZNS1_9scan_implILNS1_25lookback_scan_determinismE0ELb0ELb0ES3_N6thrust23THRUST_200600_302600_NS6detail15normal_iteratorINS9_10device_ptrIjEEEENS9_16discard_iteratorINS9_11use_defaultEEEjNS9_4plusIvEEjEEDaPvRmT3_T4_T5_mT6_P12ihipStream_tbENKUlT_T0_E_clISt17integral_constantIbLb0EESW_IbLb1EEEEDaSS_ST_EUlSS_E0_NS1_11comp_targetILNS1_3genE0ELNS1_11target_archE4294967295ELNS1_3gpuE0ELNS1_3repE0EEENS1_30default_config_static_selectorELNS0_4arch9wavefront6targetE1EEEvT1_
; %bb.0:
	.section	.rodata,"a",@progbits
	.p2align	6, 0x0
	.amdhsa_kernel _ZN7rocprim17ROCPRIM_400000_NS6detail17trampoline_kernelINS0_14default_configENS1_20scan_config_selectorIjEEZZNS1_9scan_implILNS1_25lookback_scan_determinismE0ELb0ELb0ES3_N6thrust23THRUST_200600_302600_NS6detail15normal_iteratorINS9_10device_ptrIjEEEENS9_16discard_iteratorINS9_11use_defaultEEEjNS9_4plusIvEEjEEDaPvRmT3_T4_T5_mT6_P12ihipStream_tbENKUlT_T0_E_clISt17integral_constantIbLb0EESW_IbLb1EEEEDaSS_ST_EUlSS_E0_NS1_11comp_targetILNS1_3genE0ELNS1_11target_archE4294967295ELNS1_3gpuE0ELNS1_3repE0EEENS1_30default_config_static_selectorELNS0_4arch9wavefront6targetE1EEEvT1_
		.amdhsa_group_segment_fixed_size 0
		.amdhsa_private_segment_fixed_size 0
		.amdhsa_kernarg_size 40
		.amdhsa_user_sgpr_count 6
		.amdhsa_user_sgpr_private_segment_buffer 1
		.amdhsa_user_sgpr_dispatch_ptr 0
		.amdhsa_user_sgpr_queue_ptr 0
		.amdhsa_user_sgpr_kernarg_segment_ptr 1
		.amdhsa_user_sgpr_dispatch_id 0
		.amdhsa_user_sgpr_flat_scratch_init 0
		.amdhsa_user_sgpr_kernarg_preload_length 0
		.amdhsa_user_sgpr_kernarg_preload_offset 0
		.amdhsa_user_sgpr_private_segment_size 0
		.amdhsa_uses_dynamic_stack 0
		.amdhsa_system_sgpr_private_segment_wavefront_offset 0
		.amdhsa_system_sgpr_workgroup_id_x 1
		.amdhsa_system_sgpr_workgroup_id_y 0
		.amdhsa_system_sgpr_workgroup_id_z 0
		.amdhsa_system_sgpr_workgroup_info 0
		.amdhsa_system_vgpr_workitem_id 0
		.amdhsa_next_free_vgpr 1
		.amdhsa_next_free_sgpr 0
		.amdhsa_accum_offset 4
		.amdhsa_reserve_vcc 0
		.amdhsa_reserve_flat_scratch 0
		.amdhsa_float_round_mode_32 0
		.amdhsa_float_round_mode_16_64 0
		.amdhsa_float_denorm_mode_32 3
		.amdhsa_float_denorm_mode_16_64 3
		.amdhsa_dx10_clamp 1
		.amdhsa_ieee_mode 1
		.amdhsa_fp16_overflow 0
		.amdhsa_tg_split 0
		.amdhsa_exception_fp_ieee_invalid_op 0
		.amdhsa_exception_fp_denorm_src 0
		.amdhsa_exception_fp_ieee_div_zero 0
		.amdhsa_exception_fp_ieee_overflow 0
		.amdhsa_exception_fp_ieee_underflow 0
		.amdhsa_exception_fp_ieee_inexact 0
		.amdhsa_exception_int_div_zero 0
	.end_amdhsa_kernel
	.section	.text._ZN7rocprim17ROCPRIM_400000_NS6detail17trampoline_kernelINS0_14default_configENS1_20scan_config_selectorIjEEZZNS1_9scan_implILNS1_25lookback_scan_determinismE0ELb0ELb0ES3_N6thrust23THRUST_200600_302600_NS6detail15normal_iteratorINS9_10device_ptrIjEEEENS9_16discard_iteratorINS9_11use_defaultEEEjNS9_4plusIvEEjEEDaPvRmT3_T4_T5_mT6_P12ihipStream_tbENKUlT_T0_E_clISt17integral_constantIbLb0EESW_IbLb1EEEEDaSS_ST_EUlSS_E0_NS1_11comp_targetILNS1_3genE0ELNS1_11target_archE4294967295ELNS1_3gpuE0ELNS1_3repE0EEENS1_30default_config_static_selectorELNS0_4arch9wavefront6targetE1EEEvT1_,"axG",@progbits,_ZN7rocprim17ROCPRIM_400000_NS6detail17trampoline_kernelINS0_14default_configENS1_20scan_config_selectorIjEEZZNS1_9scan_implILNS1_25lookback_scan_determinismE0ELb0ELb0ES3_N6thrust23THRUST_200600_302600_NS6detail15normal_iteratorINS9_10device_ptrIjEEEENS9_16discard_iteratorINS9_11use_defaultEEEjNS9_4plusIvEEjEEDaPvRmT3_T4_T5_mT6_P12ihipStream_tbENKUlT_T0_E_clISt17integral_constantIbLb0EESW_IbLb1EEEEDaSS_ST_EUlSS_E0_NS1_11comp_targetILNS1_3genE0ELNS1_11target_archE4294967295ELNS1_3gpuE0ELNS1_3repE0EEENS1_30default_config_static_selectorELNS0_4arch9wavefront6targetE1EEEvT1_,comdat
.Lfunc_end5357:
	.size	_ZN7rocprim17ROCPRIM_400000_NS6detail17trampoline_kernelINS0_14default_configENS1_20scan_config_selectorIjEEZZNS1_9scan_implILNS1_25lookback_scan_determinismE0ELb0ELb0ES3_N6thrust23THRUST_200600_302600_NS6detail15normal_iteratorINS9_10device_ptrIjEEEENS9_16discard_iteratorINS9_11use_defaultEEEjNS9_4plusIvEEjEEDaPvRmT3_T4_T5_mT6_P12ihipStream_tbENKUlT_T0_E_clISt17integral_constantIbLb0EESW_IbLb1EEEEDaSS_ST_EUlSS_E0_NS1_11comp_targetILNS1_3genE0ELNS1_11target_archE4294967295ELNS1_3gpuE0ELNS1_3repE0EEENS1_30default_config_static_selectorELNS0_4arch9wavefront6targetE1EEEvT1_, .Lfunc_end5357-_ZN7rocprim17ROCPRIM_400000_NS6detail17trampoline_kernelINS0_14default_configENS1_20scan_config_selectorIjEEZZNS1_9scan_implILNS1_25lookback_scan_determinismE0ELb0ELb0ES3_N6thrust23THRUST_200600_302600_NS6detail15normal_iteratorINS9_10device_ptrIjEEEENS9_16discard_iteratorINS9_11use_defaultEEEjNS9_4plusIvEEjEEDaPvRmT3_T4_T5_mT6_P12ihipStream_tbENKUlT_T0_E_clISt17integral_constantIbLb0EESW_IbLb1EEEEDaSS_ST_EUlSS_E0_NS1_11comp_targetILNS1_3genE0ELNS1_11target_archE4294967295ELNS1_3gpuE0ELNS1_3repE0EEENS1_30default_config_static_selectorELNS0_4arch9wavefront6targetE1EEEvT1_
                                        ; -- End function
	.section	.AMDGPU.csdata,"",@progbits
; Kernel info:
; codeLenInByte = 0
; NumSgprs: 4
; NumVgprs: 0
; NumAgprs: 0
; TotalNumVgprs: 0
; ScratchSize: 0
; MemoryBound: 0
; FloatMode: 240
; IeeeMode: 1
; LDSByteSize: 0 bytes/workgroup (compile time only)
; SGPRBlocks: 0
; VGPRBlocks: 0
; NumSGPRsForWavesPerEU: 4
; NumVGPRsForWavesPerEU: 1
; AccumOffset: 4
; Occupancy: 8
; WaveLimiterHint : 0
; COMPUTE_PGM_RSRC2:SCRATCH_EN: 0
; COMPUTE_PGM_RSRC2:USER_SGPR: 6
; COMPUTE_PGM_RSRC2:TRAP_HANDLER: 0
; COMPUTE_PGM_RSRC2:TGID_X_EN: 1
; COMPUTE_PGM_RSRC2:TGID_Y_EN: 0
; COMPUTE_PGM_RSRC2:TGID_Z_EN: 0
; COMPUTE_PGM_RSRC2:TIDIG_COMP_CNT: 0
; COMPUTE_PGM_RSRC3_GFX90A:ACCUM_OFFSET: 0
; COMPUTE_PGM_RSRC3_GFX90A:TG_SPLIT: 0
	.section	.text._ZN7rocprim17ROCPRIM_400000_NS6detail17trampoline_kernelINS0_14default_configENS1_20scan_config_selectorIjEEZZNS1_9scan_implILNS1_25lookback_scan_determinismE0ELb0ELb0ES3_N6thrust23THRUST_200600_302600_NS6detail15normal_iteratorINS9_10device_ptrIjEEEENS9_16discard_iteratorINS9_11use_defaultEEEjNS9_4plusIvEEjEEDaPvRmT3_T4_T5_mT6_P12ihipStream_tbENKUlT_T0_E_clISt17integral_constantIbLb0EESW_IbLb1EEEEDaSS_ST_EUlSS_E0_NS1_11comp_targetILNS1_3genE5ELNS1_11target_archE942ELNS1_3gpuE9ELNS1_3repE0EEENS1_30default_config_static_selectorELNS0_4arch9wavefront6targetE1EEEvT1_,"axG",@progbits,_ZN7rocprim17ROCPRIM_400000_NS6detail17trampoline_kernelINS0_14default_configENS1_20scan_config_selectorIjEEZZNS1_9scan_implILNS1_25lookback_scan_determinismE0ELb0ELb0ES3_N6thrust23THRUST_200600_302600_NS6detail15normal_iteratorINS9_10device_ptrIjEEEENS9_16discard_iteratorINS9_11use_defaultEEEjNS9_4plusIvEEjEEDaPvRmT3_T4_T5_mT6_P12ihipStream_tbENKUlT_T0_E_clISt17integral_constantIbLb0EESW_IbLb1EEEEDaSS_ST_EUlSS_E0_NS1_11comp_targetILNS1_3genE5ELNS1_11target_archE942ELNS1_3gpuE9ELNS1_3repE0EEENS1_30default_config_static_selectorELNS0_4arch9wavefront6targetE1EEEvT1_,comdat
	.protected	_ZN7rocprim17ROCPRIM_400000_NS6detail17trampoline_kernelINS0_14default_configENS1_20scan_config_selectorIjEEZZNS1_9scan_implILNS1_25lookback_scan_determinismE0ELb0ELb0ES3_N6thrust23THRUST_200600_302600_NS6detail15normal_iteratorINS9_10device_ptrIjEEEENS9_16discard_iteratorINS9_11use_defaultEEEjNS9_4plusIvEEjEEDaPvRmT3_T4_T5_mT6_P12ihipStream_tbENKUlT_T0_E_clISt17integral_constantIbLb0EESW_IbLb1EEEEDaSS_ST_EUlSS_E0_NS1_11comp_targetILNS1_3genE5ELNS1_11target_archE942ELNS1_3gpuE9ELNS1_3repE0EEENS1_30default_config_static_selectorELNS0_4arch9wavefront6targetE1EEEvT1_ ; -- Begin function _ZN7rocprim17ROCPRIM_400000_NS6detail17trampoline_kernelINS0_14default_configENS1_20scan_config_selectorIjEEZZNS1_9scan_implILNS1_25lookback_scan_determinismE0ELb0ELb0ES3_N6thrust23THRUST_200600_302600_NS6detail15normal_iteratorINS9_10device_ptrIjEEEENS9_16discard_iteratorINS9_11use_defaultEEEjNS9_4plusIvEEjEEDaPvRmT3_T4_T5_mT6_P12ihipStream_tbENKUlT_T0_E_clISt17integral_constantIbLb0EESW_IbLb1EEEEDaSS_ST_EUlSS_E0_NS1_11comp_targetILNS1_3genE5ELNS1_11target_archE942ELNS1_3gpuE9ELNS1_3repE0EEENS1_30default_config_static_selectorELNS0_4arch9wavefront6targetE1EEEvT1_
	.globl	_ZN7rocprim17ROCPRIM_400000_NS6detail17trampoline_kernelINS0_14default_configENS1_20scan_config_selectorIjEEZZNS1_9scan_implILNS1_25lookback_scan_determinismE0ELb0ELb0ES3_N6thrust23THRUST_200600_302600_NS6detail15normal_iteratorINS9_10device_ptrIjEEEENS9_16discard_iteratorINS9_11use_defaultEEEjNS9_4plusIvEEjEEDaPvRmT3_T4_T5_mT6_P12ihipStream_tbENKUlT_T0_E_clISt17integral_constantIbLb0EESW_IbLb1EEEEDaSS_ST_EUlSS_E0_NS1_11comp_targetILNS1_3genE5ELNS1_11target_archE942ELNS1_3gpuE9ELNS1_3repE0EEENS1_30default_config_static_selectorELNS0_4arch9wavefront6targetE1EEEvT1_
	.p2align	8
	.type	_ZN7rocprim17ROCPRIM_400000_NS6detail17trampoline_kernelINS0_14default_configENS1_20scan_config_selectorIjEEZZNS1_9scan_implILNS1_25lookback_scan_determinismE0ELb0ELb0ES3_N6thrust23THRUST_200600_302600_NS6detail15normal_iteratorINS9_10device_ptrIjEEEENS9_16discard_iteratorINS9_11use_defaultEEEjNS9_4plusIvEEjEEDaPvRmT3_T4_T5_mT6_P12ihipStream_tbENKUlT_T0_E_clISt17integral_constantIbLb0EESW_IbLb1EEEEDaSS_ST_EUlSS_E0_NS1_11comp_targetILNS1_3genE5ELNS1_11target_archE942ELNS1_3gpuE9ELNS1_3repE0EEENS1_30default_config_static_selectorELNS0_4arch9wavefront6targetE1EEEvT1_,@function
_ZN7rocprim17ROCPRIM_400000_NS6detail17trampoline_kernelINS0_14default_configENS1_20scan_config_selectorIjEEZZNS1_9scan_implILNS1_25lookback_scan_determinismE0ELb0ELb0ES3_N6thrust23THRUST_200600_302600_NS6detail15normal_iteratorINS9_10device_ptrIjEEEENS9_16discard_iteratorINS9_11use_defaultEEEjNS9_4plusIvEEjEEDaPvRmT3_T4_T5_mT6_P12ihipStream_tbENKUlT_T0_E_clISt17integral_constantIbLb0EESW_IbLb1EEEEDaSS_ST_EUlSS_E0_NS1_11comp_targetILNS1_3genE5ELNS1_11target_archE942ELNS1_3gpuE9ELNS1_3repE0EEENS1_30default_config_static_selectorELNS0_4arch9wavefront6targetE1EEEvT1_: ; @_ZN7rocprim17ROCPRIM_400000_NS6detail17trampoline_kernelINS0_14default_configENS1_20scan_config_selectorIjEEZZNS1_9scan_implILNS1_25lookback_scan_determinismE0ELb0ELb0ES3_N6thrust23THRUST_200600_302600_NS6detail15normal_iteratorINS9_10device_ptrIjEEEENS9_16discard_iteratorINS9_11use_defaultEEEjNS9_4plusIvEEjEEDaPvRmT3_T4_T5_mT6_P12ihipStream_tbENKUlT_T0_E_clISt17integral_constantIbLb0EESW_IbLb1EEEEDaSS_ST_EUlSS_E0_NS1_11comp_targetILNS1_3genE5ELNS1_11target_archE942ELNS1_3gpuE9ELNS1_3repE0EEENS1_30default_config_static_selectorELNS0_4arch9wavefront6targetE1EEEvT1_
; %bb.0:
	.section	.rodata,"a",@progbits
	.p2align	6, 0x0
	.amdhsa_kernel _ZN7rocprim17ROCPRIM_400000_NS6detail17trampoline_kernelINS0_14default_configENS1_20scan_config_selectorIjEEZZNS1_9scan_implILNS1_25lookback_scan_determinismE0ELb0ELb0ES3_N6thrust23THRUST_200600_302600_NS6detail15normal_iteratorINS9_10device_ptrIjEEEENS9_16discard_iteratorINS9_11use_defaultEEEjNS9_4plusIvEEjEEDaPvRmT3_T4_T5_mT6_P12ihipStream_tbENKUlT_T0_E_clISt17integral_constantIbLb0EESW_IbLb1EEEEDaSS_ST_EUlSS_E0_NS1_11comp_targetILNS1_3genE5ELNS1_11target_archE942ELNS1_3gpuE9ELNS1_3repE0EEENS1_30default_config_static_selectorELNS0_4arch9wavefront6targetE1EEEvT1_
		.amdhsa_group_segment_fixed_size 0
		.amdhsa_private_segment_fixed_size 0
		.amdhsa_kernarg_size 40
		.amdhsa_user_sgpr_count 6
		.amdhsa_user_sgpr_private_segment_buffer 1
		.amdhsa_user_sgpr_dispatch_ptr 0
		.amdhsa_user_sgpr_queue_ptr 0
		.amdhsa_user_sgpr_kernarg_segment_ptr 1
		.amdhsa_user_sgpr_dispatch_id 0
		.amdhsa_user_sgpr_flat_scratch_init 0
		.amdhsa_user_sgpr_kernarg_preload_length 0
		.amdhsa_user_sgpr_kernarg_preload_offset 0
		.amdhsa_user_sgpr_private_segment_size 0
		.amdhsa_uses_dynamic_stack 0
		.amdhsa_system_sgpr_private_segment_wavefront_offset 0
		.amdhsa_system_sgpr_workgroup_id_x 1
		.amdhsa_system_sgpr_workgroup_id_y 0
		.amdhsa_system_sgpr_workgroup_id_z 0
		.amdhsa_system_sgpr_workgroup_info 0
		.amdhsa_system_vgpr_workitem_id 0
		.amdhsa_next_free_vgpr 1
		.amdhsa_next_free_sgpr 0
		.amdhsa_accum_offset 4
		.amdhsa_reserve_vcc 0
		.amdhsa_reserve_flat_scratch 0
		.amdhsa_float_round_mode_32 0
		.amdhsa_float_round_mode_16_64 0
		.amdhsa_float_denorm_mode_32 3
		.amdhsa_float_denorm_mode_16_64 3
		.amdhsa_dx10_clamp 1
		.amdhsa_ieee_mode 1
		.amdhsa_fp16_overflow 0
		.amdhsa_tg_split 0
		.amdhsa_exception_fp_ieee_invalid_op 0
		.amdhsa_exception_fp_denorm_src 0
		.amdhsa_exception_fp_ieee_div_zero 0
		.amdhsa_exception_fp_ieee_overflow 0
		.amdhsa_exception_fp_ieee_underflow 0
		.amdhsa_exception_fp_ieee_inexact 0
		.amdhsa_exception_int_div_zero 0
	.end_amdhsa_kernel
	.section	.text._ZN7rocprim17ROCPRIM_400000_NS6detail17trampoline_kernelINS0_14default_configENS1_20scan_config_selectorIjEEZZNS1_9scan_implILNS1_25lookback_scan_determinismE0ELb0ELb0ES3_N6thrust23THRUST_200600_302600_NS6detail15normal_iteratorINS9_10device_ptrIjEEEENS9_16discard_iteratorINS9_11use_defaultEEEjNS9_4plusIvEEjEEDaPvRmT3_T4_T5_mT6_P12ihipStream_tbENKUlT_T0_E_clISt17integral_constantIbLb0EESW_IbLb1EEEEDaSS_ST_EUlSS_E0_NS1_11comp_targetILNS1_3genE5ELNS1_11target_archE942ELNS1_3gpuE9ELNS1_3repE0EEENS1_30default_config_static_selectorELNS0_4arch9wavefront6targetE1EEEvT1_,"axG",@progbits,_ZN7rocprim17ROCPRIM_400000_NS6detail17trampoline_kernelINS0_14default_configENS1_20scan_config_selectorIjEEZZNS1_9scan_implILNS1_25lookback_scan_determinismE0ELb0ELb0ES3_N6thrust23THRUST_200600_302600_NS6detail15normal_iteratorINS9_10device_ptrIjEEEENS9_16discard_iteratorINS9_11use_defaultEEEjNS9_4plusIvEEjEEDaPvRmT3_T4_T5_mT6_P12ihipStream_tbENKUlT_T0_E_clISt17integral_constantIbLb0EESW_IbLb1EEEEDaSS_ST_EUlSS_E0_NS1_11comp_targetILNS1_3genE5ELNS1_11target_archE942ELNS1_3gpuE9ELNS1_3repE0EEENS1_30default_config_static_selectorELNS0_4arch9wavefront6targetE1EEEvT1_,comdat
.Lfunc_end5358:
	.size	_ZN7rocprim17ROCPRIM_400000_NS6detail17trampoline_kernelINS0_14default_configENS1_20scan_config_selectorIjEEZZNS1_9scan_implILNS1_25lookback_scan_determinismE0ELb0ELb0ES3_N6thrust23THRUST_200600_302600_NS6detail15normal_iteratorINS9_10device_ptrIjEEEENS9_16discard_iteratorINS9_11use_defaultEEEjNS9_4plusIvEEjEEDaPvRmT3_T4_T5_mT6_P12ihipStream_tbENKUlT_T0_E_clISt17integral_constantIbLb0EESW_IbLb1EEEEDaSS_ST_EUlSS_E0_NS1_11comp_targetILNS1_3genE5ELNS1_11target_archE942ELNS1_3gpuE9ELNS1_3repE0EEENS1_30default_config_static_selectorELNS0_4arch9wavefront6targetE1EEEvT1_, .Lfunc_end5358-_ZN7rocprim17ROCPRIM_400000_NS6detail17trampoline_kernelINS0_14default_configENS1_20scan_config_selectorIjEEZZNS1_9scan_implILNS1_25lookback_scan_determinismE0ELb0ELb0ES3_N6thrust23THRUST_200600_302600_NS6detail15normal_iteratorINS9_10device_ptrIjEEEENS9_16discard_iteratorINS9_11use_defaultEEEjNS9_4plusIvEEjEEDaPvRmT3_T4_T5_mT6_P12ihipStream_tbENKUlT_T0_E_clISt17integral_constantIbLb0EESW_IbLb1EEEEDaSS_ST_EUlSS_E0_NS1_11comp_targetILNS1_3genE5ELNS1_11target_archE942ELNS1_3gpuE9ELNS1_3repE0EEENS1_30default_config_static_selectorELNS0_4arch9wavefront6targetE1EEEvT1_
                                        ; -- End function
	.section	.AMDGPU.csdata,"",@progbits
; Kernel info:
; codeLenInByte = 0
; NumSgprs: 4
; NumVgprs: 0
; NumAgprs: 0
; TotalNumVgprs: 0
; ScratchSize: 0
; MemoryBound: 0
; FloatMode: 240
; IeeeMode: 1
; LDSByteSize: 0 bytes/workgroup (compile time only)
; SGPRBlocks: 0
; VGPRBlocks: 0
; NumSGPRsForWavesPerEU: 4
; NumVGPRsForWavesPerEU: 1
; AccumOffset: 4
; Occupancy: 8
; WaveLimiterHint : 0
; COMPUTE_PGM_RSRC2:SCRATCH_EN: 0
; COMPUTE_PGM_RSRC2:USER_SGPR: 6
; COMPUTE_PGM_RSRC2:TRAP_HANDLER: 0
; COMPUTE_PGM_RSRC2:TGID_X_EN: 1
; COMPUTE_PGM_RSRC2:TGID_Y_EN: 0
; COMPUTE_PGM_RSRC2:TGID_Z_EN: 0
; COMPUTE_PGM_RSRC2:TIDIG_COMP_CNT: 0
; COMPUTE_PGM_RSRC3_GFX90A:ACCUM_OFFSET: 0
; COMPUTE_PGM_RSRC3_GFX90A:TG_SPLIT: 0
	.section	.text._ZN7rocprim17ROCPRIM_400000_NS6detail17trampoline_kernelINS0_14default_configENS1_20scan_config_selectorIjEEZZNS1_9scan_implILNS1_25lookback_scan_determinismE0ELb0ELb0ES3_N6thrust23THRUST_200600_302600_NS6detail15normal_iteratorINS9_10device_ptrIjEEEENS9_16discard_iteratorINS9_11use_defaultEEEjNS9_4plusIvEEjEEDaPvRmT3_T4_T5_mT6_P12ihipStream_tbENKUlT_T0_E_clISt17integral_constantIbLb0EESW_IbLb1EEEEDaSS_ST_EUlSS_E0_NS1_11comp_targetILNS1_3genE4ELNS1_11target_archE910ELNS1_3gpuE8ELNS1_3repE0EEENS1_30default_config_static_selectorELNS0_4arch9wavefront6targetE1EEEvT1_,"axG",@progbits,_ZN7rocprim17ROCPRIM_400000_NS6detail17trampoline_kernelINS0_14default_configENS1_20scan_config_selectorIjEEZZNS1_9scan_implILNS1_25lookback_scan_determinismE0ELb0ELb0ES3_N6thrust23THRUST_200600_302600_NS6detail15normal_iteratorINS9_10device_ptrIjEEEENS9_16discard_iteratorINS9_11use_defaultEEEjNS9_4plusIvEEjEEDaPvRmT3_T4_T5_mT6_P12ihipStream_tbENKUlT_T0_E_clISt17integral_constantIbLb0EESW_IbLb1EEEEDaSS_ST_EUlSS_E0_NS1_11comp_targetILNS1_3genE4ELNS1_11target_archE910ELNS1_3gpuE8ELNS1_3repE0EEENS1_30default_config_static_selectorELNS0_4arch9wavefront6targetE1EEEvT1_,comdat
	.protected	_ZN7rocprim17ROCPRIM_400000_NS6detail17trampoline_kernelINS0_14default_configENS1_20scan_config_selectorIjEEZZNS1_9scan_implILNS1_25lookback_scan_determinismE0ELb0ELb0ES3_N6thrust23THRUST_200600_302600_NS6detail15normal_iteratorINS9_10device_ptrIjEEEENS9_16discard_iteratorINS9_11use_defaultEEEjNS9_4plusIvEEjEEDaPvRmT3_T4_T5_mT6_P12ihipStream_tbENKUlT_T0_E_clISt17integral_constantIbLb0EESW_IbLb1EEEEDaSS_ST_EUlSS_E0_NS1_11comp_targetILNS1_3genE4ELNS1_11target_archE910ELNS1_3gpuE8ELNS1_3repE0EEENS1_30default_config_static_selectorELNS0_4arch9wavefront6targetE1EEEvT1_ ; -- Begin function _ZN7rocprim17ROCPRIM_400000_NS6detail17trampoline_kernelINS0_14default_configENS1_20scan_config_selectorIjEEZZNS1_9scan_implILNS1_25lookback_scan_determinismE0ELb0ELb0ES3_N6thrust23THRUST_200600_302600_NS6detail15normal_iteratorINS9_10device_ptrIjEEEENS9_16discard_iteratorINS9_11use_defaultEEEjNS9_4plusIvEEjEEDaPvRmT3_T4_T5_mT6_P12ihipStream_tbENKUlT_T0_E_clISt17integral_constantIbLb0EESW_IbLb1EEEEDaSS_ST_EUlSS_E0_NS1_11comp_targetILNS1_3genE4ELNS1_11target_archE910ELNS1_3gpuE8ELNS1_3repE0EEENS1_30default_config_static_selectorELNS0_4arch9wavefront6targetE1EEEvT1_
	.globl	_ZN7rocprim17ROCPRIM_400000_NS6detail17trampoline_kernelINS0_14default_configENS1_20scan_config_selectorIjEEZZNS1_9scan_implILNS1_25lookback_scan_determinismE0ELb0ELb0ES3_N6thrust23THRUST_200600_302600_NS6detail15normal_iteratorINS9_10device_ptrIjEEEENS9_16discard_iteratorINS9_11use_defaultEEEjNS9_4plusIvEEjEEDaPvRmT3_T4_T5_mT6_P12ihipStream_tbENKUlT_T0_E_clISt17integral_constantIbLb0EESW_IbLb1EEEEDaSS_ST_EUlSS_E0_NS1_11comp_targetILNS1_3genE4ELNS1_11target_archE910ELNS1_3gpuE8ELNS1_3repE0EEENS1_30default_config_static_selectorELNS0_4arch9wavefront6targetE1EEEvT1_
	.p2align	8
	.type	_ZN7rocprim17ROCPRIM_400000_NS6detail17trampoline_kernelINS0_14default_configENS1_20scan_config_selectorIjEEZZNS1_9scan_implILNS1_25lookback_scan_determinismE0ELb0ELb0ES3_N6thrust23THRUST_200600_302600_NS6detail15normal_iteratorINS9_10device_ptrIjEEEENS9_16discard_iteratorINS9_11use_defaultEEEjNS9_4plusIvEEjEEDaPvRmT3_T4_T5_mT6_P12ihipStream_tbENKUlT_T0_E_clISt17integral_constantIbLb0EESW_IbLb1EEEEDaSS_ST_EUlSS_E0_NS1_11comp_targetILNS1_3genE4ELNS1_11target_archE910ELNS1_3gpuE8ELNS1_3repE0EEENS1_30default_config_static_selectorELNS0_4arch9wavefront6targetE1EEEvT1_,@function
_ZN7rocprim17ROCPRIM_400000_NS6detail17trampoline_kernelINS0_14default_configENS1_20scan_config_selectorIjEEZZNS1_9scan_implILNS1_25lookback_scan_determinismE0ELb0ELb0ES3_N6thrust23THRUST_200600_302600_NS6detail15normal_iteratorINS9_10device_ptrIjEEEENS9_16discard_iteratorINS9_11use_defaultEEEjNS9_4plusIvEEjEEDaPvRmT3_T4_T5_mT6_P12ihipStream_tbENKUlT_T0_E_clISt17integral_constantIbLb0EESW_IbLb1EEEEDaSS_ST_EUlSS_E0_NS1_11comp_targetILNS1_3genE4ELNS1_11target_archE910ELNS1_3gpuE8ELNS1_3repE0EEENS1_30default_config_static_selectorELNS0_4arch9wavefront6targetE1EEEvT1_: ; @_ZN7rocprim17ROCPRIM_400000_NS6detail17trampoline_kernelINS0_14default_configENS1_20scan_config_selectorIjEEZZNS1_9scan_implILNS1_25lookback_scan_determinismE0ELb0ELb0ES3_N6thrust23THRUST_200600_302600_NS6detail15normal_iteratorINS9_10device_ptrIjEEEENS9_16discard_iteratorINS9_11use_defaultEEEjNS9_4plusIvEEjEEDaPvRmT3_T4_T5_mT6_P12ihipStream_tbENKUlT_T0_E_clISt17integral_constantIbLb0EESW_IbLb1EEEEDaSS_ST_EUlSS_E0_NS1_11comp_targetILNS1_3genE4ELNS1_11target_archE910ELNS1_3gpuE8ELNS1_3repE0EEENS1_30default_config_static_selectorELNS0_4arch9wavefront6targetE1EEEvT1_
; %bb.0:
	s_load_dwordx4 s[0:3], s[4:5], 0x0
	v_lshlrev_b32_e32 v20, 2, v0
	s_waitcnt lgkmcnt(0)
	s_load_dword s3, s[0:1], 0x0
	v_cmp_gt_u32_e32 vcc, s2, v0
	s_waitcnt lgkmcnt(0)
	v_mov_b32_e32 v1, s3
	s_and_saveexec_b64 s[4:5], vcc
	s_cbranch_execz .LBB5359_2
; %bb.1:
	global_load_dword v1, v20, s[0:1]
.LBB5359_2:
	s_or_b64 exec, exec, s[4:5]
	v_or_b32_e32 v2, 0x80, v0
	v_cmp_gt_u32_e32 vcc, s2, v2
	v_mov_b32_e32 v2, s3
	s_and_saveexec_b64 s[4:5], vcc
	s_cbranch_execz .LBB5359_4
; %bb.3:
	global_load_dword v2, v20, s[0:1] offset:512
.LBB5359_4:
	s_or_b64 exec, exec, s[4:5]
	v_or_b32_e32 v3, 0x100, v0
	v_cmp_gt_u32_e32 vcc, s2, v3
	v_mov_b32_e32 v3, s3
	s_and_saveexec_b64 s[4:5], vcc
	s_cbranch_execz .LBB5359_6
; %bb.5:
	global_load_dword v3, v20, s[0:1] offset:1024
.LBB5359_6:
	;; [unrolled: 9-line block ×7, first 2 shown]
	s_or_b64 exec, exec, s[4:5]
	v_or_b32_e32 v10, 0x400, v0
	v_cmp_gt_u32_e32 vcc, s2, v10
	v_mov_b32_e32 v9, s3
	s_and_saveexec_b64 s[4:5], vcc
	s_cbranch_execz .LBB5359_18
; %bb.17:
	v_lshlrev_b32_e32 v9, 2, v10
	global_load_dword v9, v9, s[0:1]
.LBB5359_18:
	s_or_b64 exec, exec, s[4:5]
	v_or_b32_e32 v11, 0x480, v0
	v_cmp_gt_u32_e32 vcc, s2, v11
	v_mov_b32_e32 v10, s3
	s_and_saveexec_b64 s[2:3], vcc
	s_cbranch_execz .LBB5359_20
; %bb.19:
	v_lshlrev_b32_e32 v10, 2, v11
	global_load_dword v10, v10, s[0:1]
.LBB5359_20:
	s_or_b64 exec, exec, s[2:3]
	s_waitcnt vmcnt(0)
	ds_write2st64_b32 v20, v1, v2 offset1:2
	ds_write2st64_b32 v20, v3, v4 offset0:4 offset1:6
	ds_write2st64_b32 v20, v5, v6 offset0:8 offset1:10
	;; [unrolled: 1-line block ×4, first 2 shown]
	v_mad_u32_u24 v1, v0, 36, v20
	s_waitcnt lgkmcnt(0)
	s_barrier
	ds_read2_b64 v[6:9], v1 offset1:1
	ds_read2_b64 v[2:5], v1 offset0:2 offset1:3
	ds_read_b64 v[18:19], v1 offset:32
	v_lshrrev_b32_e32 v21, 3, v0
	v_and_b32_e32 v21, 12, v21
	s_waitcnt lgkmcnt(2)
	v_add_u32_e32 v1, v7, v6
	v_add_u32_e32 v14, v1, v8
	;; [unrolled: 1-line block ×3, first 2 shown]
	s_waitcnt lgkmcnt(1)
	v_add_u32_e32 v10, v15, v2
	v_add_u32_e32 v11, v10, v3
	;; [unrolled: 1-line block ×4, first 2 shown]
	s_waitcnt lgkmcnt(0)
	v_add_u32_e32 v16, v13, v18
	v_add_u32_e32 v17, v16, v19
	;; [unrolled: 1-line block ×3, first 2 shown]
	v_cmp_gt_u32_e32 vcc, 64, v0
	s_barrier
	ds_write_b32 v21, v17
	s_waitcnt lgkmcnt(0)
	s_barrier
	s_and_saveexec_b64 s[0:1], vcc
	s_cbranch_execz .LBB5359_22
; %bb.21:
	v_lshlrev_b32_e32 v21, 1, v0
	v_lshrrev_b32_e32 v22, 4, v0
	v_add_lshl_u32 v21, v22, v21, 2
	ds_read2_b32 v[22:23], v21 offset1:1
	v_mbcnt_lo_u32_b32 v24, -1, 0
	v_mbcnt_hi_u32_b32 v24, -1, v24
	v_and_b32_e32 v25, 15, v24
	v_cmp_ne_u32_e32 vcc, 0, v25
	s_waitcnt lgkmcnt(0)
	v_add_u32_e32 v23, v23, v22
	; wave barrier
	s_nop 1
	v_mov_b32_dpp v26, v23 row_shr:1 row_mask:0xf bank_mask:0xf
	v_cndmask_b32_e32 v26, 0, v26, vcc
	v_add_u32_e32 v23, v26, v23
	v_cmp_lt_u32_e32 vcc, 1, v25
	s_nop 0
	v_mov_b32_dpp v26, v23 row_shr:2 row_mask:0xf bank_mask:0xf
	v_cndmask_b32_e32 v26, 0, v26, vcc
	v_add_u32_e32 v23, v23, v26
	v_cmp_lt_u32_e32 vcc, 3, v25
	;; [unrolled: 5-line block ×3, first 2 shown]
	s_nop 0
	v_mov_b32_dpp v26, v23 row_shr:8 row_mask:0xf bank_mask:0xf
	v_cndmask_b32_e32 v25, 0, v26, vcc
	v_add_u32_e32 v23, v23, v25
	v_bfe_i32 v26, v24, 4, 1
	v_cmp_lt_u32_e32 vcc, 31, v24
	v_mov_b32_dpp v25, v23 row_bcast:15 row_mask:0xf bank_mask:0xf
	v_and_b32_e32 v25, v26, v25
	v_add_u32_e32 v23, v23, v25
	v_and_b32_e32 v26, 64, v24
	s_nop 0
	v_mov_b32_dpp v25, v23 row_bcast:31 row_mask:0xf bank_mask:0xf
	v_cndmask_b32_e32 v25, 0, v25, vcc
	v_add_u32_e32 v23, v23, v25
	v_add_u32_e32 v25, -1, v24
	v_cmp_lt_i32_e32 vcc, v25, v26
	v_cndmask_b32_e32 v24, v25, v24, vcc
	v_lshlrev_b32_e32 v24, 2, v24
	ds_bpermute_b32 v23, v24, v23
	v_cmp_eq_u32_e32 vcc, 0, v0
	s_waitcnt lgkmcnt(0)
	v_add_u32_e32 v22, v23, v22
	v_cndmask_b32_e32 v22, v22, v17, vcc
	ds_write_b32 v21, v22
	; wave barrier
	ds_read_b32 v23, v21 offset:4
	s_waitcnt lgkmcnt(0)
	v_add_u32_e32 v22, v23, v22
	ds_write_b32 v21, v22 offset:4
.LBB5359_22:
	s_or_b64 exec, exec, s[0:1]
	v_cmp_ne_u32_e32 vcc, 0, v0
	v_mov_b32_e32 v22, v17
	s_waitcnt lgkmcnt(0)
	s_barrier
	s_and_saveexec_b64 s[0:1], vcc
	s_cbranch_execz .LBB5359_24
; %bb.23:
	v_add_u32_e32 v21, -1, v0
	v_lshrrev_b32_e32 v22, 5, v21
	v_add_lshl_u32 v21, v22, v21, 2
	ds_read_b32 v22, v21
.LBB5359_24:
	s_or_b64 exec, exec, s[0:1]
	v_mul_u32_u24_e32 v21, 36, v0
	v_mov_b32_e32 v0, v6
	s_and_saveexec_b64 s[0:1], vcc
	s_cbranch_execz .LBB5359_26
; %bb.25:
	s_waitcnt lgkmcnt(0)
	v_add_u32_e32 v0, v22, v6
	v_add_u32_e32 v1, v0, v7
	;; [unrolled: 1-line block ×10, first 2 shown]
	;;#ASMSTART
	;;#ASMEND
.LBB5359_26:
	s_or_b64 exec, exec, s[0:1]
	v_add_u32_e32 v2, v20, v21
	s_waitcnt lgkmcnt(0)
	s_barrier
	ds_write2_b64 v2, v[0:1], v[14:15] offset1:1
	ds_write2_b64 v2, v[10:11], v[12:13] offset0:2 offset1:3
	ds_write_b64 v2, v[16:17] offset:32
	s_waitcnt lgkmcnt(0)
	s_barrier
	s_endpgm
	.section	.rodata,"a",@progbits
	.p2align	6, 0x0
	.amdhsa_kernel _ZN7rocprim17ROCPRIM_400000_NS6detail17trampoline_kernelINS0_14default_configENS1_20scan_config_selectorIjEEZZNS1_9scan_implILNS1_25lookback_scan_determinismE0ELb0ELb0ES3_N6thrust23THRUST_200600_302600_NS6detail15normal_iteratorINS9_10device_ptrIjEEEENS9_16discard_iteratorINS9_11use_defaultEEEjNS9_4plusIvEEjEEDaPvRmT3_T4_T5_mT6_P12ihipStream_tbENKUlT_T0_E_clISt17integral_constantIbLb0EESW_IbLb1EEEEDaSS_ST_EUlSS_E0_NS1_11comp_targetILNS1_3genE4ELNS1_11target_archE910ELNS1_3gpuE8ELNS1_3repE0EEENS1_30default_config_static_selectorELNS0_4arch9wavefront6targetE1EEEvT1_
		.amdhsa_group_segment_fixed_size 5120
		.amdhsa_private_segment_fixed_size 0
		.amdhsa_kernarg_size 40
		.amdhsa_user_sgpr_count 6
		.amdhsa_user_sgpr_private_segment_buffer 1
		.amdhsa_user_sgpr_dispatch_ptr 0
		.amdhsa_user_sgpr_queue_ptr 0
		.amdhsa_user_sgpr_kernarg_segment_ptr 1
		.amdhsa_user_sgpr_dispatch_id 0
		.amdhsa_user_sgpr_flat_scratch_init 0
		.amdhsa_user_sgpr_kernarg_preload_length 0
		.amdhsa_user_sgpr_kernarg_preload_offset 0
		.amdhsa_user_sgpr_private_segment_size 0
		.amdhsa_uses_dynamic_stack 0
		.amdhsa_system_sgpr_private_segment_wavefront_offset 0
		.amdhsa_system_sgpr_workgroup_id_x 1
		.amdhsa_system_sgpr_workgroup_id_y 0
		.amdhsa_system_sgpr_workgroup_id_z 0
		.amdhsa_system_sgpr_workgroup_info 0
		.amdhsa_system_vgpr_workitem_id 0
		.amdhsa_next_free_vgpr 27
		.amdhsa_next_free_sgpr 6
		.amdhsa_accum_offset 28
		.amdhsa_reserve_vcc 1
		.amdhsa_reserve_flat_scratch 0
		.amdhsa_float_round_mode_32 0
		.amdhsa_float_round_mode_16_64 0
		.amdhsa_float_denorm_mode_32 3
		.amdhsa_float_denorm_mode_16_64 3
		.amdhsa_dx10_clamp 1
		.amdhsa_ieee_mode 1
		.amdhsa_fp16_overflow 0
		.amdhsa_tg_split 0
		.amdhsa_exception_fp_ieee_invalid_op 0
		.amdhsa_exception_fp_denorm_src 0
		.amdhsa_exception_fp_ieee_div_zero 0
		.amdhsa_exception_fp_ieee_overflow 0
		.amdhsa_exception_fp_ieee_underflow 0
		.amdhsa_exception_fp_ieee_inexact 0
		.amdhsa_exception_int_div_zero 0
	.end_amdhsa_kernel
	.section	.text._ZN7rocprim17ROCPRIM_400000_NS6detail17trampoline_kernelINS0_14default_configENS1_20scan_config_selectorIjEEZZNS1_9scan_implILNS1_25lookback_scan_determinismE0ELb0ELb0ES3_N6thrust23THRUST_200600_302600_NS6detail15normal_iteratorINS9_10device_ptrIjEEEENS9_16discard_iteratorINS9_11use_defaultEEEjNS9_4plusIvEEjEEDaPvRmT3_T4_T5_mT6_P12ihipStream_tbENKUlT_T0_E_clISt17integral_constantIbLb0EESW_IbLb1EEEEDaSS_ST_EUlSS_E0_NS1_11comp_targetILNS1_3genE4ELNS1_11target_archE910ELNS1_3gpuE8ELNS1_3repE0EEENS1_30default_config_static_selectorELNS0_4arch9wavefront6targetE1EEEvT1_,"axG",@progbits,_ZN7rocprim17ROCPRIM_400000_NS6detail17trampoline_kernelINS0_14default_configENS1_20scan_config_selectorIjEEZZNS1_9scan_implILNS1_25lookback_scan_determinismE0ELb0ELb0ES3_N6thrust23THRUST_200600_302600_NS6detail15normal_iteratorINS9_10device_ptrIjEEEENS9_16discard_iteratorINS9_11use_defaultEEEjNS9_4plusIvEEjEEDaPvRmT3_T4_T5_mT6_P12ihipStream_tbENKUlT_T0_E_clISt17integral_constantIbLb0EESW_IbLb1EEEEDaSS_ST_EUlSS_E0_NS1_11comp_targetILNS1_3genE4ELNS1_11target_archE910ELNS1_3gpuE8ELNS1_3repE0EEENS1_30default_config_static_selectorELNS0_4arch9wavefront6targetE1EEEvT1_,comdat
.Lfunc_end5359:
	.size	_ZN7rocprim17ROCPRIM_400000_NS6detail17trampoline_kernelINS0_14default_configENS1_20scan_config_selectorIjEEZZNS1_9scan_implILNS1_25lookback_scan_determinismE0ELb0ELb0ES3_N6thrust23THRUST_200600_302600_NS6detail15normal_iteratorINS9_10device_ptrIjEEEENS9_16discard_iteratorINS9_11use_defaultEEEjNS9_4plusIvEEjEEDaPvRmT3_T4_T5_mT6_P12ihipStream_tbENKUlT_T0_E_clISt17integral_constantIbLb0EESW_IbLb1EEEEDaSS_ST_EUlSS_E0_NS1_11comp_targetILNS1_3genE4ELNS1_11target_archE910ELNS1_3gpuE8ELNS1_3repE0EEENS1_30default_config_static_selectorELNS0_4arch9wavefront6targetE1EEEvT1_, .Lfunc_end5359-_ZN7rocprim17ROCPRIM_400000_NS6detail17trampoline_kernelINS0_14default_configENS1_20scan_config_selectorIjEEZZNS1_9scan_implILNS1_25lookback_scan_determinismE0ELb0ELb0ES3_N6thrust23THRUST_200600_302600_NS6detail15normal_iteratorINS9_10device_ptrIjEEEENS9_16discard_iteratorINS9_11use_defaultEEEjNS9_4plusIvEEjEEDaPvRmT3_T4_T5_mT6_P12ihipStream_tbENKUlT_T0_E_clISt17integral_constantIbLb0EESW_IbLb1EEEEDaSS_ST_EUlSS_E0_NS1_11comp_targetILNS1_3genE4ELNS1_11target_archE910ELNS1_3gpuE8ELNS1_3repE0EEENS1_30default_config_static_selectorELNS0_4arch9wavefront6targetE1EEEvT1_
                                        ; -- End function
	.section	.AMDGPU.csdata,"",@progbits
; Kernel info:
; codeLenInByte = 1004
; NumSgprs: 10
; NumVgprs: 27
; NumAgprs: 0
; TotalNumVgprs: 27
; ScratchSize: 0
; MemoryBound: 0
; FloatMode: 240
; IeeeMode: 1
; LDSByteSize: 5120 bytes/workgroup (compile time only)
; SGPRBlocks: 1
; VGPRBlocks: 3
; NumSGPRsForWavesPerEU: 10
; NumVGPRsForWavesPerEU: 27
; AccumOffset: 28
; Occupancy: 6
; WaveLimiterHint : 0
; COMPUTE_PGM_RSRC2:SCRATCH_EN: 0
; COMPUTE_PGM_RSRC2:USER_SGPR: 6
; COMPUTE_PGM_RSRC2:TRAP_HANDLER: 0
; COMPUTE_PGM_RSRC2:TGID_X_EN: 1
; COMPUTE_PGM_RSRC2:TGID_Y_EN: 0
; COMPUTE_PGM_RSRC2:TGID_Z_EN: 0
; COMPUTE_PGM_RSRC2:TIDIG_COMP_CNT: 0
; COMPUTE_PGM_RSRC3_GFX90A:ACCUM_OFFSET: 6
; COMPUTE_PGM_RSRC3_GFX90A:TG_SPLIT: 0
	.section	.text._ZN7rocprim17ROCPRIM_400000_NS6detail17trampoline_kernelINS0_14default_configENS1_20scan_config_selectorIjEEZZNS1_9scan_implILNS1_25lookback_scan_determinismE0ELb0ELb0ES3_N6thrust23THRUST_200600_302600_NS6detail15normal_iteratorINS9_10device_ptrIjEEEENS9_16discard_iteratorINS9_11use_defaultEEEjNS9_4plusIvEEjEEDaPvRmT3_T4_T5_mT6_P12ihipStream_tbENKUlT_T0_E_clISt17integral_constantIbLb0EESW_IbLb1EEEEDaSS_ST_EUlSS_E0_NS1_11comp_targetILNS1_3genE3ELNS1_11target_archE908ELNS1_3gpuE7ELNS1_3repE0EEENS1_30default_config_static_selectorELNS0_4arch9wavefront6targetE1EEEvT1_,"axG",@progbits,_ZN7rocprim17ROCPRIM_400000_NS6detail17trampoline_kernelINS0_14default_configENS1_20scan_config_selectorIjEEZZNS1_9scan_implILNS1_25lookback_scan_determinismE0ELb0ELb0ES3_N6thrust23THRUST_200600_302600_NS6detail15normal_iteratorINS9_10device_ptrIjEEEENS9_16discard_iteratorINS9_11use_defaultEEEjNS9_4plusIvEEjEEDaPvRmT3_T4_T5_mT6_P12ihipStream_tbENKUlT_T0_E_clISt17integral_constantIbLb0EESW_IbLb1EEEEDaSS_ST_EUlSS_E0_NS1_11comp_targetILNS1_3genE3ELNS1_11target_archE908ELNS1_3gpuE7ELNS1_3repE0EEENS1_30default_config_static_selectorELNS0_4arch9wavefront6targetE1EEEvT1_,comdat
	.protected	_ZN7rocprim17ROCPRIM_400000_NS6detail17trampoline_kernelINS0_14default_configENS1_20scan_config_selectorIjEEZZNS1_9scan_implILNS1_25lookback_scan_determinismE0ELb0ELb0ES3_N6thrust23THRUST_200600_302600_NS6detail15normal_iteratorINS9_10device_ptrIjEEEENS9_16discard_iteratorINS9_11use_defaultEEEjNS9_4plusIvEEjEEDaPvRmT3_T4_T5_mT6_P12ihipStream_tbENKUlT_T0_E_clISt17integral_constantIbLb0EESW_IbLb1EEEEDaSS_ST_EUlSS_E0_NS1_11comp_targetILNS1_3genE3ELNS1_11target_archE908ELNS1_3gpuE7ELNS1_3repE0EEENS1_30default_config_static_selectorELNS0_4arch9wavefront6targetE1EEEvT1_ ; -- Begin function _ZN7rocprim17ROCPRIM_400000_NS6detail17trampoline_kernelINS0_14default_configENS1_20scan_config_selectorIjEEZZNS1_9scan_implILNS1_25lookback_scan_determinismE0ELb0ELb0ES3_N6thrust23THRUST_200600_302600_NS6detail15normal_iteratorINS9_10device_ptrIjEEEENS9_16discard_iteratorINS9_11use_defaultEEEjNS9_4plusIvEEjEEDaPvRmT3_T4_T5_mT6_P12ihipStream_tbENKUlT_T0_E_clISt17integral_constantIbLb0EESW_IbLb1EEEEDaSS_ST_EUlSS_E0_NS1_11comp_targetILNS1_3genE3ELNS1_11target_archE908ELNS1_3gpuE7ELNS1_3repE0EEENS1_30default_config_static_selectorELNS0_4arch9wavefront6targetE1EEEvT1_
	.globl	_ZN7rocprim17ROCPRIM_400000_NS6detail17trampoline_kernelINS0_14default_configENS1_20scan_config_selectorIjEEZZNS1_9scan_implILNS1_25lookback_scan_determinismE0ELb0ELb0ES3_N6thrust23THRUST_200600_302600_NS6detail15normal_iteratorINS9_10device_ptrIjEEEENS9_16discard_iteratorINS9_11use_defaultEEEjNS9_4plusIvEEjEEDaPvRmT3_T4_T5_mT6_P12ihipStream_tbENKUlT_T0_E_clISt17integral_constantIbLb0EESW_IbLb1EEEEDaSS_ST_EUlSS_E0_NS1_11comp_targetILNS1_3genE3ELNS1_11target_archE908ELNS1_3gpuE7ELNS1_3repE0EEENS1_30default_config_static_selectorELNS0_4arch9wavefront6targetE1EEEvT1_
	.p2align	8
	.type	_ZN7rocprim17ROCPRIM_400000_NS6detail17trampoline_kernelINS0_14default_configENS1_20scan_config_selectorIjEEZZNS1_9scan_implILNS1_25lookback_scan_determinismE0ELb0ELb0ES3_N6thrust23THRUST_200600_302600_NS6detail15normal_iteratorINS9_10device_ptrIjEEEENS9_16discard_iteratorINS9_11use_defaultEEEjNS9_4plusIvEEjEEDaPvRmT3_T4_T5_mT6_P12ihipStream_tbENKUlT_T0_E_clISt17integral_constantIbLb0EESW_IbLb1EEEEDaSS_ST_EUlSS_E0_NS1_11comp_targetILNS1_3genE3ELNS1_11target_archE908ELNS1_3gpuE7ELNS1_3repE0EEENS1_30default_config_static_selectorELNS0_4arch9wavefront6targetE1EEEvT1_,@function
_ZN7rocprim17ROCPRIM_400000_NS6detail17trampoline_kernelINS0_14default_configENS1_20scan_config_selectorIjEEZZNS1_9scan_implILNS1_25lookback_scan_determinismE0ELb0ELb0ES3_N6thrust23THRUST_200600_302600_NS6detail15normal_iteratorINS9_10device_ptrIjEEEENS9_16discard_iteratorINS9_11use_defaultEEEjNS9_4plusIvEEjEEDaPvRmT3_T4_T5_mT6_P12ihipStream_tbENKUlT_T0_E_clISt17integral_constantIbLb0EESW_IbLb1EEEEDaSS_ST_EUlSS_E0_NS1_11comp_targetILNS1_3genE3ELNS1_11target_archE908ELNS1_3gpuE7ELNS1_3repE0EEENS1_30default_config_static_selectorELNS0_4arch9wavefront6targetE1EEEvT1_: ; @_ZN7rocprim17ROCPRIM_400000_NS6detail17trampoline_kernelINS0_14default_configENS1_20scan_config_selectorIjEEZZNS1_9scan_implILNS1_25lookback_scan_determinismE0ELb0ELb0ES3_N6thrust23THRUST_200600_302600_NS6detail15normal_iteratorINS9_10device_ptrIjEEEENS9_16discard_iteratorINS9_11use_defaultEEEjNS9_4plusIvEEjEEDaPvRmT3_T4_T5_mT6_P12ihipStream_tbENKUlT_T0_E_clISt17integral_constantIbLb0EESW_IbLb1EEEEDaSS_ST_EUlSS_E0_NS1_11comp_targetILNS1_3genE3ELNS1_11target_archE908ELNS1_3gpuE7ELNS1_3repE0EEENS1_30default_config_static_selectorELNS0_4arch9wavefront6targetE1EEEvT1_
; %bb.0:
	.section	.rodata,"a",@progbits
	.p2align	6, 0x0
	.amdhsa_kernel _ZN7rocprim17ROCPRIM_400000_NS6detail17trampoline_kernelINS0_14default_configENS1_20scan_config_selectorIjEEZZNS1_9scan_implILNS1_25lookback_scan_determinismE0ELb0ELb0ES3_N6thrust23THRUST_200600_302600_NS6detail15normal_iteratorINS9_10device_ptrIjEEEENS9_16discard_iteratorINS9_11use_defaultEEEjNS9_4plusIvEEjEEDaPvRmT3_T4_T5_mT6_P12ihipStream_tbENKUlT_T0_E_clISt17integral_constantIbLb0EESW_IbLb1EEEEDaSS_ST_EUlSS_E0_NS1_11comp_targetILNS1_3genE3ELNS1_11target_archE908ELNS1_3gpuE7ELNS1_3repE0EEENS1_30default_config_static_selectorELNS0_4arch9wavefront6targetE1EEEvT1_
		.amdhsa_group_segment_fixed_size 0
		.amdhsa_private_segment_fixed_size 0
		.amdhsa_kernarg_size 40
		.amdhsa_user_sgpr_count 6
		.amdhsa_user_sgpr_private_segment_buffer 1
		.amdhsa_user_sgpr_dispatch_ptr 0
		.amdhsa_user_sgpr_queue_ptr 0
		.amdhsa_user_sgpr_kernarg_segment_ptr 1
		.amdhsa_user_sgpr_dispatch_id 0
		.amdhsa_user_sgpr_flat_scratch_init 0
		.amdhsa_user_sgpr_kernarg_preload_length 0
		.amdhsa_user_sgpr_kernarg_preload_offset 0
		.amdhsa_user_sgpr_private_segment_size 0
		.amdhsa_uses_dynamic_stack 0
		.amdhsa_system_sgpr_private_segment_wavefront_offset 0
		.amdhsa_system_sgpr_workgroup_id_x 1
		.amdhsa_system_sgpr_workgroup_id_y 0
		.amdhsa_system_sgpr_workgroup_id_z 0
		.amdhsa_system_sgpr_workgroup_info 0
		.amdhsa_system_vgpr_workitem_id 0
		.amdhsa_next_free_vgpr 1
		.amdhsa_next_free_sgpr 0
		.amdhsa_accum_offset 4
		.amdhsa_reserve_vcc 0
		.amdhsa_reserve_flat_scratch 0
		.amdhsa_float_round_mode_32 0
		.amdhsa_float_round_mode_16_64 0
		.amdhsa_float_denorm_mode_32 3
		.amdhsa_float_denorm_mode_16_64 3
		.amdhsa_dx10_clamp 1
		.amdhsa_ieee_mode 1
		.amdhsa_fp16_overflow 0
		.amdhsa_tg_split 0
		.amdhsa_exception_fp_ieee_invalid_op 0
		.amdhsa_exception_fp_denorm_src 0
		.amdhsa_exception_fp_ieee_div_zero 0
		.amdhsa_exception_fp_ieee_overflow 0
		.amdhsa_exception_fp_ieee_underflow 0
		.amdhsa_exception_fp_ieee_inexact 0
		.amdhsa_exception_int_div_zero 0
	.end_amdhsa_kernel
	.section	.text._ZN7rocprim17ROCPRIM_400000_NS6detail17trampoline_kernelINS0_14default_configENS1_20scan_config_selectorIjEEZZNS1_9scan_implILNS1_25lookback_scan_determinismE0ELb0ELb0ES3_N6thrust23THRUST_200600_302600_NS6detail15normal_iteratorINS9_10device_ptrIjEEEENS9_16discard_iteratorINS9_11use_defaultEEEjNS9_4plusIvEEjEEDaPvRmT3_T4_T5_mT6_P12ihipStream_tbENKUlT_T0_E_clISt17integral_constantIbLb0EESW_IbLb1EEEEDaSS_ST_EUlSS_E0_NS1_11comp_targetILNS1_3genE3ELNS1_11target_archE908ELNS1_3gpuE7ELNS1_3repE0EEENS1_30default_config_static_selectorELNS0_4arch9wavefront6targetE1EEEvT1_,"axG",@progbits,_ZN7rocprim17ROCPRIM_400000_NS6detail17trampoline_kernelINS0_14default_configENS1_20scan_config_selectorIjEEZZNS1_9scan_implILNS1_25lookback_scan_determinismE0ELb0ELb0ES3_N6thrust23THRUST_200600_302600_NS6detail15normal_iteratorINS9_10device_ptrIjEEEENS9_16discard_iteratorINS9_11use_defaultEEEjNS9_4plusIvEEjEEDaPvRmT3_T4_T5_mT6_P12ihipStream_tbENKUlT_T0_E_clISt17integral_constantIbLb0EESW_IbLb1EEEEDaSS_ST_EUlSS_E0_NS1_11comp_targetILNS1_3genE3ELNS1_11target_archE908ELNS1_3gpuE7ELNS1_3repE0EEENS1_30default_config_static_selectorELNS0_4arch9wavefront6targetE1EEEvT1_,comdat
.Lfunc_end5360:
	.size	_ZN7rocprim17ROCPRIM_400000_NS6detail17trampoline_kernelINS0_14default_configENS1_20scan_config_selectorIjEEZZNS1_9scan_implILNS1_25lookback_scan_determinismE0ELb0ELb0ES3_N6thrust23THRUST_200600_302600_NS6detail15normal_iteratorINS9_10device_ptrIjEEEENS9_16discard_iteratorINS9_11use_defaultEEEjNS9_4plusIvEEjEEDaPvRmT3_T4_T5_mT6_P12ihipStream_tbENKUlT_T0_E_clISt17integral_constantIbLb0EESW_IbLb1EEEEDaSS_ST_EUlSS_E0_NS1_11comp_targetILNS1_3genE3ELNS1_11target_archE908ELNS1_3gpuE7ELNS1_3repE0EEENS1_30default_config_static_selectorELNS0_4arch9wavefront6targetE1EEEvT1_, .Lfunc_end5360-_ZN7rocprim17ROCPRIM_400000_NS6detail17trampoline_kernelINS0_14default_configENS1_20scan_config_selectorIjEEZZNS1_9scan_implILNS1_25lookback_scan_determinismE0ELb0ELb0ES3_N6thrust23THRUST_200600_302600_NS6detail15normal_iteratorINS9_10device_ptrIjEEEENS9_16discard_iteratorINS9_11use_defaultEEEjNS9_4plusIvEEjEEDaPvRmT3_T4_T5_mT6_P12ihipStream_tbENKUlT_T0_E_clISt17integral_constantIbLb0EESW_IbLb1EEEEDaSS_ST_EUlSS_E0_NS1_11comp_targetILNS1_3genE3ELNS1_11target_archE908ELNS1_3gpuE7ELNS1_3repE0EEENS1_30default_config_static_selectorELNS0_4arch9wavefront6targetE1EEEvT1_
                                        ; -- End function
	.section	.AMDGPU.csdata,"",@progbits
; Kernel info:
; codeLenInByte = 0
; NumSgprs: 4
; NumVgprs: 0
; NumAgprs: 0
; TotalNumVgprs: 0
; ScratchSize: 0
; MemoryBound: 0
; FloatMode: 240
; IeeeMode: 1
; LDSByteSize: 0 bytes/workgroup (compile time only)
; SGPRBlocks: 0
; VGPRBlocks: 0
; NumSGPRsForWavesPerEU: 4
; NumVGPRsForWavesPerEU: 1
; AccumOffset: 4
; Occupancy: 8
; WaveLimiterHint : 0
; COMPUTE_PGM_RSRC2:SCRATCH_EN: 0
; COMPUTE_PGM_RSRC2:USER_SGPR: 6
; COMPUTE_PGM_RSRC2:TRAP_HANDLER: 0
; COMPUTE_PGM_RSRC2:TGID_X_EN: 1
; COMPUTE_PGM_RSRC2:TGID_Y_EN: 0
; COMPUTE_PGM_RSRC2:TGID_Z_EN: 0
; COMPUTE_PGM_RSRC2:TIDIG_COMP_CNT: 0
; COMPUTE_PGM_RSRC3_GFX90A:ACCUM_OFFSET: 0
; COMPUTE_PGM_RSRC3_GFX90A:TG_SPLIT: 0
	.section	.text._ZN7rocprim17ROCPRIM_400000_NS6detail17trampoline_kernelINS0_14default_configENS1_20scan_config_selectorIjEEZZNS1_9scan_implILNS1_25lookback_scan_determinismE0ELb0ELb0ES3_N6thrust23THRUST_200600_302600_NS6detail15normal_iteratorINS9_10device_ptrIjEEEENS9_16discard_iteratorINS9_11use_defaultEEEjNS9_4plusIvEEjEEDaPvRmT3_T4_T5_mT6_P12ihipStream_tbENKUlT_T0_E_clISt17integral_constantIbLb0EESW_IbLb1EEEEDaSS_ST_EUlSS_E0_NS1_11comp_targetILNS1_3genE2ELNS1_11target_archE906ELNS1_3gpuE6ELNS1_3repE0EEENS1_30default_config_static_selectorELNS0_4arch9wavefront6targetE1EEEvT1_,"axG",@progbits,_ZN7rocprim17ROCPRIM_400000_NS6detail17trampoline_kernelINS0_14default_configENS1_20scan_config_selectorIjEEZZNS1_9scan_implILNS1_25lookback_scan_determinismE0ELb0ELb0ES3_N6thrust23THRUST_200600_302600_NS6detail15normal_iteratorINS9_10device_ptrIjEEEENS9_16discard_iteratorINS9_11use_defaultEEEjNS9_4plusIvEEjEEDaPvRmT3_T4_T5_mT6_P12ihipStream_tbENKUlT_T0_E_clISt17integral_constantIbLb0EESW_IbLb1EEEEDaSS_ST_EUlSS_E0_NS1_11comp_targetILNS1_3genE2ELNS1_11target_archE906ELNS1_3gpuE6ELNS1_3repE0EEENS1_30default_config_static_selectorELNS0_4arch9wavefront6targetE1EEEvT1_,comdat
	.protected	_ZN7rocprim17ROCPRIM_400000_NS6detail17trampoline_kernelINS0_14default_configENS1_20scan_config_selectorIjEEZZNS1_9scan_implILNS1_25lookback_scan_determinismE0ELb0ELb0ES3_N6thrust23THRUST_200600_302600_NS6detail15normal_iteratorINS9_10device_ptrIjEEEENS9_16discard_iteratorINS9_11use_defaultEEEjNS9_4plusIvEEjEEDaPvRmT3_T4_T5_mT6_P12ihipStream_tbENKUlT_T0_E_clISt17integral_constantIbLb0EESW_IbLb1EEEEDaSS_ST_EUlSS_E0_NS1_11comp_targetILNS1_3genE2ELNS1_11target_archE906ELNS1_3gpuE6ELNS1_3repE0EEENS1_30default_config_static_selectorELNS0_4arch9wavefront6targetE1EEEvT1_ ; -- Begin function _ZN7rocprim17ROCPRIM_400000_NS6detail17trampoline_kernelINS0_14default_configENS1_20scan_config_selectorIjEEZZNS1_9scan_implILNS1_25lookback_scan_determinismE0ELb0ELb0ES3_N6thrust23THRUST_200600_302600_NS6detail15normal_iteratorINS9_10device_ptrIjEEEENS9_16discard_iteratorINS9_11use_defaultEEEjNS9_4plusIvEEjEEDaPvRmT3_T4_T5_mT6_P12ihipStream_tbENKUlT_T0_E_clISt17integral_constantIbLb0EESW_IbLb1EEEEDaSS_ST_EUlSS_E0_NS1_11comp_targetILNS1_3genE2ELNS1_11target_archE906ELNS1_3gpuE6ELNS1_3repE0EEENS1_30default_config_static_selectorELNS0_4arch9wavefront6targetE1EEEvT1_
	.globl	_ZN7rocprim17ROCPRIM_400000_NS6detail17trampoline_kernelINS0_14default_configENS1_20scan_config_selectorIjEEZZNS1_9scan_implILNS1_25lookback_scan_determinismE0ELb0ELb0ES3_N6thrust23THRUST_200600_302600_NS6detail15normal_iteratorINS9_10device_ptrIjEEEENS9_16discard_iteratorINS9_11use_defaultEEEjNS9_4plusIvEEjEEDaPvRmT3_T4_T5_mT6_P12ihipStream_tbENKUlT_T0_E_clISt17integral_constantIbLb0EESW_IbLb1EEEEDaSS_ST_EUlSS_E0_NS1_11comp_targetILNS1_3genE2ELNS1_11target_archE906ELNS1_3gpuE6ELNS1_3repE0EEENS1_30default_config_static_selectorELNS0_4arch9wavefront6targetE1EEEvT1_
	.p2align	8
	.type	_ZN7rocprim17ROCPRIM_400000_NS6detail17trampoline_kernelINS0_14default_configENS1_20scan_config_selectorIjEEZZNS1_9scan_implILNS1_25lookback_scan_determinismE0ELb0ELb0ES3_N6thrust23THRUST_200600_302600_NS6detail15normal_iteratorINS9_10device_ptrIjEEEENS9_16discard_iteratorINS9_11use_defaultEEEjNS9_4plusIvEEjEEDaPvRmT3_T4_T5_mT6_P12ihipStream_tbENKUlT_T0_E_clISt17integral_constantIbLb0EESW_IbLb1EEEEDaSS_ST_EUlSS_E0_NS1_11comp_targetILNS1_3genE2ELNS1_11target_archE906ELNS1_3gpuE6ELNS1_3repE0EEENS1_30default_config_static_selectorELNS0_4arch9wavefront6targetE1EEEvT1_,@function
_ZN7rocprim17ROCPRIM_400000_NS6detail17trampoline_kernelINS0_14default_configENS1_20scan_config_selectorIjEEZZNS1_9scan_implILNS1_25lookback_scan_determinismE0ELb0ELb0ES3_N6thrust23THRUST_200600_302600_NS6detail15normal_iteratorINS9_10device_ptrIjEEEENS9_16discard_iteratorINS9_11use_defaultEEEjNS9_4plusIvEEjEEDaPvRmT3_T4_T5_mT6_P12ihipStream_tbENKUlT_T0_E_clISt17integral_constantIbLb0EESW_IbLb1EEEEDaSS_ST_EUlSS_E0_NS1_11comp_targetILNS1_3genE2ELNS1_11target_archE906ELNS1_3gpuE6ELNS1_3repE0EEENS1_30default_config_static_selectorELNS0_4arch9wavefront6targetE1EEEvT1_: ; @_ZN7rocprim17ROCPRIM_400000_NS6detail17trampoline_kernelINS0_14default_configENS1_20scan_config_selectorIjEEZZNS1_9scan_implILNS1_25lookback_scan_determinismE0ELb0ELb0ES3_N6thrust23THRUST_200600_302600_NS6detail15normal_iteratorINS9_10device_ptrIjEEEENS9_16discard_iteratorINS9_11use_defaultEEEjNS9_4plusIvEEjEEDaPvRmT3_T4_T5_mT6_P12ihipStream_tbENKUlT_T0_E_clISt17integral_constantIbLb0EESW_IbLb1EEEEDaSS_ST_EUlSS_E0_NS1_11comp_targetILNS1_3genE2ELNS1_11target_archE906ELNS1_3gpuE6ELNS1_3repE0EEENS1_30default_config_static_selectorELNS0_4arch9wavefront6targetE1EEEvT1_
; %bb.0:
	.section	.rodata,"a",@progbits
	.p2align	6, 0x0
	.amdhsa_kernel _ZN7rocprim17ROCPRIM_400000_NS6detail17trampoline_kernelINS0_14default_configENS1_20scan_config_selectorIjEEZZNS1_9scan_implILNS1_25lookback_scan_determinismE0ELb0ELb0ES3_N6thrust23THRUST_200600_302600_NS6detail15normal_iteratorINS9_10device_ptrIjEEEENS9_16discard_iteratorINS9_11use_defaultEEEjNS9_4plusIvEEjEEDaPvRmT3_T4_T5_mT6_P12ihipStream_tbENKUlT_T0_E_clISt17integral_constantIbLb0EESW_IbLb1EEEEDaSS_ST_EUlSS_E0_NS1_11comp_targetILNS1_3genE2ELNS1_11target_archE906ELNS1_3gpuE6ELNS1_3repE0EEENS1_30default_config_static_selectorELNS0_4arch9wavefront6targetE1EEEvT1_
		.amdhsa_group_segment_fixed_size 0
		.amdhsa_private_segment_fixed_size 0
		.amdhsa_kernarg_size 40
		.amdhsa_user_sgpr_count 6
		.amdhsa_user_sgpr_private_segment_buffer 1
		.amdhsa_user_sgpr_dispatch_ptr 0
		.amdhsa_user_sgpr_queue_ptr 0
		.amdhsa_user_sgpr_kernarg_segment_ptr 1
		.amdhsa_user_sgpr_dispatch_id 0
		.amdhsa_user_sgpr_flat_scratch_init 0
		.amdhsa_user_sgpr_kernarg_preload_length 0
		.amdhsa_user_sgpr_kernarg_preload_offset 0
		.amdhsa_user_sgpr_private_segment_size 0
		.amdhsa_uses_dynamic_stack 0
		.amdhsa_system_sgpr_private_segment_wavefront_offset 0
		.amdhsa_system_sgpr_workgroup_id_x 1
		.amdhsa_system_sgpr_workgroup_id_y 0
		.amdhsa_system_sgpr_workgroup_id_z 0
		.amdhsa_system_sgpr_workgroup_info 0
		.amdhsa_system_vgpr_workitem_id 0
		.amdhsa_next_free_vgpr 1
		.amdhsa_next_free_sgpr 0
		.amdhsa_accum_offset 4
		.amdhsa_reserve_vcc 0
		.amdhsa_reserve_flat_scratch 0
		.amdhsa_float_round_mode_32 0
		.amdhsa_float_round_mode_16_64 0
		.amdhsa_float_denorm_mode_32 3
		.amdhsa_float_denorm_mode_16_64 3
		.amdhsa_dx10_clamp 1
		.amdhsa_ieee_mode 1
		.amdhsa_fp16_overflow 0
		.amdhsa_tg_split 0
		.amdhsa_exception_fp_ieee_invalid_op 0
		.amdhsa_exception_fp_denorm_src 0
		.amdhsa_exception_fp_ieee_div_zero 0
		.amdhsa_exception_fp_ieee_overflow 0
		.amdhsa_exception_fp_ieee_underflow 0
		.amdhsa_exception_fp_ieee_inexact 0
		.amdhsa_exception_int_div_zero 0
	.end_amdhsa_kernel
	.section	.text._ZN7rocprim17ROCPRIM_400000_NS6detail17trampoline_kernelINS0_14default_configENS1_20scan_config_selectorIjEEZZNS1_9scan_implILNS1_25lookback_scan_determinismE0ELb0ELb0ES3_N6thrust23THRUST_200600_302600_NS6detail15normal_iteratorINS9_10device_ptrIjEEEENS9_16discard_iteratorINS9_11use_defaultEEEjNS9_4plusIvEEjEEDaPvRmT3_T4_T5_mT6_P12ihipStream_tbENKUlT_T0_E_clISt17integral_constantIbLb0EESW_IbLb1EEEEDaSS_ST_EUlSS_E0_NS1_11comp_targetILNS1_3genE2ELNS1_11target_archE906ELNS1_3gpuE6ELNS1_3repE0EEENS1_30default_config_static_selectorELNS0_4arch9wavefront6targetE1EEEvT1_,"axG",@progbits,_ZN7rocprim17ROCPRIM_400000_NS6detail17trampoline_kernelINS0_14default_configENS1_20scan_config_selectorIjEEZZNS1_9scan_implILNS1_25lookback_scan_determinismE0ELb0ELb0ES3_N6thrust23THRUST_200600_302600_NS6detail15normal_iteratorINS9_10device_ptrIjEEEENS9_16discard_iteratorINS9_11use_defaultEEEjNS9_4plusIvEEjEEDaPvRmT3_T4_T5_mT6_P12ihipStream_tbENKUlT_T0_E_clISt17integral_constantIbLb0EESW_IbLb1EEEEDaSS_ST_EUlSS_E0_NS1_11comp_targetILNS1_3genE2ELNS1_11target_archE906ELNS1_3gpuE6ELNS1_3repE0EEENS1_30default_config_static_selectorELNS0_4arch9wavefront6targetE1EEEvT1_,comdat
.Lfunc_end5361:
	.size	_ZN7rocprim17ROCPRIM_400000_NS6detail17trampoline_kernelINS0_14default_configENS1_20scan_config_selectorIjEEZZNS1_9scan_implILNS1_25lookback_scan_determinismE0ELb0ELb0ES3_N6thrust23THRUST_200600_302600_NS6detail15normal_iteratorINS9_10device_ptrIjEEEENS9_16discard_iteratorINS9_11use_defaultEEEjNS9_4plusIvEEjEEDaPvRmT3_T4_T5_mT6_P12ihipStream_tbENKUlT_T0_E_clISt17integral_constantIbLb0EESW_IbLb1EEEEDaSS_ST_EUlSS_E0_NS1_11comp_targetILNS1_3genE2ELNS1_11target_archE906ELNS1_3gpuE6ELNS1_3repE0EEENS1_30default_config_static_selectorELNS0_4arch9wavefront6targetE1EEEvT1_, .Lfunc_end5361-_ZN7rocprim17ROCPRIM_400000_NS6detail17trampoline_kernelINS0_14default_configENS1_20scan_config_selectorIjEEZZNS1_9scan_implILNS1_25lookback_scan_determinismE0ELb0ELb0ES3_N6thrust23THRUST_200600_302600_NS6detail15normal_iteratorINS9_10device_ptrIjEEEENS9_16discard_iteratorINS9_11use_defaultEEEjNS9_4plusIvEEjEEDaPvRmT3_T4_T5_mT6_P12ihipStream_tbENKUlT_T0_E_clISt17integral_constantIbLb0EESW_IbLb1EEEEDaSS_ST_EUlSS_E0_NS1_11comp_targetILNS1_3genE2ELNS1_11target_archE906ELNS1_3gpuE6ELNS1_3repE0EEENS1_30default_config_static_selectorELNS0_4arch9wavefront6targetE1EEEvT1_
                                        ; -- End function
	.section	.AMDGPU.csdata,"",@progbits
; Kernel info:
; codeLenInByte = 0
; NumSgprs: 4
; NumVgprs: 0
; NumAgprs: 0
; TotalNumVgprs: 0
; ScratchSize: 0
; MemoryBound: 0
; FloatMode: 240
; IeeeMode: 1
; LDSByteSize: 0 bytes/workgroup (compile time only)
; SGPRBlocks: 0
; VGPRBlocks: 0
; NumSGPRsForWavesPerEU: 4
; NumVGPRsForWavesPerEU: 1
; AccumOffset: 4
; Occupancy: 8
; WaveLimiterHint : 0
; COMPUTE_PGM_RSRC2:SCRATCH_EN: 0
; COMPUTE_PGM_RSRC2:USER_SGPR: 6
; COMPUTE_PGM_RSRC2:TRAP_HANDLER: 0
; COMPUTE_PGM_RSRC2:TGID_X_EN: 1
; COMPUTE_PGM_RSRC2:TGID_Y_EN: 0
; COMPUTE_PGM_RSRC2:TGID_Z_EN: 0
; COMPUTE_PGM_RSRC2:TIDIG_COMP_CNT: 0
; COMPUTE_PGM_RSRC3_GFX90A:ACCUM_OFFSET: 0
; COMPUTE_PGM_RSRC3_GFX90A:TG_SPLIT: 0
	.section	.text._ZN7rocprim17ROCPRIM_400000_NS6detail17trampoline_kernelINS0_14default_configENS1_20scan_config_selectorIjEEZZNS1_9scan_implILNS1_25lookback_scan_determinismE0ELb0ELb0ES3_N6thrust23THRUST_200600_302600_NS6detail15normal_iteratorINS9_10device_ptrIjEEEENS9_16discard_iteratorINS9_11use_defaultEEEjNS9_4plusIvEEjEEDaPvRmT3_T4_T5_mT6_P12ihipStream_tbENKUlT_T0_E_clISt17integral_constantIbLb0EESW_IbLb1EEEEDaSS_ST_EUlSS_E0_NS1_11comp_targetILNS1_3genE10ELNS1_11target_archE1201ELNS1_3gpuE5ELNS1_3repE0EEENS1_30default_config_static_selectorELNS0_4arch9wavefront6targetE1EEEvT1_,"axG",@progbits,_ZN7rocprim17ROCPRIM_400000_NS6detail17trampoline_kernelINS0_14default_configENS1_20scan_config_selectorIjEEZZNS1_9scan_implILNS1_25lookback_scan_determinismE0ELb0ELb0ES3_N6thrust23THRUST_200600_302600_NS6detail15normal_iteratorINS9_10device_ptrIjEEEENS9_16discard_iteratorINS9_11use_defaultEEEjNS9_4plusIvEEjEEDaPvRmT3_T4_T5_mT6_P12ihipStream_tbENKUlT_T0_E_clISt17integral_constantIbLb0EESW_IbLb1EEEEDaSS_ST_EUlSS_E0_NS1_11comp_targetILNS1_3genE10ELNS1_11target_archE1201ELNS1_3gpuE5ELNS1_3repE0EEENS1_30default_config_static_selectorELNS0_4arch9wavefront6targetE1EEEvT1_,comdat
	.protected	_ZN7rocprim17ROCPRIM_400000_NS6detail17trampoline_kernelINS0_14default_configENS1_20scan_config_selectorIjEEZZNS1_9scan_implILNS1_25lookback_scan_determinismE0ELb0ELb0ES3_N6thrust23THRUST_200600_302600_NS6detail15normal_iteratorINS9_10device_ptrIjEEEENS9_16discard_iteratorINS9_11use_defaultEEEjNS9_4plusIvEEjEEDaPvRmT3_T4_T5_mT6_P12ihipStream_tbENKUlT_T0_E_clISt17integral_constantIbLb0EESW_IbLb1EEEEDaSS_ST_EUlSS_E0_NS1_11comp_targetILNS1_3genE10ELNS1_11target_archE1201ELNS1_3gpuE5ELNS1_3repE0EEENS1_30default_config_static_selectorELNS0_4arch9wavefront6targetE1EEEvT1_ ; -- Begin function _ZN7rocprim17ROCPRIM_400000_NS6detail17trampoline_kernelINS0_14default_configENS1_20scan_config_selectorIjEEZZNS1_9scan_implILNS1_25lookback_scan_determinismE0ELb0ELb0ES3_N6thrust23THRUST_200600_302600_NS6detail15normal_iteratorINS9_10device_ptrIjEEEENS9_16discard_iteratorINS9_11use_defaultEEEjNS9_4plusIvEEjEEDaPvRmT3_T4_T5_mT6_P12ihipStream_tbENKUlT_T0_E_clISt17integral_constantIbLb0EESW_IbLb1EEEEDaSS_ST_EUlSS_E0_NS1_11comp_targetILNS1_3genE10ELNS1_11target_archE1201ELNS1_3gpuE5ELNS1_3repE0EEENS1_30default_config_static_selectorELNS0_4arch9wavefront6targetE1EEEvT1_
	.globl	_ZN7rocprim17ROCPRIM_400000_NS6detail17trampoline_kernelINS0_14default_configENS1_20scan_config_selectorIjEEZZNS1_9scan_implILNS1_25lookback_scan_determinismE0ELb0ELb0ES3_N6thrust23THRUST_200600_302600_NS6detail15normal_iteratorINS9_10device_ptrIjEEEENS9_16discard_iteratorINS9_11use_defaultEEEjNS9_4plusIvEEjEEDaPvRmT3_T4_T5_mT6_P12ihipStream_tbENKUlT_T0_E_clISt17integral_constantIbLb0EESW_IbLb1EEEEDaSS_ST_EUlSS_E0_NS1_11comp_targetILNS1_3genE10ELNS1_11target_archE1201ELNS1_3gpuE5ELNS1_3repE0EEENS1_30default_config_static_selectorELNS0_4arch9wavefront6targetE1EEEvT1_
	.p2align	8
	.type	_ZN7rocprim17ROCPRIM_400000_NS6detail17trampoline_kernelINS0_14default_configENS1_20scan_config_selectorIjEEZZNS1_9scan_implILNS1_25lookback_scan_determinismE0ELb0ELb0ES3_N6thrust23THRUST_200600_302600_NS6detail15normal_iteratorINS9_10device_ptrIjEEEENS9_16discard_iteratorINS9_11use_defaultEEEjNS9_4plusIvEEjEEDaPvRmT3_T4_T5_mT6_P12ihipStream_tbENKUlT_T0_E_clISt17integral_constantIbLb0EESW_IbLb1EEEEDaSS_ST_EUlSS_E0_NS1_11comp_targetILNS1_3genE10ELNS1_11target_archE1201ELNS1_3gpuE5ELNS1_3repE0EEENS1_30default_config_static_selectorELNS0_4arch9wavefront6targetE1EEEvT1_,@function
_ZN7rocprim17ROCPRIM_400000_NS6detail17trampoline_kernelINS0_14default_configENS1_20scan_config_selectorIjEEZZNS1_9scan_implILNS1_25lookback_scan_determinismE0ELb0ELb0ES3_N6thrust23THRUST_200600_302600_NS6detail15normal_iteratorINS9_10device_ptrIjEEEENS9_16discard_iteratorINS9_11use_defaultEEEjNS9_4plusIvEEjEEDaPvRmT3_T4_T5_mT6_P12ihipStream_tbENKUlT_T0_E_clISt17integral_constantIbLb0EESW_IbLb1EEEEDaSS_ST_EUlSS_E0_NS1_11comp_targetILNS1_3genE10ELNS1_11target_archE1201ELNS1_3gpuE5ELNS1_3repE0EEENS1_30default_config_static_selectorELNS0_4arch9wavefront6targetE1EEEvT1_: ; @_ZN7rocprim17ROCPRIM_400000_NS6detail17trampoline_kernelINS0_14default_configENS1_20scan_config_selectorIjEEZZNS1_9scan_implILNS1_25lookback_scan_determinismE0ELb0ELb0ES3_N6thrust23THRUST_200600_302600_NS6detail15normal_iteratorINS9_10device_ptrIjEEEENS9_16discard_iteratorINS9_11use_defaultEEEjNS9_4plusIvEEjEEDaPvRmT3_T4_T5_mT6_P12ihipStream_tbENKUlT_T0_E_clISt17integral_constantIbLb0EESW_IbLb1EEEEDaSS_ST_EUlSS_E0_NS1_11comp_targetILNS1_3genE10ELNS1_11target_archE1201ELNS1_3gpuE5ELNS1_3repE0EEENS1_30default_config_static_selectorELNS0_4arch9wavefront6targetE1EEEvT1_
; %bb.0:
	.section	.rodata,"a",@progbits
	.p2align	6, 0x0
	.amdhsa_kernel _ZN7rocprim17ROCPRIM_400000_NS6detail17trampoline_kernelINS0_14default_configENS1_20scan_config_selectorIjEEZZNS1_9scan_implILNS1_25lookback_scan_determinismE0ELb0ELb0ES3_N6thrust23THRUST_200600_302600_NS6detail15normal_iteratorINS9_10device_ptrIjEEEENS9_16discard_iteratorINS9_11use_defaultEEEjNS9_4plusIvEEjEEDaPvRmT3_T4_T5_mT6_P12ihipStream_tbENKUlT_T0_E_clISt17integral_constantIbLb0EESW_IbLb1EEEEDaSS_ST_EUlSS_E0_NS1_11comp_targetILNS1_3genE10ELNS1_11target_archE1201ELNS1_3gpuE5ELNS1_3repE0EEENS1_30default_config_static_selectorELNS0_4arch9wavefront6targetE1EEEvT1_
		.amdhsa_group_segment_fixed_size 0
		.amdhsa_private_segment_fixed_size 0
		.amdhsa_kernarg_size 40
		.amdhsa_user_sgpr_count 6
		.amdhsa_user_sgpr_private_segment_buffer 1
		.amdhsa_user_sgpr_dispatch_ptr 0
		.amdhsa_user_sgpr_queue_ptr 0
		.amdhsa_user_sgpr_kernarg_segment_ptr 1
		.amdhsa_user_sgpr_dispatch_id 0
		.amdhsa_user_sgpr_flat_scratch_init 0
		.amdhsa_user_sgpr_kernarg_preload_length 0
		.amdhsa_user_sgpr_kernarg_preload_offset 0
		.amdhsa_user_sgpr_private_segment_size 0
		.amdhsa_uses_dynamic_stack 0
		.amdhsa_system_sgpr_private_segment_wavefront_offset 0
		.amdhsa_system_sgpr_workgroup_id_x 1
		.amdhsa_system_sgpr_workgroup_id_y 0
		.amdhsa_system_sgpr_workgroup_id_z 0
		.amdhsa_system_sgpr_workgroup_info 0
		.amdhsa_system_vgpr_workitem_id 0
		.amdhsa_next_free_vgpr 1
		.amdhsa_next_free_sgpr 0
		.amdhsa_accum_offset 4
		.amdhsa_reserve_vcc 0
		.amdhsa_reserve_flat_scratch 0
		.amdhsa_float_round_mode_32 0
		.amdhsa_float_round_mode_16_64 0
		.amdhsa_float_denorm_mode_32 3
		.amdhsa_float_denorm_mode_16_64 3
		.amdhsa_dx10_clamp 1
		.amdhsa_ieee_mode 1
		.amdhsa_fp16_overflow 0
		.amdhsa_tg_split 0
		.amdhsa_exception_fp_ieee_invalid_op 0
		.amdhsa_exception_fp_denorm_src 0
		.amdhsa_exception_fp_ieee_div_zero 0
		.amdhsa_exception_fp_ieee_overflow 0
		.amdhsa_exception_fp_ieee_underflow 0
		.amdhsa_exception_fp_ieee_inexact 0
		.amdhsa_exception_int_div_zero 0
	.end_amdhsa_kernel
	.section	.text._ZN7rocprim17ROCPRIM_400000_NS6detail17trampoline_kernelINS0_14default_configENS1_20scan_config_selectorIjEEZZNS1_9scan_implILNS1_25lookback_scan_determinismE0ELb0ELb0ES3_N6thrust23THRUST_200600_302600_NS6detail15normal_iteratorINS9_10device_ptrIjEEEENS9_16discard_iteratorINS9_11use_defaultEEEjNS9_4plusIvEEjEEDaPvRmT3_T4_T5_mT6_P12ihipStream_tbENKUlT_T0_E_clISt17integral_constantIbLb0EESW_IbLb1EEEEDaSS_ST_EUlSS_E0_NS1_11comp_targetILNS1_3genE10ELNS1_11target_archE1201ELNS1_3gpuE5ELNS1_3repE0EEENS1_30default_config_static_selectorELNS0_4arch9wavefront6targetE1EEEvT1_,"axG",@progbits,_ZN7rocprim17ROCPRIM_400000_NS6detail17trampoline_kernelINS0_14default_configENS1_20scan_config_selectorIjEEZZNS1_9scan_implILNS1_25lookback_scan_determinismE0ELb0ELb0ES3_N6thrust23THRUST_200600_302600_NS6detail15normal_iteratorINS9_10device_ptrIjEEEENS9_16discard_iteratorINS9_11use_defaultEEEjNS9_4plusIvEEjEEDaPvRmT3_T4_T5_mT6_P12ihipStream_tbENKUlT_T0_E_clISt17integral_constantIbLb0EESW_IbLb1EEEEDaSS_ST_EUlSS_E0_NS1_11comp_targetILNS1_3genE10ELNS1_11target_archE1201ELNS1_3gpuE5ELNS1_3repE0EEENS1_30default_config_static_selectorELNS0_4arch9wavefront6targetE1EEEvT1_,comdat
.Lfunc_end5362:
	.size	_ZN7rocprim17ROCPRIM_400000_NS6detail17trampoline_kernelINS0_14default_configENS1_20scan_config_selectorIjEEZZNS1_9scan_implILNS1_25lookback_scan_determinismE0ELb0ELb0ES3_N6thrust23THRUST_200600_302600_NS6detail15normal_iteratorINS9_10device_ptrIjEEEENS9_16discard_iteratorINS9_11use_defaultEEEjNS9_4plusIvEEjEEDaPvRmT3_T4_T5_mT6_P12ihipStream_tbENKUlT_T0_E_clISt17integral_constantIbLb0EESW_IbLb1EEEEDaSS_ST_EUlSS_E0_NS1_11comp_targetILNS1_3genE10ELNS1_11target_archE1201ELNS1_3gpuE5ELNS1_3repE0EEENS1_30default_config_static_selectorELNS0_4arch9wavefront6targetE1EEEvT1_, .Lfunc_end5362-_ZN7rocprim17ROCPRIM_400000_NS6detail17trampoline_kernelINS0_14default_configENS1_20scan_config_selectorIjEEZZNS1_9scan_implILNS1_25lookback_scan_determinismE0ELb0ELb0ES3_N6thrust23THRUST_200600_302600_NS6detail15normal_iteratorINS9_10device_ptrIjEEEENS9_16discard_iteratorINS9_11use_defaultEEEjNS9_4plusIvEEjEEDaPvRmT3_T4_T5_mT6_P12ihipStream_tbENKUlT_T0_E_clISt17integral_constantIbLb0EESW_IbLb1EEEEDaSS_ST_EUlSS_E0_NS1_11comp_targetILNS1_3genE10ELNS1_11target_archE1201ELNS1_3gpuE5ELNS1_3repE0EEENS1_30default_config_static_selectorELNS0_4arch9wavefront6targetE1EEEvT1_
                                        ; -- End function
	.section	.AMDGPU.csdata,"",@progbits
; Kernel info:
; codeLenInByte = 0
; NumSgprs: 4
; NumVgprs: 0
; NumAgprs: 0
; TotalNumVgprs: 0
; ScratchSize: 0
; MemoryBound: 0
; FloatMode: 240
; IeeeMode: 1
; LDSByteSize: 0 bytes/workgroup (compile time only)
; SGPRBlocks: 0
; VGPRBlocks: 0
; NumSGPRsForWavesPerEU: 4
; NumVGPRsForWavesPerEU: 1
; AccumOffset: 4
; Occupancy: 8
; WaveLimiterHint : 0
; COMPUTE_PGM_RSRC2:SCRATCH_EN: 0
; COMPUTE_PGM_RSRC2:USER_SGPR: 6
; COMPUTE_PGM_RSRC2:TRAP_HANDLER: 0
; COMPUTE_PGM_RSRC2:TGID_X_EN: 1
; COMPUTE_PGM_RSRC2:TGID_Y_EN: 0
; COMPUTE_PGM_RSRC2:TGID_Z_EN: 0
; COMPUTE_PGM_RSRC2:TIDIG_COMP_CNT: 0
; COMPUTE_PGM_RSRC3_GFX90A:ACCUM_OFFSET: 0
; COMPUTE_PGM_RSRC3_GFX90A:TG_SPLIT: 0
	.section	.text._ZN7rocprim17ROCPRIM_400000_NS6detail17trampoline_kernelINS0_14default_configENS1_20scan_config_selectorIjEEZZNS1_9scan_implILNS1_25lookback_scan_determinismE0ELb0ELb0ES3_N6thrust23THRUST_200600_302600_NS6detail15normal_iteratorINS9_10device_ptrIjEEEENS9_16discard_iteratorINS9_11use_defaultEEEjNS9_4plusIvEEjEEDaPvRmT3_T4_T5_mT6_P12ihipStream_tbENKUlT_T0_E_clISt17integral_constantIbLb0EESW_IbLb1EEEEDaSS_ST_EUlSS_E0_NS1_11comp_targetILNS1_3genE10ELNS1_11target_archE1200ELNS1_3gpuE4ELNS1_3repE0EEENS1_30default_config_static_selectorELNS0_4arch9wavefront6targetE1EEEvT1_,"axG",@progbits,_ZN7rocprim17ROCPRIM_400000_NS6detail17trampoline_kernelINS0_14default_configENS1_20scan_config_selectorIjEEZZNS1_9scan_implILNS1_25lookback_scan_determinismE0ELb0ELb0ES3_N6thrust23THRUST_200600_302600_NS6detail15normal_iteratorINS9_10device_ptrIjEEEENS9_16discard_iteratorINS9_11use_defaultEEEjNS9_4plusIvEEjEEDaPvRmT3_T4_T5_mT6_P12ihipStream_tbENKUlT_T0_E_clISt17integral_constantIbLb0EESW_IbLb1EEEEDaSS_ST_EUlSS_E0_NS1_11comp_targetILNS1_3genE10ELNS1_11target_archE1200ELNS1_3gpuE4ELNS1_3repE0EEENS1_30default_config_static_selectorELNS0_4arch9wavefront6targetE1EEEvT1_,comdat
	.protected	_ZN7rocprim17ROCPRIM_400000_NS6detail17trampoline_kernelINS0_14default_configENS1_20scan_config_selectorIjEEZZNS1_9scan_implILNS1_25lookback_scan_determinismE0ELb0ELb0ES3_N6thrust23THRUST_200600_302600_NS6detail15normal_iteratorINS9_10device_ptrIjEEEENS9_16discard_iteratorINS9_11use_defaultEEEjNS9_4plusIvEEjEEDaPvRmT3_T4_T5_mT6_P12ihipStream_tbENKUlT_T0_E_clISt17integral_constantIbLb0EESW_IbLb1EEEEDaSS_ST_EUlSS_E0_NS1_11comp_targetILNS1_3genE10ELNS1_11target_archE1200ELNS1_3gpuE4ELNS1_3repE0EEENS1_30default_config_static_selectorELNS0_4arch9wavefront6targetE1EEEvT1_ ; -- Begin function _ZN7rocprim17ROCPRIM_400000_NS6detail17trampoline_kernelINS0_14default_configENS1_20scan_config_selectorIjEEZZNS1_9scan_implILNS1_25lookback_scan_determinismE0ELb0ELb0ES3_N6thrust23THRUST_200600_302600_NS6detail15normal_iteratorINS9_10device_ptrIjEEEENS9_16discard_iteratorINS9_11use_defaultEEEjNS9_4plusIvEEjEEDaPvRmT3_T4_T5_mT6_P12ihipStream_tbENKUlT_T0_E_clISt17integral_constantIbLb0EESW_IbLb1EEEEDaSS_ST_EUlSS_E0_NS1_11comp_targetILNS1_3genE10ELNS1_11target_archE1200ELNS1_3gpuE4ELNS1_3repE0EEENS1_30default_config_static_selectorELNS0_4arch9wavefront6targetE1EEEvT1_
	.globl	_ZN7rocprim17ROCPRIM_400000_NS6detail17trampoline_kernelINS0_14default_configENS1_20scan_config_selectorIjEEZZNS1_9scan_implILNS1_25lookback_scan_determinismE0ELb0ELb0ES3_N6thrust23THRUST_200600_302600_NS6detail15normal_iteratorINS9_10device_ptrIjEEEENS9_16discard_iteratorINS9_11use_defaultEEEjNS9_4plusIvEEjEEDaPvRmT3_T4_T5_mT6_P12ihipStream_tbENKUlT_T0_E_clISt17integral_constantIbLb0EESW_IbLb1EEEEDaSS_ST_EUlSS_E0_NS1_11comp_targetILNS1_3genE10ELNS1_11target_archE1200ELNS1_3gpuE4ELNS1_3repE0EEENS1_30default_config_static_selectorELNS0_4arch9wavefront6targetE1EEEvT1_
	.p2align	8
	.type	_ZN7rocprim17ROCPRIM_400000_NS6detail17trampoline_kernelINS0_14default_configENS1_20scan_config_selectorIjEEZZNS1_9scan_implILNS1_25lookback_scan_determinismE0ELb0ELb0ES3_N6thrust23THRUST_200600_302600_NS6detail15normal_iteratorINS9_10device_ptrIjEEEENS9_16discard_iteratorINS9_11use_defaultEEEjNS9_4plusIvEEjEEDaPvRmT3_T4_T5_mT6_P12ihipStream_tbENKUlT_T0_E_clISt17integral_constantIbLb0EESW_IbLb1EEEEDaSS_ST_EUlSS_E0_NS1_11comp_targetILNS1_3genE10ELNS1_11target_archE1200ELNS1_3gpuE4ELNS1_3repE0EEENS1_30default_config_static_selectorELNS0_4arch9wavefront6targetE1EEEvT1_,@function
_ZN7rocprim17ROCPRIM_400000_NS6detail17trampoline_kernelINS0_14default_configENS1_20scan_config_selectorIjEEZZNS1_9scan_implILNS1_25lookback_scan_determinismE0ELb0ELb0ES3_N6thrust23THRUST_200600_302600_NS6detail15normal_iteratorINS9_10device_ptrIjEEEENS9_16discard_iteratorINS9_11use_defaultEEEjNS9_4plusIvEEjEEDaPvRmT3_T4_T5_mT6_P12ihipStream_tbENKUlT_T0_E_clISt17integral_constantIbLb0EESW_IbLb1EEEEDaSS_ST_EUlSS_E0_NS1_11comp_targetILNS1_3genE10ELNS1_11target_archE1200ELNS1_3gpuE4ELNS1_3repE0EEENS1_30default_config_static_selectorELNS0_4arch9wavefront6targetE1EEEvT1_: ; @_ZN7rocprim17ROCPRIM_400000_NS6detail17trampoline_kernelINS0_14default_configENS1_20scan_config_selectorIjEEZZNS1_9scan_implILNS1_25lookback_scan_determinismE0ELb0ELb0ES3_N6thrust23THRUST_200600_302600_NS6detail15normal_iteratorINS9_10device_ptrIjEEEENS9_16discard_iteratorINS9_11use_defaultEEEjNS9_4plusIvEEjEEDaPvRmT3_T4_T5_mT6_P12ihipStream_tbENKUlT_T0_E_clISt17integral_constantIbLb0EESW_IbLb1EEEEDaSS_ST_EUlSS_E0_NS1_11comp_targetILNS1_3genE10ELNS1_11target_archE1200ELNS1_3gpuE4ELNS1_3repE0EEENS1_30default_config_static_selectorELNS0_4arch9wavefront6targetE1EEEvT1_
; %bb.0:
	.section	.rodata,"a",@progbits
	.p2align	6, 0x0
	.amdhsa_kernel _ZN7rocprim17ROCPRIM_400000_NS6detail17trampoline_kernelINS0_14default_configENS1_20scan_config_selectorIjEEZZNS1_9scan_implILNS1_25lookback_scan_determinismE0ELb0ELb0ES3_N6thrust23THRUST_200600_302600_NS6detail15normal_iteratorINS9_10device_ptrIjEEEENS9_16discard_iteratorINS9_11use_defaultEEEjNS9_4plusIvEEjEEDaPvRmT3_T4_T5_mT6_P12ihipStream_tbENKUlT_T0_E_clISt17integral_constantIbLb0EESW_IbLb1EEEEDaSS_ST_EUlSS_E0_NS1_11comp_targetILNS1_3genE10ELNS1_11target_archE1200ELNS1_3gpuE4ELNS1_3repE0EEENS1_30default_config_static_selectorELNS0_4arch9wavefront6targetE1EEEvT1_
		.amdhsa_group_segment_fixed_size 0
		.amdhsa_private_segment_fixed_size 0
		.amdhsa_kernarg_size 40
		.amdhsa_user_sgpr_count 6
		.amdhsa_user_sgpr_private_segment_buffer 1
		.amdhsa_user_sgpr_dispatch_ptr 0
		.amdhsa_user_sgpr_queue_ptr 0
		.amdhsa_user_sgpr_kernarg_segment_ptr 1
		.amdhsa_user_sgpr_dispatch_id 0
		.amdhsa_user_sgpr_flat_scratch_init 0
		.amdhsa_user_sgpr_kernarg_preload_length 0
		.amdhsa_user_sgpr_kernarg_preload_offset 0
		.amdhsa_user_sgpr_private_segment_size 0
		.amdhsa_uses_dynamic_stack 0
		.amdhsa_system_sgpr_private_segment_wavefront_offset 0
		.amdhsa_system_sgpr_workgroup_id_x 1
		.amdhsa_system_sgpr_workgroup_id_y 0
		.amdhsa_system_sgpr_workgroup_id_z 0
		.amdhsa_system_sgpr_workgroup_info 0
		.amdhsa_system_vgpr_workitem_id 0
		.amdhsa_next_free_vgpr 1
		.amdhsa_next_free_sgpr 0
		.amdhsa_accum_offset 4
		.amdhsa_reserve_vcc 0
		.amdhsa_reserve_flat_scratch 0
		.amdhsa_float_round_mode_32 0
		.amdhsa_float_round_mode_16_64 0
		.amdhsa_float_denorm_mode_32 3
		.amdhsa_float_denorm_mode_16_64 3
		.amdhsa_dx10_clamp 1
		.amdhsa_ieee_mode 1
		.amdhsa_fp16_overflow 0
		.amdhsa_tg_split 0
		.amdhsa_exception_fp_ieee_invalid_op 0
		.amdhsa_exception_fp_denorm_src 0
		.amdhsa_exception_fp_ieee_div_zero 0
		.amdhsa_exception_fp_ieee_overflow 0
		.amdhsa_exception_fp_ieee_underflow 0
		.amdhsa_exception_fp_ieee_inexact 0
		.amdhsa_exception_int_div_zero 0
	.end_amdhsa_kernel
	.section	.text._ZN7rocprim17ROCPRIM_400000_NS6detail17trampoline_kernelINS0_14default_configENS1_20scan_config_selectorIjEEZZNS1_9scan_implILNS1_25lookback_scan_determinismE0ELb0ELb0ES3_N6thrust23THRUST_200600_302600_NS6detail15normal_iteratorINS9_10device_ptrIjEEEENS9_16discard_iteratorINS9_11use_defaultEEEjNS9_4plusIvEEjEEDaPvRmT3_T4_T5_mT6_P12ihipStream_tbENKUlT_T0_E_clISt17integral_constantIbLb0EESW_IbLb1EEEEDaSS_ST_EUlSS_E0_NS1_11comp_targetILNS1_3genE10ELNS1_11target_archE1200ELNS1_3gpuE4ELNS1_3repE0EEENS1_30default_config_static_selectorELNS0_4arch9wavefront6targetE1EEEvT1_,"axG",@progbits,_ZN7rocprim17ROCPRIM_400000_NS6detail17trampoline_kernelINS0_14default_configENS1_20scan_config_selectorIjEEZZNS1_9scan_implILNS1_25lookback_scan_determinismE0ELb0ELb0ES3_N6thrust23THRUST_200600_302600_NS6detail15normal_iteratorINS9_10device_ptrIjEEEENS9_16discard_iteratorINS9_11use_defaultEEEjNS9_4plusIvEEjEEDaPvRmT3_T4_T5_mT6_P12ihipStream_tbENKUlT_T0_E_clISt17integral_constantIbLb0EESW_IbLb1EEEEDaSS_ST_EUlSS_E0_NS1_11comp_targetILNS1_3genE10ELNS1_11target_archE1200ELNS1_3gpuE4ELNS1_3repE0EEENS1_30default_config_static_selectorELNS0_4arch9wavefront6targetE1EEEvT1_,comdat
.Lfunc_end5363:
	.size	_ZN7rocprim17ROCPRIM_400000_NS6detail17trampoline_kernelINS0_14default_configENS1_20scan_config_selectorIjEEZZNS1_9scan_implILNS1_25lookback_scan_determinismE0ELb0ELb0ES3_N6thrust23THRUST_200600_302600_NS6detail15normal_iteratorINS9_10device_ptrIjEEEENS9_16discard_iteratorINS9_11use_defaultEEEjNS9_4plusIvEEjEEDaPvRmT3_T4_T5_mT6_P12ihipStream_tbENKUlT_T0_E_clISt17integral_constantIbLb0EESW_IbLb1EEEEDaSS_ST_EUlSS_E0_NS1_11comp_targetILNS1_3genE10ELNS1_11target_archE1200ELNS1_3gpuE4ELNS1_3repE0EEENS1_30default_config_static_selectorELNS0_4arch9wavefront6targetE1EEEvT1_, .Lfunc_end5363-_ZN7rocprim17ROCPRIM_400000_NS6detail17trampoline_kernelINS0_14default_configENS1_20scan_config_selectorIjEEZZNS1_9scan_implILNS1_25lookback_scan_determinismE0ELb0ELb0ES3_N6thrust23THRUST_200600_302600_NS6detail15normal_iteratorINS9_10device_ptrIjEEEENS9_16discard_iteratorINS9_11use_defaultEEEjNS9_4plusIvEEjEEDaPvRmT3_T4_T5_mT6_P12ihipStream_tbENKUlT_T0_E_clISt17integral_constantIbLb0EESW_IbLb1EEEEDaSS_ST_EUlSS_E0_NS1_11comp_targetILNS1_3genE10ELNS1_11target_archE1200ELNS1_3gpuE4ELNS1_3repE0EEENS1_30default_config_static_selectorELNS0_4arch9wavefront6targetE1EEEvT1_
                                        ; -- End function
	.section	.AMDGPU.csdata,"",@progbits
; Kernel info:
; codeLenInByte = 0
; NumSgprs: 4
; NumVgprs: 0
; NumAgprs: 0
; TotalNumVgprs: 0
; ScratchSize: 0
; MemoryBound: 0
; FloatMode: 240
; IeeeMode: 1
; LDSByteSize: 0 bytes/workgroup (compile time only)
; SGPRBlocks: 0
; VGPRBlocks: 0
; NumSGPRsForWavesPerEU: 4
; NumVGPRsForWavesPerEU: 1
; AccumOffset: 4
; Occupancy: 8
; WaveLimiterHint : 0
; COMPUTE_PGM_RSRC2:SCRATCH_EN: 0
; COMPUTE_PGM_RSRC2:USER_SGPR: 6
; COMPUTE_PGM_RSRC2:TRAP_HANDLER: 0
; COMPUTE_PGM_RSRC2:TGID_X_EN: 1
; COMPUTE_PGM_RSRC2:TGID_Y_EN: 0
; COMPUTE_PGM_RSRC2:TGID_Z_EN: 0
; COMPUTE_PGM_RSRC2:TIDIG_COMP_CNT: 0
; COMPUTE_PGM_RSRC3_GFX90A:ACCUM_OFFSET: 0
; COMPUTE_PGM_RSRC3_GFX90A:TG_SPLIT: 0
	.section	.text._ZN7rocprim17ROCPRIM_400000_NS6detail17trampoline_kernelINS0_14default_configENS1_20scan_config_selectorIjEEZZNS1_9scan_implILNS1_25lookback_scan_determinismE0ELb0ELb0ES3_N6thrust23THRUST_200600_302600_NS6detail15normal_iteratorINS9_10device_ptrIjEEEENS9_16discard_iteratorINS9_11use_defaultEEEjNS9_4plusIvEEjEEDaPvRmT3_T4_T5_mT6_P12ihipStream_tbENKUlT_T0_E_clISt17integral_constantIbLb0EESW_IbLb1EEEEDaSS_ST_EUlSS_E0_NS1_11comp_targetILNS1_3genE9ELNS1_11target_archE1100ELNS1_3gpuE3ELNS1_3repE0EEENS1_30default_config_static_selectorELNS0_4arch9wavefront6targetE1EEEvT1_,"axG",@progbits,_ZN7rocprim17ROCPRIM_400000_NS6detail17trampoline_kernelINS0_14default_configENS1_20scan_config_selectorIjEEZZNS1_9scan_implILNS1_25lookback_scan_determinismE0ELb0ELb0ES3_N6thrust23THRUST_200600_302600_NS6detail15normal_iteratorINS9_10device_ptrIjEEEENS9_16discard_iteratorINS9_11use_defaultEEEjNS9_4plusIvEEjEEDaPvRmT3_T4_T5_mT6_P12ihipStream_tbENKUlT_T0_E_clISt17integral_constantIbLb0EESW_IbLb1EEEEDaSS_ST_EUlSS_E0_NS1_11comp_targetILNS1_3genE9ELNS1_11target_archE1100ELNS1_3gpuE3ELNS1_3repE0EEENS1_30default_config_static_selectorELNS0_4arch9wavefront6targetE1EEEvT1_,comdat
	.protected	_ZN7rocprim17ROCPRIM_400000_NS6detail17trampoline_kernelINS0_14default_configENS1_20scan_config_selectorIjEEZZNS1_9scan_implILNS1_25lookback_scan_determinismE0ELb0ELb0ES3_N6thrust23THRUST_200600_302600_NS6detail15normal_iteratorINS9_10device_ptrIjEEEENS9_16discard_iteratorINS9_11use_defaultEEEjNS9_4plusIvEEjEEDaPvRmT3_T4_T5_mT6_P12ihipStream_tbENKUlT_T0_E_clISt17integral_constantIbLb0EESW_IbLb1EEEEDaSS_ST_EUlSS_E0_NS1_11comp_targetILNS1_3genE9ELNS1_11target_archE1100ELNS1_3gpuE3ELNS1_3repE0EEENS1_30default_config_static_selectorELNS0_4arch9wavefront6targetE1EEEvT1_ ; -- Begin function _ZN7rocprim17ROCPRIM_400000_NS6detail17trampoline_kernelINS0_14default_configENS1_20scan_config_selectorIjEEZZNS1_9scan_implILNS1_25lookback_scan_determinismE0ELb0ELb0ES3_N6thrust23THRUST_200600_302600_NS6detail15normal_iteratorINS9_10device_ptrIjEEEENS9_16discard_iteratorINS9_11use_defaultEEEjNS9_4plusIvEEjEEDaPvRmT3_T4_T5_mT6_P12ihipStream_tbENKUlT_T0_E_clISt17integral_constantIbLb0EESW_IbLb1EEEEDaSS_ST_EUlSS_E0_NS1_11comp_targetILNS1_3genE9ELNS1_11target_archE1100ELNS1_3gpuE3ELNS1_3repE0EEENS1_30default_config_static_selectorELNS0_4arch9wavefront6targetE1EEEvT1_
	.globl	_ZN7rocprim17ROCPRIM_400000_NS6detail17trampoline_kernelINS0_14default_configENS1_20scan_config_selectorIjEEZZNS1_9scan_implILNS1_25lookback_scan_determinismE0ELb0ELb0ES3_N6thrust23THRUST_200600_302600_NS6detail15normal_iteratorINS9_10device_ptrIjEEEENS9_16discard_iteratorINS9_11use_defaultEEEjNS9_4plusIvEEjEEDaPvRmT3_T4_T5_mT6_P12ihipStream_tbENKUlT_T0_E_clISt17integral_constantIbLb0EESW_IbLb1EEEEDaSS_ST_EUlSS_E0_NS1_11comp_targetILNS1_3genE9ELNS1_11target_archE1100ELNS1_3gpuE3ELNS1_3repE0EEENS1_30default_config_static_selectorELNS0_4arch9wavefront6targetE1EEEvT1_
	.p2align	8
	.type	_ZN7rocprim17ROCPRIM_400000_NS6detail17trampoline_kernelINS0_14default_configENS1_20scan_config_selectorIjEEZZNS1_9scan_implILNS1_25lookback_scan_determinismE0ELb0ELb0ES3_N6thrust23THRUST_200600_302600_NS6detail15normal_iteratorINS9_10device_ptrIjEEEENS9_16discard_iteratorINS9_11use_defaultEEEjNS9_4plusIvEEjEEDaPvRmT3_T4_T5_mT6_P12ihipStream_tbENKUlT_T0_E_clISt17integral_constantIbLb0EESW_IbLb1EEEEDaSS_ST_EUlSS_E0_NS1_11comp_targetILNS1_3genE9ELNS1_11target_archE1100ELNS1_3gpuE3ELNS1_3repE0EEENS1_30default_config_static_selectorELNS0_4arch9wavefront6targetE1EEEvT1_,@function
_ZN7rocprim17ROCPRIM_400000_NS6detail17trampoline_kernelINS0_14default_configENS1_20scan_config_selectorIjEEZZNS1_9scan_implILNS1_25lookback_scan_determinismE0ELb0ELb0ES3_N6thrust23THRUST_200600_302600_NS6detail15normal_iteratorINS9_10device_ptrIjEEEENS9_16discard_iteratorINS9_11use_defaultEEEjNS9_4plusIvEEjEEDaPvRmT3_T4_T5_mT6_P12ihipStream_tbENKUlT_T0_E_clISt17integral_constantIbLb0EESW_IbLb1EEEEDaSS_ST_EUlSS_E0_NS1_11comp_targetILNS1_3genE9ELNS1_11target_archE1100ELNS1_3gpuE3ELNS1_3repE0EEENS1_30default_config_static_selectorELNS0_4arch9wavefront6targetE1EEEvT1_: ; @_ZN7rocprim17ROCPRIM_400000_NS6detail17trampoline_kernelINS0_14default_configENS1_20scan_config_selectorIjEEZZNS1_9scan_implILNS1_25lookback_scan_determinismE0ELb0ELb0ES3_N6thrust23THRUST_200600_302600_NS6detail15normal_iteratorINS9_10device_ptrIjEEEENS9_16discard_iteratorINS9_11use_defaultEEEjNS9_4plusIvEEjEEDaPvRmT3_T4_T5_mT6_P12ihipStream_tbENKUlT_T0_E_clISt17integral_constantIbLb0EESW_IbLb1EEEEDaSS_ST_EUlSS_E0_NS1_11comp_targetILNS1_3genE9ELNS1_11target_archE1100ELNS1_3gpuE3ELNS1_3repE0EEENS1_30default_config_static_selectorELNS0_4arch9wavefront6targetE1EEEvT1_
; %bb.0:
	.section	.rodata,"a",@progbits
	.p2align	6, 0x0
	.amdhsa_kernel _ZN7rocprim17ROCPRIM_400000_NS6detail17trampoline_kernelINS0_14default_configENS1_20scan_config_selectorIjEEZZNS1_9scan_implILNS1_25lookback_scan_determinismE0ELb0ELb0ES3_N6thrust23THRUST_200600_302600_NS6detail15normal_iteratorINS9_10device_ptrIjEEEENS9_16discard_iteratorINS9_11use_defaultEEEjNS9_4plusIvEEjEEDaPvRmT3_T4_T5_mT6_P12ihipStream_tbENKUlT_T0_E_clISt17integral_constantIbLb0EESW_IbLb1EEEEDaSS_ST_EUlSS_E0_NS1_11comp_targetILNS1_3genE9ELNS1_11target_archE1100ELNS1_3gpuE3ELNS1_3repE0EEENS1_30default_config_static_selectorELNS0_4arch9wavefront6targetE1EEEvT1_
		.amdhsa_group_segment_fixed_size 0
		.amdhsa_private_segment_fixed_size 0
		.amdhsa_kernarg_size 40
		.amdhsa_user_sgpr_count 6
		.amdhsa_user_sgpr_private_segment_buffer 1
		.amdhsa_user_sgpr_dispatch_ptr 0
		.amdhsa_user_sgpr_queue_ptr 0
		.amdhsa_user_sgpr_kernarg_segment_ptr 1
		.amdhsa_user_sgpr_dispatch_id 0
		.amdhsa_user_sgpr_flat_scratch_init 0
		.amdhsa_user_sgpr_kernarg_preload_length 0
		.amdhsa_user_sgpr_kernarg_preload_offset 0
		.amdhsa_user_sgpr_private_segment_size 0
		.amdhsa_uses_dynamic_stack 0
		.amdhsa_system_sgpr_private_segment_wavefront_offset 0
		.amdhsa_system_sgpr_workgroup_id_x 1
		.amdhsa_system_sgpr_workgroup_id_y 0
		.amdhsa_system_sgpr_workgroup_id_z 0
		.amdhsa_system_sgpr_workgroup_info 0
		.amdhsa_system_vgpr_workitem_id 0
		.amdhsa_next_free_vgpr 1
		.amdhsa_next_free_sgpr 0
		.amdhsa_accum_offset 4
		.amdhsa_reserve_vcc 0
		.amdhsa_reserve_flat_scratch 0
		.amdhsa_float_round_mode_32 0
		.amdhsa_float_round_mode_16_64 0
		.amdhsa_float_denorm_mode_32 3
		.amdhsa_float_denorm_mode_16_64 3
		.amdhsa_dx10_clamp 1
		.amdhsa_ieee_mode 1
		.amdhsa_fp16_overflow 0
		.amdhsa_tg_split 0
		.amdhsa_exception_fp_ieee_invalid_op 0
		.amdhsa_exception_fp_denorm_src 0
		.amdhsa_exception_fp_ieee_div_zero 0
		.amdhsa_exception_fp_ieee_overflow 0
		.amdhsa_exception_fp_ieee_underflow 0
		.amdhsa_exception_fp_ieee_inexact 0
		.amdhsa_exception_int_div_zero 0
	.end_amdhsa_kernel
	.section	.text._ZN7rocprim17ROCPRIM_400000_NS6detail17trampoline_kernelINS0_14default_configENS1_20scan_config_selectorIjEEZZNS1_9scan_implILNS1_25lookback_scan_determinismE0ELb0ELb0ES3_N6thrust23THRUST_200600_302600_NS6detail15normal_iteratorINS9_10device_ptrIjEEEENS9_16discard_iteratorINS9_11use_defaultEEEjNS9_4plusIvEEjEEDaPvRmT3_T4_T5_mT6_P12ihipStream_tbENKUlT_T0_E_clISt17integral_constantIbLb0EESW_IbLb1EEEEDaSS_ST_EUlSS_E0_NS1_11comp_targetILNS1_3genE9ELNS1_11target_archE1100ELNS1_3gpuE3ELNS1_3repE0EEENS1_30default_config_static_selectorELNS0_4arch9wavefront6targetE1EEEvT1_,"axG",@progbits,_ZN7rocprim17ROCPRIM_400000_NS6detail17trampoline_kernelINS0_14default_configENS1_20scan_config_selectorIjEEZZNS1_9scan_implILNS1_25lookback_scan_determinismE0ELb0ELb0ES3_N6thrust23THRUST_200600_302600_NS6detail15normal_iteratorINS9_10device_ptrIjEEEENS9_16discard_iteratorINS9_11use_defaultEEEjNS9_4plusIvEEjEEDaPvRmT3_T4_T5_mT6_P12ihipStream_tbENKUlT_T0_E_clISt17integral_constantIbLb0EESW_IbLb1EEEEDaSS_ST_EUlSS_E0_NS1_11comp_targetILNS1_3genE9ELNS1_11target_archE1100ELNS1_3gpuE3ELNS1_3repE0EEENS1_30default_config_static_selectorELNS0_4arch9wavefront6targetE1EEEvT1_,comdat
.Lfunc_end5364:
	.size	_ZN7rocprim17ROCPRIM_400000_NS6detail17trampoline_kernelINS0_14default_configENS1_20scan_config_selectorIjEEZZNS1_9scan_implILNS1_25lookback_scan_determinismE0ELb0ELb0ES3_N6thrust23THRUST_200600_302600_NS6detail15normal_iteratorINS9_10device_ptrIjEEEENS9_16discard_iteratorINS9_11use_defaultEEEjNS9_4plusIvEEjEEDaPvRmT3_T4_T5_mT6_P12ihipStream_tbENKUlT_T0_E_clISt17integral_constantIbLb0EESW_IbLb1EEEEDaSS_ST_EUlSS_E0_NS1_11comp_targetILNS1_3genE9ELNS1_11target_archE1100ELNS1_3gpuE3ELNS1_3repE0EEENS1_30default_config_static_selectorELNS0_4arch9wavefront6targetE1EEEvT1_, .Lfunc_end5364-_ZN7rocprim17ROCPRIM_400000_NS6detail17trampoline_kernelINS0_14default_configENS1_20scan_config_selectorIjEEZZNS1_9scan_implILNS1_25lookback_scan_determinismE0ELb0ELb0ES3_N6thrust23THRUST_200600_302600_NS6detail15normal_iteratorINS9_10device_ptrIjEEEENS9_16discard_iteratorINS9_11use_defaultEEEjNS9_4plusIvEEjEEDaPvRmT3_T4_T5_mT6_P12ihipStream_tbENKUlT_T0_E_clISt17integral_constantIbLb0EESW_IbLb1EEEEDaSS_ST_EUlSS_E0_NS1_11comp_targetILNS1_3genE9ELNS1_11target_archE1100ELNS1_3gpuE3ELNS1_3repE0EEENS1_30default_config_static_selectorELNS0_4arch9wavefront6targetE1EEEvT1_
                                        ; -- End function
	.section	.AMDGPU.csdata,"",@progbits
; Kernel info:
; codeLenInByte = 0
; NumSgprs: 4
; NumVgprs: 0
; NumAgprs: 0
; TotalNumVgprs: 0
; ScratchSize: 0
; MemoryBound: 0
; FloatMode: 240
; IeeeMode: 1
; LDSByteSize: 0 bytes/workgroup (compile time only)
; SGPRBlocks: 0
; VGPRBlocks: 0
; NumSGPRsForWavesPerEU: 4
; NumVGPRsForWavesPerEU: 1
; AccumOffset: 4
; Occupancy: 8
; WaveLimiterHint : 0
; COMPUTE_PGM_RSRC2:SCRATCH_EN: 0
; COMPUTE_PGM_RSRC2:USER_SGPR: 6
; COMPUTE_PGM_RSRC2:TRAP_HANDLER: 0
; COMPUTE_PGM_RSRC2:TGID_X_EN: 1
; COMPUTE_PGM_RSRC2:TGID_Y_EN: 0
; COMPUTE_PGM_RSRC2:TGID_Z_EN: 0
; COMPUTE_PGM_RSRC2:TIDIG_COMP_CNT: 0
; COMPUTE_PGM_RSRC3_GFX90A:ACCUM_OFFSET: 0
; COMPUTE_PGM_RSRC3_GFX90A:TG_SPLIT: 0
	.section	.text._ZN7rocprim17ROCPRIM_400000_NS6detail17trampoline_kernelINS0_14default_configENS1_20scan_config_selectorIjEEZZNS1_9scan_implILNS1_25lookback_scan_determinismE0ELb0ELb0ES3_N6thrust23THRUST_200600_302600_NS6detail15normal_iteratorINS9_10device_ptrIjEEEENS9_16discard_iteratorINS9_11use_defaultEEEjNS9_4plusIvEEjEEDaPvRmT3_T4_T5_mT6_P12ihipStream_tbENKUlT_T0_E_clISt17integral_constantIbLb0EESW_IbLb1EEEEDaSS_ST_EUlSS_E0_NS1_11comp_targetILNS1_3genE8ELNS1_11target_archE1030ELNS1_3gpuE2ELNS1_3repE0EEENS1_30default_config_static_selectorELNS0_4arch9wavefront6targetE1EEEvT1_,"axG",@progbits,_ZN7rocprim17ROCPRIM_400000_NS6detail17trampoline_kernelINS0_14default_configENS1_20scan_config_selectorIjEEZZNS1_9scan_implILNS1_25lookback_scan_determinismE0ELb0ELb0ES3_N6thrust23THRUST_200600_302600_NS6detail15normal_iteratorINS9_10device_ptrIjEEEENS9_16discard_iteratorINS9_11use_defaultEEEjNS9_4plusIvEEjEEDaPvRmT3_T4_T5_mT6_P12ihipStream_tbENKUlT_T0_E_clISt17integral_constantIbLb0EESW_IbLb1EEEEDaSS_ST_EUlSS_E0_NS1_11comp_targetILNS1_3genE8ELNS1_11target_archE1030ELNS1_3gpuE2ELNS1_3repE0EEENS1_30default_config_static_selectorELNS0_4arch9wavefront6targetE1EEEvT1_,comdat
	.protected	_ZN7rocprim17ROCPRIM_400000_NS6detail17trampoline_kernelINS0_14default_configENS1_20scan_config_selectorIjEEZZNS1_9scan_implILNS1_25lookback_scan_determinismE0ELb0ELb0ES3_N6thrust23THRUST_200600_302600_NS6detail15normal_iteratorINS9_10device_ptrIjEEEENS9_16discard_iteratorINS9_11use_defaultEEEjNS9_4plusIvEEjEEDaPvRmT3_T4_T5_mT6_P12ihipStream_tbENKUlT_T0_E_clISt17integral_constantIbLb0EESW_IbLb1EEEEDaSS_ST_EUlSS_E0_NS1_11comp_targetILNS1_3genE8ELNS1_11target_archE1030ELNS1_3gpuE2ELNS1_3repE0EEENS1_30default_config_static_selectorELNS0_4arch9wavefront6targetE1EEEvT1_ ; -- Begin function _ZN7rocprim17ROCPRIM_400000_NS6detail17trampoline_kernelINS0_14default_configENS1_20scan_config_selectorIjEEZZNS1_9scan_implILNS1_25lookback_scan_determinismE0ELb0ELb0ES3_N6thrust23THRUST_200600_302600_NS6detail15normal_iteratorINS9_10device_ptrIjEEEENS9_16discard_iteratorINS9_11use_defaultEEEjNS9_4plusIvEEjEEDaPvRmT3_T4_T5_mT6_P12ihipStream_tbENKUlT_T0_E_clISt17integral_constantIbLb0EESW_IbLb1EEEEDaSS_ST_EUlSS_E0_NS1_11comp_targetILNS1_3genE8ELNS1_11target_archE1030ELNS1_3gpuE2ELNS1_3repE0EEENS1_30default_config_static_selectorELNS0_4arch9wavefront6targetE1EEEvT1_
	.globl	_ZN7rocprim17ROCPRIM_400000_NS6detail17trampoline_kernelINS0_14default_configENS1_20scan_config_selectorIjEEZZNS1_9scan_implILNS1_25lookback_scan_determinismE0ELb0ELb0ES3_N6thrust23THRUST_200600_302600_NS6detail15normal_iteratorINS9_10device_ptrIjEEEENS9_16discard_iteratorINS9_11use_defaultEEEjNS9_4plusIvEEjEEDaPvRmT3_T4_T5_mT6_P12ihipStream_tbENKUlT_T0_E_clISt17integral_constantIbLb0EESW_IbLb1EEEEDaSS_ST_EUlSS_E0_NS1_11comp_targetILNS1_3genE8ELNS1_11target_archE1030ELNS1_3gpuE2ELNS1_3repE0EEENS1_30default_config_static_selectorELNS0_4arch9wavefront6targetE1EEEvT1_
	.p2align	8
	.type	_ZN7rocprim17ROCPRIM_400000_NS6detail17trampoline_kernelINS0_14default_configENS1_20scan_config_selectorIjEEZZNS1_9scan_implILNS1_25lookback_scan_determinismE0ELb0ELb0ES3_N6thrust23THRUST_200600_302600_NS6detail15normal_iteratorINS9_10device_ptrIjEEEENS9_16discard_iteratorINS9_11use_defaultEEEjNS9_4plusIvEEjEEDaPvRmT3_T4_T5_mT6_P12ihipStream_tbENKUlT_T0_E_clISt17integral_constantIbLb0EESW_IbLb1EEEEDaSS_ST_EUlSS_E0_NS1_11comp_targetILNS1_3genE8ELNS1_11target_archE1030ELNS1_3gpuE2ELNS1_3repE0EEENS1_30default_config_static_selectorELNS0_4arch9wavefront6targetE1EEEvT1_,@function
_ZN7rocprim17ROCPRIM_400000_NS6detail17trampoline_kernelINS0_14default_configENS1_20scan_config_selectorIjEEZZNS1_9scan_implILNS1_25lookback_scan_determinismE0ELb0ELb0ES3_N6thrust23THRUST_200600_302600_NS6detail15normal_iteratorINS9_10device_ptrIjEEEENS9_16discard_iteratorINS9_11use_defaultEEEjNS9_4plusIvEEjEEDaPvRmT3_T4_T5_mT6_P12ihipStream_tbENKUlT_T0_E_clISt17integral_constantIbLb0EESW_IbLb1EEEEDaSS_ST_EUlSS_E0_NS1_11comp_targetILNS1_3genE8ELNS1_11target_archE1030ELNS1_3gpuE2ELNS1_3repE0EEENS1_30default_config_static_selectorELNS0_4arch9wavefront6targetE1EEEvT1_: ; @_ZN7rocprim17ROCPRIM_400000_NS6detail17trampoline_kernelINS0_14default_configENS1_20scan_config_selectorIjEEZZNS1_9scan_implILNS1_25lookback_scan_determinismE0ELb0ELb0ES3_N6thrust23THRUST_200600_302600_NS6detail15normal_iteratorINS9_10device_ptrIjEEEENS9_16discard_iteratorINS9_11use_defaultEEEjNS9_4plusIvEEjEEDaPvRmT3_T4_T5_mT6_P12ihipStream_tbENKUlT_T0_E_clISt17integral_constantIbLb0EESW_IbLb1EEEEDaSS_ST_EUlSS_E0_NS1_11comp_targetILNS1_3genE8ELNS1_11target_archE1030ELNS1_3gpuE2ELNS1_3repE0EEENS1_30default_config_static_selectorELNS0_4arch9wavefront6targetE1EEEvT1_
; %bb.0:
	.section	.rodata,"a",@progbits
	.p2align	6, 0x0
	.amdhsa_kernel _ZN7rocprim17ROCPRIM_400000_NS6detail17trampoline_kernelINS0_14default_configENS1_20scan_config_selectorIjEEZZNS1_9scan_implILNS1_25lookback_scan_determinismE0ELb0ELb0ES3_N6thrust23THRUST_200600_302600_NS6detail15normal_iteratorINS9_10device_ptrIjEEEENS9_16discard_iteratorINS9_11use_defaultEEEjNS9_4plusIvEEjEEDaPvRmT3_T4_T5_mT6_P12ihipStream_tbENKUlT_T0_E_clISt17integral_constantIbLb0EESW_IbLb1EEEEDaSS_ST_EUlSS_E0_NS1_11comp_targetILNS1_3genE8ELNS1_11target_archE1030ELNS1_3gpuE2ELNS1_3repE0EEENS1_30default_config_static_selectorELNS0_4arch9wavefront6targetE1EEEvT1_
		.amdhsa_group_segment_fixed_size 0
		.amdhsa_private_segment_fixed_size 0
		.amdhsa_kernarg_size 40
		.amdhsa_user_sgpr_count 6
		.amdhsa_user_sgpr_private_segment_buffer 1
		.amdhsa_user_sgpr_dispatch_ptr 0
		.amdhsa_user_sgpr_queue_ptr 0
		.amdhsa_user_sgpr_kernarg_segment_ptr 1
		.amdhsa_user_sgpr_dispatch_id 0
		.amdhsa_user_sgpr_flat_scratch_init 0
		.amdhsa_user_sgpr_kernarg_preload_length 0
		.amdhsa_user_sgpr_kernarg_preload_offset 0
		.amdhsa_user_sgpr_private_segment_size 0
		.amdhsa_uses_dynamic_stack 0
		.amdhsa_system_sgpr_private_segment_wavefront_offset 0
		.amdhsa_system_sgpr_workgroup_id_x 1
		.amdhsa_system_sgpr_workgroup_id_y 0
		.amdhsa_system_sgpr_workgroup_id_z 0
		.amdhsa_system_sgpr_workgroup_info 0
		.amdhsa_system_vgpr_workitem_id 0
		.amdhsa_next_free_vgpr 1
		.amdhsa_next_free_sgpr 0
		.amdhsa_accum_offset 4
		.amdhsa_reserve_vcc 0
		.amdhsa_reserve_flat_scratch 0
		.amdhsa_float_round_mode_32 0
		.amdhsa_float_round_mode_16_64 0
		.amdhsa_float_denorm_mode_32 3
		.amdhsa_float_denorm_mode_16_64 3
		.amdhsa_dx10_clamp 1
		.amdhsa_ieee_mode 1
		.amdhsa_fp16_overflow 0
		.amdhsa_tg_split 0
		.amdhsa_exception_fp_ieee_invalid_op 0
		.amdhsa_exception_fp_denorm_src 0
		.amdhsa_exception_fp_ieee_div_zero 0
		.amdhsa_exception_fp_ieee_overflow 0
		.amdhsa_exception_fp_ieee_underflow 0
		.amdhsa_exception_fp_ieee_inexact 0
		.amdhsa_exception_int_div_zero 0
	.end_amdhsa_kernel
	.section	.text._ZN7rocprim17ROCPRIM_400000_NS6detail17trampoline_kernelINS0_14default_configENS1_20scan_config_selectorIjEEZZNS1_9scan_implILNS1_25lookback_scan_determinismE0ELb0ELb0ES3_N6thrust23THRUST_200600_302600_NS6detail15normal_iteratorINS9_10device_ptrIjEEEENS9_16discard_iteratorINS9_11use_defaultEEEjNS9_4plusIvEEjEEDaPvRmT3_T4_T5_mT6_P12ihipStream_tbENKUlT_T0_E_clISt17integral_constantIbLb0EESW_IbLb1EEEEDaSS_ST_EUlSS_E0_NS1_11comp_targetILNS1_3genE8ELNS1_11target_archE1030ELNS1_3gpuE2ELNS1_3repE0EEENS1_30default_config_static_selectorELNS0_4arch9wavefront6targetE1EEEvT1_,"axG",@progbits,_ZN7rocprim17ROCPRIM_400000_NS6detail17trampoline_kernelINS0_14default_configENS1_20scan_config_selectorIjEEZZNS1_9scan_implILNS1_25lookback_scan_determinismE0ELb0ELb0ES3_N6thrust23THRUST_200600_302600_NS6detail15normal_iteratorINS9_10device_ptrIjEEEENS9_16discard_iteratorINS9_11use_defaultEEEjNS9_4plusIvEEjEEDaPvRmT3_T4_T5_mT6_P12ihipStream_tbENKUlT_T0_E_clISt17integral_constantIbLb0EESW_IbLb1EEEEDaSS_ST_EUlSS_E0_NS1_11comp_targetILNS1_3genE8ELNS1_11target_archE1030ELNS1_3gpuE2ELNS1_3repE0EEENS1_30default_config_static_selectorELNS0_4arch9wavefront6targetE1EEEvT1_,comdat
.Lfunc_end5365:
	.size	_ZN7rocprim17ROCPRIM_400000_NS6detail17trampoline_kernelINS0_14default_configENS1_20scan_config_selectorIjEEZZNS1_9scan_implILNS1_25lookback_scan_determinismE0ELb0ELb0ES3_N6thrust23THRUST_200600_302600_NS6detail15normal_iteratorINS9_10device_ptrIjEEEENS9_16discard_iteratorINS9_11use_defaultEEEjNS9_4plusIvEEjEEDaPvRmT3_T4_T5_mT6_P12ihipStream_tbENKUlT_T0_E_clISt17integral_constantIbLb0EESW_IbLb1EEEEDaSS_ST_EUlSS_E0_NS1_11comp_targetILNS1_3genE8ELNS1_11target_archE1030ELNS1_3gpuE2ELNS1_3repE0EEENS1_30default_config_static_selectorELNS0_4arch9wavefront6targetE1EEEvT1_, .Lfunc_end5365-_ZN7rocprim17ROCPRIM_400000_NS6detail17trampoline_kernelINS0_14default_configENS1_20scan_config_selectorIjEEZZNS1_9scan_implILNS1_25lookback_scan_determinismE0ELb0ELb0ES3_N6thrust23THRUST_200600_302600_NS6detail15normal_iteratorINS9_10device_ptrIjEEEENS9_16discard_iteratorINS9_11use_defaultEEEjNS9_4plusIvEEjEEDaPvRmT3_T4_T5_mT6_P12ihipStream_tbENKUlT_T0_E_clISt17integral_constantIbLb0EESW_IbLb1EEEEDaSS_ST_EUlSS_E0_NS1_11comp_targetILNS1_3genE8ELNS1_11target_archE1030ELNS1_3gpuE2ELNS1_3repE0EEENS1_30default_config_static_selectorELNS0_4arch9wavefront6targetE1EEEvT1_
                                        ; -- End function
	.section	.AMDGPU.csdata,"",@progbits
; Kernel info:
; codeLenInByte = 0
; NumSgprs: 4
; NumVgprs: 0
; NumAgprs: 0
; TotalNumVgprs: 0
; ScratchSize: 0
; MemoryBound: 0
; FloatMode: 240
; IeeeMode: 1
; LDSByteSize: 0 bytes/workgroup (compile time only)
; SGPRBlocks: 0
; VGPRBlocks: 0
; NumSGPRsForWavesPerEU: 4
; NumVGPRsForWavesPerEU: 1
; AccumOffset: 4
; Occupancy: 8
; WaveLimiterHint : 0
; COMPUTE_PGM_RSRC2:SCRATCH_EN: 0
; COMPUTE_PGM_RSRC2:USER_SGPR: 6
; COMPUTE_PGM_RSRC2:TRAP_HANDLER: 0
; COMPUTE_PGM_RSRC2:TGID_X_EN: 1
; COMPUTE_PGM_RSRC2:TGID_Y_EN: 0
; COMPUTE_PGM_RSRC2:TGID_Z_EN: 0
; COMPUTE_PGM_RSRC2:TIDIG_COMP_CNT: 0
; COMPUTE_PGM_RSRC3_GFX90A:ACCUM_OFFSET: 0
; COMPUTE_PGM_RSRC3_GFX90A:TG_SPLIT: 0
	.section	.text._ZN7rocprim17ROCPRIM_400000_NS6detail17trampoline_kernelINS0_14default_configENS1_20scan_config_selectorIjEEZZNS1_9scan_implILNS1_25lookback_scan_determinismE0ELb1ELb1ES3_N6thrust23THRUST_200600_302600_NS6detail15normal_iteratorINS9_10device_ptrIjEEEENS9_16discard_iteratorINS9_11use_defaultEEEjNS9_4plusIvEEjEEDaPvRmT3_T4_T5_mT6_P12ihipStream_tbENKUlT_T0_E_clISt17integral_constantIbLb0EESX_EEDaSS_ST_EUlSS_E_NS1_11comp_targetILNS1_3genE0ELNS1_11target_archE4294967295ELNS1_3gpuE0ELNS1_3repE0EEENS1_30default_config_static_selectorELNS0_4arch9wavefront6targetE1EEEvT1_,"axG",@progbits,_ZN7rocprim17ROCPRIM_400000_NS6detail17trampoline_kernelINS0_14default_configENS1_20scan_config_selectorIjEEZZNS1_9scan_implILNS1_25lookback_scan_determinismE0ELb1ELb1ES3_N6thrust23THRUST_200600_302600_NS6detail15normal_iteratorINS9_10device_ptrIjEEEENS9_16discard_iteratorINS9_11use_defaultEEEjNS9_4plusIvEEjEEDaPvRmT3_T4_T5_mT6_P12ihipStream_tbENKUlT_T0_E_clISt17integral_constantIbLb0EESX_EEDaSS_ST_EUlSS_E_NS1_11comp_targetILNS1_3genE0ELNS1_11target_archE4294967295ELNS1_3gpuE0ELNS1_3repE0EEENS1_30default_config_static_selectorELNS0_4arch9wavefront6targetE1EEEvT1_,comdat
	.protected	_ZN7rocprim17ROCPRIM_400000_NS6detail17trampoline_kernelINS0_14default_configENS1_20scan_config_selectorIjEEZZNS1_9scan_implILNS1_25lookback_scan_determinismE0ELb1ELb1ES3_N6thrust23THRUST_200600_302600_NS6detail15normal_iteratorINS9_10device_ptrIjEEEENS9_16discard_iteratorINS9_11use_defaultEEEjNS9_4plusIvEEjEEDaPvRmT3_T4_T5_mT6_P12ihipStream_tbENKUlT_T0_E_clISt17integral_constantIbLb0EESX_EEDaSS_ST_EUlSS_E_NS1_11comp_targetILNS1_3genE0ELNS1_11target_archE4294967295ELNS1_3gpuE0ELNS1_3repE0EEENS1_30default_config_static_selectorELNS0_4arch9wavefront6targetE1EEEvT1_ ; -- Begin function _ZN7rocprim17ROCPRIM_400000_NS6detail17trampoline_kernelINS0_14default_configENS1_20scan_config_selectorIjEEZZNS1_9scan_implILNS1_25lookback_scan_determinismE0ELb1ELb1ES3_N6thrust23THRUST_200600_302600_NS6detail15normal_iteratorINS9_10device_ptrIjEEEENS9_16discard_iteratorINS9_11use_defaultEEEjNS9_4plusIvEEjEEDaPvRmT3_T4_T5_mT6_P12ihipStream_tbENKUlT_T0_E_clISt17integral_constantIbLb0EESX_EEDaSS_ST_EUlSS_E_NS1_11comp_targetILNS1_3genE0ELNS1_11target_archE4294967295ELNS1_3gpuE0ELNS1_3repE0EEENS1_30default_config_static_selectorELNS0_4arch9wavefront6targetE1EEEvT1_
	.globl	_ZN7rocprim17ROCPRIM_400000_NS6detail17trampoline_kernelINS0_14default_configENS1_20scan_config_selectorIjEEZZNS1_9scan_implILNS1_25lookback_scan_determinismE0ELb1ELb1ES3_N6thrust23THRUST_200600_302600_NS6detail15normal_iteratorINS9_10device_ptrIjEEEENS9_16discard_iteratorINS9_11use_defaultEEEjNS9_4plusIvEEjEEDaPvRmT3_T4_T5_mT6_P12ihipStream_tbENKUlT_T0_E_clISt17integral_constantIbLb0EESX_EEDaSS_ST_EUlSS_E_NS1_11comp_targetILNS1_3genE0ELNS1_11target_archE4294967295ELNS1_3gpuE0ELNS1_3repE0EEENS1_30default_config_static_selectorELNS0_4arch9wavefront6targetE1EEEvT1_
	.p2align	8
	.type	_ZN7rocprim17ROCPRIM_400000_NS6detail17trampoline_kernelINS0_14default_configENS1_20scan_config_selectorIjEEZZNS1_9scan_implILNS1_25lookback_scan_determinismE0ELb1ELb1ES3_N6thrust23THRUST_200600_302600_NS6detail15normal_iteratorINS9_10device_ptrIjEEEENS9_16discard_iteratorINS9_11use_defaultEEEjNS9_4plusIvEEjEEDaPvRmT3_T4_T5_mT6_P12ihipStream_tbENKUlT_T0_E_clISt17integral_constantIbLb0EESX_EEDaSS_ST_EUlSS_E_NS1_11comp_targetILNS1_3genE0ELNS1_11target_archE4294967295ELNS1_3gpuE0ELNS1_3repE0EEENS1_30default_config_static_selectorELNS0_4arch9wavefront6targetE1EEEvT1_,@function
_ZN7rocprim17ROCPRIM_400000_NS6detail17trampoline_kernelINS0_14default_configENS1_20scan_config_selectorIjEEZZNS1_9scan_implILNS1_25lookback_scan_determinismE0ELb1ELb1ES3_N6thrust23THRUST_200600_302600_NS6detail15normal_iteratorINS9_10device_ptrIjEEEENS9_16discard_iteratorINS9_11use_defaultEEEjNS9_4plusIvEEjEEDaPvRmT3_T4_T5_mT6_P12ihipStream_tbENKUlT_T0_E_clISt17integral_constantIbLb0EESX_EEDaSS_ST_EUlSS_E_NS1_11comp_targetILNS1_3genE0ELNS1_11target_archE4294967295ELNS1_3gpuE0ELNS1_3repE0EEENS1_30default_config_static_selectorELNS0_4arch9wavefront6targetE1EEEvT1_: ; @_ZN7rocprim17ROCPRIM_400000_NS6detail17trampoline_kernelINS0_14default_configENS1_20scan_config_selectorIjEEZZNS1_9scan_implILNS1_25lookback_scan_determinismE0ELb1ELb1ES3_N6thrust23THRUST_200600_302600_NS6detail15normal_iteratorINS9_10device_ptrIjEEEENS9_16discard_iteratorINS9_11use_defaultEEEjNS9_4plusIvEEjEEDaPvRmT3_T4_T5_mT6_P12ihipStream_tbENKUlT_T0_E_clISt17integral_constantIbLb0EESX_EEDaSS_ST_EUlSS_E_NS1_11comp_targetILNS1_3genE0ELNS1_11target_archE4294967295ELNS1_3gpuE0ELNS1_3repE0EEENS1_30default_config_static_selectorELNS0_4arch9wavefront6targetE1EEEvT1_
; %bb.0:
	.section	.rodata,"a",@progbits
	.p2align	6, 0x0
	.amdhsa_kernel _ZN7rocprim17ROCPRIM_400000_NS6detail17trampoline_kernelINS0_14default_configENS1_20scan_config_selectorIjEEZZNS1_9scan_implILNS1_25lookback_scan_determinismE0ELb1ELb1ES3_N6thrust23THRUST_200600_302600_NS6detail15normal_iteratorINS9_10device_ptrIjEEEENS9_16discard_iteratorINS9_11use_defaultEEEjNS9_4plusIvEEjEEDaPvRmT3_T4_T5_mT6_P12ihipStream_tbENKUlT_T0_E_clISt17integral_constantIbLb0EESX_EEDaSS_ST_EUlSS_E_NS1_11comp_targetILNS1_3genE0ELNS1_11target_archE4294967295ELNS1_3gpuE0ELNS1_3repE0EEENS1_30default_config_static_selectorELNS0_4arch9wavefront6targetE1EEEvT1_
		.amdhsa_group_segment_fixed_size 0
		.amdhsa_private_segment_fixed_size 0
		.amdhsa_kernarg_size 104
		.amdhsa_user_sgpr_count 6
		.amdhsa_user_sgpr_private_segment_buffer 1
		.amdhsa_user_sgpr_dispatch_ptr 0
		.amdhsa_user_sgpr_queue_ptr 0
		.amdhsa_user_sgpr_kernarg_segment_ptr 1
		.amdhsa_user_sgpr_dispatch_id 0
		.amdhsa_user_sgpr_flat_scratch_init 0
		.amdhsa_user_sgpr_kernarg_preload_length 0
		.amdhsa_user_sgpr_kernarg_preload_offset 0
		.amdhsa_user_sgpr_private_segment_size 0
		.amdhsa_uses_dynamic_stack 0
		.amdhsa_system_sgpr_private_segment_wavefront_offset 0
		.amdhsa_system_sgpr_workgroup_id_x 1
		.amdhsa_system_sgpr_workgroup_id_y 0
		.amdhsa_system_sgpr_workgroup_id_z 0
		.amdhsa_system_sgpr_workgroup_info 0
		.amdhsa_system_vgpr_workitem_id 0
		.amdhsa_next_free_vgpr 1
		.amdhsa_next_free_sgpr 0
		.amdhsa_accum_offset 4
		.amdhsa_reserve_vcc 0
		.amdhsa_reserve_flat_scratch 0
		.amdhsa_float_round_mode_32 0
		.amdhsa_float_round_mode_16_64 0
		.amdhsa_float_denorm_mode_32 3
		.amdhsa_float_denorm_mode_16_64 3
		.amdhsa_dx10_clamp 1
		.amdhsa_ieee_mode 1
		.amdhsa_fp16_overflow 0
		.amdhsa_tg_split 0
		.amdhsa_exception_fp_ieee_invalid_op 0
		.amdhsa_exception_fp_denorm_src 0
		.amdhsa_exception_fp_ieee_div_zero 0
		.amdhsa_exception_fp_ieee_overflow 0
		.amdhsa_exception_fp_ieee_underflow 0
		.amdhsa_exception_fp_ieee_inexact 0
		.amdhsa_exception_int_div_zero 0
	.end_amdhsa_kernel
	.section	.text._ZN7rocprim17ROCPRIM_400000_NS6detail17trampoline_kernelINS0_14default_configENS1_20scan_config_selectorIjEEZZNS1_9scan_implILNS1_25lookback_scan_determinismE0ELb1ELb1ES3_N6thrust23THRUST_200600_302600_NS6detail15normal_iteratorINS9_10device_ptrIjEEEENS9_16discard_iteratorINS9_11use_defaultEEEjNS9_4plusIvEEjEEDaPvRmT3_T4_T5_mT6_P12ihipStream_tbENKUlT_T0_E_clISt17integral_constantIbLb0EESX_EEDaSS_ST_EUlSS_E_NS1_11comp_targetILNS1_3genE0ELNS1_11target_archE4294967295ELNS1_3gpuE0ELNS1_3repE0EEENS1_30default_config_static_selectorELNS0_4arch9wavefront6targetE1EEEvT1_,"axG",@progbits,_ZN7rocprim17ROCPRIM_400000_NS6detail17trampoline_kernelINS0_14default_configENS1_20scan_config_selectorIjEEZZNS1_9scan_implILNS1_25lookback_scan_determinismE0ELb1ELb1ES3_N6thrust23THRUST_200600_302600_NS6detail15normal_iteratorINS9_10device_ptrIjEEEENS9_16discard_iteratorINS9_11use_defaultEEEjNS9_4plusIvEEjEEDaPvRmT3_T4_T5_mT6_P12ihipStream_tbENKUlT_T0_E_clISt17integral_constantIbLb0EESX_EEDaSS_ST_EUlSS_E_NS1_11comp_targetILNS1_3genE0ELNS1_11target_archE4294967295ELNS1_3gpuE0ELNS1_3repE0EEENS1_30default_config_static_selectorELNS0_4arch9wavefront6targetE1EEEvT1_,comdat
.Lfunc_end5366:
	.size	_ZN7rocprim17ROCPRIM_400000_NS6detail17trampoline_kernelINS0_14default_configENS1_20scan_config_selectorIjEEZZNS1_9scan_implILNS1_25lookback_scan_determinismE0ELb1ELb1ES3_N6thrust23THRUST_200600_302600_NS6detail15normal_iteratorINS9_10device_ptrIjEEEENS9_16discard_iteratorINS9_11use_defaultEEEjNS9_4plusIvEEjEEDaPvRmT3_T4_T5_mT6_P12ihipStream_tbENKUlT_T0_E_clISt17integral_constantIbLb0EESX_EEDaSS_ST_EUlSS_E_NS1_11comp_targetILNS1_3genE0ELNS1_11target_archE4294967295ELNS1_3gpuE0ELNS1_3repE0EEENS1_30default_config_static_selectorELNS0_4arch9wavefront6targetE1EEEvT1_, .Lfunc_end5366-_ZN7rocprim17ROCPRIM_400000_NS6detail17trampoline_kernelINS0_14default_configENS1_20scan_config_selectorIjEEZZNS1_9scan_implILNS1_25lookback_scan_determinismE0ELb1ELb1ES3_N6thrust23THRUST_200600_302600_NS6detail15normal_iteratorINS9_10device_ptrIjEEEENS9_16discard_iteratorINS9_11use_defaultEEEjNS9_4plusIvEEjEEDaPvRmT3_T4_T5_mT6_P12ihipStream_tbENKUlT_T0_E_clISt17integral_constantIbLb0EESX_EEDaSS_ST_EUlSS_E_NS1_11comp_targetILNS1_3genE0ELNS1_11target_archE4294967295ELNS1_3gpuE0ELNS1_3repE0EEENS1_30default_config_static_selectorELNS0_4arch9wavefront6targetE1EEEvT1_
                                        ; -- End function
	.section	.AMDGPU.csdata,"",@progbits
; Kernel info:
; codeLenInByte = 0
; NumSgprs: 4
; NumVgprs: 0
; NumAgprs: 0
; TotalNumVgprs: 0
; ScratchSize: 0
; MemoryBound: 0
; FloatMode: 240
; IeeeMode: 1
; LDSByteSize: 0 bytes/workgroup (compile time only)
; SGPRBlocks: 0
; VGPRBlocks: 0
; NumSGPRsForWavesPerEU: 4
; NumVGPRsForWavesPerEU: 1
; AccumOffset: 4
; Occupancy: 8
; WaveLimiterHint : 0
; COMPUTE_PGM_RSRC2:SCRATCH_EN: 0
; COMPUTE_PGM_RSRC2:USER_SGPR: 6
; COMPUTE_PGM_RSRC2:TRAP_HANDLER: 0
; COMPUTE_PGM_RSRC2:TGID_X_EN: 1
; COMPUTE_PGM_RSRC2:TGID_Y_EN: 0
; COMPUTE_PGM_RSRC2:TGID_Z_EN: 0
; COMPUTE_PGM_RSRC2:TIDIG_COMP_CNT: 0
; COMPUTE_PGM_RSRC3_GFX90A:ACCUM_OFFSET: 0
; COMPUTE_PGM_RSRC3_GFX90A:TG_SPLIT: 0
	.section	.text._ZN7rocprim17ROCPRIM_400000_NS6detail17trampoline_kernelINS0_14default_configENS1_20scan_config_selectorIjEEZZNS1_9scan_implILNS1_25lookback_scan_determinismE0ELb1ELb1ES3_N6thrust23THRUST_200600_302600_NS6detail15normal_iteratorINS9_10device_ptrIjEEEENS9_16discard_iteratorINS9_11use_defaultEEEjNS9_4plusIvEEjEEDaPvRmT3_T4_T5_mT6_P12ihipStream_tbENKUlT_T0_E_clISt17integral_constantIbLb0EESX_EEDaSS_ST_EUlSS_E_NS1_11comp_targetILNS1_3genE5ELNS1_11target_archE942ELNS1_3gpuE9ELNS1_3repE0EEENS1_30default_config_static_selectorELNS0_4arch9wavefront6targetE1EEEvT1_,"axG",@progbits,_ZN7rocprim17ROCPRIM_400000_NS6detail17trampoline_kernelINS0_14default_configENS1_20scan_config_selectorIjEEZZNS1_9scan_implILNS1_25lookback_scan_determinismE0ELb1ELb1ES3_N6thrust23THRUST_200600_302600_NS6detail15normal_iteratorINS9_10device_ptrIjEEEENS9_16discard_iteratorINS9_11use_defaultEEEjNS9_4plusIvEEjEEDaPvRmT3_T4_T5_mT6_P12ihipStream_tbENKUlT_T0_E_clISt17integral_constantIbLb0EESX_EEDaSS_ST_EUlSS_E_NS1_11comp_targetILNS1_3genE5ELNS1_11target_archE942ELNS1_3gpuE9ELNS1_3repE0EEENS1_30default_config_static_selectorELNS0_4arch9wavefront6targetE1EEEvT1_,comdat
	.protected	_ZN7rocprim17ROCPRIM_400000_NS6detail17trampoline_kernelINS0_14default_configENS1_20scan_config_selectorIjEEZZNS1_9scan_implILNS1_25lookback_scan_determinismE0ELb1ELb1ES3_N6thrust23THRUST_200600_302600_NS6detail15normal_iteratorINS9_10device_ptrIjEEEENS9_16discard_iteratorINS9_11use_defaultEEEjNS9_4plusIvEEjEEDaPvRmT3_T4_T5_mT6_P12ihipStream_tbENKUlT_T0_E_clISt17integral_constantIbLb0EESX_EEDaSS_ST_EUlSS_E_NS1_11comp_targetILNS1_3genE5ELNS1_11target_archE942ELNS1_3gpuE9ELNS1_3repE0EEENS1_30default_config_static_selectorELNS0_4arch9wavefront6targetE1EEEvT1_ ; -- Begin function _ZN7rocprim17ROCPRIM_400000_NS6detail17trampoline_kernelINS0_14default_configENS1_20scan_config_selectorIjEEZZNS1_9scan_implILNS1_25lookback_scan_determinismE0ELb1ELb1ES3_N6thrust23THRUST_200600_302600_NS6detail15normal_iteratorINS9_10device_ptrIjEEEENS9_16discard_iteratorINS9_11use_defaultEEEjNS9_4plusIvEEjEEDaPvRmT3_T4_T5_mT6_P12ihipStream_tbENKUlT_T0_E_clISt17integral_constantIbLb0EESX_EEDaSS_ST_EUlSS_E_NS1_11comp_targetILNS1_3genE5ELNS1_11target_archE942ELNS1_3gpuE9ELNS1_3repE0EEENS1_30default_config_static_selectorELNS0_4arch9wavefront6targetE1EEEvT1_
	.globl	_ZN7rocprim17ROCPRIM_400000_NS6detail17trampoline_kernelINS0_14default_configENS1_20scan_config_selectorIjEEZZNS1_9scan_implILNS1_25lookback_scan_determinismE0ELb1ELb1ES3_N6thrust23THRUST_200600_302600_NS6detail15normal_iteratorINS9_10device_ptrIjEEEENS9_16discard_iteratorINS9_11use_defaultEEEjNS9_4plusIvEEjEEDaPvRmT3_T4_T5_mT6_P12ihipStream_tbENKUlT_T0_E_clISt17integral_constantIbLb0EESX_EEDaSS_ST_EUlSS_E_NS1_11comp_targetILNS1_3genE5ELNS1_11target_archE942ELNS1_3gpuE9ELNS1_3repE0EEENS1_30default_config_static_selectorELNS0_4arch9wavefront6targetE1EEEvT1_
	.p2align	8
	.type	_ZN7rocprim17ROCPRIM_400000_NS6detail17trampoline_kernelINS0_14default_configENS1_20scan_config_selectorIjEEZZNS1_9scan_implILNS1_25lookback_scan_determinismE0ELb1ELb1ES3_N6thrust23THRUST_200600_302600_NS6detail15normal_iteratorINS9_10device_ptrIjEEEENS9_16discard_iteratorINS9_11use_defaultEEEjNS9_4plusIvEEjEEDaPvRmT3_T4_T5_mT6_P12ihipStream_tbENKUlT_T0_E_clISt17integral_constantIbLb0EESX_EEDaSS_ST_EUlSS_E_NS1_11comp_targetILNS1_3genE5ELNS1_11target_archE942ELNS1_3gpuE9ELNS1_3repE0EEENS1_30default_config_static_selectorELNS0_4arch9wavefront6targetE1EEEvT1_,@function
_ZN7rocprim17ROCPRIM_400000_NS6detail17trampoline_kernelINS0_14default_configENS1_20scan_config_selectorIjEEZZNS1_9scan_implILNS1_25lookback_scan_determinismE0ELb1ELb1ES3_N6thrust23THRUST_200600_302600_NS6detail15normal_iteratorINS9_10device_ptrIjEEEENS9_16discard_iteratorINS9_11use_defaultEEEjNS9_4plusIvEEjEEDaPvRmT3_T4_T5_mT6_P12ihipStream_tbENKUlT_T0_E_clISt17integral_constantIbLb0EESX_EEDaSS_ST_EUlSS_E_NS1_11comp_targetILNS1_3genE5ELNS1_11target_archE942ELNS1_3gpuE9ELNS1_3repE0EEENS1_30default_config_static_selectorELNS0_4arch9wavefront6targetE1EEEvT1_: ; @_ZN7rocprim17ROCPRIM_400000_NS6detail17trampoline_kernelINS0_14default_configENS1_20scan_config_selectorIjEEZZNS1_9scan_implILNS1_25lookback_scan_determinismE0ELb1ELb1ES3_N6thrust23THRUST_200600_302600_NS6detail15normal_iteratorINS9_10device_ptrIjEEEENS9_16discard_iteratorINS9_11use_defaultEEEjNS9_4plusIvEEjEEDaPvRmT3_T4_T5_mT6_P12ihipStream_tbENKUlT_T0_E_clISt17integral_constantIbLb0EESX_EEDaSS_ST_EUlSS_E_NS1_11comp_targetILNS1_3genE5ELNS1_11target_archE942ELNS1_3gpuE9ELNS1_3repE0EEENS1_30default_config_static_selectorELNS0_4arch9wavefront6targetE1EEEvT1_
; %bb.0:
	.section	.rodata,"a",@progbits
	.p2align	6, 0x0
	.amdhsa_kernel _ZN7rocprim17ROCPRIM_400000_NS6detail17trampoline_kernelINS0_14default_configENS1_20scan_config_selectorIjEEZZNS1_9scan_implILNS1_25lookback_scan_determinismE0ELb1ELb1ES3_N6thrust23THRUST_200600_302600_NS6detail15normal_iteratorINS9_10device_ptrIjEEEENS9_16discard_iteratorINS9_11use_defaultEEEjNS9_4plusIvEEjEEDaPvRmT3_T4_T5_mT6_P12ihipStream_tbENKUlT_T0_E_clISt17integral_constantIbLb0EESX_EEDaSS_ST_EUlSS_E_NS1_11comp_targetILNS1_3genE5ELNS1_11target_archE942ELNS1_3gpuE9ELNS1_3repE0EEENS1_30default_config_static_selectorELNS0_4arch9wavefront6targetE1EEEvT1_
		.amdhsa_group_segment_fixed_size 0
		.amdhsa_private_segment_fixed_size 0
		.amdhsa_kernarg_size 104
		.amdhsa_user_sgpr_count 6
		.amdhsa_user_sgpr_private_segment_buffer 1
		.amdhsa_user_sgpr_dispatch_ptr 0
		.amdhsa_user_sgpr_queue_ptr 0
		.amdhsa_user_sgpr_kernarg_segment_ptr 1
		.amdhsa_user_sgpr_dispatch_id 0
		.amdhsa_user_sgpr_flat_scratch_init 0
		.amdhsa_user_sgpr_kernarg_preload_length 0
		.amdhsa_user_sgpr_kernarg_preload_offset 0
		.amdhsa_user_sgpr_private_segment_size 0
		.amdhsa_uses_dynamic_stack 0
		.amdhsa_system_sgpr_private_segment_wavefront_offset 0
		.amdhsa_system_sgpr_workgroup_id_x 1
		.amdhsa_system_sgpr_workgroup_id_y 0
		.amdhsa_system_sgpr_workgroup_id_z 0
		.amdhsa_system_sgpr_workgroup_info 0
		.amdhsa_system_vgpr_workitem_id 0
		.amdhsa_next_free_vgpr 1
		.amdhsa_next_free_sgpr 0
		.amdhsa_accum_offset 4
		.amdhsa_reserve_vcc 0
		.amdhsa_reserve_flat_scratch 0
		.amdhsa_float_round_mode_32 0
		.amdhsa_float_round_mode_16_64 0
		.amdhsa_float_denorm_mode_32 3
		.amdhsa_float_denorm_mode_16_64 3
		.amdhsa_dx10_clamp 1
		.amdhsa_ieee_mode 1
		.amdhsa_fp16_overflow 0
		.amdhsa_tg_split 0
		.amdhsa_exception_fp_ieee_invalid_op 0
		.amdhsa_exception_fp_denorm_src 0
		.amdhsa_exception_fp_ieee_div_zero 0
		.amdhsa_exception_fp_ieee_overflow 0
		.amdhsa_exception_fp_ieee_underflow 0
		.amdhsa_exception_fp_ieee_inexact 0
		.amdhsa_exception_int_div_zero 0
	.end_amdhsa_kernel
	.section	.text._ZN7rocprim17ROCPRIM_400000_NS6detail17trampoline_kernelINS0_14default_configENS1_20scan_config_selectorIjEEZZNS1_9scan_implILNS1_25lookback_scan_determinismE0ELb1ELb1ES3_N6thrust23THRUST_200600_302600_NS6detail15normal_iteratorINS9_10device_ptrIjEEEENS9_16discard_iteratorINS9_11use_defaultEEEjNS9_4plusIvEEjEEDaPvRmT3_T4_T5_mT6_P12ihipStream_tbENKUlT_T0_E_clISt17integral_constantIbLb0EESX_EEDaSS_ST_EUlSS_E_NS1_11comp_targetILNS1_3genE5ELNS1_11target_archE942ELNS1_3gpuE9ELNS1_3repE0EEENS1_30default_config_static_selectorELNS0_4arch9wavefront6targetE1EEEvT1_,"axG",@progbits,_ZN7rocprim17ROCPRIM_400000_NS6detail17trampoline_kernelINS0_14default_configENS1_20scan_config_selectorIjEEZZNS1_9scan_implILNS1_25lookback_scan_determinismE0ELb1ELb1ES3_N6thrust23THRUST_200600_302600_NS6detail15normal_iteratorINS9_10device_ptrIjEEEENS9_16discard_iteratorINS9_11use_defaultEEEjNS9_4plusIvEEjEEDaPvRmT3_T4_T5_mT6_P12ihipStream_tbENKUlT_T0_E_clISt17integral_constantIbLb0EESX_EEDaSS_ST_EUlSS_E_NS1_11comp_targetILNS1_3genE5ELNS1_11target_archE942ELNS1_3gpuE9ELNS1_3repE0EEENS1_30default_config_static_selectorELNS0_4arch9wavefront6targetE1EEEvT1_,comdat
.Lfunc_end5367:
	.size	_ZN7rocprim17ROCPRIM_400000_NS6detail17trampoline_kernelINS0_14default_configENS1_20scan_config_selectorIjEEZZNS1_9scan_implILNS1_25lookback_scan_determinismE0ELb1ELb1ES3_N6thrust23THRUST_200600_302600_NS6detail15normal_iteratorINS9_10device_ptrIjEEEENS9_16discard_iteratorINS9_11use_defaultEEEjNS9_4plusIvEEjEEDaPvRmT3_T4_T5_mT6_P12ihipStream_tbENKUlT_T0_E_clISt17integral_constantIbLb0EESX_EEDaSS_ST_EUlSS_E_NS1_11comp_targetILNS1_3genE5ELNS1_11target_archE942ELNS1_3gpuE9ELNS1_3repE0EEENS1_30default_config_static_selectorELNS0_4arch9wavefront6targetE1EEEvT1_, .Lfunc_end5367-_ZN7rocprim17ROCPRIM_400000_NS6detail17trampoline_kernelINS0_14default_configENS1_20scan_config_selectorIjEEZZNS1_9scan_implILNS1_25lookback_scan_determinismE0ELb1ELb1ES3_N6thrust23THRUST_200600_302600_NS6detail15normal_iteratorINS9_10device_ptrIjEEEENS9_16discard_iteratorINS9_11use_defaultEEEjNS9_4plusIvEEjEEDaPvRmT3_T4_T5_mT6_P12ihipStream_tbENKUlT_T0_E_clISt17integral_constantIbLb0EESX_EEDaSS_ST_EUlSS_E_NS1_11comp_targetILNS1_3genE5ELNS1_11target_archE942ELNS1_3gpuE9ELNS1_3repE0EEENS1_30default_config_static_selectorELNS0_4arch9wavefront6targetE1EEEvT1_
                                        ; -- End function
	.section	.AMDGPU.csdata,"",@progbits
; Kernel info:
; codeLenInByte = 0
; NumSgprs: 4
; NumVgprs: 0
; NumAgprs: 0
; TotalNumVgprs: 0
; ScratchSize: 0
; MemoryBound: 0
; FloatMode: 240
; IeeeMode: 1
; LDSByteSize: 0 bytes/workgroup (compile time only)
; SGPRBlocks: 0
; VGPRBlocks: 0
; NumSGPRsForWavesPerEU: 4
; NumVGPRsForWavesPerEU: 1
; AccumOffset: 4
; Occupancy: 8
; WaveLimiterHint : 0
; COMPUTE_PGM_RSRC2:SCRATCH_EN: 0
; COMPUTE_PGM_RSRC2:USER_SGPR: 6
; COMPUTE_PGM_RSRC2:TRAP_HANDLER: 0
; COMPUTE_PGM_RSRC2:TGID_X_EN: 1
; COMPUTE_PGM_RSRC2:TGID_Y_EN: 0
; COMPUTE_PGM_RSRC2:TGID_Z_EN: 0
; COMPUTE_PGM_RSRC2:TIDIG_COMP_CNT: 0
; COMPUTE_PGM_RSRC3_GFX90A:ACCUM_OFFSET: 0
; COMPUTE_PGM_RSRC3_GFX90A:TG_SPLIT: 0
	.section	.text._ZN7rocprim17ROCPRIM_400000_NS6detail17trampoline_kernelINS0_14default_configENS1_20scan_config_selectorIjEEZZNS1_9scan_implILNS1_25lookback_scan_determinismE0ELb1ELb1ES3_N6thrust23THRUST_200600_302600_NS6detail15normal_iteratorINS9_10device_ptrIjEEEENS9_16discard_iteratorINS9_11use_defaultEEEjNS9_4plusIvEEjEEDaPvRmT3_T4_T5_mT6_P12ihipStream_tbENKUlT_T0_E_clISt17integral_constantIbLb0EESX_EEDaSS_ST_EUlSS_E_NS1_11comp_targetILNS1_3genE4ELNS1_11target_archE910ELNS1_3gpuE8ELNS1_3repE0EEENS1_30default_config_static_selectorELNS0_4arch9wavefront6targetE1EEEvT1_,"axG",@progbits,_ZN7rocprim17ROCPRIM_400000_NS6detail17trampoline_kernelINS0_14default_configENS1_20scan_config_selectorIjEEZZNS1_9scan_implILNS1_25lookback_scan_determinismE0ELb1ELb1ES3_N6thrust23THRUST_200600_302600_NS6detail15normal_iteratorINS9_10device_ptrIjEEEENS9_16discard_iteratorINS9_11use_defaultEEEjNS9_4plusIvEEjEEDaPvRmT3_T4_T5_mT6_P12ihipStream_tbENKUlT_T0_E_clISt17integral_constantIbLb0EESX_EEDaSS_ST_EUlSS_E_NS1_11comp_targetILNS1_3genE4ELNS1_11target_archE910ELNS1_3gpuE8ELNS1_3repE0EEENS1_30default_config_static_selectorELNS0_4arch9wavefront6targetE1EEEvT1_,comdat
	.protected	_ZN7rocprim17ROCPRIM_400000_NS6detail17trampoline_kernelINS0_14default_configENS1_20scan_config_selectorIjEEZZNS1_9scan_implILNS1_25lookback_scan_determinismE0ELb1ELb1ES3_N6thrust23THRUST_200600_302600_NS6detail15normal_iteratorINS9_10device_ptrIjEEEENS9_16discard_iteratorINS9_11use_defaultEEEjNS9_4plusIvEEjEEDaPvRmT3_T4_T5_mT6_P12ihipStream_tbENKUlT_T0_E_clISt17integral_constantIbLb0EESX_EEDaSS_ST_EUlSS_E_NS1_11comp_targetILNS1_3genE4ELNS1_11target_archE910ELNS1_3gpuE8ELNS1_3repE0EEENS1_30default_config_static_selectorELNS0_4arch9wavefront6targetE1EEEvT1_ ; -- Begin function _ZN7rocprim17ROCPRIM_400000_NS6detail17trampoline_kernelINS0_14default_configENS1_20scan_config_selectorIjEEZZNS1_9scan_implILNS1_25lookback_scan_determinismE0ELb1ELb1ES3_N6thrust23THRUST_200600_302600_NS6detail15normal_iteratorINS9_10device_ptrIjEEEENS9_16discard_iteratorINS9_11use_defaultEEEjNS9_4plusIvEEjEEDaPvRmT3_T4_T5_mT6_P12ihipStream_tbENKUlT_T0_E_clISt17integral_constantIbLb0EESX_EEDaSS_ST_EUlSS_E_NS1_11comp_targetILNS1_3genE4ELNS1_11target_archE910ELNS1_3gpuE8ELNS1_3repE0EEENS1_30default_config_static_selectorELNS0_4arch9wavefront6targetE1EEEvT1_
	.globl	_ZN7rocprim17ROCPRIM_400000_NS6detail17trampoline_kernelINS0_14default_configENS1_20scan_config_selectorIjEEZZNS1_9scan_implILNS1_25lookback_scan_determinismE0ELb1ELb1ES3_N6thrust23THRUST_200600_302600_NS6detail15normal_iteratorINS9_10device_ptrIjEEEENS9_16discard_iteratorINS9_11use_defaultEEEjNS9_4plusIvEEjEEDaPvRmT3_T4_T5_mT6_P12ihipStream_tbENKUlT_T0_E_clISt17integral_constantIbLb0EESX_EEDaSS_ST_EUlSS_E_NS1_11comp_targetILNS1_3genE4ELNS1_11target_archE910ELNS1_3gpuE8ELNS1_3repE0EEENS1_30default_config_static_selectorELNS0_4arch9wavefront6targetE1EEEvT1_
	.p2align	8
	.type	_ZN7rocprim17ROCPRIM_400000_NS6detail17trampoline_kernelINS0_14default_configENS1_20scan_config_selectorIjEEZZNS1_9scan_implILNS1_25lookback_scan_determinismE0ELb1ELb1ES3_N6thrust23THRUST_200600_302600_NS6detail15normal_iteratorINS9_10device_ptrIjEEEENS9_16discard_iteratorINS9_11use_defaultEEEjNS9_4plusIvEEjEEDaPvRmT3_T4_T5_mT6_P12ihipStream_tbENKUlT_T0_E_clISt17integral_constantIbLb0EESX_EEDaSS_ST_EUlSS_E_NS1_11comp_targetILNS1_3genE4ELNS1_11target_archE910ELNS1_3gpuE8ELNS1_3repE0EEENS1_30default_config_static_selectorELNS0_4arch9wavefront6targetE1EEEvT1_,@function
_ZN7rocprim17ROCPRIM_400000_NS6detail17trampoline_kernelINS0_14default_configENS1_20scan_config_selectorIjEEZZNS1_9scan_implILNS1_25lookback_scan_determinismE0ELb1ELb1ES3_N6thrust23THRUST_200600_302600_NS6detail15normal_iteratorINS9_10device_ptrIjEEEENS9_16discard_iteratorINS9_11use_defaultEEEjNS9_4plusIvEEjEEDaPvRmT3_T4_T5_mT6_P12ihipStream_tbENKUlT_T0_E_clISt17integral_constantIbLb0EESX_EEDaSS_ST_EUlSS_E_NS1_11comp_targetILNS1_3genE4ELNS1_11target_archE910ELNS1_3gpuE8ELNS1_3repE0EEENS1_30default_config_static_selectorELNS0_4arch9wavefront6targetE1EEEvT1_: ; @_ZN7rocprim17ROCPRIM_400000_NS6detail17trampoline_kernelINS0_14default_configENS1_20scan_config_selectorIjEEZZNS1_9scan_implILNS1_25lookback_scan_determinismE0ELb1ELb1ES3_N6thrust23THRUST_200600_302600_NS6detail15normal_iteratorINS9_10device_ptrIjEEEENS9_16discard_iteratorINS9_11use_defaultEEEjNS9_4plusIvEEjEEDaPvRmT3_T4_T5_mT6_P12ihipStream_tbENKUlT_T0_E_clISt17integral_constantIbLb0EESX_EEDaSS_ST_EUlSS_E_NS1_11comp_targetILNS1_3genE4ELNS1_11target_archE910ELNS1_3gpuE8ELNS1_3repE0EEENS1_30default_config_static_selectorELNS0_4arch9wavefront6targetE1EEEvT1_
; %bb.0:
	s_load_dwordx4 s[0:3], s[4:5], 0x0
	s_load_dwordx2 s[8:9], s[4:5], 0x20
	s_load_dword s7, s[4:5], 0x38
	s_waitcnt lgkmcnt(0)
	s_lshl_b64 s[2:3], s[2:3], 2
	s_add_u32 s21, s0, s2
	s_addc_u32 s22, s1, s3
	s_add_i32 s2, s7, -1
	s_mul_i32 s3, s2, 0x500
	s_sub_u32 s7, s8, s3
	s_subb_u32 s20, s9, 0
	s_mul_i32 s0, s6, 0x500
	s_mov_b32 s1, 0
	s_cmp_lg_u32 s6, s2
	s_cselect_b64 s[16:17], -1, 0
	s_lshl_b64 s[0:1], s[0:1], 2
	s_add_u32 s0, s21, s0
	s_addc_u32 s1, s22, s1
	s_mov_b64 s[2:3], -1
	s_and_b64 vcc, exec, s[16:17]
	s_cbranch_vccz .LBB5368_2
; %bb.1:
	v_lshlrev_b32_e32 v1, 2, v0
	v_mov_b32_e32 v3, s1
	v_add_co_u32_e32 v2, vcc, s0, v1
	v_addc_co_u32_e32 v3, vcc, 0, v3, vcc
	flat_load_dword v4, v[2:3]
	flat_load_dword v5, v[2:3] offset:512
	flat_load_dword v6, v[2:3] offset:1024
	;; [unrolled: 1-line block ×7, first 2 shown]
	v_add_co_u32_e32 v2, vcc, 0x1000, v2
	v_addc_co_u32_e32 v3, vcc, 0, v3, vcc
	flat_load_dword v12, v[2:3]
	flat_load_dword v13, v[2:3] offset:512
	s_mov_b64 s[2:3], 0
	s_waitcnt vmcnt(0) lgkmcnt(0)
	ds_write2st64_b32 v1, v4, v5 offset1:2
	ds_write2st64_b32 v1, v6, v7 offset0:4 offset1:6
	ds_write2st64_b32 v1, v8, v9 offset0:8 offset1:10
	;; [unrolled: 1-line block ×4, first 2 shown]
	s_waitcnt lgkmcnt(0)
	s_barrier
.LBB5368_2:
	s_load_dwordx2 s[18:19], s[4:5], 0x30
	s_andn2_b64 vcc, exec, s[2:3]
	s_cbranch_vccnz .LBB5368_24
; %bb.3:
	v_pk_mov_b32 v[2:3], s[0:1], s[0:1] op_sel:[0,1]
	flat_load_dword v1, v[2:3]
	v_cmp_gt_u32_e32 vcc, s7, v0
	s_waitcnt vmcnt(0) lgkmcnt(0)
	v_mov_b32_e32 v2, v1
	v_mov_b32_e32 v3, v1
	;; [unrolled: 1-line block ×9, first 2 shown]
	s_and_saveexec_b64 s[2:3], vcc
	s_cbranch_execz .LBB5368_5
; %bb.4:
	v_lshlrev_b32_e32 v10, 2, v0
	v_mov_b32_e32 v11, s1
	v_add_co_u32_e32 v10, vcc, s0, v10
	v_addc_co_u32_e32 v11, vcc, 0, v11, vcc
	flat_load_dword v10, v[10:11]
.LBB5368_5:
	s_or_b64 exec, exec, s[2:3]
	v_or_b32_e32 v11, 0x80, v0
	v_cmp_gt_u32_e32 vcc, s7, v11
	s_and_saveexec_b64 s[2:3], vcc
	s_cbranch_execz .LBB5368_7
; %bb.6:
	v_lshlrev_b32_e32 v1, 2, v0
	v_mov_b32_e32 v11, s1
	v_add_co_u32_e32 v12, vcc, s0, v1
	v_addc_co_u32_e32 v13, vcc, 0, v11, vcc
	flat_load_dword v1, v[12:13] offset:512
.LBB5368_7:
	s_or_b64 exec, exec, s[2:3]
	v_or_b32_e32 v11, 0x100, v0
	v_cmp_gt_u32_e32 vcc, s7, v11
	s_and_saveexec_b64 s[2:3], vcc
	s_cbranch_execz .LBB5368_9
; %bb.8:
	v_lshlrev_b32_e32 v2, 2, v0
	v_mov_b32_e32 v11, s1
	v_add_co_u32_e32 v12, vcc, s0, v2
	v_addc_co_u32_e32 v13, vcc, 0, v11, vcc
	flat_load_dword v2, v[12:13] offset:1024
.LBB5368_9:
	;; [unrolled: 12-line block ×7, first 2 shown]
	s_or_b64 exec, exec, s[2:3]
	v_or_b32_e32 v11, 0x400, v0
	v_cmp_gt_u32_e32 vcc, s7, v11
	s_and_saveexec_b64 s[2:3], vcc
	s_cbranch_execz .LBB5368_21
; %bb.20:
	v_lshlrev_b32_e32 v8, 2, v11
	v_mov_b32_e32 v11, s1
	v_add_co_u32_e32 v12, vcc, s0, v8
	v_addc_co_u32_e32 v13, vcc, 0, v11, vcc
	flat_load_dword v8, v[12:13]
.LBB5368_21:
	s_or_b64 exec, exec, s[2:3]
	v_or_b32_e32 v11, 0x480, v0
	v_cmp_gt_u32_e32 vcc, s7, v11
	s_and_saveexec_b64 s[2:3], vcc
	s_cbranch_execz .LBB5368_23
; %bb.22:
	v_lshlrev_b32_e32 v9, 2, v11
	v_mov_b32_e32 v11, s1
	v_add_co_u32_e32 v12, vcc, s0, v9
	v_addc_co_u32_e32 v13, vcc, 0, v11, vcc
	flat_load_dword v9, v[12:13]
.LBB5368_23:
	s_or_b64 exec, exec, s[2:3]
	v_lshlrev_b32_e32 v11, 2, v0
	s_waitcnt vmcnt(0) lgkmcnt(0)
	ds_write2st64_b32 v11, v10, v1 offset1:2
	ds_write2st64_b32 v11, v2, v3 offset0:4 offset1:6
	ds_write2st64_b32 v11, v4, v5 offset0:8 offset1:10
	;; [unrolled: 1-line block ×4, first 2 shown]
	s_waitcnt lgkmcnt(0)
	s_barrier
.LBB5368_24:
	v_mul_u32_u24_e32 v22, 10, v0
	v_lshlrev_b32_e32 v1, 2, v22
	s_waitcnt lgkmcnt(0)
	ds_read2_b64 v[16:19], v1 offset1:1
	ds_read2_b64 v[12:15], v1 offset0:2 offset1:3
	ds_read_b64 v[20:21], v1 offset:32
	s_cmp_lg_u32 s6, 0
	v_lshrrev_b32_e32 v23, 5, v0
	s_waitcnt lgkmcnt(2)
	v_add_u32_e32 v2, v17, v16
	v_add3_u32 v24, v2, v18, v19
	v_cmp_gt_u32_e32 vcc, 64, v0
	s_waitcnt lgkmcnt(0)
	s_barrier
	s_cbranch_scc0 .LBB5368_49
; %bb.25:
	v_add3_u32 v2, v24, v12, v13
	v_add3_u32 v2, v2, v14, v15
	;; [unrolled: 1-line block ×3, first 2 shown]
	v_add_lshl_u32 v3, v23, v0, 2
	ds_write_b32 v3, v2
	s_waitcnt lgkmcnt(0)
	s_barrier
	s_and_saveexec_b64 s[2:3], vcc
	s_cbranch_execz .LBB5368_27
; %bb.26:
	v_lshlrev_b32_e32 v3, 1, v0
	v_lshrrev_b32_e32 v4, 4, v0
	v_add_lshl_u32 v3, v4, v3, 2
	ds_read2_b32 v[4:5], v3 offset1:1
	v_mbcnt_lo_u32_b32 v6, -1, 0
	v_mbcnt_hi_u32_b32 v6, -1, v6
	v_and_b32_e32 v7, 15, v6
	v_cmp_ne_u32_e64 s[0:1], 0, v7
	s_waitcnt lgkmcnt(0)
	v_add_u32_e32 v5, v5, v4
	; wave barrier
	s_nop 1
	v_mov_b32_dpp v8, v5 row_shr:1 row_mask:0xf bank_mask:0xf
	v_cndmask_b32_e64 v8, 0, v8, s[0:1]
	v_add_u32_e32 v5, v8, v5
	v_cmp_lt_u32_e64 s[0:1], 1, v7
	s_nop 0
	v_mov_b32_dpp v8, v5 row_shr:2 row_mask:0xf bank_mask:0xf
	v_cndmask_b32_e64 v8, 0, v8, s[0:1]
	v_add_u32_e32 v5, v5, v8
	v_cmp_lt_u32_e64 s[0:1], 3, v7
	;; [unrolled: 5-line block ×3, first 2 shown]
	s_nop 0
	v_mov_b32_dpp v8, v5 row_shr:8 row_mask:0xf bank_mask:0xf
	v_cndmask_b32_e64 v7, 0, v8, s[0:1]
	v_add_u32_e32 v5, v5, v7
	v_bfe_i32 v8, v6, 4, 1
	v_cmp_lt_u32_e64 s[0:1], 31, v6
	v_mov_b32_dpp v7, v5 row_bcast:15 row_mask:0xf bank_mask:0xf
	v_and_b32_e32 v7, v8, v7
	v_add_u32_e32 v5, v5, v7
	v_and_b32_e32 v8, 64, v6
	s_nop 0
	v_mov_b32_dpp v7, v5 row_bcast:31 row_mask:0xf bank_mask:0xf
	v_cndmask_b32_e64 v7, 0, v7, s[0:1]
	v_add_u32_e32 v5, v5, v7
	v_add_u32_e32 v7, -1, v6
	v_cmp_lt_i32_e64 s[0:1], v7, v8
	v_cndmask_b32_e64 v6, v7, v6, s[0:1]
	v_lshlrev_b32_e32 v6, 2, v6
	ds_bpermute_b32 v5, v6, v5
	v_cmp_eq_u32_e64 s[0:1], 0, v0
	s_waitcnt lgkmcnt(0)
	v_add_u32_e32 v4, v5, v4
	v_cndmask_b32_e64 v2, v4, v2, s[0:1]
	ds_write_b32 v3, v2
	; wave barrier
	ds_read_b32 v4, v3 offset:4
	s_waitcnt lgkmcnt(0)
	v_add_u32_e32 v2, v4, v2
	ds_write_b32 v3, v2 offset:4
.LBB5368_27:
	s_or_b64 exec, exec, s[2:3]
	v_cmp_eq_u32_e64 s[0:1], 0, v0
	v_cmp_ne_u32_e64 s[2:3], 0, v0
	v_mov_b32_e32 v25, 0
	s_waitcnt lgkmcnt(0)
	s_barrier
	s_and_saveexec_b64 s[8:9], s[2:3]
	s_cbranch_execz .LBB5368_29
; %bb.28:
	v_add_u32_e32 v2, -1, v0
	v_lshrrev_b32_e32 v3, 5, v2
	v_add_lshl_u32 v2, v3, v2, 2
	ds_read_b32 v25, v2
.LBB5368_29:
	s_or_b64 exec, exec, s[8:9]
	s_and_saveexec_b64 s[8:9], vcc
	s_cbranch_execz .LBB5368_48
; %bb.30:
	v_mov_b32_e32 v9, 0
	ds_read_b32 v2, v9 offset:520
	v_mbcnt_lo_u32_b32 v3, -1, 0
	v_mbcnt_hi_u32_b32 v5, -1, v3
	s_mov_b32 s13, 0
	v_cmp_eq_u32_e64 s[2:3], 0, v5
	s_and_saveexec_b64 s[10:11], s[2:3]
	s_cbranch_execz .LBB5368_32
; %bb.31:
	s_add_i32 s12, s6, 64
	s_lshl_b64 s[12:13], s[12:13], 3
	s_add_u32 s12, s18, s12
	v_mov_b32_e32 v3, 1
	s_addc_u32 s13, s19, s13
	s_waitcnt lgkmcnt(0)
	global_store_dwordx2 v9, v[2:3], s[12:13]
.LBB5368_32:
	s_or_b64 exec, exec, s[10:11]
	v_xad_u32 v4, v5, -1, s6
	v_add_u32_e32 v8, 64, v4
	v_lshlrev_b64 v[6:7], 3, v[8:9]
	v_mov_b32_e32 v3, s19
	v_add_co_u32_e32 v10, vcc, s18, v6
	v_addc_co_u32_e32 v11, vcc, v3, v7, vcc
	global_load_dwordx2 v[6:7], v[10:11], off glc
	s_waitcnt vmcnt(0)
	v_cmp_eq_u16_sdwa s[12:13], v7, v9 src0_sel:BYTE_0 src1_sel:DWORD
	s_and_saveexec_b64 s[10:11], s[12:13]
	s_cbranch_execz .LBB5368_36
; %bb.33:
	s_mov_b64 s[12:13], 0
	v_mov_b32_e32 v3, 0
.LBB5368_34:                            ; =>This Inner Loop Header: Depth=1
	global_load_dwordx2 v[6:7], v[10:11], off glc
	s_waitcnt vmcnt(0)
	v_cmp_ne_u16_sdwa s[14:15], v7, v3 src0_sel:BYTE_0 src1_sel:DWORD
	s_or_b64 s[12:13], s[14:15], s[12:13]
	s_andn2_b64 exec, exec, s[12:13]
	s_cbranch_execnz .LBB5368_34
; %bb.35:
	s_or_b64 exec, exec, s[12:13]
.LBB5368_36:
	s_or_b64 exec, exec, s[10:11]
	v_and_b32_e32 v26, 63, v5
	v_mov_b32_e32 v3, 2
	v_cmp_ne_u32_e32 vcc, 63, v26
	v_cmp_eq_u16_sdwa s[10:11], v7, v3 src0_sel:BYTE_0 src1_sel:DWORD
	v_lshlrev_b64 v[8:9], v5, -1
	v_addc_co_u32_e32 v27, vcc, 0, v5, vcc
	v_and_b32_e32 v10, s11, v9
	v_lshlrev_b32_e32 v27, 2, v27
	v_or_b32_e32 v10, 0x80000000, v10
	ds_bpermute_b32 v28, v27, v6
	v_and_b32_e32 v11, s10, v8
	v_ffbl_b32_e32 v10, v10
	v_add_u32_e32 v10, 32, v10
	v_ffbl_b32_e32 v11, v11
	v_min_u32_e32 v10, v11, v10
	v_cmp_lt_u32_e32 vcc, v26, v10
	s_waitcnt lgkmcnt(0)
	v_cndmask_b32_e32 v11, 0, v28, vcc
	v_cmp_gt_u32_e32 vcc, 62, v26
	v_add_u32_e32 v6, v11, v6
	v_cndmask_b32_e64 v11, 0, 1, vcc
	v_lshlrev_b32_e32 v11, 1, v11
	v_add_lshl_u32 v28, v11, v5, 2
	ds_bpermute_b32 v11, v28, v6
	v_add_u32_e32 v29, 2, v26
	v_cmp_le_u32_e32 vcc, v29, v10
	v_add_u32_e32 v31, 4, v26
	v_add_u32_e32 v33, 8, v26
	s_waitcnt lgkmcnt(0)
	v_cndmask_b32_e32 v11, 0, v11, vcc
	v_cmp_gt_u32_e32 vcc, 60, v26
	v_add_u32_e32 v6, v6, v11
	v_cndmask_b32_e64 v11, 0, 1, vcc
	v_lshlrev_b32_e32 v11, 2, v11
	v_add_lshl_u32 v30, v11, v5, 2
	ds_bpermute_b32 v11, v30, v6
	v_cmp_le_u32_e32 vcc, v31, v10
	v_add_u32_e32 v36, 16, v26
	v_add_u32_e32 v38, 32, v26
	s_waitcnt lgkmcnt(0)
	v_cndmask_b32_e32 v11, 0, v11, vcc
	v_cmp_gt_u32_e32 vcc, 56, v26
	v_add_u32_e32 v6, v6, v11
	v_cndmask_b32_e64 v11, 0, 1, vcc
	v_lshlrev_b32_e32 v11, 3, v11
	v_add_lshl_u32 v32, v11, v5, 2
	ds_bpermute_b32 v11, v32, v6
	v_cmp_le_u32_e32 vcc, v33, v10
	s_waitcnt lgkmcnt(0)
	v_cndmask_b32_e32 v11, 0, v11, vcc
	v_cmp_gt_u32_e32 vcc, 48, v26
	v_add_u32_e32 v6, v6, v11
	v_cndmask_b32_e64 v11, 0, 1, vcc
	v_lshlrev_b32_e32 v11, 4, v11
	v_add_lshl_u32 v35, v11, v5, 2
	ds_bpermute_b32 v11, v35, v6
	v_cmp_le_u32_e32 vcc, v36, v10
	;; [unrolled: 9-line block ×3, first 2 shown]
	s_waitcnt lgkmcnt(0)
	v_cndmask_b32_e32 v5, 0, v5, vcc
	v_add_u32_e32 v6, v6, v5
	v_mov_b32_e32 v5, 0
	s_branch .LBB5368_38
.LBB5368_37:                            ;   in Loop: Header=BB5368_38 Depth=1
	s_or_b64 exec, exec, s[10:11]
	v_cmp_eq_u16_sdwa s[10:11], v7, v3 src0_sel:BYTE_0 src1_sel:DWORD
	v_and_b32_e32 v10, s11, v9
	v_or_b32_e32 v10, 0x80000000, v10
	ds_bpermute_b32 v39, v27, v6
	v_and_b32_e32 v11, s10, v8
	v_ffbl_b32_e32 v10, v10
	v_add_u32_e32 v10, 32, v10
	v_ffbl_b32_e32 v11, v11
	v_min_u32_e32 v10, v11, v10
	v_cmp_lt_u32_e32 vcc, v26, v10
	s_waitcnt lgkmcnt(0)
	v_cndmask_b32_e32 v11, 0, v39, vcc
	v_add_u32_e32 v6, v11, v6
	ds_bpermute_b32 v11, v28, v6
	v_cmp_le_u32_e32 vcc, v29, v10
	v_subrev_u32_e32 v4, 64, v4
	s_waitcnt lgkmcnt(0)
	v_cndmask_b32_e32 v11, 0, v11, vcc
	v_add_u32_e32 v6, v6, v11
	ds_bpermute_b32 v11, v30, v6
	v_cmp_le_u32_e32 vcc, v31, v10
	s_waitcnt lgkmcnt(0)
	v_cndmask_b32_e32 v11, 0, v11, vcc
	v_add_u32_e32 v6, v6, v11
	ds_bpermute_b32 v11, v32, v6
	v_cmp_le_u32_e32 vcc, v33, v10
	s_waitcnt lgkmcnt(0)
	v_cndmask_b32_e32 v11, 0, v11, vcc
	v_add_u32_e32 v6, v6, v11
	ds_bpermute_b32 v11, v35, v6
	v_cmp_le_u32_e32 vcc, v36, v10
	s_waitcnt lgkmcnt(0)
	v_cndmask_b32_e32 v11, 0, v11, vcc
	v_add_u32_e32 v6, v6, v11
	ds_bpermute_b32 v11, v37, v6
	v_cmp_le_u32_e32 vcc, v38, v10
	s_waitcnt lgkmcnt(0)
	v_cndmask_b32_e32 v10, 0, v11, vcc
	v_add3_u32 v6, v10, v34, v6
.LBB5368_38:                            ; =>This Loop Header: Depth=1
                                        ;     Child Loop BB5368_41 Depth 2
	v_cmp_ne_u16_sdwa s[10:11], v7, v3 src0_sel:BYTE_0 src1_sel:DWORD
	v_cndmask_b32_e64 v7, 0, 1, s[10:11]
	;;#ASMSTART
	;;#ASMEND
	v_cmp_ne_u32_e32 vcc, 0, v7
	s_cmp_lg_u64 vcc, exec
	v_mov_b32_e32 v34, v6
	s_cbranch_scc1 .LBB5368_43
; %bb.39:                               ;   in Loop: Header=BB5368_38 Depth=1
	v_lshlrev_b64 v[6:7], 3, v[4:5]
	v_mov_b32_e32 v11, s19
	v_add_co_u32_e32 v10, vcc, s18, v6
	v_addc_co_u32_e32 v11, vcc, v11, v7, vcc
	global_load_dwordx2 v[6:7], v[10:11], off glc
	s_waitcnt vmcnt(0)
	v_cmp_eq_u16_sdwa s[12:13], v7, v5 src0_sel:BYTE_0 src1_sel:DWORD
	s_and_saveexec_b64 s[10:11], s[12:13]
	s_cbranch_execz .LBB5368_37
; %bb.40:                               ;   in Loop: Header=BB5368_38 Depth=1
	s_mov_b64 s[12:13], 0
.LBB5368_41:                            ;   Parent Loop BB5368_38 Depth=1
                                        ; =>  This Inner Loop Header: Depth=2
	global_load_dwordx2 v[6:7], v[10:11], off glc
	s_waitcnt vmcnt(0)
	v_cmp_ne_u16_sdwa s[14:15], v7, v5 src0_sel:BYTE_0 src1_sel:DWORD
	s_or_b64 s[12:13], s[14:15], s[12:13]
	s_andn2_b64 exec, exec, s[12:13]
	s_cbranch_execnz .LBB5368_41
; %bb.42:                               ;   in Loop: Header=BB5368_38 Depth=1
	s_or_b64 exec, exec, s[12:13]
	s_branch .LBB5368_37
.LBB5368_43:                            ;   in Loop: Header=BB5368_38 Depth=1
                                        ; implicit-def: $vgpr6
                                        ; implicit-def: $vgpr7
	s_cbranch_execz .LBB5368_38
; %bb.44:
	s_and_saveexec_b64 s[10:11], s[2:3]
	s_cbranch_execz .LBB5368_46
; %bb.45:
	s_add_i32 s2, s6, 64
	s_mov_b32 s3, 0
	s_lshl_b64 s[2:3], s[2:3], 3
	s_add_u32 s2, s18, s2
	v_add_u32_e32 v2, v34, v2
	v_mov_b32_e32 v3, 2
	s_addc_u32 s3, s19, s3
	v_mov_b32_e32 v4, 0
	global_store_dwordx2 v4, v[2:3], s[2:3]
.LBB5368_46:
	s_or_b64 exec, exec, s[10:11]
	s_and_b64 exec, exec, s[0:1]
	s_cbranch_execz .LBB5368_48
; %bb.47:
	v_mov_b32_e32 v2, 0
	ds_write_b32 v2, v34
.LBB5368_48:
	s_or_b64 exec, exec, s[8:9]
	v_mov_b32_e32 v2, 0
	s_waitcnt lgkmcnt(0)
	s_barrier
	ds_read_b32 v2, v2
	s_waitcnt lgkmcnt(0)
	v_add_u32_e32 v2, v2, v25
	v_add_u32_e32 v3, v2, v16
	;; [unrolled: 1-line block ×10, first 2 shown]
	s_load_dwordx8 s[8:15], s[4:5], 0x40
	s_branch .LBB5368_59
.LBB5368_49:
                                        ; implicit-def: $vgpr2_vgpr3_vgpr4_vgpr5_vgpr6_vgpr7_vgpr8_vgpr9_vgpr10_vgpr11
	s_load_dwordx8 s[8:15], s[4:5], 0x40
	s_cbranch_execz .LBB5368_59
; %bb.50:
	s_load_dword s0, s[4:5], 0x28
	s_waitcnt lgkmcnt(0)
	s_cmp_eq_u64 s[12:13], 0
	v_mov_b32_e32 v25, s0
	s_cbranch_scc1 .LBB5368_52
; %bb.51:
	v_mov_b32_e32 v3, s22
	v_add_co_u32_e64 v2, vcc, -4, s21
	v_addc_co_u32_e32 v3, vcc, -1, v3, vcc
	v_mov_b32_e32 v4, 0
	flat_load_dword v5, v[2:3]
	global_load_dword v6, v4, s[8:9]
	s_waitcnt vmcnt(0) lgkmcnt(0)
	v_add_u32_e32 v25, v6, v5
.LBB5368_52:
	v_add3_u32 v2, v24, v12, v13
	v_add3_u32 v2, v2, v14, v15
	;; [unrolled: 1-line block ×3, first 2 shown]
	v_add_lshl_u32 v3, v23, v0, 2
	v_cmp_gt_u32_e32 vcc, 64, v0
	ds_write_b32 v3, v2
	s_waitcnt lgkmcnt(0)
	s_barrier
	s_and_saveexec_b64 s[0:1], vcc
	s_cbranch_execz .LBB5368_54
; %bb.53:
	v_lshlrev_b32_e32 v3, 1, v0
	v_lshrrev_b32_e32 v4, 4, v0
	v_add_lshl_u32 v3, v4, v3, 2
	ds_read2_b32 v[4:5], v3 offset1:1
	v_mbcnt_lo_u32_b32 v6, -1, 0
	v_mbcnt_hi_u32_b32 v6, -1, v6
	v_and_b32_e32 v7, 15, v6
	v_cmp_ne_u32_e32 vcc, 0, v7
	s_waitcnt lgkmcnt(0)
	v_add_u32_e32 v5, v5, v4
	; wave barrier
	s_nop 1
	v_mov_b32_dpp v8, v5 row_shr:1 row_mask:0xf bank_mask:0xf
	v_cndmask_b32_e32 v8, 0, v8, vcc
	v_add_u32_e32 v5, v8, v5
	v_cmp_lt_u32_e32 vcc, 1, v7
	s_nop 0
	v_mov_b32_dpp v8, v5 row_shr:2 row_mask:0xf bank_mask:0xf
	v_cndmask_b32_e32 v8, 0, v8, vcc
	v_add_u32_e32 v5, v5, v8
	v_cmp_lt_u32_e32 vcc, 3, v7
	;; [unrolled: 5-line block ×3, first 2 shown]
	s_nop 0
	v_mov_b32_dpp v8, v5 row_shr:8 row_mask:0xf bank_mask:0xf
	v_cndmask_b32_e32 v7, 0, v8, vcc
	v_add_u32_e32 v5, v5, v7
	v_bfe_i32 v8, v6, 4, 1
	v_cmp_lt_u32_e32 vcc, 31, v6
	v_mov_b32_dpp v7, v5 row_bcast:15 row_mask:0xf bank_mask:0xf
	v_and_b32_e32 v7, v8, v7
	v_add_u32_e32 v5, v5, v7
	v_and_b32_e32 v8, 64, v6
	s_nop 0
	v_mov_b32_dpp v7, v5 row_bcast:31 row_mask:0xf bank_mask:0xf
	v_cndmask_b32_e32 v7, 0, v7, vcc
	v_add_u32_e32 v5, v5, v7
	v_add_u32_e32 v7, -1, v6
	v_cmp_lt_i32_e32 vcc, v7, v8
	v_cndmask_b32_e32 v6, v7, v6, vcc
	v_lshlrev_b32_e32 v6, 2, v6
	ds_bpermute_b32 v5, v6, v5
	v_cmp_eq_u32_e32 vcc, 0, v0
	s_waitcnt lgkmcnt(0)
	v_add_u32_e32 v4, v5, v4
	v_cndmask_b32_e32 v2, v4, v2, vcc
	ds_write_b32 v3, v2
	; wave barrier
	ds_read_b32 v4, v3 offset:4
	s_waitcnt lgkmcnt(0)
	v_add_u32_e32 v2, v4, v2
	ds_write_b32 v3, v2 offset:4
.LBB5368_54:
	s_or_b64 exec, exec, s[0:1]
	v_cmp_eq_u32_e32 vcc, 0, v0
	v_cmp_ne_u32_e64 s[0:1], 0, v0
	v_mov_b32_e32 v2, v25
	s_waitcnt lgkmcnt(0)
	s_barrier
	s_and_saveexec_b64 s[2:3], s[0:1]
	s_cbranch_execz .LBB5368_56
; %bb.55:
	v_add_u32_e32 v2, -1, v0
	v_lshrrev_b32_e32 v3, 5, v2
	v_add_lshl_u32 v2, v3, v2, 2
	ds_read_b32 v2, v2
	s_waitcnt lgkmcnt(0)
	v_add_u32_e32 v2, v2, v25
.LBB5368_56:
	s_or_b64 exec, exec, s[2:3]
	v_add_u32_e32 v3, v2, v16
	v_add_u32_e32 v4, v3, v17
	;; [unrolled: 1-line block ×9, first 2 shown]
	s_and_saveexec_b64 s[0:1], vcc
	s_cbranch_execz .LBB5368_58
; %bb.57:
	v_mov_b32_e32 v14, 0
	ds_read_b32 v12, v14 offset:520
	v_mov_b32_e32 v13, 2
	s_waitcnt lgkmcnt(0)
	v_add_u32_e32 v12, v12, v25
	global_store_dwordx2 v14, v[12:13], s[18:19] offset:512
.LBB5368_58:
	s_or_b64 exec, exec, s[0:1]
.LBB5368_59:
	s_mov_b64 s[0:1], -1
	s_and_b64 vcc, exec, s[16:17]
	s_waitcnt lgkmcnt(0)
	s_barrier
	ds_write2_b64 v1, v[2:3], v[4:5] offset1:1
	ds_write2_b64 v1, v[6:7], v[8:9] offset0:2 offset1:3
	ds_write_b64 v1, v[10:11] offset:32
	s_waitcnt lgkmcnt(0)
	s_cbranch_vccz .LBB5368_61
; %bb.60:
	s_barrier
	s_mov_b64 s[0:1], 0
.LBB5368_61:
	s_andn2_b64 vcc, exec, s[0:1]
	s_cbranch_vccnz .LBB5368_97
; %bb.62:
	v_cmp_lt_u64_e64 s[0:1], s[14:15], 2
	s_and_b64 vcc, exec, s[0:1]
	s_barrier
	s_cbranch_vccnz .LBB5368_97
; %bb.63:
	s_add_u32 s0, s7, -1
	s_addc_u32 s1, s20, -1
	s_add_u32 s2, 0, 0x99986000
	s_addc_u32 s3, 0, 0x59
	s_add_i32 s3, s3, 0x19999940
	s_mul_hi_u32 s7, s2, -10
	s_sub_i32 s7, s7, s2
	s_mul_i32 s8, s3, -10
	s_mul_i32 s4, s2, -10
	s_add_i32 s7, s7, s8
	s_mul_hi_u32 s5, s3, s4
	s_mul_i32 s6, s3, s4
	s_mul_i32 s9, s2, s7
	s_mul_hi_u32 s4, s2, s4
	s_mul_hi_u32 s8, s2, s7
	s_add_u32 s4, s4, s9
	s_addc_u32 s8, 0, s8
	s_add_u32 s4, s4, s6
	s_mul_hi_u32 s9, s3, s7
	s_addc_u32 s4, s8, s5
	s_addc_u32 s5, s9, 0
	s_mul_i32 s6, s3, s7
	s_add_u32 s4, s4, s6
	v_mov_b32_e32 v2, s4
	s_addc_u32 s5, 0, s5
	v_add_co_u32_e32 v2, vcc, s2, v2
	s_cmp_lg_u64 vcc, 0
	s_addc_u32 s2, s3, s5
	v_readfirstlane_b32 s5, v2
	s_mul_i32 s4, s0, s2
	s_mul_hi_u32 s6, s0, s5
	s_mul_hi_u32 s3, s0, s2
	s_add_u32 s4, s6, s4
	s_addc_u32 s3, 0, s3
	s_mul_hi_u32 s7, s1, s5
	s_mul_i32 s5, s1, s5
	s_add_u32 s4, s4, s5
	s_mul_hi_u32 s6, s1, s2
	s_addc_u32 s3, s3, s7
	s_addc_u32 s4, s6, 0
	s_mul_i32 s2, s1, s2
	s_add_u32 s2, s3, s2
	s_addc_u32 s3, 0, s4
	s_add_u32 s4, s2, 1
	s_addc_u32 s5, s3, 0
	s_add_u32 s6, s2, 2
	s_mul_i32 s8, s3, 10
	s_mul_hi_u32 s9, s2, 10
	s_addc_u32 s7, s3, 0
	s_add_i32 s9, s9, s8
	s_mul_i32 s8, s2, 10
	v_mov_b32_e32 v2, s8
	v_sub_co_u32_e32 v2, vcc, s0, v2
	s_cmp_lg_u64 vcc, 0
	s_subb_u32 s8, s1, s9
	v_subrev_co_u32_e32 v3, vcc, 10, v2
	s_cmp_lg_u64 vcc, 0
	s_subb_u32 s9, s8, 0
	v_readfirstlane_b32 s12, v3
	s_cmp_gt_u32 s12, 9
	s_cselect_b32 s12, -1, 0
	s_cmp_eq_u32 s9, 0
	s_cselect_b32 s9, s12, -1
	s_cmp_lg_u32 s9, 0
	s_cselect_b32 s4, s6, s4
	v_readfirstlane_b32 s6, v2
	s_cselect_b32 s5, s7, s5
	s_cmp_gt_u32 s6, 9
	s_cselect_b32 s6, -1, 0
	s_cmp_eq_u32 s8, 0
	s_cselect_b32 s6, s6, -1
	s_cmp_lg_u32 s6, 0
	v_mov_b32_e32 v1, 0
	s_cselect_b32 s3, s5, s3
	s_cselect_b32 s2, s4, s2
	v_cmp_eq_u64_e32 vcc, s[2:3], v[0:1]
	s_and_saveexec_b64 s[2:3], vcc
	s_cbranch_execz .LBB5368_97
; %bb.64:
	v_lshlrev_b32_e32 v2, 2, v0
	v_mul_hi_u32_u24_e32 v1, 10, v0
	v_mov_b32_e32 v3, s1
	v_sub_co_u32_e32 v0, vcc, s0, v22
	v_subb_co_u32_e32 v1, vcc, v3, v1, vcc
	v_cmp_lt_i64_e32 vcc, 4, v[0:1]
	s_and_saveexec_b64 s[0:1], vcc
	s_xor_b64 s[0:1], exec, s[0:1]
	s_cbranch_execz .LBB5368_82
; %bb.65:
	v_cmp_lt_i64_e32 vcc, 6, v[0:1]
	s_and_saveexec_b64 s[2:3], vcc
	s_xor_b64 s[2:3], exec, s[2:3]
	s_cbranch_execz .LBB5368_75
; %bb.66:
	;; [unrolled: 5-line block ×4, first 2 shown]
	ds_read_b32 v0, v2 offset:4608
	v_mov_b32_e32 v1, 0
                                        ; implicit-def: $vgpr2
	s_waitcnt lgkmcnt(0)
	global_store_dword v1, v0, s[10:11]
.LBB5368_69:
	s_andn2_saveexec_b64 s[6:7], s[6:7]
	s_cbranch_execz .LBB5368_71
; %bb.70:
	ds_read_b32 v0, v2 offset:4096
	v_mov_b32_e32 v1, 0
	s_waitcnt lgkmcnt(0)
	global_store_dword v1, v0, s[10:11]
.LBB5368_71:
	s_or_b64 exec, exec, s[6:7]
                                        ; implicit-def: $vgpr2
.LBB5368_72:
	s_andn2_saveexec_b64 s[4:5], s[4:5]
	s_cbranch_execz .LBB5368_74
; %bb.73:
	ds_read_b32 v0, v2 offset:3584
	v_mov_b32_e32 v1, 0
	s_waitcnt lgkmcnt(0)
	global_store_dword v1, v0, s[10:11]
.LBB5368_74:
	s_or_b64 exec, exec, s[4:5]
                                        ; implicit-def: $vgpr2
                                        ; implicit-def: $vgpr0_vgpr1
.LBB5368_75:
	s_andn2_saveexec_b64 s[2:3], s[2:3]
	s_cbranch_execz .LBB5368_81
; %bb.76:
	v_cmp_lt_i64_e32 vcc, 5, v[0:1]
	s_and_saveexec_b64 s[4:5], vcc
	s_xor_b64 s[4:5], exec, s[4:5]
	s_cbranch_execz .LBB5368_78
; %bb.77:
	ds_read_b32 v0, v2 offset:3072
	v_mov_b32_e32 v1, 0
                                        ; implicit-def: $vgpr2
	s_waitcnt lgkmcnt(0)
	global_store_dword v1, v0, s[10:11]
.LBB5368_78:
	s_andn2_saveexec_b64 s[4:5], s[4:5]
	s_cbranch_execz .LBB5368_80
; %bb.79:
	ds_read_b32 v0, v2 offset:2560
	v_mov_b32_e32 v1, 0
	s_waitcnt lgkmcnt(0)
	global_store_dword v1, v0, s[10:11]
.LBB5368_80:
	s_or_b64 exec, exec, s[4:5]
.LBB5368_81:
	s_or_b64 exec, exec, s[2:3]
                                        ; implicit-def: $vgpr0_vgpr1
                                        ; implicit-def: $vgpr2
.LBB5368_82:
	s_andn2_saveexec_b64 s[0:1], s[0:1]
	s_cbranch_execz .LBB5368_97
; %bb.83:
	v_cmp_lt_i64_e32 vcc, 2, v[0:1]
	s_and_saveexec_b64 s[0:1], vcc
	s_xor_b64 s[0:1], exec, s[0:1]
	s_cbranch_execz .LBB5368_89
; %bb.84:
	v_cmp_lt_i64_e32 vcc, 3, v[0:1]
	s_and_saveexec_b64 s[2:3], vcc
	s_xor_b64 s[2:3], exec, s[2:3]
	s_cbranch_execz .LBB5368_86
; %bb.85:
	ds_read_b32 v0, v2 offset:2048
	v_mov_b32_e32 v1, 0
                                        ; implicit-def: $vgpr2
	s_waitcnt lgkmcnt(0)
	global_store_dword v1, v0, s[10:11]
.LBB5368_86:
	s_andn2_saveexec_b64 s[2:3], s[2:3]
	s_cbranch_execz .LBB5368_88
; %bb.87:
	ds_read_b32 v0, v2 offset:1536
	v_mov_b32_e32 v1, 0
	s_waitcnt lgkmcnt(0)
	global_store_dword v1, v0, s[10:11]
.LBB5368_88:
	s_or_b64 exec, exec, s[2:3]
                                        ; implicit-def: $vgpr0_vgpr1
                                        ; implicit-def: $vgpr2
.LBB5368_89:
	s_andn2_saveexec_b64 s[0:1], s[0:1]
	s_cbranch_execz .LBB5368_97
; %bb.90:
	v_cmp_lt_i64_e32 vcc, 1, v[0:1]
	s_and_saveexec_b64 s[0:1], vcc
	s_xor_b64 s[0:1], exec, s[0:1]
	s_cbranch_execz .LBB5368_92
; %bb.91:
	ds_read_b32 v0, v2 offset:1024
	v_mov_b32_e32 v1, 0
                                        ; implicit-def: $vgpr2
	s_waitcnt lgkmcnt(0)
	global_store_dword v1, v0, s[10:11]
                                        ; implicit-def: $vgpr0_vgpr1
.LBB5368_92:
	s_andn2_saveexec_b64 s[0:1], s[0:1]
	s_cbranch_execz .LBB5368_97
; %bb.93:
	v_cmp_ne_u64_e32 vcc, 1, v[0:1]
	s_and_saveexec_b64 s[0:1], vcc
	s_xor_b64 s[0:1], exec, s[0:1]
	s_cbranch_execz .LBB5368_95
; %bb.94:
	ds_read_b32 v0, v2
	v_mov_b32_e32 v1, 0
                                        ; implicit-def: $vgpr2
	s_waitcnt lgkmcnt(0)
	global_store_dword v1, v0, s[10:11]
.LBB5368_95:
	s_andn2_saveexec_b64 s[0:1], s[0:1]
	s_cbranch_execz .LBB5368_97
; %bb.96:
	ds_read_b32 v0, v2 offset:512
	v_mov_b32_e32 v1, 0
	s_waitcnt lgkmcnt(0)
	global_store_dword v1, v0, s[10:11]
.LBB5368_97:
	s_endpgm
	.section	.rodata,"a",@progbits
	.p2align	6, 0x0
	.amdhsa_kernel _ZN7rocprim17ROCPRIM_400000_NS6detail17trampoline_kernelINS0_14default_configENS1_20scan_config_selectorIjEEZZNS1_9scan_implILNS1_25lookback_scan_determinismE0ELb1ELb1ES3_N6thrust23THRUST_200600_302600_NS6detail15normal_iteratorINS9_10device_ptrIjEEEENS9_16discard_iteratorINS9_11use_defaultEEEjNS9_4plusIvEEjEEDaPvRmT3_T4_T5_mT6_P12ihipStream_tbENKUlT_T0_E_clISt17integral_constantIbLb0EESX_EEDaSS_ST_EUlSS_E_NS1_11comp_targetILNS1_3genE4ELNS1_11target_archE910ELNS1_3gpuE8ELNS1_3repE0EEENS1_30default_config_static_selectorELNS0_4arch9wavefront6targetE1EEEvT1_
		.amdhsa_group_segment_fixed_size 5120
		.amdhsa_private_segment_fixed_size 0
		.amdhsa_kernarg_size 104
		.amdhsa_user_sgpr_count 6
		.amdhsa_user_sgpr_private_segment_buffer 1
		.amdhsa_user_sgpr_dispatch_ptr 0
		.amdhsa_user_sgpr_queue_ptr 0
		.amdhsa_user_sgpr_kernarg_segment_ptr 1
		.amdhsa_user_sgpr_dispatch_id 0
		.amdhsa_user_sgpr_flat_scratch_init 0
		.amdhsa_user_sgpr_kernarg_preload_length 0
		.amdhsa_user_sgpr_kernarg_preload_offset 0
		.amdhsa_user_sgpr_private_segment_size 0
		.amdhsa_uses_dynamic_stack 0
		.amdhsa_system_sgpr_private_segment_wavefront_offset 0
		.amdhsa_system_sgpr_workgroup_id_x 1
		.amdhsa_system_sgpr_workgroup_id_y 0
		.amdhsa_system_sgpr_workgroup_id_z 0
		.amdhsa_system_sgpr_workgroup_info 0
		.amdhsa_system_vgpr_workitem_id 0
		.amdhsa_next_free_vgpr 40
		.amdhsa_next_free_sgpr 23
		.amdhsa_accum_offset 40
		.amdhsa_reserve_vcc 1
		.amdhsa_reserve_flat_scratch 0
		.amdhsa_float_round_mode_32 0
		.amdhsa_float_round_mode_16_64 0
		.amdhsa_float_denorm_mode_32 3
		.amdhsa_float_denorm_mode_16_64 3
		.amdhsa_dx10_clamp 1
		.amdhsa_ieee_mode 1
		.amdhsa_fp16_overflow 0
		.amdhsa_tg_split 0
		.amdhsa_exception_fp_ieee_invalid_op 0
		.amdhsa_exception_fp_denorm_src 0
		.amdhsa_exception_fp_ieee_div_zero 0
		.amdhsa_exception_fp_ieee_overflow 0
		.amdhsa_exception_fp_ieee_underflow 0
		.amdhsa_exception_fp_ieee_inexact 0
		.amdhsa_exception_int_div_zero 0
	.end_amdhsa_kernel
	.section	.text._ZN7rocprim17ROCPRIM_400000_NS6detail17trampoline_kernelINS0_14default_configENS1_20scan_config_selectorIjEEZZNS1_9scan_implILNS1_25lookback_scan_determinismE0ELb1ELb1ES3_N6thrust23THRUST_200600_302600_NS6detail15normal_iteratorINS9_10device_ptrIjEEEENS9_16discard_iteratorINS9_11use_defaultEEEjNS9_4plusIvEEjEEDaPvRmT3_T4_T5_mT6_P12ihipStream_tbENKUlT_T0_E_clISt17integral_constantIbLb0EESX_EEDaSS_ST_EUlSS_E_NS1_11comp_targetILNS1_3genE4ELNS1_11target_archE910ELNS1_3gpuE8ELNS1_3repE0EEENS1_30default_config_static_selectorELNS0_4arch9wavefront6targetE1EEEvT1_,"axG",@progbits,_ZN7rocprim17ROCPRIM_400000_NS6detail17trampoline_kernelINS0_14default_configENS1_20scan_config_selectorIjEEZZNS1_9scan_implILNS1_25lookback_scan_determinismE0ELb1ELb1ES3_N6thrust23THRUST_200600_302600_NS6detail15normal_iteratorINS9_10device_ptrIjEEEENS9_16discard_iteratorINS9_11use_defaultEEEjNS9_4plusIvEEjEEDaPvRmT3_T4_T5_mT6_P12ihipStream_tbENKUlT_T0_E_clISt17integral_constantIbLb0EESX_EEDaSS_ST_EUlSS_E_NS1_11comp_targetILNS1_3genE4ELNS1_11target_archE910ELNS1_3gpuE8ELNS1_3repE0EEENS1_30default_config_static_selectorELNS0_4arch9wavefront6targetE1EEEvT1_,comdat
.Lfunc_end5368:
	.size	_ZN7rocprim17ROCPRIM_400000_NS6detail17trampoline_kernelINS0_14default_configENS1_20scan_config_selectorIjEEZZNS1_9scan_implILNS1_25lookback_scan_determinismE0ELb1ELb1ES3_N6thrust23THRUST_200600_302600_NS6detail15normal_iteratorINS9_10device_ptrIjEEEENS9_16discard_iteratorINS9_11use_defaultEEEjNS9_4plusIvEEjEEDaPvRmT3_T4_T5_mT6_P12ihipStream_tbENKUlT_T0_E_clISt17integral_constantIbLb0EESX_EEDaSS_ST_EUlSS_E_NS1_11comp_targetILNS1_3genE4ELNS1_11target_archE910ELNS1_3gpuE8ELNS1_3repE0EEENS1_30default_config_static_selectorELNS0_4arch9wavefront6targetE1EEEvT1_, .Lfunc_end5368-_ZN7rocprim17ROCPRIM_400000_NS6detail17trampoline_kernelINS0_14default_configENS1_20scan_config_selectorIjEEZZNS1_9scan_implILNS1_25lookback_scan_determinismE0ELb1ELb1ES3_N6thrust23THRUST_200600_302600_NS6detail15normal_iteratorINS9_10device_ptrIjEEEENS9_16discard_iteratorINS9_11use_defaultEEEjNS9_4plusIvEEjEEDaPvRmT3_T4_T5_mT6_P12ihipStream_tbENKUlT_T0_E_clISt17integral_constantIbLb0EESX_EEDaSS_ST_EUlSS_E_NS1_11comp_targetILNS1_3genE4ELNS1_11target_archE910ELNS1_3gpuE8ELNS1_3repE0EEENS1_30default_config_static_selectorELNS0_4arch9wavefront6targetE1EEEvT1_
                                        ; -- End function
	.section	.AMDGPU.csdata,"",@progbits
; Kernel info:
; codeLenInByte = 3904
; NumSgprs: 27
; NumVgprs: 40
; NumAgprs: 0
; TotalNumVgprs: 40
; ScratchSize: 0
; MemoryBound: 0
; FloatMode: 240
; IeeeMode: 1
; LDSByteSize: 5120 bytes/workgroup (compile time only)
; SGPRBlocks: 3
; VGPRBlocks: 4
; NumSGPRsForWavesPerEU: 27
; NumVGPRsForWavesPerEU: 40
; AccumOffset: 40
; Occupancy: 6
; WaveLimiterHint : 1
; COMPUTE_PGM_RSRC2:SCRATCH_EN: 0
; COMPUTE_PGM_RSRC2:USER_SGPR: 6
; COMPUTE_PGM_RSRC2:TRAP_HANDLER: 0
; COMPUTE_PGM_RSRC2:TGID_X_EN: 1
; COMPUTE_PGM_RSRC2:TGID_Y_EN: 0
; COMPUTE_PGM_RSRC2:TGID_Z_EN: 0
; COMPUTE_PGM_RSRC2:TIDIG_COMP_CNT: 0
; COMPUTE_PGM_RSRC3_GFX90A:ACCUM_OFFSET: 9
; COMPUTE_PGM_RSRC3_GFX90A:TG_SPLIT: 0
	.section	.text._ZN7rocprim17ROCPRIM_400000_NS6detail17trampoline_kernelINS0_14default_configENS1_20scan_config_selectorIjEEZZNS1_9scan_implILNS1_25lookback_scan_determinismE0ELb1ELb1ES3_N6thrust23THRUST_200600_302600_NS6detail15normal_iteratorINS9_10device_ptrIjEEEENS9_16discard_iteratorINS9_11use_defaultEEEjNS9_4plusIvEEjEEDaPvRmT3_T4_T5_mT6_P12ihipStream_tbENKUlT_T0_E_clISt17integral_constantIbLb0EESX_EEDaSS_ST_EUlSS_E_NS1_11comp_targetILNS1_3genE3ELNS1_11target_archE908ELNS1_3gpuE7ELNS1_3repE0EEENS1_30default_config_static_selectorELNS0_4arch9wavefront6targetE1EEEvT1_,"axG",@progbits,_ZN7rocprim17ROCPRIM_400000_NS6detail17trampoline_kernelINS0_14default_configENS1_20scan_config_selectorIjEEZZNS1_9scan_implILNS1_25lookback_scan_determinismE0ELb1ELb1ES3_N6thrust23THRUST_200600_302600_NS6detail15normal_iteratorINS9_10device_ptrIjEEEENS9_16discard_iteratorINS9_11use_defaultEEEjNS9_4plusIvEEjEEDaPvRmT3_T4_T5_mT6_P12ihipStream_tbENKUlT_T0_E_clISt17integral_constantIbLb0EESX_EEDaSS_ST_EUlSS_E_NS1_11comp_targetILNS1_3genE3ELNS1_11target_archE908ELNS1_3gpuE7ELNS1_3repE0EEENS1_30default_config_static_selectorELNS0_4arch9wavefront6targetE1EEEvT1_,comdat
	.protected	_ZN7rocprim17ROCPRIM_400000_NS6detail17trampoline_kernelINS0_14default_configENS1_20scan_config_selectorIjEEZZNS1_9scan_implILNS1_25lookback_scan_determinismE0ELb1ELb1ES3_N6thrust23THRUST_200600_302600_NS6detail15normal_iteratorINS9_10device_ptrIjEEEENS9_16discard_iteratorINS9_11use_defaultEEEjNS9_4plusIvEEjEEDaPvRmT3_T4_T5_mT6_P12ihipStream_tbENKUlT_T0_E_clISt17integral_constantIbLb0EESX_EEDaSS_ST_EUlSS_E_NS1_11comp_targetILNS1_3genE3ELNS1_11target_archE908ELNS1_3gpuE7ELNS1_3repE0EEENS1_30default_config_static_selectorELNS0_4arch9wavefront6targetE1EEEvT1_ ; -- Begin function _ZN7rocprim17ROCPRIM_400000_NS6detail17trampoline_kernelINS0_14default_configENS1_20scan_config_selectorIjEEZZNS1_9scan_implILNS1_25lookback_scan_determinismE0ELb1ELb1ES3_N6thrust23THRUST_200600_302600_NS6detail15normal_iteratorINS9_10device_ptrIjEEEENS9_16discard_iteratorINS9_11use_defaultEEEjNS9_4plusIvEEjEEDaPvRmT3_T4_T5_mT6_P12ihipStream_tbENKUlT_T0_E_clISt17integral_constantIbLb0EESX_EEDaSS_ST_EUlSS_E_NS1_11comp_targetILNS1_3genE3ELNS1_11target_archE908ELNS1_3gpuE7ELNS1_3repE0EEENS1_30default_config_static_selectorELNS0_4arch9wavefront6targetE1EEEvT1_
	.globl	_ZN7rocprim17ROCPRIM_400000_NS6detail17trampoline_kernelINS0_14default_configENS1_20scan_config_selectorIjEEZZNS1_9scan_implILNS1_25lookback_scan_determinismE0ELb1ELb1ES3_N6thrust23THRUST_200600_302600_NS6detail15normal_iteratorINS9_10device_ptrIjEEEENS9_16discard_iteratorINS9_11use_defaultEEEjNS9_4plusIvEEjEEDaPvRmT3_T4_T5_mT6_P12ihipStream_tbENKUlT_T0_E_clISt17integral_constantIbLb0EESX_EEDaSS_ST_EUlSS_E_NS1_11comp_targetILNS1_3genE3ELNS1_11target_archE908ELNS1_3gpuE7ELNS1_3repE0EEENS1_30default_config_static_selectorELNS0_4arch9wavefront6targetE1EEEvT1_
	.p2align	8
	.type	_ZN7rocprim17ROCPRIM_400000_NS6detail17trampoline_kernelINS0_14default_configENS1_20scan_config_selectorIjEEZZNS1_9scan_implILNS1_25lookback_scan_determinismE0ELb1ELb1ES3_N6thrust23THRUST_200600_302600_NS6detail15normal_iteratorINS9_10device_ptrIjEEEENS9_16discard_iteratorINS9_11use_defaultEEEjNS9_4plusIvEEjEEDaPvRmT3_T4_T5_mT6_P12ihipStream_tbENKUlT_T0_E_clISt17integral_constantIbLb0EESX_EEDaSS_ST_EUlSS_E_NS1_11comp_targetILNS1_3genE3ELNS1_11target_archE908ELNS1_3gpuE7ELNS1_3repE0EEENS1_30default_config_static_selectorELNS0_4arch9wavefront6targetE1EEEvT1_,@function
_ZN7rocprim17ROCPRIM_400000_NS6detail17trampoline_kernelINS0_14default_configENS1_20scan_config_selectorIjEEZZNS1_9scan_implILNS1_25lookback_scan_determinismE0ELb1ELb1ES3_N6thrust23THRUST_200600_302600_NS6detail15normal_iteratorINS9_10device_ptrIjEEEENS9_16discard_iteratorINS9_11use_defaultEEEjNS9_4plusIvEEjEEDaPvRmT3_T4_T5_mT6_P12ihipStream_tbENKUlT_T0_E_clISt17integral_constantIbLb0EESX_EEDaSS_ST_EUlSS_E_NS1_11comp_targetILNS1_3genE3ELNS1_11target_archE908ELNS1_3gpuE7ELNS1_3repE0EEENS1_30default_config_static_selectorELNS0_4arch9wavefront6targetE1EEEvT1_: ; @_ZN7rocprim17ROCPRIM_400000_NS6detail17trampoline_kernelINS0_14default_configENS1_20scan_config_selectorIjEEZZNS1_9scan_implILNS1_25lookback_scan_determinismE0ELb1ELb1ES3_N6thrust23THRUST_200600_302600_NS6detail15normal_iteratorINS9_10device_ptrIjEEEENS9_16discard_iteratorINS9_11use_defaultEEEjNS9_4plusIvEEjEEDaPvRmT3_T4_T5_mT6_P12ihipStream_tbENKUlT_T0_E_clISt17integral_constantIbLb0EESX_EEDaSS_ST_EUlSS_E_NS1_11comp_targetILNS1_3genE3ELNS1_11target_archE908ELNS1_3gpuE7ELNS1_3repE0EEENS1_30default_config_static_selectorELNS0_4arch9wavefront6targetE1EEEvT1_
; %bb.0:
	.section	.rodata,"a",@progbits
	.p2align	6, 0x0
	.amdhsa_kernel _ZN7rocprim17ROCPRIM_400000_NS6detail17trampoline_kernelINS0_14default_configENS1_20scan_config_selectorIjEEZZNS1_9scan_implILNS1_25lookback_scan_determinismE0ELb1ELb1ES3_N6thrust23THRUST_200600_302600_NS6detail15normal_iteratorINS9_10device_ptrIjEEEENS9_16discard_iteratorINS9_11use_defaultEEEjNS9_4plusIvEEjEEDaPvRmT3_T4_T5_mT6_P12ihipStream_tbENKUlT_T0_E_clISt17integral_constantIbLb0EESX_EEDaSS_ST_EUlSS_E_NS1_11comp_targetILNS1_3genE3ELNS1_11target_archE908ELNS1_3gpuE7ELNS1_3repE0EEENS1_30default_config_static_selectorELNS0_4arch9wavefront6targetE1EEEvT1_
		.amdhsa_group_segment_fixed_size 0
		.amdhsa_private_segment_fixed_size 0
		.amdhsa_kernarg_size 104
		.amdhsa_user_sgpr_count 6
		.amdhsa_user_sgpr_private_segment_buffer 1
		.amdhsa_user_sgpr_dispatch_ptr 0
		.amdhsa_user_sgpr_queue_ptr 0
		.amdhsa_user_sgpr_kernarg_segment_ptr 1
		.amdhsa_user_sgpr_dispatch_id 0
		.amdhsa_user_sgpr_flat_scratch_init 0
		.amdhsa_user_sgpr_kernarg_preload_length 0
		.amdhsa_user_sgpr_kernarg_preload_offset 0
		.amdhsa_user_sgpr_private_segment_size 0
		.amdhsa_uses_dynamic_stack 0
		.amdhsa_system_sgpr_private_segment_wavefront_offset 0
		.amdhsa_system_sgpr_workgroup_id_x 1
		.amdhsa_system_sgpr_workgroup_id_y 0
		.amdhsa_system_sgpr_workgroup_id_z 0
		.amdhsa_system_sgpr_workgroup_info 0
		.amdhsa_system_vgpr_workitem_id 0
		.amdhsa_next_free_vgpr 1
		.amdhsa_next_free_sgpr 0
		.amdhsa_accum_offset 4
		.amdhsa_reserve_vcc 0
		.amdhsa_reserve_flat_scratch 0
		.amdhsa_float_round_mode_32 0
		.amdhsa_float_round_mode_16_64 0
		.amdhsa_float_denorm_mode_32 3
		.amdhsa_float_denorm_mode_16_64 3
		.amdhsa_dx10_clamp 1
		.amdhsa_ieee_mode 1
		.amdhsa_fp16_overflow 0
		.amdhsa_tg_split 0
		.amdhsa_exception_fp_ieee_invalid_op 0
		.amdhsa_exception_fp_denorm_src 0
		.amdhsa_exception_fp_ieee_div_zero 0
		.amdhsa_exception_fp_ieee_overflow 0
		.amdhsa_exception_fp_ieee_underflow 0
		.amdhsa_exception_fp_ieee_inexact 0
		.amdhsa_exception_int_div_zero 0
	.end_amdhsa_kernel
	.section	.text._ZN7rocprim17ROCPRIM_400000_NS6detail17trampoline_kernelINS0_14default_configENS1_20scan_config_selectorIjEEZZNS1_9scan_implILNS1_25lookback_scan_determinismE0ELb1ELb1ES3_N6thrust23THRUST_200600_302600_NS6detail15normal_iteratorINS9_10device_ptrIjEEEENS9_16discard_iteratorINS9_11use_defaultEEEjNS9_4plusIvEEjEEDaPvRmT3_T4_T5_mT6_P12ihipStream_tbENKUlT_T0_E_clISt17integral_constantIbLb0EESX_EEDaSS_ST_EUlSS_E_NS1_11comp_targetILNS1_3genE3ELNS1_11target_archE908ELNS1_3gpuE7ELNS1_3repE0EEENS1_30default_config_static_selectorELNS0_4arch9wavefront6targetE1EEEvT1_,"axG",@progbits,_ZN7rocprim17ROCPRIM_400000_NS6detail17trampoline_kernelINS0_14default_configENS1_20scan_config_selectorIjEEZZNS1_9scan_implILNS1_25lookback_scan_determinismE0ELb1ELb1ES3_N6thrust23THRUST_200600_302600_NS6detail15normal_iteratorINS9_10device_ptrIjEEEENS9_16discard_iteratorINS9_11use_defaultEEEjNS9_4plusIvEEjEEDaPvRmT3_T4_T5_mT6_P12ihipStream_tbENKUlT_T0_E_clISt17integral_constantIbLb0EESX_EEDaSS_ST_EUlSS_E_NS1_11comp_targetILNS1_3genE3ELNS1_11target_archE908ELNS1_3gpuE7ELNS1_3repE0EEENS1_30default_config_static_selectorELNS0_4arch9wavefront6targetE1EEEvT1_,comdat
.Lfunc_end5369:
	.size	_ZN7rocprim17ROCPRIM_400000_NS6detail17trampoline_kernelINS0_14default_configENS1_20scan_config_selectorIjEEZZNS1_9scan_implILNS1_25lookback_scan_determinismE0ELb1ELb1ES3_N6thrust23THRUST_200600_302600_NS6detail15normal_iteratorINS9_10device_ptrIjEEEENS9_16discard_iteratorINS9_11use_defaultEEEjNS9_4plusIvEEjEEDaPvRmT3_T4_T5_mT6_P12ihipStream_tbENKUlT_T0_E_clISt17integral_constantIbLb0EESX_EEDaSS_ST_EUlSS_E_NS1_11comp_targetILNS1_3genE3ELNS1_11target_archE908ELNS1_3gpuE7ELNS1_3repE0EEENS1_30default_config_static_selectorELNS0_4arch9wavefront6targetE1EEEvT1_, .Lfunc_end5369-_ZN7rocprim17ROCPRIM_400000_NS6detail17trampoline_kernelINS0_14default_configENS1_20scan_config_selectorIjEEZZNS1_9scan_implILNS1_25lookback_scan_determinismE0ELb1ELb1ES3_N6thrust23THRUST_200600_302600_NS6detail15normal_iteratorINS9_10device_ptrIjEEEENS9_16discard_iteratorINS9_11use_defaultEEEjNS9_4plusIvEEjEEDaPvRmT3_T4_T5_mT6_P12ihipStream_tbENKUlT_T0_E_clISt17integral_constantIbLb0EESX_EEDaSS_ST_EUlSS_E_NS1_11comp_targetILNS1_3genE3ELNS1_11target_archE908ELNS1_3gpuE7ELNS1_3repE0EEENS1_30default_config_static_selectorELNS0_4arch9wavefront6targetE1EEEvT1_
                                        ; -- End function
	.section	.AMDGPU.csdata,"",@progbits
; Kernel info:
; codeLenInByte = 0
; NumSgprs: 4
; NumVgprs: 0
; NumAgprs: 0
; TotalNumVgprs: 0
; ScratchSize: 0
; MemoryBound: 0
; FloatMode: 240
; IeeeMode: 1
; LDSByteSize: 0 bytes/workgroup (compile time only)
; SGPRBlocks: 0
; VGPRBlocks: 0
; NumSGPRsForWavesPerEU: 4
; NumVGPRsForWavesPerEU: 1
; AccumOffset: 4
; Occupancy: 8
; WaveLimiterHint : 0
; COMPUTE_PGM_RSRC2:SCRATCH_EN: 0
; COMPUTE_PGM_RSRC2:USER_SGPR: 6
; COMPUTE_PGM_RSRC2:TRAP_HANDLER: 0
; COMPUTE_PGM_RSRC2:TGID_X_EN: 1
; COMPUTE_PGM_RSRC2:TGID_Y_EN: 0
; COMPUTE_PGM_RSRC2:TGID_Z_EN: 0
; COMPUTE_PGM_RSRC2:TIDIG_COMP_CNT: 0
; COMPUTE_PGM_RSRC3_GFX90A:ACCUM_OFFSET: 0
; COMPUTE_PGM_RSRC3_GFX90A:TG_SPLIT: 0
	.section	.text._ZN7rocprim17ROCPRIM_400000_NS6detail17trampoline_kernelINS0_14default_configENS1_20scan_config_selectorIjEEZZNS1_9scan_implILNS1_25lookback_scan_determinismE0ELb1ELb1ES3_N6thrust23THRUST_200600_302600_NS6detail15normal_iteratorINS9_10device_ptrIjEEEENS9_16discard_iteratorINS9_11use_defaultEEEjNS9_4plusIvEEjEEDaPvRmT3_T4_T5_mT6_P12ihipStream_tbENKUlT_T0_E_clISt17integral_constantIbLb0EESX_EEDaSS_ST_EUlSS_E_NS1_11comp_targetILNS1_3genE2ELNS1_11target_archE906ELNS1_3gpuE6ELNS1_3repE0EEENS1_30default_config_static_selectorELNS0_4arch9wavefront6targetE1EEEvT1_,"axG",@progbits,_ZN7rocprim17ROCPRIM_400000_NS6detail17trampoline_kernelINS0_14default_configENS1_20scan_config_selectorIjEEZZNS1_9scan_implILNS1_25lookback_scan_determinismE0ELb1ELb1ES3_N6thrust23THRUST_200600_302600_NS6detail15normal_iteratorINS9_10device_ptrIjEEEENS9_16discard_iteratorINS9_11use_defaultEEEjNS9_4plusIvEEjEEDaPvRmT3_T4_T5_mT6_P12ihipStream_tbENKUlT_T0_E_clISt17integral_constantIbLb0EESX_EEDaSS_ST_EUlSS_E_NS1_11comp_targetILNS1_3genE2ELNS1_11target_archE906ELNS1_3gpuE6ELNS1_3repE0EEENS1_30default_config_static_selectorELNS0_4arch9wavefront6targetE1EEEvT1_,comdat
	.protected	_ZN7rocprim17ROCPRIM_400000_NS6detail17trampoline_kernelINS0_14default_configENS1_20scan_config_selectorIjEEZZNS1_9scan_implILNS1_25lookback_scan_determinismE0ELb1ELb1ES3_N6thrust23THRUST_200600_302600_NS6detail15normal_iteratorINS9_10device_ptrIjEEEENS9_16discard_iteratorINS9_11use_defaultEEEjNS9_4plusIvEEjEEDaPvRmT3_T4_T5_mT6_P12ihipStream_tbENKUlT_T0_E_clISt17integral_constantIbLb0EESX_EEDaSS_ST_EUlSS_E_NS1_11comp_targetILNS1_3genE2ELNS1_11target_archE906ELNS1_3gpuE6ELNS1_3repE0EEENS1_30default_config_static_selectorELNS0_4arch9wavefront6targetE1EEEvT1_ ; -- Begin function _ZN7rocprim17ROCPRIM_400000_NS6detail17trampoline_kernelINS0_14default_configENS1_20scan_config_selectorIjEEZZNS1_9scan_implILNS1_25lookback_scan_determinismE0ELb1ELb1ES3_N6thrust23THRUST_200600_302600_NS6detail15normal_iteratorINS9_10device_ptrIjEEEENS9_16discard_iteratorINS9_11use_defaultEEEjNS9_4plusIvEEjEEDaPvRmT3_T4_T5_mT6_P12ihipStream_tbENKUlT_T0_E_clISt17integral_constantIbLb0EESX_EEDaSS_ST_EUlSS_E_NS1_11comp_targetILNS1_3genE2ELNS1_11target_archE906ELNS1_3gpuE6ELNS1_3repE0EEENS1_30default_config_static_selectorELNS0_4arch9wavefront6targetE1EEEvT1_
	.globl	_ZN7rocprim17ROCPRIM_400000_NS6detail17trampoline_kernelINS0_14default_configENS1_20scan_config_selectorIjEEZZNS1_9scan_implILNS1_25lookback_scan_determinismE0ELb1ELb1ES3_N6thrust23THRUST_200600_302600_NS6detail15normal_iteratorINS9_10device_ptrIjEEEENS9_16discard_iteratorINS9_11use_defaultEEEjNS9_4plusIvEEjEEDaPvRmT3_T4_T5_mT6_P12ihipStream_tbENKUlT_T0_E_clISt17integral_constantIbLb0EESX_EEDaSS_ST_EUlSS_E_NS1_11comp_targetILNS1_3genE2ELNS1_11target_archE906ELNS1_3gpuE6ELNS1_3repE0EEENS1_30default_config_static_selectorELNS0_4arch9wavefront6targetE1EEEvT1_
	.p2align	8
	.type	_ZN7rocprim17ROCPRIM_400000_NS6detail17trampoline_kernelINS0_14default_configENS1_20scan_config_selectorIjEEZZNS1_9scan_implILNS1_25lookback_scan_determinismE0ELb1ELb1ES3_N6thrust23THRUST_200600_302600_NS6detail15normal_iteratorINS9_10device_ptrIjEEEENS9_16discard_iteratorINS9_11use_defaultEEEjNS9_4plusIvEEjEEDaPvRmT3_T4_T5_mT6_P12ihipStream_tbENKUlT_T0_E_clISt17integral_constantIbLb0EESX_EEDaSS_ST_EUlSS_E_NS1_11comp_targetILNS1_3genE2ELNS1_11target_archE906ELNS1_3gpuE6ELNS1_3repE0EEENS1_30default_config_static_selectorELNS0_4arch9wavefront6targetE1EEEvT1_,@function
_ZN7rocprim17ROCPRIM_400000_NS6detail17trampoline_kernelINS0_14default_configENS1_20scan_config_selectorIjEEZZNS1_9scan_implILNS1_25lookback_scan_determinismE0ELb1ELb1ES3_N6thrust23THRUST_200600_302600_NS6detail15normal_iteratorINS9_10device_ptrIjEEEENS9_16discard_iteratorINS9_11use_defaultEEEjNS9_4plusIvEEjEEDaPvRmT3_T4_T5_mT6_P12ihipStream_tbENKUlT_T0_E_clISt17integral_constantIbLb0EESX_EEDaSS_ST_EUlSS_E_NS1_11comp_targetILNS1_3genE2ELNS1_11target_archE906ELNS1_3gpuE6ELNS1_3repE0EEENS1_30default_config_static_selectorELNS0_4arch9wavefront6targetE1EEEvT1_: ; @_ZN7rocprim17ROCPRIM_400000_NS6detail17trampoline_kernelINS0_14default_configENS1_20scan_config_selectorIjEEZZNS1_9scan_implILNS1_25lookback_scan_determinismE0ELb1ELb1ES3_N6thrust23THRUST_200600_302600_NS6detail15normal_iteratorINS9_10device_ptrIjEEEENS9_16discard_iteratorINS9_11use_defaultEEEjNS9_4plusIvEEjEEDaPvRmT3_T4_T5_mT6_P12ihipStream_tbENKUlT_T0_E_clISt17integral_constantIbLb0EESX_EEDaSS_ST_EUlSS_E_NS1_11comp_targetILNS1_3genE2ELNS1_11target_archE906ELNS1_3gpuE6ELNS1_3repE0EEENS1_30default_config_static_selectorELNS0_4arch9wavefront6targetE1EEEvT1_
; %bb.0:
	.section	.rodata,"a",@progbits
	.p2align	6, 0x0
	.amdhsa_kernel _ZN7rocprim17ROCPRIM_400000_NS6detail17trampoline_kernelINS0_14default_configENS1_20scan_config_selectorIjEEZZNS1_9scan_implILNS1_25lookback_scan_determinismE0ELb1ELb1ES3_N6thrust23THRUST_200600_302600_NS6detail15normal_iteratorINS9_10device_ptrIjEEEENS9_16discard_iteratorINS9_11use_defaultEEEjNS9_4plusIvEEjEEDaPvRmT3_T4_T5_mT6_P12ihipStream_tbENKUlT_T0_E_clISt17integral_constantIbLb0EESX_EEDaSS_ST_EUlSS_E_NS1_11comp_targetILNS1_3genE2ELNS1_11target_archE906ELNS1_3gpuE6ELNS1_3repE0EEENS1_30default_config_static_selectorELNS0_4arch9wavefront6targetE1EEEvT1_
		.amdhsa_group_segment_fixed_size 0
		.amdhsa_private_segment_fixed_size 0
		.amdhsa_kernarg_size 104
		.amdhsa_user_sgpr_count 6
		.amdhsa_user_sgpr_private_segment_buffer 1
		.amdhsa_user_sgpr_dispatch_ptr 0
		.amdhsa_user_sgpr_queue_ptr 0
		.amdhsa_user_sgpr_kernarg_segment_ptr 1
		.amdhsa_user_sgpr_dispatch_id 0
		.amdhsa_user_sgpr_flat_scratch_init 0
		.amdhsa_user_sgpr_kernarg_preload_length 0
		.amdhsa_user_sgpr_kernarg_preload_offset 0
		.amdhsa_user_sgpr_private_segment_size 0
		.amdhsa_uses_dynamic_stack 0
		.amdhsa_system_sgpr_private_segment_wavefront_offset 0
		.amdhsa_system_sgpr_workgroup_id_x 1
		.amdhsa_system_sgpr_workgroup_id_y 0
		.amdhsa_system_sgpr_workgroup_id_z 0
		.amdhsa_system_sgpr_workgroup_info 0
		.amdhsa_system_vgpr_workitem_id 0
		.amdhsa_next_free_vgpr 1
		.amdhsa_next_free_sgpr 0
		.amdhsa_accum_offset 4
		.amdhsa_reserve_vcc 0
		.amdhsa_reserve_flat_scratch 0
		.amdhsa_float_round_mode_32 0
		.amdhsa_float_round_mode_16_64 0
		.amdhsa_float_denorm_mode_32 3
		.amdhsa_float_denorm_mode_16_64 3
		.amdhsa_dx10_clamp 1
		.amdhsa_ieee_mode 1
		.amdhsa_fp16_overflow 0
		.amdhsa_tg_split 0
		.amdhsa_exception_fp_ieee_invalid_op 0
		.amdhsa_exception_fp_denorm_src 0
		.amdhsa_exception_fp_ieee_div_zero 0
		.amdhsa_exception_fp_ieee_overflow 0
		.amdhsa_exception_fp_ieee_underflow 0
		.amdhsa_exception_fp_ieee_inexact 0
		.amdhsa_exception_int_div_zero 0
	.end_amdhsa_kernel
	.section	.text._ZN7rocprim17ROCPRIM_400000_NS6detail17trampoline_kernelINS0_14default_configENS1_20scan_config_selectorIjEEZZNS1_9scan_implILNS1_25lookback_scan_determinismE0ELb1ELb1ES3_N6thrust23THRUST_200600_302600_NS6detail15normal_iteratorINS9_10device_ptrIjEEEENS9_16discard_iteratorINS9_11use_defaultEEEjNS9_4plusIvEEjEEDaPvRmT3_T4_T5_mT6_P12ihipStream_tbENKUlT_T0_E_clISt17integral_constantIbLb0EESX_EEDaSS_ST_EUlSS_E_NS1_11comp_targetILNS1_3genE2ELNS1_11target_archE906ELNS1_3gpuE6ELNS1_3repE0EEENS1_30default_config_static_selectorELNS0_4arch9wavefront6targetE1EEEvT1_,"axG",@progbits,_ZN7rocprim17ROCPRIM_400000_NS6detail17trampoline_kernelINS0_14default_configENS1_20scan_config_selectorIjEEZZNS1_9scan_implILNS1_25lookback_scan_determinismE0ELb1ELb1ES3_N6thrust23THRUST_200600_302600_NS6detail15normal_iteratorINS9_10device_ptrIjEEEENS9_16discard_iteratorINS9_11use_defaultEEEjNS9_4plusIvEEjEEDaPvRmT3_T4_T5_mT6_P12ihipStream_tbENKUlT_T0_E_clISt17integral_constantIbLb0EESX_EEDaSS_ST_EUlSS_E_NS1_11comp_targetILNS1_3genE2ELNS1_11target_archE906ELNS1_3gpuE6ELNS1_3repE0EEENS1_30default_config_static_selectorELNS0_4arch9wavefront6targetE1EEEvT1_,comdat
.Lfunc_end5370:
	.size	_ZN7rocprim17ROCPRIM_400000_NS6detail17trampoline_kernelINS0_14default_configENS1_20scan_config_selectorIjEEZZNS1_9scan_implILNS1_25lookback_scan_determinismE0ELb1ELb1ES3_N6thrust23THRUST_200600_302600_NS6detail15normal_iteratorINS9_10device_ptrIjEEEENS9_16discard_iteratorINS9_11use_defaultEEEjNS9_4plusIvEEjEEDaPvRmT3_T4_T5_mT6_P12ihipStream_tbENKUlT_T0_E_clISt17integral_constantIbLb0EESX_EEDaSS_ST_EUlSS_E_NS1_11comp_targetILNS1_3genE2ELNS1_11target_archE906ELNS1_3gpuE6ELNS1_3repE0EEENS1_30default_config_static_selectorELNS0_4arch9wavefront6targetE1EEEvT1_, .Lfunc_end5370-_ZN7rocprim17ROCPRIM_400000_NS6detail17trampoline_kernelINS0_14default_configENS1_20scan_config_selectorIjEEZZNS1_9scan_implILNS1_25lookback_scan_determinismE0ELb1ELb1ES3_N6thrust23THRUST_200600_302600_NS6detail15normal_iteratorINS9_10device_ptrIjEEEENS9_16discard_iteratorINS9_11use_defaultEEEjNS9_4plusIvEEjEEDaPvRmT3_T4_T5_mT6_P12ihipStream_tbENKUlT_T0_E_clISt17integral_constantIbLb0EESX_EEDaSS_ST_EUlSS_E_NS1_11comp_targetILNS1_3genE2ELNS1_11target_archE906ELNS1_3gpuE6ELNS1_3repE0EEENS1_30default_config_static_selectorELNS0_4arch9wavefront6targetE1EEEvT1_
                                        ; -- End function
	.section	.AMDGPU.csdata,"",@progbits
; Kernel info:
; codeLenInByte = 0
; NumSgprs: 4
; NumVgprs: 0
; NumAgprs: 0
; TotalNumVgprs: 0
; ScratchSize: 0
; MemoryBound: 0
; FloatMode: 240
; IeeeMode: 1
; LDSByteSize: 0 bytes/workgroup (compile time only)
; SGPRBlocks: 0
; VGPRBlocks: 0
; NumSGPRsForWavesPerEU: 4
; NumVGPRsForWavesPerEU: 1
; AccumOffset: 4
; Occupancy: 8
; WaveLimiterHint : 0
; COMPUTE_PGM_RSRC2:SCRATCH_EN: 0
; COMPUTE_PGM_RSRC2:USER_SGPR: 6
; COMPUTE_PGM_RSRC2:TRAP_HANDLER: 0
; COMPUTE_PGM_RSRC2:TGID_X_EN: 1
; COMPUTE_PGM_RSRC2:TGID_Y_EN: 0
; COMPUTE_PGM_RSRC2:TGID_Z_EN: 0
; COMPUTE_PGM_RSRC2:TIDIG_COMP_CNT: 0
; COMPUTE_PGM_RSRC3_GFX90A:ACCUM_OFFSET: 0
; COMPUTE_PGM_RSRC3_GFX90A:TG_SPLIT: 0
	.section	.text._ZN7rocprim17ROCPRIM_400000_NS6detail17trampoline_kernelINS0_14default_configENS1_20scan_config_selectorIjEEZZNS1_9scan_implILNS1_25lookback_scan_determinismE0ELb1ELb1ES3_N6thrust23THRUST_200600_302600_NS6detail15normal_iteratorINS9_10device_ptrIjEEEENS9_16discard_iteratorINS9_11use_defaultEEEjNS9_4plusIvEEjEEDaPvRmT3_T4_T5_mT6_P12ihipStream_tbENKUlT_T0_E_clISt17integral_constantIbLb0EESX_EEDaSS_ST_EUlSS_E_NS1_11comp_targetILNS1_3genE10ELNS1_11target_archE1201ELNS1_3gpuE5ELNS1_3repE0EEENS1_30default_config_static_selectorELNS0_4arch9wavefront6targetE1EEEvT1_,"axG",@progbits,_ZN7rocprim17ROCPRIM_400000_NS6detail17trampoline_kernelINS0_14default_configENS1_20scan_config_selectorIjEEZZNS1_9scan_implILNS1_25lookback_scan_determinismE0ELb1ELb1ES3_N6thrust23THRUST_200600_302600_NS6detail15normal_iteratorINS9_10device_ptrIjEEEENS9_16discard_iteratorINS9_11use_defaultEEEjNS9_4plusIvEEjEEDaPvRmT3_T4_T5_mT6_P12ihipStream_tbENKUlT_T0_E_clISt17integral_constantIbLb0EESX_EEDaSS_ST_EUlSS_E_NS1_11comp_targetILNS1_3genE10ELNS1_11target_archE1201ELNS1_3gpuE5ELNS1_3repE0EEENS1_30default_config_static_selectorELNS0_4arch9wavefront6targetE1EEEvT1_,comdat
	.protected	_ZN7rocprim17ROCPRIM_400000_NS6detail17trampoline_kernelINS0_14default_configENS1_20scan_config_selectorIjEEZZNS1_9scan_implILNS1_25lookback_scan_determinismE0ELb1ELb1ES3_N6thrust23THRUST_200600_302600_NS6detail15normal_iteratorINS9_10device_ptrIjEEEENS9_16discard_iteratorINS9_11use_defaultEEEjNS9_4plusIvEEjEEDaPvRmT3_T4_T5_mT6_P12ihipStream_tbENKUlT_T0_E_clISt17integral_constantIbLb0EESX_EEDaSS_ST_EUlSS_E_NS1_11comp_targetILNS1_3genE10ELNS1_11target_archE1201ELNS1_3gpuE5ELNS1_3repE0EEENS1_30default_config_static_selectorELNS0_4arch9wavefront6targetE1EEEvT1_ ; -- Begin function _ZN7rocprim17ROCPRIM_400000_NS6detail17trampoline_kernelINS0_14default_configENS1_20scan_config_selectorIjEEZZNS1_9scan_implILNS1_25lookback_scan_determinismE0ELb1ELb1ES3_N6thrust23THRUST_200600_302600_NS6detail15normal_iteratorINS9_10device_ptrIjEEEENS9_16discard_iteratorINS9_11use_defaultEEEjNS9_4plusIvEEjEEDaPvRmT3_T4_T5_mT6_P12ihipStream_tbENKUlT_T0_E_clISt17integral_constantIbLb0EESX_EEDaSS_ST_EUlSS_E_NS1_11comp_targetILNS1_3genE10ELNS1_11target_archE1201ELNS1_3gpuE5ELNS1_3repE0EEENS1_30default_config_static_selectorELNS0_4arch9wavefront6targetE1EEEvT1_
	.globl	_ZN7rocprim17ROCPRIM_400000_NS6detail17trampoline_kernelINS0_14default_configENS1_20scan_config_selectorIjEEZZNS1_9scan_implILNS1_25lookback_scan_determinismE0ELb1ELb1ES3_N6thrust23THRUST_200600_302600_NS6detail15normal_iteratorINS9_10device_ptrIjEEEENS9_16discard_iteratorINS9_11use_defaultEEEjNS9_4plusIvEEjEEDaPvRmT3_T4_T5_mT6_P12ihipStream_tbENKUlT_T0_E_clISt17integral_constantIbLb0EESX_EEDaSS_ST_EUlSS_E_NS1_11comp_targetILNS1_3genE10ELNS1_11target_archE1201ELNS1_3gpuE5ELNS1_3repE0EEENS1_30default_config_static_selectorELNS0_4arch9wavefront6targetE1EEEvT1_
	.p2align	8
	.type	_ZN7rocprim17ROCPRIM_400000_NS6detail17trampoline_kernelINS0_14default_configENS1_20scan_config_selectorIjEEZZNS1_9scan_implILNS1_25lookback_scan_determinismE0ELb1ELb1ES3_N6thrust23THRUST_200600_302600_NS6detail15normal_iteratorINS9_10device_ptrIjEEEENS9_16discard_iteratorINS9_11use_defaultEEEjNS9_4plusIvEEjEEDaPvRmT3_T4_T5_mT6_P12ihipStream_tbENKUlT_T0_E_clISt17integral_constantIbLb0EESX_EEDaSS_ST_EUlSS_E_NS1_11comp_targetILNS1_3genE10ELNS1_11target_archE1201ELNS1_3gpuE5ELNS1_3repE0EEENS1_30default_config_static_selectorELNS0_4arch9wavefront6targetE1EEEvT1_,@function
_ZN7rocprim17ROCPRIM_400000_NS6detail17trampoline_kernelINS0_14default_configENS1_20scan_config_selectorIjEEZZNS1_9scan_implILNS1_25lookback_scan_determinismE0ELb1ELb1ES3_N6thrust23THRUST_200600_302600_NS6detail15normal_iteratorINS9_10device_ptrIjEEEENS9_16discard_iteratorINS9_11use_defaultEEEjNS9_4plusIvEEjEEDaPvRmT3_T4_T5_mT6_P12ihipStream_tbENKUlT_T0_E_clISt17integral_constantIbLb0EESX_EEDaSS_ST_EUlSS_E_NS1_11comp_targetILNS1_3genE10ELNS1_11target_archE1201ELNS1_3gpuE5ELNS1_3repE0EEENS1_30default_config_static_selectorELNS0_4arch9wavefront6targetE1EEEvT1_: ; @_ZN7rocprim17ROCPRIM_400000_NS6detail17trampoline_kernelINS0_14default_configENS1_20scan_config_selectorIjEEZZNS1_9scan_implILNS1_25lookback_scan_determinismE0ELb1ELb1ES3_N6thrust23THRUST_200600_302600_NS6detail15normal_iteratorINS9_10device_ptrIjEEEENS9_16discard_iteratorINS9_11use_defaultEEEjNS9_4plusIvEEjEEDaPvRmT3_T4_T5_mT6_P12ihipStream_tbENKUlT_T0_E_clISt17integral_constantIbLb0EESX_EEDaSS_ST_EUlSS_E_NS1_11comp_targetILNS1_3genE10ELNS1_11target_archE1201ELNS1_3gpuE5ELNS1_3repE0EEENS1_30default_config_static_selectorELNS0_4arch9wavefront6targetE1EEEvT1_
; %bb.0:
	.section	.rodata,"a",@progbits
	.p2align	6, 0x0
	.amdhsa_kernel _ZN7rocprim17ROCPRIM_400000_NS6detail17trampoline_kernelINS0_14default_configENS1_20scan_config_selectorIjEEZZNS1_9scan_implILNS1_25lookback_scan_determinismE0ELb1ELb1ES3_N6thrust23THRUST_200600_302600_NS6detail15normal_iteratorINS9_10device_ptrIjEEEENS9_16discard_iteratorINS9_11use_defaultEEEjNS9_4plusIvEEjEEDaPvRmT3_T4_T5_mT6_P12ihipStream_tbENKUlT_T0_E_clISt17integral_constantIbLb0EESX_EEDaSS_ST_EUlSS_E_NS1_11comp_targetILNS1_3genE10ELNS1_11target_archE1201ELNS1_3gpuE5ELNS1_3repE0EEENS1_30default_config_static_selectorELNS0_4arch9wavefront6targetE1EEEvT1_
		.amdhsa_group_segment_fixed_size 0
		.amdhsa_private_segment_fixed_size 0
		.amdhsa_kernarg_size 104
		.amdhsa_user_sgpr_count 6
		.amdhsa_user_sgpr_private_segment_buffer 1
		.amdhsa_user_sgpr_dispatch_ptr 0
		.amdhsa_user_sgpr_queue_ptr 0
		.amdhsa_user_sgpr_kernarg_segment_ptr 1
		.amdhsa_user_sgpr_dispatch_id 0
		.amdhsa_user_sgpr_flat_scratch_init 0
		.amdhsa_user_sgpr_kernarg_preload_length 0
		.amdhsa_user_sgpr_kernarg_preload_offset 0
		.amdhsa_user_sgpr_private_segment_size 0
		.amdhsa_uses_dynamic_stack 0
		.amdhsa_system_sgpr_private_segment_wavefront_offset 0
		.amdhsa_system_sgpr_workgroup_id_x 1
		.amdhsa_system_sgpr_workgroup_id_y 0
		.amdhsa_system_sgpr_workgroup_id_z 0
		.amdhsa_system_sgpr_workgroup_info 0
		.amdhsa_system_vgpr_workitem_id 0
		.amdhsa_next_free_vgpr 1
		.amdhsa_next_free_sgpr 0
		.amdhsa_accum_offset 4
		.amdhsa_reserve_vcc 0
		.amdhsa_reserve_flat_scratch 0
		.amdhsa_float_round_mode_32 0
		.amdhsa_float_round_mode_16_64 0
		.amdhsa_float_denorm_mode_32 3
		.amdhsa_float_denorm_mode_16_64 3
		.amdhsa_dx10_clamp 1
		.amdhsa_ieee_mode 1
		.amdhsa_fp16_overflow 0
		.amdhsa_tg_split 0
		.amdhsa_exception_fp_ieee_invalid_op 0
		.amdhsa_exception_fp_denorm_src 0
		.amdhsa_exception_fp_ieee_div_zero 0
		.amdhsa_exception_fp_ieee_overflow 0
		.amdhsa_exception_fp_ieee_underflow 0
		.amdhsa_exception_fp_ieee_inexact 0
		.amdhsa_exception_int_div_zero 0
	.end_amdhsa_kernel
	.section	.text._ZN7rocprim17ROCPRIM_400000_NS6detail17trampoline_kernelINS0_14default_configENS1_20scan_config_selectorIjEEZZNS1_9scan_implILNS1_25lookback_scan_determinismE0ELb1ELb1ES3_N6thrust23THRUST_200600_302600_NS6detail15normal_iteratorINS9_10device_ptrIjEEEENS9_16discard_iteratorINS9_11use_defaultEEEjNS9_4plusIvEEjEEDaPvRmT3_T4_T5_mT6_P12ihipStream_tbENKUlT_T0_E_clISt17integral_constantIbLb0EESX_EEDaSS_ST_EUlSS_E_NS1_11comp_targetILNS1_3genE10ELNS1_11target_archE1201ELNS1_3gpuE5ELNS1_3repE0EEENS1_30default_config_static_selectorELNS0_4arch9wavefront6targetE1EEEvT1_,"axG",@progbits,_ZN7rocprim17ROCPRIM_400000_NS6detail17trampoline_kernelINS0_14default_configENS1_20scan_config_selectorIjEEZZNS1_9scan_implILNS1_25lookback_scan_determinismE0ELb1ELb1ES3_N6thrust23THRUST_200600_302600_NS6detail15normal_iteratorINS9_10device_ptrIjEEEENS9_16discard_iteratorINS9_11use_defaultEEEjNS9_4plusIvEEjEEDaPvRmT3_T4_T5_mT6_P12ihipStream_tbENKUlT_T0_E_clISt17integral_constantIbLb0EESX_EEDaSS_ST_EUlSS_E_NS1_11comp_targetILNS1_3genE10ELNS1_11target_archE1201ELNS1_3gpuE5ELNS1_3repE0EEENS1_30default_config_static_selectorELNS0_4arch9wavefront6targetE1EEEvT1_,comdat
.Lfunc_end5371:
	.size	_ZN7rocprim17ROCPRIM_400000_NS6detail17trampoline_kernelINS0_14default_configENS1_20scan_config_selectorIjEEZZNS1_9scan_implILNS1_25lookback_scan_determinismE0ELb1ELb1ES3_N6thrust23THRUST_200600_302600_NS6detail15normal_iteratorINS9_10device_ptrIjEEEENS9_16discard_iteratorINS9_11use_defaultEEEjNS9_4plusIvEEjEEDaPvRmT3_T4_T5_mT6_P12ihipStream_tbENKUlT_T0_E_clISt17integral_constantIbLb0EESX_EEDaSS_ST_EUlSS_E_NS1_11comp_targetILNS1_3genE10ELNS1_11target_archE1201ELNS1_3gpuE5ELNS1_3repE0EEENS1_30default_config_static_selectorELNS0_4arch9wavefront6targetE1EEEvT1_, .Lfunc_end5371-_ZN7rocprim17ROCPRIM_400000_NS6detail17trampoline_kernelINS0_14default_configENS1_20scan_config_selectorIjEEZZNS1_9scan_implILNS1_25lookback_scan_determinismE0ELb1ELb1ES3_N6thrust23THRUST_200600_302600_NS6detail15normal_iteratorINS9_10device_ptrIjEEEENS9_16discard_iteratorINS9_11use_defaultEEEjNS9_4plusIvEEjEEDaPvRmT3_T4_T5_mT6_P12ihipStream_tbENKUlT_T0_E_clISt17integral_constantIbLb0EESX_EEDaSS_ST_EUlSS_E_NS1_11comp_targetILNS1_3genE10ELNS1_11target_archE1201ELNS1_3gpuE5ELNS1_3repE0EEENS1_30default_config_static_selectorELNS0_4arch9wavefront6targetE1EEEvT1_
                                        ; -- End function
	.section	.AMDGPU.csdata,"",@progbits
; Kernel info:
; codeLenInByte = 0
; NumSgprs: 4
; NumVgprs: 0
; NumAgprs: 0
; TotalNumVgprs: 0
; ScratchSize: 0
; MemoryBound: 0
; FloatMode: 240
; IeeeMode: 1
; LDSByteSize: 0 bytes/workgroup (compile time only)
; SGPRBlocks: 0
; VGPRBlocks: 0
; NumSGPRsForWavesPerEU: 4
; NumVGPRsForWavesPerEU: 1
; AccumOffset: 4
; Occupancy: 8
; WaveLimiterHint : 0
; COMPUTE_PGM_RSRC2:SCRATCH_EN: 0
; COMPUTE_PGM_RSRC2:USER_SGPR: 6
; COMPUTE_PGM_RSRC2:TRAP_HANDLER: 0
; COMPUTE_PGM_RSRC2:TGID_X_EN: 1
; COMPUTE_PGM_RSRC2:TGID_Y_EN: 0
; COMPUTE_PGM_RSRC2:TGID_Z_EN: 0
; COMPUTE_PGM_RSRC2:TIDIG_COMP_CNT: 0
; COMPUTE_PGM_RSRC3_GFX90A:ACCUM_OFFSET: 0
; COMPUTE_PGM_RSRC3_GFX90A:TG_SPLIT: 0
	.section	.text._ZN7rocprim17ROCPRIM_400000_NS6detail17trampoline_kernelINS0_14default_configENS1_20scan_config_selectorIjEEZZNS1_9scan_implILNS1_25lookback_scan_determinismE0ELb1ELb1ES3_N6thrust23THRUST_200600_302600_NS6detail15normal_iteratorINS9_10device_ptrIjEEEENS9_16discard_iteratorINS9_11use_defaultEEEjNS9_4plusIvEEjEEDaPvRmT3_T4_T5_mT6_P12ihipStream_tbENKUlT_T0_E_clISt17integral_constantIbLb0EESX_EEDaSS_ST_EUlSS_E_NS1_11comp_targetILNS1_3genE10ELNS1_11target_archE1200ELNS1_3gpuE4ELNS1_3repE0EEENS1_30default_config_static_selectorELNS0_4arch9wavefront6targetE1EEEvT1_,"axG",@progbits,_ZN7rocprim17ROCPRIM_400000_NS6detail17trampoline_kernelINS0_14default_configENS1_20scan_config_selectorIjEEZZNS1_9scan_implILNS1_25lookback_scan_determinismE0ELb1ELb1ES3_N6thrust23THRUST_200600_302600_NS6detail15normal_iteratorINS9_10device_ptrIjEEEENS9_16discard_iteratorINS9_11use_defaultEEEjNS9_4plusIvEEjEEDaPvRmT3_T4_T5_mT6_P12ihipStream_tbENKUlT_T0_E_clISt17integral_constantIbLb0EESX_EEDaSS_ST_EUlSS_E_NS1_11comp_targetILNS1_3genE10ELNS1_11target_archE1200ELNS1_3gpuE4ELNS1_3repE0EEENS1_30default_config_static_selectorELNS0_4arch9wavefront6targetE1EEEvT1_,comdat
	.protected	_ZN7rocprim17ROCPRIM_400000_NS6detail17trampoline_kernelINS0_14default_configENS1_20scan_config_selectorIjEEZZNS1_9scan_implILNS1_25lookback_scan_determinismE0ELb1ELb1ES3_N6thrust23THRUST_200600_302600_NS6detail15normal_iteratorINS9_10device_ptrIjEEEENS9_16discard_iteratorINS9_11use_defaultEEEjNS9_4plusIvEEjEEDaPvRmT3_T4_T5_mT6_P12ihipStream_tbENKUlT_T0_E_clISt17integral_constantIbLb0EESX_EEDaSS_ST_EUlSS_E_NS1_11comp_targetILNS1_3genE10ELNS1_11target_archE1200ELNS1_3gpuE4ELNS1_3repE0EEENS1_30default_config_static_selectorELNS0_4arch9wavefront6targetE1EEEvT1_ ; -- Begin function _ZN7rocprim17ROCPRIM_400000_NS6detail17trampoline_kernelINS0_14default_configENS1_20scan_config_selectorIjEEZZNS1_9scan_implILNS1_25lookback_scan_determinismE0ELb1ELb1ES3_N6thrust23THRUST_200600_302600_NS6detail15normal_iteratorINS9_10device_ptrIjEEEENS9_16discard_iteratorINS9_11use_defaultEEEjNS9_4plusIvEEjEEDaPvRmT3_T4_T5_mT6_P12ihipStream_tbENKUlT_T0_E_clISt17integral_constantIbLb0EESX_EEDaSS_ST_EUlSS_E_NS1_11comp_targetILNS1_3genE10ELNS1_11target_archE1200ELNS1_3gpuE4ELNS1_3repE0EEENS1_30default_config_static_selectorELNS0_4arch9wavefront6targetE1EEEvT1_
	.globl	_ZN7rocprim17ROCPRIM_400000_NS6detail17trampoline_kernelINS0_14default_configENS1_20scan_config_selectorIjEEZZNS1_9scan_implILNS1_25lookback_scan_determinismE0ELb1ELb1ES3_N6thrust23THRUST_200600_302600_NS6detail15normal_iteratorINS9_10device_ptrIjEEEENS9_16discard_iteratorINS9_11use_defaultEEEjNS9_4plusIvEEjEEDaPvRmT3_T4_T5_mT6_P12ihipStream_tbENKUlT_T0_E_clISt17integral_constantIbLb0EESX_EEDaSS_ST_EUlSS_E_NS1_11comp_targetILNS1_3genE10ELNS1_11target_archE1200ELNS1_3gpuE4ELNS1_3repE0EEENS1_30default_config_static_selectorELNS0_4arch9wavefront6targetE1EEEvT1_
	.p2align	8
	.type	_ZN7rocprim17ROCPRIM_400000_NS6detail17trampoline_kernelINS0_14default_configENS1_20scan_config_selectorIjEEZZNS1_9scan_implILNS1_25lookback_scan_determinismE0ELb1ELb1ES3_N6thrust23THRUST_200600_302600_NS6detail15normal_iteratorINS9_10device_ptrIjEEEENS9_16discard_iteratorINS9_11use_defaultEEEjNS9_4plusIvEEjEEDaPvRmT3_T4_T5_mT6_P12ihipStream_tbENKUlT_T0_E_clISt17integral_constantIbLb0EESX_EEDaSS_ST_EUlSS_E_NS1_11comp_targetILNS1_3genE10ELNS1_11target_archE1200ELNS1_3gpuE4ELNS1_3repE0EEENS1_30default_config_static_selectorELNS0_4arch9wavefront6targetE1EEEvT1_,@function
_ZN7rocprim17ROCPRIM_400000_NS6detail17trampoline_kernelINS0_14default_configENS1_20scan_config_selectorIjEEZZNS1_9scan_implILNS1_25lookback_scan_determinismE0ELb1ELb1ES3_N6thrust23THRUST_200600_302600_NS6detail15normal_iteratorINS9_10device_ptrIjEEEENS9_16discard_iteratorINS9_11use_defaultEEEjNS9_4plusIvEEjEEDaPvRmT3_T4_T5_mT6_P12ihipStream_tbENKUlT_T0_E_clISt17integral_constantIbLb0EESX_EEDaSS_ST_EUlSS_E_NS1_11comp_targetILNS1_3genE10ELNS1_11target_archE1200ELNS1_3gpuE4ELNS1_3repE0EEENS1_30default_config_static_selectorELNS0_4arch9wavefront6targetE1EEEvT1_: ; @_ZN7rocprim17ROCPRIM_400000_NS6detail17trampoline_kernelINS0_14default_configENS1_20scan_config_selectorIjEEZZNS1_9scan_implILNS1_25lookback_scan_determinismE0ELb1ELb1ES3_N6thrust23THRUST_200600_302600_NS6detail15normal_iteratorINS9_10device_ptrIjEEEENS9_16discard_iteratorINS9_11use_defaultEEEjNS9_4plusIvEEjEEDaPvRmT3_T4_T5_mT6_P12ihipStream_tbENKUlT_T0_E_clISt17integral_constantIbLb0EESX_EEDaSS_ST_EUlSS_E_NS1_11comp_targetILNS1_3genE10ELNS1_11target_archE1200ELNS1_3gpuE4ELNS1_3repE0EEENS1_30default_config_static_selectorELNS0_4arch9wavefront6targetE1EEEvT1_
; %bb.0:
	.section	.rodata,"a",@progbits
	.p2align	6, 0x0
	.amdhsa_kernel _ZN7rocprim17ROCPRIM_400000_NS6detail17trampoline_kernelINS0_14default_configENS1_20scan_config_selectorIjEEZZNS1_9scan_implILNS1_25lookback_scan_determinismE0ELb1ELb1ES3_N6thrust23THRUST_200600_302600_NS6detail15normal_iteratorINS9_10device_ptrIjEEEENS9_16discard_iteratorINS9_11use_defaultEEEjNS9_4plusIvEEjEEDaPvRmT3_T4_T5_mT6_P12ihipStream_tbENKUlT_T0_E_clISt17integral_constantIbLb0EESX_EEDaSS_ST_EUlSS_E_NS1_11comp_targetILNS1_3genE10ELNS1_11target_archE1200ELNS1_3gpuE4ELNS1_3repE0EEENS1_30default_config_static_selectorELNS0_4arch9wavefront6targetE1EEEvT1_
		.amdhsa_group_segment_fixed_size 0
		.amdhsa_private_segment_fixed_size 0
		.amdhsa_kernarg_size 104
		.amdhsa_user_sgpr_count 6
		.amdhsa_user_sgpr_private_segment_buffer 1
		.amdhsa_user_sgpr_dispatch_ptr 0
		.amdhsa_user_sgpr_queue_ptr 0
		.amdhsa_user_sgpr_kernarg_segment_ptr 1
		.amdhsa_user_sgpr_dispatch_id 0
		.amdhsa_user_sgpr_flat_scratch_init 0
		.amdhsa_user_sgpr_kernarg_preload_length 0
		.amdhsa_user_sgpr_kernarg_preload_offset 0
		.amdhsa_user_sgpr_private_segment_size 0
		.amdhsa_uses_dynamic_stack 0
		.amdhsa_system_sgpr_private_segment_wavefront_offset 0
		.amdhsa_system_sgpr_workgroup_id_x 1
		.amdhsa_system_sgpr_workgroup_id_y 0
		.amdhsa_system_sgpr_workgroup_id_z 0
		.amdhsa_system_sgpr_workgroup_info 0
		.amdhsa_system_vgpr_workitem_id 0
		.amdhsa_next_free_vgpr 1
		.amdhsa_next_free_sgpr 0
		.amdhsa_accum_offset 4
		.amdhsa_reserve_vcc 0
		.amdhsa_reserve_flat_scratch 0
		.amdhsa_float_round_mode_32 0
		.amdhsa_float_round_mode_16_64 0
		.amdhsa_float_denorm_mode_32 3
		.amdhsa_float_denorm_mode_16_64 3
		.amdhsa_dx10_clamp 1
		.amdhsa_ieee_mode 1
		.amdhsa_fp16_overflow 0
		.amdhsa_tg_split 0
		.amdhsa_exception_fp_ieee_invalid_op 0
		.amdhsa_exception_fp_denorm_src 0
		.amdhsa_exception_fp_ieee_div_zero 0
		.amdhsa_exception_fp_ieee_overflow 0
		.amdhsa_exception_fp_ieee_underflow 0
		.amdhsa_exception_fp_ieee_inexact 0
		.amdhsa_exception_int_div_zero 0
	.end_amdhsa_kernel
	.section	.text._ZN7rocprim17ROCPRIM_400000_NS6detail17trampoline_kernelINS0_14default_configENS1_20scan_config_selectorIjEEZZNS1_9scan_implILNS1_25lookback_scan_determinismE0ELb1ELb1ES3_N6thrust23THRUST_200600_302600_NS6detail15normal_iteratorINS9_10device_ptrIjEEEENS9_16discard_iteratorINS9_11use_defaultEEEjNS9_4plusIvEEjEEDaPvRmT3_T4_T5_mT6_P12ihipStream_tbENKUlT_T0_E_clISt17integral_constantIbLb0EESX_EEDaSS_ST_EUlSS_E_NS1_11comp_targetILNS1_3genE10ELNS1_11target_archE1200ELNS1_3gpuE4ELNS1_3repE0EEENS1_30default_config_static_selectorELNS0_4arch9wavefront6targetE1EEEvT1_,"axG",@progbits,_ZN7rocprim17ROCPRIM_400000_NS6detail17trampoline_kernelINS0_14default_configENS1_20scan_config_selectorIjEEZZNS1_9scan_implILNS1_25lookback_scan_determinismE0ELb1ELb1ES3_N6thrust23THRUST_200600_302600_NS6detail15normal_iteratorINS9_10device_ptrIjEEEENS9_16discard_iteratorINS9_11use_defaultEEEjNS9_4plusIvEEjEEDaPvRmT3_T4_T5_mT6_P12ihipStream_tbENKUlT_T0_E_clISt17integral_constantIbLb0EESX_EEDaSS_ST_EUlSS_E_NS1_11comp_targetILNS1_3genE10ELNS1_11target_archE1200ELNS1_3gpuE4ELNS1_3repE0EEENS1_30default_config_static_selectorELNS0_4arch9wavefront6targetE1EEEvT1_,comdat
.Lfunc_end5372:
	.size	_ZN7rocprim17ROCPRIM_400000_NS6detail17trampoline_kernelINS0_14default_configENS1_20scan_config_selectorIjEEZZNS1_9scan_implILNS1_25lookback_scan_determinismE0ELb1ELb1ES3_N6thrust23THRUST_200600_302600_NS6detail15normal_iteratorINS9_10device_ptrIjEEEENS9_16discard_iteratorINS9_11use_defaultEEEjNS9_4plusIvEEjEEDaPvRmT3_T4_T5_mT6_P12ihipStream_tbENKUlT_T0_E_clISt17integral_constantIbLb0EESX_EEDaSS_ST_EUlSS_E_NS1_11comp_targetILNS1_3genE10ELNS1_11target_archE1200ELNS1_3gpuE4ELNS1_3repE0EEENS1_30default_config_static_selectorELNS0_4arch9wavefront6targetE1EEEvT1_, .Lfunc_end5372-_ZN7rocprim17ROCPRIM_400000_NS6detail17trampoline_kernelINS0_14default_configENS1_20scan_config_selectorIjEEZZNS1_9scan_implILNS1_25lookback_scan_determinismE0ELb1ELb1ES3_N6thrust23THRUST_200600_302600_NS6detail15normal_iteratorINS9_10device_ptrIjEEEENS9_16discard_iteratorINS9_11use_defaultEEEjNS9_4plusIvEEjEEDaPvRmT3_T4_T5_mT6_P12ihipStream_tbENKUlT_T0_E_clISt17integral_constantIbLb0EESX_EEDaSS_ST_EUlSS_E_NS1_11comp_targetILNS1_3genE10ELNS1_11target_archE1200ELNS1_3gpuE4ELNS1_3repE0EEENS1_30default_config_static_selectorELNS0_4arch9wavefront6targetE1EEEvT1_
                                        ; -- End function
	.section	.AMDGPU.csdata,"",@progbits
; Kernel info:
; codeLenInByte = 0
; NumSgprs: 4
; NumVgprs: 0
; NumAgprs: 0
; TotalNumVgprs: 0
; ScratchSize: 0
; MemoryBound: 0
; FloatMode: 240
; IeeeMode: 1
; LDSByteSize: 0 bytes/workgroup (compile time only)
; SGPRBlocks: 0
; VGPRBlocks: 0
; NumSGPRsForWavesPerEU: 4
; NumVGPRsForWavesPerEU: 1
; AccumOffset: 4
; Occupancy: 8
; WaveLimiterHint : 0
; COMPUTE_PGM_RSRC2:SCRATCH_EN: 0
; COMPUTE_PGM_RSRC2:USER_SGPR: 6
; COMPUTE_PGM_RSRC2:TRAP_HANDLER: 0
; COMPUTE_PGM_RSRC2:TGID_X_EN: 1
; COMPUTE_PGM_RSRC2:TGID_Y_EN: 0
; COMPUTE_PGM_RSRC2:TGID_Z_EN: 0
; COMPUTE_PGM_RSRC2:TIDIG_COMP_CNT: 0
; COMPUTE_PGM_RSRC3_GFX90A:ACCUM_OFFSET: 0
; COMPUTE_PGM_RSRC3_GFX90A:TG_SPLIT: 0
	.section	.text._ZN7rocprim17ROCPRIM_400000_NS6detail17trampoline_kernelINS0_14default_configENS1_20scan_config_selectorIjEEZZNS1_9scan_implILNS1_25lookback_scan_determinismE0ELb1ELb1ES3_N6thrust23THRUST_200600_302600_NS6detail15normal_iteratorINS9_10device_ptrIjEEEENS9_16discard_iteratorINS9_11use_defaultEEEjNS9_4plusIvEEjEEDaPvRmT3_T4_T5_mT6_P12ihipStream_tbENKUlT_T0_E_clISt17integral_constantIbLb0EESX_EEDaSS_ST_EUlSS_E_NS1_11comp_targetILNS1_3genE9ELNS1_11target_archE1100ELNS1_3gpuE3ELNS1_3repE0EEENS1_30default_config_static_selectorELNS0_4arch9wavefront6targetE1EEEvT1_,"axG",@progbits,_ZN7rocprim17ROCPRIM_400000_NS6detail17trampoline_kernelINS0_14default_configENS1_20scan_config_selectorIjEEZZNS1_9scan_implILNS1_25lookback_scan_determinismE0ELb1ELb1ES3_N6thrust23THRUST_200600_302600_NS6detail15normal_iteratorINS9_10device_ptrIjEEEENS9_16discard_iteratorINS9_11use_defaultEEEjNS9_4plusIvEEjEEDaPvRmT3_T4_T5_mT6_P12ihipStream_tbENKUlT_T0_E_clISt17integral_constantIbLb0EESX_EEDaSS_ST_EUlSS_E_NS1_11comp_targetILNS1_3genE9ELNS1_11target_archE1100ELNS1_3gpuE3ELNS1_3repE0EEENS1_30default_config_static_selectorELNS0_4arch9wavefront6targetE1EEEvT1_,comdat
	.protected	_ZN7rocprim17ROCPRIM_400000_NS6detail17trampoline_kernelINS0_14default_configENS1_20scan_config_selectorIjEEZZNS1_9scan_implILNS1_25lookback_scan_determinismE0ELb1ELb1ES3_N6thrust23THRUST_200600_302600_NS6detail15normal_iteratorINS9_10device_ptrIjEEEENS9_16discard_iteratorINS9_11use_defaultEEEjNS9_4plusIvEEjEEDaPvRmT3_T4_T5_mT6_P12ihipStream_tbENKUlT_T0_E_clISt17integral_constantIbLb0EESX_EEDaSS_ST_EUlSS_E_NS1_11comp_targetILNS1_3genE9ELNS1_11target_archE1100ELNS1_3gpuE3ELNS1_3repE0EEENS1_30default_config_static_selectorELNS0_4arch9wavefront6targetE1EEEvT1_ ; -- Begin function _ZN7rocprim17ROCPRIM_400000_NS6detail17trampoline_kernelINS0_14default_configENS1_20scan_config_selectorIjEEZZNS1_9scan_implILNS1_25lookback_scan_determinismE0ELb1ELb1ES3_N6thrust23THRUST_200600_302600_NS6detail15normal_iteratorINS9_10device_ptrIjEEEENS9_16discard_iteratorINS9_11use_defaultEEEjNS9_4plusIvEEjEEDaPvRmT3_T4_T5_mT6_P12ihipStream_tbENKUlT_T0_E_clISt17integral_constantIbLb0EESX_EEDaSS_ST_EUlSS_E_NS1_11comp_targetILNS1_3genE9ELNS1_11target_archE1100ELNS1_3gpuE3ELNS1_3repE0EEENS1_30default_config_static_selectorELNS0_4arch9wavefront6targetE1EEEvT1_
	.globl	_ZN7rocprim17ROCPRIM_400000_NS6detail17trampoline_kernelINS0_14default_configENS1_20scan_config_selectorIjEEZZNS1_9scan_implILNS1_25lookback_scan_determinismE0ELb1ELb1ES3_N6thrust23THRUST_200600_302600_NS6detail15normal_iteratorINS9_10device_ptrIjEEEENS9_16discard_iteratorINS9_11use_defaultEEEjNS9_4plusIvEEjEEDaPvRmT3_T4_T5_mT6_P12ihipStream_tbENKUlT_T0_E_clISt17integral_constantIbLb0EESX_EEDaSS_ST_EUlSS_E_NS1_11comp_targetILNS1_3genE9ELNS1_11target_archE1100ELNS1_3gpuE3ELNS1_3repE0EEENS1_30default_config_static_selectorELNS0_4arch9wavefront6targetE1EEEvT1_
	.p2align	8
	.type	_ZN7rocprim17ROCPRIM_400000_NS6detail17trampoline_kernelINS0_14default_configENS1_20scan_config_selectorIjEEZZNS1_9scan_implILNS1_25lookback_scan_determinismE0ELb1ELb1ES3_N6thrust23THRUST_200600_302600_NS6detail15normal_iteratorINS9_10device_ptrIjEEEENS9_16discard_iteratorINS9_11use_defaultEEEjNS9_4plusIvEEjEEDaPvRmT3_T4_T5_mT6_P12ihipStream_tbENKUlT_T0_E_clISt17integral_constantIbLb0EESX_EEDaSS_ST_EUlSS_E_NS1_11comp_targetILNS1_3genE9ELNS1_11target_archE1100ELNS1_3gpuE3ELNS1_3repE0EEENS1_30default_config_static_selectorELNS0_4arch9wavefront6targetE1EEEvT1_,@function
_ZN7rocprim17ROCPRIM_400000_NS6detail17trampoline_kernelINS0_14default_configENS1_20scan_config_selectorIjEEZZNS1_9scan_implILNS1_25lookback_scan_determinismE0ELb1ELb1ES3_N6thrust23THRUST_200600_302600_NS6detail15normal_iteratorINS9_10device_ptrIjEEEENS9_16discard_iteratorINS9_11use_defaultEEEjNS9_4plusIvEEjEEDaPvRmT3_T4_T5_mT6_P12ihipStream_tbENKUlT_T0_E_clISt17integral_constantIbLb0EESX_EEDaSS_ST_EUlSS_E_NS1_11comp_targetILNS1_3genE9ELNS1_11target_archE1100ELNS1_3gpuE3ELNS1_3repE0EEENS1_30default_config_static_selectorELNS0_4arch9wavefront6targetE1EEEvT1_: ; @_ZN7rocprim17ROCPRIM_400000_NS6detail17trampoline_kernelINS0_14default_configENS1_20scan_config_selectorIjEEZZNS1_9scan_implILNS1_25lookback_scan_determinismE0ELb1ELb1ES3_N6thrust23THRUST_200600_302600_NS6detail15normal_iteratorINS9_10device_ptrIjEEEENS9_16discard_iteratorINS9_11use_defaultEEEjNS9_4plusIvEEjEEDaPvRmT3_T4_T5_mT6_P12ihipStream_tbENKUlT_T0_E_clISt17integral_constantIbLb0EESX_EEDaSS_ST_EUlSS_E_NS1_11comp_targetILNS1_3genE9ELNS1_11target_archE1100ELNS1_3gpuE3ELNS1_3repE0EEENS1_30default_config_static_selectorELNS0_4arch9wavefront6targetE1EEEvT1_
; %bb.0:
	.section	.rodata,"a",@progbits
	.p2align	6, 0x0
	.amdhsa_kernel _ZN7rocprim17ROCPRIM_400000_NS6detail17trampoline_kernelINS0_14default_configENS1_20scan_config_selectorIjEEZZNS1_9scan_implILNS1_25lookback_scan_determinismE0ELb1ELb1ES3_N6thrust23THRUST_200600_302600_NS6detail15normal_iteratorINS9_10device_ptrIjEEEENS9_16discard_iteratorINS9_11use_defaultEEEjNS9_4plusIvEEjEEDaPvRmT3_T4_T5_mT6_P12ihipStream_tbENKUlT_T0_E_clISt17integral_constantIbLb0EESX_EEDaSS_ST_EUlSS_E_NS1_11comp_targetILNS1_3genE9ELNS1_11target_archE1100ELNS1_3gpuE3ELNS1_3repE0EEENS1_30default_config_static_selectorELNS0_4arch9wavefront6targetE1EEEvT1_
		.amdhsa_group_segment_fixed_size 0
		.amdhsa_private_segment_fixed_size 0
		.amdhsa_kernarg_size 104
		.amdhsa_user_sgpr_count 6
		.amdhsa_user_sgpr_private_segment_buffer 1
		.amdhsa_user_sgpr_dispatch_ptr 0
		.amdhsa_user_sgpr_queue_ptr 0
		.amdhsa_user_sgpr_kernarg_segment_ptr 1
		.amdhsa_user_sgpr_dispatch_id 0
		.amdhsa_user_sgpr_flat_scratch_init 0
		.amdhsa_user_sgpr_kernarg_preload_length 0
		.amdhsa_user_sgpr_kernarg_preload_offset 0
		.amdhsa_user_sgpr_private_segment_size 0
		.amdhsa_uses_dynamic_stack 0
		.amdhsa_system_sgpr_private_segment_wavefront_offset 0
		.amdhsa_system_sgpr_workgroup_id_x 1
		.amdhsa_system_sgpr_workgroup_id_y 0
		.amdhsa_system_sgpr_workgroup_id_z 0
		.amdhsa_system_sgpr_workgroup_info 0
		.amdhsa_system_vgpr_workitem_id 0
		.amdhsa_next_free_vgpr 1
		.amdhsa_next_free_sgpr 0
		.amdhsa_accum_offset 4
		.amdhsa_reserve_vcc 0
		.amdhsa_reserve_flat_scratch 0
		.amdhsa_float_round_mode_32 0
		.amdhsa_float_round_mode_16_64 0
		.amdhsa_float_denorm_mode_32 3
		.amdhsa_float_denorm_mode_16_64 3
		.amdhsa_dx10_clamp 1
		.amdhsa_ieee_mode 1
		.amdhsa_fp16_overflow 0
		.amdhsa_tg_split 0
		.amdhsa_exception_fp_ieee_invalid_op 0
		.amdhsa_exception_fp_denorm_src 0
		.amdhsa_exception_fp_ieee_div_zero 0
		.amdhsa_exception_fp_ieee_overflow 0
		.amdhsa_exception_fp_ieee_underflow 0
		.amdhsa_exception_fp_ieee_inexact 0
		.amdhsa_exception_int_div_zero 0
	.end_amdhsa_kernel
	.section	.text._ZN7rocprim17ROCPRIM_400000_NS6detail17trampoline_kernelINS0_14default_configENS1_20scan_config_selectorIjEEZZNS1_9scan_implILNS1_25lookback_scan_determinismE0ELb1ELb1ES3_N6thrust23THRUST_200600_302600_NS6detail15normal_iteratorINS9_10device_ptrIjEEEENS9_16discard_iteratorINS9_11use_defaultEEEjNS9_4plusIvEEjEEDaPvRmT3_T4_T5_mT6_P12ihipStream_tbENKUlT_T0_E_clISt17integral_constantIbLb0EESX_EEDaSS_ST_EUlSS_E_NS1_11comp_targetILNS1_3genE9ELNS1_11target_archE1100ELNS1_3gpuE3ELNS1_3repE0EEENS1_30default_config_static_selectorELNS0_4arch9wavefront6targetE1EEEvT1_,"axG",@progbits,_ZN7rocprim17ROCPRIM_400000_NS6detail17trampoline_kernelINS0_14default_configENS1_20scan_config_selectorIjEEZZNS1_9scan_implILNS1_25lookback_scan_determinismE0ELb1ELb1ES3_N6thrust23THRUST_200600_302600_NS6detail15normal_iteratorINS9_10device_ptrIjEEEENS9_16discard_iteratorINS9_11use_defaultEEEjNS9_4plusIvEEjEEDaPvRmT3_T4_T5_mT6_P12ihipStream_tbENKUlT_T0_E_clISt17integral_constantIbLb0EESX_EEDaSS_ST_EUlSS_E_NS1_11comp_targetILNS1_3genE9ELNS1_11target_archE1100ELNS1_3gpuE3ELNS1_3repE0EEENS1_30default_config_static_selectorELNS0_4arch9wavefront6targetE1EEEvT1_,comdat
.Lfunc_end5373:
	.size	_ZN7rocprim17ROCPRIM_400000_NS6detail17trampoline_kernelINS0_14default_configENS1_20scan_config_selectorIjEEZZNS1_9scan_implILNS1_25lookback_scan_determinismE0ELb1ELb1ES3_N6thrust23THRUST_200600_302600_NS6detail15normal_iteratorINS9_10device_ptrIjEEEENS9_16discard_iteratorINS9_11use_defaultEEEjNS9_4plusIvEEjEEDaPvRmT3_T4_T5_mT6_P12ihipStream_tbENKUlT_T0_E_clISt17integral_constantIbLb0EESX_EEDaSS_ST_EUlSS_E_NS1_11comp_targetILNS1_3genE9ELNS1_11target_archE1100ELNS1_3gpuE3ELNS1_3repE0EEENS1_30default_config_static_selectorELNS0_4arch9wavefront6targetE1EEEvT1_, .Lfunc_end5373-_ZN7rocprim17ROCPRIM_400000_NS6detail17trampoline_kernelINS0_14default_configENS1_20scan_config_selectorIjEEZZNS1_9scan_implILNS1_25lookback_scan_determinismE0ELb1ELb1ES3_N6thrust23THRUST_200600_302600_NS6detail15normal_iteratorINS9_10device_ptrIjEEEENS9_16discard_iteratorINS9_11use_defaultEEEjNS9_4plusIvEEjEEDaPvRmT3_T4_T5_mT6_P12ihipStream_tbENKUlT_T0_E_clISt17integral_constantIbLb0EESX_EEDaSS_ST_EUlSS_E_NS1_11comp_targetILNS1_3genE9ELNS1_11target_archE1100ELNS1_3gpuE3ELNS1_3repE0EEENS1_30default_config_static_selectorELNS0_4arch9wavefront6targetE1EEEvT1_
                                        ; -- End function
	.section	.AMDGPU.csdata,"",@progbits
; Kernel info:
; codeLenInByte = 0
; NumSgprs: 4
; NumVgprs: 0
; NumAgprs: 0
; TotalNumVgprs: 0
; ScratchSize: 0
; MemoryBound: 0
; FloatMode: 240
; IeeeMode: 1
; LDSByteSize: 0 bytes/workgroup (compile time only)
; SGPRBlocks: 0
; VGPRBlocks: 0
; NumSGPRsForWavesPerEU: 4
; NumVGPRsForWavesPerEU: 1
; AccumOffset: 4
; Occupancy: 8
; WaveLimiterHint : 0
; COMPUTE_PGM_RSRC2:SCRATCH_EN: 0
; COMPUTE_PGM_RSRC2:USER_SGPR: 6
; COMPUTE_PGM_RSRC2:TRAP_HANDLER: 0
; COMPUTE_PGM_RSRC2:TGID_X_EN: 1
; COMPUTE_PGM_RSRC2:TGID_Y_EN: 0
; COMPUTE_PGM_RSRC2:TGID_Z_EN: 0
; COMPUTE_PGM_RSRC2:TIDIG_COMP_CNT: 0
; COMPUTE_PGM_RSRC3_GFX90A:ACCUM_OFFSET: 0
; COMPUTE_PGM_RSRC3_GFX90A:TG_SPLIT: 0
	.section	.text._ZN7rocprim17ROCPRIM_400000_NS6detail17trampoline_kernelINS0_14default_configENS1_20scan_config_selectorIjEEZZNS1_9scan_implILNS1_25lookback_scan_determinismE0ELb1ELb1ES3_N6thrust23THRUST_200600_302600_NS6detail15normal_iteratorINS9_10device_ptrIjEEEENS9_16discard_iteratorINS9_11use_defaultEEEjNS9_4plusIvEEjEEDaPvRmT3_T4_T5_mT6_P12ihipStream_tbENKUlT_T0_E_clISt17integral_constantIbLb0EESX_EEDaSS_ST_EUlSS_E_NS1_11comp_targetILNS1_3genE8ELNS1_11target_archE1030ELNS1_3gpuE2ELNS1_3repE0EEENS1_30default_config_static_selectorELNS0_4arch9wavefront6targetE1EEEvT1_,"axG",@progbits,_ZN7rocprim17ROCPRIM_400000_NS6detail17trampoline_kernelINS0_14default_configENS1_20scan_config_selectorIjEEZZNS1_9scan_implILNS1_25lookback_scan_determinismE0ELb1ELb1ES3_N6thrust23THRUST_200600_302600_NS6detail15normal_iteratorINS9_10device_ptrIjEEEENS9_16discard_iteratorINS9_11use_defaultEEEjNS9_4plusIvEEjEEDaPvRmT3_T4_T5_mT6_P12ihipStream_tbENKUlT_T0_E_clISt17integral_constantIbLb0EESX_EEDaSS_ST_EUlSS_E_NS1_11comp_targetILNS1_3genE8ELNS1_11target_archE1030ELNS1_3gpuE2ELNS1_3repE0EEENS1_30default_config_static_selectorELNS0_4arch9wavefront6targetE1EEEvT1_,comdat
	.protected	_ZN7rocprim17ROCPRIM_400000_NS6detail17trampoline_kernelINS0_14default_configENS1_20scan_config_selectorIjEEZZNS1_9scan_implILNS1_25lookback_scan_determinismE0ELb1ELb1ES3_N6thrust23THRUST_200600_302600_NS6detail15normal_iteratorINS9_10device_ptrIjEEEENS9_16discard_iteratorINS9_11use_defaultEEEjNS9_4plusIvEEjEEDaPvRmT3_T4_T5_mT6_P12ihipStream_tbENKUlT_T0_E_clISt17integral_constantIbLb0EESX_EEDaSS_ST_EUlSS_E_NS1_11comp_targetILNS1_3genE8ELNS1_11target_archE1030ELNS1_3gpuE2ELNS1_3repE0EEENS1_30default_config_static_selectorELNS0_4arch9wavefront6targetE1EEEvT1_ ; -- Begin function _ZN7rocprim17ROCPRIM_400000_NS6detail17trampoline_kernelINS0_14default_configENS1_20scan_config_selectorIjEEZZNS1_9scan_implILNS1_25lookback_scan_determinismE0ELb1ELb1ES3_N6thrust23THRUST_200600_302600_NS6detail15normal_iteratorINS9_10device_ptrIjEEEENS9_16discard_iteratorINS9_11use_defaultEEEjNS9_4plusIvEEjEEDaPvRmT3_T4_T5_mT6_P12ihipStream_tbENKUlT_T0_E_clISt17integral_constantIbLb0EESX_EEDaSS_ST_EUlSS_E_NS1_11comp_targetILNS1_3genE8ELNS1_11target_archE1030ELNS1_3gpuE2ELNS1_3repE0EEENS1_30default_config_static_selectorELNS0_4arch9wavefront6targetE1EEEvT1_
	.globl	_ZN7rocprim17ROCPRIM_400000_NS6detail17trampoline_kernelINS0_14default_configENS1_20scan_config_selectorIjEEZZNS1_9scan_implILNS1_25lookback_scan_determinismE0ELb1ELb1ES3_N6thrust23THRUST_200600_302600_NS6detail15normal_iteratorINS9_10device_ptrIjEEEENS9_16discard_iteratorINS9_11use_defaultEEEjNS9_4plusIvEEjEEDaPvRmT3_T4_T5_mT6_P12ihipStream_tbENKUlT_T0_E_clISt17integral_constantIbLb0EESX_EEDaSS_ST_EUlSS_E_NS1_11comp_targetILNS1_3genE8ELNS1_11target_archE1030ELNS1_3gpuE2ELNS1_3repE0EEENS1_30default_config_static_selectorELNS0_4arch9wavefront6targetE1EEEvT1_
	.p2align	8
	.type	_ZN7rocprim17ROCPRIM_400000_NS6detail17trampoline_kernelINS0_14default_configENS1_20scan_config_selectorIjEEZZNS1_9scan_implILNS1_25lookback_scan_determinismE0ELb1ELb1ES3_N6thrust23THRUST_200600_302600_NS6detail15normal_iteratorINS9_10device_ptrIjEEEENS9_16discard_iteratorINS9_11use_defaultEEEjNS9_4plusIvEEjEEDaPvRmT3_T4_T5_mT6_P12ihipStream_tbENKUlT_T0_E_clISt17integral_constantIbLb0EESX_EEDaSS_ST_EUlSS_E_NS1_11comp_targetILNS1_3genE8ELNS1_11target_archE1030ELNS1_3gpuE2ELNS1_3repE0EEENS1_30default_config_static_selectorELNS0_4arch9wavefront6targetE1EEEvT1_,@function
_ZN7rocprim17ROCPRIM_400000_NS6detail17trampoline_kernelINS0_14default_configENS1_20scan_config_selectorIjEEZZNS1_9scan_implILNS1_25lookback_scan_determinismE0ELb1ELb1ES3_N6thrust23THRUST_200600_302600_NS6detail15normal_iteratorINS9_10device_ptrIjEEEENS9_16discard_iteratorINS9_11use_defaultEEEjNS9_4plusIvEEjEEDaPvRmT3_T4_T5_mT6_P12ihipStream_tbENKUlT_T0_E_clISt17integral_constantIbLb0EESX_EEDaSS_ST_EUlSS_E_NS1_11comp_targetILNS1_3genE8ELNS1_11target_archE1030ELNS1_3gpuE2ELNS1_3repE0EEENS1_30default_config_static_selectorELNS0_4arch9wavefront6targetE1EEEvT1_: ; @_ZN7rocprim17ROCPRIM_400000_NS6detail17trampoline_kernelINS0_14default_configENS1_20scan_config_selectorIjEEZZNS1_9scan_implILNS1_25lookback_scan_determinismE0ELb1ELb1ES3_N6thrust23THRUST_200600_302600_NS6detail15normal_iteratorINS9_10device_ptrIjEEEENS9_16discard_iteratorINS9_11use_defaultEEEjNS9_4plusIvEEjEEDaPvRmT3_T4_T5_mT6_P12ihipStream_tbENKUlT_T0_E_clISt17integral_constantIbLb0EESX_EEDaSS_ST_EUlSS_E_NS1_11comp_targetILNS1_3genE8ELNS1_11target_archE1030ELNS1_3gpuE2ELNS1_3repE0EEENS1_30default_config_static_selectorELNS0_4arch9wavefront6targetE1EEEvT1_
; %bb.0:
	.section	.rodata,"a",@progbits
	.p2align	6, 0x0
	.amdhsa_kernel _ZN7rocprim17ROCPRIM_400000_NS6detail17trampoline_kernelINS0_14default_configENS1_20scan_config_selectorIjEEZZNS1_9scan_implILNS1_25lookback_scan_determinismE0ELb1ELb1ES3_N6thrust23THRUST_200600_302600_NS6detail15normal_iteratorINS9_10device_ptrIjEEEENS9_16discard_iteratorINS9_11use_defaultEEEjNS9_4plusIvEEjEEDaPvRmT3_T4_T5_mT6_P12ihipStream_tbENKUlT_T0_E_clISt17integral_constantIbLb0EESX_EEDaSS_ST_EUlSS_E_NS1_11comp_targetILNS1_3genE8ELNS1_11target_archE1030ELNS1_3gpuE2ELNS1_3repE0EEENS1_30default_config_static_selectorELNS0_4arch9wavefront6targetE1EEEvT1_
		.amdhsa_group_segment_fixed_size 0
		.amdhsa_private_segment_fixed_size 0
		.amdhsa_kernarg_size 104
		.amdhsa_user_sgpr_count 6
		.amdhsa_user_sgpr_private_segment_buffer 1
		.amdhsa_user_sgpr_dispatch_ptr 0
		.amdhsa_user_sgpr_queue_ptr 0
		.amdhsa_user_sgpr_kernarg_segment_ptr 1
		.amdhsa_user_sgpr_dispatch_id 0
		.amdhsa_user_sgpr_flat_scratch_init 0
		.amdhsa_user_sgpr_kernarg_preload_length 0
		.amdhsa_user_sgpr_kernarg_preload_offset 0
		.amdhsa_user_sgpr_private_segment_size 0
		.amdhsa_uses_dynamic_stack 0
		.amdhsa_system_sgpr_private_segment_wavefront_offset 0
		.amdhsa_system_sgpr_workgroup_id_x 1
		.amdhsa_system_sgpr_workgroup_id_y 0
		.amdhsa_system_sgpr_workgroup_id_z 0
		.amdhsa_system_sgpr_workgroup_info 0
		.amdhsa_system_vgpr_workitem_id 0
		.amdhsa_next_free_vgpr 1
		.amdhsa_next_free_sgpr 0
		.amdhsa_accum_offset 4
		.amdhsa_reserve_vcc 0
		.amdhsa_reserve_flat_scratch 0
		.amdhsa_float_round_mode_32 0
		.amdhsa_float_round_mode_16_64 0
		.amdhsa_float_denorm_mode_32 3
		.amdhsa_float_denorm_mode_16_64 3
		.amdhsa_dx10_clamp 1
		.amdhsa_ieee_mode 1
		.amdhsa_fp16_overflow 0
		.amdhsa_tg_split 0
		.amdhsa_exception_fp_ieee_invalid_op 0
		.amdhsa_exception_fp_denorm_src 0
		.amdhsa_exception_fp_ieee_div_zero 0
		.amdhsa_exception_fp_ieee_overflow 0
		.amdhsa_exception_fp_ieee_underflow 0
		.amdhsa_exception_fp_ieee_inexact 0
		.amdhsa_exception_int_div_zero 0
	.end_amdhsa_kernel
	.section	.text._ZN7rocprim17ROCPRIM_400000_NS6detail17trampoline_kernelINS0_14default_configENS1_20scan_config_selectorIjEEZZNS1_9scan_implILNS1_25lookback_scan_determinismE0ELb1ELb1ES3_N6thrust23THRUST_200600_302600_NS6detail15normal_iteratorINS9_10device_ptrIjEEEENS9_16discard_iteratorINS9_11use_defaultEEEjNS9_4plusIvEEjEEDaPvRmT3_T4_T5_mT6_P12ihipStream_tbENKUlT_T0_E_clISt17integral_constantIbLb0EESX_EEDaSS_ST_EUlSS_E_NS1_11comp_targetILNS1_3genE8ELNS1_11target_archE1030ELNS1_3gpuE2ELNS1_3repE0EEENS1_30default_config_static_selectorELNS0_4arch9wavefront6targetE1EEEvT1_,"axG",@progbits,_ZN7rocprim17ROCPRIM_400000_NS6detail17trampoline_kernelINS0_14default_configENS1_20scan_config_selectorIjEEZZNS1_9scan_implILNS1_25lookback_scan_determinismE0ELb1ELb1ES3_N6thrust23THRUST_200600_302600_NS6detail15normal_iteratorINS9_10device_ptrIjEEEENS9_16discard_iteratorINS9_11use_defaultEEEjNS9_4plusIvEEjEEDaPvRmT3_T4_T5_mT6_P12ihipStream_tbENKUlT_T0_E_clISt17integral_constantIbLb0EESX_EEDaSS_ST_EUlSS_E_NS1_11comp_targetILNS1_3genE8ELNS1_11target_archE1030ELNS1_3gpuE2ELNS1_3repE0EEENS1_30default_config_static_selectorELNS0_4arch9wavefront6targetE1EEEvT1_,comdat
.Lfunc_end5374:
	.size	_ZN7rocprim17ROCPRIM_400000_NS6detail17trampoline_kernelINS0_14default_configENS1_20scan_config_selectorIjEEZZNS1_9scan_implILNS1_25lookback_scan_determinismE0ELb1ELb1ES3_N6thrust23THRUST_200600_302600_NS6detail15normal_iteratorINS9_10device_ptrIjEEEENS9_16discard_iteratorINS9_11use_defaultEEEjNS9_4plusIvEEjEEDaPvRmT3_T4_T5_mT6_P12ihipStream_tbENKUlT_T0_E_clISt17integral_constantIbLb0EESX_EEDaSS_ST_EUlSS_E_NS1_11comp_targetILNS1_3genE8ELNS1_11target_archE1030ELNS1_3gpuE2ELNS1_3repE0EEENS1_30default_config_static_selectorELNS0_4arch9wavefront6targetE1EEEvT1_, .Lfunc_end5374-_ZN7rocprim17ROCPRIM_400000_NS6detail17trampoline_kernelINS0_14default_configENS1_20scan_config_selectorIjEEZZNS1_9scan_implILNS1_25lookback_scan_determinismE0ELb1ELb1ES3_N6thrust23THRUST_200600_302600_NS6detail15normal_iteratorINS9_10device_ptrIjEEEENS9_16discard_iteratorINS9_11use_defaultEEEjNS9_4plusIvEEjEEDaPvRmT3_T4_T5_mT6_P12ihipStream_tbENKUlT_T0_E_clISt17integral_constantIbLb0EESX_EEDaSS_ST_EUlSS_E_NS1_11comp_targetILNS1_3genE8ELNS1_11target_archE1030ELNS1_3gpuE2ELNS1_3repE0EEENS1_30default_config_static_selectorELNS0_4arch9wavefront6targetE1EEEvT1_
                                        ; -- End function
	.section	.AMDGPU.csdata,"",@progbits
; Kernel info:
; codeLenInByte = 0
; NumSgprs: 4
; NumVgprs: 0
; NumAgprs: 0
; TotalNumVgprs: 0
; ScratchSize: 0
; MemoryBound: 0
; FloatMode: 240
; IeeeMode: 1
; LDSByteSize: 0 bytes/workgroup (compile time only)
; SGPRBlocks: 0
; VGPRBlocks: 0
; NumSGPRsForWavesPerEU: 4
; NumVGPRsForWavesPerEU: 1
; AccumOffset: 4
; Occupancy: 8
; WaveLimiterHint : 0
; COMPUTE_PGM_RSRC2:SCRATCH_EN: 0
; COMPUTE_PGM_RSRC2:USER_SGPR: 6
; COMPUTE_PGM_RSRC2:TRAP_HANDLER: 0
; COMPUTE_PGM_RSRC2:TGID_X_EN: 1
; COMPUTE_PGM_RSRC2:TGID_Y_EN: 0
; COMPUTE_PGM_RSRC2:TGID_Z_EN: 0
; COMPUTE_PGM_RSRC2:TIDIG_COMP_CNT: 0
; COMPUTE_PGM_RSRC3_GFX90A:ACCUM_OFFSET: 0
; COMPUTE_PGM_RSRC3_GFX90A:TG_SPLIT: 0
	.section	.text._ZN7rocprim17ROCPRIM_400000_NS6detail17trampoline_kernelINS0_14default_configENS1_20scan_config_selectorIjEEZZNS1_9scan_implILNS1_25lookback_scan_determinismE0ELb1ELb1ES3_N6thrust23THRUST_200600_302600_NS6detail15normal_iteratorINS9_10device_ptrIjEEEENS9_16discard_iteratorINS9_11use_defaultEEEjNS9_4plusIvEEjEEDaPvRmT3_T4_T5_mT6_P12ihipStream_tbENKUlT_T0_E_clISt17integral_constantIbLb0EESX_EEDaSS_ST_EUlSS_E0_NS1_11comp_targetILNS1_3genE0ELNS1_11target_archE4294967295ELNS1_3gpuE0ELNS1_3repE0EEENS1_30default_config_static_selectorELNS0_4arch9wavefront6targetE1EEEvT1_,"axG",@progbits,_ZN7rocprim17ROCPRIM_400000_NS6detail17trampoline_kernelINS0_14default_configENS1_20scan_config_selectorIjEEZZNS1_9scan_implILNS1_25lookback_scan_determinismE0ELb1ELb1ES3_N6thrust23THRUST_200600_302600_NS6detail15normal_iteratorINS9_10device_ptrIjEEEENS9_16discard_iteratorINS9_11use_defaultEEEjNS9_4plusIvEEjEEDaPvRmT3_T4_T5_mT6_P12ihipStream_tbENKUlT_T0_E_clISt17integral_constantIbLb0EESX_EEDaSS_ST_EUlSS_E0_NS1_11comp_targetILNS1_3genE0ELNS1_11target_archE4294967295ELNS1_3gpuE0ELNS1_3repE0EEENS1_30default_config_static_selectorELNS0_4arch9wavefront6targetE1EEEvT1_,comdat
	.protected	_ZN7rocprim17ROCPRIM_400000_NS6detail17trampoline_kernelINS0_14default_configENS1_20scan_config_selectorIjEEZZNS1_9scan_implILNS1_25lookback_scan_determinismE0ELb1ELb1ES3_N6thrust23THRUST_200600_302600_NS6detail15normal_iteratorINS9_10device_ptrIjEEEENS9_16discard_iteratorINS9_11use_defaultEEEjNS9_4plusIvEEjEEDaPvRmT3_T4_T5_mT6_P12ihipStream_tbENKUlT_T0_E_clISt17integral_constantIbLb0EESX_EEDaSS_ST_EUlSS_E0_NS1_11comp_targetILNS1_3genE0ELNS1_11target_archE4294967295ELNS1_3gpuE0ELNS1_3repE0EEENS1_30default_config_static_selectorELNS0_4arch9wavefront6targetE1EEEvT1_ ; -- Begin function _ZN7rocprim17ROCPRIM_400000_NS6detail17trampoline_kernelINS0_14default_configENS1_20scan_config_selectorIjEEZZNS1_9scan_implILNS1_25lookback_scan_determinismE0ELb1ELb1ES3_N6thrust23THRUST_200600_302600_NS6detail15normal_iteratorINS9_10device_ptrIjEEEENS9_16discard_iteratorINS9_11use_defaultEEEjNS9_4plusIvEEjEEDaPvRmT3_T4_T5_mT6_P12ihipStream_tbENKUlT_T0_E_clISt17integral_constantIbLb0EESX_EEDaSS_ST_EUlSS_E0_NS1_11comp_targetILNS1_3genE0ELNS1_11target_archE4294967295ELNS1_3gpuE0ELNS1_3repE0EEENS1_30default_config_static_selectorELNS0_4arch9wavefront6targetE1EEEvT1_
	.globl	_ZN7rocprim17ROCPRIM_400000_NS6detail17trampoline_kernelINS0_14default_configENS1_20scan_config_selectorIjEEZZNS1_9scan_implILNS1_25lookback_scan_determinismE0ELb1ELb1ES3_N6thrust23THRUST_200600_302600_NS6detail15normal_iteratorINS9_10device_ptrIjEEEENS9_16discard_iteratorINS9_11use_defaultEEEjNS9_4plusIvEEjEEDaPvRmT3_T4_T5_mT6_P12ihipStream_tbENKUlT_T0_E_clISt17integral_constantIbLb0EESX_EEDaSS_ST_EUlSS_E0_NS1_11comp_targetILNS1_3genE0ELNS1_11target_archE4294967295ELNS1_3gpuE0ELNS1_3repE0EEENS1_30default_config_static_selectorELNS0_4arch9wavefront6targetE1EEEvT1_
	.p2align	8
	.type	_ZN7rocprim17ROCPRIM_400000_NS6detail17trampoline_kernelINS0_14default_configENS1_20scan_config_selectorIjEEZZNS1_9scan_implILNS1_25lookback_scan_determinismE0ELb1ELb1ES3_N6thrust23THRUST_200600_302600_NS6detail15normal_iteratorINS9_10device_ptrIjEEEENS9_16discard_iteratorINS9_11use_defaultEEEjNS9_4plusIvEEjEEDaPvRmT3_T4_T5_mT6_P12ihipStream_tbENKUlT_T0_E_clISt17integral_constantIbLb0EESX_EEDaSS_ST_EUlSS_E0_NS1_11comp_targetILNS1_3genE0ELNS1_11target_archE4294967295ELNS1_3gpuE0ELNS1_3repE0EEENS1_30default_config_static_selectorELNS0_4arch9wavefront6targetE1EEEvT1_,@function
_ZN7rocprim17ROCPRIM_400000_NS6detail17trampoline_kernelINS0_14default_configENS1_20scan_config_selectorIjEEZZNS1_9scan_implILNS1_25lookback_scan_determinismE0ELb1ELb1ES3_N6thrust23THRUST_200600_302600_NS6detail15normal_iteratorINS9_10device_ptrIjEEEENS9_16discard_iteratorINS9_11use_defaultEEEjNS9_4plusIvEEjEEDaPvRmT3_T4_T5_mT6_P12ihipStream_tbENKUlT_T0_E_clISt17integral_constantIbLb0EESX_EEDaSS_ST_EUlSS_E0_NS1_11comp_targetILNS1_3genE0ELNS1_11target_archE4294967295ELNS1_3gpuE0ELNS1_3repE0EEENS1_30default_config_static_selectorELNS0_4arch9wavefront6targetE1EEEvT1_: ; @_ZN7rocprim17ROCPRIM_400000_NS6detail17trampoline_kernelINS0_14default_configENS1_20scan_config_selectorIjEEZZNS1_9scan_implILNS1_25lookback_scan_determinismE0ELb1ELb1ES3_N6thrust23THRUST_200600_302600_NS6detail15normal_iteratorINS9_10device_ptrIjEEEENS9_16discard_iteratorINS9_11use_defaultEEEjNS9_4plusIvEEjEEDaPvRmT3_T4_T5_mT6_P12ihipStream_tbENKUlT_T0_E_clISt17integral_constantIbLb0EESX_EEDaSS_ST_EUlSS_E0_NS1_11comp_targetILNS1_3genE0ELNS1_11target_archE4294967295ELNS1_3gpuE0ELNS1_3repE0EEENS1_30default_config_static_selectorELNS0_4arch9wavefront6targetE1EEEvT1_
; %bb.0:
	.section	.rodata,"a",@progbits
	.p2align	6, 0x0
	.amdhsa_kernel _ZN7rocprim17ROCPRIM_400000_NS6detail17trampoline_kernelINS0_14default_configENS1_20scan_config_selectorIjEEZZNS1_9scan_implILNS1_25lookback_scan_determinismE0ELb1ELb1ES3_N6thrust23THRUST_200600_302600_NS6detail15normal_iteratorINS9_10device_ptrIjEEEENS9_16discard_iteratorINS9_11use_defaultEEEjNS9_4plusIvEEjEEDaPvRmT3_T4_T5_mT6_P12ihipStream_tbENKUlT_T0_E_clISt17integral_constantIbLb0EESX_EEDaSS_ST_EUlSS_E0_NS1_11comp_targetILNS1_3genE0ELNS1_11target_archE4294967295ELNS1_3gpuE0ELNS1_3repE0EEENS1_30default_config_static_selectorELNS0_4arch9wavefront6targetE1EEEvT1_
		.amdhsa_group_segment_fixed_size 0
		.amdhsa_private_segment_fixed_size 0
		.amdhsa_kernarg_size 40
		.amdhsa_user_sgpr_count 6
		.amdhsa_user_sgpr_private_segment_buffer 1
		.amdhsa_user_sgpr_dispatch_ptr 0
		.amdhsa_user_sgpr_queue_ptr 0
		.amdhsa_user_sgpr_kernarg_segment_ptr 1
		.amdhsa_user_sgpr_dispatch_id 0
		.amdhsa_user_sgpr_flat_scratch_init 0
		.amdhsa_user_sgpr_kernarg_preload_length 0
		.amdhsa_user_sgpr_kernarg_preload_offset 0
		.amdhsa_user_sgpr_private_segment_size 0
		.amdhsa_uses_dynamic_stack 0
		.amdhsa_system_sgpr_private_segment_wavefront_offset 0
		.amdhsa_system_sgpr_workgroup_id_x 1
		.amdhsa_system_sgpr_workgroup_id_y 0
		.amdhsa_system_sgpr_workgroup_id_z 0
		.amdhsa_system_sgpr_workgroup_info 0
		.amdhsa_system_vgpr_workitem_id 0
		.amdhsa_next_free_vgpr 1
		.amdhsa_next_free_sgpr 0
		.amdhsa_accum_offset 4
		.amdhsa_reserve_vcc 0
		.amdhsa_reserve_flat_scratch 0
		.amdhsa_float_round_mode_32 0
		.amdhsa_float_round_mode_16_64 0
		.amdhsa_float_denorm_mode_32 3
		.amdhsa_float_denorm_mode_16_64 3
		.amdhsa_dx10_clamp 1
		.amdhsa_ieee_mode 1
		.amdhsa_fp16_overflow 0
		.amdhsa_tg_split 0
		.amdhsa_exception_fp_ieee_invalid_op 0
		.amdhsa_exception_fp_denorm_src 0
		.amdhsa_exception_fp_ieee_div_zero 0
		.amdhsa_exception_fp_ieee_overflow 0
		.amdhsa_exception_fp_ieee_underflow 0
		.amdhsa_exception_fp_ieee_inexact 0
		.amdhsa_exception_int_div_zero 0
	.end_amdhsa_kernel
	.section	.text._ZN7rocprim17ROCPRIM_400000_NS6detail17trampoline_kernelINS0_14default_configENS1_20scan_config_selectorIjEEZZNS1_9scan_implILNS1_25lookback_scan_determinismE0ELb1ELb1ES3_N6thrust23THRUST_200600_302600_NS6detail15normal_iteratorINS9_10device_ptrIjEEEENS9_16discard_iteratorINS9_11use_defaultEEEjNS9_4plusIvEEjEEDaPvRmT3_T4_T5_mT6_P12ihipStream_tbENKUlT_T0_E_clISt17integral_constantIbLb0EESX_EEDaSS_ST_EUlSS_E0_NS1_11comp_targetILNS1_3genE0ELNS1_11target_archE4294967295ELNS1_3gpuE0ELNS1_3repE0EEENS1_30default_config_static_selectorELNS0_4arch9wavefront6targetE1EEEvT1_,"axG",@progbits,_ZN7rocprim17ROCPRIM_400000_NS6detail17trampoline_kernelINS0_14default_configENS1_20scan_config_selectorIjEEZZNS1_9scan_implILNS1_25lookback_scan_determinismE0ELb1ELb1ES3_N6thrust23THRUST_200600_302600_NS6detail15normal_iteratorINS9_10device_ptrIjEEEENS9_16discard_iteratorINS9_11use_defaultEEEjNS9_4plusIvEEjEEDaPvRmT3_T4_T5_mT6_P12ihipStream_tbENKUlT_T0_E_clISt17integral_constantIbLb0EESX_EEDaSS_ST_EUlSS_E0_NS1_11comp_targetILNS1_3genE0ELNS1_11target_archE4294967295ELNS1_3gpuE0ELNS1_3repE0EEENS1_30default_config_static_selectorELNS0_4arch9wavefront6targetE1EEEvT1_,comdat
.Lfunc_end5375:
	.size	_ZN7rocprim17ROCPRIM_400000_NS6detail17trampoline_kernelINS0_14default_configENS1_20scan_config_selectorIjEEZZNS1_9scan_implILNS1_25lookback_scan_determinismE0ELb1ELb1ES3_N6thrust23THRUST_200600_302600_NS6detail15normal_iteratorINS9_10device_ptrIjEEEENS9_16discard_iteratorINS9_11use_defaultEEEjNS9_4plusIvEEjEEDaPvRmT3_T4_T5_mT6_P12ihipStream_tbENKUlT_T0_E_clISt17integral_constantIbLb0EESX_EEDaSS_ST_EUlSS_E0_NS1_11comp_targetILNS1_3genE0ELNS1_11target_archE4294967295ELNS1_3gpuE0ELNS1_3repE0EEENS1_30default_config_static_selectorELNS0_4arch9wavefront6targetE1EEEvT1_, .Lfunc_end5375-_ZN7rocprim17ROCPRIM_400000_NS6detail17trampoline_kernelINS0_14default_configENS1_20scan_config_selectorIjEEZZNS1_9scan_implILNS1_25lookback_scan_determinismE0ELb1ELb1ES3_N6thrust23THRUST_200600_302600_NS6detail15normal_iteratorINS9_10device_ptrIjEEEENS9_16discard_iteratorINS9_11use_defaultEEEjNS9_4plusIvEEjEEDaPvRmT3_T4_T5_mT6_P12ihipStream_tbENKUlT_T0_E_clISt17integral_constantIbLb0EESX_EEDaSS_ST_EUlSS_E0_NS1_11comp_targetILNS1_3genE0ELNS1_11target_archE4294967295ELNS1_3gpuE0ELNS1_3repE0EEENS1_30default_config_static_selectorELNS0_4arch9wavefront6targetE1EEEvT1_
                                        ; -- End function
	.section	.AMDGPU.csdata,"",@progbits
; Kernel info:
; codeLenInByte = 0
; NumSgprs: 4
; NumVgprs: 0
; NumAgprs: 0
; TotalNumVgprs: 0
; ScratchSize: 0
; MemoryBound: 0
; FloatMode: 240
; IeeeMode: 1
; LDSByteSize: 0 bytes/workgroup (compile time only)
; SGPRBlocks: 0
; VGPRBlocks: 0
; NumSGPRsForWavesPerEU: 4
; NumVGPRsForWavesPerEU: 1
; AccumOffset: 4
; Occupancy: 8
; WaveLimiterHint : 0
; COMPUTE_PGM_RSRC2:SCRATCH_EN: 0
; COMPUTE_PGM_RSRC2:USER_SGPR: 6
; COMPUTE_PGM_RSRC2:TRAP_HANDLER: 0
; COMPUTE_PGM_RSRC2:TGID_X_EN: 1
; COMPUTE_PGM_RSRC2:TGID_Y_EN: 0
; COMPUTE_PGM_RSRC2:TGID_Z_EN: 0
; COMPUTE_PGM_RSRC2:TIDIG_COMP_CNT: 0
; COMPUTE_PGM_RSRC3_GFX90A:ACCUM_OFFSET: 0
; COMPUTE_PGM_RSRC3_GFX90A:TG_SPLIT: 0
	.section	.text._ZN7rocprim17ROCPRIM_400000_NS6detail17trampoline_kernelINS0_14default_configENS1_20scan_config_selectorIjEEZZNS1_9scan_implILNS1_25lookback_scan_determinismE0ELb1ELb1ES3_N6thrust23THRUST_200600_302600_NS6detail15normal_iteratorINS9_10device_ptrIjEEEENS9_16discard_iteratorINS9_11use_defaultEEEjNS9_4plusIvEEjEEDaPvRmT3_T4_T5_mT6_P12ihipStream_tbENKUlT_T0_E_clISt17integral_constantIbLb0EESX_EEDaSS_ST_EUlSS_E0_NS1_11comp_targetILNS1_3genE5ELNS1_11target_archE942ELNS1_3gpuE9ELNS1_3repE0EEENS1_30default_config_static_selectorELNS0_4arch9wavefront6targetE1EEEvT1_,"axG",@progbits,_ZN7rocprim17ROCPRIM_400000_NS6detail17trampoline_kernelINS0_14default_configENS1_20scan_config_selectorIjEEZZNS1_9scan_implILNS1_25lookback_scan_determinismE0ELb1ELb1ES3_N6thrust23THRUST_200600_302600_NS6detail15normal_iteratorINS9_10device_ptrIjEEEENS9_16discard_iteratorINS9_11use_defaultEEEjNS9_4plusIvEEjEEDaPvRmT3_T4_T5_mT6_P12ihipStream_tbENKUlT_T0_E_clISt17integral_constantIbLb0EESX_EEDaSS_ST_EUlSS_E0_NS1_11comp_targetILNS1_3genE5ELNS1_11target_archE942ELNS1_3gpuE9ELNS1_3repE0EEENS1_30default_config_static_selectorELNS0_4arch9wavefront6targetE1EEEvT1_,comdat
	.protected	_ZN7rocprim17ROCPRIM_400000_NS6detail17trampoline_kernelINS0_14default_configENS1_20scan_config_selectorIjEEZZNS1_9scan_implILNS1_25lookback_scan_determinismE0ELb1ELb1ES3_N6thrust23THRUST_200600_302600_NS6detail15normal_iteratorINS9_10device_ptrIjEEEENS9_16discard_iteratorINS9_11use_defaultEEEjNS9_4plusIvEEjEEDaPvRmT3_T4_T5_mT6_P12ihipStream_tbENKUlT_T0_E_clISt17integral_constantIbLb0EESX_EEDaSS_ST_EUlSS_E0_NS1_11comp_targetILNS1_3genE5ELNS1_11target_archE942ELNS1_3gpuE9ELNS1_3repE0EEENS1_30default_config_static_selectorELNS0_4arch9wavefront6targetE1EEEvT1_ ; -- Begin function _ZN7rocprim17ROCPRIM_400000_NS6detail17trampoline_kernelINS0_14default_configENS1_20scan_config_selectorIjEEZZNS1_9scan_implILNS1_25lookback_scan_determinismE0ELb1ELb1ES3_N6thrust23THRUST_200600_302600_NS6detail15normal_iteratorINS9_10device_ptrIjEEEENS9_16discard_iteratorINS9_11use_defaultEEEjNS9_4plusIvEEjEEDaPvRmT3_T4_T5_mT6_P12ihipStream_tbENKUlT_T0_E_clISt17integral_constantIbLb0EESX_EEDaSS_ST_EUlSS_E0_NS1_11comp_targetILNS1_3genE5ELNS1_11target_archE942ELNS1_3gpuE9ELNS1_3repE0EEENS1_30default_config_static_selectorELNS0_4arch9wavefront6targetE1EEEvT1_
	.globl	_ZN7rocprim17ROCPRIM_400000_NS6detail17trampoline_kernelINS0_14default_configENS1_20scan_config_selectorIjEEZZNS1_9scan_implILNS1_25lookback_scan_determinismE0ELb1ELb1ES3_N6thrust23THRUST_200600_302600_NS6detail15normal_iteratorINS9_10device_ptrIjEEEENS9_16discard_iteratorINS9_11use_defaultEEEjNS9_4plusIvEEjEEDaPvRmT3_T4_T5_mT6_P12ihipStream_tbENKUlT_T0_E_clISt17integral_constantIbLb0EESX_EEDaSS_ST_EUlSS_E0_NS1_11comp_targetILNS1_3genE5ELNS1_11target_archE942ELNS1_3gpuE9ELNS1_3repE0EEENS1_30default_config_static_selectorELNS0_4arch9wavefront6targetE1EEEvT1_
	.p2align	8
	.type	_ZN7rocprim17ROCPRIM_400000_NS6detail17trampoline_kernelINS0_14default_configENS1_20scan_config_selectorIjEEZZNS1_9scan_implILNS1_25lookback_scan_determinismE0ELb1ELb1ES3_N6thrust23THRUST_200600_302600_NS6detail15normal_iteratorINS9_10device_ptrIjEEEENS9_16discard_iteratorINS9_11use_defaultEEEjNS9_4plusIvEEjEEDaPvRmT3_T4_T5_mT6_P12ihipStream_tbENKUlT_T0_E_clISt17integral_constantIbLb0EESX_EEDaSS_ST_EUlSS_E0_NS1_11comp_targetILNS1_3genE5ELNS1_11target_archE942ELNS1_3gpuE9ELNS1_3repE0EEENS1_30default_config_static_selectorELNS0_4arch9wavefront6targetE1EEEvT1_,@function
_ZN7rocprim17ROCPRIM_400000_NS6detail17trampoline_kernelINS0_14default_configENS1_20scan_config_selectorIjEEZZNS1_9scan_implILNS1_25lookback_scan_determinismE0ELb1ELb1ES3_N6thrust23THRUST_200600_302600_NS6detail15normal_iteratorINS9_10device_ptrIjEEEENS9_16discard_iteratorINS9_11use_defaultEEEjNS9_4plusIvEEjEEDaPvRmT3_T4_T5_mT6_P12ihipStream_tbENKUlT_T0_E_clISt17integral_constantIbLb0EESX_EEDaSS_ST_EUlSS_E0_NS1_11comp_targetILNS1_3genE5ELNS1_11target_archE942ELNS1_3gpuE9ELNS1_3repE0EEENS1_30default_config_static_selectorELNS0_4arch9wavefront6targetE1EEEvT1_: ; @_ZN7rocprim17ROCPRIM_400000_NS6detail17trampoline_kernelINS0_14default_configENS1_20scan_config_selectorIjEEZZNS1_9scan_implILNS1_25lookback_scan_determinismE0ELb1ELb1ES3_N6thrust23THRUST_200600_302600_NS6detail15normal_iteratorINS9_10device_ptrIjEEEENS9_16discard_iteratorINS9_11use_defaultEEEjNS9_4plusIvEEjEEDaPvRmT3_T4_T5_mT6_P12ihipStream_tbENKUlT_T0_E_clISt17integral_constantIbLb0EESX_EEDaSS_ST_EUlSS_E0_NS1_11comp_targetILNS1_3genE5ELNS1_11target_archE942ELNS1_3gpuE9ELNS1_3repE0EEENS1_30default_config_static_selectorELNS0_4arch9wavefront6targetE1EEEvT1_
; %bb.0:
	.section	.rodata,"a",@progbits
	.p2align	6, 0x0
	.amdhsa_kernel _ZN7rocprim17ROCPRIM_400000_NS6detail17trampoline_kernelINS0_14default_configENS1_20scan_config_selectorIjEEZZNS1_9scan_implILNS1_25lookback_scan_determinismE0ELb1ELb1ES3_N6thrust23THRUST_200600_302600_NS6detail15normal_iteratorINS9_10device_ptrIjEEEENS9_16discard_iteratorINS9_11use_defaultEEEjNS9_4plusIvEEjEEDaPvRmT3_T4_T5_mT6_P12ihipStream_tbENKUlT_T0_E_clISt17integral_constantIbLb0EESX_EEDaSS_ST_EUlSS_E0_NS1_11comp_targetILNS1_3genE5ELNS1_11target_archE942ELNS1_3gpuE9ELNS1_3repE0EEENS1_30default_config_static_selectorELNS0_4arch9wavefront6targetE1EEEvT1_
		.amdhsa_group_segment_fixed_size 0
		.amdhsa_private_segment_fixed_size 0
		.amdhsa_kernarg_size 40
		.amdhsa_user_sgpr_count 6
		.amdhsa_user_sgpr_private_segment_buffer 1
		.amdhsa_user_sgpr_dispatch_ptr 0
		.amdhsa_user_sgpr_queue_ptr 0
		.amdhsa_user_sgpr_kernarg_segment_ptr 1
		.amdhsa_user_sgpr_dispatch_id 0
		.amdhsa_user_sgpr_flat_scratch_init 0
		.amdhsa_user_sgpr_kernarg_preload_length 0
		.amdhsa_user_sgpr_kernarg_preload_offset 0
		.amdhsa_user_sgpr_private_segment_size 0
		.amdhsa_uses_dynamic_stack 0
		.amdhsa_system_sgpr_private_segment_wavefront_offset 0
		.amdhsa_system_sgpr_workgroup_id_x 1
		.amdhsa_system_sgpr_workgroup_id_y 0
		.amdhsa_system_sgpr_workgroup_id_z 0
		.amdhsa_system_sgpr_workgroup_info 0
		.amdhsa_system_vgpr_workitem_id 0
		.amdhsa_next_free_vgpr 1
		.amdhsa_next_free_sgpr 0
		.amdhsa_accum_offset 4
		.amdhsa_reserve_vcc 0
		.amdhsa_reserve_flat_scratch 0
		.amdhsa_float_round_mode_32 0
		.amdhsa_float_round_mode_16_64 0
		.amdhsa_float_denorm_mode_32 3
		.amdhsa_float_denorm_mode_16_64 3
		.amdhsa_dx10_clamp 1
		.amdhsa_ieee_mode 1
		.amdhsa_fp16_overflow 0
		.amdhsa_tg_split 0
		.amdhsa_exception_fp_ieee_invalid_op 0
		.amdhsa_exception_fp_denorm_src 0
		.amdhsa_exception_fp_ieee_div_zero 0
		.amdhsa_exception_fp_ieee_overflow 0
		.amdhsa_exception_fp_ieee_underflow 0
		.amdhsa_exception_fp_ieee_inexact 0
		.amdhsa_exception_int_div_zero 0
	.end_amdhsa_kernel
	.section	.text._ZN7rocprim17ROCPRIM_400000_NS6detail17trampoline_kernelINS0_14default_configENS1_20scan_config_selectorIjEEZZNS1_9scan_implILNS1_25lookback_scan_determinismE0ELb1ELb1ES3_N6thrust23THRUST_200600_302600_NS6detail15normal_iteratorINS9_10device_ptrIjEEEENS9_16discard_iteratorINS9_11use_defaultEEEjNS9_4plusIvEEjEEDaPvRmT3_T4_T5_mT6_P12ihipStream_tbENKUlT_T0_E_clISt17integral_constantIbLb0EESX_EEDaSS_ST_EUlSS_E0_NS1_11comp_targetILNS1_3genE5ELNS1_11target_archE942ELNS1_3gpuE9ELNS1_3repE0EEENS1_30default_config_static_selectorELNS0_4arch9wavefront6targetE1EEEvT1_,"axG",@progbits,_ZN7rocprim17ROCPRIM_400000_NS6detail17trampoline_kernelINS0_14default_configENS1_20scan_config_selectorIjEEZZNS1_9scan_implILNS1_25lookback_scan_determinismE0ELb1ELb1ES3_N6thrust23THRUST_200600_302600_NS6detail15normal_iteratorINS9_10device_ptrIjEEEENS9_16discard_iteratorINS9_11use_defaultEEEjNS9_4plusIvEEjEEDaPvRmT3_T4_T5_mT6_P12ihipStream_tbENKUlT_T0_E_clISt17integral_constantIbLb0EESX_EEDaSS_ST_EUlSS_E0_NS1_11comp_targetILNS1_3genE5ELNS1_11target_archE942ELNS1_3gpuE9ELNS1_3repE0EEENS1_30default_config_static_selectorELNS0_4arch9wavefront6targetE1EEEvT1_,comdat
.Lfunc_end5376:
	.size	_ZN7rocprim17ROCPRIM_400000_NS6detail17trampoline_kernelINS0_14default_configENS1_20scan_config_selectorIjEEZZNS1_9scan_implILNS1_25lookback_scan_determinismE0ELb1ELb1ES3_N6thrust23THRUST_200600_302600_NS6detail15normal_iteratorINS9_10device_ptrIjEEEENS9_16discard_iteratorINS9_11use_defaultEEEjNS9_4plusIvEEjEEDaPvRmT3_T4_T5_mT6_P12ihipStream_tbENKUlT_T0_E_clISt17integral_constantIbLb0EESX_EEDaSS_ST_EUlSS_E0_NS1_11comp_targetILNS1_3genE5ELNS1_11target_archE942ELNS1_3gpuE9ELNS1_3repE0EEENS1_30default_config_static_selectorELNS0_4arch9wavefront6targetE1EEEvT1_, .Lfunc_end5376-_ZN7rocprim17ROCPRIM_400000_NS6detail17trampoline_kernelINS0_14default_configENS1_20scan_config_selectorIjEEZZNS1_9scan_implILNS1_25lookback_scan_determinismE0ELb1ELb1ES3_N6thrust23THRUST_200600_302600_NS6detail15normal_iteratorINS9_10device_ptrIjEEEENS9_16discard_iteratorINS9_11use_defaultEEEjNS9_4plusIvEEjEEDaPvRmT3_T4_T5_mT6_P12ihipStream_tbENKUlT_T0_E_clISt17integral_constantIbLb0EESX_EEDaSS_ST_EUlSS_E0_NS1_11comp_targetILNS1_3genE5ELNS1_11target_archE942ELNS1_3gpuE9ELNS1_3repE0EEENS1_30default_config_static_selectorELNS0_4arch9wavefront6targetE1EEEvT1_
                                        ; -- End function
	.section	.AMDGPU.csdata,"",@progbits
; Kernel info:
; codeLenInByte = 0
; NumSgprs: 4
; NumVgprs: 0
; NumAgprs: 0
; TotalNumVgprs: 0
; ScratchSize: 0
; MemoryBound: 0
; FloatMode: 240
; IeeeMode: 1
; LDSByteSize: 0 bytes/workgroup (compile time only)
; SGPRBlocks: 0
; VGPRBlocks: 0
; NumSGPRsForWavesPerEU: 4
; NumVGPRsForWavesPerEU: 1
; AccumOffset: 4
; Occupancy: 8
; WaveLimiterHint : 0
; COMPUTE_PGM_RSRC2:SCRATCH_EN: 0
; COMPUTE_PGM_RSRC2:USER_SGPR: 6
; COMPUTE_PGM_RSRC2:TRAP_HANDLER: 0
; COMPUTE_PGM_RSRC2:TGID_X_EN: 1
; COMPUTE_PGM_RSRC2:TGID_Y_EN: 0
; COMPUTE_PGM_RSRC2:TGID_Z_EN: 0
; COMPUTE_PGM_RSRC2:TIDIG_COMP_CNT: 0
; COMPUTE_PGM_RSRC3_GFX90A:ACCUM_OFFSET: 0
; COMPUTE_PGM_RSRC3_GFX90A:TG_SPLIT: 0
	.section	.text._ZN7rocprim17ROCPRIM_400000_NS6detail17trampoline_kernelINS0_14default_configENS1_20scan_config_selectorIjEEZZNS1_9scan_implILNS1_25lookback_scan_determinismE0ELb1ELb1ES3_N6thrust23THRUST_200600_302600_NS6detail15normal_iteratorINS9_10device_ptrIjEEEENS9_16discard_iteratorINS9_11use_defaultEEEjNS9_4plusIvEEjEEDaPvRmT3_T4_T5_mT6_P12ihipStream_tbENKUlT_T0_E_clISt17integral_constantIbLb0EESX_EEDaSS_ST_EUlSS_E0_NS1_11comp_targetILNS1_3genE4ELNS1_11target_archE910ELNS1_3gpuE8ELNS1_3repE0EEENS1_30default_config_static_selectorELNS0_4arch9wavefront6targetE1EEEvT1_,"axG",@progbits,_ZN7rocprim17ROCPRIM_400000_NS6detail17trampoline_kernelINS0_14default_configENS1_20scan_config_selectorIjEEZZNS1_9scan_implILNS1_25lookback_scan_determinismE0ELb1ELb1ES3_N6thrust23THRUST_200600_302600_NS6detail15normal_iteratorINS9_10device_ptrIjEEEENS9_16discard_iteratorINS9_11use_defaultEEEjNS9_4plusIvEEjEEDaPvRmT3_T4_T5_mT6_P12ihipStream_tbENKUlT_T0_E_clISt17integral_constantIbLb0EESX_EEDaSS_ST_EUlSS_E0_NS1_11comp_targetILNS1_3genE4ELNS1_11target_archE910ELNS1_3gpuE8ELNS1_3repE0EEENS1_30default_config_static_selectorELNS0_4arch9wavefront6targetE1EEEvT1_,comdat
	.protected	_ZN7rocprim17ROCPRIM_400000_NS6detail17trampoline_kernelINS0_14default_configENS1_20scan_config_selectorIjEEZZNS1_9scan_implILNS1_25lookback_scan_determinismE0ELb1ELb1ES3_N6thrust23THRUST_200600_302600_NS6detail15normal_iteratorINS9_10device_ptrIjEEEENS9_16discard_iteratorINS9_11use_defaultEEEjNS9_4plusIvEEjEEDaPvRmT3_T4_T5_mT6_P12ihipStream_tbENKUlT_T0_E_clISt17integral_constantIbLb0EESX_EEDaSS_ST_EUlSS_E0_NS1_11comp_targetILNS1_3genE4ELNS1_11target_archE910ELNS1_3gpuE8ELNS1_3repE0EEENS1_30default_config_static_selectorELNS0_4arch9wavefront6targetE1EEEvT1_ ; -- Begin function _ZN7rocprim17ROCPRIM_400000_NS6detail17trampoline_kernelINS0_14default_configENS1_20scan_config_selectorIjEEZZNS1_9scan_implILNS1_25lookback_scan_determinismE0ELb1ELb1ES3_N6thrust23THRUST_200600_302600_NS6detail15normal_iteratorINS9_10device_ptrIjEEEENS9_16discard_iteratorINS9_11use_defaultEEEjNS9_4plusIvEEjEEDaPvRmT3_T4_T5_mT6_P12ihipStream_tbENKUlT_T0_E_clISt17integral_constantIbLb0EESX_EEDaSS_ST_EUlSS_E0_NS1_11comp_targetILNS1_3genE4ELNS1_11target_archE910ELNS1_3gpuE8ELNS1_3repE0EEENS1_30default_config_static_selectorELNS0_4arch9wavefront6targetE1EEEvT1_
	.globl	_ZN7rocprim17ROCPRIM_400000_NS6detail17trampoline_kernelINS0_14default_configENS1_20scan_config_selectorIjEEZZNS1_9scan_implILNS1_25lookback_scan_determinismE0ELb1ELb1ES3_N6thrust23THRUST_200600_302600_NS6detail15normal_iteratorINS9_10device_ptrIjEEEENS9_16discard_iteratorINS9_11use_defaultEEEjNS9_4plusIvEEjEEDaPvRmT3_T4_T5_mT6_P12ihipStream_tbENKUlT_T0_E_clISt17integral_constantIbLb0EESX_EEDaSS_ST_EUlSS_E0_NS1_11comp_targetILNS1_3genE4ELNS1_11target_archE910ELNS1_3gpuE8ELNS1_3repE0EEENS1_30default_config_static_selectorELNS0_4arch9wavefront6targetE1EEEvT1_
	.p2align	8
	.type	_ZN7rocprim17ROCPRIM_400000_NS6detail17trampoline_kernelINS0_14default_configENS1_20scan_config_selectorIjEEZZNS1_9scan_implILNS1_25lookback_scan_determinismE0ELb1ELb1ES3_N6thrust23THRUST_200600_302600_NS6detail15normal_iteratorINS9_10device_ptrIjEEEENS9_16discard_iteratorINS9_11use_defaultEEEjNS9_4plusIvEEjEEDaPvRmT3_T4_T5_mT6_P12ihipStream_tbENKUlT_T0_E_clISt17integral_constantIbLb0EESX_EEDaSS_ST_EUlSS_E0_NS1_11comp_targetILNS1_3genE4ELNS1_11target_archE910ELNS1_3gpuE8ELNS1_3repE0EEENS1_30default_config_static_selectorELNS0_4arch9wavefront6targetE1EEEvT1_,@function
_ZN7rocprim17ROCPRIM_400000_NS6detail17trampoline_kernelINS0_14default_configENS1_20scan_config_selectorIjEEZZNS1_9scan_implILNS1_25lookback_scan_determinismE0ELb1ELb1ES3_N6thrust23THRUST_200600_302600_NS6detail15normal_iteratorINS9_10device_ptrIjEEEENS9_16discard_iteratorINS9_11use_defaultEEEjNS9_4plusIvEEjEEDaPvRmT3_T4_T5_mT6_P12ihipStream_tbENKUlT_T0_E_clISt17integral_constantIbLb0EESX_EEDaSS_ST_EUlSS_E0_NS1_11comp_targetILNS1_3genE4ELNS1_11target_archE910ELNS1_3gpuE8ELNS1_3repE0EEENS1_30default_config_static_selectorELNS0_4arch9wavefront6targetE1EEEvT1_: ; @_ZN7rocprim17ROCPRIM_400000_NS6detail17trampoline_kernelINS0_14default_configENS1_20scan_config_selectorIjEEZZNS1_9scan_implILNS1_25lookback_scan_determinismE0ELb1ELb1ES3_N6thrust23THRUST_200600_302600_NS6detail15normal_iteratorINS9_10device_ptrIjEEEENS9_16discard_iteratorINS9_11use_defaultEEEjNS9_4plusIvEEjEEDaPvRmT3_T4_T5_mT6_P12ihipStream_tbENKUlT_T0_E_clISt17integral_constantIbLb0EESX_EEDaSS_ST_EUlSS_E0_NS1_11comp_targetILNS1_3genE4ELNS1_11target_archE910ELNS1_3gpuE8ELNS1_3repE0EEENS1_30default_config_static_selectorELNS0_4arch9wavefront6targetE1EEEvT1_
; %bb.0:
	s_load_dwordx4 s[0:3], s[4:5], 0x0
	v_lshlrev_b32_e32 v1, 2, v0
	s_waitcnt lgkmcnt(0)
	s_load_dword s3, s[0:1], 0x0
	v_cmp_gt_u32_e32 vcc, s2, v0
	s_waitcnt lgkmcnt(0)
	v_mov_b32_e32 v2, s3
	s_and_saveexec_b64 s[6:7], vcc
	s_cbranch_execz .LBB5377_2
; %bb.1:
	global_load_dword v2, v1, s[0:1]
.LBB5377_2:
	s_or_b64 exec, exec, s[6:7]
	v_or_b32_e32 v3, 0x80, v0
	v_cmp_gt_u32_e32 vcc, s2, v3
	v_mov_b32_e32 v3, s3
	s_and_saveexec_b64 s[6:7], vcc
	s_cbranch_execz .LBB5377_4
; %bb.3:
	global_load_dword v3, v1, s[0:1] offset:512
.LBB5377_4:
	s_or_b64 exec, exec, s[6:7]
	v_or_b32_e32 v4, 0x100, v0
	v_cmp_gt_u32_e32 vcc, s2, v4
	v_mov_b32_e32 v4, s3
	s_and_saveexec_b64 s[6:7], vcc
	s_cbranch_execz .LBB5377_6
; %bb.5:
	global_load_dword v4, v1, s[0:1] offset:1024
.LBB5377_6:
	;; [unrolled: 9-line block ×7, first 2 shown]
	s_or_b64 exec, exec, s[6:7]
	v_or_b32_e32 v11, 0x400, v0
	v_cmp_gt_u32_e32 vcc, s2, v11
	v_mov_b32_e32 v10, s3
	s_and_saveexec_b64 s[6:7], vcc
	s_cbranch_execz .LBB5377_18
; %bb.17:
	v_lshlrev_b32_e32 v10, 2, v11
	global_load_dword v10, v10, s[0:1]
.LBB5377_18:
	s_or_b64 exec, exec, s[6:7]
	s_load_dword s4, s[4:5], 0x10
	v_or_b32_e32 v12, 0x480, v0
	v_cmp_gt_u32_e32 vcc, s2, v12
	v_mov_b32_e32 v11, s3
	s_and_saveexec_b64 s[2:3], vcc
	s_cbranch_execz .LBB5377_20
; %bb.19:
	v_lshlrev_b32_e32 v11, 2, v12
	global_load_dword v11, v11, s[0:1]
.LBB5377_20:
	s_or_b64 exec, exec, s[2:3]
	s_waitcnt vmcnt(0)
	ds_write2st64_b32 v1, v2, v3 offset1:2
	ds_write2st64_b32 v1, v4, v5 offset0:4 offset1:6
	ds_write2st64_b32 v1, v6, v7 offset0:8 offset1:10
	;; [unrolled: 1-line block ×4, first 2 shown]
	v_mad_u32_u24 v10, v0, 36, v1
	s_waitcnt lgkmcnt(0)
	s_barrier
	ds_read2_b64 v[6:9], v10 offset1:1
	ds_read2_b64 v[2:5], v10 offset0:2 offset1:3
	ds_read_b64 v[10:11], v10 offset:32
	v_cmp_gt_u32_e32 vcc, 64, v0
	s_waitcnt lgkmcnt(0)
	v_add_u32_e32 v12, v7, v6
	v_add3_u32 v12, v12, v8, v9
	v_add3_u32 v12, v12, v2, v3
	;; [unrolled: 1-line block ×4, first 2 shown]
	v_lshrrev_b32_e32 v12, 3, v0
	v_and_b32_e32 v12, 12, v12
	v_add_u32_e32 v12, v1, v12
	s_barrier
	ds_write_b32 v12, v11
	s_waitcnt lgkmcnt(0)
	s_barrier
	s_and_saveexec_b64 s[0:1], vcc
	s_cbranch_execz .LBB5377_22
; %bb.21:
	v_lshlrev_b32_e32 v12, 1, v0
	v_lshrrev_b32_e32 v13, 4, v0
	v_add_lshl_u32 v14, v13, v12, 2
	ds_read2_b32 v[12:13], v14 offset1:1
	v_mbcnt_lo_u32_b32 v15, -1, 0
	v_mbcnt_hi_u32_b32 v15, -1, v15
	v_and_b32_e32 v16, 15, v15
	v_cmp_ne_u32_e32 vcc, 0, v16
	s_waitcnt lgkmcnt(0)
	v_add_u32_e32 v13, v13, v12
	; wave barrier
	s_nop 1
	v_mov_b32_dpp v17, v13 row_shr:1 row_mask:0xf bank_mask:0xf
	v_cndmask_b32_e32 v17, 0, v17, vcc
	v_add_u32_e32 v13, v17, v13
	v_cmp_lt_u32_e32 vcc, 1, v16
	s_nop 0
	v_mov_b32_dpp v17, v13 row_shr:2 row_mask:0xf bank_mask:0xf
	v_cndmask_b32_e32 v17, 0, v17, vcc
	v_add_u32_e32 v13, v13, v17
	v_cmp_lt_u32_e32 vcc, 3, v16
	;; [unrolled: 5-line block ×3, first 2 shown]
	s_nop 0
	v_mov_b32_dpp v17, v13 row_shr:8 row_mask:0xf bank_mask:0xf
	v_cndmask_b32_e32 v16, 0, v17, vcc
	v_add_u32_e32 v13, v13, v16
	v_bfe_i32 v17, v15, 4, 1
	v_cmp_lt_u32_e32 vcc, 31, v15
	v_mov_b32_dpp v16, v13 row_bcast:15 row_mask:0xf bank_mask:0xf
	v_and_b32_e32 v16, v17, v16
	v_add_u32_e32 v13, v13, v16
	v_and_b32_e32 v17, 64, v15
	s_nop 0
	v_mov_b32_dpp v16, v13 row_bcast:31 row_mask:0xf bank_mask:0xf
	v_cndmask_b32_e32 v16, 0, v16, vcc
	v_add_u32_e32 v13, v13, v16
	v_add_u32_e32 v16, -1, v15
	v_cmp_lt_i32_e32 vcc, v16, v17
	v_cndmask_b32_e32 v15, v16, v15, vcc
	v_lshlrev_b32_e32 v15, 2, v15
	ds_bpermute_b32 v13, v15, v13
	v_cmp_eq_u32_e32 vcc, 0, v0
	s_waitcnt lgkmcnt(0)
	v_add_u32_e32 v12, v13, v12
	v_cndmask_b32_e32 v11, v12, v11, vcc
	ds_write_b32 v14, v11
	; wave barrier
	ds_read_b32 v12, v14 offset:4
	s_waitcnt lgkmcnt(0)
	v_add_u32_e32 v11, v12, v11
	ds_write_b32 v14, v11 offset:4
.LBB5377_22:
	s_or_b64 exec, exec, s[0:1]
	v_mul_u32_u24_e32 v11, 36, v0
	v_cmp_ne_u32_e32 vcc, 0, v0
	v_mov_b32_e32 v12, s4
	s_waitcnt lgkmcnt(0)
	s_barrier
	s_and_saveexec_b64 s[0:1], vcc
	s_cbranch_execz .LBB5377_24
; %bb.23:
	v_add_u32_e32 v0, -1, v0
	v_lshrrev_b32_e32 v12, 5, v0
	v_add_lshl_u32 v0, v12, v0, 2
	ds_read_b32 v0, v0
	s_waitcnt lgkmcnt(0)
	v_add_u32_e32 v12, s4, v0
.LBB5377_24:
	s_or_b64 exec, exec, s[0:1]
	v_add_u32_e32 v13, v12, v6
	v_add_u32_e32 v6, v13, v7
	;; [unrolled: 1-line block ×10, first 2 shown]
	s_barrier
	ds_write2_b64 v0, v[12:13], v[6:7] offset1:1
	ds_write2_b64 v0, v[8:9], v[2:3] offset0:2 offset1:3
	ds_write_b64 v0, v[4:5] offset:32
	s_waitcnt lgkmcnt(0)
	s_barrier
	s_endpgm
	.section	.rodata,"a",@progbits
	.p2align	6, 0x0
	.amdhsa_kernel _ZN7rocprim17ROCPRIM_400000_NS6detail17trampoline_kernelINS0_14default_configENS1_20scan_config_selectorIjEEZZNS1_9scan_implILNS1_25lookback_scan_determinismE0ELb1ELb1ES3_N6thrust23THRUST_200600_302600_NS6detail15normal_iteratorINS9_10device_ptrIjEEEENS9_16discard_iteratorINS9_11use_defaultEEEjNS9_4plusIvEEjEEDaPvRmT3_T4_T5_mT6_P12ihipStream_tbENKUlT_T0_E_clISt17integral_constantIbLb0EESX_EEDaSS_ST_EUlSS_E0_NS1_11comp_targetILNS1_3genE4ELNS1_11target_archE910ELNS1_3gpuE8ELNS1_3repE0EEENS1_30default_config_static_selectorELNS0_4arch9wavefront6targetE1EEEvT1_
		.amdhsa_group_segment_fixed_size 5120
		.amdhsa_private_segment_fixed_size 0
		.amdhsa_kernarg_size 40
		.amdhsa_user_sgpr_count 6
		.amdhsa_user_sgpr_private_segment_buffer 1
		.amdhsa_user_sgpr_dispatch_ptr 0
		.amdhsa_user_sgpr_queue_ptr 0
		.amdhsa_user_sgpr_kernarg_segment_ptr 1
		.amdhsa_user_sgpr_dispatch_id 0
		.amdhsa_user_sgpr_flat_scratch_init 0
		.amdhsa_user_sgpr_kernarg_preload_length 0
		.amdhsa_user_sgpr_kernarg_preload_offset 0
		.amdhsa_user_sgpr_private_segment_size 0
		.amdhsa_uses_dynamic_stack 0
		.amdhsa_system_sgpr_private_segment_wavefront_offset 0
		.amdhsa_system_sgpr_workgroup_id_x 1
		.amdhsa_system_sgpr_workgroup_id_y 0
		.amdhsa_system_sgpr_workgroup_id_z 0
		.amdhsa_system_sgpr_workgroup_info 0
		.amdhsa_system_vgpr_workitem_id 0
		.amdhsa_next_free_vgpr 18
		.amdhsa_next_free_sgpr 8
		.amdhsa_accum_offset 20
		.amdhsa_reserve_vcc 1
		.amdhsa_reserve_flat_scratch 0
		.amdhsa_float_round_mode_32 0
		.amdhsa_float_round_mode_16_64 0
		.amdhsa_float_denorm_mode_32 3
		.amdhsa_float_denorm_mode_16_64 3
		.amdhsa_dx10_clamp 1
		.amdhsa_ieee_mode 1
		.amdhsa_fp16_overflow 0
		.amdhsa_tg_split 0
		.amdhsa_exception_fp_ieee_invalid_op 0
		.amdhsa_exception_fp_denorm_src 0
		.amdhsa_exception_fp_ieee_div_zero 0
		.amdhsa_exception_fp_ieee_overflow 0
		.amdhsa_exception_fp_ieee_underflow 0
		.amdhsa_exception_fp_ieee_inexact 0
		.amdhsa_exception_int_div_zero 0
	.end_amdhsa_kernel
	.section	.text._ZN7rocprim17ROCPRIM_400000_NS6detail17trampoline_kernelINS0_14default_configENS1_20scan_config_selectorIjEEZZNS1_9scan_implILNS1_25lookback_scan_determinismE0ELb1ELb1ES3_N6thrust23THRUST_200600_302600_NS6detail15normal_iteratorINS9_10device_ptrIjEEEENS9_16discard_iteratorINS9_11use_defaultEEEjNS9_4plusIvEEjEEDaPvRmT3_T4_T5_mT6_P12ihipStream_tbENKUlT_T0_E_clISt17integral_constantIbLb0EESX_EEDaSS_ST_EUlSS_E0_NS1_11comp_targetILNS1_3genE4ELNS1_11target_archE910ELNS1_3gpuE8ELNS1_3repE0EEENS1_30default_config_static_selectorELNS0_4arch9wavefront6targetE1EEEvT1_,"axG",@progbits,_ZN7rocprim17ROCPRIM_400000_NS6detail17trampoline_kernelINS0_14default_configENS1_20scan_config_selectorIjEEZZNS1_9scan_implILNS1_25lookback_scan_determinismE0ELb1ELb1ES3_N6thrust23THRUST_200600_302600_NS6detail15normal_iteratorINS9_10device_ptrIjEEEENS9_16discard_iteratorINS9_11use_defaultEEEjNS9_4plusIvEEjEEDaPvRmT3_T4_T5_mT6_P12ihipStream_tbENKUlT_T0_E_clISt17integral_constantIbLb0EESX_EEDaSS_ST_EUlSS_E0_NS1_11comp_targetILNS1_3genE4ELNS1_11target_archE910ELNS1_3gpuE8ELNS1_3repE0EEENS1_30default_config_static_selectorELNS0_4arch9wavefront6targetE1EEEvT1_,comdat
.Lfunc_end5377:
	.size	_ZN7rocprim17ROCPRIM_400000_NS6detail17trampoline_kernelINS0_14default_configENS1_20scan_config_selectorIjEEZZNS1_9scan_implILNS1_25lookback_scan_determinismE0ELb1ELb1ES3_N6thrust23THRUST_200600_302600_NS6detail15normal_iteratorINS9_10device_ptrIjEEEENS9_16discard_iteratorINS9_11use_defaultEEEjNS9_4plusIvEEjEEDaPvRmT3_T4_T5_mT6_P12ihipStream_tbENKUlT_T0_E_clISt17integral_constantIbLb0EESX_EEDaSS_ST_EUlSS_E0_NS1_11comp_targetILNS1_3genE4ELNS1_11target_archE910ELNS1_3gpuE8ELNS1_3repE0EEENS1_30default_config_static_selectorELNS0_4arch9wavefront6targetE1EEEvT1_, .Lfunc_end5377-_ZN7rocprim17ROCPRIM_400000_NS6detail17trampoline_kernelINS0_14default_configENS1_20scan_config_selectorIjEEZZNS1_9scan_implILNS1_25lookback_scan_determinismE0ELb1ELb1ES3_N6thrust23THRUST_200600_302600_NS6detail15normal_iteratorINS9_10device_ptrIjEEEENS9_16discard_iteratorINS9_11use_defaultEEEjNS9_4plusIvEEjEEDaPvRmT3_T4_T5_mT6_P12ihipStream_tbENKUlT_T0_E_clISt17integral_constantIbLb0EESX_EEDaSS_ST_EUlSS_E0_NS1_11comp_targetILNS1_3genE4ELNS1_11target_archE910ELNS1_3gpuE8ELNS1_3repE0EEENS1_30default_config_static_selectorELNS0_4arch9wavefront6targetE1EEEvT1_
                                        ; -- End function
	.section	.AMDGPU.csdata,"",@progbits
; Kernel info:
; codeLenInByte = 984
; NumSgprs: 12
; NumVgprs: 18
; NumAgprs: 0
; TotalNumVgprs: 18
; ScratchSize: 0
; MemoryBound: 0
; FloatMode: 240
; IeeeMode: 1
; LDSByteSize: 5120 bytes/workgroup (compile time only)
; SGPRBlocks: 1
; VGPRBlocks: 2
; NumSGPRsForWavesPerEU: 12
; NumVGPRsForWavesPerEU: 18
; AccumOffset: 20
; Occupancy: 6
; WaveLimiterHint : 0
; COMPUTE_PGM_RSRC2:SCRATCH_EN: 0
; COMPUTE_PGM_RSRC2:USER_SGPR: 6
; COMPUTE_PGM_RSRC2:TRAP_HANDLER: 0
; COMPUTE_PGM_RSRC2:TGID_X_EN: 1
; COMPUTE_PGM_RSRC2:TGID_Y_EN: 0
; COMPUTE_PGM_RSRC2:TGID_Z_EN: 0
; COMPUTE_PGM_RSRC2:TIDIG_COMP_CNT: 0
; COMPUTE_PGM_RSRC3_GFX90A:ACCUM_OFFSET: 4
; COMPUTE_PGM_RSRC3_GFX90A:TG_SPLIT: 0
	.section	.text._ZN7rocprim17ROCPRIM_400000_NS6detail17trampoline_kernelINS0_14default_configENS1_20scan_config_selectorIjEEZZNS1_9scan_implILNS1_25lookback_scan_determinismE0ELb1ELb1ES3_N6thrust23THRUST_200600_302600_NS6detail15normal_iteratorINS9_10device_ptrIjEEEENS9_16discard_iteratorINS9_11use_defaultEEEjNS9_4plusIvEEjEEDaPvRmT3_T4_T5_mT6_P12ihipStream_tbENKUlT_T0_E_clISt17integral_constantIbLb0EESX_EEDaSS_ST_EUlSS_E0_NS1_11comp_targetILNS1_3genE3ELNS1_11target_archE908ELNS1_3gpuE7ELNS1_3repE0EEENS1_30default_config_static_selectorELNS0_4arch9wavefront6targetE1EEEvT1_,"axG",@progbits,_ZN7rocprim17ROCPRIM_400000_NS6detail17trampoline_kernelINS0_14default_configENS1_20scan_config_selectorIjEEZZNS1_9scan_implILNS1_25lookback_scan_determinismE0ELb1ELb1ES3_N6thrust23THRUST_200600_302600_NS6detail15normal_iteratorINS9_10device_ptrIjEEEENS9_16discard_iteratorINS9_11use_defaultEEEjNS9_4plusIvEEjEEDaPvRmT3_T4_T5_mT6_P12ihipStream_tbENKUlT_T0_E_clISt17integral_constantIbLb0EESX_EEDaSS_ST_EUlSS_E0_NS1_11comp_targetILNS1_3genE3ELNS1_11target_archE908ELNS1_3gpuE7ELNS1_3repE0EEENS1_30default_config_static_selectorELNS0_4arch9wavefront6targetE1EEEvT1_,comdat
	.protected	_ZN7rocprim17ROCPRIM_400000_NS6detail17trampoline_kernelINS0_14default_configENS1_20scan_config_selectorIjEEZZNS1_9scan_implILNS1_25lookback_scan_determinismE0ELb1ELb1ES3_N6thrust23THRUST_200600_302600_NS6detail15normal_iteratorINS9_10device_ptrIjEEEENS9_16discard_iteratorINS9_11use_defaultEEEjNS9_4plusIvEEjEEDaPvRmT3_T4_T5_mT6_P12ihipStream_tbENKUlT_T0_E_clISt17integral_constantIbLb0EESX_EEDaSS_ST_EUlSS_E0_NS1_11comp_targetILNS1_3genE3ELNS1_11target_archE908ELNS1_3gpuE7ELNS1_3repE0EEENS1_30default_config_static_selectorELNS0_4arch9wavefront6targetE1EEEvT1_ ; -- Begin function _ZN7rocprim17ROCPRIM_400000_NS6detail17trampoline_kernelINS0_14default_configENS1_20scan_config_selectorIjEEZZNS1_9scan_implILNS1_25lookback_scan_determinismE0ELb1ELb1ES3_N6thrust23THRUST_200600_302600_NS6detail15normal_iteratorINS9_10device_ptrIjEEEENS9_16discard_iteratorINS9_11use_defaultEEEjNS9_4plusIvEEjEEDaPvRmT3_T4_T5_mT6_P12ihipStream_tbENKUlT_T0_E_clISt17integral_constantIbLb0EESX_EEDaSS_ST_EUlSS_E0_NS1_11comp_targetILNS1_3genE3ELNS1_11target_archE908ELNS1_3gpuE7ELNS1_3repE0EEENS1_30default_config_static_selectorELNS0_4arch9wavefront6targetE1EEEvT1_
	.globl	_ZN7rocprim17ROCPRIM_400000_NS6detail17trampoline_kernelINS0_14default_configENS1_20scan_config_selectorIjEEZZNS1_9scan_implILNS1_25lookback_scan_determinismE0ELb1ELb1ES3_N6thrust23THRUST_200600_302600_NS6detail15normal_iteratorINS9_10device_ptrIjEEEENS9_16discard_iteratorINS9_11use_defaultEEEjNS9_4plusIvEEjEEDaPvRmT3_T4_T5_mT6_P12ihipStream_tbENKUlT_T0_E_clISt17integral_constantIbLb0EESX_EEDaSS_ST_EUlSS_E0_NS1_11comp_targetILNS1_3genE3ELNS1_11target_archE908ELNS1_3gpuE7ELNS1_3repE0EEENS1_30default_config_static_selectorELNS0_4arch9wavefront6targetE1EEEvT1_
	.p2align	8
	.type	_ZN7rocprim17ROCPRIM_400000_NS6detail17trampoline_kernelINS0_14default_configENS1_20scan_config_selectorIjEEZZNS1_9scan_implILNS1_25lookback_scan_determinismE0ELb1ELb1ES3_N6thrust23THRUST_200600_302600_NS6detail15normal_iteratorINS9_10device_ptrIjEEEENS9_16discard_iteratorINS9_11use_defaultEEEjNS9_4plusIvEEjEEDaPvRmT3_T4_T5_mT6_P12ihipStream_tbENKUlT_T0_E_clISt17integral_constantIbLb0EESX_EEDaSS_ST_EUlSS_E0_NS1_11comp_targetILNS1_3genE3ELNS1_11target_archE908ELNS1_3gpuE7ELNS1_3repE0EEENS1_30default_config_static_selectorELNS0_4arch9wavefront6targetE1EEEvT1_,@function
_ZN7rocprim17ROCPRIM_400000_NS6detail17trampoline_kernelINS0_14default_configENS1_20scan_config_selectorIjEEZZNS1_9scan_implILNS1_25lookback_scan_determinismE0ELb1ELb1ES3_N6thrust23THRUST_200600_302600_NS6detail15normal_iteratorINS9_10device_ptrIjEEEENS9_16discard_iteratorINS9_11use_defaultEEEjNS9_4plusIvEEjEEDaPvRmT3_T4_T5_mT6_P12ihipStream_tbENKUlT_T0_E_clISt17integral_constantIbLb0EESX_EEDaSS_ST_EUlSS_E0_NS1_11comp_targetILNS1_3genE3ELNS1_11target_archE908ELNS1_3gpuE7ELNS1_3repE0EEENS1_30default_config_static_selectorELNS0_4arch9wavefront6targetE1EEEvT1_: ; @_ZN7rocprim17ROCPRIM_400000_NS6detail17trampoline_kernelINS0_14default_configENS1_20scan_config_selectorIjEEZZNS1_9scan_implILNS1_25lookback_scan_determinismE0ELb1ELb1ES3_N6thrust23THRUST_200600_302600_NS6detail15normal_iteratorINS9_10device_ptrIjEEEENS9_16discard_iteratorINS9_11use_defaultEEEjNS9_4plusIvEEjEEDaPvRmT3_T4_T5_mT6_P12ihipStream_tbENKUlT_T0_E_clISt17integral_constantIbLb0EESX_EEDaSS_ST_EUlSS_E0_NS1_11comp_targetILNS1_3genE3ELNS1_11target_archE908ELNS1_3gpuE7ELNS1_3repE0EEENS1_30default_config_static_selectorELNS0_4arch9wavefront6targetE1EEEvT1_
; %bb.0:
	.section	.rodata,"a",@progbits
	.p2align	6, 0x0
	.amdhsa_kernel _ZN7rocprim17ROCPRIM_400000_NS6detail17trampoline_kernelINS0_14default_configENS1_20scan_config_selectorIjEEZZNS1_9scan_implILNS1_25lookback_scan_determinismE0ELb1ELb1ES3_N6thrust23THRUST_200600_302600_NS6detail15normal_iteratorINS9_10device_ptrIjEEEENS9_16discard_iteratorINS9_11use_defaultEEEjNS9_4plusIvEEjEEDaPvRmT3_T4_T5_mT6_P12ihipStream_tbENKUlT_T0_E_clISt17integral_constantIbLb0EESX_EEDaSS_ST_EUlSS_E0_NS1_11comp_targetILNS1_3genE3ELNS1_11target_archE908ELNS1_3gpuE7ELNS1_3repE0EEENS1_30default_config_static_selectorELNS0_4arch9wavefront6targetE1EEEvT1_
		.amdhsa_group_segment_fixed_size 0
		.amdhsa_private_segment_fixed_size 0
		.amdhsa_kernarg_size 40
		.amdhsa_user_sgpr_count 6
		.amdhsa_user_sgpr_private_segment_buffer 1
		.amdhsa_user_sgpr_dispatch_ptr 0
		.amdhsa_user_sgpr_queue_ptr 0
		.amdhsa_user_sgpr_kernarg_segment_ptr 1
		.amdhsa_user_sgpr_dispatch_id 0
		.amdhsa_user_sgpr_flat_scratch_init 0
		.amdhsa_user_sgpr_kernarg_preload_length 0
		.amdhsa_user_sgpr_kernarg_preload_offset 0
		.amdhsa_user_sgpr_private_segment_size 0
		.amdhsa_uses_dynamic_stack 0
		.amdhsa_system_sgpr_private_segment_wavefront_offset 0
		.amdhsa_system_sgpr_workgroup_id_x 1
		.amdhsa_system_sgpr_workgroup_id_y 0
		.amdhsa_system_sgpr_workgroup_id_z 0
		.amdhsa_system_sgpr_workgroup_info 0
		.amdhsa_system_vgpr_workitem_id 0
		.amdhsa_next_free_vgpr 1
		.amdhsa_next_free_sgpr 0
		.amdhsa_accum_offset 4
		.amdhsa_reserve_vcc 0
		.amdhsa_reserve_flat_scratch 0
		.amdhsa_float_round_mode_32 0
		.amdhsa_float_round_mode_16_64 0
		.amdhsa_float_denorm_mode_32 3
		.amdhsa_float_denorm_mode_16_64 3
		.amdhsa_dx10_clamp 1
		.amdhsa_ieee_mode 1
		.amdhsa_fp16_overflow 0
		.amdhsa_tg_split 0
		.amdhsa_exception_fp_ieee_invalid_op 0
		.amdhsa_exception_fp_denorm_src 0
		.amdhsa_exception_fp_ieee_div_zero 0
		.amdhsa_exception_fp_ieee_overflow 0
		.amdhsa_exception_fp_ieee_underflow 0
		.amdhsa_exception_fp_ieee_inexact 0
		.amdhsa_exception_int_div_zero 0
	.end_amdhsa_kernel
	.section	.text._ZN7rocprim17ROCPRIM_400000_NS6detail17trampoline_kernelINS0_14default_configENS1_20scan_config_selectorIjEEZZNS1_9scan_implILNS1_25lookback_scan_determinismE0ELb1ELb1ES3_N6thrust23THRUST_200600_302600_NS6detail15normal_iteratorINS9_10device_ptrIjEEEENS9_16discard_iteratorINS9_11use_defaultEEEjNS9_4plusIvEEjEEDaPvRmT3_T4_T5_mT6_P12ihipStream_tbENKUlT_T0_E_clISt17integral_constantIbLb0EESX_EEDaSS_ST_EUlSS_E0_NS1_11comp_targetILNS1_3genE3ELNS1_11target_archE908ELNS1_3gpuE7ELNS1_3repE0EEENS1_30default_config_static_selectorELNS0_4arch9wavefront6targetE1EEEvT1_,"axG",@progbits,_ZN7rocprim17ROCPRIM_400000_NS6detail17trampoline_kernelINS0_14default_configENS1_20scan_config_selectorIjEEZZNS1_9scan_implILNS1_25lookback_scan_determinismE0ELb1ELb1ES3_N6thrust23THRUST_200600_302600_NS6detail15normal_iteratorINS9_10device_ptrIjEEEENS9_16discard_iteratorINS9_11use_defaultEEEjNS9_4plusIvEEjEEDaPvRmT3_T4_T5_mT6_P12ihipStream_tbENKUlT_T0_E_clISt17integral_constantIbLb0EESX_EEDaSS_ST_EUlSS_E0_NS1_11comp_targetILNS1_3genE3ELNS1_11target_archE908ELNS1_3gpuE7ELNS1_3repE0EEENS1_30default_config_static_selectorELNS0_4arch9wavefront6targetE1EEEvT1_,comdat
.Lfunc_end5378:
	.size	_ZN7rocprim17ROCPRIM_400000_NS6detail17trampoline_kernelINS0_14default_configENS1_20scan_config_selectorIjEEZZNS1_9scan_implILNS1_25lookback_scan_determinismE0ELb1ELb1ES3_N6thrust23THRUST_200600_302600_NS6detail15normal_iteratorINS9_10device_ptrIjEEEENS9_16discard_iteratorINS9_11use_defaultEEEjNS9_4plusIvEEjEEDaPvRmT3_T4_T5_mT6_P12ihipStream_tbENKUlT_T0_E_clISt17integral_constantIbLb0EESX_EEDaSS_ST_EUlSS_E0_NS1_11comp_targetILNS1_3genE3ELNS1_11target_archE908ELNS1_3gpuE7ELNS1_3repE0EEENS1_30default_config_static_selectorELNS0_4arch9wavefront6targetE1EEEvT1_, .Lfunc_end5378-_ZN7rocprim17ROCPRIM_400000_NS6detail17trampoline_kernelINS0_14default_configENS1_20scan_config_selectorIjEEZZNS1_9scan_implILNS1_25lookback_scan_determinismE0ELb1ELb1ES3_N6thrust23THRUST_200600_302600_NS6detail15normal_iteratorINS9_10device_ptrIjEEEENS9_16discard_iteratorINS9_11use_defaultEEEjNS9_4plusIvEEjEEDaPvRmT3_T4_T5_mT6_P12ihipStream_tbENKUlT_T0_E_clISt17integral_constantIbLb0EESX_EEDaSS_ST_EUlSS_E0_NS1_11comp_targetILNS1_3genE3ELNS1_11target_archE908ELNS1_3gpuE7ELNS1_3repE0EEENS1_30default_config_static_selectorELNS0_4arch9wavefront6targetE1EEEvT1_
                                        ; -- End function
	.section	.AMDGPU.csdata,"",@progbits
; Kernel info:
; codeLenInByte = 0
; NumSgprs: 4
; NumVgprs: 0
; NumAgprs: 0
; TotalNumVgprs: 0
; ScratchSize: 0
; MemoryBound: 0
; FloatMode: 240
; IeeeMode: 1
; LDSByteSize: 0 bytes/workgroup (compile time only)
; SGPRBlocks: 0
; VGPRBlocks: 0
; NumSGPRsForWavesPerEU: 4
; NumVGPRsForWavesPerEU: 1
; AccumOffset: 4
; Occupancy: 8
; WaveLimiterHint : 0
; COMPUTE_PGM_RSRC2:SCRATCH_EN: 0
; COMPUTE_PGM_RSRC2:USER_SGPR: 6
; COMPUTE_PGM_RSRC2:TRAP_HANDLER: 0
; COMPUTE_PGM_RSRC2:TGID_X_EN: 1
; COMPUTE_PGM_RSRC2:TGID_Y_EN: 0
; COMPUTE_PGM_RSRC2:TGID_Z_EN: 0
; COMPUTE_PGM_RSRC2:TIDIG_COMP_CNT: 0
; COMPUTE_PGM_RSRC3_GFX90A:ACCUM_OFFSET: 0
; COMPUTE_PGM_RSRC3_GFX90A:TG_SPLIT: 0
	.section	.text._ZN7rocprim17ROCPRIM_400000_NS6detail17trampoline_kernelINS0_14default_configENS1_20scan_config_selectorIjEEZZNS1_9scan_implILNS1_25lookback_scan_determinismE0ELb1ELb1ES3_N6thrust23THRUST_200600_302600_NS6detail15normal_iteratorINS9_10device_ptrIjEEEENS9_16discard_iteratorINS9_11use_defaultEEEjNS9_4plusIvEEjEEDaPvRmT3_T4_T5_mT6_P12ihipStream_tbENKUlT_T0_E_clISt17integral_constantIbLb0EESX_EEDaSS_ST_EUlSS_E0_NS1_11comp_targetILNS1_3genE2ELNS1_11target_archE906ELNS1_3gpuE6ELNS1_3repE0EEENS1_30default_config_static_selectorELNS0_4arch9wavefront6targetE1EEEvT1_,"axG",@progbits,_ZN7rocprim17ROCPRIM_400000_NS6detail17trampoline_kernelINS0_14default_configENS1_20scan_config_selectorIjEEZZNS1_9scan_implILNS1_25lookback_scan_determinismE0ELb1ELb1ES3_N6thrust23THRUST_200600_302600_NS6detail15normal_iteratorINS9_10device_ptrIjEEEENS9_16discard_iteratorINS9_11use_defaultEEEjNS9_4plusIvEEjEEDaPvRmT3_T4_T5_mT6_P12ihipStream_tbENKUlT_T0_E_clISt17integral_constantIbLb0EESX_EEDaSS_ST_EUlSS_E0_NS1_11comp_targetILNS1_3genE2ELNS1_11target_archE906ELNS1_3gpuE6ELNS1_3repE0EEENS1_30default_config_static_selectorELNS0_4arch9wavefront6targetE1EEEvT1_,comdat
	.protected	_ZN7rocprim17ROCPRIM_400000_NS6detail17trampoline_kernelINS0_14default_configENS1_20scan_config_selectorIjEEZZNS1_9scan_implILNS1_25lookback_scan_determinismE0ELb1ELb1ES3_N6thrust23THRUST_200600_302600_NS6detail15normal_iteratorINS9_10device_ptrIjEEEENS9_16discard_iteratorINS9_11use_defaultEEEjNS9_4plusIvEEjEEDaPvRmT3_T4_T5_mT6_P12ihipStream_tbENKUlT_T0_E_clISt17integral_constantIbLb0EESX_EEDaSS_ST_EUlSS_E0_NS1_11comp_targetILNS1_3genE2ELNS1_11target_archE906ELNS1_3gpuE6ELNS1_3repE0EEENS1_30default_config_static_selectorELNS0_4arch9wavefront6targetE1EEEvT1_ ; -- Begin function _ZN7rocprim17ROCPRIM_400000_NS6detail17trampoline_kernelINS0_14default_configENS1_20scan_config_selectorIjEEZZNS1_9scan_implILNS1_25lookback_scan_determinismE0ELb1ELb1ES3_N6thrust23THRUST_200600_302600_NS6detail15normal_iteratorINS9_10device_ptrIjEEEENS9_16discard_iteratorINS9_11use_defaultEEEjNS9_4plusIvEEjEEDaPvRmT3_T4_T5_mT6_P12ihipStream_tbENKUlT_T0_E_clISt17integral_constantIbLb0EESX_EEDaSS_ST_EUlSS_E0_NS1_11comp_targetILNS1_3genE2ELNS1_11target_archE906ELNS1_3gpuE6ELNS1_3repE0EEENS1_30default_config_static_selectorELNS0_4arch9wavefront6targetE1EEEvT1_
	.globl	_ZN7rocprim17ROCPRIM_400000_NS6detail17trampoline_kernelINS0_14default_configENS1_20scan_config_selectorIjEEZZNS1_9scan_implILNS1_25lookback_scan_determinismE0ELb1ELb1ES3_N6thrust23THRUST_200600_302600_NS6detail15normal_iteratorINS9_10device_ptrIjEEEENS9_16discard_iteratorINS9_11use_defaultEEEjNS9_4plusIvEEjEEDaPvRmT3_T4_T5_mT6_P12ihipStream_tbENKUlT_T0_E_clISt17integral_constantIbLb0EESX_EEDaSS_ST_EUlSS_E0_NS1_11comp_targetILNS1_3genE2ELNS1_11target_archE906ELNS1_3gpuE6ELNS1_3repE0EEENS1_30default_config_static_selectorELNS0_4arch9wavefront6targetE1EEEvT1_
	.p2align	8
	.type	_ZN7rocprim17ROCPRIM_400000_NS6detail17trampoline_kernelINS0_14default_configENS1_20scan_config_selectorIjEEZZNS1_9scan_implILNS1_25lookback_scan_determinismE0ELb1ELb1ES3_N6thrust23THRUST_200600_302600_NS6detail15normal_iteratorINS9_10device_ptrIjEEEENS9_16discard_iteratorINS9_11use_defaultEEEjNS9_4plusIvEEjEEDaPvRmT3_T4_T5_mT6_P12ihipStream_tbENKUlT_T0_E_clISt17integral_constantIbLb0EESX_EEDaSS_ST_EUlSS_E0_NS1_11comp_targetILNS1_3genE2ELNS1_11target_archE906ELNS1_3gpuE6ELNS1_3repE0EEENS1_30default_config_static_selectorELNS0_4arch9wavefront6targetE1EEEvT1_,@function
_ZN7rocprim17ROCPRIM_400000_NS6detail17trampoline_kernelINS0_14default_configENS1_20scan_config_selectorIjEEZZNS1_9scan_implILNS1_25lookback_scan_determinismE0ELb1ELb1ES3_N6thrust23THRUST_200600_302600_NS6detail15normal_iteratorINS9_10device_ptrIjEEEENS9_16discard_iteratorINS9_11use_defaultEEEjNS9_4plusIvEEjEEDaPvRmT3_T4_T5_mT6_P12ihipStream_tbENKUlT_T0_E_clISt17integral_constantIbLb0EESX_EEDaSS_ST_EUlSS_E0_NS1_11comp_targetILNS1_3genE2ELNS1_11target_archE906ELNS1_3gpuE6ELNS1_3repE0EEENS1_30default_config_static_selectorELNS0_4arch9wavefront6targetE1EEEvT1_: ; @_ZN7rocprim17ROCPRIM_400000_NS6detail17trampoline_kernelINS0_14default_configENS1_20scan_config_selectorIjEEZZNS1_9scan_implILNS1_25lookback_scan_determinismE0ELb1ELb1ES3_N6thrust23THRUST_200600_302600_NS6detail15normal_iteratorINS9_10device_ptrIjEEEENS9_16discard_iteratorINS9_11use_defaultEEEjNS9_4plusIvEEjEEDaPvRmT3_T4_T5_mT6_P12ihipStream_tbENKUlT_T0_E_clISt17integral_constantIbLb0EESX_EEDaSS_ST_EUlSS_E0_NS1_11comp_targetILNS1_3genE2ELNS1_11target_archE906ELNS1_3gpuE6ELNS1_3repE0EEENS1_30default_config_static_selectorELNS0_4arch9wavefront6targetE1EEEvT1_
; %bb.0:
	.section	.rodata,"a",@progbits
	.p2align	6, 0x0
	.amdhsa_kernel _ZN7rocprim17ROCPRIM_400000_NS6detail17trampoline_kernelINS0_14default_configENS1_20scan_config_selectorIjEEZZNS1_9scan_implILNS1_25lookback_scan_determinismE0ELb1ELb1ES3_N6thrust23THRUST_200600_302600_NS6detail15normal_iteratorINS9_10device_ptrIjEEEENS9_16discard_iteratorINS9_11use_defaultEEEjNS9_4plusIvEEjEEDaPvRmT3_T4_T5_mT6_P12ihipStream_tbENKUlT_T0_E_clISt17integral_constantIbLb0EESX_EEDaSS_ST_EUlSS_E0_NS1_11comp_targetILNS1_3genE2ELNS1_11target_archE906ELNS1_3gpuE6ELNS1_3repE0EEENS1_30default_config_static_selectorELNS0_4arch9wavefront6targetE1EEEvT1_
		.amdhsa_group_segment_fixed_size 0
		.amdhsa_private_segment_fixed_size 0
		.amdhsa_kernarg_size 40
		.amdhsa_user_sgpr_count 6
		.amdhsa_user_sgpr_private_segment_buffer 1
		.amdhsa_user_sgpr_dispatch_ptr 0
		.amdhsa_user_sgpr_queue_ptr 0
		.amdhsa_user_sgpr_kernarg_segment_ptr 1
		.amdhsa_user_sgpr_dispatch_id 0
		.amdhsa_user_sgpr_flat_scratch_init 0
		.amdhsa_user_sgpr_kernarg_preload_length 0
		.amdhsa_user_sgpr_kernarg_preload_offset 0
		.amdhsa_user_sgpr_private_segment_size 0
		.amdhsa_uses_dynamic_stack 0
		.amdhsa_system_sgpr_private_segment_wavefront_offset 0
		.amdhsa_system_sgpr_workgroup_id_x 1
		.amdhsa_system_sgpr_workgroup_id_y 0
		.amdhsa_system_sgpr_workgroup_id_z 0
		.amdhsa_system_sgpr_workgroup_info 0
		.amdhsa_system_vgpr_workitem_id 0
		.amdhsa_next_free_vgpr 1
		.amdhsa_next_free_sgpr 0
		.amdhsa_accum_offset 4
		.amdhsa_reserve_vcc 0
		.amdhsa_reserve_flat_scratch 0
		.amdhsa_float_round_mode_32 0
		.amdhsa_float_round_mode_16_64 0
		.amdhsa_float_denorm_mode_32 3
		.amdhsa_float_denorm_mode_16_64 3
		.amdhsa_dx10_clamp 1
		.amdhsa_ieee_mode 1
		.amdhsa_fp16_overflow 0
		.amdhsa_tg_split 0
		.amdhsa_exception_fp_ieee_invalid_op 0
		.amdhsa_exception_fp_denorm_src 0
		.amdhsa_exception_fp_ieee_div_zero 0
		.amdhsa_exception_fp_ieee_overflow 0
		.amdhsa_exception_fp_ieee_underflow 0
		.amdhsa_exception_fp_ieee_inexact 0
		.amdhsa_exception_int_div_zero 0
	.end_amdhsa_kernel
	.section	.text._ZN7rocprim17ROCPRIM_400000_NS6detail17trampoline_kernelINS0_14default_configENS1_20scan_config_selectorIjEEZZNS1_9scan_implILNS1_25lookback_scan_determinismE0ELb1ELb1ES3_N6thrust23THRUST_200600_302600_NS6detail15normal_iteratorINS9_10device_ptrIjEEEENS9_16discard_iteratorINS9_11use_defaultEEEjNS9_4plusIvEEjEEDaPvRmT3_T4_T5_mT6_P12ihipStream_tbENKUlT_T0_E_clISt17integral_constantIbLb0EESX_EEDaSS_ST_EUlSS_E0_NS1_11comp_targetILNS1_3genE2ELNS1_11target_archE906ELNS1_3gpuE6ELNS1_3repE0EEENS1_30default_config_static_selectorELNS0_4arch9wavefront6targetE1EEEvT1_,"axG",@progbits,_ZN7rocprim17ROCPRIM_400000_NS6detail17trampoline_kernelINS0_14default_configENS1_20scan_config_selectorIjEEZZNS1_9scan_implILNS1_25lookback_scan_determinismE0ELb1ELb1ES3_N6thrust23THRUST_200600_302600_NS6detail15normal_iteratorINS9_10device_ptrIjEEEENS9_16discard_iteratorINS9_11use_defaultEEEjNS9_4plusIvEEjEEDaPvRmT3_T4_T5_mT6_P12ihipStream_tbENKUlT_T0_E_clISt17integral_constantIbLb0EESX_EEDaSS_ST_EUlSS_E0_NS1_11comp_targetILNS1_3genE2ELNS1_11target_archE906ELNS1_3gpuE6ELNS1_3repE0EEENS1_30default_config_static_selectorELNS0_4arch9wavefront6targetE1EEEvT1_,comdat
.Lfunc_end5379:
	.size	_ZN7rocprim17ROCPRIM_400000_NS6detail17trampoline_kernelINS0_14default_configENS1_20scan_config_selectorIjEEZZNS1_9scan_implILNS1_25lookback_scan_determinismE0ELb1ELb1ES3_N6thrust23THRUST_200600_302600_NS6detail15normal_iteratorINS9_10device_ptrIjEEEENS9_16discard_iteratorINS9_11use_defaultEEEjNS9_4plusIvEEjEEDaPvRmT3_T4_T5_mT6_P12ihipStream_tbENKUlT_T0_E_clISt17integral_constantIbLb0EESX_EEDaSS_ST_EUlSS_E0_NS1_11comp_targetILNS1_3genE2ELNS1_11target_archE906ELNS1_3gpuE6ELNS1_3repE0EEENS1_30default_config_static_selectorELNS0_4arch9wavefront6targetE1EEEvT1_, .Lfunc_end5379-_ZN7rocprim17ROCPRIM_400000_NS6detail17trampoline_kernelINS0_14default_configENS1_20scan_config_selectorIjEEZZNS1_9scan_implILNS1_25lookback_scan_determinismE0ELb1ELb1ES3_N6thrust23THRUST_200600_302600_NS6detail15normal_iteratorINS9_10device_ptrIjEEEENS9_16discard_iteratorINS9_11use_defaultEEEjNS9_4plusIvEEjEEDaPvRmT3_T4_T5_mT6_P12ihipStream_tbENKUlT_T0_E_clISt17integral_constantIbLb0EESX_EEDaSS_ST_EUlSS_E0_NS1_11comp_targetILNS1_3genE2ELNS1_11target_archE906ELNS1_3gpuE6ELNS1_3repE0EEENS1_30default_config_static_selectorELNS0_4arch9wavefront6targetE1EEEvT1_
                                        ; -- End function
	.section	.AMDGPU.csdata,"",@progbits
; Kernel info:
; codeLenInByte = 0
; NumSgprs: 4
; NumVgprs: 0
; NumAgprs: 0
; TotalNumVgprs: 0
; ScratchSize: 0
; MemoryBound: 0
; FloatMode: 240
; IeeeMode: 1
; LDSByteSize: 0 bytes/workgroup (compile time only)
; SGPRBlocks: 0
; VGPRBlocks: 0
; NumSGPRsForWavesPerEU: 4
; NumVGPRsForWavesPerEU: 1
; AccumOffset: 4
; Occupancy: 8
; WaveLimiterHint : 0
; COMPUTE_PGM_RSRC2:SCRATCH_EN: 0
; COMPUTE_PGM_RSRC2:USER_SGPR: 6
; COMPUTE_PGM_RSRC2:TRAP_HANDLER: 0
; COMPUTE_PGM_RSRC2:TGID_X_EN: 1
; COMPUTE_PGM_RSRC2:TGID_Y_EN: 0
; COMPUTE_PGM_RSRC2:TGID_Z_EN: 0
; COMPUTE_PGM_RSRC2:TIDIG_COMP_CNT: 0
; COMPUTE_PGM_RSRC3_GFX90A:ACCUM_OFFSET: 0
; COMPUTE_PGM_RSRC3_GFX90A:TG_SPLIT: 0
	.section	.text._ZN7rocprim17ROCPRIM_400000_NS6detail17trampoline_kernelINS0_14default_configENS1_20scan_config_selectorIjEEZZNS1_9scan_implILNS1_25lookback_scan_determinismE0ELb1ELb1ES3_N6thrust23THRUST_200600_302600_NS6detail15normal_iteratorINS9_10device_ptrIjEEEENS9_16discard_iteratorINS9_11use_defaultEEEjNS9_4plusIvEEjEEDaPvRmT3_T4_T5_mT6_P12ihipStream_tbENKUlT_T0_E_clISt17integral_constantIbLb0EESX_EEDaSS_ST_EUlSS_E0_NS1_11comp_targetILNS1_3genE10ELNS1_11target_archE1201ELNS1_3gpuE5ELNS1_3repE0EEENS1_30default_config_static_selectorELNS0_4arch9wavefront6targetE1EEEvT1_,"axG",@progbits,_ZN7rocprim17ROCPRIM_400000_NS6detail17trampoline_kernelINS0_14default_configENS1_20scan_config_selectorIjEEZZNS1_9scan_implILNS1_25lookback_scan_determinismE0ELb1ELb1ES3_N6thrust23THRUST_200600_302600_NS6detail15normal_iteratorINS9_10device_ptrIjEEEENS9_16discard_iteratorINS9_11use_defaultEEEjNS9_4plusIvEEjEEDaPvRmT3_T4_T5_mT6_P12ihipStream_tbENKUlT_T0_E_clISt17integral_constantIbLb0EESX_EEDaSS_ST_EUlSS_E0_NS1_11comp_targetILNS1_3genE10ELNS1_11target_archE1201ELNS1_3gpuE5ELNS1_3repE0EEENS1_30default_config_static_selectorELNS0_4arch9wavefront6targetE1EEEvT1_,comdat
	.protected	_ZN7rocprim17ROCPRIM_400000_NS6detail17trampoline_kernelINS0_14default_configENS1_20scan_config_selectorIjEEZZNS1_9scan_implILNS1_25lookback_scan_determinismE0ELb1ELb1ES3_N6thrust23THRUST_200600_302600_NS6detail15normal_iteratorINS9_10device_ptrIjEEEENS9_16discard_iteratorINS9_11use_defaultEEEjNS9_4plusIvEEjEEDaPvRmT3_T4_T5_mT6_P12ihipStream_tbENKUlT_T0_E_clISt17integral_constantIbLb0EESX_EEDaSS_ST_EUlSS_E0_NS1_11comp_targetILNS1_3genE10ELNS1_11target_archE1201ELNS1_3gpuE5ELNS1_3repE0EEENS1_30default_config_static_selectorELNS0_4arch9wavefront6targetE1EEEvT1_ ; -- Begin function _ZN7rocprim17ROCPRIM_400000_NS6detail17trampoline_kernelINS0_14default_configENS1_20scan_config_selectorIjEEZZNS1_9scan_implILNS1_25lookback_scan_determinismE0ELb1ELb1ES3_N6thrust23THRUST_200600_302600_NS6detail15normal_iteratorINS9_10device_ptrIjEEEENS9_16discard_iteratorINS9_11use_defaultEEEjNS9_4plusIvEEjEEDaPvRmT3_T4_T5_mT6_P12ihipStream_tbENKUlT_T0_E_clISt17integral_constantIbLb0EESX_EEDaSS_ST_EUlSS_E0_NS1_11comp_targetILNS1_3genE10ELNS1_11target_archE1201ELNS1_3gpuE5ELNS1_3repE0EEENS1_30default_config_static_selectorELNS0_4arch9wavefront6targetE1EEEvT1_
	.globl	_ZN7rocprim17ROCPRIM_400000_NS6detail17trampoline_kernelINS0_14default_configENS1_20scan_config_selectorIjEEZZNS1_9scan_implILNS1_25lookback_scan_determinismE0ELb1ELb1ES3_N6thrust23THRUST_200600_302600_NS6detail15normal_iteratorINS9_10device_ptrIjEEEENS9_16discard_iteratorINS9_11use_defaultEEEjNS9_4plusIvEEjEEDaPvRmT3_T4_T5_mT6_P12ihipStream_tbENKUlT_T0_E_clISt17integral_constantIbLb0EESX_EEDaSS_ST_EUlSS_E0_NS1_11comp_targetILNS1_3genE10ELNS1_11target_archE1201ELNS1_3gpuE5ELNS1_3repE0EEENS1_30default_config_static_selectorELNS0_4arch9wavefront6targetE1EEEvT1_
	.p2align	8
	.type	_ZN7rocprim17ROCPRIM_400000_NS6detail17trampoline_kernelINS0_14default_configENS1_20scan_config_selectorIjEEZZNS1_9scan_implILNS1_25lookback_scan_determinismE0ELb1ELb1ES3_N6thrust23THRUST_200600_302600_NS6detail15normal_iteratorINS9_10device_ptrIjEEEENS9_16discard_iteratorINS9_11use_defaultEEEjNS9_4plusIvEEjEEDaPvRmT3_T4_T5_mT6_P12ihipStream_tbENKUlT_T0_E_clISt17integral_constantIbLb0EESX_EEDaSS_ST_EUlSS_E0_NS1_11comp_targetILNS1_3genE10ELNS1_11target_archE1201ELNS1_3gpuE5ELNS1_3repE0EEENS1_30default_config_static_selectorELNS0_4arch9wavefront6targetE1EEEvT1_,@function
_ZN7rocprim17ROCPRIM_400000_NS6detail17trampoline_kernelINS0_14default_configENS1_20scan_config_selectorIjEEZZNS1_9scan_implILNS1_25lookback_scan_determinismE0ELb1ELb1ES3_N6thrust23THRUST_200600_302600_NS6detail15normal_iteratorINS9_10device_ptrIjEEEENS9_16discard_iteratorINS9_11use_defaultEEEjNS9_4plusIvEEjEEDaPvRmT3_T4_T5_mT6_P12ihipStream_tbENKUlT_T0_E_clISt17integral_constantIbLb0EESX_EEDaSS_ST_EUlSS_E0_NS1_11comp_targetILNS1_3genE10ELNS1_11target_archE1201ELNS1_3gpuE5ELNS1_3repE0EEENS1_30default_config_static_selectorELNS0_4arch9wavefront6targetE1EEEvT1_: ; @_ZN7rocprim17ROCPRIM_400000_NS6detail17trampoline_kernelINS0_14default_configENS1_20scan_config_selectorIjEEZZNS1_9scan_implILNS1_25lookback_scan_determinismE0ELb1ELb1ES3_N6thrust23THRUST_200600_302600_NS6detail15normal_iteratorINS9_10device_ptrIjEEEENS9_16discard_iteratorINS9_11use_defaultEEEjNS9_4plusIvEEjEEDaPvRmT3_T4_T5_mT6_P12ihipStream_tbENKUlT_T0_E_clISt17integral_constantIbLb0EESX_EEDaSS_ST_EUlSS_E0_NS1_11comp_targetILNS1_3genE10ELNS1_11target_archE1201ELNS1_3gpuE5ELNS1_3repE0EEENS1_30default_config_static_selectorELNS0_4arch9wavefront6targetE1EEEvT1_
; %bb.0:
	.section	.rodata,"a",@progbits
	.p2align	6, 0x0
	.amdhsa_kernel _ZN7rocprim17ROCPRIM_400000_NS6detail17trampoline_kernelINS0_14default_configENS1_20scan_config_selectorIjEEZZNS1_9scan_implILNS1_25lookback_scan_determinismE0ELb1ELb1ES3_N6thrust23THRUST_200600_302600_NS6detail15normal_iteratorINS9_10device_ptrIjEEEENS9_16discard_iteratorINS9_11use_defaultEEEjNS9_4plusIvEEjEEDaPvRmT3_T4_T5_mT6_P12ihipStream_tbENKUlT_T0_E_clISt17integral_constantIbLb0EESX_EEDaSS_ST_EUlSS_E0_NS1_11comp_targetILNS1_3genE10ELNS1_11target_archE1201ELNS1_3gpuE5ELNS1_3repE0EEENS1_30default_config_static_selectorELNS0_4arch9wavefront6targetE1EEEvT1_
		.amdhsa_group_segment_fixed_size 0
		.amdhsa_private_segment_fixed_size 0
		.amdhsa_kernarg_size 40
		.amdhsa_user_sgpr_count 6
		.amdhsa_user_sgpr_private_segment_buffer 1
		.amdhsa_user_sgpr_dispatch_ptr 0
		.amdhsa_user_sgpr_queue_ptr 0
		.amdhsa_user_sgpr_kernarg_segment_ptr 1
		.amdhsa_user_sgpr_dispatch_id 0
		.amdhsa_user_sgpr_flat_scratch_init 0
		.amdhsa_user_sgpr_kernarg_preload_length 0
		.amdhsa_user_sgpr_kernarg_preload_offset 0
		.amdhsa_user_sgpr_private_segment_size 0
		.amdhsa_uses_dynamic_stack 0
		.amdhsa_system_sgpr_private_segment_wavefront_offset 0
		.amdhsa_system_sgpr_workgroup_id_x 1
		.amdhsa_system_sgpr_workgroup_id_y 0
		.amdhsa_system_sgpr_workgroup_id_z 0
		.amdhsa_system_sgpr_workgroup_info 0
		.amdhsa_system_vgpr_workitem_id 0
		.amdhsa_next_free_vgpr 1
		.amdhsa_next_free_sgpr 0
		.amdhsa_accum_offset 4
		.amdhsa_reserve_vcc 0
		.amdhsa_reserve_flat_scratch 0
		.amdhsa_float_round_mode_32 0
		.amdhsa_float_round_mode_16_64 0
		.amdhsa_float_denorm_mode_32 3
		.amdhsa_float_denorm_mode_16_64 3
		.amdhsa_dx10_clamp 1
		.amdhsa_ieee_mode 1
		.amdhsa_fp16_overflow 0
		.amdhsa_tg_split 0
		.amdhsa_exception_fp_ieee_invalid_op 0
		.amdhsa_exception_fp_denorm_src 0
		.amdhsa_exception_fp_ieee_div_zero 0
		.amdhsa_exception_fp_ieee_overflow 0
		.amdhsa_exception_fp_ieee_underflow 0
		.amdhsa_exception_fp_ieee_inexact 0
		.amdhsa_exception_int_div_zero 0
	.end_amdhsa_kernel
	.section	.text._ZN7rocprim17ROCPRIM_400000_NS6detail17trampoline_kernelINS0_14default_configENS1_20scan_config_selectorIjEEZZNS1_9scan_implILNS1_25lookback_scan_determinismE0ELb1ELb1ES3_N6thrust23THRUST_200600_302600_NS6detail15normal_iteratorINS9_10device_ptrIjEEEENS9_16discard_iteratorINS9_11use_defaultEEEjNS9_4plusIvEEjEEDaPvRmT3_T4_T5_mT6_P12ihipStream_tbENKUlT_T0_E_clISt17integral_constantIbLb0EESX_EEDaSS_ST_EUlSS_E0_NS1_11comp_targetILNS1_3genE10ELNS1_11target_archE1201ELNS1_3gpuE5ELNS1_3repE0EEENS1_30default_config_static_selectorELNS0_4arch9wavefront6targetE1EEEvT1_,"axG",@progbits,_ZN7rocprim17ROCPRIM_400000_NS6detail17trampoline_kernelINS0_14default_configENS1_20scan_config_selectorIjEEZZNS1_9scan_implILNS1_25lookback_scan_determinismE0ELb1ELb1ES3_N6thrust23THRUST_200600_302600_NS6detail15normal_iteratorINS9_10device_ptrIjEEEENS9_16discard_iteratorINS9_11use_defaultEEEjNS9_4plusIvEEjEEDaPvRmT3_T4_T5_mT6_P12ihipStream_tbENKUlT_T0_E_clISt17integral_constantIbLb0EESX_EEDaSS_ST_EUlSS_E0_NS1_11comp_targetILNS1_3genE10ELNS1_11target_archE1201ELNS1_3gpuE5ELNS1_3repE0EEENS1_30default_config_static_selectorELNS0_4arch9wavefront6targetE1EEEvT1_,comdat
.Lfunc_end5380:
	.size	_ZN7rocprim17ROCPRIM_400000_NS6detail17trampoline_kernelINS0_14default_configENS1_20scan_config_selectorIjEEZZNS1_9scan_implILNS1_25lookback_scan_determinismE0ELb1ELb1ES3_N6thrust23THRUST_200600_302600_NS6detail15normal_iteratorINS9_10device_ptrIjEEEENS9_16discard_iteratorINS9_11use_defaultEEEjNS9_4plusIvEEjEEDaPvRmT3_T4_T5_mT6_P12ihipStream_tbENKUlT_T0_E_clISt17integral_constantIbLb0EESX_EEDaSS_ST_EUlSS_E0_NS1_11comp_targetILNS1_3genE10ELNS1_11target_archE1201ELNS1_3gpuE5ELNS1_3repE0EEENS1_30default_config_static_selectorELNS0_4arch9wavefront6targetE1EEEvT1_, .Lfunc_end5380-_ZN7rocprim17ROCPRIM_400000_NS6detail17trampoline_kernelINS0_14default_configENS1_20scan_config_selectorIjEEZZNS1_9scan_implILNS1_25lookback_scan_determinismE0ELb1ELb1ES3_N6thrust23THRUST_200600_302600_NS6detail15normal_iteratorINS9_10device_ptrIjEEEENS9_16discard_iteratorINS9_11use_defaultEEEjNS9_4plusIvEEjEEDaPvRmT3_T4_T5_mT6_P12ihipStream_tbENKUlT_T0_E_clISt17integral_constantIbLb0EESX_EEDaSS_ST_EUlSS_E0_NS1_11comp_targetILNS1_3genE10ELNS1_11target_archE1201ELNS1_3gpuE5ELNS1_3repE0EEENS1_30default_config_static_selectorELNS0_4arch9wavefront6targetE1EEEvT1_
                                        ; -- End function
	.section	.AMDGPU.csdata,"",@progbits
; Kernel info:
; codeLenInByte = 0
; NumSgprs: 4
; NumVgprs: 0
; NumAgprs: 0
; TotalNumVgprs: 0
; ScratchSize: 0
; MemoryBound: 0
; FloatMode: 240
; IeeeMode: 1
; LDSByteSize: 0 bytes/workgroup (compile time only)
; SGPRBlocks: 0
; VGPRBlocks: 0
; NumSGPRsForWavesPerEU: 4
; NumVGPRsForWavesPerEU: 1
; AccumOffset: 4
; Occupancy: 8
; WaveLimiterHint : 0
; COMPUTE_PGM_RSRC2:SCRATCH_EN: 0
; COMPUTE_PGM_RSRC2:USER_SGPR: 6
; COMPUTE_PGM_RSRC2:TRAP_HANDLER: 0
; COMPUTE_PGM_RSRC2:TGID_X_EN: 1
; COMPUTE_PGM_RSRC2:TGID_Y_EN: 0
; COMPUTE_PGM_RSRC2:TGID_Z_EN: 0
; COMPUTE_PGM_RSRC2:TIDIG_COMP_CNT: 0
; COMPUTE_PGM_RSRC3_GFX90A:ACCUM_OFFSET: 0
; COMPUTE_PGM_RSRC3_GFX90A:TG_SPLIT: 0
	.section	.text._ZN7rocprim17ROCPRIM_400000_NS6detail17trampoline_kernelINS0_14default_configENS1_20scan_config_selectorIjEEZZNS1_9scan_implILNS1_25lookback_scan_determinismE0ELb1ELb1ES3_N6thrust23THRUST_200600_302600_NS6detail15normal_iteratorINS9_10device_ptrIjEEEENS9_16discard_iteratorINS9_11use_defaultEEEjNS9_4plusIvEEjEEDaPvRmT3_T4_T5_mT6_P12ihipStream_tbENKUlT_T0_E_clISt17integral_constantIbLb0EESX_EEDaSS_ST_EUlSS_E0_NS1_11comp_targetILNS1_3genE10ELNS1_11target_archE1200ELNS1_3gpuE4ELNS1_3repE0EEENS1_30default_config_static_selectorELNS0_4arch9wavefront6targetE1EEEvT1_,"axG",@progbits,_ZN7rocprim17ROCPRIM_400000_NS6detail17trampoline_kernelINS0_14default_configENS1_20scan_config_selectorIjEEZZNS1_9scan_implILNS1_25lookback_scan_determinismE0ELb1ELb1ES3_N6thrust23THRUST_200600_302600_NS6detail15normal_iteratorINS9_10device_ptrIjEEEENS9_16discard_iteratorINS9_11use_defaultEEEjNS9_4plusIvEEjEEDaPvRmT3_T4_T5_mT6_P12ihipStream_tbENKUlT_T0_E_clISt17integral_constantIbLb0EESX_EEDaSS_ST_EUlSS_E0_NS1_11comp_targetILNS1_3genE10ELNS1_11target_archE1200ELNS1_3gpuE4ELNS1_3repE0EEENS1_30default_config_static_selectorELNS0_4arch9wavefront6targetE1EEEvT1_,comdat
	.protected	_ZN7rocprim17ROCPRIM_400000_NS6detail17trampoline_kernelINS0_14default_configENS1_20scan_config_selectorIjEEZZNS1_9scan_implILNS1_25lookback_scan_determinismE0ELb1ELb1ES3_N6thrust23THRUST_200600_302600_NS6detail15normal_iteratorINS9_10device_ptrIjEEEENS9_16discard_iteratorINS9_11use_defaultEEEjNS9_4plusIvEEjEEDaPvRmT3_T4_T5_mT6_P12ihipStream_tbENKUlT_T0_E_clISt17integral_constantIbLb0EESX_EEDaSS_ST_EUlSS_E0_NS1_11comp_targetILNS1_3genE10ELNS1_11target_archE1200ELNS1_3gpuE4ELNS1_3repE0EEENS1_30default_config_static_selectorELNS0_4arch9wavefront6targetE1EEEvT1_ ; -- Begin function _ZN7rocprim17ROCPRIM_400000_NS6detail17trampoline_kernelINS0_14default_configENS1_20scan_config_selectorIjEEZZNS1_9scan_implILNS1_25lookback_scan_determinismE0ELb1ELb1ES3_N6thrust23THRUST_200600_302600_NS6detail15normal_iteratorINS9_10device_ptrIjEEEENS9_16discard_iteratorINS9_11use_defaultEEEjNS9_4plusIvEEjEEDaPvRmT3_T4_T5_mT6_P12ihipStream_tbENKUlT_T0_E_clISt17integral_constantIbLb0EESX_EEDaSS_ST_EUlSS_E0_NS1_11comp_targetILNS1_3genE10ELNS1_11target_archE1200ELNS1_3gpuE4ELNS1_3repE0EEENS1_30default_config_static_selectorELNS0_4arch9wavefront6targetE1EEEvT1_
	.globl	_ZN7rocprim17ROCPRIM_400000_NS6detail17trampoline_kernelINS0_14default_configENS1_20scan_config_selectorIjEEZZNS1_9scan_implILNS1_25lookback_scan_determinismE0ELb1ELb1ES3_N6thrust23THRUST_200600_302600_NS6detail15normal_iteratorINS9_10device_ptrIjEEEENS9_16discard_iteratorINS9_11use_defaultEEEjNS9_4plusIvEEjEEDaPvRmT3_T4_T5_mT6_P12ihipStream_tbENKUlT_T0_E_clISt17integral_constantIbLb0EESX_EEDaSS_ST_EUlSS_E0_NS1_11comp_targetILNS1_3genE10ELNS1_11target_archE1200ELNS1_3gpuE4ELNS1_3repE0EEENS1_30default_config_static_selectorELNS0_4arch9wavefront6targetE1EEEvT1_
	.p2align	8
	.type	_ZN7rocprim17ROCPRIM_400000_NS6detail17trampoline_kernelINS0_14default_configENS1_20scan_config_selectorIjEEZZNS1_9scan_implILNS1_25lookback_scan_determinismE0ELb1ELb1ES3_N6thrust23THRUST_200600_302600_NS6detail15normal_iteratorINS9_10device_ptrIjEEEENS9_16discard_iteratorINS9_11use_defaultEEEjNS9_4plusIvEEjEEDaPvRmT3_T4_T5_mT6_P12ihipStream_tbENKUlT_T0_E_clISt17integral_constantIbLb0EESX_EEDaSS_ST_EUlSS_E0_NS1_11comp_targetILNS1_3genE10ELNS1_11target_archE1200ELNS1_3gpuE4ELNS1_3repE0EEENS1_30default_config_static_selectorELNS0_4arch9wavefront6targetE1EEEvT1_,@function
_ZN7rocprim17ROCPRIM_400000_NS6detail17trampoline_kernelINS0_14default_configENS1_20scan_config_selectorIjEEZZNS1_9scan_implILNS1_25lookback_scan_determinismE0ELb1ELb1ES3_N6thrust23THRUST_200600_302600_NS6detail15normal_iteratorINS9_10device_ptrIjEEEENS9_16discard_iteratorINS9_11use_defaultEEEjNS9_4plusIvEEjEEDaPvRmT3_T4_T5_mT6_P12ihipStream_tbENKUlT_T0_E_clISt17integral_constantIbLb0EESX_EEDaSS_ST_EUlSS_E0_NS1_11comp_targetILNS1_3genE10ELNS1_11target_archE1200ELNS1_3gpuE4ELNS1_3repE0EEENS1_30default_config_static_selectorELNS0_4arch9wavefront6targetE1EEEvT1_: ; @_ZN7rocprim17ROCPRIM_400000_NS6detail17trampoline_kernelINS0_14default_configENS1_20scan_config_selectorIjEEZZNS1_9scan_implILNS1_25lookback_scan_determinismE0ELb1ELb1ES3_N6thrust23THRUST_200600_302600_NS6detail15normal_iteratorINS9_10device_ptrIjEEEENS9_16discard_iteratorINS9_11use_defaultEEEjNS9_4plusIvEEjEEDaPvRmT3_T4_T5_mT6_P12ihipStream_tbENKUlT_T0_E_clISt17integral_constantIbLb0EESX_EEDaSS_ST_EUlSS_E0_NS1_11comp_targetILNS1_3genE10ELNS1_11target_archE1200ELNS1_3gpuE4ELNS1_3repE0EEENS1_30default_config_static_selectorELNS0_4arch9wavefront6targetE1EEEvT1_
; %bb.0:
	.section	.rodata,"a",@progbits
	.p2align	6, 0x0
	.amdhsa_kernel _ZN7rocprim17ROCPRIM_400000_NS6detail17trampoline_kernelINS0_14default_configENS1_20scan_config_selectorIjEEZZNS1_9scan_implILNS1_25lookback_scan_determinismE0ELb1ELb1ES3_N6thrust23THRUST_200600_302600_NS6detail15normal_iteratorINS9_10device_ptrIjEEEENS9_16discard_iteratorINS9_11use_defaultEEEjNS9_4plusIvEEjEEDaPvRmT3_T4_T5_mT6_P12ihipStream_tbENKUlT_T0_E_clISt17integral_constantIbLb0EESX_EEDaSS_ST_EUlSS_E0_NS1_11comp_targetILNS1_3genE10ELNS1_11target_archE1200ELNS1_3gpuE4ELNS1_3repE0EEENS1_30default_config_static_selectorELNS0_4arch9wavefront6targetE1EEEvT1_
		.amdhsa_group_segment_fixed_size 0
		.amdhsa_private_segment_fixed_size 0
		.amdhsa_kernarg_size 40
		.amdhsa_user_sgpr_count 6
		.amdhsa_user_sgpr_private_segment_buffer 1
		.amdhsa_user_sgpr_dispatch_ptr 0
		.amdhsa_user_sgpr_queue_ptr 0
		.amdhsa_user_sgpr_kernarg_segment_ptr 1
		.amdhsa_user_sgpr_dispatch_id 0
		.amdhsa_user_sgpr_flat_scratch_init 0
		.amdhsa_user_sgpr_kernarg_preload_length 0
		.amdhsa_user_sgpr_kernarg_preload_offset 0
		.amdhsa_user_sgpr_private_segment_size 0
		.amdhsa_uses_dynamic_stack 0
		.amdhsa_system_sgpr_private_segment_wavefront_offset 0
		.amdhsa_system_sgpr_workgroup_id_x 1
		.amdhsa_system_sgpr_workgroup_id_y 0
		.amdhsa_system_sgpr_workgroup_id_z 0
		.amdhsa_system_sgpr_workgroup_info 0
		.amdhsa_system_vgpr_workitem_id 0
		.amdhsa_next_free_vgpr 1
		.amdhsa_next_free_sgpr 0
		.amdhsa_accum_offset 4
		.amdhsa_reserve_vcc 0
		.amdhsa_reserve_flat_scratch 0
		.amdhsa_float_round_mode_32 0
		.amdhsa_float_round_mode_16_64 0
		.amdhsa_float_denorm_mode_32 3
		.amdhsa_float_denorm_mode_16_64 3
		.amdhsa_dx10_clamp 1
		.amdhsa_ieee_mode 1
		.amdhsa_fp16_overflow 0
		.amdhsa_tg_split 0
		.amdhsa_exception_fp_ieee_invalid_op 0
		.amdhsa_exception_fp_denorm_src 0
		.amdhsa_exception_fp_ieee_div_zero 0
		.amdhsa_exception_fp_ieee_overflow 0
		.amdhsa_exception_fp_ieee_underflow 0
		.amdhsa_exception_fp_ieee_inexact 0
		.amdhsa_exception_int_div_zero 0
	.end_amdhsa_kernel
	.section	.text._ZN7rocprim17ROCPRIM_400000_NS6detail17trampoline_kernelINS0_14default_configENS1_20scan_config_selectorIjEEZZNS1_9scan_implILNS1_25lookback_scan_determinismE0ELb1ELb1ES3_N6thrust23THRUST_200600_302600_NS6detail15normal_iteratorINS9_10device_ptrIjEEEENS9_16discard_iteratorINS9_11use_defaultEEEjNS9_4plusIvEEjEEDaPvRmT3_T4_T5_mT6_P12ihipStream_tbENKUlT_T0_E_clISt17integral_constantIbLb0EESX_EEDaSS_ST_EUlSS_E0_NS1_11comp_targetILNS1_3genE10ELNS1_11target_archE1200ELNS1_3gpuE4ELNS1_3repE0EEENS1_30default_config_static_selectorELNS0_4arch9wavefront6targetE1EEEvT1_,"axG",@progbits,_ZN7rocprim17ROCPRIM_400000_NS6detail17trampoline_kernelINS0_14default_configENS1_20scan_config_selectorIjEEZZNS1_9scan_implILNS1_25lookback_scan_determinismE0ELb1ELb1ES3_N6thrust23THRUST_200600_302600_NS6detail15normal_iteratorINS9_10device_ptrIjEEEENS9_16discard_iteratorINS9_11use_defaultEEEjNS9_4plusIvEEjEEDaPvRmT3_T4_T5_mT6_P12ihipStream_tbENKUlT_T0_E_clISt17integral_constantIbLb0EESX_EEDaSS_ST_EUlSS_E0_NS1_11comp_targetILNS1_3genE10ELNS1_11target_archE1200ELNS1_3gpuE4ELNS1_3repE0EEENS1_30default_config_static_selectorELNS0_4arch9wavefront6targetE1EEEvT1_,comdat
.Lfunc_end5381:
	.size	_ZN7rocprim17ROCPRIM_400000_NS6detail17trampoline_kernelINS0_14default_configENS1_20scan_config_selectorIjEEZZNS1_9scan_implILNS1_25lookback_scan_determinismE0ELb1ELb1ES3_N6thrust23THRUST_200600_302600_NS6detail15normal_iteratorINS9_10device_ptrIjEEEENS9_16discard_iteratorINS9_11use_defaultEEEjNS9_4plusIvEEjEEDaPvRmT3_T4_T5_mT6_P12ihipStream_tbENKUlT_T0_E_clISt17integral_constantIbLb0EESX_EEDaSS_ST_EUlSS_E0_NS1_11comp_targetILNS1_3genE10ELNS1_11target_archE1200ELNS1_3gpuE4ELNS1_3repE0EEENS1_30default_config_static_selectorELNS0_4arch9wavefront6targetE1EEEvT1_, .Lfunc_end5381-_ZN7rocprim17ROCPRIM_400000_NS6detail17trampoline_kernelINS0_14default_configENS1_20scan_config_selectorIjEEZZNS1_9scan_implILNS1_25lookback_scan_determinismE0ELb1ELb1ES3_N6thrust23THRUST_200600_302600_NS6detail15normal_iteratorINS9_10device_ptrIjEEEENS9_16discard_iteratorINS9_11use_defaultEEEjNS9_4plusIvEEjEEDaPvRmT3_T4_T5_mT6_P12ihipStream_tbENKUlT_T0_E_clISt17integral_constantIbLb0EESX_EEDaSS_ST_EUlSS_E0_NS1_11comp_targetILNS1_3genE10ELNS1_11target_archE1200ELNS1_3gpuE4ELNS1_3repE0EEENS1_30default_config_static_selectorELNS0_4arch9wavefront6targetE1EEEvT1_
                                        ; -- End function
	.section	.AMDGPU.csdata,"",@progbits
; Kernel info:
; codeLenInByte = 0
; NumSgprs: 4
; NumVgprs: 0
; NumAgprs: 0
; TotalNumVgprs: 0
; ScratchSize: 0
; MemoryBound: 0
; FloatMode: 240
; IeeeMode: 1
; LDSByteSize: 0 bytes/workgroup (compile time only)
; SGPRBlocks: 0
; VGPRBlocks: 0
; NumSGPRsForWavesPerEU: 4
; NumVGPRsForWavesPerEU: 1
; AccumOffset: 4
; Occupancy: 8
; WaveLimiterHint : 0
; COMPUTE_PGM_RSRC2:SCRATCH_EN: 0
; COMPUTE_PGM_RSRC2:USER_SGPR: 6
; COMPUTE_PGM_RSRC2:TRAP_HANDLER: 0
; COMPUTE_PGM_RSRC2:TGID_X_EN: 1
; COMPUTE_PGM_RSRC2:TGID_Y_EN: 0
; COMPUTE_PGM_RSRC2:TGID_Z_EN: 0
; COMPUTE_PGM_RSRC2:TIDIG_COMP_CNT: 0
; COMPUTE_PGM_RSRC3_GFX90A:ACCUM_OFFSET: 0
; COMPUTE_PGM_RSRC3_GFX90A:TG_SPLIT: 0
	.section	.text._ZN7rocprim17ROCPRIM_400000_NS6detail17trampoline_kernelINS0_14default_configENS1_20scan_config_selectorIjEEZZNS1_9scan_implILNS1_25lookback_scan_determinismE0ELb1ELb1ES3_N6thrust23THRUST_200600_302600_NS6detail15normal_iteratorINS9_10device_ptrIjEEEENS9_16discard_iteratorINS9_11use_defaultEEEjNS9_4plusIvEEjEEDaPvRmT3_T4_T5_mT6_P12ihipStream_tbENKUlT_T0_E_clISt17integral_constantIbLb0EESX_EEDaSS_ST_EUlSS_E0_NS1_11comp_targetILNS1_3genE9ELNS1_11target_archE1100ELNS1_3gpuE3ELNS1_3repE0EEENS1_30default_config_static_selectorELNS0_4arch9wavefront6targetE1EEEvT1_,"axG",@progbits,_ZN7rocprim17ROCPRIM_400000_NS6detail17trampoline_kernelINS0_14default_configENS1_20scan_config_selectorIjEEZZNS1_9scan_implILNS1_25lookback_scan_determinismE0ELb1ELb1ES3_N6thrust23THRUST_200600_302600_NS6detail15normal_iteratorINS9_10device_ptrIjEEEENS9_16discard_iteratorINS9_11use_defaultEEEjNS9_4plusIvEEjEEDaPvRmT3_T4_T5_mT6_P12ihipStream_tbENKUlT_T0_E_clISt17integral_constantIbLb0EESX_EEDaSS_ST_EUlSS_E0_NS1_11comp_targetILNS1_3genE9ELNS1_11target_archE1100ELNS1_3gpuE3ELNS1_3repE0EEENS1_30default_config_static_selectorELNS0_4arch9wavefront6targetE1EEEvT1_,comdat
	.protected	_ZN7rocprim17ROCPRIM_400000_NS6detail17trampoline_kernelINS0_14default_configENS1_20scan_config_selectorIjEEZZNS1_9scan_implILNS1_25lookback_scan_determinismE0ELb1ELb1ES3_N6thrust23THRUST_200600_302600_NS6detail15normal_iteratorINS9_10device_ptrIjEEEENS9_16discard_iteratorINS9_11use_defaultEEEjNS9_4plusIvEEjEEDaPvRmT3_T4_T5_mT6_P12ihipStream_tbENKUlT_T0_E_clISt17integral_constantIbLb0EESX_EEDaSS_ST_EUlSS_E0_NS1_11comp_targetILNS1_3genE9ELNS1_11target_archE1100ELNS1_3gpuE3ELNS1_3repE0EEENS1_30default_config_static_selectorELNS0_4arch9wavefront6targetE1EEEvT1_ ; -- Begin function _ZN7rocprim17ROCPRIM_400000_NS6detail17trampoline_kernelINS0_14default_configENS1_20scan_config_selectorIjEEZZNS1_9scan_implILNS1_25lookback_scan_determinismE0ELb1ELb1ES3_N6thrust23THRUST_200600_302600_NS6detail15normal_iteratorINS9_10device_ptrIjEEEENS9_16discard_iteratorINS9_11use_defaultEEEjNS9_4plusIvEEjEEDaPvRmT3_T4_T5_mT6_P12ihipStream_tbENKUlT_T0_E_clISt17integral_constantIbLb0EESX_EEDaSS_ST_EUlSS_E0_NS1_11comp_targetILNS1_3genE9ELNS1_11target_archE1100ELNS1_3gpuE3ELNS1_3repE0EEENS1_30default_config_static_selectorELNS0_4arch9wavefront6targetE1EEEvT1_
	.globl	_ZN7rocprim17ROCPRIM_400000_NS6detail17trampoline_kernelINS0_14default_configENS1_20scan_config_selectorIjEEZZNS1_9scan_implILNS1_25lookback_scan_determinismE0ELb1ELb1ES3_N6thrust23THRUST_200600_302600_NS6detail15normal_iteratorINS9_10device_ptrIjEEEENS9_16discard_iteratorINS9_11use_defaultEEEjNS9_4plusIvEEjEEDaPvRmT3_T4_T5_mT6_P12ihipStream_tbENKUlT_T0_E_clISt17integral_constantIbLb0EESX_EEDaSS_ST_EUlSS_E0_NS1_11comp_targetILNS1_3genE9ELNS1_11target_archE1100ELNS1_3gpuE3ELNS1_3repE0EEENS1_30default_config_static_selectorELNS0_4arch9wavefront6targetE1EEEvT1_
	.p2align	8
	.type	_ZN7rocprim17ROCPRIM_400000_NS6detail17trampoline_kernelINS0_14default_configENS1_20scan_config_selectorIjEEZZNS1_9scan_implILNS1_25lookback_scan_determinismE0ELb1ELb1ES3_N6thrust23THRUST_200600_302600_NS6detail15normal_iteratorINS9_10device_ptrIjEEEENS9_16discard_iteratorINS9_11use_defaultEEEjNS9_4plusIvEEjEEDaPvRmT3_T4_T5_mT6_P12ihipStream_tbENKUlT_T0_E_clISt17integral_constantIbLb0EESX_EEDaSS_ST_EUlSS_E0_NS1_11comp_targetILNS1_3genE9ELNS1_11target_archE1100ELNS1_3gpuE3ELNS1_3repE0EEENS1_30default_config_static_selectorELNS0_4arch9wavefront6targetE1EEEvT1_,@function
_ZN7rocprim17ROCPRIM_400000_NS6detail17trampoline_kernelINS0_14default_configENS1_20scan_config_selectorIjEEZZNS1_9scan_implILNS1_25lookback_scan_determinismE0ELb1ELb1ES3_N6thrust23THRUST_200600_302600_NS6detail15normal_iteratorINS9_10device_ptrIjEEEENS9_16discard_iteratorINS9_11use_defaultEEEjNS9_4plusIvEEjEEDaPvRmT3_T4_T5_mT6_P12ihipStream_tbENKUlT_T0_E_clISt17integral_constantIbLb0EESX_EEDaSS_ST_EUlSS_E0_NS1_11comp_targetILNS1_3genE9ELNS1_11target_archE1100ELNS1_3gpuE3ELNS1_3repE0EEENS1_30default_config_static_selectorELNS0_4arch9wavefront6targetE1EEEvT1_: ; @_ZN7rocprim17ROCPRIM_400000_NS6detail17trampoline_kernelINS0_14default_configENS1_20scan_config_selectorIjEEZZNS1_9scan_implILNS1_25lookback_scan_determinismE0ELb1ELb1ES3_N6thrust23THRUST_200600_302600_NS6detail15normal_iteratorINS9_10device_ptrIjEEEENS9_16discard_iteratorINS9_11use_defaultEEEjNS9_4plusIvEEjEEDaPvRmT3_T4_T5_mT6_P12ihipStream_tbENKUlT_T0_E_clISt17integral_constantIbLb0EESX_EEDaSS_ST_EUlSS_E0_NS1_11comp_targetILNS1_3genE9ELNS1_11target_archE1100ELNS1_3gpuE3ELNS1_3repE0EEENS1_30default_config_static_selectorELNS0_4arch9wavefront6targetE1EEEvT1_
; %bb.0:
	.section	.rodata,"a",@progbits
	.p2align	6, 0x0
	.amdhsa_kernel _ZN7rocprim17ROCPRIM_400000_NS6detail17trampoline_kernelINS0_14default_configENS1_20scan_config_selectorIjEEZZNS1_9scan_implILNS1_25lookback_scan_determinismE0ELb1ELb1ES3_N6thrust23THRUST_200600_302600_NS6detail15normal_iteratorINS9_10device_ptrIjEEEENS9_16discard_iteratorINS9_11use_defaultEEEjNS9_4plusIvEEjEEDaPvRmT3_T4_T5_mT6_P12ihipStream_tbENKUlT_T0_E_clISt17integral_constantIbLb0EESX_EEDaSS_ST_EUlSS_E0_NS1_11comp_targetILNS1_3genE9ELNS1_11target_archE1100ELNS1_3gpuE3ELNS1_3repE0EEENS1_30default_config_static_selectorELNS0_4arch9wavefront6targetE1EEEvT1_
		.amdhsa_group_segment_fixed_size 0
		.amdhsa_private_segment_fixed_size 0
		.amdhsa_kernarg_size 40
		.amdhsa_user_sgpr_count 6
		.amdhsa_user_sgpr_private_segment_buffer 1
		.amdhsa_user_sgpr_dispatch_ptr 0
		.amdhsa_user_sgpr_queue_ptr 0
		.amdhsa_user_sgpr_kernarg_segment_ptr 1
		.amdhsa_user_sgpr_dispatch_id 0
		.amdhsa_user_sgpr_flat_scratch_init 0
		.amdhsa_user_sgpr_kernarg_preload_length 0
		.amdhsa_user_sgpr_kernarg_preload_offset 0
		.amdhsa_user_sgpr_private_segment_size 0
		.amdhsa_uses_dynamic_stack 0
		.amdhsa_system_sgpr_private_segment_wavefront_offset 0
		.amdhsa_system_sgpr_workgroup_id_x 1
		.amdhsa_system_sgpr_workgroup_id_y 0
		.amdhsa_system_sgpr_workgroup_id_z 0
		.amdhsa_system_sgpr_workgroup_info 0
		.amdhsa_system_vgpr_workitem_id 0
		.amdhsa_next_free_vgpr 1
		.amdhsa_next_free_sgpr 0
		.amdhsa_accum_offset 4
		.amdhsa_reserve_vcc 0
		.amdhsa_reserve_flat_scratch 0
		.amdhsa_float_round_mode_32 0
		.amdhsa_float_round_mode_16_64 0
		.amdhsa_float_denorm_mode_32 3
		.amdhsa_float_denorm_mode_16_64 3
		.amdhsa_dx10_clamp 1
		.amdhsa_ieee_mode 1
		.amdhsa_fp16_overflow 0
		.amdhsa_tg_split 0
		.amdhsa_exception_fp_ieee_invalid_op 0
		.amdhsa_exception_fp_denorm_src 0
		.amdhsa_exception_fp_ieee_div_zero 0
		.amdhsa_exception_fp_ieee_overflow 0
		.amdhsa_exception_fp_ieee_underflow 0
		.amdhsa_exception_fp_ieee_inexact 0
		.amdhsa_exception_int_div_zero 0
	.end_amdhsa_kernel
	.section	.text._ZN7rocprim17ROCPRIM_400000_NS6detail17trampoline_kernelINS0_14default_configENS1_20scan_config_selectorIjEEZZNS1_9scan_implILNS1_25lookback_scan_determinismE0ELb1ELb1ES3_N6thrust23THRUST_200600_302600_NS6detail15normal_iteratorINS9_10device_ptrIjEEEENS9_16discard_iteratorINS9_11use_defaultEEEjNS9_4plusIvEEjEEDaPvRmT3_T4_T5_mT6_P12ihipStream_tbENKUlT_T0_E_clISt17integral_constantIbLb0EESX_EEDaSS_ST_EUlSS_E0_NS1_11comp_targetILNS1_3genE9ELNS1_11target_archE1100ELNS1_3gpuE3ELNS1_3repE0EEENS1_30default_config_static_selectorELNS0_4arch9wavefront6targetE1EEEvT1_,"axG",@progbits,_ZN7rocprim17ROCPRIM_400000_NS6detail17trampoline_kernelINS0_14default_configENS1_20scan_config_selectorIjEEZZNS1_9scan_implILNS1_25lookback_scan_determinismE0ELb1ELb1ES3_N6thrust23THRUST_200600_302600_NS6detail15normal_iteratorINS9_10device_ptrIjEEEENS9_16discard_iteratorINS9_11use_defaultEEEjNS9_4plusIvEEjEEDaPvRmT3_T4_T5_mT6_P12ihipStream_tbENKUlT_T0_E_clISt17integral_constantIbLb0EESX_EEDaSS_ST_EUlSS_E0_NS1_11comp_targetILNS1_3genE9ELNS1_11target_archE1100ELNS1_3gpuE3ELNS1_3repE0EEENS1_30default_config_static_selectorELNS0_4arch9wavefront6targetE1EEEvT1_,comdat
.Lfunc_end5382:
	.size	_ZN7rocprim17ROCPRIM_400000_NS6detail17trampoline_kernelINS0_14default_configENS1_20scan_config_selectorIjEEZZNS1_9scan_implILNS1_25lookback_scan_determinismE0ELb1ELb1ES3_N6thrust23THRUST_200600_302600_NS6detail15normal_iteratorINS9_10device_ptrIjEEEENS9_16discard_iteratorINS9_11use_defaultEEEjNS9_4plusIvEEjEEDaPvRmT3_T4_T5_mT6_P12ihipStream_tbENKUlT_T0_E_clISt17integral_constantIbLb0EESX_EEDaSS_ST_EUlSS_E0_NS1_11comp_targetILNS1_3genE9ELNS1_11target_archE1100ELNS1_3gpuE3ELNS1_3repE0EEENS1_30default_config_static_selectorELNS0_4arch9wavefront6targetE1EEEvT1_, .Lfunc_end5382-_ZN7rocprim17ROCPRIM_400000_NS6detail17trampoline_kernelINS0_14default_configENS1_20scan_config_selectorIjEEZZNS1_9scan_implILNS1_25lookback_scan_determinismE0ELb1ELb1ES3_N6thrust23THRUST_200600_302600_NS6detail15normal_iteratorINS9_10device_ptrIjEEEENS9_16discard_iteratorINS9_11use_defaultEEEjNS9_4plusIvEEjEEDaPvRmT3_T4_T5_mT6_P12ihipStream_tbENKUlT_T0_E_clISt17integral_constantIbLb0EESX_EEDaSS_ST_EUlSS_E0_NS1_11comp_targetILNS1_3genE9ELNS1_11target_archE1100ELNS1_3gpuE3ELNS1_3repE0EEENS1_30default_config_static_selectorELNS0_4arch9wavefront6targetE1EEEvT1_
                                        ; -- End function
	.section	.AMDGPU.csdata,"",@progbits
; Kernel info:
; codeLenInByte = 0
; NumSgprs: 4
; NumVgprs: 0
; NumAgprs: 0
; TotalNumVgprs: 0
; ScratchSize: 0
; MemoryBound: 0
; FloatMode: 240
; IeeeMode: 1
; LDSByteSize: 0 bytes/workgroup (compile time only)
; SGPRBlocks: 0
; VGPRBlocks: 0
; NumSGPRsForWavesPerEU: 4
; NumVGPRsForWavesPerEU: 1
; AccumOffset: 4
; Occupancy: 8
; WaveLimiterHint : 0
; COMPUTE_PGM_RSRC2:SCRATCH_EN: 0
; COMPUTE_PGM_RSRC2:USER_SGPR: 6
; COMPUTE_PGM_RSRC2:TRAP_HANDLER: 0
; COMPUTE_PGM_RSRC2:TGID_X_EN: 1
; COMPUTE_PGM_RSRC2:TGID_Y_EN: 0
; COMPUTE_PGM_RSRC2:TGID_Z_EN: 0
; COMPUTE_PGM_RSRC2:TIDIG_COMP_CNT: 0
; COMPUTE_PGM_RSRC3_GFX90A:ACCUM_OFFSET: 0
; COMPUTE_PGM_RSRC3_GFX90A:TG_SPLIT: 0
	.section	.text._ZN7rocprim17ROCPRIM_400000_NS6detail17trampoline_kernelINS0_14default_configENS1_20scan_config_selectorIjEEZZNS1_9scan_implILNS1_25lookback_scan_determinismE0ELb1ELb1ES3_N6thrust23THRUST_200600_302600_NS6detail15normal_iteratorINS9_10device_ptrIjEEEENS9_16discard_iteratorINS9_11use_defaultEEEjNS9_4plusIvEEjEEDaPvRmT3_T4_T5_mT6_P12ihipStream_tbENKUlT_T0_E_clISt17integral_constantIbLb0EESX_EEDaSS_ST_EUlSS_E0_NS1_11comp_targetILNS1_3genE8ELNS1_11target_archE1030ELNS1_3gpuE2ELNS1_3repE0EEENS1_30default_config_static_selectorELNS0_4arch9wavefront6targetE1EEEvT1_,"axG",@progbits,_ZN7rocprim17ROCPRIM_400000_NS6detail17trampoline_kernelINS0_14default_configENS1_20scan_config_selectorIjEEZZNS1_9scan_implILNS1_25lookback_scan_determinismE0ELb1ELb1ES3_N6thrust23THRUST_200600_302600_NS6detail15normal_iteratorINS9_10device_ptrIjEEEENS9_16discard_iteratorINS9_11use_defaultEEEjNS9_4plusIvEEjEEDaPvRmT3_T4_T5_mT6_P12ihipStream_tbENKUlT_T0_E_clISt17integral_constantIbLb0EESX_EEDaSS_ST_EUlSS_E0_NS1_11comp_targetILNS1_3genE8ELNS1_11target_archE1030ELNS1_3gpuE2ELNS1_3repE0EEENS1_30default_config_static_selectorELNS0_4arch9wavefront6targetE1EEEvT1_,comdat
	.protected	_ZN7rocprim17ROCPRIM_400000_NS6detail17trampoline_kernelINS0_14default_configENS1_20scan_config_selectorIjEEZZNS1_9scan_implILNS1_25lookback_scan_determinismE0ELb1ELb1ES3_N6thrust23THRUST_200600_302600_NS6detail15normal_iteratorINS9_10device_ptrIjEEEENS9_16discard_iteratorINS9_11use_defaultEEEjNS9_4plusIvEEjEEDaPvRmT3_T4_T5_mT6_P12ihipStream_tbENKUlT_T0_E_clISt17integral_constantIbLb0EESX_EEDaSS_ST_EUlSS_E0_NS1_11comp_targetILNS1_3genE8ELNS1_11target_archE1030ELNS1_3gpuE2ELNS1_3repE0EEENS1_30default_config_static_selectorELNS0_4arch9wavefront6targetE1EEEvT1_ ; -- Begin function _ZN7rocprim17ROCPRIM_400000_NS6detail17trampoline_kernelINS0_14default_configENS1_20scan_config_selectorIjEEZZNS1_9scan_implILNS1_25lookback_scan_determinismE0ELb1ELb1ES3_N6thrust23THRUST_200600_302600_NS6detail15normal_iteratorINS9_10device_ptrIjEEEENS9_16discard_iteratorINS9_11use_defaultEEEjNS9_4plusIvEEjEEDaPvRmT3_T4_T5_mT6_P12ihipStream_tbENKUlT_T0_E_clISt17integral_constantIbLb0EESX_EEDaSS_ST_EUlSS_E0_NS1_11comp_targetILNS1_3genE8ELNS1_11target_archE1030ELNS1_3gpuE2ELNS1_3repE0EEENS1_30default_config_static_selectorELNS0_4arch9wavefront6targetE1EEEvT1_
	.globl	_ZN7rocprim17ROCPRIM_400000_NS6detail17trampoline_kernelINS0_14default_configENS1_20scan_config_selectorIjEEZZNS1_9scan_implILNS1_25lookback_scan_determinismE0ELb1ELb1ES3_N6thrust23THRUST_200600_302600_NS6detail15normal_iteratorINS9_10device_ptrIjEEEENS9_16discard_iteratorINS9_11use_defaultEEEjNS9_4plusIvEEjEEDaPvRmT3_T4_T5_mT6_P12ihipStream_tbENKUlT_T0_E_clISt17integral_constantIbLb0EESX_EEDaSS_ST_EUlSS_E0_NS1_11comp_targetILNS1_3genE8ELNS1_11target_archE1030ELNS1_3gpuE2ELNS1_3repE0EEENS1_30default_config_static_selectorELNS0_4arch9wavefront6targetE1EEEvT1_
	.p2align	8
	.type	_ZN7rocprim17ROCPRIM_400000_NS6detail17trampoline_kernelINS0_14default_configENS1_20scan_config_selectorIjEEZZNS1_9scan_implILNS1_25lookback_scan_determinismE0ELb1ELb1ES3_N6thrust23THRUST_200600_302600_NS6detail15normal_iteratorINS9_10device_ptrIjEEEENS9_16discard_iteratorINS9_11use_defaultEEEjNS9_4plusIvEEjEEDaPvRmT3_T4_T5_mT6_P12ihipStream_tbENKUlT_T0_E_clISt17integral_constantIbLb0EESX_EEDaSS_ST_EUlSS_E0_NS1_11comp_targetILNS1_3genE8ELNS1_11target_archE1030ELNS1_3gpuE2ELNS1_3repE0EEENS1_30default_config_static_selectorELNS0_4arch9wavefront6targetE1EEEvT1_,@function
_ZN7rocprim17ROCPRIM_400000_NS6detail17trampoline_kernelINS0_14default_configENS1_20scan_config_selectorIjEEZZNS1_9scan_implILNS1_25lookback_scan_determinismE0ELb1ELb1ES3_N6thrust23THRUST_200600_302600_NS6detail15normal_iteratorINS9_10device_ptrIjEEEENS9_16discard_iteratorINS9_11use_defaultEEEjNS9_4plusIvEEjEEDaPvRmT3_T4_T5_mT6_P12ihipStream_tbENKUlT_T0_E_clISt17integral_constantIbLb0EESX_EEDaSS_ST_EUlSS_E0_NS1_11comp_targetILNS1_3genE8ELNS1_11target_archE1030ELNS1_3gpuE2ELNS1_3repE0EEENS1_30default_config_static_selectorELNS0_4arch9wavefront6targetE1EEEvT1_: ; @_ZN7rocprim17ROCPRIM_400000_NS6detail17trampoline_kernelINS0_14default_configENS1_20scan_config_selectorIjEEZZNS1_9scan_implILNS1_25lookback_scan_determinismE0ELb1ELb1ES3_N6thrust23THRUST_200600_302600_NS6detail15normal_iteratorINS9_10device_ptrIjEEEENS9_16discard_iteratorINS9_11use_defaultEEEjNS9_4plusIvEEjEEDaPvRmT3_T4_T5_mT6_P12ihipStream_tbENKUlT_T0_E_clISt17integral_constantIbLb0EESX_EEDaSS_ST_EUlSS_E0_NS1_11comp_targetILNS1_3genE8ELNS1_11target_archE1030ELNS1_3gpuE2ELNS1_3repE0EEENS1_30default_config_static_selectorELNS0_4arch9wavefront6targetE1EEEvT1_
; %bb.0:
	.section	.rodata,"a",@progbits
	.p2align	6, 0x0
	.amdhsa_kernel _ZN7rocprim17ROCPRIM_400000_NS6detail17trampoline_kernelINS0_14default_configENS1_20scan_config_selectorIjEEZZNS1_9scan_implILNS1_25lookback_scan_determinismE0ELb1ELb1ES3_N6thrust23THRUST_200600_302600_NS6detail15normal_iteratorINS9_10device_ptrIjEEEENS9_16discard_iteratorINS9_11use_defaultEEEjNS9_4plusIvEEjEEDaPvRmT3_T4_T5_mT6_P12ihipStream_tbENKUlT_T0_E_clISt17integral_constantIbLb0EESX_EEDaSS_ST_EUlSS_E0_NS1_11comp_targetILNS1_3genE8ELNS1_11target_archE1030ELNS1_3gpuE2ELNS1_3repE0EEENS1_30default_config_static_selectorELNS0_4arch9wavefront6targetE1EEEvT1_
		.amdhsa_group_segment_fixed_size 0
		.amdhsa_private_segment_fixed_size 0
		.amdhsa_kernarg_size 40
		.amdhsa_user_sgpr_count 6
		.amdhsa_user_sgpr_private_segment_buffer 1
		.amdhsa_user_sgpr_dispatch_ptr 0
		.amdhsa_user_sgpr_queue_ptr 0
		.amdhsa_user_sgpr_kernarg_segment_ptr 1
		.amdhsa_user_sgpr_dispatch_id 0
		.amdhsa_user_sgpr_flat_scratch_init 0
		.amdhsa_user_sgpr_kernarg_preload_length 0
		.amdhsa_user_sgpr_kernarg_preload_offset 0
		.amdhsa_user_sgpr_private_segment_size 0
		.amdhsa_uses_dynamic_stack 0
		.amdhsa_system_sgpr_private_segment_wavefront_offset 0
		.amdhsa_system_sgpr_workgroup_id_x 1
		.amdhsa_system_sgpr_workgroup_id_y 0
		.amdhsa_system_sgpr_workgroup_id_z 0
		.amdhsa_system_sgpr_workgroup_info 0
		.amdhsa_system_vgpr_workitem_id 0
		.amdhsa_next_free_vgpr 1
		.amdhsa_next_free_sgpr 0
		.amdhsa_accum_offset 4
		.amdhsa_reserve_vcc 0
		.amdhsa_reserve_flat_scratch 0
		.amdhsa_float_round_mode_32 0
		.amdhsa_float_round_mode_16_64 0
		.amdhsa_float_denorm_mode_32 3
		.amdhsa_float_denorm_mode_16_64 3
		.amdhsa_dx10_clamp 1
		.amdhsa_ieee_mode 1
		.amdhsa_fp16_overflow 0
		.amdhsa_tg_split 0
		.amdhsa_exception_fp_ieee_invalid_op 0
		.amdhsa_exception_fp_denorm_src 0
		.amdhsa_exception_fp_ieee_div_zero 0
		.amdhsa_exception_fp_ieee_overflow 0
		.amdhsa_exception_fp_ieee_underflow 0
		.amdhsa_exception_fp_ieee_inexact 0
		.amdhsa_exception_int_div_zero 0
	.end_amdhsa_kernel
	.section	.text._ZN7rocprim17ROCPRIM_400000_NS6detail17trampoline_kernelINS0_14default_configENS1_20scan_config_selectorIjEEZZNS1_9scan_implILNS1_25lookback_scan_determinismE0ELb1ELb1ES3_N6thrust23THRUST_200600_302600_NS6detail15normal_iteratorINS9_10device_ptrIjEEEENS9_16discard_iteratorINS9_11use_defaultEEEjNS9_4plusIvEEjEEDaPvRmT3_T4_T5_mT6_P12ihipStream_tbENKUlT_T0_E_clISt17integral_constantIbLb0EESX_EEDaSS_ST_EUlSS_E0_NS1_11comp_targetILNS1_3genE8ELNS1_11target_archE1030ELNS1_3gpuE2ELNS1_3repE0EEENS1_30default_config_static_selectorELNS0_4arch9wavefront6targetE1EEEvT1_,"axG",@progbits,_ZN7rocprim17ROCPRIM_400000_NS6detail17trampoline_kernelINS0_14default_configENS1_20scan_config_selectorIjEEZZNS1_9scan_implILNS1_25lookback_scan_determinismE0ELb1ELb1ES3_N6thrust23THRUST_200600_302600_NS6detail15normal_iteratorINS9_10device_ptrIjEEEENS9_16discard_iteratorINS9_11use_defaultEEEjNS9_4plusIvEEjEEDaPvRmT3_T4_T5_mT6_P12ihipStream_tbENKUlT_T0_E_clISt17integral_constantIbLb0EESX_EEDaSS_ST_EUlSS_E0_NS1_11comp_targetILNS1_3genE8ELNS1_11target_archE1030ELNS1_3gpuE2ELNS1_3repE0EEENS1_30default_config_static_selectorELNS0_4arch9wavefront6targetE1EEEvT1_,comdat
.Lfunc_end5383:
	.size	_ZN7rocprim17ROCPRIM_400000_NS6detail17trampoline_kernelINS0_14default_configENS1_20scan_config_selectorIjEEZZNS1_9scan_implILNS1_25lookback_scan_determinismE0ELb1ELb1ES3_N6thrust23THRUST_200600_302600_NS6detail15normal_iteratorINS9_10device_ptrIjEEEENS9_16discard_iteratorINS9_11use_defaultEEEjNS9_4plusIvEEjEEDaPvRmT3_T4_T5_mT6_P12ihipStream_tbENKUlT_T0_E_clISt17integral_constantIbLb0EESX_EEDaSS_ST_EUlSS_E0_NS1_11comp_targetILNS1_3genE8ELNS1_11target_archE1030ELNS1_3gpuE2ELNS1_3repE0EEENS1_30default_config_static_selectorELNS0_4arch9wavefront6targetE1EEEvT1_, .Lfunc_end5383-_ZN7rocprim17ROCPRIM_400000_NS6detail17trampoline_kernelINS0_14default_configENS1_20scan_config_selectorIjEEZZNS1_9scan_implILNS1_25lookback_scan_determinismE0ELb1ELb1ES3_N6thrust23THRUST_200600_302600_NS6detail15normal_iteratorINS9_10device_ptrIjEEEENS9_16discard_iteratorINS9_11use_defaultEEEjNS9_4plusIvEEjEEDaPvRmT3_T4_T5_mT6_P12ihipStream_tbENKUlT_T0_E_clISt17integral_constantIbLb0EESX_EEDaSS_ST_EUlSS_E0_NS1_11comp_targetILNS1_3genE8ELNS1_11target_archE1030ELNS1_3gpuE2ELNS1_3repE0EEENS1_30default_config_static_selectorELNS0_4arch9wavefront6targetE1EEEvT1_
                                        ; -- End function
	.section	.AMDGPU.csdata,"",@progbits
; Kernel info:
; codeLenInByte = 0
; NumSgprs: 4
; NumVgprs: 0
; NumAgprs: 0
; TotalNumVgprs: 0
; ScratchSize: 0
; MemoryBound: 0
; FloatMode: 240
; IeeeMode: 1
; LDSByteSize: 0 bytes/workgroup (compile time only)
; SGPRBlocks: 0
; VGPRBlocks: 0
; NumSGPRsForWavesPerEU: 4
; NumVGPRsForWavesPerEU: 1
; AccumOffset: 4
; Occupancy: 8
; WaveLimiterHint : 0
; COMPUTE_PGM_RSRC2:SCRATCH_EN: 0
; COMPUTE_PGM_RSRC2:USER_SGPR: 6
; COMPUTE_PGM_RSRC2:TRAP_HANDLER: 0
; COMPUTE_PGM_RSRC2:TGID_X_EN: 1
; COMPUTE_PGM_RSRC2:TGID_Y_EN: 0
; COMPUTE_PGM_RSRC2:TGID_Z_EN: 0
; COMPUTE_PGM_RSRC2:TIDIG_COMP_CNT: 0
; COMPUTE_PGM_RSRC3_GFX90A:ACCUM_OFFSET: 0
; COMPUTE_PGM_RSRC3_GFX90A:TG_SPLIT: 0
	.section	.text._ZN7rocprim17ROCPRIM_400000_NS6detail17trampoline_kernelINS0_14default_configENS1_20scan_config_selectorIjEEZZNS1_9scan_implILNS1_25lookback_scan_determinismE0ELb1ELb1ES3_N6thrust23THRUST_200600_302600_NS6detail15normal_iteratorINS9_10device_ptrIjEEEENS9_16discard_iteratorINS9_11use_defaultEEEjNS9_4plusIvEEjEEDaPvRmT3_T4_T5_mT6_P12ihipStream_tbENKUlT_T0_E_clISt17integral_constantIbLb1EESX_EEDaSS_ST_EUlSS_E_NS1_11comp_targetILNS1_3genE0ELNS1_11target_archE4294967295ELNS1_3gpuE0ELNS1_3repE0EEENS1_30default_config_static_selectorELNS0_4arch9wavefront6targetE1EEEvT1_,"axG",@progbits,_ZN7rocprim17ROCPRIM_400000_NS6detail17trampoline_kernelINS0_14default_configENS1_20scan_config_selectorIjEEZZNS1_9scan_implILNS1_25lookback_scan_determinismE0ELb1ELb1ES3_N6thrust23THRUST_200600_302600_NS6detail15normal_iteratorINS9_10device_ptrIjEEEENS9_16discard_iteratorINS9_11use_defaultEEEjNS9_4plusIvEEjEEDaPvRmT3_T4_T5_mT6_P12ihipStream_tbENKUlT_T0_E_clISt17integral_constantIbLb1EESX_EEDaSS_ST_EUlSS_E_NS1_11comp_targetILNS1_3genE0ELNS1_11target_archE4294967295ELNS1_3gpuE0ELNS1_3repE0EEENS1_30default_config_static_selectorELNS0_4arch9wavefront6targetE1EEEvT1_,comdat
	.protected	_ZN7rocprim17ROCPRIM_400000_NS6detail17trampoline_kernelINS0_14default_configENS1_20scan_config_selectorIjEEZZNS1_9scan_implILNS1_25lookback_scan_determinismE0ELb1ELb1ES3_N6thrust23THRUST_200600_302600_NS6detail15normal_iteratorINS9_10device_ptrIjEEEENS9_16discard_iteratorINS9_11use_defaultEEEjNS9_4plusIvEEjEEDaPvRmT3_T4_T5_mT6_P12ihipStream_tbENKUlT_T0_E_clISt17integral_constantIbLb1EESX_EEDaSS_ST_EUlSS_E_NS1_11comp_targetILNS1_3genE0ELNS1_11target_archE4294967295ELNS1_3gpuE0ELNS1_3repE0EEENS1_30default_config_static_selectorELNS0_4arch9wavefront6targetE1EEEvT1_ ; -- Begin function _ZN7rocprim17ROCPRIM_400000_NS6detail17trampoline_kernelINS0_14default_configENS1_20scan_config_selectorIjEEZZNS1_9scan_implILNS1_25lookback_scan_determinismE0ELb1ELb1ES3_N6thrust23THRUST_200600_302600_NS6detail15normal_iteratorINS9_10device_ptrIjEEEENS9_16discard_iteratorINS9_11use_defaultEEEjNS9_4plusIvEEjEEDaPvRmT3_T4_T5_mT6_P12ihipStream_tbENKUlT_T0_E_clISt17integral_constantIbLb1EESX_EEDaSS_ST_EUlSS_E_NS1_11comp_targetILNS1_3genE0ELNS1_11target_archE4294967295ELNS1_3gpuE0ELNS1_3repE0EEENS1_30default_config_static_selectorELNS0_4arch9wavefront6targetE1EEEvT1_
	.globl	_ZN7rocprim17ROCPRIM_400000_NS6detail17trampoline_kernelINS0_14default_configENS1_20scan_config_selectorIjEEZZNS1_9scan_implILNS1_25lookback_scan_determinismE0ELb1ELb1ES3_N6thrust23THRUST_200600_302600_NS6detail15normal_iteratorINS9_10device_ptrIjEEEENS9_16discard_iteratorINS9_11use_defaultEEEjNS9_4plusIvEEjEEDaPvRmT3_T4_T5_mT6_P12ihipStream_tbENKUlT_T0_E_clISt17integral_constantIbLb1EESX_EEDaSS_ST_EUlSS_E_NS1_11comp_targetILNS1_3genE0ELNS1_11target_archE4294967295ELNS1_3gpuE0ELNS1_3repE0EEENS1_30default_config_static_selectorELNS0_4arch9wavefront6targetE1EEEvT1_
	.p2align	8
	.type	_ZN7rocprim17ROCPRIM_400000_NS6detail17trampoline_kernelINS0_14default_configENS1_20scan_config_selectorIjEEZZNS1_9scan_implILNS1_25lookback_scan_determinismE0ELb1ELb1ES3_N6thrust23THRUST_200600_302600_NS6detail15normal_iteratorINS9_10device_ptrIjEEEENS9_16discard_iteratorINS9_11use_defaultEEEjNS9_4plusIvEEjEEDaPvRmT3_T4_T5_mT6_P12ihipStream_tbENKUlT_T0_E_clISt17integral_constantIbLb1EESX_EEDaSS_ST_EUlSS_E_NS1_11comp_targetILNS1_3genE0ELNS1_11target_archE4294967295ELNS1_3gpuE0ELNS1_3repE0EEENS1_30default_config_static_selectorELNS0_4arch9wavefront6targetE1EEEvT1_,@function
_ZN7rocprim17ROCPRIM_400000_NS6detail17trampoline_kernelINS0_14default_configENS1_20scan_config_selectorIjEEZZNS1_9scan_implILNS1_25lookback_scan_determinismE0ELb1ELb1ES3_N6thrust23THRUST_200600_302600_NS6detail15normal_iteratorINS9_10device_ptrIjEEEENS9_16discard_iteratorINS9_11use_defaultEEEjNS9_4plusIvEEjEEDaPvRmT3_T4_T5_mT6_P12ihipStream_tbENKUlT_T0_E_clISt17integral_constantIbLb1EESX_EEDaSS_ST_EUlSS_E_NS1_11comp_targetILNS1_3genE0ELNS1_11target_archE4294967295ELNS1_3gpuE0ELNS1_3repE0EEENS1_30default_config_static_selectorELNS0_4arch9wavefront6targetE1EEEvT1_: ; @_ZN7rocprim17ROCPRIM_400000_NS6detail17trampoline_kernelINS0_14default_configENS1_20scan_config_selectorIjEEZZNS1_9scan_implILNS1_25lookback_scan_determinismE0ELb1ELb1ES3_N6thrust23THRUST_200600_302600_NS6detail15normal_iteratorINS9_10device_ptrIjEEEENS9_16discard_iteratorINS9_11use_defaultEEEjNS9_4plusIvEEjEEDaPvRmT3_T4_T5_mT6_P12ihipStream_tbENKUlT_T0_E_clISt17integral_constantIbLb1EESX_EEDaSS_ST_EUlSS_E_NS1_11comp_targetILNS1_3genE0ELNS1_11target_archE4294967295ELNS1_3gpuE0ELNS1_3repE0EEENS1_30default_config_static_selectorELNS0_4arch9wavefront6targetE1EEEvT1_
; %bb.0:
	.section	.rodata,"a",@progbits
	.p2align	6, 0x0
	.amdhsa_kernel _ZN7rocprim17ROCPRIM_400000_NS6detail17trampoline_kernelINS0_14default_configENS1_20scan_config_selectorIjEEZZNS1_9scan_implILNS1_25lookback_scan_determinismE0ELb1ELb1ES3_N6thrust23THRUST_200600_302600_NS6detail15normal_iteratorINS9_10device_ptrIjEEEENS9_16discard_iteratorINS9_11use_defaultEEEjNS9_4plusIvEEjEEDaPvRmT3_T4_T5_mT6_P12ihipStream_tbENKUlT_T0_E_clISt17integral_constantIbLb1EESX_EEDaSS_ST_EUlSS_E_NS1_11comp_targetILNS1_3genE0ELNS1_11target_archE4294967295ELNS1_3gpuE0ELNS1_3repE0EEENS1_30default_config_static_selectorELNS0_4arch9wavefront6targetE1EEEvT1_
		.amdhsa_group_segment_fixed_size 0
		.amdhsa_private_segment_fixed_size 0
		.amdhsa_kernarg_size 104
		.amdhsa_user_sgpr_count 6
		.amdhsa_user_sgpr_private_segment_buffer 1
		.amdhsa_user_sgpr_dispatch_ptr 0
		.amdhsa_user_sgpr_queue_ptr 0
		.amdhsa_user_sgpr_kernarg_segment_ptr 1
		.amdhsa_user_sgpr_dispatch_id 0
		.amdhsa_user_sgpr_flat_scratch_init 0
		.amdhsa_user_sgpr_kernarg_preload_length 0
		.amdhsa_user_sgpr_kernarg_preload_offset 0
		.amdhsa_user_sgpr_private_segment_size 0
		.amdhsa_uses_dynamic_stack 0
		.amdhsa_system_sgpr_private_segment_wavefront_offset 0
		.amdhsa_system_sgpr_workgroup_id_x 1
		.amdhsa_system_sgpr_workgroup_id_y 0
		.amdhsa_system_sgpr_workgroup_id_z 0
		.amdhsa_system_sgpr_workgroup_info 0
		.amdhsa_system_vgpr_workitem_id 0
		.amdhsa_next_free_vgpr 1
		.amdhsa_next_free_sgpr 0
		.amdhsa_accum_offset 4
		.amdhsa_reserve_vcc 0
		.amdhsa_reserve_flat_scratch 0
		.amdhsa_float_round_mode_32 0
		.amdhsa_float_round_mode_16_64 0
		.amdhsa_float_denorm_mode_32 3
		.amdhsa_float_denorm_mode_16_64 3
		.amdhsa_dx10_clamp 1
		.amdhsa_ieee_mode 1
		.amdhsa_fp16_overflow 0
		.amdhsa_tg_split 0
		.amdhsa_exception_fp_ieee_invalid_op 0
		.amdhsa_exception_fp_denorm_src 0
		.amdhsa_exception_fp_ieee_div_zero 0
		.amdhsa_exception_fp_ieee_overflow 0
		.amdhsa_exception_fp_ieee_underflow 0
		.amdhsa_exception_fp_ieee_inexact 0
		.amdhsa_exception_int_div_zero 0
	.end_amdhsa_kernel
	.section	.text._ZN7rocprim17ROCPRIM_400000_NS6detail17trampoline_kernelINS0_14default_configENS1_20scan_config_selectorIjEEZZNS1_9scan_implILNS1_25lookback_scan_determinismE0ELb1ELb1ES3_N6thrust23THRUST_200600_302600_NS6detail15normal_iteratorINS9_10device_ptrIjEEEENS9_16discard_iteratorINS9_11use_defaultEEEjNS9_4plusIvEEjEEDaPvRmT3_T4_T5_mT6_P12ihipStream_tbENKUlT_T0_E_clISt17integral_constantIbLb1EESX_EEDaSS_ST_EUlSS_E_NS1_11comp_targetILNS1_3genE0ELNS1_11target_archE4294967295ELNS1_3gpuE0ELNS1_3repE0EEENS1_30default_config_static_selectorELNS0_4arch9wavefront6targetE1EEEvT1_,"axG",@progbits,_ZN7rocprim17ROCPRIM_400000_NS6detail17trampoline_kernelINS0_14default_configENS1_20scan_config_selectorIjEEZZNS1_9scan_implILNS1_25lookback_scan_determinismE0ELb1ELb1ES3_N6thrust23THRUST_200600_302600_NS6detail15normal_iteratorINS9_10device_ptrIjEEEENS9_16discard_iteratorINS9_11use_defaultEEEjNS9_4plusIvEEjEEDaPvRmT3_T4_T5_mT6_P12ihipStream_tbENKUlT_T0_E_clISt17integral_constantIbLb1EESX_EEDaSS_ST_EUlSS_E_NS1_11comp_targetILNS1_3genE0ELNS1_11target_archE4294967295ELNS1_3gpuE0ELNS1_3repE0EEENS1_30default_config_static_selectorELNS0_4arch9wavefront6targetE1EEEvT1_,comdat
.Lfunc_end5384:
	.size	_ZN7rocprim17ROCPRIM_400000_NS6detail17trampoline_kernelINS0_14default_configENS1_20scan_config_selectorIjEEZZNS1_9scan_implILNS1_25lookback_scan_determinismE0ELb1ELb1ES3_N6thrust23THRUST_200600_302600_NS6detail15normal_iteratorINS9_10device_ptrIjEEEENS9_16discard_iteratorINS9_11use_defaultEEEjNS9_4plusIvEEjEEDaPvRmT3_T4_T5_mT6_P12ihipStream_tbENKUlT_T0_E_clISt17integral_constantIbLb1EESX_EEDaSS_ST_EUlSS_E_NS1_11comp_targetILNS1_3genE0ELNS1_11target_archE4294967295ELNS1_3gpuE0ELNS1_3repE0EEENS1_30default_config_static_selectorELNS0_4arch9wavefront6targetE1EEEvT1_, .Lfunc_end5384-_ZN7rocprim17ROCPRIM_400000_NS6detail17trampoline_kernelINS0_14default_configENS1_20scan_config_selectorIjEEZZNS1_9scan_implILNS1_25lookback_scan_determinismE0ELb1ELb1ES3_N6thrust23THRUST_200600_302600_NS6detail15normal_iteratorINS9_10device_ptrIjEEEENS9_16discard_iteratorINS9_11use_defaultEEEjNS9_4plusIvEEjEEDaPvRmT3_T4_T5_mT6_P12ihipStream_tbENKUlT_T0_E_clISt17integral_constantIbLb1EESX_EEDaSS_ST_EUlSS_E_NS1_11comp_targetILNS1_3genE0ELNS1_11target_archE4294967295ELNS1_3gpuE0ELNS1_3repE0EEENS1_30default_config_static_selectorELNS0_4arch9wavefront6targetE1EEEvT1_
                                        ; -- End function
	.section	.AMDGPU.csdata,"",@progbits
; Kernel info:
; codeLenInByte = 0
; NumSgprs: 4
; NumVgprs: 0
; NumAgprs: 0
; TotalNumVgprs: 0
; ScratchSize: 0
; MemoryBound: 0
; FloatMode: 240
; IeeeMode: 1
; LDSByteSize: 0 bytes/workgroup (compile time only)
; SGPRBlocks: 0
; VGPRBlocks: 0
; NumSGPRsForWavesPerEU: 4
; NumVGPRsForWavesPerEU: 1
; AccumOffset: 4
; Occupancy: 8
; WaveLimiterHint : 0
; COMPUTE_PGM_RSRC2:SCRATCH_EN: 0
; COMPUTE_PGM_RSRC2:USER_SGPR: 6
; COMPUTE_PGM_RSRC2:TRAP_HANDLER: 0
; COMPUTE_PGM_RSRC2:TGID_X_EN: 1
; COMPUTE_PGM_RSRC2:TGID_Y_EN: 0
; COMPUTE_PGM_RSRC2:TGID_Z_EN: 0
; COMPUTE_PGM_RSRC2:TIDIG_COMP_CNT: 0
; COMPUTE_PGM_RSRC3_GFX90A:ACCUM_OFFSET: 0
; COMPUTE_PGM_RSRC3_GFX90A:TG_SPLIT: 0
	.section	.text._ZN7rocprim17ROCPRIM_400000_NS6detail17trampoline_kernelINS0_14default_configENS1_20scan_config_selectorIjEEZZNS1_9scan_implILNS1_25lookback_scan_determinismE0ELb1ELb1ES3_N6thrust23THRUST_200600_302600_NS6detail15normal_iteratorINS9_10device_ptrIjEEEENS9_16discard_iteratorINS9_11use_defaultEEEjNS9_4plusIvEEjEEDaPvRmT3_T4_T5_mT6_P12ihipStream_tbENKUlT_T0_E_clISt17integral_constantIbLb1EESX_EEDaSS_ST_EUlSS_E_NS1_11comp_targetILNS1_3genE5ELNS1_11target_archE942ELNS1_3gpuE9ELNS1_3repE0EEENS1_30default_config_static_selectorELNS0_4arch9wavefront6targetE1EEEvT1_,"axG",@progbits,_ZN7rocprim17ROCPRIM_400000_NS6detail17trampoline_kernelINS0_14default_configENS1_20scan_config_selectorIjEEZZNS1_9scan_implILNS1_25lookback_scan_determinismE0ELb1ELb1ES3_N6thrust23THRUST_200600_302600_NS6detail15normal_iteratorINS9_10device_ptrIjEEEENS9_16discard_iteratorINS9_11use_defaultEEEjNS9_4plusIvEEjEEDaPvRmT3_T4_T5_mT6_P12ihipStream_tbENKUlT_T0_E_clISt17integral_constantIbLb1EESX_EEDaSS_ST_EUlSS_E_NS1_11comp_targetILNS1_3genE5ELNS1_11target_archE942ELNS1_3gpuE9ELNS1_3repE0EEENS1_30default_config_static_selectorELNS0_4arch9wavefront6targetE1EEEvT1_,comdat
	.protected	_ZN7rocprim17ROCPRIM_400000_NS6detail17trampoline_kernelINS0_14default_configENS1_20scan_config_selectorIjEEZZNS1_9scan_implILNS1_25lookback_scan_determinismE0ELb1ELb1ES3_N6thrust23THRUST_200600_302600_NS6detail15normal_iteratorINS9_10device_ptrIjEEEENS9_16discard_iteratorINS9_11use_defaultEEEjNS9_4plusIvEEjEEDaPvRmT3_T4_T5_mT6_P12ihipStream_tbENKUlT_T0_E_clISt17integral_constantIbLb1EESX_EEDaSS_ST_EUlSS_E_NS1_11comp_targetILNS1_3genE5ELNS1_11target_archE942ELNS1_3gpuE9ELNS1_3repE0EEENS1_30default_config_static_selectorELNS0_4arch9wavefront6targetE1EEEvT1_ ; -- Begin function _ZN7rocprim17ROCPRIM_400000_NS6detail17trampoline_kernelINS0_14default_configENS1_20scan_config_selectorIjEEZZNS1_9scan_implILNS1_25lookback_scan_determinismE0ELb1ELb1ES3_N6thrust23THRUST_200600_302600_NS6detail15normal_iteratorINS9_10device_ptrIjEEEENS9_16discard_iteratorINS9_11use_defaultEEEjNS9_4plusIvEEjEEDaPvRmT3_T4_T5_mT6_P12ihipStream_tbENKUlT_T0_E_clISt17integral_constantIbLb1EESX_EEDaSS_ST_EUlSS_E_NS1_11comp_targetILNS1_3genE5ELNS1_11target_archE942ELNS1_3gpuE9ELNS1_3repE0EEENS1_30default_config_static_selectorELNS0_4arch9wavefront6targetE1EEEvT1_
	.globl	_ZN7rocprim17ROCPRIM_400000_NS6detail17trampoline_kernelINS0_14default_configENS1_20scan_config_selectorIjEEZZNS1_9scan_implILNS1_25lookback_scan_determinismE0ELb1ELb1ES3_N6thrust23THRUST_200600_302600_NS6detail15normal_iteratorINS9_10device_ptrIjEEEENS9_16discard_iteratorINS9_11use_defaultEEEjNS9_4plusIvEEjEEDaPvRmT3_T4_T5_mT6_P12ihipStream_tbENKUlT_T0_E_clISt17integral_constantIbLb1EESX_EEDaSS_ST_EUlSS_E_NS1_11comp_targetILNS1_3genE5ELNS1_11target_archE942ELNS1_3gpuE9ELNS1_3repE0EEENS1_30default_config_static_selectorELNS0_4arch9wavefront6targetE1EEEvT1_
	.p2align	8
	.type	_ZN7rocprim17ROCPRIM_400000_NS6detail17trampoline_kernelINS0_14default_configENS1_20scan_config_selectorIjEEZZNS1_9scan_implILNS1_25lookback_scan_determinismE0ELb1ELb1ES3_N6thrust23THRUST_200600_302600_NS6detail15normal_iteratorINS9_10device_ptrIjEEEENS9_16discard_iteratorINS9_11use_defaultEEEjNS9_4plusIvEEjEEDaPvRmT3_T4_T5_mT6_P12ihipStream_tbENKUlT_T0_E_clISt17integral_constantIbLb1EESX_EEDaSS_ST_EUlSS_E_NS1_11comp_targetILNS1_3genE5ELNS1_11target_archE942ELNS1_3gpuE9ELNS1_3repE0EEENS1_30default_config_static_selectorELNS0_4arch9wavefront6targetE1EEEvT1_,@function
_ZN7rocprim17ROCPRIM_400000_NS6detail17trampoline_kernelINS0_14default_configENS1_20scan_config_selectorIjEEZZNS1_9scan_implILNS1_25lookback_scan_determinismE0ELb1ELb1ES3_N6thrust23THRUST_200600_302600_NS6detail15normal_iteratorINS9_10device_ptrIjEEEENS9_16discard_iteratorINS9_11use_defaultEEEjNS9_4plusIvEEjEEDaPvRmT3_T4_T5_mT6_P12ihipStream_tbENKUlT_T0_E_clISt17integral_constantIbLb1EESX_EEDaSS_ST_EUlSS_E_NS1_11comp_targetILNS1_3genE5ELNS1_11target_archE942ELNS1_3gpuE9ELNS1_3repE0EEENS1_30default_config_static_selectorELNS0_4arch9wavefront6targetE1EEEvT1_: ; @_ZN7rocprim17ROCPRIM_400000_NS6detail17trampoline_kernelINS0_14default_configENS1_20scan_config_selectorIjEEZZNS1_9scan_implILNS1_25lookback_scan_determinismE0ELb1ELb1ES3_N6thrust23THRUST_200600_302600_NS6detail15normal_iteratorINS9_10device_ptrIjEEEENS9_16discard_iteratorINS9_11use_defaultEEEjNS9_4plusIvEEjEEDaPvRmT3_T4_T5_mT6_P12ihipStream_tbENKUlT_T0_E_clISt17integral_constantIbLb1EESX_EEDaSS_ST_EUlSS_E_NS1_11comp_targetILNS1_3genE5ELNS1_11target_archE942ELNS1_3gpuE9ELNS1_3repE0EEENS1_30default_config_static_selectorELNS0_4arch9wavefront6targetE1EEEvT1_
; %bb.0:
	.section	.rodata,"a",@progbits
	.p2align	6, 0x0
	.amdhsa_kernel _ZN7rocprim17ROCPRIM_400000_NS6detail17trampoline_kernelINS0_14default_configENS1_20scan_config_selectorIjEEZZNS1_9scan_implILNS1_25lookback_scan_determinismE0ELb1ELb1ES3_N6thrust23THRUST_200600_302600_NS6detail15normal_iteratorINS9_10device_ptrIjEEEENS9_16discard_iteratorINS9_11use_defaultEEEjNS9_4plusIvEEjEEDaPvRmT3_T4_T5_mT6_P12ihipStream_tbENKUlT_T0_E_clISt17integral_constantIbLb1EESX_EEDaSS_ST_EUlSS_E_NS1_11comp_targetILNS1_3genE5ELNS1_11target_archE942ELNS1_3gpuE9ELNS1_3repE0EEENS1_30default_config_static_selectorELNS0_4arch9wavefront6targetE1EEEvT1_
		.amdhsa_group_segment_fixed_size 0
		.amdhsa_private_segment_fixed_size 0
		.amdhsa_kernarg_size 104
		.amdhsa_user_sgpr_count 6
		.amdhsa_user_sgpr_private_segment_buffer 1
		.amdhsa_user_sgpr_dispatch_ptr 0
		.amdhsa_user_sgpr_queue_ptr 0
		.amdhsa_user_sgpr_kernarg_segment_ptr 1
		.amdhsa_user_sgpr_dispatch_id 0
		.amdhsa_user_sgpr_flat_scratch_init 0
		.amdhsa_user_sgpr_kernarg_preload_length 0
		.amdhsa_user_sgpr_kernarg_preload_offset 0
		.amdhsa_user_sgpr_private_segment_size 0
		.amdhsa_uses_dynamic_stack 0
		.amdhsa_system_sgpr_private_segment_wavefront_offset 0
		.amdhsa_system_sgpr_workgroup_id_x 1
		.amdhsa_system_sgpr_workgroup_id_y 0
		.amdhsa_system_sgpr_workgroup_id_z 0
		.amdhsa_system_sgpr_workgroup_info 0
		.amdhsa_system_vgpr_workitem_id 0
		.amdhsa_next_free_vgpr 1
		.amdhsa_next_free_sgpr 0
		.amdhsa_accum_offset 4
		.amdhsa_reserve_vcc 0
		.amdhsa_reserve_flat_scratch 0
		.amdhsa_float_round_mode_32 0
		.amdhsa_float_round_mode_16_64 0
		.amdhsa_float_denorm_mode_32 3
		.amdhsa_float_denorm_mode_16_64 3
		.amdhsa_dx10_clamp 1
		.amdhsa_ieee_mode 1
		.amdhsa_fp16_overflow 0
		.amdhsa_tg_split 0
		.amdhsa_exception_fp_ieee_invalid_op 0
		.amdhsa_exception_fp_denorm_src 0
		.amdhsa_exception_fp_ieee_div_zero 0
		.amdhsa_exception_fp_ieee_overflow 0
		.amdhsa_exception_fp_ieee_underflow 0
		.amdhsa_exception_fp_ieee_inexact 0
		.amdhsa_exception_int_div_zero 0
	.end_amdhsa_kernel
	.section	.text._ZN7rocprim17ROCPRIM_400000_NS6detail17trampoline_kernelINS0_14default_configENS1_20scan_config_selectorIjEEZZNS1_9scan_implILNS1_25lookback_scan_determinismE0ELb1ELb1ES3_N6thrust23THRUST_200600_302600_NS6detail15normal_iteratorINS9_10device_ptrIjEEEENS9_16discard_iteratorINS9_11use_defaultEEEjNS9_4plusIvEEjEEDaPvRmT3_T4_T5_mT6_P12ihipStream_tbENKUlT_T0_E_clISt17integral_constantIbLb1EESX_EEDaSS_ST_EUlSS_E_NS1_11comp_targetILNS1_3genE5ELNS1_11target_archE942ELNS1_3gpuE9ELNS1_3repE0EEENS1_30default_config_static_selectorELNS0_4arch9wavefront6targetE1EEEvT1_,"axG",@progbits,_ZN7rocprim17ROCPRIM_400000_NS6detail17trampoline_kernelINS0_14default_configENS1_20scan_config_selectorIjEEZZNS1_9scan_implILNS1_25lookback_scan_determinismE0ELb1ELb1ES3_N6thrust23THRUST_200600_302600_NS6detail15normal_iteratorINS9_10device_ptrIjEEEENS9_16discard_iteratorINS9_11use_defaultEEEjNS9_4plusIvEEjEEDaPvRmT3_T4_T5_mT6_P12ihipStream_tbENKUlT_T0_E_clISt17integral_constantIbLb1EESX_EEDaSS_ST_EUlSS_E_NS1_11comp_targetILNS1_3genE5ELNS1_11target_archE942ELNS1_3gpuE9ELNS1_3repE0EEENS1_30default_config_static_selectorELNS0_4arch9wavefront6targetE1EEEvT1_,comdat
.Lfunc_end5385:
	.size	_ZN7rocprim17ROCPRIM_400000_NS6detail17trampoline_kernelINS0_14default_configENS1_20scan_config_selectorIjEEZZNS1_9scan_implILNS1_25lookback_scan_determinismE0ELb1ELb1ES3_N6thrust23THRUST_200600_302600_NS6detail15normal_iteratorINS9_10device_ptrIjEEEENS9_16discard_iteratorINS9_11use_defaultEEEjNS9_4plusIvEEjEEDaPvRmT3_T4_T5_mT6_P12ihipStream_tbENKUlT_T0_E_clISt17integral_constantIbLb1EESX_EEDaSS_ST_EUlSS_E_NS1_11comp_targetILNS1_3genE5ELNS1_11target_archE942ELNS1_3gpuE9ELNS1_3repE0EEENS1_30default_config_static_selectorELNS0_4arch9wavefront6targetE1EEEvT1_, .Lfunc_end5385-_ZN7rocprim17ROCPRIM_400000_NS6detail17trampoline_kernelINS0_14default_configENS1_20scan_config_selectorIjEEZZNS1_9scan_implILNS1_25lookback_scan_determinismE0ELb1ELb1ES3_N6thrust23THRUST_200600_302600_NS6detail15normal_iteratorINS9_10device_ptrIjEEEENS9_16discard_iteratorINS9_11use_defaultEEEjNS9_4plusIvEEjEEDaPvRmT3_T4_T5_mT6_P12ihipStream_tbENKUlT_T0_E_clISt17integral_constantIbLb1EESX_EEDaSS_ST_EUlSS_E_NS1_11comp_targetILNS1_3genE5ELNS1_11target_archE942ELNS1_3gpuE9ELNS1_3repE0EEENS1_30default_config_static_selectorELNS0_4arch9wavefront6targetE1EEEvT1_
                                        ; -- End function
	.section	.AMDGPU.csdata,"",@progbits
; Kernel info:
; codeLenInByte = 0
; NumSgprs: 4
; NumVgprs: 0
; NumAgprs: 0
; TotalNumVgprs: 0
; ScratchSize: 0
; MemoryBound: 0
; FloatMode: 240
; IeeeMode: 1
; LDSByteSize: 0 bytes/workgroup (compile time only)
; SGPRBlocks: 0
; VGPRBlocks: 0
; NumSGPRsForWavesPerEU: 4
; NumVGPRsForWavesPerEU: 1
; AccumOffset: 4
; Occupancy: 8
; WaveLimiterHint : 0
; COMPUTE_PGM_RSRC2:SCRATCH_EN: 0
; COMPUTE_PGM_RSRC2:USER_SGPR: 6
; COMPUTE_PGM_RSRC2:TRAP_HANDLER: 0
; COMPUTE_PGM_RSRC2:TGID_X_EN: 1
; COMPUTE_PGM_RSRC2:TGID_Y_EN: 0
; COMPUTE_PGM_RSRC2:TGID_Z_EN: 0
; COMPUTE_PGM_RSRC2:TIDIG_COMP_CNT: 0
; COMPUTE_PGM_RSRC3_GFX90A:ACCUM_OFFSET: 0
; COMPUTE_PGM_RSRC3_GFX90A:TG_SPLIT: 0
	.section	.text._ZN7rocprim17ROCPRIM_400000_NS6detail17trampoline_kernelINS0_14default_configENS1_20scan_config_selectorIjEEZZNS1_9scan_implILNS1_25lookback_scan_determinismE0ELb1ELb1ES3_N6thrust23THRUST_200600_302600_NS6detail15normal_iteratorINS9_10device_ptrIjEEEENS9_16discard_iteratorINS9_11use_defaultEEEjNS9_4plusIvEEjEEDaPvRmT3_T4_T5_mT6_P12ihipStream_tbENKUlT_T0_E_clISt17integral_constantIbLb1EESX_EEDaSS_ST_EUlSS_E_NS1_11comp_targetILNS1_3genE4ELNS1_11target_archE910ELNS1_3gpuE8ELNS1_3repE0EEENS1_30default_config_static_selectorELNS0_4arch9wavefront6targetE1EEEvT1_,"axG",@progbits,_ZN7rocprim17ROCPRIM_400000_NS6detail17trampoline_kernelINS0_14default_configENS1_20scan_config_selectorIjEEZZNS1_9scan_implILNS1_25lookback_scan_determinismE0ELb1ELb1ES3_N6thrust23THRUST_200600_302600_NS6detail15normal_iteratorINS9_10device_ptrIjEEEENS9_16discard_iteratorINS9_11use_defaultEEEjNS9_4plusIvEEjEEDaPvRmT3_T4_T5_mT6_P12ihipStream_tbENKUlT_T0_E_clISt17integral_constantIbLb1EESX_EEDaSS_ST_EUlSS_E_NS1_11comp_targetILNS1_3genE4ELNS1_11target_archE910ELNS1_3gpuE8ELNS1_3repE0EEENS1_30default_config_static_selectorELNS0_4arch9wavefront6targetE1EEEvT1_,comdat
	.protected	_ZN7rocprim17ROCPRIM_400000_NS6detail17trampoline_kernelINS0_14default_configENS1_20scan_config_selectorIjEEZZNS1_9scan_implILNS1_25lookback_scan_determinismE0ELb1ELb1ES3_N6thrust23THRUST_200600_302600_NS6detail15normal_iteratorINS9_10device_ptrIjEEEENS9_16discard_iteratorINS9_11use_defaultEEEjNS9_4plusIvEEjEEDaPvRmT3_T4_T5_mT6_P12ihipStream_tbENKUlT_T0_E_clISt17integral_constantIbLb1EESX_EEDaSS_ST_EUlSS_E_NS1_11comp_targetILNS1_3genE4ELNS1_11target_archE910ELNS1_3gpuE8ELNS1_3repE0EEENS1_30default_config_static_selectorELNS0_4arch9wavefront6targetE1EEEvT1_ ; -- Begin function _ZN7rocprim17ROCPRIM_400000_NS6detail17trampoline_kernelINS0_14default_configENS1_20scan_config_selectorIjEEZZNS1_9scan_implILNS1_25lookback_scan_determinismE0ELb1ELb1ES3_N6thrust23THRUST_200600_302600_NS6detail15normal_iteratorINS9_10device_ptrIjEEEENS9_16discard_iteratorINS9_11use_defaultEEEjNS9_4plusIvEEjEEDaPvRmT3_T4_T5_mT6_P12ihipStream_tbENKUlT_T0_E_clISt17integral_constantIbLb1EESX_EEDaSS_ST_EUlSS_E_NS1_11comp_targetILNS1_3genE4ELNS1_11target_archE910ELNS1_3gpuE8ELNS1_3repE0EEENS1_30default_config_static_selectorELNS0_4arch9wavefront6targetE1EEEvT1_
	.globl	_ZN7rocprim17ROCPRIM_400000_NS6detail17trampoline_kernelINS0_14default_configENS1_20scan_config_selectorIjEEZZNS1_9scan_implILNS1_25lookback_scan_determinismE0ELb1ELb1ES3_N6thrust23THRUST_200600_302600_NS6detail15normal_iteratorINS9_10device_ptrIjEEEENS9_16discard_iteratorINS9_11use_defaultEEEjNS9_4plusIvEEjEEDaPvRmT3_T4_T5_mT6_P12ihipStream_tbENKUlT_T0_E_clISt17integral_constantIbLb1EESX_EEDaSS_ST_EUlSS_E_NS1_11comp_targetILNS1_3genE4ELNS1_11target_archE910ELNS1_3gpuE8ELNS1_3repE0EEENS1_30default_config_static_selectorELNS0_4arch9wavefront6targetE1EEEvT1_
	.p2align	8
	.type	_ZN7rocprim17ROCPRIM_400000_NS6detail17trampoline_kernelINS0_14default_configENS1_20scan_config_selectorIjEEZZNS1_9scan_implILNS1_25lookback_scan_determinismE0ELb1ELb1ES3_N6thrust23THRUST_200600_302600_NS6detail15normal_iteratorINS9_10device_ptrIjEEEENS9_16discard_iteratorINS9_11use_defaultEEEjNS9_4plusIvEEjEEDaPvRmT3_T4_T5_mT6_P12ihipStream_tbENKUlT_T0_E_clISt17integral_constantIbLb1EESX_EEDaSS_ST_EUlSS_E_NS1_11comp_targetILNS1_3genE4ELNS1_11target_archE910ELNS1_3gpuE8ELNS1_3repE0EEENS1_30default_config_static_selectorELNS0_4arch9wavefront6targetE1EEEvT1_,@function
_ZN7rocprim17ROCPRIM_400000_NS6detail17trampoline_kernelINS0_14default_configENS1_20scan_config_selectorIjEEZZNS1_9scan_implILNS1_25lookback_scan_determinismE0ELb1ELb1ES3_N6thrust23THRUST_200600_302600_NS6detail15normal_iteratorINS9_10device_ptrIjEEEENS9_16discard_iteratorINS9_11use_defaultEEEjNS9_4plusIvEEjEEDaPvRmT3_T4_T5_mT6_P12ihipStream_tbENKUlT_T0_E_clISt17integral_constantIbLb1EESX_EEDaSS_ST_EUlSS_E_NS1_11comp_targetILNS1_3genE4ELNS1_11target_archE910ELNS1_3gpuE8ELNS1_3repE0EEENS1_30default_config_static_selectorELNS0_4arch9wavefront6targetE1EEEvT1_: ; @_ZN7rocprim17ROCPRIM_400000_NS6detail17trampoline_kernelINS0_14default_configENS1_20scan_config_selectorIjEEZZNS1_9scan_implILNS1_25lookback_scan_determinismE0ELb1ELb1ES3_N6thrust23THRUST_200600_302600_NS6detail15normal_iteratorINS9_10device_ptrIjEEEENS9_16discard_iteratorINS9_11use_defaultEEEjNS9_4plusIvEEjEEDaPvRmT3_T4_T5_mT6_P12ihipStream_tbENKUlT_T0_E_clISt17integral_constantIbLb1EESX_EEDaSS_ST_EUlSS_E_NS1_11comp_targetILNS1_3genE4ELNS1_11target_archE910ELNS1_3gpuE8ELNS1_3repE0EEENS1_30default_config_static_selectorELNS0_4arch9wavefront6targetE1EEEvT1_
; %bb.0:
	s_load_dwordx2 s[20:21], s[4:5], 0x20
	s_load_dword s26, s[4:5], 0x28
	s_load_dwordx2 s[6:7], s[4:5], 0x30
	v_cmp_ne_u32_e64 s[2:3], 0, v0
	v_cmp_eq_u32_e64 s[0:1], 0, v0
	s_and_saveexec_b64 s[8:9], s[0:1]
	s_cbranch_execz .LBB5386_4
; %bb.1:
	s_mov_b64 s[12:13], exec
	v_mbcnt_lo_u32_b32 v1, s12, 0
	v_mbcnt_hi_u32_b32 v1, s13, v1
	v_cmp_eq_u32_e32 vcc, 0, v1
                                        ; implicit-def: $vgpr2
	s_and_saveexec_b64 s[10:11], vcc
	s_cbranch_execz .LBB5386_3
; %bb.2:
	s_load_dwordx2 s[14:15], s[4:5], 0x60
	s_bcnt1_i32_b64 s12, s[12:13]
	v_mov_b32_e32 v2, 0
	v_mov_b32_e32 v3, s12
	s_waitcnt lgkmcnt(0)
	global_atomic_add v2, v2, v3, s[14:15] glc
.LBB5386_3:
	s_or_b64 exec, exec, s[10:11]
	s_waitcnt vmcnt(0)
	v_readfirstlane_b32 s10, v2
	v_add_u32_e32 v1, s10, v1
	v_mov_b32_e32 v2, 0
	ds_write_b32 v2, v1
.LBB5386_4:
	s_or_b64 exec, exec, s[8:9]
	v_mov_b32_e32 v3, 0
	s_load_dwordx4 s[16:19], s[4:5], 0x0
	s_load_dword s22, s[4:5], 0x38
	s_load_dwordx8 s[8:15], s[4:5], 0x40
	s_waitcnt lgkmcnt(0)
	s_barrier
	ds_read_b32 v1, v3
	s_lshl_b64 s[4:5], s[18:19], 2
	s_add_u32 s27, s16, s4
	s_movk_i32 s4, 0x500
	s_addc_u32 s28, s17, s5
	s_waitcnt lgkmcnt(0)
	v_mul_lo_u32 v2, v1, s4
	s_add_i32 s4, s22, -1
	s_mul_i32 s5, s4, 0x500
	s_sub_u32 s24, s20, s5
	v_readfirstlane_b32 s29, v1
	s_subb_u32 s25, s21, 0
	v_lshlrev_b64 v[2:3], 2, v[2:3]
	s_cmp_lg_u32 s29, s4
	v_mov_b32_e32 v1, s28
	v_add_co_u32_e32 v12, vcc, s27, v2
	s_cselect_b64 s[16:17], -1, 0
	v_addc_co_u32_e32 v13, vcc, v1, v3, vcc
	s_mov_b64 s[4:5], -1
	s_and_b64 vcc, exec, s[16:17]
	s_barrier
	s_cbranch_vccz .LBB5386_6
; %bb.5:
	v_lshlrev_b32_e32 v1, 2, v0
	v_add_co_u32_e32 v2, vcc, v12, v1
	v_addc_co_u32_e32 v3, vcc, 0, v13, vcc
	flat_load_dword v4, v[2:3]
	flat_load_dword v5, v[2:3] offset:512
	flat_load_dword v6, v[2:3] offset:1024
	;; [unrolled: 1-line block ×7, first 2 shown]
	v_add_co_u32_e32 v2, vcc, 0x1000, v2
	v_addc_co_u32_e32 v3, vcc, 0, v3, vcc
	flat_load_dword v14, v[2:3]
	flat_load_dword v15, v[2:3] offset:512
	s_mov_b64 s[4:5], 0
	s_waitcnt vmcnt(0) lgkmcnt(0)
	ds_write2st64_b32 v1, v4, v5 offset1:2
	ds_write2st64_b32 v1, v6, v7 offset0:4 offset1:6
	ds_write2st64_b32 v1, v8, v9 offset0:8 offset1:10
	;; [unrolled: 1-line block ×4, first 2 shown]
	s_waitcnt lgkmcnt(0)
	s_barrier
.LBB5386_6:
	s_andn2_b64 vcc, exec, s[4:5]
	s_cbranch_vccnz .LBB5386_28
; %bb.7:
	flat_load_dword v1, v[12:13]
	v_cmp_gt_u32_e32 vcc, s24, v0
	s_waitcnt vmcnt(0) lgkmcnt(0)
	v_mov_b32_e32 v2, v1
	v_mov_b32_e32 v3, v1
	;; [unrolled: 1-line block ×9, first 2 shown]
	s_and_saveexec_b64 s[4:5], vcc
	s_cbranch_execz .LBB5386_9
; %bb.8:
	v_lshlrev_b32_e32 v10, 2, v0
	v_add_co_u32_e32 v10, vcc, v12, v10
	v_addc_co_u32_e32 v11, vcc, 0, v13, vcc
	flat_load_dword v10, v[10:11]
.LBB5386_9:
	s_or_b64 exec, exec, s[4:5]
	v_or_b32_e32 v11, 0x80, v0
	v_cmp_gt_u32_e32 vcc, s24, v11
	s_and_saveexec_b64 s[4:5], vcc
	s_cbranch_execz .LBB5386_11
; %bb.10:
	v_lshlrev_b32_e32 v1, 2, v0
	v_add_co_u32_e32 v14, vcc, v12, v1
	v_addc_co_u32_e32 v15, vcc, 0, v13, vcc
	flat_load_dword v1, v[14:15] offset:512
.LBB5386_11:
	s_or_b64 exec, exec, s[4:5]
	v_or_b32_e32 v11, 0x100, v0
	v_cmp_gt_u32_e32 vcc, s24, v11
	s_and_saveexec_b64 s[4:5], vcc
	s_cbranch_execz .LBB5386_13
; %bb.12:
	v_lshlrev_b32_e32 v2, 2, v0
	v_add_co_u32_e32 v14, vcc, v12, v2
	v_addc_co_u32_e32 v15, vcc, 0, v13, vcc
	flat_load_dword v2, v[14:15] offset:1024
.LBB5386_13:
	;; [unrolled: 11-line block ×7, first 2 shown]
	s_or_b64 exec, exec, s[4:5]
	v_or_b32_e32 v11, 0x400, v0
	v_cmp_gt_u32_e32 vcc, s24, v11
	s_and_saveexec_b64 s[4:5], vcc
	s_cbranch_execz .LBB5386_25
; %bb.24:
	v_lshlrev_b32_e32 v8, 2, v11
	v_add_co_u32_e32 v14, vcc, v12, v8
	v_addc_co_u32_e32 v15, vcc, 0, v13, vcc
	flat_load_dword v8, v[14:15]
.LBB5386_25:
	s_or_b64 exec, exec, s[4:5]
	v_or_b32_e32 v11, 0x480, v0
	v_cmp_gt_u32_e32 vcc, s24, v11
	s_and_saveexec_b64 s[4:5], vcc
	s_cbranch_execz .LBB5386_27
; %bb.26:
	v_lshlrev_b32_e32 v9, 2, v11
	v_add_co_u32_e32 v12, vcc, v12, v9
	v_addc_co_u32_e32 v13, vcc, 0, v13, vcc
	flat_load_dword v9, v[12:13]
.LBB5386_27:
	s_or_b64 exec, exec, s[4:5]
	v_lshlrev_b32_e32 v11, 2, v0
	s_waitcnt vmcnt(0) lgkmcnt(0)
	ds_write2st64_b32 v11, v10, v1 offset1:2
	ds_write2st64_b32 v11, v2, v3 offset0:4 offset1:6
	ds_write2st64_b32 v11, v4, v5 offset0:8 offset1:10
	;; [unrolled: 1-line block ×4, first 2 shown]
	s_waitcnt lgkmcnt(0)
	s_barrier
.LBB5386_28:
	v_mul_u32_u24_e32 v22, 10, v0
	v_lshlrev_b32_e32 v1, 2, v22
	ds_read2_b64 v[16:19], v1 offset1:1
	ds_read2_b64 v[12:15], v1 offset0:2 offset1:3
	ds_read_b64 v[20:21], v1 offset:32
	s_cmp_lg_u32 s29, 0
	v_lshrrev_b32_e32 v23, 5, v0
	s_waitcnt lgkmcnt(2)
	v_add_u32_e32 v2, v17, v16
	v_add3_u32 v24, v2, v18, v19
	v_cmp_gt_u32_e32 vcc, 64, v0
	s_waitcnt lgkmcnt(0)
	s_barrier
	s_cbranch_scc0 .LBB5386_57
; %bb.29:
	v_add3_u32 v2, v24, v12, v13
	v_add3_u32 v2, v2, v14, v15
	;; [unrolled: 1-line block ×3, first 2 shown]
	v_add_lshl_u32 v3, v23, v0, 2
	ds_write_b32 v3, v2
	s_waitcnt lgkmcnt(0)
	s_barrier
	s_and_saveexec_b64 s[18:19], vcc
	s_cbranch_execz .LBB5386_31
; %bb.30:
	v_lshlrev_b32_e32 v3, 1, v0
	v_lshrrev_b32_e32 v4, 4, v0
	v_add_lshl_u32 v3, v4, v3, 2
	ds_read2_b32 v[4:5], v3 offset1:1
	v_mbcnt_lo_u32_b32 v6, -1, 0
	v_mbcnt_hi_u32_b32 v6, -1, v6
	v_and_b32_e32 v7, 15, v6
	v_cmp_ne_u32_e64 s[4:5], 0, v7
	s_waitcnt lgkmcnt(0)
	v_add_u32_e32 v5, v5, v4
	; wave barrier
	s_nop 1
	v_mov_b32_dpp v8, v5 row_shr:1 row_mask:0xf bank_mask:0xf
	v_cndmask_b32_e64 v8, 0, v8, s[4:5]
	v_add_u32_e32 v5, v8, v5
	v_cmp_lt_u32_e64 s[4:5], 1, v7
	s_nop 0
	v_mov_b32_dpp v8, v5 row_shr:2 row_mask:0xf bank_mask:0xf
	v_cndmask_b32_e64 v8, 0, v8, s[4:5]
	v_add_u32_e32 v5, v5, v8
	v_cmp_lt_u32_e64 s[4:5], 3, v7
	;; [unrolled: 5-line block ×3, first 2 shown]
	s_nop 0
	v_mov_b32_dpp v8, v5 row_shr:8 row_mask:0xf bank_mask:0xf
	v_cndmask_b32_e64 v7, 0, v8, s[4:5]
	v_add_u32_e32 v5, v5, v7
	v_bfe_i32 v8, v6, 4, 1
	v_cmp_lt_u32_e64 s[4:5], 31, v6
	v_mov_b32_dpp v7, v5 row_bcast:15 row_mask:0xf bank_mask:0xf
	v_and_b32_e32 v7, v8, v7
	v_add_u32_e32 v5, v5, v7
	v_and_b32_e32 v8, 64, v6
	s_nop 0
	v_mov_b32_dpp v7, v5 row_bcast:31 row_mask:0xf bank_mask:0xf
	v_cndmask_b32_e64 v7, 0, v7, s[4:5]
	v_add_u32_e32 v5, v5, v7
	v_add_u32_e32 v7, -1, v6
	v_cmp_lt_i32_e64 s[4:5], v7, v8
	v_cndmask_b32_e64 v6, v7, v6, s[4:5]
	v_lshlrev_b32_e32 v6, 2, v6
	ds_bpermute_b32 v5, v6, v5
	s_waitcnt lgkmcnt(0)
	v_add_u32_e32 v4, v5, v4
	v_cndmask_b32_e64 v2, v4, v2, s[0:1]
	ds_write_b32 v3, v2
	; wave barrier
	ds_read_b32 v4, v3 offset:4
	s_waitcnt lgkmcnt(0)
	v_add_u32_e32 v2, v4, v2
	ds_write_b32 v3, v2 offset:4
.LBB5386_31:
	s_or_b64 exec, exec, s[18:19]
	v_mov_b32_e32 v25, 0
	s_waitcnt lgkmcnt(0)
	s_barrier
	s_and_saveexec_b64 s[4:5], s[2:3]
	s_cbranch_execz .LBB5386_33
; %bb.32:
	v_add_u32_e32 v2, -1, v0
	v_lshrrev_b32_e32 v3, 5, v2
	v_add_lshl_u32 v2, v3, v2, 2
	ds_read_b32 v25, v2
.LBB5386_33:
	s_or_b64 exec, exec, s[4:5]
	s_and_saveexec_b64 s[18:19], vcc
	s_cbranch_execz .LBB5386_56
; %bb.34:
	v_mov_b32_e32 v11, 0
	ds_read_b32 v2, v11 offset:520
	v_mbcnt_lo_u32_b32 v3, -1, 0
	v_mbcnt_hi_u32_b32 v5, -1, v3
	s_mov_b32 s23, 0
	v_cmp_eq_u32_e64 s[4:5], 0, v5
	s_and_saveexec_b64 s[20:21], s[4:5]
	s_cbranch_execz .LBB5386_36
; %bb.35:
	s_add_i32 s22, s29, 64
	s_lshl_b64 s[22:23], s[22:23], 3
	s_add_u32 s22, s6, s22
	v_mov_b32_e32 v3, 1
	s_addc_u32 s23, s7, s23
	s_waitcnt lgkmcnt(0)
	global_store_dwordx2 v11, v[2:3], s[22:23]
.LBB5386_36:
	s_or_b64 exec, exec, s[20:21]
	v_xad_u32 v4, v5, -1, s29
	v_add_u32_e32 v10, 64, v4
	v_lshlrev_b64 v[6:7], 3, v[10:11]
	v_mov_b32_e32 v3, s7
	v_add_co_u32_e32 v6, vcc, s6, v6
	v_addc_co_u32_e32 v7, vcc, v3, v7, vcc
	global_load_dwordx2 v[8:9], v[6:7], off glc
	s_waitcnt vmcnt(0)
	v_cmp_eq_u16_sdwa s[22:23], v9, v11 src0_sel:BYTE_0 src1_sel:DWORD
	s_and_saveexec_b64 s[20:21], s[22:23]
	s_cbranch_execz .LBB5386_42
; %bb.37:
	s_mov_b32 s30, 1
	s_mov_b64 s[22:23], 0
	v_mov_b32_e32 v3, 0
.LBB5386_38:                            ; =>This Loop Header: Depth=1
                                        ;     Child Loop BB5386_39 Depth 2
	s_max_u32 s31, s30, 1
.LBB5386_39:                            ;   Parent Loop BB5386_38 Depth=1
                                        ; =>  This Inner Loop Header: Depth=2
	s_add_i32 s31, s31, -1
	s_cmp_eq_u32 s31, 0
	s_sleep 1
	s_cbranch_scc0 .LBB5386_39
; %bb.40:                               ;   in Loop: Header=BB5386_38 Depth=1
	global_load_dwordx2 v[8:9], v[6:7], off glc
	s_cmp_lt_u32 s30, 32
	s_cselect_b64 s[34:35], -1, 0
	s_cmp_lg_u64 s[34:35], 0
	s_addc_u32 s30, s30, 0
	s_waitcnt vmcnt(0)
	v_cmp_ne_u16_sdwa s[34:35], v9, v3 src0_sel:BYTE_0 src1_sel:DWORD
	s_or_b64 s[22:23], s[34:35], s[22:23]
	s_andn2_b64 exec, exec, s[22:23]
	s_cbranch_execnz .LBB5386_38
; %bb.41:
	s_or_b64 exec, exec, s[22:23]
.LBB5386_42:
	s_or_b64 exec, exec, s[20:21]
	v_and_b32_e32 v26, 63, v5
	v_mov_b32_e32 v3, 2
	v_cmp_ne_u32_e32 vcc, 63, v26
	v_cmp_eq_u16_sdwa s[20:21], v9, v3 src0_sel:BYTE_0 src1_sel:DWORD
	v_lshlrev_b64 v[6:7], v5, -1
	v_addc_co_u32_e32 v27, vcc, 0, v5, vcc
	v_and_b32_e32 v10, s21, v7
	v_lshlrev_b32_e32 v27, 2, v27
	v_or_b32_e32 v10, 0x80000000, v10
	ds_bpermute_b32 v28, v27, v8
	v_and_b32_e32 v11, s20, v6
	v_ffbl_b32_e32 v10, v10
	v_add_u32_e32 v10, 32, v10
	v_ffbl_b32_e32 v11, v11
	v_min_u32_e32 v10, v11, v10
	v_cmp_lt_u32_e32 vcc, v26, v10
	s_waitcnt lgkmcnt(0)
	v_cndmask_b32_e32 v11, 0, v28, vcc
	v_cmp_gt_u32_e32 vcc, 62, v26
	v_add_u32_e32 v8, v11, v8
	v_cndmask_b32_e64 v11, 0, 1, vcc
	v_lshlrev_b32_e32 v11, 1, v11
	v_add_lshl_u32 v28, v11, v5, 2
	ds_bpermute_b32 v11, v28, v8
	v_add_u32_e32 v29, 2, v26
	v_cmp_le_u32_e32 vcc, v29, v10
	v_add_u32_e32 v31, 4, v26
	v_add_u32_e32 v33, 8, v26
	s_waitcnt lgkmcnt(0)
	v_cndmask_b32_e32 v11, 0, v11, vcc
	v_cmp_gt_u32_e32 vcc, 60, v26
	v_add_u32_e32 v8, v8, v11
	v_cndmask_b32_e64 v11, 0, 1, vcc
	v_lshlrev_b32_e32 v11, 2, v11
	v_add_lshl_u32 v30, v11, v5, 2
	ds_bpermute_b32 v11, v30, v8
	v_cmp_le_u32_e32 vcc, v31, v10
	v_add_u32_e32 v36, 16, v26
	v_add_u32_e32 v38, 32, v26
	s_waitcnt lgkmcnt(0)
	v_cndmask_b32_e32 v11, 0, v11, vcc
	v_cmp_gt_u32_e32 vcc, 56, v26
	v_add_u32_e32 v8, v8, v11
	v_cndmask_b32_e64 v11, 0, 1, vcc
	v_lshlrev_b32_e32 v11, 3, v11
	v_add_lshl_u32 v32, v11, v5, 2
	ds_bpermute_b32 v11, v32, v8
	v_cmp_le_u32_e32 vcc, v33, v10
	s_waitcnt lgkmcnt(0)
	v_cndmask_b32_e32 v11, 0, v11, vcc
	v_cmp_gt_u32_e32 vcc, 48, v26
	v_add_u32_e32 v8, v8, v11
	v_cndmask_b32_e64 v11, 0, 1, vcc
	v_lshlrev_b32_e32 v11, 4, v11
	v_add_lshl_u32 v35, v11, v5, 2
	ds_bpermute_b32 v11, v35, v8
	v_cmp_le_u32_e32 vcc, v36, v10
	;; [unrolled: 9-line block ×3, first 2 shown]
	s_waitcnt lgkmcnt(0)
	v_cndmask_b32_e32 v5, 0, v5, vcc
	v_add_u32_e32 v8, v8, v5
	v_mov_b32_e32 v5, 0
	s_branch .LBB5386_44
.LBB5386_43:                            ;   in Loop: Header=BB5386_44 Depth=1
	s_or_b64 exec, exec, s[20:21]
	v_cmp_eq_u16_sdwa s[20:21], v9, v3 src0_sel:BYTE_0 src1_sel:DWORD
	v_and_b32_e32 v10, s21, v7
	v_or_b32_e32 v10, 0x80000000, v10
	ds_bpermute_b32 v39, v27, v8
	v_and_b32_e32 v11, s20, v6
	v_ffbl_b32_e32 v10, v10
	v_add_u32_e32 v10, 32, v10
	v_ffbl_b32_e32 v11, v11
	v_min_u32_e32 v10, v11, v10
	v_cmp_lt_u32_e32 vcc, v26, v10
	s_waitcnt lgkmcnt(0)
	v_cndmask_b32_e32 v11, 0, v39, vcc
	v_add_u32_e32 v8, v11, v8
	ds_bpermute_b32 v11, v28, v8
	v_cmp_le_u32_e32 vcc, v29, v10
	v_subrev_u32_e32 v4, 64, v4
	s_waitcnt lgkmcnt(0)
	v_cndmask_b32_e32 v11, 0, v11, vcc
	v_add_u32_e32 v8, v8, v11
	ds_bpermute_b32 v11, v30, v8
	v_cmp_le_u32_e32 vcc, v31, v10
	s_waitcnt lgkmcnt(0)
	v_cndmask_b32_e32 v11, 0, v11, vcc
	v_add_u32_e32 v8, v8, v11
	ds_bpermute_b32 v11, v32, v8
	v_cmp_le_u32_e32 vcc, v33, v10
	;; [unrolled: 5-line block ×4, first 2 shown]
	s_waitcnt lgkmcnt(0)
	v_cndmask_b32_e32 v10, 0, v11, vcc
	v_add3_u32 v8, v10, v34, v8
.LBB5386_44:                            ; =>This Loop Header: Depth=1
                                        ;     Child Loop BB5386_47 Depth 2
                                        ;       Child Loop BB5386_48 Depth 3
	v_cmp_ne_u16_sdwa s[20:21], v9, v3 src0_sel:BYTE_0 src1_sel:DWORD
	v_cndmask_b32_e64 v9, 0, 1, s[20:21]
	;;#ASMSTART
	;;#ASMEND
	v_cmp_ne_u32_e32 vcc, 0, v9
	s_cmp_lg_u64 vcc, exec
	v_mov_b32_e32 v34, v8
	s_cbranch_scc1 .LBB5386_51
; %bb.45:                               ;   in Loop: Header=BB5386_44 Depth=1
	v_lshlrev_b64 v[8:9], 3, v[4:5]
	v_mov_b32_e32 v11, s7
	v_add_co_u32_e32 v10, vcc, s6, v8
	v_addc_co_u32_e32 v11, vcc, v11, v9, vcc
	global_load_dwordx2 v[8:9], v[10:11], off glc
	s_waitcnt vmcnt(0)
	v_cmp_eq_u16_sdwa s[22:23], v9, v5 src0_sel:BYTE_0 src1_sel:DWORD
	s_and_saveexec_b64 s[20:21], s[22:23]
	s_cbranch_execz .LBB5386_43
; %bb.46:                               ;   in Loop: Header=BB5386_44 Depth=1
	s_mov_b32 s30, 1
	s_mov_b64 s[22:23], 0
.LBB5386_47:                            ;   Parent Loop BB5386_44 Depth=1
                                        ; =>  This Loop Header: Depth=2
                                        ;       Child Loop BB5386_48 Depth 3
	s_max_u32 s31, s30, 1
.LBB5386_48:                            ;   Parent Loop BB5386_44 Depth=1
                                        ;     Parent Loop BB5386_47 Depth=2
                                        ; =>    This Inner Loop Header: Depth=3
	s_add_i32 s31, s31, -1
	s_cmp_eq_u32 s31, 0
	s_sleep 1
	s_cbranch_scc0 .LBB5386_48
; %bb.49:                               ;   in Loop: Header=BB5386_47 Depth=2
	global_load_dwordx2 v[8:9], v[10:11], off glc
	s_cmp_lt_u32 s30, 32
	s_cselect_b64 s[34:35], -1, 0
	s_cmp_lg_u64 s[34:35], 0
	s_addc_u32 s30, s30, 0
	s_waitcnt vmcnt(0)
	v_cmp_ne_u16_sdwa s[34:35], v9, v5 src0_sel:BYTE_0 src1_sel:DWORD
	s_or_b64 s[22:23], s[34:35], s[22:23]
	s_andn2_b64 exec, exec, s[22:23]
	s_cbranch_execnz .LBB5386_47
; %bb.50:                               ;   in Loop: Header=BB5386_44 Depth=1
	s_or_b64 exec, exec, s[22:23]
	s_branch .LBB5386_43
.LBB5386_51:                            ;   in Loop: Header=BB5386_44 Depth=1
                                        ; implicit-def: $vgpr8
                                        ; implicit-def: $vgpr9
	s_cbranch_execz .LBB5386_44
; %bb.52:
	s_and_saveexec_b64 s[20:21], s[4:5]
	s_cbranch_execz .LBB5386_54
; %bb.53:
	s_add_i32 s4, s29, 64
	s_mov_b32 s5, 0
	s_lshl_b64 s[4:5], s[4:5], 3
	s_add_u32 s4, s6, s4
	v_add_u32_e32 v2, v34, v2
	v_mov_b32_e32 v3, 2
	s_addc_u32 s5, s7, s5
	v_mov_b32_e32 v4, 0
	global_store_dwordx2 v4, v[2:3], s[4:5]
.LBB5386_54:
	s_or_b64 exec, exec, s[20:21]
	s_and_b64 exec, exec, s[0:1]
	s_cbranch_execz .LBB5386_56
; %bb.55:
	v_mov_b32_e32 v2, 0
	ds_write_b32 v2, v34
.LBB5386_56:
	s_or_b64 exec, exec, s[18:19]
	v_mov_b32_e32 v2, 0
	s_waitcnt lgkmcnt(0)
	s_barrier
	ds_read_b32 v2, v2
	s_waitcnt lgkmcnt(0)
	v_add_u32_e32 v2, v2, v25
	v_add_u32_e32 v3, v2, v16
	;; [unrolled: 1-line block ×10, first 2 shown]
	s_branch .LBB5386_67
.LBB5386_57:
                                        ; implicit-def: $vgpr2_vgpr3_vgpr4_vgpr5_vgpr6_vgpr7_vgpr8_vgpr9_vgpr10_vgpr11
	s_cbranch_execz .LBB5386_67
; %bb.58:
	s_cmp_eq_u64 s[12:13], 0
	v_mov_b32_e32 v25, s26
	s_cbranch_scc1 .LBB5386_60
; %bb.59:
	v_mov_b32_e32 v3, s28
	v_add_co_u32_e64 v2, vcc, -4, s27
	v_addc_co_u32_e32 v3, vcc, -1, v3, vcc
	v_mov_b32_e32 v4, 0
	flat_load_dword v5, v[2:3]
	global_load_dword v6, v4, s[8:9]
	s_waitcnt vmcnt(0) lgkmcnt(0)
	v_add_u32_e32 v25, v6, v5
.LBB5386_60:
	v_add3_u32 v2, v24, v12, v13
	v_add3_u32 v2, v2, v14, v15
	;; [unrolled: 1-line block ×3, first 2 shown]
	v_add_lshl_u32 v3, v23, v0, 2
	v_cmp_gt_u32_e32 vcc, 64, v0
	ds_write_b32 v3, v2
	s_waitcnt lgkmcnt(0)
	s_barrier
	s_and_saveexec_b64 s[4:5], vcc
	s_cbranch_execz .LBB5386_62
; %bb.61:
	v_lshlrev_b32_e32 v3, 1, v0
	v_lshrrev_b32_e32 v4, 4, v0
	v_add_lshl_u32 v3, v4, v3, 2
	ds_read2_b32 v[4:5], v3 offset1:1
	v_mbcnt_lo_u32_b32 v6, -1, 0
	v_mbcnt_hi_u32_b32 v6, -1, v6
	v_and_b32_e32 v7, 15, v6
	v_cmp_ne_u32_e32 vcc, 0, v7
	s_waitcnt lgkmcnt(0)
	v_add_u32_e32 v5, v5, v4
	; wave barrier
	s_nop 1
	v_mov_b32_dpp v8, v5 row_shr:1 row_mask:0xf bank_mask:0xf
	v_cndmask_b32_e32 v8, 0, v8, vcc
	v_add_u32_e32 v5, v8, v5
	v_cmp_lt_u32_e32 vcc, 1, v7
	s_nop 0
	v_mov_b32_dpp v8, v5 row_shr:2 row_mask:0xf bank_mask:0xf
	v_cndmask_b32_e32 v8, 0, v8, vcc
	v_add_u32_e32 v5, v5, v8
	v_cmp_lt_u32_e32 vcc, 3, v7
	;; [unrolled: 5-line block ×3, first 2 shown]
	s_nop 0
	v_mov_b32_dpp v8, v5 row_shr:8 row_mask:0xf bank_mask:0xf
	v_cndmask_b32_e32 v7, 0, v8, vcc
	v_add_u32_e32 v5, v5, v7
	v_bfe_i32 v8, v6, 4, 1
	v_cmp_lt_u32_e32 vcc, 31, v6
	v_mov_b32_dpp v7, v5 row_bcast:15 row_mask:0xf bank_mask:0xf
	v_and_b32_e32 v7, v8, v7
	v_add_u32_e32 v5, v5, v7
	v_and_b32_e32 v8, 64, v6
	s_nop 0
	v_mov_b32_dpp v7, v5 row_bcast:31 row_mask:0xf bank_mask:0xf
	v_cndmask_b32_e32 v7, 0, v7, vcc
	v_add_u32_e32 v5, v5, v7
	v_add_u32_e32 v7, -1, v6
	v_cmp_lt_i32_e32 vcc, v7, v8
	v_cndmask_b32_e32 v6, v7, v6, vcc
	v_lshlrev_b32_e32 v6, 2, v6
	ds_bpermute_b32 v5, v6, v5
	s_waitcnt lgkmcnt(0)
	v_add_u32_e32 v4, v5, v4
	v_cndmask_b32_e64 v2, v4, v2, s[0:1]
	ds_write_b32 v3, v2
	; wave barrier
	ds_read_b32 v4, v3 offset:4
	s_waitcnt lgkmcnt(0)
	v_add_u32_e32 v2, v4, v2
	ds_write_b32 v3, v2 offset:4
.LBB5386_62:
	s_or_b64 exec, exec, s[4:5]
	v_mov_b32_e32 v2, v25
	s_waitcnt lgkmcnt(0)
	s_barrier
	s_and_saveexec_b64 s[4:5], s[2:3]
	s_cbranch_execz .LBB5386_64
; %bb.63:
	v_add_u32_e32 v2, -1, v0
	v_lshrrev_b32_e32 v3, 5, v2
	v_add_lshl_u32 v2, v3, v2, 2
	ds_read_b32 v2, v2
	s_waitcnt lgkmcnt(0)
	v_add_u32_e32 v2, v2, v25
.LBB5386_64:
	s_or_b64 exec, exec, s[4:5]
	v_add_u32_e32 v3, v2, v16
	v_add_u32_e32 v4, v3, v17
	;; [unrolled: 1-line block ×9, first 2 shown]
	s_and_saveexec_b64 s[2:3], s[0:1]
	s_cbranch_execz .LBB5386_66
; %bb.65:
	v_mov_b32_e32 v14, 0
	ds_read_b32 v12, v14 offset:520
	v_mov_b32_e32 v13, 2
	s_waitcnt lgkmcnt(0)
	v_add_u32_e32 v12, v12, v25
	global_store_dwordx2 v14, v[12:13], s[6:7] offset:512
.LBB5386_66:
	s_or_b64 exec, exec, s[2:3]
.LBB5386_67:
	s_mov_b64 s[0:1], -1
	s_and_b64 vcc, exec, s[16:17]
	s_barrier
	ds_write2_b64 v1, v[2:3], v[4:5] offset1:1
	ds_write2_b64 v1, v[6:7], v[8:9] offset0:2 offset1:3
	ds_write_b64 v1, v[10:11] offset:32
	s_waitcnt lgkmcnt(0)
	s_cbranch_vccz .LBB5386_69
; %bb.68:
	s_barrier
	s_mov_b64 s[0:1], 0
.LBB5386_69:
	s_andn2_b64 vcc, exec, s[0:1]
	s_cbranch_vccnz .LBB5386_105
; %bb.70:
	v_cmp_lt_u64_e64 s[0:1], s[14:15], 2
	s_and_b64 vcc, exec, s[0:1]
	s_barrier
	s_cbranch_vccnz .LBB5386_105
; %bb.71:
	s_add_u32 s0, s24, -1
	s_addc_u32 s1, s25, -1
	s_add_u32 s2, 0, 0x99986000
	s_addc_u32 s3, 0, 0x59
	s_add_i32 s3, s3, 0x19999940
	s_mul_hi_u32 s7, s2, -10
	s_sub_i32 s7, s7, s2
	s_mul_i32 s8, s3, -10
	s_mul_i32 s4, s2, -10
	s_add_i32 s7, s7, s8
	s_mul_hi_u32 s5, s3, s4
	s_mul_i32 s6, s3, s4
	s_mul_i32 s9, s2, s7
	s_mul_hi_u32 s4, s2, s4
	s_mul_hi_u32 s8, s2, s7
	s_add_u32 s4, s4, s9
	s_addc_u32 s8, 0, s8
	s_add_u32 s4, s4, s6
	s_mul_hi_u32 s9, s3, s7
	s_addc_u32 s4, s8, s5
	s_addc_u32 s5, s9, 0
	s_mul_i32 s6, s3, s7
	s_add_u32 s4, s4, s6
	v_mov_b32_e32 v2, s4
	s_addc_u32 s5, 0, s5
	v_add_co_u32_e32 v2, vcc, s2, v2
	s_cmp_lg_u64 vcc, 0
	s_addc_u32 s2, s3, s5
	v_readfirstlane_b32 s5, v2
	s_mul_i32 s4, s0, s2
	s_mul_hi_u32 s6, s0, s5
	s_mul_hi_u32 s3, s0, s2
	s_add_u32 s4, s6, s4
	s_addc_u32 s3, 0, s3
	s_mul_hi_u32 s7, s1, s5
	s_mul_i32 s5, s1, s5
	s_add_u32 s4, s4, s5
	s_mul_hi_u32 s6, s1, s2
	s_addc_u32 s3, s3, s7
	s_addc_u32 s4, s6, 0
	s_mul_i32 s2, s1, s2
	s_add_u32 s2, s3, s2
	s_addc_u32 s3, 0, s4
	s_add_u32 s4, s2, 1
	s_addc_u32 s5, s3, 0
	s_add_u32 s6, s2, 2
	s_mul_i32 s8, s3, 10
	s_mul_hi_u32 s9, s2, 10
	s_addc_u32 s7, s3, 0
	s_add_i32 s9, s9, s8
	s_mul_i32 s8, s2, 10
	v_mov_b32_e32 v2, s8
	v_sub_co_u32_e32 v2, vcc, s0, v2
	s_cmp_lg_u64 vcc, 0
	s_subb_u32 s8, s1, s9
	v_subrev_co_u32_e32 v3, vcc, 10, v2
	s_cmp_lg_u64 vcc, 0
	s_subb_u32 s9, s8, 0
	v_readfirstlane_b32 s12, v3
	s_cmp_gt_u32 s12, 9
	s_cselect_b32 s12, -1, 0
	s_cmp_eq_u32 s9, 0
	s_cselect_b32 s9, s12, -1
	s_cmp_lg_u32 s9, 0
	s_cselect_b32 s4, s6, s4
	v_readfirstlane_b32 s6, v2
	s_cselect_b32 s5, s7, s5
	s_cmp_gt_u32 s6, 9
	s_cselect_b32 s6, -1, 0
	s_cmp_eq_u32 s8, 0
	s_cselect_b32 s6, s6, -1
	s_cmp_lg_u32 s6, 0
	v_mov_b32_e32 v1, 0
	s_cselect_b32 s3, s5, s3
	s_cselect_b32 s2, s4, s2
	v_cmp_eq_u64_e32 vcc, s[2:3], v[0:1]
	s_and_saveexec_b64 s[2:3], vcc
	s_cbranch_execz .LBB5386_105
; %bb.72:
	v_lshlrev_b32_e32 v2, 2, v0
	v_mul_hi_u32_u24_e32 v1, 10, v0
	v_mov_b32_e32 v3, s1
	v_sub_co_u32_e32 v0, vcc, s0, v22
	v_subb_co_u32_e32 v1, vcc, v3, v1, vcc
	v_cmp_lt_i64_e32 vcc, 4, v[0:1]
	s_and_saveexec_b64 s[0:1], vcc
	s_xor_b64 s[0:1], exec, s[0:1]
	s_cbranch_execz .LBB5386_90
; %bb.73:
	v_cmp_lt_i64_e32 vcc, 6, v[0:1]
	s_and_saveexec_b64 s[2:3], vcc
	s_xor_b64 s[2:3], exec, s[2:3]
	s_cbranch_execz .LBB5386_83
; %bb.74:
	;; [unrolled: 5-line block ×4, first 2 shown]
	ds_read_b32 v0, v2 offset:4608
	v_mov_b32_e32 v1, 0
                                        ; implicit-def: $vgpr2
	s_waitcnt lgkmcnt(0)
	global_store_dword v1, v0, s[10:11]
.LBB5386_77:
	s_andn2_saveexec_b64 s[6:7], s[6:7]
	s_cbranch_execz .LBB5386_79
; %bb.78:
	ds_read_b32 v0, v2 offset:4096
	v_mov_b32_e32 v1, 0
	s_waitcnt lgkmcnt(0)
	global_store_dword v1, v0, s[10:11]
.LBB5386_79:
	s_or_b64 exec, exec, s[6:7]
                                        ; implicit-def: $vgpr2
.LBB5386_80:
	s_andn2_saveexec_b64 s[4:5], s[4:5]
	s_cbranch_execz .LBB5386_82
; %bb.81:
	ds_read_b32 v0, v2 offset:3584
	v_mov_b32_e32 v1, 0
	s_waitcnt lgkmcnt(0)
	global_store_dword v1, v0, s[10:11]
.LBB5386_82:
	s_or_b64 exec, exec, s[4:5]
                                        ; implicit-def: $vgpr2
                                        ; implicit-def: $vgpr0_vgpr1
.LBB5386_83:
	s_andn2_saveexec_b64 s[2:3], s[2:3]
	s_cbranch_execz .LBB5386_89
; %bb.84:
	v_cmp_lt_i64_e32 vcc, 5, v[0:1]
	s_and_saveexec_b64 s[4:5], vcc
	s_xor_b64 s[4:5], exec, s[4:5]
	s_cbranch_execz .LBB5386_86
; %bb.85:
	ds_read_b32 v0, v2 offset:3072
	v_mov_b32_e32 v1, 0
                                        ; implicit-def: $vgpr2
	s_waitcnt lgkmcnt(0)
	global_store_dword v1, v0, s[10:11]
.LBB5386_86:
	s_andn2_saveexec_b64 s[4:5], s[4:5]
	s_cbranch_execz .LBB5386_88
; %bb.87:
	ds_read_b32 v0, v2 offset:2560
	v_mov_b32_e32 v1, 0
	s_waitcnt lgkmcnt(0)
	global_store_dword v1, v0, s[10:11]
.LBB5386_88:
	s_or_b64 exec, exec, s[4:5]
.LBB5386_89:
	s_or_b64 exec, exec, s[2:3]
                                        ; implicit-def: $vgpr0_vgpr1
                                        ; implicit-def: $vgpr2
.LBB5386_90:
	s_andn2_saveexec_b64 s[0:1], s[0:1]
	s_cbranch_execz .LBB5386_105
; %bb.91:
	v_cmp_lt_i64_e32 vcc, 2, v[0:1]
	s_and_saveexec_b64 s[0:1], vcc
	s_xor_b64 s[0:1], exec, s[0:1]
	s_cbranch_execz .LBB5386_97
; %bb.92:
	v_cmp_lt_i64_e32 vcc, 3, v[0:1]
	s_and_saveexec_b64 s[2:3], vcc
	s_xor_b64 s[2:3], exec, s[2:3]
	s_cbranch_execz .LBB5386_94
; %bb.93:
	ds_read_b32 v0, v2 offset:2048
	v_mov_b32_e32 v1, 0
                                        ; implicit-def: $vgpr2
	s_waitcnt lgkmcnt(0)
	global_store_dword v1, v0, s[10:11]
.LBB5386_94:
	s_andn2_saveexec_b64 s[2:3], s[2:3]
	s_cbranch_execz .LBB5386_96
; %bb.95:
	ds_read_b32 v0, v2 offset:1536
	v_mov_b32_e32 v1, 0
	s_waitcnt lgkmcnt(0)
	global_store_dword v1, v0, s[10:11]
.LBB5386_96:
	s_or_b64 exec, exec, s[2:3]
                                        ; implicit-def: $vgpr0_vgpr1
                                        ; implicit-def: $vgpr2
.LBB5386_97:
	s_andn2_saveexec_b64 s[0:1], s[0:1]
	s_cbranch_execz .LBB5386_105
; %bb.98:
	v_cmp_lt_i64_e32 vcc, 1, v[0:1]
	s_and_saveexec_b64 s[0:1], vcc
	s_xor_b64 s[0:1], exec, s[0:1]
	s_cbranch_execz .LBB5386_100
; %bb.99:
	ds_read_b32 v0, v2 offset:1024
	v_mov_b32_e32 v1, 0
                                        ; implicit-def: $vgpr2
	s_waitcnt lgkmcnt(0)
	global_store_dword v1, v0, s[10:11]
                                        ; implicit-def: $vgpr0_vgpr1
.LBB5386_100:
	s_andn2_saveexec_b64 s[0:1], s[0:1]
	s_cbranch_execz .LBB5386_105
; %bb.101:
	v_cmp_ne_u64_e32 vcc, 1, v[0:1]
	s_and_saveexec_b64 s[0:1], vcc
	s_xor_b64 s[0:1], exec, s[0:1]
	s_cbranch_execz .LBB5386_103
; %bb.102:
	ds_read_b32 v0, v2
	v_mov_b32_e32 v1, 0
                                        ; implicit-def: $vgpr2
	s_waitcnt lgkmcnt(0)
	global_store_dword v1, v0, s[10:11]
.LBB5386_103:
	s_andn2_saveexec_b64 s[0:1], s[0:1]
	s_cbranch_execz .LBB5386_105
; %bb.104:
	ds_read_b32 v0, v2 offset:512
	v_mov_b32_e32 v1, 0
	s_waitcnt lgkmcnt(0)
	global_store_dword v1, v0, s[10:11]
.LBB5386_105:
	s_endpgm
	.section	.rodata,"a",@progbits
	.p2align	6, 0x0
	.amdhsa_kernel _ZN7rocprim17ROCPRIM_400000_NS6detail17trampoline_kernelINS0_14default_configENS1_20scan_config_selectorIjEEZZNS1_9scan_implILNS1_25lookback_scan_determinismE0ELb1ELb1ES3_N6thrust23THRUST_200600_302600_NS6detail15normal_iteratorINS9_10device_ptrIjEEEENS9_16discard_iteratorINS9_11use_defaultEEEjNS9_4plusIvEEjEEDaPvRmT3_T4_T5_mT6_P12ihipStream_tbENKUlT_T0_E_clISt17integral_constantIbLb1EESX_EEDaSS_ST_EUlSS_E_NS1_11comp_targetILNS1_3genE4ELNS1_11target_archE910ELNS1_3gpuE8ELNS1_3repE0EEENS1_30default_config_static_selectorELNS0_4arch9wavefront6targetE1EEEvT1_
		.amdhsa_group_segment_fixed_size 5120
		.amdhsa_private_segment_fixed_size 0
		.amdhsa_kernarg_size 104
		.amdhsa_user_sgpr_count 6
		.amdhsa_user_sgpr_private_segment_buffer 1
		.amdhsa_user_sgpr_dispatch_ptr 0
		.amdhsa_user_sgpr_queue_ptr 0
		.amdhsa_user_sgpr_kernarg_segment_ptr 1
		.amdhsa_user_sgpr_dispatch_id 0
		.amdhsa_user_sgpr_flat_scratch_init 0
		.amdhsa_user_sgpr_kernarg_preload_length 0
		.amdhsa_user_sgpr_kernarg_preload_offset 0
		.amdhsa_user_sgpr_private_segment_size 0
		.amdhsa_uses_dynamic_stack 0
		.amdhsa_system_sgpr_private_segment_wavefront_offset 0
		.amdhsa_system_sgpr_workgroup_id_x 1
		.amdhsa_system_sgpr_workgroup_id_y 0
		.amdhsa_system_sgpr_workgroup_id_z 0
		.amdhsa_system_sgpr_workgroup_info 0
		.amdhsa_system_vgpr_workitem_id 0
		.amdhsa_next_free_vgpr 40
		.amdhsa_next_free_sgpr 36
		.amdhsa_accum_offset 40
		.amdhsa_reserve_vcc 1
		.amdhsa_reserve_flat_scratch 0
		.amdhsa_float_round_mode_32 0
		.amdhsa_float_round_mode_16_64 0
		.amdhsa_float_denorm_mode_32 3
		.amdhsa_float_denorm_mode_16_64 3
		.amdhsa_dx10_clamp 1
		.amdhsa_ieee_mode 1
		.amdhsa_fp16_overflow 0
		.amdhsa_tg_split 0
		.amdhsa_exception_fp_ieee_invalid_op 0
		.amdhsa_exception_fp_denorm_src 0
		.amdhsa_exception_fp_ieee_div_zero 0
		.amdhsa_exception_fp_ieee_overflow 0
		.amdhsa_exception_fp_ieee_underflow 0
		.amdhsa_exception_fp_ieee_inexact 0
		.amdhsa_exception_int_div_zero 0
	.end_amdhsa_kernel
	.section	.text._ZN7rocprim17ROCPRIM_400000_NS6detail17trampoline_kernelINS0_14default_configENS1_20scan_config_selectorIjEEZZNS1_9scan_implILNS1_25lookback_scan_determinismE0ELb1ELb1ES3_N6thrust23THRUST_200600_302600_NS6detail15normal_iteratorINS9_10device_ptrIjEEEENS9_16discard_iteratorINS9_11use_defaultEEEjNS9_4plusIvEEjEEDaPvRmT3_T4_T5_mT6_P12ihipStream_tbENKUlT_T0_E_clISt17integral_constantIbLb1EESX_EEDaSS_ST_EUlSS_E_NS1_11comp_targetILNS1_3genE4ELNS1_11target_archE910ELNS1_3gpuE8ELNS1_3repE0EEENS1_30default_config_static_selectorELNS0_4arch9wavefront6targetE1EEEvT1_,"axG",@progbits,_ZN7rocprim17ROCPRIM_400000_NS6detail17trampoline_kernelINS0_14default_configENS1_20scan_config_selectorIjEEZZNS1_9scan_implILNS1_25lookback_scan_determinismE0ELb1ELb1ES3_N6thrust23THRUST_200600_302600_NS6detail15normal_iteratorINS9_10device_ptrIjEEEENS9_16discard_iteratorINS9_11use_defaultEEEjNS9_4plusIvEEjEEDaPvRmT3_T4_T5_mT6_P12ihipStream_tbENKUlT_T0_E_clISt17integral_constantIbLb1EESX_EEDaSS_ST_EUlSS_E_NS1_11comp_targetILNS1_3genE4ELNS1_11target_archE910ELNS1_3gpuE8ELNS1_3repE0EEENS1_30default_config_static_selectorELNS0_4arch9wavefront6targetE1EEEvT1_,comdat
.Lfunc_end5386:
	.size	_ZN7rocprim17ROCPRIM_400000_NS6detail17trampoline_kernelINS0_14default_configENS1_20scan_config_selectorIjEEZZNS1_9scan_implILNS1_25lookback_scan_determinismE0ELb1ELb1ES3_N6thrust23THRUST_200600_302600_NS6detail15normal_iteratorINS9_10device_ptrIjEEEENS9_16discard_iteratorINS9_11use_defaultEEEjNS9_4plusIvEEjEEDaPvRmT3_T4_T5_mT6_P12ihipStream_tbENKUlT_T0_E_clISt17integral_constantIbLb1EESX_EEDaSS_ST_EUlSS_E_NS1_11comp_targetILNS1_3genE4ELNS1_11target_archE910ELNS1_3gpuE8ELNS1_3repE0EEENS1_30default_config_static_selectorELNS0_4arch9wavefront6targetE1EEEvT1_, .Lfunc_end5386-_ZN7rocprim17ROCPRIM_400000_NS6detail17trampoline_kernelINS0_14default_configENS1_20scan_config_selectorIjEEZZNS1_9scan_implILNS1_25lookback_scan_determinismE0ELb1ELb1ES3_N6thrust23THRUST_200600_302600_NS6detail15normal_iteratorINS9_10device_ptrIjEEEENS9_16discard_iteratorINS9_11use_defaultEEEjNS9_4plusIvEEjEEDaPvRmT3_T4_T5_mT6_P12ihipStream_tbENKUlT_T0_E_clISt17integral_constantIbLb1EESX_EEDaSS_ST_EUlSS_E_NS1_11comp_targetILNS1_3genE4ELNS1_11target_archE910ELNS1_3gpuE8ELNS1_3repE0EEENS1_30default_config_static_selectorELNS0_4arch9wavefront6targetE1EEEvT1_
                                        ; -- End function
	.section	.AMDGPU.csdata,"",@progbits
; Kernel info:
; codeLenInByte = 4032
; NumSgprs: 40
; NumVgprs: 40
; NumAgprs: 0
; TotalNumVgprs: 40
; ScratchSize: 0
; MemoryBound: 0
; FloatMode: 240
; IeeeMode: 1
; LDSByteSize: 5120 bytes/workgroup (compile time only)
; SGPRBlocks: 4
; VGPRBlocks: 4
; NumSGPRsForWavesPerEU: 40
; NumVGPRsForWavesPerEU: 40
; AccumOffset: 40
; Occupancy: 6
; WaveLimiterHint : 1
; COMPUTE_PGM_RSRC2:SCRATCH_EN: 0
; COMPUTE_PGM_RSRC2:USER_SGPR: 6
; COMPUTE_PGM_RSRC2:TRAP_HANDLER: 0
; COMPUTE_PGM_RSRC2:TGID_X_EN: 1
; COMPUTE_PGM_RSRC2:TGID_Y_EN: 0
; COMPUTE_PGM_RSRC2:TGID_Z_EN: 0
; COMPUTE_PGM_RSRC2:TIDIG_COMP_CNT: 0
; COMPUTE_PGM_RSRC3_GFX90A:ACCUM_OFFSET: 9
; COMPUTE_PGM_RSRC3_GFX90A:TG_SPLIT: 0
	.section	.text._ZN7rocprim17ROCPRIM_400000_NS6detail17trampoline_kernelINS0_14default_configENS1_20scan_config_selectorIjEEZZNS1_9scan_implILNS1_25lookback_scan_determinismE0ELb1ELb1ES3_N6thrust23THRUST_200600_302600_NS6detail15normal_iteratorINS9_10device_ptrIjEEEENS9_16discard_iteratorINS9_11use_defaultEEEjNS9_4plusIvEEjEEDaPvRmT3_T4_T5_mT6_P12ihipStream_tbENKUlT_T0_E_clISt17integral_constantIbLb1EESX_EEDaSS_ST_EUlSS_E_NS1_11comp_targetILNS1_3genE3ELNS1_11target_archE908ELNS1_3gpuE7ELNS1_3repE0EEENS1_30default_config_static_selectorELNS0_4arch9wavefront6targetE1EEEvT1_,"axG",@progbits,_ZN7rocprim17ROCPRIM_400000_NS6detail17trampoline_kernelINS0_14default_configENS1_20scan_config_selectorIjEEZZNS1_9scan_implILNS1_25lookback_scan_determinismE0ELb1ELb1ES3_N6thrust23THRUST_200600_302600_NS6detail15normal_iteratorINS9_10device_ptrIjEEEENS9_16discard_iteratorINS9_11use_defaultEEEjNS9_4plusIvEEjEEDaPvRmT3_T4_T5_mT6_P12ihipStream_tbENKUlT_T0_E_clISt17integral_constantIbLb1EESX_EEDaSS_ST_EUlSS_E_NS1_11comp_targetILNS1_3genE3ELNS1_11target_archE908ELNS1_3gpuE7ELNS1_3repE0EEENS1_30default_config_static_selectorELNS0_4arch9wavefront6targetE1EEEvT1_,comdat
	.protected	_ZN7rocprim17ROCPRIM_400000_NS6detail17trampoline_kernelINS0_14default_configENS1_20scan_config_selectorIjEEZZNS1_9scan_implILNS1_25lookback_scan_determinismE0ELb1ELb1ES3_N6thrust23THRUST_200600_302600_NS6detail15normal_iteratorINS9_10device_ptrIjEEEENS9_16discard_iteratorINS9_11use_defaultEEEjNS9_4plusIvEEjEEDaPvRmT3_T4_T5_mT6_P12ihipStream_tbENKUlT_T0_E_clISt17integral_constantIbLb1EESX_EEDaSS_ST_EUlSS_E_NS1_11comp_targetILNS1_3genE3ELNS1_11target_archE908ELNS1_3gpuE7ELNS1_3repE0EEENS1_30default_config_static_selectorELNS0_4arch9wavefront6targetE1EEEvT1_ ; -- Begin function _ZN7rocprim17ROCPRIM_400000_NS6detail17trampoline_kernelINS0_14default_configENS1_20scan_config_selectorIjEEZZNS1_9scan_implILNS1_25lookback_scan_determinismE0ELb1ELb1ES3_N6thrust23THRUST_200600_302600_NS6detail15normal_iteratorINS9_10device_ptrIjEEEENS9_16discard_iteratorINS9_11use_defaultEEEjNS9_4plusIvEEjEEDaPvRmT3_T4_T5_mT6_P12ihipStream_tbENKUlT_T0_E_clISt17integral_constantIbLb1EESX_EEDaSS_ST_EUlSS_E_NS1_11comp_targetILNS1_3genE3ELNS1_11target_archE908ELNS1_3gpuE7ELNS1_3repE0EEENS1_30default_config_static_selectorELNS0_4arch9wavefront6targetE1EEEvT1_
	.globl	_ZN7rocprim17ROCPRIM_400000_NS6detail17trampoline_kernelINS0_14default_configENS1_20scan_config_selectorIjEEZZNS1_9scan_implILNS1_25lookback_scan_determinismE0ELb1ELb1ES3_N6thrust23THRUST_200600_302600_NS6detail15normal_iteratorINS9_10device_ptrIjEEEENS9_16discard_iteratorINS9_11use_defaultEEEjNS9_4plusIvEEjEEDaPvRmT3_T4_T5_mT6_P12ihipStream_tbENKUlT_T0_E_clISt17integral_constantIbLb1EESX_EEDaSS_ST_EUlSS_E_NS1_11comp_targetILNS1_3genE3ELNS1_11target_archE908ELNS1_3gpuE7ELNS1_3repE0EEENS1_30default_config_static_selectorELNS0_4arch9wavefront6targetE1EEEvT1_
	.p2align	8
	.type	_ZN7rocprim17ROCPRIM_400000_NS6detail17trampoline_kernelINS0_14default_configENS1_20scan_config_selectorIjEEZZNS1_9scan_implILNS1_25lookback_scan_determinismE0ELb1ELb1ES3_N6thrust23THRUST_200600_302600_NS6detail15normal_iteratorINS9_10device_ptrIjEEEENS9_16discard_iteratorINS9_11use_defaultEEEjNS9_4plusIvEEjEEDaPvRmT3_T4_T5_mT6_P12ihipStream_tbENKUlT_T0_E_clISt17integral_constantIbLb1EESX_EEDaSS_ST_EUlSS_E_NS1_11comp_targetILNS1_3genE3ELNS1_11target_archE908ELNS1_3gpuE7ELNS1_3repE0EEENS1_30default_config_static_selectorELNS0_4arch9wavefront6targetE1EEEvT1_,@function
_ZN7rocprim17ROCPRIM_400000_NS6detail17trampoline_kernelINS0_14default_configENS1_20scan_config_selectorIjEEZZNS1_9scan_implILNS1_25lookback_scan_determinismE0ELb1ELb1ES3_N6thrust23THRUST_200600_302600_NS6detail15normal_iteratorINS9_10device_ptrIjEEEENS9_16discard_iteratorINS9_11use_defaultEEEjNS9_4plusIvEEjEEDaPvRmT3_T4_T5_mT6_P12ihipStream_tbENKUlT_T0_E_clISt17integral_constantIbLb1EESX_EEDaSS_ST_EUlSS_E_NS1_11comp_targetILNS1_3genE3ELNS1_11target_archE908ELNS1_3gpuE7ELNS1_3repE0EEENS1_30default_config_static_selectorELNS0_4arch9wavefront6targetE1EEEvT1_: ; @_ZN7rocprim17ROCPRIM_400000_NS6detail17trampoline_kernelINS0_14default_configENS1_20scan_config_selectorIjEEZZNS1_9scan_implILNS1_25lookback_scan_determinismE0ELb1ELb1ES3_N6thrust23THRUST_200600_302600_NS6detail15normal_iteratorINS9_10device_ptrIjEEEENS9_16discard_iteratorINS9_11use_defaultEEEjNS9_4plusIvEEjEEDaPvRmT3_T4_T5_mT6_P12ihipStream_tbENKUlT_T0_E_clISt17integral_constantIbLb1EESX_EEDaSS_ST_EUlSS_E_NS1_11comp_targetILNS1_3genE3ELNS1_11target_archE908ELNS1_3gpuE7ELNS1_3repE0EEENS1_30default_config_static_selectorELNS0_4arch9wavefront6targetE1EEEvT1_
; %bb.0:
	.section	.rodata,"a",@progbits
	.p2align	6, 0x0
	.amdhsa_kernel _ZN7rocprim17ROCPRIM_400000_NS6detail17trampoline_kernelINS0_14default_configENS1_20scan_config_selectorIjEEZZNS1_9scan_implILNS1_25lookback_scan_determinismE0ELb1ELb1ES3_N6thrust23THRUST_200600_302600_NS6detail15normal_iteratorINS9_10device_ptrIjEEEENS9_16discard_iteratorINS9_11use_defaultEEEjNS9_4plusIvEEjEEDaPvRmT3_T4_T5_mT6_P12ihipStream_tbENKUlT_T0_E_clISt17integral_constantIbLb1EESX_EEDaSS_ST_EUlSS_E_NS1_11comp_targetILNS1_3genE3ELNS1_11target_archE908ELNS1_3gpuE7ELNS1_3repE0EEENS1_30default_config_static_selectorELNS0_4arch9wavefront6targetE1EEEvT1_
		.amdhsa_group_segment_fixed_size 0
		.amdhsa_private_segment_fixed_size 0
		.amdhsa_kernarg_size 104
		.amdhsa_user_sgpr_count 6
		.amdhsa_user_sgpr_private_segment_buffer 1
		.amdhsa_user_sgpr_dispatch_ptr 0
		.amdhsa_user_sgpr_queue_ptr 0
		.amdhsa_user_sgpr_kernarg_segment_ptr 1
		.amdhsa_user_sgpr_dispatch_id 0
		.amdhsa_user_sgpr_flat_scratch_init 0
		.amdhsa_user_sgpr_kernarg_preload_length 0
		.amdhsa_user_sgpr_kernarg_preload_offset 0
		.amdhsa_user_sgpr_private_segment_size 0
		.amdhsa_uses_dynamic_stack 0
		.amdhsa_system_sgpr_private_segment_wavefront_offset 0
		.amdhsa_system_sgpr_workgroup_id_x 1
		.amdhsa_system_sgpr_workgroup_id_y 0
		.amdhsa_system_sgpr_workgroup_id_z 0
		.amdhsa_system_sgpr_workgroup_info 0
		.amdhsa_system_vgpr_workitem_id 0
		.amdhsa_next_free_vgpr 1
		.amdhsa_next_free_sgpr 0
		.amdhsa_accum_offset 4
		.amdhsa_reserve_vcc 0
		.amdhsa_reserve_flat_scratch 0
		.amdhsa_float_round_mode_32 0
		.amdhsa_float_round_mode_16_64 0
		.amdhsa_float_denorm_mode_32 3
		.amdhsa_float_denorm_mode_16_64 3
		.amdhsa_dx10_clamp 1
		.amdhsa_ieee_mode 1
		.amdhsa_fp16_overflow 0
		.amdhsa_tg_split 0
		.amdhsa_exception_fp_ieee_invalid_op 0
		.amdhsa_exception_fp_denorm_src 0
		.amdhsa_exception_fp_ieee_div_zero 0
		.amdhsa_exception_fp_ieee_overflow 0
		.amdhsa_exception_fp_ieee_underflow 0
		.amdhsa_exception_fp_ieee_inexact 0
		.amdhsa_exception_int_div_zero 0
	.end_amdhsa_kernel
	.section	.text._ZN7rocprim17ROCPRIM_400000_NS6detail17trampoline_kernelINS0_14default_configENS1_20scan_config_selectorIjEEZZNS1_9scan_implILNS1_25lookback_scan_determinismE0ELb1ELb1ES3_N6thrust23THRUST_200600_302600_NS6detail15normal_iteratorINS9_10device_ptrIjEEEENS9_16discard_iteratorINS9_11use_defaultEEEjNS9_4plusIvEEjEEDaPvRmT3_T4_T5_mT6_P12ihipStream_tbENKUlT_T0_E_clISt17integral_constantIbLb1EESX_EEDaSS_ST_EUlSS_E_NS1_11comp_targetILNS1_3genE3ELNS1_11target_archE908ELNS1_3gpuE7ELNS1_3repE0EEENS1_30default_config_static_selectorELNS0_4arch9wavefront6targetE1EEEvT1_,"axG",@progbits,_ZN7rocprim17ROCPRIM_400000_NS6detail17trampoline_kernelINS0_14default_configENS1_20scan_config_selectorIjEEZZNS1_9scan_implILNS1_25lookback_scan_determinismE0ELb1ELb1ES3_N6thrust23THRUST_200600_302600_NS6detail15normal_iteratorINS9_10device_ptrIjEEEENS9_16discard_iteratorINS9_11use_defaultEEEjNS9_4plusIvEEjEEDaPvRmT3_T4_T5_mT6_P12ihipStream_tbENKUlT_T0_E_clISt17integral_constantIbLb1EESX_EEDaSS_ST_EUlSS_E_NS1_11comp_targetILNS1_3genE3ELNS1_11target_archE908ELNS1_3gpuE7ELNS1_3repE0EEENS1_30default_config_static_selectorELNS0_4arch9wavefront6targetE1EEEvT1_,comdat
.Lfunc_end5387:
	.size	_ZN7rocprim17ROCPRIM_400000_NS6detail17trampoline_kernelINS0_14default_configENS1_20scan_config_selectorIjEEZZNS1_9scan_implILNS1_25lookback_scan_determinismE0ELb1ELb1ES3_N6thrust23THRUST_200600_302600_NS6detail15normal_iteratorINS9_10device_ptrIjEEEENS9_16discard_iteratorINS9_11use_defaultEEEjNS9_4plusIvEEjEEDaPvRmT3_T4_T5_mT6_P12ihipStream_tbENKUlT_T0_E_clISt17integral_constantIbLb1EESX_EEDaSS_ST_EUlSS_E_NS1_11comp_targetILNS1_3genE3ELNS1_11target_archE908ELNS1_3gpuE7ELNS1_3repE0EEENS1_30default_config_static_selectorELNS0_4arch9wavefront6targetE1EEEvT1_, .Lfunc_end5387-_ZN7rocprim17ROCPRIM_400000_NS6detail17trampoline_kernelINS0_14default_configENS1_20scan_config_selectorIjEEZZNS1_9scan_implILNS1_25lookback_scan_determinismE0ELb1ELb1ES3_N6thrust23THRUST_200600_302600_NS6detail15normal_iteratorINS9_10device_ptrIjEEEENS9_16discard_iteratorINS9_11use_defaultEEEjNS9_4plusIvEEjEEDaPvRmT3_T4_T5_mT6_P12ihipStream_tbENKUlT_T0_E_clISt17integral_constantIbLb1EESX_EEDaSS_ST_EUlSS_E_NS1_11comp_targetILNS1_3genE3ELNS1_11target_archE908ELNS1_3gpuE7ELNS1_3repE0EEENS1_30default_config_static_selectorELNS0_4arch9wavefront6targetE1EEEvT1_
                                        ; -- End function
	.section	.AMDGPU.csdata,"",@progbits
; Kernel info:
; codeLenInByte = 0
; NumSgprs: 4
; NumVgprs: 0
; NumAgprs: 0
; TotalNumVgprs: 0
; ScratchSize: 0
; MemoryBound: 0
; FloatMode: 240
; IeeeMode: 1
; LDSByteSize: 0 bytes/workgroup (compile time only)
; SGPRBlocks: 0
; VGPRBlocks: 0
; NumSGPRsForWavesPerEU: 4
; NumVGPRsForWavesPerEU: 1
; AccumOffset: 4
; Occupancy: 8
; WaveLimiterHint : 0
; COMPUTE_PGM_RSRC2:SCRATCH_EN: 0
; COMPUTE_PGM_RSRC2:USER_SGPR: 6
; COMPUTE_PGM_RSRC2:TRAP_HANDLER: 0
; COMPUTE_PGM_RSRC2:TGID_X_EN: 1
; COMPUTE_PGM_RSRC2:TGID_Y_EN: 0
; COMPUTE_PGM_RSRC2:TGID_Z_EN: 0
; COMPUTE_PGM_RSRC2:TIDIG_COMP_CNT: 0
; COMPUTE_PGM_RSRC3_GFX90A:ACCUM_OFFSET: 0
; COMPUTE_PGM_RSRC3_GFX90A:TG_SPLIT: 0
	.section	.text._ZN7rocprim17ROCPRIM_400000_NS6detail17trampoline_kernelINS0_14default_configENS1_20scan_config_selectorIjEEZZNS1_9scan_implILNS1_25lookback_scan_determinismE0ELb1ELb1ES3_N6thrust23THRUST_200600_302600_NS6detail15normal_iteratorINS9_10device_ptrIjEEEENS9_16discard_iteratorINS9_11use_defaultEEEjNS9_4plusIvEEjEEDaPvRmT3_T4_T5_mT6_P12ihipStream_tbENKUlT_T0_E_clISt17integral_constantIbLb1EESX_EEDaSS_ST_EUlSS_E_NS1_11comp_targetILNS1_3genE2ELNS1_11target_archE906ELNS1_3gpuE6ELNS1_3repE0EEENS1_30default_config_static_selectorELNS0_4arch9wavefront6targetE1EEEvT1_,"axG",@progbits,_ZN7rocprim17ROCPRIM_400000_NS6detail17trampoline_kernelINS0_14default_configENS1_20scan_config_selectorIjEEZZNS1_9scan_implILNS1_25lookback_scan_determinismE0ELb1ELb1ES3_N6thrust23THRUST_200600_302600_NS6detail15normal_iteratorINS9_10device_ptrIjEEEENS9_16discard_iteratorINS9_11use_defaultEEEjNS9_4plusIvEEjEEDaPvRmT3_T4_T5_mT6_P12ihipStream_tbENKUlT_T0_E_clISt17integral_constantIbLb1EESX_EEDaSS_ST_EUlSS_E_NS1_11comp_targetILNS1_3genE2ELNS1_11target_archE906ELNS1_3gpuE6ELNS1_3repE0EEENS1_30default_config_static_selectorELNS0_4arch9wavefront6targetE1EEEvT1_,comdat
	.protected	_ZN7rocprim17ROCPRIM_400000_NS6detail17trampoline_kernelINS0_14default_configENS1_20scan_config_selectorIjEEZZNS1_9scan_implILNS1_25lookback_scan_determinismE0ELb1ELb1ES3_N6thrust23THRUST_200600_302600_NS6detail15normal_iteratorINS9_10device_ptrIjEEEENS9_16discard_iteratorINS9_11use_defaultEEEjNS9_4plusIvEEjEEDaPvRmT3_T4_T5_mT6_P12ihipStream_tbENKUlT_T0_E_clISt17integral_constantIbLb1EESX_EEDaSS_ST_EUlSS_E_NS1_11comp_targetILNS1_3genE2ELNS1_11target_archE906ELNS1_3gpuE6ELNS1_3repE0EEENS1_30default_config_static_selectorELNS0_4arch9wavefront6targetE1EEEvT1_ ; -- Begin function _ZN7rocprim17ROCPRIM_400000_NS6detail17trampoline_kernelINS0_14default_configENS1_20scan_config_selectorIjEEZZNS1_9scan_implILNS1_25lookback_scan_determinismE0ELb1ELb1ES3_N6thrust23THRUST_200600_302600_NS6detail15normal_iteratorINS9_10device_ptrIjEEEENS9_16discard_iteratorINS9_11use_defaultEEEjNS9_4plusIvEEjEEDaPvRmT3_T4_T5_mT6_P12ihipStream_tbENKUlT_T0_E_clISt17integral_constantIbLb1EESX_EEDaSS_ST_EUlSS_E_NS1_11comp_targetILNS1_3genE2ELNS1_11target_archE906ELNS1_3gpuE6ELNS1_3repE0EEENS1_30default_config_static_selectorELNS0_4arch9wavefront6targetE1EEEvT1_
	.globl	_ZN7rocprim17ROCPRIM_400000_NS6detail17trampoline_kernelINS0_14default_configENS1_20scan_config_selectorIjEEZZNS1_9scan_implILNS1_25lookback_scan_determinismE0ELb1ELb1ES3_N6thrust23THRUST_200600_302600_NS6detail15normal_iteratorINS9_10device_ptrIjEEEENS9_16discard_iteratorINS9_11use_defaultEEEjNS9_4plusIvEEjEEDaPvRmT3_T4_T5_mT6_P12ihipStream_tbENKUlT_T0_E_clISt17integral_constantIbLb1EESX_EEDaSS_ST_EUlSS_E_NS1_11comp_targetILNS1_3genE2ELNS1_11target_archE906ELNS1_3gpuE6ELNS1_3repE0EEENS1_30default_config_static_selectorELNS0_4arch9wavefront6targetE1EEEvT1_
	.p2align	8
	.type	_ZN7rocprim17ROCPRIM_400000_NS6detail17trampoline_kernelINS0_14default_configENS1_20scan_config_selectorIjEEZZNS1_9scan_implILNS1_25lookback_scan_determinismE0ELb1ELb1ES3_N6thrust23THRUST_200600_302600_NS6detail15normal_iteratorINS9_10device_ptrIjEEEENS9_16discard_iteratorINS9_11use_defaultEEEjNS9_4plusIvEEjEEDaPvRmT3_T4_T5_mT6_P12ihipStream_tbENKUlT_T0_E_clISt17integral_constantIbLb1EESX_EEDaSS_ST_EUlSS_E_NS1_11comp_targetILNS1_3genE2ELNS1_11target_archE906ELNS1_3gpuE6ELNS1_3repE0EEENS1_30default_config_static_selectorELNS0_4arch9wavefront6targetE1EEEvT1_,@function
_ZN7rocprim17ROCPRIM_400000_NS6detail17trampoline_kernelINS0_14default_configENS1_20scan_config_selectorIjEEZZNS1_9scan_implILNS1_25lookback_scan_determinismE0ELb1ELb1ES3_N6thrust23THRUST_200600_302600_NS6detail15normal_iteratorINS9_10device_ptrIjEEEENS9_16discard_iteratorINS9_11use_defaultEEEjNS9_4plusIvEEjEEDaPvRmT3_T4_T5_mT6_P12ihipStream_tbENKUlT_T0_E_clISt17integral_constantIbLb1EESX_EEDaSS_ST_EUlSS_E_NS1_11comp_targetILNS1_3genE2ELNS1_11target_archE906ELNS1_3gpuE6ELNS1_3repE0EEENS1_30default_config_static_selectorELNS0_4arch9wavefront6targetE1EEEvT1_: ; @_ZN7rocprim17ROCPRIM_400000_NS6detail17trampoline_kernelINS0_14default_configENS1_20scan_config_selectorIjEEZZNS1_9scan_implILNS1_25lookback_scan_determinismE0ELb1ELb1ES3_N6thrust23THRUST_200600_302600_NS6detail15normal_iteratorINS9_10device_ptrIjEEEENS9_16discard_iteratorINS9_11use_defaultEEEjNS9_4plusIvEEjEEDaPvRmT3_T4_T5_mT6_P12ihipStream_tbENKUlT_T0_E_clISt17integral_constantIbLb1EESX_EEDaSS_ST_EUlSS_E_NS1_11comp_targetILNS1_3genE2ELNS1_11target_archE906ELNS1_3gpuE6ELNS1_3repE0EEENS1_30default_config_static_selectorELNS0_4arch9wavefront6targetE1EEEvT1_
; %bb.0:
	.section	.rodata,"a",@progbits
	.p2align	6, 0x0
	.amdhsa_kernel _ZN7rocprim17ROCPRIM_400000_NS6detail17trampoline_kernelINS0_14default_configENS1_20scan_config_selectorIjEEZZNS1_9scan_implILNS1_25lookback_scan_determinismE0ELb1ELb1ES3_N6thrust23THRUST_200600_302600_NS6detail15normal_iteratorINS9_10device_ptrIjEEEENS9_16discard_iteratorINS9_11use_defaultEEEjNS9_4plusIvEEjEEDaPvRmT3_T4_T5_mT6_P12ihipStream_tbENKUlT_T0_E_clISt17integral_constantIbLb1EESX_EEDaSS_ST_EUlSS_E_NS1_11comp_targetILNS1_3genE2ELNS1_11target_archE906ELNS1_3gpuE6ELNS1_3repE0EEENS1_30default_config_static_selectorELNS0_4arch9wavefront6targetE1EEEvT1_
		.amdhsa_group_segment_fixed_size 0
		.amdhsa_private_segment_fixed_size 0
		.amdhsa_kernarg_size 104
		.amdhsa_user_sgpr_count 6
		.amdhsa_user_sgpr_private_segment_buffer 1
		.amdhsa_user_sgpr_dispatch_ptr 0
		.amdhsa_user_sgpr_queue_ptr 0
		.amdhsa_user_sgpr_kernarg_segment_ptr 1
		.amdhsa_user_sgpr_dispatch_id 0
		.amdhsa_user_sgpr_flat_scratch_init 0
		.amdhsa_user_sgpr_kernarg_preload_length 0
		.amdhsa_user_sgpr_kernarg_preload_offset 0
		.amdhsa_user_sgpr_private_segment_size 0
		.amdhsa_uses_dynamic_stack 0
		.amdhsa_system_sgpr_private_segment_wavefront_offset 0
		.amdhsa_system_sgpr_workgroup_id_x 1
		.amdhsa_system_sgpr_workgroup_id_y 0
		.amdhsa_system_sgpr_workgroup_id_z 0
		.amdhsa_system_sgpr_workgroup_info 0
		.amdhsa_system_vgpr_workitem_id 0
		.amdhsa_next_free_vgpr 1
		.amdhsa_next_free_sgpr 0
		.amdhsa_accum_offset 4
		.amdhsa_reserve_vcc 0
		.amdhsa_reserve_flat_scratch 0
		.amdhsa_float_round_mode_32 0
		.amdhsa_float_round_mode_16_64 0
		.amdhsa_float_denorm_mode_32 3
		.amdhsa_float_denorm_mode_16_64 3
		.amdhsa_dx10_clamp 1
		.amdhsa_ieee_mode 1
		.amdhsa_fp16_overflow 0
		.amdhsa_tg_split 0
		.amdhsa_exception_fp_ieee_invalid_op 0
		.amdhsa_exception_fp_denorm_src 0
		.amdhsa_exception_fp_ieee_div_zero 0
		.amdhsa_exception_fp_ieee_overflow 0
		.amdhsa_exception_fp_ieee_underflow 0
		.amdhsa_exception_fp_ieee_inexact 0
		.amdhsa_exception_int_div_zero 0
	.end_amdhsa_kernel
	.section	.text._ZN7rocprim17ROCPRIM_400000_NS6detail17trampoline_kernelINS0_14default_configENS1_20scan_config_selectorIjEEZZNS1_9scan_implILNS1_25lookback_scan_determinismE0ELb1ELb1ES3_N6thrust23THRUST_200600_302600_NS6detail15normal_iteratorINS9_10device_ptrIjEEEENS9_16discard_iteratorINS9_11use_defaultEEEjNS9_4plusIvEEjEEDaPvRmT3_T4_T5_mT6_P12ihipStream_tbENKUlT_T0_E_clISt17integral_constantIbLb1EESX_EEDaSS_ST_EUlSS_E_NS1_11comp_targetILNS1_3genE2ELNS1_11target_archE906ELNS1_3gpuE6ELNS1_3repE0EEENS1_30default_config_static_selectorELNS0_4arch9wavefront6targetE1EEEvT1_,"axG",@progbits,_ZN7rocprim17ROCPRIM_400000_NS6detail17trampoline_kernelINS0_14default_configENS1_20scan_config_selectorIjEEZZNS1_9scan_implILNS1_25lookback_scan_determinismE0ELb1ELb1ES3_N6thrust23THRUST_200600_302600_NS6detail15normal_iteratorINS9_10device_ptrIjEEEENS9_16discard_iteratorINS9_11use_defaultEEEjNS9_4plusIvEEjEEDaPvRmT3_T4_T5_mT6_P12ihipStream_tbENKUlT_T0_E_clISt17integral_constantIbLb1EESX_EEDaSS_ST_EUlSS_E_NS1_11comp_targetILNS1_3genE2ELNS1_11target_archE906ELNS1_3gpuE6ELNS1_3repE0EEENS1_30default_config_static_selectorELNS0_4arch9wavefront6targetE1EEEvT1_,comdat
.Lfunc_end5388:
	.size	_ZN7rocprim17ROCPRIM_400000_NS6detail17trampoline_kernelINS0_14default_configENS1_20scan_config_selectorIjEEZZNS1_9scan_implILNS1_25lookback_scan_determinismE0ELb1ELb1ES3_N6thrust23THRUST_200600_302600_NS6detail15normal_iteratorINS9_10device_ptrIjEEEENS9_16discard_iteratorINS9_11use_defaultEEEjNS9_4plusIvEEjEEDaPvRmT3_T4_T5_mT6_P12ihipStream_tbENKUlT_T0_E_clISt17integral_constantIbLb1EESX_EEDaSS_ST_EUlSS_E_NS1_11comp_targetILNS1_3genE2ELNS1_11target_archE906ELNS1_3gpuE6ELNS1_3repE0EEENS1_30default_config_static_selectorELNS0_4arch9wavefront6targetE1EEEvT1_, .Lfunc_end5388-_ZN7rocprim17ROCPRIM_400000_NS6detail17trampoline_kernelINS0_14default_configENS1_20scan_config_selectorIjEEZZNS1_9scan_implILNS1_25lookback_scan_determinismE0ELb1ELb1ES3_N6thrust23THRUST_200600_302600_NS6detail15normal_iteratorINS9_10device_ptrIjEEEENS9_16discard_iteratorINS9_11use_defaultEEEjNS9_4plusIvEEjEEDaPvRmT3_T4_T5_mT6_P12ihipStream_tbENKUlT_T0_E_clISt17integral_constantIbLb1EESX_EEDaSS_ST_EUlSS_E_NS1_11comp_targetILNS1_3genE2ELNS1_11target_archE906ELNS1_3gpuE6ELNS1_3repE0EEENS1_30default_config_static_selectorELNS0_4arch9wavefront6targetE1EEEvT1_
                                        ; -- End function
	.section	.AMDGPU.csdata,"",@progbits
; Kernel info:
; codeLenInByte = 0
; NumSgprs: 4
; NumVgprs: 0
; NumAgprs: 0
; TotalNumVgprs: 0
; ScratchSize: 0
; MemoryBound: 0
; FloatMode: 240
; IeeeMode: 1
; LDSByteSize: 0 bytes/workgroup (compile time only)
; SGPRBlocks: 0
; VGPRBlocks: 0
; NumSGPRsForWavesPerEU: 4
; NumVGPRsForWavesPerEU: 1
; AccumOffset: 4
; Occupancy: 8
; WaveLimiterHint : 0
; COMPUTE_PGM_RSRC2:SCRATCH_EN: 0
; COMPUTE_PGM_RSRC2:USER_SGPR: 6
; COMPUTE_PGM_RSRC2:TRAP_HANDLER: 0
; COMPUTE_PGM_RSRC2:TGID_X_EN: 1
; COMPUTE_PGM_RSRC2:TGID_Y_EN: 0
; COMPUTE_PGM_RSRC2:TGID_Z_EN: 0
; COMPUTE_PGM_RSRC2:TIDIG_COMP_CNT: 0
; COMPUTE_PGM_RSRC3_GFX90A:ACCUM_OFFSET: 0
; COMPUTE_PGM_RSRC3_GFX90A:TG_SPLIT: 0
	.section	.text._ZN7rocprim17ROCPRIM_400000_NS6detail17trampoline_kernelINS0_14default_configENS1_20scan_config_selectorIjEEZZNS1_9scan_implILNS1_25lookback_scan_determinismE0ELb1ELb1ES3_N6thrust23THRUST_200600_302600_NS6detail15normal_iteratorINS9_10device_ptrIjEEEENS9_16discard_iteratorINS9_11use_defaultEEEjNS9_4plusIvEEjEEDaPvRmT3_T4_T5_mT6_P12ihipStream_tbENKUlT_T0_E_clISt17integral_constantIbLb1EESX_EEDaSS_ST_EUlSS_E_NS1_11comp_targetILNS1_3genE10ELNS1_11target_archE1201ELNS1_3gpuE5ELNS1_3repE0EEENS1_30default_config_static_selectorELNS0_4arch9wavefront6targetE1EEEvT1_,"axG",@progbits,_ZN7rocprim17ROCPRIM_400000_NS6detail17trampoline_kernelINS0_14default_configENS1_20scan_config_selectorIjEEZZNS1_9scan_implILNS1_25lookback_scan_determinismE0ELb1ELb1ES3_N6thrust23THRUST_200600_302600_NS6detail15normal_iteratorINS9_10device_ptrIjEEEENS9_16discard_iteratorINS9_11use_defaultEEEjNS9_4plusIvEEjEEDaPvRmT3_T4_T5_mT6_P12ihipStream_tbENKUlT_T0_E_clISt17integral_constantIbLb1EESX_EEDaSS_ST_EUlSS_E_NS1_11comp_targetILNS1_3genE10ELNS1_11target_archE1201ELNS1_3gpuE5ELNS1_3repE0EEENS1_30default_config_static_selectorELNS0_4arch9wavefront6targetE1EEEvT1_,comdat
	.protected	_ZN7rocprim17ROCPRIM_400000_NS6detail17trampoline_kernelINS0_14default_configENS1_20scan_config_selectorIjEEZZNS1_9scan_implILNS1_25lookback_scan_determinismE0ELb1ELb1ES3_N6thrust23THRUST_200600_302600_NS6detail15normal_iteratorINS9_10device_ptrIjEEEENS9_16discard_iteratorINS9_11use_defaultEEEjNS9_4plusIvEEjEEDaPvRmT3_T4_T5_mT6_P12ihipStream_tbENKUlT_T0_E_clISt17integral_constantIbLb1EESX_EEDaSS_ST_EUlSS_E_NS1_11comp_targetILNS1_3genE10ELNS1_11target_archE1201ELNS1_3gpuE5ELNS1_3repE0EEENS1_30default_config_static_selectorELNS0_4arch9wavefront6targetE1EEEvT1_ ; -- Begin function _ZN7rocprim17ROCPRIM_400000_NS6detail17trampoline_kernelINS0_14default_configENS1_20scan_config_selectorIjEEZZNS1_9scan_implILNS1_25lookback_scan_determinismE0ELb1ELb1ES3_N6thrust23THRUST_200600_302600_NS6detail15normal_iteratorINS9_10device_ptrIjEEEENS9_16discard_iteratorINS9_11use_defaultEEEjNS9_4plusIvEEjEEDaPvRmT3_T4_T5_mT6_P12ihipStream_tbENKUlT_T0_E_clISt17integral_constantIbLb1EESX_EEDaSS_ST_EUlSS_E_NS1_11comp_targetILNS1_3genE10ELNS1_11target_archE1201ELNS1_3gpuE5ELNS1_3repE0EEENS1_30default_config_static_selectorELNS0_4arch9wavefront6targetE1EEEvT1_
	.globl	_ZN7rocprim17ROCPRIM_400000_NS6detail17trampoline_kernelINS0_14default_configENS1_20scan_config_selectorIjEEZZNS1_9scan_implILNS1_25lookback_scan_determinismE0ELb1ELb1ES3_N6thrust23THRUST_200600_302600_NS6detail15normal_iteratorINS9_10device_ptrIjEEEENS9_16discard_iteratorINS9_11use_defaultEEEjNS9_4plusIvEEjEEDaPvRmT3_T4_T5_mT6_P12ihipStream_tbENKUlT_T0_E_clISt17integral_constantIbLb1EESX_EEDaSS_ST_EUlSS_E_NS1_11comp_targetILNS1_3genE10ELNS1_11target_archE1201ELNS1_3gpuE5ELNS1_3repE0EEENS1_30default_config_static_selectorELNS0_4arch9wavefront6targetE1EEEvT1_
	.p2align	8
	.type	_ZN7rocprim17ROCPRIM_400000_NS6detail17trampoline_kernelINS0_14default_configENS1_20scan_config_selectorIjEEZZNS1_9scan_implILNS1_25lookback_scan_determinismE0ELb1ELb1ES3_N6thrust23THRUST_200600_302600_NS6detail15normal_iteratorINS9_10device_ptrIjEEEENS9_16discard_iteratorINS9_11use_defaultEEEjNS9_4plusIvEEjEEDaPvRmT3_T4_T5_mT6_P12ihipStream_tbENKUlT_T0_E_clISt17integral_constantIbLb1EESX_EEDaSS_ST_EUlSS_E_NS1_11comp_targetILNS1_3genE10ELNS1_11target_archE1201ELNS1_3gpuE5ELNS1_3repE0EEENS1_30default_config_static_selectorELNS0_4arch9wavefront6targetE1EEEvT1_,@function
_ZN7rocprim17ROCPRIM_400000_NS6detail17trampoline_kernelINS0_14default_configENS1_20scan_config_selectorIjEEZZNS1_9scan_implILNS1_25lookback_scan_determinismE0ELb1ELb1ES3_N6thrust23THRUST_200600_302600_NS6detail15normal_iteratorINS9_10device_ptrIjEEEENS9_16discard_iteratorINS9_11use_defaultEEEjNS9_4plusIvEEjEEDaPvRmT3_T4_T5_mT6_P12ihipStream_tbENKUlT_T0_E_clISt17integral_constantIbLb1EESX_EEDaSS_ST_EUlSS_E_NS1_11comp_targetILNS1_3genE10ELNS1_11target_archE1201ELNS1_3gpuE5ELNS1_3repE0EEENS1_30default_config_static_selectorELNS0_4arch9wavefront6targetE1EEEvT1_: ; @_ZN7rocprim17ROCPRIM_400000_NS6detail17trampoline_kernelINS0_14default_configENS1_20scan_config_selectorIjEEZZNS1_9scan_implILNS1_25lookback_scan_determinismE0ELb1ELb1ES3_N6thrust23THRUST_200600_302600_NS6detail15normal_iteratorINS9_10device_ptrIjEEEENS9_16discard_iteratorINS9_11use_defaultEEEjNS9_4plusIvEEjEEDaPvRmT3_T4_T5_mT6_P12ihipStream_tbENKUlT_T0_E_clISt17integral_constantIbLb1EESX_EEDaSS_ST_EUlSS_E_NS1_11comp_targetILNS1_3genE10ELNS1_11target_archE1201ELNS1_3gpuE5ELNS1_3repE0EEENS1_30default_config_static_selectorELNS0_4arch9wavefront6targetE1EEEvT1_
; %bb.0:
	.section	.rodata,"a",@progbits
	.p2align	6, 0x0
	.amdhsa_kernel _ZN7rocprim17ROCPRIM_400000_NS6detail17trampoline_kernelINS0_14default_configENS1_20scan_config_selectorIjEEZZNS1_9scan_implILNS1_25lookback_scan_determinismE0ELb1ELb1ES3_N6thrust23THRUST_200600_302600_NS6detail15normal_iteratorINS9_10device_ptrIjEEEENS9_16discard_iteratorINS9_11use_defaultEEEjNS9_4plusIvEEjEEDaPvRmT3_T4_T5_mT6_P12ihipStream_tbENKUlT_T0_E_clISt17integral_constantIbLb1EESX_EEDaSS_ST_EUlSS_E_NS1_11comp_targetILNS1_3genE10ELNS1_11target_archE1201ELNS1_3gpuE5ELNS1_3repE0EEENS1_30default_config_static_selectorELNS0_4arch9wavefront6targetE1EEEvT1_
		.amdhsa_group_segment_fixed_size 0
		.amdhsa_private_segment_fixed_size 0
		.amdhsa_kernarg_size 104
		.amdhsa_user_sgpr_count 6
		.amdhsa_user_sgpr_private_segment_buffer 1
		.amdhsa_user_sgpr_dispatch_ptr 0
		.amdhsa_user_sgpr_queue_ptr 0
		.amdhsa_user_sgpr_kernarg_segment_ptr 1
		.amdhsa_user_sgpr_dispatch_id 0
		.amdhsa_user_sgpr_flat_scratch_init 0
		.amdhsa_user_sgpr_kernarg_preload_length 0
		.amdhsa_user_sgpr_kernarg_preload_offset 0
		.amdhsa_user_sgpr_private_segment_size 0
		.amdhsa_uses_dynamic_stack 0
		.amdhsa_system_sgpr_private_segment_wavefront_offset 0
		.amdhsa_system_sgpr_workgroup_id_x 1
		.amdhsa_system_sgpr_workgroup_id_y 0
		.amdhsa_system_sgpr_workgroup_id_z 0
		.amdhsa_system_sgpr_workgroup_info 0
		.amdhsa_system_vgpr_workitem_id 0
		.amdhsa_next_free_vgpr 1
		.amdhsa_next_free_sgpr 0
		.amdhsa_accum_offset 4
		.amdhsa_reserve_vcc 0
		.amdhsa_reserve_flat_scratch 0
		.amdhsa_float_round_mode_32 0
		.amdhsa_float_round_mode_16_64 0
		.amdhsa_float_denorm_mode_32 3
		.amdhsa_float_denorm_mode_16_64 3
		.amdhsa_dx10_clamp 1
		.amdhsa_ieee_mode 1
		.amdhsa_fp16_overflow 0
		.amdhsa_tg_split 0
		.amdhsa_exception_fp_ieee_invalid_op 0
		.amdhsa_exception_fp_denorm_src 0
		.amdhsa_exception_fp_ieee_div_zero 0
		.amdhsa_exception_fp_ieee_overflow 0
		.amdhsa_exception_fp_ieee_underflow 0
		.amdhsa_exception_fp_ieee_inexact 0
		.amdhsa_exception_int_div_zero 0
	.end_amdhsa_kernel
	.section	.text._ZN7rocprim17ROCPRIM_400000_NS6detail17trampoline_kernelINS0_14default_configENS1_20scan_config_selectorIjEEZZNS1_9scan_implILNS1_25lookback_scan_determinismE0ELb1ELb1ES3_N6thrust23THRUST_200600_302600_NS6detail15normal_iteratorINS9_10device_ptrIjEEEENS9_16discard_iteratorINS9_11use_defaultEEEjNS9_4plusIvEEjEEDaPvRmT3_T4_T5_mT6_P12ihipStream_tbENKUlT_T0_E_clISt17integral_constantIbLb1EESX_EEDaSS_ST_EUlSS_E_NS1_11comp_targetILNS1_3genE10ELNS1_11target_archE1201ELNS1_3gpuE5ELNS1_3repE0EEENS1_30default_config_static_selectorELNS0_4arch9wavefront6targetE1EEEvT1_,"axG",@progbits,_ZN7rocprim17ROCPRIM_400000_NS6detail17trampoline_kernelINS0_14default_configENS1_20scan_config_selectorIjEEZZNS1_9scan_implILNS1_25lookback_scan_determinismE0ELb1ELb1ES3_N6thrust23THRUST_200600_302600_NS6detail15normal_iteratorINS9_10device_ptrIjEEEENS9_16discard_iteratorINS9_11use_defaultEEEjNS9_4plusIvEEjEEDaPvRmT3_T4_T5_mT6_P12ihipStream_tbENKUlT_T0_E_clISt17integral_constantIbLb1EESX_EEDaSS_ST_EUlSS_E_NS1_11comp_targetILNS1_3genE10ELNS1_11target_archE1201ELNS1_3gpuE5ELNS1_3repE0EEENS1_30default_config_static_selectorELNS0_4arch9wavefront6targetE1EEEvT1_,comdat
.Lfunc_end5389:
	.size	_ZN7rocprim17ROCPRIM_400000_NS6detail17trampoline_kernelINS0_14default_configENS1_20scan_config_selectorIjEEZZNS1_9scan_implILNS1_25lookback_scan_determinismE0ELb1ELb1ES3_N6thrust23THRUST_200600_302600_NS6detail15normal_iteratorINS9_10device_ptrIjEEEENS9_16discard_iteratorINS9_11use_defaultEEEjNS9_4plusIvEEjEEDaPvRmT3_T4_T5_mT6_P12ihipStream_tbENKUlT_T0_E_clISt17integral_constantIbLb1EESX_EEDaSS_ST_EUlSS_E_NS1_11comp_targetILNS1_3genE10ELNS1_11target_archE1201ELNS1_3gpuE5ELNS1_3repE0EEENS1_30default_config_static_selectorELNS0_4arch9wavefront6targetE1EEEvT1_, .Lfunc_end5389-_ZN7rocprim17ROCPRIM_400000_NS6detail17trampoline_kernelINS0_14default_configENS1_20scan_config_selectorIjEEZZNS1_9scan_implILNS1_25lookback_scan_determinismE0ELb1ELb1ES3_N6thrust23THRUST_200600_302600_NS6detail15normal_iteratorINS9_10device_ptrIjEEEENS9_16discard_iteratorINS9_11use_defaultEEEjNS9_4plusIvEEjEEDaPvRmT3_T4_T5_mT6_P12ihipStream_tbENKUlT_T0_E_clISt17integral_constantIbLb1EESX_EEDaSS_ST_EUlSS_E_NS1_11comp_targetILNS1_3genE10ELNS1_11target_archE1201ELNS1_3gpuE5ELNS1_3repE0EEENS1_30default_config_static_selectorELNS0_4arch9wavefront6targetE1EEEvT1_
                                        ; -- End function
	.section	.AMDGPU.csdata,"",@progbits
; Kernel info:
; codeLenInByte = 0
; NumSgprs: 4
; NumVgprs: 0
; NumAgprs: 0
; TotalNumVgprs: 0
; ScratchSize: 0
; MemoryBound: 0
; FloatMode: 240
; IeeeMode: 1
; LDSByteSize: 0 bytes/workgroup (compile time only)
; SGPRBlocks: 0
; VGPRBlocks: 0
; NumSGPRsForWavesPerEU: 4
; NumVGPRsForWavesPerEU: 1
; AccumOffset: 4
; Occupancy: 8
; WaveLimiterHint : 0
; COMPUTE_PGM_RSRC2:SCRATCH_EN: 0
; COMPUTE_PGM_RSRC2:USER_SGPR: 6
; COMPUTE_PGM_RSRC2:TRAP_HANDLER: 0
; COMPUTE_PGM_RSRC2:TGID_X_EN: 1
; COMPUTE_PGM_RSRC2:TGID_Y_EN: 0
; COMPUTE_PGM_RSRC2:TGID_Z_EN: 0
; COMPUTE_PGM_RSRC2:TIDIG_COMP_CNT: 0
; COMPUTE_PGM_RSRC3_GFX90A:ACCUM_OFFSET: 0
; COMPUTE_PGM_RSRC3_GFX90A:TG_SPLIT: 0
	.section	.text._ZN7rocprim17ROCPRIM_400000_NS6detail17trampoline_kernelINS0_14default_configENS1_20scan_config_selectorIjEEZZNS1_9scan_implILNS1_25lookback_scan_determinismE0ELb1ELb1ES3_N6thrust23THRUST_200600_302600_NS6detail15normal_iteratorINS9_10device_ptrIjEEEENS9_16discard_iteratorINS9_11use_defaultEEEjNS9_4plusIvEEjEEDaPvRmT3_T4_T5_mT6_P12ihipStream_tbENKUlT_T0_E_clISt17integral_constantIbLb1EESX_EEDaSS_ST_EUlSS_E_NS1_11comp_targetILNS1_3genE10ELNS1_11target_archE1200ELNS1_3gpuE4ELNS1_3repE0EEENS1_30default_config_static_selectorELNS0_4arch9wavefront6targetE1EEEvT1_,"axG",@progbits,_ZN7rocprim17ROCPRIM_400000_NS6detail17trampoline_kernelINS0_14default_configENS1_20scan_config_selectorIjEEZZNS1_9scan_implILNS1_25lookback_scan_determinismE0ELb1ELb1ES3_N6thrust23THRUST_200600_302600_NS6detail15normal_iteratorINS9_10device_ptrIjEEEENS9_16discard_iteratorINS9_11use_defaultEEEjNS9_4plusIvEEjEEDaPvRmT3_T4_T5_mT6_P12ihipStream_tbENKUlT_T0_E_clISt17integral_constantIbLb1EESX_EEDaSS_ST_EUlSS_E_NS1_11comp_targetILNS1_3genE10ELNS1_11target_archE1200ELNS1_3gpuE4ELNS1_3repE0EEENS1_30default_config_static_selectorELNS0_4arch9wavefront6targetE1EEEvT1_,comdat
	.protected	_ZN7rocprim17ROCPRIM_400000_NS6detail17trampoline_kernelINS0_14default_configENS1_20scan_config_selectorIjEEZZNS1_9scan_implILNS1_25lookback_scan_determinismE0ELb1ELb1ES3_N6thrust23THRUST_200600_302600_NS6detail15normal_iteratorINS9_10device_ptrIjEEEENS9_16discard_iteratorINS9_11use_defaultEEEjNS9_4plusIvEEjEEDaPvRmT3_T4_T5_mT6_P12ihipStream_tbENKUlT_T0_E_clISt17integral_constantIbLb1EESX_EEDaSS_ST_EUlSS_E_NS1_11comp_targetILNS1_3genE10ELNS1_11target_archE1200ELNS1_3gpuE4ELNS1_3repE0EEENS1_30default_config_static_selectorELNS0_4arch9wavefront6targetE1EEEvT1_ ; -- Begin function _ZN7rocprim17ROCPRIM_400000_NS6detail17trampoline_kernelINS0_14default_configENS1_20scan_config_selectorIjEEZZNS1_9scan_implILNS1_25lookback_scan_determinismE0ELb1ELb1ES3_N6thrust23THRUST_200600_302600_NS6detail15normal_iteratorINS9_10device_ptrIjEEEENS9_16discard_iteratorINS9_11use_defaultEEEjNS9_4plusIvEEjEEDaPvRmT3_T4_T5_mT6_P12ihipStream_tbENKUlT_T0_E_clISt17integral_constantIbLb1EESX_EEDaSS_ST_EUlSS_E_NS1_11comp_targetILNS1_3genE10ELNS1_11target_archE1200ELNS1_3gpuE4ELNS1_3repE0EEENS1_30default_config_static_selectorELNS0_4arch9wavefront6targetE1EEEvT1_
	.globl	_ZN7rocprim17ROCPRIM_400000_NS6detail17trampoline_kernelINS0_14default_configENS1_20scan_config_selectorIjEEZZNS1_9scan_implILNS1_25lookback_scan_determinismE0ELb1ELb1ES3_N6thrust23THRUST_200600_302600_NS6detail15normal_iteratorINS9_10device_ptrIjEEEENS9_16discard_iteratorINS9_11use_defaultEEEjNS9_4plusIvEEjEEDaPvRmT3_T4_T5_mT6_P12ihipStream_tbENKUlT_T0_E_clISt17integral_constantIbLb1EESX_EEDaSS_ST_EUlSS_E_NS1_11comp_targetILNS1_3genE10ELNS1_11target_archE1200ELNS1_3gpuE4ELNS1_3repE0EEENS1_30default_config_static_selectorELNS0_4arch9wavefront6targetE1EEEvT1_
	.p2align	8
	.type	_ZN7rocprim17ROCPRIM_400000_NS6detail17trampoline_kernelINS0_14default_configENS1_20scan_config_selectorIjEEZZNS1_9scan_implILNS1_25lookback_scan_determinismE0ELb1ELb1ES3_N6thrust23THRUST_200600_302600_NS6detail15normal_iteratorINS9_10device_ptrIjEEEENS9_16discard_iteratorINS9_11use_defaultEEEjNS9_4plusIvEEjEEDaPvRmT3_T4_T5_mT6_P12ihipStream_tbENKUlT_T0_E_clISt17integral_constantIbLb1EESX_EEDaSS_ST_EUlSS_E_NS1_11comp_targetILNS1_3genE10ELNS1_11target_archE1200ELNS1_3gpuE4ELNS1_3repE0EEENS1_30default_config_static_selectorELNS0_4arch9wavefront6targetE1EEEvT1_,@function
_ZN7rocprim17ROCPRIM_400000_NS6detail17trampoline_kernelINS0_14default_configENS1_20scan_config_selectorIjEEZZNS1_9scan_implILNS1_25lookback_scan_determinismE0ELb1ELb1ES3_N6thrust23THRUST_200600_302600_NS6detail15normal_iteratorINS9_10device_ptrIjEEEENS9_16discard_iteratorINS9_11use_defaultEEEjNS9_4plusIvEEjEEDaPvRmT3_T4_T5_mT6_P12ihipStream_tbENKUlT_T0_E_clISt17integral_constantIbLb1EESX_EEDaSS_ST_EUlSS_E_NS1_11comp_targetILNS1_3genE10ELNS1_11target_archE1200ELNS1_3gpuE4ELNS1_3repE0EEENS1_30default_config_static_selectorELNS0_4arch9wavefront6targetE1EEEvT1_: ; @_ZN7rocprim17ROCPRIM_400000_NS6detail17trampoline_kernelINS0_14default_configENS1_20scan_config_selectorIjEEZZNS1_9scan_implILNS1_25lookback_scan_determinismE0ELb1ELb1ES3_N6thrust23THRUST_200600_302600_NS6detail15normal_iteratorINS9_10device_ptrIjEEEENS9_16discard_iteratorINS9_11use_defaultEEEjNS9_4plusIvEEjEEDaPvRmT3_T4_T5_mT6_P12ihipStream_tbENKUlT_T0_E_clISt17integral_constantIbLb1EESX_EEDaSS_ST_EUlSS_E_NS1_11comp_targetILNS1_3genE10ELNS1_11target_archE1200ELNS1_3gpuE4ELNS1_3repE0EEENS1_30default_config_static_selectorELNS0_4arch9wavefront6targetE1EEEvT1_
; %bb.0:
	.section	.rodata,"a",@progbits
	.p2align	6, 0x0
	.amdhsa_kernel _ZN7rocprim17ROCPRIM_400000_NS6detail17trampoline_kernelINS0_14default_configENS1_20scan_config_selectorIjEEZZNS1_9scan_implILNS1_25lookback_scan_determinismE0ELb1ELb1ES3_N6thrust23THRUST_200600_302600_NS6detail15normal_iteratorINS9_10device_ptrIjEEEENS9_16discard_iteratorINS9_11use_defaultEEEjNS9_4plusIvEEjEEDaPvRmT3_T4_T5_mT6_P12ihipStream_tbENKUlT_T0_E_clISt17integral_constantIbLb1EESX_EEDaSS_ST_EUlSS_E_NS1_11comp_targetILNS1_3genE10ELNS1_11target_archE1200ELNS1_3gpuE4ELNS1_3repE0EEENS1_30default_config_static_selectorELNS0_4arch9wavefront6targetE1EEEvT1_
		.amdhsa_group_segment_fixed_size 0
		.amdhsa_private_segment_fixed_size 0
		.amdhsa_kernarg_size 104
		.amdhsa_user_sgpr_count 6
		.amdhsa_user_sgpr_private_segment_buffer 1
		.amdhsa_user_sgpr_dispatch_ptr 0
		.amdhsa_user_sgpr_queue_ptr 0
		.amdhsa_user_sgpr_kernarg_segment_ptr 1
		.amdhsa_user_sgpr_dispatch_id 0
		.amdhsa_user_sgpr_flat_scratch_init 0
		.amdhsa_user_sgpr_kernarg_preload_length 0
		.amdhsa_user_sgpr_kernarg_preload_offset 0
		.amdhsa_user_sgpr_private_segment_size 0
		.amdhsa_uses_dynamic_stack 0
		.amdhsa_system_sgpr_private_segment_wavefront_offset 0
		.amdhsa_system_sgpr_workgroup_id_x 1
		.amdhsa_system_sgpr_workgroup_id_y 0
		.amdhsa_system_sgpr_workgroup_id_z 0
		.amdhsa_system_sgpr_workgroup_info 0
		.amdhsa_system_vgpr_workitem_id 0
		.amdhsa_next_free_vgpr 1
		.amdhsa_next_free_sgpr 0
		.amdhsa_accum_offset 4
		.amdhsa_reserve_vcc 0
		.amdhsa_reserve_flat_scratch 0
		.amdhsa_float_round_mode_32 0
		.amdhsa_float_round_mode_16_64 0
		.amdhsa_float_denorm_mode_32 3
		.amdhsa_float_denorm_mode_16_64 3
		.amdhsa_dx10_clamp 1
		.amdhsa_ieee_mode 1
		.amdhsa_fp16_overflow 0
		.amdhsa_tg_split 0
		.amdhsa_exception_fp_ieee_invalid_op 0
		.amdhsa_exception_fp_denorm_src 0
		.amdhsa_exception_fp_ieee_div_zero 0
		.amdhsa_exception_fp_ieee_overflow 0
		.amdhsa_exception_fp_ieee_underflow 0
		.amdhsa_exception_fp_ieee_inexact 0
		.amdhsa_exception_int_div_zero 0
	.end_amdhsa_kernel
	.section	.text._ZN7rocprim17ROCPRIM_400000_NS6detail17trampoline_kernelINS0_14default_configENS1_20scan_config_selectorIjEEZZNS1_9scan_implILNS1_25lookback_scan_determinismE0ELb1ELb1ES3_N6thrust23THRUST_200600_302600_NS6detail15normal_iteratorINS9_10device_ptrIjEEEENS9_16discard_iteratorINS9_11use_defaultEEEjNS9_4plusIvEEjEEDaPvRmT3_T4_T5_mT6_P12ihipStream_tbENKUlT_T0_E_clISt17integral_constantIbLb1EESX_EEDaSS_ST_EUlSS_E_NS1_11comp_targetILNS1_3genE10ELNS1_11target_archE1200ELNS1_3gpuE4ELNS1_3repE0EEENS1_30default_config_static_selectorELNS0_4arch9wavefront6targetE1EEEvT1_,"axG",@progbits,_ZN7rocprim17ROCPRIM_400000_NS6detail17trampoline_kernelINS0_14default_configENS1_20scan_config_selectorIjEEZZNS1_9scan_implILNS1_25lookback_scan_determinismE0ELb1ELb1ES3_N6thrust23THRUST_200600_302600_NS6detail15normal_iteratorINS9_10device_ptrIjEEEENS9_16discard_iteratorINS9_11use_defaultEEEjNS9_4plusIvEEjEEDaPvRmT3_T4_T5_mT6_P12ihipStream_tbENKUlT_T0_E_clISt17integral_constantIbLb1EESX_EEDaSS_ST_EUlSS_E_NS1_11comp_targetILNS1_3genE10ELNS1_11target_archE1200ELNS1_3gpuE4ELNS1_3repE0EEENS1_30default_config_static_selectorELNS0_4arch9wavefront6targetE1EEEvT1_,comdat
.Lfunc_end5390:
	.size	_ZN7rocprim17ROCPRIM_400000_NS6detail17trampoline_kernelINS0_14default_configENS1_20scan_config_selectorIjEEZZNS1_9scan_implILNS1_25lookback_scan_determinismE0ELb1ELb1ES3_N6thrust23THRUST_200600_302600_NS6detail15normal_iteratorINS9_10device_ptrIjEEEENS9_16discard_iteratorINS9_11use_defaultEEEjNS9_4plusIvEEjEEDaPvRmT3_T4_T5_mT6_P12ihipStream_tbENKUlT_T0_E_clISt17integral_constantIbLb1EESX_EEDaSS_ST_EUlSS_E_NS1_11comp_targetILNS1_3genE10ELNS1_11target_archE1200ELNS1_3gpuE4ELNS1_3repE0EEENS1_30default_config_static_selectorELNS0_4arch9wavefront6targetE1EEEvT1_, .Lfunc_end5390-_ZN7rocprim17ROCPRIM_400000_NS6detail17trampoline_kernelINS0_14default_configENS1_20scan_config_selectorIjEEZZNS1_9scan_implILNS1_25lookback_scan_determinismE0ELb1ELb1ES3_N6thrust23THRUST_200600_302600_NS6detail15normal_iteratorINS9_10device_ptrIjEEEENS9_16discard_iteratorINS9_11use_defaultEEEjNS9_4plusIvEEjEEDaPvRmT3_T4_T5_mT6_P12ihipStream_tbENKUlT_T0_E_clISt17integral_constantIbLb1EESX_EEDaSS_ST_EUlSS_E_NS1_11comp_targetILNS1_3genE10ELNS1_11target_archE1200ELNS1_3gpuE4ELNS1_3repE0EEENS1_30default_config_static_selectorELNS0_4arch9wavefront6targetE1EEEvT1_
                                        ; -- End function
	.section	.AMDGPU.csdata,"",@progbits
; Kernel info:
; codeLenInByte = 0
; NumSgprs: 4
; NumVgprs: 0
; NumAgprs: 0
; TotalNumVgprs: 0
; ScratchSize: 0
; MemoryBound: 0
; FloatMode: 240
; IeeeMode: 1
; LDSByteSize: 0 bytes/workgroup (compile time only)
; SGPRBlocks: 0
; VGPRBlocks: 0
; NumSGPRsForWavesPerEU: 4
; NumVGPRsForWavesPerEU: 1
; AccumOffset: 4
; Occupancy: 8
; WaveLimiterHint : 0
; COMPUTE_PGM_RSRC2:SCRATCH_EN: 0
; COMPUTE_PGM_RSRC2:USER_SGPR: 6
; COMPUTE_PGM_RSRC2:TRAP_HANDLER: 0
; COMPUTE_PGM_RSRC2:TGID_X_EN: 1
; COMPUTE_PGM_RSRC2:TGID_Y_EN: 0
; COMPUTE_PGM_RSRC2:TGID_Z_EN: 0
; COMPUTE_PGM_RSRC2:TIDIG_COMP_CNT: 0
; COMPUTE_PGM_RSRC3_GFX90A:ACCUM_OFFSET: 0
; COMPUTE_PGM_RSRC3_GFX90A:TG_SPLIT: 0
	.section	.text._ZN7rocprim17ROCPRIM_400000_NS6detail17trampoline_kernelINS0_14default_configENS1_20scan_config_selectorIjEEZZNS1_9scan_implILNS1_25lookback_scan_determinismE0ELb1ELb1ES3_N6thrust23THRUST_200600_302600_NS6detail15normal_iteratorINS9_10device_ptrIjEEEENS9_16discard_iteratorINS9_11use_defaultEEEjNS9_4plusIvEEjEEDaPvRmT3_T4_T5_mT6_P12ihipStream_tbENKUlT_T0_E_clISt17integral_constantIbLb1EESX_EEDaSS_ST_EUlSS_E_NS1_11comp_targetILNS1_3genE9ELNS1_11target_archE1100ELNS1_3gpuE3ELNS1_3repE0EEENS1_30default_config_static_selectorELNS0_4arch9wavefront6targetE1EEEvT1_,"axG",@progbits,_ZN7rocprim17ROCPRIM_400000_NS6detail17trampoline_kernelINS0_14default_configENS1_20scan_config_selectorIjEEZZNS1_9scan_implILNS1_25lookback_scan_determinismE0ELb1ELb1ES3_N6thrust23THRUST_200600_302600_NS6detail15normal_iteratorINS9_10device_ptrIjEEEENS9_16discard_iteratorINS9_11use_defaultEEEjNS9_4plusIvEEjEEDaPvRmT3_T4_T5_mT6_P12ihipStream_tbENKUlT_T0_E_clISt17integral_constantIbLb1EESX_EEDaSS_ST_EUlSS_E_NS1_11comp_targetILNS1_3genE9ELNS1_11target_archE1100ELNS1_3gpuE3ELNS1_3repE0EEENS1_30default_config_static_selectorELNS0_4arch9wavefront6targetE1EEEvT1_,comdat
	.protected	_ZN7rocprim17ROCPRIM_400000_NS6detail17trampoline_kernelINS0_14default_configENS1_20scan_config_selectorIjEEZZNS1_9scan_implILNS1_25lookback_scan_determinismE0ELb1ELb1ES3_N6thrust23THRUST_200600_302600_NS6detail15normal_iteratorINS9_10device_ptrIjEEEENS9_16discard_iteratorINS9_11use_defaultEEEjNS9_4plusIvEEjEEDaPvRmT3_T4_T5_mT6_P12ihipStream_tbENKUlT_T0_E_clISt17integral_constantIbLb1EESX_EEDaSS_ST_EUlSS_E_NS1_11comp_targetILNS1_3genE9ELNS1_11target_archE1100ELNS1_3gpuE3ELNS1_3repE0EEENS1_30default_config_static_selectorELNS0_4arch9wavefront6targetE1EEEvT1_ ; -- Begin function _ZN7rocprim17ROCPRIM_400000_NS6detail17trampoline_kernelINS0_14default_configENS1_20scan_config_selectorIjEEZZNS1_9scan_implILNS1_25lookback_scan_determinismE0ELb1ELb1ES3_N6thrust23THRUST_200600_302600_NS6detail15normal_iteratorINS9_10device_ptrIjEEEENS9_16discard_iteratorINS9_11use_defaultEEEjNS9_4plusIvEEjEEDaPvRmT3_T4_T5_mT6_P12ihipStream_tbENKUlT_T0_E_clISt17integral_constantIbLb1EESX_EEDaSS_ST_EUlSS_E_NS1_11comp_targetILNS1_3genE9ELNS1_11target_archE1100ELNS1_3gpuE3ELNS1_3repE0EEENS1_30default_config_static_selectorELNS0_4arch9wavefront6targetE1EEEvT1_
	.globl	_ZN7rocprim17ROCPRIM_400000_NS6detail17trampoline_kernelINS0_14default_configENS1_20scan_config_selectorIjEEZZNS1_9scan_implILNS1_25lookback_scan_determinismE0ELb1ELb1ES3_N6thrust23THRUST_200600_302600_NS6detail15normal_iteratorINS9_10device_ptrIjEEEENS9_16discard_iteratorINS9_11use_defaultEEEjNS9_4plusIvEEjEEDaPvRmT3_T4_T5_mT6_P12ihipStream_tbENKUlT_T0_E_clISt17integral_constantIbLb1EESX_EEDaSS_ST_EUlSS_E_NS1_11comp_targetILNS1_3genE9ELNS1_11target_archE1100ELNS1_3gpuE3ELNS1_3repE0EEENS1_30default_config_static_selectorELNS0_4arch9wavefront6targetE1EEEvT1_
	.p2align	8
	.type	_ZN7rocprim17ROCPRIM_400000_NS6detail17trampoline_kernelINS0_14default_configENS1_20scan_config_selectorIjEEZZNS1_9scan_implILNS1_25lookback_scan_determinismE0ELb1ELb1ES3_N6thrust23THRUST_200600_302600_NS6detail15normal_iteratorINS9_10device_ptrIjEEEENS9_16discard_iteratorINS9_11use_defaultEEEjNS9_4plusIvEEjEEDaPvRmT3_T4_T5_mT6_P12ihipStream_tbENKUlT_T0_E_clISt17integral_constantIbLb1EESX_EEDaSS_ST_EUlSS_E_NS1_11comp_targetILNS1_3genE9ELNS1_11target_archE1100ELNS1_3gpuE3ELNS1_3repE0EEENS1_30default_config_static_selectorELNS0_4arch9wavefront6targetE1EEEvT1_,@function
_ZN7rocprim17ROCPRIM_400000_NS6detail17trampoline_kernelINS0_14default_configENS1_20scan_config_selectorIjEEZZNS1_9scan_implILNS1_25lookback_scan_determinismE0ELb1ELb1ES3_N6thrust23THRUST_200600_302600_NS6detail15normal_iteratorINS9_10device_ptrIjEEEENS9_16discard_iteratorINS9_11use_defaultEEEjNS9_4plusIvEEjEEDaPvRmT3_T4_T5_mT6_P12ihipStream_tbENKUlT_T0_E_clISt17integral_constantIbLb1EESX_EEDaSS_ST_EUlSS_E_NS1_11comp_targetILNS1_3genE9ELNS1_11target_archE1100ELNS1_3gpuE3ELNS1_3repE0EEENS1_30default_config_static_selectorELNS0_4arch9wavefront6targetE1EEEvT1_: ; @_ZN7rocprim17ROCPRIM_400000_NS6detail17trampoline_kernelINS0_14default_configENS1_20scan_config_selectorIjEEZZNS1_9scan_implILNS1_25lookback_scan_determinismE0ELb1ELb1ES3_N6thrust23THRUST_200600_302600_NS6detail15normal_iteratorINS9_10device_ptrIjEEEENS9_16discard_iteratorINS9_11use_defaultEEEjNS9_4plusIvEEjEEDaPvRmT3_T4_T5_mT6_P12ihipStream_tbENKUlT_T0_E_clISt17integral_constantIbLb1EESX_EEDaSS_ST_EUlSS_E_NS1_11comp_targetILNS1_3genE9ELNS1_11target_archE1100ELNS1_3gpuE3ELNS1_3repE0EEENS1_30default_config_static_selectorELNS0_4arch9wavefront6targetE1EEEvT1_
; %bb.0:
	.section	.rodata,"a",@progbits
	.p2align	6, 0x0
	.amdhsa_kernel _ZN7rocprim17ROCPRIM_400000_NS6detail17trampoline_kernelINS0_14default_configENS1_20scan_config_selectorIjEEZZNS1_9scan_implILNS1_25lookback_scan_determinismE0ELb1ELb1ES3_N6thrust23THRUST_200600_302600_NS6detail15normal_iteratorINS9_10device_ptrIjEEEENS9_16discard_iteratorINS9_11use_defaultEEEjNS9_4plusIvEEjEEDaPvRmT3_T4_T5_mT6_P12ihipStream_tbENKUlT_T0_E_clISt17integral_constantIbLb1EESX_EEDaSS_ST_EUlSS_E_NS1_11comp_targetILNS1_3genE9ELNS1_11target_archE1100ELNS1_3gpuE3ELNS1_3repE0EEENS1_30default_config_static_selectorELNS0_4arch9wavefront6targetE1EEEvT1_
		.amdhsa_group_segment_fixed_size 0
		.amdhsa_private_segment_fixed_size 0
		.amdhsa_kernarg_size 104
		.amdhsa_user_sgpr_count 6
		.amdhsa_user_sgpr_private_segment_buffer 1
		.amdhsa_user_sgpr_dispatch_ptr 0
		.amdhsa_user_sgpr_queue_ptr 0
		.amdhsa_user_sgpr_kernarg_segment_ptr 1
		.amdhsa_user_sgpr_dispatch_id 0
		.amdhsa_user_sgpr_flat_scratch_init 0
		.amdhsa_user_sgpr_kernarg_preload_length 0
		.amdhsa_user_sgpr_kernarg_preload_offset 0
		.amdhsa_user_sgpr_private_segment_size 0
		.amdhsa_uses_dynamic_stack 0
		.amdhsa_system_sgpr_private_segment_wavefront_offset 0
		.amdhsa_system_sgpr_workgroup_id_x 1
		.amdhsa_system_sgpr_workgroup_id_y 0
		.amdhsa_system_sgpr_workgroup_id_z 0
		.amdhsa_system_sgpr_workgroup_info 0
		.amdhsa_system_vgpr_workitem_id 0
		.amdhsa_next_free_vgpr 1
		.amdhsa_next_free_sgpr 0
		.amdhsa_accum_offset 4
		.amdhsa_reserve_vcc 0
		.amdhsa_reserve_flat_scratch 0
		.amdhsa_float_round_mode_32 0
		.amdhsa_float_round_mode_16_64 0
		.amdhsa_float_denorm_mode_32 3
		.amdhsa_float_denorm_mode_16_64 3
		.amdhsa_dx10_clamp 1
		.amdhsa_ieee_mode 1
		.amdhsa_fp16_overflow 0
		.amdhsa_tg_split 0
		.amdhsa_exception_fp_ieee_invalid_op 0
		.amdhsa_exception_fp_denorm_src 0
		.amdhsa_exception_fp_ieee_div_zero 0
		.amdhsa_exception_fp_ieee_overflow 0
		.amdhsa_exception_fp_ieee_underflow 0
		.amdhsa_exception_fp_ieee_inexact 0
		.amdhsa_exception_int_div_zero 0
	.end_amdhsa_kernel
	.section	.text._ZN7rocprim17ROCPRIM_400000_NS6detail17trampoline_kernelINS0_14default_configENS1_20scan_config_selectorIjEEZZNS1_9scan_implILNS1_25lookback_scan_determinismE0ELb1ELb1ES3_N6thrust23THRUST_200600_302600_NS6detail15normal_iteratorINS9_10device_ptrIjEEEENS9_16discard_iteratorINS9_11use_defaultEEEjNS9_4plusIvEEjEEDaPvRmT3_T4_T5_mT6_P12ihipStream_tbENKUlT_T0_E_clISt17integral_constantIbLb1EESX_EEDaSS_ST_EUlSS_E_NS1_11comp_targetILNS1_3genE9ELNS1_11target_archE1100ELNS1_3gpuE3ELNS1_3repE0EEENS1_30default_config_static_selectorELNS0_4arch9wavefront6targetE1EEEvT1_,"axG",@progbits,_ZN7rocprim17ROCPRIM_400000_NS6detail17trampoline_kernelINS0_14default_configENS1_20scan_config_selectorIjEEZZNS1_9scan_implILNS1_25lookback_scan_determinismE0ELb1ELb1ES3_N6thrust23THRUST_200600_302600_NS6detail15normal_iteratorINS9_10device_ptrIjEEEENS9_16discard_iteratorINS9_11use_defaultEEEjNS9_4plusIvEEjEEDaPvRmT3_T4_T5_mT6_P12ihipStream_tbENKUlT_T0_E_clISt17integral_constantIbLb1EESX_EEDaSS_ST_EUlSS_E_NS1_11comp_targetILNS1_3genE9ELNS1_11target_archE1100ELNS1_3gpuE3ELNS1_3repE0EEENS1_30default_config_static_selectorELNS0_4arch9wavefront6targetE1EEEvT1_,comdat
.Lfunc_end5391:
	.size	_ZN7rocprim17ROCPRIM_400000_NS6detail17trampoline_kernelINS0_14default_configENS1_20scan_config_selectorIjEEZZNS1_9scan_implILNS1_25lookback_scan_determinismE0ELb1ELb1ES3_N6thrust23THRUST_200600_302600_NS6detail15normal_iteratorINS9_10device_ptrIjEEEENS9_16discard_iteratorINS9_11use_defaultEEEjNS9_4plusIvEEjEEDaPvRmT3_T4_T5_mT6_P12ihipStream_tbENKUlT_T0_E_clISt17integral_constantIbLb1EESX_EEDaSS_ST_EUlSS_E_NS1_11comp_targetILNS1_3genE9ELNS1_11target_archE1100ELNS1_3gpuE3ELNS1_3repE0EEENS1_30default_config_static_selectorELNS0_4arch9wavefront6targetE1EEEvT1_, .Lfunc_end5391-_ZN7rocprim17ROCPRIM_400000_NS6detail17trampoline_kernelINS0_14default_configENS1_20scan_config_selectorIjEEZZNS1_9scan_implILNS1_25lookback_scan_determinismE0ELb1ELb1ES3_N6thrust23THRUST_200600_302600_NS6detail15normal_iteratorINS9_10device_ptrIjEEEENS9_16discard_iteratorINS9_11use_defaultEEEjNS9_4plusIvEEjEEDaPvRmT3_T4_T5_mT6_P12ihipStream_tbENKUlT_T0_E_clISt17integral_constantIbLb1EESX_EEDaSS_ST_EUlSS_E_NS1_11comp_targetILNS1_3genE9ELNS1_11target_archE1100ELNS1_3gpuE3ELNS1_3repE0EEENS1_30default_config_static_selectorELNS0_4arch9wavefront6targetE1EEEvT1_
                                        ; -- End function
	.section	.AMDGPU.csdata,"",@progbits
; Kernel info:
; codeLenInByte = 0
; NumSgprs: 4
; NumVgprs: 0
; NumAgprs: 0
; TotalNumVgprs: 0
; ScratchSize: 0
; MemoryBound: 0
; FloatMode: 240
; IeeeMode: 1
; LDSByteSize: 0 bytes/workgroup (compile time only)
; SGPRBlocks: 0
; VGPRBlocks: 0
; NumSGPRsForWavesPerEU: 4
; NumVGPRsForWavesPerEU: 1
; AccumOffset: 4
; Occupancy: 8
; WaveLimiterHint : 0
; COMPUTE_PGM_RSRC2:SCRATCH_EN: 0
; COMPUTE_PGM_RSRC2:USER_SGPR: 6
; COMPUTE_PGM_RSRC2:TRAP_HANDLER: 0
; COMPUTE_PGM_RSRC2:TGID_X_EN: 1
; COMPUTE_PGM_RSRC2:TGID_Y_EN: 0
; COMPUTE_PGM_RSRC2:TGID_Z_EN: 0
; COMPUTE_PGM_RSRC2:TIDIG_COMP_CNT: 0
; COMPUTE_PGM_RSRC3_GFX90A:ACCUM_OFFSET: 0
; COMPUTE_PGM_RSRC3_GFX90A:TG_SPLIT: 0
	.section	.text._ZN7rocprim17ROCPRIM_400000_NS6detail17trampoline_kernelINS0_14default_configENS1_20scan_config_selectorIjEEZZNS1_9scan_implILNS1_25lookback_scan_determinismE0ELb1ELb1ES3_N6thrust23THRUST_200600_302600_NS6detail15normal_iteratorINS9_10device_ptrIjEEEENS9_16discard_iteratorINS9_11use_defaultEEEjNS9_4plusIvEEjEEDaPvRmT3_T4_T5_mT6_P12ihipStream_tbENKUlT_T0_E_clISt17integral_constantIbLb1EESX_EEDaSS_ST_EUlSS_E_NS1_11comp_targetILNS1_3genE8ELNS1_11target_archE1030ELNS1_3gpuE2ELNS1_3repE0EEENS1_30default_config_static_selectorELNS0_4arch9wavefront6targetE1EEEvT1_,"axG",@progbits,_ZN7rocprim17ROCPRIM_400000_NS6detail17trampoline_kernelINS0_14default_configENS1_20scan_config_selectorIjEEZZNS1_9scan_implILNS1_25lookback_scan_determinismE0ELb1ELb1ES3_N6thrust23THRUST_200600_302600_NS6detail15normal_iteratorINS9_10device_ptrIjEEEENS9_16discard_iteratorINS9_11use_defaultEEEjNS9_4plusIvEEjEEDaPvRmT3_T4_T5_mT6_P12ihipStream_tbENKUlT_T0_E_clISt17integral_constantIbLb1EESX_EEDaSS_ST_EUlSS_E_NS1_11comp_targetILNS1_3genE8ELNS1_11target_archE1030ELNS1_3gpuE2ELNS1_3repE0EEENS1_30default_config_static_selectorELNS0_4arch9wavefront6targetE1EEEvT1_,comdat
	.protected	_ZN7rocprim17ROCPRIM_400000_NS6detail17trampoline_kernelINS0_14default_configENS1_20scan_config_selectorIjEEZZNS1_9scan_implILNS1_25lookback_scan_determinismE0ELb1ELb1ES3_N6thrust23THRUST_200600_302600_NS6detail15normal_iteratorINS9_10device_ptrIjEEEENS9_16discard_iteratorINS9_11use_defaultEEEjNS9_4plusIvEEjEEDaPvRmT3_T4_T5_mT6_P12ihipStream_tbENKUlT_T0_E_clISt17integral_constantIbLb1EESX_EEDaSS_ST_EUlSS_E_NS1_11comp_targetILNS1_3genE8ELNS1_11target_archE1030ELNS1_3gpuE2ELNS1_3repE0EEENS1_30default_config_static_selectorELNS0_4arch9wavefront6targetE1EEEvT1_ ; -- Begin function _ZN7rocprim17ROCPRIM_400000_NS6detail17trampoline_kernelINS0_14default_configENS1_20scan_config_selectorIjEEZZNS1_9scan_implILNS1_25lookback_scan_determinismE0ELb1ELb1ES3_N6thrust23THRUST_200600_302600_NS6detail15normal_iteratorINS9_10device_ptrIjEEEENS9_16discard_iteratorINS9_11use_defaultEEEjNS9_4plusIvEEjEEDaPvRmT3_T4_T5_mT6_P12ihipStream_tbENKUlT_T0_E_clISt17integral_constantIbLb1EESX_EEDaSS_ST_EUlSS_E_NS1_11comp_targetILNS1_3genE8ELNS1_11target_archE1030ELNS1_3gpuE2ELNS1_3repE0EEENS1_30default_config_static_selectorELNS0_4arch9wavefront6targetE1EEEvT1_
	.globl	_ZN7rocprim17ROCPRIM_400000_NS6detail17trampoline_kernelINS0_14default_configENS1_20scan_config_selectorIjEEZZNS1_9scan_implILNS1_25lookback_scan_determinismE0ELb1ELb1ES3_N6thrust23THRUST_200600_302600_NS6detail15normal_iteratorINS9_10device_ptrIjEEEENS9_16discard_iteratorINS9_11use_defaultEEEjNS9_4plusIvEEjEEDaPvRmT3_T4_T5_mT6_P12ihipStream_tbENKUlT_T0_E_clISt17integral_constantIbLb1EESX_EEDaSS_ST_EUlSS_E_NS1_11comp_targetILNS1_3genE8ELNS1_11target_archE1030ELNS1_3gpuE2ELNS1_3repE0EEENS1_30default_config_static_selectorELNS0_4arch9wavefront6targetE1EEEvT1_
	.p2align	8
	.type	_ZN7rocprim17ROCPRIM_400000_NS6detail17trampoline_kernelINS0_14default_configENS1_20scan_config_selectorIjEEZZNS1_9scan_implILNS1_25lookback_scan_determinismE0ELb1ELb1ES3_N6thrust23THRUST_200600_302600_NS6detail15normal_iteratorINS9_10device_ptrIjEEEENS9_16discard_iteratorINS9_11use_defaultEEEjNS9_4plusIvEEjEEDaPvRmT3_T4_T5_mT6_P12ihipStream_tbENKUlT_T0_E_clISt17integral_constantIbLb1EESX_EEDaSS_ST_EUlSS_E_NS1_11comp_targetILNS1_3genE8ELNS1_11target_archE1030ELNS1_3gpuE2ELNS1_3repE0EEENS1_30default_config_static_selectorELNS0_4arch9wavefront6targetE1EEEvT1_,@function
_ZN7rocprim17ROCPRIM_400000_NS6detail17trampoline_kernelINS0_14default_configENS1_20scan_config_selectorIjEEZZNS1_9scan_implILNS1_25lookback_scan_determinismE0ELb1ELb1ES3_N6thrust23THRUST_200600_302600_NS6detail15normal_iteratorINS9_10device_ptrIjEEEENS9_16discard_iteratorINS9_11use_defaultEEEjNS9_4plusIvEEjEEDaPvRmT3_T4_T5_mT6_P12ihipStream_tbENKUlT_T0_E_clISt17integral_constantIbLb1EESX_EEDaSS_ST_EUlSS_E_NS1_11comp_targetILNS1_3genE8ELNS1_11target_archE1030ELNS1_3gpuE2ELNS1_3repE0EEENS1_30default_config_static_selectorELNS0_4arch9wavefront6targetE1EEEvT1_: ; @_ZN7rocprim17ROCPRIM_400000_NS6detail17trampoline_kernelINS0_14default_configENS1_20scan_config_selectorIjEEZZNS1_9scan_implILNS1_25lookback_scan_determinismE0ELb1ELb1ES3_N6thrust23THRUST_200600_302600_NS6detail15normal_iteratorINS9_10device_ptrIjEEEENS9_16discard_iteratorINS9_11use_defaultEEEjNS9_4plusIvEEjEEDaPvRmT3_T4_T5_mT6_P12ihipStream_tbENKUlT_T0_E_clISt17integral_constantIbLb1EESX_EEDaSS_ST_EUlSS_E_NS1_11comp_targetILNS1_3genE8ELNS1_11target_archE1030ELNS1_3gpuE2ELNS1_3repE0EEENS1_30default_config_static_selectorELNS0_4arch9wavefront6targetE1EEEvT1_
; %bb.0:
	.section	.rodata,"a",@progbits
	.p2align	6, 0x0
	.amdhsa_kernel _ZN7rocprim17ROCPRIM_400000_NS6detail17trampoline_kernelINS0_14default_configENS1_20scan_config_selectorIjEEZZNS1_9scan_implILNS1_25lookback_scan_determinismE0ELb1ELb1ES3_N6thrust23THRUST_200600_302600_NS6detail15normal_iteratorINS9_10device_ptrIjEEEENS9_16discard_iteratorINS9_11use_defaultEEEjNS9_4plusIvEEjEEDaPvRmT3_T4_T5_mT6_P12ihipStream_tbENKUlT_T0_E_clISt17integral_constantIbLb1EESX_EEDaSS_ST_EUlSS_E_NS1_11comp_targetILNS1_3genE8ELNS1_11target_archE1030ELNS1_3gpuE2ELNS1_3repE0EEENS1_30default_config_static_selectorELNS0_4arch9wavefront6targetE1EEEvT1_
		.amdhsa_group_segment_fixed_size 0
		.amdhsa_private_segment_fixed_size 0
		.amdhsa_kernarg_size 104
		.amdhsa_user_sgpr_count 6
		.amdhsa_user_sgpr_private_segment_buffer 1
		.amdhsa_user_sgpr_dispatch_ptr 0
		.amdhsa_user_sgpr_queue_ptr 0
		.amdhsa_user_sgpr_kernarg_segment_ptr 1
		.amdhsa_user_sgpr_dispatch_id 0
		.amdhsa_user_sgpr_flat_scratch_init 0
		.amdhsa_user_sgpr_kernarg_preload_length 0
		.amdhsa_user_sgpr_kernarg_preload_offset 0
		.amdhsa_user_sgpr_private_segment_size 0
		.amdhsa_uses_dynamic_stack 0
		.amdhsa_system_sgpr_private_segment_wavefront_offset 0
		.amdhsa_system_sgpr_workgroup_id_x 1
		.amdhsa_system_sgpr_workgroup_id_y 0
		.amdhsa_system_sgpr_workgroup_id_z 0
		.amdhsa_system_sgpr_workgroup_info 0
		.amdhsa_system_vgpr_workitem_id 0
		.amdhsa_next_free_vgpr 1
		.amdhsa_next_free_sgpr 0
		.amdhsa_accum_offset 4
		.amdhsa_reserve_vcc 0
		.amdhsa_reserve_flat_scratch 0
		.amdhsa_float_round_mode_32 0
		.amdhsa_float_round_mode_16_64 0
		.amdhsa_float_denorm_mode_32 3
		.amdhsa_float_denorm_mode_16_64 3
		.amdhsa_dx10_clamp 1
		.amdhsa_ieee_mode 1
		.amdhsa_fp16_overflow 0
		.amdhsa_tg_split 0
		.amdhsa_exception_fp_ieee_invalid_op 0
		.amdhsa_exception_fp_denorm_src 0
		.amdhsa_exception_fp_ieee_div_zero 0
		.amdhsa_exception_fp_ieee_overflow 0
		.amdhsa_exception_fp_ieee_underflow 0
		.amdhsa_exception_fp_ieee_inexact 0
		.amdhsa_exception_int_div_zero 0
	.end_amdhsa_kernel
	.section	.text._ZN7rocprim17ROCPRIM_400000_NS6detail17trampoline_kernelINS0_14default_configENS1_20scan_config_selectorIjEEZZNS1_9scan_implILNS1_25lookback_scan_determinismE0ELb1ELb1ES3_N6thrust23THRUST_200600_302600_NS6detail15normal_iteratorINS9_10device_ptrIjEEEENS9_16discard_iteratorINS9_11use_defaultEEEjNS9_4plusIvEEjEEDaPvRmT3_T4_T5_mT6_P12ihipStream_tbENKUlT_T0_E_clISt17integral_constantIbLb1EESX_EEDaSS_ST_EUlSS_E_NS1_11comp_targetILNS1_3genE8ELNS1_11target_archE1030ELNS1_3gpuE2ELNS1_3repE0EEENS1_30default_config_static_selectorELNS0_4arch9wavefront6targetE1EEEvT1_,"axG",@progbits,_ZN7rocprim17ROCPRIM_400000_NS6detail17trampoline_kernelINS0_14default_configENS1_20scan_config_selectorIjEEZZNS1_9scan_implILNS1_25lookback_scan_determinismE0ELb1ELb1ES3_N6thrust23THRUST_200600_302600_NS6detail15normal_iteratorINS9_10device_ptrIjEEEENS9_16discard_iteratorINS9_11use_defaultEEEjNS9_4plusIvEEjEEDaPvRmT3_T4_T5_mT6_P12ihipStream_tbENKUlT_T0_E_clISt17integral_constantIbLb1EESX_EEDaSS_ST_EUlSS_E_NS1_11comp_targetILNS1_3genE8ELNS1_11target_archE1030ELNS1_3gpuE2ELNS1_3repE0EEENS1_30default_config_static_selectorELNS0_4arch9wavefront6targetE1EEEvT1_,comdat
.Lfunc_end5392:
	.size	_ZN7rocprim17ROCPRIM_400000_NS6detail17trampoline_kernelINS0_14default_configENS1_20scan_config_selectorIjEEZZNS1_9scan_implILNS1_25lookback_scan_determinismE0ELb1ELb1ES3_N6thrust23THRUST_200600_302600_NS6detail15normal_iteratorINS9_10device_ptrIjEEEENS9_16discard_iteratorINS9_11use_defaultEEEjNS9_4plusIvEEjEEDaPvRmT3_T4_T5_mT6_P12ihipStream_tbENKUlT_T0_E_clISt17integral_constantIbLb1EESX_EEDaSS_ST_EUlSS_E_NS1_11comp_targetILNS1_3genE8ELNS1_11target_archE1030ELNS1_3gpuE2ELNS1_3repE0EEENS1_30default_config_static_selectorELNS0_4arch9wavefront6targetE1EEEvT1_, .Lfunc_end5392-_ZN7rocprim17ROCPRIM_400000_NS6detail17trampoline_kernelINS0_14default_configENS1_20scan_config_selectorIjEEZZNS1_9scan_implILNS1_25lookback_scan_determinismE0ELb1ELb1ES3_N6thrust23THRUST_200600_302600_NS6detail15normal_iteratorINS9_10device_ptrIjEEEENS9_16discard_iteratorINS9_11use_defaultEEEjNS9_4plusIvEEjEEDaPvRmT3_T4_T5_mT6_P12ihipStream_tbENKUlT_T0_E_clISt17integral_constantIbLb1EESX_EEDaSS_ST_EUlSS_E_NS1_11comp_targetILNS1_3genE8ELNS1_11target_archE1030ELNS1_3gpuE2ELNS1_3repE0EEENS1_30default_config_static_selectorELNS0_4arch9wavefront6targetE1EEEvT1_
                                        ; -- End function
	.section	.AMDGPU.csdata,"",@progbits
; Kernel info:
; codeLenInByte = 0
; NumSgprs: 4
; NumVgprs: 0
; NumAgprs: 0
; TotalNumVgprs: 0
; ScratchSize: 0
; MemoryBound: 0
; FloatMode: 240
; IeeeMode: 1
; LDSByteSize: 0 bytes/workgroup (compile time only)
; SGPRBlocks: 0
; VGPRBlocks: 0
; NumSGPRsForWavesPerEU: 4
; NumVGPRsForWavesPerEU: 1
; AccumOffset: 4
; Occupancy: 8
; WaveLimiterHint : 0
; COMPUTE_PGM_RSRC2:SCRATCH_EN: 0
; COMPUTE_PGM_RSRC2:USER_SGPR: 6
; COMPUTE_PGM_RSRC2:TRAP_HANDLER: 0
; COMPUTE_PGM_RSRC2:TGID_X_EN: 1
; COMPUTE_PGM_RSRC2:TGID_Y_EN: 0
; COMPUTE_PGM_RSRC2:TGID_Z_EN: 0
; COMPUTE_PGM_RSRC2:TIDIG_COMP_CNT: 0
; COMPUTE_PGM_RSRC3_GFX90A:ACCUM_OFFSET: 0
; COMPUTE_PGM_RSRC3_GFX90A:TG_SPLIT: 0
	.section	.text._ZN7rocprim17ROCPRIM_400000_NS6detail17trampoline_kernelINS0_14default_configENS1_20scan_config_selectorIjEEZZNS1_9scan_implILNS1_25lookback_scan_determinismE0ELb1ELb1ES3_N6thrust23THRUST_200600_302600_NS6detail15normal_iteratorINS9_10device_ptrIjEEEENS9_16discard_iteratorINS9_11use_defaultEEEjNS9_4plusIvEEjEEDaPvRmT3_T4_T5_mT6_P12ihipStream_tbENKUlT_T0_E_clISt17integral_constantIbLb1EESX_EEDaSS_ST_EUlSS_E0_NS1_11comp_targetILNS1_3genE0ELNS1_11target_archE4294967295ELNS1_3gpuE0ELNS1_3repE0EEENS1_30default_config_static_selectorELNS0_4arch9wavefront6targetE1EEEvT1_,"axG",@progbits,_ZN7rocprim17ROCPRIM_400000_NS6detail17trampoline_kernelINS0_14default_configENS1_20scan_config_selectorIjEEZZNS1_9scan_implILNS1_25lookback_scan_determinismE0ELb1ELb1ES3_N6thrust23THRUST_200600_302600_NS6detail15normal_iteratorINS9_10device_ptrIjEEEENS9_16discard_iteratorINS9_11use_defaultEEEjNS9_4plusIvEEjEEDaPvRmT3_T4_T5_mT6_P12ihipStream_tbENKUlT_T0_E_clISt17integral_constantIbLb1EESX_EEDaSS_ST_EUlSS_E0_NS1_11comp_targetILNS1_3genE0ELNS1_11target_archE4294967295ELNS1_3gpuE0ELNS1_3repE0EEENS1_30default_config_static_selectorELNS0_4arch9wavefront6targetE1EEEvT1_,comdat
	.protected	_ZN7rocprim17ROCPRIM_400000_NS6detail17trampoline_kernelINS0_14default_configENS1_20scan_config_selectorIjEEZZNS1_9scan_implILNS1_25lookback_scan_determinismE0ELb1ELb1ES3_N6thrust23THRUST_200600_302600_NS6detail15normal_iteratorINS9_10device_ptrIjEEEENS9_16discard_iteratorINS9_11use_defaultEEEjNS9_4plusIvEEjEEDaPvRmT3_T4_T5_mT6_P12ihipStream_tbENKUlT_T0_E_clISt17integral_constantIbLb1EESX_EEDaSS_ST_EUlSS_E0_NS1_11comp_targetILNS1_3genE0ELNS1_11target_archE4294967295ELNS1_3gpuE0ELNS1_3repE0EEENS1_30default_config_static_selectorELNS0_4arch9wavefront6targetE1EEEvT1_ ; -- Begin function _ZN7rocprim17ROCPRIM_400000_NS6detail17trampoline_kernelINS0_14default_configENS1_20scan_config_selectorIjEEZZNS1_9scan_implILNS1_25lookback_scan_determinismE0ELb1ELb1ES3_N6thrust23THRUST_200600_302600_NS6detail15normal_iteratorINS9_10device_ptrIjEEEENS9_16discard_iteratorINS9_11use_defaultEEEjNS9_4plusIvEEjEEDaPvRmT3_T4_T5_mT6_P12ihipStream_tbENKUlT_T0_E_clISt17integral_constantIbLb1EESX_EEDaSS_ST_EUlSS_E0_NS1_11comp_targetILNS1_3genE0ELNS1_11target_archE4294967295ELNS1_3gpuE0ELNS1_3repE0EEENS1_30default_config_static_selectorELNS0_4arch9wavefront6targetE1EEEvT1_
	.globl	_ZN7rocprim17ROCPRIM_400000_NS6detail17trampoline_kernelINS0_14default_configENS1_20scan_config_selectorIjEEZZNS1_9scan_implILNS1_25lookback_scan_determinismE0ELb1ELb1ES3_N6thrust23THRUST_200600_302600_NS6detail15normal_iteratorINS9_10device_ptrIjEEEENS9_16discard_iteratorINS9_11use_defaultEEEjNS9_4plusIvEEjEEDaPvRmT3_T4_T5_mT6_P12ihipStream_tbENKUlT_T0_E_clISt17integral_constantIbLb1EESX_EEDaSS_ST_EUlSS_E0_NS1_11comp_targetILNS1_3genE0ELNS1_11target_archE4294967295ELNS1_3gpuE0ELNS1_3repE0EEENS1_30default_config_static_selectorELNS0_4arch9wavefront6targetE1EEEvT1_
	.p2align	8
	.type	_ZN7rocprim17ROCPRIM_400000_NS6detail17trampoline_kernelINS0_14default_configENS1_20scan_config_selectorIjEEZZNS1_9scan_implILNS1_25lookback_scan_determinismE0ELb1ELb1ES3_N6thrust23THRUST_200600_302600_NS6detail15normal_iteratorINS9_10device_ptrIjEEEENS9_16discard_iteratorINS9_11use_defaultEEEjNS9_4plusIvEEjEEDaPvRmT3_T4_T5_mT6_P12ihipStream_tbENKUlT_T0_E_clISt17integral_constantIbLb1EESX_EEDaSS_ST_EUlSS_E0_NS1_11comp_targetILNS1_3genE0ELNS1_11target_archE4294967295ELNS1_3gpuE0ELNS1_3repE0EEENS1_30default_config_static_selectorELNS0_4arch9wavefront6targetE1EEEvT1_,@function
_ZN7rocprim17ROCPRIM_400000_NS6detail17trampoline_kernelINS0_14default_configENS1_20scan_config_selectorIjEEZZNS1_9scan_implILNS1_25lookback_scan_determinismE0ELb1ELb1ES3_N6thrust23THRUST_200600_302600_NS6detail15normal_iteratorINS9_10device_ptrIjEEEENS9_16discard_iteratorINS9_11use_defaultEEEjNS9_4plusIvEEjEEDaPvRmT3_T4_T5_mT6_P12ihipStream_tbENKUlT_T0_E_clISt17integral_constantIbLb1EESX_EEDaSS_ST_EUlSS_E0_NS1_11comp_targetILNS1_3genE0ELNS1_11target_archE4294967295ELNS1_3gpuE0ELNS1_3repE0EEENS1_30default_config_static_selectorELNS0_4arch9wavefront6targetE1EEEvT1_: ; @_ZN7rocprim17ROCPRIM_400000_NS6detail17trampoline_kernelINS0_14default_configENS1_20scan_config_selectorIjEEZZNS1_9scan_implILNS1_25lookback_scan_determinismE0ELb1ELb1ES3_N6thrust23THRUST_200600_302600_NS6detail15normal_iteratorINS9_10device_ptrIjEEEENS9_16discard_iteratorINS9_11use_defaultEEEjNS9_4plusIvEEjEEDaPvRmT3_T4_T5_mT6_P12ihipStream_tbENKUlT_T0_E_clISt17integral_constantIbLb1EESX_EEDaSS_ST_EUlSS_E0_NS1_11comp_targetILNS1_3genE0ELNS1_11target_archE4294967295ELNS1_3gpuE0ELNS1_3repE0EEENS1_30default_config_static_selectorELNS0_4arch9wavefront6targetE1EEEvT1_
; %bb.0:
	.section	.rodata,"a",@progbits
	.p2align	6, 0x0
	.amdhsa_kernel _ZN7rocprim17ROCPRIM_400000_NS6detail17trampoline_kernelINS0_14default_configENS1_20scan_config_selectorIjEEZZNS1_9scan_implILNS1_25lookback_scan_determinismE0ELb1ELb1ES3_N6thrust23THRUST_200600_302600_NS6detail15normal_iteratorINS9_10device_ptrIjEEEENS9_16discard_iteratorINS9_11use_defaultEEEjNS9_4plusIvEEjEEDaPvRmT3_T4_T5_mT6_P12ihipStream_tbENKUlT_T0_E_clISt17integral_constantIbLb1EESX_EEDaSS_ST_EUlSS_E0_NS1_11comp_targetILNS1_3genE0ELNS1_11target_archE4294967295ELNS1_3gpuE0ELNS1_3repE0EEENS1_30default_config_static_selectorELNS0_4arch9wavefront6targetE1EEEvT1_
		.amdhsa_group_segment_fixed_size 0
		.amdhsa_private_segment_fixed_size 0
		.amdhsa_kernarg_size 40
		.amdhsa_user_sgpr_count 6
		.amdhsa_user_sgpr_private_segment_buffer 1
		.amdhsa_user_sgpr_dispatch_ptr 0
		.amdhsa_user_sgpr_queue_ptr 0
		.amdhsa_user_sgpr_kernarg_segment_ptr 1
		.amdhsa_user_sgpr_dispatch_id 0
		.amdhsa_user_sgpr_flat_scratch_init 0
		.amdhsa_user_sgpr_kernarg_preload_length 0
		.amdhsa_user_sgpr_kernarg_preload_offset 0
		.amdhsa_user_sgpr_private_segment_size 0
		.amdhsa_uses_dynamic_stack 0
		.amdhsa_system_sgpr_private_segment_wavefront_offset 0
		.amdhsa_system_sgpr_workgroup_id_x 1
		.amdhsa_system_sgpr_workgroup_id_y 0
		.amdhsa_system_sgpr_workgroup_id_z 0
		.amdhsa_system_sgpr_workgroup_info 0
		.amdhsa_system_vgpr_workitem_id 0
		.amdhsa_next_free_vgpr 1
		.amdhsa_next_free_sgpr 0
		.amdhsa_accum_offset 4
		.amdhsa_reserve_vcc 0
		.amdhsa_reserve_flat_scratch 0
		.amdhsa_float_round_mode_32 0
		.amdhsa_float_round_mode_16_64 0
		.amdhsa_float_denorm_mode_32 3
		.amdhsa_float_denorm_mode_16_64 3
		.amdhsa_dx10_clamp 1
		.amdhsa_ieee_mode 1
		.amdhsa_fp16_overflow 0
		.amdhsa_tg_split 0
		.amdhsa_exception_fp_ieee_invalid_op 0
		.amdhsa_exception_fp_denorm_src 0
		.amdhsa_exception_fp_ieee_div_zero 0
		.amdhsa_exception_fp_ieee_overflow 0
		.amdhsa_exception_fp_ieee_underflow 0
		.amdhsa_exception_fp_ieee_inexact 0
		.amdhsa_exception_int_div_zero 0
	.end_amdhsa_kernel
	.section	.text._ZN7rocprim17ROCPRIM_400000_NS6detail17trampoline_kernelINS0_14default_configENS1_20scan_config_selectorIjEEZZNS1_9scan_implILNS1_25lookback_scan_determinismE0ELb1ELb1ES3_N6thrust23THRUST_200600_302600_NS6detail15normal_iteratorINS9_10device_ptrIjEEEENS9_16discard_iteratorINS9_11use_defaultEEEjNS9_4plusIvEEjEEDaPvRmT3_T4_T5_mT6_P12ihipStream_tbENKUlT_T0_E_clISt17integral_constantIbLb1EESX_EEDaSS_ST_EUlSS_E0_NS1_11comp_targetILNS1_3genE0ELNS1_11target_archE4294967295ELNS1_3gpuE0ELNS1_3repE0EEENS1_30default_config_static_selectorELNS0_4arch9wavefront6targetE1EEEvT1_,"axG",@progbits,_ZN7rocprim17ROCPRIM_400000_NS6detail17trampoline_kernelINS0_14default_configENS1_20scan_config_selectorIjEEZZNS1_9scan_implILNS1_25lookback_scan_determinismE0ELb1ELb1ES3_N6thrust23THRUST_200600_302600_NS6detail15normal_iteratorINS9_10device_ptrIjEEEENS9_16discard_iteratorINS9_11use_defaultEEEjNS9_4plusIvEEjEEDaPvRmT3_T4_T5_mT6_P12ihipStream_tbENKUlT_T0_E_clISt17integral_constantIbLb1EESX_EEDaSS_ST_EUlSS_E0_NS1_11comp_targetILNS1_3genE0ELNS1_11target_archE4294967295ELNS1_3gpuE0ELNS1_3repE0EEENS1_30default_config_static_selectorELNS0_4arch9wavefront6targetE1EEEvT1_,comdat
.Lfunc_end5393:
	.size	_ZN7rocprim17ROCPRIM_400000_NS6detail17trampoline_kernelINS0_14default_configENS1_20scan_config_selectorIjEEZZNS1_9scan_implILNS1_25lookback_scan_determinismE0ELb1ELb1ES3_N6thrust23THRUST_200600_302600_NS6detail15normal_iteratorINS9_10device_ptrIjEEEENS9_16discard_iteratorINS9_11use_defaultEEEjNS9_4plusIvEEjEEDaPvRmT3_T4_T5_mT6_P12ihipStream_tbENKUlT_T0_E_clISt17integral_constantIbLb1EESX_EEDaSS_ST_EUlSS_E0_NS1_11comp_targetILNS1_3genE0ELNS1_11target_archE4294967295ELNS1_3gpuE0ELNS1_3repE0EEENS1_30default_config_static_selectorELNS0_4arch9wavefront6targetE1EEEvT1_, .Lfunc_end5393-_ZN7rocprim17ROCPRIM_400000_NS6detail17trampoline_kernelINS0_14default_configENS1_20scan_config_selectorIjEEZZNS1_9scan_implILNS1_25lookback_scan_determinismE0ELb1ELb1ES3_N6thrust23THRUST_200600_302600_NS6detail15normal_iteratorINS9_10device_ptrIjEEEENS9_16discard_iteratorINS9_11use_defaultEEEjNS9_4plusIvEEjEEDaPvRmT3_T4_T5_mT6_P12ihipStream_tbENKUlT_T0_E_clISt17integral_constantIbLb1EESX_EEDaSS_ST_EUlSS_E0_NS1_11comp_targetILNS1_3genE0ELNS1_11target_archE4294967295ELNS1_3gpuE0ELNS1_3repE0EEENS1_30default_config_static_selectorELNS0_4arch9wavefront6targetE1EEEvT1_
                                        ; -- End function
	.section	.AMDGPU.csdata,"",@progbits
; Kernel info:
; codeLenInByte = 0
; NumSgprs: 4
; NumVgprs: 0
; NumAgprs: 0
; TotalNumVgprs: 0
; ScratchSize: 0
; MemoryBound: 0
; FloatMode: 240
; IeeeMode: 1
; LDSByteSize: 0 bytes/workgroup (compile time only)
; SGPRBlocks: 0
; VGPRBlocks: 0
; NumSGPRsForWavesPerEU: 4
; NumVGPRsForWavesPerEU: 1
; AccumOffset: 4
; Occupancy: 8
; WaveLimiterHint : 0
; COMPUTE_PGM_RSRC2:SCRATCH_EN: 0
; COMPUTE_PGM_RSRC2:USER_SGPR: 6
; COMPUTE_PGM_RSRC2:TRAP_HANDLER: 0
; COMPUTE_PGM_RSRC2:TGID_X_EN: 1
; COMPUTE_PGM_RSRC2:TGID_Y_EN: 0
; COMPUTE_PGM_RSRC2:TGID_Z_EN: 0
; COMPUTE_PGM_RSRC2:TIDIG_COMP_CNT: 0
; COMPUTE_PGM_RSRC3_GFX90A:ACCUM_OFFSET: 0
; COMPUTE_PGM_RSRC3_GFX90A:TG_SPLIT: 0
	.section	.text._ZN7rocprim17ROCPRIM_400000_NS6detail17trampoline_kernelINS0_14default_configENS1_20scan_config_selectorIjEEZZNS1_9scan_implILNS1_25lookback_scan_determinismE0ELb1ELb1ES3_N6thrust23THRUST_200600_302600_NS6detail15normal_iteratorINS9_10device_ptrIjEEEENS9_16discard_iteratorINS9_11use_defaultEEEjNS9_4plusIvEEjEEDaPvRmT3_T4_T5_mT6_P12ihipStream_tbENKUlT_T0_E_clISt17integral_constantIbLb1EESX_EEDaSS_ST_EUlSS_E0_NS1_11comp_targetILNS1_3genE5ELNS1_11target_archE942ELNS1_3gpuE9ELNS1_3repE0EEENS1_30default_config_static_selectorELNS0_4arch9wavefront6targetE1EEEvT1_,"axG",@progbits,_ZN7rocprim17ROCPRIM_400000_NS6detail17trampoline_kernelINS0_14default_configENS1_20scan_config_selectorIjEEZZNS1_9scan_implILNS1_25lookback_scan_determinismE0ELb1ELb1ES3_N6thrust23THRUST_200600_302600_NS6detail15normal_iteratorINS9_10device_ptrIjEEEENS9_16discard_iteratorINS9_11use_defaultEEEjNS9_4plusIvEEjEEDaPvRmT3_T4_T5_mT6_P12ihipStream_tbENKUlT_T0_E_clISt17integral_constantIbLb1EESX_EEDaSS_ST_EUlSS_E0_NS1_11comp_targetILNS1_3genE5ELNS1_11target_archE942ELNS1_3gpuE9ELNS1_3repE0EEENS1_30default_config_static_selectorELNS0_4arch9wavefront6targetE1EEEvT1_,comdat
	.protected	_ZN7rocprim17ROCPRIM_400000_NS6detail17trampoline_kernelINS0_14default_configENS1_20scan_config_selectorIjEEZZNS1_9scan_implILNS1_25lookback_scan_determinismE0ELb1ELb1ES3_N6thrust23THRUST_200600_302600_NS6detail15normal_iteratorINS9_10device_ptrIjEEEENS9_16discard_iteratorINS9_11use_defaultEEEjNS9_4plusIvEEjEEDaPvRmT3_T4_T5_mT6_P12ihipStream_tbENKUlT_T0_E_clISt17integral_constantIbLb1EESX_EEDaSS_ST_EUlSS_E0_NS1_11comp_targetILNS1_3genE5ELNS1_11target_archE942ELNS1_3gpuE9ELNS1_3repE0EEENS1_30default_config_static_selectorELNS0_4arch9wavefront6targetE1EEEvT1_ ; -- Begin function _ZN7rocprim17ROCPRIM_400000_NS6detail17trampoline_kernelINS0_14default_configENS1_20scan_config_selectorIjEEZZNS1_9scan_implILNS1_25lookback_scan_determinismE0ELb1ELb1ES3_N6thrust23THRUST_200600_302600_NS6detail15normal_iteratorINS9_10device_ptrIjEEEENS9_16discard_iteratorINS9_11use_defaultEEEjNS9_4plusIvEEjEEDaPvRmT3_T4_T5_mT6_P12ihipStream_tbENKUlT_T0_E_clISt17integral_constantIbLb1EESX_EEDaSS_ST_EUlSS_E0_NS1_11comp_targetILNS1_3genE5ELNS1_11target_archE942ELNS1_3gpuE9ELNS1_3repE0EEENS1_30default_config_static_selectorELNS0_4arch9wavefront6targetE1EEEvT1_
	.globl	_ZN7rocprim17ROCPRIM_400000_NS6detail17trampoline_kernelINS0_14default_configENS1_20scan_config_selectorIjEEZZNS1_9scan_implILNS1_25lookback_scan_determinismE0ELb1ELb1ES3_N6thrust23THRUST_200600_302600_NS6detail15normal_iteratorINS9_10device_ptrIjEEEENS9_16discard_iteratorINS9_11use_defaultEEEjNS9_4plusIvEEjEEDaPvRmT3_T4_T5_mT6_P12ihipStream_tbENKUlT_T0_E_clISt17integral_constantIbLb1EESX_EEDaSS_ST_EUlSS_E0_NS1_11comp_targetILNS1_3genE5ELNS1_11target_archE942ELNS1_3gpuE9ELNS1_3repE0EEENS1_30default_config_static_selectorELNS0_4arch9wavefront6targetE1EEEvT1_
	.p2align	8
	.type	_ZN7rocprim17ROCPRIM_400000_NS6detail17trampoline_kernelINS0_14default_configENS1_20scan_config_selectorIjEEZZNS1_9scan_implILNS1_25lookback_scan_determinismE0ELb1ELb1ES3_N6thrust23THRUST_200600_302600_NS6detail15normal_iteratorINS9_10device_ptrIjEEEENS9_16discard_iteratorINS9_11use_defaultEEEjNS9_4plusIvEEjEEDaPvRmT3_T4_T5_mT6_P12ihipStream_tbENKUlT_T0_E_clISt17integral_constantIbLb1EESX_EEDaSS_ST_EUlSS_E0_NS1_11comp_targetILNS1_3genE5ELNS1_11target_archE942ELNS1_3gpuE9ELNS1_3repE0EEENS1_30default_config_static_selectorELNS0_4arch9wavefront6targetE1EEEvT1_,@function
_ZN7rocprim17ROCPRIM_400000_NS6detail17trampoline_kernelINS0_14default_configENS1_20scan_config_selectorIjEEZZNS1_9scan_implILNS1_25lookback_scan_determinismE0ELb1ELb1ES3_N6thrust23THRUST_200600_302600_NS6detail15normal_iteratorINS9_10device_ptrIjEEEENS9_16discard_iteratorINS9_11use_defaultEEEjNS9_4plusIvEEjEEDaPvRmT3_T4_T5_mT6_P12ihipStream_tbENKUlT_T0_E_clISt17integral_constantIbLb1EESX_EEDaSS_ST_EUlSS_E0_NS1_11comp_targetILNS1_3genE5ELNS1_11target_archE942ELNS1_3gpuE9ELNS1_3repE0EEENS1_30default_config_static_selectorELNS0_4arch9wavefront6targetE1EEEvT1_: ; @_ZN7rocprim17ROCPRIM_400000_NS6detail17trampoline_kernelINS0_14default_configENS1_20scan_config_selectorIjEEZZNS1_9scan_implILNS1_25lookback_scan_determinismE0ELb1ELb1ES3_N6thrust23THRUST_200600_302600_NS6detail15normal_iteratorINS9_10device_ptrIjEEEENS9_16discard_iteratorINS9_11use_defaultEEEjNS9_4plusIvEEjEEDaPvRmT3_T4_T5_mT6_P12ihipStream_tbENKUlT_T0_E_clISt17integral_constantIbLb1EESX_EEDaSS_ST_EUlSS_E0_NS1_11comp_targetILNS1_3genE5ELNS1_11target_archE942ELNS1_3gpuE9ELNS1_3repE0EEENS1_30default_config_static_selectorELNS0_4arch9wavefront6targetE1EEEvT1_
; %bb.0:
	.section	.rodata,"a",@progbits
	.p2align	6, 0x0
	.amdhsa_kernel _ZN7rocprim17ROCPRIM_400000_NS6detail17trampoline_kernelINS0_14default_configENS1_20scan_config_selectorIjEEZZNS1_9scan_implILNS1_25lookback_scan_determinismE0ELb1ELb1ES3_N6thrust23THRUST_200600_302600_NS6detail15normal_iteratorINS9_10device_ptrIjEEEENS9_16discard_iteratorINS9_11use_defaultEEEjNS9_4plusIvEEjEEDaPvRmT3_T4_T5_mT6_P12ihipStream_tbENKUlT_T0_E_clISt17integral_constantIbLb1EESX_EEDaSS_ST_EUlSS_E0_NS1_11comp_targetILNS1_3genE5ELNS1_11target_archE942ELNS1_3gpuE9ELNS1_3repE0EEENS1_30default_config_static_selectorELNS0_4arch9wavefront6targetE1EEEvT1_
		.amdhsa_group_segment_fixed_size 0
		.amdhsa_private_segment_fixed_size 0
		.amdhsa_kernarg_size 40
		.amdhsa_user_sgpr_count 6
		.amdhsa_user_sgpr_private_segment_buffer 1
		.amdhsa_user_sgpr_dispatch_ptr 0
		.amdhsa_user_sgpr_queue_ptr 0
		.amdhsa_user_sgpr_kernarg_segment_ptr 1
		.amdhsa_user_sgpr_dispatch_id 0
		.amdhsa_user_sgpr_flat_scratch_init 0
		.amdhsa_user_sgpr_kernarg_preload_length 0
		.amdhsa_user_sgpr_kernarg_preload_offset 0
		.amdhsa_user_sgpr_private_segment_size 0
		.amdhsa_uses_dynamic_stack 0
		.amdhsa_system_sgpr_private_segment_wavefront_offset 0
		.amdhsa_system_sgpr_workgroup_id_x 1
		.amdhsa_system_sgpr_workgroup_id_y 0
		.amdhsa_system_sgpr_workgroup_id_z 0
		.amdhsa_system_sgpr_workgroup_info 0
		.amdhsa_system_vgpr_workitem_id 0
		.amdhsa_next_free_vgpr 1
		.amdhsa_next_free_sgpr 0
		.amdhsa_accum_offset 4
		.amdhsa_reserve_vcc 0
		.amdhsa_reserve_flat_scratch 0
		.amdhsa_float_round_mode_32 0
		.amdhsa_float_round_mode_16_64 0
		.amdhsa_float_denorm_mode_32 3
		.amdhsa_float_denorm_mode_16_64 3
		.amdhsa_dx10_clamp 1
		.amdhsa_ieee_mode 1
		.amdhsa_fp16_overflow 0
		.amdhsa_tg_split 0
		.amdhsa_exception_fp_ieee_invalid_op 0
		.amdhsa_exception_fp_denorm_src 0
		.amdhsa_exception_fp_ieee_div_zero 0
		.amdhsa_exception_fp_ieee_overflow 0
		.amdhsa_exception_fp_ieee_underflow 0
		.amdhsa_exception_fp_ieee_inexact 0
		.amdhsa_exception_int_div_zero 0
	.end_amdhsa_kernel
	.section	.text._ZN7rocprim17ROCPRIM_400000_NS6detail17trampoline_kernelINS0_14default_configENS1_20scan_config_selectorIjEEZZNS1_9scan_implILNS1_25lookback_scan_determinismE0ELb1ELb1ES3_N6thrust23THRUST_200600_302600_NS6detail15normal_iteratorINS9_10device_ptrIjEEEENS9_16discard_iteratorINS9_11use_defaultEEEjNS9_4plusIvEEjEEDaPvRmT3_T4_T5_mT6_P12ihipStream_tbENKUlT_T0_E_clISt17integral_constantIbLb1EESX_EEDaSS_ST_EUlSS_E0_NS1_11comp_targetILNS1_3genE5ELNS1_11target_archE942ELNS1_3gpuE9ELNS1_3repE0EEENS1_30default_config_static_selectorELNS0_4arch9wavefront6targetE1EEEvT1_,"axG",@progbits,_ZN7rocprim17ROCPRIM_400000_NS6detail17trampoline_kernelINS0_14default_configENS1_20scan_config_selectorIjEEZZNS1_9scan_implILNS1_25lookback_scan_determinismE0ELb1ELb1ES3_N6thrust23THRUST_200600_302600_NS6detail15normal_iteratorINS9_10device_ptrIjEEEENS9_16discard_iteratorINS9_11use_defaultEEEjNS9_4plusIvEEjEEDaPvRmT3_T4_T5_mT6_P12ihipStream_tbENKUlT_T0_E_clISt17integral_constantIbLb1EESX_EEDaSS_ST_EUlSS_E0_NS1_11comp_targetILNS1_3genE5ELNS1_11target_archE942ELNS1_3gpuE9ELNS1_3repE0EEENS1_30default_config_static_selectorELNS0_4arch9wavefront6targetE1EEEvT1_,comdat
.Lfunc_end5394:
	.size	_ZN7rocprim17ROCPRIM_400000_NS6detail17trampoline_kernelINS0_14default_configENS1_20scan_config_selectorIjEEZZNS1_9scan_implILNS1_25lookback_scan_determinismE0ELb1ELb1ES3_N6thrust23THRUST_200600_302600_NS6detail15normal_iteratorINS9_10device_ptrIjEEEENS9_16discard_iteratorINS9_11use_defaultEEEjNS9_4plusIvEEjEEDaPvRmT3_T4_T5_mT6_P12ihipStream_tbENKUlT_T0_E_clISt17integral_constantIbLb1EESX_EEDaSS_ST_EUlSS_E0_NS1_11comp_targetILNS1_3genE5ELNS1_11target_archE942ELNS1_3gpuE9ELNS1_3repE0EEENS1_30default_config_static_selectorELNS0_4arch9wavefront6targetE1EEEvT1_, .Lfunc_end5394-_ZN7rocprim17ROCPRIM_400000_NS6detail17trampoline_kernelINS0_14default_configENS1_20scan_config_selectorIjEEZZNS1_9scan_implILNS1_25lookback_scan_determinismE0ELb1ELb1ES3_N6thrust23THRUST_200600_302600_NS6detail15normal_iteratorINS9_10device_ptrIjEEEENS9_16discard_iteratorINS9_11use_defaultEEEjNS9_4plusIvEEjEEDaPvRmT3_T4_T5_mT6_P12ihipStream_tbENKUlT_T0_E_clISt17integral_constantIbLb1EESX_EEDaSS_ST_EUlSS_E0_NS1_11comp_targetILNS1_3genE5ELNS1_11target_archE942ELNS1_3gpuE9ELNS1_3repE0EEENS1_30default_config_static_selectorELNS0_4arch9wavefront6targetE1EEEvT1_
                                        ; -- End function
	.section	.AMDGPU.csdata,"",@progbits
; Kernel info:
; codeLenInByte = 0
; NumSgprs: 4
; NumVgprs: 0
; NumAgprs: 0
; TotalNumVgprs: 0
; ScratchSize: 0
; MemoryBound: 0
; FloatMode: 240
; IeeeMode: 1
; LDSByteSize: 0 bytes/workgroup (compile time only)
; SGPRBlocks: 0
; VGPRBlocks: 0
; NumSGPRsForWavesPerEU: 4
; NumVGPRsForWavesPerEU: 1
; AccumOffset: 4
; Occupancy: 8
; WaveLimiterHint : 0
; COMPUTE_PGM_RSRC2:SCRATCH_EN: 0
; COMPUTE_PGM_RSRC2:USER_SGPR: 6
; COMPUTE_PGM_RSRC2:TRAP_HANDLER: 0
; COMPUTE_PGM_RSRC2:TGID_X_EN: 1
; COMPUTE_PGM_RSRC2:TGID_Y_EN: 0
; COMPUTE_PGM_RSRC2:TGID_Z_EN: 0
; COMPUTE_PGM_RSRC2:TIDIG_COMP_CNT: 0
; COMPUTE_PGM_RSRC3_GFX90A:ACCUM_OFFSET: 0
; COMPUTE_PGM_RSRC3_GFX90A:TG_SPLIT: 0
	.section	.text._ZN7rocprim17ROCPRIM_400000_NS6detail17trampoline_kernelINS0_14default_configENS1_20scan_config_selectorIjEEZZNS1_9scan_implILNS1_25lookback_scan_determinismE0ELb1ELb1ES3_N6thrust23THRUST_200600_302600_NS6detail15normal_iteratorINS9_10device_ptrIjEEEENS9_16discard_iteratorINS9_11use_defaultEEEjNS9_4plusIvEEjEEDaPvRmT3_T4_T5_mT6_P12ihipStream_tbENKUlT_T0_E_clISt17integral_constantIbLb1EESX_EEDaSS_ST_EUlSS_E0_NS1_11comp_targetILNS1_3genE4ELNS1_11target_archE910ELNS1_3gpuE8ELNS1_3repE0EEENS1_30default_config_static_selectorELNS0_4arch9wavefront6targetE1EEEvT1_,"axG",@progbits,_ZN7rocprim17ROCPRIM_400000_NS6detail17trampoline_kernelINS0_14default_configENS1_20scan_config_selectorIjEEZZNS1_9scan_implILNS1_25lookback_scan_determinismE0ELb1ELb1ES3_N6thrust23THRUST_200600_302600_NS6detail15normal_iteratorINS9_10device_ptrIjEEEENS9_16discard_iteratorINS9_11use_defaultEEEjNS9_4plusIvEEjEEDaPvRmT3_T4_T5_mT6_P12ihipStream_tbENKUlT_T0_E_clISt17integral_constantIbLb1EESX_EEDaSS_ST_EUlSS_E0_NS1_11comp_targetILNS1_3genE4ELNS1_11target_archE910ELNS1_3gpuE8ELNS1_3repE0EEENS1_30default_config_static_selectorELNS0_4arch9wavefront6targetE1EEEvT1_,comdat
	.protected	_ZN7rocprim17ROCPRIM_400000_NS6detail17trampoline_kernelINS0_14default_configENS1_20scan_config_selectorIjEEZZNS1_9scan_implILNS1_25lookback_scan_determinismE0ELb1ELb1ES3_N6thrust23THRUST_200600_302600_NS6detail15normal_iteratorINS9_10device_ptrIjEEEENS9_16discard_iteratorINS9_11use_defaultEEEjNS9_4plusIvEEjEEDaPvRmT3_T4_T5_mT6_P12ihipStream_tbENKUlT_T0_E_clISt17integral_constantIbLb1EESX_EEDaSS_ST_EUlSS_E0_NS1_11comp_targetILNS1_3genE4ELNS1_11target_archE910ELNS1_3gpuE8ELNS1_3repE0EEENS1_30default_config_static_selectorELNS0_4arch9wavefront6targetE1EEEvT1_ ; -- Begin function _ZN7rocprim17ROCPRIM_400000_NS6detail17trampoline_kernelINS0_14default_configENS1_20scan_config_selectorIjEEZZNS1_9scan_implILNS1_25lookback_scan_determinismE0ELb1ELb1ES3_N6thrust23THRUST_200600_302600_NS6detail15normal_iteratorINS9_10device_ptrIjEEEENS9_16discard_iteratorINS9_11use_defaultEEEjNS9_4plusIvEEjEEDaPvRmT3_T4_T5_mT6_P12ihipStream_tbENKUlT_T0_E_clISt17integral_constantIbLb1EESX_EEDaSS_ST_EUlSS_E0_NS1_11comp_targetILNS1_3genE4ELNS1_11target_archE910ELNS1_3gpuE8ELNS1_3repE0EEENS1_30default_config_static_selectorELNS0_4arch9wavefront6targetE1EEEvT1_
	.globl	_ZN7rocprim17ROCPRIM_400000_NS6detail17trampoline_kernelINS0_14default_configENS1_20scan_config_selectorIjEEZZNS1_9scan_implILNS1_25lookback_scan_determinismE0ELb1ELb1ES3_N6thrust23THRUST_200600_302600_NS6detail15normal_iteratorINS9_10device_ptrIjEEEENS9_16discard_iteratorINS9_11use_defaultEEEjNS9_4plusIvEEjEEDaPvRmT3_T4_T5_mT6_P12ihipStream_tbENKUlT_T0_E_clISt17integral_constantIbLb1EESX_EEDaSS_ST_EUlSS_E0_NS1_11comp_targetILNS1_3genE4ELNS1_11target_archE910ELNS1_3gpuE8ELNS1_3repE0EEENS1_30default_config_static_selectorELNS0_4arch9wavefront6targetE1EEEvT1_
	.p2align	8
	.type	_ZN7rocprim17ROCPRIM_400000_NS6detail17trampoline_kernelINS0_14default_configENS1_20scan_config_selectorIjEEZZNS1_9scan_implILNS1_25lookback_scan_determinismE0ELb1ELb1ES3_N6thrust23THRUST_200600_302600_NS6detail15normal_iteratorINS9_10device_ptrIjEEEENS9_16discard_iteratorINS9_11use_defaultEEEjNS9_4plusIvEEjEEDaPvRmT3_T4_T5_mT6_P12ihipStream_tbENKUlT_T0_E_clISt17integral_constantIbLb1EESX_EEDaSS_ST_EUlSS_E0_NS1_11comp_targetILNS1_3genE4ELNS1_11target_archE910ELNS1_3gpuE8ELNS1_3repE0EEENS1_30default_config_static_selectorELNS0_4arch9wavefront6targetE1EEEvT1_,@function
_ZN7rocprim17ROCPRIM_400000_NS6detail17trampoline_kernelINS0_14default_configENS1_20scan_config_selectorIjEEZZNS1_9scan_implILNS1_25lookback_scan_determinismE0ELb1ELb1ES3_N6thrust23THRUST_200600_302600_NS6detail15normal_iteratorINS9_10device_ptrIjEEEENS9_16discard_iteratorINS9_11use_defaultEEEjNS9_4plusIvEEjEEDaPvRmT3_T4_T5_mT6_P12ihipStream_tbENKUlT_T0_E_clISt17integral_constantIbLb1EESX_EEDaSS_ST_EUlSS_E0_NS1_11comp_targetILNS1_3genE4ELNS1_11target_archE910ELNS1_3gpuE8ELNS1_3repE0EEENS1_30default_config_static_selectorELNS0_4arch9wavefront6targetE1EEEvT1_: ; @_ZN7rocprim17ROCPRIM_400000_NS6detail17trampoline_kernelINS0_14default_configENS1_20scan_config_selectorIjEEZZNS1_9scan_implILNS1_25lookback_scan_determinismE0ELb1ELb1ES3_N6thrust23THRUST_200600_302600_NS6detail15normal_iteratorINS9_10device_ptrIjEEEENS9_16discard_iteratorINS9_11use_defaultEEEjNS9_4plusIvEEjEEDaPvRmT3_T4_T5_mT6_P12ihipStream_tbENKUlT_T0_E_clISt17integral_constantIbLb1EESX_EEDaSS_ST_EUlSS_E0_NS1_11comp_targetILNS1_3genE4ELNS1_11target_archE910ELNS1_3gpuE8ELNS1_3repE0EEENS1_30default_config_static_selectorELNS0_4arch9wavefront6targetE1EEEvT1_
; %bb.0:
	s_load_dwordx4 s[0:3], s[4:5], 0x0
	v_lshlrev_b32_e32 v1, 2, v0
	s_waitcnt lgkmcnt(0)
	s_load_dword s3, s[0:1], 0x0
	v_cmp_gt_u32_e32 vcc, s2, v0
	s_waitcnt lgkmcnt(0)
	v_mov_b32_e32 v2, s3
	s_and_saveexec_b64 s[6:7], vcc
	s_cbranch_execz .LBB5395_2
; %bb.1:
	global_load_dword v2, v1, s[0:1]
.LBB5395_2:
	s_or_b64 exec, exec, s[6:7]
	v_or_b32_e32 v3, 0x80, v0
	v_cmp_gt_u32_e32 vcc, s2, v3
	v_mov_b32_e32 v3, s3
	s_and_saveexec_b64 s[6:7], vcc
	s_cbranch_execz .LBB5395_4
; %bb.3:
	global_load_dword v3, v1, s[0:1] offset:512
.LBB5395_4:
	s_or_b64 exec, exec, s[6:7]
	v_or_b32_e32 v4, 0x100, v0
	v_cmp_gt_u32_e32 vcc, s2, v4
	v_mov_b32_e32 v4, s3
	s_and_saveexec_b64 s[6:7], vcc
	s_cbranch_execz .LBB5395_6
; %bb.5:
	global_load_dword v4, v1, s[0:1] offset:1024
.LBB5395_6:
	;; [unrolled: 9-line block ×7, first 2 shown]
	s_or_b64 exec, exec, s[6:7]
	v_or_b32_e32 v11, 0x400, v0
	v_cmp_gt_u32_e32 vcc, s2, v11
	v_mov_b32_e32 v10, s3
	s_and_saveexec_b64 s[6:7], vcc
	s_cbranch_execz .LBB5395_18
; %bb.17:
	v_lshlrev_b32_e32 v10, 2, v11
	global_load_dword v10, v10, s[0:1]
.LBB5395_18:
	s_or_b64 exec, exec, s[6:7]
	s_load_dword s4, s[4:5], 0x10
	v_or_b32_e32 v12, 0x480, v0
	v_cmp_gt_u32_e32 vcc, s2, v12
	v_mov_b32_e32 v11, s3
	s_and_saveexec_b64 s[2:3], vcc
	s_cbranch_execz .LBB5395_20
; %bb.19:
	v_lshlrev_b32_e32 v11, 2, v12
	global_load_dword v11, v11, s[0:1]
.LBB5395_20:
	s_or_b64 exec, exec, s[2:3]
	s_waitcnt vmcnt(0)
	ds_write2st64_b32 v1, v2, v3 offset1:2
	ds_write2st64_b32 v1, v4, v5 offset0:4 offset1:6
	ds_write2st64_b32 v1, v6, v7 offset0:8 offset1:10
	ds_write2st64_b32 v1, v8, v9 offset0:12 offset1:14
	ds_write2st64_b32 v1, v10, v11 offset0:16 offset1:18
	v_mad_u32_u24 v10, v0, 36, v1
	s_waitcnt lgkmcnt(0)
	s_barrier
	ds_read2_b64 v[6:9], v10 offset1:1
	ds_read2_b64 v[2:5], v10 offset0:2 offset1:3
	ds_read_b64 v[10:11], v10 offset:32
	v_cmp_gt_u32_e32 vcc, 64, v0
	s_waitcnt lgkmcnt(0)
	v_add_u32_e32 v12, v7, v6
	v_add3_u32 v12, v12, v8, v9
	v_add3_u32 v12, v12, v2, v3
	;; [unrolled: 1-line block ×4, first 2 shown]
	v_lshrrev_b32_e32 v12, 3, v0
	v_and_b32_e32 v12, 12, v12
	v_add_u32_e32 v12, v1, v12
	s_barrier
	ds_write_b32 v12, v11
	s_waitcnt lgkmcnt(0)
	s_barrier
	s_and_saveexec_b64 s[0:1], vcc
	s_cbranch_execz .LBB5395_22
; %bb.21:
	v_lshlrev_b32_e32 v12, 1, v0
	v_lshrrev_b32_e32 v13, 4, v0
	v_add_lshl_u32 v14, v13, v12, 2
	ds_read2_b32 v[12:13], v14 offset1:1
	v_mbcnt_lo_u32_b32 v15, -1, 0
	v_mbcnt_hi_u32_b32 v15, -1, v15
	v_and_b32_e32 v16, 15, v15
	v_cmp_ne_u32_e32 vcc, 0, v16
	s_waitcnt lgkmcnt(0)
	v_add_u32_e32 v13, v13, v12
	; wave barrier
	s_nop 1
	v_mov_b32_dpp v17, v13 row_shr:1 row_mask:0xf bank_mask:0xf
	v_cndmask_b32_e32 v17, 0, v17, vcc
	v_add_u32_e32 v13, v17, v13
	v_cmp_lt_u32_e32 vcc, 1, v16
	s_nop 0
	v_mov_b32_dpp v17, v13 row_shr:2 row_mask:0xf bank_mask:0xf
	v_cndmask_b32_e32 v17, 0, v17, vcc
	v_add_u32_e32 v13, v13, v17
	v_cmp_lt_u32_e32 vcc, 3, v16
	;; [unrolled: 5-line block ×3, first 2 shown]
	s_nop 0
	v_mov_b32_dpp v17, v13 row_shr:8 row_mask:0xf bank_mask:0xf
	v_cndmask_b32_e32 v16, 0, v17, vcc
	v_add_u32_e32 v13, v13, v16
	v_bfe_i32 v17, v15, 4, 1
	v_cmp_lt_u32_e32 vcc, 31, v15
	v_mov_b32_dpp v16, v13 row_bcast:15 row_mask:0xf bank_mask:0xf
	v_and_b32_e32 v16, v17, v16
	v_add_u32_e32 v13, v13, v16
	v_and_b32_e32 v17, 64, v15
	s_nop 0
	v_mov_b32_dpp v16, v13 row_bcast:31 row_mask:0xf bank_mask:0xf
	v_cndmask_b32_e32 v16, 0, v16, vcc
	v_add_u32_e32 v13, v13, v16
	v_add_u32_e32 v16, -1, v15
	v_cmp_lt_i32_e32 vcc, v16, v17
	v_cndmask_b32_e32 v15, v16, v15, vcc
	v_lshlrev_b32_e32 v15, 2, v15
	ds_bpermute_b32 v13, v15, v13
	v_cmp_eq_u32_e32 vcc, 0, v0
	s_waitcnt lgkmcnt(0)
	v_add_u32_e32 v12, v13, v12
	v_cndmask_b32_e32 v11, v12, v11, vcc
	ds_write_b32 v14, v11
	; wave barrier
	ds_read_b32 v12, v14 offset:4
	s_waitcnt lgkmcnt(0)
	v_add_u32_e32 v11, v12, v11
	ds_write_b32 v14, v11 offset:4
.LBB5395_22:
	s_or_b64 exec, exec, s[0:1]
	v_mul_u32_u24_e32 v11, 36, v0
	v_cmp_ne_u32_e32 vcc, 0, v0
	v_mov_b32_e32 v12, s4
	s_waitcnt lgkmcnt(0)
	s_barrier
	s_and_saveexec_b64 s[0:1], vcc
	s_cbranch_execz .LBB5395_24
; %bb.23:
	v_add_u32_e32 v0, -1, v0
	v_lshrrev_b32_e32 v12, 5, v0
	v_add_lshl_u32 v0, v12, v0, 2
	ds_read_b32 v0, v0
	s_waitcnt lgkmcnt(0)
	v_add_u32_e32 v12, s4, v0
.LBB5395_24:
	s_or_b64 exec, exec, s[0:1]
	v_add_u32_e32 v13, v12, v6
	v_add_u32_e32 v6, v13, v7
	;; [unrolled: 1-line block ×10, first 2 shown]
	s_barrier
	ds_write2_b64 v0, v[12:13], v[6:7] offset1:1
	ds_write2_b64 v0, v[8:9], v[2:3] offset0:2 offset1:3
	ds_write_b64 v0, v[4:5] offset:32
	s_waitcnt lgkmcnt(0)
	s_barrier
	s_endpgm
	.section	.rodata,"a",@progbits
	.p2align	6, 0x0
	.amdhsa_kernel _ZN7rocprim17ROCPRIM_400000_NS6detail17trampoline_kernelINS0_14default_configENS1_20scan_config_selectorIjEEZZNS1_9scan_implILNS1_25lookback_scan_determinismE0ELb1ELb1ES3_N6thrust23THRUST_200600_302600_NS6detail15normal_iteratorINS9_10device_ptrIjEEEENS9_16discard_iteratorINS9_11use_defaultEEEjNS9_4plusIvEEjEEDaPvRmT3_T4_T5_mT6_P12ihipStream_tbENKUlT_T0_E_clISt17integral_constantIbLb1EESX_EEDaSS_ST_EUlSS_E0_NS1_11comp_targetILNS1_3genE4ELNS1_11target_archE910ELNS1_3gpuE8ELNS1_3repE0EEENS1_30default_config_static_selectorELNS0_4arch9wavefront6targetE1EEEvT1_
		.amdhsa_group_segment_fixed_size 5120
		.amdhsa_private_segment_fixed_size 0
		.amdhsa_kernarg_size 40
		.amdhsa_user_sgpr_count 6
		.amdhsa_user_sgpr_private_segment_buffer 1
		.amdhsa_user_sgpr_dispatch_ptr 0
		.amdhsa_user_sgpr_queue_ptr 0
		.amdhsa_user_sgpr_kernarg_segment_ptr 1
		.amdhsa_user_sgpr_dispatch_id 0
		.amdhsa_user_sgpr_flat_scratch_init 0
		.amdhsa_user_sgpr_kernarg_preload_length 0
		.amdhsa_user_sgpr_kernarg_preload_offset 0
		.amdhsa_user_sgpr_private_segment_size 0
		.amdhsa_uses_dynamic_stack 0
		.amdhsa_system_sgpr_private_segment_wavefront_offset 0
		.amdhsa_system_sgpr_workgroup_id_x 1
		.amdhsa_system_sgpr_workgroup_id_y 0
		.amdhsa_system_sgpr_workgroup_id_z 0
		.amdhsa_system_sgpr_workgroup_info 0
		.amdhsa_system_vgpr_workitem_id 0
		.amdhsa_next_free_vgpr 18
		.amdhsa_next_free_sgpr 8
		.amdhsa_accum_offset 20
		.amdhsa_reserve_vcc 1
		.amdhsa_reserve_flat_scratch 0
		.amdhsa_float_round_mode_32 0
		.amdhsa_float_round_mode_16_64 0
		.amdhsa_float_denorm_mode_32 3
		.amdhsa_float_denorm_mode_16_64 3
		.amdhsa_dx10_clamp 1
		.amdhsa_ieee_mode 1
		.amdhsa_fp16_overflow 0
		.amdhsa_tg_split 0
		.amdhsa_exception_fp_ieee_invalid_op 0
		.amdhsa_exception_fp_denorm_src 0
		.amdhsa_exception_fp_ieee_div_zero 0
		.amdhsa_exception_fp_ieee_overflow 0
		.amdhsa_exception_fp_ieee_underflow 0
		.amdhsa_exception_fp_ieee_inexact 0
		.amdhsa_exception_int_div_zero 0
	.end_amdhsa_kernel
	.section	.text._ZN7rocprim17ROCPRIM_400000_NS6detail17trampoline_kernelINS0_14default_configENS1_20scan_config_selectorIjEEZZNS1_9scan_implILNS1_25lookback_scan_determinismE0ELb1ELb1ES3_N6thrust23THRUST_200600_302600_NS6detail15normal_iteratorINS9_10device_ptrIjEEEENS9_16discard_iteratorINS9_11use_defaultEEEjNS9_4plusIvEEjEEDaPvRmT3_T4_T5_mT6_P12ihipStream_tbENKUlT_T0_E_clISt17integral_constantIbLb1EESX_EEDaSS_ST_EUlSS_E0_NS1_11comp_targetILNS1_3genE4ELNS1_11target_archE910ELNS1_3gpuE8ELNS1_3repE0EEENS1_30default_config_static_selectorELNS0_4arch9wavefront6targetE1EEEvT1_,"axG",@progbits,_ZN7rocprim17ROCPRIM_400000_NS6detail17trampoline_kernelINS0_14default_configENS1_20scan_config_selectorIjEEZZNS1_9scan_implILNS1_25lookback_scan_determinismE0ELb1ELb1ES3_N6thrust23THRUST_200600_302600_NS6detail15normal_iteratorINS9_10device_ptrIjEEEENS9_16discard_iteratorINS9_11use_defaultEEEjNS9_4plusIvEEjEEDaPvRmT3_T4_T5_mT6_P12ihipStream_tbENKUlT_T0_E_clISt17integral_constantIbLb1EESX_EEDaSS_ST_EUlSS_E0_NS1_11comp_targetILNS1_3genE4ELNS1_11target_archE910ELNS1_3gpuE8ELNS1_3repE0EEENS1_30default_config_static_selectorELNS0_4arch9wavefront6targetE1EEEvT1_,comdat
.Lfunc_end5395:
	.size	_ZN7rocprim17ROCPRIM_400000_NS6detail17trampoline_kernelINS0_14default_configENS1_20scan_config_selectorIjEEZZNS1_9scan_implILNS1_25lookback_scan_determinismE0ELb1ELb1ES3_N6thrust23THRUST_200600_302600_NS6detail15normal_iteratorINS9_10device_ptrIjEEEENS9_16discard_iteratorINS9_11use_defaultEEEjNS9_4plusIvEEjEEDaPvRmT3_T4_T5_mT6_P12ihipStream_tbENKUlT_T0_E_clISt17integral_constantIbLb1EESX_EEDaSS_ST_EUlSS_E0_NS1_11comp_targetILNS1_3genE4ELNS1_11target_archE910ELNS1_3gpuE8ELNS1_3repE0EEENS1_30default_config_static_selectorELNS0_4arch9wavefront6targetE1EEEvT1_, .Lfunc_end5395-_ZN7rocprim17ROCPRIM_400000_NS6detail17trampoline_kernelINS0_14default_configENS1_20scan_config_selectorIjEEZZNS1_9scan_implILNS1_25lookback_scan_determinismE0ELb1ELb1ES3_N6thrust23THRUST_200600_302600_NS6detail15normal_iteratorINS9_10device_ptrIjEEEENS9_16discard_iteratorINS9_11use_defaultEEEjNS9_4plusIvEEjEEDaPvRmT3_T4_T5_mT6_P12ihipStream_tbENKUlT_T0_E_clISt17integral_constantIbLb1EESX_EEDaSS_ST_EUlSS_E0_NS1_11comp_targetILNS1_3genE4ELNS1_11target_archE910ELNS1_3gpuE8ELNS1_3repE0EEENS1_30default_config_static_selectorELNS0_4arch9wavefront6targetE1EEEvT1_
                                        ; -- End function
	.section	.AMDGPU.csdata,"",@progbits
; Kernel info:
; codeLenInByte = 984
; NumSgprs: 12
; NumVgprs: 18
; NumAgprs: 0
; TotalNumVgprs: 18
; ScratchSize: 0
; MemoryBound: 0
; FloatMode: 240
; IeeeMode: 1
; LDSByteSize: 5120 bytes/workgroup (compile time only)
; SGPRBlocks: 1
; VGPRBlocks: 2
; NumSGPRsForWavesPerEU: 12
; NumVGPRsForWavesPerEU: 18
; AccumOffset: 20
; Occupancy: 6
; WaveLimiterHint : 0
; COMPUTE_PGM_RSRC2:SCRATCH_EN: 0
; COMPUTE_PGM_RSRC2:USER_SGPR: 6
; COMPUTE_PGM_RSRC2:TRAP_HANDLER: 0
; COMPUTE_PGM_RSRC2:TGID_X_EN: 1
; COMPUTE_PGM_RSRC2:TGID_Y_EN: 0
; COMPUTE_PGM_RSRC2:TGID_Z_EN: 0
; COMPUTE_PGM_RSRC2:TIDIG_COMP_CNT: 0
; COMPUTE_PGM_RSRC3_GFX90A:ACCUM_OFFSET: 4
; COMPUTE_PGM_RSRC3_GFX90A:TG_SPLIT: 0
	.section	.text._ZN7rocprim17ROCPRIM_400000_NS6detail17trampoline_kernelINS0_14default_configENS1_20scan_config_selectorIjEEZZNS1_9scan_implILNS1_25lookback_scan_determinismE0ELb1ELb1ES3_N6thrust23THRUST_200600_302600_NS6detail15normal_iteratorINS9_10device_ptrIjEEEENS9_16discard_iteratorINS9_11use_defaultEEEjNS9_4plusIvEEjEEDaPvRmT3_T4_T5_mT6_P12ihipStream_tbENKUlT_T0_E_clISt17integral_constantIbLb1EESX_EEDaSS_ST_EUlSS_E0_NS1_11comp_targetILNS1_3genE3ELNS1_11target_archE908ELNS1_3gpuE7ELNS1_3repE0EEENS1_30default_config_static_selectorELNS0_4arch9wavefront6targetE1EEEvT1_,"axG",@progbits,_ZN7rocprim17ROCPRIM_400000_NS6detail17trampoline_kernelINS0_14default_configENS1_20scan_config_selectorIjEEZZNS1_9scan_implILNS1_25lookback_scan_determinismE0ELb1ELb1ES3_N6thrust23THRUST_200600_302600_NS6detail15normal_iteratorINS9_10device_ptrIjEEEENS9_16discard_iteratorINS9_11use_defaultEEEjNS9_4plusIvEEjEEDaPvRmT3_T4_T5_mT6_P12ihipStream_tbENKUlT_T0_E_clISt17integral_constantIbLb1EESX_EEDaSS_ST_EUlSS_E0_NS1_11comp_targetILNS1_3genE3ELNS1_11target_archE908ELNS1_3gpuE7ELNS1_3repE0EEENS1_30default_config_static_selectorELNS0_4arch9wavefront6targetE1EEEvT1_,comdat
	.protected	_ZN7rocprim17ROCPRIM_400000_NS6detail17trampoline_kernelINS0_14default_configENS1_20scan_config_selectorIjEEZZNS1_9scan_implILNS1_25lookback_scan_determinismE0ELb1ELb1ES3_N6thrust23THRUST_200600_302600_NS6detail15normal_iteratorINS9_10device_ptrIjEEEENS9_16discard_iteratorINS9_11use_defaultEEEjNS9_4plusIvEEjEEDaPvRmT3_T4_T5_mT6_P12ihipStream_tbENKUlT_T0_E_clISt17integral_constantIbLb1EESX_EEDaSS_ST_EUlSS_E0_NS1_11comp_targetILNS1_3genE3ELNS1_11target_archE908ELNS1_3gpuE7ELNS1_3repE0EEENS1_30default_config_static_selectorELNS0_4arch9wavefront6targetE1EEEvT1_ ; -- Begin function _ZN7rocprim17ROCPRIM_400000_NS6detail17trampoline_kernelINS0_14default_configENS1_20scan_config_selectorIjEEZZNS1_9scan_implILNS1_25lookback_scan_determinismE0ELb1ELb1ES3_N6thrust23THRUST_200600_302600_NS6detail15normal_iteratorINS9_10device_ptrIjEEEENS9_16discard_iteratorINS9_11use_defaultEEEjNS9_4plusIvEEjEEDaPvRmT3_T4_T5_mT6_P12ihipStream_tbENKUlT_T0_E_clISt17integral_constantIbLb1EESX_EEDaSS_ST_EUlSS_E0_NS1_11comp_targetILNS1_3genE3ELNS1_11target_archE908ELNS1_3gpuE7ELNS1_3repE0EEENS1_30default_config_static_selectorELNS0_4arch9wavefront6targetE1EEEvT1_
	.globl	_ZN7rocprim17ROCPRIM_400000_NS6detail17trampoline_kernelINS0_14default_configENS1_20scan_config_selectorIjEEZZNS1_9scan_implILNS1_25lookback_scan_determinismE0ELb1ELb1ES3_N6thrust23THRUST_200600_302600_NS6detail15normal_iteratorINS9_10device_ptrIjEEEENS9_16discard_iteratorINS9_11use_defaultEEEjNS9_4plusIvEEjEEDaPvRmT3_T4_T5_mT6_P12ihipStream_tbENKUlT_T0_E_clISt17integral_constantIbLb1EESX_EEDaSS_ST_EUlSS_E0_NS1_11comp_targetILNS1_3genE3ELNS1_11target_archE908ELNS1_3gpuE7ELNS1_3repE0EEENS1_30default_config_static_selectorELNS0_4arch9wavefront6targetE1EEEvT1_
	.p2align	8
	.type	_ZN7rocprim17ROCPRIM_400000_NS6detail17trampoline_kernelINS0_14default_configENS1_20scan_config_selectorIjEEZZNS1_9scan_implILNS1_25lookback_scan_determinismE0ELb1ELb1ES3_N6thrust23THRUST_200600_302600_NS6detail15normal_iteratorINS9_10device_ptrIjEEEENS9_16discard_iteratorINS9_11use_defaultEEEjNS9_4plusIvEEjEEDaPvRmT3_T4_T5_mT6_P12ihipStream_tbENKUlT_T0_E_clISt17integral_constantIbLb1EESX_EEDaSS_ST_EUlSS_E0_NS1_11comp_targetILNS1_3genE3ELNS1_11target_archE908ELNS1_3gpuE7ELNS1_3repE0EEENS1_30default_config_static_selectorELNS0_4arch9wavefront6targetE1EEEvT1_,@function
_ZN7rocprim17ROCPRIM_400000_NS6detail17trampoline_kernelINS0_14default_configENS1_20scan_config_selectorIjEEZZNS1_9scan_implILNS1_25lookback_scan_determinismE0ELb1ELb1ES3_N6thrust23THRUST_200600_302600_NS6detail15normal_iteratorINS9_10device_ptrIjEEEENS9_16discard_iteratorINS9_11use_defaultEEEjNS9_4plusIvEEjEEDaPvRmT3_T4_T5_mT6_P12ihipStream_tbENKUlT_T0_E_clISt17integral_constantIbLb1EESX_EEDaSS_ST_EUlSS_E0_NS1_11comp_targetILNS1_3genE3ELNS1_11target_archE908ELNS1_3gpuE7ELNS1_3repE0EEENS1_30default_config_static_selectorELNS0_4arch9wavefront6targetE1EEEvT1_: ; @_ZN7rocprim17ROCPRIM_400000_NS6detail17trampoline_kernelINS0_14default_configENS1_20scan_config_selectorIjEEZZNS1_9scan_implILNS1_25lookback_scan_determinismE0ELb1ELb1ES3_N6thrust23THRUST_200600_302600_NS6detail15normal_iteratorINS9_10device_ptrIjEEEENS9_16discard_iteratorINS9_11use_defaultEEEjNS9_4plusIvEEjEEDaPvRmT3_T4_T5_mT6_P12ihipStream_tbENKUlT_T0_E_clISt17integral_constantIbLb1EESX_EEDaSS_ST_EUlSS_E0_NS1_11comp_targetILNS1_3genE3ELNS1_11target_archE908ELNS1_3gpuE7ELNS1_3repE0EEENS1_30default_config_static_selectorELNS0_4arch9wavefront6targetE1EEEvT1_
; %bb.0:
	.section	.rodata,"a",@progbits
	.p2align	6, 0x0
	.amdhsa_kernel _ZN7rocprim17ROCPRIM_400000_NS6detail17trampoline_kernelINS0_14default_configENS1_20scan_config_selectorIjEEZZNS1_9scan_implILNS1_25lookback_scan_determinismE0ELb1ELb1ES3_N6thrust23THRUST_200600_302600_NS6detail15normal_iteratorINS9_10device_ptrIjEEEENS9_16discard_iteratorINS9_11use_defaultEEEjNS9_4plusIvEEjEEDaPvRmT3_T4_T5_mT6_P12ihipStream_tbENKUlT_T0_E_clISt17integral_constantIbLb1EESX_EEDaSS_ST_EUlSS_E0_NS1_11comp_targetILNS1_3genE3ELNS1_11target_archE908ELNS1_3gpuE7ELNS1_3repE0EEENS1_30default_config_static_selectorELNS0_4arch9wavefront6targetE1EEEvT1_
		.amdhsa_group_segment_fixed_size 0
		.amdhsa_private_segment_fixed_size 0
		.amdhsa_kernarg_size 40
		.amdhsa_user_sgpr_count 6
		.amdhsa_user_sgpr_private_segment_buffer 1
		.amdhsa_user_sgpr_dispatch_ptr 0
		.amdhsa_user_sgpr_queue_ptr 0
		.amdhsa_user_sgpr_kernarg_segment_ptr 1
		.amdhsa_user_sgpr_dispatch_id 0
		.amdhsa_user_sgpr_flat_scratch_init 0
		.amdhsa_user_sgpr_kernarg_preload_length 0
		.amdhsa_user_sgpr_kernarg_preload_offset 0
		.amdhsa_user_sgpr_private_segment_size 0
		.amdhsa_uses_dynamic_stack 0
		.amdhsa_system_sgpr_private_segment_wavefront_offset 0
		.amdhsa_system_sgpr_workgroup_id_x 1
		.amdhsa_system_sgpr_workgroup_id_y 0
		.amdhsa_system_sgpr_workgroup_id_z 0
		.amdhsa_system_sgpr_workgroup_info 0
		.amdhsa_system_vgpr_workitem_id 0
		.amdhsa_next_free_vgpr 1
		.amdhsa_next_free_sgpr 0
		.amdhsa_accum_offset 4
		.amdhsa_reserve_vcc 0
		.amdhsa_reserve_flat_scratch 0
		.amdhsa_float_round_mode_32 0
		.amdhsa_float_round_mode_16_64 0
		.amdhsa_float_denorm_mode_32 3
		.amdhsa_float_denorm_mode_16_64 3
		.amdhsa_dx10_clamp 1
		.amdhsa_ieee_mode 1
		.amdhsa_fp16_overflow 0
		.amdhsa_tg_split 0
		.amdhsa_exception_fp_ieee_invalid_op 0
		.amdhsa_exception_fp_denorm_src 0
		.amdhsa_exception_fp_ieee_div_zero 0
		.amdhsa_exception_fp_ieee_overflow 0
		.amdhsa_exception_fp_ieee_underflow 0
		.amdhsa_exception_fp_ieee_inexact 0
		.amdhsa_exception_int_div_zero 0
	.end_amdhsa_kernel
	.section	.text._ZN7rocprim17ROCPRIM_400000_NS6detail17trampoline_kernelINS0_14default_configENS1_20scan_config_selectorIjEEZZNS1_9scan_implILNS1_25lookback_scan_determinismE0ELb1ELb1ES3_N6thrust23THRUST_200600_302600_NS6detail15normal_iteratorINS9_10device_ptrIjEEEENS9_16discard_iteratorINS9_11use_defaultEEEjNS9_4plusIvEEjEEDaPvRmT3_T4_T5_mT6_P12ihipStream_tbENKUlT_T0_E_clISt17integral_constantIbLb1EESX_EEDaSS_ST_EUlSS_E0_NS1_11comp_targetILNS1_3genE3ELNS1_11target_archE908ELNS1_3gpuE7ELNS1_3repE0EEENS1_30default_config_static_selectorELNS0_4arch9wavefront6targetE1EEEvT1_,"axG",@progbits,_ZN7rocprim17ROCPRIM_400000_NS6detail17trampoline_kernelINS0_14default_configENS1_20scan_config_selectorIjEEZZNS1_9scan_implILNS1_25lookback_scan_determinismE0ELb1ELb1ES3_N6thrust23THRUST_200600_302600_NS6detail15normal_iteratorINS9_10device_ptrIjEEEENS9_16discard_iteratorINS9_11use_defaultEEEjNS9_4plusIvEEjEEDaPvRmT3_T4_T5_mT6_P12ihipStream_tbENKUlT_T0_E_clISt17integral_constantIbLb1EESX_EEDaSS_ST_EUlSS_E0_NS1_11comp_targetILNS1_3genE3ELNS1_11target_archE908ELNS1_3gpuE7ELNS1_3repE0EEENS1_30default_config_static_selectorELNS0_4arch9wavefront6targetE1EEEvT1_,comdat
.Lfunc_end5396:
	.size	_ZN7rocprim17ROCPRIM_400000_NS6detail17trampoline_kernelINS0_14default_configENS1_20scan_config_selectorIjEEZZNS1_9scan_implILNS1_25lookback_scan_determinismE0ELb1ELb1ES3_N6thrust23THRUST_200600_302600_NS6detail15normal_iteratorINS9_10device_ptrIjEEEENS9_16discard_iteratorINS9_11use_defaultEEEjNS9_4plusIvEEjEEDaPvRmT3_T4_T5_mT6_P12ihipStream_tbENKUlT_T0_E_clISt17integral_constantIbLb1EESX_EEDaSS_ST_EUlSS_E0_NS1_11comp_targetILNS1_3genE3ELNS1_11target_archE908ELNS1_3gpuE7ELNS1_3repE0EEENS1_30default_config_static_selectorELNS0_4arch9wavefront6targetE1EEEvT1_, .Lfunc_end5396-_ZN7rocprim17ROCPRIM_400000_NS6detail17trampoline_kernelINS0_14default_configENS1_20scan_config_selectorIjEEZZNS1_9scan_implILNS1_25lookback_scan_determinismE0ELb1ELb1ES3_N6thrust23THRUST_200600_302600_NS6detail15normal_iteratorINS9_10device_ptrIjEEEENS9_16discard_iteratorINS9_11use_defaultEEEjNS9_4plusIvEEjEEDaPvRmT3_T4_T5_mT6_P12ihipStream_tbENKUlT_T0_E_clISt17integral_constantIbLb1EESX_EEDaSS_ST_EUlSS_E0_NS1_11comp_targetILNS1_3genE3ELNS1_11target_archE908ELNS1_3gpuE7ELNS1_3repE0EEENS1_30default_config_static_selectorELNS0_4arch9wavefront6targetE1EEEvT1_
                                        ; -- End function
	.section	.AMDGPU.csdata,"",@progbits
; Kernel info:
; codeLenInByte = 0
; NumSgprs: 4
; NumVgprs: 0
; NumAgprs: 0
; TotalNumVgprs: 0
; ScratchSize: 0
; MemoryBound: 0
; FloatMode: 240
; IeeeMode: 1
; LDSByteSize: 0 bytes/workgroup (compile time only)
; SGPRBlocks: 0
; VGPRBlocks: 0
; NumSGPRsForWavesPerEU: 4
; NumVGPRsForWavesPerEU: 1
; AccumOffset: 4
; Occupancy: 8
; WaveLimiterHint : 0
; COMPUTE_PGM_RSRC2:SCRATCH_EN: 0
; COMPUTE_PGM_RSRC2:USER_SGPR: 6
; COMPUTE_PGM_RSRC2:TRAP_HANDLER: 0
; COMPUTE_PGM_RSRC2:TGID_X_EN: 1
; COMPUTE_PGM_RSRC2:TGID_Y_EN: 0
; COMPUTE_PGM_RSRC2:TGID_Z_EN: 0
; COMPUTE_PGM_RSRC2:TIDIG_COMP_CNT: 0
; COMPUTE_PGM_RSRC3_GFX90A:ACCUM_OFFSET: 0
; COMPUTE_PGM_RSRC3_GFX90A:TG_SPLIT: 0
	.section	.text._ZN7rocprim17ROCPRIM_400000_NS6detail17trampoline_kernelINS0_14default_configENS1_20scan_config_selectorIjEEZZNS1_9scan_implILNS1_25lookback_scan_determinismE0ELb1ELb1ES3_N6thrust23THRUST_200600_302600_NS6detail15normal_iteratorINS9_10device_ptrIjEEEENS9_16discard_iteratorINS9_11use_defaultEEEjNS9_4plusIvEEjEEDaPvRmT3_T4_T5_mT6_P12ihipStream_tbENKUlT_T0_E_clISt17integral_constantIbLb1EESX_EEDaSS_ST_EUlSS_E0_NS1_11comp_targetILNS1_3genE2ELNS1_11target_archE906ELNS1_3gpuE6ELNS1_3repE0EEENS1_30default_config_static_selectorELNS0_4arch9wavefront6targetE1EEEvT1_,"axG",@progbits,_ZN7rocprim17ROCPRIM_400000_NS6detail17trampoline_kernelINS0_14default_configENS1_20scan_config_selectorIjEEZZNS1_9scan_implILNS1_25lookback_scan_determinismE0ELb1ELb1ES3_N6thrust23THRUST_200600_302600_NS6detail15normal_iteratorINS9_10device_ptrIjEEEENS9_16discard_iteratorINS9_11use_defaultEEEjNS9_4plusIvEEjEEDaPvRmT3_T4_T5_mT6_P12ihipStream_tbENKUlT_T0_E_clISt17integral_constantIbLb1EESX_EEDaSS_ST_EUlSS_E0_NS1_11comp_targetILNS1_3genE2ELNS1_11target_archE906ELNS1_3gpuE6ELNS1_3repE0EEENS1_30default_config_static_selectorELNS0_4arch9wavefront6targetE1EEEvT1_,comdat
	.protected	_ZN7rocprim17ROCPRIM_400000_NS6detail17trampoline_kernelINS0_14default_configENS1_20scan_config_selectorIjEEZZNS1_9scan_implILNS1_25lookback_scan_determinismE0ELb1ELb1ES3_N6thrust23THRUST_200600_302600_NS6detail15normal_iteratorINS9_10device_ptrIjEEEENS9_16discard_iteratorINS9_11use_defaultEEEjNS9_4plusIvEEjEEDaPvRmT3_T4_T5_mT6_P12ihipStream_tbENKUlT_T0_E_clISt17integral_constantIbLb1EESX_EEDaSS_ST_EUlSS_E0_NS1_11comp_targetILNS1_3genE2ELNS1_11target_archE906ELNS1_3gpuE6ELNS1_3repE0EEENS1_30default_config_static_selectorELNS0_4arch9wavefront6targetE1EEEvT1_ ; -- Begin function _ZN7rocprim17ROCPRIM_400000_NS6detail17trampoline_kernelINS0_14default_configENS1_20scan_config_selectorIjEEZZNS1_9scan_implILNS1_25lookback_scan_determinismE0ELb1ELb1ES3_N6thrust23THRUST_200600_302600_NS6detail15normal_iteratorINS9_10device_ptrIjEEEENS9_16discard_iteratorINS9_11use_defaultEEEjNS9_4plusIvEEjEEDaPvRmT3_T4_T5_mT6_P12ihipStream_tbENKUlT_T0_E_clISt17integral_constantIbLb1EESX_EEDaSS_ST_EUlSS_E0_NS1_11comp_targetILNS1_3genE2ELNS1_11target_archE906ELNS1_3gpuE6ELNS1_3repE0EEENS1_30default_config_static_selectorELNS0_4arch9wavefront6targetE1EEEvT1_
	.globl	_ZN7rocprim17ROCPRIM_400000_NS6detail17trampoline_kernelINS0_14default_configENS1_20scan_config_selectorIjEEZZNS1_9scan_implILNS1_25lookback_scan_determinismE0ELb1ELb1ES3_N6thrust23THRUST_200600_302600_NS6detail15normal_iteratorINS9_10device_ptrIjEEEENS9_16discard_iteratorINS9_11use_defaultEEEjNS9_4plusIvEEjEEDaPvRmT3_T4_T5_mT6_P12ihipStream_tbENKUlT_T0_E_clISt17integral_constantIbLb1EESX_EEDaSS_ST_EUlSS_E0_NS1_11comp_targetILNS1_3genE2ELNS1_11target_archE906ELNS1_3gpuE6ELNS1_3repE0EEENS1_30default_config_static_selectorELNS0_4arch9wavefront6targetE1EEEvT1_
	.p2align	8
	.type	_ZN7rocprim17ROCPRIM_400000_NS6detail17trampoline_kernelINS0_14default_configENS1_20scan_config_selectorIjEEZZNS1_9scan_implILNS1_25lookback_scan_determinismE0ELb1ELb1ES3_N6thrust23THRUST_200600_302600_NS6detail15normal_iteratorINS9_10device_ptrIjEEEENS9_16discard_iteratorINS9_11use_defaultEEEjNS9_4plusIvEEjEEDaPvRmT3_T4_T5_mT6_P12ihipStream_tbENKUlT_T0_E_clISt17integral_constantIbLb1EESX_EEDaSS_ST_EUlSS_E0_NS1_11comp_targetILNS1_3genE2ELNS1_11target_archE906ELNS1_3gpuE6ELNS1_3repE0EEENS1_30default_config_static_selectorELNS0_4arch9wavefront6targetE1EEEvT1_,@function
_ZN7rocprim17ROCPRIM_400000_NS6detail17trampoline_kernelINS0_14default_configENS1_20scan_config_selectorIjEEZZNS1_9scan_implILNS1_25lookback_scan_determinismE0ELb1ELb1ES3_N6thrust23THRUST_200600_302600_NS6detail15normal_iteratorINS9_10device_ptrIjEEEENS9_16discard_iteratorINS9_11use_defaultEEEjNS9_4plusIvEEjEEDaPvRmT3_T4_T5_mT6_P12ihipStream_tbENKUlT_T0_E_clISt17integral_constantIbLb1EESX_EEDaSS_ST_EUlSS_E0_NS1_11comp_targetILNS1_3genE2ELNS1_11target_archE906ELNS1_3gpuE6ELNS1_3repE0EEENS1_30default_config_static_selectorELNS0_4arch9wavefront6targetE1EEEvT1_: ; @_ZN7rocprim17ROCPRIM_400000_NS6detail17trampoline_kernelINS0_14default_configENS1_20scan_config_selectorIjEEZZNS1_9scan_implILNS1_25lookback_scan_determinismE0ELb1ELb1ES3_N6thrust23THRUST_200600_302600_NS6detail15normal_iteratorINS9_10device_ptrIjEEEENS9_16discard_iteratorINS9_11use_defaultEEEjNS9_4plusIvEEjEEDaPvRmT3_T4_T5_mT6_P12ihipStream_tbENKUlT_T0_E_clISt17integral_constantIbLb1EESX_EEDaSS_ST_EUlSS_E0_NS1_11comp_targetILNS1_3genE2ELNS1_11target_archE906ELNS1_3gpuE6ELNS1_3repE0EEENS1_30default_config_static_selectorELNS0_4arch9wavefront6targetE1EEEvT1_
; %bb.0:
	.section	.rodata,"a",@progbits
	.p2align	6, 0x0
	.amdhsa_kernel _ZN7rocprim17ROCPRIM_400000_NS6detail17trampoline_kernelINS0_14default_configENS1_20scan_config_selectorIjEEZZNS1_9scan_implILNS1_25lookback_scan_determinismE0ELb1ELb1ES3_N6thrust23THRUST_200600_302600_NS6detail15normal_iteratorINS9_10device_ptrIjEEEENS9_16discard_iteratorINS9_11use_defaultEEEjNS9_4plusIvEEjEEDaPvRmT3_T4_T5_mT6_P12ihipStream_tbENKUlT_T0_E_clISt17integral_constantIbLb1EESX_EEDaSS_ST_EUlSS_E0_NS1_11comp_targetILNS1_3genE2ELNS1_11target_archE906ELNS1_3gpuE6ELNS1_3repE0EEENS1_30default_config_static_selectorELNS0_4arch9wavefront6targetE1EEEvT1_
		.amdhsa_group_segment_fixed_size 0
		.amdhsa_private_segment_fixed_size 0
		.amdhsa_kernarg_size 40
		.amdhsa_user_sgpr_count 6
		.amdhsa_user_sgpr_private_segment_buffer 1
		.amdhsa_user_sgpr_dispatch_ptr 0
		.amdhsa_user_sgpr_queue_ptr 0
		.amdhsa_user_sgpr_kernarg_segment_ptr 1
		.amdhsa_user_sgpr_dispatch_id 0
		.amdhsa_user_sgpr_flat_scratch_init 0
		.amdhsa_user_sgpr_kernarg_preload_length 0
		.amdhsa_user_sgpr_kernarg_preload_offset 0
		.amdhsa_user_sgpr_private_segment_size 0
		.amdhsa_uses_dynamic_stack 0
		.amdhsa_system_sgpr_private_segment_wavefront_offset 0
		.amdhsa_system_sgpr_workgroup_id_x 1
		.amdhsa_system_sgpr_workgroup_id_y 0
		.amdhsa_system_sgpr_workgroup_id_z 0
		.amdhsa_system_sgpr_workgroup_info 0
		.amdhsa_system_vgpr_workitem_id 0
		.amdhsa_next_free_vgpr 1
		.amdhsa_next_free_sgpr 0
		.amdhsa_accum_offset 4
		.amdhsa_reserve_vcc 0
		.amdhsa_reserve_flat_scratch 0
		.amdhsa_float_round_mode_32 0
		.amdhsa_float_round_mode_16_64 0
		.amdhsa_float_denorm_mode_32 3
		.amdhsa_float_denorm_mode_16_64 3
		.amdhsa_dx10_clamp 1
		.amdhsa_ieee_mode 1
		.amdhsa_fp16_overflow 0
		.amdhsa_tg_split 0
		.amdhsa_exception_fp_ieee_invalid_op 0
		.amdhsa_exception_fp_denorm_src 0
		.amdhsa_exception_fp_ieee_div_zero 0
		.amdhsa_exception_fp_ieee_overflow 0
		.amdhsa_exception_fp_ieee_underflow 0
		.amdhsa_exception_fp_ieee_inexact 0
		.amdhsa_exception_int_div_zero 0
	.end_amdhsa_kernel
	.section	.text._ZN7rocprim17ROCPRIM_400000_NS6detail17trampoline_kernelINS0_14default_configENS1_20scan_config_selectorIjEEZZNS1_9scan_implILNS1_25lookback_scan_determinismE0ELb1ELb1ES3_N6thrust23THRUST_200600_302600_NS6detail15normal_iteratorINS9_10device_ptrIjEEEENS9_16discard_iteratorINS9_11use_defaultEEEjNS9_4plusIvEEjEEDaPvRmT3_T4_T5_mT6_P12ihipStream_tbENKUlT_T0_E_clISt17integral_constantIbLb1EESX_EEDaSS_ST_EUlSS_E0_NS1_11comp_targetILNS1_3genE2ELNS1_11target_archE906ELNS1_3gpuE6ELNS1_3repE0EEENS1_30default_config_static_selectorELNS0_4arch9wavefront6targetE1EEEvT1_,"axG",@progbits,_ZN7rocprim17ROCPRIM_400000_NS6detail17trampoline_kernelINS0_14default_configENS1_20scan_config_selectorIjEEZZNS1_9scan_implILNS1_25lookback_scan_determinismE0ELb1ELb1ES3_N6thrust23THRUST_200600_302600_NS6detail15normal_iteratorINS9_10device_ptrIjEEEENS9_16discard_iteratorINS9_11use_defaultEEEjNS9_4plusIvEEjEEDaPvRmT3_T4_T5_mT6_P12ihipStream_tbENKUlT_T0_E_clISt17integral_constantIbLb1EESX_EEDaSS_ST_EUlSS_E0_NS1_11comp_targetILNS1_3genE2ELNS1_11target_archE906ELNS1_3gpuE6ELNS1_3repE0EEENS1_30default_config_static_selectorELNS0_4arch9wavefront6targetE1EEEvT1_,comdat
.Lfunc_end5397:
	.size	_ZN7rocprim17ROCPRIM_400000_NS6detail17trampoline_kernelINS0_14default_configENS1_20scan_config_selectorIjEEZZNS1_9scan_implILNS1_25lookback_scan_determinismE0ELb1ELb1ES3_N6thrust23THRUST_200600_302600_NS6detail15normal_iteratorINS9_10device_ptrIjEEEENS9_16discard_iteratorINS9_11use_defaultEEEjNS9_4plusIvEEjEEDaPvRmT3_T4_T5_mT6_P12ihipStream_tbENKUlT_T0_E_clISt17integral_constantIbLb1EESX_EEDaSS_ST_EUlSS_E0_NS1_11comp_targetILNS1_3genE2ELNS1_11target_archE906ELNS1_3gpuE6ELNS1_3repE0EEENS1_30default_config_static_selectorELNS0_4arch9wavefront6targetE1EEEvT1_, .Lfunc_end5397-_ZN7rocprim17ROCPRIM_400000_NS6detail17trampoline_kernelINS0_14default_configENS1_20scan_config_selectorIjEEZZNS1_9scan_implILNS1_25lookback_scan_determinismE0ELb1ELb1ES3_N6thrust23THRUST_200600_302600_NS6detail15normal_iteratorINS9_10device_ptrIjEEEENS9_16discard_iteratorINS9_11use_defaultEEEjNS9_4plusIvEEjEEDaPvRmT3_T4_T5_mT6_P12ihipStream_tbENKUlT_T0_E_clISt17integral_constantIbLb1EESX_EEDaSS_ST_EUlSS_E0_NS1_11comp_targetILNS1_3genE2ELNS1_11target_archE906ELNS1_3gpuE6ELNS1_3repE0EEENS1_30default_config_static_selectorELNS0_4arch9wavefront6targetE1EEEvT1_
                                        ; -- End function
	.section	.AMDGPU.csdata,"",@progbits
; Kernel info:
; codeLenInByte = 0
; NumSgprs: 4
; NumVgprs: 0
; NumAgprs: 0
; TotalNumVgprs: 0
; ScratchSize: 0
; MemoryBound: 0
; FloatMode: 240
; IeeeMode: 1
; LDSByteSize: 0 bytes/workgroup (compile time only)
; SGPRBlocks: 0
; VGPRBlocks: 0
; NumSGPRsForWavesPerEU: 4
; NumVGPRsForWavesPerEU: 1
; AccumOffset: 4
; Occupancy: 8
; WaveLimiterHint : 0
; COMPUTE_PGM_RSRC2:SCRATCH_EN: 0
; COMPUTE_PGM_RSRC2:USER_SGPR: 6
; COMPUTE_PGM_RSRC2:TRAP_HANDLER: 0
; COMPUTE_PGM_RSRC2:TGID_X_EN: 1
; COMPUTE_PGM_RSRC2:TGID_Y_EN: 0
; COMPUTE_PGM_RSRC2:TGID_Z_EN: 0
; COMPUTE_PGM_RSRC2:TIDIG_COMP_CNT: 0
; COMPUTE_PGM_RSRC3_GFX90A:ACCUM_OFFSET: 0
; COMPUTE_PGM_RSRC3_GFX90A:TG_SPLIT: 0
	.section	.text._ZN7rocprim17ROCPRIM_400000_NS6detail17trampoline_kernelINS0_14default_configENS1_20scan_config_selectorIjEEZZNS1_9scan_implILNS1_25lookback_scan_determinismE0ELb1ELb1ES3_N6thrust23THRUST_200600_302600_NS6detail15normal_iteratorINS9_10device_ptrIjEEEENS9_16discard_iteratorINS9_11use_defaultEEEjNS9_4plusIvEEjEEDaPvRmT3_T4_T5_mT6_P12ihipStream_tbENKUlT_T0_E_clISt17integral_constantIbLb1EESX_EEDaSS_ST_EUlSS_E0_NS1_11comp_targetILNS1_3genE10ELNS1_11target_archE1201ELNS1_3gpuE5ELNS1_3repE0EEENS1_30default_config_static_selectorELNS0_4arch9wavefront6targetE1EEEvT1_,"axG",@progbits,_ZN7rocprim17ROCPRIM_400000_NS6detail17trampoline_kernelINS0_14default_configENS1_20scan_config_selectorIjEEZZNS1_9scan_implILNS1_25lookback_scan_determinismE0ELb1ELb1ES3_N6thrust23THRUST_200600_302600_NS6detail15normal_iteratorINS9_10device_ptrIjEEEENS9_16discard_iteratorINS9_11use_defaultEEEjNS9_4plusIvEEjEEDaPvRmT3_T4_T5_mT6_P12ihipStream_tbENKUlT_T0_E_clISt17integral_constantIbLb1EESX_EEDaSS_ST_EUlSS_E0_NS1_11comp_targetILNS1_3genE10ELNS1_11target_archE1201ELNS1_3gpuE5ELNS1_3repE0EEENS1_30default_config_static_selectorELNS0_4arch9wavefront6targetE1EEEvT1_,comdat
	.protected	_ZN7rocprim17ROCPRIM_400000_NS6detail17trampoline_kernelINS0_14default_configENS1_20scan_config_selectorIjEEZZNS1_9scan_implILNS1_25lookback_scan_determinismE0ELb1ELb1ES3_N6thrust23THRUST_200600_302600_NS6detail15normal_iteratorINS9_10device_ptrIjEEEENS9_16discard_iteratorINS9_11use_defaultEEEjNS9_4plusIvEEjEEDaPvRmT3_T4_T5_mT6_P12ihipStream_tbENKUlT_T0_E_clISt17integral_constantIbLb1EESX_EEDaSS_ST_EUlSS_E0_NS1_11comp_targetILNS1_3genE10ELNS1_11target_archE1201ELNS1_3gpuE5ELNS1_3repE0EEENS1_30default_config_static_selectorELNS0_4arch9wavefront6targetE1EEEvT1_ ; -- Begin function _ZN7rocprim17ROCPRIM_400000_NS6detail17trampoline_kernelINS0_14default_configENS1_20scan_config_selectorIjEEZZNS1_9scan_implILNS1_25lookback_scan_determinismE0ELb1ELb1ES3_N6thrust23THRUST_200600_302600_NS6detail15normal_iteratorINS9_10device_ptrIjEEEENS9_16discard_iteratorINS9_11use_defaultEEEjNS9_4plusIvEEjEEDaPvRmT3_T4_T5_mT6_P12ihipStream_tbENKUlT_T0_E_clISt17integral_constantIbLb1EESX_EEDaSS_ST_EUlSS_E0_NS1_11comp_targetILNS1_3genE10ELNS1_11target_archE1201ELNS1_3gpuE5ELNS1_3repE0EEENS1_30default_config_static_selectorELNS0_4arch9wavefront6targetE1EEEvT1_
	.globl	_ZN7rocprim17ROCPRIM_400000_NS6detail17trampoline_kernelINS0_14default_configENS1_20scan_config_selectorIjEEZZNS1_9scan_implILNS1_25lookback_scan_determinismE0ELb1ELb1ES3_N6thrust23THRUST_200600_302600_NS6detail15normal_iteratorINS9_10device_ptrIjEEEENS9_16discard_iteratorINS9_11use_defaultEEEjNS9_4plusIvEEjEEDaPvRmT3_T4_T5_mT6_P12ihipStream_tbENKUlT_T0_E_clISt17integral_constantIbLb1EESX_EEDaSS_ST_EUlSS_E0_NS1_11comp_targetILNS1_3genE10ELNS1_11target_archE1201ELNS1_3gpuE5ELNS1_3repE0EEENS1_30default_config_static_selectorELNS0_4arch9wavefront6targetE1EEEvT1_
	.p2align	8
	.type	_ZN7rocprim17ROCPRIM_400000_NS6detail17trampoline_kernelINS0_14default_configENS1_20scan_config_selectorIjEEZZNS1_9scan_implILNS1_25lookback_scan_determinismE0ELb1ELb1ES3_N6thrust23THRUST_200600_302600_NS6detail15normal_iteratorINS9_10device_ptrIjEEEENS9_16discard_iteratorINS9_11use_defaultEEEjNS9_4plusIvEEjEEDaPvRmT3_T4_T5_mT6_P12ihipStream_tbENKUlT_T0_E_clISt17integral_constantIbLb1EESX_EEDaSS_ST_EUlSS_E0_NS1_11comp_targetILNS1_3genE10ELNS1_11target_archE1201ELNS1_3gpuE5ELNS1_3repE0EEENS1_30default_config_static_selectorELNS0_4arch9wavefront6targetE1EEEvT1_,@function
_ZN7rocprim17ROCPRIM_400000_NS6detail17trampoline_kernelINS0_14default_configENS1_20scan_config_selectorIjEEZZNS1_9scan_implILNS1_25lookback_scan_determinismE0ELb1ELb1ES3_N6thrust23THRUST_200600_302600_NS6detail15normal_iteratorINS9_10device_ptrIjEEEENS9_16discard_iteratorINS9_11use_defaultEEEjNS9_4plusIvEEjEEDaPvRmT3_T4_T5_mT6_P12ihipStream_tbENKUlT_T0_E_clISt17integral_constantIbLb1EESX_EEDaSS_ST_EUlSS_E0_NS1_11comp_targetILNS1_3genE10ELNS1_11target_archE1201ELNS1_3gpuE5ELNS1_3repE0EEENS1_30default_config_static_selectorELNS0_4arch9wavefront6targetE1EEEvT1_: ; @_ZN7rocprim17ROCPRIM_400000_NS6detail17trampoline_kernelINS0_14default_configENS1_20scan_config_selectorIjEEZZNS1_9scan_implILNS1_25lookback_scan_determinismE0ELb1ELb1ES3_N6thrust23THRUST_200600_302600_NS6detail15normal_iteratorINS9_10device_ptrIjEEEENS9_16discard_iteratorINS9_11use_defaultEEEjNS9_4plusIvEEjEEDaPvRmT3_T4_T5_mT6_P12ihipStream_tbENKUlT_T0_E_clISt17integral_constantIbLb1EESX_EEDaSS_ST_EUlSS_E0_NS1_11comp_targetILNS1_3genE10ELNS1_11target_archE1201ELNS1_3gpuE5ELNS1_3repE0EEENS1_30default_config_static_selectorELNS0_4arch9wavefront6targetE1EEEvT1_
; %bb.0:
	.section	.rodata,"a",@progbits
	.p2align	6, 0x0
	.amdhsa_kernel _ZN7rocprim17ROCPRIM_400000_NS6detail17trampoline_kernelINS0_14default_configENS1_20scan_config_selectorIjEEZZNS1_9scan_implILNS1_25lookback_scan_determinismE0ELb1ELb1ES3_N6thrust23THRUST_200600_302600_NS6detail15normal_iteratorINS9_10device_ptrIjEEEENS9_16discard_iteratorINS9_11use_defaultEEEjNS9_4plusIvEEjEEDaPvRmT3_T4_T5_mT6_P12ihipStream_tbENKUlT_T0_E_clISt17integral_constantIbLb1EESX_EEDaSS_ST_EUlSS_E0_NS1_11comp_targetILNS1_3genE10ELNS1_11target_archE1201ELNS1_3gpuE5ELNS1_3repE0EEENS1_30default_config_static_selectorELNS0_4arch9wavefront6targetE1EEEvT1_
		.amdhsa_group_segment_fixed_size 0
		.amdhsa_private_segment_fixed_size 0
		.amdhsa_kernarg_size 40
		.amdhsa_user_sgpr_count 6
		.amdhsa_user_sgpr_private_segment_buffer 1
		.amdhsa_user_sgpr_dispatch_ptr 0
		.amdhsa_user_sgpr_queue_ptr 0
		.amdhsa_user_sgpr_kernarg_segment_ptr 1
		.amdhsa_user_sgpr_dispatch_id 0
		.amdhsa_user_sgpr_flat_scratch_init 0
		.amdhsa_user_sgpr_kernarg_preload_length 0
		.amdhsa_user_sgpr_kernarg_preload_offset 0
		.amdhsa_user_sgpr_private_segment_size 0
		.amdhsa_uses_dynamic_stack 0
		.amdhsa_system_sgpr_private_segment_wavefront_offset 0
		.amdhsa_system_sgpr_workgroup_id_x 1
		.amdhsa_system_sgpr_workgroup_id_y 0
		.amdhsa_system_sgpr_workgroup_id_z 0
		.amdhsa_system_sgpr_workgroup_info 0
		.amdhsa_system_vgpr_workitem_id 0
		.amdhsa_next_free_vgpr 1
		.amdhsa_next_free_sgpr 0
		.amdhsa_accum_offset 4
		.amdhsa_reserve_vcc 0
		.amdhsa_reserve_flat_scratch 0
		.amdhsa_float_round_mode_32 0
		.amdhsa_float_round_mode_16_64 0
		.amdhsa_float_denorm_mode_32 3
		.amdhsa_float_denorm_mode_16_64 3
		.amdhsa_dx10_clamp 1
		.amdhsa_ieee_mode 1
		.amdhsa_fp16_overflow 0
		.amdhsa_tg_split 0
		.amdhsa_exception_fp_ieee_invalid_op 0
		.amdhsa_exception_fp_denorm_src 0
		.amdhsa_exception_fp_ieee_div_zero 0
		.amdhsa_exception_fp_ieee_overflow 0
		.amdhsa_exception_fp_ieee_underflow 0
		.amdhsa_exception_fp_ieee_inexact 0
		.amdhsa_exception_int_div_zero 0
	.end_amdhsa_kernel
	.section	.text._ZN7rocprim17ROCPRIM_400000_NS6detail17trampoline_kernelINS0_14default_configENS1_20scan_config_selectorIjEEZZNS1_9scan_implILNS1_25lookback_scan_determinismE0ELb1ELb1ES3_N6thrust23THRUST_200600_302600_NS6detail15normal_iteratorINS9_10device_ptrIjEEEENS9_16discard_iteratorINS9_11use_defaultEEEjNS9_4plusIvEEjEEDaPvRmT3_T4_T5_mT6_P12ihipStream_tbENKUlT_T0_E_clISt17integral_constantIbLb1EESX_EEDaSS_ST_EUlSS_E0_NS1_11comp_targetILNS1_3genE10ELNS1_11target_archE1201ELNS1_3gpuE5ELNS1_3repE0EEENS1_30default_config_static_selectorELNS0_4arch9wavefront6targetE1EEEvT1_,"axG",@progbits,_ZN7rocprim17ROCPRIM_400000_NS6detail17trampoline_kernelINS0_14default_configENS1_20scan_config_selectorIjEEZZNS1_9scan_implILNS1_25lookback_scan_determinismE0ELb1ELb1ES3_N6thrust23THRUST_200600_302600_NS6detail15normal_iteratorINS9_10device_ptrIjEEEENS9_16discard_iteratorINS9_11use_defaultEEEjNS9_4plusIvEEjEEDaPvRmT3_T4_T5_mT6_P12ihipStream_tbENKUlT_T0_E_clISt17integral_constantIbLb1EESX_EEDaSS_ST_EUlSS_E0_NS1_11comp_targetILNS1_3genE10ELNS1_11target_archE1201ELNS1_3gpuE5ELNS1_3repE0EEENS1_30default_config_static_selectorELNS0_4arch9wavefront6targetE1EEEvT1_,comdat
.Lfunc_end5398:
	.size	_ZN7rocprim17ROCPRIM_400000_NS6detail17trampoline_kernelINS0_14default_configENS1_20scan_config_selectorIjEEZZNS1_9scan_implILNS1_25lookback_scan_determinismE0ELb1ELb1ES3_N6thrust23THRUST_200600_302600_NS6detail15normal_iteratorINS9_10device_ptrIjEEEENS9_16discard_iteratorINS9_11use_defaultEEEjNS9_4plusIvEEjEEDaPvRmT3_T4_T5_mT6_P12ihipStream_tbENKUlT_T0_E_clISt17integral_constantIbLb1EESX_EEDaSS_ST_EUlSS_E0_NS1_11comp_targetILNS1_3genE10ELNS1_11target_archE1201ELNS1_3gpuE5ELNS1_3repE0EEENS1_30default_config_static_selectorELNS0_4arch9wavefront6targetE1EEEvT1_, .Lfunc_end5398-_ZN7rocprim17ROCPRIM_400000_NS6detail17trampoline_kernelINS0_14default_configENS1_20scan_config_selectorIjEEZZNS1_9scan_implILNS1_25lookback_scan_determinismE0ELb1ELb1ES3_N6thrust23THRUST_200600_302600_NS6detail15normal_iteratorINS9_10device_ptrIjEEEENS9_16discard_iteratorINS9_11use_defaultEEEjNS9_4plusIvEEjEEDaPvRmT3_T4_T5_mT6_P12ihipStream_tbENKUlT_T0_E_clISt17integral_constantIbLb1EESX_EEDaSS_ST_EUlSS_E0_NS1_11comp_targetILNS1_3genE10ELNS1_11target_archE1201ELNS1_3gpuE5ELNS1_3repE0EEENS1_30default_config_static_selectorELNS0_4arch9wavefront6targetE1EEEvT1_
                                        ; -- End function
	.section	.AMDGPU.csdata,"",@progbits
; Kernel info:
; codeLenInByte = 0
; NumSgprs: 4
; NumVgprs: 0
; NumAgprs: 0
; TotalNumVgprs: 0
; ScratchSize: 0
; MemoryBound: 0
; FloatMode: 240
; IeeeMode: 1
; LDSByteSize: 0 bytes/workgroup (compile time only)
; SGPRBlocks: 0
; VGPRBlocks: 0
; NumSGPRsForWavesPerEU: 4
; NumVGPRsForWavesPerEU: 1
; AccumOffset: 4
; Occupancy: 8
; WaveLimiterHint : 0
; COMPUTE_PGM_RSRC2:SCRATCH_EN: 0
; COMPUTE_PGM_RSRC2:USER_SGPR: 6
; COMPUTE_PGM_RSRC2:TRAP_HANDLER: 0
; COMPUTE_PGM_RSRC2:TGID_X_EN: 1
; COMPUTE_PGM_RSRC2:TGID_Y_EN: 0
; COMPUTE_PGM_RSRC2:TGID_Z_EN: 0
; COMPUTE_PGM_RSRC2:TIDIG_COMP_CNT: 0
; COMPUTE_PGM_RSRC3_GFX90A:ACCUM_OFFSET: 0
; COMPUTE_PGM_RSRC3_GFX90A:TG_SPLIT: 0
	.section	.text._ZN7rocprim17ROCPRIM_400000_NS6detail17trampoline_kernelINS0_14default_configENS1_20scan_config_selectorIjEEZZNS1_9scan_implILNS1_25lookback_scan_determinismE0ELb1ELb1ES3_N6thrust23THRUST_200600_302600_NS6detail15normal_iteratorINS9_10device_ptrIjEEEENS9_16discard_iteratorINS9_11use_defaultEEEjNS9_4plusIvEEjEEDaPvRmT3_T4_T5_mT6_P12ihipStream_tbENKUlT_T0_E_clISt17integral_constantIbLb1EESX_EEDaSS_ST_EUlSS_E0_NS1_11comp_targetILNS1_3genE10ELNS1_11target_archE1200ELNS1_3gpuE4ELNS1_3repE0EEENS1_30default_config_static_selectorELNS0_4arch9wavefront6targetE1EEEvT1_,"axG",@progbits,_ZN7rocprim17ROCPRIM_400000_NS6detail17trampoline_kernelINS0_14default_configENS1_20scan_config_selectorIjEEZZNS1_9scan_implILNS1_25lookback_scan_determinismE0ELb1ELb1ES3_N6thrust23THRUST_200600_302600_NS6detail15normal_iteratorINS9_10device_ptrIjEEEENS9_16discard_iteratorINS9_11use_defaultEEEjNS9_4plusIvEEjEEDaPvRmT3_T4_T5_mT6_P12ihipStream_tbENKUlT_T0_E_clISt17integral_constantIbLb1EESX_EEDaSS_ST_EUlSS_E0_NS1_11comp_targetILNS1_3genE10ELNS1_11target_archE1200ELNS1_3gpuE4ELNS1_3repE0EEENS1_30default_config_static_selectorELNS0_4arch9wavefront6targetE1EEEvT1_,comdat
	.protected	_ZN7rocprim17ROCPRIM_400000_NS6detail17trampoline_kernelINS0_14default_configENS1_20scan_config_selectorIjEEZZNS1_9scan_implILNS1_25lookback_scan_determinismE0ELb1ELb1ES3_N6thrust23THRUST_200600_302600_NS6detail15normal_iteratorINS9_10device_ptrIjEEEENS9_16discard_iteratorINS9_11use_defaultEEEjNS9_4plusIvEEjEEDaPvRmT3_T4_T5_mT6_P12ihipStream_tbENKUlT_T0_E_clISt17integral_constantIbLb1EESX_EEDaSS_ST_EUlSS_E0_NS1_11comp_targetILNS1_3genE10ELNS1_11target_archE1200ELNS1_3gpuE4ELNS1_3repE0EEENS1_30default_config_static_selectorELNS0_4arch9wavefront6targetE1EEEvT1_ ; -- Begin function _ZN7rocprim17ROCPRIM_400000_NS6detail17trampoline_kernelINS0_14default_configENS1_20scan_config_selectorIjEEZZNS1_9scan_implILNS1_25lookback_scan_determinismE0ELb1ELb1ES3_N6thrust23THRUST_200600_302600_NS6detail15normal_iteratorINS9_10device_ptrIjEEEENS9_16discard_iteratorINS9_11use_defaultEEEjNS9_4plusIvEEjEEDaPvRmT3_T4_T5_mT6_P12ihipStream_tbENKUlT_T0_E_clISt17integral_constantIbLb1EESX_EEDaSS_ST_EUlSS_E0_NS1_11comp_targetILNS1_3genE10ELNS1_11target_archE1200ELNS1_3gpuE4ELNS1_3repE0EEENS1_30default_config_static_selectorELNS0_4arch9wavefront6targetE1EEEvT1_
	.globl	_ZN7rocprim17ROCPRIM_400000_NS6detail17trampoline_kernelINS0_14default_configENS1_20scan_config_selectorIjEEZZNS1_9scan_implILNS1_25lookback_scan_determinismE0ELb1ELb1ES3_N6thrust23THRUST_200600_302600_NS6detail15normal_iteratorINS9_10device_ptrIjEEEENS9_16discard_iteratorINS9_11use_defaultEEEjNS9_4plusIvEEjEEDaPvRmT3_T4_T5_mT6_P12ihipStream_tbENKUlT_T0_E_clISt17integral_constantIbLb1EESX_EEDaSS_ST_EUlSS_E0_NS1_11comp_targetILNS1_3genE10ELNS1_11target_archE1200ELNS1_3gpuE4ELNS1_3repE0EEENS1_30default_config_static_selectorELNS0_4arch9wavefront6targetE1EEEvT1_
	.p2align	8
	.type	_ZN7rocprim17ROCPRIM_400000_NS6detail17trampoline_kernelINS0_14default_configENS1_20scan_config_selectorIjEEZZNS1_9scan_implILNS1_25lookback_scan_determinismE0ELb1ELb1ES3_N6thrust23THRUST_200600_302600_NS6detail15normal_iteratorINS9_10device_ptrIjEEEENS9_16discard_iteratorINS9_11use_defaultEEEjNS9_4plusIvEEjEEDaPvRmT3_T4_T5_mT6_P12ihipStream_tbENKUlT_T0_E_clISt17integral_constantIbLb1EESX_EEDaSS_ST_EUlSS_E0_NS1_11comp_targetILNS1_3genE10ELNS1_11target_archE1200ELNS1_3gpuE4ELNS1_3repE0EEENS1_30default_config_static_selectorELNS0_4arch9wavefront6targetE1EEEvT1_,@function
_ZN7rocprim17ROCPRIM_400000_NS6detail17trampoline_kernelINS0_14default_configENS1_20scan_config_selectorIjEEZZNS1_9scan_implILNS1_25lookback_scan_determinismE0ELb1ELb1ES3_N6thrust23THRUST_200600_302600_NS6detail15normal_iteratorINS9_10device_ptrIjEEEENS9_16discard_iteratorINS9_11use_defaultEEEjNS9_4plusIvEEjEEDaPvRmT3_T4_T5_mT6_P12ihipStream_tbENKUlT_T0_E_clISt17integral_constantIbLb1EESX_EEDaSS_ST_EUlSS_E0_NS1_11comp_targetILNS1_3genE10ELNS1_11target_archE1200ELNS1_3gpuE4ELNS1_3repE0EEENS1_30default_config_static_selectorELNS0_4arch9wavefront6targetE1EEEvT1_: ; @_ZN7rocprim17ROCPRIM_400000_NS6detail17trampoline_kernelINS0_14default_configENS1_20scan_config_selectorIjEEZZNS1_9scan_implILNS1_25lookback_scan_determinismE0ELb1ELb1ES3_N6thrust23THRUST_200600_302600_NS6detail15normal_iteratorINS9_10device_ptrIjEEEENS9_16discard_iteratorINS9_11use_defaultEEEjNS9_4plusIvEEjEEDaPvRmT3_T4_T5_mT6_P12ihipStream_tbENKUlT_T0_E_clISt17integral_constantIbLb1EESX_EEDaSS_ST_EUlSS_E0_NS1_11comp_targetILNS1_3genE10ELNS1_11target_archE1200ELNS1_3gpuE4ELNS1_3repE0EEENS1_30default_config_static_selectorELNS0_4arch9wavefront6targetE1EEEvT1_
; %bb.0:
	.section	.rodata,"a",@progbits
	.p2align	6, 0x0
	.amdhsa_kernel _ZN7rocprim17ROCPRIM_400000_NS6detail17trampoline_kernelINS0_14default_configENS1_20scan_config_selectorIjEEZZNS1_9scan_implILNS1_25lookback_scan_determinismE0ELb1ELb1ES3_N6thrust23THRUST_200600_302600_NS6detail15normal_iteratorINS9_10device_ptrIjEEEENS9_16discard_iteratorINS9_11use_defaultEEEjNS9_4plusIvEEjEEDaPvRmT3_T4_T5_mT6_P12ihipStream_tbENKUlT_T0_E_clISt17integral_constantIbLb1EESX_EEDaSS_ST_EUlSS_E0_NS1_11comp_targetILNS1_3genE10ELNS1_11target_archE1200ELNS1_3gpuE4ELNS1_3repE0EEENS1_30default_config_static_selectorELNS0_4arch9wavefront6targetE1EEEvT1_
		.amdhsa_group_segment_fixed_size 0
		.amdhsa_private_segment_fixed_size 0
		.amdhsa_kernarg_size 40
		.amdhsa_user_sgpr_count 6
		.amdhsa_user_sgpr_private_segment_buffer 1
		.amdhsa_user_sgpr_dispatch_ptr 0
		.amdhsa_user_sgpr_queue_ptr 0
		.amdhsa_user_sgpr_kernarg_segment_ptr 1
		.amdhsa_user_sgpr_dispatch_id 0
		.amdhsa_user_sgpr_flat_scratch_init 0
		.amdhsa_user_sgpr_kernarg_preload_length 0
		.amdhsa_user_sgpr_kernarg_preload_offset 0
		.amdhsa_user_sgpr_private_segment_size 0
		.amdhsa_uses_dynamic_stack 0
		.amdhsa_system_sgpr_private_segment_wavefront_offset 0
		.amdhsa_system_sgpr_workgroup_id_x 1
		.amdhsa_system_sgpr_workgroup_id_y 0
		.amdhsa_system_sgpr_workgroup_id_z 0
		.amdhsa_system_sgpr_workgroup_info 0
		.amdhsa_system_vgpr_workitem_id 0
		.amdhsa_next_free_vgpr 1
		.amdhsa_next_free_sgpr 0
		.amdhsa_accum_offset 4
		.amdhsa_reserve_vcc 0
		.amdhsa_reserve_flat_scratch 0
		.amdhsa_float_round_mode_32 0
		.amdhsa_float_round_mode_16_64 0
		.amdhsa_float_denorm_mode_32 3
		.amdhsa_float_denorm_mode_16_64 3
		.amdhsa_dx10_clamp 1
		.amdhsa_ieee_mode 1
		.amdhsa_fp16_overflow 0
		.amdhsa_tg_split 0
		.amdhsa_exception_fp_ieee_invalid_op 0
		.amdhsa_exception_fp_denorm_src 0
		.amdhsa_exception_fp_ieee_div_zero 0
		.amdhsa_exception_fp_ieee_overflow 0
		.amdhsa_exception_fp_ieee_underflow 0
		.amdhsa_exception_fp_ieee_inexact 0
		.amdhsa_exception_int_div_zero 0
	.end_amdhsa_kernel
	.section	.text._ZN7rocprim17ROCPRIM_400000_NS6detail17trampoline_kernelINS0_14default_configENS1_20scan_config_selectorIjEEZZNS1_9scan_implILNS1_25lookback_scan_determinismE0ELb1ELb1ES3_N6thrust23THRUST_200600_302600_NS6detail15normal_iteratorINS9_10device_ptrIjEEEENS9_16discard_iteratorINS9_11use_defaultEEEjNS9_4plusIvEEjEEDaPvRmT3_T4_T5_mT6_P12ihipStream_tbENKUlT_T0_E_clISt17integral_constantIbLb1EESX_EEDaSS_ST_EUlSS_E0_NS1_11comp_targetILNS1_3genE10ELNS1_11target_archE1200ELNS1_3gpuE4ELNS1_3repE0EEENS1_30default_config_static_selectorELNS0_4arch9wavefront6targetE1EEEvT1_,"axG",@progbits,_ZN7rocprim17ROCPRIM_400000_NS6detail17trampoline_kernelINS0_14default_configENS1_20scan_config_selectorIjEEZZNS1_9scan_implILNS1_25lookback_scan_determinismE0ELb1ELb1ES3_N6thrust23THRUST_200600_302600_NS6detail15normal_iteratorINS9_10device_ptrIjEEEENS9_16discard_iteratorINS9_11use_defaultEEEjNS9_4plusIvEEjEEDaPvRmT3_T4_T5_mT6_P12ihipStream_tbENKUlT_T0_E_clISt17integral_constantIbLb1EESX_EEDaSS_ST_EUlSS_E0_NS1_11comp_targetILNS1_3genE10ELNS1_11target_archE1200ELNS1_3gpuE4ELNS1_3repE0EEENS1_30default_config_static_selectorELNS0_4arch9wavefront6targetE1EEEvT1_,comdat
.Lfunc_end5399:
	.size	_ZN7rocprim17ROCPRIM_400000_NS6detail17trampoline_kernelINS0_14default_configENS1_20scan_config_selectorIjEEZZNS1_9scan_implILNS1_25lookback_scan_determinismE0ELb1ELb1ES3_N6thrust23THRUST_200600_302600_NS6detail15normal_iteratorINS9_10device_ptrIjEEEENS9_16discard_iteratorINS9_11use_defaultEEEjNS9_4plusIvEEjEEDaPvRmT3_T4_T5_mT6_P12ihipStream_tbENKUlT_T0_E_clISt17integral_constantIbLb1EESX_EEDaSS_ST_EUlSS_E0_NS1_11comp_targetILNS1_3genE10ELNS1_11target_archE1200ELNS1_3gpuE4ELNS1_3repE0EEENS1_30default_config_static_selectorELNS0_4arch9wavefront6targetE1EEEvT1_, .Lfunc_end5399-_ZN7rocprim17ROCPRIM_400000_NS6detail17trampoline_kernelINS0_14default_configENS1_20scan_config_selectorIjEEZZNS1_9scan_implILNS1_25lookback_scan_determinismE0ELb1ELb1ES3_N6thrust23THRUST_200600_302600_NS6detail15normal_iteratorINS9_10device_ptrIjEEEENS9_16discard_iteratorINS9_11use_defaultEEEjNS9_4plusIvEEjEEDaPvRmT3_T4_T5_mT6_P12ihipStream_tbENKUlT_T0_E_clISt17integral_constantIbLb1EESX_EEDaSS_ST_EUlSS_E0_NS1_11comp_targetILNS1_3genE10ELNS1_11target_archE1200ELNS1_3gpuE4ELNS1_3repE0EEENS1_30default_config_static_selectorELNS0_4arch9wavefront6targetE1EEEvT1_
                                        ; -- End function
	.section	.AMDGPU.csdata,"",@progbits
; Kernel info:
; codeLenInByte = 0
; NumSgprs: 4
; NumVgprs: 0
; NumAgprs: 0
; TotalNumVgprs: 0
; ScratchSize: 0
; MemoryBound: 0
; FloatMode: 240
; IeeeMode: 1
; LDSByteSize: 0 bytes/workgroup (compile time only)
; SGPRBlocks: 0
; VGPRBlocks: 0
; NumSGPRsForWavesPerEU: 4
; NumVGPRsForWavesPerEU: 1
; AccumOffset: 4
; Occupancy: 8
; WaveLimiterHint : 0
; COMPUTE_PGM_RSRC2:SCRATCH_EN: 0
; COMPUTE_PGM_RSRC2:USER_SGPR: 6
; COMPUTE_PGM_RSRC2:TRAP_HANDLER: 0
; COMPUTE_PGM_RSRC2:TGID_X_EN: 1
; COMPUTE_PGM_RSRC2:TGID_Y_EN: 0
; COMPUTE_PGM_RSRC2:TGID_Z_EN: 0
; COMPUTE_PGM_RSRC2:TIDIG_COMP_CNT: 0
; COMPUTE_PGM_RSRC3_GFX90A:ACCUM_OFFSET: 0
; COMPUTE_PGM_RSRC3_GFX90A:TG_SPLIT: 0
	.section	.text._ZN7rocprim17ROCPRIM_400000_NS6detail17trampoline_kernelINS0_14default_configENS1_20scan_config_selectorIjEEZZNS1_9scan_implILNS1_25lookback_scan_determinismE0ELb1ELb1ES3_N6thrust23THRUST_200600_302600_NS6detail15normal_iteratorINS9_10device_ptrIjEEEENS9_16discard_iteratorINS9_11use_defaultEEEjNS9_4plusIvEEjEEDaPvRmT3_T4_T5_mT6_P12ihipStream_tbENKUlT_T0_E_clISt17integral_constantIbLb1EESX_EEDaSS_ST_EUlSS_E0_NS1_11comp_targetILNS1_3genE9ELNS1_11target_archE1100ELNS1_3gpuE3ELNS1_3repE0EEENS1_30default_config_static_selectorELNS0_4arch9wavefront6targetE1EEEvT1_,"axG",@progbits,_ZN7rocprim17ROCPRIM_400000_NS6detail17trampoline_kernelINS0_14default_configENS1_20scan_config_selectorIjEEZZNS1_9scan_implILNS1_25lookback_scan_determinismE0ELb1ELb1ES3_N6thrust23THRUST_200600_302600_NS6detail15normal_iteratorINS9_10device_ptrIjEEEENS9_16discard_iteratorINS9_11use_defaultEEEjNS9_4plusIvEEjEEDaPvRmT3_T4_T5_mT6_P12ihipStream_tbENKUlT_T0_E_clISt17integral_constantIbLb1EESX_EEDaSS_ST_EUlSS_E0_NS1_11comp_targetILNS1_3genE9ELNS1_11target_archE1100ELNS1_3gpuE3ELNS1_3repE0EEENS1_30default_config_static_selectorELNS0_4arch9wavefront6targetE1EEEvT1_,comdat
	.protected	_ZN7rocprim17ROCPRIM_400000_NS6detail17trampoline_kernelINS0_14default_configENS1_20scan_config_selectorIjEEZZNS1_9scan_implILNS1_25lookback_scan_determinismE0ELb1ELb1ES3_N6thrust23THRUST_200600_302600_NS6detail15normal_iteratorINS9_10device_ptrIjEEEENS9_16discard_iteratorINS9_11use_defaultEEEjNS9_4plusIvEEjEEDaPvRmT3_T4_T5_mT6_P12ihipStream_tbENKUlT_T0_E_clISt17integral_constantIbLb1EESX_EEDaSS_ST_EUlSS_E0_NS1_11comp_targetILNS1_3genE9ELNS1_11target_archE1100ELNS1_3gpuE3ELNS1_3repE0EEENS1_30default_config_static_selectorELNS0_4arch9wavefront6targetE1EEEvT1_ ; -- Begin function _ZN7rocprim17ROCPRIM_400000_NS6detail17trampoline_kernelINS0_14default_configENS1_20scan_config_selectorIjEEZZNS1_9scan_implILNS1_25lookback_scan_determinismE0ELb1ELb1ES3_N6thrust23THRUST_200600_302600_NS6detail15normal_iteratorINS9_10device_ptrIjEEEENS9_16discard_iteratorINS9_11use_defaultEEEjNS9_4plusIvEEjEEDaPvRmT3_T4_T5_mT6_P12ihipStream_tbENKUlT_T0_E_clISt17integral_constantIbLb1EESX_EEDaSS_ST_EUlSS_E0_NS1_11comp_targetILNS1_3genE9ELNS1_11target_archE1100ELNS1_3gpuE3ELNS1_3repE0EEENS1_30default_config_static_selectorELNS0_4arch9wavefront6targetE1EEEvT1_
	.globl	_ZN7rocprim17ROCPRIM_400000_NS6detail17trampoline_kernelINS0_14default_configENS1_20scan_config_selectorIjEEZZNS1_9scan_implILNS1_25lookback_scan_determinismE0ELb1ELb1ES3_N6thrust23THRUST_200600_302600_NS6detail15normal_iteratorINS9_10device_ptrIjEEEENS9_16discard_iteratorINS9_11use_defaultEEEjNS9_4plusIvEEjEEDaPvRmT3_T4_T5_mT6_P12ihipStream_tbENKUlT_T0_E_clISt17integral_constantIbLb1EESX_EEDaSS_ST_EUlSS_E0_NS1_11comp_targetILNS1_3genE9ELNS1_11target_archE1100ELNS1_3gpuE3ELNS1_3repE0EEENS1_30default_config_static_selectorELNS0_4arch9wavefront6targetE1EEEvT1_
	.p2align	8
	.type	_ZN7rocprim17ROCPRIM_400000_NS6detail17trampoline_kernelINS0_14default_configENS1_20scan_config_selectorIjEEZZNS1_9scan_implILNS1_25lookback_scan_determinismE0ELb1ELb1ES3_N6thrust23THRUST_200600_302600_NS6detail15normal_iteratorINS9_10device_ptrIjEEEENS9_16discard_iteratorINS9_11use_defaultEEEjNS9_4plusIvEEjEEDaPvRmT3_T4_T5_mT6_P12ihipStream_tbENKUlT_T0_E_clISt17integral_constantIbLb1EESX_EEDaSS_ST_EUlSS_E0_NS1_11comp_targetILNS1_3genE9ELNS1_11target_archE1100ELNS1_3gpuE3ELNS1_3repE0EEENS1_30default_config_static_selectorELNS0_4arch9wavefront6targetE1EEEvT1_,@function
_ZN7rocprim17ROCPRIM_400000_NS6detail17trampoline_kernelINS0_14default_configENS1_20scan_config_selectorIjEEZZNS1_9scan_implILNS1_25lookback_scan_determinismE0ELb1ELb1ES3_N6thrust23THRUST_200600_302600_NS6detail15normal_iteratorINS9_10device_ptrIjEEEENS9_16discard_iteratorINS9_11use_defaultEEEjNS9_4plusIvEEjEEDaPvRmT3_T4_T5_mT6_P12ihipStream_tbENKUlT_T0_E_clISt17integral_constantIbLb1EESX_EEDaSS_ST_EUlSS_E0_NS1_11comp_targetILNS1_3genE9ELNS1_11target_archE1100ELNS1_3gpuE3ELNS1_3repE0EEENS1_30default_config_static_selectorELNS0_4arch9wavefront6targetE1EEEvT1_: ; @_ZN7rocprim17ROCPRIM_400000_NS6detail17trampoline_kernelINS0_14default_configENS1_20scan_config_selectorIjEEZZNS1_9scan_implILNS1_25lookback_scan_determinismE0ELb1ELb1ES3_N6thrust23THRUST_200600_302600_NS6detail15normal_iteratorINS9_10device_ptrIjEEEENS9_16discard_iteratorINS9_11use_defaultEEEjNS9_4plusIvEEjEEDaPvRmT3_T4_T5_mT6_P12ihipStream_tbENKUlT_T0_E_clISt17integral_constantIbLb1EESX_EEDaSS_ST_EUlSS_E0_NS1_11comp_targetILNS1_3genE9ELNS1_11target_archE1100ELNS1_3gpuE3ELNS1_3repE0EEENS1_30default_config_static_selectorELNS0_4arch9wavefront6targetE1EEEvT1_
; %bb.0:
	.section	.rodata,"a",@progbits
	.p2align	6, 0x0
	.amdhsa_kernel _ZN7rocprim17ROCPRIM_400000_NS6detail17trampoline_kernelINS0_14default_configENS1_20scan_config_selectorIjEEZZNS1_9scan_implILNS1_25lookback_scan_determinismE0ELb1ELb1ES3_N6thrust23THRUST_200600_302600_NS6detail15normal_iteratorINS9_10device_ptrIjEEEENS9_16discard_iteratorINS9_11use_defaultEEEjNS9_4plusIvEEjEEDaPvRmT3_T4_T5_mT6_P12ihipStream_tbENKUlT_T0_E_clISt17integral_constantIbLb1EESX_EEDaSS_ST_EUlSS_E0_NS1_11comp_targetILNS1_3genE9ELNS1_11target_archE1100ELNS1_3gpuE3ELNS1_3repE0EEENS1_30default_config_static_selectorELNS0_4arch9wavefront6targetE1EEEvT1_
		.amdhsa_group_segment_fixed_size 0
		.amdhsa_private_segment_fixed_size 0
		.amdhsa_kernarg_size 40
		.amdhsa_user_sgpr_count 6
		.amdhsa_user_sgpr_private_segment_buffer 1
		.amdhsa_user_sgpr_dispatch_ptr 0
		.amdhsa_user_sgpr_queue_ptr 0
		.amdhsa_user_sgpr_kernarg_segment_ptr 1
		.amdhsa_user_sgpr_dispatch_id 0
		.amdhsa_user_sgpr_flat_scratch_init 0
		.amdhsa_user_sgpr_kernarg_preload_length 0
		.amdhsa_user_sgpr_kernarg_preload_offset 0
		.amdhsa_user_sgpr_private_segment_size 0
		.amdhsa_uses_dynamic_stack 0
		.amdhsa_system_sgpr_private_segment_wavefront_offset 0
		.amdhsa_system_sgpr_workgroup_id_x 1
		.amdhsa_system_sgpr_workgroup_id_y 0
		.amdhsa_system_sgpr_workgroup_id_z 0
		.amdhsa_system_sgpr_workgroup_info 0
		.amdhsa_system_vgpr_workitem_id 0
		.amdhsa_next_free_vgpr 1
		.amdhsa_next_free_sgpr 0
		.amdhsa_accum_offset 4
		.amdhsa_reserve_vcc 0
		.amdhsa_reserve_flat_scratch 0
		.amdhsa_float_round_mode_32 0
		.amdhsa_float_round_mode_16_64 0
		.amdhsa_float_denorm_mode_32 3
		.amdhsa_float_denorm_mode_16_64 3
		.amdhsa_dx10_clamp 1
		.amdhsa_ieee_mode 1
		.amdhsa_fp16_overflow 0
		.amdhsa_tg_split 0
		.amdhsa_exception_fp_ieee_invalid_op 0
		.amdhsa_exception_fp_denorm_src 0
		.amdhsa_exception_fp_ieee_div_zero 0
		.amdhsa_exception_fp_ieee_overflow 0
		.amdhsa_exception_fp_ieee_underflow 0
		.amdhsa_exception_fp_ieee_inexact 0
		.amdhsa_exception_int_div_zero 0
	.end_amdhsa_kernel
	.section	.text._ZN7rocprim17ROCPRIM_400000_NS6detail17trampoline_kernelINS0_14default_configENS1_20scan_config_selectorIjEEZZNS1_9scan_implILNS1_25lookback_scan_determinismE0ELb1ELb1ES3_N6thrust23THRUST_200600_302600_NS6detail15normal_iteratorINS9_10device_ptrIjEEEENS9_16discard_iteratorINS9_11use_defaultEEEjNS9_4plusIvEEjEEDaPvRmT3_T4_T5_mT6_P12ihipStream_tbENKUlT_T0_E_clISt17integral_constantIbLb1EESX_EEDaSS_ST_EUlSS_E0_NS1_11comp_targetILNS1_3genE9ELNS1_11target_archE1100ELNS1_3gpuE3ELNS1_3repE0EEENS1_30default_config_static_selectorELNS0_4arch9wavefront6targetE1EEEvT1_,"axG",@progbits,_ZN7rocprim17ROCPRIM_400000_NS6detail17trampoline_kernelINS0_14default_configENS1_20scan_config_selectorIjEEZZNS1_9scan_implILNS1_25lookback_scan_determinismE0ELb1ELb1ES3_N6thrust23THRUST_200600_302600_NS6detail15normal_iteratorINS9_10device_ptrIjEEEENS9_16discard_iteratorINS9_11use_defaultEEEjNS9_4plusIvEEjEEDaPvRmT3_T4_T5_mT6_P12ihipStream_tbENKUlT_T0_E_clISt17integral_constantIbLb1EESX_EEDaSS_ST_EUlSS_E0_NS1_11comp_targetILNS1_3genE9ELNS1_11target_archE1100ELNS1_3gpuE3ELNS1_3repE0EEENS1_30default_config_static_selectorELNS0_4arch9wavefront6targetE1EEEvT1_,comdat
.Lfunc_end5400:
	.size	_ZN7rocprim17ROCPRIM_400000_NS6detail17trampoline_kernelINS0_14default_configENS1_20scan_config_selectorIjEEZZNS1_9scan_implILNS1_25lookback_scan_determinismE0ELb1ELb1ES3_N6thrust23THRUST_200600_302600_NS6detail15normal_iteratorINS9_10device_ptrIjEEEENS9_16discard_iteratorINS9_11use_defaultEEEjNS9_4plusIvEEjEEDaPvRmT3_T4_T5_mT6_P12ihipStream_tbENKUlT_T0_E_clISt17integral_constantIbLb1EESX_EEDaSS_ST_EUlSS_E0_NS1_11comp_targetILNS1_3genE9ELNS1_11target_archE1100ELNS1_3gpuE3ELNS1_3repE0EEENS1_30default_config_static_selectorELNS0_4arch9wavefront6targetE1EEEvT1_, .Lfunc_end5400-_ZN7rocprim17ROCPRIM_400000_NS6detail17trampoline_kernelINS0_14default_configENS1_20scan_config_selectorIjEEZZNS1_9scan_implILNS1_25lookback_scan_determinismE0ELb1ELb1ES3_N6thrust23THRUST_200600_302600_NS6detail15normal_iteratorINS9_10device_ptrIjEEEENS9_16discard_iteratorINS9_11use_defaultEEEjNS9_4plusIvEEjEEDaPvRmT3_T4_T5_mT6_P12ihipStream_tbENKUlT_T0_E_clISt17integral_constantIbLb1EESX_EEDaSS_ST_EUlSS_E0_NS1_11comp_targetILNS1_3genE9ELNS1_11target_archE1100ELNS1_3gpuE3ELNS1_3repE0EEENS1_30default_config_static_selectorELNS0_4arch9wavefront6targetE1EEEvT1_
                                        ; -- End function
	.section	.AMDGPU.csdata,"",@progbits
; Kernel info:
; codeLenInByte = 0
; NumSgprs: 4
; NumVgprs: 0
; NumAgprs: 0
; TotalNumVgprs: 0
; ScratchSize: 0
; MemoryBound: 0
; FloatMode: 240
; IeeeMode: 1
; LDSByteSize: 0 bytes/workgroup (compile time only)
; SGPRBlocks: 0
; VGPRBlocks: 0
; NumSGPRsForWavesPerEU: 4
; NumVGPRsForWavesPerEU: 1
; AccumOffset: 4
; Occupancy: 8
; WaveLimiterHint : 0
; COMPUTE_PGM_RSRC2:SCRATCH_EN: 0
; COMPUTE_PGM_RSRC2:USER_SGPR: 6
; COMPUTE_PGM_RSRC2:TRAP_HANDLER: 0
; COMPUTE_PGM_RSRC2:TGID_X_EN: 1
; COMPUTE_PGM_RSRC2:TGID_Y_EN: 0
; COMPUTE_PGM_RSRC2:TGID_Z_EN: 0
; COMPUTE_PGM_RSRC2:TIDIG_COMP_CNT: 0
; COMPUTE_PGM_RSRC3_GFX90A:ACCUM_OFFSET: 0
; COMPUTE_PGM_RSRC3_GFX90A:TG_SPLIT: 0
	.section	.text._ZN7rocprim17ROCPRIM_400000_NS6detail17trampoline_kernelINS0_14default_configENS1_20scan_config_selectorIjEEZZNS1_9scan_implILNS1_25lookback_scan_determinismE0ELb1ELb1ES3_N6thrust23THRUST_200600_302600_NS6detail15normal_iteratorINS9_10device_ptrIjEEEENS9_16discard_iteratorINS9_11use_defaultEEEjNS9_4plusIvEEjEEDaPvRmT3_T4_T5_mT6_P12ihipStream_tbENKUlT_T0_E_clISt17integral_constantIbLb1EESX_EEDaSS_ST_EUlSS_E0_NS1_11comp_targetILNS1_3genE8ELNS1_11target_archE1030ELNS1_3gpuE2ELNS1_3repE0EEENS1_30default_config_static_selectorELNS0_4arch9wavefront6targetE1EEEvT1_,"axG",@progbits,_ZN7rocprim17ROCPRIM_400000_NS6detail17trampoline_kernelINS0_14default_configENS1_20scan_config_selectorIjEEZZNS1_9scan_implILNS1_25lookback_scan_determinismE0ELb1ELb1ES3_N6thrust23THRUST_200600_302600_NS6detail15normal_iteratorINS9_10device_ptrIjEEEENS9_16discard_iteratorINS9_11use_defaultEEEjNS9_4plusIvEEjEEDaPvRmT3_T4_T5_mT6_P12ihipStream_tbENKUlT_T0_E_clISt17integral_constantIbLb1EESX_EEDaSS_ST_EUlSS_E0_NS1_11comp_targetILNS1_3genE8ELNS1_11target_archE1030ELNS1_3gpuE2ELNS1_3repE0EEENS1_30default_config_static_selectorELNS0_4arch9wavefront6targetE1EEEvT1_,comdat
	.protected	_ZN7rocprim17ROCPRIM_400000_NS6detail17trampoline_kernelINS0_14default_configENS1_20scan_config_selectorIjEEZZNS1_9scan_implILNS1_25lookback_scan_determinismE0ELb1ELb1ES3_N6thrust23THRUST_200600_302600_NS6detail15normal_iteratorINS9_10device_ptrIjEEEENS9_16discard_iteratorINS9_11use_defaultEEEjNS9_4plusIvEEjEEDaPvRmT3_T4_T5_mT6_P12ihipStream_tbENKUlT_T0_E_clISt17integral_constantIbLb1EESX_EEDaSS_ST_EUlSS_E0_NS1_11comp_targetILNS1_3genE8ELNS1_11target_archE1030ELNS1_3gpuE2ELNS1_3repE0EEENS1_30default_config_static_selectorELNS0_4arch9wavefront6targetE1EEEvT1_ ; -- Begin function _ZN7rocprim17ROCPRIM_400000_NS6detail17trampoline_kernelINS0_14default_configENS1_20scan_config_selectorIjEEZZNS1_9scan_implILNS1_25lookback_scan_determinismE0ELb1ELb1ES3_N6thrust23THRUST_200600_302600_NS6detail15normal_iteratorINS9_10device_ptrIjEEEENS9_16discard_iteratorINS9_11use_defaultEEEjNS9_4plusIvEEjEEDaPvRmT3_T4_T5_mT6_P12ihipStream_tbENKUlT_T0_E_clISt17integral_constantIbLb1EESX_EEDaSS_ST_EUlSS_E0_NS1_11comp_targetILNS1_3genE8ELNS1_11target_archE1030ELNS1_3gpuE2ELNS1_3repE0EEENS1_30default_config_static_selectorELNS0_4arch9wavefront6targetE1EEEvT1_
	.globl	_ZN7rocprim17ROCPRIM_400000_NS6detail17trampoline_kernelINS0_14default_configENS1_20scan_config_selectorIjEEZZNS1_9scan_implILNS1_25lookback_scan_determinismE0ELb1ELb1ES3_N6thrust23THRUST_200600_302600_NS6detail15normal_iteratorINS9_10device_ptrIjEEEENS9_16discard_iteratorINS9_11use_defaultEEEjNS9_4plusIvEEjEEDaPvRmT3_T4_T5_mT6_P12ihipStream_tbENKUlT_T0_E_clISt17integral_constantIbLb1EESX_EEDaSS_ST_EUlSS_E0_NS1_11comp_targetILNS1_3genE8ELNS1_11target_archE1030ELNS1_3gpuE2ELNS1_3repE0EEENS1_30default_config_static_selectorELNS0_4arch9wavefront6targetE1EEEvT1_
	.p2align	8
	.type	_ZN7rocprim17ROCPRIM_400000_NS6detail17trampoline_kernelINS0_14default_configENS1_20scan_config_selectorIjEEZZNS1_9scan_implILNS1_25lookback_scan_determinismE0ELb1ELb1ES3_N6thrust23THRUST_200600_302600_NS6detail15normal_iteratorINS9_10device_ptrIjEEEENS9_16discard_iteratorINS9_11use_defaultEEEjNS9_4plusIvEEjEEDaPvRmT3_T4_T5_mT6_P12ihipStream_tbENKUlT_T0_E_clISt17integral_constantIbLb1EESX_EEDaSS_ST_EUlSS_E0_NS1_11comp_targetILNS1_3genE8ELNS1_11target_archE1030ELNS1_3gpuE2ELNS1_3repE0EEENS1_30default_config_static_selectorELNS0_4arch9wavefront6targetE1EEEvT1_,@function
_ZN7rocprim17ROCPRIM_400000_NS6detail17trampoline_kernelINS0_14default_configENS1_20scan_config_selectorIjEEZZNS1_9scan_implILNS1_25lookback_scan_determinismE0ELb1ELb1ES3_N6thrust23THRUST_200600_302600_NS6detail15normal_iteratorINS9_10device_ptrIjEEEENS9_16discard_iteratorINS9_11use_defaultEEEjNS9_4plusIvEEjEEDaPvRmT3_T4_T5_mT6_P12ihipStream_tbENKUlT_T0_E_clISt17integral_constantIbLb1EESX_EEDaSS_ST_EUlSS_E0_NS1_11comp_targetILNS1_3genE8ELNS1_11target_archE1030ELNS1_3gpuE2ELNS1_3repE0EEENS1_30default_config_static_selectorELNS0_4arch9wavefront6targetE1EEEvT1_: ; @_ZN7rocprim17ROCPRIM_400000_NS6detail17trampoline_kernelINS0_14default_configENS1_20scan_config_selectorIjEEZZNS1_9scan_implILNS1_25lookback_scan_determinismE0ELb1ELb1ES3_N6thrust23THRUST_200600_302600_NS6detail15normal_iteratorINS9_10device_ptrIjEEEENS9_16discard_iteratorINS9_11use_defaultEEEjNS9_4plusIvEEjEEDaPvRmT3_T4_T5_mT6_P12ihipStream_tbENKUlT_T0_E_clISt17integral_constantIbLb1EESX_EEDaSS_ST_EUlSS_E0_NS1_11comp_targetILNS1_3genE8ELNS1_11target_archE1030ELNS1_3gpuE2ELNS1_3repE0EEENS1_30default_config_static_selectorELNS0_4arch9wavefront6targetE1EEEvT1_
; %bb.0:
	.section	.rodata,"a",@progbits
	.p2align	6, 0x0
	.amdhsa_kernel _ZN7rocprim17ROCPRIM_400000_NS6detail17trampoline_kernelINS0_14default_configENS1_20scan_config_selectorIjEEZZNS1_9scan_implILNS1_25lookback_scan_determinismE0ELb1ELb1ES3_N6thrust23THRUST_200600_302600_NS6detail15normal_iteratorINS9_10device_ptrIjEEEENS9_16discard_iteratorINS9_11use_defaultEEEjNS9_4plusIvEEjEEDaPvRmT3_T4_T5_mT6_P12ihipStream_tbENKUlT_T0_E_clISt17integral_constantIbLb1EESX_EEDaSS_ST_EUlSS_E0_NS1_11comp_targetILNS1_3genE8ELNS1_11target_archE1030ELNS1_3gpuE2ELNS1_3repE0EEENS1_30default_config_static_selectorELNS0_4arch9wavefront6targetE1EEEvT1_
		.amdhsa_group_segment_fixed_size 0
		.amdhsa_private_segment_fixed_size 0
		.amdhsa_kernarg_size 40
		.amdhsa_user_sgpr_count 6
		.amdhsa_user_sgpr_private_segment_buffer 1
		.amdhsa_user_sgpr_dispatch_ptr 0
		.amdhsa_user_sgpr_queue_ptr 0
		.amdhsa_user_sgpr_kernarg_segment_ptr 1
		.amdhsa_user_sgpr_dispatch_id 0
		.amdhsa_user_sgpr_flat_scratch_init 0
		.amdhsa_user_sgpr_kernarg_preload_length 0
		.amdhsa_user_sgpr_kernarg_preload_offset 0
		.amdhsa_user_sgpr_private_segment_size 0
		.amdhsa_uses_dynamic_stack 0
		.amdhsa_system_sgpr_private_segment_wavefront_offset 0
		.amdhsa_system_sgpr_workgroup_id_x 1
		.amdhsa_system_sgpr_workgroup_id_y 0
		.amdhsa_system_sgpr_workgroup_id_z 0
		.amdhsa_system_sgpr_workgroup_info 0
		.amdhsa_system_vgpr_workitem_id 0
		.amdhsa_next_free_vgpr 1
		.amdhsa_next_free_sgpr 0
		.amdhsa_accum_offset 4
		.amdhsa_reserve_vcc 0
		.amdhsa_reserve_flat_scratch 0
		.amdhsa_float_round_mode_32 0
		.amdhsa_float_round_mode_16_64 0
		.amdhsa_float_denorm_mode_32 3
		.amdhsa_float_denorm_mode_16_64 3
		.amdhsa_dx10_clamp 1
		.amdhsa_ieee_mode 1
		.amdhsa_fp16_overflow 0
		.amdhsa_tg_split 0
		.amdhsa_exception_fp_ieee_invalid_op 0
		.amdhsa_exception_fp_denorm_src 0
		.amdhsa_exception_fp_ieee_div_zero 0
		.amdhsa_exception_fp_ieee_overflow 0
		.amdhsa_exception_fp_ieee_underflow 0
		.amdhsa_exception_fp_ieee_inexact 0
		.amdhsa_exception_int_div_zero 0
	.end_amdhsa_kernel
	.section	.text._ZN7rocprim17ROCPRIM_400000_NS6detail17trampoline_kernelINS0_14default_configENS1_20scan_config_selectorIjEEZZNS1_9scan_implILNS1_25lookback_scan_determinismE0ELb1ELb1ES3_N6thrust23THRUST_200600_302600_NS6detail15normal_iteratorINS9_10device_ptrIjEEEENS9_16discard_iteratorINS9_11use_defaultEEEjNS9_4plusIvEEjEEDaPvRmT3_T4_T5_mT6_P12ihipStream_tbENKUlT_T0_E_clISt17integral_constantIbLb1EESX_EEDaSS_ST_EUlSS_E0_NS1_11comp_targetILNS1_3genE8ELNS1_11target_archE1030ELNS1_3gpuE2ELNS1_3repE0EEENS1_30default_config_static_selectorELNS0_4arch9wavefront6targetE1EEEvT1_,"axG",@progbits,_ZN7rocprim17ROCPRIM_400000_NS6detail17trampoline_kernelINS0_14default_configENS1_20scan_config_selectorIjEEZZNS1_9scan_implILNS1_25lookback_scan_determinismE0ELb1ELb1ES3_N6thrust23THRUST_200600_302600_NS6detail15normal_iteratorINS9_10device_ptrIjEEEENS9_16discard_iteratorINS9_11use_defaultEEEjNS9_4plusIvEEjEEDaPvRmT3_T4_T5_mT6_P12ihipStream_tbENKUlT_T0_E_clISt17integral_constantIbLb1EESX_EEDaSS_ST_EUlSS_E0_NS1_11comp_targetILNS1_3genE8ELNS1_11target_archE1030ELNS1_3gpuE2ELNS1_3repE0EEENS1_30default_config_static_selectorELNS0_4arch9wavefront6targetE1EEEvT1_,comdat
.Lfunc_end5401:
	.size	_ZN7rocprim17ROCPRIM_400000_NS6detail17trampoline_kernelINS0_14default_configENS1_20scan_config_selectorIjEEZZNS1_9scan_implILNS1_25lookback_scan_determinismE0ELb1ELb1ES3_N6thrust23THRUST_200600_302600_NS6detail15normal_iteratorINS9_10device_ptrIjEEEENS9_16discard_iteratorINS9_11use_defaultEEEjNS9_4plusIvEEjEEDaPvRmT3_T4_T5_mT6_P12ihipStream_tbENKUlT_T0_E_clISt17integral_constantIbLb1EESX_EEDaSS_ST_EUlSS_E0_NS1_11comp_targetILNS1_3genE8ELNS1_11target_archE1030ELNS1_3gpuE2ELNS1_3repE0EEENS1_30default_config_static_selectorELNS0_4arch9wavefront6targetE1EEEvT1_, .Lfunc_end5401-_ZN7rocprim17ROCPRIM_400000_NS6detail17trampoline_kernelINS0_14default_configENS1_20scan_config_selectorIjEEZZNS1_9scan_implILNS1_25lookback_scan_determinismE0ELb1ELb1ES3_N6thrust23THRUST_200600_302600_NS6detail15normal_iteratorINS9_10device_ptrIjEEEENS9_16discard_iteratorINS9_11use_defaultEEEjNS9_4plusIvEEjEEDaPvRmT3_T4_T5_mT6_P12ihipStream_tbENKUlT_T0_E_clISt17integral_constantIbLb1EESX_EEDaSS_ST_EUlSS_E0_NS1_11comp_targetILNS1_3genE8ELNS1_11target_archE1030ELNS1_3gpuE2ELNS1_3repE0EEENS1_30default_config_static_selectorELNS0_4arch9wavefront6targetE1EEEvT1_
                                        ; -- End function
	.section	.AMDGPU.csdata,"",@progbits
; Kernel info:
; codeLenInByte = 0
; NumSgprs: 4
; NumVgprs: 0
; NumAgprs: 0
; TotalNumVgprs: 0
; ScratchSize: 0
; MemoryBound: 0
; FloatMode: 240
; IeeeMode: 1
; LDSByteSize: 0 bytes/workgroup (compile time only)
; SGPRBlocks: 0
; VGPRBlocks: 0
; NumSGPRsForWavesPerEU: 4
; NumVGPRsForWavesPerEU: 1
; AccumOffset: 4
; Occupancy: 8
; WaveLimiterHint : 0
; COMPUTE_PGM_RSRC2:SCRATCH_EN: 0
; COMPUTE_PGM_RSRC2:USER_SGPR: 6
; COMPUTE_PGM_RSRC2:TRAP_HANDLER: 0
; COMPUTE_PGM_RSRC2:TGID_X_EN: 1
; COMPUTE_PGM_RSRC2:TGID_Y_EN: 0
; COMPUTE_PGM_RSRC2:TGID_Z_EN: 0
; COMPUTE_PGM_RSRC2:TIDIG_COMP_CNT: 0
; COMPUTE_PGM_RSRC3_GFX90A:ACCUM_OFFSET: 0
; COMPUTE_PGM_RSRC3_GFX90A:TG_SPLIT: 0
	.section	.text._ZN7rocprim17ROCPRIM_400000_NS6detail17trampoline_kernelINS0_14default_configENS1_20scan_config_selectorIjEEZZNS1_9scan_implILNS1_25lookback_scan_determinismE0ELb1ELb1ES3_N6thrust23THRUST_200600_302600_NS6detail15normal_iteratorINS9_10device_ptrIjEEEENS9_16discard_iteratorINS9_11use_defaultEEEjNS9_4plusIvEEjEEDaPvRmT3_T4_T5_mT6_P12ihipStream_tbENKUlT_T0_E_clISt17integral_constantIbLb1EESW_IbLb0EEEEDaSS_ST_EUlSS_E_NS1_11comp_targetILNS1_3genE0ELNS1_11target_archE4294967295ELNS1_3gpuE0ELNS1_3repE0EEENS1_30default_config_static_selectorELNS0_4arch9wavefront6targetE1EEEvT1_,"axG",@progbits,_ZN7rocprim17ROCPRIM_400000_NS6detail17trampoline_kernelINS0_14default_configENS1_20scan_config_selectorIjEEZZNS1_9scan_implILNS1_25lookback_scan_determinismE0ELb1ELb1ES3_N6thrust23THRUST_200600_302600_NS6detail15normal_iteratorINS9_10device_ptrIjEEEENS9_16discard_iteratorINS9_11use_defaultEEEjNS9_4plusIvEEjEEDaPvRmT3_T4_T5_mT6_P12ihipStream_tbENKUlT_T0_E_clISt17integral_constantIbLb1EESW_IbLb0EEEEDaSS_ST_EUlSS_E_NS1_11comp_targetILNS1_3genE0ELNS1_11target_archE4294967295ELNS1_3gpuE0ELNS1_3repE0EEENS1_30default_config_static_selectorELNS0_4arch9wavefront6targetE1EEEvT1_,comdat
	.protected	_ZN7rocprim17ROCPRIM_400000_NS6detail17trampoline_kernelINS0_14default_configENS1_20scan_config_selectorIjEEZZNS1_9scan_implILNS1_25lookback_scan_determinismE0ELb1ELb1ES3_N6thrust23THRUST_200600_302600_NS6detail15normal_iteratorINS9_10device_ptrIjEEEENS9_16discard_iteratorINS9_11use_defaultEEEjNS9_4plusIvEEjEEDaPvRmT3_T4_T5_mT6_P12ihipStream_tbENKUlT_T0_E_clISt17integral_constantIbLb1EESW_IbLb0EEEEDaSS_ST_EUlSS_E_NS1_11comp_targetILNS1_3genE0ELNS1_11target_archE4294967295ELNS1_3gpuE0ELNS1_3repE0EEENS1_30default_config_static_selectorELNS0_4arch9wavefront6targetE1EEEvT1_ ; -- Begin function _ZN7rocprim17ROCPRIM_400000_NS6detail17trampoline_kernelINS0_14default_configENS1_20scan_config_selectorIjEEZZNS1_9scan_implILNS1_25lookback_scan_determinismE0ELb1ELb1ES3_N6thrust23THRUST_200600_302600_NS6detail15normal_iteratorINS9_10device_ptrIjEEEENS9_16discard_iteratorINS9_11use_defaultEEEjNS9_4plusIvEEjEEDaPvRmT3_T4_T5_mT6_P12ihipStream_tbENKUlT_T0_E_clISt17integral_constantIbLb1EESW_IbLb0EEEEDaSS_ST_EUlSS_E_NS1_11comp_targetILNS1_3genE0ELNS1_11target_archE4294967295ELNS1_3gpuE0ELNS1_3repE0EEENS1_30default_config_static_selectorELNS0_4arch9wavefront6targetE1EEEvT1_
	.globl	_ZN7rocprim17ROCPRIM_400000_NS6detail17trampoline_kernelINS0_14default_configENS1_20scan_config_selectorIjEEZZNS1_9scan_implILNS1_25lookback_scan_determinismE0ELb1ELb1ES3_N6thrust23THRUST_200600_302600_NS6detail15normal_iteratorINS9_10device_ptrIjEEEENS9_16discard_iteratorINS9_11use_defaultEEEjNS9_4plusIvEEjEEDaPvRmT3_T4_T5_mT6_P12ihipStream_tbENKUlT_T0_E_clISt17integral_constantIbLb1EESW_IbLb0EEEEDaSS_ST_EUlSS_E_NS1_11comp_targetILNS1_3genE0ELNS1_11target_archE4294967295ELNS1_3gpuE0ELNS1_3repE0EEENS1_30default_config_static_selectorELNS0_4arch9wavefront6targetE1EEEvT1_
	.p2align	8
	.type	_ZN7rocprim17ROCPRIM_400000_NS6detail17trampoline_kernelINS0_14default_configENS1_20scan_config_selectorIjEEZZNS1_9scan_implILNS1_25lookback_scan_determinismE0ELb1ELb1ES3_N6thrust23THRUST_200600_302600_NS6detail15normal_iteratorINS9_10device_ptrIjEEEENS9_16discard_iteratorINS9_11use_defaultEEEjNS9_4plusIvEEjEEDaPvRmT3_T4_T5_mT6_P12ihipStream_tbENKUlT_T0_E_clISt17integral_constantIbLb1EESW_IbLb0EEEEDaSS_ST_EUlSS_E_NS1_11comp_targetILNS1_3genE0ELNS1_11target_archE4294967295ELNS1_3gpuE0ELNS1_3repE0EEENS1_30default_config_static_selectorELNS0_4arch9wavefront6targetE1EEEvT1_,@function
_ZN7rocprim17ROCPRIM_400000_NS6detail17trampoline_kernelINS0_14default_configENS1_20scan_config_selectorIjEEZZNS1_9scan_implILNS1_25lookback_scan_determinismE0ELb1ELb1ES3_N6thrust23THRUST_200600_302600_NS6detail15normal_iteratorINS9_10device_ptrIjEEEENS9_16discard_iteratorINS9_11use_defaultEEEjNS9_4plusIvEEjEEDaPvRmT3_T4_T5_mT6_P12ihipStream_tbENKUlT_T0_E_clISt17integral_constantIbLb1EESW_IbLb0EEEEDaSS_ST_EUlSS_E_NS1_11comp_targetILNS1_3genE0ELNS1_11target_archE4294967295ELNS1_3gpuE0ELNS1_3repE0EEENS1_30default_config_static_selectorELNS0_4arch9wavefront6targetE1EEEvT1_: ; @_ZN7rocprim17ROCPRIM_400000_NS6detail17trampoline_kernelINS0_14default_configENS1_20scan_config_selectorIjEEZZNS1_9scan_implILNS1_25lookback_scan_determinismE0ELb1ELb1ES3_N6thrust23THRUST_200600_302600_NS6detail15normal_iteratorINS9_10device_ptrIjEEEENS9_16discard_iteratorINS9_11use_defaultEEEjNS9_4plusIvEEjEEDaPvRmT3_T4_T5_mT6_P12ihipStream_tbENKUlT_T0_E_clISt17integral_constantIbLb1EESW_IbLb0EEEEDaSS_ST_EUlSS_E_NS1_11comp_targetILNS1_3genE0ELNS1_11target_archE4294967295ELNS1_3gpuE0ELNS1_3repE0EEENS1_30default_config_static_selectorELNS0_4arch9wavefront6targetE1EEEvT1_
; %bb.0:
	.section	.rodata,"a",@progbits
	.p2align	6, 0x0
	.amdhsa_kernel _ZN7rocprim17ROCPRIM_400000_NS6detail17trampoline_kernelINS0_14default_configENS1_20scan_config_selectorIjEEZZNS1_9scan_implILNS1_25lookback_scan_determinismE0ELb1ELb1ES3_N6thrust23THRUST_200600_302600_NS6detail15normal_iteratorINS9_10device_ptrIjEEEENS9_16discard_iteratorINS9_11use_defaultEEEjNS9_4plusIvEEjEEDaPvRmT3_T4_T5_mT6_P12ihipStream_tbENKUlT_T0_E_clISt17integral_constantIbLb1EESW_IbLb0EEEEDaSS_ST_EUlSS_E_NS1_11comp_targetILNS1_3genE0ELNS1_11target_archE4294967295ELNS1_3gpuE0ELNS1_3repE0EEENS1_30default_config_static_selectorELNS0_4arch9wavefront6targetE1EEEvT1_
		.amdhsa_group_segment_fixed_size 0
		.amdhsa_private_segment_fixed_size 0
		.amdhsa_kernarg_size 104
		.amdhsa_user_sgpr_count 6
		.amdhsa_user_sgpr_private_segment_buffer 1
		.amdhsa_user_sgpr_dispatch_ptr 0
		.amdhsa_user_sgpr_queue_ptr 0
		.amdhsa_user_sgpr_kernarg_segment_ptr 1
		.amdhsa_user_sgpr_dispatch_id 0
		.amdhsa_user_sgpr_flat_scratch_init 0
		.amdhsa_user_sgpr_kernarg_preload_length 0
		.amdhsa_user_sgpr_kernarg_preload_offset 0
		.amdhsa_user_sgpr_private_segment_size 0
		.amdhsa_uses_dynamic_stack 0
		.amdhsa_system_sgpr_private_segment_wavefront_offset 0
		.amdhsa_system_sgpr_workgroup_id_x 1
		.amdhsa_system_sgpr_workgroup_id_y 0
		.amdhsa_system_sgpr_workgroup_id_z 0
		.amdhsa_system_sgpr_workgroup_info 0
		.amdhsa_system_vgpr_workitem_id 0
		.amdhsa_next_free_vgpr 1
		.amdhsa_next_free_sgpr 0
		.amdhsa_accum_offset 4
		.amdhsa_reserve_vcc 0
		.amdhsa_reserve_flat_scratch 0
		.amdhsa_float_round_mode_32 0
		.amdhsa_float_round_mode_16_64 0
		.amdhsa_float_denorm_mode_32 3
		.amdhsa_float_denorm_mode_16_64 3
		.amdhsa_dx10_clamp 1
		.amdhsa_ieee_mode 1
		.amdhsa_fp16_overflow 0
		.amdhsa_tg_split 0
		.amdhsa_exception_fp_ieee_invalid_op 0
		.amdhsa_exception_fp_denorm_src 0
		.amdhsa_exception_fp_ieee_div_zero 0
		.amdhsa_exception_fp_ieee_overflow 0
		.amdhsa_exception_fp_ieee_underflow 0
		.amdhsa_exception_fp_ieee_inexact 0
		.amdhsa_exception_int_div_zero 0
	.end_amdhsa_kernel
	.section	.text._ZN7rocprim17ROCPRIM_400000_NS6detail17trampoline_kernelINS0_14default_configENS1_20scan_config_selectorIjEEZZNS1_9scan_implILNS1_25lookback_scan_determinismE0ELb1ELb1ES3_N6thrust23THRUST_200600_302600_NS6detail15normal_iteratorINS9_10device_ptrIjEEEENS9_16discard_iteratorINS9_11use_defaultEEEjNS9_4plusIvEEjEEDaPvRmT3_T4_T5_mT6_P12ihipStream_tbENKUlT_T0_E_clISt17integral_constantIbLb1EESW_IbLb0EEEEDaSS_ST_EUlSS_E_NS1_11comp_targetILNS1_3genE0ELNS1_11target_archE4294967295ELNS1_3gpuE0ELNS1_3repE0EEENS1_30default_config_static_selectorELNS0_4arch9wavefront6targetE1EEEvT1_,"axG",@progbits,_ZN7rocprim17ROCPRIM_400000_NS6detail17trampoline_kernelINS0_14default_configENS1_20scan_config_selectorIjEEZZNS1_9scan_implILNS1_25lookback_scan_determinismE0ELb1ELb1ES3_N6thrust23THRUST_200600_302600_NS6detail15normal_iteratorINS9_10device_ptrIjEEEENS9_16discard_iteratorINS9_11use_defaultEEEjNS9_4plusIvEEjEEDaPvRmT3_T4_T5_mT6_P12ihipStream_tbENKUlT_T0_E_clISt17integral_constantIbLb1EESW_IbLb0EEEEDaSS_ST_EUlSS_E_NS1_11comp_targetILNS1_3genE0ELNS1_11target_archE4294967295ELNS1_3gpuE0ELNS1_3repE0EEENS1_30default_config_static_selectorELNS0_4arch9wavefront6targetE1EEEvT1_,comdat
.Lfunc_end5402:
	.size	_ZN7rocprim17ROCPRIM_400000_NS6detail17trampoline_kernelINS0_14default_configENS1_20scan_config_selectorIjEEZZNS1_9scan_implILNS1_25lookback_scan_determinismE0ELb1ELb1ES3_N6thrust23THRUST_200600_302600_NS6detail15normal_iteratorINS9_10device_ptrIjEEEENS9_16discard_iteratorINS9_11use_defaultEEEjNS9_4plusIvEEjEEDaPvRmT3_T4_T5_mT6_P12ihipStream_tbENKUlT_T0_E_clISt17integral_constantIbLb1EESW_IbLb0EEEEDaSS_ST_EUlSS_E_NS1_11comp_targetILNS1_3genE0ELNS1_11target_archE4294967295ELNS1_3gpuE0ELNS1_3repE0EEENS1_30default_config_static_selectorELNS0_4arch9wavefront6targetE1EEEvT1_, .Lfunc_end5402-_ZN7rocprim17ROCPRIM_400000_NS6detail17trampoline_kernelINS0_14default_configENS1_20scan_config_selectorIjEEZZNS1_9scan_implILNS1_25lookback_scan_determinismE0ELb1ELb1ES3_N6thrust23THRUST_200600_302600_NS6detail15normal_iteratorINS9_10device_ptrIjEEEENS9_16discard_iteratorINS9_11use_defaultEEEjNS9_4plusIvEEjEEDaPvRmT3_T4_T5_mT6_P12ihipStream_tbENKUlT_T0_E_clISt17integral_constantIbLb1EESW_IbLb0EEEEDaSS_ST_EUlSS_E_NS1_11comp_targetILNS1_3genE0ELNS1_11target_archE4294967295ELNS1_3gpuE0ELNS1_3repE0EEENS1_30default_config_static_selectorELNS0_4arch9wavefront6targetE1EEEvT1_
                                        ; -- End function
	.section	.AMDGPU.csdata,"",@progbits
; Kernel info:
; codeLenInByte = 0
; NumSgprs: 4
; NumVgprs: 0
; NumAgprs: 0
; TotalNumVgprs: 0
; ScratchSize: 0
; MemoryBound: 0
; FloatMode: 240
; IeeeMode: 1
; LDSByteSize: 0 bytes/workgroup (compile time only)
; SGPRBlocks: 0
; VGPRBlocks: 0
; NumSGPRsForWavesPerEU: 4
; NumVGPRsForWavesPerEU: 1
; AccumOffset: 4
; Occupancy: 8
; WaveLimiterHint : 0
; COMPUTE_PGM_RSRC2:SCRATCH_EN: 0
; COMPUTE_PGM_RSRC2:USER_SGPR: 6
; COMPUTE_PGM_RSRC2:TRAP_HANDLER: 0
; COMPUTE_PGM_RSRC2:TGID_X_EN: 1
; COMPUTE_PGM_RSRC2:TGID_Y_EN: 0
; COMPUTE_PGM_RSRC2:TGID_Z_EN: 0
; COMPUTE_PGM_RSRC2:TIDIG_COMP_CNT: 0
; COMPUTE_PGM_RSRC3_GFX90A:ACCUM_OFFSET: 0
; COMPUTE_PGM_RSRC3_GFX90A:TG_SPLIT: 0
	.section	.text._ZN7rocprim17ROCPRIM_400000_NS6detail17trampoline_kernelINS0_14default_configENS1_20scan_config_selectorIjEEZZNS1_9scan_implILNS1_25lookback_scan_determinismE0ELb1ELb1ES3_N6thrust23THRUST_200600_302600_NS6detail15normal_iteratorINS9_10device_ptrIjEEEENS9_16discard_iteratorINS9_11use_defaultEEEjNS9_4plusIvEEjEEDaPvRmT3_T4_T5_mT6_P12ihipStream_tbENKUlT_T0_E_clISt17integral_constantIbLb1EESW_IbLb0EEEEDaSS_ST_EUlSS_E_NS1_11comp_targetILNS1_3genE5ELNS1_11target_archE942ELNS1_3gpuE9ELNS1_3repE0EEENS1_30default_config_static_selectorELNS0_4arch9wavefront6targetE1EEEvT1_,"axG",@progbits,_ZN7rocprim17ROCPRIM_400000_NS6detail17trampoline_kernelINS0_14default_configENS1_20scan_config_selectorIjEEZZNS1_9scan_implILNS1_25lookback_scan_determinismE0ELb1ELb1ES3_N6thrust23THRUST_200600_302600_NS6detail15normal_iteratorINS9_10device_ptrIjEEEENS9_16discard_iteratorINS9_11use_defaultEEEjNS9_4plusIvEEjEEDaPvRmT3_T4_T5_mT6_P12ihipStream_tbENKUlT_T0_E_clISt17integral_constantIbLb1EESW_IbLb0EEEEDaSS_ST_EUlSS_E_NS1_11comp_targetILNS1_3genE5ELNS1_11target_archE942ELNS1_3gpuE9ELNS1_3repE0EEENS1_30default_config_static_selectorELNS0_4arch9wavefront6targetE1EEEvT1_,comdat
	.protected	_ZN7rocprim17ROCPRIM_400000_NS6detail17trampoline_kernelINS0_14default_configENS1_20scan_config_selectorIjEEZZNS1_9scan_implILNS1_25lookback_scan_determinismE0ELb1ELb1ES3_N6thrust23THRUST_200600_302600_NS6detail15normal_iteratorINS9_10device_ptrIjEEEENS9_16discard_iteratorINS9_11use_defaultEEEjNS9_4plusIvEEjEEDaPvRmT3_T4_T5_mT6_P12ihipStream_tbENKUlT_T0_E_clISt17integral_constantIbLb1EESW_IbLb0EEEEDaSS_ST_EUlSS_E_NS1_11comp_targetILNS1_3genE5ELNS1_11target_archE942ELNS1_3gpuE9ELNS1_3repE0EEENS1_30default_config_static_selectorELNS0_4arch9wavefront6targetE1EEEvT1_ ; -- Begin function _ZN7rocprim17ROCPRIM_400000_NS6detail17trampoline_kernelINS0_14default_configENS1_20scan_config_selectorIjEEZZNS1_9scan_implILNS1_25lookback_scan_determinismE0ELb1ELb1ES3_N6thrust23THRUST_200600_302600_NS6detail15normal_iteratorINS9_10device_ptrIjEEEENS9_16discard_iteratorINS9_11use_defaultEEEjNS9_4plusIvEEjEEDaPvRmT3_T4_T5_mT6_P12ihipStream_tbENKUlT_T0_E_clISt17integral_constantIbLb1EESW_IbLb0EEEEDaSS_ST_EUlSS_E_NS1_11comp_targetILNS1_3genE5ELNS1_11target_archE942ELNS1_3gpuE9ELNS1_3repE0EEENS1_30default_config_static_selectorELNS0_4arch9wavefront6targetE1EEEvT1_
	.globl	_ZN7rocprim17ROCPRIM_400000_NS6detail17trampoline_kernelINS0_14default_configENS1_20scan_config_selectorIjEEZZNS1_9scan_implILNS1_25lookback_scan_determinismE0ELb1ELb1ES3_N6thrust23THRUST_200600_302600_NS6detail15normal_iteratorINS9_10device_ptrIjEEEENS9_16discard_iteratorINS9_11use_defaultEEEjNS9_4plusIvEEjEEDaPvRmT3_T4_T5_mT6_P12ihipStream_tbENKUlT_T0_E_clISt17integral_constantIbLb1EESW_IbLb0EEEEDaSS_ST_EUlSS_E_NS1_11comp_targetILNS1_3genE5ELNS1_11target_archE942ELNS1_3gpuE9ELNS1_3repE0EEENS1_30default_config_static_selectorELNS0_4arch9wavefront6targetE1EEEvT1_
	.p2align	8
	.type	_ZN7rocprim17ROCPRIM_400000_NS6detail17trampoline_kernelINS0_14default_configENS1_20scan_config_selectorIjEEZZNS1_9scan_implILNS1_25lookback_scan_determinismE0ELb1ELb1ES3_N6thrust23THRUST_200600_302600_NS6detail15normal_iteratorINS9_10device_ptrIjEEEENS9_16discard_iteratorINS9_11use_defaultEEEjNS9_4plusIvEEjEEDaPvRmT3_T4_T5_mT6_P12ihipStream_tbENKUlT_T0_E_clISt17integral_constantIbLb1EESW_IbLb0EEEEDaSS_ST_EUlSS_E_NS1_11comp_targetILNS1_3genE5ELNS1_11target_archE942ELNS1_3gpuE9ELNS1_3repE0EEENS1_30default_config_static_selectorELNS0_4arch9wavefront6targetE1EEEvT1_,@function
_ZN7rocprim17ROCPRIM_400000_NS6detail17trampoline_kernelINS0_14default_configENS1_20scan_config_selectorIjEEZZNS1_9scan_implILNS1_25lookback_scan_determinismE0ELb1ELb1ES3_N6thrust23THRUST_200600_302600_NS6detail15normal_iteratorINS9_10device_ptrIjEEEENS9_16discard_iteratorINS9_11use_defaultEEEjNS9_4plusIvEEjEEDaPvRmT3_T4_T5_mT6_P12ihipStream_tbENKUlT_T0_E_clISt17integral_constantIbLb1EESW_IbLb0EEEEDaSS_ST_EUlSS_E_NS1_11comp_targetILNS1_3genE5ELNS1_11target_archE942ELNS1_3gpuE9ELNS1_3repE0EEENS1_30default_config_static_selectorELNS0_4arch9wavefront6targetE1EEEvT1_: ; @_ZN7rocprim17ROCPRIM_400000_NS6detail17trampoline_kernelINS0_14default_configENS1_20scan_config_selectorIjEEZZNS1_9scan_implILNS1_25lookback_scan_determinismE0ELb1ELb1ES3_N6thrust23THRUST_200600_302600_NS6detail15normal_iteratorINS9_10device_ptrIjEEEENS9_16discard_iteratorINS9_11use_defaultEEEjNS9_4plusIvEEjEEDaPvRmT3_T4_T5_mT6_P12ihipStream_tbENKUlT_T0_E_clISt17integral_constantIbLb1EESW_IbLb0EEEEDaSS_ST_EUlSS_E_NS1_11comp_targetILNS1_3genE5ELNS1_11target_archE942ELNS1_3gpuE9ELNS1_3repE0EEENS1_30default_config_static_selectorELNS0_4arch9wavefront6targetE1EEEvT1_
; %bb.0:
	.section	.rodata,"a",@progbits
	.p2align	6, 0x0
	.amdhsa_kernel _ZN7rocprim17ROCPRIM_400000_NS6detail17trampoline_kernelINS0_14default_configENS1_20scan_config_selectorIjEEZZNS1_9scan_implILNS1_25lookback_scan_determinismE0ELb1ELb1ES3_N6thrust23THRUST_200600_302600_NS6detail15normal_iteratorINS9_10device_ptrIjEEEENS9_16discard_iteratorINS9_11use_defaultEEEjNS9_4plusIvEEjEEDaPvRmT3_T4_T5_mT6_P12ihipStream_tbENKUlT_T0_E_clISt17integral_constantIbLb1EESW_IbLb0EEEEDaSS_ST_EUlSS_E_NS1_11comp_targetILNS1_3genE5ELNS1_11target_archE942ELNS1_3gpuE9ELNS1_3repE0EEENS1_30default_config_static_selectorELNS0_4arch9wavefront6targetE1EEEvT1_
		.amdhsa_group_segment_fixed_size 0
		.amdhsa_private_segment_fixed_size 0
		.amdhsa_kernarg_size 104
		.amdhsa_user_sgpr_count 6
		.amdhsa_user_sgpr_private_segment_buffer 1
		.amdhsa_user_sgpr_dispatch_ptr 0
		.amdhsa_user_sgpr_queue_ptr 0
		.amdhsa_user_sgpr_kernarg_segment_ptr 1
		.amdhsa_user_sgpr_dispatch_id 0
		.amdhsa_user_sgpr_flat_scratch_init 0
		.amdhsa_user_sgpr_kernarg_preload_length 0
		.amdhsa_user_sgpr_kernarg_preload_offset 0
		.amdhsa_user_sgpr_private_segment_size 0
		.amdhsa_uses_dynamic_stack 0
		.amdhsa_system_sgpr_private_segment_wavefront_offset 0
		.amdhsa_system_sgpr_workgroup_id_x 1
		.amdhsa_system_sgpr_workgroup_id_y 0
		.amdhsa_system_sgpr_workgroup_id_z 0
		.amdhsa_system_sgpr_workgroup_info 0
		.amdhsa_system_vgpr_workitem_id 0
		.amdhsa_next_free_vgpr 1
		.amdhsa_next_free_sgpr 0
		.amdhsa_accum_offset 4
		.amdhsa_reserve_vcc 0
		.amdhsa_reserve_flat_scratch 0
		.amdhsa_float_round_mode_32 0
		.amdhsa_float_round_mode_16_64 0
		.amdhsa_float_denorm_mode_32 3
		.amdhsa_float_denorm_mode_16_64 3
		.amdhsa_dx10_clamp 1
		.amdhsa_ieee_mode 1
		.amdhsa_fp16_overflow 0
		.amdhsa_tg_split 0
		.amdhsa_exception_fp_ieee_invalid_op 0
		.amdhsa_exception_fp_denorm_src 0
		.amdhsa_exception_fp_ieee_div_zero 0
		.amdhsa_exception_fp_ieee_overflow 0
		.amdhsa_exception_fp_ieee_underflow 0
		.amdhsa_exception_fp_ieee_inexact 0
		.amdhsa_exception_int_div_zero 0
	.end_amdhsa_kernel
	.section	.text._ZN7rocprim17ROCPRIM_400000_NS6detail17trampoline_kernelINS0_14default_configENS1_20scan_config_selectorIjEEZZNS1_9scan_implILNS1_25lookback_scan_determinismE0ELb1ELb1ES3_N6thrust23THRUST_200600_302600_NS6detail15normal_iteratorINS9_10device_ptrIjEEEENS9_16discard_iteratorINS9_11use_defaultEEEjNS9_4plusIvEEjEEDaPvRmT3_T4_T5_mT6_P12ihipStream_tbENKUlT_T0_E_clISt17integral_constantIbLb1EESW_IbLb0EEEEDaSS_ST_EUlSS_E_NS1_11comp_targetILNS1_3genE5ELNS1_11target_archE942ELNS1_3gpuE9ELNS1_3repE0EEENS1_30default_config_static_selectorELNS0_4arch9wavefront6targetE1EEEvT1_,"axG",@progbits,_ZN7rocprim17ROCPRIM_400000_NS6detail17trampoline_kernelINS0_14default_configENS1_20scan_config_selectorIjEEZZNS1_9scan_implILNS1_25lookback_scan_determinismE0ELb1ELb1ES3_N6thrust23THRUST_200600_302600_NS6detail15normal_iteratorINS9_10device_ptrIjEEEENS9_16discard_iteratorINS9_11use_defaultEEEjNS9_4plusIvEEjEEDaPvRmT3_T4_T5_mT6_P12ihipStream_tbENKUlT_T0_E_clISt17integral_constantIbLb1EESW_IbLb0EEEEDaSS_ST_EUlSS_E_NS1_11comp_targetILNS1_3genE5ELNS1_11target_archE942ELNS1_3gpuE9ELNS1_3repE0EEENS1_30default_config_static_selectorELNS0_4arch9wavefront6targetE1EEEvT1_,comdat
.Lfunc_end5403:
	.size	_ZN7rocprim17ROCPRIM_400000_NS6detail17trampoline_kernelINS0_14default_configENS1_20scan_config_selectorIjEEZZNS1_9scan_implILNS1_25lookback_scan_determinismE0ELb1ELb1ES3_N6thrust23THRUST_200600_302600_NS6detail15normal_iteratorINS9_10device_ptrIjEEEENS9_16discard_iteratorINS9_11use_defaultEEEjNS9_4plusIvEEjEEDaPvRmT3_T4_T5_mT6_P12ihipStream_tbENKUlT_T0_E_clISt17integral_constantIbLb1EESW_IbLb0EEEEDaSS_ST_EUlSS_E_NS1_11comp_targetILNS1_3genE5ELNS1_11target_archE942ELNS1_3gpuE9ELNS1_3repE0EEENS1_30default_config_static_selectorELNS0_4arch9wavefront6targetE1EEEvT1_, .Lfunc_end5403-_ZN7rocprim17ROCPRIM_400000_NS6detail17trampoline_kernelINS0_14default_configENS1_20scan_config_selectorIjEEZZNS1_9scan_implILNS1_25lookback_scan_determinismE0ELb1ELb1ES3_N6thrust23THRUST_200600_302600_NS6detail15normal_iteratorINS9_10device_ptrIjEEEENS9_16discard_iteratorINS9_11use_defaultEEEjNS9_4plusIvEEjEEDaPvRmT3_T4_T5_mT6_P12ihipStream_tbENKUlT_T0_E_clISt17integral_constantIbLb1EESW_IbLb0EEEEDaSS_ST_EUlSS_E_NS1_11comp_targetILNS1_3genE5ELNS1_11target_archE942ELNS1_3gpuE9ELNS1_3repE0EEENS1_30default_config_static_selectorELNS0_4arch9wavefront6targetE1EEEvT1_
                                        ; -- End function
	.section	.AMDGPU.csdata,"",@progbits
; Kernel info:
; codeLenInByte = 0
; NumSgprs: 4
; NumVgprs: 0
; NumAgprs: 0
; TotalNumVgprs: 0
; ScratchSize: 0
; MemoryBound: 0
; FloatMode: 240
; IeeeMode: 1
; LDSByteSize: 0 bytes/workgroup (compile time only)
; SGPRBlocks: 0
; VGPRBlocks: 0
; NumSGPRsForWavesPerEU: 4
; NumVGPRsForWavesPerEU: 1
; AccumOffset: 4
; Occupancy: 8
; WaveLimiterHint : 0
; COMPUTE_PGM_RSRC2:SCRATCH_EN: 0
; COMPUTE_PGM_RSRC2:USER_SGPR: 6
; COMPUTE_PGM_RSRC2:TRAP_HANDLER: 0
; COMPUTE_PGM_RSRC2:TGID_X_EN: 1
; COMPUTE_PGM_RSRC2:TGID_Y_EN: 0
; COMPUTE_PGM_RSRC2:TGID_Z_EN: 0
; COMPUTE_PGM_RSRC2:TIDIG_COMP_CNT: 0
; COMPUTE_PGM_RSRC3_GFX90A:ACCUM_OFFSET: 0
; COMPUTE_PGM_RSRC3_GFX90A:TG_SPLIT: 0
	.section	.text._ZN7rocprim17ROCPRIM_400000_NS6detail17trampoline_kernelINS0_14default_configENS1_20scan_config_selectorIjEEZZNS1_9scan_implILNS1_25lookback_scan_determinismE0ELb1ELb1ES3_N6thrust23THRUST_200600_302600_NS6detail15normal_iteratorINS9_10device_ptrIjEEEENS9_16discard_iteratorINS9_11use_defaultEEEjNS9_4plusIvEEjEEDaPvRmT3_T4_T5_mT6_P12ihipStream_tbENKUlT_T0_E_clISt17integral_constantIbLb1EESW_IbLb0EEEEDaSS_ST_EUlSS_E_NS1_11comp_targetILNS1_3genE4ELNS1_11target_archE910ELNS1_3gpuE8ELNS1_3repE0EEENS1_30default_config_static_selectorELNS0_4arch9wavefront6targetE1EEEvT1_,"axG",@progbits,_ZN7rocprim17ROCPRIM_400000_NS6detail17trampoline_kernelINS0_14default_configENS1_20scan_config_selectorIjEEZZNS1_9scan_implILNS1_25lookback_scan_determinismE0ELb1ELb1ES3_N6thrust23THRUST_200600_302600_NS6detail15normal_iteratorINS9_10device_ptrIjEEEENS9_16discard_iteratorINS9_11use_defaultEEEjNS9_4plusIvEEjEEDaPvRmT3_T4_T5_mT6_P12ihipStream_tbENKUlT_T0_E_clISt17integral_constantIbLb1EESW_IbLb0EEEEDaSS_ST_EUlSS_E_NS1_11comp_targetILNS1_3genE4ELNS1_11target_archE910ELNS1_3gpuE8ELNS1_3repE0EEENS1_30default_config_static_selectorELNS0_4arch9wavefront6targetE1EEEvT1_,comdat
	.protected	_ZN7rocprim17ROCPRIM_400000_NS6detail17trampoline_kernelINS0_14default_configENS1_20scan_config_selectorIjEEZZNS1_9scan_implILNS1_25lookback_scan_determinismE0ELb1ELb1ES3_N6thrust23THRUST_200600_302600_NS6detail15normal_iteratorINS9_10device_ptrIjEEEENS9_16discard_iteratorINS9_11use_defaultEEEjNS9_4plusIvEEjEEDaPvRmT3_T4_T5_mT6_P12ihipStream_tbENKUlT_T0_E_clISt17integral_constantIbLb1EESW_IbLb0EEEEDaSS_ST_EUlSS_E_NS1_11comp_targetILNS1_3genE4ELNS1_11target_archE910ELNS1_3gpuE8ELNS1_3repE0EEENS1_30default_config_static_selectorELNS0_4arch9wavefront6targetE1EEEvT1_ ; -- Begin function _ZN7rocprim17ROCPRIM_400000_NS6detail17trampoline_kernelINS0_14default_configENS1_20scan_config_selectorIjEEZZNS1_9scan_implILNS1_25lookback_scan_determinismE0ELb1ELb1ES3_N6thrust23THRUST_200600_302600_NS6detail15normal_iteratorINS9_10device_ptrIjEEEENS9_16discard_iteratorINS9_11use_defaultEEEjNS9_4plusIvEEjEEDaPvRmT3_T4_T5_mT6_P12ihipStream_tbENKUlT_T0_E_clISt17integral_constantIbLb1EESW_IbLb0EEEEDaSS_ST_EUlSS_E_NS1_11comp_targetILNS1_3genE4ELNS1_11target_archE910ELNS1_3gpuE8ELNS1_3repE0EEENS1_30default_config_static_selectorELNS0_4arch9wavefront6targetE1EEEvT1_
	.globl	_ZN7rocprim17ROCPRIM_400000_NS6detail17trampoline_kernelINS0_14default_configENS1_20scan_config_selectorIjEEZZNS1_9scan_implILNS1_25lookback_scan_determinismE0ELb1ELb1ES3_N6thrust23THRUST_200600_302600_NS6detail15normal_iteratorINS9_10device_ptrIjEEEENS9_16discard_iteratorINS9_11use_defaultEEEjNS9_4plusIvEEjEEDaPvRmT3_T4_T5_mT6_P12ihipStream_tbENKUlT_T0_E_clISt17integral_constantIbLb1EESW_IbLb0EEEEDaSS_ST_EUlSS_E_NS1_11comp_targetILNS1_3genE4ELNS1_11target_archE910ELNS1_3gpuE8ELNS1_3repE0EEENS1_30default_config_static_selectorELNS0_4arch9wavefront6targetE1EEEvT1_
	.p2align	8
	.type	_ZN7rocprim17ROCPRIM_400000_NS6detail17trampoline_kernelINS0_14default_configENS1_20scan_config_selectorIjEEZZNS1_9scan_implILNS1_25lookback_scan_determinismE0ELb1ELb1ES3_N6thrust23THRUST_200600_302600_NS6detail15normal_iteratorINS9_10device_ptrIjEEEENS9_16discard_iteratorINS9_11use_defaultEEEjNS9_4plusIvEEjEEDaPvRmT3_T4_T5_mT6_P12ihipStream_tbENKUlT_T0_E_clISt17integral_constantIbLb1EESW_IbLb0EEEEDaSS_ST_EUlSS_E_NS1_11comp_targetILNS1_3genE4ELNS1_11target_archE910ELNS1_3gpuE8ELNS1_3repE0EEENS1_30default_config_static_selectorELNS0_4arch9wavefront6targetE1EEEvT1_,@function
_ZN7rocprim17ROCPRIM_400000_NS6detail17trampoline_kernelINS0_14default_configENS1_20scan_config_selectorIjEEZZNS1_9scan_implILNS1_25lookback_scan_determinismE0ELb1ELb1ES3_N6thrust23THRUST_200600_302600_NS6detail15normal_iteratorINS9_10device_ptrIjEEEENS9_16discard_iteratorINS9_11use_defaultEEEjNS9_4plusIvEEjEEDaPvRmT3_T4_T5_mT6_P12ihipStream_tbENKUlT_T0_E_clISt17integral_constantIbLb1EESW_IbLb0EEEEDaSS_ST_EUlSS_E_NS1_11comp_targetILNS1_3genE4ELNS1_11target_archE910ELNS1_3gpuE8ELNS1_3repE0EEENS1_30default_config_static_selectorELNS0_4arch9wavefront6targetE1EEEvT1_: ; @_ZN7rocprim17ROCPRIM_400000_NS6detail17trampoline_kernelINS0_14default_configENS1_20scan_config_selectorIjEEZZNS1_9scan_implILNS1_25lookback_scan_determinismE0ELb1ELb1ES3_N6thrust23THRUST_200600_302600_NS6detail15normal_iteratorINS9_10device_ptrIjEEEENS9_16discard_iteratorINS9_11use_defaultEEEjNS9_4plusIvEEjEEDaPvRmT3_T4_T5_mT6_P12ihipStream_tbENKUlT_T0_E_clISt17integral_constantIbLb1EESW_IbLb0EEEEDaSS_ST_EUlSS_E_NS1_11comp_targetILNS1_3genE4ELNS1_11target_archE910ELNS1_3gpuE8ELNS1_3repE0EEENS1_30default_config_static_selectorELNS0_4arch9wavefront6targetE1EEEvT1_
; %bb.0:
	s_load_dwordx4 s[0:3], s[4:5], 0x0
	s_load_dwordx2 s[8:9], s[4:5], 0x20
	s_load_dword s7, s[4:5], 0x38
	s_waitcnt lgkmcnt(0)
	s_lshl_b64 s[2:3], s[2:3], 2
	s_add_u32 s21, s0, s2
	s_addc_u32 s22, s1, s3
	s_add_i32 s2, s7, -1
	s_mul_i32 s3, s2, 0x500
	s_sub_u32 s7, s8, s3
	s_subb_u32 s20, s9, 0
	s_mul_i32 s0, s6, 0x500
	s_mov_b32 s1, 0
	s_cmp_lg_u32 s6, s2
	s_cselect_b64 s[16:17], -1, 0
	s_lshl_b64 s[0:1], s[0:1], 2
	s_add_u32 s0, s21, s0
	s_addc_u32 s1, s22, s1
	s_mov_b64 s[2:3], -1
	s_and_b64 vcc, exec, s[16:17]
	s_cbranch_vccz .LBB5404_2
; %bb.1:
	v_lshlrev_b32_e32 v1, 2, v0
	v_mov_b32_e32 v3, s1
	v_add_co_u32_e32 v2, vcc, s0, v1
	v_addc_co_u32_e32 v3, vcc, 0, v3, vcc
	flat_load_dword v4, v[2:3]
	flat_load_dword v5, v[2:3] offset:512
	flat_load_dword v6, v[2:3] offset:1024
	;; [unrolled: 1-line block ×7, first 2 shown]
	v_add_co_u32_e32 v2, vcc, 0x1000, v2
	v_addc_co_u32_e32 v3, vcc, 0, v3, vcc
	flat_load_dword v12, v[2:3]
	flat_load_dword v13, v[2:3] offset:512
	s_mov_b64 s[2:3], 0
	s_waitcnt vmcnt(0) lgkmcnt(0)
	ds_write2st64_b32 v1, v4, v5 offset1:2
	ds_write2st64_b32 v1, v6, v7 offset0:4 offset1:6
	ds_write2st64_b32 v1, v8, v9 offset0:8 offset1:10
	;; [unrolled: 1-line block ×4, first 2 shown]
	s_waitcnt lgkmcnt(0)
	s_barrier
.LBB5404_2:
	s_load_dwordx2 s[18:19], s[4:5], 0x30
	s_andn2_b64 vcc, exec, s[2:3]
	s_cbranch_vccnz .LBB5404_24
; %bb.3:
	v_pk_mov_b32 v[2:3], s[0:1], s[0:1] op_sel:[0,1]
	flat_load_dword v1, v[2:3]
	v_cmp_gt_u32_e32 vcc, s7, v0
	s_waitcnt vmcnt(0) lgkmcnt(0)
	v_mov_b32_e32 v2, v1
	v_mov_b32_e32 v3, v1
	;; [unrolled: 1-line block ×9, first 2 shown]
	s_and_saveexec_b64 s[2:3], vcc
	s_cbranch_execz .LBB5404_5
; %bb.4:
	v_lshlrev_b32_e32 v10, 2, v0
	v_mov_b32_e32 v11, s1
	v_add_co_u32_e32 v10, vcc, s0, v10
	v_addc_co_u32_e32 v11, vcc, 0, v11, vcc
	flat_load_dword v10, v[10:11]
.LBB5404_5:
	s_or_b64 exec, exec, s[2:3]
	v_or_b32_e32 v11, 0x80, v0
	v_cmp_gt_u32_e32 vcc, s7, v11
	s_and_saveexec_b64 s[2:3], vcc
	s_cbranch_execz .LBB5404_7
; %bb.6:
	v_lshlrev_b32_e32 v1, 2, v0
	v_mov_b32_e32 v11, s1
	v_add_co_u32_e32 v12, vcc, s0, v1
	v_addc_co_u32_e32 v13, vcc, 0, v11, vcc
	flat_load_dword v1, v[12:13] offset:512
.LBB5404_7:
	s_or_b64 exec, exec, s[2:3]
	v_or_b32_e32 v11, 0x100, v0
	v_cmp_gt_u32_e32 vcc, s7, v11
	s_and_saveexec_b64 s[2:3], vcc
	s_cbranch_execz .LBB5404_9
; %bb.8:
	v_lshlrev_b32_e32 v2, 2, v0
	v_mov_b32_e32 v11, s1
	v_add_co_u32_e32 v12, vcc, s0, v2
	v_addc_co_u32_e32 v13, vcc, 0, v11, vcc
	flat_load_dword v2, v[12:13] offset:1024
.LBB5404_9:
	;; [unrolled: 12-line block ×7, first 2 shown]
	s_or_b64 exec, exec, s[2:3]
	v_or_b32_e32 v11, 0x400, v0
	v_cmp_gt_u32_e32 vcc, s7, v11
	s_and_saveexec_b64 s[2:3], vcc
	s_cbranch_execz .LBB5404_21
; %bb.20:
	v_lshlrev_b32_e32 v8, 2, v11
	v_mov_b32_e32 v11, s1
	v_add_co_u32_e32 v12, vcc, s0, v8
	v_addc_co_u32_e32 v13, vcc, 0, v11, vcc
	flat_load_dword v8, v[12:13]
.LBB5404_21:
	s_or_b64 exec, exec, s[2:3]
	v_or_b32_e32 v11, 0x480, v0
	v_cmp_gt_u32_e32 vcc, s7, v11
	s_and_saveexec_b64 s[2:3], vcc
	s_cbranch_execz .LBB5404_23
; %bb.22:
	v_lshlrev_b32_e32 v9, 2, v11
	v_mov_b32_e32 v11, s1
	v_add_co_u32_e32 v12, vcc, s0, v9
	v_addc_co_u32_e32 v13, vcc, 0, v11, vcc
	flat_load_dword v9, v[12:13]
.LBB5404_23:
	s_or_b64 exec, exec, s[2:3]
	v_lshlrev_b32_e32 v11, 2, v0
	s_waitcnt vmcnt(0) lgkmcnt(0)
	ds_write2st64_b32 v11, v10, v1 offset1:2
	ds_write2st64_b32 v11, v2, v3 offset0:4 offset1:6
	ds_write2st64_b32 v11, v4, v5 offset0:8 offset1:10
	;; [unrolled: 1-line block ×4, first 2 shown]
	s_waitcnt lgkmcnt(0)
	s_barrier
.LBB5404_24:
	v_mul_u32_u24_e32 v22, 10, v0
	v_lshlrev_b32_e32 v1, 2, v22
	s_waitcnt lgkmcnt(0)
	ds_read2_b64 v[16:19], v1 offset1:1
	ds_read2_b64 v[12:15], v1 offset0:2 offset1:3
	ds_read_b64 v[20:21], v1 offset:32
	s_cmp_lg_u32 s6, 0
	v_lshrrev_b32_e32 v23, 5, v0
	s_waitcnt lgkmcnt(2)
	v_add_u32_e32 v2, v17, v16
	v_add3_u32 v24, v2, v18, v19
	v_cmp_gt_u32_e32 vcc, 64, v0
	s_waitcnt lgkmcnt(0)
	s_barrier
	s_cbranch_scc0 .LBB5404_53
; %bb.25:
	v_add3_u32 v2, v24, v12, v13
	v_add3_u32 v2, v2, v14, v15
	;; [unrolled: 1-line block ×3, first 2 shown]
	v_add_lshl_u32 v3, v23, v0, 2
	ds_write_b32 v3, v2
	s_waitcnt lgkmcnt(0)
	s_barrier
	s_and_saveexec_b64 s[2:3], vcc
	s_cbranch_execz .LBB5404_27
; %bb.26:
	v_lshlrev_b32_e32 v3, 1, v0
	v_lshrrev_b32_e32 v4, 4, v0
	v_add_lshl_u32 v3, v4, v3, 2
	ds_read2_b32 v[4:5], v3 offset1:1
	v_mbcnt_lo_u32_b32 v6, -1, 0
	v_mbcnt_hi_u32_b32 v6, -1, v6
	v_and_b32_e32 v7, 15, v6
	v_cmp_ne_u32_e64 s[0:1], 0, v7
	s_waitcnt lgkmcnt(0)
	v_add_u32_e32 v5, v5, v4
	; wave barrier
	s_nop 1
	v_mov_b32_dpp v8, v5 row_shr:1 row_mask:0xf bank_mask:0xf
	v_cndmask_b32_e64 v8, 0, v8, s[0:1]
	v_add_u32_e32 v5, v8, v5
	v_cmp_lt_u32_e64 s[0:1], 1, v7
	s_nop 0
	v_mov_b32_dpp v8, v5 row_shr:2 row_mask:0xf bank_mask:0xf
	v_cndmask_b32_e64 v8, 0, v8, s[0:1]
	v_add_u32_e32 v5, v5, v8
	v_cmp_lt_u32_e64 s[0:1], 3, v7
	;; [unrolled: 5-line block ×3, first 2 shown]
	s_nop 0
	v_mov_b32_dpp v8, v5 row_shr:8 row_mask:0xf bank_mask:0xf
	v_cndmask_b32_e64 v7, 0, v8, s[0:1]
	v_add_u32_e32 v5, v5, v7
	v_bfe_i32 v8, v6, 4, 1
	v_cmp_lt_u32_e64 s[0:1], 31, v6
	v_mov_b32_dpp v7, v5 row_bcast:15 row_mask:0xf bank_mask:0xf
	v_and_b32_e32 v7, v8, v7
	v_add_u32_e32 v5, v5, v7
	v_and_b32_e32 v8, 64, v6
	s_nop 0
	v_mov_b32_dpp v7, v5 row_bcast:31 row_mask:0xf bank_mask:0xf
	v_cndmask_b32_e64 v7, 0, v7, s[0:1]
	v_add_u32_e32 v5, v5, v7
	v_add_u32_e32 v7, -1, v6
	v_cmp_lt_i32_e64 s[0:1], v7, v8
	v_cndmask_b32_e64 v6, v7, v6, s[0:1]
	v_lshlrev_b32_e32 v6, 2, v6
	ds_bpermute_b32 v5, v6, v5
	v_cmp_eq_u32_e64 s[0:1], 0, v0
	s_waitcnt lgkmcnt(0)
	v_add_u32_e32 v4, v5, v4
	v_cndmask_b32_e64 v2, v4, v2, s[0:1]
	ds_write_b32 v3, v2
	; wave barrier
	ds_read_b32 v4, v3 offset:4
	s_waitcnt lgkmcnt(0)
	v_add_u32_e32 v2, v4, v2
	ds_write_b32 v3, v2 offset:4
.LBB5404_27:
	s_or_b64 exec, exec, s[2:3]
	v_cmp_eq_u32_e64 s[0:1], 0, v0
	v_cmp_ne_u32_e64 s[2:3], 0, v0
	v_mov_b32_e32 v25, 0
	s_waitcnt lgkmcnt(0)
	s_barrier
	s_and_saveexec_b64 s[8:9], s[2:3]
	s_cbranch_execz .LBB5404_29
; %bb.28:
	v_add_u32_e32 v2, -1, v0
	v_lshrrev_b32_e32 v3, 5, v2
	v_add_lshl_u32 v2, v3, v2, 2
	ds_read_b32 v25, v2
.LBB5404_29:
	s_or_b64 exec, exec, s[8:9]
	s_and_saveexec_b64 s[8:9], vcc
	s_cbranch_execz .LBB5404_52
; %bb.30:
	v_mov_b32_e32 v11, 0
	ds_read_b32 v2, v11 offset:520
	v_mbcnt_lo_u32_b32 v3, -1, 0
	v_mbcnt_hi_u32_b32 v5, -1, v3
	s_mov_b32 s13, 0
	v_cmp_eq_u32_e64 s[2:3], 0, v5
	s_and_saveexec_b64 s[10:11], s[2:3]
	s_cbranch_execz .LBB5404_32
; %bb.31:
	s_add_i32 s12, s6, 64
	s_lshl_b64 s[12:13], s[12:13], 3
	s_add_u32 s12, s18, s12
	v_mov_b32_e32 v3, 1
	s_addc_u32 s13, s19, s13
	s_waitcnt lgkmcnt(0)
	global_store_dwordx2 v11, v[2:3], s[12:13]
.LBB5404_32:
	s_or_b64 exec, exec, s[10:11]
	v_xad_u32 v4, v5, -1, s6
	v_add_u32_e32 v10, 64, v4
	v_lshlrev_b64 v[6:7], 3, v[10:11]
	v_mov_b32_e32 v3, s19
	v_add_co_u32_e32 v6, vcc, s18, v6
	v_addc_co_u32_e32 v7, vcc, v3, v7, vcc
	global_load_dwordx2 v[8:9], v[6:7], off glc
	s_waitcnt vmcnt(0)
	v_cmp_eq_u16_sdwa s[12:13], v9, v11 src0_sel:BYTE_0 src1_sel:DWORD
	s_and_saveexec_b64 s[10:11], s[12:13]
	s_cbranch_execz .LBB5404_38
; %bb.33:
	s_mov_b32 s14, 1
	s_mov_b64 s[12:13], 0
	v_mov_b32_e32 v3, 0
.LBB5404_34:                            ; =>This Loop Header: Depth=1
                                        ;     Child Loop BB5404_35 Depth 2
	s_max_u32 s15, s14, 1
.LBB5404_35:                            ;   Parent Loop BB5404_34 Depth=1
                                        ; =>  This Inner Loop Header: Depth=2
	s_add_i32 s15, s15, -1
	s_cmp_eq_u32 s15, 0
	s_sleep 1
	s_cbranch_scc0 .LBB5404_35
; %bb.36:                               ;   in Loop: Header=BB5404_34 Depth=1
	global_load_dwordx2 v[8:9], v[6:7], off glc
	s_cmp_lt_u32 s14, 32
	s_cselect_b64 s[24:25], -1, 0
	s_cmp_lg_u64 s[24:25], 0
	s_addc_u32 s14, s14, 0
	s_waitcnt vmcnt(0)
	v_cmp_ne_u16_sdwa s[24:25], v9, v3 src0_sel:BYTE_0 src1_sel:DWORD
	s_or_b64 s[12:13], s[24:25], s[12:13]
	s_andn2_b64 exec, exec, s[12:13]
	s_cbranch_execnz .LBB5404_34
; %bb.37:
	s_or_b64 exec, exec, s[12:13]
.LBB5404_38:
	s_or_b64 exec, exec, s[10:11]
	v_and_b32_e32 v26, 63, v5
	v_mov_b32_e32 v3, 2
	v_cmp_ne_u32_e32 vcc, 63, v26
	v_cmp_eq_u16_sdwa s[10:11], v9, v3 src0_sel:BYTE_0 src1_sel:DWORD
	v_lshlrev_b64 v[6:7], v5, -1
	v_addc_co_u32_e32 v27, vcc, 0, v5, vcc
	v_and_b32_e32 v10, s11, v7
	v_lshlrev_b32_e32 v27, 2, v27
	v_or_b32_e32 v10, 0x80000000, v10
	ds_bpermute_b32 v28, v27, v8
	v_and_b32_e32 v11, s10, v6
	v_ffbl_b32_e32 v10, v10
	v_add_u32_e32 v10, 32, v10
	v_ffbl_b32_e32 v11, v11
	v_min_u32_e32 v10, v11, v10
	v_cmp_lt_u32_e32 vcc, v26, v10
	s_waitcnt lgkmcnt(0)
	v_cndmask_b32_e32 v11, 0, v28, vcc
	v_cmp_gt_u32_e32 vcc, 62, v26
	v_add_u32_e32 v8, v11, v8
	v_cndmask_b32_e64 v11, 0, 1, vcc
	v_lshlrev_b32_e32 v11, 1, v11
	v_add_lshl_u32 v28, v11, v5, 2
	ds_bpermute_b32 v11, v28, v8
	v_add_u32_e32 v29, 2, v26
	v_cmp_le_u32_e32 vcc, v29, v10
	v_add_u32_e32 v31, 4, v26
	v_add_u32_e32 v33, 8, v26
	s_waitcnt lgkmcnt(0)
	v_cndmask_b32_e32 v11, 0, v11, vcc
	v_cmp_gt_u32_e32 vcc, 60, v26
	v_add_u32_e32 v8, v8, v11
	v_cndmask_b32_e64 v11, 0, 1, vcc
	v_lshlrev_b32_e32 v11, 2, v11
	v_add_lshl_u32 v30, v11, v5, 2
	ds_bpermute_b32 v11, v30, v8
	v_cmp_le_u32_e32 vcc, v31, v10
	v_add_u32_e32 v36, 16, v26
	v_add_u32_e32 v38, 32, v26
	s_waitcnt lgkmcnt(0)
	v_cndmask_b32_e32 v11, 0, v11, vcc
	v_cmp_gt_u32_e32 vcc, 56, v26
	v_add_u32_e32 v8, v8, v11
	v_cndmask_b32_e64 v11, 0, 1, vcc
	v_lshlrev_b32_e32 v11, 3, v11
	v_add_lshl_u32 v32, v11, v5, 2
	ds_bpermute_b32 v11, v32, v8
	v_cmp_le_u32_e32 vcc, v33, v10
	s_waitcnt lgkmcnt(0)
	v_cndmask_b32_e32 v11, 0, v11, vcc
	v_cmp_gt_u32_e32 vcc, 48, v26
	v_add_u32_e32 v8, v8, v11
	v_cndmask_b32_e64 v11, 0, 1, vcc
	v_lshlrev_b32_e32 v11, 4, v11
	v_add_lshl_u32 v35, v11, v5, 2
	ds_bpermute_b32 v11, v35, v8
	v_cmp_le_u32_e32 vcc, v36, v10
	;; [unrolled: 9-line block ×3, first 2 shown]
	s_waitcnt lgkmcnt(0)
	v_cndmask_b32_e32 v5, 0, v5, vcc
	v_add_u32_e32 v8, v8, v5
	v_mov_b32_e32 v5, 0
	s_branch .LBB5404_40
.LBB5404_39:                            ;   in Loop: Header=BB5404_40 Depth=1
	s_or_b64 exec, exec, s[10:11]
	v_cmp_eq_u16_sdwa s[10:11], v9, v3 src0_sel:BYTE_0 src1_sel:DWORD
	v_and_b32_e32 v10, s11, v7
	v_or_b32_e32 v10, 0x80000000, v10
	ds_bpermute_b32 v39, v27, v8
	v_and_b32_e32 v11, s10, v6
	v_ffbl_b32_e32 v10, v10
	v_add_u32_e32 v10, 32, v10
	v_ffbl_b32_e32 v11, v11
	v_min_u32_e32 v10, v11, v10
	v_cmp_lt_u32_e32 vcc, v26, v10
	s_waitcnt lgkmcnt(0)
	v_cndmask_b32_e32 v11, 0, v39, vcc
	v_add_u32_e32 v8, v11, v8
	ds_bpermute_b32 v11, v28, v8
	v_cmp_le_u32_e32 vcc, v29, v10
	v_subrev_u32_e32 v4, 64, v4
	s_waitcnt lgkmcnt(0)
	v_cndmask_b32_e32 v11, 0, v11, vcc
	v_add_u32_e32 v8, v8, v11
	ds_bpermute_b32 v11, v30, v8
	v_cmp_le_u32_e32 vcc, v31, v10
	s_waitcnt lgkmcnt(0)
	v_cndmask_b32_e32 v11, 0, v11, vcc
	v_add_u32_e32 v8, v8, v11
	ds_bpermute_b32 v11, v32, v8
	v_cmp_le_u32_e32 vcc, v33, v10
	s_waitcnt lgkmcnt(0)
	v_cndmask_b32_e32 v11, 0, v11, vcc
	v_add_u32_e32 v8, v8, v11
	ds_bpermute_b32 v11, v35, v8
	v_cmp_le_u32_e32 vcc, v36, v10
	s_waitcnt lgkmcnt(0)
	v_cndmask_b32_e32 v11, 0, v11, vcc
	v_add_u32_e32 v8, v8, v11
	ds_bpermute_b32 v11, v37, v8
	v_cmp_le_u32_e32 vcc, v38, v10
	s_waitcnt lgkmcnt(0)
	v_cndmask_b32_e32 v10, 0, v11, vcc
	v_add3_u32 v8, v10, v34, v8
.LBB5404_40:                            ; =>This Loop Header: Depth=1
                                        ;     Child Loop BB5404_43 Depth 2
                                        ;       Child Loop BB5404_44 Depth 3
	v_cmp_ne_u16_sdwa s[10:11], v9, v3 src0_sel:BYTE_0 src1_sel:DWORD
	v_cndmask_b32_e64 v9, 0, 1, s[10:11]
	;;#ASMSTART
	;;#ASMEND
	v_cmp_ne_u32_e32 vcc, 0, v9
	s_cmp_lg_u64 vcc, exec
	v_mov_b32_e32 v34, v8
	s_cbranch_scc1 .LBB5404_47
; %bb.41:                               ;   in Loop: Header=BB5404_40 Depth=1
	v_lshlrev_b64 v[8:9], 3, v[4:5]
	v_mov_b32_e32 v11, s19
	v_add_co_u32_e32 v10, vcc, s18, v8
	v_addc_co_u32_e32 v11, vcc, v11, v9, vcc
	global_load_dwordx2 v[8:9], v[10:11], off glc
	s_waitcnt vmcnt(0)
	v_cmp_eq_u16_sdwa s[12:13], v9, v5 src0_sel:BYTE_0 src1_sel:DWORD
	s_and_saveexec_b64 s[10:11], s[12:13]
	s_cbranch_execz .LBB5404_39
; %bb.42:                               ;   in Loop: Header=BB5404_40 Depth=1
	s_mov_b32 s14, 1
	s_mov_b64 s[12:13], 0
.LBB5404_43:                            ;   Parent Loop BB5404_40 Depth=1
                                        ; =>  This Loop Header: Depth=2
                                        ;       Child Loop BB5404_44 Depth 3
	s_max_u32 s15, s14, 1
.LBB5404_44:                            ;   Parent Loop BB5404_40 Depth=1
                                        ;     Parent Loop BB5404_43 Depth=2
                                        ; =>    This Inner Loop Header: Depth=3
	s_add_i32 s15, s15, -1
	s_cmp_eq_u32 s15, 0
	s_sleep 1
	s_cbranch_scc0 .LBB5404_44
; %bb.45:                               ;   in Loop: Header=BB5404_43 Depth=2
	global_load_dwordx2 v[8:9], v[10:11], off glc
	s_cmp_lt_u32 s14, 32
	s_cselect_b64 s[24:25], -1, 0
	s_cmp_lg_u64 s[24:25], 0
	s_addc_u32 s14, s14, 0
	s_waitcnt vmcnt(0)
	v_cmp_ne_u16_sdwa s[24:25], v9, v5 src0_sel:BYTE_0 src1_sel:DWORD
	s_or_b64 s[12:13], s[24:25], s[12:13]
	s_andn2_b64 exec, exec, s[12:13]
	s_cbranch_execnz .LBB5404_43
; %bb.46:                               ;   in Loop: Header=BB5404_40 Depth=1
	s_or_b64 exec, exec, s[12:13]
	s_branch .LBB5404_39
.LBB5404_47:                            ;   in Loop: Header=BB5404_40 Depth=1
                                        ; implicit-def: $vgpr8
                                        ; implicit-def: $vgpr9
	s_cbranch_execz .LBB5404_40
; %bb.48:
	s_and_saveexec_b64 s[10:11], s[2:3]
	s_cbranch_execz .LBB5404_50
; %bb.49:
	s_add_i32 s2, s6, 64
	s_mov_b32 s3, 0
	s_lshl_b64 s[2:3], s[2:3], 3
	s_add_u32 s2, s18, s2
	v_add_u32_e32 v2, v34, v2
	v_mov_b32_e32 v3, 2
	s_addc_u32 s3, s19, s3
	v_mov_b32_e32 v4, 0
	global_store_dwordx2 v4, v[2:3], s[2:3]
.LBB5404_50:
	s_or_b64 exec, exec, s[10:11]
	s_and_b64 exec, exec, s[0:1]
	s_cbranch_execz .LBB5404_52
; %bb.51:
	v_mov_b32_e32 v2, 0
	ds_write_b32 v2, v34
.LBB5404_52:
	s_or_b64 exec, exec, s[8:9]
	v_mov_b32_e32 v2, 0
	s_waitcnt lgkmcnt(0)
	s_barrier
	ds_read_b32 v2, v2
	s_waitcnt lgkmcnt(0)
	v_add_u32_e32 v2, v2, v25
	v_add_u32_e32 v3, v2, v16
	v_add_u32_e32 v4, v3, v17
	v_add_u32_e32 v5, v4, v18
	v_add_u32_e32 v6, v5, v19
	v_add_u32_e32 v7, v6, v12
	v_add_u32_e32 v8, v7, v13
	v_add_u32_e32 v9, v8, v14
	v_add_u32_e32 v10, v9, v15
	v_add_u32_e32 v11, v10, v20
	s_load_dwordx8 s[8:15], s[4:5], 0x40
	s_branch .LBB5404_63
.LBB5404_53:
                                        ; implicit-def: $vgpr2_vgpr3_vgpr4_vgpr5_vgpr6_vgpr7_vgpr8_vgpr9_vgpr10_vgpr11
	s_load_dwordx8 s[8:15], s[4:5], 0x40
	s_cbranch_execz .LBB5404_63
; %bb.54:
	s_load_dword s0, s[4:5], 0x28
	s_waitcnt lgkmcnt(0)
	s_cmp_eq_u64 s[12:13], 0
	v_mov_b32_e32 v25, s0
	s_cbranch_scc1 .LBB5404_56
; %bb.55:
	v_mov_b32_e32 v3, s22
	v_add_co_u32_e64 v2, vcc, -4, s21
	v_addc_co_u32_e32 v3, vcc, -1, v3, vcc
	v_mov_b32_e32 v4, 0
	flat_load_dword v5, v[2:3]
	global_load_dword v6, v4, s[8:9]
	s_waitcnt vmcnt(0) lgkmcnt(0)
	v_add_u32_e32 v25, v6, v5
.LBB5404_56:
	v_add3_u32 v2, v24, v12, v13
	v_add3_u32 v2, v2, v14, v15
	;; [unrolled: 1-line block ×3, first 2 shown]
	v_add_lshl_u32 v3, v23, v0, 2
	v_cmp_gt_u32_e32 vcc, 64, v0
	ds_write_b32 v3, v2
	s_waitcnt lgkmcnt(0)
	s_barrier
	s_and_saveexec_b64 s[0:1], vcc
	s_cbranch_execz .LBB5404_58
; %bb.57:
	v_lshlrev_b32_e32 v3, 1, v0
	v_lshrrev_b32_e32 v4, 4, v0
	v_add_lshl_u32 v3, v4, v3, 2
	ds_read2_b32 v[4:5], v3 offset1:1
	v_mbcnt_lo_u32_b32 v6, -1, 0
	v_mbcnt_hi_u32_b32 v6, -1, v6
	v_and_b32_e32 v7, 15, v6
	v_cmp_ne_u32_e32 vcc, 0, v7
	s_waitcnt lgkmcnt(0)
	v_add_u32_e32 v5, v5, v4
	; wave barrier
	s_nop 1
	v_mov_b32_dpp v8, v5 row_shr:1 row_mask:0xf bank_mask:0xf
	v_cndmask_b32_e32 v8, 0, v8, vcc
	v_add_u32_e32 v5, v8, v5
	v_cmp_lt_u32_e32 vcc, 1, v7
	s_nop 0
	v_mov_b32_dpp v8, v5 row_shr:2 row_mask:0xf bank_mask:0xf
	v_cndmask_b32_e32 v8, 0, v8, vcc
	v_add_u32_e32 v5, v5, v8
	v_cmp_lt_u32_e32 vcc, 3, v7
	;; [unrolled: 5-line block ×3, first 2 shown]
	s_nop 0
	v_mov_b32_dpp v8, v5 row_shr:8 row_mask:0xf bank_mask:0xf
	v_cndmask_b32_e32 v7, 0, v8, vcc
	v_add_u32_e32 v5, v5, v7
	v_bfe_i32 v8, v6, 4, 1
	v_cmp_lt_u32_e32 vcc, 31, v6
	v_mov_b32_dpp v7, v5 row_bcast:15 row_mask:0xf bank_mask:0xf
	v_and_b32_e32 v7, v8, v7
	v_add_u32_e32 v5, v5, v7
	v_and_b32_e32 v8, 64, v6
	s_nop 0
	v_mov_b32_dpp v7, v5 row_bcast:31 row_mask:0xf bank_mask:0xf
	v_cndmask_b32_e32 v7, 0, v7, vcc
	v_add_u32_e32 v5, v5, v7
	v_add_u32_e32 v7, -1, v6
	v_cmp_lt_i32_e32 vcc, v7, v8
	v_cndmask_b32_e32 v6, v7, v6, vcc
	v_lshlrev_b32_e32 v6, 2, v6
	ds_bpermute_b32 v5, v6, v5
	v_cmp_eq_u32_e32 vcc, 0, v0
	s_waitcnt lgkmcnt(0)
	v_add_u32_e32 v4, v5, v4
	v_cndmask_b32_e32 v2, v4, v2, vcc
	ds_write_b32 v3, v2
	; wave barrier
	ds_read_b32 v4, v3 offset:4
	s_waitcnt lgkmcnt(0)
	v_add_u32_e32 v2, v4, v2
	ds_write_b32 v3, v2 offset:4
.LBB5404_58:
	s_or_b64 exec, exec, s[0:1]
	v_cmp_eq_u32_e32 vcc, 0, v0
	v_cmp_ne_u32_e64 s[0:1], 0, v0
	v_mov_b32_e32 v2, v25
	s_waitcnt lgkmcnt(0)
	s_barrier
	s_and_saveexec_b64 s[2:3], s[0:1]
	s_cbranch_execz .LBB5404_60
; %bb.59:
	v_add_u32_e32 v2, -1, v0
	v_lshrrev_b32_e32 v3, 5, v2
	v_add_lshl_u32 v2, v3, v2, 2
	ds_read_b32 v2, v2
	s_waitcnt lgkmcnt(0)
	v_add_u32_e32 v2, v2, v25
.LBB5404_60:
	s_or_b64 exec, exec, s[2:3]
	v_add_u32_e32 v3, v2, v16
	v_add_u32_e32 v4, v3, v17
	;; [unrolled: 1-line block ×9, first 2 shown]
	s_and_saveexec_b64 s[0:1], vcc
	s_cbranch_execz .LBB5404_62
; %bb.61:
	v_mov_b32_e32 v14, 0
	ds_read_b32 v12, v14 offset:520
	v_mov_b32_e32 v13, 2
	s_waitcnt lgkmcnt(0)
	v_add_u32_e32 v12, v12, v25
	global_store_dwordx2 v14, v[12:13], s[18:19] offset:512
.LBB5404_62:
	s_or_b64 exec, exec, s[0:1]
.LBB5404_63:
	s_mov_b64 s[0:1], -1
	s_and_b64 vcc, exec, s[16:17]
	s_waitcnt lgkmcnt(0)
	s_barrier
	ds_write2_b64 v1, v[2:3], v[4:5] offset1:1
	ds_write2_b64 v1, v[6:7], v[8:9] offset0:2 offset1:3
	ds_write_b64 v1, v[10:11] offset:32
	s_waitcnt lgkmcnt(0)
	s_cbranch_vccz .LBB5404_65
; %bb.64:
	s_barrier
	s_mov_b64 s[0:1], 0
.LBB5404_65:
	s_andn2_b64 vcc, exec, s[0:1]
	s_cbranch_vccnz .LBB5404_101
; %bb.66:
	v_cmp_lt_u64_e64 s[0:1], s[14:15], 2
	s_and_b64 vcc, exec, s[0:1]
	s_barrier
	s_cbranch_vccnz .LBB5404_101
; %bb.67:
	s_add_u32 s0, s7, -1
	s_addc_u32 s1, s20, -1
	s_add_u32 s2, 0, 0x99986000
	s_addc_u32 s3, 0, 0x59
	s_add_i32 s3, s3, 0x19999940
	s_mul_hi_u32 s7, s2, -10
	s_sub_i32 s7, s7, s2
	s_mul_i32 s8, s3, -10
	s_mul_i32 s4, s2, -10
	s_add_i32 s7, s7, s8
	s_mul_hi_u32 s5, s3, s4
	s_mul_i32 s6, s3, s4
	s_mul_i32 s9, s2, s7
	s_mul_hi_u32 s4, s2, s4
	s_mul_hi_u32 s8, s2, s7
	s_add_u32 s4, s4, s9
	s_addc_u32 s8, 0, s8
	s_add_u32 s4, s4, s6
	s_mul_hi_u32 s9, s3, s7
	s_addc_u32 s4, s8, s5
	s_addc_u32 s5, s9, 0
	s_mul_i32 s6, s3, s7
	s_add_u32 s4, s4, s6
	v_mov_b32_e32 v2, s4
	s_addc_u32 s5, 0, s5
	v_add_co_u32_e32 v2, vcc, s2, v2
	s_cmp_lg_u64 vcc, 0
	s_addc_u32 s2, s3, s5
	v_readfirstlane_b32 s5, v2
	s_mul_i32 s4, s0, s2
	s_mul_hi_u32 s6, s0, s5
	s_mul_hi_u32 s3, s0, s2
	s_add_u32 s4, s6, s4
	s_addc_u32 s3, 0, s3
	s_mul_hi_u32 s7, s1, s5
	s_mul_i32 s5, s1, s5
	s_add_u32 s4, s4, s5
	s_mul_hi_u32 s6, s1, s2
	s_addc_u32 s3, s3, s7
	s_addc_u32 s4, s6, 0
	s_mul_i32 s2, s1, s2
	s_add_u32 s2, s3, s2
	s_addc_u32 s3, 0, s4
	s_add_u32 s4, s2, 1
	s_addc_u32 s5, s3, 0
	s_add_u32 s6, s2, 2
	s_mul_i32 s8, s3, 10
	s_mul_hi_u32 s9, s2, 10
	s_addc_u32 s7, s3, 0
	s_add_i32 s9, s9, s8
	s_mul_i32 s8, s2, 10
	v_mov_b32_e32 v2, s8
	v_sub_co_u32_e32 v2, vcc, s0, v2
	s_cmp_lg_u64 vcc, 0
	s_subb_u32 s8, s1, s9
	v_subrev_co_u32_e32 v3, vcc, 10, v2
	s_cmp_lg_u64 vcc, 0
	s_subb_u32 s9, s8, 0
	v_readfirstlane_b32 s12, v3
	s_cmp_gt_u32 s12, 9
	s_cselect_b32 s12, -1, 0
	s_cmp_eq_u32 s9, 0
	s_cselect_b32 s9, s12, -1
	s_cmp_lg_u32 s9, 0
	s_cselect_b32 s4, s6, s4
	v_readfirstlane_b32 s6, v2
	s_cselect_b32 s5, s7, s5
	s_cmp_gt_u32 s6, 9
	s_cselect_b32 s6, -1, 0
	s_cmp_eq_u32 s8, 0
	s_cselect_b32 s6, s6, -1
	s_cmp_lg_u32 s6, 0
	v_mov_b32_e32 v1, 0
	s_cselect_b32 s3, s5, s3
	s_cselect_b32 s2, s4, s2
	v_cmp_eq_u64_e32 vcc, s[2:3], v[0:1]
	s_and_saveexec_b64 s[2:3], vcc
	s_cbranch_execz .LBB5404_101
; %bb.68:
	v_lshlrev_b32_e32 v2, 2, v0
	v_mul_hi_u32_u24_e32 v1, 10, v0
	v_mov_b32_e32 v3, s1
	v_sub_co_u32_e32 v0, vcc, s0, v22
	v_subb_co_u32_e32 v1, vcc, v3, v1, vcc
	v_cmp_lt_i64_e32 vcc, 4, v[0:1]
	s_and_saveexec_b64 s[0:1], vcc
	s_xor_b64 s[0:1], exec, s[0:1]
	s_cbranch_execz .LBB5404_86
; %bb.69:
	v_cmp_lt_i64_e32 vcc, 6, v[0:1]
	s_and_saveexec_b64 s[2:3], vcc
	s_xor_b64 s[2:3], exec, s[2:3]
	s_cbranch_execz .LBB5404_79
; %bb.70:
	;; [unrolled: 5-line block ×4, first 2 shown]
	ds_read_b32 v0, v2 offset:4608
	v_mov_b32_e32 v1, 0
                                        ; implicit-def: $vgpr2
	s_waitcnt lgkmcnt(0)
	global_store_dword v1, v0, s[10:11]
.LBB5404_73:
	s_andn2_saveexec_b64 s[6:7], s[6:7]
	s_cbranch_execz .LBB5404_75
; %bb.74:
	ds_read_b32 v0, v2 offset:4096
	v_mov_b32_e32 v1, 0
	s_waitcnt lgkmcnt(0)
	global_store_dword v1, v0, s[10:11]
.LBB5404_75:
	s_or_b64 exec, exec, s[6:7]
                                        ; implicit-def: $vgpr2
.LBB5404_76:
	s_andn2_saveexec_b64 s[4:5], s[4:5]
	s_cbranch_execz .LBB5404_78
; %bb.77:
	ds_read_b32 v0, v2 offset:3584
	v_mov_b32_e32 v1, 0
	s_waitcnt lgkmcnt(0)
	global_store_dword v1, v0, s[10:11]
.LBB5404_78:
	s_or_b64 exec, exec, s[4:5]
                                        ; implicit-def: $vgpr2
                                        ; implicit-def: $vgpr0_vgpr1
.LBB5404_79:
	s_andn2_saveexec_b64 s[2:3], s[2:3]
	s_cbranch_execz .LBB5404_85
; %bb.80:
	v_cmp_lt_i64_e32 vcc, 5, v[0:1]
	s_and_saveexec_b64 s[4:5], vcc
	s_xor_b64 s[4:5], exec, s[4:5]
	s_cbranch_execz .LBB5404_82
; %bb.81:
	ds_read_b32 v0, v2 offset:3072
	v_mov_b32_e32 v1, 0
                                        ; implicit-def: $vgpr2
	s_waitcnt lgkmcnt(0)
	global_store_dword v1, v0, s[10:11]
.LBB5404_82:
	s_andn2_saveexec_b64 s[4:5], s[4:5]
	s_cbranch_execz .LBB5404_84
; %bb.83:
	ds_read_b32 v0, v2 offset:2560
	v_mov_b32_e32 v1, 0
	s_waitcnt lgkmcnt(0)
	global_store_dword v1, v0, s[10:11]
.LBB5404_84:
	s_or_b64 exec, exec, s[4:5]
.LBB5404_85:
	s_or_b64 exec, exec, s[2:3]
                                        ; implicit-def: $vgpr0_vgpr1
                                        ; implicit-def: $vgpr2
.LBB5404_86:
	s_andn2_saveexec_b64 s[0:1], s[0:1]
	s_cbranch_execz .LBB5404_101
; %bb.87:
	v_cmp_lt_i64_e32 vcc, 2, v[0:1]
	s_and_saveexec_b64 s[0:1], vcc
	s_xor_b64 s[0:1], exec, s[0:1]
	s_cbranch_execz .LBB5404_93
; %bb.88:
	v_cmp_lt_i64_e32 vcc, 3, v[0:1]
	s_and_saveexec_b64 s[2:3], vcc
	s_xor_b64 s[2:3], exec, s[2:3]
	s_cbranch_execz .LBB5404_90
; %bb.89:
	ds_read_b32 v0, v2 offset:2048
	v_mov_b32_e32 v1, 0
                                        ; implicit-def: $vgpr2
	s_waitcnt lgkmcnt(0)
	global_store_dword v1, v0, s[10:11]
.LBB5404_90:
	s_andn2_saveexec_b64 s[2:3], s[2:3]
	s_cbranch_execz .LBB5404_92
; %bb.91:
	ds_read_b32 v0, v2 offset:1536
	v_mov_b32_e32 v1, 0
	s_waitcnt lgkmcnt(0)
	global_store_dword v1, v0, s[10:11]
.LBB5404_92:
	s_or_b64 exec, exec, s[2:3]
                                        ; implicit-def: $vgpr0_vgpr1
                                        ; implicit-def: $vgpr2
.LBB5404_93:
	s_andn2_saveexec_b64 s[0:1], s[0:1]
	s_cbranch_execz .LBB5404_101
; %bb.94:
	v_cmp_lt_i64_e32 vcc, 1, v[0:1]
	s_and_saveexec_b64 s[0:1], vcc
	s_xor_b64 s[0:1], exec, s[0:1]
	s_cbranch_execz .LBB5404_96
; %bb.95:
	ds_read_b32 v0, v2 offset:1024
	v_mov_b32_e32 v1, 0
                                        ; implicit-def: $vgpr2
	s_waitcnt lgkmcnt(0)
	global_store_dword v1, v0, s[10:11]
                                        ; implicit-def: $vgpr0_vgpr1
.LBB5404_96:
	s_andn2_saveexec_b64 s[0:1], s[0:1]
	s_cbranch_execz .LBB5404_101
; %bb.97:
	v_cmp_ne_u64_e32 vcc, 1, v[0:1]
	s_and_saveexec_b64 s[0:1], vcc
	s_xor_b64 s[0:1], exec, s[0:1]
	s_cbranch_execz .LBB5404_99
; %bb.98:
	ds_read_b32 v0, v2
	v_mov_b32_e32 v1, 0
                                        ; implicit-def: $vgpr2
	s_waitcnt lgkmcnt(0)
	global_store_dword v1, v0, s[10:11]
.LBB5404_99:
	s_andn2_saveexec_b64 s[0:1], s[0:1]
	s_cbranch_execz .LBB5404_101
; %bb.100:
	ds_read_b32 v0, v2 offset:512
	v_mov_b32_e32 v1, 0
	s_waitcnt lgkmcnt(0)
	global_store_dword v1, v0, s[10:11]
.LBB5404_101:
	s_endpgm
	.section	.rodata,"a",@progbits
	.p2align	6, 0x0
	.amdhsa_kernel _ZN7rocprim17ROCPRIM_400000_NS6detail17trampoline_kernelINS0_14default_configENS1_20scan_config_selectorIjEEZZNS1_9scan_implILNS1_25lookback_scan_determinismE0ELb1ELb1ES3_N6thrust23THRUST_200600_302600_NS6detail15normal_iteratorINS9_10device_ptrIjEEEENS9_16discard_iteratorINS9_11use_defaultEEEjNS9_4plusIvEEjEEDaPvRmT3_T4_T5_mT6_P12ihipStream_tbENKUlT_T0_E_clISt17integral_constantIbLb1EESW_IbLb0EEEEDaSS_ST_EUlSS_E_NS1_11comp_targetILNS1_3genE4ELNS1_11target_archE910ELNS1_3gpuE8ELNS1_3repE0EEENS1_30default_config_static_selectorELNS0_4arch9wavefront6targetE1EEEvT1_
		.amdhsa_group_segment_fixed_size 5120
		.amdhsa_private_segment_fixed_size 0
		.amdhsa_kernarg_size 104
		.amdhsa_user_sgpr_count 6
		.amdhsa_user_sgpr_private_segment_buffer 1
		.amdhsa_user_sgpr_dispatch_ptr 0
		.amdhsa_user_sgpr_queue_ptr 0
		.amdhsa_user_sgpr_kernarg_segment_ptr 1
		.amdhsa_user_sgpr_dispatch_id 0
		.amdhsa_user_sgpr_flat_scratch_init 0
		.amdhsa_user_sgpr_kernarg_preload_length 0
		.amdhsa_user_sgpr_kernarg_preload_offset 0
		.amdhsa_user_sgpr_private_segment_size 0
		.amdhsa_uses_dynamic_stack 0
		.amdhsa_system_sgpr_private_segment_wavefront_offset 0
		.amdhsa_system_sgpr_workgroup_id_x 1
		.amdhsa_system_sgpr_workgroup_id_y 0
		.amdhsa_system_sgpr_workgroup_id_z 0
		.amdhsa_system_sgpr_workgroup_info 0
		.amdhsa_system_vgpr_workitem_id 0
		.amdhsa_next_free_vgpr 40
		.amdhsa_next_free_sgpr 26
		.amdhsa_accum_offset 40
		.amdhsa_reserve_vcc 1
		.amdhsa_reserve_flat_scratch 0
		.amdhsa_float_round_mode_32 0
		.amdhsa_float_round_mode_16_64 0
		.amdhsa_float_denorm_mode_32 3
		.amdhsa_float_denorm_mode_16_64 3
		.amdhsa_dx10_clamp 1
		.amdhsa_ieee_mode 1
		.amdhsa_fp16_overflow 0
		.amdhsa_tg_split 0
		.amdhsa_exception_fp_ieee_invalid_op 0
		.amdhsa_exception_fp_denorm_src 0
		.amdhsa_exception_fp_ieee_div_zero 0
		.amdhsa_exception_fp_ieee_overflow 0
		.amdhsa_exception_fp_ieee_underflow 0
		.amdhsa_exception_fp_ieee_inexact 0
		.amdhsa_exception_int_div_zero 0
	.end_amdhsa_kernel
	.section	.text._ZN7rocprim17ROCPRIM_400000_NS6detail17trampoline_kernelINS0_14default_configENS1_20scan_config_selectorIjEEZZNS1_9scan_implILNS1_25lookback_scan_determinismE0ELb1ELb1ES3_N6thrust23THRUST_200600_302600_NS6detail15normal_iteratorINS9_10device_ptrIjEEEENS9_16discard_iteratorINS9_11use_defaultEEEjNS9_4plusIvEEjEEDaPvRmT3_T4_T5_mT6_P12ihipStream_tbENKUlT_T0_E_clISt17integral_constantIbLb1EESW_IbLb0EEEEDaSS_ST_EUlSS_E_NS1_11comp_targetILNS1_3genE4ELNS1_11target_archE910ELNS1_3gpuE8ELNS1_3repE0EEENS1_30default_config_static_selectorELNS0_4arch9wavefront6targetE1EEEvT1_,"axG",@progbits,_ZN7rocprim17ROCPRIM_400000_NS6detail17trampoline_kernelINS0_14default_configENS1_20scan_config_selectorIjEEZZNS1_9scan_implILNS1_25lookback_scan_determinismE0ELb1ELb1ES3_N6thrust23THRUST_200600_302600_NS6detail15normal_iteratorINS9_10device_ptrIjEEEENS9_16discard_iteratorINS9_11use_defaultEEEjNS9_4plusIvEEjEEDaPvRmT3_T4_T5_mT6_P12ihipStream_tbENKUlT_T0_E_clISt17integral_constantIbLb1EESW_IbLb0EEEEDaSS_ST_EUlSS_E_NS1_11comp_targetILNS1_3genE4ELNS1_11target_archE910ELNS1_3gpuE8ELNS1_3repE0EEENS1_30default_config_static_selectorELNS0_4arch9wavefront6targetE1EEEvT1_,comdat
.Lfunc_end5404:
	.size	_ZN7rocprim17ROCPRIM_400000_NS6detail17trampoline_kernelINS0_14default_configENS1_20scan_config_selectorIjEEZZNS1_9scan_implILNS1_25lookback_scan_determinismE0ELb1ELb1ES3_N6thrust23THRUST_200600_302600_NS6detail15normal_iteratorINS9_10device_ptrIjEEEENS9_16discard_iteratorINS9_11use_defaultEEEjNS9_4plusIvEEjEEDaPvRmT3_T4_T5_mT6_P12ihipStream_tbENKUlT_T0_E_clISt17integral_constantIbLb1EESW_IbLb0EEEEDaSS_ST_EUlSS_E_NS1_11comp_targetILNS1_3genE4ELNS1_11target_archE910ELNS1_3gpuE8ELNS1_3repE0EEENS1_30default_config_static_selectorELNS0_4arch9wavefront6targetE1EEEvT1_, .Lfunc_end5404-_ZN7rocprim17ROCPRIM_400000_NS6detail17trampoline_kernelINS0_14default_configENS1_20scan_config_selectorIjEEZZNS1_9scan_implILNS1_25lookback_scan_determinismE0ELb1ELb1ES3_N6thrust23THRUST_200600_302600_NS6detail15normal_iteratorINS9_10device_ptrIjEEEENS9_16discard_iteratorINS9_11use_defaultEEEjNS9_4plusIvEEjEEDaPvRmT3_T4_T5_mT6_P12ihipStream_tbENKUlT_T0_E_clISt17integral_constantIbLb1EESW_IbLb0EEEEDaSS_ST_EUlSS_E_NS1_11comp_targetILNS1_3genE4ELNS1_11target_archE910ELNS1_3gpuE8ELNS1_3repE0EEENS1_30default_config_static_selectorELNS0_4arch9wavefront6targetE1EEEvT1_
                                        ; -- End function
	.section	.AMDGPU.csdata,"",@progbits
; Kernel info:
; codeLenInByte = 3984
; NumSgprs: 30
; NumVgprs: 40
; NumAgprs: 0
; TotalNumVgprs: 40
; ScratchSize: 0
; MemoryBound: 0
; FloatMode: 240
; IeeeMode: 1
; LDSByteSize: 5120 bytes/workgroup (compile time only)
; SGPRBlocks: 3
; VGPRBlocks: 4
; NumSGPRsForWavesPerEU: 30
; NumVGPRsForWavesPerEU: 40
; AccumOffset: 40
; Occupancy: 6
; WaveLimiterHint : 1
; COMPUTE_PGM_RSRC2:SCRATCH_EN: 0
; COMPUTE_PGM_RSRC2:USER_SGPR: 6
; COMPUTE_PGM_RSRC2:TRAP_HANDLER: 0
; COMPUTE_PGM_RSRC2:TGID_X_EN: 1
; COMPUTE_PGM_RSRC2:TGID_Y_EN: 0
; COMPUTE_PGM_RSRC2:TGID_Z_EN: 0
; COMPUTE_PGM_RSRC2:TIDIG_COMP_CNT: 0
; COMPUTE_PGM_RSRC3_GFX90A:ACCUM_OFFSET: 9
; COMPUTE_PGM_RSRC3_GFX90A:TG_SPLIT: 0
	.section	.text._ZN7rocprim17ROCPRIM_400000_NS6detail17trampoline_kernelINS0_14default_configENS1_20scan_config_selectorIjEEZZNS1_9scan_implILNS1_25lookback_scan_determinismE0ELb1ELb1ES3_N6thrust23THRUST_200600_302600_NS6detail15normal_iteratorINS9_10device_ptrIjEEEENS9_16discard_iteratorINS9_11use_defaultEEEjNS9_4plusIvEEjEEDaPvRmT3_T4_T5_mT6_P12ihipStream_tbENKUlT_T0_E_clISt17integral_constantIbLb1EESW_IbLb0EEEEDaSS_ST_EUlSS_E_NS1_11comp_targetILNS1_3genE3ELNS1_11target_archE908ELNS1_3gpuE7ELNS1_3repE0EEENS1_30default_config_static_selectorELNS0_4arch9wavefront6targetE1EEEvT1_,"axG",@progbits,_ZN7rocprim17ROCPRIM_400000_NS6detail17trampoline_kernelINS0_14default_configENS1_20scan_config_selectorIjEEZZNS1_9scan_implILNS1_25lookback_scan_determinismE0ELb1ELb1ES3_N6thrust23THRUST_200600_302600_NS6detail15normal_iteratorINS9_10device_ptrIjEEEENS9_16discard_iteratorINS9_11use_defaultEEEjNS9_4plusIvEEjEEDaPvRmT3_T4_T5_mT6_P12ihipStream_tbENKUlT_T0_E_clISt17integral_constantIbLb1EESW_IbLb0EEEEDaSS_ST_EUlSS_E_NS1_11comp_targetILNS1_3genE3ELNS1_11target_archE908ELNS1_3gpuE7ELNS1_3repE0EEENS1_30default_config_static_selectorELNS0_4arch9wavefront6targetE1EEEvT1_,comdat
	.protected	_ZN7rocprim17ROCPRIM_400000_NS6detail17trampoline_kernelINS0_14default_configENS1_20scan_config_selectorIjEEZZNS1_9scan_implILNS1_25lookback_scan_determinismE0ELb1ELb1ES3_N6thrust23THRUST_200600_302600_NS6detail15normal_iteratorINS9_10device_ptrIjEEEENS9_16discard_iteratorINS9_11use_defaultEEEjNS9_4plusIvEEjEEDaPvRmT3_T4_T5_mT6_P12ihipStream_tbENKUlT_T0_E_clISt17integral_constantIbLb1EESW_IbLb0EEEEDaSS_ST_EUlSS_E_NS1_11comp_targetILNS1_3genE3ELNS1_11target_archE908ELNS1_3gpuE7ELNS1_3repE0EEENS1_30default_config_static_selectorELNS0_4arch9wavefront6targetE1EEEvT1_ ; -- Begin function _ZN7rocprim17ROCPRIM_400000_NS6detail17trampoline_kernelINS0_14default_configENS1_20scan_config_selectorIjEEZZNS1_9scan_implILNS1_25lookback_scan_determinismE0ELb1ELb1ES3_N6thrust23THRUST_200600_302600_NS6detail15normal_iteratorINS9_10device_ptrIjEEEENS9_16discard_iteratorINS9_11use_defaultEEEjNS9_4plusIvEEjEEDaPvRmT3_T4_T5_mT6_P12ihipStream_tbENKUlT_T0_E_clISt17integral_constantIbLb1EESW_IbLb0EEEEDaSS_ST_EUlSS_E_NS1_11comp_targetILNS1_3genE3ELNS1_11target_archE908ELNS1_3gpuE7ELNS1_3repE0EEENS1_30default_config_static_selectorELNS0_4arch9wavefront6targetE1EEEvT1_
	.globl	_ZN7rocprim17ROCPRIM_400000_NS6detail17trampoline_kernelINS0_14default_configENS1_20scan_config_selectorIjEEZZNS1_9scan_implILNS1_25lookback_scan_determinismE0ELb1ELb1ES3_N6thrust23THRUST_200600_302600_NS6detail15normal_iteratorINS9_10device_ptrIjEEEENS9_16discard_iteratorINS9_11use_defaultEEEjNS9_4plusIvEEjEEDaPvRmT3_T4_T5_mT6_P12ihipStream_tbENKUlT_T0_E_clISt17integral_constantIbLb1EESW_IbLb0EEEEDaSS_ST_EUlSS_E_NS1_11comp_targetILNS1_3genE3ELNS1_11target_archE908ELNS1_3gpuE7ELNS1_3repE0EEENS1_30default_config_static_selectorELNS0_4arch9wavefront6targetE1EEEvT1_
	.p2align	8
	.type	_ZN7rocprim17ROCPRIM_400000_NS6detail17trampoline_kernelINS0_14default_configENS1_20scan_config_selectorIjEEZZNS1_9scan_implILNS1_25lookback_scan_determinismE0ELb1ELb1ES3_N6thrust23THRUST_200600_302600_NS6detail15normal_iteratorINS9_10device_ptrIjEEEENS9_16discard_iteratorINS9_11use_defaultEEEjNS9_4plusIvEEjEEDaPvRmT3_T4_T5_mT6_P12ihipStream_tbENKUlT_T0_E_clISt17integral_constantIbLb1EESW_IbLb0EEEEDaSS_ST_EUlSS_E_NS1_11comp_targetILNS1_3genE3ELNS1_11target_archE908ELNS1_3gpuE7ELNS1_3repE0EEENS1_30default_config_static_selectorELNS0_4arch9wavefront6targetE1EEEvT1_,@function
_ZN7rocprim17ROCPRIM_400000_NS6detail17trampoline_kernelINS0_14default_configENS1_20scan_config_selectorIjEEZZNS1_9scan_implILNS1_25lookback_scan_determinismE0ELb1ELb1ES3_N6thrust23THRUST_200600_302600_NS6detail15normal_iteratorINS9_10device_ptrIjEEEENS9_16discard_iteratorINS9_11use_defaultEEEjNS9_4plusIvEEjEEDaPvRmT3_T4_T5_mT6_P12ihipStream_tbENKUlT_T0_E_clISt17integral_constantIbLb1EESW_IbLb0EEEEDaSS_ST_EUlSS_E_NS1_11comp_targetILNS1_3genE3ELNS1_11target_archE908ELNS1_3gpuE7ELNS1_3repE0EEENS1_30default_config_static_selectorELNS0_4arch9wavefront6targetE1EEEvT1_: ; @_ZN7rocprim17ROCPRIM_400000_NS6detail17trampoline_kernelINS0_14default_configENS1_20scan_config_selectorIjEEZZNS1_9scan_implILNS1_25lookback_scan_determinismE0ELb1ELb1ES3_N6thrust23THRUST_200600_302600_NS6detail15normal_iteratorINS9_10device_ptrIjEEEENS9_16discard_iteratorINS9_11use_defaultEEEjNS9_4plusIvEEjEEDaPvRmT3_T4_T5_mT6_P12ihipStream_tbENKUlT_T0_E_clISt17integral_constantIbLb1EESW_IbLb0EEEEDaSS_ST_EUlSS_E_NS1_11comp_targetILNS1_3genE3ELNS1_11target_archE908ELNS1_3gpuE7ELNS1_3repE0EEENS1_30default_config_static_selectorELNS0_4arch9wavefront6targetE1EEEvT1_
; %bb.0:
	.section	.rodata,"a",@progbits
	.p2align	6, 0x0
	.amdhsa_kernel _ZN7rocprim17ROCPRIM_400000_NS6detail17trampoline_kernelINS0_14default_configENS1_20scan_config_selectorIjEEZZNS1_9scan_implILNS1_25lookback_scan_determinismE0ELb1ELb1ES3_N6thrust23THRUST_200600_302600_NS6detail15normal_iteratorINS9_10device_ptrIjEEEENS9_16discard_iteratorINS9_11use_defaultEEEjNS9_4plusIvEEjEEDaPvRmT3_T4_T5_mT6_P12ihipStream_tbENKUlT_T0_E_clISt17integral_constantIbLb1EESW_IbLb0EEEEDaSS_ST_EUlSS_E_NS1_11comp_targetILNS1_3genE3ELNS1_11target_archE908ELNS1_3gpuE7ELNS1_3repE0EEENS1_30default_config_static_selectorELNS0_4arch9wavefront6targetE1EEEvT1_
		.amdhsa_group_segment_fixed_size 0
		.amdhsa_private_segment_fixed_size 0
		.amdhsa_kernarg_size 104
		.amdhsa_user_sgpr_count 6
		.amdhsa_user_sgpr_private_segment_buffer 1
		.amdhsa_user_sgpr_dispatch_ptr 0
		.amdhsa_user_sgpr_queue_ptr 0
		.amdhsa_user_sgpr_kernarg_segment_ptr 1
		.amdhsa_user_sgpr_dispatch_id 0
		.amdhsa_user_sgpr_flat_scratch_init 0
		.amdhsa_user_sgpr_kernarg_preload_length 0
		.amdhsa_user_sgpr_kernarg_preload_offset 0
		.amdhsa_user_sgpr_private_segment_size 0
		.amdhsa_uses_dynamic_stack 0
		.amdhsa_system_sgpr_private_segment_wavefront_offset 0
		.amdhsa_system_sgpr_workgroup_id_x 1
		.amdhsa_system_sgpr_workgroup_id_y 0
		.amdhsa_system_sgpr_workgroup_id_z 0
		.amdhsa_system_sgpr_workgroup_info 0
		.amdhsa_system_vgpr_workitem_id 0
		.amdhsa_next_free_vgpr 1
		.amdhsa_next_free_sgpr 0
		.amdhsa_accum_offset 4
		.amdhsa_reserve_vcc 0
		.amdhsa_reserve_flat_scratch 0
		.amdhsa_float_round_mode_32 0
		.amdhsa_float_round_mode_16_64 0
		.amdhsa_float_denorm_mode_32 3
		.amdhsa_float_denorm_mode_16_64 3
		.amdhsa_dx10_clamp 1
		.amdhsa_ieee_mode 1
		.amdhsa_fp16_overflow 0
		.amdhsa_tg_split 0
		.amdhsa_exception_fp_ieee_invalid_op 0
		.amdhsa_exception_fp_denorm_src 0
		.amdhsa_exception_fp_ieee_div_zero 0
		.amdhsa_exception_fp_ieee_overflow 0
		.amdhsa_exception_fp_ieee_underflow 0
		.amdhsa_exception_fp_ieee_inexact 0
		.amdhsa_exception_int_div_zero 0
	.end_amdhsa_kernel
	.section	.text._ZN7rocprim17ROCPRIM_400000_NS6detail17trampoline_kernelINS0_14default_configENS1_20scan_config_selectorIjEEZZNS1_9scan_implILNS1_25lookback_scan_determinismE0ELb1ELb1ES3_N6thrust23THRUST_200600_302600_NS6detail15normal_iteratorINS9_10device_ptrIjEEEENS9_16discard_iteratorINS9_11use_defaultEEEjNS9_4plusIvEEjEEDaPvRmT3_T4_T5_mT6_P12ihipStream_tbENKUlT_T0_E_clISt17integral_constantIbLb1EESW_IbLb0EEEEDaSS_ST_EUlSS_E_NS1_11comp_targetILNS1_3genE3ELNS1_11target_archE908ELNS1_3gpuE7ELNS1_3repE0EEENS1_30default_config_static_selectorELNS0_4arch9wavefront6targetE1EEEvT1_,"axG",@progbits,_ZN7rocprim17ROCPRIM_400000_NS6detail17trampoline_kernelINS0_14default_configENS1_20scan_config_selectorIjEEZZNS1_9scan_implILNS1_25lookback_scan_determinismE0ELb1ELb1ES3_N6thrust23THRUST_200600_302600_NS6detail15normal_iteratorINS9_10device_ptrIjEEEENS9_16discard_iteratorINS9_11use_defaultEEEjNS9_4plusIvEEjEEDaPvRmT3_T4_T5_mT6_P12ihipStream_tbENKUlT_T0_E_clISt17integral_constantIbLb1EESW_IbLb0EEEEDaSS_ST_EUlSS_E_NS1_11comp_targetILNS1_3genE3ELNS1_11target_archE908ELNS1_3gpuE7ELNS1_3repE0EEENS1_30default_config_static_selectorELNS0_4arch9wavefront6targetE1EEEvT1_,comdat
.Lfunc_end5405:
	.size	_ZN7rocprim17ROCPRIM_400000_NS6detail17trampoline_kernelINS0_14default_configENS1_20scan_config_selectorIjEEZZNS1_9scan_implILNS1_25lookback_scan_determinismE0ELb1ELb1ES3_N6thrust23THRUST_200600_302600_NS6detail15normal_iteratorINS9_10device_ptrIjEEEENS9_16discard_iteratorINS9_11use_defaultEEEjNS9_4plusIvEEjEEDaPvRmT3_T4_T5_mT6_P12ihipStream_tbENKUlT_T0_E_clISt17integral_constantIbLb1EESW_IbLb0EEEEDaSS_ST_EUlSS_E_NS1_11comp_targetILNS1_3genE3ELNS1_11target_archE908ELNS1_3gpuE7ELNS1_3repE0EEENS1_30default_config_static_selectorELNS0_4arch9wavefront6targetE1EEEvT1_, .Lfunc_end5405-_ZN7rocprim17ROCPRIM_400000_NS6detail17trampoline_kernelINS0_14default_configENS1_20scan_config_selectorIjEEZZNS1_9scan_implILNS1_25lookback_scan_determinismE0ELb1ELb1ES3_N6thrust23THRUST_200600_302600_NS6detail15normal_iteratorINS9_10device_ptrIjEEEENS9_16discard_iteratorINS9_11use_defaultEEEjNS9_4plusIvEEjEEDaPvRmT3_T4_T5_mT6_P12ihipStream_tbENKUlT_T0_E_clISt17integral_constantIbLb1EESW_IbLb0EEEEDaSS_ST_EUlSS_E_NS1_11comp_targetILNS1_3genE3ELNS1_11target_archE908ELNS1_3gpuE7ELNS1_3repE0EEENS1_30default_config_static_selectorELNS0_4arch9wavefront6targetE1EEEvT1_
                                        ; -- End function
	.section	.AMDGPU.csdata,"",@progbits
; Kernel info:
; codeLenInByte = 0
; NumSgprs: 4
; NumVgprs: 0
; NumAgprs: 0
; TotalNumVgprs: 0
; ScratchSize: 0
; MemoryBound: 0
; FloatMode: 240
; IeeeMode: 1
; LDSByteSize: 0 bytes/workgroup (compile time only)
; SGPRBlocks: 0
; VGPRBlocks: 0
; NumSGPRsForWavesPerEU: 4
; NumVGPRsForWavesPerEU: 1
; AccumOffset: 4
; Occupancy: 8
; WaveLimiterHint : 0
; COMPUTE_PGM_RSRC2:SCRATCH_EN: 0
; COMPUTE_PGM_RSRC2:USER_SGPR: 6
; COMPUTE_PGM_RSRC2:TRAP_HANDLER: 0
; COMPUTE_PGM_RSRC2:TGID_X_EN: 1
; COMPUTE_PGM_RSRC2:TGID_Y_EN: 0
; COMPUTE_PGM_RSRC2:TGID_Z_EN: 0
; COMPUTE_PGM_RSRC2:TIDIG_COMP_CNT: 0
; COMPUTE_PGM_RSRC3_GFX90A:ACCUM_OFFSET: 0
; COMPUTE_PGM_RSRC3_GFX90A:TG_SPLIT: 0
	.section	.text._ZN7rocprim17ROCPRIM_400000_NS6detail17trampoline_kernelINS0_14default_configENS1_20scan_config_selectorIjEEZZNS1_9scan_implILNS1_25lookback_scan_determinismE0ELb1ELb1ES3_N6thrust23THRUST_200600_302600_NS6detail15normal_iteratorINS9_10device_ptrIjEEEENS9_16discard_iteratorINS9_11use_defaultEEEjNS9_4plusIvEEjEEDaPvRmT3_T4_T5_mT6_P12ihipStream_tbENKUlT_T0_E_clISt17integral_constantIbLb1EESW_IbLb0EEEEDaSS_ST_EUlSS_E_NS1_11comp_targetILNS1_3genE2ELNS1_11target_archE906ELNS1_3gpuE6ELNS1_3repE0EEENS1_30default_config_static_selectorELNS0_4arch9wavefront6targetE1EEEvT1_,"axG",@progbits,_ZN7rocprim17ROCPRIM_400000_NS6detail17trampoline_kernelINS0_14default_configENS1_20scan_config_selectorIjEEZZNS1_9scan_implILNS1_25lookback_scan_determinismE0ELb1ELb1ES3_N6thrust23THRUST_200600_302600_NS6detail15normal_iteratorINS9_10device_ptrIjEEEENS9_16discard_iteratorINS9_11use_defaultEEEjNS9_4plusIvEEjEEDaPvRmT3_T4_T5_mT6_P12ihipStream_tbENKUlT_T0_E_clISt17integral_constantIbLb1EESW_IbLb0EEEEDaSS_ST_EUlSS_E_NS1_11comp_targetILNS1_3genE2ELNS1_11target_archE906ELNS1_3gpuE6ELNS1_3repE0EEENS1_30default_config_static_selectorELNS0_4arch9wavefront6targetE1EEEvT1_,comdat
	.protected	_ZN7rocprim17ROCPRIM_400000_NS6detail17trampoline_kernelINS0_14default_configENS1_20scan_config_selectorIjEEZZNS1_9scan_implILNS1_25lookback_scan_determinismE0ELb1ELb1ES3_N6thrust23THRUST_200600_302600_NS6detail15normal_iteratorINS9_10device_ptrIjEEEENS9_16discard_iteratorINS9_11use_defaultEEEjNS9_4plusIvEEjEEDaPvRmT3_T4_T5_mT6_P12ihipStream_tbENKUlT_T0_E_clISt17integral_constantIbLb1EESW_IbLb0EEEEDaSS_ST_EUlSS_E_NS1_11comp_targetILNS1_3genE2ELNS1_11target_archE906ELNS1_3gpuE6ELNS1_3repE0EEENS1_30default_config_static_selectorELNS0_4arch9wavefront6targetE1EEEvT1_ ; -- Begin function _ZN7rocprim17ROCPRIM_400000_NS6detail17trampoline_kernelINS0_14default_configENS1_20scan_config_selectorIjEEZZNS1_9scan_implILNS1_25lookback_scan_determinismE0ELb1ELb1ES3_N6thrust23THRUST_200600_302600_NS6detail15normal_iteratorINS9_10device_ptrIjEEEENS9_16discard_iteratorINS9_11use_defaultEEEjNS9_4plusIvEEjEEDaPvRmT3_T4_T5_mT6_P12ihipStream_tbENKUlT_T0_E_clISt17integral_constantIbLb1EESW_IbLb0EEEEDaSS_ST_EUlSS_E_NS1_11comp_targetILNS1_3genE2ELNS1_11target_archE906ELNS1_3gpuE6ELNS1_3repE0EEENS1_30default_config_static_selectorELNS0_4arch9wavefront6targetE1EEEvT1_
	.globl	_ZN7rocprim17ROCPRIM_400000_NS6detail17trampoline_kernelINS0_14default_configENS1_20scan_config_selectorIjEEZZNS1_9scan_implILNS1_25lookback_scan_determinismE0ELb1ELb1ES3_N6thrust23THRUST_200600_302600_NS6detail15normal_iteratorINS9_10device_ptrIjEEEENS9_16discard_iteratorINS9_11use_defaultEEEjNS9_4plusIvEEjEEDaPvRmT3_T4_T5_mT6_P12ihipStream_tbENKUlT_T0_E_clISt17integral_constantIbLb1EESW_IbLb0EEEEDaSS_ST_EUlSS_E_NS1_11comp_targetILNS1_3genE2ELNS1_11target_archE906ELNS1_3gpuE6ELNS1_3repE0EEENS1_30default_config_static_selectorELNS0_4arch9wavefront6targetE1EEEvT1_
	.p2align	8
	.type	_ZN7rocprim17ROCPRIM_400000_NS6detail17trampoline_kernelINS0_14default_configENS1_20scan_config_selectorIjEEZZNS1_9scan_implILNS1_25lookback_scan_determinismE0ELb1ELb1ES3_N6thrust23THRUST_200600_302600_NS6detail15normal_iteratorINS9_10device_ptrIjEEEENS9_16discard_iteratorINS9_11use_defaultEEEjNS9_4plusIvEEjEEDaPvRmT3_T4_T5_mT6_P12ihipStream_tbENKUlT_T0_E_clISt17integral_constantIbLb1EESW_IbLb0EEEEDaSS_ST_EUlSS_E_NS1_11comp_targetILNS1_3genE2ELNS1_11target_archE906ELNS1_3gpuE6ELNS1_3repE0EEENS1_30default_config_static_selectorELNS0_4arch9wavefront6targetE1EEEvT1_,@function
_ZN7rocprim17ROCPRIM_400000_NS6detail17trampoline_kernelINS0_14default_configENS1_20scan_config_selectorIjEEZZNS1_9scan_implILNS1_25lookback_scan_determinismE0ELb1ELb1ES3_N6thrust23THRUST_200600_302600_NS6detail15normal_iteratorINS9_10device_ptrIjEEEENS9_16discard_iteratorINS9_11use_defaultEEEjNS9_4plusIvEEjEEDaPvRmT3_T4_T5_mT6_P12ihipStream_tbENKUlT_T0_E_clISt17integral_constantIbLb1EESW_IbLb0EEEEDaSS_ST_EUlSS_E_NS1_11comp_targetILNS1_3genE2ELNS1_11target_archE906ELNS1_3gpuE6ELNS1_3repE0EEENS1_30default_config_static_selectorELNS0_4arch9wavefront6targetE1EEEvT1_: ; @_ZN7rocprim17ROCPRIM_400000_NS6detail17trampoline_kernelINS0_14default_configENS1_20scan_config_selectorIjEEZZNS1_9scan_implILNS1_25lookback_scan_determinismE0ELb1ELb1ES3_N6thrust23THRUST_200600_302600_NS6detail15normal_iteratorINS9_10device_ptrIjEEEENS9_16discard_iteratorINS9_11use_defaultEEEjNS9_4plusIvEEjEEDaPvRmT3_T4_T5_mT6_P12ihipStream_tbENKUlT_T0_E_clISt17integral_constantIbLb1EESW_IbLb0EEEEDaSS_ST_EUlSS_E_NS1_11comp_targetILNS1_3genE2ELNS1_11target_archE906ELNS1_3gpuE6ELNS1_3repE0EEENS1_30default_config_static_selectorELNS0_4arch9wavefront6targetE1EEEvT1_
; %bb.0:
	.section	.rodata,"a",@progbits
	.p2align	6, 0x0
	.amdhsa_kernel _ZN7rocprim17ROCPRIM_400000_NS6detail17trampoline_kernelINS0_14default_configENS1_20scan_config_selectorIjEEZZNS1_9scan_implILNS1_25lookback_scan_determinismE0ELb1ELb1ES3_N6thrust23THRUST_200600_302600_NS6detail15normal_iteratorINS9_10device_ptrIjEEEENS9_16discard_iteratorINS9_11use_defaultEEEjNS9_4plusIvEEjEEDaPvRmT3_T4_T5_mT6_P12ihipStream_tbENKUlT_T0_E_clISt17integral_constantIbLb1EESW_IbLb0EEEEDaSS_ST_EUlSS_E_NS1_11comp_targetILNS1_3genE2ELNS1_11target_archE906ELNS1_3gpuE6ELNS1_3repE0EEENS1_30default_config_static_selectorELNS0_4arch9wavefront6targetE1EEEvT1_
		.amdhsa_group_segment_fixed_size 0
		.amdhsa_private_segment_fixed_size 0
		.amdhsa_kernarg_size 104
		.amdhsa_user_sgpr_count 6
		.amdhsa_user_sgpr_private_segment_buffer 1
		.amdhsa_user_sgpr_dispatch_ptr 0
		.amdhsa_user_sgpr_queue_ptr 0
		.amdhsa_user_sgpr_kernarg_segment_ptr 1
		.amdhsa_user_sgpr_dispatch_id 0
		.amdhsa_user_sgpr_flat_scratch_init 0
		.amdhsa_user_sgpr_kernarg_preload_length 0
		.amdhsa_user_sgpr_kernarg_preload_offset 0
		.amdhsa_user_sgpr_private_segment_size 0
		.amdhsa_uses_dynamic_stack 0
		.amdhsa_system_sgpr_private_segment_wavefront_offset 0
		.amdhsa_system_sgpr_workgroup_id_x 1
		.amdhsa_system_sgpr_workgroup_id_y 0
		.amdhsa_system_sgpr_workgroup_id_z 0
		.amdhsa_system_sgpr_workgroup_info 0
		.amdhsa_system_vgpr_workitem_id 0
		.amdhsa_next_free_vgpr 1
		.amdhsa_next_free_sgpr 0
		.amdhsa_accum_offset 4
		.amdhsa_reserve_vcc 0
		.amdhsa_reserve_flat_scratch 0
		.amdhsa_float_round_mode_32 0
		.amdhsa_float_round_mode_16_64 0
		.amdhsa_float_denorm_mode_32 3
		.amdhsa_float_denorm_mode_16_64 3
		.amdhsa_dx10_clamp 1
		.amdhsa_ieee_mode 1
		.amdhsa_fp16_overflow 0
		.amdhsa_tg_split 0
		.amdhsa_exception_fp_ieee_invalid_op 0
		.amdhsa_exception_fp_denorm_src 0
		.amdhsa_exception_fp_ieee_div_zero 0
		.amdhsa_exception_fp_ieee_overflow 0
		.amdhsa_exception_fp_ieee_underflow 0
		.amdhsa_exception_fp_ieee_inexact 0
		.amdhsa_exception_int_div_zero 0
	.end_amdhsa_kernel
	.section	.text._ZN7rocprim17ROCPRIM_400000_NS6detail17trampoline_kernelINS0_14default_configENS1_20scan_config_selectorIjEEZZNS1_9scan_implILNS1_25lookback_scan_determinismE0ELb1ELb1ES3_N6thrust23THRUST_200600_302600_NS6detail15normal_iteratorINS9_10device_ptrIjEEEENS9_16discard_iteratorINS9_11use_defaultEEEjNS9_4plusIvEEjEEDaPvRmT3_T4_T5_mT6_P12ihipStream_tbENKUlT_T0_E_clISt17integral_constantIbLb1EESW_IbLb0EEEEDaSS_ST_EUlSS_E_NS1_11comp_targetILNS1_3genE2ELNS1_11target_archE906ELNS1_3gpuE6ELNS1_3repE0EEENS1_30default_config_static_selectorELNS0_4arch9wavefront6targetE1EEEvT1_,"axG",@progbits,_ZN7rocprim17ROCPRIM_400000_NS6detail17trampoline_kernelINS0_14default_configENS1_20scan_config_selectorIjEEZZNS1_9scan_implILNS1_25lookback_scan_determinismE0ELb1ELb1ES3_N6thrust23THRUST_200600_302600_NS6detail15normal_iteratorINS9_10device_ptrIjEEEENS9_16discard_iteratorINS9_11use_defaultEEEjNS9_4plusIvEEjEEDaPvRmT3_T4_T5_mT6_P12ihipStream_tbENKUlT_T0_E_clISt17integral_constantIbLb1EESW_IbLb0EEEEDaSS_ST_EUlSS_E_NS1_11comp_targetILNS1_3genE2ELNS1_11target_archE906ELNS1_3gpuE6ELNS1_3repE0EEENS1_30default_config_static_selectorELNS0_4arch9wavefront6targetE1EEEvT1_,comdat
.Lfunc_end5406:
	.size	_ZN7rocprim17ROCPRIM_400000_NS6detail17trampoline_kernelINS0_14default_configENS1_20scan_config_selectorIjEEZZNS1_9scan_implILNS1_25lookback_scan_determinismE0ELb1ELb1ES3_N6thrust23THRUST_200600_302600_NS6detail15normal_iteratorINS9_10device_ptrIjEEEENS9_16discard_iteratorINS9_11use_defaultEEEjNS9_4plusIvEEjEEDaPvRmT3_T4_T5_mT6_P12ihipStream_tbENKUlT_T0_E_clISt17integral_constantIbLb1EESW_IbLb0EEEEDaSS_ST_EUlSS_E_NS1_11comp_targetILNS1_3genE2ELNS1_11target_archE906ELNS1_3gpuE6ELNS1_3repE0EEENS1_30default_config_static_selectorELNS0_4arch9wavefront6targetE1EEEvT1_, .Lfunc_end5406-_ZN7rocprim17ROCPRIM_400000_NS6detail17trampoline_kernelINS0_14default_configENS1_20scan_config_selectorIjEEZZNS1_9scan_implILNS1_25lookback_scan_determinismE0ELb1ELb1ES3_N6thrust23THRUST_200600_302600_NS6detail15normal_iteratorINS9_10device_ptrIjEEEENS9_16discard_iteratorINS9_11use_defaultEEEjNS9_4plusIvEEjEEDaPvRmT3_T4_T5_mT6_P12ihipStream_tbENKUlT_T0_E_clISt17integral_constantIbLb1EESW_IbLb0EEEEDaSS_ST_EUlSS_E_NS1_11comp_targetILNS1_3genE2ELNS1_11target_archE906ELNS1_3gpuE6ELNS1_3repE0EEENS1_30default_config_static_selectorELNS0_4arch9wavefront6targetE1EEEvT1_
                                        ; -- End function
	.section	.AMDGPU.csdata,"",@progbits
; Kernel info:
; codeLenInByte = 0
; NumSgprs: 4
; NumVgprs: 0
; NumAgprs: 0
; TotalNumVgprs: 0
; ScratchSize: 0
; MemoryBound: 0
; FloatMode: 240
; IeeeMode: 1
; LDSByteSize: 0 bytes/workgroup (compile time only)
; SGPRBlocks: 0
; VGPRBlocks: 0
; NumSGPRsForWavesPerEU: 4
; NumVGPRsForWavesPerEU: 1
; AccumOffset: 4
; Occupancy: 8
; WaveLimiterHint : 0
; COMPUTE_PGM_RSRC2:SCRATCH_EN: 0
; COMPUTE_PGM_RSRC2:USER_SGPR: 6
; COMPUTE_PGM_RSRC2:TRAP_HANDLER: 0
; COMPUTE_PGM_RSRC2:TGID_X_EN: 1
; COMPUTE_PGM_RSRC2:TGID_Y_EN: 0
; COMPUTE_PGM_RSRC2:TGID_Z_EN: 0
; COMPUTE_PGM_RSRC2:TIDIG_COMP_CNT: 0
; COMPUTE_PGM_RSRC3_GFX90A:ACCUM_OFFSET: 0
; COMPUTE_PGM_RSRC3_GFX90A:TG_SPLIT: 0
	.section	.text._ZN7rocprim17ROCPRIM_400000_NS6detail17trampoline_kernelINS0_14default_configENS1_20scan_config_selectorIjEEZZNS1_9scan_implILNS1_25lookback_scan_determinismE0ELb1ELb1ES3_N6thrust23THRUST_200600_302600_NS6detail15normal_iteratorINS9_10device_ptrIjEEEENS9_16discard_iteratorINS9_11use_defaultEEEjNS9_4plusIvEEjEEDaPvRmT3_T4_T5_mT6_P12ihipStream_tbENKUlT_T0_E_clISt17integral_constantIbLb1EESW_IbLb0EEEEDaSS_ST_EUlSS_E_NS1_11comp_targetILNS1_3genE10ELNS1_11target_archE1201ELNS1_3gpuE5ELNS1_3repE0EEENS1_30default_config_static_selectorELNS0_4arch9wavefront6targetE1EEEvT1_,"axG",@progbits,_ZN7rocprim17ROCPRIM_400000_NS6detail17trampoline_kernelINS0_14default_configENS1_20scan_config_selectorIjEEZZNS1_9scan_implILNS1_25lookback_scan_determinismE0ELb1ELb1ES3_N6thrust23THRUST_200600_302600_NS6detail15normal_iteratorINS9_10device_ptrIjEEEENS9_16discard_iteratorINS9_11use_defaultEEEjNS9_4plusIvEEjEEDaPvRmT3_T4_T5_mT6_P12ihipStream_tbENKUlT_T0_E_clISt17integral_constantIbLb1EESW_IbLb0EEEEDaSS_ST_EUlSS_E_NS1_11comp_targetILNS1_3genE10ELNS1_11target_archE1201ELNS1_3gpuE5ELNS1_3repE0EEENS1_30default_config_static_selectorELNS0_4arch9wavefront6targetE1EEEvT1_,comdat
	.protected	_ZN7rocprim17ROCPRIM_400000_NS6detail17trampoline_kernelINS0_14default_configENS1_20scan_config_selectorIjEEZZNS1_9scan_implILNS1_25lookback_scan_determinismE0ELb1ELb1ES3_N6thrust23THRUST_200600_302600_NS6detail15normal_iteratorINS9_10device_ptrIjEEEENS9_16discard_iteratorINS9_11use_defaultEEEjNS9_4plusIvEEjEEDaPvRmT3_T4_T5_mT6_P12ihipStream_tbENKUlT_T0_E_clISt17integral_constantIbLb1EESW_IbLb0EEEEDaSS_ST_EUlSS_E_NS1_11comp_targetILNS1_3genE10ELNS1_11target_archE1201ELNS1_3gpuE5ELNS1_3repE0EEENS1_30default_config_static_selectorELNS0_4arch9wavefront6targetE1EEEvT1_ ; -- Begin function _ZN7rocprim17ROCPRIM_400000_NS6detail17trampoline_kernelINS0_14default_configENS1_20scan_config_selectorIjEEZZNS1_9scan_implILNS1_25lookback_scan_determinismE0ELb1ELb1ES3_N6thrust23THRUST_200600_302600_NS6detail15normal_iteratorINS9_10device_ptrIjEEEENS9_16discard_iteratorINS9_11use_defaultEEEjNS9_4plusIvEEjEEDaPvRmT3_T4_T5_mT6_P12ihipStream_tbENKUlT_T0_E_clISt17integral_constantIbLb1EESW_IbLb0EEEEDaSS_ST_EUlSS_E_NS1_11comp_targetILNS1_3genE10ELNS1_11target_archE1201ELNS1_3gpuE5ELNS1_3repE0EEENS1_30default_config_static_selectorELNS0_4arch9wavefront6targetE1EEEvT1_
	.globl	_ZN7rocprim17ROCPRIM_400000_NS6detail17trampoline_kernelINS0_14default_configENS1_20scan_config_selectorIjEEZZNS1_9scan_implILNS1_25lookback_scan_determinismE0ELb1ELb1ES3_N6thrust23THRUST_200600_302600_NS6detail15normal_iteratorINS9_10device_ptrIjEEEENS9_16discard_iteratorINS9_11use_defaultEEEjNS9_4plusIvEEjEEDaPvRmT3_T4_T5_mT6_P12ihipStream_tbENKUlT_T0_E_clISt17integral_constantIbLb1EESW_IbLb0EEEEDaSS_ST_EUlSS_E_NS1_11comp_targetILNS1_3genE10ELNS1_11target_archE1201ELNS1_3gpuE5ELNS1_3repE0EEENS1_30default_config_static_selectorELNS0_4arch9wavefront6targetE1EEEvT1_
	.p2align	8
	.type	_ZN7rocprim17ROCPRIM_400000_NS6detail17trampoline_kernelINS0_14default_configENS1_20scan_config_selectorIjEEZZNS1_9scan_implILNS1_25lookback_scan_determinismE0ELb1ELb1ES3_N6thrust23THRUST_200600_302600_NS6detail15normal_iteratorINS9_10device_ptrIjEEEENS9_16discard_iteratorINS9_11use_defaultEEEjNS9_4plusIvEEjEEDaPvRmT3_T4_T5_mT6_P12ihipStream_tbENKUlT_T0_E_clISt17integral_constantIbLb1EESW_IbLb0EEEEDaSS_ST_EUlSS_E_NS1_11comp_targetILNS1_3genE10ELNS1_11target_archE1201ELNS1_3gpuE5ELNS1_3repE0EEENS1_30default_config_static_selectorELNS0_4arch9wavefront6targetE1EEEvT1_,@function
_ZN7rocprim17ROCPRIM_400000_NS6detail17trampoline_kernelINS0_14default_configENS1_20scan_config_selectorIjEEZZNS1_9scan_implILNS1_25lookback_scan_determinismE0ELb1ELb1ES3_N6thrust23THRUST_200600_302600_NS6detail15normal_iteratorINS9_10device_ptrIjEEEENS9_16discard_iteratorINS9_11use_defaultEEEjNS9_4plusIvEEjEEDaPvRmT3_T4_T5_mT6_P12ihipStream_tbENKUlT_T0_E_clISt17integral_constantIbLb1EESW_IbLb0EEEEDaSS_ST_EUlSS_E_NS1_11comp_targetILNS1_3genE10ELNS1_11target_archE1201ELNS1_3gpuE5ELNS1_3repE0EEENS1_30default_config_static_selectorELNS0_4arch9wavefront6targetE1EEEvT1_: ; @_ZN7rocprim17ROCPRIM_400000_NS6detail17trampoline_kernelINS0_14default_configENS1_20scan_config_selectorIjEEZZNS1_9scan_implILNS1_25lookback_scan_determinismE0ELb1ELb1ES3_N6thrust23THRUST_200600_302600_NS6detail15normal_iteratorINS9_10device_ptrIjEEEENS9_16discard_iteratorINS9_11use_defaultEEEjNS9_4plusIvEEjEEDaPvRmT3_T4_T5_mT6_P12ihipStream_tbENKUlT_T0_E_clISt17integral_constantIbLb1EESW_IbLb0EEEEDaSS_ST_EUlSS_E_NS1_11comp_targetILNS1_3genE10ELNS1_11target_archE1201ELNS1_3gpuE5ELNS1_3repE0EEENS1_30default_config_static_selectorELNS0_4arch9wavefront6targetE1EEEvT1_
; %bb.0:
	.section	.rodata,"a",@progbits
	.p2align	6, 0x0
	.amdhsa_kernel _ZN7rocprim17ROCPRIM_400000_NS6detail17trampoline_kernelINS0_14default_configENS1_20scan_config_selectorIjEEZZNS1_9scan_implILNS1_25lookback_scan_determinismE0ELb1ELb1ES3_N6thrust23THRUST_200600_302600_NS6detail15normal_iteratorINS9_10device_ptrIjEEEENS9_16discard_iteratorINS9_11use_defaultEEEjNS9_4plusIvEEjEEDaPvRmT3_T4_T5_mT6_P12ihipStream_tbENKUlT_T0_E_clISt17integral_constantIbLb1EESW_IbLb0EEEEDaSS_ST_EUlSS_E_NS1_11comp_targetILNS1_3genE10ELNS1_11target_archE1201ELNS1_3gpuE5ELNS1_3repE0EEENS1_30default_config_static_selectorELNS0_4arch9wavefront6targetE1EEEvT1_
		.amdhsa_group_segment_fixed_size 0
		.amdhsa_private_segment_fixed_size 0
		.amdhsa_kernarg_size 104
		.amdhsa_user_sgpr_count 6
		.amdhsa_user_sgpr_private_segment_buffer 1
		.amdhsa_user_sgpr_dispatch_ptr 0
		.amdhsa_user_sgpr_queue_ptr 0
		.amdhsa_user_sgpr_kernarg_segment_ptr 1
		.amdhsa_user_sgpr_dispatch_id 0
		.amdhsa_user_sgpr_flat_scratch_init 0
		.amdhsa_user_sgpr_kernarg_preload_length 0
		.amdhsa_user_sgpr_kernarg_preload_offset 0
		.amdhsa_user_sgpr_private_segment_size 0
		.amdhsa_uses_dynamic_stack 0
		.amdhsa_system_sgpr_private_segment_wavefront_offset 0
		.amdhsa_system_sgpr_workgroup_id_x 1
		.amdhsa_system_sgpr_workgroup_id_y 0
		.amdhsa_system_sgpr_workgroup_id_z 0
		.amdhsa_system_sgpr_workgroup_info 0
		.amdhsa_system_vgpr_workitem_id 0
		.amdhsa_next_free_vgpr 1
		.amdhsa_next_free_sgpr 0
		.amdhsa_accum_offset 4
		.amdhsa_reserve_vcc 0
		.amdhsa_reserve_flat_scratch 0
		.amdhsa_float_round_mode_32 0
		.amdhsa_float_round_mode_16_64 0
		.amdhsa_float_denorm_mode_32 3
		.amdhsa_float_denorm_mode_16_64 3
		.amdhsa_dx10_clamp 1
		.amdhsa_ieee_mode 1
		.amdhsa_fp16_overflow 0
		.amdhsa_tg_split 0
		.amdhsa_exception_fp_ieee_invalid_op 0
		.amdhsa_exception_fp_denorm_src 0
		.amdhsa_exception_fp_ieee_div_zero 0
		.amdhsa_exception_fp_ieee_overflow 0
		.amdhsa_exception_fp_ieee_underflow 0
		.amdhsa_exception_fp_ieee_inexact 0
		.amdhsa_exception_int_div_zero 0
	.end_amdhsa_kernel
	.section	.text._ZN7rocprim17ROCPRIM_400000_NS6detail17trampoline_kernelINS0_14default_configENS1_20scan_config_selectorIjEEZZNS1_9scan_implILNS1_25lookback_scan_determinismE0ELb1ELb1ES3_N6thrust23THRUST_200600_302600_NS6detail15normal_iteratorINS9_10device_ptrIjEEEENS9_16discard_iteratorINS9_11use_defaultEEEjNS9_4plusIvEEjEEDaPvRmT3_T4_T5_mT6_P12ihipStream_tbENKUlT_T0_E_clISt17integral_constantIbLb1EESW_IbLb0EEEEDaSS_ST_EUlSS_E_NS1_11comp_targetILNS1_3genE10ELNS1_11target_archE1201ELNS1_3gpuE5ELNS1_3repE0EEENS1_30default_config_static_selectorELNS0_4arch9wavefront6targetE1EEEvT1_,"axG",@progbits,_ZN7rocprim17ROCPRIM_400000_NS6detail17trampoline_kernelINS0_14default_configENS1_20scan_config_selectorIjEEZZNS1_9scan_implILNS1_25lookback_scan_determinismE0ELb1ELb1ES3_N6thrust23THRUST_200600_302600_NS6detail15normal_iteratorINS9_10device_ptrIjEEEENS9_16discard_iteratorINS9_11use_defaultEEEjNS9_4plusIvEEjEEDaPvRmT3_T4_T5_mT6_P12ihipStream_tbENKUlT_T0_E_clISt17integral_constantIbLb1EESW_IbLb0EEEEDaSS_ST_EUlSS_E_NS1_11comp_targetILNS1_3genE10ELNS1_11target_archE1201ELNS1_3gpuE5ELNS1_3repE0EEENS1_30default_config_static_selectorELNS0_4arch9wavefront6targetE1EEEvT1_,comdat
.Lfunc_end5407:
	.size	_ZN7rocprim17ROCPRIM_400000_NS6detail17trampoline_kernelINS0_14default_configENS1_20scan_config_selectorIjEEZZNS1_9scan_implILNS1_25lookback_scan_determinismE0ELb1ELb1ES3_N6thrust23THRUST_200600_302600_NS6detail15normal_iteratorINS9_10device_ptrIjEEEENS9_16discard_iteratorINS9_11use_defaultEEEjNS9_4plusIvEEjEEDaPvRmT3_T4_T5_mT6_P12ihipStream_tbENKUlT_T0_E_clISt17integral_constantIbLb1EESW_IbLb0EEEEDaSS_ST_EUlSS_E_NS1_11comp_targetILNS1_3genE10ELNS1_11target_archE1201ELNS1_3gpuE5ELNS1_3repE0EEENS1_30default_config_static_selectorELNS0_4arch9wavefront6targetE1EEEvT1_, .Lfunc_end5407-_ZN7rocprim17ROCPRIM_400000_NS6detail17trampoline_kernelINS0_14default_configENS1_20scan_config_selectorIjEEZZNS1_9scan_implILNS1_25lookback_scan_determinismE0ELb1ELb1ES3_N6thrust23THRUST_200600_302600_NS6detail15normal_iteratorINS9_10device_ptrIjEEEENS9_16discard_iteratorINS9_11use_defaultEEEjNS9_4plusIvEEjEEDaPvRmT3_T4_T5_mT6_P12ihipStream_tbENKUlT_T0_E_clISt17integral_constantIbLb1EESW_IbLb0EEEEDaSS_ST_EUlSS_E_NS1_11comp_targetILNS1_3genE10ELNS1_11target_archE1201ELNS1_3gpuE5ELNS1_3repE0EEENS1_30default_config_static_selectorELNS0_4arch9wavefront6targetE1EEEvT1_
                                        ; -- End function
	.section	.AMDGPU.csdata,"",@progbits
; Kernel info:
; codeLenInByte = 0
; NumSgprs: 4
; NumVgprs: 0
; NumAgprs: 0
; TotalNumVgprs: 0
; ScratchSize: 0
; MemoryBound: 0
; FloatMode: 240
; IeeeMode: 1
; LDSByteSize: 0 bytes/workgroup (compile time only)
; SGPRBlocks: 0
; VGPRBlocks: 0
; NumSGPRsForWavesPerEU: 4
; NumVGPRsForWavesPerEU: 1
; AccumOffset: 4
; Occupancy: 8
; WaveLimiterHint : 0
; COMPUTE_PGM_RSRC2:SCRATCH_EN: 0
; COMPUTE_PGM_RSRC2:USER_SGPR: 6
; COMPUTE_PGM_RSRC2:TRAP_HANDLER: 0
; COMPUTE_PGM_RSRC2:TGID_X_EN: 1
; COMPUTE_PGM_RSRC2:TGID_Y_EN: 0
; COMPUTE_PGM_RSRC2:TGID_Z_EN: 0
; COMPUTE_PGM_RSRC2:TIDIG_COMP_CNT: 0
; COMPUTE_PGM_RSRC3_GFX90A:ACCUM_OFFSET: 0
; COMPUTE_PGM_RSRC3_GFX90A:TG_SPLIT: 0
	.section	.text._ZN7rocprim17ROCPRIM_400000_NS6detail17trampoline_kernelINS0_14default_configENS1_20scan_config_selectorIjEEZZNS1_9scan_implILNS1_25lookback_scan_determinismE0ELb1ELb1ES3_N6thrust23THRUST_200600_302600_NS6detail15normal_iteratorINS9_10device_ptrIjEEEENS9_16discard_iteratorINS9_11use_defaultEEEjNS9_4plusIvEEjEEDaPvRmT3_T4_T5_mT6_P12ihipStream_tbENKUlT_T0_E_clISt17integral_constantIbLb1EESW_IbLb0EEEEDaSS_ST_EUlSS_E_NS1_11comp_targetILNS1_3genE10ELNS1_11target_archE1200ELNS1_3gpuE4ELNS1_3repE0EEENS1_30default_config_static_selectorELNS0_4arch9wavefront6targetE1EEEvT1_,"axG",@progbits,_ZN7rocprim17ROCPRIM_400000_NS6detail17trampoline_kernelINS0_14default_configENS1_20scan_config_selectorIjEEZZNS1_9scan_implILNS1_25lookback_scan_determinismE0ELb1ELb1ES3_N6thrust23THRUST_200600_302600_NS6detail15normal_iteratorINS9_10device_ptrIjEEEENS9_16discard_iteratorINS9_11use_defaultEEEjNS9_4plusIvEEjEEDaPvRmT3_T4_T5_mT6_P12ihipStream_tbENKUlT_T0_E_clISt17integral_constantIbLb1EESW_IbLb0EEEEDaSS_ST_EUlSS_E_NS1_11comp_targetILNS1_3genE10ELNS1_11target_archE1200ELNS1_3gpuE4ELNS1_3repE0EEENS1_30default_config_static_selectorELNS0_4arch9wavefront6targetE1EEEvT1_,comdat
	.protected	_ZN7rocprim17ROCPRIM_400000_NS6detail17trampoline_kernelINS0_14default_configENS1_20scan_config_selectorIjEEZZNS1_9scan_implILNS1_25lookback_scan_determinismE0ELb1ELb1ES3_N6thrust23THRUST_200600_302600_NS6detail15normal_iteratorINS9_10device_ptrIjEEEENS9_16discard_iteratorINS9_11use_defaultEEEjNS9_4plusIvEEjEEDaPvRmT3_T4_T5_mT6_P12ihipStream_tbENKUlT_T0_E_clISt17integral_constantIbLb1EESW_IbLb0EEEEDaSS_ST_EUlSS_E_NS1_11comp_targetILNS1_3genE10ELNS1_11target_archE1200ELNS1_3gpuE4ELNS1_3repE0EEENS1_30default_config_static_selectorELNS0_4arch9wavefront6targetE1EEEvT1_ ; -- Begin function _ZN7rocprim17ROCPRIM_400000_NS6detail17trampoline_kernelINS0_14default_configENS1_20scan_config_selectorIjEEZZNS1_9scan_implILNS1_25lookback_scan_determinismE0ELb1ELb1ES3_N6thrust23THRUST_200600_302600_NS6detail15normal_iteratorINS9_10device_ptrIjEEEENS9_16discard_iteratorINS9_11use_defaultEEEjNS9_4plusIvEEjEEDaPvRmT3_T4_T5_mT6_P12ihipStream_tbENKUlT_T0_E_clISt17integral_constantIbLb1EESW_IbLb0EEEEDaSS_ST_EUlSS_E_NS1_11comp_targetILNS1_3genE10ELNS1_11target_archE1200ELNS1_3gpuE4ELNS1_3repE0EEENS1_30default_config_static_selectorELNS0_4arch9wavefront6targetE1EEEvT1_
	.globl	_ZN7rocprim17ROCPRIM_400000_NS6detail17trampoline_kernelINS0_14default_configENS1_20scan_config_selectorIjEEZZNS1_9scan_implILNS1_25lookback_scan_determinismE0ELb1ELb1ES3_N6thrust23THRUST_200600_302600_NS6detail15normal_iteratorINS9_10device_ptrIjEEEENS9_16discard_iteratorINS9_11use_defaultEEEjNS9_4plusIvEEjEEDaPvRmT3_T4_T5_mT6_P12ihipStream_tbENKUlT_T0_E_clISt17integral_constantIbLb1EESW_IbLb0EEEEDaSS_ST_EUlSS_E_NS1_11comp_targetILNS1_3genE10ELNS1_11target_archE1200ELNS1_3gpuE4ELNS1_3repE0EEENS1_30default_config_static_selectorELNS0_4arch9wavefront6targetE1EEEvT1_
	.p2align	8
	.type	_ZN7rocprim17ROCPRIM_400000_NS6detail17trampoline_kernelINS0_14default_configENS1_20scan_config_selectorIjEEZZNS1_9scan_implILNS1_25lookback_scan_determinismE0ELb1ELb1ES3_N6thrust23THRUST_200600_302600_NS6detail15normal_iteratorINS9_10device_ptrIjEEEENS9_16discard_iteratorINS9_11use_defaultEEEjNS9_4plusIvEEjEEDaPvRmT3_T4_T5_mT6_P12ihipStream_tbENKUlT_T0_E_clISt17integral_constantIbLb1EESW_IbLb0EEEEDaSS_ST_EUlSS_E_NS1_11comp_targetILNS1_3genE10ELNS1_11target_archE1200ELNS1_3gpuE4ELNS1_3repE0EEENS1_30default_config_static_selectorELNS0_4arch9wavefront6targetE1EEEvT1_,@function
_ZN7rocprim17ROCPRIM_400000_NS6detail17trampoline_kernelINS0_14default_configENS1_20scan_config_selectorIjEEZZNS1_9scan_implILNS1_25lookback_scan_determinismE0ELb1ELb1ES3_N6thrust23THRUST_200600_302600_NS6detail15normal_iteratorINS9_10device_ptrIjEEEENS9_16discard_iteratorINS9_11use_defaultEEEjNS9_4plusIvEEjEEDaPvRmT3_T4_T5_mT6_P12ihipStream_tbENKUlT_T0_E_clISt17integral_constantIbLb1EESW_IbLb0EEEEDaSS_ST_EUlSS_E_NS1_11comp_targetILNS1_3genE10ELNS1_11target_archE1200ELNS1_3gpuE4ELNS1_3repE0EEENS1_30default_config_static_selectorELNS0_4arch9wavefront6targetE1EEEvT1_: ; @_ZN7rocprim17ROCPRIM_400000_NS6detail17trampoline_kernelINS0_14default_configENS1_20scan_config_selectorIjEEZZNS1_9scan_implILNS1_25lookback_scan_determinismE0ELb1ELb1ES3_N6thrust23THRUST_200600_302600_NS6detail15normal_iteratorINS9_10device_ptrIjEEEENS9_16discard_iteratorINS9_11use_defaultEEEjNS9_4plusIvEEjEEDaPvRmT3_T4_T5_mT6_P12ihipStream_tbENKUlT_T0_E_clISt17integral_constantIbLb1EESW_IbLb0EEEEDaSS_ST_EUlSS_E_NS1_11comp_targetILNS1_3genE10ELNS1_11target_archE1200ELNS1_3gpuE4ELNS1_3repE0EEENS1_30default_config_static_selectorELNS0_4arch9wavefront6targetE1EEEvT1_
; %bb.0:
	.section	.rodata,"a",@progbits
	.p2align	6, 0x0
	.amdhsa_kernel _ZN7rocprim17ROCPRIM_400000_NS6detail17trampoline_kernelINS0_14default_configENS1_20scan_config_selectorIjEEZZNS1_9scan_implILNS1_25lookback_scan_determinismE0ELb1ELb1ES3_N6thrust23THRUST_200600_302600_NS6detail15normal_iteratorINS9_10device_ptrIjEEEENS9_16discard_iteratorINS9_11use_defaultEEEjNS9_4plusIvEEjEEDaPvRmT3_T4_T5_mT6_P12ihipStream_tbENKUlT_T0_E_clISt17integral_constantIbLb1EESW_IbLb0EEEEDaSS_ST_EUlSS_E_NS1_11comp_targetILNS1_3genE10ELNS1_11target_archE1200ELNS1_3gpuE4ELNS1_3repE0EEENS1_30default_config_static_selectorELNS0_4arch9wavefront6targetE1EEEvT1_
		.amdhsa_group_segment_fixed_size 0
		.amdhsa_private_segment_fixed_size 0
		.amdhsa_kernarg_size 104
		.amdhsa_user_sgpr_count 6
		.amdhsa_user_sgpr_private_segment_buffer 1
		.amdhsa_user_sgpr_dispatch_ptr 0
		.amdhsa_user_sgpr_queue_ptr 0
		.amdhsa_user_sgpr_kernarg_segment_ptr 1
		.amdhsa_user_sgpr_dispatch_id 0
		.amdhsa_user_sgpr_flat_scratch_init 0
		.amdhsa_user_sgpr_kernarg_preload_length 0
		.amdhsa_user_sgpr_kernarg_preload_offset 0
		.amdhsa_user_sgpr_private_segment_size 0
		.amdhsa_uses_dynamic_stack 0
		.amdhsa_system_sgpr_private_segment_wavefront_offset 0
		.amdhsa_system_sgpr_workgroup_id_x 1
		.amdhsa_system_sgpr_workgroup_id_y 0
		.amdhsa_system_sgpr_workgroup_id_z 0
		.amdhsa_system_sgpr_workgroup_info 0
		.amdhsa_system_vgpr_workitem_id 0
		.amdhsa_next_free_vgpr 1
		.amdhsa_next_free_sgpr 0
		.amdhsa_accum_offset 4
		.amdhsa_reserve_vcc 0
		.amdhsa_reserve_flat_scratch 0
		.amdhsa_float_round_mode_32 0
		.amdhsa_float_round_mode_16_64 0
		.amdhsa_float_denorm_mode_32 3
		.amdhsa_float_denorm_mode_16_64 3
		.amdhsa_dx10_clamp 1
		.amdhsa_ieee_mode 1
		.amdhsa_fp16_overflow 0
		.amdhsa_tg_split 0
		.amdhsa_exception_fp_ieee_invalid_op 0
		.amdhsa_exception_fp_denorm_src 0
		.amdhsa_exception_fp_ieee_div_zero 0
		.amdhsa_exception_fp_ieee_overflow 0
		.amdhsa_exception_fp_ieee_underflow 0
		.amdhsa_exception_fp_ieee_inexact 0
		.amdhsa_exception_int_div_zero 0
	.end_amdhsa_kernel
	.section	.text._ZN7rocprim17ROCPRIM_400000_NS6detail17trampoline_kernelINS0_14default_configENS1_20scan_config_selectorIjEEZZNS1_9scan_implILNS1_25lookback_scan_determinismE0ELb1ELb1ES3_N6thrust23THRUST_200600_302600_NS6detail15normal_iteratorINS9_10device_ptrIjEEEENS9_16discard_iteratorINS9_11use_defaultEEEjNS9_4plusIvEEjEEDaPvRmT3_T4_T5_mT6_P12ihipStream_tbENKUlT_T0_E_clISt17integral_constantIbLb1EESW_IbLb0EEEEDaSS_ST_EUlSS_E_NS1_11comp_targetILNS1_3genE10ELNS1_11target_archE1200ELNS1_3gpuE4ELNS1_3repE0EEENS1_30default_config_static_selectorELNS0_4arch9wavefront6targetE1EEEvT1_,"axG",@progbits,_ZN7rocprim17ROCPRIM_400000_NS6detail17trampoline_kernelINS0_14default_configENS1_20scan_config_selectorIjEEZZNS1_9scan_implILNS1_25lookback_scan_determinismE0ELb1ELb1ES3_N6thrust23THRUST_200600_302600_NS6detail15normal_iteratorINS9_10device_ptrIjEEEENS9_16discard_iteratorINS9_11use_defaultEEEjNS9_4plusIvEEjEEDaPvRmT3_T4_T5_mT6_P12ihipStream_tbENKUlT_T0_E_clISt17integral_constantIbLb1EESW_IbLb0EEEEDaSS_ST_EUlSS_E_NS1_11comp_targetILNS1_3genE10ELNS1_11target_archE1200ELNS1_3gpuE4ELNS1_3repE0EEENS1_30default_config_static_selectorELNS0_4arch9wavefront6targetE1EEEvT1_,comdat
.Lfunc_end5408:
	.size	_ZN7rocprim17ROCPRIM_400000_NS6detail17trampoline_kernelINS0_14default_configENS1_20scan_config_selectorIjEEZZNS1_9scan_implILNS1_25lookback_scan_determinismE0ELb1ELb1ES3_N6thrust23THRUST_200600_302600_NS6detail15normal_iteratorINS9_10device_ptrIjEEEENS9_16discard_iteratorINS9_11use_defaultEEEjNS9_4plusIvEEjEEDaPvRmT3_T4_T5_mT6_P12ihipStream_tbENKUlT_T0_E_clISt17integral_constantIbLb1EESW_IbLb0EEEEDaSS_ST_EUlSS_E_NS1_11comp_targetILNS1_3genE10ELNS1_11target_archE1200ELNS1_3gpuE4ELNS1_3repE0EEENS1_30default_config_static_selectorELNS0_4arch9wavefront6targetE1EEEvT1_, .Lfunc_end5408-_ZN7rocprim17ROCPRIM_400000_NS6detail17trampoline_kernelINS0_14default_configENS1_20scan_config_selectorIjEEZZNS1_9scan_implILNS1_25lookback_scan_determinismE0ELb1ELb1ES3_N6thrust23THRUST_200600_302600_NS6detail15normal_iteratorINS9_10device_ptrIjEEEENS9_16discard_iteratorINS9_11use_defaultEEEjNS9_4plusIvEEjEEDaPvRmT3_T4_T5_mT6_P12ihipStream_tbENKUlT_T0_E_clISt17integral_constantIbLb1EESW_IbLb0EEEEDaSS_ST_EUlSS_E_NS1_11comp_targetILNS1_3genE10ELNS1_11target_archE1200ELNS1_3gpuE4ELNS1_3repE0EEENS1_30default_config_static_selectorELNS0_4arch9wavefront6targetE1EEEvT1_
                                        ; -- End function
	.section	.AMDGPU.csdata,"",@progbits
; Kernel info:
; codeLenInByte = 0
; NumSgprs: 4
; NumVgprs: 0
; NumAgprs: 0
; TotalNumVgprs: 0
; ScratchSize: 0
; MemoryBound: 0
; FloatMode: 240
; IeeeMode: 1
; LDSByteSize: 0 bytes/workgroup (compile time only)
; SGPRBlocks: 0
; VGPRBlocks: 0
; NumSGPRsForWavesPerEU: 4
; NumVGPRsForWavesPerEU: 1
; AccumOffset: 4
; Occupancy: 8
; WaveLimiterHint : 0
; COMPUTE_PGM_RSRC2:SCRATCH_EN: 0
; COMPUTE_PGM_RSRC2:USER_SGPR: 6
; COMPUTE_PGM_RSRC2:TRAP_HANDLER: 0
; COMPUTE_PGM_RSRC2:TGID_X_EN: 1
; COMPUTE_PGM_RSRC2:TGID_Y_EN: 0
; COMPUTE_PGM_RSRC2:TGID_Z_EN: 0
; COMPUTE_PGM_RSRC2:TIDIG_COMP_CNT: 0
; COMPUTE_PGM_RSRC3_GFX90A:ACCUM_OFFSET: 0
; COMPUTE_PGM_RSRC3_GFX90A:TG_SPLIT: 0
	.section	.text._ZN7rocprim17ROCPRIM_400000_NS6detail17trampoline_kernelINS0_14default_configENS1_20scan_config_selectorIjEEZZNS1_9scan_implILNS1_25lookback_scan_determinismE0ELb1ELb1ES3_N6thrust23THRUST_200600_302600_NS6detail15normal_iteratorINS9_10device_ptrIjEEEENS9_16discard_iteratorINS9_11use_defaultEEEjNS9_4plusIvEEjEEDaPvRmT3_T4_T5_mT6_P12ihipStream_tbENKUlT_T0_E_clISt17integral_constantIbLb1EESW_IbLb0EEEEDaSS_ST_EUlSS_E_NS1_11comp_targetILNS1_3genE9ELNS1_11target_archE1100ELNS1_3gpuE3ELNS1_3repE0EEENS1_30default_config_static_selectorELNS0_4arch9wavefront6targetE1EEEvT1_,"axG",@progbits,_ZN7rocprim17ROCPRIM_400000_NS6detail17trampoline_kernelINS0_14default_configENS1_20scan_config_selectorIjEEZZNS1_9scan_implILNS1_25lookback_scan_determinismE0ELb1ELb1ES3_N6thrust23THRUST_200600_302600_NS6detail15normal_iteratorINS9_10device_ptrIjEEEENS9_16discard_iteratorINS9_11use_defaultEEEjNS9_4plusIvEEjEEDaPvRmT3_T4_T5_mT6_P12ihipStream_tbENKUlT_T0_E_clISt17integral_constantIbLb1EESW_IbLb0EEEEDaSS_ST_EUlSS_E_NS1_11comp_targetILNS1_3genE9ELNS1_11target_archE1100ELNS1_3gpuE3ELNS1_3repE0EEENS1_30default_config_static_selectorELNS0_4arch9wavefront6targetE1EEEvT1_,comdat
	.protected	_ZN7rocprim17ROCPRIM_400000_NS6detail17trampoline_kernelINS0_14default_configENS1_20scan_config_selectorIjEEZZNS1_9scan_implILNS1_25lookback_scan_determinismE0ELb1ELb1ES3_N6thrust23THRUST_200600_302600_NS6detail15normal_iteratorINS9_10device_ptrIjEEEENS9_16discard_iteratorINS9_11use_defaultEEEjNS9_4plusIvEEjEEDaPvRmT3_T4_T5_mT6_P12ihipStream_tbENKUlT_T0_E_clISt17integral_constantIbLb1EESW_IbLb0EEEEDaSS_ST_EUlSS_E_NS1_11comp_targetILNS1_3genE9ELNS1_11target_archE1100ELNS1_3gpuE3ELNS1_3repE0EEENS1_30default_config_static_selectorELNS0_4arch9wavefront6targetE1EEEvT1_ ; -- Begin function _ZN7rocprim17ROCPRIM_400000_NS6detail17trampoline_kernelINS0_14default_configENS1_20scan_config_selectorIjEEZZNS1_9scan_implILNS1_25lookback_scan_determinismE0ELb1ELb1ES3_N6thrust23THRUST_200600_302600_NS6detail15normal_iteratorINS9_10device_ptrIjEEEENS9_16discard_iteratorINS9_11use_defaultEEEjNS9_4plusIvEEjEEDaPvRmT3_T4_T5_mT6_P12ihipStream_tbENKUlT_T0_E_clISt17integral_constantIbLb1EESW_IbLb0EEEEDaSS_ST_EUlSS_E_NS1_11comp_targetILNS1_3genE9ELNS1_11target_archE1100ELNS1_3gpuE3ELNS1_3repE0EEENS1_30default_config_static_selectorELNS0_4arch9wavefront6targetE1EEEvT1_
	.globl	_ZN7rocprim17ROCPRIM_400000_NS6detail17trampoline_kernelINS0_14default_configENS1_20scan_config_selectorIjEEZZNS1_9scan_implILNS1_25lookback_scan_determinismE0ELb1ELb1ES3_N6thrust23THRUST_200600_302600_NS6detail15normal_iteratorINS9_10device_ptrIjEEEENS9_16discard_iteratorINS9_11use_defaultEEEjNS9_4plusIvEEjEEDaPvRmT3_T4_T5_mT6_P12ihipStream_tbENKUlT_T0_E_clISt17integral_constantIbLb1EESW_IbLb0EEEEDaSS_ST_EUlSS_E_NS1_11comp_targetILNS1_3genE9ELNS1_11target_archE1100ELNS1_3gpuE3ELNS1_3repE0EEENS1_30default_config_static_selectorELNS0_4arch9wavefront6targetE1EEEvT1_
	.p2align	8
	.type	_ZN7rocprim17ROCPRIM_400000_NS6detail17trampoline_kernelINS0_14default_configENS1_20scan_config_selectorIjEEZZNS1_9scan_implILNS1_25lookback_scan_determinismE0ELb1ELb1ES3_N6thrust23THRUST_200600_302600_NS6detail15normal_iteratorINS9_10device_ptrIjEEEENS9_16discard_iteratorINS9_11use_defaultEEEjNS9_4plusIvEEjEEDaPvRmT3_T4_T5_mT6_P12ihipStream_tbENKUlT_T0_E_clISt17integral_constantIbLb1EESW_IbLb0EEEEDaSS_ST_EUlSS_E_NS1_11comp_targetILNS1_3genE9ELNS1_11target_archE1100ELNS1_3gpuE3ELNS1_3repE0EEENS1_30default_config_static_selectorELNS0_4arch9wavefront6targetE1EEEvT1_,@function
_ZN7rocprim17ROCPRIM_400000_NS6detail17trampoline_kernelINS0_14default_configENS1_20scan_config_selectorIjEEZZNS1_9scan_implILNS1_25lookback_scan_determinismE0ELb1ELb1ES3_N6thrust23THRUST_200600_302600_NS6detail15normal_iteratorINS9_10device_ptrIjEEEENS9_16discard_iteratorINS9_11use_defaultEEEjNS9_4plusIvEEjEEDaPvRmT3_T4_T5_mT6_P12ihipStream_tbENKUlT_T0_E_clISt17integral_constantIbLb1EESW_IbLb0EEEEDaSS_ST_EUlSS_E_NS1_11comp_targetILNS1_3genE9ELNS1_11target_archE1100ELNS1_3gpuE3ELNS1_3repE0EEENS1_30default_config_static_selectorELNS0_4arch9wavefront6targetE1EEEvT1_: ; @_ZN7rocprim17ROCPRIM_400000_NS6detail17trampoline_kernelINS0_14default_configENS1_20scan_config_selectorIjEEZZNS1_9scan_implILNS1_25lookback_scan_determinismE0ELb1ELb1ES3_N6thrust23THRUST_200600_302600_NS6detail15normal_iteratorINS9_10device_ptrIjEEEENS9_16discard_iteratorINS9_11use_defaultEEEjNS9_4plusIvEEjEEDaPvRmT3_T4_T5_mT6_P12ihipStream_tbENKUlT_T0_E_clISt17integral_constantIbLb1EESW_IbLb0EEEEDaSS_ST_EUlSS_E_NS1_11comp_targetILNS1_3genE9ELNS1_11target_archE1100ELNS1_3gpuE3ELNS1_3repE0EEENS1_30default_config_static_selectorELNS0_4arch9wavefront6targetE1EEEvT1_
; %bb.0:
	.section	.rodata,"a",@progbits
	.p2align	6, 0x0
	.amdhsa_kernel _ZN7rocprim17ROCPRIM_400000_NS6detail17trampoline_kernelINS0_14default_configENS1_20scan_config_selectorIjEEZZNS1_9scan_implILNS1_25lookback_scan_determinismE0ELb1ELb1ES3_N6thrust23THRUST_200600_302600_NS6detail15normal_iteratorINS9_10device_ptrIjEEEENS9_16discard_iteratorINS9_11use_defaultEEEjNS9_4plusIvEEjEEDaPvRmT3_T4_T5_mT6_P12ihipStream_tbENKUlT_T0_E_clISt17integral_constantIbLb1EESW_IbLb0EEEEDaSS_ST_EUlSS_E_NS1_11comp_targetILNS1_3genE9ELNS1_11target_archE1100ELNS1_3gpuE3ELNS1_3repE0EEENS1_30default_config_static_selectorELNS0_4arch9wavefront6targetE1EEEvT1_
		.amdhsa_group_segment_fixed_size 0
		.amdhsa_private_segment_fixed_size 0
		.amdhsa_kernarg_size 104
		.amdhsa_user_sgpr_count 6
		.amdhsa_user_sgpr_private_segment_buffer 1
		.amdhsa_user_sgpr_dispatch_ptr 0
		.amdhsa_user_sgpr_queue_ptr 0
		.amdhsa_user_sgpr_kernarg_segment_ptr 1
		.amdhsa_user_sgpr_dispatch_id 0
		.amdhsa_user_sgpr_flat_scratch_init 0
		.amdhsa_user_sgpr_kernarg_preload_length 0
		.amdhsa_user_sgpr_kernarg_preload_offset 0
		.amdhsa_user_sgpr_private_segment_size 0
		.amdhsa_uses_dynamic_stack 0
		.amdhsa_system_sgpr_private_segment_wavefront_offset 0
		.amdhsa_system_sgpr_workgroup_id_x 1
		.amdhsa_system_sgpr_workgroup_id_y 0
		.amdhsa_system_sgpr_workgroup_id_z 0
		.amdhsa_system_sgpr_workgroup_info 0
		.amdhsa_system_vgpr_workitem_id 0
		.amdhsa_next_free_vgpr 1
		.amdhsa_next_free_sgpr 0
		.amdhsa_accum_offset 4
		.amdhsa_reserve_vcc 0
		.amdhsa_reserve_flat_scratch 0
		.amdhsa_float_round_mode_32 0
		.amdhsa_float_round_mode_16_64 0
		.amdhsa_float_denorm_mode_32 3
		.amdhsa_float_denorm_mode_16_64 3
		.amdhsa_dx10_clamp 1
		.amdhsa_ieee_mode 1
		.amdhsa_fp16_overflow 0
		.amdhsa_tg_split 0
		.amdhsa_exception_fp_ieee_invalid_op 0
		.amdhsa_exception_fp_denorm_src 0
		.amdhsa_exception_fp_ieee_div_zero 0
		.amdhsa_exception_fp_ieee_overflow 0
		.amdhsa_exception_fp_ieee_underflow 0
		.amdhsa_exception_fp_ieee_inexact 0
		.amdhsa_exception_int_div_zero 0
	.end_amdhsa_kernel
	.section	.text._ZN7rocprim17ROCPRIM_400000_NS6detail17trampoline_kernelINS0_14default_configENS1_20scan_config_selectorIjEEZZNS1_9scan_implILNS1_25lookback_scan_determinismE0ELb1ELb1ES3_N6thrust23THRUST_200600_302600_NS6detail15normal_iteratorINS9_10device_ptrIjEEEENS9_16discard_iteratorINS9_11use_defaultEEEjNS9_4plusIvEEjEEDaPvRmT3_T4_T5_mT6_P12ihipStream_tbENKUlT_T0_E_clISt17integral_constantIbLb1EESW_IbLb0EEEEDaSS_ST_EUlSS_E_NS1_11comp_targetILNS1_3genE9ELNS1_11target_archE1100ELNS1_3gpuE3ELNS1_3repE0EEENS1_30default_config_static_selectorELNS0_4arch9wavefront6targetE1EEEvT1_,"axG",@progbits,_ZN7rocprim17ROCPRIM_400000_NS6detail17trampoline_kernelINS0_14default_configENS1_20scan_config_selectorIjEEZZNS1_9scan_implILNS1_25lookback_scan_determinismE0ELb1ELb1ES3_N6thrust23THRUST_200600_302600_NS6detail15normal_iteratorINS9_10device_ptrIjEEEENS9_16discard_iteratorINS9_11use_defaultEEEjNS9_4plusIvEEjEEDaPvRmT3_T4_T5_mT6_P12ihipStream_tbENKUlT_T0_E_clISt17integral_constantIbLb1EESW_IbLb0EEEEDaSS_ST_EUlSS_E_NS1_11comp_targetILNS1_3genE9ELNS1_11target_archE1100ELNS1_3gpuE3ELNS1_3repE0EEENS1_30default_config_static_selectorELNS0_4arch9wavefront6targetE1EEEvT1_,comdat
.Lfunc_end5409:
	.size	_ZN7rocprim17ROCPRIM_400000_NS6detail17trampoline_kernelINS0_14default_configENS1_20scan_config_selectorIjEEZZNS1_9scan_implILNS1_25lookback_scan_determinismE0ELb1ELb1ES3_N6thrust23THRUST_200600_302600_NS6detail15normal_iteratorINS9_10device_ptrIjEEEENS9_16discard_iteratorINS9_11use_defaultEEEjNS9_4plusIvEEjEEDaPvRmT3_T4_T5_mT6_P12ihipStream_tbENKUlT_T0_E_clISt17integral_constantIbLb1EESW_IbLb0EEEEDaSS_ST_EUlSS_E_NS1_11comp_targetILNS1_3genE9ELNS1_11target_archE1100ELNS1_3gpuE3ELNS1_3repE0EEENS1_30default_config_static_selectorELNS0_4arch9wavefront6targetE1EEEvT1_, .Lfunc_end5409-_ZN7rocprim17ROCPRIM_400000_NS6detail17trampoline_kernelINS0_14default_configENS1_20scan_config_selectorIjEEZZNS1_9scan_implILNS1_25lookback_scan_determinismE0ELb1ELb1ES3_N6thrust23THRUST_200600_302600_NS6detail15normal_iteratorINS9_10device_ptrIjEEEENS9_16discard_iteratorINS9_11use_defaultEEEjNS9_4plusIvEEjEEDaPvRmT3_T4_T5_mT6_P12ihipStream_tbENKUlT_T0_E_clISt17integral_constantIbLb1EESW_IbLb0EEEEDaSS_ST_EUlSS_E_NS1_11comp_targetILNS1_3genE9ELNS1_11target_archE1100ELNS1_3gpuE3ELNS1_3repE0EEENS1_30default_config_static_selectorELNS0_4arch9wavefront6targetE1EEEvT1_
                                        ; -- End function
	.section	.AMDGPU.csdata,"",@progbits
; Kernel info:
; codeLenInByte = 0
; NumSgprs: 4
; NumVgprs: 0
; NumAgprs: 0
; TotalNumVgprs: 0
; ScratchSize: 0
; MemoryBound: 0
; FloatMode: 240
; IeeeMode: 1
; LDSByteSize: 0 bytes/workgroup (compile time only)
; SGPRBlocks: 0
; VGPRBlocks: 0
; NumSGPRsForWavesPerEU: 4
; NumVGPRsForWavesPerEU: 1
; AccumOffset: 4
; Occupancy: 8
; WaveLimiterHint : 0
; COMPUTE_PGM_RSRC2:SCRATCH_EN: 0
; COMPUTE_PGM_RSRC2:USER_SGPR: 6
; COMPUTE_PGM_RSRC2:TRAP_HANDLER: 0
; COMPUTE_PGM_RSRC2:TGID_X_EN: 1
; COMPUTE_PGM_RSRC2:TGID_Y_EN: 0
; COMPUTE_PGM_RSRC2:TGID_Z_EN: 0
; COMPUTE_PGM_RSRC2:TIDIG_COMP_CNT: 0
; COMPUTE_PGM_RSRC3_GFX90A:ACCUM_OFFSET: 0
; COMPUTE_PGM_RSRC3_GFX90A:TG_SPLIT: 0
	.section	.text._ZN7rocprim17ROCPRIM_400000_NS6detail17trampoline_kernelINS0_14default_configENS1_20scan_config_selectorIjEEZZNS1_9scan_implILNS1_25lookback_scan_determinismE0ELb1ELb1ES3_N6thrust23THRUST_200600_302600_NS6detail15normal_iteratorINS9_10device_ptrIjEEEENS9_16discard_iteratorINS9_11use_defaultEEEjNS9_4plusIvEEjEEDaPvRmT3_T4_T5_mT6_P12ihipStream_tbENKUlT_T0_E_clISt17integral_constantIbLb1EESW_IbLb0EEEEDaSS_ST_EUlSS_E_NS1_11comp_targetILNS1_3genE8ELNS1_11target_archE1030ELNS1_3gpuE2ELNS1_3repE0EEENS1_30default_config_static_selectorELNS0_4arch9wavefront6targetE1EEEvT1_,"axG",@progbits,_ZN7rocprim17ROCPRIM_400000_NS6detail17trampoline_kernelINS0_14default_configENS1_20scan_config_selectorIjEEZZNS1_9scan_implILNS1_25lookback_scan_determinismE0ELb1ELb1ES3_N6thrust23THRUST_200600_302600_NS6detail15normal_iteratorINS9_10device_ptrIjEEEENS9_16discard_iteratorINS9_11use_defaultEEEjNS9_4plusIvEEjEEDaPvRmT3_T4_T5_mT6_P12ihipStream_tbENKUlT_T0_E_clISt17integral_constantIbLb1EESW_IbLb0EEEEDaSS_ST_EUlSS_E_NS1_11comp_targetILNS1_3genE8ELNS1_11target_archE1030ELNS1_3gpuE2ELNS1_3repE0EEENS1_30default_config_static_selectorELNS0_4arch9wavefront6targetE1EEEvT1_,comdat
	.protected	_ZN7rocprim17ROCPRIM_400000_NS6detail17trampoline_kernelINS0_14default_configENS1_20scan_config_selectorIjEEZZNS1_9scan_implILNS1_25lookback_scan_determinismE0ELb1ELb1ES3_N6thrust23THRUST_200600_302600_NS6detail15normal_iteratorINS9_10device_ptrIjEEEENS9_16discard_iteratorINS9_11use_defaultEEEjNS9_4plusIvEEjEEDaPvRmT3_T4_T5_mT6_P12ihipStream_tbENKUlT_T0_E_clISt17integral_constantIbLb1EESW_IbLb0EEEEDaSS_ST_EUlSS_E_NS1_11comp_targetILNS1_3genE8ELNS1_11target_archE1030ELNS1_3gpuE2ELNS1_3repE0EEENS1_30default_config_static_selectorELNS0_4arch9wavefront6targetE1EEEvT1_ ; -- Begin function _ZN7rocprim17ROCPRIM_400000_NS6detail17trampoline_kernelINS0_14default_configENS1_20scan_config_selectorIjEEZZNS1_9scan_implILNS1_25lookback_scan_determinismE0ELb1ELb1ES3_N6thrust23THRUST_200600_302600_NS6detail15normal_iteratorINS9_10device_ptrIjEEEENS9_16discard_iteratorINS9_11use_defaultEEEjNS9_4plusIvEEjEEDaPvRmT3_T4_T5_mT6_P12ihipStream_tbENKUlT_T0_E_clISt17integral_constantIbLb1EESW_IbLb0EEEEDaSS_ST_EUlSS_E_NS1_11comp_targetILNS1_3genE8ELNS1_11target_archE1030ELNS1_3gpuE2ELNS1_3repE0EEENS1_30default_config_static_selectorELNS0_4arch9wavefront6targetE1EEEvT1_
	.globl	_ZN7rocprim17ROCPRIM_400000_NS6detail17trampoline_kernelINS0_14default_configENS1_20scan_config_selectorIjEEZZNS1_9scan_implILNS1_25lookback_scan_determinismE0ELb1ELb1ES3_N6thrust23THRUST_200600_302600_NS6detail15normal_iteratorINS9_10device_ptrIjEEEENS9_16discard_iteratorINS9_11use_defaultEEEjNS9_4plusIvEEjEEDaPvRmT3_T4_T5_mT6_P12ihipStream_tbENKUlT_T0_E_clISt17integral_constantIbLb1EESW_IbLb0EEEEDaSS_ST_EUlSS_E_NS1_11comp_targetILNS1_3genE8ELNS1_11target_archE1030ELNS1_3gpuE2ELNS1_3repE0EEENS1_30default_config_static_selectorELNS0_4arch9wavefront6targetE1EEEvT1_
	.p2align	8
	.type	_ZN7rocprim17ROCPRIM_400000_NS6detail17trampoline_kernelINS0_14default_configENS1_20scan_config_selectorIjEEZZNS1_9scan_implILNS1_25lookback_scan_determinismE0ELb1ELb1ES3_N6thrust23THRUST_200600_302600_NS6detail15normal_iteratorINS9_10device_ptrIjEEEENS9_16discard_iteratorINS9_11use_defaultEEEjNS9_4plusIvEEjEEDaPvRmT3_T4_T5_mT6_P12ihipStream_tbENKUlT_T0_E_clISt17integral_constantIbLb1EESW_IbLb0EEEEDaSS_ST_EUlSS_E_NS1_11comp_targetILNS1_3genE8ELNS1_11target_archE1030ELNS1_3gpuE2ELNS1_3repE0EEENS1_30default_config_static_selectorELNS0_4arch9wavefront6targetE1EEEvT1_,@function
_ZN7rocprim17ROCPRIM_400000_NS6detail17trampoline_kernelINS0_14default_configENS1_20scan_config_selectorIjEEZZNS1_9scan_implILNS1_25lookback_scan_determinismE0ELb1ELb1ES3_N6thrust23THRUST_200600_302600_NS6detail15normal_iteratorINS9_10device_ptrIjEEEENS9_16discard_iteratorINS9_11use_defaultEEEjNS9_4plusIvEEjEEDaPvRmT3_T4_T5_mT6_P12ihipStream_tbENKUlT_T0_E_clISt17integral_constantIbLb1EESW_IbLb0EEEEDaSS_ST_EUlSS_E_NS1_11comp_targetILNS1_3genE8ELNS1_11target_archE1030ELNS1_3gpuE2ELNS1_3repE0EEENS1_30default_config_static_selectorELNS0_4arch9wavefront6targetE1EEEvT1_: ; @_ZN7rocprim17ROCPRIM_400000_NS6detail17trampoline_kernelINS0_14default_configENS1_20scan_config_selectorIjEEZZNS1_9scan_implILNS1_25lookback_scan_determinismE0ELb1ELb1ES3_N6thrust23THRUST_200600_302600_NS6detail15normal_iteratorINS9_10device_ptrIjEEEENS9_16discard_iteratorINS9_11use_defaultEEEjNS9_4plusIvEEjEEDaPvRmT3_T4_T5_mT6_P12ihipStream_tbENKUlT_T0_E_clISt17integral_constantIbLb1EESW_IbLb0EEEEDaSS_ST_EUlSS_E_NS1_11comp_targetILNS1_3genE8ELNS1_11target_archE1030ELNS1_3gpuE2ELNS1_3repE0EEENS1_30default_config_static_selectorELNS0_4arch9wavefront6targetE1EEEvT1_
; %bb.0:
	.section	.rodata,"a",@progbits
	.p2align	6, 0x0
	.amdhsa_kernel _ZN7rocprim17ROCPRIM_400000_NS6detail17trampoline_kernelINS0_14default_configENS1_20scan_config_selectorIjEEZZNS1_9scan_implILNS1_25lookback_scan_determinismE0ELb1ELb1ES3_N6thrust23THRUST_200600_302600_NS6detail15normal_iteratorINS9_10device_ptrIjEEEENS9_16discard_iteratorINS9_11use_defaultEEEjNS9_4plusIvEEjEEDaPvRmT3_T4_T5_mT6_P12ihipStream_tbENKUlT_T0_E_clISt17integral_constantIbLb1EESW_IbLb0EEEEDaSS_ST_EUlSS_E_NS1_11comp_targetILNS1_3genE8ELNS1_11target_archE1030ELNS1_3gpuE2ELNS1_3repE0EEENS1_30default_config_static_selectorELNS0_4arch9wavefront6targetE1EEEvT1_
		.amdhsa_group_segment_fixed_size 0
		.amdhsa_private_segment_fixed_size 0
		.amdhsa_kernarg_size 104
		.amdhsa_user_sgpr_count 6
		.amdhsa_user_sgpr_private_segment_buffer 1
		.amdhsa_user_sgpr_dispatch_ptr 0
		.amdhsa_user_sgpr_queue_ptr 0
		.amdhsa_user_sgpr_kernarg_segment_ptr 1
		.amdhsa_user_sgpr_dispatch_id 0
		.amdhsa_user_sgpr_flat_scratch_init 0
		.amdhsa_user_sgpr_kernarg_preload_length 0
		.amdhsa_user_sgpr_kernarg_preload_offset 0
		.amdhsa_user_sgpr_private_segment_size 0
		.amdhsa_uses_dynamic_stack 0
		.amdhsa_system_sgpr_private_segment_wavefront_offset 0
		.amdhsa_system_sgpr_workgroup_id_x 1
		.amdhsa_system_sgpr_workgroup_id_y 0
		.amdhsa_system_sgpr_workgroup_id_z 0
		.amdhsa_system_sgpr_workgroup_info 0
		.amdhsa_system_vgpr_workitem_id 0
		.amdhsa_next_free_vgpr 1
		.amdhsa_next_free_sgpr 0
		.amdhsa_accum_offset 4
		.amdhsa_reserve_vcc 0
		.amdhsa_reserve_flat_scratch 0
		.amdhsa_float_round_mode_32 0
		.amdhsa_float_round_mode_16_64 0
		.amdhsa_float_denorm_mode_32 3
		.amdhsa_float_denorm_mode_16_64 3
		.amdhsa_dx10_clamp 1
		.amdhsa_ieee_mode 1
		.amdhsa_fp16_overflow 0
		.amdhsa_tg_split 0
		.amdhsa_exception_fp_ieee_invalid_op 0
		.amdhsa_exception_fp_denorm_src 0
		.amdhsa_exception_fp_ieee_div_zero 0
		.amdhsa_exception_fp_ieee_overflow 0
		.amdhsa_exception_fp_ieee_underflow 0
		.amdhsa_exception_fp_ieee_inexact 0
		.amdhsa_exception_int_div_zero 0
	.end_amdhsa_kernel
	.section	.text._ZN7rocprim17ROCPRIM_400000_NS6detail17trampoline_kernelINS0_14default_configENS1_20scan_config_selectorIjEEZZNS1_9scan_implILNS1_25lookback_scan_determinismE0ELb1ELb1ES3_N6thrust23THRUST_200600_302600_NS6detail15normal_iteratorINS9_10device_ptrIjEEEENS9_16discard_iteratorINS9_11use_defaultEEEjNS9_4plusIvEEjEEDaPvRmT3_T4_T5_mT6_P12ihipStream_tbENKUlT_T0_E_clISt17integral_constantIbLb1EESW_IbLb0EEEEDaSS_ST_EUlSS_E_NS1_11comp_targetILNS1_3genE8ELNS1_11target_archE1030ELNS1_3gpuE2ELNS1_3repE0EEENS1_30default_config_static_selectorELNS0_4arch9wavefront6targetE1EEEvT1_,"axG",@progbits,_ZN7rocprim17ROCPRIM_400000_NS6detail17trampoline_kernelINS0_14default_configENS1_20scan_config_selectorIjEEZZNS1_9scan_implILNS1_25lookback_scan_determinismE0ELb1ELb1ES3_N6thrust23THRUST_200600_302600_NS6detail15normal_iteratorINS9_10device_ptrIjEEEENS9_16discard_iteratorINS9_11use_defaultEEEjNS9_4plusIvEEjEEDaPvRmT3_T4_T5_mT6_P12ihipStream_tbENKUlT_T0_E_clISt17integral_constantIbLb1EESW_IbLb0EEEEDaSS_ST_EUlSS_E_NS1_11comp_targetILNS1_3genE8ELNS1_11target_archE1030ELNS1_3gpuE2ELNS1_3repE0EEENS1_30default_config_static_selectorELNS0_4arch9wavefront6targetE1EEEvT1_,comdat
.Lfunc_end5410:
	.size	_ZN7rocprim17ROCPRIM_400000_NS6detail17trampoline_kernelINS0_14default_configENS1_20scan_config_selectorIjEEZZNS1_9scan_implILNS1_25lookback_scan_determinismE0ELb1ELb1ES3_N6thrust23THRUST_200600_302600_NS6detail15normal_iteratorINS9_10device_ptrIjEEEENS9_16discard_iteratorINS9_11use_defaultEEEjNS9_4plusIvEEjEEDaPvRmT3_T4_T5_mT6_P12ihipStream_tbENKUlT_T0_E_clISt17integral_constantIbLb1EESW_IbLb0EEEEDaSS_ST_EUlSS_E_NS1_11comp_targetILNS1_3genE8ELNS1_11target_archE1030ELNS1_3gpuE2ELNS1_3repE0EEENS1_30default_config_static_selectorELNS0_4arch9wavefront6targetE1EEEvT1_, .Lfunc_end5410-_ZN7rocprim17ROCPRIM_400000_NS6detail17trampoline_kernelINS0_14default_configENS1_20scan_config_selectorIjEEZZNS1_9scan_implILNS1_25lookback_scan_determinismE0ELb1ELb1ES3_N6thrust23THRUST_200600_302600_NS6detail15normal_iteratorINS9_10device_ptrIjEEEENS9_16discard_iteratorINS9_11use_defaultEEEjNS9_4plusIvEEjEEDaPvRmT3_T4_T5_mT6_P12ihipStream_tbENKUlT_T0_E_clISt17integral_constantIbLb1EESW_IbLb0EEEEDaSS_ST_EUlSS_E_NS1_11comp_targetILNS1_3genE8ELNS1_11target_archE1030ELNS1_3gpuE2ELNS1_3repE0EEENS1_30default_config_static_selectorELNS0_4arch9wavefront6targetE1EEEvT1_
                                        ; -- End function
	.section	.AMDGPU.csdata,"",@progbits
; Kernel info:
; codeLenInByte = 0
; NumSgprs: 4
; NumVgprs: 0
; NumAgprs: 0
; TotalNumVgprs: 0
; ScratchSize: 0
; MemoryBound: 0
; FloatMode: 240
; IeeeMode: 1
; LDSByteSize: 0 bytes/workgroup (compile time only)
; SGPRBlocks: 0
; VGPRBlocks: 0
; NumSGPRsForWavesPerEU: 4
; NumVGPRsForWavesPerEU: 1
; AccumOffset: 4
; Occupancy: 8
; WaveLimiterHint : 0
; COMPUTE_PGM_RSRC2:SCRATCH_EN: 0
; COMPUTE_PGM_RSRC2:USER_SGPR: 6
; COMPUTE_PGM_RSRC2:TRAP_HANDLER: 0
; COMPUTE_PGM_RSRC2:TGID_X_EN: 1
; COMPUTE_PGM_RSRC2:TGID_Y_EN: 0
; COMPUTE_PGM_RSRC2:TGID_Z_EN: 0
; COMPUTE_PGM_RSRC2:TIDIG_COMP_CNT: 0
; COMPUTE_PGM_RSRC3_GFX90A:ACCUM_OFFSET: 0
; COMPUTE_PGM_RSRC3_GFX90A:TG_SPLIT: 0
	.section	.text._ZN7rocprim17ROCPRIM_400000_NS6detail17trampoline_kernelINS0_14default_configENS1_20scan_config_selectorIjEEZZNS1_9scan_implILNS1_25lookback_scan_determinismE0ELb1ELb1ES3_N6thrust23THRUST_200600_302600_NS6detail15normal_iteratorINS9_10device_ptrIjEEEENS9_16discard_iteratorINS9_11use_defaultEEEjNS9_4plusIvEEjEEDaPvRmT3_T4_T5_mT6_P12ihipStream_tbENKUlT_T0_E_clISt17integral_constantIbLb1EESW_IbLb0EEEEDaSS_ST_EUlSS_E0_NS1_11comp_targetILNS1_3genE0ELNS1_11target_archE4294967295ELNS1_3gpuE0ELNS1_3repE0EEENS1_30default_config_static_selectorELNS0_4arch9wavefront6targetE1EEEvT1_,"axG",@progbits,_ZN7rocprim17ROCPRIM_400000_NS6detail17trampoline_kernelINS0_14default_configENS1_20scan_config_selectorIjEEZZNS1_9scan_implILNS1_25lookback_scan_determinismE0ELb1ELb1ES3_N6thrust23THRUST_200600_302600_NS6detail15normal_iteratorINS9_10device_ptrIjEEEENS9_16discard_iteratorINS9_11use_defaultEEEjNS9_4plusIvEEjEEDaPvRmT3_T4_T5_mT6_P12ihipStream_tbENKUlT_T0_E_clISt17integral_constantIbLb1EESW_IbLb0EEEEDaSS_ST_EUlSS_E0_NS1_11comp_targetILNS1_3genE0ELNS1_11target_archE4294967295ELNS1_3gpuE0ELNS1_3repE0EEENS1_30default_config_static_selectorELNS0_4arch9wavefront6targetE1EEEvT1_,comdat
	.protected	_ZN7rocprim17ROCPRIM_400000_NS6detail17trampoline_kernelINS0_14default_configENS1_20scan_config_selectorIjEEZZNS1_9scan_implILNS1_25lookback_scan_determinismE0ELb1ELb1ES3_N6thrust23THRUST_200600_302600_NS6detail15normal_iteratorINS9_10device_ptrIjEEEENS9_16discard_iteratorINS9_11use_defaultEEEjNS9_4plusIvEEjEEDaPvRmT3_T4_T5_mT6_P12ihipStream_tbENKUlT_T0_E_clISt17integral_constantIbLb1EESW_IbLb0EEEEDaSS_ST_EUlSS_E0_NS1_11comp_targetILNS1_3genE0ELNS1_11target_archE4294967295ELNS1_3gpuE0ELNS1_3repE0EEENS1_30default_config_static_selectorELNS0_4arch9wavefront6targetE1EEEvT1_ ; -- Begin function _ZN7rocprim17ROCPRIM_400000_NS6detail17trampoline_kernelINS0_14default_configENS1_20scan_config_selectorIjEEZZNS1_9scan_implILNS1_25lookback_scan_determinismE0ELb1ELb1ES3_N6thrust23THRUST_200600_302600_NS6detail15normal_iteratorINS9_10device_ptrIjEEEENS9_16discard_iteratorINS9_11use_defaultEEEjNS9_4plusIvEEjEEDaPvRmT3_T4_T5_mT6_P12ihipStream_tbENKUlT_T0_E_clISt17integral_constantIbLb1EESW_IbLb0EEEEDaSS_ST_EUlSS_E0_NS1_11comp_targetILNS1_3genE0ELNS1_11target_archE4294967295ELNS1_3gpuE0ELNS1_3repE0EEENS1_30default_config_static_selectorELNS0_4arch9wavefront6targetE1EEEvT1_
	.globl	_ZN7rocprim17ROCPRIM_400000_NS6detail17trampoline_kernelINS0_14default_configENS1_20scan_config_selectorIjEEZZNS1_9scan_implILNS1_25lookback_scan_determinismE0ELb1ELb1ES3_N6thrust23THRUST_200600_302600_NS6detail15normal_iteratorINS9_10device_ptrIjEEEENS9_16discard_iteratorINS9_11use_defaultEEEjNS9_4plusIvEEjEEDaPvRmT3_T4_T5_mT6_P12ihipStream_tbENKUlT_T0_E_clISt17integral_constantIbLb1EESW_IbLb0EEEEDaSS_ST_EUlSS_E0_NS1_11comp_targetILNS1_3genE0ELNS1_11target_archE4294967295ELNS1_3gpuE0ELNS1_3repE0EEENS1_30default_config_static_selectorELNS0_4arch9wavefront6targetE1EEEvT1_
	.p2align	8
	.type	_ZN7rocprim17ROCPRIM_400000_NS6detail17trampoline_kernelINS0_14default_configENS1_20scan_config_selectorIjEEZZNS1_9scan_implILNS1_25lookback_scan_determinismE0ELb1ELb1ES3_N6thrust23THRUST_200600_302600_NS6detail15normal_iteratorINS9_10device_ptrIjEEEENS9_16discard_iteratorINS9_11use_defaultEEEjNS9_4plusIvEEjEEDaPvRmT3_T4_T5_mT6_P12ihipStream_tbENKUlT_T0_E_clISt17integral_constantIbLb1EESW_IbLb0EEEEDaSS_ST_EUlSS_E0_NS1_11comp_targetILNS1_3genE0ELNS1_11target_archE4294967295ELNS1_3gpuE0ELNS1_3repE0EEENS1_30default_config_static_selectorELNS0_4arch9wavefront6targetE1EEEvT1_,@function
_ZN7rocprim17ROCPRIM_400000_NS6detail17trampoline_kernelINS0_14default_configENS1_20scan_config_selectorIjEEZZNS1_9scan_implILNS1_25lookback_scan_determinismE0ELb1ELb1ES3_N6thrust23THRUST_200600_302600_NS6detail15normal_iteratorINS9_10device_ptrIjEEEENS9_16discard_iteratorINS9_11use_defaultEEEjNS9_4plusIvEEjEEDaPvRmT3_T4_T5_mT6_P12ihipStream_tbENKUlT_T0_E_clISt17integral_constantIbLb1EESW_IbLb0EEEEDaSS_ST_EUlSS_E0_NS1_11comp_targetILNS1_3genE0ELNS1_11target_archE4294967295ELNS1_3gpuE0ELNS1_3repE0EEENS1_30default_config_static_selectorELNS0_4arch9wavefront6targetE1EEEvT1_: ; @_ZN7rocprim17ROCPRIM_400000_NS6detail17trampoline_kernelINS0_14default_configENS1_20scan_config_selectorIjEEZZNS1_9scan_implILNS1_25lookback_scan_determinismE0ELb1ELb1ES3_N6thrust23THRUST_200600_302600_NS6detail15normal_iteratorINS9_10device_ptrIjEEEENS9_16discard_iteratorINS9_11use_defaultEEEjNS9_4plusIvEEjEEDaPvRmT3_T4_T5_mT6_P12ihipStream_tbENKUlT_T0_E_clISt17integral_constantIbLb1EESW_IbLb0EEEEDaSS_ST_EUlSS_E0_NS1_11comp_targetILNS1_3genE0ELNS1_11target_archE4294967295ELNS1_3gpuE0ELNS1_3repE0EEENS1_30default_config_static_selectorELNS0_4arch9wavefront6targetE1EEEvT1_
; %bb.0:
	.section	.rodata,"a",@progbits
	.p2align	6, 0x0
	.amdhsa_kernel _ZN7rocprim17ROCPRIM_400000_NS6detail17trampoline_kernelINS0_14default_configENS1_20scan_config_selectorIjEEZZNS1_9scan_implILNS1_25lookback_scan_determinismE0ELb1ELb1ES3_N6thrust23THRUST_200600_302600_NS6detail15normal_iteratorINS9_10device_ptrIjEEEENS9_16discard_iteratorINS9_11use_defaultEEEjNS9_4plusIvEEjEEDaPvRmT3_T4_T5_mT6_P12ihipStream_tbENKUlT_T0_E_clISt17integral_constantIbLb1EESW_IbLb0EEEEDaSS_ST_EUlSS_E0_NS1_11comp_targetILNS1_3genE0ELNS1_11target_archE4294967295ELNS1_3gpuE0ELNS1_3repE0EEENS1_30default_config_static_selectorELNS0_4arch9wavefront6targetE1EEEvT1_
		.amdhsa_group_segment_fixed_size 0
		.amdhsa_private_segment_fixed_size 0
		.amdhsa_kernarg_size 40
		.amdhsa_user_sgpr_count 6
		.amdhsa_user_sgpr_private_segment_buffer 1
		.amdhsa_user_sgpr_dispatch_ptr 0
		.amdhsa_user_sgpr_queue_ptr 0
		.amdhsa_user_sgpr_kernarg_segment_ptr 1
		.amdhsa_user_sgpr_dispatch_id 0
		.amdhsa_user_sgpr_flat_scratch_init 0
		.amdhsa_user_sgpr_kernarg_preload_length 0
		.amdhsa_user_sgpr_kernarg_preload_offset 0
		.amdhsa_user_sgpr_private_segment_size 0
		.amdhsa_uses_dynamic_stack 0
		.amdhsa_system_sgpr_private_segment_wavefront_offset 0
		.amdhsa_system_sgpr_workgroup_id_x 1
		.amdhsa_system_sgpr_workgroup_id_y 0
		.amdhsa_system_sgpr_workgroup_id_z 0
		.amdhsa_system_sgpr_workgroup_info 0
		.amdhsa_system_vgpr_workitem_id 0
		.amdhsa_next_free_vgpr 1
		.amdhsa_next_free_sgpr 0
		.amdhsa_accum_offset 4
		.amdhsa_reserve_vcc 0
		.amdhsa_reserve_flat_scratch 0
		.amdhsa_float_round_mode_32 0
		.amdhsa_float_round_mode_16_64 0
		.amdhsa_float_denorm_mode_32 3
		.amdhsa_float_denorm_mode_16_64 3
		.amdhsa_dx10_clamp 1
		.amdhsa_ieee_mode 1
		.amdhsa_fp16_overflow 0
		.amdhsa_tg_split 0
		.amdhsa_exception_fp_ieee_invalid_op 0
		.amdhsa_exception_fp_denorm_src 0
		.amdhsa_exception_fp_ieee_div_zero 0
		.amdhsa_exception_fp_ieee_overflow 0
		.amdhsa_exception_fp_ieee_underflow 0
		.amdhsa_exception_fp_ieee_inexact 0
		.amdhsa_exception_int_div_zero 0
	.end_amdhsa_kernel
	.section	.text._ZN7rocprim17ROCPRIM_400000_NS6detail17trampoline_kernelINS0_14default_configENS1_20scan_config_selectorIjEEZZNS1_9scan_implILNS1_25lookback_scan_determinismE0ELb1ELb1ES3_N6thrust23THRUST_200600_302600_NS6detail15normal_iteratorINS9_10device_ptrIjEEEENS9_16discard_iteratorINS9_11use_defaultEEEjNS9_4plusIvEEjEEDaPvRmT3_T4_T5_mT6_P12ihipStream_tbENKUlT_T0_E_clISt17integral_constantIbLb1EESW_IbLb0EEEEDaSS_ST_EUlSS_E0_NS1_11comp_targetILNS1_3genE0ELNS1_11target_archE4294967295ELNS1_3gpuE0ELNS1_3repE0EEENS1_30default_config_static_selectorELNS0_4arch9wavefront6targetE1EEEvT1_,"axG",@progbits,_ZN7rocprim17ROCPRIM_400000_NS6detail17trampoline_kernelINS0_14default_configENS1_20scan_config_selectorIjEEZZNS1_9scan_implILNS1_25lookback_scan_determinismE0ELb1ELb1ES3_N6thrust23THRUST_200600_302600_NS6detail15normal_iteratorINS9_10device_ptrIjEEEENS9_16discard_iteratorINS9_11use_defaultEEEjNS9_4plusIvEEjEEDaPvRmT3_T4_T5_mT6_P12ihipStream_tbENKUlT_T0_E_clISt17integral_constantIbLb1EESW_IbLb0EEEEDaSS_ST_EUlSS_E0_NS1_11comp_targetILNS1_3genE0ELNS1_11target_archE4294967295ELNS1_3gpuE0ELNS1_3repE0EEENS1_30default_config_static_selectorELNS0_4arch9wavefront6targetE1EEEvT1_,comdat
.Lfunc_end5411:
	.size	_ZN7rocprim17ROCPRIM_400000_NS6detail17trampoline_kernelINS0_14default_configENS1_20scan_config_selectorIjEEZZNS1_9scan_implILNS1_25lookback_scan_determinismE0ELb1ELb1ES3_N6thrust23THRUST_200600_302600_NS6detail15normal_iteratorINS9_10device_ptrIjEEEENS9_16discard_iteratorINS9_11use_defaultEEEjNS9_4plusIvEEjEEDaPvRmT3_T4_T5_mT6_P12ihipStream_tbENKUlT_T0_E_clISt17integral_constantIbLb1EESW_IbLb0EEEEDaSS_ST_EUlSS_E0_NS1_11comp_targetILNS1_3genE0ELNS1_11target_archE4294967295ELNS1_3gpuE0ELNS1_3repE0EEENS1_30default_config_static_selectorELNS0_4arch9wavefront6targetE1EEEvT1_, .Lfunc_end5411-_ZN7rocprim17ROCPRIM_400000_NS6detail17trampoline_kernelINS0_14default_configENS1_20scan_config_selectorIjEEZZNS1_9scan_implILNS1_25lookback_scan_determinismE0ELb1ELb1ES3_N6thrust23THRUST_200600_302600_NS6detail15normal_iteratorINS9_10device_ptrIjEEEENS9_16discard_iteratorINS9_11use_defaultEEEjNS9_4plusIvEEjEEDaPvRmT3_T4_T5_mT6_P12ihipStream_tbENKUlT_T0_E_clISt17integral_constantIbLb1EESW_IbLb0EEEEDaSS_ST_EUlSS_E0_NS1_11comp_targetILNS1_3genE0ELNS1_11target_archE4294967295ELNS1_3gpuE0ELNS1_3repE0EEENS1_30default_config_static_selectorELNS0_4arch9wavefront6targetE1EEEvT1_
                                        ; -- End function
	.section	.AMDGPU.csdata,"",@progbits
; Kernel info:
; codeLenInByte = 0
; NumSgprs: 4
; NumVgprs: 0
; NumAgprs: 0
; TotalNumVgprs: 0
; ScratchSize: 0
; MemoryBound: 0
; FloatMode: 240
; IeeeMode: 1
; LDSByteSize: 0 bytes/workgroup (compile time only)
; SGPRBlocks: 0
; VGPRBlocks: 0
; NumSGPRsForWavesPerEU: 4
; NumVGPRsForWavesPerEU: 1
; AccumOffset: 4
; Occupancy: 8
; WaveLimiterHint : 0
; COMPUTE_PGM_RSRC2:SCRATCH_EN: 0
; COMPUTE_PGM_RSRC2:USER_SGPR: 6
; COMPUTE_PGM_RSRC2:TRAP_HANDLER: 0
; COMPUTE_PGM_RSRC2:TGID_X_EN: 1
; COMPUTE_PGM_RSRC2:TGID_Y_EN: 0
; COMPUTE_PGM_RSRC2:TGID_Z_EN: 0
; COMPUTE_PGM_RSRC2:TIDIG_COMP_CNT: 0
; COMPUTE_PGM_RSRC3_GFX90A:ACCUM_OFFSET: 0
; COMPUTE_PGM_RSRC3_GFX90A:TG_SPLIT: 0
	.section	.text._ZN7rocprim17ROCPRIM_400000_NS6detail17trampoline_kernelINS0_14default_configENS1_20scan_config_selectorIjEEZZNS1_9scan_implILNS1_25lookback_scan_determinismE0ELb1ELb1ES3_N6thrust23THRUST_200600_302600_NS6detail15normal_iteratorINS9_10device_ptrIjEEEENS9_16discard_iteratorINS9_11use_defaultEEEjNS9_4plusIvEEjEEDaPvRmT3_T4_T5_mT6_P12ihipStream_tbENKUlT_T0_E_clISt17integral_constantIbLb1EESW_IbLb0EEEEDaSS_ST_EUlSS_E0_NS1_11comp_targetILNS1_3genE5ELNS1_11target_archE942ELNS1_3gpuE9ELNS1_3repE0EEENS1_30default_config_static_selectorELNS0_4arch9wavefront6targetE1EEEvT1_,"axG",@progbits,_ZN7rocprim17ROCPRIM_400000_NS6detail17trampoline_kernelINS0_14default_configENS1_20scan_config_selectorIjEEZZNS1_9scan_implILNS1_25lookback_scan_determinismE0ELb1ELb1ES3_N6thrust23THRUST_200600_302600_NS6detail15normal_iteratorINS9_10device_ptrIjEEEENS9_16discard_iteratorINS9_11use_defaultEEEjNS9_4plusIvEEjEEDaPvRmT3_T4_T5_mT6_P12ihipStream_tbENKUlT_T0_E_clISt17integral_constantIbLb1EESW_IbLb0EEEEDaSS_ST_EUlSS_E0_NS1_11comp_targetILNS1_3genE5ELNS1_11target_archE942ELNS1_3gpuE9ELNS1_3repE0EEENS1_30default_config_static_selectorELNS0_4arch9wavefront6targetE1EEEvT1_,comdat
	.protected	_ZN7rocprim17ROCPRIM_400000_NS6detail17trampoline_kernelINS0_14default_configENS1_20scan_config_selectorIjEEZZNS1_9scan_implILNS1_25lookback_scan_determinismE0ELb1ELb1ES3_N6thrust23THRUST_200600_302600_NS6detail15normal_iteratorINS9_10device_ptrIjEEEENS9_16discard_iteratorINS9_11use_defaultEEEjNS9_4plusIvEEjEEDaPvRmT3_T4_T5_mT6_P12ihipStream_tbENKUlT_T0_E_clISt17integral_constantIbLb1EESW_IbLb0EEEEDaSS_ST_EUlSS_E0_NS1_11comp_targetILNS1_3genE5ELNS1_11target_archE942ELNS1_3gpuE9ELNS1_3repE0EEENS1_30default_config_static_selectorELNS0_4arch9wavefront6targetE1EEEvT1_ ; -- Begin function _ZN7rocprim17ROCPRIM_400000_NS6detail17trampoline_kernelINS0_14default_configENS1_20scan_config_selectorIjEEZZNS1_9scan_implILNS1_25lookback_scan_determinismE0ELb1ELb1ES3_N6thrust23THRUST_200600_302600_NS6detail15normal_iteratorINS9_10device_ptrIjEEEENS9_16discard_iteratorINS9_11use_defaultEEEjNS9_4plusIvEEjEEDaPvRmT3_T4_T5_mT6_P12ihipStream_tbENKUlT_T0_E_clISt17integral_constantIbLb1EESW_IbLb0EEEEDaSS_ST_EUlSS_E0_NS1_11comp_targetILNS1_3genE5ELNS1_11target_archE942ELNS1_3gpuE9ELNS1_3repE0EEENS1_30default_config_static_selectorELNS0_4arch9wavefront6targetE1EEEvT1_
	.globl	_ZN7rocprim17ROCPRIM_400000_NS6detail17trampoline_kernelINS0_14default_configENS1_20scan_config_selectorIjEEZZNS1_9scan_implILNS1_25lookback_scan_determinismE0ELb1ELb1ES3_N6thrust23THRUST_200600_302600_NS6detail15normal_iteratorINS9_10device_ptrIjEEEENS9_16discard_iteratorINS9_11use_defaultEEEjNS9_4plusIvEEjEEDaPvRmT3_T4_T5_mT6_P12ihipStream_tbENKUlT_T0_E_clISt17integral_constantIbLb1EESW_IbLb0EEEEDaSS_ST_EUlSS_E0_NS1_11comp_targetILNS1_3genE5ELNS1_11target_archE942ELNS1_3gpuE9ELNS1_3repE0EEENS1_30default_config_static_selectorELNS0_4arch9wavefront6targetE1EEEvT1_
	.p2align	8
	.type	_ZN7rocprim17ROCPRIM_400000_NS6detail17trampoline_kernelINS0_14default_configENS1_20scan_config_selectorIjEEZZNS1_9scan_implILNS1_25lookback_scan_determinismE0ELb1ELb1ES3_N6thrust23THRUST_200600_302600_NS6detail15normal_iteratorINS9_10device_ptrIjEEEENS9_16discard_iteratorINS9_11use_defaultEEEjNS9_4plusIvEEjEEDaPvRmT3_T4_T5_mT6_P12ihipStream_tbENKUlT_T0_E_clISt17integral_constantIbLb1EESW_IbLb0EEEEDaSS_ST_EUlSS_E0_NS1_11comp_targetILNS1_3genE5ELNS1_11target_archE942ELNS1_3gpuE9ELNS1_3repE0EEENS1_30default_config_static_selectorELNS0_4arch9wavefront6targetE1EEEvT1_,@function
_ZN7rocprim17ROCPRIM_400000_NS6detail17trampoline_kernelINS0_14default_configENS1_20scan_config_selectorIjEEZZNS1_9scan_implILNS1_25lookback_scan_determinismE0ELb1ELb1ES3_N6thrust23THRUST_200600_302600_NS6detail15normal_iteratorINS9_10device_ptrIjEEEENS9_16discard_iteratorINS9_11use_defaultEEEjNS9_4plusIvEEjEEDaPvRmT3_T4_T5_mT6_P12ihipStream_tbENKUlT_T0_E_clISt17integral_constantIbLb1EESW_IbLb0EEEEDaSS_ST_EUlSS_E0_NS1_11comp_targetILNS1_3genE5ELNS1_11target_archE942ELNS1_3gpuE9ELNS1_3repE0EEENS1_30default_config_static_selectorELNS0_4arch9wavefront6targetE1EEEvT1_: ; @_ZN7rocprim17ROCPRIM_400000_NS6detail17trampoline_kernelINS0_14default_configENS1_20scan_config_selectorIjEEZZNS1_9scan_implILNS1_25lookback_scan_determinismE0ELb1ELb1ES3_N6thrust23THRUST_200600_302600_NS6detail15normal_iteratorINS9_10device_ptrIjEEEENS9_16discard_iteratorINS9_11use_defaultEEEjNS9_4plusIvEEjEEDaPvRmT3_T4_T5_mT6_P12ihipStream_tbENKUlT_T0_E_clISt17integral_constantIbLb1EESW_IbLb0EEEEDaSS_ST_EUlSS_E0_NS1_11comp_targetILNS1_3genE5ELNS1_11target_archE942ELNS1_3gpuE9ELNS1_3repE0EEENS1_30default_config_static_selectorELNS0_4arch9wavefront6targetE1EEEvT1_
; %bb.0:
	.section	.rodata,"a",@progbits
	.p2align	6, 0x0
	.amdhsa_kernel _ZN7rocprim17ROCPRIM_400000_NS6detail17trampoline_kernelINS0_14default_configENS1_20scan_config_selectorIjEEZZNS1_9scan_implILNS1_25lookback_scan_determinismE0ELb1ELb1ES3_N6thrust23THRUST_200600_302600_NS6detail15normal_iteratorINS9_10device_ptrIjEEEENS9_16discard_iteratorINS9_11use_defaultEEEjNS9_4plusIvEEjEEDaPvRmT3_T4_T5_mT6_P12ihipStream_tbENKUlT_T0_E_clISt17integral_constantIbLb1EESW_IbLb0EEEEDaSS_ST_EUlSS_E0_NS1_11comp_targetILNS1_3genE5ELNS1_11target_archE942ELNS1_3gpuE9ELNS1_3repE0EEENS1_30default_config_static_selectorELNS0_4arch9wavefront6targetE1EEEvT1_
		.amdhsa_group_segment_fixed_size 0
		.amdhsa_private_segment_fixed_size 0
		.amdhsa_kernarg_size 40
		.amdhsa_user_sgpr_count 6
		.amdhsa_user_sgpr_private_segment_buffer 1
		.amdhsa_user_sgpr_dispatch_ptr 0
		.amdhsa_user_sgpr_queue_ptr 0
		.amdhsa_user_sgpr_kernarg_segment_ptr 1
		.amdhsa_user_sgpr_dispatch_id 0
		.amdhsa_user_sgpr_flat_scratch_init 0
		.amdhsa_user_sgpr_kernarg_preload_length 0
		.amdhsa_user_sgpr_kernarg_preload_offset 0
		.amdhsa_user_sgpr_private_segment_size 0
		.amdhsa_uses_dynamic_stack 0
		.amdhsa_system_sgpr_private_segment_wavefront_offset 0
		.amdhsa_system_sgpr_workgroup_id_x 1
		.amdhsa_system_sgpr_workgroup_id_y 0
		.amdhsa_system_sgpr_workgroup_id_z 0
		.amdhsa_system_sgpr_workgroup_info 0
		.amdhsa_system_vgpr_workitem_id 0
		.amdhsa_next_free_vgpr 1
		.amdhsa_next_free_sgpr 0
		.amdhsa_accum_offset 4
		.amdhsa_reserve_vcc 0
		.amdhsa_reserve_flat_scratch 0
		.amdhsa_float_round_mode_32 0
		.amdhsa_float_round_mode_16_64 0
		.amdhsa_float_denorm_mode_32 3
		.amdhsa_float_denorm_mode_16_64 3
		.amdhsa_dx10_clamp 1
		.amdhsa_ieee_mode 1
		.amdhsa_fp16_overflow 0
		.amdhsa_tg_split 0
		.amdhsa_exception_fp_ieee_invalid_op 0
		.amdhsa_exception_fp_denorm_src 0
		.amdhsa_exception_fp_ieee_div_zero 0
		.amdhsa_exception_fp_ieee_overflow 0
		.amdhsa_exception_fp_ieee_underflow 0
		.amdhsa_exception_fp_ieee_inexact 0
		.amdhsa_exception_int_div_zero 0
	.end_amdhsa_kernel
	.section	.text._ZN7rocprim17ROCPRIM_400000_NS6detail17trampoline_kernelINS0_14default_configENS1_20scan_config_selectorIjEEZZNS1_9scan_implILNS1_25lookback_scan_determinismE0ELb1ELb1ES3_N6thrust23THRUST_200600_302600_NS6detail15normal_iteratorINS9_10device_ptrIjEEEENS9_16discard_iteratorINS9_11use_defaultEEEjNS9_4plusIvEEjEEDaPvRmT3_T4_T5_mT6_P12ihipStream_tbENKUlT_T0_E_clISt17integral_constantIbLb1EESW_IbLb0EEEEDaSS_ST_EUlSS_E0_NS1_11comp_targetILNS1_3genE5ELNS1_11target_archE942ELNS1_3gpuE9ELNS1_3repE0EEENS1_30default_config_static_selectorELNS0_4arch9wavefront6targetE1EEEvT1_,"axG",@progbits,_ZN7rocprim17ROCPRIM_400000_NS6detail17trampoline_kernelINS0_14default_configENS1_20scan_config_selectorIjEEZZNS1_9scan_implILNS1_25lookback_scan_determinismE0ELb1ELb1ES3_N6thrust23THRUST_200600_302600_NS6detail15normal_iteratorINS9_10device_ptrIjEEEENS9_16discard_iteratorINS9_11use_defaultEEEjNS9_4plusIvEEjEEDaPvRmT3_T4_T5_mT6_P12ihipStream_tbENKUlT_T0_E_clISt17integral_constantIbLb1EESW_IbLb0EEEEDaSS_ST_EUlSS_E0_NS1_11comp_targetILNS1_3genE5ELNS1_11target_archE942ELNS1_3gpuE9ELNS1_3repE0EEENS1_30default_config_static_selectorELNS0_4arch9wavefront6targetE1EEEvT1_,comdat
.Lfunc_end5412:
	.size	_ZN7rocprim17ROCPRIM_400000_NS6detail17trampoline_kernelINS0_14default_configENS1_20scan_config_selectorIjEEZZNS1_9scan_implILNS1_25lookback_scan_determinismE0ELb1ELb1ES3_N6thrust23THRUST_200600_302600_NS6detail15normal_iteratorINS9_10device_ptrIjEEEENS9_16discard_iteratorINS9_11use_defaultEEEjNS9_4plusIvEEjEEDaPvRmT3_T4_T5_mT6_P12ihipStream_tbENKUlT_T0_E_clISt17integral_constantIbLb1EESW_IbLb0EEEEDaSS_ST_EUlSS_E0_NS1_11comp_targetILNS1_3genE5ELNS1_11target_archE942ELNS1_3gpuE9ELNS1_3repE0EEENS1_30default_config_static_selectorELNS0_4arch9wavefront6targetE1EEEvT1_, .Lfunc_end5412-_ZN7rocprim17ROCPRIM_400000_NS6detail17trampoline_kernelINS0_14default_configENS1_20scan_config_selectorIjEEZZNS1_9scan_implILNS1_25lookback_scan_determinismE0ELb1ELb1ES3_N6thrust23THRUST_200600_302600_NS6detail15normal_iteratorINS9_10device_ptrIjEEEENS9_16discard_iteratorINS9_11use_defaultEEEjNS9_4plusIvEEjEEDaPvRmT3_T4_T5_mT6_P12ihipStream_tbENKUlT_T0_E_clISt17integral_constantIbLb1EESW_IbLb0EEEEDaSS_ST_EUlSS_E0_NS1_11comp_targetILNS1_3genE5ELNS1_11target_archE942ELNS1_3gpuE9ELNS1_3repE0EEENS1_30default_config_static_selectorELNS0_4arch9wavefront6targetE1EEEvT1_
                                        ; -- End function
	.section	.AMDGPU.csdata,"",@progbits
; Kernel info:
; codeLenInByte = 0
; NumSgprs: 4
; NumVgprs: 0
; NumAgprs: 0
; TotalNumVgprs: 0
; ScratchSize: 0
; MemoryBound: 0
; FloatMode: 240
; IeeeMode: 1
; LDSByteSize: 0 bytes/workgroup (compile time only)
; SGPRBlocks: 0
; VGPRBlocks: 0
; NumSGPRsForWavesPerEU: 4
; NumVGPRsForWavesPerEU: 1
; AccumOffset: 4
; Occupancy: 8
; WaveLimiterHint : 0
; COMPUTE_PGM_RSRC2:SCRATCH_EN: 0
; COMPUTE_PGM_RSRC2:USER_SGPR: 6
; COMPUTE_PGM_RSRC2:TRAP_HANDLER: 0
; COMPUTE_PGM_RSRC2:TGID_X_EN: 1
; COMPUTE_PGM_RSRC2:TGID_Y_EN: 0
; COMPUTE_PGM_RSRC2:TGID_Z_EN: 0
; COMPUTE_PGM_RSRC2:TIDIG_COMP_CNT: 0
; COMPUTE_PGM_RSRC3_GFX90A:ACCUM_OFFSET: 0
; COMPUTE_PGM_RSRC3_GFX90A:TG_SPLIT: 0
	.section	.text._ZN7rocprim17ROCPRIM_400000_NS6detail17trampoline_kernelINS0_14default_configENS1_20scan_config_selectorIjEEZZNS1_9scan_implILNS1_25lookback_scan_determinismE0ELb1ELb1ES3_N6thrust23THRUST_200600_302600_NS6detail15normal_iteratorINS9_10device_ptrIjEEEENS9_16discard_iteratorINS9_11use_defaultEEEjNS9_4plusIvEEjEEDaPvRmT3_T4_T5_mT6_P12ihipStream_tbENKUlT_T0_E_clISt17integral_constantIbLb1EESW_IbLb0EEEEDaSS_ST_EUlSS_E0_NS1_11comp_targetILNS1_3genE4ELNS1_11target_archE910ELNS1_3gpuE8ELNS1_3repE0EEENS1_30default_config_static_selectorELNS0_4arch9wavefront6targetE1EEEvT1_,"axG",@progbits,_ZN7rocprim17ROCPRIM_400000_NS6detail17trampoline_kernelINS0_14default_configENS1_20scan_config_selectorIjEEZZNS1_9scan_implILNS1_25lookback_scan_determinismE0ELb1ELb1ES3_N6thrust23THRUST_200600_302600_NS6detail15normal_iteratorINS9_10device_ptrIjEEEENS9_16discard_iteratorINS9_11use_defaultEEEjNS9_4plusIvEEjEEDaPvRmT3_T4_T5_mT6_P12ihipStream_tbENKUlT_T0_E_clISt17integral_constantIbLb1EESW_IbLb0EEEEDaSS_ST_EUlSS_E0_NS1_11comp_targetILNS1_3genE4ELNS1_11target_archE910ELNS1_3gpuE8ELNS1_3repE0EEENS1_30default_config_static_selectorELNS0_4arch9wavefront6targetE1EEEvT1_,comdat
	.protected	_ZN7rocprim17ROCPRIM_400000_NS6detail17trampoline_kernelINS0_14default_configENS1_20scan_config_selectorIjEEZZNS1_9scan_implILNS1_25lookback_scan_determinismE0ELb1ELb1ES3_N6thrust23THRUST_200600_302600_NS6detail15normal_iteratorINS9_10device_ptrIjEEEENS9_16discard_iteratorINS9_11use_defaultEEEjNS9_4plusIvEEjEEDaPvRmT3_T4_T5_mT6_P12ihipStream_tbENKUlT_T0_E_clISt17integral_constantIbLb1EESW_IbLb0EEEEDaSS_ST_EUlSS_E0_NS1_11comp_targetILNS1_3genE4ELNS1_11target_archE910ELNS1_3gpuE8ELNS1_3repE0EEENS1_30default_config_static_selectorELNS0_4arch9wavefront6targetE1EEEvT1_ ; -- Begin function _ZN7rocprim17ROCPRIM_400000_NS6detail17trampoline_kernelINS0_14default_configENS1_20scan_config_selectorIjEEZZNS1_9scan_implILNS1_25lookback_scan_determinismE0ELb1ELb1ES3_N6thrust23THRUST_200600_302600_NS6detail15normal_iteratorINS9_10device_ptrIjEEEENS9_16discard_iteratorINS9_11use_defaultEEEjNS9_4plusIvEEjEEDaPvRmT3_T4_T5_mT6_P12ihipStream_tbENKUlT_T0_E_clISt17integral_constantIbLb1EESW_IbLb0EEEEDaSS_ST_EUlSS_E0_NS1_11comp_targetILNS1_3genE4ELNS1_11target_archE910ELNS1_3gpuE8ELNS1_3repE0EEENS1_30default_config_static_selectorELNS0_4arch9wavefront6targetE1EEEvT1_
	.globl	_ZN7rocprim17ROCPRIM_400000_NS6detail17trampoline_kernelINS0_14default_configENS1_20scan_config_selectorIjEEZZNS1_9scan_implILNS1_25lookback_scan_determinismE0ELb1ELb1ES3_N6thrust23THRUST_200600_302600_NS6detail15normal_iteratorINS9_10device_ptrIjEEEENS9_16discard_iteratorINS9_11use_defaultEEEjNS9_4plusIvEEjEEDaPvRmT3_T4_T5_mT6_P12ihipStream_tbENKUlT_T0_E_clISt17integral_constantIbLb1EESW_IbLb0EEEEDaSS_ST_EUlSS_E0_NS1_11comp_targetILNS1_3genE4ELNS1_11target_archE910ELNS1_3gpuE8ELNS1_3repE0EEENS1_30default_config_static_selectorELNS0_4arch9wavefront6targetE1EEEvT1_
	.p2align	8
	.type	_ZN7rocprim17ROCPRIM_400000_NS6detail17trampoline_kernelINS0_14default_configENS1_20scan_config_selectorIjEEZZNS1_9scan_implILNS1_25lookback_scan_determinismE0ELb1ELb1ES3_N6thrust23THRUST_200600_302600_NS6detail15normal_iteratorINS9_10device_ptrIjEEEENS9_16discard_iteratorINS9_11use_defaultEEEjNS9_4plusIvEEjEEDaPvRmT3_T4_T5_mT6_P12ihipStream_tbENKUlT_T0_E_clISt17integral_constantIbLb1EESW_IbLb0EEEEDaSS_ST_EUlSS_E0_NS1_11comp_targetILNS1_3genE4ELNS1_11target_archE910ELNS1_3gpuE8ELNS1_3repE0EEENS1_30default_config_static_selectorELNS0_4arch9wavefront6targetE1EEEvT1_,@function
_ZN7rocprim17ROCPRIM_400000_NS6detail17trampoline_kernelINS0_14default_configENS1_20scan_config_selectorIjEEZZNS1_9scan_implILNS1_25lookback_scan_determinismE0ELb1ELb1ES3_N6thrust23THRUST_200600_302600_NS6detail15normal_iteratorINS9_10device_ptrIjEEEENS9_16discard_iteratorINS9_11use_defaultEEEjNS9_4plusIvEEjEEDaPvRmT3_T4_T5_mT6_P12ihipStream_tbENKUlT_T0_E_clISt17integral_constantIbLb1EESW_IbLb0EEEEDaSS_ST_EUlSS_E0_NS1_11comp_targetILNS1_3genE4ELNS1_11target_archE910ELNS1_3gpuE8ELNS1_3repE0EEENS1_30default_config_static_selectorELNS0_4arch9wavefront6targetE1EEEvT1_: ; @_ZN7rocprim17ROCPRIM_400000_NS6detail17trampoline_kernelINS0_14default_configENS1_20scan_config_selectorIjEEZZNS1_9scan_implILNS1_25lookback_scan_determinismE0ELb1ELb1ES3_N6thrust23THRUST_200600_302600_NS6detail15normal_iteratorINS9_10device_ptrIjEEEENS9_16discard_iteratorINS9_11use_defaultEEEjNS9_4plusIvEEjEEDaPvRmT3_T4_T5_mT6_P12ihipStream_tbENKUlT_T0_E_clISt17integral_constantIbLb1EESW_IbLb0EEEEDaSS_ST_EUlSS_E0_NS1_11comp_targetILNS1_3genE4ELNS1_11target_archE910ELNS1_3gpuE8ELNS1_3repE0EEENS1_30default_config_static_selectorELNS0_4arch9wavefront6targetE1EEEvT1_
; %bb.0:
	s_load_dwordx4 s[0:3], s[4:5], 0x0
	v_lshlrev_b32_e32 v1, 2, v0
	s_waitcnt lgkmcnt(0)
	s_load_dword s3, s[0:1], 0x0
	v_cmp_gt_u32_e32 vcc, s2, v0
	s_waitcnt lgkmcnt(0)
	v_mov_b32_e32 v2, s3
	s_and_saveexec_b64 s[6:7], vcc
	s_cbranch_execz .LBB5413_2
; %bb.1:
	global_load_dword v2, v1, s[0:1]
.LBB5413_2:
	s_or_b64 exec, exec, s[6:7]
	v_or_b32_e32 v3, 0x80, v0
	v_cmp_gt_u32_e32 vcc, s2, v3
	v_mov_b32_e32 v3, s3
	s_and_saveexec_b64 s[6:7], vcc
	s_cbranch_execz .LBB5413_4
; %bb.3:
	global_load_dword v3, v1, s[0:1] offset:512
.LBB5413_4:
	s_or_b64 exec, exec, s[6:7]
	v_or_b32_e32 v4, 0x100, v0
	v_cmp_gt_u32_e32 vcc, s2, v4
	v_mov_b32_e32 v4, s3
	s_and_saveexec_b64 s[6:7], vcc
	s_cbranch_execz .LBB5413_6
; %bb.5:
	global_load_dword v4, v1, s[0:1] offset:1024
.LBB5413_6:
	;; [unrolled: 9-line block ×7, first 2 shown]
	s_or_b64 exec, exec, s[6:7]
	v_or_b32_e32 v11, 0x400, v0
	v_cmp_gt_u32_e32 vcc, s2, v11
	v_mov_b32_e32 v10, s3
	s_and_saveexec_b64 s[6:7], vcc
	s_cbranch_execz .LBB5413_18
; %bb.17:
	v_lshlrev_b32_e32 v10, 2, v11
	global_load_dword v10, v10, s[0:1]
.LBB5413_18:
	s_or_b64 exec, exec, s[6:7]
	s_load_dword s4, s[4:5], 0x10
	v_or_b32_e32 v12, 0x480, v0
	v_cmp_gt_u32_e32 vcc, s2, v12
	v_mov_b32_e32 v11, s3
	s_and_saveexec_b64 s[2:3], vcc
	s_cbranch_execz .LBB5413_20
; %bb.19:
	v_lshlrev_b32_e32 v11, 2, v12
	global_load_dword v11, v11, s[0:1]
.LBB5413_20:
	s_or_b64 exec, exec, s[2:3]
	s_waitcnt vmcnt(0)
	ds_write2st64_b32 v1, v2, v3 offset1:2
	ds_write2st64_b32 v1, v4, v5 offset0:4 offset1:6
	ds_write2st64_b32 v1, v6, v7 offset0:8 offset1:10
	;; [unrolled: 1-line block ×4, first 2 shown]
	v_mad_u32_u24 v10, v0, 36, v1
	s_waitcnt lgkmcnt(0)
	s_barrier
	ds_read2_b64 v[6:9], v10 offset1:1
	ds_read2_b64 v[2:5], v10 offset0:2 offset1:3
	ds_read_b64 v[10:11], v10 offset:32
	v_cmp_gt_u32_e32 vcc, 64, v0
	s_waitcnt lgkmcnt(0)
	v_add_u32_e32 v12, v7, v6
	v_add3_u32 v12, v12, v8, v9
	v_add3_u32 v12, v12, v2, v3
	;; [unrolled: 1-line block ×4, first 2 shown]
	v_lshrrev_b32_e32 v12, 3, v0
	v_and_b32_e32 v12, 12, v12
	v_add_u32_e32 v12, v1, v12
	s_barrier
	ds_write_b32 v12, v11
	s_waitcnt lgkmcnt(0)
	s_barrier
	s_and_saveexec_b64 s[0:1], vcc
	s_cbranch_execz .LBB5413_22
; %bb.21:
	v_lshlrev_b32_e32 v12, 1, v0
	v_lshrrev_b32_e32 v13, 4, v0
	v_add_lshl_u32 v14, v13, v12, 2
	ds_read2_b32 v[12:13], v14 offset1:1
	v_mbcnt_lo_u32_b32 v15, -1, 0
	v_mbcnt_hi_u32_b32 v15, -1, v15
	v_and_b32_e32 v16, 15, v15
	v_cmp_ne_u32_e32 vcc, 0, v16
	s_waitcnt lgkmcnt(0)
	v_add_u32_e32 v13, v13, v12
	; wave barrier
	s_nop 1
	v_mov_b32_dpp v17, v13 row_shr:1 row_mask:0xf bank_mask:0xf
	v_cndmask_b32_e32 v17, 0, v17, vcc
	v_add_u32_e32 v13, v17, v13
	v_cmp_lt_u32_e32 vcc, 1, v16
	s_nop 0
	v_mov_b32_dpp v17, v13 row_shr:2 row_mask:0xf bank_mask:0xf
	v_cndmask_b32_e32 v17, 0, v17, vcc
	v_add_u32_e32 v13, v13, v17
	v_cmp_lt_u32_e32 vcc, 3, v16
	;; [unrolled: 5-line block ×3, first 2 shown]
	s_nop 0
	v_mov_b32_dpp v17, v13 row_shr:8 row_mask:0xf bank_mask:0xf
	v_cndmask_b32_e32 v16, 0, v17, vcc
	v_add_u32_e32 v13, v13, v16
	v_bfe_i32 v17, v15, 4, 1
	v_cmp_lt_u32_e32 vcc, 31, v15
	v_mov_b32_dpp v16, v13 row_bcast:15 row_mask:0xf bank_mask:0xf
	v_and_b32_e32 v16, v17, v16
	v_add_u32_e32 v13, v13, v16
	v_and_b32_e32 v17, 64, v15
	s_nop 0
	v_mov_b32_dpp v16, v13 row_bcast:31 row_mask:0xf bank_mask:0xf
	v_cndmask_b32_e32 v16, 0, v16, vcc
	v_add_u32_e32 v13, v13, v16
	v_add_u32_e32 v16, -1, v15
	v_cmp_lt_i32_e32 vcc, v16, v17
	v_cndmask_b32_e32 v15, v16, v15, vcc
	v_lshlrev_b32_e32 v15, 2, v15
	ds_bpermute_b32 v13, v15, v13
	v_cmp_eq_u32_e32 vcc, 0, v0
	s_waitcnt lgkmcnt(0)
	v_add_u32_e32 v12, v13, v12
	v_cndmask_b32_e32 v11, v12, v11, vcc
	ds_write_b32 v14, v11
	; wave barrier
	ds_read_b32 v12, v14 offset:4
	s_waitcnt lgkmcnt(0)
	v_add_u32_e32 v11, v12, v11
	ds_write_b32 v14, v11 offset:4
.LBB5413_22:
	s_or_b64 exec, exec, s[0:1]
	v_mul_u32_u24_e32 v11, 36, v0
	v_cmp_ne_u32_e32 vcc, 0, v0
	v_mov_b32_e32 v12, s4
	s_waitcnt lgkmcnt(0)
	s_barrier
	s_and_saveexec_b64 s[0:1], vcc
	s_cbranch_execz .LBB5413_24
; %bb.23:
	v_add_u32_e32 v0, -1, v0
	v_lshrrev_b32_e32 v12, 5, v0
	v_add_lshl_u32 v0, v12, v0, 2
	ds_read_b32 v0, v0
	s_waitcnt lgkmcnt(0)
	v_add_u32_e32 v12, s4, v0
.LBB5413_24:
	s_or_b64 exec, exec, s[0:1]
	v_add_u32_e32 v13, v12, v6
	v_add_u32_e32 v6, v13, v7
	;; [unrolled: 1-line block ×10, first 2 shown]
	s_barrier
	ds_write2_b64 v0, v[12:13], v[6:7] offset1:1
	ds_write2_b64 v0, v[8:9], v[2:3] offset0:2 offset1:3
	ds_write_b64 v0, v[4:5] offset:32
	s_waitcnt lgkmcnt(0)
	s_barrier
	s_endpgm
	.section	.rodata,"a",@progbits
	.p2align	6, 0x0
	.amdhsa_kernel _ZN7rocprim17ROCPRIM_400000_NS6detail17trampoline_kernelINS0_14default_configENS1_20scan_config_selectorIjEEZZNS1_9scan_implILNS1_25lookback_scan_determinismE0ELb1ELb1ES3_N6thrust23THRUST_200600_302600_NS6detail15normal_iteratorINS9_10device_ptrIjEEEENS9_16discard_iteratorINS9_11use_defaultEEEjNS9_4plusIvEEjEEDaPvRmT3_T4_T5_mT6_P12ihipStream_tbENKUlT_T0_E_clISt17integral_constantIbLb1EESW_IbLb0EEEEDaSS_ST_EUlSS_E0_NS1_11comp_targetILNS1_3genE4ELNS1_11target_archE910ELNS1_3gpuE8ELNS1_3repE0EEENS1_30default_config_static_selectorELNS0_4arch9wavefront6targetE1EEEvT1_
		.amdhsa_group_segment_fixed_size 5120
		.amdhsa_private_segment_fixed_size 0
		.amdhsa_kernarg_size 40
		.amdhsa_user_sgpr_count 6
		.amdhsa_user_sgpr_private_segment_buffer 1
		.amdhsa_user_sgpr_dispatch_ptr 0
		.amdhsa_user_sgpr_queue_ptr 0
		.amdhsa_user_sgpr_kernarg_segment_ptr 1
		.amdhsa_user_sgpr_dispatch_id 0
		.amdhsa_user_sgpr_flat_scratch_init 0
		.amdhsa_user_sgpr_kernarg_preload_length 0
		.amdhsa_user_sgpr_kernarg_preload_offset 0
		.amdhsa_user_sgpr_private_segment_size 0
		.amdhsa_uses_dynamic_stack 0
		.amdhsa_system_sgpr_private_segment_wavefront_offset 0
		.amdhsa_system_sgpr_workgroup_id_x 1
		.amdhsa_system_sgpr_workgroup_id_y 0
		.amdhsa_system_sgpr_workgroup_id_z 0
		.amdhsa_system_sgpr_workgroup_info 0
		.amdhsa_system_vgpr_workitem_id 0
		.amdhsa_next_free_vgpr 18
		.amdhsa_next_free_sgpr 8
		.amdhsa_accum_offset 20
		.amdhsa_reserve_vcc 1
		.amdhsa_reserve_flat_scratch 0
		.amdhsa_float_round_mode_32 0
		.amdhsa_float_round_mode_16_64 0
		.amdhsa_float_denorm_mode_32 3
		.amdhsa_float_denorm_mode_16_64 3
		.amdhsa_dx10_clamp 1
		.amdhsa_ieee_mode 1
		.amdhsa_fp16_overflow 0
		.amdhsa_tg_split 0
		.amdhsa_exception_fp_ieee_invalid_op 0
		.amdhsa_exception_fp_denorm_src 0
		.amdhsa_exception_fp_ieee_div_zero 0
		.amdhsa_exception_fp_ieee_overflow 0
		.amdhsa_exception_fp_ieee_underflow 0
		.amdhsa_exception_fp_ieee_inexact 0
		.amdhsa_exception_int_div_zero 0
	.end_amdhsa_kernel
	.section	.text._ZN7rocprim17ROCPRIM_400000_NS6detail17trampoline_kernelINS0_14default_configENS1_20scan_config_selectorIjEEZZNS1_9scan_implILNS1_25lookback_scan_determinismE0ELb1ELb1ES3_N6thrust23THRUST_200600_302600_NS6detail15normal_iteratorINS9_10device_ptrIjEEEENS9_16discard_iteratorINS9_11use_defaultEEEjNS9_4plusIvEEjEEDaPvRmT3_T4_T5_mT6_P12ihipStream_tbENKUlT_T0_E_clISt17integral_constantIbLb1EESW_IbLb0EEEEDaSS_ST_EUlSS_E0_NS1_11comp_targetILNS1_3genE4ELNS1_11target_archE910ELNS1_3gpuE8ELNS1_3repE0EEENS1_30default_config_static_selectorELNS0_4arch9wavefront6targetE1EEEvT1_,"axG",@progbits,_ZN7rocprim17ROCPRIM_400000_NS6detail17trampoline_kernelINS0_14default_configENS1_20scan_config_selectorIjEEZZNS1_9scan_implILNS1_25lookback_scan_determinismE0ELb1ELb1ES3_N6thrust23THRUST_200600_302600_NS6detail15normal_iteratorINS9_10device_ptrIjEEEENS9_16discard_iteratorINS9_11use_defaultEEEjNS9_4plusIvEEjEEDaPvRmT3_T4_T5_mT6_P12ihipStream_tbENKUlT_T0_E_clISt17integral_constantIbLb1EESW_IbLb0EEEEDaSS_ST_EUlSS_E0_NS1_11comp_targetILNS1_3genE4ELNS1_11target_archE910ELNS1_3gpuE8ELNS1_3repE0EEENS1_30default_config_static_selectorELNS0_4arch9wavefront6targetE1EEEvT1_,comdat
.Lfunc_end5413:
	.size	_ZN7rocprim17ROCPRIM_400000_NS6detail17trampoline_kernelINS0_14default_configENS1_20scan_config_selectorIjEEZZNS1_9scan_implILNS1_25lookback_scan_determinismE0ELb1ELb1ES3_N6thrust23THRUST_200600_302600_NS6detail15normal_iteratorINS9_10device_ptrIjEEEENS9_16discard_iteratorINS9_11use_defaultEEEjNS9_4plusIvEEjEEDaPvRmT3_T4_T5_mT6_P12ihipStream_tbENKUlT_T0_E_clISt17integral_constantIbLb1EESW_IbLb0EEEEDaSS_ST_EUlSS_E0_NS1_11comp_targetILNS1_3genE4ELNS1_11target_archE910ELNS1_3gpuE8ELNS1_3repE0EEENS1_30default_config_static_selectorELNS0_4arch9wavefront6targetE1EEEvT1_, .Lfunc_end5413-_ZN7rocprim17ROCPRIM_400000_NS6detail17trampoline_kernelINS0_14default_configENS1_20scan_config_selectorIjEEZZNS1_9scan_implILNS1_25lookback_scan_determinismE0ELb1ELb1ES3_N6thrust23THRUST_200600_302600_NS6detail15normal_iteratorINS9_10device_ptrIjEEEENS9_16discard_iteratorINS9_11use_defaultEEEjNS9_4plusIvEEjEEDaPvRmT3_T4_T5_mT6_P12ihipStream_tbENKUlT_T0_E_clISt17integral_constantIbLb1EESW_IbLb0EEEEDaSS_ST_EUlSS_E0_NS1_11comp_targetILNS1_3genE4ELNS1_11target_archE910ELNS1_3gpuE8ELNS1_3repE0EEENS1_30default_config_static_selectorELNS0_4arch9wavefront6targetE1EEEvT1_
                                        ; -- End function
	.section	.AMDGPU.csdata,"",@progbits
; Kernel info:
; codeLenInByte = 984
; NumSgprs: 12
; NumVgprs: 18
; NumAgprs: 0
; TotalNumVgprs: 18
; ScratchSize: 0
; MemoryBound: 0
; FloatMode: 240
; IeeeMode: 1
; LDSByteSize: 5120 bytes/workgroup (compile time only)
; SGPRBlocks: 1
; VGPRBlocks: 2
; NumSGPRsForWavesPerEU: 12
; NumVGPRsForWavesPerEU: 18
; AccumOffset: 20
; Occupancy: 6
; WaveLimiterHint : 0
; COMPUTE_PGM_RSRC2:SCRATCH_EN: 0
; COMPUTE_PGM_RSRC2:USER_SGPR: 6
; COMPUTE_PGM_RSRC2:TRAP_HANDLER: 0
; COMPUTE_PGM_RSRC2:TGID_X_EN: 1
; COMPUTE_PGM_RSRC2:TGID_Y_EN: 0
; COMPUTE_PGM_RSRC2:TGID_Z_EN: 0
; COMPUTE_PGM_RSRC2:TIDIG_COMP_CNT: 0
; COMPUTE_PGM_RSRC3_GFX90A:ACCUM_OFFSET: 4
; COMPUTE_PGM_RSRC3_GFX90A:TG_SPLIT: 0
	.section	.text._ZN7rocprim17ROCPRIM_400000_NS6detail17trampoline_kernelINS0_14default_configENS1_20scan_config_selectorIjEEZZNS1_9scan_implILNS1_25lookback_scan_determinismE0ELb1ELb1ES3_N6thrust23THRUST_200600_302600_NS6detail15normal_iteratorINS9_10device_ptrIjEEEENS9_16discard_iteratorINS9_11use_defaultEEEjNS9_4plusIvEEjEEDaPvRmT3_T4_T5_mT6_P12ihipStream_tbENKUlT_T0_E_clISt17integral_constantIbLb1EESW_IbLb0EEEEDaSS_ST_EUlSS_E0_NS1_11comp_targetILNS1_3genE3ELNS1_11target_archE908ELNS1_3gpuE7ELNS1_3repE0EEENS1_30default_config_static_selectorELNS0_4arch9wavefront6targetE1EEEvT1_,"axG",@progbits,_ZN7rocprim17ROCPRIM_400000_NS6detail17trampoline_kernelINS0_14default_configENS1_20scan_config_selectorIjEEZZNS1_9scan_implILNS1_25lookback_scan_determinismE0ELb1ELb1ES3_N6thrust23THRUST_200600_302600_NS6detail15normal_iteratorINS9_10device_ptrIjEEEENS9_16discard_iteratorINS9_11use_defaultEEEjNS9_4plusIvEEjEEDaPvRmT3_T4_T5_mT6_P12ihipStream_tbENKUlT_T0_E_clISt17integral_constantIbLb1EESW_IbLb0EEEEDaSS_ST_EUlSS_E0_NS1_11comp_targetILNS1_3genE3ELNS1_11target_archE908ELNS1_3gpuE7ELNS1_3repE0EEENS1_30default_config_static_selectorELNS0_4arch9wavefront6targetE1EEEvT1_,comdat
	.protected	_ZN7rocprim17ROCPRIM_400000_NS6detail17trampoline_kernelINS0_14default_configENS1_20scan_config_selectorIjEEZZNS1_9scan_implILNS1_25lookback_scan_determinismE0ELb1ELb1ES3_N6thrust23THRUST_200600_302600_NS6detail15normal_iteratorINS9_10device_ptrIjEEEENS9_16discard_iteratorINS9_11use_defaultEEEjNS9_4plusIvEEjEEDaPvRmT3_T4_T5_mT6_P12ihipStream_tbENKUlT_T0_E_clISt17integral_constantIbLb1EESW_IbLb0EEEEDaSS_ST_EUlSS_E0_NS1_11comp_targetILNS1_3genE3ELNS1_11target_archE908ELNS1_3gpuE7ELNS1_3repE0EEENS1_30default_config_static_selectorELNS0_4arch9wavefront6targetE1EEEvT1_ ; -- Begin function _ZN7rocprim17ROCPRIM_400000_NS6detail17trampoline_kernelINS0_14default_configENS1_20scan_config_selectorIjEEZZNS1_9scan_implILNS1_25lookback_scan_determinismE0ELb1ELb1ES3_N6thrust23THRUST_200600_302600_NS6detail15normal_iteratorINS9_10device_ptrIjEEEENS9_16discard_iteratorINS9_11use_defaultEEEjNS9_4plusIvEEjEEDaPvRmT3_T4_T5_mT6_P12ihipStream_tbENKUlT_T0_E_clISt17integral_constantIbLb1EESW_IbLb0EEEEDaSS_ST_EUlSS_E0_NS1_11comp_targetILNS1_3genE3ELNS1_11target_archE908ELNS1_3gpuE7ELNS1_3repE0EEENS1_30default_config_static_selectorELNS0_4arch9wavefront6targetE1EEEvT1_
	.globl	_ZN7rocprim17ROCPRIM_400000_NS6detail17trampoline_kernelINS0_14default_configENS1_20scan_config_selectorIjEEZZNS1_9scan_implILNS1_25lookback_scan_determinismE0ELb1ELb1ES3_N6thrust23THRUST_200600_302600_NS6detail15normal_iteratorINS9_10device_ptrIjEEEENS9_16discard_iteratorINS9_11use_defaultEEEjNS9_4plusIvEEjEEDaPvRmT3_T4_T5_mT6_P12ihipStream_tbENKUlT_T0_E_clISt17integral_constantIbLb1EESW_IbLb0EEEEDaSS_ST_EUlSS_E0_NS1_11comp_targetILNS1_3genE3ELNS1_11target_archE908ELNS1_3gpuE7ELNS1_3repE0EEENS1_30default_config_static_selectorELNS0_4arch9wavefront6targetE1EEEvT1_
	.p2align	8
	.type	_ZN7rocprim17ROCPRIM_400000_NS6detail17trampoline_kernelINS0_14default_configENS1_20scan_config_selectorIjEEZZNS1_9scan_implILNS1_25lookback_scan_determinismE0ELb1ELb1ES3_N6thrust23THRUST_200600_302600_NS6detail15normal_iteratorINS9_10device_ptrIjEEEENS9_16discard_iteratorINS9_11use_defaultEEEjNS9_4plusIvEEjEEDaPvRmT3_T4_T5_mT6_P12ihipStream_tbENKUlT_T0_E_clISt17integral_constantIbLb1EESW_IbLb0EEEEDaSS_ST_EUlSS_E0_NS1_11comp_targetILNS1_3genE3ELNS1_11target_archE908ELNS1_3gpuE7ELNS1_3repE0EEENS1_30default_config_static_selectorELNS0_4arch9wavefront6targetE1EEEvT1_,@function
_ZN7rocprim17ROCPRIM_400000_NS6detail17trampoline_kernelINS0_14default_configENS1_20scan_config_selectorIjEEZZNS1_9scan_implILNS1_25lookback_scan_determinismE0ELb1ELb1ES3_N6thrust23THRUST_200600_302600_NS6detail15normal_iteratorINS9_10device_ptrIjEEEENS9_16discard_iteratorINS9_11use_defaultEEEjNS9_4plusIvEEjEEDaPvRmT3_T4_T5_mT6_P12ihipStream_tbENKUlT_T0_E_clISt17integral_constantIbLb1EESW_IbLb0EEEEDaSS_ST_EUlSS_E0_NS1_11comp_targetILNS1_3genE3ELNS1_11target_archE908ELNS1_3gpuE7ELNS1_3repE0EEENS1_30default_config_static_selectorELNS0_4arch9wavefront6targetE1EEEvT1_: ; @_ZN7rocprim17ROCPRIM_400000_NS6detail17trampoline_kernelINS0_14default_configENS1_20scan_config_selectorIjEEZZNS1_9scan_implILNS1_25lookback_scan_determinismE0ELb1ELb1ES3_N6thrust23THRUST_200600_302600_NS6detail15normal_iteratorINS9_10device_ptrIjEEEENS9_16discard_iteratorINS9_11use_defaultEEEjNS9_4plusIvEEjEEDaPvRmT3_T4_T5_mT6_P12ihipStream_tbENKUlT_T0_E_clISt17integral_constantIbLb1EESW_IbLb0EEEEDaSS_ST_EUlSS_E0_NS1_11comp_targetILNS1_3genE3ELNS1_11target_archE908ELNS1_3gpuE7ELNS1_3repE0EEENS1_30default_config_static_selectorELNS0_4arch9wavefront6targetE1EEEvT1_
; %bb.0:
	.section	.rodata,"a",@progbits
	.p2align	6, 0x0
	.amdhsa_kernel _ZN7rocprim17ROCPRIM_400000_NS6detail17trampoline_kernelINS0_14default_configENS1_20scan_config_selectorIjEEZZNS1_9scan_implILNS1_25lookback_scan_determinismE0ELb1ELb1ES3_N6thrust23THRUST_200600_302600_NS6detail15normal_iteratorINS9_10device_ptrIjEEEENS9_16discard_iteratorINS9_11use_defaultEEEjNS9_4plusIvEEjEEDaPvRmT3_T4_T5_mT6_P12ihipStream_tbENKUlT_T0_E_clISt17integral_constantIbLb1EESW_IbLb0EEEEDaSS_ST_EUlSS_E0_NS1_11comp_targetILNS1_3genE3ELNS1_11target_archE908ELNS1_3gpuE7ELNS1_3repE0EEENS1_30default_config_static_selectorELNS0_4arch9wavefront6targetE1EEEvT1_
		.amdhsa_group_segment_fixed_size 0
		.amdhsa_private_segment_fixed_size 0
		.amdhsa_kernarg_size 40
		.amdhsa_user_sgpr_count 6
		.amdhsa_user_sgpr_private_segment_buffer 1
		.amdhsa_user_sgpr_dispatch_ptr 0
		.amdhsa_user_sgpr_queue_ptr 0
		.amdhsa_user_sgpr_kernarg_segment_ptr 1
		.amdhsa_user_sgpr_dispatch_id 0
		.amdhsa_user_sgpr_flat_scratch_init 0
		.amdhsa_user_sgpr_kernarg_preload_length 0
		.amdhsa_user_sgpr_kernarg_preload_offset 0
		.amdhsa_user_sgpr_private_segment_size 0
		.amdhsa_uses_dynamic_stack 0
		.amdhsa_system_sgpr_private_segment_wavefront_offset 0
		.amdhsa_system_sgpr_workgroup_id_x 1
		.amdhsa_system_sgpr_workgroup_id_y 0
		.amdhsa_system_sgpr_workgroup_id_z 0
		.amdhsa_system_sgpr_workgroup_info 0
		.amdhsa_system_vgpr_workitem_id 0
		.amdhsa_next_free_vgpr 1
		.amdhsa_next_free_sgpr 0
		.amdhsa_accum_offset 4
		.amdhsa_reserve_vcc 0
		.amdhsa_reserve_flat_scratch 0
		.amdhsa_float_round_mode_32 0
		.amdhsa_float_round_mode_16_64 0
		.amdhsa_float_denorm_mode_32 3
		.amdhsa_float_denorm_mode_16_64 3
		.amdhsa_dx10_clamp 1
		.amdhsa_ieee_mode 1
		.amdhsa_fp16_overflow 0
		.amdhsa_tg_split 0
		.amdhsa_exception_fp_ieee_invalid_op 0
		.amdhsa_exception_fp_denorm_src 0
		.amdhsa_exception_fp_ieee_div_zero 0
		.amdhsa_exception_fp_ieee_overflow 0
		.amdhsa_exception_fp_ieee_underflow 0
		.amdhsa_exception_fp_ieee_inexact 0
		.amdhsa_exception_int_div_zero 0
	.end_amdhsa_kernel
	.section	.text._ZN7rocprim17ROCPRIM_400000_NS6detail17trampoline_kernelINS0_14default_configENS1_20scan_config_selectorIjEEZZNS1_9scan_implILNS1_25lookback_scan_determinismE0ELb1ELb1ES3_N6thrust23THRUST_200600_302600_NS6detail15normal_iteratorINS9_10device_ptrIjEEEENS9_16discard_iteratorINS9_11use_defaultEEEjNS9_4plusIvEEjEEDaPvRmT3_T4_T5_mT6_P12ihipStream_tbENKUlT_T0_E_clISt17integral_constantIbLb1EESW_IbLb0EEEEDaSS_ST_EUlSS_E0_NS1_11comp_targetILNS1_3genE3ELNS1_11target_archE908ELNS1_3gpuE7ELNS1_3repE0EEENS1_30default_config_static_selectorELNS0_4arch9wavefront6targetE1EEEvT1_,"axG",@progbits,_ZN7rocprim17ROCPRIM_400000_NS6detail17trampoline_kernelINS0_14default_configENS1_20scan_config_selectorIjEEZZNS1_9scan_implILNS1_25lookback_scan_determinismE0ELb1ELb1ES3_N6thrust23THRUST_200600_302600_NS6detail15normal_iteratorINS9_10device_ptrIjEEEENS9_16discard_iteratorINS9_11use_defaultEEEjNS9_4plusIvEEjEEDaPvRmT3_T4_T5_mT6_P12ihipStream_tbENKUlT_T0_E_clISt17integral_constantIbLb1EESW_IbLb0EEEEDaSS_ST_EUlSS_E0_NS1_11comp_targetILNS1_3genE3ELNS1_11target_archE908ELNS1_3gpuE7ELNS1_3repE0EEENS1_30default_config_static_selectorELNS0_4arch9wavefront6targetE1EEEvT1_,comdat
.Lfunc_end5414:
	.size	_ZN7rocprim17ROCPRIM_400000_NS6detail17trampoline_kernelINS0_14default_configENS1_20scan_config_selectorIjEEZZNS1_9scan_implILNS1_25lookback_scan_determinismE0ELb1ELb1ES3_N6thrust23THRUST_200600_302600_NS6detail15normal_iteratorINS9_10device_ptrIjEEEENS9_16discard_iteratorINS9_11use_defaultEEEjNS9_4plusIvEEjEEDaPvRmT3_T4_T5_mT6_P12ihipStream_tbENKUlT_T0_E_clISt17integral_constantIbLb1EESW_IbLb0EEEEDaSS_ST_EUlSS_E0_NS1_11comp_targetILNS1_3genE3ELNS1_11target_archE908ELNS1_3gpuE7ELNS1_3repE0EEENS1_30default_config_static_selectorELNS0_4arch9wavefront6targetE1EEEvT1_, .Lfunc_end5414-_ZN7rocprim17ROCPRIM_400000_NS6detail17trampoline_kernelINS0_14default_configENS1_20scan_config_selectorIjEEZZNS1_9scan_implILNS1_25lookback_scan_determinismE0ELb1ELb1ES3_N6thrust23THRUST_200600_302600_NS6detail15normal_iteratorINS9_10device_ptrIjEEEENS9_16discard_iteratorINS9_11use_defaultEEEjNS9_4plusIvEEjEEDaPvRmT3_T4_T5_mT6_P12ihipStream_tbENKUlT_T0_E_clISt17integral_constantIbLb1EESW_IbLb0EEEEDaSS_ST_EUlSS_E0_NS1_11comp_targetILNS1_3genE3ELNS1_11target_archE908ELNS1_3gpuE7ELNS1_3repE0EEENS1_30default_config_static_selectorELNS0_4arch9wavefront6targetE1EEEvT1_
                                        ; -- End function
	.section	.AMDGPU.csdata,"",@progbits
; Kernel info:
; codeLenInByte = 0
; NumSgprs: 4
; NumVgprs: 0
; NumAgprs: 0
; TotalNumVgprs: 0
; ScratchSize: 0
; MemoryBound: 0
; FloatMode: 240
; IeeeMode: 1
; LDSByteSize: 0 bytes/workgroup (compile time only)
; SGPRBlocks: 0
; VGPRBlocks: 0
; NumSGPRsForWavesPerEU: 4
; NumVGPRsForWavesPerEU: 1
; AccumOffset: 4
; Occupancy: 8
; WaveLimiterHint : 0
; COMPUTE_PGM_RSRC2:SCRATCH_EN: 0
; COMPUTE_PGM_RSRC2:USER_SGPR: 6
; COMPUTE_PGM_RSRC2:TRAP_HANDLER: 0
; COMPUTE_PGM_RSRC2:TGID_X_EN: 1
; COMPUTE_PGM_RSRC2:TGID_Y_EN: 0
; COMPUTE_PGM_RSRC2:TGID_Z_EN: 0
; COMPUTE_PGM_RSRC2:TIDIG_COMP_CNT: 0
; COMPUTE_PGM_RSRC3_GFX90A:ACCUM_OFFSET: 0
; COMPUTE_PGM_RSRC3_GFX90A:TG_SPLIT: 0
	.section	.text._ZN7rocprim17ROCPRIM_400000_NS6detail17trampoline_kernelINS0_14default_configENS1_20scan_config_selectorIjEEZZNS1_9scan_implILNS1_25lookback_scan_determinismE0ELb1ELb1ES3_N6thrust23THRUST_200600_302600_NS6detail15normal_iteratorINS9_10device_ptrIjEEEENS9_16discard_iteratorINS9_11use_defaultEEEjNS9_4plusIvEEjEEDaPvRmT3_T4_T5_mT6_P12ihipStream_tbENKUlT_T0_E_clISt17integral_constantIbLb1EESW_IbLb0EEEEDaSS_ST_EUlSS_E0_NS1_11comp_targetILNS1_3genE2ELNS1_11target_archE906ELNS1_3gpuE6ELNS1_3repE0EEENS1_30default_config_static_selectorELNS0_4arch9wavefront6targetE1EEEvT1_,"axG",@progbits,_ZN7rocprim17ROCPRIM_400000_NS6detail17trampoline_kernelINS0_14default_configENS1_20scan_config_selectorIjEEZZNS1_9scan_implILNS1_25lookback_scan_determinismE0ELb1ELb1ES3_N6thrust23THRUST_200600_302600_NS6detail15normal_iteratorINS9_10device_ptrIjEEEENS9_16discard_iteratorINS9_11use_defaultEEEjNS9_4plusIvEEjEEDaPvRmT3_T4_T5_mT6_P12ihipStream_tbENKUlT_T0_E_clISt17integral_constantIbLb1EESW_IbLb0EEEEDaSS_ST_EUlSS_E0_NS1_11comp_targetILNS1_3genE2ELNS1_11target_archE906ELNS1_3gpuE6ELNS1_3repE0EEENS1_30default_config_static_selectorELNS0_4arch9wavefront6targetE1EEEvT1_,comdat
	.protected	_ZN7rocprim17ROCPRIM_400000_NS6detail17trampoline_kernelINS0_14default_configENS1_20scan_config_selectorIjEEZZNS1_9scan_implILNS1_25lookback_scan_determinismE0ELb1ELb1ES3_N6thrust23THRUST_200600_302600_NS6detail15normal_iteratorINS9_10device_ptrIjEEEENS9_16discard_iteratorINS9_11use_defaultEEEjNS9_4plusIvEEjEEDaPvRmT3_T4_T5_mT6_P12ihipStream_tbENKUlT_T0_E_clISt17integral_constantIbLb1EESW_IbLb0EEEEDaSS_ST_EUlSS_E0_NS1_11comp_targetILNS1_3genE2ELNS1_11target_archE906ELNS1_3gpuE6ELNS1_3repE0EEENS1_30default_config_static_selectorELNS0_4arch9wavefront6targetE1EEEvT1_ ; -- Begin function _ZN7rocprim17ROCPRIM_400000_NS6detail17trampoline_kernelINS0_14default_configENS1_20scan_config_selectorIjEEZZNS1_9scan_implILNS1_25lookback_scan_determinismE0ELb1ELb1ES3_N6thrust23THRUST_200600_302600_NS6detail15normal_iteratorINS9_10device_ptrIjEEEENS9_16discard_iteratorINS9_11use_defaultEEEjNS9_4plusIvEEjEEDaPvRmT3_T4_T5_mT6_P12ihipStream_tbENKUlT_T0_E_clISt17integral_constantIbLb1EESW_IbLb0EEEEDaSS_ST_EUlSS_E0_NS1_11comp_targetILNS1_3genE2ELNS1_11target_archE906ELNS1_3gpuE6ELNS1_3repE0EEENS1_30default_config_static_selectorELNS0_4arch9wavefront6targetE1EEEvT1_
	.globl	_ZN7rocprim17ROCPRIM_400000_NS6detail17trampoline_kernelINS0_14default_configENS1_20scan_config_selectorIjEEZZNS1_9scan_implILNS1_25lookback_scan_determinismE0ELb1ELb1ES3_N6thrust23THRUST_200600_302600_NS6detail15normal_iteratorINS9_10device_ptrIjEEEENS9_16discard_iteratorINS9_11use_defaultEEEjNS9_4plusIvEEjEEDaPvRmT3_T4_T5_mT6_P12ihipStream_tbENKUlT_T0_E_clISt17integral_constantIbLb1EESW_IbLb0EEEEDaSS_ST_EUlSS_E0_NS1_11comp_targetILNS1_3genE2ELNS1_11target_archE906ELNS1_3gpuE6ELNS1_3repE0EEENS1_30default_config_static_selectorELNS0_4arch9wavefront6targetE1EEEvT1_
	.p2align	8
	.type	_ZN7rocprim17ROCPRIM_400000_NS6detail17trampoline_kernelINS0_14default_configENS1_20scan_config_selectorIjEEZZNS1_9scan_implILNS1_25lookback_scan_determinismE0ELb1ELb1ES3_N6thrust23THRUST_200600_302600_NS6detail15normal_iteratorINS9_10device_ptrIjEEEENS9_16discard_iteratorINS9_11use_defaultEEEjNS9_4plusIvEEjEEDaPvRmT3_T4_T5_mT6_P12ihipStream_tbENKUlT_T0_E_clISt17integral_constantIbLb1EESW_IbLb0EEEEDaSS_ST_EUlSS_E0_NS1_11comp_targetILNS1_3genE2ELNS1_11target_archE906ELNS1_3gpuE6ELNS1_3repE0EEENS1_30default_config_static_selectorELNS0_4arch9wavefront6targetE1EEEvT1_,@function
_ZN7rocprim17ROCPRIM_400000_NS6detail17trampoline_kernelINS0_14default_configENS1_20scan_config_selectorIjEEZZNS1_9scan_implILNS1_25lookback_scan_determinismE0ELb1ELb1ES3_N6thrust23THRUST_200600_302600_NS6detail15normal_iteratorINS9_10device_ptrIjEEEENS9_16discard_iteratorINS9_11use_defaultEEEjNS9_4plusIvEEjEEDaPvRmT3_T4_T5_mT6_P12ihipStream_tbENKUlT_T0_E_clISt17integral_constantIbLb1EESW_IbLb0EEEEDaSS_ST_EUlSS_E0_NS1_11comp_targetILNS1_3genE2ELNS1_11target_archE906ELNS1_3gpuE6ELNS1_3repE0EEENS1_30default_config_static_selectorELNS0_4arch9wavefront6targetE1EEEvT1_: ; @_ZN7rocprim17ROCPRIM_400000_NS6detail17trampoline_kernelINS0_14default_configENS1_20scan_config_selectorIjEEZZNS1_9scan_implILNS1_25lookback_scan_determinismE0ELb1ELb1ES3_N6thrust23THRUST_200600_302600_NS6detail15normal_iteratorINS9_10device_ptrIjEEEENS9_16discard_iteratorINS9_11use_defaultEEEjNS9_4plusIvEEjEEDaPvRmT3_T4_T5_mT6_P12ihipStream_tbENKUlT_T0_E_clISt17integral_constantIbLb1EESW_IbLb0EEEEDaSS_ST_EUlSS_E0_NS1_11comp_targetILNS1_3genE2ELNS1_11target_archE906ELNS1_3gpuE6ELNS1_3repE0EEENS1_30default_config_static_selectorELNS0_4arch9wavefront6targetE1EEEvT1_
; %bb.0:
	.section	.rodata,"a",@progbits
	.p2align	6, 0x0
	.amdhsa_kernel _ZN7rocprim17ROCPRIM_400000_NS6detail17trampoline_kernelINS0_14default_configENS1_20scan_config_selectorIjEEZZNS1_9scan_implILNS1_25lookback_scan_determinismE0ELb1ELb1ES3_N6thrust23THRUST_200600_302600_NS6detail15normal_iteratorINS9_10device_ptrIjEEEENS9_16discard_iteratorINS9_11use_defaultEEEjNS9_4plusIvEEjEEDaPvRmT3_T4_T5_mT6_P12ihipStream_tbENKUlT_T0_E_clISt17integral_constantIbLb1EESW_IbLb0EEEEDaSS_ST_EUlSS_E0_NS1_11comp_targetILNS1_3genE2ELNS1_11target_archE906ELNS1_3gpuE6ELNS1_3repE0EEENS1_30default_config_static_selectorELNS0_4arch9wavefront6targetE1EEEvT1_
		.amdhsa_group_segment_fixed_size 0
		.amdhsa_private_segment_fixed_size 0
		.amdhsa_kernarg_size 40
		.amdhsa_user_sgpr_count 6
		.amdhsa_user_sgpr_private_segment_buffer 1
		.amdhsa_user_sgpr_dispatch_ptr 0
		.amdhsa_user_sgpr_queue_ptr 0
		.amdhsa_user_sgpr_kernarg_segment_ptr 1
		.amdhsa_user_sgpr_dispatch_id 0
		.amdhsa_user_sgpr_flat_scratch_init 0
		.amdhsa_user_sgpr_kernarg_preload_length 0
		.amdhsa_user_sgpr_kernarg_preload_offset 0
		.amdhsa_user_sgpr_private_segment_size 0
		.amdhsa_uses_dynamic_stack 0
		.amdhsa_system_sgpr_private_segment_wavefront_offset 0
		.amdhsa_system_sgpr_workgroup_id_x 1
		.amdhsa_system_sgpr_workgroup_id_y 0
		.amdhsa_system_sgpr_workgroup_id_z 0
		.amdhsa_system_sgpr_workgroup_info 0
		.amdhsa_system_vgpr_workitem_id 0
		.amdhsa_next_free_vgpr 1
		.amdhsa_next_free_sgpr 0
		.amdhsa_accum_offset 4
		.amdhsa_reserve_vcc 0
		.amdhsa_reserve_flat_scratch 0
		.amdhsa_float_round_mode_32 0
		.amdhsa_float_round_mode_16_64 0
		.amdhsa_float_denorm_mode_32 3
		.amdhsa_float_denorm_mode_16_64 3
		.amdhsa_dx10_clamp 1
		.amdhsa_ieee_mode 1
		.amdhsa_fp16_overflow 0
		.amdhsa_tg_split 0
		.amdhsa_exception_fp_ieee_invalid_op 0
		.amdhsa_exception_fp_denorm_src 0
		.amdhsa_exception_fp_ieee_div_zero 0
		.amdhsa_exception_fp_ieee_overflow 0
		.amdhsa_exception_fp_ieee_underflow 0
		.amdhsa_exception_fp_ieee_inexact 0
		.amdhsa_exception_int_div_zero 0
	.end_amdhsa_kernel
	.section	.text._ZN7rocprim17ROCPRIM_400000_NS6detail17trampoline_kernelINS0_14default_configENS1_20scan_config_selectorIjEEZZNS1_9scan_implILNS1_25lookback_scan_determinismE0ELb1ELb1ES3_N6thrust23THRUST_200600_302600_NS6detail15normal_iteratorINS9_10device_ptrIjEEEENS9_16discard_iteratorINS9_11use_defaultEEEjNS9_4plusIvEEjEEDaPvRmT3_T4_T5_mT6_P12ihipStream_tbENKUlT_T0_E_clISt17integral_constantIbLb1EESW_IbLb0EEEEDaSS_ST_EUlSS_E0_NS1_11comp_targetILNS1_3genE2ELNS1_11target_archE906ELNS1_3gpuE6ELNS1_3repE0EEENS1_30default_config_static_selectorELNS0_4arch9wavefront6targetE1EEEvT1_,"axG",@progbits,_ZN7rocprim17ROCPRIM_400000_NS6detail17trampoline_kernelINS0_14default_configENS1_20scan_config_selectorIjEEZZNS1_9scan_implILNS1_25lookback_scan_determinismE0ELb1ELb1ES3_N6thrust23THRUST_200600_302600_NS6detail15normal_iteratorINS9_10device_ptrIjEEEENS9_16discard_iteratorINS9_11use_defaultEEEjNS9_4plusIvEEjEEDaPvRmT3_T4_T5_mT6_P12ihipStream_tbENKUlT_T0_E_clISt17integral_constantIbLb1EESW_IbLb0EEEEDaSS_ST_EUlSS_E0_NS1_11comp_targetILNS1_3genE2ELNS1_11target_archE906ELNS1_3gpuE6ELNS1_3repE0EEENS1_30default_config_static_selectorELNS0_4arch9wavefront6targetE1EEEvT1_,comdat
.Lfunc_end5415:
	.size	_ZN7rocprim17ROCPRIM_400000_NS6detail17trampoline_kernelINS0_14default_configENS1_20scan_config_selectorIjEEZZNS1_9scan_implILNS1_25lookback_scan_determinismE0ELb1ELb1ES3_N6thrust23THRUST_200600_302600_NS6detail15normal_iteratorINS9_10device_ptrIjEEEENS9_16discard_iteratorINS9_11use_defaultEEEjNS9_4plusIvEEjEEDaPvRmT3_T4_T5_mT6_P12ihipStream_tbENKUlT_T0_E_clISt17integral_constantIbLb1EESW_IbLb0EEEEDaSS_ST_EUlSS_E0_NS1_11comp_targetILNS1_3genE2ELNS1_11target_archE906ELNS1_3gpuE6ELNS1_3repE0EEENS1_30default_config_static_selectorELNS0_4arch9wavefront6targetE1EEEvT1_, .Lfunc_end5415-_ZN7rocprim17ROCPRIM_400000_NS6detail17trampoline_kernelINS0_14default_configENS1_20scan_config_selectorIjEEZZNS1_9scan_implILNS1_25lookback_scan_determinismE0ELb1ELb1ES3_N6thrust23THRUST_200600_302600_NS6detail15normal_iteratorINS9_10device_ptrIjEEEENS9_16discard_iteratorINS9_11use_defaultEEEjNS9_4plusIvEEjEEDaPvRmT3_T4_T5_mT6_P12ihipStream_tbENKUlT_T0_E_clISt17integral_constantIbLb1EESW_IbLb0EEEEDaSS_ST_EUlSS_E0_NS1_11comp_targetILNS1_3genE2ELNS1_11target_archE906ELNS1_3gpuE6ELNS1_3repE0EEENS1_30default_config_static_selectorELNS0_4arch9wavefront6targetE1EEEvT1_
                                        ; -- End function
	.section	.AMDGPU.csdata,"",@progbits
; Kernel info:
; codeLenInByte = 0
; NumSgprs: 4
; NumVgprs: 0
; NumAgprs: 0
; TotalNumVgprs: 0
; ScratchSize: 0
; MemoryBound: 0
; FloatMode: 240
; IeeeMode: 1
; LDSByteSize: 0 bytes/workgroup (compile time only)
; SGPRBlocks: 0
; VGPRBlocks: 0
; NumSGPRsForWavesPerEU: 4
; NumVGPRsForWavesPerEU: 1
; AccumOffset: 4
; Occupancy: 8
; WaveLimiterHint : 0
; COMPUTE_PGM_RSRC2:SCRATCH_EN: 0
; COMPUTE_PGM_RSRC2:USER_SGPR: 6
; COMPUTE_PGM_RSRC2:TRAP_HANDLER: 0
; COMPUTE_PGM_RSRC2:TGID_X_EN: 1
; COMPUTE_PGM_RSRC2:TGID_Y_EN: 0
; COMPUTE_PGM_RSRC2:TGID_Z_EN: 0
; COMPUTE_PGM_RSRC2:TIDIG_COMP_CNT: 0
; COMPUTE_PGM_RSRC3_GFX90A:ACCUM_OFFSET: 0
; COMPUTE_PGM_RSRC3_GFX90A:TG_SPLIT: 0
	.section	.text._ZN7rocprim17ROCPRIM_400000_NS6detail17trampoline_kernelINS0_14default_configENS1_20scan_config_selectorIjEEZZNS1_9scan_implILNS1_25lookback_scan_determinismE0ELb1ELb1ES3_N6thrust23THRUST_200600_302600_NS6detail15normal_iteratorINS9_10device_ptrIjEEEENS9_16discard_iteratorINS9_11use_defaultEEEjNS9_4plusIvEEjEEDaPvRmT3_T4_T5_mT6_P12ihipStream_tbENKUlT_T0_E_clISt17integral_constantIbLb1EESW_IbLb0EEEEDaSS_ST_EUlSS_E0_NS1_11comp_targetILNS1_3genE10ELNS1_11target_archE1201ELNS1_3gpuE5ELNS1_3repE0EEENS1_30default_config_static_selectorELNS0_4arch9wavefront6targetE1EEEvT1_,"axG",@progbits,_ZN7rocprim17ROCPRIM_400000_NS6detail17trampoline_kernelINS0_14default_configENS1_20scan_config_selectorIjEEZZNS1_9scan_implILNS1_25lookback_scan_determinismE0ELb1ELb1ES3_N6thrust23THRUST_200600_302600_NS6detail15normal_iteratorINS9_10device_ptrIjEEEENS9_16discard_iteratorINS9_11use_defaultEEEjNS9_4plusIvEEjEEDaPvRmT3_T4_T5_mT6_P12ihipStream_tbENKUlT_T0_E_clISt17integral_constantIbLb1EESW_IbLb0EEEEDaSS_ST_EUlSS_E0_NS1_11comp_targetILNS1_3genE10ELNS1_11target_archE1201ELNS1_3gpuE5ELNS1_3repE0EEENS1_30default_config_static_selectorELNS0_4arch9wavefront6targetE1EEEvT1_,comdat
	.protected	_ZN7rocprim17ROCPRIM_400000_NS6detail17trampoline_kernelINS0_14default_configENS1_20scan_config_selectorIjEEZZNS1_9scan_implILNS1_25lookback_scan_determinismE0ELb1ELb1ES3_N6thrust23THRUST_200600_302600_NS6detail15normal_iteratorINS9_10device_ptrIjEEEENS9_16discard_iteratorINS9_11use_defaultEEEjNS9_4plusIvEEjEEDaPvRmT3_T4_T5_mT6_P12ihipStream_tbENKUlT_T0_E_clISt17integral_constantIbLb1EESW_IbLb0EEEEDaSS_ST_EUlSS_E0_NS1_11comp_targetILNS1_3genE10ELNS1_11target_archE1201ELNS1_3gpuE5ELNS1_3repE0EEENS1_30default_config_static_selectorELNS0_4arch9wavefront6targetE1EEEvT1_ ; -- Begin function _ZN7rocprim17ROCPRIM_400000_NS6detail17trampoline_kernelINS0_14default_configENS1_20scan_config_selectorIjEEZZNS1_9scan_implILNS1_25lookback_scan_determinismE0ELb1ELb1ES3_N6thrust23THRUST_200600_302600_NS6detail15normal_iteratorINS9_10device_ptrIjEEEENS9_16discard_iteratorINS9_11use_defaultEEEjNS9_4plusIvEEjEEDaPvRmT3_T4_T5_mT6_P12ihipStream_tbENKUlT_T0_E_clISt17integral_constantIbLb1EESW_IbLb0EEEEDaSS_ST_EUlSS_E0_NS1_11comp_targetILNS1_3genE10ELNS1_11target_archE1201ELNS1_3gpuE5ELNS1_3repE0EEENS1_30default_config_static_selectorELNS0_4arch9wavefront6targetE1EEEvT1_
	.globl	_ZN7rocprim17ROCPRIM_400000_NS6detail17trampoline_kernelINS0_14default_configENS1_20scan_config_selectorIjEEZZNS1_9scan_implILNS1_25lookback_scan_determinismE0ELb1ELb1ES3_N6thrust23THRUST_200600_302600_NS6detail15normal_iteratorINS9_10device_ptrIjEEEENS9_16discard_iteratorINS9_11use_defaultEEEjNS9_4plusIvEEjEEDaPvRmT3_T4_T5_mT6_P12ihipStream_tbENKUlT_T0_E_clISt17integral_constantIbLb1EESW_IbLb0EEEEDaSS_ST_EUlSS_E0_NS1_11comp_targetILNS1_3genE10ELNS1_11target_archE1201ELNS1_3gpuE5ELNS1_3repE0EEENS1_30default_config_static_selectorELNS0_4arch9wavefront6targetE1EEEvT1_
	.p2align	8
	.type	_ZN7rocprim17ROCPRIM_400000_NS6detail17trampoline_kernelINS0_14default_configENS1_20scan_config_selectorIjEEZZNS1_9scan_implILNS1_25lookback_scan_determinismE0ELb1ELb1ES3_N6thrust23THRUST_200600_302600_NS6detail15normal_iteratorINS9_10device_ptrIjEEEENS9_16discard_iteratorINS9_11use_defaultEEEjNS9_4plusIvEEjEEDaPvRmT3_T4_T5_mT6_P12ihipStream_tbENKUlT_T0_E_clISt17integral_constantIbLb1EESW_IbLb0EEEEDaSS_ST_EUlSS_E0_NS1_11comp_targetILNS1_3genE10ELNS1_11target_archE1201ELNS1_3gpuE5ELNS1_3repE0EEENS1_30default_config_static_selectorELNS0_4arch9wavefront6targetE1EEEvT1_,@function
_ZN7rocprim17ROCPRIM_400000_NS6detail17trampoline_kernelINS0_14default_configENS1_20scan_config_selectorIjEEZZNS1_9scan_implILNS1_25lookback_scan_determinismE0ELb1ELb1ES3_N6thrust23THRUST_200600_302600_NS6detail15normal_iteratorINS9_10device_ptrIjEEEENS9_16discard_iteratorINS9_11use_defaultEEEjNS9_4plusIvEEjEEDaPvRmT3_T4_T5_mT6_P12ihipStream_tbENKUlT_T0_E_clISt17integral_constantIbLb1EESW_IbLb0EEEEDaSS_ST_EUlSS_E0_NS1_11comp_targetILNS1_3genE10ELNS1_11target_archE1201ELNS1_3gpuE5ELNS1_3repE0EEENS1_30default_config_static_selectorELNS0_4arch9wavefront6targetE1EEEvT1_: ; @_ZN7rocprim17ROCPRIM_400000_NS6detail17trampoline_kernelINS0_14default_configENS1_20scan_config_selectorIjEEZZNS1_9scan_implILNS1_25lookback_scan_determinismE0ELb1ELb1ES3_N6thrust23THRUST_200600_302600_NS6detail15normal_iteratorINS9_10device_ptrIjEEEENS9_16discard_iteratorINS9_11use_defaultEEEjNS9_4plusIvEEjEEDaPvRmT3_T4_T5_mT6_P12ihipStream_tbENKUlT_T0_E_clISt17integral_constantIbLb1EESW_IbLb0EEEEDaSS_ST_EUlSS_E0_NS1_11comp_targetILNS1_3genE10ELNS1_11target_archE1201ELNS1_3gpuE5ELNS1_3repE0EEENS1_30default_config_static_selectorELNS0_4arch9wavefront6targetE1EEEvT1_
; %bb.0:
	.section	.rodata,"a",@progbits
	.p2align	6, 0x0
	.amdhsa_kernel _ZN7rocprim17ROCPRIM_400000_NS6detail17trampoline_kernelINS0_14default_configENS1_20scan_config_selectorIjEEZZNS1_9scan_implILNS1_25lookback_scan_determinismE0ELb1ELb1ES3_N6thrust23THRUST_200600_302600_NS6detail15normal_iteratorINS9_10device_ptrIjEEEENS9_16discard_iteratorINS9_11use_defaultEEEjNS9_4plusIvEEjEEDaPvRmT3_T4_T5_mT6_P12ihipStream_tbENKUlT_T0_E_clISt17integral_constantIbLb1EESW_IbLb0EEEEDaSS_ST_EUlSS_E0_NS1_11comp_targetILNS1_3genE10ELNS1_11target_archE1201ELNS1_3gpuE5ELNS1_3repE0EEENS1_30default_config_static_selectorELNS0_4arch9wavefront6targetE1EEEvT1_
		.amdhsa_group_segment_fixed_size 0
		.amdhsa_private_segment_fixed_size 0
		.amdhsa_kernarg_size 40
		.amdhsa_user_sgpr_count 6
		.amdhsa_user_sgpr_private_segment_buffer 1
		.amdhsa_user_sgpr_dispatch_ptr 0
		.amdhsa_user_sgpr_queue_ptr 0
		.amdhsa_user_sgpr_kernarg_segment_ptr 1
		.amdhsa_user_sgpr_dispatch_id 0
		.amdhsa_user_sgpr_flat_scratch_init 0
		.amdhsa_user_sgpr_kernarg_preload_length 0
		.amdhsa_user_sgpr_kernarg_preload_offset 0
		.amdhsa_user_sgpr_private_segment_size 0
		.amdhsa_uses_dynamic_stack 0
		.amdhsa_system_sgpr_private_segment_wavefront_offset 0
		.amdhsa_system_sgpr_workgroup_id_x 1
		.amdhsa_system_sgpr_workgroup_id_y 0
		.amdhsa_system_sgpr_workgroup_id_z 0
		.amdhsa_system_sgpr_workgroup_info 0
		.amdhsa_system_vgpr_workitem_id 0
		.amdhsa_next_free_vgpr 1
		.amdhsa_next_free_sgpr 0
		.amdhsa_accum_offset 4
		.amdhsa_reserve_vcc 0
		.amdhsa_reserve_flat_scratch 0
		.amdhsa_float_round_mode_32 0
		.amdhsa_float_round_mode_16_64 0
		.amdhsa_float_denorm_mode_32 3
		.amdhsa_float_denorm_mode_16_64 3
		.amdhsa_dx10_clamp 1
		.amdhsa_ieee_mode 1
		.amdhsa_fp16_overflow 0
		.amdhsa_tg_split 0
		.amdhsa_exception_fp_ieee_invalid_op 0
		.amdhsa_exception_fp_denorm_src 0
		.amdhsa_exception_fp_ieee_div_zero 0
		.amdhsa_exception_fp_ieee_overflow 0
		.amdhsa_exception_fp_ieee_underflow 0
		.amdhsa_exception_fp_ieee_inexact 0
		.amdhsa_exception_int_div_zero 0
	.end_amdhsa_kernel
	.section	.text._ZN7rocprim17ROCPRIM_400000_NS6detail17trampoline_kernelINS0_14default_configENS1_20scan_config_selectorIjEEZZNS1_9scan_implILNS1_25lookback_scan_determinismE0ELb1ELb1ES3_N6thrust23THRUST_200600_302600_NS6detail15normal_iteratorINS9_10device_ptrIjEEEENS9_16discard_iteratorINS9_11use_defaultEEEjNS9_4plusIvEEjEEDaPvRmT3_T4_T5_mT6_P12ihipStream_tbENKUlT_T0_E_clISt17integral_constantIbLb1EESW_IbLb0EEEEDaSS_ST_EUlSS_E0_NS1_11comp_targetILNS1_3genE10ELNS1_11target_archE1201ELNS1_3gpuE5ELNS1_3repE0EEENS1_30default_config_static_selectorELNS0_4arch9wavefront6targetE1EEEvT1_,"axG",@progbits,_ZN7rocprim17ROCPRIM_400000_NS6detail17trampoline_kernelINS0_14default_configENS1_20scan_config_selectorIjEEZZNS1_9scan_implILNS1_25lookback_scan_determinismE0ELb1ELb1ES3_N6thrust23THRUST_200600_302600_NS6detail15normal_iteratorINS9_10device_ptrIjEEEENS9_16discard_iteratorINS9_11use_defaultEEEjNS9_4plusIvEEjEEDaPvRmT3_T4_T5_mT6_P12ihipStream_tbENKUlT_T0_E_clISt17integral_constantIbLb1EESW_IbLb0EEEEDaSS_ST_EUlSS_E0_NS1_11comp_targetILNS1_3genE10ELNS1_11target_archE1201ELNS1_3gpuE5ELNS1_3repE0EEENS1_30default_config_static_selectorELNS0_4arch9wavefront6targetE1EEEvT1_,comdat
.Lfunc_end5416:
	.size	_ZN7rocprim17ROCPRIM_400000_NS6detail17trampoline_kernelINS0_14default_configENS1_20scan_config_selectorIjEEZZNS1_9scan_implILNS1_25lookback_scan_determinismE0ELb1ELb1ES3_N6thrust23THRUST_200600_302600_NS6detail15normal_iteratorINS9_10device_ptrIjEEEENS9_16discard_iteratorINS9_11use_defaultEEEjNS9_4plusIvEEjEEDaPvRmT3_T4_T5_mT6_P12ihipStream_tbENKUlT_T0_E_clISt17integral_constantIbLb1EESW_IbLb0EEEEDaSS_ST_EUlSS_E0_NS1_11comp_targetILNS1_3genE10ELNS1_11target_archE1201ELNS1_3gpuE5ELNS1_3repE0EEENS1_30default_config_static_selectorELNS0_4arch9wavefront6targetE1EEEvT1_, .Lfunc_end5416-_ZN7rocprim17ROCPRIM_400000_NS6detail17trampoline_kernelINS0_14default_configENS1_20scan_config_selectorIjEEZZNS1_9scan_implILNS1_25lookback_scan_determinismE0ELb1ELb1ES3_N6thrust23THRUST_200600_302600_NS6detail15normal_iteratorINS9_10device_ptrIjEEEENS9_16discard_iteratorINS9_11use_defaultEEEjNS9_4plusIvEEjEEDaPvRmT3_T4_T5_mT6_P12ihipStream_tbENKUlT_T0_E_clISt17integral_constantIbLb1EESW_IbLb0EEEEDaSS_ST_EUlSS_E0_NS1_11comp_targetILNS1_3genE10ELNS1_11target_archE1201ELNS1_3gpuE5ELNS1_3repE0EEENS1_30default_config_static_selectorELNS0_4arch9wavefront6targetE1EEEvT1_
                                        ; -- End function
	.section	.AMDGPU.csdata,"",@progbits
; Kernel info:
; codeLenInByte = 0
; NumSgprs: 4
; NumVgprs: 0
; NumAgprs: 0
; TotalNumVgprs: 0
; ScratchSize: 0
; MemoryBound: 0
; FloatMode: 240
; IeeeMode: 1
; LDSByteSize: 0 bytes/workgroup (compile time only)
; SGPRBlocks: 0
; VGPRBlocks: 0
; NumSGPRsForWavesPerEU: 4
; NumVGPRsForWavesPerEU: 1
; AccumOffset: 4
; Occupancy: 8
; WaveLimiterHint : 0
; COMPUTE_PGM_RSRC2:SCRATCH_EN: 0
; COMPUTE_PGM_RSRC2:USER_SGPR: 6
; COMPUTE_PGM_RSRC2:TRAP_HANDLER: 0
; COMPUTE_PGM_RSRC2:TGID_X_EN: 1
; COMPUTE_PGM_RSRC2:TGID_Y_EN: 0
; COMPUTE_PGM_RSRC2:TGID_Z_EN: 0
; COMPUTE_PGM_RSRC2:TIDIG_COMP_CNT: 0
; COMPUTE_PGM_RSRC3_GFX90A:ACCUM_OFFSET: 0
; COMPUTE_PGM_RSRC3_GFX90A:TG_SPLIT: 0
	.section	.text._ZN7rocprim17ROCPRIM_400000_NS6detail17trampoline_kernelINS0_14default_configENS1_20scan_config_selectorIjEEZZNS1_9scan_implILNS1_25lookback_scan_determinismE0ELb1ELb1ES3_N6thrust23THRUST_200600_302600_NS6detail15normal_iteratorINS9_10device_ptrIjEEEENS9_16discard_iteratorINS9_11use_defaultEEEjNS9_4plusIvEEjEEDaPvRmT3_T4_T5_mT6_P12ihipStream_tbENKUlT_T0_E_clISt17integral_constantIbLb1EESW_IbLb0EEEEDaSS_ST_EUlSS_E0_NS1_11comp_targetILNS1_3genE10ELNS1_11target_archE1200ELNS1_3gpuE4ELNS1_3repE0EEENS1_30default_config_static_selectorELNS0_4arch9wavefront6targetE1EEEvT1_,"axG",@progbits,_ZN7rocprim17ROCPRIM_400000_NS6detail17trampoline_kernelINS0_14default_configENS1_20scan_config_selectorIjEEZZNS1_9scan_implILNS1_25lookback_scan_determinismE0ELb1ELb1ES3_N6thrust23THRUST_200600_302600_NS6detail15normal_iteratorINS9_10device_ptrIjEEEENS9_16discard_iteratorINS9_11use_defaultEEEjNS9_4plusIvEEjEEDaPvRmT3_T4_T5_mT6_P12ihipStream_tbENKUlT_T0_E_clISt17integral_constantIbLb1EESW_IbLb0EEEEDaSS_ST_EUlSS_E0_NS1_11comp_targetILNS1_3genE10ELNS1_11target_archE1200ELNS1_3gpuE4ELNS1_3repE0EEENS1_30default_config_static_selectorELNS0_4arch9wavefront6targetE1EEEvT1_,comdat
	.protected	_ZN7rocprim17ROCPRIM_400000_NS6detail17trampoline_kernelINS0_14default_configENS1_20scan_config_selectorIjEEZZNS1_9scan_implILNS1_25lookback_scan_determinismE0ELb1ELb1ES3_N6thrust23THRUST_200600_302600_NS6detail15normal_iteratorINS9_10device_ptrIjEEEENS9_16discard_iteratorINS9_11use_defaultEEEjNS9_4plusIvEEjEEDaPvRmT3_T4_T5_mT6_P12ihipStream_tbENKUlT_T0_E_clISt17integral_constantIbLb1EESW_IbLb0EEEEDaSS_ST_EUlSS_E0_NS1_11comp_targetILNS1_3genE10ELNS1_11target_archE1200ELNS1_3gpuE4ELNS1_3repE0EEENS1_30default_config_static_selectorELNS0_4arch9wavefront6targetE1EEEvT1_ ; -- Begin function _ZN7rocprim17ROCPRIM_400000_NS6detail17trampoline_kernelINS0_14default_configENS1_20scan_config_selectorIjEEZZNS1_9scan_implILNS1_25lookback_scan_determinismE0ELb1ELb1ES3_N6thrust23THRUST_200600_302600_NS6detail15normal_iteratorINS9_10device_ptrIjEEEENS9_16discard_iteratorINS9_11use_defaultEEEjNS9_4plusIvEEjEEDaPvRmT3_T4_T5_mT6_P12ihipStream_tbENKUlT_T0_E_clISt17integral_constantIbLb1EESW_IbLb0EEEEDaSS_ST_EUlSS_E0_NS1_11comp_targetILNS1_3genE10ELNS1_11target_archE1200ELNS1_3gpuE4ELNS1_3repE0EEENS1_30default_config_static_selectorELNS0_4arch9wavefront6targetE1EEEvT1_
	.globl	_ZN7rocprim17ROCPRIM_400000_NS6detail17trampoline_kernelINS0_14default_configENS1_20scan_config_selectorIjEEZZNS1_9scan_implILNS1_25lookback_scan_determinismE0ELb1ELb1ES3_N6thrust23THRUST_200600_302600_NS6detail15normal_iteratorINS9_10device_ptrIjEEEENS9_16discard_iteratorINS9_11use_defaultEEEjNS9_4plusIvEEjEEDaPvRmT3_T4_T5_mT6_P12ihipStream_tbENKUlT_T0_E_clISt17integral_constantIbLb1EESW_IbLb0EEEEDaSS_ST_EUlSS_E0_NS1_11comp_targetILNS1_3genE10ELNS1_11target_archE1200ELNS1_3gpuE4ELNS1_3repE0EEENS1_30default_config_static_selectorELNS0_4arch9wavefront6targetE1EEEvT1_
	.p2align	8
	.type	_ZN7rocprim17ROCPRIM_400000_NS6detail17trampoline_kernelINS0_14default_configENS1_20scan_config_selectorIjEEZZNS1_9scan_implILNS1_25lookback_scan_determinismE0ELb1ELb1ES3_N6thrust23THRUST_200600_302600_NS6detail15normal_iteratorINS9_10device_ptrIjEEEENS9_16discard_iteratorINS9_11use_defaultEEEjNS9_4plusIvEEjEEDaPvRmT3_T4_T5_mT6_P12ihipStream_tbENKUlT_T0_E_clISt17integral_constantIbLb1EESW_IbLb0EEEEDaSS_ST_EUlSS_E0_NS1_11comp_targetILNS1_3genE10ELNS1_11target_archE1200ELNS1_3gpuE4ELNS1_3repE0EEENS1_30default_config_static_selectorELNS0_4arch9wavefront6targetE1EEEvT1_,@function
_ZN7rocprim17ROCPRIM_400000_NS6detail17trampoline_kernelINS0_14default_configENS1_20scan_config_selectorIjEEZZNS1_9scan_implILNS1_25lookback_scan_determinismE0ELb1ELb1ES3_N6thrust23THRUST_200600_302600_NS6detail15normal_iteratorINS9_10device_ptrIjEEEENS9_16discard_iteratorINS9_11use_defaultEEEjNS9_4plusIvEEjEEDaPvRmT3_T4_T5_mT6_P12ihipStream_tbENKUlT_T0_E_clISt17integral_constantIbLb1EESW_IbLb0EEEEDaSS_ST_EUlSS_E0_NS1_11comp_targetILNS1_3genE10ELNS1_11target_archE1200ELNS1_3gpuE4ELNS1_3repE0EEENS1_30default_config_static_selectorELNS0_4arch9wavefront6targetE1EEEvT1_: ; @_ZN7rocprim17ROCPRIM_400000_NS6detail17trampoline_kernelINS0_14default_configENS1_20scan_config_selectorIjEEZZNS1_9scan_implILNS1_25lookback_scan_determinismE0ELb1ELb1ES3_N6thrust23THRUST_200600_302600_NS6detail15normal_iteratorINS9_10device_ptrIjEEEENS9_16discard_iteratorINS9_11use_defaultEEEjNS9_4plusIvEEjEEDaPvRmT3_T4_T5_mT6_P12ihipStream_tbENKUlT_T0_E_clISt17integral_constantIbLb1EESW_IbLb0EEEEDaSS_ST_EUlSS_E0_NS1_11comp_targetILNS1_3genE10ELNS1_11target_archE1200ELNS1_3gpuE4ELNS1_3repE0EEENS1_30default_config_static_selectorELNS0_4arch9wavefront6targetE1EEEvT1_
; %bb.0:
	.section	.rodata,"a",@progbits
	.p2align	6, 0x0
	.amdhsa_kernel _ZN7rocprim17ROCPRIM_400000_NS6detail17trampoline_kernelINS0_14default_configENS1_20scan_config_selectorIjEEZZNS1_9scan_implILNS1_25lookback_scan_determinismE0ELb1ELb1ES3_N6thrust23THRUST_200600_302600_NS6detail15normal_iteratorINS9_10device_ptrIjEEEENS9_16discard_iteratorINS9_11use_defaultEEEjNS9_4plusIvEEjEEDaPvRmT3_T4_T5_mT6_P12ihipStream_tbENKUlT_T0_E_clISt17integral_constantIbLb1EESW_IbLb0EEEEDaSS_ST_EUlSS_E0_NS1_11comp_targetILNS1_3genE10ELNS1_11target_archE1200ELNS1_3gpuE4ELNS1_3repE0EEENS1_30default_config_static_selectorELNS0_4arch9wavefront6targetE1EEEvT1_
		.amdhsa_group_segment_fixed_size 0
		.amdhsa_private_segment_fixed_size 0
		.amdhsa_kernarg_size 40
		.amdhsa_user_sgpr_count 6
		.amdhsa_user_sgpr_private_segment_buffer 1
		.amdhsa_user_sgpr_dispatch_ptr 0
		.amdhsa_user_sgpr_queue_ptr 0
		.amdhsa_user_sgpr_kernarg_segment_ptr 1
		.amdhsa_user_sgpr_dispatch_id 0
		.amdhsa_user_sgpr_flat_scratch_init 0
		.amdhsa_user_sgpr_kernarg_preload_length 0
		.amdhsa_user_sgpr_kernarg_preload_offset 0
		.amdhsa_user_sgpr_private_segment_size 0
		.amdhsa_uses_dynamic_stack 0
		.amdhsa_system_sgpr_private_segment_wavefront_offset 0
		.amdhsa_system_sgpr_workgroup_id_x 1
		.amdhsa_system_sgpr_workgroup_id_y 0
		.amdhsa_system_sgpr_workgroup_id_z 0
		.amdhsa_system_sgpr_workgroup_info 0
		.amdhsa_system_vgpr_workitem_id 0
		.amdhsa_next_free_vgpr 1
		.amdhsa_next_free_sgpr 0
		.amdhsa_accum_offset 4
		.amdhsa_reserve_vcc 0
		.amdhsa_reserve_flat_scratch 0
		.amdhsa_float_round_mode_32 0
		.amdhsa_float_round_mode_16_64 0
		.amdhsa_float_denorm_mode_32 3
		.amdhsa_float_denorm_mode_16_64 3
		.amdhsa_dx10_clamp 1
		.amdhsa_ieee_mode 1
		.amdhsa_fp16_overflow 0
		.amdhsa_tg_split 0
		.amdhsa_exception_fp_ieee_invalid_op 0
		.amdhsa_exception_fp_denorm_src 0
		.amdhsa_exception_fp_ieee_div_zero 0
		.amdhsa_exception_fp_ieee_overflow 0
		.amdhsa_exception_fp_ieee_underflow 0
		.amdhsa_exception_fp_ieee_inexact 0
		.amdhsa_exception_int_div_zero 0
	.end_amdhsa_kernel
	.section	.text._ZN7rocprim17ROCPRIM_400000_NS6detail17trampoline_kernelINS0_14default_configENS1_20scan_config_selectorIjEEZZNS1_9scan_implILNS1_25lookback_scan_determinismE0ELb1ELb1ES3_N6thrust23THRUST_200600_302600_NS6detail15normal_iteratorINS9_10device_ptrIjEEEENS9_16discard_iteratorINS9_11use_defaultEEEjNS9_4plusIvEEjEEDaPvRmT3_T4_T5_mT6_P12ihipStream_tbENKUlT_T0_E_clISt17integral_constantIbLb1EESW_IbLb0EEEEDaSS_ST_EUlSS_E0_NS1_11comp_targetILNS1_3genE10ELNS1_11target_archE1200ELNS1_3gpuE4ELNS1_3repE0EEENS1_30default_config_static_selectorELNS0_4arch9wavefront6targetE1EEEvT1_,"axG",@progbits,_ZN7rocprim17ROCPRIM_400000_NS6detail17trampoline_kernelINS0_14default_configENS1_20scan_config_selectorIjEEZZNS1_9scan_implILNS1_25lookback_scan_determinismE0ELb1ELb1ES3_N6thrust23THRUST_200600_302600_NS6detail15normal_iteratorINS9_10device_ptrIjEEEENS9_16discard_iteratorINS9_11use_defaultEEEjNS9_4plusIvEEjEEDaPvRmT3_T4_T5_mT6_P12ihipStream_tbENKUlT_T0_E_clISt17integral_constantIbLb1EESW_IbLb0EEEEDaSS_ST_EUlSS_E0_NS1_11comp_targetILNS1_3genE10ELNS1_11target_archE1200ELNS1_3gpuE4ELNS1_3repE0EEENS1_30default_config_static_selectorELNS0_4arch9wavefront6targetE1EEEvT1_,comdat
.Lfunc_end5417:
	.size	_ZN7rocprim17ROCPRIM_400000_NS6detail17trampoline_kernelINS0_14default_configENS1_20scan_config_selectorIjEEZZNS1_9scan_implILNS1_25lookback_scan_determinismE0ELb1ELb1ES3_N6thrust23THRUST_200600_302600_NS6detail15normal_iteratorINS9_10device_ptrIjEEEENS9_16discard_iteratorINS9_11use_defaultEEEjNS9_4plusIvEEjEEDaPvRmT3_T4_T5_mT6_P12ihipStream_tbENKUlT_T0_E_clISt17integral_constantIbLb1EESW_IbLb0EEEEDaSS_ST_EUlSS_E0_NS1_11comp_targetILNS1_3genE10ELNS1_11target_archE1200ELNS1_3gpuE4ELNS1_3repE0EEENS1_30default_config_static_selectorELNS0_4arch9wavefront6targetE1EEEvT1_, .Lfunc_end5417-_ZN7rocprim17ROCPRIM_400000_NS6detail17trampoline_kernelINS0_14default_configENS1_20scan_config_selectorIjEEZZNS1_9scan_implILNS1_25lookback_scan_determinismE0ELb1ELb1ES3_N6thrust23THRUST_200600_302600_NS6detail15normal_iteratorINS9_10device_ptrIjEEEENS9_16discard_iteratorINS9_11use_defaultEEEjNS9_4plusIvEEjEEDaPvRmT3_T4_T5_mT6_P12ihipStream_tbENKUlT_T0_E_clISt17integral_constantIbLb1EESW_IbLb0EEEEDaSS_ST_EUlSS_E0_NS1_11comp_targetILNS1_3genE10ELNS1_11target_archE1200ELNS1_3gpuE4ELNS1_3repE0EEENS1_30default_config_static_selectorELNS0_4arch9wavefront6targetE1EEEvT1_
                                        ; -- End function
	.section	.AMDGPU.csdata,"",@progbits
; Kernel info:
; codeLenInByte = 0
; NumSgprs: 4
; NumVgprs: 0
; NumAgprs: 0
; TotalNumVgprs: 0
; ScratchSize: 0
; MemoryBound: 0
; FloatMode: 240
; IeeeMode: 1
; LDSByteSize: 0 bytes/workgroup (compile time only)
; SGPRBlocks: 0
; VGPRBlocks: 0
; NumSGPRsForWavesPerEU: 4
; NumVGPRsForWavesPerEU: 1
; AccumOffset: 4
; Occupancy: 8
; WaveLimiterHint : 0
; COMPUTE_PGM_RSRC2:SCRATCH_EN: 0
; COMPUTE_PGM_RSRC2:USER_SGPR: 6
; COMPUTE_PGM_RSRC2:TRAP_HANDLER: 0
; COMPUTE_PGM_RSRC2:TGID_X_EN: 1
; COMPUTE_PGM_RSRC2:TGID_Y_EN: 0
; COMPUTE_PGM_RSRC2:TGID_Z_EN: 0
; COMPUTE_PGM_RSRC2:TIDIG_COMP_CNT: 0
; COMPUTE_PGM_RSRC3_GFX90A:ACCUM_OFFSET: 0
; COMPUTE_PGM_RSRC3_GFX90A:TG_SPLIT: 0
	.section	.text._ZN7rocprim17ROCPRIM_400000_NS6detail17trampoline_kernelINS0_14default_configENS1_20scan_config_selectorIjEEZZNS1_9scan_implILNS1_25lookback_scan_determinismE0ELb1ELb1ES3_N6thrust23THRUST_200600_302600_NS6detail15normal_iteratorINS9_10device_ptrIjEEEENS9_16discard_iteratorINS9_11use_defaultEEEjNS9_4plusIvEEjEEDaPvRmT3_T4_T5_mT6_P12ihipStream_tbENKUlT_T0_E_clISt17integral_constantIbLb1EESW_IbLb0EEEEDaSS_ST_EUlSS_E0_NS1_11comp_targetILNS1_3genE9ELNS1_11target_archE1100ELNS1_3gpuE3ELNS1_3repE0EEENS1_30default_config_static_selectorELNS0_4arch9wavefront6targetE1EEEvT1_,"axG",@progbits,_ZN7rocprim17ROCPRIM_400000_NS6detail17trampoline_kernelINS0_14default_configENS1_20scan_config_selectorIjEEZZNS1_9scan_implILNS1_25lookback_scan_determinismE0ELb1ELb1ES3_N6thrust23THRUST_200600_302600_NS6detail15normal_iteratorINS9_10device_ptrIjEEEENS9_16discard_iteratorINS9_11use_defaultEEEjNS9_4plusIvEEjEEDaPvRmT3_T4_T5_mT6_P12ihipStream_tbENKUlT_T0_E_clISt17integral_constantIbLb1EESW_IbLb0EEEEDaSS_ST_EUlSS_E0_NS1_11comp_targetILNS1_3genE9ELNS1_11target_archE1100ELNS1_3gpuE3ELNS1_3repE0EEENS1_30default_config_static_selectorELNS0_4arch9wavefront6targetE1EEEvT1_,comdat
	.protected	_ZN7rocprim17ROCPRIM_400000_NS6detail17trampoline_kernelINS0_14default_configENS1_20scan_config_selectorIjEEZZNS1_9scan_implILNS1_25lookback_scan_determinismE0ELb1ELb1ES3_N6thrust23THRUST_200600_302600_NS6detail15normal_iteratorINS9_10device_ptrIjEEEENS9_16discard_iteratorINS9_11use_defaultEEEjNS9_4plusIvEEjEEDaPvRmT3_T4_T5_mT6_P12ihipStream_tbENKUlT_T0_E_clISt17integral_constantIbLb1EESW_IbLb0EEEEDaSS_ST_EUlSS_E0_NS1_11comp_targetILNS1_3genE9ELNS1_11target_archE1100ELNS1_3gpuE3ELNS1_3repE0EEENS1_30default_config_static_selectorELNS0_4arch9wavefront6targetE1EEEvT1_ ; -- Begin function _ZN7rocprim17ROCPRIM_400000_NS6detail17trampoline_kernelINS0_14default_configENS1_20scan_config_selectorIjEEZZNS1_9scan_implILNS1_25lookback_scan_determinismE0ELb1ELb1ES3_N6thrust23THRUST_200600_302600_NS6detail15normal_iteratorINS9_10device_ptrIjEEEENS9_16discard_iteratorINS9_11use_defaultEEEjNS9_4plusIvEEjEEDaPvRmT3_T4_T5_mT6_P12ihipStream_tbENKUlT_T0_E_clISt17integral_constantIbLb1EESW_IbLb0EEEEDaSS_ST_EUlSS_E0_NS1_11comp_targetILNS1_3genE9ELNS1_11target_archE1100ELNS1_3gpuE3ELNS1_3repE0EEENS1_30default_config_static_selectorELNS0_4arch9wavefront6targetE1EEEvT1_
	.globl	_ZN7rocprim17ROCPRIM_400000_NS6detail17trampoline_kernelINS0_14default_configENS1_20scan_config_selectorIjEEZZNS1_9scan_implILNS1_25lookback_scan_determinismE0ELb1ELb1ES3_N6thrust23THRUST_200600_302600_NS6detail15normal_iteratorINS9_10device_ptrIjEEEENS9_16discard_iteratorINS9_11use_defaultEEEjNS9_4plusIvEEjEEDaPvRmT3_T4_T5_mT6_P12ihipStream_tbENKUlT_T0_E_clISt17integral_constantIbLb1EESW_IbLb0EEEEDaSS_ST_EUlSS_E0_NS1_11comp_targetILNS1_3genE9ELNS1_11target_archE1100ELNS1_3gpuE3ELNS1_3repE0EEENS1_30default_config_static_selectorELNS0_4arch9wavefront6targetE1EEEvT1_
	.p2align	8
	.type	_ZN7rocprim17ROCPRIM_400000_NS6detail17trampoline_kernelINS0_14default_configENS1_20scan_config_selectorIjEEZZNS1_9scan_implILNS1_25lookback_scan_determinismE0ELb1ELb1ES3_N6thrust23THRUST_200600_302600_NS6detail15normal_iteratorINS9_10device_ptrIjEEEENS9_16discard_iteratorINS9_11use_defaultEEEjNS9_4plusIvEEjEEDaPvRmT3_T4_T5_mT6_P12ihipStream_tbENKUlT_T0_E_clISt17integral_constantIbLb1EESW_IbLb0EEEEDaSS_ST_EUlSS_E0_NS1_11comp_targetILNS1_3genE9ELNS1_11target_archE1100ELNS1_3gpuE3ELNS1_3repE0EEENS1_30default_config_static_selectorELNS0_4arch9wavefront6targetE1EEEvT1_,@function
_ZN7rocprim17ROCPRIM_400000_NS6detail17trampoline_kernelINS0_14default_configENS1_20scan_config_selectorIjEEZZNS1_9scan_implILNS1_25lookback_scan_determinismE0ELb1ELb1ES3_N6thrust23THRUST_200600_302600_NS6detail15normal_iteratorINS9_10device_ptrIjEEEENS9_16discard_iteratorINS9_11use_defaultEEEjNS9_4plusIvEEjEEDaPvRmT3_T4_T5_mT6_P12ihipStream_tbENKUlT_T0_E_clISt17integral_constantIbLb1EESW_IbLb0EEEEDaSS_ST_EUlSS_E0_NS1_11comp_targetILNS1_3genE9ELNS1_11target_archE1100ELNS1_3gpuE3ELNS1_3repE0EEENS1_30default_config_static_selectorELNS0_4arch9wavefront6targetE1EEEvT1_: ; @_ZN7rocprim17ROCPRIM_400000_NS6detail17trampoline_kernelINS0_14default_configENS1_20scan_config_selectorIjEEZZNS1_9scan_implILNS1_25lookback_scan_determinismE0ELb1ELb1ES3_N6thrust23THRUST_200600_302600_NS6detail15normal_iteratorINS9_10device_ptrIjEEEENS9_16discard_iteratorINS9_11use_defaultEEEjNS9_4plusIvEEjEEDaPvRmT3_T4_T5_mT6_P12ihipStream_tbENKUlT_T0_E_clISt17integral_constantIbLb1EESW_IbLb0EEEEDaSS_ST_EUlSS_E0_NS1_11comp_targetILNS1_3genE9ELNS1_11target_archE1100ELNS1_3gpuE3ELNS1_3repE0EEENS1_30default_config_static_selectorELNS0_4arch9wavefront6targetE1EEEvT1_
; %bb.0:
	.section	.rodata,"a",@progbits
	.p2align	6, 0x0
	.amdhsa_kernel _ZN7rocprim17ROCPRIM_400000_NS6detail17trampoline_kernelINS0_14default_configENS1_20scan_config_selectorIjEEZZNS1_9scan_implILNS1_25lookback_scan_determinismE0ELb1ELb1ES3_N6thrust23THRUST_200600_302600_NS6detail15normal_iteratorINS9_10device_ptrIjEEEENS9_16discard_iteratorINS9_11use_defaultEEEjNS9_4plusIvEEjEEDaPvRmT3_T4_T5_mT6_P12ihipStream_tbENKUlT_T0_E_clISt17integral_constantIbLb1EESW_IbLb0EEEEDaSS_ST_EUlSS_E0_NS1_11comp_targetILNS1_3genE9ELNS1_11target_archE1100ELNS1_3gpuE3ELNS1_3repE0EEENS1_30default_config_static_selectorELNS0_4arch9wavefront6targetE1EEEvT1_
		.amdhsa_group_segment_fixed_size 0
		.amdhsa_private_segment_fixed_size 0
		.amdhsa_kernarg_size 40
		.amdhsa_user_sgpr_count 6
		.amdhsa_user_sgpr_private_segment_buffer 1
		.amdhsa_user_sgpr_dispatch_ptr 0
		.amdhsa_user_sgpr_queue_ptr 0
		.amdhsa_user_sgpr_kernarg_segment_ptr 1
		.amdhsa_user_sgpr_dispatch_id 0
		.amdhsa_user_sgpr_flat_scratch_init 0
		.amdhsa_user_sgpr_kernarg_preload_length 0
		.amdhsa_user_sgpr_kernarg_preload_offset 0
		.amdhsa_user_sgpr_private_segment_size 0
		.amdhsa_uses_dynamic_stack 0
		.amdhsa_system_sgpr_private_segment_wavefront_offset 0
		.amdhsa_system_sgpr_workgroup_id_x 1
		.amdhsa_system_sgpr_workgroup_id_y 0
		.amdhsa_system_sgpr_workgroup_id_z 0
		.amdhsa_system_sgpr_workgroup_info 0
		.amdhsa_system_vgpr_workitem_id 0
		.amdhsa_next_free_vgpr 1
		.amdhsa_next_free_sgpr 0
		.amdhsa_accum_offset 4
		.amdhsa_reserve_vcc 0
		.amdhsa_reserve_flat_scratch 0
		.amdhsa_float_round_mode_32 0
		.amdhsa_float_round_mode_16_64 0
		.amdhsa_float_denorm_mode_32 3
		.amdhsa_float_denorm_mode_16_64 3
		.amdhsa_dx10_clamp 1
		.amdhsa_ieee_mode 1
		.amdhsa_fp16_overflow 0
		.amdhsa_tg_split 0
		.amdhsa_exception_fp_ieee_invalid_op 0
		.amdhsa_exception_fp_denorm_src 0
		.amdhsa_exception_fp_ieee_div_zero 0
		.amdhsa_exception_fp_ieee_overflow 0
		.amdhsa_exception_fp_ieee_underflow 0
		.amdhsa_exception_fp_ieee_inexact 0
		.amdhsa_exception_int_div_zero 0
	.end_amdhsa_kernel
	.section	.text._ZN7rocprim17ROCPRIM_400000_NS6detail17trampoline_kernelINS0_14default_configENS1_20scan_config_selectorIjEEZZNS1_9scan_implILNS1_25lookback_scan_determinismE0ELb1ELb1ES3_N6thrust23THRUST_200600_302600_NS6detail15normal_iteratorINS9_10device_ptrIjEEEENS9_16discard_iteratorINS9_11use_defaultEEEjNS9_4plusIvEEjEEDaPvRmT3_T4_T5_mT6_P12ihipStream_tbENKUlT_T0_E_clISt17integral_constantIbLb1EESW_IbLb0EEEEDaSS_ST_EUlSS_E0_NS1_11comp_targetILNS1_3genE9ELNS1_11target_archE1100ELNS1_3gpuE3ELNS1_3repE0EEENS1_30default_config_static_selectorELNS0_4arch9wavefront6targetE1EEEvT1_,"axG",@progbits,_ZN7rocprim17ROCPRIM_400000_NS6detail17trampoline_kernelINS0_14default_configENS1_20scan_config_selectorIjEEZZNS1_9scan_implILNS1_25lookback_scan_determinismE0ELb1ELb1ES3_N6thrust23THRUST_200600_302600_NS6detail15normal_iteratorINS9_10device_ptrIjEEEENS9_16discard_iteratorINS9_11use_defaultEEEjNS9_4plusIvEEjEEDaPvRmT3_T4_T5_mT6_P12ihipStream_tbENKUlT_T0_E_clISt17integral_constantIbLb1EESW_IbLb0EEEEDaSS_ST_EUlSS_E0_NS1_11comp_targetILNS1_3genE9ELNS1_11target_archE1100ELNS1_3gpuE3ELNS1_3repE0EEENS1_30default_config_static_selectorELNS0_4arch9wavefront6targetE1EEEvT1_,comdat
.Lfunc_end5418:
	.size	_ZN7rocprim17ROCPRIM_400000_NS6detail17trampoline_kernelINS0_14default_configENS1_20scan_config_selectorIjEEZZNS1_9scan_implILNS1_25lookback_scan_determinismE0ELb1ELb1ES3_N6thrust23THRUST_200600_302600_NS6detail15normal_iteratorINS9_10device_ptrIjEEEENS9_16discard_iteratorINS9_11use_defaultEEEjNS9_4plusIvEEjEEDaPvRmT3_T4_T5_mT6_P12ihipStream_tbENKUlT_T0_E_clISt17integral_constantIbLb1EESW_IbLb0EEEEDaSS_ST_EUlSS_E0_NS1_11comp_targetILNS1_3genE9ELNS1_11target_archE1100ELNS1_3gpuE3ELNS1_3repE0EEENS1_30default_config_static_selectorELNS0_4arch9wavefront6targetE1EEEvT1_, .Lfunc_end5418-_ZN7rocprim17ROCPRIM_400000_NS6detail17trampoline_kernelINS0_14default_configENS1_20scan_config_selectorIjEEZZNS1_9scan_implILNS1_25lookback_scan_determinismE0ELb1ELb1ES3_N6thrust23THRUST_200600_302600_NS6detail15normal_iteratorINS9_10device_ptrIjEEEENS9_16discard_iteratorINS9_11use_defaultEEEjNS9_4plusIvEEjEEDaPvRmT3_T4_T5_mT6_P12ihipStream_tbENKUlT_T0_E_clISt17integral_constantIbLb1EESW_IbLb0EEEEDaSS_ST_EUlSS_E0_NS1_11comp_targetILNS1_3genE9ELNS1_11target_archE1100ELNS1_3gpuE3ELNS1_3repE0EEENS1_30default_config_static_selectorELNS0_4arch9wavefront6targetE1EEEvT1_
                                        ; -- End function
	.section	.AMDGPU.csdata,"",@progbits
; Kernel info:
; codeLenInByte = 0
; NumSgprs: 4
; NumVgprs: 0
; NumAgprs: 0
; TotalNumVgprs: 0
; ScratchSize: 0
; MemoryBound: 0
; FloatMode: 240
; IeeeMode: 1
; LDSByteSize: 0 bytes/workgroup (compile time only)
; SGPRBlocks: 0
; VGPRBlocks: 0
; NumSGPRsForWavesPerEU: 4
; NumVGPRsForWavesPerEU: 1
; AccumOffset: 4
; Occupancy: 8
; WaveLimiterHint : 0
; COMPUTE_PGM_RSRC2:SCRATCH_EN: 0
; COMPUTE_PGM_RSRC2:USER_SGPR: 6
; COMPUTE_PGM_RSRC2:TRAP_HANDLER: 0
; COMPUTE_PGM_RSRC2:TGID_X_EN: 1
; COMPUTE_PGM_RSRC2:TGID_Y_EN: 0
; COMPUTE_PGM_RSRC2:TGID_Z_EN: 0
; COMPUTE_PGM_RSRC2:TIDIG_COMP_CNT: 0
; COMPUTE_PGM_RSRC3_GFX90A:ACCUM_OFFSET: 0
; COMPUTE_PGM_RSRC3_GFX90A:TG_SPLIT: 0
	.section	.text._ZN7rocprim17ROCPRIM_400000_NS6detail17trampoline_kernelINS0_14default_configENS1_20scan_config_selectorIjEEZZNS1_9scan_implILNS1_25lookback_scan_determinismE0ELb1ELb1ES3_N6thrust23THRUST_200600_302600_NS6detail15normal_iteratorINS9_10device_ptrIjEEEENS9_16discard_iteratorINS9_11use_defaultEEEjNS9_4plusIvEEjEEDaPvRmT3_T4_T5_mT6_P12ihipStream_tbENKUlT_T0_E_clISt17integral_constantIbLb1EESW_IbLb0EEEEDaSS_ST_EUlSS_E0_NS1_11comp_targetILNS1_3genE8ELNS1_11target_archE1030ELNS1_3gpuE2ELNS1_3repE0EEENS1_30default_config_static_selectorELNS0_4arch9wavefront6targetE1EEEvT1_,"axG",@progbits,_ZN7rocprim17ROCPRIM_400000_NS6detail17trampoline_kernelINS0_14default_configENS1_20scan_config_selectorIjEEZZNS1_9scan_implILNS1_25lookback_scan_determinismE0ELb1ELb1ES3_N6thrust23THRUST_200600_302600_NS6detail15normal_iteratorINS9_10device_ptrIjEEEENS9_16discard_iteratorINS9_11use_defaultEEEjNS9_4plusIvEEjEEDaPvRmT3_T4_T5_mT6_P12ihipStream_tbENKUlT_T0_E_clISt17integral_constantIbLb1EESW_IbLb0EEEEDaSS_ST_EUlSS_E0_NS1_11comp_targetILNS1_3genE8ELNS1_11target_archE1030ELNS1_3gpuE2ELNS1_3repE0EEENS1_30default_config_static_selectorELNS0_4arch9wavefront6targetE1EEEvT1_,comdat
	.protected	_ZN7rocprim17ROCPRIM_400000_NS6detail17trampoline_kernelINS0_14default_configENS1_20scan_config_selectorIjEEZZNS1_9scan_implILNS1_25lookback_scan_determinismE0ELb1ELb1ES3_N6thrust23THRUST_200600_302600_NS6detail15normal_iteratorINS9_10device_ptrIjEEEENS9_16discard_iteratorINS9_11use_defaultEEEjNS9_4plusIvEEjEEDaPvRmT3_T4_T5_mT6_P12ihipStream_tbENKUlT_T0_E_clISt17integral_constantIbLb1EESW_IbLb0EEEEDaSS_ST_EUlSS_E0_NS1_11comp_targetILNS1_3genE8ELNS1_11target_archE1030ELNS1_3gpuE2ELNS1_3repE0EEENS1_30default_config_static_selectorELNS0_4arch9wavefront6targetE1EEEvT1_ ; -- Begin function _ZN7rocprim17ROCPRIM_400000_NS6detail17trampoline_kernelINS0_14default_configENS1_20scan_config_selectorIjEEZZNS1_9scan_implILNS1_25lookback_scan_determinismE0ELb1ELb1ES3_N6thrust23THRUST_200600_302600_NS6detail15normal_iteratorINS9_10device_ptrIjEEEENS9_16discard_iteratorINS9_11use_defaultEEEjNS9_4plusIvEEjEEDaPvRmT3_T4_T5_mT6_P12ihipStream_tbENKUlT_T0_E_clISt17integral_constantIbLb1EESW_IbLb0EEEEDaSS_ST_EUlSS_E0_NS1_11comp_targetILNS1_3genE8ELNS1_11target_archE1030ELNS1_3gpuE2ELNS1_3repE0EEENS1_30default_config_static_selectorELNS0_4arch9wavefront6targetE1EEEvT1_
	.globl	_ZN7rocprim17ROCPRIM_400000_NS6detail17trampoline_kernelINS0_14default_configENS1_20scan_config_selectorIjEEZZNS1_9scan_implILNS1_25lookback_scan_determinismE0ELb1ELb1ES3_N6thrust23THRUST_200600_302600_NS6detail15normal_iteratorINS9_10device_ptrIjEEEENS9_16discard_iteratorINS9_11use_defaultEEEjNS9_4plusIvEEjEEDaPvRmT3_T4_T5_mT6_P12ihipStream_tbENKUlT_T0_E_clISt17integral_constantIbLb1EESW_IbLb0EEEEDaSS_ST_EUlSS_E0_NS1_11comp_targetILNS1_3genE8ELNS1_11target_archE1030ELNS1_3gpuE2ELNS1_3repE0EEENS1_30default_config_static_selectorELNS0_4arch9wavefront6targetE1EEEvT1_
	.p2align	8
	.type	_ZN7rocprim17ROCPRIM_400000_NS6detail17trampoline_kernelINS0_14default_configENS1_20scan_config_selectorIjEEZZNS1_9scan_implILNS1_25lookback_scan_determinismE0ELb1ELb1ES3_N6thrust23THRUST_200600_302600_NS6detail15normal_iteratorINS9_10device_ptrIjEEEENS9_16discard_iteratorINS9_11use_defaultEEEjNS9_4plusIvEEjEEDaPvRmT3_T4_T5_mT6_P12ihipStream_tbENKUlT_T0_E_clISt17integral_constantIbLb1EESW_IbLb0EEEEDaSS_ST_EUlSS_E0_NS1_11comp_targetILNS1_3genE8ELNS1_11target_archE1030ELNS1_3gpuE2ELNS1_3repE0EEENS1_30default_config_static_selectorELNS0_4arch9wavefront6targetE1EEEvT1_,@function
_ZN7rocprim17ROCPRIM_400000_NS6detail17trampoline_kernelINS0_14default_configENS1_20scan_config_selectorIjEEZZNS1_9scan_implILNS1_25lookback_scan_determinismE0ELb1ELb1ES3_N6thrust23THRUST_200600_302600_NS6detail15normal_iteratorINS9_10device_ptrIjEEEENS9_16discard_iteratorINS9_11use_defaultEEEjNS9_4plusIvEEjEEDaPvRmT3_T4_T5_mT6_P12ihipStream_tbENKUlT_T0_E_clISt17integral_constantIbLb1EESW_IbLb0EEEEDaSS_ST_EUlSS_E0_NS1_11comp_targetILNS1_3genE8ELNS1_11target_archE1030ELNS1_3gpuE2ELNS1_3repE0EEENS1_30default_config_static_selectorELNS0_4arch9wavefront6targetE1EEEvT1_: ; @_ZN7rocprim17ROCPRIM_400000_NS6detail17trampoline_kernelINS0_14default_configENS1_20scan_config_selectorIjEEZZNS1_9scan_implILNS1_25lookback_scan_determinismE0ELb1ELb1ES3_N6thrust23THRUST_200600_302600_NS6detail15normal_iteratorINS9_10device_ptrIjEEEENS9_16discard_iteratorINS9_11use_defaultEEEjNS9_4plusIvEEjEEDaPvRmT3_T4_T5_mT6_P12ihipStream_tbENKUlT_T0_E_clISt17integral_constantIbLb1EESW_IbLb0EEEEDaSS_ST_EUlSS_E0_NS1_11comp_targetILNS1_3genE8ELNS1_11target_archE1030ELNS1_3gpuE2ELNS1_3repE0EEENS1_30default_config_static_selectorELNS0_4arch9wavefront6targetE1EEEvT1_
; %bb.0:
	.section	.rodata,"a",@progbits
	.p2align	6, 0x0
	.amdhsa_kernel _ZN7rocprim17ROCPRIM_400000_NS6detail17trampoline_kernelINS0_14default_configENS1_20scan_config_selectorIjEEZZNS1_9scan_implILNS1_25lookback_scan_determinismE0ELb1ELb1ES3_N6thrust23THRUST_200600_302600_NS6detail15normal_iteratorINS9_10device_ptrIjEEEENS9_16discard_iteratorINS9_11use_defaultEEEjNS9_4plusIvEEjEEDaPvRmT3_T4_T5_mT6_P12ihipStream_tbENKUlT_T0_E_clISt17integral_constantIbLb1EESW_IbLb0EEEEDaSS_ST_EUlSS_E0_NS1_11comp_targetILNS1_3genE8ELNS1_11target_archE1030ELNS1_3gpuE2ELNS1_3repE0EEENS1_30default_config_static_selectorELNS0_4arch9wavefront6targetE1EEEvT1_
		.amdhsa_group_segment_fixed_size 0
		.amdhsa_private_segment_fixed_size 0
		.amdhsa_kernarg_size 40
		.amdhsa_user_sgpr_count 6
		.amdhsa_user_sgpr_private_segment_buffer 1
		.amdhsa_user_sgpr_dispatch_ptr 0
		.amdhsa_user_sgpr_queue_ptr 0
		.amdhsa_user_sgpr_kernarg_segment_ptr 1
		.amdhsa_user_sgpr_dispatch_id 0
		.amdhsa_user_sgpr_flat_scratch_init 0
		.amdhsa_user_sgpr_kernarg_preload_length 0
		.amdhsa_user_sgpr_kernarg_preload_offset 0
		.amdhsa_user_sgpr_private_segment_size 0
		.amdhsa_uses_dynamic_stack 0
		.amdhsa_system_sgpr_private_segment_wavefront_offset 0
		.amdhsa_system_sgpr_workgroup_id_x 1
		.amdhsa_system_sgpr_workgroup_id_y 0
		.amdhsa_system_sgpr_workgroup_id_z 0
		.amdhsa_system_sgpr_workgroup_info 0
		.amdhsa_system_vgpr_workitem_id 0
		.amdhsa_next_free_vgpr 1
		.amdhsa_next_free_sgpr 0
		.amdhsa_accum_offset 4
		.amdhsa_reserve_vcc 0
		.amdhsa_reserve_flat_scratch 0
		.amdhsa_float_round_mode_32 0
		.amdhsa_float_round_mode_16_64 0
		.amdhsa_float_denorm_mode_32 3
		.amdhsa_float_denorm_mode_16_64 3
		.amdhsa_dx10_clamp 1
		.amdhsa_ieee_mode 1
		.amdhsa_fp16_overflow 0
		.amdhsa_tg_split 0
		.amdhsa_exception_fp_ieee_invalid_op 0
		.amdhsa_exception_fp_denorm_src 0
		.amdhsa_exception_fp_ieee_div_zero 0
		.amdhsa_exception_fp_ieee_overflow 0
		.amdhsa_exception_fp_ieee_underflow 0
		.amdhsa_exception_fp_ieee_inexact 0
		.amdhsa_exception_int_div_zero 0
	.end_amdhsa_kernel
	.section	.text._ZN7rocprim17ROCPRIM_400000_NS6detail17trampoline_kernelINS0_14default_configENS1_20scan_config_selectorIjEEZZNS1_9scan_implILNS1_25lookback_scan_determinismE0ELb1ELb1ES3_N6thrust23THRUST_200600_302600_NS6detail15normal_iteratorINS9_10device_ptrIjEEEENS9_16discard_iteratorINS9_11use_defaultEEEjNS9_4plusIvEEjEEDaPvRmT3_T4_T5_mT6_P12ihipStream_tbENKUlT_T0_E_clISt17integral_constantIbLb1EESW_IbLb0EEEEDaSS_ST_EUlSS_E0_NS1_11comp_targetILNS1_3genE8ELNS1_11target_archE1030ELNS1_3gpuE2ELNS1_3repE0EEENS1_30default_config_static_selectorELNS0_4arch9wavefront6targetE1EEEvT1_,"axG",@progbits,_ZN7rocprim17ROCPRIM_400000_NS6detail17trampoline_kernelINS0_14default_configENS1_20scan_config_selectorIjEEZZNS1_9scan_implILNS1_25lookback_scan_determinismE0ELb1ELb1ES3_N6thrust23THRUST_200600_302600_NS6detail15normal_iteratorINS9_10device_ptrIjEEEENS9_16discard_iteratorINS9_11use_defaultEEEjNS9_4plusIvEEjEEDaPvRmT3_T4_T5_mT6_P12ihipStream_tbENKUlT_T0_E_clISt17integral_constantIbLb1EESW_IbLb0EEEEDaSS_ST_EUlSS_E0_NS1_11comp_targetILNS1_3genE8ELNS1_11target_archE1030ELNS1_3gpuE2ELNS1_3repE0EEENS1_30default_config_static_selectorELNS0_4arch9wavefront6targetE1EEEvT1_,comdat
.Lfunc_end5419:
	.size	_ZN7rocprim17ROCPRIM_400000_NS6detail17trampoline_kernelINS0_14default_configENS1_20scan_config_selectorIjEEZZNS1_9scan_implILNS1_25lookback_scan_determinismE0ELb1ELb1ES3_N6thrust23THRUST_200600_302600_NS6detail15normal_iteratorINS9_10device_ptrIjEEEENS9_16discard_iteratorINS9_11use_defaultEEEjNS9_4plusIvEEjEEDaPvRmT3_T4_T5_mT6_P12ihipStream_tbENKUlT_T0_E_clISt17integral_constantIbLb1EESW_IbLb0EEEEDaSS_ST_EUlSS_E0_NS1_11comp_targetILNS1_3genE8ELNS1_11target_archE1030ELNS1_3gpuE2ELNS1_3repE0EEENS1_30default_config_static_selectorELNS0_4arch9wavefront6targetE1EEEvT1_, .Lfunc_end5419-_ZN7rocprim17ROCPRIM_400000_NS6detail17trampoline_kernelINS0_14default_configENS1_20scan_config_selectorIjEEZZNS1_9scan_implILNS1_25lookback_scan_determinismE0ELb1ELb1ES3_N6thrust23THRUST_200600_302600_NS6detail15normal_iteratorINS9_10device_ptrIjEEEENS9_16discard_iteratorINS9_11use_defaultEEEjNS9_4plusIvEEjEEDaPvRmT3_T4_T5_mT6_P12ihipStream_tbENKUlT_T0_E_clISt17integral_constantIbLb1EESW_IbLb0EEEEDaSS_ST_EUlSS_E0_NS1_11comp_targetILNS1_3genE8ELNS1_11target_archE1030ELNS1_3gpuE2ELNS1_3repE0EEENS1_30default_config_static_selectorELNS0_4arch9wavefront6targetE1EEEvT1_
                                        ; -- End function
	.section	.AMDGPU.csdata,"",@progbits
; Kernel info:
; codeLenInByte = 0
; NumSgprs: 4
; NumVgprs: 0
; NumAgprs: 0
; TotalNumVgprs: 0
; ScratchSize: 0
; MemoryBound: 0
; FloatMode: 240
; IeeeMode: 1
; LDSByteSize: 0 bytes/workgroup (compile time only)
; SGPRBlocks: 0
; VGPRBlocks: 0
; NumSGPRsForWavesPerEU: 4
; NumVGPRsForWavesPerEU: 1
; AccumOffset: 4
; Occupancy: 8
; WaveLimiterHint : 0
; COMPUTE_PGM_RSRC2:SCRATCH_EN: 0
; COMPUTE_PGM_RSRC2:USER_SGPR: 6
; COMPUTE_PGM_RSRC2:TRAP_HANDLER: 0
; COMPUTE_PGM_RSRC2:TGID_X_EN: 1
; COMPUTE_PGM_RSRC2:TGID_Y_EN: 0
; COMPUTE_PGM_RSRC2:TGID_Z_EN: 0
; COMPUTE_PGM_RSRC2:TIDIG_COMP_CNT: 0
; COMPUTE_PGM_RSRC3_GFX90A:ACCUM_OFFSET: 0
; COMPUTE_PGM_RSRC3_GFX90A:TG_SPLIT: 0
	.section	.text._ZN7rocprim17ROCPRIM_400000_NS6detail17trampoline_kernelINS0_14default_configENS1_20scan_config_selectorIjEEZZNS1_9scan_implILNS1_25lookback_scan_determinismE0ELb1ELb1ES3_N6thrust23THRUST_200600_302600_NS6detail15normal_iteratorINS9_10device_ptrIjEEEENS9_16discard_iteratorINS9_11use_defaultEEEjNS9_4plusIvEEjEEDaPvRmT3_T4_T5_mT6_P12ihipStream_tbENKUlT_T0_E_clISt17integral_constantIbLb0EESW_IbLb1EEEEDaSS_ST_EUlSS_E_NS1_11comp_targetILNS1_3genE0ELNS1_11target_archE4294967295ELNS1_3gpuE0ELNS1_3repE0EEENS1_30default_config_static_selectorELNS0_4arch9wavefront6targetE1EEEvT1_,"axG",@progbits,_ZN7rocprim17ROCPRIM_400000_NS6detail17trampoline_kernelINS0_14default_configENS1_20scan_config_selectorIjEEZZNS1_9scan_implILNS1_25lookback_scan_determinismE0ELb1ELb1ES3_N6thrust23THRUST_200600_302600_NS6detail15normal_iteratorINS9_10device_ptrIjEEEENS9_16discard_iteratorINS9_11use_defaultEEEjNS9_4plusIvEEjEEDaPvRmT3_T4_T5_mT6_P12ihipStream_tbENKUlT_T0_E_clISt17integral_constantIbLb0EESW_IbLb1EEEEDaSS_ST_EUlSS_E_NS1_11comp_targetILNS1_3genE0ELNS1_11target_archE4294967295ELNS1_3gpuE0ELNS1_3repE0EEENS1_30default_config_static_selectorELNS0_4arch9wavefront6targetE1EEEvT1_,comdat
	.protected	_ZN7rocprim17ROCPRIM_400000_NS6detail17trampoline_kernelINS0_14default_configENS1_20scan_config_selectorIjEEZZNS1_9scan_implILNS1_25lookback_scan_determinismE0ELb1ELb1ES3_N6thrust23THRUST_200600_302600_NS6detail15normal_iteratorINS9_10device_ptrIjEEEENS9_16discard_iteratorINS9_11use_defaultEEEjNS9_4plusIvEEjEEDaPvRmT3_T4_T5_mT6_P12ihipStream_tbENKUlT_T0_E_clISt17integral_constantIbLb0EESW_IbLb1EEEEDaSS_ST_EUlSS_E_NS1_11comp_targetILNS1_3genE0ELNS1_11target_archE4294967295ELNS1_3gpuE0ELNS1_3repE0EEENS1_30default_config_static_selectorELNS0_4arch9wavefront6targetE1EEEvT1_ ; -- Begin function _ZN7rocprim17ROCPRIM_400000_NS6detail17trampoline_kernelINS0_14default_configENS1_20scan_config_selectorIjEEZZNS1_9scan_implILNS1_25lookback_scan_determinismE0ELb1ELb1ES3_N6thrust23THRUST_200600_302600_NS6detail15normal_iteratorINS9_10device_ptrIjEEEENS9_16discard_iteratorINS9_11use_defaultEEEjNS9_4plusIvEEjEEDaPvRmT3_T4_T5_mT6_P12ihipStream_tbENKUlT_T0_E_clISt17integral_constantIbLb0EESW_IbLb1EEEEDaSS_ST_EUlSS_E_NS1_11comp_targetILNS1_3genE0ELNS1_11target_archE4294967295ELNS1_3gpuE0ELNS1_3repE0EEENS1_30default_config_static_selectorELNS0_4arch9wavefront6targetE1EEEvT1_
	.globl	_ZN7rocprim17ROCPRIM_400000_NS6detail17trampoline_kernelINS0_14default_configENS1_20scan_config_selectorIjEEZZNS1_9scan_implILNS1_25lookback_scan_determinismE0ELb1ELb1ES3_N6thrust23THRUST_200600_302600_NS6detail15normal_iteratorINS9_10device_ptrIjEEEENS9_16discard_iteratorINS9_11use_defaultEEEjNS9_4plusIvEEjEEDaPvRmT3_T4_T5_mT6_P12ihipStream_tbENKUlT_T0_E_clISt17integral_constantIbLb0EESW_IbLb1EEEEDaSS_ST_EUlSS_E_NS1_11comp_targetILNS1_3genE0ELNS1_11target_archE4294967295ELNS1_3gpuE0ELNS1_3repE0EEENS1_30default_config_static_selectorELNS0_4arch9wavefront6targetE1EEEvT1_
	.p2align	8
	.type	_ZN7rocprim17ROCPRIM_400000_NS6detail17trampoline_kernelINS0_14default_configENS1_20scan_config_selectorIjEEZZNS1_9scan_implILNS1_25lookback_scan_determinismE0ELb1ELb1ES3_N6thrust23THRUST_200600_302600_NS6detail15normal_iteratorINS9_10device_ptrIjEEEENS9_16discard_iteratorINS9_11use_defaultEEEjNS9_4plusIvEEjEEDaPvRmT3_T4_T5_mT6_P12ihipStream_tbENKUlT_T0_E_clISt17integral_constantIbLb0EESW_IbLb1EEEEDaSS_ST_EUlSS_E_NS1_11comp_targetILNS1_3genE0ELNS1_11target_archE4294967295ELNS1_3gpuE0ELNS1_3repE0EEENS1_30default_config_static_selectorELNS0_4arch9wavefront6targetE1EEEvT1_,@function
_ZN7rocprim17ROCPRIM_400000_NS6detail17trampoline_kernelINS0_14default_configENS1_20scan_config_selectorIjEEZZNS1_9scan_implILNS1_25lookback_scan_determinismE0ELb1ELb1ES3_N6thrust23THRUST_200600_302600_NS6detail15normal_iteratorINS9_10device_ptrIjEEEENS9_16discard_iteratorINS9_11use_defaultEEEjNS9_4plusIvEEjEEDaPvRmT3_T4_T5_mT6_P12ihipStream_tbENKUlT_T0_E_clISt17integral_constantIbLb0EESW_IbLb1EEEEDaSS_ST_EUlSS_E_NS1_11comp_targetILNS1_3genE0ELNS1_11target_archE4294967295ELNS1_3gpuE0ELNS1_3repE0EEENS1_30default_config_static_selectorELNS0_4arch9wavefront6targetE1EEEvT1_: ; @_ZN7rocprim17ROCPRIM_400000_NS6detail17trampoline_kernelINS0_14default_configENS1_20scan_config_selectorIjEEZZNS1_9scan_implILNS1_25lookback_scan_determinismE0ELb1ELb1ES3_N6thrust23THRUST_200600_302600_NS6detail15normal_iteratorINS9_10device_ptrIjEEEENS9_16discard_iteratorINS9_11use_defaultEEEjNS9_4plusIvEEjEEDaPvRmT3_T4_T5_mT6_P12ihipStream_tbENKUlT_T0_E_clISt17integral_constantIbLb0EESW_IbLb1EEEEDaSS_ST_EUlSS_E_NS1_11comp_targetILNS1_3genE0ELNS1_11target_archE4294967295ELNS1_3gpuE0ELNS1_3repE0EEENS1_30default_config_static_selectorELNS0_4arch9wavefront6targetE1EEEvT1_
; %bb.0:
	.section	.rodata,"a",@progbits
	.p2align	6, 0x0
	.amdhsa_kernel _ZN7rocprim17ROCPRIM_400000_NS6detail17trampoline_kernelINS0_14default_configENS1_20scan_config_selectorIjEEZZNS1_9scan_implILNS1_25lookback_scan_determinismE0ELb1ELb1ES3_N6thrust23THRUST_200600_302600_NS6detail15normal_iteratorINS9_10device_ptrIjEEEENS9_16discard_iteratorINS9_11use_defaultEEEjNS9_4plusIvEEjEEDaPvRmT3_T4_T5_mT6_P12ihipStream_tbENKUlT_T0_E_clISt17integral_constantIbLb0EESW_IbLb1EEEEDaSS_ST_EUlSS_E_NS1_11comp_targetILNS1_3genE0ELNS1_11target_archE4294967295ELNS1_3gpuE0ELNS1_3repE0EEENS1_30default_config_static_selectorELNS0_4arch9wavefront6targetE1EEEvT1_
		.amdhsa_group_segment_fixed_size 0
		.amdhsa_private_segment_fixed_size 0
		.amdhsa_kernarg_size 104
		.amdhsa_user_sgpr_count 6
		.amdhsa_user_sgpr_private_segment_buffer 1
		.amdhsa_user_sgpr_dispatch_ptr 0
		.amdhsa_user_sgpr_queue_ptr 0
		.amdhsa_user_sgpr_kernarg_segment_ptr 1
		.amdhsa_user_sgpr_dispatch_id 0
		.amdhsa_user_sgpr_flat_scratch_init 0
		.amdhsa_user_sgpr_kernarg_preload_length 0
		.amdhsa_user_sgpr_kernarg_preload_offset 0
		.amdhsa_user_sgpr_private_segment_size 0
		.amdhsa_uses_dynamic_stack 0
		.amdhsa_system_sgpr_private_segment_wavefront_offset 0
		.amdhsa_system_sgpr_workgroup_id_x 1
		.amdhsa_system_sgpr_workgroup_id_y 0
		.amdhsa_system_sgpr_workgroup_id_z 0
		.amdhsa_system_sgpr_workgroup_info 0
		.amdhsa_system_vgpr_workitem_id 0
		.amdhsa_next_free_vgpr 1
		.amdhsa_next_free_sgpr 0
		.amdhsa_accum_offset 4
		.amdhsa_reserve_vcc 0
		.amdhsa_reserve_flat_scratch 0
		.amdhsa_float_round_mode_32 0
		.amdhsa_float_round_mode_16_64 0
		.amdhsa_float_denorm_mode_32 3
		.amdhsa_float_denorm_mode_16_64 3
		.amdhsa_dx10_clamp 1
		.amdhsa_ieee_mode 1
		.amdhsa_fp16_overflow 0
		.amdhsa_tg_split 0
		.amdhsa_exception_fp_ieee_invalid_op 0
		.amdhsa_exception_fp_denorm_src 0
		.amdhsa_exception_fp_ieee_div_zero 0
		.amdhsa_exception_fp_ieee_overflow 0
		.amdhsa_exception_fp_ieee_underflow 0
		.amdhsa_exception_fp_ieee_inexact 0
		.amdhsa_exception_int_div_zero 0
	.end_amdhsa_kernel
	.section	.text._ZN7rocprim17ROCPRIM_400000_NS6detail17trampoline_kernelINS0_14default_configENS1_20scan_config_selectorIjEEZZNS1_9scan_implILNS1_25lookback_scan_determinismE0ELb1ELb1ES3_N6thrust23THRUST_200600_302600_NS6detail15normal_iteratorINS9_10device_ptrIjEEEENS9_16discard_iteratorINS9_11use_defaultEEEjNS9_4plusIvEEjEEDaPvRmT3_T4_T5_mT6_P12ihipStream_tbENKUlT_T0_E_clISt17integral_constantIbLb0EESW_IbLb1EEEEDaSS_ST_EUlSS_E_NS1_11comp_targetILNS1_3genE0ELNS1_11target_archE4294967295ELNS1_3gpuE0ELNS1_3repE0EEENS1_30default_config_static_selectorELNS0_4arch9wavefront6targetE1EEEvT1_,"axG",@progbits,_ZN7rocprim17ROCPRIM_400000_NS6detail17trampoline_kernelINS0_14default_configENS1_20scan_config_selectorIjEEZZNS1_9scan_implILNS1_25lookback_scan_determinismE0ELb1ELb1ES3_N6thrust23THRUST_200600_302600_NS6detail15normal_iteratorINS9_10device_ptrIjEEEENS9_16discard_iteratorINS9_11use_defaultEEEjNS9_4plusIvEEjEEDaPvRmT3_T4_T5_mT6_P12ihipStream_tbENKUlT_T0_E_clISt17integral_constantIbLb0EESW_IbLb1EEEEDaSS_ST_EUlSS_E_NS1_11comp_targetILNS1_3genE0ELNS1_11target_archE4294967295ELNS1_3gpuE0ELNS1_3repE0EEENS1_30default_config_static_selectorELNS0_4arch9wavefront6targetE1EEEvT1_,comdat
.Lfunc_end5420:
	.size	_ZN7rocprim17ROCPRIM_400000_NS6detail17trampoline_kernelINS0_14default_configENS1_20scan_config_selectorIjEEZZNS1_9scan_implILNS1_25lookback_scan_determinismE0ELb1ELb1ES3_N6thrust23THRUST_200600_302600_NS6detail15normal_iteratorINS9_10device_ptrIjEEEENS9_16discard_iteratorINS9_11use_defaultEEEjNS9_4plusIvEEjEEDaPvRmT3_T4_T5_mT6_P12ihipStream_tbENKUlT_T0_E_clISt17integral_constantIbLb0EESW_IbLb1EEEEDaSS_ST_EUlSS_E_NS1_11comp_targetILNS1_3genE0ELNS1_11target_archE4294967295ELNS1_3gpuE0ELNS1_3repE0EEENS1_30default_config_static_selectorELNS0_4arch9wavefront6targetE1EEEvT1_, .Lfunc_end5420-_ZN7rocprim17ROCPRIM_400000_NS6detail17trampoline_kernelINS0_14default_configENS1_20scan_config_selectorIjEEZZNS1_9scan_implILNS1_25lookback_scan_determinismE0ELb1ELb1ES3_N6thrust23THRUST_200600_302600_NS6detail15normal_iteratorINS9_10device_ptrIjEEEENS9_16discard_iteratorINS9_11use_defaultEEEjNS9_4plusIvEEjEEDaPvRmT3_T4_T5_mT6_P12ihipStream_tbENKUlT_T0_E_clISt17integral_constantIbLb0EESW_IbLb1EEEEDaSS_ST_EUlSS_E_NS1_11comp_targetILNS1_3genE0ELNS1_11target_archE4294967295ELNS1_3gpuE0ELNS1_3repE0EEENS1_30default_config_static_selectorELNS0_4arch9wavefront6targetE1EEEvT1_
                                        ; -- End function
	.section	.AMDGPU.csdata,"",@progbits
; Kernel info:
; codeLenInByte = 0
; NumSgprs: 4
; NumVgprs: 0
; NumAgprs: 0
; TotalNumVgprs: 0
; ScratchSize: 0
; MemoryBound: 0
; FloatMode: 240
; IeeeMode: 1
; LDSByteSize: 0 bytes/workgroup (compile time only)
; SGPRBlocks: 0
; VGPRBlocks: 0
; NumSGPRsForWavesPerEU: 4
; NumVGPRsForWavesPerEU: 1
; AccumOffset: 4
; Occupancy: 8
; WaveLimiterHint : 0
; COMPUTE_PGM_RSRC2:SCRATCH_EN: 0
; COMPUTE_PGM_RSRC2:USER_SGPR: 6
; COMPUTE_PGM_RSRC2:TRAP_HANDLER: 0
; COMPUTE_PGM_RSRC2:TGID_X_EN: 1
; COMPUTE_PGM_RSRC2:TGID_Y_EN: 0
; COMPUTE_PGM_RSRC2:TGID_Z_EN: 0
; COMPUTE_PGM_RSRC2:TIDIG_COMP_CNT: 0
; COMPUTE_PGM_RSRC3_GFX90A:ACCUM_OFFSET: 0
; COMPUTE_PGM_RSRC3_GFX90A:TG_SPLIT: 0
	.section	.text._ZN7rocprim17ROCPRIM_400000_NS6detail17trampoline_kernelINS0_14default_configENS1_20scan_config_selectorIjEEZZNS1_9scan_implILNS1_25lookback_scan_determinismE0ELb1ELb1ES3_N6thrust23THRUST_200600_302600_NS6detail15normal_iteratorINS9_10device_ptrIjEEEENS9_16discard_iteratorINS9_11use_defaultEEEjNS9_4plusIvEEjEEDaPvRmT3_T4_T5_mT6_P12ihipStream_tbENKUlT_T0_E_clISt17integral_constantIbLb0EESW_IbLb1EEEEDaSS_ST_EUlSS_E_NS1_11comp_targetILNS1_3genE5ELNS1_11target_archE942ELNS1_3gpuE9ELNS1_3repE0EEENS1_30default_config_static_selectorELNS0_4arch9wavefront6targetE1EEEvT1_,"axG",@progbits,_ZN7rocprim17ROCPRIM_400000_NS6detail17trampoline_kernelINS0_14default_configENS1_20scan_config_selectorIjEEZZNS1_9scan_implILNS1_25lookback_scan_determinismE0ELb1ELb1ES3_N6thrust23THRUST_200600_302600_NS6detail15normal_iteratorINS9_10device_ptrIjEEEENS9_16discard_iteratorINS9_11use_defaultEEEjNS9_4plusIvEEjEEDaPvRmT3_T4_T5_mT6_P12ihipStream_tbENKUlT_T0_E_clISt17integral_constantIbLb0EESW_IbLb1EEEEDaSS_ST_EUlSS_E_NS1_11comp_targetILNS1_3genE5ELNS1_11target_archE942ELNS1_3gpuE9ELNS1_3repE0EEENS1_30default_config_static_selectorELNS0_4arch9wavefront6targetE1EEEvT1_,comdat
	.protected	_ZN7rocprim17ROCPRIM_400000_NS6detail17trampoline_kernelINS0_14default_configENS1_20scan_config_selectorIjEEZZNS1_9scan_implILNS1_25lookback_scan_determinismE0ELb1ELb1ES3_N6thrust23THRUST_200600_302600_NS6detail15normal_iteratorINS9_10device_ptrIjEEEENS9_16discard_iteratorINS9_11use_defaultEEEjNS9_4plusIvEEjEEDaPvRmT3_T4_T5_mT6_P12ihipStream_tbENKUlT_T0_E_clISt17integral_constantIbLb0EESW_IbLb1EEEEDaSS_ST_EUlSS_E_NS1_11comp_targetILNS1_3genE5ELNS1_11target_archE942ELNS1_3gpuE9ELNS1_3repE0EEENS1_30default_config_static_selectorELNS0_4arch9wavefront6targetE1EEEvT1_ ; -- Begin function _ZN7rocprim17ROCPRIM_400000_NS6detail17trampoline_kernelINS0_14default_configENS1_20scan_config_selectorIjEEZZNS1_9scan_implILNS1_25lookback_scan_determinismE0ELb1ELb1ES3_N6thrust23THRUST_200600_302600_NS6detail15normal_iteratorINS9_10device_ptrIjEEEENS9_16discard_iteratorINS9_11use_defaultEEEjNS9_4plusIvEEjEEDaPvRmT3_T4_T5_mT6_P12ihipStream_tbENKUlT_T0_E_clISt17integral_constantIbLb0EESW_IbLb1EEEEDaSS_ST_EUlSS_E_NS1_11comp_targetILNS1_3genE5ELNS1_11target_archE942ELNS1_3gpuE9ELNS1_3repE0EEENS1_30default_config_static_selectorELNS0_4arch9wavefront6targetE1EEEvT1_
	.globl	_ZN7rocprim17ROCPRIM_400000_NS6detail17trampoline_kernelINS0_14default_configENS1_20scan_config_selectorIjEEZZNS1_9scan_implILNS1_25lookback_scan_determinismE0ELb1ELb1ES3_N6thrust23THRUST_200600_302600_NS6detail15normal_iteratorINS9_10device_ptrIjEEEENS9_16discard_iteratorINS9_11use_defaultEEEjNS9_4plusIvEEjEEDaPvRmT3_T4_T5_mT6_P12ihipStream_tbENKUlT_T0_E_clISt17integral_constantIbLb0EESW_IbLb1EEEEDaSS_ST_EUlSS_E_NS1_11comp_targetILNS1_3genE5ELNS1_11target_archE942ELNS1_3gpuE9ELNS1_3repE0EEENS1_30default_config_static_selectorELNS0_4arch9wavefront6targetE1EEEvT1_
	.p2align	8
	.type	_ZN7rocprim17ROCPRIM_400000_NS6detail17trampoline_kernelINS0_14default_configENS1_20scan_config_selectorIjEEZZNS1_9scan_implILNS1_25lookback_scan_determinismE0ELb1ELb1ES3_N6thrust23THRUST_200600_302600_NS6detail15normal_iteratorINS9_10device_ptrIjEEEENS9_16discard_iteratorINS9_11use_defaultEEEjNS9_4plusIvEEjEEDaPvRmT3_T4_T5_mT6_P12ihipStream_tbENKUlT_T0_E_clISt17integral_constantIbLb0EESW_IbLb1EEEEDaSS_ST_EUlSS_E_NS1_11comp_targetILNS1_3genE5ELNS1_11target_archE942ELNS1_3gpuE9ELNS1_3repE0EEENS1_30default_config_static_selectorELNS0_4arch9wavefront6targetE1EEEvT1_,@function
_ZN7rocprim17ROCPRIM_400000_NS6detail17trampoline_kernelINS0_14default_configENS1_20scan_config_selectorIjEEZZNS1_9scan_implILNS1_25lookback_scan_determinismE0ELb1ELb1ES3_N6thrust23THRUST_200600_302600_NS6detail15normal_iteratorINS9_10device_ptrIjEEEENS9_16discard_iteratorINS9_11use_defaultEEEjNS9_4plusIvEEjEEDaPvRmT3_T4_T5_mT6_P12ihipStream_tbENKUlT_T0_E_clISt17integral_constantIbLb0EESW_IbLb1EEEEDaSS_ST_EUlSS_E_NS1_11comp_targetILNS1_3genE5ELNS1_11target_archE942ELNS1_3gpuE9ELNS1_3repE0EEENS1_30default_config_static_selectorELNS0_4arch9wavefront6targetE1EEEvT1_: ; @_ZN7rocprim17ROCPRIM_400000_NS6detail17trampoline_kernelINS0_14default_configENS1_20scan_config_selectorIjEEZZNS1_9scan_implILNS1_25lookback_scan_determinismE0ELb1ELb1ES3_N6thrust23THRUST_200600_302600_NS6detail15normal_iteratorINS9_10device_ptrIjEEEENS9_16discard_iteratorINS9_11use_defaultEEEjNS9_4plusIvEEjEEDaPvRmT3_T4_T5_mT6_P12ihipStream_tbENKUlT_T0_E_clISt17integral_constantIbLb0EESW_IbLb1EEEEDaSS_ST_EUlSS_E_NS1_11comp_targetILNS1_3genE5ELNS1_11target_archE942ELNS1_3gpuE9ELNS1_3repE0EEENS1_30default_config_static_selectorELNS0_4arch9wavefront6targetE1EEEvT1_
; %bb.0:
	.section	.rodata,"a",@progbits
	.p2align	6, 0x0
	.amdhsa_kernel _ZN7rocprim17ROCPRIM_400000_NS6detail17trampoline_kernelINS0_14default_configENS1_20scan_config_selectorIjEEZZNS1_9scan_implILNS1_25lookback_scan_determinismE0ELb1ELb1ES3_N6thrust23THRUST_200600_302600_NS6detail15normal_iteratorINS9_10device_ptrIjEEEENS9_16discard_iteratorINS9_11use_defaultEEEjNS9_4plusIvEEjEEDaPvRmT3_T4_T5_mT6_P12ihipStream_tbENKUlT_T0_E_clISt17integral_constantIbLb0EESW_IbLb1EEEEDaSS_ST_EUlSS_E_NS1_11comp_targetILNS1_3genE5ELNS1_11target_archE942ELNS1_3gpuE9ELNS1_3repE0EEENS1_30default_config_static_selectorELNS0_4arch9wavefront6targetE1EEEvT1_
		.amdhsa_group_segment_fixed_size 0
		.amdhsa_private_segment_fixed_size 0
		.amdhsa_kernarg_size 104
		.amdhsa_user_sgpr_count 6
		.amdhsa_user_sgpr_private_segment_buffer 1
		.amdhsa_user_sgpr_dispatch_ptr 0
		.amdhsa_user_sgpr_queue_ptr 0
		.amdhsa_user_sgpr_kernarg_segment_ptr 1
		.amdhsa_user_sgpr_dispatch_id 0
		.amdhsa_user_sgpr_flat_scratch_init 0
		.amdhsa_user_sgpr_kernarg_preload_length 0
		.amdhsa_user_sgpr_kernarg_preload_offset 0
		.amdhsa_user_sgpr_private_segment_size 0
		.amdhsa_uses_dynamic_stack 0
		.amdhsa_system_sgpr_private_segment_wavefront_offset 0
		.amdhsa_system_sgpr_workgroup_id_x 1
		.amdhsa_system_sgpr_workgroup_id_y 0
		.amdhsa_system_sgpr_workgroup_id_z 0
		.amdhsa_system_sgpr_workgroup_info 0
		.amdhsa_system_vgpr_workitem_id 0
		.amdhsa_next_free_vgpr 1
		.amdhsa_next_free_sgpr 0
		.amdhsa_accum_offset 4
		.amdhsa_reserve_vcc 0
		.amdhsa_reserve_flat_scratch 0
		.amdhsa_float_round_mode_32 0
		.amdhsa_float_round_mode_16_64 0
		.amdhsa_float_denorm_mode_32 3
		.amdhsa_float_denorm_mode_16_64 3
		.amdhsa_dx10_clamp 1
		.amdhsa_ieee_mode 1
		.amdhsa_fp16_overflow 0
		.amdhsa_tg_split 0
		.amdhsa_exception_fp_ieee_invalid_op 0
		.amdhsa_exception_fp_denorm_src 0
		.amdhsa_exception_fp_ieee_div_zero 0
		.amdhsa_exception_fp_ieee_overflow 0
		.amdhsa_exception_fp_ieee_underflow 0
		.amdhsa_exception_fp_ieee_inexact 0
		.amdhsa_exception_int_div_zero 0
	.end_amdhsa_kernel
	.section	.text._ZN7rocprim17ROCPRIM_400000_NS6detail17trampoline_kernelINS0_14default_configENS1_20scan_config_selectorIjEEZZNS1_9scan_implILNS1_25lookback_scan_determinismE0ELb1ELb1ES3_N6thrust23THRUST_200600_302600_NS6detail15normal_iteratorINS9_10device_ptrIjEEEENS9_16discard_iteratorINS9_11use_defaultEEEjNS9_4plusIvEEjEEDaPvRmT3_T4_T5_mT6_P12ihipStream_tbENKUlT_T0_E_clISt17integral_constantIbLb0EESW_IbLb1EEEEDaSS_ST_EUlSS_E_NS1_11comp_targetILNS1_3genE5ELNS1_11target_archE942ELNS1_3gpuE9ELNS1_3repE0EEENS1_30default_config_static_selectorELNS0_4arch9wavefront6targetE1EEEvT1_,"axG",@progbits,_ZN7rocprim17ROCPRIM_400000_NS6detail17trampoline_kernelINS0_14default_configENS1_20scan_config_selectorIjEEZZNS1_9scan_implILNS1_25lookback_scan_determinismE0ELb1ELb1ES3_N6thrust23THRUST_200600_302600_NS6detail15normal_iteratorINS9_10device_ptrIjEEEENS9_16discard_iteratorINS9_11use_defaultEEEjNS9_4plusIvEEjEEDaPvRmT3_T4_T5_mT6_P12ihipStream_tbENKUlT_T0_E_clISt17integral_constantIbLb0EESW_IbLb1EEEEDaSS_ST_EUlSS_E_NS1_11comp_targetILNS1_3genE5ELNS1_11target_archE942ELNS1_3gpuE9ELNS1_3repE0EEENS1_30default_config_static_selectorELNS0_4arch9wavefront6targetE1EEEvT1_,comdat
.Lfunc_end5421:
	.size	_ZN7rocprim17ROCPRIM_400000_NS6detail17trampoline_kernelINS0_14default_configENS1_20scan_config_selectorIjEEZZNS1_9scan_implILNS1_25lookback_scan_determinismE0ELb1ELb1ES3_N6thrust23THRUST_200600_302600_NS6detail15normal_iteratorINS9_10device_ptrIjEEEENS9_16discard_iteratorINS9_11use_defaultEEEjNS9_4plusIvEEjEEDaPvRmT3_T4_T5_mT6_P12ihipStream_tbENKUlT_T0_E_clISt17integral_constantIbLb0EESW_IbLb1EEEEDaSS_ST_EUlSS_E_NS1_11comp_targetILNS1_3genE5ELNS1_11target_archE942ELNS1_3gpuE9ELNS1_3repE0EEENS1_30default_config_static_selectorELNS0_4arch9wavefront6targetE1EEEvT1_, .Lfunc_end5421-_ZN7rocprim17ROCPRIM_400000_NS6detail17trampoline_kernelINS0_14default_configENS1_20scan_config_selectorIjEEZZNS1_9scan_implILNS1_25lookback_scan_determinismE0ELb1ELb1ES3_N6thrust23THRUST_200600_302600_NS6detail15normal_iteratorINS9_10device_ptrIjEEEENS9_16discard_iteratorINS9_11use_defaultEEEjNS9_4plusIvEEjEEDaPvRmT3_T4_T5_mT6_P12ihipStream_tbENKUlT_T0_E_clISt17integral_constantIbLb0EESW_IbLb1EEEEDaSS_ST_EUlSS_E_NS1_11comp_targetILNS1_3genE5ELNS1_11target_archE942ELNS1_3gpuE9ELNS1_3repE0EEENS1_30default_config_static_selectorELNS0_4arch9wavefront6targetE1EEEvT1_
                                        ; -- End function
	.section	.AMDGPU.csdata,"",@progbits
; Kernel info:
; codeLenInByte = 0
; NumSgprs: 4
; NumVgprs: 0
; NumAgprs: 0
; TotalNumVgprs: 0
; ScratchSize: 0
; MemoryBound: 0
; FloatMode: 240
; IeeeMode: 1
; LDSByteSize: 0 bytes/workgroup (compile time only)
; SGPRBlocks: 0
; VGPRBlocks: 0
; NumSGPRsForWavesPerEU: 4
; NumVGPRsForWavesPerEU: 1
; AccumOffset: 4
; Occupancy: 8
; WaveLimiterHint : 0
; COMPUTE_PGM_RSRC2:SCRATCH_EN: 0
; COMPUTE_PGM_RSRC2:USER_SGPR: 6
; COMPUTE_PGM_RSRC2:TRAP_HANDLER: 0
; COMPUTE_PGM_RSRC2:TGID_X_EN: 1
; COMPUTE_PGM_RSRC2:TGID_Y_EN: 0
; COMPUTE_PGM_RSRC2:TGID_Z_EN: 0
; COMPUTE_PGM_RSRC2:TIDIG_COMP_CNT: 0
; COMPUTE_PGM_RSRC3_GFX90A:ACCUM_OFFSET: 0
; COMPUTE_PGM_RSRC3_GFX90A:TG_SPLIT: 0
	.section	.text._ZN7rocprim17ROCPRIM_400000_NS6detail17trampoline_kernelINS0_14default_configENS1_20scan_config_selectorIjEEZZNS1_9scan_implILNS1_25lookback_scan_determinismE0ELb1ELb1ES3_N6thrust23THRUST_200600_302600_NS6detail15normal_iteratorINS9_10device_ptrIjEEEENS9_16discard_iteratorINS9_11use_defaultEEEjNS9_4plusIvEEjEEDaPvRmT3_T4_T5_mT6_P12ihipStream_tbENKUlT_T0_E_clISt17integral_constantIbLb0EESW_IbLb1EEEEDaSS_ST_EUlSS_E_NS1_11comp_targetILNS1_3genE4ELNS1_11target_archE910ELNS1_3gpuE8ELNS1_3repE0EEENS1_30default_config_static_selectorELNS0_4arch9wavefront6targetE1EEEvT1_,"axG",@progbits,_ZN7rocprim17ROCPRIM_400000_NS6detail17trampoline_kernelINS0_14default_configENS1_20scan_config_selectorIjEEZZNS1_9scan_implILNS1_25lookback_scan_determinismE0ELb1ELb1ES3_N6thrust23THRUST_200600_302600_NS6detail15normal_iteratorINS9_10device_ptrIjEEEENS9_16discard_iteratorINS9_11use_defaultEEEjNS9_4plusIvEEjEEDaPvRmT3_T4_T5_mT6_P12ihipStream_tbENKUlT_T0_E_clISt17integral_constantIbLb0EESW_IbLb1EEEEDaSS_ST_EUlSS_E_NS1_11comp_targetILNS1_3genE4ELNS1_11target_archE910ELNS1_3gpuE8ELNS1_3repE0EEENS1_30default_config_static_selectorELNS0_4arch9wavefront6targetE1EEEvT1_,comdat
	.protected	_ZN7rocprim17ROCPRIM_400000_NS6detail17trampoline_kernelINS0_14default_configENS1_20scan_config_selectorIjEEZZNS1_9scan_implILNS1_25lookback_scan_determinismE0ELb1ELb1ES3_N6thrust23THRUST_200600_302600_NS6detail15normal_iteratorINS9_10device_ptrIjEEEENS9_16discard_iteratorINS9_11use_defaultEEEjNS9_4plusIvEEjEEDaPvRmT3_T4_T5_mT6_P12ihipStream_tbENKUlT_T0_E_clISt17integral_constantIbLb0EESW_IbLb1EEEEDaSS_ST_EUlSS_E_NS1_11comp_targetILNS1_3genE4ELNS1_11target_archE910ELNS1_3gpuE8ELNS1_3repE0EEENS1_30default_config_static_selectorELNS0_4arch9wavefront6targetE1EEEvT1_ ; -- Begin function _ZN7rocprim17ROCPRIM_400000_NS6detail17trampoline_kernelINS0_14default_configENS1_20scan_config_selectorIjEEZZNS1_9scan_implILNS1_25lookback_scan_determinismE0ELb1ELb1ES3_N6thrust23THRUST_200600_302600_NS6detail15normal_iteratorINS9_10device_ptrIjEEEENS9_16discard_iteratorINS9_11use_defaultEEEjNS9_4plusIvEEjEEDaPvRmT3_T4_T5_mT6_P12ihipStream_tbENKUlT_T0_E_clISt17integral_constantIbLb0EESW_IbLb1EEEEDaSS_ST_EUlSS_E_NS1_11comp_targetILNS1_3genE4ELNS1_11target_archE910ELNS1_3gpuE8ELNS1_3repE0EEENS1_30default_config_static_selectorELNS0_4arch9wavefront6targetE1EEEvT1_
	.globl	_ZN7rocprim17ROCPRIM_400000_NS6detail17trampoline_kernelINS0_14default_configENS1_20scan_config_selectorIjEEZZNS1_9scan_implILNS1_25lookback_scan_determinismE0ELb1ELb1ES3_N6thrust23THRUST_200600_302600_NS6detail15normal_iteratorINS9_10device_ptrIjEEEENS9_16discard_iteratorINS9_11use_defaultEEEjNS9_4plusIvEEjEEDaPvRmT3_T4_T5_mT6_P12ihipStream_tbENKUlT_T0_E_clISt17integral_constantIbLb0EESW_IbLb1EEEEDaSS_ST_EUlSS_E_NS1_11comp_targetILNS1_3genE4ELNS1_11target_archE910ELNS1_3gpuE8ELNS1_3repE0EEENS1_30default_config_static_selectorELNS0_4arch9wavefront6targetE1EEEvT1_
	.p2align	8
	.type	_ZN7rocprim17ROCPRIM_400000_NS6detail17trampoline_kernelINS0_14default_configENS1_20scan_config_selectorIjEEZZNS1_9scan_implILNS1_25lookback_scan_determinismE0ELb1ELb1ES3_N6thrust23THRUST_200600_302600_NS6detail15normal_iteratorINS9_10device_ptrIjEEEENS9_16discard_iteratorINS9_11use_defaultEEEjNS9_4plusIvEEjEEDaPvRmT3_T4_T5_mT6_P12ihipStream_tbENKUlT_T0_E_clISt17integral_constantIbLb0EESW_IbLb1EEEEDaSS_ST_EUlSS_E_NS1_11comp_targetILNS1_3genE4ELNS1_11target_archE910ELNS1_3gpuE8ELNS1_3repE0EEENS1_30default_config_static_selectorELNS0_4arch9wavefront6targetE1EEEvT1_,@function
_ZN7rocprim17ROCPRIM_400000_NS6detail17trampoline_kernelINS0_14default_configENS1_20scan_config_selectorIjEEZZNS1_9scan_implILNS1_25lookback_scan_determinismE0ELb1ELb1ES3_N6thrust23THRUST_200600_302600_NS6detail15normal_iteratorINS9_10device_ptrIjEEEENS9_16discard_iteratorINS9_11use_defaultEEEjNS9_4plusIvEEjEEDaPvRmT3_T4_T5_mT6_P12ihipStream_tbENKUlT_T0_E_clISt17integral_constantIbLb0EESW_IbLb1EEEEDaSS_ST_EUlSS_E_NS1_11comp_targetILNS1_3genE4ELNS1_11target_archE910ELNS1_3gpuE8ELNS1_3repE0EEENS1_30default_config_static_selectorELNS0_4arch9wavefront6targetE1EEEvT1_: ; @_ZN7rocprim17ROCPRIM_400000_NS6detail17trampoline_kernelINS0_14default_configENS1_20scan_config_selectorIjEEZZNS1_9scan_implILNS1_25lookback_scan_determinismE0ELb1ELb1ES3_N6thrust23THRUST_200600_302600_NS6detail15normal_iteratorINS9_10device_ptrIjEEEENS9_16discard_iteratorINS9_11use_defaultEEEjNS9_4plusIvEEjEEDaPvRmT3_T4_T5_mT6_P12ihipStream_tbENKUlT_T0_E_clISt17integral_constantIbLb0EESW_IbLb1EEEEDaSS_ST_EUlSS_E_NS1_11comp_targetILNS1_3genE4ELNS1_11target_archE910ELNS1_3gpuE8ELNS1_3repE0EEENS1_30default_config_static_selectorELNS0_4arch9wavefront6targetE1EEEvT1_
; %bb.0:
	s_load_dwordx2 s[20:21], s[4:5], 0x20
	s_load_dword s26, s[4:5], 0x28
	s_load_dwordx2 s[6:7], s[4:5], 0x30
	v_cmp_ne_u32_e64 s[2:3], 0, v0
	v_cmp_eq_u32_e64 s[0:1], 0, v0
	s_and_saveexec_b64 s[8:9], s[0:1]
	s_cbranch_execz .LBB5422_4
; %bb.1:
	s_mov_b64 s[12:13], exec
	v_mbcnt_lo_u32_b32 v1, s12, 0
	v_mbcnt_hi_u32_b32 v1, s13, v1
	v_cmp_eq_u32_e32 vcc, 0, v1
                                        ; implicit-def: $vgpr2
	s_and_saveexec_b64 s[10:11], vcc
	s_cbranch_execz .LBB5422_3
; %bb.2:
	s_load_dwordx2 s[14:15], s[4:5], 0x60
	s_bcnt1_i32_b64 s12, s[12:13]
	v_mov_b32_e32 v2, 0
	v_mov_b32_e32 v3, s12
	s_waitcnt lgkmcnt(0)
	global_atomic_add v2, v2, v3, s[14:15] glc
.LBB5422_3:
	s_or_b64 exec, exec, s[10:11]
	s_waitcnt vmcnt(0)
	v_readfirstlane_b32 s10, v2
	v_add_u32_e32 v1, s10, v1
	v_mov_b32_e32 v2, 0
	ds_write_b32 v2, v1
.LBB5422_4:
	s_or_b64 exec, exec, s[8:9]
	v_mov_b32_e32 v3, 0
	s_load_dwordx4 s[16:19], s[4:5], 0x0
	s_load_dword s22, s[4:5], 0x38
	s_load_dwordx8 s[8:15], s[4:5], 0x40
	s_waitcnt lgkmcnt(0)
	s_barrier
	ds_read_b32 v1, v3
	s_lshl_b64 s[4:5], s[18:19], 2
	s_add_u32 s27, s16, s4
	s_movk_i32 s4, 0x500
	s_addc_u32 s28, s17, s5
	s_waitcnt lgkmcnt(0)
	v_mul_lo_u32 v2, v1, s4
	s_add_i32 s4, s22, -1
	s_mul_i32 s5, s4, 0x500
	s_sub_u32 s24, s20, s5
	v_readfirstlane_b32 s29, v1
	s_subb_u32 s25, s21, 0
	v_lshlrev_b64 v[2:3], 2, v[2:3]
	s_cmp_lg_u32 s29, s4
	v_mov_b32_e32 v1, s28
	v_add_co_u32_e32 v12, vcc, s27, v2
	s_cselect_b64 s[16:17], -1, 0
	v_addc_co_u32_e32 v13, vcc, v1, v3, vcc
	s_mov_b64 s[4:5], -1
	s_and_b64 vcc, exec, s[16:17]
	s_barrier
	s_cbranch_vccz .LBB5422_6
; %bb.5:
	v_lshlrev_b32_e32 v1, 2, v0
	v_add_co_u32_e32 v2, vcc, v12, v1
	v_addc_co_u32_e32 v3, vcc, 0, v13, vcc
	flat_load_dword v4, v[2:3]
	flat_load_dword v5, v[2:3] offset:512
	flat_load_dword v6, v[2:3] offset:1024
	;; [unrolled: 1-line block ×7, first 2 shown]
	v_add_co_u32_e32 v2, vcc, 0x1000, v2
	v_addc_co_u32_e32 v3, vcc, 0, v3, vcc
	flat_load_dword v14, v[2:3]
	flat_load_dword v15, v[2:3] offset:512
	s_mov_b64 s[4:5], 0
	s_waitcnt vmcnt(0) lgkmcnt(0)
	ds_write2st64_b32 v1, v4, v5 offset1:2
	ds_write2st64_b32 v1, v6, v7 offset0:4 offset1:6
	ds_write2st64_b32 v1, v8, v9 offset0:8 offset1:10
	;; [unrolled: 1-line block ×4, first 2 shown]
	s_waitcnt lgkmcnt(0)
	s_barrier
.LBB5422_6:
	s_andn2_b64 vcc, exec, s[4:5]
	s_cbranch_vccnz .LBB5422_28
; %bb.7:
	flat_load_dword v1, v[12:13]
	v_cmp_gt_u32_e32 vcc, s24, v0
	s_waitcnt vmcnt(0) lgkmcnt(0)
	v_mov_b32_e32 v2, v1
	v_mov_b32_e32 v3, v1
	;; [unrolled: 1-line block ×9, first 2 shown]
	s_and_saveexec_b64 s[4:5], vcc
	s_cbranch_execz .LBB5422_9
; %bb.8:
	v_lshlrev_b32_e32 v10, 2, v0
	v_add_co_u32_e32 v10, vcc, v12, v10
	v_addc_co_u32_e32 v11, vcc, 0, v13, vcc
	flat_load_dword v10, v[10:11]
.LBB5422_9:
	s_or_b64 exec, exec, s[4:5]
	v_or_b32_e32 v11, 0x80, v0
	v_cmp_gt_u32_e32 vcc, s24, v11
	s_and_saveexec_b64 s[4:5], vcc
	s_cbranch_execz .LBB5422_11
; %bb.10:
	v_lshlrev_b32_e32 v1, 2, v0
	v_add_co_u32_e32 v14, vcc, v12, v1
	v_addc_co_u32_e32 v15, vcc, 0, v13, vcc
	flat_load_dword v1, v[14:15] offset:512
.LBB5422_11:
	s_or_b64 exec, exec, s[4:5]
	v_or_b32_e32 v11, 0x100, v0
	v_cmp_gt_u32_e32 vcc, s24, v11
	s_and_saveexec_b64 s[4:5], vcc
	s_cbranch_execz .LBB5422_13
; %bb.12:
	v_lshlrev_b32_e32 v2, 2, v0
	v_add_co_u32_e32 v14, vcc, v12, v2
	v_addc_co_u32_e32 v15, vcc, 0, v13, vcc
	flat_load_dword v2, v[14:15] offset:1024
.LBB5422_13:
	;; [unrolled: 11-line block ×7, first 2 shown]
	s_or_b64 exec, exec, s[4:5]
	v_or_b32_e32 v11, 0x400, v0
	v_cmp_gt_u32_e32 vcc, s24, v11
	s_and_saveexec_b64 s[4:5], vcc
	s_cbranch_execz .LBB5422_25
; %bb.24:
	v_lshlrev_b32_e32 v8, 2, v11
	v_add_co_u32_e32 v14, vcc, v12, v8
	v_addc_co_u32_e32 v15, vcc, 0, v13, vcc
	flat_load_dword v8, v[14:15]
.LBB5422_25:
	s_or_b64 exec, exec, s[4:5]
	v_or_b32_e32 v11, 0x480, v0
	v_cmp_gt_u32_e32 vcc, s24, v11
	s_and_saveexec_b64 s[4:5], vcc
	s_cbranch_execz .LBB5422_27
; %bb.26:
	v_lshlrev_b32_e32 v9, 2, v11
	v_add_co_u32_e32 v12, vcc, v12, v9
	v_addc_co_u32_e32 v13, vcc, 0, v13, vcc
	flat_load_dword v9, v[12:13]
.LBB5422_27:
	s_or_b64 exec, exec, s[4:5]
	v_lshlrev_b32_e32 v11, 2, v0
	s_waitcnt vmcnt(0) lgkmcnt(0)
	ds_write2st64_b32 v11, v10, v1 offset1:2
	ds_write2st64_b32 v11, v2, v3 offset0:4 offset1:6
	ds_write2st64_b32 v11, v4, v5 offset0:8 offset1:10
	;; [unrolled: 1-line block ×4, first 2 shown]
	s_waitcnt lgkmcnt(0)
	s_barrier
.LBB5422_28:
	v_mul_u32_u24_e32 v22, 10, v0
	v_lshlrev_b32_e32 v1, 2, v22
	ds_read2_b64 v[16:19], v1 offset1:1
	ds_read2_b64 v[12:15], v1 offset0:2 offset1:3
	ds_read_b64 v[20:21], v1 offset:32
	s_cmp_lg_u32 s29, 0
	v_lshrrev_b32_e32 v23, 5, v0
	s_waitcnt lgkmcnt(2)
	v_add_u32_e32 v2, v17, v16
	v_add3_u32 v24, v2, v18, v19
	v_cmp_gt_u32_e32 vcc, 64, v0
	s_waitcnt lgkmcnt(0)
	s_barrier
	s_cbranch_scc0 .LBB5422_53
; %bb.29:
	v_add3_u32 v2, v24, v12, v13
	v_add3_u32 v2, v2, v14, v15
	;; [unrolled: 1-line block ×3, first 2 shown]
	v_add_lshl_u32 v3, v23, v0, 2
	ds_write_b32 v3, v2
	s_waitcnt lgkmcnt(0)
	s_barrier
	s_and_saveexec_b64 s[18:19], vcc
	s_cbranch_execz .LBB5422_31
; %bb.30:
	v_lshlrev_b32_e32 v3, 1, v0
	v_lshrrev_b32_e32 v4, 4, v0
	v_add_lshl_u32 v3, v4, v3, 2
	ds_read2_b32 v[4:5], v3 offset1:1
	v_mbcnt_lo_u32_b32 v6, -1, 0
	v_mbcnt_hi_u32_b32 v6, -1, v6
	v_and_b32_e32 v7, 15, v6
	v_cmp_ne_u32_e64 s[4:5], 0, v7
	s_waitcnt lgkmcnt(0)
	v_add_u32_e32 v5, v5, v4
	; wave barrier
	s_nop 1
	v_mov_b32_dpp v8, v5 row_shr:1 row_mask:0xf bank_mask:0xf
	v_cndmask_b32_e64 v8, 0, v8, s[4:5]
	v_add_u32_e32 v5, v8, v5
	v_cmp_lt_u32_e64 s[4:5], 1, v7
	s_nop 0
	v_mov_b32_dpp v8, v5 row_shr:2 row_mask:0xf bank_mask:0xf
	v_cndmask_b32_e64 v8, 0, v8, s[4:5]
	v_add_u32_e32 v5, v5, v8
	v_cmp_lt_u32_e64 s[4:5], 3, v7
	;; [unrolled: 5-line block ×3, first 2 shown]
	s_nop 0
	v_mov_b32_dpp v8, v5 row_shr:8 row_mask:0xf bank_mask:0xf
	v_cndmask_b32_e64 v7, 0, v8, s[4:5]
	v_add_u32_e32 v5, v5, v7
	v_bfe_i32 v8, v6, 4, 1
	v_cmp_lt_u32_e64 s[4:5], 31, v6
	v_mov_b32_dpp v7, v5 row_bcast:15 row_mask:0xf bank_mask:0xf
	v_and_b32_e32 v7, v8, v7
	v_add_u32_e32 v5, v5, v7
	v_and_b32_e32 v8, 64, v6
	s_nop 0
	v_mov_b32_dpp v7, v5 row_bcast:31 row_mask:0xf bank_mask:0xf
	v_cndmask_b32_e64 v7, 0, v7, s[4:5]
	v_add_u32_e32 v5, v5, v7
	v_add_u32_e32 v7, -1, v6
	v_cmp_lt_i32_e64 s[4:5], v7, v8
	v_cndmask_b32_e64 v6, v7, v6, s[4:5]
	v_lshlrev_b32_e32 v6, 2, v6
	ds_bpermute_b32 v5, v6, v5
	s_waitcnt lgkmcnt(0)
	v_add_u32_e32 v4, v5, v4
	v_cndmask_b32_e64 v2, v4, v2, s[0:1]
	ds_write_b32 v3, v2
	; wave barrier
	ds_read_b32 v4, v3 offset:4
	s_waitcnt lgkmcnt(0)
	v_add_u32_e32 v2, v4, v2
	ds_write_b32 v3, v2 offset:4
.LBB5422_31:
	s_or_b64 exec, exec, s[18:19]
	v_mov_b32_e32 v25, 0
	s_waitcnt lgkmcnt(0)
	s_barrier
	s_and_saveexec_b64 s[4:5], s[2:3]
	s_cbranch_execz .LBB5422_33
; %bb.32:
	v_add_u32_e32 v2, -1, v0
	v_lshrrev_b32_e32 v3, 5, v2
	v_add_lshl_u32 v2, v3, v2, 2
	ds_read_b32 v25, v2
.LBB5422_33:
	s_or_b64 exec, exec, s[4:5]
	s_and_saveexec_b64 s[18:19], vcc
	s_cbranch_execz .LBB5422_52
; %bb.34:
	v_mov_b32_e32 v9, 0
	ds_read_b32 v2, v9 offset:520
	v_mbcnt_lo_u32_b32 v3, -1, 0
	v_mbcnt_hi_u32_b32 v5, -1, v3
	s_mov_b32 s23, 0
	v_cmp_eq_u32_e64 s[4:5], 0, v5
	s_and_saveexec_b64 s[20:21], s[4:5]
	s_cbranch_execz .LBB5422_36
; %bb.35:
	s_add_i32 s22, s29, 64
	s_lshl_b64 s[22:23], s[22:23], 3
	s_add_u32 s22, s6, s22
	v_mov_b32_e32 v3, 1
	s_addc_u32 s23, s7, s23
	s_waitcnt lgkmcnt(0)
	global_store_dwordx2 v9, v[2:3], s[22:23]
.LBB5422_36:
	s_or_b64 exec, exec, s[20:21]
	v_xad_u32 v4, v5, -1, s29
	v_add_u32_e32 v8, 64, v4
	v_lshlrev_b64 v[6:7], 3, v[8:9]
	v_mov_b32_e32 v3, s7
	v_add_co_u32_e32 v10, vcc, s6, v6
	v_addc_co_u32_e32 v11, vcc, v3, v7, vcc
	global_load_dwordx2 v[6:7], v[10:11], off glc
	s_waitcnt vmcnt(0)
	v_cmp_eq_u16_sdwa s[22:23], v7, v9 src0_sel:BYTE_0 src1_sel:DWORD
	s_and_saveexec_b64 s[20:21], s[22:23]
	s_cbranch_execz .LBB5422_40
; %bb.37:
	s_mov_b64 s[22:23], 0
	v_mov_b32_e32 v3, 0
.LBB5422_38:                            ; =>This Inner Loop Header: Depth=1
	global_load_dwordx2 v[6:7], v[10:11], off glc
	s_waitcnt vmcnt(0)
	v_cmp_ne_u16_sdwa s[30:31], v7, v3 src0_sel:BYTE_0 src1_sel:DWORD
	s_or_b64 s[22:23], s[30:31], s[22:23]
	s_andn2_b64 exec, exec, s[22:23]
	s_cbranch_execnz .LBB5422_38
; %bb.39:
	s_or_b64 exec, exec, s[22:23]
.LBB5422_40:
	s_or_b64 exec, exec, s[20:21]
	v_and_b32_e32 v26, 63, v5
	v_mov_b32_e32 v3, 2
	v_cmp_ne_u32_e32 vcc, 63, v26
	v_cmp_eq_u16_sdwa s[20:21], v7, v3 src0_sel:BYTE_0 src1_sel:DWORD
	v_lshlrev_b64 v[8:9], v5, -1
	v_addc_co_u32_e32 v27, vcc, 0, v5, vcc
	v_and_b32_e32 v10, s21, v9
	v_lshlrev_b32_e32 v27, 2, v27
	v_or_b32_e32 v10, 0x80000000, v10
	ds_bpermute_b32 v28, v27, v6
	v_and_b32_e32 v11, s20, v8
	v_ffbl_b32_e32 v10, v10
	v_add_u32_e32 v10, 32, v10
	v_ffbl_b32_e32 v11, v11
	v_min_u32_e32 v10, v11, v10
	v_cmp_lt_u32_e32 vcc, v26, v10
	s_waitcnt lgkmcnt(0)
	v_cndmask_b32_e32 v11, 0, v28, vcc
	v_cmp_gt_u32_e32 vcc, 62, v26
	v_add_u32_e32 v6, v11, v6
	v_cndmask_b32_e64 v11, 0, 1, vcc
	v_lshlrev_b32_e32 v11, 1, v11
	v_add_lshl_u32 v28, v11, v5, 2
	ds_bpermute_b32 v11, v28, v6
	v_add_u32_e32 v29, 2, v26
	v_cmp_le_u32_e32 vcc, v29, v10
	v_add_u32_e32 v31, 4, v26
	v_add_u32_e32 v33, 8, v26
	s_waitcnt lgkmcnt(0)
	v_cndmask_b32_e32 v11, 0, v11, vcc
	v_cmp_gt_u32_e32 vcc, 60, v26
	v_add_u32_e32 v6, v6, v11
	v_cndmask_b32_e64 v11, 0, 1, vcc
	v_lshlrev_b32_e32 v11, 2, v11
	v_add_lshl_u32 v30, v11, v5, 2
	ds_bpermute_b32 v11, v30, v6
	v_cmp_le_u32_e32 vcc, v31, v10
	v_add_u32_e32 v36, 16, v26
	v_add_u32_e32 v38, 32, v26
	s_waitcnt lgkmcnt(0)
	v_cndmask_b32_e32 v11, 0, v11, vcc
	v_cmp_gt_u32_e32 vcc, 56, v26
	v_add_u32_e32 v6, v6, v11
	v_cndmask_b32_e64 v11, 0, 1, vcc
	v_lshlrev_b32_e32 v11, 3, v11
	v_add_lshl_u32 v32, v11, v5, 2
	ds_bpermute_b32 v11, v32, v6
	v_cmp_le_u32_e32 vcc, v33, v10
	s_waitcnt lgkmcnt(0)
	v_cndmask_b32_e32 v11, 0, v11, vcc
	v_cmp_gt_u32_e32 vcc, 48, v26
	v_add_u32_e32 v6, v6, v11
	v_cndmask_b32_e64 v11, 0, 1, vcc
	v_lshlrev_b32_e32 v11, 4, v11
	v_add_lshl_u32 v35, v11, v5, 2
	ds_bpermute_b32 v11, v35, v6
	v_cmp_le_u32_e32 vcc, v36, v10
	;; [unrolled: 9-line block ×3, first 2 shown]
	s_waitcnt lgkmcnt(0)
	v_cndmask_b32_e32 v5, 0, v5, vcc
	v_add_u32_e32 v6, v6, v5
	v_mov_b32_e32 v5, 0
	s_branch .LBB5422_42
.LBB5422_41:                            ;   in Loop: Header=BB5422_42 Depth=1
	s_or_b64 exec, exec, s[20:21]
	v_cmp_eq_u16_sdwa s[20:21], v7, v3 src0_sel:BYTE_0 src1_sel:DWORD
	v_and_b32_e32 v10, s21, v9
	v_or_b32_e32 v10, 0x80000000, v10
	ds_bpermute_b32 v39, v27, v6
	v_and_b32_e32 v11, s20, v8
	v_ffbl_b32_e32 v10, v10
	v_add_u32_e32 v10, 32, v10
	v_ffbl_b32_e32 v11, v11
	v_min_u32_e32 v10, v11, v10
	v_cmp_lt_u32_e32 vcc, v26, v10
	s_waitcnt lgkmcnt(0)
	v_cndmask_b32_e32 v11, 0, v39, vcc
	v_add_u32_e32 v6, v11, v6
	ds_bpermute_b32 v11, v28, v6
	v_cmp_le_u32_e32 vcc, v29, v10
	v_subrev_u32_e32 v4, 64, v4
	s_waitcnt lgkmcnt(0)
	v_cndmask_b32_e32 v11, 0, v11, vcc
	v_add_u32_e32 v6, v6, v11
	ds_bpermute_b32 v11, v30, v6
	v_cmp_le_u32_e32 vcc, v31, v10
	s_waitcnt lgkmcnt(0)
	v_cndmask_b32_e32 v11, 0, v11, vcc
	v_add_u32_e32 v6, v6, v11
	ds_bpermute_b32 v11, v32, v6
	v_cmp_le_u32_e32 vcc, v33, v10
	;; [unrolled: 5-line block ×4, first 2 shown]
	s_waitcnt lgkmcnt(0)
	v_cndmask_b32_e32 v10, 0, v11, vcc
	v_add3_u32 v6, v10, v34, v6
.LBB5422_42:                            ; =>This Loop Header: Depth=1
                                        ;     Child Loop BB5422_45 Depth 2
	v_cmp_ne_u16_sdwa s[20:21], v7, v3 src0_sel:BYTE_0 src1_sel:DWORD
	v_cndmask_b32_e64 v7, 0, 1, s[20:21]
	;;#ASMSTART
	;;#ASMEND
	v_cmp_ne_u32_e32 vcc, 0, v7
	s_cmp_lg_u64 vcc, exec
	v_mov_b32_e32 v34, v6
	s_cbranch_scc1 .LBB5422_47
; %bb.43:                               ;   in Loop: Header=BB5422_42 Depth=1
	v_lshlrev_b64 v[6:7], 3, v[4:5]
	v_mov_b32_e32 v11, s7
	v_add_co_u32_e32 v10, vcc, s6, v6
	v_addc_co_u32_e32 v11, vcc, v11, v7, vcc
	global_load_dwordx2 v[6:7], v[10:11], off glc
	s_waitcnt vmcnt(0)
	v_cmp_eq_u16_sdwa s[22:23], v7, v5 src0_sel:BYTE_0 src1_sel:DWORD
	s_and_saveexec_b64 s[20:21], s[22:23]
	s_cbranch_execz .LBB5422_41
; %bb.44:                               ;   in Loop: Header=BB5422_42 Depth=1
	s_mov_b64 s[22:23], 0
.LBB5422_45:                            ;   Parent Loop BB5422_42 Depth=1
                                        ; =>  This Inner Loop Header: Depth=2
	global_load_dwordx2 v[6:7], v[10:11], off glc
	s_waitcnt vmcnt(0)
	v_cmp_ne_u16_sdwa s[30:31], v7, v5 src0_sel:BYTE_0 src1_sel:DWORD
	s_or_b64 s[22:23], s[30:31], s[22:23]
	s_andn2_b64 exec, exec, s[22:23]
	s_cbranch_execnz .LBB5422_45
; %bb.46:                               ;   in Loop: Header=BB5422_42 Depth=1
	s_or_b64 exec, exec, s[22:23]
	s_branch .LBB5422_41
.LBB5422_47:                            ;   in Loop: Header=BB5422_42 Depth=1
                                        ; implicit-def: $vgpr6
                                        ; implicit-def: $vgpr7
	s_cbranch_execz .LBB5422_42
; %bb.48:
	s_and_saveexec_b64 s[20:21], s[4:5]
	s_cbranch_execz .LBB5422_50
; %bb.49:
	s_add_i32 s4, s29, 64
	s_mov_b32 s5, 0
	s_lshl_b64 s[4:5], s[4:5], 3
	s_add_u32 s4, s6, s4
	v_add_u32_e32 v2, v34, v2
	v_mov_b32_e32 v3, 2
	s_addc_u32 s5, s7, s5
	v_mov_b32_e32 v4, 0
	global_store_dwordx2 v4, v[2:3], s[4:5]
.LBB5422_50:
	s_or_b64 exec, exec, s[20:21]
	s_and_b64 exec, exec, s[0:1]
	s_cbranch_execz .LBB5422_52
; %bb.51:
	v_mov_b32_e32 v2, 0
	ds_write_b32 v2, v34
.LBB5422_52:
	s_or_b64 exec, exec, s[18:19]
	v_mov_b32_e32 v2, 0
	s_waitcnt lgkmcnt(0)
	s_barrier
	ds_read_b32 v2, v2
	s_waitcnt lgkmcnt(0)
	v_add_u32_e32 v2, v2, v25
	v_add_u32_e32 v3, v2, v16
	;; [unrolled: 1-line block ×10, first 2 shown]
	s_branch .LBB5422_63
.LBB5422_53:
                                        ; implicit-def: $vgpr2_vgpr3_vgpr4_vgpr5_vgpr6_vgpr7_vgpr8_vgpr9_vgpr10_vgpr11
	s_cbranch_execz .LBB5422_63
; %bb.54:
	s_cmp_eq_u64 s[12:13], 0
	v_mov_b32_e32 v25, s26
	s_cbranch_scc1 .LBB5422_56
; %bb.55:
	v_mov_b32_e32 v3, s28
	v_add_co_u32_e64 v2, vcc, -4, s27
	v_addc_co_u32_e32 v3, vcc, -1, v3, vcc
	v_mov_b32_e32 v4, 0
	flat_load_dword v5, v[2:3]
	global_load_dword v6, v4, s[8:9]
	s_waitcnt vmcnt(0) lgkmcnt(0)
	v_add_u32_e32 v25, v6, v5
.LBB5422_56:
	v_add3_u32 v2, v24, v12, v13
	v_add3_u32 v2, v2, v14, v15
	;; [unrolled: 1-line block ×3, first 2 shown]
	v_add_lshl_u32 v3, v23, v0, 2
	v_cmp_gt_u32_e32 vcc, 64, v0
	ds_write_b32 v3, v2
	s_waitcnt lgkmcnt(0)
	s_barrier
	s_and_saveexec_b64 s[4:5], vcc
	s_cbranch_execz .LBB5422_58
; %bb.57:
	v_lshlrev_b32_e32 v3, 1, v0
	v_lshrrev_b32_e32 v4, 4, v0
	v_add_lshl_u32 v3, v4, v3, 2
	ds_read2_b32 v[4:5], v3 offset1:1
	v_mbcnt_lo_u32_b32 v6, -1, 0
	v_mbcnt_hi_u32_b32 v6, -1, v6
	v_and_b32_e32 v7, 15, v6
	v_cmp_ne_u32_e32 vcc, 0, v7
	s_waitcnt lgkmcnt(0)
	v_add_u32_e32 v5, v5, v4
	; wave barrier
	s_nop 1
	v_mov_b32_dpp v8, v5 row_shr:1 row_mask:0xf bank_mask:0xf
	v_cndmask_b32_e32 v8, 0, v8, vcc
	v_add_u32_e32 v5, v8, v5
	v_cmp_lt_u32_e32 vcc, 1, v7
	s_nop 0
	v_mov_b32_dpp v8, v5 row_shr:2 row_mask:0xf bank_mask:0xf
	v_cndmask_b32_e32 v8, 0, v8, vcc
	v_add_u32_e32 v5, v5, v8
	v_cmp_lt_u32_e32 vcc, 3, v7
	;; [unrolled: 5-line block ×3, first 2 shown]
	s_nop 0
	v_mov_b32_dpp v8, v5 row_shr:8 row_mask:0xf bank_mask:0xf
	v_cndmask_b32_e32 v7, 0, v8, vcc
	v_add_u32_e32 v5, v5, v7
	v_bfe_i32 v8, v6, 4, 1
	v_cmp_lt_u32_e32 vcc, 31, v6
	v_mov_b32_dpp v7, v5 row_bcast:15 row_mask:0xf bank_mask:0xf
	v_and_b32_e32 v7, v8, v7
	v_add_u32_e32 v5, v5, v7
	v_and_b32_e32 v8, 64, v6
	s_nop 0
	v_mov_b32_dpp v7, v5 row_bcast:31 row_mask:0xf bank_mask:0xf
	v_cndmask_b32_e32 v7, 0, v7, vcc
	v_add_u32_e32 v5, v5, v7
	v_add_u32_e32 v7, -1, v6
	v_cmp_lt_i32_e32 vcc, v7, v8
	v_cndmask_b32_e32 v6, v7, v6, vcc
	v_lshlrev_b32_e32 v6, 2, v6
	ds_bpermute_b32 v5, v6, v5
	s_waitcnt lgkmcnt(0)
	v_add_u32_e32 v4, v5, v4
	v_cndmask_b32_e64 v2, v4, v2, s[0:1]
	ds_write_b32 v3, v2
	; wave barrier
	ds_read_b32 v4, v3 offset:4
	s_waitcnt lgkmcnt(0)
	v_add_u32_e32 v2, v4, v2
	ds_write_b32 v3, v2 offset:4
.LBB5422_58:
	s_or_b64 exec, exec, s[4:5]
	v_mov_b32_e32 v2, v25
	s_waitcnt lgkmcnt(0)
	s_barrier
	s_and_saveexec_b64 s[4:5], s[2:3]
	s_cbranch_execz .LBB5422_60
; %bb.59:
	v_add_u32_e32 v2, -1, v0
	v_lshrrev_b32_e32 v3, 5, v2
	v_add_lshl_u32 v2, v3, v2, 2
	ds_read_b32 v2, v2
	s_waitcnt lgkmcnt(0)
	v_add_u32_e32 v2, v2, v25
.LBB5422_60:
	s_or_b64 exec, exec, s[4:5]
	v_add_u32_e32 v3, v2, v16
	v_add_u32_e32 v4, v3, v17
	;; [unrolled: 1-line block ×9, first 2 shown]
	s_and_saveexec_b64 s[2:3], s[0:1]
	s_cbranch_execz .LBB5422_62
; %bb.61:
	v_mov_b32_e32 v14, 0
	ds_read_b32 v12, v14 offset:520
	v_mov_b32_e32 v13, 2
	s_waitcnt lgkmcnt(0)
	v_add_u32_e32 v12, v12, v25
	global_store_dwordx2 v14, v[12:13], s[6:7] offset:512
.LBB5422_62:
	s_or_b64 exec, exec, s[2:3]
.LBB5422_63:
	s_mov_b64 s[0:1], -1
	s_and_b64 vcc, exec, s[16:17]
	s_barrier
	ds_write2_b64 v1, v[2:3], v[4:5] offset1:1
	ds_write2_b64 v1, v[6:7], v[8:9] offset0:2 offset1:3
	ds_write_b64 v1, v[10:11] offset:32
	s_waitcnt lgkmcnt(0)
	s_cbranch_vccz .LBB5422_65
; %bb.64:
	s_barrier
	s_mov_b64 s[0:1], 0
.LBB5422_65:
	s_andn2_b64 vcc, exec, s[0:1]
	s_cbranch_vccnz .LBB5422_101
; %bb.66:
	v_cmp_lt_u64_e64 s[0:1], s[14:15], 2
	s_and_b64 vcc, exec, s[0:1]
	s_barrier
	s_cbranch_vccnz .LBB5422_101
; %bb.67:
	s_add_u32 s0, s24, -1
	s_addc_u32 s1, s25, -1
	s_add_u32 s2, 0, 0x99986000
	s_addc_u32 s3, 0, 0x59
	s_add_i32 s3, s3, 0x19999940
	s_mul_hi_u32 s7, s2, -10
	s_sub_i32 s7, s7, s2
	s_mul_i32 s8, s3, -10
	s_mul_i32 s4, s2, -10
	s_add_i32 s7, s7, s8
	s_mul_hi_u32 s5, s3, s4
	s_mul_i32 s6, s3, s4
	s_mul_i32 s9, s2, s7
	s_mul_hi_u32 s4, s2, s4
	s_mul_hi_u32 s8, s2, s7
	s_add_u32 s4, s4, s9
	s_addc_u32 s8, 0, s8
	s_add_u32 s4, s4, s6
	s_mul_hi_u32 s9, s3, s7
	s_addc_u32 s4, s8, s5
	s_addc_u32 s5, s9, 0
	s_mul_i32 s6, s3, s7
	s_add_u32 s4, s4, s6
	v_mov_b32_e32 v2, s4
	s_addc_u32 s5, 0, s5
	v_add_co_u32_e32 v2, vcc, s2, v2
	s_cmp_lg_u64 vcc, 0
	s_addc_u32 s2, s3, s5
	v_readfirstlane_b32 s5, v2
	s_mul_i32 s4, s0, s2
	s_mul_hi_u32 s6, s0, s5
	s_mul_hi_u32 s3, s0, s2
	s_add_u32 s4, s6, s4
	s_addc_u32 s3, 0, s3
	s_mul_hi_u32 s7, s1, s5
	s_mul_i32 s5, s1, s5
	s_add_u32 s4, s4, s5
	s_mul_hi_u32 s6, s1, s2
	s_addc_u32 s3, s3, s7
	s_addc_u32 s4, s6, 0
	s_mul_i32 s2, s1, s2
	s_add_u32 s2, s3, s2
	s_addc_u32 s3, 0, s4
	s_add_u32 s4, s2, 1
	s_addc_u32 s5, s3, 0
	s_add_u32 s6, s2, 2
	s_mul_i32 s8, s3, 10
	s_mul_hi_u32 s9, s2, 10
	s_addc_u32 s7, s3, 0
	s_add_i32 s9, s9, s8
	s_mul_i32 s8, s2, 10
	v_mov_b32_e32 v2, s8
	v_sub_co_u32_e32 v2, vcc, s0, v2
	s_cmp_lg_u64 vcc, 0
	s_subb_u32 s8, s1, s9
	v_subrev_co_u32_e32 v3, vcc, 10, v2
	s_cmp_lg_u64 vcc, 0
	s_subb_u32 s9, s8, 0
	v_readfirstlane_b32 s12, v3
	s_cmp_gt_u32 s12, 9
	s_cselect_b32 s12, -1, 0
	s_cmp_eq_u32 s9, 0
	s_cselect_b32 s9, s12, -1
	s_cmp_lg_u32 s9, 0
	s_cselect_b32 s4, s6, s4
	v_readfirstlane_b32 s6, v2
	s_cselect_b32 s5, s7, s5
	s_cmp_gt_u32 s6, 9
	s_cselect_b32 s6, -1, 0
	s_cmp_eq_u32 s8, 0
	s_cselect_b32 s6, s6, -1
	s_cmp_lg_u32 s6, 0
	v_mov_b32_e32 v1, 0
	s_cselect_b32 s3, s5, s3
	s_cselect_b32 s2, s4, s2
	v_cmp_eq_u64_e32 vcc, s[2:3], v[0:1]
	s_and_saveexec_b64 s[2:3], vcc
	s_cbranch_execz .LBB5422_101
; %bb.68:
	v_lshlrev_b32_e32 v2, 2, v0
	v_mul_hi_u32_u24_e32 v1, 10, v0
	v_mov_b32_e32 v3, s1
	v_sub_co_u32_e32 v0, vcc, s0, v22
	v_subb_co_u32_e32 v1, vcc, v3, v1, vcc
	v_cmp_lt_i64_e32 vcc, 4, v[0:1]
	s_and_saveexec_b64 s[0:1], vcc
	s_xor_b64 s[0:1], exec, s[0:1]
	s_cbranch_execz .LBB5422_86
; %bb.69:
	v_cmp_lt_i64_e32 vcc, 6, v[0:1]
	s_and_saveexec_b64 s[2:3], vcc
	s_xor_b64 s[2:3], exec, s[2:3]
	s_cbranch_execz .LBB5422_79
; %bb.70:
	;; [unrolled: 5-line block ×4, first 2 shown]
	ds_read_b32 v0, v2 offset:4608
	v_mov_b32_e32 v1, 0
                                        ; implicit-def: $vgpr2
	s_waitcnt lgkmcnt(0)
	global_store_dword v1, v0, s[10:11]
.LBB5422_73:
	s_andn2_saveexec_b64 s[6:7], s[6:7]
	s_cbranch_execz .LBB5422_75
; %bb.74:
	ds_read_b32 v0, v2 offset:4096
	v_mov_b32_e32 v1, 0
	s_waitcnt lgkmcnt(0)
	global_store_dword v1, v0, s[10:11]
.LBB5422_75:
	s_or_b64 exec, exec, s[6:7]
                                        ; implicit-def: $vgpr2
.LBB5422_76:
	s_andn2_saveexec_b64 s[4:5], s[4:5]
	s_cbranch_execz .LBB5422_78
; %bb.77:
	ds_read_b32 v0, v2 offset:3584
	v_mov_b32_e32 v1, 0
	s_waitcnt lgkmcnt(0)
	global_store_dword v1, v0, s[10:11]
.LBB5422_78:
	s_or_b64 exec, exec, s[4:5]
                                        ; implicit-def: $vgpr2
                                        ; implicit-def: $vgpr0_vgpr1
.LBB5422_79:
	s_andn2_saveexec_b64 s[2:3], s[2:3]
	s_cbranch_execz .LBB5422_85
; %bb.80:
	v_cmp_lt_i64_e32 vcc, 5, v[0:1]
	s_and_saveexec_b64 s[4:5], vcc
	s_xor_b64 s[4:5], exec, s[4:5]
	s_cbranch_execz .LBB5422_82
; %bb.81:
	ds_read_b32 v0, v2 offset:3072
	v_mov_b32_e32 v1, 0
                                        ; implicit-def: $vgpr2
	s_waitcnt lgkmcnt(0)
	global_store_dword v1, v0, s[10:11]
.LBB5422_82:
	s_andn2_saveexec_b64 s[4:5], s[4:5]
	s_cbranch_execz .LBB5422_84
; %bb.83:
	ds_read_b32 v0, v2 offset:2560
	v_mov_b32_e32 v1, 0
	s_waitcnt lgkmcnt(0)
	global_store_dword v1, v0, s[10:11]
.LBB5422_84:
	s_or_b64 exec, exec, s[4:5]
.LBB5422_85:
	s_or_b64 exec, exec, s[2:3]
                                        ; implicit-def: $vgpr0_vgpr1
                                        ; implicit-def: $vgpr2
.LBB5422_86:
	s_andn2_saveexec_b64 s[0:1], s[0:1]
	s_cbranch_execz .LBB5422_101
; %bb.87:
	v_cmp_lt_i64_e32 vcc, 2, v[0:1]
	s_and_saveexec_b64 s[0:1], vcc
	s_xor_b64 s[0:1], exec, s[0:1]
	s_cbranch_execz .LBB5422_93
; %bb.88:
	v_cmp_lt_i64_e32 vcc, 3, v[0:1]
	s_and_saveexec_b64 s[2:3], vcc
	s_xor_b64 s[2:3], exec, s[2:3]
	s_cbranch_execz .LBB5422_90
; %bb.89:
	ds_read_b32 v0, v2 offset:2048
	v_mov_b32_e32 v1, 0
                                        ; implicit-def: $vgpr2
	s_waitcnt lgkmcnt(0)
	global_store_dword v1, v0, s[10:11]
.LBB5422_90:
	s_andn2_saveexec_b64 s[2:3], s[2:3]
	s_cbranch_execz .LBB5422_92
; %bb.91:
	ds_read_b32 v0, v2 offset:1536
	v_mov_b32_e32 v1, 0
	s_waitcnt lgkmcnt(0)
	global_store_dword v1, v0, s[10:11]
.LBB5422_92:
	s_or_b64 exec, exec, s[2:3]
                                        ; implicit-def: $vgpr0_vgpr1
                                        ; implicit-def: $vgpr2
.LBB5422_93:
	s_andn2_saveexec_b64 s[0:1], s[0:1]
	s_cbranch_execz .LBB5422_101
; %bb.94:
	v_cmp_lt_i64_e32 vcc, 1, v[0:1]
	s_and_saveexec_b64 s[0:1], vcc
	s_xor_b64 s[0:1], exec, s[0:1]
	s_cbranch_execz .LBB5422_96
; %bb.95:
	ds_read_b32 v0, v2 offset:1024
	v_mov_b32_e32 v1, 0
                                        ; implicit-def: $vgpr2
	s_waitcnt lgkmcnt(0)
	global_store_dword v1, v0, s[10:11]
                                        ; implicit-def: $vgpr0_vgpr1
.LBB5422_96:
	s_andn2_saveexec_b64 s[0:1], s[0:1]
	s_cbranch_execz .LBB5422_101
; %bb.97:
	v_cmp_ne_u64_e32 vcc, 1, v[0:1]
	s_and_saveexec_b64 s[0:1], vcc
	s_xor_b64 s[0:1], exec, s[0:1]
	s_cbranch_execz .LBB5422_99
; %bb.98:
	ds_read_b32 v0, v2
	v_mov_b32_e32 v1, 0
                                        ; implicit-def: $vgpr2
	s_waitcnt lgkmcnt(0)
	global_store_dword v1, v0, s[10:11]
.LBB5422_99:
	s_andn2_saveexec_b64 s[0:1], s[0:1]
	s_cbranch_execz .LBB5422_101
; %bb.100:
	ds_read_b32 v0, v2 offset:512
	v_mov_b32_e32 v1, 0
	s_waitcnt lgkmcnt(0)
	global_store_dword v1, v0, s[10:11]
.LBB5422_101:
	s_endpgm
	.section	.rodata,"a",@progbits
	.p2align	6, 0x0
	.amdhsa_kernel _ZN7rocprim17ROCPRIM_400000_NS6detail17trampoline_kernelINS0_14default_configENS1_20scan_config_selectorIjEEZZNS1_9scan_implILNS1_25lookback_scan_determinismE0ELb1ELb1ES3_N6thrust23THRUST_200600_302600_NS6detail15normal_iteratorINS9_10device_ptrIjEEEENS9_16discard_iteratorINS9_11use_defaultEEEjNS9_4plusIvEEjEEDaPvRmT3_T4_T5_mT6_P12ihipStream_tbENKUlT_T0_E_clISt17integral_constantIbLb0EESW_IbLb1EEEEDaSS_ST_EUlSS_E_NS1_11comp_targetILNS1_3genE4ELNS1_11target_archE910ELNS1_3gpuE8ELNS1_3repE0EEENS1_30default_config_static_selectorELNS0_4arch9wavefront6targetE1EEEvT1_
		.amdhsa_group_segment_fixed_size 5120
		.amdhsa_private_segment_fixed_size 0
		.amdhsa_kernarg_size 104
		.amdhsa_user_sgpr_count 6
		.amdhsa_user_sgpr_private_segment_buffer 1
		.amdhsa_user_sgpr_dispatch_ptr 0
		.amdhsa_user_sgpr_queue_ptr 0
		.amdhsa_user_sgpr_kernarg_segment_ptr 1
		.amdhsa_user_sgpr_dispatch_id 0
		.amdhsa_user_sgpr_flat_scratch_init 0
		.amdhsa_user_sgpr_kernarg_preload_length 0
		.amdhsa_user_sgpr_kernarg_preload_offset 0
		.amdhsa_user_sgpr_private_segment_size 0
		.amdhsa_uses_dynamic_stack 0
		.amdhsa_system_sgpr_private_segment_wavefront_offset 0
		.amdhsa_system_sgpr_workgroup_id_x 1
		.amdhsa_system_sgpr_workgroup_id_y 0
		.amdhsa_system_sgpr_workgroup_id_z 0
		.amdhsa_system_sgpr_workgroup_info 0
		.amdhsa_system_vgpr_workitem_id 0
		.amdhsa_next_free_vgpr 40
		.amdhsa_next_free_sgpr 32
		.amdhsa_accum_offset 40
		.amdhsa_reserve_vcc 1
		.amdhsa_reserve_flat_scratch 0
		.amdhsa_float_round_mode_32 0
		.amdhsa_float_round_mode_16_64 0
		.amdhsa_float_denorm_mode_32 3
		.amdhsa_float_denorm_mode_16_64 3
		.amdhsa_dx10_clamp 1
		.amdhsa_ieee_mode 1
		.amdhsa_fp16_overflow 0
		.amdhsa_tg_split 0
		.amdhsa_exception_fp_ieee_invalid_op 0
		.amdhsa_exception_fp_denorm_src 0
		.amdhsa_exception_fp_ieee_div_zero 0
		.amdhsa_exception_fp_ieee_overflow 0
		.amdhsa_exception_fp_ieee_underflow 0
		.amdhsa_exception_fp_ieee_inexact 0
		.amdhsa_exception_int_div_zero 0
	.end_amdhsa_kernel
	.section	.text._ZN7rocprim17ROCPRIM_400000_NS6detail17trampoline_kernelINS0_14default_configENS1_20scan_config_selectorIjEEZZNS1_9scan_implILNS1_25lookback_scan_determinismE0ELb1ELb1ES3_N6thrust23THRUST_200600_302600_NS6detail15normal_iteratorINS9_10device_ptrIjEEEENS9_16discard_iteratorINS9_11use_defaultEEEjNS9_4plusIvEEjEEDaPvRmT3_T4_T5_mT6_P12ihipStream_tbENKUlT_T0_E_clISt17integral_constantIbLb0EESW_IbLb1EEEEDaSS_ST_EUlSS_E_NS1_11comp_targetILNS1_3genE4ELNS1_11target_archE910ELNS1_3gpuE8ELNS1_3repE0EEENS1_30default_config_static_selectorELNS0_4arch9wavefront6targetE1EEEvT1_,"axG",@progbits,_ZN7rocprim17ROCPRIM_400000_NS6detail17trampoline_kernelINS0_14default_configENS1_20scan_config_selectorIjEEZZNS1_9scan_implILNS1_25lookback_scan_determinismE0ELb1ELb1ES3_N6thrust23THRUST_200600_302600_NS6detail15normal_iteratorINS9_10device_ptrIjEEEENS9_16discard_iteratorINS9_11use_defaultEEEjNS9_4plusIvEEjEEDaPvRmT3_T4_T5_mT6_P12ihipStream_tbENKUlT_T0_E_clISt17integral_constantIbLb0EESW_IbLb1EEEEDaSS_ST_EUlSS_E_NS1_11comp_targetILNS1_3genE4ELNS1_11target_archE910ELNS1_3gpuE8ELNS1_3repE0EEENS1_30default_config_static_selectorELNS0_4arch9wavefront6targetE1EEEvT1_,comdat
.Lfunc_end5422:
	.size	_ZN7rocprim17ROCPRIM_400000_NS6detail17trampoline_kernelINS0_14default_configENS1_20scan_config_selectorIjEEZZNS1_9scan_implILNS1_25lookback_scan_determinismE0ELb1ELb1ES3_N6thrust23THRUST_200600_302600_NS6detail15normal_iteratorINS9_10device_ptrIjEEEENS9_16discard_iteratorINS9_11use_defaultEEEjNS9_4plusIvEEjEEDaPvRmT3_T4_T5_mT6_P12ihipStream_tbENKUlT_T0_E_clISt17integral_constantIbLb0EESW_IbLb1EEEEDaSS_ST_EUlSS_E_NS1_11comp_targetILNS1_3genE4ELNS1_11target_archE910ELNS1_3gpuE8ELNS1_3repE0EEENS1_30default_config_static_selectorELNS0_4arch9wavefront6targetE1EEEvT1_, .Lfunc_end5422-_ZN7rocprim17ROCPRIM_400000_NS6detail17trampoline_kernelINS0_14default_configENS1_20scan_config_selectorIjEEZZNS1_9scan_implILNS1_25lookback_scan_determinismE0ELb1ELb1ES3_N6thrust23THRUST_200600_302600_NS6detail15normal_iteratorINS9_10device_ptrIjEEEENS9_16discard_iteratorINS9_11use_defaultEEEjNS9_4plusIvEEjEEDaPvRmT3_T4_T5_mT6_P12ihipStream_tbENKUlT_T0_E_clISt17integral_constantIbLb0EESW_IbLb1EEEEDaSS_ST_EUlSS_E_NS1_11comp_targetILNS1_3genE4ELNS1_11target_archE910ELNS1_3gpuE8ELNS1_3repE0EEENS1_30default_config_static_selectorELNS0_4arch9wavefront6targetE1EEEvT1_
                                        ; -- End function
	.section	.AMDGPU.csdata,"",@progbits
; Kernel info:
; codeLenInByte = 3952
; NumSgprs: 36
; NumVgprs: 40
; NumAgprs: 0
; TotalNumVgprs: 40
; ScratchSize: 0
; MemoryBound: 0
; FloatMode: 240
; IeeeMode: 1
; LDSByteSize: 5120 bytes/workgroup (compile time only)
; SGPRBlocks: 4
; VGPRBlocks: 4
; NumSGPRsForWavesPerEU: 36
; NumVGPRsForWavesPerEU: 40
; AccumOffset: 40
; Occupancy: 6
; WaveLimiterHint : 1
; COMPUTE_PGM_RSRC2:SCRATCH_EN: 0
; COMPUTE_PGM_RSRC2:USER_SGPR: 6
; COMPUTE_PGM_RSRC2:TRAP_HANDLER: 0
; COMPUTE_PGM_RSRC2:TGID_X_EN: 1
; COMPUTE_PGM_RSRC2:TGID_Y_EN: 0
; COMPUTE_PGM_RSRC2:TGID_Z_EN: 0
; COMPUTE_PGM_RSRC2:TIDIG_COMP_CNT: 0
; COMPUTE_PGM_RSRC3_GFX90A:ACCUM_OFFSET: 9
; COMPUTE_PGM_RSRC3_GFX90A:TG_SPLIT: 0
	.section	.text._ZN7rocprim17ROCPRIM_400000_NS6detail17trampoline_kernelINS0_14default_configENS1_20scan_config_selectorIjEEZZNS1_9scan_implILNS1_25lookback_scan_determinismE0ELb1ELb1ES3_N6thrust23THRUST_200600_302600_NS6detail15normal_iteratorINS9_10device_ptrIjEEEENS9_16discard_iteratorINS9_11use_defaultEEEjNS9_4plusIvEEjEEDaPvRmT3_T4_T5_mT6_P12ihipStream_tbENKUlT_T0_E_clISt17integral_constantIbLb0EESW_IbLb1EEEEDaSS_ST_EUlSS_E_NS1_11comp_targetILNS1_3genE3ELNS1_11target_archE908ELNS1_3gpuE7ELNS1_3repE0EEENS1_30default_config_static_selectorELNS0_4arch9wavefront6targetE1EEEvT1_,"axG",@progbits,_ZN7rocprim17ROCPRIM_400000_NS6detail17trampoline_kernelINS0_14default_configENS1_20scan_config_selectorIjEEZZNS1_9scan_implILNS1_25lookback_scan_determinismE0ELb1ELb1ES3_N6thrust23THRUST_200600_302600_NS6detail15normal_iteratorINS9_10device_ptrIjEEEENS9_16discard_iteratorINS9_11use_defaultEEEjNS9_4plusIvEEjEEDaPvRmT3_T4_T5_mT6_P12ihipStream_tbENKUlT_T0_E_clISt17integral_constantIbLb0EESW_IbLb1EEEEDaSS_ST_EUlSS_E_NS1_11comp_targetILNS1_3genE3ELNS1_11target_archE908ELNS1_3gpuE7ELNS1_3repE0EEENS1_30default_config_static_selectorELNS0_4arch9wavefront6targetE1EEEvT1_,comdat
	.protected	_ZN7rocprim17ROCPRIM_400000_NS6detail17trampoline_kernelINS0_14default_configENS1_20scan_config_selectorIjEEZZNS1_9scan_implILNS1_25lookback_scan_determinismE0ELb1ELb1ES3_N6thrust23THRUST_200600_302600_NS6detail15normal_iteratorINS9_10device_ptrIjEEEENS9_16discard_iteratorINS9_11use_defaultEEEjNS9_4plusIvEEjEEDaPvRmT3_T4_T5_mT6_P12ihipStream_tbENKUlT_T0_E_clISt17integral_constantIbLb0EESW_IbLb1EEEEDaSS_ST_EUlSS_E_NS1_11comp_targetILNS1_3genE3ELNS1_11target_archE908ELNS1_3gpuE7ELNS1_3repE0EEENS1_30default_config_static_selectorELNS0_4arch9wavefront6targetE1EEEvT1_ ; -- Begin function _ZN7rocprim17ROCPRIM_400000_NS6detail17trampoline_kernelINS0_14default_configENS1_20scan_config_selectorIjEEZZNS1_9scan_implILNS1_25lookback_scan_determinismE0ELb1ELb1ES3_N6thrust23THRUST_200600_302600_NS6detail15normal_iteratorINS9_10device_ptrIjEEEENS9_16discard_iteratorINS9_11use_defaultEEEjNS9_4plusIvEEjEEDaPvRmT3_T4_T5_mT6_P12ihipStream_tbENKUlT_T0_E_clISt17integral_constantIbLb0EESW_IbLb1EEEEDaSS_ST_EUlSS_E_NS1_11comp_targetILNS1_3genE3ELNS1_11target_archE908ELNS1_3gpuE7ELNS1_3repE0EEENS1_30default_config_static_selectorELNS0_4arch9wavefront6targetE1EEEvT1_
	.globl	_ZN7rocprim17ROCPRIM_400000_NS6detail17trampoline_kernelINS0_14default_configENS1_20scan_config_selectorIjEEZZNS1_9scan_implILNS1_25lookback_scan_determinismE0ELb1ELb1ES3_N6thrust23THRUST_200600_302600_NS6detail15normal_iteratorINS9_10device_ptrIjEEEENS9_16discard_iteratorINS9_11use_defaultEEEjNS9_4plusIvEEjEEDaPvRmT3_T4_T5_mT6_P12ihipStream_tbENKUlT_T0_E_clISt17integral_constantIbLb0EESW_IbLb1EEEEDaSS_ST_EUlSS_E_NS1_11comp_targetILNS1_3genE3ELNS1_11target_archE908ELNS1_3gpuE7ELNS1_3repE0EEENS1_30default_config_static_selectorELNS0_4arch9wavefront6targetE1EEEvT1_
	.p2align	8
	.type	_ZN7rocprim17ROCPRIM_400000_NS6detail17trampoline_kernelINS0_14default_configENS1_20scan_config_selectorIjEEZZNS1_9scan_implILNS1_25lookback_scan_determinismE0ELb1ELb1ES3_N6thrust23THRUST_200600_302600_NS6detail15normal_iteratorINS9_10device_ptrIjEEEENS9_16discard_iteratorINS9_11use_defaultEEEjNS9_4plusIvEEjEEDaPvRmT3_T4_T5_mT6_P12ihipStream_tbENKUlT_T0_E_clISt17integral_constantIbLb0EESW_IbLb1EEEEDaSS_ST_EUlSS_E_NS1_11comp_targetILNS1_3genE3ELNS1_11target_archE908ELNS1_3gpuE7ELNS1_3repE0EEENS1_30default_config_static_selectorELNS0_4arch9wavefront6targetE1EEEvT1_,@function
_ZN7rocprim17ROCPRIM_400000_NS6detail17trampoline_kernelINS0_14default_configENS1_20scan_config_selectorIjEEZZNS1_9scan_implILNS1_25lookback_scan_determinismE0ELb1ELb1ES3_N6thrust23THRUST_200600_302600_NS6detail15normal_iteratorINS9_10device_ptrIjEEEENS9_16discard_iteratorINS9_11use_defaultEEEjNS9_4plusIvEEjEEDaPvRmT3_T4_T5_mT6_P12ihipStream_tbENKUlT_T0_E_clISt17integral_constantIbLb0EESW_IbLb1EEEEDaSS_ST_EUlSS_E_NS1_11comp_targetILNS1_3genE3ELNS1_11target_archE908ELNS1_3gpuE7ELNS1_3repE0EEENS1_30default_config_static_selectorELNS0_4arch9wavefront6targetE1EEEvT1_: ; @_ZN7rocprim17ROCPRIM_400000_NS6detail17trampoline_kernelINS0_14default_configENS1_20scan_config_selectorIjEEZZNS1_9scan_implILNS1_25lookback_scan_determinismE0ELb1ELb1ES3_N6thrust23THRUST_200600_302600_NS6detail15normal_iteratorINS9_10device_ptrIjEEEENS9_16discard_iteratorINS9_11use_defaultEEEjNS9_4plusIvEEjEEDaPvRmT3_T4_T5_mT6_P12ihipStream_tbENKUlT_T0_E_clISt17integral_constantIbLb0EESW_IbLb1EEEEDaSS_ST_EUlSS_E_NS1_11comp_targetILNS1_3genE3ELNS1_11target_archE908ELNS1_3gpuE7ELNS1_3repE0EEENS1_30default_config_static_selectorELNS0_4arch9wavefront6targetE1EEEvT1_
; %bb.0:
	.section	.rodata,"a",@progbits
	.p2align	6, 0x0
	.amdhsa_kernel _ZN7rocprim17ROCPRIM_400000_NS6detail17trampoline_kernelINS0_14default_configENS1_20scan_config_selectorIjEEZZNS1_9scan_implILNS1_25lookback_scan_determinismE0ELb1ELb1ES3_N6thrust23THRUST_200600_302600_NS6detail15normal_iteratorINS9_10device_ptrIjEEEENS9_16discard_iteratorINS9_11use_defaultEEEjNS9_4plusIvEEjEEDaPvRmT3_T4_T5_mT6_P12ihipStream_tbENKUlT_T0_E_clISt17integral_constantIbLb0EESW_IbLb1EEEEDaSS_ST_EUlSS_E_NS1_11comp_targetILNS1_3genE3ELNS1_11target_archE908ELNS1_3gpuE7ELNS1_3repE0EEENS1_30default_config_static_selectorELNS0_4arch9wavefront6targetE1EEEvT1_
		.amdhsa_group_segment_fixed_size 0
		.amdhsa_private_segment_fixed_size 0
		.amdhsa_kernarg_size 104
		.amdhsa_user_sgpr_count 6
		.amdhsa_user_sgpr_private_segment_buffer 1
		.amdhsa_user_sgpr_dispatch_ptr 0
		.amdhsa_user_sgpr_queue_ptr 0
		.amdhsa_user_sgpr_kernarg_segment_ptr 1
		.amdhsa_user_sgpr_dispatch_id 0
		.amdhsa_user_sgpr_flat_scratch_init 0
		.amdhsa_user_sgpr_kernarg_preload_length 0
		.amdhsa_user_sgpr_kernarg_preload_offset 0
		.amdhsa_user_sgpr_private_segment_size 0
		.amdhsa_uses_dynamic_stack 0
		.amdhsa_system_sgpr_private_segment_wavefront_offset 0
		.amdhsa_system_sgpr_workgroup_id_x 1
		.amdhsa_system_sgpr_workgroup_id_y 0
		.amdhsa_system_sgpr_workgroup_id_z 0
		.amdhsa_system_sgpr_workgroup_info 0
		.amdhsa_system_vgpr_workitem_id 0
		.amdhsa_next_free_vgpr 1
		.amdhsa_next_free_sgpr 0
		.amdhsa_accum_offset 4
		.amdhsa_reserve_vcc 0
		.amdhsa_reserve_flat_scratch 0
		.amdhsa_float_round_mode_32 0
		.amdhsa_float_round_mode_16_64 0
		.amdhsa_float_denorm_mode_32 3
		.amdhsa_float_denorm_mode_16_64 3
		.amdhsa_dx10_clamp 1
		.amdhsa_ieee_mode 1
		.amdhsa_fp16_overflow 0
		.amdhsa_tg_split 0
		.amdhsa_exception_fp_ieee_invalid_op 0
		.amdhsa_exception_fp_denorm_src 0
		.amdhsa_exception_fp_ieee_div_zero 0
		.amdhsa_exception_fp_ieee_overflow 0
		.amdhsa_exception_fp_ieee_underflow 0
		.amdhsa_exception_fp_ieee_inexact 0
		.amdhsa_exception_int_div_zero 0
	.end_amdhsa_kernel
	.section	.text._ZN7rocprim17ROCPRIM_400000_NS6detail17trampoline_kernelINS0_14default_configENS1_20scan_config_selectorIjEEZZNS1_9scan_implILNS1_25lookback_scan_determinismE0ELb1ELb1ES3_N6thrust23THRUST_200600_302600_NS6detail15normal_iteratorINS9_10device_ptrIjEEEENS9_16discard_iteratorINS9_11use_defaultEEEjNS9_4plusIvEEjEEDaPvRmT3_T4_T5_mT6_P12ihipStream_tbENKUlT_T0_E_clISt17integral_constantIbLb0EESW_IbLb1EEEEDaSS_ST_EUlSS_E_NS1_11comp_targetILNS1_3genE3ELNS1_11target_archE908ELNS1_3gpuE7ELNS1_3repE0EEENS1_30default_config_static_selectorELNS0_4arch9wavefront6targetE1EEEvT1_,"axG",@progbits,_ZN7rocprim17ROCPRIM_400000_NS6detail17trampoline_kernelINS0_14default_configENS1_20scan_config_selectorIjEEZZNS1_9scan_implILNS1_25lookback_scan_determinismE0ELb1ELb1ES3_N6thrust23THRUST_200600_302600_NS6detail15normal_iteratorINS9_10device_ptrIjEEEENS9_16discard_iteratorINS9_11use_defaultEEEjNS9_4plusIvEEjEEDaPvRmT3_T4_T5_mT6_P12ihipStream_tbENKUlT_T0_E_clISt17integral_constantIbLb0EESW_IbLb1EEEEDaSS_ST_EUlSS_E_NS1_11comp_targetILNS1_3genE3ELNS1_11target_archE908ELNS1_3gpuE7ELNS1_3repE0EEENS1_30default_config_static_selectorELNS0_4arch9wavefront6targetE1EEEvT1_,comdat
.Lfunc_end5423:
	.size	_ZN7rocprim17ROCPRIM_400000_NS6detail17trampoline_kernelINS0_14default_configENS1_20scan_config_selectorIjEEZZNS1_9scan_implILNS1_25lookback_scan_determinismE0ELb1ELb1ES3_N6thrust23THRUST_200600_302600_NS6detail15normal_iteratorINS9_10device_ptrIjEEEENS9_16discard_iteratorINS9_11use_defaultEEEjNS9_4plusIvEEjEEDaPvRmT3_T4_T5_mT6_P12ihipStream_tbENKUlT_T0_E_clISt17integral_constantIbLb0EESW_IbLb1EEEEDaSS_ST_EUlSS_E_NS1_11comp_targetILNS1_3genE3ELNS1_11target_archE908ELNS1_3gpuE7ELNS1_3repE0EEENS1_30default_config_static_selectorELNS0_4arch9wavefront6targetE1EEEvT1_, .Lfunc_end5423-_ZN7rocprim17ROCPRIM_400000_NS6detail17trampoline_kernelINS0_14default_configENS1_20scan_config_selectorIjEEZZNS1_9scan_implILNS1_25lookback_scan_determinismE0ELb1ELb1ES3_N6thrust23THRUST_200600_302600_NS6detail15normal_iteratorINS9_10device_ptrIjEEEENS9_16discard_iteratorINS9_11use_defaultEEEjNS9_4plusIvEEjEEDaPvRmT3_T4_T5_mT6_P12ihipStream_tbENKUlT_T0_E_clISt17integral_constantIbLb0EESW_IbLb1EEEEDaSS_ST_EUlSS_E_NS1_11comp_targetILNS1_3genE3ELNS1_11target_archE908ELNS1_3gpuE7ELNS1_3repE0EEENS1_30default_config_static_selectorELNS0_4arch9wavefront6targetE1EEEvT1_
                                        ; -- End function
	.section	.AMDGPU.csdata,"",@progbits
; Kernel info:
; codeLenInByte = 0
; NumSgprs: 4
; NumVgprs: 0
; NumAgprs: 0
; TotalNumVgprs: 0
; ScratchSize: 0
; MemoryBound: 0
; FloatMode: 240
; IeeeMode: 1
; LDSByteSize: 0 bytes/workgroup (compile time only)
; SGPRBlocks: 0
; VGPRBlocks: 0
; NumSGPRsForWavesPerEU: 4
; NumVGPRsForWavesPerEU: 1
; AccumOffset: 4
; Occupancy: 8
; WaveLimiterHint : 0
; COMPUTE_PGM_RSRC2:SCRATCH_EN: 0
; COMPUTE_PGM_RSRC2:USER_SGPR: 6
; COMPUTE_PGM_RSRC2:TRAP_HANDLER: 0
; COMPUTE_PGM_RSRC2:TGID_X_EN: 1
; COMPUTE_PGM_RSRC2:TGID_Y_EN: 0
; COMPUTE_PGM_RSRC2:TGID_Z_EN: 0
; COMPUTE_PGM_RSRC2:TIDIG_COMP_CNT: 0
; COMPUTE_PGM_RSRC3_GFX90A:ACCUM_OFFSET: 0
; COMPUTE_PGM_RSRC3_GFX90A:TG_SPLIT: 0
	.section	.text._ZN7rocprim17ROCPRIM_400000_NS6detail17trampoline_kernelINS0_14default_configENS1_20scan_config_selectorIjEEZZNS1_9scan_implILNS1_25lookback_scan_determinismE0ELb1ELb1ES3_N6thrust23THRUST_200600_302600_NS6detail15normal_iteratorINS9_10device_ptrIjEEEENS9_16discard_iteratorINS9_11use_defaultEEEjNS9_4plusIvEEjEEDaPvRmT3_T4_T5_mT6_P12ihipStream_tbENKUlT_T0_E_clISt17integral_constantIbLb0EESW_IbLb1EEEEDaSS_ST_EUlSS_E_NS1_11comp_targetILNS1_3genE2ELNS1_11target_archE906ELNS1_3gpuE6ELNS1_3repE0EEENS1_30default_config_static_selectorELNS0_4arch9wavefront6targetE1EEEvT1_,"axG",@progbits,_ZN7rocprim17ROCPRIM_400000_NS6detail17trampoline_kernelINS0_14default_configENS1_20scan_config_selectorIjEEZZNS1_9scan_implILNS1_25lookback_scan_determinismE0ELb1ELb1ES3_N6thrust23THRUST_200600_302600_NS6detail15normal_iteratorINS9_10device_ptrIjEEEENS9_16discard_iteratorINS9_11use_defaultEEEjNS9_4plusIvEEjEEDaPvRmT3_T4_T5_mT6_P12ihipStream_tbENKUlT_T0_E_clISt17integral_constantIbLb0EESW_IbLb1EEEEDaSS_ST_EUlSS_E_NS1_11comp_targetILNS1_3genE2ELNS1_11target_archE906ELNS1_3gpuE6ELNS1_3repE0EEENS1_30default_config_static_selectorELNS0_4arch9wavefront6targetE1EEEvT1_,comdat
	.protected	_ZN7rocprim17ROCPRIM_400000_NS6detail17trampoline_kernelINS0_14default_configENS1_20scan_config_selectorIjEEZZNS1_9scan_implILNS1_25lookback_scan_determinismE0ELb1ELb1ES3_N6thrust23THRUST_200600_302600_NS6detail15normal_iteratorINS9_10device_ptrIjEEEENS9_16discard_iteratorINS9_11use_defaultEEEjNS9_4plusIvEEjEEDaPvRmT3_T4_T5_mT6_P12ihipStream_tbENKUlT_T0_E_clISt17integral_constantIbLb0EESW_IbLb1EEEEDaSS_ST_EUlSS_E_NS1_11comp_targetILNS1_3genE2ELNS1_11target_archE906ELNS1_3gpuE6ELNS1_3repE0EEENS1_30default_config_static_selectorELNS0_4arch9wavefront6targetE1EEEvT1_ ; -- Begin function _ZN7rocprim17ROCPRIM_400000_NS6detail17trampoline_kernelINS0_14default_configENS1_20scan_config_selectorIjEEZZNS1_9scan_implILNS1_25lookback_scan_determinismE0ELb1ELb1ES3_N6thrust23THRUST_200600_302600_NS6detail15normal_iteratorINS9_10device_ptrIjEEEENS9_16discard_iteratorINS9_11use_defaultEEEjNS9_4plusIvEEjEEDaPvRmT3_T4_T5_mT6_P12ihipStream_tbENKUlT_T0_E_clISt17integral_constantIbLb0EESW_IbLb1EEEEDaSS_ST_EUlSS_E_NS1_11comp_targetILNS1_3genE2ELNS1_11target_archE906ELNS1_3gpuE6ELNS1_3repE0EEENS1_30default_config_static_selectorELNS0_4arch9wavefront6targetE1EEEvT1_
	.globl	_ZN7rocprim17ROCPRIM_400000_NS6detail17trampoline_kernelINS0_14default_configENS1_20scan_config_selectorIjEEZZNS1_9scan_implILNS1_25lookback_scan_determinismE0ELb1ELb1ES3_N6thrust23THRUST_200600_302600_NS6detail15normal_iteratorINS9_10device_ptrIjEEEENS9_16discard_iteratorINS9_11use_defaultEEEjNS9_4plusIvEEjEEDaPvRmT3_T4_T5_mT6_P12ihipStream_tbENKUlT_T0_E_clISt17integral_constantIbLb0EESW_IbLb1EEEEDaSS_ST_EUlSS_E_NS1_11comp_targetILNS1_3genE2ELNS1_11target_archE906ELNS1_3gpuE6ELNS1_3repE0EEENS1_30default_config_static_selectorELNS0_4arch9wavefront6targetE1EEEvT1_
	.p2align	8
	.type	_ZN7rocprim17ROCPRIM_400000_NS6detail17trampoline_kernelINS0_14default_configENS1_20scan_config_selectorIjEEZZNS1_9scan_implILNS1_25lookback_scan_determinismE0ELb1ELb1ES3_N6thrust23THRUST_200600_302600_NS6detail15normal_iteratorINS9_10device_ptrIjEEEENS9_16discard_iteratorINS9_11use_defaultEEEjNS9_4plusIvEEjEEDaPvRmT3_T4_T5_mT6_P12ihipStream_tbENKUlT_T0_E_clISt17integral_constantIbLb0EESW_IbLb1EEEEDaSS_ST_EUlSS_E_NS1_11comp_targetILNS1_3genE2ELNS1_11target_archE906ELNS1_3gpuE6ELNS1_3repE0EEENS1_30default_config_static_selectorELNS0_4arch9wavefront6targetE1EEEvT1_,@function
_ZN7rocprim17ROCPRIM_400000_NS6detail17trampoline_kernelINS0_14default_configENS1_20scan_config_selectorIjEEZZNS1_9scan_implILNS1_25lookback_scan_determinismE0ELb1ELb1ES3_N6thrust23THRUST_200600_302600_NS6detail15normal_iteratorINS9_10device_ptrIjEEEENS9_16discard_iteratorINS9_11use_defaultEEEjNS9_4plusIvEEjEEDaPvRmT3_T4_T5_mT6_P12ihipStream_tbENKUlT_T0_E_clISt17integral_constantIbLb0EESW_IbLb1EEEEDaSS_ST_EUlSS_E_NS1_11comp_targetILNS1_3genE2ELNS1_11target_archE906ELNS1_3gpuE6ELNS1_3repE0EEENS1_30default_config_static_selectorELNS0_4arch9wavefront6targetE1EEEvT1_: ; @_ZN7rocprim17ROCPRIM_400000_NS6detail17trampoline_kernelINS0_14default_configENS1_20scan_config_selectorIjEEZZNS1_9scan_implILNS1_25lookback_scan_determinismE0ELb1ELb1ES3_N6thrust23THRUST_200600_302600_NS6detail15normal_iteratorINS9_10device_ptrIjEEEENS9_16discard_iteratorINS9_11use_defaultEEEjNS9_4plusIvEEjEEDaPvRmT3_T4_T5_mT6_P12ihipStream_tbENKUlT_T0_E_clISt17integral_constantIbLb0EESW_IbLb1EEEEDaSS_ST_EUlSS_E_NS1_11comp_targetILNS1_3genE2ELNS1_11target_archE906ELNS1_3gpuE6ELNS1_3repE0EEENS1_30default_config_static_selectorELNS0_4arch9wavefront6targetE1EEEvT1_
; %bb.0:
	.section	.rodata,"a",@progbits
	.p2align	6, 0x0
	.amdhsa_kernel _ZN7rocprim17ROCPRIM_400000_NS6detail17trampoline_kernelINS0_14default_configENS1_20scan_config_selectorIjEEZZNS1_9scan_implILNS1_25lookback_scan_determinismE0ELb1ELb1ES3_N6thrust23THRUST_200600_302600_NS6detail15normal_iteratorINS9_10device_ptrIjEEEENS9_16discard_iteratorINS9_11use_defaultEEEjNS9_4plusIvEEjEEDaPvRmT3_T4_T5_mT6_P12ihipStream_tbENKUlT_T0_E_clISt17integral_constantIbLb0EESW_IbLb1EEEEDaSS_ST_EUlSS_E_NS1_11comp_targetILNS1_3genE2ELNS1_11target_archE906ELNS1_3gpuE6ELNS1_3repE0EEENS1_30default_config_static_selectorELNS0_4arch9wavefront6targetE1EEEvT1_
		.amdhsa_group_segment_fixed_size 0
		.amdhsa_private_segment_fixed_size 0
		.amdhsa_kernarg_size 104
		.amdhsa_user_sgpr_count 6
		.amdhsa_user_sgpr_private_segment_buffer 1
		.amdhsa_user_sgpr_dispatch_ptr 0
		.amdhsa_user_sgpr_queue_ptr 0
		.amdhsa_user_sgpr_kernarg_segment_ptr 1
		.amdhsa_user_sgpr_dispatch_id 0
		.amdhsa_user_sgpr_flat_scratch_init 0
		.amdhsa_user_sgpr_kernarg_preload_length 0
		.amdhsa_user_sgpr_kernarg_preload_offset 0
		.amdhsa_user_sgpr_private_segment_size 0
		.amdhsa_uses_dynamic_stack 0
		.amdhsa_system_sgpr_private_segment_wavefront_offset 0
		.amdhsa_system_sgpr_workgroup_id_x 1
		.amdhsa_system_sgpr_workgroup_id_y 0
		.amdhsa_system_sgpr_workgroup_id_z 0
		.amdhsa_system_sgpr_workgroup_info 0
		.amdhsa_system_vgpr_workitem_id 0
		.amdhsa_next_free_vgpr 1
		.amdhsa_next_free_sgpr 0
		.amdhsa_accum_offset 4
		.amdhsa_reserve_vcc 0
		.amdhsa_reserve_flat_scratch 0
		.amdhsa_float_round_mode_32 0
		.amdhsa_float_round_mode_16_64 0
		.amdhsa_float_denorm_mode_32 3
		.amdhsa_float_denorm_mode_16_64 3
		.amdhsa_dx10_clamp 1
		.amdhsa_ieee_mode 1
		.amdhsa_fp16_overflow 0
		.amdhsa_tg_split 0
		.amdhsa_exception_fp_ieee_invalid_op 0
		.amdhsa_exception_fp_denorm_src 0
		.amdhsa_exception_fp_ieee_div_zero 0
		.amdhsa_exception_fp_ieee_overflow 0
		.amdhsa_exception_fp_ieee_underflow 0
		.amdhsa_exception_fp_ieee_inexact 0
		.amdhsa_exception_int_div_zero 0
	.end_amdhsa_kernel
	.section	.text._ZN7rocprim17ROCPRIM_400000_NS6detail17trampoline_kernelINS0_14default_configENS1_20scan_config_selectorIjEEZZNS1_9scan_implILNS1_25lookback_scan_determinismE0ELb1ELb1ES3_N6thrust23THRUST_200600_302600_NS6detail15normal_iteratorINS9_10device_ptrIjEEEENS9_16discard_iteratorINS9_11use_defaultEEEjNS9_4plusIvEEjEEDaPvRmT3_T4_T5_mT6_P12ihipStream_tbENKUlT_T0_E_clISt17integral_constantIbLb0EESW_IbLb1EEEEDaSS_ST_EUlSS_E_NS1_11comp_targetILNS1_3genE2ELNS1_11target_archE906ELNS1_3gpuE6ELNS1_3repE0EEENS1_30default_config_static_selectorELNS0_4arch9wavefront6targetE1EEEvT1_,"axG",@progbits,_ZN7rocprim17ROCPRIM_400000_NS6detail17trampoline_kernelINS0_14default_configENS1_20scan_config_selectorIjEEZZNS1_9scan_implILNS1_25lookback_scan_determinismE0ELb1ELb1ES3_N6thrust23THRUST_200600_302600_NS6detail15normal_iteratorINS9_10device_ptrIjEEEENS9_16discard_iteratorINS9_11use_defaultEEEjNS9_4plusIvEEjEEDaPvRmT3_T4_T5_mT6_P12ihipStream_tbENKUlT_T0_E_clISt17integral_constantIbLb0EESW_IbLb1EEEEDaSS_ST_EUlSS_E_NS1_11comp_targetILNS1_3genE2ELNS1_11target_archE906ELNS1_3gpuE6ELNS1_3repE0EEENS1_30default_config_static_selectorELNS0_4arch9wavefront6targetE1EEEvT1_,comdat
.Lfunc_end5424:
	.size	_ZN7rocprim17ROCPRIM_400000_NS6detail17trampoline_kernelINS0_14default_configENS1_20scan_config_selectorIjEEZZNS1_9scan_implILNS1_25lookback_scan_determinismE0ELb1ELb1ES3_N6thrust23THRUST_200600_302600_NS6detail15normal_iteratorINS9_10device_ptrIjEEEENS9_16discard_iteratorINS9_11use_defaultEEEjNS9_4plusIvEEjEEDaPvRmT3_T4_T5_mT6_P12ihipStream_tbENKUlT_T0_E_clISt17integral_constantIbLb0EESW_IbLb1EEEEDaSS_ST_EUlSS_E_NS1_11comp_targetILNS1_3genE2ELNS1_11target_archE906ELNS1_3gpuE6ELNS1_3repE0EEENS1_30default_config_static_selectorELNS0_4arch9wavefront6targetE1EEEvT1_, .Lfunc_end5424-_ZN7rocprim17ROCPRIM_400000_NS6detail17trampoline_kernelINS0_14default_configENS1_20scan_config_selectorIjEEZZNS1_9scan_implILNS1_25lookback_scan_determinismE0ELb1ELb1ES3_N6thrust23THRUST_200600_302600_NS6detail15normal_iteratorINS9_10device_ptrIjEEEENS9_16discard_iteratorINS9_11use_defaultEEEjNS9_4plusIvEEjEEDaPvRmT3_T4_T5_mT6_P12ihipStream_tbENKUlT_T0_E_clISt17integral_constantIbLb0EESW_IbLb1EEEEDaSS_ST_EUlSS_E_NS1_11comp_targetILNS1_3genE2ELNS1_11target_archE906ELNS1_3gpuE6ELNS1_3repE0EEENS1_30default_config_static_selectorELNS0_4arch9wavefront6targetE1EEEvT1_
                                        ; -- End function
	.section	.AMDGPU.csdata,"",@progbits
; Kernel info:
; codeLenInByte = 0
; NumSgprs: 4
; NumVgprs: 0
; NumAgprs: 0
; TotalNumVgprs: 0
; ScratchSize: 0
; MemoryBound: 0
; FloatMode: 240
; IeeeMode: 1
; LDSByteSize: 0 bytes/workgroup (compile time only)
; SGPRBlocks: 0
; VGPRBlocks: 0
; NumSGPRsForWavesPerEU: 4
; NumVGPRsForWavesPerEU: 1
; AccumOffset: 4
; Occupancy: 8
; WaveLimiterHint : 0
; COMPUTE_PGM_RSRC2:SCRATCH_EN: 0
; COMPUTE_PGM_RSRC2:USER_SGPR: 6
; COMPUTE_PGM_RSRC2:TRAP_HANDLER: 0
; COMPUTE_PGM_RSRC2:TGID_X_EN: 1
; COMPUTE_PGM_RSRC2:TGID_Y_EN: 0
; COMPUTE_PGM_RSRC2:TGID_Z_EN: 0
; COMPUTE_PGM_RSRC2:TIDIG_COMP_CNT: 0
; COMPUTE_PGM_RSRC3_GFX90A:ACCUM_OFFSET: 0
; COMPUTE_PGM_RSRC3_GFX90A:TG_SPLIT: 0
	.section	.text._ZN7rocprim17ROCPRIM_400000_NS6detail17trampoline_kernelINS0_14default_configENS1_20scan_config_selectorIjEEZZNS1_9scan_implILNS1_25lookback_scan_determinismE0ELb1ELb1ES3_N6thrust23THRUST_200600_302600_NS6detail15normal_iteratorINS9_10device_ptrIjEEEENS9_16discard_iteratorINS9_11use_defaultEEEjNS9_4plusIvEEjEEDaPvRmT3_T4_T5_mT6_P12ihipStream_tbENKUlT_T0_E_clISt17integral_constantIbLb0EESW_IbLb1EEEEDaSS_ST_EUlSS_E_NS1_11comp_targetILNS1_3genE10ELNS1_11target_archE1201ELNS1_3gpuE5ELNS1_3repE0EEENS1_30default_config_static_selectorELNS0_4arch9wavefront6targetE1EEEvT1_,"axG",@progbits,_ZN7rocprim17ROCPRIM_400000_NS6detail17trampoline_kernelINS0_14default_configENS1_20scan_config_selectorIjEEZZNS1_9scan_implILNS1_25lookback_scan_determinismE0ELb1ELb1ES3_N6thrust23THRUST_200600_302600_NS6detail15normal_iteratorINS9_10device_ptrIjEEEENS9_16discard_iteratorINS9_11use_defaultEEEjNS9_4plusIvEEjEEDaPvRmT3_T4_T5_mT6_P12ihipStream_tbENKUlT_T0_E_clISt17integral_constantIbLb0EESW_IbLb1EEEEDaSS_ST_EUlSS_E_NS1_11comp_targetILNS1_3genE10ELNS1_11target_archE1201ELNS1_3gpuE5ELNS1_3repE0EEENS1_30default_config_static_selectorELNS0_4arch9wavefront6targetE1EEEvT1_,comdat
	.protected	_ZN7rocprim17ROCPRIM_400000_NS6detail17trampoline_kernelINS0_14default_configENS1_20scan_config_selectorIjEEZZNS1_9scan_implILNS1_25lookback_scan_determinismE0ELb1ELb1ES3_N6thrust23THRUST_200600_302600_NS6detail15normal_iteratorINS9_10device_ptrIjEEEENS9_16discard_iteratorINS9_11use_defaultEEEjNS9_4plusIvEEjEEDaPvRmT3_T4_T5_mT6_P12ihipStream_tbENKUlT_T0_E_clISt17integral_constantIbLb0EESW_IbLb1EEEEDaSS_ST_EUlSS_E_NS1_11comp_targetILNS1_3genE10ELNS1_11target_archE1201ELNS1_3gpuE5ELNS1_3repE0EEENS1_30default_config_static_selectorELNS0_4arch9wavefront6targetE1EEEvT1_ ; -- Begin function _ZN7rocprim17ROCPRIM_400000_NS6detail17trampoline_kernelINS0_14default_configENS1_20scan_config_selectorIjEEZZNS1_9scan_implILNS1_25lookback_scan_determinismE0ELb1ELb1ES3_N6thrust23THRUST_200600_302600_NS6detail15normal_iteratorINS9_10device_ptrIjEEEENS9_16discard_iteratorINS9_11use_defaultEEEjNS9_4plusIvEEjEEDaPvRmT3_T4_T5_mT6_P12ihipStream_tbENKUlT_T0_E_clISt17integral_constantIbLb0EESW_IbLb1EEEEDaSS_ST_EUlSS_E_NS1_11comp_targetILNS1_3genE10ELNS1_11target_archE1201ELNS1_3gpuE5ELNS1_3repE0EEENS1_30default_config_static_selectorELNS0_4arch9wavefront6targetE1EEEvT1_
	.globl	_ZN7rocprim17ROCPRIM_400000_NS6detail17trampoline_kernelINS0_14default_configENS1_20scan_config_selectorIjEEZZNS1_9scan_implILNS1_25lookback_scan_determinismE0ELb1ELb1ES3_N6thrust23THRUST_200600_302600_NS6detail15normal_iteratorINS9_10device_ptrIjEEEENS9_16discard_iteratorINS9_11use_defaultEEEjNS9_4plusIvEEjEEDaPvRmT3_T4_T5_mT6_P12ihipStream_tbENKUlT_T0_E_clISt17integral_constantIbLb0EESW_IbLb1EEEEDaSS_ST_EUlSS_E_NS1_11comp_targetILNS1_3genE10ELNS1_11target_archE1201ELNS1_3gpuE5ELNS1_3repE0EEENS1_30default_config_static_selectorELNS0_4arch9wavefront6targetE1EEEvT1_
	.p2align	8
	.type	_ZN7rocprim17ROCPRIM_400000_NS6detail17trampoline_kernelINS0_14default_configENS1_20scan_config_selectorIjEEZZNS1_9scan_implILNS1_25lookback_scan_determinismE0ELb1ELb1ES3_N6thrust23THRUST_200600_302600_NS6detail15normal_iteratorINS9_10device_ptrIjEEEENS9_16discard_iteratorINS9_11use_defaultEEEjNS9_4plusIvEEjEEDaPvRmT3_T4_T5_mT6_P12ihipStream_tbENKUlT_T0_E_clISt17integral_constantIbLb0EESW_IbLb1EEEEDaSS_ST_EUlSS_E_NS1_11comp_targetILNS1_3genE10ELNS1_11target_archE1201ELNS1_3gpuE5ELNS1_3repE0EEENS1_30default_config_static_selectorELNS0_4arch9wavefront6targetE1EEEvT1_,@function
_ZN7rocprim17ROCPRIM_400000_NS6detail17trampoline_kernelINS0_14default_configENS1_20scan_config_selectorIjEEZZNS1_9scan_implILNS1_25lookback_scan_determinismE0ELb1ELb1ES3_N6thrust23THRUST_200600_302600_NS6detail15normal_iteratorINS9_10device_ptrIjEEEENS9_16discard_iteratorINS9_11use_defaultEEEjNS9_4plusIvEEjEEDaPvRmT3_T4_T5_mT6_P12ihipStream_tbENKUlT_T0_E_clISt17integral_constantIbLb0EESW_IbLb1EEEEDaSS_ST_EUlSS_E_NS1_11comp_targetILNS1_3genE10ELNS1_11target_archE1201ELNS1_3gpuE5ELNS1_3repE0EEENS1_30default_config_static_selectorELNS0_4arch9wavefront6targetE1EEEvT1_: ; @_ZN7rocprim17ROCPRIM_400000_NS6detail17trampoline_kernelINS0_14default_configENS1_20scan_config_selectorIjEEZZNS1_9scan_implILNS1_25lookback_scan_determinismE0ELb1ELb1ES3_N6thrust23THRUST_200600_302600_NS6detail15normal_iteratorINS9_10device_ptrIjEEEENS9_16discard_iteratorINS9_11use_defaultEEEjNS9_4plusIvEEjEEDaPvRmT3_T4_T5_mT6_P12ihipStream_tbENKUlT_T0_E_clISt17integral_constantIbLb0EESW_IbLb1EEEEDaSS_ST_EUlSS_E_NS1_11comp_targetILNS1_3genE10ELNS1_11target_archE1201ELNS1_3gpuE5ELNS1_3repE0EEENS1_30default_config_static_selectorELNS0_4arch9wavefront6targetE1EEEvT1_
; %bb.0:
	.section	.rodata,"a",@progbits
	.p2align	6, 0x0
	.amdhsa_kernel _ZN7rocprim17ROCPRIM_400000_NS6detail17trampoline_kernelINS0_14default_configENS1_20scan_config_selectorIjEEZZNS1_9scan_implILNS1_25lookback_scan_determinismE0ELb1ELb1ES3_N6thrust23THRUST_200600_302600_NS6detail15normal_iteratorINS9_10device_ptrIjEEEENS9_16discard_iteratorINS9_11use_defaultEEEjNS9_4plusIvEEjEEDaPvRmT3_T4_T5_mT6_P12ihipStream_tbENKUlT_T0_E_clISt17integral_constantIbLb0EESW_IbLb1EEEEDaSS_ST_EUlSS_E_NS1_11comp_targetILNS1_3genE10ELNS1_11target_archE1201ELNS1_3gpuE5ELNS1_3repE0EEENS1_30default_config_static_selectorELNS0_4arch9wavefront6targetE1EEEvT1_
		.amdhsa_group_segment_fixed_size 0
		.amdhsa_private_segment_fixed_size 0
		.amdhsa_kernarg_size 104
		.amdhsa_user_sgpr_count 6
		.amdhsa_user_sgpr_private_segment_buffer 1
		.amdhsa_user_sgpr_dispatch_ptr 0
		.amdhsa_user_sgpr_queue_ptr 0
		.amdhsa_user_sgpr_kernarg_segment_ptr 1
		.amdhsa_user_sgpr_dispatch_id 0
		.amdhsa_user_sgpr_flat_scratch_init 0
		.amdhsa_user_sgpr_kernarg_preload_length 0
		.amdhsa_user_sgpr_kernarg_preload_offset 0
		.amdhsa_user_sgpr_private_segment_size 0
		.amdhsa_uses_dynamic_stack 0
		.amdhsa_system_sgpr_private_segment_wavefront_offset 0
		.amdhsa_system_sgpr_workgroup_id_x 1
		.amdhsa_system_sgpr_workgroup_id_y 0
		.amdhsa_system_sgpr_workgroup_id_z 0
		.amdhsa_system_sgpr_workgroup_info 0
		.amdhsa_system_vgpr_workitem_id 0
		.amdhsa_next_free_vgpr 1
		.amdhsa_next_free_sgpr 0
		.amdhsa_accum_offset 4
		.amdhsa_reserve_vcc 0
		.amdhsa_reserve_flat_scratch 0
		.amdhsa_float_round_mode_32 0
		.amdhsa_float_round_mode_16_64 0
		.amdhsa_float_denorm_mode_32 3
		.amdhsa_float_denorm_mode_16_64 3
		.amdhsa_dx10_clamp 1
		.amdhsa_ieee_mode 1
		.amdhsa_fp16_overflow 0
		.amdhsa_tg_split 0
		.amdhsa_exception_fp_ieee_invalid_op 0
		.amdhsa_exception_fp_denorm_src 0
		.amdhsa_exception_fp_ieee_div_zero 0
		.amdhsa_exception_fp_ieee_overflow 0
		.amdhsa_exception_fp_ieee_underflow 0
		.amdhsa_exception_fp_ieee_inexact 0
		.amdhsa_exception_int_div_zero 0
	.end_amdhsa_kernel
	.section	.text._ZN7rocprim17ROCPRIM_400000_NS6detail17trampoline_kernelINS0_14default_configENS1_20scan_config_selectorIjEEZZNS1_9scan_implILNS1_25lookback_scan_determinismE0ELb1ELb1ES3_N6thrust23THRUST_200600_302600_NS6detail15normal_iteratorINS9_10device_ptrIjEEEENS9_16discard_iteratorINS9_11use_defaultEEEjNS9_4plusIvEEjEEDaPvRmT3_T4_T5_mT6_P12ihipStream_tbENKUlT_T0_E_clISt17integral_constantIbLb0EESW_IbLb1EEEEDaSS_ST_EUlSS_E_NS1_11comp_targetILNS1_3genE10ELNS1_11target_archE1201ELNS1_3gpuE5ELNS1_3repE0EEENS1_30default_config_static_selectorELNS0_4arch9wavefront6targetE1EEEvT1_,"axG",@progbits,_ZN7rocprim17ROCPRIM_400000_NS6detail17trampoline_kernelINS0_14default_configENS1_20scan_config_selectorIjEEZZNS1_9scan_implILNS1_25lookback_scan_determinismE0ELb1ELb1ES3_N6thrust23THRUST_200600_302600_NS6detail15normal_iteratorINS9_10device_ptrIjEEEENS9_16discard_iteratorINS9_11use_defaultEEEjNS9_4plusIvEEjEEDaPvRmT3_T4_T5_mT6_P12ihipStream_tbENKUlT_T0_E_clISt17integral_constantIbLb0EESW_IbLb1EEEEDaSS_ST_EUlSS_E_NS1_11comp_targetILNS1_3genE10ELNS1_11target_archE1201ELNS1_3gpuE5ELNS1_3repE0EEENS1_30default_config_static_selectorELNS0_4arch9wavefront6targetE1EEEvT1_,comdat
.Lfunc_end5425:
	.size	_ZN7rocprim17ROCPRIM_400000_NS6detail17trampoline_kernelINS0_14default_configENS1_20scan_config_selectorIjEEZZNS1_9scan_implILNS1_25lookback_scan_determinismE0ELb1ELb1ES3_N6thrust23THRUST_200600_302600_NS6detail15normal_iteratorINS9_10device_ptrIjEEEENS9_16discard_iteratorINS9_11use_defaultEEEjNS9_4plusIvEEjEEDaPvRmT3_T4_T5_mT6_P12ihipStream_tbENKUlT_T0_E_clISt17integral_constantIbLb0EESW_IbLb1EEEEDaSS_ST_EUlSS_E_NS1_11comp_targetILNS1_3genE10ELNS1_11target_archE1201ELNS1_3gpuE5ELNS1_3repE0EEENS1_30default_config_static_selectorELNS0_4arch9wavefront6targetE1EEEvT1_, .Lfunc_end5425-_ZN7rocprim17ROCPRIM_400000_NS6detail17trampoline_kernelINS0_14default_configENS1_20scan_config_selectorIjEEZZNS1_9scan_implILNS1_25lookback_scan_determinismE0ELb1ELb1ES3_N6thrust23THRUST_200600_302600_NS6detail15normal_iteratorINS9_10device_ptrIjEEEENS9_16discard_iteratorINS9_11use_defaultEEEjNS9_4plusIvEEjEEDaPvRmT3_T4_T5_mT6_P12ihipStream_tbENKUlT_T0_E_clISt17integral_constantIbLb0EESW_IbLb1EEEEDaSS_ST_EUlSS_E_NS1_11comp_targetILNS1_3genE10ELNS1_11target_archE1201ELNS1_3gpuE5ELNS1_3repE0EEENS1_30default_config_static_selectorELNS0_4arch9wavefront6targetE1EEEvT1_
                                        ; -- End function
	.section	.AMDGPU.csdata,"",@progbits
; Kernel info:
; codeLenInByte = 0
; NumSgprs: 4
; NumVgprs: 0
; NumAgprs: 0
; TotalNumVgprs: 0
; ScratchSize: 0
; MemoryBound: 0
; FloatMode: 240
; IeeeMode: 1
; LDSByteSize: 0 bytes/workgroup (compile time only)
; SGPRBlocks: 0
; VGPRBlocks: 0
; NumSGPRsForWavesPerEU: 4
; NumVGPRsForWavesPerEU: 1
; AccumOffset: 4
; Occupancy: 8
; WaveLimiterHint : 0
; COMPUTE_PGM_RSRC2:SCRATCH_EN: 0
; COMPUTE_PGM_RSRC2:USER_SGPR: 6
; COMPUTE_PGM_RSRC2:TRAP_HANDLER: 0
; COMPUTE_PGM_RSRC2:TGID_X_EN: 1
; COMPUTE_PGM_RSRC2:TGID_Y_EN: 0
; COMPUTE_PGM_RSRC2:TGID_Z_EN: 0
; COMPUTE_PGM_RSRC2:TIDIG_COMP_CNT: 0
; COMPUTE_PGM_RSRC3_GFX90A:ACCUM_OFFSET: 0
; COMPUTE_PGM_RSRC3_GFX90A:TG_SPLIT: 0
	.section	.text._ZN7rocprim17ROCPRIM_400000_NS6detail17trampoline_kernelINS0_14default_configENS1_20scan_config_selectorIjEEZZNS1_9scan_implILNS1_25lookback_scan_determinismE0ELb1ELb1ES3_N6thrust23THRUST_200600_302600_NS6detail15normal_iteratorINS9_10device_ptrIjEEEENS9_16discard_iteratorINS9_11use_defaultEEEjNS9_4plusIvEEjEEDaPvRmT3_T4_T5_mT6_P12ihipStream_tbENKUlT_T0_E_clISt17integral_constantIbLb0EESW_IbLb1EEEEDaSS_ST_EUlSS_E_NS1_11comp_targetILNS1_3genE10ELNS1_11target_archE1200ELNS1_3gpuE4ELNS1_3repE0EEENS1_30default_config_static_selectorELNS0_4arch9wavefront6targetE1EEEvT1_,"axG",@progbits,_ZN7rocprim17ROCPRIM_400000_NS6detail17trampoline_kernelINS0_14default_configENS1_20scan_config_selectorIjEEZZNS1_9scan_implILNS1_25lookback_scan_determinismE0ELb1ELb1ES3_N6thrust23THRUST_200600_302600_NS6detail15normal_iteratorINS9_10device_ptrIjEEEENS9_16discard_iteratorINS9_11use_defaultEEEjNS9_4plusIvEEjEEDaPvRmT3_T4_T5_mT6_P12ihipStream_tbENKUlT_T0_E_clISt17integral_constantIbLb0EESW_IbLb1EEEEDaSS_ST_EUlSS_E_NS1_11comp_targetILNS1_3genE10ELNS1_11target_archE1200ELNS1_3gpuE4ELNS1_3repE0EEENS1_30default_config_static_selectorELNS0_4arch9wavefront6targetE1EEEvT1_,comdat
	.protected	_ZN7rocprim17ROCPRIM_400000_NS6detail17trampoline_kernelINS0_14default_configENS1_20scan_config_selectorIjEEZZNS1_9scan_implILNS1_25lookback_scan_determinismE0ELb1ELb1ES3_N6thrust23THRUST_200600_302600_NS6detail15normal_iteratorINS9_10device_ptrIjEEEENS9_16discard_iteratorINS9_11use_defaultEEEjNS9_4plusIvEEjEEDaPvRmT3_T4_T5_mT6_P12ihipStream_tbENKUlT_T0_E_clISt17integral_constantIbLb0EESW_IbLb1EEEEDaSS_ST_EUlSS_E_NS1_11comp_targetILNS1_3genE10ELNS1_11target_archE1200ELNS1_3gpuE4ELNS1_3repE0EEENS1_30default_config_static_selectorELNS0_4arch9wavefront6targetE1EEEvT1_ ; -- Begin function _ZN7rocprim17ROCPRIM_400000_NS6detail17trampoline_kernelINS0_14default_configENS1_20scan_config_selectorIjEEZZNS1_9scan_implILNS1_25lookback_scan_determinismE0ELb1ELb1ES3_N6thrust23THRUST_200600_302600_NS6detail15normal_iteratorINS9_10device_ptrIjEEEENS9_16discard_iteratorINS9_11use_defaultEEEjNS9_4plusIvEEjEEDaPvRmT3_T4_T5_mT6_P12ihipStream_tbENKUlT_T0_E_clISt17integral_constantIbLb0EESW_IbLb1EEEEDaSS_ST_EUlSS_E_NS1_11comp_targetILNS1_3genE10ELNS1_11target_archE1200ELNS1_3gpuE4ELNS1_3repE0EEENS1_30default_config_static_selectorELNS0_4arch9wavefront6targetE1EEEvT1_
	.globl	_ZN7rocprim17ROCPRIM_400000_NS6detail17trampoline_kernelINS0_14default_configENS1_20scan_config_selectorIjEEZZNS1_9scan_implILNS1_25lookback_scan_determinismE0ELb1ELb1ES3_N6thrust23THRUST_200600_302600_NS6detail15normal_iteratorINS9_10device_ptrIjEEEENS9_16discard_iteratorINS9_11use_defaultEEEjNS9_4plusIvEEjEEDaPvRmT3_T4_T5_mT6_P12ihipStream_tbENKUlT_T0_E_clISt17integral_constantIbLb0EESW_IbLb1EEEEDaSS_ST_EUlSS_E_NS1_11comp_targetILNS1_3genE10ELNS1_11target_archE1200ELNS1_3gpuE4ELNS1_3repE0EEENS1_30default_config_static_selectorELNS0_4arch9wavefront6targetE1EEEvT1_
	.p2align	8
	.type	_ZN7rocprim17ROCPRIM_400000_NS6detail17trampoline_kernelINS0_14default_configENS1_20scan_config_selectorIjEEZZNS1_9scan_implILNS1_25lookback_scan_determinismE0ELb1ELb1ES3_N6thrust23THRUST_200600_302600_NS6detail15normal_iteratorINS9_10device_ptrIjEEEENS9_16discard_iteratorINS9_11use_defaultEEEjNS9_4plusIvEEjEEDaPvRmT3_T4_T5_mT6_P12ihipStream_tbENKUlT_T0_E_clISt17integral_constantIbLb0EESW_IbLb1EEEEDaSS_ST_EUlSS_E_NS1_11comp_targetILNS1_3genE10ELNS1_11target_archE1200ELNS1_3gpuE4ELNS1_3repE0EEENS1_30default_config_static_selectorELNS0_4arch9wavefront6targetE1EEEvT1_,@function
_ZN7rocprim17ROCPRIM_400000_NS6detail17trampoline_kernelINS0_14default_configENS1_20scan_config_selectorIjEEZZNS1_9scan_implILNS1_25lookback_scan_determinismE0ELb1ELb1ES3_N6thrust23THRUST_200600_302600_NS6detail15normal_iteratorINS9_10device_ptrIjEEEENS9_16discard_iteratorINS9_11use_defaultEEEjNS9_4plusIvEEjEEDaPvRmT3_T4_T5_mT6_P12ihipStream_tbENKUlT_T0_E_clISt17integral_constantIbLb0EESW_IbLb1EEEEDaSS_ST_EUlSS_E_NS1_11comp_targetILNS1_3genE10ELNS1_11target_archE1200ELNS1_3gpuE4ELNS1_3repE0EEENS1_30default_config_static_selectorELNS0_4arch9wavefront6targetE1EEEvT1_: ; @_ZN7rocprim17ROCPRIM_400000_NS6detail17trampoline_kernelINS0_14default_configENS1_20scan_config_selectorIjEEZZNS1_9scan_implILNS1_25lookback_scan_determinismE0ELb1ELb1ES3_N6thrust23THRUST_200600_302600_NS6detail15normal_iteratorINS9_10device_ptrIjEEEENS9_16discard_iteratorINS9_11use_defaultEEEjNS9_4plusIvEEjEEDaPvRmT3_T4_T5_mT6_P12ihipStream_tbENKUlT_T0_E_clISt17integral_constantIbLb0EESW_IbLb1EEEEDaSS_ST_EUlSS_E_NS1_11comp_targetILNS1_3genE10ELNS1_11target_archE1200ELNS1_3gpuE4ELNS1_3repE0EEENS1_30default_config_static_selectorELNS0_4arch9wavefront6targetE1EEEvT1_
; %bb.0:
	.section	.rodata,"a",@progbits
	.p2align	6, 0x0
	.amdhsa_kernel _ZN7rocprim17ROCPRIM_400000_NS6detail17trampoline_kernelINS0_14default_configENS1_20scan_config_selectorIjEEZZNS1_9scan_implILNS1_25lookback_scan_determinismE0ELb1ELb1ES3_N6thrust23THRUST_200600_302600_NS6detail15normal_iteratorINS9_10device_ptrIjEEEENS9_16discard_iteratorINS9_11use_defaultEEEjNS9_4plusIvEEjEEDaPvRmT3_T4_T5_mT6_P12ihipStream_tbENKUlT_T0_E_clISt17integral_constantIbLb0EESW_IbLb1EEEEDaSS_ST_EUlSS_E_NS1_11comp_targetILNS1_3genE10ELNS1_11target_archE1200ELNS1_3gpuE4ELNS1_3repE0EEENS1_30default_config_static_selectorELNS0_4arch9wavefront6targetE1EEEvT1_
		.amdhsa_group_segment_fixed_size 0
		.amdhsa_private_segment_fixed_size 0
		.amdhsa_kernarg_size 104
		.amdhsa_user_sgpr_count 6
		.amdhsa_user_sgpr_private_segment_buffer 1
		.amdhsa_user_sgpr_dispatch_ptr 0
		.amdhsa_user_sgpr_queue_ptr 0
		.amdhsa_user_sgpr_kernarg_segment_ptr 1
		.amdhsa_user_sgpr_dispatch_id 0
		.amdhsa_user_sgpr_flat_scratch_init 0
		.amdhsa_user_sgpr_kernarg_preload_length 0
		.amdhsa_user_sgpr_kernarg_preload_offset 0
		.amdhsa_user_sgpr_private_segment_size 0
		.amdhsa_uses_dynamic_stack 0
		.amdhsa_system_sgpr_private_segment_wavefront_offset 0
		.amdhsa_system_sgpr_workgroup_id_x 1
		.amdhsa_system_sgpr_workgroup_id_y 0
		.amdhsa_system_sgpr_workgroup_id_z 0
		.amdhsa_system_sgpr_workgroup_info 0
		.amdhsa_system_vgpr_workitem_id 0
		.amdhsa_next_free_vgpr 1
		.amdhsa_next_free_sgpr 0
		.amdhsa_accum_offset 4
		.amdhsa_reserve_vcc 0
		.amdhsa_reserve_flat_scratch 0
		.amdhsa_float_round_mode_32 0
		.amdhsa_float_round_mode_16_64 0
		.amdhsa_float_denorm_mode_32 3
		.amdhsa_float_denorm_mode_16_64 3
		.amdhsa_dx10_clamp 1
		.amdhsa_ieee_mode 1
		.amdhsa_fp16_overflow 0
		.amdhsa_tg_split 0
		.amdhsa_exception_fp_ieee_invalid_op 0
		.amdhsa_exception_fp_denorm_src 0
		.amdhsa_exception_fp_ieee_div_zero 0
		.amdhsa_exception_fp_ieee_overflow 0
		.amdhsa_exception_fp_ieee_underflow 0
		.amdhsa_exception_fp_ieee_inexact 0
		.amdhsa_exception_int_div_zero 0
	.end_amdhsa_kernel
	.section	.text._ZN7rocprim17ROCPRIM_400000_NS6detail17trampoline_kernelINS0_14default_configENS1_20scan_config_selectorIjEEZZNS1_9scan_implILNS1_25lookback_scan_determinismE0ELb1ELb1ES3_N6thrust23THRUST_200600_302600_NS6detail15normal_iteratorINS9_10device_ptrIjEEEENS9_16discard_iteratorINS9_11use_defaultEEEjNS9_4plusIvEEjEEDaPvRmT3_T4_T5_mT6_P12ihipStream_tbENKUlT_T0_E_clISt17integral_constantIbLb0EESW_IbLb1EEEEDaSS_ST_EUlSS_E_NS1_11comp_targetILNS1_3genE10ELNS1_11target_archE1200ELNS1_3gpuE4ELNS1_3repE0EEENS1_30default_config_static_selectorELNS0_4arch9wavefront6targetE1EEEvT1_,"axG",@progbits,_ZN7rocprim17ROCPRIM_400000_NS6detail17trampoline_kernelINS0_14default_configENS1_20scan_config_selectorIjEEZZNS1_9scan_implILNS1_25lookback_scan_determinismE0ELb1ELb1ES3_N6thrust23THRUST_200600_302600_NS6detail15normal_iteratorINS9_10device_ptrIjEEEENS9_16discard_iteratorINS9_11use_defaultEEEjNS9_4plusIvEEjEEDaPvRmT3_T4_T5_mT6_P12ihipStream_tbENKUlT_T0_E_clISt17integral_constantIbLb0EESW_IbLb1EEEEDaSS_ST_EUlSS_E_NS1_11comp_targetILNS1_3genE10ELNS1_11target_archE1200ELNS1_3gpuE4ELNS1_3repE0EEENS1_30default_config_static_selectorELNS0_4arch9wavefront6targetE1EEEvT1_,comdat
.Lfunc_end5426:
	.size	_ZN7rocprim17ROCPRIM_400000_NS6detail17trampoline_kernelINS0_14default_configENS1_20scan_config_selectorIjEEZZNS1_9scan_implILNS1_25lookback_scan_determinismE0ELb1ELb1ES3_N6thrust23THRUST_200600_302600_NS6detail15normal_iteratorINS9_10device_ptrIjEEEENS9_16discard_iteratorINS9_11use_defaultEEEjNS9_4plusIvEEjEEDaPvRmT3_T4_T5_mT6_P12ihipStream_tbENKUlT_T0_E_clISt17integral_constantIbLb0EESW_IbLb1EEEEDaSS_ST_EUlSS_E_NS1_11comp_targetILNS1_3genE10ELNS1_11target_archE1200ELNS1_3gpuE4ELNS1_3repE0EEENS1_30default_config_static_selectorELNS0_4arch9wavefront6targetE1EEEvT1_, .Lfunc_end5426-_ZN7rocprim17ROCPRIM_400000_NS6detail17trampoline_kernelINS0_14default_configENS1_20scan_config_selectorIjEEZZNS1_9scan_implILNS1_25lookback_scan_determinismE0ELb1ELb1ES3_N6thrust23THRUST_200600_302600_NS6detail15normal_iteratorINS9_10device_ptrIjEEEENS9_16discard_iteratorINS9_11use_defaultEEEjNS9_4plusIvEEjEEDaPvRmT3_T4_T5_mT6_P12ihipStream_tbENKUlT_T0_E_clISt17integral_constantIbLb0EESW_IbLb1EEEEDaSS_ST_EUlSS_E_NS1_11comp_targetILNS1_3genE10ELNS1_11target_archE1200ELNS1_3gpuE4ELNS1_3repE0EEENS1_30default_config_static_selectorELNS0_4arch9wavefront6targetE1EEEvT1_
                                        ; -- End function
	.section	.AMDGPU.csdata,"",@progbits
; Kernel info:
; codeLenInByte = 0
; NumSgprs: 4
; NumVgprs: 0
; NumAgprs: 0
; TotalNumVgprs: 0
; ScratchSize: 0
; MemoryBound: 0
; FloatMode: 240
; IeeeMode: 1
; LDSByteSize: 0 bytes/workgroup (compile time only)
; SGPRBlocks: 0
; VGPRBlocks: 0
; NumSGPRsForWavesPerEU: 4
; NumVGPRsForWavesPerEU: 1
; AccumOffset: 4
; Occupancy: 8
; WaveLimiterHint : 0
; COMPUTE_PGM_RSRC2:SCRATCH_EN: 0
; COMPUTE_PGM_RSRC2:USER_SGPR: 6
; COMPUTE_PGM_RSRC2:TRAP_HANDLER: 0
; COMPUTE_PGM_RSRC2:TGID_X_EN: 1
; COMPUTE_PGM_RSRC2:TGID_Y_EN: 0
; COMPUTE_PGM_RSRC2:TGID_Z_EN: 0
; COMPUTE_PGM_RSRC2:TIDIG_COMP_CNT: 0
; COMPUTE_PGM_RSRC3_GFX90A:ACCUM_OFFSET: 0
; COMPUTE_PGM_RSRC3_GFX90A:TG_SPLIT: 0
	.section	.text._ZN7rocprim17ROCPRIM_400000_NS6detail17trampoline_kernelINS0_14default_configENS1_20scan_config_selectorIjEEZZNS1_9scan_implILNS1_25lookback_scan_determinismE0ELb1ELb1ES3_N6thrust23THRUST_200600_302600_NS6detail15normal_iteratorINS9_10device_ptrIjEEEENS9_16discard_iteratorINS9_11use_defaultEEEjNS9_4plusIvEEjEEDaPvRmT3_T4_T5_mT6_P12ihipStream_tbENKUlT_T0_E_clISt17integral_constantIbLb0EESW_IbLb1EEEEDaSS_ST_EUlSS_E_NS1_11comp_targetILNS1_3genE9ELNS1_11target_archE1100ELNS1_3gpuE3ELNS1_3repE0EEENS1_30default_config_static_selectorELNS0_4arch9wavefront6targetE1EEEvT1_,"axG",@progbits,_ZN7rocprim17ROCPRIM_400000_NS6detail17trampoline_kernelINS0_14default_configENS1_20scan_config_selectorIjEEZZNS1_9scan_implILNS1_25lookback_scan_determinismE0ELb1ELb1ES3_N6thrust23THRUST_200600_302600_NS6detail15normal_iteratorINS9_10device_ptrIjEEEENS9_16discard_iteratorINS9_11use_defaultEEEjNS9_4plusIvEEjEEDaPvRmT3_T4_T5_mT6_P12ihipStream_tbENKUlT_T0_E_clISt17integral_constantIbLb0EESW_IbLb1EEEEDaSS_ST_EUlSS_E_NS1_11comp_targetILNS1_3genE9ELNS1_11target_archE1100ELNS1_3gpuE3ELNS1_3repE0EEENS1_30default_config_static_selectorELNS0_4arch9wavefront6targetE1EEEvT1_,comdat
	.protected	_ZN7rocprim17ROCPRIM_400000_NS6detail17trampoline_kernelINS0_14default_configENS1_20scan_config_selectorIjEEZZNS1_9scan_implILNS1_25lookback_scan_determinismE0ELb1ELb1ES3_N6thrust23THRUST_200600_302600_NS6detail15normal_iteratorINS9_10device_ptrIjEEEENS9_16discard_iteratorINS9_11use_defaultEEEjNS9_4plusIvEEjEEDaPvRmT3_T4_T5_mT6_P12ihipStream_tbENKUlT_T0_E_clISt17integral_constantIbLb0EESW_IbLb1EEEEDaSS_ST_EUlSS_E_NS1_11comp_targetILNS1_3genE9ELNS1_11target_archE1100ELNS1_3gpuE3ELNS1_3repE0EEENS1_30default_config_static_selectorELNS0_4arch9wavefront6targetE1EEEvT1_ ; -- Begin function _ZN7rocprim17ROCPRIM_400000_NS6detail17trampoline_kernelINS0_14default_configENS1_20scan_config_selectorIjEEZZNS1_9scan_implILNS1_25lookback_scan_determinismE0ELb1ELb1ES3_N6thrust23THRUST_200600_302600_NS6detail15normal_iteratorINS9_10device_ptrIjEEEENS9_16discard_iteratorINS9_11use_defaultEEEjNS9_4plusIvEEjEEDaPvRmT3_T4_T5_mT6_P12ihipStream_tbENKUlT_T0_E_clISt17integral_constantIbLb0EESW_IbLb1EEEEDaSS_ST_EUlSS_E_NS1_11comp_targetILNS1_3genE9ELNS1_11target_archE1100ELNS1_3gpuE3ELNS1_3repE0EEENS1_30default_config_static_selectorELNS0_4arch9wavefront6targetE1EEEvT1_
	.globl	_ZN7rocprim17ROCPRIM_400000_NS6detail17trampoline_kernelINS0_14default_configENS1_20scan_config_selectorIjEEZZNS1_9scan_implILNS1_25lookback_scan_determinismE0ELb1ELb1ES3_N6thrust23THRUST_200600_302600_NS6detail15normal_iteratorINS9_10device_ptrIjEEEENS9_16discard_iteratorINS9_11use_defaultEEEjNS9_4plusIvEEjEEDaPvRmT3_T4_T5_mT6_P12ihipStream_tbENKUlT_T0_E_clISt17integral_constantIbLb0EESW_IbLb1EEEEDaSS_ST_EUlSS_E_NS1_11comp_targetILNS1_3genE9ELNS1_11target_archE1100ELNS1_3gpuE3ELNS1_3repE0EEENS1_30default_config_static_selectorELNS0_4arch9wavefront6targetE1EEEvT1_
	.p2align	8
	.type	_ZN7rocprim17ROCPRIM_400000_NS6detail17trampoline_kernelINS0_14default_configENS1_20scan_config_selectorIjEEZZNS1_9scan_implILNS1_25lookback_scan_determinismE0ELb1ELb1ES3_N6thrust23THRUST_200600_302600_NS6detail15normal_iteratorINS9_10device_ptrIjEEEENS9_16discard_iteratorINS9_11use_defaultEEEjNS9_4plusIvEEjEEDaPvRmT3_T4_T5_mT6_P12ihipStream_tbENKUlT_T0_E_clISt17integral_constantIbLb0EESW_IbLb1EEEEDaSS_ST_EUlSS_E_NS1_11comp_targetILNS1_3genE9ELNS1_11target_archE1100ELNS1_3gpuE3ELNS1_3repE0EEENS1_30default_config_static_selectorELNS0_4arch9wavefront6targetE1EEEvT1_,@function
_ZN7rocprim17ROCPRIM_400000_NS6detail17trampoline_kernelINS0_14default_configENS1_20scan_config_selectorIjEEZZNS1_9scan_implILNS1_25lookback_scan_determinismE0ELb1ELb1ES3_N6thrust23THRUST_200600_302600_NS6detail15normal_iteratorINS9_10device_ptrIjEEEENS9_16discard_iteratorINS9_11use_defaultEEEjNS9_4plusIvEEjEEDaPvRmT3_T4_T5_mT6_P12ihipStream_tbENKUlT_T0_E_clISt17integral_constantIbLb0EESW_IbLb1EEEEDaSS_ST_EUlSS_E_NS1_11comp_targetILNS1_3genE9ELNS1_11target_archE1100ELNS1_3gpuE3ELNS1_3repE0EEENS1_30default_config_static_selectorELNS0_4arch9wavefront6targetE1EEEvT1_: ; @_ZN7rocprim17ROCPRIM_400000_NS6detail17trampoline_kernelINS0_14default_configENS1_20scan_config_selectorIjEEZZNS1_9scan_implILNS1_25lookback_scan_determinismE0ELb1ELb1ES3_N6thrust23THRUST_200600_302600_NS6detail15normal_iteratorINS9_10device_ptrIjEEEENS9_16discard_iteratorINS9_11use_defaultEEEjNS9_4plusIvEEjEEDaPvRmT3_T4_T5_mT6_P12ihipStream_tbENKUlT_T0_E_clISt17integral_constantIbLb0EESW_IbLb1EEEEDaSS_ST_EUlSS_E_NS1_11comp_targetILNS1_3genE9ELNS1_11target_archE1100ELNS1_3gpuE3ELNS1_3repE0EEENS1_30default_config_static_selectorELNS0_4arch9wavefront6targetE1EEEvT1_
; %bb.0:
	.section	.rodata,"a",@progbits
	.p2align	6, 0x0
	.amdhsa_kernel _ZN7rocprim17ROCPRIM_400000_NS6detail17trampoline_kernelINS0_14default_configENS1_20scan_config_selectorIjEEZZNS1_9scan_implILNS1_25lookback_scan_determinismE0ELb1ELb1ES3_N6thrust23THRUST_200600_302600_NS6detail15normal_iteratorINS9_10device_ptrIjEEEENS9_16discard_iteratorINS9_11use_defaultEEEjNS9_4plusIvEEjEEDaPvRmT3_T4_T5_mT6_P12ihipStream_tbENKUlT_T0_E_clISt17integral_constantIbLb0EESW_IbLb1EEEEDaSS_ST_EUlSS_E_NS1_11comp_targetILNS1_3genE9ELNS1_11target_archE1100ELNS1_3gpuE3ELNS1_3repE0EEENS1_30default_config_static_selectorELNS0_4arch9wavefront6targetE1EEEvT1_
		.amdhsa_group_segment_fixed_size 0
		.amdhsa_private_segment_fixed_size 0
		.amdhsa_kernarg_size 104
		.amdhsa_user_sgpr_count 6
		.amdhsa_user_sgpr_private_segment_buffer 1
		.amdhsa_user_sgpr_dispatch_ptr 0
		.amdhsa_user_sgpr_queue_ptr 0
		.amdhsa_user_sgpr_kernarg_segment_ptr 1
		.amdhsa_user_sgpr_dispatch_id 0
		.amdhsa_user_sgpr_flat_scratch_init 0
		.amdhsa_user_sgpr_kernarg_preload_length 0
		.amdhsa_user_sgpr_kernarg_preload_offset 0
		.amdhsa_user_sgpr_private_segment_size 0
		.amdhsa_uses_dynamic_stack 0
		.amdhsa_system_sgpr_private_segment_wavefront_offset 0
		.amdhsa_system_sgpr_workgroup_id_x 1
		.amdhsa_system_sgpr_workgroup_id_y 0
		.amdhsa_system_sgpr_workgroup_id_z 0
		.amdhsa_system_sgpr_workgroup_info 0
		.amdhsa_system_vgpr_workitem_id 0
		.amdhsa_next_free_vgpr 1
		.amdhsa_next_free_sgpr 0
		.amdhsa_accum_offset 4
		.amdhsa_reserve_vcc 0
		.amdhsa_reserve_flat_scratch 0
		.amdhsa_float_round_mode_32 0
		.amdhsa_float_round_mode_16_64 0
		.amdhsa_float_denorm_mode_32 3
		.amdhsa_float_denorm_mode_16_64 3
		.amdhsa_dx10_clamp 1
		.amdhsa_ieee_mode 1
		.amdhsa_fp16_overflow 0
		.amdhsa_tg_split 0
		.amdhsa_exception_fp_ieee_invalid_op 0
		.amdhsa_exception_fp_denorm_src 0
		.amdhsa_exception_fp_ieee_div_zero 0
		.amdhsa_exception_fp_ieee_overflow 0
		.amdhsa_exception_fp_ieee_underflow 0
		.amdhsa_exception_fp_ieee_inexact 0
		.amdhsa_exception_int_div_zero 0
	.end_amdhsa_kernel
	.section	.text._ZN7rocprim17ROCPRIM_400000_NS6detail17trampoline_kernelINS0_14default_configENS1_20scan_config_selectorIjEEZZNS1_9scan_implILNS1_25lookback_scan_determinismE0ELb1ELb1ES3_N6thrust23THRUST_200600_302600_NS6detail15normal_iteratorINS9_10device_ptrIjEEEENS9_16discard_iteratorINS9_11use_defaultEEEjNS9_4plusIvEEjEEDaPvRmT3_T4_T5_mT6_P12ihipStream_tbENKUlT_T0_E_clISt17integral_constantIbLb0EESW_IbLb1EEEEDaSS_ST_EUlSS_E_NS1_11comp_targetILNS1_3genE9ELNS1_11target_archE1100ELNS1_3gpuE3ELNS1_3repE0EEENS1_30default_config_static_selectorELNS0_4arch9wavefront6targetE1EEEvT1_,"axG",@progbits,_ZN7rocprim17ROCPRIM_400000_NS6detail17trampoline_kernelINS0_14default_configENS1_20scan_config_selectorIjEEZZNS1_9scan_implILNS1_25lookback_scan_determinismE0ELb1ELb1ES3_N6thrust23THRUST_200600_302600_NS6detail15normal_iteratorINS9_10device_ptrIjEEEENS9_16discard_iteratorINS9_11use_defaultEEEjNS9_4plusIvEEjEEDaPvRmT3_T4_T5_mT6_P12ihipStream_tbENKUlT_T0_E_clISt17integral_constantIbLb0EESW_IbLb1EEEEDaSS_ST_EUlSS_E_NS1_11comp_targetILNS1_3genE9ELNS1_11target_archE1100ELNS1_3gpuE3ELNS1_3repE0EEENS1_30default_config_static_selectorELNS0_4arch9wavefront6targetE1EEEvT1_,comdat
.Lfunc_end5427:
	.size	_ZN7rocprim17ROCPRIM_400000_NS6detail17trampoline_kernelINS0_14default_configENS1_20scan_config_selectorIjEEZZNS1_9scan_implILNS1_25lookback_scan_determinismE0ELb1ELb1ES3_N6thrust23THRUST_200600_302600_NS6detail15normal_iteratorINS9_10device_ptrIjEEEENS9_16discard_iteratorINS9_11use_defaultEEEjNS9_4plusIvEEjEEDaPvRmT3_T4_T5_mT6_P12ihipStream_tbENKUlT_T0_E_clISt17integral_constantIbLb0EESW_IbLb1EEEEDaSS_ST_EUlSS_E_NS1_11comp_targetILNS1_3genE9ELNS1_11target_archE1100ELNS1_3gpuE3ELNS1_3repE0EEENS1_30default_config_static_selectorELNS0_4arch9wavefront6targetE1EEEvT1_, .Lfunc_end5427-_ZN7rocprim17ROCPRIM_400000_NS6detail17trampoline_kernelINS0_14default_configENS1_20scan_config_selectorIjEEZZNS1_9scan_implILNS1_25lookback_scan_determinismE0ELb1ELb1ES3_N6thrust23THRUST_200600_302600_NS6detail15normal_iteratorINS9_10device_ptrIjEEEENS9_16discard_iteratorINS9_11use_defaultEEEjNS9_4plusIvEEjEEDaPvRmT3_T4_T5_mT6_P12ihipStream_tbENKUlT_T0_E_clISt17integral_constantIbLb0EESW_IbLb1EEEEDaSS_ST_EUlSS_E_NS1_11comp_targetILNS1_3genE9ELNS1_11target_archE1100ELNS1_3gpuE3ELNS1_3repE0EEENS1_30default_config_static_selectorELNS0_4arch9wavefront6targetE1EEEvT1_
                                        ; -- End function
	.section	.AMDGPU.csdata,"",@progbits
; Kernel info:
; codeLenInByte = 0
; NumSgprs: 4
; NumVgprs: 0
; NumAgprs: 0
; TotalNumVgprs: 0
; ScratchSize: 0
; MemoryBound: 0
; FloatMode: 240
; IeeeMode: 1
; LDSByteSize: 0 bytes/workgroup (compile time only)
; SGPRBlocks: 0
; VGPRBlocks: 0
; NumSGPRsForWavesPerEU: 4
; NumVGPRsForWavesPerEU: 1
; AccumOffset: 4
; Occupancy: 8
; WaveLimiterHint : 0
; COMPUTE_PGM_RSRC2:SCRATCH_EN: 0
; COMPUTE_PGM_RSRC2:USER_SGPR: 6
; COMPUTE_PGM_RSRC2:TRAP_HANDLER: 0
; COMPUTE_PGM_RSRC2:TGID_X_EN: 1
; COMPUTE_PGM_RSRC2:TGID_Y_EN: 0
; COMPUTE_PGM_RSRC2:TGID_Z_EN: 0
; COMPUTE_PGM_RSRC2:TIDIG_COMP_CNT: 0
; COMPUTE_PGM_RSRC3_GFX90A:ACCUM_OFFSET: 0
; COMPUTE_PGM_RSRC3_GFX90A:TG_SPLIT: 0
	.section	.text._ZN7rocprim17ROCPRIM_400000_NS6detail17trampoline_kernelINS0_14default_configENS1_20scan_config_selectorIjEEZZNS1_9scan_implILNS1_25lookback_scan_determinismE0ELb1ELb1ES3_N6thrust23THRUST_200600_302600_NS6detail15normal_iteratorINS9_10device_ptrIjEEEENS9_16discard_iteratorINS9_11use_defaultEEEjNS9_4plusIvEEjEEDaPvRmT3_T4_T5_mT6_P12ihipStream_tbENKUlT_T0_E_clISt17integral_constantIbLb0EESW_IbLb1EEEEDaSS_ST_EUlSS_E_NS1_11comp_targetILNS1_3genE8ELNS1_11target_archE1030ELNS1_3gpuE2ELNS1_3repE0EEENS1_30default_config_static_selectorELNS0_4arch9wavefront6targetE1EEEvT1_,"axG",@progbits,_ZN7rocprim17ROCPRIM_400000_NS6detail17trampoline_kernelINS0_14default_configENS1_20scan_config_selectorIjEEZZNS1_9scan_implILNS1_25lookback_scan_determinismE0ELb1ELb1ES3_N6thrust23THRUST_200600_302600_NS6detail15normal_iteratorINS9_10device_ptrIjEEEENS9_16discard_iteratorINS9_11use_defaultEEEjNS9_4plusIvEEjEEDaPvRmT3_T4_T5_mT6_P12ihipStream_tbENKUlT_T0_E_clISt17integral_constantIbLb0EESW_IbLb1EEEEDaSS_ST_EUlSS_E_NS1_11comp_targetILNS1_3genE8ELNS1_11target_archE1030ELNS1_3gpuE2ELNS1_3repE0EEENS1_30default_config_static_selectorELNS0_4arch9wavefront6targetE1EEEvT1_,comdat
	.protected	_ZN7rocprim17ROCPRIM_400000_NS6detail17trampoline_kernelINS0_14default_configENS1_20scan_config_selectorIjEEZZNS1_9scan_implILNS1_25lookback_scan_determinismE0ELb1ELb1ES3_N6thrust23THRUST_200600_302600_NS6detail15normal_iteratorINS9_10device_ptrIjEEEENS9_16discard_iteratorINS9_11use_defaultEEEjNS9_4plusIvEEjEEDaPvRmT3_T4_T5_mT6_P12ihipStream_tbENKUlT_T0_E_clISt17integral_constantIbLb0EESW_IbLb1EEEEDaSS_ST_EUlSS_E_NS1_11comp_targetILNS1_3genE8ELNS1_11target_archE1030ELNS1_3gpuE2ELNS1_3repE0EEENS1_30default_config_static_selectorELNS0_4arch9wavefront6targetE1EEEvT1_ ; -- Begin function _ZN7rocprim17ROCPRIM_400000_NS6detail17trampoline_kernelINS0_14default_configENS1_20scan_config_selectorIjEEZZNS1_9scan_implILNS1_25lookback_scan_determinismE0ELb1ELb1ES3_N6thrust23THRUST_200600_302600_NS6detail15normal_iteratorINS9_10device_ptrIjEEEENS9_16discard_iteratorINS9_11use_defaultEEEjNS9_4plusIvEEjEEDaPvRmT3_T4_T5_mT6_P12ihipStream_tbENKUlT_T0_E_clISt17integral_constantIbLb0EESW_IbLb1EEEEDaSS_ST_EUlSS_E_NS1_11comp_targetILNS1_3genE8ELNS1_11target_archE1030ELNS1_3gpuE2ELNS1_3repE0EEENS1_30default_config_static_selectorELNS0_4arch9wavefront6targetE1EEEvT1_
	.globl	_ZN7rocprim17ROCPRIM_400000_NS6detail17trampoline_kernelINS0_14default_configENS1_20scan_config_selectorIjEEZZNS1_9scan_implILNS1_25lookback_scan_determinismE0ELb1ELb1ES3_N6thrust23THRUST_200600_302600_NS6detail15normal_iteratorINS9_10device_ptrIjEEEENS9_16discard_iteratorINS9_11use_defaultEEEjNS9_4plusIvEEjEEDaPvRmT3_T4_T5_mT6_P12ihipStream_tbENKUlT_T0_E_clISt17integral_constantIbLb0EESW_IbLb1EEEEDaSS_ST_EUlSS_E_NS1_11comp_targetILNS1_3genE8ELNS1_11target_archE1030ELNS1_3gpuE2ELNS1_3repE0EEENS1_30default_config_static_selectorELNS0_4arch9wavefront6targetE1EEEvT1_
	.p2align	8
	.type	_ZN7rocprim17ROCPRIM_400000_NS6detail17trampoline_kernelINS0_14default_configENS1_20scan_config_selectorIjEEZZNS1_9scan_implILNS1_25lookback_scan_determinismE0ELb1ELb1ES3_N6thrust23THRUST_200600_302600_NS6detail15normal_iteratorINS9_10device_ptrIjEEEENS9_16discard_iteratorINS9_11use_defaultEEEjNS9_4plusIvEEjEEDaPvRmT3_T4_T5_mT6_P12ihipStream_tbENKUlT_T0_E_clISt17integral_constantIbLb0EESW_IbLb1EEEEDaSS_ST_EUlSS_E_NS1_11comp_targetILNS1_3genE8ELNS1_11target_archE1030ELNS1_3gpuE2ELNS1_3repE0EEENS1_30default_config_static_selectorELNS0_4arch9wavefront6targetE1EEEvT1_,@function
_ZN7rocprim17ROCPRIM_400000_NS6detail17trampoline_kernelINS0_14default_configENS1_20scan_config_selectorIjEEZZNS1_9scan_implILNS1_25lookback_scan_determinismE0ELb1ELb1ES3_N6thrust23THRUST_200600_302600_NS6detail15normal_iteratorINS9_10device_ptrIjEEEENS9_16discard_iteratorINS9_11use_defaultEEEjNS9_4plusIvEEjEEDaPvRmT3_T4_T5_mT6_P12ihipStream_tbENKUlT_T0_E_clISt17integral_constantIbLb0EESW_IbLb1EEEEDaSS_ST_EUlSS_E_NS1_11comp_targetILNS1_3genE8ELNS1_11target_archE1030ELNS1_3gpuE2ELNS1_3repE0EEENS1_30default_config_static_selectorELNS0_4arch9wavefront6targetE1EEEvT1_: ; @_ZN7rocprim17ROCPRIM_400000_NS6detail17trampoline_kernelINS0_14default_configENS1_20scan_config_selectorIjEEZZNS1_9scan_implILNS1_25lookback_scan_determinismE0ELb1ELb1ES3_N6thrust23THRUST_200600_302600_NS6detail15normal_iteratorINS9_10device_ptrIjEEEENS9_16discard_iteratorINS9_11use_defaultEEEjNS9_4plusIvEEjEEDaPvRmT3_T4_T5_mT6_P12ihipStream_tbENKUlT_T0_E_clISt17integral_constantIbLb0EESW_IbLb1EEEEDaSS_ST_EUlSS_E_NS1_11comp_targetILNS1_3genE8ELNS1_11target_archE1030ELNS1_3gpuE2ELNS1_3repE0EEENS1_30default_config_static_selectorELNS0_4arch9wavefront6targetE1EEEvT1_
; %bb.0:
	.section	.rodata,"a",@progbits
	.p2align	6, 0x0
	.amdhsa_kernel _ZN7rocprim17ROCPRIM_400000_NS6detail17trampoline_kernelINS0_14default_configENS1_20scan_config_selectorIjEEZZNS1_9scan_implILNS1_25lookback_scan_determinismE0ELb1ELb1ES3_N6thrust23THRUST_200600_302600_NS6detail15normal_iteratorINS9_10device_ptrIjEEEENS9_16discard_iteratorINS9_11use_defaultEEEjNS9_4plusIvEEjEEDaPvRmT3_T4_T5_mT6_P12ihipStream_tbENKUlT_T0_E_clISt17integral_constantIbLb0EESW_IbLb1EEEEDaSS_ST_EUlSS_E_NS1_11comp_targetILNS1_3genE8ELNS1_11target_archE1030ELNS1_3gpuE2ELNS1_3repE0EEENS1_30default_config_static_selectorELNS0_4arch9wavefront6targetE1EEEvT1_
		.amdhsa_group_segment_fixed_size 0
		.amdhsa_private_segment_fixed_size 0
		.amdhsa_kernarg_size 104
		.amdhsa_user_sgpr_count 6
		.amdhsa_user_sgpr_private_segment_buffer 1
		.amdhsa_user_sgpr_dispatch_ptr 0
		.amdhsa_user_sgpr_queue_ptr 0
		.amdhsa_user_sgpr_kernarg_segment_ptr 1
		.amdhsa_user_sgpr_dispatch_id 0
		.amdhsa_user_sgpr_flat_scratch_init 0
		.amdhsa_user_sgpr_kernarg_preload_length 0
		.amdhsa_user_sgpr_kernarg_preload_offset 0
		.amdhsa_user_sgpr_private_segment_size 0
		.amdhsa_uses_dynamic_stack 0
		.amdhsa_system_sgpr_private_segment_wavefront_offset 0
		.amdhsa_system_sgpr_workgroup_id_x 1
		.amdhsa_system_sgpr_workgroup_id_y 0
		.amdhsa_system_sgpr_workgroup_id_z 0
		.amdhsa_system_sgpr_workgroup_info 0
		.amdhsa_system_vgpr_workitem_id 0
		.amdhsa_next_free_vgpr 1
		.amdhsa_next_free_sgpr 0
		.amdhsa_accum_offset 4
		.amdhsa_reserve_vcc 0
		.amdhsa_reserve_flat_scratch 0
		.amdhsa_float_round_mode_32 0
		.amdhsa_float_round_mode_16_64 0
		.amdhsa_float_denorm_mode_32 3
		.amdhsa_float_denorm_mode_16_64 3
		.amdhsa_dx10_clamp 1
		.amdhsa_ieee_mode 1
		.amdhsa_fp16_overflow 0
		.amdhsa_tg_split 0
		.amdhsa_exception_fp_ieee_invalid_op 0
		.amdhsa_exception_fp_denorm_src 0
		.amdhsa_exception_fp_ieee_div_zero 0
		.amdhsa_exception_fp_ieee_overflow 0
		.amdhsa_exception_fp_ieee_underflow 0
		.amdhsa_exception_fp_ieee_inexact 0
		.amdhsa_exception_int_div_zero 0
	.end_amdhsa_kernel
	.section	.text._ZN7rocprim17ROCPRIM_400000_NS6detail17trampoline_kernelINS0_14default_configENS1_20scan_config_selectorIjEEZZNS1_9scan_implILNS1_25lookback_scan_determinismE0ELb1ELb1ES3_N6thrust23THRUST_200600_302600_NS6detail15normal_iteratorINS9_10device_ptrIjEEEENS9_16discard_iteratorINS9_11use_defaultEEEjNS9_4plusIvEEjEEDaPvRmT3_T4_T5_mT6_P12ihipStream_tbENKUlT_T0_E_clISt17integral_constantIbLb0EESW_IbLb1EEEEDaSS_ST_EUlSS_E_NS1_11comp_targetILNS1_3genE8ELNS1_11target_archE1030ELNS1_3gpuE2ELNS1_3repE0EEENS1_30default_config_static_selectorELNS0_4arch9wavefront6targetE1EEEvT1_,"axG",@progbits,_ZN7rocprim17ROCPRIM_400000_NS6detail17trampoline_kernelINS0_14default_configENS1_20scan_config_selectorIjEEZZNS1_9scan_implILNS1_25lookback_scan_determinismE0ELb1ELb1ES3_N6thrust23THRUST_200600_302600_NS6detail15normal_iteratorINS9_10device_ptrIjEEEENS9_16discard_iteratorINS9_11use_defaultEEEjNS9_4plusIvEEjEEDaPvRmT3_T4_T5_mT6_P12ihipStream_tbENKUlT_T0_E_clISt17integral_constantIbLb0EESW_IbLb1EEEEDaSS_ST_EUlSS_E_NS1_11comp_targetILNS1_3genE8ELNS1_11target_archE1030ELNS1_3gpuE2ELNS1_3repE0EEENS1_30default_config_static_selectorELNS0_4arch9wavefront6targetE1EEEvT1_,comdat
.Lfunc_end5428:
	.size	_ZN7rocprim17ROCPRIM_400000_NS6detail17trampoline_kernelINS0_14default_configENS1_20scan_config_selectorIjEEZZNS1_9scan_implILNS1_25lookback_scan_determinismE0ELb1ELb1ES3_N6thrust23THRUST_200600_302600_NS6detail15normal_iteratorINS9_10device_ptrIjEEEENS9_16discard_iteratorINS9_11use_defaultEEEjNS9_4plusIvEEjEEDaPvRmT3_T4_T5_mT6_P12ihipStream_tbENKUlT_T0_E_clISt17integral_constantIbLb0EESW_IbLb1EEEEDaSS_ST_EUlSS_E_NS1_11comp_targetILNS1_3genE8ELNS1_11target_archE1030ELNS1_3gpuE2ELNS1_3repE0EEENS1_30default_config_static_selectorELNS0_4arch9wavefront6targetE1EEEvT1_, .Lfunc_end5428-_ZN7rocprim17ROCPRIM_400000_NS6detail17trampoline_kernelINS0_14default_configENS1_20scan_config_selectorIjEEZZNS1_9scan_implILNS1_25lookback_scan_determinismE0ELb1ELb1ES3_N6thrust23THRUST_200600_302600_NS6detail15normal_iteratorINS9_10device_ptrIjEEEENS9_16discard_iteratorINS9_11use_defaultEEEjNS9_4plusIvEEjEEDaPvRmT3_T4_T5_mT6_P12ihipStream_tbENKUlT_T0_E_clISt17integral_constantIbLb0EESW_IbLb1EEEEDaSS_ST_EUlSS_E_NS1_11comp_targetILNS1_3genE8ELNS1_11target_archE1030ELNS1_3gpuE2ELNS1_3repE0EEENS1_30default_config_static_selectorELNS0_4arch9wavefront6targetE1EEEvT1_
                                        ; -- End function
	.section	.AMDGPU.csdata,"",@progbits
; Kernel info:
; codeLenInByte = 0
; NumSgprs: 4
; NumVgprs: 0
; NumAgprs: 0
; TotalNumVgprs: 0
; ScratchSize: 0
; MemoryBound: 0
; FloatMode: 240
; IeeeMode: 1
; LDSByteSize: 0 bytes/workgroup (compile time only)
; SGPRBlocks: 0
; VGPRBlocks: 0
; NumSGPRsForWavesPerEU: 4
; NumVGPRsForWavesPerEU: 1
; AccumOffset: 4
; Occupancy: 8
; WaveLimiterHint : 0
; COMPUTE_PGM_RSRC2:SCRATCH_EN: 0
; COMPUTE_PGM_RSRC2:USER_SGPR: 6
; COMPUTE_PGM_RSRC2:TRAP_HANDLER: 0
; COMPUTE_PGM_RSRC2:TGID_X_EN: 1
; COMPUTE_PGM_RSRC2:TGID_Y_EN: 0
; COMPUTE_PGM_RSRC2:TGID_Z_EN: 0
; COMPUTE_PGM_RSRC2:TIDIG_COMP_CNT: 0
; COMPUTE_PGM_RSRC3_GFX90A:ACCUM_OFFSET: 0
; COMPUTE_PGM_RSRC3_GFX90A:TG_SPLIT: 0
	.section	.text._ZN7rocprim17ROCPRIM_400000_NS6detail17trampoline_kernelINS0_14default_configENS1_20scan_config_selectorIjEEZZNS1_9scan_implILNS1_25lookback_scan_determinismE0ELb1ELb1ES3_N6thrust23THRUST_200600_302600_NS6detail15normal_iteratorINS9_10device_ptrIjEEEENS9_16discard_iteratorINS9_11use_defaultEEEjNS9_4plusIvEEjEEDaPvRmT3_T4_T5_mT6_P12ihipStream_tbENKUlT_T0_E_clISt17integral_constantIbLb0EESW_IbLb1EEEEDaSS_ST_EUlSS_E0_NS1_11comp_targetILNS1_3genE0ELNS1_11target_archE4294967295ELNS1_3gpuE0ELNS1_3repE0EEENS1_30default_config_static_selectorELNS0_4arch9wavefront6targetE1EEEvT1_,"axG",@progbits,_ZN7rocprim17ROCPRIM_400000_NS6detail17trampoline_kernelINS0_14default_configENS1_20scan_config_selectorIjEEZZNS1_9scan_implILNS1_25lookback_scan_determinismE0ELb1ELb1ES3_N6thrust23THRUST_200600_302600_NS6detail15normal_iteratorINS9_10device_ptrIjEEEENS9_16discard_iteratorINS9_11use_defaultEEEjNS9_4plusIvEEjEEDaPvRmT3_T4_T5_mT6_P12ihipStream_tbENKUlT_T0_E_clISt17integral_constantIbLb0EESW_IbLb1EEEEDaSS_ST_EUlSS_E0_NS1_11comp_targetILNS1_3genE0ELNS1_11target_archE4294967295ELNS1_3gpuE0ELNS1_3repE0EEENS1_30default_config_static_selectorELNS0_4arch9wavefront6targetE1EEEvT1_,comdat
	.protected	_ZN7rocprim17ROCPRIM_400000_NS6detail17trampoline_kernelINS0_14default_configENS1_20scan_config_selectorIjEEZZNS1_9scan_implILNS1_25lookback_scan_determinismE0ELb1ELb1ES3_N6thrust23THRUST_200600_302600_NS6detail15normal_iteratorINS9_10device_ptrIjEEEENS9_16discard_iteratorINS9_11use_defaultEEEjNS9_4plusIvEEjEEDaPvRmT3_T4_T5_mT6_P12ihipStream_tbENKUlT_T0_E_clISt17integral_constantIbLb0EESW_IbLb1EEEEDaSS_ST_EUlSS_E0_NS1_11comp_targetILNS1_3genE0ELNS1_11target_archE4294967295ELNS1_3gpuE0ELNS1_3repE0EEENS1_30default_config_static_selectorELNS0_4arch9wavefront6targetE1EEEvT1_ ; -- Begin function _ZN7rocprim17ROCPRIM_400000_NS6detail17trampoline_kernelINS0_14default_configENS1_20scan_config_selectorIjEEZZNS1_9scan_implILNS1_25lookback_scan_determinismE0ELb1ELb1ES3_N6thrust23THRUST_200600_302600_NS6detail15normal_iteratorINS9_10device_ptrIjEEEENS9_16discard_iteratorINS9_11use_defaultEEEjNS9_4plusIvEEjEEDaPvRmT3_T4_T5_mT6_P12ihipStream_tbENKUlT_T0_E_clISt17integral_constantIbLb0EESW_IbLb1EEEEDaSS_ST_EUlSS_E0_NS1_11comp_targetILNS1_3genE0ELNS1_11target_archE4294967295ELNS1_3gpuE0ELNS1_3repE0EEENS1_30default_config_static_selectorELNS0_4arch9wavefront6targetE1EEEvT1_
	.globl	_ZN7rocprim17ROCPRIM_400000_NS6detail17trampoline_kernelINS0_14default_configENS1_20scan_config_selectorIjEEZZNS1_9scan_implILNS1_25lookback_scan_determinismE0ELb1ELb1ES3_N6thrust23THRUST_200600_302600_NS6detail15normal_iteratorINS9_10device_ptrIjEEEENS9_16discard_iteratorINS9_11use_defaultEEEjNS9_4plusIvEEjEEDaPvRmT3_T4_T5_mT6_P12ihipStream_tbENKUlT_T0_E_clISt17integral_constantIbLb0EESW_IbLb1EEEEDaSS_ST_EUlSS_E0_NS1_11comp_targetILNS1_3genE0ELNS1_11target_archE4294967295ELNS1_3gpuE0ELNS1_3repE0EEENS1_30default_config_static_selectorELNS0_4arch9wavefront6targetE1EEEvT1_
	.p2align	8
	.type	_ZN7rocprim17ROCPRIM_400000_NS6detail17trampoline_kernelINS0_14default_configENS1_20scan_config_selectorIjEEZZNS1_9scan_implILNS1_25lookback_scan_determinismE0ELb1ELb1ES3_N6thrust23THRUST_200600_302600_NS6detail15normal_iteratorINS9_10device_ptrIjEEEENS9_16discard_iteratorINS9_11use_defaultEEEjNS9_4plusIvEEjEEDaPvRmT3_T4_T5_mT6_P12ihipStream_tbENKUlT_T0_E_clISt17integral_constantIbLb0EESW_IbLb1EEEEDaSS_ST_EUlSS_E0_NS1_11comp_targetILNS1_3genE0ELNS1_11target_archE4294967295ELNS1_3gpuE0ELNS1_3repE0EEENS1_30default_config_static_selectorELNS0_4arch9wavefront6targetE1EEEvT1_,@function
_ZN7rocprim17ROCPRIM_400000_NS6detail17trampoline_kernelINS0_14default_configENS1_20scan_config_selectorIjEEZZNS1_9scan_implILNS1_25lookback_scan_determinismE0ELb1ELb1ES3_N6thrust23THRUST_200600_302600_NS6detail15normal_iteratorINS9_10device_ptrIjEEEENS9_16discard_iteratorINS9_11use_defaultEEEjNS9_4plusIvEEjEEDaPvRmT3_T4_T5_mT6_P12ihipStream_tbENKUlT_T0_E_clISt17integral_constantIbLb0EESW_IbLb1EEEEDaSS_ST_EUlSS_E0_NS1_11comp_targetILNS1_3genE0ELNS1_11target_archE4294967295ELNS1_3gpuE0ELNS1_3repE0EEENS1_30default_config_static_selectorELNS0_4arch9wavefront6targetE1EEEvT1_: ; @_ZN7rocprim17ROCPRIM_400000_NS6detail17trampoline_kernelINS0_14default_configENS1_20scan_config_selectorIjEEZZNS1_9scan_implILNS1_25lookback_scan_determinismE0ELb1ELb1ES3_N6thrust23THRUST_200600_302600_NS6detail15normal_iteratorINS9_10device_ptrIjEEEENS9_16discard_iteratorINS9_11use_defaultEEEjNS9_4plusIvEEjEEDaPvRmT3_T4_T5_mT6_P12ihipStream_tbENKUlT_T0_E_clISt17integral_constantIbLb0EESW_IbLb1EEEEDaSS_ST_EUlSS_E0_NS1_11comp_targetILNS1_3genE0ELNS1_11target_archE4294967295ELNS1_3gpuE0ELNS1_3repE0EEENS1_30default_config_static_selectorELNS0_4arch9wavefront6targetE1EEEvT1_
; %bb.0:
	.section	.rodata,"a",@progbits
	.p2align	6, 0x0
	.amdhsa_kernel _ZN7rocprim17ROCPRIM_400000_NS6detail17trampoline_kernelINS0_14default_configENS1_20scan_config_selectorIjEEZZNS1_9scan_implILNS1_25lookback_scan_determinismE0ELb1ELb1ES3_N6thrust23THRUST_200600_302600_NS6detail15normal_iteratorINS9_10device_ptrIjEEEENS9_16discard_iteratorINS9_11use_defaultEEEjNS9_4plusIvEEjEEDaPvRmT3_T4_T5_mT6_P12ihipStream_tbENKUlT_T0_E_clISt17integral_constantIbLb0EESW_IbLb1EEEEDaSS_ST_EUlSS_E0_NS1_11comp_targetILNS1_3genE0ELNS1_11target_archE4294967295ELNS1_3gpuE0ELNS1_3repE0EEENS1_30default_config_static_selectorELNS0_4arch9wavefront6targetE1EEEvT1_
		.amdhsa_group_segment_fixed_size 0
		.amdhsa_private_segment_fixed_size 0
		.amdhsa_kernarg_size 40
		.amdhsa_user_sgpr_count 6
		.amdhsa_user_sgpr_private_segment_buffer 1
		.amdhsa_user_sgpr_dispatch_ptr 0
		.amdhsa_user_sgpr_queue_ptr 0
		.amdhsa_user_sgpr_kernarg_segment_ptr 1
		.amdhsa_user_sgpr_dispatch_id 0
		.amdhsa_user_sgpr_flat_scratch_init 0
		.amdhsa_user_sgpr_kernarg_preload_length 0
		.amdhsa_user_sgpr_kernarg_preload_offset 0
		.amdhsa_user_sgpr_private_segment_size 0
		.amdhsa_uses_dynamic_stack 0
		.amdhsa_system_sgpr_private_segment_wavefront_offset 0
		.amdhsa_system_sgpr_workgroup_id_x 1
		.amdhsa_system_sgpr_workgroup_id_y 0
		.amdhsa_system_sgpr_workgroup_id_z 0
		.amdhsa_system_sgpr_workgroup_info 0
		.amdhsa_system_vgpr_workitem_id 0
		.amdhsa_next_free_vgpr 1
		.amdhsa_next_free_sgpr 0
		.amdhsa_accum_offset 4
		.amdhsa_reserve_vcc 0
		.amdhsa_reserve_flat_scratch 0
		.amdhsa_float_round_mode_32 0
		.amdhsa_float_round_mode_16_64 0
		.amdhsa_float_denorm_mode_32 3
		.amdhsa_float_denorm_mode_16_64 3
		.amdhsa_dx10_clamp 1
		.amdhsa_ieee_mode 1
		.amdhsa_fp16_overflow 0
		.amdhsa_tg_split 0
		.amdhsa_exception_fp_ieee_invalid_op 0
		.amdhsa_exception_fp_denorm_src 0
		.amdhsa_exception_fp_ieee_div_zero 0
		.amdhsa_exception_fp_ieee_overflow 0
		.amdhsa_exception_fp_ieee_underflow 0
		.amdhsa_exception_fp_ieee_inexact 0
		.amdhsa_exception_int_div_zero 0
	.end_amdhsa_kernel
	.section	.text._ZN7rocprim17ROCPRIM_400000_NS6detail17trampoline_kernelINS0_14default_configENS1_20scan_config_selectorIjEEZZNS1_9scan_implILNS1_25lookback_scan_determinismE0ELb1ELb1ES3_N6thrust23THRUST_200600_302600_NS6detail15normal_iteratorINS9_10device_ptrIjEEEENS9_16discard_iteratorINS9_11use_defaultEEEjNS9_4plusIvEEjEEDaPvRmT3_T4_T5_mT6_P12ihipStream_tbENKUlT_T0_E_clISt17integral_constantIbLb0EESW_IbLb1EEEEDaSS_ST_EUlSS_E0_NS1_11comp_targetILNS1_3genE0ELNS1_11target_archE4294967295ELNS1_3gpuE0ELNS1_3repE0EEENS1_30default_config_static_selectorELNS0_4arch9wavefront6targetE1EEEvT1_,"axG",@progbits,_ZN7rocprim17ROCPRIM_400000_NS6detail17trampoline_kernelINS0_14default_configENS1_20scan_config_selectorIjEEZZNS1_9scan_implILNS1_25lookback_scan_determinismE0ELb1ELb1ES3_N6thrust23THRUST_200600_302600_NS6detail15normal_iteratorINS9_10device_ptrIjEEEENS9_16discard_iteratorINS9_11use_defaultEEEjNS9_4plusIvEEjEEDaPvRmT3_T4_T5_mT6_P12ihipStream_tbENKUlT_T0_E_clISt17integral_constantIbLb0EESW_IbLb1EEEEDaSS_ST_EUlSS_E0_NS1_11comp_targetILNS1_3genE0ELNS1_11target_archE4294967295ELNS1_3gpuE0ELNS1_3repE0EEENS1_30default_config_static_selectorELNS0_4arch9wavefront6targetE1EEEvT1_,comdat
.Lfunc_end5429:
	.size	_ZN7rocprim17ROCPRIM_400000_NS6detail17trampoline_kernelINS0_14default_configENS1_20scan_config_selectorIjEEZZNS1_9scan_implILNS1_25lookback_scan_determinismE0ELb1ELb1ES3_N6thrust23THRUST_200600_302600_NS6detail15normal_iteratorINS9_10device_ptrIjEEEENS9_16discard_iteratorINS9_11use_defaultEEEjNS9_4plusIvEEjEEDaPvRmT3_T4_T5_mT6_P12ihipStream_tbENKUlT_T0_E_clISt17integral_constantIbLb0EESW_IbLb1EEEEDaSS_ST_EUlSS_E0_NS1_11comp_targetILNS1_3genE0ELNS1_11target_archE4294967295ELNS1_3gpuE0ELNS1_3repE0EEENS1_30default_config_static_selectorELNS0_4arch9wavefront6targetE1EEEvT1_, .Lfunc_end5429-_ZN7rocprim17ROCPRIM_400000_NS6detail17trampoline_kernelINS0_14default_configENS1_20scan_config_selectorIjEEZZNS1_9scan_implILNS1_25lookback_scan_determinismE0ELb1ELb1ES3_N6thrust23THRUST_200600_302600_NS6detail15normal_iteratorINS9_10device_ptrIjEEEENS9_16discard_iteratorINS9_11use_defaultEEEjNS9_4plusIvEEjEEDaPvRmT3_T4_T5_mT6_P12ihipStream_tbENKUlT_T0_E_clISt17integral_constantIbLb0EESW_IbLb1EEEEDaSS_ST_EUlSS_E0_NS1_11comp_targetILNS1_3genE0ELNS1_11target_archE4294967295ELNS1_3gpuE0ELNS1_3repE0EEENS1_30default_config_static_selectorELNS0_4arch9wavefront6targetE1EEEvT1_
                                        ; -- End function
	.section	.AMDGPU.csdata,"",@progbits
; Kernel info:
; codeLenInByte = 0
; NumSgprs: 4
; NumVgprs: 0
; NumAgprs: 0
; TotalNumVgprs: 0
; ScratchSize: 0
; MemoryBound: 0
; FloatMode: 240
; IeeeMode: 1
; LDSByteSize: 0 bytes/workgroup (compile time only)
; SGPRBlocks: 0
; VGPRBlocks: 0
; NumSGPRsForWavesPerEU: 4
; NumVGPRsForWavesPerEU: 1
; AccumOffset: 4
; Occupancy: 8
; WaveLimiterHint : 0
; COMPUTE_PGM_RSRC2:SCRATCH_EN: 0
; COMPUTE_PGM_RSRC2:USER_SGPR: 6
; COMPUTE_PGM_RSRC2:TRAP_HANDLER: 0
; COMPUTE_PGM_RSRC2:TGID_X_EN: 1
; COMPUTE_PGM_RSRC2:TGID_Y_EN: 0
; COMPUTE_PGM_RSRC2:TGID_Z_EN: 0
; COMPUTE_PGM_RSRC2:TIDIG_COMP_CNT: 0
; COMPUTE_PGM_RSRC3_GFX90A:ACCUM_OFFSET: 0
; COMPUTE_PGM_RSRC3_GFX90A:TG_SPLIT: 0
	.section	.text._ZN7rocprim17ROCPRIM_400000_NS6detail17trampoline_kernelINS0_14default_configENS1_20scan_config_selectorIjEEZZNS1_9scan_implILNS1_25lookback_scan_determinismE0ELb1ELb1ES3_N6thrust23THRUST_200600_302600_NS6detail15normal_iteratorINS9_10device_ptrIjEEEENS9_16discard_iteratorINS9_11use_defaultEEEjNS9_4plusIvEEjEEDaPvRmT3_T4_T5_mT6_P12ihipStream_tbENKUlT_T0_E_clISt17integral_constantIbLb0EESW_IbLb1EEEEDaSS_ST_EUlSS_E0_NS1_11comp_targetILNS1_3genE5ELNS1_11target_archE942ELNS1_3gpuE9ELNS1_3repE0EEENS1_30default_config_static_selectorELNS0_4arch9wavefront6targetE1EEEvT1_,"axG",@progbits,_ZN7rocprim17ROCPRIM_400000_NS6detail17trampoline_kernelINS0_14default_configENS1_20scan_config_selectorIjEEZZNS1_9scan_implILNS1_25lookback_scan_determinismE0ELb1ELb1ES3_N6thrust23THRUST_200600_302600_NS6detail15normal_iteratorINS9_10device_ptrIjEEEENS9_16discard_iteratorINS9_11use_defaultEEEjNS9_4plusIvEEjEEDaPvRmT3_T4_T5_mT6_P12ihipStream_tbENKUlT_T0_E_clISt17integral_constantIbLb0EESW_IbLb1EEEEDaSS_ST_EUlSS_E0_NS1_11comp_targetILNS1_3genE5ELNS1_11target_archE942ELNS1_3gpuE9ELNS1_3repE0EEENS1_30default_config_static_selectorELNS0_4arch9wavefront6targetE1EEEvT1_,comdat
	.protected	_ZN7rocprim17ROCPRIM_400000_NS6detail17trampoline_kernelINS0_14default_configENS1_20scan_config_selectorIjEEZZNS1_9scan_implILNS1_25lookback_scan_determinismE0ELb1ELb1ES3_N6thrust23THRUST_200600_302600_NS6detail15normal_iteratorINS9_10device_ptrIjEEEENS9_16discard_iteratorINS9_11use_defaultEEEjNS9_4plusIvEEjEEDaPvRmT3_T4_T5_mT6_P12ihipStream_tbENKUlT_T0_E_clISt17integral_constantIbLb0EESW_IbLb1EEEEDaSS_ST_EUlSS_E0_NS1_11comp_targetILNS1_3genE5ELNS1_11target_archE942ELNS1_3gpuE9ELNS1_3repE0EEENS1_30default_config_static_selectorELNS0_4arch9wavefront6targetE1EEEvT1_ ; -- Begin function _ZN7rocprim17ROCPRIM_400000_NS6detail17trampoline_kernelINS0_14default_configENS1_20scan_config_selectorIjEEZZNS1_9scan_implILNS1_25lookback_scan_determinismE0ELb1ELb1ES3_N6thrust23THRUST_200600_302600_NS6detail15normal_iteratorINS9_10device_ptrIjEEEENS9_16discard_iteratorINS9_11use_defaultEEEjNS9_4plusIvEEjEEDaPvRmT3_T4_T5_mT6_P12ihipStream_tbENKUlT_T0_E_clISt17integral_constantIbLb0EESW_IbLb1EEEEDaSS_ST_EUlSS_E0_NS1_11comp_targetILNS1_3genE5ELNS1_11target_archE942ELNS1_3gpuE9ELNS1_3repE0EEENS1_30default_config_static_selectorELNS0_4arch9wavefront6targetE1EEEvT1_
	.globl	_ZN7rocprim17ROCPRIM_400000_NS6detail17trampoline_kernelINS0_14default_configENS1_20scan_config_selectorIjEEZZNS1_9scan_implILNS1_25lookback_scan_determinismE0ELb1ELb1ES3_N6thrust23THRUST_200600_302600_NS6detail15normal_iteratorINS9_10device_ptrIjEEEENS9_16discard_iteratorINS9_11use_defaultEEEjNS9_4plusIvEEjEEDaPvRmT3_T4_T5_mT6_P12ihipStream_tbENKUlT_T0_E_clISt17integral_constantIbLb0EESW_IbLb1EEEEDaSS_ST_EUlSS_E0_NS1_11comp_targetILNS1_3genE5ELNS1_11target_archE942ELNS1_3gpuE9ELNS1_3repE0EEENS1_30default_config_static_selectorELNS0_4arch9wavefront6targetE1EEEvT1_
	.p2align	8
	.type	_ZN7rocprim17ROCPRIM_400000_NS6detail17trampoline_kernelINS0_14default_configENS1_20scan_config_selectorIjEEZZNS1_9scan_implILNS1_25lookback_scan_determinismE0ELb1ELb1ES3_N6thrust23THRUST_200600_302600_NS6detail15normal_iteratorINS9_10device_ptrIjEEEENS9_16discard_iteratorINS9_11use_defaultEEEjNS9_4plusIvEEjEEDaPvRmT3_T4_T5_mT6_P12ihipStream_tbENKUlT_T0_E_clISt17integral_constantIbLb0EESW_IbLb1EEEEDaSS_ST_EUlSS_E0_NS1_11comp_targetILNS1_3genE5ELNS1_11target_archE942ELNS1_3gpuE9ELNS1_3repE0EEENS1_30default_config_static_selectorELNS0_4arch9wavefront6targetE1EEEvT1_,@function
_ZN7rocprim17ROCPRIM_400000_NS6detail17trampoline_kernelINS0_14default_configENS1_20scan_config_selectorIjEEZZNS1_9scan_implILNS1_25lookback_scan_determinismE0ELb1ELb1ES3_N6thrust23THRUST_200600_302600_NS6detail15normal_iteratorINS9_10device_ptrIjEEEENS9_16discard_iteratorINS9_11use_defaultEEEjNS9_4plusIvEEjEEDaPvRmT3_T4_T5_mT6_P12ihipStream_tbENKUlT_T0_E_clISt17integral_constantIbLb0EESW_IbLb1EEEEDaSS_ST_EUlSS_E0_NS1_11comp_targetILNS1_3genE5ELNS1_11target_archE942ELNS1_3gpuE9ELNS1_3repE0EEENS1_30default_config_static_selectorELNS0_4arch9wavefront6targetE1EEEvT1_: ; @_ZN7rocprim17ROCPRIM_400000_NS6detail17trampoline_kernelINS0_14default_configENS1_20scan_config_selectorIjEEZZNS1_9scan_implILNS1_25lookback_scan_determinismE0ELb1ELb1ES3_N6thrust23THRUST_200600_302600_NS6detail15normal_iteratorINS9_10device_ptrIjEEEENS9_16discard_iteratorINS9_11use_defaultEEEjNS9_4plusIvEEjEEDaPvRmT3_T4_T5_mT6_P12ihipStream_tbENKUlT_T0_E_clISt17integral_constantIbLb0EESW_IbLb1EEEEDaSS_ST_EUlSS_E0_NS1_11comp_targetILNS1_3genE5ELNS1_11target_archE942ELNS1_3gpuE9ELNS1_3repE0EEENS1_30default_config_static_selectorELNS0_4arch9wavefront6targetE1EEEvT1_
; %bb.0:
	.section	.rodata,"a",@progbits
	.p2align	6, 0x0
	.amdhsa_kernel _ZN7rocprim17ROCPRIM_400000_NS6detail17trampoline_kernelINS0_14default_configENS1_20scan_config_selectorIjEEZZNS1_9scan_implILNS1_25lookback_scan_determinismE0ELb1ELb1ES3_N6thrust23THRUST_200600_302600_NS6detail15normal_iteratorINS9_10device_ptrIjEEEENS9_16discard_iteratorINS9_11use_defaultEEEjNS9_4plusIvEEjEEDaPvRmT3_T4_T5_mT6_P12ihipStream_tbENKUlT_T0_E_clISt17integral_constantIbLb0EESW_IbLb1EEEEDaSS_ST_EUlSS_E0_NS1_11comp_targetILNS1_3genE5ELNS1_11target_archE942ELNS1_3gpuE9ELNS1_3repE0EEENS1_30default_config_static_selectorELNS0_4arch9wavefront6targetE1EEEvT1_
		.amdhsa_group_segment_fixed_size 0
		.amdhsa_private_segment_fixed_size 0
		.amdhsa_kernarg_size 40
		.amdhsa_user_sgpr_count 6
		.amdhsa_user_sgpr_private_segment_buffer 1
		.amdhsa_user_sgpr_dispatch_ptr 0
		.amdhsa_user_sgpr_queue_ptr 0
		.amdhsa_user_sgpr_kernarg_segment_ptr 1
		.amdhsa_user_sgpr_dispatch_id 0
		.amdhsa_user_sgpr_flat_scratch_init 0
		.amdhsa_user_sgpr_kernarg_preload_length 0
		.amdhsa_user_sgpr_kernarg_preload_offset 0
		.amdhsa_user_sgpr_private_segment_size 0
		.amdhsa_uses_dynamic_stack 0
		.amdhsa_system_sgpr_private_segment_wavefront_offset 0
		.amdhsa_system_sgpr_workgroup_id_x 1
		.amdhsa_system_sgpr_workgroup_id_y 0
		.amdhsa_system_sgpr_workgroup_id_z 0
		.amdhsa_system_sgpr_workgroup_info 0
		.amdhsa_system_vgpr_workitem_id 0
		.amdhsa_next_free_vgpr 1
		.amdhsa_next_free_sgpr 0
		.amdhsa_accum_offset 4
		.amdhsa_reserve_vcc 0
		.amdhsa_reserve_flat_scratch 0
		.amdhsa_float_round_mode_32 0
		.amdhsa_float_round_mode_16_64 0
		.amdhsa_float_denorm_mode_32 3
		.amdhsa_float_denorm_mode_16_64 3
		.amdhsa_dx10_clamp 1
		.amdhsa_ieee_mode 1
		.amdhsa_fp16_overflow 0
		.amdhsa_tg_split 0
		.amdhsa_exception_fp_ieee_invalid_op 0
		.amdhsa_exception_fp_denorm_src 0
		.amdhsa_exception_fp_ieee_div_zero 0
		.amdhsa_exception_fp_ieee_overflow 0
		.amdhsa_exception_fp_ieee_underflow 0
		.amdhsa_exception_fp_ieee_inexact 0
		.amdhsa_exception_int_div_zero 0
	.end_amdhsa_kernel
	.section	.text._ZN7rocprim17ROCPRIM_400000_NS6detail17trampoline_kernelINS0_14default_configENS1_20scan_config_selectorIjEEZZNS1_9scan_implILNS1_25lookback_scan_determinismE0ELb1ELb1ES3_N6thrust23THRUST_200600_302600_NS6detail15normal_iteratorINS9_10device_ptrIjEEEENS9_16discard_iteratorINS9_11use_defaultEEEjNS9_4plusIvEEjEEDaPvRmT3_T4_T5_mT6_P12ihipStream_tbENKUlT_T0_E_clISt17integral_constantIbLb0EESW_IbLb1EEEEDaSS_ST_EUlSS_E0_NS1_11comp_targetILNS1_3genE5ELNS1_11target_archE942ELNS1_3gpuE9ELNS1_3repE0EEENS1_30default_config_static_selectorELNS0_4arch9wavefront6targetE1EEEvT1_,"axG",@progbits,_ZN7rocprim17ROCPRIM_400000_NS6detail17trampoline_kernelINS0_14default_configENS1_20scan_config_selectorIjEEZZNS1_9scan_implILNS1_25lookback_scan_determinismE0ELb1ELb1ES3_N6thrust23THRUST_200600_302600_NS6detail15normal_iteratorINS9_10device_ptrIjEEEENS9_16discard_iteratorINS9_11use_defaultEEEjNS9_4plusIvEEjEEDaPvRmT3_T4_T5_mT6_P12ihipStream_tbENKUlT_T0_E_clISt17integral_constantIbLb0EESW_IbLb1EEEEDaSS_ST_EUlSS_E0_NS1_11comp_targetILNS1_3genE5ELNS1_11target_archE942ELNS1_3gpuE9ELNS1_3repE0EEENS1_30default_config_static_selectorELNS0_4arch9wavefront6targetE1EEEvT1_,comdat
.Lfunc_end5430:
	.size	_ZN7rocprim17ROCPRIM_400000_NS6detail17trampoline_kernelINS0_14default_configENS1_20scan_config_selectorIjEEZZNS1_9scan_implILNS1_25lookback_scan_determinismE0ELb1ELb1ES3_N6thrust23THRUST_200600_302600_NS6detail15normal_iteratorINS9_10device_ptrIjEEEENS9_16discard_iteratorINS9_11use_defaultEEEjNS9_4plusIvEEjEEDaPvRmT3_T4_T5_mT6_P12ihipStream_tbENKUlT_T0_E_clISt17integral_constantIbLb0EESW_IbLb1EEEEDaSS_ST_EUlSS_E0_NS1_11comp_targetILNS1_3genE5ELNS1_11target_archE942ELNS1_3gpuE9ELNS1_3repE0EEENS1_30default_config_static_selectorELNS0_4arch9wavefront6targetE1EEEvT1_, .Lfunc_end5430-_ZN7rocprim17ROCPRIM_400000_NS6detail17trampoline_kernelINS0_14default_configENS1_20scan_config_selectorIjEEZZNS1_9scan_implILNS1_25lookback_scan_determinismE0ELb1ELb1ES3_N6thrust23THRUST_200600_302600_NS6detail15normal_iteratorINS9_10device_ptrIjEEEENS9_16discard_iteratorINS9_11use_defaultEEEjNS9_4plusIvEEjEEDaPvRmT3_T4_T5_mT6_P12ihipStream_tbENKUlT_T0_E_clISt17integral_constantIbLb0EESW_IbLb1EEEEDaSS_ST_EUlSS_E0_NS1_11comp_targetILNS1_3genE5ELNS1_11target_archE942ELNS1_3gpuE9ELNS1_3repE0EEENS1_30default_config_static_selectorELNS0_4arch9wavefront6targetE1EEEvT1_
                                        ; -- End function
	.section	.AMDGPU.csdata,"",@progbits
; Kernel info:
; codeLenInByte = 0
; NumSgprs: 4
; NumVgprs: 0
; NumAgprs: 0
; TotalNumVgprs: 0
; ScratchSize: 0
; MemoryBound: 0
; FloatMode: 240
; IeeeMode: 1
; LDSByteSize: 0 bytes/workgroup (compile time only)
; SGPRBlocks: 0
; VGPRBlocks: 0
; NumSGPRsForWavesPerEU: 4
; NumVGPRsForWavesPerEU: 1
; AccumOffset: 4
; Occupancy: 8
; WaveLimiterHint : 0
; COMPUTE_PGM_RSRC2:SCRATCH_EN: 0
; COMPUTE_PGM_RSRC2:USER_SGPR: 6
; COMPUTE_PGM_RSRC2:TRAP_HANDLER: 0
; COMPUTE_PGM_RSRC2:TGID_X_EN: 1
; COMPUTE_PGM_RSRC2:TGID_Y_EN: 0
; COMPUTE_PGM_RSRC2:TGID_Z_EN: 0
; COMPUTE_PGM_RSRC2:TIDIG_COMP_CNT: 0
; COMPUTE_PGM_RSRC3_GFX90A:ACCUM_OFFSET: 0
; COMPUTE_PGM_RSRC3_GFX90A:TG_SPLIT: 0
	.section	.text._ZN7rocprim17ROCPRIM_400000_NS6detail17trampoline_kernelINS0_14default_configENS1_20scan_config_selectorIjEEZZNS1_9scan_implILNS1_25lookback_scan_determinismE0ELb1ELb1ES3_N6thrust23THRUST_200600_302600_NS6detail15normal_iteratorINS9_10device_ptrIjEEEENS9_16discard_iteratorINS9_11use_defaultEEEjNS9_4plusIvEEjEEDaPvRmT3_T4_T5_mT6_P12ihipStream_tbENKUlT_T0_E_clISt17integral_constantIbLb0EESW_IbLb1EEEEDaSS_ST_EUlSS_E0_NS1_11comp_targetILNS1_3genE4ELNS1_11target_archE910ELNS1_3gpuE8ELNS1_3repE0EEENS1_30default_config_static_selectorELNS0_4arch9wavefront6targetE1EEEvT1_,"axG",@progbits,_ZN7rocprim17ROCPRIM_400000_NS6detail17trampoline_kernelINS0_14default_configENS1_20scan_config_selectorIjEEZZNS1_9scan_implILNS1_25lookback_scan_determinismE0ELb1ELb1ES3_N6thrust23THRUST_200600_302600_NS6detail15normal_iteratorINS9_10device_ptrIjEEEENS9_16discard_iteratorINS9_11use_defaultEEEjNS9_4plusIvEEjEEDaPvRmT3_T4_T5_mT6_P12ihipStream_tbENKUlT_T0_E_clISt17integral_constantIbLb0EESW_IbLb1EEEEDaSS_ST_EUlSS_E0_NS1_11comp_targetILNS1_3genE4ELNS1_11target_archE910ELNS1_3gpuE8ELNS1_3repE0EEENS1_30default_config_static_selectorELNS0_4arch9wavefront6targetE1EEEvT1_,comdat
	.protected	_ZN7rocprim17ROCPRIM_400000_NS6detail17trampoline_kernelINS0_14default_configENS1_20scan_config_selectorIjEEZZNS1_9scan_implILNS1_25lookback_scan_determinismE0ELb1ELb1ES3_N6thrust23THRUST_200600_302600_NS6detail15normal_iteratorINS9_10device_ptrIjEEEENS9_16discard_iteratorINS9_11use_defaultEEEjNS9_4plusIvEEjEEDaPvRmT3_T4_T5_mT6_P12ihipStream_tbENKUlT_T0_E_clISt17integral_constantIbLb0EESW_IbLb1EEEEDaSS_ST_EUlSS_E0_NS1_11comp_targetILNS1_3genE4ELNS1_11target_archE910ELNS1_3gpuE8ELNS1_3repE0EEENS1_30default_config_static_selectorELNS0_4arch9wavefront6targetE1EEEvT1_ ; -- Begin function _ZN7rocprim17ROCPRIM_400000_NS6detail17trampoline_kernelINS0_14default_configENS1_20scan_config_selectorIjEEZZNS1_9scan_implILNS1_25lookback_scan_determinismE0ELb1ELb1ES3_N6thrust23THRUST_200600_302600_NS6detail15normal_iteratorINS9_10device_ptrIjEEEENS9_16discard_iteratorINS9_11use_defaultEEEjNS9_4plusIvEEjEEDaPvRmT3_T4_T5_mT6_P12ihipStream_tbENKUlT_T0_E_clISt17integral_constantIbLb0EESW_IbLb1EEEEDaSS_ST_EUlSS_E0_NS1_11comp_targetILNS1_3genE4ELNS1_11target_archE910ELNS1_3gpuE8ELNS1_3repE0EEENS1_30default_config_static_selectorELNS0_4arch9wavefront6targetE1EEEvT1_
	.globl	_ZN7rocprim17ROCPRIM_400000_NS6detail17trampoline_kernelINS0_14default_configENS1_20scan_config_selectorIjEEZZNS1_9scan_implILNS1_25lookback_scan_determinismE0ELb1ELb1ES3_N6thrust23THRUST_200600_302600_NS6detail15normal_iteratorINS9_10device_ptrIjEEEENS9_16discard_iteratorINS9_11use_defaultEEEjNS9_4plusIvEEjEEDaPvRmT3_T4_T5_mT6_P12ihipStream_tbENKUlT_T0_E_clISt17integral_constantIbLb0EESW_IbLb1EEEEDaSS_ST_EUlSS_E0_NS1_11comp_targetILNS1_3genE4ELNS1_11target_archE910ELNS1_3gpuE8ELNS1_3repE0EEENS1_30default_config_static_selectorELNS0_4arch9wavefront6targetE1EEEvT1_
	.p2align	8
	.type	_ZN7rocprim17ROCPRIM_400000_NS6detail17trampoline_kernelINS0_14default_configENS1_20scan_config_selectorIjEEZZNS1_9scan_implILNS1_25lookback_scan_determinismE0ELb1ELb1ES3_N6thrust23THRUST_200600_302600_NS6detail15normal_iteratorINS9_10device_ptrIjEEEENS9_16discard_iteratorINS9_11use_defaultEEEjNS9_4plusIvEEjEEDaPvRmT3_T4_T5_mT6_P12ihipStream_tbENKUlT_T0_E_clISt17integral_constantIbLb0EESW_IbLb1EEEEDaSS_ST_EUlSS_E0_NS1_11comp_targetILNS1_3genE4ELNS1_11target_archE910ELNS1_3gpuE8ELNS1_3repE0EEENS1_30default_config_static_selectorELNS0_4arch9wavefront6targetE1EEEvT1_,@function
_ZN7rocprim17ROCPRIM_400000_NS6detail17trampoline_kernelINS0_14default_configENS1_20scan_config_selectorIjEEZZNS1_9scan_implILNS1_25lookback_scan_determinismE0ELb1ELb1ES3_N6thrust23THRUST_200600_302600_NS6detail15normal_iteratorINS9_10device_ptrIjEEEENS9_16discard_iteratorINS9_11use_defaultEEEjNS9_4plusIvEEjEEDaPvRmT3_T4_T5_mT6_P12ihipStream_tbENKUlT_T0_E_clISt17integral_constantIbLb0EESW_IbLb1EEEEDaSS_ST_EUlSS_E0_NS1_11comp_targetILNS1_3genE4ELNS1_11target_archE910ELNS1_3gpuE8ELNS1_3repE0EEENS1_30default_config_static_selectorELNS0_4arch9wavefront6targetE1EEEvT1_: ; @_ZN7rocprim17ROCPRIM_400000_NS6detail17trampoline_kernelINS0_14default_configENS1_20scan_config_selectorIjEEZZNS1_9scan_implILNS1_25lookback_scan_determinismE0ELb1ELb1ES3_N6thrust23THRUST_200600_302600_NS6detail15normal_iteratorINS9_10device_ptrIjEEEENS9_16discard_iteratorINS9_11use_defaultEEEjNS9_4plusIvEEjEEDaPvRmT3_T4_T5_mT6_P12ihipStream_tbENKUlT_T0_E_clISt17integral_constantIbLb0EESW_IbLb1EEEEDaSS_ST_EUlSS_E0_NS1_11comp_targetILNS1_3genE4ELNS1_11target_archE910ELNS1_3gpuE8ELNS1_3repE0EEENS1_30default_config_static_selectorELNS0_4arch9wavefront6targetE1EEEvT1_
; %bb.0:
	s_load_dwordx4 s[0:3], s[4:5], 0x0
	v_lshlrev_b32_e32 v1, 2, v0
	s_waitcnt lgkmcnt(0)
	s_load_dword s3, s[0:1], 0x0
	v_cmp_gt_u32_e32 vcc, s2, v0
	s_waitcnt lgkmcnt(0)
	v_mov_b32_e32 v2, s3
	s_and_saveexec_b64 s[6:7], vcc
	s_cbranch_execz .LBB5431_2
; %bb.1:
	global_load_dword v2, v1, s[0:1]
.LBB5431_2:
	s_or_b64 exec, exec, s[6:7]
	v_or_b32_e32 v3, 0x80, v0
	v_cmp_gt_u32_e32 vcc, s2, v3
	v_mov_b32_e32 v3, s3
	s_and_saveexec_b64 s[6:7], vcc
	s_cbranch_execz .LBB5431_4
; %bb.3:
	global_load_dword v3, v1, s[0:1] offset:512
.LBB5431_4:
	s_or_b64 exec, exec, s[6:7]
	v_or_b32_e32 v4, 0x100, v0
	v_cmp_gt_u32_e32 vcc, s2, v4
	v_mov_b32_e32 v4, s3
	s_and_saveexec_b64 s[6:7], vcc
	s_cbranch_execz .LBB5431_6
; %bb.5:
	global_load_dword v4, v1, s[0:1] offset:1024
.LBB5431_6:
	;; [unrolled: 9-line block ×7, first 2 shown]
	s_or_b64 exec, exec, s[6:7]
	v_or_b32_e32 v11, 0x400, v0
	v_cmp_gt_u32_e32 vcc, s2, v11
	v_mov_b32_e32 v10, s3
	s_and_saveexec_b64 s[6:7], vcc
	s_cbranch_execz .LBB5431_18
; %bb.17:
	v_lshlrev_b32_e32 v10, 2, v11
	global_load_dword v10, v10, s[0:1]
.LBB5431_18:
	s_or_b64 exec, exec, s[6:7]
	s_load_dword s4, s[4:5], 0x10
	v_or_b32_e32 v12, 0x480, v0
	v_cmp_gt_u32_e32 vcc, s2, v12
	v_mov_b32_e32 v11, s3
	s_and_saveexec_b64 s[2:3], vcc
	s_cbranch_execz .LBB5431_20
; %bb.19:
	v_lshlrev_b32_e32 v11, 2, v12
	global_load_dword v11, v11, s[0:1]
.LBB5431_20:
	s_or_b64 exec, exec, s[2:3]
	s_waitcnt vmcnt(0)
	ds_write2st64_b32 v1, v2, v3 offset1:2
	ds_write2st64_b32 v1, v4, v5 offset0:4 offset1:6
	ds_write2st64_b32 v1, v6, v7 offset0:8 offset1:10
	ds_write2st64_b32 v1, v8, v9 offset0:12 offset1:14
	ds_write2st64_b32 v1, v10, v11 offset0:16 offset1:18
	v_mad_u32_u24 v10, v0, 36, v1
	s_waitcnt lgkmcnt(0)
	s_barrier
	ds_read2_b64 v[6:9], v10 offset1:1
	ds_read2_b64 v[2:5], v10 offset0:2 offset1:3
	ds_read_b64 v[10:11], v10 offset:32
	v_cmp_gt_u32_e32 vcc, 64, v0
	s_waitcnt lgkmcnt(0)
	v_add_u32_e32 v12, v7, v6
	v_add3_u32 v12, v12, v8, v9
	v_add3_u32 v12, v12, v2, v3
	;; [unrolled: 1-line block ×4, first 2 shown]
	v_lshrrev_b32_e32 v12, 3, v0
	v_and_b32_e32 v12, 12, v12
	v_add_u32_e32 v12, v1, v12
	s_barrier
	ds_write_b32 v12, v11
	s_waitcnt lgkmcnt(0)
	s_barrier
	s_and_saveexec_b64 s[0:1], vcc
	s_cbranch_execz .LBB5431_22
; %bb.21:
	v_lshlrev_b32_e32 v12, 1, v0
	v_lshrrev_b32_e32 v13, 4, v0
	v_add_lshl_u32 v14, v13, v12, 2
	ds_read2_b32 v[12:13], v14 offset1:1
	v_mbcnt_lo_u32_b32 v15, -1, 0
	v_mbcnt_hi_u32_b32 v15, -1, v15
	v_and_b32_e32 v16, 15, v15
	v_cmp_ne_u32_e32 vcc, 0, v16
	s_waitcnt lgkmcnt(0)
	v_add_u32_e32 v13, v13, v12
	; wave barrier
	s_nop 1
	v_mov_b32_dpp v17, v13 row_shr:1 row_mask:0xf bank_mask:0xf
	v_cndmask_b32_e32 v17, 0, v17, vcc
	v_add_u32_e32 v13, v17, v13
	v_cmp_lt_u32_e32 vcc, 1, v16
	s_nop 0
	v_mov_b32_dpp v17, v13 row_shr:2 row_mask:0xf bank_mask:0xf
	v_cndmask_b32_e32 v17, 0, v17, vcc
	v_add_u32_e32 v13, v13, v17
	v_cmp_lt_u32_e32 vcc, 3, v16
	;; [unrolled: 5-line block ×3, first 2 shown]
	s_nop 0
	v_mov_b32_dpp v17, v13 row_shr:8 row_mask:0xf bank_mask:0xf
	v_cndmask_b32_e32 v16, 0, v17, vcc
	v_add_u32_e32 v13, v13, v16
	v_bfe_i32 v17, v15, 4, 1
	v_cmp_lt_u32_e32 vcc, 31, v15
	v_mov_b32_dpp v16, v13 row_bcast:15 row_mask:0xf bank_mask:0xf
	v_and_b32_e32 v16, v17, v16
	v_add_u32_e32 v13, v13, v16
	v_and_b32_e32 v17, 64, v15
	s_nop 0
	v_mov_b32_dpp v16, v13 row_bcast:31 row_mask:0xf bank_mask:0xf
	v_cndmask_b32_e32 v16, 0, v16, vcc
	v_add_u32_e32 v13, v13, v16
	v_add_u32_e32 v16, -1, v15
	v_cmp_lt_i32_e32 vcc, v16, v17
	v_cndmask_b32_e32 v15, v16, v15, vcc
	v_lshlrev_b32_e32 v15, 2, v15
	ds_bpermute_b32 v13, v15, v13
	v_cmp_eq_u32_e32 vcc, 0, v0
	s_waitcnt lgkmcnt(0)
	v_add_u32_e32 v12, v13, v12
	v_cndmask_b32_e32 v11, v12, v11, vcc
	ds_write_b32 v14, v11
	; wave barrier
	ds_read_b32 v12, v14 offset:4
	s_waitcnt lgkmcnt(0)
	v_add_u32_e32 v11, v12, v11
	ds_write_b32 v14, v11 offset:4
.LBB5431_22:
	s_or_b64 exec, exec, s[0:1]
	v_mul_u32_u24_e32 v11, 36, v0
	v_cmp_ne_u32_e32 vcc, 0, v0
	v_mov_b32_e32 v12, s4
	s_waitcnt lgkmcnt(0)
	s_barrier
	s_and_saveexec_b64 s[0:1], vcc
	s_cbranch_execz .LBB5431_24
; %bb.23:
	v_add_u32_e32 v0, -1, v0
	v_lshrrev_b32_e32 v12, 5, v0
	v_add_lshl_u32 v0, v12, v0, 2
	ds_read_b32 v0, v0
	s_waitcnt lgkmcnt(0)
	v_add_u32_e32 v12, s4, v0
.LBB5431_24:
	s_or_b64 exec, exec, s[0:1]
	v_add_u32_e32 v13, v12, v6
	v_add_u32_e32 v6, v13, v7
	;; [unrolled: 1-line block ×10, first 2 shown]
	s_barrier
	ds_write2_b64 v0, v[12:13], v[6:7] offset1:1
	ds_write2_b64 v0, v[8:9], v[2:3] offset0:2 offset1:3
	ds_write_b64 v0, v[4:5] offset:32
	s_waitcnt lgkmcnt(0)
	s_barrier
	s_endpgm
	.section	.rodata,"a",@progbits
	.p2align	6, 0x0
	.amdhsa_kernel _ZN7rocprim17ROCPRIM_400000_NS6detail17trampoline_kernelINS0_14default_configENS1_20scan_config_selectorIjEEZZNS1_9scan_implILNS1_25lookback_scan_determinismE0ELb1ELb1ES3_N6thrust23THRUST_200600_302600_NS6detail15normal_iteratorINS9_10device_ptrIjEEEENS9_16discard_iteratorINS9_11use_defaultEEEjNS9_4plusIvEEjEEDaPvRmT3_T4_T5_mT6_P12ihipStream_tbENKUlT_T0_E_clISt17integral_constantIbLb0EESW_IbLb1EEEEDaSS_ST_EUlSS_E0_NS1_11comp_targetILNS1_3genE4ELNS1_11target_archE910ELNS1_3gpuE8ELNS1_3repE0EEENS1_30default_config_static_selectorELNS0_4arch9wavefront6targetE1EEEvT1_
		.amdhsa_group_segment_fixed_size 5120
		.amdhsa_private_segment_fixed_size 0
		.amdhsa_kernarg_size 40
		.amdhsa_user_sgpr_count 6
		.amdhsa_user_sgpr_private_segment_buffer 1
		.amdhsa_user_sgpr_dispatch_ptr 0
		.amdhsa_user_sgpr_queue_ptr 0
		.amdhsa_user_sgpr_kernarg_segment_ptr 1
		.amdhsa_user_sgpr_dispatch_id 0
		.amdhsa_user_sgpr_flat_scratch_init 0
		.amdhsa_user_sgpr_kernarg_preload_length 0
		.amdhsa_user_sgpr_kernarg_preload_offset 0
		.amdhsa_user_sgpr_private_segment_size 0
		.amdhsa_uses_dynamic_stack 0
		.amdhsa_system_sgpr_private_segment_wavefront_offset 0
		.amdhsa_system_sgpr_workgroup_id_x 1
		.amdhsa_system_sgpr_workgroup_id_y 0
		.amdhsa_system_sgpr_workgroup_id_z 0
		.amdhsa_system_sgpr_workgroup_info 0
		.amdhsa_system_vgpr_workitem_id 0
		.amdhsa_next_free_vgpr 18
		.amdhsa_next_free_sgpr 8
		.amdhsa_accum_offset 20
		.amdhsa_reserve_vcc 1
		.amdhsa_reserve_flat_scratch 0
		.amdhsa_float_round_mode_32 0
		.amdhsa_float_round_mode_16_64 0
		.amdhsa_float_denorm_mode_32 3
		.amdhsa_float_denorm_mode_16_64 3
		.amdhsa_dx10_clamp 1
		.amdhsa_ieee_mode 1
		.amdhsa_fp16_overflow 0
		.amdhsa_tg_split 0
		.amdhsa_exception_fp_ieee_invalid_op 0
		.amdhsa_exception_fp_denorm_src 0
		.amdhsa_exception_fp_ieee_div_zero 0
		.amdhsa_exception_fp_ieee_overflow 0
		.amdhsa_exception_fp_ieee_underflow 0
		.amdhsa_exception_fp_ieee_inexact 0
		.amdhsa_exception_int_div_zero 0
	.end_amdhsa_kernel
	.section	.text._ZN7rocprim17ROCPRIM_400000_NS6detail17trampoline_kernelINS0_14default_configENS1_20scan_config_selectorIjEEZZNS1_9scan_implILNS1_25lookback_scan_determinismE0ELb1ELb1ES3_N6thrust23THRUST_200600_302600_NS6detail15normal_iteratorINS9_10device_ptrIjEEEENS9_16discard_iteratorINS9_11use_defaultEEEjNS9_4plusIvEEjEEDaPvRmT3_T4_T5_mT6_P12ihipStream_tbENKUlT_T0_E_clISt17integral_constantIbLb0EESW_IbLb1EEEEDaSS_ST_EUlSS_E0_NS1_11comp_targetILNS1_3genE4ELNS1_11target_archE910ELNS1_3gpuE8ELNS1_3repE0EEENS1_30default_config_static_selectorELNS0_4arch9wavefront6targetE1EEEvT1_,"axG",@progbits,_ZN7rocprim17ROCPRIM_400000_NS6detail17trampoline_kernelINS0_14default_configENS1_20scan_config_selectorIjEEZZNS1_9scan_implILNS1_25lookback_scan_determinismE0ELb1ELb1ES3_N6thrust23THRUST_200600_302600_NS6detail15normal_iteratorINS9_10device_ptrIjEEEENS9_16discard_iteratorINS9_11use_defaultEEEjNS9_4plusIvEEjEEDaPvRmT3_T4_T5_mT6_P12ihipStream_tbENKUlT_T0_E_clISt17integral_constantIbLb0EESW_IbLb1EEEEDaSS_ST_EUlSS_E0_NS1_11comp_targetILNS1_3genE4ELNS1_11target_archE910ELNS1_3gpuE8ELNS1_3repE0EEENS1_30default_config_static_selectorELNS0_4arch9wavefront6targetE1EEEvT1_,comdat
.Lfunc_end5431:
	.size	_ZN7rocprim17ROCPRIM_400000_NS6detail17trampoline_kernelINS0_14default_configENS1_20scan_config_selectorIjEEZZNS1_9scan_implILNS1_25lookback_scan_determinismE0ELb1ELb1ES3_N6thrust23THRUST_200600_302600_NS6detail15normal_iteratorINS9_10device_ptrIjEEEENS9_16discard_iteratorINS9_11use_defaultEEEjNS9_4plusIvEEjEEDaPvRmT3_T4_T5_mT6_P12ihipStream_tbENKUlT_T0_E_clISt17integral_constantIbLb0EESW_IbLb1EEEEDaSS_ST_EUlSS_E0_NS1_11comp_targetILNS1_3genE4ELNS1_11target_archE910ELNS1_3gpuE8ELNS1_3repE0EEENS1_30default_config_static_selectorELNS0_4arch9wavefront6targetE1EEEvT1_, .Lfunc_end5431-_ZN7rocprim17ROCPRIM_400000_NS6detail17trampoline_kernelINS0_14default_configENS1_20scan_config_selectorIjEEZZNS1_9scan_implILNS1_25lookback_scan_determinismE0ELb1ELb1ES3_N6thrust23THRUST_200600_302600_NS6detail15normal_iteratorINS9_10device_ptrIjEEEENS9_16discard_iteratorINS9_11use_defaultEEEjNS9_4plusIvEEjEEDaPvRmT3_T4_T5_mT6_P12ihipStream_tbENKUlT_T0_E_clISt17integral_constantIbLb0EESW_IbLb1EEEEDaSS_ST_EUlSS_E0_NS1_11comp_targetILNS1_3genE4ELNS1_11target_archE910ELNS1_3gpuE8ELNS1_3repE0EEENS1_30default_config_static_selectorELNS0_4arch9wavefront6targetE1EEEvT1_
                                        ; -- End function
	.section	.AMDGPU.csdata,"",@progbits
; Kernel info:
; codeLenInByte = 984
; NumSgprs: 12
; NumVgprs: 18
; NumAgprs: 0
; TotalNumVgprs: 18
; ScratchSize: 0
; MemoryBound: 0
; FloatMode: 240
; IeeeMode: 1
; LDSByteSize: 5120 bytes/workgroup (compile time only)
; SGPRBlocks: 1
; VGPRBlocks: 2
; NumSGPRsForWavesPerEU: 12
; NumVGPRsForWavesPerEU: 18
; AccumOffset: 20
; Occupancy: 6
; WaveLimiterHint : 0
; COMPUTE_PGM_RSRC2:SCRATCH_EN: 0
; COMPUTE_PGM_RSRC2:USER_SGPR: 6
; COMPUTE_PGM_RSRC2:TRAP_HANDLER: 0
; COMPUTE_PGM_RSRC2:TGID_X_EN: 1
; COMPUTE_PGM_RSRC2:TGID_Y_EN: 0
; COMPUTE_PGM_RSRC2:TGID_Z_EN: 0
; COMPUTE_PGM_RSRC2:TIDIG_COMP_CNT: 0
; COMPUTE_PGM_RSRC3_GFX90A:ACCUM_OFFSET: 4
; COMPUTE_PGM_RSRC3_GFX90A:TG_SPLIT: 0
	.section	.text._ZN7rocprim17ROCPRIM_400000_NS6detail17trampoline_kernelINS0_14default_configENS1_20scan_config_selectorIjEEZZNS1_9scan_implILNS1_25lookback_scan_determinismE0ELb1ELb1ES3_N6thrust23THRUST_200600_302600_NS6detail15normal_iteratorINS9_10device_ptrIjEEEENS9_16discard_iteratorINS9_11use_defaultEEEjNS9_4plusIvEEjEEDaPvRmT3_T4_T5_mT6_P12ihipStream_tbENKUlT_T0_E_clISt17integral_constantIbLb0EESW_IbLb1EEEEDaSS_ST_EUlSS_E0_NS1_11comp_targetILNS1_3genE3ELNS1_11target_archE908ELNS1_3gpuE7ELNS1_3repE0EEENS1_30default_config_static_selectorELNS0_4arch9wavefront6targetE1EEEvT1_,"axG",@progbits,_ZN7rocprim17ROCPRIM_400000_NS6detail17trampoline_kernelINS0_14default_configENS1_20scan_config_selectorIjEEZZNS1_9scan_implILNS1_25lookback_scan_determinismE0ELb1ELb1ES3_N6thrust23THRUST_200600_302600_NS6detail15normal_iteratorINS9_10device_ptrIjEEEENS9_16discard_iteratorINS9_11use_defaultEEEjNS9_4plusIvEEjEEDaPvRmT3_T4_T5_mT6_P12ihipStream_tbENKUlT_T0_E_clISt17integral_constantIbLb0EESW_IbLb1EEEEDaSS_ST_EUlSS_E0_NS1_11comp_targetILNS1_3genE3ELNS1_11target_archE908ELNS1_3gpuE7ELNS1_3repE0EEENS1_30default_config_static_selectorELNS0_4arch9wavefront6targetE1EEEvT1_,comdat
	.protected	_ZN7rocprim17ROCPRIM_400000_NS6detail17trampoline_kernelINS0_14default_configENS1_20scan_config_selectorIjEEZZNS1_9scan_implILNS1_25lookback_scan_determinismE0ELb1ELb1ES3_N6thrust23THRUST_200600_302600_NS6detail15normal_iteratorINS9_10device_ptrIjEEEENS9_16discard_iteratorINS9_11use_defaultEEEjNS9_4plusIvEEjEEDaPvRmT3_T4_T5_mT6_P12ihipStream_tbENKUlT_T0_E_clISt17integral_constantIbLb0EESW_IbLb1EEEEDaSS_ST_EUlSS_E0_NS1_11comp_targetILNS1_3genE3ELNS1_11target_archE908ELNS1_3gpuE7ELNS1_3repE0EEENS1_30default_config_static_selectorELNS0_4arch9wavefront6targetE1EEEvT1_ ; -- Begin function _ZN7rocprim17ROCPRIM_400000_NS6detail17trampoline_kernelINS0_14default_configENS1_20scan_config_selectorIjEEZZNS1_9scan_implILNS1_25lookback_scan_determinismE0ELb1ELb1ES3_N6thrust23THRUST_200600_302600_NS6detail15normal_iteratorINS9_10device_ptrIjEEEENS9_16discard_iteratorINS9_11use_defaultEEEjNS9_4plusIvEEjEEDaPvRmT3_T4_T5_mT6_P12ihipStream_tbENKUlT_T0_E_clISt17integral_constantIbLb0EESW_IbLb1EEEEDaSS_ST_EUlSS_E0_NS1_11comp_targetILNS1_3genE3ELNS1_11target_archE908ELNS1_3gpuE7ELNS1_3repE0EEENS1_30default_config_static_selectorELNS0_4arch9wavefront6targetE1EEEvT1_
	.globl	_ZN7rocprim17ROCPRIM_400000_NS6detail17trampoline_kernelINS0_14default_configENS1_20scan_config_selectorIjEEZZNS1_9scan_implILNS1_25lookback_scan_determinismE0ELb1ELb1ES3_N6thrust23THRUST_200600_302600_NS6detail15normal_iteratorINS9_10device_ptrIjEEEENS9_16discard_iteratorINS9_11use_defaultEEEjNS9_4plusIvEEjEEDaPvRmT3_T4_T5_mT6_P12ihipStream_tbENKUlT_T0_E_clISt17integral_constantIbLb0EESW_IbLb1EEEEDaSS_ST_EUlSS_E0_NS1_11comp_targetILNS1_3genE3ELNS1_11target_archE908ELNS1_3gpuE7ELNS1_3repE0EEENS1_30default_config_static_selectorELNS0_4arch9wavefront6targetE1EEEvT1_
	.p2align	8
	.type	_ZN7rocprim17ROCPRIM_400000_NS6detail17trampoline_kernelINS0_14default_configENS1_20scan_config_selectorIjEEZZNS1_9scan_implILNS1_25lookback_scan_determinismE0ELb1ELb1ES3_N6thrust23THRUST_200600_302600_NS6detail15normal_iteratorINS9_10device_ptrIjEEEENS9_16discard_iteratorINS9_11use_defaultEEEjNS9_4plusIvEEjEEDaPvRmT3_T4_T5_mT6_P12ihipStream_tbENKUlT_T0_E_clISt17integral_constantIbLb0EESW_IbLb1EEEEDaSS_ST_EUlSS_E0_NS1_11comp_targetILNS1_3genE3ELNS1_11target_archE908ELNS1_3gpuE7ELNS1_3repE0EEENS1_30default_config_static_selectorELNS0_4arch9wavefront6targetE1EEEvT1_,@function
_ZN7rocprim17ROCPRIM_400000_NS6detail17trampoline_kernelINS0_14default_configENS1_20scan_config_selectorIjEEZZNS1_9scan_implILNS1_25lookback_scan_determinismE0ELb1ELb1ES3_N6thrust23THRUST_200600_302600_NS6detail15normal_iteratorINS9_10device_ptrIjEEEENS9_16discard_iteratorINS9_11use_defaultEEEjNS9_4plusIvEEjEEDaPvRmT3_T4_T5_mT6_P12ihipStream_tbENKUlT_T0_E_clISt17integral_constantIbLb0EESW_IbLb1EEEEDaSS_ST_EUlSS_E0_NS1_11comp_targetILNS1_3genE3ELNS1_11target_archE908ELNS1_3gpuE7ELNS1_3repE0EEENS1_30default_config_static_selectorELNS0_4arch9wavefront6targetE1EEEvT1_: ; @_ZN7rocprim17ROCPRIM_400000_NS6detail17trampoline_kernelINS0_14default_configENS1_20scan_config_selectorIjEEZZNS1_9scan_implILNS1_25lookback_scan_determinismE0ELb1ELb1ES3_N6thrust23THRUST_200600_302600_NS6detail15normal_iteratorINS9_10device_ptrIjEEEENS9_16discard_iteratorINS9_11use_defaultEEEjNS9_4plusIvEEjEEDaPvRmT3_T4_T5_mT6_P12ihipStream_tbENKUlT_T0_E_clISt17integral_constantIbLb0EESW_IbLb1EEEEDaSS_ST_EUlSS_E0_NS1_11comp_targetILNS1_3genE3ELNS1_11target_archE908ELNS1_3gpuE7ELNS1_3repE0EEENS1_30default_config_static_selectorELNS0_4arch9wavefront6targetE1EEEvT1_
; %bb.0:
	.section	.rodata,"a",@progbits
	.p2align	6, 0x0
	.amdhsa_kernel _ZN7rocprim17ROCPRIM_400000_NS6detail17trampoline_kernelINS0_14default_configENS1_20scan_config_selectorIjEEZZNS1_9scan_implILNS1_25lookback_scan_determinismE0ELb1ELb1ES3_N6thrust23THRUST_200600_302600_NS6detail15normal_iteratorINS9_10device_ptrIjEEEENS9_16discard_iteratorINS9_11use_defaultEEEjNS9_4plusIvEEjEEDaPvRmT3_T4_T5_mT6_P12ihipStream_tbENKUlT_T0_E_clISt17integral_constantIbLb0EESW_IbLb1EEEEDaSS_ST_EUlSS_E0_NS1_11comp_targetILNS1_3genE3ELNS1_11target_archE908ELNS1_3gpuE7ELNS1_3repE0EEENS1_30default_config_static_selectorELNS0_4arch9wavefront6targetE1EEEvT1_
		.amdhsa_group_segment_fixed_size 0
		.amdhsa_private_segment_fixed_size 0
		.amdhsa_kernarg_size 40
		.amdhsa_user_sgpr_count 6
		.amdhsa_user_sgpr_private_segment_buffer 1
		.amdhsa_user_sgpr_dispatch_ptr 0
		.amdhsa_user_sgpr_queue_ptr 0
		.amdhsa_user_sgpr_kernarg_segment_ptr 1
		.amdhsa_user_sgpr_dispatch_id 0
		.amdhsa_user_sgpr_flat_scratch_init 0
		.amdhsa_user_sgpr_kernarg_preload_length 0
		.amdhsa_user_sgpr_kernarg_preload_offset 0
		.amdhsa_user_sgpr_private_segment_size 0
		.amdhsa_uses_dynamic_stack 0
		.amdhsa_system_sgpr_private_segment_wavefront_offset 0
		.amdhsa_system_sgpr_workgroup_id_x 1
		.amdhsa_system_sgpr_workgroup_id_y 0
		.amdhsa_system_sgpr_workgroup_id_z 0
		.amdhsa_system_sgpr_workgroup_info 0
		.amdhsa_system_vgpr_workitem_id 0
		.amdhsa_next_free_vgpr 1
		.amdhsa_next_free_sgpr 0
		.amdhsa_accum_offset 4
		.amdhsa_reserve_vcc 0
		.amdhsa_reserve_flat_scratch 0
		.amdhsa_float_round_mode_32 0
		.amdhsa_float_round_mode_16_64 0
		.amdhsa_float_denorm_mode_32 3
		.amdhsa_float_denorm_mode_16_64 3
		.amdhsa_dx10_clamp 1
		.amdhsa_ieee_mode 1
		.amdhsa_fp16_overflow 0
		.amdhsa_tg_split 0
		.amdhsa_exception_fp_ieee_invalid_op 0
		.amdhsa_exception_fp_denorm_src 0
		.amdhsa_exception_fp_ieee_div_zero 0
		.amdhsa_exception_fp_ieee_overflow 0
		.amdhsa_exception_fp_ieee_underflow 0
		.amdhsa_exception_fp_ieee_inexact 0
		.amdhsa_exception_int_div_zero 0
	.end_amdhsa_kernel
	.section	.text._ZN7rocprim17ROCPRIM_400000_NS6detail17trampoline_kernelINS0_14default_configENS1_20scan_config_selectorIjEEZZNS1_9scan_implILNS1_25lookback_scan_determinismE0ELb1ELb1ES3_N6thrust23THRUST_200600_302600_NS6detail15normal_iteratorINS9_10device_ptrIjEEEENS9_16discard_iteratorINS9_11use_defaultEEEjNS9_4plusIvEEjEEDaPvRmT3_T4_T5_mT6_P12ihipStream_tbENKUlT_T0_E_clISt17integral_constantIbLb0EESW_IbLb1EEEEDaSS_ST_EUlSS_E0_NS1_11comp_targetILNS1_3genE3ELNS1_11target_archE908ELNS1_3gpuE7ELNS1_3repE0EEENS1_30default_config_static_selectorELNS0_4arch9wavefront6targetE1EEEvT1_,"axG",@progbits,_ZN7rocprim17ROCPRIM_400000_NS6detail17trampoline_kernelINS0_14default_configENS1_20scan_config_selectorIjEEZZNS1_9scan_implILNS1_25lookback_scan_determinismE0ELb1ELb1ES3_N6thrust23THRUST_200600_302600_NS6detail15normal_iteratorINS9_10device_ptrIjEEEENS9_16discard_iteratorINS9_11use_defaultEEEjNS9_4plusIvEEjEEDaPvRmT3_T4_T5_mT6_P12ihipStream_tbENKUlT_T0_E_clISt17integral_constantIbLb0EESW_IbLb1EEEEDaSS_ST_EUlSS_E0_NS1_11comp_targetILNS1_3genE3ELNS1_11target_archE908ELNS1_3gpuE7ELNS1_3repE0EEENS1_30default_config_static_selectorELNS0_4arch9wavefront6targetE1EEEvT1_,comdat
.Lfunc_end5432:
	.size	_ZN7rocprim17ROCPRIM_400000_NS6detail17trampoline_kernelINS0_14default_configENS1_20scan_config_selectorIjEEZZNS1_9scan_implILNS1_25lookback_scan_determinismE0ELb1ELb1ES3_N6thrust23THRUST_200600_302600_NS6detail15normal_iteratorINS9_10device_ptrIjEEEENS9_16discard_iteratorINS9_11use_defaultEEEjNS9_4plusIvEEjEEDaPvRmT3_T4_T5_mT6_P12ihipStream_tbENKUlT_T0_E_clISt17integral_constantIbLb0EESW_IbLb1EEEEDaSS_ST_EUlSS_E0_NS1_11comp_targetILNS1_3genE3ELNS1_11target_archE908ELNS1_3gpuE7ELNS1_3repE0EEENS1_30default_config_static_selectorELNS0_4arch9wavefront6targetE1EEEvT1_, .Lfunc_end5432-_ZN7rocprim17ROCPRIM_400000_NS6detail17trampoline_kernelINS0_14default_configENS1_20scan_config_selectorIjEEZZNS1_9scan_implILNS1_25lookback_scan_determinismE0ELb1ELb1ES3_N6thrust23THRUST_200600_302600_NS6detail15normal_iteratorINS9_10device_ptrIjEEEENS9_16discard_iteratorINS9_11use_defaultEEEjNS9_4plusIvEEjEEDaPvRmT3_T4_T5_mT6_P12ihipStream_tbENKUlT_T0_E_clISt17integral_constantIbLb0EESW_IbLb1EEEEDaSS_ST_EUlSS_E0_NS1_11comp_targetILNS1_3genE3ELNS1_11target_archE908ELNS1_3gpuE7ELNS1_3repE0EEENS1_30default_config_static_selectorELNS0_4arch9wavefront6targetE1EEEvT1_
                                        ; -- End function
	.section	.AMDGPU.csdata,"",@progbits
; Kernel info:
; codeLenInByte = 0
; NumSgprs: 4
; NumVgprs: 0
; NumAgprs: 0
; TotalNumVgprs: 0
; ScratchSize: 0
; MemoryBound: 0
; FloatMode: 240
; IeeeMode: 1
; LDSByteSize: 0 bytes/workgroup (compile time only)
; SGPRBlocks: 0
; VGPRBlocks: 0
; NumSGPRsForWavesPerEU: 4
; NumVGPRsForWavesPerEU: 1
; AccumOffset: 4
; Occupancy: 8
; WaveLimiterHint : 0
; COMPUTE_PGM_RSRC2:SCRATCH_EN: 0
; COMPUTE_PGM_RSRC2:USER_SGPR: 6
; COMPUTE_PGM_RSRC2:TRAP_HANDLER: 0
; COMPUTE_PGM_RSRC2:TGID_X_EN: 1
; COMPUTE_PGM_RSRC2:TGID_Y_EN: 0
; COMPUTE_PGM_RSRC2:TGID_Z_EN: 0
; COMPUTE_PGM_RSRC2:TIDIG_COMP_CNT: 0
; COMPUTE_PGM_RSRC3_GFX90A:ACCUM_OFFSET: 0
; COMPUTE_PGM_RSRC3_GFX90A:TG_SPLIT: 0
	.section	.text._ZN7rocprim17ROCPRIM_400000_NS6detail17trampoline_kernelINS0_14default_configENS1_20scan_config_selectorIjEEZZNS1_9scan_implILNS1_25lookback_scan_determinismE0ELb1ELb1ES3_N6thrust23THRUST_200600_302600_NS6detail15normal_iteratorINS9_10device_ptrIjEEEENS9_16discard_iteratorINS9_11use_defaultEEEjNS9_4plusIvEEjEEDaPvRmT3_T4_T5_mT6_P12ihipStream_tbENKUlT_T0_E_clISt17integral_constantIbLb0EESW_IbLb1EEEEDaSS_ST_EUlSS_E0_NS1_11comp_targetILNS1_3genE2ELNS1_11target_archE906ELNS1_3gpuE6ELNS1_3repE0EEENS1_30default_config_static_selectorELNS0_4arch9wavefront6targetE1EEEvT1_,"axG",@progbits,_ZN7rocprim17ROCPRIM_400000_NS6detail17trampoline_kernelINS0_14default_configENS1_20scan_config_selectorIjEEZZNS1_9scan_implILNS1_25lookback_scan_determinismE0ELb1ELb1ES3_N6thrust23THRUST_200600_302600_NS6detail15normal_iteratorINS9_10device_ptrIjEEEENS9_16discard_iteratorINS9_11use_defaultEEEjNS9_4plusIvEEjEEDaPvRmT3_T4_T5_mT6_P12ihipStream_tbENKUlT_T0_E_clISt17integral_constantIbLb0EESW_IbLb1EEEEDaSS_ST_EUlSS_E0_NS1_11comp_targetILNS1_3genE2ELNS1_11target_archE906ELNS1_3gpuE6ELNS1_3repE0EEENS1_30default_config_static_selectorELNS0_4arch9wavefront6targetE1EEEvT1_,comdat
	.protected	_ZN7rocprim17ROCPRIM_400000_NS6detail17trampoline_kernelINS0_14default_configENS1_20scan_config_selectorIjEEZZNS1_9scan_implILNS1_25lookback_scan_determinismE0ELb1ELb1ES3_N6thrust23THRUST_200600_302600_NS6detail15normal_iteratorINS9_10device_ptrIjEEEENS9_16discard_iteratorINS9_11use_defaultEEEjNS9_4plusIvEEjEEDaPvRmT3_T4_T5_mT6_P12ihipStream_tbENKUlT_T0_E_clISt17integral_constantIbLb0EESW_IbLb1EEEEDaSS_ST_EUlSS_E0_NS1_11comp_targetILNS1_3genE2ELNS1_11target_archE906ELNS1_3gpuE6ELNS1_3repE0EEENS1_30default_config_static_selectorELNS0_4arch9wavefront6targetE1EEEvT1_ ; -- Begin function _ZN7rocprim17ROCPRIM_400000_NS6detail17trampoline_kernelINS0_14default_configENS1_20scan_config_selectorIjEEZZNS1_9scan_implILNS1_25lookback_scan_determinismE0ELb1ELb1ES3_N6thrust23THRUST_200600_302600_NS6detail15normal_iteratorINS9_10device_ptrIjEEEENS9_16discard_iteratorINS9_11use_defaultEEEjNS9_4plusIvEEjEEDaPvRmT3_T4_T5_mT6_P12ihipStream_tbENKUlT_T0_E_clISt17integral_constantIbLb0EESW_IbLb1EEEEDaSS_ST_EUlSS_E0_NS1_11comp_targetILNS1_3genE2ELNS1_11target_archE906ELNS1_3gpuE6ELNS1_3repE0EEENS1_30default_config_static_selectorELNS0_4arch9wavefront6targetE1EEEvT1_
	.globl	_ZN7rocprim17ROCPRIM_400000_NS6detail17trampoline_kernelINS0_14default_configENS1_20scan_config_selectorIjEEZZNS1_9scan_implILNS1_25lookback_scan_determinismE0ELb1ELb1ES3_N6thrust23THRUST_200600_302600_NS6detail15normal_iteratorINS9_10device_ptrIjEEEENS9_16discard_iteratorINS9_11use_defaultEEEjNS9_4plusIvEEjEEDaPvRmT3_T4_T5_mT6_P12ihipStream_tbENKUlT_T0_E_clISt17integral_constantIbLb0EESW_IbLb1EEEEDaSS_ST_EUlSS_E0_NS1_11comp_targetILNS1_3genE2ELNS1_11target_archE906ELNS1_3gpuE6ELNS1_3repE0EEENS1_30default_config_static_selectorELNS0_4arch9wavefront6targetE1EEEvT1_
	.p2align	8
	.type	_ZN7rocprim17ROCPRIM_400000_NS6detail17trampoline_kernelINS0_14default_configENS1_20scan_config_selectorIjEEZZNS1_9scan_implILNS1_25lookback_scan_determinismE0ELb1ELb1ES3_N6thrust23THRUST_200600_302600_NS6detail15normal_iteratorINS9_10device_ptrIjEEEENS9_16discard_iteratorINS9_11use_defaultEEEjNS9_4plusIvEEjEEDaPvRmT3_T4_T5_mT6_P12ihipStream_tbENKUlT_T0_E_clISt17integral_constantIbLb0EESW_IbLb1EEEEDaSS_ST_EUlSS_E0_NS1_11comp_targetILNS1_3genE2ELNS1_11target_archE906ELNS1_3gpuE6ELNS1_3repE0EEENS1_30default_config_static_selectorELNS0_4arch9wavefront6targetE1EEEvT1_,@function
_ZN7rocprim17ROCPRIM_400000_NS6detail17trampoline_kernelINS0_14default_configENS1_20scan_config_selectorIjEEZZNS1_9scan_implILNS1_25lookback_scan_determinismE0ELb1ELb1ES3_N6thrust23THRUST_200600_302600_NS6detail15normal_iteratorINS9_10device_ptrIjEEEENS9_16discard_iteratorINS9_11use_defaultEEEjNS9_4plusIvEEjEEDaPvRmT3_T4_T5_mT6_P12ihipStream_tbENKUlT_T0_E_clISt17integral_constantIbLb0EESW_IbLb1EEEEDaSS_ST_EUlSS_E0_NS1_11comp_targetILNS1_3genE2ELNS1_11target_archE906ELNS1_3gpuE6ELNS1_3repE0EEENS1_30default_config_static_selectorELNS0_4arch9wavefront6targetE1EEEvT1_: ; @_ZN7rocprim17ROCPRIM_400000_NS6detail17trampoline_kernelINS0_14default_configENS1_20scan_config_selectorIjEEZZNS1_9scan_implILNS1_25lookback_scan_determinismE0ELb1ELb1ES3_N6thrust23THRUST_200600_302600_NS6detail15normal_iteratorINS9_10device_ptrIjEEEENS9_16discard_iteratorINS9_11use_defaultEEEjNS9_4plusIvEEjEEDaPvRmT3_T4_T5_mT6_P12ihipStream_tbENKUlT_T0_E_clISt17integral_constantIbLb0EESW_IbLb1EEEEDaSS_ST_EUlSS_E0_NS1_11comp_targetILNS1_3genE2ELNS1_11target_archE906ELNS1_3gpuE6ELNS1_3repE0EEENS1_30default_config_static_selectorELNS0_4arch9wavefront6targetE1EEEvT1_
; %bb.0:
	.section	.rodata,"a",@progbits
	.p2align	6, 0x0
	.amdhsa_kernel _ZN7rocprim17ROCPRIM_400000_NS6detail17trampoline_kernelINS0_14default_configENS1_20scan_config_selectorIjEEZZNS1_9scan_implILNS1_25lookback_scan_determinismE0ELb1ELb1ES3_N6thrust23THRUST_200600_302600_NS6detail15normal_iteratorINS9_10device_ptrIjEEEENS9_16discard_iteratorINS9_11use_defaultEEEjNS9_4plusIvEEjEEDaPvRmT3_T4_T5_mT6_P12ihipStream_tbENKUlT_T0_E_clISt17integral_constantIbLb0EESW_IbLb1EEEEDaSS_ST_EUlSS_E0_NS1_11comp_targetILNS1_3genE2ELNS1_11target_archE906ELNS1_3gpuE6ELNS1_3repE0EEENS1_30default_config_static_selectorELNS0_4arch9wavefront6targetE1EEEvT1_
		.amdhsa_group_segment_fixed_size 0
		.amdhsa_private_segment_fixed_size 0
		.amdhsa_kernarg_size 40
		.amdhsa_user_sgpr_count 6
		.amdhsa_user_sgpr_private_segment_buffer 1
		.amdhsa_user_sgpr_dispatch_ptr 0
		.amdhsa_user_sgpr_queue_ptr 0
		.amdhsa_user_sgpr_kernarg_segment_ptr 1
		.amdhsa_user_sgpr_dispatch_id 0
		.amdhsa_user_sgpr_flat_scratch_init 0
		.amdhsa_user_sgpr_kernarg_preload_length 0
		.amdhsa_user_sgpr_kernarg_preload_offset 0
		.amdhsa_user_sgpr_private_segment_size 0
		.amdhsa_uses_dynamic_stack 0
		.amdhsa_system_sgpr_private_segment_wavefront_offset 0
		.amdhsa_system_sgpr_workgroup_id_x 1
		.amdhsa_system_sgpr_workgroup_id_y 0
		.amdhsa_system_sgpr_workgroup_id_z 0
		.amdhsa_system_sgpr_workgroup_info 0
		.amdhsa_system_vgpr_workitem_id 0
		.amdhsa_next_free_vgpr 1
		.amdhsa_next_free_sgpr 0
		.amdhsa_accum_offset 4
		.amdhsa_reserve_vcc 0
		.amdhsa_reserve_flat_scratch 0
		.amdhsa_float_round_mode_32 0
		.amdhsa_float_round_mode_16_64 0
		.amdhsa_float_denorm_mode_32 3
		.amdhsa_float_denorm_mode_16_64 3
		.amdhsa_dx10_clamp 1
		.amdhsa_ieee_mode 1
		.amdhsa_fp16_overflow 0
		.amdhsa_tg_split 0
		.amdhsa_exception_fp_ieee_invalid_op 0
		.amdhsa_exception_fp_denorm_src 0
		.amdhsa_exception_fp_ieee_div_zero 0
		.amdhsa_exception_fp_ieee_overflow 0
		.amdhsa_exception_fp_ieee_underflow 0
		.amdhsa_exception_fp_ieee_inexact 0
		.amdhsa_exception_int_div_zero 0
	.end_amdhsa_kernel
	.section	.text._ZN7rocprim17ROCPRIM_400000_NS6detail17trampoline_kernelINS0_14default_configENS1_20scan_config_selectorIjEEZZNS1_9scan_implILNS1_25lookback_scan_determinismE0ELb1ELb1ES3_N6thrust23THRUST_200600_302600_NS6detail15normal_iteratorINS9_10device_ptrIjEEEENS9_16discard_iteratorINS9_11use_defaultEEEjNS9_4plusIvEEjEEDaPvRmT3_T4_T5_mT6_P12ihipStream_tbENKUlT_T0_E_clISt17integral_constantIbLb0EESW_IbLb1EEEEDaSS_ST_EUlSS_E0_NS1_11comp_targetILNS1_3genE2ELNS1_11target_archE906ELNS1_3gpuE6ELNS1_3repE0EEENS1_30default_config_static_selectorELNS0_4arch9wavefront6targetE1EEEvT1_,"axG",@progbits,_ZN7rocprim17ROCPRIM_400000_NS6detail17trampoline_kernelINS0_14default_configENS1_20scan_config_selectorIjEEZZNS1_9scan_implILNS1_25lookback_scan_determinismE0ELb1ELb1ES3_N6thrust23THRUST_200600_302600_NS6detail15normal_iteratorINS9_10device_ptrIjEEEENS9_16discard_iteratorINS9_11use_defaultEEEjNS9_4plusIvEEjEEDaPvRmT3_T4_T5_mT6_P12ihipStream_tbENKUlT_T0_E_clISt17integral_constantIbLb0EESW_IbLb1EEEEDaSS_ST_EUlSS_E0_NS1_11comp_targetILNS1_3genE2ELNS1_11target_archE906ELNS1_3gpuE6ELNS1_3repE0EEENS1_30default_config_static_selectorELNS0_4arch9wavefront6targetE1EEEvT1_,comdat
.Lfunc_end5433:
	.size	_ZN7rocprim17ROCPRIM_400000_NS6detail17trampoline_kernelINS0_14default_configENS1_20scan_config_selectorIjEEZZNS1_9scan_implILNS1_25lookback_scan_determinismE0ELb1ELb1ES3_N6thrust23THRUST_200600_302600_NS6detail15normal_iteratorINS9_10device_ptrIjEEEENS9_16discard_iteratorINS9_11use_defaultEEEjNS9_4plusIvEEjEEDaPvRmT3_T4_T5_mT6_P12ihipStream_tbENKUlT_T0_E_clISt17integral_constantIbLb0EESW_IbLb1EEEEDaSS_ST_EUlSS_E0_NS1_11comp_targetILNS1_3genE2ELNS1_11target_archE906ELNS1_3gpuE6ELNS1_3repE0EEENS1_30default_config_static_selectorELNS0_4arch9wavefront6targetE1EEEvT1_, .Lfunc_end5433-_ZN7rocprim17ROCPRIM_400000_NS6detail17trampoline_kernelINS0_14default_configENS1_20scan_config_selectorIjEEZZNS1_9scan_implILNS1_25lookback_scan_determinismE0ELb1ELb1ES3_N6thrust23THRUST_200600_302600_NS6detail15normal_iteratorINS9_10device_ptrIjEEEENS9_16discard_iteratorINS9_11use_defaultEEEjNS9_4plusIvEEjEEDaPvRmT3_T4_T5_mT6_P12ihipStream_tbENKUlT_T0_E_clISt17integral_constantIbLb0EESW_IbLb1EEEEDaSS_ST_EUlSS_E0_NS1_11comp_targetILNS1_3genE2ELNS1_11target_archE906ELNS1_3gpuE6ELNS1_3repE0EEENS1_30default_config_static_selectorELNS0_4arch9wavefront6targetE1EEEvT1_
                                        ; -- End function
	.section	.AMDGPU.csdata,"",@progbits
; Kernel info:
; codeLenInByte = 0
; NumSgprs: 4
; NumVgprs: 0
; NumAgprs: 0
; TotalNumVgprs: 0
; ScratchSize: 0
; MemoryBound: 0
; FloatMode: 240
; IeeeMode: 1
; LDSByteSize: 0 bytes/workgroup (compile time only)
; SGPRBlocks: 0
; VGPRBlocks: 0
; NumSGPRsForWavesPerEU: 4
; NumVGPRsForWavesPerEU: 1
; AccumOffset: 4
; Occupancy: 8
; WaveLimiterHint : 0
; COMPUTE_PGM_RSRC2:SCRATCH_EN: 0
; COMPUTE_PGM_RSRC2:USER_SGPR: 6
; COMPUTE_PGM_RSRC2:TRAP_HANDLER: 0
; COMPUTE_PGM_RSRC2:TGID_X_EN: 1
; COMPUTE_PGM_RSRC2:TGID_Y_EN: 0
; COMPUTE_PGM_RSRC2:TGID_Z_EN: 0
; COMPUTE_PGM_RSRC2:TIDIG_COMP_CNT: 0
; COMPUTE_PGM_RSRC3_GFX90A:ACCUM_OFFSET: 0
; COMPUTE_PGM_RSRC3_GFX90A:TG_SPLIT: 0
	.section	.text._ZN7rocprim17ROCPRIM_400000_NS6detail17trampoline_kernelINS0_14default_configENS1_20scan_config_selectorIjEEZZNS1_9scan_implILNS1_25lookback_scan_determinismE0ELb1ELb1ES3_N6thrust23THRUST_200600_302600_NS6detail15normal_iteratorINS9_10device_ptrIjEEEENS9_16discard_iteratorINS9_11use_defaultEEEjNS9_4plusIvEEjEEDaPvRmT3_T4_T5_mT6_P12ihipStream_tbENKUlT_T0_E_clISt17integral_constantIbLb0EESW_IbLb1EEEEDaSS_ST_EUlSS_E0_NS1_11comp_targetILNS1_3genE10ELNS1_11target_archE1201ELNS1_3gpuE5ELNS1_3repE0EEENS1_30default_config_static_selectorELNS0_4arch9wavefront6targetE1EEEvT1_,"axG",@progbits,_ZN7rocprim17ROCPRIM_400000_NS6detail17trampoline_kernelINS0_14default_configENS1_20scan_config_selectorIjEEZZNS1_9scan_implILNS1_25lookback_scan_determinismE0ELb1ELb1ES3_N6thrust23THRUST_200600_302600_NS6detail15normal_iteratorINS9_10device_ptrIjEEEENS9_16discard_iteratorINS9_11use_defaultEEEjNS9_4plusIvEEjEEDaPvRmT3_T4_T5_mT6_P12ihipStream_tbENKUlT_T0_E_clISt17integral_constantIbLb0EESW_IbLb1EEEEDaSS_ST_EUlSS_E0_NS1_11comp_targetILNS1_3genE10ELNS1_11target_archE1201ELNS1_3gpuE5ELNS1_3repE0EEENS1_30default_config_static_selectorELNS0_4arch9wavefront6targetE1EEEvT1_,comdat
	.protected	_ZN7rocprim17ROCPRIM_400000_NS6detail17trampoline_kernelINS0_14default_configENS1_20scan_config_selectorIjEEZZNS1_9scan_implILNS1_25lookback_scan_determinismE0ELb1ELb1ES3_N6thrust23THRUST_200600_302600_NS6detail15normal_iteratorINS9_10device_ptrIjEEEENS9_16discard_iteratorINS9_11use_defaultEEEjNS9_4plusIvEEjEEDaPvRmT3_T4_T5_mT6_P12ihipStream_tbENKUlT_T0_E_clISt17integral_constantIbLb0EESW_IbLb1EEEEDaSS_ST_EUlSS_E0_NS1_11comp_targetILNS1_3genE10ELNS1_11target_archE1201ELNS1_3gpuE5ELNS1_3repE0EEENS1_30default_config_static_selectorELNS0_4arch9wavefront6targetE1EEEvT1_ ; -- Begin function _ZN7rocprim17ROCPRIM_400000_NS6detail17trampoline_kernelINS0_14default_configENS1_20scan_config_selectorIjEEZZNS1_9scan_implILNS1_25lookback_scan_determinismE0ELb1ELb1ES3_N6thrust23THRUST_200600_302600_NS6detail15normal_iteratorINS9_10device_ptrIjEEEENS9_16discard_iteratorINS9_11use_defaultEEEjNS9_4plusIvEEjEEDaPvRmT3_T4_T5_mT6_P12ihipStream_tbENKUlT_T0_E_clISt17integral_constantIbLb0EESW_IbLb1EEEEDaSS_ST_EUlSS_E0_NS1_11comp_targetILNS1_3genE10ELNS1_11target_archE1201ELNS1_3gpuE5ELNS1_3repE0EEENS1_30default_config_static_selectorELNS0_4arch9wavefront6targetE1EEEvT1_
	.globl	_ZN7rocprim17ROCPRIM_400000_NS6detail17trampoline_kernelINS0_14default_configENS1_20scan_config_selectorIjEEZZNS1_9scan_implILNS1_25lookback_scan_determinismE0ELb1ELb1ES3_N6thrust23THRUST_200600_302600_NS6detail15normal_iteratorINS9_10device_ptrIjEEEENS9_16discard_iteratorINS9_11use_defaultEEEjNS9_4plusIvEEjEEDaPvRmT3_T4_T5_mT6_P12ihipStream_tbENKUlT_T0_E_clISt17integral_constantIbLb0EESW_IbLb1EEEEDaSS_ST_EUlSS_E0_NS1_11comp_targetILNS1_3genE10ELNS1_11target_archE1201ELNS1_3gpuE5ELNS1_3repE0EEENS1_30default_config_static_selectorELNS0_4arch9wavefront6targetE1EEEvT1_
	.p2align	8
	.type	_ZN7rocprim17ROCPRIM_400000_NS6detail17trampoline_kernelINS0_14default_configENS1_20scan_config_selectorIjEEZZNS1_9scan_implILNS1_25lookback_scan_determinismE0ELb1ELb1ES3_N6thrust23THRUST_200600_302600_NS6detail15normal_iteratorINS9_10device_ptrIjEEEENS9_16discard_iteratorINS9_11use_defaultEEEjNS9_4plusIvEEjEEDaPvRmT3_T4_T5_mT6_P12ihipStream_tbENKUlT_T0_E_clISt17integral_constantIbLb0EESW_IbLb1EEEEDaSS_ST_EUlSS_E0_NS1_11comp_targetILNS1_3genE10ELNS1_11target_archE1201ELNS1_3gpuE5ELNS1_3repE0EEENS1_30default_config_static_selectorELNS0_4arch9wavefront6targetE1EEEvT1_,@function
_ZN7rocprim17ROCPRIM_400000_NS6detail17trampoline_kernelINS0_14default_configENS1_20scan_config_selectorIjEEZZNS1_9scan_implILNS1_25lookback_scan_determinismE0ELb1ELb1ES3_N6thrust23THRUST_200600_302600_NS6detail15normal_iteratorINS9_10device_ptrIjEEEENS9_16discard_iteratorINS9_11use_defaultEEEjNS9_4plusIvEEjEEDaPvRmT3_T4_T5_mT6_P12ihipStream_tbENKUlT_T0_E_clISt17integral_constantIbLb0EESW_IbLb1EEEEDaSS_ST_EUlSS_E0_NS1_11comp_targetILNS1_3genE10ELNS1_11target_archE1201ELNS1_3gpuE5ELNS1_3repE0EEENS1_30default_config_static_selectorELNS0_4arch9wavefront6targetE1EEEvT1_: ; @_ZN7rocprim17ROCPRIM_400000_NS6detail17trampoline_kernelINS0_14default_configENS1_20scan_config_selectorIjEEZZNS1_9scan_implILNS1_25lookback_scan_determinismE0ELb1ELb1ES3_N6thrust23THRUST_200600_302600_NS6detail15normal_iteratorINS9_10device_ptrIjEEEENS9_16discard_iteratorINS9_11use_defaultEEEjNS9_4plusIvEEjEEDaPvRmT3_T4_T5_mT6_P12ihipStream_tbENKUlT_T0_E_clISt17integral_constantIbLb0EESW_IbLb1EEEEDaSS_ST_EUlSS_E0_NS1_11comp_targetILNS1_3genE10ELNS1_11target_archE1201ELNS1_3gpuE5ELNS1_3repE0EEENS1_30default_config_static_selectorELNS0_4arch9wavefront6targetE1EEEvT1_
; %bb.0:
	.section	.rodata,"a",@progbits
	.p2align	6, 0x0
	.amdhsa_kernel _ZN7rocprim17ROCPRIM_400000_NS6detail17trampoline_kernelINS0_14default_configENS1_20scan_config_selectorIjEEZZNS1_9scan_implILNS1_25lookback_scan_determinismE0ELb1ELb1ES3_N6thrust23THRUST_200600_302600_NS6detail15normal_iteratorINS9_10device_ptrIjEEEENS9_16discard_iteratorINS9_11use_defaultEEEjNS9_4plusIvEEjEEDaPvRmT3_T4_T5_mT6_P12ihipStream_tbENKUlT_T0_E_clISt17integral_constantIbLb0EESW_IbLb1EEEEDaSS_ST_EUlSS_E0_NS1_11comp_targetILNS1_3genE10ELNS1_11target_archE1201ELNS1_3gpuE5ELNS1_3repE0EEENS1_30default_config_static_selectorELNS0_4arch9wavefront6targetE1EEEvT1_
		.amdhsa_group_segment_fixed_size 0
		.amdhsa_private_segment_fixed_size 0
		.amdhsa_kernarg_size 40
		.amdhsa_user_sgpr_count 6
		.amdhsa_user_sgpr_private_segment_buffer 1
		.amdhsa_user_sgpr_dispatch_ptr 0
		.amdhsa_user_sgpr_queue_ptr 0
		.amdhsa_user_sgpr_kernarg_segment_ptr 1
		.amdhsa_user_sgpr_dispatch_id 0
		.amdhsa_user_sgpr_flat_scratch_init 0
		.amdhsa_user_sgpr_kernarg_preload_length 0
		.amdhsa_user_sgpr_kernarg_preload_offset 0
		.amdhsa_user_sgpr_private_segment_size 0
		.amdhsa_uses_dynamic_stack 0
		.amdhsa_system_sgpr_private_segment_wavefront_offset 0
		.amdhsa_system_sgpr_workgroup_id_x 1
		.amdhsa_system_sgpr_workgroup_id_y 0
		.amdhsa_system_sgpr_workgroup_id_z 0
		.amdhsa_system_sgpr_workgroup_info 0
		.amdhsa_system_vgpr_workitem_id 0
		.amdhsa_next_free_vgpr 1
		.amdhsa_next_free_sgpr 0
		.amdhsa_accum_offset 4
		.amdhsa_reserve_vcc 0
		.amdhsa_reserve_flat_scratch 0
		.amdhsa_float_round_mode_32 0
		.amdhsa_float_round_mode_16_64 0
		.amdhsa_float_denorm_mode_32 3
		.amdhsa_float_denorm_mode_16_64 3
		.amdhsa_dx10_clamp 1
		.amdhsa_ieee_mode 1
		.amdhsa_fp16_overflow 0
		.amdhsa_tg_split 0
		.amdhsa_exception_fp_ieee_invalid_op 0
		.amdhsa_exception_fp_denorm_src 0
		.amdhsa_exception_fp_ieee_div_zero 0
		.amdhsa_exception_fp_ieee_overflow 0
		.amdhsa_exception_fp_ieee_underflow 0
		.amdhsa_exception_fp_ieee_inexact 0
		.amdhsa_exception_int_div_zero 0
	.end_amdhsa_kernel
	.section	.text._ZN7rocprim17ROCPRIM_400000_NS6detail17trampoline_kernelINS0_14default_configENS1_20scan_config_selectorIjEEZZNS1_9scan_implILNS1_25lookback_scan_determinismE0ELb1ELb1ES3_N6thrust23THRUST_200600_302600_NS6detail15normal_iteratorINS9_10device_ptrIjEEEENS9_16discard_iteratorINS9_11use_defaultEEEjNS9_4plusIvEEjEEDaPvRmT3_T4_T5_mT6_P12ihipStream_tbENKUlT_T0_E_clISt17integral_constantIbLb0EESW_IbLb1EEEEDaSS_ST_EUlSS_E0_NS1_11comp_targetILNS1_3genE10ELNS1_11target_archE1201ELNS1_3gpuE5ELNS1_3repE0EEENS1_30default_config_static_selectorELNS0_4arch9wavefront6targetE1EEEvT1_,"axG",@progbits,_ZN7rocprim17ROCPRIM_400000_NS6detail17trampoline_kernelINS0_14default_configENS1_20scan_config_selectorIjEEZZNS1_9scan_implILNS1_25lookback_scan_determinismE0ELb1ELb1ES3_N6thrust23THRUST_200600_302600_NS6detail15normal_iteratorINS9_10device_ptrIjEEEENS9_16discard_iteratorINS9_11use_defaultEEEjNS9_4plusIvEEjEEDaPvRmT3_T4_T5_mT6_P12ihipStream_tbENKUlT_T0_E_clISt17integral_constantIbLb0EESW_IbLb1EEEEDaSS_ST_EUlSS_E0_NS1_11comp_targetILNS1_3genE10ELNS1_11target_archE1201ELNS1_3gpuE5ELNS1_3repE0EEENS1_30default_config_static_selectorELNS0_4arch9wavefront6targetE1EEEvT1_,comdat
.Lfunc_end5434:
	.size	_ZN7rocprim17ROCPRIM_400000_NS6detail17trampoline_kernelINS0_14default_configENS1_20scan_config_selectorIjEEZZNS1_9scan_implILNS1_25lookback_scan_determinismE0ELb1ELb1ES3_N6thrust23THRUST_200600_302600_NS6detail15normal_iteratorINS9_10device_ptrIjEEEENS9_16discard_iteratorINS9_11use_defaultEEEjNS9_4plusIvEEjEEDaPvRmT3_T4_T5_mT6_P12ihipStream_tbENKUlT_T0_E_clISt17integral_constantIbLb0EESW_IbLb1EEEEDaSS_ST_EUlSS_E0_NS1_11comp_targetILNS1_3genE10ELNS1_11target_archE1201ELNS1_3gpuE5ELNS1_3repE0EEENS1_30default_config_static_selectorELNS0_4arch9wavefront6targetE1EEEvT1_, .Lfunc_end5434-_ZN7rocprim17ROCPRIM_400000_NS6detail17trampoline_kernelINS0_14default_configENS1_20scan_config_selectorIjEEZZNS1_9scan_implILNS1_25lookback_scan_determinismE0ELb1ELb1ES3_N6thrust23THRUST_200600_302600_NS6detail15normal_iteratorINS9_10device_ptrIjEEEENS9_16discard_iteratorINS9_11use_defaultEEEjNS9_4plusIvEEjEEDaPvRmT3_T4_T5_mT6_P12ihipStream_tbENKUlT_T0_E_clISt17integral_constantIbLb0EESW_IbLb1EEEEDaSS_ST_EUlSS_E0_NS1_11comp_targetILNS1_3genE10ELNS1_11target_archE1201ELNS1_3gpuE5ELNS1_3repE0EEENS1_30default_config_static_selectorELNS0_4arch9wavefront6targetE1EEEvT1_
                                        ; -- End function
	.section	.AMDGPU.csdata,"",@progbits
; Kernel info:
; codeLenInByte = 0
; NumSgprs: 4
; NumVgprs: 0
; NumAgprs: 0
; TotalNumVgprs: 0
; ScratchSize: 0
; MemoryBound: 0
; FloatMode: 240
; IeeeMode: 1
; LDSByteSize: 0 bytes/workgroup (compile time only)
; SGPRBlocks: 0
; VGPRBlocks: 0
; NumSGPRsForWavesPerEU: 4
; NumVGPRsForWavesPerEU: 1
; AccumOffset: 4
; Occupancy: 8
; WaveLimiterHint : 0
; COMPUTE_PGM_RSRC2:SCRATCH_EN: 0
; COMPUTE_PGM_RSRC2:USER_SGPR: 6
; COMPUTE_PGM_RSRC2:TRAP_HANDLER: 0
; COMPUTE_PGM_RSRC2:TGID_X_EN: 1
; COMPUTE_PGM_RSRC2:TGID_Y_EN: 0
; COMPUTE_PGM_RSRC2:TGID_Z_EN: 0
; COMPUTE_PGM_RSRC2:TIDIG_COMP_CNT: 0
; COMPUTE_PGM_RSRC3_GFX90A:ACCUM_OFFSET: 0
; COMPUTE_PGM_RSRC3_GFX90A:TG_SPLIT: 0
	.section	.text._ZN7rocprim17ROCPRIM_400000_NS6detail17trampoline_kernelINS0_14default_configENS1_20scan_config_selectorIjEEZZNS1_9scan_implILNS1_25lookback_scan_determinismE0ELb1ELb1ES3_N6thrust23THRUST_200600_302600_NS6detail15normal_iteratorINS9_10device_ptrIjEEEENS9_16discard_iteratorINS9_11use_defaultEEEjNS9_4plusIvEEjEEDaPvRmT3_T4_T5_mT6_P12ihipStream_tbENKUlT_T0_E_clISt17integral_constantIbLb0EESW_IbLb1EEEEDaSS_ST_EUlSS_E0_NS1_11comp_targetILNS1_3genE10ELNS1_11target_archE1200ELNS1_3gpuE4ELNS1_3repE0EEENS1_30default_config_static_selectorELNS0_4arch9wavefront6targetE1EEEvT1_,"axG",@progbits,_ZN7rocprim17ROCPRIM_400000_NS6detail17trampoline_kernelINS0_14default_configENS1_20scan_config_selectorIjEEZZNS1_9scan_implILNS1_25lookback_scan_determinismE0ELb1ELb1ES3_N6thrust23THRUST_200600_302600_NS6detail15normal_iteratorINS9_10device_ptrIjEEEENS9_16discard_iteratorINS9_11use_defaultEEEjNS9_4plusIvEEjEEDaPvRmT3_T4_T5_mT6_P12ihipStream_tbENKUlT_T0_E_clISt17integral_constantIbLb0EESW_IbLb1EEEEDaSS_ST_EUlSS_E0_NS1_11comp_targetILNS1_3genE10ELNS1_11target_archE1200ELNS1_3gpuE4ELNS1_3repE0EEENS1_30default_config_static_selectorELNS0_4arch9wavefront6targetE1EEEvT1_,comdat
	.protected	_ZN7rocprim17ROCPRIM_400000_NS6detail17trampoline_kernelINS0_14default_configENS1_20scan_config_selectorIjEEZZNS1_9scan_implILNS1_25lookback_scan_determinismE0ELb1ELb1ES3_N6thrust23THRUST_200600_302600_NS6detail15normal_iteratorINS9_10device_ptrIjEEEENS9_16discard_iteratorINS9_11use_defaultEEEjNS9_4plusIvEEjEEDaPvRmT3_T4_T5_mT6_P12ihipStream_tbENKUlT_T0_E_clISt17integral_constantIbLb0EESW_IbLb1EEEEDaSS_ST_EUlSS_E0_NS1_11comp_targetILNS1_3genE10ELNS1_11target_archE1200ELNS1_3gpuE4ELNS1_3repE0EEENS1_30default_config_static_selectorELNS0_4arch9wavefront6targetE1EEEvT1_ ; -- Begin function _ZN7rocprim17ROCPRIM_400000_NS6detail17trampoline_kernelINS0_14default_configENS1_20scan_config_selectorIjEEZZNS1_9scan_implILNS1_25lookback_scan_determinismE0ELb1ELb1ES3_N6thrust23THRUST_200600_302600_NS6detail15normal_iteratorINS9_10device_ptrIjEEEENS9_16discard_iteratorINS9_11use_defaultEEEjNS9_4plusIvEEjEEDaPvRmT3_T4_T5_mT6_P12ihipStream_tbENKUlT_T0_E_clISt17integral_constantIbLb0EESW_IbLb1EEEEDaSS_ST_EUlSS_E0_NS1_11comp_targetILNS1_3genE10ELNS1_11target_archE1200ELNS1_3gpuE4ELNS1_3repE0EEENS1_30default_config_static_selectorELNS0_4arch9wavefront6targetE1EEEvT1_
	.globl	_ZN7rocprim17ROCPRIM_400000_NS6detail17trampoline_kernelINS0_14default_configENS1_20scan_config_selectorIjEEZZNS1_9scan_implILNS1_25lookback_scan_determinismE0ELb1ELb1ES3_N6thrust23THRUST_200600_302600_NS6detail15normal_iteratorINS9_10device_ptrIjEEEENS9_16discard_iteratorINS9_11use_defaultEEEjNS9_4plusIvEEjEEDaPvRmT3_T4_T5_mT6_P12ihipStream_tbENKUlT_T0_E_clISt17integral_constantIbLb0EESW_IbLb1EEEEDaSS_ST_EUlSS_E0_NS1_11comp_targetILNS1_3genE10ELNS1_11target_archE1200ELNS1_3gpuE4ELNS1_3repE0EEENS1_30default_config_static_selectorELNS0_4arch9wavefront6targetE1EEEvT1_
	.p2align	8
	.type	_ZN7rocprim17ROCPRIM_400000_NS6detail17trampoline_kernelINS0_14default_configENS1_20scan_config_selectorIjEEZZNS1_9scan_implILNS1_25lookback_scan_determinismE0ELb1ELb1ES3_N6thrust23THRUST_200600_302600_NS6detail15normal_iteratorINS9_10device_ptrIjEEEENS9_16discard_iteratorINS9_11use_defaultEEEjNS9_4plusIvEEjEEDaPvRmT3_T4_T5_mT6_P12ihipStream_tbENKUlT_T0_E_clISt17integral_constantIbLb0EESW_IbLb1EEEEDaSS_ST_EUlSS_E0_NS1_11comp_targetILNS1_3genE10ELNS1_11target_archE1200ELNS1_3gpuE4ELNS1_3repE0EEENS1_30default_config_static_selectorELNS0_4arch9wavefront6targetE1EEEvT1_,@function
_ZN7rocprim17ROCPRIM_400000_NS6detail17trampoline_kernelINS0_14default_configENS1_20scan_config_selectorIjEEZZNS1_9scan_implILNS1_25lookback_scan_determinismE0ELb1ELb1ES3_N6thrust23THRUST_200600_302600_NS6detail15normal_iteratorINS9_10device_ptrIjEEEENS9_16discard_iteratorINS9_11use_defaultEEEjNS9_4plusIvEEjEEDaPvRmT3_T4_T5_mT6_P12ihipStream_tbENKUlT_T0_E_clISt17integral_constantIbLb0EESW_IbLb1EEEEDaSS_ST_EUlSS_E0_NS1_11comp_targetILNS1_3genE10ELNS1_11target_archE1200ELNS1_3gpuE4ELNS1_3repE0EEENS1_30default_config_static_selectorELNS0_4arch9wavefront6targetE1EEEvT1_: ; @_ZN7rocprim17ROCPRIM_400000_NS6detail17trampoline_kernelINS0_14default_configENS1_20scan_config_selectorIjEEZZNS1_9scan_implILNS1_25lookback_scan_determinismE0ELb1ELb1ES3_N6thrust23THRUST_200600_302600_NS6detail15normal_iteratorINS9_10device_ptrIjEEEENS9_16discard_iteratorINS9_11use_defaultEEEjNS9_4plusIvEEjEEDaPvRmT3_T4_T5_mT6_P12ihipStream_tbENKUlT_T0_E_clISt17integral_constantIbLb0EESW_IbLb1EEEEDaSS_ST_EUlSS_E0_NS1_11comp_targetILNS1_3genE10ELNS1_11target_archE1200ELNS1_3gpuE4ELNS1_3repE0EEENS1_30default_config_static_selectorELNS0_4arch9wavefront6targetE1EEEvT1_
; %bb.0:
	.section	.rodata,"a",@progbits
	.p2align	6, 0x0
	.amdhsa_kernel _ZN7rocprim17ROCPRIM_400000_NS6detail17trampoline_kernelINS0_14default_configENS1_20scan_config_selectorIjEEZZNS1_9scan_implILNS1_25lookback_scan_determinismE0ELb1ELb1ES3_N6thrust23THRUST_200600_302600_NS6detail15normal_iteratorINS9_10device_ptrIjEEEENS9_16discard_iteratorINS9_11use_defaultEEEjNS9_4plusIvEEjEEDaPvRmT3_T4_T5_mT6_P12ihipStream_tbENKUlT_T0_E_clISt17integral_constantIbLb0EESW_IbLb1EEEEDaSS_ST_EUlSS_E0_NS1_11comp_targetILNS1_3genE10ELNS1_11target_archE1200ELNS1_3gpuE4ELNS1_3repE0EEENS1_30default_config_static_selectorELNS0_4arch9wavefront6targetE1EEEvT1_
		.amdhsa_group_segment_fixed_size 0
		.amdhsa_private_segment_fixed_size 0
		.amdhsa_kernarg_size 40
		.amdhsa_user_sgpr_count 6
		.amdhsa_user_sgpr_private_segment_buffer 1
		.amdhsa_user_sgpr_dispatch_ptr 0
		.amdhsa_user_sgpr_queue_ptr 0
		.amdhsa_user_sgpr_kernarg_segment_ptr 1
		.amdhsa_user_sgpr_dispatch_id 0
		.amdhsa_user_sgpr_flat_scratch_init 0
		.amdhsa_user_sgpr_kernarg_preload_length 0
		.amdhsa_user_sgpr_kernarg_preload_offset 0
		.amdhsa_user_sgpr_private_segment_size 0
		.amdhsa_uses_dynamic_stack 0
		.amdhsa_system_sgpr_private_segment_wavefront_offset 0
		.amdhsa_system_sgpr_workgroup_id_x 1
		.amdhsa_system_sgpr_workgroup_id_y 0
		.amdhsa_system_sgpr_workgroup_id_z 0
		.amdhsa_system_sgpr_workgroup_info 0
		.amdhsa_system_vgpr_workitem_id 0
		.amdhsa_next_free_vgpr 1
		.amdhsa_next_free_sgpr 0
		.amdhsa_accum_offset 4
		.amdhsa_reserve_vcc 0
		.amdhsa_reserve_flat_scratch 0
		.amdhsa_float_round_mode_32 0
		.amdhsa_float_round_mode_16_64 0
		.amdhsa_float_denorm_mode_32 3
		.amdhsa_float_denorm_mode_16_64 3
		.amdhsa_dx10_clamp 1
		.amdhsa_ieee_mode 1
		.amdhsa_fp16_overflow 0
		.amdhsa_tg_split 0
		.amdhsa_exception_fp_ieee_invalid_op 0
		.amdhsa_exception_fp_denorm_src 0
		.amdhsa_exception_fp_ieee_div_zero 0
		.amdhsa_exception_fp_ieee_overflow 0
		.amdhsa_exception_fp_ieee_underflow 0
		.amdhsa_exception_fp_ieee_inexact 0
		.amdhsa_exception_int_div_zero 0
	.end_amdhsa_kernel
	.section	.text._ZN7rocprim17ROCPRIM_400000_NS6detail17trampoline_kernelINS0_14default_configENS1_20scan_config_selectorIjEEZZNS1_9scan_implILNS1_25lookback_scan_determinismE0ELb1ELb1ES3_N6thrust23THRUST_200600_302600_NS6detail15normal_iteratorINS9_10device_ptrIjEEEENS9_16discard_iteratorINS9_11use_defaultEEEjNS9_4plusIvEEjEEDaPvRmT3_T4_T5_mT6_P12ihipStream_tbENKUlT_T0_E_clISt17integral_constantIbLb0EESW_IbLb1EEEEDaSS_ST_EUlSS_E0_NS1_11comp_targetILNS1_3genE10ELNS1_11target_archE1200ELNS1_3gpuE4ELNS1_3repE0EEENS1_30default_config_static_selectorELNS0_4arch9wavefront6targetE1EEEvT1_,"axG",@progbits,_ZN7rocprim17ROCPRIM_400000_NS6detail17trampoline_kernelINS0_14default_configENS1_20scan_config_selectorIjEEZZNS1_9scan_implILNS1_25lookback_scan_determinismE0ELb1ELb1ES3_N6thrust23THRUST_200600_302600_NS6detail15normal_iteratorINS9_10device_ptrIjEEEENS9_16discard_iteratorINS9_11use_defaultEEEjNS9_4plusIvEEjEEDaPvRmT3_T4_T5_mT6_P12ihipStream_tbENKUlT_T0_E_clISt17integral_constantIbLb0EESW_IbLb1EEEEDaSS_ST_EUlSS_E0_NS1_11comp_targetILNS1_3genE10ELNS1_11target_archE1200ELNS1_3gpuE4ELNS1_3repE0EEENS1_30default_config_static_selectorELNS0_4arch9wavefront6targetE1EEEvT1_,comdat
.Lfunc_end5435:
	.size	_ZN7rocprim17ROCPRIM_400000_NS6detail17trampoline_kernelINS0_14default_configENS1_20scan_config_selectorIjEEZZNS1_9scan_implILNS1_25lookback_scan_determinismE0ELb1ELb1ES3_N6thrust23THRUST_200600_302600_NS6detail15normal_iteratorINS9_10device_ptrIjEEEENS9_16discard_iteratorINS9_11use_defaultEEEjNS9_4plusIvEEjEEDaPvRmT3_T4_T5_mT6_P12ihipStream_tbENKUlT_T0_E_clISt17integral_constantIbLb0EESW_IbLb1EEEEDaSS_ST_EUlSS_E0_NS1_11comp_targetILNS1_3genE10ELNS1_11target_archE1200ELNS1_3gpuE4ELNS1_3repE0EEENS1_30default_config_static_selectorELNS0_4arch9wavefront6targetE1EEEvT1_, .Lfunc_end5435-_ZN7rocprim17ROCPRIM_400000_NS6detail17trampoline_kernelINS0_14default_configENS1_20scan_config_selectorIjEEZZNS1_9scan_implILNS1_25lookback_scan_determinismE0ELb1ELb1ES3_N6thrust23THRUST_200600_302600_NS6detail15normal_iteratorINS9_10device_ptrIjEEEENS9_16discard_iteratorINS9_11use_defaultEEEjNS9_4plusIvEEjEEDaPvRmT3_T4_T5_mT6_P12ihipStream_tbENKUlT_T0_E_clISt17integral_constantIbLb0EESW_IbLb1EEEEDaSS_ST_EUlSS_E0_NS1_11comp_targetILNS1_3genE10ELNS1_11target_archE1200ELNS1_3gpuE4ELNS1_3repE0EEENS1_30default_config_static_selectorELNS0_4arch9wavefront6targetE1EEEvT1_
                                        ; -- End function
	.section	.AMDGPU.csdata,"",@progbits
; Kernel info:
; codeLenInByte = 0
; NumSgprs: 4
; NumVgprs: 0
; NumAgprs: 0
; TotalNumVgprs: 0
; ScratchSize: 0
; MemoryBound: 0
; FloatMode: 240
; IeeeMode: 1
; LDSByteSize: 0 bytes/workgroup (compile time only)
; SGPRBlocks: 0
; VGPRBlocks: 0
; NumSGPRsForWavesPerEU: 4
; NumVGPRsForWavesPerEU: 1
; AccumOffset: 4
; Occupancy: 8
; WaveLimiterHint : 0
; COMPUTE_PGM_RSRC2:SCRATCH_EN: 0
; COMPUTE_PGM_RSRC2:USER_SGPR: 6
; COMPUTE_PGM_RSRC2:TRAP_HANDLER: 0
; COMPUTE_PGM_RSRC2:TGID_X_EN: 1
; COMPUTE_PGM_RSRC2:TGID_Y_EN: 0
; COMPUTE_PGM_RSRC2:TGID_Z_EN: 0
; COMPUTE_PGM_RSRC2:TIDIG_COMP_CNT: 0
; COMPUTE_PGM_RSRC3_GFX90A:ACCUM_OFFSET: 0
; COMPUTE_PGM_RSRC3_GFX90A:TG_SPLIT: 0
	.section	.text._ZN7rocprim17ROCPRIM_400000_NS6detail17trampoline_kernelINS0_14default_configENS1_20scan_config_selectorIjEEZZNS1_9scan_implILNS1_25lookback_scan_determinismE0ELb1ELb1ES3_N6thrust23THRUST_200600_302600_NS6detail15normal_iteratorINS9_10device_ptrIjEEEENS9_16discard_iteratorINS9_11use_defaultEEEjNS9_4plusIvEEjEEDaPvRmT3_T4_T5_mT6_P12ihipStream_tbENKUlT_T0_E_clISt17integral_constantIbLb0EESW_IbLb1EEEEDaSS_ST_EUlSS_E0_NS1_11comp_targetILNS1_3genE9ELNS1_11target_archE1100ELNS1_3gpuE3ELNS1_3repE0EEENS1_30default_config_static_selectorELNS0_4arch9wavefront6targetE1EEEvT1_,"axG",@progbits,_ZN7rocprim17ROCPRIM_400000_NS6detail17trampoline_kernelINS0_14default_configENS1_20scan_config_selectorIjEEZZNS1_9scan_implILNS1_25lookback_scan_determinismE0ELb1ELb1ES3_N6thrust23THRUST_200600_302600_NS6detail15normal_iteratorINS9_10device_ptrIjEEEENS9_16discard_iteratorINS9_11use_defaultEEEjNS9_4plusIvEEjEEDaPvRmT3_T4_T5_mT6_P12ihipStream_tbENKUlT_T0_E_clISt17integral_constantIbLb0EESW_IbLb1EEEEDaSS_ST_EUlSS_E0_NS1_11comp_targetILNS1_3genE9ELNS1_11target_archE1100ELNS1_3gpuE3ELNS1_3repE0EEENS1_30default_config_static_selectorELNS0_4arch9wavefront6targetE1EEEvT1_,comdat
	.protected	_ZN7rocprim17ROCPRIM_400000_NS6detail17trampoline_kernelINS0_14default_configENS1_20scan_config_selectorIjEEZZNS1_9scan_implILNS1_25lookback_scan_determinismE0ELb1ELb1ES3_N6thrust23THRUST_200600_302600_NS6detail15normal_iteratorINS9_10device_ptrIjEEEENS9_16discard_iteratorINS9_11use_defaultEEEjNS9_4plusIvEEjEEDaPvRmT3_T4_T5_mT6_P12ihipStream_tbENKUlT_T0_E_clISt17integral_constantIbLb0EESW_IbLb1EEEEDaSS_ST_EUlSS_E0_NS1_11comp_targetILNS1_3genE9ELNS1_11target_archE1100ELNS1_3gpuE3ELNS1_3repE0EEENS1_30default_config_static_selectorELNS0_4arch9wavefront6targetE1EEEvT1_ ; -- Begin function _ZN7rocprim17ROCPRIM_400000_NS6detail17trampoline_kernelINS0_14default_configENS1_20scan_config_selectorIjEEZZNS1_9scan_implILNS1_25lookback_scan_determinismE0ELb1ELb1ES3_N6thrust23THRUST_200600_302600_NS6detail15normal_iteratorINS9_10device_ptrIjEEEENS9_16discard_iteratorINS9_11use_defaultEEEjNS9_4plusIvEEjEEDaPvRmT3_T4_T5_mT6_P12ihipStream_tbENKUlT_T0_E_clISt17integral_constantIbLb0EESW_IbLb1EEEEDaSS_ST_EUlSS_E0_NS1_11comp_targetILNS1_3genE9ELNS1_11target_archE1100ELNS1_3gpuE3ELNS1_3repE0EEENS1_30default_config_static_selectorELNS0_4arch9wavefront6targetE1EEEvT1_
	.globl	_ZN7rocprim17ROCPRIM_400000_NS6detail17trampoline_kernelINS0_14default_configENS1_20scan_config_selectorIjEEZZNS1_9scan_implILNS1_25lookback_scan_determinismE0ELb1ELb1ES3_N6thrust23THRUST_200600_302600_NS6detail15normal_iteratorINS9_10device_ptrIjEEEENS9_16discard_iteratorINS9_11use_defaultEEEjNS9_4plusIvEEjEEDaPvRmT3_T4_T5_mT6_P12ihipStream_tbENKUlT_T0_E_clISt17integral_constantIbLb0EESW_IbLb1EEEEDaSS_ST_EUlSS_E0_NS1_11comp_targetILNS1_3genE9ELNS1_11target_archE1100ELNS1_3gpuE3ELNS1_3repE0EEENS1_30default_config_static_selectorELNS0_4arch9wavefront6targetE1EEEvT1_
	.p2align	8
	.type	_ZN7rocprim17ROCPRIM_400000_NS6detail17trampoline_kernelINS0_14default_configENS1_20scan_config_selectorIjEEZZNS1_9scan_implILNS1_25lookback_scan_determinismE0ELb1ELb1ES3_N6thrust23THRUST_200600_302600_NS6detail15normal_iteratorINS9_10device_ptrIjEEEENS9_16discard_iteratorINS9_11use_defaultEEEjNS9_4plusIvEEjEEDaPvRmT3_T4_T5_mT6_P12ihipStream_tbENKUlT_T0_E_clISt17integral_constantIbLb0EESW_IbLb1EEEEDaSS_ST_EUlSS_E0_NS1_11comp_targetILNS1_3genE9ELNS1_11target_archE1100ELNS1_3gpuE3ELNS1_3repE0EEENS1_30default_config_static_selectorELNS0_4arch9wavefront6targetE1EEEvT1_,@function
_ZN7rocprim17ROCPRIM_400000_NS6detail17trampoline_kernelINS0_14default_configENS1_20scan_config_selectorIjEEZZNS1_9scan_implILNS1_25lookback_scan_determinismE0ELb1ELb1ES3_N6thrust23THRUST_200600_302600_NS6detail15normal_iteratorINS9_10device_ptrIjEEEENS9_16discard_iteratorINS9_11use_defaultEEEjNS9_4plusIvEEjEEDaPvRmT3_T4_T5_mT6_P12ihipStream_tbENKUlT_T0_E_clISt17integral_constantIbLb0EESW_IbLb1EEEEDaSS_ST_EUlSS_E0_NS1_11comp_targetILNS1_3genE9ELNS1_11target_archE1100ELNS1_3gpuE3ELNS1_3repE0EEENS1_30default_config_static_selectorELNS0_4arch9wavefront6targetE1EEEvT1_: ; @_ZN7rocprim17ROCPRIM_400000_NS6detail17trampoline_kernelINS0_14default_configENS1_20scan_config_selectorIjEEZZNS1_9scan_implILNS1_25lookback_scan_determinismE0ELb1ELb1ES3_N6thrust23THRUST_200600_302600_NS6detail15normal_iteratorINS9_10device_ptrIjEEEENS9_16discard_iteratorINS9_11use_defaultEEEjNS9_4plusIvEEjEEDaPvRmT3_T4_T5_mT6_P12ihipStream_tbENKUlT_T0_E_clISt17integral_constantIbLb0EESW_IbLb1EEEEDaSS_ST_EUlSS_E0_NS1_11comp_targetILNS1_3genE9ELNS1_11target_archE1100ELNS1_3gpuE3ELNS1_3repE0EEENS1_30default_config_static_selectorELNS0_4arch9wavefront6targetE1EEEvT1_
; %bb.0:
	.section	.rodata,"a",@progbits
	.p2align	6, 0x0
	.amdhsa_kernel _ZN7rocprim17ROCPRIM_400000_NS6detail17trampoline_kernelINS0_14default_configENS1_20scan_config_selectorIjEEZZNS1_9scan_implILNS1_25lookback_scan_determinismE0ELb1ELb1ES3_N6thrust23THRUST_200600_302600_NS6detail15normal_iteratorINS9_10device_ptrIjEEEENS9_16discard_iteratorINS9_11use_defaultEEEjNS9_4plusIvEEjEEDaPvRmT3_T4_T5_mT6_P12ihipStream_tbENKUlT_T0_E_clISt17integral_constantIbLb0EESW_IbLb1EEEEDaSS_ST_EUlSS_E0_NS1_11comp_targetILNS1_3genE9ELNS1_11target_archE1100ELNS1_3gpuE3ELNS1_3repE0EEENS1_30default_config_static_selectorELNS0_4arch9wavefront6targetE1EEEvT1_
		.amdhsa_group_segment_fixed_size 0
		.amdhsa_private_segment_fixed_size 0
		.amdhsa_kernarg_size 40
		.amdhsa_user_sgpr_count 6
		.amdhsa_user_sgpr_private_segment_buffer 1
		.amdhsa_user_sgpr_dispatch_ptr 0
		.amdhsa_user_sgpr_queue_ptr 0
		.amdhsa_user_sgpr_kernarg_segment_ptr 1
		.amdhsa_user_sgpr_dispatch_id 0
		.amdhsa_user_sgpr_flat_scratch_init 0
		.amdhsa_user_sgpr_kernarg_preload_length 0
		.amdhsa_user_sgpr_kernarg_preload_offset 0
		.amdhsa_user_sgpr_private_segment_size 0
		.amdhsa_uses_dynamic_stack 0
		.amdhsa_system_sgpr_private_segment_wavefront_offset 0
		.amdhsa_system_sgpr_workgroup_id_x 1
		.amdhsa_system_sgpr_workgroup_id_y 0
		.amdhsa_system_sgpr_workgroup_id_z 0
		.amdhsa_system_sgpr_workgroup_info 0
		.amdhsa_system_vgpr_workitem_id 0
		.amdhsa_next_free_vgpr 1
		.amdhsa_next_free_sgpr 0
		.amdhsa_accum_offset 4
		.amdhsa_reserve_vcc 0
		.amdhsa_reserve_flat_scratch 0
		.amdhsa_float_round_mode_32 0
		.amdhsa_float_round_mode_16_64 0
		.amdhsa_float_denorm_mode_32 3
		.amdhsa_float_denorm_mode_16_64 3
		.amdhsa_dx10_clamp 1
		.amdhsa_ieee_mode 1
		.amdhsa_fp16_overflow 0
		.amdhsa_tg_split 0
		.amdhsa_exception_fp_ieee_invalid_op 0
		.amdhsa_exception_fp_denorm_src 0
		.amdhsa_exception_fp_ieee_div_zero 0
		.amdhsa_exception_fp_ieee_overflow 0
		.amdhsa_exception_fp_ieee_underflow 0
		.amdhsa_exception_fp_ieee_inexact 0
		.amdhsa_exception_int_div_zero 0
	.end_amdhsa_kernel
	.section	.text._ZN7rocprim17ROCPRIM_400000_NS6detail17trampoline_kernelINS0_14default_configENS1_20scan_config_selectorIjEEZZNS1_9scan_implILNS1_25lookback_scan_determinismE0ELb1ELb1ES3_N6thrust23THRUST_200600_302600_NS6detail15normal_iteratorINS9_10device_ptrIjEEEENS9_16discard_iteratorINS9_11use_defaultEEEjNS9_4plusIvEEjEEDaPvRmT3_T4_T5_mT6_P12ihipStream_tbENKUlT_T0_E_clISt17integral_constantIbLb0EESW_IbLb1EEEEDaSS_ST_EUlSS_E0_NS1_11comp_targetILNS1_3genE9ELNS1_11target_archE1100ELNS1_3gpuE3ELNS1_3repE0EEENS1_30default_config_static_selectorELNS0_4arch9wavefront6targetE1EEEvT1_,"axG",@progbits,_ZN7rocprim17ROCPRIM_400000_NS6detail17trampoline_kernelINS0_14default_configENS1_20scan_config_selectorIjEEZZNS1_9scan_implILNS1_25lookback_scan_determinismE0ELb1ELb1ES3_N6thrust23THRUST_200600_302600_NS6detail15normal_iteratorINS9_10device_ptrIjEEEENS9_16discard_iteratorINS9_11use_defaultEEEjNS9_4plusIvEEjEEDaPvRmT3_T4_T5_mT6_P12ihipStream_tbENKUlT_T0_E_clISt17integral_constantIbLb0EESW_IbLb1EEEEDaSS_ST_EUlSS_E0_NS1_11comp_targetILNS1_3genE9ELNS1_11target_archE1100ELNS1_3gpuE3ELNS1_3repE0EEENS1_30default_config_static_selectorELNS0_4arch9wavefront6targetE1EEEvT1_,comdat
.Lfunc_end5436:
	.size	_ZN7rocprim17ROCPRIM_400000_NS6detail17trampoline_kernelINS0_14default_configENS1_20scan_config_selectorIjEEZZNS1_9scan_implILNS1_25lookback_scan_determinismE0ELb1ELb1ES3_N6thrust23THRUST_200600_302600_NS6detail15normal_iteratorINS9_10device_ptrIjEEEENS9_16discard_iteratorINS9_11use_defaultEEEjNS9_4plusIvEEjEEDaPvRmT3_T4_T5_mT6_P12ihipStream_tbENKUlT_T0_E_clISt17integral_constantIbLb0EESW_IbLb1EEEEDaSS_ST_EUlSS_E0_NS1_11comp_targetILNS1_3genE9ELNS1_11target_archE1100ELNS1_3gpuE3ELNS1_3repE0EEENS1_30default_config_static_selectorELNS0_4arch9wavefront6targetE1EEEvT1_, .Lfunc_end5436-_ZN7rocprim17ROCPRIM_400000_NS6detail17trampoline_kernelINS0_14default_configENS1_20scan_config_selectorIjEEZZNS1_9scan_implILNS1_25lookback_scan_determinismE0ELb1ELb1ES3_N6thrust23THRUST_200600_302600_NS6detail15normal_iteratorINS9_10device_ptrIjEEEENS9_16discard_iteratorINS9_11use_defaultEEEjNS9_4plusIvEEjEEDaPvRmT3_T4_T5_mT6_P12ihipStream_tbENKUlT_T0_E_clISt17integral_constantIbLb0EESW_IbLb1EEEEDaSS_ST_EUlSS_E0_NS1_11comp_targetILNS1_3genE9ELNS1_11target_archE1100ELNS1_3gpuE3ELNS1_3repE0EEENS1_30default_config_static_selectorELNS0_4arch9wavefront6targetE1EEEvT1_
                                        ; -- End function
	.section	.AMDGPU.csdata,"",@progbits
; Kernel info:
; codeLenInByte = 0
; NumSgprs: 4
; NumVgprs: 0
; NumAgprs: 0
; TotalNumVgprs: 0
; ScratchSize: 0
; MemoryBound: 0
; FloatMode: 240
; IeeeMode: 1
; LDSByteSize: 0 bytes/workgroup (compile time only)
; SGPRBlocks: 0
; VGPRBlocks: 0
; NumSGPRsForWavesPerEU: 4
; NumVGPRsForWavesPerEU: 1
; AccumOffset: 4
; Occupancy: 8
; WaveLimiterHint : 0
; COMPUTE_PGM_RSRC2:SCRATCH_EN: 0
; COMPUTE_PGM_RSRC2:USER_SGPR: 6
; COMPUTE_PGM_RSRC2:TRAP_HANDLER: 0
; COMPUTE_PGM_RSRC2:TGID_X_EN: 1
; COMPUTE_PGM_RSRC2:TGID_Y_EN: 0
; COMPUTE_PGM_RSRC2:TGID_Z_EN: 0
; COMPUTE_PGM_RSRC2:TIDIG_COMP_CNT: 0
; COMPUTE_PGM_RSRC3_GFX90A:ACCUM_OFFSET: 0
; COMPUTE_PGM_RSRC3_GFX90A:TG_SPLIT: 0
	.section	.text._ZN7rocprim17ROCPRIM_400000_NS6detail17trampoline_kernelINS0_14default_configENS1_20scan_config_selectorIjEEZZNS1_9scan_implILNS1_25lookback_scan_determinismE0ELb1ELb1ES3_N6thrust23THRUST_200600_302600_NS6detail15normal_iteratorINS9_10device_ptrIjEEEENS9_16discard_iteratorINS9_11use_defaultEEEjNS9_4plusIvEEjEEDaPvRmT3_T4_T5_mT6_P12ihipStream_tbENKUlT_T0_E_clISt17integral_constantIbLb0EESW_IbLb1EEEEDaSS_ST_EUlSS_E0_NS1_11comp_targetILNS1_3genE8ELNS1_11target_archE1030ELNS1_3gpuE2ELNS1_3repE0EEENS1_30default_config_static_selectorELNS0_4arch9wavefront6targetE1EEEvT1_,"axG",@progbits,_ZN7rocprim17ROCPRIM_400000_NS6detail17trampoline_kernelINS0_14default_configENS1_20scan_config_selectorIjEEZZNS1_9scan_implILNS1_25lookback_scan_determinismE0ELb1ELb1ES3_N6thrust23THRUST_200600_302600_NS6detail15normal_iteratorINS9_10device_ptrIjEEEENS9_16discard_iteratorINS9_11use_defaultEEEjNS9_4plusIvEEjEEDaPvRmT3_T4_T5_mT6_P12ihipStream_tbENKUlT_T0_E_clISt17integral_constantIbLb0EESW_IbLb1EEEEDaSS_ST_EUlSS_E0_NS1_11comp_targetILNS1_3genE8ELNS1_11target_archE1030ELNS1_3gpuE2ELNS1_3repE0EEENS1_30default_config_static_selectorELNS0_4arch9wavefront6targetE1EEEvT1_,comdat
	.protected	_ZN7rocprim17ROCPRIM_400000_NS6detail17trampoline_kernelINS0_14default_configENS1_20scan_config_selectorIjEEZZNS1_9scan_implILNS1_25lookback_scan_determinismE0ELb1ELb1ES3_N6thrust23THRUST_200600_302600_NS6detail15normal_iteratorINS9_10device_ptrIjEEEENS9_16discard_iteratorINS9_11use_defaultEEEjNS9_4plusIvEEjEEDaPvRmT3_T4_T5_mT6_P12ihipStream_tbENKUlT_T0_E_clISt17integral_constantIbLb0EESW_IbLb1EEEEDaSS_ST_EUlSS_E0_NS1_11comp_targetILNS1_3genE8ELNS1_11target_archE1030ELNS1_3gpuE2ELNS1_3repE0EEENS1_30default_config_static_selectorELNS0_4arch9wavefront6targetE1EEEvT1_ ; -- Begin function _ZN7rocprim17ROCPRIM_400000_NS6detail17trampoline_kernelINS0_14default_configENS1_20scan_config_selectorIjEEZZNS1_9scan_implILNS1_25lookback_scan_determinismE0ELb1ELb1ES3_N6thrust23THRUST_200600_302600_NS6detail15normal_iteratorINS9_10device_ptrIjEEEENS9_16discard_iteratorINS9_11use_defaultEEEjNS9_4plusIvEEjEEDaPvRmT3_T4_T5_mT6_P12ihipStream_tbENKUlT_T0_E_clISt17integral_constantIbLb0EESW_IbLb1EEEEDaSS_ST_EUlSS_E0_NS1_11comp_targetILNS1_3genE8ELNS1_11target_archE1030ELNS1_3gpuE2ELNS1_3repE0EEENS1_30default_config_static_selectorELNS0_4arch9wavefront6targetE1EEEvT1_
	.globl	_ZN7rocprim17ROCPRIM_400000_NS6detail17trampoline_kernelINS0_14default_configENS1_20scan_config_selectorIjEEZZNS1_9scan_implILNS1_25lookback_scan_determinismE0ELb1ELb1ES3_N6thrust23THRUST_200600_302600_NS6detail15normal_iteratorINS9_10device_ptrIjEEEENS9_16discard_iteratorINS9_11use_defaultEEEjNS9_4plusIvEEjEEDaPvRmT3_T4_T5_mT6_P12ihipStream_tbENKUlT_T0_E_clISt17integral_constantIbLb0EESW_IbLb1EEEEDaSS_ST_EUlSS_E0_NS1_11comp_targetILNS1_3genE8ELNS1_11target_archE1030ELNS1_3gpuE2ELNS1_3repE0EEENS1_30default_config_static_selectorELNS0_4arch9wavefront6targetE1EEEvT1_
	.p2align	8
	.type	_ZN7rocprim17ROCPRIM_400000_NS6detail17trampoline_kernelINS0_14default_configENS1_20scan_config_selectorIjEEZZNS1_9scan_implILNS1_25lookback_scan_determinismE0ELb1ELb1ES3_N6thrust23THRUST_200600_302600_NS6detail15normal_iteratorINS9_10device_ptrIjEEEENS9_16discard_iteratorINS9_11use_defaultEEEjNS9_4plusIvEEjEEDaPvRmT3_T4_T5_mT6_P12ihipStream_tbENKUlT_T0_E_clISt17integral_constantIbLb0EESW_IbLb1EEEEDaSS_ST_EUlSS_E0_NS1_11comp_targetILNS1_3genE8ELNS1_11target_archE1030ELNS1_3gpuE2ELNS1_3repE0EEENS1_30default_config_static_selectorELNS0_4arch9wavefront6targetE1EEEvT1_,@function
_ZN7rocprim17ROCPRIM_400000_NS6detail17trampoline_kernelINS0_14default_configENS1_20scan_config_selectorIjEEZZNS1_9scan_implILNS1_25lookback_scan_determinismE0ELb1ELb1ES3_N6thrust23THRUST_200600_302600_NS6detail15normal_iteratorINS9_10device_ptrIjEEEENS9_16discard_iteratorINS9_11use_defaultEEEjNS9_4plusIvEEjEEDaPvRmT3_T4_T5_mT6_P12ihipStream_tbENKUlT_T0_E_clISt17integral_constantIbLb0EESW_IbLb1EEEEDaSS_ST_EUlSS_E0_NS1_11comp_targetILNS1_3genE8ELNS1_11target_archE1030ELNS1_3gpuE2ELNS1_3repE0EEENS1_30default_config_static_selectorELNS0_4arch9wavefront6targetE1EEEvT1_: ; @_ZN7rocprim17ROCPRIM_400000_NS6detail17trampoline_kernelINS0_14default_configENS1_20scan_config_selectorIjEEZZNS1_9scan_implILNS1_25lookback_scan_determinismE0ELb1ELb1ES3_N6thrust23THRUST_200600_302600_NS6detail15normal_iteratorINS9_10device_ptrIjEEEENS9_16discard_iteratorINS9_11use_defaultEEEjNS9_4plusIvEEjEEDaPvRmT3_T4_T5_mT6_P12ihipStream_tbENKUlT_T0_E_clISt17integral_constantIbLb0EESW_IbLb1EEEEDaSS_ST_EUlSS_E0_NS1_11comp_targetILNS1_3genE8ELNS1_11target_archE1030ELNS1_3gpuE2ELNS1_3repE0EEENS1_30default_config_static_selectorELNS0_4arch9wavefront6targetE1EEEvT1_
; %bb.0:
	.section	.rodata,"a",@progbits
	.p2align	6, 0x0
	.amdhsa_kernel _ZN7rocprim17ROCPRIM_400000_NS6detail17trampoline_kernelINS0_14default_configENS1_20scan_config_selectorIjEEZZNS1_9scan_implILNS1_25lookback_scan_determinismE0ELb1ELb1ES3_N6thrust23THRUST_200600_302600_NS6detail15normal_iteratorINS9_10device_ptrIjEEEENS9_16discard_iteratorINS9_11use_defaultEEEjNS9_4plusIvEEjEEDaPvRmT3_T4_T5_mT6_P12ihipStream_tbENKUlT_T0_E_clISt17integral_constantIbLb0EESW_IbLb1EEEEDaSS_ST_EUlSS_E0_NS1_11comp_targetILNS1_3genE8ELNS1_11target_archE1030ELNS1_3gpuE2ELNS1_3repE0EEENS1_30default_config_static_selectorELNS0_4arch9wavefront6targetE1EEEvT1_
		.amdhsa_group_segment_fixed_size 0
		.amdhsa_private_segment_fixed_size 0
		.amdhsa_kernarg_size 40
		.amdhsa_user_sgpr_count 6
		.amdhsa_user_sgpr_private_segment_buffer 1
		.amdhsa_user_sgpr_dispatch_ptr 0
		.amdhsa_user_sgpr_queue_ptr 0
		.amdhsa_user_sgpr_kernarg_segment_ptr 1
		.amdhsa_user_sgpr_dispatch_id 0
		.amdhsa_user_sgpr_flat_scratch_init 0
		.amdhsa_user_sgpr_kernarg_preload_length 0
		.amdhsa_user_sgpr_kernarg_preload_offset 0
		.amdhsa_user_sgpr_private_segment_size 0
		.amdhsa_uses_dynamic_stack 0
		.amdhsa_system_sgpr_private_segment_wavefront_offset 0
		.amdhsa_system_sgpr_workgroup_id_x 1
		.amdhsa_system_sgpr_workgroup_id_y 0
		.amdhsa_system_sgpr_workgroup_id_z 0
		.amdhsa_system_sgpr_workgroup_info 0
		.amdhsa_system_vgpr_workitem_id 0
		.amdhsa_next_free_vgpr 1
		.amdhsa_next_free_sgpr 0
		.amdhsa_accum_offset 4
		.amdhsa_reserve_vcc 0
		.amdhsa_reserve_flat_scratch 0
		.amdhsa_float_round_mode_32 0
		.amdhsa_float_round_mode_16_64 0
		.amdhsa_float_denorm_mode_32 3
		.amdhsa_float_denorm_mode_16_64 3
		.amdhsa_dx10_clamp 1
		.amdhsa_ieee_mode 1
		.amdhsa_fp16_overflow 0
		.amdhsa_tg_split 0
		.amdhsa_exception_fp_ieee_invalid_op 0
		.amdhsa_exception_fp_denorm_src 0
		.amdhsa_exception_fp_ieee_div_zero 0
		.amdhsa_exception_fp_ieee_overflow 0
		.amdhsa_exception_fp_ieee_underflow 0
		.amdhsa_exception_fp_ieee_inexact 0
		.amdhsa_exception_int_div_zero 0
	.end_amdhsa_kernel
	.section	.text._ZN7rocprim17ROCPRIM_400000_NS6detail17trampoline_kernelINS0_14default_configENS1_20scan_config_selectorIjEEZZNS1_9scan_implILNS1_25lookback_scan_determinismE0ELb1ELb1ES3_N6thrust23THRUST_200600_302600_NS6detail15normal_iteratorINS9_10device_ptrIjEEEENS9_16discard_iteratorINS9_11use_defaultEEEjNS9_4plusIvEEjEEDaPvRmT3_T4_T5_mT6_P12ihipStream_tbENKUlT_T0_E_clISt17integral_constantIbLb0EESW_IbLb1EEEEDaSS_ST_EUlSS_E0_NS1_11comp_targetILNS1_3genE8ELNS1_11target_archE1030ELNS1_3gpuE2ELNS1_3repE0EEENS1_30default_config_static_selectorELNS0_4arch9wavefront6targetE1EEEvT1_,"axG",@progbits,_ZN7rocprim17ROCPRIM_400000_NS6detail17trampoline_kernelINS0_14default_configENS1_20scan_config_selectorIjEEZZNS1_9scan_implILNS1_25lookback_scan_determinismE0ELb1ELb1ES3_N6thrust23THRUST_200600_302600_NS6detail15normal_iteratorINS9_10device_ptrIjEEEENS9_16discard_iteratorINS9_11use_defaultEEEjNS9_4plusIvEEjEEDaPvRmT3_T4_T5_mT6_P12ihipStream_tbENKUlT_T0_E_clISt17integral_constantIbLb0EESW_IbLb1EEEEDaSS_ST_EUlSS_E0_NS1_11comp_targetILNS1_3genE8ELNS1_11target_archE1030ELNS1_3gpuE2ELNS1_3repE0EEENS1_30default_config_static_selectorELNS0_4arch9wavefront6targetE1EEEvT1_,comdat
.Lfunc_end5437:
	.size	_ZN7rocprim17ROCPRIM_400000_NS6detail17trampoline_kernelINS0_14default_configENS1_20scan_config_selectorIjEEZZNS1_9scan_implILNS1_25lookback_scan_determinismE0ELb1ELb1ES3_N6thrust23THRUST_200600_302600_NS6detail15normal_iteratorINS9_10device_ptrIjEEEENS9_16discard_iteratorINS9_11use_defaultEEEjNS9_4plusIvEEjEEDaPvRmT3_T4_T5_mT6_P12ihipStream_tbENKUlT_T0_E_clISt17integral_constantIbLb0EESW_IbLb1EEEEDaSS_ST_EUlSS_E0_NS1_11comp_targetILNS1_3genE8ELNS1_11target_archE1030ELNS1_3gpuE2ELNS1_3repE0EEENS1_30default_config_static_selectorELNS0_4arch9wavefront6targetE1EEEvT1_, .Lfunc_end5437-_ZN7rocprim17ROCPRIM_400000_NS6detail17trampoline_kernelINS0_14default_configENS1_20scan_config_selectorIjEEZZNS1_9scan_implILNS1_25lookback_scan_determinismE0ELb1ELb1ES3_N6thrust23THRUST_200600_302600_NS6detail15normal_iteratorINS9_10device_ptrIjEEEENS9_16discard_iteratorINS9_11use_defaultEEEjNS9_4plusIvEEjEEDaPvRmT3_T4_T5_mT6_P12ihipStream_tbENKUlT_T0_E_clISt17integral_constantIbLb0EESW_IbLb1EEEEDaSS_ST_EUlSS_E0_NS1_11comp_targetILNS1_3genE8ELNS1_11target_archE1030ELNS1_3gpuE2ELNS1_3repE0EEENS1_30default_config_static_selectorELNS0_4arch9wavefront6targetE1EEEvT1_
                                        ; -- End function
	.section	.AMDGPU.csdata,"",@progbits
; Kernel info:
; codeLenInByte = 0
; NumSgprs: 4
; NumVgprs: 0
; NumAgprs: 0
; TotalNumVgprs: 0
; ScratchSize: 0
; MemoryBound: 0
; FloatMode: 240
; IeeeMode: 1
; LDSByteSize: 0 bytes/workgroup (compile time only)
; SGPRBlocks: 0
; VGPRBlocks: 0
; NumSGPRsForWavesPerEU: 4
; NumVGPRsForWavesPerEU: 1
; AccumOffset: 4
; Occupancy: 8
; WaveLimiterHint : 0
; COMPUTE_PGM_RSRC2:SCRATCH_EN: 0
; COMPUTE_PGM_RSRC2:USER_SGPR: 6
; COMPUTE_PGM_RSRC2:TRAP_HANDLER: 0
; COMPUTE_PGM_RSRC2:TGID_X_EN: 1
; COMPUTE_PGM_RSRC2:TGID_Y_EN: 0
; COMPUTE_PGM_RSRC2:TGID_Z_EN: 0
; COMPUTE_PGM_RSRC2:TIDIG_COMP_CNT: 0
; COMPUTE_PGM_RSRC3_GFX90A:ACCUM_OFFSET: 0
; COMPUTE_PGM_RSRC3_GFX90A:TG_SPLIT: 0
	.section	.text._ZN7rocprim17ROCPRIM_400000_NS6detail17trampoline_kernelINS0_14default_configENS1_20scan_config_selectorItEEZZNS1_9scan_implILNS1_25lookback_scan_determinismE0ELb0ELb0ES3_N6thrust23THRUST_200600_302600_NS6detail15normal_iteratorINS9_10device_ptrItEEEENS9_16discard_iteratorINS9_11use_defaultEEEtNS9_4plusIvEEtEEDaPvRmT3_T4_T5_mT6_P12ihipStream_tbENKUlT_T0_E_clISt17integral_constantIbLb0EESX_EEDaSS_ST_EUlSS_E_NS1_11comp_targetILNS1_3genE0ELNS1_11target_archE4294967295ELNS1_3gpuE0ELNS1_3repE0EEENS1_30default_config_static_selectorELNS0_4arch9wavefront6targetE1EEEvT1_,"axG",@progbits,_ZN7rocprim17ROCPRIM_400000_NS6detail17trampoline_kernelINS0_14default_configENS1_20scan_config_selectorItEEZZNS1_9scan_implILNS1_25lookback_scan_determinismE0ELb0ELb0ES3_N6thrust23THRUST_200600_302600_NS6detail15normal_iteratorINS9_10device_ptrItEEEENS9_16discard_iteratorINS9_11use_defaultEEEtNS9_4plusIvEEtEEDaPvRmT3_T4_T5_mT6_P12ihipStream_tbENKUlT_T0_E_clISt17integral_constantIbLb0EESX_EEDaSS_ST_EUlSS_E_NS1_11comp_targetILNS1_3genE0ELNS1_11target_archE4294967295ELNS1_3gpuE0ELNS1_3repE0EEENS1_30default_config_static_selectorELNS0_4arch9wavefront6targetE1EEEvT1_,comdat
	.protected	_ZN7rocprim17ROCPRIM_400000_NS6detail17trampoline_kernelINS0_14default_configENS1_20scan_config_selectorItEEZZNS1_9scan_implILNS1_25lookback_scan_determinismE0ELb0ELb0ES3_N6thrust23THRUST_200600_302600_NS6detail15normal_iteratorINS9_10device_ptrItEEEENS9_16discard_iteratorINS9_11use_defaultEEEtNS9_4plusIvEEtEEDaPvRmT3_T4_T5_mT6_P12ihipStream_tbENKUlT_T0_E_clISt17integral_constantIbLb0EESX_EEDaSS_ST_EUlSS_E_NS1_11comp_targetILNS1_3genE0ELNS1_11target_archE4294967295ELNS1_3gpuE0ELNS1_3repE0EEENS1_30default_config_static_selectorELNS0_4arch9wavefront6targetE1EEEvT1_ ; -- Begin function _ZN7rocprim17ROCPRIM_400000_NS6detail17trampoline_kernelINS0_14default_configENS1_20scan_config_selectorItEEZZNS1_9scan_implILNS1_25lookback_scan_determinismE0ELb0ELb0ES3_N6thrust23THRUST_200600_302600_NS6detail15normal_iteratorINS9_10device_ptrItEEEENS9_16discard_iteratorINS9_11use_defaultEEEtNS9_4plusIvEEtEEDaPvRmT3_T4_T5_mT6_P12ihipStream_tbENKUlT_T0_E_clISt17integral_constantIbLb0EESX_EEDaSS_ST_EUlSS_E_NS1_11comp_targetILNS1_3genE0ELNS1_11target_archE4294967295ELNS1_3gpuE0ELNS1_3repE0EEENS1_30default_config_static_selectorELNS0_4arch9wavefront6targetE1EEEvT1_
	.globl	_ZN7rocprim17ROCPRIM_400000_NS6detail17trampoline_kernelINS0_14default_configENS1_20scan_config_selectorItEEZZNS1_9scan_implILNS1_25lookback_scan_determinismE0ELb0ELb0ES3_N6thrust23THRUST_200600_302600_NS6detail15normal_iteratorINS9_10device_ptrItEEEENS9_16discard_iteratorINS9_11use_defaultEEEtNS9_4plusIvEEtEEDaPvRmT3_T4_T5_mT6_P12ihipStream_tbENKUlT_T0_E_clISt17integral_constantIbLb0EESX_EEDaSS_ST_EUlSS_E_NS1_11comp_targetILNS1_3genE0ELNS1_11target_archE4294967295ELNS1_3gpuE0ELNS1_3repE0EEENS1_30default_config_static_selectorELNS0_4arch9wavefront6targetE1EEEvT1_
	.p2align	8
	.type	_ZN7rocprim17ROCPRIM_400000_NS6detail17trampoline_kernelINS0_14default_configENS1_20scan_config_selectorItEEZZNS1_9scan_implILNS1_25lookback_scan_determinismE0ELb0ELb0ES3_N6thrust23THRUST_200600_302600_NS6detail15normal_iteratorINS9_10device_ptrItEEEENS9_16discard_iteratorINS9_11use_defaultEEEtNS9_4plusIvEEtEEDaPvRmT3_T4_T5_mT6_P12ihipStream_tbENKUlT_T0_E_clISt17integral_constantIbLb0EESX_EEDaSS_ST_EUlSS_E_NS1_11comp_targetILNS1_3genE0ELNS1_11target_archE4294967295ELNS1_3gpuE0ELNS1_3repE0EEENS1_30default_config_static_selectorELNS0_4arch9wavefront6targetE1EEEvT1_,@function
_ZN7rocprim17ROCPRIM_400000_NS6detail17trampoline_kernelINS0_14default_configENS1_20scan_config_selectorItEEZZNS1_9scan_implILNS1_25lookback_scan_determinismE0ELb0ELb0ES3_N6thrust23THRUST_200600_302600_NS6detail15normal_iteratorINS9_10device_ptrItEEEENS9_16discard_iteratorINS9_11use_defaultEEEtNS9_4plusIvEEtEEDaPvRmT3_T4_T5_mT6_P12ihipStream_tbENKUlT_T0_E_clISt17integral_constantIbLb0EESX_EEDaSS_ST_EUlSS_E_NS1_11comp_targetILNS1_3genE0ELNS1_11target_archE4294967295ELNS1_3gpuE0ELNS1_3repE0EEENS1_30default_config_static_selectorELNS0_4arch9wavefront6targetE1EEEvT1_: ; @_ZN7rocprim17ROCPRIM_400000_NS6detail17trampoline_kernelINS0_14default_configENS1_20scan_config_selectorItEEZZNS1_9scan_implILNS1_25lookback_scan_determinismE0ELb0ELb0ES3_N6thrust23THRUST_200600_302600_NS6detail15normal_iteratorINS9_10device_ptrItEEEENS9_16discard_iteratorINS9_11use_defaultEEEtNS9_4plusIvEEtEEDaPvRmT3_T4_T5_mT6_P12ihipStream_tbENKUlT_T0_E_clISt17integral_constantIbLb0EESX_EEDaSS_ST_EUlSS_E_NS1_11comp_targetILNS1_3genE0ELNS1_11target_archE4294967295ELNS1_3gpuE0ELNS1_3repE0EEENS1_30default_config_static_selectorELNS0_4arch9wavefront6targetE1EEEvT1_
; %bb.0:
	.section	.rodata,"a",@progbits
	.p2align	6, 0x0
	.amdhsa_kernel _ZN7rocprim17ROCPRIM_400000_NS6detail17trampoline_kernelINS0_14default_configENS1_20scan_config_selectorItEEZZNS1_9scan_implILNS1_25lookback_scan_determinismE0ELb0ELb0ES3_N6thrust23THRUST_200600_302600_NS6detail15normal_iteratorINS9_10device_ptrItEEEENS9_16discard_iteratorINS9_11use_defaultEEEtNS9_4plusIvEEtEEDaPvRmT3_T4_T5_mT6_P12ihipStream_tbENKUlT_T0_E_clISt17integral_constantIbLb0EESX_EEDaSS_ST_EUlSS_E_NS1_11comp_targetILNS1_3genE0ELNS1_11target_archE4294967295ELNS1_3gpuE0ELNS1_3repE0EEENS1_30default_config_static_selectorELNS0_4arch9wavefront6targetE1EEEvT1_
		.amdhsa_group_segment_fixed_size 0
		.amdhsa_private_segment_fixed_size 0
		.amdhsa_kernarg_size 104
		.amdhsa_user_sgpr_count 6
		.amdhsa_user_sgpr_private_segment_buffer 1
		.amdhsa_user_sgpr_dispatch_ptr 0
		.amdhsa_user_sgpr_queue_ptr 0
		.amdhsa_user_sgpr_kernarg_segment_ptr 1
		.amdhsa_user_sgpr_dispatch_id 0
		.amdhsa_user_sgpr_flat_scratch_init 0
		.amdhsa_user_sgpr_kernarg_preload_length 0
		.amdhsa_user_sgpr_kernarg_preload_offset 0
		.amdhsa_user_sgpr_private_segment_size 0
		.amdhsa_uses_dynamic_stack 0
		.amdhsa_system_sgpr_private_segment_wavefront_offset 0
		.amdhsa_system_sgpr_workgroup_id_x 1
		.amdhsa_system_sgpr_workgroup_id_y 0
		.amdhsa_system_sgpr_workgroup_id_z 0
		.amdhsa_system_sgpr_workgroup_info 0
		.amdhsa_system_vgpr_workitem_id 0
		.amdhsa_next_free_vgpr 1
		.amdhsa_next_free_sgpr 0
		.amdhsa_accum_offset 4
		.amdhsa_reserve_vcc 0
		.amdhsa_reserve_flat_scratch 0
		.amdhsa_float_round_mode_32 0
		.amdhsa_float_round_mode_16_64 0
		.amdhsa_float_denorm_mode_32 3
		.amdhsa_float_denorm_mode_16_64 3
		.amdhsa_dx10_clamp 1
		.amdhsa_ieee_mode 1
		.amdhsa_fp16_overflow 0
		.amdhsa_tg_split 0
		.amdhsa_exception_fp_ieee_invalid_op 0
		.amdhsa_exception_fp_denorm_src 0
		.amdhsa_exception_fp_ieee_div_zero 0
		.amdhsa_exception_fp_ieee_overflow 0
		.amdhsa_exception_fp_ieee_underflow 0
		.amdhsa_exception_fp_ieee_inexact 0
		.amdhsa_exception_int_div_zero 0
	.end_amdhsa_kernel
	.section	.text._ZN7rocprim17ROCPRIM_400000_NS6detail17trampoline_kernelINS0_14default_configENS1_20scan_config_selectorItEEZZNS1_9scan_implILNS1_25lookback_scan_determinismE0ELb0ELb0ES3_N6thrust23THRUST_200600_302600_NS6detail15normal_iteratorINS9_10device_ptrItEEEENS9_16discard_iteratorINS9_11use_defaultEEEtNS9_4plusIvEEtEEDaPvRmT3_T4_T5_mT6_P12ihipStream_tbENKUlT_T0_E_clISt17integral_constantIbLb0EESX_EEDaSS_ST_EUlSS_E_NS1_11comp_targetILNS1_3genE0ELNS1_11target_archE4294967295ELNS1_3gpuE0ELNS1_3repE0EEENS1_30default_config_static_selectorELNS0_4arch9wavefront6targetE1EEEvT1_,"axG",@progbits,_ZN7rocprim17ROCPRIM_400000_NS6detail17trampoline_kernelINS0_14default_configENS1_20scan_config_selectorItEEZZNS1_9scan_implILNS1_25lookback_scan_determinismE0ELb0ELb0ES3_N6thrust23THRUST_200600_302600_NS6detail15normal_iteratorINS9_10device_ptrItEEEENS9_16discard_iteratorINS9_11use_defaultEEEtNS9_4plusIvEEtEEDaPvRmT3_T4_T5_mT6_P12ihipStream_tbENKUlT_T0_E_clISt17integral_constantIbLb0EESX_EEDaSS_ST_EUlSS_E_NS1_11comp_targetILNS1_3genE0ELNS1_11target_archE4294967295ELNS1_3gpuE0ELNS1_3repE0EEENS1_30default_config_static_selectorELNS0_4arch9wavefront6targetE1EEEvT1_,comdat
.Lfunc_end5438:
	.size	_ZN7rocprim17ROCPRIM_400000_NS6detail17trampoline_kernelINS0_14default_configENS1_20scan_config_selectorItEEZZNS1_9scan_implILNS1_25lookback_scan_determinismE0ELb0ELb0ES3_N6thrust23THRUST_200600_302600_NS6detail15normal_iteratorINS9_10device_ptrItEEEENS9_16discard_iteratorINS9_11use_defaultEEEtNS9_4plusIvEEtEEDaPvRmT3_T4_T5_mT6_P12ihipStream_tbENKUlT_T0_E_clISt17integral_constantIbLb0EESX_EEDaSS_ST_EUlSS_E_NS1_11comp_targetILNS1_3genE0ELNS1_11target_archE4294967295ELNS1_3gpuE0ELNS1_3repE0EEENS1_30default_config_static_selectorELNS0_4arch9wavefront6targetE1EEEvT1_, .Lfunc_end5438-_ZN7rocprim17ROCPRIM_400000_NS6detail17trampoline_kernelINS0_14default_configENS1_20scan_config_selectorItEEZZNS1_9scan_implILNS1_25lookback_scan_determinismE0ELb0ELb0ES3_N6thrust23THRUST_200600_302600_NS6detail15normal_iteratorINS9_10device_ptrItEEEENS9_16discard_iteratorINS9_11use_defaultEEEtNS9_4plusIvEEtEEDaPvRmT3_T4_T5_mT6_P12ihipStream_tbENKUlT_T0_E_clISt17integral_constantIbLb0EESX_EEDaSS_ST_EUlSS_E_NS1_11comp_targetILNS1_3genE0ELNS1_11target_archE4294967295ELNS1_3gpuE0ELNS1_3repE0EEENS1_30default_config_static_selectorELNS0_4arch9wavefront6targetE1EEEvT1_
                                        ; -- End function
	.section	.AMDGPU.csdata,"",@progbits
; Kernel info:
; codeLenInByte = 0
; NumSgprs: 4
; NumVgprs: 0
; NumAgprs: 0
; TotalNumVgprs: 0
; ScratchSize: 0
; MemoryBound: 0
; FloatMode: 240
; IeeeMode: 1
; LDSByteSize: 0 bytes/workgroup (compile time only)
; SGPRBlocks: 0
; VGPRBlocks: 0
; NumSGPRsForWavesPerEU: 4
; NumVGPRsForWavesPerEU: 1
; AccumOffset: 4
; Occupancy: 8
; WaveLimiterHint : 0
; COMPUTE_PGM_RSRC2:SCRATCH_EN: 0
; COMPUTE_PGM_RSRC2:USER_SGPR: 6
; COMPUTE_PGM_RSRC2:TRAP_HANDLER: 0
; COMPUTE_PGM_RSRC2:TGID_X_EN: 1
; COMPUTE_PGM_RSRC2:TGID_Y_EN: 0
; COMPUTE_PGM_RSRC2:TGID_Z_EN: 0
; COMPUTE_PGM_RSRC2:TIDIG_COMP_CNT: 0
; COMPUTE_PGM_RSRC3_GFX90A:ACCUM_OFFSET: 0
; COMPUTE_PGM_RSRC3_GFX90A:TG_SPLIT: 0
	.section	.text._ZN7rocprim17ROCPRIM_400000_NS6detail17trampoline_kernelINS0_14default_configENS1_20scan_config_selectorItEEZZNS1_9scan_implILNS1_25lookback_scan_determinismE0ELb0ELb0ES3_N6thrust23THRUST_200600_302600_NS6detail15normal_iteratorINS9_10device_ptrItEEEENS9_16discard_iteratorINS9_11use_defaultEEEtNS9_4plusIvEEtEEDaPvRmT3_T4_T5_mT6_P12ihipStream_tbENKUlT_T0_E_clISt17integral_constantIbLb0EESX_EEDaSS_ST_EUlSS_E_NS1_11comp_targetILNS1_3genE5ELNS1_11target_archE942ELNS1_3gpuE9ELNS1_3repE0EEENS1_30default_config_static_selectorELNS0_4arch9wavefront6targetE1EEEvT1_,"axG",@progbits,_ZN7rocprim17ROCPRIM_400000_NS6detail17trampoline_kernelINS0_14default_configENS1_20scan_config_selectorItEEZZNS1_9scan_implILNS1_25lookback_scan_determinismE0ELb0ELb0ES3_N6thrust23THRUST_200600_302600_NS6detail15normal_iteratorINS9_10device_ptrItEEEENS9_16discard_iteratorINS9_11use_defaultEEEtNS9_4plusIvEEtEEDaPvRmT3_T4_T5_mT6_P12ihipStream_tbENKUlT_T0_E_clISt17integral_constantIbLb0EESX_EEDaSS_ST_EUlSS_E_NS1_11comp_targetILNS1_3genE5ELNS1_11target_archE942ELNS1_3gpuE9ELNS1_3repE0EEENS1_30default_config_static_selectorELNS0_4arch9wavefront6targetE1EEEvT1_,comdat
	.protected	_ZN7rocprim17ROCPRIM_400000_NS6detail17trampoline_kernelINS0_14default_configENS1_20scan_config_selectorItEEZZNS1_9scan_implILNS1_25lookback_scan_determinismE0ELb0ELb0ES3_N6thrust23THRUST_200600_302600_NS6detail15normal_iteratorINS9_10device_ptrItEEEENS9_16discard_iteratorINS9_11use_defaultEEEtNS9_4plusIvEEtEEDaPvRmT3_T4_T5_mT6_P12ihipStream_tbENKUlT_T0_E_clISt17integral_constantIbLb0EESX_EEDaSS_ST_EUlSS_E_NS1_11comp_targetILNS1_3genE5ELNS1_11target_archE942ELNS1_3gpuE9ELNS1_3repE0EEENS1_30default_config_static_selectorELNS0_4arch9wavefront6targetE1EEEvT1_ ; -- Begin function _ZN7rocprim17ROCPRIM_400000_NS6detail17trampoline_kernelINS0_14default_configENS1_20scan_config_selectorItEEZZNS1_9scan_implILNS1_25lookback_scan_determinismE0ELb0ELb0ES3_N6thrust23THRUST_200600_302600_NS6detail15normal_iteratorINS9_10device_ptrItEEEENS9_16discard_iteratorINS9_11use_defaultEEEtNS9_4plusIvEEtEEDaPvRmT3_T4_T5_mT6_P12ihipStream_tbENKUlT_T0_E_clISt17integral_constantIbLb0EESX_EEDaSS_ST_EUlSS_E_NS1_11comp_targetILNS1_3genE5ELNS1_11target_archE942ELNS1_3gpuE9ELNS1_3repE0EEENS1_30default_config_static_selectorELNS0_4arch9wavefront6targetE1EEEvT1_
	.globl	_ZN7rocprim17ROCPRIM_400000_NS6detail17trampoline_kernelINS0_14default_configENS1_20scan_config_selectorItEEZZNS1_9scan_implILNS1_25lookback_scan_determinismE0ELb0ELb0ES3_N6thrust23THRUST_200600_302600_NS6detail15normal_iteratorINS9_10device_ptrItEEEENS9_16discard_iteratorINS9_11use_defaultEEEtNS9_4plusIvEEtEEDaPvRmT3_T4_T5_mT6_P12ihipStream_tbENKUlT_T0_E_clISt17integral_constantIbLb0EESX_EEDaSS_ST_EUlSS_E_NS1_11comp_targetILNS1_3genE5ELNS1_11target_archE942ELNS1_3gpuE9ELNS1_3repE0EEENS1_30default_config_static_selectorELNS0_4arch9wavefront6targetE1EEEvT1_
	.p2align	8
	.type	_ZN7rocprim17ROCPRIM_400000_NS6detail17trampoline_kernelINS0_14default_configENS1_20scan_config_selectorItEEZZNS1_9scan_implILNS1_25lookback_scan_determinismE0ELb0ELb0ES3_N6thrust23THRUST_200600_302600_NS6detail15normal_iteratorINS9_10device_ptrItEEEENS9_16discard_iteratorINS9_11use_defaultEEEtNS9_4plusIvEEtEEDaPvRmT3_T4_T5_mT6_P12ihipStream_tbENKUlT_T0_E_clISt17integral_constantIbLb0EESX_EEDaSS_ST_EUlSS_E_NS1_11comp_targetILNS1_3genE5ELNS1_11target_archE942ELNS1_3gpuE9ELNS1_3repE0EEENS1_30default_config_static_selectorELNS0_4arch9wavefront6targetE1EEEvT1_,@function
_ZN7rocprim17ROCPRIM_400000_NS6detail17trampoline_kernelINS0_14default_configENS1_20scan_config_selectorItEEZZNS1_9scan_implILNS1_25lookback_scan_determinismE0ELb0ELb0ES3_N6thrust23THRUST_200600_302600_NS6detail15normal_iteratorINS9_10device_ptrItEEEENS9_16discard_iteratorINS9_11use_defaultEEEtNS9_4plusIvEEtEEDaPvRmT3_T4_T5_mT6_P12ihipStream_tbENKUlT_T0_E_clISt17integral_constantIbLb0EESX_EEDaSS_ST_EUlSS_E_NS1_11comp_targetILNS1_3genE5ELNS1_11target_archE942ELNS1_3gpuE9ELNS1_3repE0EEENS1_30default_config_static_selectorELNS0_4arch9wavefront6targetE1EEEvT1_: ; @_ZN7rocprim17ROCPRIM_400000_NS6detail17trampoline_kernelINS0_14default_configENS1_20scan_config_selectorItEEZZNS1_9scan_implILNS1_25lookback_scan_determinismE0ELb0ELb0ES3_N6thrust23THRUST_200600_302600_NS6detail15normal_iteratorINS9_10device_ptrItEEEENS9_16discard_iteratorINS9_11use_defaultEEEtNS9_4plusIvEEtEEDaPvRmT3_T4_T5_mT6_P12ihipStream_tbENKUlT_T0_E_clISt17integral_constantIbLb0EESX_EEDaSS_ST_EUlSS_E_NS1_11comp_targetILNS1_3genE5ELNS1_11target_archE942ELNS1_3gpuE9ELNS1_3repE0EEENS1_30default_config_static_selectorELNS0_4arch9wavefront6targetE1EEEvT1_
; %bb.0:
	.section	.rodata,"a",@progbits
	.p2align	6, 0x0
	.amdhsa_kernel _ZN7rocprim17ROCPRIM_400000_NS6detail17trampoline_kernelINS0_14default_configENS1_20scan_config_selectorItEEZZNS1_9scan_implILNS1_25lookback_scan_determinismE0ELb0ELb0ES3_N6thrust23THRUST_200600_302600_NS6detail15normal_iteratorINS9_10device_ptrItEEEENS9_16discard_iteratorINS9_11use_defaultEEEtNS9_4plusIvEEtEEDaPvRmT3_T4_T5_mT6_P12ihipStream_tbENKUlT_T0_E_clISt17integral_constantIbLb0EESX_EEDaSS_ST_EUlSS_E_NS1_11comp_targetILNS1_3genE5ELNS1_11target_archE942ELNS1_3gpuE9ELNS1_3repE0EEENS1_30default_config_static_selectorELNS0_4arch9wavefront6targetE1EEEvT1_
		.amdhsa_group_segment_fixed_size 0
		.amdhsa_private_segment_fixed_size 0
		.amdhsa_kernarg_size 104
		.amdhsa_user_sgpr_count 6
		.amdhsa_user_sgpr_private_segment_buffer 1
		.amdhsa_user_sgpr_dispatch_ptr 0
		.amdhsa_user_sgpr_queue_ptr 0
		.amdhsa_user_sgpr_kernarg_segment_ptr 1
		.amdhsa_user_sgpr_dispatch_id 0
		.amdhsa_user_sgpr_flat_scratch_init 0
		.amdhsa_user_sgpr_kernarg_preload_length 0
		.amdhsa_user_sgpr_kernarg_preload_offset 0
		.amdhsa_user_sgpr_private_segment_size 0
		.amdhsa_uses_dynamic_stack 0
		.amdhsa_system_sgpr_private_segment_wavefront_offset 0
		.amdhsa_system_sgpr_workgroup_id_x 1
		.amdhsa_system_sgpr_workgroup_id_y 0
		.amdhsa_system_sgpr_workgroup_id_z 0
		.amdhsa_system_sgpr_workgroup_info 0
		.amdhsa_system_vgpr_workitem_id 0
		.amdhsa_next_free_vgpr 1
		.amdhsa_next_free_sgpr 0
		.amdhsa_accum_offset 4
		.amdhsa_reserve_vcc 0
		.amdhsa_reserve_flat_scratch 0
		.amdhsa_float_round_mode_32 0
		.amdhsa_float_round_mode_16_64 0
		.amdhsa_float_denorm_mode_32 3
		.amdhsa_float_denorm_mode_16_64 3
		.amdhsa_dx10_clamp 1
		.amdhsa_ieee_mode 1
		.amdhsa_fp16_overflow 0
		.amdhsa_tg_split 0
		.amdhsa_exception_fp_ieee_invalid_op 0
		.amdhsa_exception_fp_denorm_src 0
		.amdhsa_exception_fp_ieee_div_zero 0
		.amdhsa_exception_fp_ieee_overflow 0
		.amdhsa_exception_fp_ieee_underflow 0
		.amdhsa_exception_fp_ieee_inexact 0
		.amdhsa_exception_int_div_zero 0
	.end_amdhsa_kernel
	.section	.text._ZN7rocprim17ROCPRIM_400000_NS6detail17trampoline_kernelINS0_14default_configENS1_20scan_config_selectorItEEZZNS1_9scan_implILNS1_25lookback_scan_determinismE0ELb0ELb0ES3_N6thrust23THRUST_200600_302600_NS6detail15normal_iteratorINS9_10device_ptrItEEEENS9_16discard_iteratorINS9_11use_defaultEEEtNS9_4plusIvEEtEEDaPvRmT3_T4_T5_mT6_P12ihipStream_tbENKUlT_T0_E_clISt17integral_constantIbLb0EESX_EEDaSS_ST_EUlSS_E_NS1_11comp_targetILNS1_3genE5ELNS1_11target_archE942ELNS1_3gpuE9ELNS1_3repE0EEENS1_30default_config_static_selectorELNS0_4arch9wavefront6targetE1EEEvT1_,"axG",@progbits,_ZN7rocprim17ROCPRIM_400000_NS6detail17trampoline_kernelINS0_14default_configENS1_20scan_config_selectorItEEZZNS1_9scan_implILNS1_25lookback_scan_determinismE0ELb0ELb0ES3_N6thrust23THRUST_200600_302600_NS6detail15normal_iteratorINS9_10device_ptrItEEEENS9_16discard_iteratorINS9_11use_defaultEEEtNS9_4plusIvEEtEEDaPvRmT3_T4_T5_mT6_P12ihipStream_tbENKUlT_T0_E_clISt17integral_constantIbLb0EESX_EEDaSS_ST_EUlSS_E_NS1_11comp_targetILNS1_3genE5ELNS1_11target_archE942ELNS1_3gpuE9ELNS1_3repE0EEENS1_30default_config_static_selectorELNS0_4arch9wavefront6targetE1EEEvT1_,comdat
.Lfunc_end5439:
	.size	_ZN7rocprim17ROCPRIM_400000_NS6detail17trampoline_kernelINS0_14default_configENS1_20scan_config_selectorItEEZZNS1_9scan_implILNS1_25lookback_scan_determinismE0ELb0ELb0ES3_N6thrust23THRUST_200600_302600_NS6detail15normal_iteratorINS9_10device_ptrItEEEENS9_16discard_iteratorINS9_11use_defaultEEEtNS9_4plusIvEEtEEDaPvRmT3_T4_T5_mT6_P12ihipStream_tbENKUlT_T0_E_clISt17integral_constantIbLb0EESX_EEDaSS_ST_EUlSS_E_NS1_11comp_targetILNS1_3genE5ELNS1_11target_archE942ELNS1_3gpuE9ELNS1_3repE0EEENS1_30default_config_static_selectorELNS0_4arch9wavefront6targetE1EEEvT1_, .Lfunc_end5439-_ZN7rocprim17ROCPRIM_400000_NS6detail17trampoline_kernelINS0_14default_configENS1_20scan_config_selectorItEEZZNS1_9scan_implILNS1_25lookback_scan_determinismE0ELb0ELb0ES3_N6thrust23THRUST_200600_302600_NS6detail15normal_iteratorINS9_10device_ptrItEEEENS9_16discard_iteratorINS9_11use_defaultEEEtNS9_4plusIvEEtEEDaPvRmT3_T4_T5_mT6_P12ihipStream_tbENKUlT_T0_E_clISt17integral_constantIbLb0EESX_EEDaSS_ST_EUlSS_E_NS1_11comp_targetILNS1_3genE5ELNS1_11target_archE942ELNS1_3gpuE9ELNS1_3repE0EEENS1_30default_config_static_selectorELNS0_4arch9wavefront6targetE1EEEvT1_
                                        ; -- End function
	.section	.AMDGPU.csdata,"",@progbits
; Kernel info:
; codeLenInByte = 0
; NumSgprs: 4
; NumVgprs: 0
; NumAgprs: 0
; TotalNumVgprs: 0
; ScratchSize: 0
; MemoryBound: 0
; FloatMode: 240
; IeeeMode: 1
; LDSByteSize: 0 bytes/workgroup (compile time only)
; SGPRBlocks: 0
; VGPRBlocks: 0
; NumSGPRsForWavesPerEU: 4
; NumVGPRsForWavesPerEU: 1
; AccumOffset: 4
; Occupancy: 8
; WaveLimiterHint : 0
; COMPUTE_PGM_RSRC2:SCRATCH_EN: 0
; COMPUTE_PGM_RSRC2:USER_SGPR: 6
; COMPUTE_PGM_RSRC2:TRAP_HANDLER: 0
; COMPUTE_PGM_RSRC2:TGID_X_EN: 1
; COMPUTE_PGM_RSRC2:TGID_Y_EN: 0
; COMPUTE_PGM_RSRC2:TGID_Z_EN: 0
; COMPUTE_PGM_RSRC2:TIDIG_COMP_CNT: 0
; COMPUTE_PGM_RSRC3_GFX90A:ACCUM_OFFSET: 0
; COMPUTE_PGM_RSRC3_GFX90A:TG_SPLIT: 0
	.section	.text._ZN7rocprim17ROCPRIM_400000_NS6detail17trampoline_kernelINS0_14default_configENS1_20scan_config_selectorItEEZZNS1_9scan_implILNS1_25lookback_scan_determinismE0ELb0ELb0ES3_N6thrust23THRUST_200600_302600_NS6detail15normal_iteratorINS9_10device_ptrItEEEENS9_16discard_iteratorINS9_11use_defaultEEEtNS9_4plusIvEEtEEDaPvRmT3_T4_T5_mT6_P12ihipStream_tbENKUlT_T0_E_clISt17integral_constantIbLb0EESX_EEDaSS_ST_EUlSS_E_NS1_11comp_targetILNS1_3genE4ELNS1_11target_archE910ELNS1_3gpuE8ELNS1_3repE0EEENS1_30default_config_static_selectorELNS0_4arch9wavefront6targetE1EEEvT1_,"axG",@progbits,_ZN7rocprim17ROCPRIM_400000_NS6detail17trampoline_kernelINS0_14default_configENS1_20scan_config_selectorItEEZZNS1_9scan_implILNS1_25lookback_scan_determinismE0ELb0ELb0ES3_N6thrust23THRUST_200600_302600_NS6detail15normal_iteratorINS9_10device_ptrItEEEENS9_16discard_iteratorINS9_11use_defaultEEEtNS9_4plusIvEEtEEDaPvRmT3_T4_T5_mT6_P12ihipStream_tbENKUlT_T0_E_clISt17integral_constantIbLb0EESX_EEDaSS_ST_EUlSS_E_NS1_11comp_targetILNS1_3genE4ELNS1_11target_archE910ELNS1_3gpuE8ELNS1_3repE0EEENS1_30default_config_static_selectorELNS0_4arch9wavefront6targetE1EEEvT1_,comdat
	.protected	_ZN7rocprim17ROCPRIM_400000_NS6detail17trampoline_kernelINS0_14default_configENS1_20scan_config_selectorItEEZZNS1_9scan_implILNS1_25lookback_scan_determinismE0ELb0ELb0ES3_N6thrust23THRUST_200600_302600_NS6detail15normal_iteratorINS9_10device_ptrItEEEENS9_16discard_iteratorINS9_11use_defaultEEEtNS9_4plusIvEEtEEDaPvRmT3_T4_T5_mT6_P12ihipStream_tbENKUlT_T0_E_clISt17integral_constantIbLb0EESX_EEDaSS_ST_EUlSS_E_NS1_11comp_targetILNS1_3genE4ELNS1_11target_archE910ELNS1_3gpuE8ELNS1_3repE0EEENS1_30default_config_static_selectorELNS0_4arch9wavefront6targetE1EEEvT1_ ; -- Begin function _ZN7rocprim17ROCPRIM_400000_NS6detail17trampoline_kernelINS0_14default_configENS1_20scan_config_selectorItEEZZNS1_9scan_implILNS1_25lookback_scan_determinismE0ELb0ELb0ES3_N6thrust23THRUST_200600_302600_NS6detail15normal_iteratorINS9_10device_ptrItEEEENS9_16discard_iteratorINS9_11use_defaultEEEtNS9_4plusIvEEtEEDaPvRmT3_T4_T5_mT6_P12ihipStream_tbENKUlT_T0_E_clISt17integral_constantIbLb0EESX_EEDaSS_ST_EUlSS_E_NS1_11comp_targetILNS1_3genE4ELNS1_11target_archE910ELNS1_3gpuE8ELNS1_3repE0EEENS1_30default_config_static_selectorELNS0_4arch9wavefront6targetE1EEEvT1_
	.globl	_ZN7rocprim17ROCPRIM_400000_NS6detail17trampoline_kernelINS0_14default_configENS1_20scan_config_selectorItEEZZNS1_9scan_implILNS1_25lookback_scan_determinismE0ELb0ELb0ES3_N6thrust23THRUST_200600_302600_NS6detail15normal_iteratorINS9_10device_ptrItEEEENS9_16discard_iteratorINS9_11use_defaultEEEtNS9_4plusIvEEtEEDaPvRmT3_T4_T5_mT6_P12ihipStream_tbENKUlT_T0_E_clISt17integral_constantIbLb0EESX_EEDaSS_ST_EUlSS_E_NS1_11comp_targetILNS1_3genE4ELNS1_11target_archE910ELNS1_3gpuE8ELNS1_3repE0EEENS1_30default_config_static_selectorELNS0_4arch9wavefront6targetE1EEEvT1_
	.p2align	8
	.type	_ZN7rocprim17ROCPRIM_400000_NS6detail17trampoline_kernelINS0_14default_configENS1_20scan_config_selectorItEEZZNS1_9scan_implILNS1_25lookback_scan_determinismE0ELb0ELb0ES3_N6thrust23THRUST_200600_302600_NS6detail15normal_iteratorINS9_10device_ptrItEEEENS9_16discard_iteratorINS9_11use_defaultEEEtNS9_4plusIvEEtEEDaPvRmT3_T4_T5_mT6_P12ihipStream_tbENKUlT_T0_E_clISt17integral_constantIbLb0EESX_EEDaSS_ST_EUlSS_E_NS1_11comp_targetILNS1_3genE4ELNS1_11target_archE910ELNS1_3gpuE8ELNS1_3repE0EEENS1_30default_config_static_selectorELNS0_4arch9wavefront6targetE1EEEvT1_,@function
_ZN7rocprim17ROCPRIM_400000_NS6detail17trampoline_kernelINS0_14default_configENS1_20scan_config_selectorItEEZZNS1_9scan_implILNS1_25lookback_scan_determinismE0ELb0ELb0ES3_N6thrust23THRUST_200600_302600_NS6detail15normal_iteratorINS9_10device_ptrItEEEENS9_16discard_iteratorINS9_11use_defaultEEEtNS9_4plusIvEEtEEDaPvRmT3_T4_T5_mT6_P12ihipStream_tbENKUlT_T0_E_clISt17integral_constantIbLb0EESX_EEDaSS_ST_EUlSS_E_NS1_11comp_targetILNS1_3genE4ELNS1_11target_archE910ELNS1_3gpuE8ELNS1_3repE0EEENS1_30default_config_static_selectorELNS0_4arch9wavefront6targetE1EEEvT1_: ; @_ZN7rocprim17ROCPRIM_400000_NS6detail17trampoline_kernelINS0_14default_configENS1_20scan_config_selectorItEEZZNS1_9scan_implILNS1_25lookback_scan_determinismE0ELb0ELb0ES3_N6thrust23THRUST_200600_302600_NS6detail15normal_iteratorINS9_10device_ptrItEEEENS9_16discard_iteratorINS9_11use_defaultEEEtNS9_4plusIvEEtEEDaPvRmT3_T4_T5_mT6_P12ihipStream_tbENKUlT_T0_E_clISt17integral_constantIbLb0EESX_EEDaSS_ST_EUlSS_E_NS1_11comp_targetILNS1_3genE4ELNS1_11target_archE910ELNS1_3gpuE8ELNS1_3repE0EEENS1_30default_config_static_selectorELNS0_4arch9wavefront6targetE1EEEvT1_
; %bb.0:
	s_load_dwordx4 s[0:3], s[4:5], 0x0
	s_load_dwordx2 s[8:9], s[4:5], 0x20
	s_load_dword s7, s[4:5], 0x38
	s_waitcnt lgkmcnt(0)
	s_lshl_b64 s[2:3], s[2:3], 1
	s_add_u32 s2, s0, s2
	s_addc_u32 s3, s1, s3
	s_add_i32 s7, s7, -1
	s_mul_i32 s10, s7, 0x600
	s_sub_u32 s16, s8, s10
	s_subb_u32 s17, s9, 0
	s_mul_i32 s0, s6, 0x600
	s_mov_b32 s1, 0
	s_cmp_lg_u32 s6, s7
	s_cselect_b64 s[12:13], -1, 0
	s_lshl_b64 s[0:1], s[0:1], 1
	s_add_u32 s0, s2, s0
	s_addc_u32 s1, s3, s1
	s_mov_b64 s[2:3], -1
	s_and_b64 vcc, exec, s[12:13]
	s_cbranch_vccz .LBB5440_2
; %bb.1:
	v_lshlrev_b32_e32 v1, 1, v0
	v_mov_b32_e32 v3, s1
	v_add_co_u32_e32 v2, vcc, s0, v1
	v_addc_co_u32_e32 v3, vcc, 0, v3, vcc
	flat_load_ushort v4, v[2:3]
	flat_load_ushort v5, v[2:3] offset:128
	flat_load_ushort v6, v[2:3] offset:256
	;; [unrolled: 1-line block ×23, first 2 shown]
	s_mov_b64 s[2:3], 0
	s_waitcnt vmcnt(0) lgkmcnt(0)
	ds_write_b16 v1, v4
	ds_write_b16 v1, v5 offset:128
	ds_write_b16 v1, v6 offset:256
	;; [unrolled: 1-line block ×23, first 2 shown]
	s_waitcnt lgkmcnt(0)
	; wave barrier
.LBB5440_2:
	s_load_dwordx2 s[14:15], s[4:5], 0x30
	s_andn2_b64 vcc, exec, s[2:3]
	s_cbranch_vccnz .LBB5440_52
; %bb.3:
	v_pk_mov_b32 v[2:3], s[0:1], s[0:1] op_sel:[0,1]
	flat_load_ushort v1, v[2:3]
	v_cmp_gt_u32_e32 vcc, s16, v0
	s_waitcnt vmcnt(0) lgkmcnt(0)
	v_mov_b32_e32 v2, v1
	s_and_saveexec_b64 s[2:3], vcc
	s_cbranch_execz .LBB5440_5
; %bb.4:
	v_lshlrev_b32_e32 v2, 1, v0
	v_mov_b32_e32 v3, s1
	v_add_co_u32_e32 v2, vcc, s0, v2
	v_addc_co_u32_e32 v3, vcc, 0, v3, vcc
	flat_load_ushort v2, v[2:3]
.LBB5440_5:
	s_or_b64 exec, exec, s[2:3]
	v_or_b32_e32 v3, 64, v0
	v_cmp_gt_u32_e32 vcc, s16, v3
	v_mov_b32_e32 v3, v1
	s_and_saveexec_b64 s[2:3], vcc
	s_cbranch_execz .LBB5440_7
; %bb.6:
	v_lshlrev_b32_e32 v3, 1, v0
	v_mov_b32_e32 v5, s1
	v_add_co_u32_e32 v4, vcc, s0, v3
	v_addc_co_u32_e32 v5, vcc, 0, v5, vcc
	flat_load_ushort v3, v[4:5] offset:128
.LBB5440_7:
	s_or_b64 exec, exec, s[2:3]
	v_or_b32_e32 v4, 0x80, v0
	v_cmp_gt_u32_e32 vcc, s16, v4
	v_mov_b32_e32 v4, v1
	s_and_saveexec_b64 s[2:3], vcc
	s_cbranch_execz .LBB5440_9
; %bb.8:
	v_lshlrev_b32_e32 v4, 1, v0
	v_mov_b32_e32 v5, s1
	v_add_co_u32_e32 v4, vcc, s0, v4
	v_addc_co_u32_e32 v5, vcc, 0, v5, vcc
	flat_load_ushort v4, v[4:5] offset:256
.LBB5440_9:
	;; [unrolled: 13-line block ×22, first 2 shown]
	s_or_b64 exec, exec, s[2:3]
	v_or_b32_e32 v25, 0x5c0, v0
	v_cmp_gt_u32_e32 vcc, s16, v25
	s_and_saveexec_b64 s[2:3], vcc
	s_cbranch_execz .LBB5440_51
; %bb.50:
	v_lshlrev_b32_e32 v1, 1, v0
	v_mov_b32_e32 v25, s1
	v_add_co_u32_e32 v26, vcc, s0, v1
	v_addc_co_u32_e32 v27, vcc, 0, v25, vcc
	flat_load_ushort v1, v[26:27] offset:2944
.LBB5440_51:
	s_or_b64 exec, exec, s[2:3]
	v_lshlrev_b32_e32 v25, 1, v0
	s_waitcnt vmcnt(0) lgkmcnt(0)
	ds_write_b16 v25, v2
	ds_write_b16 v25, v3 offset:128
	ds_write_b16 v25, v4 offset:256
	;; [unrolled: 1-line block ×23, first 2 shown]
	s_waitcnt lgkmcnt(0)
	; wave barrier
.LBB5440_52:
	v_mul_u32_u24_e32 v20, 24, v0
	v_lshlrev_b32_e32 v1, 1, v20
	s_waitcnt lgkmcnt(0)
	ds_read_b128 v[10:13], v1
	ds_read_b128 v[6:9], v1 offset:16
	ds_read_b128 v[2:5], v1 offset:32
	s_cmp_lg_u32 s6, 0
	v_mbcnt_lo_u32_b32 v21, -1, 0
	v_cmp_eq_u32_e32 vcc, 63, v0
	s_waitcnt lgkmcnt(0)
	; wave barrier
	s_waitcnt lgkmcnt(0)
	s_cbranch_scc0 .LBB5440_75
; %bb.53:
	v_add_u16_sdwa v14, v10, v10 dst_sel:DWORD dst_unused:UNUSED_PAD src0_sel:WORD_1 src1_sel:DWORD
	v_add_u16_e32 v14, v14, v11
	v_add_u16_sdwa v14, v14, v11 dst_sel:DWORD dst_unused:UNUSED_PAD src0_sel:DWORD src1_sel:WORD_1
	v_add_u16_e32 v14, v14, v12
	v_add_u16_sdwa v14, v14, v12 dst_sel:DWORD dst_unused:UNUSED_PAD src0_sel:DWORD src1_sel:WORD_1
	;; [unrolled: 2-line block ×10, first 2 shown]
	v_add_u16_e32 v14, v14, v5
	v_mbcnt_hi_u32_b32 v15, -1, v21
	v_add_u16_sdwa v14, v14, v5 dst_sel:DWORD dst_unused:UNUSED_PAD src0_sel:DWORD src1_sel:WORD_1
	v_and_b32_e32 v16, 15, v15
	v_cmp_ne_u32_e64 s[0:1], 0, v16
	v_mov_b32_dpp v17, v14 row_shr:1 row_mask:0xf bank_mask:0xf
	v_cndmask_b32_e64 v17, 0, v17, s[0:1]
	v_add_u16_e32 v14, v17, v14
	v_cmp_lt_u32_e64 s[0:1], 1, v16
	s_nop 0
	v_mov_b32_dpp v17, v14 row_shr:2 row_mask:0xf bank_mask:0xf
	v_cndmask_b32_e64 v17, 0, v17, s[0:1]
	v_add_u16_e32 v14, v14, v17
	v_cmp_lt_u32_e64 s[0:1], 3, v16
	s_nop 0
	;; [unrolled: 5-line block ×3, first 2 shown]
	v_mov_b32_dpp v17, v14 row_shr:8 row_mask:0xf bank_mask:0xf
	v_cndmask_b32_e64 v16, 0, v17, s[0:1]
	v_add_u16_e32 v14, v14, v16
	v_and_b32_e32 v17, 16, v15
	v_cmp_ne_u32_e64 s[0:1], 0, v17
	v_mov_b32_dpp v16, v14 row_bcast:15 row_mask:0xf bank_mask:0xf
	v_cndmask_b32_e64 v16, 0, v16, s[0:1]
	v_add_u16_e32 v14, v14, v16
	v_cmp_lt_u32_e64 s[0:1], 31, v15
	s_nop 0
	v_mov_b32_dpp v16, v14 row_bcast:31 row_mask:0xf bank_mask:0xf
	v_cndmask_b32_e64 v16, 0, v16, s[0:1]
	v_add_u16_e32 v14, v14, v16
	s_and_saveexec_b64 s[0:1], vcc
	s_cbranch_execz .LBB5440_55
; %bb.54:
	v_mov_b32_e32 v16, 0
	ds_write_b16 v16, v14
.LBB5440_55:
	s_or_b64 exec, exec, s[0:1]
	v_add_u32_e32 v16, -1, v15
	v_and_b32_e32 v17, 64, v15
	v_cmp_lt_i32_e32 vcc, v16, v17
	v_cndmask_b32_e32 v16, v16, v15, vcc
	v_lshlrev_b32_e32 v16, 2, v16
	ds_bpermute_b32 v22, v16, v14
	v_cmp_gt_u32_e32 vcc, 64, v0
	s_waitcnt lgkmcnt(0)
	; wave barrier
	s_waitcnt lgkmcnt(0)
	s_and_saveexec_b64 s[10:11], vcc
	s_cbranch_execz .LBB5440_74
; %bb.56:
	v_mov_b32_e32 v17, 0
	ds_read_u16 v23, v17
	s_mov_b32 s9, 0
	v_cmp_eq_u32_e64 s[0:1], 0, v15
	s_and_saveexec_b64 s[2:3], s[0:1]
	s_cbranch_execz .LBB5440_58
; %bb.57:
	s_add_i32 s8, s6, 64
	s_lshl_b64 s[8:9], s[8:9], 2
	s_add_u32 s8, s14, s8
	s_waitcnt lgkmcnt(0)
	v_or_b32_e32 v14, 0x10000, v23
	s_addc_u32 s9, s15, s9
	global_store_dword v17, v14, s[8:9]
.LBB5440_58:
	s_or_b64 exec, exec, s[2:3]
	v_xad_u32 v14, v15, -1, s6
	v_add_u32_e32 v16, 64, v14
	v_lshlrev_b64 v[18:19], 2, v[16:17]
	v_mov_b32_e32 v16, s15
	v_add_co_u32_e32 v18, vcc, s14, v18
	v_addc_co_u32_e32 v19, vcc, v16, v19, vcc
	global_load_dword v36, v[18:19], off glc
	s_waitcnt vmcnt(0)
	v_lshrrev_b32_e32 v25, 16, v36
	v_cmp_eq_u16_sdwa s[8:9], v25, v17 src0_sel:BYTE_0 src1_sel:DWORD
	s_and_saveexec_b64 s[2:3], s[8:9]
	s_cbranch_execz .LBB5440_62
; %bb.59:
	s_mov_b64 s[8:9], 0
	v_mov_b32_e32 v16, 0
.LBB5440_60:                            ; =>This Inner Loop Header: Depth=1
	global_load_dword v36, v[18:19], off glc
	s_waitcnt vmcnt(0)
	v_lshrrev_b32_e32 v25, 16, v36
	v_cmp_ne_u16_sdwa s[18:19], v25, v16 src0_sel:BYTE_0 src1_sel:DWORD
	s_or_b64 s[8:9], s[18:19], s[8:9]
	s_andn2_b64 exec, exec, s[8:9]
	s_cbranch_execnz .LBB5440_60
; %bb.61:
	s_or_b64 exec, exec, s[8:9]
.LBB5440_62:
	s_or_b64 exec, exec, s[2:3]
	v_and_b32_e32 v26, 63, v15
	v_cmp_ne_u32_e32 vcc, 63, v26
	v_mov_b32_e32 v24, 2
	v_addc_co_u32_e32 v27, vcc, 0, v15, vcc
	v_cmp_eq_u16_sdwa s[2:3], v25, v24 src0_sel:BYTE_0 src1_sel:DWORD
	v_lshlrev_b64 v[16:17], v15, -1
	v_and_b32_e32 v28, 0xffff, v36
	v_lshlrev_b32_e32 v27, 2, v27
	v_and_b32_e32 v18, s3, v17
	ds_bpermute_b32 v29, v27, v28
	v_or_b32_e32 v18, 0x80000000, v18
	v_and_b32_e32 v19, s2, v16
	v_ffbl_b32_e32 v18, v18
	v_add_u32_e32 v18, 32, v18
	v_ffbl_b32_e32 v19, v19
	v_min_u32_e32 v18, v19, v18
	s_waitcnt lgkmcnt(0)
	v_add_u16_e32 v19, v29, v36
	v_cmp_lt_u32_e32 vcc, v26, v18
	v_cmp_gt_u32_e64 s[2:3], 62, v26
	v_cndmask_b32_e32 v30, v28, v19, vcc
	v_cndmask_b32_e64 v28, 0, 1, s[2:3]
	v_lshlrev_b32_e32 v28, 1, v28
	v_add_lshl_u32 v28, v28, v15, 2
	ds_bpermute_b32 v31, v28, v30
	v_cndmask_b32_e32 v19, v36, v19, vcc
	v_add_u32_e32 v29, 2, v26
	v_cmp_gt_u32_e64 s[2:3], v29, v18
	v_cmp_gt_u32_e64 s[8:9], 60, v26
	s_waitcnt lgkmcnt(0)
	v_add_u16_e32 v31, v19, v31
	v_cndmask_b32_e64 v32, v31, v30, s[2:3]
	v_cndmask_b32_e64 v30, 0, 1, s[8:9]
	v_lshlrev_b32_e32 v30, 2, v30
	v_add_lshl_u32 v30, v30, v15, 2
	ds_bpermute_b32 v33, v30, v32
	v_cndmask_b32_e64 v19, v31, v19, s[2:3]
	v_add_u32_e32 v31, 4, v26
	v_cmp_gt_u32_e64 s[2:3], v31, v18
	v_cmp_gt_u32_e64 s[8:9], 56, v26
	s_waitcnt lgkmcnt(0)
	v_add_u16_e32 v33, v19, v33
	v_cndmask_b32_e64 v34, v33, v32, s[2:3]
	v_cndmask_b32_e64 v32, 0, 1, s[8:9]
	v_lshlrev_b32_e32 v32, 3, v32
	v_add_lshl_u32 v32, v32, v15, 2
	ds_bpermute_b32 v35, v32, v34
	v_cndmask_b32_e64 v19, v33, v19, s[2:3]
	;; [unrolled: 11-line block ×3, first 2 shown]
	v_add_u32_e32 v35, 16, v26
	v_cmp_gt_u32_e64 s[2:3], v35, v18
	v_cmp_gt_u32_e64 s[8:9], 32, v26
	s_waitcnt lgkmcnt(0)
	v_add_u16_e32 v39, v19, v38
	v_cndmask_b32_e64 v38, v39, v37, s[2:3]
	v_cndmask_b32_e64 v37, 0, 1, s[8:9]
	v_lshlrev_b32_e32 v37, 5, v37
	v_add_lshl_u32 v37, v37, v15, 2
	ds_bpermute_b32 v15, v37, v38
	v_add_u32_e32 v38, 32, v26
	v_cndmask_b32_e64 v19, v39, v19, s[2:3]
	v_cmp_le_u32_e64 s[2:3], v38, v18
	s_waitcnt lgkmcnt(0)
	v_cndmask_b32_e64 v15, 0, v15, s[2:3]
	v_add_u16_e32 v15, v19, v15
	v_cndmask_b32_e32 v18, v36, v15, vcc
	v_mov_b32_e32 v15, 0
	s_branch .LBB5440_64
.LBB5440_63:                            ;   in Loop: Header=BB5440_64 Depth=1
	s_or_b64 exec, exec, s[2:3]
	v_cmp_eq_u16_sdwa s[2:3], v25, v24 src0_sel:BYTE_0 src1_sel:DWORD
	v_and_b32_e32 v40, 0xffff, v39
	v_and_b32_e32 v18, s3, v17
	ds_bpermute_b32 v41, v27, v40
	v_or_b32_e32 v18, 0x80000000, v18
	v_and_b32_e32 v19, s2, v16
	v_ffbl_b32_e32 v18, v18
	v_add_u32_e32 v18, 32, v18
	v_ffbl_b32_e32 v19, v19
	v_min_u32_e32 v18, v19, v18
	s_waitcnt lgkmcnt(0)
	v_add_u16_e32 v19, v41, v39
	v_cmp_lt_u32_e32 vcc, v26, v18
	v_cndmask_b32_e32 v40, v40, v19, vcc
	ds_bpermute_b32 v41, v28, v40
	v_cndmask_b32_e32 v19, v39, v19, vcc
	v_cmp_gt_u32_e64 s[2:3], v29, v18
	v_subrev_u32_e32 v14, 64, v14
	s_waitcnt lgkmcnt(0)
	v_add_u16_e32 v41, v19, v41
	v_cndmask_b32_e64 v40, v41, v40, s[2:3]
	ds_bpermute_b32 v42, v30, v40
	v_cndmask_b32_e64 v19, v41, v19, s[2:3]
	v_cmp_gt_u32_e64 s[2:3], v31, v18
	s_waitcnt lgkmcnt(0)
	v_add_u16_e32 v41, v19, v42
	v_cndmask_b32_e64 v40, v41, v40, s[2:3]
	ds_bpermute_b32 v42, v32, v40
	v_cndmask_b32_e64 v19, v41, v19, s[2:3]
	v_cmp_gt_u32_e64 s[2:3], v33, v18
	;; [unrolled: 6-line block ×3, first 2 shown]
	s_waitcnt lgkmcnt(0)
	v_add_u16_e32 v41, v19, v42
	v_cndmask_b32_e64 v40, v41, v40, s[2:3]
	ds_bpermute_b32 v40, v37, v40
	v_cndmask_b32_e64 v19, v41, v19, s[2:3]
	v_cmp_le_u32_e64 s[2:3], v38, v18
	s_waitcnt lgkmcnt(0)
	v_cndmask_b32_e64 v18, 0, v40, s[2:3]
	v_add_u16_e32 v18, v19, v18
	v_cndmask_b32_e32 v18, v39, v18, vcc
	v_add_u16_e32 v18, v18, v36
.LBB5440_64:                            ; =>This Loop Header: Depth=1
                                        ;     Child Loop BB5440_67 Depth 2
	v_cmp_ne_u16_sdwa s[2:3], v25, v24 src0_sel:BYTE_0 src1_sel:DWORD
	v_cndmask_b32_e64 v19, 0, 1, s[2:3]
	;;#ASMSTART
	;;#ASMEND
	v_cmp_ne_u32_e32 vcc, 0, v19
	s_cmp_lg_u64 vcc, exec
	v_mov_b32_e32 v36, v18
	s_cbranch_scc1 .LBB5440_69
; %bb.65:                               ;   in Loop: Header=BB5440_64 Depth=1
	v_lshlrev_b64 v[18:19], 2, v[14:15]
	v_mov_b32_e32 v25, s15
	v_add_co_u32_e32 v18, vcc, s14, v18
	v_addc_co_u32_e32 v19, vcc, v25, v19, vcc
	global_load_dword v39, v[18:19], off glc
	s_waitcnt vmcnt(0)
	v_lshrrev_b32_e32 v25, 16, v39
	v_cmp_eq_u16_sdwa s[8:9], v25, v15 src0_sel:BYTE_0 src1_sel:DWORD
	s_and_saveexec_b64 s[2:3], s[8:9]
	s_cbranch_execz .LBB5440_63
; %bb.66:                               ;   in Loop: Header=BB5440_64 Depth=1
	s_mov_b64 s[8:9], 0
.LBB5440_67:                            ;   Parent Loop BB5440_64 Depth=1
                                        ; =>  This Inner Loop Header: Depth=2
	global_load_dword v39, v[18:19], off glc
	s_waitcnt vmcnt(0)
	v_lshrrev_b32_e32 v25, 16, v39
	v_cmp_ne_u16_sdwa s[18:19], v25, v15 src0_sel:BYTE_0 src1_sel:DWORD
	s_or_b64 s[8:9], s[18:19], s[8:9]
	s_andn2_b64 exec, exec, s[8:9]
	s_cbranch_execnz .LBB5440_67
; %bb.68:                               ;   in Loop: Header=BB5440_64 Depth=1
	s_or_b64 exec, exec, s[8:9]
	s_branch .LBB5440_63
.LBB5440_69:                            ;   in Loop: Header=BB5440_64 Depth=1
                                        ; implicit-def: $vgpr18
                                        ; implicit-def: $vgpr25
	s_cbranch_execz .LBB5440_64
; %bb.70:
	s_and_saveexec_b64 s[2:3], s[0:1]
	s_cbranch_execz .LBB5440_72
; %bb.71:
	s_add_i32 s0, s6, 64
	s_mov_b32 s1, 0
	s_lshl_b64 s[0:1], s[0:1], 2
	v_add_u16_e32 v14, v36, v23
	s_add_u32 s0, s14, s0
	v_or_b32_e32 v14, 0x20000, v14
	s_addc_u32 s1, s15, s1
	v_mov_b32_e32 v15, 0
	global_store_dword v15, v14, s[0:1]
.LBB5440_72:
	s_or_b64 exec, exec, s[2:3]
	v_cmp_eq_u32_e32 vcc, 0, v0
	s_and_b64 exec, exec, vcc
	s_cbranch_execz .LBB5440_74
; %bb.73:
	v_mov_b32_e32 v14, 0
	ds_write_b16 v14, v36
.LBB5440_74:
	s_or_b64 exec, exec, s[10:11]
	v_mov_b32_e32 v14, 0
	s_waitcnt lgkmcnt(0)
	; wave barrier
	s_waitcnt lgkmcnt(0)
	ds_read_u16 v14, v14
	v_cmp_ne_u32_e32 vcc, 0, v0
	v_cndmask_b32_e32 v15, 0, v22, vcc
	v_add_u16_e32 v15, v15, v10
	s_waitcnt lgkmcnt(0)
	v_add_u16_e32 v14, v15, v14
	v_add_u16_sdwa v15, v14, v10 dst_sel:DWORD dst_unused:UNUSED_PAD src0_sel:DWORD src1_sel:WORD_1
	v_add_u16_e32 v16, v15, v11
	v_add_u16_sdwa v17, v16, v11 dst_sel:DWORD dst_unused:UNUSED_PAD src0_sel:DWORD src1_sel:WORD_1
	;; [unrolled: 2-line block ×12, first 2 shown]
	s_load_dwordx8 s[4:11], s[4:5], 0x40
	s_branch .LBB5440_85
.LBB5440_75:
                                        ; implicit-def: $vgpr14
                                        ; implicit-def: $vgpr15
                                        ; implicit-def: $vgpr16
                                        ; implicit-def: $vgpr17
                                        ; implicit-def: $vgpr18
                                        ; implicit-def: $vgpr19
                                        ; implicit-def: $vgpr23
                                        ; implicit-def: $vgpr25
                                        ; implicit-def: $vgpr22
                                        ; implicit-def: $vgpr24
                                        ; implicit-def: $vgpr26
                                        ; implicit-def: $vgpr27
                                        ; implicit-def: $vgpr28
                                        ; implicit-def: $vgpr29
                                        ; implicit-def: $vgpr31
                                        ; implicit-def: $vgpr33
                                        ; implicit-def: $vgpr30
                                        ; implicit-def: $vgpr32
                                        ; implicit-def: $vgpr34
                                        ; implicit-def: $vgpr35
                                        ; implicit-def: $vgpr36
                                        ; implicit-def: $vgpr37
                                        ; implicit-def: $vgpr38
                                        ; implicit-def: $vgpr39
	s_load_dwordx8 s[4:11], s[4:5], 0x40
	s_cbranch_execz .LBB5440_85
; %bb.76:
	s_waitcnt lgkmcnt(0)
	s_cmp_lg_u64 s[8:9], 0
	s_cselect_b64 s[2:3], -1, 0
	v_cmp_eq_u32_e32 vcc, 0, v0
	v_cmp_ne_u32_e64 s[0:1], 0, v0
	s_and_b64 s[8:9], vcc, s[2:3]
	v_mov_b32_e32 v14, v10
	s_and_saveexec_b64 s[2:3], s[8:9]
	s_cbranch_execz .LBB5440_78
; %bb.77:
	v_mov_b32_e32 v14, 0
	global_load_ushort v14, v14, s[4:5]
	s_waitcnt vmcnt(0)
	v_add_u16_e32 v14, v14, v10
.LBB5440_78:
	s_or_b64 exec, exec, s[2:3]
	v_add_u16_sdwa v15, v14, v10 dst_sel:DWORD dst_unused:UNUSED_PAD src0_sel:DWORD src1_sel:WORD_1
	v_add_u16_e32 v16, v15, v11
	v_add_u16_sdwa v17, v16, v11 dst_sel:DWORD dst_unused:UNUSED_PAD src0_sel:DWORD src1_sel:WORD_1
	v_add_u16_e32 v18, v17, v12
	;; [unrolled: 2-line block ×11, first 2 shown]
	v_mbcnt_hi_u32_b32 v21, -1, v21
	v_add_u16_sdwa v39, v38, v5 dst_sel:DWORD dst_unused:UNUSED_PAD src0_sel:DWORD src1_sel:WORD_1
	v_and_b32_e32 v40, 15, v21
	v_cmp_ne_u32_e32 vcc, 0, v40
	v_mov_b32_dpp v41, v39 row_shr:1 row_mask:0xf bank_mask:0xf
	v_cndmask_b32_e32 v41, 0, v41, vcc
	v_add_u16_e32 v41, v39, v41
	v_cmp_lt_u32_e32 vcc, 1, v40
	s_nop 0
	v_mov_b32_dpp v42, v41 row_shr:2 row_mask:0xf bank_mask:0xf
	v_cndmask_b32_e32 v42, 0, v42, vcc
	v_add_u16_e32 v41, v41, v42
	v_cmp_lt_u32_e32 vcc, 3, v40
	s_nop 0
	;; [unrolled: 5-line block ×3, first 2 shown]
	v_mov_b32_dpp v42, v41 row_shr:8 row_mask:0xf bank_mask:0xf
	v_cndmask_b32_e32 v40, 0, v42, vcc
	v_add_u16_e32 v40, v41, v40
	v_and_b32_e32 v42, 16, v21
	v_cmp_ne_u32_e32 vcc, 0, v42
	v_mov_b32_dpp v41, v40 row_bcast:15 row_mask:0xf bank_mask:0xf
	v_cndmask_b32_e32 v41, 0, v41, vcc
	v_add_u16_e32 v40, v40, v41
	v_cmp_lt_u32_e32 vcc, 31, v21
	s_nop 0
	v_mov_b32_dpp v41, v40 row_bcast:31 row_mask:0xf bank_mask:0xf
	v_cndmask_b32_e32 v41, 0, v41, vcc
	v_add_u16_e32 v40, v40, v41
	v_cmp_eq_u32_e32 vcc, 63, v0
	s_and_saveexec_b64 s[2:3], vcc
	s_cbranch_execz .LBB5440_80
; %bb.79:
	v_mov_b32_e32 v41, 0
	ds_write_b16 v41, v40
.LBB5440_80:
	s_or_b64 exec, exec, s[2:3]
	v_add_u32_e32 v41, -1, v21
	v_and_b32_e32 v42, 64, v21
	v_cmp_lt_i32_e64 s[2:3], v41, v42
	v_cndmask_b32_e64 v21, v41, v21, s[2:3]
	v_lshlrev_b32_e32 v21, 2, v21
	ds_bpermute_b32 v21, v21, v40
	s_waitcnt lgkmcnt(0)
	; wave barrier
	s_waitcnt lgkmcnt(0)
	s_and_saveexec_b64 s[2:3], s[0:1]
	s_cbranch_execz .LBB5440_82
; %bb.81:
	v_add_u16_e32 v14, v14, v21
	v_add_u16_sdwa v15, v14, v10 dst_sel:DWORD dst_unused:UNUSED_PAD src0_sel:DWORD src1_sel:WORD_1
	v_add_u16_e32 v16, v15, v11
	v_add_u16_sdwa v17, v16, v11 dst_sel:DWORD dst_unused:UNUSED_PAD src0_sel:DWORD src1_sel:WORD_1
	;; [unrolled: 2-line block ×12, first 2 shown]
	;;#ASMSTART
	;;#ASMEND
.LBB5440_82:
	s_or_b64 exec, exec, s[2:3]
	s_and_saveexec_b64 s[0:1], vcc
	s_cbranch_execz .LBB5440_84
; %bb.83:
	s_mov_b32 s2, 0x20000
	v_mov_b32_e32 v2, 0
	v_or_b32_sdwa v3, v39, s2 dst_sel:DWORD dst_unused:UNUSED_PAD src0_sel:WORD_0 src1_sel:DWORD
	global_store_dword v2, v3, s[14:15] offset:256
.LBB5440_84:
	s_or_b64 exec, exec, s[0:1]
.LBB5440_85:
	s_mov_b32 s0, 0x5040100
	v_perm_b32 v5, v25, v23, s0
	v_perm_b32 v4, v19, v18, s0
	;; [unrolled: 1-line block ×4, first 2 shown]
	s_waitcnt lgkmcnt(0)
	; wave barrier
	s_waitcnt lgkmcnt(0)
	ds_write_b128 v1, v[2:5]
	v_perm_b32 v5, v33, v31, s0
	v_perm_b32 v4, v29, v28, s0
	;; [unrolled: 1-line block ×4, first 2 shown]
	ds_write_b128 v1, v[2:5] offset:16
	v_perm_b32 v5, v39, v38, s0
	v_perm_b32 v4, v37, v36, s0
	;; [unrolled: 1-line block ×4, first 2 shown]
	s_mov_b64 s[0:1], -1
	s_and_b64 vcc, exec, s[12:13]
	ds_write_b128 v1, v[2:5] offset:32
	s_waitcnt lgkmcnt(0)
	s_cbranch_vccz .LBB5440_87
; %bb.86:
	; wave barrier
	s_mov_b64 s[0:1], 0
.LBB5440_87:
	s_andn2_b64 vcc, exec, s[0:1]
	s_cbranch_vccnz .LBB5440_96
; %bb.88:
	v_cmp_lt_u64_e64 s[0:1], s[10:11], 2
	s_and_b64 vcc, exec, s[0:1]
	; wave barrier
	s_cbranch_vccnz .LBB5440_96
; %bb.89:
	s_add_u32 s0, s16, -1
	s_addc_u32 s1, s17, -1
	s_add_u32 s2, 0, 0xaaaa0000
	s_addc_u32 s3, 0, 42
	s_add_i32 s3, s3, 0xaaaaa80
	s_mul_hi_u32 s9, s2, 0xffffffe8
	s_sub_i32 s9, s9, s2
	s_mul_i32 s10, s3, 0xffffffe8
	s_mul_i32 s4, s2, 0xffffffe8
	s_add_i32 s9, s9, s10
	s_mul_hi_u32 s5, s3, s4
	s_mul_i32 s8, s3, s4
	s_mul_i32 s11, s2, s9
	s_mul_hi_u32 s4, s2, s4
	s_mul_hi_u32 s10, s2, s9
	s_add_u32 s4, s4, s11
	s_addc_u32 s10, 0, s10
	s_add_u32 s4, s4, s8
	s_mul_hi_u32 s11, s3, s9
	s_addc_u32 s4, s10, s5
	s_addc_u32 s5, s11, 0
	s_mul_i32 s8, s3, s9
	s_add_u32 s4, s4, s8
	v_mov_b32_e32 v2, s4
	s_addc_u32 s5, 0, s5
	v_add_co_u32_e32 v2, vcc, s2, v2
	s_cmp_lg_u64 vcc, 0
	s_addc_u32 s2, s3, s5
	v_readfirstlane_b32 s5, v2
	s_mul_i32 s4, s0, s2
	s_mul_hi_u32 s8, s0, s5
	s_mul_hi_u32 s3, s0, s2
	s_add_u32 s4, s8, s4
	s_addc_u32 s3, 0, s3
	s_mul_hi_u32 s9, s1, s5
	s_mul_i32 s5, s1, s5
	s_add_u32 s4, s4, s5
	s_mul_hi_u32 s8, s1, s2
	s_addc_u32 s3, s3, s9
	s_addc_u32 s4, s8, 0
	s_mul_i32 s2, s1, s2
	s_add_u32 s2, s3, s2
	s_addc_u32 s3, 0, s4
	s_add_u32 s4, s2, 1
	s_addc_u32 s5, s3, 0
	s_add_u32 s8, s2, 2
	s_mul_i32 s10, s3, 24
	s_mul_hi_u32 s11, s2, 24
	s_addc_u32 s9, s3, 0
	s_add_i32 s11, s11, s10
	s_mul_i32 s10, s2, 24
	v_mov_b32_e32 v2, s10
	v_sub_co_u32_e32 v2, vcc, s0, v2
	s_cmp_lg_u64 vcc, 0
	s_subb_u32 s10, s1, s11
	v_subrev_co_u32_e32 v3, vcc, 24, v2
	s_cmp_lg_u64 vcc, 0
	s_subb_u32 s11, s10, 0
	v_readfirstlane_b32 s12, v3
	s_cmp_gt_u32 s12, 23
	s_cselect_b32 s12, -1, 0
	s_cmp_eq_u32 s11, 0
	s_cselect_b32 s11, s12, -1
	s_cmp_lg_u32 s11, 0
	s_cselect_b32 s4, s8, s4
	v_readfirstlane_b32 s8, v2
	s_cselect_b32 s5, s9, s5
	s_cmp_gt_u32 s8, 23
	s_cselect_b32 s8, -1, 0
	s_cmp_eq_u32 s10, 0
	s_cselect_b32 s8, s8, -1
	s_cmp_lg_u32 s8, 0
	v_mov_b32_e32 v1, 0
	s_cselect_b32 s3, s5, s3
	s_cselect_b32 s2, s4, s2
	v_cmp_eq_u64_e32 vcc, s[2:3], v[0:1]
	s_and_saveexec_b64 s[2:3], vcc
	s_cbranch_execz .LBB5440_96
; %bb.90:
	v_lshlrev_b32_e32 v2, 1, v0
	v_mul_hi_u32_u24_e32 v1, 24, v0
	v_mov_b32_e32 v3, s1
	v_sub_co_u32_e32 v0, vcc, s0, v20
	v_subb_co_u32_e32 v1, vcc, v3, v1, vcc
	v_cmp_lt_i64_e32 vcc, 11, v[0:1]
	s_mov_b64 s[0:1], 0
	s_mov_b64 s[10:11], 0
	;; [unrolled: 1-line block ×4, first 2 shown]
                                        ; implicit-def: $vgpr3
                                        ; implicit-def: $vgpr4
                                        ; implicit-def: $vgpr5
	s_and_saveexec_b64 s[2:3], vcc
	s_xor_b64 s[2:3], exec, s[2:3]
	s_cbranch_execnz .LBB5440_97
; %bb.91:
	s_andn2_saveexec_b64 s[2:3], s[2:3]
	s_cbranch_execnz .LBB5440_142
.LBB5440_92:
	s_or_b64 exec, exec, s[2:3]
	s_and_saveexec_b64 s[2:3], s[10:11]
	s_cbranch_execnz .LBB5440_159
.LBB5440_93:
	s_or_b64 exec, exec, s[2:3]
	s_and_saveexec_b64 s[2:3], s[8:9]
	s_cbranch_execnz .LBB5440_160
.LBB5440_94:
	s_or_b64 exec, exec, s[2:3]
	s_and_saveexec_b64 s[2:3], s[4:5]
	s_xor_b64 s[2:3], exec, s[2:3]
	s_cbranch_execnz .LBB5440_161
.LBB5440_95:
	s_or_b64 exec, exec, s[2:3]
	s_and_b64 exec, exec, s[0:1]
	s_cbranch_execnz .LBB5440_162
.LBB5440_96:
	s_endpgm
.LBB5440_97:
	v_cmp_lt_i64_e32 vcc, 17, v[0:1]
                                        ; implicit-def: $vgpr3
                                        ; implicit-def: $vgpr4
                                        ; implicit-def: $vgpr5
	s_and_saveexec_b64 s[12:13], vcc
	s_xor_b64 s[12:13], exec, s[12:13]
	s_cbranch_execz .LBB5440_119
; %bb.98:
	v_cmp_lt_i64_e32 vcc, 20, v[0:1]
                                        ; implicit-def: $vgpr3
                                        ; implicit-def: $vgpr4
	s_and_saveexec_b64 s[14:15], vcc
	s_xor_b64 s[14:15], exec, s[14:15]
	s_cbranch_execz .LBB5440_108
; %bb.99:
	v_cmp_lt_i64_e32 vcc, 21, v[0:1]
	s_mov_b64 s[16:17], 0
                                        ; implicit-def: $vgpr3
	s_and_saveexec_b64 s[4:5], vcc
	s_xor_b64 s[4:5], exec, s[4:5]
	s_cbranch_execz .LBB5440_105
; %bb.100:
	v_cmp_lt_i64_e32 vcc, 22, v[0:1]
	s_and_saveexec_b64 s[16:17], vcc
	s_xor_b64 s[16:17], exec, s[16:17]
	s_cbranch_execz .LBB5440_102
; %bb.101:
	ds_read_u16 v3, v2 offset:2944
	v_mov_b32_e32 v4, 0
	s_waitcnt lgkmcnt(0)
	global_store_short v4, v3, s[6:7]
.LBB5440_102:
	s_or_saveexec_b64 s[16:17], s[16:17]
	s_mov_b64 s[18:19], 0
                                        ; implicit-def: $vgpr3
	s_xor_b64 exec, exec, s[16:17]
	s_cbranch_execz .LBB5440_104
; %bb.103:
	ds_read_u16 v3, v2 offset:2816
	s_mov_b64 s[18:19], exec
.LBB5440_104:
	s_or_b64 exec, exec, s[16:17]
	s_and_b64 s[16:17], s[18:19], exec
.LBB5440_105:
	s_or_saveexec_b64 s[4:5], s[4:5]
                                        ; implicit-def: $vgpr4
	s_xor_b64 exec, exec, s[4:5]
	s_cbranch_execz .LBB5440_107
; %bb.106:
	ds_read_u16 v4, v2 offset:2688
	s_mov_b64 s[8:9], exec
                                        ; implicit-def: $vgpr3
.LBB5440_107:
	s_or_b64 exec, exec, s[4:5]
	s_and_b64 s[4:5], s[16:17], exec
	s_and_b64 s[8:9], s[8:9], exec
.LBB5440_108:
	s_or_saveexec_b64 s[14:15], s[14:15]
                                        ; implicit-def: $vgpr5
	s_xor_b64 exec, exec, s[14:15]
	s_cbranch_execz .LBB5440_118
; %bb.109:
	v_cmp_lt_i64_e32 vcc, 18, v[0:1]
	s_mov_b64 s[16:17], 0
                                        ; implicit-def: $vgpr5
	s_and_saveexec_b64 s[10:11], vcc
	s_xor_b64 s[10:11], exec, s[10:11]
	s_cbranch_execz .LBB5440_115
; %bb.110:
	v_cmp_lt_i64_e32 vcc, 19, v[0:1]
                                        ; implicit-def: $vgpr5
	s_and_saveexec_b64 s[18:19], vcc
	s_xor_b64 s[18:19], exec, s[18:19]
	s_cbranch_execz .LBB5440_112
; %bb.111:
	ds_read_u16 v5, v2 offset:2560
	s_mov_b64 s[16:17], exec
.LBB5440_112:
	s_andn2_saveexec_b64 s[18:19], s[18:19]
	s_cbranch_execz .LBB5440_114
; %bb.113:
	s_waitcnt lgkmcnt(0)
	ds_read_u16 v3, v2 offset:2432
	v_mov_b32_e32 v4, 0
                                        ; implicit-def: $vgpr5
	s_waitcnt lgkmcnt(0)
	global_store_short v4, v3, s[6:7]
.LBB5440_114:
	s_or_b64 exec, exec, s[18:19]
	s_and_b64 s[16:17], s[16:17], exec
.LBB5440_115:
	s_andn2_saveexec_b64 s[10:11], s[10:11]
	s_cbranch_execz .LBB5440_117
; %bb.116:
	s_waitcnt lgkmcnt(0)
	ds_read_u16 v3, v2 offset:2304
	v_mov_b32_e32 v4, 0
                                        ; implicit-def: $vgpr5
	s_waitcnt lgkmcnt(0)
	global_store_short v4, v3, s[6:7]
.LBB5440_117:
	s_or_b64 exec, exec, s[10:11]
	s_and_b64 s[10:11], s[16:17], exec
                                        ; implicit-def: $vgpr3
                                        ; implicit-def: $vgpr4
.LBB5440_118:
	s_or_b64 exec, exec, s[14:15]
	s_and_b64 s[4:5], s[4:5], exec
	s_and_b64 s[8:9], s[8:9], exec
	s_and_b64 s[10:11], s[10:11], exec
.LBB5440_119:
	s_andn2_saveexec_b64 s[12:13], s[12:13]
	s_cbranch_execz .LBB5440_141
; %bb.120:
	v_cmp_lt_i64_e32 vcc, 14, v[0:1]
	s_mov_b64 s[14:15], s[4:5]
                                        ; implicit-def: $vgpr3
	s_and_saveexec_b64 s[16:17], vcc
	s_xor_b64 s[16:17], exec, s[16:17]
	s_cbranch_execz .LBB5440_130
; %bb.121:
	v_cmp_lt_i64_e32 vcc, 15, v[0:1]
	s_and_saveexec_b64 s[14:15], vcc
	s_xor_b64 s[14:15], exec, s[14:15]
	s_cbranch_execz .LBB5440_127
; %bb.122:
	v_cmp_lt_i64_e32 vcc, 16, v[0:1]
	s_and_saveexec_b64 s[18:19], vcc
	s_xor_b64 s[18:19], exec, s[18:19]
	s_cbranch_execz .LBB5440_124
; %bb.123:
	s_waitcnt lgkmcnt(0)
	ds_read_u16 v3, v2 offset:2176
	v_mov_b32_e32 v4, 0
	s_waitcnt lgkmcnt(0)
	global_store_short v4, v3, s[6:7]
.LBB5440_124:
	s_andn2_saveexec_b64 s[18:19], s[18:19]
	s_cbranch_execz .LBB5440_126
; %bb.125:
	s_waitcnt lgkmcnt(0)
	ds_read_u16 v3, v2 offset:2048
	v_mov_b32_e32 v4, 0
	s_waitcnt lgkmcnt(0)
	global_store_short v4, v3, s[6:7]
.LBB5440_126:
	s_or_b64 exec, exec, s[18:19]
.LBB5440_127:
	s_or_saveexec_b64 s[14:15], s[14:15]
	s_mov_b64 s[18:19], s[4:5]
                                        ; implicit-def: $vgpr3
	s_xor_b64 exec, exec, s[14:15]
	s_cbranch_execz .LBB5440_129
; %bb.128:
	s_waitcnt lgkmcnt(0)
	ds_read_u16 v3, v2 offset:1920
	s_or_b64 s[18:19], s[4:5], exec
.LBB5440_129:
	s_or_b64 exec, exec, s[14:15]
	s_andn2_b64 s[14:15], s[4:5], exec
	s_and_b64 s[18:19], s[18:19], exec
	s_or_b64 s[14:15], s[14:15], s[18:19]
.LBB5440_130:
	s_or_saveexec_b64 s[16:17], s[16:17]
	s_mov_b64 s[18:19], s[8:9]
                                        ; implicit-def: $vgpr4
	s_xor_b64 exec, exec, s[16:17]
	s_cbranch_execz .LBB5440_140
; %bb.131:
	v_cmp_lt_i64_e32 vcc, 12, v[0:1]
	s_mov_b64 s[20:21], s[8:9]
	s_mov_b64 s[22:23], s[14:15]
                                        ; implicit-def: $vgpr3
                                        ; implicit-def: $vgpr4
	s_and_saveexec_b64 s[18:19], vcc
	s_xor_b64 s[18:19], exec, s[18:19]
	s_cbranch_execz .LBB5440_137
; %bb.132:
	v_cmp_lt_i64_e32 vcc, 13, v[0:1]
	s_mov_b64 s[20:21], s[14:15]
                                        ; implicit-def: $vgpr3
	s_and_saveexec_b64 s[22:23], vcc
	s_xor_b64 s[22:23], exec, s[22:23]
	s_cbranch_execz .LBB5440_134
; %bb.133:
	s_waitcnt lgkmcnt(0)
	ds_read_u16 v3, v2 offset:1792
	s_or_b64 s[20:21], s[14:15], exec
.LBB5440_134:
	s_or_saveexec_b64 s[22:23], s[22:23]
	s_mov_b64 s[24:25], s[8:9]
                                        ; implicit-def: $vgpr4
	s_xor_b64 exec, exec, s[22:23]
	s_cbranch_execz .LBB5440_136
; %bb.135:
	s_waitcnt lgkmcnt(0)
	ds_read_u16 v4, v2 offset:1664
	s_or_b64 s[24:25], s[8:9], exec
                                        ; implicit-def: $vgpr3
.LBB5440_136:
	s_or_b64 exec, exec, s[22:23]
	s_andn2_b64 s[22:23], s[14:15], exec
	s_and_b64 s[20:21], s[20:21], exec
	s_or_b64 s[22:23], s[22:23], s[20:21]
	s_andn2_b64 s[20:21], s[8:9], exec
	s_and_b64 s[24:25], s[24:25], exec
	s_or_b64 s[20:21], s[20:21], s[24:25]
.LBB5440_137:
	s_andn2_saveexec_b64 s[18:19], s[18:19]
	s_cbranch_execz .LBB5440_139
; %bb.138:
	s_waitcnt lgkmcnt(0)
	ds_read_u16 v4, v2 offset:1536
	s_or_b64 s[20:21], s[20:21], exec
                                        ; implicit-def: $vgpr3
.LBB5440_139:
	s_or_b64 exec, exec, s[18:19]
	s_andn2_b64 s[14:15], s[14:15], exec
	s_and_b64 s[18:19], s[22:23], exec
	s_or_b64 s[14:15], s[14:15], s[18:19]
	s_andn2_b64 s[18:19], s[8:9], exec
	s_and_b64 s[20:21], s[20:21], exec
	s_or_b64 s[18:19], s[18:19], s[20:21]
.LBB5440_140:
	s_or_b64 exec, exec, s[16:17]
	s_andn2_b64 s[4:5], s[4:5], exec
	s_and_b64 s[14:15], s[14:15], exec
	s_or_b64 s[4:5], s[4:5], s[14:15]
	s_andn2_b64 s[8:9], s[8:9], exec
	s_and_b64 s[14:15], s[18:19], exec
	s_or_b64 s[8:9], s[8:9], s[14:15]
                                        ; implicit-def: $vgpr5
.LBB5440_141:
	s_or_b64 exec, exec, s[12:13]
	s_and_b64 s[4:5], s[4:5], exec
	s_and_b64 s[8:9], s[8:9], exec
	;; [unrolled: 1-line block ×3, first 2 shown]
	s_andn2_saveexec_b64 s[2:3], s[2:3]
	s_cbranch_execz .LBB5440_92
.LBB5440_142:
	v_cmp_lt_i64_e32 vcc, 5, v[0:1]
	s_mov_b64 s[14:15], -1
	s_mov_b64 s[12:13], s[10:11]
	s_mov_b64 s[16:17], s[8:9]
	;; [unrolled: 1-line block ×3, first 2 shown]
                                        ; implicit-def: $vgpr3
                                        ; implicit-def: $vgpr4
                                        ; implicit-def: $vgpr5
	s_and_saveexec_b64 s[0:1], vcc
	s_cbranch_execz .LBB5440_158
; %bb.143:
	v_cmp_lt_i64_e32 vcc, 8, v[0:1]
	s_mov_b64 s[12:13], s[10:11]
                                        ; implicit-def: $vgpr5
	s_and_saveexec_b64 s[14:15], vcc
	s_xor_b64 s[14:15], exec, s[14:15]
	s_cbranch_execz .LBB5440_153
; %bb.144:
	v_cmp_lt_i64_e32 vcc, 9, v[0:1]
                                        ; implicit-def: $vgpr5
	s_and_saveexec_b64 s[12:13], vcc
	s_xor_b64 s[12:13], exec, s[12:13]
	s_cbranch_execz .LBB5440_150
; %bb.145:
	v_cmp_lt_i64_e32 vcc, 10, v[0:1]
                                        ; implicit-def: $vgpr5
	s_and_saveexec_b64 s[16:17], vcc
	s_xor_b64 s[16:17], exec, s[16:17]
	s_cbranch_execz .LBB5440_147
; %bb.146:
	s_waitcnt lgkmcnt(0)
	ds_read_u16 v5, v2 offset:1408
.LBB5440_147:
	s_andn2_saveexec_b64 s[16:17], s[16:17]
	s_cbranch_execz .LBB5440_149
; %bb.148:
	s_waitcnt lgkmcnt(0)
	ds_read_u16 v5, v2 offset:1280
.LBB5440_149:
	s_or_b64 exec, exec, s[16:17]
.LBB5440_150:
	s_andn2_saveexec_b64 s[12:13], s[12:13]
	s_cbranch_execz .LBB5440_152
; %bb.151:
	s_waitcnt lgkmcnt(0)
	ds_read_u16 v5, v2 offset:1152
.LBB5440_152:
	s_or_b64 exec, exec, s[12:13]
	s_or_b64 s[12:13], s[10:11], exec
.LBB5440_153:
	s_or_saveexec_b64 s[14:15], s[14:15]
	s_mov_b64 s[16:17], s[8:9]
	s_mov_b64 s[20:21], s[4:5]
                                        ; implicit-def: $vgpr3
                                        ; implicit-def: $vgpr4
	s_xor_b64 exec, exec, s[14:15]
	s_cbranch_execz .LBB5440_157
; %bb.154:
	s_waitcnt lgkmcnt(0)
	ds_read_u16 v3, v2 offset:768
	v_cmp_lt_i64_e32 vcc, 6, v[0:1]
	s_mov_b64 s[20:21], -1
	s_mov_b64 s[18:19], s[12:13]
	s_mov_b64 s[16:17], s[8:9]
                                        ; implicit-def: $vgpr4
                                        ; implicit-def: $vgpr5
	s_and_saveexec_b64 s[22:23], vcc
	s_cbranch_execz .LBB5440_156
; %bb.155:
	ds_read_u16 v4, v2 offset:896
	ds_read_u16 v5, v2 offset:1024
	v_cmp_lt_i64_e32 vcc, 7, v[0:1]
	s_andn2_b64 s[18:19], s[12:13], exec
	s_and_b64 s[24:25], vcc, exec
	s_xor_b64 s[20:21], exec, -1
	s_or_b64 s[16:17], s[8:9], exec
	s_or_b64 s[18:19], s[18:19], s[24:25]
                                        ; implicit-def: $vgpr3
.LBB5440_156:
	s_or_b64 exec, exec, s[22:23]
	s_andn2_b64 s[22:23], s[4:5], exec
	s_and_b64 s[20:21], s[20:21], exec
	s_or_b64 s[20:21], s[22:23], s[20:21]
	s_andn2_b64 s[22:23], s[8:9], exec
	s_and_b64 s[16:17], s[16:17], exec
	s_andn2_b64 s[12:13], s[12:13], exec
	s_and_b64 s[18:19], s[18:19], exec
	s_or_b64 s[16:17], s[22:23], s[16:17]
	s_or_b64 s[12:13], s[12:13], s[18:19]
.LBB5440_157:
	s_or_b64 exec, exec, s[14:15]
	s_andn2_b64 s[18:19], s[4:5], exec
	s_and_b64 s[20:21], s[20:21], exec
	s_or_b64 s[18:19], s[18:19], s[20:21]
	s_andn2_b64 s[20:21], s[8:9], exec
	s_and_b64 s[16:17], s[16:17], exec
	s_or_b64 s[16:17], s[20:21], s[16:17]
	s_andn2_b64 s[20:21], s[10:11], exec
	s_and_b64 s[12:13], s[12:13], exec
	s_xor_b64 s[14:15], exec, -1
	s_or_b64 s[12:13], s[20:21], s[12:13]
.LBB5440_158:
	s_or_b64 exec, exec, s[0:1]
	s_and_b64 s[0:1], s[14:15], exec
	s_andn2_b64 s[4:5], s[4:5], exec
	s_and_b64 s[14:15], s[18:19], exec
	s_or_b64 s[4:5], s[4:5], s[14:15]
	s_andn2_b64 s[8:9], s[8:9], exec
	s_and_b64 s[14:15], s[16:17], exec
	s_andn2_b64 s[10:11], s[10:11], exec
	s_and_b64 s[12:13], s[12:13], exec
	s_or_b64 s[8:9], s[8:9], s[14:15]
	s_or_b64 s[10:11], s[10:11], s[12:13]
	s_or_b64 exec, exec, s[2:3]
	s_and_saveexec_b64 s[2:3], s[10:11]
	s_cbranch_execz .LBB5440_93
.LBB5440_159:
	s_waitcnt lgkmcnt(0)
	v_mov_b32_e32 v3, 0
	s_andn2_b64 s[8:9], s[8:9], exec
	global_store_short v3, v5, s[6:7]
                                        ; implicit-def: $vgpr3
                                        ; implicit-def: $vgpr4
	s_or_b64 exec, exec, s[2:3]
	s_and_saveexec_b64 s[2:3], s[8:9]
	s_cbranch_execz .LBB5440_94
.LBB5440_160:
	s_waitcnt lgkmcnt(0)
	v_mov_b32_e32 v3, 0
	global_store_short v3, v4, s[6:7]
                                        ; implicit-def: $vgpr3
	s_or_b64 exec, exec, s[2:3]
	s_and_saveexec_b64 s[2:3], s[4:5]
	s_xor_b64 s[2:3], exec, s[2:3]
	s_cbranch_execz .LBB5440_95
.LBB5440_161:
	s_waitcnt lgkmcnt(0)
	v_mov_b32_e32 v4, 0
	global_store_short v4, v3, s[6:7]
	s_or_b64 exec, exec, s[2:3]
	s_and_b64 exec, exec, s[0:1]
	s_cbranch_execz .LBB5440_96
.LBB5440_162:
	v_cmp_lt_i64_e32 vcc, 2, v[0:1]
	s_and_saveexec_b64 s[0:1], vcc
	s_xor_b64 s[0:1], exec, s[0:1]
	s_cbranch_execz .LBB5440_172
; %bb.163:
	v_cmp_lt_i64_e32 vcc, 3, v[0:1]
	s_and_saveexec_b64 s[2:3], vcc
	s_xor_b64 s[2:3], exec, s[2:3]
	s_cbranch_execz .LBB5440_169
; %bb.164:
	;; [unrolled: 5-line block ×3, first 2 shown]
	ds_read_u16 v0, v2 offset:640
	v_mov_b32_e32 v1, 0
                                        ; implicit-def: $vgpr2
	s_waitcnt lgkmcnt(0)
	global_store_short v1, v0, s[6:7]
.LBB5440_166:
	s_andn2_saveexec_b64 s[4:5], s[4:5]
	s_cbranch_execz .LBB5440_168
; %bb.167:
	ds_read_u16 v0, v2 offset:512
	v_mov_b32_e32 v1, 0
	s_waitcnt lgkmcnt(0)
	global_store_short v1, v0, s[6:7]
.LBB5440_168:
	s_or_b64 exec, exec, s[4:5]
                                        ; implicit-def: $vgpr2
.LBB5440_169:
	s_andn2_saveexec_b64 s[2:3], s[2:3]
	s_cbranch_execz .LBB5440_171
; %bb.170:
	ds_read_u16 v0, v2 offset:384
	v_mov_b32_e32 v1, 0
	s_waitcnt lgkmcnt(0)
	global_store_short v1, v0, s[6:7]
.LBB5440_171:
	s_or_b64 exec, exec, s[2:3]
                                        ; implicit-def: $vgpr0_vgpr1
                                        ; implicit-def: $vgpr2
.LBB5440_172:
	s_andn2_saveexec_b64 s[0:1], s[0:1]
	s_cbranch_execz .LBB5440_96
; %bb.173:
	v_cmp_lt_i64_e32 vcc, 1, v[0:1]
	s_and_saveexec_b64 s[0:1], vcc
	s_xor_b64 s[0:1], exec, s[0:1]
	s_cbranch_execz .LBB5440_175
; %bb.174:
	ds_read_u16 v0, v2 offset:256
	v_mov_b32_e32 v1, 0
                                        ; implicit-def: $vgpr2
	s_waitcnt lgkmcnt(0)
	global_store_short v1, v0, s[6:7]
                                        ; implicit-def: $vgpr0_vgpr1
.LBB5440_175:
	s_andn2_saveexec_b64 s[0:1], s[0:1]
	s_cbranch_execz .LBB5440_96
; %bb.176:
	v_cmp_ne_u64_e32 vcc, 1, v[0:1]
	s_and_saveexec_b64 s[0:1], vcc
	s_xor_b64 s[0:1], exec, s[0:1]
	s_cbranch_execz .LBB5440_178
; %bb.177:
	ds_read_u16 v0, v2
	v_mov_b32_e32 v1, 0
                                        ; implicit-def: $vgpr2
	s_waitcnt lgkmcnt(0)
	global_store_short v1, v0, s[6:7]
.LBB5440_178:
	s_andn2_saveexec_b64 s[0:1], s[0:1]
	s_cbranch_execz .LBB5440_96
; %bb.179:
	ds_read_u16 v0, v2 offset:128
	v_mov_b32_e32 v1, 0
	s_waitcnt lgkmcnt(0)
	global_store_short v1, v0, s[6:7]
	s_endpgm
	.section	.rodata,"a",@progbits
	.p2align	6, 0x0
	.amdhsa_kernel _ZN7rocprim17ROCPRIM_400000_NS6detail17trampoline_kernelINS0_14default_configENS1_20scan_config_selectorItEEZZNS1_9scan_implILNS1_25lookback_scan_determinismE0ELb0ELb0ES3_N6thrust23THRUST_200600_302600_NS6detail15normal_iteratorINS9_10device_ptrItEEEENS9_16discard_iteratorINS9_11use_defaultEEEtNS9_4plusIvEEtEEDaPvRmT3_T4_T5_mT6_P12ihipStream_tbENKUlT_T0_E_clISt17integral_constantIbLb0EESX_EEDaSS_ST_EUlSS_E_NS1_11comp_targetILNS1_3genE4ELNS1_11target_archE910ELNS1_3gpuE8ELNS1_3repE0EEENS1_30default_config_static_selectorELNS0_4arch9wavefront6targetE1EEEvT1_
		.amdhsa_group_segment_fixed_size 3072
		.amdhsa_private_segment_fixed_size 0
		.amdhsa_kernarg_size 104
		.amdhsa_user_sgpr_count 6
		.amdhsa_user_sgpr_private_segment_buffer 1
		.amdhsa_user_sgpr_dispatch_ptr 0
		.amdhsa_user_sgpr_queue_ptr 0
		.amdhsa_user_sgpr_kernarg_segment_ptr 1
		.amdhsa_user_sgpr_dispatch_id 0
		.amdhsa_user_sgpr_flat_scratch_init 0
		.amdhsa_user_sgpr_kernarg_preload_length 0
		.amdhsa_user_sgpr_kernarg_preload_offset 0
		.amdhsa_user_sgpr_private_segment_size 0
		.amdhsa_uses_dynamic_stack 0
		.amdhsa_system_sgpr_private_segment_wavefront_offset 0
		.amdhsa_system_sgpr_workgroup_id_x 1
		.amdhsa_system_sgpr_workgroup_id_y 0
		.amdhsa_system_sgpr_workgroup_id_z 0
		.amdhsa_system_sgpr_workgroup_info 0
		.amdhsa_system_vgpr_workitem_id 0
		.amdhsa_next_free_vgpr 43
		.amdhsa_next_free_sgpr 26
		.amdhsa_accum_offset 44
		.amdhsa_reserve_vcc 1
		.amdhsa_reserve_flat_scratch 0
		.amdhsa_float_round_mode_32 0
		.amdhsa_float_round_mode_16_64 0
		.amdhsa_float_denorm_mode_32 3
		.amdhsa_float_denorm_mode_16_64 3
		.amdhsa_dx10_clamp 1
		.amdhsa_ieee_mode 1
		.amdhsa_fp16_overflow 0
		.amdhsa_tg_split 0
		.amdhsa_exception_fp_ieee_invalid_op 0
		.amdhsa_exception_fp_denorm_src 0
		.amdhsa_exception_fp_ieee_div_zero 0
		.amdhsa_exception_fp_ieee_overflow 0
		.amdhsa_exception_fp_ieee_underflow 0
		.amdhsa_exception_fp_ieee_inexact 0
		.amdhsa_exception_int_div_zero 0
	.end_amdhsa_kernel
	.section	.text._ZN7rocprim17ROCPRIM_400000_NS6detail17trampoline_kernelINS0_14default_configENS1_20scan_config_selectorItEEZZNS1_9scan_implILNS1_25lookback_scan_determinismE0ELb0ELb0ES3_N6thrust23THRUST_200600_302600_NS6detail15normal_iteratorINS9_10device_ptrItEEEENS9_16discard_iteratorINS9_11use_defaultEEEtNS9_4plusIvEEtEEDaPvRmT3_T4_T5_mT6_P12ihipStream_tbENKUlT_T0_E_clISt17integral_constantIbLb0EESX_EEDaSS_ST_EUlSS_E_NS1_11comp_targetILNS1_3genE4ELNS1_11target_archE910ELNS1_3gpuE8ELNS1_3repE0EEENS1_30default_config_static_selectorELNS0_4arch9wavefront6targetE1EEEvT1_,"axG",@progbits,_ZN7rocprim17ROCPRIM_400000_NS6detail17trampoline_kernelINS0_14default_configENS1_20scan_config_selectorItEEZZNS1_9scan_implILNS1_25lookback_scan_determinismE0ELb0ELb0ES3_N6thrust23THRUST_200600_302600_NS6detail15normal_iteratorINS9_10device_ptrItEEEENS9_16discard_iteratorINS9_11use_defaultEEEtNS9_4plusIvEEtEEDaPvRmT3_T4_T5_mT6_P12ihipStream_tbENKUlT_T0_E_clISt17integral_constantIbLb0EESX_EEDaSS_ST_EUlSS_E_NS1_11comp_targetILNS1_3genE4ELNS1_11target_archE910ELNS1_3gpuE8ELNS1_3repE0EEENS1_30default_config_static_selectorELNS0_4arch9wavefront6targetE1EEEvT1_,comdat
.Lfunc_end5440:
	.size	_ZN7rocprim17ROCPRIM_400000_NS6detail17trampoline_kernelINS0_14default_configENS1_20scan_config_selectorItEEZZNS1_9scan_implILNS1_25lookback_scan_determinismE0ELb0ELb0ES3_N6thrust23THRUST_200600_302600_NS6detail15normal_iteratorINS9_10device_ptrItEEEENS9_16discard_iteratorINS9_11use_defaultEEEtNS9_4plusIvEEtEEDaPvRmT3_T4_T5_mT6_P12ihipStream_tbENKUlT_T0_E_clISt17integral_constantIbLb0EESX_EEDaSS_ST_EUlSS_E_NS1_11comp_targetILNS1_3genE4ELNS1_11target_archE910ELNS1_3gpuE8ELNS1_3repE0EEENS1_30default_config_static_selectorELNS0_4arch9wavefront6targetE1EEEvT1_, .Lfunc_end5440-_ZN7rocprim17ROCPRIM_400000_NS6detail17trampoline_kernelINS0_14default_configENS1_20scan_config_selectorItEEZZNS1_9scan_implILNS1_25lookback_scan_determinismE0ELb0ELb0ES3_N6thrust23THRUST_200600_302600_NS6detail15normal_iteratorINS9_10device_ptrItEEEENS9_16discard_iteratorINS9_11use_defaultEEEtNS9_4plusIvEEtEEDaPvRmT3_T4_T5_mT6_P12ihipStream_tbENKUlT_T0_E_clISt17integral_constantIbLb0EESX_EEDaSS_ST_EUlSS_E_NS1_11comp_targetILNS1_3genE4ELNS1_11target_archE910ELNS1_3gpuE8ELNS1_3repE0EEENS1_30default_config_static_selectorELNS0_4arch9wavefront6targetE1EEEvT1_
                                        ; -- End function
	.section	.AMDGPU.csdata,"",@progbits
; Kernel info:
; codeLenInByte = 6572
; NumSgprs: 30
; NumVgprs: 43
; NumAgprs: 0
; TotalNumVgprs: 43
; ScratchSize: 0
; MemoryBound: 0
; FloatMode: 240
; IeeeMode: 1
; LDSByteSize: 3072 bytes/workgroup (compile time only)
; SGPRBlocks: 3
; VGPRBlocks: 5
; NumSGPRsForWavesPerEU: 30
; NumVGPRsForWavesPerEU: 43
; AccumOffset: 44
; Occupancy: 6
; WaveLimiterHint : 1
; COMPUTE_PGM_RSRC2:SCRATCH_EN: 0
; COMPUTE_PGM_RSRC2:USER_SGPR: 6
; COMPUTE_PGM_RSRC2:TRAP_HANDLER: 0
; COMPUTE_PGM_RSRC2:TGID_X_EN: 1
; COMPUTE_PGM_RSRC2:TGID_Y_EN: 0
; COMPUTE_PGM_RSRC2:TGID_Z_EN: 0
; COMPUTE_PGM_RSRC2:TIDIG_COMP_CNT: 0
; COMPUTE_PGM_RSRC3_GFX90A:ACCUM_OFFSET: 10
; COMPUTE_PGM_RSRC3_GFX90A:TG_SPLIT: 0
	.section	.text._ZN7rocprim17ROCPRIM_400000_NS6detail17trampoline_kernelINS0_14default_configENS1_20scan_config_selectorItEEZZNS1_9scan_implILNS1_25lookback_scan_determinismE0ELb0ELb0ES3_N6thrust23THRUST_200600_302600_NS6detail15normal_iteratorINS9_10device_ptrItEEEENS9_16discard_iteratorINS9_11use_defaultEEEtNS9_4plusIvEEtEEDaPvRmT3_T4_T5_mT6_P12ihipStream_tbENKUlT_T0_E_clISt17integral_constantIbLb0EESX_EEDaSS_ST_EUlSS_E_NS1_11comp_targetILNS1_3genE3ELNS1_11target_archE908ELNS1_3gpuE7ELNS1_3repE0EEENS1_30default_config_static_selectorELNS0_4arch9wavefront6targetE1EEEvT1_,"axG",@progbits,_ZN7rocprim17ROCPRIM_400000_NS6detail17trampoline_kernelINS0_14default_configENS1_20scan_config_selectorItEEZZNS1_9scan_implILNS1_25lookback_scan_determinismE0ELb0ELb0ES3_N6thrust23THRUST_200600_302600_NS6detail15normal_iteratorINS9_10device_ptrItEEEENS9_16discard_iteratorINS9_11use_defaultEEEtNS9_4plusIvEEtEEDaPvRmT3_T4_T5_mT6_P12ihipStream_tbENKUlT_T0_E_clISt17integral_constantIbLb0EESX_EEDaSS_ST_EUlSS_E_NS1_11comp_targetILNS1_3genE3ELNS1_11target_archE908ELNS1_3gpuE7ELNS1_3repE0EEENS1_30default_config_static_selectorELNS0_4arch9wavefront6targetE1EEEvT1_,comdat
	.protected	_ZN7rocprim17ROCPRIM_400000_NS6detail17trampoline_kernelINS0_14default_configENS1_20scan_config_selectorItEEZZNS1_9scan_implILNS1_25lookback_scan_determinismE0ELb0ELb0ES3_N6thrust23THRUST_200600_302600_NS6detail15normal_iteratorINS9_10device_ptrItEEEENS9_16discard_iteratorINS9_11use_defaultEEEtNS9_4plusIvEEtEEDaPvRmT3_T4_T5_mT6_P12ihipStream_tbENKUlT_T0_E_clISt17integral_constantIbLb0EESX_EEDaSS_ST_EUlSS_E_NS1_11comp_targetILNS1_3genE3ELNS1_11target_archE908ELNS1_3gpuE7ELNS1_3repE0EEENS1_30default_config_static_selectorELNS0_4arch9wavefront6targetE1EEEvT1_ ; -- Begin function _ZN7rocprim17ROCPRIM_400000_NS6detail17trampoline_kernelINS0_14default_configENS1_20scan_config_selectorItEEZZNS1_9scan_implILNS1_25lookback_scan_determinismE0ELb0ELb0ES3_N6thrust23THRUST_200600_302600_NS6detail15normal_iteratorINS9_10device_ptrItEEEENS9_16discard_iteratorINS9_11use_defaultEEEtNS9_4plusIvEEtEEDaPvRmT3_T4_T5_mT6_P12ihipStream_tbENKUlT_T0_E_clISt17integral_constantIbLb0EESX_EEDaSS_ST_EUlSS_E_NS1_11comp_targetILNS1_3genE3ELNS1_11target_archE908ELNS1_3gpuE7ELNS1_3repE0EEENS1_30default_config_static_selectorELNS0_4arch9wavefront6targetE1EEEvT1_
	.globl	_ZN7rocprim17ROCPRIM_400000_NS6detail17trampoline_kernelINS0_14default_configENS1_20scan_config_selectorItEEZZNS1_9scan_implILNS1_25lookback_scan_determinismE0ELb0ELb0ES3_N6thrust23THRUST_200600_302600_NS6detail15normal_iteratorINS9_10device_ptrItEEEENS9_16discard_iteratorINS9_11use_defaultEEEtNS9_4plusIvEEtEEDaPvRmT3_T4_T5_mT6_P12ihipStream_tbENKUlT_T0_E_clISt17integral_constantIbLb0EESX_EEDaSS_ST_EUlSS_E_NS1_11comp_targetILNS1_3genE3ELNS1_11target_archE908ELNS1_3gpuE7ELNS1_3repE0EEENS1_30default_config_static_selectorELNS0_4arch9wavefront6targetE1EEEvT1_
	.p2align	8
	.type	_ZN7rocprim17ROCPRIM_400000_NS6detail17trampoline_kernelINS0_14default_configENS1_20scan_config_selectorItEEZZNS1_9scan_implILNS1_25lookback_scan_determinismE0ELb0ELb0ES3_N6thrust23THRUST_200600_302600_NS6detail15normal_iteratorINS9_10device_ptrItEEEENS9_16discard_iteratorINS9_11use_defaultEEEtNS9_4plusIvEEtEEDaPvRmT3_T4_T5_mT6_P12ihipStream_tbENKUlT_T0_E_clISt17integral_constantIbLb0EESX_EEDaSS_ST_EUlSS_E_NS1_11comp_targetILNS1_3genE3ELNS1_11target_archE908ELNS1_3gpuE7ELNS1_3repE0EEENS1_30default_config_static_selectorELNS0_4arch9wavefront6targetE1EEEvT1_,@function
_ZN7rocprim17ROCPRIM_400000_NS6detail17trampoline_kernelINS0_14default_configENS1_20scan_config_selectorItEEZZNS1_9scan_implILNS1_25lookback_scan_determinismE0ELb0ELb0ES3_N6thrust23THRUST_200600_302600_NS6detail15normal_iteratorINS9_10device_ptrItEEEENS9_16discard_iteratorINS9_11use_defaultEEEtNS9_4plusIvEEtEEDaPvRmT3_T4_T5_mT6_P12ihipStream_tbENKUlT_T0_E_clISt17integral_constantIbLb0EESX_EEDaSS_ST_EUlSS_E_NS1_11comp_targetILNS1_3genE3ELNS1_11target_archE908ELNS1_3gpuE7ELNS1_3repE0EEENS1_30default_config_static_selectorELNS0_4arch9wavefront6targetE1EEEvT1_: ; @_ZN7rocprim17ROCPRIM_400000_NS6detail17trampoline_kernelINS0_14default_configENS1_20scan_config_selectorItEEZZNS1_9scan_implILNS1_25lookback_scan_determinismE0ELb0ELb0ES3_N6thrust23THRUST_200600_302600_NS6detail15normal_iteratorINS9_10device_ptrItEEEENS9_16discard_iteratorINS9_11use_defaultEEEtNS9_4plusIvEEtEEDaPvRmT3_T4_T5_mT6_P12ihipStream_tbENKUlT_T0_E_clISt17integral_constantIbLb0EESX_EEDaSS_ST_EUlSS_E_NS1_11comp_targetILNS1_3genE3ELNS1_11target_archE908ELNS1_3gpuE7ELNS1_3repE0EEENS1_30default_config_static_selectorELNS0_4arch9wavefront6targetE1EEEvT1_
; %bb.0:
	.section	.rodata,"a",@progbits
	.p2align	6, 0x0
	.amdhsa_kernel _ZN7rocprim17ROCPRIM_400000_NS6detail17trampoline_kernelINS0_14default_configENS1_20scan_config_selectorItEEZZNS1_9scan_implILNS1_25lookback_scan_determinismE0ELb0ELb0ES3_N6thrust23THRUST_200600_302600_NS6detail15normal_iteratorINS9_10device_ptrItEEEENS9_16discard_iteratorINS9_11use_defaultEEEtNS9_4plusIvEEtEEDaPvRmT3_T4_T5_mT6_P12ihipStream_tbENKUlT_T0_E_clISt17integral_constantIbLb0EESX_EEDaSS_ST_EUlSS_E_NS1_11comp_targetILNS1_3genE3ELNS1_11target_archE908ELNS1_3gpuE7ELNS1_3repE0EEENS1_30default_config_static_selectorELNS0_4arch9wavefront6targetE1EEEvT1_
		.amdhsa_group_segment_fixed_size 0
		.amdhsa_private_segment_fixed_size 0
		.amdhsa_kernarg_size 104
		.amdhsa_user_sgpr_count 6
		.amdhsa_user_sgpr_private_segment_buffer 1
		.amdhsa_user_sgpr_dispatch_ptr 0
		.amdhsa_user_sgpr_queue_ptr 0
		.amdhsa_user_sgpr_kernarg_segment_ptr 1
		.amdhsa_user_sgpr_dispatch_id 0
		.amdhsa_user_sgpr_flat_scratch_init 0
		.amdhsa_user_sgpr_kernarg_preload_length 0
		.amdhsa_user_sgpr_kernarg_preload_offset 0
		.amdhsa_user_sgpr_private_segment_size 0
		.amdhsa_uses_dynamic_stack 0
		.amdhsa_system_sgpr_private_segment_wavefront_offset 0
		.amdhsa_system_sgpr_workgroup_id_x 1
		.amdhsa_system_sgpr_workgroup_id_y 0
		.amdhsa_system_sgpr_workgroup_id_z 0
		.amdhsa_system_sgpr_workgroup_info 0
		.amdhsa_system_vgpr_workitem_id 0
		.amdhsa_next_free_vgpr 1
		.amdhsa_next_free_sgpr 0
		.amdhsa_accum_offset 4
		.amdhsa_reserve_vcc 0
		.amdhsa_reserve_flat_scratch 0
		.amdhsa_float_round_mode_32 0
		.amdhsa_float_round_mode_16_64 0
		.amdhsa_float_denorm_mode_32 3
		.amdhsa_float_denorm_mode_16_64 3
		.amdhsa_dx10_clamp 1
		.amdhsa_ieee_mode 1
		.amdhsa_fp16_overflow 0
		.amdhsa_tg_split 0
		.amdhsa_exception_fp_ieee_invalid_op 0
		.amdhsa_exception_fp_denorm_src 0
		.amdhsa_exception_fp_ieee_div_zero 0
		.amdhsa_exception_fp_ieee_overflow 0
		.amdhsa_exception_fp_ieee_underflow 0
		.amdhsa_exception_fp_ieee_inexact 0
		.amdhsa_exception_int_div_zero 0
	.end_amdhsa_kernel
	.section	.text._ZN7rocprim17ROCPRIM_400000_NS6detail17trampoline_kernelINS0_14default_configENS1_20scan_config_selectorItEEZZNS1_9scan_implILNS1_25lookback_scan_determinismE0ELb0ELb0ES3_N6thrust23THRUST_200600_302600_NS6detail15normal_iteratorINS9_10device_ptrItEEEENS9_16discard_iteratorINS9_11use_defaultEEEtNS9_4plusIvEEtEEDaPvRmT3_T4_T5_mT6_P12ihipStream_tbENKUlT_T0_E_clISt17integral_constantIbLb0EESX_EEDaSS_ST_EUlSS_E_NS1_11comp_targetILNS1_3genE3ELNS1_11target_archE908ELNS1_3gpuE7ELNS1_3repE0EEENS1_30default_config_static_selectorELNS0_4arch9wavefront6targetE1EEEvT1_,"axG",@progbits,_ZN7rocprim17ROCPRIM_400000_NS6detail17trampoline_kernelINS0_14default_configENS1_20scan_config_selectorItEEZZNS1_9scan_implILNS1_25lookback_scan_determinismE0ELb0ELb0ES3_N6thrust23THRUST_200600_302600_NS6detail15normal_iteratorINS9_10device_ptrItEEEENS9_16discard_iteratorINS9_11use_defaultEEEtNS9_4plusIvEEtEEDaPvRmT3_T4_T5_mT6_P12ihipStream_tbENKUlT_T0_E_clISt17integral_constantIbLb0EESX_EEDaSS_ST_EUlSS_E_NS1_11comp_targetILNS1_3genE3ELNS1_11target_archE908ELNS1_3gpuE7ELNS1_3repE0EEENS1_30default_config_static_selectorELNS0_4arch9wavefront6targetE1EEEvT1_,comdat
.Lfunc_end5441:
	.size	_ZN7rocprim17ROCPRIM_400000_NS6detail17trampoline_kernelINS0_14default_configENS1_20scan_config_selectorItEEZZNS1_9scan_implILNS1_25lookback_scan_determinismE0ELb0ELb0ES3_N6thrust23THRUST_200600_302600_NS6detail15normal_iteratorINS9_10device_ptrItEEEENS9_16discard_iteratorINS9_11use_defaultEEEtNS9_4plusIvEEtEEDaPvRmT3_T4_T5_mT6_P12ihipStream_tbENKUlT_T0_E_clISt17integral_constantIbLb0EESX_EEDaSS_ST_EUlSS_E_NS1_11comp_targetILNS1_3genE3ELNS1_11target_archE908ELNS1_3gpuE7ELNS1_3repE0EEENS1_30default_config_static_selectorELNS0_4arch9wavefront6targetE1EEEvT1_, .Lfunc_end5441-_ZN7rocprim17ROCPRIM_400000_NS6detail17trampoline_kernelINS0_14default_configENS1_20scan_config_selectorItEEZZNS1_9scan_implILNS1_25lookback_scan_determinismE0ELb0ELb0ES3_N6thrust23THRUST_200600_302600_NS6detail15normal_iteratorINS9_10device_ptrItEEEENS9_16discard_iteratorINS9_11use_defaultEEEtNS9_4plusIvEEtEEDaPvRmT3_T4_T5_mT6_P12ihipStream_tbENKUlT_T0_E_clISt17integral_constantIbLb0EESX_EEDaSS_ST_EUlSS_E_NS1_11comp_targetILNS1_3genE3ELNS1_11target_archE908ELNS1_3gpuE7ELNS1_3repE0EEENS1_30default_config_static_selectorELNS0_4arch9wavefront6targetE1EEEvT1_
                                        ; -- End function
	.section	.AMDGPU.csdata,"",@progbits
; Kernel info:
; codeLenInByte = 0
; NumSgprs: 4
; NumVgprs: 0
; NumAgprs: 0
; TotalNumVgprs: 0
; ScratchSize: 0
; MemoryBound: 0
; FloatMode: 240
; IeeeMode: 1
; LDSByteSize: 0 bytes/workgroup (compile time only)
; SGPRBlocks: 0
; VGPRBlocks: 0
; NumSGPRsForWavesPerEU: 4
; NumVGPRsForWavesPerEU: 1
; AccumOffset: 4
; Occupancy: 8
; WaveLimiterHint : 0
; COMPUTE_PGM_RSRC2:SCRATCH_EN: 0
; COMPUTE_PGM_RSRC2:USER_SGPR: 6
; COMPUTE_PGM_RSRC2:TRAP_HANDLER: 0
; COMPUTE_PGM_RSRC2:TGID_X_EN: 1
; COMPUTE_PGM_RSRC2:TGID_Y_EN: 0
; COMPUTE_PGM_RSRC2:TGID_Z_EN: 0
; COMPUTE_PGM_RSRC2:TIDIG_COMP_CNT: 0
; COMPUTE_PGM_RSRC3_GFX90A:ACCUM_OFFSET: 0
; COMPUTE_PGM_RSRC3_GFX90A:TG_SPLIT: 0
	.section	.text._ZN7rocprim17ROCPRIM_400000_NS6detail17trampoline_kernelINS0_14default_configENS1_20scan_config_selectorItEEZZNS1_9scan_implILNS1_25lookback_scan_determinismE0ELb0ELb0ES3_N6thrust23THRUST_200600_302600_NS6detail15normal_iteratorINS9_10device_ptrItEEEENS9_16discard_iteratorINS9_11use_defaultEEEtNS9_4plusIvEEtEEDaPvRmT3_T4_T5_mT6_P12ihipStream_tbENKUlT_T0_E_clISt17integral_constantIbLb0EESX_EEDaSS_ST_EUlSS_E_NS1_11comp_targetILNS1_3genE2ELNS1_11target_archE906ELNS1_3gpuE6ELNS1_3repE0EEENS1_30default_config_static_selectorELNS0_4arch9wavefront6targetE1EEEvT1_,"axG",@progbits,_ZN7rocprim17ROCPRIM_400000_NS6detail17trampoline_kernelINS0_14default_configENS1_20scan_config_selectorItEEZZNS1_9scan_implILNS1_25lookback_scan_determinismE0ELb0ELb0ES3_N6thrust23THRUST_200600_302600_NS6detail15normal_iteratorINS9_10device_ptrItEEEENS9_16discard_iteratorINS9_11use_defaultEEEtNS9_4plusIvEEtEEDaPvRmT3_T4_T5_mT6_P12ihipStream_tbENKUlT_T0_E_clISt17integral_constantIbLb0EESX_EEDaSS_ST_EUlSS_E_NS1_11comp_targetILNS1_3genE2ELNS1_11target_archE906ELNS1_3gpuE6ELNS1_3repE0EEENS1_30default_config_static_selectorELNS0_4arch9wavefront6targetE1EEEvT1_,comdat
	.protected	_ZN7rocprim17ROCPRIM_400000_NS6detail17trampoline_kernelINS0_14default_configENS1_20scan_config_selectorItEEZZNS1_9scan_implILNS1_25lookback_scan_determinismE0ELb0ELb0ES3_N6thrust23THRUST_200600_302600_NS6detail15normal_iteratorINS9_10device_ptrItEEEENS9_16discard_iteratorINS9_11use_defaultEEEtNS9_4plusIvEEtEEDaPvRmT3_T4_T5_mT6_P12ihipStream_tbENKUlT_T0_E_clISt17integral_constantIbLb0EESX_EEDaSS_ST_EUlSS_E_NS1_11comp_targetILNS1_3genE2ELNS1_11target_archE906ELNS1_3gpuE6ELNS1_3repE0EEENS1_30default_config_static_selectorELNS0_4arch9wavefront6targetE1EEEvT1_ ; -- Begin function _ZN7rocprim17ROCPRIM_400000_NS6detail17trampoline_kernelINS0_14default_configENS1_20scan_config_selectorItEEZZNS1_9scan_implILNS1_25lookback_scan_determinismE0ELb0ELb0ES3_N6thrust23THRUST_200600_302600_NS6detail15normal_iteratorINS9_10device_ptrItEEEENS9_16discard_iteratorINS9_11use_defaultEEEtNS9_4plusIvEEtEEDaPvRmT3_T4_T5_mT6_P12ihipStream_tbENKUlT_T0_E_clISt17integral_constantIbLb0EESX_EEDaSS_ST_EUlSS_E_NS1_11comp_targetILNS1_3genE2ELNS1_11target_archE906ELNS1_3gpuE6ELNS1_3repE0EEENS1_30default_config_static_selectorELNS0_4arch9wavefront6targetE1EEEvT1_
	.globl	_ZN7rocprim17ROCPRIM_400000_NS6detail17trampoline_kernelINS0_14default_configENS1_20scan_config_selectorItEEZZNS1_9scan_implILNS1_25lookback_scan_determinismE0ELb0ELb0ES3_N6thrust23THRUST_200600_302600_NS6detail15normal_iteratorINS9_10device_ptrItEEEENS9_16discard_iteratorINS9_11use_defaultEEEtNS9_4plusIvEEtEEDaPvRmT3_T4_T5_mT6_P12ihipStream_tbENKUlT_T0_E_clISt17integral_constantIbLb0EESX_EEDaSS_ST_EUlSS_E_NS1_11comp_targetILNS1_3genE2ELNS1_11target_archE906ELNS1_3gpuE6ELNS1_3repE0EEENS1_30default_config_static_selectorELNS0_4arch9wavefront6targetE1EEEvT1_
	.p2align	8
	.type	_ZN7rocprim17ROCPRIM_400000_NS6detail17trampoline_kernelINS0_14default_configENS1_20scan_config_selectorItEEZZNS1_9scan_implILNS1_25lookback_scan_determinismE0ELb0ELb0ES3_N6thrust23THRUST_200600_302600_NS6detail15normal_iteratorINS9_10device_ptrItEEEENS9_16discard_iteratorINS9_11use_defaultEEEtNS9_4plusIvEEtEEDaPvRmT3_T4_T5_mT6_P12ihipStream_tbENKUlT_T0_E_clISt17integral_constantIbLb0EESX_EEDaSS_ST_EUlSS_E_NS1_11comp_targetILNS1_3genE2ELNS1_11target_archE906ELNS1_3gpuE6ELNS1_3repE0EEENS1_30default_config_static_selectorELNS0_4arch9wavefront6targetE1EEEvT1_,@function
_ZN7rocprim17ROCPRIM_400000_NS6detail17trampoline_kernelINS0_14default_configENS1_20scan_config_selectorItEEZZNS1_9scan_implILNS1_25lookback_scan_determinismE0ELb0ELb0ES3_N6thrust23THRUST_200600_302600_NS6detail15normal_iteratorINS9_10device_ptrItEEEENS9_16discard_iteratorINS9_11use_defaultEEEtNS9_4plusIvEEtEEDaPvRmT3_T4_T5_mT6_P12ihipStream_tbENKUlT_T0_E_clISt17integral_constantIbLb0EESX_EEDaSS_ST_EUlSS_E_NS1_11comp_targetILNS1_3genE2ELNS1_11target_archE906ELNS1_3gpuE6ELNS1_3repE0EEENS1_30default_config_static_selectorELNS0_4arch9wavefront6targetE1EEEvT1_: ; @_ZN7rocprim17ROCPRIM_400000_NS6detail17trampoline_kernelINS0_14default_configENS1_20scan_config_selectorItEEZZNS1_9scan_implILNS1_25lookback_scan_determinismE0ELb0ELb0ES3_N6thrust23THRUST_200600_302600_NS6detail15normal_iteratorINS9_10device_ptrItEEEENS9_16discard_iteratorINS9_11use_defaultEEEtNS9_4plusIvEEtEEDaPvRmT3_T4_T5_mT6_P12ihipStream_tbENKUlT_T0_E_clISt17integral_constantIbLb0EESX_EEDaSS_ST_EUlSS_E_NS1_11comp_targetILNS1_3genE2ELNS1_11target_archE906ELNS1_3gpuE6ELNS1_3repE0EEENS1_30default_config_static_selectorELNS0_4arch9wavefront6targetE1EEEvT1_
; %bb.0:
	.section	.rodata,"a",@progbits
	.p2align	6, 0x0
	.amdhsa_kernel _ZN7rocprim17ROCPRIM_400000_NS6detail17trampoline_kernelINS0_14default_configENS1_20scan_config_selectorItEEZZNS1_9scan_implILNS1_25lookback_scan_determinismE0ELb0ELb0ES3_N6thrust23THRUST_200600_302600_NS6detail15normal_iteratorINS9_10device_ptrItEEEENS9_16discard_iteratorINS9_11use_defaultEEEtNS9_4plusIvEEtEEDaPvRmT3_T4_T5_mT6_P12ihipStream_tbENKUlT_T0_E_clISt17integral_constantIbLb0EESX_EEDaSS_ST_EUlSS_E_NS1_11comp_targetILNS1_3genE2ELNS1_11target_archE906ELNS1_3gpuE6ELNS1_3repE0EEENS1_30default_config_static_selectorELNS0_4arch9wavefront6targetE1EEEvT1_
		.amdhsa_group_segment_fixed_size 0
		.amdhsa_private_segment_fixed_size 0
		.amdhsa_kernarg_size 104
		.amdhsa_user_sgpr_count 6
		.amdhsa_user_sgpr_private_segment_buffer 1
		.amdhsa_user_sgpr_dispatch_ptr 0
		.amdhsa_user_sgpr_queue_ptr 0
		.amdhsa_user_sgpr_kernarg_segment_ptr 1
		.amdhsa_user_sgpr_dispatch_id 0
		.amdhsa_user_sgpr_flat_scratch_init 0
		.amdhsa_user_sgpr_kernarg_preload_length 0
		.amdhsa_user_sgpr_kernarg_preload_offset 0
		.amdhsa_user_sgpr_private_segment_size 0
		.amdhsa_uses_dynamic_stack 0
		.amdhsa_system_sgpr_private_segment_wavefront_offset 0
		.amdhsa_system_sgpr_workgroup_id_x 1
		.amdhsa_system_sgpr_workgroup_id_y 0
		.amdhsa_system_sgpr_workgroup_id_z 0
		.amdhsa_system_sgpr_workgroup_info 0
		.amdhsa_system_vgpr_workitem_id 0
		.amdhsa_next_free_vgpr 1
		.amdhsa_next_free_sgpr 0
		.amdhsa_accum_offset 4
		.amdhsa_reserve_vcc 0
		.amdhsa_reserve_flat_scratch 0
		.amdhsa_float_round_mode_32 0
		.amdhsa_float_round_mode_16_64 0
		.amdhsa_float_denorm_mode_32 3
		.amdhsa_float_denorm_mode_16_64 3
		.amdhsa_dx10_clamp 1
		.amdhsa_ieee_mode 1
		.amdhsa_fp16_overflow 0
		.amdhsa_tg_split 0
		.amdhsa_exception_fp_ieee_invalid_op 0
		.amdhsa_exception_fp_denorm_src 0
		.amdhsa_exception_fp_ieee_div_zero 0
		.amdhsa_exception_fp_ieee_overflow 0
		.amdhsa_exception_fp_ieee_underflow 0
		.amdhsa_exception_fp_ieee_inexact 0
		.amdhsa_exception_int_div_zero 0
	.end_amdhsa_kernel
	.section	.text._ZN7rocprim17ROCPRIM_400000_NS6detail17trampoline_kernelINS0_14default_configENS1_20scan_config_selectorItEEZZNS1_9scan_implILNS1_25lookback_scan_determinismE0ELb0ELb0ES3_N6thrust23THRUST_200600_302600_NS6detail15normal_iteratorINS9_10device_ptrItEEEENS9_16discard_iteratorINS9_11use_defaultEEEtNS9_4plusIvEEtEEDaPvRmT3_T4_T5_mT6_P12ihipStream_tbENKUlT_T0_E_clISt17integral_constantIbLb0EESX_EEDaSS_ST_EUlSS_E_NS1_11comp_targetILNS1_3genE2ELNS1_11target_archE906ELNS1_3gpuE6ELNS1_3repE0EEENS1_30default_config_static_selectorELNS0_4arch9wavefront6targetE1EEEvT1_,"axG",@progbits,_ZN7rocprim17ROCPRIM_400000_NS6detail17trampoline_kernelINS0_14default_configENS1_20scan_config_selectorItEEZZNS1_9scan_implILNS1_25lookback_scan_determinismE0ELb0ELb0ES3_N6thrust23THRUST_200600_302600_NS6detail15normal_iteratorINS9_10device_ptrItEEEENS9_16discard_iteratorINS9_11use_defaultEEEtNS9_4plusIvEEtEEDaPvRmT3_T4_T5_mT6_P12ihipStream_tbENKUlT_T0_E_clISt17integral_constantIbLb0EESX_EEDaSS_ST_EUlSS_E_NS1_11comp_targetILNS1_3genE2ELNS1_11target_archE906ELNS1_3gpuE6ELNS1_3repE0EEENS1_30default_config_static_selectorELNS0_4arch9wavefront6targetE1EEEvT1_,comdat
.Lfunc_end5442:
	.size	_ZN7rocprim17ROCPRIM_400000_NS6detail17trampoline_kernelINS0_14default_configENS1_20scan_config_selectorItEEZZNS1_9scan_implILNS1_25lookback_scan_determinismE0ELb0ELb0ES3_N6thrust23THRUST_200600_302600_NS6detail15normal_iteratorINS9_10device_ptrItEEEENS9_16discard_iteratorINS9_11use_defaultEEEtNS9_4plusIvEEtEEDaPvRmT3_T4_T5_mT6_P12ihipStream_tbENKUlT_T0_E_clISt17integral_constantIbLb0EESX_EEDaSS_ST_EUlSS_E_NS1_11comp_targetILNS1_3genE2ELNS1_11target_archE906ELNS1_3gpuE6ELNS1_3repE0EEENS1_30default_config_static_selectorELNS0_4arch9wavefront6targetE1EEEvT1_, .Lfunc_end5442-_ZN7rocprim17ROCPRIM_400000_NS6detail17trampoline_kernelINS0_14default_configENS1_20scan_config_selectorItEEZZNS1_9scan_implILNS1_25lookback_scan_determinismE0ELb0ELb0ES3_N6thrust23THRUST_200600_302600_NS6detail15normal_iteratorINS9_10device_ptrItEEEENS9_16discard_iteratorINS9_11use_defaultEEEtNS9_4plusIvEEtEEDaPvRmT3_T4_T5_mT6_P12ihipStream_tbENKUlT_T0_E_clISt17integral_constantIbLb0EESX_EEDaSS_ST_EUlSS_E_NS1_11comp_targetILNS1_3genE2ELNS1_11target_archE906ELNS1_3gpuE6ELNS1_3repE0EEENS1_30default_config_static_selectorELNS0_4arch9wavefront6targetE1EEEvT1_
                                        ; -- End function
	.section	.AMDGPU.csdata,"",@progbits
; Kernel info:
; codeLenInByte = 0
; NumSgprs: 4
; NumVgprs: 0
; NumAgprs: 0
; TotalNumVgprs: 0
; ScratchSize: 0
; MemoryBound: 0
; FloatMode: 240
; IeeeMode: 1
; LDSByteSize: 0 bytes/workgroup (compile time only)
; SGPRBlocks: 0
; VGPRBlocks: 0
; NumSGPRsForWavesPerEU: 4
; NumVGPRsForWavesPerEU: 1
; AccumOffset: 4
; Occupancy: 8
; WaveLimiterHint : 0
; COMPUTE_PGM_RSRC2:SCRATCH_EN: 0
; COMPUTE_PGM_RSRC2:USER_SGPR: 6
; COMPUTE_PGM_RSRC2:TRAP_HANDLER: 0
; COMPUTE_PGM_RSRC2:TGID_X_EN: 1
; COMPUTE_PGM_RSRC2:TGID_Y_EN: 0
; COMPUTE_PGM_RSRC2:TGID_Z_EN: 0
; COMPUTE_PGM_RSRC2:TIDIG_COMP_CNT: 0
; COMPUTE_PGM_RSRC3_GFX90A:ACCUM_OFFSET: 0
; COMPUTE_PGM_RSRC3_GFX90A:TG_SPLIT: 0
	.section	.text._ZN7rocprim17ROCPRIM_400000_NS6detail17trampoline_kernelINS0_14default_configENS1_20scan_config_selectorItEEZZNS1_9scan_implILNS1_25lookback_scan_determinismE0ELb0ELb0ES3_N6thrust23THRUST_200600_302600_NS6detail15normal_iteratorINS9_10device_ptrItEEEENS9_16discard_iteratorINS9_11use_defaultEEEtNS9_4plusIvEEtEEDaPvRmT3_T4_T5_mT6_P12ihipStream_tbENKUlT_T0_E_clISt17integral_constantIbLb0EESX_EEDaSS_ST_EUlSS_E_NS1_11comp_targetILNS1_3genE10ELNS1_11target_archE1201ELNS1_3gpuE5ELNS1_3repE0EEENS1_30default_config_static_selectorELNS0_4arch9wavefront6targetE1EEEvT1_,"axG",@progbits,_ZN7rocprim17ROCPRIM_400000_NS6detail17trampoline_kernelINS0_14default_configENS1_20scan_config_selectorItEEZZNS1_9scan_implILNS1_25lookback_scan_determinismE0ELb0ELb0ES3_N6thrust23THRUST_200600_302600_NS6detail15normal_iteratorINS9_10device_ptrItEEEENS9_16discard_iteratorINS9_11use_defaultEEEtNS9_4plusIvEEtEEDaPvRmT3_T4_T5_mT6_P12ihipStream_tbENKUlT_T0_E_clISt17integral_constantIbLb0EESX_EEDaSS_ST_EUlSS_E_NS1_11comp_targetILNS1_3genE10ELNS1_11target_archE1201ELNS1_3gpuE5ELNS1_3repE0EEENS1_30default_config_static_selectorELNS0_4arch9wavefront6targetE1EEEvT1_,comdat
	.protected	_ZN7rocprim17ROCPRIM_400000_NS6detail17trampoline_kernelINS0_14default_configENS1_20scan_config_selectorItEEZZNS1_9scan_implILNS1_25lookback_scan_determinismE0ELb0ELb0ES3_N6thrust23THRUST_200600_302600_NS6detail15normal_iteratorINS9_10device_ptrItEEEENS9_16discard_iteratorINS9_11use_defaultEEEtNS9_4plusIvEEtEEDaPvRmT3_T4_T5_mT6_P12ihipStream_tbENKUlT_T0_E_clISt17integral_constantIbLb0EESX_EEDaSS_ST_EUlSS_E_NS1_11comp_targetILNS1_3genE10ELNS1_11target_archE1201ELNS1_3gpuE5ELNS1_3repE0EEENS1_30default_config_static_selectorELNS0_4arch9wavefront6targetE1EEEvT1_ ; -- Begin function _ZN7rocprim17ROCPRIM_400000_NS6detail17trampoline_kernelINS0_14default_configENS1_20scan_config_selectorItEEZZNS1_9scan_implILNS1_25lookback_scan_determinismE0ELb0ELb0ES3_N6thrust23THRUST_200600_302600_NS6detail15normal_iteratorINS9_10device_ptrItEEEENS9_16discard_iteratorINS9_11use_defaultEEEtNS9_4plusIvEEtEEDaPvRmT3_T4_T5_mT6_P12ihipStream_tbENKUlT_T0_E_clISt17integral_constantIbLb0EESX_EEDaSS_ST_EUlSS_E_NS1_11comp_targetILNS1_3genE10ELNS1_11target_archE1201ELNS1_3gpuE5ELNS1_3repE0EEENS1_30default_config_static_selectorELNS0_4arch9wavefront6targetE1EEEvT1_
	.globl	_ZN7rocprim17ROCPRIM_400000_NS6detail17trampoline_kernelINS0_14default_configENS1_20scan_config_selectorItEEZZNS1_9scan_implILNS1_25lookback_scan_determinismE0ELb0ELb0ES3_N6thrust23THRUST_200600_302600_NS6detail15normal_iteratorINS9_10device_ptrItEEEENS9_16discard_iteratorINS9_11use_defaultEEEtNS9_4plusIvEEtEEDaPvRmT3_T4_T5_mT6_P12ihipStream_tbENKUlT_T0_E_clISt17integral_constantIbLb0EESX_EEDaSS_ST_EUlSS_E_NS1_11comp_targetILNS1_3genE10ELNS1_11target_archE1201ELNS1_3gpuE5ELNS1_3repE0EEENS1_30default_config_static_selectorELNS0_4arch9wavefront6targetE1EEEvT1_
	.p2align	8
	.type	_ZN7rocprim17ROCPRIM_400000_NS6detail17trampoline_kernelINS0_14default_configENS1_20scan_config_selectorItEEZZNS1_9scan_implILNS1_25lookback_scan_determinismE0ELb0ELb0ES3_N6thrust23THRUST_200600_302600_NS6detail15normal_iteratorINS9_10device_ptrItEEEENS9_16discard_iteratorINS9_11use_defaultEEEtNS9_4plusIvEEtEEDaPvRmT3_T4_T5_mT6_P12ihipStream_tbENKUlT_T0_E_clISt17integral_constantIbLb0EESX_EEDaSS_ST_EUlSS_E_NS1_11comp_targetILNS1_3genE10ELNS1_11target_archE1201ELNS1_3gpuE5ELNS1_3repE0EEENS1_30default_config_static_selectorELNS0_4arch9wavefront6targetE1EEEvT1_,@function
_ZN7rocprim17ROCPRIM_400000_NS6detail17trampoline_kernelINS0_14default_configENS1_20scan_config_selectorItEEZZNS1_9scan_implILNS1_25lookback_scan_determinismE0ELb0ELb0ES3_N6thrust23THRUST_200600_302600_NS6detail15normal_iteratorINS9_10device_ptrItEEEENS9_16discard_iteratorINS9_11use_defaultEEEtNS9_4plusIvEEtEEDaPvRmT3_T4_T5_mT6_P12ihipStream_tbENKUlT_T0_E_clISt17integral_constantIbLb0EESX_EEDaSS_ST_EUlSS_E_NS1_11comp_targetILNS1_3genE10ELNS1_11target_archE1201ELNS1_3gpuE5ELNS1_3repE0EEENS1_30default_config_static_selectorELNS0_4arch9wavefront6targetE1EEEvT1_: ; @_ZN7rocprim17ROCPRIM_400000_NS6detail17trampoline_kernelINS0_14default_configENS1_20scan_config_selectorItEEZZNS1_9scan_implILNS1_25lookback_scan_determinismE0ELb0ELb0ES3_N6thrust23THRUST_200600_302600_NS6detail15normal_iteratorINS9_10device_ptrItEEEENS9_16discard_iteratorINS9_11use_defaultEEEtNS9_4plusIvEEtEEDaPvRmT3_T4_T5_mT6_P12ihipStream_tbENKUlT_T0_E_clISt17integral_constantIbLb0EESX_EEDaSS_ST_EUlSS_E_NS1_11comp_targetILNS1_3genE10ELNS1_11target_archE1201ELNS1_3gpuE5ELNS1_3repE0EEENS1_30default_config_static_selectorELNS0_4arch9wavefront6targetE1EEEvT1_
; %bb.0:
	.section	.rodata,"a",@progbits
	.p2align	6, 0x0
	.amdhsa_kernel _ZN7rocprim17ROCPRIM_400000_NS6detail17trampoline_kernelINS0_14default_configENS1_20scan_config_selectorItEEZZNS1_9scan_implILNS1_25lookback_scan_determinismE0ELb0ELb0ES3_N6thrust23THRUST_200600_302600_NS6detail15normal_iteratorINS9_10device_ptrItEEEENS9_16discard_iteratorINS9_11use_defaultEEEtNS9_4plusIvEEtEEDaPvRmT3_T4_T5_mT6_P12ihipStream_tbENKUlT_T0_E_clISt17integral_constantIbLb0EESX_EEDaSS_ST_EUlSS_E_NS1_11comp_targetILNS1_3genE10ELNS1_11target_archE1201ELNS1_3gpuE5ELNS1_3repE0EEENS1_30default_config_static_selectorELNS0_4arch9wavefront6targetE1EEEvT1_
		.amdhsa_group_segment_fixed_size 0
		.amdhsa_private_segment_fixed_size 0
		.amdhsa_kernarg_size 104
		.amdhsa_user_sgpr_count 6
		.amdhsa_user_sgpr_private_segment_buffer 1
		.amdhsa_user_sgpr_dispatch_ptr 0
		.amdhsa_user_sgpr_queue_ptr 0
		.amdhsa_user_sgpr_kernarg_segment_ptr 1
		.amdhsa_user_sgpr_dispatch_id 0
		.amdhsa_user_sgpr_flat_scratch_init 0
		.amdhsa_user_sgpr_kernarg_preload_length 0
		.amdhsa_user_sgpr_kernarg_preload_offset 0
		.amdhsa_user_sgpr_private_segment_size 0
		.amdhsa_uses_dynamic_stack 0
		.amdhsa_system_sgpr_private_segment_wavefront_offset 0
		.amdhsa_system_sgpr_workgroup_id_x 1
		.amdhsa_system_sgpr_workgroup_id_y 0
		.amdhsa_system_sgpr_workgroup_id_z 0
		.amdhsa_system_sgpr_workgroup_info 0
		.amdhsa_system_vgpr_workitem_id 0
		.amdhsa_next_free_vgpr 1
		.amdhsa_next_free_sgpr 0
		.amdhsa_accum_offset 4
		.amdhsa_reserve_vcc 0
		.amdhsa_reserve_flat_scratch 0
		.amdhsa_float_round_mode_32 0
		.amdhsa_float_round_mode_16_64 0
		.amdhsa_float_denorm_mode_32 3
		.amdhsa_float_denorm_mode_16_64 3
		.amdhsa_dx10_clamp 1
		.amdhsa_ieee_mode 1
		.amdhsa_fp16_overflow 0
		.amdhsa_tg_split 0
		.amdhsa_exception_fp_ieee_invalid_op 0
		.amdhsa_exception_fp_denorm_src 0
		.amdhsa_exception_fp_ieee_div_zero 0
		.amdhsa_exception_fp_ieee_overflow 0
		.amdhsa_exception_fp_ieee_underflow 0
		.amdhsa_exception_fp_ieee_inexact 0
		.amdhsa_exception_int_div_zero 0
	.end_amdhsa_kernel
	.section	.text._ZN7rocprim17ROCPRIM_400000_NS6detail17trampoline_kernelINS0_14default_configENS1_20scan_config_selectorItEEZZNS1_9scan_implILNS1_25lookback_scan_determinismE0ELb0ELb0ES3_N6thrust23THRUST_200600_302600_NS6detail15normal_iteratorINS9_10device_ptrItEEEENS9_16discard_iteratorINS9_11use_defaultEEEtNS9_4plusIvEEtEEDaPvRmT3_T4_T5_mT6_P12ihipStream_tbENKUlT_T0_E_clISt17integral_constantIbLb0EESX_EEDaSS_ST_EUlSS_E_NS1_11comp_targetILNS1_3genE10ELNS1_11target_archE1201ELNS1_3gpuE5ELNS1_3repE0EEENS1_30default_config_static_selectorELNS0_4arch9wavefront6targetE1EEEvT1_,"axG",@progbits,_ZN7rocprim17ROCPRIM_400000_NS6detail17trampoline_kernelINS0_14default_configENS1_20scan_config_selectorItEEZZNS1_9scan_implILNS1_25lookback_scan_determinismE0ELb0ELb0ES3_N6thrust23THRUST_200600_302600_NS6detail15normal_iteratorINS9_10device_ptrItEEEENS9_16discard_iteratorINS9_11use_defaultEEEtNS9_4plusIvEEtEEDaPvRmT3_T4_T5_mT6_P12ihipStream_tbENKUlT_T0_E_clISt17integral_constantIbLb0EESX_EEDaSS_ST_EUlSS_E_NS1_11comp_targetILNS1_3genE10ELNS1_11target_archE1201ELNS1_3gpuE5ELNS1_3repE0EEENS1_30default_config_static_selectorELNS0_4arch9wavefront6targetE1EEEvT1_,comdat
.Lfunc_end5443:
	.size	_ZN7rocprim17ROCPRIM_400000_NS6detail17trampoline_kernelINS0_14default_configENS1_20scan_config_selectorItEEZZNS1_9scan_implILNS1_25lookback_scan_determinismE0ELb0ELb0ES3_N6thrust23THRUST_200600_302600_NS6detail15normal_iteratorINS9_10device_ptrItEEEENS9_16discard_iteratorINS9_11use_defaultEEEtNS9_4plusIvEEtEEDaPvRmT3_T4_T5_mT6_P12ihipStream_tbENKUlT_T0_E_clISt17integral_constantIbLb0EESX_EEDaSS_ST_EUlSS_E_NS1_11comp_targetILNS1_3genE10ELNS1_11target_archE1201ELNS1_3gpuE5ELNS1_3repE0EEENS1_30default_config_static_selectorELNS0_4arch9wavefront6targetE1EEEvT1_, .Lfunc_end5443-_ZN7rocprim17ROCPRIM_400000_NS6detail17trampoline_kernelINS0_14default_configENS1_20scan_config_selectorItEEZZNS1_9scan_implILNS1_25lookback_scan_determinismE0ELb0ELb0ES3_N6thrust23THRUST_200600_302600_NS6detail15normal_iteratorINS9_10device_ptrItEEEENS9_16discard_iteratorINS9_11use_defaultEEEtNS9_4plusIvEEtEEDaPvRmT3_T4_T5_mT6_P12ihipStream_tbENKUlT_T0_E_clISt17integral_constantIbLb0EESX_EEDaSS_ST_EUlSS_E_NS1_11comp_targetILNS1_3genE10ELNS1_11target_archE1201ELNS1_3gpuE5ELNS1_3repE0EEENS1_30default_config_static_selectorELNS0_4arch9wavefront6targetE1EEEvT1_
                                        ; -- End function
	.section	.AMDGPU.csdata,"",@progbits
; Kernel info:
; codeLenInByte = 0
; NumSgprs: 4
; NumVgprs: 0
; NumAgprs: 0
; TotalNumVgprs: 0
; ScratchSize: 0
; MemoryBound: 0
; FloatMode: 240
; IeeeMode: 1
; LDSByteSize: 0 bytes/workgroup (compile time only)
; SGPRBlocks: 0
; VGPRBlocks: 0
; NumSGPRsForWavesPerEU: 4
; NumVGPRsForWavesPerEU: 1
; AccumOffset: 4
; Occupancy: 8
; WaveLimiterHint : 0
; COMPUTE_PGM_RSRC2:SCRATCH_EN: 0
; COMPUTE_PGM_RSRC2:USER_SGPR: 6
; COMPUTE_PGM_RSRC2:TRAP_HANDLER: 0
; COMPUTE_PGM_RSRC2:TGID_X_EN: 1
; COMPUTE_PGM_RSRC2:TGID_Y_EN: 0
; COMPUTE_PGM_RSRC2:TGID_Z_EN: 0
; COMPUTE_PGM_RSRC2:TIDIG_COMP_CNT: 0
; COMPUTE_PGM_RSRC3_GFX90A:ACCUM_OFFSET: 0
; COMPUTE_PGM_RSRC3_GFX90A:TG_SPLIT: 0
	.section	.text._ZN7rocprim17ROCPRIM_400000_NS6detail17trampoline_kernelINS0_14default_configENS1_20scan_config_selectorItEEZZNS1_9scan_implILNS1_25lookback_scan_determinismE0ELb0ELb0ES3_N6thrust23THRUST_200600_302600_NS6detail15normal_iteratorINS9_10device_ptrItEEEENS9_16discard_iteratorINS9_11use_defaultEEEtNS9_4plusIvEEtEEDaPvRmT3_T4_T5_mT6_P12ihipStream_tbENKUlT_T0_E_clISt17integral_constantIbLb0EESX_EEDaSS_ST_EUlSS_E_NS1_11comp_targetILNS1_3genE10ELNS1_11target_archE1200ELNS1_3gpuE4ELNS1_3repE0EEENS1_30default_config_static_selectorELNS0_4arch9wavefront6targetE1EEEvT1_,"axG",@progbits,_ZN7rocprim17ROCPRIM_400000_NS6detail17trampoline_kernelINS0_14default_configENS1_20scan_config_selectorItEEZZNS1_9scan_implILNS1_25lookback_scan_determinismE0ELb0ELb0ES3_N6thrust23THRUST_200600_302600_NS6detail15normal_iteratorINS9_10device_ptrItEEEENS9_16discard_iteratorINS9_11use_defaultEEEtNS9_4plusIvEEtEEDaPvRmT3_T4_T5_mT6_P12ihipStream_tbENKUlT_T0_E_clISt17integral_constantIbLb0EESX_EEDaSS_ST_EUlSS_E_NS1_11comp_targetILNS1_3genE10ELNS1_11target_archE1200ELNS1_3gpuE4ELNS1_3repE0EEENS1_30default_config_static_selectorELNS0_4arch9wavefront6targetE1EEEvT1_,comdat
	.protected	_ZN7rocprim17ROCPRIM_400000_NS6detail17trampoline_kernelINS0_14default_configENS1_20scan_config_selectorItEEZZNS1_9scan_implILNS1_25lookback_scan_determinismE0ELb0ELb0ES3_N6thrust23THRUST_200600_302600_NS6detail15normal_iteratorINS9_10device_ptrItEEEENS9_16discard_iteratorINS9_11use_defaultEEEtNS9_4plusIvEEtEEDaPvRmT3_T4_T5_mT6_P12ihipStream_tbENKUlT_T0_E_clISt17integral_constantIbLb0EESX_EEDaSS_ST_EUlSS_E_NS1_11comp_targetILNS1_3genE10ELNS1_11target_archE1200ELNS1_3gpuE4ELNS1_3repE0EEENS1_30default_config_static_selectorELNS0_4arch9wavefront6targetE1EEEvT1_ ; -- Begin function _ZN7rocprim17ROCPRIM_400000_NS6detail17trampoline_kernelINS0_14default_configENS1_20scan_config_selectorItEEZZNS1_9scan_implILNS1_25lookback_scan_determinismE0ELb0ELb0ES3_N6thrust23THRUST_200600_302600_NS6detail15normal_iteratorINS9_10device_ptrItEEEENS9_16discard_iteratorINS9_11use_defaultEEEtNS9_4plusIvEEtEEDaPvRmT3_T4_T5_mT6_P12ihipStream_tbENKUlT_T0_E_clISt17integral_constantIbLb0EESX_EEDaSS_ST_EUlSS_E_NS1_11comp_targetILNS1_3genE10ELNS1_11target_archE1200ELNS1_3gpuE4ELNS1_3repE0EEENS1_30default_config_static_selectorELNS0_4arch9wavefront6targetE1EEEvT1_
	.globl	_ZN7rocprim17ROCPRIM_400000_NS6detail17trampoline_kernelINS0_14default_configENS1_20scan_config_selectorItEEZZNS1_9scan_implILNS1_25lookback_scan_determinismE0ELb0ELb0ES3_N6thrust23THRUST_200600_302600_NS6detail15normal_iteratorINS9_10device_ptrItEEEENS9_16discard_iteratorINS9_11use_defaultEEEtNS9_4plusIvEEtEEDaPvRmT3_T4_T5_mT6_P12ihipStream_tbENKUlT_T0_E_clISt17integral_constantIbLb0EESX_EEDaSS_ST_EUlSS_E_NS1_11comp_targetILNS1_3genE10ELNS1_11target_archE1200ELNS1_3gpuE4ELNS1_3repE0EEENS1_30default_config_static_selectorELNS0_4arch9wavefront6targetE1EEEvT1_
	.p2align	8
	.type	_ZN7rocprim17ROCPRIM_400000_NS6detail17trampoline_kernelINS0_14default_configENS1_20scan_config_selectorItEEZZNS1_9scan_implILNS1_25lookback_scan_determinismE0ELb0ELb0ES3_N6thrust23THRUST_200600_302600_NS6detail15normal_iteratorINS9_10device_ptrItEEEENS9_16discard_iteratorINS9_11use_defaultEEEtNS9_4plusIvEEtEEDaPvRmT3_T4_T5_mT6_P12ihipStream_tbENKUlT_T0_E_clISt17integral_constantIbLb0EESX_EEDaSS_ST_EUlSS_E_NS1_11comp_targetILNS1_3genE10ELNS1_11target_archE1200ELNS1_3gpuE4ELNS1_3repE0EEENS1_30default_config_static_selectorELNS0_4arch9wavefront6targetE1EEEvT1_,@function
_ZN7rocprim17ROCPRIM_400000_NS6detail17trampoline_kernelINS0_14default_configENS1_20scan_config_selectorItEEZZNS1_9scan_implILNS1_25lookback_scan_determinismE0ELb0ELb0ES3_N6thrust23THRUST_200600_302600_NS6detail15normal_iteratorINS9_10device_ptrItEEEENS9_16discard_iteratorINS9_11use_defaultEEEtNS9_4plusIvEEtEEDaPvRmT3_T4_T5_mT6_P12ihipStream_tbENKUlT_T0_E_clISt17integral_constantIbLb0EESX_EEDaSS_ST_EUlSS_E_NS1_11comp_targetILNS1_3genE10ELNS1_11target_archE1200ELNS1_3gpuE4ELNS1_3repE0EEENS1_30default_config_static_selectorELNS0_4arch9wavefront6targetE1EEEvT1_: ; @_ZN7rocprim17ROCPRIM_400000_NS6detail17trampoline_kernelINS0_14default_configENS1_20scan_config_selectorItEEZZNS1_9scan_implILNS1_25lookback_scan_determinismE0ELb0ELb0ES3_N6thrust23THRUST_200600_302600_NS6detail15normal_iteratorINS9_10device_ptrItEEEENS9_16discard_iteratorINS9_11use_defaultEEEtNS9_4plusIvEEtEEDaPvRmT3_T4_T5_mT6_P12ihipStream_tbENKUlT_T0_E_clISt17integral_constantIbLb0EESX_EEDaSS_ST_EUlSS_E_NS1_11comp_targetILNS1_3genE10ELNS1_11target_archE1200ELNS1_3gpuE4ELNS1_3repE0EEENS1_30default_config_static_selectorELNS0_4arch9wavefront6targetE1EEEvT1_
; %bb.0:
	.section	.rodata,"a",@progbits
	.p2align	6, 0x0
	.amdhsa_kernel _ZN7rocprim17ROCPRIM_400000_NS6detail17trampoline_kernelINS0_14default_configENS1_20scan_config_selectorItEEZZNS1_9scan_implILNS1_25lookback_scan_determinismE0ELb0ELb0ES3_N6thrust23THRUST_200600_302600_NS6detail15normal_iteratorINS9_10device_ptrItEEEENS9_16discard_iteratorINS9_11use_defaultEEEtNS9_4plusIvEEtEEDaPvRmT3_T4_T5_mT6_P12ihipStream_tbENKUlT_T0_E_clISt17integral_constantIbLb0EESX_EEDaSS_ST_EUlSS_E_NS1_11comp_targetILNS1_3genE10ELNS1_11target_archE1200ELNS1_3gpuE4ELNS1_3repE0EEENS1_30default_config_static_selectorELNS0_4arch9wavefront6targetE1EEEvT1_
		.amdhsa_group_segment_fixed_size 0
		.amdhsa_private_segment_fixed_size 0
		.amdhsa_kernarg_size 104
		.amdhsa_user_sgpr_count 6
		.amdhsa_user_sgpr_private_segment_buffer 1
		.amdhsa_user_sgpr_dispatch_ptr 0
		.amdhsa_user_sgpr_queue_ptr 0
		.amdhsa_user_sgpr_kernarg_segment_ptr 1
		.amdhsa_user_sgpr_dispatch_id 0
		.amdhsa_user_sgpr_flat_scratch_init 0
		.amdhsa_user_sgpr_kernarg_preload_length 0
		.amdhsa_user_sgpr_kernarg_preload_offset 0
		.amdhsa_user_sgpr_private_segment_size 0
		.amdhsa_uses_dynamic_stack 0
		.amdhsa_system_sgpr_private_segment_wavefront_offset 0
		.amdhsa_system_sgpr_workgroup_id_x 1
		.amdhsa_system_sgpr_workgroup_id_y 0
		.amdhsa_system_sgpr_workgroup_id_z 0
		.amdhsa_system_sgpr_workgroup_info 0
		.amdhsa_system_vgpr_workitem_id 0
		.amdhsa_next_free_vgpr 1
		.amdhsa_next_free_sgpr 0
		.amdhsa_accum_offset 4
		.amdhsa_reserve_vcc 0
		.amdhsa_reserve_flat_scratch 0
		.amdhsa_float_round_mode_32 0
		.amdhsa_float_round_mode_16_64 0
		.amdhsa_float_denorm_mode_32 3
		.amdhsa_float_denorm_mode_16_64 3
		.amdhsa_dx10_clamp 1
		.amdhsa_ieee_mode 1
		.amdhsa_fp16_overflow 0
		.amdhsa_tg_split 0
		.amdhsa_exception_fp_ieee_invalid_op 0
		.amdhsa_exception_fp_denorm_src 0
		.amdhsa_exception_fp_ieee_div_zero 0
		.amdhsa_exception_fp_ieee_overflow 0
		.amdhsa_exception_fp_ieee_underflow 0
		.amdhsa_exception_fp_ieee_inexact 0
		.amdhsa_exception_int_div_zero 0
	.end_amdhsa_kernel
	.section	.text._ZN7rocprim17ROCPRIM_400000_NS6detail17trampoline_kernelINS0_14default_configENS1_20scan_config_selectorItEEZZNS1_9scan_implILNS1_25lookback_scan_determinismE0ELb0ELb0ES3_N6thrust23THRUST_200600_302600_NS6detail15normal_iteratorINS9_10device_ptrItEEEENS9_16discard_iteratorINS9_11use_defaultEEEtNS9_4plusIvEEtEEDaPvRmT3_T4_T5_mT6_P12ihipStream_tbENKUlT_T0_E_clISt17integral_constantIbLb0EESX_EEDaSS_ST_EUlSS_E_NS1_11comp_targetILNS1_3genE10ELNS1_11target_archE1200ELNS1_3gpuE4ELNS1_3repE0EEENS1_30default_config_static_selectorELNS0_4arch9wavefront6targetE1EEEvT1_,"axG",@progbits,_ZN7rocprim17ROCPRIM_400000_NS6detail17trampoline_kernelINS0_14default_configENS1_20scan_config_selectorItEEZZNS1_9scan_implILNS1_25lookback_scan_determinismE0ELb0ELb0ES3_N6thrust23THRUST_200600_302600_NS6detail15normal_iteratorINS9_10device_ptrItEEEENS9_16discard_iteratorINS9_11use_defaultEEEtNS9_4plusIvEEtEEDaPvRmT3_T4_T5_mT6_P12ihipStream_tbENKUlT_T0_E_clISt17integral_constantIbLb0EESX_EEDaSS_ST_EUlSS_E_NS1_11comp_targetILNS1_3genE10ELNS1_11target_archE1200ELNS1_3gpuE4ELNS1_3repE0EEENS1_30default_config_static_selectorELNS0_4arch9wavefront6targetE1EEEvT1_,comdat
.Lfunc_end5444:
	.size	_ZN7rocprim17ROCPRIM_400000_NS6detail17trampoline_kernelINS0_14default_configENS1_20scan_config_selectorItEEZZNS1_9scan_implILNS1_25lookback_scan_determinismE0ELb0ELb0ES3_N6thrust23THRUST_200600_302600_NS6detail15normal_iteratorINS9_10device_ptrItEEEENS9_16discard_iteratorINS9_11use_defaultEEEtNS9_4plusIvEEtEEDaPvRmT3_T4_T5_mT6_P12ihipStream_tbENKUlT_T0_E_clISt17integral_constantIbLb0EESX_EEDaSS_ST_EUlSS_E_NS1_11comp_targetILNS1_3genE10ELNS1_11target_archE1200ELNS1_3gpuE4ELNS1_3repE0EEENS1_30default_config_static_selectorELNS0_4arch9wavefront6targetE1EEEvT1_, .Lfunc_end5444-_ZN7rocprim17ROCPRIM_400000_NS6detail17trampoline_kernelINS0_14default_configENS1_20scan_config_selectorItEEZZNS1_9scan_implILNS1_25lookback_scan_determinismE0ELb0ELb0ES3_N6thrust23THRUST_200600_302600_NS6detail15normal_iteratorINS9_10device_ptrItEEEENS9_16discard_iteratorINS9_11use_defaultEEEtNS9_4plusIvEEtEEDaPvRmT3_T4_T5_mT6_P12ihipStream_tbENKUlT_T0_E_clISt17integral_constantIbLb0EESX_EEDaSS_ST_EUlSS_E_NS1_11comp_targetILNS1_3genE10ELNS1_11target_archE1200ELNS1_3gpuE4ELNS1_3repE0EEENS1_30default_config_static_selectorELNS0_4arch9wavefront6targetE1EEEvT1_
                                        ; -- End function
	.section	.AMDGPU.csdata,"",@progbits
; Kernel info:
; codeLenInByte = 0
; NumSgprs: 4
; NumVgprs: 0
; NumAgprs: 0
; TotalNumVgprs: 0
; ScratchSize: 0
; MemoryBound: 0
; FloatMode: 240
; IeeeMode: 1
; LDSByteSize: 0 bytes/workgroup (compile time only)
; SGPRBlocks: 0
; VGPRBlocks: 0
; NumSGPRsForWavesPerEU: 4
; NumVGPRsForWavesPerEU: 1
; AccumOffset: 4
; Occupancy: 8
; WaveLimiterHint : 0
; COMPUTE_PGM_RSRC2:SCRATCH_EN: 0
; COMPUTE_PGM_RSRC2:USER_SGPR: 6
; COMPUTE_PGM_RSRC2:TRAP_HANDLER: 0
; COMPUTE_PGM_RSRC2:TGID_X_EN: 1
; COMPUTE_PGM_RSRC2:TGID_Y_EN: 0
; COMPUTE_PGM_RSRC2:TGID_Z_EN: 0
; COMPUTE_PGM_RSRC2:TIDIG_COMP_CNT: 0
; COMPUTE_PGM_RSRC3_GFX90A:ACCUM_OFFSET: 0
; COMPUTE_PGM_RSRC3_GFX90A:TG_SPLIT: 0
	.section	.text._ZN7rocprim17ROCPRIM_400000_NS6detail17trampoline_kernelINS0_14default_configENS1_20scan_config_selectorItEEZZNS1_9scan_implILNS1_25lookback_scan_determinismE0ELb0ELb0ES3_N6thrust23THRUST_200600_302600_NS6detail15normal_iteratorINS9_10device_ptrItEEEENS9_16discard_iteratorINS9_11use_defaultEEEtNS9_4plusIvEEtEEDaPvRmT3_T4_T5_mT6_P12ihipStream_tbENKUlT_T0_E_clISt17integral_constantIbLb0EESX_EEDaSS_ST_EUlSS_E_NS1_11comp_targetILNS1_3genE9ELNS1_11target_archE1100ELNS1_3gpuE3ELNS1_3repE0EEENS1_30default_config_static_selectorELNS0_4arch9wavefront6targetE1EEEvT1_,"axG",@progbits,_ZN7rocprim17ROCPRIM_400000_NS6detail17trampoline_kernelINS0_14default_configENS1_20scan_config_selectorItEEZZNS1_9scan_implILNS1_25lookback_scan_determinismE0ELb0ELb0ES3_N6thrust23THRUST_200600_302600_NS6detail15normal_iteratorINS9_10device_ptrItEEEENS9_16discard_iteratorINS9_11use_defaultEEEtNS9_4plusIvEEtEEDaPvRmT3_T4_T5_mT6_P12ihipStream_tbENKUlT_T0_E_clISt17integral_constantIbLb0EESX_EEDaSS_ST_EUlSS_E_NS1_11comp_targetILNS1_3genE9ELNS1_11target_archE1100ELNS1_3gpuE3ELNS1_3repE0EEENS1_30default_config_static_selectorELNS0_4arch9wavefront6targetE1EEEvT1_,comdat
	.protected	_ZN7rocprim17ROCPRIM_400000_NS6detail17trampoline_kernelINS0_14default_configENS1_20scan_config_selectorItEEZZNS1_9scan_implILNS1_25lookback_scan_determinismE0ELb0ELb0ES3_N6thrust23THRUST_200600_302600_NS6detail15normal_iteratorINS9_10device_ptrItEEEENS9_16discard_iteratorINS9_11use_defaultEEEtNS9_4plusIvEEtEEDaPvRmT3_T4_T5_mT6_P12ihipStream_tbENKUlT_T0_E_clISt17integral_constantIbLb0EESX_EEDaSS_ST_EUlSS_E_NS1_11comp_targetILNS1_3genE9ELNS1_11target_archE1100ELNS1_3gpuE3ELNS1_3repE0EEENS1_30default_config_static_selectorELNS0_4arch9wavefront6targetE1EEEvT1_ ; -- Begin function _ZN7rocprim17ROCPRIM_400000_NS6detail17trampoline_kernelINS0_14default_configENS1_20scan_config_selectorItEEZZNS1_9scan_implILNS1_25lookback_scan_determinismE0ELb0ELb0ES3_N6thrust23THRUST_200600_302600_NS6detail15normal_iteratorINS9_10device_ptrItEEEENS9_16discard_iteratorINS9_11use_defaultEEEtNS9_4plusIvEEtEEDaPvRmT3_T4_T5_mT6_P12ihipStream_tbENKUlT_T0_E_clISt17integral_constantIbLb0EESX_EEDaSS_ST_EUlSS_E_NS1_11comp_targetILNS1_3genE9ELNS1_11target_archE1100ELNS1_3gpuE3ELNS1_3repE0EEENS1_30default_config_static_selectorELNS0_4arch9wavefront6targetE1EEEvT1_
	.globl	_ZN7rocprim17ROCPRIM_400000_NS6detail17trampoline_kernelINS0_14default_configENS1_20scan_config_selectorItEEZZNS1_9scan_implILNS1_25lookback_scan_determinismE0ELb0ELb0ES3_N6thrust23THRUST_200600_302600_NS6detail15normal_iteratorINS9_10device_ptrItEEEENS9_16discard_iteratorINS9_11use_defaultEEEtNS9_4plusIvEEtEEDaPvRmT3_T4_T5_mT6_P12ihipStream_tbENKUlT_T0_E_clISt17integral_constantIbLb0EESX_EEDaSS_ST_EUlSS_E_NS1_11comp_targetILNS1_3genE9ELNS1_11target_archE1100ELNS1_3gpuE3ELNS1_3repE0EEENS1_30default_config_static_selectorELNS0_4arch9wavefront6targetE1EEEvT1_
	.p2align	8
	.type	_ZN7rocprim17ROCPRIM_400000_NS6detail17trampoline_kernelINS0_14default_configENS1_20scan_config_selectorItEEZZNS1_9scan_implILNS1_25lookback_scan_determinismE0ELb0ELb0ES3_N6thrust23THRUST_200600_302600_NS6detail15normal_iteratorINS9_10device_ptrItEEEENS9_16discard_iteratorINS9_11use_defaultEEEtNS9_4plusIvEEtEEDaPvRmT3_T4_T5_mT6_P12ihipStream_tbENKUlT_T0_E_clISt17integral_constantIbLb0EESX_EEDaSS_ST_EUlSS_E_NS1_11comp_targetILNS1_3genE9ELNS1_11target_archE1100ELNS1_3gpuE3ELNS1_3repE0EEENS1_30default_config_static_selectorELNS0_4arch9wavefront6targetE1EEEvT1_,@function
_ZN7rocprim17ROCPRIM_400000_NS6detail17trampoline_kernelINS0_14default_configENS1_20scan_config_selectorItEEZZNS1_9scan_implILNS1_25lookback_scan_determinismE0ELb0ELb0ES3_N6thrust23THRUST_200600_302600_NS6detail15normal_iteratorINS9_10device_ptrItEEEENS9_16discard_iteratorINS9_11use_defaultEEEtNS9_4plusIvEEtEEDaPvRmT3_T4_T5_mT6_P12ihipStream_tbENKUlT_T0_E_clISt17integral_constantIbLb0EESX_EEDaSS_ST_EUlSS_E_NS1_11comp_targetILNS1_3genE9ELNS1_11target_archE1100ELNS1_3gpuE3ELNS1_3repE0EEENS1_30default_config_static_selectorELNS0_4arch9wavefront6targetE1EEEvT1_: ; @_ZN7rocprim17ROCPRIM_400000_NS6detail17trampoline_kernelINS0_14default_configENS1_20scan_config_selectorItEEZZNS1_9scan_implILNS1_25lookback_scan_determinismE0ELb0ELb0ES3_N6thrust23THRUST_200600_302600_NS6detail15normal_iteratorINS9_10device_ptrItEEEENS9_16discard_iteratorINS9_11use_defaultEEEtNS9_4plusIvEEtEEDaPvRmT3_T4_T5_mT6_P12ihipStream_tbENKUlT_T0_E_clISt17integral_constantIbLb0EESX_EEDaSS_ST_EUlSS_E_NS1_11comp_targetILNS1_3genE9ELNS1_11target_archE1100ELNS1_3gpuE3ELNS1_3repE0EEENS1_30default_config_static_selectorELNS0_4arch9wavefront6targetE1EEEvT1_
; %bb.0:
	.section	.rodata,"a",@progbits
	.p2align	6, 0x0
	.amdhsa_kernel _ZN7rocprim17ROCPRIM_400000_NS6detail17trampoline_kernelINS0_14default_configENS1_20scan_config_selectorItEEZZNS1_9scan_implILNS1_25lookback_scan_determinismE0ELb0ELb0ES3_N6thrust23THRUST_200600_302600_NS6detail15normal_iteratorINS9_10device_ptrItEEEENS9_16discard_iteratorINS9_11use_defaultEEEtNS9_4plusIvEEtEEDaPvRmT3_T4_T5_mT6_P12ihipStream_tbENKUlT_T0_E_clISt17integral_constantIbLb0EESX_EEDaSS_ST_EUlSS_E_NS1_11comp_targetILNS1_3genE9ELNS1_11target_archE1100ELNS1_3gpuE3ELNS1_3repE0EEENS1_30default_config_static_selectorELNS0_4arch9wavefront6targetE1EEEvT1_
		.amdhsa_group_segment_fixed_size 0
		.amdhsa_private_segment_fixed_size 0
		.amdhsa_kernarg_size 104
		.amdhsa_user_sgpr_count 6
		.amdhsa_user_sgpr_private_segment_buffer 1
		.amdhsa_user_sgpr_dispatch_ptr 0
		.amdhsa_user_sgpr_queue_ptr 0
		.amdhsa_user_sgpr_kernarg_segment_ptr 1
		.amdhsa_user_sgpr_dispatch_id 0
		.amdhsa_user_sgpr_flat_scratch_init 0
		.amdhsa_user_sgpr_kernarg_preload_length 0
		.amdhsa_user_sgpr_kernarg_preload_offset 0
		.amdhsa_user_sgpr_private_segment_size 0
		.amdhsa_uses_dynamic_stack 0
		.amdhsa_system_sgpr_private_segment_wavefront_offset 0
		.amdhsa_system_sgpr_workgroup_id_x 1
		.amdhsa_system_sgpr_workgroup_id_y 0
		.amdhsa_system_sgpr_workgroup_id_z 0
		.amdhsa_system_sgpr_workgroup_info 0
		.amdhsa_system_vgpr_workitem_id 0
		.amdhsa_next_free_vgpr 1
		.amdhsa_next_free_sgpr 0
		.amdhsa_accum_offset 4
		.amdhsa_reserve_vcc 0
		.amdhsa_reserve_flat_scratch 0
		.amdhsa_float_round_mode_32 0
		.amdhsa_float_round_mode_16_64 0
		.amdhsa_float_denorm_mode_32 3
		.amdhsa_float_denorm_mode_16_64 3
		.amdhsa_dx10_clamp 1
		.amdhsa_ieee_mode 1
		.amdhsa_fp16_overflow 0
		.amdhsa_tg_split 0
		.amdhsa_exception_fp_ieee_invalid_op 0
		.amdhsa_exception_fp_denorm_src 0
		.amdhsa_exception_fp_ieee_div_zero 0
		.amdhsa_exception_fp_ieee_overflow 0
		.amdhsa_exception_fp_ieee_underflow 0
		.amdhsa_exception_fp_ieee_inexact 0
		.amdhsa_exception_int_div_zero 0
	.end_amdhsa_kernel
	.section	.text._ZN7rocprim17ROCPRIM_400000_NS6detail17trampoline_kernelINS0_14default_configENS1_20scan_config_selectorItEEZZNS1_9scan_implILNS1_25lookback_scan_determinismE0ELb0ELb0ES3_N6thrust23THRUST_200600_302600_NS6detail15normal_iteratorINS9_10device_ptrItEEEENS9_16discard_iteratorINS9_11use_defaultEEEtNS9_4plusIvEEtEEDaPvRmT3_T4_T5_mT6_P12ihipStream_tbENKUlT_T0_E_clISt17integral_constantIbLb0EESX_EEDaSS_ST_EUlSS_E_NS1_11comp_targetILNS1_3genE9ELNS1_11target_archE1100ELNS1_3gpuE3ELNS1_3repE0EEENS1_30default_config_static_selectorELNS0_4arch9wavefront6targetE1EEEvT1_,"axG",@progbits,_ZN7rocprim17ROCPRIM_400000_NS6detail17trampoline_kernelINS0_14default_configENS1_20scan_config_selectorItEEZZNS1_9scan_implILNS1_25lookback_scan_determinismE0ELb0ELb0ES3_N6thrust23THRUST_200600_302600_NS6detail15normal_iteratorINS9_10device_ptrItEEEENS9_16discard_iteratorINS9_11use_defaultEEEtNS9_4plusIvEEtEEDaPvRmT3_T4_T5_mT6_P12ihipStream_tbENKUlT_T0_E_clISt17integral_constantIbLb0EESX_EEDaSS_ST_EUlSS_E_NS1_11comp_targetILNS1_3genE9ELNS1_11target_archE1100ELNS1_3gpuE3ELNS1_3repE0EEENS1_30default_config_static_selectorELNS0_4arch9wavefront6targetE1EEEvT1_,comdat
.Lfunc_end5445:
	.size	_ZN7rocprim17ROCPRIM_400000_NS6detail17trampoline_kernelINS0_14default_configENS1_20scan_config_selectorItEEZZNS1_9scan_implILNS1_25lookback_scan_determinismE0ELb0ELb0ES3_N6thrust23THRUST_200600_302600_NS6detail15normal_iteratorINS9_10device_ptrItEEEENS9_16discard_iteratorINS9_11use_defaultEEEtNS9_4plusIvEEtEEDaPvRmT3_T4_T5_mT6_P12ihipStream_tbENKUlT_T0_E_clISt17integral_constantIbLb0EESX_EEDaSS_ST_EUlSS_E_NS1_11comp_targetILNS1_3genE9ELNS1_11target_archE1100ELNS1_3gpuE3ELNS1_3repE0EEENS1_30default_config_static_selectorELNS0_4arch9wavefront6targetE1EEEvT1_, .Lfunc_end5445-_ZN7rocprim17ROCPRIM_400000_NS6detail17trampoline_kernelINS0_14default_configENS1_20scan_config_selectorItEEZZNS1_9scan_implILNS1_25lookback_scan_determinismE0ELb0ELb0ES3_N6thrust23THRUST_200600_302600_NS6detail15normal_iteratorINS9_10device_ptrItEEEENS9_16discard_iteratorINS9_11use_defaultEEEtNS9_4plusIvEEtEEDaPvRmT3_T4_T5_mT6_P12ihipStream_tbENKUlT_T0_E_clISt17integral_constantIbLb0EESX_EEDaSS_ST_EUlSS_E_NS1_11comp_targetILNS1_3genE9ELNS1_11target_archE1100ELNS1_3gpuE3ELNS1_3repE0EEENS1_30default_config_static_selectorELNS0_4arch9wavefront6targetE1EEEvT1_
                                        ; -- End function
	.section	.AMDGPU.csdata,"",@progbits
; Kernel info:
; codeLenInByte = 0
; NumSgprs: 4
; NumVgprs: 0
; NumAgprs: 0
; TotalNumVgprs: 0
; ScratchSize: 0
; MemoryBound: 0
; FloatMode: 240
; IeeeMode: 1
; LDSByteSize: 0 bytes/workgroup (compile time only)
; SGPRBlocks: 0
; VGPRBlocks: 0
; NumSGPRsForWavesPerEU: 4
; NumVGPRsForWavesPerEU: 1
; AccumOffset: 4
; Occupancy: 8
; WaveLimiterHint : 0
; COMPUTE_PGM_RSRC2:SCRATCH_EN: 0
; COMPUTE_PGM_RSRC2:USER_SGPR: 6
; COMPUTE_PGM_RSRC2:TRAP_HANDLER: 0
; COMPUTE_PGM_RSRC2:TGID_X_EN: 1
; COMPUTE_PGM_RSRC2:TGID_Y_EN: 0
; COMPUTE_PGM_RSRC2:TGID_Z_EN: 0
; COMPUTE_PGM_RSRC2:TIDIG_COMP_CNT: 0
; COMPUTE_PGM_RSRC3_GFX90A:ACCUM_OFFSET: 0
; COMPUTE_PGM_RSRC3_GFX90A:TG_SPLIT: 0
	.section	.text._ZN7rocprim17ROCPRIM_400000_NS6detail17trampoline_kernelINS0_14default_configENS1_20scan_config_selectorItEEZZNS1_9scan_implILNS1_25lookback_scan_determinismE0ELb0ELb0ES3_N6thrust23THRUST_200600_302600_NS6detail15normal_iteratorINS9_10device_ptrItEEEENS9_16discard_iteratorINS9_11use_defaultEEEtNS9_4plusIvEEtEEDaPvRmT3_T4_T5_mT6_P12ihipStream_tbENKUlT_T0_E_clISt17integral_constantIbLb0EESX_EEDaSS_ST_EUlSS_E_NS1_11comp_targetILNS1_3genE8ELNS1_11target_archE1030ELNS1_3gpuE2ELNS1_3repE0EEENS1_30default_config_static_selectorELNS0_4arch9wavefront6targetE1EEEvT1_,"axG",@progbits,_ZN7rocprim17ROCPRIM_400000_NS6detail17trampoline_kernelINS0_14default_configENS1_20scan_config_selectorItEEZZNS1_9scan_implILNS1_25lookback_scan_determinismE0ELb0ELb0ES3_N6thrust23THRUST_200600_302600_NS6detail15normal_iteratorINS9_10device_ptrItEEEENS9_16discard_iteratorINS9_11use_defaultEEEtNS9_4plusIvEEtEEDaPvRmT3_T4_T5_mT6_P12ihipStream_tbENKUlT_T0_E_clISt17integral_constantIbLb0EESX_EEDaSS_ST_EUlSS_E_NS1_11comp_targetILNS1_3genE8ELNS1_11target_archE1030ELNS1_3gpuE2ELNS1_3repE0EEENS1_30default_config_static_selectorELNS0_4arch9wavefront6targetE1EEEvT1_,comdat
	.protected	_ZN7rocprim17ROCPRIM_400000_NS6detail17trampoline_kernelINS0_14default_configENS1_20scan_config_selectorItEEZZNS1_9scan_implILNS1_25lookback_scan_determinismE0ELb0ELb0ES3_N6thrust23THRUST_200600_302600_NS6detail15normal_iteratorINS9_10device_ptrItEEEENS9_16discard_iteratorINS9_11use_defaultEEEtNS9_4plusIvEEtEEDaPvRmT3_T4_T5_mT6_P12ihipStream_tbENKUlT_T0_E_clISt17integral_constantIbLb0EESX_EEDaSS_ST_EUlSS_E_NS1_11comp_targetILNS1_3genE8ELNS1_11target_archE1030ELNS1_3gpuE2ELNS1_3repE0EEENS1_30default_config_static_selectorELNS0_4arch9wavefront6targetE1EEEvT1_ ; -- Begin function _ZN7rocprim17ROCPRIM_400000_NS6detail17trampoline_kernelINS0_14default_configENS1_20scan_config_selectorItEEZZNS1_9scan_implILNS1_25lookback_scan_determinismE0ELb0ELb0ES3_N6thrust23THRUST_200600_302600_NS6detail15normal_iteratorINS9_10device_ptrItEEEENS9_16discard_iteratorINS9_11use_defaultEEEtNS9_4plusIvEEtEEDaPvRmT3_T4_T5_mT6_P12ihipStream_tbENKUlT_T0_E_clISt17integral_constantIbLb0EESX_EEDaSS_ST_EUlSS_E_NS1_11comp_targetILNS1_3genE8ELNS1_11target_archE1030ELNS1_3gpuE2ELNS1_3repE0EEENS1_30default_config_static_selectorELNS0_4arch9wavefront6targetE1EEEvT1_
	.globl	_ZN7rocprim17ROCPRIM_400000_NS6detail17trampoline_kernelINS0_14default_configENS1_20scan_config_selectorItEEZZNS1_9scan_implILNS1_25lookback_scan_determinismE0ELb0ELb0ES3_N6thrust23THRUST_200600_302600_NS6detail15normal_iteratorINS9_10device_ptrItEEEENS9_16discard_iteratorINS9_11use_defaultEEEtNS9_4plusIvEEtEEDaPvRmT3_T4_T5_mT6_P12ihipStream_tbENKUlT_T0_E_clISt17integral_constantIbLb0EESX_EEDaSS_ST_EUlSS_E_NS1_11comp_targetILNS1_3genE8ELNS1_11target_archE1030ELNS1_3gpuE2ELNS1_3repE0EEENS1_30default_config_static_selectorELNS0_4arch9wavefront6targetE1EEEvT1_
	.p2align	8
	.type	_ZN7rocprim17ROCPRIM_400000_NS6detail17trampoline_kernelINS0_14default_configENS1_20scan_config_selectorItEEZZNS1_9scan_implILNS1_25lookback_scan_determinismE0ELb0ELb0ES3_N6thrust23THRUST_200600_302600_NS6detail15normal_iteratorINS9_10device_ptrItEEEENS9_16discard_iteratorINS9_11use_defaultEEEtNS9_4plusIvEEtEEDaPvRmT3_T4_T5_mT6_P12ihipStream_tbENKUlT_T0_E_clISt17integral_constantIbLb0EESX_EEDaSS_ST_EUlSS_E_NS1_11comp_targetILNS1_3genE8ELNS1_11target_archE1030ELNS1_3gpuE2ELNS1_3repE0EEENS1_30default_config_static_selectorELNS0_4arch9wavefront6targetE1EEEvT1_,@function
_ZN7rocprim17ROCPRIM_400000_NS6detail17trampoline_kernelINS0_14default_configENS1_20scan_config_selectorItEEZZNS1_9scan_implILNS1_25lookback_scan_determinismE0ELb0ELb0ES3_N6thrust23THRUST_200600_302600_NS6detail15normal_iteratorINS9_10device_ptrItEEEENS9_16discard_iteratorINS9_11use_defaultEEEtNS9_4plusIvEEtEEDaPvRmT3_T4_T5_mT6_P12ihipStream_tbENKUlT_T0_E_clISt17integral_constantIbLb0EESX_EEDaSS_ST_EUlSS_E_NS1_11comp_targetILNS1_3genE8ELNS1_11target_archE1030ELNS1_3gpuE2ELNS1_3repE0EEENS1_30default_config_static_selectorELNS0_4arch9wavefront6targetE1EEEvT1_: ; @_ZN7rocprim17ROCPRIM_400000_NS6detail17trampoline_kernelINS0_14default_configENS1_20scan_config_selectorItEEZZNS1_9scan_implILNS1_25lookback_scan_determinismE0ELb0ELb0ES3_N6thrust23THRUST_200600_302600_NS6detail15normal_iteratorINS9_10device_ptrItEEEENS9_16discard_iteratorINS9_11use_defaultEEEtNS9_4plusIvEEtEEDaPvRmT3_T4_T5_mT6_P12ihipStream_tbENKUlT_T0_E_clISt17integral_constantIbLb0EESX_EEDaSS_ST_EUlSS_E_NS1_11comp_targetILNS1_3genE8ELNS1_11target_archE1030ELNS1_3gpuE2ELNS1_3repE0EEENS1_30default_config_static_selectorELNS0_4arch9wavefront6targetE1EEEvT1_
; %bb.0:
	.section	.rodata,"a",@progbits
	.p2align	6, 0x0
	.amdhsa_kernel _ZN7rocprim17ROCPRIM_400000_NS6detail17trampoline_kernelINS0_14default_configENS1_20scan_config_selectorItEEZZNS1_9scan_implILNS1_25lookback_scan_determinismE0ELb0ELb0ES3_N6thrust23THRUST_200600_302600_NS6detail15normal_iteratorINS9_10device_ptrItEEEENS9_16discard_iteratorINS9_11use_defaultEEEtNS9_4plusIvEEtEEDaPvRmT3_T4_T5_mT6_P12ihipStream_tbENKUlT_T0_E_clISt17integral_constantIbLb0EESX_EEDaSS_ST_EUlSS_E_NS1_11comp_targetILNS1_3genE8ELNS1_11target_archE1030ELNS1_3gpuE2ELNS1_3repE0EEENS1_30default_config_static_selectorELNS0_4arch9wavefront6targetE1EEEvT1_
		.amdhsa_group_segment_fixed_size 0
		.amdhsa_private_segment_fixed_size 0
		.amdhsa_kernarg_size 104
		.amdhsa_user_sgpr_count 6
		.amdhsa_user_sgpr_private_segment_buffer 1
		.amdhsa_user_sgpr_dispatch_ptr 0
		.amdhsa_user_sgpr_queue_ptr 0
		.amdhsa_user_sgpr_kernarg_segment_ptr 1
		.amdhsa_user_sgpr_dispatch_id 0
		.amdhsa_user_sgpr_flat_scratch_init 0
		.amdhsa_user_sgpr_kernarg_preload_length 0
		.amdhsa_user_sgpr_kernarg_preload_offset 0
		.amdhsa_user_sgpr_private_segment_size 0
		.amdhsa_uses_dynamic_stack 0
		.amdhsa_system_sgpr_private_segment_wavefront_offset 0
		.amdhsa_system_sgpr_workgroup_id_x 1
		.amdhsa_system_sgpr_workgroup_id_y 0
		.amdhsa_system_sgpr_workgroup_id_z 0
		.amdhsa_system_sgpr_workgroup_info 0
		.amdhsa_system_vgpr_workitem_id 0
		.amdhsa_next_free_vgpr 1
		.amdhsa_next_free_sgpr 0
		.amdhsa_accum_offset 4
		.amdhsa_reserve_vcc 0
		.amdhsa_reserve_flat_scratch 0
		.amdhsa_float_round_mode_32 0
		.amdhsa_float_round_mode_16_64 0
		.amdhsa_float_denorm_mode_32 3
		.amdhsa_float_denorm_mode_16_64 3
		.amdhsa_dx10_clamp 1
		.amdhsa_ieee_mode 1
		.amdhsa_fp16_overflow 0
		.amdhsa_tg_split 0
		.amdhsa_exception_fp_ieee_invalid_op 0
		.amdhsa_exception_fp_denorm_src 0
		.amdhsa_exception_fp_ieee_div_zero 0
		.amdhsa_exception_fp_ieee_overflow 0
		.amdhsa_exception_fp_ieee_underflow 0
		.amdhsa_exception_fp_ieee_inexact 0
		.amdhsa_exception_int_div_zero 0
	.end_amdhsa_kernel
	.section	.text._ZN7rocprim17ROCPRIM_400000_NS6detail17trampoline_kernelINS0_14default_configENS1_20scan_config_selectorItEEZZNS1_9scan_implILNS1_25lookback_scan_determinismE0ELb0ELb0ES3_N6thrust23THRUST_200600_302600_NS6detail15normal_iteratorINS9_10device_ptrItEEEENS9_16discard_iteratorINS9_11use_defaultEEEtNS9_4plusIvEEtEEDaPvRmT3_T4_T5_mT6_P12ihipStream_tbENKUlT_T0_E_clISt17integral_constantIbLb0EESX_EEDaSS_ST_EUlSS_E_NS1_11comp_targetILNS1_3genE8ELNS1_11target_archE1030ELNS1_3gpuE2ELNS1_3repE0EEENS1_30default_config_static_selectorELNS0_4arch9wavefront6targetE1EEEvT1_,"axG",@progbits,_ZN7rocprim17ROCPRIM_400000_NS6detail17trampoline_kernelINS0_14default_configENS1_20scan_config_selectorItEEZZNS1_9scan_implILNS1_25lookback_scan_determinismE0ELb0ELb0ES3_N6thrust23THRUST_200600_302600_NS6detail15normal_iteratorINS9_10device_ptrItEEEENS9_16discard_iteratorINS9_11use_defaultEEEtNS9_4plusIvEEtEEDaPvRmT3_T4_T5_mT6_P12ihipStream_tbENKUlT_T0_E_clISt17integral_constantIbLb0EESX_EEDaSS_ST_EUlSS_E_NS1_11comp_targetILNS1_3genE8ELNS1_11target_archE1030ELNS1_3gpuE2ELNS1_3repE0EEENS1_30default_config_static_selectorELNS0_4arch9wavefront6targetE1EEEvT1_,comdat
.Lfunc_end5446:
	.size	_ZN7rocprim17ROCPRIM_400000_NS6detail17trampoline_kernelINS0_14default_configENS1_20scan_config_selectorItEEZZNS1_9scan_implILNS1_25lookback_scan_determinismE0ELb0ELb0ES3_N6thrust23THRUST_200600_302600_NS6detail15normal_iteratorINS9_10device_ptrItEEEENS9_16discard_iteratorINS9_11use_defaultEEEtNS9_4plusIvEEtEEDaPvRmT3_T4_T5_mT6_P12ihipStream_tbENKUlT_T0_E_clISt17integral_constantIbLb0EESX_EEDaSS_ST_EUlSS_E_NS1_11comp_targetILNS1_3genE8ELNS1_11target_archE1030ELNS1_3gpuE2ELNS1_3repE0EEENS1_30default_config_static_selectorELNS0_4arch9wavefront6targetE1EEEvT1_, .Lfunc_end5446-_ZN7rocprim17ROCPRIM_400000_NS6detail17trampoline_kernelINS0_14default_configENS1_20scan_config_selectorItEEZZNS1_9scan_implILNS1_25lookback_scan_determinismE0ELb0ELb0ES3_N6thrust23THRUST_200600_302600_NS6detail15normal_iteratorINS9_10device_ptrItEEEENS9_16discard_iteratorINS9_11use_defaultEEEtNS9_4plusIvEEtEEDaPvRmT3_T4_T5_mT6_P12ihipStream_tbENKUlT_T0_E_clISt17integral_constantIbLb0EESX_EEDaSS_ST_EUlSS_E_NS1_11comp_targetILNS1_3genE8ELNS1_11target_archE1030ELNS1_3gpuE2ELNS1_3repE0EEENS1_30default_config_static_selectorELNS0_4arch9wavefront6targetE1EEEvT1_
                                        ; -- End function
	.section	.AMDGPU.csdata,"",@progbits
; Kernel info:
; codeLenInByte = 0
; NumSgprs: 4
; NumVgprs: 0
; NumAgprs: 0
; TotalNumVgprs: 0
; ScratchSize: 0
; MemoryBound: 0
; FloatMode: 240
; IeeeMode: 1
; LDSByteSize: 0 bytes/workgroup (compile time only)
; SGPRBlocks: 0
; VGPRBlocks: 0
; NumSGPRsForWavesPerEU: 4
; NumVGPRsForWavesPerEU: 1
; AccumOffset: 4
; Occupancy: 8
; WaveLimiterHint : 0
; COMPUTE_PGM_RSRC2:SCRATCH_EN: 0
; COMPUTE_PGM_RSRC2:USER_SGPR: 6
; COMPUTE_PGM_RSRC2:TRAP_HANDLER: 0
; COMPUTE_PGM_RSRC2:TGID_X_EN: 1
; COMPUTE_PGM_RSRC2:TGID_Y_EN: 0
; COMPUTE_PGM_RSRC2:TGID_Z_EN: 0
; COMPUTE_PGM_RSRC2:TIDIG_COMP_CNT: 0
; COMPUTE_PGM_RSRC3_GFX90A:ACCUM_OFFSET: 0
; COMPUTE_PGM_RSRC3_GFX90A:TG_SPLIT: 0
	.section	.text._ZN7rocprim17ROCPRIM_400000_NS6detail17trampoline_kernelINS0_14default_configENS1_20scan_config_selectorItEEZZNS1_9scan_implILNS1_25lookback_scan_determinismE0ELb0ELb0ES3_N6thrust23THRUST_200600_302600_NS6detail15normal_iteratorINS9_10device_ptrItEEEENS9_16discard_iteratorINS9_11use_defaultEEEtNS9_4plusIvEEtEEDaPvRmT3_T4_T5_mT6_P12ihipStream_tbENKUlT_T0_E_clISt17integral_constantIbLb0EESX_EEDaSS_ST_EUlSS_E0_NS1_11comp_targetILNS1_3genE0ELNS1_11target_archE4294967295ELNS1_3gpuE0ELNS1_3repE0EEENS1_30default_config_static_selectorELNS0_4arch9wavefront6targetE1EEEvT1_,"axG",@progbits,_ZN7rocprim17ROCPRIM_400000_NS6detail17trampoline_kernelINS0_14default_configENS1_20scan_config_selectorItEEZZNS1_9scan_implILNS1_25lookback_scan_determinismE0ELb0ELb0ES3_N6thrust23THRUST_200600_302600_NS6detail15normal_iteratorINS9_10device_ptrItEEEENS9_16discard_iteratorINS9_11use_defaultEEEtNS9_4plusIvEEtEEDaPvRmT3_T4_T5_mT6_P12ihipStream_tbENKUlT_T0_E_clISt17integral_constantIbLb0EESX_EEDaSS_ST_EUlSS_E0_NS1_11comp_targetILNS1_3genE0ELNS1_11target_archE4294967295ELNS1_3gpuE0ELNS1_3repE0EEENS1_30default_config_static_selectorELNS0_4arch9wavefront6targetE1EEEvT1_,comdat
	.protected	_ZN7rocprim17ROCPRIM_400000_NS6detail17trampoline_kernelINS0_14default_configENS1_20scan_config_selectorItEEZZNS1_9scan_implILNS1_25lookback_scan_determinismE0ELb0ELb0ES3_N6thrust23THRUST_200600_302600_NS6detail15normal_iteratorINS9_10device_ptrItEEEENS9_16discard_iteratorINS9_11use_defaultEEEtNS9_4plusIvEEtEEDaPvRmT3_T4_T5_mT6_P12ihipStream_tbENKUlT_T0_E_clISt17integral_constantIbLb0EESX_EEDaSS_ST_EUlSS_E0_NS1_11comp_targetILNS1_3genE0ELNS1_11target_archE4294967295ELNS1_3gpuE0ELNS1_3repE0EEENS1_30default_config_static_selectorELNS0_4arch9wavefront6targetE1EEEvT1_ ; -- Begin function _ZN7rocprim17ROCPRIM_400000_NS6detail17trampoline_kernelINS0_14default_configENS1_20scan_config_selectorItEEZZNS1_9scan_implILNS1_25lookback_scan_determinismE0ELb0ELb0ES3_N6thrust23THRUST_200600_302600_NS6detail15normal_iteratorINS9_10device_ptrItEEEENS9_16discard_iteratorINS9_11use_defaultEEEtNS9_4plusIvEEtEEDaPvRmT3_T4_T5_mT6_P12ihipStream_tbENKUlT_T0_E_clISt17integral_constantIbLb0EESX_EEDaSS_ST_EUlSS_E0_NS1_11comp_targetILNS1_3genE0ELNS1_11target_archE4294967295ELNS1_3gpuE0ELNS1_3repE0EEENS1_30default_config_static_selectorELNS0_4arch9wavefront6targetE1EEEvT1_
	.globl	_ZN7rocprim17ROCPRIM_400000_NS6detail17trampoline_kernelINS0_14default_configENS1_20scan_config_selectorItEEZZNS1_9scan_implILNS1_25lookback_scan_determinismE0ELb0ELb0ES3_N6thrust23THRUST_200600_302600_NS6detail15normal_iteratorINS9_10device_ptrItEEEENS9_16discard_iteratorINS9_11use_defaultEEEtNS9_4plusIvEEtEEDaPvRmT3_T4_T5_mT6_P12ihipStream_tbENKUlT_T0_E_clISt17integral_constantIbLb0EESX_EEDaSS_ST_EUlSS_E0_NS1_11comp_targetILNS1_3genE0ELNS1_11target_archE4294967295ELNS1_3gpuE0ELNS1_3repE0EEENS1_30default_config_static_selectorELNS0_4arch9wavefront6targetE1EEEvT1_
	.p2align	8
	.type	_ZN7rocprim17ROCPRIM_400000_NS6detail17trampoline_kernelINS0_14default_configENS1_20scan_config_selectorItEEZZNS1_9scan_implILNS1_25lookback_scan_determinismE0ELb0ELb0ES3_N6thrust23THRUST_200600_302600_NS6detail15normal_iteratorINS9_10device_ptrItEEEENS9_16discard_iteratorINS9_11use_defaultEEEtNS9_4plusIvEEtEEDaPvRmT3_T4_T5_mT6_P12ihipStream_tbENKUlT_T0_E_clISt17integral_constantIbLb0EESX_EEDaSS_ST_EUlSS_E0_NS1_11comp_targetILNS1_3genE0ELNS1_11target_archE4294967295ELNS1_3gpuE0ELNS1_3repE0EEENS1_30default_config_static_selectorELNS0_4arch9wavefront6targetE1EEEvT1_,@function
_ZN7rocprim17ROCPRIM_400000_NS6detail17trampoline_kernelINS0_14default_configENS1_20scan_config_selectorItEEZZNS1_9scan_implILNS1_25lookback_scan_determinismE0ELb0ELb0ES3_N6thrust23THRUST_200600_302600_NS6detail15normal_iteratorINS9_10device_ptrItEEEENS9_16discard_iteratorINS9_11use_defaultEEEtNS9_4plusIvEEtEEDaPvRmT3_T4_T5_mT6_P12ihipStream_tbENKUlT_T0_E_clISt17integral_constantIbLb0EESX_EEDaSS_ST_EUlSS_E0_NS1_11comp_targetILNS1_3genE0ELNS1_11target_archE4294967295ELNS1_3gpuE0ELNS1_3repE0EEENS1_30default_config_static_selectorELNS0_4arch9wavefront6targetE1EEEvT1_: ; @_ZN7rocprim17ROCPRIM_400000_NS6detail17trampoline_kernelINS0_14default_configENS1_20scan_config_selectorItEEZZNS1_9scan_implILNS1_25lookback_scan_determinismE0ELb0ELb0ES3_N6thrust23THRUST_200600_302600_NS6detail15normal_iteratorINS9_10device_ptrItEEEENS9_16discard_iteratorINS9_11use_defaultEEEtNS9_4plusIvEEtEEDaPvRmT3_T4_T5_mT6_P12ihipStream_tbENKUlT_T0_E_clISt17integral_constantIbLb0EESX_EEDaSS_ST_EUlSS_E0_NS1_11comp_targetILNS1_3genE0ELNS1_11target_archE4294967295ELNS1_3gpuE0ELNS1_3repE0EEENS1_30default_config_static_selectorELNS0_4arch9wavefront6targetE1EEEvT1_
; %bb.0:
	.section	.rodata,"a",@progbits
	.p2align	6, 0x0
	.amdhsa_kernel _ZN7rocprim17ROCPRIM_400000_NS6detail17trampoline_kernelINS0_14default_configENS1_20scan_config_selectorItEEZZNS1_9scan_implILNS1_25lookback_scan_determinismE0ELb0ELb0ES3_N6thrust23THRUST_200600_302600_NS6detail15normal_iteratorINS9_10device_ptrItEEEENS9_16discard_iteratorINS9_11use_defaultEEEtNS9_4plusIvEEtEEDaPvRmT3_T4_T5_mT6_P12ihipStream_tbENKUlT_T0_E_clISt17integral_constantIbLb0EESX_EEDaSS_ST_EUlSS_E0_NS1_11comp_targetILNS1_3genE0ELNS1_11target_archE4294967295ELNS1_3gpuE0ELNS1_3repE0EEENS1_30default_config_static_selectorELNS0_4arch9wavefront6targetE1EEEvT1_
		.amdhsa_group_segment_fixed_size 0
		.amdhsa_private_segment_fixed_size 0
		.amdhsa_kernarg_size 40
		.amdhsa_user_sgpr_count 6
		.amdhsa_user_sgpr_private_segment_buffer 1
		.amdhsa_user_sgpr_dispatch_ptr 0
		.amdhsa_user_sgpr_queue_ptr 0
		.amdhsa_user_sgpr_kernarg_segment_ptr 1
		.amdhsa_user_sgpr_dispatch_id 0
		.amdhsa_user_sgpr_flat_scratch_init 0
		.amdhsa_user_sgpr_kernarg_preload_length 0
		.amdhsa_user_sgpr_kernarg_preload_offset 0
		.amdhsa_user_sgpr_private_segment_size 0
		.amdhsa_uses_dynamic_stack 0
		.amdhsa_system_sgpr_private_segment_wavefront_offset 0
		.amdhsa_system_sgpr_workgroup_id_x 1
		.amdhsa_system_sgpr_workgroup_id_y 0
		.amdhsa_system_sgpr_workgroup_id_z 0
		.amdhsa_system_sgpr_workgroup_info 0
		.amdhsa_system_vgpr_workitem_id 0
		.amdhsa_next_free_vgpr 1
		.amdhsa_next_free_sgpr 0
		.amdhsa_accum_offset 4
		.amdhsa_reserve_vcc 0
		.amdhsa_reserve_flat_scratch 0
		.amdhsa_float_round_mode_32 0
		.amdhsa_float_round_mode_16_64 0
		.amdhsa_float_denorm_mode_32 3
		.amdhsa_float_denorm_mode_16_64 3
		.amdhsa_dx10_clamp 1
		.amdhsa_ieee_mode 1
		.amdhsa_fp16_overflow 0
		.amdhsa_tg_split 0
		.amdhsa_exception_fp_ieee_invalid_op 0
		.amdhsa_exception_fp_denorm_src 0
		.amdhsa_exception_fp_ieee_div_zero 0
		.amdhsa_exception_fp_ieee_overflow 0
		.amdhsa_exception_fp_ieee_underflow 0
		.amdhsa_exception_fp_ieee_inexact 0
		.amdhsa_exception_int_div_zero 0
	.end_amdhsa_kernel
	.section	.text._ZN7rocprim17ROCPRIM_400000_NS6detail17trampoline_kernelINS0_14default_configENS1_20scan_config_selectorItEEZZNS1_9scan_implILNS1_25lookback_scan_determinismE0ELb0ELb0ES3_N6thrust23THRUST_200600_302600_NS6detail15normal_iteratorINS9_10device_ptrItEEEENS9_16discard_iteratorINS9_11use_defaultEEEtNS9_4plusIvEEtEEDaPvRmT3_T4_T5_mT6_P12ihipStream_tbENKUlT_T0_E_clISt17integral_constantIbLb0EESX_EEDaSS_ST_EUlSS_E0_NS1_11comp_targetILNS1_3genE0ELNS1_11target_archE4294967295ELNS1_3gpuE0ELNS1_3repE0EEENS1_30default_config_static_selectorELNS0_4arch9wavefront6targetE1EEEvT1_,"axG",@progbits,_ZN7rocprim17ROCPRIM_400000_NS6detail17trampoline_kernelINS0_14default_configENS1_20scan_config_selectorItEEZZNS1_9scan_implILNS1_25lookback_scan_determinismE0ELb0ELb0ES3_N6thrust23THRUST_200600_302600_NS6detail15normal_iteratorINS9_10device_ptrItEEEENS9_16discard_iteratorINS9_11use_defaultEEEtNS9_4plusIvEEtEEDaPvRmT3_T4_T5_mT6_P12ihipStream_tbENKUlT_T0_E_clISt17integral_constantIbLb0EESX_EEDaSS_ST_EUlSS_E0_NS1_11comp_targetILNS1_3genE0ELNS1_11target_archE4294967295ELNS1_3gpuE0ELNS1_3repE0EEENS1_30default_config_static_selectorELNS0_4arch9wavefront6targetE1EEEvT1_,comdat
.Lfunc_end5447:
	.size	_ZN7rocprim17ROCPRIM_400000_NS6detail17trampoline_kernelINS0_14default_configENS1_20scan_config_selectorItEEZZNS1_9scan_implILNS1_25lookback_scan_determinismE0ELb0ELb0ES3_N6thrust23THRUST_200600_302600_NS6detail15normal_iteratorINS9_10device_ptrItEEEENS9_16discard_iteratorINS9_11use_defaultEEEtNS9_4plusIvEEtEEDaPvRmT3_T4_T5_mT6_P12ihipStream_tbENKUlT_T0_E_clISt17integral_constantIbLb0EESX_EEDaSS_ST_EUlSS_E0_NS1_11comp_targetILNS1_3genE0ELNS1_11target_archE4294967295ELNS1_3gpuE0ELNS1_3repE0EEENS1_30default_config_static_selectorELNS0_4arch9wavefront6targetE1EEEvT1_, .Lfunc_end5447-_ZN7rocprim17ROCPRIM_400000_NS6detail17trampoline_kernelINS0_14default_configENS1_20scan_config_selectorItEEZZNS1_9scan_implILNS1_25lookback_scan_determinismE0ELb0ELb0ES3_N6thrust23THRUST_200600_302600_NS6detail15normal_iteratorINS9_10device_ptrItEEEENS9_16discard_iteratorINS9_11use_defaultEEEtNS9_4plusIvEEtEEDaPvRmT3_T4_T5_mT6_P12ihipStream_tbENKUlT_T0_E_clISt17integral_constantIbLb0EESX_EEDaSS_ST_EUlSS_E0_NS1_11comp_targetILNS1_3genE0ELNS1_11target_archE4294967295ELNS1_3gpuE0ELNS1_3repE0EEENS1_30default_config_static_selectorELNS0_4arch9wavefront6targetE1EEEvT1_
                                        ; -- End function
	.section	.AMDGPU.csdata,"",@progbits
; Kernel info:
; codeLenInByte = 0
; NumSgprs: 4
; NumVgprs: 0
; NumAgprs: 0
; TotalNumVgprs: 0
; ScratchSize: 0
; MemoryBound: 0
; FloatMode: 240
; IeeeMode: 1
; LDSByteSize: 0 bytes/workgroup (compile time only)
; SGPRBlocks: 0
; VGPRBlocks: 0
; NumSGPRsForWavesPerEU: 4
; NumVGPRsForWavesPerEU: 1
; AccumOffset: 4
; Occupancy: 8
; WaveLimiterHint : 0
; COMPUTE_PGM_RSRC2:SCRATCH_EN: 0
; COMPUTE_PGM_RSRC2:USER_SGPR: 6
; COMPUTE_PGM_RSRC2:TRAP_HANDLER: 0
; COMPUTE_PGM_RSRC2:TGID_X_EN: 1
; COMPUTE_PGM_RSRC2:TGID_Y_EN: 0
; COMPUTE_PGM_RSRC2:TGID_Z_EN: 0
; COMPUTE_PGM_RSRC2:TIDIG_COMP_CNT: 0
; COMPUTE_PGM_RSRC3_GFX90A:ACCUM_OFFSET: 0
; COMPUTE_PGM_RSRC3_GFX90A:TG_SPLIT: 0
	.section	.text._ZN7rocprim17ROCPRIM_400000_NS6detail17trampoline_kernelINS0_14default_configENS1_20scan_config_selectorItEEZZNS1_9scan_implILNS1_25lookback_scan_determinismE0ELb0ELb0ES3_N6thrust23THRUST_200600_302600_NS6detail15normal_iteratorINS9_10device_ptrItEEEENS9_16discard_iteratorINS9_11use_defaultEEEtNS9_4plusIvEEtEEDaPvRmT3_T4_T5_mT6_P12ihipStream_tbENKUlT_T0_E_clISt17integral_constantIbLb0EESX_EEDaSS_ST_EUlSS_E0_NS1_11comp_targetILNS1_3genE5ELNS1_11target_archE942ELNS1_3gpuE9ELNS1_3repE0EEENS1_30default_config_static_selectorELNS0_4arch9wavefront6targetE1EEEvT1_,"axG",@progbits,_ZN7rocprim17ROCPRIM_400000_NS6detail17trampoline_kernelINS0_14default_configENS1_20scan_config_selectorItEEZZNS1_9scan_implILNS1_25lookback_scan_determinismE0ELb0ELb0ES3_N6thrust23THRUST_200600_302600_NS6detail15normal_iteratorINS9_10device_ptrItEEEENS9_16discard_iteratorINS9_11use_defaultEEEtNS9_4plusIvEEtEEDaPvRmT3_T4_T5_mT6_P12ihipStream_tbENKUlT_T0_E_clISt17integral_constantIbLb0EESX_EEDaSS_ST_EUlSS_E0_NS1_11comp_targetILNS1_3genE5ELNS1_11target_archE942ELNS1_3gpuE9ELNS1_3repE0EEENS1_30default_config_static_selectorELNS0_4arch9wavefront6targetE1EEEvT1_,comdat
	.protected	_ZN7rocprim17ROCPRIM_400000_NS6detail17trampoline_kernelINS0_14default_configENS1_20scan_config_selectorItEEZZNS1_9scan_implILNS1_25lookback_scan_determinismE0ELb0ELb0ES3_N6thrust23THRUST_200600_302600_NS6detail15normal_iteratorINS9_10device_ptrItEEEENS9_16discard_iteratorINS9_11use_defaultEEEtNS9_4plusIvEEtEEDaPvRmT3_T4_T5_mT6_P12ihipStream_tbENKUlT_T0_E_clISt17integral_constantIbLb0EESX_EEDaSS_ST_EUlSS_E0_NS1_11comp_targetILNS1_3genE5ELNS1_11target_archE942ELNS1_3gpuE9ELNS1_3repE0EEENS1_30default_config_static_selectorELNS0_4arch9wavefront6targetE1EEEvT1_ ; -- Begin function _ZN7rocprim17ROCPRIM_400000_NS6detail17trampoline_kernelINS0_14default_configENS1_20scan_config_selectorItEEZZNS1_9scan_implILNS1_25lookback_scan_determinismE0ELb0ELb0ES3_N6thrust23THRUST_200600_302600_NS6detail15normal_iteratorINS9_10device_ptrItEEEENS9_16discard_iteratorINS9_11use_defaultEEEtNS9_4plusIvEEtEEDaPvRmT3_T4_T5_mT6_P12ihipStream_tbENKUlT_T0_E_clISt17integral_constantIbLb0EESX_EEDaSS_ST_EUlSS_E0_NS1_11comp_targetILNS1_3genE5ELNS1_11target_archE942ELNS1_3gpuE9ELNS1_3repE0EEENS1_30default_config_static_selectorELNS0_4arch9wavefront6targetE1EEEvT1_
	.globl	_ZN7rocprim17ROCPRIM_400000_NS6detail17trampoline_kernelINS0_14default_configENS1_20scan_config_selectorItEEZZNS1_9scan_implILNS1_25lookback_scan_determinismE0ELb0ELb0ES3_N6thrust23THRUST_200600_302600_NS6detail15normal_iteratorINS9_10device_ptrItEEEENS9_16discard_iteratorINS9_11use_defaultEEEtNS9_4plusIvEEtEEDaPvRmT3_T4_T5_mT6_P12ihipStream_tbENKUlT_T0_E_clISt17integral_constantIbLb0EESX_EEDaSS_ST_EUlSS_E0_NS1_11comp_targetILNS1_3genE5ELNS1_11target_archE942ELNS1_3gpuE9ELNS1_3repE0EEENS1_30default_config_static_selectorELNS0_4arch9wavefront6targetE1EEEvT1_
	.p2align	8
	.type	_ZN7rocprim17ROCPRIM_400000_NS6detail17trampoline_kernelINS0_14default_configENS1_20scan_config_selectorItEEZZNS1_9scan_implILNS1_25lookback_scan_determinismE0ELb0ELb0ES3_N6thrust23THRUST_200600_302600_NS6detail15normal_iteratorINS9_10device_ptrItEEEENS9_16discard_iteratorINS9_11use_defaultEEEtNS9_4plusIvEEtEEDaPvRmT3_T4_T5_mT6_P12ihipStream_tbENKUlT_T0_E_clISt17integral_constantIbLb0EESX_EEDaSS_ST_EUlSS_E0_NS1_11comp_targetILNS1_3genE5ELNS1_11target_archE942ELNS1_3gpuE9ELNS1_3repE0EEENS1_30default_config_static_selectorELNS0_4arch9wavefront6targetE1EEEvT1_,@function
_ZN7rocprim17ROCPRIM_400000_NS6detail17trampoline_kernelINS0_14default_configENS1_20scan_config_selectorItEEZZNS1_9scan_implILNS1_25lookback_scan_determinismE0ELb0ELb0ES3_N6thrust23THRUST_200600_302600_NS6detail15normal_iteratorINS9_10device_ptrItEEEENS9_16discard_iteratorINS9_11use_defaultEEEtNS9_4plusIvEEtEEDaPvRmT3_T4_T5_mT6_P12ihipStream_tbENKUlT_T0_E_clISt17integral_constantIbLb0EESX_EEDaSS_ST_EUlSS_E0_NS1_11comp_targetILNS1_3genE5ELNS1_11target_archE942ELNS1_3gpuE9ELNS1_3repE0EEENS1_30default_config_static_selectorELNS0_4arch9wavefront6targetE1EEEvT1_: ; @_ZN7rocprim17ROCPRIM_400000_NS6detail17trampoline_kernelINS0_14default_configENS1_20scan_config_selectorItEEZZNS1_9scan_implILNS1_25lookback_scan_determinismE0ELb0ELb0ES3_N6thrust23THRUST_200600_302600_NS6detail15normal_iteratorINS9_10device_ptrItEEEENS9_16discard_iteratorINS9_11use_defaultEEEtNS9_4plusIvEEtEEDaPvRmT3_T4_T5_mT6_P12ihipStream_tbENKUlT_T0_E_clISt17integral_constantIbLb0EESX_EEDaSS_ST_EUlSS_E0_NS1_11comp_targetILNS1_3genE5ELNS1_11target_archE942ELNS1_3gpuE9ELNS1_3repE0EEENS1_30default_config_static_selectorELNS0_4arch9wavefront6targetE1EEEvT1_
; %bb.0:
	.section	.rodata,"a",@progbits
	.p2align	6, 0x0
	.amdhsa_kernel _ZN7rocprim17ROCPRIM_400000_NS6detail17trampoline_kernelINS0_14default_configENS1_20scan_config_selectorItEEZZNS1_9scan_implILNS1_25lookback_scan_determinismE0ELb0ELb0ES3_N6thrust23THRUST_200600_302600_NS6detail15normal_iteratorINS9_10device_ptrItEEEENS9_16discard_iteratorINS9_11use_defaultEEEtNS9_4plusIvEEtEEDaPvRmT3_T4_T5_mT6_P12ihipStream_tbENKUlT_T0_E_clISt17integral_constantIbLb0EESX_EEDaSS_ST_EUlSS_E0_NS1_11comp_targetILNS1_3genE5ELNS1_11target_archE942ELNS1_3gpuE9ELNS1_3repE0EEENS1_30default_config_static_selectorELNS0_4arch9wavefront6targetE1EEEvT1_
		.amdhsa_group_segment_fixed_size 0
		.amdhsa_private_segment_fixed_size 0
		.amdhsa_kernarg_size 40
		.amdhsa_user_sgpr_count 6
		.amdhsa_user_sgpr_private_segment_buffer 1
		.amdhsa_user_sgpr_dispatch_ptr 0
		.amdhsa_user_sgpr_queue_ptr 0
		.amdhsa_user_sgpr_kernarg_segment_ptr 1
		.amdhsa_user_sgpr_dispatch_id 0
		.amdhsa_user_sgpr_flat_scratch_init 0
		.amdhsa_user_sgpr_kernarg_preload_length 0
		.amdhsa_user_sgpr_kernarg_preload_offset 0
		.amdhsa_user_sgpr_private_segment_size 0
		.amdhsa_uses_dynamic_stack 0
		.amdhsa_system_sgpr_private_segment_wavefront_offset 0
		.amdhsa_system_sgpr_workgroup_id_x 1
		.amdhsa_system_sgpr_workgroup_id_y 0
		.amdhsa_system_sgpr_workgroup_id_z 0
		.amdhsa_system_sgpr_workgroup_info 0
		.amdhsa_system_vgpr_workitem_id 0
		.amdhsa_next_free_vgpr 1
		.amdhsa_next_free_sgpr 0
		.amdhsa_accum_offset 4
		.amdhsa_reserve_vcc 0
		.amdhsa_reserve_flat_scratch 0
		.amdhsa_float_round_mode_32 0
		.amdhsa_float_round_mode_16_64 0
		.amdhsa_float_denorm_mode_32 3
		.amdhsa_float_denorm_mode_16_64 3
		.amdhsa_dx10_clamp 1
		.amdhsa_ieee_mode 1
		.amdhsa_fp16_overflow 0
		.amdhsa_tg_split 0
		.amdhsa_exception_fp_ieee_invalid_op 0
		.amdhsa_exception_fp_denorm_src 0
		.amdhsa_exception_fp_ieee_div_zero 0
		.amdhsa_exception_fp_ieee_overflow 0
		.amdhsa_exception_fp_ieee_underflow 0
		.amdhsa_exception_fp_ieee_inexact 0
		.amdhsa_exception_int_div_zero 0
	.end_amdhsa_kernel
	.section	.text._ZN7rocprim17ROCPRIM_400000_NS6detail17trampoline_kernelINS0_14default_configENS1_20scan_config_selectorItEEZZNS1_9scan_implILNS1_25lookback_scan_determinismE0ELb0ELb0ES3_N6thrust23THRUST_200600_302600_NS6detail15normal_iteratorINS9_10device_ptrItEEEENS9_16discard_iteratorINS9_11use_defaultEEEtNS9_4plusIvEEtEEDaPvRmT3_T4_T5_mT6_P12ihipStream_tbENKUlT_T0_E_clISt17integral_constantIbLb0EESX_EEDaSS_ST_EUlSS_E0_NS1_11comp_targetILNS1_3genE5ELNS1_11target_archE942ELNS1_3gpuE9ELNS1_3repE0EEENS1_30default_config_static_selectorELNS0_4arch9wavefront6targetE1EEEvT1_,"axG",@progbits,_ZN7rocprim17ROCPRIM_400000_NS6detail17trampoline_kernelINS0_14default_configENS1_20scan_config_selectorItEEZZNS1_9scan_implILNS1_25lookback_scan_determinismE0ELb0ELb0ES3_N6thrust23THRUST_200600_302600_NS6detail15normal_iteratorINS9_10device_ptrItEEEENS9_16discard_iteratorINS9_11use_defaultEEEtNS9_4plusIvEEtEEDaPvRmT3_T4_T5_mT6_P12ihipStream_tbENKUlT_T0_E_clISt17integral_constantIbLb0EESX_EEDaSS_ST_EUlSS_E0_NS1_11comp_targetILNS1_3genE5ELNS1_11target_archE942ELNS1_3gpuE9ELNS1_3repE0EEENS1_30default_config_static_selectorELNS0_4arch9wavefront6targetE1EEEvT1_,comdat
.Lfunc_end5448:
	.size	_ZN7rocprim17ROCPRIM_400000_NS6detail17trampoline_kernelINS0_14default_configENS1_20scan_config_selectorItEEZZNS1_9scan_implILNS1_25lookback_scan_determinismE0ELb0ELb0ES3_N6thrust23THRUST_200600_302600_NS6detail15normal_iteratorINS9_10device_ptrItEEEENS9_16discard_iteratorINS9_11use_defaultEEEtNS9_4plusIvEEtEEDaPvRmT3_T4_T5_mT6_P12ihipStream_tbENKUlT_T0_E_clISt17integral_constantIbLb0EESX_EEDaSS_ST_EUlSS_E0_NS1_11comp_targetILNS1_3genE5ELNS1_11target_archE942ELNS1_3gpuE9ELNS1_3repE0EEENS1_30default_config_static_selectorELNS0_4arch9wavefront6targetE1EEEvT1_, .Lfunc_end5448-_ZN7rocprim17ROCPRIM_400000_NS6detail17trampoline_kernelINS0_14default_configENS1_20scan_config_selectorItEEZZNS1_9scan_implILNS1_25lookback_scan_determinismE0ELb0ELb0ES3_N6thrust23THRUST_200600_302600_NS6detail15normal_iteratorINS9_10device_ptrItEEEENS9_16discard_iteratorINS9_11use_defaultEEEtNS9_4plusIvEEtEEDaPvRmT3_T4_T5_mT6_P12ihipStream_tbENKUlT_T0_E_clISt17integral_constantIbLb0EESX_EEDaSS_ST_EUlSS_E0_NS1_11comp_targetILNS1_3genE5ELNS1_11target_archE942ELNS1_3gpuE9ELNS1_3repE0EEENS1_30default_config_static_selectorELNS0_4arch9wavefront6targetE1EEEvT1_
                                        ; -- End function
	.section	.AMDGPU.csdata,"",@progbits
; Kernel info:
; codeLenInByte = 0
; NumSgprs: 4
; NumVgprs: 0
; NumAgprs: 0
; TotalNumVgprs: 0
; ScratchSize: 0
; MemoryBound: 0
; FloatMode: 240
; IeeeMode: 1
; LDSByteSize: 0 bytes/workgroup (compile time only)
; SGPRBlocks: 0
; VGPRBlocks: 0
; NumSGPRsForWavesPerEU: 4
; NumVGPRsForWavesPerEU: 1
; AccumOffset: 4
; Occupancy: 8
; WaveLimiterHint : 0
; COMPUTE_PGM_RSRC2:SCRATCH_EN: 0
; COMPUTE_PGM_RSRC2:USER_SGPR: 6
; COMPUTE_PGM_RSRC2:TRAP_HANDLER: 0
; COMPUTE_PGM_RSRC2:TGID_X_EN: 1
; COMPUTE_PGM_RSRC2:TGID_Y_EN: 0
; COMPUTE_PGM_RSRC2:TGID_Z_EN: 0
; COMPUTE_PGM_RSRC2:TIDIG_COMP_CNT: 0
; COMPUTE_PGM_RSRC3_GFX90A:ACCUM_OFFSET: 0
; COMPUTE_PGM_RSRC3_GFX90A:TG_SPLIT: 0
	.section	.text._ZN7rocprim17ROCPRIM_400000_NS6detail17trampoline_kernelINS0_14default_configENS1_20scan_config_selectorItEEZZNS1_9scan_implILNS1_25lookback_scan_determinismE0ELb0ELb0ES3_N6thrust23THRUST_200600_302600_NS6detail15normal_iteratorINS9_10device_ptrItEEEENS9_16discard_iteratorINS9_11use_defaultEEEtNS9_4plusIvEEtEEDaPvRmT3_T4_T5_mT6_P12ihipStream_tbENKUlT_T0_E_clISt17integral_constantIbLb0EESX_EEDaSS_ST_EUlSS_E0_NS1_11comp_targetILNS1_3genE4ELNS1_11target_archE910ELNS1_3gpuE8ELNS1_3repE0EEENS1_30default_config_static_selectorELNS0_4arch9wavefront6targetE1EEEvT1_,"axG",@progbits,_ZN7rocprim17ROCPRIM_400000_NS6detail17trampoline_kernelINS0_14default_configENS1_20scan_config_selectorItEEZZNS1_9scan_implILNS1_25lookback_scan_determinismE0ELb0ELb0ES3_N6thrust23THRUST_200600_302600_NS6detail15normal_iteratorINS9_10device_ptrItEEEENS9_16discard_iteratorINS9_11use_defaultEEEtNS9_4plusIvEEtEEDaPvRmT3_T4_T5_mT6_P12ihipStream_tbENKUlT_T0_E_clISt17integral_constantIbLb0EESX_EEDaSS_ST_EUlSS_E0_NS1_11comp_targetILNS1_3genE4ELNS1_11target_archE910ELNS1_3gpuE8ELNS1_3repE0EEENS1_30default_config_static_selectorELNS0_4arch9wavefront6targetE1EEEvT1_,comdat
	.protected	_ZN7rocprim17ROCPRIM_400000_NS6detail17trampoline_kernelINS0_14default_configENS1_20scan_config_selectorItEEZZNS1_9scan_implILNS1_25lookback_scan_determinismE0ELb0ELb0ES3_N6thrust23THRUST_200600_302600_NS6detail15normal_iteratorINS9_10device_ptrItEEEENS9_16discard_iteratorINS9_11use_defaultEEEtNS9_4plusIvEEtEEDaPvRmT3_T4_T5_mT6_P12ihipStream_tbENKUlT_T0_E_clISt17integral_constantIbLb0EESX_EEDaSS_ST_EUlSS_E0_NS1_11comp_targetILNS1_3genE4ELNS1_11target_archE910ELNS1_3gpuE8ELNS1_3repE0EEENS1_30default_config_static_selectorELNS0_4arch9wavefront6targetE1EEEvT1_ ; -- Begin function _ZN7rocprim17ROCPRIM_400000_NS6detail17trampoline_kernelINS0_14default_configENS1_20scan_config_selectorItEEZZNS1_9scan_implILNS1_25lookback_scan_determinismE0ELb0ELb0ES3_N6thrust23THRUST_200600_302600_NS6detail15normal_iteratorINS9_10device_ptrItEEEENS9_16discard_iteratorINS9_11use_defaultEEEtNS9_4plusIvEEtEEDaPvRmT3_T4_T5_mT6_P12ihipStream_tbENKUlT_T0_E_clISt17integral_constantIbLb0EESX_EEDaSS_ST_EUlSS_E0_NS1_11comp_targetILNS1_3genE4ELNS1_11target_archE910ELNS1_3gpuE8ELNS1_3repE0EEENS1_30default_config_static_selectorELNS0_4arch9wavefront6targetE1EEEvT1_
	.globl	_ZN7rocprim17ROCPRIM_400000_NS6detail17trampoline_kernelINS0_14default_configENS1_20scan_config_selectorItEEZZNS1_9scan_implILNS1_25lookback_scan_determinismE0ELb0ELb0ES3_N6thrust23THRUST_200600_302600_NS6detail15normal_iteratorINS9_10device_ptrItEEEENS9_16discard_iteratorINS9_11use_defaultEEEtNS9_4plusIvEEtEEDaPvRmT3_T4_T5_mT6_P12ihipStream_tbENKUlT_T0_E_clISt17integral_constantIbLb0EESX_EEDaSS_ST_EUlSS_E0_NS1_11comp_targetILNS1_3genE4ELNS1_11target_archE910ELNS1_3gpuE8ELNS1_3repE0EEENS1_30default_config_static_selectorELNS0_4arch9wavefront6targetE1EEEvT1_
	.p2align	8
	.type	_ZN7rocprim17ROCPRIM_400000_NS6detail17trampoline_kernelINS0_14default_configENS1_20scan_config_selectorItEEZZNS1_9scan_implILNS1_25lookback_scan_determinismE0ELb0ELb0ES3_N6thrust23THRUST_200600_302600_NS6detail15normal_iteratorINS9_10device_ptrItEEEENS9_16discard_iteratorINS9_11use_defaultEEEtNS9_4plusIvEEtEEDaPvRmT3_T4_T5_mT6_P12ihipStream_tbENKUlT_T0_E_clISt17integral_constantIbLb0EESX_EEDaSS_ST_EUlSS_E0_NS1_11comp_targetILNS1_3genE4ELNS1_11target_archE910ELNS1_3gpuE8ELNS1_3repE0EEENS1_30default_config_static_selectorELNS0_4arch9wavefront6targetE1EEEvT1_,@function
_ZN7rocprim17ROCPRIM_400000_NS6detail17trampoline_kernelINS0_14default_configENS1_20scan_config_selectorItEEZZNS1_9scan_implILNS1_25lookback_scan_determinismE0ELb0ELb0ES3_N6thrust23THRUST_200600_302600_NS6detail15normal_iteratorINS9_10device_ptrItEEEENS9_16discard_iteratorINS9_11use_defaultEEEtNS9_4plusIvEEtEEDaPvRmT3_T4_T5_mT6_P12ihipStream_tbENKUlT_T0_E_clISt17integral_constantIbLb0EESX_EEDaSS_ST_EUlSS_E0_NS1_11comp_targetILNS1_3genE4ELNS1_11target_archE910ELNS1_3gpuE8ELNS1_3repE0EEENS1_30default_config_static_selectorELNS0_4arch9wavefront6targetE1EEEvT1_: ; @_ZN7rocprim17ROCPRIM_400000_NS6detail17trampoline_kernelINS0_14default_configENS1_20scan_config_selectorItEEZZNS1_9scan_implILNS1_25lookback_scan_determinismE0ELb0ELb0ES3_N6thrust23THRUST_200600_302600_NS6detail15normal_iteratorINS9_10device_ptrItEEEENS9_16discard_iteratorINS9_11use_defaultEEEtNS9_4plusIvEEtEEDaPvRmT3_T4_T5_mT6_P12ihipStream_tbENKUlT_T0_E_clISt17integral_constantIbLb0EESX_EEDaSS_ST_EUlSS_E0_NS1_11comp_targetILNS1_3genE4ELNS1_11target_archE910ELNS1_3gpuE8ELNS1_3repE0EEENS1_30default_config_static_selectorELNS0_4arch9wavefront6targetE1EEEvT1_
; %bb.0:
	s_load_dwordx4 s[0:3], s[4:5], 0x0
	v_mov_b32_e32 v1, 0
	s_waitcnt lgkmcnt(0)
	global_load_ushort v2, v1, s[0:1]
	v_cmp_gt_u32_e32 vcc, s2, v0
	v_lshlrev_b32_e32 v1, 1, v0
	s_waitcnt vmcnt(0)
	v_mov_b32_e32 v3, v2
	s_and_saveexec_b64 s[4:5], vcc
	s_cbranch_execz .LBB5449_2
; %bb.1:
	global_load_ushort v3, v1, s[0:1]
.LBB5449_2:
	s_or_b64 exec, exec, s[4:5]
	v_or_b32_e32 v4, 64, v0
	v_cmp_gt_u32_e32 vcc, s2, v4
	v_mov_b32_e32 v4, v2
	s_and_saveexec_b64 s[4:5], vcc
	s_cbranch_execz .LBB5449_4
; %bb.3:
	global_load_ushort v4, v1, s[0:1] offset:128
.LBB5449_4:
	s_or_b64 exec, exec, s[4:5]
	v_or_b32_e32 v5, 0x80, v0
	v_cmp_gt_u32_e32 vcc, s2, v5
	v_mov_b32_e32 v5, v2
	s_and_saveexec_b64 s[4:5], vcc
	s_cbranch_execz .LBB5449_6
; %bb.5:
	global_load_ushort v5, v1, s[0:1] offset:256
.LBB5449_6:
	;; [unrolled: 9-line block ×22, first 2 shown]
	s_or_b64 exec, exec, s[4:5]
	v_or_b32_e32 v26, 0x5c0, v0
	v_cmp_gt_u32_e32 vcc, s2, v26
	s_and_saveexec_b64 s[2:3], vcc
	s_cbranch_execz .LBB5449_48
; %bb.47:
	global_load_ushort v2, v1, s[0:1] offset:2944
.LBB5449_48:
	s_or_b64 exec, exec, s[2:3]
	s_waitcnt vmcnt(0)
	ds_write_b16 v1, v3
	ds_write_b16 v1, v4 offset:128
	ds_write_b16 v1, v5 offset:256
	;; [unrolled: 1-line block ×23, first 2 shown]
	v_mad_u32_u24 v6, v0, 46, v1
	s_waitcnt lgkmcnt(0)
	; wave barrier
	s_waitcnt lgkmcnt(0)
	ds_read_b128 v[2:5], v6
	ds_read_b128 v[10:13], v6 offset:16
	ds_read_b128 v[6:9], v6 offset:32
	v_mbcnt_lo_u32_b32 v37, -1, 0
	v_mbcnt_hi_u32_b32 v37, -1, v37
	s_waitcnt lgkmcnt(2)
	v_add_u16_sdwa v14, v2, v2 dst_sel:DWORD dst_unused:UNUSED_PAD src0_sel:WORD_1 src1_sel:DWORD
	v_add_u16_e32 v15, v14, v3
	v_add_u16_sdwa v17, v15, v3 dst_sel:DWORD dst_unused:UNUSED_PAD src0_sel:DWORD src1_sel:WORD_1
	v_add_u16_e32 v19, v17, v4
	v_add_u16_sdwa v21, v19, v4 dst_sel:DWORD dst_unused:UNUSED_PAD src0_sel:DWORD src1_sel:WORD_1
	v_add_u16_e32 v24, v21, v5
	v_add_u16_sdwa v27, v24, v5 dst_sel:DWORD dst_unused:UNUSED_PAD src0_sel:DWORD src1_sel:WORD_1
	s_waitcnt lgkmcnt(1)
	v_add_u16_e32 v16, v27, v10
	v_add_u16_sdwa v18, v16, v10 dst_sel:DWORD dst_unused:UNUSED_PAD src0_sel:DWORD src1_sel:WORD_1
	v_add_u16_e32 v20, v18, v11
	v_add_u16_sdwa v23, v20, v11 dst_sel:DWORD dst_unused:UNUSED_PAD src0_sel:DWORD src1_sel:WORD_1
	;; [unrolled: 2-line block ×4, first 2 shown]
	s_waitcnt lgkmcnt(0)
	v_add_u16_e32 v22, v33, v6
	v_add_u16_sdwa v25, v22, v6 dst_sel:DWORD dst_unused:UNUSED_PAD src0_sel:DWORD src1_sel:WORD_1
	v_add_u16_e32 v28, v25, v7
	v_add_u16_sdwa v30, v28, v7 dst_sel:DWORD dst_unused:UNUSED_PAD src0_sel:DWORD src1_sel:WORD_1
	;; [unrolled: 2-line block ×4, first 2 shown]
	v_and_b32_e32 v38, 15, v37
	v_cmp_ne_u32_e32 vcc, 0, v38
	v_mov_b32_dpp v39, v36 row_shr:1 row_mask:0xf bank_mask:0xf
	v_cndmask_b32_e32 v39, 0, v39, vcc
	v_add_u16_e32 v39, v39, v36
	v_cmp_lt_u32_e32 vcc, 1, v38
	s_nop 0
	v_mov_b32_dpp v40, v39 row_shr:2 row_mask:0xf bank_mask:0xf
	v_cndmask_b32_e32 v40, 0, v40, vcc
	v_add_u16_e32 v39, v39, v40
	v_cmp_lt_u32_e32 vcc, 3, v38
	; wave barrier
	s_nop 0
	v_mov_b32_dpp v40, v39 row_shr:4 row_mask:0xf bank_mask:0xf
	v_cndmask_b32_e32 v40, 0, v40, vcc
	v_add_u16_e32 v39, v39, v40
	v_cmp_lt_u32_e32 vcc, 7, v38
	s_nop 0
	v_mov_b32_dpp v40, v39 row_shr:8 row_mask:0xf bank_mask:0xf
	v_cndmask_b32_e32 v38, 0, v40, vcc
	v_add_u16_e32 v38, v39, v38
	v_and_b32_e32 v40, 16, v37
	v_cmp_ne_u32_e32 vcc, 0, v40
	v_mov_b32_dpp v39, v38 row_bcast:15 row_mask:0xf bank_mask:0xf
	v_cndmask_b32_e32 v39, 0, v39, vcc
	v_add_u16_e32 v38, v38, v39
	v_cmp_lt_u32_e32 vcc, 31, v37
	s_nop 0
	v_mov_b32_dpp v39, v38 row_bcast:31 row_mask:0xf bank_mask:0xf
	v_cndmask_b32_e32 v39, 0, v39, vcc
	v_add_u16_e32 v38, v38, v39
	v_cmp_eq_u32_e32 vcc, 63, v0
	s_and_saveexec_b64 s[0:1], vcc
	s_cbranch_execz .LBB5449_50
; %bb.49:
	v_mov_b32_e32 v39, 0
	ds_write_b16 v39, v38
.LBB5449_50:
	s_or_b64 exec, exec, s[0:1]
	v_add_u32_e32 v39, -1, v37
	v_and_b32_e32 v40, 64, v37
	v_cmp_lt_i32_e32 vcc, v39, v40
	v_cndmask_b32_e32 v37, v39, v37, vcc
	v_lshlrev_b32_e32 v37, 2, v37
	ds_bpermute_b32 v38, v37, v38
	v_mul_u32_u24_e32 v37, 46, v0
	v_cmp_ne_u32_e32 vcc, 0, v0
	s_waitcnt lgkmcnt(0)
	; wave barrier
	s_waitcnt lgkmcnt(0)
	s_and_saveexec_b64 s[0:1], vcc
	s_cbranch_execz .LBB5449_52
; %bb.51:
	v_add_u16_e32 v0, v2, v38
	v_add_u16_sdwa v14, v0, v2 dst_sel:DWORD dst_unused:UNUSED_PAD src0_sel:DWORD src1_sel:WORD_1
	v_add_u16_e32 v15, v14, v3
	v_add_u16_sdwa v17, v15, v3 dst_sel:DWORD dst_unused:UNUSED_PAD src0_sel:DWORD src1_sel:WORD_1
	;; [unrolled: 2-line block ×12, first 2 shown]
	v_mov_b32_e32 v2, v0
	;;#ASMSTART
	;;#ASMEND
.LBB5449_52:
	s_or_b64 exec, exec, s[0:1]
	s_mov_b32 s0, 0x5040100
	v_add_u32_e32 v6, v1, v37
	v_perm_b32 v5, v27, v24, s0
	v_perm_b32 v4, v21, v19, s0
	;; [unrolled: 1-line block ×4, first 2 shown]
	s_waitcnt lgkmcnt(0)
	; wave barrier
	ds_write_b128 v6, v[2:5]
	v_perm_b32 v3, v33, v31, s0
	v_perm_b32 v2, v29, v26, s0
	;; [unrolled: 1-line block ×4, first 2 shown]
	ds_write_b128 v6, v[0:3] offset:16
	v_perm_b32 v3, v36, v35, s0
	v_perm_b32 v2, v34, v32, s0
	;; [unrolled: 1-line block ×4, first 2 shown]
	ds_write_b128 v6, v[0:3] offset:32
	s_waitcnt lgkmcnt(0)
	; wave barrier
	s_waitcnt lgkmcnt(0)
	s_endpgm
	.section	.rodata,"a",@progbits
	.p2align	6, 0x0
	.amdhsa_kernel _ZN7rocprim17ROCPRIM_400000_NS6detail17trampoline_kernelINS0_14default_configENS1_20scan_config_selectorItEEZZNS1_9scan_implILNS1_25lookback_scan_determinismE0ELb0ELb0ES3_N6thrust23THRUST_200600_302600_NS6detail15normal_iteratorINS9_10device_ptrItEEEENS9_16discard_iteratorINS9_11use_defaultEEEtNS9_4plusIvEEtEEDaPvRmT3_T4_T5_mT6_P12ihipStream_tbENKUlT_T0_E_clISt17integral_constantIbLb0EESX_EEDaSS_ST_EUlSS_E0_NS1_11comp_targetILNS1_3genE4ELNS1_11target_archE910ELNS1_3gpuE8ELNS1_3repE0EEENS1_30default_config_static_selectorELNS0_4arch9wavefront6targetE1EEEvT1_
		.amdhsa_group_segment_fixed_size 3072
		.amdhsa_private_segment_fixed_size 0
		.amdhsa_kernarg_size 40
		.amdhsa_user_sgpr_count 6
		.amdhsa_user_sgpr_private_segment_buffer 1
		.amdhsa_user_sgpr_dispatch_ptr 0
		.amdhsa_user_sgpr_queue_ptr 0
		.amdhsa_user_sgpr_kernarg_segment_ptr 1
		.amdhsa_user_sgpr_dispatch_id 0
		.amdhsa_user_sgpr_flat_scratch_init 0
		.amdhsa_user_sgpr_kernarg_preload_length 0
		.amdhsa_user_sgpr_kernarg_preload_offset 0
		.amdhsa_user_sgpr_private_segment_size 0
		.amdhsa_uses_dynamic_stack 0
		.amdhsa_system_sgpr_private_segment_wavefront_offset 0
		.amdhsa_system_sgpr_workgroup_id_x 1
		.amdhsa_system_sgpr_workgroup_id_y 0
		.amdhsa_system_sgpr_workgroup_id_z 0
		.amdhsa_system_sgpr_workgroup_info 0
		.amdhsa_system_vgpr_workitem_id 0
		.amdhsa_next_free_vgpr 41
		.amdhsa_next_free_sgpr 6
		.amdhsa_accum_offset 44
		.amdhsa_reserve_vcc 1
		.amdhsa_reserve_flat_scratch 0
		.amdhsa_float_round_mode_32 0
		.amdhsa_float_round_mode_16_64 0
		.amdhsa_float_denorm_mode_32 3
		.amdhsa_float_denorm_mode_16_64 3
		.amdhsa_dx10_clamp 1
		.amdhsa_ieee_mode 1
		.amdhsa_fp16_overflow 0
		.amdhsa_tg_split 0
		.amdhsa_exception_fp_ieee_invalid_op 0
		.amdhsa_exception_fp_denorm_src 0
		.amdhsa_exception_fp_ieee_div_zero 0
		.amdhsa_exception_fp_ieee_overflow 0
		.amdhsa_exception_fp_ieee_underflow 0
		.amdhsa_exception_fp_ieee_inexact 0
		.amdhsa_exception_int_div_zero 0
	.end_amdhsa_kernel
	.section	.text._ZN7rocprim17ROCPRIM_400000_NS6detail17trampoline_kernelINS0_14default_configENS1_20scan_config_selectorItEEZZNS1_9scan_implILNS1_25lookback_scan_determinismE0ELb0ELb0ES3_N6thrust23THRUST_200600_302600_NS6detail15normal_iteratorINS9_10device_ptrItEEEENS9_16discard_iteratorINS9_11use_defaultEEEtNS9_4plusIvEEtEEDaPvRmT3_T4_T5_mT6_P12ihipStream_tbENKUlT_T0_E_clISt17integral_constantIbLb0EESX_EEDaSS_ST_EUlSS_E0_NS1_11comp_targetILNS1_3genE4ELNS1_11target_archE910ELNS1_3gpuE8ELNS1_3repE0EEENS1_30default_config_static_selectorELNS0_4arch9wavefront6targetE1EEEvT1_,"axG",@progbits,_ZN7rocprim17ROCPRIM_400000_NS6detail17trampoline_kernelINS0_14default_configENS1_20scan_config_selectorItEEZZNS1_9scan_implILNS1_25lookback_scan_determinismE0ELb0ELb0ES3_N6thrust23THRUST_200600_302600_NS6detail15normal_iteratorINS9_10device_ptrItEEEENS9_16discard_iteratorINS9_11use_defaultEEEtNS9_4plusIvEEtEEDaPvRmT3_T4_T5_mT6_P12ihipStream_tbENKUlT_T0_E_clISt17integral_constantIbLb0EESX_EEDaSS_ST_EUlSS_E0_NS1_11comp_targetILNS1_3genE4ELNS1_11target_archE910ELNS1_3gpuE8ELNS1_3repE0EEENS1_30default_config_static_selectorELNS0_4arch9wavefront6targetE1EEEvT1_,comdat
.Lfunc_end5449:
	.size	_ZN7rocprim17ROCPRIM_400000_NS6detail17trampoline_kernelINS0_14default_configENS1_20scan_config_selectorItEEZZNS1_9scan_implILNS1_25lookback_scan_determinismE0ELb0ELb0ES3_N6thrust23THRUST_200600_302600_NS6detail15normal_iteratorINS9_10device_ptrItEEEENS9_16discard_iteratorINS9_11use_defaultEEEtNS9_4plusIvEEtEEDaPvRmT3_T4_T5_mT6_P12ihipStream_tbENKUlT_T0_E_clISt17integral_constantIbLb0EESX_EEDaSS_ST_EUlSS_E0_NS1_11comp_targetILNS1_3genE4ELNS1_11target_archE910ELNS1_3gpuE8ELNS1_3repE0EEENS1_30default_config_static_selectorELNS0_4arch9wavefront6targetE1EEEvT1_, .Lfunc_end5449-_ZN7rocprim17ROCPRIM_400000_NS6detail17trampoline_kernelINS0_14default_configENS1_20scan_config_selectorItEEZZNS1_9scan_implILNS1_25lookback_scan_determinismE0ELb0ELb0ES3_N6thrust23THRUST_200600_302600_NS6detail15normal_iteratorINS9_10device_ptrItEEEENS9_16discard_iteratorINS9_11use_defaultEEEtNS9_4plusIvEEtEEDaPvRmT3_T4_T5_mT6_P12ihipStream_tbENKUlT_T0_E_clISt17integral_constantIbLb0EESX_EEDaSS_ST_EUlSS_E0_NS1_11comp_targetILNS1_3genE4ELNS1_11target_archE910ELNS1_3gpuE8ELNS1_3repE0EEENS1_30default_config_static_selectorELNS0_4arch9wavefront6targetE1EEEvT1_
                                        ; -- End function
	.section	.AMDGPU.csdata,"",@progbits
; Kernel info:
; codeLenInByte = 1808
; NumSgprs: 10
; NumVgprs: 41
; NumAgprs: 0
; TotalNumVgprs: 41
; ScratchSize: 0
; MemoryBound: 0
; FloatMode: 240
; IeeeMode: 1
; LDSByteSize: 3072 bytes/workgroup (compile time only)
; SGPRBlocks: 1
; VGPRBlocks: 5
; NumSGPRsForWavesPerEU: 10
; NumVGPRsForWavesPerEU: 41
; AccumOffset: 44
; Occupancy: 6
; WaveLimiterHint : 0
; COMPUTE_PGM_RSRC2:SCRATCH_EN: 0
; COMPUTE_PGM_RSRC2:USER_SGPR: 6
; COMPUTE_PGM_RSRC2:TRAP_HANDLER: 0
; COMPUTE_PGM_RSRC2:TGID_X_EN: 1
; COMPUTE_PGM_RSRC2:TGID_Y_EN: 0
; COMPUTE_PGM_RSRC2:TGID_Z_EN: 0
; COMPUTE_PGM_RSRC2:TIDIG_COMP_CNT: 0
; COMPUTE_PGM_RSRC3_GFX90A:ACCUM_OFFSET: 10
; COMPUTE_PGM_RSRC3_GFX90A:TG_SPLIT: 0
	.section	.text._ZN7rocprim17ROCPRIM_400000_NS6detail17trampoline_kernelINS0_14default_configENS1_20scan_config_selectorItEEZZNS1_9scan_implILNS1_25lookback_scan_determinismE0ELb0ELb0ES3_N6thrust23THRUST_200600_302600_NS6detail15normal_iteratorINS9_10device_ptrItEEEENS9_16discard_iteratorINS9_11use_defaultEEEtNS9_4plusIvEEtEEDaPvRmT3_T4_T5_mT6_P12ihipStream_tbENKUlT_T0_E_clISt17integral_constantIbLb0EESX_EEDaSS_ST_EUlSS_E0_NS1_11comp_targetILNS1_3genE3ELNS1_11target_archE908ELNS1_3gpuE7ELNS1_3repE0EEENS1_30default_config_static_selectorELNS0_4arch9wavefront6targetE1EEEvT1_,"axG",@progbits,_ZN7rocprim17ROCPRIM_400000_NS6detail17trampoline_kernelINS0_14default_configENS1_20scan_config_selectorItEEZZNS1_9scan_implILNS1_25lookback_scan_determinismE0ELb0ELb0ES3_N6thrust23THRUST_200600_302600_NS6detail15normal_iteratorINS9_10device_ptrItEEEENS9_16discard_iteratorINS9_11use_defaultEEEtNS9_4plusIvEEtEEDaPvRmT3_T4_T5_mT6_P12ihipStream_tbENKUlT_T0_E_clISt17integral_constantIbLb0EESX_EEDaSS_ST_EUlSS_E0_NS1_11comp_targetILNS1_3genE3ELNS1_11target_archE908ELNS1_3gpuE7ELNS1_3repE0EEENS1_30default_config_static_selectorELNS0_4arch9wavefront6targetE1EEEvT1_,comdat
	.protected	_ZN7rocprim17ROCPRIM_400000_NS6detail17trampoline_kernelINS0_14default_configENS1_20scan_config_selectorItEEZZNS1_9scan_implILNS1_25lookback_scan_determinismE0ELb0ELb0ES3_N6thrust23THRUST_200600_302600_NS6detail15normal_iteratorINS9_10device_ptrItEEEENS9_16discard_iteratorINS9_11use_defaultEEEtNS9_4plusIvEEtEEDaPvRmT3_T4_T5_mT6_P12ihipStream_tbENKUlT_T0_E_clISt17integral_constantIbLb0EESX_EEDaSS_ST_EUlSS_E0_NS1_11comp_targetILNS1_3genE3ELNS1_11target_archE908ELNS1_3gpuE7ELNS1_3repE0EEENS1_30default_config_static_selectorELNS0_4arch9wavefront6targetE1EEEvT1_ ; -- Begin function _ZN7rocprim17ROCPRIM_400000_NS6detail17trampoline_kernelINS0_14default_configENS1_20scan_config_selectorItEEZZNS1_9scan_implILNS1_25lookback_scan_determinismE0ELb0ELb0ES3_N6thrust23THRUST_200600_302600_NS6detail15normal_iteratorINS9_10device_ptrItEEEENS9_16discard_iteratorINS9_11use_defaultEEEtNS9_4plusIvEEtEEDaPvRmT3_T4_T5_mT6_P12ihipStream_tbENKUlT_T0_E_clISt17integral_constantIbLb0EESX_EEDaSS_ST_EUlSS_E0_NS1_11comp_targetILNS1_3genE3ELNS1_11target_archE908ELNS1_3gpuE7ELNS1_3repE0EEENS1_30default_config_static_selectorELNS0_4arch9wavefront6targetE1EEEvT1_
	.globl	_ZN7rocprim17ROCPRIM_400000_NS6detail17trampoline_kernelINS0_14default_configENS1_20scan_config_selectorItEEZZNS1_9scan_implILNS1_25lookback_scan_determinismE0ELb0ELb0ES3_N6thrust23THRUST_200600_302600_NS6detail15normal_iteratorINS9_10device_ptrItEEEENS9_16discard_iteratorINS9_11use_defaultEEEtNS9_4plusIvEEtEEDaPvRmT3_T4_T5_mT6_P12ihipStream_tbENKUlT_T0_E_clISt17integral_constantIbLb0EESX_EEDaSS_ST_EUlSS_E0_NS1_11comp_targetILNS1_3genE3ELNS1_11target_archE908ELNS1_3gpuE7ELNS1_3repE0EEENS1_30default_config_static_selectorELNS0_4arch9wavefront6targetE1EEEvT1_
	.p2align	8
	.type	_ZN7rocprim17ROCPRIM_400000_NS6detail17trampoline_kernelINS0_14default_configENS1_20scan_config_selectorItEEZZNS1_9scan_implILNS1_25lookback_scan_determinismE0ELb0ELb0ES3_N6thrust23THRUST_200600_302600_NS6detail15normal_iteratorINS9_10device_ptrItEEEENS9_16discard_iteratorINS9_11use_defaultEEEtNS9_4plusIvEEtEEDaPvRmT3_T4_T5_mT6_P12ihipStream_tbENKUlT_T0_E_clISt17integral_constantIbLb0EESX_EEDaSS_ST_EUlSS_E0_NS1_11comp_targetILNS1_3genE3ELNS1_11target_archE908ELNS1_3gpuE7ELNS1_3repE0EEENS1_30default_config_static_selectorELNS0_4arch9wavefront6targetE1EEEvT1_,@function
_ZN7rocprim17ROCPRIM_400000_NS6detail17trampoline_kernelINS0_14default_configENS1_20scan_config_selectorItEEZZNS1_9scan_implILNS1_25lookback_scan_determinismE0ELb0ELb0ES3_N6thrust23THRUST_200600_302600_NS6detail15normal_iteratorINS9_10device_ptrItEEEENS9_16discard_iteratorINS9_11use_defaultEEEtNS9_4plusIvEEtEEDaPvRmT3_T4_T5_mT6_P12ihipStream_tbENKUlT_T0_E_clISt17integral_constantIbLb0EESX_EEDaSS_ST_EUlSS_E0_NS1_11comp_targetILNS1_3genE3ELNS1_11target_archE908ELNS1_3gpuE7ELNS1_3repE0EEENS1_30default_config_static_selectorELNS0_4arch9wavefront6targetE1EEEvT1_: ; @_ZN7rocprim17ROCPRIM_400000_NS6detail17trampoline_kernelINS0_14default_configENS1_20scan_config_selectorItEEZZNS1_9scan_implILNS1_25lookback_scan_determinismE0ELb0ELb0ES3_N6thrust23THRUST_200600_302600_NS6detail15normal_iteratorINS9_10device_ptrItEEEENS9_16discard_iteratorINS9_11use_defaultEEEtNS9_4plusIvEEtEEDaPvRmT3_T4_T5_mT6_P12ihipStream_tbENKUlT_T0_E_clISt17integral_constantIbLb0EESX_EEDaSS_ST_EUlSS_E0_NS1_11comp_targetILNS1_3genE3ELNS1_11target_archE908ELNS1_3gpuE7ELNS1_3repE0EEENS1_30default_config_static_selectorELNS0_4arch9wavefront6targetE1EEEvT1_
; %bb.0:
	.section	.rodata,"a",@progbits
	.p2align	6, 0x0
	.amdhsa_kernel _ZN7rocprim17ROCPRIM_400000_NS6detail17trampoline_kernelINS0_14default_configENS1_20scan_config_selectorItEEZZNS1_9scan_implILNS1_25lookback_scan_determinismE0ELb0ELb0ES3_N6thrust23THRUST_200600_302600_NS6detail15normal_iteratorINS9_10device_ptrItEEEENS9_16discard_iteratorINS9_11use_defaultEEEtNS9_4plusIvEEtEEDaPvRmT3_T4_T5_mT6_P12ihipStream_tbENKUlT_T0_E_clISt17integral_constantIbLb0EESX_EEDaSS_ST_EUlSS_E0_NS1_11comp_targetILNS1_3genE3ELNS1_11target_archE908ELNS1_3gpuE7ELNS1_3repE0EEENS1_30default_config_static_selectorELNS0_4arch9wavefront6targetE1EEEvT1_
		.amdhsa_group_segment_fixed_size 0
		.amdhsa_private_segment_fixed_size 0
		.amdhsa_kernarg_size 40
		.amdhsa_user_sgpr_count 6
		.amdhsa_user_sgpr_private_segment_buffer 1
		.amdhsa_user_sgpr_dispatch_ptr 0
		.amdhsa_user_sgpr_queue_ptr 0
		.amdhsa_user_sgpr_kernarg_segment_ptr 1
		.amdhsa_user_sgpr_dispatch_id 0
		.amdhsa_user_sgpr_flat_scratch_init 0
		.amdhsa_user_sgpr_kernarg_preload_length 0
		.amdhsa_user_sgpr_kernarg_preload_offset 0
		.amdhsa_user_sgpr_private_segment_size 0
		.amdhsa_uses_dynamic_stack 0
		.amdhsa_system_sgpr_private_segment_wavefront_offset 0
		.amdhsa_system_sgpr_workgroup_id_x 1
		.amdhsa_system_sgpr_workgroup_id_y 0
		.amdhsa_system_sgpr_workgroup_id_z 0
		.amdhsa_system_sgpr_workgroup_info 0
		.amdhsa_system_vgpr_workitem_id 0
		.amdhsa_next_free_vgpr 1
		.amdhsa_next_free_sgpr 0
		.amdhsa_accum_offset 4
		.amdhsa_reserve_vcc 0
		.amdhsa_reserve_flat_scratch 0
		.amdhsa_float_round_mode_32 0
		.amdhsa_float_round_mode_16_64 0
		.amdhsa_float_denorm_mode_32 3
		.amdhsa_float_denorm_mode_16_64 3
		.amdhsa_dx10_clamp 1
		.amdhsa_ieee_mode 1
		.amdhsa_fp16_overflow 0
		.amdhsa_tg_split 0
		.amdhsa_exception_fp_ieee_invalid_op 0
		.amdhsa_exception_fp_denorm_src 0
		.amdhsa_exception_fp_ieee_div_zero 0
		.amdhsa_exception_fp_ieee_overflow 0
		.amdhsa_exception_fp_ieee_underflow 0
		.amdhsa_exception_fp_ieee_inexact 0
		.amdhsa_exception_int_div_zero 0
	.end_amdhsa_kernel
	.section	.text._ZN7rocprim17ROCPRIM_400000_NS6detail17trampoline_kernelINS0_14default_configENS1_20scan_config_selectorItEEZZNS1_9scan_implILNS1_25lookback_scan_determinismE0ELb0ELb0ES3_N6thrust23THRUST_200600_302600_NS6detail15normal_iteratorINS9_10device_ptrItEEEENS9_16discard_iteratorINS9_11use_defaultEEEtNS9_4plusIvEEtEEDaPvRmT3_T4_T5_mT6_P12ihipStream_tbENKUlT_T0_E_clISt17integral_constantIbLb0EESX_EEDaSS_ST_EUlSS_E0_NS1_11comp_targetILNS1_3genE3ELNS1_11target_archE908ELNS1_3gpuE7ELNS1_3repE0EEENS1_30default_config_static_selectorELNS0_4arch9wavefront6targetE1EEEvT1_,"axG",@progbits,_ZN7rocprim17ROCPRIM_400000_NS6detail17trampoline_kernelINS0_14default_configENS1_20scan_config_selectorItEEZZNS1_9scan_implILNS1_25lookback_scan_determinismE0ELb0ELb0ES3_N6thrust23THRUST_200600_302600_NS6detail15normal_iteratorINS9_10device_ptrItEEEENS9_16discard_iteratorINS9_11use_defaultEEEtNS9_4plusIvEEtEEDaPvRmT3_T4_T5_mT6_P12ihipStream_tbENKUlT_T0_E_clISt17integral_constantIbLb0EESX_EEDaSS_ST_EUlSS_E0_NS1_11comp_targetILNS1_3genE3ELNS1_11target_archE908ELNS1_3gpuE7ELNS1_3repE0EEENS1_30default_config_static_selectorELNS0_4arch9wavefront6targetE1EEEvT1_,comdat
.Lfunc_end5450:
	.size	_ZN7rocprim17ROCPRIM_400000_NS6detail17trampoline_kernelINS0_14default_configENS1_20scan_config_selectorItEEZZNS1_9scan_implILNS1_25lookback_scan_determinismE0ELb0ELb0ES3_N6thrust23THRUST_200600_302600_NS6detail15normal_iteratorINS9_10device_ptrItEEEENS9_16discard_iteratorINS9_11use_defaultEEEtNS9_4plusIvEEtEEDaPvRmT3_T4_T5_mT6_P12ihipStream_tbENKUlT_T0_E_clISt17integral_constantIbLb0EESX_EEDaSS_ST_EUlSS_E0_NS1_11comp_targetILNS1_3genE3ELNS1_11target_archE908ELNS1_3gpuE7ELNS1_3repE0EEENS1_30default_config_static_selectorELNS0_4arch9wavefront6targetE1EEEvT1_, .Lfunc_end5450-_ZN7rocprim17ROCPRIM_400000_NS6detail17trampoline_kernelINS0_14default_configENS1_20scan_config_selectorItEEZZNS1_9scan_implILNS1_25lookback_scan_determinismE0ELb0ELb0ES3_N6thrust23THRUST_200600_302600_NS6detail15normal_iteratorINS9_10device_ptrItEEEENS9_16discard_iteratorINS9_11use_defaultEEEtNS9_4plusIvEEtEEDaPvRmT3_T4_T5_mT6_P12ihipStream_tbENKUlT_T0_E_clISt17integral_constantIbLb0EESX_EEDaSS_ST_EUlSS_E0_NS1_11comp_targetILNS1_3genE3ELNS1_11target_archE908ELNS1_3gpuE7ELNS1_3repE0EEENS1_30default_config_static_selectorELNS0_4arch9wavefront6targetE1EEEvT1_
                                        ; -- End function
	.section	.AMDGPU.csdata,"",@progbits
; Kernel info:
; codeLenInByte = 0
; NumSgprs: 4
; NumVgprs: 0
; NumAgprs: 0
; TotalNumVgprs: 0
; ScratchSize: 0
; MemoryBound: 0
; FloatMode: 240
; IeeeMode: 1
; LDSByteSize: 0 bytes/workgroup (compile time only)
; SGPRBlocks: 0
; VGPRBlocks: 0
; NumSGPRsForWavesPerEU: 4
; NumVGPRsForWavesPerEU: 1
; AccumOffset: 4
; Occupancy: 8
; WaveLimiterHint : 0
; COMPUTE_PGM_RSRC2:SCRATCH_EN: 0
; COMPUTE_PGM_RSRC2:USER_SGPR: 6
; COMPUTE_PGM_RSRC2:TRAP_HANDLER: 0
; COMPUTE_PGM_RSRC2:TGID_X_EN: 1
; COMPUTE_PGM_RSRC2:TGID_Y_EN: 0
; COMPUTE_PGM_RSRC2:TGID_Z_EN: 0
; COMPUTE_PGM_RSRC2:TIDIG_COMP_CNT: 0
; COMPUTE_PGM_RSRC3_GFX90A:ACCUM_OFFSET: 0
; COMPUTE_PGM_RSRC3_GFX90A:TG_SPLIT: 0
	.section	.text._ZN7rocprim17ROCPRIM_400000_NS6detail17trampoline_kernelINS0_14default_configENS1_20scan_config_selectorItEEZZNS1_9scan_implILNS1_25lookback_scan_determinismE0ELb0ELb0ES3_N6thrust23THRUST_200600_302600_NS6detail15normal_iteratorINS9_10device_ptrItEEEENS9_16discard_iteratorINS9_11use_defaultEEEtNS9_4plusIvEEtEEDaPvRmT3_T4_T5_mT6_P12ihipStream_tbENKUlT_T0_E_clISt17integral_constantIbLb0EESX_EEDaSS_ST_EUlSS_E0_NS1_11comp_targetILNS1_3genE2ELNS1_11target_archE906ELNS1_3gpuE6ELNS1_3repE0EEENS1_30default_config_static_selectorELNS0_4arch9wavefront6targetE1EEEvT1_,"axG",@progbits,_ZN7rocprim17ROCPRIM_400000_NS6detail17trampoline_kernelINS0_14default_configENS1_20scan_config_selectorItEEZZNS1_9scan_implILNS1_25lookback_scan_determinismE0ELb0ELb0ES3_N6thrust23THRUST_200600_302600_NS6detail15normal_iteratorINS9_10device_ptrItEEEENS9_16discard_iteratorINS9_11use_defaultEEEtNS9_4plusIvEEtEEDaPvRmT3_T4_T5_mT6_P12ihipStream_tbENKUlT_T0_E_clISt17integral_constantIbLb0EESX_EEDaSS_ST_EUlSS_E0_NS1_11comp_targetILNS1_3genE2ELNS1_11target_archE906ELNS1_3gpuE6ELNS1_3repE0EEENS1_30default_config_static_selectorELNS0_4arch9wavefront6targetE1EEEvT1_,comdat
	.protected	_ZN7rocprim17ROCPRIM_400000_NS6detail17trampoline_kernelINS0_14default_configENS1_20scan_config_selectorItEEZZNS1_9scan_implILNS1_25lookback_scan_determinismE0ELb0ELb0ES3_N6thrust23THRUST_200600_302600_NS6detail15normal_iteratorINS9_10device_ptrItEEEENS9_16discard_iteratorINS9_11use_defaultEEEtNS9_4plusIvEEtEEDaPvRmT3_T4_T5_mT6_P12ihipStream_tbENKUlT_T0_E_clISt17integral_constantIbLb0EESX_EEDaSS_ST_EUlSS_E0_NS1_11comp_targetILNS1_3genE2ELNS1_11target_archE906ELNS1_3gpuE6ELNS1_3repE0EEENS1_30default_config_static_selectorELNS0_4arch9wavefront6targetE1EEEvT1_ ; -- Begin function _ZN7rocprim17ROCPRIM_400000_NS6detail17trampoline_kernelINS0_14default_configENS1_20scan_config_selectorItEEZZNS1_9scan_implILNS1_25lookback_scan_determinismE0ELb0ELb0ES3_N6thrust23THRUST_200600_302600_NS6detail15normal_iteratorINS9_10device_ptrItEEEENS9_16discard_iteratorINS9_11use_defaultEEEtNS9_4plusIvEEtEEDaPvRmT3_T4_T5_mT6_P12ihipStream_tbENKUlT_T0_E_clISt17integral_constantIbLb0EESX_EEDaSS_ST_EUlSS_E0_NS1_11comp_targetILNS1_3genE2ELNS1_11target_archE906ELNS1_3gpuE6ELNS1_3repE0EEENS1_30default_config_static_selectorELNS0_4arch9wavefront6targetE1EEEvT1_
	.globl	_ZN7rocprim17ROCPRIM_400000_NS6detail17trampoline_kernelINS0_14default_configENS1_20scan_config_selectorItEEZZNS1_9scan_implILNS1_25lookback_scan_determinismE0ELb0ELb0ES3_N6thrust23THRUST_200600_302600_NS6detail15normal_iteratorINS9_10device_ptrItEEEENS9_16discard_iteratorINS9_11use_defaultEEEtNS9_4plusIvEEtEEDaPvRmT3_T4_T5_mT6_P12ihipStream_tbENKUlT_T0_E_clISt17integral_constantIbLb0EESX_EEDaSS_ST_EUlSS_E0_NS1_11comp_targetILNS1_3genE2ELNS1_11target_archE906ELNS1_3gpuE6ELNS1_3repE0EEENS1_30default_config_static_selectorELNS0_4arch9wavefront6targetE1EEEvT1_
	.p2align	8
	.type	_ZN7rocprim17ROCPRIM_400000_NS6detail17trampoline_kernelINS0_14default_configENS1_20scan_config_selectorItEEZZNS1_9scan_implILNS1_25lookback_scan_determinismE0ELb0ELb0ES3_N6thrust23THRUST_200600_302600_NS6detail15normal_iteratorINS9_10device_ptrItEEEENS9_16discard_iteratorINS9_11use_defaultEEEtNS9_4plusIvEEtEEDaPvRmT3_T4_T5_mT6_P12ihipStream_tbENKUlT_T0_E_clISt17integral_constantIbLb0EESX_EEDaSS_ST_EUlSS_E0_NS1_11comp_targetILNS1_3genE2ELNS1_11target_archE906ELNS1_3gpuE6ELNS1_3repE0EEENS1_30default_config_static_selectorELNS0_4arch9wavefront6targetE1EEEvT1_,@function
_ZN7rocprim17ROCPRIM_400000_NS6detail17trampoline_kernelINS0_14default_configENS1_20scan_config_selectorItEEZZNS1_9scan_implILNS1_25lookback_scan_determinismE0ELb0ELb0ES3_N6thrust23THRUST_200600_302600_NS6detail15normal_iteratorINS9_10device_ptrItEEEENS9_16discard_iteratorINS9_11use_defaultEEEtNS9_4plusIvEEtEEDaPvRmT3_T4_T5_mT6_P12ihipStream_tbENKUlT_T0_E_clISt17integral_constantIbLb0EESX_EEDaSS_ST_EUlSS_E0_NS1_11comp_targetILNS1_3genE2ELNS1_11target_archE906ELNS1_3gpuE6ELNS1_3repE0EEENS1_30default_config_static_selectorELNS0_4arch9wavefront6targetE1EEEvT1_: ; @_ZN7rocprim17ROCPRIM_400000_NS6detail17trampoline_kernelINS0_14default_configENS1_20scan_config_selectorItEEZZNS1_9scan_implILNS1_25lookback_scan_determinismE0ELb0ELb0ES3_N6thrust23THRUST_200600_302600_NS6detail15normal_iteratorINS9_10device_ptrItEEEENS9_16discard_iteratorINS9_11use_defaultEEEtNS9_4plusIvEEtEEDaPvRmT3_T4_T5_mT6_P12ihipStream_tbENKUlT_T0_E_clISt17integral_constantIbLb0EESX_EEDaSS_ST_EUlSS_E0_NS1_11comp_targetILNS1_3genE2ELNS1_11target_archE906ELNS1_3gpuE6ELNS1_3repE0EEENS1_30default_config_static_selectorELNS0_4arch9wavefront6targetE1EEEvT1_
; %bb.0:
	.section	.rodata,"a",@progbits
	.p2align	6, 0x0
	.amdhsa_kernel _ZN7rocprim17ROCPRIM_400000_NS6detail17trampoline_kernelINS0_14default_configENS1_20scan_config_selectorItEEZZNS1_9scan_implILNS1_25lookback_scan_determinismE0ELb0ELb0ES3_N6thrust23THRUST_200600_302600_NS6detail15normal_iteratorINS9_10device_ptrItEEEENS9_16discard_iteratorINS9_11use_defaultEEEtNS9_4plusIvEEtEEDaPvRmT3_T4_T5_mT6_P12ihipStream_tbENKUlT_T0_E_clISt17integral_constantIbLb0EESX_EEDaSS_ST_EUlSS_E0_NS1_11comp_targetILNS1_3genE2ELNS1_11target_archE906ELNS1_3gpuE6ELNS1_3repE0EEENS1_30default_config_static_selectorELNS0_4arch9wavefront6targetE1EEEvT1_
		.amdhsa_group_segment_fixed_size 0
		.amdhsa_private_segment_fixed_size 0
		.amdhsa_kernarg_size 40
		.amdhsa_user_sgpr_count 6
		.amdhsa_user_sgpr_private_segment_buffer 1
		.amdhsa_user_sgpr_dispatch_ptr 0
		.amdhsa_user_sgpr_queue_ptr 0
		.amdhsa_user_sgpr_kernarg_segment_ptr 1
		.amdhsa_user_sgpr_dispatch_id 0
		.amdhsa_user_sgpr_flat_scratch_init 0
		.amdhsa_user_sgpr_kernarg_preload_length 0
		.amdhsa_user_sgpr_kernarg_preload_offset 0
		.amdhsa_user_sgpr_private_segment_size 0
		.amdhsa_uses_dynamic_stack 0
		.amdhsa_system_sgpr_private_segment_wavefront_offset 0
		.amdhsa_system_sgpr_workgroup_id_x 1
		.amdhsa_system_sgpr_workgroup_id_y 0
		.amdhsa_system_sgpr_workgroup_id_z 0
		.amdhsa_system_sgpr_workgroup_info 0
		.amdhsa_system_vgpr_workitem_id 0
		.amdhsa_next_free_vgpr 1
		.amdhsa_next_free_sgpr 0
		.amdhsa_accum_offset 4
		.amdhsa_reserve_vcc 0
		.amdhsa_reserve_flat_scratch 0
		.amdhsa_float_round_mode_32 0
		.amdhsa_float_round_mode_16_64 0
		.amdhsa_float_denorm_mode_32 3
		.amdhsa_float_denorm_mode_16_64 3
		.amdhsa_dx10_clamp 1
		.amdhsa_ieee_mode 1
		.amdhsa_fp16_overflow 0
		.amdhsa_tg_split 0
		.amdhsa_exception_fp_ieee_invalid_op 0
		.amdhsa_exception_fp_denorm_src 0
		.amdhsa_exception_fp_ieee_div_zero 0
		.amdhsa_exception_fp_ieee_overflow 0
		.amdhsa_exception_fp_ieee_underflow 0
		.amdhsa_exception_fp_ieee_inexact 0
		.amdhsa_exception_int_div_zero 0
	.end_amdhsa_kernel
	.section	.text._ZN7rocprim17ROCPRIM_400000_NS6detail17trampoline_kernelINS0_14default_configENS1_20scan_config_selectorItEEZZNS1_9scan_implILNS1_25lookback_scan_determinismE0ELb0ELb0ES3_N6thrust23THRUST_200600_302600_NS6detail15normal_iteratorINS9_10device_ptrItEEEENS9_16discard_iteratorINS9_11use_defaultEEEtNS9_4plusIvEEtEEDaPvRmT3_T4_T5_mT6_P12ihipStream_tbENKUlT_T0_E_clISt17integral_constantIbLb0EESX_EEDaSS_ST_EUlSS_E0_NS1_11comp_targetILNS1_3genE2ELNS1_11target_archE906ELNS1_3gpuE6ELNS1_3repE0EEENS1_30default_config_static_selectorELNS0_4arch9wavefront6targetE1EEEvT1_,"axG",@progbits,_ZN7rocprim17ROCPRIM_400000_NS6detail17trampoline_kernelINS0_14default_configENS1_20scan_config_selectorItEEZZNS1_9scan_implILNS1_25lookback_scan_determinismE0ELb0ELb0ES3_N6thrust23THRUST_200600_302600_NS6detail15normal_iteratorINS9_10device_ptrItEEEENS9_16discard_iteratorINS9_11use_defaultEEEtNS9_4plusIvEEtEEDaPvRmT3_T4_T5_mT6_P12ihipStream_tbENKUlT_T0_E_clISt17integral_constantIbLb0EESX_EEDaSS_ST_EUlSS_E0_NS1_11comp_targetILNS1_3genE2ELNS1_11target_archE906ELNS1_3gpuE6ELNS1_3repE0EEENS1_30default_config_static_selectorELNS0_4arch9wavefront6targetE1EEEvT1_,comdat
.Lfunc_end5451:
	.size	_ZN7rocprim17ROCPRIM_400000_NS6detail17trampoline_kernelINS0_14default_configENS1_20scan_config_selectorItEEZZNS1_9scan_implILNS1_25lookback_scan_determinismE0ELb0ELb0ES3_N6thrust23THRUST_200600_302600_NS6detail15normal_iteratorINS9_10device_ptrItEEEENS9_16discard_iteratorINS9_11use_defaultEEEtNS9_4plusIvEEtEEDaPvRmT3_T4_T5_mT6_P12ihipStream_tbENKUlT_T0_E_clISt17integral_constantIbLb0EESX_EEDaSS_ST_EUlSS_E0_NS1_11comp_targetILNS1_3genE2ELNS1_11target_archE906ELNS1_3gpuE6ELNS1_3repE0EEENS1_30default_config_static_selectorELNS0_4arch9wavefront6targetE1EEEvT1_, .Lfunc_end5451-_ZN7rocprim17ROCPRIM_400000_NS6detail17trampoline_kernelINS0_14default_configENS1_20scan_config_selectorItEEZZNS1_9scan_implILNS1_25lookback_scan_determinismE0ELb0ELb0ES3_N6thrust23THRUST_200600_302600_NS6detail15normal_iteratorINS9_10device_ptrItEEEENS9_16discard_iteratorINS9_11use_defaultEEEtNS9_4plusIvEEtEEDaPvRmT3_T4_T5_mT6_P12ihipStream_tbENKUlT_T0_E_clISt17integral_constantIbLb0EESX_EEDaSS_ST_EUlSS_E0_NS1_11comp_targetILNS1_3genE2ELNS1_11target_archE906ELNS1_3gpuE6ELNS1_3repE0EEENS1_30default_config_static_selectorELNS0_4arch9wavefront6targetE1EEEvT1_
                                        ; -- End function
	.section	.AMDGPU.csdata,"",@progbits
; Kernel info:
; codeLenInByte = 0
; NumSgprs: 4
; NumVgprs: 0
; NumAgprs: 0
; TotalNumVgprs: 0
; ScratchSize: 0
; MemoryBound: 0
; FloatMode: 240
; IeeeMode: 1
; LDSByteSize: 0 bytes/workgroup (compile time only)
; SGPRBlocks: 0
; VGPRBlocks: 0
; NumSGPRsForWavesPerEU: 4
; NumVGPRsForWavesPerEU: 1
; AccumOffset: 4
; Occupancy: 8
; WaveLimiterHint : 0
; COMPUTE_PGM_RSRC2:SCRATCH_EN: 0
; COMPUTE_PGM_RSRC2:USER_SGPR: 6
; COMPUTE_PGM_RSRC2:TRAP_HANDLER: 0
; COMPUTE_PGM_RSRC2:TGID_X_EN: 1
; COMPUTE_PGM_RSRC2:TGID_Y_EN: 0
; COMPUTE_PGM_RSRC2:TGID_Z_EN: 0
; COMPUTE_PGM_RSRC2:TIDIG_COMP_CNT: 0
; COMPUTE_PGM_RSRC3_GFX90A:ACCUM_OFFSET: 0
; COMPUTE_PGM_RSRC3_GFX90A:TG_SPLIT: 0
	.section	.text._ZN7rocprim17ROCPRIM_400000_NS6detail17trampoline_kernelINS0_14default_configENS1_20scan_config_selectorItEEZZNS1_9scan_implILNS1_25lookback_scan_determinismE0ELb0ELb0ES3_N6thrust23THRUST_200600_302600_NS6detail15normal_iteratorINS9_10device_ptrItEEEENS9_16discard_iteratorINS9_11use_defaultEEEtNS9_4plusIvEEtEEDaPvRmT3_T4_T5_mT6_P12ihipStream_tbENKUlT_T0_E_clISt17integral_constantIbLb0EESX_EEDaSS_ST_EUlSS_E0_NS1_11comp_targetILNS1_3genE10ELNS1_11target_archE1201ELNS1_3gpuE5ELNS1_3repE0EEENS1_30default_config_static_selectorELNS0_4arch9wavefront6targetE1EEEvT1_,"axG",@progbits,_ZN7rocprim17ROCPRIM_400000_NS6detail17trampoline_kernelINS0_14default_configENS1_20scan_config_selectorItEEZZNS1_9scan_implILNS1_25lookback_scan_determinismE0ELb0ELb0ES3_N6thrust23THRUST_200600_302600_NS6detail15normal_iteratorINS9_10device_ptrItEEEENS9_16discard_iteratorINS9_11use_defaultEEEtNS9_4plusIvEEtEEDaPvRmT3_T4_T5_mT6_P12ihipStream_tbENKUlT_T0_E_clISt17integral_constantIbLb0EESX_EEDaSS_ST_EUlSS_E0_NS1_11comp_targetILNS1_3genE10ELNS1_11target_archE1201ELNS1_3gpuE5ELNS1_3repE0EEENS1_30default_config_static_selectorELNS0_4arch9wavefront6targetE1EEEvT1_,comdat
	.protected	_ZN7rocprim17ROCPRIM_400000_NS6detail17trampoline_kernelINS0_14default_configENS1_20scan_config_selectorItEEZZNS1_9scan_implILNS1_25lookback_scan_determinismE0ELb0ELb0ES3_N6thrust23THRUST_200600_302600_NS6detail15normal_iteratorINS9_10device_ptrItEEEENS9_16discard_iteratorINS9_11use_defaultEEEtNS9_4plusIvEEtEEDaPvRmT3_T4_T5_mT6_P12ihipStream_tbENKUlT_T0_E_clISt17integral_constantIbLb0EESX_EEDaSS_ST_EUlSS_E0_NS1_11comp_targetILNS1_3genE10ELNS1_11target_archE1201ELNS1_3gpuE5ELNS1_3repE0EEENS1_30default_config_static_selectorELNS0_4arch9wavefront6targetE1EEEvT1_ ; -- Begin function _ZN7rocprim17ROCPRIM_400000_NS6detail17trampoline_kernelINS0_14default_configENS1_20scan_config_selectorItEEZZNS1_9scan_implILNS1_25lookback_scan_determinismE0ELb0ELb0ES3_N6thrust23THRUST_200600_302600_NS6detail15normal_iteratorINS9_10device_ptrItEEEENS9_16discard_iteratorINS9_11use_defaultEEEtNS9_4plusIvEEtEEDaPvRmT3_T4_T5_mT6_P12ihipStream_tbENKUlT_T0_E_clISt17integral_constantIbLb0EESX_EEDaSS_ST_EUlSS_E0_NS1_11comp_targetILNS1_3genE10ELNS1_11target_archE1201ELNS1_3gpuE5ELNS1_3repE0EEENS1_30default_config_static_selectorELNS0_4arch9wavefront6targetE1EEEvT1_
	.globl	_ZN7rocprim17ROCPRIM_400000_NS6detail17trampoline_kernelINS0_14default_configENS1_20scan_config_selectorItEEZZNS1_9scan_implILNS1_25lookback_scan_determinismE0ELb0ELb0ES3_N6thrust23THRUST_200600_302600_NS6detail15normal_iteratorINS9_10device_ptrItEEEENS9_16discard_iteratorINS9_11use_defaultEEEtNS9_4plusIvEEtEEDaPvRmT3_T4_T5_mT6_P12ihipStream_tbENKUlT_T0_E_clISt17integral_constantIbLb0EESX_EEDaSS_ST_EUlSS_E0_NS1_11comp_targetILNS1_3genE10ELNS1_11target_archE1201ELNS1_3gpuE5ELNS1_3repE0EEENS1_30default_config_static_selectorELNS0_4arch9wavefront6targetE1EEEvT1_
	.p2align	8
	.type	_ZN7rocprim17ROCPRIM_400000_NS6detail17trampoline_kernelINS0_14default_configENS1_20scan_config_selectorItEEZZNS1_9scan_implILNS1_25lookback_scan_determinismE0ELb0ELb0ES3_N6thrust23THRUST_200600_302600_NS6detail15normal_iteratorINS9_10device_ptrItEEEENS9_16discard_iteratorINS9_11use_defaultEEEtNS9_4plusIvEEtEEDaPvRmT3_T4_T5_mT6_P12ihipStream_tbENKUlT_T0_E_clISt17integral_constantIbLb0EESX_EEDaSS_ST_EUlSS_E0_NS1_11comp_targetILNS1_3genE10ELNS1_11target_archE1201ELNS1_3gpuE5ELNS1_3repE0EEENS1_30default_config_static_selectorELNS0_4arch9wavefront6targetE1EEEvT1_,@function
_ZN7rocprim17ROCPRIM_400000_NS6detail17trampoline_kernelINS0_14default_configENS1_20scan_config_selectorItEEZZNS1_9scan_implILNS1_25lookback_scan_determinismE0ELb0ELb0ES3_N6thrust23THRUST_200600_302600_NS6detail15normal_iteratorINS9_10device_ptrItEEEENS9_16discard_iteratorINS9_11use_defaultEEEtNS9_4plusIvEEtEEDaPvRmT3_T4_T5_mT6_P12ihipStream_tbENKUlT_T0_E_clISt17integral_constantIbLb0EESX_EEDaSS_ST_EUlSS_E0_NS1_11comp_targetILNS1_3genE10ELNS1_11target_archE1201ELNS1_3gpuE5ELNS1_3repE0EEENS1_30default_config_static_selectorELNS0_4arch9wavefront6targetE1EEEvT1_: ; @_ZN7rocprim17ROCPRIM_400000_NS6detail17trampoline_kernelINS0_14default_configENS1_20scan_config_selectorItEEZZNS1_9scan_implILNS1_25lookback_scan_determinismE0ELb0ELb0ES3_N6thrust23THRUST_200600_302600_NS6detail15normal_iteratorINS9_10device_ptrItEEEENS9_16discard_iteratorINS9_11use_defaultEEEtNS9_4plusIvEEtEEDaPvRmT3_T4_T5_mT6_P12ihipStream_tbENKUlT_T0_E_clISt17integral_constantIbLb0EESX_EEDaSS_ST_EUlSS_E0_NS1_11comp_targetILNS1_3genE10ELNS1_11target_archE1201ELNS1_3gpuE5ELNS1_3repE0EEENS1_30default_config_static_selectorELNS0_4arch9wavefront6targetE1EEEvT1_
; %bb.0:
	.section	.rodata,"a",@progbits
	.p2align	6, 0x0
	.amdhsa_kernel _ZN7rocprim17ROCPRIM_400000_NS6detail17trampoline_kernelINS0_14default_configENS1_20scan_config_selectorItEEZZNS1_9scan_implILNS1_25lookback_scan_determinismE0ELb0ELb0ES3_N6thrust23THRUST_200600_302600_NS6detail15normal_iteratorINS9_10device_ptrItEEEENS9_16discard_iteratorINS9_11use_defaultEEEtNS9_4plusIvEEtEEDaPvRmT3_T4_T5_mT6_P12ihipStream_tbENKUlT_T0_E_clISt17integral_constantIbLb0EESX_EEDaSS_ST_EUlSS_E0_NS1_11comp_targetILNS1_3genE10ELNS1_11target_archE1201ELNS1_3gpuE5ELNS1_3repE0EEENS1_30default_config_static_selectorELNS0_4arch9wavefront6targetE1EEEvT1_
		.amdhsa_group_segment_fixed_size 0
		.amdhsa_private_segment_fixed_size 0
		.amdhsa_kernarg_size 40
		.amdhsa_user_sgpr_count 6
		.amdhsa_user_sgpr_private_segment_buffer 1
		.amdhsa_user_sgpr_dispatch_ptr 0
		.amdhsa_user_sgpr_queue_ptr 0
		.amdhsa_user_sgpr_kernarg_segment_ptr 1
		.amdhsa_user_sgpr_dispatch_id 0
		.amdhsa_user_sgpr_flat_scratch_init 0
		.amdhsa_user_sgpr_kernarg_preload_length 0
		.amdhsa_user_sgpr_kernarg_preload_offset 0
		.amdhsa_user_sgpr_private_segment_size 0
		.amdhsa_uses_dynamic_stack 0
		.amdhsa_system_sgpr_private_segment_wavefront_offset 0
		.amdhsa_system_sgpr_workgroup_id_x 1
		.amdhsa_system_sgpr_workgroup_id_y 0
		.amdhsa_system_sgpr_workgroup_id_z 0
		.amdhsa_system_sgpr_workgroup_info 0
		.amdhsa_system_vgpr_workitem_id 0
		.amdhsa_next_free_vgpr 1
		.amdhsa_next_free_sgpr 0
		.amdhsa_accum_offset 4
		.amdhsa_reserve_vcc 0
		.amdhsa_reserve_flat_scratch 0
		.amdhsa_float_round_mode_32 0
		.amdhsa_float_round_mode_16_64 0
		.amdhsa_float_denorm_mode_32 3
		.amdhsa_float_denorm_mode_16_64 3
		.amdhsa_dx10_clamp 1
		.amdhsa_ieee_mode 1
		.amdhsa_fp16_overflow 0
		.amdhsa_tg_split 0
		.amdhsa_exception_fp_ieee_invalid_op 0
		.amdhsa_exception_fp_denorm_src 0
		.amdhsa_exception_fp_ieee_div_zero 0
		.amdhsa_exception_fp_ieee_overflow 0
		.amdhsa_exception_fp_ieee_underflow 0
		.amdhsa_exception_fp_ieee_inexact 0
		.amdhsa_exception_int_div_zero 0
	.end_amdhsa_kernel
	.section	.text._ZN7rocprim17ROCPRIM_400000_NS6detail17trampoline_kernelINS0_14default_configENS1_20scan_config_selectorItEEZZNS1_9scan_implILNS1_25lookback_scan_determinismE0ELb0ELb0ES3_N6thrust23THRUST_200600_302600_NS6detail15normal_iteratorINS9_10device_ptrItEEEENS9_16discard_iteratorINS9_11use_defaultEEEtNS9_4plusIvEEtEEDaPvRmT3_T4_T5_mT6_P12ihipStream_tbENKUlT_T0_E_clISt17integral_constantIbLb0EESX_EEDaSS_ST_EUlSS_E0_NS1_11comp_targetILNS1_3genE10ELNS1_11target_archE1201ELNS1_3gpuE5ELNS1_3repE0EEENS1_30default_config_static_selectorELNS0_4arch9wavefront6targetE1EEEvT1_,"axG",@progbits,_ZN7rocprim17ROCPRIM_400000_NS6detail17trampoline_kernelINS0_14default_configENS1_20scan_config_selectorItEEZZNS1_9scan_implILNS1_25lookback_scan_determinismE0ELb0ELb0ES3_N6thrust23THRUST_200600_302600_NS6detail15normal_iteratorINS9_10device_ptrItEEEENS9_16discard_iteratorINS9_11use_defaultEEEtNS9_4plusIvEEtEEDaPvRmT3_T4_T5_mT6_P12ihipStream_tbENKUlT_T0_E_clISt17integral_constantIbLb0EESX_EEDaSS_ST_EUlSS_E0_NS1_11comp_targetILNS1_3genE10ELNS1_11target_archE1201ELNS1_3gpuE5ELNS1_3repE0EEENS1_30default_config_static_selectorELNS0_4arch9wavefront6targetE1EEEvT1_,comdat
.Lfunc_end5452:
	.size	_ZN7rocprim17ROCPRIM_400000_NS6detail17trampoline_kernelINS0_14default_configENS1_20scan_config_selectorItEEZZNS1_9scan_implILNS1_25lookback_scan_determinismE0ELb0ELb0ES3_N6thrust23THRUST_200600_302600_NS6detail15normal_iteratorINS9_10device_ptrItEEEENS9_16discard_iteratorINS9_11use_defaultEEEtNS9_4plusIvEEtEEDaPvRmT3_T4_T5_mT6_P12ihipStream_tbENKUlT_T0_E_clISt17integral_constantIbLb0EESX_EEDaSS_ST_EUlSS_E0_NS1_11comp_targetILNS1_3genE10ELNS1_11target_archE1201ELNS1_3gpuE5ELNS1_3repE0EEENS1_30default_config_static_selectorELNS0_4arch9wavefront6targetE1EEEvT1_, .Lfunc_end5452-_ZN7rocprim17ROCPRIM_400000_NS6detail17trampoline_kernelINS0_14default_configENS1_20scan_config_selectorItEEZZNS1_9scan_implILNS1_25lookback_scan_determinismE0ELb0ELb0ES3_N6thrust23THRUST_200600_302600_NS6detail15normal_iteratorINS9_10device_ptrItEEEENS9_16discard_iteratorINS9_11use_defaultEEEtNS9_4plusIvEEtEEDaPvRmT3_T4_T5_mT6_P12ihipStream_tbENKUlT_T0_E_clISt17integral_constantIbLb0EESX_EEDaSS_ST_EUlSS_E0_NS1_11comp_targetILNS1_3genE10ELNS1_11target_archE1201ELNS1_3gpuE5ELNS1_3repE0EEENS1_30default_config_static_selectorELNS0_4arch9wavefront6targetE1EEEvT1_
                                        ; -- End function
	.section	.AMDGPU.csdata,"",@progbits
; Kernel info:
; codeLenInByte = 0
; NumSgprs: 4
; NumVgprs: 0
; NumAgprs: 0
; TotalNumVgprs: 0
; ScratchSize: 0
; MemoryBound: 0
; FloatMode: 240
; IeeeMode: 1
; LDSByteSize: 0 bytes/workgroup (compile time only)
; SGPRBlocks: 0
; VGPRBlocks: 0
; NumSGPRsForWavesPerEU: 4
; NumVGPRsForWavesPerEU: 1
; AccumOffset: 4
; Occupancy: 8
; WaveLimiterHint : 0
; COMPUTE_PGM_RSRC2:SCRATCH_EN: 0
; COMPUTE_PGM_RSRC2:USER_SGPR: 6
; COMPUTE_PGM_RSRC2:TRAP_HANDLER: 0
; COMPUTE_PGM_RSRC2:TGID_X_EN: 1
; COMPUTE_PGM_RSRC2:TGID_Y_EN: 0
; COMPUTE_PGM_RSRC2:TGID_Z_EN: 0
; COMPUTE_PGM_RSRC2:TIDIG_COMP_CNT: 0
; COMPUTE_PGM_RSRC3_GFX90A:ACCUM_OFFSET: 0
; COMPUTE_PGM_RSRC3_GFX90A:TG_SPLIT: 0
	.section	.text._ZN7rocprim17ROCPRIM_400000_NS6detail17trampoline_kernelINS0_14default_configENS1_20scan_config_selectorItEEZZNS1_9scan_implILNS1_25lookback_scan_determinismE0ELb0ELb0ES3_N6thrust23THRUST_200600_302600_NS6detail15normal_iteratorINS9_10device_ptrItEEEENS9_16discard_iteratorINS9_11use_defaultEEEtNS9_4plusIvEEtEEDaPvRmT3_T4_T5_mT6_P12ihipStream_tbENKUlT_T0_E_clISt17integral_constantIbLb0EESX_EEDaSS_ST_EUlSS_E0_NS1_11comp_targetILNS1_3genE10ELNS1_11target_archE1200ELNS1_3gpuE4ELNS1_3repE0EEENS1_30default_config_static_selectorELNS0_4arch9wavefront6targetE1EEEvT1_,"axG",@progbits,_ZN7rocprim17ROCPRIM_400000_NS6detail17trampoline_kernelINS0_14default_configENS1_20scan_config_selectorItEEZZNS1_9scan_implILNS1_25lookback_scan_determinismE0ELb0ELb0ES3_N6thrust23THRUST_200600_302600_NS6detail15normal_iteratorINS9_10device_ptrItEEEENS9_16discard_iteratorINS9_11use_defaultEEEtNS9_4plusIvEEtEEDaPvRmT3_T4_T5_mT6_P12ihipStream_tbENKUlT_T0_E_clISt17integral_constantIbLb0EESX_EEDaSS_ST_EUlSS_E0_NS1_11comp_targetILNS1_3genE10ELNS1_11target_archE1200ELNS1_3gpuE4ELNS1_3repE0EEENS1_30default_config_static_selectorELNS0_4arch9wavefront6targetE1EEEvT1_,comdat
	.protected	_ZN7rocprim17ROCPRIM_400000_NS6detail17trampoline_kernelINS0_14default_configENS1_20scan_config_selectorItEEZZNS1_9scan_implILNS1_25lookback_scan_determinismE0ELb0ELb0ES3_N6thrust23THRUST_200600_302600_NS6detail15normal_iteratorINS9_10device_ptrItEEEENS9_16discard_iteratorINS9_11use_defaultEEEtNS9_4plusIvEEtEEDaPvRmT3_T4_T5_mT6_P12ihipStream_tbENKUlT_T0_E_clISt17integral_constantIbLb0EESX_EEDaSS_ST_EUlSS_E0_NS1_11comp_targetILNS1_3genE10ELNS1_11target_archE1200ELNS1_3gpuE4ELNS1_3repE0EEENS1_30default_config_static_selectorELNS0_4arch9wavefront6targetE1EEEvT1_ ; -- Begin function _ZN7rocprim17ROCPRIM_400000_NS6detail17trampoline_kernelINS0_14default_configENS1_20scan_config_selectorItEEZZNS1_9scan_implILNS1_25lookback_scan_determinismE0ELb0ELb0ES3_N6thrust23THRUST_200600_302600_NS6detail15normal_iteratorINS9_10device_ptrItEEEENS9_16discard_iteratorINS9_11use_defaultEEEtNS9_4plusIvEEtEEDaPvRmT3_T4_T5_mT6_P12ihipStream_tbENKUlT_T0_E_clISt17integral_constantIbLb0EESX_EEDaSS_ST_EUlSS_E0_NS1_11comp_targetILNS1_3genE10ELNS1_11target_archE1200ELNS1_3gpuE4ELNS1_3repE0EEENS1_30default_config_static_selectorELNS0_4arch9wavefront6targetE1EEEvT1_
	.globl	_ZN7rocprim17ROCPRIM_400000_NS6detail17trampoline_kernelINS0_14default_configENS1_20scan_config_selectorItEEZZNS1_9scan_implILNS1_25lookback_scan_determinismE0ELb0ELb0ES3_N6thrust23THRUST_200600_302600_NS6detail15normal_iteratorINS9_10device_ptrItEEEENS9_16discard_iteratorINS9_11use_defaultEEEtNS9_4plusIvEEtEEDaPvRmT3_T4_T5_mT6_P12ihipStream_tbENKUlT_T0_E_clISt17integral_constantIbLb0EESX_EEDaSS_ST_EUlSS_E0_NS1_11comp_targetILNS1_3genE10ELNS1_11target_archE1200ELNS1_3gpuE4ELNS1_3repE0EEENS1_30default_config_static_selectorELNS0_4arch9wavefront6targetE1EEEvT1_
	.p2align	8
	.type	_ZN7rocprim17ROCPRIM_400000_NS6detail17trampoline_kernelINS0_14default_configENS1_20scan_config_selectorItEEZZNS1_9scan_implILNS1_25lookback_scan_determinismE0ELb0ELb0ES3_N6thrust23THRUST_200600_302600_NS6detail15normal_iteratorINS9_10device_ptrItEEEENS9_16discard_iteratorINS9_11use_defaultEEEtNS9_4plusIvEEtEEDaPvRmT3_T4_T5_mT6_P12ihipStream_tbENKUlT_T0_E_clISt17integral_constantIbLb0EESX_EEDaSS_ST_EUlSS_E0_NS1_11comp_targetILNS1_3genE10ELNS1_11target_archE1200ELNS1_3gpuE4ELNS1_3repE0EEENS1_30default_config_static_selectorELNS0_4arch9wavefront6targetE1EEEvT1_,@function
_ZN7rocprim17ROCPRIM_400000_NS6detail17trampoline_kernelINS0_14default_configENS1_20scan_config_selectorItEEZZNS1_9scan_implILNS1_25lookback_scan_determinismE0ELb0ELb0ES3_N6thrust23THRUST_200600_302600_NS6detail15normal_iteratorINS9_10device_ptrItEEEENS9_16discard_iteratorINS9_11use_defaultEEEtNS9_4plusIvEEtEEDaPvRmT3_T4_T5_mT6_P12ihipStream_tbENKUlT_T0_E_clISt17integral_constantIbLb0EESX_EEDaSS_ST_EUlSS_E0_NS1_11comp_targetILNS1_3genE10ELNS1_11target_archE1200ELNS1_3gpuE4ELNS1_3repE0EEENS1_30default_config_static_selectorELNS0_4arch9wavefront6targetE1EEEvT1_: ; @_ZN7rocprim17ROCPRIM_400000_NS6detail17trampoline_kernelINS0_14default_configENS1_20scan_config_selectorItEEZZNS1_9scan_implILNS1_25lookback_scan_determinismE0ELb0ELb0ES3_N6thrust23THRUST_200600_302600_NS6detail15normal_iteratorINS9_10device_ptrItEEEENS9_16discard_iteratorINS9_11use_defaultEEEtNS9_4plusIvEEtEEDaPvRmT3_T4_T5_mT6_P12ihipStream_tbENKUlT_T0_E_clISt17integral_constantIbLb0EESX_EEDaSS_ST_EUlSS_E0_NS1_11comp_targetILNS1_3genE10ELNS1_11target_archE1200ELNS1_3gpuE4ELNS1_3repE0EEENS1_30default_config_static_selectorELNS0_4arch9wavefront6targetE1EEEvT1_
; %bb.0:
	.section	.rodata,"a",@progbits
	.p2align	6, 0x0
	.amdhsa_kernel _ZN7rocprim17ROCPRIM_400000_NS6detail17trampoline_kernelINS0_14default_configENS1_20scan_config_selectorItEEZZNS1_9scan_implILNS1_25lookback_scan_determinismE0ELb0ELb0ES3_N6thrust23THRUST_200600_302600_NS6detail15normal_iteratorINS9_10device_ptrItEEEENS9_16discard_iteratorINS9_11use_defaultEEEtNS9_4plusIvEEtEEDaPvRmT3_T4_T5_mT6_P12ihipStream_tbENKUlT_T0_E_clISt17integral_constantIbLb0EESX_EEDaSS_ST_EUlSS_E0_NS1_11comp_targetILNS1_3genE10ELNS1_11target_archE1200ELNS1_3gpuE4ELNS1_3repE0EEENS1_30default_config_static_selectorELNS0_4arch9wavefront6targetE1EEEvT1_
		.amdhsa_group_segment_fixed_size 0
		.amdhsa_private_segment_fixed_size 0
		.amdhsa_kernarg_size 40
		.amdhsa_user_sgpr_count 6
		.amdhsa_user_sgpr_private_segment_buffer 1
		.amdhsa_user_sgpr_dispatch_ptr 0
		.amdhsa_user_sgpr_queue_ptr 0
		.amdhsa_user_sgpr_kernarg_segment_ptr 1
		.amdhsa_user_sgpr_dispatch_id 0
		.amdhsa_user_sgpr_flat_scratch_init 0
		.amdhsa_user_sgpr_kernarg_preload_length 0
		.amdhsa_user_sgpr_kernarg_preload_offset 0
		.amdhsa_user_sgpr_private_segment_size 0
		.amdhsa_uses_dynamic_stack 0
		.amdhsa_system_sgpr_private_segment_wavefront_offset 0
		.amdhsa_system_sgpr_workgroup_id_x 1
		.amdhsa_system_sgpr_workgroup_id_y 0
		.amdhsa_system_sgpr_workgroup_id_z 0
		.amdhsa_system_sgpr_workgroup_info 0
		.amdhsa_system_vgpr_workitem_id 0
		.amdhsa_next_free_vgpr 1
		.amdhsa_next_free_sgpr 0
		.amdhsa_accum_offset 4
		.amdhsa_reserve_vcc 0
		.amdhsa_reserve_flat_scratch 0
		.amdhsa_float_round_mode_32 0
		.amdhsa_float_round_mode_16_64 0
		.amdhsa_float_denorm_mode_32 3
		.amdhsa_float_denorm_mode_16_64 3
		.amdhsa_dx10_clamp 1
		.amdhsa_ieee_mode 1
		.amdhsa_fp16_overflow 0
		.amdhsa_tg_split 0
		.amdhsa_exception_fp_ieee_invalid_op 0
		.amdhsa_exception_fp_denorm_src 0
		.amdhsa_exception_fp_ieee_div_zero 0
		.amdhsa_exception_fp_ieee_overflow 0
		.amdhsa_exception_fp_ieee_underflow 0
		.amdhsa_exception_fp_ieee_inexact 0
		.amdhsa_exception_int_div_zero 0
	.end_amdhsa_kernel
	.section	.text._ZN7rocprim17ROCPRIM_400000_NS6detail17trampoline_kernelINS0_14default_configENS1_20scan_config_selectorItEEZZNS1_9scan_implILNS1_25lookback_scan_determinismE0ELb0ELb0ES3_N6thrust23THRUST_200600_302600_NS6detail15normal_iteratorINS9_10device_ptrItEEEENS9_16discard_iteratorINS9_11use_defaultEEEtNS9_4plusIvEEtEEDaPvRmT3_T4_T5_mT6_P12ihipStream_tbENKUlT_T0_E_clISt17integral_constantIbLb0EESX_EEDaSS_ST_EUlSS_E0_NS1_11comp_targetILNS1_3genE10ELNS1_11target_archE1200ELNS1_3gpuE4ELNS1_3repE0EEENS1_30default_config_static_selectorELNS0_4arch9wavefront6targetE1EEEvT1_,"axG",@progbits,_ZN7rocprim17ROCPRIM_400000_NS6detail17trampoline_kernelINS0_14default_configENS1_20scan_config_selectorItEEZZNS1_9scan_implILNS1_25lookback_scan_determinismE0ELb0ELb0ES3_N6thrust23THRUST_200600_302600_NS6detail15normal_iteratorINS9_10device_ptrItEEEENS9_16discard_iteratorINS9_11use_defaultEEEtNS9_4plusIvEEtEEDaPvRmT3_T4_T5_mT6_P12ihipStream_tbENKUlT_T0_E_clISt17integral_constantIbLb0EESX_EEDaSS_ST_EUlSS_E0_NS1_11comp_targetILNS1_3genE10ELNS1_11target_archE1200ELNS1_3gpuE4ELNS1_3repE0EEENS1_30default_config_static_selectorELNS0_4arch9wavefront6targetE1EEEvT1_,comdat
.Lfunc_end5453:
	.size	_ZN7rocprim17ROCPRIM_400000_NS6detail17trampoline_kernelINS0_14default_configENS1_20scan_config_selectorItEEZZNS1_9scan_implILNS1_25lookback_scan_determinismE0ELb0ELb0ES3_N6thrust23THRUST_200600_302600_NS6detail15normal_iteratorINS9_10device_ptrItEEEENS9_16discard_iteratorINS9_11use_defaultEEEtNS9_4plusIvEEtEEDaPvRmT3_T4_T5_mT6_P12ihipStream_tbENKUlT_T0_E_clISt17integral_constantIbLb0EESX_EEDaSS_ST_EUlSS_E0_NS1_11comp_targetILNS1_3genE10ELNS1_11target_archE1200ELNS1_3gpuE4ELNS1_3repE0EEENS1_30default_config_static_selectorELNS0_4arch9wavefront6targetE1EEEvT1_, .Lfunc_end5453-_ZN7rocprim17ROCPRIM_400000_NS6detail17trampoline_kernelINS0_14default_configENS1_20scan_config_selectorItEEZZNS1_9scan_implILNS1_25lookback_scan_determinismE0ELb0ELb0ES3_N6thrust23THRUST_200600_302600_NS6detail15normal_iteratorINS9_10device_ptrItEEEENS9_16discard_iteratorINS9_11use_defaultEEEtNS9_4plusIvEEtEEDaPvRmT3_T4_T5_mT6_P12ihipStream_tbENKUlT_T0_E_clISt17integral_constantIbLb0EESX_EEDaSS_ST_EUlSS_E0_NS1_11comp_targetILNS1_3genE10ELNS1_11target_archE1200ELNS1_3gpuE4ELNS1_3repE0EEENS1_30default_config_static_selectorELNS0_4arch9wavefront6targetE1EEEvT1_
                                        ; -- End function
	.section	.AMDGPU.csdata,"",@progbits
; Kernel info:
; codeLenInByte = 0
; NumSgprs: 4
; NumVgprs: 0
; NumAgprs: 0
; TotalNumVgprs: 0
; ScratchSize: 0
; MemoryBound: 0
; FloatMode: 240
; IeeeMode: 1
; LDSByteSize: 0 bytes/workgroup (compile time only)
; SGPRBlocks: 0
; VGPRBlocks: 0
; NumSGPRsForWavesPerEU: 4
; NumVGPRsForWavesPerEU: 1
; AccumOffset: 4
; Occupancy: 8
; WaveLimiterHint : 0
; COMPUTE_PGM_RSRC2:SCRATCH_EN: 0
; COMPUTE_PGM_RSRC2:USER_SGPR: 6
; COMPUTE_PGM_RSRC2:TRAP_HANDLER: 0
; COMPUTE_PGM_RSRC2:TGID_X_EN: 1
; COMPUTE_PGM_RSRC2:TGID_Y_EN: 0
; COMPUTE_PGM_RSRC2:TGID_Z_EN: 0
; COMPUTE_PGM_RSRC2:TIDIG_COMP_CNT: 0
; COMPUTE_PGM_RSRC3_GFX90A:ACCUM_OFFSET: 0
; COMPUTE_PGM_RSRC3_GFX90A:TG_SPLIT: 0
	.section	.text._ZN7rocprim17ROCPRIM_400000_NS6detail17trampoline_kernelINS0_14default_configENS1_20scan_config_selectorItEEZZNS1_9scan_implILNS1_25lookback_scan_determinismE0ELb0ELb0ES3_N6thrust23THRUST_200600_302600_NS6detail15normal_iteratorINS9_10device_ptrItEEEENS9_16discard_iteratorINS9_11use_defaultEEEtNS9_4plusIvEEtEEDaPvRmT3_T4_T5_mT6_P12ihipStream_tbENKUlT_T0_E_clISt17integral_constantIbLb0EESX_EEDaSS_ST_EUlSS_E0_NS1_11comp_targetILNS1_3genE9ELNS1_11target_archE1100ELNS1_3gpuE3ELNS1_3repE0EEENS1_30default_config_static_selectorELNS0_4arch9wavefront6targetE1EEEvT1_,"axG",@progbits,_ZN7rocprim17ROCPRIM_400000_NS6detail17trampoline_kernelINS0_14default_configENS1_20scan_config_selectorItEEZZNS1_9scan_implILNS1_25lookback_scan_determinismE0ELb0ELb0ES3_N6thrust23THRUST_200600_302600_NS6detail15normal_iteratorINS9_10device_ptrItEEEENS9_16discard_iteratorINS9_11use_defaultEEEtNS9_4plusIvEEtEEDaPvRmT3_T4_T5_mT6_P12ihipStream_tbENKUlT_T0_E_clISt17integral_constantIbLb0EESX_EEDaSS_ST_EUlSS_E0_NS1_11comp_targetILNS1_3genE9ELNS1_11target_archE1100ELNS1_3gpuE3ELNS1_3repE0EEENS1_30default_config_static_selectorELNS0_4arch9wavefront6targetE1EEEvT1_,comdat
	.protected	_ZN7rocprim17ROCPRIM_400000_NS6detail17trampoline_kernelINS0_14default_configENS1_20scan_config_selectorItEEZZNS1_9scan_implILNS1_25lookback_scan_determinismE0ELb0ELb0ES3_N6thrust23THRUST_200600_302600_NS6detail15normal_iteratorINS9_10device_ptrItEEEENS9_16discard_iteratorINS9_11use_defaultEEEtNS9_4plusIvEEtEEDaPvRmT3_T4_T5_mT6_P12ihipStream_tbENKUlT_T0_E_clISt17integral_constantIbLb0EESX_EEDaSS_ST_EUlSS_E0_NS1_11comp_targetILNS1_3genE9ELNS1_11target_archE1100ELNS1_3gpuE3ELNS1_3repE0EEENS1_30default_config_static_selectorELNS0_4arch9wavefront6targetE1EEEvT1_ ; -- Begin function _ZN7rocprim17ROCPRIM_400000_NS6detail17trampoline_kernelINS0_14default_configENS1_20scan_config_selectorItEEZZNS1_9scan_implILNS1_25lookback_scan_determinismE0ELb0ELb0ES3_N6thrust23THRUST_200600_302600_NS6detail15normal_iteratorINS9_10device_ptrItEEEENS9_16discard_iteratorINS9_11use_defaultEEEtNS9_4plusIvEEtEEDaPvRmT3_T4_T5_mT6_P12ihipStream_tbENKUlT_T0_E_clISt17integral_constantIbLb0EESX_EEDaSS_ST_EUlSS_E0_NS1_11comp_targetILNS1_3genE9ELNS1_11target_archE1100ELNS1_3gpuE3ELNS1_3repE0EEENS1_30default_config_static_selectorELNS0_4arch9wavefront6targetE1EEEvT1_
	.globl	_ZN7rocprim17ROCPRIM_400000_NS6detail17trampoline_kernelINS0_14default_configENS1_20scan_config_selectorItEEZZNS1_9scan_implILNS1_25lookback_scan_determinismE0ELb0ELb0ES3_N6thrust23THRUST_200600_302600_NS6detail15normal_iteratorINS9_10device_ptrItEEEENS9_16discard_iteratorINS9_11use_defaultEEEtNS9_4plusIvEEtEEDaPvRmT3_T4_T5_mT6_P12ihipStream_tbENKUlT_T0_E_clISt17integral_constantIbLb0EESX_EEDaSS_ST_EUlSS_E0_NS1_11comp_targetILNS1_3genE9ELNS1_11target_archE1100ELNS1_3gpuE3ELNS1_3repE0EEENS1_30default_config_static_selectorELNS0_4arch9wavefront6targetE1EEEvT1_
	.p2align	8
	.type	_ZN7rocprim17ROCPRIM_400000_NS6detail17trampoline_kernelINS0_14default_configENS1_20scan_config_selectorItEEZZNS1_9scan_implILNS1_25lookback_scan_determinismE0ELb0ELb0ES3_N6thrust23THRUST_200600_302600_NS6detail15normal_iteratorINS9_10device_ptrItEEEENS9_16discard_iteratorINS9_11use_defaultEEEtNS9_4plusIvEEtEEDaPvRmT3_T4_T5_mT6_P12ihipStream_tbENKUlT_T0_E_clISt17integral_constantIbLb0EESX_EEDaSS_ST_EUlSS_E0_NS1_11comp_targetILNS1_3genE9ELNS1_11target_archE1100ELNS1_3gpuE3ELNS1_3repE0EEENS1_30default_config_static_selectorELNS0_4arch9wavefront6targetE1EEEvT1_,@function
_ZN7rocprim17ROCPRIM_400000_NS6detail17trampoline_kernelINS0_14default_configENS1_20scan_config_selectorItEEZZNS1_9scan_implILNS1_25lookback_scan_determinismE0ELb0ELb0ES3_N6thrust23THRUST_200600_302600_NS6detail15normal_iteratorINS9_10device_ptrItEEEENS9_16discard_iteratorINS9_11use_defaultEEEtNS9_4plusIvEEtEEDaPvRmT3_T4_T5_mT6_P12ihipStream_tbENKUlT_T0_E_clISt17integral_constantIbLb0EESX_EEDaSS_ST_EUlSS_E0_NS1_11comp_targetILNS1_3genE9ELNS1_11target_archE1100ELNS1_3gpuE3ELNS1_3repE0EEENS1_30default_config_static_selectorELNS0_4arch9wavefront6targetE1EEEvT1_: ; @_ZN7rocprim17ROCPRIM_400000_NS6detail17trampoline_kernelINS0_14default_configENS1_20scan_config_selectorItEEZZNS1_9scan_implILNS1_25lookback_scan_determinismE0ELb0ELb0ES3_N6thrust23THRUST_200600_302600_NS6detail15normal_iteratorINS9_10device_ptrItEEEENS9_16discard_iteratorINS9_11use_defaultEEEtNS9_4plusIvEEtEEDaPvRmT3_T4_T5_mT6_P12ihipStream_tbENKUlT_T0_E_clISt17integral_constantIbLb0EESX_EEDaSS_ST_EUlSS_E0_NS1_11comp_targetILNS1_3genE9ELNS1_11target_archE1100ELNS1_3gpuE3ELNS1_3repE0EEENS1_30default_config_static_selectorELNS0_4arch9wavefront6targetE1EEEvT1_
; %bb.0:
	.section	.rodata,"a",@progbits
	.p2align	6, 0x0
	.amdhsa_kernel _ZN7rocprim17ROCPRIM_400000_NS6detail17trampoline_kernelINS0_14default_configENS1_20scan_config_selectorItEEZZNS1_9scan_implILNS1_25lookback_scan_determinismE0ELb0ELb0ES3_N6thrust23THRUST_200600_302600_NS6detail15normal_iteratorINS9_10device_ptrItEEEENS9_16discard_iteratorINS9_11use_defaultEEEtNS9_4plusIvEEtEEDaPvRmT3_T4_T5_mT6_P12ihipStream_tbENKUlT_T0_E_clISt17integral_constantIbLb0EESX_EEDaSS_ST_EUlSS_E0_NS1_11comp_targetILNS1_3genE9ELNS1_11target_archE1100ELNS1_3gpuE3ELNS1_3repE0EEENS1_30default_config_static_selectorELNS0_4arch9wavefront6targetE1EEEvT1_
		.amdhsa_group_segment_fixed_size 0
		.amdhsa_private_segment_fixed_size 0
		.amdhsa_kernarg_size 40
		.amdhsa_user_sgpr_count 6
		.amdhsa_user_sgpr_private_segment_buffer 1
		.amdhsa_user_sgpr_dispatch_ptr 0
		.amdhsa_user_sgpr_queue_ptr 0
		.amdhsa_user_sgpr_kernarg_segment_ptr 1
		.amdhsa_user_sgpr_dispatch_id 0
		.amdhsa_user_sgpr_flat_scratch_init 0
		.amdhsa_user_sgpr_kernarg_preload_length 0
		.amdhsa_user_sgpr_kernarg_preload_offset 0
		.amdhsa_user_sgpr_private_segment_size 0
		.amdhsa_uses_dynamic_stack 0
		.amdhsa_system_sgpr_private_segment_wavefront_offset 0
		.amdhsa_system_sgpr_workgroup_id_x 1
		.amdhsa_system_sgpr_workgroup_id_y 0
		.amdhsa_system_sgpr_workgroup_id_z 0
		.amdhsa_system_sgpr_workgroup_info 0
		.amdhsa_system_vgpr_workitem_id 0
		.amdhsa_next_free_vgpr 1
		.amdhsa_next_free_sgpr 0
		.amdhsa_accum_offset 4
		.amdhsa_reserve_vcc 0
		.amdhsa_reserve_flat_scratch 0
		.amdhsa_float_round_mode_32 0
		.amdhsa_float_round_mode_16_64 0
		.amdhsa_float_denorm_mode_32 3
		.amdhsa_float_denorm_mode_16_64 3
		.amdhsa_dx10_clamp 1
		.amdhsa_ieee_mode 1
		.amdhsa_fp16_overflow 0
		.amdhsa_tg_split 0
		.amdhsa_exception_fp_ieee_invalid_op 0
		.amdhsa_exception_fp_denorm_src 0
		.amdhsa_exception_fp_ieee_div_zero 0
		.amdhsa_exception_fp_ieee_overflow 0
		.amdhsa_exception_fp_ieee_underflow 0
		.amdhsa_exception_fp_ieee_inexact 0
		.amdhsa_exception_int_div_zero 0
	.end_amdhsa_kernel
	.section	.text._ZN7rocprim17ROCPRIM_400000_NS6detail17trampoline_kernelINS0_14default_configENS1_20scan_config_selectorItEEZZNS1_9scan_implILNS1_25lookback_scan_determinismE0ELb0ELb0ES3_N6thrust23THRUST_200600_302600_NS6detail15normal_iteratorINS9_10device_ptrItEEEENS9_16discard_iteratorINS9_11use_defaultEEEtNS9_4plusIvEEtEEDaPvRmT3_T4_T5_mT6_P12ihipStream_tbENKUlT_T0_E_clISt17integral_constantIbLb0EESX_EEDaSS_ST_EUlSS_E0_NS1_11comp_targetILNS1_3genE9ELNS1_11target_archE1100ELNS1_3gpuE3ELNS1_3repE0EEENS1_30default_config_static_selectorELNS0_4arch9wavefront6targetE1EEEvT1_,"axG",@progbits,_ZN7rocprim17ROCPRIM_400000_NS6detail17trampoline_kernelINS0_14default_configENS1_20scan_config_selectorItEEZZNS1_9scan_implILNS1_25lookback_scan_determinismE0ELb0ELb0ES3_N6thrust23THRUST_200600_302600_NS6detail15normal_iteratorINS9_10device_ptrItEEEENS9_16discard_iteratorINS9_11use_defaultEEEtNS9_4plusIvEEtEEDaPvRmT3_T4_T5_mT6_P12ihipStream_tbENKUlT_T0_E_clISt17integral_constantIbLb0EESX_EEDaSS_ST_EUlSS_E0_NS1_11comp_targetILNS1_3genE9ELNS1_11target_archE1100ELNS1_3gpuE3ELNS1_3repE0EEENS1_30default_config_static_selectorELNS0_4arch9wavefront6targetE1EEEvT1_,comdat
.Lfunc_end5454:
	.size	_ZN7rocprim17ROCPRIM_400000_NS6detail17trampoline_kernelINS0_14default_configENS1_20scan_config_selectorItEEZZNS1_9scan_implILNS1_25lookback_scan_determinismE0ELb0ELb0ES3_N6thrust23THRUST_200600_302600_NS6detail15normal_iteratorINS9_10device_ptrItEEEENS9_16discard_iteratorINS9_11use_defaultEEEtNS9_4plusIvEEtEEDaPvRmT3_T4_T5_mT6_P12ihipStream_tbENKUlT_T0_E_clISt17integral_constantIbLb0EESX_EEDaSS_ST_EUlSS_E0_NS1_11comp_targetILNS1_3genE9ELNS1_11target_archE1100ELNS1_3gpuE3ELNS1_3repE0EEENS1_30default_config_static_selectorELNS0_4arch9wavefront6targetE1EEEvT1_, .Lfunc_end5454-_ZN7rocprim17ROCPRIM_400000_NS6detail17trampoline_kernelINS0_14default_configENS1_20scan_config_selectorItEEZZNS1_9scan_implILNS1_25lookback_scan_determinismE0ELb0ELb0ES3_N6thrust23THRUST_200600_302600_NS6detail15normal_iteratorINS9_10device_ptrItEEEENS9_16discard_iteratorINS9_11use_defaultEEEtNS9_4plusIvEEtEEDaPvRmT3_T4_T5_mT6_P12ihipStream_tbENKUlT_T0_E_clISt17integral_constantIbLb0EESX_EEDaSS_ST_EUlSS_E0_NS1_11comp_targetILNS1_3genE9ELNS1_11target_archE1100ELNS1_3gpuE3ELNS1_3repE0EEENS1_30default_config_static_selectorELNS0_4arch9wavefront6targetE1EEEvT1_
                                        ; -- End function
	.section	.AMDGPU.csdata,"",@progbits
; Kernel info:
; codeLenInByte = 0
; NumSgprs: 4
; NumVgprs: 0
; NumAgprs: 0
; TotalNumVgprs: 0
; ScratchSize: 0
; MemoryBound: 0
; FloatMode: 240
; IeeeMode: 1
; LDSByteSize: 0 bytes/workgroup (compile time only)
; SGPRBlocks: 0
; VGPRBlocks: 0
; NumSGPRsForWavesPerEU: 4
; NumVGPRsForWavesPerEU: 1
; AccumOffset: 4
; Occupancy: 8
; WaveLimiterHint : 0
; COMPUTE_PGM_RSRC2:SCRATCH_EN: 0
; COMPUTE_PGM_RSRC2:USER_SGPR: 6
; COMPUTE_PGM_RSRC2:TRAP_HANDLER: 0
; COMPUTE_PGM_RSRC2:TGID_X_EN: 1
; COMPUTE_PGM_RSRC2:TGID_Y_EN: 0
; COMPUTE_PGM_RSRC2:TGID_Z_EN: 0
; COMPUTE_PGM_RSRC2:TIDIG_COMP_CNT: 0
; COMPUTE_PGM_RSRC3_GFX90A:ACCUM_OFFSET: 0
; COMPUTE_PGM_RSRC3_GFX90A:TG_SPLIT: 0
	.section	.text._ZN7rocprim17ROCPRIM_400000_NS6detail17trampoline_kernelINS0_14default_configENS1_20scan_config_selectorItEEZZNS1_9scan_implILNS1_25lookback_scan_determinismE0ELb0ELb0ES3_N6thrust23THRUST_200600_302600_NS6detail15normal_iteratorINS9_10device_ptrItEEEENS9_16discard_iteratorINS9_11use_defaultEEEtNS9_4plusIvEEtEEDaPvRmT3_T4_T5_mT6_P12ihipStream_tbENKUlT_T0_E_clISt17integral_constantIbLb0EESX_EEDaSS_ST_EUlSS_E0_NS1_11comp_targetILNS1_3genE8ELNS1_11target_archE1030ELNS1_3gpuE2ELNS1_3repE0EEENS1_30default_config_static_selectorELNS0_4arch9wavefront6targetE1EEEvT1_,"axG",@progbits,_ZN7rocprim17ROCPRIM_400000_NS6detail17trampoline_kernelINS0_14default_configENS1_20scan_config_selectorItEEZZNS1_9scan_implILNS1_25lookback_scan_determinismE0ELb0ELb0ES3_N6thrust23THRUST_200600_302600_NS6detail15normal_iteratorINS9_10device_ptrItEEEENS9_16discard_iteratorINS9_11use_defaultEEEtNS9_4plusIvEEtEEDaPvRmT3_T4_T5_mT6_P12ihipStream_tbENKUlT_T0_E_clISt17integral_constantIbLb0EESX_EEDaSS_ST_EUlSS_E0_NS1_11comp_targetILNS1_3genE8ELNS1_11target_archE1030ELNS1_3gpuE2ELNS1_3repE0EEENS1_30default_config_static_selectorELNS0_4arch9wavefront6targetE1EEEvT1_,comdat
	.protected	_ZN7rocprim17ROCPRIM_400000_NS6detail17trampoline_kernelINS0_14default_configENS1_20scan_config_selectorItEEZZNS1_9scan_implILNS1_25lookback_scan_determinismE0ELb0ELb0ES3_N6thrust23THRUST_200600_302600_NS6detail15normal_iteratorINS9_10device_ptrItEEEENS9_16discard_iteratorINS9_11use_defaultEEEtNS9_4plusIvEEtEEDaPvRmT3_T4_T5_mT6_P12ihipStream_tbENKUlT_T0_E_clISt17integral_constantIbLb0EESX_EEDaSS_ST_EUlSS_E0_NS1_11comp_targetILNS1_3genE8ELNS1_11target_archE1030ELNS1_3gpuE2ELNS1_3repE0EEENS1_30default_config_static_selectorELNS0_4arch9wavefront6targetE1EEEvT1_ ; -- Begin function _ZN7rocprim17ROCPRIM_400000_NS6detail17trampoline_kernelINS0_14default_configENS1_20scan_config_selectorItEEZZNS1_9scan_implILNS1_25lookback_scan_determinismE0ELb0ELb0ES3_N6thrust23THRUST_200600_302600_NS6detail15normal_iteratorINS9_10device_ptrItEEEENS9_16discard_iteratorINS9_11use_defaultEEEtNS9_4plusIvEEtEEDaPvRmT3_T4_T5_mT6_P12ihipStream_tbENKUlT_T0_E_clISt17integral_constantIbLb0EESX_EEDaSS_ST_EUlSS_E0_NS1_11comp_targetILNS1_3genE8ELNS1_11target_archE1030ELNS1_3gpuE2ELNS1_3repE0EEENS1_30default_config_static_selectorELNS0_4arch9wavefront6targetE1EEEvT1_
	.globl	_ZN7rocprim17ROCPRIM_400000_NS6detail17trampoline_kernelINS0_14default_configENS1_20scan_config_selectorItEEZZNS1_9scan_implILNS1_25lookback_scan_determinismE0ELb0ELb0ES3_N6thrust23THRUST_200600_302600_NS6detail15normal_iteratorINS9_10device_ptrItEEEENS9_16discard_iteratorINS9_11use_defaultEEEtNS9_4plusIvEEtEEDaPvRmT3_T4_T5_mT6_P12ihipStream_tbENKUlT_T0_E_clISt17integral_constantIbLb0EESX_EEDaSS_ST_EUlSS_E0_NS1_11comp_targetILNS1_3genE8ELNS1_11target_archE1030ELNS1_3gpuE2ELNS1_3repE0EEENS1_30default_config_static_selectorELNS0_4arch9wavefront6targetE1EEEvT1_
	.p2align	8
	.type	_ZN7rocprim17ROCPRIM_400000_NS6detail17trampoline_kernelINS0_14default_configENS1_20scan_config_selectorItEEZZNS1_9scan_implILNS1_25lookback_scan_determinismE0ELb0ELb0ES3_N6thrust23THRUST_200600_302600_NS6detail15normal_iteratorINS9_10device_ptrItEEEENS9_16discard_iteratorINS9_11use_defaultEEEtNS9_4plusIvEEtEEDaPvRmT3_T4_T5_mT6_P12ihipStream_tbENKUlT_T0_E_clISt17integral_constantIbLb0EESX_EEDaSS_ST_EUlSS_E0_NS1_11comp_targetILNS1_3genE8ELNS1_11target_archE1030ELNS1_3gpuE2ELNS1_3repE0EEENS1_30default_config_static_selectorELNS0_4arch9wavefront6targetE1EEEvT1_,@function
_ZN7rocprim17ROCPRIM_400000_NS6detail17trampoline_kernelINS0_14default_configENS1_20scan_config_selectorItEEZZNS1_9scan_implILNS1_25lookback_scan_determinismE0ELb0ELb0ES3_N6thrust23THRUST_200600_302600_NS6detail15normal_iteratorINS9_10device_ptrItEEEENS9_16discard_iteratorINS9_11use_defaultEEEtNS9_4plusIvEEtEEDaPvRmT3_T4_T5_mT6_P12ihipStream_tbENKUlT_T0_E_clISt17integral_constantIbLb0EESX_EEDaSS_ST_EUlSS_E0_NS1_11comp_targetILNS1_3genE8ELNS1_11target_archE1030ELNS1_3gpuE2ELNS1_3repE0EEENS1_30default_config_static_selectorELNS0_4arch9wavefront6targetE1EEEvT1_: ; @_ZN7rocprim17ROCPRIM_400000_NS6detail17trampoline_kernelINS0_14default_configENS1_20scan_config_selectorItEEZZNS1_9scan_implILNS1_25lookback_scan_determinismE0ELb0ELb0ES3_N6thrust23THRUST_200600_302600_NS6detail15normal_iteratorINS9_10device_ptrItEEEENS9_16discard_iteratorINS9_11use_defaultEEEtNS9_4plusIvEEtEEDaPvRmT3_T4_T5_mT6_P12ihipStream_tbENKUlT_T0_E_clISt17integral_constantIbLb0EESX_EEDaSS_ST_EUlSS_E0_NS1_11comp_targetILNS1_3genE8ELNS1_11target_archE1030ELNS1_3gpuE2ELNS1_3repE0EEENS1_30default_config_static_selectorELNS0_4arch9wavefront6targetE1EEEvT1_
; %bb.0:
	.section	.rodata,"a",@progbits
	.p2align	6, 0x0
	.amdhsa_kernel _ZN7rocprim17ROCPRIM_400000_NS6detail17trampoline_kernelINS0_14default_configENS1_20scan_config_selectorItEEZZNS1_9scan_implILNS1_25lookback_scan_determinismE0ELb0ELb0ES3_N6thrust23THRUST_200600_302600_NS6detail15normal_iteratorINS9_10device_ptrItEEEENS9_16discard_iteratorINS9_11use_defaultEEEtNS9_4plusIvEEtEEDaPvRmT3_T4_T5_mT6_P12ihipStream_tbENKUlT_T0_E_clISt17integral_constantIbLb0EESX_EEDaSS_ST_EUlSS_E0_NS1_11comp_targetILNS1_3genE8ELNS1_11target_archE1030ELNS1_3gpuE2ELNS1_3repE0EEENS1_30default_config_static_selectorELNS0_4arch9wavefront6targetE1EEEvT1_
		.amdhsa_group_segment_fixed_size 0
		.amdhsa_private_segment_fixed_size 0
		.amdhsa_kernarg_size 40
		.amdhsa_user_sgpr_count 6
		.amdhsa_user_sgpr_private_segment_buffer 1
		.amdhsa_user_sgpr_dispatch_ptr 0
		.amdhsa_user_sgpr_queue_ptr 0
		.amdhsa_user_sgpr_kernarg_segment_ptr 1
		.amdhsa_user_sgpr_dispatch_id 0
		.amdhsa_user_sgpr_flat_scratch_init 0
		.amdhsa_user_sgpr_kernarg_preload_length 0
		.amdhsa_user_sgpr_kernarg_preload_offset 0
		.amdhsa_user_sgpr_private_segment_size 0
		.amdhsa_uses_dynamic_stack 0
		.amdhsa_system_sgpr_private_segment_wavefront_offset 0
		.amdhsa_system_sgpr_workgroup_id_x 1
		.amdhsa_system_sgpr_workgroup_id_y 0
		.amdhsa_system_sgpr_workgroup_id_z 0
		.amdhsa_system_sgpr_workgroup_info 0
		.amdhsa_system_vgpr_workitem_id 0
		.amdhsa_next_free_vgpr 1
		.amdhsa_next_free_sgpr 0
		.amdhsa_accum_offset 4
		.amdhsa_reserve_vcc 0
		.amdhsa_reserve_flat_scratch 0
		.amdhsa_float_round_mode_32 0
		.amdhsa_float_round_mode_16_64 0
		.amdhsa_float_denorm_mode_32 3
		.amdhsa_float_denorm_mode_16_64 3
		.amdhsa_dx10_clamp 1
		.amdhsa_ieee_mode 1
		.amdhsa_fp16_overflow 0
		.amdhsa_tg_split 0
		.amdhsa_exception_fp_ieee_invalid_op 0
		.amdhsa_exception_fp_denorm_src 0
		.amdhsa_exception_fp_ieee_div_zero 0
		.amdhsa_exception_fp_ieee_overflow 0
		.amdhsa_exception_fp_ieee_underflow 0
		.amdhsa_exception_fp_ieee_inexact 0
		.amdhsa_exception_int_div_zero 0
	.end_amdhsa_kernel
	.section	.text._ZN7rocprim17ROCPRIM_400000_NS6detail17trampoline_kernelINS0_14default_configENS1_20scan_config_selectorItEEZZNS1_9scan_implILNS1_25lookback_scan_determinismE0ELb0ELb0ES3_N6thrust23THRUST_200600_302600_NS6detail15normal_iteratorINS9_10device_ptrItEEEENS9_16discard_iteratorINS9_11use_defaultEEEtNS9_4plusIvEEtEEDaPvRmT3_T4_T5_mT6_P12ihipStream_tbENKUlT_T0_E_clISt17integral_constantIbLb0EESX_EEDaSS_ST_EUlSS_E0_NS1_11comp_targetILNS1_3genE8ELNS1_11target_archE1030ELNS1_3gpuE2ELNS1_3repE0EEENS1_30default_config_static_selectorELNS0_4arch9wavefront6targetE1EEEvT1_,"axG",@progbits,_ZN7rocprim17ROCPRIM_400000_NS6detail17trampoline_kernelINS0_14default_configENS1_20scan_config_selectorItEEZZNS1_9scan_implILNS1_25lookback_scan_determinismE0ELb0ELb0ES3_N6thrust23THRUST_200600_302600_NS6detail15normal_iteratorINS9_10device_ptrItEEEENS9_16discard_iteratorINS9_11use_defaultEEEtNS9_4plusIvEEtEEDaPvRmT3_T4_T5_mT6_P12ihipStream_tbENKUlT_T0_E_clISt17integral_constantIbLb0EESX_EEDaSS_ST_EUlSS_E0_NS1_11comp_targetILNS1_3genE8ELNS1_11target_archE1030ELNS1_3gpuE2ELNS1_3repE0EEENS1_30default_config_static_selectorELNS0_4arch9wavefront6targetE1EEEvT1_,comdat
.Lfunc_end5455:
	.size	_ZN7rocprim17ROCPRIM_400000_NS6detail17trampoline_kernelINS0_14default_configENS1_20scan_config_selectorItEEZZNS1_9scan_implILNS1_25lookback_scan_determinismE0ELb0ELb0ES3_N6thrust23THRUST_200600_302600_NS6detail15normal_iteratorINS9_10device_ptrItEEEENS9_16discard_iteratorINS9_11use_defaultEEEtNS9_4plusIvEEtEEDaPvRmT3_T4_T5_mT6_P12ihipStream_tbENKUlT_T0_E_clISt17integral_constantIbLb0EESX_EEDaSS_ST_EUlSS_E0_NS1_11comp_targetILNS1_3genE8ELNS1_11target_archE1030ELNS1_3gpuE2ELNS1_3repE0EEENS1_30default_config_static_selectorELNS0_4arch9wavefront6targetE1EEEvT1_, .Lfunc_end5455-_ZN7rocprim17ROCPRIM_400000_NS6detail17trampoline_kernelINS0_14default_configENS1_20scan_config_selectorItEEZZNS1_9scan_implILNS1_25lookback_scan_determinismE0ELb0ELb0ES3_N6thrust23THRUST_200600_302600_NS6detail15normal_iteratorINS9_10device_ptrItEEEENS9_16discard_iteratorINS9_11use_defaultEEEtNS9_4plusIvEEtEEDaPvRmT3_T4_T5_mT6_P12ihipStream_tbENKUlT_T0_E_clISt17integral_constantIbLb0EESX_EEDaSS_ST_EUlSS_E0_NS1_11comp_targetILNS1_3genE8ELNS1_11target_archE1030ELNS1_3gpuE2ELNS1_3repE0EEENS1_30default_config_static_selectorELNS0_4arch9wavefront6targetE1EEEvT1_
                                        ; -- End function
	.section	.AMDGPU.csdata,"",@progbits
; Kernel info:
; codeLenInByte = 0
; NumSgprs: 4
; NumVgprs: 0
; NumAgprs: 0
; TotalNumVgprs: 0
; ScratchSize: 0
; MemoryBound: 0
; FloatMode: 240
; IeeeMode: 1
; LDSByteSize: 0 bytes/workgroup (compile time only)
; SGPRBlocks: 0
; VGPRBlocks: 0
; NumSGPRsForWavesPerEU: 4
; NumVGPRsForWavesPerEU: 1
; AccumOffset: 4
; Occupancy: 8
; WaveLimiterHint : 0
; COMPUTE_PGM_RSRC2:SCRATCH_EN: 0
; COMPUTE_PGM_RSRC2:USER_SGPR: 6
; COMPUTE_PGM_RSRC2:TRAP_HANDLER: 0
; COMPUTE_PGM_RSRC2:TGID_X_EN: 1
; COMPUTE_PGM_RSRC2:TGID_Y_EN: 0
; COMPUTE_PGM_RSRC2:TGID_Z_EN: 0
; COMPUTE_PGM_RSRC2:TIDIG_COMP_CNT: 0
; COMPUTE_PGM_RSRC3_GFX90A:ACCUM_OFFSET: 0
; COMPUTE_PGM_RSRC3_GFX90A:TG_SPLIT: 0
	.section	.text._ZN7rocprim17ROCPRIM_400000_NS6detail17trampoline_kernelINS0_14default_configENS1_20scan_config_selectorItEEZZNS1_9scan_implILNS1_25lookback_scan_determinismE0ELb0ELb0ES3_N6thrust23THRUST_200600_302600_NS6detail15normal_iteratorINS9_10device_ptrItEEEENS9_16discard_iteratorINS9_11use_defaultEEEtNS9_4plusIvEEtEEDaPvRmT3_T4_T5_mT6_P12ihipStream_tbENKUlT_T0_E_clISt17integral_constantIbLb1EESX_EEDaSS_ST_EUlSS_E_NS1_11comp_targetILNS1_3genE0ELNS1_11target_archE4294967295ELNS1_3gpuE0ELNS1_3repE0EEENS1_30default_config_static_selectorELNS0_4arch9wavefront6targetE1EEEvT1_,"axG",@progbits,_ZN7rocprim17ROCPRIM_400000_NS6detail17trampoline_kernelINS0_14default_configENS1_20scan_config_selectorItEEZZNS1_9scan_implILNS1_25lookback_scan_determinismE0ELb0ELb0ES3_N6thrust23THRUST_200600_302600_NS6detail15normal_iteratorINS9_10device_ptrItEEEENS9_16discard_iteratorINS9_11use_defaultEEEtNS9_4plusIvEEtEEDaPvRmT3_T4_T5_mT6_P12ihipStream_tbENKUlT_T0_E_clISt17integral_constantIbLb1EESX_EEDaSS_ST_EUlSS_E_NS1_11comp_targetILNS1_3genE0ELNS1_11target_archE4294967295ELNS1_3gpuE0ELNS1_3repE0EEENS1_30default_config_static_selectorELNS0_4arch9wavefront6targetE1EEEvT1_,comdat
	.protected	_ZN7rocprim17ROCPRIM_400000_NS6detail17trampoline_kernelINS0_14default_configENS1_20scan_config_selectorItEEZZNS1_9scan_implILNS1_25lookback_scan_determinismE0ELb0ELb0ES3_N6thrust23THRUST_200600_302600_NS6detail15normal_iteratorINS9_10device_ptrItEEEENS9_16discard_iteratorINS9_11use_defaultEEEtNS9_4plusIvEEtEEDaPvRmT3_T4_T5_mT6_P12ihipStream_tbENKUlT_T0_E_clISt17integral_constantIbLb1EESX_EEDaSS_ST_EUlSS_E_NS1_11comp_targetILNS1_3genE0ELNS1_11target_archE4294967295ELNS1_3gpuE0ELNS1_3repE0EEENS1_30default_config_static_selectorELNS0_4arch9wavefront6targetE1EEEvT1_ ; -- Begin function _ZN7rocprim17ROCPRIM_400000_NS6detail17trampoline_kernelINS0_14default_configENS1_20scan_config_selectorItEEZZNS1_9scan_implILNS1_25lookback_scan_determinismE0ELb0ELb0ES3_N6thrust23THRUST_200600_302600_NS6detail15normal_iteratorINS9_10device_ptrItEEEENS9_16discard_iteratorINS9_11use_defaultEEEtNS9_4plusIvEEtEEDaPvRmT3_T4_T5_mT6_P12ihipStream_tbENKUlT_T0_E_clISt17integral_constantIbLb1EESX_EEDaSS_ST_EUlSS_E_NS1_11comp_targetILNS1_3genE0ELNS1_11target_archE4294967295ELNS1_3gpuE0ELNS1_3repE0EEENS1_30default_config_static_selectorELNS0_4arch9wavefront6targetE1EEEvT1_
	.globl	_ZN7rocprim17ROCPRIM_400000_NS6detail17trampoline_kernelINS0_14default_configENS1_20scan_config_selectorItEEZZNS1_9scan_implILNS1_25lookback_scan_determinismE0ELb0ELb0ES3_N6thrust23THRUST_200600_302600_NS6detail15normal_iteratorINS9_10device_ptrItEEEENS9_16discard_iteratorINS9_11use_defaultEEEtNS9_4plusIvEEtEEDaPvRmT3_T4_T5_mT6_P12ihipStream_tbENKUlT_T0_E_clISt17integral_constantIbLb1EESX_EEDaSS_ST_EUlSS_E_NS1_11comp_targetILNS1_3genE0ELNS1_11target_archE4294967295ELNS1_3gpuE0ELNS1_3repE0EEENS1_30default_config_static_selectorELNS0_4arch9wavefront6targetE1EEEvT1_
	.p2align	8
	.type	_ZN7rocprim17ROCPRIM_400000_NS6detail17trampoline_kernelINS0_14default_configENS1_20scan_config_selectorItEEZZNS1_9scan_implILNS1_25lookback_scan_determinismE0ELb0ELb0ES3_N6thrust23THRUST_200600_302600_NS6detail15normal_iteratorINS9_10device_ptrItEEEENS9_16discard_iteratorINS9_11use_defaultEEEtNS9_4plusIvEEtEEDaPvRmT3_T4_T5_mT6_P12ihipStream_tbENKUlT_T0_E_clISt17integral_constantIbLb1EESX_EEDaSS_ST_EUlSS_E_NS1_11comp_targetILNS1_3genE0ELNS1_11target_archE4294967295ELNS1_3gpuE0ELNS1_3repE0EEENS1_30default_config_static_selectorELNS0_4arch9wavefront6targetE1EEEvT1_,@function
_ZN7rocprim17ROCPRIM_400000_NS6detail17trampoline_kernelINS0_14default_configENS1_20scan_config_selectorItEEZZNS1_9scan_implILNS1_25lookback_scan_determinismE0ELb0ELb0ES3_N6thrust23THRUST_200600_302600_NS6detail15normal_iteratorINS9_10device_ptrItEEEENS9_16discard_iteratorINS9_11use_defaultEEEtNS9_4plusIvEEtEEDaPvRmT3_T4_T5_mT6_P12ihipStream_tbENKUlT_T0_E_clISt17integral_constantIbLb1EESX_EEDaSS_ST_EUlSS_E_NS1_11comp_targetILNS1_3genE0ELNS1_11target_archE4294967295ELNS1_3gpuE0ELNS1_3repE0EEENS1_30default_config_static_selectorELNS0_4arch9wavefront6targetE1EEEvT1_: ; @_ZN7rocprim17ROCPRIM_400000_NS6detail17trampoline_kernelINS0_14default_configENS1_20scan_config_selectorItEEZZNS1_9scan_implILNS1_25lookback_scan_determinismE0ELb0ELb0ES3_N6thrust23THRUST_200600_302600_NS6detail15normal_iteratorINS9_10device_ptrItEEEENS9_16discard_iteratorINS9_11use_defaultEEEtNS9_4plusIvEEtEEDaPvRmT3_T4_T5_mT6_P12ihipStream_tbENKUlT_T0_E_clISt17integral_constantIbLb1EESX_EEDaSS_ST_EUlSS_E_NS1_11comp_targetILNS1_3genE0ELNS1_11target_archE4294967295ELNS1_3gpuE0ELNS1_3repE0EEENS1_30default_config_static_selectorELNS0_4arch9wavefront6targetE1EEEvT1_
; %bb.0:
	.section	.rodata,"a",@progbits
	.p2align	6, 0x0
	.amdhsa_kernel _ZN7rocprim17ROCPRIM_400000_NS6detail17trampoline_kernelINS0_14default_configENS1_20scan_config_selectorItEEZZNS1_9scan_implILNS1_25lookback_scan_determinismE0ELb0ELb0ES3_N6thrust23THRUST_200600_302600_NS6detail15normal_iteratorINS9_10device_ptrItEEEENS9_16discard_iteratorINS9_11use_defaultEEEtNS9_4plusIvEEtEEDaPvRmT3_T4_T5_mT6_P12ihipStream_tbENKUlT_T0_E_clISt17integral_constantIbLb1EESX_EEDaSS_ST_EUlSS_E_NS1_11comp_targetILNS1_3genE0ELNS1_11target_archE4294967295ELNS1_3gpuE0ELNS1_3repE0EEENS1_30default_config_static_selectorELNS0_4arch9wavefront6targetE1EEEvT1_
		.amdhsa_group_segment_fixed_size 0
		.amdhsa_private_segment_fixed_size 0
		.amdhsa_kernarg_size 104
		.amdhsa_user_sgpr_count 6
		.amdhsa_user_sgpr_private_segment_buffer 1
		.amdhsa_user_sgpr_dispatch_ptr 0
		.amdhsa_user_sgpr_queue_ptr 0
		.amdhsa_user_sgpr_kernarg_segment_ptr 1
		.amdhsa_user_sgpr_dispatch_id 0
		.amdhsa_user_sgpr_flat_scratch_init 0
		.amdhsa_user_sgpr_kernarg_preload_length 0
		.amdhsa_user_sgpr_kernarg_preload_offset 0
		.amdhsa_user_sgpr_private_segment_size 0
		.amdhsa_uses_dynamic_stack 0
		.amdhsa_system_sgpr_private_segment_wavefront_offset 0
		.amdhsa_system_sgpr_workgroup_id_x 1
		.amdhsa_system_sgpr_workgroup_id_y 0
		.amdhsa_system_sgpr_workgroup_id_z 0
		.amdhsa_system_sgpr_workgroup_info 0
		.amdhsa_system_vgpr_workitem_id 0
		.amdhsa_next_free_vgpr 1
		.amdhsa_next_free_sgpr 0
		.amdhsa_accum_offset 4
		.amdhsa_reserve_vcc 0
		.amdhsa_reserve_flat_scratch 0
		.amdhsa_float_round_mode_32 0
		.amdhsa_float_round_mode_16_64 0
		.amdhsa_float_denorm_mode_32 3
		.amdhsa_float_denorm_mode_16_64 3
		.amdhsa_dx10_clamp 1
		.amdhsa_ieee_mode 1
		.amdhsa_fp16_overflow 0
		.amdhsa_tg_split 0
		.amdhsa_exception_fp_ieee_invalid_op 0
		.amdhsa_exception_fp_denorm_src 0
		.amdhsa_exception_fp_ieee_div_zero 0
		.amdhsa_exception_fp_ieee_overflow 0
		.amdhsa_exception_fp_ieee_underflow 0
		.amdhsa_exception_fp_ieee_inexact 0
		.amdhsa_exception_int_div_zero 0
	.end_amdhsa_kernel
	.section	.text._ZN7rocprim17ROCPRIM_400000_NS6detail17trampoline_kernelINS0_14default_configENS1_20scan_config_selectorItEEZZNS1_9scan_implILNS1_25lookback_scan_determinismE0ELb0ELb0ES3_N6thrust23THRUST_200600_302600_NS6detail15normal_iteratorINS9_10device_ptrItEEEENS9_16discard_iteratorINS9_11use_defaultEEEtNS9_4plusIvEEtEEDaPvRmT3_T4_T5_mT6_P12ihipStream_tbENKUlT_T0_E_clISt17integral_constantIbLb1EESX_EEDaSS_ST_EUlSS_E_NS1_11comp_targetILNS1_3genE0ELNS1_11target_archE4294967295ELNS1_3gpuE0ELNS1_3repE0EEENS1_30default_config_static_selectorELNS0_4arch9wavefront6targetE1EEEvT1_,"axG",@progbits,_ZN7rocprim17ROCPRIM_400000_NS6detail17trampoline_kernelINS0_14default_configENS1_20scan_config_selectorItEEZZNS1_9scan_implILNS1_25lookback_scan_determinismE0ELb0ELb0ES3_N6thrust23THRUST_200600_302600_NS6detail15normal_iteratorINS9_10device_ptrItEEEENS9_16discard_iteratorINS9_11use_defaultEEEtNS9_4plusIvEEtEEDaPvRmT3_T4_T5_mT6_P12ihipStream_tbENKUlT_T0_E_clISt17integral_constantIbLb1EESX_EEDaSS_ST_EUlSS_E_NS1_11comp_targetILNS1_3genE0ELNS1_11target_archE4294967295ELNS1_3gpuE0ELNS1_3repE0EEENS1_30default_config_static_selectorELNS0_4arch9wavefront6targetE1EEEvT1_,comdat
.Lfunc_end5456:
	.size	_ZN7rocprim17ROCPRIM_400000_NS6detail17trampoline_kernelINS0_14default_configENS1_20scan_config_selectorItEEZZNS1_9scan_implILNS1_25lookback_scan_determinismE0ELb0ELb0ES3_N6thrust23THRUST_200600_302600_NS6detail15normal_iteratorINS9_10device_ptrItEEEENS9_16discard_iteratorINS9_11use_defaultEEEtNS9_4plusIvEEtEEDaPvRmT3_T4_T5_mT6_P12ihipStream_tbENKUlT_T0_E_clISt17integral_constantIbLb1EESX_EEDaSS_ST_EUlSS_E_NS1_11comp_targetILNS1_3genE0ELNS1_11target_archE4294967295ELNS1_3gpuE0ELNS1_3repE0EEENS1_30default_config_static_selectorELNS0_4arch9wavefront6targetE1EEEvT1_, .Lfunc_end5456-_ZN7rocprim17ROCPRIM_400000_NS6detail17trampoline_kernelINS0_14default_configENS1_20scan_config_selectorItEEZZNS1_9scan_implILNS1_25lookback_scan_determinismE0ELb0ELb0ES3_N6thrust23THRUST_200600_302600_NS6detail15normal_iteratorINS9_10device_ptrItEEEENS9_16discard_iteratorINS9_11use_defaultEEEtNS9_4plusIvEEtEEDaPvRmT3_T4_T5_mT6_P12ihipStream_tbENKUlT_T0_E_clISt17integral_constantIbLb1EESX_EEDaSS_ST_EUlSS_E_NS1_11comp_targetILNS1_3genE0ELNS1_11target_archE4294967295ELNS1_3gpuE0ELNS1_3repE0EEENS1_30default_config_static_selectorELNS0_4arch9wavefront6targetE1EEEvT1_
                                        ; -- End function
	.section	.AMDGPU.csdata,"",@progbits
; Kernel info:
; codeLenInByte = 0
; NumSgprs: 4
; NumVgprs: 0
; NumAgprs: 0
; TotalNumVgprs: 0
; ScratchSize: 0
; MemoryBound: 0
; FloatMode: 240
; IeeeMode: 1
; LDSByteSize: 0 bytes/workgroup (compile time only)
; SGPRBlocks: 0
; VGPRBlocks: 0
; NumSGPRsForWavesPerEU: 4
; NumVGPRsForWavesPerEU: 1
; AccumOffset: 4
; Occupancy: 8
; WaveLimiterHint : 0
; COMPUTE_PGM_RSRC2:SCRATCH_EN: 0
; COMPUTE_PGM_RSRC2:USER_SGPR: 6
; COMPUTE_PGM_RSRC2:TRAP_HANDLER: 0
; COMPUTE_PGM_RSRC2:TGID_X_EN: 1
; COMPUTE_PGM_RSRC2:TGID_Y_EN: 0
; COMPUTE_PGM_RSRC2:TGID_Z_EN: 0
; COMPUTE_PGM_RSRC2:TIDIG_COMP_CNT: 0
; COMPUTE_PGM_RSRC3_GFX90A:ACCUM_OFFSET: 0
; COMPUTE_PGM_RSRC3_GFX90A:TG_SPLIT: 0
	.section	.text._ZN7rocprim17ROCPRIM_400000_NS6detail17trampoline_kernelINS0_14default_configENS1_20scan_config_selectorItEEZZNS1_9scan_implILNS1_25lookback_scan_determinismE0ELb0ELb0ES3_N6thrust23THRUST_200600_302600_NS6detail15normal_iteratorINS9_10device_ptrItEEEENS9_16discard_iteratorINS9_11use_defaultEEEtNS9_4plusIvEEtEEDaPvRmT3_T4_T5_mT6_P12ihipStream_tbENKUlT_T0_E_clISt17integral_constantIbLb1EESX_EEDaSS_ST_EUlSS_E_NS1_11comp_targetILNS1_3genE5ELNS1_11target_archE942ELNS1_3gpuE9ELNS1_3repE0EEENS1_30default_config_static_selectorELNS0_4arch9wavefront6targetE1EEEvT1_,"axG",@progbits,_ZN7rocprim17ROCPRIM_400000_NS6detail17trampoline_kernelINS0_14default_configENS1_20scan_config_selectorItEEZZNS1_9scan_implILNS1_25lookback_scan_determinismE0ELb0ELb0ES3_N6thrust23THRUST_200600_302600_NS6detail15normal_iteratorINS9_10device_ptrItEEEENS9_16discard_iteratorINS9_11use_defaultEEEtNS9_4plusIvEEtEEDaPvRmT3_T4_T5_mT6_P12ihipStream_tbENKUlT_T0_E_clISt17integral_constantIbLb1EESX_EEDaSS_ST_EUlSS_E_NS1_11comp_targetILNS1_3genE5ELNS1_11target_archE942ELNS1_3gpuE9ELNS1_3repE0EEENS1_30default_config_static_selectorELNS0_4arch9wavefront6targetE1EEEvT1_,comdat
	.protected	_ZN7rocprim17ROCPRIM_400000_NS6detail17trampoline_kernelINS0_14default_configENS1_20scan_config_selectorItEEZZNS1_9scan_implILNS1_25lookback_scan_determinismE0ELb0ELb0ES3_N6thrust23THRUST_200600_302600_NS6detail15normal_iteratorINS9_10device_ptrItEEEENS9_16discard_iteratorINS9_11use_defaultEEEtNS9_4plusIvEEtEEDaPvRmT3_T4_T5_mT6_P12ihipStream_tbENKUlT_T0_E_clISt17integral_constantIbLb1EESX_EEDaSS_ST_EUlSS_E_NS1_11comp_targetILNS1_3genE5ELNS1_11target_archE942ELNS1_3gpuE9ELNS1_3repE0EEENS1_30default_config_static_selectorELNS0_4arch9wavefront6targetE1EEEvT1_ ; -- Begin function _ZN7rocprim17ROCPRIM_400000_NS6detail17trampoline_kernelINS0_14default_configENS1_20scan_config_selectorItEEZZNS1_9scan_implILNS1_25lookback_scan_determinismE0ELb0ELb0ES3_N6thrust23THRUST_200600_302600_NS6detail15normal_iteratorINS9_10device_ptrItEEEENS9_16discard_iteratorINS9_11use_defaultEEEtNS9_4plusIvEEtEEDaPvRmT3_T4_T5_mT6_P12ihipStream_tbENKUlT_T0_E_clISt17integral_constantIbLb1EESX_EEDaSS_ST_EUlSS_E_NS1_11comp_targetILNS1_3genE5ELNS1_11target_archE942ELNS1_3gpuE9ELNS1_3repE0EEENS1_30default_config_static_selectorELNS0_4arch9wavefront6targetE1EEEvT1_
	.globl	_ZN7rocprim17ROCPRIM_400000_NS6detail17trampoline_kernelINS0_14default_configENS1_20scan_config_selectorItEEZZNS1_9scan_implILNS1_25lookback_scan_determinismE0ELb0ELb0ES3_N6thrust23THRUST_200600_302600_NS6detail15normal_iteratorINS9_10device_ptrItEEEENS9_16discard_iteratorINS9_11use_defaultEEEtNS9_4plusIvEEtEEDaPvRmT3_T4_T5_mT6_P12ihipStream_tbENKUlT_T0_E_clISt17integral_constantIbLb1EESX_EEDaSS_ST_EUlSS_E_NS1_11comp_targetILNS1_3genE5ELNS1_11target_archE942ELNS1_3gpuE9ELNS1_3repE0EEENS1_30default_config_static_selectorELNS0_4arch9wavefront6targetE1EEEvT1_
	.p2align	8
	.type	_ZN7rocprim17ROCPRIM_400000_NS6detail17trampoline_kernelINS0_14default_configENS1_20scan_config_selectorItEEZZNS1_9scan_implILNS1_25lookback_scan_determinismE0ELb0ELb0ES3_N6thrust23THRUST_200600_302600_NS6detail15normal_iteratorINS9_10device_ptrItEEEENS9_16discard_iteratorINS9_11use_defaultEEEtNS9_4plusIvEEtEEDaPvRmT3_T4_T5_mT6_P12ihipStream_tbENKUlT_T0_E_clISt17integral_constantIbLb1EESX_EEDaSS_ST_EUlSS_E_NS1_11comp_targetILNS1_3genE5ELNS1_11target_archE942ELNS1_3gpuE9ELNS1_3repE0EEENS1_30default_config_static_selectorELNS0_4arch9wavefront6targetE1EEEvT1_,@function
_ZN7rocprim17ROCPRIM_400000_NS6detail17trampoline_kernelINS0_14default_configENS1_20scan_config_selectorItEEZZNS1_9scan_implILNS1_25lookback_scan_determinismE0ELb0ELb0ES3_N6thrust23THRUST_200600_302600_NS6detail15normal_iteratorINS9_10device_ptrItEEEENS9_16discard_iteratorINS9_11use_defaultEEEtNS9_4plusIvEEtEEDaPvRmT3_T4_T5_mT6_P12ihipStream_tbENKUlT_T0_E_clISt17integral_constantIbLb1EESX_EEDaSS_ST_EUlSS_E_NS1_11comp_targetILNS1_3genE5ELNS1_11target_archE942ELNS1_3gpuE9ELNS1_3repE0EEENS1_30default_config_static_selectorELNS0_4arch9wavefront6targetE1EEEvT1_: ; @_ZN7rocprim17ROCPRIM_400000_NS6detail17trampoline_kernelINS0_14default_configENS1_20scan_config_selectorItEEZZNS1_9scan_implILNS1_25lookback_scan_determinismE0ELb0ELb0ES3_N6thrust23THRUST_200600_302600_NS6detail15normal_iteratorINS9_10device_ptrItEEEENS9_16discard_iteratorINS9_11use_defaultEEEtNS9_4plusIvEEtEEDaPvRmT3_T4_T5_mT6_P12ihipStream_tbENKUlT_T0_E_clISt17integral_constantIbLb1EESX_EEDaSS_ST_EUlSS_E_NS1_11comp_targetILNS1_3genE5ELNS1_11target_archE942ELNS1_3gpuE9ELNS1_3repE0EEENS1_30default_config_static_selectorELNS0_4arch9wavefront6targetE1EEEvT1_
; %bb.0:
	.section	.rodata,"a",@progbits
	.p2align	6, 0x0
	.amdhsa_kernel _ZN7rocprim17ROCPRIM_400000_NS6detail17trampoline_kernelINS0_14default_configENS1_20scan_config_selectorItEEZZNS1_9scan_implILNS1_25lookback_scan_determinismE0ELb0ELb0ES3_N6thrust23THRUST_200600_302600_NS6detail15normal_iteratorINS9_10device_ptrItEEEENS9_16discard_iteratorINS9_11use_defaultEEEtNS9_4plusIvEEtEEDaPvRmT3_T4_T5_mT6_P12ihipStream_tbENKUlT_T0_E_clISt17integral_constantIbLb1EESX_EEDaSS_ST_EUlSS_E_NS1_11comp_targetILNS1_3genE5ELNS1_11target_archE942ELNS1_3gpuE9ELNS1_3repE0EEENS1_30default_config_static_selectorELNS0_4arch9wavefront6targetE1EEEvT1_
		.amdhsa_group_segment_fixed_size 0
		.amdhsa_private_segment_fixed_size 0
		.amdhsa_kernarg_size 104
		.amdhsa_user_sgpr_count 6
		.amdhsa_user_sgpr_private_segment_buffer 1
		.amdhsa_user_sgpr_dispatch_ptr 0
		.amdhsa_user_sgpr_queue_ptr 0
		.amdhsa_user_sgpr_kernarg_segment_ptr 1
		.amdhsa_user_sgpr_dispatch_id 0
		.amdhsa_user_sgpr_flat_scratch_init 0
		.amdhsa_user_sgpr_kernarg_preload_length 0
		.amdhsa_user_sgpr_kernarg_preload_offset 0
		.amdhsa_user_sgpr_private_segment_size 0
		.amdhsa_uses_dynamic_stack 0
		.amdhsa_system_sgpr_private_segment_wavefront_offset 0
		.amdhsa_system_sgpr_workgroup_id_x 1
		.amdhsa_system_sgpr_workgroup_id_y 0
		.amdhsa_system_sgpr_workgroup_id_z 0
		.amdhsa_system_sgpr_workgroup_info 0
		.amdhsa_system_vgpr_workitem_id 0
		.amdhsa_next_free_vgpr 1
		.amdhsa_next_free_sgpr 0
		.amdhsa_accum_offset 4
		.amdhsa_reserve_vcc 0
		.amdhsa_reserve_flat_scratch 0
		.amdhsa_float_round_mode_32 0
		.amdhsa_float_round_mode_16_64 0
		.amdhsa_float_denorm_mode_32 3
		.amdhsa_float_denorm_mode_16_64 3
		.amdhsa_dx10_clamp 1
		.amdhsa_ieee_mode 1
		.amdhsa_fp16_overflow 0
		.amdhsa_tg_split 0
		.amdhsa_exception_fp_ieee_invalid_op 0
		.amdhsa_exception_fp_denorm_src 0
		.amdhsa_exception_fp_ieee_div_zero 0
		.amdhsa_exception_fp_ieee_overflow 0
		.amdhsa_exception_fp_ieee_underflow 0
		.amdhsa_exception_fp_ieee_inexact 0
		.amdhsa_exception_int_div_zero 0
	.end_amdhsa_kernel
	.section	.text._ZN7rocprim17ROCPRIM_400000_NS6detail17trampoline_kernelINS0_14default_configENS1_20scan_config_selectorItEEZZNS1_9scan_implILNS1_25lookback_scan_determinismE0ELb0ELb0ES3_N6thrust23THRUST_200600_302600_NS6detail15normal_iteratorINS9_10device_ptrItEEEENS9_16discard_iteratorINS9_11use_defaultEEEtNS9_4plusIvEEtEEDaPvRmT3_T4_T5_mT6_P12ihipStream_tbENKUlT_T0_E_clISt17integral_constantIbLb1EESX_EEDaSS_ST_EUlSS_E_NS1_11comp_targetILNS1_3genE5ELNS1_11target_archE942ELNS1_3gpuE9ELNS1_3repE0EEENS1_30default_config_static_selectorELNS0_4arch9wavefront6targetE1EEEvT1_,"axG",@progbits,_ZN7rocprim17ROCPRIM_400000_NS6detail17trampoline_kernelINS0_14default_configENS1_20scan_config_selectorItEEZZNS1_9scan_implILNS1_25lookback_scan_determinismE0ELb0ELb0ES3_N6thrust23THRUST_200600_302600_NS6detail15normal_iteratorINS9_10device_ptrItEEEENS9_16discard_iteratorINS9_11use_defaultEEEtNS9_4plusIvEEtEEDaPvRmT3_T4_T5_mT6_P12ihipStream_tbENKUlT_T0_E_clISt17integral_constantIbLb1EESX_EEDaSS_ST_EUlSS_E_NS1_11comp_targetILNS1_3genE5ELNS1_11target_archE942ELNS1_3gpuE9ELNS1_3repE0EEENS1_30default_config_static_selectorELNS0_4arch9wavefront6targetE1EEEvT1_,comdat
.Lfunc_end5457:
	.size	_ZN7rocprim17ROCPRIM_400000_NS6detail17trampoline_kernelINS0_14default_configENS1_20scan_config_selectorItEEZZNS1_9scan_implILNS1_25lookback_scan_determinismE0ELb0ELb0ES3_N6thrust23THRUST_200600_302600_NS6detail15normal_iteratorINS9_10device_ptrItEEEENS9_16discard_iteratorINS9_11use_defaultEEEtNS9_4plusIvEEtEEDaPvRmT3_T4_T5_mT6_P12ihipStream_tbENKUlT_T0_E_clISt17integral_constantIbLb1EESX_EEDaSS_ST_EUlSS_E_NS1_11comp_targetILNS1_3genE5ELNS1_11target_archE942ELNS1_3gpuE9ELNS1_3repE0EEENS1_30default_config_static_selectorELNS0_4arch9wavefront6targetE1EEEvT1_, .Lfunc_end5457-_ZN7rocprim17ROCPRIM_400000_NS6detail17trampoline_kernelINS0_14default_configENS1_20scan_config_selectorItEEZZNS1_9scan_implILNS1_25lookback_scan_determinismE0ELb0ELb0ES3_N6thrust23THRUST_200600_302600_NS6detail15normal_iteratorINS9_10device_ptrItEEEENS9_16discard_iteratorINS9_11use_defaultEEEtNS9_4plusIvEEtEEDaPvRmT3_T4_T5_mT6_P12ihipStream_tbENKUlT_T0_E_clISt17integral_constantIbLb1EESX_EEDaSS_ST_EUlSS_E_NS1_11comp_targetILNS1_3genE5ELNS1_11target_archE942ELNS1_3gpuE9ELNS1_3repE0EEENS1_30default_config_static_selectorELNS0_4arch9wavefront6targetE1EEEvT1_
                                        ; -- End function
	.section	.AMDGPU.csdata,"",@progbits
; Kernel info:
; codeLenInByte = 0
; NumSgprs: 4
; NumVgprs: 0
; NumAgprs: 0
; TotalNumVgprs: 0
; ScratchSize: 0
; MemoryBound: 0
; FloatMode: 240
; IeeeMode: 1
; LDSByteSize: 0 bytes/workgroup (compile time only)
; SGPRBlocks: 0
; VGPRBlocks: 0
; NumSGPRsForWavesPerEU: 4
; NumVGPRsForWavesPerEU: 1
; AccumOffset: 4
; Occupancy: 8
; WaveLimiterHint : 0
; COMPUTE_PGM_RSRC2:SCRATCH_EN: 0
; COMPUTE_PGM_RSRC2:USER_SGPR: 6
; COMPUTE_PGM_RSRC2:TRAP_HANDLER: 0
; COMPUTE_PGM_RSRC2:TGID_X_EN: 1
; COMPUTE_PGM_RSRC2:TGID_Y_EN: 0
; COMPUTE_PGM_RSRC2:TGID_Z_EN: 0
; COMPUTE_PGM_RSRC2:TIDIG_COMP_CNT: 0
; COMPUTE_PGM_RSRC3_GFX90A:ACCUM_OFFSET: 0
; COMPUTE_PGM_RSRC3_GFX90A:TG_SPLIT: 0
	.section	.text._ZN7rocprim17ROCPRIM_400000_NS6detail17trampoline_kernelINS0_14default_configENS1_20scan_config_selectorItEEZZNS1_9scan_implILNS1_25lookback_scan_determinismE0ELb0ELb0ES3_N6thrust23THRUST_200600_302600_NS6detail15normal_iteratorINS9_10device_ptrItEEEENS9_16discard_iteratorINS9_11use_defaultEEEtNS9_4plusIvEEtEEDaPvRmT3_T4_T5_mT6_P12ihipStream_tbENKUlT_T0_E_clISt17integral_constantIbLb1EESX_EEDaSS_ST_EUlSS_E_NS1_11comp_targetILNS1_3genE4ELNS1_11target_archE910ELNS1_3gpuE8ELNS1_3repE0EEENS1_30default_config_static_selectorELNS0_4arch9wavefront6targetE1EEEvT1_,"axG",@progbits,_ZN7rocprim17ROCPRIM_400000_NS6detail17trampoline_kernelINS0_14default_configENS1_20scan_config_selectorItEEZZNS1_9scan_implILNS1_25lookback_scan_determinismE0ELb0ELb0ES3_N6thrust23THRUST_200600_302600_NS6detail15normal_iteratorINS9_10device_ptrItEEEENS9_16discard_iteratorINS9_11use_defaultEEEtNS9_4plusIvEEtEEDaPvRmT3_T4_T5_mT6_P12ihipStream_tbENKUlT_T0_E_clISt17integral_constantIbLb1EESX_EEDaSS_ST_EUlSS_E_NS1_11comp_targetILNS1_3genE4ELNS1_11target_archE910ELNS1_3gpuE8ELNS1_3repE0EEENS1_30default_config_static_selectorELNS0_4arch9wavefront6targetE1EEEvT1_,comdat
	.protected	_ZN7rocprim17ROCPRIM_400000_NS6detail17trampoline_kernelINS0_14default_configENS1_20scan_config_selectorItEEZZNS1_9scan_implILNS1_25lookback_scan_determinismE0ELb0ELb0ES3_N6thrust23THRUST_200600_302600_NS6detail15normal_iteratorINS9_10device_ptrItEEEENS9_16discard_iteratorINS9_11use_defaultEEEtNS9_4plusIvEEtEEDaPvRmT3_T4_T5_mT6_P12ihipStream_tbENKUlT_T0_E_clISt17integral_constantIbLb1EESX_EEDaSS_ST_EUlSS_E_NS1_11comp_targetILNS1_3genE4ELNS1_11target_archE910ELNS1_3gpuE8ELNS1_3repE0EEENS1_30default_config_static_selectorELNS0_4arch9wavefront6targetE1EEEvT1_ ; -- Begin function _ZN7rocprim17ROCPRIM_400000_NS6detail17trampoline_kernelINS0_14default_configENS1_20scan_config_selectorItEEZZNS1_9scan_implILNS1_25lookback_scan_determinismE0ELb0ELb0ES3_N6thrust23THRUST_200600_302600_NS6detail15normal_iteratorINS9_10device_ptrItEEEENS9_16discard_iteratorINS9_11use_defaultEEEtNS9_4plusIvEEtEEDaPvRmT3_T4_T5_mT6_P12ihipStream_tbENKUlT_T0_E_clISt17integral_constantIbLb1EESX_EEDaSS_ST_EUlSS_E_NS1_11comp_targetILNS1_3genE4ELNS1_11target_archE910ELNS1_3gpuE8ELNS1_3repE0EEENS1_30default_config_static_selectorELNS0_4arch9wavefront6targetE1EEEvT1_
	.globl	_ZN7rocprim17ROCPRIM_400000_NS6detail17trampoline_kernelINS0_14default_configENS1_20scan_config_selectorItEEZZNS1_9scan_implILNS1_25lookback_scan_determinismE0ELb0ELb0ES3_N6thrust23THRUST_200600_302600_NS6detail15normal_iteratorINS9_10device_ptrItEEEENS9_16discard_iteratorINS9_11use_defaultEEEtNS9_4plusIvEEtEEDaPvRmT3_T4_T5_mT6_P12ihipStream_tbENKUlT_T0_E_clISt17integral_constantIbLb1EESX_EEDaSS_ST_EUlSS_E_NS1_11comp_targetILNS1_3genE4ELNS1_11target_archE910ELNS1_3gpuE8ELNS1_3repE0EEENS1_30default_config_static_selectorELNS0_4arch9wavefront6targetE1EEEvT1_
	.p2align	8
	.type	_ZN7rocprim17ROCPRIM_400000_NS6detail17trampoline_kernelINS0_14default_configENS1_20scan_config_selectorItEEZZNS1_9scan_implILNS1_25lookback_scan_determinismE0ELb0ELb0ES3_N6thrust23THRUST_200600_302600_NS6detail15normal_iteratorINS9_10device_ptrItEEEENS9_16discard_iteratorINS9_11use_defaultEEEtNS9_4plusIvEEtEEDaPvRmT3_T4_T5_mT6_P12ihipStream_tbENKUlT_T0_E_clISt17integral_constantIbLb1EESX_EEDaSS_ST_EUlSS_E_NS1_11comp_targetILNS1_3genE4ELNS1_11target_archE910ELNS1_3gpuE8ELNS1_3repE0EEENS1_30default_config_static_selectorELNS0_4arch9wavefront6targetE1EEEvT1_,@function
_ZN7rocprim17ROCPRIM_400000_NS6detail17trampoline_kernelINS0_14default_configENS1_20scan_config_selectorItEEZZNS1_9scan_implILNS1_25lookback_scan_determinismE0ELb0ELb0ES3_N6thrust23THRUST_200600_302600_NS6detail15normal_iteratorINS9_10device_ptrItEEEENS9_16discard_iteratorINS9_11use_defaultEEEtNS9_4plusIvEEtEEDaPvRmT3_T4_T5_mT6_P12ihipStream_tbENKUlT_T0_E_clISt17integral_constantIbLb1EESX_EEDaSS_ST_EUlSS_E_NS1_11comp_targetILNS1_3genE4ELNS1_11target_archE910ELNS1_3gpuE8ELNS1_3repE0EEENS1_30default_config_static_selectorELNS0_4arch9wavefront6targetE1EEEvT1_: ; @_ZN7rocprim17ROCPRIM_400000_NS6detail17trampoline_kernelINS0_14default_configENS1_20scan_config_selectorItEEZZNS1_9scan_implILNS1_25lookback_scan_determinismE0ELb0ELb0ES3_N6thrust23THRUST_200600_302600_NS6detail15normal_iteratorINS9_10device_ptrItEEEENS9_16discard_iteratorINS9_11use_defaultEEEtNS9_4plusIvEEtEEDaPvRmT3_T4_T5_mT6_P12ihipStream_tbENKUlT_T0_E_clISt17integral_constantIbLb1EESX_EEDaSS_ST_EUlSS_E_NS1_11comp_targetILNS1_3genE4ELNS1_11target_archE910ELNS1_3gpuE8ELNS1_3repE0EEENS1_30default_config_static_selectorELNS0_4arch9wavefront6targetE1EEEvT1_
; %bb.0:
	s_load_dwordx2 s[6:7], s[4:5], 0x20
	s_load_dwordx2 s[20:21], s[4:5], 0x30
	v_cmp_ne_u32_e64 s[0:1], 0, v0
	v_cmp_eq_u32_e64 s[2:3], 0, v0
	s_and_saveexec_b64 s[8:9], s[2:3]
	s_cbranch_execz .LBB5458_4
; %bb.1:
	s_mov_b64 s[12:13], exec
	v_mbcnt_lo_u32_b32 v1, s12, 0
	v_mbcnt_hi_u32_b32 v1, s13, v1
	v_cmp_eq_u32_e32 vcc, 0, v1
                                        ; implicit-def: $vgpr2
	s_and_saveexec_b64 s[10:11], vcc
	s_cbranch_execz .LBB5458_3
; %bb.2:
	s_load_dwordx2 s[14:15], s[4:5], 0x60
	s_bcnt1_i32_b64 s12, s[12:13]
	v_mov_b32_e32 v2, 0
	v_mov_b32_e32 v3, s12
	s_waitcnt lgkmcnt(0)
	global_atomic_add v2, v2, v3, s[14:15] glc
.LBB5458_3:
	s_or_b64 exec, exec, s[10:11]
	s_waitcnt vmcnt(0)
	v_readfirstlane_b32 s10, v2
	v_add_u32_e32 v1, s10, v1
	v_mov_b32_e32 v2, 0
	ds_write_b32 v2, v1
.LBB5458_4:
	s_or_b64 exec, exec, s[8:9]
	v_mov_b32_e32 v3, 0
	s_load_dwordx4 s[8:11], s[4:5], 0x0
	s_load_dword s22, s[4:5], 0x38
	s_load_dwordx8 s[12:19], s[4:5], 0x40
	s_waitcnt lgkmcnt(0)
	; wave barrier
	s_waitcnt lgkmcnt(0)
	ds_read_b32 v1, v3
	s_lshl_b64 s[4:5], s[10:11], 1
	s_add_u32 s4, s8, s4
	s_movk_i32 s8, 0x600
	s_addc_u32 s5, s9, s5
	s_waitcnt lgkmcnt(0)
	v_mul_lo_u32 v2, v1, s8
	s_add_i32 s8, s22, -1
	s_mul_i32 s9, s8, 0x600
	s_sub_u32 s24, s6, s9
	v_readfirstlane_b32 s26, v1
	s_subb_u32 s25, s7, 0
	v_lshlrev_b64 v[2:3], 1, v[2:3]
	s_cmp_lg_u32 s26, s8
	v_mov_b32_e32 v1, s5
	v_add_co_u32_e32 v2, vcc, s4, v2
	s_cselect_b64 s[10:11], -1, 0
	v_addc_co_u32_e32 v3, vcc, v1, v3, vcc
	s_mov_b64 s[4:5], -1
	s_and_b64 vcc, exec, s[10:11]
	s_waitcnt lgkmcnt(0)
	; wave barrier
	s_cbranch_vccz .LBB5458_6
; %bb.5:
	v_lshlrev_b32_e32 v1, 1, v0
	v_add_co_u32_e32 v4, vcc, v2, v1
	v_addc_co_u32_e32 v5, vcc, 0, v3, vcc
	flat_load_ushort v6, v[4:5]
	flat_load_ushort v7, v[4:5] offset:128
	flat_load_ushort v8, v[4:5] offset:256
	;; [unrolled: 1-line block ×23, first 2 shown]
	s_mov_b64 s[4:5], 0
	s_waitcnt vmcnt(0) lgkmcnt(0)
	ds_write_b16 v1, v6
	ds_write_b16 v1, v7 offset:128
	ds_write_b16 v1, v8 offset:256
	;; [unrolled: 1-line block ×23, first 2 shown]
	s_waitcnt lgkmcnt(0)
	; wave barrier
.LBB5458_6:
	s_andn2_b64 vcc, exec, s[4:5]
	s_cbranch_vccnz .LBB5458_56
; %bb.7:
	flat_load_ushort v1, v[2:3]
	v_cmp_gt_u32_e32 vcc, s24, v0
	s_waitcnt vmcnt(0) lgkmcnt(0)
	v_mov_b32_e32 v4, v1
	s_and_saveexec_b64 s[4:5], vcc
	s_cbranch_execz .LBB5458_9
; %bb.8:
	v_lshlrev_b32_e32 v4, 1, v0
	v_add_co_u32_e32 v4, vcc, v2, v4
	v_addc_co_u32_e32 v5, vcc, 0, v3, vcc
	flat_load_ushort v4, v[4:5]
.LBB5458_9:
	s_or_b64 exec, exec, s[4:5]
	v_or_b32_e32 v5, 64, v0
	v_cmp_gt_u32_e32 vcc, s24, v5
	v_mov_b32_e32 v5, v1
	s_and_saveexec_b64 s[4:5], vcc
	s_cbranch_execz .LBB5458_11
; %bb.10:
	v_lshlrev_b32_e32 v5, 1, v0
	v_add_co_u32_e32 v6, vcc, v2, v5
	v_addc_co_u32_e32 v7, vcc, 0, v3, vcc
	flat_load_ushort v5, v[6:7] offset:128
.LBB5458_11:
	s_or_b64 exec, exec, s[4:5]
	v_or_b32_e32 v6, 0x80, v0
	v_cmp_gt_u32_e32 vcc, s24, v6
	v_mov_b32_e32 v6, v1
	s_and_saveexec_b64 s[4:5], vcc
	s_cbranch_execz .LBB5458_13
; %bb.12:
	v_lshlrev_b32_e32 v6, 1, v0
	v_add_co_u32_e32 v6, vcc, v2, v6
	v_addc_co_u32_e32 v7, vcc, 0, v3, vcc
	flat_load_ushort v6, v[6:7] offset:256
.LBB5458_13:
	;; [unrolled: 12-line block ×22, first 2 shown]
	s_or_b64 exec, exec, s[4:5]
	v_or_b32_e32 v27, 0x5c0, v0
	v_cmp_gt_u32_e32 vcc, s24, v27
	s_and_saveexec_b64 s[4:5], vcc
	s_cbranch_execz .LBB5458_55
; %bb.54:
	v_lshlrev_b32_e32 v1, 1, v0
	v_add_co_u32_e32 v2, vcc, v2, v1
	v_addc_co_u32_e32 v3, vcc, 0, v3, vcc
	flat_load_ushort v1, v[2:3] offset:2944
.LBB5458_55:
	s_or_b64 exec, exec, s[4:5]
	v_lshlrev_b32_e32 v2, 1, v0
	s_waitcnt vmcnt(0) lgkmcnt(0)
	ds_write_b16 v2, v4
	ds_write_b16 v2, v5 offset:128
	ds_write_b16 v2, v6 offset:256
	;; [unrolled: 1-line block ×23, first 2 shown]
	s_waitcnt lgkmcnt(0)
	; wave barrier
.LBB5458_56:
	v_mul_u32_u24_e32 v20, 24, v0
	v_lshlrev_b32_e32 v1, 1, v20
	s_waitcnt lgkmcnt(0)
	ds_read_b128 v[10:13], v1
	ds_read_b128 v[6:9], v1 offset:16
	ds_read_b128 v[2:5], v1 offset:32
	s_cmp_lg_u32 s26, 0
	v_mbcnt_lo_u32_b32 v21, -1, 0
	v_cmp_eq_u32_e32 vcc, 63, v0
	s_waitcnt lgkmcnt(0)
	; wave barrier
	s_waitcnt lgkmcnt(0)
	s_cbranch_scc0 .LBB5458_83
; %bb.57:
	v_add_u16_sdwa v14, v10, v10 dst_sel:DWORD dst_unused:UNUSED_PAD src0_sel:WORD_1 src1_sel:DWORD
	v_add_u16_e32 v14, v14, v11
	v_add_u16_sdwa v14, v14, v11 dst_sel:DWORD dst_unused:UNUSED_PAD src0_sel:DWORD src1_sel:WORD_1
	v_add_u16_e32 v14, v14, v12
	v_add_u16_sdwa v14, v14, v12 dst_sel:DWORD dst_unused:UNUSED_PAD src0_sel:DWORD src1_sel:WORD_1
	;; [unrolled: 2-line block ×10, first 2 shown]
	v_add_u16_e32 v14, v14, v5
	v_mbcnt_hi_u32_b32 v15, -1, v21
	v_add_u16_sdwa v14, v14, v5 dst_sel:DWORD dst_unused:UNUSED_PAD src0_sel:DWORD src1_sel:WORD_1
	v_and_b32_e32 v16, 15, v15
	v_cmp_ne_u32_e64 s[4:5], 0, v16
	v_mov_b32_dpp v17, v14 row_shr:1 row_mask:0xf bank_mask:0xf
	v_cndmask_b32_e64 v17, 0, v17, s[4:5]
	v_add_u16_e32 v14, v17, v14
	v_cmp_lt_u32_e64 s[4:5], 1, v16
	s_nop 0
	v_mov_b32_dpp v17, v14 row_shr:2 row_mask:0xf bank_mask:0xf
	v_cndmask_b32_e64 v17, 0, v17, s[4:5]
	v_add_u16_e32 v14, v14, v17
	v_cmp_lt_u32_e64 s[4:5], 3, v16
	s_nop 0
	;; [unrolled: 5-line block ×3, first 2 shown]
	v_mov_b32_dpp v17, v14 row_shr:8 row_mask:0xf bank_mask:0xf
	v_cndmask_b32_e64 v16, 0, v17, s[4:5]
	v_add_u16_e32 v14, v14, v16
	v_and_b32_e32 v17, 16, v15
	v_cmp_ne_u32_e64 s[4:5], 0, v17
	v_mov_b32_dpp v16, v14 row_bcast:15 row_mask:0xf bank_mask:0xf
	v_cndmask_b32_e64 v16, 0, v16, s[4:5]
	v_add_u16_e32 v14, v14, v16
	v_cmp_lt_u32_e64 s[4:5], 31, v15
	s_nop 0
	v_mov_b32_dpp v16, v14 row_bcast:31 row_mask:0xf bank_mask:0xf
	v_cndmask_b32_e64 v16, 0, v16, s[4:5]
	v_add_u16_e32 v14, v14, v16
	s_and_saveexec_b64 s[4:5], vcc
	s_cbranch_execz .LBB5458_59
; %bb.58:
	v_mov_b32_e32 v16, 0
	ds_write_b16 v16, v14
.LBB5458_59:
	s_or_b64 exec, exec, s[4:5]
	v_add_u32_e32 v16, -1, v15
	v_and_b32_e32 v17, 64, v15
	v_cmp_lt_i32_e32 vcc, v16, v17
	v_cndmask_b32_e32 v16, v16, v15, vcc
	v_lshlrev_b32_e32 v16, 2, v16
	ds_bpermute_b32 v22, v16, v14
	v_cmp_gt_u32_e32 vcc, 64, v0
	s_waitcnt lgkmcnt(0)
	; wave barrier
	s_waitcnt lgkmcnt(0)
	s_and_saveexec_b64 s[22:23], vcc
	s_cbranch_execz .LBB5458_82
; %bb.60:
	v_mov_b32_e32 v19, 0
	ds_read_u16 v23, v19
	s_mov_b32 s9, 0
	v_cmp_eq_u32_e64 s[4:5], 0, v15
	s_and_saveexec_b64 s[6:7], s[4:5]
	s_cbranch_execz .LBB5458_62
; %bb.61:
	s_add_i32 s8, s26, 64
	s_lshl_b64 s[8:9], s[8:9], 2
	s_add_u32 s8, s20, s8
	s_waitcnt lgkmcnt(0)
	v_or_b32_e32 v14, 0x10000, v23
	s_addc_u32 s9, s21, s9
	global_store_dword v19, v14, s[8:9]
.LBB5458_62:
	s_or_b64 exec, exec, s[6:7]
	v_xad_u32 v14, v15, -1, s26
	v_add_u32_e32 v18, 64, v14
	v_lshlrev_b64 v[16:17], 2, v[18:19]
	v_mov_b32_e32 v18, s21
	v_add_co_u32_e32 v16, vcc, s20, v16
	v_addc_co_u32_e32 v17, vcc, v18, v17, vcc
	global_load_dword v18, v[16:17], off glc
	s_waitcnt vmcnt(0)
	v_lshrrev_b32_e32 v27, 16, v18
	v_cmp_eq_u16_sdwa s[8:9], v27, v19 src0_sel:BYTE_0 src1_sel:DWORD
	s_and_saveexec_b64 s[6:7], s[8:9]
	s_cbranch_execz .LBB5458_68
; %bb.63:
	s_mov_b32 s27, 1
	s_mov_b64 s[8:9], 0
	v_mov_b32_e32 v19, 0
.LBB5458_64:                            ; =>This Loop Header: Depth=1
                                        ;     Child Loop BB5458_65 Depth 2
	s_max_u32 s28, s27, 1
.LBB5458_65:                            ;   Parent Loop BB5458_64 Depth=1
                                        ; =>  This Inner Loop Header: Depth=2
	s_add_i32 s28, s28, -1
	s_cmp_eq_u32 s28, 0
	s_sleep 1
	s_cbranch_scc0 .LBB5458_65
; %bb.66:                               ;   in Loop: Header=BB5458_64 Depth=1
	global_load_dword v18, v[16:17], off glc
	s_cmp_lt_u32 s27, 32
	s_cselect_b64 s[28:29], -1, 0
	s_cmp_lg_u64 s[28:29], 0
	s_addc_u32 s27, s27, 0
	s_waitcnt vmcnt(0)
	v_lshrrev_b32_e32 v27, 16, v18
	v_cmp_ne_u16_sdwa s[28:29], v27, v19 src0_sel:BYTE_0 src1_sel:DWORD
	s_or_b64 s[8:9], s[28:29], s[8:9]
	s_andn2_b64 exec, exec, s[8:9]
	s_cbranch_execnz .LBB5458_64
; %bb.67:
	s_or_b64 exec, exec, s[8:9]
.LBB5458_68:
	s_or_b64 exec, exec, s[6:7]
	v_and_b32_e32 v25, 63, v15
	v_cmp_ne_u32_e32 vcc, 63, v25
	v_mov_b32_e32 v24, 2
	v_addc_co_u32_e32 v26, vcc, 0, v15, vcc
	v_cmp_eq_u16_sdwa s[6:7], v27, v24 src0_sel:BYTE_0 src1_sel:DWORD
	v_lshlrev_b64 v[16:17], v15, -1
	v_and_b32_e32 v29, 0xffff, v18
	v_lshlrev_b32_e32 v26, 2, v26
	v_and_b32_e32 v19, s7, v17
	ds_bpermute_b32 v30, v26, v29
	v_or_b32_e32 v19, 0x80000000, v19
	v_and_b32_e32 v28, s6, v16
	v_ffbl_b32_e32 v19, v19
	v_add_u32_e32 v19, 32, v19
	v_ffbl_b32_e32 v28, v28
	v_cmp_gt_u32_e64 s[6:7], 62, v25
	v_min_u32_e32 v19, v28, v19
	v_cndmask_b32_e64 v28, 0, 1, s[6:7]
	s_waitcnt lgkmcnt(0)
	v_add_u16_e32 v30, v30, v18
	v_cmp_lt_u32_e32 vcc, v25, v19
	v_lshlrev_b32_e32 v28, 1, v28
	v_cndmask_b32_e32 v31, v29, v30, vcc
	v_add_lshl_u32 v28, v28, v15, 2
	ds_bpermute_b32 v32, v28, v31
	v_cmp_gt_u32_e64 s[8:9], 60, v25
	v_cndmask_b32_e32 v33, v18, v30, vcc
	v_add_u32_e32 v29, 2, v25
	v_cndmask_b32_e64 v30, 0, 1, s[8:9]
	s_waitcnt lgkmcnt(0)
	v_add_u16_e32 v32, v33, v32
	v_cmp_gt_u32_e64 s[6:7], v29, v19
	v_lshlrev_b32_e32 v30, 2, v30
	v_cndmask_b32_e64 v34, v32, v31, s[6:7]
	v_add_lshl_u32 v30, v30, v15, 2
	ds_bpermute_b32 v35, v30, v34
	v_cmp_gt_u32_e64 s[8:9], 56, v25
	v_cndmask_b32_e64 v33, v32, v33, s[6:7]
	v_add_u32_e32 v31, 4, v25
	v_cndmask_b32_e64 v32, 0, 1, s[8:9]
	s_waitcnt lgkmcnt(0)
	v_add_u16_e32 v35, v33, v35
	v_cmp_gt_u32_e64 s[6:7], v31, v19
	v_lshlrev_b32_e32 v32, 3, v32
	v_cndmask_b32_e64 v34, v35, v34, s[6:7]
	v_add_lshl_u32 v32, v32, v15, 2
	ds_bpermute_b32 v36, v32, v34
	v_cndmask_b32_e64 v35, v35, v33, s[6:7]
	v_add_u32_e32 v33, 8, v25
	v_cmp_gt_u32_e64 s[6:7], v33, v19
	v_cmp_gt_u32_e64 s[8:9], 48, v25
	s_waitcnt lgkmcnt(0)
	v_add_u16_e32 v36, v35, v36
	v_cndmask_b32_e64 v37, v36, v34, s[6:7]
	v_cndmask_b32_e64 v34, 0, 1, s[8:9]
	v_lshlrev_b32_e32 v34, 4, v34
	v_add_lshl_u32 v34, v34, v15, 2
	ds_bpermute_b32 v38, v34, v37
	v_cndmask_b32_e64 v36, v36, v35, s[6:7]
	v_add_u32_e32 v35, 16, v25
	v_cmp_gt_u32_e64 s[6:7], v35, v19
	v_cmp_gt_u32_e64 s[8:9], 32, v25
	s_waitcnt lgkmcnt(0)
	v_add_u16_e32 v39, v36, v38
	v_cndmask_b32_e64 v38, v39, v37, s[6:7]
	v_cndmask_b32_e64 v37, 0, 1, s[8:9]
	v_lshlrev_b32_e32 v37, 5, v37
	v_add_lshl_u32 v37, v37, v15, 2
	ds_bpermute_b32 v15, v37, v38
	v_add_u32_e32 v38, 32, v25
	v_cndmask_b32_e64 v36, v39, v36, s[6:7]
	v_cmp_le_u32_e64 s[6:7], v38, v19
	s_waitcnt lgkmcnt(0)
	v_cndmask_b32_e64 v15, 0, v15, s[6:7]
	v_add_u16_e32 v15, v36, v15
	v_cndmask_b32_e32 v18, v18, v15, vcc
	v_mov_b32_e32 v15, 0
	s_branch .LBB5458_70
.LBB5458_69:                            ;   in Loop: Header=BB5458_70 Depth=1
	s_or_b64 exec, exec, s[6:7]
	v_cmp_eq_u16_sdwa s[6:7], v27, v24 src0_sel:BYTE_0 src1_sel:DWORD
	v_and_b32_e32 v40, 0xffff, v39
	v_and_b32_e32 v18, s7, v17
	ds_bpermute_b32 v41, v26, v40
	v_or_b32_e32 v18, 0x80000000, v18
	v_and_b32_e32 v19, s6, v16
	v_ffbl_b32_e32 v18, v18
	v_add_u32_e32 v18, 32, v18
	v_ffbl_b32_e32 v19, v19
	v_min_u32_e32 v18, v19, v18
	s_waitcnt lgkmcnt(0)
	v_add_u16_e32 v19, v41, v39
	v_cmp_lt_u32_e32 vcc, v25, v18
	v_cndmask_b32_e32 v40, v40, v19, vcc
	ds_bpermute_b32 v41, v28, v40
	v_cndmask_b32_e32 v19, v39, v19, vcc
	v_cmp_gt_u32_e64 s[6:7], v29, v18
	v_subrev_u32_e32 v14, 64, v14
	s_waitcnt lgkmcnt(0)
	v_add_u16_e32 v41, v19, v41
	v_cndmask_b32_e64 v40, v41, v40, s[6:7]
	ds_bpermute_b32 v42, v30, v40
	v_cndmask_b32_e64 v19, v41, v19, s[6:7]
	v_cmp_gt_u32_e64 s[6:7], v31, v18
	s_waitcnt lgkmcnt(0)
	v_add_u16_e32 v41, v19, v42
	v_cndmask_b32_e64 v40, v41, v40, s[6:7]
	ds_bpermute_b32 v42, v32, v40
	v_cndmask_b32_e64 v19, v41, v19, s[6:7]
	v_cmp_gt_u32_e64 s[6:7], v33, v18
	;; [unrolled: 6-line block ×3, first 2 shown]
	s_waitcnt lgkmcnt(0)
	v_add_u16_e32 v41, v19, v42
	v_cndmask_b32_e64 v40, v41, v40, s[6:7]
	ds_bpermute_b32 v40, v37, v40
	v_cndmask_b32_e64 v19, v41, v19, s[6:7]
	v_cmp_le_u32_e64 s[6:7], v38, v18
	s_waitcnt lgkmcnt(0)
	v_cndmask_b32_e64 v18, 0, v40, s[6:7]
	v_add_u16_e32 v18, v19, v18
	v_cndmask_b32_e32 v18, v39, v18, vcc
	v_add_u16_e32 v18, v18, v36
.LBB5458_70:                            ; =>This Loop Header: Depth=1
                                        ;     Child Loop BB5458_73 Depth 2
                                        ;       Child Loop BB5458_74 Depth 3
	v_cmp_ne_u16_sdwa s[6:7], v27, v24 src0_sel:BYTE_0 src1_sel:DWORD
	v_cndmask_b32_e64 v19, 0, 1, s[6:7]
	;;#ASMSTART
	;;#ASMEND
	v_cmp_ne_u32_e32 vcc, 0, v19
	s_cmp_lg_u64 vcc, exec
	v_mov_b32_e32 v36, v18
	s_cbranch_scc1 .LBB5458_77
; %bb.71:                               ;   in Loop: Header=BB5458_70 Depth=1
	v_lshlrev_b64 v[18:19], 2, v[14:15]
	v_mov_b32_e32 v27, s21
	v_add_co_u32_e32 v18, vcc, s20, v18
	v_addc_co_u32_e32 v19, vcc, v27, v19, vcc
	global_load_dword v39, v[18:19], off glc
	s_waitcnt vmcnt(0)
	v_lshrrev_b32_e32 v27, 16, v39
	v_cmp_eq_u16_sdwa s[8:9], v27, v15 src0_sel:BYTE_0 src1_sel:DWORD
	s_and_saveexec_b64 s[6:7], s[8:9]
	s_cbranch_execz .LBB5458_69
; %bb.72:                               ;   in Loop: Header=BB5458_70 Depth=1
	s_mov_b32 s27, 1
	s_mov_b64 s[8:9], 0
.LBB5458_73:                            ;   Parent Loop BB5458_70 Depth=1
                                        ; =>  This Loop Header: Depth=2
                                        ;       Child Loop BB5458_74 Depth 3
	s_max_u32 s28, s27, 1
.LBB5458_74:                            ;   Parent Loop BB5458_70 Depth=1
                                        ;     Parent Loop BB5458_73 Depth=2
                                        ; =>    This Inner Loop Header: Depth=3
	s_add_i32 s28, s28, -1
	s_cmp_eq_u32 s28, 0
	s_sleep 1
	s_cbranch_scc0 .LBB5458_74
; %bb.75:                               ;   in Loop: Header=BB5458_73 Depth=2
	global_load_dword v39, v[18:19], off glc
	s_cmp_lt_u32 s27, 32
	s_cselect_b64 s[28:29], -1, 0
	s_cmp_lg_u64 s[28:29], 0
	s_addc_u32 s27, s27, 0
	s_waitcnt vmcnt(0)
	v_lshrrev_b32_e32 v27, 16, v39
	v_cmp_ne_u16_sdwa s[28:29], v27, v15 src0_sel:BYTE_0 src1_sel:DWORD
	s_or_b64 s[8:9], s[28:29], s[8:9]
	s_andn2_b64 exec, exec, s[8:9]
	s_cbranch_execnz .LBB5458_73
; %bb.76:                               ;   in Loop: Header=BB5458_70 Depth=1
	s_or_b64 exec, exec, s[8:9]
	s_branch .LBB5458_69
.LBB5458_77:                            ;   in Loop: Header=BB5458_70 Depth=1
                                        ; implicit-def: $vgpr18
                                        ; implicit-def: $vgpr27
	s_cbranch_execz .LBB5458_70
; %bb.78:
	s_and_saveexec_b64 s[6:7], s[4:5]
	s_cbranch_execz .LBB5458_80
; %bb.79:
	s_add_i32 s4, s26, 64
	s_mov_b32 s5, 0
	s_lshl_b64 s[4:5], s[4:5], 2
	v_add_u16_e32 v14, v36, v23
	s_add_u32 s4, s20, s4
	v_or_b32_e32 v14, 0x20000, v14
	s_addc_u32 s5, s21, s5
	v_mov_b32_e32 v15, 0
	global_store_dword v15, v14, s[4:5]
.LBB5458_80:
	s_or_b64 exec, exec, s[6:7]
	s_and_b64 exec, exec, s[2:3]
	s_cbranch_execz .LBB5458_82
; %bb.81:
	v_mov_b32_e32 v14, 0
	ds_write_b16 v14, v36
.LBB5458_82:
	s_or_b64 exec, exec, s[22:23]
	v_mov_b32_e32 v14, 0
	s_waitcnt lgkmcnt(0)
	; wave barrier
	s_waitcnt lgkmcnt(0)
	ds_read_u16 v14, v14
	v_cndmask_b32_e64 v15, v22, 0, s[2:3]
	v_add_u16_e32 v15, v15, v10
	s_waitcnt lgkmcnt(0)
	v_add_u16_e32 v14, v15, v14
	v_add_u16_sdwa v15, v14, v10 dst_sel:DWORD dst_unused:UNUSED_PAD src0_sel:DWORD src1_sel:WORD_1
	v_add_u16_e32 v16, v15, v11
	v_add_u16_sdwa v17, v16, v11 dst_sel:DWORD dst_unused:UNUSED_PAD src0_sel:DWORD src1_sel:WORD_1
	;; [unrolled: 2-line block ×12, first 2 shown]
	s_branch .LBB5458_93
.LBB5458_83:
                                        ; implicit-def: $vgpr14
                                        ; implicit-def: $vgpr15
                                        ; implicit-def: $vgpr16
                                        ; implicit-def: $vgpr17
                                        ; implicit-def: $vgpr18
                                        ; implicit-def: $vgpr19
                                        ; implicit-def: $vgpr23
                                        ; implicit-def: $vgpr25
                                        ; implicit-def: $vgpr22
                                        ; implicit-def: $vgpr24
                                        ; implicit-def: $vgpr26
                                        ; implicit-def: $vgpr27
                                        ; implicit-def: $vgpr28
                                        ; implicit-def: $vgpr29
                                        ; implicit-def: $vgpr31
                                        ; implicit-def: $vgpr33
                                        ; implicit-def: $vgpr30
                                        ; implicit-def: $vgpr32
                                        ; implicit-def: $vgpr34
                                        ; implicit-def: $vgpr35
                                        ; implicit-def: $vgpr36
                                        ; implicit-def: $vgpr37
                                        ; implicit-def: $vgpr38
                                        ; implicit-def: $vgpr39
	s_cbranch_execz .LBB5458_93
; %bb.84:
	s_cmp_lg_u64 s[16:17], 0
	s_cselect_b64 s[4:5], -1, 0
	s_and_b64 s[4:5], s[2:3], s[4:5]
	v_mov_b32_e32 v14, v10
	s_and_saveexec_b64 s[2:3], s[4:5]
	s_cbranch_execz .LBB5458_86
; %bb.85:
	v_mov_b32_e32 v14, 0
	global_load_ushort v14, v14, s[12:13]
	s_waitcnt vmcnt(0)
	v_add_u16_e32 v14, v14, v10
.LBB5458_86:
	s_or_b64 exec, exec, s[2:3]
	v_add_u16_sdwa v15, v14, v10 dst_sel:DWORD dst_unused:UNUSED_PAD src0_sel:DWORD src1_sel:WORD_1
	v_add_u16_e32 v16, v15, v11
	v_add_u16_sdwa v17, v16, v11 dst_sel:DWORD dst_unused:UNUSED_PAD src0_sel:DWORD src1_sel:WORD_1
	v_add_u16_e32 v18, v17, v12
	;; [unrolled: 2-line block ×11, first 2 shown]
	v_mbcnt_hi_u32_b32 v21, -1, v21
	v_add_u16_sdwa v39, v38, v5 dst_sel:DWORD dst_unused:UNUSED_PAD src0_sel:DWORD src1_sel:WORD_1
	v_and_b32_e32 v40, 15, v21
	v_cmp_ne_u32_e32 vcc, 0, v40
	v_mov_b32_dpp v41, v39 row_shr:1 row_mask:0xf bank_mask:0xf
	v_cndmask_b32_e32 v41, 0, v41, vcc
	v_add_u16_e32 v41, v39, v41
	v_cmp_lt_u32_e32 vcc, 1, v40
	s_nop 0
	v_mov_b32_dpp v42, v41 row_shr:2 row_mask:0xf bank_mask:0xf
	v_cndmask_b32_e32 v42, 0, v42, vcc
	v_add_u16_e32 v41, v41, v42
	v_cmp_lt_u32_e32 vcc, 3, v40
	s_nop 0
	v_mov_b32_dpp v42, v41 row_shr:4 row_mask:0xf bank_mask:0xf
	v_cndmask_b32_e32 v42, 0, v42, vcc
	v_add_u16_e32 v41, v41, v42
	v_cmp_lt_u32_e32 vcc, 7, v40
	s_nop 0
	v_mov_b32_dpp v42, v41 row_shr:8 row_mask:0xf bank_mask:0xf
	v_cndmask_b32_e32 v40, 0, v42, vcc
	v_add_u16_e32 v40, v41, v40
	v_and_b32_e32 v42, 16, v21
	v_cmp_ne_u32_e32 vcc, 0, v42
	v_mov_b32_dpp v41, v40 row_bcast:15 row_mask:0xf bank_mask:0xf
	v_cndmask_b32_e32 v41, 0, v41, vcc
	v_add_u16_e32 v40, v40, v41
	v_cmp_lt_u32_e32 vcc, 31, v21
	s_nop 0
	v_mov_b32_dpp v41, v40 row_bcast:31 row_mask:0xf bank_mask:0xf
	v_cndmask_b32_e32 v41, 0, v41, vcc
	v_add_u16_e32 v40, v40, v41
	v_cmp_eq_u32_e32 vcc, 63, v0
	s_and_saveexec_b64 s[2:3], vcc
	s_cbranch_execz .LBB5458_88
; %bb.87:
	v_mov_b32_e32 v41, 0
	ds_write_b16 v41, v40
.LBB5458_88:
	s_or_b64 exec, exec, s[2:3]
	v_add_u32_e32 v41, -1, v21
	v_and_b32_e32 v42, 64, v21
	v_cmp_lt_i32_e64 s[2:3], v41, v42
	v_cndmask_b32_e64 v21, v41, v21, s[2:3]
	v_lshlrev_b32_e32 v21, 2, v21
	ds_bpermute_b32 v21, v21, v40
	s_waitcnt lgkmcnt(0)
	; wave barrier
	s_waitcnt lgkmcnt(0)
	s_and_saveexec_b64 s[2:3], s[0:1]
	s_cbranch_execz .LBB5458_90
; %bb.89:
	v_add_u16_e32 v14, v14, v21
	v_add_u16_sdwa v15, v14, v10 dst_sel:DWORD dst_unused:UNUSED_PAD src0_sel:DWORD src1_sel:WORD_1
	v_add_u16_e32 v16, v15, v11
	v_add_u16_sdwa v17, v16, v11 dst_sel:DWORD dst_unused:UNUSED_PAD src0_sel:DWORD src1_sel:WORD_1
	v_add_u16_e32 v18, v17, v12
	v_add_u16_sdwa v19, v18, v12 dst_sel:DWORD dst_unused:UNUSED_PAD src0_sel:DWORD src1_sel:WORD_1
	v_add_u16_e32 v23, v19, v13
	v_add_u16_sdwa v25, v23, v13 dst_sel:DWORD dst_unused:UNUSED_PAD src0_sel:DWORD src1_sel:WORD_1
	v_add_u16_e32 v22, v25, v6
	v_add_u16_sdwa v24, v22, v6 dst_sel:DWORD dst_unused:UNUSED_PAD src0_sel:DWORD src1_sel:WORD_1
	v_add_u16_e32 v26, v24, v7
	v_add_u16_sdwa v27, v26, v7 dst_sel:DWORD dst_unused:UNUSED_PAD src0_sel:DWORD src1_sel:WORD_1
	v_add_u16_e32 v28, v27, v8
	v_add_u16_sdwa v29, v28, v8 dst_sel:DWORD dst_unused:UNUSED_PAD src0_sel:DWORD src1_sel:WORD_1
	v_add_u16_e32 v31, v29, v9
	v_add_u16_sdwa v33, v31, v9 dst_sel:DWORD dst_unused:UNUSED_PAD src0_sel:DWORD src1_sel:WORD_1
	v_add_u16_e32 v30, v33, v2
	v_add_u16_sdwa v32, v30, v2 dst_sel:DWORD dst_unused:UNUSED_PAD src0_sel:DWORD src1_sel:WORD_1
	v_add_u16_e32 v34, v32, v3
	v_add_u16_sdwa v35, v34, v3 dst_sel:DWORD dst_unused:UNUSED_PAD src0_sel:DWORD src1_sel:WORD_1
	v_add_u16_e32 v36, v35, v4
	v_add_u16_sdwa v37, v36, v4 dst_sel:DWORD dst_unused:UNUSED_PAD src0_sel:DWORD src1_sel:WORD_1
	v_add_u16_e32 v38, v37, v5
	v_add_u16_sdwa v39, v38, v5 dst_sel:DWORD dst_unused:UNUSED_PAD src0_sel:DWORD src1_sel:WORD_1
	;;#ASMSTART
	;;#ASMEND
.LBB5458_90:
	s_or_b64 exec, exec, s[2:3]
	s_and_saveexec_b64 s[0:1], vcc
	s_cbranch_execz .LBB5458_92
; %bb.91:
	s_mov_b32 s2, 0x20000
	v_mov_b32_e32 v2, 0
	v_or_b32_sdwa v3, v39, s2 dst_sel:DWORD dst_unused:UNUSED_PAD src0_sel:WORD_0 src1_sel:DWORD
	global_store_dword v2, v3, s[20:21] offset:256
.LBB5458_92:
	s_or_b64 exec, exec, s[0:1]
.LBB5458_93:
	s_mov_b32 s0, 0x5040100
	v_perm_b32 v5, v25, v23, s0
	v_perm_b32 v4, v19, v18, s0
	;; [unrolled: 1-line block ×4, first 2 shown]
	s_waitcnt lgkmcnt(0)
	; wave barrier
	ds_write_b128 v1, v[2:5]
	v_perm_b32 v5, v33, v31, s0
	v_perm_b32 v4, v29, v28, s0
	;; [unrolled: 1-line block ×4, first 2 shown]
	ds_write_b128 v1, v[2:5] offset:16
	v_perm_b32 v5, v39, v38, s0
	v_perm_b32 v4, v37, v36, s0
	;; [unrolled: 1-line block ×4, first 2 shown]
	s_mov_b64 s[0:1], -1
	s_and_b64 vcc, exec, s[10:11]
	ds_write_b128 v1, v[2:5] offset:32
	s_waitcnt lgkmcnt(0)
	s_cbranch_vccz .LBB5458_95
; %bb.94:
	; wave barrier
	s_mov_b64 s[0:1], 0
.LBB5458_95:
	s_andn2_b64 vcc, exec, s[0:1]
	s_cbranch_vccnz .LBB5458_104
; %bb.96:
	v_cmp_lt_u64_e64 s[0:1], s[18:19], 2
	s_and_b64 vcc, exec, s[0:1]
	; wave barrier
	s_cbranch_vccnz .LBB5458_104
; %bb.97:
	s_add_u32 s0, s24, -1
	s_addc_u32 s1, s25, -1
	s_add_u32 s2, 0, 0xaaaa0000
	s_addc_u32 s3, 0, 42
	s_add_i32 s3, s3, 0xaaaaa80
	s_mul_hi_u32 s7, s2, 0xffffffe8
	s_sub_i32 s7, s7, s2
	s_mul_i32 s8, s3, 0xffffffe8
	s_mul_i32 s4, s2, 0xffffffe8
	s_add_i32 s7, s7, s8
	s_mul_hi_u32 s5, s3, s4
	s_mul_i32 s6, s3, s4
	s_mul_i32 s9, s2, s7
	s_mul_hi_u32 s4, s2, s4
	s_mul_hi_u32 s8, s2, s7
	s_add_u32 s4, s4, s9
	s_addc_u32 s8, 0, s8
	s_add_u32 s4, s4, s6
	s_mul_hi_u32 s9, s3, s7
	s_addc_u32 s4, s8, s5
	s_addc_u32 s5, s9, 0
	s_mul_i32 s6, s3, s7
	s_add_u32 s4, s4, s6
	v_mov_b32_e32 v2, s4
	s_addc_u32 s5, 0, s5
	v_add_co_u32_e32 v2, vcc, s2, v2
	s_cmp_lg_u64 vcc, 0
	s_addc_u32 s2, s3, s5
	v_readfirstlane_b32 s5, v2
	s_mul_i32 s4, s0, s2
	s_mul_hi_u32 s6, s0, s5
	s_mul_hi_u32 s3, s0, s2
	s_add_u32 s4, s6, s4
	s_addc_u32 s3, 0, s3
	s_mul_hi_u32 s7, s1, s5
	s_mul_i32 s5, s1, s5
	s_add_u32 s4, s4, s5
	s_mul_hi_u32 s6, s1, s2
	s_addc_u32 s3, s3, s7
	s_addc_u32 s4, s6, 0
	s_mul_i32 s2, s1, s2
	s_add_u32 s2, s3, s2
	s_addc_u32 s3, 0, s4
	s_add_u32 s4, s2, 1
	s_addc_u32 s5, s3, 0
	s_add_u32 s6, s2, 2
	s_mul_i32 s8, s3, 24
	s_mul_hi_u32 s9, s2, 24
	s_addc_u32 s7, s3, 0
	s_add_i32 s9, s9, s8
	s_mul_i32 s8, s2, 24
	v_mov_b32_e32 v2, s8
	v_sub_co_u32_e32 v2, vcc, s0, v2
	s_cmp_lg_u64 vcc, 0
	s_subb_u32 s8, s1, s9
	v_subrev_co_u32_e32 v3, vcc, 24, v2
	s_cmp_lg_u64 vcc, 0
	s_subb_u32 s9, s8, 0
	v_readfirstlane_b32 s10, v3
	s_cmp_gt_u32 s10, 23
	s_cselect_b32 s10, -1, 0
	s_cmp_eq_u32 s9, 0
	s_cselect_b32 s9, s10, -1
	s_cmp_lg_u32 s9, 0
	s_cselect_b32 s4, s6, s4
	v_readfirstlane_b32 s6, v2
	s_cselect_b32 s5, s7, s5
	s_cmp_gt_u32 s6, 23
	s_cselect_b32 s6, -1, 0
	s_cmp_eq_u32 s8, 0
	s_cselect_b32 s6, s6, -1
	s_cmp_lg_u32 s6, 0
	v_mov_b32_e32 v1, 0
	s_cselect_b32 s3, s5, s3
	s_cselect_b32 s2, s4, s2
	v_cmp_eq_u64_e32 vcc, s[2:3], v[0:1]
	s_and_saveexec_b64 s[2:3], vcc
	s_cbranch_execz .LBB5458_104
; %bb.98:
	v_lshlrev_b32_e32 v2, 1, v0
	v_mul_hi_u32_u24_e32 v1, 24, v0
	v_mov_b32_e32 v3, s1
	v_sub_co_u32_e32 v0, vcc, s0, v20
	v_subb_co_u32_e32 v1, vcc, v3, v1, vcc
	v_cmp_lt_i64_e32 vcc, 11, v[0:1]
	s_mov_b64 s[0:1], 0
	s_mov_b64 s[8:9], 0
	;; [unrolled: 1-line block ×4, first 2 shown]
                                        ; implicit-def: $vgpr3
                                        ; implicit-def: $vgpr4
                                        ; implicit-def: $vgpr5
	s_and_saveexec_b64 s[2:3], vcc
	s_xor_b64 s[2:3], exec, s[2:3]
	s_cbranch_execnz .LBB5458_105
; %bb.99:
	s_andn2_saveexec_b64 s[2:3], s[2:3]
	s_cbranch_execnz .LBB5458_150
.LBB5458_100:
	s_or_b64 exec, exec, s[2:3]
	s_and_saveexec_b64 s[2:3], s[8:9]
	s_cbranch_execnz .LBB5458_167
.LBB5458_101:
	s_or_b64 exec, exec, s[2:3]
	s_and_saveexec_b64 s[2:3], s[6:7]
	s_cbranch_execnz .LBB5458_168
.LBB5458_102:
	s_or_b64 exec, exec, s[2:3]
	s_and_saveexec_b64 s[2:3], s[4:5]
	s_xor_b64 s[2:3], exec, s[2:3]
	s_cbranch_execnz .LBB5458_169
.LBB5458_103:
	s_or_b64 exec, exec, s[2:3]
	s_and_b64 exec, exec, s[0:1]
	s_cbranch_execnz .LBB5458_170
.LBB5458_104:
	s_endpgm
.LBB5458_105:
	v_cmp_lt_i64_e32 vcc, 17, v[0:1]
                                        ; implicit-def: $vgpr3
                                        ; implicit-def: $vgpr4
                                        ; implicit-def: $vgpr5
	s_and_saveexec_b64 s[10:11], vcc
	s_xor_b64 s[10:11], exec, s[10:11]
	s_cbranch_execz .LBB5458_127
; %bb.106:
	v_cmp_lt_i64_e32 vcc, 20, v[0:1]
                                        ; implicit-def: $vgpr3
                                        ; implicit-def: $vgpr4
	s_and_saveexec_b64 s[12:13], vcc
	s_xor_b64 s[12:13], exec, s[12:13]
	s_cbranch_execz .LBB5458_116
; %bb.107:
	v_cmp_lt_i64_e32 vcc, 21, v[0:1]
	s_mov_b64 s[16:17], 0
                                        ; implicit-def: $vgpr3
	s_and_saveexec_b64 s[4:5], vcc
	s_xor_b64 s[4:5], exec, s[4:5]
	s_cbranch_execz .LBB5458_113
; %bb.108:
	v_cmp_lt_i64_e32 vcc, 22, v[0:1]
	s_and_saveexec_b64 s[16:17], vcc
	s_xor_b64 s[16:17], exec, s[16:17]
	s_cbranch_execz .LBB5458_110
; %bb.109:
	ds_read_u16 v3, v2 offset:2944
	v_mov_b32_e32 v4, 0
	s_waitcnt lgkmcnt(0)
	global_store_short v4, v3, s[14:15]
.LBB5458_110:
	s_or_saveexec_b64 s[16:17], s[16:17]
	s_mov_b64 s[18:19], 0
                                        ; implicit-def: $vgpr3
	s_xor_b64 exec, exec, s[16:17]
	s_cbranch_execz .LBB5458_112
; %bb.111:
	ds_read_u16 v3, v2 offset:2816
	s_mov_b64 s[18:19], exec
.LBB5458_112:
	s_or_b64 exec, exec, s[16:17]
	s_and_b64 s[16:17], s[18:19], exec
.LBB5458_113:
	s_or_saveexec_b64 s[4:5], s[4:5]
                                        ; implicit-def: $vgpr4
	s_xor_b64 exec, exec, s[4:5]
	s_cbranch_execz .LBB5458_115
; %bb.114:
	ds_read_u16 v4, v2 offset:2688
	s_mov_b64 s[6:7], exec
                                        ; implicit-def: $vgpr3
.LBB5458_115:
	s_or_b64 exec, exec, s[4:5]
	s_and_b64 s[4:5], s[16:17], exec
	s_and_b64 s[6:7], s[6:7], exec
.LBB5458_116:
	s_or_saveexec_b64 s[12:13], s[12:13]
                                        ; implicit-def: $vgpr5
	s_xor_b64 exec, exec, s[12:13]
	s_cbranch_execz .LBB5458_126
; %bb.117:
	v_cmp_lt_i64_e32 vcc, 18, v[0:1]
	s_mov_b64 s[16:17], 0
                                        ; implicit-def: $vgpr5
	s_and_saveexec_b64 s[8:9], vcc
	s_xor_b64 s[8:9], exec, s[8:9]
	s_cbranch_execz .LBB5458_123
; %bb.118:
	v_cmp_lt_i64_e32 vcc, 19, v[0:1]
                                        ; implicit-def: $vgpr5
	s_and_saveexec_b64 s[18:19], vcc
	s_xor_b64 s[18:19], exec, s[18:19]
	s_cbranch_execz .LBB5458_120
; %bb.119:
	ds_read_u16 v5, v2 offset:2560
	s_mov_b64 s[16:17], exec
.LBB5458_120:
	s_andn2_saveexec_b64 s[18:19], s[18:19]
	s_cbranch_execz .LBB5458_122
; %bb.121:
	s_waitcnt lgkmcnt(0)
	ds_read_u16 v3, v2 offset:2432
	v_mov_b32_e32 v4, 0
                                        ; implicit-def: $vgpr5
	s_waitcnt lgkmcnt(0)
	global_store_short v4, v3, s[14:15]
.LBB5458_122:
	s_or_b64 exec, exec, s[18:19]
	s_and_b64 s[16:17], s[16:17], exec
.LBB5458_123:
	s_andn2_saveexec_b64 s[8:9], s[8:9]
	s_cbranch_execz .LBB5458_125
; %bb.124:
	s_waitcnt lgkmcnt(0)
	ds_read_u16 v3, v2 offset:2304
	v_mov_b32_e32 v4, 0
                                        ; implicit-def: $vgpr5
	s_waitcnt lgkmcnt(0)
	global_store_short v4, v3, s[14:15]
.LBB5458_125:
	s_or_b64 exec, exec, s[8:9]
	s_and_b64 s[8:9], s[16:17], exec
                                        ; implicit-def: $vgpr3
                                        ; implicit-def: $vgpr4
.LBB5458_126:
	s_or_b64 exec, exec, s[12:13]
	s_and_b64 s[4:5], s[4:5], exec
	s_and_b64 s[6:7], s[6:7], exec
	;; [unrolled: 1-line block ×3, first 2 shown]
.LBB5458_127:
	s_andn2_saveexec_b64 s[10:11], s[10:11]
	s_cbranch_execz .LBB5458_149
; %bb.128:
	v_cmp_lt_i64_e32 vcc, 14, v[0:1]
	s_mov_b64 s[12:13], s[4:5]
                                        ; implicit-def: $vgpr3
	s_and_saveexec_b64 s[16:17], vcc
	s_xor_b64 s[16:17], exec, s[16:17]
	s_cbranch_execz .LBB5458_138
; %bb.129:
	v_cmp_lt_i64_e32 vcc, 15, v[0:1]
	s_and_saveexec_b64 s[12:13], vcc
	s_xor_b64 s[12:13], exec, s[12:13]
	s_cbranch_execz .LBB5458_135
; %bb.130:
	v_cmp_lt_i64_e32 vcc, 16, v[0:1]
	s_and_saveexec_b64 s[18:19], vcc
	s_xor_b64 s[18:19], exec, s[18:19]
	s_cbranch_execz .LBB5458_132
; %bb.131:
	s_waitcnt lgkmcnt(0)
	ds_read_u16 v3, v2 offset:2176
	v_mov_b32_e32 v4, 0
	s_waitcnt lgkmcnt(0)
	global_store_short v4, v3, s[14:15]
.LBB5458_132:
	s_andn2_saveexec_b64 s[18:19], s[18:19]
	s_cbranch_execz .LBB5458_134
; %bb.133:
	s_waitcnt lgkmcnt(0)
	ds_read_u16 v3, v2 offset:2048
	v_mov_b32_e32 v4, 0
	s_waitcnt lgkmcnt(0)
	global_store_short v4, v3, s[14:15]
.LBB5458_134:
	s_or_b64 exec, exec, s[18:19]
.LBB5458_135:
	s_or_saveexec_b64 s[12:13], s[12:13]
	s_mov_b64 s[18:19], s[4:5]
                                        ; implicit-def: $vgpr3
	s_xor_b64 exec, exec, s[12:13]
	s_cbranch_execz .LBB5458_137
; %bb.136:
	s_waitcnt lgkmcnt(0)
	ds_read_u16 v3, v2 offset:1920
	s_or_b64 s[18:19], s[4:5], exec
.LBB5458_137:
	s_or_b64 exec, exec, s[12:13]
	s_andn2_b64 s[12:13], s[4:5], exec
	s_and_b64 s[18:19], s[18:19], exec
	s_or_b64 s[12:13], s[12:13], s[18:19]
.LBB5458_138:
	s_or_saveexec_b64 s[16:17], s[16:17]
	s_mov_b64 s[18:19], s[6:7]
                                        ; implicit-def: $vgpr4
	s_xor_b64 exec, exec, s[16:17]
	s_cbranch_execz .LBB5458_148
; %bb.139:
	v_cmp_lt_i64_e32 vcc, 12, v[0:1]
	s_mov_b64 s[20:21], s[6:7]
	s_mov_b64 s[22:23], s[12:13]
                                        ; implicit-def: $vgpr3
                                        ; implicit-def: $vgpr4
	s_and_saveexec_b64 s[18:19], vcc
	s_xor_b64 s[18:19], exec, s[18:19]
	s_cbranch_execz .LBB5458_145
; %bb.140:
	v_cmp_lt_i64_e32 vcc, 13, v[0:1]
	s_mov_b64 s[20:21], s[12:13]
                                        ; implicit-def: $vgpr3
	s_and_saveexec_b64 s[22:23], vcc
	s_xor_b64 s[22:23], exec, s[22:23]
	s_cbranch_execz .LBB5458_142
; %bb.141:
	s_waitcnt lgkmcnt(0)
	ds_read_u16 v3, v2 offset:1792
	s_or_b64 s[20:21], s[12:13], exec
.LBB5458_142:
	s_or_saveexec_b64 s[22:23], s[22:23]
	s_mov_b64 s[24:25], s[6:7]
                                        ; implicit-def: $vgpr4
	s_xor_b64 exec, exec, s[22:23]
	s_cbranch_execz .LBB5458_144
; %bb.143:
	s_waitcnt lgkmcnt(0)
	ds_read_u16 v4, v2 offset:1664
	s_or_b64 s[24:25], s[6:7], exec
                                        ; implicit-def: $vgpr3
.LBB5458_144:
	s_or_b64 exec, exec, s[22:23]
	s_andn2_b64 s[22:23], s[12:13], exec
	s_and_b64 s[20:21], s[20:21], exec
	s_or_b64 s[22:23], s[22:23], s[20:21]
	s_andn2_b64 s[20:21], s[6:7], exec
	s_and_b64 s[24:25], s[24:25], exec
	s_or_b64 s[20:21], s[20:21], s[24:25]
.LBB5458_145:
	s_andn2_saveexec_b64 s[18:19], s[18:19]
	s_cbranch_execz .LBB5458_147
; %bb.146:
	s_waitcnt lgkmcnt(0)
	ds_read_u16 v4, v2 offset:1536
	s_or_b64 s[20:21], s[20:21], exec
                                        ; implicit-def: $vgpr3
.LBB5458_147:
	s_or_b64 exec, exec, s[18:19]
	s_andn2_b64 s[12:13], s[12:13], exec
	s_and_b64 s[18:19], s[22:23], exec
	s_or_b64 s[12:13], s[12:13], s[18:19]
	s_andn2_b64 s[18:19], s[6:7], exec
	s_and_b64 s[20:21], s[20:21], exec
	s_or_b64 s[18:19], s[18:19], s[20:21]
.LBB5458_148:
	s_or_b64 exec, exec, s[16:17]
	s_andn2_b64 s[4:5], s[4:5], exec
	s_and_b64 s[12:13], s[12:13], exec
	s_or_b64 s[4:5], s[4:5], s[12:13]
	s_andn2_b64 s[6:7], s[6:7], exec
	s_and_b64 s[12:13], s[18:19], exec
	s_or_b64 s[6:7], s[6:7], s[12:13]
                                        ; implicit-def: $vgpr5
.LBB5458_149:
	s_or_b64 exec, exec, s[10:11]
	s_and_b64 s[4:5], s[4:5], exec
	s_and_b64 s[6:7], s[6:7], exec
	;; [unrolled: 1-line block ×3, first 2 shown]
	s_andn2_saveexec_b64 s[2:3], s[2:3]
	s_cbranch_execz .LBB5458_100
.LBB5458_150:
	v_cmp_lt_i64_e32 vcc, 5, v[0:1]
	s_mov_b64 s[12:13], -1
	s_mov_b64 s[10:11], s[8:9]
	s_mov_b64 s[16:17], s[6:7]
	;; [unrolled: 1-line block ×3, first 2 shown]
                                        ; implicit-def: $vgpr3
                                        ; implicit-def: $vgpr4
                                        ; implicit-def: $vgpr5
	s_and_saveexec_b64 s[0:1], vcc
	s_cbranch_execz .LBB5458_166
; %bb.151:
	v_cmp_lt_i64_e32 vcc, 8, v[0:1]
	s_mov_b64 s[10:11], s[8:9]
                                        ; implicit-def: $vgpr5
	s_and_saveexec_b64 s[12:13], vcc
	s_xor_b64 s[12:13], exec, s[12:13]
	s_cbranch_execz .LBB5458_161
; %bb.152:
	v_cmp_lt_i64_e32 vcc, 9, v[0:1]
                                        ; implicit-def: $vgpr5
	s_and_saveexec_b64 s[10:11], vcc
	s_xor_b64 s[10:11], exec, s[10:11]
	s_cbranch_execz .LBB5458_158
; %bb.153:
	v_cmp_lt_i64_e32 vcc, 10, v[0:1]
                                        ; implicit-def: $vgpr5
	s_and_saveexec_b64 s[16:17], vcc
	s_xor_b64 s[16:17], exec, s[16:17]
	s_cbranch_execz .LBB5458_155
; %bb.154:
	s_waitcnt lgkmcnt(0)
	ds_read_u16 v5, v2 offset:1408
.LBB5458_155:
	s_andn2_saveexec_b64 s[16:17], s[16:17]
	s_cbranch_execz .LBB5458_157
; %bb.156:
	s_waitcnt lgkmcnt(0)
	ds_read_u16 v5, v2 offset:1280
.LBB5458_157:
	s_or_b64 exec, exec, s[16:17]
.LBB5458_158:
	s_andn2_saveexec_b64 s[10:11], s[10:11]
	s_cbranch_execz .LBB5458_160
; %bb.159:
	s_waitcnt lgkmcnt(0)
	ds_read_u16 v5, v2 offset:1152
.LBB5458_160:
	s_or_b64 exec, exec, s[10:11]
	s_or_b64 s[10:11], s[8:9], exec
.LBB5458_161:
	s_or_saveexec_b64 s[12:13], s[12:13]
	s_mov_b64 s[16:17], s[6:7]
	s_mov_b64 s[20:21], s[4:5]
                                        ; implicit-def: $vgpr3
                                        ; implicit-def: $vgpr4
	s_xor_b64 exec, exec, s[12:13]
	s_cbranch_execz .LBB5458_165
; %bb.162:
	s_waitcnt lgkmcnt(0)
	ds_read_u16 v3, v2 offset:768
	v_cmp_lt_i64_e32 vcc, 6, v[0:1]
	s_mov_b64 s[20:21], -1
	s_mov_b64 s[18:19], s[10:11]
	s_mov_b64 s[16:17], s[6:7]
                                        ; implicit-def: $vgpr4
                                        ; implicit-def: $vgpr5
	s_and_saveexec_b64 s[22:23], vcc
	s_cbranch_execz .LBB5458_164
; %bb.163:
	ds_read_u16 v4, v2 offset:896
	ds_read_u16 v5, v2 offset:1024
	v_cmp_lt_i64_e32 vcc, 7, v[0:1]
	s_andn2_b64 s[18:19], s[10:11], exec
	s_and_b64 s[24:25], vcc, exec
	s_xor_b64 s[20:21], exec, -1
	s_or_b64 s[16:17], s[6:7], exec
	s_or_b64 s[18:19], s[18:19], s[24:25]
                                        ; implicit-def: $vgpr3
.LBB5458_164:
	s_or_b64 exec, exec, s[22:23]
	s_andn2_b64 s[22:23], s[4:5], exec
	s_and_b64 s[20:21], s[20:21], exec
	s_or_b64 s[20:21], s[22:23], s[20:21]
	s_andn2_b64 s[22:23], s[6:7], exec
	s_and_b64 s[16:17], s[16:17], exec
	s_andn2_b64 s[10:11], s[10:11], exec
	s_and_b64 s[18:19], s[18:19], exec
	s_or_b64 s[16:17], s[22:23], s[16:17]
	s_or_b64 s[10:11], s[10:11], s[18:19]
.LBB5458_165:
	s_or_b64 exec, exec, s[12:13]
	s_andn2_b64 s[18:19], s[4:5], exec
	s_and_b64 s[20:21], s[20:21], exec
	s_or_b64 s[18:19], s[18:19], s[20:21]
	s_andn2_b64 s[20:21], s[6:7], exec
	s_and_b64 s[16:17], s[16:17], exec
	s_or_b64 s[16:17], s[20:21], s[16:17]
	s_andn2_b64 s[20:21], s[8:9], exec
	s_and_b64 s[10:11], s[10:11], exec
	s_xor_b64 s[12:13], exec, -1
	s_or_b64 s[10:11], s[20:21], s[10:11]
.LBB5458_166:
	s_or_b64 exec, exec, s[0:1]
	s_and_b64 s[0:1], s[12:13], exec
	s_andn2_b64 s[4:5], s[4:5], exec
	s_and_b64 s[12:13], s[18:19], exec
	s_or_b64 s[4:5], s[4:5], s[12:13]
	s_andn2_b64 s[6:7], s[6:7], exec
	s_and_b64 s[12:13], s[16:17], exec
	s_andn2_b64 s[8:9], s[8:9], exec
	s_and_b64 s[10:11], s[10:11], exec
	s_or_b64 s[6:7], s[6:7], s[12:13]
	s_or_b64 s[8:9], s[8:9], s[10:11]
	s_or_b64 exec, exec, s[2:3]
	s_and_saveexec_b64 s[2:3], s[8:9]
	s_cbranch_execz .LBB5458_101
.LBB5458_167:
	s_waitcnt lgkmcnt(0)
	v_mov_b32_e32 v3, 0
	s_andn2_b64 s[6:7], s[6:7], exec
	global_store_short v3, v5, s[14:15]
                                        ; implicit-def: $vgpr3
                                        ; implicit-def: $vgpr4
	s_or_b64 exec, exec, s[2:3]
	s_and_saveexec_b64 s[2:3], s[6:7]
	s_cbranch_execz .LBB5458_102
.LBB5458_168:
	s_waitcnt lgkmcnt(0)
	v_mov_b32_e32 v3, 0
	global_store_short v3, v4, s[14:15]
                                        ; implicit-def: $vgpr3
	s_or_b64 exec, exec, s[2:3]
	s_and_saveexec_b64 s[2:3], s[4:5]
	s_xor_b64 s[2:3], exec, s[2:3]
	s_cbranch_execz .LBB5458_103
.LBB5458_169:
	s_waitcnt lgkmcnt(0)
	v_mov_b32_e32 v4, 0
	global_store_short v4, v3, s[14:15]
	s_or_b64 exec, exec, s[2:3]
	s_and_b64 exec, exec, s[0:1]
	s_cbranch_execz .LBB5458_104
.LBB5458_170:
	v_cmp_lt_i64_e32 vcc, 2, v[0:1]
	s_and_saveexec_b64 s[0:1], vcc
	s_xor_b64 s[0:1], exec, s[0:1]
	s_cbranch_execz .LBB5458_180
; %bb.171:
	v_cmp_lt_i64_e32 vcc, 3, v[0:1]
	s_and_saveexec_b64 s[2:3], vcc
	s_xor_b64 s[2:3], exec, s[2:3]
	s_cbranch_execz .LBB5458_177
; %bb.172:
	;; [unrolled: 5-line block ×3, first 2 shown]
	ds_read_u16 v0, v2 offset:640
	v_mov_b32_e32 v1, 0
                                        ; implicit-def: $vgpr2
	s_waitcnt lgkmcnt(0)
	global_store_short v1, v0, s[14:15]
.LBB5458_174:
	s_andn2_saveexec_b64 s[4:5], s[4:5]
	s_cbranch_execz .LBB5458_176
; %bb.175:
	ds_read_u16 v0, v2 offset:512
	v_mov_b32_e32 v1, 0
	s_waitcnt lgkmcnt(0)
	global_store_short v1, v0, s[14:15]
.LBB5458_176:
	s_or_b64 exec, exec, s[4:5]
                                        ; implicit-def: $vgpr2
.LBB5458_177:
	s_andn2_saveexec_b64 s[2:3], s[2:3]
	s_cbranch_execz .LBB5458_179
; %bb.178:
	ds_read_u16 v0, v2 offset:384
	v_mov_b32_e32 v1, 0
	s_waitcnt lgkmcnt(0)
	global_store_short v1, v0, s[14:15]
.LBB5458_179:
	s_or_b64 exec, exec, s[2:3]
                                        ; implicit-def: $vgpr0_vgpr1
                                        ; implicit-def: $vgpr2
.LBB5458_180:
	s_andn2_saveexec_b64 s[0:1], s[0:1]
	s_cbranch_execz .LBB5458_104
; %bb.181:
	v_cmp_lt_i64_e32 vcc, 1, v[0:1]
	s_and_saveexec_b64 s[0:1], vcc
	s_xor_b64 s[0:1], exec, s[0:1]
	s_cbranch_execz .LBB5458_183
; %bb.182:
	ds_read_u16 v0, v2 offset:256
	v_mov_b32_e32 v1, 0
                                        ; implicit-def: $vgpr2
	s_waitcnt lgkmcnt(0)
	global_store_short v1, v0, s[14:15]
                                        ; implicit-def: $vgpr0_vgpr1
.LBB5458_183:
	s_andn2_saveexec_b64 s[0:1], s[0:1]
	s_cbranch_execz .LBB5458_104
; %bb.184:
	v_cmp_ne_u64_e32 vcc, 1, v[0:1]
	s_and_saveexec_b64 s[0:1], vcc
	s_xor_b64 s[0:1], exec, s[0:1]
	s_cbranch_execz .LBB5458_186
; %bb.185:
	ds_read_u16 v0, v2
	v_mov_b32_e32 v1, 0
                                        ; implicit-def: $vgpr2
	s_waitcnt lgkmcnt(0)
	global_store_short v1, v0, s[14:15]
.LBB5458_186:
	s_andn2_saveexec_b64 s[0:1], s[0:1]
	s_cbranch_execz .LBB5458_104
; %bb.187:
	ds_read_u16 v0, v2 offset:128
	v_mov_b32_e32 v1, 0
	s_waitcnt lgkmcnt(0)
	global_store_short v1, v0, s[14:15]
	s_endpgm
	.section	.rodata,"a",@progbits
	.p2align	6, 0x0
	.amdhsa_kernel _ZN7rocprim17ROCPRIM_400000_NS6detail17trampoline_kernelINS0_14default_configENS1_20scan_config_selectorItEEZZNS1_9scan_implILNS1_25lookback_scan_determinismE0ELb0ELb0ES3_N6thrust23THRUST_200600_302600_NS6detail15normal_iteratorINS9_10device_ptrItEEEENS9_16discard_iteratorINS9_11use_defaultEEEtNS9_4plusIvEEtEEDaPvRmT3_T4_T5_mT6_P12ihipStream_tbENKUlT_T0_E_clISt17integral_constantIbLb1EESX_EEDaSS_ST_EUlSS_E_NS1_11comp_targetILNS1_3genE4ELNS1_11target_archE910ELNS1_3gpuE8ELNS1_3repE0EEENS1_30default_config_static_selectorELNS0_4arch9wavefront6targetE1EEEvT1_
		.amdhsa_group_segment_fixed_size 3072
		.amdhsa_private_segment_fixed_size 0
		.amdhsa_kernarg_size 104
		.amdhsa_user_sgpr_count 6
		.amdhsa_user_sgpr_private_segment_buffer 1
		.amdhsa_user_sgpr_dispatch_ptr 0
		.amdhsa_user_sgpr_queue_ptr 0
		.amdhsa_user_sgpr_kernarg_segment_ptr 1
		.amdhsa_user_sgpr_dispatch_id 0
		.amdhsa_user_sgpr_flat_scratch_init 0
		.amdhsa_user_sgpr_kernarg_preload_length 0
		.amdhsa_user_sgpr_kernarg_preload_offset 0
		.amdhsa_user_sgpr_private_segment_size 0
		.amdhsa_uses_dynamic_stack 0
		.amdhsa_system_sgpr_private_segment_wavefront_offset 0
		.amdhsa_system_sgpr_workgroup_id_x 1
		.amdhsa_system_sgpr_workgroup_id_y 0
		.amdhsa_system_sgpr_workgroup_id_z 0
		.amdhsa_system_sgpr_workgroup_info 0
		.amdhsa_system_vgpr_workitem_id 0
		.amdhsa_next_free_vgpr 43
		.amdhsa_next_free_sgpr 30
		.amdhsa_accum_offset 44
		.amdhsa_reserve_vcc 1
		.amdhsa_reserve_flat_scratch 0
		.amdhsa_float_round_mode_32 0
		.amdhsa_float_round_mode_16_64 0
		.amdhsa_float_denorm_mode_32 3
		.amdhsa_float_denorm_mode_16_64 3
		.amdhsa_dx10_clamp 1
		.amdhsa_ieee_mode 1
		.amdhsa_fp16_overflow 0
		.amdhsa_tg_split 0
		.amdhsa_exception_fp_ieee_invalid_op 0
		.amdhsa_exception_fp_denorm_src 0
		.amdhsa_exception_fp_ieee_div_zero 0
		.amdhsa_exception_fp_ieee_overflow 0
		.amdhsa_exception_fp_ieee_underflow 0
		.amdhsa_exception_fp_ieee_inexact 0
		.amdhsa_exception_int_div_zero 0
	.end_amdhsa_kernel
	.section	.text._ZN7rocprim17ROCPRIM_400000_NS6detail17trampoline_kernelINS0_14default_configENS1_20scan_config_selectorItEEZZNS1_9scan_implILNS1_25lookback_scan_determinismE0ELb0ELb0ES3_N6thrust23THRUST_200600_302600_NS6detail15normal_iteratorINS9_10device_ptrItEEEENS9_16discard_iteratorINS9_11use_defaultEEEtNS9_4plusIvEEtEEDaPvRmT3_T4_T5_mT6_P12ihipStream_tbENKUlT_T0_E_clISt17integral_constantIbLb1EESX_EEDaSS_ST_EUlSS_E_NS1_11comp_targetILNS1_3genE4ELNS1_11target_archE910ELNS1_3gpuE8ELNS1_3repE0EEENS1_30default_config_static_selectorELNS0_4arch9wavefront6targetE1EEEvT1_,"axG",@progbits,_ZN7rocprim17ROCPRIM_400000_NS6detail17trampoline_kernelINS0_14default_configENS1_20scan_config_selectorItEEZZNS1_9scan_implILNS1_25lookback_scan_determinismE0ELb0ELb0ES3_N6thrust23THRUST_200600_302600_NS6detail15normal_iteratorINS9_10device_ptrItEEEENS9_16discard_iteratorINS9_11use_defaultEEEtNS9_4plusIvEEtEEDaPvRmT3_T4_T5_mT6_P12ihipStream_tbENKUlT_T0_E_clISt17integral_constantIbLb1EESX_EEDaSS_ST_EUlSS_E_NS1_11comp_targetILNS1_3genE4ELNS1_11target_archE910ELNS1_3gpuE8ELNS1_3repE0EEENS1_30default_config_static_selectorELNS0_4arch9wavefront6targetE1EEEvT1_,comdat
.Lfunc_end5458:
	.size	_ZN7rocprim17ROCPRIM_400000_NS6detail17trampoline_kernelINS0_14default_configENS1_20scan_config_selectorItEEZZNS1_9scan_implILNS1_25lookback_scan_determinismE0ELb0ELb0ES3_N6thrust23THRUST_200600_302600_NS6detail15normal_iteratorINS9_10device_ptrItEEEENS9_16discard_iteratorINS9_11use_defaultEEEtNS9_4plusIvEEtEEDaPvRmT3_T4_T5_mT6_P12ihipStream_tbENKUlT_T0_E_clISt17integral_constantIbLb1EESX_EEDaSS_ST_EUlSS_E_NS1_11comp_targetILNS1_3genE4ELNS1_11target_archE910ELNS1_3gpuE8ELNS1_3repE0EEENS1_30default_config_static_selectorELNS0_4arch9wavefront6targetE1EEEvT1_, .Lfunc_end5458-_ZN7rocprim17ROCPRIM_400000_NS6detail17trampoline_kernelINS0_14default_configENS1_20scan_config_selectorItEEZZNS1_9scan_implILNS1_25lookback_scan_determinismE0ELb0ELb0ES3_N6thrust23THRUST_200600_302600_NS6detail15normal_iteratorINS9_10device_ptrItEEEENS9_16discard_iteratorINS9_11use_defaultEEEtNS9_4plusIvEEtEEDaPvRmT3_T4_T5_mT6_P12ihipStream_tbENKUlT_T0_E_clISt17integral_constantIbLb1EESX_EEDaSS_ST_EUlSS_E_NS1_11comp_targetILNS1_3genE4ELNS1_11target_archE910ELNS1_3gpuE8ELNS1_3repE0EEENS1_30default_config_static_selectorELNS0_4arch9wavefront6targetE1EEEvT1_
                                        ; -- End function
	.section	.AMDGPU.csdata,"",@progbits
; Kernel info:
; codeLenInByte = 6668
; NumSgprs: 34
; NumVgprs: 43
; NumAgprs: 0
; TotalNumVgprs: 43
; ScratchSize: 0
; MemoryBound: 0
; FloatMode: 240
; IeeeMode: 1
; LDSByteSize: 3072 bytes/workgroup (compile time only)
; SGPRBlocks: 4
; VGPRBlocks: 5
; NumSGPRsForWavesPerEU: 34
; NumVGPRsForWavesPerEU: 43
; AccumOffset: 44
; Occupancy: 6
; WaveLimiterHint : 1
; COMPUTE_PGM_RSRC2:SCRATCH_EN: 0
; COMPUTE_PGM_RSRC2:USER_SGPR: 6
; COMPUTE_PGM_RSRC2:TRAP_HANDLER: 0
; COMPUTE_PGM_RSRC2:TGID_X_EN: 1
; COMPUTE_PGM_RSRC2:TGID_Y_EN: 0
; COMPUTE_PGM_RSRC2:TGID_Z_EN: 0
; COMPUTE_PGM_RSRC2:TIDIG_COMP_CNT: 0
; COMPUTE_PGM_RSRC3_GFX90A:ACCUM_OFFSET: 10
; COMPUTE_PGM_RSRC3_GFX90A:TG_SPLIT: 0
	.section	.text._ZN7rocprim17ROCPRIM_400000_NS6detail17trampoline_kernelINS0_14default_configENS1_20scan_config_selectorItEEZZNS1_9scan_implILNS1_25lookback_scan_determinismE0ELb0ELb0ES3_N6thrust23THRUST_200600_302600_NS6detail15normal_iteratorINS9_10device_ptrItEEEENS9_16discard_iteratorINS9_11use_defaultEEEtNS9_4plusIvEEtEEDaPvRmT3_T4_T5_mT6_P12ihipStream_tbENKUlT_T0_E_clISt17integral_constantIbLb1EESX_EEDaSS_ST_EUlSS_E_NS1_11comp_targetILNS1_3genE3ELNS1_11target_archE908ELNS1_3gpuE7ELNS1_3repE0EEENS1_30default_config_static_selectorELNS0_4arch9wavefront6targetE1EEEvT1_,"axG",@progbits,_ZN7rocprim17ROCPRIM_400000_NS6detail17trampoline_kernelINS0_14default_configENS1_20scan_config_selectorItEEZZNS1_9scan_implILNS1_25lookback_scan_determinismE0ELb0ELb0ES3_N6thrust23THRUST_200600_302600_NS6detail15normal_iteratorINS9_10device_ptrItEEEENS9_16discard_iteratorINS9_11use_defaultEEEtNS9_4plusIvEEtEEDaPvRmT3_T4_T5_mT6_P12ihipStream_tbENKUlT_T0_E_clISt17integral_constantIbLb1EESX_EEDaSS_ST_EUlSS_E_NS1_11comp_targetILNS1_3genE3ELNS1_11target_archE908ELNS1_3gpuE7ELNS1_3repE0EEENS1_30default_config_static_selectorELNS0_4arch9wavefront6targetE1EEEvT1_,comdat
	.protected	_ZN7rocprim17ROCPRIM_400000_NS6detail17trampoline_kernelINS0_14default_configENS1_20scan_config_selectorItEEZZNS1_9scan_implILNS1_25lookback_scan_determinismE0ELb0ELb0ES3_N6thrust23THRUST_200600_302600_NS6detail15normal_iteratorINS9_10device_ptrItEEEENS9_16discard_iteratorINS9_11use_defaultEEEtNS9_4plusIvEEtEEDaPvRmT3_T4_T5_mT6_P12ihipStream_tbENKUlT_T0_E_clISt17integral_constantIbLb1EESX_EEDaSS_ST_EUlSS_E_NS1_11comp_targetILNS1_3genE3ELNS1_11target_archE908ELNS1_3gpuE7ELNS1_3repE0EEENS1_30default_config_static_selectorELNS0_4arch9wavefront6targetE1EEEvT1_ ; -- Begin function _ZN7rocprim17ROCPRIM_400000_NS6detail17trampoline_kernelINS0_14default_configENS1_20scan_config_selectorItEEZZNS1_9scan_implILNS1_25lookback_scan_determinismE0ELb0ELb0ES3_N6thrust23THRUST_200600_302600_NS6detail15normal_iteratorINS9_10device_ptrItEEEENS9_16discard_iteratorINS9_11use_defaultEEEtNS9_4plusIvEEtEEDaPvRmT3_T4_T5_mT6_P12ihipStream_tbENKUlT_T0_E_clISt17integral_constantIbLb1EESX_EEDaSS_ST_EUlSS_E_NS1_11comp_targetILNS1_3genE3ELNS1_11target_archE908ELNS1_3gpuE7ELNS1_3repE0EEENS1_30default_config_static_selectorELNS0_4arch9wavefront6targetE1EEEvT1_
	.globl	_ZN7rocprim17ROCPRIM_400000_NS6detail17trampoline_kernelINS0_14default_configENS1_20scan_config_selectorItEEZZNS1_9scan_implILNS1_25lookback_scan_determinismE0ELb0ELb0ES3_N6thrust23THRUST_200600_302600_NS6detail15normal_iteratorINS9_10device_ptrItEEEENS9_16discard_iteratorINS9_11use_defaultEEEtNS9_4plusIvEEtEEDaPvRmT3_T4_T5_mT6_P12ihipStream_tbENKUlT_T0_E_clISt17integral_constantIbLb1EESX_EEDaSS_ST_EUlSS_E_NS1_11comp_targetILNS1_3genE3ELNS1_11target_archE908ELNS1_3gpuE7ELNS1_3repE0EEENS1_30default_config_static_selectorELNS0_4arch9wavefront6targetE1EEEvT1_
	.p2align	8
	.type	_ZN7rocprim17ROCPRIM_400000_NS6detail17trampoline_kernelINS0_14default_configENS1_20scan_config_selectorItEEZZNS1_9scan_implILNS1_25lookback_scan_determinismE0ELb0ELb0ES3_N6thrust23THRUST_200600_302600_NS6detail15normal_iteratorINS9_10device_ptrItEEEENS9_16discard_iteratorINS9_11use_defaultEEEtNS9_4plusIvEEtEEDaPvRmT3_T4_T5_mT6_P12ihipStream_tbENKUlT_T0_E_clISt17integral_constantIbLb1EESX_EEDaSS_ST_EUlSS_E_NS1_11comp_targetILNS1_3genE3ELNS1_11target_archE908ELNS1_3gpuE7ELNS1_3repE0EEENS1_30default_config_static_selectorELNS0_4arch9wavefront6targetE1EEEvT1_,@function
_ZN7rocprim17ROCPRIM_400000_NS6detail17trampoline_kernelINS0_14default_configENS1_20scan_config_selectorItEEZZNS1_9scan_implILNS1_25lookback_scan_determinismE0ELb0ELb0ES3_N6thrust23THRUST_200600_302600_NS6detail15normal_iteratorINS9_10device_ptrItEEEENS9_16discard_iteratorINS9_11use_defaultEEEtNS9_4plusIvEEtEEDaPvRmT3_T4_T5_mT6_P12ihipStream_tbENKUlT_T0_E_clISt17integral_constantIbLb1EESX_EEDaSS_ST_EUlSS_E_NS1_11comp_targetILNS1_3genE3ELNS1_11target_archE908ELNS1_3gpuE7ELNS1_3repE0EEENS1_30default_config_static_selectorELNS0_4arch9wavefront6targetE1EEEvT1_: ; @_ZN7rocprim17ROCPRIM_400000_NS6detail17trampoline_kernelINS0_14default_configENS1_20scan_config_selectorItEEZZNS1_9scan_implILNS1_25lookback_scan_determinismE0ELb0ELb0ES3_N6thrust23THRUST_200600_302600_NS6detail15normal_iteratorINS9_10device_ptrItEEEENS9_16discard_iteratorINS9_11use_defaultEEEtNS9_4plusIvEEtEEDaPvRmT3_T4_T5_mT6_P12ihipStream_tbENKUlT_T0_E_clISt17integral_constantIbLb1EESX_EEDaSS_ST_EUlSS_E_NS1_11comp_targetILNS1_3genE3ELNS1_11target_archE908ELNS1_3gpuE7ELNS1_3repE0EEENS1_30default_config_static_selectorELNS0_4arch9wavefront6targetE1EEEvT1_
; %bb.0:
	.section	.rodata,"a",@progbits
	.p2align	6, 0x0
	.amdhsa_kernel _ZN7rocprim17ROCPRIM_400000_NS6detail17trampoline_kernelINS0_14default_configENS1_20scan_config_selectorItEEZZNS1_9scan_implILNS1_25lookback_scan_determinismE0ELb0ELb0ES3_N6thrust23THRUST_200600_302600_NS6detail15normal_iteratorINS9_10device_ptrItEEEENS9_16discard_iteratorINS9_11use_defaultEEEtNS9_4plusIvEEtEEDaPvRmT3_T4_T5_mT6_P12ihipStream_tbENKUlT_T0_E_clISt17integral_constantIbLb1EESX_EEDaSS_ST_EUlSS_E_NS1_11comp_targetILNS1_3genE3ELNS1_11target_archE908ELNS1_3gpuE7ELNS1_3repE0EEENS1_30default_config_static_selectorELNS0_4arch9wavefront6targetE1EEEvT1_
		.amdhsa_group_segment_fixed_size 0
		.amdhsa_private_segment_fixed_size 0
		.amdhsa_kernarg_size 104
		.amdhsa_user_sgpr_count 6
		.amdhsa_user_sgpr_private_segment_buffer 1
		.amdhsa_user_sgpr_dispatch_ptr 0
		.amdhsa_user_sgpr_queue_ptr 0
		.amdhsa_user_sgpr_kernarg_segment_ptr 1
		.amdhsa_user_sgpr_dispatch_id 0
		.amdhsa_user_sgpr_flat_scratch_init 0
		.amdhsa_user_sgpr_kernarg_preload_length 0
		.amdhsa_user_sgpr_kernarg_preload_offset 0
		.amdhsa_user_sgpr_private_segment_size 0
		.amdhsa_uses_dynamic_stack 0
		.amdhsa_system_sgpr_private_segment_wavefront_offset 0
		.amdhsa_system_sgpr_workgroup_id_x 1
		.amdhsa_system_sgpr_workgroup_id_y 0
		.amdhsa_system_sgpr_workgroup_id_z 0
		.amdhsa_system_sgpr_workgroup_info 0
		.amdhsa_system_vgpr_workitem_id 0
		.amdhsa_next_free_vgpr 1
		.amdhsa_next_free_sgpr 0
		.amdhsa_accum_offset 4
		.amdhsa_reserve_vcc 0
		.amdhsa_reserve_flat_scratch 0
		.amdhsa_float_round_mode_32 0
		.amdhsa_float_round_mode_16_64 0
		.amdhsa_float_denorm_mode_32 3
		.amdhsa_float_denorm_mode_16_64 3
		.amdhsa_dx10_clamp 1
		.amdhsa_ieee_mode 1
		.amdhsa_fp16_overflow 0
		.amdhsa_tg_split 0
		.amdhsa_exception_fp_ieee_invalid_op 0
		.amdhsa_exception_fp_denorm_src 0
		.amdhsa_exception_fp_ieee_div_zero 0
		.amdhsa_exception_fp_ieee_overflow 0
		.amdhsa_exception_fp_ieee_underflow 0
		.amdhsa_exception_fp_ieee_inexact 0
		.amdhsa_exception_int_div_zero 0
	.end_amdhsa_kernel
	.section	.text._ZN7rocprim17ROCPRIM_400000_NS6detail17trampoline_kernelINS0_14default_configENS1_20scan_config_selectorItEEZZNS1_9scan_implILNS1_25lookback_scan_determinismE0ELb0ELb0ES3_N6thrust23THRUST_200600_302600_NS6detail15normal_iteratorINS9_10device_ptrItEEEENS9_16discard_iteratorINS9_11use_defaultEEEtNS9_4plusIvEEtEEDaPvRmT3_T4_T5_mT6_P12ihipStream_tbENKUlT_T0_E_clISt17integral_constantIbLb1EESX_EEDaSS_ST_EUlSS_E_NS1_11comp_targetILNS1_3genE3ELNS1_11target_archE908ELNS1_3gpuE7ELNS1_3repE0EEENS1_30default_config_static_selectorELNS0_4arch9wavefront6targetE1EEEvT1_,"axG",@progbits,_ZN7rocprim17ROCPRIM_400000_NS6detail17trampoline_kernelINS0_14default_configENS1_20scan_config_selectorItEEZZNS1_9scan_implILNS1_25lookback_scan_determinismE0ELb0ELb0ES3_N6thrust23THRUST_200600_302600_NS6detail15normal_iteratorINS9_10device_ptrItEEEENS9_16discard_iteratorINS9_11use_defaultEEEtNS9_4plusIvEEtEEDaPvRmT3_T4_T5_mT6_P12ihipStream_tbENKUlT_T0_E_clISt17integral_constantIbLb1EESX_EEDaSS_ST_EUlSS_E_NS1_11comp_targetILNS1_3genE3ELNS1_11target_archE908ELNS1_3gpuE7ELNS1_3repE0EEENS1_30default_config_static_selectorELNS0_4arch9wavefront6targetE1EEEvT1_,comdat
.Lfunc_end5459:
	.size	_ZN7rocprim17ROCPRIM_400000_NS6detail17trampoline_kernelINS0_14default_configENS1_20scan_config_selectorItEEZZNS1_9scan_implILNS1_25lookback_scan_determinismE0ELb0ELb0ES3_N6thrust23THRUST_200600_302600_NS6detail15normal_iteratorINS9_10device_ptrItEEEENS9_16discard_iteratorINS9_11use_defaultEEEtNS9_4plusIvEEtEEDaPvRmT3_T4_T5_mT6_P12ihipStream_tbENKUlT_T0_E_clISt17integral_constantIbLb1EESX_EEDaSS_ST_EUlSS_E_NS1_11comp_targetILNS1_3genE3ELNS1_11target_archE908ELNS1_3gpuE7ELNS1_3repE0EEENS1_30default_config_static_selectorELNS0_4arch9wavefront6targetE1EEEvT1_, .Lfunc_end5459-_ZN7rocprim17ROCPRIM_400000_NS6detail17trampoline_kernelINS0_14default_configENS1_20scan_config_selectorItEEZZNS1_9scan_implILNS1_25lookback_scan_determinismE0ELb0ELb0ES3_N6thrust23THRUST_200600_302600_NS6detail15normal_iteratorINS9_10device_ptrItEEEENS9_16discard_iteratorINS9_11use_defaultEEEtNS9_4plusIvEEtEEDaPvRmT3_T4_T5_mT6_P12ihipStream_tbENKUlT_T0_E_clISt17integral_constantIbLb1EESX_EEDaSS_ST_EUlSS_E_NS1_11comp_targetILNS1_3genE3ELNS1_11target_archE908ELNS1_3gpuE7ELNS1_3repE0EEENS1_30default_config_static_selectorELNS0_4arch9wavefront6targetE1EEEvT1_
                                        ; -- End function
	.section	.AMDGPU.csdata,"",@progbits
; Kernel info:
; codeLenInByte = 0
; NumSgprs: 4
; NumVgprs: 0
; NumAgprs: 0
; TotalNumVgprs: 0
; ScratchSize: 0
; MemoryBound: 0
; FloatMode: 240
; IeeeMode: 1
; LDSByteSize: 0 bytes/workgroup (compile time only)
; SGPRBlocks: 0
; VGPRBlocks: 0
; NumSGPRsForWavesPerEU: 4
; NumVGPRsForWavesPerEU: 1
; AccumOffset: 4
; Occupancy: 8
; WaveLimiterHint : 0
; COMPUTE_PGM_RSRC2:SCRATCH_EN: 0
; COMPUTE_PGM_RSRC2:USER_SGPR: 6
; COMPUTE_PGM_RSRC2:TRAP_HANDLER: 0
; COMPUTE_PGM_RSRC2:TGID_X_EN: 1
; COMPUTE_PGM_RSRC2:TGID_Y_EN: 0
; COMPUTE_PGM_RSRC2:TGID_Z_EN: 0
; COMPUTE_PGM_RSRC2:TIDIG_COMP_CNT: 0
; COMPUTE_PGM_RSRC3_GFX90A:ACCUM_OFFSET: 0
; COMPUTE_PGM_RSRC3_GFX90A:TG_SPLIT: 0
	.section	.text._ZN7rocprim17ROCPRIM_400000_NS6detail17trampoline_kernelINS0_14default_configENS1_20scan_config_selectorItEEZZNS1_9scan_implILNS1_25lookback_scan_determinismE0ELb0ELb0ES3_N6thrust23THRUST_200600_302600_NS6detail15normal_iteratorINS9_10device_ptrItEEEENS9_16discard_iteratorINS9_11use_defaultEEEtNS9_4plusIvEEtEEDaPvRmT3_T4_T5_mT6_P12ihipStream_tbENKUlT_T0_E_clISt17integral_constantIbLb1EESX_EEDaSS_ST_EUlSS_E_NS1_11comp_targetILNS1_3genE2ELNS1_11target_archE906ELNS1_3gpuE6ELNS1_3repE0EEENS1_30default_config_static_selectorELNS0_4arch9wavefront6targetE1EEEvT1_,"axG",@progbits,_ZN7rocprim17ROCPRIM_400000_NS6detail17trampoline_kernelINS0_14default_configENS1_20scan_config_selectorItEEZZNS1_9scan_implILNS1_25lookback_scan_determinismE0ELb0ELb0ES3_N6thrust23THRUST_200600_302600_NS6detail15normal_iteratorINS9_10device_ptrItEEEENS9_16discard_iteratorINS9_11use_defaultEEEtNS9_4plusIvEEtEEDaPvRmT3_T4_T5_mT6_P12ihipStream_tbENKUlT_T0_E_clISt17integral_constantIbLb1EESX_EEDaSS_ST_EUlSS_E_NS1_11comp_targetILNS1_3genE2ELNS1_11target_archE906ELNS1_3gpuE6ELNS1_3repE0EEENS1_30default_config_static_selectorELNS0_4arch9wavefront6targetE1EEEvT1_,comdat
	.protected	_ZN7rocprim17ROCPRIM_400000_NS6detail17trampoline_kernelINS0_14default_configENS1_20scan_config_selectorItEEZZNS1_9scan_implILNS1_25lookback_scan_determinismE0ELb0ELb0ES3_N6thrust23THRUST_200600_302600_NS6detail15normal_iteratorINS9_10device_ptrItEEEENS9_16discard_iteratorINS9_11use_defaultEEEtNS9_4plusIvEEtEEDaPvRmT3_T4_T5_mT6_P12ihipStream_tbENKUlT_T0_E_clISt17integral_constantIbLb1EESX_EEDaSS_ST_EUlSS_E_NS1_11comp_targetILNS1_3genE2ELNS1_11target_archE906ELNS1_3gpuE6ELNS1_3repE0EEENS1_30default_config_static_selectorELNS0_4arch9wavefront6targetE1EEEvT1_ ; -- Begin function _ZN7rocprim17ROCPRIM_400000_NS6detail17trampoline_kernelINS0_14default_configENS1_20scan_config_selectorItEEZZNS1_9scan_implILNS1_25lookback_scan_determinismE0ELb0ELb0ES3_N6thrust23THRUST_200600_302600_NS6detail15normal_iteratorINS9_10device_ptrItEEEENS9_16discard_iteratorINS9_11use_defaultEEEtNS9_4plusIvEEtEEDaPvRmT3_T4_T5_mT6_P12ihipStream_tbENKUlT_T0_E_clISt17integral_constantIbLb1EESX_EEDaSS_ST_EUlSS_E_NS1_11comp_targetILNS1_3genE2ELNS1_11target_archE906ELNS1_3gpuE6ELNS1_3repE0EEENS1_30default_config_static_selectorELNS0_4arch9wavefront6targetE1EEEvT1_
	.globl	_ZN7rocprim17ROCPRIM_400000_NS6detail17trampoline_kernelINS0_14default_configENS1_20scan_config_selectorItEEZZNS1_9scan_implILNS1_25lookback_scan_determinismE0ELb0ELb0ES3_N6thrust23THRUST_200600_302600_NS6detail15normal_iteratorINS9_10device_ptrItEEEENS9_16discard_iteratorINS9_11use_defaultEEEtNS9_4plusIvEEtEEDaPvRmT3_T4_T5_mT6_P12ihipStream_tbENKUlT_T0_E_clISt17integral_constantIbLb1EESX_EEDaSS_ST_EUlSS_E_NS1_11comp_targetILNS1_3genE2ELNS1_11target_archE906ELNS1_3gpuE6ELNS1_3repE0EEENS1_30default_config_static_selectorELNS0_4arch9wavefront6targetE1EEEvT1_
	.p2align	8
	.type	_ZN7rocprim17ROCPRIM_400000_NS6detail17trampoline_kernelINS0_14default_configENS1_20scan_config_selectorItEEZZNS1_9scan_implILNS1_25lookback_scan_determinismE0ELb0ELb0ES3_N6thrust23THRUST_200600_302600_NS6detail15normal_iteratorINS9_10device_ptrItEEEENS9_16discard_iteratorINS9_11use_defaultEEEtNS9_4plusIvEEtEEDaPvRmT3_T4_T5_mT6_P12ihipStream_tbENKUlT_T0_E_clISt17integral_constantIbLb1EESX_EEDaSS_ST_EUlSS_E_NS1_11comp_targetILNS1_3genE2ELNS1_11target_archE906ELNS1_3gpuE6ELNS1_3repE0EEENS1_30default_config_static_selectorELNS0_4arch9wavefront6targetE1EEEvT1_,@function
_ZN7rocprim17ROCPRIM_400000_NS6detail17trampoline_kernelINS0_14default_configENS1_20scan_config_selectorItEEZZNS1_9scan_implILNS1_25lookback_scan_determinismE0ELb0ELb0ES3_N6thrust23THRUST_200600_302600_NS6detail15normal_iteratorINS9_10device_ptrItEEEENS9_16discard_iteratorINS9_11use_defaultEEEtNS9_4plusIvEEtEEDaPvRmT3_T4_T5_mT6_P12ihipStream_tbENKUlT_T0_E_clISt17integral_constantIbLb1EESX_EEDaSS_ST_EUlSS_E_NS1_11comp_targetILNS1_3genE2ELNS1_11target_archE906ELNS1_3gpuE6ELNS1_3repE0EEENS1_30default_config_static_selectorELNS0_4arch9wavefront6targetE1EEEvT1_: ; @_ZN7rocprim17ROCPRIM_400000_NS6detail17trampoline_kernelINS0_14default_configENS1_20scan_config_selectorItEEZZNS1_9scan_implILNS1_25lookback_scan_determinismE0ELb0ELb0ES3_N6thrust23THRUST_200600_302600_NS6detail15normal_iteratorINS9_10device_ptrItEEEENS9_16discard_iteratorINS9_11use_defaultEEEtNS9_4plusIvEEtEEDaPvRmT3_T4_T5_mT6_P12ihipStream_tbENKUlT_T0_E_clISt17integral_constantIbLb1EESX_EEDaSS_ST_EUlSS_E_NS1_11comp_targetILNS1_3genE2ELNS1_11target_archE906ELNS1_3gpuE6ELNS1_3repE0EEENS1_30default_config_static_selectorELNS0_4arch9wavefront6targetE1EEEvT1_
; %bb.0:
	.section	.rodata,"a",@progbits
	.p2align	6, 0x0
	.amdhsa_kernel _ZN7rocprim17ROCPRIM_400000_NS6detail17trampoline_kernelINS0_14default_configENS1_20scan_config_selectorItEEZZNS1_9scan_implILNS1_25lookback_scan_determinismE0ELb0ELb0ES3_N6thrust23THRUST_200600_302600_NS6detail15normal_iteratorINS9_10device_ptrItEEEENS9_16discard_iteratorINS9_11use_defaultEEEtNS9_4plusIvEEtEEDaPvRmT3_T4_T5_mT6_P12ihipStream_tbENKUlT_T0_E_clISt17integral_constantIbLb1EESX_EEDaSS_ST_EUlSS_E_NS1_11comp_targetILNS1_3genE2ELNS1_11target_archE906ELNS1_3gpuE6ELNS1_3repE0EEENS1_30default_config_static_selectorELNS0_4arch9wavefront6targetE1EEEvT1_
		.amdhsa_group_segment_fixed_size 0
		.amdhsa_private_segment_fixed_size 0
		.amdhsa_kernarg_size 104
		.amdhsa_user_sgpr_count 6
		.amdhsa_user_sgpr_private_segment_buffer 1
		.amdhsa_user_sgpr_dispatch_ptr 0
		.amdhsa_user_sgpr_queue_ptr 0
		.amdhsa_user_sgpr_kernarg_segment_ptr 1
		.amdhsa_user_sgpr_dispatch_id 0
		.amdhsa_user_sgpr_flat_scratch_init 0
		.amdhsa_user_sgpr_kernarg_preload_length 0
		.amdhsa_user_sgpr_kernarg_preload_offset 0
		.amdhsa_user_sgpr_private_segment_size 0
		.amdhsa_uses_dynamic_stack 0
		.amdhsa_system_sgpr_private_segment_wavefront_offset 0
		.amdhsa_system_sgpr_workgroup_id_x 1
		.amdhsa_system_sgpr_workgroup_id_y 0
		.amdhsa_system_sgpr_workgroup_id_z 0
		.amdhsa_system_sgpr_workgroup_info 0
		.amdhsa_system_vgpr_workitem_id 0
		.amdhsa_next_free_vgpr 1
		.amdhsa_next_free_sgpr 0
		.amdhsa_accum_offset 4
		.amdhsa_reserve_vcc 0
		.amdhsa_reserve_flat_scratch 0
		.amdhsa_float_round_mode_32 0
		.amdhsa_float_round_mode_16_64 0
		.amdhsa_float_denorm_mode_32 3
		.amdhsa_float_denorm_mode_16_64 3
		.amdhsa_dx10_clamp 1
		.amdhsa_ieee_mode 1
		.amdhsa_fp16_overflow 0
		.amdhsa_tg_split 0
		.amdhsa_exception_fp_ieee_invalid_op 0
		.amdhsa_exception_fp_denorm_src 0
		.amdhsa_exception_fp_ieee_div_zero 0
		.amdhsa_exception_fp_ieee_overflow 0
		.amdhsa_exception_fp_ieee_underflow 0
		.amdhsa_exception_fp_ieee_inexact 0
		.amdhsa_exception_int_div_zero 0
	.end_amdhsa_kernel
	.section	.text._ZN7rocprim17ROCPRIM_400000_NS6detail17trampoline_kernelINS0_14default_configENS1_20scan_config_selectorItEEZZNS1_9scan_implILNS1_25lookback_scan_determinismE0ELb0ELb0ES3_N6thrust23THRUST_200600_302600_NS6detail15normal_iteratorINS9_10device_ptrItEEEENS9_16discard_iteratorINS9_11use_defaultEEEtNS9_4plusIvEEtEEDaPvRmT3_T4_T5_mT6_P12ihipStream_tbENKUlT_T0_E_clISt17integral_constantIbLb1EESX_EEDaSS_ST_EUlSS_E_NS1_11comp_targetILNS1_3genE2ELNS1_11target_archE906ELNS1_3gpuE6ELNS1_3repE0EEENS1_30default_config_static_selectorELNS0_4arch9wavefront6targetE1EEEvT1_,"axG",@progbits,_ZN7rocprim17ROCPRIM_400000_NS6detail17trampoline_kernelINS0_14default_configENS1_20scan_config_selectorItEEZZNS1_9scan_implILNS1_25lookback_scan_determinismE0ELb0ELb0ES3_N6thrust23THRUST_200600_302600_NS6detail15normal_iteratorINS9_10device_ptrItEEEENS9_16discard_iteratorINS9_11use_defaultEEEtNS9_4plusIvEEtEEDaPvRmT3_T4_T5_mT6_P12ihipStream_tbENKUlT_T0_E_clISt17integral_constantIbLb1EESX_EEDaSS_ST_EUlSS_E_NS1_11comp_targetILNS1_3genE2ELNS1_11target_archE906ELNS1_3gpuE6ELNS1_3repE0EEENS1_30default_config_static_selectorELNS0_4arch9wavefront6targetE1EEEvT1_,comdat
.Lfunc_end5460:
	.size	_ZN7rocprim17ROCPRIM_400000_NS6detail17trampoline_kernelINS0_14default_configENS1_20scan_config_selectorItEEZZNS1_9scan_implILNS1_25lookback_scan_determinismE0ELb0ELb0ES3_N6thrust23THRUST_200600_302600_NS6detail15normal_iteratorINS9_10device_ptrItEEEENS9_16discard_iteratorINS9_11use_defaultEEEtNS9_4plusIvEEtEEDaPvRmT3_T4_T5_mT6_P12ihipStream_tbENKUlT_T0_E_clISt17integral_constantIbLb1EESX_EEDaSS_ST_EUlSS_E_NS1_11comp_targetILNS1_3genE2ELNS1_11target_archE906ELNS1_3gpuE6ELNS1_3repE0EEENS1_30default_config_static_selectorELNS0_4arch9wavefront6targetE1EEEvT1_, .Lfunc_end5460-_ZN7rocprim17ROCPRIM_400000_NS6detail17trampoline_kernelINS0_14default_configENS1_20scan_config_selectorItEEZZNS1_9scan_implILNS1_25lookback_scan_determinismE0ELb0ELb0ES3_N6thrust23THRUST_200600_302600_NS6detail15normal_iteratorINS9_10device_ptrItEEEENS9_16discard_iteratorINS9_11use_defaultEEEtNS9_4plusIvEEtEEDaPvRmT3_T4_T5_mT6_P12ihipStream_tbENKUlT_T0_E_clISt17integral_constantIbLb1EESX_EEDaSS_ST_EUlSS_E_NS1_11comp_targetILNS1_3genE2ELNS1_11target_archE906ELNS1_3gpuE6ELNS1_3repE0EEENS1_30default_config_static_selectorELNS0_4arch9wavefront6targetE1EEEvT1_
                                        ; -- End function
	.section	.AMDGPU.csdata,"",@progbits
; Kernel info:
; codeLenInByte = 0
; NumSgprs: 4
; NumVgprs: 0
; NumAgprs: 0
; TotalNumVgprs: 0
; ScratchSize: 0
; MemoryBound: 0
; FloatMode: 240
; IeeeMode: 1
; LDSByteSize: 0 bytes/workgroup (compile time only)
; SGPRBlocks: 0
; VGPRBlocks: 0
; NumSGPRsForWavesPerEU: 4
; NumVGPRsForWavesPerEU: 1
; AccumOffset: 4
; Occupancy: 8
; WaveLimiterHint : 0
; COMPUTE_PGM_RSRC2:SCRATCH_EN: 0
; COMPUTE_PGM_RSRC2:USER_SGPR: 6
; COMPUTE_PGM_RSRC2:TRAP_HANDLER: 0
; COMPUTE_PGM_RSRC2:TGID_X_EN: 1
; COMPUTE_PGM_RSRC2:TGID_Y_EN: 0
; COMPUTE_PGM_RSRC2:TGID_Z_EN: 0
; COMPUTE_PGM_RSRC2:TIDIG_COMP_CNT: 0
; COMPUTE_PGM_RSRC3_GFX90A:ACCUM_OFFSET: 0
; COMPUTE_PGM_RSRC3_GFX90A:TG_SPLIT: 0
	.section	.text._ZN7rocprim17ROCPRIM_400000_NS6detail17trampoline_kernelINS0_14default_configENS1_20scan_config_selectorItEEZZNS1_9scan_implILNS1_25lookback_scan_determinismE0ELb0ELb0ES3_N6thrust23THRUST_200600_302600_NS6detail15normal_iteratorINS9_10device_ptrItEEEENS9_16discard_iteratorINS9_11use_defaultEEEtNS9_4plusIvEEtEEDaPvRmT3_T4_T5_mT6_P12ihipStream_tbENKUlT_T0_E_clISt17integral_constantIbLb1EESX_EEDaSS_ST_EUlSS_E_NS1_11comp_targetILNS1_3genE10ELNS1_11target_archE1201ELNS1_3gpuE5ELNS1_3repE0EEENS1_30default_config_static_selectorELNS0_4arch9wavefront6targetE1EEEvT1_,"axG",@progbits,_ZN7rocprim17ROCPRIM_400000_NS6detail17trampoline_kernelINS0_14default_configENS1_20scan_config_selectorItEEZZNS1_9scan_implILNS1_25lookback_scan_determinismE0ELb0ELb0ES3_N6thrust23THRUST_200600_302600_NS6detail15normal_iteratorINS9_10device_ptrItEEEENS9_16discard_iteratorINS9_11use_defaultEEEtNS9_4plusIvEEtEEDaPvRmT3_T4_T5_mT6_P12ihipStream_tbENKUlT_T0_E_clISt17integral_constantIbLb1EESX_EEDaSS_ST_EUlSS_E_NS1_11comp_targetILNS1_3genE10ELNS1_11target_archE1201ELNS1_3gpuE5ELNS1_3repE0EEENS1_30default_config_static_selectorELNS0_4arch9wavefront6targetE1EEEvT1_,comdat
	.protected	_ZN7rocprim17ROCPRIM_400000_NS6detail17trampoline_kernelINS0_14default_configENS1_20scan_config_selectorItEEZZNS1_9scan_implILNS1_25lookback_scan_determinismE0ELb0ELb0ES3_N6thrust23THRUST_200600_302600_NS6detail15normal_iteratorINS9_10device_ptrItEEEENS9_16discard_iteratorINS9_11use_defaultEEEtNS9_4plusIvEEtEEDaPvRmT3_T4_T5_mT6_P12ihipStream_tbENKUlT_T0_E_clISt17integral_constantIbLb1EESX_EEDaSS_ST_EUlSS_E_NS1_11comp_targetILNS1_3genE10ELNS1_11target_archE1201ELNS1_3gpuE5ELNS1_3repE0EEENS1_30default_config_static_selectorELNS0_4arch9wavefront6targetE1EEEvT1_ ; -- Begin function _ZN7rocprim17ROCPRIM_400000_NS6detail17trampoline_kernelINS0_14default_configENS1_20scan_config_selectorItEEZZNS1_9scan_implILNS1_25lookback_scan_determinismE0ELb0ELb0ES3_N6thrust23THRUST_200600_302600_NS6detail15normal_iteratorINS9_10device_ptrItEEEENS9_16discard_iteratorINS9_11use_defaultEEEtNS9_4plusIvEEtEEDaPvRmT3_T4_T5_mT6_P12ihipStream_tbENKUlT_T0_E_clISt17integral_constantIbLb1EESX_EEDaSS_ST_EUlSS_E_NS1_11comp_targetILNS1_3genE10ELNS1_11target_archE1201ELNS1_3gpuE5ELNS1_3repE0EEENS1_30default_config_static_selectorELNS0_4arch9wavefront6targetE1EEEvT1_
	.globl	_ZN7rocprim17ROCPRIM_400000_NS6detail17trampoline_kernelINS0_14default_configENS1_20scan_config_selectorItEEZZNS1_9scan_implILNS1_25lookback_scan_determinismE0ELb0ELb0ES3_N6thrust23THRUST_200600_302600_NS6detail15normal_iteratorINS9_10device_ptrItEEEENS9_16discard_iteratorINS9_11use_defaultEEEtNS9_4plusIvEEtEEDaPvRmT3_T4_T5_mT6_P12ihipStream_tbENKUlT_T0_E_clISt17integral_constantIbLb1EESX_EEDaSS_ST_EUlSS_E_NS1_11comp_targetILNS1_3genE10ELNS1_11target_archE1201ELNS1_3gpuE5ELNS1_3repE0EEENS1_30default_config_static_selectorELNS0_4arch9wavefront6targetE1EEEvT1_
	.p2align	8
	.type	_ZN7rocprim17ROCPRIM_400000_NS6detail17trampoline_kernelINS0_14default_configENS1_20scan_config_selectorItEEZZNS1_9scan_implILNS1_25lookback_scan_determinismE0ELb0ELb0ES3_N6thrust23THRUST_200600_302600_NS6detail15normal_iteratorINS9_10device_ptrItEEEENS9_16discard_iteratorINS9_11use_defaultEEEtNS9_4plusIvEEtEEDaPvRmT3_T4_T5_mT6_P12ihipStream_tbENKUlT_T0_E_clISt17integral_constantIbLb1EESX_EEDaSS_ST_EUlSS_E_NS1_11comp_targetILNS1_3genE10ELNS1_11target_archE1201ELNS1_3gpuE5ELNS1_3repE0EEENS1_30default_config_static_selectorELNS0_4arch9wavefront6targetE1EEEvT1_,@function
_ZN7rocprim17ROCPRIM_400000_NS6detail17trampoline_kernelINS0_14default_configENS1_20scan_config_selectorItEEZZNS1_9scan_implILNS1_25lookback_scan_determinismE0ELb0ELb0ES3_N6thrust23THRUST_200600_302600_NS6detail15normal_iteratorINS9_10device_ptrItEEEENS9_16discard_iteratorINS9_11use_defaultEEEtNS9_4plusIvEEtEEDaPvRmT3_T4_T5_mT6_P12ihipStream_tbENKUlT_T0_E_clISt17integral_constantIbLb1EESX_EEDaSS_ST_EUlSS_E_NS1_11comp_targetILNS1_3genE10ELNS1_11target_archE1201ELNS1_3gpuE5ELNS1_3repE0EEENS1_30default_config_static_selectorELNS0_4arch9wavefront6targetE1EEEvT1_: ; @_ZN7rocprim17ROCPRIM_400000_NS6detail17trampoline_kernelINS0_14default_configENS1_20scan_config_selectorItEEZZNS1_9scan_implILNS1_25lookback_scan_determinismE0ELb0ELb0ES3_N6thrust23THRUST_200600_302600_NS6detail15normal_iteratorINS9_10device_ptrItEEEENS9_16discard_iteratorINS9_11use_defaultEEEtNS9_4plusIvEEtEEDaPvRmT3_T4_T5_mT6_P12ihipStream_tbENKUlT_T0_E_clISt17integral_constantIbLb1EESX_EEDaSS_ST_EUlSS_E_NS1_11comp_targetILNS1_3genE10ELNS1_11target_archE1201ELNS1_3gpuE5ELNS1_3repE0EEENS1_30default_config_static_selectorELNS0_4arch9wavefront6targetE1EEEvT1_
; %bb.0:
	.section	.rodata,"a",@progbits
	.p2align	6, 0x0
	.amdhsa_kernel _ZN7rocprim17ROCPRIM_400000_NS6detail17trampoline_kernelINS0_14default_configENS1_20scan_config_selectorItEEZZNS1_9scan_implILNS1_25lookback_scan_determinismE0ELb0ELb0ES3_N6thrust23THRUST_200600_302600_NS6detail15normal_iteratorINS9_10device_ptrItEEEENS9_16discard_iteratorINS9_11use_defaultEEEtNS9_4plusIvEEtEEDaPvRmT3_T4_T5_mT6_P12ihipStream_tbENKUlT_T0_E_clISt17integral_constantIbLb1EESX_EEDaSS_ST_EUlSS_E_NS1_11comp_targetILNS1_3genE10ELNS1_11target_archE1201ELNS1_3gpuE5ELNS1_3repE0EEENS1_30default_config_static_selectorELNS0_4arch9wavefront6targetE1EEEvT1_
		.amdhsa_group_segment_fixed_size 0
		.amdhsa_private_segment_fixed_size 0
		.amdhsa_kernarg_size 104
		.amdhsa_user_sgpr_count 6
		.amdhsa_user_sgpr_private_segment_buffer 1
		.amdhsa_user_sgpr_dispatch_ptr 0
		.amdhsa_user_sgpr_queue_ptr 0
		.amdhsa_user_sgpr_kernarg_segment_ptr 1
		.amdhsa_user_sgpr_dispatch_id 0
		.amdhsa_user_sgpr_flat_scratch_init 0
		.amdhsa_user_sgpr_kernarg_preload_length 0
		.amdhsa_user_sgpr_kernarg_preload_offset 0
		.amdhsa_user_sgpr_private_segment_size 0
		.amdhsa_uses_dynamic_stack 0
		.amdhsa_system_sgpr_private_segment_wavefront_offset 0
		.amdhsa_system_sgpr_workgroup_id_x 1
		.amdhsa_system_sgpr_workgroup_id_y 0
		.amdhsa_system_sgpr_workgroup_id_z 0
		.amdhsa_system_sgpr_workgroup_info 0
		.amdhsa_system_vgpr_workitem_id 0
		.amdhsa_next_free_vgpr 1
		.amdhsa_next_free_sgpr 0
		.amdhsa_accum_offset 4
		.amdhsa_reserve_vcc 0
		.amdhsa_reserve_flat_scratch 0
		.amdhsa_float_round_mode_32 0
		.amdhsa_float_round_mode_16_64 0
		.amdhsa_float_denorm_mode_32 3
		.amdhsa_float_denorm_mode_16_64 3
		.amdhsa_dx10_clamp 1
		.amdhsa_ieee_mode 1
		.amdhsa_fp16_overflow 0
		.amdhsa_tg_split 0
		.amdhsa_exception_fp_ieee_invalid_op 0
		.amdhsa_exception_fp_denorm_src 0
		.amdhsa_exception_fp_ieee_div_zero 0
		.amdhsa_exception_fp_ieee_overflow 0
		.amdhsa_exception_fp_ieee_underflow 0
		.amdhsa_exception_fp_ieee_inexact 0
		.amdhsa_exception_int_div_zero 0
	.end_amdhsa_kernel
	.section	.text._ZN7rocprim17ROCPRIM_400000_NS6detail17trampoline_kernelINS0_14default_configENS1_20scan_config_selectorItEEZZNS1_9scan_implILNS1_25lookback_scan_determinismE0ELb0ELb0ES3_N6thrust23THRUST_200600_302600_NS6detail15normal_iteratorINS9_10device_ptrItEEEENS9_16discard_iteratorINS9_11use_defaultEEEtNS9_4plusIvEEtEEDaPvRmT3_T4_T5_mT6_P12ihipStream_tbENKUlT_T0_E_clISt17integral_constantIbLb1EESX_EEDaSS_ST_EUlSS_E_NS1_11comp_targetILNS1_3genE10ELNS1_11target_archE1201ELNS1_3gpuE5ELNS1_3repE0EEENS1_30default_config_static_selectorELNS0_4arch9wavefront6targetE1EEEvT1_,"axG",@progbits,_ZN7rocprim17ROCPRIM_400000_NS6detail17trampoline_kernelINS0_14default_configENS1_20scan_config_selectorItEEZZNS1_9scan_implILNS1_25lookback_scan_determinismE0ELb0ELb0ES3_N6thrust23THRUST_200600_302600_NS6detail15normal_iteratorINS9_10device_ptrItEEEENS9_16discard_iteratorINS9_11use_defaultEEEtNS9_4plusIvEEtEEDaPvRmT3_T4_T5_mT6_P12ihipStream_tbENKUlT_T0_E_clISt17integral_constantIbLb1EESX_EEDaSS_ST_EUlSS_E_NS1_11comp_targetILNS1_3genE10ELNS1_11target_archE1201ELNS1_3gpuE5ELNS1_3repE0EEENS1_30default_config_static_selectorELNS0_4arch9wavefront6targetE1EEEvT1_,comdat
.Lfunc_end5461:
	.size	_ZN7rocprim17ROCPRIM_400000_NS6detail17trampoline_kernelINS0_14default_configENS1_20scan_config_selectorItEEZZNS1_9scan_implILNS1_25lookback_scan_determinismE0ELb0ELb0ES3_N6thrust23THRUST_200600_302600_NS6detail15normal_iteratorINS9_10device_ptrItEEEENS9_16discard_iteratorINS9_11use_defaultEEEtNS9_4plusIvEEtEEDaPvRmT3_T4_T5_mT6_P12ihipStream_tbENKUlT_T0_E_clISt17integral_constantIbLb1EESX_EEDaSS_ST_EUlSS_E_NS1_11comp_targetILNS1_3genE10ELNS1_11target_archE1201ELNS1_3gpuE5ELNS1_3repE0EEENS1_30default_config_static_selectorELNS0_4arch9wavefront6targetE1EEEvT1_, .Lfunc_end5461-_ZN7rocprim17ROCPRIM_400000_NS6detail17trampoline_kernelINS0_14default_configENS1_20scan_config_selectorItEEZZNS1_9scan_implILNS1_25lookback_scan_determinismE0ELb0ELb0ES3_N6thrust23THRUST_200600_302600_NS6detail15normal_iteratorINS9_10device_ptrItEEEENS9_16discard_iteratorINS9_11use_defaultEEEtNS9_4plusIvEEtEEDaPvRmT3_T4_T5_mT6_P12ihipStream_tbENKUlT_T0_E_clISt17integral_constantIbLb1EESX_EEDaSS_ST_EUlSS_E_NS1_11comp_targetILNS1_3genE10ELNS1_11target_archE1201ELNS1_3gpuE5ELNS1_3repE0EEENS1_30default_config_static_selectorELNS0_4arch9wavefront6targetE1EEEvT1_
                                        ; -- End function
	.section	.AMDGPU.csdata,"",@progbits
; Kernel info:
; codeLenInByte = 0
; NumSgprs: 4
; NumVgprs: 0
; NumAgprs: 0
; TotalNumVgprs: 0
; ScratchSize: 0
; MemoryBound: 0
; FloatMode: 240
; IeeeMode: 1
; LDSByteSize: 0 bytes/workgroup (compile time only)
; SGPRBlocks: 0
; VGPRBlocks: 0
; NumSGPRsForWavesPerEU: 4
; NumVGPRsForWavesPerEU: 1
; AccumOffset: 4
; Occupancy: 8
; WaveLimiterHint : 0
; COMPUTE_PGM_RSRC2:SCRATCH_EN: 0
; COMPUTE_PGM_RSRC2:USER_SGPR: 6
; COMPUTE_PGM_RSRC2:TRAP_HANDLER: 0
; COMPUTE_PGM_RSRC2:TGID_X_EN: 1
; COMPUTE_PGM_RSRC2:TGID_Y_EN: 0
; COMPUTE_PGM_RSRC2:TGID_Z_EN: 0
; COMPUTE_PGM_RSRC2:TIDIG_COMP_CNT: 0
; COMPUTE_PGM_RSRC3_GFX90A:ACCUM_OFFSET: 0
; COMPUTE_PGM_RSRC3_GFX90A:TG_SPLIT: 0
	.section	.text._ZN7rocprim17ROCPRIM_400000_NS6detail17trampoline_kernelINS0_14default_configENS1_20scan_config_selectorItEEZZNS1_9scan_implILNS1_25lookback_scan_determinismE0ELb0ELb0ES3_N6thrust23THRUST_200600_302600_NS6detail15normal_iteratorINS9_10device_ptrItEEEENS9_16discard_iteratorINS9_11use_defaultEEEtNS9_4plusIvEEtEEDaPvRmT3_T4_T5_mT6_P12ihipStream_tbENKUlT_T0_E_clISt17integral_constantIbLb1EESX_EEDaSS_ST_EUlSS_E_NS1_11comp_targetILNS1_3genE10ELNS1_11target_archE1200ELNS1_3gpuE4ELNS1_3repE0EEENS1_30default_config_static_selectorELNS0_4arch9wavefront6targetE1EEEvT1_,"axG",@progbits,_ZN7rocprim17ROCPRIM_400000_NS6detail17trampoline_kernelINS0_14default_configENS1_20scan_config_selectorItEEZZNS1_9scan_implILNS1_25lookback_scan_determinismE0ELb0ELb0ES3_N6thrust23THRUST_200600_302600_NS6detail15normal_iteratorINS9_10device_ptrItEEEENS9_16discard_iteratorINS9_11use_defaultEEEtNS9_4plusIvEEtEEDaPvRmT3_T4_T5_mT6_P12ihipStream_tbENKUlT_T0_E_clISt17integral_constantIbLb1EESX_EEDaSS_ST_EUlSS_E_NS1_11comp_targetILNS1_3genE10ELNS1_11target_archE1200ELNS1_3gpuE4ELNS1_3repE0EEENS1_30default_config_static_selectorELNS0_4arch9wavefront6targetE1EEEvT1_,comdat
	.protected	_ZN7rocprim17ROCPRIM_400000_NS6detail17trampoline_kernelINS0_14default_configENS1_20scan_config_selectorItEEZZNS1_9scan_implILNS1_25lookback_scan_determinismE0ELb0ELb0ES3_N6thrust23THRUST_200600_302600_NS6detail15normal_iteratorINS9_10device_ptrItEEEENS9_16discard_iteratorINS9_11use_defaultEEEtNS9_4plusIvEEtEEDaPvRmT3_T4_T5_mT6_P12ihipStream_tbENKUlT_T0_E_clISt17integral_constantIbLb1EESX_EEDaSS_ST_EUlSS_E_NS1_11comp_targetILNS1_3genE10ELNS1_11target_archE1200ELNS1_3gpuE4ELNS1_3repE0EEENS1_30default_config_static_selectorELNS0_4arch9wavefront6targetE1EEEvT1_ ; -- Begin function _ZN7rocprim17ROCPRIM_400000_NS6detail17trampoline_kernelINS0_14default_configENS1_20scan_config_selectorItEEZZNS1_9scan_implILNS1_25lookback_scan_determinismE0ELb0ELb0ES3_N6thrust23THRUST_200600_302600_NS6detail15normal_iteratorINS9_10device_ptrItEEEENS9_16discard_iteratorINS9_11use_defaultEEEtNS9_4plusIvEEtEEDaPvRmT3_T4_T5_mT6_P12ihipStream_tbENKUlT_T0_E_clISt17integral_constantIbLb1EESX_EEDaSS_ST_EUlSS_E_NS1_11comp_targetILNS1_3genE10ELNS1_11target_archE1200ELNS1_3gpuE4ELNS1_3repE0EEENS1_30default_config_static_selectorELNS0_4arch9wavefront6targetE1EEEvT1_
	.globl	_ZN7rocprim17ROCPRIM_400000_NS6detail17trampoline_kernelINS0_14default_configENS1_20scan_config_selectorItEEZZNS1_9scan_implILNS1_25lookback_scan_determinismE0ELb0ELb0ES3_N6thrust23THRUST_200600_302600_NS6detail15normal_iteratorINS9_10device_ptrItEEEENS9_16discard_iteratorINS9_11use_defaultEEEtNS9_4plusIvEEtEEDaPvRmT3_T4_T5_mT6_P12ihipStream_tbENKUlT_T0_E_clISt17integral_constantIbLb1EESX_EEDaSS_ST_EUlSS_E_NS1_11comp_targetILNS1_3genE10ELNS1_11target_archE1200ELNS1_3gpuE4ELNS1_3repE0EEENS1_30default_config_static_selectorELNS0_4arch9wavefront6targetE1EEEvT1_
	.p2align	8
	.type	_ZN7rocprim17ROCPRIM_400000_NS6detail17trampoline_kernelINS0_14default_configENS1_20scan_config_selectorItEEZZNS1_9scan_implILNS1_25lookback_scan_determinismE0ELb0ELb0ES3_N6thrust23THRUST_200600_302600_NS6detail15normal_iteratorINS9_10device_ptrItEEEENS9_16discard_iteratorINS9_11use_defaultEEEtNS9_4plusIvEEtEEDaPvRmT3_T4_T5_mT6_P12ihipStream_tbENKUlT_T0_E_clISt17integral_constantIbLb1EESX_EEDaSS_ST_EUlSS_E_NS1_11comp_targetILNS1_3genE10ELNS1_11target_archE1200ELNS1_3gpuE4ELNS1_3repE0EEENS1_30default_config_static_selectorELNS0_4arch9wavefront6targetE1EEEvT1_,@function
_ZN7rocprim17ROCPRIM_400000_NS6detail17trampoline_kernelINS0_14default_configENS1_20scan_config_selectorItEEZZNS1_9scan_implILNS1_25lookback_scan_determinismE0ELb0ELb0ES3_N6thrust23THRUST_200600_302600_NS6detail15normal_iteratorINS9_10device_ptrItEEEENS9_16discard_iteratorINS9_11use_defaultEEEtNS9_4plusIvEEtEEDaPvRmT3_T4_T5_mT6_P12ihipStream_tbENKUlT_T0_E_clISt17integral_constantIbLb1EESX_EEDaSS_ST_EUlSS_E_NS1_11comp_targetILNS1_3genE10ELNS1_11target_archE1200ELNS1_3gpuE4ELNS1_3repE0EEENS1_30default_config_static_selectorELNS0_4arch9wavefront6targetE1EEEvT1_: ; @_ZN7rocprim17ROCPRIM_400000_NS6detail17trampoline_kernelINS0_14default_configENS1_20scan_config_selectorItEEZZNS1_9scan_implILNS1_25lookback_scan_determinismE0ELb0ELb0ES3_N6thrust23THRUST_200600_302600_NS6detail15normal_iteratorINS9_10device_ptrItEEEENS9_16discard_iteratorINS9_11use_defaultEEEtNS9_4plusIvEEtEEDaPvRmT3_T4_T5_mT6_P12ihipStream_tbENKUlT_T0_E_clISt17integral_constantIbLb1EESX_EEDaSS_ST_EUlSS_E_NS1_11comp_targetILNS1_3genE10ELNS1_11target_archE1200ELNS1_3gpuE4ELNS1_3repE0EEENS1_30default_config_static_selectorELNS0_4arch9wavefront6targetE1EEEvT1_
; %bb.0:
	.section	.rodata,"a",@progbits
	.p2align	6, 0x0
	.amdhsa_kernel _ZN7rocprim17ROCPRIM_400000_NS6detail17trampoline_kernelINS0_14default_configENS1_20scan_config_selectorItEEZZNS1_9scan_implILNS1_25lookback_scan_determinismE0ELb0ELb0ES3_N6thrust23THRUST_200600_302600_NS6detail15normal_iteratorINS9_10device_ptrItEEEENS9_16discard_iteratorINS9_11use_defaultEEEtNS9_4plusIvEEtEEDaPvRmT3_T4_T5_mT6_P12ihipStream_tbENKUlT_T0_E_clISt17integral_constantIbLb1EESX_EEDaSS_ST_EUlSS_E_NS1_11comp_targetILNS1_3genE10ELNS1_11target_archE1200ELNS1_3gpuE4ELNS1_3repE0EEENS1_30default_config_static_selectorELNS0_4arch9wavefront6targetE1EEEvT1_
		.amdhsa_group_segment_fixed_size 0
		.amdhsa_private_segment_fixed_size 0
		.amdhsa_kernarg_size 104
		.amdhsa_user_sgpr_count 6
		.amdhsa_user_sgpr_private_segment_buffer 1
		.amdhsa_user_sgpr_dispatch_ptr 0
		.amdhsa_user_sgpr_queue_ptr 0
		.amdhsa_user_sgpr_kernarg_segment_ptr 1
		.amdhsa_user_sgpr_dispatch_id 0
		.amdhsa_user_sgpr_flat_scratch_init 0
		.amdhsa_user_sgpr_kernarg_preload_length 0
		.amdhsa_user_sgpr_kernarg_preload_offset 0
		.amdhsa_user_sgpr_private_segment_size 0
		.amdhsa_uses_dynamic_stack 0
		.amdhsa_system_sgpr_private_segment_wavefront_offset 0
		.amdhsa_system_sgpr_workgroup_id_x 1
		.amdhsa_system_sgpr_workgroup_id_y 0
		.amdhsa_system_sgpr_workgroup_id_z 0
		.amdhsa_system_sgpr_workgroup_info 0
		.amdhsa_system_vgpr_workitem_id 0
		.amdhsa_next_free_vgpr 1
		.amdhsa_next_free_sgpr 0
		.amdhsa_accum_offset 4
		.amdhsa_reserve_vcc 0
		.amdhsa_reserve_flat_scratch 0
		.amdhsa_float_round_mode_32 0
		.amdhsa_float_round_mode_16_64 0
		.amdhsa_float_denorm_mode_32 3
		.amdhsa_float_denorm_mode_16_64 3
		.amdhsa_dx10_clamp 1
		.amdhsa_ieee_mode 1
		.amdhsa_fp16_overflow 0
		.amdhsa_tg_split 0
		.amdhsa_exception_fp_ieee_invalid_op 0
		.amdhsa_exception_fp_denorm_src 0
		.amdhsa_exception_fp_ieee_div_zero 0
		.amdhsa_exception_fp_ieee_overflow 0
		.amdhsa_exception_fp_ieee_underflow 0
		.amdhsa_exception_fp_ieee_inexact 0
		.amdhsa_exception_int_div_zero 0
	.end_amdhsa_kernel
	.section	.text._ZN7rocprim17ROCPRIM_400000_NS6detail17trampoline_kernelINS0_14default_configENS1_20scan_config_selectorItEEZZNS1_9scan_implILNS1_25lookback_scan_determinismE0ELb0ELb0ES3_N6thrust23THRUST_200600_302600_NS6detail15normal_iteratorINS9_10device_ptrItEEEENS9_16discard_iteratorINS9_11use_defaultEEEtNS9_4plusIvEEtEEDaPvRmT3_T4_T5_mT6_P12ihipStream_tbENKUlT_T0_E_clISt17integral_constantIbLb1EESX_EEDaSS_ST_EUlSS_E_NS1_11comp_targetILNS1_3genE10ELNS1_11target_archE1200ELNS1_3gpuE4ELNS1_3repE0EEENS1_30default_config_static_selectorELNS0_4arch9wavefront6targetE1EEEvT1_,"axG",@progbits,_ZN7rocprim17ROCPRIM_400000_NS6detail17trampoline_kernelINS0_14default_configENS1_20scan_config_selectorItEEZZNS1_9scan_implILNS1_25lookback_scan_determinismE0ELb0ELb0ES3_N6thrust23THRUST_200600_302600_NS6detail15normal_iteratorINS9_10device_ptrItEEEENS9_16discard_iteratorINS9_11use_defaultEEEtNS9_4plusIvEEtEEDaPvRmT3_T4_T5_mT6_P12ihipStream_tbENKUlT_T0_E_clISt17integral_constantIbLb1EESX_EEDaSS_ST_EUlSS_E_NS1_11comp_targetILNS1_3genE10ELNS1_11target_archE1200ELNS1_3gpuE4ELNS1_3repE0EEENS1_30default_config_static_selectorELNS0_4arch9wavefront6targetE1EEEvT1_,comdat
.Lfunc_end5462:
	.size	_ZN7rocprim17ROCPRIM_400000_NS6detail17trampoline_kernelINS0_14default_configENS1_20scan_config_selectorItEEZZNS1_9scan_implILNS1_25lookback_scan_determinismE0ELb0ELb0ES3_N6thrust23THRUST_200600_302600_NS6detail15normal_iteratorINS9_10device_ptrItEEEENS9_16discard_iteratorINS9_11use_defaultEEEtNS9_4plusIvEEtEEDaPvRmT3_T4_T5_mT6_P12ihipStream_tbENKUlT_T0_E_clISt17integral_constantIbLb1EESX_EEDaSS_ST_EUlSS_E_NS1_11comp_targetILNS1_3genE10ELNS1_11target_archE1200ELNS1_3gpuE4ELNS1_3repE0EEENS1_30default_config_static_selectorELNS0_4arch9wavefront6targetE1EEEvT1_, .Lfunc_end5462-_ZN7rocprim17ROCPRIM_400000_NS6detail17trampoline_kernelINS0_14default_configENS1_20scan_config_selectorItEEZZNS1_9scan_implILNS1_25lookback_scan_determinismE0ELb0ELb0ES3_N6thrust23THRUST_200600_302600_NS6detail15normal_iteratorINS9_10device_ptrItEEEENS9_16discard_iteratorINS9_11use_defaultEEEtNS9_4plusIvEEtEEDaPvRmT3_T4_T5_mT6_P12ihipStream_tbENKUlT_T0_E_clISt17integral_constantIbLb1EESX_EEDaSS_ST_EUlSS_E_NS1_11comp_targetILNS1_3genE10ELNS1_11target_archE1200ELNS1_3gpuE4ELNS1_3repE0EEENS1_30default_config_static_selectorELNS0_4arch9wavefront6targetE1EEEvT1_
                                        ; -- End function
	.section	.AMDGPU.csdata,"",@progbits
; Kernel info:
; codeLenInByte = 0
; NumSgprs: 4
; NumVgprs: 0
; NumAgprs: 0
; TotalNumVgprs: 0
; ScratchSize: 0
; MemoryBound: 0
; FloatMode: 240
; IeeeMode: 1
; LDSByteSize: 0 bytes/workgroup (compile time only)
; SGPRBlocks: 0
; VGPRBlocks: 0
; NumSGPRsForWavesPerEU: 4
; NumVGPRsForWavesPerEU: 1
; AccumOffset: 4
; Occupancy: 8
; WaveLimiterHint : 0
; COMPUTE_PGM_RSRC2:SCRATCH_EN: 0
; COMPUTE_PGM_RSRC2:USER_SGPR: 6
; COMPUTE_PGM_RSRC2:TRAP_HANDLER: 0
; COMPUTE_PGM_RSRC2:TGID_X_EN: 1
; COMPUTE_PGM_RSRC2:TGID_Y_EN: 0
; COMPUTE_PGM_RSRC2:TGID_Z_EN: 0
; COMPUTE_PGM_RSRC2:TIDIG_COMP_CNT: 0
; COMPUTE_PGM_RSRC3_GFX90A:ACCUM_OFFSET: 0
; COMPUTE_PGM_RSRC3_GFX90A:TG_SPLIT: 0
	.section	.text._ZN7rocprim17ROCPRIM_400000_NS6detail17trampoline_kernelINS0_14default_configENS1_20scan_config_selectorItEEZZNS1_9scan_implILNS1_25lookback_scan_determinismE0ELb0ELb0ES3_N6thrust23THRUST_200600_302600_NS6detail15normal_iteratorINS9_10device_ptrItEEEENS9_16discard_iteratorINS9_11use_defaultEEEtNS9_4plusIvEEtEEDaPvRmT3_T4_T5_mT6_P12ihipStream_tbENKUlT_T0_E_clISt17integral_constantIbLb1EESX_EEDaSS_ST_EUlSS_E_NS1_11comp_targetILNS1_3genE9ELNS1_11target_archE1100ELNS1_3gpuE3ELNS1_3repE0EEENS1_30default_config_static_selectorELNS0_4arch9wavefront6targetE1EEEvT1_,"axG",@progbits,_ZN7rocprim17ROCPRIM_400000_NS6detail17trampoline_kernelINS0_14default_configENS1_20scan_config_selectorItEEZZNS1_9scan_implILNS1_25lookback_scan_determinismE0ELb0ELb0ES3_N6thrust23THRUST_200600_302600_NS6detail15normal_iteratorINS9_10device_ptrItEEEENS9_16discard_iteratorINS9_11use_defaultEEEtNS9_4plusIvEEtEEDaPvRmT3_T4_T5_mT6_P12ihipStream_tbENKUlT_T0_E_clISt17integral_constantIbLb1EESX_EEDaSS_ST_EUlSS_E_NS1_11comp_targetILNS1_3genE9ELNS1_11target_archE1100ELNS1_3gpuE3ELNS1_3repE0EEENS1_30default_config_static_selectorELNS0_4arch9wavefront6targetE1EEEvT1_,comdat
	.protected	_ZN7rocprim17ROCPRIM_400000_NS6detail17trampoline_kernelINS0_14default_configENS1_20scan_config_selectorItEEZZNS1_9scan_implILNS1_25lookback_scan_determinismE0ELb0ELb0ES3_N6thrust23THRUST_200600_302600_NS6detail15normal_iteratorINS9_10device_ptrItEEEENS9_16discard_iteratorINS9_11use_defaultEEEtNS9_4plusIvEEtEEDaPvRmT3_T4_T5_mT6_P12ihipStream_tbENKUlT_T0_E_clISt17integral_constantIbLb1EESX_EEDaSS_ST_EUlSS_E_NS1_11comp_targetILNS1_3genE9ELNS1_11target_archE1100ELNS1_3gpuE3ELNS1_3repE0EEENS1_30default_config_static_selectorELNS0_4arch9wavefront6targetE1EEEvT1_ ; -- Begin function _ZN7rocprim17ROCPRIM_400000_NS6detail17trampoline_kernelINS0_14default_configENS1_20scan_config_selectorItEEZZNS1_9scan_implILNS1_25lookback_scan_determinismE0ELb0ELb0ES3_N6thrust23THRUST_200600_302600_NS6detail15normal_iteratorINS9_10device_ptrItEEEENS9_16discard_iteratorINS9_11use_defaultEEEtNS9_4plusIvEEtEEDaPvRmT3_T4_T5_mT6_P12ihipStream_tbENKUlT_T0_E_clISt17integral_constantIbLb1EESX_EEDaSS_ST_EUlSS_E_NS1_11comp_targetILNS1_3genE9ELNS1_11target_archE1100ELNS1_3gpuE3ELNS1_3repE0EEENS1_30default_config_static_selectorELNS0_4arch9wavefront6targetE1EEEvT1_
	.globl	_ZN7rocprim17ROCPRIM_400000_NS6detail17trampoline_kernelINS0_14default_configENS1_20scan_config_selectorItEEZZNS1_9scan_implILNS1_25lookback_scan_determinismE0ELb0ELb0ES3_N6thrust23THRUST_200600_302600_NS6detail15normal_iteratorINS9_10device_ptrItEEEENS9_16discard_iteratorINS9_11use_defaultEEEtNS9_4plusIvEEtEEDaPvRmT3_T4_T5_mT6_P12ihipStream_tbENKUlT_T0_E_clISt17integral_constantIbLb1EESX_EEDaSS_ST_EUlSS_E_NS1_11comp_targetILNS1_3genE9ELNS1_11target_archE1100ELNS1_3gpuE3ELNS1_3repE0EEENS1_30default_config_static_selectorELNS0_4arch9wavefront6targetE1EEEvT1_
	.p2align	8
	.type	_ZN7rocprim17ROCPRIM_400000_NS6detail17trampoline_kernelINS0_14default_configENS1_20scan_config_selectorItEEZZNS1_9scan_implILNS1_25lookback_scan_determinismE0ELb0ELb0ES3_N6thrust23THRUST_200600_302600_NS6detail15normal_iteratorINS9_10device_ptrItEEEENS9_16discard_iteratorINS9_11use_defaultEEEtNS9_4plusIvEEtEEDaPvRmT3_T4_T5_mT6_P12ihipStream_tbENKUlT_T0_E_clISt17integral_constantIbLb1EESX_EEDaSS_ST_EUlSS_E_NS1_11comp_targetILNS1_3genE9ELNS1_11target_archE1100ELNS1_3gpuE3ELNS1_3repE0EEENS1_30default_config_static_selectorELNS0_4arch9wavefront6targetE1EEEvT1_,@function
_ZN7rocprim17ROCPRIM_400000_NS6detail17trampoline_kernelINS0_14default_configENS1_20scan_config_selectorItEEZZNS1_9scan_implILNS1_25lookback_scan_determinismE0ELb0ELb0ES3_N6thrust23THRUST_200600_302600_NS6detail15normal_iteratorINS9_10device_ptrItEEEENS9_16discard_iteratorINS9_11use_defaultEEEtNS9_4plusIvEEtEEDaPvRmT3_T4_T5_mT6_P12ihipStream_tbENKUlT_T0_E_clISt17integral_constantIbLb1EESX_EEDaSS_ST_EUlSS_E_NS1_11comp_targetILNS1_3genE9ELNS1_11target_archE1100ELNS1_3gpuE3ELNS1_3repE0EEENS1_30default_config_static_selectorELNS0_4arch9wavefront6targetE1EEEvT1_: ; @_ZN7rocprim17ROCPRIM_400000_NS6detail17trampoline_kernelINS0_14default_configENS1_20scan_config_selectorItEEZZNS1_9scan_implILNS1_25lookback_scan_determinismE0ELb0ELb0ES3_N6thrust23THRUST_200600_302600_NS6detail15normal_iteratorINS9_10device_ptrItEEEENS9_16discard_iteratorINS9_11use_defaultEEEtNS9_4plusIvEEtEEDaPvRmT3_T4_T5_mT6_P12ihipStream_tbENKUlT_T0_E_clISt17integral_constantIbLb1EESX_EEDaSS_ST_EUlSS_E_NS1_11comp_targetILNS1_3genE9ELNS1_11target_archE1100ELNS1_3gpuE3ELNS1_3repE0EEENS1_30default_config_static_selectorELNS0_4arch9wavefront6targetE1EEEvT1_
; %bb.0:
	.section	.rodata,"a",@progbits
	.p2align	6, 0x0
	.amdhsa_kernel _ZN7rocprim17ROCPRIM_400000_NS6detail17trampoline_kernelINS0_14default_configENS1_20scan_config_selectorItEEZZNS1_9scan_implILNS1_25lookback_scan_determinismE0ELb0ELb0ES3_N6thrust23THRUST_200600_302600_NS6detail15normal_iteratorINS9_10device_ptrItEEEENS9_16discard_iteratorINS9_11use_defaultEEEtNS9_4plusIvEEtEEDaPvRmT3_T4_T5_mT6_P12ihipStream_tbENKUlT_T0_E_clISt17integral_constantIbLb1EESX_EEDaSS_ST_EUlSS_E_NS1_11comp_targetILNS1_3genE9ELNS1_11target_archE1100ELNS1_3gpuE3ELNS1_3repE0EEENS1_30default_config_static_selectorELNS0_4arch9wavefront6targetE1EEEvT1_
		.amdhsa_group_segment_fixed_size 0
		.amdhsa_private_segment_fixed_size 0
		.amdhsa_kernarg_size 104
		.amdhsa_user_sgpr_count 6
		.amdhsa_user_sgpr_private_segment_buffer 1
		.amdhsa_user_sgpr_dispatch_ptr 0
		.amdhsa_user_sgpr_queue_ptr 0
		.amdhsa_user_sgpr_kernarg_segment_ptr 1
		.amdhsa_user_sgpr_dispatch_id 0
		.amdhsa_user_sgpr_flat_scratch_init 0
		.amdhsa_user_sgpr_kernarg_preload_length 0
		.amdhsa_user_sgpr_kernarg_preload_offset 0
		.amdhsa_user_sgpr_private_segment_size 0
		.amdhsa_uses_dynamic_stack 0
		.amdhsa_system_sgpr_private_segment_wavefront_offset 0
		.amdhsa_system_sgpr_workgroup_id_x 1
		.amdhsa_system_sgpr_workgroup_id_y 0
		.amdhsa_system_sgpr_workgroup_id_z 0
		.amdhsa_system_sgpr_workgroup_info 0
		.amdhsa_system_vgpr_workitem_id 0
		.amdhsa_next_free_vgpr 1
		.amdhsa_next_free_sgpr 0
		.amdhsa_accum_offset 4
		.amdhsa_reserve_vcc 0
		.amdhsa_reserve_flat_scratch 0
		.amdhsa_float_round_mode_32 0
		.amdhsa_float_round_mode_16_64 0
		.amdhsa_float_denorm_mode_32 3
		.amdhsa_float_denorm_mode_16_64 3
		.amdhsa_dx10_clamp 1
		.amdhsa_ieee_mode 1
		.amdhsa_fp16_overflow 0
		.amdhsa_tg_split 0
		.amdhsa_exception_fp_ieee_invalid_op 0
		.amdhsa_exception_fp_denorm_src 0
		.amdhsa_exception_fp_ieee_div_zero 0
		.amdhsa_exception_fp_ieee_overflow 0
		.amdhsa_exception_fp_ieee_underflow 0
		.amdhsa_exception_fp_ieee_inexact 0
		.amdhsa_exception_int_div_zero 0
	.end_amdhsa_kernel
	.section	.text._ZN7rocprim17ROCPRIM_400000_NS6detail17trampoline_kernelINS0_14default_configENS1_20scan_config_selectorItEEZZNS1_9scan_implILNS1_25lookback_scan_determinismE0ELb0ELb0ES3_N6thrust23THRUST_200600_302600_NS6detail15normal_iteratorINS9_10device_ptrItEEEENS9_16discard_iteratorINS9_11use_defaultEEEtNS9_4plusIvEEtEEDaPvRmT3_T4_T5_mT6_P12ihipStream_tbENKUlT_T0_E_clISt17integral_constantIbLb1EESX_EEDaSS_ST_EUlSS_E_NS1_11comp_targetILNS1_3genE9ELNS1_11target_archE1100ELNS1_3gpuE3ELNS1_3repE0EEENS1_30default_config_static_selectorELNS0_4arch9wavefront6targetE1EEEvT1_,"axG",@progbits,_ZN7rocprim17ROCPRIM_400000_NS6detail17trampoline_kernelINS0_14default_configENS1_20scan_config_selectorItEEZZNS1_9scan_implILNS1_25lookback_scan_determinismE0ELb0ELb0ES3_N6thrust23THRUST_200600_302600_NS6detail15normal_iteratorINS9_10device_ptrItEEEENS9_16discard_iteratorINS9_11use_defaultEEEtNS9_4plusIvEEtEEDaPvRmT3_T4_T5_mT6_P12ihipStream_tbENKUlT_T0_E_clISt17integral_constantIbLb1EESX_EEDaSS_ST_EUlSS_E_NS1_11comp_targetILNS1_3genE9ELNS1_11target_archE1100ELNS1_3gpuE3ELNS1_3repE0EEENS1_30default_config_static_selectorELNS0_4arch9wavefront6targetE1EEEvT1_,comdat
.Lfunc_end5463:
	.size	_ZN7rocprim17ROCPRIM_400000_NS6detail17trampoline_kernelINS0_14default_configENS1_20scan_config_selectorItEEZZNS1_9scan_implILNS1_25lookback_scan_determinismE0ELb0ELb0ES3_N6thrust23THRUST_200600_302600_NS6detail15normal_iteratorINS9_10device_ptrItEEEENS9_16discard_iteratorINS9_11use_defaultEEEtNS9_4plusIvEEtEEDaPvRmT3_T4_T5_mT6_P12ihipStream_tbENKUlT_T0_E_clISt17integral_constantIbLb1EESX_EEDaSS_ST_EUlSS_E_NS1_11comp_targetILNS1_3genE9ELNS1_11target_archE1100ELNS1_3gpuE3ELNS1_3repE0EEENS1_30default_config_static_selectorELNS0_4arch9wavefront6targetE1EEEvT1_, .Lfunc_end5463-_ZN7rocprim17ROCPRIM_400000_NS6detail17trampoline_kernelINS0_14default_configENS1_20scan_config_selectorItEEZZNS1_9scan_implILNS1_25lookback_scan_determinismE0ELb0ELb0ES3_N6thrust23THRUST_200600_302600_NS6detail15normal_iteratorINS9_10device_ptrItEEEENS9_16discard_iteratorINS9_11use_defaultEEEtNS9_4plusIvEEtEEDaPvRmT3_T4_T5_mT6_P12ihipStream_tbENKUlT_T0_E_clISt17integral_constantIbLb1EESX_EEDaSS_ST_EUlSS_E_NS1_11comp_targetILNS1_3genE9ELNS1_11target_archE1100ELNS1_3gpuE3ELNS1_3repE0EEENS1_30default_config_static_selectorELNS0_4arch9wavefront6targetE1EEEvT1_
                                        ; -- End function
	.section	.AMDGPU.csdata,"",@progbits
; Kernel info:
; codeLenInByte = 0
; NumSgprs: 4
; NumVgprs: 0
; NumAgprs: 0
; TotalNumVgprs: 0
; ScratchSize: 0
; MemoryBound: 0
; FloatMode: 240
; IeeeMode: 1
; LDSByteSize: 0 bytes/workgroup (compile time only)
; SGPRBlocks: 0
; VGPRBlocks: 0
; NumSGPRsForWavesPerEU: 4
; NumVGPRsForWavesPerEU: 1
; AccumOffset: 4
; Occupancy: 8
; WaveLimiterHint : 0
; COMPUTE_PGM_RSRC2:SCRATCH_EN: 0
; COMPUTE_PGM_RSRC2:USER_SGPR: 6
; COMPUTE_PGM_RSRC2:TRAP_HANDLER: 0
; COMPUTE_PGM_RSRC2:TGID_X_EN: 1
; COMPUTE_PGM_RSRC2:TGID_Y_EN: 0
; COMPUTE_PGM_RSRC2:TGID_Z_EN: 0
; COMPUTE_PGM_RSRC2:TIDIG_COMP_CNT: 0
; COMPUTE_PGM_RSRC3_GFX90A:ACCUM_OFFSET: 0
; COMPUTE_PGM_RSRC3_GFX90A:TG_SPLIT: 0
	.section	.text._ZN7rocprim17ROCPRIM_400000_NS6detail17trampoline_kernelINS0_14default_configENS1_20scan_config_selectorItEEZZNS1_9scan_implILNS1_25lookback_scan_determinismE0ELb0ELb0ES3_N6thrust23THRUST_200600_302600_NS6detail15normal_iteratorINS9_10device_ptrItEEEENS9_16discard_iteratorINS9_11use_defaultEEEtNS9_4plusIvEEtEEDaPvRmT3_T4_T5_mT6_P12ihipStream_tbENKUlT_T0_E_clISt17integral_constantIbLb1EESX_EEDaSS_ST_EUlSS_E_NS1_11comp_targetILNS1_3genE8ELNS1_11target_archE1030ELNS1_3gpuE2ELNS1_3repE0EEENS1_30default_config_static_selectorELNS0_4arch9wavefront6targetE1EEEvT1_,"axG",@progbits,_ZN7rocprim17ROCPRIM_400000_NS6detail17trampoline_kernelINS0_14default_configENS1_20scan_config_selectorItEEZZNS1_9scan_implILNS1_25lookback_scan_determinismE0ELb0ELb0ES3_N6thrust23THRUST_200600_302600_NS6detail15normal_iteratorINS9_10device_ptrItEEEENS9_16discard_iteratorINS9_11use_defaultEEEtNS9_4plusIvEEtEEDaPvRmT3_T4_T5_mT6_P12ihipStream_tbENKUlT_T0_E_clISt17integral_constantIbLb1EESX_EEDaSS_ST_EUlSS_E_NS1_11comp_targetILNS1_3genE8ELNS1_11target_archE1030ELNS1_3gpuE2ELNS1_3repE0EEENS1_30default_config_static_selectorELNS0_4arch9wavefront6targetE1EEEvT1_,comdat
	.protected	_ZN7rocprim17ROCPRIM_400000_NS6detail17trampoline_kernelINS0_14default_configENS1_20scan_config_selectorItEEZZNS1_9scan_implILNS1_25lookback_scan_determinismE0ELb0ELb0ES3_N6thrust23THRUST_200600_302600_NS6detail15normal_iteratorINS9_10device_ptrItEEEENS9_16discard_iteratorINS9_11use_defaultEEEtNS9_4plusIvEEtEEDaPvRmT3_T4_T5_mT6_P12ihipStream_tbENKUlT_T0_E_clISt17integral_constantIbLb1EESX_EEDaSS_ST_EUlSS_E_NS1_11comp_targetILNS1_3genE8ELNS1_11target_archE1030ELNS1_3gpuE2ELNS1_3repE0EEENS1_30default_config_static_selectorELNS0_4arch9wavefront6targetE1EEEvT1_ ; -- Begin function _ZN7rocprim17ROCPRIM_400000_NS6detail17trampoline_kernelINS0_14default_configENS1_20scan_config_selectorItEEZZNS1_9scan_implILNS1_25lookback_scan_determinismE0ELb0ELb0ES3_N6thrust23THRUST_200600_302600_NS6detail15normal_iteratorINS9_10device_ptrItEEEENS9_16discard_iteratorINS9_11use_defaultEEEtNS9_4plusIvEEtEEDaPvRmT3_T4_T5_mT6_P12ihipStream_tbENKUlT_T0_E_clISt17integral_constantIbLb1EESX_EEDaSS_ST_EUlSS_E_NS1_11comp_targetILNS1_3genE8ELNS1_11target_archE1030ELNS1_3gpuE2ELNS1_3repE0EEENS1_30default_config_static_selectorELNS0_4arch9wavefront6targetE1EEEvT1_
	.globl	_ZN7rocprim17ROCPRIM_400000_NS6detail17trampoline_kernelINS0_14default_configENS1_20scan_config_selectorItEEZZNS1_9scan_implILNS1_25lookback_scan_determinismE0ELb0ELb0ES3_N6thrust23THRUST_200600_302600_NS6detail15normal_iteratorINS9_10device_ptrItEEEENS9_16discard_iteratorINS9_11use_defaultEEEtNS9_4plusIvEEtEEDaPvRmT3_T4_T5_mT6_P12ihipStream_tbENKUlT_T0_E_clISt17integral_constantIbLb1EESX_EEDaSS_ST_EUlSS_E_NS1_11comp_targetILNS1_3genE8ELNS1_11target_archE1030ELNS1_3gpuE2ELNS1_3repE0EEENS1_30default_config_static_selectorELNS0_4arch9wavefront6targetE1EEEvT1_
	.p2align	8
	.type	_ZN7rocprim17ROCPRIM_400000_NS6detail17trampoline_kernelINS0_14default_configENS1_20scan_config_selectorItEEZZNS1_9scan_implILNS1_25lookback_scan_determinismE0ELb0ELb0ES3_N6thrust23THRUST_200600_302600_NS6detail15normal_iteratorINS9_10device_ptrItEEEENS9_16discard_iteratorINS9_11use_defaultEEEtNS9_4plusIvEEtEEDaPvRmT3_T4_T5_mT6_P12ihipStream_tbENKUlT_T0_E_clISt17integral_constantIbLb1EESX_EEDaSS_ST_EUlSS_E_NS1_11comp_targetILNS1_3genE8ELNS1_11target_archE1030ELNS1_3gpuE2ELNS1_3repE0EEENS1_30default_config_static_selectorELNS0_4arch9wavefront6targetE1EEEvT1_,@function
_ZN7rocprim17ROCPRIM_400000_NS6detail17trampoline_kernelINS0_14default_configENS1_20scan_config_selectorItEEZZNS1_9scan_implILNS1_25lookback_scan_determinismE0ELb0ELb0ES3_N6thrust23THRUST_200600_302600_NS6detail15normal_iteratorINS9_10device_ptrItEEEENS9_16discard_iteratorINS9_11use_defaultEEEtNS9_4plusIvEEtEEDaPvRmT3_T4_T5_mT6_P12ihipStream_tbENKUlT_T0_E_clISt17integral_constantIbLb1EESX_EEDaSS_ST_EUlSS_E_NS1_11comp_targetILNS1_3genE8ELNS1_11target_archE1030ELNS1_3gpuE2ELNS1_3repE0EEENS1_30default_config_static_selectorELNS0_4arch9wavefront6targetE1EEEvT1_: ; @_ZN7rocprim17ROCPRIM_400000_NS6detail17trampoline_kernelINS0_14default_configENS1_20scan_config_selectorItEEZZNS1_9scan_implILNS1_25lookback_scan_determinismE0ELb0ELb0ES3_N6thrust23THRUST_200600_302600_NS6detail15normal_iteratorINS9_10device_ptrItEEEENS9_16discard_iteratorINS9_11use_defaultEEEtNS9_4plusIvEEtEEDaPvRmT3_T4_T5_mT6_P12ihipStream_tbENKUlT_T0_E_clISt17integral_constantIbLb1EESX_EEDaSS_ST_EUlSS_E_NS1_11comp_targetILNS1_3genE8ELNS1_11target_archE1030ELNS1_3gpuE2ELNS1_3repE0EEENS1_30default_config_static_selectorELNS0_4arch9wavefront6targetE1EEEvT1_
; %bb.0:
	.section	.rodata,"a",@progbits
	.p2align	6, 0x0
	.amdhsa_kernel _ZN7rocprim17ROCPRIM_400000_NS6detail17trampoline_kernelINS0_14default_configENS1_20scan_config_selectorItEEZZNS1_9scan_implILNS1_25lookback_scan_determinismE0ELb0ELb0ES3_N6thrust23THRUST_200600_302600_NS6detail15normal_iteratorINS9_10device_ptrItEEEENS9_16discard_iteratorINS9_11use_defaultEEEtNS9_4plusIvEEtEEDaPvRmT3_T4_T5_mT6_P12ihipStream_tbENKUlT_T0_E_clISt17integral_constantIbLb1EESX_EEDaSS_ST_EUlSS_E_NS1_11comp_targetILNS1_3genE8ELNS1_11target_archE1030ELNS1_3gpuE2ELNS1_3repE0EEENS1_30default_config_static_selectorELNS0_4arch9wavefront6targetE1EEEvT1_
		.amdhsa_group_segment_fixed_size 0
		.amdhsa_private_segment_fixed_size 0
		.amdhsa_kernarg_size 104
		.amdhsa_user_sgpr_count 6
		.amdhsa_user_sgpr_private_segment_buffer 1
		.amdhsa_user_sgpr_dispatch_ptr 0
		.amdhsa_user_sgpr_queue_ptr 0
		.amdhsa_user_sgpr_kernarg_segment_ptr 1
		.amdhsa_user_sgpr_dispatch_id 0
		.amdhsa_user_sgpr_flat_scratch_init 0
		.amdhsa_user_sgpr_kernarg_preload_length 0
		.amdhsa_user_sgpr_kernarg_preload_offset 0
		.amdhsa_user_sgpr_private_segment_size 0
		.amdhsa_uses_dynamic_stack 0
		.amdhsa_system_sgpr_private_segment_wavefront_offset 0
		.amdhsa_system_sgpr_workgroup_id_x 1
		.amdhsa_system_sgpr_workgroup_id_y 0
		.amdhsa_system_sgpr_workgroup_id_z 0
		.amdhsa_system_sgpr_workgroup_info 0
		.amdhsa_system_vgpr_workitem_id 0
		.amdhsa_next_free_vgpr 1
		.amdhsa_next_free_sgpr 0
		.amdhsa_accum_offset 4
		.amdhsa_reserve_vcc 0
		.amdhsa_reserve_flat_scratch 0
		.amdhsa_float_round_mode_32 0
		.amdhsa_float_round_mode_16_64 0
		.amdhsa_float_denorm_mode_32 3
		.amdhsa_float_denorm_mode_16_64 3
		.amdhsa_dx10_clamp 1
		.amdhsa_ieee_mode 1
		.amdhsa_fp16_overflow 0
		.amdhsa_tg_split 0
		.amdhsa_exception_fp_ieee_invalid_op 0
		.amdhsa_exception_fp_denorm_src 0
		.amdhsa_exception_fp_ieee_div_zero 0
		.amdhsa_exception_fp_ieee_overflow 0
		.amdhsa_exception_fp_ieee_underflow 0
		.amdhsa_exception_fp_ieee_inexact 0
		.amdhsa_exception_int_div_zero 0
	.end_amdhsa_kernel
	.section	.text._ZN7rocprim17ROCPRIM_400000_NS6detail17trampoline_kernelINS0_14default_configENS1_20scan_config_selectorItEEZZNS1_9scan_implILNS1_25lookback_scan_determinismE0ELb0ELb0ES3_N6thrust23THRUST_200600_302600_NS6detail15normal_iteratorINS9_10device_ptrItEEEENS9_16discard_iteratorINS9_11use_defaultEEEtNS9_4plusIvEEtEEDaPvRmT3_T4_T5_mT6_P12ihipStream_tbENKUlT_T0_E_clISt17integral_constantIbLb1EESX_EEDaSS_ST_EUlSS_E_NS1_11comp_targetILNS1_3genE8ELNS1_11target_archE1030ELNS1_3gpuE2ELNS1_3repE0EEENS1_30default_config_static_selectorELNS0_4arch9wavefront6targetE1EEEvT1_,"axG",@progbits,_ZN7rocprim17ROCPRIM_400000_NS6detail17trampoline_kernelINS0_14default_configENS1_20scan_config_selectorItEEZZNS1_9scan_implILNS1_25lookback_scan_determinismE0ELb0ELb0ES3_N6thrust23THRUST_200600_302600_NS6detail15normal_iteratorINS9_10device_ptrItEEEENS9_16discard_iteratorINS9_11use_defaultEEEtNS9_4plusIvEEtEEDaPvRmT3_T4_T5_mT6_P12ihipStream_tbENKUlT_T0_E_clISt17integral_constantIbLb1EESX_EEDaSS_ST_EUlSS_E_NS1_11comp_targetILNS1_3genE8ELNS1_11target_archE1030ELNS1_3gpuE2ELNS1_3repE0EEENS1_30default_config_static_selectorELNS0_4arch9wavefront6targetE1EEEvT1_,comdat
.Lfunc_end5464:
	.size	_ZN7rocprim17ROCPRIM_400000_NS6detail17trampoline_kernelINS0_14default_configENS1_20scan_config_selectorItEEZZNS1_9scan_implILNS1_25lookback_scan_determinismE0ELb0ELb0ES3_N6thrust23THRUST_200600_302600_NS6detail15normal_iteratorINS9_10device_ptrItEEEENS9_16discard_iteratorINS9_11use_defaultEEEtNS9_4plusIvEEtEEDaPvRmT3_T4_T5_mT6_P12ihipStream_tbENKUlT_T0_E_clISt17integral_constantIbLb1EESX_EEDaSS_ST_EUlSS_E_NS1_11comp_targetILNS1_3genE8ELNS1_11target_archE1030ELNS1_3gpuE2ELNS1_3repE0EEENS1_30default_config_static_selectorELNS0_4arch9wavefront6targetE1EEEvT1_, .Lfunc_end5464-_ZN7rocprim17ROCPRIM_400000_NS6detail17trampoline_kernelINS0_14default_configENS1_20scan_config_selectorItEEZZNS1_9scan_implILNS1_25lookback_scan_determinismE0ELb0ELb0ES3_N6thrust23THRUST_200600_302600_NS6detail15normal_iteratorINS9_10device_ptrItEEEENS9_16discard_iteratorINS9_11use_defaultEEEtNS9_4plusIvEEtEEDaPvRmT3_T4_T5_mT6_P12ihipStream_tbENKUlT_T0_E_clISt17integral_constantIbLb1EESX_EEDaSS_ST_EUlSS_E_NS1_11comp_targetILNS1_3genE8ELNS1_11target_archE1030ELNS1_3gpuE2ELNS1_3repE0EEENS1_30default_config_static_selectorELNS0_4arch9wavefront6targetE1EEEvT1_
                                        ; -- End function
	.section	.AMDGPU.csdata,"",@progbits
; Kernel info:
; codeLenInByte = 0
; NumSgprs: 4
; NumVgprs: 0
; NumAgprs: 0
; TotalNumVgprs: 0
; ScratchSize: 0
; MemoryBound: 0
; FloatMode: 240
; IeeeMode: 1
; LDSByteSize: 0 bytes/workgroup (compile time only)
; SGPRBlocks: 0
; VGPRBlocks: 0
; NumSGPRsForWavesPerEU: 4
; NumVGPRsForWavesPerEU: 1
; AccumOffset: 4
; Occupancy: 8
; WaveLimiterHint : 0
; COMPUTE_PGM_RSRC2:SCRATCH_EN: 0
; COMPUTE_PGM_RSRC2:USER_SGPR: 6
; COMPUTE_PGM_RSRC2:TRAP_HANDLER: 0
; COMPUTE_PGM_RSRC2:TGID_X_EN: 1
; COMPUTE_PGM_RSRC2:TGID_Y_EN: 0
; COMPUTE_PGM_RSRC2:TGID_Z_EN: 0
; COMPUTE_PGM_RSRC2:TIDIG_COMP_CNT: 0
; COMPUTE_PGM_RSRC3_GFX90A:ACCUM_OFFSET: 0
; COMPUTE_PGM_RSRC3_GFX90A:TG_SPLIT: 0
	.section	.text._ZN7rocprim17ROCPRIM_400000_NS6detail17trampoline_kernelINS0_14default_configENS1_20scan_config_selectorItEEZZNS1_9scan_implILNS1_25lookback_scan_determinismE0ELb0ELb0ES3_N6thrust23THRUST_200600_302600_NS6detail15normal_iteratorINS9_10device_ptrItEEEENS9_16discard_iteratorINS9_11use_defaultEEEtNS9_4plusIvEEtEEDaPvRmT3_T4_T5_mT6_P12ihipStream_tbENKUlT_T0_E_clISt17integral_constantIbLb1EESX_EEDaSS_ST_EUlSS_E0_NS1_11comp_targetILNS1_3genE0ELNS1_11target_archE4294967295ELNS1_3gpuE0ELNS1_3repE0EEENS1_30default_config_static_selectorELNS0_4arch9wavefront6targetE1EEEvT1_,"axG",@progbits,_ZN7rocprim17ROCPRIM_400000_NS6detail17trampoline_kernelINS0_14default_configENS1_20scan_config_selectorItEEZZNS1_9scan_implILNS1_25lookback_scan_determinismE0ELb0ELb0ES3_N6thrust23THRUST_200600_302600_NS6detail15normal_iteratorINS9_10device_ptrItEEEENS9_16discard_iteratorINS9_11use_defaultEEEtNS9_4plusIvEEtEEDaPvRmT3_T4_T5_mT6_P12ihipStream_tbENKUlT_T0_E_clISt17integral_constantIbLb1EESX_EEDaSS_ST_EUlSS_E0_NS1_11comp_targetILNS1_3genE0ELNS1_11target_archE4294967295ELNS1_3gpuE0ELNS1_3repE0EEENS1_30default_config_static_selectorELNS0_4arch9wavefront6targetE1EEEvT1_,comdat
	.protected	_ZN7rocprim17ROCPRIM_400000_NS6detail17trampoline_kernelINS0_14default_configENS1_20scan_config_selectorItEEZZNS1_9scan_implILNS1_25lookback_scan_determinismE0ELb0ELb0ES3_N6thrust23THRUST_200600_302600_NS6detail15normal_iteratorINS9_10device_ptrItEEEENS9_16discard_iteratorINS9_11use_defaultEEEtNS9_4plusIvEEtEEDaPvRmT3_T4_T5_mT6_P12ihipStream_tbENKUlT_T0_E_clISt17integral_constantIbLb1EESX_EEDaSS_ST_EUlSS_E0_NS1_11comp_targetILNS1_3genE0ELNS1_11target_archE4294967295ELNS1_3gpuE0ELNS1_3repE0EEENS1_30default_config_static_selectorELNS0_4arch9wavefront6targetE1EEEvT1_ ; -- Begin function _ZN7rocprim17ROCPRIM_400000_NS6detail17trampoline_kernelINS0_14default_configENS1_20scan_config_selectorItEEZZNS1_9scan_implILNS1_25lookback_scan_determinismE0ELb0ELb0ES3_N6thrust23THRUST_200600_302600_NS6detail15normal_iteratorINS9_10device_ptrItEEEENS9_16discard_iteratorINS9_11use_defaultEEEtNS9_4plusIvEEtEEDaPvRmT3_T4_T5_mT6_P12ihipStream_tbENKUlT_T0_E_clISt17integral_constantIbLb1EESX_EEDaSS_ST_EUlSS_E0_NS1_11comp_targetILNS1_3genE0ELNS1_11target_archE4294967295ELNS1_3gpuE0ELNS1_3repE0EEENS1_30default_config_static_selectorELNS0_4arch9wavefront6targetE1EEEvT1_
	.globl	_ZN7rocprim17ROCPRIM_400000_NS6detail17trampoline_kernelINS0_14default_configENS1_20scan_config_selectorItEEZZNS1_9scan_implILNS1_25lookback_scan_determinismE0ELb0ELb0ES3_N6thrust23THRUST_200600_302600_NS6detail15normal_iteratorINS9_10device_ptrItEEEENS9_16discard_iteratorINS9_11use_defaultEEEtNS9_4plusIvEEtEEDaPvRmT3_T4_T5_mT6_P12ihipStream_tbENKUlT_T0_E_clISt17integral_constantIbLb1EESX_EEDaSS_ST_EUlSS_E0_NS1_11comp_targetILNS1_3genE0ELNS1_11target_archE4294967295ELNS1_3gpuE0ELNS1_3repE0EEENS1_30default_config_static_selectorELNS0_4arch9wavefront6targetE1EEEvT1_
	.p2align	8
	.type	_ZN7rocprim17ROCPRIM_400000_NS6detail17trampoline_kernelINS0_14default_configENS1_20scan_config_selectorItEEZZNS1_9scan_implILNS1_25lookback_scan_determinismE0ELb0ELb0ES3_N6thrust23THRUST_200600_302600_NS6detail15normal_iteratorINS9_10device_ptrItEEEENS9_16discard_iteratorINS9_11use_defaultEEEtNS9_4plusIvEEtEEDaPvRmT3_T4_T5_mT6_P12ihipStream_tbENKUlT_T0_E_clISt17integral_constantIbLb1EESX_EEDaSS_ST_EUlSS_E0_NS1_11comp_targetILNS1_3genE0ELNS1_11target_archE4294967295ELNS1_3gpuE0ELNS1_3repE0EEENS1_30default_config_static_selectorELNS0_4arch9wavefront6targetE1EEEvT1_,@function
_ZN7rocprim17ROCPRIM_400000_NS6detail17trampoline_kernelINS0_14default_configENS1_20scan_config_selectorItEEZZNS1_9scan_implILNS1_25lookback_scan_determinismE0ELb0ELb0ES3_N6thrust23THRUST_200600_302600_NS6detail15normal_iteratorINS9_10device_ptrItEEEENS9_16discard_iteratorINS9_11use_defaultEEEtNS9_4plusIvEEtEEDaPvRmT3_T4_T5_mT6_P12ihipStream_tbENKUlT_T0_E_clISt17integral_constantIbLb1EESX_EEDaSS_ST_EUlSS_E0_NS1_11comp_targetILNS1_3genE0ELNS1_11target_archE4294967295ELNS1_3gpuE0ELNS1_3repE0EEENS1_30default_config_static_selectorELNS0_4arch9wavefront6targetE1EEEvT1_: ; @_ZN7rocprim17ROCPRIM_400000_NS6detail17trampoline_kernelINS0_14default_configENS1_20scan_config_selectorItEEZZNS1_9scan_implILNS1_25lookback_scan_determinismE0ELb0ELb0ES3_N6thrust23THRUST_200600_302600_NS6detail15normal_iteratorINS9_10device_ptrItEEEENS9_16discard_iteratorINS9_11use_defaultEEEtNS9_4plusIvEEtEEDaPvRmT3_T4_T5_mT6_P12ihipStream_tbENKUlT_T0_E_clISt17integral_constantIbLb1EESX_EEDaSS_ST_EUlSS_E0_NS1_11comp_targetILNS1_3genE0ELNS1_11target_archE4294967295ELNS1_3gpuE0ELNS1_3repE0EEENS1_30default_config_static_selectorELNS0_4arch9wavefront6targetE1EEEvT1_
; %bb.0:
	.section	.rodata,"a",@progbits
	.p2align	6, 0x0
	.amdhsa_kernel _ZN7rocprim17ROCPRIM_400000_NS6detail17trampoline_kernelINS0_14default_configENS1_20scan_config_selectorItEEZZNS1_9scan_implILNS1_25lookback_scan_determinismE0ELb0ELb0ES3_N6thrust23THRUST_200600_302600_NS6detail15normal_iteratorINS9_10device_ptrItEEEENS9_16discard_iteratorINS9_11use_defaultEEEtNS9_4plusIvEEtEEDaPvRmT3_T4_T5_mT6_P12ihipStream_tbENKUlT_T0_E_clISt17integral_constantIbLb1EESX_EEDaSS_ST_EUlSS_E0_NS1_11comp_targetILNS1_3genE0ELNS1_11target_archE4294967295ELNS1_3gpuE0ELNS1_3repE0EEENS1_30default_config_static_selectorELNS0_4arch9wavefront6targetE1EEEvT1_
		.amdhsa_group_segment_fixed_size 0
		.amdhsa_private_segment_fixed_size 0
		.amdhsa_kernarg_size 40
		.amdhsa_user_sgpr_count 6
		.amdhsa_user_sgpr_private_segment_buffer 1
		.amdhsa_user_sgpr_dispatch_ptr 0
		.amdhsa_user_sgpr_queue_ptr 0
		.amdhsa_user_sgpr_kernarg_segment_ptr 1
		.amdhsa_user_sgpr_dispatch_id 0
		.amdhsa_user_sgpr_flat_scratch_init 0
		.amdhsa_user_sgpr_kernarg_preload_length 0
		.amdhsa_user_sgpr_kernarg_preload_offset 0
		.amdhsa_user_sgpr_private_segment_size 0
		.amdhsa_uses_dynamic_stack 0
		.amdhsa_system_sgpr_private_segment_wavefront_offset 0
		.amdhsa_system_sgpr_workgroup_id_x 1
		.amdhsa_system_sgpr_workgroup_id_y 0
		.amdhsa_system_sgpr_workgroup_id_z 0
		.amdhsa_system_sgpr_workgroup_info 0
		.amdhsa_system_vgpr_workitem_id 0
		.amdhsa_next_free_vgpr 1
		.amdhsa_next_free_sgpr 0
		.amdhsa_accum_offset 4
		.amdhsa_reserve_vcc 0
		.amdhsa_reserve_flat_scratch 0
		.amdhsa_float_round_mode_32 0
		.amdhsa_float_round_mode_16_64 0
		.amdhsa_float_denorm_mode_32 3
		.amdhsa_float_denorm_mode_16_64 3
		.amdhsa_dx10_clamp 1
		.amdhsa_ieee_mode 1
		.amdhsa_fp16_overflow 0
		.amdhsa_tg_split 0
		.amdhsa_exception_fp_ieee_invalid_op 0
		.amdhsa_exception_fp_denorm_src 0
		.amdhsa_exception_fp_ieee_div_zero 0
		.amdhsa_exception_fp_ieee_overflow 0
		.amdhsa_exception_fp_ieee_underflow 0
		.amdhsa_exception_fp_ieee_inexact 0
		.amdhsa_exception_int_div_zero 0
	.end_amdhsa_kernel
	.section	.text._ZN7rocprim17ROCPRIM_400000_NS6detail17trampoline_kernelINS0_14default_configENS1_20scan_config_selectorItEEZZNS1_9scan_implILNS1_25lookback_scan_determinismE0ELb0ELb0ES3_N6thrust23THRUST_200600_302600_NS6detail15normal_iteratorINS9_10device_ptrItEEEENS9_16discard_iteratorINS9_11use_defaultEEEtNS9_4plusIvEEtEEDaPvRmT3_T4_T5_mT6_P12ihipStream_tbENKUlT_T0_E_clISt17integral_constantIbLb1EESX_EEDaSS_ST_EUlSS_E0_NS1_11comp_targetILNS1_3genE0ELNS1_11target_archE4294967295ELNS1_3gpuE0ELNS1_3repE0EEENS1_30default_config_static_selectorELNS0_4arch9wavefront6targetE1EEEvT1_,"axG",@progbits,_ZN7rocprim17ROCPRIM_400000_NS6detail17trampoline_kernelINS0_14default_configENS1_20scan_config_selectorItEEZZNS1_9scan_implILNS1_25lookback_scan_determinismE0ELb0ELb0ES3_N6thrust23THRUST_200600_302600_NS6detail15normal_iteratorINS9_10device_ptrItEEEENS9_16discard_iteratorINS9_11use_defaultEEEtNS9_4plusIvEEtEEDaPvRmT3_T4_T5_mT6_P12ihipStream_tbENKUlT_T0_E_clISt17integral_constantIbLb1EESX_EEDaSS_ST_EUlSS_E0_NS1_11comp_targetILNS1_3genE0ELNS1_11target_archE4294967295ELNS1_3gpuE0ELNS1_3repE0EEENS1_30default_config_static_selectorELNS0_4arch9wavefront6targetE1EEEvT1_,comdat
.Lfunc_end5465:
	.size	_ZN7rocprim17ROCPRIM_400000_NS6detail17trampoline_kernelINS0_14default_configENS1_20scan_config_selectorItEEZZNS1_9scan_implILNS1_25lookback_scan_determinismE0ELb0ELb0ES3_N6thrust23THRUST_200600_302600_NS6detail15normal_iteratorINS9_10device_ptrItEEEENS9_16discard_iteratorINS9_11use_defaultEEEtNS9_4plusIvEEtEEDaPvRmT3_T4_T5_mT6_P12ihipStream_tbENKUlT_T0_E_clISt17integral_constantIbLb1EESX_EEDaSS_ST_EUlSS_E0_NS1_11comp_targetILNS1_3genE0ELNS1_11target_archE4294967295ELNS1_3gpuE0ELNS1_3repE0EEENS1_30default_config_static_selectorELNS0_4arch9wavefront6targetE1EEEvT1_, .Lfunc_end5465-_ZN7rocprim17ROCPRIM_400000_NS6detail17trampoline_kernelINS0_14default_configENS1_20scan_config_selectorItEEZZNS1_9scan_implILNS1_25lookback_scan_determinismE0ELb0ELb0ES3_N6thrust23THRUST_200600_302600_NS6detail15normal_iteratorINS9_10device_ptrItEEEENS9_16discard_iteratorINS9_11use_defaultEEEtNS9_4plusIvEEtEEDaPvRmT3_T4_T5_mT6_P12ihipStream_tbENKUlT_T0_E_clISt17integral_constantIbLb1EESX_EEDaSS_ST_EUlSS_E0_NS1_11comp_targetILNS1_3genE0ELNS1_11target_archE4294967295ELNS1_3gpuE0ELNS1_3repE0EEENS1_30default_config_static_selectorELNS0_4arch9wavefront6targetE1EEEvT1_
                                        ; -- End function
	.section	.AMDGPU.csdata,"",@progbits
; Kernel info:
; codeLenInByte = 0
; NumSgprs: 4
; NumVgprs: 0
; NumAgprs: 0
; TotalNumVgprs: 0
; ScratchSize: 0
; MemoryBound: 0
; FloatMode: 240
; IeeeMode: 1
; LDSByteSize: 0 bytes/workgroup (compile time only)
; SGPRBlocks: 0
; VGPRBlocks: 0
; NumSGPRsForWavesPerEU: 4
; NumVGPRsForWavesPerEU: 1
; AccumOffset: 4
; Occupancy: 8
; WaveLimiterHint : 0
; COMPUTE_PGM_RSRC2:SCRATCH_EN: 0
; COMPUTE_PGM_RSRC2:USER_SGPR: 6
; COMPUTE_PGM_RSRC2:TRAP_HANDLER: 0
; COMPUTE_PGM_RSRC2:TGID_X_EN: 1
; COMPUTE_PGM_RSRC2:TGID_Y_EN: 0
; COMPUTE_PGM_RSRC2:TGID_Z_EN: 0
; COMPUTE_PGM_RSRC2:TIDIG_COMP_CNT: 0
; COMPUTE_PGM_RSRC3_GFX90A:ACCUM_OFFSET: 0
; COMPUTE_PGM_RSRC3_GFX90A:TG_SPLIT: 0
	.section	.text._ZN7rocprim17ROCPRIM_400000_NS6detail17trampoline_kernelINS0_14default_configENS1_20scan_config_selectorItEEZZNS1_9scan_implILNS1_25lookback_scan_determinismE0ELb0ELb0ES3_N6thrust23THRUST_200600_302600_NS6detail15normal_iteratorINS9_10device_ptrItEEEENS9_16discard_iteratorINS9_11use_defaultEEEtNS9_4plusIvEEtEEDaPvRmT3_T4_T5_mT6_P12ihipStream_tbENKUlT_T0_E_clISt17integral_constantIbLb1EESX_EEDaSS_ST_EUlSS_E0_NS1_11comp_targetILNS1_3genE5ELNS1_11target_archE942ELNS1_3gpuE9ELNS1_3repE0EEENS1_30default_config_static_selectorELNS0_4arch9wavefront6targetE1EEEvT1_,"axG",@progbits,_ZN7rocprim17ROCPRIM_400000_NS6detail17trampoline_kernelINS0_14default_configENS1_20scan_config_selectorItEEZZNS1_9scan_implILNS1_25lookback_scan_determinismE0ELb0ELb0ES3_N6thrust23THRUST_200600_302600_NS6detail15normal_iteratorINS9_10device_ptrItEEEENS9_16discard_iteratorINS9_11use_defaultEEEtNS9_4plusIvEEtEEDaPvRmT3_T4_T5_mT6_P12ihipStream_tbENKUlT_T0_E_clISt17integral_constantIbLb1EESX_EEDaSS_ST_EUlSS_E0_NS1_11comp_targetILNS1_3genE5ELNS1_11target_archE942ELNS1_3gpuE9ELNS1_3repE0EEENS1_30default_config_static_selectorELNS0_4arch9wavefront6targetE1EEEvT1_,comdat
	.protected	_ZN7rocprim17ROCPRIM_400000_NS6detail17trampoline_kernelINS0_14default_configENS1_20scan_config_selectorItEEZZNS1_9scan_implILNS1_25lookback_scan_determinismE0ELb0ELb0ES3_N6thrust23THRUST_200600_302600_NS6detail15normal_iteratorINS9_10device_ptrItEEEENS9_16discard_iteratorINS9_11use_defaultEEEtNS9_4plusIvEEtEEDaPvRmT3_T4_T5_mT6_P12ihipStream_tbENKUlT_T0_E_clISt17integral_constantIbLb1EESX_EEDaSS_ST_EUlSS_E0_NS1_11comp_targetILNS1_3genE5ELNS1_11target_archE942ELNS1_3gpuE9ELNS1_3repE0EEENS1_30default_config_static_selectorELNS0_4arch9wavefront6targetE1EEEvT1_ ; -- Begin function _ZN7rocprim17ROCPRIM_400000_NS6detail17trampoline_kernelINS0_14default_configENS1_20scan_config_selectorItEEZZNS1_9scan_implILNS1_25lookback_scan_determinismE0ELb0ELb0ES3_N6thrust23THRUST_200600_302600_NS6detail15normal_iteratorINS9_10device_ptrItEEEENS9_16discard_iteratorINS9_11use_defaultEEEtNS9_4plusIvEEtEEDaPvRmT3_T4_T5_mT6_P12ihipStream_tbENKUlT_T0_E_clISt17integral_constantIbLb1EESX_EEDaSS_ST_EUlSS_E0_NS1_11comp_targetILNS1_3genE5ELNS1_11target_archE942ELNS1_3gpuE9ELNS1_3repE0EEENS1_30default_config_static_selectorELNS0_4arch9wavefront6targetE1EEEvT1_
	.globl	_ZN7rocprim17ROCPRIM_400000_NS6detail17trampoline_kernelINS0_14default_configENS1_20scan_config_selectorItEEZZNS1_9scan_implILNS1_25lookback_scan_determinismE0ELb0ELb0ES3_N6thrust23THRUST_200600_302600_NS6detail15normal_iteratorINS9_10device_ptrItEEEENS9_16discard_iteratorINS9_11use_defaultEEEtNS9_4plusIvEEtEEDaPvRmT3_T4_T5_mT6_P12ihipStream_tbENKUlT_T0_E_clISt17integral_constantIbLb1EESX_EEDaSS_ST_EUlSS_E0_NS1_11comp_targetILNS1_3genE5ELNS1_11target_archE942ELNS1_3gpuE9ELNS1_3repE0EEENS1_30default_config_static_selectorELNS0_4arch9wavefront6targetE1EEEvT1_
	.p2align	8
	.type	_ZN7rocprim17ROCPRIM_400000_NS6detail17trampoline_kernelINS0_14default_configENS1_20scan_config_selectorItEEZZNS1_9scan_implILNS1_25lookback_scan_determinismE0ELb0ELb0ES3_N6thrust23THRUST_200600_302600_NS6detail15normal_iteratorINS9_10device_ptrItEEEENS9_16discard_iteratorINS9_11use_defaultEEEtNS9_4plusIvEEtEEDaPvRmT3_T4_T5_mT6_P12ihipStream_tbENKUlT_T0_E_clISt17integral_constantIbLb1EESX_EEDaSS_ST_EUlSS_E0_NS1_11comp_targetILNS1_3genE5ELNS1_11target_archE942ELNS1_3gpuE9ELNS1_3repE0EEENS1_30default_config_static_selectorELNS0_4arch9wavefront6targetE1EEEvT1_,@function
_ZN7rocprim17ROCPRIM_400000_NS6detail17trampoline_kernelINS0_14default_configENS1_20scan_config_selectorItEEZZNS1_9scan_implILNS1_25lookback_scan_determinismE0ELb0ELb0ES3_N6thrust23THRUST_200600_302600_NS6detail15normal_iteratorINS9_10device_ptrItEEEENS9_16discard_iteratorINS9_11use_defaultEEEtNS9_4plusIvEEtEEDaPvRmT3_T4_T5_mT6_P12ihipStream_tbENKUlT_T0_E_clISt17integral_constantIbLb1EESX_EEDaSS_ST_EUlSS_E0_NS1_11comp_targetILNS1_3genE5ELNS1_11target_archE942ELNS1_3gpuE9ELNS1_3repE0EEENS1_30default_config_static_selectorELNS0_4arch9wavefront6targetE1EEEvT1_: ; @_ZN7rocprim17ROCPRIM_400000_NS6detail17trampoline_kernelINS0_14default_configENS1_20scan_config_selectorItEEZZNS1_9scan_implILNS1_25lookback_scan_determinismE0ELb0ELb0ES3_N6thrust23THRUST_200600_302600_NS6detail15normal_iteratorINS9_10device_ptrItEEEENS9_16discard_iteratorINS9_11use_defaultEEEtNS9_4plusIvEEtEEDaPvRmT3_T4_T5_mT6_P12ihipStream_tbENKUlT_T0_E_clISt17integral_constantIbLb1EESX_EEDaSS_ST_EUlSS_E0_NS1_11comp_targetILNS1_3genE5ELNS1_11target_archE942ELNS1_3gpuE9ELNS1_3repE0EEENS1_30default_config_static_selectorELNS0_4arch9wavefront6targetE1EEEvT1_
; %bb.0:
	.section	.rodata,"a",@progbits
	.p2align	6, 0x0
	.amdhsa_kernel _ZN7rocprim17ROCPRIM_400000_NS6detail17trampoline_kernelINS0_14default_configENS1_20scan_config_selectorItEEZZNS1_9scan_implILNS1_25lookback_scan_determinismE0ELb0ELb0ES3_N6thrust23THRUST_200600_302600_NS6detail15normal_iteratorINS9_10device_ptrItEEEENS9_16discard_iteratorINS9_11use_defaultEEEtNS9_4plusIvEEtEEDaPvRmT3_T4_T5_mT6_P12ihipStream_tbENKUlT_T0_E_clISt17integral_constantIbLb1EESX_EEDaSS_ST_EUlSS_E0_NS1_11comp_targetILNS1_3genE5ELNS1_11target_archE942ELNS1_3gpuE9ELNS1_3repE0EEENS1_30default_config_static_selectorELNS0_4arch9wavefront6targetE1EEEvT1_
		.amdhsa_group_segment_fixed_size 0
		.amdhsa_private_segment_fixed_size 0
		.amdhsa_kernarg_size 40
		.amdhsa_user_sgpr_count 6
		.amdhsa_user_sgpr_private_segment_buffer 1
		.amdhsa_user_sgpr_dispatch_ptr 0
		.amdhsa_user_sgpr_queue_ptr 0
		.amdhsa_user_sgpr_kernarg_segment_ptr 1
		.amdhsa_user_sgpr_dispatch_id 0
		.amdhsa_user_sgpr_flat_scratch_init 0
		.amdhsa_user_sgpr_kernarg_preload_length 0
		.amdhsa_user_sgpr_kernarg_preload_offset 0
		.amdhsa_user_sgpr_private_segment_size 0
		.amdhsa_uses_dynamic_stack 0
		.amdhsa_system_sgpr_private_segment_wavefront_offset 0
		.amdhsa_system_sgpr_workgroup_id_x 1
		.amdhsa_system_sgpr_workgroup_id_y 0
		.amdhsa_system_sgpr_workgroup_id_z 0
		.amdhsa_system_sgpr_workgroup_info 0
		.amdhsa_system_vgpr_workitem_id 0
		.amdhsa_next_free_vgpr 1
		.amdhsa_next_free_sgpr 0
		.amdhsa_accum_offset 4
		.amdhsa_reserve_vcc 0
		.amdhsa_reserve_flat_scratch 0
		.amdhsa_float_round_mode_32 0
		.amdhsa_float_round_mode_16_64 0
		.amdhsa_float_denorm_mode_32 3
		.amdhsa_float_denorm_mode_16_64 3
		.amdhsa_dx10_clamp 1
		.amdhsa_ieee_mode 1
		.amdhsa_fp16_overflow 0
		.amdhsa_tg_split 0
		.amdhsa_exception_fp_ieee_invalid_op 0
		.amdhsa_exception_fp_denorm_src 0
		.amdhsa_exception_fp_ieee_div_zero 0
		.amdhsa_exception_fp_ieee_overflow 0
		.amdhsa_exception_fp_ieee_underflow 0
		.amdhsa_exception_fp_ieee_inexact 0
		.amdhsa_exception_int_div_zero 0
	.end_amdhsa_kernel
	.section	.text._ZN7rocprim17ROCPRIM_400000_NS6detail17trampoline_kernelINS0_14default_configENS1_20scan_config_selectorItEEZZNS1_9scan_implILNS1_25lookback_scan_determinismE0ELb0ELb0ES3_N6thrust23THRUST_200600_302600_NS6detail15normal_iteratorINS9_10device_ptrItEEEENS9_16discard_iteratorINS9_11use_defaultEEEtNS9_4plusIvEEtEEDaPvRmT3_T4_T5_mT6_P12ihipStream_tbENKUlT_T0_E_clISt17integral_constantIbLb1EESX_EEDaSS_ST_EUlSS_E0_NS1_11comp_targetILNS1_3genE5ELNS1_11target_archE942ELNS1_3gpuE9ELNS1_3repE0EEENS1_30default_config_static_selectorELNS0_4arch9wavefront6targetE1EEEvT1_,"axG",@progbits,_ZN7rocprim17ROCPRIM_400000_NS6detail17trampoline_kernelINS0_14default_configENS1_20scan_config_selectorItEEZZNS1_9scan_implILNS1_25lookback_scan_determinismE0ELb0ELb0ES3_N6thrust23THRUST_200600_302600_NS6detail15normal_iteratorINS9_10device_ptrItEEEENS9_16discard_iteratorINS9_11use_defaultEEEtNS9_4plusIvEEtEEDaPvRmT3_T4_T5_mT6_P12ihipStream_tbENKUlT_T0_E_clISt17integral_constantIbLb1EESX_EEDaSS_ST_EUlSS_E0_NS1_11comp_targetILNS1_3genE5ELNS1_11target_archE942ELNS1_3gpuE9ELNS1_3repE0EEENS1_30default_config_static_selectorELNS0_4arch9wavefront6targetE1EEEvT1_,comdat
.Lfunc_end5466:
	.size	_ZN7rocprim17ROCPRIM_400000_NS6detail17trampoline_kernelINS0_14default_configENS1_20scan_config_selectorItEEZZNS1_9scan_implILNS1_25lookback_scan_determinismE0ELb0ELb0ES3_N6thrust23THRUST_200600_302600_NS6detail15normal_iteratorINS9_10device_ptrItEEEENS9_16discard_iteratorINS9_11use_defaultEEEtNS9_4plusIvEEtEEDaPvRmT3_T4_T5_mT6_P12ihipStream_tbENKUlT_T0_E_clISt17integral_constantIbLb1EESX_EEDaSS_ST_EUlSS_E0_NS1_11comp_targetILNS1_3genE5ELNS1_11target_archE942ELNS1_3gpuE9ELNS1_3repE0EEENS1_30default_config_static_selectorELNS0_4arch9wavefront6targetE1EEEvT1_, .Lfunc_end5466-_ZN7rocprim17ROCPRIM_400000_NS6detail17trampoline_kernelINS0_14default_configENS1_20scan_config_selectorItEEZZNS1_9scan_implILNS1_25lookback_scan_determinismE0ELb0ELb0ES3_N6thrust23THRUST_200600_302600_NS6detail15normal_iteratorINS9_10device_ptrItEEEENS9_16discard_iteratorINS9_11use_defaultEEEtNS9_4plusIvEEtEEDaPvRmT3_T4_T5_mT6_P12ihipStream_tbENKUlT_T0_E_clISt17integral_constantIbLb1EESX_EEDaSS_ST_EUlSS_E0_NS1_11comp_targetILNS1_3genE5ELNS1_11target_archE942ELNS1_3gpuE9ELNS1_3repE0EEENS1_30default_config_static_selectorELNS0_4arch9wavefront6targetE1EEEvT1_
                                        ; -- End function
	.section	.AMDGPU.csdata,"",@progbits
; Kernel info:
; codeLenInByte = 0
; NumSgprs: 4
; NumVgprs: 0
; NumAgprs: 0
; TotalNumVgprs: 0
; ScratchSize: 0
; MemoryBound: 0
; FloatMode: 240
; IeeeMode: 1
; LDSByteSize: 0 bytes/workgroup (compile time only)
; SGPRBlocks: 0
; VGPRBlocks: 0
; NumSGPRsForWavesPerEU: 4
; NumVGPRsForWavesPerEU: 1
; AccumOffset: 4
; Occupancy: 8
; WaveLimiterHint : 0
; COMPUTE_PGM_RSRC2:SCRATCH_EN: 0
; COMPUTE_PGM_RSRC2:USER_SGPR: 6
; COMPUTE_PGM_RSRC2:TRAP_HANDLER: 0
; COMPUTE_PGM_RSRC2:TGID_X_EN: 1
; COMPUTE_PGM_RSRC2:TGID_Y_EN: 0
; COMPUTE_PGM_RSRC2:TGID_Z_EN: 0
; COMPUTE_PGM_RSRC2:TIDIG_COMP_CNT: 0
; COMPUTE_PGM_RSRC3_GFX90A:ACCUM_OFFSET: 0
; COMPUTE_PGM_RSRC3_GFX90A:TG_SPLIT: 0
	.section	.text._ZN7rocprim17ROCPRIM_400000_NS6detail17trampoline_kernelINS0_14default_configENS1_20scan_config_selectorItEEZZNS1_9scan_implILNS1_25lookback_scan_determinismE0ELb0ELb0ES3_N6thrust23THRUST_200600_302600_NS6detail15normal_iteratorINS9_10device_ptrItEEEENS9_16discard_iteratorINS9_11use_defaultEEEtNS9_4plusIvEEtEEDaPvRmT3_T4_T5_mT6_P12ihipStream_tbENKUlT_T0_E_clISt17integral_constantIbLb1EESX_EEDaSS_ST_EUlSS_E0_NS1_11comp_targetILNS1_3genE4ELNS1_11target_archE910ELNS1_3gpuE8ELNS1_3repE0EEENS1_30default_config_static_selectorELNS0_4arch9wavefront6targetE1EEEvT1_,"axG",@progbits,_ZN7rocprim17ROCPRIM_400000_NS6detail17trampoline_kernelINS0_14default_configENS1_20scan_config_selectorItEEZZNS1_9scan_implILNS1_25lookback_scan_determinismE0ELb0ELb0ES3_N6thrust23THRUST_200600_302600_NS6detail15normal_iteratorINS9_10device_ptrItEEEENS9_16discard_iteratorINS9_11use_defaultEEEtNS9_4plusIvEEtEEDaPvRmT3_T4_T5_mT6_P12ihipStream_tbENKUlT_T0_E_clISt17integral_constantIbLb1EESX_EEDaSS_ST_EUlSS_E0_NS1_11comp_targetILNS1_3genE4ELNS1_11target_archE910ELNS1_3gpuE8ELNS1_3repE0EEENS1_30default_config_static_selectorELNS0_4arch9wavefront6targetE1EEEvT1_,comdat
	.protected	_ZN7rocprim17ROCPRIM_400000_NS6detail17trampoline_kernelINS0_14default_configENS1_20scan_config_selectorItEEZZNS1_9scan_implILNS1_25lookback_scan_determinismE0ELb0ELb0ES3_N6thrust23THRUST_200600_302600_NS6detail15normal_iteratorINS9_10device_ptrItEEEENS9_16discard_iteratorINS9_11use_defaultEEEtNS9_4plusIvEEtEEDaPvRmT3_T4_T5_mT6_P12ihipStream_tbENKUlT_T0_E_clISt17integral_constantIbLb1EESX_EEDaSS_ST_EUlSS_E0_NS1_11comp_targetILNS1_3genE4ELNS1_11target_archE910ELNS1_3gpuE8ELNS1_3repE0EEENS1_30default_config_static_selectorELNS0_4arch9wavefront6targetE1EEEvT1_ ; -- Begin function _ZN7rocprim17ROCPRIM_400000_NS6detail17trampoline_kernelINS0_14default_configENS1_20scan_config_selectorItEEZZNS1_9scan_implILNS1_25lookback_scan_determinismE0ELb0ELb0ES3_N6thrust23THRUST_200600_302600_NS6detail15normal_iteratorINS9_10device_ptrItEEEENS9_16discard_iteratorINS9_11use_defaultEEEtNS9_4plusIvEEtEEDaPvRmT3_T4_T5_mT6_P12ihipStream_tbENKUlT_T0_E_clISt17integral_constantIbLb1EESX_EEDaSS_ST_EUlSS_E0_NS1_11comp_targetILNS1_3genE4ELNS1_11target_archE910ELNS1_3gpuE8ELNS1_3repE0EEENS1_30default_config_static_selectorELNS0_4arch9wavefront6targetE1EEEvT1_
	.globl	_ZN7rocprim17ROCPRIM_400000_NS6detail17trampoline_kernelINS0_14default_configENS1_20scan_config_selectorItEEZZNS1_9scan_implILNS1_25lookback_scan_determinismE0ELb0ELb0ES3_N6thrust23THRUST_200600_302600_NS6detail15normal_iteratorINS9_10device_ptrItEEEENS9_16discard_iteratorINS9_11use_defaultEEEtNS9_4plusIvEEtEEDaPvRmT3_T4_T5_mT6_P12ihipStream_tbENKUlT_T0_E_clISt17integral_constantIbLb1EESX_EEDaSS_ST_EUlSS_E0_NS1_11comp_targetILNS1_3genE4ELNS1_11target_archE910ELNS1_3gpuE8ELNS1_3repE0EEENS1_30default_config_static_selectorELNS0_4arch9wavefront6targetE1EEEvT1_
	.p2align	8
	.type	_ZN7rocprim17ROCPRIM_400000_NS6detail17trampoline_kernelINS0_14default_configENS1_20scan_config_selectorItEEZZNS1_9scan_implILNS1_25lookback_scan_determinismE0ELb0ELb0ES3_N6thrust23THRUST_200600_302600_NS6detail15normal_iteratorINS9_10device_ptrItEEEENS9_16discard_iteratorINS9_11use_defaultEEEtNS9_4plusIvEEtEEDaPvRmT3_T4_T5_mT6_P12ihipStream_tbENKUlT_T0_E_clISt17integral_constantIbLb1EESX_EEDaSS_ST_EUlSS_E0_NS1_11comp_targetILNS1_3genE4ELNS1_11target_archE910ELNS1_3gpuE8ELNS1_3repE0EEENS1_30default_config_static_selectorELNS0_4arch9wavefront6targetE1EEEvT1_,@function
_ZN7rocprim17ROCPRIM_400000_NS6detail17trampoline_kernelINS0_14default_configENS1_20scan_config_selectorItEEZZNS1_9scan_implILNS1_25lookback_scan_determinismE0ELb0ELb0ES3_N6thrust23THRUST_200600_302600_NS6detail15normal_iteratorINS9_10device_ptrItEEEENS9_16discard_iteratorINS9_11use_defaultEEEtNS9_4plusIvEEtEEDaPvRmT3_T4_T5_mT6_P12ihipStream_tbENKUlT_T0_E_clISt17integral_constantIbLb1EESX_EEDaSS_ST_EUlSS_E0_NS1_11comp_targetILNS1_3genE4ELNS1_11target_archE910ELNS1_3gpuE8ELNS1_3repE0EEENS1_30default_config_static_selectorELNS0_4arch9wavefront6targetE1EEEvT1_: ; @_ZN7rocprim17ROCPRIM_400000_NS6detail17trampoline_kernelINS0_14default_configENS1_20scan_config_selectorItEEZZNS1_9scan_implILNS1_25lookback_scan_determinismE0ELb0ELb0ES3_N6thrust23THRUST_200600_302600_NS6detail15normal_iteratorINS9_10device_ptrItEEEENS9_16discard_iteratorINS9_11use_defaultEEEtNS9_4plusIvEEtEEDaPvRmT3_T4_T5_mT6_P12ihipStream_tbENKUlT_T0_E_clISt17integral_constantIbLb1EESX_EEDaSS_ST_EUlSS_E0_NS1_11comp_targetILNS1_3genE4ELNS1_11target_archE910ELNS1_3gpuE8ELNS1_3repE0EEENS1_30default_config_static_selectorELNS0_4arch9wavefront6targetE1EEEvT1_
; %bb.0:
	s_load_dwordx4 s[0:3], s[4:5], 0x0
	v_mov_b32_e32 v1, 0
	s_waitcnt lgkmcnt(0)
	global_load_ushort v2, v1, s[0:1]
	v_cmp_gt_u32_e32 vcc, s2, v0
	v_lshlrev_b32_e32 v1, 1, v0
	s_waitcnt vmcnt(0)
	v_mov_b32_e32 v3, v2
	s_and_saveexec_b64 s[4:5], vcc
	s_cbranch_execz .LBB5467_2
; %bb.1:
	global_load_ushort v3, v1, s[0:1]
.LBB5467_2:
	s_or_b64 exec, exec, s[4:5]
	v_or_b32_e32 v4, 64, v0
	v_cmp_gt_u32_e32 vcc, s2, v4
	v_mov_b32_e32 v4, v2
	s_and_saveexec_b64 s[4:5], vcc
	s_cbranch_execz .LBB5467_4
; %bb.3:
	global_load_ushort v4, v1, s[0:1] offset:128
.LBB5467_4:
	s_or_b64 exec, exec, s[4:5]
	v_or_b32_e32 v5, 0x80, v0
	v_cmp_gt_u32_e32 vcc, s2, v5
	v_mov_b32_e32 v5, v2
	s_and_saveexec_b64 s[4:5], vcc
	s_cbranch_execz .LBB5467_6
; %bb.5:
	global_load_ushort v5, v1, s[0:1] offset:256
.LBB5467_6:
	;; [unrolled: 9-line block ×22, first 2 shown]
	s_or_b64 exec, exec, s[4:5]
	v_or_b32_e32 v26, 0x5c0, v0
	v_cmp_gt_u32_e32 vcc, s2, v26
	s_and_saveexec_b64 s[2:3], vcc
	s_cbranch_execz .LBB5467_48
; %bb.47:
	global_load_ushort v2, v1, s[0:1] offset:2944
.LBB5467_48:
	s_or_b64 exec, exec, s[2:3]
	s_waitcnt vmcnt(0)
	ds_write_b16 v1, v3
	ds_write_b16 v1, v4 offset:128
	ds_write_b16 v1, v5 offset:256
	;; [unrolled: 1-line block ×23, first 2 shown]
	v_mad_u32_u24 v6, v0, 46, v1
	s_waitcnt lgkmcnt(0)
	; wave barrier
	s_waitcnt lgkmcnt(0)
	ds_read_b128 v[2:5], v6
	ds_read_b128 v[10:13], v6 offset:16
	ds_read_b128 v[6:9], v6 offset:32
	v_mbcnt_lo_u32_b32 v37, -1, 0
	v_mbcnt_hi_u32_b32 v37, -1, v37
	s_waitcnt lgkmcnt(2)
	v_add_u16_sdwa v14, v2, v2 dst_sel:DWORD dst_unused:UNUSED_PAD src0_sel:WORD_1 src1_sel:DWORD
	v_add_u16_e32 v15, v14, v3
	v_add_u16_sdwa v17, v15, v3 dst_sel:DWORD dst_unused:UNUSED_PAD src0_sel:DWORD src1_sel:WORD_1
	v_add_u16_e32 v19, v17, v4
	v_add_u16_sdwa v21, v19, v4 dst_sel:DWORD dst_unused:UNUSED_PAD src0_sel:DWORD src1_sel:WORD_1
	;; [unrolled: 2-line block ×3, first 2 shown]
	s_waitcnt lgkmcnt(1)
	v_add_u16_e32 v16, v27, v10
	v_add_u16_sdwa v18, v16, v10 dst_sel:DWORD dst_unused:UNUSED_PAD src0_sel:DWORD src1_sel:WORD_1
	v_add_u16_e32 v20, v18, v11
	v_add_u16_sdwa v23, v20, v11 dst_sel:DWORD dst_unused:UNUSED_PAD src0_sel:DWORD src1_sel:WORD_1
	;; [unrolled: 2-line block ×4, first 2 shown]
	s_waitcnt lgkmcnt(0)
	v_add_u16_e32 v22, v33, v6
	v_add_u16_sdwa v25, v22, v6 dst_sel:DWORD dst_unused:UNUSED_PAD src0_sel:DWORD src1_sel:WORD_1
	v_add_u16_e32 v28, v25, v7
	v_add_u16_sdwa v30, v28, v7 dst_sel:DWORD dst_unused:UNUSED_PAD src0_sel:DWORD src1_sel:WORD_1
	;; [unrolled: 2-line block ×4, first 2 shown]
	v_and_b32_e32 v38, 15, v37
	v_cmp_ne_u32_e32 vcc, 0, v38
	v_mov_b32_dpp v39, v36 row_shr:1 row_mask:0xf bank_mask:0xf
	v_cndmask_b32_e32 v39, 0, v39, vcc
	v_add_u16_e32 v39, v39, v36
	v_cmp_lt_u32_e32 vcc, 1, v38
	s_nop 0
	v_mov_b32_dpp v40, v39 row_shr:2 row_mask:0xf bank_mask:0xf
	v_cndmask_b32_e32 v40, 0, v40, vcc
	v_add_u16_e32 v39, v39, v40
	v_cmp_lt_u32_e32 vcc, 3, v38
	; wave barrier
	s_nop 0
	v_mov_b32_dpp v40, v39 row_shr:4 row_mask:0xf bank_mask:0xf
	v_cndmask_b32_e32 v40, 0, v40, vcc
	v_add_u16_e32 v39, v39, v40
	v_cmp_lt_u32_e32 vcc, 7, v38
	s_nop 0
	v_mov_b32_dpp v40, v39 row_shr:8 row_mask:0xf bank_mask:0xf
	v_cndmask_b32_e32 v38, 0, v40, vcc
	v_add_u16_e32 v38, v39, v38
	v_and_b32_e32 v40, 16, v37
	v_cmp_ne_u32_e32 vcc, 0, v40
	v_mov_b32_dpp v39, v38 row_bcast:15 row_mask:0xf bank_mask:0xf
	v_cndmask_b32_e32 v39, 0, v39, vcc
	v_add_u16_e32 v38, v38, v39
	v_cmp_lt_u32_e32 vcc, 31, v37
	s_nop 0
	v_mov_b32_dpp v39, v38 row_bcast:31 row_mask:0xf bank_mask:0xf
	v_cndmask_b32_e32 v39, 0, v39, vcc
	v_add_u16_e32 v38, v38, v39
	v_cmp_eq_u32_e32 vcc, 63, v0
	s_and_saveexec_b64 s[0:1], vcc
	s_cbranch_execz .LBB5467_50
; %bb.49:
	v_mov_b32_e32 v39, 0
	ds_write_b16 v39, v38
.LBB5467_50:
	s_or_b64 exec, exec, s[0:1]
	v_add_u32_e32 v39, -1, v37
	v_and_b32_e32 v40, 64, v37
	v_cmp_lt_i32_e32 vcc, v39, v40
	v_cndmask_b32_e32 v37, v39, v37, vcc
	v_lshlrev_b32_e32 v37, 2, v37
	ds_bpermute_b32 v38, v37, v38
	v_mul_u32_u24_e32 v37, 46, v0
	v_cmp_ne_u32_e32 vcc, 0, v0
	s_waitcnt lgkmcnt(0)
	; wave barrier
	s_waitcnt lgkmcnt(0)
	s_and_saveexec_b64 s[0:1], vcc
	s_cbranch_execz .LBB5467_52
; %bb.51:
	v_add_u16_e32 v0, v2, v38
	v_add_u16_sdwa v14, v0, v2 dst_sel:DWORD dst_unused:UNUSED_PAD src0_sel:DWORD src1_sel:WORD_1
	v_add_u16_e32 v15, v14, v3
	v_add_u16_sdwa v17, v15, v3 dst_sel:DWORD dst_unused:UNUSED_PAD src0_sel:DWORD src1_sel:WORD_1
	;; [unrolled: 2-line block ×12, first 2 shown]
	v_mov_b32_e32 v2, v0
	;;#ASMSTART
	;;#ASMEND
.LBB5467_52:
	s_or_b64 exec, exec, s[0:1]
	s_mov_b32 s0, 0x5040100
	v_add_u32_e32 v6, v1, v37
	v_perm_b32 v5, v27, v24, s0
	v_perm_b32 v4, v21, v19, s0
	v_perm_b32 v3, v17, v15, s0
	v_perm_b32 v2, v14, v2, s0
	s_waitcnt lgkmcnt(0)
	; wave barrier
	ds_write_b128 v6, v[2:5]
	v_perm_b32 v3, v33, v31, s0
	v_perm_b32 v2, v29, v26, s0
	;; [unrolled: 1-line block ×4, first 2 shown]
	ds_write_b128 v6, v[0:3] offset:16
	v_perm_b32 v3, v36, v35, s0
	v_perm_b32 v2, v34, v32, s0
	v_perm_b32 v1, v30, v28, s0
	v_perm_b32 v0, v25, v22, s0
	ds_write_b128 v6, v[0:3] offset:32
	s_waitcnt lgkmcnt(0)
	; wave barrier
	s_waitcnt lgkmcnt(0)
	s_endpgm
	.section	.rodata,"a",@progbits
	.p2align	6, 0x0
	.amdhsa_kernel _ZN7rocprim17ROCPRIM_400000_NS6detail17trampoline_kernelINS0_14default_configENS1_20scan_config_selectorItEEZZNS1_9scan_implILNS1_25lookback_scan_determinismE0ELb0ELb0ES3_N6thrust23THRUST_200600_302600_NS6detail15normal_iteratorINS9_10device_ptrItEEEENS9_16discard_iteratorINS9_11use_defaultEEEtNS9_4plusIvEEtEEDaPvRmT3_T4_T5_mT6_P12ihipStream_tbENKUlT_T0_E_clISt17integral_constantIbLb1EESX_EEDaSS_ST_EUlSS_E0_NS1_11comp_targetILNS1_3genE4ELNS1_11target_archE910ELNS1_3gpuE8ELNS1_3repE0EEENS1_30default_config_static_selectorELNS0_4arch9wavefront6targetE1EEEvT1_
		.amdhsa_group_segment_fixed_size 3072
		.amdhsa_private_segment_fixed_size 0
		.amdhsa_kernarg_size 40
		.amdhsa_user_sgpr_count 6
		.amdhsa_user_sgpr_private_segment_buffer 1
		.amdhsa_user_sgpr_dispatch_ptr 0
		.amdhsa_user_sgpr_queue_ptr 0
		.amdhsa_user_sgpr_kernarg_segment_ptr 1
		.amdhsa_user_sgpr_dispatch_id 0
		.amdhsa_user_sgpr_flat_scratch_init 0
		.amdhsa_user_sgpr_kernarg_preload_length 0
		.amdhsa_user_sgpr_kernarg_preload_offset 0
		.amdhsa_user_sgpr_private_segment_size 0
		.amdhsa_uses_dynamic_stack 0
		.amdhsa_system_sgpr_private_segment_wavefront_offset 0
		.amdhsa_system_sgpr_workgroup_id_x 1
		.amdhsa_system_sgpr_workgroup_id_y 0
		.amdhsa_system_sgpr_workgroup_id_z 0
		.amdhsa_system_sgpr_workgroup_info 0
		.amdhsa_system_vgpr_workitem_id 0
		.amdhsa_next_free_vgpr 41
		.amdhsa_next_free_sgpr 6
		.amdhsa_accum_offset 44
		.amdhsa_reserve_vcc 1
		.amdhsa_reserve_flat_scratch 0
		.amdhsa_float_round_mode_32 0
		.amdhsa_float_round_mode_16_64 0
		.amdhsa_float_denorm_mode_32 3
		.amdhsa_float_denorm_mode_16_64 3
		.amdhsa_dx10_clamp 1
		.amdhsa_ieee_mode 1
		.amdhsa_fp16_overflow 0
		.amdhsa_tg_split 0
		.amdhsa_exception_fp_ieee_invalid_op 0
		.amdhsa_exception_fp_denorm_src 0
		.amdhsa_exception_fp_ieee_div_zero 0
		.amdhsa_exception_fp_ieee_overflow 0
		.amdhsa_exception_fp_ieee_underflow 0
		.amdhsa_exception_fp_ieee_inexact 0
		.amdhsa_exception_int_div_zero 0
	.end_amdhsa_kernel
	.section	.text._ZN7rocprim17ROCPRIM_400000_NS6detail17trampoline_kernelINS0_14default_configENS1_20scan_config_selectorItEEZZNS1_9scan_implILNS1_25lookback_scan_determinismE0ELb0ELb0ES3_N6thrust23THRUST_200600_302600_NS6detail15normal_iteratorINS9_10device_ptrItEEEENS9_16discard_iteratorINS9_11use_defaultEEEtNS9_4plusIvEEtEEDaPvRmT3_T4_T5_mT6_P12ihipStream_tbENKUlT_T0_E_clISt17integral_constantIbLb1EESX_EEDaSS_ST_EUlSS_E0_NS1_11comp_targetILNS1_3genE4ELNS1_11target_archE910ELNS1_3gpuE8ELNS1_3repE0EEENS1_30default_config_static_selectorELNS0_4arch9wavefront6targetE1EEEvT1_,"axG",@progbits,_ZN7rocprim17ROCPRIM_400000_NS6detail17trampoline_kernelINS0_14default_configENS1_20scan_config_selectorItEEZZNS1_9scan_implILNS1_25lookback_scan_determinismE0ELb0ELb0ES3_N6thrust23THRUST_200600_302600_NS6detail15normal_iteratorINS9_10device_ptrItEEEENS9_16discard_iteratorINS9_11use_defaultEEEtNS9_4plusIvEEtEEDaPvRmT3_T4_T5_mT6_P12ihipStream_tbENKUlT_T0_E_clISt17integral_constantIbLb1EESX_EEDaSS_ST_EUlSS_E0_NS1_11comp_targetILNS1_3genE4ELNS1_11target_archE910ELNS1_3gpuE8ELNS1_3repE0EEENS1_30default_config_static_selectorELNS0_4arch9wavefront6targetE1EEEvT1_,comdat
.Lfunc_end5467:
	.size	_ZN7rocprim17ROCPRIM_400000_NS6detail17trampoline_kernelINS0_14default_configENS1_20scan_config_selectorItEEZZNS1_9scan_implILNS1_25lookback_scan_determinismE0ELb0ELb0ES3_N6thrust23THRUST_200600_302600_NS6detail15normal_iteratorINS9_10device_ptrItEEEENS9_16discard_iteratorINS9_11use_defaultEEEtNS9_4plusIvEEtEEDaPvRmT3_T4_T5_mT6_P12ihipStream_tbENKUlT_T0_E_clISt17integral_constantIbLb1EESX_EEDaSS_ST_EUlSS_E0_NS1_11comp_targetILNS1_3genE4ELNS1_11target_archE910ELNS1_3gpuE8ELNS1_3repE0EEENS1_30default_config_static_selectorELNS0_4arch9wavefront6targetE1EEEvT1_, .Lfunc_end5467-_ZN7rocprim17ROCPRIM_400000_NS6detail17trampoline_kernelINS0_14default_configENS1_20scan_config_selectorItEEZZNS1_9scan_implILNS1_25lookback_scan_determinismE0ELb0ELb0ES3_N6thrust23THRUST_200600_302600_NS6detail15normal_iteratorINS9_10device_ptrItEEEENS9_16discard_iteratorINS9_11use_defaultEEEtNS9_4plusIvEEtEEDaPvRmT3_T4_T5_mT6_P12ihipStream_tbENKUlT_T0_E_clISt17integral_constantIbLb1EESX_EEDaSS_ST_EUlSS_E0_NS1_11comp_targetILNS1_3genE4ELNS1_11target_archE910ELNS1_3gpuE8ELNS1_3repE0EEENS1_30default_config_static_selectorELNS0_4arch9wavefront6targetE1EEEvT1_
                                        ; -- End function
	.section	.AMDGPU.csdata,"",@progbits
; Kernel info:
; codeLenInByte = 1808
; NumSgprs: 10
; NumVgprs: 41
; NumAgprs: 0
; TotalNumVgprs: 41
; ScratchSize: 0
; MemoryBound: 0
; FloatMode: 240
; IeeeMode: 1
; LDSByteSize: 3072 bytes/workgroup (compile time only)
; SGPRBlocks: 1
; VGPRBlocks: 5
; NumSGPRsForWavesPerEU: 10
; NumVGPRsForWavesPerEU: 41
; AccumOffset: 44
; Occupancy: 6
; WaveLimiterHint : 0
; COMPUTE_PGM_RSRC2:SCRATCH_EN: 0
; COMPUTE_PGM_RSRC2:USER_SGPR: 6
; COMPUTE_PGM_RSRC2:TRAP_HANDLER: 0
; COMPUTE_PGM_RSRC2:TGID_X_EN: 1
; COMPUTE_PGM_RSRC2:TGID_Y_EN: 0
; COMPUTE_PGM_RSRC2:TGID_Z_EN: 0
; COMPUTE_PGM_RSRC2:TIDIG_COMP_CNT: 0
; COMPUTE_PGM_RSRC3_GFX90A:ACCUM_OFFSET: 10
; COMPUTE_PGM_RSRC3_GFX90A:TG_SPLIT: 0
	.section	.text._ZN7rocprim17ROCPRIM_400000_NS6detail17trampoline_kernelINS0_14default_configENS1_20scan_config_selectorItEEZZNS1_9scan_implILNS1_25lookback_scan_determinismE0ELb0ELb0ES3_N6thrust23THRUST_200600_302600_NS6detail15normal_iteratorINS9_10device_ptrItEEEENS9_16discard_iteratorINS9_11use_defaultEEEtNS9_4plusIvEEtEEDaPvRmT3_T4_T5_mT6_P12ihipStream_tbENKUlT_T0_E_clISt17integral_constantIbLb1EESX_EEDaSS_ST_EUlSS_E0_NS1_11comp_targetILNS1_3genE3ELNS1_11target_archE908ELNS1_3gpuE7ELNS1_3repE0EEENS1_30default_config_static_selectorELNS0_4arch9wavefront6targetE1EEEvT1_,"axG",@progbits,_ZN7rocprim17ROCPRIM_400000_NS6detail17trampoline_kernelINS0_14default_configENS1_20scan_config_selectorItEEZZNS1_9scan_implILNS1_25lookback_scan_determinismE0ELb0ELb0ES3_N6thrust23THRUST_200600_302600_NS6detail15normal_iteratorINS9_10device_ptrItEEEENS9_16discard_iteratorINS9_11use_defaultEEEtNS9_4plusIvEEtEEDaPvRmT3_T4_T5_mT6_P12ihipStream_tbENKUlT_T0_E_clISt17integral_constantIbLb1EESX_EEDaSS_ST_EUlSS_E0_NS1_11comp_targetILNS1_3genE3ELNS1_11target_archE908ELNS1_3gpuE7ELNS1_3repE0EEENS1_30default_config_static_selectorELNS0_4arch9wavefront6targetE1EEEvT1_,comdat
	.protected	_ZN7rocprim17ROCPRIM_400000_NS6detail17trampoline_kernelINS0_14default_configENS1_20scan_config_selectorItEEZZNS1_9scan_implILNS1_25lookback_scan_determinismE0ELb0ELb0ES3_N6thrust23THRUST_200600_302600_NS6detail15normal_iteratorINS9_10device_ptrItEEEENS9_16discard_iteratorINS9_11use_defaultEEEtNS9_4plusIvEEtEEDaPvRmT3_T4_T5_mT6_P12ihipStream_tbENKUlT_T0_E_clISt17integral_constantIbLb1EESX_EEDaSS_ST_EUlSS_E0_NS1_11comp_targetILNS1_3genE3ELNS1_11target_archE908ELNS1_3gpuE7ELNS1_3repE0EEENS1_30default_config_static_selectorELNS0_4arch9wavefront6targetE1EEEvT1_ ; -- Begin function _ZN7rocprim17ROCPRIM_400000_NS6detail17trampoline_kernelINS0_14default_configENS1_20scan_config_selectorItEEZZNS1_9scan_implILNS1_25lookback_scan_determinismE0ELb0ELb0ES3_N6thrust23THRUST_200600_302600_NS6detail15normal_iteratorINS9_10device_ptrItEEEENS9_16discard_iteratorINS9_11use_defaultEEEtNS9_4plusIvEEtEEDaPvRmT3_T4_T5_mT6_P12ihipStream_tbENKUlT_T0_E_clISt17integral_constantIbLb1EESX_EEDaSS_ST_EUlSS_E0_NS1_11comp_targetILNS1_3genE3ELNS1_11target_archE908ELNS1_3gpuE7ELNS1_3repE0EEENS1_30default_config_static_selectorELNS0_4arch9wavefront6targetE1EEEvT1_
	.globl	_ZN7rocprim17ROCPRIM_400000_NS6detail17trampoline_kernelINS0_14default_configENS1_20scan_config_selectorItEEZZNS1_9scan_implILNS1_25lookback_scan_determinismE0ELb0ELb0ES3_N6thrust23THRUST_200600_302600_NS6detail15normal_iteratorINS9_10device_ptrItEEEENS9_16discard_iteratorINS9_11use_defaultEEEtNS9_4plusIvEEtEEDaPvRmT3_T4_T5_mT6_P12ihipStream_tbENKUlT_T0_E_clISt17integral_constantIbLb1EESX_EEDaSS_ST_EUlSS_E0_NS1_11comp_targetILNS1_3genE3ELNS1_11target_archE908ELNS1_3gpuE7ELNS1_3repE0EEENS1_30default_config_static_selectorELNS0_4arch9wavefront6targetE1EEEvT1_
	.p2align	8
	.type	_ZN7rocprim17ROCPRIM_400000_NS6detail17trampoline_kernelINS0_14default_configENS1_20scan_config_selectorItEEZZNS1_9scan_implILNS1_25lookback_scan_determinismE0ELb0ELb0ES3_N6thrust23THRUST_200600_302600_NS6detail15normal_iteratorINS9_10device_ptrItEEEENS9_16discard_iteratorINS9_11use_defaultEEEtNS9_4plusIvEEtEEDaPvRmT3_T4_T5_mT6_P12ihipStream_tbENKUlT_T0_E_clISt17integral_constantIbLb1EESX_EEDaSS_ST_EUlSS_E0_NS1_11comp_targetILNS1_3genE3ELNS1_11target_archE908ELNS1_3gpuE7ELNS1_3repE0EEENS1_30default_config_static_selectorELNS0_4arch9wavefront6targetE1EEEvT1_,@function
_ZN7rocprim17ROCPRIM_400000_NS6detail17trampoline_kernelINS0_14default_configENS1_20scan_config_selectorItEEZZNS1_9scan_implILNS1_25lookback_scan_determinismE0ELb0ELb0ES3_N6thrust23THRUST_200600_302600_NS6detail15normal_iteratorINS9_10device_ptrItEEEENS9_16discard_iteratorINS9_11use_defaultEEEtNS9_4plusIvEEtEEDaPvRmT3_T4_T5_mT6_P12ihipStream_tbENKUlT_T0_E_clISt17integral_constantIbLb1EESX_EEDaSS_ST_EUlSS_E0_NS1_11comp_targetILNS1_3genE3ELNS1_11target_archE908ELNS1_3gpuE7ELNS1_3repE0EEENS1_30default_config_static_selectorELNS0_4arch9wavefront6targetE1EEEvT1_: ; @_ZN7rocprim17ROCPRIM_400000_NS6detail17trampoline_kernelINS0_14default_configENS1_20scan_config_selectorItEEZZNS1_9scan_implILNS1_25lookback_scan_determinismE0ELb0ELb0ES3_N6thrust23THRUST_200600_302600_NS6detail15normal_iteratorINS9_10device_ptrItEEEENS9_16discard_iteratorINS9_11use_defaultEEEtNS9_4plusIvEEtEEDaPvRmT3_T4_T5_mT6_P12ihipStream_tbENKUlT_T0_E_clISt17integral_constantIbLb1EESX_EEDaSS_ST_EUlSS_E0_NS1_11comp_targetILNS1_3genE3ELNS1_11target_archE908ELNS1_3gpuE7ELNS1_3repE0EEENS1_30default_config_static_selectorELNS0_4arch9wavefront6targetE1EEEvT1_
; %bb.0:
	.section	.rodata,"a",@progbits
	.p2align	6, 0x0
	.amdhsa_kernel _ZN7rocprim17ROCPRIM_400000_NS6detail17trampoline_kernelINS0_14default_configENS1_20scan_config_selectorItEEZZNS1_9scan_implILNS1_25lookback_scan_determinismE0ELb0ELb0ES3_N6thrust23THRUST_200600_302600_NS6detail15normal_iteratorINS9_10device_ptrItEEEENS9_16discard_iteratorINS9_11use_defaultEEEtNS9_4plusIvEEtEEDaPvRmT3_T4_T5_mT6_P12ihipStream_tbENKUlT_T0_E_clISt17integral_constantIbLb1EESX_EEDaSS_ST_EUlSS_E0_NS1_11comp_targetILNS1_3genE3ELNS1_11target_archE908ELNS1_3gpuE7ELNS1_3repE0EEENS1_30default_config_static_selectorELNS0_4arch9wavefront6targetE1EEEvT1_
		.amdhsa_group_segment_fixed_size 0
		.amdhsa_private_segment_fixed_size 0
		.amdhsa_kernarg_size 40
		.amdhsa_user_sgpr_count 6
		.amdhsa_user_sgpr_private_segment_buffer 1
		.amdhsa_user_sgpr_dispatch_ptr 0
		.amdhsa_user_sgpr_queue_ptr 0
		.amdhsa_user_sgpr_kernarg_segment_ptr 1
		.amdhsa_user_sgpr_dispatch_id 0
		.amdhsa_user_sgpr_flat_scratch_init 0
		.amdhsa_user_sgpr_kernarg_preload_length 0
		.amdhsa_user_sgpr_kernarg_preload_offset 0
		.amdhsa_user_sgpr_private_segment_size 0
		.amdhsa_uses_dynamic_stack 0
		.amdhsa_system_sgpr_private_segment_wavefront_offset 0
		.amdhsa_system_sgpr_workgroup_id_x 1
		.amdhsa_system_sgpr_workgroup_id_y 0
		.amdhsa_system_sgpr_workgroup_id_z 0
		.amdhsa_system_sgpr_workgroup_info 0
		.amdhsa_system_vgpr_workitem_id 0
		.amdhsa_next_free_vgpr 1
		.amdhsa_next_free_sgpr 0
		.amdhsa_accum_offset 4
		.amdhsa_reserve_vcc 0
		.amdhsa_reserve_flat_scratch 0
		.amdhsa_float_round_mode_32 0
		.amdhsa_float_round_mode_16_64 0
		.amdhsa_float_denorm_mode_32 3
		.amdhsa_float_denorm_mode_16_64 3
		.amdhsa_dx10_clamp 1
		.amdhsa_ieee_mode 1
		.amdhsa_fp16_overflow 0
		.amdhsa_tg_split 0
		.amdhsa_exception_fp_ieee_invalid_op 0
		.amdhsa_exception_fp_denorm_src 0
		.amdhsa_exception_fp_ieee_div_zero 0
		.amdhsa_exception_fp_ieee_overflow 0
		.amdhsa_exception_fp_ieee_underflow 0
		.amdhsa_exception_fp_ieee_inexact 0
		.amdhsa_exception_int_div_zero 0
	.end_amdhsa_kernel
	.section	.text._ZN7rocprim17ROCPRIM_400000_NS6detail17trampoline_kernelINS0_14default_configENS1_20scan_config_selectorItEEZZNS1_9scan_implILNS1_25lookback_scan_determinismE0ELb0ELb0ES3_N6thrust23THRUST_200600_302600_NS6detail15normal_iteratorINS9_10device_ptrItEEEENS9_16discard_iteratorINS9_11use_defaultEEEtNS9_4plusIvEEtEEDaPvRmT3_T4_T5_mT6_P12ihipStream_tbENKUlT_T0_E_clISt17integral_constantIbLb1EESX_EEDaSS_ST_EUlSS_E0_NS1_11comp_targetILNS1_3genE3ELNS1_11target_archE908ELNS1_3gpuE7ELNS1_3repE0EEENS1_30default_config_static_selectorELNS0_4arch9wavefront6targetE1EEEvT1_,"axG",@progbits,_ZN7rocprim17ROCPRIM_400000_NS6detail17trampoline_kernelINS0_14default_configENS1_20scan_config_selectorItEEZZNS1_9scan_implILNS1_25lookback_scan_determinismE0ELb0ELb0ES3_N6thrust23THRUST_200600_302600_NS6detail15normal_iteratorINS9_10device_ptrItEEEENS9_16discard_iteratorINS9_11use_defaultEEEtNS9_4plusIvEEtEEDaPvRmT3_T4_T5_mT6_P12ihipStream_tbENKUlT_T0_E_clISt17integral_constantIbLb1EESX_EEDaSS_ST_EUlSS_E0_NS1_11comp_targetILNS1_3genE3ELNS1_11target_archE908ELNS1_3gpuE7ELNS1_3repE0EEENS1_30default_config_static_selectorELNS0_4arch9wavefront6targetE1EEEvT1_,comdat
.Lfunc_end5468:
	.size	_ZN7rocprim17ROCPRIM_400000_NS6detail17trampoline_kernelINS0_14default_configENS1_20scan_config_selectorItEEZZNS1_9scan_implILNS1_25lookback_scan_determinismE0ELb0ELb0ES3_N6thrust23THRUST_200600_302600_NS6detail15normal_iteratorINS9_10device_ptrItEEEENS9_16discard_iteratorINS9_11use_defaultEEEtNS9_4plusIvEEtEEDaPvRmT3_T4_T5_mT6_P12ihipStream_tbENKUlT_T0_E_clISt17integral_constantIbLb1EESX_EEDaSS_ST_EUlSS_E0_NS1_11comp_targetILNS1_3genE3ELNS1_11target_archE908ELNS1_3gpuE7ELNS1_3repE0EEENS1_30default_config_static_selectorELNS0_4arch9wavefront6targetE1EEEvT1_, .Lfunc_end5468-_ZN7rocprim17ROCPRIM_400000_NS6detail17trampoline_kernelINS0_14default_configENS1_20scan_config_selectorItEEZZNS1_9scan_implILNS1_25lookback_scan_determinismE0ELb0ELb0ES3_N6thrust23THRUST_200600_302600_NS6detail15normal_iteratorINS9_10device_ptrItEEEENS9_16discard_iteratorINS9_11use_defaultEEEtNS9_4plusIvEEtEEDaPvRmT3_T4_T5_mT6_P12ihipStream_tbENKUlT_T0_E_clISt17integral_constantIbLb1EESX_EEDaSS_ST_EUlSS_E0_NS1_11comp_targetILNS1_3genE3ELNS1_11target_archE908ELNS1_3gpuE7ELNS1_3repE0EEENS1_30default_config_static_selectorELNS0_4arch9wavefront6targetE1EEEvT1_
                                        ; -- End function
	.section	.AMDGPU.csdata,"",@progbits
; Kernel info:
; codeLenInByte = 0
; NumSgprs: 4
; NumVgprs: 0
; NumAgprs: 0
; TotalNumVgprs: 0
; ScratchSize: 0
; MemoryBound: 0
; FloatMode: 240
; IeeeMode: 1
; LDSByteSize: 0 bytes/workgroup (compile time only)
; SGPRBlocks: 0
; VGPRBlocks: 0
; NumSGPRsForWavesPerEU: 4
; NumVGPRsForWavesPerEU: 1
; AccumOffset: 4
; Occupancy: 8
; WaveLimiterHint : 0
; COMPUTE_PGM_RSRC2:SCRATCH_EN: 0
; COMPUTE_PGM_RSRC2:USER_SGPR: 6
; COMPUTE_PGM_RSRC2:TRAP_HANDLER: 0
; COMPUTE_PGM_RSRC2:TGID_X_EN: 1
; COMPUTE_PGM_RSRC2:TGID_Y_EN: 0
; COMPUTE_PGM_RSRC2:TGID_Z_EN: 0
; COMPUTE_PGM_RSRC2:TIDIG_COMP_CNT: 0
; COMPUTE_PGM_RSRC3_GFX90A:ACCUM_OFFSET: 0
; COMPUTE_PGM_RSRC3_GFX90A:TG_SPLIT: 0
	.section	.text._ZN7rocprim17ROCPRIM_400000_NS6detail17trampoline_kernelINS0_14default_configENS1_20scan_config_selectorItEEZZNS1_9scan_implILNS1_25lookback_scan_determinismE0ELb0ELb0ES3_N6thrust23THRUST_200600_302600_NS6detail15normal_iteratorINS9_10device_ptrItEEEENS9_16discard_iteratorINS9_11use_defaultEEEtNS9_4plusIvEEtEEDaPvRmT3_T4_T5_mT6_P12ihipStream_tbENKUlT_T0_E_clISt17integral_constantIbLb1EESX_EEDaSS_ST_EUlSS_E0_NS1_11comp_targetILNS1_3genE2ELNS1_11target_archE906ELNS1_3gpuE6ELNS1_3repE0EEENS1_30default_config_static_selectorELNS0_4arch9wavefront6targetE1EEEvT1_,"axG",@progbits,_ZN7rocprim17ROCPRIM_400000_NS6detail17trampoline_kernelINS0_14default_configENS1_20scan_config_selectorItEEZZNS1_9scan_implILNS1_25lookback_scan_determinismE0ELb0ELb0ES3_N6thrust23THRUST_200600_302600_NS6detail15normal_iteratorINS9_10device_ptrItEEEENS9_16discard_iteratorINS9_11use_defaultEEEtNS9_4plusIvEEtEEDaPvRmT3_T4_T5_mT6_P12ihipStream_tbENKUlT_T0_E_clISt17integral_constantIbLb1EESX_EEDaSS_ST_EUlSS_E0_NS1_11comp_targetILNS1_3genE2ELNS1_11target_archE906ELNS1_3gpuE6ELNS1_3repE0EEENS1_30default_config_static_selectorELNS0_4arch9wavefront6targetE1EEEvT1_,comdat
	.protected	_ZN7rocprim17ROCPRIM_400000_NS6detail17trampoline_kernelINS0_14default_configENS1_20scan_config_selectorItEEZZNS1_9scan_implILNS1_25lookback_scan_determinismE0ELb0ELb0ES3_N6thrust23THRUST_200600_302600_NS6detail15normal_iteratorINS9_10device_ptrItEEEENS9_16discard_iteratorINS9_11use_defaultEEEtNS9_4plusIvEEtEEDaPvRmT3_T4_T5_mT6_P12ihipStream_tbENKUlT_T0_E_clISt17integral_constantIbLb1EESX_EEDaSS_ST_EUlSS_E0_NS1_11comp_targetILNS1_3genE2ELNS1_11target_archE906ELNS1_3gpuE6ELNS1_3repE0EEENS1_30default_config_static_selectorELNS0_4arch9wavefront6targetE1EEEvT1_ ; -- Begin function _ZN7rocprim17ROCPRIM_400000_NS6detail17trampoline_kernelINS0_14default_configENS1_20scan_config_selectorItEEZZNS1_9scan_implILNS1_25lookback_scan_determinismE0ELb0ELb0ES3_N6thrust23THRUST_200600_302600_NS6detail15normal_iteratorINS9_10device_ptrItEEEENS9_16discard_iteratorINS9_11use_defaultEEEtNS9_4plusIvEEtEEDaPvRmT3_T4_T5_mT6_P12ihipStream_tbENKUlT_T0_E_clISt17integral_constantIbLb1EESX_EEDaSS_ST_EUlSS_E0_NS1_11comp_targetILNS1_3genE2ELNS1_11target_archE906ELNS1_3gpuE6ELNS1_3repE0EEENS1_30default_config_static_selectorELNS0_4arch9wavefront6targetE1EEEvT1_
	.globl	_ZN7rocprim17ROCPRIM_400000_NS6detail17trampoline_kernelINS0_14default_configENS1_20scan_config_selectorItEEZZNS1_9scan_implILNS1_25lookback_scan_determinismE0ELb0ELb0ES3_N6thrust23THRUST_200600_302600_NS6detail15normal_iteratorINS9_10device_ptrItEEEENS9_16discard_iteratorINS9_11use_defaultEEEtNS9_4plusIvEEtEEDaPvRmT3_T4_T5_mT6_P12ihipStream_tbENKUlT_T0_E_clISt17integral_constantIbLb1EESX_EEDaSS_ST_EUlSS_E0_NS1_11comp_targetILNS1_3genE2ELNS1_11target_archE906ELNS1_3gpuE6ELNS1_3repE0EEENS1_30default_config_static_selectorELNS0_4arch9wavefront6targetE1EEEvT1_
	.p2align	8
	.type	_ZN7rocprim17ROCPRIM_400000_NS6detail17trampoline_kernelINS0_14default_configENS1_20scan_config_selectorItEEZZNS1_9scan_implILNS1_25lookback_scan_determinismE0ELb0ELb0ES3_N6thrust23THRUST_200600_302600_NS6detail15normal_iteratorINS9_10device_ptrItEEEENS9_16discard_iteratorINS9_11use_defaultEEEtNS9_4plusIvEEtEEDaPvRmT3_T4_T5_mT6_P12ihipStream_tbENKUlT_T0_E_clISt17integral_constantIbLb1EESX_EEDaSS_ST_EUlSS_E0_NS1_11comp_targetILNS1_3genE2ELNS1_11target_archE906ELNS1_3gpuE6ELNS1_3repE0EEENS1_30default_config_static_selectorELNS0_4arch9wavefront6targetE1EEEvT1_,@function
_ZN7rocprim17ROCPRIM_400000_NS6detail17trampoline_kernelINS0_14default_configENS1_20scan_config_selectorItEEZZNS1_9scan_implILNS1_25lookback_scan_determinismE0ELb0ELb0ES3_N6thrust23THRUST_200600_302600_NS6detail15normal_iteratorINS9_10device_ptrItEEEENS9_16discard_iteratorINS9_11use_defaultEEEtNS9_4plusIvEEtEEDaPvRmT3_T4_T5_mT6_P12ihipStream_tbENKUlT_T0_E_clISt17integral_constantIbLb1EESX_EEDaSS_ST_EUlSS_E0_NS1_11comp_targetILNS1_3genE2ELNS1_11target_archE906ELNS1_3gpuE6ELNS1_3repE0EEENS1_30default_config_static_selectorELNS0_4arch9wavefront6targetE1EEEvT1_: ; @_ZN7rocprim17ROCPRIM_400000_NS6detail17trampoline_kernelINS0_14default_configENS1_20scan_config_selectorItEEZZNS1_9scan_implILNS1_25lookback_scan_determinismE0ELb0ELb0ES3_N6thrust23THRUST_200600_302600_NS6detail15normal_iteratorINS9_10device_ptrItEEEENS9_16discard_iteratorINS9_11use_defaultEEEtNS9_4plusIvEEtEEDaPvRmT3_T4_T5_mT6_P12ihipStream_tbENKUlT_T0_E_clISt17integral_constantIbLb1EESX_EEDaSS_ST_EUlSS_E0_NS1_11comp_targetILNS1_3genE2ELNS1_11target_archE906ELNS1_3gpuE6ELNS1_3repE0EEENS1_30default_config_static_selectorELNS0_4arch9wavefront6targetE1EEEvT1_
; %bb.0:
	.section	.rodata,"a",@progbits
	.p2align	6, 0x0
	.amdhsa_kernel _ZN7rocprim17ROCPRIM_400000_NS6detail17trampoline_kernelINS0_14default_configENS1_20scan_config_selectorItEEZZNS1_9scan_implILNS1_25lookback_scan_determinismE0ELb0ELb0ES3_N6thrust23THRUST_200600_302600_NS6detail15normal_iteratorINS9_10device_ptrItEEEENS9_16discard_iteratorINS9_11use_defaultEEEtNS9_4plusIvEEtEEDaPvRmT3_T4_T5_mT6_P12ihipStream_tbENKUlT_T0_E_clISt17integral_constantIbLb1EESX_EEDaSS_ST_EUlSS_E0_NS1_11comp_targetILNS1_3genE2ELNS1_11target_archE906ELNS1_3gpuE6ELNS1_3repE0EEENS1_30default_config_static_selectorELNS0_4arch9wavefront6targetE1EEEvT1_
		.amdhsa_group_segment_fixed_size 0
		.amdhsa_private_segment_fixed_size 0
		.amdhsa_kernarg_size 40
		.amdhsa_user_sgpr_count 6
		.amdhsa_user_sgpr_private_segment_buffer 1
		.amdhsa_user_sgpr_dispatch_ptr 0
		.amdhsa_user_sgpr_queue_ptr 0
		.amdhsa_user_sgpr_kernarg_segment_ptr 1
		.amdhsa_user_sgpr_dispatch_id 0
		.amdhsa_user_sgpr_flat_scratch_init 0
		.amdhsa_user_sgpr_kernarg_preload_length 0
		.amdhsa_user_sgpr_kernarg_preload_offset 0
		.amdhsa_user_sgpr_private_segment_size 0
		.amdhsa_uses_dynamic_stack 0
		.amdhsa_system_sgpr_private_segment_wavefront_offset 0
		.amdhsa_system_sgpr_workgroup_id_x 1
		.amdhsa_system_sgpr_workgroup_id_y 0
		.amdhsa_system_sgpr_workgroup_id_z 0
		.amdhsa_system_sgpr_workgroup_info 0
		.amdhsa_system_vgpr_workitem_id 0
		.amdhsa_next_free_vgpr 1
		.amdhsa_next_free_sgpr 0
		.amdhsa_accum_offset 4
		.amdhsa_reserve_vcc 0
		.amdhsa_reserve_flat_scratch 0
		.amdhsa_float_round_mode_32 0
		.amdhsa_float_round_mode_16_64 0
		.amdhsa_float_denorm_mode_32 3
		.amdhsa_float_denorm_mode_16_64 3
		.amdhsa_dx10_clamp 1
		.amdhsa_ieee_mode 1
		.amdhsa_fp16_overflow 0
		.amdhsa_tg_split 0
		.amdhsa_exception_fp_ieee_invalid_op 0
		.amdhsa_exception_fp_denorm_src 0
		.amdhsa_exception_fp_ieee_div_zero 0
		.amdhsa_exception_fp_ieee_overflow 0
		.amdhsa_exception_fp_ieee_underflow 0
		.amdhsa_exception_fp_ieee_inexact 0
		.amdhsa_exception_int_div_zero 0
	.end_amdhsa_kernel
	.section	.text._ZN7rocprim17ROCPRIM_400000_NS6detail17trampoline_kernelINS0_14default_configENS1_20scan_config_selectorItEEZZNS1_9scan_implILNS1_25lookback_scan_determinismE0ELb0ELb0ES3_N6thrust23THRUST_200600_302600_NS6detail15normal_iteratorINS9_10device_ptrItEEEENS9_16discard_iteratorINS9_11use_defaultEEEtNS9_4plusIvEEtEEDaPvRmT3_T4_T5_mT6_P12ihipStream_tbENKUlT_T0_E_clISt17integral_constantIbLb1EESX_EEDaSS_ST_EUlSS_E0_NS1_11comp_targetILNS1_3genE2ELNS1_11target_archE906ELNS1_3gpuE6ELNS1_3repE0EEENS1_30default_config_static_selectorELNS0_4arch9wavefront6targetE1EEEvT1_,"axG",@progbits,_ZN7rocprim17ROCPRIM_400000_NS6detail17trampoline_kernelINS0_14default_configENS1_20scan_config_selectorItEEZZNS1_9scan_implILNS1_25lookback_scan_determinismE0ELb0ELb0ES3_N6thrust23THRUST_200600_302600_NS6detail15normal_iteratorINS9_10device_ptrItEEEENS9_16discard_iteratorINS9_11use_defaultEEEtNS9_4plusIvEEtEEDaPvRmT3_T4_T5_mT6_P12ihipStream_tbENKUlT_T0_E_clISt17integral_constantIbLb1EESX_EEDaSS_ST_EUlSS_E0_NS1_11comp_targetILNS1_3genE2ELNS1_11target_archE906ELNS1_3gpuE6ELNS1_3repE0EEENS1_30default_config_static_selectorELNS0_4arch9wavefront6targetE1EEEvT1_,comdat
.Lfunc_end5469:
	.size	_ZN7rocprim17ROCPRIM_400000_NS6detail17trampoline_kernelINS0_14default_configENS1_20scan_config_selectorItEEZZNS1_9scan_implILNS1_25lookback_scan_determinismE0ELb0ELb0ES3_N6thrust23THRUST_200600_302600_NS6detail15normal_iteratorINS9_10device_ptrItEEEENS9_16discard_iteratorINS9_11use_defaultEEEtNS9_4plusIvEEtEEDaPvRmT3_T4_T5_mT6_P12ihipStream_tbENKUlT_T0_E_clISt17integral_constantIbLb1EESX_EEDaSS_ST_EUlSS_E0_NS1_11comp_targetILNS1_3genE2ELNS1_11target_archE906ELNS1_3gpuE6ELNS1_3repE0EEENS1_30default_config_static_selectorELNS0_4arch9wavefront6targetE1EEEvT1_, .Lfunc_end5469-_ZN7rocprim17ROCPRIM_400000_NS6detail17trampoline_kernelINS0_14default_configENS1_20scan_config_selectorItEEZZNS1_9scan_implILNS1_25lookback_scan_determinismE0ELb0ELb0ES3_N6thrust23THRUST_200600_302600_NS6detail15normal_iteratorINS9_10device_ptrItEEEENS9_16discard_iteratorINS9_11use_defaultEEEtNS9_4plusIvEEtEEDaPvRmT3_T4_T5_mT6_P12ihipStream_tbENKUlT_T0_E_clISt17integral_constantIbLb1EESX_EEDaSS_ST_EUlSS_E0_NS1_11comp_targetILNS1_3genE2ELNS1_11target_archE906ELNS1_3gpuE6ELNS1_3repE0EEENS1_30default_config_static_selectorELNS0_4arch9wavefront6targetE1EEEvT1_
                                        ; -- End function
	.section	.AMDGPU.csdata,"",@progbits
; Kernel info:
; codeLenInByte = 0
; NumSgprs: 4
; NumVgprs: 0
; NumAgprs: 0
; TotalNumVgprs: 0
; ScratchSize: 0
; MemoryBound: 0
; FloatMode: 240
; IeeeMode: 1
; LDSByteSize: 0 bytes/workgroup (compile time only)
; SGPRBlocks: 0
; VGPRBlocks: 0
; NumSGPRsForWavesPerEU: 4
; NumVGPRsForWavesPerEU: 1
; AccumOffset: 4
; Occupancy: 8
; WaveLimiterHint : 0
; COMPUTE_PGM_RSRC2:SCRATCH_EN: 0
; COMPUTE_PGM_RSRC2:USER_SGPR: 6
; COMPUTE_PGM_RSRC2:TRAP_HANDLER: 0
; COMPUTE_PGM_RSRC2:TGID_X_EN: 1
; COMPUTE_PGM_RSRC2:TGID_Y_EN: 0
; COMPUTE_PGM_RSRC2:TGID_Z_EN: 0
; COMPUTE_PGM_RSRC2:TIDIG_COMP_CNT: 0
; COMPUTE_PGM_RSRC3_GFX90A:ACCUM_OFFSET: 0
; COMPUTE_PGM_RSRC3_GFX90A:TG_SPLIT: 0
	.section	.text._ZN7rocprim17ROCPRIM_400000_NS6detail17trampoline_kernelINS0_14default_configENS1_20scan_config_selectorItEEZZNS1_9scan_implILNS1_25lookback_scan_determinismE0ELb0ELb0ES3_N6thrust23THRUST_200600_302600_NS6detail15normal_iteratorINS9_10device_ptrItEEEENS9_16discard_iteratorINS9_11use_defaultEEEtNS9_4plusIvEEtEEDaPvRmT3_T4_T5_mT6_P12ihipStream_tbENKUlT_T0_E_clISt17integral_constantIbLb1EESX_EEDaSS_ST_EUlSS_E0_NS1_11comp_targetILNS1_3genE10ELNS1_11target_archE1201ELNS1_3gpuE5ELNS1_3repE0EEENS1_30default_config_static_selectorELNS0_4arch9wavefront6targetE1EEEvT1_,"axG",@progbits,_ZN7rocprim17ROCPRIM_400000_NS6detail17trampoline_kernelINS0_14default_configENS1_20scan_config_selectorItEEZZNS1_9scan_implILNS1_25lookback_scan_determinismE0ELb0ELb0ES3_N6thrust23THRUST_200600_302600_NS6detail15normal_iteratorINS9_10device_ptrItEEEENS9_16discard_iteratorINS9_11use_defaultEEEtNS9_4plusIvEEtEEDaPvRmT3_T4_T5_mT6_P12ihipStream_tbENKUlT_T0_E_clISt17integral_constantIbLb1EESX_EEDaSS_ST_EUlSS_E0_NS1_11comp_targetILNS1_3genE10ELNS1_11target_archE1201ELNS1_3gpuE5ELNS1_3repE0EEENS1_30default_config_static_selectorELNS0_4arch9wavefront6targetE1EEEvT1_,comdat
	.protected	_ZN7rocprim17ROCPRIM_400000_NS6detail17trampoline_kernelINS0_14default_configENS1_20scan_config_selectorItEEZZNS1_9scan_implILNS1_25lookback_scan_determinismE0ELb0ELb0ES3_N6thrust23THRUST_200600_302600_NS6detail15normal_iteratorINS9_10device_ptrItEEEENS9_16discard_iteratorINS9_11use_defaultEEEtNS9_4plusIvEEtEEDaPvRmT3_T4_T5_mT6_P12ihipStream_tbENKUlT_T0_E_clISt17integral_constantIbLb1EESX_EEDaSS_ST_EUlSS_E0_NS1_11comp_targetILNS1_3genE10ELNS1_11target_archE1201ELNS1_3gpuE5ELNS1_3repE0EEENS1_30default_config_static_selectorELNS0_4arch9wavefront6targetE1EEEvT1_ ; -- Begin function _ZN7rocprim17ROCPRIM_400000_NS6detail17trampoline_kernelINS0_14default_configENS1_20scan_config_selectorItEEZZNS1_9scan_implILNS1_25lookback_scan_determinismE0ELb0ELb0ES3_N6thrust23THRUST_200600_302600_NS6detail15normal_iteratorINS9_10device_ptrItEEEENS9_16discard_iteratorINS9_11use_defaultEEEtNS9_4plusIvEEtEEDaPvRmT3_T4_T5_mT6_P12ihipStream_tbENKUlT_T0_E_clISt17integral_constantIbLb1EESX_EEDaSS_ST_EUlSS_E0_NS1_11comp_targetILNS1_3genE10ELNS1_11target_archE1201ELNS1_3gpuE5ELNS1_3repE0EEENS1_30default_config_static_selectorELNS0_4arch9wavefront6targetE1EEEvT1_
	.globl	_ZN7rocprim17ROCPRIM_400000_NS6detail17trampoline_kernelINS0_14default_configENS1_20scan_config_selectorItEEZZNS1_9scan_implILNS1_25lookback_scan_determinismE0ELb0ELb0ES3_N6thrust23THRUST_200600_302600_NS6detail15normal_iteratorINS9_10device_ptrItEEEENS9_16discard_iteratorINS9_11use_defaultEEEtNS9_4plusIvEEtEEDaPvRmT3_T4_T5_mT6_P12ihipStream_tbENKUlT_T0_E_clISt17integral_constantIbLb1EESX_EEDaSS_ST_EUlSS_E0_NS1_11comp_targetILNS1_3genE10ELNS1_11target_archE1201ELNS1_3gpuE5ELNS1_3repE0EEENS1_30default_config_static_selectorELNS0_4arch9wavefront6targetE1EEEvT1_
	.p2align	8
	.type	_ZN7rocprim17ROCPRIM_400000_NS6detail17trampoline_kernelINS0_14default_configENS1_20scan_config_selectorItEEZZNS1_9scan_implILNS1_25lookback_scan_determinismE0ELb0ELb0ES3_N6thrust23THRUST_200600_302600_NS6detail15normal_iteratorINS9_10device_ptrItEEEENS9_16discard_iteratorINS9_11use_defaultEEEtNS9_4plusIvEEtEEDaPvRmT3_T4_T5_mT6_P12ihipStream_tbENKUlT_T0_E_clISt17integral_constantIbLb1EESX_EEDaSS_ST_EUlSS_E0_NS1_11comp_targetILNS1_3genE10ELNS1_11target_archE1201ELNS1_3gpuE5ELNS1_3repE0EEENS1_30default_config_static_selectorELNS0_4arch9wavefront6targetE1EEEvT1_,@function
_ZN7rocprim17ROCPRIM_400000_NS6detail17trampoline_kernelINS0_14default_configENS1_20scan_config_selectorItEEZZNS1_9scan_implILNS1_25lookback_scan_determinismE0ELb0ELb0ES3_N6thrust23THRUST_200600_302600_NS6detail15normal_iteratorINS9_10device_ptrItEEEENS9_16discard_iteratorINS9_11use_defaultEEEtNS9_4plusIvEEtEEDaPvRmT3_T4_T5_mT6_P12ihipStream_tbENKUlT_T0_E_clISt17integral_constantIbLb1EESX_EEDaSS_ST_EUlSS_E0_NS1_11comp_targetILNS1_3genE10ELNS1_11target_archE1201ELNS1_3gpuE5ELNS1_3repE0EEENS1_30default_config_static_selectorELNS0_4arch9wavefront6targetE1EEEvT1_: ; @_ZN7rocprim17ROCPRIM_400000_NS6detail17trampoline_kernelINS0_14default_configENS1_20scan_config_selectorItEEZZNS1_9scan_implILNS1_25lookback_scan_determinismE0ELb0ELb0ES3_N6thrust23THRUST_200600_302600_NS6detail15normal_iteratorINS9_10device_ptrItEEEENS9_16discard_iteratorINS9_11use_defaultEEEtNS9_4plusIvEEtEEDaPvRmT3_T4_T5_mT6_P12ihipStream_tbENKUlT_T0_E_clISt17integral_constantIbLb1EESX_EEDaSS_ST_EUlSS_E0_NS1_11comp_targetILNS1_3genE10ELNS1_11target_archE1201ELNS1_3gpuE5ELNS1_3repE0EEENS1_30default_config_static_selectorELNS0_4arch9wavefront6targetE1EEEvT1_
; %bb.0:
	.section	.rodata,"a",@progbits
	.p2align	6, 0x0
	.amdhsa_kernel _ZN7rocprim17ROCPRIM_400000_NS6detail17trampoline_kernelINS0_14default_configENS1_20scan_config_selectorItEEZZNS1_9scan_implILNS1_25lookback_scan_determinismE0ELb0ELb0ES3_N6thrust23THRUST_200600_302600_NS6detail15normal_iteratorINS9_10device_ptrItEEEENS9_16discard_iteratorINS9_11use_defaultEEEtNS9_4plusIvEEtEEDaPvRmT3_T4_T5_mT6_P12ihipStream_tbENKUlT_T0_E_clISt17integral_constantIbLb1EESX_EEDaSS_ST_EUlSS_E0_NS1_11comp_targetILNS1_3genE10ELNS1_11target_archE1201ELNS1_3gpuE5ELNS1_3repE0EEENS1_30default_config_static_selectorELNS0_4arch9wavefront6targetE1EEEvT1_
		.amdhsa_group_segment_fixed_size 0
		.amdhsa_private_segment_fixed_size 0
		.amdhsa_kernarg_size 40
		.amdhsa_user_sgpr_count 6
		.amdhsa_user_sgpr_private_segment_buffer 1
		.amdhsa_user_sgpr_dispatch_ptr 0
		.amdhsa_user_sgpr_queue_ptr 0
		.amdhsa_user_sgpr_kernarg_segment_ptr 1
		.amdhsa_user_sgpr_dispatch_id 0
		.amdhsa_user_sgpr_flat_scratch_init 0
		.amdhsa_user_sgpr_kernarg_preload_length 0
		.amdhsa_user_sgpr_kernarg_preload_offset 0
		.amdhsa_user_sgpr_private_segment_size 0
		.amdhsa_uses_dynamic_stack 0
		.amdhsa_system_sgpr_private_segment_wavefront_offset 0
		.amdhsa_system_sgpr_workgroup_id_x 1
		.amdhsa_system_sgpr_workgroup_id_y 0
		.amdhsa_system_sgpr_workgroup_id_z 0
		.amdhsa_system_sgpr_workgroup_info 0
		.amdhsa_system_vgpr_workitem_id 0
		.amdhsa_next_free_vgpr 1
		.amdhsa_next_free_sgpr 0
		.amdhsa_accum_offset 4
		.amdhsa_reserve_vcc 0
		.amdhsa_reserve_flat_scratch 0
		.amdhsa_float_round_mode_32 0
		.amdhsa_float_round_mode_16_64 0
		.amdhsa_float_denorm_mode_32 3
		.amdhsa_float_denorm_mode_16_64 3
		.amdhsa_dx10_clamp 1
		.amdhsa_ieee_mode 1
		.amdhsa_fp16_overflow 0
		.amdhsa_tg_split 0
		.amdhsa_exception_fp_ieee_invalid_op 0
		.amdhsa_exception_fp_denorm_src 0
		.amdhsa_exception_fp_ieee_div_zero 0
		.amdhsa_exception_fp_ieee_overflow 0
		.amdhsa_exception_fp_ieee_underflow 0
		.amdhsa_exception_fp_ieee_inexact 0
		.amdhsa_exception_int_div_zero 0
	.end_amdhsa_kernel
	.section	.text._ZN7rocprim17ROCPRIM_400000_NS6detail17trampoline_kernelINS0_14default_configENS1_20scan_config_selectorItEEZZNS1_9scan_implILNS1_25lookback_scan_determinismE0ELb0ELb0ES3_N6thrust23THRUST_200600_302600_NS6detail15normal_iteratorINS9_10device_ptrItEEEENS9_16discard_iteratorINS9_11use_defaultEEEtNS9_4plusIvEEtEEDaPvRmT3_T4_T5_mT6_P12ihipStream_tbENKUlT_T0_E_clISt17integral_constantIbLb1EESX_EEDaSS_ST_EUlSS_E0_NS1_11comp_targetILNS1_3genE10ELNS1_11target_archE1201ELNS1_3gpuE5ELNS1_3repE0EEENS1_30default_config_static_selectorELNS0_4arch9wavefront6targetE1EEEvT1_,"axG",@progbits,_ZN7rocprim17ROCPRIM_400000_NS6detail17trampoline_kernelINS0_14default_configENS1_20scan_config_selectorItEEZZNS1_9scan_implILNS1_25lookback_scan_determinismE0ELb0ELb0ES3_N6thrust23THRUST_200600_302600_NS6detail15normal_iteratorINS9_10device_ptrItEEEENS9_16discard_iteratorINS9_11use_defaultEEEtNS9_4plusIvEEtEEDaPvRmT3_T4_T5_mT6_P12ihipStream_tbENKUlT_T0_E_clISt17integral_constantIbLb1EESX_EEDaSS_ST_EUlSS_E0_NS1_11comp_targetILNS1_3genE10ELNS1_11target_archE1201ELNS1_3gpuE5ELNS1_3repE0EEENS1_30default_config_static_selectorELNS0_4arch9wavefront6targetE1EEEvT1_,comdat
.Lfunc_end5470:
	.size	_ZN7rocprim17ROCPRIM_400000_NS6detail17trampoline_kernelINS0_14default_configENS1_20scan_config_selectorItEEZZNS1_9scan_implILNS1_25lookback_scan_determinismE0ELb0ELb0ES3_N6thrust23THRUST_200600_302600_NS6detail15normal_iteratorINS9_10device_ptrItEEEENS9_16discard_iteratorINS9_11use_defaultEEEtNS9_4plusIvEEtEEDaPvRmT3_T4_T5_mT6_P12ihipStream_tbENKUlT_T0_E_clISt17integral_constantIbLb1EESX_EEDaSS_ST_EUlSS_E0_NS1_11comp_targetILNS1_3genE10ELNS1_11target_archE1201ELNS1_3gpuE5ELNS1_3repE0EEENS1_30default_config_static_selectorELNS0_4arch9wavefront6targetE1EEEvT1_, .Lfunc_end5470-_ZN7rocprim17ROCPRIM_400000_NS6detail17trampoline_kernelINS0_14default_configENS1_20scan_config_selectorItEEZZNS1_9scan_implILNS1_25lookback_scan_determinismE0ELb0ELb0ES3_N6thrust23THRUST_200600_302600_NS6detail15normal_iteratorINS9_10device_ptrItEEEENS9_16discard_iteratorINS9_11use_defaultEEEtNS9_4plusIvEEtEEDaPvRmT3_T4_T5_mT6_P12ihipStream_tbENKUlT_T0_E_clISt17integral_constantIbLb1EESX_EEDaSS_ST_EUlSS_E0_NS1_11comp_targetILNS1_3genE10ELNS1_11target_archE1201ELNS1_3gpuE5ELNS1_3repE0EEENS1_30default_config_static_selectorELNS0_4arch9wavefront6targetE1EEEvT1_
                                        ; -- End function
	.section	.AMDGPU.csdata,"",@progbits
; Kernel info:
; codeLenInByte = 0
; NumSgprs: 4
; NumVgprs: 0
; NumAgprs: 0
; TotalNumVgprs: 0
; ScratchSize: 0
; MemoryBound: 0
; FloatMode: 240
; IeeeMode: 1
; LDSByteSize: 0 bytes/workgroup (compile time only)
; SGPRBlocks: 0
; VGPRBlocks: 0
; NumSGPRsForWavesPerEU: 4
; NumVGPRsForWavesPerEU: 1
; AccumOffset: 4
; Occupancy: 8
; WaveLimiterHint : 0
; COMPUTE_PGM_RSRC2:SCRATCH_EN: 0
; COMPUTE_PGM_RSRC2:USER_SGPR: 6
; COMPUTE_PGM_RSRC2:TRAP_HANDLER: 0
; COMPUTE_PGM_RSRC2:TGID_X_EN: 1
; COMPUTE_PGM_RSRC2:TGID_Y_EN: 0
; COMPUTE_PGM_RSRC2:TGID_Z_EN: 0
; COMPUTE_PGM_RSRC2:TIDIG_COMP_CNT: 0
; COMPUTE_PGM_RSRC3_GFX90A:ACCUM_OFFSET: 0
; COMPUTE_PGM_RSRC3_GFX90A:TG_SPLIT: 0
	.section	.text._ZN7rocprim17ROCPRIM_400000_NS6detail17trampoline_kernelINS0_14default_configENS1_20scan_config_selectorItEEZZNS1_9scan_implILNS1_25lookback_scan_determinismE0ELb0ELb0ES3_N6thrust23THRUST_200600_302600_NS6detail15normal_iteratorINS9_10device_ptrItEEEENS9_16discard_iteratorINS9_11use_defaultEEEtNS9_4plusIvEEtEEDaPvRmT3_T4_T5_mT6_P12ihipStream_tbENKUlT_T0_E_clISt17integral_constantIbLb1EESX_EEDaSS_ST_EUlSS_E0_NS1_11comp_targetILNS1_3genE10ELNS1_11target_archE1200ELNS1_3gpuE4ELNS1_3repE0EEENS1_30default_config_static_selectorELNS0_4arch9wavefront6targetE1EEEvT1_,"axG",@progbits,_ZN7rocprim17ROCPRIM_400000_NS6detail17trampoline_kernelINS0_14default_configENS1_20scan_config_selectorItEEZZNS1_9scan_implILNS1_25lookback_scan_determinismE0ELb0ELb0ES3_N6thrust23THRUST_200600_302600_NS6detail15normal_iteratorINS9_10device_ptrItEEEENS9_16discard_iteratorINS9_11use_defaultEEEtNS9_4plusIvEEtEEDaPvRmT3_T4_T5_mT6_P12ihipStream_tbENKUlT_T0_E_clISt17integral_constantIbLb1EESX_EEDaSS_ST_EUlSS_E0_NS1_11comp_targetILNS1_3genE10ELNS1_11target_archE1200ELNS1_3gpuE4ELNS1_3repE0EEENS1_30default_config_static_selectorELNS0_4arch9wavefront6targetE1EEEvT1_,comdat
	.protected	_ZN7rocprim17ROCPRIM_400000_NS6detail17trampoline_kernelINS0_14default_configENS1_20scan_config_selectorItEEZZNS1_9scan_implILNS1_25lookback_scan_determinismE0ELb0ELb0ES3_N6thrust23THRUST_200600_302600_NS6detail15normal_iteratorINS9_10device_ptrItEEEENS9_16discard_iteratorINS9_11use_defaultEEEtNS9_4plusIvEEtEEDaPvRmT3_T4_T5_mT6_P12ihipStream_tbENKUlT_T0_E_clISt17integral_constantIbLb1EESX_EEDaSS_ST_EUlSS_E0_NS1_11comp_targetILNS1_3genE10ELNS1_11target_archE1200ELNS1_3gpuE4ELNS1_3repE0EEENS1_30default_config_static_selectorELNS0_4arch9wavefront6targetE1EEEvT1_ ; -- Begin function _ZN7rocprim17ROCPRIM_400000_NS6detail17trampoline_kernelINS0_14default_configENS1_20scan_config_selectorItEEZZNS1_9scan_implILNS1_25lookback_scan_determinismE0ELb0ELb0ES3_N6thrust23THRUST_200600_302600_NS6detail15normal_iteratorINS9_10device_ptrItEEEENS9_16discard_iteratorINS9_11use_defaultEEEtNS9_4plusIvEEtEEDaPvRmT3_T4_T5_mT6_P12ihipStream_tbENKUlT_T0_E_clISt17integral_constantIbLb1EESX_EEDaSS_ST_EUlSS_E0_NS1_11comp_targetILNS1_3genE10ELNS1_11target_archE1200ELNS1_3gpuE4ELNS1_3repE0EEENS1_30default_config_static_selectorELNS0_4arch9wavefront6targetE1EEEvT1_
	.globl	_ZN7rocprim17ROCPRIM_400000_NS6detail17trampoline_kernelINS0_14default_configENS1_20scan_config_selectorItEEZZNS1_9scan_implILNS1_25lookback_scan_determinismE0ELb0ELb0ES3_N6thrust23THRUST_200600_302600_NS6detail15normal_iteratorINS9_10device_ptrItEEEENS9_16discard_iteratorINS9_11use_defaultEEEtNS9_4plusIvEEtEEDaPvRmT3_T4_T5_mT6_P12ihipStream_tbENKUlT_T0_E_clISt17integral_constantIbLb1EESX_EEDaSS_ST_EUlSS_E0_NS1_11comp_targetILNS1_3genE10ELNS1_11target_archE1200ELNS1_3gpuE4ELNS1_3repE0EEENS1_30default_config_static_selectorELNS0_4arch9wavefront6targetE1EEEvT1_
	.p2align	8
	.type	_ZN7rocprim17ROCPRIM_400000_NS6detail17trampoline_kernelINS0_14default_configENS1_20scan_config_selectorItEEZZNS1_9scan_implILNS1_25lookback_scan_determinismE0ELb0ELb0ES3_N6thrust23THRUST_200600_302600_NS6detail15normal_iteratorINS9_10device_ptrItEEEENS9_16discard_iteratorINS9_11use_defaultEEEtNS9_4plusIvEEtEEDaPvRmT3_T4_T5_mT6_P12ihipStream_tbENKUlT_T0_E_clISt17integral_constantIbLb1EESX_EEDaSS_ST_EUlSS_E0_NS1_11comp_targetILNS1_3genE10ELNS1_11target_archE1200ELNS1_3gpuE4ELNS1_3repE0EEENS1_30default_config_static_selectorELNS0_4arch9wavefront6targetE1EEEvT1_,@function
_ZN7rocprim17ROCPRIM_400000_NS6detail17trampoline_kernelINS0_14default_configENS1_20scan_config_selectorItEEZZNS1_9scan_implILNS1_25lookback_scan_determinismE0ELb0ELb0ES3_N6thrust23THRUST_200600_302600_NS6detail15normal_iteratorINS9_10device_ptrItEEEENS9_16discard_iteratorINS9_11use_defaultEEEtNS9_4plusIvEEtEEDaPvRmT3_T4_T5_mT6_P12ihipStream_tbENKUlT_T0_E_clISt17integral_constantIbLb1EESX_EEDaSS_ST_EUlSS_E0_NS1_11comp_targetILNS1_3genE10ELNS1_11target_archE1200ELNS1_3gpuE4ELNS1_3repE0EEENS1_30default_config_static_selectorELNS0_4arch9wavefront6targetE1EEEvT1_: ; @_ZN7rocprim17ROCPRIM_400000_NS6detail17trampoline_kernelINS0_14default_configENS1_20scan_config_selectorItEEZZNS1_9scan_implILNS1_25lookback_scan_determinismE0ELb0ELb0ES3_N6thrust23THRUST_200600_302600_NS6detail15normal_iteratorINS9_10device_ptrItEEEENS9_16discard_iteratorINS9_11use_defaultEEEtNS9_4plusIvEEtEEDaPvRmT3_T4_T5_mT6_P12ihipStream_tbENKUlT_T0_E_clISt17integral_constantIbLb1EESX_EEDaSS_ST_EUlSS_E0_NS1_11comp_targetILNS1_3genE10ELNS1_11target_archE1200ELNS1_3gpuE4ELNS1_3repE0EEENS1_30default_config_static_selectorELNS0_4arch9wavefront6targetE1EEEvT1_
; %bb.0:
	.section	.rodata,"a",@progbits
	.p2align	6, 0x0
	.amdhsa_kernel _ZN7rocprim17ROCPRIM_400000_NS6detail17trampoline_kernelINS0_14default_configENS1_20scan_config_selectorItEEZZNS1_9scan_implILNS1_25lookback_scan_determinismE0ELb0ELb0ES3_N6thrust23THRUST_200600_302600_NS6detail15normal_iteratorINS9_10device_ptrItEEEENS9_16discard_iteratorINS9_11use_defaultEEEtNS9_4plusIvEEtEEDaPvRmT3_T4_T5_mT6_P12ihipStream_tbENKUlT_T0_E_clISt17integral_constantIbLb1EESX_EEDaSS_ST_EUlSS_E0_NS1_11comp_targetILNS1_3genE10ELNS1_11target_archE1200ELNS1_3gpuE4ELNS1_3repE0EEENS1_30default_config_static_selectorELNS0_4arch9wavefront6targetE1EEEvT1_
		.amdhsa_group_segment_fixed_size 0
		.amdhsa_private_segment_fixed_size 0
		.amdhsa_kernarg_size 40
		.amdhsa_user_sgpr_count 6
		.amdhsa_user_sgpr_private_segment_buffer 1
		.amdhsa_user_sgpr_dispatch_ptr 0
		.amdhsa_user_sgpr_queue_ptr 0
		.amdhsa_user_sgpr_kernarg_segment_ptr 1
		.amdhsa_user_sgpr_dispatch_id 0
		.amdhsa_user_sgpr_flat_scratch_init 0
		.amdhsa_user_sgpr_kernarg_preload_length 0
		.amdhsa_user_sgpr_kernarg_preload_offset 0
		.amdhsa_user_sgpr_private_segment_size 0
		.amdhsa_uses_dynamic_stack 0
		.amdhsa_system_sgpr_private_segment_wavefront_offset 0
		.amdhsa_system_sgpr_workgroup_id_x 1
		.amdhsa_system_sgpr_workgroup_id_y 0
		.amdhsa_system_sgpr_workgroup_id_z 0
		.amdhsa_system_sgpr_workgroup_info 0
		.amdhsa_system_vgpr_workitem_id 0
		.amdhsa_next_free_vgpr 1
		.amdhsa_next_free_sgpr 0
		.amdhsa_accum_offset 4
		.amdhsa_reserve_vcc 0
		.amdhsa_reserve_flat_scratch 0
		.amdhsa_float_round_mode_32 0
		.amdhsa_float_round_mode_16_64 0
		.amdhsa_float_denorm_mode_32 3
		.amdhsa_float_denorm_mode_16_64 3
		.amdhsa_dx10_clamp 1
		.amdhsa_ieee_mode 1
		.amdhsa_fp16_overflow 0
		.amdhsa_tg_split 0
		.amdhsa_exception_fp_ieee_invalid_op 0
		.amdhsa_exception_fp_denorm_src 0
		.amdhsa_exception_fp_ieee_div_zero 0
		.amdhsa_exception_fp_ieee_overflow 0
		.amdhsa_exception_fp_ieee_underflow 0
		.amdhsa_exception_fp_ieee_inexact 0
		.amdhsa_exception_int_div_zero 0
	.end_amdhsa_kernel
	.section	.text._ZN7rocprim17ROCPRIM_400000_NS6detail17trampoline_kernelINS0_14default_configENS1_20scan_config_selectorItEEZZNS1_9scan_implILNS1_25lookback_scan_determinismE0ELb0ELb0ES3_N6thrust23THRUST_200600_302600_NS6detail15normal_iteratorINS9_10device_ptrItEEEENS9_16discard_iteratorINS9_11use_defaultEEEtNS9_4plusIvEEtEEDaPvRmT3_T4_T5_mT6_P12ihipStream_tbENKUlT_T0_E_clISt17integral_constantIbLb1EESX_EEDaSS_ST_EUlSS_E0_NS1_11comp_targetILNS1_3genE10ELNS1_11target_archE1200ELNS1_3gpuE4ELNS1_3repE0EEENS1_30default_config_static_selectorELNS0_4arch9wavefront6targetE1EEEvT1_,"axG",@progbits,_ZN7rocprim17ROCPRIM_400000_NS6detail17trampoline_kernelINS0_14default_configENS1_20scan_config_selectorItEEZZNS1_9scan_implILNS1_25lookback_scan_determinismE0ELb0ELb0ES3_N6thrust23THRUST_200600_302600_NS6detail15normal_iteratorINS9_10device_ptrItEEEENS9_16discard_iteratorINS9_11use_defaultEEEtNS9_4plusIvEEtEEDaPvRmT3_T4_T5_mT6_P12ihipStream_tbENKUlT_T0_E_clISt17integral_constantIbLb1EESX_EEDaSS_ST_EUlSS_E0_NS1_11comp_targetILNS1_3genE10ELNS1_11target_archE1200ELNS1_3gpuE4ELNS1_3repE0EEENS1_30default_config_static_selectorELNS0_4arch9wavefront6targetE1EEEvT1_,comdat
.Lfunc_end5471:
	.size	_ZN7rocprim17ROCPRIM_400000_NS6detail17trampoline_kernelINS0_14default_configENS1_20scan_config_selectorItEEZZNS1_9scan_implILNS1_25lookback_scan_determinismE0ELb0ELb0ES3_N6thrust23THRUST_200600_302600_NS6detail15normal_iteratorINS9_10device_ptrItEEEENS9_16discard_iteratorINS9_11use_defaultEEEtNS9_4plusIvEEtEEDaPvRmT3_T4_T5_mT6_P12ihipStream_tbENKUlT_T0_E_clISt17integral_constantIbLb1EESX_EEDaSS_ST_EUlSS_E0_NS1_11comp_targetILNS1_3genE10ELNS1_11target_archE1200ELNS1_3gpuE4ELNS1_3repE0EEENS1_30default_config_static_selectorELNS0_4arch9wavefront6targetE1EEEvT1_, .Lfunc_end5471-_ZN7rocprim17ROCPRIM_400000_NS6detail17trampoline_kernelINS0_14default_configENS1_20scan_config_selectorItEEZZNS1_9scan_implILNS1_25lookback_scan_determinismE0ELb0ELb0ES3_N6thrust23THRUST_200600_302600_NS6detail15normal_iteratorINS9_10device_ptrItEEEENS9_16discard_iteratorINS9_11use_defaultEEEtNS9_4plusIvEEtEEDaPvRmT3_T4_T5_mT6_P12ihipStream_tbENKUlT_T0_E_clISt17integral_constantIbLb1EESX_EEDaSS_ST_EUlSS_E0_NS1_11comp_targetILNS1_3genE10ELNS1_11target_archE1200ELNS1_3gpuE4ELNS1_3repE0EEENS1_30default_config_static_selectorELNS0_4arch9wavefront6targetE1EEEvT1_
                                        ; -- End function
	.section	.AMDGPU.csdata,"",@progbits
; Kernel info:
; codeLenInByte = 0
; NumSgprs: 4
; NumVgprs: 0
; NumAgprs: 0
; TotalNumVgprs: 0
; ScratchSize: 0
; MemoryBound: 0
; FloatMode: 240
; IeeeMode: 1
; LDSByteSize: 0 bytes/workgroup (compile time only)
; SGPRBlocks: 0
; VGPRBlocks: 0
; NumSGPRsForWavesPerEU: 4
; NumVGPRsForWavesPerEU: 1
; AccumOffset: 4
; Occupancy: 8
; WaveLimiterHint : 0
; COMPUTE_PGM_RSRC2:SCRATCH_EN: 0
; COMPUTE_PGM_RSRC2:USER_SGPR: 6
; COMPUTE_PGM_RSRC2:TRAP_HANDLER: 0
; COMPUTE_PGM_RSRC2:TGID_X_EN: 1
; COMPUTE_PGM_RSRC2:TGID_Y_EN: 0
; COMPUTE_PGM_RSRC2:TGID_Z_EN: 0
; COMPUTE_PGM_RSRC2:TIDIG_COMP_CNT: 0
; COMPUTE_PGM_RSRC3_GFX90A:ACCUM_OFFSET: 0
; COMPUTE_PGM_RSRC3_GFX90A:TG_SPLIT: 0
	.section	.text._ZN7rocprim17ROCPRIM_400000_NS6detail17trampoline_kernelINS0_14default_configENS1_20scan_config_selectorItEEZZNS1_9scan_implILNS1_25lookback_scan_determinismE0ELb0ELb0ES3_N6thrust23THRUST_200600_302600_NS6detail15normal_iteratorINS9_10device_ptrItEEEENS9_16discard_iteratorINS9_11use_defaultEEEtNS9_4plusIvEEtEEDaPvRmT3_T4_T5_mT6_P12ihipStream_tbENKUlT_T0_E_clISt17integral_constantIbLb1EESX_EEDaSS_ST_EUlSS_E0_NS1_11comp_targetILNS1_3genE9ELNS1_11target_archE1100ELNS1_3gpuE3ELNS1_3repE0EEENS1_30default_config_static_selectorELNS0_4arch9wavefront6targetE1EEEvT1_,"axG",@progbits,_ZN7rocprim17ROCPRIM_400000_NS6detail17trampoline_kernelINS0_14default_configENS1_20scan_config_selectorItEEZZNS1_9scan_implILNS1_25lookback_scan_determinismE0ELb0ELb0ES3_N6thrust23THRUST_200600_302600_NS6detail15normal_iteratorINS9_10device_ptrItEEEENS9_16discard_iteratorINS9_11use_defaultEEEtNS9_4plusIvEEtEEDaPvRmT3_T4_T5_mT6_P12ihipStream_tbENKUlT_T0_E_clISt17integral_constantIbLb1EESX_EEDaSS_ST_EUlSS_E0_NS1_11comp_targetILNS1_3genE9ELNS1_11target_archE1100ELNS1_3gpuE3ELNS1_3repE0EEENS1_30default_config_static_selectorELNS0_4arch9wavefront6targetE1EEEvT1_,comdat
	.protected	_ZN7rocprim17ROCPRIM_400000_NS6detail17trampoline_kernelINS0_14default_configENS1_20scan_config_selectorItEEZZNS1_9scan_implILNS1_25lookback_scan_determinismE0ELb0ELb0ES3_N6thrust23THRUST_200600_302600_NS6detail15normal_iteratorINS9_10device_ptrItEEEENS9_16discard_iteratorINS9_11use_defaultEEEtNS9_4plusIvEEtEEDaPvRmT3_T4_T5_mT6_P12ihipStream_tbENKUlT_T0_E_clISt17integral_constantIbLb1EESX_EEDaSS_ST_EUlSS_E0_NS1_11comp_targetILNS1_3genE9ELNS1_11target_archE1100ELNS1_3gpuE3ELNS1_3repE0EEENS1_30default_config_static_selectorELNS0_4arch9wavefront6targetE1EEEvT1_ ; -- Begin function _ZN7rocprim17ROCPRIM_400000_NS6detail17trampoline_kernelINS0_14default_configENS1_20scan_config_selectorItEEZZNS1_9scan_implILNS1_25lookback_scan_determinismE0ELb0ELb0ES3_N6thrust23THRUST_200600_302600_NS6detail15normal_iteratorINS9_10device_ptrItEEEENS9_16discard_iteratorINS9_11use_defaultEEEtNS9_4plusIvEEtEEDaPvRmT3_T4_T5_mT6_P12ihipStream_tbENKUlT_T0_E_clISt17integral_constantIbLb1EESX_EEDaSS_ST_EUlSS_E0_NS1_11comp_targetILNS1_3genE9ELNS1_11target_archE1100ELNS1_3gpuE3ELNS1_3repE0EEENS1_30default_config_static_selectorELNS0_4arch9wavefront6targetE1EEEvT1_
	.globl	_ZN7rocprim17ROCPRIM_400000_NS6detail17trampoline_kernelINS0_14default_configENS1_20scan_config_selectorItEEZZNS1_9scan_implILNS1_25lookback_scan_determinismE0ELb0ELb0ES3_N6thrust23THRUST_200600_302600_NS6detail15normal_iteratorINS9_10device_ptrItEEEENS9_16discard_iteratorINS9_11use_defaultEEEtNS9_4plusIvEEtEEDaPvRmT3_T4_T5_mT6_P12ihipStream_tbENKUlT_T0_E_clISt17integral_constantIbLb1EESX_EEDaSS_ST_EUlSS_E0_NS1_11comp_targetILNS1_3genE9ELNS1_11target_archE1100ELNS1_3gpuE3ELNS1_3repE0EEENS1_30default_config_static_selectorELNS0_4arch9wavefront6targetE1EEEvT1_
	.p2align	8
	.type	_ZN7rocprim17ROCPRIM_400000_NS6detail17trampoline_kernelINS0_14default_configENS1_20scan_config_selectorItEEZZNS1_9scan_implILNS1_25lookback_scan_determinismE0ELb0ELb0ES3_N6thrust23THRUST_200600_302600_NS6detail15normal_iteratorINS9_10device_ptrItEEEENS9_16discard_iteratorINS9_11use_defaultEEEtNS9_4plusIvEEtEEDaPvRmT3_T4_T5_mT6_P12ihipStream_tbENKUlT_T0_E_clISt17integral_constantIbLb1EESX_EEDaSS_ST_EUlSS_E0_NS1_11comp_targetILNS1_3genE9ELNS1_11target_archE1100ELNS1_3gpuE3ELNS1_3repE0EEENS1_30default_config_static_selectorELNS0_4arch9wavefront6targetE1EEEvT1_,@function
_ZN7rocprim17ROCPRIM_400000_NS6detail17trampoline_kernelINS0_14default_configENS1_20scan_config_selectorItEEZZNS1_9scan_implILNS1_25lookback_scan_determinismE0ELb0ELb0ES3_N6thrust23THRUST_200600_302600_NS6detail15normal_iteratorINS9_10device_ptrItEEEENS9_16discard_iteratorINS9_11use_defaultEEEtNS9_4plusIvEEtEEDaPvRmT3_T4_T5_mT6_P12ihipStream_tbENKUlT_T0_E_clISt17integral_constantIbLb1EESX_EEDaSS_ST_EUlSS_E0_NS1_11comp_targetILNS1_3genE9ELNS1_11target_archE1100ELNS1_3gpuE3ELNS1_3repE0EEENS1_30default_config_static_selectorELNS0_4arch9wavefront6targetE1EEEvT1_: ; @_ZN7rocprim17ROCPRIM_400000_NS6detail17trampoline_kernelINS0_14default_configENS1_20scan_config_selectorItEEZZNS1_9scan_implILNS1_25lookback_scan_determinismE0ELb0ELb0ES3_N6thrust23THRUST_200600_302600_NS6detail15normal_iteratorINS9_10device_ptrItEEEENS9_16discard_iteratorINS9_11use_defaultEEEtNS9_4plusIvEEtEEDaPvRmT3_T4_T5_mT6_P12ihipStream_tbENKUlT_T0_E_clISt17integral_constantIbLb1EESX_EEDaSS_ST_EUlSS_E0_NS1_11comp_targetILNS1_3genE9ELNS1_11target_archE1100ELNS1_3gpuE3ELNS1_3repE0EEENS1_30default_config_static_selectorELNS0_4arch9wavefront6targetE1EEEvT1_
; %bb.0:
	.section	.rodata,"a",@progbits
	.p2align	6, 0x0
	.amdhsa_kernel _ZN7rocprim17ROCPRIM_400000_NS6detail17trampoline_kernelINS0_14default_configENS1_20scan_config_selectorItEEZZNS1_9scan_implILNS1_25lookback_scan_determinismE0ELb0ELb0ES3_N6thrust23THRUST_200600_302600_NS6detail15normal_iteratorINS9_10device_ptrItEEEENS9_16discard_iteratorINS9_11use_defaultEEEtNS9_4plusIvEEtEEDaPvRmT3_T4_T5_mT6_P12ihipStream_tbENKUlT_T0_E_clISt17integral_constantIbLb1EESX_EEDaSS_ST_EUlSS_E0_NS1_11comp_targetILNS1_3genE9ELNS1_11target_archE1100ELNS1_3gpuE3ELNS1_3repE0EEENS1_30default_config_static_selectorELNS0_4arch9wavefront6targetE1EEEvT1_
		.amdhsa_group_segment_fixed_size 0
		.amdhsa_private_segment_fixed_size 0
		.amdhsa_kernarg_size 40
		.amdhsa_user_sgpr_count 6
		.amdhsa_user_sgpr_private_segment_buffer 1
		.amdhsa_user_sgpr_dispatch_ptr 0
		.amdhsa_user_sgpr_queue_ptr 0
		.amdhsa_user_sgpr_kernarg_segment_ptr 1
		.amdhsa_user_sgpr_dispatch_id 0
		.amdhsa_user_sgpr_flat_scratch_init 0
		.amdhsa_user_sgpr_kernarg_preload_length 0
		.amdhsa_user_sgpr_kernarg_preload_offset 0
		.amdhsa_user_sgpr_private_segment_size 0
		.amdhsa_uses_dynamic_stack 0
		.amdhsa_system_sgpr_private_segment_wavefront_offset 0
		.amdhsa_system_sgpr_workgroup_id_x 1
		.amdhsa_system_sgpr_workgroup_id_y 0
		.amdhsa_system_sgpr_workgroup_id_z 0
		.amdhsa_system_sgpr_workgroup_info 0
		.amdhsa_system_vgpr_workitem_id 0
		.amdhsa_next_free_vgpr 1
		.amdhsa_next_free_sgpr 0
		.amdhsa_accum_offset 4
		.amdhsa_reserve_vcc 0
		.amdhsa_reserve_flat_scratch 0
		.amdhsa_float_round_mode_32 0
		.amdhsa_float_round_mode_16_64 0
		.amdhsa_float_denorm_mode_32 3
		.amdhsa_float_denorm_mode_16_64 3
		.amdhsa_dx10_clamp 1
		.amdhsa_ieee_mode 1
		.amdhsa_fp16_overflow 0
		.amdhsa_tg_split 0
		.amdhsa_exception_fp_ieee_invalid_op 0
		.amdhsa_exception_fp_denorm_src 0
		.amdhsa_exception_fp_ieee_div_zero 0
		.amdhsa_exception_fp_ieee_overflow 0
		.amdhsa_exception_fp_ieee_underflow 0
		.amdhsa_exception_fp_ieee_inexact 0
		.amdhsa_exception_int_div_zero 0
	.end_amdhsa_kernel
	.section	.text._ZN7rocprim17ROCPRIM_400000_NS6detail17trampoline_kernelINS0_14default_configENS1_20scan_config_selectorItEEZZNS1_9scan_implILNS1_25lookback_scan_determinismE0ELb0ELb0ES3_N6thrust23THRUST_200600_302600_NS6detail15normal_iteratorINS9_10device_ptrItEEEENS9_16discard_iteratorINS9_11use_defaultEEEtNS9_4plusIvEEtEEDaPvRmT3_T4_T5_mT6_P12ihipStream_tbENKUlT_T0_E_clISt17integral_constantIbLb1EESX_EEDaSS_ST_EUlSS_E0_NS1_11comp_targetILNS1_3genE9ELNS1_11target_archE1100ELNS1_3gpuE3ELNS1_3repE0EEENS1_30default_config_static_selectorELNS0_4arch9wavefront6targetE1EEEvT1_,"axG",@progbits,_ZN7rocprim17ROCPRIM_400000_NS6detail17trampoline_kernelINS0_14default_configENS1_20scan_config_selectorItEEZZNS1_9scan_implILNS1_25lookback_scan_determinismE0ELb0ELb0ES3_N6thrust23THRUST_200600_302600_NS6detail15normal_iteratorINS9_10device_ptrItEEEENS9_16discard_iteratorINS9_11use_defaultEEEtNS9_4plusIvEEtEEDaPvRmT3_T4_T5_mT6_P12ihipStream_tbENKUlT_T0_E_clISt17integral_constantIbLb1EESX_EEDaSS_ST_EUlSS_E0_NS1_11comp_targetILNS1_3genE9ELNS1_11target_archE1100ELNS1_3gpuE3ELNS1_3repE0EEENS1_30default_config_static_selectorELNS0_4arch9wavefront6targetE1EEEvT1_,comdat
.Lfunc_end5472:
	.size	_ZN7rocprim17ROCPRIM_400000_NS6detail17trampoline_kernelINS0_14default_configENS1_20scan_config_selectorItEEZZNS1_9scan_implILNS1_25lookback_scan_determinismE0ELb0ELb0ES3_N6thrust23THRUST_200600_302600_NS6detail15normal_iteratorINS9_10device_ptrItEEEENS9_16discard_iteratorINS9_11use_defaultEEEtNS9_4plusIvEEtEEDaPvRmT3_T4_T5_mT6_P12ihipStream_tbENKUlT_T0_E_clISt17integral_constantIbLb1EESX_EEDaSS_ST_EUlSS_E0_NS1_11comp_targetILNS1_3genE9ELNS1_11target_archE1100ELNS1_3gpuE3ELNS1_3repE0EEENS1_30default_config_static_selectorELNS0_4arch9wavefront6targetE1EEEvT1_, .Lfunc_end5472-_ZN7rocprim17ROCPRIM_400000_NS6detail17trampoline_kernelINS0_14default_configENS1_20scan_config_selectorItEEZZNS1_9scan_implILNS1_25lookback_scan_determinismE0ELb0ELb0ES3_N6thrust23THRUST_200600_302600_NS6detail15normal_iteratorINS9_10device_ptrItEEEENS9_16discard_iteratorINS9_11use_defaultEEEtNS9_4plusIvEEtEEDaPvRmT3_T4_T5_mT6_P12ihipStream_tbENKUlT_T0_E_clISt17integral_constantIbLb1EESX_EEDaSS_ST_EUlSS_E0_NS1_11comp_targetILNS1_3genE9ELNS1_11target_archE1100ELNS1_3gpuE3ELNS1_3repE0EEENS1_30default_config_static_selectorELNS0_4arch9wavefront6targetE1EEEvT1_
                                        ; -- End function
	.section	.AMDGPU.csdata,"",@progbits
; Kernel info:
; codeLenInByte = 0
; NumSgprs: 4
; NumVgprs: 0
; NumAgprs: 0
; TotalNumVgprs: 0
; ScratchSize: 0
; MemoryBound: 0
; FloatMode: 240
; IeeeMode: 1
; LDSByteSize: 0 bytes/workgroup (compile time only)
; SGPRBlocks: 0
; VGPRBlocks: 0
; NumSGPRsForWavesPerEU: 4
; NumVGPRsForWavesPerEU: 1
; AccumOffset: 4
; Occupancy: 8
; WaveLimiterHint : 0
; COMPUTE_PGM_RSRC2:SCRATCH_EN: 0
; COMPUTE_PGM_RSRC2:USER_SGPR: 6
; COMPUTE_PGM_RSRC2:TRAP_HANDLER: 0
; COMPUTE_PGM_RSRC2:TGID_X_EN: 1
; COMPUTE_PGM_RSRC2:TGID_Y_EN: 0
; COMPUTE_PGM_RSRC2:TGID_Z_EN: 0
; COMPUTE_PGM_RSRC2:TIDIG_COMP_CNT: 0
; COMPUTE_PGM_RSRC3_GFX90A:ACCUM_OFFSET: 0
; COMPUTE_PGM_RSRC3_GFX90A:TG_SPLIT: 0
	.section	.text._ZN7rocprim17ROCPRIM_400000_NS6detail17trampoline_kernelINS0_14default_configENS1_20scan_config_selectorItEEZZNS1_9scan_implILNS1_25lookback_scan_determinismE0ELb0ELb0ES3_N6thrust23THRUST_200600_302600_NS6detail15normal_iteratorINS9_10device_ptrItEEEENS9_16discard_iteratorINS9_11use_defaultEEEtNS9_4plusIvEEtEEDaPvRmT3_T4_T5_mT6_P12ihipStream_tbENKUlT_T0_E_clISt17integral_constantIbLb1EESX_EEDaSS_ST_EUlSS_E0_NS1_11comp_targetILNS1_3genE8ELNS1_11target_archE1030ELNS1_3gpuE2ELNS1_3repE0EEENS1_30default_config_static_selectorELNS0_4arch9wavefront6targetE1EEEvT1_,"axG",@progbits,_ZN7rocprim17ROCPRIM_400000_NS6detail17trampoline_kernelINS0_14default_configENS1_20scan_config_selectorItEEZZNS1_9scan_implILNS1_25lookback_scan_determinismE0ELb0ELb0ES3_N6thrust23THRUST_200600_302600_NS6detail15normal_iteratorINS9_10device_ptrItEEEENS9_16discard_iteratorINS9_11use_defaultEEEtNS9_4plusIvEEtEEDaPvRmT3_T4_T5_mT6_P12ihipStream_tbENKUlT_T0_E_clISt17integral_constantIbLb1EESX_EEDaSS_ST_EUlSS_E0_NS1_11comp_targetILNS1_3genE8ELNS1_11target_archE1030ELNS1_3gpuE2ELNS1_3repE0EEENS1_30default_config_static_selectorELNS0_4arch9wavefront6targetE1EEEvT1_,comdat
	.protected	_ZN7rocprim17ROCPRIM_400000_NS6detail17trampoline_kernelINS0_14default_configENS1_20scan_config_selectorItEEZZNS1_9scan_implILNS1_25lookback_scan_determinismE0ELb0ELb0ES3_N6thrust23THRUST_200600_302600_NS6detail15normal_iteratorINS9_10device_ptrItEEEENS9_16discard_iteratorINS9_11use_defaultEEEtNS9_4plusIvEEtEEDaPvRmT3_T4_T5_mT6_P12ihipStream_tbENKUlT_T0_E_clISt17integral_constantIbLb1EESX_EEDaSS_ST_EUlSS_E0_NS1_11comp_targetILNS1_3genE8ELNS1_11target_archE1030ELNS1_3gpuE2ELNS1_3repE0EEENS1_30default_config_static_selectorELNS0_4arch9wavefront6targetE1EEEvT1_ ; -- Begin function _ZN7rocprim17ROCPRIM_400000_NS6detail17trampoline_kernelINS0_14default_configENS1_20scan_config_selectorItEEZZNS1_9scan_implILNS1_25lookback_scan_determinismE0ELb0ELb0ES3_N6thrust23THRUST_200600_302600_NS6detail15normal_iteratorINS9_10device_ptrItEEEENS9_16discard_iteratorINS9_11use_defaultEEEtNS9_4plusIvEEtEEDaPvRmT3_T4_T5_mT6_P12ihipStream_tbENKUlT_T0_E_clISt17integral_constantIbLb1EESX_EEDaSS_ST_EUlSS_E0_NS1_11comp_targetILNS1_3genE8ELNS1_11target_archE1030ELNS1_3gpuE2ELNS1_3repE0EEENS1_30default_config_static_selectorELNS0_4arch9wavefront6targetE1EEEvT1_
	.globl	_ZN7rocprim17ROCPRIM_400000_NS6detail17trampoline_kernelINS0_14default_configENS1_20scan_config_selectorItEEZZNS1_9scan_implILNS1_25lookback_scan_determinismE0ELb0ELb0ES3_N6thrust23THRUST_200600_302600_NS6detail15normal_iteratorINS9_10device_ptrItEEEENS9_16discard_iteratorINS9_11use_defaultEEEtNS9_4plusIvEEtEEDaPvRmT3_T4_T5_mT6_P12ihipStream_tbENKUlT_T0_E_clISt17integral_constantIbLb1EESX_EEDaSS_ST_EUlSS_E0_NS1_11comp_targetILNS1_3genE8ELNS1_11target_archE1030ELNS1_3gpuE2ELNS1_3repE0EEENS1_30default_config_static_selectorELNS0_4arch9wavefront6targetE1EEEvT1_
	.p2align	8
	.type	_ZN7rocprim17ROCPRIM_400000_NS6detail17trampoline_kernelINS0_14default_configENS1_20scan_config_selectorItEEZZNS1_9scan_implILNS1_25lookback_scan_determinismE0ELb0ELb0ES3_N6thrust23THRUST_200600_302600_NS6detail15normal_iteratorINS9_10device_ptrItEEEENS9_16discard_iteratorINS9_11use_defaultEEEtNS9_4plusIvEEtEEDaPvRmT3_T4_T5_mT6_P12ihipStream_tbENKUlT_T0_E_clISt17integral_constantIbLb1EESX_EEDaSS_ST_EUlSS_E0_NS1_11comp_targetILNS1_3genE8ELNS1_11target_archE1030ELNS1_3gpuE2ELNS1_3repE0EEENS1_30default_config_static_selectorELNS0_4arch9wavefront6targetE1EEEvT1_,@function
_ZN7rocprim17ROCPRIM_400000_NS6detail17trampoline_kernelINS0_14default_configENS1_20scan_config_selectorItEEZZNS1_9scan_implILNS1_25lookback_scan_determinismE0ELb0ELb0ES3_N6thrust23THRUST_200600_302600_NS6detail15normal_iteratorINS9_10device_ptrItEEEENS9_16discard_iteratorINS9_11use_defaultEEEtNS9_4plusIvEEtEEDaPvRmT3_T4_T5_mT6_P12ihipStream_tbENKUlT_T0_E_clISt17integral_constantIbLb1EESX_EEDaSS_ST_EUlSS_E0_NS1_11comp_targetILNS1_3genE8ELNS1_11target_archE1030ELNS1_3gpuE2ELNS1_3repE0EEENS1_30default_config_static_selectorELNS0_4arch9wavefront6targetE1EEEvT1_: ; @_ZN7rocprim17ROCPRIM_400000_NS6detail17trampoline_kernelINS0_14default_configENS1_20scan_config_selectorItEEZZNS1_9scan_implILNS1_25lookback_scan_determinismE0ELb0ELb0ES3_N6thrust23THRUST_200600_302600_NS6detail15normal_iteratorINS9_10device_ptrItEEEENS9_16discard_iteratorINS9_11use_defaultEEEtNS9_4plusIvEEtEEDaPvRmT3_T4_T5_mT6_P12ihipStream_tbENKUlT_T0_E_clISt17integral_constantIbLb1EESX_EEDaSS_ST_EUlSS_E0_NS1_11comp_targetILNS1_3genE8ELNS1_11target_archE1030ELNS1_3gpuE2ELNS1_3repE0EEENS1_30default_config_static_selectorELNS0_4arch9wavefront6targetE1EEEvT1_
; %bb.0:
	.section	.rodata,"a",@progbits
	.p2align	6, 0x0
	.amdhsa_kernel _ZN7rocprim17ROCPRIM_400000_NS6detail17trampoline_kernelINS0_14default_configENS1_20scan_config_selectorItEEZZNS1_9scan_implILNS1_25lookback_scan_determinismE0ELb0ELb0ES3_N6thrust23THRUST_200600_302600_NS6detail15normal_iteratorINS9_10device_ptrItEEEENS9_16discard_iteratorINS9_11use_defaultEEEtNS9_4plusIvEEtEEDaPvRmT3_T4_T5_mT6_P12ihipStream_tbENKUlT_T0_E_clISt17integral_constantIbLb1EESX_EEDaSS_ST_EUlSS_E0_NS1_11comp_targetILNS1_3genE8ELNS1_11target_archE1030ELNS1_3gpuE2ELNS1_3repE0EEENS1_30default_config_static_selectorELNS0_4arch9wavefront6targetE1EEEvT1_
		.amdhsa_group_segment_fixed_size 0
		.amdhsa_private_segment_fixed_size 0
		.amdhsa_kernarg_size 40
		.amdhsa_user_sgpr_count 6
		.amdhsa_user_sgpr_private_segment_buffer 1
		.amdhsa_user_sgpr_dispatch_ptr 0
		.amdhsa_user_sgpr_queue_ptr 0
		.amdhsa_user_sgpr_kernarg_segment_ptr 1
		.amdhsa_user_sgpr_dispatch_id 0
		.amdhsa_user_sgpr_flat_scratch_init 0
		.amdhsa_user_sgpr_kernarg_preload_length 0
		.amdhsa_user_sgpr_kernarg_preload_offset 0
		.amdhsa_user_sgpr_private_segment_size 0
		.amdhsa_uses_dynamic_stack 0
		.amdhsa_system_sgpr_private_segment_wavefront_offset 0
		.amdhsa_system_sgpr_workgroup_id_x 1
		.amdhsa_system_sgpr_workgroup_id_y 0
		.amdhsa_system_sgpr_workgroup_id_z 0
		.amdhsa_system_sgpr_workgroup_info 0
		.amdhsa_system_vgpr_workitem_id 0
		.amdhsa_next_free_vgpr 1
		.amdhsa_next_free_sgpr 0
		.amdhsa_accum_offset 4
		.amdhsa_reserve_vcc 0
		.amdhsa_reserve_flat_scratch 0
		.amdhsa_float_round_mode_32 0
		.amdhsa_float_round_mode_16_64 0
		.amdhsa_float_denorm_mode_32 3
		.amdhsa_float_denorm_mode_16_64 3
		.amdhsa_dx10_clamp 1
		.amdhsa_ieee_mode 1
		.amdhsa_fp16_overflow 0
		.amdhsa_tg_split 0
		.amdhsa_exception_fp_ieee_invalid_op 0
		.amdhsa_exception_fp_denorm_src 0
		.amdhsa_exception_fp_ieee_div_zero 0
		.amdhsa_exception_fp_ieee_overflow 0
		.amdhsa_exception_fp_ieee_underflow 0
		.amdhsa_exception_fp_ieee_inexact 0
		.amdhsa_exception_int_div_zero 0
	.end_amdhsa_kernel
	.section	.text._ZN7rocprim17ROCPRIM_400000_NS6detail17trampoline_kernelINS0_14default_configENS1_20scan_config_selectorItEEZZNS1_9scan_implILNS1_25lookback_scan_determinismE0ELb0ELb0ES3_N6thrust23THRUST_200600_302600_NS6detail15normal_iteratorINS9_10device_ptrItEEEENS9_16discard_iteratorINS9_11use_defaultEEEtNS9_4plusIvEEtEEDaPvRmT3_T4_T5_mT6_P12ihipStream_tbENKUlT_T0_E_clISt17integral_constantIbLb1EESX_EEDaSS_ST_EUlSS_E0_NS1_11comp_targetILNS1_3genE8ELNS1_11target_archE1030ELNS1_3gpuE2ELNS1_3repE0EEENS1_30default_config_static_selectorELNS0_4arch9wavefront6targetE1EEEvT1_,"axG",@progbits,_ZN7rocprim17ROCPRIM_400000_NS6detail17trampoline_kernelINS0_14default_configENS1_20scan_config_selectorItEEZZNS1_9scan_implILNS1_25lookback_scan_determinismE0ELb0ELb0ES3_N6thrust23THRUST_200600_302600_NS6detail15normal_iteratorINS9_10device_ptrItEEEENS9_16discard_iteratorINS9_11use_defaultEEEtNS9_4plusIvEEtEEDaPvRmT3_T4_T5_mT6_P12ihipStream_tbENKUlT_T0_E_clISt17integral_constantIbLb1EESX_EEDaSS_ST_EUlSS_E0_NS1_11comp_targetILNS1_3genE8ELNS1_11target_archE1030ELNS1_3gpuE2ELNS1_3repE0EEENS1_30default_config_static_selectorELNS0_4arch9wavefront6targetE1EEEvT1_,comdat
.Lfunc_end5473:
	.size	_ZN7rocprim17ROCPRIM_400000_NS6detail17trampoline_kernelINS0_14default_configENS1_20scan_config_selectorItEEZZNS1_9scan_implILNS1_25lookback_scan_determinismE0ELb0ELb0ES3_N6thrust23THRUST_200600_302600_NS6detail15normal_iteratorINS9_10device_ptrItEEEENS9_16discard_iteratorINS9_11use_defaultEEEtNS9_4plusIvEEtEEDaPvRmT3_T4_T5_mT6_P12ihipStream_tbENKUlT_T0_E_clISt17integral_constantIbLb1EESX_EEDaSS_ST_EUlSS_E0_NS1_11comp_targetILNS1_3genE8ELNS1_11target_archE1030ELNS1_3gpuE2ELNS1_3repE0EEENS1_30default_config_static_selectorELNS0_4arch9wavefront6targetE1EEEvT1_, .Lfunc_end5473-_ZN7rocprim17ROCPRIM_400000_NS6detail17trampoline_kernelINS0_14default_configENS1_20scan_config_selectorItEEZZNS1_9scan_implILNS1_25lookback_scan_determinismE0ELb0ELb0ES3_N6thrust23THRUST_200600_302600_NS6detail15normal_iteratorINS9_10device_ptrItEEEENS9_16discard_iteratorINS9_11use_defaultEEEtNS9_4plusIvEEtEEDaPvRmT3_T4_T5_mT6_P12ihipStream_tbENKUlT_T0_E_clISt17integral_constantIbLb1EESX_EEDaSS_ST_EUlSS_E0_NS1_11comp_targetILNS1_3genE8ELNS1_11target_archE1030ELNS1_3gpuE2ELNS1_3repE0EEENS1_30default_config_static_selectorELNS0_4arch9wavefront6targetE1EEEvT1_
                                        ; -- End function
	.section	.AMDGPU.csdata,"",@progbits
; Kernel info:
; codeLenInByte = 0
; NumSgprs: 4
; NumVgprs: 0
; NumAgprs: 0
; TotalNumVgprs: 0
; ScratchSize: 0
; MemoryBound: 0
; FloatMode: 240
; IeeeMode: 1
; LDSByteSize: 0 bytes/workgroup (compile time only)
; SGPRBlocks: 0
; VGPRBlocks: 0
; NumSGPRsForWavesPerEU: 4
; NumVGPRsForWavesPerEU: 1
; AccumOffset: 4
; Occupancy: 8
; WaveLimiterHint : 0
; COMPUTE_PGM_RSRC2:SCRATCH_EN: 0
; COMPUTE_PGM_RSRC2:USER_SGPR: 6
; COMPUTE_PGM_RSRC2:TRAP_HANDLER: 0
; COMPUTE_PGM_RSRC2:TGID_X_EN: 1
; COMPUTE_PGM_RSRC2:TGID_Y_EN: 0
; COMPUTE_PGM_RSRC2:TGID_Z_EN: 0
; COMPUTE_PGM_RSRC2:TIDIG_COMP_CNT: 0
; COMPUTE_PGM_RSRC3_GFX90A:ACCUM_OFFSET: 0
; COMPUTE_PGM_RSRC3_GFX90A:TG_SPLIT: 0
	.section	.text._ZN7rocprim17ROCPRIM_400000_NS6detail17trampoline_kernelINS0_14default_configENS1_20scan_config_selectorItEEZZNS1_9scan_implILNS1_25lookback_scan_determinismE0ELb0ELb0ES3_N6thrust23THRUST_200600_302600_NS6detail15normal_iteratorINS9_10device_ptrItEEEENS9_16discard_iteratorINS9_11use_defaultEEEtNS9_4plusIvEEtEEDaPvRmT3_T4_T5_mT6_P12ihipStream_tbENKUlT_T0_E_clISt17integral_constantIbLb1EESW_IbLb0EEEEDaSS_ST_EUlSS_E_NS1_11comp_targetILNS1_3genE0ELNS1_11target_archE4294967295ELNS1_3gpuE0ELNS1_3repE0EEENS1_30default_config_static_selectorELNS0_4arch9wavefront6targetE1EEEvT1_,"axG",@progbits,_ZN7rocprim17ROCPRIM_400000_NS6detail17trampoline_kernelINS0_14default_configENS1_20scan_config_selectorItEEZZNS1_9scan_implILNS1_25lookback_scan_determinismE0ELb0ELb0ES3_N6thrust23THRUST_200600_302600_NS6detail15normal_iteratorINS9_10device_ptrItEEEENS9_16discard_iteratorINS9_11use_defaultEEEtNS9_4plusIvEEtEEDaPvRmT3_T4_T5_mT6_P12ihipStream_tbENKUlT_T0_E_clISt17integral_constantIbLb1EESW_IbLb0EEEEDaSS_ST_EUlSS_E_NS1_11comp_targetILNS1_3genE0ELNS1_11target_archE4294967295ELNS1_3gpuE0ELNS1_3repE0EEENS1_30default_config_static_selectorELNS0_4arch9wavefront6targetE1EEEvT1_,comdat
	.protected	_ZN7rocprim17ROCPRIM_400000_NS6detail17trampoline_kernelINS0_14default_configENS1_20scan_config_selectorItEEZZNS1_9scan_implILNS1_25lookback_scan_determinismE0ELb0ELb0ES3_N6thrust23THRUST_200600_302600_NS6detail15normal_iteratorINS9_10device_ptrItEEEENS9_16discard_iteratorINS9_11use_defaultEEEtNS9_4plusIvEEtEEDaPvRmT3_T4_T5_mT6_P12ihipStream_tbENKUlT_T0_E_clISt17integral_constantIbLb1EESW_IbLb0EEEEDaSS_ST_EUlSS_E_NS1_11comp_targetILNS1_3genE0ELNS1_11target_archE4294967295ELNS1_3gpuE0ELNS1_3repE0EEENS1_30default_config_static_selectorELNS0_4arch9wavefront6targetE1EEEvT1_ ; -- Begin function _ZN7rocprim17ROCPRIM_400000_NS6detail17trampoline_kernelINS0_14default_configENS1_20scan_config_selectorItEEZZNS1_9scan_implILNS1_25lookback_scan_determinismE0ELb0ELb0ES3_N6thrust23THRUST_200600_302600_NS6detail15normal_iteratorINS9_10device_ptrItEEEENS9_16discard_iteratorINS9_11use_defaultEEEtNS9_4plusIvEEtEEDaPvRmT3_T4_T5_mT6_P12ihipStream_tbENKUlT_T0_E_clISt17integral_constantIbLb1EESW_IbLb0EEEEDaSS_ST_EUlSS_E_NS1_11comp_targetILNS1_3genE0ELNS1_11target_archE4294967295ELNS1_3gpuE0ELNS1_3repE0EEENS1_30default_config_static_selectorELNS0_4arch9wavefront6targetE1EEEvT1_
	.globl	_ZN7rocprim17ROCPRIM_400000_NS6detail17trampoline_kernelINS0_14default_configENS1_20scan_config_selectorItEEZZNS1_9scan_implILNS1_25lookback_scan_determinismE0ELb0ELb0ES3_N6thrust23THRUST_200600_302600_NS6detail15normal_iteratorINS9_10device_ptrItEEEENS9_16discard_iteratorINS9_11use_defaultEEEtNS9_4plusIvEEtEEDaPvRmT3_T4_T5_mT6_P12ihipStream_tbENKUlT_T0_E_clISt17integral_constantIbLb1EESW_IbLb0EEEEDaSS_ST_EUlSS_E_NS1_11comp_targetILNS1_3genE0ELNS1_11target_archE4294967295ELNS1_3gpuE0ELNS1_3repE0EEENS1_30default_config_static_selectorELNS0_4arch9wavefront6targetE1EEEvT1_
	.p2align	8
	.type	_ZN7rocprim17ROCPRIM_400000_NS6detail17trampoline_kernelINS0_14default_configENS1_20scan_config_selectorItEEZZNS1_9scan_implILNS1_25lookback_scan_determinismE0ELb0ELb0ES3_N6thrust23THRUST_200600_302600_NS6detail15normal_iteratorINS9_10device_ptrItEEEENS9_16discard_iteratorINS9_11use_defaultEEEtNS9_4plusIvEEtEEDaPvRmT3_T4_T5_mT6_P12ihipStream_tbENKUlT_T0_E_clISt17integral_constantIbLb1EESW_IbLb0EEEEDaSS_ST_EUlSS_E_NS1_11comp_targetILNS1_3genE0ELNS1_11target_archE4294967295ELNS1_3gpuE0ELNS1_3repE0EEENS1_30default_config_static_selectorELNS0_4arch9wavefront6targetE1EEEvT1_,@function
_ZN7rocprim17ROCPRIM_400000_NS6detail17trampoline_kernelINS0_14default_configENS1_20scan_config_selectorItEEZZNS1_9scan_implILNS1_25lookback_scan_determinismE0ELb0ELb0ES3_N6thrust23THRUST_200600_302600_NS6detail15normal_iteratorINS9_10device_ptrItEEEENS9_16discard_iteratorINS9_11use_defaultEEEtNS9_4plusIvEEtEEDaPvRmT3_T4_T5_mT6_P12ihipStream_tbENKUlT_T0_E_clISt17integral_constantIbLb1EESW_IbLb0EEEEDaSS_ST_EUlSS_E_NS1_11comp_targetILNS1_3genE0ELNS1_11target_archE4294967295ELNS1_3gpuE0ELNS1_3repE0EEENS1_30default_config_static_selectorELNS0_4arch9wavefront6targetE1EEEvT1_: ; @_ZN7rocprim17ROCPRIM_400000_NS6detail17trampoline_kernelINS0_14default_configENS1_20scan_config_selectorItEEZZNS1_9scan_implILNS1_25lookback_scan_determinismE0ELb0ELb0ES3_N6thrust23THRUST_200600_302600_NS6detail15normal_iteratorINS9_10device_ptrItEEEENS9_16discard_iteratorINS9_11use_defaultEEEtNS9_4plusIvEEtEEDaPvRmT3_T4_T5_mT6_P12ihipStream_tbENKUlT_T0_E_clISt17integral_constantIbLb1EESW_IbLb0EEEEDaSS_ST_EUlSS_E_NS1_11comp_targetILNS1_3genE0ELNS1_11target_archE4294967295ELNS1_3gpuE0ELNS1_3repE0EEENS1_30default_config_static_selectorELNS0_4arch9wavefront6targetE1EEEvT1_
; %bb.0:
	.section	.rodata,"a",@progbits
	.p2align	6, 0x0
	.amdhsa_kernel _ZN7rocprim17ROCPRIM_400000_NS6detail17trampoline_kernelINS0_14default_configENS1_20scan_config_selectorItEEZZNS1_9scan_implILNS1_25lookback_scan_determinismE0ELb0ELb0ES3_N6thrust23THRUST_200600_302600_NS6detail15normal_iteratorINS9_10device_ptrItEEEENS9_16discard_iteratorINS9_11use_defaultEEEtNS9_4plusIvEEtEEDaPvRmT3_T4_T5_mT6_P12ihipStream_tbENKUlT_T0_E_clISt17integral_constantIbLb1EESW_IbLb0EEEEDaSS_ST_EUlSS_E_NS1_11comp_targetILNS1_3genE0ELNS1_11target_archE4294967295ELNS1_3gpuE0ELNS1_3repE0EEENS1_30default_config_static_selectorELNS0_4arch9wavefront6targetE1EEEvT1_
		.amdhsa_group_segment_fixed_size 0
		.amdhsa_private_segment_fixed_size 0
		.amdhsa_kernarg_size 104
		.amdhsa_user_sgpr_count 6
		.amdhsa_user_sgpr_private_segment_buffer 1
		.amdhsa_user_sgpr_dispatch_ptr 0
		.amdhsa_user_sgpr_queue_ptr 0
		.amdhsa_user_sgpr_kernarg_segment_ptr 1
		.amdhsa_user_sgpr_dispatch_id 0
		.amdhsa_user_sgpr_flat_scratch_init 0
		.amdhsa_user_sgpr_kernarg_preload_length 0
		.amdhsa_user_sgpr_kernarg_preload_offset 0
		.amdhsa_user_sgpr_private_segment_size 0
		.amdhsa_uses_dynamic_stack 0
		.amdhsa_system_sgpr_private_segment_wavefront_offset 0
		.amdhsa_system_sgpr_workgroup_id_x 1
		.amdhsa_system_sgpr_workgroup_id_y 0
		.amdhsa_system_sgpr_workgroup_id_z 0
		.amdhsa_system_sgpr_workgroup_info 0
		.amdhsa_system_vgpr_workitem_id 0
		.amdhsa_next_free_vgpr 1
		.amdhsa_next_free_sgpr 0
		.amdhsa_accum_offset 4
		.amdhsa_reserve_vcc 0
		.amdhsa_reserve_flat_scratch 0
		.amdhsa_float_round_mode_32 0
		.amdhsa_float_round_mode_16_64 0
		.amdhsa_float_denorm_mode_32 3
		.amdhsa_float_denorm_mode_16_64 3
		.amdhsa_dx10_clamp 1
		.amdhsa_ieee_mode 1
		.amdhsa_fp16_overflow 0
		.amdhsa_tg_split 0
		.amdhsa_exception_fp_ieee_invalid_op 0
		.amdhsa_exception_fp_denorm_src 0
		.amdhsa_exception_fp_ieee_div_zero 0
		.amdhsa_exception_fp_ieee_overflow 0
		.amdhsa_exception_fp_ieee_underflow 0
		.amdhsa_exception_fp_ieee_inexact 0
		.amdhsa_exception_int_div_zero 0
	.end_amdhsa_kernel
	.section	.text._ZN7rocprim17ROCPRIM_400000_NS6detail17trampoline_kernelINS0_14default_configENS1_20scan_config_selectorItEEZZNS1_9scan_implILNS1_25lookback_scan_determinismE0ELb0ELb0ES3_N6thrust23THRUST_200600_302600_NS6detail15normal_iteratorINS9_10device_ptrItEEEENS9_16discard_iteratorINS9_11use_defaultEEEtNS9_4plusIvEEtEEDaPvRmT3_T4_T5_mT6_P12ihipStream_tbENKUlT_T0_E_clISt17integral_constantIbLb1EESW_IbLb0EEEEDaSS_ST_EUlSS_E_NS1_11comp_targetILNS1_3genE0ELNS1_11target_archE4294967295ELNS1_3gpuE0ELNS1_3repE0EEENS1_30default_config_static_selectorELNS0_4arch9wavefront6targetE1EEEvT1_,"axG",@progbits,_ZN7rocprim17ROCPRIM_400000_NS6detail17trampoline_kernelINS0_14default_configENS1_20scan_config_selectorItEEZZNS1_9scan_implILNS1_25lookback_scan_determinismE0ELb0ELb0ES3_N6thrust23THRUST_200600_302600_NS6detail15normal_iteratorINS9_10device_ptrItEEEENS9_16discard_iteratorINS9_11use_defaultEEEtNS9_4plusIvEEtEEDaPvRmT3_T4_T5_mT6_P12ihipStream_tbENKUlT_T0_E_clISt17integral_constantIbLb1EESW_IbLb0EEEEDaSS_ST_EUlSS_E_NS1_11comp_targetILNS1_3genE0ELNS1_11target_archE4294967295ELNS1_3gpuE0ELNS1_3repE0EEENS1_30default_config_static_selectorELNS0_4arch9wavefront6targetE1EEEvT1_,comdat
.Lfunc_end5474:
	.size	_ZN7rocprim17ROCPRIM_400000_NS6detail17trampoline_kernelINS0_14default_configENS1_20scan_config_selectorItEEZZNS1_9scan_implILNS1_25lookback_scan_determinismE0ELb0ELb0ES3_N6thrust23THRUST_200600_302600_NS6detail15normal_iteratorINS9_10device_ptrItEEEENS9_16discard_iteratorINS9_11use_defaultEEEtNS9_4plusIvEEtEEDaPvRmT3_T4_T5_mT6_P12ihipStream_tbENKUlT_T0_E_clISt17integral_constantIbLb1EESW_IbLb0EEEEDaSS_ST_EUlSS_E_NS1_11comp_targetILNS1_3genE0ELNS1_11target_archE4294967295ELNS1_3gpuE0ELNS1_3repE0EEENS1_30default_config_static_selectorELNS0_4arch9wavefront6targetE1EEEvT1_, .Lfunc_end5474-_ZN7rocprim17ROCPRIM_400000_NS6detail17trampoline_kernelINS0_14default_configENS1_20scan_config_selectorItEEZZNS1_9scan_implILNS1_25lookback_scan_determinismE0ELb0ELb0ES3_N6thrust23THRUST_200600_302600_NS6detail15normal_iteratorINS9_10device_ptrItEEEENS9_16discard_iteratorINS9_11use_defaultEEEtNS9_4plusIvEEtEEDaPvRmT3_T4_T5_mT6_P12ihipStream_tbENKUlT_T0_E_clISt17integral_constantIbLb1EESW_IbLb0EEEEDaSS_ST_EUlSS_E_NS1_11comp_targetILNS1_3genE0ELNS1_11target_archE4294967295ELNS1_3gpuE0ELNS1_3repE0EEENS1_30default_config_static_selectorELNS0_4arch9wavefront6targetE1EEEvT1_
                                        ; -- End function
	.section	.AMDGPU.csdata,"",@progbits
; Kernel info:
; codeLenInByte = 0
; NumSgprs: 4
; NumVgprs: 0
; NumAgprs: 0
; TotalNumVgprs: 0
; ScratchSize: 0
; MemoryBound: 0
; FloatMode: 240
; IeeeMode: 1
; LDSByteSize: 0 bytes/workgroup (compile time only)
; SGPRBlocks: 0
; VGPRBlocks: 0
; NumSGPRsForWavesPerEU: 4
; NumVGPRsForWavesPerEU: 1
; AccumOffset: 4
; Occupancy: 8
; WaveLimiterHint : 0
; COMPUTE_PGM_RSRC2:SCRATCH_EN: 0
; COMPUTE_PGM_RSRC2:USER_SGPR: 6
; COMPUTE_PGM_RSRC2:TRAP_HANDLER: 0
; COMPUTE_PGM_RSRC2:TGID_X_EN: 1
; COMPUTE_PGM_RSRC2:TGID_Y_EN: 0
; COMPUTE_PGM_RSRC2:TGID_Z_EN: 0
; COMPUTE_PGM_RSRC2:TIDIG_COMP_CNT: 0
; COMPUTE_PGM_RSRC3_GFX90A:ACCUM_OFFSET: 0
; COMPUTE_PGM_RSRC3_GFX90A:TG_SPLIT: 0
	.section	.text._ZN7rocprim17ROCPRIM_400000_NS6detail17trampoline_kernelINS0_14default_configENS1_20scan_config_selectorItEEZZNS1_9scan_implILNS1_25lookback_scan_determinismE0ELb0ELb0ES3_N6thrust23THRUST_200600_302600_NS6detail15normal_iteratorINS9_10device_ptrItEEEENS9_16discard_iteratorINS9_11use_defaultEEEtNS9_4plusIvEEtEEDaPvRmT3_T4_T5_mT6_P12ihipStream_tbENKUlT_T0_E_clISt17integral_constantIbLb1EESW_IbLb0EEEEDaSS_ST_EUlSS_E_NS1_11comp_targetILNS1_3genE5ELNS1_11target_archE942ELNS1_3gpuE9ELNS1_3repE0EEENS1_30default_config_static_selectorELNS0_4arch9wavefront6targetE1EEEvT1_,"axG",@progbits,_ZN7rocprim17ROCPRIM_400000_NS6detail17trampoline_kernelINS0_14default_configENS1_20scan_config_selectorItEEZZNS1_9scan_implILNS1_25lookback_scan_determinismE0ELb0ELb0ES3_N6thrust23THRUST_200600_302600_NS6detail15normal_iteratorINS9_10device_ptrItEEEENS9_16discard_iteratorINS9_11use_defaultEEEtNS9_4plusIvEEtEEDaPvRmT3_T4_T5_mT6_P12ihipStream_tbENKUlT_T0_E_clISt17integral_constantIbLb1EESW_IbLb0EEEEDaSS_ST_EUlSS_E_NS1_11comp_targetILNS1_3genE5ELNS1_11target_archE942ELNS1_3gpuE9ELNS1_3repE0EEENS1_30default_config_static_selectorELNS0_4arch9wavefront6targetE1EEEvT1_,comdat
	.protected	_ZN7rocprim17ROCPRIM_400000_NS6detail17trampoline_kernelINS0_14default_configENS1_20scan_config_selectorItEEZZNS1_9scan_implILNS1_25lookback_scan_determinismE0ELb0ELb0ES3_N6thrust23THRUST_200600_302600_NS6detail15normal_iteratorINS9_10device_ptrItEEEENS9_16discard_iteratorINS9_11use_defaultEEEtNS9_4plusIvEEtEEDaPvRmT3_T4_T5_mT6_P12ihipStream_tbENKUlT_T0_E_clISt17integral_constantIbLb1EESW_IbLb0EEEEDaSS_ST_EUlSS_E_NS1_11comp_targetILNS1_3genE5ELNS1_11target_archE942ELNS1_3gpuE9ELNS1_3repE0EEENS1_30default_config_static_selectorELNS0_4arch9wavefront6targetE1EEEvT1_ ; -- Begin function _ZN7rocprim17ROCPRIM_400000_NS6detail17trampoline_kernelINS0_14default_configENS1_20scan_config_selectorItEEZZNS1_9scan_implILNS1_25lookback_scan_determinismE0ELb0ELb0ES3_N6thrust23THRUST_200600_302600_NS6detail15normal_iteratorINS9_10device_ptrItEEEENS9_16discard_iteratorINS9_11use_defaultEEEtNS9_4plusIvEEtEEDaPvRmT3_T4_T5_mT6_P12ihipStream_tbENKUlT_T0_E_clISt17integral_constantIbLb1EESW_IbLb0EEEEDaSS_ST_EUlSS_E_NS1_11comp_targetILNS1_3genE5ELNS1_11target_archE942ELNS1_3gpuE9ELNS1_3repE0EEENS1_30default_config_static_selectorELNS0_4arch9wavefront6targetE1EEEvT1_
	.globl	_ZN7rocprim17ROCPRIM_400000_NS6detail17trampoline_kernelINS0_14default_configENS1_20scan_config_selectorItEEZZNS1_9scan_implILNS1_25lookback_scan_determinismE0ELb0ELb0ES3_N6thrust23THRUST_200600_302600_NS6detail15normal_iteratorINS9_10device_ptrItEEEENS9_16discard_iteratorINS9_11use_defaultEEEtNS9_4plusIvEEtEEDaPvRmT3_T4_T5_mT6_P12ihipStream_tbENKUlT_T0_E_clISt17integral_constantIbLb1EESW_IbLb0EEEEDaSS_ST_EUlSS_E_NS1_11comp_targetILNS1_3genE5ELNS1_11target_archE942ELNS1_3gpuE9ELNS1_3repE0EEENS1_30default_config_static_selectorELNS0_4arch9wavefront6targetE1EEEvT1_
	.p2align	8
	.type	_ZN7rocprim17ROCPRIM_400000_NS6detail17trampoline_kernelINS0_14default_configENS1_20scan_config_selectorItEEZZNS1_9scan_implILNS1_25lookback_scan_determinismE0ELb0ELb0ES3_N6thrust23THRUST_200600_302600_NS6detail15normal_iteratorINS9_10device_ptrItEEEENS9_16discard_iteratorINS9_11use_defaultEEEtNS9_4plusIvEEtEEDaPvRmT3_T4_T5_mT6_P12ihipStream_tbENKUlT_T0_E_clISt17integral_constantIbLb1EESW_IbLb0EEEEDaSS_ST_EUlSS_E_NS1_11comp_targetILNS1_3genE5ELNS1_11target_archE942ELNS1_3gpuE9ELNS1_3repE0EEENS1_30default_config_static_selectorELNS0_4arch9wavefront6targetE1EEEvT1_,@function
_ZN7rocprim17ROCPRIM_400000_NS6detail17trampoline_kernelINS0_14default_configENS1_20scan_config_selectorItEEZZNS1_9scan_implILNS1_25lookback_scan_determinismE0ELb0ELb0ES3_N6thrust23THRUST_200600_302600_NS6detail15normal_iteratorINS9_10device_ptrItEEEENS9_16discard_iteratorINS9_11use_defaultEEEtNS9_4plusIvEEtEEDaPvRmT3_T4_T5_mT6_P12ihipStream_tbENKUlT_T0_E_clISt17integral_constantIbLb1EESW_IbLb0EEEEDaSS_ST_EUlSS_E_NS1_11comp_targetILNS1_3genE5ELNS1_11target_archE942ELNS1_3gpuE9ELNS1_3repE0EEENS1_30default_config_static_selectorELNS0_4arch9wavefront6targetE1EEEvT1_: ; @_ZN7rocprim17ROCPRIM_400000_NS6detail17trampoline_kernelINS0_14default_configENS1_20scan_config_selectorItEEZZNS1_9scan_implILNS1_25lookback_scan_determinismE0ELb0ELb0ES3_N6thrust23THRUST_200600_302600_NS6detail15normal_iteratorINS9_10device_ptrItEEEENS9_16discard_iteratorINS9_11use_defaultEEEtNS9_4plusIvEEtEEDaPvRmT3_T4_T5_mT6_P12ihipStream_tbENKUlT_T0_E_clISt17integral_constantIbLb1EESW_IbLb0EEEEDaSS_ST_EUlSS_E_NS1_11comp_targetILNS1_3genE5ELNS1_11target_archE942ELNS1_3gpuE9ELNS1_3repE0EEENS1_30default_config_static_selectorELNS0_4arch9wavefront6targetE1EEEvT1_
; %bb.0:
	.section	.rodata,"a",@progbits
	.p2align	6, 0x0
	.amdhsa_kernel _ZN7rocprim17ROCPRIM_400000_NS6detail17trampoline_kernelINS0_14default_configENS1_20scan_config_selectorItEEZZNS1_9scan_implILNS1_25lookback_scan_determinismE0ELb0ELb0ES3_N6thrust23THRUST_200600_302600_NS6detail15normal_iteratorINS9_10device_ptrItEEEENS9_16discard_iteratorINS9_11use_defaultEEEtNS9_4plusIvEEtEEDaPvRmT3_T4_T5_mT6_P12ihipStream_tbENKUlT_T0_E_clISt17integral_constantIbLb1EESW_IbLb0EEEEDaSS_ST_EUlSS_E_NS1_11comp_targetILNS1_3genE5ELNS1_11target_archE942ELNS1_3gpuE9ELNS1_3repE0EEENS1_30default_config_static_selectorELNS0_4arch9wavefront6targetE1EEEvT1_
		.amdhsa_group_segment_fixed_size 0
		.amdhsa_private_segment_fixed_size 0
		.amdhsa_kernarg_size 104
		.amdhsa_user_sgpr_count 6
		.amdhsa_user_sgpr_private_segment_buffer 1
		.amdhsa_user_sgpr_dispatch_ptr 0
		.amdhsa_user_sgpr_queue_ptr 0
		.amdhsa_user_sgpr_kernarg_segment_ptr 1
		.amdhsa_user_sgpr_dispatch_id 0
		.amdhsa_user_sgpr_flat_scratch_init 0
		.amdhsa_user_sgpr_kernarg_preload_length 0
		.amdhsa_user_sgpr_kernarg_preload_offset 0
		.amdhsa_user_sgpr_private_segment_size 0
		.amdhsa_uses_dynamic_stack 0
		.amdhsa_system_sgpr_private_segment_wavefront_offset 0
		.amdhsa_system_sgpr_workgroup_id_x 1
		.amdhsa_system_sgpr_workgroup_id_y 0
		.amdhsa_system_sgpr_workgroup_id_z 0
		.amdhsa_system_sgpr_workgroup_info 0
		.amdhsa_system_vgpr_workitem_id 0
		.amdhsa_next_free_vgpr 1
		.amdhsa_next_free_sgpr 0
		.amdhsa_accum_offset 4
		.amdhsa_reserve_vcc 0
		.amdhsa_reserve_flat_scratch 0
		.amdhsa_float_round_mode_32 0
		.amdhsa_float_round_mode_16_64 0
		.amdhsa_float_denorm_mode_32 3
		.amdhsa_float_denorm_mode_16_64 3
		.amdhsa_dx10_clamp 1
		.amdhsa_ieee_mode 1
		.amdhsa_fp16_overflow 0
		.amdhsa_tg_split 0
		.amdhsa_exception_fp_ieee_invalid_op 0
		.amdhsa_exception_fp_denorm_src 0
		.amdhsa_exception_fp_ieee_div_zero 0
		.amdhsa_exception_fp_ieee_overflow 0
		.amdhsa_exception_fp_ieee_underflow 0
		.amdhsa_exception_fp_ieee_inexact 0
		.amdhsa_exception_int_div_zero 0
	.end_amdhsa_kernel
	.section	.text._ZN7rocprim17ROCPRIM_400000_NS6detail17trampoline_kernelINS0_14default_configENS1_20scan_config_selectorItEEZZNS1_9scan_implILNS1_25lookback_scan_determinismE0ELb0ELb0ES3_N6thrust23THRUST_200600_302600_NS6detail15normal_iteratorINS9_10device_ptrItEEEENS9_16discard_iteratorINS9_11use_defaultEEEtNS9_4plusIvEEtEEDaPvRmT3_T4_T5_mT6_P12ihipStream_tbENKUlT_T0_E_clISt17integral_constantIbLb1EESW_IbLb0EEEEDaSS_ST_EUlSS_E_NS1_11comp_targetILNS1_3genE5ELNS1_11target_archE942ELNS1_3gpuE9ELNS1_3repE0EEENS1_30default_config_static_selectorELNS0_4arch9wavefront6targetE1EEEvT1_,"axG",@progbits,_ZN7rocprim17ROCPRIM_400000_NS6detail17trampoline_kernelINS0_14default_configENS1_20scan_config_selectorItEEZZNS1_9scan_implILNS1_25lookback_scan_determinismE0ELb0ELb0ES3_N6thrust23THRUST_200600_302600_NS6detail15normal_iteratorINS9_10device_ptrItEEEENS9_16discard_iteratorINS9_11use_defaultEEEtNS9_4plusIvEEtEEDaPvRmT3_T4_T5_mT6_P12ihipStream_tbENKUlT_T0_E_clISt17integral_constantIbLb1EESW_IbLb0EEEEDaSS_ST_EUlSS_E_NS1_11comp_targetILNS1_3genE5ELNS1_11target_archE942ELNS1_3gpuE9ELNS1_3repE0EEENS1_30default_config_static_selectorELNS0_4arch9wavefront6targetE1EEEvT1_,comdat
.Lfunc_end5475:
	.size	_ZN7rocprim17ROCPRIM_400000_NS6detail17trampoline_kernelINS0_14default_configENS1_20scan_config_selectorItEEZZNS1_9scan_implILNS1_25lookback_scan_determinismE0ELb0ELb0ES3_N6thrust23THRUST_200600_302600_NS6detail15normal_iteratorINS9_10device_ptrItEEEENS9_16discard_iteratorINS9_11use_defaultEEEtNS9_4plusIvEEtEEDaPvRmT3_T4_T5_mT6_P12ihipStream_tbENKUlT_T0_E_clISt17integral_constantIbLb1EESW_IbLb0EEEEDaSS_ST_EUlSS_E_NS1_11comp_targetILNS1_3genE5ELNS1_11target_archE942ELNS1_3gpuE9ELNS1_3repE0EEENS1_30default_config_static_selectorELNS0_4arch9wavefront6targetE1EEEvT1_, .Lfunc_end5475-_ZN7rocprim17ROCPRIM_400000_NS6detail17trampoline_kernelINS0_14default_configENS1_20scan_config_selectorItEEZZNS1_9scan_implILNS1_25lookback_scan_determinismE0ELb0ELb0ES3_N6thrust23THRUST_200600_302600_NS6detail15normal_iteratorINS9_10device_ptrItEEEENS9_16discard_iteratorINS9_11use_defaultEEEtNS9_4plusIvEEtEEDaPvRmT3_T4_T5_mT6_P12ihipStream_tbENKUlT_T0_E_clISt17integral_constantIbLb1EESW_IbLb0EEEEDaSS_ST_EUlSS_E_NS1_11comp_targetILNS1_3genE5ELNS1_11target_archE942ELNS1_3gpuE9ELNS1_3repE0EEENS1_30default_config_static_selectorELNS0_4arch9wavefront6targetE1EEEvT1_
                                        ; -- End function
	.section	.AMDGPU.csdata,"",@progbits
; Kernel info:
; codeLenInByte = 0
; NumSgprs: 4
; NumVgprs: 0
; NumAgprs: 0
; TotalNumVgprs: 0
; ScratchSize: 0
; MemoryBound: 0
; FloatMode: 240
; IeeeMode: 1
; LDSByteSize: 0 bytes/workgroup (compile time only)
; SGPRBlocks: 0
; VGPRBlocks: 0
; NumSGPRsForWavesPerEU: 4
; NumVGPRsForWavesPerEU: 1
; AccumOffset: 4
; Occupancy: 8
; WaveLimiterHint : 0
; COMPUTE_PGM_RSRC2:SCRATCH_EN: 0
; COMPUTE_PGM_RSRC2:USER_SGPR: 6
; COMPUTE_PGM_RSRC2:TRAP_HANDLER: 0
; COMPUTE_PGM_RSRC2:TGID_X_EN: 1
; COMPUTE_PGM_RSRC2:TGID_Y_EN: 0
; COMPUTE_PGM_RSRC2:TGID_Z_EN: 0
; COMPUTE_PGM_RSRC2:TIDIG_COMP_CNT: 0
; COMPUTE_PGM_RSRC3_GFX90A:ACCUM_OFFSET: 0
; COMPUTE_PGM_RSRC3_GFX90A:TG_SPLIT: 0
	.section	.text._ZN7rocprim17ROCPRIM_400000_NS6detail17trampoline_kernelINS0_14default_configENS1_20scan_config_selectorItEEZZNS1_9scan_implILNS1_25lookback_scan_determinismE0ELb0ELb0ES3_N6thrust23THRUST_200600_302600_NS6detail15normal_iteratorINS9_10device_ptrItEEEENS9_16discard_iteratorINS9_11use_defaultEEEtNS9_4plusIvEEtEEDaPvRmT3_T4_T5_mT6_P12ihipStream_tbENKUlT_T0_E_clISt17integral_constantIbLb1EESW_IbLb0EEEEDaSS_ST_EUlSS_E_NS1_11comp_targetILNS1_3genE4ELNS1_11target_archE910ELNS1_3gpuE8ELNS1_3repE0EEENS1_30default_config_static_selectorELNS0_4arch9wavefront6targetE1EEEvT1_,"axG",@progbits,_ZN7rocprim17ROCPRIM_400000_NS6detail17trampoline_kernelINS0_14default_configENS1_20scan_config_selectorItEEZZNS1_9scan_implILNS1_25lookback_scan_determinismE0ELb0ELb0ES3_N6thrust23THRUST_200600_302600_NS6detail15normal_iteratorINS9_10device_ptrItEEEENS9_16discard_iteratorINS9_11use_defaultEEEtNS9_4plusIvEEtEEDaPvRmT3_T4_T5_mT6_P12ihipStream_tbENKUlT_T0_E_clISt17integral_constantIbLb1EESW_IbLb0EEEEDaSS_ST_EUlSS_E_NS1_11comp_targetILNS1_3genE4ELNS1_11target_archE910ELNS1_3gpuE8ELNS1_3repE0EEENS1_30default_config_static_selectorELNS0_4arch9wavefront6targetE1EEEvT1_,comdat
	.protected	_ZN7rocprim17ROCPRIM_400000_NS6detail17trampoline_kernelINS0_14default_configENS1_20scan_config_selectorItEEZZNS1_9scan_implILNS1_25lookback_scan_determinismE0ELb0ELb0ES3_N6thrust23THRUST_200600_302600_NS6detail15normal_iteratorINS9_10device_ptrItEEEENS9_16discard_iteratorINS9_11use_defaultEEEtNS9_4plusIvEEtEEDaPvRmT3_T4_T5_mT6_P12ihipStream_tbENKUlT_T0_E_clISt17integral_constantIbLb1EESW_IbLb0EEEEDaSS_ST_EUlSS_E_NS1_11comp_targetILNS1_3genE4ELNS1_11target_archE910ELNS1_3gpuE8ELNS1_3repE0EEENS1_30default_config_static_selectorELNS0_4arch9wavefront6targetE1EEEvT1_ ; -- Begin function _ZN7rocprim17ROCPRIM_400000_NS6detail17trampoline_kernelINS0_14default_configENS1_20scan_config_selectorItEEZZNS1_9scan_implILNS1_25lookback_scan_determinismE0ELb0ELb0ES3_N6thrust23THRUST_200600_302600_NS6detail15normal_iteratorINS9_10device_ptrItEEEENS9_16discard_iteratorINS9_11use_defaultEEEtNS9_4plusIvEEtEEDaPvRmT3_T4_T5_mT6_P12ihipStream_tbENKUlT_T0_E_clISt17integral_constantIbLb1EESW_IbLb0EEEEDaSS_ST_EUlSS_E_NS1_11comp_targetILNS1_3genE4ELNS1_11target_archE910ELNS1_3gpuE8ELNS1_3repE0EEENS1_30default_config_static_selectorELNS0_4arch9wavefront6targetE1EEEvT1_
	.globl	_ZN7rocprim17ROCPRIM_400000_NS6detail17trampoline_kernelINS0_14default_configENS1_20scan_config_selectorItEEZZNS1_9scan_implILNS1_25lookback_scan_determinismE0ELb0ELb0ES3_N6thrust23THRUST_200600_302600_NS6detail15normal_iteratorINS9_10device_ptrItEEEENS9_16discard_iteratorINS9_11use_defaultEEEtNS9_4plusIvEEtEEDaPvRmT3_T4_T5_mT6_P12ihipStream_tbENKUlT_T0_E_clISt17integral_constantIbLb1EESW_IbLb0EEEEDaSS_ST_EUlSS_E_NS1_11comp_targetILNS1_3genE4ELNS1_11target_archE910ELNS1_3gpuE8ELNS1_3repE0EEENS1_30default_config_static_selectorELNS0_4arch9wavefront6targetE1EEEvT1_
	.p2align	8
	.type	_ZN7rocprim17ROCPRIM_400000_NS6detail17trampoline_kernelINS0_14default_configENS1_20scan_config_selectorItEEZZNS1_9scan_implILNS1_25lookback_scan_determinismE0ELb0ELb0ES3_N6thrust23THRUST_200600_302600_NS6detail15normal_iteratorINS9_10device_ptrItEEEENS9_16discard_iteratorINS9_11use_defaultEEEtNS9_4plusIvEEtEEDaPvRmT3_T4_T5_mT6_P12ihipStream_tbENKUlT_T0_E_clISt17integral_constantIbLb1EESW_IbLb0EEEEDaSS_ST_EUlSS_E_NS1_11comp_targetILNS1_3genE4ELNS1_11target_archE910ELNS1_3gpuE8ELNS1_3repE0EEENS1_30default_config_static_selectorELNS0_4arch9wavefront6targetE1EEEvT1_,@function
_ZN7rocprim17ROCPRIM_400000_NS6detail17trampoline_kernelINS0_14default_configENS1_20scan_config_selectorItEEZZNS1_9scan_implILNS1_25lookback_scan_determinismE0ELb0ELb0ES3_N6thrust23THRUST_200600_302600_NS6detail15normal_iteratorINS9_10device_ptrItEEEENS9_16discard_iteratorINS9_11use_defaultEEEtNS9_4plusIvEEtEEDaPvRmT3_T4_T5_mT6_P12ihipStream_tbENKUlT_T0_E_clISt17integral_constantIbLb1EESW_IbLb0EEEEDaSS_ST_EUlSS_E_NS1_11comp_targetILNS1_3genE4ELNS1_11target_archE910ELNS1_3gpuE8ELNS1_3repE0EEENS1_30default_config_static_selectorELNS0_4arch9wavefront6targetE1EEEvT1_: ; @_ZN7rocprim17ROCPRIM_400000_NS6detail17trampoline_kernelINS0_14default_configENS1_20scan_config_selectorItEEZZNS1_9scan_implILNS1_25lookback_scan_determinismE0ELb0ELb0ES3_N6thrust23THRUST_200600_302600_NS6detail15normal_iteratorINS9_10device_ptrItEEEENS9_16discard_iteratorINS9_11use_defaultEEEtNS9_4plusIvEEtEEDaPvRmT3_T4_T5_mT6_P12ihipStream_tbENKUlT_T0_E_clISt17integral_constantIbLb1EESW_IbLb0EEEEDaSS_ST_EUlSS_E_NS1_11comp_targetILNS1_3genE4ELNS1_11target_archE910ELNS1_3gpuE8ELNS1_3repE0EEENS1_30default_config_static_selectorELNS0_4arch9wavefront6targetE1EEEvT1_
; %bb.0:
	s_load_dwordx4 s[0:3], s[4:5], 0x0
	s_load_dwordx2 s[8:9], s[4:5], 0x20
	s_load_dword s7, s[4:5], 0x38
	s_waitcnt lgkmcnt(0)
	s_lshl_b64 s[2:3], s[2:3], 1
	s_add_u32 s2, s0, s2
	s_addc_u32 s3, s1, s3
	s_add_i32 s7, s7, -1
	s_mul_i32 s10, s7, 0x600
	s_sub_u32 s16, s8, s10
	s_subb_u32 s17, s9, 0
	s_mul_i32 s0, s6, 0x600
	s_mov_b32 s1, 0
	s_cmp_lg_u32 s6, s7
	s_cselect_b64 s[12:13], -1, 0
	s_lshl_b64 s[0:1], s[0:1], 1
	s_add_u32 s0, s2, s0
	s_addc_u32 s1, s3, s1
	s_mov_b64 s[2:3], -1
	s_and_b64 vcc, exec, s[12:13]
	s_cbranch_vccz .LBB5476_2
; %bb.1:
	v_lshlrev_b32_e32 v1, 1, v0
	v_mov_b32_e32 v3, s1
	v_add_co_u32_e32 v2, vcc, s0, v1
	v_addc_co_u32_e32 v3, vcc, 0, v3, vcc
	flat_load_ushort v4, v[2:3]
	flat_load_ushort v5, v[2:3] offset:128
	flat_load_ushort v6, v[2:3] offset:256
	;; [unrolled: 1-line block ×23, first 2 shown]
	s_mov_b64 s[2:3], 0
	s_waitcnt vmcnt(0) lgkmcnt(0)
	ds_write_b16 v1, v4
	ds_write_b16 v1, v5 offset:128
	ds_write_b16 v1, v6 offset:256
	;; [unrolled: 1-line block ×23, first 2 shown]
	s_waitcnt lgkmcnt(0)
	; wave barrier
.LBB5476_2:
	s_load_dwordx2 s[14:15], s[4:5], 0x30
	s_andn2_b64 vcc, exec, s[2:3]
	s_cbranch_vccnz .LBB5476_52
; %bb.3:
	v_pk_mov_b32 v[2:3], s[0:1], s[0:1] op_sel:[0,1]
	flat_load_ushort v1, v[2:3]
	v_cmp_gt_u32_e32 vcc, s16, v0
	s_waitcnt vmcnt(0) lgkmcnt(0)
	v_mov_b32_e32 v2, v1
	s_and_saveexec_b64 s[2:3], vcc
	s_cbranch_execz .LBB5476_5
; %bb.4:
	v_lshlrev_b32_e32 v2, 1, v0
	v_mov_b32_e32 v3, s1
	v_add_co_u32_e32 v2, vcc, s0, v2
	v_addc_co_u32_e32 v3, vcc, 0, v3, vcc
	flat_load_ushort v2, v[2:3]
.LBB5476_5:
	s_or_b64 exec, exec, s[2:3]
	v_or_b32_e32 v3, 64, v0
	v_cmp_gt_u32_e32 vcc, s16, v3
	v_mov_b32_e32 v3, v1
	s_and_saveexec_b64 s[2:3], vcc
	s_cbranch_execz .LBB5476_7
; %bb.6:
	v_lshlrev_b32_e32 v3, 1, v0
	v_mov_b32_e32 v5, s1
	v_add_co_u32_e32 v4, vcc, s0, v3
	v_addc_co_u32_e32 v5, vcc, 0, v5, vcc
	flat_load_ushort v3, v[4:5] offset:128
.LBB5476_7:
	s_or_b64 exec, exec, s[2:3]
	v_or_b32_e32 v4, 0x80, v0
	v_cmp_gt_u32_e32 vcc, s16, v4
	v_mov_b32_e32 v4, v1
	s_and_saveexec_b64 s[2:3], vcc
	s_cbranch_execz .LBB5476_9
; %bb.8:
	v_lshlrev_b32_e32 v4, 1, v0
	v_mov_b32_e32 v5, s1
	v_add_co_u32_e32 v4, vcc, s0, v4
	v_addc_co_u32_e32 v5, vcc, 0, v5, vcc
	flat_load_ushort v4, v[4:5] offset:256
.LBB5476_9:
	;; [unrolled: 13-line block ×22, first 2 shown]
	s_or_b64 exec, exec, s[2:3]
	v_or_b32_e32 v25, 0x5c0, v0
	v_cmp_gt_u32_e32 vcc, s16, v25
	s_and_saveexec_b64 s[2:3], vcc
	s_cbranch_execz .LBB5476_51
; %bb.50:
	v_lshlrev_b32_e32 v1, 1, v0
	v_mov_b32_e32 v25, s1
	v_add_co_u32_e32 v26, vcc, s0, v1
	v_addc_co_u32_e32 v27, vcc, 0, v25, vcc
	flat_load_ushort v1, v[26:27] offset:2944
.LBB5476_51:
	s_or_b64 exec, exec, s[2:3]
	v_lshlrev_b32_e32 v25, 1, v0
	s_waitcnt vmcnt(0) lgkmcnt(0)
	ds_write_b16 v25, v2
	ds_write_b16 v25, v3 offset:128
	ds_write_b16 v25, v4 offset:256
	;; [unrolled: 1-line block ×23, first 2 shown]
	s_waitcnt lgkmcnt(0)
	; wave barrier
.LBB5476_52:
	v_mul_u32_u24_e32 v20, 24, v0
	v_lshlrev_b32_e32 v1, 1, v20
	s_waitcnt lgkmcnt(0)
	ds_read_b128 v[10:13], v1
	ds_read_b128 v[6:9], v1 offset:16
	ds_read_b128 v[2:5], v1 offset:32
	s_cmp_lg_u32 s6, 0
	v_mbcnt_lo_u32_b32 v21, -1, 0
	v_cmp_eq_u32_e32 vcc, 63, v0
	s_waitcnt lgkmcnt(0)
	; wave barrier
	s_waitcnt lgkmcnt(0)
	s_cbranch_scc0 .LBB5476_79
; %bb.53:
	v_add_u16_sdwa v14, v10, v10 dst_sel:DWORD dst_unused:UNUSED_PAD src0_sel:WORD_1 src1_sel:DWORD
	v_add_u16_e32 v14, v14, v11
	v_add_u16_sdwa v14, v14, v11 dst_sel:DWORD dst_unused:UNUSED_PAD src0_sel:DWORD src1_sel:WORD_1
	v_add_u16_e32 v14, v14, v12
	v_add_u16_sdwa v14, v14, v12 dst_sel:DWORD dst_unused:UNUSED_PAD src0_sel:DWORD src1_sel:WORD_1
	;; [unrolled: 2-line block ×10, first 2 shown]
	v_add_u16_e32 v14, v14, v5
	v_mbcnt_hi_u32_b32 v15, -1, v21
	v_add_u16_sdwa v14, v14, v5 dst_sel:DWORD dst_unused:UNUSED_PAD src0_sel:DWORD src1_sel:WORD_1
	v_and_b32_e32 v16, 15, v15
	v_cmp_ne_u32_e64 s[0:1], 0, v16
	v_mov_b32_dpp v17, v14 row_shr:1 row_mask:0xf bank_mask:0xf
	v_cndmask_b32_e64 v17, 0, v17, s[0:1]
	v_add_u16_e32 v14, v17, v14
	v_cmp_lt_u32_e64 s[0:1], 1, v16
	s_nop 0
	v_mov_b32_dpp v17, v14 row_shr:2 row_mask:0xf bank_mask:0xf
	v_cndmask_b32_e64 v17, 0, v17, s[0:1]
	v_add_u16_e32 v14, v14, v17
	v_cmp_lt_u32_e64 s[0:1], 3, v16
	s_nop 0
	;; [unrolled: 5-line block ×3, first 2 shown]
	v_mov_b32_dpp v17, v14 row_shr:8 row_mask:0xf bank_mask:0xf
	v_cndmask_b32_e64 v16, 0, v17, s[0:1]
	v_add_u16_e32 v14, v14, v16
	v_and_b32_e32 v17, 16, v15
	v_cmp_ne_u32_e64 s[0:1], 0, v17
	v_mov_b32_dpp v16, v14 row_bcast:15 row_mask:0xf bank_mask:0xf
	v_cndmask_b32_e64 v16, 0, v16, s[0:1]
	v_add_u16_e32 v14, v14, v16
	v_cmp_lt_u32_e64 s[0:1], 31, v15
	s_nop 0
	v_mov_b32_dpp v16, v14 row_bcast:31 row_mask:0xf bank_mask:0xf
	v_cndmask_b32_e64 v16, 0, v16, s[0:1]
	v_add_u16_e32 v14, v14, v16
	s_and_saveexec_b64 s[0:1], vcc
	s_cbranch_execz .LBB5476_55
; %bb.54:
	v_mov_b32_e32 v16, 0
	ds_write_b16 v16, v14
.LBB5476_55:
	s_or_b64 exec, exec, s[0:1]
	v_add_u32_e32 v16, -1, v15
	v_and_b32_e32 v17, 64, v15
	v_cmp_lt_i32_e32 vcc, v16, v17
	v_cndmask_b32_e32 v16, v16, v15, vcc
	v_lshlrev_b32_e32 v16, 2, v16
	ds_bpermute_b32 v22, v16, v14
	v_cmp_gt_u32_e32 vcc, 64, v0
	s_waitcnt lgkmcnt(0)
	; wave barrier
	s_waitcnt lgkmcnt(0)
	s_and_saveexec_b64 s[10:11], vcc
	s_cbranch_execz .LBB5476_78
; %bb.56:
	v_mov_b32_e32 v19, 0
	ds_read_u16 v23, v19
	s_mov_b32 s9, 0
	v_cmp_eq_u32_e64 s[0:1], 0, v15
	s_and_saveexec_b64 s[2:3], s[0:1]
	s_cbranch_execz .LBB5476_58
; %bb.57:
	s_add_i32 s8, s6, 64
	s_lshl_b64 s[8:9], s[8:9], 2
	s_add_u32 s8, s14, s8
	s_waitcnt lgkmcnt(0)
	v_or_b32_e32 v14, 0x10000, v23
	s_addc_u32 s9, s15, s9
	global_store_dword v19, v14, s[8:9]
.LBB5476_58:
	s_or_b64 exec, exec, s[2:3]
	v_xad_u32 v14, v15, -1, s6
	v_add_u32_e32 v18, 64, v14
	v_lshlrev_b64 v[16:17], 2, v[18:19]
	v_mov_b32_e32 v18, s15
	v_add_co_u32_e32 v16, vcc, s14, v16
	v_addc_co_u32_e32 v17, vcc, v18, v17, vcc
	global_load_dword v18, v[16:17], off glc
	s_waitcnt vmcnt(0)
	v_lshrrev_b32_e32 v27, 16, v18
	v_cmp_eq_u16_sdwa s[8:9], v27, v19 src0_sel:BYTE_0 src1_sel:DWORD
	s_and_saveexec_b64 s[2:3], s[8:9]
	s_cbranch_execz .LBB5476_64
; %bb.59:
	s_mov_b32 s7, 1
	s_mov_b64 s[8:9], 0
	v_mov_b32_e32 v19, 0
.LBB5476_60:                            ; =>This Loop Header: Depth=1
                                        ;     Child Loop BB5476_61 Depth 2
	s_max_u32 s18, s7, 1
.LBB5476_61:                            ;   Parent Loop BB5476_60 Depth=1
                                        ; =>  This Inner Loop Header: Depth=2
	s_add_i32 s18, s18, -1
	s_cmp_eq_u32 s18, 0
	s_sleep 1
	s_cbranch_scc0 .LBB5476_61
; %bb.62:                               ;   in Loop: Header=BB5476_60 Depth=1
	global_load_dword v18, v[16:17], off glc
	s_cmp_lt_u32 s7, 32
	s_cselect_b64 s[18:19], -1, 0
	s_cmp_lg_u64 s[18:19], 0
	s_addc_u32 s7, s7, 0
	s_waitcnt vmcnt(0)
	v_lshrrev_b32_e32 v27, 16, v18
	v_cmp_ne_u16_sdwa s[18:19], v27, v19 src0_sel:BYTE_0 src1_sel:DWORD
	s_or_b64 s[8:9], s[18:19], s[8:9]
	s_andn2_b64 exec, exec, s[8:9]
	s_cbranch_execnz .LBB5476_60
; %bb.63:
	s_or_b64 exec, exec, s[8:9]
.LBB5476_64:
	s_or_b64 exec, exec, s[2:3]
	v_and_b32_e32 v25, 63, v15
	v_cmp_ne_u32_e32 vcc, 63, v25
	v_mov_b32_e32 v24, 2
	v_addc_co_u32_e32 v26, vcc, 0, v15, vcc
	v_cmp_eq_u16_sdwa s[2:3], v27, v24 src0_sel:BYTE_0 src1_sel:DWORD
	v_lshlrev_b64 v[16:17], v15, -1
	v_and_b32_e32 v29, 0xffff, v18
	v_lshlrev_b32_e32 v26, 2, v26
	v_and_b32_e32 v19, s3, v17
	ds_bpermute_b32 v30, v26, v29
	v_or_b32_e32 v19, 0x80000000, v19
	v_and_b32_e32 v28, s2, v16
	v_ffbl_b32_e32 v19, v19
	v_add_u32_e32 v19, 32, v19
	v_ffbl_b32_e32 v28, v28
	v_cmp_gt_u32_e64 s[2:3], 62, v25
	v_min_u32_e32 v19, v28, v19
	v_cndmask_b32_e64 v28, 0, 1, s[2:3]
	s_waitcnt lgkmcnt(0)
	v_add_u16_e32 v30, v30, v18
	v_cmp_lt_u32_e32 vcc, v25, v19
	v_lshlrev_b32_e32 v28, 1, v28
	v_cndmask_b32_e32 v31, v29, v30, vcc
	v_add_lshl_u32 v28, v28, v15, 2
	ds_bpermute_b32 v32, v28, v31
	v_cmp_gt_u32_e64 s[8:9], 60, v25
	v_cndmask_b32_e32 v33, v18, v30, vcc
	v_add_u32_e32 v29, 2, v25
	v_cndmask_b32_e64 v30, 0, 1, s[8:9]
	s_waitcnt lgkmcnt(0)
	v_add_u16_e32 v32, v33, v32
	v_cmp_gt_u32_e64 s[2:3], v29, v19
	v_lshlrev_b32_e32 v30, 2, v30
	v_cndmask_b32_e64 v34, v32, v31, s[2:3]
	v_add_lshl_u32 v30, v30, v15, 2
	ds_bpermute_b32 v35, v30, v34
	v_cmp_gt_u32_e64 s[8:9], 56, v25
	v_cndmask_b32_e64 v33, v32, v33, s[2:3]
	v_add_u32_e32 v31, 4, v25
	v_cndmask_b32_e64 v32, 0, 1, s[8:9]
	s_waitcnt lgkmcnt(0)
	v_add_u16_e32 v35, v33, v35
	v_cmp_gt_u32_e64 s[2:3], v31, v19
	v_lshlrev_b32_e32 v32, 3, v32
	v_cndmask_b32_e64 v34, v35, v34, s[2:3]
	v_add_lshl_u32 v32, v32, v15, 2
	ds_bpermute_b32 v36, v32, v34
	v_cndmask_b32_e64 v35, v35, v33, s[2:3]
	v_add_u32_e32 v33, 8, v25
	v_cmp_gt_u32_e64 s[2:3], v33, v19
	v_cmp_gt_u32_e64 s[8:9], 48, v25
	s_waitcnt lgkmcnt(0)
	v_add_u16_e32 v36, v35, v36
	v_cndmask_b32_e64 v37, v36, v34, s[2:3]
	v_cndmask_b32_e64 v34, 0, 1, s[8:9]
	v_lshlrev_b32_e32 v34, 4, v34
	v_add_lshl_u32 v34, v34, v15, 2
	ds_bpermute_b32 v38, v34, v37
	v_cndmask_b32_e64 v36, v36, v35, s[2:3]
	v_add_u32_e32 v35, 16, v25
	v_cmp_gt_u32_e64 s[2:3], v35, v19
	v_cmp_gt_u32_e64 s[8:9], 32, v25
	s_waitcnt lgkmcnt(0)
	v_add_u16_e32 v39, v36, v38
	v_cndmask_b32_e64 v38, v39, v37, s[2:3]
	v_cndmask_b32_e64 v37, 0, 1, s[8:9]
	v_lshlrev_b32_e32 v37, 5, v37
	v_add_lshl_u32 v37, v37, v15, 2
	ds_bpermute_b32 v15, v37, v38
	v_add_u32_e32 v38, 32, v25
	v_cndmask_b32_e64 v36, v39, v36, s[2:3]
	v_cmp_le_u32_e64 s[2:3], v38, v19
	s_waitcnt lgkmcnt(0)
	v_cndmask_b32_e64 v15, 0, v15, s[2:3]
	v_add_u16_e32 v15, v36, v15
	v_cndmask_b32_e32 v18, v18, v15, vcc
	v_mov_b32_e32 v15, 0
	s_branch .LBB5476_66
.LBB5476_65:                            ;   in Loop: Header=BB5476_66 Depth=1
	s_or_b64 exec, exec, s[2:3]
	v_cmp_eq_u16_sdwa s[2:3], v27, v24 src0_sel:BYTE_0 src1_sel:DWORD
	v_and_b32_e32 v40, 0xffff, v39
	v_and_b32_e32 v18, s3, v17
	ds_bpermute_b32 v41, v26, v40
	v_or_b32_e32 v18, 0x80000000, v18
	v_and_b32_e32 v19, s2, v16
	v_ffbl_b32_e32 v18, v18
	v_add_u32_e32 v18, 32, v18
	v_ffbl_b32_e32 v19, v19
	v_min_u32_e32 v18, v19, v18
	s_waitcnt lgkmcnt(0)
	v_add_u16_e32 v19, v41, v39
	v_cmp_lt_u32_e32 vcc, v25, v18
	v_cndmask_b32_e32 v40, v40, v19, vcc
	ds_bpermute_b32 v41, v28, v40
	v_cndmask_b32_e32 v19, v39, v19, vcc
	v_cmp_gt_u32_e64 s[2:3], v29, v18
	v_subrev_u32_e32 v14, 64, v14
	s_waitcnt lgkmcnt(0)
	v_add_u16_e32 v41, v19, v41
	v_cndmask_b32_e64 v40, v41, v40, s[2:3]
	ds_bpermute_b32 v42, v30, v40
	v_cndmask_b32_e64 v19, v41, v19, s[2:3]
	v_cmp_gt_u32_e64 s[2:3], v31, v18
	s_waitcnt lgkmcnt(0)
	v_add_u16_e32 v41, v19, v42
	v_cndmask_b32_e64 v40, v41, v40, s[2:3]
	ds_bpermute_b32 v42, v32, v40
	v_cndmask_b32_e64 v19, v41, v19, s[2:3]
	v_cmp_gt_u32_e64 s[2:3], v33, v18
	;; [unrolled: 6-line block ×3, first 2 shown]
	s_waitcnt lgkmcnt(0)
	v_add_u16_e32 v41, v19, v42
	v_cndmask_b32_e64 v40, v41, v40, s[2:3]
	ds_bpermute_b32 v40, v37, v40
	v_cndmask_b32_e64 v19, v41, v19, s[2:3]
	v_cmp_le_u32_e64 s[2:3], v38, v18
	s_waitcnt lgkmcnt(0)
	v_cndmask_b32_e64 v18, 0, v40, s[2:3]
	v_add_u16_e32 v18, v19, v18
	v_cndmask_b32_e32 v18, v39, v18, vcc
	v_add_u16_e32 v18, v18, v36
.LBB5476_66:                            ; =>This Loop Header: Depth=1
                                        ;     Child Loop BB5476_69 Depth 2
                                        ;       Child Loop BB5476_70 Depth 3
	v_cmp_ne_u16_sdwa s[2:3], v27, v24 src0_sel:BYTE_0 src1_sel:DWORD
	v_cndmask_b32_e64 v19, 0, 1, s[2:3]
	;;#ASMSTART
	;;#ASMEND
	v_cmp_ne_u32_e32 vcc, 0, v19
	s_cmp_lg_u64 vcc, exec
	v_mov_b32_e32 v36, v18
	s_cbranch_scc1 .LBB5476_73
; %bb.67:                               ;   in Loop: Header=BB5476_66 Depth=1
	v_lshlrev_b64 v[18:19], 2, v[14:15]
	v_mov_b32_e32 v27, s15
	v_add_co_u32_e32 v18, vcc, s14, v18
	v_addc_co_u32_e32 v19, vcc, v27, v19, vcc
	global_load_dword v39, v[18:19], off glc
	s_waitcnt vmcnt(0)
	v_lshrrev_b32_e32 v27, 16, v39
	v_cmp_eq_u16_sdwa s[8:9], v27, v15 src0_sel:BYTE_0 src1_sel:DWORD
	s_and_saveexec_b64 s[2:3], s[8:9]
	s_cbranch_execz .LBB5476_65
; %bb.68:                               ;   in Loop: Header=BB5476_66 Depth=1
	s_mov_b32 s7, 1
	s_mov_b64 s[8:9], 0
.LBB5476_69:                            ;   Parent Loop BB5476_66 Depth=1
                                        ; =>  This Loop Header: Depth=2
                                        ;       Child Loop BB5476_70 Depth 3
	s_max_u32 s18, s7, 1
.LBB5476_70:                            ;   Parent Loop BB5476_66 Depth=1
                                        ;     Parent Loop BB5476_69 Depth=2
                                        ; =>    This Inner Loop Header: Depth=3
	s_add_i32 s18, s18, -1
	s_cmp_eq_u32 s18, 0
	s_sleep 1
	s_cbranch_scc0 .LBB5476_70
; %bb.71:                               ;   in Loop: Header=BB5476_69 Depth=2
	global_load_dword v39, v[18:19], off glc
	s_cmp_lt_u32 s7, 32
	s_cselect_b64 s[18:19], -1, 0
	s_cmp_lg_u64 s[18:19], 0
	s_addc_u32 s7, s7, 0
	s_waitcnt vmcnt(0)
	v_lshrrev_b32_e32 v27, 16, v39
	v_cmp_ne_u16_sdwa s[18:19], v27, v15 src0_sel:BYTE_0 src1_sel:DWORD
	s_or_b64 s[8:9], s[18:19], s[8:9]
	s_andn2_b64 exec, exec, s[8:9]
	s_cbranch_execnz .LBB5476_69
; %bb.72:                               ;   in Loop: Header=BB5476_66 Depth=1
	s_or_b64 exec, exec, s[8:9]
	s_branch .LBB5476_65
.LBB5476_73:                            ;   in Loop: Header=BB5476_66 Depth=1
                                        ; implicit-def: $vgpr18
                                        ; implicit-def: $vgpr27
	s_cbranch_execz .LBB5476_66
; %bb.74:
	s_and_saveexec_b64 s[2:3], s[0:1]
	s_cbranch_execz .LBB5476_76
; %bb.75:
	s_add_i32 s0, s6, 64
	s_mov_b32 s1, 0
	s_lshl_b64 s[0:1], s[0:1], 2
	v_add_u16_e32 v14, v36, v23
	s_add_u32 s0, s14, s0
	v_or_b32_e32 v14, 0x20000, v14
	s_addc_u32 s1, s15, s1
	v_mov_b32_e32 v15, 0
	global_store_dword v15, v14, s[0:1]
.LBB5476_76:
	s_or_b64 exec, exec, s[2:3]
	v_cmp_eq_u32_e32 vcc, 0, v0
	s_and_b64 exec, exec, vcc
	s_cbranch_execz .LBB5476_78
; %bb.77:
	v_mov_b32_e32 v14, 0
	ds_write_b16 v14, v36
.LBB5476_78:
	s_or_b64 exec, exec, s[10:11]
	v_mov_b32_e32 v14, 0
	s_waitcnt lgkmcnt(0)
	; wave barrier
	s_waitcnt lgkmcnt(0)
	ds_read_u16 v14, v14
	v_cmp_ne_u32_e32 vcc, 0, v0
	v_cndmask_b32_e32 v15, 0, v22, vcc
	v_add_u16_e32 v15, v15, v10
	s_waitcnt lgkmcnt(0)
	v_add_u16_e32 v14, v15, v14
	v_add_u16_sdwa v15, v14, v10 dst_sel:DWORD dst_unused:UNUSED_PAD src0_sel:DWORD src1_sel:WORD_1
	v_add_u16_e32 v16, v15, v11
	v_add_u16_sdwa v17, v16, v11 dst_sel:DWORD dst_unused:UNUSED_PAD src0_sel:DWORD src1_sel:WORD_1
	;; [unrolled: 2-line block ×12, first 2 shown]
	s_load_dwordx8 s[4:11], s[4:5], 0x40
	s_branch .LBB5476_89
.LBB5476_79:
                                        ; implicit-def: $vgpr14
                                        ; implicit-def: $vgpr15
                                        ; implicit-def: $vgpr16
                                        ; implicit-def: $vgpr17
                                        ; implicit-def: $vgpr18
                                        ; implicit-def: $vgpr19
                                        ; implicit-def: $vgpr23
                                        ; implicit-def: $vgpr25
                                        ; implicit-def: $vgpr22
                                        ; implicit-def: $vgpr24
                                        ; implicit-def: $vgpr26
                                        ; implicit-def: $vgpr27
                                        ; implicit-def: $vgpr28
                                        ; implicit-def: $vgpr29
                                        ; implicit-def: $vgpr31
                                        ; implicit-def: $vgpr33
                                        ; implicit-def: $vgpr30
                                        ; implicit-def: $vgpr32
                                        ; implicit-def: $vgpr34
                                        ; implicit-def: $vgpr35
                                        ; implicit-def: $vgpr36
                                        ; implicit-def: $vgpr37
                                        ; implicit-def: $vgpr38
                                        ; implicit-def: $vgpr39
	s_load_dwordx8 s[4:11], s[4:5], 0x40
	s_cbranch_execz .LBB5476_89
; %bb.80:
	s_waitcnt lgkmcnt(0)
	s_cmp_lg_u64 s[8:9], 0
	s_cselect_b64 s[2:3], -1, 0
	v_cmp_eq_u32_e32 vcc, 0, v0
	v_cmp_ne_u32_e64 s[0:1], 0, v0
	s_and_b64 s[8:9], vcc, s[2:3]
	v_mov_b32_e32 v14, v10
	s_and_saveexec_b64 s[2:3], s[8:9]
	s_cbranch_execz .LBB5476_82
; %bb.81:
	v_mov_b32_e32 v14, 0
	global_load_ushort v14, v14, s[4:5]
	s_waitcnt vmcnt(0)
	v_add_u16_e32 v14, v14, v10
.LBB5476_82:
	s_or_b64 exec, exec, s[2:3]
	v_add_u16_sdwa v15, v14, v10 dst_sel:DWORD dst_unused:UNUSED_PAD src0_sel:DWORD src1_sel:WORD_1
	v_add_u16_e32 v16, v15, v11
	v_add_u16_sdwa v17, v16, v11 dst_sel:DWORD dst_unused:UNUSED_PAD src0_sel:DWORD src1_sel:WORD_1
	v_add_u16_e32 v18, v17, v12
	;; [unrolled: 2-line block ×11, first 2 shown]
	v_mbcnt_hi_u32_b32 v21, -1, v21
	v_add_u16_sdwa v39, v38, v5 dst_sel:DWORD dst_unused:UNUSED_PAD src0_sel:DWORD src1_sel:WORD_1
	v_and_b32_e32 v40, 15, v21
	v_cmp_ne_u32_e32 vcc, 0, v40
	v_mov_b32_dpp v41, v39 row_shr:1 row_mask:0xf bank_mask:0xf
	v_cndmask_b32_e32 v41, 0, v41, vcc
	v_add_u16_e32 v41, v39, v41
	v_cmp_lt_u32_e32 vcc, 1, v40
	s_nop 0
	v_mov_b32_dpp v42, v41 row_shr:2 row_mask:0xf bank_mask:0xf
	v_cndmask_b32_e32 v42, 0, v42, vcc
	v_add_u16_e32 v41, v41, v42
	v_cmp_lt_u32_e32 vcc, 3, v40
	s_nop 0
	;; [unrolled: 5-line block ×3, first 2 shown]
	v_mov_b32_dpp v42, v41 row_shr:8 row_mask:0xf bank_mask:0xf
	v_cndmask_b32_e32 v40, 0, v42, vcc
	v_add_u16_e32 v40, v41, v40
	v_and_b32_e32 v42, 16, v21
	v_cmp_ne_u32_e32 vcc, 0, v42
	v_mov_b32_dpp v41, v40 row_bcast:15 row_mask:0xf bank_mask:0xf
	v_cndmask_b32_e32 v41, 0, v41, vcc
	v_add_u16_e32 v40, v40, v41
	v_cmp_lt_u32_e32 vcc, 31, v21
	s_nop 0
	v_mov_b32_dpp v41, v40 row_bcast:31 row_mask:0xf bank_mask:0xf
	v_cndmask_b32_e32 v41, 0, v41, vcc
	v_add_u16_e32 v40, v40, v41
	v_cmp_eq_u32_e32 vcc, 63, v0
	s_and_saveexec_b64 s[2:3], vcc
	s_cbranch_execz .LBB5476_84
; %bb.83:
	v_mov_b32_e32 v41, 0
	ds_write_b16 v41, v40
.LBB5476_84:
	s_or_b64 exec, exec, s[2:3]
	v_add_u32_e32 v41, -1, v21
	v_and_b32_e32 v42, 64, v21
	v_cmp_lt_i32_e64 s[2:3], v41, v42
	v_cndmask_b32_e64 v21, v41, v21, s[2:3]
	v_lshlrev_b32_e32 v21, 2, v21
	ds_bpermute_b32 v21, v21, v40
	s_waitcnt lgkmcnt(0)
	; wave barrier
	s_waitcnt lgkmcnt(0)
	s_and_saveexec_b64 s[2:3], s[0:1]
	s_cbranch_execz .LBB5476_86
; %bb.85:
	v_add_u16_e32 v14, v14, v21
	v_add_u16_sdwa v15, v14, v10 dst_sel:DWORD dst_unused:UNUSED_PAD src0_sel:DWORD src1_sel:WORD_1
	v_add_u16_e32 v16, v15, v11
	v_add_u16_sdwa v17, v16, v11 dst_sel:DWORD dst_unused:UNUSED_PAD src0_sel:DWORD src1_sel:WORD_1
	;; [unrolled: 2-line block ×12, first 2 shown]
	;;#ASMSTART
	;;#ASMEND
.LBB5476_86:
	s_or_b64 exec, exec, s[2:3]
	s_and_saveexec_b64 s[0:1], vcc
	s_cbranch_execz .LBB5476_88
; %bb.87:
	s_mov_b32 s2, 0x20000
	v_mov_b32_e32 v2, 0
	v_or_b32_sdwa v3, v39, s2 dst_sel:DWORD dst_unused:UNUSED_PAD src0_sel:WORD_0 src1_sel:DWORD
	global_store_dword v2, v3, s[14:15] offset:256
.LBB5476_88:
	s_or_b64 exec, exec, s[0:1]
.LBB5476_89:
	s_mov_b32 s0, 0x5040100
	v_perm_b32 v5, v25, v23, s0
	v_perm_b32 v4, v19, v18, s0
	;; [unrolled: 1-line block ×4, first 2 shown]
	s_waitcnt lgkmcnt(0)
	; wave barrier
	s_waitcnt lgkmcnt(0)
	ds_write_b128 v1, v[2:5]
	v_perm_b32 v5, v33, v31, s0
	v_perm_b32 v4, v29, v28, s0
	;; [unrolled: 1-line block ×4, first 2 shown]
	ds_write_b128 v1, v[2:5] offset:16
	v_perm_b32 v5, v39, v38, s0
	v_perm_b32 v4, v37, v36, s0
	;; [unrolled: 1-line block ×4, first 2 shown]
	s_mov_b64 s[0:1], -1
	s_and_b64 vcc, exec, s[12:13]
	ds_write_b128 v1, v[2:5] offset:32
	s_waitcnt lgkmcnt(0)
	s_cbranch_vccz .LBB5476_91
; %bb.90:
	; wave barrier
	s_mov_b64 s[0:1], 0
.LBB5476_91:
	s_andn2_b64 vcc, exec, s[0:1]
	s_cbranch_vccnz .LBB5476_100
; %bb.92:
	v_cmp_lt_u64_e64 s[0:1], s[10:11], 2
	s_and_b64 vcc, exec, s[0:1]
	; wave barrier
	s_cbranch_vccnz .LBB5476_100
; %bb.93:
	s_add_u32 s0, s16, -1
	s_addc_u32 s1, s17, -1
	s_add_u32 s2, 0, 0xaaaa0000
	s_addc_u32 s3, 0, 42
	s_add_i32 s3, s3, 0xaaaaa80
	s_mul_hi_u32 s9, s2, 0xffffffe8
	s_sub_i32 s9, s9, s2
	s_mul_i32 s10, s3, 0xffffffe8
	s_mul_i32 s4, s2, 0xffffffe8
	s_add_i32 s9, s9, s10
	s_mul_hi_u32 s5, s3, s4
	s_mul_i32 s8, s3, s4
	s_mul_i32 s11, s2, s9
	s_mul_hi_u32 s4, s2, s4
	s_mul_hi_u32 s10, s2, s9
	s_add_u32 s4, s4, s11
	s_addc_u32 s10, 0, s10
	s_add_u32 s4, s4, s8
	s_mul_hi_u32 s11, s3, s9
	s_addc_u32 s4, s10, s5
	s_addc_u32 s5, s11, 0
	s_mul_i32 s8, s3, s9
	s_add_u32 s4, s4, s8
	v_mov_b32_e32 v2, s4
	s_addc_u32 s5, 0, s5
	v_add_co_u32_e32 v2, vcc, s2, v2
	s_cmp_lg_u64 vcc, 0
	s_addc_u32 s2, s3, s5
	v_readfirstlane_b32 s5, v2
	s_mul_i32 s4, s0, s2
	s_mul_hi_u32 s8, s0, s5
	s_mul_hi_u32 s3, s0, s2
	s_add_u32 s4, s8, s4
	s_addc_u32 s3, 0, s3
	s_mul_hi_u32 s9, s1, s5
	s_mul_i32 s5, s1, s5
	s_add_u32 s4, s4, s5
	s_mul_hi_u32 s8, s1, s2
	s_addc_u32 s3, s3, s9
	s_addc_u32 s4, s8, 0
	s_mul_i32 s2, s1, s2
	s_add_u32 s2, s3, s2
	s_addc_u32 s3, 0, s4
	s_add_u32 s4, s2, 1
	s_addc_u32 s5, s3, 0
	s_add_u32 s8, s2, 2
	s_mul_i32 s10, s3, 24
	s_mul_hi_u32 s11, s2, 24
	s_addc_u32 s9, s3, 0
	s_add_i32 s11, s11, s10
	s_mul_i32 s10, s2, 24
	v_mov_b32_e32 v2, s10
	v_sub_co_u32_e32 v2, vcc, s0, v2
	s_cmp_lg_u64 vcc, 0
	s_subb_u32 s10, s1, s11
	v_subrev_co_u32_e32 v3, vcc, 24, v2
	s_cmp_lg_u64 vcc, 0
	s_subb_u32 s11, s10, 0
	v_readfirstlane_b32 s12, v3
	s_cmp_gt_u32 s12, 23
	s_cselect_b32 s12, -1, 0
	s_cmp_eq_u32 s11, 0
	s_cselect_b32 s11, s12, -1
	s_cmp_lg_u32 s11, 0
	s_cselect_b32 s4, s8, s4
	v_readfirstlane_b32 s8, v2
	s_cselect_b32 s5, s9, s5
	s_cmp_gt_u32 s8, 23
	s_cselect_b32 s8, -1, 0
	s_cmp_eq_u32 s10, 0
	s_cselect_b32 s8, s8, -1
	s_cmp_lg_u32 s8, 0
	v_mov_b32_e32 v1, 0
	s_cselect_b32 s3, s5, s3
	s_cselect_b32 s2, s4, s2
	v_cmp_eq_u64_e32 vcc, s[2:3], v[0:1]
	s_and_saveexec_b64 s[2:3], vcc
	s_cbranch_execz .LBB5476_100
; %bb.94:
	v_lshlrev_b32_e32 v2, 1, v0
	v_mul_hi_u32_u24_e32 v1, 24, v0
	v_mov_b32_e32 v3, s1
	v_sub_co_u32_e32 v0, vcc, s0, v20
	v_subb_co_u32_e32 v1, vcc, v3, v1, vcc
	v_cmp_lt_i64_e32 vcc, 11, v[0:1]
	s_mov_b64 s[0:1], 0
	s_mov_b64 s[10:11], 0
	;; [unrolled: 1-line block ×4, first 2 shown]
                                        ; implicit-def: $vgpr3
                                        ; implicit-def: $vgpr4
                                        ; implicit-def: $vgpr5
	s_and_saveexec_b64 s[2:3], vcc
	s_xor_b64 s[2:3], exec, s[2:3]
	s_cbranch_execnz .LBB5476_101
; %bb.95:
	s_andn2_saveexec_b64 s[2:3], s[2:3]
	s_cbranch_execnz .LBB5476_146
.LBB5476_96:
	s_or_b64 exec, exec, s[2:3]
	s_and_saveexec_b64 s[2:3], s[10:11]
	s_cbranch_execnz .LBB5476_163
.LBB5476_97:
	s_or_b64 exec, exec, s[2:3]
	s_and_saveexec_b64 s[2:3], s[8:9]
	s_cbranch_execnz .LBB5476_164
.LBB5476_98:
	s_or_b64 exec, exec, s[2:3]
	s_and_saveexec_b64 s[2:3], s[4:5]
	s_xor_b64 s[2:3], exec, s[2:3]
	s_cbranch_execnz .LBB5476_165
.LBB5476_99:
	s_or_b64 exec, exec, s[2:3]
	s_and_b64 exec, exec, s[0:1]
	s_cbranch_execnz .LBB5476_166
.LBB5476_100:
	s_endpgm
.LBB5476_101:
	v_cmp_lt_i64_e32 vcc, 17, v[0:1]
                                        ; implicit-def: $vgpr3
                                        ; implicit-def: $vgpr4
                                        ; implicit-def: $vgpr5
	s_and_saveexec_b64 s[12:13], vcc
	s_xor_b64 s[12:13], exec, s[12:13]
	s_cbranch_execz .LBB5476_123
; %bb.102:
	v_cmp_lt_i64_e32 vcc, 20, v[0:1]
                                        ; implicit-def: $vgpr3
                                        ; implicit-def: $vgpr4
	s_and_saveexec_b64 s[14:15], vcc
	s_xor_b64 s[14:15], exec, s[14:15]
	s_cbranch_execz .LBB5476_112
; %bb.103:
	v_cmp_lt_i64_e32 vcc, 21, v[0:1]
	s_mov_b64 s[16:17], 0
                                        ; implicit-def: $vgpr3
	s_and_saveexec_b64 s[4:5], vcc
	s_xor_b64 s[4:5], exec, s[4:5]
	s_cbranch_execz .LBB5476_109
; %bb.104:
	v_cmp_lt_i64_e32 vcc, 22, v[0:1]
	s_and_saveexec_b64 s[16:17], vcc
	s_xor_b64 s[16:17], exec, s[16:17]
	s_cbranch_execz .LBB5476_106
; %bb.105:
	ds_read_u16 v3, v2 offset:2944
	v_mov_b32_e32 v4, 0
	s_waitcnt lgkmcnt(0)
	global_store_short v4, v3, s[6:7]
.LBB5476_106:
	s_or_saveexec_b64 s[16:17], s[16:17]
	s_mov_b64 s[18:19], 0
                                        ; implicit-def: $vgpr3
	s_xor_b64 exec, exec, s[16:17]
	s_cbranch_execz .LBB5476_108
; %bb.107:
	ds_read_u16 v3, v2 offset:2816
	s_mov_b64 s[18:19], exec
.LBB5476_108:
	s_or_b64 exec, exec, s[16:17]
	s_and_b64 s[16:17], s[18:19], exec
.LBB5476_109:
	s_or_saveexec_b64 s[4:5], s[4:5]
                                        ; implicit-def: $vgpr4
	s_xor_b64 exec, exec, s[4:5]
	s_cbranch_execz .LBB5476_111
; %bb.110:
	ds_read_u16 v4, v2 offset:2688
	s_mov_b64 s[8:9], exec
                                        ; implicit-def: $vgpr3
.LBB5476_111:
	s_or_b64 exec, exec, s[4:5]
	s_and_b64 s[4:5], s[16:17], exec
	s_and_b64 s[8:9], s[8:9], exec
.LBB5476_112:
	s_or_saveexec_b64 s[14:15], s[14:15]
                                        ; implicit-def: $vgpr5
	s_xor_b64 exec, exec, s[14:15]
	s_cbranch_execz .LBB5476_122
; %bb.113:
	v_cmp_lt_i64_e32 vcc, 18, v[0:1]
	s_mov_b64 s[16:17], 0
                                        ; implicit-def: $vgpr5
	s_and_saveexec_b64 s[10:11], vcc
	s_xor_b64 s[10:11], exec, s[10:11]
	s_cbranch_execz .LBB5476_119
; %bb.114:
	v_cmp_lt_i64_e32 vcc, 19, v[0:1]
                                        ; implicit-def: $vgpr5
	s_and_saveexec_b64 s[18:19], vcc
	s_xor_b64 s[18:19], exec, s[18:19]
	s_cbranch_execz .LBB5476_116
; %bb.115:
	ds_read_u16 v5, v2 offset:2560
	s_mov_b64 s[16:17], exec
.LBB5476_116:
	s_andn2_saveexec_b64 s[18:19], s[18:19]
	s_cbranch_execz .LBB5476_118
; %bb.117:
	s_waitcnt lgkmcnt(0)
	ds_read_u16 v3, v2 offset:2432
	v_mov_b32_e32 v4, 0
                                        ; implicit-def: $vgpr5
	s_waitcnt lgkmcnt(0)
	global_store_short v4, v3, s[6:7]
.LBB5476_118:
	s_or_b64 exec, exec, s[18:19]
	s_and_b64 s[16:17], s[16:17], exec
.LBB5476_119:
	s_andn2_saveexec_b64 s[10:11], s[10:11]
	s_cbranch_execz .LBB5476_121
; %bb.120:
	s_waitcnt lgkmcnt(0)
	ds_read_u16 v3, v2 offset:2304
	v_mov_b32_e32 v4, 0
                                        ; implicit-def: $vgpr5
	s_waitcnt lgkmcnt(0)
	global_store_short v4, v3, s[6:7]
.LBB5476_121:
	s_or_b64 exec, exec, s[10:11]
	s_and_b64 s[10:11], s[16:17], exec
                                        ; implicit-def: $vgpr3
                                        ; implicit-def: $vgpr4
.LBB5476_122:
	s_or_b64 exec, exec, s[14:15]
	s_and_b64 s[4:5], s[4:5], exec
	s_and_b64 s[8:9], s[8:9], exec
	;; [unrolled: 1-line block ×3, first 2 shown]
.LBB5476_123:
	s_andn2_saveexec_b64 s[12:13], s[12:13]
	s_cbranch_execz .LBB5476_145
; %bb.124:
	v_cmp_lt_i64_e32 vcc, 14, v[0:1]
	s_mov_b64 s[14:15], s[4:5]
                                        ; implicit-def: $vgpr3
	s_and_saveexec_b64 s[16:17], vcc
	s_xor_b64 s[16:17], exec, s[16:17]
	s_cbranch_execz .LBB5476_134
; %bb.125:
	v_cmp_lt_i64_e32 vcc, 15, v[0:1]
	s_and_saveexec_b64 s[14:15], vcc
	s_xor_b64 s[14:15], exec, s[14:15]
	s_cbranch_execz .LBB5476_131
; %bb.126:
	v_cmp_lt_i64_e32 vcc, 16, v[0:1]
	s_and_saveexec_b64 s[18:19], vcc
	s_xor_b64 s[18:19], exec, s[18:19]
	s_cbranch_execz .LBB5476_128
; %bb.127:
	s_waitcnt lgkmcnt(0)
	ds_read_u16 v3, v2 offset:2176
	v_mov_b32_e32 v4, 0
	s_waitcnt lgkmcnt(0)
	global_store_short v4, v3, s[6:7]
.LBB5476_128:
	s_andn2_saveexec_b64 s[18:19], s[18:19]
	s_cbranch_execz .LBB5476_130
; %bb.129:
	s_waitcnt lgkmcnt(0)
	ds_read_u16 v3, v2 offset:2048
	v_mov_b32_e32 v4, 0
	s_waitcnt lgkmcnt(0)
	global_store_short v4, v3, s[6:7]
.LBB5476_130:
	s_or_b64 exec, exec, s[18:19]
.LBB5476_131:
	s_or_saveexec_b64 s[14:15], s[14:15]
	s_mov_b64 s[18:19], s[4:5]
                                        ; implicit-def: $vgpr3
	s_xor_b64 exec, exec, s[14:15]
	s_cbranch_execz .LBB5476_133
; %bb.132:
	s_waitcnt lgkmcnt(0)
	ds_read_u16 v3, v2 offset:1920
	s_or_b64 s[18:19], s[4:5], exec
.LBB5476_133:
	s_or_b64 exec, exec, s[14:15]
	s_andn2_b64 s[14:15], s[4:5], exec
	s_and_b64 s[18:19], s[18:19], exec
	s_or_b64 s[14:15], s[14:15], s[18:19]
.LBB5476_134:
	s_or_saveexec_b64 s[16:17], s[16:17]
	s_mov_b64 s[18:19], s[8:9]
                                        ; implicit-def: $vgpr4
	s_xor_b64 exec, exec, s[16:17]
	s_cbranch_execz .LBB5476_144
; %bb.135:
	v_cmp_lt_i64_e32 vcc, 12, v[0:1]
	s_mov_b64 s[20:21], s[8:9]
	s_mov_b64 s[22:23], s[14:15]
                                        ; implicit-def: $vgpr3
                                        ; implicit-def: $vgpr4
	s_and_saveexec_b64 s[18:19], vcc
	s_xor_b64 s[18:19], exec, s[18:19]
	s_cbranch_execz .LBB5476_141
; %bb.136:
	v_cmp_lt_i64_e32 vcc, 13, v[0:1]
	s_mov_b64 s[20:21], s[14:15]
                                        ; implicit-def: $vgpr3
	s_and_saveexec_b64 s[22:23], vcc
	s_xor_b64 s[22:23], exec, s[22:23]
	s_cbranch_execz .LBB5476_138
; %bb.137:
	s_waitcnt lgkmcnt(0)
	ds_read_u16 v3, v2 offset:1792
	s_or_b64 s[20:21], s[14:15], exec
.LBB5476_138:
	s_or_saveexec_b64 s[22:23], s[22:23]
	s_mov_b64 s[24:25], s[8:9]
                                        ; implicit-def: $vgpr4
	s_xor_b64 exec, exec, s[22:23]
	s_cbranch_execz .LBB5476_140
; %bb.139:
	s_waitcnt lgkmcnt(0)
	ds_read_u16 v4, v2 offset:1664
	s_or_b64 s[24:25], s[8:9], exec
                                        ; implicit-def: $vgpr3
.LBB5476_140:
	s_or_b64 exec, exec, s[22:23]
	s_andn2_b64 s[22:23], s[14:15], exec
	s_and_b64 s[20:21], s[20:21], exec
	s_or_b64 s[22:23], s[22:23], s[20:21]
	s_andn2_b64 s[20:21], s[8:9], exec
	s_and_b64 s[24:25], s[24:25], exec
	s_or_b64 s[20:21], s[20:21], s[24:25]
.LBB5476_141:
	s_andn2_saveexec_b64 s[18:19], s[18:19]
	s_cbranch_execz .LBB5476_143
; %bb.142:
	s_waitcnt lgkmcnt(0)
	ds_read_u16 v4, v2 offset:1536
	s_or_b64 s[20:21], s[20:21], exec
                                        ; implicit-def: $vgpr3
.LBB5476_143:
	s_or_b64 exec, exec, s[18:19]
	s_andn2_b64 s[14:15], s[14:15], exec
	s_and_b64 s[18:19], s[22:23], exec
	s_or_b64 s[14:15], s[14:15], s[18:19]
	s_andn2_b64 s[18:19], s[8:9], exec
	s_and_b64 s[20:21], s[20:21], exec
	s_or_b64 s[18:19], s[18:19], s[20:21]
.LBB5476_144:
	s_or_b64 exec, exec, s[16:17]
	s_andn2_b64 s[4:5], s[4:5], exec
	s_and_b64 s[14:15], s[14:15], exec
	s_or_b64 s[4:5], s[4:5], s[14:15]
	s_andn2_b64 s[8:9], s[8:9], exec
	s_and_b64 s[14:15], s[18:19], exec
	s_or_b64 s[8:9], s[8:9], s[14:15]
                                        ; implicit-def: $vgpr5
.LBB5476_145:
	s_or_b64 exec, exec, s[12:13]
	s_and_b64 s[4:5], s[4:5], exec
	s_and_b64 s[8:9], s[8:9], exec
	;; [unrolled: 1-line block ×3, first 2 shown]
	s_andn2_saveexec_b64 s[2:3], s[2:3]
	s_cbranch_execz .LBB5476_96
.LBB5476_146:
	v_cmp_lt_i64_e32 vcc, 5, v[0:1]
	s_mov_b64 s[14:15], -1
	s_mov_b64 s[12:13], s[10:11]
	s_mov_b64 s[16:17], s[8:9]
	;; [unrolled: 1-line block ×3, first 2 shown]
                                        ; implicit-def: $vgpr3
                                        ; implicit-def: $vgpr4
                                        ; implicit-def: $vgpr5
	s_and_saveexec_b64 s[0:1], vcc
	s_cbranch_execz .LBB5476_162
; %bb.147:
	v_cmp_lt_i64_e32 vcc, 8, v[0:1]
	s_mov_b64 s[12:13], s[10:11]
                                        ; implicit-def: $vgpr5
	s_and_saveexec_b64 s[14:15], vcc
	s_xor_b64 s[14:15], exec, s[14:15]
	s_cbranch_execz .LBB5476_157
; %bb.148:
	v_cmp_lt_i64_e32 vcc, 9, v[0:1]
                                        ; implicit-def: $vgpr5
	s_and_saveexec_b64 s[12:13], vcc
	s_xor_b64 s[12:13], exec, s[12:13]
	s_cbranch_execz .LBB5476_154
; %bb.149:
	v_cmp_lt_i64_e32 vcc, 10, v[0:1]
                                        ; implicit-def: $vgpr5
	s_and_saveexec_b64 s[16:17], vcc
	s_xor_b64 s[16:17], exec, s[16:17]
	s_cbranch_execz .LBB5476_151
; %bb.150:
	s_waitcnt lgkmcnt(0)
	ds_read_u16 v5, v2 offset:1408
.LBB5476_151:
	s_andn2_saveexec_b64 s[16:17], s[16:17]
	s_cbranch_execz .LBB5476_153
; %bb.152:
	s_waitcnt lgkmcnt(0)
	ds_read_u16 v5, v2 offset:1280
.LBB5476_153:
	s_or_b64 exec, exec, s[16:17]
.LBB5476_154:
	s_andn2_saveexec_b64 s[12:13], s[12:13]
	s_cbranch_execz .LBB5476_156
; %bb.155:
	s_waitcnt lgkmcnt(0)
	ds_read_u16 v5, v2 offset:1152
.LBB5476_156:
	s_or_b64 exec, exec, s[12:13]
	s_or_b64 s[12:13], s[10:11], exec
.LBB5476_157:
	s_or_saveexec_b64 s[14:15], s[14:15]
	s_mov_b64 s[16:17], s[8:9]
	s_mov_b64 s[20:21], s[4:5]
                                        ; implicit-def: $vgpr3
                                        ; implicit-def: $vgpr4
	s_xor_b64 exec, exec, s[14:15]
	s_cbranch_execz .LBB5476_161
; %bb.158:
	s_waitcnt lgkmcnt(0)
	ds_read_u16 v3, v2 offset:768
	v_cmp_lt_i64_e32 vcc, 6, v[0:1]
	s_mov_b64 s[20:21], -1
	s_mov_b64 s[18:19], s[12:13]
	s_mov_b64 s[16:17], s[8:9]
                                        ; implicit-def: $vgpr4
                                        ; implicit-def: $vgpr5
	s_and_saveexec_b64 s[22:23], vcc
	s_cbranch_execz .LBB5476_160
; %bb.159:
	ds_read_u16 v4, v2 offset:896
	ds_read_u16 v5, v2 offset:1024
	v_cmp_lt_i64_e32 vcc, 7, v[0:1]
	s_andn2_b64 s[18:19], s[12:13], exec
	s_and_b64 s[24:25], vcc, exec
	s_xor_b64 s[20:21], exec, -1
	s_or_b64 s[16:17], s[8:9], exec
	s_or_b64 s[18:19], s[18:19], s[24:25]
                                        ; implicit-def: $vgpr3
.LBB5476_160:
	s_or_b64 exec, exec, s[22:23]
	s_andn2_b64 s[22:23], s[4:5], exec
	s_and_b64 s[20:21], s[20:21], exec
	s_or_b64 s[20:21], s[22:23], s[20:21]
	s_andn2_b64 s[22:23], s[8:9], exec
	s_and_b64 s[16:17], s[16:17], exec
	s_andn2_b64 s[12:13], s[12:13], exec
	s_and_b64 s[18:19], s[18:19], exec
	s_or_b64 s[16:17], s[22:23], s[16:17]
	s_or_b64 s[12:13], s[12:13], s[18:19]
.LBB5476_161:
	s_or_b64 exec, exec, s[14:15]
	s_andn2_b64 s[18:19], s[4:5], exec
	s_and_b64 s[20:21], s[20:21], exec
	s_or_b64 s[18:19], s[18:19], s[20:21]
	s_andn2_b64 s[20:21], s[8:9], exec
	s_and_b64 s[16:17], s[16:17], exec
	s_or_b64 s[16:17], s[20:21], s[16:17]
	s_andn2_b64 s[20:21], s[10:11], exec
	s_and_b64 s[12:13], s[12:13], exec
	s_xor_b64 s[14:15], exec, -1
	s_or_b64 s[12:13], s[20:21], s[12:13]
.LBB5476_162:
	s_or_b64 exec, exec, s[0:1]
	s_and_b64 s[0:1], s[14:15], exec
	s_andn2_b64 s[4:5], s[4:5], exec
	s_and_b64 s[14:15], s[18:19], exec
	s_or_b64 s[4:5], s[4:5], s[14:15]
	s_andn2_b64 s[8:9], s[8:9], exec
	s_and_b64 s[14:15], s[16:17], exec
	s_andn2_b64 s[10:11], s[10:11], exec
	s_and_b64 s[12:13], s[12:13], exec
	s_or_b64 s[8:9], s[8:9], s[14:15]
	s_or_b64 s[10:11], s[10:11], s[12:13]
	s_or_b64 exec, exec, s[2:3]
	s_and_saveexec_b64 s[2:3], s[10:11]
	s_cbranch_execz .LBB5476_97
.LBB5476_163:
	s_waitcnt lgkmcnt(0)
	v_mov_b32_e32 v3, 0
	s_andn2_b64 s[8:9], s[8:9], exec
	global_store_short v3, v5, s[6:7]
                                        ; implicit-def: $vgpr3
                                        ; implicit-def: $vgpr4
	s_or_b64 exec, exec, s[2:3]
	s_and_saveexec_b64 s[2:3], s[8:9]
	s_cbranch_execz .LBB5476_98
.LBB5476_164:
	s_waitcnt lgkmcnt(0)
	v_mov_b32_e32 v3, 0
	global_store_short v3, v4, s[6:7]
                                        ; implicit-def: $vgpr3
	s_or_b64 exec, exec, s[2:3]
	s_and_saveexec_b64 s[2:3], s[4:5]
	s_xor_b64 s[2:3], exec, s[2:3]
	s_cbranch_execz .LBB5476_99
.LBB5476_165:
	s_waitcnt lgkmcnt(0)
	v_mov_b32_e32 v4, 0
	global_store_short v4, v3, s[6:7]
	s_or_b64 exec, exec, s[2:3]
	s_and_b64 exec, exec, s[0:1]
	s_cbranch_execz .LBB5476_100
.LBB5476_166:
	v_cmp_lt_i64_e32 vcc, 2, v[0:1]
	s_and_saveexec_b64 s[0:1], vcc
	s_xor_b64 s[0:1], exec, s[0:1]
	s_cbranch_execz .LBB5476_176
; %bb.167:
	v_cmp_lt_i64_e32 vcc, 3, v[0:1]
	s_and_saveexec_b64 s[2:3], vcc
	s_xor_b64 s[2:3], exec, s[2:3]
	s_cbranch_execz .LBB5476_173
; %bb.168:
	;; [unrolled: 5-line block ×3, first 2 shown]
	ds_read_u16 v0, v2 offset:640
	v_mov_b32_e32 v1, 0
                                        ; implicit-def: $vgpr2
	s_waitcnt lgkmcnt(0)
	global_store_short v1, v0, s[6:7]
.LBB5476_170:
	s_andn2_saveexec_b64 s[4:5], s[4:5]
	s_cbranch_execz .LBB5476_172
; %bb.171:
	ds_read_u16 v0, v2 offset:512
	v_mov_b32_e32 v1, 0
	s_waitcnt lgkmcnt(0)
	global_store_short v1, v0, s[6:7]
.LBB5476_172:
	s_or_b64 exec, exec, s[4:5]
                                        ; implicit-def: $vgpr2
.LBB5476_173:
	s_andn2_saveexec_b64 s[2:3], s[2:3]
	s_cbranch_execz .LBB5476_175
; %bb.174:
	ds_read_u16 v0, v2 offset:384
	v_mov_b32_e32 v1, 0
	s_waitcnt lgkmcnt(0)
	global_store_short v1, v0, s[6:7]
.LBB5476_175:
	s_or_b64 exec, exec, s[2:3]
                                        ; implicit-def: $vgpr0_vgpr1
                                        ; implicit-def: $vgpr2
.LBB5476_176:
	s_andn2_saveexec_b64 s[0:1], s[0:1]
	s_cbranch_execz .LBB5476_100
; %bb.177:
	v_cmp_lt_i64_e32 vcc, 1, v[0:1]
	s_and_saveexec_b64 s[0:1], vcc
	s_xor_b64 s[0:1], exec, s[0:1]
	s_cbranch_execz .LBB5476_179
; %bb.178:
	ds_read_u16 v0, v2 offset:256
	v_mov_b32_e32 v1, 0
                                        ; implicit-def: $vgpr2
	s_waitcnt lgkmcnt(0)
	global_store_short v1, v0, s[6:7]
                                        ; implicit-def: $vgpr0_vgpr1
.LBB5476_179:
	s_andn2_saveexec_b64 s[0:1], s[0:1]
	s_cbranch_execz .LBB5476_100
; %bb.180:
	v_cmp_ne_u64_e32 vcc, 1, v[0:1]
	s_and_saveexec_b64 s[0:1], vcc
	s_xor_b64 s[0:1], exec, s[0:1]
	s_cbranch_execz .LBB5476_182
; %bb.181:
	ds_read_u16 v0, v2
	v_mov_b32_e32 v1, 0
                                        ; implicit-def: $vgpr2
	s_waitcnt lgkmcnt(0)
	global_store_short v1, v0, s[6:7]
.LBB5476_182:
	s_andn2_saveexec_b64 s[0:1], s[0:1]
	s_cbranch_execz .LBB5476_100
; %bb.183:
	ds_read_u16 v0, v2 offset:128
	v_mov_b32_e32 v1, 0
	s_waitcnt lgkmcnt(0)
	global_store_short v1, v0, s[6:7]
	s_endpgm
	.section	.rodata,"a",@progbits
	.p2align	6, 0x0
	.amdhsa_kernel _ZN7rocprim17ROCPRIM_400000_NS6detail17trampoline_kernelINS0_14default_configENS1_20scan_config_selectorItEEZZNS1_9scan_implILNS1_25lookback_scan_determinismE0ELb0ELb0ES3_N6thrust23THRUST_200600_302600_NS6detail15normal_iteratorINS9_10device_ptrItEEEENS9_16discard_iteratorINS9_11use_defaultEEEtNS9_4plusIvEEtEEDaPvRmT3_T4_T5_mT6_P12ihipStream_tbENKUlT_T0_E_clISt17integral_constantIbLb1EESW_IbLb0EEEEDaSS_ST_EUlSS_E_NS1_11comp_targetILNS1_3genE4ELNS1_11target_archE910ELNS1_3gpuE8ELNS1_3repE0EEENS1_30default_config_static_selectorELNS0_4arch9wavefront6targetE1EEEvT1_
		.amdhsa_group_segment_fixed_size 3072
		.amdhsa_private_segment_fixed_size 0
		.amdhsa_kernarg_size 104
		.amdhsa_user_sgpr_count 6
		.amdhsa_user_sgpr_private_segment_buffer 1
		.amdhsa_user_sgpr_dispatch_ptr 0
		.amdhsa_user_sgpr_queue_ptr 0
		.amdhsa_user_sgpr_kernarg_segment_ptr 1
		.amdhsa_user_sgpr_dispatch_id 0
		.amdhsa_user_sgpr_flat_scratch_init 0
		.amdhsa_user_sgpr_kernarg_preload_length 0
		.amdhsa_user_sgpr_kernarg_preload_offset 0
		.amdhsa_user_sgpr_private_segment_size 0
		.amdhsa_uses_dynamic_stack 0
		.amdhsa_system_sgpr_private_segment_wavefront_offset 0
		.amdhsa_system_sgpr_workgroup_id_x 1
		.amdhsa_system_sgpr_workgroup_id_y 0
		.amdhsa_system_sgpr_workgroup_id_z 0
		.amdhsa_system_sgpr_workgroup_info 0
		.amdhsa_system_vgpr_workitem_id 0
		.amdhsa_next_free_vgpr 43
		.amdhsa_next_free_sgpr 26
		.amdhsa_accum_offset 44
		.amdhsa_reserve_vcc 1
		.amdhsa_reserve_flat_scratch 0
		.amdhsa_float_round_mode_32 0
		.amdhsa_float_round_mode_16_64 0
		.amdhsa_float_denorm_mode_32 3
		.amdhsa_float_denorm_mode_16_64 3
		.amdhsa_dx10_clamp 1
		.amdhsa_ieee_mode 1
		.amdhsa_fp16_overflow 0
		.amdhsa_tg_split 0
		.amdhsa_exception_fp_ieee_invalid_op 0
		.amdhsa_exception_fp_denorm_src 0
		.amdhsa_exception_fp_ieee_div_zero 0
		.amdhsa_exception_fp_ieee_overflow 0
		.amdhsa_exception_fp_ieee_underflow 0
		.amdhsa_exception_fp_ieee_inexact 0
		.amdhsa_exception_int_div_zero 0
	.end_amdhsa_kernel
	.section	.text._ZN7rocprim17ROCPRIM_400000_NS6detail17trampoline_kernelINS0_14default_configENS1_20scan_config_selectorItEEZZNS1_9scan_implILNS1_25lookback_scan_determinismE0ELb0ELb0ES3_N6thrust23THRUST_200600_302600_NS6detail15normal_iteratorINS9_10device_ptrItEEEENS9_16discard_iteratorINS9_11use_defaultEEEtNS9_4plusIvEEtEEDaPvRmT3_T4_T5_mT6_P12ihipStream_tbENKUlT_T0_E_clISt17integral_constantIbLb1EESW_IbLb0EEEEDaSS_ST_EUlSS_E_NS1_11comp_targetILNS1_3genE4ELNS1_11target_archE910ELNS1_3gpuE8ELNS1_3repE0EEENS1_30default_config_static_selectorELNS0_4arch9wavefront6targetE1EEEvT1_,"axG",@progbits,_ZN7rocprim17ROCPRIM_400000_NS6detail17trampoline_kernelINS0_14default_configENS1_20scan_config_selectorItEEZZNS1_9scan_implILNS1_25lookback_scan_determinismE0ELb0ELb0ES3_N6thrust23THRUST_200600_302600_NS6detail15normal_iteratorINS9_10device_ptrItEEEENS9_16discard_iteratorINS9_11use_defaultEEEtNS9_4plusIvEEtEEDaPvRmT3_T4_T5_mT6_P12ihipStream_tbENKUlT_T0_E_clISt17integral_constantIbLb1EESW_IbLb0EEEEDaSS_ST_EUlSS_E_NS1_11comp_targetILNS1_3genE4ELNS1_11target_archE910ELNS1_3gpuE8ELNS1_3repE0EEENS1_30default_config_static_selectorELNS0_4arch9wavefront6targetE1EEEvT1_,comdat
.Lfunc_end5476:
	.size	_ZN7rocprim17ROCPRIM_400000_NS6detail17trampoline_kernelINS0_14default_configENS1_20scan_config_selectorItEEZZNS1_9scan_implILNS1_25lookback_scan_determinismE0ELb0ELb0ES3_N6thrust23THRUST_200600_302600_NS6detail15normal_iteratorINS9_10device_ptrItEEEENS9_16discard_iteratorINS9_11use_defaultEEEtNS9_4plusIvEEtEEDaPvRmT3_T4_T5_mT6_P12ihipStream_tbENKUlT_T0_E_clISt17integral_constantIbLb1EESW_IbLb0EEEEDaSS_ST_EUlSS_E_NS1_11comp_targetILNS1_3genE4ELNS1_11target_archE910ELNS1_3gpuE8ELNS1_3repE0EEENS1_30default_config_static_selectorELNS0_4arch9wavefront6targetE1EEEvT1_, .Lfunc_end5476-_ZN7rocprim17ROCPRIM_400000_NS6detail17trampoline_kernelINS0_14default_configENS1_20scan_config_selectorItEEZZNS1_9scan_implILNS1_25lookback_scan_determinismE0ELb0ELb0ES3_N6thrust23THRUST_200600_302600_NS6detail15normal_iteratorINS9_10device_ptrItEEEENS9_16discard_iteratorINS9_11use_defaultEEEtNS9_4plusIvEEtEEDaPvRmT3_T4_T5_mT6_P12ihipStream_tbENKUlT_T0_E_clISt17integral_constantIbLb1EESW_IbLb0EEEEDaSS_ST_EUlSS_E_NS1_11comp_targetILNS1_3genE4ELNS1_11target_archE910ELNS1_3gpuE8ELNS1_3repE0EEENS1_30default_config_static_selectorELNS0_4arch9wavefront6targetE1EEEvT1_
                                        ; -- End function
	.section	.AMDGPU.csdata,"",@progbits
; Kernel info:
; codeLenInByte = 6652
; NumSgprs: 30
; NumVgprs: 43
; NumAgprs: 0
; TotalNumVgprs: 43
; ScratchSize: 0
; MemoryBound: 0
; FloatMode: 240
; IeeeMode: 1
; LDSByteSize: 3072 bytes/workgroup (compile time only)
; SGPRBlocks: 3
; VGPRBlocks: 5
; NumSGPRsForWavesPerEU: 30
; NumVGPRsForWavesPerEU: 43
; AccumOffset: 44
; Occupancy: 6
; WaveLimiterHint : 1
; COMPUTE_PGM_RSRC2:SCRATCH_EN: 0
; COMPUTE_PGM_RSRC2:USER_SGPR: 6
; COMPUTE_PGM_RSRC2:TRAP_HANDLER: 0
; COMPUTE_PGM_RSRC2:TGID_X_EN: 1
; COMPUTE_PGM_RSRC2:TGID_Y_EN: 0
; COMPUTE_PGM_RSRC2:TGID_Z_EN: 0
; COMPUTE_PGM_RSRC2:TIDIG_COMP_CNT: 0
; COMPUTE_PGM_RSRC3_GFX90A:ACCUM_OFFSET: 10
; COMPUTE_PGM_RSRC3_GFX90A:TG_SPLIT: 0
	.section	.text._ZN7rocprim17ROCPRIM_400000_NS6detail17trampoline_kernelINS0_14default_configENS1_20scan_config_selectorItEEZZNS1_9scan_implILNS1_25lookback_scan_determinismE0ELb0ELb0ES3_N6thrust23THRUST_200600_302600_NS6detail15normal_iteratorINS9_10device_ptrItEEEENS9_16discard_iteratorINS9_11use_defaultEEEtNS9_4plusIvEEtEEDaPvRmT3_T4_T5_mT6_P12ihipStream_tbENKUlT_T0_E_clISt17integral_constantIbLb1EESW_IbLb0EEEEDaSS_ST_EUlSS_E_NS1_11comp_targetILNS1_3genE3ELNS1_11target_archE908ELNS1_3gpuE7ELNS1_3repE0EEENS1_30default_config_static_selectorELNS0_4arch9wavefront6targetE1EEEvT1_,"axG",@progbits,_ZN7rocprim17ROCPRIM_400000_NS6detail17trampoline_kernelINS0_14default_configENS1_20scan_config_selectorItEEZZNS1_9scan_implILNS1_25lookback_scan_determinismE0ELb0ELb0ES3_N6thrust23THRUST_200600_302600_NS6detail15normal_iteratorINS9_10device_ptrItEEEENS9_16discard_iteratorINS9_11use_defaultEEEtNS9_4plusIvEEtEEDaPvRmT3_T4_T5_mT6_P12ihipStream_tbENKUlT_T0_E_clISt17integral_constantIbLb1EESW_IbLb0EEEEDaSS_ST_EUlSS_E_NS1_11comp_targetILNS1_3genE3ELNS1_11target_archE908ELNS1_3gpuE7ELNS1_3repE0EEENS1_30default_config_static_selectorELNS0_4arch9wavefront6targetE1EEEvT1_,comdat
	.protected	_ZN7rocprim17ROCPRIM_400000_NS6detail17trampoline_kernelINS0_14default_configENS1_20scan_config_selectorItEEZZNS1_9scan_implILNS1_25lookback_scan_determinismE0ELb0ELb0ES3_N6thrust23THRUST_200600_302600_NS6detail15normal_iteratorINS9_10device_ptrItEEEENS9_16discard_iteratorINS9_11use_defaultEEEtNS9_4plusIvEEtEEDaPvRmT3_T4_T5_mT6_P12ihipStream_tbENKUlT_T0_E_clISt17integral_constantIbLb1EESW_IbLb0EEEEDaSS_ST_EUlSS_E_NS1_11comp_targetILNS1_3genE3ELNS1_11target_archE908ELNS1_3gpuE7ELNS1_3repE0EEENS1_30default_config_static_selectorELNS0_4arch9wavefront6targetE1EEEvT1_ ; -- Begin function _ZN7rocprim17ROCPRIM_400000_NS6detail17trampoline_kernelINS0_14default_configENS1_20scan_config_selectorItEEZZNS1_9scan_implILNS1_25lookback_scan_determinismE0ELb0ELb0ES3_N6thrust23THRUST_200600_302600_NS6detail15normal_iteratorINS9_10device_ptrItEEEENS9_16discard_iteratorINS9_11use_defaultEEEtNS9_4plusIvEEtEEDaPvRmT3_T4_T5_mT6_P12ihipStream_tbENKUlT_T0_E_clISt17integral_constantIbLb1EESW_IbLb0EEEEDaSS_ST_EUlSS_E_NS1_11comp_targetILNS1_3genE3ELNS1_11target_archE908ELNS1_3gpuE7ELNS1_3repE0EEENS1_30default_config_static_selectorELNS0_4arch9wavefront6targetE1EEEvT1_
	.globl	_ZN7rocprim17ROCPRIM_400000_NS6detail17trampoline_kernelINS0_14default_configENS1_20scan_config_selectorItEEZZNS1_9scan_implILNS1_25lookback_scan_determinismE0ELb0ELb0ES3_N6thrust23THRUST_200600_302600_NS6detail15normal_iteratorINS9_10device_ptrItEEEENS9_16discard_iteratorINS9_11use_defaultEEEtNS9_4plusIvEEtEEDaPvRmT3_T4_T5_mT6_P12ihipStream_tbENKUlT_T0_E_clISt17integral_constantIbLb1EESW_IbLb0EEEEDaSS_ST_EUlSS_E_NS1_11comp_targetILNS1_3genE3ELNS1_11target_archE908ELNS1_3gpuE7ELNS1_3repE0EEENS1_30default_config_static_selectorELNS0_4arch9wavefront6targetE1EEEvT1_
	.p2align	8
	.type	_ZN7rocprim17ROCPRIM_400000_NS6detail17trampoline_kernelINS0_14default_configENS1_20scan_config_selectorItEEZZNS1_9scan_implILNS1_25lookback_scan_determinismE0ELb0ELb0ES3_N6thrust23THRUST_200600_302600_NS6detail15normal_iteratorINS9_10device_ptrItEEEENS9_16discard_iteratorINS9_11use_defaultEEEtNS9_4plusIvEEtEEDaPvRmT3_T4_T5_mT6_P12ihipStream_tbENKUlT_T0_E_clISt17integral_constantIbLb1EESW_IbLb0EEEEDaSS_ST_EUlSS_E_NS1_11comp_targetILNS1_3genE3ELNS1_11target_archE908ELNS1_3gpuE7ELNS1_3repE0EEENS1_30default_config_static_selectorELNS0_4arch9wavefront6targetE1EEEvT1_,@function
_ZN7rocprim17ROCPRIM_400000_NS6detail17trampoline_kernelINS0_14default_configENS1_20scan_config_selectorItEEZZNS1_9scan_implILNS1_25lookback_scan_determinismE0ELb0ELb0ES3_N6thrust23THRUST_200600_302600_NS6detail15normal_iteratorINS9_10device_ptrItEEEENS9_16discard_iteratorINS9_11use_defaultEEEtNS9_4plusIvEEtEEDaPvRmT3_T4_T5_mT6_P12ihipStream_tbENKUlT_T0_E_clISt17integral_constantIbLb1EESW_IbLb0EEEEDaSS_ST_EUlSS_E_NS1_11comp_targetILNS1_3genE3ELNS1_11target_archE908ELNS1_3gpuE7ELNS1_3repE0EEENS1_30default_config_static_selectorELNS0_4arch9wavefront6targetE1EEEvT1_: ; @_ZN7rocprim17ROCPRIM_400000_NS6detail17trampoline_kernelINS0_14default_configENS1_20scan_config_selectorItEEZZNS1_9scan_implILNS1_25lookback_scan_determinismE0ELb0ELb0ES3_N6thrust23THRUST_200600_302600_NS6detail15normal_iteratorINS9_10device_ptrItEEEENS9_16discard_iteratorINS9_11use_defaultEEEtNS9_4plusIvEEtEEDaPvRmT3_T4_T5_mT6_P12ihipStream_tbENKUlT_T0_E_clISt17integral_constantIbLb1EESW_IbLb0EEEEDaSS_ST_EUlSS_E_NS1_11comp_targetILNS1_3genE3ELNS1_11target_archE908ELNS1_3gpuE7ELNS1_3repE0EEENS1_30default_config_static_selectorELNS0_4arch9wavefront6targetE1EEEvT1_
; %bb.0:
	.section	.rodata,"a",@progbits
	.p2align	6, 0x0
	.amdhsa_kernel _ZN7rocprim17ROCPRIM_400000_NS6detail17trampoline_kernelINS0_14default_configENS1_20scan_config_selectorItEEZZNS1_9scan_implILNS1_25lookback_scan_determinismE0ELb0ELb0ES3_N6thrust23THRUST_200600_302600_NS6detail15normal_iteratorINS9_10device_ptrItEEEENS9_16discard_iteratorINS9_11use_defaultEEEtNS9_4plusIvEEtEEDaPvRmT3_T4_T5_mT6_P12ihipStream_tbENKUlT_T0_E_clISt17integral_constantIbLb1EESW_IbLb0EEEEDaSS_ST_EUlSS_E_NS1_11comp_targetILNS1_3genE3ELNS1_11target_archE908ELNS1_3gpuE7ELNS1_3repE0EEENS1_30default_config_static_selectorELNS0_4arch9wavefront6targetE1EEEvT1_
		.amdhsa_group_segment_fixed_size 0
		.amdhsa_private_segment_fixed_size 0
		.amdhsa_kernarg_size 104
		.amdhsa_user_sgpr_count 6
		.amdhsa_user_sgpr_private_segment_buffer 1
		.amdhsa_user_sgpr_dispatch_ptr 0
		.amdhsa_user_sgpr_queue_ptr 0
		.amdhsa_user_sgpr_kernarg_segment_ptr 1
		.amdhsa_user_sgpr_dispatch_id 0
		.amdhsa_user_sgpr_flat_scratch_init 0
		.amdhsa_user_sgpr_kernarg_preload_length 0
		.amdhsa_user_sgpr_kernarg_preload_offset 0
		.amdhsa_user_sgpr_private_segment_size 0
		.amdhsa_uses_dynamic_stack 0
		.amdhsa_system_sgpr_private_segment_wavefront_offset 0
		.amdhsa_system_sgpr_workgroup_id_x 1
		.amdhsa_system_sgpr_workgroup_id_y 0
		.amdhsa_system_sgpr_workgroup_id_z 0
		.amdhsa_system_sgpr_workgroup_info 0
		.amdhsa_system_vgpr_workitem_id 0
		.amdhsa_next_free_vgpr 1
		.amdhsa_next_free_sgpr 0
		.amdhsa_accum_offset 4
		.amdhsa_reserve_vcc 0
		.amdhsa_reserve_flat_scratch 0
		.amdhsa_float_round_mode_32 0
		.amdhsa_float_round_mode_16_64 0
		.amdhsa_float_denorm_mode_32 3
		.amdhsa_float_denorm_mode_16_64 3
		.amdhsa_dx10_clamp 1
		.amdhsa_ieee_mode 1
		.amdhsa_fp16_overflow 0
		.amdhsa_tg_split 0
		.amdhsa_exception_fp_ieee_invalid_op 0
		.amdhsa_exception_fp_denorm_src 0
		.amdhsa_exception_fp_ieee_div_zero 0
		.amdhsa_exception_fp_ieee_overflow 0
		.amdhsa_exception_fp_ieee_underflow 0
		.amdhsa_exception_fp_ieee_inexact 0
		.amdhsa_exception_int_div_zero 0
	.end_amdhsa_kernel
	.section	.text._ZN7rocprim17ROCPRIM_400000_NS6detail17trampoline_kernelINS0_14default_configENS1_20scan_config_selectorItEEZZNS1_9scan_implILNS1_25lookback_scan_determinismE0ELb0ELb0ES3_N6thrust23THRUST_200600_302600_NS6detail15normal_iteratorINS9_10device_ptrItEEEENS9_16discard_iteratorINS9_11use_defaultEEEtNS9_4plusIvEEtEEDaPvRmT3_T4_T5_mT6_P12ihipStream_tbENKUlT_T0_E_clISt17integral_constantIbLb1EESW_IbLb0EEEEDaSS_ST_EUlSS_E_NS1_11comp_targetILNS1_3genE3ELNS1_11target_archE908ELNS1_3gpuE7ELNS1_3repE0EEENS1_30default_config_static_selectorELNS0_4arch9wavefront6targetE1EEEvT1_,"axG",@progbits,_ZN7rocprim17ROCPRIM_400000_NS6detail17trampoline_kernelINS0_14default_configENS1_20scan_config_selectorItEEZZNS1_9scan_implILNS1_25lookback_scan_determinismE0ELb0ELb0ES3_N6thrust23THRUST_200600_302600_NS6detail15normal_iteratorINS9_10device_ptrItEEEENS9_16discard_iteratorINS9_11use_defaultEEEtNS9_4plusIvEEtEEDaPvRmT3_T4_T5_mT6_P12ihipStream_tbENKUlT_T0_E_clISt17integral_constantIbLb1EESW_IbLb0EEEEDaSS_ST_EUlSS_E_NS1_11comp_targetILNS1_3genE3ELNS1_11target_archE908ELNS1_3gpuE7ELNS1_3repE0EEENS1_30default_config_static_selectorELNS0_4arch9wavefront6targetE1EEEvT1_,comdat
.Lfunc_end5477:
	.size	_ZN7rocprim17ROCPRIM_400000_NS6detail17trampoline_kernelINS0_14default_configENS1_20scan_config_selectorItEEZZNS1_9scan_implILNS1_25lookback_scan_determinismE0ELb0ELb0ES3_N6thrust23THRUST_200600_302600_NS6detail15normal_iteratorINS9_10device_ptrItEEEENS9_16discard_iteratorINS9_11use_defaultEEEtNS9_4plusIvEEtEEDaPvRmT3_T4_T5_mT6_P12ihipStream_tbENKUlT_T0_E_clISt17integral_constantIbLb1EESW_IbLb0EEEEDaSS_ST_EUlSS_E_NS1_11comp_targetILNS1_3genE3ELNS1_11target_archE908ELNS1_3gpuE7ELNS1_3repE0EEENS1_30default_config_static_selectorELNS0_4arch9wavefront6targetE1EEEvT1_, .Lfunc_end5477-_ZN7rocprim17ROCPRIM_400000_NS6detail17trampoline_kernelINS0_14default_configENS1_20scan_config_selectorItEEZZNS1_9scan_implILNS1_25lookback_scan_determinismE0ELb0ELb0ES3_N6thrust23THRUST_200600_302600_NS6detail15normal_iteratorINS9_10device_ptrItEEEENS9_16discard_iteratorINS9_11use_defaultEEEtNS9_4plusIvEEtEEDaPvRmT3_T4_T5_mT6_P12ihipStream_tbENKUlT_T0_E_clISt17integral_constantIbLb1EESW_IbLb0EEEEDaSS_ST_EUlSS_E_NS1_11comp_targetILNS1_3genE3ELNS1_11target_archE908ELNS1_3gpuE7ELNS1_3repE0EEENS1_30default_config_static_selectorELNS0_4arch9wavefront6targetE1EEEvT1_
                                        ; -- End function
	.section	.AMDGPU.csdata,"",@progbits
; Kernel info:
; codeLenInByte = 0
; NumSgprs: 4
; NumVgprs: 0
; NumAgprs: 0
; TotalNumVgprs: 0
; ScratchSize: 0
; MemoryBound: 0
; FloatMode: 240
; IeeeMode: 1
; LDSByteSize: 0 bytes/workgroup (compile time only)
; SGPRBlocks: 0
; VGPRBlocks: 0
; NumSGPRsForWavesPerEU: 4
; NumVGPRsForWavesPerEU: 1
; AccumOffset: 4
; Occupancy: 8
; WaveLimiterHint : 0
; COMPUTE_PGM_RSRC2:SCRATCH_EN: 0
; COMPUTE_PGM_RSRC2:USER_SGPR: 6
; COMPUTE_PGM_RSRC2:TRAP_HANDLER: 0
; COMPUTE_PGM_RSRC2:TGID_X_EN: 1
; COMPUTE_PGM_RSRC2:TGID_Y_EN: 0
; COMPUTE_PGM_RSRC2:TGID_Z_EN: 0
; COMPUTE_PGM_RSRC2:TIDIG_COMP_CNT: 0
; COMPUTE_PGM_RSRC3_GFX90A:ACCUM_OFFSET: 0
; COMPUTE_PGM_RSRC3_GFX90A:TG_SPLIT: 0
	.section	.text._ZN7rocprim17ROCPRIM_400000_NS6detail17trampoline_kernelINS0_14default_configENS1_20scan_config_selectorItEEZZNS1_9scan_implILNS1_25lookback_scan_determinismE0ELb0ELb0ES3_N6thrust23THRUST_200600_302600_NS6detail15normal_iteratorINS9_10device_ptrItEEEENS9_16discard_iteratorINS9_11use_defaultEEEtNS9_4plusIvEEtEEDaPvRmT3_T4_T5_mT6_P12ihipStream_tbENKUlT_T0_E_clISt17integral_constantIbLb1EESW_IbLb0EEEEDaSS_ST_EUlSS_E_NS1_11comp_targetILNS1_3genE2ELNS1_11target_archE906ELNS1_3gpuE6ELNS1_3repE0EEENS1_30default_config_static_selectorELNS0_4arch9wavefront6targetE1EEEvT1_,"axG",@progbits,_ZN7rocprim17ROCPRIM_400000_NS6detail17trampoline_kernelINS0_14default_configENS1_20scan_config_selectorItEEZZNS1_9scan_implILNS1_25lookback_scan_determinismE0ELb0ELb0ES3_N6thrust23THRUST_200600_302600_NS6detail15normal_iteratorINS9_10device_ptrItEEEENS9_16discard_iteratorINS9_11use_defaultEEEtNS9_4plusIvEEtEEDaPvRmT3_T4_T5_mT6_P12ihipStream_tbENKUlT_T0_E_clISt17integral_constantIbLb1EESW_IbLb0EEEEDaSS_ST_EUlSS_E_NS1_11comp_targetILNS1_3genE2ELNS1_11target_archE906ELNS1_3gpuE6ELNS1_3repE0EEENS1_30default_config_static_selectorELNS0_4arch9wavefront6targetE1EEEvT1_,comdat
	.protected	_ZN7rocprim17ROCPRIM_400000_NS6detail17trampoline_kernelINS0_14default_configENS1_20scan_config_selectorItEEZZNS1_9scan_implILNS1_25lookback_scan_determinismE0ELb0ELb0ES3_N6thrust23THRUST_200600_302600_NS6detail15normal_iteratorINS9_10device_ptrItEEEENS9_16discard_iteratorINS9_11use_defaultEEEtNS9_4plusIvEEtEEDaPvRmT3_T4_T5_mT6_P12ihipStream_tbENKUlT_T0_E_clISt17integral_constantIbLb1EESW_IbLb0EEEEDaSS_ST_EUlSS_E_NS1_11comp_targetILNS1_3genE2ELNS1_11target_archE906ELNS1_3gpuE6ELNS1_3repE0EEENS1_30default_config_static_selectorELNS0_4arch9wavefront6targetE1EEEvT1_ ; -- Begin function _ZN7rocprim17ROCPRIM_400000_NS6detail17trampoline_kernelINS0_14default_configENS1_20scan_config_selectorItEEZZNS1_9scan_implILNS1_25lookback_scan_determinismE0ELb0ELb0ES3_N6thrust23THRUST_200600_302600_NS6detail15normal_iteratorINS9_10device_ptrItEEEENS9_16discard_iteratorINS9_11use_defaultEEEtNS9_4plusIvEEtEEDaPvRmT3_T4_T5_mT6_P12ihipStream_tbENKUlT_T0_E_clISt17integral_constantIbLb1EESW_IbLb0EEEEDaSS_ST_EUlSS_E_NS1_11comp_targetILNS1_3genE2ELNS1_11target_archE906ELNS1_3gpuE6ELNS1_3repE0EEENS1_30default_config_static_selectorELNS0_4arch9wavefront6targetE1EEEvT1_
	.globl	_ZN7rocprim17ROCPRIM_400000_NS6detail17trampoline_kernelINS0_14default_configENS1_20scan_config_selectorItEEZZNS1_9scan_implILNS1_25lookback_scan_determinismE0ELb0ELb0ES3_N6thrust23THRUST_200600_302600_NS6detail15normal_iteratorINS9_10device_ptrItEEEENS9_16discard_iteratorINS9_11use_defaultEEEtNS9_4plusIvEEtEEDaPvRmT3_T4_T5_mT6_P12ihipStream_tbENKUlT_T0_E_clISt17integral_constantIbLb1EESW_IbLb0EEEEDaSS_ST_EUlSS_E_NS1_11comp_targetILNS1_3genE2ELNS1_11target_archE906ELNS1_3gpuE6ELNS1_3repE0EEENS1_30default_config_static_selectorELNS0_4arch9wavefront6targetE1EEEvT1_
	.p2align	8
	.type	_ZN7rocprim17ROCPRIM_400000_NS6detail17trampoline_kernelINS0_14default_configENS1_20scan_config_selectorItEEZZNS1_9scan_implILNS1_25lookback_scan_determinismE0ELb0ELb0ES3_N6thrust23THRUST_200600_302600_NS6detail15normal_iteratorINS9_10device_ptrItEEEENS9_16discard_iteratorINS9_11use_defaultEEEtNS9_4plusIvEEtEEDaPvRmT3_T4_T5_mT6_P12ihipStream_tbENKUlT_T0_E_clISt17integral_constantIbLb1EESW_IbLb0EEEEDaSS_ST_EUlSS_E_NS1_11comp_targetILNS1_3genE2ELNS1_11target_archE906ELNS1_3gpuE6ELNS1_3repE0EEENS1_30default_config_static_selectorELNS0_4arch9wavefront6targetE1EEEvT1_,@function
_ZN7rocprim17ROCPRIM_400000_NS6detail17trampoline_kernelINS0_14default_configENS1_20scan_config_selectorItEEZZNS1_9scan_implILNS1_25lookback_scan_determinismE0ELb0ELb0ES3_N6thrust23THRUST_200600_302600_NS6detail15normal_iteratorINS9_10device_ptrItEEEENS9_16discard_iteratorINS9_11use_defaultEEEtNS9_4plusIvEEtEEDaPvRmT3_T4_T5_mT6_P12ihipStream_tbENKUlT_T0_E_clISt17integral_constantIbLb1EESW_IbLb0EEEEDaSS_ST_EUlSS_E_NS1_11comp_targetILNS1_3genE2ELNS1_11target_archE906ELNS1_3gpuE6ELNS1_3repE0EEENS1_30default_config_static_selectorELNS0_4arch9wavefront6targetE1EEEvT1_: ; @_ZN7rocprim17ROCPRIM_400000_NS6detail17trampoline_kernelINS0_14default_configENS1_20scan_config_selectorItEEZZNS1_9scan_implILNS1_25lookback_scan_determinismE0ELb0ELb0ES3_N6thrust23THRUST_200600_302600_NS6detail15normal_iteratorINS9_10device_ptrItEEEENS9_16discard_iteratorINS9_11use_defaultEEEtNS9_4plusIvEEtEEDaPvRmT3_T4_T5_mT6_P12ihipStream_tbENKUlT_T0_E_clISt17integral_constantIbLb1EESW_IbLb0EEEEDaSS_ST_EUlSS_E_NS1_11comp_targetILNS1_3genE2ELNS1_11target_archE906ELNS1_3gpuE6ELNS1_3repE0EEENS1_30default_config_static_selectorELNS0_4arch9wavefront6targetE1EEEvT1_
; %bb.0:
	.section	.rodata,"a",@progbits
	.p2align	6, 0x0
	.amdhsa_kernel _ZN7rocprim17ROCPRIM_400000_NS6detail17trampoline_kernelINS0_14default_configENS1_20scan_config_selectorItEEZZNS1_9scan_implILNS1_25lookback_scan_determinismE0ELb0ELb0ES3_N6thrust23THRUST_200600_302600_NS6detail15normal_iteratorINS9_10device_ptrItEEEENS9_16discard_iteratorINS9_11use_defaultEEEtNS9_4plusIvEEtEEDaPvRmT3_T4_T5_mT6_P12ihipStream_tbENKUlT_T0_E_clISt17integral_constantIbLb1EESW_IbLb0EEEEDaSS_ST_EUlSS_E_NS1_11comp_targetILNS1_3genE2ELNS1_11target_archE906ELNS1_3gpuE6ELNS1_3repE0EEENS1_30default_config_static_selectorELNS0_4arch9wavefront6targetE1EEEvT1_
		.amdhsa_group_segment_fixed_size 0
		.amdhsa_private_segment_fixed_size 0
		.amdhsa_kernarg_size 104
		.amdhsa_user_sgpr_count 6
		.amdhsa_user_sgpr_private_segment_buffer 1
		.amdhsa_user_sgpr_dispatch_ptr 0
		.amdhsa_user_sgpr_queue_ptr 0
		.amdhsa_user_sgpr_kernarg_segment_ptr 1
		.amdhsa_user_sgpr_dispatch_id 0
		.amdhsa_user_sgpr_flat_scratch_init 0
		.amdhsa_user_sgpr_kernarg_preload_length 0
		.amdhsa_user_sgpr_kernarg_preload_offset 0
		.amdhsa_user_sgpr_private_segment_size 0
		.amdhsa_uses_dynamic_stack 0
		.amdhsa_system_sgpr_private_segment_wavefront_offset 0
		.amdhsa_system_sgpr_workgroup_id_x 1
		.amdhsa_system_sgpr_workgroup_id_y 0
		.amdhsa_system_sgpr_workgroup_id_z 0
		.amdhsa_system_sgpr_workgroup_info 0
		.amdhsa_system_vgpr_workitem_id 0
		.amdhsa_next_free_vgpr 1
		.amdhsa_next_free_sgpr 0
		.amdhsa_accum_offset 4
		.amdhsa_reserve_vcc 0
		.amdhsa_reserve_flat_scratch 0
		.amdhsa_float_round_mode_32 0
		.amdhsa_float_round_mode_16_64 0
		.amdhsa_float_denorm_mode_32 3
		.amdhsa_float_denorm_mode_16_64 3
		.amdhsa_dx10_clamp 1
		.amdhsa_ieee_mode 1
		.amdhsa_fp16_overflow 0
		.amdhsa_tg_split 0
		.amdhsa_exception_fp_ieee_invalid_op 0
		.amdhsa_exception_fp_denorm_src 0
		.amdhsa_exception_fp_ieee_div_zero 0
		.amdhsa_exception_fp_ieee_overflow 0
		.amdhsa_exception_fp_ieee_underflow 0
		.amdhsa_exception_fp_ieee_inexact 0
		.amdhsa_exception_int_div_zero 0
	.end_amdhsa_kernel
	.section	.text._ZN7rocprim17ROCPRIM_400000_NS6detail17trampoline_kernelINS0_14default_configENS1_20scan_config_selectorItEEZZNS1_9scan_implILNS1_25lookback_scan_determinismE0ELb0ELb0ES3_N6thrust23THRUST_200600_302600_NS6detail15normal_iteratorINS9_10device_ptrItEEEENS9_16discard_iteratorINS9_11use_defaultEEEtNS9_4plusIvEEtEEDaPvRmT3_T4_T5_mT6_P12ihipStream_tbENKUlT_T0_E_clISt17integral_constantIbLb1EESW_IbLb0EEEEDaSS_ST_EUlSS_E_NS1_11comp_targetILNS1_3genE2ELNS1_11target_archE906ELNS1_3gpuE6ELNS1_3repE0EEENS1_30default_config_static_selectorELNS0_4arch9wavefront6targetE1EEEvT1_,"axG",@progbits,_ZN7rocprim17ROCPRIM_400000_NS6detail17trampoline_kernelINS0_14default_configENS1_20scan_config_selectorItEEZZNS1_9scan_implILNS1_25lookback_scan_determinismE0ELb0ELb0ES3_N6thrust23THRUST_200600_302600_NS6detail15normal_iteratorINS9_10device_ptrItEEEENS9_16discard_iteratorINS9_11use_defaultEEEtNS9_4plusIvEEtEEDaPvRmT3_T4_T5_mT6_P12ihipStream_tbENKUlT_T0_E_clISt17integral_constantIbLb1EESW_IbLb0EEEEDaSS_ST_EUlSS_E_NS1_11comp_targetILNS1_3genE2ELNS1_11target_archE906ELNS1_3gpuE6ELNS1_3repE0EEENS1_30default_config_static_selectorELNS0_4arch9wavefront6targetE1EEEvT1_,comdat
.Lfunc_end5478:
	.size	_ZN7rocprim17ROCPRIM_400000_NS6detail17trampoline_kernelINS0_14default_configENS1_20scan_config_selectorItEEZZNS1_9scan_implILNS1_25lookback_scan_determinismE0ELb0ELb0ES3_N6thrust23THRUST_200600_302600_NS6detail15normal_iteratorINS9_10device_ptrItEEEENS9_16discard_iteratorINS9_11use_defaultEEEtNS9_4plusIvEEtEEDaPvRmT3_T4_T5_mT6_P12ihipStream_tbENKUlT_T0_E_clISt17integral_constantIbLb1EESW_IbLb0EEEEDaSS_ST_EUlSS_E_NS1_11comp_targetILNS1_3genE2ELNS1_11target_archE906ELNS1_3gpuE6ELNS1_3repE0EEENS1_30default_config_static_selectorELNS0_4arch9wavefront6targetE1EEEvT1_, .Lfunc_end5478-_ZN7rocprim17ROCPRIM_400000_NS6detail17trampoline_kernelINS0_14default_configENS1_20scan_config_selectorItEEZZNS1_9scan_implILNS1_25lookback_scan_determinismE0ELb0ELb0ES3_N6thrust23THRUST_200600_302600_NS6detail15normal_iteratorINS9_10device_ptrItEEEENS9_16discard_iteratorINS9_11use_defaultEEEtNS9_4plusIvEEtEEDaPvRmT3_T4_T5_mT6_P12ihipStream_tbENKUlT_T0_E_clISt17integral_constantIbLb1EESW_IbLb0EEEEDaSS_ST_EUlSS_E_NS1_11comp_targetILNS1_3genE2ELNS1_11target_archE906ELNS1_3gpuE6ELNS1_3repE0EEENS1_30default_config_static_selectorELNS0_4arch9wavefront6targetE1EEEvT1_
                                        ; -- End function
	.section	.AMDGPU.csdata,"",@progbits
; Kernel info:
; codeLenInByte = 0
; NumSgprs: 4
; NumVgprs: 0
; NumAgprs: 0
; TotalNumVgprs: 0
; ScratchSize: 0
; MemoryBound: 0
; FloatMode: 240
; IeeeMode: 1
; LDSByteSize: 0 bytes/workgroup (compile time only)
; SGPRBlocks: 0
; VGPRBlocks: 0
; NumSGPRsForWavesPerEU: 4
; NumVGPRsForWavesPerEU: 1
; AccumOffset: 4
; Occupancy: 8
; WaveLimiterHint : 0
; COMPUTE_PGM_RSRC2:SCRATCH_EN: 0
; COMPUTE_PGM_RSRC2:USER_SGPR: 6
; COMPUTE_PGM_RSRC2:TRAP_HANDLER: 0
; COMPUTE_PGM_RSRC2:TGID_X_EN: 1
; COMPUTE_PGM_RSRC2:TGID_Y_EN: 0
; COMPUTE_PGM_RSRC2:TGID_Z_EN: 0
; COMPUTE_PGM_RSRC2:TIDIG_COMP_CNT: 0
; COMPUTE_PGM_RSRC3_GFX90A:ACCUM_OFFSET: 0
; COMPUTE_PGM_RSRC3_GFX90A:TG_SPLIT: 0
	.section	.text._ZN7rocprim17ROCPRIM_400000_NS6detail17trampoline_kernelINS0_14default_configENS1_20scan_config_selectorItEEZZNS1_9scan_implILNS1_25lookback_scan_determinismE0ELb0ELb0ES3_N6thrust23THRUST_200600_302600_NS6detail15normal_iteratorINS9_10device_ptrItEEEENS9_16discard_iteratorINS9_11use_defaultEEEtNS9_4plusIvEEtEEDaPvRmT3_T4_T5_mT6_P12ihipStream_tbENKUlT_T0_E_clISt17integral_constantIbLb1EESW_IbLb0EEEEDaSS_ST_EUlSS_E_NS1_11comp_targetILNS1_3genE10ELNS1_11target_archE1201ELNS1_3gpuE5ELNS1_3repE0EEENS1_30default_config_static_selectorELNS0_4arch9wavefront6targetE1EEEvT1_,"axG",@progbits,_ZN7rocprim17ROCPRIM_400000_NS6detail17trampoline_kernelINS0_14default_configENS1_20scan_config_selectorItEEZZNS1_9scan_implILNS1_25lookback_scan_determinismE0ELb0ELb0ES3_N6thrust23THRUST_200600_302600_NS6detail15normal_iteratorINS9_10device_ptrItEEEENS9_16discard_iteratorINS9_11use_defaultEEEtNS9_4plusIvEEtEEDaPvRmT3_T4_T5_mT6_P12ihipStream_tbENKUlT_T0_E_clISt17integral_constantIbLb1EESW_IbLb0EEEEDaSS_ST_EUlSS_E_NS1_11comp_targetILNS1_3genE10ELNS1_11target_archE1201ELNS1_3gpuE5ELNS1_3repE0EEENS1_30default_config_static_selectorELNS0_4arch9wavefront6targetE1EEEvT1_,comdat
	.protected	_ZN7rocprim17ROCPRIM_400000_NS6detail17trampoline_kernelINS0_14default_configENS1_20scan_config_selectorItEEZZNS1_9scan_implILNS1_25lookback_scan_determinismE0ELb0ELb0ES3_N6thrust23THRUST_200600_302600_NS6detail15normal_iteratorINS9_10device_ptrItEEEENS9_16discard_iteratorINS9_11use_defaultEEEtNS9_4plusIvEEtEEDaPvRmT3_T4_T5_mT6_P12ihipStream_tbENKUlT_T0_E_clISt17integral_constantIbLb1EESW_IbLb0EEEEDaSS_ST_EUlSS_E_NS1_11comp_targetILNS1_3genE10ELNS1_11target_archE1201ELNS1_3gpuE5ELNS1_3repE0EEENS1_30default_config_static_selectorELNS0_4arch9wavefront6targetE1EEEvT1_ ; -- Begin function _ZN7rocprim17ROCPRIM_400000_NS6detail17trampoline_kernelINS0_14default_configENS1_20scan_config_selectorItEEZZNS1_9scan_implILNS1_25lookback_scan_determinismE0ELb0ELb0ES3_N6thrust23THRUST_200600_302600_NS6detail15normal_iteratorINS9_10device_ptrItEEEENS9_16discard_iteratorINS9_11use_defaultEEEtNS9_4plusIvEEtEEDaPvRmT3_T4_T5_mT6_P12ihipStream_tbENKUlT_T0_E_clISt17integral_constantIbLb1EESW_IbLb0EEEEDaSS_ST_EUlSS_E_NS1_11comp_targetILNS1_3genE10ELNS1_11target_archE1201ELNS1_3gpuE5ELNS1_3repE0EEENS1_30default_config_static_selectorELNS0_4arch9wavefront6targetE1EEEvT1_
	.globl	_ZN7rocprim17ROCPRIM_400000_NS6detail17trampoline_kernelINS0_14default_configENS1_20scan_config_selectorItEEZZNS1_9scan_implILNS1_25lookback_scan_determinismE0ELb0ELb0ES3_N6thrust23THRUST_200600_302600_NS6detail15normal_iteratorINS9_10device_ptrItEEEENS9_16discard_iteratorINS9_11use_defaultEEEtNS9_4plusIvEEtEEDaPvRmT3_T4_T5_mT6_P12ihipStream_tbENKUlT_T0_E_clISt17integral_constantIbLb1EESW_IbLb0EEEEDaSS_ST_EUlSS_E_NS1_11comp_targetILNS1_3genE10ELNS1_11target_archE1201ELNS1_3gpuE5ELNS1_3repE0EEENS1_30default_config_static_selectorELNS0_4arch9wavefront6targetE1EEEvT1_
	.p2align	8
	.type	_ZN7rocprim17ROCPRIM_400000_NS6detail17trampoline_kernelINS0_14default_configENS1_20scan_config_selectorItEEZZNS1_9scan_implILNS1_25lookback_scan_determinismE0ELb0ELb0ES3_N6thrust23THRUST_200600_302600_NS6detail15normal_iteratorINS9_10device_ptrItEEEENS9_16discard_iteratorINS9_11use_defaultEEEtNS9_4plusIvEEtEEDaPvRmT3_T4_T5_mT6_P12ihipStream_tbENKUlT_T0_E_clISt17integral_constantIbLb1EESW_IbLb0EEEEDaSS_ST_EUlSS_E_NS1_11comp_targetILNS1_3genE10ELNS1_11target_archE1201ELNS1_3gpuE5ELNS1_3repE0EEENS1_30default_config_static_selectorELNS0_4arch9wavefront6targetE1EEEvT1_,@function
_ZN7rocprim17ROCPRIM_400000_NS6detail17trampoline_kernelINS0_14default_configENS1_20scan_config_selectorItEEZZNS1_9scan_implILNS1_25lookback_scan_determinismE0ELb0ELb0ES3_N6thrust23THRUST_200600_302600_NS6detail15normal_iteratorINS9_10device_ptrItEEEENS9_16discard_iteratorINS9_11use_defaultEEEtNS9_4plusIvEEtEEDaPvRmT3_T4_T5_mT6_P12ihipStream_tbENKUlT_T0_E_clISt17integral_constantIbLb1EESW_IbLb0EEEEDaSS_ST_EUlSS_E_NS1_11comp_targetILNS1_3genE10ELNS1_11target_archE1201ELNS1_3gpuE5ELNS1_3repE0EEENS1_30default_config_static_selectorELNS0_4arch9wavefront6targetE1EEEvT1_: ; @_ZN7rocprim17ROCPRIM_400000_NS6detail17trampoline_kernelINS0_14default_configENS1_20scan_config_selectorItEEZZNS1_9scan_implILNS1_25lookback_scan_determinismE0ELb0ELb0ES3_N6thrust23THRUST_200600_302600_NS6detail15normal_iteratorINS9_10device_ptrItEEEENS9_16discard_iteratorINS9_11use_defaultEEEtNS9_4plusIvEEtEEDaPvRmT3_T4_T5_mT6_P12ihipStream_tbENKUlT_T0_E_clISt17integral_constantIbLb1EESW_IbLb0EEEEDaSS_ST_EUlSS_E_NS1_11comp_targetILNS1_3genE10ELNS1_11target_archE1201ELNS1_3gpuE5ELNS1_3repE0EEENS1_30default_config_static_selectorELNS0_4arch9wavefront6targetE1EEEvT1_
; %bb.0:
	.section	.rodata,"a",@progbits
	.p2align	6, 0x0
	.amdhsa_kernel _ZN7rocprim17ROCPRIM_400000_NS6detail17trampoline_kernelINS0_14default_configENS1_20scan_config_selectorItEEZZNS1_9scan_implILNS1_25lookback_scan_determinismE0ELb0ELb0ES3_N6thrust23THRUST_200600_302600_NS6detail15normal_iteratorINS9_10device_ptrItEEEENS9_16discard_iteratorINS9_11use_defaultEEEtNS9_4plusIvEEtEEDaPvRmT3_T4_T5_mT6_P12ihipStream_tbENKUlT_T0_E_clISt17integral_constantIbLb1EESW_IbLb0EEEEDaSS_ST_EUlSS_E_NS1_11comp_targetILNS1_3genE10ELNS1_11target_archE1201ELNS1_3gpuE5ELNS1_3repE0EEENS1_30default_config_static_selectorELNS0_4arch9wavefront6targetE1EEEvT1_
		.amdhsa_group_segment_fixed_size 0
		.amdhsa_private_segment_fixed_size 0
		.amdhsa_kernarg_size 104
		.amdhsa_user_sgpr_count 6
		.amdhsa_user_sgpr_private_segment_buffer 1
		.amdhsa_user_sgpr_dispatch_ptr 0
		.amdhsa_user_sgpr_queue_ptr 0
		.amdhsa_user_sgpr_kernarg_segment_ptr 1
		.amdhsa_user_sgpr_dispatch_id 0
		.amdhsa_user_sgpr_flat_scratch_init 0
		.amdhsa_user_sgpr_kernarg_preload_length 0
		.amdhsa_user_sgpr_kernarg_preload_offset 0
		.amdhsa_user_sgpr_private_segment_size 0
		.amdhsa_uses_dynamic_stack 0
		.amdhsa_system_sgpr_private_segment_wavefront_offset 0
		.amdhsa_system_sgpr_workgroup_id_x 1
		.amdhsa_system_sgpr_workgroup_id_y 0
		.amdhsa_system_sgpr_workgroup_id_z 0
		.amdhsa_system_sgpr_workgroup_info 0
		.amdhsa_system_vgpr_workitem_id 0
		.amdhsa_next_free_vgpr 1
		.amdhsa_next_free_sgpr 0
		.amdhsa_accum_offset 4
		.amdhsa_reserve_vcc 0
		.amdhsa_reserve_flat_scratch 0
		.amdhsa_float_round_mode_32 0
		.amdhsa_float_round_mode_16_64 0
		.amdhsa_float_denorm_mode_32 3
		.amdhsa_float_denorm_mode_16_64 3
		.amdhsa_dx10_clamp 1
		.amdhsa_ieee_mode 1
		.amdhsa_fp16_overflow 0
		.amdhsa_tg_split 0
		.amdhsa_exception_fp_ieee_invalid_op 0
		.amdhsa_exception_fp_denorm_src 0
		.amdhsa_exception_fp_ieee_div_zero 0
		.amdhsa_exception_fp_ieee_overflow 0
		.amdhsa_exception_fp_ieee_underflow 0
		.amdhsa_exception_fp_ieee_inexact 0
		.amdhsa_exception_int_div_zero 0
	.end_amdhsa_kernel
	.section	.text._ZN7rocprim17ROCPRIM_400000_NS6detail17trampoline_kernelINS0_14default_configENS1_20scan_config_selectorItEEZZNS1_9scan_implILNS1_25lookback_scan_determinismE0ELb0ELb0ES3_N6thrust23THRUST_200600_302600_NS6detail15normal_iteratorINS9_10device_ptrItEEEENS9_16discard_iteratorINS9_11use_defaultEEEtNS9_4plusIvEEtEEDaPvRmT3_T4_T5_mT6_P12ihipStream_tbENKUlT_T0_E_clISt17integral_constantIbLb1EESW_IbLb0EEEEDaSS_ST_EUlSS_E_NS1_11comp_targetILNS1_3genE10ELNS1_11target_archE1201ELNS1_3gpuE5ELNS1_3repE0EEENS1_30default_config_static_selectorELNS0_4arch9wavefront6targetE1EEEvT1_,"axG",@progbits,_ZN7rocprim17ROCPRIM_400000_NS6detail17trampoline_kernelINS0_14default_configENS1_20scan_config_selectorItEEZZNS1_9scan_implILNS1_25lookback_scan_determinismE0ELb0ELb0ES3_N6thrust23THRUST_200600_302600_NS6detail15normal_iteratorINS9_10device_ptrItEEEENS9_16discard_iteratorINS9_11use_defaultEEEtNS9_4plusIvEEtEEDaPvRmT3_T4_T5_mT6_P12ihipStream_tbENKUlT_T0_E_clISt17integral_constantIbLb1EESW_IbLb0EEEEDaSS_ST_EUlSS_E_NS1_11comp_targetILNS1_3genE10ELNS1_11target_archE1201ELNS1_3gpuE5ELNS1_3repE0EEENS1_30default_config_static_selectorELNS0_4arch9wavefront6targetE1EEEvT1_,comdat
.Lfunc_end5479:
	.size	_ZN7rocprim17ROCPRIM_400000_NS6detail17trampoline_kernelINS0_14default_configENS1_20scan_config_selectorItEEZZNS1_9scan_implILNS1_25lookback_scan_determinismE0ELb0ELb0ES3_N6thrust23THRUST_200600_302600_NS6detail15normal_iteratorINS9_10device_ptrItEEEENS9_16discard_iteratorINS9_11use_defaultEEEtNS9_4plusIvEEtEEDaPvRmT3_T4_T5_mT6_P12ihipStream_tbENKUlT_T0_E_clISt17integral_constantIbLb1EESW_IbLb0EEEEDaSS_ST_EUlSS_E_NS1_11comp_targetILNS1_3genE10ELNS1_11target_archE1201ELNS1_3gpuE5ELNS1_3repE0EEENS1_30default_config_static_selectorELNS0_4arch9wavefront6targetE1EEEvT1_, .Lfunc_end5479-_ZN7rocprim17ROCPRIM_400000_NS6detail17trampoline_kernelINS0_14default_configENS1_20scan_config_selectorItEEZZNS1_9scan_implILNS1_25lookback_scan_determinismE0ELb0ELb0ES3_N6thrust23THRUST_200600_302600_NS6detail15normal_iteratorINS9_10device_ptrItEEEENS9_16discard_iteratorINS9_11use_defaultEEEtNS9_4plusIvEEtEEDaPvRmT3_T4_T5_mT6_P12ihipStream_tbENKUlT_T0_E_clISt17integral_constantIbLb1EESW_IbLb0EEEEDaSS_ST_EUlSS_E_NS1_11comp_targetILNS1_3genE10ELNS1_11target_archE1201ELNS1_3gpuE5ELNS1_3repE0EEENS1_30default_config_static_selectorELNS0_4arch9wavefront6targetE1EEEvT1_
                                        ; -- End function
	.section	.AMDGPU.csdata,"",@progbits
; Kernel info:
; codeLenInByte = 0
; NumSgprs: 4
; NumVgprs: 0
; NumAgprs: 0
; TotalNumVgprs: 0
; ScratchSize: 0
; MemoryBound: 0
; FloatMode: 240
; IeeeMode: 1
; LDSByteSize: 0 bytes/workgroup (compile time only)
; SGPRBlocks: 0
; VGPRBlocks: 0
; NumSGPRsForWavesPerEU: 4
; NumVGPRsForWavesPerEU: 1
; AccumOffset: 4
; Occupancy: 8
; WaveLimiterHint : 0
; COMPUTE_PGM_RSRC2:SCRATCH_EN: 0
; COMPUTE_PGM_RSRC2:USER_SGPR: 6
; COMPUTE_PGM_RSRC2:TRAP_HANDLER: 0
; COMPUTE_PGM_RSRC2:TGID_X_EN: 1
; COMPUTE_PGM_RSRC2:TGID_Y_EN: 0
; COMPUTE_PGM_RSRC2:TGID_Z_EN: 0
; COMPUTE_PGM_RSRC2:TIDIG_COMP_CNT: 0
; COMPUTE_PGM_RSRC3_GFX90A:ACCUM_OFFSET: 0
; COMPUTE_PGM_RSRC3_GFX90A:TG_SPLIT: 0
	.section	.text._ZN7rocprim17ROCPRIM_400000_NS6detail17trampoline_kernelINS0_14default_configENS1_20scan_config_selectorItEEZZNS1_9scan_implILNS1_25lookback_scan_determinismE0ELb0ELb0ES3_N6thrust23THRUST_200600_302600_NS6detail15normal_iteratorINS9_10device_ptrItEEEENS9_16discard_iteratorINS9_11use_defaultEEEtNS9_4plusIvEEtEEDaPvRmT3_T4_T5_mT6_P12ihipStream_tbENKUlT_T0_E_clISt17integral_constantIbLb1EESW_IbLb0EEEEDaSS_ST_EUlSS_E_NS1_11comp_targetILNS1_3genE10ELNS1_11target_archE1200ELNS1_3gpuE4ELNS1_3repE0EEENS1_30default_config_static_selectorELNS0_4arch9wavefront6targetE1EEEvT1_,"axG",@progbits,_ZN7rocprim17ROCPRIM_400000_NS6detail17trampoline_kernelINS0_14default_configENS1_20scan_config_selectorItEEZZNS1_9scan_implILNS1_25lookback_scan_determinismE0ELb0ELb0ES3_N6thrust23THRUST_200600_302600_NS6detail15normal_iteratorINS9_10device_ptrItEEEENS9_16discard_iteratorINS9_11use_defaultEEEtNS9_4plusIvEEtEEDaPvRmT3_T4_T5_mT6_P12ihipStream_tbENKUlT_T0_E_clISt17integral_constantIbLb1EESW_IbLb0EEEEDaSS_ST_EUlSS_E_NS1_11comp_targetILNS1_3genE10ELNS1_11target_archE1200ELNS1_3gpuE4ELNS1_3repE0EEENS1_30default_config_static_selectorELNS0_4arch9wavefront6targetE1EEEvT1_,comdat
	.protected	_ZN7rocprim17ROCPRIM_400000_NS6detail17trampoline_kernelINS0_14default_configENS1_20scan_config_selectorItEEZZNS1_9scan_implILNS1_25lookback_scan_determinismE0ELb0ELb0ES3_N6thrust23THRUST_200600_302600_NS6detail15normal_iteratorINS9_10device_ptrItEEEENS9_16discard_iteratorINS9_11use_defaultEEEtNS9_4plusIvEEtEEDaPvRmT3_T4_T5_mT6_P12ihipStream_tbENKUlT_T0_E_clISt17integral_constantIbLb1EESW_IbLb0EEEEDaSS_ST_EUlSS_E_NS1_11comp_targetILNS1_3genE10ELNS1_11target_archE1200ELNS1_3gpuE4ELNS1_3repE0EEENS1_30default_config_static_selectorELNS0_4arch9wavefront6targetE1EEEvT1_ ; -- Begin function _ZN7rocprim17ROCPRIM_400000_NS6detail17trampoline_kernelINS0_14default_configENS1_20scan_config_selectorItEEZZNS1_9scan_implILNS1_25lookback_scan_determinismE0ELb0ELb0ES3_N6thrust23THRUST_200600_302600_NS6detail15normal_iteratorINS9_10device_ptrItEEEENS9_16discard_iteratorINS9_11use_defaultEEEtNS9_4plusIvEEtEEDaPvRmT3_T4_T5_mT6_P12ihipStream_tbENKUlT_T0_E_clISt17integral_constantIbLb1EESW_IbLb0EEEEDaSS_ST_EUlSS_E_NS1_11comp_targetILNS1_3genE10ELNS1_11target_archE1200ELNS1_3gpuE4ELNS1_3repE0EEENS1_30default_config_static_selectorELNS0_4arch9wavefront6targetE1EEEvT1_
	.globl	_ZN7rocprim17ROCPRIM_400000_NS6detail17trampoline_kernelINS0_14default_configENS1_20scan_config_selectorItEEZZNS1_9scan_implILNS1_25lookback_scan_determinismE0ELb0ELb0ES3_N6thrust23THRUST_200600_302600_NS6detail15normal_iteratorINS9_10device_ptrItEEEENS9_16discard_iteratorINS9_11use_defaultEEEtNS9_4plusIvEEtEEDaPvRmT3_T4_T5_mT6_P12ihipStream_tbENKUlT_T0_E_clISt17integral_constantIbLb1EESW_IbLb0EEEEDaSS_ST_EUlSS_E_NS1_11comp_targetILNS1_3genE10ELNS1_11target_archE1200ELNS1_3gpuE4ELNS1_3repE0EEENS1_30default_config_static_selectorELNS0_4arch9wavefront6targetE1EEEvT1_
	.p2align	8
	.type	_ZN7rocprim17ROCPRIM_400000_NS6detail17trampoline_kernelINS0_14default_configENS1_20scan_config_selectorItEEZZNS1_9scan_implILNS1_25lookback_scan_determinismE0ELb0ELb0ES3_N6thrust23THRUST_200600_302600_NS6detail15normal_iteratorINS9_10device_ptrItEEEENS9_16discard_iteratorINS9_11use_defaultEEEtNS9_4plusIvEEtEEDaPvRmT3_T4_T5_mT6_P12ihipStream_tbENKUlT_T0_E_clISt17integral_constantIbLb1EESW_IbLb0EEEEDaSS_ST_EUlSS_E_NS1_11comp_targetILNS1_3genE10ELNS1_11target_archE1200ELNS1_3gpuE4ELNS1_3repE0EEENS1_30default_config_static_selectorELNS0_4arch9wavefront6targetE1EEEvT1_,@function
_ZN7rocprim17ROCPRIM_400000_NS6detail17trampoline_kernelINS0_14default_configENS1_20scan_config_selectorItEEZZNS1_9scan_implILNS1_25lookback_scan_determinismE0ELb0ELb0ES3_N6thrust23THRUST_200600_302600_NS6detail15normal_iteratorINS9_10device_ptrItEEEENS9_16discard_iteratorINS9_11use_defaultEEEtNS9_4plusIvEEtEEDaPvRmT3_T4_T5_mT6_P12ihipStream_tbENKUlT_T0_E_clISt17integral_constantIbLb1EESW_IbLb0EEEEDaSS_ST_EUlSS_E_NS1_11comp_targetILNS1_3genE10ELNS1_11target_archE1200ELNS1_3gpuE4ELNS1_3repE0EEENS1_30default_config_static_selectorELNS0_4arch9wavefront6targetE1EEEvT1_: ; @_ZN7rocprim17ROCPRIM_400000_NS6detail17trampoline_kernelINS0_14default_configENS1_20scan_config_selectorItEEZZNS1_9scan_implILNS1_25lookback_scan_determinismE0ELb0ELb0ES3_N6thrust23THRUST_200600_302600_NS6detail15normal_iteratorINS9_10device_ptrItEEEENS9_16discard_iteratorINS9_11use_defaultEEEtNS9_4plusIvEEtEEDaPvRmT3_T4_T5_mT6_P12ihipStream_tbENKUlT_T0_E_clISt17integral_constantIbLb1EESW_IbLb0EEEEDaSS_ST_EUlSS_E_NS1_11comp_targetILNS1_3genE10ELNS1_11target_archE1200ELNS1_3gpuE4ELNS1_3repE0EEENS1_30default_config_static_selectorELNS0_4arch9wavefront6targetE1EEEvT1_
; %bb.0:
	.section	.rodata,"a",@progbits
	.p2align	6, 0x0
	.amdhsa_kernel _ZN7rocprim17ROCPRIM_400000_NS6detail17trampoline_kernelINS0_14default_configENS1_20scan_config_selectorItEEZZNS1_9scan_implILNS1_25lookback_scan_determinismE0ELb0ELb0ES3_N6thrust23THRUST_200600_302600_NS6detail15normal_iteratorINS9_10device_ptrItEEEENS9_16discard_iteratorINS9_11use_defaultEEEtNS9_4plusIvEEtEEDaPvRmT3_T4_T5_mT6_P12ihipStream_tbENKUlT_T0_E_clISt17integral_constantIbLb1EESW_IbLb0EEEEDaSS_ST_EUlSS_E_NS1_11comp_targetILNS1_3genE10ELNS1_11target_archE1200ELNS1_3gpuE4ELNS1_3repE0EEENS1_30default_config_static_selectorELNS0_4arch9wavefront6targetE1EEEvT1_
		.amdhsa_group_segment_fixed_size 0
		.amdhsa_private_segment_fixed_size 0
		.amdhsa_kernarg_size 104
		.amdhsa_user_sgpr_count 6
		.amdhsa_user_sgpr_private_segment_buffer 1
		.amdhsa_user_sgpr_dispatch_ptr 0
		.amdhsa_user_sgpr_queue_ptr 0
		.amdhsa_user_sgpr_kernarg_segment_ptr 1
		.amdhsa_user_sgpr_dispatch_id 0
		.amdhsa_user_sgpr_flat_scratch_init 0
		.amdhsa_user_sgpr_kernarg_preload_length 0
		.amdhsa_user_sgpr_kernarg_preload_offset 0
		.amdhsa_user_sgpr_private_segment_size 0
		.amdhsa_uses_dynamic_stack 0
		.amdhsa_system_sgpr_private_segment_wavefront_offset 0
		.amdhsa_system_sgpr_workgroup_id_x 1
		.amdhsa_system_sgpr_workgroup_id_y 0
		.amdhsa_system_sgpr_workgroup_id_z 0
		.amdhsa_system_sgpr_workgroup_info 0
		.amdhsa_system_vgpr_workitem_id 0
		.amdhsa_next_free_vgpr 1
		.amdhsa_next_free_sgpr 0
		.amdhsa_accum_offset 4
		.amdhsa_reserve_vcc 0
		.amdhsa_reserve_flat_scratch 0
		.amdhsa_float_round_mode_32 0
		.amdhsa_float_round_mode_16_64 0
		.amdhsa_float_denorm_mode_32 3
		.amdhsa_float_denorm_mode_16_64 3
		.amdhsa_dx10_clamp 1
		.amdhsa_ieee_mode 1
		.amdhsa_fp16_overflow 0
		.amdhsa_tg_split 0
		.amdhsa_exception_fp_ieee_invalid_op 0
		.amdhsa_exception_fp_denorm_src 0
		.amdhsa_exception_fp_ieee_div_zero 0
		.amdhsa_exception_fp_ieee_overflow 0
		.amdhsa_exception_fp_ieee_underflow 0
		.amdhsa_exception_fp_ieee_inexact 0
		.amdhsa_exception_int_div_zero 0
	.end_amdhsa_kernel
	.section	.text._ZN7rocprim17ROCPRIM_400000_NS6detail17trampoline_kernelINS0_14default_configENS1_20scan_config_selectorItEEZZNS1_9scan_implILNS1_25lookback_scan_determinismE0ELb0ELb0ES3_N6thrust23THRUST_200600_302600_NS6detail15normal_iteratorINS9_10device_ptrItEEEENS9_16discard_iteratorINS9_11use_defaultEEEtNS9_4plusIvEEtEEDaPvRmT3_T4_T5_mT6_P12ihipStream_tbENKUlT_T0_E_clISt17integral_constantIbLb1EESW_IbLb0EEEEDaSS_ST_EUlSS_E_NS1_11comp_targetILNS1_3genE10ELNS1_11target_archE1200ELNS1_3gpuE4ELNS1_3repE0EEENS1_30default_config_static_selectorELNS0_4arch9wavefront6targetE1EEEvT1_,"axG",@progbits,_ZN7rocprim17ROCPRIM_400000_NS6detail17trampoline_kernelINS0_14default_configENS1_20scan_config_selectorItEEZZNS1_9scan_implILNS1_25lookback_scan_determinismE0ELb0ELb0ES3_N6thrust23THRUST_200600_302600_NS6detail15normal_iteratorINS9_10device_ptrItEEEENS9_16discard_iteratorINS9_11use_defaultEEEtNS9_4plusIvEEtEEDaPvRmT3_T4_T5_mT6_P12ihipStream_tbENKUlT_T0_E_clISt17integral_constantIbLb1EESW_IbLb0EEEEDaSS_ST_EUlSS_E_NS1_11comp_targetILNS1_3genE10ELNS1_11target_archE1200ELNS1_3gpuE4ELNS1_3repE0EEENS1_30default_config_static_selectorELNS0_4arch9wavefront6targetE1EEEvT1_,comdat
.Lfunc_end5480:
	.size	_ZN7rocprim17ROCPRIM_400000_NS6detail17trampoline_kernelINS0_14default_configENS1_20scan_config_selectorItEEZZNS1_9scan_implILNS1_25lookback_scan_determinismE0ELb0ELb0ES3_N6thrust23THRUST_200600_302600_NS6detail15normal_iteratorINS9_10device_ptrItEEEENS9_16discard_iteratorINS9_11use_defaultEEEtNS9_4plusIvEEtEEDaPvRmT3_T4_T5_mT6_P12ihipStream_tbENKUlT_T0_E_clISt17integral_constantIbLb1EESW_IbLb0EEEEDaSS_ST_EUlSS_E_NS1_11comp_targetILNS1_3genE10ELNS1_11target_archE1200ELNS1_3gpuE4ELNS1_3repE0EEENS1_30default_config_static_selectorELNS0_4arch9wavefront6targetE1EEEvT1_, .Lfunc_end5480-_ZN7rocprim17ROCPRIM_400000_NS6detail17trampoline_kernelINS0_14default_configENS1_20scan_config_selectorItEEZZNS1_9scan_implILNS1_25lookback_scan_determinismE0ELb0ELb0ES3_N6thrust23THRUST_200600_302600_NS6detail15normal_iteratorINS9_10device_ptrItEEEENS9_16discard_iteratorINS9_11use_defaultEEEtNS9_4plusIvEEtEEDaPvRmT3_T4_T5_mT6_P12ihipStream_tbENKUlT_T0_E_clISt17integral_constantIbLb1EESW_IbLb0EEEEDaSS_ST_EUlSS_E_NS1_11comp_targetILNS1_3genE10ELNS1_11target_archE1200ELNS1_3gpuE4ELNS1_3repE0EEENS1_30default_config_static_selectorELNS0_4arch9wavefront6targetE1EEEvT1_
                                        ; -- End function
	.section	.AMDGPU.csdata,"",@progbits
; Kernel info:
; codeLenInByte = 0
; NumSgprs: 4
; NumVgprs: 0
; NumAgprs: 0
; TotalNumVgprs: 0
; ScratchSize: 0
; MemoryBound: 0
; FloatMode: 240
; IeeeMode: 1
; LDSByteSize: 0 bytes/workgroup (compile time only)
; SGPRBlocks: 0
; VGPRBlocks: 0
; NumSGPRsForWavesPerEU: 4
; NumVGPRsForWavesPerEU: 1
; AccumOffset: 4
; Occupancy: 8
; WaveLimiterHint : 0
; COMPUTE_PGM_RSRC2:SCRATCH_EN: 0
; COMPUTE_PGM_RSRC2:USER_SGPR: 6
; COMPUTE_PGM_RSRC2:TRAP_HANDLER: 0
; COMPUTE_PGM_RSRC2:TGID_X_EN: 1
; COMPUTE_PGM_RSRC2:TGID_Y_EN: 0
; COMPUTE_PGM_RSRC2:TGID_Z_EN: 0
; COMPUTE_PGM_RSRC2:TIDIG_COMP_CNT: 0
; COMPUTE_PGM_RSRC3_GFX90A:ACCUM_OFFSET: 0
; COMPUTE_PGM_RSRC3_GFX90A:TG_SPLIT: 0
	.section	.text._ZN7rocprim17ROCPRIM_400000_NS6detail17trampoline_kernelINS0_14default_configENS1_20scan_config_selectorItEEZZNS1_9scan_implILNS1_25lookback_scan_determinismE0ELb0ELb0ES3_N6thrust23THRUST_200600_302600_NS6detail15normal_iteratorINS9_10device_ptrItEEEENS9_16discard_iteratorINS9_11use_defaultEEEtNS9_4plusIvEEtEEDaPvRmT3_T4_T5_mT6_P12ihipStream_tbENKUlT_T0_E_clISt17integral_constantIbLb1EESW_IbLb0EEEEDaSS_ST_EUlSS_E_NS1_11comp_targetILNS1_3genE9ELNS1_11target_archE1100ELNS1_3gpuE3ELNS1_3repE0EEENS1_30default_config_static_selectorELNS0_4arch9wavefront6targetE1EEEvT1_,"axG",@progbits,_ZN7rocprim17ROCPRIM_400000_NS6detail17trampoline_kernelINS0_14default_configENS1_20scan_config_selectorItEEZZNS1_9scan_implILNS1_25lookback_scan_determinismE0ELb0ELb0ES3_N6thrust23THRUST_200600_302600_NS6detail15normal_iteratorINS9_10device_ptrItEEEENS9_16discard_iteratorINS9_11use_defaultEEEtNS9_4plusIvEEtEEDaPvRmT3_T4_T5_mT6_P12ihipStream_tbENKUlT_T0_E_clISt17integral_constantIbLb1EESW_IbLb0EEEEDaSS_ST_EUlSS_E_NS1_11comp_targetILNS1_3genE9ELNS1_11target_archE1100ELNS1_3gpuE3ELNS1_3repE0EEENS1_30default_config_static_selectorELNS0_4arch9wavefront6targetE1EEEvT1_,comdat
	.protected	_ZN7rocprim17ROCPRIM_400000_NS6detail17trampoline_kernelINS0_14default_configENS1_20scan_config_selectorItEEZZNS1_9scan_implILNS1_25lookback_scan_determinismE0ELb0ELb0ES3_N6thrust23THRUST_200600_302600_NS6detail15normal_iteratorINS9_10device_ptrItEEEENS9_16discard_iteratorINS9_11use_defaultEEEtNS9_4plusIvEEtEEDaPvRmT3_T4_T5_mT6_P12ihipStream_tbENKUlT_T0_E_clISt17integral_constantIbLb1EESW_IbLb0EEEEDaSS_ST_EUlSS_E_NS1_11comp_targetILNS1_3genE9ELNS1_11target_archE1100ELNS1_3gpuE3ELNS1_3repE0EEENS1_30default_config_static_selectorELNS0_4arch9wavefront6targetE1EEEvT1_ ; -- Begin function _ZN7rocprim17ROCPRIM_400000_NS6detail17trampoline_kernelINS0_14default_configENS1_20scan_config_selectorItEEZZNS1_9scan_implILNS1_25lookback_scan_determinismE0ELb0ELb0ES3_N6thrust23THRUST_200600_302600_NS6detail15normal_iteratorINS9_10device_ptrItEEEENS9_16discard_iteratorINS9_11use_defaultEEEtNS9_4plusIvEEtEEDaPvRmT3_T4_T5_mT6_P12ihipStream_tbENKUlT_T0_E_clISt17integral_constantIbLb1EESW_IbLb0EEEEDaSS_ST_EUlSS_E_NS1_11comp_targetILNS1_3genE9ELNS1_11target_archE1100ELNS1_3gpuE3ELNS1_3repE0EEENS1_30default_config_static_selectorELNS0_4arch9wavefront6targetE1EEEvT1_
	.globl	_ZN7rocprim17ROCPRIM_400000_NS6detail17trampoline_kernelINS0_14default_configENS1_20scan_config_selectorItEEZZNS1_9scan_implILNS1_25lookback_scan_determinismE0ELb0ELb0ES3_N6thrust23THRUST_200600_302600_NS6detail15normal_iteratorINS9_10device_ptrItEEEENS9_16discard_iteratorINS9_11use_defaultEEEtNS9_4plusIvEEtEEDaPvRmT3_T4_T5_mT6_P12ihipStream_tbENKUlT_T0_E_clISt17integral_constantIbLb1EESW_IbLb0EEEEDaSS_ST_EUlSS_E_NS1_11comp_targetILNS1_3genE9ELNS1_11target_archE1100ELNS1_3gpuE3ELNS1_3repE0EEENS1_30default_config_static_selectorELNS0_4arch9wavefront6targetE1EEEvT1_
	.p2align	8
	.type	_ZN7rocprim17ROCPRIM_400000_NS6detail17trampoline_kernelINS0_14default_configENS1_20scan_config_selectorItEEZZNS1_9scan_implILNS1_25lookback_scan_determinismE0ELb0ELb0ES3_N6thrust23THRUST_200600_302600_NS6detail15normal_iteratorINS9_10device_ptrItEEEENS9_16discard_iteratorINS9_11use_defaultEEEtNS9_4plusIvEEtEEDaPvRmT3_T4_T5_mT6_P12ihipStream_tbENKUlT_T0_E_clISt17integral_constantIbLb1EESW_IbLb0EEEEDaSS_ST_EUlSS_E_NS1_11comp_targetILNS1_3genE9ELNS1_11target_archE1100ELNS1_3gpuE3ELNS1_3repE0EEENS1_30default_config_static_selectorELNS0_4arch9wavefront6targetE1EEEvT1_,@function
_ZN7rocprim17ROCPRIM_400000_NS6detail17trampoline_kernelINS0_14default_configENS1_20scan_config_selectorItEEZZNS1_9scan_implILNS1_25lookback_scan_determinismE0ELb0ELb0ES3_N6thrust23THRUST_200600_302600_NS6detail15normal_iteratorINS9_10device_ptrItEEEENS9_16discard_iteratorINS9_11use_defaultEEEtNS9_4plusIvEEtEEDaPvRmT3_T4_T5_mT6_P12ihipStream_tbENKUlT_T0_E_clISt17integral_constantIbLb1EESW_IbLb0EEEEDaSS_ST_EUlSS_E_NS1_11comp_targetILNS1_3genE9ELNS1_11target_archE1100ELNS1_3gpuE3ELNS1_3repE0EEENS1_30default_config_static_selectorELNS0_4arch9wavefront6targetE1EEEvT1_: ; @_ZN7rocprim17ROCPRIM_400000_NS6detail17trampoline_kernelINS0_14default_configENS1_20scan_config_selectorItEEZZNS1_9scan_implILNS1_25lookback_scan_determinismE0ELb0ELb0ES3_N6thrust23THRUST_200600_302600_NS6detail15normal_iteratorINS9_10device_ptrItEEEENS9_16discard_iteratorINS9_11use_defaultEEEtNS9_4plusIvEEtEEDaPvRmT3_T4_T5_mT6_P12ihipStream_tbENKUlT_T0_E_clISt17integral_constantIbLb1EESW_IbLb0EEEEDaSS_ST_EUlSS_E_NS1_11comp_targetILNS1_3genE9ELNS1_11target_archE1100ELNS1_3gpuE3ELNS1_3repE0EEENS1_30default_config_static_selectorELNS0_4arch9wavefront6targetE1EEEvT1_
; %bb.0:
	.section	.rodata,"a",@progbits
	.p2align	6, 0x0
	.amdhsa_kernel _ZN7rocprim17ROCPRIM_400000_NS6detail17trampoline_kernelINS0_14default_configENS1_20scan_config_selectorItEEZZNS1_9scan_implILNS1_25lookback_scan_determinismE0ELb0ELb0ES3_N6thrust23THRUST_200600_302600_NS6detail15normal_iteratorINS9_10device_ptrItEEEENS9_16discard_iteratorINS9_11use_defaultEEEtNS9_4plusIvEEtEEDaPvRmT3_T4_T5_mT6_P12ihipStream_tbENKUlT_T0_E_clISt17integral_constantIbLb1EESW_IbLb0EEEEDaSS_ST_EUlSS_E_NS1_11comp_targetILNS1_3genE9ELNS1_11target_archE1100ELNS1_3gpuE3ELNS1_3repE0EEENS1_30default_config_static_selectorELNS0_4arch9wavefront6targetE1EEEvT1_
		.amdhsa_group_segment_fixed_size 0
		.amdhsa_private_segment_fixed_size 0
		.amdhsa_kernarg_size 104
		.amdhsa_user_sgpr_count 6
		.amdhsa_user_sgpr_private_segment_buffer 1
		.amdhsa_user_sgpr_dispatch_ptr 0
		.amdhsa_user_sgpr_queue_ptr 0
		.amdhsa_user_sgpr_kernarg_segment_ptr 1
		.amdhsa_user_sgpr_dispatch_id 0
		.amdhsa_user_sgpr_flat_scratch_init 0
		.amdhsa_user_sgpr_kernarg_preload_length 0
		.amdhsa_user_sgpr_kernarg_preload_offset 0
		.amdhsa_user_sgpr_private_segment_size 0
		.amdhsa_uses_dynamic_stack 0
		.amdhsa_system_sgpr_private_segment_wavefront_offset 0
		.amdhsa_system_sgpr_workgroup_id_x 1
		.amdhsa_system_sgpr_workgroup_id_y 0
		.amdhsa_system_sgpr_workgroup_id_z 0
		.amdhsa_system_sgpr_workgroup_info 0
		.amdhsa_system_vgpr_workitem_id 0
		.amdhsa_next_free_vgpr 1
		.amdhsa_next_free_sgpr 0
		.amdhsa_accum_offset 4
		.amdhsa_reserve_vcc 0
		.amdhsa_reserve_flat_scratch 0
		.amdhsa_float_round_mode_32 0
		.amdhsa_float_round_mode_16_64 0
		.amdhsa_float_denorm_mode_32 3
		.amdhsa_float_denorm_mode_16_64 3
		.amdhsa_dx10_clamp 1
		.amdhsa_ieee_mode 1
		.amdhsa_fp16_overflow 0
		.amdhsa_tg_split 0
		.amdhsa_exception_fp_ieee_invalid_op 0
		.amdhsa_exception_fp_denorm_src 0
		.amdhsa_exception_fp_ieee_div_zero 0
		.amdhsa_exception_fp_ieee_overflow 0
		.amdhsa_exception_fp_ieee_underflow 0
		.amdhsa_exception_fp_ieee_inexact 0
		.amdhsa_exception_int_div_zero 0
	.end_amdhsa_kernel
	.section	.text._ZN7rocprim17ROCPRIM_400000_NS6detail17trampoline_kernelINS0_14default_configENS1_20scan_config_selectorItEEZZNS1_9scan_implILNS1_25lookback_scan_determinismE0ELb0ELb0ES3_N6thrust23THRUST_200600_302600_NS6detail15normal_iteratorINS9_10device_ptrItEEEENS9_16discard_iteratorINS9_11use_defaultEEEtNS9_4plusIvEEtEEDaPvRmT3_T4_T5_mT6_P12ihipStream_tbENKUlT_T0_E_clISt17integral_constantIbLb1EESW_IbLb0EEEEDaSS_ST_EUlSS_E_NS1_11comp_targetILNS1_3genE9ELNS1_11target_archE1100ELNS1_3gpuE3ELNS1_3repE0EEENS1_30default_config_static_selectorELNS0_4arch9wavefront6targetE1EEEvT1_,"axG",@progbits,_ZN7rocprim17ROCPRIM_400000_NS6detail17trampoline_kernelINS0_14default_configENS1_20scan_config_selectorItEEZZNS1_9scan_implILNS1_25lookback_scan_determinismE0ELb0ELb0ES3_N6thrust23THRUST_200600_302600_NS6detail15normal_iteratorINS9_10device_ptrItEEEENS9_16discard_iteratorINS9_11use_defaultEEEtNS9_4plusIvEEtEEDaPvRmT3_T4_T5_mT6_P12ihipStream_tbENKUlT_T0_E_clISt17integral_constantIbLb1EESW_IbLb0EEEEDaSS_ST_EUlSS_E_NS1_11comp_targetILNS1_3genE9ELNS1_11target_archE1100ELNS1_3gpuE3ELNS1_3repE0EEENS1_30default_config_static_selectorELNS0_4arch9wavefront6targetE1EEEvT1_,comdat
.Lfunc_end5481:
	.size	_ZN7rocprim17ROCPRIM_400000_NS6detail17trampoline_kernelINS0_14default_configENS1_20scan_config_selectorItEEZZNS1_9scan_implILNS1_25lookback_scan_determinismE0ELb0ELb0ES3_N6thrust23THRUST_200600_302600_NS6detail15normal_iteratorINS9_10device_ptrItEEEENS9_16discard_iteratorINS9_11use_defaultEEEtNS9_4plusIvEEtEEDaPvRmT3_T4_T5_mT6_P12ihipStream_tbENKUlT_T0_E_clISt17integral_constantIbLb1EESW_IbLb0EEEEDaSS_ST_EUlSS_E_NS1_11comp_targetILNS1_3genE9ELNS1_11target_archE1100ELNS1_3gpuE3ELNS1_3repE0EEENS1_30default_config_static_selectorELNS0_4arch9wavefront6targetE1EEEvT1_, .Lfunc_end5481-_ZN7rocprim17ROCPRIM_400000_NS6detail17trampoline_kernelINS0_14default_configENS1_20scan_config_selectorItEEZZNS1_9scan_implILNS1_25lookback_scan_determinismE0ELb0ELb0ES3_N6thrust23THRUST_200600_302600_NS6detail15normal_iteratorINS9_10device_ptrItEEEENS9_16discard_iteratorINS9_11use_defaultEEEtNS9_4plusIvEEtEEDaPvRmT3_T4_T5_mT6_P12ihipStream_tbENKUlT_T0_E_clISt17integral_constantIbLb1EESW_IbLb0EEEEDaSS_ST_EUlSS_E_NS1_11comp_targetILNS1_3genE9ELNS1_11target_archE1100ELNS1_3gpuE3ELNS1_3repE0EEENS1_30default_config_static_selectorELNS0_4arch9wavefront6targetE1EEEvT1_
                                        ; -- End function
	.section	.AMDGPU.csdata,"",@progbits
; Kernel info:
; codeLenInByte = 0
; NumSgprs: 4
; NumVgprs: 0
; NumAgprs: 0
; TotalNumVgprs: 0
; ScratchSize: 0
; MemoryBound: 0
; FloatMode: 240
; IeeeMode: 1
; LDSByteSize: 0 bytes/workgroup (compile time only)
; SGPRBlocks: 0
; VGPRBlocks: 0
; NumSGPRsForWavesPerEU: 4
; NumVGPRsForWavesPerEU: 1
; AccumOffset: 4
; Occupancy: 8
; WaveLimiterHint : 0
; COMPUTE_PGM_RSRC2:SCRATCH_EN: 0
; COMPUTE_PGM_RSRC2:USER_SGPR: 6
; COMPUTE_PGM_RSRC2:TRAP_HANDLER: 0
; COMPUTE_PGM_RSRC2:TGID_X_EN: 1
; COMPUTE_PGM_RSRC2:TGID_Y_EN: 0
; COMPUTE_PGM_RSRC2:TGID_Z_EN: 0
; COMPUTE_PGM_RSRC2:TIDIG_COMP_CNT: 0
; COMPUTE_PGM_RSRC3_GFX90A:ACCUM_OFFSET: 0
; COMPUTE_PGM_RSRC3_GFX90A:TG_SPLIT: 0
	.section	.text._ZN7rocprim17ROCPRIM_400000_NS6detail17trampoline_kernelINS0_14default_configENS1_20scan_config_selectorItEEZZNS1_9scan_implILNS1_25lookback_scan_determinismE0ELb0ELb0ES3_N6thrust23THRUST_200600_302600_NS6detail15normal_iteratorINS9_10device_ptrItEEEENS9_16discard_iteratorINS9_11use_defaultEEEtNS9_4plusIvEEtEEDaPvRmT3_T4_T5_mT6_P12ihipStream_tbENKUlT_T0_E_clISt17integral_constantIbLb1EESW_IbLb0EEEEDaSS_ST_EUlSS_E_NS1_11comp_targetILNS1_3genE8ELNS1_11target_archE1030ELNS1_3gpuE2ELNS1_3repE0EEENS1_30default_config_static_selectorELNS0_4arch9wavefront6targetE1EEEvT1_,"axG",@progbits,_ZN7rocprim17ROCPRIM_400000_NS6detail17trampoline_kernelINS0_14default_configENS1_20scan_config_selectorItEEZZNS1_9scan_implILNS1_25lookback_scan_determinismE0ELb0ELb0ES3_N6thrust23THRUST_200600_302600_NS6detail15normal_iteratorINS9_10device_ptrItEEEENS9_16discard_iteratorINS9_11use_defaultEEEtNS9_4plusIvEEtEEDaPvRmT3_T4_T5_mT6_P12ihipStream_tbENKUlT_T0_E_clISt17integral_constantIbLb1EESW_IbLb0EEEEDaSS_ST_EUlSS_E_NS1_11comp_targetILNS1_3genE8ELNS1_11target_archE1030ELNS1_3gpuE2ELNS1_3repE0EEENS1_30default_config_static_selectorELNS0_4arch9wavefront6targetE1EEEvT1_,comdat
	.protected	_ZN7rocprim17ROCPRIM_400000_NS6detail17trampoline_kernelINS0_14default_configENS1_20scan_config_selectorItEEZZNS1_9scan_implILNS1_25lookback_scan_determinismE0ELb0ELb0ES3_N6thrust23THRUST_200600_302600_NS6detail15normal_iteratorINS9_10device_ptrItEEEENS9_16discard_iteratorINS9_11use_defaultEEEtNS9_4plusIvEEtEEDaPvRmT3_T4_T5_mT6_P12ihipStream_tbENKUlT_T0_E_clISt17integral_constantIbLb1EESW_IbLb0EEEEDaSS_ST_EUlSS_E_NS1_11comp_targetILNS1_3genE8ELNS1_11target_archE1030ELNS1_3gpuE2ELNS1_3repE0EEENS1_30default_config_static_selectorELNS0_4arch9wavefront6targetE1EEEvT1_ ; -- Begin function _ZN7rocprim17ROCPRIM_400000_NS6detail17trampoline_kernelINS0_14default_configENS1_20scan_config_selectorItEEZZNS1_9scan_implILNS1_25lookback_scan_determinismE0ELb0ELb0ES3_N6thrust23THRUST_200600_302600_NS6detail15normal_iteratorINS9_10device_ptrItEEEENS9_16discard_iteratorINS9_11use_defaultEEEtNS9_4plusIvEEtEEDaPvRmT3_T4_T5_mT6_P12ihipStream_tbENKUlT_T0_E_clISt17integral_constantIbLb1EESW_IbLb0EEEEDaSS_ST_EUlSS_E_NS1_11comp_targetILNS1_3genE8ELNS1_11target_archE1030ELNS1_3gpuE2ELNS1_3repE0EEENS1_30default_config_static_selectorELNS0_4arch9wavefront6targetE1EEEvT1_
	.globl	_ZN7rocprim17ROCPRIM_400000_NS6detail17trampoline_kernelINS0_14default_configENS1_20scan_config_selectorItEEZZNS1_9scan_implILNS1_25lookback_scan_determinismE0ELb0ELb0ES3_N6thrust23THRUST_200600_302600_NS6detail15normal_iteratorINS9_10device_ptrItEEEENS9_16discard_iteratorINS9_11use_defaultEEEtNS9_4plusIvEEtEEDaPvRmT3_T4_T5_mT6_P12ihipStream_tbENKUlT_T0_E_clISt17integral_constantIbLb1EESW_IbLb0EEEEDaSS_ST_EUlSS_E_NS1_11comp_targetILNS1_3genE8ELNS1_11target_archE1030ELNS1_3gpuE2ELNS1_3repE0EEENS1_30default_config_static_selectorELNS0_4arch9wavefront6targetE1EEEvT1_
	.p2align	8
	.type	_ZN7rocprim17ROCPRIM_400000_NS6detail17trampoline_kernelINS0_14default_configENS1_20scan_config_selectorItEEZZNS1_9scan_implILNS1_25lookback_scan_determinismE0ELb0ELb0ES3_N6thrust23THRUST_200600_302600_NS6detail15normal_iteratorINS9_10device_ptrItEEEENS9_16discard_iteratorINS9_11use_defaultEEEtNS9_4plusIvEEtEEDaPvRmT3_T4_T5_mT6_P12ihipStream_tbENKUlT_T0_E_clISt17integral_constantIbLb1EESW_IbLb0EEEEDaSS_ST_EUlSS_E_NS1_11comp_targetILNS1_3genE8ELNS1_11target_archE1030ELNS1_3gpuE2ELNS1_3repE0EEENS1_30default_config_static_selectorELNS0_4arch9wavefront6targetE1EEEvT1_,@function
_ZN7rocprim17ROCPRIM_400000_NS6detail17trampoline_kernelINS0_14default_configENS1_20scan_config_selectorItEEZZNS1_9scan_implILNS1_25lookback_scan_determinismE0ELb0ELb0ES3_N6thrust23THRUST_200600_302600_NS6detail15normal_iteratorINS9_10device_ptrItEEEENS9_16discard_iteratorINS9_11use_defaultEEEtNS9_4plusIvEEtEEDaPvRmT3_T4_T5_mT6_P12ihipStream_tbENKUlT_T0_E_clISt17integral_constantIbLb1EESW_IbLb0EEEEDaSS_ST_EUlSS_E_NS1_11comp_targetILNS1_3genE8ELNS1_11target_archE1030ELNS1_3gpuE2ELNS1_3repE0EEENS1_30default_config_static_selectorELNS0_4arch9wavefront6targetE1EEEvT1_: ; @_ZN7rocprim17ROCPRIM_400000_NS6detail17trampoline_kernelINS0_14default_configENS1_20scan_config_selectorItEEZZNS1_9scan_implILNS1_25lookback_scan_determinismE0ELb0ELb0ES3_N6thrust23THRUST_200600_302600_NS6detail15normal_iteratorINS9_10device_ptrItEEEENS9_16discard_iteratorINS9_11use_defaultEEEtNS9_4plusIvEEtEEDaPvRmT3_T4_T5_mT6_P12ihipStream_tbENKUlT_T0_E_clISt17integral_constantIbLb1EESW_IbLb0EEEEDaSS_ST_EUlSS_E_NS1_11comp_targetILNS1_3genE8ELNS1_11target_archE1030ELNS1_3gpuE2ELNS1_3repE0EEENS1_30default_config_static_selectorELNS0_4arch9wavefront6targetE1EEEvT1_
; %bb.0:
	.section	.rodata,"a",@progbits
	.p2align	6, 0x0
	.amdhsa_kernel _ZN7rocprim17ROCPRIM_400000_NS6detail17trampoline_kernelINS0_14default_configENS1_20scan_config_selectorItEEZZNS1_9scan_implILNS1_25lookback_scan_determinismE0ELb0ELb0ES3_N6thrust23THRUST_200600_302600_NS6detail15normal_iteratorINS9_10device_ptrItEEEENS9_16discard_iteratorINS9_11use_defaultEEEtNS9_4plusIvEEtEEDaPvRmT3_T4_T5_mT6_P12ihipStream_tbENKUlT_T0_E_clISt17integral_constantIbLb1EESW_IbLb0EEEEDaSS_ST_EUlSS_E_NS1_11comp_targetILNS1_3genE8ELNS1_11target_archE1030ELNS1_3gpuE2ELNS1_3repE0EEENS1_30default_config_static_selectorELNS0_4arch9wavefront6targetE1EEEvT1_
		.amdhsa_group_segment_fixed_size 0
		.amdhsa_private_segment_fixed_size 0
		.amdhsa_kernarg_size 104
		.amdhsa_user_sgpr_count 6
		.amdhsa_user_sgpr_private_segment_buffer 1
		.amdhsa_user_sgpr_dispatch_ptr 0
		.amdhsa_user_sgpr_queue_ptr 0
		.amdhsa_user_sgpr_kernarg_segment_ptr 1
		.amdhsa_user_sgpr_dispatch_id 0
		.amdhsa_user_sgpr_flat_scratch_init 0
		.amdhsa_user_sgpr_kernarg_preload_length 0
		.amdhsa_user_sgpr_kernarg_preload_offset 0
		.amdhsa_user_sgpr_private_segment_size 0
		.amdhsa_uses_dynamic_stack 0
		.amdhsa_system_sgpr_private_segment_wavefront_offset 0
		.amdhsa_system_sgpr_workgroup_id_x 1
		.amdhsa_system_sgpr_workgroup_id_y 0
		.amdhsa_system_sgpr_workgroup_id_z 0
		.amdhsa_system_sgpr_workgroup_info 0
		.amdhsa_system_vgpr_workitem_id 0
		.amdhsa_next_free_vgpr 1
		.amdhsa_next_free_sgpr 0
		.amdhsa_accum_offset 4
		.amdhsa_reserve_vcc 0
		.amdhsa_reserve_flat_scratch 0
		.amdhsa_float_round_mode_32 0
		.amdhsa_float_round_mode_16_64 0
		.amdhsa_float_denorm_mode_32 3
		.amdhsa_float_denorm_mode_16_64 3
		.amdhsa_dx10_clamp 1
		.amdhsa_ieee_mode 1
		.amdhsa_fp16_overflow 0
		.amdhsa_tg_split 0
		.amdhsa_exception_fp_ieee_invalid_op 0
		.amdhsa_exception_fp_denorm_src 0
		.amdhsa_exception_fp_ieee_div_zero 0
		.amdhsa_exception_fp_ieee_overflow 0
		.amdhsa_exception_fp_ieee_underflow 0
		.amdhsa_exception_fp_ieee_inexact 0
		.amdhsa_exception_int_div_zero 0
	.end_amdhsa_kernel
	.section	.text._ZN7rocprim17ROCPRIM_400000_NS6detail17trampoline_kernelINS0_14default_configENS1_20scan_config_selectorItEEZZNS1_9scan_implILNS1_25lookback_scan_determinismE0ELb0ELb0ES3_N6thrust23THRUST_200600_302600_NS6detail15normal_iteratorINS9_10device_ptrItEEEENS9_16discard_iteratorINS9_11use_defaultEEEtNS9_4plusIvEEtEEDaPvRmT3_T4_T5_mT6_P12ihipStream_tbENKUlT_T0_E_clISt17integral_constantIbLb1EESW_IbLb0EEEEDaSS_ST_EUlSS_E_NS1_11comp_targetILNS1_3genE8ELNS1_11target_archE1030ELNS1_3gpuE2ELNS1_3repE0EEENS1_30default_config_static_selectorELNS0_4arch9wavefront6targetE1EEEvT1_,"axG",@progbits,_ZN7rocprim17ROCPRIM_400000_NS6detail17trampoline_kernelINS0_14default_configENS1_20scan_config_selectorItEEZZNS1_9scan_implILNS1_25lookback_scan_determinismE0ELb0ELb0ES3_N6thrust23THRUST_200600_302600_NS6detail15normal_iteratorINS9_10device_ptrItEEEENS9_16discard_iteratorINS9_11use_defaultEEEtNS9_4plusIvEEtEEDaPvRmT3_T4_T5_mT6_P12ihipStream_tbENKUlT_T0_E_clISt17integral_constantIbLb1EESW_IbLb0EEEEDaSS_ST_EUlSS_E_NS1_11comp_targetILNS1_3genE8ELNS1_11target_archE1030ELNS1_3gpuE2ELNS1_3repE0EEENS1_30default_config_static_selectorELNS0_4arch9wavefront6targetE1EEEvT1_,comdat
.Lfunc_end5482:
	.size	_ZN7rocprim17ROCPRIM_400000_NS6detail17trampoline_kernelINS0_14default_configENS1_20scan_config_selectorItEEZZNS1_9scan_implILNS1_25lookback_scan_determinismE0ELb0ELb0ES3_N6thrust23THRUST_200600_302600_NS6detail15normal_iteratorINS9_10device_ptrItEEEENS9_16discard_iteratorINS9_11use_defaultEEEtNS9_4plusIvEEtEEDaPvRmT3_T4_T5_mT6_P12ihipStream_tbENKUlT_T0_E_clISt17integral_constantIbLb1EESW_IbLb0EEEEDaSS_ST_EUlSS_E_NS1_11comp_targetILNS1_3genE8ELNS1_11target_archE1030ELNS1_3gpuE2ELNS1_3repE0EEENS1_30default_config_static_selectorELNS0_4arch9wavefront6targetE1EEEvT1_, .Lfunc_end5482-_ZN7rocprim17ROCPRIM_400000_NS6detail17trampoline_kernelINS0_14default_configENS1_20scan_config_selectorItEEZZNS1_9scan_implILNS1_25lookback_scan_determinismE0ELb0ELb0ES3_N6thrust23THRUST_200600_302600_NS6detail15normal_iteratorINS9_10device_ptrItEEEENS9_16discard_iteratorINS9_11use_defaultEEEtNS9_4plusIvEEtEEDaPvRmT3_T4_T5_mT6_P12ihipStream_tbENKUlT_T0_E_clISt17integral_constantIbLb1EESW_IbLb0EEEEDaSS_ST_EUlSS_E_NS1_11comp_targetILNS1_3genE8ELNS1_11target_archE1030ELNS1_3gpuE2ELNS1_3repE0EEENS1_30default_config_static_selectorELNS0_4arch9wavefront6targetE1EEEvT1_
                                        ; -- End function
	.section	.AMDGPU.csdata,"",@progbits
; Kernel info:
; codeLenInByte = 0
; NumSgprs: 4
; NumVgprs: 0
; NumAgprs: 0
; TotalNumVgprs: 0
; ScratchSize: 0
; MemoryBound: 0
; FloatMode: 240
; IeeeMode: 1
; LDSByteSize: 0 bytes/workgroup (compile time only)
; SGPRBlocks: 0
; VGPRBlocks: 0
; NumSGPRsForWavesPerEU: 4
; NumVGPRsForWavesPerEU: 1
; AccumOffset: 4
; Occupancy: 8
; WaveLimiterHint : 0
; COMPUTE_PGM_RSRC2:SCRATCH_EN: 0
; COMPUTE_PGM_RSRC2:USER_SGPR: 6
; COMPUTE_PGM_RSRC2:TRAP_HANDLER: 0
; COMPUTE_PGM_RSRC2:TGID_X_EN: 1
; COMPUTE_PGM_RSRC2:TGID_Y_EN: 0
; COMPUTE_PGM_RSRC2:TGID_Z_EN: 0
; COMPUTE_PGM_RSRC2:TIDIG_COMP_CNT: 0
; COMPUTE_PGM_RSRC3_GFX90A:ACCUM_OFFSET: 0
; COMPUTE_PGM_RSRC3_GFX90A:TG_SPLIT: 0
	.section	.text._ZN7rocprim17ROCPRIM_400000_NS6detail17trampoline_kernelINS0_14default_configENS1_20scan_config_selectorItEEZZNS1_9scan_implILNS1_25lookback_scan_determinismE0ELb0ELb0ES3_N6thrust23THRUST_200600_302600_NS6detail15normal_iteratorINS9_10device_ptrItEEEENS9_16discard_iteratorINS9_11use_defaultEEEtNS9_4plusIvEEtEEDaPvRmT3_T4_T5_mT6_P12ihipStream_tbENKUlT_T0_E_clISt17integral_constantIbLb1EESW_IbLb0EEEEDaSS_ST_EUlSS_E0_NS1_11comp_targetILNS1_3genE0ELNS1_11target_archE4294967295ELNS1_3gpuE0ELNS1_3repE0EEENS1_30default_config_static_selectorELNS0_4arch9wavefront6targetE1EEEvT1_,"axG",@progbits,_ZN7rocprim17ROCPRIM_400000_NS6detail17trampoline_kernelINS0_14default_configENS1_20scan_config_selectorItEEZZNS1_9scan_implILNS1_25lookback_scan_determinismE0ELb0ELb0ES3_N6thrust23THRUST_200600_302600_NS6detail15normal_iteratorINS9_10device_ptrItEEEENS9_16discard_iteratorINS9_11use_defaultEEEtNS9_4plusIvEEtEEDaPvRmT3_T4_T5_mT6_P12ihipStream_tbENKUlT_T0_E_clISt17integral_constantIbLb1EESW_IbLb0EEEEDaSS_ST_EUlSS_E0_NS1_11comp_targetILNS1_3genE0ELNS1_11target_archE4294967295ELNS1_3gpuE0ELNS1_3repE0EEENS1_30default_config_static_selectorELNS0_4arch9wavefront6targetE1EEEvT1_,comdat
	.protected	_ZN7rocprim17ROCPRIM_400000_NS6detail17trampoline_kernelINS0_14default_configENS1_20scan_config_selectorItEEZZNS1_9scan_implILNS1_25lookback_scan_determinismE0ELb0ELb0ES3_N6thrust23THRUST_200600_302600_NS6detail15normal_iteratorINS9_10device_ptrItEEEENS9_16discard_iteratorINS9_11use_defaultEEEtNS9_4plusIvEEtEEDaPvRmT3_T4_T5_mT6_P12ihipStream_tbENKUlT_T0_E_clISt17integral_constantIbLb1EESW_IbLb0EEEEDaSS_ST_EUlSS_E0_NS1_11comp_targetILNS1_3genE0ELNS1_11target_archE4294967295ELNS1_3gpuE0ELNS1_3repE0EEENS1_30default_config_static_selectorELNS0_4arch9wavefront6targetE1EEEvT1_ ; -- Begin function _ZN7rocprim17ROCPRIM_400000_NS6detail17trampoline_kernelINS0_14default_configENS1_20scan_config_selectorItEEZZNS1_9scan_implILNS1_25lookback_scan_determinismE0ELb0ELb0ES3_N6thrust23THRUST_200600_302600_NS6detail15normal_iteratorINS9_10device_ptrItEEEENS9_16discard_iteratorINS9_11use_defaultEEEtNS9_4plusIvEEtEEDaPvRmT3_T4_T5_mT6_P12ihipStream_tbENKUlT_T0_E_clISt17integral_constantIbLb1EESW_IbLb0EEEEDaSS_ST_EUlSS_E0_NS1_11comp_targetILNS1_3genE0ELNS1_11target_archE4294967295ELNS1_3gpuE0ELNS1_3repE0EEENS1_30default_config_static_selectorELNS0_4arch9wavefront6targetE1EEEvT1_
	.globl	_ZN7rocprim17ROCPRIM_400000_NS6detail17trampoline_kernelINS0_14default_configENS1_20scan_config_selectorItEEZZNS1_9scan_implILNS1_25lookback_scan_determinismE0ELb0ELb0ES3_N6thrust23THRUST_200600_302600_NS6detail15normal_iteratorINS9_10device_ptrItEEEENS9_16discard_iteratorINS9_11use_defaultEEEtNS9_4plusIvEEtEEDaPvRmT3_T4_T5_mT6_P12ihipStream_tbENKUlT_T0_E_clISt17integral_constantIbLb1EESW_IbLb0EEEEDaSS_ST_EUlSS_E0_NS1_11comp_targetILNS1_3genE0ELNS1_11target_archE4294967295ELNS1_3gpuE0ELNS1_3repE0EEENS1_30default_config_static_selectorELNS0_4arch9wavefront6targetE1EEEvT1_
	.p2align	8
	.type	_ZN7rocprim17ROCPRIM_400000_NS6detail17trampoline_kernelINS0_14default_configENS1_20scan_config_selectorItEEZZNS1_9scan_implILNS1_25lookback_scan_determinismE0ELb0ELb0ES3_N6thrust23THRUST_200600_302600_NS6detail15normal_iteratorINS9_10device_ptrItEEEENS9_16discard_iteratorINS9_11use_defaultEEEtNS9_4plusIvEEtEEDaPvRmT3_T4_T5_mT6_P12ihipStream_tbENKUlT_T0_E_clISt17integral_constantIbLb1EESW_IbLb0EEEEDaSS_ST_EUlSS_E0_NS1_11comp_targetILNS1_3genE0ELNS1_11target_archE4294967295ELNS1_3gpuE0ELNS1_3repE0EEENS1_30default_config_static_selectorELNS0_4arch9wavefront6targetE1EEEvT1_,@function
_ZN7rocprim17ROCPRIM_400000_NS6detail17trampoline_kernelINS0_14default_configENS1_20scan_config_selectorItEEZZNS1_9scan_implILNS1_25lookback_scan_determinismE0ELb0ELb0ES3_N6thrust23THRUST_200600_302600_NS6detail15normal_iteratorINS9_10device_ptrItEEEENS9_16discard_iteratorINS9_11use_defaultEEEtNS9_4plusIvEEtEEDaPvRmT3_T4_T5_mT6_P12ihipStream_tbENKUlT_T0_E_clISt17integral_constantIbLb1EESW_IbLb0EEEEDaSS_ST_EUlSS_E0_NS1_11comp_targetILNS1_3genE0ELNS1_11target_archE4294967295ELNS1_3gpuE0ELNS1_3repE0EEENS1_30default_config_static_selectorELNS0_4arch9wavefront6targetE1EEEvT1_: ; @_ZN7rocprim17ROCPRIM_400000_NS6detail17trampoline_kernelINS0_14default_configENS1_20scan_config_selectorItEEZZNS1_9scan_implILNS1_25lookback_scan_determinismE0ELb0ELb0ES3_N6thrust23THRUST_200600_302600_NS6detail15normal_iteratorINS9_10device_ptrItEEEENS9_16discard_iteratorINS9_11use_defaultEEEtNS9_4plusIvEEtEEDaPvRmT3_T4_T5_mT6_P12ihipStream_tbENKUlT_T0_E_clISt17integral_constantIbLb1EESW_IbLb0EEEEDaSS_ST_EUlSS_E0_NS1_11comp_targetILNS1_3genE0ELNS1_11target_archE4294967295ELNS1_3gpuE0ELNS1_3repE0EEENS1_30default_config_static_selectorELNS0_4arch9wavefront6targetE1EEEvT1_
; %bb.0:
	.section	.rodata,"a",@progbits
	.p2align	6, 0x0
	.amdhsa_kernel _ZN7rocprim17ROCPRIM_400000_NS6detail17trampoline_kernelINS0_14default_configENS1_20scan_config_selectorItEEZZNS1_9scan_implILNS1_25lookback_scan_determinismE0ELb0ELb0ES3_N6thrust23THRUST_200600_302600_NS6detail15normal_iteratorINS9_10device_ptrItEEEENS9_16discard_iteratorINS9_11use_defaultEEEtNS9_4plusIvEEtEEDaPvRmT3_T4_T5_mT6_P12ihipStream_tbENKUlT_T0_E_clISt17integral_constantIbLb1EESW_IbLb0EEEEDaSS_ST_EUlSS_E0_NS1_11comp_targetILNS1_3genE0ELNS1_11target_archE4294967295ELNS1_3gpuE0ELNS1_3repE0EEENS1_30default_config_static_selectorELNS0_4arch9wavefront6targetE1EEEvT1_
		.amdhsa_group_segment_fixed_size 0
		.amdhsa_private_segment_fixed_size 0
		.amdhsa_kernarg_size 40
		.amdhsa_user_sgpr_count 6
		.amdhsa_user_sgpr_private_segment_buffer 1
		.amdhsa_user_sgpr_dispatch_ptr 0
		.amdhsa_user_sgpr_queue_ptr 0
		.amdhsa_user_sgpr_kernarg_segment_ptr 1
		.amdhsa_user_sgpr_dispatch_id 0
		.amdhsa_user_sgpr_flat_scratch_init 0
		.amdhsa_user_sgpr_kernarg_preload_length 0
		.amdhsa_user_sgpr_kernarg_preload_offset 0
		.amdhsa_user_sgpr_private_segment_size 0
		.amdhsa_uses_dynamic_stack 0
		.amdhsa_system_sgpr_private_segment_wavefront_offset 0
		.amdhsa_system_sgpr_workgroup_id_x 1
		.amdhsa_system_sgpr_workgroup_id_y 0
		.amdhsa_system_sgpr_workgroup_id_z 0
		.amdhsa_system_sgpr_workgroup_info 0
		.amdhsa_system_vgpr_workitem_id 0
		.amdhsa_next_free_vgpr 1
		.amdhsa_next_free_sgpr 0
		.amdhsa_accum_offset 4
		.amdhsa_reserve_vcc 0
		.amdhsa_reserve_flat_scratch 0
		.amdhsa_float_round_mode_32 0
		.amdhsa_float_round_mode_16_64 0
		.amdhsa_float_denorm_mode_32 3
		.amdhsa_float_denorm_mode_16_64 3
		.amdhsa_dx10_clamp 1
		.amdhsa_ieee_mode 1
		.amdhsa_fp16_overflow 0
		.amdhsa_tg_split 0
		.amdhsa_exception_fp_ieee_invalid_op 0
		.amdhsa_exception_fp_denorm_src 0
		.amdhsa_exception_fp_ieee_div_zero 0
		.amdhsa_exception_fp_ieee_overflow 0
		.amdhsa_exception_fp_ieee_underflow 0
		.amdhsa_exception_fp_ieee_inexact 0
		.amdhsa_exception_int_div_zero 0
	.end_amdhsa_kernel
	.section	.text._ZN7rocprim17ROCPRIM_400000_NS6detail17trampoline_kernelINS0_14default_configENS1_20scan_config_selectorItEEZZNS1_9scan_implILNS1_25lookback_scan_determinismE0ELb0ELb0ES3_N6thrust23THRUST_200600_302600_NS6detail15normal_iteratorINS9_10device_ptrItEEEENS9_16discard_iteratorINS9_11use_defaultEEEtNS9_4plusIvEEtEEDaPvRmT3_T4_T5_mT6_P12ihipStream_tbENKUlT_T0_E_clISt17integral_constantIbLb1EESW_IbLb0EEEEDaSS_ST_EUlSS_E0_NS1_11comp_targetILNS1_3genE0ELNS1_11target_archE4294967295ELNS1_3gpuE0ELNS1_3repE0EEENS1_30default_config_static_selectorELNS0_4arch9wavefront6targetE1EEEvT1_,"axG",@progbits,_ZN7rocprim17ROCPRIM_400000_NS6detail17trampoline_kernelINS0_14default_configENS1_20scan_config_selectorItEEZZNS1_9scan_implILNS1_25lookback_scan_determinismE0ELb0ELb0ES3_N6thrust23THRUST_200600_302600_NS6detail15normal_iteratorINS9_10device_ptrItEEEENS9_16discard_iteratorINS9_11use_defaultEEEtNS9_4plusIvEEtEEDaPvRmT3_T4_T5_mT6_P12ihipStream_tbENKUlT_T0_E_clISt17integral_constantIbLb1EESW_IbLb0EEEEDaSS_ST_EUlSS_E0_NS1_11comp_targetILNS1_3genE0ELNS1_11target_archE4294967295ELNS1_3gpuE0ELNS1_3repE0EEENS1_30default_config_static_selectorELNS0_4arch9wavefront6targetE1EEEvT1_,comdat
.Lfunc_end5483:
	.size	_ZN7rocprim17ROCPRIM_400000_NS6detail17trampoline_kernelINS0_14default_configENS1_20scan_config_selectorItEEZZNS1_9scan_implILNS1_25lookback_scan_determinismE0ELb0ELb0ES3_N6thrust23THRUST_200600_302600_NS6detail15normal_iteratorINS9_10device_ptrItEEEENS9_16discard_iteratorINS9_11use_defaultEEEtNS9_4plusIvEEtEEDaPvRmT3_T4_T5_mT6_P12ihipStream_tbENKUlT_T0_E_clISt17integral_constantIbLb1EESW_IbLb0EEEEDaSS_ST_EUlSS_E0_NS1_11comp_targetILNS1_3genE0ELNS1_11target_archE4294967295ELNS1_3gpuE0ELNS1_3repE0EEENS1_30default_config_static_selectorELNS0_4arch9wavefront6targetE1EEEvT1_, .Lfunc_end5483-_ZN7rocprim17ROCPRIM_400000_NS6detail17trampoline_kernelINS0_14default_configENS1_20scan_config_selectorItEEZZNS1_9scan_implILNS1_25lookback_scan_determinismE0ELb0ELb0ES3_N6thrust23THRUST_200600_302600_NS6detail15normal_iteratorINS9_10device_ptrItEEEENS9_16discard_iteratorINS9_11use_defaultEEEtNS9_4plusIvEEtEEDaPvRmT3_T4_T5_mT6_P12ihipStream_tbENKUlT_T0_E_clISt17integral_constantIbLb1EESW_IbLb0EEEEDaSS_ST_EUlSS_E0_NS1_11comp_targetILNS1_3genE0ELNS1_11target_archE4294967295ELNS1_3gpuE0ELNS1_3repE0EEENS1_30default_config_static_selectorELNS0_4arch9wavefront6targetE1EEEvT1_
                                        ; -- End function
	.section	.AMDGPU.csdata,"",@progbits
; Kernel info:
; codeLenInByte = 0
; NumSgprs: 4
; NumVgprs: 0
; NumAgprs: 0
; TotalNumVgprs: 0
; ScratchSize: 0
; MemoryBound: 0
; FloatMode: 240
; IeeeMode: 1
; LDSByteSize: 0 bytes/workgroup (compile time only)
; SGPRBlocks: 0
; VGPRBlocks: 0
; NumSGPRsForWavesPerEU: 4
; NumVGPRsForWavesPerEU: 1
; AccumOffset: 4
; Occupancy: 8
; WaveLimiterHint : 0
; COMPUTE_PGM_RSRC2:SCRATCH_EN: 0
; COMPUTE_PGM_RSRC2:USER_SGPR: 6
; COMPUTE_PGM_RSRC2:TRAP_HANDLER: 0
; COMPUTE_PGM_RSRC2:TGID_X_EN: 1
; COMPUTE_PGM_RSRC2:TGID_Y_EN: 0
; COMPUTE_PGM_RSRC2:TGID_Z_EN: 0
; COMPUTE_PGM_RSRC2:TIDIG_COMP_CNT: 0
; COMPUTE_PGM_RSRC3_GFX90A:ACCUM_OFFSET: 0
; COMPUTE_PGM_RSRC3_GFX90A:TG_SPLIT: 0
	.section	.text._ZN7rocprim17ROCPRIM_400000_NS6detail17trampoline_kernelINS0_14default_configENS1_20scan_config_selectorItEEZZNS1_9scan_implILNS1_25lookback_scan_determinismE0ELb0ELb0ES3_N6thrust23THRUST_200600_302600_NS6detail15normal_iteratorINS9_10device_ptrItEEEENS9_16discard_iteratorINS9_11use_defaultEEEtNS9_4plusIvEEtEEDaPvRmT3_T4_T5_mT6_P12ihipStream_tbENKUlT_T0_E_clISt17integral_constantIbLb1EESW_IbLb0EEEEDaSS_ST_EUlSS_E0_NS1_11comp_targetILNS1_3genE5ELNS1_11target_archE942ELNS1_3gpuE9ELNS1_3repE0EEENS1_30default_config_static_selectorELNS0_4arch9wavefront6targetE1EEEvT1_,"axG",@progbits,_ZN7rocprim17ROCPRIM_400000_NS6detail17trampoline_kernelINS0_14default_configENS1_20scan_config_selectorItEEZZNS1_9scan_implILNS1_25lookback_scan_determinismE0ELb0ELb0ES3_N6thrust23THRUST_200600_302600_NS6detail15normal_iteratorINS9_10device_ptrItEEEENS9_16discard_iteratorINS9_11use_defaultEEEtNS9_4plusIvEEtEEDaPvRmT3_T4_T5_mT6_P12ihipStream_tbENKUlT_T0_E_clISt17integral_constantIbLb1EESW_IbLb0EEEEDaSS_ST_EUlSS_E0_NS1_11comp_targetILNS1_3genE5ELNS1_11target_archE942ELNS1_3gpuE9ELNS1_3repE0EEENS1_30default_config_static_selectorELNS0_4arch9wavefront6targetE1EEEvT1_,comdat
	.protected	_ZN7rocprim17ROCPRIM_400000_NS6detail17trampoline_kernelINS0_14default_configENS1_20scan_config_selectorItEEZZNS1_9scan_implILNS1_25lookback_scan_determinismE0ELb0ELb0ES3_N6thrust23THRUST_200600_302600_NS6detail15normal_iteratorINS9_10device_ptrItEEEENS9_16discard_iteratorINS9_11use_defaultEEEtNS9_4plusIvEEtEEDaPvRmT3_T4_T5_mT6_P12ihipStream_tbENKUlT_T0_E_clISt17integral_constantIbLb1EESW_IbLb0EEEEDaSS_ST_EUlSS_E0_NS1_11comp_targetILNS1_3genE5ELNS1_11target_archE942ELNS1_3gpuE9ELNS1_3repE0EEENS1_30default_config_static_selectorELNS0_4arch9wavefront6targetE1EEEvT1_ ; -- Begin function _ZN7rocprim17ROCPRIM_400000_NS6detail17trampoline_kernelINS0_14default_configENS1_20scan_config_selectorItEEZZNS1_9scan_implILNS1_25lookback_scan_determinismE0ELb0ELb0ES3_N6thrust23THRUST_200600_302600_NS6detail15normal_iteratorINS9_10device_ptrItEEEENS9_16discard_iteratorINS9_11use_defaultEEEtNS9_4plusIvEEtEEDaPvRmT3_T4_T5_mT6_P12ihipStream_tbENKUlT_T0_E_clISt17integral_constantIbLb1EESW_IbLb0EEEEDaSS_ST_EUlSS_E0_NS1_11comp_targetILNS1_3genE5ELNS1_11target_archE942ELNS1_3gpuE9ELNS1_3repE0EEENS1_30default_config_static_selectorELNS0_4arch9wavefront6targetE1EEEvT1_
	.globl	_ZN7rocprim17ROCPRIM_400000_NS6detail17trampoline_kernelINS0_14default_configENS1_20scan_config_selectorItEEZZNS1_9scan_implILNS1_25lookback_scan_determinismE0ELb0ELb0ES3_N6thrust23THRUST_200600_302600_NS6detail15normal_iteratorINS9_10device_ptrItEEEENS9_16discard_iteratorINS9_11use_defaultEEEtNS9_4plusIvEEtEEDaPvRmT3_T4_T5_mT6_P12ihipStream_tbENKUlT_T0_E_clISt17integral_constantIbLb1EESW_IbLb0EEEEDaSS_ST_EUlSS_E0_NS1_11comp_targetILNS1_3genE5ELNS1_11target_archE942ELNS1_3gpuE9ELNS1_3repE0EEENS1_30default_config_static_selectorELNS0_4arch9wavefront6targetE1EEEvT1_
	.p2align	8
	.type	_ZN7rocprim17ROCPRIM_400000_NS6detail17trampoline_kernelINS0_14default_configENS1_20scan_config_selectorItEEZZNS1_9scan_implILNS1_25lookback_scan_determinismE0ELb0ELb0ES3_N6thrust23THRUST_200600_302600_NS6detail15normal_iteratorINS9_10device_ptrItEEEENS9_16discard_iteratorINS9_11use_defaultEEEtNS9_4plusIvEEtEEDaPvRmT3_T4_T5_mT6_P12ihipStream_tbENKUlT_T0_E_clISt17integral_constantIbLb1EESW_IbLb0EEEEDaSS_ST_EUlSS_E0_NS1_11comp_targetILNS1_3genE5ELNS1_11target_archE942ELNS1_3gpuE9ELNS1_3repE0EEENS1_30default_config_static_selectorELNS0_4arch9wavefront6targetE1EEEvT1_,@function
_ZN7rocprim17ROCPRIM_400000_NS6detail17trampoline_kernelINS0_14default_configENS1_20scan_config_selectorItEEZZNS1_9scan_implILNS1_25lookback_scan_determinismE0ELb0ELb0ES3_N6thrust23THRUST_200600_302600_NS6detail15normal_iteratorINS9_10device_ptrItEEEENS9_16discard_iteratorINS9_11use_defaultEEEtNS9_4plusIvEEtEEDaPvRmT3_T4_T5_mT6_P12ihipStream_tbENKUlT_T0_E_clISt17integral_constantIbLb1EESW_IbLb0EEEEDaSS_ST_EUlSS_E0_NS1_11comp_targetILNS1_3genE5ELNS1_11target_archE942ELNS1_3gpuE9ELNS1_3repE0EEENS1_30default_config_static_selectorELNS0_4arch9wavefront6targetE1EEEvT1_: ; @_ZN7rocprim17ROCPRIM_400000_NS6detail17trampoline_kernelINS0_14default_configENS1_20scan_config_selectorItEEZZNS1_9scan_implILNS1_25lookback_scan_determinismE0ELb0ELb0ES3_N6thrust23THRUST_200600_302600_NS6detail15normal_iteratorINS9_10device_ptrItEEEENS9_16discard_iteratorINS9_11use_defaultEEEtNS9_4plusIvEEtEEDaPvRmT3_T4_T5_mT6_P12ihipStream_tbENKUlT_T0_E_clISt17integral_constantIbLb1EESW_IbLb0EEEEDaSS_ST_EUlSS_E0_NS1_11comp_targetILNS1_3genE5ELNS1_11target_archE942ELNS1_3gpuE9ELNS1_3repE0EEENS1_30default_config_static_selectorELNS0_4arch9wavefront6targetE1EEEvT1_
; %bb.0:
	.section	.rodata,"a",@progbits
	.p2align	6, 0x0
	.amdhsa_kernel _ZN7rocprim17ROCPRIM_400000_NS6detail17trampoline_kernelINS0_14default_configENS1_20scan_config_selectorItEEZZNS1_9scan_implILNS1_25lookback_scan_determinismE0ELb0ELb0ES3_N6thrust23THRUST_200600_302600_NS6detail15normal_iteratorINS9_10device_ptrItEEEENS9_16discard_iteratorINS9_11use_defaultEEEtNS9_4plusIvEEtEEDaPvRmT3_T4_T5_mT6_P12ihipStream_tbENKUlT_T0_E_clISt17integral_constantIbLb1EESW_IbLb0EEEEDaSS_ST_EUlSS_E0_NS1_11comp_targetILNS1_3genE5ELNS1_11target_archE942ELNS1_3gpuE9ELNS1_3repE0EEENS1_30default_config_static_selectorELNS0_4arch9wavefront6targetE1EEEvT1_
		.amdhsa_group_segment_fixed_size 0
		.amdhsa_private_segment_fixed_size 0
		.amdhsa_kernarg_size 40
		.amdhsa_user_sgpr_count 6
		.amdhsa_user_sgpr_private_segment_buffer 1
		.amdhsa_user_sgpr_dispatch_ptr 0
		.amdhsa_user_sgpr_queue_ptr 0
		.amdhsa_user_sgpr_kernarg_segment_ptr 1
		.amdhsa_user_sgpr_dispatch_id 0
		.amdhsa_user_sgpr_flat_scratch_init 0
		.amdhsa_user_sgpr_kernarg_preload_length 0
		.amdhsa_user_sgpr_kernarg_preload_offset 0
		.amdhsa_user_sgpr_private_segment_size 0
		.amdhsa_uses_dynamic_stack 0
		.amdhsa_system_sgpr_private_segment_wavefront_offset 0
		.amdhsa_system_sgpr_workgroup_id_x 1
		.amdhsa_system_sgpr_workgroup_id_y 0
		.amdhsa_system_sgpr_workgroup_id_z 0
		.amdhsa_system_sgpr_workgroup_info 0
		.amdhsa_system_vgpr_workitem_id 0
		.amdhsa_next_free_vgpr 1
		.amdhsa_next_free_sgpr 0
		.amdhsa_accum_offset 4
		.amdhsa_reserve_vcc 0
		.amdhsa_reserve_flat_scratch 0
		.amdhsa_float_round_mode_32 0
		.amdhsa_float_round_mode_16_64 0
		.amdhsa_float_denorm_mode_32 3
		.amdhsa_float_denorm_mode_16_64 3
		.amdhsa_dx10_clamp 1
		.amdhsa_ieee_mode 1
		.amdhsa_fp16_overflow 0
		.amdhsa_tg_split 0
		.amdhsa_exception_fp_ieee_invalid_op 0
		.amdhsa_exception_fp_denorm_src 0
		.amdhsa_exception_fp_ieee_div_zero 0
		.amdhsa_exception_fp_ieee_overflow 0
		.amdhsa_exception_fp_ieee_underflow 0
		.amdhsa_exception_fp_ieee_inexact 0
		.amdhsa_exception_int_div_zero 0
	.end_amdhsa_kernel
	.section	.text._ZN7rocprim17ROCPRIM_400000_NS6detail17trampoline_kernelINS0_14default_configENS1_20scan_config_selectorItEEZZNS1_9scan_implILNS1_25lookback_scan_determinismE0ELb0ELb0ES3_N6thrust23THRUST_200600_302600_NS6detail15normal_iteratorINS9_10device_ptrItEEEENS9_16discard_iteratorINS9_11use_defaultEEEtNS9_4plusIvEEtEEDaPvRmT3_T4_T5_mT6_P12ihipStream_tbENKUlT_T0_E_clISt17integral_constantIbLb1EESW_IbLb0EEEEDaSS_ST_EUlSS_E0_NS1_11comp_targetILNS1_3genE5ELNS1_11target_archE942ELNS1_3gpuE9ELNS1_3repE0EEENS1_30default_config_static_selectorELNS0_4arch9wavefront6targetE1EEEvT1_,"axG",@progbits,_ZN7rocprim17ROCPRIM_400000_NS6detail17trampoline_kernelINS0_14default_configENS1_20scan_config_selectorItEEZZNS1_9scan_implILNS1_25lookback_scan_determinismE0ELb0ELb0ES3_N6thrust23THRUST_200600_302600_NS6detail15normal_iteratorINS9_10device_ptrItEEEENS9_16discard_iteratorINS9_11use_defaultEEEtNS9_4plusIvEEtEEDaPvRmT3_T4_T5_mT6_P12ihipStream_tbENKUlT_T0_E_clISt17integral_constantIbLb1EESW_IbLb0EEEEDaSS_ST_EUlSS_E0_NS1_11comp_targetILNS1_3genE5ELNS1_11target_archE942ELNS1_3gpuE9ELNS1_3repE0EEENS1_30default_config_static_selectorELNS0_4arch9wavefront6targetE1EEEvT1_,comdat
.Lfunc_end5484:
	.size	_ZN7rocprim17ROCPRIM_400000_NS6detail17trampoline_kernelINS0_14default_configENS1_20scan_config_selectorItEEZZNS1_9scan_implILNS1_25lookback_scan_determinismE0ELb0ELb0ES3_N6thrust23THRUST_200600_302600_NS6detail15normal_iteratorINS9_10device_ptrItEEEENS9_16discard_iteratorINS9_11use_defaultEEEtNS9_4plusIvEEtEEDaPvRmT3_T4_T5_mT6_P12ihipStream_tbENKUlT_T0_E_clISt17integral_constantIbLb1EESW_IbLb0EEEEDaSS_ST_EUlSS_E0_NS1_11comp_targetILNS1_3genE5ELNS1_11target_archE942ELNS1_3gpuE9ELNS1_3repE0EEENS1_30default_config_static_selectorELNS0_4arch9wavefront6targetE1EEEvT1_, .Lfunc_end5484-_ZN7rocprim17ROCPRIM_400000_NS6detail17trampoline_kernelINS0_14default_configENS1_20scan_config_selectorItEEZZNS1_9scan_implILNS1_25lookback_scan_determinismE0ELb0ELb0ES3_N6thrust23THRUST_200600_302600_NS6detail15normal_iteratorINS9_10device_ptrItEEEENS9_16discard_iteratorINS9_11use_defaultEEEtNS9_4plusIvEEtEEDaPvRmT3_T4_T5_mT6_P12ihipStream_tbENKUlT_T0_E_clISt17integral_constantIbLb1EESW_IbLb0EEEEDaSS_ST_EUlSS_E0_NS1_11comp_targetILNS1_3genE5ELNS1_11target_archE942ELNS1_3gpuE9ELNS1_3repE0EEENS1_30default_config_static_selectorELNS0_4arch9wavefront6targetE1EEEvT1_
                                        ; -- End function
	.section	.AMDGPU.csdata,"",@progbits
; Kernel info:
; codeLenInByte = 0
; NumSgprs: 4
; NumVgprs: 0
; NumAgprs: 0
; TotalNumVgprs: 0
; ScratchSize: 0
; MemoryBound: 0
; FloatMode: 240
; IeeeMode: 1
; LDSByteSize: 0 bytes/workgroup (compile time only)
; SGPRBlocks: 0
; VGPRBlocks: 0
; NumSGPRsForWavesPerEU: 4
; NumVGPRsForWavesPerEU: 1
; AccumOffset: 4
; Occupancy: 8
; WaveLimiterHint : 0
; COMPUTE_PGM_RSRC2:SCRATCH_EN: 0
; COMPUTE_PGM_RSRC2:USER_SGPR: 6
; COMPUTE_PGM_RSRC2:TRAP_HANDLER: 0
; COMPUTE_PGM_RSRC2:TGID_X_EN: 1
; COMPUTE_PGM_RSRC2:TGID_Y_EN: 0
; COMPUTE_PGM_RSRC2:TGID_Z_EN: 0
; COMPUTE_PGM_RSRC2:TIDIG_COMP_CNT: 0
; COMPUTE_PGM_RSRC3_GFX90A:ACCUM_OFFSET: 0
; COMPUTE_PGM_RSRC3_GFX90A:TG_SPLIT: 0
	.section	.text._ZN7rocprim17ROCPRIM_400000_NS6detail17trampoline_kernelINS0_14default_configENS1_20scan_config_selectorItEEZZNS1_9scan_implILNS1_25lookback_scan_determinismE0ELb0ELb0ES3_N6thrust23THRUST_200600_302600_NS6detail15normal_iteratorINS9_10device_ptrItEEEENS9_16discard_iteratorINS9_11use_defaultEEEtNS9_4plusIvEEtEEDaPvRmT3_T4_T5_mT6_P12ihipStream_tbENKUlT_T0_E_clISt17integral_constantIbLb1EESW_IbLb0EEEEDaSS_ST_EUlSS_E0_NS1_11comp_targetILNS1_3genE4ELNS1_11target_archE910ELNS1_3gpuE8ELNS1_3repE0EEENS1_30default_config_static_selectorELNS0_4arch9wavefront6targetE1EEEvT1_,"axG",@progbits,_ZN7rocprim17ROCPRIM_400000_NS6detail17trampoline_kernelINS0_14default_configENS1_20scan_config_selectorItEEZZNS1_9scan_implILNS1_25lookback_scan_determinismE0ELb0ELb0ES3_N6thrust23THRUST_200600_302600_NS6detail15normal_iteratorINS9_10device_ptrItEEEENS9_16discard_iteratorINS9_11use_defaultEEEtNS9_4plusIvEEtEEDaPvRmT3_T4_T5_mT6_P12ihipStream_tbENKUlT_T0_E_clISt17integral_constantIbLb1EESW_IbLb0EEEEDaSS_ST_EUlSS_E0_NS1_11comp_targetILNS1_3genE4ELNS1_11target_archE910ELNS1_3gpuE8ELNS1_3repE0EEENS1_30default_config_static_selectorELNS0_4arch9wavefront6targetE1EEEvT1_,comdat
	.protected	_ZN7rocprim17ROCPRIM_400000_NS6detail17trampoline_kernelINS0_14default_configENS1_20scan_config_selectorItEEZZNS1_9scan_implILNS1_25lookback_scan_determinismE0ELb0ELb0ES3_N6thrust23THRUST_200600_302600_NS6detail15normal_iteratorINS9_10device_ptrItEEEENS9_16discard_iteratorINS9_11use_defaultEEEtNS9_4plusIvEEtEEDaPvRmT3_T4_T5_mT6_P12ihipStream_tbENKUlT_T0_E_clISt17integral_constantIbLb1EESW_IbLb0EEEEDaSS_ST_EUlSS_E0_NS1_11comp_targetILNS1_3genE4ELNS1_11target_archE910ELNS1_3gpuE8ELNS1_3repE0EEENS1_30default_config_static_selectorELNS0_4arch9wavefront6targetE1EEEvT1_ ; -- Begin function _ZN7rocprim17ROCPRIM_400000_NS6detail17trampoline_kernelINS0_14default_configENS1_20scan_config_selectorItEEZZNS1_9scan_implILNS1_25lookback_scan_determinismE0ELb0ELb0ES3_N6thrust23THRUST_200600_302600_NS6detail15normal_iteratorINS9_10device_ptrItEEEENS9_16discard_iteratorINS9_11use_defaultEEEtNS9_4plusIvEEtEEDaPvRmT3_T4_T5_mT6_P12ihipStream_tbENKUlT_T0_E_clISt17integral_constantIbLb1EESW_IbLb0EEEEDaSS_ST_EUlSS_E0_NS1_11comp_targetILNS1_3genE4ELNS1_11target_archE910ELNS1_3gpuE8ELNS1_3repE0EEENS1_30default_config_static_selectorELNS0_4arch9wavefront6targetE1EEEvT1_
	.globl	_ZN7rocprim17ROCPRIM_400000_NS6detail17trampoline_kernelINS0_14default_configENS1_20scan_config_selectorItEEZZNS1_9scan_implILNS1_25lookback_scan_determinismE0ELb0ELb0ES3_N6thrust23THRUST_200600_302600_NS6detail15normal_iteratorINS9_10device_ptrItEEEENS9_16discard_iteratorINS9_11use_defaultEEEtNS9_4plusIvEEtEEDaPvRmT3_T4_T5_mT6_P12ihipStream_tbENKUlT_T0_E_clISt17integral_constantIbLb1EESW_IbLb0EEEEDaSS_ST_EUlSS_E0_NS1_11comp_targetILNS1_3genE4ELNS1_11target_archE910ELNS1_3gpuE8ELNS1_3repE0EEENS1_30default_config_static_selectorELNS0_4arch9wavefront6targetE1EEEvT1_
	.p2align	8
	.type	_ZN7rocprim17ROCPRIM_400000_NS6detail17trampoline_kernelINS0_14default_configENS1_20scan_config_selectorItEEZZNS1_9scan_implILNS1_25lookback_scan_determinismE0ELb0ELb0ES3_N6thrust23THRUST_200600_302600_NS6detail15normal_iteratorINS9_10device_ptrItEEEENS9_16discard_iteratorINS9_11use_defaultEEEtNS9_4plusIvEEtEEDaPvRmT3_T4_T5_mT6_P12ihipStream_tbENKUlT_T0_E_clISt17integral_constantIbLb1EESW_IbLb0EEEEDaSS_ST_EUlSS_E0_NS1_11comp_targetILNS1_3genE4ELNS1_11target_archE910ELNS1_3gpuE8ELNS1_3repE0EEENS1_30default_config_static_selectorELNS0_4arch9wavefront6targetE1EEEvT1_,@function
_ZN7rocprim17ROCPRIM_400000_NS6detail17trampoline_kernelINS0_14default_configENS1_20scan_config_selectorItEEZZNS1_9scan_implILNS1_25lookback_scan_determinismE0ELb0ELb0ES3_N6thrust23THRUST_200600_302600_NS6detail15normal_iteratorINS9_10device_ptrItEEEENS9_16discard_iteratorINS9_11use_defaultEEEtNS9_4plusIvEEtEEDaPvRmT3_T4_T5_mT6_P12ihipStream_tbENKUlT_T0_E_clISt17integral_constantIbLb1EESW_IbLb0EEEEDaSS_ST_EUlSS_E0_NS1_11comp_targetILNS1_3genE4ELNS1_11target_archE910ELNS1_3gpuE8ELNS1_3repE0EEENS1_30default_config_static_selectorELNS0_4arch9wavefront6targetE1EEEvT1_: ; @_ZN7rocprim17ROCPRIM_400000_NS6detail17trampoline_kernelINS0_14default_configENS1_20scan_config_selectorItEEZZNS1_9scan_implILNS1_25lookback_scan_determinismE0ELb0ELb0ES3_N6thrust23THRUST_200600_302600_NS6detail15normal_iteratorINS9_10device_ptrItEEEENS9_16discard_iteratorINS9_11use_defaultEEEtNS9_4plusIvEEtEEDaPvRmT3_T4_T5_mT6_P12ihipStream_tbENKUlT_T0_E_clISt17integral_constantIbLb1EESW_IbLb0EEEEDaSS_ST_EUlSS_E0_NS1_11comp_targetILNS1_3genE4ELNS1_11target_archE910ELNS1_3gpuE8ELNS1_3repE0EEENS1_30default_config_static_selectorELNS0_4arch9wavefront6targetE1EEEvT1_
; %bb.0:
	s_load_dwordx4 s[0:3], s[4:5], 0x0
	v_mov_b32_e32 v1, 0
	s_waitcnt lgkmcnt(0)
	global_load_ushort v2, v1, s[0:1]
	v_cmp_gt_u32_e32 vcc, s2, v0
	v_lshlrev_b32_e32 v1, 1, v0
	s_waitcnt vmcnt(0)
	v_mov_b32_e32 v3, v2
	s_and_saveexec_b64 s[4:5], vcc
	s_cbranch_execz .LBB5485_2
; %bb.1:
	global_load_ushort v3, v1, s[0:1]
.LBB5485_2:
	s_or_b64 exec, exec, s[4:5]
	v_or_b32_e32 v4, 64, v0
	v_cmp_gt_u32_e32 vcc, s2, v4
	v_mov_b32_e32 v4, v2
	s_and_saveexec_b64 s[4:5], vcc
	s_cbranch_execz .LBB5485_4
; %bb.3:
	global_load_ushort v4, v1, s[0:1] offset:128
.LBB5485_4:
	s_or_b64 exec, exec, s[4:5]
	v_or_b32_e32 v5, 0x80, v0
	v_cmp_gt_u32_e32 vcc, s2, v5
	v_mov_b32_e32 v5, v2
	s_and_saveexec_b64 s[4:5], vcc
	s_cbranch_execz .LBB5485_6
; %bb.5:
	global_load_ushort v5, v1, s[0:1] offset:256
.LBB5485_6:
	;; [unrolled: 9-line block ×22, first 2 shown]
	s_or_b64 exec, exec, s[4:5]
	v_or_b32_e32 v26, 0x5c0, v0
	v_cmp_gt_u32_e32 vcc, s2, v26
	s_and_saveexec_b64 s[2:3], vcc
	s_cbranch_execz .LBB5485_48
; %bb.47:
	global_load_ushort v2, v1, s[0:1] offset:2944
.LBB5485_48:
	s_or_b64 exec, exec, s[2:3]
	s_waitcnt vmcnt(0)
	ds_write_b16 v1, v3
	ds_write_b16 v1, v4 offset:128
	ds_write_b16 v1, v5 offset:256
	;; [unrolled: 1-line block ×23, first 2 shown]
	v_mad_u32_u24 v6, v0, 46, v1
	s_waitcnt lgkmcnt(0)
	; wave barrier
	s_waitcnt lgkmcnt(0)
	ds_read_b128 v[2:5], v6
	ds_read_b128 v[10:13], v6 offset:16
	ds_read_b128 v[6:9], v6 offset:32
	v_mbcnt_lo_u32_b32 v37, -1, 0
	v_mbcnt_hi_u32_b32 v37, -1, v37
	s_waitcnt lgkmcnt(2)
	v_add_u16_sdwa v14, v2, v2 dst_sel:DWORD dst_unused:UNUSED_PAD src0_sel:WORD_1 src1_sel:DWORD
	v_add_u16_e32 v15, v14, v3
	v_add_u16_sdwa v17, v15, v3 dst_sel:DWORD dst_unused:UNUSED_PAD src0_sel:DWORD src1_sel:WORD_1
	v_add_u16_e32 v19, v17, v4
	v_add_u16_sdwa v21, v19, v4 dst_sel:DWORD dst_unused:UNUSED_PAD src0_sel:DWORD src1_sel:WORD_1
	;; [unrolled: 2-line block ×3, first 2 shown]
	s_waitcnt lgkmcnt(1)
	v_add_u16_e32 v16, v27, v10
	v_add_u16_sdwa v18, v16, v10 dst_sel:DWORD dst_unused:UNUSED_PAD src0_sel:DWORD src1_sel:WORD_1
	v_add_u16_e32 v20, v18, v11
	v_add_u16_sdwa v23, v20, v11 dst_sel:DWORD dst_unused:UNUSED_PAD src0_sel:DWORD src1_sel:WORD_1
	v_add_u16_e32 v26, v23, v12
	v_add_u16_sdwa v29, v26, v12 dst_sel:DWORD dst_unused:UNUSED_PAD src0_sel:DWORD src1_sel:WORD_1
	v_add_u16_e32 v31, v29, v13
	v_add_u16_sdwa v33, v31, v13 dst_sel:DWORD dst_unused:UNUSED_PAD src0_sel:DWORD src1_sel:WORD_1
	s_waitcnt lgkmcnt(0)
	v_add_u16_e32 v22, v33, v6
	v_add_u16_sdwa v25, v22, v6 dst_sel:DWORD dst_unused:UNUSED_PAD src0_sel:DWORD src1_sel:WORD_1
	v_add_u16_e32 v28, v25, v7
	v_add_u16_sdwa v30, v28, v7 dst_sel:DWORD dst_unused:UNUSED_PAD src0_sel:DWORD src1_sel:WORD_1
	v_add_u16_e32 v32, v30, v8
	v_add_u16_sdwa v34, v32, v8 dst_sel:DWORD dst_unused:UNUSED_PAD src0_sel:DWORD src1_sel:WORD_1
	v_add_u16_e32 v35, v34, v9
	v_add_u16_sdwa v36, v35, v9 dst_sel:DWORD dst_unused:UNUSED_PAD src0_sel:DWORD src1_sel:WORD_1
	v_and_b32_e32 v38, 15, v37
	v_cmp_ne_u32_e32 vcc, 0, v38
	v_mov_b32_dpp v39, v36 row_shr:1 row_mask:0xf bank_mask:0xf
	v_cndmask_b32_e32 v39, 0, v39, vcc
	v_add_u16_e32 v39, v39, v36
	v_cmp_lt_u32_e32 vcc, 1, v38
	s_nop 0
	v_mov_b32_dpp v40, v39 row_shr:2 row_mask:0xf bank_mask:0xf
	v_cndmask_b32_e32 v40, 0, v40, vcc
	v_add_u16_e32 v39, v39, v40
	v_cmp_lt_u32_e32 vcc, 3, v38
	; wave barrier
	s_nop 0
	v_mov_b32_dpp v40, v39 row_shr:4 row_mask:0xf bank_mask:0xf
	v_cndmask_b32_e32 v40, 0, v40, vcc
	v_add_u16_e32 v39, v39, v40
	v_cmp_lt_u32_e32 vcc, 7, v38
	s_nop 0
	v_mov_b32_dpp v40, v39 row_shr:8 row_mask:0xf bank_mask:0xf
	v_cndmask_b32_e32 v38, 0, v40, vcc
	v_add_u16_e32 v38, v39, v38
	v_and_b32_e32 v40, 16, v37
	v_cmp_ne_u32_e32 vcc, 0, v40
	v_mov_b32_dpp v39, v38 row_bcast:15 row_mask:0xf bank_mask:0xf
	v_cndmask_b32_e32 v39, 0, v39, vcc
	v_add_u16_e32 v38, v38, v39
	v_cmp_lt_u32_e32 vcc, 31, v37
	s_nop 0
	v_mov_b32_dpp v39, v38 row_bcast:31 row_mask:0xf bank_mask:0xf
	v_cndmask_b32_e32 v39, 0, v39, vcc
	v_add_u16_e32 v38, v38, v39
	v_cmp_eq_u32_e32 vcc, 63, v0
	s_and_saveexec_b64 s[0:1], vcc
	s_cbranch_execz .LBB5485_50
; %bb.49:
	v_mov_b32_e32 v39, 0
	ds_write_b16 v39, v38
.LBB5485_50:
	s_or_b64 exec, exec, s[0:1]
	v_add_u32_e32 v39, -1, v37
	v_and_b32_e32 v40, 64, v37
	v_cmp_lt_i32_e32 vcc, v39, v40
	v_cndmask_b32_e32 v37, v39, v37, vcc
	v_lshlrev_b32_e32 v37, 2, v37
	ds_bpermute_b32 v38, v37, v38
	v_mul_u32_u24_e32 v37, 46, v0
	v_cmp_ne_u32_e32 vcc, 0, v0
	s_waitcnt lgkmcnt(0)
	; wave barrier
	s_waitcnt lgkmcnt(0)
	s_and_saveexec_b64 s[0:1], vcc
	s_cbranch_execz .LBB5485_52
; %bb.51:
	v_add_u16_e32 v0, v2, v38
	v_add_u16_sdwa v14, v0, v2 dst_sel:DWORD dst_unused:UNUSED_PAD src0_sel:DWORD src1_sel:WORD_1
	v_add_u16_e32 v15, v14, v3
	v_add_u16_sdwa v17, v15, v3 dst_sel:DWORD dst_unused:UNUSED_PAD src0_sel:DWORD src1_sel:WORD_1
	;; [unrolled: 2-line block ×12, first 2 shown]
	v_mov_b32_e32 v2, v0
	;;#ASMSTART
	;;#ASMEND
.LBB5485_52:
	s_or_b64 exec, exec, s[0:1]
	s_mov_b32 s0, 0x5040100
	v_add_u32_e32 v6, v1, v37
	v_perm_b32 v5, v27, v24, s0
	v_perm_b32 v4, v21, v19, s0
	;; [unrolled: 1-line block ×4, first 2 shown]
	s_waitcnt lgkmcnt(0)
	; wave barrier
	ds_write_b128 v6, v[2:5]
	v_perm_b32 v3, v33, v31, s0
	v_perm_b32 v2, v29, v26, s0
	;; [unrolled: 1-line block ×4, first 2 shown]
	ds_write_b128 v6, v[0:3] offset:16
	v_perm_b32 v3, v36, v35, s0
	v_perm_b32 v2, v34, v32, s0
	;; [unrolled: 1-line block ×4, first 2 shown]
	ds_write_b128 v6, v[0:3] offset:32
	s_waitcnt lgkmcnt(0)
	; wave barrier
	s_waitcnt lgkmcnt(0)
	s_endpgm
	.section	.rodata,"a",@progbits
	.p2align	6, 0x0
	.amdhsa_kernel _ZN7rocprim17ROCPRIM_400000_NS6detail17trampoline_kernelINS0_14default_configENS1_20scan_config_selectorItEEZZNS1_9scan_implILNS1_25lookback_scan_determinismE0ELb0ELb0ES3_N6thrust23THRUST_200600_302600_NS6detail15normal_iteratorINS9_10device_ptrItEEEENS9_16discard_iteratorINS9_11use_defaultEEEtNS9_4plusIvEEtEEDaPvRmT3_T4_T5_mT6_P12ihipStream_tbENKUlT_T0_E_clISt17integral_constantIbLb1EESW_IbLb0EEEEDaSS_ST_EUlSS_E0_NS1_11comp_targetILNS1_3genE4ELNS1_11target_archE910ELNS1_3gpuE8ELNS1_3repE0EEENS1_30default_config_static_selectorELNS0_4arch9wavefront6targetE1EEEvT1_
		.amdhsa_group_segment_fixed_size 3072
		.amdhsa_private_segment_fixed_size 0
		.amdhsa_kernarg_size 40
		.amdhsa_user_sgpr_count 6
		.amdhsa_user_sgpr_private_segment_buffer 1
		.amdhsa_user_sgpr_dispatch_ptr 0
		.amdhsa_user_sgpr_queue_ptr 0
		.amdhsa_user_sgpr_kernarg_segment_ptr 1
		.amdhsa_user_sgpr_dispatch_id 0
		.amdhsa_user_sgpr_flat_scratch_init 0
		.amdhsa_user_sgpr_kernarg_preload_length 0
		.amdhsa_user_sgpr_kernarg_preload_offset 0
		.amdhsa_user_sgpr_private_segment_size 0
		.amdhsa_uses_dynamic_stack 0
		.amdhsa_system_sgpr_private_segment_wavefront_offset 0
		.amdhsa_system_sgpr_workgroup_id_x 1
		.amdhsa_system_sgpr_workgroup_id_y 0
		.amdhsa_system_sgpr_workgroup_id_z 0
		.amdhsa_system_sgpr_workgroup_info 0
		.amdhsa_system_vgpr_workitem_id 0
		.amdhsa_next_free_vgpr 41
		.amdhsa_next_free_sgpr 6
		.amdhsa_accum_offset 44
		.amdhsa_reserve_vcc 1
		.amdhsa_reserve_flat_scratch 0
		.amdhsa_float_round_mode_32 0
		.amdhsa_float_round_mode_16_64 0
		.amdhsa_float_denorm_mode_32 3
		.amdhsa_float_denorm_mode_16_64 3
		.amdhsa_dx10_clamp 1
		.amdhsa_ieee_mode 1
		.amdhsa_fp16_overflow 0
		.amdhsa_tg_split 0
		.amdhsa_exception_fp_ieee_invalid_op 0
		.amdhsa_exception_fp_denorm_src 0
		.amdhsa_exception_fp_ieee_div_zero 0
		.amdhsa_exception_fp_ieee_overflow 0
		.amdhsa_exception_fp_ieee_underflow 0
		.amdhsa_exception_fp_ieee_inexact 0
		.amdhsa_exception_int_div_zero 0
	.end_amdhsa_kernel
	.section	.text._ZN7rocprim17ROCPRIM_400000_NS6detail17trampoline_kernelINS0_14default_configENS1_20scan_config_selectorItEEZZNS1_9scan_implILNS1_25lookback_scan_determinismE0ELb0ELb0ES3_N6thrust23THRUST_200600_302600_NS6detail15normal_iteratorINS9_10device_ptrItEEEENS9_16discard_iteratorINS9_11use_defaultEEEtNS9_4plusIvEEtEEDaPvRmT3_T4_T5_mT6_P12ihipStream_tbENKUlT_T0_E_clISt17integral_constantIbLb1EESW_IbLb0EEEEDaSS_ST_EUlSS_E0_NS1_11comp_targetILNS1_3genE4ELNS1_11target_archE910ELNS1_3gpuE8ELNS1_3repE0EEENS1_30default_config_static_selectorELNS0_4arch9wavefront6targetE1EEEvT1_,"axG",@progbits,_ZN7rocprim17ROCPRIM_400000_NS6detail17trampoline_kernelINS0_14default_configENS1_20scan_config_selectorItEEZZNS1_9scan_implILNS1_25lookback_scan_determinismE0ELb0ELb0ES3_N6thrust23THRUST_200600_302600_NS6detail15normal_iteratorINS9_10device_ptrItEEEENS9_16discard_iteratorINS9_11use_defaultEEEtNS9_4plusIvEEtEEDaPvRmT3_T4_T5_mT6_P12ihipStream_tbENKUlT_T0_E_clISt17integral_constantIbLb1EESW_IbLb0EEEEDaSS_ST_EUlSS_E0_NS1_11comp_targetILNS1_3genE4ELNS1_11target_archE910ELNS1_3gpuE8ELNS1_3repE0EEENS1_30default_config_static_selectorELNS0_4arch9wavefront6targetE1EEEvT1_,comdat
.Lfunc_end5485:
	.size	_ZN7rocprim17ROCPRIM_400000_NS6detail17trampoline_kernelINS0_14default_configENS1_20scan_config_selectorItEEZZNS1_9scan_implILNS1_25lookback_scan_determinismE0ELb0ELb0ES3_N6thrust23THRUST_200600_302600_NS6detail15normal_iteratorINS9_10device_ptrItEEEENS9_16discard_iteratorINS9_11use_defaultEEEtNS9_4plusIvEEtEEDaPvRmT3_T4_T5_mT6_P12ihipStream_tbENKUlT_T0_E_clISt17integral_constantIbLb1EESW_IbLb0EEEEDaSS_ST_EUlSS_E0_NS1_11comp_targetILNS1_3genE4ELNS1_11target_archE910ELNS1_3gpuE8ELNS1_3repE0EEENS1_30default_config_static_selectorELNS0_4arch9wavefront6targetE1EEEvT1_, .Lfunc_end5485-_ZN7rocprim17ROCPRIM_400000_NS6detail17trampoline_kernelINS0_14default_configENS1_20scan_config_selectorItEEZZNS1_9scan_implILNS1_25lookback_scan_determinismE0ELb0ELb0ES3_N6thrust23THRUST_200600_302600_NS6detail15normal_iteratorINS9_10device_ptrItEEEENS9_16discard_iteratorINS9_11use_defaultEEEtNS9_4plusIvEEtEEDaPvRmT3_T4_T5_mT6_P12ihipStream_tbENKUlT_T0_E_clISt17integral_constantIbLb1EESW_IbLb0EEEEDaSS_ST_EUlSS_E0_NS1_11comp_targetILNS1_3genE4ELNS1_11target_archE910ELNS1_3gpuE8ELNS1_3repE0EEENS1_30default_config_static_selectorELNS0_4arch9wavefront6targetE1EEEvT1_
                                        ; -- End function
	.section	.AMDGPU.csdata,"",@progbits
; Kernel info:
; codeLenInByte = 1808
; NumSgprs: 10
; NumVgprs: 41
; NumAgprs: 0
; TotalNumVgprs: 41
; ScratchSize: 0
; MemoryBound: 0
; FloatMode: 240
; IeeeMode: 1
; LDSByteSize: 3072 bytes/workgroup (compile time only)
; SGPRBlocks: 1
; VGPRBlocks: 5
; NumSGPRsForWavesPerEU: 10
; NumVGPRsForWavesPerEU: 41
; AccumOffset: 44
; Occupancy: 6
; WaveLimiterHint : 0
; COMPUTE_PGM_RSRC2:SCRATCH_EN: 0
; COMPUTE_PGM_RSRC2:USER_SGPR: 6
; COMPUTE_PGM_RSRC2:TRAP_HANDLER: 0
; COMPUTE_PGM_RSRC2:TGID_X_EN: 1
; COMPUTE_PGM_RSRC2:TGID_Y_EN: 0
; COMPUTE_PGM_RSRC2:TGID_Z_EN: 0
; COMPUTE_PGM_RSRC2:TIDIG_COMP_CNT: 0
; COMPUTE_PGM_RSRC3_GFX90A:ACCUM_OFFSET: 10
; COMPUTE_PGM_RSRC3_GFX90A:TG_SPLIT: 0
	.section	.text._ZN7rocprim17ROCPRIM_400000_NS6detail17trampoline_kernelINS0_14default_configENS1_20scan_config_selectorItEEZZNS1_9scan_implILNS1_25lookback_scan_determinismE0ELb0ELb0ES3_N6thrust23THRUST_200600_302600_NS6detail15normal_iteratorINS9_10device_ptrItEEEENS9_16discard_iteratorINS9_11use_defaultEEEtNS9_4plusIvEEtEEDaPvRmT3_T4_T5_mT6_P12ihipStream_tbENKUlT_T0_E_clISt17integral_constantIbLb1EESW_IbLb0EEEEDaSS_ST_EUlSS_E0_NS1_11comp_targetILNS1_3genE3ELNS1_11target_archE908ELNS1_3gpuE7ELNS1_3repE0EEENS1_30default_config_static_selectorELNS0_4arch9wavefront6targetE1EEEvT1_,"axG",@progbits,_ZN7rocprim17ROCPRIM_400000_NS6detail17trampoline_kernelINS0_14default_configENS1_20scan_config_selectorItEEZZNS1_9scan_implILNS1_25lookback_scan_determinismE0ELb0ELb0ES3_N6thrust23THRUST_200600_302600_NS6detail15normal_iteratorINS9_10device_ptrItEEEENS9_16discard_iteratorINS9_11use_defaultEEEtNS9_4plusIvEEtEEDaPvRmT3_T4_T5_mT6_P12ihipStream_tbENKUlT_T0_E_clISt17integral_constantIbLb1EESW_IbLb0EEEEDaSS_ST_EUlSS_E0_NS1_11comp_targetILNS1_3genE3ELNS1_11target_archE908ELNS1_3gpuE7ELNS1_3repE0EEENS1_30default_config_static_selectorELNS0_4arch9wavefront6targetE1EEEvT1_,comdat
	.protected	_ZN7rocprim17ROCPRIM_400000_NS6detail17trampoline_kernelINS0_14default_configENS1_20scan_config_selectorItEEZZNS1_9scan_implILNS1_25lookback_scan_determinismE0ELb0ELb0ES3_N6thrust23THRUST_200600_302600_NS6detail15normal_iteratorINS9_10device_ptrItEEEENS9_16discard_iteratorINS9_11use_defaultEEEtNS9_4plusIvEEtEEDaPvRmT3_T4_T5_mT6_P12ihipStream_tbENKUlT_T0_E_clISt17integral_constantIbLb1EESW_IbLb0EEEEDaSS_ST_EUlSS_E0_NS1_11comp_targetILNS1_3genE3ELNS1_11target_archE908ELNS1_3gpuE7ELNS1_3repE0EEENS1_30default_config_static_selectorELNS0_4arch9wavefront6targetE1EEEvT1_ ; -- Begin function _ZN7rocprim17ROCPRIM_400000_NS6detail17trampoline_kernelINS0_14default_configENS1_20scan_config_selectorItEEZZNS1_9scan_implILNS1_25lookback_scan_determinismE0ELb0ELb0ES3_N6thrust23THRUST_200600_302600_NS6detail15normal_iteratorINS9_10device_ptrItEEEENS9_16discard_iteratorINS9_11use_defaultEEEtNS9_4plusIvEEtEEDaPvRmT3_T4_T5_mT6_P12ihipStream_tbENKUlT_T0_E_clISt17integral_constantIbLb1EESW_IbLb0EEEEDaSS_ST_EUlSS_E0_NS1_11comp_targetILNS1_3genE3ELNS1_11target_archE908ELNS1_3gpuE7ELNS1_3repE0EEENS1_30default_config_static_selectorELNS0_4arch9wavefront6targetE1EEEvT1_
	.globl	_ZN7rocprim17ROCPRIM_400000_NS6detail17trampoline_kernelINS0_14default_configENS1_20scan_config_selectorItEEZZNS1_9scan_implILNS1_25lookback_scan_determinismE0ELb0ELb0ES3_N6thrust23THRUST_200600_302600_NS6detail15normal_iteratorINS9_10device_ptrItEEEENS9_16discard_iteratorINS9_11use_defaultEEEtNS9_4plusIvEEtEEDaPvRmT3_T4_T5_mT6_P12ihipStream_tbENKUlT_T0_E_clISt17integral_constantIbLb1EESW_IbLb0EEEEDaSS_ST_EUlSS_E0_NS1_11comp_targetILNS1_3genE3ELNS1_11target_archE908ELNS1_3gpuE7ELNS1_3repE0EEENS1_30default_config_static_selectorELNS0_4arch9wavefront6targetE1EEEvT1_
	.p2align	8
	.type	_ZN7rocprim17ROCPRIM_400000_NS6detail17trampoline_kernelINS0_14default_configENS1_20scan_config_selectorItEEZZNS1_9scan_implILNS1_25lookback_scan_determinismE0ELb0ELb0ES3_N6thrust23THRUST_200600_302600_NS6detail15normal_iteratorINS9_10device_ptrItEEEENS9_16discard_iteratorINS9_11use_defaultEEEtNS9_4plusIvEEtEEDaPvRmT3_T4_T5_mT6_P12ihipStream_tbENKUlT_T0_E_clISt17integral_constantIbLb1EESW_IbLb0EEEEDaSS_ST_EUlSS_E0_NS1_11comp_targetILNS1_3genE3ELNS1_11target_archE908ELNS1_3gpuE7ELNS1_3repE0EEENS1_30default_config_static_selectorELNS0_4arch9wavefront6targetE1EEEvT1_,@function
_ZN7rocprim17ROCPRIM_400000_NS6detail17trampoline_kernelINS0_14default_configENS1_20scan_config_selectorItEEZZNS1_9scan_implILNS1_25lookback_scan_determinismE0ELb0ELb0ES3_N6thrust23THRUST_200600_302600_NS6detail15normal_iteratorINS9_10device_ptrItEEEENS9_16discard_iteratorINS9_11use_defaultEEEtNS9_4plusIvEEtEEDaPvRmT3_T4_T5_mT6_P12ihipStream_tbENKUlT_T0_E_clISt17integral_constantIbLb1EESW_IbLb0EEEEDaSS_ST_EUlSS_E0_NS1_11comp_targetILNS1_3genE3ELNS1_11target_archE908ELNS1_3gpuE7ELNS1_3repE0EEENS1_30default_config_static_selectorELNS0_4arch9wavefront6targetE1EEEvT1_: ; @_ZN7rocprim17ROCPRIM_400000_NS6detail17trampoline_kernelINS0_14default_configENS1_20scan_config_selectorItEEZZNS1_9scan_implILNS1_25lookback_scan_determinismE0ELb0ELb0ES3_N6thrust23THRUST_200600_302600_NS6detail15normal_iteratorINS9_10device_ptrItEEEENS9_16discard_iteratorINS9_11use_defaultEEEtNS9_4plusIvEEtEEDaPvRmT3_T4_T5_mT6_P12ihipStream_tbENKUlT_T0_E_clISt17integral_constantIbLb1EESW_IbLb0EEEEDaSS_ST_EUlSS_E0_NS1_11comp_targetILNS1_3genE3ELNS1_11target_archE908ELNS1_3gpuE7ELNS1_3repE0EEENS1_30default_config_static_selectorELNS0_4arch9wavefront6targetE1EEEvT1_
; %bb.0:
	.section	.rodata,"a",@progbits
	.p2align	6, 0x0
	.amdhsa_kernel _ZN7rocprim17ROCPRIM_400000_NS6detail17trampoline_kernelINS0_14default_configENS1_20scan_config_selectorItEEZZNS1_9scan_implILNS1_25lookback_scan_determinismE0ELb0ELb0ES3_N6thrust23THRUST_200600_302600_NS6detail15normal_iteratorINS9_10device_ptrItEEEENS9_16discard_iteratorINS9_11use_defaultEEEtNS9_4plusIvEEtEEDaPvRmT3_T4_T5_mT6_P12ihipStream_tbENKUlT_T0_E_clISt17integral_constantIbLb1EESW_IbLb0EEEEDaSS_ST_EUlSS_E0_NS1_11comp_targetILNS1_3genE3ELNS1_11target_archE908ELNS1_3gpuE7ELNS1_3repE0EEENS1_30default_config_static_selectorELNS0_4arch9wavefront6targetE1EEEvT1_
		.amdhsa_group_segment_fixed_size 0
		.amdhsa_private_segment_fixed_size 0
		.amdhsa_kernarg_size 40
		.amdhsa_user_sgpr_count 6
		.amdhsa_user_sgpr_private_segment_buffer 1
		.amdhsa_user_sgpr_dispatch_ptr 0
		.amdhsa_user_sgpr_queue_ptr 0
		.amdhsa_user_sgpr_kernarg_segment_ptr 1
		.amdhsa_user_sgpr_dispatch_id 0
		.amdhsa_user_sgpr_flat_scratch_init 0
		.amdhsa_user_sgpr_kernarg_preload_length 0
		.amdhsa_user_sgpr_kernarg_preload_offset 0
		.amdhsa_user_sgpr_private_segment_size 0
		.amdhsa_uses_dynamic_stack 0
		.amdhsa_system_sgpr_private_segment_wavefront_offset 0
		.amdhsa_system_sgpr_workgroup_id_x 1
		.amdhsa_system_sgpr_workgroup_id_y 0
		.amdhsa_system_sgpr_workgroup_id_z 0
		.amdhsa_system_sgpr_workgroup_info 0
		.amdhsa_system_vgpr_workitem_id 0
		.amdhsa_next_free_vgpr 1
		.amdhsa_next_free_sgpr 0
		.amdhsa_accum_offset 4
		.amdhsa_reserve_vcc 0
		.amdhsa_reserve_flat_scratch 0
		.amdhsa_float_round_mode_32 0
		.amdhsa_float_round_mode_16_64 0
		.amdhsa_float_denorm_mode_32 3
		.amdhsa_float_denorm_mode_16_64 3
		.amdhsa_dx10_clamp 1
		.amdhsa_ieee_mode 1
		.amdhsa_fp16_overflow 0
		.amdhsa_tg_split 0
		.amdhsa_exception_fp_ieee_invalid_op 0
		.amdhsa_exception_fp_denorm_src 0
		.amdhsa_exception_fp_ieee_div_zero 0
		.amdhsa_exception_fp_ieee_overflow 0
		.amdhsa_exception_fp_ieee_underflow 0
		.amdhsa_exception_fp_ieee_inexact 0
		.amdhsa_exception_int_div_zero 0
	.end_amdhsa_kernel
	.section	.text._ZN7rocprim17ROCPRIM_400000_NS6detail17trampoline_kernelINS0_14default_configENS1_20scan_config_selectorItEEZZNS1_9scan_implILNS1_25lookback_scan_determinismE0ELb0ELb0ES3_N6thrust23THRUST_200600_302600_NS6detail15normal_iteratorINS9_10device_ptrItEEEENS9_16discard_iteratorINS9_11use_defaultEEEtNS9_4plusIvEEtEEDaPvRmT3_T4_T5_mT6_P12ihipStream_tbENKUlT_T0_E_clISt17integral_constantIbLb1EESW_IbLb0EEEEDaSS_ST_EUlSS_E0_NS1_11comp_targetILNS1_3genE3ELNS1_11target_archE908ELNS1_3gpuE7ELNS1_3repE0EEENS1_30default_config_static_selectorELNS0_4arch9wavefront6targetE1EEEvT1_,"axG",@progbits,_ZN7rocprim17ROCPRIM_400000_NS6detail17trampoline_kernelINS0_14default_configENS1_20scan_config_selectorItEEZZNS1_9scan_implILNS1_25lookback_scan_determinismE0ELb0ELb0ES3_N6thrust23THRUST_200600_302600_NS6detail15normal_iteratorINS9_10device_ptrItEEEENS9_16discard_iteratorINS9_11use_defaultEEEtNS9_4plusIvEEtEEDaPvRmT3_T4_T5_mT6_P12ihipStream_tbENKUlT_T0_E_clISt17integral_constantIbLb1EESW_IbLb0EEEEDaSS_ST_EUlSS_E0_NS1_11comp_targetILNS1_3genE3ELNS1_11target_archE908ELNS1_3gpuE7ELNS1_3repE0EEENS1_30default_config_static_selectorELNS0_4arch9wavefront6targetE1EEEvT1_,comdat
.Lfunc_end5486:
	.size	_ZN7rocprim17ROCPRIM_400000_NS6detail17trampoline_kernelINS0_14default_configENS1_20scan_config_selectorItEEZZNS1_9scan_implILNS1_25lookback_scan_determinismE0ELb0ELb0ES3_N6thrust23THRUST_200600_302600_NS6detail15normal_iteratorINS9_10device_ptrItEEEENS9_16discard_iteratorINS9_11use_defaultEEEtNS9_4plusIvEEtEEDaPvRmT3_T4_T5_mT6_P12ihipStream_tbENKUlT_T0_E_clISt17integral_constantIbLb1EESW_IbLb0EEEEDaSS_ST_EUlSS_E0_NS1_11comp_targetILNS1_3genE3ELNS1_11target_archE908ELNS1_3gpuE7ELNS1_3repE0EEENS1_30default_config_static_selectorELNS0_4arch9wavefront6targetE1EEEvT1_, .Lfunc_end5486-_ZN7rocprim17ROCPRIM_400000_NS6detail17trampoline_kernelINS0_14default_configENS1_20scan_config_selectorItEEZZNS1_9scan_implILNS1_25lookback_scan_determinismE0ELb0ELb0ES3_N6thrust23THRUST_200600_302600_NS6detail15normal_iteratorINS9_10device_ptrItEEEENS9_16discard_iteratorINS9_11use_defaultEEEtNS9_4plusIvEEtEEDaPvRmT3_T4_T5_mT6_P12ihipStream_tbENKUlT_T0_E_clISt17integral_constantIbLb1EESW_IbLb0EEEEDaSS_ST_EUlSS_E0_NS1_11comp_targetILNS1_3genE3ELNS1_11target_archE908ELNS1_3gpuE7ELNS1_3repE0EEENS1_30default_config_static_selectorELNS0_4arch9wavefront6targetE1EEEvT1_
                                        ; -- End function
	.section	.AMDGPU.csdata,"",@progbits
; Kernel info:
; codeLenInByte = 0
; NumSgprs: 4
; NumVgprs: 0
; NumAgprs: 0
; TotalNumVgprs: 0
; ScratchSize: 0
; MemoryBound: 0
; FloatMode: 240
; IeeeMode: 1
; LDSByteSize: 0 bytes/workgroup (compile time only)
; SGPRBlocks: 0
; VGPRBlocks: 0
; NumSGPRsForWavesPerEU: 4
; NumVGPRsForWavesPerEU: 1
; AccumOffset: 4
; Occupancy: 8
; WaveLimiterHint : 0
; COMPUTE_PGM_RSRC2:SCRATCH_EN: 0
; COMPUTE_PGM_RSRC2:USER_SGPR: 6
; COMPUTE_PGM_RSRC2:TRAP_HANDLER: 0
; COMPUTE_PGM_RSRC2:TGID_X_EN: 1
; COMPUTE_PGM_RSRC2:TGID_Y_EN: 0
; COMPUTE_PGM_RSRC2:TGID_Z_EN: 0
; COMPUTE_PGM_RSRC2:TIDIG_COMP_CNT: 0
; COMPUTE_PGM_RSRC3_GFX90A:ACCUM_OFFSET: 0
; COMPUTE_PGM_RSRC3_GFX90A:TG_SPLIT: 0
	.section	.text._ZN7rocprim17ROCPRIM_400000_NS6detail17trampoline_kernelINS0_14default_configENS1_20scan_config_selectorItEEZZNS1_9scan_implILNS1_25lookback_scan_determinismE0ELb0ELb0ES3_N6thrust23THRUST_200600_302600_NS6detail15normal_iteratorINS9_10device_ptrItEEEENS9_16discard_iteratorINS9_11use_defaultEEEtNS9_4plusIvEEtEEDaPvRmT3_T4_T5_mT6_P12ihipStream_tbENKUlT_T0_E_clISt17integral_constantIbLb1EESW_IbLb0EEEEDaSS_ST_EUlSS_E0_NS1_11comp_targetILNS1_3genE2ELNS1_11target_archE906ELNS1_3gpuE6ELNS1_3repE0EEENS1_30default_config_static_selectorELNS0_4arch9wavefront6targetE1EEEvT1_,"axG",@progbits,_ZN7rocprim17ROCPRIM_400000_NS6detail17trampoline_kernelINS0_14default_configENS1_20scan_config_selectorItEEZZNS1_9scan_implILNS1_25lookback_scan_determinismE0ELb0ELb0ES3_N6thrust23THRUST_200600_302600_NS6detail15normal_iteratorINS9_10device_ptrItEEEENS9_16discard_iteratorINS9_11use_defaultEEEtNS9_4plusIvEEtEEDaPvRmT3_T4_T5_mT6_P12ihipStream_tbENKUlT_T0_E_clISt17integral_constantIbLb1EESW_IbLb0EEEEDaSS_ST_EUlSS_E0_NS1_11comp_targetILNS1_3genE2ELNS1_11target_archE906ELNS1_3gpuE6ELNS1_3repE0EEENS1_30default_config_static_selectorELNS0_4arch9wavefront6targetE1EEEvT1_,comdat
	.protected	_ZN7rocprim17ROCPRIM_400000_NS6detail17trampoline_kernelINS0_14default_configENS1_20scan_config_selectorItEEZZNS1_9scan_implILNS1_25lookback_scan_determinismE0ELb0ELb0ES3_N6thrust23THRUST_200600_302600_NS6detail15normal_iteratorINS9_10device_ptrItEEEENS9_16discard_iteratorINS9_11use_defaultEEEtNS9_4plusIvEEtEEDaPvRmT3_T4_T5_mT6_P12ihipStream_tbENKUlT_T0_E_clISt17integral_constantIbLb1EESW_IbLb0EEEEDaSS_ST_EUlSS_E0_NS1_11comp_targetILNS1_3genE2ELNS1_11target_archE906ELNS1_3gpuE6ELNS1_3repE0EEENS1_30default_config_static_selectorELNS0_4arch9wavefront6targetE1EEEvT1_ ; -- Begin function _ZN7rocprim17ROCPRIM_400000_NS6detail17trampoline_kernelINS0_14default_configENS1_20scan_config_selectorItEEZZNS1_9scan_implILNS1_25lookback_scan_determinismE0ELb0ELb0ES3_N6thrust23THRUST_200600_302600_NS6detail15normal_iteratorINS9_10device_ptrItEEEENS9_16discard_iteratorINS9_11use_defaultEEEtNS9_4plusIvEEtEEDaPvRmT3_T4_T5_mT6_P12ihipStream_tbENKUlT_T0_E_clISt17integral_constantIbLb1EESW_IbLb0EEEEDaSS_ST_EUlSS_E0_NS1_11comp_targetILNS1_3genE2ELNS1_11target_archE906ELNS1_3gpuE6ELNS1_3repE0EEENS1_30default_config_static_selectorELNS0_4arch9wavefront6targetE1EEEvT1_
	.globl	_ZN7rocprim17ROCPRIM_400000_NS6detail17trampoline_kernelINS0_14default_configENS1_20scan_config_selectorItEEZZNS1_9scan_implILNS1_25lookback_scan_determinismE0ELb0ELb0ES3_N6thrust23THRUST_200600_302600_NS6detail15normal_iteratorINS9_10device_ptrItEEEENS9_16discard_iteratorINS9_11use_defaultEEEtNS9_4plusIvEEtEEDaPvRmT3_T4_T5_mT6_P12ihipStream_tbENKUlT_T0_E_clISt17integral_constantIbLb1EESW_IbLb0EEEEDaSS_ST_EUlSS_E0_NS1_11comp_targetILNS1_3genE2ELNS1_11target_archE906ELNS1_3gpuE6ELNS1_3repE0EEENS1_30default_config_static_selectorELNS0_4arch9wavefront6targetE1EEEvT1_
	.p2align	8
	.type	_ZN7rocprim17ROCPRIM_400000_NS6detail17trampoline_kernelINS0_14default_configENS1_20scan_config_selectorItEEZZNS1_9scan_implILNS1_25lookback_scan_determinismE0ELb0ELb0ES3_N6thrust23THRUST_200600_302600_NS6detail15normal_iteratorINS9_10device_ptrItEEEENS9_16discard_iteratorINS9_11use_defaultEEEtNS9_4plusIvEEtEEDaPvRmT3_T4_T5_mT6_P12ihipStream_tbENKUlT_T0_E_clISt17integral_constantIbLb1EESW_IbLb0EEEEDaSS_ST_EUlSS_E0_NS1_11comp_targetILNS1_3genE2ELNS1_11target_archE906ELNS1_3gpuE6ELNS1_3repE0EEENS1_30default_config_static_selectorELNS0_4arch9wavefront6targetE1EEEvT1_,@function
_ZN7rocprim17ROCPRIM_400000_NS6detail17trampoline_kernelINS0_14default_configENS1_20scan_config_selectorItEEZZNS1_9scan_implILNS1_25lookback_scan_determinismE0ELb0ELb0ES3_N6thrust23THRUST_200600_302600_NS6detail15normal_iteratorINS9_10device_ptrItEEEENS9_16discard_iteratorINS9_11use_defaultEEEtNS9_4plusIvEEtEEDaPvRmT3_T4_T5_mT6_P12ihipStream_tbENKUlT_T0_E_clISt17integral_constantIbLb1EESW_IbLb0EEEEDaSS_ST_EUlSS_E0_NS1_11comp_targetILNS1_3genE2ELNS1_11target_archE906ELNS1_3gpuE6ELNS1_3repE0EEENS1_30default_config_static_selectorELNS0_4arch9wavefront6targetE1EEEvT1_: ; @_ZN7rocprim17ROCPRIM_400000_NS6detail17trampoline_kernelINS0_14default_configENS1_20scan_config_selectorItEEZZNS1_9scan_implILNS1_25lookback_scan_determinismE0ELb0ELb0ES3_N6thrust23THRUST_200600_302600_NS6detail15normal_iteratorINS9_10device_ptrItEEEENS9_16discard_iteratorINS9_11use_defaultEEEtNS9_4plusIvEEtEEDaPvRmT3_T4_T5_mT6_P12ihipStream_tbENKUlT_T0_E_clISt17integral_constantIbLb1EESW_IbLb0EEEEDaSS_ST_EUlSS_E0_NS1_11comp_targetILNS1_3genE2ELNS1_11target_archE906ELNS1_3gpuE6ELNS1_3repE0EEENS1_30default_config_static_selectorELNS0_4arch9wavefront6targetE1EEEvT1_
; %bb.0:
	.section	.rodata,"a",@progbits
	.p2align	6, 0x0
	.amdhsa_kernel _ZN7rocprim17ROCPRIM_400000_NS6detail17trampoline_kernelINS0_14default_configENS1_20scan_config_selectorItEEZZNS1_9scan_implILNS1_25lookback_scan_determinismE0ELb0ELb0ES3_N6thrust23THRUST_200600_302600_NS6detail15normal_iteratorINS9_10device_ptrItEEEENS9_16discard_iteratorINS9_11use_defaultEEEtNS9_4plusIvEEtEEDaPvRmT3_T4_T5_mT6_P12ihipStream_tbENKUlT_T0_E_clISt17integral_constantIbLb1EESW_IbLb0EEEEDaSS_ST_EUlSS_E0_NS1_11comp_targetILNS1_3genE2ELNS1_11target_archE906ELNS1_3gpuE6ELNS1_3repE0EEENS1_30default_config_static_selectorELNS0_4arch9wavefront6targetE1EEEvT1_
		.amdhsa_group_segment_fixed_size 0
		.amdhsa_private_segment_fixed_size 0
		.amdhsa_kernarg_size 40
		.amdhsa_user_sgpr_count 6
		.amdhsa_user_sgpr_private_segment_buffer 1
		.amdhsa_user_sgpr_dispatch_ptr 0
		.amdhsa_user_sgpr_queue_ptr 0
		.amdhsa_user_sgpr_kernarg_segment_ptr 1
		.amdhsa_user_sgpr_dispatch_id 0
		.amdhsa_user_sgpr_flat_scratch_init 0
		.amdhsa_user_sgpr_kernarg_preload_length 0
		.amdhsa_user_sgpr_kernarg_preload_offset 0
		.amdhsa_user_sgpr_private_segment_size 0
		.amdhsa_uses_dynamic_stack 0
		.amdhsa_system_sgpr_private_segment_wavefront_offset 0
		.amdhsa_system_sgpr_workgroup_id_x 1
		.amdhsa_system_sgpr_workgroup_id_y 0
		.amdhsa_system_sgpr_workgroup_id_z 0
		.amdhsa_system_sgpr_workgroup_info 0
		.amdhsa_system_vgpr_workitem_id 0
		.amdhsa_next_free_vgpr 1
		.amdhsa_next_free_sgpr 0
		.amdhsa_accum_offset 4
		.amdhsa_reserve_vcc 0
		.amdhsa_reserve_flat_scratch 0
		.amdhsa_float_round_mode_32 0
		.amdhsa_float_round_mode_16_64 0
		.amdhsa_float_denorm_mode_32 3
		.amdhsa_float_denorm_mode_16_64 3
		.amdhsa_dx10_clamp 1
		.amdhsa_ieee_mode 1
		.amdhsa_fp16_overflow 0
		.amdhsa_tg_split 0
		.amdhsa_exception_fp_ieee_invalid_op 0
		.amdhsa_exception_fp_denorm_src 0
		.amdhsa_exception_fp_ieee_div_zero 0
		.amdhsa_exception_fp_ieee_overflow 0
		.amdhsa_exception_fp_ieee_underflow 0
		.amdhsa_exception_fp_ieee_inexact 0
		.amdhsa_exception_int_div_zero 0
	.end_amdhsa_kernel
	.section	.text._ZN7rocprim17ROCPRIM_400000_NS6detail17trampoline_kernelINS0_14default_configENS1_20scan_config_selectorItEEZZNS1_9scan_implILNS1_25lookback_scan_determinismE0ELb0ELb0ES3_N6thrust23THRUST_200600_302600_NS6detail15normal_iteratorINS9_10device_ptrItEEEENS9_16discard_iteratorINS9_11use_defaultEEEtNS9_4plusIvEEtEEDaPvRmT3_T4_T5_mT6_P12ihipStream_tbENKUlT_T0_E_clISt17integral_constantIbLb1EESW_IbLb0EEEEDaSS_ST_EUlSS_E0_NS1_11comp_targetILNS1_3genE2ELNS1_11target_archE906ELNS1_3gpuE6ELNS1_3repE0EEENS1_30default_config_static_selectorELNS0_4arch9wavefront6targetE1EEEvT1_,"axG",@progbits,_ZN7rocprim17ROCPRIM_400000_NS6detail17trampoline_kernelINS0_14default_configENS1_20scan_config_selectorItEEZZNS1_9scan_implILNS1_25lookback_scan_determinismE0ELb0ELb0ES3_N6thrust23THRUST_200600_302600_NS6detail15normal_iteratorINS9_10device_ptrItEEEENS9_16discard_iteratorINS9_11use_defaultEEEtNS9_4plusIvEEtEEDaPvRmT3_T4_T5_mT6_P12ihipStream_tbENKUlT_T0_E_clISt17integral_constantIbLb1EESW_IbLb0EEEEDaSS_ST_EUlSS_E0_NS1_11comp_targetILNS1_3genE2ELNS1_11target_archE906ELNS1_3gpuE6ELNS1_3repE0EEENS1_30default_config_static_selectorELNS0_4arch9wavefront6targetE1EEEvT1_,comdat
.Lfunc_end5487:
	.size	_ZN7rocprim17ROCPRIM_400000_NS6detail17trampoline_kernelINS0_14default_configENS1_20scan_config_selectorItEEZZNS1_9scan_implILNS1_25lookback_scan_determinismE0ELb0ELb0ES3_N6thrust23THRUST_200600_302600_NS6detail15normal_iteratorINS9_10device_ptrItEEEENS9_16discard_iteratorINS9_11use_defaultEEEtNS9_4plusIvEEtEEDaPvRmT3_T4_T5_mT6_P12ihipStream_tbENKUlT_T0_E_clISt17integral_constantIbLb1EESW_IbLb0EEEEDaSS_ST_EUlSS_E0_NS1_11comp_targetILNS1_3genE2ELNS1_11target_archE906ELNS1_3gpuE6ELNS1_3repE0EEENS1_30default_config_static_selectorELNS0_4arch9wavefront6targetE1EEEvT1_, .Lfunc_end5487-_ZN7rocprim17ROCPRIM_400000_NS6detail17trampoline_kernelINS0_14default_configENS1_20scan_config_selectorItEEZZNS1_9scan_implILNS1_25lookback_scan_determinismE0ELb0ELb0ES3_N6thrust23THRUST_200600_302600_NS6detail15normal_iteratorINS9_10device_ptrItEEEENS9_16discard_iteratorINS9_11use_defaultEEEtNS9_4plusIvEEtEEDaPvRmT3_T4_T5_mT6_P12ihipStream_tbENKUlT_T0_E_clISt17integral_constantIbLb1EESW_IbLb0EEEEDaSS_ST_EUlSS_E0_NS1_11comp_targetILNS1_3genE2ELNS1_11target_archE906ELNS1_3gpuE6ELNS1_3repE0EEENS1_30default_config_static_selectorELNS0_4arch9wavefront6targetE1EEEvT1_
                                        ; -- End function
	.section	.AMDGPU.csdata,"",@progbits
; Kernel info:
; codeLenInByte = 0
; NumSgprs: 4
; NumVgprs: 0
; NumAgprs: 0
; TotalNumVgprs: 0
; ScratchSize: 0
; MemoryBound: 0
; FloatMode: 240
; IeeeMode: 1
; LDSByteSize: 0 bytes/workgroup (compile time only)
; SGPRBlocks: 0
; VGPRBlocks: 0
; NumSGPRsForWavesPerEU: 4
; NumVGPRsForWavesPerEU: 1
; AccumOffset: 4
; Occupancy: 8
; WaveLimiterHint : 0
; COMPUTE_PGM_RSRC2:SCRATCH_EN: 0
; COMPUTE_PGM_RSRC2:USER_SGPR: 6
; COMPUTE_PGM_RSRC2:TRAP_HANDLER: 0
; COMPUTE_PGM_RSRC2:TGID_X_EN: 1
; COMPUTE_PGM_RSRC2:TGID_Y_EN: 0
; COMPUTE_PGM_RSRC2:TGID_Z_EN: 0
; COMPUTE_PGM_RSRC2:TIDIG_COMP_CNT: 0
; COMPUTE_PGM_RSRC3_GFX90A:ACCUM_OFFSET: 0
; COMPUTE_PGM_RSRC3_GFX90A:TG_SPLIT: 0
	.section	.text._ZN7rocprim17ROCPRIM_400000_NS6detail17trampoline_kernelINS0_14default_configENS1_20scan_config_selectorItEEZZNS1_9scan_implILNS1_25lookback_scan_determinismE0ELb0ELb0ES3_N6thrust23THRUST_200600_302600_NS6detail15normal_iteratorINS9_10device_ptrItEEEENS9_16discard_iteratorINS9_11use_defaultEEEtNS9_4plusIvEEtEEDaPvRmT3_T4_T5_mT6_P12ihipStream_tbENKUlT_T0_E_clISt17integral_constantIbLb1EESW_IbLb0EEEEDaSS_ST_EUlSS_E0_NS1_11comp_targetILNS1_3genE10ELNS1_11target_archE1201ELNS1_3gpuE5ELNS1_3repE0EEENS1_30default_config_static_selectorELNS0_4arch9wavefront6targetE1EEEvT1_,"axG",@progbits,_ZN7rocprim17ROCPRIM_400000_NS6detail17trampoline_kernelINS0_14default_configENS1_20scan_config_selectorItEEZZNS1_9scan_implILNS1_25lookback_scan_determinismE0ELb0ELb0ES3_N6thrust23THRUST_200600_302600_NS6detail15normal_iteratorINS9_10device_ptrItEEEENS9_16discard_iteratorINS9_11use_defaultEEEtNS9_4plusIvEEtEEDaPvRmT3_T4_T5_mT6_P12ihipStream_tbENKUlT_T0_E_clISt17integral_constantIbLb1EESW_IbLb0EEEEDaSS_ST_EUlSS_E0_NS1_11comp_targetILNS1_3genE10ELNS1_11target_archE1201ELNS1_3gpuE5ELNS1_3repE0EEENS1_30default_config_static_selectorELNS0_4arch9wavefront6targetE1EEEvT1_,comdat
	.protected	_ZN7rocprim17ROCPRIM_400000_NS6detail17trampoline_kernelINS0_14default_configENS1_20scan_config_selectorItEEZZNS1_9scan_implILNS1_25lookback_scan_determinismE0ELb0ELb0ES3_N6thrust23THRUST_200600_302600_NS6detail15normal_iteratorINS9_10device_ptrItEEEENS9_16discard_iteratorINS9_11use_defaultEEEtNS9_4plusIvEEtEEDaPvRmT3_T4_T5_mT6_P12ihipStream_tbENKUlT_T0_E_clISt17integral_constantIbLb1EESW_IbLb0EEEEDaSS_ST_EUlSS_E0_NS1_11comp_targetILNS1_3genE10ELNS1_11target_archE1201ELNS1_3gpuE5ELNS1_3repE0EEENS1_30default_config_static_selectorELNS0_4arch9wavefront6targetE1EEEvT1_ ; -- Begin function _ZN7rocprim17ROCPRIM_400000_NS6detail17trampoline_kernelINS0_14default_configENS1_20scan_config_selectorItEEZZNS1_9scan_implILNS1_25lookback_scan_determinismE0ELb0ELb0ES3_N6thrust23THRUST_200600_302600_NS6detail15normal_iteratorINS9_10device_ptrItEEEENS9_16discard_iteratorINS9_11use_defaultEEEtNS9_4plusIvEEtEEDaPvRmT3_T4_T5_mT6_P12ihipStream_tbENKUlT_T0_E_clISt17integral_constantIbLb1EESW_IbLb0EEEEDaSS_ST_EUlSS_E0_NS1_11comp_targetILNS1_3genE10ELNS1_11target_archE1201ELNS1_3gpuE5ELNS1_3repE0EEENS1_30default_config_static_selectorELNS0_4arch9wavefront6targetE1EEEvT1_
	.globl	_ZN7rocprim17ROCPRIM_400000_NS6detail17trampoline_kernelINS0_14default_configENS1_20scan_config_selectorItEEZZNS1_9scan_implILNS1_25lookback_scan_determinismE0ELb0ELb0ES3_N6thrust23THRUST_200600_302600_NS6detail15normal_iteratorINS9_10device_ptrItEEEENS9_16discard_iteratorINS9_11use_defaultEEEtNS9_4plusIvEEtEEDaPvRmT3_T4_T5_mT6_P12ihipStream_tbENKUlT_T0_E_clISt17integral_constantIbLb1EESW_IbLb0EEEEDaSS_ST_EUlSS_E0_NS1_11comp_targetILNS1_3genE10ELNS1_11target_archE1201ELNS1_3gpuE5ELNS1_3repE0EEENS1_30default_config_static_selectorELNS0_4arch9wavefront6targetE1EEEvT1_
	.p2align	8
	.type	_ZN7rocprim17ROCPRIM_400000_NS6detail17trampoline_kernelINS0_14default_configENS1_20scan_config_selectorItEEZZNS1_9scan_implILNS1_25lookback_scan_determinismE0ELb0ELb0ES3_N6thrust23THRUST_200600_302600_NS6detail15normal_iteratorINS9_10device_ptrItEEEENS9_16discard_iteratorINS9_11use_defaultEEEtNS9_4plusIvEEtEEDaPvRmT3_T4_T5_mT6_P12ihipStream_tbENKUlT_T0_E_clISt17integral_constantIbLb1EESW_IbLb0EEEEDaSS_ST_EUlSS_E0_NS1_11comp_targetILNS1_3genE10ELNS1_11target_archE1201ELNS1_3gpuE5ELNS1_3repE0EEENS1_30default_config_static_selectorELNS0_4arch9wavefront6targetE1EEEvT1_,@function
_ZN7rocprim17ROCPRIM_400000_NS6detail17trampoline_kernelINS0_14default_configENS1_20scan_config_selectorItEEZZNS1_9scan_implILNS1_25lookback_scan_determinismE0ELb0ELb0ES3_N6thrust23THRUST_200600_302600_NS6detail15normal_iteratorINS9_10device_ptrItEEEENS9_16discard_iteratorINS9_11use_defaultEEEtNS9_4plusIvEEtEEDaPvRmT3_T4_T5_mT6_P12ihipStream_tbENKUlT_T0_E_clISt17integral_constantIbLb1EESW_IbLb0EEEEDaSS_ST_EUlSS_E0_NS1_11comp_targetILNS1_3genE10ELNS1_11target_archE1201ELNS1_3gpuE5ELNS1_3repE0EEENS1_30default_config_static_selectorELNS0_4arch9wavefront6targetE1EEEvT1_: ; @_ZN7rocprim17ROCPRIM_400000_NS6detail17trampoline_kernelINS0_14default_configENS1_20scan_config_selectorItEEZZNS1_9scan_implILNS1_25lookback_scan_determinismE0ELb0ELb0ES3_N6thrust23THRUST_200600_302600_NS6detail15normal_iteratorINS9_10device_ptrItEEEENS9_16discard_iteratorINS9_11use_defaultEEEtNS9_4plusIvEEtEEDaPvRmT3_T4_T5_mT6_P12ihipStream_tbENKUlT_T0_E_clISt17integral_constantIbLb1EESW_IbLb0EEEEDaSS_ST_EUlSS_E0_NS1_11comp_targetILNS1_3genE10ELNS1_11target_archE1201ELNS1_3gpuE5ELNS1_3repE0EEENS1_30default_config_static_selectorELNS0_4arch9wavefront6targetE1EEEvT1_
; %bb.0:
	.section	.rodata,"a",@progbits
	.p2align	6, 0x0
	.amdhsa_kernel _ZN7rocprim17ROCPRIM_400000_NS6detail17trampoline_kernelINS0_14default_configENS1_20scan_config_selectorItEEZZNS1_9scan_implILNS1_25lookback_scan_determinismE0ELb0ELb0ES3_N6thrust23THRUST_200600_302600_NS6detail15normal_iteratorINS9_10device_ptrItEEEENS9_16discard_iteratorINS9_11use_defaultEEEtNS9_4plusIvEEtEEDaPvRmT3_T4_T5_mT6_P12ihipStream_tbENKUlT_T0_E_clISt17integral_constantIbLb1EESW_IbLb0EEEEDaSS_ST_EUlSS_E0_NS1_11comp_targetILNS1_3genE10ELNS1_11target_archE1201ELNS1_3gpuE5ELNS1_3repE0EEENS1_30default_config_static_selectorELNS0_4arch9wavefront6targetE1EEEvT1_
		.amdhsa_group_segment_fixed_size 0
		.amdhsa_private_segment_fixed_size 0
		.amdhsa_kernarg_size 40
		.amdhsa_user_sgpr_count 6
		.amdhsa_user_sgpr_private_segment_buffer 1
		.amdhsa_user_sgpr_dispatch_ptr 0
		.amdhsa_user_sgpr_queue_ptr 0
		.amdhsa_user_sgpr_kernarg_segment_ptr 1
		.amdhsa_user_sgpr_dispatch_id 0
		.amdhsa_user_sgpr_flat_scratch_init 0
		.amdhsa_user_sgpr_kernarg_preload_length 0
		.amdhsa_user_sgpr_kernarg_preload_offset 0
		.amdhsa_user_sgpr_private_segment_size 0
		.amdhsa_uses_dynamic_stack 0
		.amdhsa_system_sgpr_private_segment_wavefront_offset 0
		.amdhsa_system_sgpr_workgroup_id_x 1
		.amdhsa_system_sgpr_workgroup_id_y 0
		.amdhsa_system_sgpr_workgroup_id_z 0
		.amdhsa_system_sgpr_workgroup_info 0
		.amdhsa_system_vgpr_workitem_id 0
		.amdhsa_next_free_vgpr 1
		.amdhsa_next_free_sgpr 0
		.amdhsa_accum_offset 4
		.amdhsa_reserve_vcc 0
		.amdhsa_reserve_flat_scratch 0
		.amdhsa_float_round_mode_32 0
		.amdhsa_float_round_mode_16_64 0
		.amdhsa_float_denorm_mode_32 3
		.amdhsa_float_denorm_mode_16_64 3
		.amdhsa_dx10_clamp 1
		.amdhsa_ieee_mode 1
		.amdhsa_fp16_overflow 0
		.amdhsa_tg_split 0
		.amdhsa_exception_fp_ieee_invalid_op 0
		.amdhsa_exception_fp_denorm_src 0
		.amdhsa_exception_fp_ieee_div_zero 0
		.amdhsa_exception_fp_ieee_overflow 0
		.amdhsa_exception_fp_ieee_underflow 0
		.amdhsa_exception_fp_ieee_inexact 0
		.amdhsa_exception_int_div_zero 0
	.end_amdhsa_kernel
	.section	.text._ZN7rocprim17ROCPRIM_400000_NS6detail17trampoline_kernelINS0_14default_configENS1_20scan_config_selectorItEEZZNS1_9scan_implILNS1_25lookback_scan_determinismE0ELb0ELb0ES3_N6thrust23THRUST_200600_302600_NS6detail15normal_iteratorINS9_10device_ptrItEEEENS9_16discard_iteratorINS9_11use_defaultEEEtNS9_4plusIvEEtEEDaPvRmT3_T4_T5_mT6_P12ihipStream_tbENKUlT_T0_E_clISt17integral_constantIbLb1EESW_IbLb0EEEEDaSS_ST_EUlSS_E0_NS1_11comp_targetILNS1_3genE10ELNS1_11target_archE1201ELNS1_3gpuE5ELNS1_3repE0EEENS1_30default_config_static_selectorELNS0_4arch9wavefront6targetE1EEEvT1_,"axG",@progbits,_ZN7rocprim17ROCPRIM_400000_NS6detail17trampoline_kernelINS0_14default_configENS1_20scan_config_selectorItEEZZNS1_9scan_implILNS1_25lookback_scan_determinismE0ELb0ELb0ES3_N6thrust23THRUST_200600_302600_NS6detail15normal_iteratorINS9_10device_ptrItEEEENS9_16discard_iteratorINS9_11use_defaultEEEtNS9_4plusIvEEtEEDaPvRmT3_T4_T5_mT6_P12ihipStream_tbENKUlT_T0_E_clISt17integral_constantIbLb1EESW_IbLb0EEEEDaSS_ST_EUlSS_E0_NS1_11comp_targetILNS1_3genE10ELNS1_11target_archE1201ELNS1_3gpuE5ELNS1_3repE0EEENS1_30default_config_static_selectorELNS0_4arch9wavefront6targetE1EEEvT1_,comdat
.Lfunc_end5488:
	.size	_ZN7rocprim17ROCPRIM_400000_NS6detail17trampoline_kernelINS0_14default_configENS1_20scan_config_selectorItEEZZNS1_9scan_implILNS1_25lookback_scan_determinismE0ELb0ELb0ES3_N6thrust23THRUST_200600_302600_NS6detail15normal_iteratorINS9_10device_ptrItEEEENS9_16discard_iteratorINS9_11use_defaultEEEtNS9_4plusIvEEtEEDaPvRmT3_T4_T5_mT6_P12ihipStream_tbENKUlT_T0_E_clISt17integral_constantIbLb1EESW_IbLb0EEEEDaSS_ST_EUlSS_E0_NS1_11comp_targetILNS1_3genE10ELNS1_11target_archE1201ELNS1_3gpuE5ELNS1_3repE0EEENS1_30default_config_static_selectorELNS0_4arch9wavefront6targetE1EEEvT1_, .Lfunc_end5488-_ZN7rocprim17ROCPRIM_400000_NS6detail17trampoline_kernelINS0_14default_configENS1_20scan_config_selectorItEEZZNS1_9scan_implILNS1_25lookback_scan_determinismE0ELb0ELb0ES3_N6thrust23THRUST_200600_302600_NS6detail15normal_iteratorINS9_10device_ptrItEEEENS9_16discard_iteratorINS9_11use_defaultEEEtNS9_4plusIvEEtEEDaPvRmT3_T4_T5_mT6_P12ihipStream_tbENKUlT_T0_E_clISt17integral_constantIbLb1EESW_IbLb0EEEEDaSS_ST_EUlSS_E0_NS1_11comp_targetILNS1_3genE10ELNS1_11target_archE1201ELNS1_3gpuE5ELNS1_3repE0EEENS1_30default_config_static_selectorELNS0_4arch9wavefront6targetE1EEEvT1_
                                        ; -- End function
	.section	.AMDGPU.csdata,"",@progbits
; Kernel info:
; codeLenInByte = 0
; NumSgprs: 4
; NumVgprs: 0
; NumAgprs: 0
; TotalNumVgprs: 0
; ScratchSize: 0
; MemoryBound: 0
; FloatMode: 240
; IeeeMode: 1
; LDSByteSize: 0 bytes/workgroup (compile time only)
; SGPRBlocks: 0
; VGPRBlocks: 0
; NumSGPRsForWavesPerEU: 4
; NumVGPRsForWavesPerEU: 1
; AccumOffset: 4
; Occupancy: 8
; WaveLimiterHint : 0
; COMPUTE_PGM_RSRC2:SCRATCH_EN: 0
; COMPUTE_PGM_RSRC2:USER_SGPR: 6
; COMPUTE_PGM_RSRC2:TRAP_HANDLER: 0
; COMPUTE_PGM_RSRC2:TGID_X_EN: 1
; COMPUTE_PGM_RSRC2:TGID_Y_EN: 0
; COMPUTE_PGM_RSRC2:TGID_Z_EN: 0
; COMPUTE_PGM_RSRC2:TIDIG_COMP_CNT: 0
; COMPUTE_PGM_RSRC3_GFX90A:ACCUM_OFFSET: 0
; COMPUTE_PGM_RSRC3_GFX90A:TG_SPLIT: 0
	.section	.text._ZN7rocprim17ROCPRIM_400000_NS6detail17trampoline_kernelINS0_14default_configENS1_20scan_config_selectorItEEZZNS1_9scan_implILNS1_25lookback_scan_determinismE0ELb0ELb0ES3_N6thrust23THRUST_200600_302600_NS6detail15normal_iteratorINS9_10device_ptrItEEEENS9_16discard_iteratorINS9_11use_defaultEEEtNS9_4plusIvEEtEEDaPvRmT3_T4_T5_mT6_P12ihipStream_tbENKUlT_T0_E_clISt17integral_constantIbLb1EESW_IbLb0EEEEDaSS_ST_EUlSS_E0_NS1_11comp_targetILNS1_3genE10ELNS1_11target_archE1200ELNS1_3gpuE4ELNS1_3repE0EEENS1_30default_config_static_selectorELNS0_4arch9wavefront6targetE1EEEvT1_,"axG",@progbits,_ZN7rocprim17ROCPRIM_400000_NS6detail17trampoline_kernelINS0_14default_configENS1_20scan_config_selectorItEEZZNS1_9scan_implILNS1_25lookback_scan_determinismE0ELb0ELb0ES3_N6thrust23THRUST_200600_302600_NS6detail15normal_iteratorINS9_10device_ptrItEEEENS9_16discard_iteratorINS9_11use_defaultEEEtNS9_4plusIvEEtEEDaPvRmT3_T4_T5_mT6_P12ihipStream_tbENKUlT_T0_E_clISt17integral_constantIbLb1EESW_IbLb0EEEEDaSS_ST_EUlSS_E0_NS1_11comp_targetILNS1_3genE10ELNS1_11target_archE1200ELNS1_3gpuE4ELNS1_3repE0EEENS1_30default_config_static_selectorELNS0_4arch9wavefront6targetE1EEEvT1_,comdat
	.protected	_ZN7rocprim17ROCPRIM_400000_NS6detail17trampoline_kernelINS0_14default_configENS1_20scan_config_selectorItEEZZNS1_9scan_implILNS1_25lookback_scan_determinismE0ELb0ELb0ES3_N6thrust23THRUST_200600_302600_NS6detail15normal_iteratorINS9_10device_ptrItEEEENS9_16discard_iteratorINS9_11use_defaultEEEtNS9_4plusIvEEtEEDaPvRmT3_T4_T5_mT6_P12ihipStream_tbENKUlT_T0_E_clISt17integral_constantIbLb1EESW_IbLb0EEEEDaSS_ST_EUlSS_E0_NS1_11comp_targetILNS1_3genE10ELNS1_11target_archE1200ELNS1_3gpuE4ELNS1_3repE0EEENS1_30default_config_static_selectorELNS0_4arch9wavefront6targetE1EEEvT1_ ; -- Begin function _ZN7rocprim17ROCPRIM_400000_NS6detail17trampoline_kernelINS0_14default_configENS1_20scan_config_selectorItEEZZNS1_9scan_implILNS1_25lookback_scan_determinismE0ELb0ELb0ES3_N6thrust23THRUST_200600_302600_NS6detail15normal_iteratorINS9_10device_ptrItEEEENS9_16discard_iteratorINS9_11use_defaultEEEtNS9_4plusIvEEtEEDaPvRmT3_T4_T5_mT6_P12ihipStream_tbENKUlT_T0_E_clISt17integral_constantIbLb1EESW_IbLb0EEEEDaSS_ST_EUlSS_E0_NS1_11comp_targetILNS1_3genE10ELNS1_11target_archE1200ELNS1_3gpuE4ELNS1_3repE0EEENS1_30default_config_static_selectorELNS0_4arch9wavefront6targetE1EEEvT1_
	.globl	_ZN7rocprim17ROCPRIM_400000_NS6detail17trampoline_kernelINS0_14default_configENS1_20scan_config_selectorItEEZZNS1_9scan_implILNS1_25lookback_scan_determinismE0ELb0ELb0ES3_N6thrust23THRUST_200600_302600_NS6detail15normal_iteratorINS9_10device_ptrItEEEENS9_16discard_iteratorINS9_11use_defaultEEEtNS9_4plusIvEEtEEDaPvRmT3_T4_T5_mT6_P12ihipStream_tbENKUlT_T0_E_clISt17integral_constantIbLb1EESW_IbLb0EEEEDaSS_ST_EUlSS_E0_NS1_11comp_targetILNS1_3genE10ELNS1_11target_archE1200ELNS1_3gpuE4ELNS1_3repE0EEENS1_30default_config_static_selectorELNS0_4arch9wavefront6targetE1EEEvT1_
	.p2align	8
	.type	_ZN7rocprim17ROCPRIM_400000_NS6detail17trampoline_kernelINS0_14default_configENS1_20scan_config_selectorItEEZZNS1_9scan_implILNS1_25lookback_scan_determinismE0ELb0ELb0ES3_N6thrust23THRUST_200600_302600_NS6detail15normal_iteratorINS9_10device_ptrItEEEENS9_16discard_iteratorINS9_11use_defaultEEEtNS9_4plusIvEEtEEDaPvRmT3_T4_T5_mT6_P12ihipStream_tbENKUlT_T0_E_clISt17integral_constantIbLb1EESW_IbLb0EEEEDaSS_ST_EUlSS_E0_NS1_11comp_targetILNS1_3genE10ELNS1_11target_archE1200ELNS1_3gpuE4ELNS1_3repE0EEENS1_30default_config_static_selectorELNS0_4arch9wavefront6targetE1EEEvT1_,@function
_ZN7rocprim17ROCPRIM_400000_NS6detail17trampoline_kernelINS0_14default_configENS1_20scan_config_selectorItEEZZNS1_9scan_implILNS1_25lookback_scan_determinismE0ELb0ELb0ES3_N6thrust23THRUST_200600_302600_NS6detail15normal_iteratorINS9_10device_ptrItEEEENS9_16discard_iteratorINS9_11use_defaultEEEtNS9_4plusIvEEtEEDaPvRmT3_T4_T5_mT6_P12ihipStream_tbENKUlT_T0_E_clISt17integral_constantIbLb1EESW_IbLb0EEEEDaSS_ST_EUlSS_E0_NS1_11comp_targetILNS1_3genE10ELNS1_11target_archE1200ELNS1_3gpuE4ELNS1_3repE0EEENS1_30default_config_static_selectorELNS0_4arch9wavefront6targetE1EEEvT1_: ; @_ZN7rocprim17ROCPRIM_400000_NS6detail17trampoline_kernelINS0_14default_configENS1_20scan_config_selectorItEEZZNS1_9scan_implILNS1_25lookback_scan_determinismE0ELb0ELb0ES3_N6thrust23THRUST_200600_302600_NS6detail15normal_iteratorINS9_10device_ptrItEEEENS9_16discard_iteratorINS9_11use_defaultEEEtNS9_4plusIvEEtEEDaPvRmT3_T4_T5_mT6_P12ihipStream_tbENKUlT_T0_E_clISt17integral_constantIbLb1EESW_IbLb0EEEEDaSS_ST_EUlSS_E0_NS1_11comp_targetILNS1_3genE10ELNS1_11target_archE1200ELNS1_3gpuE4ELNS1_3repE0EEENS1_30default_config_static_selectorELNS0_4arch9wavefront6targetE1EEEvT1_
; %bb.0:
	.section	.rodata,"a",@progbits
	.p2align	6, 0x0
	.amdhsa_kernel _ZN7rocprim17ROCPRIM_400000_NS6detail17trampoline_kernelINS0_14default_configENS1_20scan_config_selectorItEEZZNS1_9scan_implILNS1_25lookback_scan_determinismE0ELb0ELb0ES3_N6thrust23THRUST_200600_302600_NS6detail15normal_iteratorINS9_10device_ptrItEEEENS9_16discard_iteratorINS9_11use_defaultEEEtNS9_4plusIvEEtEEDaPvRmT3_T4_T5_mT6_P12ihipStream_tbENKUlT_T0_E_clISt17integral_constantIbLb1EESW_IbLb0EEEEDaSS_ST_EUlSS_E0_NS1_11comp_targetILNS1_3genE10ELNS1_11target_archE1200ELNS1_3gpuE4ELNS1_3repE0EEENS1_30default_config_static_selectorELNS0_4arch9wavefront6targetE1EEEvT1_
		.amdhsa_group_segment_fixed_size 0
		.amdhsa_private_segment_fixed_size 0
		.amdhsa_kernarg_size 40
		.amdhsa_user_sgpr_count 6
		.amdhsa_user_sgpr_private_segment_buffer 1
		.amdhsa_user_sgpr_dispatch_ptr 0
		.amdhsa_user_sgpr_queue_ptr 0
		.amdhsa_user_sgpr_kernarg_segment_ptr 1
		.amdhsa_user_sgpr_dispatch_id 0
		.amdhsa_user_sgpr_flat_scratch_init 0
		.amdhsa_user_sgpr_kernarg_preload_length 0
		.amdhsa_user_sgpr_kernarg_preload_offset 0
		.amdhsa_user_sgpr_private_segment_size 0
		.amdhsa_uses_dynamic_stack 0
		.amdhsa_system_sgpr_private_segment_wavefront_offset 0
		.amdhsa_system_sgpr_workgroup_id_x 1
		.amdhsa_system_sgpr_workgroup_id_y 0
		.amdhsa_system_sgpr_workgroup_id_z 0
		.amdhsa_system_sgpr_workgroup_info 0
		.amdhsa_system_vgpr_workitem_id 0
		.amdhsa_next_free_vgpr 1
		.amdhsa_next_free_sgpr 0
		.amdhsa_accum_offset 4
		.amdhsa_reserve_vcc 0
		.amdhsa_reserve_flat_scratch 0
		.amdhsa_float_round_mode_32 0
		.amdhsa_float_round_mode_16_64 0
		.amdhsa_float_denorm_mode_32 3
		.amdhsa_float_denorm_mode_16_64 3
		.amdhsa_dx10_clamp 1
		.amdhsa_ieee_mode 1
		.amdhsa_fp16_overflow 0
		.amdhsa_tg_split 0
		.amdhsa_exception_fp_ieee_invalid_op 0
		.amdhsa_exception_fp_denorm_src 0
		.amdhsa_exception_fp_ieee_div_zero 0
		.amdhsa_exception_fp_ieee_overflow 0
		.amdhsa_exception_fp_ieee_underflow 0
		.amdhsa_exception_fp_ieee_inexact 0
		.amdhsa_exception_int_div_zero 0
	.end_amdhsa_kernel
	.section	.text._ZN7rocprim17ROCPRIM_400000_NS6detail17trampoline_kernelINS0_14default_configENS1_20scan_config_selectorItEEZZNS1_9scan_implILNS1_25lookback_scan_determinismE0ELb0ELb0ES3_N6thrust23THRUST_200600_302600_NS6detail15normal_iteratorINS9_10device_ptrItEEEENS9_16discard_iteratorINS9_11use_defaultEEEtNS9_4plusIvEEtEEDaPvRmT3_T4_T5_mT6_P12ihipStream_tbENKUlT_T0_E_clISt17integral_constantIbLb1EESW_IbLb0EEEEDaSS_ST_EUlSS_E0_NS1_11comp_targetILNS1_3genE10ELNS1_11target_archE1200ELNS1_3gpuE4ELNS1_3repE0EEENS1_30default_config_static_selectorELNS0_4arch9wavefront6targetE1EEEvT1_,"axG",@progbits,_ZN7rocprim17ROCPRIM_400000_NS6detail17trampoline_kernelINS0_14default_configENS1_20scan_config_selectorItEEZZNS1_9scan_implILNS1_25lookback_scan_determinismE0ELb0ELb0ES3_N6thrust23THRUST_200600_302600_NS6detail15normal_iteratorINS9_10device_ptrItEEEENS9_16discard_iteratorINS9_11use_defaultEEEtNS9_4plusIvEEtEEDaPvRmT3_T4_T5_mT6_P12ihipStream_tbENKUlT_T0_E_clISt17integral_constantIbLb1EESW_IbLb0EEEEDaSS_ST_EUlSS_E0_NS1_11comp_targetILNS1_3genE10ELNS1_11target_archE1200ELNS1_3gpuE4ELNS1_3repE0EEENS1_30default_config_static_selectorELNS0_4arch9wavefront6targetE1EEEvT1_,comdat
.Lfunc_end5489:
	.size	_ZN7rocprim17ROCPRIM_400000_NS6detail17trampoline_kernelINS0_14default_configENS1_20scan_config_selectorItEEZZNS1_9scan_implILNS1_25lookback_scan_determinismE0ELb0ELb0ES3_N6thrust23THRUST_200600_302600_NS6detail15normal_iteratorINS9_10device_ptrItEEEENS9_16discard_iteratorINS9_11use_defaultEEEtNS9_4plusIvEEtEEDaPvRmT3_T4_T5_mT6_P12ihipStream_tbENKUlT_T0_E_clISt17integral_constantIbLb1EESW_IbLb0EEEEDaSS_ST_EUlSS_E0_NS1_11comp_targetILNS1_3genE10ELNS1_11target_archE1200ELNS1_3gpuE4ELNS1_3repE0EEENS1_30default_config_static_selectorELNS0_4arch9wavefront6targetE1EEEvT1_, .Lfunc_end5489-_ZN7rocprim17ROCPRIM_400000_NS6detail17trampoline_kernelINS0_14default_configENS1_20scan_config_selectorItEEZZNS1_9scan_implILNS1_25lookback_scan_determinismE0ELb0ELb0ES3_N6thrust23THRUST_200600_302600_NS6detail15normal_iteratorINS9_10device_ptrItEEEENS9_16discard_iteratorINS9_11use_defaultEEEtNS9_4plusIvEEtEEDaPvRmT3_T4_T5_mT6_P12ihipStream_tbENKUlT_T0_E_clISt17integral_constantIbLb1EESW_IbLb0EEEEDaSS_ST_EUlSS_E0_NS1_11comp_targetILNS1_3genE10ELNS1_11target_archE1200ELNS1_3gpuE4ELNS1_3repE0EEENS1_30default_config_static_selectorELNS0_4arch9wavefront6targetE1EEEvT1_
                                        ; -- End function
	.section	.AMDGPU.csdata,"",@progbits
; Kernel info:
; codeLenInByte = 0
; NumSgprs: 4
; NumVgprs: 0
; NumAgprs: 0
; TotalNumVgprs: 0
; ScratchSize: 0
; MemoryBound: 0
; FloatMode: 240
; IeeeMode: 1
; LDSByteSize: 0 bytes/workgroup (compile time only)
; SGPRBlocks: 0
; VGPRBlocks: 0
; NumSGPRsForWavesPerEU: 4
; NumVGPRsForWavesPerEU: 1
; AccumOffset: 4
; Occupancy: 8
; WaveLimiterHint : 0
; COMPUTE_PGM_RSRC2:SCRATCH_EN: 0
; COMPUTE_PGM_RSRC2:USER_SGPR: 6
; COMPUTE_PGM_RSRC2:TRAP_HANDLER: 0
; COMPUTE_PGM_RSRC2:TGID_X_EN: 1
; COMPUTE_PGM_RSRC2:TGID_Y_EN: 0
; COMPUTE_PGM_RSRC2:TGID_Z_EN: 0
; COMPUTE_PGM_RSRC2:TIDIG_COMP_CNT: 0
; COMPUTE_PGM_RSRC3_GFX90A:ACCUM_OFFSET: 0
; COMPUTE_PGM_RSRC3_GFX90A:TG_SPLIT: 0
	.section	.text._ZN7rocprim17ROCPRIM_400000_NS6detail17trampoline_kernelINS0_14default_configENS1_20scan_config_selectorItEEZZNS1_9scan_implILNS1_25lookback_scan_determinismE0ELb0ELb0ES3_N6thrust23THRUST_200600_302600_NS6detail15normal_iteratorINS9_10device_ptrItEEEENS9_16discard_iteratorINS9_11use_defaultEEEtNS9_4plusIvEEtEEDaPvRmT3_T4_T5_mT6_P12ihipStream_tbENKUlT_T0_E_clISt17integral_constantIbLb1EESW_IbLb0EEEEDaSS_ST_EUlSS_E0_NS1_11comp_targetILNS1_3genE9ELNS1_11target_archE1100ELNS1_3gpuE3ELNS1_3repE0EEENS1_30default_config_static_selectorELNS0_4arch9wavefront6targetE1EEEvT1_,"axG",@progbits,_ZN7rocprim17ROCPRIM_400000_NS6detail17trampoline_kernelINS0_14default_configENS1_20scan_config_selectorItEEZZNS1_9scan_implILNS1_25lookback_scan_determinismE0ELb0ELb0ES3_N6thrust23THRUST_200600_302600_NS6detail15normal_iteratorINS9_10device_ptrItEEEENS9_16discard_iteratorINS9_11use_defaultEEEtNS9_4plusIvEEtEEDaPvRmT3_T4_T5_mT6_P12ihipStream_tbENKUlT_T0_E_clISt17integral_constantIbLb1EESW_IbLb0EEEEDaSS_ST_EUlSS_E0_NS1_11comp_targetILNS1_3genE9ELNS1_11target_archE1100ELNS1_3gpuE3ELNS1_3repE0EEENS1_30default_config_static_selectorELNS0_4arch9wavefront6targetE1EEEvT1_,comdat
	.protected	_ZN7rocprim17ROCPRIM_400000_NS6detail17trampoline_kernelINS0_14default_configENS1_20scan_config_selectorItEEZZNS1_9scan_implILNS1_25lookback_scan_determinismE0ELb0ELb0ES3_N6thrust23THRUST_200600_302600_NS6detail15normal_iteratorINS9_10device_ptrItEEEENS9_16discard_iteratorINS9_11use_defaultEEEtNS9_4plusIvEEtEEDaPvRmT3_T4_T5_mT6_P12ihipStream_tbENKUlT_T0_E_clISt17integral_constantIbLb1EESW_IbLb0EEEEDaSS_ST_EUlSS_E0_NS1_11comp_targetILNS1_3genE9ELNS1_11target_archE1100ELNS1_3gpuE3ELNS1_3repE0EEENS1_30default_config_static_selectorELNS0_4arch9wavefront6targetE1EEEvT1_ ; -- Begin function _ZN7rocprim17ROCPRIM_400000_NS6detail17trampoline_kernelINS0_14default_configENS1_20scan_config_selectorItEEZZNS1_9scan_implILNS1_25lookback_scan_determinismE0ELb0ELb0ES3_N6thrust23THRUST_200600_302600_NS6detail15normal_iteratorINS9_10device_ptrItEEEENS9_16discard_iteratorINS9_11use_defaultEEEtNS9_4plusIvEEtEEDaPvRmT3_T4_T5_mT6_P12ihipStream_tbENKUlT_T0_E_clISt17integral_constantIbLb1EESW_IbLb0EEEEDaSS_ST_EUlSS_E0_NS1_11comp_targetILNS1_3genE9ELNS1_11target_archE1100ELNS1_3gpuE3ELNS1_3repE0EEENS1_30default_config_static_selectorELNS0_4arch9wavefront6targetE1EEEvT1_
	.globl	_ZN7rocprim17ROCPRIM_400000_NS6detail17trampoline_kernelINS0_14default_configENS1_20scan_config_selectorItEEZZNS1_9scan_implILNS1_25lookback_scan_determinismE0ELb0ELb0ES3_N6thrust23THRUST_200600_302600_NS6detail15normal_iteratorINS9_10device_ptrItEEEENS9_16discard_iteratorINS9_11use_defaultEEEtNS9_4plusIvEEtEEDaPvRmT3_T4_T5_mT6_P12ihipStream_tbENKUlT_T0_E_clISt17integral_constantIbLb1EESW_IbLb0EEEEDaSS_ST_EUlSS_E0_NS1_11comp_targetILNS1_3genE9ELNS1_11target_archE1100ELNS1_3gpuE3ELNS1_3repE0EEENS1_30default_config_static_selectorELNS0_4arch9wavefront6targetE1EEEvT1_
	.p2align	8
	.type	_ZN7rocprim17ROCPRIM_400000_NS6detail17trampoline_kernelINS0_14default_configENS1_20scan_config_selectorItEEZZNS1_9scan_implILNS1_25lookback_scan_determinismE0ELb0ELb0ES3_N6thrust23THRUST_200600_302600_NS6detail15normal_iteratorINS9_10device_ptrItEEEENS9_16discard_iteratorINS9_11use_defaultEEEtNS9_4plusIvEEtEEDaPvRmT3_T4_T5_mT6_P12ihipStream_tbENKUlT_T0_E_clISt17integral_constantIbLb1EESW_IbLb0EEEEDaSS_ST_EUlSS_E0_NS1_11comp_targetILNS1_3genE9ELNS1_11target_archE1100ELNS1_3gpuE3ELNS1_3repE0EEENS1_30default_config_static_selectorELNS0_4arch9wavefront6targetE1EEEvT1_,@function
_ZN7rocprim17ROCPRIM_400000_NS6detail17trampoline_kernelINS0_14default_configENS1_20scan_config_selectorItEEZZNS1_9scan_implILNS1_25lookback_scan_determinismE0ELb0ELb0ES3_N6thrust23THRUST_200600_302600_NS6detail15normal_iteratorINS9_10device_ptrItEEEENS9_16discard_iteratorINS9_11use_defaultEEEtNS9_4plusIvEEtEEDaPvRmT3_T4_T5_mT6_P12ihipStream_tbENKUlT_T0_E_clISt17integral_constantIbLb1EESW_IbLb0EEEEDaSS_ST_EUlSS_E0_NS1_11comp_targetILNS1_3genE9ELNS1_11target_archE1100ELNS1_3gpuE3ELNS1_3repE0EEENS1_30default_config_static_selectorELNS0_4arch9wavefront6targetE1EEEvT1_: ; @_ZN7rocprim17ROCPRIM_400000_NS6detail17trampoline_kernelINS0_14default_configENS1_20scan_config_selectorItEEZZNS1_9scan_implILNS1_25lookback_scan_determinismE0ELb0ELb0ES3_N6thrust23THRUST_200600_302600_NS6detail15normal_iteratorINS9_10device_ptrItEEEENS9_16discard_iteratorINS9_11use_defaultEEEtNS9_4plusIvEEtEEDaPvRmT3_T4_T5_mT6_P12ihipStream_tbENKUlT_T0_E_clISt17integral_constantIbLb1EESW_IbLb0EEEEDaSS_ST_EUlSS_E0_NS1_11comp_targetILNS1_3genE9ELNS1_11target_archE1100ELNS1_3gpuE3ELNS1_3repE0EEENS1_30default_config_static_selectorELNS0_4arch9wavefront6targetE1EEEvT1_
; %bb.0:
	.section	.rodata,"a",@progbits
	.p2align	6, 0x0
	.amdhsa_kernel _ZN7rocprim17ROCPRIM_400000_NS6detail17trampoline_kernelINS0_14default_configENS1_20scan_config_selectorItEEZZNS1_9scan_implILNS1_25lookback_scan_determinismE0ELb0ELb0ES3_N6thrust23THRUST_200600_302600_NS6detail15normal_iteratorINS9_10device_ptrItEEEENS9_16discard_iteratorINS9_11use_defaultEEEtNS9_4plusIvEEtEEDaPvRmT3_T4_T5_mT6_P12ihipStream_tbENKUlT_T0_E_clISt17integral_constantIbLb1EESW_IbLb0EEEEDaSS_ST_EUlSS_E0_NS1_11comp_targetILNS1_3genE9ELNS1_11target_archE1100ELNS1_3gpuE3ELNS1_3repE0EEENS1_30default_config_static_selectorELNS0_4arch9wavefront6targetE1EEEvT1_
		.amdhsa_group_segment_fixed_size 0
		.amdhsa_private_segment_fixed_size 0
		.amdhsa_kernarg_size 40
		.amdhsa_user_sgpr_count 6
		.amdhsa_user_sgpr_private_segment_buffer 1
		.amdhsa_user_sgpr_dispatch_ptr 0
		.amdhsa_user_sgpr_queue_ptr 0
		.amdhsa_user_sgpr_kernarg_segment_ptr 1
		.amdhsa_user_sgpr_dispatch_id 0
		.amdhsa_user_sgpr_flat_scratch_init 0
		.amdhsa_user_sgpr_kernarg_preload_length 0
		.amdhsa_user_sgpr_kernarg_preload_offset 0
		.amdhsa_user_sgpr_private_segment_size 0
		.amdhsa_uses_dynamic_stack 0
		.amdhsa_system_sgpr_private_segment_wavefront_offset 0
		.amdhsa_system_sgpr_workgroup_id_x 1
		.amdhsa_system_sgpr_workgroup_id_y 0
		.amdhsa_system_sgpr_workgroup_id_z 0
		.amdhsa_system_sgpr_workgroup_info 0
		.amdhsa_system_vgpr_workitem_id 0
		.amdhsa_next_free_vgpr 1
		.amdhsa_next_free_sgpr 0
		.amdhsa_accum_offset 4
		.amdhsa_reserve_vcc 0
		.amdhsa_reserve_flat_scratch 0
		.amdhsa_float_round_mode_32 0
		.amdhsa_float_round_mode_16_64 0
		.amdhsa_float_denorm_mode_32 3
		.amdhsa_float_denorm_mode_16_64 3
		.amdhsa_dx10_clamp 1
		.amdhsa_ieee_mode 1
		.amdhsa_fp16_overflow 0
		.amdhsa_tg_split 0
		.amdhsa_exception_fp_ieee_invalid_op 0
		.amdhsa_exception_fp_denorm_src 0
		.amdhsa_exception_fp_ieee_div_zero 0
		.amdhsa_exception_fp_ieee_overflow 0
		.amdhsa_exception_fp_ieee_underflow 0
		.amdhsa_exception_fp_ieee_inexact 0
		.amdhsa_exception_int_div_zero 0
	.end_amdhsa_kernel
	.section	.text._ZN7rocprim17ROCPRIM_400000_NS6detail17trampoline_kernelINS0_14default_configENS1_20scan_config_selectorItEEZZNS1_9scan_implILNS1_25lookback_scan_determinismE0ELb0ELb0ES3_N6thrust23THRUST_200600_302600_NS6detail15normal_iteratorINS9_10device_ptrItEEEENS9_16discard_iteratorINS9_11use_defaultEEEtNS9_4plusIvEEtEEDaPvRmT3_T4_T5_mT6_P12ihipStream_tbENKUlT_T0_E_clISt17integral_constantIbLb1EESW_IbLb0EEEEDaSS_ST_EUlSS_E0_NS1_11comp_targetILNS1_3genE9ELNS1_11target_archE1100ELNS1_3gpuE3ELNS1_3repE0EEENS1_30default_config_static_selectorELNS0_4arch9wavefront6targetE1EEEvT1_,"axG",@progbits,_ZN7rocprim17ROCPRIM_400000_NS6detail17trampoline_kernelINS0_14default_configENS1_20scan_config_selectorItEEZZNS1_9scan_implILNS1_25lookback_scan_determinismE0ELb0ELb0ES3_N6thrust23THRUST_200600_302600_NS6detail15normal_iteratorINS9_10device_ptrItEEEENS9_16discard_iteratorINS9_11use_defaultEEEtNS9_4plusIvEEtEEDaPvRmT3_T4_T5_mT6_P12ihipStream_tbENKUlT_T0_E_clISt17integral_constantIbLb1EESW_IbLb0EEEEDaSS_ST_EUlSS_E0_NS1_11comp_targetILNS1_3genE9ELNS1_11target_archE1100ELNS1_3gpuE3ELNS1_3repE0EEENS1_30default_config_static_selectorELNS0_4arch9wavefront6targetE1EEEvT1_,comdat
.Lfunc_end5490:
	.size	_ZN7rocprim17ROCPRIM_400000_NS6detail17trampoline_kernelINS0_14default_configENS1_20scan_config_selectorItEEZZNS1_9scan_implILNS1_25lookback_scan_determinismE0ELb0ELb0ES3_N6thrust23THRUST_200600_302600_NS6detail15normal_iteratorINS9_10device_ptrItEEEENS9_16discard_iteratorINS9_11use_defaultEEEtNS9_4plusIvEEtEEDaPvRmT3_T4_T5_mT6_P12ihipStream_tbENKUlT_T0_E_clISt17integral_constantIbLb1EESW_IbLb0EEEEDaSS_ST_EUlSS_E0_NS1_11comp_targetILNS1_3genE9ELNS1_11target_archE1100ELNS1_3gpuE3ELNS1_3repE0EEENS1_30default_config_static_selectorELNS0_4arch9wavefront6targetE1EEEvT1_, .Lfunc_end5490-_ZN7rocprim17ROCPRIM_400000_NS6detail17trampoline_kernelINS0_14default_configENS1_20scan_config_selectorItEEZZNS1_9scan_implILNS1_25lookback_scan_determinismE0ELb0ELb0ES3_N6thrust23THRUST_200600_302600_NS6detail15normal_iteratorINS9_10device_ptrItEEEENS9_16discard_iteratorINS9_11use_defaultEEEtNS9_4plusIvEEtEEDaPvRmT3_T4_T5_mT6_P12ihipStream_tbENKUlT_T0_E_clISt17integral_constantIbLb1EESW_IbLb0EEEEDaSS_ST_EUlSS_E0_NS1_11comp_targetILNS1_3genE9ELNS1_11target_archE1100ELNS1_3gpuE3ELNS1_3repE0EEENS1_30default_config_static_selectorELNS0_4arch9wavefront6targetE1EEEvT1_
                                        ; -- End function
	.section	.AMDGPU.csdata,"",@progbits
; Kernel info:
; codeLenInByte = 0
; NumSgprs: 4
; NumVgprs: 0
; NumAgprs: 0
; TotalNumVgprs: 0
; ScratchSize: 0
; MemoryBound: 0
; FloatMode: 240
; IeeeMode: 1
; LDSByteSize: 0 bytes/workgroup (compile time only)
; SGPRBlocks: 0
; VGPRBlocks: 0
; NumSGPRsForWavesPerEU: 4
; NumVGPRsForWavesPerEU: 1
; AccumOffset: 4
; Occupancy: 8
; WaveLimiterHint : 0
; COMPUTE_PGM_RSRC2:SCRATCH_EN: 0
; COMPUTE_PGM_RSRC2:USER_SGPR: 6
; COMPUTE_PGM_RSRC2:TRAP_HANDLER: 0
; COMPUTE_PGM_RSRC2:TGID_X_EN: 1
; COMPUTE_PGM_RSRC2:TGID_Y_EN: 0
; COMPUTE_PGM_RSRC2:TGID_Z_EN: 0
; COMPUTE_PGM_RSRC2:TIDIG_COMP_CNT: 0
; COMPUTE_PGM_RSRC3_GFX90A:ACCUM_OFFSET: 0
; COMPUTE_PGM_RSRC3_GFX90A:TG_SPLIT: 0
	.section	.text._ZN7rocprim17ROCPRIM_400000_NS6detail17trampoline_kernelINS0_14default_configENS1_20scan_config_selectorItEEZZNS1_9scan_implILNS1_25lookback_scan_determinismE0ELb0ELb0ES3_N6thrust23THRUST_200600_302600_NS6detail15normal_iteratorINS9_10device_ptrItEEEENS9_16discard_iteratorINS9_11use_defaultEEEtNS9_4plusIvEEtEEDaPvRmT3_T4_T5_mT6_P12ihipStream_tbENKUlT_T0_E_clISt17integral_constantIbLb1EESW_IbLb0EEEEDaSS_ST_EUlSS_E0_NS1_11comp_targetILNS1_3genE8ELNS1_11target_archE1030ELNS1_3gpuE2ELNS1_3repE0EEENS1_30default_config_static_selectorELNS0_4arch9wavefront6targetE1EEEvT1_,"axG",@progbits,_ZN7rocprim17ROCPRIM_400000_NS6detail17trampoline_kernelINS0_14default_configENS1_20scan_config_selectorItEEZZNS1_9scan_implILNS1_25lookback_scan_determinismE0ELb0ELb0ES3_N6thrust23THRUST_200600_302600_NS6detail15normal_iteratorINS9_10device_ptrItEEEENS9_16discard_iteratorINS9_11use_defaultEEEtNS9_4plusIvEEtEEDaPvRmT3_T4_T5_mT6_P12ihipStream_tbENKUlT_T0_E_clISt17integral_constantIbLb1EESW_IbLb0EEEEDaSS_ST_EUlSS_E0_NS1_11comp_targetILNS1_3genE8ELNS1_11target_archE1030ELNS1_3gpuE2ELNS1_3repE0EEENS1_30default_config_static_selectorELNS0_4arch9wavefront6targetE1EEEvT1_,comdat
	.protected	_ZN7rocprim17ROCPRIM_400000_NS6detail17trampoline_kernelINS0_14default_configENS1_20scan_config_selectorItEEZZNS1_9scan_implILNS1_25lookback_scan_determinismE0ELb0ELb0ES3_N6thrust23THRUST_200600_302600_NS6detail15normal_iteratorINS9_10device_ptrItEEEENS9_16discard_iteratorINS9_11use_defaultEEEtNS9_4plusIvEEtEEDaPvRmT3_T4_T5_mT6_P12ihipStream_tbENKUlT_T0_E_clISt17integral_constantIbLb1EESW_IbLb0EEEEDaSS_ST_EUlSS_E0_NS1_11comp_targetILNS1_3genE8ELNS1_11target_archE1030ELNS1_3gpuE2ELNS1_3repE0EEENS1_30default_config_static_selectorELNS0_4arch9wavefront6targetE1EEEvT1_ ; -- Begin function _ZN7rocprim17ROCPRIM_400000_NS6detail17trampoline_kernelINS0_14default_configENS1_20scan_config_selectorItEEZZNS1_9scan_implILNS1_25lookback_scan_determinismE0ELb0ELb0ES3_N6thrust23THRUST_200600_302600_NS6detail15normal_iteratorINS9_10device_ptrItEEEENS9_16discard_iteratorINS9_11use_defaultEEEtNS9_4plusIvEEtEEDaPvRmT3_T4_T5_mT6_P12ihipStream_tbENKUlT_T0_E_clISt17integral_constantIbLb1EESW_IbLb0EEEEDaSS_ST_EUlSS_E0_NS1_11comp_targetILNS1_3genE8ELNS1_11target_archE1030ELNS1_3gpuE2ELNS1_3repE0EEENS1_30default_config_static_selectorELNS0_4arch9wavefront6targetE1EEEvT1_
	.globl	_ZN7rocprim17ROCPRIM_400000_NS6detail17trampoline_kernelINS0_14default_configENS1_20scan_config_selectorItEEZZNS1_9scan_implILNS1_25lookback_scan_determinismE0ELb0ELb0ES3_N6thrust23THRUST_200600_302600_NS6detail15normal_iteratorINS9_10device_ptrItEEEENS9_16discard_iteratorINS9_11use_defaultEEEtNS9_4plusIvEEtEEDaPvRmT3_T4_T5_mT6_P12ihipStream_tbENKUlT_T0_E_clISt17integral_constantIbLb1EESW_IbLb0EEEEDaSS_ST_EUlSS_E0_NS1_11comp_targetILNS1_3genE8ELNS1_11target_archE1030ELNS1_3gpuE2ELNS1_3repE0EEENS1_30default_config_static_selectorELNS0_4arch9wavefront6targetE1EEEvT1_
	.p2align	8
	.type	_ZN7rocprim17ROCPRIM_400000_NS6detail17trampoline_kernelINS0_14default_configENS1_20scan_config_selectorItEEZZNS1_9scan_implILNS1_25lookback_scan_determinismE0ELb0ELb0ES3_N6thrust23THRUST_200600_302600_NS6detail15normal_iteratorINS9_10device_ptrItEEEENS9_16discard_iteratorINS9_11use_defaultEEEtNS9_4plusIvEEtEEDaPvRmT3_T4_T5_mT6_P12ihipStream_tbENKUlT_T0_E_clISt17integral_constantIbLb1EESW_IbLb0EEEEDaSS_ST_EUlSS_E0_NS1_11comp_targetILNS1_3genE8ELNS1_11target_archE1030ELNS1_3gpuE2ELNS1_3repE0EEENS1_30default_config_static_selectorELNS0_4arch9wavefront6targetE1EEEvT1_,@function
_ZN7rocprim17ROCPRIM_400000_NS6detail17trampoline_kernelINS0_14default_configENS1_20scan_config_selectorItEEZZNS1_9scan_implILNS1_25lookback_scan_determinismE0ELb0ELb0ES3_N6thrust23THRUST_200600_302600_NS6detail15normal_iteratorINS9_10device_ptrItEEEENS9_16discard_iteratorINS9_11use_defaultEEEtNS9_4plusIvEEtEEDaPvRmT3_T4_T5_mT6_P12ihipStream_tbENKUlT_T0_E_clISt17integral_constantIbLb1EESW_IbLb0EEEEDaSS_ST_EUlSS_E0_NS1_11comp_targetILNS1_3genE8ELNS1_11target_archE1030ELNS1_3gpuE2ELNS1_3repE0EEENS1_30default_config_static_selectorELNS0_4arch9wavefront6targetE1EEEvT1_: ; @_ZN7rocprim17ROCPRIM_400000_NS6detail17trampoline_kernelINS0_14default_configENS1_20scan_config_selectorItEEZZNS1_9scan_implILNS1_25lookback_scan_determinismE0ELb0ELb0ES3_N6thrust23THRUST_200600_302600_NS6detail15normal_iteratorINS9_10device_ptrItEEEENS9_16discard_iteratorINS9_11use_defaultEEEtNS9_4plusIvEEtEEDaPvRmT3_T4_T5_mT6_P12ihipStream_tbENKUlT_T0_E_clISt17integral_constantIbLb1EESW_IbLb0EEEEDaSS_ST_EUlSS_E0_NS1_11comp_targetILNS1_3genE8ELNS1_11target_archE1030ELNS1_3gpuE2ELNS1_3repE0EEENS1_30default_config_static_selectorELNS0_4arch9wavefront6targetE1EEEvT1_
; %bb.0:
	.section	.rodata,"a",@progbits
	.p2align	6, 0x0
	.amdhsa_kernel _ZN7rocprim17ROCPRIM_400000_NS6detail17trampoline_kernelINS0_14default_configENS1_20scan_config_selectorItEEZZNS1_9scan_implILNS1_25lookback_scan_determinismE0ELb0ELb0ES3_N6thrust23THRUST_200600_302600_NS6detail15normal_iteratorINS9_10device_ptrItEEEENS9_16discard_iteratorINS9_11use_defaultEEEtNS9_4plusIvEEtEEDaPvRmT3_T4_T5_mT6_P12ihipStream_tbENKUlT_T0_E_clISt17integral_constantIbLb1EESW_IbLb0EEEEDaSS_ST_EUlSS_E0_NS1_11comp_targetILNS1_3genE8ELNS1_11target_archE1030ELNS1_3gpuE2ELNS1_3repE0EEENS1_30default_config_static_selectorELNS0_4arch9wavefront6targetE1EEEvT1_
		.amdhsa_group_segment_fixed_size 0
		.amdhsa_private_segment_fixed_size 0
		.amdhsa_kernarg_size 40
		.amdhsa_user_sgpr_count 6
		.amdhsa_user_sgpr_private_segment_buffer 1
		.amdhsa_user_sgpr_dispatch_ptr 0
		.amdhsa_user_sgpr_queue_ptr 0
		.amdhsa_user_sgpr_kernarg_segment_ptr 1
		.amdhsa_user_sgpr_dispatch_id 0
		.amdhsa_user_sgpr_flat_scratch_init 0
		.amdhsa_user_sgpr_kernarg_preload_length 0
		.amdhsa_user_sgpr_kernarg_preload_offset 0
		.amdhsa_user_sgpr_private_segment_size 0
		.amdhsa_uses_dynamic_stack 0
		.amdhsa_system_sgpr_private_segment_wavefront_offset 0
		.amdhsa_system_sgpr_workgroup_id_x 1
		.amdhsa_system_sgpr_workgroup_id_y 0
		.amdhsa_system_sgpr_workgroup_id_z 0
		.amdhsa_system_sgpr_workgroup_info 0
		.amdhsa_system_vgpr_workitem_id 0
		.amdhsa_next_free_vgpr 1
		.amdhsa_next_free_sgpr 0
		.amdhsa_accum_offset 4
		.amdhsa_reserve_vcc 0
		.amdhsa_reserve_flat_scratch 0
		.amdhsa_float_round_mode_32 0
		.amdhsa_float_round_mode_16_64 0
		.amdhsa_float_denorm_mode_32 3
		.amdhsa_float_denorm_mode_16_64 3
		.amdhsa_dx10_clamp 1
		.amdhsa_ieee_mode 1
		.amdhsa_fp16_overflow 0
		.amdhsa_tg_split 0
		.amdhsa_exception_fp_ieee_invalid_op 0
		.amdhsa_exception_fp_denorm_src 0
		.amdhsa_exception_fp_ieee_div_zero 0
		.amdhsa_exception_fp_ieee_overflow 0
		.amdhsa_exception_fp_ieee_underflow 0
		.amdhsa_exception_fp_ieee_inexact 0
		.amdhsa_exception_int_div_zero 0
	.end_amdhsa_kernel
	.section	.text._ZN7rocprim17ROCPRIM_400000_NS6detail17trampoline_kernelINS0_14default_configENS1_20scan_config_selectorItEEZZNS1_9scan_implILNS1_25lookback_scan_determinismE0ELb0ELb0ES3_N6thrust23THRUST_200600_302600_NS6detail15normal_iteratorINS9_10device_ptrItEEEENS9_16discard_iteratorINS9_11use_defaultEEEtNS9_4plusIvEEtEEDaPvRmT3_T4_T5_mT6_P12ihipStream_tbENKUlT_T0_E_clISt17integral_constantIbLb1EESW_IbLb0EEEEDaSS_ST_EUlSS_E0_NS1_11comp_targetILNS1_3genE8ELNS1_11target_archE1030ELNS1_3gpuE2ELNS1_3repE0EEENS1_30default_config_static_selectorELNS0_4arch9wavefront6targetE1EEEvT1_,"axG",@progbits,_ZN7rocprim17ROCPRIM_400000_NS6detail17trampoline_kernelINS0_14default_configENS1_20scan_config_selectorItEEZZNS1_9scan_implILNS1_25lookback_scan_determinismE0ELb0ELb0ES3_N6thrust23THRUST_200600_302600_NS6detail15normal_iteratorINS9_10device_ptrItEEEENS9_16discard_iteratorINS9_11use_defaultEEEtNS9_4plusIvEEtEEDaPvRmT3_T4_T5_mT6_P12ihipStream_tbENKUlT_T0_E_clISt17integral_constantIbLb1EESW_IbLb0EEEEDaSS_ST_EUlSS_E0_NS1_11comp_targetILNS1_3genE8ELNS1_11target_archE1030ELNS1_3gpuE2ELNS1_3repE0EEENS1_30default_config_static_selectorELNS0_4arch9wavefront6targetE1EEEvT1_,comdat
.Lfunc_end5491:
	.size	_ZN7rocprim17ROCPRIM_400000_NS6detail17trampoline_kernelINS0_14default_configENS1_20scan_config_selectorItEEZZNS1_9scan_implILNS1_25lookback_scan_determinismE0ELb0ELb0ES3_N6thrust23THRUST_200600_302600_NS6detail15normal_iteratorINS9_10device_ptrItEEEENS9_16discard_iteratorINS9_11use_defaultEEEtNS9_4plusIvEEtEEDaPvRmT3_T4_T5_mT6_P12ihipStream_tbENKUlT_T0_E_clISt17integral_constantIbLb1EESW_IbLb0EEEEDaSS_ST_EUlSS_E0_NS1_11comp_targetILNS1_3genE8ELNS1_11target_archE1030ELNS1_3gpuE2ELNS1_3repE0EEENS1_30default_config_static_selectorELNS0_4arch9wavefront6targetE1EEEvT1_, .Lfunc_end5491-_ZN7rocprim17ROCPRIM_400000_NS6detail17trampoline_kernelINS0_14default_configENS1_20scan_config_selectorItEEZZNS1_9scan_implILNS1_25lookback_scan_determinismE0ELb0ELb0ES3_N6thrust23THRUST_200600_302600_NS6detail15normal_iteratorINS9_10device_ptrItEEEENS9_16discard_iteratorINS9_11use_defaultEEEtNS9_4plusIvEEtEEDaPvRmT3_T4_T5_mT6_P12ihipStream_tbENKUlT_T0_E_clISt17integral_constantIbLb1EESW_IbLb0EEEEDaSS_ST_EUlSS_E0_NS1_11comp_targetILNS1_3genE8ELNS1_11target_archE1030ELNS1_3gpuE2ELNS1_3repE0EEENS1_30default_config_static_selectorELNS0_4arch9wavefront6targetE1EEEvT1_
                                        ; -- End function
	.section	.AMDGPU.csdata,"",@progbits
; Kernel info:
; codeLenInByte = 0
; NumSgprs: 4
; NumVgprs: 0
; NumAgprs: 0
; TotalNumVgprs: 0
; ScratchSize: 0
; MemoryBound: 0
; FloatMode: 240
; IeeeMode: 1
; LDSByteSize: 0 bytes/workgroup (compile time only)
; SGPRBlocks: 0
; VGPRBlocks: 0
; NumSGPRsForWavesPerEU: 4
; NumVGPRsForWavesPerEU: 1
; AccumOffset: 4
; Occupancy: 8
; WaveLimiterHint : 0
; COMPUTE_PGM_RSRC2:SCRATCH_EN: 0
; COMPUTE_PGM_RSRC2:USER_SGPR: 6
; COMPUTE_PGM_RSRC2:TRAP_HANDLER: 0
; COMPUTE_PGM_RSRC2:TGID_X_EN: 1
; COMPUTE_PGM_RSRC2:TGID_Y_EN: 0
; COMPUTE_PGM_RSRC2:TGID_Z_EN: 0
; COMPUTE_PGM_RSRC2:TIDIG_COMP_CNT: 0
; COMPUTE_PGM_RSRC3_GFX90A:ACCUM_OFFSET: 0
; COMPUTE_PGM_RSRC3_GFX90A:TG_SPLIT: 0
	.section	.text._ZN7rocprim17ROCPRIM_400000_NS6detail17trampoline_kernelINS0_14default_configENS1_20scan_config_selectorItEEZZNS1_9scan_implILNS1_25lookback_scan_determinismE0ELb0ELb0ES3_N6thrust23THRUST_200600_302600_NS6detail15normal_iteratorINS9_10device_ptrItEEEENS9_16discard_iteratorINS9_11use_defaultEEEtNS9_4plusIvEEtEEDaPvRmT3_T4_T5_mT6_P12ihipStream_tbENKUlT_T0_E_clISt17integral_constantIbLb0EESW_IbLb1EEEEDaSS_ST_EUlSS_E_NS1_11comp_targetILNS1_3genE0ELNS1_11target_archE4294967295ELNS1_3gpuE0ELNS1_3repE0EEENS1_30default_config_static_selectorELNS0_4arch9wavefront6targetE1EEEvT1_,"axG",@progbits,_ZN7rocprim17ROCPRIM_400000_NS6detail17trampoline_kernelINS0_14default_configENS1_20scan_config_selectorItEEZZNS1_9scan_implILNS1_25lookback_scan_determinismE0ELb0ELb0ES3_N6thrust23THRUST_200600_302600_NS6detail15normal_iteratorINS9_10device_ptrItEEEENS9_16discard_iteratorINS9_11use_defaultEEEtNS9_4plusIvEEtEEDaPvRmT3_T4_T5_mT6_P12ihipStream_tbENKUlT_T0_E_clISt17integral_constantIbLb0EESW_IbLb1EEEEDaSS_ST_EUlSS_E_NS1_11comp_targetILNS1_3genE0ELNS1_11target_archE4294967295ELNS1_3gpuE0ELNS1_3repE0EEENS1_30default_config_static_selectorELNS0_4arch9wavefront6targetE1EEEvT1_,comdat
	.protected	_ZN7rocprim17ROCPRIM_400000_NS6detail17trampoline_kernelINS0_14default_configENS1_20scan_config_selectorItEEZZNS1_9scan_implILNS1_25lookback_scan_determinismE0ELb0ELb0ES3_N6thrust23THRUST_200600_302600_NS6detail15normal_iteratorINS9_10device_ptrItEEEENS9_16discard_iteratorINS9_11use_defaultEEEtNS9_4plusIvEEtEEDaPvRmT3_T4_T5_mT6_P12ihipStream_tbENKUlT_T0_E_clISt17integral_constantIbLb0EESW_IbLb1EEEEDaSS_ST_EUlSS_E_NS1_11comp_targetILNS1_3genE0ELNS1_11target_archE4294967295ELNS1_3gpuE0ELNS1_3repE0EEENS1_30default_config_static_selectorELNS0_4arch9wavefront6targetE1EEEvT1_ ; -- Begin function _ZN7rocprim17ROCPRIM_400000_NS6detail17trampoline_kernelINS0_14default_configENS1_20scan_config_selectorItEEZZNS1_9scan_implILNS1_25lookback_scan_determinismE0ELb0ELb0ES3_N6thrust23THRUST_200600_302600_NS6detail15normal_iteratorINS9_10device_ptrItEEEENS9_16discard_iteratorINS9_11use_defaultEEEtNS9_4plusIvEEtEEDaPvRmT3_T4_T5_mT6_P12ihipStream_tbENKUlT_T0_E_clISt17integral_constantIbLb0EESW_IbLb1EEEEDaSS_ST_EUlSS_E_NS1_11comp_targetILNS1_3genE0ELNS1_11target_archE4294967295ELNS1_3gpuE0ELNS1_3repE0EEENS1_30default_config_static_selectorELNS0_4arch9wavefront6targetE1EEEvT1_
	.globl	_ZN7rocprim17ROCPRIM_400000_NS6detail17trampoline_kernelINS0_14default_configENS1_20scan_config_selectorItEEZZNS1_9scan_implILNS1_25lookback_scan_determinismE0ELb0ELb0ES3_N6thrust23THRUST_200600_302600_NS6detail15normal_iteratorINS9_10device_ptrItEEEENS9_16discard_iteratorINS9_11use_defaultEEEtNS9_4plusIvEEtEEDaPvRmT3_T4_T5_mT6_P12ihipStream_tbENKUlT_T0_E_clISt17integral_constantIbLb0EESW_IbLb1EEEEDaSS_ST_EUlSS_E_NS1_11comp_targetILNS1_3genE0ELNS1_11target_archE4294967295ELNS1_3gpuE0ELNS1_3repE0EEENS1_30default_config_static_selectorELNS0_4arch9wavefront6targetE1EEEvT1_
	.p2align	8
	.type	_ZN7rocprim17ROCPRIM_400000_NS6detail17trampoline_kernelINS0_14default_configENS1_20scan_config_selectorItEEZZNS1_9scan_implILNS1_25lookback_scan_determinismE0ELb0ELb0ES3_N6thrust23THRUST_200600_302600_NS6detail15normal_iteratorINS9_10device_ptrItEEEENS9_16discard_iteratorINS9_11use_defaultEEEtNS9_4plusIvEEtEEDaPvRmT3_T4_T5_mT6_P12ihipStream_tbENKUlT_T0_E_clISt17integral_constantIbLb0EESW_IbLb1EEEEDaSS_ST_EUlSS_E_NS1_11comp_targetILNS1_3genE0ELNS1_11target_archE4294967295ELNS1_3gpuE0ELNS1_3repE0EEENS1_30default_config_static_selectorELNS0_4arch9wavefront6targetE1EEEvT1_,@function
_ZN7rocprim17ROCPRIM_400000_NS6detail17trampoline_kernelINS0_14default_configENS1_20scan_config_selectorItEEZZNS1_9scan_implILNS1_25lookback_scan_determinismE0ELb0ELb0ES3_N6thrust23THRUST_200600_302600_NS6detail15normal_iteratorINS9_10device_ptrItEEEENS9_16discard_iteratorINS9_11use_defaultEEEtNS9_4plusIvEEtEEDaPvRmT3_T4_T5_mT6_P12ihipStream_tbENKUlT_T0_E_clISt17integral_constantIbLb0EESW_IbLb1EEEEDaSS_ST_EUlSS_E_NS1_11comp_targetILNS1_3genE0ELNS1_11target_archE4294967295ELNS1_3gpuE0ELNS1_3repE0EEENS1_30default_config_static_selectorELNS0_4arch9wavefront6targetE1EEEvT1_: ; @_ZN7rocprim17ROCPRIM_400000_NS6detail17trampoline_kernelINS0_14default_configENS1_20scan_config_selectorItEEZZNS1_9scan_implILNS1_25lookback_scan_determinismE0ELb0ELb0ES3_N6thrust23THRUST_200600_302600_NS6detail15normal_iteratorINS9_10device_ptrItEEEENS9_16discard_iteratorINS9_11use_defaultEEEtNS9_4plusIvEEtEEDaPvRmT3_T4_T5_mT6_P12ihipStream_tbENKUlT_T0_E_clISt17integral_constantIbLb0EESW_IbLb1EEEEDaSS_ST_EUlSS_E_NS1_11comp_targetILNS1_3genE0ELNS1_11target_archE4294967295ELNS1_3gpuE0ELNS1_3repE0EEENS1_30default_config_static_selectorELNS0_4arch9wavefront6targetE1EEEvT1_
; %bb.0:
	.section	.rodata,"a",@progbits
	.p2align	6, 0x0
	.amdhsa_kernel _ZN7rocprim17ROCPRIM_400000_NS6detail17trampoline_kernelINS0_14default_configENS1_20scan_config_selectorItEEZZNS1_9scan_implILNS1_25lookback_scan_determinismE0ELb0ELb0ES3_N6thrust23THRUST_200600_302600_NS6detail15normal_iteratorINS9_10device_ptrItEEEENS9_16discard_iteratorINS9_11use_defaultEEEtNS9_4plusIvEEtEEDaPvRmT3_T4_T5_mT6_P12ihipStream_tbENKUlT_T0_E_clISt17integral_constantIbLb0EESW_IbLb1EEEEDaSS_ST_EUlSS_E_NS1_11comp_targetILNS1_3genE0ELNS1_11target_archE4294967295ELNS1_3gpuE0ELNS1_3repE0EEENS1_30default_config_static_selectorELNS0_4arch9wavefront6targetE1EEEvT1_
		.amdhsa_group_segment_fixed_size 0
		.amdhsa_private_segment_fixed_size 0
		.amdhsa_kernarg_size 104
		.amdhsa_user_sgpr_count 6
		.amdhsa_user_sgpr_private_segment_buffer 1
		.amdhsa_user_sgpr_dispatch_ptr 0
		.amdhsa_user_sgpr_queue_ptr 0
		.amdhsa_user_sgpr_kernarg_segment_ptr 1
		.amdhsa_user_sgpr_dispatch_id 0
		.amdhsa_user_sgpr_flat_scratch_init 0
		.amdhsa_user_sgpr_kernarg_preload_length 0
		.amdhsa_user_sgpr_kernarg_preload_offset 0
		.amdhsa_user_sgpr_private_segment_size 0
		.amdhsa_uses_dynamic_stack 0
		.amdhsa_system_sgpr_private_segment_wavefront_offset 0
		.amdhsa_system_sgpr_workgroup_id_x 1
		.amdhsa_system_sgpr_workgroup_id_y 0
		.amdhsa_system_sgpr_workgroup_id_z 0
		.amdhsa_system_sgpr_workgroup_info 0
		.amdhsa_system_vgpr_workitem_id 0
		.amdhsa_next_free_vgpr 1
		.amdhsa_next_free_sgpr 0
		.amdhsa_accum_offset 4
		.amdhsa_reserve_vcc 0
		.amdhsa_reserve_flat_scratch 0
		.amdhsa_float_round_mode_32 0
		.amdhsa_float_round_mode_16_64 0
		.amdhsa_float_denorm_mode_32 3
		.amdhsa_float_denorm_mode_16_64 3
		.amdhsa_dx10_clamp 1
		.amdhsa_ieee_mode 1
		.amdhsa_fp16_overflow 0
		.amdhsa_tg_split 0
		.amdhsa_exception_fp_ieee_invalid_op 0
		.amdhsa_exception_fp_denorm_src 0
		.amdhsa_exception_fp_ieee_div_zero 0
		.amdhsa_exception_fp_ieee_overflow 0
		.amdhsa_exception_fp_ieee_underflow 0
		.amdhsa_exception_fp_ieee_inexact 0
		.amdhsa_exception_int_div_zero 0
	.end_amdhsa_kernel
	.section	.text._ZN7rocprim17ROCPRIM_400000_NS6detail17trampoline_kernelINS0_14default_configENS1_20scan_config_selectorItEEZZNS1_9scan_implILNS1_25lookback_scan_determinismE0ELb0ELb0ES3_N6thrust23THRUST_200600_302600_NS6detail15normal_iteratorINS9_10device_ptrItEEEENS9_16discard_iteratorINS9_11use_defaultEEEtNS9_4plusIvEEtEEDaPvRmT3_T4_T5_mT6_P12ihipStream_tbENKUlT_T0_E_clISt17integral_constantIbLb0EESW_IbLb1EEEEDaSS_ST_EUlSS_E_NS1_11comp_targetILNS1_3genE0ELNS1_11target_archE4294967295ELNS1_3gpuE0ELNS1_3repE0EEENS1_30default_config_static_selectorELNS0_4arch9wavefront6targetE1EEEvT1_,"axG",@progbits,_ZN7rocprim17ROCPRIM_400000_NS6detail17trampoline_kernelINS0_14default_configENS1_20scan_config_selectorItEEZZNS1_9scan_implILNS1_25lookback_scan_determinismE0ELb0ELb0ES3_N6thrust23THRUST_200600_302600_NS6detail15normal_iteratorINS9_10device_ptrItEEEENS9_16discard_iteratorINS9_11use_defaultEEEtNS9_4plusIvEEtEEDaPvRmT3_T4_T5_mT6_P12ihipStream_tbENKUlT_T0_E_clISt17integral_constantIbLb0EESW_IbLb1EEEEDaSS_ST_EUlSS_E_NS1_11comp_targetILNS1_3genE0ELNS1_11target_archE4294967295ELNS1_3gpuE0ELNS1_3repE0EEENS1_30default_config_static_selectorELNS0_4arch9wavefront6targetE1EEEvT1_,comdat
.Lfunc_end5492:
	.size	_ZN7rocprim17ROCPRIM_400000_NS6detail17trampoline_kernelINS0_14default_configENS1_20scan_config_selectorItEEZZNS1_9scan_implILNS1_25lookback_scan_determinismE0ELb0ELb0ES3_N6thrust23THRUST_200600_302600_NS6detail15normal_iteratorINS9_10device_ptrItEEEENS9_16discard_iteratorINS9_11use_defaultEEEtNS9_4plusIvEEtEEDaPvRmT3_T4_T5_mT6_P12ihipStream_tbENKUlT_T0_E_clISt17integral_constantIbLb0EESW_IbLb1EEEEDaSS_ST_EUlSS_E_NS1_11comp_targetILNS1_3genE0ELNS1_11target_archE4294967295ELNS1_3gpuE0ELNS1_3repE0EEENS1_30default_config_static_selectorELNS0_4arch9wavefront6targetE1EEEvT1_, .Lfunc_end5492-_ZN7rocprim17ROCPRIM_400000_NS6detail17trampoline_kernelINS0_14default_configENS1_20scan_config_selectorItEEZZNS1_9scan_implILNS1_25lookback_scan_determinismE0ELb0ELb0ES3_N6thrust23THRUST_200600_302600_NS6detail15normal_iteratorINS9_10device_ptrItEEEENS9_16discard_iteratorINS9_11use_defaultEEEtNS9_4plusIvEEtEEDaPvRmT3_T4_T5_mT6_P12ihipStream_tbENKUlT_T0_E_clISt17integral_constantIbLb0EESW_IbLb1EEEEDaSS_ST_EUlSS_E_NS1_11comp_targetILNS1_3genE0ELNS1_11target_archE4294967295ELNS1_3gpuE0ELNS1_3repE0EEENS1_30default_config_static_selectorELNS0_4arch9wavefront6targetE1EEEvT1_
                                        ; -- End function
	.section	.AMDGPU.csdata,"",@progbits
; Kernel info:
; codeLenInByte = 0
; NumSgprs: 4
; NumVgprs: 0
; NumAgprs: 0
; TotalNumVgprs: 0
; ScratchSize: 0
; MemoryBound: 0
; FloatMode: 240
; IeeeMode: 1
; LDSByteSize: 0 bytes/workgroup (compile time only)
; SGPRBlocks: 0
; VGPRBlocks: 0
; NumSGPRsForWavesPerEU: 4
; NumVGPRsForWavesPerEU: 1
; AccumOffset: 4
; Occupancy: 8
; WaveLimiterHint : 0
; COMPUTE_PGM_RSRC2:SCRATCH_EN: 0
; COMPUTE_PGM_RSRC2:USER_SGPR: 6
; COMPUTE_PGM_RSRC2:TRAP_HANDLER: 0
; COMPUTE_PGM_RSRC2:TGID_X_EN: 1
; COMPUTE_PGM_RSRC2:TGID_Y_EN: 0
; COMPUTE_PGM_RSRC2:TGID_Z_EN: 0
; COMPUTE_PGM_RSRC2:TIDIG_COMP_CNT: 0
; COMPUTE_PGM_RSRC3_GFX90A:ACCUM_OFFSET: 0
; COMPUTE_PGM_RSRC3_GFX90A:TG_SPLIT: 0
	.section	.text._ZN7rocprim17ROCPRIM_400000_NS6detail17trampoline_kernelINS0_14default_configENS1_20scan_config_selectorItEEZZNS1_9scan_implILNS1_25lookback_scan_determinismE0ELb0ELb0ES3_N6thrust23THRUST_200600_302600_NS6detail15normal_iteratorINS9_10device_ptrItEEEENS9_16discard_iteratorINS9_11use_defaultEEEtNS9_4plusIvEEtEEDaPvRmT3_T4_T5_mT6_P12ihipStream_tbENKUlT_T0_E_clISt17integral_constantIbLb0EESW_IbLb1EEEEDaSS_ST_EUlSS_E_NS1_11comp_targetILNS1_3genE5ELNS1_11target_archE942ELNS1_3gpuE9ELNS1_3repE0EEENS1_30default_config_static_selectorELNS0_4arch9wavefront6targetE1EEEvT1_,"axG",@progbits,_ZN7rocprim17ROCPRIM_400000_NS6detail17trampoline_kernelINS0_14default_configENS1_20scan_config_selectorItEEZZNS1_9scan_implILNS1_25lookback_scan_determinismE0ELb0ELb0ES3_N6thrust23THRUST_200600_302600_NS6detail15normal_iteratorINS9_10device_ptrItEEEENS9_16discard_iteratorINS9_11use_defaultEEEtNS9_4plusIvEEtEEDaPvRmT3_T4_T5_mT6_P12ihipStream_tbENKUlT_T0_E_clISt17integral_constantIbLb0EESW_IbLb1EEEEDaSS_ST_EUlSS_E_NS1_11comp_targetILNS1_3genE5ELNS1_11target_archE942ELNS1_3gpuE9ELNS1_3repE0EEENS1_30default_config_static_selectorELNS0_4arch9wavefront6targetE1EEEvT1_,comdat
	.protected	_ZN7rocprim17ROCPRIM_400000_NS6detail17trampoline_kernelINS0_14default_configENS1_20scan_config_selectorItEEZZNS1_9scan_implILNS1_25lookback_scan_determinismE0ELb0ELb0ES3_N6thrust23THRUST_200600_302600_NS6detail15normal_iteratorINS9_10device_ptrItEEEENS9_16discard_iteratorINS9_11use_defaultEEEtNS9_4plusIvEEtEEDaPvRmT3_T4_T5_mT6_P12ihipStream_tbENKUlT_T0_E_clISt17integral_constantIbLb0EESW_IbLb1EEEEDaSS_ST_EUlSS_E_NS1_11comp_targetILNS1_3genE5ELNS1_11target_archE942ELNS1_3gpuE9ELNS1_3repE0EEENS1_30default_config_static_selectorELNS0_4arch9wavefront6targetE1EEEvT1_ ; -- Begin function _ZN7rocprim17ROCPRIM_400000_NS6detail17trampoline_kernelINS0_14default_configENS1_20scan_config_selectorItEEZZNS1_9scan_implILNS1_25lookback_scan_determinismE0ELb0ELb0ES3_N6thrust23THRUST_200600_302600_NS6detail15normal_iteratorINS9_10device_ptrItEEEENS9_16discard_iteratorINS9_11use_defaultEEEtNS9_4plusIvEEtEEDaPvRmT3_T4_T5_mT6_P12ihipStream_tbENKUlT_T0_E_clISt17integral_constantIbLb0EESW_IbLb1EEEEDaSS_ST_EUlSS_E_NS1_11comp_targetILNS1_3genE5ELNS1_11target_archE942ELNS1_3gpuE9ELNS1_3repE0EEENS1_30default_config_static_selectorELNS0_4arch9wavefront6targetE1EEEvT1_
	.globl	_ZN7rocprim17ROCPRIM_400000_NS6detail17trampoline_kernelINS0_14default_configENS1_20scan_config_selectorItEEZZNS1_9scan_implILNS1_25lookback_scan_determinismE0ELb0ELb0ES3_N6thrust23THRUST_200600_302600_NS6detail15normal_iteratorINS9_10device_ptrItEEEENS9_16discard_iteratorINS9_11use_defaultEEEtNS9_4plusIvEEtEEDaPvRmT3_T4_T5_mT6_P12ihipStream_tbENKUlT_T0_E_clISt17integral_constantIbLb0EESW_IbLb1EEEEDaSS_ST_EUlSS_E_NS1_11comp_targetILNS1_3genE5ELNS1_11target_archE942ELNS1_3gpuE9ELNS1_3repE0EEENS1_30default_config_static_selectorELNS0_4arch9wavefront6targetE1EEEvT1_
	.p2align	8
	.type	_ZN7rocprim17ROCPRIM_400000_NS6detail17trampoline_kernelINS0_14default_configENS1_20scan_config_selectorItEEZZNS1_9scan_implILNS1_25lookback_scan_determinismE0ELb0ELb0ES3_N6thrust23THRUST_200600_302600_NS6detail15normal_iteratorINS9_10device_ptrItEEEENS9_16discard_iteratorINS9_11use_defaultEEEtNS9_4plusIvEEtEEDaPvRmT3_T4_T5_mT6_P12ihipStream_tbENKUlT_T0_E_clISt17integral_constantIbLb0EESW_IbLb1EEEEDaSS_ST_EUlSS_E_NS1_11comp_targetILNS1_3genE5ELNS1_11target_archE942ELNS1_3gpuE9ELNS1_3repE0EEENS1_30default_config_static_selectorELNS0_4arch9wavefront6targetE1EEEvT1_,@function
_ZN7rocprim17ROCPRIM_400000_NS6detail17trampoline_kernelINS0_14default_configENS1_20scan_config_selectorItEEZZNS1_9scan_implILNS1_25lookback_scan_determinismE0ELb0ELb0ES3_N6thrust23THRUST_200600_302600_NS6detail15normal_iteratorINS9_10device_ptrItEEEENS9_16discard_iteratorINS9_11use_defaultEEEtNS9_4plusIvEEtEEDaPvRmT3_T4_T5_mT6_P12ihipStream_tbENKUlT_T0_E_clISt17integral_constantIbLb0EESW_IbLb1EEEEDaSS_ST_EUlSS_E_NS1_11comp_targetILNS1_3genE5ELNS1_11target_archE942ELNS1_3gpuE9ELNS1_3repE0EEENS1_30default_config_static_selectorELNS0_4arch9wavefront6targetE1EEEvT1_: ; @_ZN7rocprim17ROCPRIM_400000_NS6detail17trampoline_kernelINS0_14default_configENS1_20scan_config_selectorItEEZZNS1_9scan_implILNS1_25lookback_scan_determinismE0ELb0ELb0ES3_N6thrust23THRUST_200600_302600_NS6detail15normal_iteratorINS9_10device_ptrItEEEENS9_16discard_iteratorINS9_11use_defaultEEEtNS9_4plusIvEEtEEDaPvRmT3_T4_T5_mT6_P12ihipStream_tbENKUlT_T0_E_clISt17integral_constantIbLb0EESW_IbLb1EEEEDaSS_ST_EUlSS_E_NS1_11comp_targetILNS1_3genE5ELNS1_11target_archE942ELNS1_3gpuE9ELNS1_3repE0EEENS1_30default_config_static_selectorELNS0_4arch9wavefront6targetE1EEEvT1_
; %bb.0:
	.section	.rodata,"a",@progbits
	.p2align	6, 0x0
	.amdhsa_kernel _ZN7rocprim17ROCPRIM_400000_NS6detail17trampoline_kernelINS0_14default_configENS1_20scan_config_selectorItEEZZNS1_9scan_implILNS1_25lookback_scan_determinismE0ELb0ELb0ES3_N6thrust23THRUST_200600_302600_NS6detail15normal_iteratorINS9_10device_ptrItEEEENS9_16discard_iteratorINS9_11use_defaultEEEtNS9_4plusIvEEtEEDaPvRmT3_T4_T5_mT6_P12ihipStream_tbENKUlT_T0_E_clISt17integral_constantIbLb0EESW_IbLb1EEEEDaSS_ST_EUlSS_E_NS1_11comp_targetILNS1_3genE5ELNS1_11target_archE942ELNS1_3gpuE9ELNS1_3repE0EEENS1_30default_config_static_selectorELNS0_4arch9wavefront6targetE1EEEvT1_
		.amdhsa_group_segment_fixed_size 0
		.amdhsa_private_segment_fixed_size 0
		.amdhsa_kernarg_size 104
		.amdhsa_user_sgpr_count 6
		.amdhsa_user_sgpr_private_segment_buffer 1
		.amdhsa_user_sgpr_dispatch_ptr 0
		.amdhsa_user_sgpr_queue_ptr 0
		.amdhsa_user_sgpr_kernarg_segment_ptr 1
		.amdhsa_user_sgpr_dispatch_id 0
		.amdhsa_user_sgpr_flat_scratch_init 0
		.amdhsa_user_sgpr_kernarg_preload_length 0
		.amdhsa_user_sgpr_kernarg_preload_offset 0
		.amdhsa_user_sgpr_private_segment_size 0
		.amdhsa_uses_dynamic_stack 0
		.amdhsa_system_sgpr_private_segment_wavefront_offset 0
		.amdhsa_system_sgpr_workgroup_id_x 1
		.amdhsa_system_sgpr_workgroup_id_y 0
		.amdhsa_system_sgpr_workgroup_id_z 0
		.amdhsa_system_sgpr_workgroup_info 0
		.amdhsa_system_vgpr_workitem_id 0
		.amdhsa_next_free_vgpr 1
		.amdhsa_next_free_sgpr 0
		.amdhsa_accum_offset 4
		.amdhsa_reserve_vcc 0
		.amdhsa_reserve_flat_scratch 0
		.amdhsa_float_round_mode_32 0
		.amdhsa_float_round_mode_16_64 0
		.amdhsa_float_denorm_mode_32 3
		.amdhsa_float_denorm_mode_16_64 3
		.amdhsa_dx10_clamp 1
		.amdhsa_ieee_mode 1
		.amdhsa_fp16_overflow 0
		.amdhsa_tg_split 0
		.amdhsa_exception_fp_ieee_invalid_op 0
		.amdhsa_exception_fp_denorm_src 0
		.amdhsa_exception_fp_ieee_div_zero 0
		.amdhsa_exception_fp_ieee_overflow 0
		.amdhsa_exception_fp_ieee_underflow 0
		.amdhsa_exception_fp_ieee_inexact 0
		.amdhsa_exception_int_div_zero 0
	.end_amdhsa_kernel
	.section	.text._ZN7rocprim17ROCPRIM_400000_NS6detail17trampoline_kernelINS0_14default_configENS1_20scan_config_selectorItEEZZNS1_9scan_implILNS1_25lookback_scan_determinismE0ELb0ELb0ES3_N6thrust23THRUST_200600_302600_NS6detail15normal_iteratorINS9_10device_ptrItEEEENS9_16discard_iteratorINS9_11use_defaultEEEtNS9_4plusIvEEtEEDaPvRmT3_T4_T5_mT6_P12ihipStream_tbENKUlT_T0_E_clISt17integral_constantIbLb0EESW_IbLb1EEEEDaSS_ST_EUlSS_E_NS1_11comp_targetILNS1_3genE5ELNS1_11target_archE942ELNS1_3gpuE9ELNS1_3repE0EEENS1_30default_config_static_selectorELNS0_4arch9wavefront6targetE1EEEvT1_,"axG",@progbits,_ZN7rocprim17ROCPRIM_400000_NS6detail17trampoline_kernelINS0_14default_configENS1_20scan_config_selectorItEEZZNS1_9scan_implILNS1_25lookback_scan_determinismE0ELb0ELb0ES3_N6thrust23THRUST_200600_302600_NS6detail15normal_iteratorINS9_10device_ptrItEEEENS9_16discard_iteratorINS9_11use_defaultEEEtNS9_4plusIvEEtEEDaPvRmT3_T4_T5_mT6_P12ihipStream_tbENKUlT_T0_E_clISt17integral_constantIbLb0EESW_IbLb1EEEEDaSS_ST_EUlSS_E_NS1_11comp_targetILNS1_3genE5ELNS1_11target_archE942ELNS1_3gpuE9ELNS1_3repE0EEENS1_30default_config_static_selectorELNS0_4arch9wavefront6targetE1EEEvT1_,comdat
.Lfunc_end5493:
	.size	_ZN7rocprim17ROCPRIM_400000_NS6detail17trampoline_kernelINS0_14default_configENS1_20scan_config_selectorItEEZZNS1_9scan_implILNS1_25lookback_scan_determinismE0ELb0ELb0ES3_N6thrust23THRUST_200600_302600_NS6detail15normal_iteratorINS9_10device_ptrItEEEENS9_16discard_iteratorINS9_11use_defaultEEEtNS9_4plusIvEEtEEDaPvRmT3_T4_T5_mT6_P12ihipStream_tbENKUlT_T0_E_clISt17integral_constantIbLb0EESW_IbLb1EEEEDaSS_ST_EUlSS_E_NS1_11comp_targetILNS1_3genE5ELNS1_11target_archE942ELNS1_3gpuE9ELNS1_3repE0EEENS1_30default_config_static_selectorELNS0_4arch9wavefront6targetE1EEEvT1_, .Lfunc_end5493-_ZN7rocprim17ROCPRIM_400000_NS6detail17trampoline_kernelINS0_14default_configENS1_20scan_config_selectorItEEZZNS1_9scan_implILNS1_25lookback_scan_determinismE0ELb0ELb0ES3_N6thrust23THRUST_200600_302600_NS6detail15normal_iteratorINS9_10device_ptrItEEEENS9_16discard_iteratorINS9_11use_defaultEEEtNS9_4plusIvEEtEEDaPvRmT3_T4_T5_mT6_P12ihipStream_tbENKUlT_T0_E_clISt17integral_constantIbLb0EESW_IbLb1EEEEDaSS_ST_EUlSS_E_NS1_11comp_targetILNS1_3genE5ELNS1_11target_archE942ELNS1_3gpuE9ELNS1_3repE0EEENS1_30default_config_static_selectorELNS0_4arch9wavefront6targetE1EEEvT1_
                                        ; -- End function
	.section	.AMDGPU.csdata,"",@progbits
; Kernel info:
; codeLenInByte = 0
; NumSgprs: 4
; NumVgprs: 0
; NumAgprs: 0
; TotalNumVgprs: 0
; ScratchSize: 0
; MemoryBound: 0
; FloatMode: 240
; IeeeMode: 1
; LDSByteSize: 0 bytes/workgroup (compile time only)
; SGPRBlocks: 0
; VGPRBlocks: 0
; NumSGPRsForWavesPerEU: 4
; NumVGPRsForWavesPerEU: 1
; AccumOffset: 4
; Occupancy: 8
; WaveLimiterHint : 0
; COMPUTE_PGM_RSRC2:SCRATCH_EN: 0
; COMPUTE_PGM_RSRC2:USER_SGPR: 6
; COMPUTE_PGM_RSRC2:TRAP_HANDLER: 0
; COMPUTE_PGM_RSRC2:TGID_X_EN: 1
; COMPUTE_PGM_RSRC2:TGID_Y_EN: 0
; COMPUTE_PGM_RSRC2:TGID_Z_EN: 0
; COMPUTE_PGM_RSRC2:TIDIG_COMP_CNT: 0
; COMPUTE_PGM_RSRC3_GFX90A:ACCUM_OFFSET: 0
; COMPUTE_PGM_RSRC3_GFX90A:TG_SPLIT: 0
	.section	.text._ZN7rocprim17ROCPRIM_400000_NS6detail17trampoline_kernelINS0_14default_configENS1_20scan_config_selectorItEEZZNS1_9scan_implILNS1_25lookback_scan_determinismE0ELb0ELb0ES3_N6thrust23THRUST_200600_302600_NS6detail15normal_iteratorINS9_10device_ptrItEEEENS9_16discard_iteratorINS9_11use_defaultEEEtNS9_4plusIvEEtEEDaPvRmT3_T4_T5_mT6_P12ihipStream_tbENKUlT_T0_E_clISt17integral_constantIbLb0EESW_IbLb1EEEEDaSS_ST_EUlSS_E_NS1_11comp_targetILNS1_3genE4ELNS1_11target_archE910ELNS1_3gpuE8ELNS1_3repE0EEENS1_30default_config_static_selectorELNS0_4arch9wavefront6targetE1EEEvT1_,"axG",@progbits,_ZN7rocprim17ROCPRIM_400000_NS6detail17trampoline_kernelINS0_14default_configENS1_20scan_config_selectorItEEZZNS1_9scan_implILNS1_25lookback_scan_determinismE0ELb0ELb0ES3_N6thrust23THRUST_200600_302600_NS6detail15normal_iteratorINS9_10device_ptrItEEEENS9_16discard_iteratorINS9_11use_defaultEEEtNS9_4plusIvEEtEEDaPvRmT3_T4_T5_mT6_P12ihipStream_tbENKUlT_T0_E_clISt17integral_constantIbLb0EESW_IbLb1EEEEDaSS_ST_EUlSS_E_NS1_11comp_targetILNS1_3genE4ELNS1_11target_archE910ELNS1_3gpuE8ELNS1_3repE0EEENS1_30default_config_static_selectorELNS0_4arch9wavefront6targetE1EEEvT1_,comdat
	.protected	_ZN7rocprim17ROCPRIM_400000_NS6detail17trampoline_kernelINS0_14default_configENS1_20scan_config_selectorItEEZZNS1_9scan_implILNS1_25lookback_scan_determinismE0ELb0ELb0ES3_N6thrust23THRUST_200600_302600_NS6detail15normal_iteratorINS9_10device_ptrItEEEENS9_16discard_iteratorINS9_11use_defaultEEEtNS9_4plusIvEEtEEDaPvRmT3_T4_T5_mT6_P12ihipStream_tbENKUlT_T0_E_clISt17integral_constantIbLb0EESW_IbLb1EEEEDaSS_ST_EUlSS_E_NS1_11comp_targetILNS1_3genE4ELNS1_11target_archE910ELNS1_3gpuE8ELNS1_3repE0EEENS1_30default_config_static_selectorELNS0_4arch9wavefront6targetE1EEEvT1_ ; -- Begin function _ZN7rocprim17ROCPRIM_400000_NS6detail17trampoline_kernelINS0_14default_configENS1_20scan_config_selectorItEEZZNS1_9scan_implILNS1_25lookback_scan_determinismE0ELb0ELb0ES3_N6thrust23THRUST_200600_302600_NS6detail15normal_iteratorINS9_10device_ptrItEEEENS9_16discard_iteratorINS9_11use_defaultEEEtNS9_4plusIvEEtEEDaPvRmT3_T4_T5_mT6_P12ihipStream_tbENKUlT_T0_E_clISt17integral_constantIbLb0EESW_IbLb1EEEEDaSS_ST_EUlSS_E_NS1_11comp_targetILNS1_3genE4ELNS1_11target_archE910ELNS1_3gpuE8ELNS1_3repE0EEENS1_30default_config_static_selectorELNS0_4arch9wavefront6targetE1EEEvT1_
	.globl	_ZN7rocprim17ROCPRIM_400000_NS6detail17trampoline_kernelINS0_14default_configENS1_20scan_config_selectorItEEZZNS1_9scan_implILNS1_25lookback_scan_determinismE0ELb0ELb0ES3_N6thrust23THRUST_200600_302600_NS6detail15normal_iteratorINS9_10device_ptrItEEEENS9_16discard_iteratorINS9_11use_defaultEEEtNS9_4plusIvEEtEEDaPvRmT3_T4_T5_mT6_P12ihipStream_tbENKUlT_T0_E_clISt17integral_constantIbLb0EESW_IbLb1EEEEDaSS_ST_EUlSS_E_NS1_11comp_targetILNS1_3genE4ELNS1_11target_archE910ELNS1_3gpuE8ELNS1_3repE0EEENS1_30default_config_static_selectorELNS0_4arch9wavefront6targetE1EEEvT1_
	.p2align	8
	.type	_ZN7rocprim17ROCPRIM_400000_NS6detail17trampoline_kernelINS0_14default_configENS1_20scan_config_selectorItEEZZNS1_9scan_implILNS1_25lookback_scan_determinismE0ELb0ELb0ES3_N6thrust23THRUST_200600_302600_NS6detail15normal_iteratorINS9_10device_ptrItEEEENS9_16discard_iteratorINS9_11use_defaultEEEtNS9_4plusIvEEtEEDaPvRmT3_T4_T5_mT6_P12ihipStream_tbENKUlT_T0_E_clISt17integral_constantIbLb0EESW_IbLb1EEEEDaSS_ST_EUlSS_E_NS1_11comp_targetILNS1_3genE4ELNS1_11target_archE910ELNS1_3gpuE8ELNS1_3repE0EEENS1_30default_config_static_selectorELNS0_4arch9wavefront6targetE1EEEvT1_,@function
_ZN7rocprim17ROCPRIM_400000_NS6detail17trampoline_kernelINS0_14default_configENS1_20scan_config_selectorItEEZZNS1_9scan_implILNS1_25lookback_scan_determinismE0ELb0ELb0ES3_N6thrust23THRUST_200600_302600_NS6detail15normal_iteratorINS9_10device_ptrItEEEENS9_16discard_iteratorINS9_11use_defaultEEEtNS9_4plusIvEEtEEDaPvRmT3_T4_T5_mT6_P12ihipStream_tbENKUlT_T0_E_clISt17integral_constantIbLb0EESW_IbLb1EEEEDaSS_ST_EUlSS_E_NS1_11comp_targetILNS1_3genE4ELNS1_11target_archE910ELNS1_3gpuE8ELNS1_3repE0EEENS1_30default_config_static_selectorELNS0_4arch9wavefront6targetE1EEEvT1_: ; @_ZN7rocprim17ROCPRIM_400000_NS6detail17trampoline_kernelINS0_14default_configENS1_20scan_config_selectorItEEZZNS1_9scan_implILNS1_25lookback_scan_determinismE0ELb0ELb0ES3_N6thrust23THRUST_200600_302600_NS6detail15normal_iteratorINS9_10device_ptrItEEEENS9_16discard_iteratorINS9_11use_defaultEEEtNS9_4plusIvEEtEEDaPvRmT3_T4_T5_mT6_P12ihipStream_tbENKUlT_T0_E_clISt17integral_constantIbLb0EESW_IbLb1EEEEDaSS_ST_EUlSS_E_NS1_11comp_targetILNS1_3genE4ELNS1_11target_archE910ELNS1_3gpuE8ELNS1_3repE0EEENS1_30default_config_static_selectorELNS0_4arch9wavefront6targetE1EEEvT1_
; %bb.0:
	s_load_dwordx2 s[6:7], s[4:5], 0x20
	s_load_dwordx2 s[20:21], s[4:5], 0x30
	v_cmp_ne_u32_e64 s[0:1], 0, v0
	v_cmp_eq_u32_e64 s[2:3], 0, v0
	s_and_saveexec_b64 s[8:9], s[2:3]
	s_cbranch_execz .LBB5494_4
; %bb.1:
	s_mov_b64 s[12:13], exec
	v_mbcnt_lo_u32_b32 v1, s12, 0
	v_mbcnt_hi_u32_b32 v1, s13, v1
	v_cmp_eq_u32_e32 vcc, 0, v1
                                        ; implicit-def: $vgpr2
	s_and_saveexec_b64 s[10:11], vcc
	s_cbranch_execz .LBB5494_3
; %bb.2:
	s_load_dwordx2 s[14:15], s[4:5], 0x60
	s_bcnt1_i32_b64 s12, s[12:13]
	v_mov_b32_e32 v2, 0
	v_mov_b32_e32 v3, s12
	s_waitcnt lgkmcnt(0)
	global_atomic_add v2, v2, v3, s[14:15] glc
.LBB5494_3:
	s_or_b64 exec, exec, s[10:11]
	s_waitcnt vmcnt(0)
	v_readfirstlane_b32 s10, v2
	v_add_u32_e32 v1, s10, v1
	v_mov_b32_e32 v2, 0
	ds_write_b32 v2, v1
.LBB5494_4:
	s_or_b64 exec, exec, s[8:9]
	v_mov_b32_e32 v3, 0
	s_load_dwordx4 s[8:11], s[4:5], 0x0
	s_load_dword s22, s[4:5], 0x38
	s_load_dwordx8 s[12:19], s[4:5], 0x40
	s_waitcnt lgkmcnt(0)
	; wave barrier
	s_waitcnt lgkmcnt(0)
	ds_read_b32 v1, v3
	s_lshl_b64 s[4:5], s[10:11], 1
	s_add_u32 s4, s8, s4
	s_movk_i32 s8, 0x600
	s_addc_u32 s5, s9, s5
	s_waitcnt lgkmcnt(0)
	v_mul_lo_u32 v2, v1, s8
	s_add_i32 s8, s22, -1
	s_mul_i32 s9, s8, 0x600
	s_sub_u32 s24, s6, s9
	v_readfirstlane_b32 s26, v1
	s_subb_u32 s25, s7, 0
	v_lshlrev_b64 v[2:3], 1, v[2:3]
	s_cmp_lg_u32 s26, s8
	v_mov_b32_e32 v1, s5
	v_add_co_u32_e32 v2, vcc, s4, v2
	s_cselect_b64 s[10:11], -1, 0
	v_addc_co_u32_e32 v3, vcc, v1, v3, vcc
	s_mov_b64 s[4:5], -1
	s_and_b64 vcc, exec, s[10:11]
	s_waitcnt lgkmcnt(0)
	; wave barrier
	s_cbranch_vccz .LBB5494_6
; %bb.5:
	v_lshlrev_b32_e32 v1, 1, v0
	v_add_co_u32_e32 v4, vcc, v2, v1
	v_addc_co_u32_e32 v5, vcc, 0, v3, vcc
	flat_load_ushort v6, v[4:5]
	flat_load_ushort v7, v[4:5] offset:128
	flat_load_ushort v8, v[4:5] offset:256
	;; [unrolled: 1-line block ×23, first 2 shown]
	s_mov_b64 s[4:5], 0
	s_waitcnt vmcnt(0) lgkmcnt(0)
	ds_write_b16 v1, v6
	ds_write_b16 v1, v7 offset:128
	ds_write_b16 v1, v8 offset:256
	;; [unrolled: 1-line block ×23, first 2 shown]
	s_waitcnt lgkmcnt(0)
	; wave barrier
.LBB5494_6:
	s_andn2_b64 vcc, exec, s[4:5]
	s_cbranch_vccnz .LBB5494_56
; %bb.7:
	flat_load_ushort v1, v[2:3]
	v_cmp_gt_u32_e32 vcc, s24, v0
	s_waitcnt vmcnt(0) lgkmcnt(0)
	v_mov_b32_e32 v4, v1
	s_and_saveexec_b64 s[4:5], vcc
	s_cbranch_execz .LBB5494_9
; %bb.8:
	v_lshlrev_b32_e32 v4, 1, v0
	v_add_co_u32_e32 v4, vcc, v2, v4
	v_addc_co_u32_e32 v5, vcc, 0, v3, vcc
	flat_load_ushort v4, v[4:5]
.LBB5494_9:
	s_or_b64 exec, exec, s[4:5]
	v_or_b32_e32 v5, 64, v0
	v_cmp_gt_u32_e32 vcc, s24, v5
	v_mov_b32_e32 v5, v1
	s_and_saveexec_b64 s[4:5], vcc
	s_cbranch_execz .LBB5494_11
; %bb.10:
	v_lshlrev_b32_e32 v5, 1, v0
	v_add_co_u32_e32 v6, vcc, v2, v5
	v_addc_co_u32_e32 v7, vcc, 0, v3, vcc
	flat_load_ushort v5, v[6:7] offset:128
.LBB5494_11:
	s_or_b64 exec, exec, s[4:5]
	v_or_b32_e32 v6, 0x80, v0
	v_cmp_gt_u32_e32 vcc, s24, v6
	v_mov_b32_e32 v6, v1
	s_and_saveexec_b64 s[4:5], vcc
	s_cbranch_execz .LBB5494_13
; %bb.12:
	v_lshlrev_b32_e32 v6, 1, v0
	v_add_co_u32_e32 v6, vcc, v2, v6
	v_addc_co_u32_e32 v7, vcc, 0, v3, vcc
	flat_load_ushort v6, v[6:7] offset:256
.LBB5494_13:
	;; [unrolled: 12-line block ×22, first 2 shown]
	s_or_b64 exec, exec, s[4:5]
	v_or_b32_e32 v27, 0x5c0, v0
	v_cmp_gt_u32_e32 vcc, s24, v27
	s_and_saveexec_b64 s[4:5], vcc
	s_cbranch_execz .LBB5494_55
; %bb.54:
	v_lshlrev_b32_e32 v1, 1, v0
	v_add_co_u32_e32 v2, vcc, v2, v1
	v_addc_co_u32_e32 v3, vcc, 0, v3, vcc
	flat_load_ushort v1, v[2:3] offset:2944
.LBB5494_55:
	s_or_b64 exec, exec, s[4:5]
	v_lshlrev_b32_e32 v2, 1, v0
	s_waitcnt vmcnt(0) lgkmcnt(0)
	ds_write_b16 v2, v4
	ds_write_b16 v2, v5 offset:128
	ds_write_b16 v2, v6 offset:256
	;; [unrolled: 1-line block ×23, first 2 shown]
	s_waitcnt lgkmcnt(0)
	; wave barrier
.LBB5494_56:
	v_mul_u32_u24_e32 v20, 24, v0
	v_lshlrev_b32_e32 v1, 1, v20
	s_waitcnt lgkmcnt(0)
	ds_read_b128 v[10:13], v1
	ds_read_b128 v[6:9], v1 offset:16
	ds_read_b128 v[2:5], v1 offset:32
	s_cmp_lg_u32 s26, 0
	v_mbcnt_lo_u32_b32 v21, -1, 0
	v_cmp_eq_u32_e32 vcc, 63, v0
	s_waitcnt lgkmcnt(0)
	; wave barrier
	s_waitcnt lgkmcnt(0)
	s_cbranch_scc0 .LBB5494_79
; %bb.57:
	v_add_u16_sdwa v14, v10, v10 dst_sel:DWORD dst_unused:UNUSED_PAD src0_sel:WORD_1 src1_sel:DWORD
	v_add_u16_e32 v14, v14, v11
	v_add_u16_sdwa v14, v14, v11 dst_sel:DWORD dst_unused:UNUSED_PAD src0_sel:DWORD src1_sel:WORD_1
	v_add_u16_e32 v14, v14, v12
	v_add_u16_sdwa v14, v14, v12 dst_sel:DWORD dst_unused:UNUSED_PAD src0_sel:DWORD src1_sel:WORD_1
	;; [unrolled: 2-line block ×10, first 2 shown]
	v_add_u16_e32 v14, v14, v5
	v_mbcnt_hi_u32_b32 v15, -1, v21
	v_add_u16_sdwa v14, v14, v5 dst_sel:DWORD dst_unused:UNUSED_PAD src0_sel:DWORD src1_sel:WORD_1
	v_and_b32_e32 v16, 15, v15
	v_cmp_ne_u32_e64 s[4:5], 0, v16
	v_mov_b32_dpp v17, v14 row_shr:1 row_mask:0xf bank_mask:0xf
	v_cndmask_b32_e64 v17, 0, v17, s[4:5]
	v_add_u16_e32 v14, v17, v14
	v_cmp_lt_u32_e64 s[4:5], 1, v16
	s_nop 0
	v_mov_b32_dpp v17, v14 row_shr:2 row_mask:0xf bank_mask:0xf
	v_cndmask_b32_e64 v17, 0, v17, s[4:5]
	v_add_u16_e32 v14, v14, v17
	v_cmp_lt_u32_e64 s[4:5], 3, v16
	s_nop 0
	v_mov_b32_dpp v17, v14 row_shr:4 row_mask:0xf bank_mask:0xf
	v_cndmask_b32_e64 v17, 0, v17, s[4:5]
	v_add_u16_e32 v14, v14, v17
	v_cmp_lt_u32_e64 s[4:5], 7, v16
	s_nop 0
	v_mov_b32_dpp v17, v14 row_shr:8 row_mask:0xf bank_mask:0xf
	v_cndmask_b32_e64 v16, 0, v17, s[4:5]
	v_add_u16_e32 v14, v14, v16
	v_and_b32_e32 v17, 16, v15
	v_cmp_ne_u32_e64 s[4:5], 0, v17
	v_mov_b32_dpp v16, v14 row_bcast:15 row_mask:0xf bank_mask:0xf
	v_cndmask_b32_e64 v16, 0, v16, s[4:5]
	v_add_u16_e32 v14, v14, v16
	v_cmp_lt_u32_e64 s[4:5], 31, v15
	s_nop 0
	v_mov_b32_dpp v16, v14 row_bcast:31 row_mask:0xf bank_mask:0xf
	v_cndmask_b32_e64 v16, 0, v16, s[4:5]
	v_add_u16_e32 v14, v14, v16
	s_and_saveexec_b64 s[4:5], vcc
	s_cbranch_execz .LBB5494_59
; %bb.58:
	v_mov_b32_e32 v16, 0
	ds_write_b16 v16, v14
.LBB5494_59:
	s_or_b64 exec, exec, s[4:5]
	v_add_u32_e32 v16, -1, v15
	v_and_b32_e32 v17, 64, v15
	v_cmp_lt_i32_e32 vcc, v16, v17
	v_cndmask_b32_e32 v16, v16, v15, vcc
	v_lshlrev_b32_e32 v16, 2, v16
	ds_bpermute_b32 v22, v16, v14
	v_cmp_gt_u32_e32 vcc, 64, v0
	s_waitcnt lgkmcnt(0)
	; wave barrier
	s_waitcnt lgkmcnt(0)
	s_and_saveexec_b64 s[22:23], vcc
	s_cbranch_execz .LBB5494_78
; %bb.60:
	v_mov_b32_e32 v17, 0
	ds_read_u16 v23, v17
	s_mov_b32 s9, 0
	v_cmp_eq_u32_e64 s[4:5], 0, v15
	s_and_saveexec_b64 s[6:7], s[4:5]
	s_cbranch_execz .LBB5494_62
; %bb.61:
	s_add_i32 s8, s26, 64
	s_lshl_b64 s[8:9], s[8:9], 2
	s_add_u32 s8, s20, s8
	s_waitcnt lgkmcnt(0)
	v_or_b32_e32 v14, 0x10000, v23
	s_addc_u32 s9, s21, s9
	global_store_dword v17, v14, s[8:9]
.LBB5494_62:
	s_or_b64 exec, exec, s[6:7]
	v_xad_u32 v14, v15, -1, s26
	v_add_u32_e32 v16, 64, v14
	v_lshlrev_b64 v[18:19], 2, v[16:17]
	v_mov_b32_e32 v16, s21
	v_add_co_u32_e32 v18, vcc, s20, v18
	v_addc_co_u32_e32 v19, vcc, v16, v19, vcc
	global_load_dword v36, v[18:19], off glc
	s_waitcnt vmcnt(0)
	v_lshrrev_b32_e32 v25, 16, v36
	v_cmp_eq_u16_sdwa s[8:9], v25, v17 src0_sel:BYTE_0 src1_sel:DWORD
	s_and_saveexec_b64 s[6:7], s[8:9]
	s_cbranch_execz .LBB5494_66
; %bb.63:
	s_mov_b64 s[8:9], 0
	v_mov_b32_e32 v16, 0
.LBB5494_64:                            ; =>This Inner Loop Header: Depth=1
	global_load_dword v36, v[18:19], off glc
	s_waitcnt vmcnt(0)
	v_lshrrev_b32_e32 v25, 16, v36
	v_cmp_ne_u16_sdwa s[28:29], v25, v16 src0_sel:BYTE_0 src1_sel:DWORD
	s_or_b64 s[8:9], s[28:29], s[8:9]
	s_andn2_b64 exec, exec, s[8:9]
	s_cbranch_execnz .LBB5494_64
; %bb.65:
	s_or_b64 exec, exec, s[8:9]
.LBB5494_66:
	s_or_b64 exec, exec, s[6:7]
	v_and_b32_e32 v26, 63, v15
	v_cmp_ne_u32_e32 vcc, 63, v26
	v_mov_b32_e32 v24, 2
	v_addc_co_u32_e32 v27, vcc, 0, v15, vcc
	v_cmp_eq_u16_sdwa s[6:7], v25, v24 src0_sel:BYTE_0 src1_sel:DWORD
	v_lshlrev_b64 v[16:17], v15, -1
	v_and_b32_e32 v28, 0xffff, v36
	v_lshlrev_b32_e32 v27, 2, v27
	v_and_b32_e32 v18, s7, v17
	ds_bpermute_b32 v29, v27, v28
	v_or_b32_e32 v18, 0x80000000, v18
	v_and_b32_e32 v19, s6, v16
	v_ffbl_b32_e32 v18, v18
	v_add_u32_e32 v18, 32, v18
	v_ffbl_b32_e32 v19, v19
	v_min_u32_e32 v18, v19, v18
	s_waitcnt lgkmcnt(0)
	v_add_u16_e32 v19, v29, v36
	v_cmp_lt_u32_e32 vcc, v26, v18
	v_cmp_gt_u32_e64 s[6:7], 62, v26
	v_cndmask_b32_e32 v30, v28, v19, vcc
	v_cndmask_b32_e64 v28, 0, 1, s[6:7]
	v_lshlrev_b32_e32 v28, 1, v28
	v_add_lshl_u32 v28, v28, v15, 2
	ds_bpermute_b32 v31, v28, v30
	v_cndmask_b32_e32 v19, v36, v19, vcc
	v_add_u32_e32 v29, 2, v26
	v_cmp_gt_u32_e64 s[6:7], v29, v18
	v_cmp_gt_u32_e64 s[8:9], 60, v26
	s_waitcnt lgkmcnt(0)
	v_add_u16_e32 v31, v19, v31
	v_cndmask_b32_e64 v32, v31, v30, s[6:7]
	v_cndmask_b32_e64 v30, 0, 1, s[8:9]
	v_lshlrev_b32_e32 v30, 2, v30
	v_add_lshl_u32 v30, v30, v15, 2
	ds_bpermute_b32 v33, v30, v32
	v_cndmask_b32_e64 v19, v31, v19, s[6:7]
	v_add_u32_e32 v31, 4, v26
	v_cmp_gt_u32_e64 s[6:7], v31, v18
	v_cmp_gt_u32_e64 s[8:9], 56, v26
	s_waitcnt lgkmcnt(0)
	v_add_u16_e32 v33, v19, v33
	v_cndmask_b32_e64 v34, v33, v32, s[6:7]
	v_cndmask_b32_e64 v32, 0, 1, s[8:9]
	v_lshlrev_b32_e32 v32, 3, v32
	v_add_lshl_u32 v32, v32, v15, 2
	ds_bpermute_b32 v35, v32, v34
	v_cndmask_b32_e64 v19, v33, v19, s[6:7]
	;; [unrolled: 11-line block ×3, first 2 shown]
	v_add_u32_e32 v35, 16, v26
	v_cmp_gt_u32_e64 s[6:7], v35, v18
	v_cmp_gt_u32_e64 s[8:9], 32, v26
	s_waitcnt lgkmcnt(0)
	v_add_u16_e32 v39, v19, v38
	v_cndmask_b32_e64 v38, v39, v37, s[6:7]
	v_cndmask_b32_e64 v37, 0, 1, s[8:9]
	v_lshlrev_b32_e32 v37, 5, v37
	v_add_lshl_u32 v37, v37, v15, 2
	ds_bpermute_b32 v15, v37, v38
	v_add_u32_e32 v38, 32, v26
	v_cndmask_b32_e64 v19, v39, v19, s[6:7]
	v_cmp_le_u32_e64 s[6:7], v38, v18
	s_waitcnt lgkmcnt(0)
	v_cndmask_b32_e64 v15, 0, v15, s[6:7]
	v_add_u16_e32 v15, v19, v15
	v_cndmask_b32_e32 v18, v36, v15, vcc
	v_mov_b32_e32 v15, 0
	s_branch .LBB5494_68
.LBB5494_67:                            ;   in Loop: Header=BB5494_68 Depth=1
	s_or_b64 exec, exec, s[6:7]
	v_cmp_eq_u16_sdwa s[6:7], v25, v24 src0_sel:BYTE_0 src1_sel:DWORD
	v_and_b32_e32 v40, 0xffff, v39
	v_and_b32_e32 v18, s7, v17
	ds_bpermute_b32 v41, v27, v40
	v_or_b32_e32 v18, 0x80000000, v18
	v_and_b32_e32 v19, s6, v16
	v_ffbl_b32_e32 v18, v18
	v_add_u32_e32 v18, 32, v18
	v_ffbl_b32_e32 v19, v19
	v_min_u32_e32 v18, v19, v18
	s_waitcnt lgkmcnt(0)
	v_add_u16_e32 v19, v41, v39
	v_cmp_lt_u32_e32 vcc, v26, v18
	v_cndmask_b32_e32 v40, v40, v19, vcc
	ds_bpermute_b32 v41, v28, v40
	v_cndmask_b32_e32 v19, v39, v19, vcc
	v_cmp_gt_u32_e64 s[6:7], v29, v18
	v_subrev_u32_e32 v14, 64, v14
	s_waitcnt lgkmcnt(0)
	v_add_u16_e32 v41, v19, v41
	v_cndmask_b32_e64 v40, v41, v40, s[6:7]
	ds_bpermute_b32 v42, v30, v40
	v_cndmask_b32_e64 v19, v41, v19, s[6:7]
	v_cmp_gt_u32_e64 s[6:7], v31, v18
	s_waitcnt lgkmcnt(0)
	v_add_u16_e32 v41, v19, v42
	v_cndmask_b32_e64 v40, v41, v40, s[6:7]
	ds_bpermute_b32 v42, v32, v40
	v_cndmask_b32_e64 v19, v41, v19, s[6:7]
	v_cmp_gt_u32_e64 s[6:7], v33, v18
	;; [unrolled: 6-line block ×3, first 2 shown]
	s_waitcnt lgkmcnt(0)
	v_add_u16_e32 v41, v19, v42
	v_cndmask_b32_e64 v40, v41, v40, s[6:7]
	ds_bpermute_b32 v40, v37, v40
	v_cndmask_b32_e64 v19, v41, v19, s[6:7]
	v_cmp_le_u32_e64 s[6:7], v38, v18
	s_waitcnt lgkmcnt(0)
	v_cndmask_b32_e64 v18, 0, v40, s[6:7]
	v_add_u16_e32 v18, v19, v18
	v_cndmask_b32_e32 v18, v39, v18, vcc
	v_add_u16_e32 v18, v18, v36
.LBB5494_68:                            ; =>This Loop Header: Depth=1
                                        ;     Child Loop BB5494_71 Depth 2
	v_cmp_ne_u16_sdwa s[6:7], v25, v24 src0_sel:BYTE_0 src1_sel:DWORD
	v_cndmask_b32_e64 v19, 0, 1, s[6:7]
	;;#ASMSTART
	;;#ASMEND
	v_cmp_ne_u32_e32 vcc, 0, v19
	s_cmp_lg_u64 vcc, exec
	v_mov_b32_e32 v36, v18
	s_cbranch_scc1 .LBB5494_73
; %bb.69:                               ;   in Loop: Header=BB5494_68 Depth=1
	v_lshlrev_b64 v[18:19], 2, v[14:15]
	v_mov_b32_e32 v25, s21
	v_add_co_u32_e32 v18, vcc, s20, v18
	v_addc_co_u32_e32 v19, vcc, v25, v19, vcc
	global_load_dword v39, v[18:19], off glc
	s_waitcnt vmcnt(0)
	v_lshrrev_b32_e32 v25, 16, v39
	v_cmp_eq_u16_sdwa s[8:9], v25, v15 src0_sel:BYTE_0 src1_sel:DWORD
	s_and_saveexec_b64 s[6:7], s[8:9]
	s_cbranch_execz .LBB5494_67
; %bb.70:                               ;   in Loop: Header=BB5494_68 Depth=1
	s_mov_b64 s[8:9], 0
.LBB5494_71:                            ;   Parent Loop BB5494_68 Depth=1
                                        ; =>  This Inner Loop Header: Depth=2
	global_load_dword v39, v[18:19], off glc
	s_waitcnt vmcnt(0)
	v_lshrrev_b32_e32 v25, 16, v39
	v_cmp_ne_u16_sdwa s[28:29], v25, v15 src0_sel:BYTE_0 src1_sel:DWORD
	s_or_b64 s[8:9], s[28:29], s[8:9]
	s_andn2_b64 exec, exec, s[8:9]
	s_cbranch_execnz .LBB5494_71
; %bb.72:                               ;   in Loop: Header=BB5494_68 Depth=1
	s_or_b64 exec, exec, s[8:9]
	s_branch .LBB5494_67
.LBB5494_73:                            ;   in Loop: Header=BB5494_68 Depth=1
                                        ; implicit-def: $vgpr18
                                        ; implicit-def: $vgpr25
	s_cbranch_execz .LBB5494_68
; %bb.74:
	s_and_saveexec_b64 s[6:7], s[4:5]
	s_cbranch_execz .LBB5494_76
; %bb.75:
	s_add_i32 s4, s26, 64
	s_mov_b32 s5, 0
	s_lshl_b64 s[4:5], s[4:5], 2
	v_add_u16_e32 v14, v36, v23
	s_add_u32 s4, s20, s4
	v_or_b32_e32 v14, 0x20000, v14
	s_addc_u32 s5, s21, s5
	v_mov_b32_e32 v15, 0
	global_store_dword v15, v14, s[4:5]
.LBB5494_76:
	s_or_b64 exec, exec, s[6:7]
	s_and_b64 exec, exec, s[2:3]
	s_cbranch_execz .LBB5494_78
; %bb.77:
	v_mov_b32_e32 v14, 0
	ds_write_b16 v14, v36
.LBB5494_78:
	s_or_b64 exec, exec, s[22:23]
	v_mov_b32_e32 v14, 0
	s_waitcnt lgkmcnt(0)
	; wave barrier
	s_waitcnt lgkmcnt(0)
	ds_read_u16 v14, v14
	v_cndmask_b32_e64 v15, v22, 0, s[2:3]
	v_add_u16_e32 v15, v15, v10
	s_waitcnt lgkmcnt(0)
	v_add_u16_e32 v14, v15, v14
	v_add_u16_sdwa v15, v14, v10 dst_sel:DWORD dst_unused:UNUSED_PAD src0_sel:DWORD src1_sel:WORD_1
	v_add_u16_e32 v16, v15, v11
	v_add_u16_sdwa v17, v16, v11 dst_sel:DWORD dst_unused:UNUSED_PAD src0_sel:DWORD src1_sel:WORD_1
	;; [unrolled: 2-line block ×12, first 2 shown]
	s_branch .LBB5494_89
.LBB5494_79:
                                        ; implicit-def: $vgpr14
                                        ; implicit-def: $vgpr15
                                        ; implicit-def: $vgpr16
                                        ; implicit-def: $vgpr17
                                        ; implicit-def: $vgpr18
                                        ; implicit-def: $vgpr19
                                        ; implicit-def: $vgpr23
                                        ; implicit-def: $vgpr25
                                        ; implicit-def: $vgpr22
                                        ; implicit-def: $vgpr24
                                        ; implicit-def: $vgpr26
                                        ; implicit-def: $vgpr27
                                        ; implicit-def: $vgpr28
                                        ; implicit-def: $vgpr29
                                        ; implicit-def: $vgpr31
                                        ; implicit-def: $vgpr33
                                        ; implicit-def: $vgpr30
                                        ; implicit-def: $vgpr32
                                        ; implicit-def: $vgpr34
                                        ; implicit-def: $vgpr35
                                        ; implicit-def: $vgpr36
                                        ; implicit-def: $vgpr37
                                        ; implicit-def: $vgpr38
                                        ; implicit-def: $vgpr39
	s_cbranch_execz .LBB5494_89
; %bb.80:
	s_cmp_lg_u64 s[16:17], 0
	s_cselect_b64 s[4:5], -1, 0
	s_and_b64 s[4:5], s[2:3], s[4:5]
	v_mov_b32_e32 v14, v10
	s_and_saveexec_b64 s[2:3], s[4:5]
	s_cbranch_execz .LBB5494_82
; %bb.81:
	v_mov_b32_e32 v14, 0
	global_load_ushort v14, v14, s[12:13]
	s_waitcnt vmcnt(0)
	v_add_u16_e32 v14, v14, v10
.LBB5494_82:
	s_or_b64 exec, exec, s[2:3]
	v_add_u16_sdwa v15, v14, v10 dst_sel:DWORD dst_unused:UNUSED_PAD src0_sel:DWORD src1_sel:WORD_1
	v_add_u16_e32 v16, v15, v11
	v_add_u16_sdwa v17, v16, v11 dst_sel:DWORD dst_unused:UNUSED_PAD src0_sel:DWORD src1_sel:WORD_1
	v_add_u16_e32 v18, v17, v12
	;; [unrolled: 2-line block ×11, first 2 shown]
	v_mbcnt_hi_u32_b32 v21, -1, v21
	v_add_u16_sdwa v39, v38, v5 dst_sel:DWORD dst_unused:UNUSED_PAD src0_sel:DWORD src1_sel:WORD_1
	v_and_b32_e32 v40, 15, v21
	v_cmp_ne_u32_e32 vcc, 0, v40
	v_mov_b32_dpp v41, v39 row_shr:1 row_mask:0xf bank_mask:0xf
	v_cndmask_b32_e32 v41, 0, v41, vcc
	v_add_u16_e32 v41, v39, v41
	v_cmp_lt_u32_e32 vcc, 1, v40
	s_nop 0
	v_mov_b32_dpp v42, v41 row_shr:2 row_mask:0xf bank_mask:0xf
	v_cndmask_b32_e32 v42, 0, v42, vcc
	v_add_u16_e32 v41, v41, v42
	v_cmp_lt_u32_e32 vcc, 3, v40
	s_nop 0
	;; [unrolled: 5-line block ×3, first 2 shown]
	v_mov_b32_dpp v42, v41 row_shr:8 row_mask:0xf bank_mask:0xf
	v_cndmask_b32_e32 v40, 0, v42, vcc
	v_add_u16_e32 v40, v41, v40
	v_and_b32_e32 v42, 16, v21
	v_cmp_ne_u32_e32 vcc, 0, v42
	v_mov_b32_dpp v41, v40 row_bcast:15 row_mask:0xf bank_mask:0xf
	v_cndmask_b32_e32 v41, 0, v41, vcc
	v_add_u16_e32 v40, v40, v41
	v_cmp_lt_u32_e32 vcc, 31, v21
	s_nop 0
	v_mov_b32_dpp v41, v40 row_bcast:31 row_mask:0xf bank_mask:0xf
	v_cndmask_b32_e32 v41, 0, v41, vcc
	v_add_u16_e32 v40, v40, v41
	v_cmp_eq_u32_e32 vcc, 63, v0
	s_and_saveexec_b64 s[2:3], vcc
	s_cbranch_execz .LBB5494_84
; %bb.83:
	v_mov_b32_e32 v41, 0
	ds_write_b16 v41, v40
.LBB5494_84:
	s_or_b64 exec, exec, s[2:3]
	v_add_u32_e32 v41, -1, v21
	v_and_b32_e32 v42, 64, v21
	v_cmp_lt_i32_e64 s[2:3], v41, v42
	v_cndmask_b32_e64 v21, v41, v21, s[2:3]
	v_lshlrev_b32_e32 v21, 2, v21
	ds_bpermute_b32 v21, v21, v40
	s_waitcnt lgkmcnt(0)
	; wave barrier
	s_waitcnt lgkmcnt(0)
	s_and_saveexec_b64 s[2:3], s[0:1]
	s_cbranch_execz .LBB5494_86
; %bb.85:
	v_add_u16_e32 v14, v14, v21
	v_add_u16_sdwa v15, v14, v10 dst_sel:DWORD dst_unused:UNUSED_PAD src0_sel:DWORD src1_sel:WORD_1
	v_add_u16_e32 v16, v15, v11
	v_add_u16_sdwa v17, v16, v11 dst_sel:DWORD dst_unused:UNUSED_PAD src0_sel:DWORD src1_sel:WORD_1
	;; [unrolled: 2-line block ×12, first 2 shown]
	;;#ASMSTART
	;;#ASMEND
.LBB5494_86:
	s_or_b64 exec, exec, s[2:3]
	s_and_saveexec_b64 s[0:1], vcc
	s_cbranch_execz .LBB5494_88
; %bb.87:
	s_mov_b32 s2, 0x20000
	v_mov_b32_e32 v2, 0
	v_or_b32_sdwa v3, v39, s2 dst_sel:DWORD dst_unused:UNUSED_PAD src0_sel:WORD_0 src1_sel:DWORD
	global_store_dword v2, v3, s[20:21] offset:256
.LBB5494_88:
	s_or_b64 exec, exec, s[0:1]
.LBB5494_89:
	s_mov_b32 s0, 0x5040100
	v_perm_b32 v5, v25, v23, s0
	v_perm_b32 v4, v19, v18, s0
	;; [unrolled: 1-line block ×4, first 2 shown]
	s_waitcnt lgkmcnt(0)
	; wave barrier
	ds_write_b128 v1, v[2:5]
	v_perm_b32 v5, v33, v31, s0
	v_perm_b32 v4, v29, v28, s0
	;; [unrolled: 1-line block ×4, first 2 shown]
	ds_write_b128 v1, v[2:5] offset:16
	v_perm_b32 v5, v39, v38, s0
	v_perm_b32 v4, v37, v36, s0
	;; [unrolled: 1-line block ×4, first 2 shown]
	s_mov_b64 s[0:1], -1
	s_and_b64 vcc, exec, s[10:11]
	ds_write_b128 v1, v[2:5] offset:32
	s_waitcnt lgkmcnt(0)
	s_cbranch_vccz .LBB5494_91
; %bb.90:
	; wave barrier
	s_mov_b64 s[0:1], 0
.LBB5494_91:
	s_andn2_b64 vcc, exec, s[0:1]
	s_cbranch_vccnz .LBB5494_100
; %bb.92:
	v_cmp_lt_u64_e64 s[0:1], s[18:19], 2
	s_and_b64 vcc, exec, s[0:1]
	; wave barrier
	s_cbranch_vccnz .LBB5494_100
; %bb.93:
	s_add_u32 s0, s24, -1
	s_addc_u32 s1, s25, -1
	s_add_u32 s2, 0, 0xaaaa0000
	s_addc_u32 s3, 0, 42
	s_add_i32 s3, s3, 0xaaaaa80
	s_mul_hi_u32 s7, s2, 0xffffffe8
	s_sub_i32 s7, s7, s2
	s_mul_i32 s8, s3, 0xffffffe8
	s_mul_i32 s4, s2, 0xffffffe8
	s_add_i32 s7, s7, s8
	s_mul_hi_u32 s5, s3, s4
	s_mul_i32 s6, s3, s4
	s_mul_i32 s9, s2, s7
	s_mul_hi_u32 s4, s2, s4
	s_mul_hi_u32 s8, s2, s7
	s_add_u32 s4, s4, s9
	s_addc_u32 s8, 0, s8
	s_add_u32 s4, s4, s6
	s_mul_hi_u32 s9, s3, s7
	s_addc_u32 s4, s8, s5
	s_addc_u32 s5, s9, 0
	s_mul_i32 s6, s3, s7
	s_add_u32 s4, s4, s6
	v_mov_b32_e32 v2, s4
	s_addc_u32 s5, 0, s5
	v_add_co_u32_e32 v2, vcc, s2, v2
	s_cmp_lg_u64 vcc, 0
	s_addc_u32 s2, s3, s5
	v_readfirstlane_b32 s5, v2
	s_mul_i32 s4, s0, s2
	s_mul_hi_u32 s6, s0, s5
	s_mul_hi_u32 s3, s0, s2
	s_add_u32 s4, s6, s4
	s_addc_u32 s3, 0, s3
	s_mul_hi_u32 s7, s1, s5
	s_mul_i32 s5, s1, s5
	s_add_u32 s4, s4, s5
	s_mul_hi_u32 s6, s1, s2
	s_addc_u32 s3, s3, s7
	s_addc_u32 s4, s6, 0
	s_mul_i32 s2, s1, s2
	s_add_u32 s2, s3, s2
	s_addc_u32 s3, 0, s4
	s_add_u32 s4, s2, 1
	s_addc_u32 s5, s3, 0
	s_add_u32 s6, s2, 2
	s_mul_i32 s8, s3, 24
	s_mul_hi_u32 s9, s2, 24
	s_addc_u32 s7, s3, 0
	s_add_i32 s9, s9, s8
	s_mul_i32 s8, s2, 24
	v_mov_b32_e32 v2, s8
	v_sub_co_u32_e32 v2, vcc, s0, v2
	s_cmp_lg_u64 vcc, 0
	s_subb_u32 s8, s1, s9
	v_subrev_co_u32_e32 v3, vcc, 24, v2
	s_cmp_lg_u64 vcc, 0
	s_subb_u32 s9, s8, 0
	v_readfirstlane_b32 s10, v3
	s_cmp_gt_u32 s10, 23
	s_cselect_b32 s10, -1, 0
	s_cmp_eq_u32 s9, 0
	s_cselect_b32 s9, s10, -1
	s_cmp_lg_u32 s9, 0
	s_cselect_b32 s4, s6, s4
	v_readfirstlane_b32 s6, v2
	s_cselect_b32 s5, s7, s5
	s_cmp_gt_u32 s6, 23
	s_cselect_b32 s6, -1, 0
	s_cmp_eq_u32 s8, 0
	s_cselect_b32 s6, s6, -1
	s_cmp_lg_u32 s6, 0
	v_mov_b32_e32 v1, 0
	s_cselect_b32 s3, s5, s3
	s_cselect_b32 s2, s4, s2
	v_cmp_eq_u64_e32 vcc, s[2:3], v[0:1]
	s_and_saveexec_b64 s[2:3], vcc
	s_cbranch_execz .LBB5494_100
; %bb.94:
	v_lshlrev_b32_e32 v2, 1, v0
	v_mul_hi_u32_u24_e32 v1, 24, v0
	v_mov_b32_e32 v3, s1
	v_sub_co_u32_e32 v0, vcc, s0, v20
	v_subb_co_u32_e32 v1, vcc, v3, v1, vcc
	v_cmp_lt_i64_e32 vcc, 11, v[0:1]
	s_mov_b64 s[0:1], 0
	s_mov_b64 s[8:9], 0
	;; [unrolled: 1-line block ×4, first 2 shown]
                                        ; implicit-def: $vgpr3
                                        ; implicit-def: $vgpr4
                                        ; implicit-def: $vgpr5
	s_and_saveexec_b64 s[2:3], vcc
	s_xor_b64 s[2:3], exec, s[2:3]
	s_cbranch_execnz .LBB5494_101
; %bb.95:
	s_andn2_saveexec_b64 s[2:3], s[2:3]
	s_cbranch_execnz .LBB5494_146
.LBB5494_96:
	s_or_b64 exec, exec, s[2:3]
	s_and_saveexec_b64 s[2:3], s[8:9]
	s_cbranch_execnz .LBB5494_163
.LBB5494_97:
	s_or_b64 exec, exec, s[2:3]
	s_and_saveexec_b64 s[2:3], s[6:7]
	s_cbranch_execnz .LBB5494_164
.LBB5494_98:
	s_or_b64 exec, exec, s[2:3]
	s_and_saveexec_b64 s[2:3], s[4:5]
	s_xor_b64 s[2:3], exec, s[2:3]
	s_cbranch_execnz .LBB5494_165
.LBB5494_99:
	s_or_b64 exec, exec, s[2:3]
	s_and_b64 exec, exec, s[0:1]
	s_cbranch_execnz .LBB5494_166
.LBB5494_100:
	s_endpgm
.LBB5494_101:
	v_cmp_lt_i64_e32 vcc, 17, v[0:1]
                                        ; implicit-def: $vgpr3
                                        ; implicit-def: $vgpr4
                                        ; implicit-def: $vgpr5
	s_and_saveexec_b64 s[10:11], vcc
	s_xor_b64 s[10:11], exec, s[10:11]
	s_cbranch_execz .LBB5494_123
; %bb.102:
	v_cmp_lt_i64_e32 vcc, 20, v[0:1]
                                        ; implicit-def: $vgpr3
                                        ; implicit-def: $vgpr4
	s_and_saveexec_b64 s[12:13], vcc
	s_xor_b64 s[12:13], exec, s[12:13]
	s_cbranch_execz .LBB5494_112
; %bb.103:
	v_cmp_lt_i64_e32 vcc, 21, v[0:1]
	s_mov_b64 s[16:17], 0
                                        ; implicit-def: $vgpr3
	s_and_saveexec_b64 s[4:5], vcc
	s_xor_b64 s[4:5], exec, s[4:5]
	s_cbranch_execz .LBB5494_109
; %bb.104:
	v_cmp_lt_i64_e32 vcc, 22, v[0:1]
	s_and_saveexec_b64 s[16:17], vcc
	s_xor_b64 s[16:17], exec, s[16:17]
	s_cbranch_execz .LBB5494_106
; %bb.105:
	ds_read_u16 v3, v2 offset:2944
	v_mov_b32_e32 v4, 0
	s_waitcnt lgkmcnt(0)
	global_store_short v4, v3, s[14:15]
.LBB5494_106:
	s_or_saveexec_b64 s[16:17], s[16:17]
	s_mov_b64 s[18:19], 0
                                        ; implicit-def: $vgpr3
	s_xor_b64 exec, exec, s[16:17]
	s_cbranch_execz .LBB5494_108
; %bb.107:
	ds_read_u16 v3, v2 offset:2816
	s_mov_b64 s[18:19], exec
.LBB5494_108:
	s_or_b64 exec, exec, s[16:17]
	s_and_b64 s[16:17], s[18:19], exec
.LBB5494_109:
	s_or_saveexec_b64 s[4:5], s[4:5]
                                        ; implicit-def: $vgpr4
	s_xor_b64 exec, exec, s[4:5]
	s_cbranch_execz .LBB5494_111
; %bb.110:
	ds_read_u16 v4, v2 offset:2688
	s_mov_b64 s[6:7], exec
                                        ; implicit-def: $vgpr3
.LBB5494_111:
	s_or_b64 exec, exec, s[4:5]
	s_and_b64 s[4:5], s[16:17], exec
	s_and_b64 s[6:7], s[6:7], exec
.LBB5494_112:
	s_or_saveexec_b64 s[12:13], s[12:13]
                                        ; implicit-def: $vgpr5
	s_xor_b64 exec, exec, s[12:13]
	s_cbranch_execz .LBB5494_122
; %bb.113:
	v_cmp_lt_i64_e32 vcc, 18, v[0:1]
	s_mov_b64 s[16:17], 0
                                        ; implicit-def: $vgpr5
	s_and_saveexec_b64 s[8:9], vcc
	s_xor_b64 s[8:9], exec, s[8:9]
	s_cbranch_execz .LBB5494_119
; %bb.114:
	v_cmp_lt_i64_e32 vcc, 19, v[0:1]
                                        ; implicit-def: $vgpr5
	s_and_saveexec_b64 s[18:19], vcc
	s_xor_b64 s[18:19], exec, s[18:19]
	s_cbranch_execz .LBB5494_116
; %bb.115:
	ds_read_u16 v5, v2 offset:2560
	s_mov_b64 s[16:17], exec
.LBB5494_116:
	s_andn2_saveexec_b64 s[18:19], s[18:19]
	s_cbranch_execz .LBB5494_118
; %bb.117:
	s_waitcnt lgkmcnt(0)
	ds_read_u16 v3, v2 offset:2432
	v_mov_b32_e32 v4, 0
                                        ; implicit-def: $vgpr5
	s_waitcnt lgkmcnt(0)
	global_store_short v4, v3, s[14:15]
.LBB5494_118:
	s_or_b64 exec, exec, s[18:19]
	s_and_b64 s[16:17], s[16:17], exec
.LBB5494_119:
	s_andn2_saveexec_b64 s[8:9], s[8:9]
	s_cbranch_execz .LBB5494_121
; %bb.120:
	s_waitcnt lgkmcnt(0)
	ds_read_u16 v3, v2 offset:2304
	v_mov_b32_e32 v4, 0
                                        ; implicit-def: $vgpr5
	s_waitcnt lgkmcnt(0)
	global_store_short v4, v3, s[14:15]
.LBB5494_121:
	s_or_b64 exec, exec, s[8:9]
	s_and_b64 s[8:9], s[16:17], exec
                                        ; implicit-def: $vgpr3
                                        ; implicit-def: $vgpr4
.LBB5494_122:
	s_or_b64 exec, exec, s[12:13]
	s_and_b64 s[4:5], s[4:5], exec
	s_and_b64 s[6:7], s[6:7], exec
	;; [unrolled: 1-line block ×3, first 2 shown]
.LBB5494_123:
	s_andn2_saveexec_b64 s[10:11], s[10:11]
	s_cbranch_execz .LBB5494_145
; %bb.124:
	v_cmp_lt_i64_e32 vcc, 14, v[0:1]
	s_mov_b64 s[12:13], s[4:5]
                                        ; implicit-def: $vgpr3
	s_and_saveexec_b64 s[16:17], vcc
	s_xor_b64 s[16:17], exec, s[16:17]
	s_cbranch_execz .LBB5494_134
; %bb.125:
	v_cmp_lt_i64_e32 vcc, 15, v[0:1]
	s_and_saveexec_b64 s[12:13], vcc
	s_xor_b64 s[12:13], exec, s[12:13]
	s_cbranch_execz .LBB5494_131
; %bb.126:
	v_cmp_lt_i64_e32 vcc, 16, v[0:1]
	s_and_saveexec_b64 s[18:19], vcc
	s_xor_b64 s[18:19], exec, s[18:19]
	s_cbranch_execz .LBB5494_128
; %bb.127:
	s_waitcnt lgkmcnt(0)
	ds_read_u16 v3, v2 offset:2176
	v_mov_b32_e32 v4, 0
	s_waitcnt lgkmcnt(0)
	global_store_short v4, v3, s[14:15]
.LBB5494_128:
	s_andn2_saveexec_b64 s[18:19], s[18:19]
	s_cbranch_execz .LBB5494_130
; %bb.129:
	s_waitcnt lgkmcnt(0)
	ds_read_u16 v3, v2 offset:2048
	v_mov_b32_e32 v4, 0
	s_waitcnt lgkmcnt(0)
	global_store_short v4, v3, s[14:15]
.LBB5494_130:
	s_or_b64 exec, exec, s[18:19]
.LBB5494_131:
	s_or_saveexec_b64 s[12:13], s[12:13]
	s_mov_b64 s[18:19], s[4:5]
                                        ; implicit-def: $vgpr3
	s_xor_b64 exec, exec, s[12:13]
	s_cbranch_execz .LBB5494_133
; %bb.132:
	s_waitcnt lgkmcnt(0)
	ds_read_u16 v3, v2 offset:1920
	s_or_b64 s[18:19], s[4:5], exec
.LBB5494_133:
	s_or_b64 exec, exec, s[12:13]
	s_andn2_b64 s[12:13], s[4:5], exec
	s_and_b64 s[18:19], s[18:19], exec
	s_or_b64 s[12:13], s[12:13], s[18:19]
.LBB5494_134:
	s_or_saveexec_b64 s[16:17], s[16:17]
	s_mov_b64 s[18:19], s[6:7]
                                        ; implicit-def: $vgpr4
	s_xor_b64 exec, exec, s[16:17]
	s_cbranch_execz .LBB5494_144
; %bb.135:
	v_cmp_lt_i64_e32 vcc, 12, v[0:1]
	s_mov_b64 s[20:21], s[6:7]
	s_mov_b64 s[22:23], s[12:13]
                                        ; implicit-def: $vgpr3
                                        ; implicit-def: $vgpr4
	s_and_saveexec_b64 s[18:19], vcc
	s_xor_b64 s[18:19], exec, s[18:19]
	s_cbranch_execz .LBB5494_141
; %bb.136:
	v_cmp_lt_i64_e32 vcc, 13, v[0:1]
	s_mov_b64 s[20:21], s[12:13]
                                        ; implicit-def: $vgpr3
	s_and_saveexec_b64 s[22:23], vcc
	s_xor_b64 s[22:23], exec, s[22:23]
	s_cbranch_execz .LBB5494_138
; %bb.137:
	s_waitcnt lgkmcnt(0)
	ds_read_u16 v3, v2 offset:1792
	s_or_b64 s[20:21], s[12:13], exec
.LBB5494_138:
	s_or_saveexec_b64 s[22:23], s[22:23]
	s_mov_b64 s[24:25], s[6:7]
                                        ; implicit-def: $vgpr4
	s_xor_b64 exec, exec, s[22:23]
	s_cbranch_execz .LBB5494_140
; %bb.139:
	s_waitcnt lgkmcnt(0)
	ds_read_u16 v4, v2 offset:1664
	s_or_b64 s[24:25], s[6:7], exec
                                        ; implicit-def: $vgpr3
.LBB5494_140:
	s_or_b64 exec, exec, s[22:23]
	s_andn2_b64 s[22:23], s[12:13], exec
	s_and_b64 s[20:21], s[20:21], exec
	s_or_b64 s[22:23], s[22:23], s[20:21]
	s_andn2_b64 s[20:21], s[6:7], exec
	s_and_b64 s[24:25], s[24:25], exec
	s_or_b64 s[20:21], s[20:21], s[24:25]
.LBB5494_141:
	s_andn2_saveexec_b64 s[18:19], s[18:19]
	s_cbranch_execz .LBB5494_143
; %bb.142:
	s_waitcnt lgkmcnt(0)
	ds_read_u16 v4, v2 offset:1536
	s_or_b64 s[20:21], s[20:21], exec
                                        ; implicit-def: $vgpr3
.LBB5494_143:
	s_or_b64 exec, exec, s[18:19]
	s_andn2_b64 s[12:13], s[12:13], exec
	s_and_b64 s[18:19], s[22:23], exec
	s_or_b64 s[12:13], s[12:13], s[18:19]
	s_andn2_b64 s[18:19], s[6:7], exec
	s_and_b64 s[20:21], s[20:21], exec
	s_or_b64 s[18:19], s[18:19], s[20:21]
.LBB5494_144:
	s_or_b64 exec, exec, s[16:17]
	s_andn2_b64 s[4:5], s[4:5], exec
	s_and_b64 s[12:13], s[12:13], exec
	s_or_b64 s[4:5], s[4:5], s[12:13]
	s_andn2_b64 s[6:7], s[6:7], exec
	s_and_b64 s[12:13], s[18:19], exec
	s_or_b64 s[6:7], s[6:7], s[12:13]
                                        ; implicit-def: $vgpr5
.LBB5494_145:
	s_or_b64 exec, exec, s[10:11]
	s_and_b64 s[4:5], s[4:5], exec
	s_and_b64 s[6:7], s[6:7], exec
	;; [unrolled: 1-line block ×3, first 2 shown]
	s_andn2_saveexec_b64 s[2:3], s[2:3]
	s_cbranch_execz .LBB5494_96
.LBB5494_146:
	v_cmp_lt_i64_e32 vcc, 5, v[0:1]
	s_mov_b64 s[12:13], -1
	s_mov_b64 s[10:11], s[8:9]
	s_mov_b64 s[16:17], s[6:7]
	;; [unrolled: 1-line block ×3, first 2 shown]
                                        ; implicit-def: $vgpr3
                                        ; implicit-def: $vgpr4
                                        ; implicit-def: $vgpr5
	s_and_saveexec_b64 s[0:1], vcc
	s_cbranch_execz .LBB5494_162
; %bb.147:
	v_cmp_lt_i64_e32 vcc, 8, v[0:1]
	s_mov_b64 s[10:11], s[8:9]
                                        ; implicit-def: $vgpr5
	s_and_saveexec_b64 s[12:13], vcc
	s_xor_b64 s[12:13], exec, s[12:13]
	s_cbranch_execz .LBB5494_157
; %bb.148:
	v_cmp_lt_i64_e32 vcc, 9, v[0:1]
                                        ; implicit-def: $vgpr5
	s_and_saveexec_b64 s[10:11], vcc
	s_xor_b64 s[10:11], exec, s[10:11]
	s_cbranch_execz .LBB5494_154
; %bb.149:
	v_cmp_lt_i64_e32 vcc, 10, v[0:1]
                                        ; implicit-def: $vgpr5
	s_and_saveexec_b64 s[16:17], vcc
	s_xor_b64 s[16:17], exec, s[16:17]
	s_cbranch_execz .LBB5494_151
; %bb.150:
	s_waitcnt lgkmcnt(0)
	ds_read_u16 v5, v2 offset:1408
.LBB5494_151:
	s_andn2_saveexec_b64 s[16:17], s[16:17]
	s_cbranch_execz .LBB5494_153
; %bb.152:
	s_waitcnt lgkmcnt(0)
	ds_read_u16 v5, v2 offset:1280
.LBB5494_153:
	s_or_b64 exec, exec, s[16:17]
.LBB5494_154:
	s_andn2_saveexec_b64 s[10:11], s[10:11]
	s_cbranch_execz .LBB5494_156
; %bb.155:
	s_waitcnt lgkmcnt(0)
	ds_read_u16 v5, v2 offset:1152
.LBB5494_156:
	s_or_b64 exec, exec, s[10:11]
	s_or_b64 s[10:11], s[8:9], exec
.LBB5494_157:
	s_or_saveexec_b64 s[12:13], s[12:13]
	s_mov_b64 s[16:17], s[6:7]
	s_mov_b64 s[20:21], s[4:5]
                                        ; implicit-def: $vgpr3
                                        ; implicit-def: $vgpr4
	s_xor_b64 exec, exec, s[12:13]
	s_cbranch_execz .LBB5494_161
; %bb.158:
	s_waitcnt lgkmcnt(0)
	ds_read_u16 v3, v2 offset:768
	v_cmp_lt_i64_e32 vcc, 6, v[0:1]
	s_mov_b64 s[20:21], -1
	s_mov_b64 s[18:19], s[10:11]
	s_mov_b64 s[16:17], s[6:7]
                                        ; implicit-def: $vgpr4
                                        ; implicit-def: $vgpr5
	s_and_saveexec_b64 s[22:23], vcc
	s_cbranch_execz .LBB5494_160
; %bb.159:
	ds_read_u16 v4, v2 offset:896
	ds_read_u16 v5, v2 offset:1024
	v_cmp_lt_i64_e32 vcc, 7, v[0:1]
	s_andn2_b64 s[18:19], s[10:11], exec
	s_and_b64 s[24:25], vcc, exec
	s_xor_b64 s[20:21], exec, -1
	s_or_b64 s[16:17], s[6:7], exec
	s_or_b64 s[18:19], s[18:19], s[24:25]
                                        ; implicit-def: $vgpr3
.LBB5494_160:
	s_or_b64 exec, exec, s[22:23]
	s_andn2_b64 s[22:23], s[4:5], exec
	s_and_b64 s[20:21], s[20:21], exec
	s_or_b64 s[20:21], s[22:23], s[20:21]
	s_andn2_b64 s[22:23], s[6:7], exec
	s_and_b64 s[16:17], s[16:17], exec
	s_andn2_b64 s[10:11], s[10:11], exec
	s_and_b64 s[18:19], s[18:19], exec
	s_or_b64 s[16:17], s[22:23], s[16:17]
	s_or_b64 s[10:11], s[10:11], s[18:19]
.LBB5494_161:
	s_or_b64 exec, exec, s[12:13]
	s_andn2_b64 s[18:19], s[4:5], exec
	s_and_b64 s[20:21], s[20:21], exec
	s_or_b64 s[18:19], s[18:19], s[20:21]
	s_andn2_b64 s[20:21], s[6:7], exec
	s_and_b64 s[16:17], s[16:17], exec
	s_or_b64 s[16:17], s[20:21], s[16:17]
	s_andn2_b64 s[20:21], s[8:9], exec
	s_and_b64 s[10:11], s[10:11], exec
	s_xor_b64 s[12:13], exec, -1
	s_or_b64 s[10:11], s[20:21], s[10:11]
.LBB5494_162:
	s_or_b64 exec, exec, s[0:1]
	s_and_b64 s[0:1], s[12:13], exec
	s_andn2_b64 s[4:5], s[4:5], exec
	s_and_b64 s[12:13], s[18:19], exec
	s_or_b64 s[4:5], s[4:5], s[12:13]
	s_andn2_b64 s[6:7], s[6:7], exec
	s_and_b64 s[12:13], s[16:17], exec
	s_andn2_b64 s[8:9], s[8:9], exec
	s_and_b64 s[10:11], s[10:11], exec
	s_or_b64 s[6:7], s[6:7], s[12:13]
	s_or_b64 s[8:9], s[8:9], s[10:11]
	s_or_b64 exec, exec, s[2:3]
	s_and_saveexec_b64 s[2:3], s[8:9]
	s_cbranch_execz .LBB5494_97
.LBB5494_163:
	s_waitcnt lgkmcnt(0)
	v_mov_b32_e32 v3, 0
	s_andn2_b64 s[6:7], s[6:7], exec
	global_store_short v3, v5, s[14:15]
                                        ; implicit-def: $vgpr3
                                        ; implicit-def: $vgpr4
	s_or_b64 exec, exec, s[2:3]
	s_and_saveexec_b64 s[2:3], s[6:7]
	s_cbranch_execz .LBB5494_98
.LBB5494_164:
	s_waitcnt lgkmcnt(0)
	v_mov_b32_e32 v3, 0
	global_store_short v3, v4, s[14:15]
                                        ; implicit-def: $vgpr3
	s_or_b64 exec, exec, s[2:3]
	s_and_saveexec_b64 s[2:3], s[4:5]
	s_xor_b64 s[2:3], exec, s[2:3]
	s_cbranch_execz .LBB5494_99
.LBB5494_165:
	s_waitcnt lgkmcnt(0)
	v_mov_b32_e32 v4, 0
	global_store_short v4, v3, s[14:15]
	s_or_b64 exec, exec, s[2:3]
	s_and_b64 exec, exec, s[0:1]
	s_cbranch_execz .LBB5494_100
.LBB5494_166:
	v_cmp_lt_i64_e32 vcc, 2, v[0:1]
	s_and_saveexec_b64 s[0:1], vcc
	s_xor_b64 s[0:1], exec, s[0:1]
	s_cbranch_execz .LBB5494_176
; %bb.167:
	v_cmp_lt_i64_e32 vcc, 3, v[0:1]
	s_and_saveexec_b64 s[2:3], vcc
	s_xor_b64 s[2:3], exec, s[2:3]
	s_cbranch_execz .LBB5494_173
; %bb.168:
	;; [unrolled: 5-line block ×3, first 2 shown]
	ds_read_u16 v0, v2 offset:640
	v_mov_b32_e32 v1, 0
                                        ; implicit-def: $vgpr2
	s_waitcnt lgkmcnt(0)
	global_store_short v1, v0, s[14:15]
.LBB5494_170:
	s_andn2_saveexec_b64 s[4:5], s[4:5]
	s_cbranch_execz .LBB5494_172
; %bb.171:
	ds_read_u16 v0, v2 offset:512
	v_mov_b32_e32 v1, 0
	s_waitcnt lgkmcnt(0)
	global_store_short v1, v0, s[14:15]
.LBB5494_172:
	s_or_b64 exec, exec, s[4:5]
                                        ; implicit-def: $vgpr2
.LBB5494_173:
	s_andn2_saveexec_b64 s[2:3], s[2:3]
	s_cbranch_execz .LBB5494_175
; %bb.174:
	ds_read_u16 v0, v2 offset:384
	v_mov_b32_e32 v1, 0
	s_waitcnt lgkmcnt(0)
	global_store_short v1, v0, s[14:15]
.LBB5494_175:
	s_or_b64 exec, exec, s[2:3]
                                        ; implicit-def: $vgpr0_vgpr1
                                        ; implicit-def: $vgpr2
.LBB5494_176:
	s_andn2_saveexec_b64 s[0:1], s[0:1]
	s_cbranch_execz .LBB5494_100
; %bb.177:
	v_cmp_lt_i64_e32 vcc, 1, v[0:1]
	s_and_saveexec_b64 s[0:1], vcc
	s_xor_b64 s[0:1], exec, s[0:1]
	s_cbranch_execz .LBB5494_179
; %bb.178:
	ds_read_u16 v0, v2 offset:256
	v_mov_b32_e32 v1, 0
                                        ; implicit-def: $vgpr2
	s_waitcnt lgkmcnt(0)
	global_store_short v1, v0, s[14:15]
                                        ; implicit-def: $vgpr0_vgpr1
.LBB5494_179:
	s_andn2_saveexec_b64 s[0:1], s[0:1]
	s_cbranch_execz .LBB5494_100
; %bb.180:
	v_cmp_ne_u64_e32 vcc, 1, v[0:1]
	s_and_saveexec_b64 s[0:1], vcc
	s_xor_b64 s[0:1], exec, s[0:1]
	s_cbranch_execz .LBB5494_182
; %bb.181:
	ds_read_u16 v0, v2
	v_mov_b32_e32 v1, 0
                                        ; implicit-def: $vgpr2
	s_waitcnt lgkmcnt(0)
	global_store_short v1, v0, s[14:15]
.LBB5494_182:
	s_andn2_saveexec_b64 s[0:1], s[0:1]
	s_cbranch_execz .LBB5494_100
; %bb.183:
	ds_read_u16 v0, v2 offset:128
	v_mov_b32_e32 v1, 0
	s_waitcnt lgkmcnt(0)
	global_store_short v1, v0, s[14:15]
	s_endpgm
	.section	.rodata,"a",@progbits
	.p2align	6, 0x0
	.amdhsa_kernel _ZN7rocprim17ROCPRIM_400000_NS6detail17trampoline_kernelINS0_14default_configENS1_20scan_config_selectorItEEZZNS1_9scan_implILNS1_25lookback_scan_determinismE0ELb0ELb0ES3_N6thrust23THRUST_200600_302600_NS6detail15normal_iteratorINS9_10device_ptrItEEEENS9_16discard_iteratorINS9_11use_defaultEEEtNS9_4plusIvEEtEEDaPvRmT3_T4_T5_mT6_P12ihipStream_tbENKUlT_T0_E_clISt17integral_constantIbLb0EESW_IbLb1EEEEDaSS_ST_EUlSS_E_NS1_11comp_targetILNS1_3genE4ELNS1_11target_archE910ELNS1_3gpuE8ELNS1_3repE0EEENS1_30default_config_static_selectorELNS0_4arch9wavefront6targetE1EEEvT1_
		.amdhsa_group_segment_fixed_size 3072
		.amdhsa_private_segment_fixed_size 0
		.amdhsa_kernarg_size 104
		.amdhsa_user_sgpr_count 6
		.amdhsa_user_sgpr_private_segment_buffer 1
		.amdhsa_user_sgpr_dispatch_ptr 0
		.amdhsa_user_sgpr_queue_ptr 0
		.amdhsa_user_sgpr_kernarg_segment_ptr 1
		.amdhsa_user_sgpr_dispatch_id 0
		.amdhsa_user_sgpr_flat_scratch_init 0
		.amdhsa_user_sgpr_kernarg_preload_length 0
		.amdhsa_user_sgpr_kernarg_preload_offset 0
		.amdhsa_user_sgpr_private_segment_size 0
		.amdhsa_uses_dynamic_stack 0
		.amdhsa_system_sgpr_private_segment_wavefront_offset 0
		.amdhsa_system_sgpr_workgroup_id_x 1
		.amdhsa_system_sgpr_workgroup_id_y 0
		.amdhsa_system_sgpr_workgroup_id_z 0
		.amdhsa_system_sgpr_workgroup_info 0
		.amdhsa_system_vgpr_workitem_id 0
		.amdhsa_next_free_vgpr 43
		.amdhsa_next_free_sgpr 30
		.amdhsa_accum_offset 44
		.amdhsa_reserve_vcc 1
		.amdhsa_reserve_flat_scratch 0
		.amdhsa_float_round_mode_32 0
		.amdhsa_float_round_mode_16_64 0
		.amdhsa_float_denorm_mode_32 3
		.amdhsa_float_denorm_mode_16_64 3
		.amdhsa_dx10_clamp 1
		.amdhsa_ieee_mode 1
		.amdhsa_fp16_overflow 0
		.amdhsa_tg_split 0
		.amdhsa_exception_fp_ieee_invalid_op 0
		.amdhsa_exception_fp_denorm_src 0
		.amdhsa_exception_fp_ieee_div_zero 0
		.amdhsa_exception_fp_ieee_overflow 0
		.amdhsa_exception_fp_ieee_underflow 0
		.amdhsa_exception_fp_ieee_inexact 0
		.amdhsa_exception_int_div_zero 0
	.end_amdhsa_kernel
	.section	.text._ZN7rocprim17ROCPRIM_400000_NS6detail17trampoline_kernelINS0_14default_configENS1_20scan_config_selectorItEEZZNS1_9scan_implILNS1_25lookback_scan_determinismE0ELb0ELb0ES3_N6thrust23THRUST_200600_302600_NS6detail15normal_iteratorINS9_10device_ptrItEEEENS9_16discard_iteratorINS9_11use_defaultEEEtNS9_4plusIvEEtEEDaPvRmT3_T4_T5_mT6_P12ihipStream_tbENKUlT_T0_E_clISt17integral_constantIbLb0EESW_IbLb1EEEEDaSS_ST_EUlSS_E_NS1_11comp_targetILNS1_3genE4ELNS1_11target_archE910ELNS1_3gpuE8ELNS1_3repE0EEENS1_30default_config_static_selectorELNS0_4arch9wavefront6targetE1EEEvT1_,"axG",@progbits,_ZN7rocprim17ROCPRIM_400000_NS6detail17trampoline_kernelINS0_14default_configENS1_20scan_config_selectorItEEZZNS1_9scan_implILNS1_25lookback_scan_determinismE0ELb0ELb0ES3_N6thrust23THRUST_200600_302600_NS6detail15normal_iteratorINS9_10device_ptrItEEEENS9_16discard_iteratorINS9_11use_defaultEEEtNS9_4plusIvEEtEEDaPvRmT3_T4_T5_mT6_P12ihipStream_tbENKUlT_T0_E_clISt17integral_constantIbLb0EESW_IbLb1EEEEDaSS_ST_EUlSS_E_NS1_11comp_targetILNS1_3genE4ELNS1_11target_archE910ELNS1_3gpuE8ELNS1_3repE0EEENS1_30default_config_static_selectorELNS0_4arch9wavefront6targetE1EEEvT1_,comdat
.Lfunc_end5494:
	.size	_ZN7rocprim17ROCPRIM_400000_NS6detail17trampoline_kernelINS0_14default_configENS1_20scan_config_selectorItEEZZNS1_9scan_implILNS1_25lookback_scan_determinismE0ELb0ELb0ES3_N6thrust23THRUST_200600_302600_NS6detail15normal_iteratorINS9_10device_ptrItEEEENS9_16discard_iteratorINS9_11use_defaultEEEtNS9_4plusIvEEtEEDaPvRmT3_T4_T5_mT6_P12ihipStream_tbENKUlT_T0_E_clISt17integral_constantIbLb0EESW_IbLb1EEEEDaSS_ST_EUlSS_E_NS1_11comp_targetILNS1_3genE4ELNS1_11target_archE910ELNS1_3gpuE8ELNS1_3repE0EEENS1_30default_config_static_selectorELNS0_4arch9wavefront6targetE1EEEvT1_, .Lfunc_end5494-_ZN7rocprim17ROCPRIM_400000_NS6detail17trampoline_kernelINS0_14default_configENS1_20scan_config_selectorItEEZZNS1_9scan_implILNS1_25lookback_scan_determinismE0ELb0ELb0ES3_N6thrust23THRUST_200600_302600_NS6detail15normal_iteratorINS9_10device_ptrItEEEENS9_16discard_iteratorINS9_11use_defaultEEEtNS9_4plusIvEEtEEDaPvRmT3_T4_T5_mT6_P12ihipStream_tbENKUlT_T0_E_clISt17integral_constantIbLb0EESW_IbLb1EEEEDaSS_ST_EUlSS_E_NS1_11comp_targetILNS1_3genE4ELNS1_11target_archE910ELNS1_3gpuE8ELNS1_3repE0EEENS1_30default_config_static_selectorELNS0_4arch9wavefront6targetE1EEEvT1_
                                        ; -- End function
	.section	.AMDGPU.csdata,"",@progbits
; Kernel info:
; codeLenInByte = 6588
; NumSgprs: 34
; NumVgprs: 43
; NumAgprs: 0
; TotalNumVgprs: 43
; ScratchSize: 0
; MemoryBound: 0
; FloatMode: 240
; IeeeMode: 1
; LDSByteSize: 3072 bytes/workgroup (compile time only)
; SGPRBlocks: 4
; VGPRBlocks: 5
; NumSGPRsForWavesPerEU: 34
; NumVGPRsForWavesPerEU: 43
; AccumOffset: 44
; Occupancy: 6
; WaveLimiterHint : 1
; COMPUTE_PGM_RSRC2:SCRATCH_EN: 0
; COMPUTE_PGM_RSRC2:USER_SGPR: 6
; COMPUTE_PGM_RSRC2:TRAP_HANDLER: 0
; COMPUTE_PGM_RSRC2:TGID_X_EN: 1
; COMPUTE_PGM_RSRC2:TGID_Y_EN: 0
; COMPUTE_PGM_RSRC2:TGID_Z_EN: 0
; COMPUTE_PGM_RSRC2:TIDIG_COMP_CNT: 0
; COMPUTE_PGM_RSRC3_GFX90A:ACCUM_OFFSET: 10
; COMPUTE_PGM_RSRC3_GFX90A:TG_SPLIT: 0
	.section	.text._ZN7rocprim17ROCPRIM_400000_NS6detail17trampoline_kernelINS0_14default_configENS1_20scan_config_selectorItEEZZNS1_9scan_implILNS1_25lookback_scan_determinismE0ELb0ELb0ES3_N6thrust23THRUST_200600_302600_NS6detail15normal_iteratorINS9_10device_ptrItEEEENS9_16discard_iteratorINS9_11use_defaultEEEtNS9_4plusIvEEtEEDaPvRmT3_T4_T5_mT6_P12ihipStream_tbENKUlT_T0_E_clISt17integral_constantIbLb0EESW_IbLb1EEEEDaSS_ST_EUlSS_E_NS1_11comp_targetILNS1_3genE3ELNS1_11target_archE908ELNS1_3gpuE7ELNS1_3repE0EEENS1_30default_config_static_selectorELNS0_4arch9wavefront6targetE1EEEvT1_,"axG",@progbits,_ZN7rocprim17ROCPRIM_400000_NS6detail17trampoline_kernelINS0_14default_configENS1_20scan_config_selectorItEEZZNS1_9scan_implILNS1_25lookback_scan_determinismE0ELb0ELb0ES3_N6thrust23THRUST_200600_302600_NS6detail15normal_iteratorINS9_10device_ptrItEEEENS9_16discard_iteratorINS9_11use_defaultEEEtNS9_4plusIvEEtEEDaPvRmT3_T4_T5_mT6_P12ihipStream_tbENKUlT_T0_E_clISt17integral_constantIbLb0EESW_IbLb1EEEEDaSS_ST_EUlSS_E_NS1_11comp_targetILNS1_3genE3ELNS1_11target_archE908ELNS1_3gpuE7ELNS1_3repE0EEENS1_30default_config_static_selectorELNS0_4arch9wavefront6targetE1EEEvT1_,comdat
	.protected	_ZN7rocprim17ROCPRIM_400000_NS6detail17trampoline_kernelINS0_14default_configENS1_20scan_config_selectorItEEZZNS1_9scan_implILNS1_25lookback_scan_determinismE0ELb0ELb0ES3_N6thrust23THRUST_200600_302600_NS6detail15normal_iteratorINS9_10device_ptrItEEEENS9_16discard_iteratorINS9_11use_defaultEEEtNS9_4plusIvEEtEEDaPvRmT3_T4_T5_mT6_P12ihipStream_tbENKUlT_T0_E_clISt17integral_constantIbLb0EESW_IbLb1EEEEDaSS_ST_EUlSS_E_NS1_11comp_targetILNS1_3genE3ELNS1_11target_archE908ELNS1_3gpuE7ELNS1_3repE0EEENS1_30default_config_static_selectorELNS0_4arch9wavefront6targetE1EEEvT1_ ; -- Begin function _ZN7rocprim17ROCPRIM_400000_NS6detail17trampoline_kernelINS0_14default_configENS1_20scan_config_selectorItEEZZNS1_9scan_implILNS1_25lookback_scan_determinismE0ELb0ELb0ES3_N6thrust23THRUST_200600_302600_NS6detail15normal_iteratorINS9_10device_ptrItEEEENS9_16discard_iteratorINS9_11use_defaultEEEtNS9_4plusIvEEtEEDaPvRmT3_T4_T5_mT6_P12ihipStream_tbENKUlT_T0_E_clISt17integral_constantIbLb0EESW_IbLb1EEEEDaSS_ST_EUlSS_E_NS1_11comp_targetILNS1_3genE3ELNS1_11target_archE908ELNS1_3gpuE7ELNS1_3repE0EEENS1_30default_config_static_selectorELNS0_4arch9wavefront6targetE1EEEvT1_
	.globl	_ZN7rocprim17ROCPRIM_400000_NS6detail17trampoline_kernelINS0_14default_configENS1_20scan_config_selectorItEEZZNS1_9scan_implILNS1_25lookback_scan_determinismE0ELb0ELb0ES3_N6thrust23THRUST_200600_302600_NS6detail15normal_iteratorINS9_10device_ptrItEEEENS9_16discard_iteratorINS9_11use_defaultEEEtNS9_4plusIvEEtEEDaPvRmT3_T4_T5_mT6_P12ihipStream_tbENKUlT_T0_E_clISt17integral_constantIbLb0EESW_IbLb1EEEEDaSS_ST_EUlSS_E_NS1_11comp_targetILNS1_3genE3ELNS1_11target_archE908ELNS1_3gpuE7ELNS1_3repE0EEENS1_30default_config_static_selectorELNS0_4arch9wavefront6targetE1EEEvT1_
	.p2align	8
	.type	_ZN7rocprim17ROCPRIM_400000_NS6detail17trampoline_kernelINS0_14default_configENS1_20scan_config_selectorItEEZZNS1_9scan_implILNS1_25lookback_scan_determinismE0ELb0ELb0ES3_N6thrust23THRUST_200600_302600_NS6detail15normal_iteratorINS9_10device_ptrItEEEENS9_16discard_iteratorINS9_11use_defaultEEEtNS9_4plusIvEEtEEDaPvRmT3_T4_T5_mT6_P12ihipStream_tbENKUlT_T0_E_clISt17integral_constantIbLb0EESW_IbLb1EEEEDaSS_ST_EUlSS_E_NS1_11comp_targetILNS1_3genE3ELNS1_11target_archE908ELNS1_3gpuE7ELNS1_3repE0EEENS1_30default_config_static_selectorELNS0_4arch9wavefront6targetE1EEEvT1_,@function
_ZN7rocprim17ROCPRIM_400000_NS6detail17trampoline_kernelINS0_14default_configENS1_20scan_config_selectorItEEZZNS1_9scan_implILNS1_25lookback_scan_determinismE0ELb0ELb0ES3_N6thrust23THRUST_200600_302600_NS6detail15normal_iteratorINS9_10device_ptrItEEEENS9_16discard_iteratorINS9_11use_defaultEEEtNS9_4plusIvEEtEEDaPvRmT3_T4_T5_mT6_P12ihipStream_tbENKUlT_T0_E_clISt17integral_constantIbLb0EESW_IbLb1EEEEDaSS_ST_EUlSS_E_NS1_11comp_targetILNS1_3genE3ELNS1_11target_archE908ELNS1_3gpuE7ELNS1_3repE0EEENS1_30default_config_static_selectorELNS0_4arch9wavefront6targetE1EEEvT1_: ; @_ZN7rocprim17ROCPRIM_400000_NS6detail17trampoline_kernelINS0_14default_configENS1_20scan_config_selectorItEEZZNS1_9scan_implILNS1_25lookback_scan_determinismE0ELb0ELb0ES3_N6thrust23THRUST_200600_302600_NS6detail15normal_iteratorINS9_10device_ptrItEEEENS9_16discard_iteratorINS9_11use_defaultEEEtNS9_4plusIvEEtEEDaPvRmT3_T4_T5_mT6_P12ihipStream_tbENKUlT_T0_E_clISt17integral_constantIbLb0EESW_IbLb1EEEEDaSS_ST_EUlSS_E_NS1_11comp_targetILNS1_3genE3ELNS1_11target_archE908ELNS1_3gpuE7ELNS1_3repE0EEENS1_30default_config_static_selectorELNS0_4arch9wavefront6targetE1EEEvT1_
; %bb.0:
	.section	.rodata,"a",@progbits
	.p2align	6, 0x0
	.amdhsa_kernel _ZN7rocprim17ROCPRIM_400000_NS6detail17trampoline_kernelINS0_14default_configENS1_20scan_config_selectorItEEZZNS1_9scan_implILNS1_25lookback_scan_determinismE0ELb0ELb0ES3_N6thrust23THRUST_200600_302600_NS6detail15normal_iteratorINS9_10device_ptrItEEEENS9_16discard_iteratorINS9_11use_defaultEEEtNS9_4plusIvEEtEEDaPvRmT3_T4_T5_mT6_P12ihipStream_tbENKUlT_T0_E_clISt17integral_constantIbLb0EESW_IbLb1EEEEDaSS_ST_EUlSS_E_NS1_11comp_targetILNS1_3genE3ELNS1_11target_archE908ELNS1_3gpuE7ELNS1_3repE0EEENS1_30default_config_static_selectorELNS0_4arch9wavefront6targetE1EEEvT1_
		.amdhsa_group_segment_fixed_size 0
		.amdhsa_private_segment_fixed_size 0
		.amdhsa_kernarg_size 104
		.amdhsa_user_sgpr_count 6
		.amdhsa_user_sgpr_private_segment_buffer 1
		.amdhsa_user_sgpr_dispatch_ptr 0
		.amdhsa_user_sgpr_queue_ptr 0
		.amdhsa_user_sgpr_kernarg_segment_ptr 1
		.amdhsa_user_sgpr_dispatch_id 0
		.amdhsa_user_sgpr_flat_scratch_init 0
		.amdhsa_user_sgpr_kernarg_preload_length 0
		.amdhsa_user_sgpr_kernarg_preload_offset 0
		.amdhsa_user_sgpr_private_segment_size 0
		.amdhsa_uses_dynamic_stack 0
		.amdhsa_system_sgpr_private_segment_wavefront_offset 0
		.amdhsa_system_sgpr_workgroup_id_x 1
		.amdhsa_system_sgpr_workgroup_id_y 0
		.amdhsa_system_sgpr_workgroup_id_z 0
		.amdhsa_system_sgpr_workgroup_info 0
		.amdhsa_system_vgpr_workitem_id 0
		.amdhsa_next_free_vgpr 1
		.amdhsa_next_free_sgpr 0
		.amdhsa_accum_offset 4
		.amdhsa_reserve_vcc 0
		.amdhsa_reserve_flat_scratch 0
		.amdhsa_float_round_mode_32 0
		.amdhsa_float_round_mode_16_64 0
		.amdhsa_float_denorm_mode_32 3
		.amdhsa_float_denorm_mode_16_64 3
		.amdhsa_dx10_clamp 1
		.amdhsa_ieee_mode 1
		.amdhsa_fp16_overflow 0
		.amdhsa_tg_split 0
		.amdhsa_exception_fp_ieee_invalid_op 0
		.amdhsa_exception_fp_denorm_src 0
		.amdhsa_exception_fp_ieee_div_zero 0
		.amdhsa_exception_fp_ieee_overflow 0
		.amdhsa_exception_fp_ieee_underflow 0
		.amdhsa_exception_fp_ieee_inexact 0
		.amdhsa_exception_int_div_zero 0
	.end_amdhsa_kernel
	.section	.text._ZN7rocprim17ROCPRIM_400000_NS6detail17trampoline_kernelINS0_14default_configENS1_20scan_config_selectorItEEZZNS1_9scan_implILNS1_25lookback_scan_determinismE0ELb0ELb0ES3_N6thrust23THRUST_200600_302600_NS6detail15normal_iteratorINS9_10device_ptrItEEEENS9_16discard_iteratorINS9_11use_defaultEEEtNS9_4plusIvEEtEEDaPvRmT3_T4_T5_mT6_P12ihipStream_tbENKUlT_T0_E_clISt17integral_constantIbLb0EESW_IbLb1EEEEDaSS_ST_EUlSS_E_NS1_11comp_targetILNS1_3genE3ELNS1_11target_archE908ELNS1_3gpuE7ELNS1_3repE0EEENS1_30default_config_static_selectorELNS0_4arch9wavefront6targetE1EEEvT1_,"axG",@progbits,_ZN7rocprim17ROCPRIM_400000_NS6detail17trampoline_kernelINS0_14default_configENS1_20scan_config_selectorItEEZZNS1_9scan_implILNS1_25lookback_scan_determinismE0ELb0ELb0ES3_N6thrust23THRUST_200600_302600_NS6detail15normal_iteratorINS9_10device_ptrItEEEENS9_16discard_iteratorINS9_11use_defaultEEEtNS9_4plusIvEEtEEDaPvRmT3_T4_T5_mT6_P12ihipStream_tbENKUlT_T0_E_clISt17integral_constantIbLb0EESW_IbLb1EEEEDaSS_ST_EUlSS_E_NS1_11comp_targetILNS1_3genE3ELNS1_11target_archE908ELNS1_3gpuE7ELNS1_3repE0EEENS1_30default_config_static_selectorELNS0_4arch9wavefront6targetE1EEEvT1_,comdat
.Lfunc_end5495:
	.size	_ZN7rocprim17ROCPRIM_400000_NS6detail17trampoline_kernelINS0_14default_configENS1_20scan_config_selectorItEEZZNS1_9scan_implILNS1_25lookback_scan_determinismE0ELb0ELb0ES3_N6thrust23THRUST_200600_302600_NS6detail15normal_iteratorINS9_10device_ptrItEEEENS9_16discard_iteratorINS9_11use_defaultEEEtNS9_4plusIvEEtEEDaPvRmT3_T4_T5_mT6_P12ihipStream_tbENKUlT_T0_E_clISt17integral_constantIbLb0EESW_IbLb1EEEEDaSS_ST_EUlSS_E_NS1_11comp_targetILNS1_3genE3ELNS1_11target_archE908ELNS1_3gpuE7ELNS1_3repE0EEENS1_30default_config_static_selectorELNS0_4arch9wavefront6targetE1EEEvT1_, .Lfunc_end5495-_ZN7rocprim17ROCPRIM_400000_NS6detail17trampoline_kernelINS0_14default_configENS1_20scan_config_selectorItEEZZNS1_9scan_implILNS1_25lookback_scan_determinismE0ELb0ELb0ES3_N6thrust23THRUST_200600_302600_NS6detail15normal_iteratorINS9_10device_ptrItEEEENS9_16discard_iteratorINS9_11use_defaultEEEtNS9_4plusIvEEtEEDaPvRmT3_T4_T5_mT6_P12ihipStream_tbENKUlT_T0_E_clISt17integral_constantIbLb0EESW_IbLb1EEEEDaSS_ST_EUlSS_E_NS1_11comp_targetILNS1_3genE3ELNS1_11target_archE908ELNS1_3gpuE7ELNS1_3repE0EEENS1_30default_config_static_selectorELNS0_4arch9wavefront6targetE1EEEvT1_
                                        ; -- End function
	.section	.AMDGPU.csdata,"",@progbits
; Kernel info:
; codeLenInByte = 0
; NumSgprs: 4
; NumVgprs: 0
; NumAgprs: 0
; TotalNumVgprs: 0
; ScratchSize: 0
; MemoryBound: 0
; FloatMode: 240
; IeeeMode: 1
; LDSByteSize: 0 bytes/workgroup (compile time only)
; SGPRBlocks: 0
; VGPRBlocks: 0
; NumSGPRsForWavesPerEU: 4
; NumVGPRsForWavesPerEU: 1
; AccumOffset: 4
; Occupancy: 8
; WaveLimiterHint : 0
; COMPUTE_PGM_RSRC2:SCRATCH_EN: 0
; COMPUTE_PGM_RSRC2:USER_SGPR: 6
; COMPUTE_PGM_RSRC2:TRAP_HANDLER: 0
; COMPUTE_PGM_RSRC2:TGID_X_EN: 1
; COMPUTE_PGM_RSRC2:TGID_Y_EN: 0
; COMPUTE_PGM_RSRC2:TGID_Z_EN: 0
; COMPUTE_PGM_RSRC2:TIDIG_COMP_CNT: 0
; COMPUTE_PGM_RSRC3_GFX90A:ACCUM_OFFSET: 0
; COMPUTE_PGM_RSRC3_GFX90A:TG_SPLIT: 0
	.section	.text._ZN7rocprim17ROCPRIM_400000_NS6detail17trampoline_kernelINS0_14default_configENS1_20scan_config_selectorItEEZZNS1_9scan_implILNS1_25lookback_scan_determinismE0ELb0ELb0ES3_N6thrust23THRUST_200600_302600_NS6detail15normal_iteratorINS9_10device_ptrItEEEENS9_16discard_iteratorINS9_11use_defaultEEEtNS9_4plusIvEEtEEDaPvRmT3_T4_T5_mT6_P12ihipStream_tbENKUlT_T0_E_clISt17integral_constantIbLb0EESW_IbLb1EEEEDaSS_ST_EUlSS_E_NS1_11comp_targetILNS1_3genE2ELNS1_11target_archE906ELNS1_3gpuE6ELNS1_3repE0EEENS1_30default_config_static_selectorELNS0_4arch9wavefront6targetE1EEEvT1_,"axG",@progbits,_ZN7rocprim17ROCPRIM_400000_NS6detail17trampoline_kernelINS0_14default_configENS1_20scan_config_selectorItEEZZNS1_9scan_implILNS1_25lookback_scan_determinismE0ELb0ELb0ES3_N6thrust23THRUST_200600_302600_NS6detail15normal_iteratorINS9_10device_ptrItEEEENS9_16discard_iteratorINS9_11use_defaultEEEtNS9_4plusIvEEtEEDaPvRmT3_T4_T5_mT6_P12ihipStream_tbENKUlT_T0_E_clISt17integral_constantIbLb0EESW_IbLb1EEEEDaSS_ST_EUlSS_E_NS1_11comp_targetILNS1_3genE2ELNS1_11target_archE906ELNS1_3gpuE6ELNS1_3repE0EEENS1_30default_config_static_selectorELNS0_4arch9wavefront6targetE1EEEvT1_,comdat
	.protected	_ZN7rocprim17ROCPRIM_400000_NS6detail17trampoline_kernelINS0_14default_configENS1_20scan_config_selectorItEEZZNS1_9scan_implILNS1_25lookback_scan_determinismE0ELb0ELb0ES3_N6thrust23THRUST_200600_302600_NS6detail15normal_iteratorINS9_10device_ptrItEEEENS9_16discard_iteratorINS9_11use_defaultEEEtNS9_4plusIvEEtEEDaPvRmT3_T4_T5_mT6_P12ihipStream_tbENKUlT_T0_E_clISt17integral_constantIbLb0EESW_IbLb1EEEEDaSS_ST_EUlSS_E_NS1_11comp_targetILNS1_3genE2ELNS1_11target_archE906ELNS1_3gpuE6ELNS1_3repE0EEENS1_30default_config_static_selectorELNS0_4arch9wavefront6targetE1EEEvT1_ ; -- Begin function _ZN7rocprim17ROCPRIM_400000_NS6detail17trampoline_kernelINS0_14default_configENS1_20scan_config_selectorItEEZZNS1_9scan_implILNS1_25lookback_scan_determinismE0ELb0ELb0ES3_N6thrust23THRUST_200600_302600_NS6detail15normal_iteratorINS9_10device_ptrItEEEENS9_16discard_iteratorINS9_11use_defaultEEEtNS9_4plusIvEEtEEDaPvRmT3_T4_T5_mT6_P12ihipStream_tbENKUlT_T0_E_clISt17integral_constantIbLb0EESW_IbLb1EEEEDaSS_ST_EUlSS_E_NS1_11comp_targetILNS1_3genE2ELNS1_11target_archE906ELNS1_3gpuE6ELNS1_3repE0EEENS1_30default_config_static_selectorELNS0_4arch9wavefront6targetE1EEEvT1_
	.globl	_ZN7rocprim17ROCPRIM_400000_NS6detail17trampoline_kernelINS0_14default_configENS1_20scan_config_selectorItEEZZNS1_9scan_implILNS1_25lookback_scan_determinismE0ELb0ELb0ES3_N6thrust23THRUST_200600_302600_NS6detail15normal_iteratorINS9_10device_ptrItEEEENS9_16discard_iteratorINS9_11use_defaultEEEtNS9_4plusIvEEtEEDaPvRmT3_T4_T5_mT6_P12ihipStream_tbENKUlT_T0_E_clISt17integral_constantIbLb0EESW_IbLb1EEEEDaSS_ST_EUlSS_E_NS1_11comp_targetILNS1_3genE2ELNS1_11target_archE906ELNS1_3gpuE6ELNS1_3repE0EEENS1_30default_config_static_selectorELNS0_4arch9wavefront6targetE1EEEvT1_
	.p2align	8
	.type	_ZN7rocprim17ROCPRIM_400000_NS6detail17trampoline_kernelINS0_14default_configENS1_20scan_config_selectorItEEZZNS1_9scan_implILNS1_25lookback_scan_determinismE0ELb0ELb0ES3_N6thrust23THRUST_200600_302600_NS6detail15normal_iteratorINS9_10device_ptrItEEEENS9_16discard_iteratorINS9_11use_defaultEEEtNS9_4plusIvEEtEEDaPvRmT3_T4_T5_mT6_P12ihipStream_tbENKUlT_T0_E_clISt17integral_constantIbLb0EESW_IbLb1EEEEDaSS_ST_EUlSS_E_NS1_11comp_targetILNS1_3genE2ELNS1_11target_archE906ELNS1_3gpuE6ELNS1_3repE0EEENS1_30default_config_static_selectorELNS0_4arch9wavefront6targetE1EEEvT1_,@function
_ZN7rocprim17ROCPRIM_400000_NS6detail17trampoline_kernelINS0_14default_configENS1_20scan_config_selectorItEEZZNS1_9scan_implILNS1_25lookback_scan_determinismE0ELb0ELb0ES3_N6thrust23THRUST_200600_302600_NS6detail15normal_iteratorINS9_10device_ptrItEEEENS9_16discard_iteratorINS9_11use_defaultEEEtNS9_4plusIvEEtEEDaPvRmT3_T4_T5_mT6_P12ihipStream_tbENKUlT_T0_E_clISt17integral_constantIbLb0EESW_IbLb1EEEEDaSS_ST_EUlSS_E_NS1_11comp_targetILNS1_3genE2ELNS1_11target_archE906ELNS1_3gpuE6ELNS1_3repE0EEENS1_30default_config_static_selectorELNS0_4arch9wavefront6targetE1EEEvT1_: ; @_ZN7rocprim17ROCPRIM_400000_NS6detail17trampoline_kernelINS0_14default_configENS1_20scan_config_selectorItEEZZNS1_9scan_implILNS1_25lookback_scan_determinismE0ELb0ELb0ES3_N6thrust23THRUST_200600_302600_NS6detail15normal_iteratorINS9_10device_ptrItEEEENS9_16discard_iteratorINS9_11use_defaultEEEtNS9_4plusIvEEtEEDaPvRmT3_T4_T5_mT6_P12ihipStream_tbENKUlT_T0_E_clISt17integral_constantIbLb0EESW_IbLb1EEEEDaSS_ST_EUlSS_E_NS1_11comp_targetILNS1_3genE2ELNS1_11target_archE906ELNS1_3gpuE6ELNS1_3repE0EEENS1_30default_config_static_selectorELNS0_4arch9wavefront6targetE1EEEvT1_
; %bb.0:
	.section	.rodata,"a",@progbits
	.p2align	6, 0x0
	.amdhsa_kernel _ZN7rocprim17ROCPRIM_400000_NS6detail17trampoline_kernelINS0_14default_configENS1_20scan_config_selectorItEEZZNS1_9scan_implILNS1_25lookback_scan_determinismE0ELb0ELb0ES3_N6thrust23THRUST_200600_302600_NS6detail15normal_iteratorINS9_10device_ptrItEEEENS9_16discard_iteratorINS9_11use_defaultEEEtNS9_4plusIvEEtEEDaPvRmT3_T4_T5_mT6_P12ihipStream_tbENKUlT_T0_E_clISt17integral_constantIbLb0EESW_IbLb1EEEEDaSS_ST_EUlSS_E_NS1_11comp_targetILNS1_3genE2ELNS1_11target_archE906ELNS1_3gpuE6ELNS1_3repE0EEENS1_30default_config_static_selectorELNS0_4arch9wavefront6targetE1EEEvT1_
		.amdhsa_group_segment_fixed_size 0
		.amdhsa_private_segment_fixed_size 0
		.amdhsa_kernarg_size 104
		.amdhsa_user_sgpr_count 6
		.amdhsa_user_sgpr_private_segment_buffer 1
		.amdhsa_user_sgpr_dispatch_ptr 0
		.amdhsa_user_sgpr_queue_ptr 0
		.amdhsa_user_sgpr_kernarg_segment_ptr 1
		.amdhsa_user_sgpr_dispatch_id 0
		.amdhsa_user_sgpr_flat_scratch_init 0
		.amdhsa_user_sgpr_kernarg_preload_length 0
		.amdhsa_user_sgpr_kernarg_preload_offset 0
		.amdhsa_user_sgpr_private_segment_size 0
		.amdhsa_uses_dynamic_stack 0
		.amdhsa_system_sgpr_private_segment_wavefront_offset 0
		.amdhsa_system_sgpr_workgroup_id_x 1
		.amdhsa_system_sgpr_workgroup_id_y 0
		.amdhsa_system_sgpr_workgroup_id_z 0
		.amdhsa_system_sgpr_workgroup_info 0
		.amdhsa_system_vgpr_workitem_id 0
		.amdhsa_next_free_vgpr 1
		.amdhsa_next_free_sgpr 0
		.amdhsa_accum_offset 4
		.amdhsa_reserve_vcc 0
		.amdhsa_reserve_flat_scratch 0
		.amdhsa_float_round_mode_32 0
		.amdhsa_float_round_mode_16_64 0
		.amdhsa_float_denorm_mode_32 3
		.amdhsa_float_denorm_mode_16_64 3
		.amdhsa_dx10_clamp 1
		.amdhsa_ieee_mode 1
		.amdhsa_fp16_overflow 0
		.amdhsa_tg_split 0
		.amdhsa_exception_fp_ieee_invalid_op 0
		.amdhsa_exception_fp_denorm_src 0
		.amdhsa_exception_fp_ieee_div_zero 0
		.amdhsa_exception_fp_ieee_overflow 0
		.amdhsa_exception_fp_ieee_underflow 0
		.amdhsa_exception_fp_ieee_inexact 0
		.amdhsa_exception_int_div_zero 0
	.end_amdhsa_kernel
	.section	.text._ZN7rocprim17ROCPRIM_400000_NS6detail17trampoline_kernelINS0_14default_configENS1_20scan_config_selectorItEEZZNS1_9scan_implILNS1_25lookback_scan_determinismE0ELb0ELb0ES3_N6thrust23THRUST_200600_302600_NS6detail15normal_iteratorINS9_10device_ptrItEEEENS9_16discard_iteratorINS9_11use_defaultEEEtNS9_4plusIvEEtEEDaPvRmT3_T4_T5_mT6_P12ihipStream_tbENKUlT_T0_E_clISt17integral_constantIbLb0EESW_IbLb1EEEEDaSS_ST_EUlSS_E_NS1_11comp_targetILNS1_3genE2ELNS1_11target_archE906ELNS1_3gpuE6ELNS1_3repE0EEENS1_30default_config_static_selectorELNS0_4arch9wavefront6targetE1EEEvT1_,"axG",@progbits,_ZN7rocprim17ROCPRIM_400000_NS6detail17trampoline_kernelINS0_14default_configENS1_20scan_config_selectorItEEZZNS1_9scan_implILNS1_25lookback_scan_determinismE0ELb0ELb0ES3_N6thrust23THRUST_200600_302600_NS6detail15normal_iteratorINS9_10device_ptrItEEEENS9_16discard_iteratorINS9_11use_defaultEEEtNS9_4plusIvEEtEEDaPvRmT3_T4_T5_mT6_P12ihipStream_tbENKUlT_T0_E_clISt17integral_constantIbLb0EESW_IbLb1EEEEDaSS_ST_EUlSS_E_NS1_11comp_targetILNS1_3genE2ELNS1_11target_archE906ELNS1_3gpuE6ELNS1_3repE0EEENS1_30default_config_static_selectorELNS0_4arch9wavefront6targetE1EEEvT1_,comdat
.Lfunc_end5496:
	.size	_ZN7rocprim17ROCPRIM_400000_NS6detail17trampoline_kernelINS0_14default_configENS1_20scan_config_selectorItEEZZNS1_9scan_implILNS1_25lookback_scan_determinismE0ELb0ELb0ES3_N6thrust23THRUST_200600_302600_NS6detail15normal_iteratorINS9_10device_ptrItEEEENS9_16discard_iteratorINS9_11use_defaultEEEtNS9_4plusIvEEtEEDaPvRmT3_T4_T5_mT6_P12ihipStream_tbENKUlT_T0_E_clISt17integral_constantIbLb0EESW_IbLb1EEEEDaSS_ST_EUlSS_E_NS1_11comp_targetILNS1_3genE2ELNS1_11target_archE906ELNS1_3gpuE6ELNS1_3repE0EEENS1_30default_config_static_selectorELNS0_4arch9wavefront6targetE1EEEvT1_, .Lfunc_end5496-_ZN7rocprim17ROCPRIM_400000_NS6detail17trampoline_kernelINS0_14default_configENS1_20scan_config_selectorItEEZZNS1_9scan_implILNS1_25lookback_scan_determinismE0ELb0ELb0ES3_N6thrust23THRUST_200600_302600_NS6detail15normal_iteratorINS9_10device_ptrItEEEENS9_16discard_iteratorINS9_11use_defaultEEEtNS9_4plusIvEEtEEDaPvRmT3_T4_T5_mT6_P12ihipStream_tbENKUlT_T0_E_clISt17integral_constantIbLb0EESW_IbLb1EEEEDaSS_ST_EUlSS_E_NS1_11comp_targetILNS1_3genE2ELNS1_11target_archE906ELNS1_3gpuE6ELNS1_3repE0EEENS1_30default_config_static_selectorELNS0_4arch9wavefront6targetE1EEEvT1_
                                        ; -- End function
	.section	.AMDGPU.csdata,"",@progbits
; Kernel info:
; codeLenInByte = 0
; NumSgprs: 4
; NumVgprs: 0
; NumAgprs: 0
; TotalNumVgprs: 0
; ScratchSize: 0
; MemoryBound: 0
; FloatMode: 240
; IeeeMode: 1
; LDSByteSize: 0 bytes/workgroup (compile time only)
; SGPRBlocks: 0
; VGPRBlocks: 0
; NumSGPRsForWavesPerEU: 4
; NumVGPRsForWavesPerEU: 1
; AccumOffset: 4
; Occupancy: 8
; WaveLimiterHint : 0
; COMPUTE_PGM_RSRC2:SCRATCH_EN: 0
; COMPUTE_PGM_RSRC2:USER_SGPR: 6
; COMPUTE_PGM_RSRC2:TRAP_HANDLER: 0
; COMPUTE_PGM_RSRC2:TGID_X_EN: 1
; COMPUTE_PGM_RSRC2:TGID_Y_EN: 0
; COMPUTE_PGM_RSRC2:TGID_Z_EN: 0
; COMPUTE_PGM_RSRC2:TIDIG_COMP_CNT: 0
; COMPUTE_PGM_RSRC3_GFX90A:ACCUM_OFFSET: 0
; COMPUTE_PGM_RSRC3_GFX90A:TG_SPLIT: 0
	.section	.text._ZN7rocprim17ROCPRIM_400000_NS6detail17trampoline_kernelINS0_14default_configENS1_20scan_config_selectorItEEZZNS1_9scan_implILNS1_25lookback_scan_determinismE0ELb0ELb0ES3_N6thrust23THRUST_200600_302600_NS6detail15normal_iteratorINS9_10device_ptrItEEEENS9_16discard_iteratorINS9_11use_defaultEEEtNS9_4plusIvEEtEEDaPvRmT3_T4_T5_mT6_P12ihipStream_tbENKUlT_T0_E_clISt17integral_constantIbLb0EESW_IbLb1EEEEDaSS_ST_EUlSS_E_NS1_11comp_targetILNS1_3genE10ELNS1_11target_archE1201ELNS1_3gpuE5ELNS1_3repE0EEENS1_30default_config_static_selectorELNS0_4arch9wavefront6targetE1EEEvT1_,"axG",@progbits,_ZN7rocprim17ROCPRIM_400000_NS6detail17trampoline_kernelINS0_14default_configENS1_20scan_config_selectorItEEZZNS1_9scan_implILNS1_25lookback_scan_determinismE0ELb0ELb0ES3_N6thrust23THRUST_200600_302600_NS6detail15normal_iteratorINS9_10device_ptrItEEEENS9_16discard_iteratorINS9_11use_defaultEEEtNS9_4plusIvEEtEEDaPvRmT3_T4_T5_mT6_P12ihipStream_tbENKUlT_T0_E_clISt17integral_constantIbLb0EESW_IbLb1EEEEDaSS_ST_EUlSS_E_NS1_11comp_targetILNS1_3genE10ELNS1_11target_archE1201ELNS1_3gpuE5ELNS1_3repE0EEENS1_30default_config_static_selectorELNS0_4arch9wavefront6targetE1EEEvT1_,comdat
	.protected	_ZN7rocprim17ROCPRIM_400000_NS6detail17trampoline_kernelINS0_14default_configENS1_20scan_config_selectorItEEZZNS1_9scan_implILNS1_25lookback_scan_determinismE0ELb0ELb0ES3_N6thrust23THRUST_200600_302600_NS6detail15normal_iteratorINS9_10device_ptrItEEEENS9_16discard_iteratorINS9_11use_defaultEEEtNS9_4plusIvEEtEEDaPvRmT3_T4_T5_mT6_P12ihipStream_tbENKUlT_T0_E_clISt17integral_constantIbLb0EESW_IbLb1EEEEDaSS_ST_EUlSS_E_NS1_11comp_targetILNS1_3genE10ELNS1_11target_archE1201ELNS1_3gpuE5ELNS1_3repE0EEENS1_30default_config_static_selectorELNS0_4arch9wavefront6targetE1EEEvT1_ ; -- Begin function _ZN7rocprim17ROCPRIM_400000_NS6detail17trampoline_kernelINS0_14default_configENS1_20scan_config_selectorItEEZZNS1_9scan_implILNS1_25lookback_scan_determinismE0ELb0ELb0ES3_N6thrust23THRUST_200600_302600_NS6detail15normal_iteratorINS9_10device_ptrItEEEENS9_16discard_iteratorINS9_11use_defaultEEEtNS9_4plusIvEEtEEDaPvRmT3_T4_T5_mT6_P12ihipStream_tbENKUlT_T0_E_clISt17integral_constantIbLb0EESW_IbLb1EEEEDaSS_ST_EUlSS_E_NS1_11comp_targetILNS1_3genE10ELNS1_11target_archE1201ELNS1_3gpuE5ELNS1_3repE0EEENS1_30default_config_static_selectorELNS0_4arch9wavefront6targetE1EEEvT1_
	.globl	_ZN7rocprim17ROCPRIM_400000_NS6detail17trampoline_kernelINS0_14default_configENS1_20scan_config_selectorItEEZZNS1_9scan_implILNS1_25lookback_scan_determinismE0ELb0ELb0ES3_N6thrust23THRUST_200600_302600_NS6detail15normal_iteratorINS9_10device_ptrItEEEENS9_16discard_iteratorINS9_11use_defaultEEEtNS9_4plusIvEEtEEDaPvRmT3_T4_T5_mT6_P12ihipStream_tbENKUlT_T0_E_clISt17integral_constantIbLb0EESW_IbLb1EEEEDaSS_ST_EUlSS_E_NS1_11comp_targetILNS1_3genE10ELNS1_11target_archE1201ELNS1_3gpuE5ELNS1_3repE0EEENS1_30default_config_static_selectorELNS0_4arch9wavefront6targetE1EEEvT1_
	.p2align	8
	.type	_ZN7rocprim17ROCPRIM_400000_NS6detail17trampoline_kernelINS0_14default_configENS1_20scan_config_selectorItEEZZNS1_9scan_implILNS1_25lookback_scan_determinismE0ELb0ELb0ES3_N6thrust23THRUST_200600_302600_NS6detail15normal_iteratorINS9_10device_ptrItEEEENS9_16discard_iteratorINS9_11use_defaultEEEtNS9_4plusIvEEtEEDaPvRmT3_T4_T5_mT6_P12ihipStream_tbENKUlT_T0_E_clISt17integral_constantIbLb0EESW_IbLb1EEEEDaSS_ST_EUlSS_E_NS1_11comp_targetILNS1_3genE10ELNS1_11target_archE1201ELNS1_3gpuE5ELNS1_3repE0EEENS1_30default_config_static_selectorELNS0_4arch9wavefront6targetE1EEEvT1_,@function
_ZN7rocprim17ROCPRIM_400000_NS6detail17trampoline_kernelINS0_14default_configENS1_20scan_config_selectorItEEZZNS1_9scan_implILNS1_25lookback_scan_determinismE0ELb0ELb0ES3_N6thrust23THRUST_200600_302600_NS6detail15normal_iteratorINS9_10device_ptrItEEEENS9_16discard_iteratorINS9_11use_defaultEEEtNS9_4plusIvEEtEEDaPvRmT3_T4_T5_mT6_P12ihipStream_tbENKUlT_T0_E_clISt17integral_constantIbLb0EESW_IbLb1EEEEDaSS_ST_EUlSS_E_NS1_11comp_targetILNS1_3genE10ELNS1_11target_archE1201ELNS1_3gpuE5ELNS1_3repE0EEENS1_30default_config_static_selectorELNS0_4arch9wavefront6targetE1EEEvT1_: ; @_ZN7rocprim17ROCPRIM_400000_NS6detail17trampoline_kernelINS0_14default_configENS1_20scan_config_selectorItEEZZNS1_9scan_implILNS1_25lookback_scan_determinismE0ELb0ELb0ES3_N6thrust23THRUST_200600_302600_NS6detail15normal_iteratorINS9_10device_ptrItEEEENS9_16discard_iteratorINS9_11use_defaultEEEtNS9_4plusIvEEtEEDaPvRmT3_T4_T5_mT6_P12ihipStream_tbENKUlT_T0_E_clISt17integral_constantIbLb0EESW_IbLb1EEEEDaSS_ST_EUlSS_E_NS1_11comp_targetILNS1_3genE10ELNS1_11target_archE1201ELNS1_3gpuE5ELNS1_3repE0EEENS1_30default_config_static_selectorELNS0_4arch9wavefront6targetE1EEEvT1_
; %bb.0:
	.section	.rodata,"a",@progbits
	.p2align	6, 0x0
	.amdhsa_kernel _ZN7rocprim17ROCPRIM_400000_NS6detail17trampoline_kernelINS0_14default_configENS1_20scan_config_selectorItEEZZNS1_9scan_implILNS1_25lookback_scan_determinismE0ELb0ELb0ES3_N6thrust23THRUST_200600_302600_NS6detail15normal_iteratorINS9_10device_ptrItEEEENS9_16discard_iteratorINS9_11use_defaultEEEtNS9_4plusIvEEtEEDaPvRmT3_T4_T5_mT6_P12ihipStream_tbENKUlT_T0_E_clISt17integral_constantIbLb0EESW_IbLb1EEEEDaSS_ST_EUlSS_E_NS1_11comp_targetILNS1_3genE10ELNS1_11target_archE1201ELNS1_3gpuE5ELNS1_3repE0EEENS1_30default_config_static_selectorELNS0_4arch9wavefront6targetE1EEEvT1_
		.amdhsa_group_segment_fixed_size 0
		.amdhsa_private_segment_fixed_size 0
		.amdhsa_kernarg_size 104
		.amdhsa_user_sgpr_count 6
		.amdhsa_user_sgpr_private_segment_buffer 1
		.amdhsa_user_sgpr_dispatch_ptr 0
		.amdhsa_user_sgpr_queue_ptr 0
		.amdhsa_user_sgpr_kernarg_segment_ptr 1
		.amdhsa_user_sgpr_dispatch_id 0
		.amdhsa_user_sgpr_flat_scratch_init 0
		.amdhsa_user_sgpr_kernarg_preload_length 0
		.amdhsa_user_sgpr_kernarg_preload_offset 0
		.amdhsa_user_sgpr_private_segment_size 0
		.amdhsa_uses_dynamic_stack 0
		.amdhsa_system_sgpr_private_segment_wavefront_offset 0
		.amdhsa_system_sgpr_workgroup_id_x 1
		.amdhsa_system_sgpr_workgroup_id_y 0
		.amdhsa_system_sgpr_workgroup_id_z 0
		.amdhsa_system_sgpr_workgroup_info 0
		.amdhsa_system_vgpr_workitem_id 0
		.amdhsa_next_free_vgpr 1
		.amdhsa_next_free_sgpr 0
		.amdhsa_accum_offset 4
		.amdhsa_reserve_vcc 0
		.amdhsa_reserve_flat_scratch 0
		.amdhsa_float_round_mode_32 0
		.amdhsa_float_round_mode_16_64 0
		.amdhsa_float_denorm_mode_32 3
		.amdhsa_float_denorm_mode_16_64 3
		.amdhsa_dx10_clamp 1
		.amdhsa_ieee_mode 1
		.amdhsa_fp16_overflow 0
		.amdhsa_tg_split 0
		.amdhsa_exception_fp_ieee_invalid_op 0
		.amdhsa_exception_fp_denorm_src 0
		.amdhsa_exception_fp_ieee_div_zero 0
		.amdhsa_exception_fp_ieee_overflow 0
		.amdhsa_exception_fp_ieee_underflow 0
		.amdhsa_exception_fp_ieee_inexact 0
		.amdhsa_exception_int_div_zero 0
	.end_amdhsa_kernel
	.section	.text._ZN7rocprim17ROCPRIM_400000_NS6detail17trampoline_kernelINS0_14default_configENS1_20scan_config_selectorItEEZZNS1_9scan_implILNS1_25lookback_scan_determinismE0ELb0ELb0ES3_N6thrust23THRUST_200600_302600_NS6detail15normal_iteratorINS9_10device_ptrItEEEENS9_16discard_iteratorINS9_11use_defaultEEEtNS9_4plusIvEEtEEDaPvRmT3_T4_T5_mT6_P12ihipStream_tbENKUlT_T0_E_clISt17integral_constantIbLb0EESW_IbLb1EEEEDaSS_ST_EUlSS_E_NS1_11comp_targetILNS1_3genE10ELNS1_11target_archE1201ELNS1_3gpuE5ELNS1_3repE0EEENS1_30default_config_static_selectorELNS0_4arch9wavefront6targetE1EEEvT1_,"axG",@progbits,_ZN7rocprim17ROCPRIM_400000_NS6detail17trampoline_kernelINS0_14default_configENS1_20scan_config_selectorItEEZZNS1_9scan_implILNS1_25lookback_scan_determinismE0ELb0ELb0ES3_N6thrust23THRUST_200600_302600_NS6detail15normal_iteratorINS9_10device_ptrItEEEENS9_16discard_iteratorINS9_11use_defaultEEEtNS9_4plusIvEEtEEDaPvRmT3_T4_T5_mT6_P12ihipStream_tbENKUlT_T0_E_clISt17integral_constantIbLb0EESW_IbLb1EEEEDaSS_ST_EUlSS_E_NS1_11comp_targetILNS1_3genE10ELNS1_11target_archE1201ELNS1_3gpuE5ELNS1_3repE0EEENS1_30default_config_static_selectorELNS0_4arch9wavefront6targetE1EEEvT1_,comdat
.Lfunc_end5497:
	.size	_ZN7rocprim17ROCPRIM_400000_NS6detail17trampoline_kernelINS0_14default_configENS1_20scan_config_selectorItEEZZNS1_9scan_implILNS1_25lookback_scan_determinismE0ELb0ELb0ES3_N6thrust23THRUST_200600_302600_NS6detail15normal_iteratorINS9_10device_ptrItEEEENS9_16discard_iteratorINS9_11use_defaultEEEtNS9_4plusIvEEtEEDaPvRmT3_T4_T5_mT6_P12ihipStream_tbENKUlT_T0_E_clISt17integral_constantIbLb0EESW_IbLb1EEEEDaSS_ST_EUlSS_E_NS1_11comp_targetILNS1_3genE10ELNS1_11target_archE1201ELNS1_3gpuE5ELNS1_3repE0EEENS1_30default_config_static_selectorELNS0_4arch9wavefront6targetE1EEEvT1_, .Lfunc_end5497-_ZN7rocprim17ROCPRIM_400000_NS6detail17trampoline_kernelINS0_14default_configENS1_20scan_config_selectorItEEZZNS1_9scan_implILNS1_25lookback_scan_determinismE0ELb0ELb0ES3_N6thrust23THRUST_200600_302600_NS6detail15normal_iteratorINS9_10device_ptrItEEEENS9_16discard_iteratorINS9_11use_defaultEEEtNS9_4plusIvEEtEEDaPvRmT3_T4_T5_mT6_P12ihipStream_tbENKUlT_T0_E_clISt17integral_constantIbLb0EESW_IbLb1EEEEDaSS_ST_EUlSS_E_NS1_11comp_targetILNS1_3genE10ELNS1_11target_archE1201ELNS1_3gpuE5ELNS1_3repE0EEENS1_30default_config_static_selectorELNS0_4arch9wavefront6targetE1EEEvT1_
                                        ; -- End function
	.section	.AMDGPU.csdata,"",@progbits
; Kernel info:
; codeLenInByte = 0
; NumSgprs: 4
; NumVgprs: 0
; NumAgprs: 0
; TotalNumVgprs: 0
; ScratchSize: 0
; MemoryBound: 0
; FloatMode: 240
; IeeeMode: 1
; LDSByteSize: 0 bytes/workgroup (compile time only)
; SGPRBlocks: 0
; VGPRBlocks: 0
; NumSGPRsForWavesPerEU: 4
; NumVGPRsForWavesPerEU: 1
; AccumOffset: 4
; Occupancy: 8
; WaveLimiterHint : 0
; COMPUTE_PGM_RSRC2:SCRATCH_EN: 0
; COMPUTE_PGM_RSRC2:USER_SGPR: 6
; COMPUTE_PGM_RSRC2:TRAP_HANDLER: 0
; COMPUTE_PGM_RSRC2:TGID_X_EN: 1
; COMPUTE_PGM_RSRC2:TGID_Y_EN: 0
; COMPUTE_PGM_RSRC2:TGID_Z_EN: 0
; COMPUTE_PGM_RSRC2:TIDIG_COMP_CNT: 0
; COMPUTE_PGM_RSRC3_GFX90A:ACCUM_OFFSET: 0
; COMPUTE_PGM_RSRC3_GFX90A:TG_SPLIT: 0
	.section	.text._ZN7rocprim17ROCPRIM_400000_NS6detail17trampoline_kernelINS0_14default_configENS1_20scan_config_selectorItEEZZNS1_9scan_implILNS1_25lookback_scan_determinismE0ELb0ELb0ES3_N6thrust23THRUST_200600_302600_NS6detail15normal_iteratorINS9_10device_ptrItEEEENS9_16discard_iteratorINS9_11use_defaultEEEtNS9_4plusIvEEtEEDaPvRmT3_T4_T5_mT6_P12ihipStream_tbENKUlT_T0_E_clISt17integral_constantIbLb0EESW_IbLb1EEEEDaSS_ST_EUlSS_E_NS1_11comp_targetILNS1_3genE10ELNS1_11target_archE1200ELNS1_3gpuE4ELNS1_3repE0EEENS1_30default_config_static_selectorELNS0_4arch9wavefront6targetE1EEEvT1_,"axG",@progbits,_ZN7rocprim17ROCPRIM_400000_NS6detail17trampoline_kernelINS0_14default_configENS1_20scan_config_selectorItEEZZNS1_9scan_implILNS1_25lookback_scan_determinismE0ELb0ELb0ES3_N6thrust23THRUST_200600_302600_NS6detail15normal_iteratorINS9_10device_ptrItEEEENS9_16discard_iteratorINS9_11use_defaultEEEtNS9_4plusIvEEtEEDaPvRmT3_T4_T5_mT6_P12ihipStream_tbENKUlT_T0_E_clISt17integral_constantIbLb0EESW_IbLb1EEEEDaSS_ST_EUlSS_E_NS1_11comp_targetILNS1_3genE10ELNS1_11target_archE1200ELNS1_3gpuE4ELNS1_3repE0EEENS1_30default_config_static_selectorELNS0_4arch9wavefront6targetE1EEEvT1_,comdat
	.protected	_ZN7rocprim17ROCPRIM_400000_NS6detail17trampoline_kernelINS0_14default_configENS1_20scan_config_selectorItEEZZNS1_9scan_implILNS1_25lookback_scan_determinismE0ELb0ELb0ES3_N6thrust23THRUST_200600_302600_NS6detail15normal_iteratorINS9_10device_ptrItEEEENS9_16discard_iteratorINS9_11use_defaultEEEtNS9_4plusIvEEtEEDaPvRmT3_T4_T5_mT6_P12ihipStream_tbENKUlT_T0_E_clISt17integral_constantIbLb0EESW_IbLb1EEEEDaSS_ST_EUlSS_E_NS1_11comp_targetILNS1_3genE10ELNS1_11target_archE1200ELNS1_3gpuE4ELNS1_3repE0EEENS1_30default_config_static_selectorELNS0_4arch9wavefront6targetE1EEEvT1_ ; -- Begin function _ZN7rocprim17ROCPRIM_400000_NS6detail17trampoline_kernelINS0_14default_configENS1_20scan_config_selectorItEEZZNS1_9scan_implILNS1_25lookback_scan_determinismE0ELb0ELb0ES3_N6thrust23THRUST_200600_302600_NS6detail15normal_iteratorINS9_10device_ptrItEEEENS9_16discard_iteratorINS9_11use_defaultEEEtNS9_4plusIvEEtEEDaPvRmT3_T4_T5_mT6_P12ihipStream_tbENKUlT_T0_E_clISt17integral_constantIbLb0EESW_IbLb1EEEEDaSS_ST_EUlSS_E_NS1_11comp_targetILNS1_3genE10ELNS1_11target_archE1200ELNS1_3gpuE4ELNS1_3repE0EEENS1_30default_config_static_selectorELNS0_4arch9wavefront6targetE1EEEvT1_
	.globl	_ZN7rocprim17ROCPRIM_400000_NS6detail17trampoline_kernelINS0_14default_configENS1_20scan_config_selectorItEEZZNS1_9scan_implILNS1_25lookback_scan_determinismE0ELb0ELb0ES3_N6thrust23THRUST_200600_302600_NS6detail15normal_iteratorINS9_10device_ptrItEEEENS9_16discard_iteratorINS9_11use_defaultEEEtNS9_4plusIvEEtEEDaPvRmT3_T4_T5_mT6_P12ihipStream_tbENKUlT_T0_E_clISt17integral_constantIbLb0EESW_IbLb1EEEEDaSS_ST_EUlSS_E_NS1_11comp_targetILNS1_3genE10ELNS1_11target_archE1200ELNS1_3gpuE4ELNS1_3repE0EEENS1_30default_config_static_selectorELNS0_4arch9wavefront6targetE1EEEvT1_
	.p2align	8
	.type	_ZN7rocprim17ROCPRIM_400000_NS6detail17trampoline_kernelINS0_14default_configENS1_20scan_config_selectorItEEZZNS1_9scan_implILNS1_25lookback_scan_determinismE0ELb0ELb0ES3_N6thrust23THRUST_200600_302600_NS6detail15normal_iteratorINS9_10device_ptrItEEEENS9_16discard_iteratorINS9_11use_defaultEEEtNS9_4plusIvEEtEEDaPvRmT3_T4_T5_mT6_P12ihipStream_tbENKUlT_T0_E_clISt17integral_constantIbLb0EESW_IbLb1EEEEDaSS_ST_EUlSS_E_NS1_11comp_targetILNS1_3genE10ELNS1_11target_archE1200ELNS1_3gpuE4ELNS1_3repE0EEENS1_30default_config_static_selectorELNS0_4arch9wavefront6targetE1EEEvT1_,@function
_ZN7rocprim17ROCPRIM_400000_NS6detail17trampoline_kernelINS0_14default_configENS1_20scan_config_selectorItEEZZNS1_9scan_implILNS1_25lookback_scan_determinismE0ELb0ELb0ES3_N6thrust23THRUST_200600_302600_NS6detail15normal_iteratorINS9_10device_ptrItEEEENS9_16discard_iteratorINS9_11use_defaultEEEtNS9_4plusIvEEtEEDaPvRmT3_T4_T5_mT6_P12ihipStream_tbENKUlT_T0_E_clISt17integral_constantIbLb0EESW_IbLb1EEEEDaSS_ST_EUlSS_E_NS1_11comp_targetILNS1_3genE10ELNS1_11target_archE1200ELNS1_3gpuE4ELNS1_3repE0EEENS1_30default_config_static_selectorELNS0_4arch9wavefront6targetE1EEEvT1_: ; @_ZN7rocprim17ROCPRIM_400000_NS6detail17trampoline_kernelINS0_14default_configENS1_20scan_config_selectorItEEZZNS1_9scan_implILNS1_25lookback_scan_determinismE0ELb0ELb0ES3_N6thrust23THRUST_200600_302600_NS6detail15normal_iteratorINS9_10device_ptrItEEEENS9_16discard_iteratorINS9_11use_defaultEEEtNS9_4plusIvEEtEEDaPvRmT3_T4_T5_mT6_P12ihipStream_tbENKUlT_T0_E_clISt17integral_constantIbLb0EESW_IbLb1EEEEDaSS_ST_EUlSS_E_NS1_11comp_targetILNS1_3genE10ELNS1_11target_archE1200ELNS1_3gpuE4ELNS1_3repE0EEENS1_30default_config_static_selectorELNS0_4arch9wavefront6targetE1EEEvT1_
; %bb.0:
	.section	.rodata,"a",@progbits
	.p2align	6, 0x0
	.amdhsa_kernel _ZN7rocprim17ROCPRIM_400000_NS6detail17trampoline_kernelINS0_14default_configENS1_20scan_config_selectorItEEZZNS1_9scan_implILNS1_25lookback_scan_determinismE0ELb0ELb0ES3_N6thrust23THRUST_200600_302600_NS6detail15normal_iteratorINS9_10device_ptrItEEEENS9_16discard_iteratorINS9_11use_defaultEEEtNS9_4plusIvEEtEEDaPvRmT3_T4_T5_mT6_P12ihipStream_tbENKUlT_T0_E_clISt17integral_constantIbLb0EESW_IbLb1EEEEDaSS_ST_EUlSS_E_NS1_11comp_targetILNS1_3genE10ELNS1_11target_archE1200ELNS1_3gpuE4ELNS1_3repE0EEENS1_30default_config_static_selectorELNS0_4arch9wavefront6targetE1EEEvT1_
		.amdhsa_group_segment_fixed_size 0
		.amdhsa_private_segment_fixed_size 0
		.amdhsa_kernarg_size 104
		.amdhsa_user_sgpr_count 6
		.amdhsa_user_sgpr_private_segment_buffer 1
		.amdhsa_user_sgpr_dispatch_ptr 0
		.amdhsa_user_sgpr_queue_ptr 0
		.amdhsa_user_sgpr_kernarg_segment_ptr 1
		.amdhsa_user_sgpr_dispatch_id 0
		.amdhsa_user_sgpr_flat_scratch_init 0
		.amdhsa_user_sgpr_kernarg_preload_length 0
		.amdhsa_user_sgpr_kernarg_preload_offset 0
		.amdhsa_user_sgpr_private_segment_size 0
		.amdhsa_uses_dynamic_stack 0
		.amdhsa_system_sgpr_private_segment_wavefront_offset 0
		.amdhsa_system_sgpr_workgroup_id_x 1
		.amdhsa_system_sgpr_workgroup_id_y 0
		.amdhsa_system_sgpr_workgroup_id_z 0
		.amdhsa_system_sgpr_workgroup_info 0
		.amdhsa_system_vgpr_workitem_id 0
		.amdhsa_next_free_vgpr 1
		.amdhsa_next_free_sgpr 0
		.amdhsa_accum_offset 4
		.amdhsa_reserve_vcc 0
		.amdhsa_reserve_flat_scratch 0
		.amdhsa_float_round_mode_32 0
		.amdhsa_float_round_mode_16_64 0
		.amdhsa_float_denorm_mode_32 3
		.amdhsa_float_denorm_mode_16_64 3
		.amdhsa_dx10_clamp 1
		.amdhsa_ieee_mode 1
		.amdhsa_fp16_overflow 0
		.amdhsa_tg_split 0
		.amdhsa_exception_fp_ieee_invalid_op 0
		.amdhsa_exception_fp_denorm_src 0
		.amdhsa_exception_fp_ieee_div_zero 0
		.amdhsa_exception_fp_ieee_overflow 0
		.amdhsa_exception_fp_ieee_underflow 0
		.amdhsa_exception_fp_ieee_inexact 0
		.amdhsa_exception_int_div_zero 0
	.end_amdhsa_kernel
	.section	.text._ZN7rocprim17ROCPRIM_400000_NS6detail17trampoline_kernelINS0_14default_configENS1_20scan_config_selectorItEEZZNS1_9scan_implILNS1_25lookback_scan_determinismE0ELb0ELb0ES3_N6thrust23THRUST_200600_302600_NS6detail15normal_iteratorINS9_10device_ptrItEEEENS9_16discard_iteratorINS9_11use_defaultEEEtNS9_4plusIvEEtEEDaPvRmT3_T4_T5_mT6_P12ihipStream_tbENKUlT_T0_E_clISt17integral_constantIbLb0EESW_IbLb1EEEEDaSS_ST_EUlSS_E_NS1_11comp_targetILNS1_3genE10ELNS1_11target_archE1200ELNS1_3gpuE4ELNS1_3repE0EEENS1_30default_config_static_selectorELNS0_4arch9wavefront6targetE1EEEvT1_,"axG",@progbits,_ZN7rocprim17ROCPRIM_400000_NS6detail17trampoline_kernelINS0_14default_configENS1_20scan_config_selectorItEEZZNS1_9scan_implILNS1_25lookback_scan_determinismE0ELb0ELb0ES3_N6thrust23THRUST_200600_302600_NS6detail15normal_iteratorINS9_10device_ptrItEEEENS9_16discard_iteratorINS9_11use_defaultEEEtNS9_4plusIvEEtEEDaPvRmT3_T4_T5_mT6_P12ihipStream_tbENKUlT_T0_E_clISt17integral_constantIbLb0EESW_IbLb1EEEEDaSS_ST_EUlSS_E_NS1_11comp_targetILNS1_3genE10ELNS1_11target_archE1200ELNS1_3gpuE4ELNS1_3repE0EEENS1_30default_config_static_selectorELNS0_4arch9wavefront6targetE1EEEvT1_,comdat
.Lfunc_end5498:
	.size	_ZN7rocprim17ROCPRIM_400000_NS6detail17trampoline_kernelINS0_14default_configENS1_20scan_config_selectorItEEZZNS1_9scan_implILNS1_25lookback_scan_determinismE0ELb0ELb0ES3_N6thrust23THRUST_200600_302600_NS6detail15normal_iteratorINS9_10device_ptrItEEEENS9_16discard_iteratorINS9_11use_defaultEEEtNS9_4plusIvEEtEEDaPvRmT3_T4_T5_mT6_P12ihipStream_tbENKUlT_T0_E_clISt17integral_constantIbLb0EESW_IbLb1EEEEDaSS_ST_EUlSS_E_NS1_11comp_targetILNS1_3genE10ELNS1_11target_archE1200ELNS1_3gpuE4ELNS1_3repE0EEENS1_30default_config_static_selectorELNS0_4arch9wavefront6targetE1EEEvT1_, .Lfunc_end5498-_ZN7rocprim17ROCPRIM_400000_NS6detail17trampoline_kernelINS0_14default_configENS1_20scan_config_selectorItEEZZNS1_9scan_implILNS1_25lookback_scan_determinismE0ELb0ELb0ES3_N6thrust23THRUST_200600_302600_NS6detail15normal_iteratorINS9_10device_ptrItEEEENS9_16discard_iteratorINS9_11use_defaultEEEtNS9_4plusIvEEtEEDaPvRmT3_T4_T5_mT6_P12ihipStream_tbENKUlT_T0_E_clISt17integral_constantIbLb0EESW_IbLb1EEEEDaSS_ST_EUlSS_E_NS1_11comp_targetILNS1_3genE10ELNS1_11target_archE1200ELNS1_3gpuE4ELNS1_3repE0EEENS1_30default_config_static_selectorELNS0_4arch9wavefront6targetE1EEEvT1_
                                        ; -- End function
	.section	.AMDGPU.csdata,"",@progbits
; Kernel info:
; codeLenInByte = 0
; NumSgprs: 4
; NumVgprs: 0
; NumAgprs: 0
; TotalNumVgprs: 0
; ScratchSize: 0
; MemoryBound: 0
; FloatMode: 240
; IeeeMode: 1
; LDSByteSize: 0 bytes/workgroup (compile time only)
; SGPRBlocks: 0
; VGPRBlocks: 0
; NumSGPRsForWavesPerEU: 4
; NumVGPRsForWavesPerEU: 1
; AccumOffset: 4
; Occupancy: 8
; WaveLimiterHint : 0
; COMPUTE_PGM_RSRC2:SCRATCH_EN: 0
; COMPUTE_PGM_RSRC2:USER_SGPR: 6
; COMPUTE_PGM_RSRC2:TRAP_HANDLER: 0
; COMPUTE_PGM_RSRC2:TGID_X_EN: 1
; COMPUTE_PGM_RSRC2:TGID_Y_EN: 0
; COMPUTE_PGM_RSRC2:TGID_Z_EN: 0
; COMPUTE_PGM_RSRC2:TIDIG_COMP_CNT: 0
; COMPUTE_PGM_RSRC3_GFX90A:ACCUM_OFFSET: 0
; COMPUTE_PGM_RSRC3_GFX90A:TG_SPLIT: 0
	.section	.text._ZN7rocprim17ROCPRIM_400000_NS6detail17trampoline_kernelINS0_14default_configENS1_20scan_config_selectorItEEZZNS1_9scan_implILNS1_25lookback_scan_determinismE0ELb0ELb0ES3_N6thrust23THRUST_200600_302600_NS6detail15normal_iteratorINS9_10device_ptrItEEEENS9_16discard_iteratorINS9_11use_defaultEEEtNS9_4plusIvEEtEEDaPvRmT3_T4_T5_mT6_P12ihipStream_tbENKUlT_T0_E_clISt17integral_constantIbLb0EESW_IbLb1EEEEDaSS_ST_EUlSS_E_NS1_11comp_targetILNS1_3genE9ELNS1_11target_archE1100ELNS1_3gpuE3ELNS1_3repE0EEENS1_30default_config_static_selectorELNS0_4arch9wavefront6targetE1EEEvT1_,"axG",@progbits,_ZN7rocprim17ROCPRIM_400000_NS6detail17trampoline_kernelINS0_14default_configENS1_20scan_config_selectorItEEZZNS1_9scan_implILNS1_25lookback_scan_determinismE0ELb0ELb0ES3_N6thrust23THRUST_200600_302600_NS6detail15normal_iteratorINS9_10device_ptrItEEEENS9_16discard_iteratorINS9_11use_defaultEEEtNS9_4plusIvEEtEEDaPvRmT3_T4_T5_mT6_P12ihipStream_tbENKUlT_T0_E_clISt17integral_constantIbLb0EESW_IbLb1EEEEDaSS_ST_EUlSS_E_NS1_11comp_targetILNS1_3genE9ELNS1_11target_archE1100ELNS1_3gpuE3ELNS1_3repE0EEENS1_30default_config_static_selectorELNS0_4arch9wavefront6targetE1EEEvT1_,comdat
	.protected	_ZN7rocprim17ROCPRIM_400000_NS6detail17trampoline_kernelINS0_14default_configENS1_20scan_config_selectorItEEZZNS1_9scan_implILNS1_25lookback_scan_determinismE0ELb0ELb0ES3_N6thrust23THRUST_200600_302600_NS6detail15normal_iteratorINS9_10device_ptrItEEEENS9_16discard_iteratorINS9_11use_defaultEEEtNS9_4plusIvEEtEEDaPvRmT3_T4_T5_mT6_P12ihipStream_tbENKUlT_T0_E_clISt17integral_constantIbLb0EESW_IbLb1EEEEDaSS_ST_EUlSS_E_NS1_11comp_targetILNS1_3genE9ELNS1_11target_archE1100ELNS1_3gpuE3ELNS1_3repE0EEENS1_30default_config_static_selectorELNS0_4arch9wavefront6targetE1EEEvT1_ ; -- Begin function _ZN7rocprim17ROCPRIM_400000_NS6detail17trampoline_kernelINS0_14default_configENS1_20scan_config_selectorItEEZZNS1_9scan_implILNS1_25lookback_scan_determinismE0ELb0ELb0ES3_N6thrust23THRUST_200600_302600_NS6detail15normal_iteratorINS9_10device_ptrItEEEENS9_16discard_iteratorINS9_11use_defaultEEEtNS9_4plusIvEEtEEDaPvRmT3_T4_T5_mT6_P12ihipStream_tbENKUlT_T0_E_clISt17integral_constantIbLb0EESW_IbLb1EEEEDaSS_ST_EUlSS_E_NS1_11comp_targetILNS1_3genE9ELNS1_11target_archE1100ELNS1_3gpuE3ELNS1_3repE0EEENS1_30default_config_static_selectorELNS0_4arch9wavefront6targetE1EEEvT1_
	.globl	_ZN7rocprim17ROCPRIM_400000_NS6detail17trampoline_kernelINS0_14default_configENS1_20scan_config_selectorItEEZZNS1_9scan_implILNS1_25lookback_scan_determinismE0ELb0ELb0ES3_N6thrust23THRUST_200600_302600_NS6detail15normal_iteratorINS9_10device_ptrItEEEENS9_16discard_iteratorINS9_11use_defaultEEEtNS9_4plusIvEEtEEDaPvRmT3_T4_T5_mT6_P12ihipStream_tbENKUlT_T0_E_clISt17integral_constantIbLb0EESW_IbLb1EEEEDaSS_ST_EUlSS_E_NS1_11comp_targetILNS1_3genE9ELNS1_11target_archE1100ELNS1_3gpuE3ELNS1_3repE0EEENS1_30default_config_static_selectorELNS0_4arch9wavefront6targetE1EEEvT1_
	.p2align	8
	.type	_ZN7rocprim17ROCPRIM_400000_NS6detail17trampoline_kernelINS0_14default_configENS1_20scan_config_selectorItEEZZNS1_9scan_implILNS1_25lookback_scan_determinismE0ELb0ELb0ES3_N6thrust23THRUST_200600_302600_NS6detail15normal_iteratorINS9_10device_ptrItEEEENS9_16discard_iteratorINS9_11use_defaultEEEtNS9_4plusIvEEtEEDaPvRmT3_T4_T5_mT6_P12ihipStream_tbENKUlT_T0_E_clISt17integral_constantIbLb0EESW_IbLb1EEEEDaSS_ST_EUlSS_E_NS1_11comp_targetILNS1_3genE9ELNS1_11target_archE1100ELNS1_3gpuE3ELNS1_3repE0EEENS1_30default_config_static_selectorELNS0_4arch9wavefront6targetE1EEEvT1_,@function
_ZN7rocprim17ROCPRIM_400000_NS6detail17trampoline_kernelINS0_14default_configENS1_20scan_config_selectorItEEZZNS1_9scan_implILNS1_25lookback_scan_determinismE0ELb0ELb0ES3_N6thrust23THRUST_200600_302600_NS6detail15normal_iteratorINS9_10device_ptrItEEEENS9_16discard_iteratorINS9_11use_defaultEEEtNS9_4plusIvEEtEEDaPvRmT3_T4_T5_mT6_P12ihipStream_tbENKUlT_T0_E_clISt17integral_constantIbLb0EESW_IbLb1EEEEDaSS_ST_EUlSS_E_NS1_11comp_targetILNS1_3genE9ELNS1_11target_archE1100ELNS1_3gpuE3ELNS1_3repE0EEENS1_30default_config_static_selectorELNS0_4arch9wavefront6targetE1EEEvT1_: ; @_ZN7rocprim17ROCPRIM_400000_NS6detail17trampoline_kernelINS0_14default_configENS1_20scan_config_selectorItEEZZNS1_9scan_implILNS1_25lookback_scan_determinismE0ELb0ELb0ES3_N6thrust23THRUST_200600_302600_NS6detail15normal_iteratorINS9_10device_ptrItEEEENS9_16discard_iteratorINS9_11use_defaultEEEtNS9_4plusIvEEtEEDaPvRmT3_T4_T5_mT6_P12ihipStream_tbENKUlT_T0_E_clISt17integral_constantIbLb0EESW_IbLb1EEEEDaSS_ST_EUlSS_E_NS1_11comp_targetILNS1_3genE9ELNS1_11target_archE1100ELNS1_3gpuE3ELNS1_3repE0EEENS1_30default_config_static_selectorELNS0_4arch9wavefront6targetE1EEEvT1_
; %bb.0:
	.section	.rodata,"a",@progbits
	.p2align	6, 0x0
	.amdhsa_kernel _ZN7rocprim17ROCPRIM_400000_NS6detail17trampoline_kernelINS0_14default_configENS1_20scan_config_selectorItEEZZNS1_9scan_implILNS1_25lookback_scan_determinismE0ELb0ELb0ES3_N6thrust23THRUST_200600_302600_NS6detail15normal_iteratorINS9_10device_ptrItEEEENS9_16discard_iteratorINS9_11use_defaultEEEtNS9_4plusIvEEtEEDaPvRmT3_T4_T5_mT6_P12ihipStream_tbENKUlT_T0_E_clISt17integral_constantIbLb0EESW_IbLb1EEEEDaSS_ST_EUlSS_E_NS1_11comp_targetILNS1_3genE9ELNS1_11target_archE1100ELNS1_3gpuE3ELNS1_3repE0EEENS1_30default_config_static_selectorELNS0_4arch9wavefront6targetE1EEEvT1_
		.amdhsa_group_segment_fixed_size 0
		.amdhsa_private_segment_fixed_size 0
		.amdhsa_kernarg_size 104
		.amdhsa_user_sgpr_count 6
		.amdhsa_user_sgpr_private_segment_buffer 1
		.amdhsa_user_sgpr_dispatch_ptr 0
		.amdhsa_user_sgpr_queue_ptr 0
		.amdhsa_user_sgpr_kernarg_segment_ptr 1
		.amdhsa_user_sgpr_dispatch_id 0
		.amdhsa_user_sgpr_flat_scratch_init 0
		.amdhsa_user_sgpr_kernarg_preload_length 0
		.amdhsa_user_sgpr_kernarg_preload_offset 0
		.amdhsa_user_sgpr_private_segment_size 0
		.amdhsa_uses_dynamic_stack 0
		.amdhsa_system_sgpr_private_segment_wavefront_offset 0
		.amdhsa_system_sgpr_workgroup_id_x 1
		.amdhsa_system_sgpr_workgroup_id_y 0
		.amdhsa_system_sgpr_workgroup_id_z 0
		.amdhsa_system_sgpr_workgroup_info 0
		.amdhsa_system_vgpr_workitem_id 0
		.amdhsa_next_free_vgpr 1
		.amdhsa_next_free_sgpr 0
		.amdhsa_accum_offset 4
		.amdhsa_reserve_vcc 0
		.amdhsa_reserve_flat_scratch 0
		.amdhsa_float_round_mode_32 0
		.amdhsa_float_round_mode_16_64 0
		.amdhsa_float_denorm_mode_32 3
		.amdhsa_float_denorm_mode_16_64 3
		.amdhsa_dx10_clamp 1
		.amdhsa_ieee_mode 1
		.amdhsa_fp16_overflow 0
		.amdhsa_tg_split 0
		.amdhsa_exception_fp_ieee_invalid_op 0
		.amdhsa_exception_fp_denorm_src 0
		.amdhsa_exception_fp_ieee_div_zero 0
		.amdhsa_exception_fp_ieee_overflow 0
		.amdhsa_exception_fp_ieee_underflow 0
		.amdhsa_exception_fp_ieee_inexact 0
		.amdhsa_exception_int_div_zero 0
	.end_amdhsa_kernel
	.section	.text._ZN7rocprim17ROCPRIM_400000_NS6detail17trampoline_kernelINS0_14default_configENS1_20scan_config_selectorItEEZZNS1_9scan_implILNS1_25lookback_scan_determinismE0ELb0ELb0ES3_N6thrust23THRUST_200600_302600_NS6detail15normal_iteratorINS9_10device_ptrItEEEENS9_16discard_iteratorINS9_11use_defaultEEEtNS9_4plusIvEEtEEDaPvRmT3_T4_T5_mT6_P12ihipStream_tbENKUlT_T0_E_clISt17integral_constantIbLb0EESW_IbLb1EEEEDaSS_ST_EUlSS_E_NS1_11comp_targetILNS1_3genE9ELNS1_11target_archE1100ELNS1_3gpuE3ELNS1_3repE0EEENS1_30default_config_static_selectorELNS0_4arch9wavefront6targetE1EEEvT1_,"axG",@progbits,_ZN7rocprim17ROCPRIM_400000_NS6detail17trampoline_kernelINS0_14default_configENS1_20scan_config_selectorItEEZZNS1_9scan_implILNS1_25lookback_scan_determinismE0ELb0ELb0ES3_N6thrust23THRUST_200600_302600_NS6detail15normal_iteratorINS9_10device_ptrItEEEENS9_16discard_iteratorINS9_11use_defaultEEEtNS9_4plusIvEEtEEDaPvRmT3_T4_T5_mT6_P12ihipStream_tbENKUlT_T0_E_clISt17integral_constantIbLb0EESW_IbLb1EEEEDaSS_ST_EUlSS_E_NS1_11comp_targetILNS1_3genE9ELNS1_11target_archE1100ELNS1_3gpuE3ELNS1_3repE0EEENS1_30default_config_static_selectorELNS0_4arch9wavefront6targetE1EEEvT1_,comdat
.Lfunc_end5499:
	.size	_ZN7rocprim17ROCPRIM_400000_NS6detail17trampoline_kernelINS0_14default_configENS1_20scan_config_selectorItEEZZNS1_9scan_implILNS1_25lookback_scan_determinismE0ELb0ELb0ES3_N6thrust23THRUST_200600_302600_NS6detail15normal_iteratorINS9_10device_ptrItEEEENS9_16discard_iteratorINS9_11use_defaultEEEtNS9_4plusIvEEtEEDaPvRmT3_T4_T5_mT6_P12ihipStream_tbENKUlT_T0_E_clISt17integral_constantIbLb0EESW_IbLb1EEEEDaSS_ST_EUlSS_E_NS1_11comp_targetILNS1_3genE9ELNS1_11target_archE1100ELNS1_3gpuE3ELNS1_3repE0EEENS1_30default_config_static_selectorELNS0_4arch9wavefront6targetE1EEEvT1_, .Lfunc_end5499-_ZN7rocprim17ROCPRIM_400000_NS6detail17trampoline_kernelINS0_14default_configENS1_20scan_config_selectorItEEZZNS1_9scan_implILNS1_25lookback_scan_determinismE0ELb0ELb0ES3_N6thrust23THRUST_200600_302600_NS6detail15normal_iteratorINS9_10device_ptrItEEEENS9_16discard_iteratorINS9_11use_defaultEEEtNS9_4plusIvEEtEEDaPvRmT3_T4_T5_mT6_P12ihipStream_tbENKUlT_T0_E_clISt17integral_constantIbLb0EESW_IbLb1EEEEDaSS_ST_EUlSS_E_NS1_11comp_targetILNS1_3genE9ELNS1_11target_archE1100ELNS1_3gpuE3ELNS1_3repE0EEENS1_30default_config_static_selectorELNS0_4arch9wavefront6targetE1EEEvT1_
                                        ; -- End function
	.section	.AMDGPU.csdata,"",@progbits
; Kernel info:
; codeLenInByte = 0
; NumSgprs: 4
; NumVgprs: 0
; NumAgprs: 0
; TotalNumVgprs: 0
; ScratchSize: 0
; MemoryBound: 0
; FloatMode: 240
; IeeeMode: 1
; LDSByteSize: 0 bytes/workgroup (compile time only)
; SGPRBlocks: 0
; VGPRBlocks: 0
; NumSGPRsForWavesPerEU: 4
; NumVGPRsForWavesPerEU: 1
; AccumOffset: 4
; Occupancy: 8
; WaveLimiterHint : 0
; COMPUTE_PGM_RSRC2:SCRATCH_EN: 0
; COMPUTE_PGM_RSRC2:USER_SGPR: 6
; COMPUTE_PGM_RSRC2:TRAP_HANDLER: 0
; COMPUTE_PGM_RSRC2:TGID_X_EN: 1
; COMPUTE_PGM_RSRC2:TGID_Y_EN: 0
; COMPUTE_PGM_RSRC2:TGID_Z_EN: 0
; COMPUTE_PGM_RSRC2:TIDIG_COMP_CNT: 0
; COMPUTE_PGM_RSRC3_GFX90A:ACCUM_OFFSET: 0
; COMPUTE_PGM_RSRC3_GFX90A:TG_SPLIT: 0
	.section	.text._ZN7rocprim17ROCPRIM_400000_NS6detail17trampoline_kernelINS0_14default_configENS1_20scan_config_selectorItEEZZNS1_9scan_implILNS1_25lookback_scan_determinismE0ELb0ELb0ES3_N6thrust23THRUST_200600_302600_NS6detail15normal_iteratorINS9_10device_ptrItEEEENS9_16discard_iteratorINS9_11use_defaultEEEtNS9_4plusIvEEtEEDaPvRmT3_T4_T5_mT6_P12ihipStream_tbENKUlT_T0_E_clISt17integral_constantIbLb0EESW_IbLb1EEEEDaSS_ST_EUlSS_E_NS1_11comp_targetILNS1_3genE8ELNS1_11target_archE1030ELNS1_3gpuE2ELNS1_3repE0EEENS1_30default_config_static_selectorELNS0_4arch9wavefront6targetE1EEEvT1_,"axG",@progbits,_ZN7rocprim17ROCPRIM_400000_NS6detail17trampoline_kernelINS0_14default_configENS1_20scan_config_selectorItEEZZNS1_9scan_implILNS1_25lookback_scan_determinismE0ELb0ELb0ES3_N6thrust23THRUST_200600_302600_NS6detail15normal_iteratorINS9_10device_ptrItEEEENS9_16discard_iteratorINS9_11use_defaultEEEtNS9_4plusIvEEtEEDaPvRmT3_T4_T5_mT6_P12ihipStream_tbENKUlT_T0_E_clISt17integral_constantIbLb0EESW_IbLb1EEEEDaSS_ST_EUlSS_E_NS1_11comp_targetILNS1_3genE8ELNS1_11target_archE1030ELNS1_3gpuE2ELNS1_3repE0EEENS1_30default_config_static_selectorELNS0_4arch9wavefront6targetE1EEEvT1_,comdat
	.protected	_ZN7rocprim17ROCPRIM_400000_NS6detail17trampoline_kernelINS0_14default_configENS1_20scan_config_selectorItEEZZNS1_9scan_implILNS1_25lookback_scan_determinismE0ELb0ELb0ES3_N6thrust23THRUST_200600_302600_NS6detail15normal_iteratorINS9_10device_ptrItEEEENS9_16discard_iteratorINS9_11use_defaultEEEtNS9_4plusIvEEtEEDaPvRmT3_T4_T5_mT6_P12ihipStream_tbENKUlT_T0_E_clISt17integral_constantIbLb0EESW_IbLb1EEEEDaSS_ST_EUlSS_E_NS1_11comp_targetILNS1_3genE8ELNS1_11target_archE1030ELNS1_3gpuE2ELNS1_3repE0EEENS1_30default_config_static_selectorELNS0_4arch9wavefront6targetE1EEEvT1_ ; -- Begin function _ZN7rocprim17ROCPRIM_400000_NS6detail17trampoline_kernelINS0_14default_configENS1_20scan_config_selectorItEEZZNS1_9scan_implILNS1_25lookback_scan_determinismE0ELb0ELb0ES3_N6thrust23THRUST_200600_302600_NS6detail15normal_iteratorINS9_10device_ptrItEEEENS9_16discard_iteratorINS9_11use_defaultEEEtNS9_4plusIvEEtEEDaPvRmT3_T4_T5_mT6_P12ihipStream_tbENKUlT_T0_E_clISt17integral_constantIbLb0EESW_IbLb1EEEEDaSS_ST_EUlSS_E_NS1_11comp_targetILNS1_3genE8ELNS1_11target_archE1030ELNS1_3gpuE2ELNS1_3repE0EEENS1_30default_config_static_selectorELNS0_4arch9wavefront6targetE1EEEvT1_
	.globl	_ZN7rocprim17ROCPRIM_400000_NS6detail17trampoline_kernelINS0_14default_configENS1_20scan_config_selectorItEEZZNS1_9scan_implILNS1_25lookback_scan_determinismE0ELb0ELb0ES3_N6thrust23THRUST_200600_302600_NS6detail15normal_iteratorINS9_10device_ptrItEEEENS9_16discard_iteratorINS9_11use_defaultEEEtNS9_4plusIvEEtEEDaPvRmT3_T4_T5_mT6_P12ihipStream_tbENKUlT_T0_E_clISt17integral_constantIbLb0EESW_IbLb1EEEEDaSS_ST_EUlSS_E_NS1_11comp_targetILNS1_3genE8ELNS1_11target_archE1030ELNS1_3gpuE2ELNS1_3repE0EEENS1_30default_config_static_selectorELNS0_4arch9wavefront6targetE1EEEvT1_
	.p2align	8
	.type	_ZN7rocprim17ROCPRIM_400000_NS6detail17trampoline_kernelINS0_14default_configENS1_20scan_config_selectorItEEZZNS1_9scan_implILNS1_25lookback_scan_determinismE0ELb0ELb0ES3_N6thrust23THRUST_200600_302600_NS6detail15normal_iteratorINS9_10device_ptrItEEEENS9_16discard_iteratorINS9_11use_defaultEEEtNS9_4plusIvEEtEEDaPvRmT3_T4_T5_mT6_P12ihipStream_tbENKUlT_T0_E_clISt17integral_constantIbLb0EESW_IbLb1EEEEDaSS_ST_EUlSS_E_NS1_11comp_targetILNS1_3genE8ELNS1_11target_archE1030ELNS1_3gpuE2ELNS1_3repE0EEENS1_30default_config_static_selectorELNS0_4arch9wavefront6targetE1EEEvT1_,@function
_ZN7rocprim17ROCPRIM_400000_NS6detail17trampoline_kernelINS0_14default_configENS1_20scan_config_selectorItEEZZNS1_9scan_implILNS1_25lookback_scan_determinismE0ELb0ELb0ES3_N6thrust23THRUST_200600_302600_NS6detail15normal_iteratorINS9_10device_ptrItEEEENS9_16discard_iteratorINS9_11use_defaultEEEtNS9_4plusIvEEtEEDaPvRmT3_T4_T5_mT6_P12ihipStream_tbENKUlT_T0_E_clISt17integral_constantIbLb0EESW_IbLb1EEEEDaSS_ST_EUlSS_E_NS1_11comp_targetILNS1_3genE8ELNS1_11target_archE1030ELNS1_3gpuE2ELNS1_3repE0EEENS1_30default_config_static_selectorELNS0_4arch9wavefront6targetE1EEEvT1_: ; @_ZN7rocprim17ROCPRIM_400000_NS6detail17trampoline_kernelINS0_14default_configENS1_20scan_config_selectorItEEZZNS1_9scan_implILNS1_25lookback_scan_determinismE0ELb0ELb0ES3_N6thrust23THRUST_200600_302600_NS6detail15normal_iteratorINS9_10device_ptrItEEEENS9_16discard_iteratorINS9_11use_defaultEEEtNS9_4plusIvEEtEEDaPvRmT3_T4_T5_mT6_P12ihipStream_tbENKUlT_T0_E_clISt17integral_constantIbLb0EESW_IbLb1EEEEDaSS_ST_EUlSS_E_NS1_11comp_targetILNS1_3genE8ELNS1_11target_archE1030ELNS1_3gpuE2ELNS1_3repE0EEENS1_30default_config_static_selectorELNS0_4arch9wavefront6targetE1EEEvT1_
; %bb.0:
	.section	.rodata,"a",@progbits
	.p2align	6, 0x0
	.amdhsa_kernel _ZN7rocprim17ROCPRIM_400000_NS6detail17trampoline_kernelINS0_14default_configENS1_20scan_config_selectorItEEZZNS1_9scan_implILNS1_25lookback_scan_determinismE0ELb0ELb0ES3_N6thrust23THRUST_200600_302600_NS6detail15normal_iteratorINS9_10device_ptrItEEEENS9_16discard_iteratorINS9_11use_defaultEEEtNS9_4plusIvEEtEEDaPvRmT3_T4_T5_mT6_P12ihipStream_tbENKUlT_T0_E_clISt17integral_constantIbLb0EESW_IbLb1EEEEDaSS_ST_EUlSS_E_NS1_11comp_targetILNS1_3genE8ELNS1_11target_archE1030ELNS1_3gpuE2ELNS1_3repE0EEENS1_30default_config_static_selectorELNS0_4arch9wavefront6targetE1EEEvT1_
		.amdhsa_group_segment_fixed_size 0
		.amdhsa_private_segment_fixed_size 0
		.amdhsa_kernarg_size 104
		.amdhsa_user_sgpr_count 6
		.amdhsa_user_sgpr_private_segment_buffer 1
		.amdhsa_user_sgpr_dispatch_ptr 0
		.amdhsa_user_sgpr_queue_ptr 0
		.amdhsa_user_sgpr_kernarg_segment_ptr 1
		.amdhsa_user_sgpr_dispatch_id 0
		.amdhsa_user_sgpr_flat_scratch_init 0
		.amdhsa_user_sgpr_kernarg_preload_length 0
		.amdhsa_user_sgpr_kernarg_preload_offset 0
		.amdhsa_user_sgpr_private_segment_size 0
		.amdhsa_uses_dynamic_stack 0
		.amdhsa_system_sgpr_private_segment_wavefront_offset 0
		.amdhsa_system_sgpr_workgroup_id_x 1
		.amdhsa_system_sgpr_workgroup_id_y 0
		.amdhsa_system_sgpr_workgroup_id_z 0
		.amdhsa_system_sgpr_workgroup_info 0
		.amdhsa_system_vgpr_workitem_id 0
		.amdhsa_next_free_vgpr 1
		.amdhsa_next_free_sgpr 0
		.amdhsa_accum_offset 4
		.amdhsa_reserve_vcc 0
		.amdhsa_reserve_flat_scratch 0
		.amdhsa_float_round_mode_32 0
		.amdhsa_float_round_mode_16_64 0
		.amdhsa_float_denorm_mode_32 3
		.amdhsa_float_denorm_mode_16_64 3
		.amdhsa_dx10_clamp 1
		.amdhsa_ieee_mode 1
		.amdhsa_fp16_overflow 0
		.amdhsa_tg_split 0
		.amdhsa_exception_fp_ieee_invalid_op 0
		.amdhsa_exception_fp_denorm_src 0
		.amdhsa_exception_fp_ieee_div_zero 0
		.amdhsa_exception_fp_ieee_overflow 0
		.amdhsa_exception_fp_ieee_underflow 0
		.amdhsa_exception_fp_ieee_inexact 0
		.amdhsa_exception_int_div_zero 0
	.end_amdhsa_kernel
	.section	.text._ZN7rocprim17ROCPRIM_400000_NS6detail17trampoline_kernelINS0_14default_configENS1_20scan_config_selectorItEEZZNS1_9scan_implILNS1_25lookback_scan_determinismE0ELb0ELb0ES3_N6thrust23THRUST_200600_302600_NS6detail15normal_iteratorINS9_10device_ptrItEEEENS9_16discard_iteratorINS9_11use_defaultEEEtNS9_4plusIvEEtEEDaPvRmT3_T4_T5_mT6_P12ihipStream_tbENKUlT_T0_E_clISt17integral_constantIbLb0EESW_IbLb1EEEEDaSS_ST_EUlSS_E_NS1_11comp_targetILNS1_3genE8ELNS1_11target_archE1030ELNS1_3gpuE2ELNS1_3repE0EEENS1_30default_config_static_selectorELNS0_4arch9wavefront6targetE1EEEvT1_,"axG",@progbits,_ZN7rocprim17ROCPRIM_400000_NS6detail17trampoline_kernelINS0_14default_configENS1_20scan_config_selectorItEEZZNS1_9scan_implILNS1_25lookback_scan_determinismE0ELb0ELb0ES3_N6thrust23THRUST_200600_302600_NS6detail15normal_iteratorINS9_10device_ptrItEEEENS9_16discard_iteratorINS9_11use_defaultEEEtNS9_4plusIvEEtEEDaPvRmT3_T4_T5_mT6_P12ihipStream_tbENKUlT_T0_E_clISt17integral_constantIbLb0EESW_IbLb1EEEEDaSS_ST_EUlSS_E_NS1_11comp_targetILNS1_3genE8ELNS1_11target_archE1030ELNS1_3gpuE2ELNS1_3repE0EEENS1_30default_config_static_selectorELNS0_4arch9wavefront6targetE1EEEvT1_,comdat
.Lfunc_end5500:
	.size	_ZN7rocprim17ROCPRIM_400000_NS6detail17trampoline_kernelINS0_14default_configENS1_20scan_config_selectorItEEZZNS1_9scan_implILNS1_25lookback_scan_determinismE0ELb0ELb0ES3_N6thrust23THRUST_200600_302600_NS6detail15normal_iteratorINS9_10device_ptrItEEEENS9_16discard_iteratorINS9_11use_defaultEEEtNS9_4plusIvEEtEEDaPvRmT3_T4_T5_mT6_P12ihipStream_tbENKUlT_T0_E_clISt17integral_constantIbLb0EESW_IbLb1EEEEDaSS_ST_EUlSS_E_NS1_11comp_targetILNS1_3genE8ELNS1_11target_archE1030ELNS1_3gpuE2ELNS1_3repE0EEENS1_30default_config_static_selectorELNS0_4arch9wavefront6targetE1EEEvT1_, .Lfunc_end5500-_ZN7rocprim17ROCPRIM_400000_NS6detail17trampoline_kernelINS0_14default_configENS1_20scan_config_selectorItEEZZNS1_9scan_implILNS1_25lookback_scan_determinismE0ELb0ELb0ES3_N6thrust23THRUST_200600_302600_NS6detail15normal_iteratorINS9_10device_ptrItEEEENS9_16discard_iteratorINS9_11use_defaultEEEtNS9_4plusIvEEtEEDaPvRmT3_T4_T5_mT6_P12ihipStream_tbENKUlT_T0_E_clISt17integral_constantIbLb0EESW_IbLb1EEEEDaSS_ST_EUlSS_E_NS1_11comp_targetILNS1_3genE8ELNS1_11target_archE1030ELNS1_3gpuE2ELNS1_3repE0EEENS1_30default_config_static_selectorELNS0_4arch9wavefront6targetE1EEEvT1_
                                        ; -- End function
	.section	.AMDGPU.csdata,"",@progbits
; Kernel info:
; codeLenInByte = 0
; NumSgprs: 4
; NumVgprs: 0
; NumAgprs: 0
; TotalNumVgprs: 0
; ScratchSize: 0
; MemoryBound: 0
; FloatMode: 240
; IeeeMode: 1
; LDSByteSize: 0 bytes/workgroup (compile time only)
; SGPRBlocks: 0
; VGPRBlocks: 0
; NumSGPRsForWavesPerEU: 4
; NumVGPRsForWavesPerEU: 1
; AccumOffset: 4
; Occupancy: 8
; WaveLimiterHint : 0
; COMPUTE_PGM_RSRC2:SCRATCH_EN: 0
; COMPUTE_PGM_RSRC2:USER_SGPR: 6
; COMPUTE_PGM_RSRC2:TRAP_HANDLER: 0
; COMPUTE_PGM_RSRC2:TGID_X_EN: 1
; COMPUTE_PGM_RSRC2:TGID_Y_EN: 0
; COMPUTE_PGM_RSRC2:TGID_Z_EN: 0
; COMPUTE_PGM_RSRC2:TIDIG_COMP_CNT: 0
; COMPUTE_PGM_RSRC3_GFX90A:ACCUM_OFFSET: 0
; COMPUTE_PGM_RSRC3_GFX90A:TG_SPLIT: 0
	.section	.text._ZN7rocprim17ROCPRIM_400000_NS6detail17trampoline_kernelINS0_14default_configENS1_20scan_config_selectorItEEZZNS1_9scan_implILNS1_25lookback_scan_determinismE0ELb0ELb0ES3_N6thrust23THRUST_200600_302600_NS6detail15normal_iteratorINS9_10device_ptrItEEEENS9_16discard_iteratorINS9_11use_defaultEEEtNS9_4plusIvEEtEEDaPvRmT3_T4_T5_mT6_P12ihipStream_tbENKUlT_T0_E_clISt17integral_constantIbLb0EESW_IbLb1EEEEDaSS_ST_EUlSS_E0_NS1_11comp_targetILNS1_3genE0ELNS1_11target_archE4294967295ELNS1_3gpuE0ELNS1_3repE0EEENS1_30default_config_static_selectorELNS0_4arch9wavefront6targetE1EEEvT1_,"axG",@progbits,_ZN7rocprim17ROCPRIM_400000_NS6detail17trampoline_kernelINS0_14default_configENS1_20scan_config_selectorItEEZZNS1_9scan_implILNS1_25lookback_scan_determinismE0ELb0ELb0ES3_N6thrust23THRUST_200600_302600_NS6detail15normal_iteratorINS9_10device_ptrItEEEENS9_16discard_iteratorINS9_11use_defaultEEEtNS9_4plusIvEEtEEDaPvRmT3_T4_T5_mT6_P12ihipStream_tbENKUlT_T0_E_clISt17integral_constantIbLb0EESW_IbLb1EEEEDaSS_ST_EUlSS_E0_NS1_11comp_targetILNS1_3genE0ELNS1_11target_archE4294967295ELNS1_3gpuE0ELNS1_3repE0EEENS1_30default_config_static_selectorELNS0_4arch9wavefront6targetE1EEEvT1_,comdat
	.protected	_ZN7rocprim17ROCPRIM_400000_NS6detail17trampoline_kernelINS0_14default_configENS1_20scan_config_selectorItEEZZNS1_9scan_implILNS1_25lookback_scan_determinismE0ELb0ELb0ES3_N6thrust23THRUST_200600_302600_NS6detail15normal_iteratorINS9_10device_ptrItEEEENS9_16discard_iteratorINS9_11use_defaultEEEtNS9_4plusIvEEtEEDaPvRmT3_T4_T5_mT6_P12ihipStream_tbENKUlT_T0_E_clISt17integral_constantIbLb0EESW_IbLb1EEEEDaSS_ST_EUlSS_E0_NS1_11comp_targetILNS1_3genE0ELNS1_11target_archE4294967295ELNS1_3gpuE0ELNS1_3repE0EEENS1_30default_config_static_selectorELNS0_4arch9wavefront6targetE1EEEvT1_ ; -- Begin function _ZN7rocprim17ROCPRIM_400000_NS6detail17trampoline_kernelINS0_14default_configENS1_20scan_config_selectorItEEZZNS1_9scan_implILNS1_25lookback_scan_determinismE0ELb0ELb0ES3_N6thrust23THRUST_200600_302600_NS6detail15normal_iteratorINS9_10device_ptrItEEEENS9_16discard_iteratorINS9_11use_defaultEEEtNS9_4plusIvEEtEEDaPvRmT3_T4_T5_mT6_P12ihipStream_tbENKUlT_T0_E_clISt17integral_constantIbLb0EESW_IbLb1EEEEDaSS_ST_EUlSS_E0_NS1_11comp_targetILNS1_3genE0ELNS1_11target_archE4294967295ELNS1_3gpuE0ELNS1_3repE0EEENS1_30default_config_static_selectorELNS0_4arch9wavefront6targetE1EEEvT1_
	.globl	_ZN7rocprim17ROCPRIM_400000_NS6detail17trampoline_kernelINS0_14default_configENS1_20scan_config_selectorItEEZZNS1_9scan_implILNS1_25lookback_scan_determinismE0ELb0ELb0ES3_N6thrust23THRUST_200600_302600_NS6detail15normal_iteratorINS9_10device_ptrItEEEENS9_16discard_iteratorINS9_11use_defaultEEEtNS9_4plusIvEEtEEDaPvRmT3_T4_T5_mT6_P12ihipStream_tbENKUlT_T0_E_clISt17integral_constantIbLb0EESW_IbLb1EEEEDaSS_ST_EUlSS_E0_NS1_11comp_targetILNS1_3genE0ELNS1_11target_archE4294967295ELNS1_3gpuE0ELNS1_3repE0EEENS1_30default_config_static_selectorELNS0_4arch9wavefront6targetE1EEEvT1_
	.p2align	8
	.type	_ZN7rocprim17ROCPRIM_400000_NS6detail17trampoline_kernelINS0_14default_configENS1_20scan_config_selectorItEEZZNS1_9scan_implILNS1_25lookback_scan_determinismE0ELb0ELb0ES3_N6thrust23THRUST_200600_302600_NS6detail15normal_iteratorINS9_10device_ptrItEEEENS9_16discard_iteratorINS9_11use_defaultEEEtNS9_4plusIvEEtEEDaPvRmT3_T4_T5_mT6_P12ihipStream_tbENKUlT_T0_E_clISt17integral_constantIbLb0EESW_IbLb1EEEEDaSS_ST_EUlSS_E0_NS1_11comp_targetILNS1_3genE0ELNS1_11target_archE4294967295ELNS1_3gpuE0ELNS1_3repE0EEENS1_30default_config_static_selectorELNS0_4arch9wavefront6targetE1EEEvT1_,@function
_ZN7rocprim17ROCPRIM_400000_NS6detail17trampoline_kernelINS0_14default_configENS1_20scan_config_selectorItEEZZNS1_9scan_implILNS1_25lookback_scan_determinismE0ELb0ELb0ES3_N6thrust23THRUST_200600_302600_NS6detail15normal_iteratorINS9_10device_ptrItEEEENS9_16discard_iteratorINS9_11use_defaultEEEtNS9_4plusIvEEtEEDaPvRmT3_T4_T5_mT6_P12ihipStream_tbENKUlT_T0_E_clISt17integral_constantIbLb0EESW_IbLb1EEEEDaSS_ST_EUlSS_E0_NS1_11comp_targetILNS1_3genE0ELNS1_11target_archE4294967295ELNS1_3gpuE0ELNS1_3repE0EEENS1_30default_config_static_selectorELNS0_4arch9wavefront6targetE1EEEvT1_: ; @_ZN7rocprim17ROCPRIM_400000_NS6detail17trampoline_kernelINS0_14default_configENS1_20scan_config_selectorItEEZZNS1_9scan_implILNS1_25lookback_scan_determinismE0ELb0ELb0ES3_N6thrust23THRUST_200600_302600_NS6detail15normal_iteratorINS9_10device_ptrItEEEENS9_16discard_iteratorINS9_11use_defaultEEEtNS9_4plusIvEEtEEDaPvRmT3_T4_T5_mT6_P12ihipStream_tbENKUlT_T0_E_clISt17integral_constantIbLb0EESW_IbLb1EEEEDaSS_ST_EUlSS_E0_NS1_11comp_targetILNS1_3genE0ELNS1_11target_archE4294967295ELNS1_3gpuE0ELNS1_3repE0EEENS1_30default_config_static_selectorELNS0_4arch9wavefront6targetE1EEEvT1_
; %bb.0:
	.section	.rodata,"a",@progbits
	.p2align	6, 0x0
	.amdhsa_kernel _ZN7rocprim17ROCPRIM_400000_NS6detail17trampoline_kernelINS0_14default_configENS1_20scan_config_selectorItEEZZNS1_9scan_implILNS1_25lookback_scan_determinismE0ELb0ELb0ES3_N6thrust23THRUST_200600_302600_NS6detail15normal_iteratorINS9_10device_ptrItEEEENS9_16discard_iteratorINS9_11use_defaultEEEtNS9_4plusIvEEtEEDaPvRmT3_T4_T5_mT6_P12ihipStream_tbENKUlT_T0_E_clISt17integral_constantIbLb0EESW_IbLb1EEEEDaSS_ST_EUlSS_E0_NS1_11comp_targetILNS1_3genE0ELNS1_11target_archE4294967295ELNS1_3gpuE0ELNS1_3repE0EEENS1_30default_config_static_selectorELNS0_4arch9wavefront6targetE1EEEvT1_
		.amdhsa_group_segment_fixed_size 0
		.amdhsa_private_segment_fixed_size 0
		.amdhsa_kernarg_size 40
		.amdhsa_user_sgpr_count 6
		.amdhsa_user_sgpr_private_segment_buffer 1
		.amdhsa_user_sgpr_dispatch_ptr 0
		.amdhsa_user_sgpr_queue_ptr 0
		.amdhsa_user_sgpr_kernarg_segment_ptr 1
		.amdhsa_user_sgpr_dispatch_id 0
		.amdhsa_user_sgpr_flat_scratch_init 0
		.amdhsa_user_sgpr_kernarg_preload_length 0
		.amdhsa_user_sgpr_kernarg_preload_offset 0
		.amdhsa_user_sgpr_private_segment_size 0
		.amdhsa_uses_dynamic_stack 0
		.amdhsa_system_sgpr_private_segment_wavefront_offset 0
		.amdhsa_system_sgpr_workgroup_id_x 1
		.amdhsa_system_sgpr_workgroup_id_y 0
		.amdhsa_system_sgpr_workgroup_id_z 0
		.amdhsa_system_sgpr_workgroup_info 0
		.amdhsa_system_vgpr_workitem_id 0
		.amdhsa_next_free_vgpr 1
		.amdhsa_next_free_sgpr 0
		.amdhsa_accum_offset 4
		.amdhsa_reserve_vcc 0
		.amdhsa_reserve_flat_scratch 0
		.amdhsa_float_round_mode_32 0
		.amdhsa_float_round_mode_16_64 0
		.amdhsa_float_denorm_mode_32 3
		.amdhsa_float_denorm_mode_16_64 3
		.amdhsa_dx10_clamp 1
		.amdhsa_ieee_mode 1
		.amdhsa_fp16_overflow 0
		.amdhsa_tg_split 0
		.amdhsa_exception_fp_ieee_invalid_op 0
		.amdhsa_exception_fp_denorm_src 0
		.amdhsa_exception_fp_ieee_div_zero 0
		.amdhsa_exception_fp_ieee_overflow 0
		.amdhsa_exception_fp_ieee_underflow 0
		.amdhsa_exception_fp_ieee_inexact 0
		.amdhsa_exception_int_div_zero 0
	.end_amdhsa_kernel
	.section	.text._ZN7rocprim17ROCPRIM_400000_NS6detail17trampoline_kernelINS0_14default_configENS1_20scan_config_selectorItEEZZNS1_9scan_implILNS1_25lookback_scan_determinismE0ELb0ELb0ES3_N6thrust23THRUST_200600_302600_NS6detail15normal_iteratorINS9_10device_ptrItEEEENS9_16discard_iteratorINS9_11use_defaultEEEtNS9_4plusIvEEtEEDaPvRmT3_T4_T5_mT6_P12ihipStream_tbENKUlT_T0_E_clISt17integral_constantIbLb0EESW_IbLb1EEEEDaSS_ST_EUlSS_E0_NS1_11comp_targetILNS1_3genE0ELNS1_11target_archE4294967295ELNS1_3gpuE0ELNS1_3repE0EEENS1_30default_config_static_selectorELNS0_4arch9wavefront6targetE1EEEvT1_,"axG",@progbits,_ZN7rocprim17ROCPRIM_400000_NS6detail17trampoline_kernelINS0_14default_configENS1_20scan_config_selectorItEEZZNS1_9scan_implILNS1_25lookback_scan_determinismE0ELb0ELb0ES3_N6thrust23THRUST_200600_302600_NS6detail15normal_iteratorINS9_10device_ptrItEEEENS9_16discard_iteratorINS9_11use_defaultEEEtNS9_4plusIvEEtEEDaPvRmT3_T4_T5_mT6_P12ihipStream_tbENKUlT_T0_E_clISt17integral_constantIbLb0EESW_IbLb1EEEEDaSS_ST_EUlSS_E0_NS1_11comp_targetILNS1_3genE0ELNS1_11target_archE4294967295ELNS1_3gpuE0ELNS1_3repE0EEENS1_30default_config_static_selectorELNS0_4arch9wavefront6targetE1EEEvT1_,comdat
.Lfunc_end5501:
	.size	_ZN7rocprim17ROCPRIM_400000_NS6detail17trampoline_kernelINS0_14default_configENS1_20scan_config_selectorItEEZZNS1_9scan_implILNS1_25lookback_scan_determinismE0ELb0ELb0ES3_N6thrust23THRUST_200600_302600_NS6detail15normal_iteratorINS9_10device_ptrItEEEENS9_16discard_iteratorINS9_11use_defaultEEEtNS9_4plusIvEEtEEDaPvRmT3_T4_T5_mT6_P12ihipStream_tbENKUlT_T0_E_clISt17integral_constantIbLb0EESW_IbLb1EEEEDaSS_ST_EUlSS_E0_NS1_11comp_targetILNS1_3genE0ELNS1_11target_archE4294967295ELNS1_3gpuE0ELNS1_3repE0EEENS1_30default_config_static_selectorELNS0_4arch9wavefront6targetE1EEEvT1_, .Lfunc_end5501-_ZN7rocprim17ROCPRIM_400000_NS6detail17trampoline_kernelINS0_14default_configENS1_20scan_config_selectorItEEZZNS1_9scan_implILNS1_25lookback_scan_determinismE0ELb0ELb0ES3_N6thrust23THRUST_200600_302600_NS6detail15normal_iteratorINS9_10device_ptrItEEEENS9_16discard_iteratorINS9_11use_defaultEEEtNS9_4plusIvEEtEEDaPvRmT3_T4_T5_mT6_P12ihipStream_tbENKUlT_T0_E_clISt17integral_constantIbLb0EESW_IbLb1EEEEDaSS_ST_EUlSS_E0_NS1_11comp_targetILNS1_3genE0ELNS1_11target_archE4294967295ELNS1_3gpuE0ELNS1_3repE0EEENS1_30default_config_static_selectorELNS0_4arch9wavefront6targetE1EEEvT1_
                                        ; -- End function
	.section	.AMDGPU.csdata,"",@progbits
; Kernel info:
; codeLenInByte = 0
; NumSgprs: 4
; NumVgprs: 0
; NumAgprs: 0
; TotalNumVgprs: 0
; ScratchSize: 0
; MemoryBound: 0
; FloatMode: 240
; IeeeMode: 1
; LDSByteSize: 0 bytes/workgroup (compile time only)
; SGPRBlocks: 0
; VGPRBlocks: 0
; NumSGPRsForWavesPerEU: 4
; NumVGPRsForWavesPerEU: 1
; AccumOffset: 4
; Occupancy: 8
; WaveLimiterHint : 0
; COMPUTE_PGM_RSRC2:SCRATCH_EN: 0
; COMPUTE_PGM_RSRC2:USER_SGPR: 6
; COMPUTE_PGM_RSRC2:TRAP_HANDLER: 0
; COMPUTE_PGM_RSRC2:TGID_X_EN: 1
; COMPUTE_PGM_RSRC2:TGID_Y_EN: 0
; COMPUTE_PGM_RSRC2:TGID_Z_EN: 0
; COMPUTE_PGM_RSRC2:TIDIG_COMP_CNT: 0
; COMPUTE_PGM_RSRC3_GFX90A:ACCUM_OFFSET: 0
; COMPUTE_PGM_RSRC3_GFX90A:TG_SPLIT: 0
	.section	.text._ZN7rocprim17ROCPRIM_400000_NS6detail17trampoline_kernelINS0_14default_configENS1_20scan_config_selectorItEEZZNS1_9scan_implILNS1_25lookback_scan_determinismE0ELb0ELb0ES3_N6thrust23THRUST_200600_302600_NS6detail15normal_iteratorINS9_10device_ptrItEEEENS9_16discard_iteratorINS9_11use_defaultEEEtNS9_4plusIvEEtEEDaPvRmT3_T4_T5_mT6_P12ihipStream_tbENKUlT_T0_E_clISt17integral_constantIbLb0EESW_IbLb1EEEEDaSS_ST_EUlSS_E0_NS1_11comp_targetILNS1_3genE5ELNS1_11target_archE942ELNS1_3gpuE9ELNS1_3repE0EEENS1_30default_config_static_selectorELNS0_4arch9wavefront6targetE1EEEvT1_,"axG",@progbits,_ZN7rocprim17ROCPRIM_400000_NS6detail17trampoline_kernelINS0_14default_configENS1_20scan_config_selectorItEEZZNS1_9scan_implILNS1_25lookback_scan_determinismE0ELb0ELb0ES3_N6thrust23THRUST_200600_302600_NS6detail15normal_iteratorINS9_10device_ptrItEEEENS9_16discard_iteratorINS9_11use_defaultEEEtNS9_4plusIvEEtEEDaPvRmT3_T4_T5_mT6_P12ihipStream_tbENKUlT_T0_E_clISt17integral_constantIbLb0EESW_IbLb1EEEEDaSS_ST_EUlSS_E0_NS1_11comp_targetILNS1_3genE5ELNS1_11target_archE942ELNS1_3gpuE9ELNS1_3repE0EEENS1_30default_config_static_selectorELNS0_4arch9wavefront6targetE1EEEvT1_,comdat
	.protected	_ZN7rocprim17ROCPRIM_400000_NS6detail17trampoline_kernelINS0_14default_configENS1_20scan_config_selectorItEEZZNS1_9scan_implILNS1_25lookback_scan_determinismE0ELb0ELb0ES3_N6thrust23THRUST_200600_302600_NS6detail15normal_iteratorINS9_10device_ptrItEEEENS9_16discard_iteratorINS9_11use_defaultEEEtNS9_4plusIvEEtEEDaPvRmT3_T4_T5_mT6_P12ihipStream_tbENKUlT_T0_E_clISt17integral_constantIbLb0EESW_IbLb1EEEEDaSS_ST_EUlSS_E0_NS1_11comp_targetILNS1_3genE5ELNS1_11target_archE942ELNS1_3gpuE9ELNS1_3repE0EEENS1_30default_config_static_selectorELNS0_4arch9wavefront6targetE1EEEvT1_ ; -- Begin function _ZN7rocprim17ROCPRIM_400000_NS6detail17trampoline_kernelINS0_14default_configENS1_20scan_config_selectorItEEZZNS1_9scan_implILNS1_25lookback_scan_determinismE0ELb0ELb0ES3_N6thrust23THRUST_200600_302600_NS6detail15normal_iteratorINS9_10device_ptrItEEEENS9_16discard_iteratorINS9_11use_defaultEEEtNS9_4plusIvEEtEEDaPvRmT3_T4_T5_mT6_P12ihipStream_tbENKUlT_T0_E_clISt17integral_constantIbLb0EESW_IbLb1EEEEDaSS_ST_EUlSS_E0_NS1_11comp_targetILNS1_3genE5ELNS1_11target_archE942ELNS1_3gpuE9ELNS1_3repE0EEENS1_30default_config_static_selectorELNS0_4arch9wavefront6targetE1EEEvT1_
	.globl	_ZN7rocprim17ROCPRIM_400000_NS6detail17trampoline_kernelINS0_14default_configENS1_20scan_config_selectorItEEZZNS1_9scan_implILNS1_25lookback_scan_determinismE0ELb0ELb0ES3_N6thrust23THRUST_200600_302600_NS6detail15normal_iteratorINS9_10device_ptrItEEEENS9_16discard_iteratorINS9_11use_defaultEEEtNS9_4plusIvEEtEEDaPvRmT3_T4_T5_mT6_P12ihipStream_tbENKUlT_T0_E_clISt17integral_constantIbLb0EESW_IbLb1EEEEDaSS_ST_EUlSS_E0_NS1_11comp_targetILNS1_3genE5ELNS1_11target_archE942ELNS1_3gpuE9ELNS1_3repE0EEENS1_30default_config_static_selectorELNS0_4arch9wavefront6targetE1EEEvT1_
	.p2align	8
	.type	_ZN7rocprim17ROCPRIM_400000_NS6detail17trampoline_kernelINS0_14default_configENS1_20scan_config_selectorItEEZZNS1_9scan_implILNS1_25lookback_scan_determinismE0ELb0ELb0ES3_N6thrust23THRUST_200600_302600_NS6detail15normal_iteratorINS9_10device_ptrItEEEENS9_16discard_iteratorINS9_11use_defaultEEEtNS9_4plusIvEEtEEDaPvRmT3_T4_T5_mT6_P12ihipStream_tbENKUlT_T0_E_clISt17integral_constantIbLb0EESW_IbLb1EEEEDaSS_ST_EUlSS_E0_NS1_11comp_targetILNS1_3genE5ELNS1_11target_archE942ELNS1_3gpuE9ELNS1_3repE0EEENS1_30default_config_static_selectorELNS0_4arch9wavefront6targetE1EEEvT1_,@function
_ZN7rocprim17ROCPRIM_400000_NS6detail17trampoline_kernelINS0_14default_configENS1_20scan_config_selectorItEEZZNS1_9scan_implILNS1_25lookback_scan_determinismE0ELb0ELb0ES3_N6thrust23THRUST_200600_302600_NS6detail15normal_iteratorINS9_10device_ptrItEEEENS9_16discard_iteratorINS9_11use_defaultEEEtNS9_4plusIvEEtEEDaPvRmT3_T4_T5_mT6_P12ihipStream_tbENKUlT_T0_E_clISt17integral_constantIbLb0EESW_IbLb1EEEEDaSS_ST_EUlSS_E0_NS1_11comp_targetILNS1_3genE5ELNS1_11target_archE942ELNS1_3gpuE9ELNS1_3repE0EEENS1_30default_config_static_selectorELNS0_4arch9wavefront6targetE1EEEvT1_: ; @_ZN7rocprim17ROCPRIM_400000_NS6detail17trampoline_kernelINS0_14default_configENS1_20scan_config_selectorItEEZZNS1_9scan_implILNS1_25lookback_scan_determinismE0ELb0ELb0ES3_N6thrust23THRUST_200600_302600_NS6detail15normal_iteratorINS9_10device_ptrItEEEENS9_16discard_iteratorINS9_11use_defaultEEEtNS9_4plusIvEEtEEDaPvRmT3_T4_T5_mT6_P12ihipStream_tbENKUlT_T0_E_clISt17integral_constantIbLb0EESW_IbLb1EEEEDaSS_ST_EUlSS_E0_NS1_11comp_targetILNS1_3genE5ELNS1_11target_archE942ELNS1_3gpuE9ELNS1_3repE0EEENS1_30default_config_static_selectorELNS0_4arch9wavefront6targetE1EEEvT1_
; %bb.0:
	.section	.rodata,"a",@progbits
	.p2align	6, 0x0
	.amdhsa_kernel _ZN7rocprim17ROCPRIM_400000_NS6detail17trampoline_kernelINS0_14default_configENS1_20scan_config_selectorItEEZZNS1_9scan_implILNS1_25lookback_scan_determinismE0ELb0ELb0ES3_N6thrust23THRUST_200600_302600_NS6detail15normal_iteratorINS9_10device_ptrItEEEENS9_16discard_iteratorINS9_11use_defaultEEEtNS9_4plusIvEEtEEDaPvRmT3_T4_T5_mT6_P12ihipStream_tbENKUlT_T0_E_clISt17integral_constantIbLb0EESW_IbLb1EEEEDaSS_ST_EUlSS_E0_NS1_11comp_targetILNS1_3genE5ELNS1_11target_archE942ELNS1_3gpuE9ELNS1_3repE0EEENS1_30default_config_static_selectorELNS0_4arch9wavefront6targetE1EEEvT1_
		.amdhsa_group_segment_fixed_size 0
		.amdhsa_private_segment_fixed_size 0
		.amdhsa_kernarg_size 40
		.amdhsa_user_sgpr_count 6
		.amdhsa_user_sgpr_private_segment_buffer 1
		.amdhsa_user_sgpr_dispatch_ptr 0
		.amdhsa_user_sgpr_queue_ptr 0
		.amdhsa_user_sgpr_kernarg_segment_ptr 1
		.amdhsa_user_sgpr_dispatch_id 0
		.amdhsa_user_sgpr_flat_scratch_init 0
		.amdhsa_user_sgpr_kernarg_preload_length 0
		.amdhsa_user_sgpr_kernarg_preload_offset 0
		.amdhsa_user_sgpr_private_segment_size 0
		.amdhsa_uses_dynamic_stack 0
		.amdhsa_system_sgpr_private_segment_wavefront_offset 0
		.amdhsa_system_sgpr_workgroup_id_x 1
		.amdhsa_system_sgpr_workgroup_id_y 0
		.amdhsa_system_sgpr_workgroup_id_z 0
		.amdhsa_system_sgpr_workgroup_info 0
		.amdhsa_system_vgpr_workitem_id 0
		.amdhsa_next_free_vgpr 1
		.amdhsa_next_free_sgpr 0
		.amdhsa_accum_offset 4
		.amdhsa_reserve_vcc 0
		.amdhsa_reserve_flat_scratch 0
		.amdhsa_float_round_mode_32 0
		.amdhsa_float_round_mode_16_64 0
		.amdhsa_float_denorm_mode_32 3
		.amdhsa_float_denorm_mode_16_64 3
		.amdhsa_dx10_clamp 1
		.amdhsa_ieee_mode 1
		.amdhsa_fp16_overflow 0
		.amdhsa_tg_split 0
		.amdhsa_exception_fp_ieee_invalid_op 0
		.amdhsa_exception_fp_denorm_src 0
		.amdhsa_exception_fp_ieee_div_zero 0
		.amdhsa_exception_fp_ieee_overflow 0
		.amdhsa_exception_fp_ieee_underflow 0
		.amdhsa_exception_fp_ieee_inexact 0
		.amdhsa_exception_int_div_zero 0
	.end_amdhsa_kernel
	.section	.text._ZN7rocprim17ROCPRIM_400000_NS6detail17trampoline_kernelINS0_14default_configENS1_20scan_config_selectorItEEZZNS1_9scan_implILNS1_25lookback_scan_determinismE0ELb0ELb0ES3_N6thrust23THRUST_200600_302600_NS6detail15normal_iteratorINS9_10device_ptrItEEEENS9_16discard_iteratorINS9_11use_defaultEEEtNS9_4plusIvEEtEEDaPvRmT3_T4_T5_mT6_P12ihipStream_tbENKUlT_T0_E_clISt17integral_constantIbLb0EESW_IbLb1EEEEDaSS_ST_EUlSS_E0_NS1_11comp_targetILNS1_3genE5ELNS1_11target_archE942ELNS1_3gpuE9ELNS1_3repE0EEENS1_30default_config_static_selectorELNS0_4arch9wavefront6targetE1EEEvT1_,"axG",@progbits,_ZN7rocprim17ROCPRIM_400000_NS6detail17trampoline_kernelINS0_14default_configENS1_20scan_config_selectorItEEZZNS1_9scan_implILNS1_25lookback_scan_determinismE0ELb0ELb0ES3_N6thrust23THRUST_200600_302600_NS6detail15normal_iteratorINS9_10device_ptrItEEEENS9_16discard_iteratorINS9_11use_defaultEEEtNS9_4plusIvEEtEEDaPvRmT3_T4_T5_mT6_P12ihipStream_tbENKUlT_T0_E_clISt17integral_constantIbLb0EESW_IbLb1EEEEDaSS_ST_EUlSS_E0_NS1_11comp_targetILNS1_3genE5ELNS1_11target_archE942ELNS1_3gpuE9ELNS1_3repE0EEENS1_30default_config_static_selectorELNS0_4arch9wavefront6targetE1EEEvT1_,comdat
.Lfunc_end5502:
	.size	_ZN7rocprim17ROCPRIM_400000_NS6detail17trampoline_kernelINS0_14default_configENS1_20scan_config_selectorItEEZZNS1_9scan_implILNS1_25lookback_scan_determinismE0ELb0ELb0ES3_N6thrust23THRUST_200600_302600_NS6detail15normal_iteratorINS9_10device_ptrItEEEENS9_16discard_iteratorINS9_11use_defaultEEEtNS9_4plusIvEEtEEDaPvRmT3_T4_T5_mT6_P12ihipStream_tbENKUlT_T0_E_clISt17integral_constantIbLb0EESW_IbLb1EEEEDaSS_ST_EUlSS_E0_NS1_11comp_targetILNS1_3genE5ELNS1_11target_archE942ELNS1_3gpuE9ELNS1_3repE0EEENS1_30default_config_static_selectorELNS0_4arch9wavefront6targetE1EEEvT1_, .Lfunc_end5502-_ZN7rocprim17ROCPRIM_400000_NS6detail17trampoline_kernelINS0_14default_configENS1_20scan_config_selectorItEEZZNS1_9scan_implILNS1_25lookback_scan_determinismE0ELb0ELb0ES3_N6thrust23THRUST_200600_302600_NS6detail15normal_iteratorINS9_10device_ptrItEEEENS9_16discard_iteratorINS9_11use_defaultEEEtNS9_4plusIvEEtEEDaPvRmT3_T4_T5_mT6_P12ihipStream_tbENKUlT_T0_E_clISt17integral_constantIbLb0EESW_IbLb1EEEEDaSS_ST_EUlSS_E0_NS1_11comp_targetILNS1_3genE5ELNS1_11target_archE942ELNS1_3gpuE9ELNS1_3repE0EEENS1_30default_config_static_selectorELNS0_4arch9wavefront6targetE1EEEvT1_
                                        ; -- End function
	.section	.AMDGPU.csdata,"",@progbits
; Kernel info:
; codeLenInByte = 0
; NumSgprs: 4
; NumVgprs: 0
; NumAgprs: 0
; TotalNumVgprs: 0
; ScratchSize: 0
; MemoryBound: 0
; FloatMode: 240
; IeeeMode: 1
; LDSByteSize: 0 bytes/workgroup (compile time only)
; SGPRBlocks: 0
; VGPRBlocks: 0
; NumSGPRsForWavesPerEU: 4
; NumVGPRsForWavesPerEU: 1
; AccumOffset: 4
; Occupancy: 8
; WaveLimiterHint : 0
; COMPUTE_PGM_RSRC2:SCRATCH_EN: 0
; COMPUTE_PGM_RSRC2:USER_SGPR: 6
; COMPUTE_PGM_RSRC2:TRAP_HANDLER: 0
; COMPUTE_PGM_RSRC2:TGID_X_EN: 1
; COMPUTE_PGM_RSRC2:TGID_Y_EN: 0
; COMPUTE_PGM_RSRC2:TGID_Z_EN: 0
; COMPUTE_PGM_RSRC2:TIDIG_COMP_CNT: 0
; COMPUTE_PGM_RSRC3_GFX90A:ACCUM_OFFSET: 0
; COMPUTE_PGM_RSRC3_GFX90A:TG_SPLIT: 0
	.section	.text._ZN7rocprim17ROCPRIM_400000_NS6detail17trampoline_kernelINS0_14default_configENS1_20scan_config_selectorItEEZZNS1_9scan_implILNS1_25lookback_scan_determinismE0ELb0ELb0ES3_N6thrust23THRUST_200600_302600_NS6detail15normal_iteratorINS9_10device_ptrItEEEENS9_16discard_iteratorINS9_11use_defaultEEEtNS9_4plusIvEEtEEDaPvRmT3_T4_T5_mT6_P12ihipStream_tbENKUlT_T0_E_clISt17integral_constantIbLb0EESW_IbLb1EEEEDaSS_ST_EUlSS_E0_NS1_11comp_targetILNS1_3genE4ELNS1_11target_archE910ELNS1_3gpuE8ELNS1_3repE0EEENS1_30default_config_static_selectorELNS0_4arch9wavefront6targetE1EEEvT1_,"axG",@progbits,_ZN7rocprim17ROCPRIM_400000_NS6detail17trampoline_kernelINS0_14default_configENS1_20scan_config_selectorItEEZZNS1_9scan_implILNS1_25lookback_scan_determinismE0ELb0ELb0ES3_N6thrust23THRUST_200600_302600_NS6detail15normal_iteratorINS9_10device_ptrItEEEENS9_16discard_iteratorINS9_11use_defaultEEEtNS9_4plusIvEEtEEDaPvRmT3_T4_T5_mT6_P12ihipStream_tbENKUlT_T0_E_clISt17integral_constantIbLb0EESW_IbLb1EEEEDaSS_ST_EUlSS_E0_NS1_11comp_targetILNS1_3genE4ELNS1_11target_archE910ELNS1_3gpuE8ELNS1_3repE0EEENS1_30default_config_static_selectorELNS0_4arch9wavefront6targetE1EEEvT1_,comdat
	.protected	_ZN7rocprim17ROCPRIM_400000_NS6detail17trampoline_kernelINS0_14default_configENS1_20scan_config_selectorItEEZZNS1_9scan_implILNS1_25lookback_scan_determinismE0ELb0ELb0ES3_N6thrust23THRUST_200600_302600_NS6detail15normal_iteratorINS9_10device_ptrItEEEENS9_16discard_iteratorINS9_11use_defaultEEEtNS9_4plusIvEEtEEDaPvRmT3_T4_T5_mT6_P12ihipStream_tbENKUlT_T0_E_clISt17integral_constantIbLb0EESW_IbLb1EEEEDaSS_ST_EUlSS_E0_NS1_11comp_targetILNS1_3genE4ELNS1_11target_archE910ELNS1_3gpuE8ELNS1_3repE0EEENS1_30default_config_static_selectorELNS0_4arch9wavefront6targetE1EEEvT1_ ; -- Begin function _ZN7rocprim17ROCPRIM_400000_NS6detail17trampoline_kernelINS0_14default_configENS1_20scan_config_selectorItEEZZNS1_9scan_implILNS1_25lookback_scan_determinismE0ELb0ELb0ES3_N6thrust23THRUST_200600_302600_NS6detail15normal_iteratorINS9_10device_ptrItEEEENS9_16discard_iteratorINS9_11use_defaultEEEtNS9_4plusIvEEtEEDaPvRmT3_T4_T5_mT6_P12ihipStream_tbENKUlT_T0_E_clISt17integral_constantIbLb0EESW_IbLb1EEEEDaSS_ST_EUlSS_E0_NS1_11comp_targetILNS1_3genE4ELNS1_11target_archE910ELNS1_3gpuE8ELNS1_3repE0EEENS1_30default_config_static_selectorELNS0_4arch9wavefront6targetE1EEEvT1_
	.globl	_ZN7rocprim17ROCPRIM_400000_NS6detail17trampoline_kernelINS0_14default_configENS1_20scan_config_selectorItEEZZNS1_9scan_implILNS1_25lookback_scan_determinismE0ELb0ELb0ES3_N6thrust23THRUST_200600_302600_NS6detail15normal_iteratorINS9_10device_ptrItEEEENS9_16discard_iteratorINS9_11use_defaultEEEtNS9_4plusIvEEtEEDaPvRmT3_T4_T5_mT6_P12ihipStream_tbENKUlT_T0_E_clISt17integral_constantIbLb0EESW_IbLb1EEEEDaSS_ST_EUlSS_E0_NS1_11comp_targetILNS1_3genE4ELNS1_11target_archE910ELNS1_3gpuE8ELNS1_3repE0EEENS1_30default_config_static_selectorELNS0_4arch9wavefront6targetE1EEEvT1_
	.p2align	8
	.type	_ZN7rocprim17ROCPRIM_400000_NS6detail17trampoline_kernelINS0_14default_configENS1_20scan_config_selectorItEEZZNS1_9scan_implILNS1_25lookback_scan_determinismE0ELb0ELb0ES3_N6thrust23THRUST_200600_302600_NS6detail15normal_iteratorINS9_10device_ptrItEEEENS9_16discard_iteratorINS9_11use_defaultEEEtNS9_4plusIvEEtEEDaPvRmT3_T4_T5_mT6_P12ihipStream_tbENKUlT_T0_E_clISt17integral_constantIbLb0EESW_IbLb1EEEEDaSS_ST_EUlSS_E0_NS1_11comp_targetILNS1_3genE4ELNS1_11target_archE910ELNS1_3gpuE8ELNS1_3repE0EEENS1_30default_config_static_selectorELNS0_4arch9wavefront6targetE1EEEvT1_,@function
_ZN7rocprim17ROCPRIM_400000_NS6detail17trampoline_kernelINS0_14default_configENS1_20scan_config_selectorItEEZZNS1_9scan_implILNS1_25lookback_scan_determinismE0ELb0ELb0ES3_N6thrust23THRUST_200600_302600_NS6detail15normal_iteratorINS9_10device_ptrItEEEENS9_16discard_iteratorINS9_11use_defaultEEEtNS9_4plusIvEEtEEDaPvRmT3_T4_T5_mT6_P12ihipStream_tbENKUlT_T0_E_clISt17integral_constantIbLb0EESW_IbLb1EEEEDaSS_ST_EUlSS_E0_NS1_11comp_targetILNS1_3genE4ELNS1_11target_archE910ELNS1_3gpuE8ELNS1_3repE0EEENS1_30default_config_static_selectorELNS0_4arch9wavefront6targetE1EEEvT1_: ; @_ZN7rocprim17ROCPRIM_400000_NS6detail17trampoline_kernelINS0_14default_configENS1_20scan_config_selectorItEEZZNS1_9scan_implILNS1_25lookback_scan_determinismE0ELb0ELb0ES3_N6thrust23THRUST_200600_302600_NS6detail15normal_iteratorINS9_10device_ptrItEEEENS9_16discard_iteratorINS9_11use_defaultEEEtNS9_4plusIvEEtEEDaPvRmT3_T4_T5_mT6_P12ihipStream_tbENKUlT_T0_E_clISt17integral_constantIbLb0EESW_IbLb1EEEEDaSS_ST_EUlSS_E0_NS1_11comp_targetILNS1_3genE4ELNS1_11target_archE910ELNS1_3gpuE8ELNS1_3repE0EEENS1_30default_config_static_selectorELNS0_4arch9wavefront6targetE1EEEvT1_
; %bb.0:
	s_load_dwordx4 s[0:3], s[4:5], 0x0
	v_mov_b32_e32 v1, 0
	s_waitcnt lgkmcnt(0)
	global_load_ushort v2, v1, s[0:1]
	v_cmp_gt_u32_e32 vcc, s2, v0
	v_lshlrev_b32_e32 v1, 1, v0
	s_waitcnt vmcnt(0)
	v_mov_b32_e32 v3, v2
	s_and_saveexec_b64 s[4:5], vcc
	s_cbranch_execz .LBB5503_2
; %bb.1:
	global_load_ushort v3, v1, s[0:1]
.LBB5503_2:
	s_or_b64 exec, exec, s[4:5]
	v_or_b32_e32 v4, 64, v0
	v_cmp_gt_u32_e32 vcc, s2, v4
	v_mov_b32_e32 v4, v2
	s_and_saveexec_b64 s[4:5], vcc
	s_cbranch_execz .LBB5503_4
; %bb.3:
	global_load_ushort v4, v1, s[0:1] offset:128
.LBB5503_4:
	s_or_b64 exec, exec, s[4:5]
	v_or_b32_e32 v5, 0x80, v0
	v_cmp_gt_u32_e32 vcc, s2, v5
	v_mov_b32_e32 v5, v2
	s_and_saveexec_b64 s[4:5], vcc
	s_cbranch_execz .LBB5503_6
; %bb.5:
	global_load_ushort v5, v1, s[0:1] offset:256
.LBB5503_6:
	;; [unrolled: 9-line block ×22, first 2 shown]
	s_or_b64 exec, exec, s[4:5]
	v_or_b32_e32 v26, 0x5c0, v0
	v_cmp_gt_u32_e32 vcc, s2, v26
	s_and_saveexec_b64 s[2:3], vcc
	s_cbranch_execz .LBB5503_48
; %bb.47:
	global_load_ushort v2, v1, s[0:1] offset:2944
.LBB5503_48:
	s_or_b64 exec, exec, s[2:3]
	s_waitcnt vmcnt(0)
	ds_write_b16 v1, v3
	ds_write_b16 v1, v4 offset:128
	ds_write_b16 v1, v5 offset:256
	;; [unrolled: 1-line block ×23, first 2 shown]
	v_mad_u32_u24 v6, v0, 46, v1
	s_waitcnt lgkmcnt(0)
	; wave barrier
	s_waitcnt lgkmcnt(0)
	ds_read_b128 v[2:5], v6
	ds_read_b128 v[10:13], v6 offset:16
	ds_read_b128 v[6:9], v6 offset:32
	v_mbcnt_lo_u32_b32 v37, -1, 0
	v_mbcnt_hi_u32_b32 v37, -1, v37
	s_waitcnt lgkmcnt(2)
	v_add_u16_sdwa v14, v2, v2 dst_sel:DWORD dst_unused:UNUSED_PAD src0_sel:WORD_1 src1_sel:DWORD
	v_add_u16_e32 v15, v14, v3
	v_add_u16_sdwa v17, v15, v3 dst_sel:DWORD dst_unused:UNUSED_PAD src0_sel:DWORD src1_sel:WORD_1
	v_add_u16_e32 v19, v17, v4
	v_add_u16_sdwa v21, v19, v4 dst_sel:DWORD dst_unused:UNUSED_PAD src0_sel:DWORD src1_sel:WORD_1
	;; [unrolled: 2-line block ×3, first 2 shown]
	s_waitcnt lgkmcnt(1)
	v_add_u16_e32 v16, v27, v10
	v_add_u16_sdwa v18, v16, v10 dst_sel:DWORD dst_unused:UNUSED_PAD src0_sel:DWORD src1_sel:WORD_1
	v_add_u16_e32 v20, v18, v11
	v_add_u16_sdwa v23, v20, v11 dst_sel:DWORD dst_unused:UNUSED_PAD src0_sel:DWORD src1_sel:WORD_1
	;; [unrolled: 2-line block ×4, first 2 shown]
	s_waitcnt lgkmcnt(0)
	v_add_u16_e32 v22, v33, v6
	v_add_u16_sdwa v25, v22, v6 dst_sel:DWORD dst_unused:UNUSED_PAD src0_sel:DWORD src1_sel:WORD_1
	v_add_u16_e32 v28, v25, v7
	v_add_u16_sdwa v30, v28, v7 dst_sel:DWORD dst_unused:UNUSED_PAD src0_sel:DWORD src1_sel:WORD_1
	;; [unrolled: 2-line block ×4, first 2 shown]
	v_and_b32_e32 v38, 15, v37
	v_cmp_ne_u32_e32 vcc, 0, v38
	v_mov_b32_dpp v39, v36 row_shr:1 row_mask:0xf bank_mask:0xf
	v_cndmask_b32_e32 v39, 0, v39, vcc
	v_add_u16_e32 v39, v39, v36
	v_cmp_lt_u32_e32 vcc, 1, v38
	s_nop 0
	v_mov_b32_dpp v40, v39 row_shr:2 row_mask:0xf bank_mask:0xf
	v_cndmask_b32_e32 v40, 0, v40, vcc
	v_add_u16_e32 v39, v39, v40
	v_cmp_lt_u32_e32 vcc, 3, v38
	; wave barrier
	s_nop 0
	v_mov_b32_dpp v40, v39 row_shr:4 row_mask:0xf bank_mask:0xf
	v_cndmask_b32_e32 v40, 0, v40, vcc
	v_add_u16_e32 v39, v39, v40
	v_cmp_lt_u32_e32 vcc, 7, v38
	s_nop 0
	v_mov_b32_dpp v40, v39 row_shr:8 row_mask:0xf bank_mask:0xf
	v_cndmask_b32_e32 v38, 0, v40, vcc
	v_add_u16_e32 v38, v39, v38
	v_and_b32_e32 v40, 16, v37
	v_cmp_ne_u32_e32 vcc, 0, v40
	v_mov_b32_dpp v39, v38 row_bcast:15 row_mask:0xf bank_mask:0xf
	v_cndmask_b32_e32 v39, 0, v39, vcc
	v_add_u16_e32 v38, v38, v39
	v_cmp_lt_u32_e32 vcc, 31, v37
	s_nop 0
	v_mov_b32_dpp v39, v38 row_bcast:31 row_mask:0xf bank_mask:0xf
	v_cndmask_b32_e32 v39, 0, v39, vcc
	v_add_u16_e32 v38, v38, v39
	v_cmp_eq_u32_e32 vcc, 63, v0
	s_and_saveexec_b64 s[0:1], vcc
	s_cbranch_execz .LBB5503_50
; %bb.49:
	v_mov_b32_e32 v39, 0
	ds_write_b16 v39, v38
.LBB5503_50:
	s_or_b64 exec, exec, s[0:1]
	v_add_u32_e32 v39, -1, v37
	v_and_b32_e32 v40, 64, v37
	v_cmp_lt_i32_e32 vcc, v39, v40
	v_cndmask_b32_e32 v37, v39, v37, vcc
	v_lshlrev_b32_e32 v37, 2, v37
	ds_bpermute_b32 v38, v37, v38
	v_mul_u32_u24_e32 v37, 46, v0
	v_cmp_ne_u32_e32 vcc, 0, v0
	s_waitcnt lgkmcnt(0)
	; wave barrier
	s_waitcnt lgkmcnt(0)
	s_and_saveexec_b64 s[0:1], vcc
	s_cbranch_execz .LBB5503_52
; %bb.51:
	v_add_u16_e32 v0, v2, v38
	v_add_u16_sdwa v14, v0, v2 dst_sel:DWORD dst_unused:UNUSED_PAD src0_sel:DWORD src1_sel:WORD_1
	v_add_u16_e32 v15, v14, v3
	v_add_u16_sdwa v17, v15, v3 dst_sel:DWORD dst_unused:UNUSED_PAD src0_sel:DWORD src1_sel:WORD_1
	;; [unrolled: 2-line block ×12, first 2 shown]
	v_mov_b32_e32 v2, v0
	;;#ASMSTART
	;;#ASMEND
.LBB5503_52:
	s_or_b64 exec, exec, s[0:1]
	s_mov_b32 s0, 0x5040100
	v_add_u32_e32 v6, v1, v37
	v_perm_b32 v5, v27, v24, s0
	v_perm_b32 v4, v21, v19, s0
	;; [unrolled: 1-line block ×4, first 2 shown]
	s_waitcnt lgkmcnt(0)
	; wave barrier
	ds_write_b128 v6, v[2:5]
	v_perm_b32 v3, v33, v31, s0
	v_perm_b32 v2, v29, v26, s0
	;; [unrolled: 1-line block ×4, first 2 shown]
	ds_write_b128 v6, v[0:3] offset:16
	v_perm_b32 v3, v36, v35, s0
	v_perm_b32 v2, v34, v32, s0
	v_perm_b32 v1, v30, v28, s0
	v_perm_b32 v0, v25, v22, s0
	ds_write_b128 v6, v[0:3] offset:32
	s_waitcnt lgkmcnt(0)
	; wave barrier
	s_waitcnt lgkmcnt(0)
	s_endpgm
	.section	.rodata,"a",@progbits
	.p2align	6, 0x0
	.amdhsa_kernel _ZN7rocprim17ROCPRIM_400000_NS6detail17trampoline_kernelINS0_14default_configENS1_20scan_config_selectorItEEZZNS1_9scan_implILNS1_25lookback_scan_determinismE0ELb0ELb0ES3_N6thrust23THRUST_200600_302600_NS6detail15normal_iteratorINS9_10device_ptrItEEEENS9_16discard_iteratorINS9_11use_defaultEEEtNS9_4plusIvEEtEEDaPvRmT3_T4_T5_mT6_P12ihipStream_tbENKUlT_T0_E_clISt17integral_constantIbLb0EESW_IbLb1EEEEDaSS_ST_EUlSS_E0_NS1_11comp_targetILNS1_3genE4ELNS1_11target_archE910ELNS1_3gpuE8ELNS1_3repE0EEENS1_30default_config_static_selectorELNS0_4arch9wavefront6targetE1EEEvT1_
		.amdhsa_group_segment_fixed_size 3072
		.amdhsa_private_segment_fixed_size 0
		.amdhsa_kernarg_size 40
		.amdhsa_user_sgpr_count 6
		.amdhsa_user_sgpr_private_segment_buffer 1
		.amdhsa_user_sgpr_dispatch_ptr 0
		.amdhsa_user_sgpr_queue_ptr 0
		.amdhsa_user_sgpr_kernarg_segment_ptr 1
		.amdhsa_user_sgpr_dispatch_id 0
		.amdhsa_user_sgpr_flat_scratch_init 0
		.amdhsa_user_sgpr_kernarg_preload_length 0
		.amdhsa_user_sgpr_kernarg_preload_offset 0
		.amdhsa_user_sgpr_private_segment_size 0
		.amdhsa_uses_dynamic_stack 0
		.amdhsa_system_sgpr_private_segment_wavefront_offset 0
		.amdhsa_system_sgpr_workgroup_id_x 1
		.amdhsa_system_sgpr_workgroup_id_y 0
		.amdhsa_system_sgpr_workgroup_id_z 0
		.amdhsa_system_sgpr_workgroup_info 0
		.amdhsa_system_vgpr_workitem_id 0
		.amdhsa_next_free_vgpr 41
		.amdhsa_next_free_sgpr 6
		.amdhsa_accum_offset 44
		.amdhsa_reserve_vcc 1
		.amdhsa_reserve_flat_scratch 0
		.amdhsa_float_round_mode_32 0
		.amdhsa_float_round_mode_16_64 0
		.amdhsa_float_denorm_mode_32 3
		.amdhsa_float_denorm_mode_16_64 3
		.amdhsa_dx10_clamp 1
		.amdhsa_ieee_mode 1
		.amdhsa_fp16_overflow 0
		.amdhsa_tg_split 0
		.amdhsa_exception_fp_ieee_invalid_op 0
		.amdhsa_exception_fp_denorm_src 0
		.amdhsa_exception_fp_ieee_div_zero 0
		.amdhsa_exception_fp_ieee_overflow 0
		.amdhsa_exception_fp_ieee_underflow 0
		.amdhsa_exception_fp_ieee_inexact 0
		.amdhsa_exception_int_div_zero 0
	.end_amdhsa_kernel
	.section	.text._ZN7rocprim17ROCPRIM_400000_NS6detail17trampoline_kernelINS0_14default_configENS1_20scan_config_selectorItEEZZNS1_9scan_implILNS1_25lookback_scan_determinismE0ELb0ELb0ES3_N6thrust23THRUST_200600_302600_NS6detail15normal_iteratorINS9_10device_ptrItEEEENS9_16discard_iteratorINS9_11use_defaultEEEtNS9_4plusIvEEtEEDaPvRmT3_T4_T5_mT6_P12ihipStream_tbENKUlT_T0_E_clISt17integral_constantIbLb0EESW_IbLb1EEEEDaSS_ST_EUlSS_E0_NS1_11comp_targetILNS1_3genE4ELNS1_11target_archE910ELNS1_3gpuE8ELNS1_3repE0EEENS1_30default_config_static_selectorELNS0_4arch9wavefront6targetE1EEEvT1_,"axG",@progbits,_ZN7rocprim17ROCPRIM_400000_NS6detail17trampoline_kernelINS0_14default_configENS1_20scan_config_selectorItEEZZNS1_9scan_implILNS1_25lookback_scan_determinismE0ELb0ELb0ES3_N6thrust23THRUST_200600_302600_NS6detail15normal_iteratorINS9_10device_ptrItEEEENS9_16discard_iteratorINS9_11use_defaultEEEtNS9_4plusIvEEtEEDaPvRmT3_T4_T5_mT6_P12ihipStream_tbENKUlT_T0_E_clISt17integral_constantIbLb0EESW_IbLb1EEEEDaSS_ST_EUlSS_E0_NS1_11comp_targetILNS1_3genE4ELNS1_11target_archE910ELNS1_3gpuE8ELNS1_3repE0EEENS1_30default_config_static_selectorELNS0_4arch9wavefront6targetE1EEEvT1_,comdat
.Lfunc_end5503:
	.size	_ZN7rocprim17ROCPRIM_400000_NS6detail17trampoline_kernelINS0_14default_configENS1_20scan_config_selectorItEEZZNS1_9scan_implILNS1_25lookback_scan_determinismE0ELb0ELb0ES3_N6thrust23THRUST_200600_302600_NS6detail15normal_iteratorINS9_10device_ptrItEEEENS9_16discard_iteratorINS9_11use_defaultEEEtNS9_4plusIvEEtEEDaPvRmT3_T4_T5_mT6_P12ihipStream_tbENKUlT_T0_E_clISt17integral_constantIbLb0EESW_IbLb1EEEEDaSS_ST_EUlSS_E0_NS1_11comp_targetILNS1_3genE4ELNS1_11target_archE910ELNS1_3gpuE8ELNS1_3repE0EEENS1_30default_config_static_selectorELNS0_4arch9wavefront6targetE1EEEvT1_, .Lfunc_end5503-_ZN7rocprim17ROCPRIM_400000_NS6detail17trampoline_kernelINS0_14default_configENS1_20scan_config_selectorItEEZZNS1_9scan_implILNS1_25lookback_scan_determinismE0ELb0ELb0ES3_N6thrust23THRUST_200600_302600_NS6detail15normal_iteratorINS9_10device_ptrItEEEENS9_16discard_iteratorINS9_11use_defaultEEEtNS9_4plusIvEEtEEDaPvRmT3_T4_T5_mT6_P12ihipStream_tbENKUlT_T0_E_clISt17integral_constantIbLb0EESW_IbLb1EEEEDaSS_ST_EUlSS_E0_NS1_11comp_targetILNS1_3genE4ELNS1_11target_archE910ELNS1_3gpuE8ELNS1_3repE0EEENS1_30default_config_static_selectorELNS0_4arch9wavefront6targetE1EEEvT1_
                                        ; -- End function
	.section	.AMDGPU.csdata,"",@progbits
; Kernel info:
; codeLenInByte = 1808
; NumSgprs: 10
; NumVgprs: 41
; NumAgprs: 0
; TotalNumVgprs: 41
; ScratchSize: 0
; MemoryBound: 0
; FloatMode: 240
; IeeeMode: 1
; LDSByteSize: 3072 bytes/workgroup (compile time only)
; SGPRBlocks: 1
; VGPRBlocks: 5
; NumSGPRsForWavesPerEU: 10
; NumVGPRsForWavesPerEU: 41
; AccumOffset: 44
; Occupancy: 6
; WaveLimiterHint : 0
; COMPUTE_PGM_RSRC2:SCRATCH_EN: 0
; COMPUTE_PGM_RSRC2:USER_SGPR: 6
; COMPUTE_PGM_RSRC2:TRAP_HANDLER: 0
; COMPUTE_PGM_RSRC2:TGID_X_EN: 1
; COMPUTE_PGM_RSRC2:TGID_Y_EN: 0
; COMPUTE_PGM_RSRC2:TGID_Z_EN: 0
; COMPUTE_PGM_RSRC2:TIDIG_COMP_CNT: 0
; COMPUTE_PGM_RSRC3_GFX90A:ACCUM_OFFSET: 10
; COMPUTE_PGM_RSRC3_GFX90A:TG_SPLIT: 0
	.section	.text._ZN7rocprim17ROCPRIM_400000_NS6detail17trampoline_kernelINS0_14default_configENS1_20scan_config_selectorItEEZZNS1_9scan_implILNS1_25lookback_scan_determinismE0ELb0ELb0ES3_N6thrust23THRUST_200600_302600_NS6detail15normal_iteratorINS9_10device_ptrItEEEENS9_16discard_iteratorINS9_11use_defaultEEEtNS9_4plusIvEEtEEDaPvRmT3_T4_T5_mT6_P12ihipStream_tbENKUlT_T0_E_clISt17integral_constantIbLb0EESW_IbLb1EEEEDaSS_ST_EUlSS_E0_NS1_11comp_targetILNS1_3genE3ELNS1_11target_archE908ELNS1_3gpuE7ELNS1_3repE0EEENS1_30default_config_static_selectorELNS0_4arch9wavefront6targetE1EEEvT1_,"axG",@progbits,_ZN7rocprim17ROCPRIM_400000_NS6detail17trampoline_kernelINS0_14default_configENS1_20scan_config_selectorItEEZZNS1_9scan_implILNS1_25lookback_scan_determinismE0ELb0ELb0ES3_N6thrust23THRUST_200600_302600_NS6detail15normal_iteratorINS9_10device_ptrItEEEENS9_16discard_iteratorINS9_11use_defaultEEEtNS9_4plusIvEEtEEDaPvRmT3_T4_T5_mT6_P12ihipStream_tbENKUlT_T0_E_clISt17integral_constantIbLb0EESW_IbLb1EEEEDaSS_ST_EUlSS_E0_NS1_11comp_targetILNS1_3genE3ELNS1_11target_archE908ELNS1_3gpuE7ELNS1_3repE0EEENS1_30default_config_static_selectorELNS0_4arch9wavefront6targetE1EEEvT1_,comdat
	.protected	_ZN7rocprim17ROCPRIM_400000_NS6detail17trampoline_kernelINS0_14default_configENS1_20scan_config_selectorItEEZZNS1_9scan_implILNS1_25lookback_scan_determinismE0ELb0ELb0ES3_N6thrust23THRUST_200600_302600_NS6detail15normal_iteratorINS9_10device_ptrItEEEENS9_16discard_iteratorINS9_11use_defaultEEEtNS9_4plusIvEEtEEDaPvRmT3_T4_T5_mT6_P12ihipStream_tbENKUlT_T0_E_clISt17integral_constantIbLb0EESW_IbLb1EEEEDaSS_ST_EUlSS_E0_NS1_11comp_targetILNS1_3genE3ELNS1_11target_archE908ELNS1_3gpuE7ELNS1_3repE0EEENS1_30default_config_static_selectorELNS0_4arch9wavefront6targetE1EEEvT1_ ; -- Begin function _ZN7rocprim17ROCPRIM_400000_NS6detail17trampoline_kernelINS0_14default_configENS1_20scan_config_selectorItEEZZNS1_9scan_implILNS1_25lookback_scan_determinismE0ELb0ELb0ES3_N6thrust23THRUST_200600_302600_NS6detail15normal_iteratorINS9_10device_ptrItEEEENS9_16discard_iteratorINS9_11use_defaultEEEtNS9_4plusIvEEtEEDaPvRmT3_T4_T5_mT6_P12ihipStream_tbENKUlT_T0_E_clISt17integral_constantIbLb0EESW_IbLb1EEEEDaSS_ST_EUlSS_E0_NS1_11comp_targetILNS1_3genE3ELNS1_11target_archE908ELNS1_3gpuE7ELNS1_3repE0EEENS1_30default_config_static_selectorELNS0_4arch9wavefront6targetE1EEEvT1_
	.globl	_ZN7rocprim17ROCPRIM_400000_NS6detail17trampoline_kernelINS0_14default_configENS1_20scan_config_selectorItEEZZNS1_9scan_implILNS1_25lookback_scan_determinismE0ELb0ELb0ES3_N6thrust23THRUST_200600_302600_NS6detail15normal_iteratorINS9_10device_ptrItEEEENS9_16discard_iteratorINS9_11use_defaultEEEtNS9_4plusIvEEtEEDaPvRmT3_T4_T5_mT6_P12ihipStream_tbENKUlT_T0_E_clISt17integral_constantIbLb0EESW_IbLb1EEEEDaSS_ST_EUlSS_E0_NS1_11comp_targetILNS1_3genE3ELNS1_11target_archE908ELNS1_3gpuE7ELNS1_3repE0EEENS1_30default_config_static_selectorELNS0_4arch9wavefront6targetE1EEEvT1_
	.p2align	8
	.type	_ZN7rocprim17ROCPRIM_400000_NS6detail17trampoline_kernelINS0_14default_configENS1_20scan_config_selectorItEEZZNS1_9scan_implILNS1_25lookback_scan_determinismE0ELb0ELb0ES3_N6thrust23THRUST_200600_302600_NS6detail15normal_iteratorINS9_10device_ptrItEEEENS9_16discard_iteratorINS9_11use_defaultEEEtNS9_4plusIvEEtEEDaPvRmT3_T4_T5_mT6_P12ihipStream_tbENKUlT_T0_E_clISt17integral_constantIbLb0EESW_IbLb1EEEEDaSS_ST_EUlSS_E0_NS1_11comp_targetILNS1_3genE3ELNS1_11target_archE908ELNS1_3gpuE7ELNS1_3repE0EEENS1_30default_config_static_selectorELNS0_4arch9wavefront6targetE1EEEvT1_,@function
_ZN7rocprim17ROCPRIM_400000_NS6detail17trampoline_kernelINS0_14default_configENS1_20scan_config_selectorItEEZZNS1_9scan_implILNS1_25lookback_scan_determinismE0ELb0ELb0ES3_N6thrust23THRUST_200600_302600_NS6detail15normal_iteratorINS9_10device_ptrItEEEENS9_16discard_iteratorINS9_11use_defaultEEEtNS9_4plusIvEEtEEDaPvRmT3_T4_T5_mT6_P12ihipStream_tbENKUlT_T0_E_clISt17integral_constantIbLb0EESW_IbLb1EEEEDaSS_ST_EUlSS_E0_NS1_11comp_targetILNS1_3genE3ELNS1_11target_archE908ELNS1_3gpuE7ELNS1_3repE0EEENS1_30default_config_static_selectorELNS0_4arch9wavefront6targetE1EEEvT1_: ; @_ZN7rocprim17ROCPRIM_400000_NS6detail17trampoline_kernelINS0_14default_configENS1_20scan_config_selectorItEEZZNS1_9scan_implILNS1_25lookback_scan_determinismE0ELb0ELb0ES3_N6thrust23THRUST_200600_302600_NS6detail15normal_iteratorINS9_10device_ptrItEEEENS9_16discard_iteratorINS9_11use_defaultEEEtNS9_4plusIvEEtEEDaPvRmT3_T4_T5_mT6_P12ihipStream_tbENKUlT_T0_E_clISt17integral_constantIbLb0EESW_IbLb1EEEEDaSS_ST_EUlSS_E0_NS1_11comp_targetILNS1_3genE3ELNS1_11target_archE908ELNS1_3gpuE7ELNS1_3repE0EEENS1_30default_config_static_selectorELNS0_4arch9wavefront6targetE1EEEvT1_
; %bb.0:
	.section	.rodata,"a",@progbits
	.p2align	6, 0x0
	.amdhsa_kernel _ZN7rocprim17ROCPRIM_400000_NS6detail17trampoline_kernelINS0_14default_configENS1_20scan_config_selectorItEEZZNS1_9scan_implILNS1_25lookback_scan_determinismE0ELb0ELb0ES3_N6thrust23THRUST_200600_302600_NS6detail15normal_iteratorINS9_10device_ptrItEEEENS9_16discard_iteratorINS9_11use_defaultEEEtNS9_4plusIvEEtEEDaPvRmT3_T4_T5_mT6_P12ihipStream_tbENKUlT_T0_E_clISt17integral_constantIbLb0EESW_IbLb1EEEEDaSS_ST_EUlSS_E0_NS1_11comp_targetILNS1_3genE3ELNS1_11target_archE908ELNS1_3gpuE7ELNS1_3repE0EEENS1_30default_config_static_selectorELNS0_4arch9wavefront6targetE1EEEvT1_
		.amdhsa_group_segment_fixed_size 0
		.amdhsa_private_segment_fixed_size 0
		.amdhsa_kernarg_size 40
		.amdhsa_user_sgpr_count 6
		.amdhsa_user_sgpr_private_segment_buffer 1
		.amdhsa_user_sgpr_dispatch_ptr 0
		.amdhsa_user_sgpr_queue_ptr 0
		.amdhsa_user_sgpr_kernarg_segment_ptr 1
		.amdhsa_user_sgpr_dispatch_id 0
		.amdhsa_user_sgpr_flat_scratch_init 0
		.amdhsa_user_sgpr_kernarg_preload_length 0
		.amdhsa_user_sgpr_kernarg_preload_offset 0
		.amdhsa_user_sgpr_private_segment_size 0
		.amdhsa_uses_dynamic_stack 0
		.amdhsa_system_sgpr_private_segment_wavefront_offset 0
		.amdhsa_system_sgpr_workgroup_id_x 1
		.amdhsa_system_sgpr_workgroup_id_y 0
		.amdhsa_system_sgpr_workgroup_id_z 0
		.amdhsa_system_sgpr_workgroup_info 0
		.amdhsa_system_vgpr_workitem_id 0
		.amdhsa_next_free_vgpr 1
		.amdhsa_next_free_sgpr 0
		.amdhsa_accum_offset 4
		.amdhsa_reserve_vcc 0
		.amdhsa_reserve_flat_scratch 0
		.amdhsa_float_round_mode_32 0
		.amdhsa_float_round_mode_16_64 0
		.amdhsa_float_denorm_mode_32 3
		.amdhsa_float_denorm_mode_16_64 3
		.amdhsa_dx10_clamp 1
		.amdhsa_ieee_mode 1
		.amdhsa_fp16_overflow 0
		.amdhsa_tg_split 0
		.amdhsa_exception_fp_ieee_invalid_op 0
		.amdhsa_exception_fp_denorm_src 0
		.amdhsa_exception_fp_ieee_div_zero 0
		.amdhsa_exception_fp_ieee_overflow 0
		.amdhsa_exception_fp_ieee_underflow 0
		.amdhsa_exception_fp_ieee_inexact 0
		.amdhsa_exception_int_div_zero 0
	.end_amdhsa_kernel
	.section	.text._ZN7rocprim17ROCPRIM_400000_NS6detail17trampoline_kernelINS0_14default_configENS1_20scan_config_selectorItEEZZNS1_9scan_implILNS1_25lookback_scan_determinismE0ELb0ELb0ES3_N6thrust23THRUST_200600_302600_NS6detail15normal_iteratorINS9_10device_ptrItEEEENS9_16discard_iteratorINS9_11use_defaultEEEtNS9_4plusIvEEtEEDaPvRmT3_T4_T5_mT6_P12ihipStream_tbENKUlT_T0_E_clISt17integral_constantIbLb0EESW_IbLb1EEEEDaSS_ST_EUlSS_E0_NS1_11comp_targetILNS1_3genE3ELNS1_11target_archE908ELNS1_3gpuE7ELNS1_3repE0EEENS1_30default_config_static_selectorELNS0_4arch9wavefront6targetE1EEEvT1_,"axG",@progbits,_ZN7rocprim17ROCPRIM_400000_NS6detail17trampoline_kernelINS0_14default_configENS1_20scan_config_selectorItEEZZNS1_9scan_implILNS1_25lookback_scan_determinismE0ELb0ELb0ES3_N6thrust23THRUST_200600_302600_NS6detail15normal_iteratorINS9_10device_ptrItEEEENS9_16discard_iteratorINS9_11use_defaultEEEtNS9_4plusIvEEtEEDaPvRmT3_T4_T5_mT6_P12ihipStream_tbENKUlT_T0_E_clISt17integral_constantIbLb0EESW_IbLb1EEEEDaSS_ST_EUlSS_E0_NS1_11comp_targetILNS1_3genE3ELNS1_11target_archE908ELNS1_3gpuE7ELNS1_3repE0EEENS1_30default_config_static_selectorELNS0_4arch9wavefront6targetE1EEEvT1_,comdat
.Lfunc_end5504:
	.size	_ZN7rocprim17ROCPRIM_400000_NS6detail17trampoline_kernelINS0_14default_configENS1_20scan_config_selectorItEEZZNS1_9scan_implILNS1_25lookback_scan_determinismE0ELb0ELb0ES3_N6thrust23THRUST_200600_302600_NS6detail15normal_iteratorINS9_10device_ptrItEEEENS9_16discard_iteratorINS9_11use_defaultEEEtNS9_4plusIvEEtEEDaPvRmT3_T4_T5_mT6_P12ihipStream_tbENKUlT_T0_E_clISt17integral_constantIbLb0EESW_IbLb1EEEEDaSS_ST_EUlSS_E0_NS1_11comp_targetILNS1_3genE3ELNS1_11target_archE908ELNS1_3gpuE7ELNS1_3repE0EEENS1_30default_config_static_selectorELNS0_4arch9wavefront6targetE1EEEvT1_, .Lfunc_end5504-_ZN7rocprim17ROCPRIM_400000_NS6detail17trampoline_kernelINS0_14default_configENS1_20scan_config_selectorItEEZZNS1_9scan_implILNS1_25lookback_scan_determinismE0ELb0ELb0ES3_N6thrust23THRUST_200600_302600_NS6detail15normal_iteratorINS9_10device_ptrItEEEENS9_16discard_iteratorINS9_11use_defaultEEEtNS9_4plusIvEEtEEDaPvRmT3_T4_T5_mT6_P12ihipStream_tbENKUlT_T0_E_clISt17integral_constantIbLb0EESW_IbLb1EEEEDaSS_ST_EUlSS_E0_NS1_11comp_targetILNS1_3genE3ELNS1_11target_archE908ELNS1_3gpuE7ELNS1_3repE0EEENS1_30default_config_static_selectorELNS0_4arch9wavefront6targetE1EEEvT1_
                                        ; -- End function
	.section	.AMDGPU.csdata,"",@progbits
; Kernel info:
; codeLenInByte = 0
; NumSgprs: 4
; NumVgprs: 0
; NumAgprs: 0
; TotalNumVgprs: 0
; ScratchSize: 0
; MemoryBound: 0
; FloatMode: 240
; IeeeMode: 1
; LDSByteSize: 0 bytes/workgroup (compile time only)
; SGPRBlocks: 0
; VGPRBlocks: 0
; NumSGPRsForWavesPerEU: 4
; NumVGPRsForWavesPerEU: 1
; AccumOffset: 4
; Occupancy: 8
; WaveLimiterHint : 0
; COMPUTE_PGM_RSRC2:SCRATCH_EN: 0
; COMPUTE_PGM_RSRC2:USER_SGPR: 6
; COMPUTE_PGM_RSRC2:TRAP_HANDLER: 0
; COMPUTE_PGM_RSRC2:TGID_X_EN: 1
; COMPUTE_PGM_RSRC2:TGID_Y_EN: 0
; COMPUTE_PGM_RSRC2:TGID_Z_EN: 0
; COMPUTE_PGM_RSRC2:TIDIG_COMP_CNT: 0
; COMPUTE_PGM_RSRC3_GFX90A:ACCUM_OFFSET: 0
; COMPUTE_PGM_RSRC3_GFX90A:TG_SPLIT: 0
	.section	.text._ZN7rocprim17ROCPRIM_400000_NS6detail17trampoline_kernelINS0_14default_configENS1_20scan_config_selectorItEEZZNS1_9scan_implILNS1_25lookback_scan_determinismE0ELb0ELb0ES3_N6thrust23THRUST_200600_302600_NS6detail15normal_iteratorINS9_10device_ptrItEEEENS9_16discard_iteratorINS9_11use_defaultEEEtNS9_4plusIvEEtEEDaPvRmT3_T4_T5_mT6_P12ihipStream_tbENKUlT_T0_E_clISt17integral_constantIbLb0EESW_IbLb1EEEEDaSS_ST_EUlSS_E0_NS1_11comp_targetILNS1_3genE2ELNS1_11target_archE906ELNS1_3gpuE6ELNS1_3repE0EEENS1_30default_config_static_selectorELNS0_4arch9wavefront6targetE1EEEvT1_,"axG",@progbits,_ZN7rocprim17ROCPRIM_400000_NS6detail17trampoline_kernelINS0_14default_configENS1_20scan_config_selectorItEEZZNS1_9scan_implILNS1_25lookback_scan_determinismE0ELb0ELb0ES3_N6thrust23THRUST_200600_302600_NS6detail15normal_iteratorINS9_10device_ptrItEEEENS9_16discard_iteratorINS9_11use_defaultEEEtNS9_4plusIvEEtEEDaPvRmT3_T4_T5_mT6_P12ihipStream_tbENKUlT_T0_E_clISt17integral_constantIbLb0EESW_IbLb1EEEEDaSS_ST_EUlSS_E0_NS1_11comp_targetILNS1_3genE2ELNS1_11target_archE906ELNS1_3gpuE6ELNS1_3repE0EEENS1_30default_config_static_selectorELNS0_4arch9wavefront6targetE1EEEvT1_,comdat
	.protected	_ZN7rocprim17ROCPRIM_400000_NS6detail17trampoline_kernelINS0_14default_configENS1_20scan_config_selectorItEEZZNS1_9scan_implILNS1_25lookback_scan_determinismE0ELb0ELb0ES3_N6thrust23THRUST_200600_302600_NS6detail15normal_iteratorINS9_10device_ptrItEEEENS9_16discard_iteratorINS9_11use_defaultEEEtNS9_4plusIvEEtEEDaPvRmT3_T4_T5_mT6_P12ihipStream_tbENKUlT_T0_E_clISt17integral_constantIbLb0EESW_IbLb1EEEEDaSS_ST_EUlSS_E0_NS1_11comp_targetILNS1_3genE2ELNS1_11target_archE906ELNS1_3gpuE6ELNS1_3repE0EEENS1_30default_config_static_selectorELNS0_4arch9wavefront6targetE1EEEvT1_ ; -- Begin function _ZN7rocprim17ROCPRIM_400000_NS6detail17trampoline_kernelINS0_14default_configENS1_20scan_config_selectorItEEZZNS1_9scan_implILNS1_25lookback_scan_determinismE0ELb0ELb0ES3_N6thrust23THRUST_200600_302600_NS6detail15normal_iteratorINS9_10device_ptrItEEEENS9_16discard_iteratorINS9_11use_defaultEEEtNS9_4plusIvEEtEEDaPvRmT3_T4_T5_mT6_P12ihipStream_tbENKUlT_T0_E_clISt17integral_constantIbLb0EESW_IbLb1EEEEDaSS_ST_EUlSS_E0_NS1_11comp_targetILNS1_3genE2ELNS1_11target_archE906ELNS1_3gpuE6ELNS1_3repE0EEENS1_30default_config_static_selectorELNS0_4arch9wavefront6targetE1EEEvT1_
	.globl	_ZN7rocprim17ROCPRIM_400000_NS6detail17trampoline_kernelINS0_14default_configENS1_20scan_config_selectorItEEZZNS1_9scan_implILNS1_25lookback_scan_determinismE0ELb0ELb0ES3_N6thrust23THRUST_200600_302600_NS6detail15normal_iteratorINS9_10device_ptrItEEEENS9_16discard_iteratorINS9_11use_defaultEEEtNS9_4plusIvEEtEEDaPvRmT3_T4_T5_mT6_P12ihipStream_tbENKUlT_T0_E_clISt17integral_constantIbLb0EESW_IbLb1EEEEDaSS_ST_EUlSS_E0_NS1_11comp_targetILNS1_3genE2ELNS1_11target_archE906ELNS1_3gpuE6ELNS1_3repE0EEENS1_30default_config_static_selectorELNS0_4arch9wavefront6targetE1EEEvT1_
	.p2align	8
	.type	_ZN7rocprim17ROCPRIM_400000_NS6detail17trampoline_kernelINS0_14default_configENS1_20scan_config_selectorItEEZZNS1_9scan_implILNS1_25lookback_scan_determinismE0ELb0ELb0ES3_N6thrust23THRUST_200600_302600_NS6detail15normal_iteratorINS9_10device_ptrItEEEENS9_16discard_iteratorINS9_11use_defaultEEEtNS9_4plusIvEEtEEDaPvRmT3_T4_T5_mT6_P12ihipStream_tbENKUlT_T0_E_clISt17integral_constantIbLb0EESW_IbLb1EEEEDaSS_ST_EUlSS_E0_NS1_11comp_targetILNS1_3genE2ELNS1_11target_archE906ELNS1_3gpuE6ELNS1_3repE0EEENS1_30default_config_static_selectorELNS0_4arch9wavefront6targetE1EEEvT1_,@function
_ZN7rocprim17ROCPRIM_400000_NS6detail17trampoline_kernelINS0_14default_configENS1_20scan_config_selectorItEEZZNS1_9scan_implILNS1_25lookback_scan_determinismE0ELb0ELb0ES3_N6thrust23THRUST_200600_302600_NS6detail15normal_iteratorINS9_10device_ptrItEEEENS9_16discard_iteratorINS9_11use_defaultEEEtNS9_4plusIvEEtEEDaPvRmT3_T4_T5_mT6_P12ihipStream_tbENKUlT_T0_E_clISt17integral_constantIbLb0EESW_IbLb1EEEEDaSS_ST_EUlSS_E0_NS1_11comp_targetILNS1_3genE2ELNS1_11target_archE906ELNS1_3gpuE6ELNS1_3repE0EEENS1_30default_config_static_selectorELNS0_4arch9wavefront6targetE1EEEvT1_: ; @_ZN7rocprim17ROCPRIM_400000_NS6detail17trampoline_kernelINS0_14default_configENS1_20scan_config_selectorItEEZZNS1_9scan_implILNS1_25lookback_scan_determinismE0ELb0ELb0ES3_N6thrust23THRUST_200600_302600_NS6detail15normal_iteratorINS9_10device_ptrItEEEENS9_16discard_iteratorINS9_11use_defaultEEEtNS9_4plusIvEEtEEDaPvRmT3_T4_T5_mT6_P12ihipStream_tbENKUlT_T0_E_clISt17integral_constantIbLb0EESW_IbLb1EEEEDaSS_ST_EUlSS_E0_NS1_11comp_targetILNS1_3genE2ELNS1_11target_archE906ELNS1_3gpuE6ELNS1_3repE0EEENS1_30default_config_static_selectorELNS0_4arch9wavefront6targetE1EEEvT1_
; %bb.0:
	.section	.rodata,"a",@progbits
	.p2align	6, 0x0
	.amdhsa_kernel _ZN7rocprim17ROCPRIM_400000_NS6detail17trampoline_kernelINS0_14default_configENS1_20scan_config_selectorItEEZZNS1_9scan_implILNS1_25lookback_scan_determinismE0ELb0ELb0ES3_N6thrust23THRUST_200600_302600_NS6detail15normal_iteratorINS9_10device_ptrItEEEENS9_16discard_iteratorINS9_11use_defaultEEEtNS9_4plusIvEEtEEDaPvRmT3_T4_T5_mT6_P12ihipStream_tbENKUlT_T0_E_clISt17integral_constantIbLb0EESW_IbLb1EEEEDaSS_ST_EUlSS_E0_NS1_11comp_targetILNS1_3genE2ELNS1_11target_archE906ELNS1_3gpuE6ELNS1_3repE0EEENS1_30default_config_static_selectorELNS0_4arch9wavefront6targetE1EEEvT1_
		.amdhsa_group_segment_fixed_size 0
		.amdhsa_private_segment_fixed_size 0
		.amdhsa_kernarg_size 40
		.amdhsa_user_sgpr_count 6
		.amdhsa_user_sgpr_private_segment_buffer 1
		.amdhsa_user_sgpr_dispatch_ptr 0
		.amdhsa_user_sgpr_queue_ptr 0
		.amdhsa_user_sgpr_kernarg_segment_ptr 1
		.amdhsa_user_sgpr_dispatch_id 0
		.amdhsa_user_sgpr_flat_scratch_init 0
		.amdhsa_user_sgpr_kernarg_preload_length 0
		.amdhsa_user_sgpr_kernarg_preload_offset 0
		.amdhsa_user_sgpr_private_segment_size 0
		.amdhsa_uses_dynamic_stack 0
		.amdhsa_system_sgpr_private_segment_wavefront_offset 0
		.amdhsa_system_sgpr_workgroup_id_x 1
		.amdhsa_system_sgpr_workgroup_id_y 0
		.amdhsa_system_sgpr_workgroup_id_z 0
		.amdhsa_system_sgpr_workgroup_info 0
		.amdhsa_system_vgpr_workitem_id 0
		.amdhsa_next_free_vgpr 1
		.amdhsa_next_free_sgpr 0
		.amdhsa_accum_offset 4
		.amdhsa_reserve_vcc 0
		.amdhsa_reserve_flat_scratch 0
		.amdhsa_float_round_mode_32 0
		.amdhsa_float_round_mode_16_64 0
		.amdhsa_float_denorm_mode_32 3
		.amdhsa_float_denorm_mode_16_64 3
		.amdhsa_dx10_clamp 1
		.amdhsa_ieee_mode 1
		.amdhsa_fp16_overflow 0
		.amdhsa_tg_split 0
		.amdhsa_exception_fp_ieee_invalid_op 0
		.amdhsa_exception_fp_denorm_src 0
		.amdhsa_exception_fp_ieee_div_zero 0
		.amdhsa_exception_fp_ieee_overflow 0
		.amdhsa_exception_fp_ieee_underflow 0
		.amdhsa_exception_fp_ieee_inexact 0
		.amdhsa_exception_int_div_zero 0
	.end_amdhsa_kernel
	.section	.text._ZN7rocprim17ROCPRIM_400000_NS6detail17trampoline_kernelINS0_14default_configENS1_20scan_config_selectorItEEZZNS1_9scan_implILNS1_25lookback_scan_determinismE0ELb0ELb0ES3_N6thrust23THRUST_200600_302600_NS6detail15normal_iteratorINS9_10device_ptrItEEEENS9_16discard_iteratorINS9_11use_defaultEEEtNS9_4plusIvEEtEEDaPvRmT3_T4_T5_mT6_P12ihipStream_tbENKUlT_T0_E_clISt17integral_constantIbLb0EESW_IbLb1EEEEDaSS_ST_EUlSS_E0_NS1_11comp_targetILNS1_3genE2ELNS1_11target_archE906ELNS1_3gpuE6ELNS1_3repE0EEENS1_30default_config_static_selectorELNS0_4arch9wavefront6targetE1EEEvT1_,"axG",@progbits,_ZN7rocprim17ROCPRIM_400000_NS6detail17trampoline_kernelINS0_14default_configENS1_20scan_config_selectorItEEZZNS1_9scan_implILNS1_25lookback_scan_determinismE0ELb0ELb0ES3_N6thrust23THRUST_200600_302600_NS6detail15normal_iteratorINS9_10device_ptrItEEEENS9_16discard_iteratorINS9_11use_defaultEEEtNS9_4plusIvEEtEEDaPvRmT3_T4_T5_mT6_P12ihipStream_tbENKUlT_T0_E_clISt17integral_constantIbLb0EESW_IbLb1EEEEDaSS_ST_EUlSS_E0_NS1_11comp_targetILNS1_3genE2ELNS1_11target_archE906ELNS1_3gpuE6ELNS1_3repE0EEENS1_30default_config_static_selectorELNS0_4arch9wavefront6targetE1EEEvT1_,comdat
.Lfunc_end5505:
	.size	_ZN7rocprim17ROCPRIM_400000_NS6detail17trampoline_kernelINS0_14default_configENS1_20scan_config_selectorItEEZZNS1_9scan_implILNS1_25lookback_scan_determinismE0ELb0ELb0ES3_N6thrust23THRUST_200600_302600_NS6detail15normal_iteratorINS9_10device_ptrItEEEENS9_16discard_iteratorINS9_11use_defaultEEEtNS9_4plusIvEEtEEDaPvRmT3_T4_T5_mT6_P12ihipStream_tbENKUlT_T0_E_clISt17integral_constantIbLb0EESW_IbLb1EEEEDaSS_ST_EUlSS_E0_NS1_11comp_targetILNS1_3genE2ELNS1_11target_archE906ELNS1_3gpuE6ELNS1_3repE0EEENS1_30default_config_static_selectorELNS0_4arch9wavefront6targetE1EEEvT1_, .Lfunc_end5505-_ZN7rocprim17ROCPRIM_400000_NS6detail17trampoline_kernelINS0_14default_configENS1_20scan_config_selectorItEEZZNS1_9scan_implILNS1_25lookback_scan_determinismE0ELb0ELb0ES3_N6thrust23THRUST_200600_302600_NS6detail15normal_iteratorINS9_10device_ptrItEEEENS9_16discard_iteratorINS9_11use_defaultEEEtNS9_4plusIvEEtEEDaPvRmT3_T4_T5_mT6_P12ihipStream_tbENKUlT_T0_E_clISt17integral_constantIbLb0EESW_IbLb1EEEEDaSS_ST_EUlSS_E0_NS1_11comp_targetILNS1_3genE2ELNS1_11target_archE906ELNS1_3gpuE6ELNS1_3repE0EEENS1_30default_config_static_selectorELNS0_4arch9wavefront6targetE1EEEvT1_
                                        ; -- End function
	.section	.AMDGPU.csdata,"",@progbits
; Kernel info:
; codeLenInByte = 0
; NumSgprs: 4
; NumVgprs: 0
; NumAgprs: 0
; TotalNumVgprs: 0
; ScratchSize: 0
; MemoryBound: 0
; FloatMode: 240
; IeeeMode: 1
; LDSByteSize: 0 bytes/workgroup (compile time only)
; SGPRBlocks: 0
; VGPRBlocks: 0
; NumSGPRsForWavesPerEU: 4
; NumVGPRsForWavesPerEU: 1
; AccumOffset: 4
; Occupancy: 8
; WaveLimiterHint : 0
; COMPUTE_PGM_RSRC2:SCRATCH_EN: 0
; COMPUTE_PGM_RSRC2:USER_SGPR: 6
; COMPUTE_PGM_RSRC2:TRAP_HANDLER: 0
; COMPUTE_PGM_RSRC2:TGID_X_EN: 1
; COMPUTE_PGM_RSRC2:TGID_Y_EN: 0
; COMPUTE_PGM_RSRC2:TGID_Z_EN: 0
; COMPUTE_PGM_RSRC2:TIDIG_COMP_CNT: 0
; COMPUTE_PGM_RSRC3_GFX90A:ACCUM_OFFSET: 0
; COMPUTE_PGM_RSRC3_GFX90A:TG_SPLIT: 0
	.section	.text._ZN7rocprim17ROCPRIM_400000_NS6detail17trampoline_kernelINS0_14default_configENS1_20scan_config_selectorItEEZZNS1_9scan_implILNS1_25lookback_scan_determinismE0ELb0ELb0ES3_N6thrust23THRUST_200600_302600_NS6detail15normal_iteratorINS9_10device_ptrItEEEENS9_16discard_iteratorINS9_11use_defaultEEEtNS9_4plusIvEEtEEDaPvRmT3_T4_T5_mT6_P12ihipStream_tbENKUlT_T0_E_clISt17integral_constantIbLb0EESW_IbLb1EEEEDaSS_ST_EUlSS_E0_NS1_11comp_targetILNS1_3genE10ELNS1_11target_archE1201ELNS1_3gpuE5ELNS1_3repE0EEENS1_30default_config_static_selectorELNS0_4arch9wavefront6targetE1EEEvT1_,"axG",@progbits,_ZN7rocprim17ROCPRIM_400000_NS6detail17trampoline_kernelINS0_14default_configENS1_20scan_config_selectorItEEZZNS1_9scan_implILNS1_25lookback_scan_determinismE0ELb0ELb0ES3_N6thrust23THRUST_200600_302600_NS6detail15normal_iteratorINS9_10device_ptrItEEEENS9_16discard_iteratorINS9_11use_defaultEEEtNS9_4plusIvEEtEEDaPvRmT3_T4_T5_mT6_P12ihipStream_tbENKUlT_T0_E_clISt17integral_constantIbLb0EESW_IbLb1EEEEDaSS_ST_EUlSS_E0_NS1_11comp_targetILNS1_3genE10ELNS1_11target_archE1201ELNS1_3gpuE5ELNS1_3repE0EEENS1_30default_config_static_selectorELNS0_4arch9wavefront6targetE1EEEvT1_,comdat
	.protected	_ZN7rocprim17ROCPRIM_400000_NS6detail17trampoline_kernelINS0_14default_configENS1_20scan_config_selectorItEEZZNS1_9scan_implILNS1_25lookback_scan_determinismE0ELb0ELb0ES3_N6thrust23THRUST_200600_302600_NS6detail15normal_iteratorINS9_10device_ptrItEEEENS9_16discard_iteratorINS9_11use_defaultEEEtNS9_4plusIvEEtEEDaPvRmT3_T4_T5_mT6_P12ihipStream_tbENKUlT_T0_E_clISt17integral_constantIbLb0EESW_IbLb1EEEEDaSS_ST_EUlSS_E0_NS1_11comp_targetILNS1_3genE10ELNS1_11target_archE1201ELNS1_3gpuE5ELNS1_3repE0EEENS1_30default_config_static_selectorELNS0_4arch9wavefront6targetE1EEEvT1_ ; -- Begin function _ZN7rocprim17ROCPRIM_400000_NS6detail17trampoline_kernelINS0_14default_configENS1_20scan_config_selectorItEEZZNS1_9scan_implILNS1_25lookback_scan_determinismE0ELb0ELb0ES3_N6thrust23THRUST_200600_302600_NS6detail15normal_iteratorINS9_10device_ptrItEEEENS9_16discard_iteratorINS9_11use_defaultEEEtNS9_4plusIvEEtEEDaPvRmT3_T4_T5_mT6_P12ihipStream_tbENKUlT_T0_E_clISt17integral_constantIbLb0EESW_IbLb1EEEEDaSS_ST_EUlSS_E0_NS1_11comp_targetILNS1_3genE10ELNS1_11target_archE1201ELNS1_3gpuE5ELNS1_3repE0EEENS1_30default_config_static_selectorELNS0_4arch9wavefront6targetE1EEEvT1_
	.globl	_ZN7rocprim17ROCPRIM_400000_NS6detail17trampoline_kernelINS0_14default_configENS1_20scan_config_selectorItEEZZNS1_9scan_implILNS1_25lookback_scan_determinismE0ELb0ELb0ES3_N6thrust23THRUST_200600_302600_NS6detail15normal_iteratorINS9_10device_ptrItEEEENS9_16discard_iteratorINS9_11use_defaultEEEtNS9_4plusIvEEtEEDaPvRmT3_T4_T5_mT6_P12ihipStream_tbENKUlT_T0_E_clISt17integral_constantIbLb0EESW_IbLb1EEEEDaSS_ST_EUlSS_E0_NS1_11comp_targetILNS1_3genE10ELNS1_11target_archE1201ELNS1_3gpuE5ELNS1_3repE0EEENS1_30default_config_static_selectorELNS0_4arch9wavefront6targetE1EEEvT1_
	.p2align	8
	.type	_ZN7rocprim17ROCPRIM_400000_NS6detail17trampoline_kernelINS0_14default_configENS1_20scan_config_selectorItEEZZNS1_9scan_implILNS1_25lookback_scan_determinismE0ELb0ELb0ES3_N6thrust23THRUST_200600_302600_NS6detail15normal_iteratorINS9_10device_ptrItEEEENS9_16discard_iteratorINS9_11use_defaultEEEtNS9_4plusIvEEtEEDaPvRmT3_T4_T5_mT6_P12ihipStream_tbENKUlT_T0_E_clISt17integral_constantIbLb0EESW_IbLb1EEEEDaSS_ST_EUlSS_E0_NS1_11comp_targetILNS1_3genE10ELNS1_11target_archE1201ELNS1_3gpuE5ELNS1_3repE0EEENS1_30default_config_static_selectorELNS0_4arch9wavefront6targetE1EEEvT1_,@function
_ZN7rocprim17ROCPRIM_400000_NS6detail17trampoline_kernelINS0_14default_configENS1_20scan_config_selectorItEEZZNS1_9scan_implILNS1_25lookback_scan_determinismE0ELb0ELb0ES3_N6thrust23THRUST_200600_302600_NS6detail15normal_iteratorINS9_10device_ptrItEEEENS9_16discard_iteratorINS9_11use_defaultEEEtNS9_4plusIvEEtEEDaPvRmT3_T4_T5_mT6_P12ihipStream_tbENKUlT_T0_E_clISt17integral_constantIbLb0EESW_IbLb1EEEEDaSS_ST_EUlSS_E0_NS1_11comp_targetILNS1_3genE10ELNS1_11target_archE1201ELNS1_3gpuE5ELNS1_3repE0EEENS1_30default_config_static_selectorELNS0_4arch9wavefront6targetE1EEEvT1_: ; @_ZN7rocprim17ROCPRIM_400000_NS6detail17trampoline_kernelINS0_14default_configENS1_20scan_config_selectorItEEZZNS1_9scan_implILNS1_25lookback_scan_determinismE0ELb0ELb0ES3_N6thrust23THRUST_200600_302600_NS6detail15normal_iteratorINS9_10device_ptrItEEEENS9_16discard_iteratorINS9_11use_defaultEEEtNS9_4plusIvEEtEEDaPvRmT3_T4_T5_mT6_P12ihipStream_tbENKUlT_T0_E_clISt17integral_constantIbLb0EESW_IbLb1EEEEDaSS_ST_EUlSS_E0_NS1_11comp_targetILNS1_3genE10ELNS1_11target_archE1201ELNS1_3gpuE5ELNS1_3repE0EEENS1_30default_config_static_selectorELNS0_4arch9wavefront6targetE1EEEvT1_
; %bb.0:
	.section	.rodata,"a",@progbits
	.p2align	6, 0x0
	.amdhsa_kernel _ZN7rocprim17ROCPRIM_400000_NS6detail17trampoline_kernelINS0_14default_configENS1_20scan_config_selectorItEEZZNS1_9scan_implILNS1_25lookback_scan_determinismE0ELb0ELb0ES3_N6thrust23THRUST_200600_302600_NS6detail15normal_iteratorINS9_10device_ptrItEEEENS9_16discard_iteratorINS9_11use_defaultEEEtNS9_4plusIvEEtEEDaPvRmT3_T4_T5_mT6_P12ihipStream_tbENKUlT_T0_E_clISt17integral_constantIbLb0EESW_IbLb1EEEEDaSS_ST_EUlSS_E0_NS1_11comp_targetILNS1_3genE10ELNS1_11target_archE1201ELNS1_3gpuE5ELNS1_3repE0EEENS1_30default_config_static_selectorELNS0_4arch9wavefront6targetE1EEEvT1_
		.amdhsa_group_segment_fixed_size 0
		.amdhsa_private_segment_fixed_size 0
		.amdhsa_kernarg_size 40
		.amdhsa_user_sgpr_count 6
		.amdhsa_user_sgpr_private_segment_buffer 1
		.amdhsa_user_sgpr_dispatch_ptr 0
		.amdhsa_user_sgpr_queue_ptr 0
		.amdhsa_user_sgpr_kernarg_segment_ptr 1
		.amdhsa_user_sgpr_dispatch_id 0
		.amdhsa_user_sgpr_flat_scratch_init 0
		.amdhsa_user_sgpr_kernarg_preload_length 0
		.amdhsa_user_sgpr_kernarg_preload_offset 0
		.amdhsa_user_sgpr_private_segment_size 0
		.amdhsa_uses_dynamic_stack 0
		.amdhsa_system_sgpr_private_segment_wavefront_offset 0
		.amdhsa_system_sgpr_workgroup_id_x 1
		.amdhsa_system_sgpr_workgroup_id_y 0
		.amdhsa_system_sgpr_workgroup_id_z 0
		.amdhsa_system_sgpr_workgroup_info 0
		.amdhsa_system_vgpr_workitem_id 0
		.amdhsa_next_free_vgpr 1
		.amdhsa_next_free_sgpr 0
		.amdhsa_accum_offset 4
		.amdhsa_reserve_vcc 0
		.amdhsa_reserve_flat_scratch 0
		.amdhsa_float_round_mode_32 0
		.amdhsa_float_round_mode_16_64 0
		.amdhsa_float_denorm_mode_32 3
		.amdhsa_float_denorm_mode_16_64 3
		.amdhsa_dx10_clamp 1
		.amdhsa_ieee_mode 1
		.amdhsa_fp16_overflow 0
		.amdhsa_tg_split 0
		.amdhsa_exception_fp_ieee_invalid_op 0
		.amdhsa_exception_fp_denorm_src 0
		.amdhsa_exception_fp_ieee_div_zero 0
		.amdhsa_exception_fp_ieee_overflow 0
		.amdhsa_exception_fp_ieee_underflow 0
		.amdhsa_exception_fp_ieee_inexact 0
		.amdhsa_exception_int_div_zero 0
	.end_amdhsa_kernel
	.section	.text._ZN7rocprim17ROCPRIM_400000_NS6detail17trampoline_kernelINS0_14default_configENS1_20scan_config_selectorItEEZZNS1_9scan_implILNS1_25lookback_scan_determinismE0ELb0ELb0ES3_N6thrust23THRUST_200600_302600_NS6detail15normal_iteratorINS9_10device_ptrItEEEENS9_16discard_iteratorINS9_11use_defaultEEEtNS9_4plusIvEEtEEDaPvRmT3_T4_T5_mT6_P12ihipStream_tbENKUlT_T0_E_clISt17integral_constantIbLb0EESW_IbLb1EEEEDaSS_ST_EUlSS_E0_NS1_11comp_targetILNS1_3genE10ELNS1_11target_archE1201ELNS1_3gpuE5ELNS1_3repE0EEENS1_30default_config_static_selectorELNS0_4arch9wavefront6targetE1EEEvT1_,"axG",@progbits,_ZN7rocprim17ROCPRIM_400000_NS6detail17trampoline_kernelINS0_14default_configENS1_20scan_config_selectorItEEZZNS1_9scan_implILNS1_25lookback_scan_determinismE0ELb0ELb0ES3_N6thrust23THRUST_200600_302600_NS6detail15normal_iteratorINS9_10device_ptrItEEEENS9_16discard_iteratorINS9_11use_defaultEEEtNS9_4plusIvEEtEEDaPvRmT3_T4_T5_mT6_P12ihipStream_tbENKUlT_T0_E_clISt17integral_constantIbLb0EESW_IbLb1EEEEDaSS_ST_EUlSS_E0_NS1_11comp_targetILNS1_3genE10ELNS1_11target_archE1201ELNS1_3gpuE5ELNS1_3repE0EEENS1_30default_config_static_selectorELNS0_4arch9wavefront6targetE1EEEvT1_,comdat
.Lfunc_end5506:
	.size	_ZN7rocprim17ROCPRIM_400000_NS6detail17trampoline_kernelINS0_14default_configENS1_20scan_config_selectorItEEZZNS1_9scan_implILNS1_25lookback_scan_determinismE0ELb0ELb0ES3_N6thrust23THRUST_200600_302600_NS6detail15normal_iteratorINS9_10device_ptrItEEEENS9_16discard_iteratorINS9_11use_defaultEEEtNS9_4plusIvEEtEEDaPvRmT3_T4_T5_mT6_P12ihipStream_tbENKUlT_T0_E_clISt17integral_constantIbLb0EESW_IbLb1EEEEDaSS_ST_EUlSS_E0_NS1_11comp_targetILNS1_3genE10ELNS1_11target_archE1201ELNS1_3gpuE5ELNS1_3repE0EEENS1_30default_config_static_selectorELNS0_4arch9wavefront6targetE1EEEvT1_, .Lfunc_end5506-_ZN7rocprim17ROCPRIM_400000_NS6detail17trampoline_kernelINS0_14default_configENS1_20scan_config_selectorItEEZZNS1_9scan_implILNS1_25lookback_scan_determinismE0ELb0ELb0ES3_N6thrust23THRUST_200600_302600_NS6detail15normal_iteratorINS9_10device_ptrItEEEENS9_16discard_iteratorINS9_11use_defaultEEEtNS9_4plusIvEEtEEDaPvRmT3_T4_T5_mT6_P12ihipStream_tbENKUlT_T0_E_clISt17integral_constantIbLb0EESW_IbLb1EEEEDaSS_ST_EUlSS_E0_NS1_11comp_targetILNS1_3genE10ELNS1_11target_archE1201ELNS1_3gpuE5ELNS1_3repE0EEENS1_30default_config_static_selectorELNS0_4arch9wavefront6targetE1EEEvT1_
                                        ; -- End function
	.section	.AMDGPU.csdata,"",@progbits
; Kernel info:
; codeLenInByte = 0
; NumSgprs: 4
; NumVgprs: 0
; NumAgprs: 0
; TotalNumVgprs: 0
; ScratchSize: 0
; MemoryBound: 0
; FloatMode: 240
; IeeeMode: 1
; LDSByteSize: 0 bytes/workgroup (compile time only)
; SGPRBlocks: 0
; VGPRBlocks: 0
; NumSGPRsForWavesPerEU: 4
; NumVGPRsForWavesPerEU: 1
; AccumOffset: 4
; Occupancy: 8
; WaveLimiterHint : 0
; COMPUTE_PGM_RSRC2:SCRATCH_EN: 0
; COMPUTE_PGM_RSRC2:USER_SGPR: 6
; COMPUTE_PGM_RSRC2:TRAP_HANDLER: 0
; COMPUTE_PGM_RSRC2:TGID_X_EN: 1
; COMPUTE_PGM_RSRC2:TGID_Y_EN: 0
; COMPUTE_PGM_RSRC2:TGID_Z_EN: 0
; COMPUTE_PGM_RSRC2:TIDIG_COMP_CNT: 0
; COMPUTE_PGM_RSRC3_GFX90A:ACCUM_OFFSET: 0
; COMPUTE_PGM_RSRC3_GFX90A:TG_SPLIT: 0
	.section	.text._ZN7rocprim17ROCPRIM_400000_NS6detail17trampoline_kernelINS0_14default_configENS1_20scan_config_selectorItEEZZNS1_9scan_implILNS1_25lookback_scan_determinismE0ELb0ELb0ES3_N6thrust23THRUST_200600_302600_NS6detail15normal_iteratorINS9_10device_ptrItEEEENS9_16discard_iteratorINS9_11use_defaultEEEtNS9_4plusIvEEtEEDaPvRmT3_T4_T5_mT6_P12ihipStream_tbENKUlT_T0_E_clISt17integral_constantIbLb0EESW_IbLb1EEEEDaSS_ST_EUlSS_E0_NS1_11comp_targetILNS1_3genE10ELNS1_11target_archE1200ELNS1_3gpuE4ELNS1_3repE0EEENS1_30default_config_static_selectorELNS0_4arch9wavefront6targetE1EEEvT1_,"axG",@progbits,_ZN7rocprim17ROCPRIM_400000_NS6detail17trampoline_kernelINS0_14default_configENS1_20scan_config_selectorItEEZZNS1_9scan_implILNS1_25lookback_scan_determinismE0ELb0ELb0ES3_N6thrust23THRUST_200600_302600_NS6detail15normal_iteratorINS9_10device_ptrItEEEENS9_16discard_iteratorINS9_11use_defaultEEEtNS9_4plusIvEEtEEDaPvRmT3_T4_T5_mT6_P12ihipStream_tbENKUlT_T0_E_clISt17integral_constantIbLb0EESW_IbLb1EEEEDaSS_ST_EUlSS_E0_NS1_11comp_targetILNS1_3genE10ELNS1_11target_archE1200ELNS1_3gpuE4ELNS1_3repE0EEENS1_30default_config_static_selectorELNS0_4arch9wavefront6targetE1EEEvT1_,comdat
	.protected	_ZN7rocprim17ROCPRIM_400000_NS6detail17trampoline_kernelINS0_14default_configENS1_20scan_config_selectorItEEZZNS1_9scan_implILNS1_25lookback_scan_determinismE0ELb0ELb0ES3_N6thrust23THRUST_200600_302600_NS6detail15normal_iteratorINS9_10device_ptrItEEEENS9_16discard_iteratorINS9_11use_defaultEEEtNS9_4plusIvEEtEEDaPvRmT3_T4_T5_mT6_P12ihipStream_tbENKUlT_T0_E_clISt17integral_constantIbLb0EESW_IbLb1EEEEDaSS_ST_EUlSS_E0_NS1_11comp_targetILNS1_3genE10ELNS1_11target_archE1200ELNS1_3gpuE4ELNS1_3repE0EEENS1_30default_config_static_selectorELNS0_4arch9wavefront6targetE1EEEvT1_ ; -- Begin function _ZN7rocprim17ROCPRIM_400000_NS6detail17trampoline_kernelINS0_14default_configENS1_20scan_config_selectorItEEZZNS1_9scan_implILNS1_25lookback_scan_determinismE0ELb0ELb0ES3_N6thrust23THRUST_200600_302600_NS6detail15normal_iteratorINS9_10device_ptrItEEEENS9_16discard_iteratorINS9_11use_defaultEEEtNS9_4plusIvEEtEEDaPvRmT3_T4_T5_mT6_P12ihipStream_tbENKUlT_T0_E_clISt17integral_constantIbLb0EESW_IbLb1EEEEDaSS_ST_EUlSS_E0_NS1_11comp_targetILNS1_3genE10ELNS1_11target_archE1200ELNS1_3gpuE4ELNS1_3repE0EEENS1_30default_config_static_selectorELNS0_4arch9wavefront6targetE1EEEvT1_
	.globl	_ZN7rocprim17ROCPRIM_400000_NS6detail17trampoline_kernelINS0_14default_configENS1_20scan_config_selectorItEEZZNS1_9scan_implILNS1_25lookback_scan_determinismE0ELb0ELb0ES3_N6thrust23THRUST_200600_302600_NS6detail15normal_iteratorINS9_10device_ptrItEEEENS9_16discard_iteratorINS9_11use_defaultEEEtNS9_4plusIvEEtEEDaPvRmT3_T4_T5_mT6_P12ihipStream_tbENKUlT_T0_E_clISt17integral_constantIbLb0EESW_IbLb1EEEEDaSS_ST_EUlSS_E0_NS1_11comp_targetILNS1_3genE10ELNS1_11target_archE1200ELNS1_3gpuE4ELNS1_3repE0EEENS1_30default_config_static_selectorELNS0_4arch9wavefront6targetE1EEEvT1_
	.p2align	8
	.type	_ZN7rocprim17ROCPRIM_400000_NS6detail17trampoline_kernelINS0_14default_configENS1_20scan_config_selectorItEEZZNS1_9scan_implILNS1_25lookback_scan_determinismE0ELb0ELb0ES3_N6thrust23THRUST_200600_302600_NS6detail15normal_iteratorINS9_10device_ptrItEEEENS9_16discard_iteratorINS9_11use_defaultEEEtNS9_4plusIvEEtEEDaPvRmT3_T4_T5_mT6_P12ihipStream_tbENKUlT_T0_E_clISt17integral_constantIbLb0EESW_IbLb1EEEEDaSS_ST_EUlSS_E0_NS1_11comp_targetILNS1_3genE10ELNS1_11target_archE1200ELNS1_3gpuE4ELNS1_3repE0EEENS1_30default_config_static_selectorELNS0_4arch9wavefront6targetE1EEEvT1_,@function
_ZN7rocprim17ROCPRIM_400000_NS6detail17trampoline_kernelINS0_14default_configENS1_20scan_config_selectorItEEZZNS1_9scan_implILNS1_25lookback_scan_determinismE0ELb0ELb0ES3_N6thrust23THRUST_200600_302600_NS6detail15normal_iteratorINS9_10device_ptrItEEEENS9_16discard_iteratorINS9_11use_defaultEEEtNS9_4plusIvEEtEEDaPvRmT3_T4_T5_mT6_P12ihipStream_tbENKUlT_T0_E_clISt17integral_constantIbLb0EESW_IbLb1EEEEDaSS_ST_EUlSS_E0_NS1_11comp_targetILNS1_3genE10ELNS1_11target_archE1200ELNS1_3gpuE4ELNS1_3repE0EEENS1_30default_config_static_selectorELNS0_4arch9wavefront6targetE1EEEvT1_: ; @_ZN7rocprim17ROCPRIM_400000_NS6detail17trampoline_kernelINS0_14default_configENS1_20scan_config_selectorItEEZZNS1_9scan_implILNS1_25lookback_scan_determinismE0ELb0ELb0ES3_N6thrust23THRUST_200600_302600_NS6detail15normal_iteratorINS9_10device_ptrItEEEENS9_16discard_iteratorINS9_11use_defaultEEEtNS9_4plusIvEEtEEDaPvRmT3_T4_T5_mT6_P12ihipStream_tbENKUlT_T0_E_clISt17integral_constantIbLb0EESW_IbLb1EEEEDaSS_ST_EUlSS_E0_NS1_11comp_targetILNS1_3genE10ELNS1_11target_archE1200ELNS1_3gpuE4ELNS1_3repE0EEENS1_30default_config_static_selectorELNS0_4arch9wavefront6targetE1EEEvT1_
; %bb.0:
	.section	.rodata,"a",@progbits
	.p2align	6, 0x0
	.amdhsa_kernel _ZN7rocprim17ROCPRIM_400000_NS6detail17trampoline_kernelINS0_14default_configENS1_20scan_config_selectorItEEZZNS1_9scan_implILNS1_25lookback_scan_determinismE0ELb0ELb0ES3_N6thrust23THRUST_200600_302600_NS6detail15normal_iteratorINS9_10device_ptrItEEEENS9_16discard_iteratorINS9_11use_defaultEEEtNS9_4plusIvEEtEEDaPvRmT3_T4_T5_mT6_P12ihipStream_tbENKUlT_T0_E_clISt17integral_constantIbLb0EESW_IbLb1EEEEDaSS_ST_EUlSS_E0_NS1_11comp_targetILNS1_3genE10ELNS1_11target_archE1200ELNS1_3gpuE4ELNS1_3repE0EEENS1_30default_config_static_selectorELNS0_4arch9wavefront6targetE1EEEvT1_
		.amdhsa_group_segment_fixed_size 0
		.amdhsa_private_segment_fixed_size 0
		.amdhsa_kernarg_size 40
		.amdhsa_user_sgpr_count 6
		.amdhsa_user_sgpr_private_segment_buffer 1
		.amdhsa_user_sgpr_dispatch_ptr 0
		.amdhsa_user_sgpr_queue_ptr 0
		.amdhsa_user_sgpr_kernarg_segment_ptr 1
		.amdhsa_user_sgpr_dispatch_id 0
		.amdhsa_user_sgpr_flat_scratch_init 0
		.amdhsa_user_sgpr_kernarg_preload_length 0
		.amdhsa_user_sgpr_kernarg_preload_offset 0
		.amdhsa_user_sgpr_private_segment_size 0
		.amdhsa_uses_dynamic_stack 0
		.amdhsa_system_sgpr_private_segment_wavefront_offset 0
		.amdhsa_system_sgpr_workgroup_id_x 1
		.amdhsa_system_sgpr_workgroup_id_y 0
		.amdhsa_system_sgpr_workgroup_id_z 0
		.amdhsa_system_sgpr_workgroup_info 0
		.amdhsa_system_vgpr_workitem_id 0
		.amdhsa_next_free_vgpr 1
		.amdhsa_next_free_sgpr 0
		.amdhsa_accum_offset 4
		.amdhsa_reserve_vcc 0
		.amdhsa_reserve_flat_scratch 0
		.amdhsa_float_round_mode_32 0
		.amdhsa_float_round_mode_16_64 0
		.amdhsa_float_denorm_mode_32 3
		.amdhsa_float_denorm_mode_16_64 3
		.amdhsa_dx10_clamp 1
		.amdhsa_ieee_mode 1
		.amdhsa_fp16_overflow 0
		.amdhsa_tg_split 0
		.amdhsa_exception_fp_ieee_invalid_op 0
		.amdhsa_exception_fp_denorm_src 0
		.amdhsa_exception_fp_ieee_div_zero 0
		.amdhsa_exception_fp_ieee_overflow 0
		.amdhsa_exception_fp_ieee_underflow 0
		.amdhsa_exception_fp_ieee_inexact 0
		.amdhsa_exception_int_div_zero 0
	.end_amdhsa_kernel
	.section	.text._ZN7rocprim17ROCPRIM_400000_NS6detail17trampoline_kernelINS0_14default_configENS1_20scan_config_selectorItEEZZNS1_9scan_implILNS1_25lookback_scan_determinismE0ELb0ELb0ES3_N6thrust23THRUST_200600_302600_NS6detail15normal_iteratorINS9_10device_ptrItEEEENS9_16discard_iteratorINS9_11use_defaultEEEtNS9_4plusIvEEtEEDaPvRmT3_T4_T5_mT6_P12ihipStream_tbENKUlT_T0_E_clISt17integral_constantIbLb0EESW_IbLb1EEEEDaSS_ST_EUlSS_E0_NS1_11comp_targetILNS1_3genE10ELNS1_11target_archE1200ELNS1_3gpuE4ELNS1_3repE0EEENS1_30default_config_static_selectorELNS0_4arch9wavefront6targetE1EEEvT1_,"axG",@progbits,_ZN7rocprim17ROCPRIM_400000_NS6detail17trampoline_kernelINS0_14default_configENS1_20scan_config_selectorItEEZZNS1_9scan_implILNS1_25lookback_scan_determinismE0ELb0ELb0ES3_N6thrust23THRUST_200600_302600_NS6detail15normal_iteratorINS9_10device_ptrItEEEENS9_16discard_iteratorINS9_11use_defaultEEEtNS9_4plusIvEEtEEDaPvRmT3_T4_T5_mT6_P12ihipStream_tbENKUlT_T0_E_clISt17integral_constantIbLb0EESW_IbLb1EEEEDaSS_ST_EUlSS_E0_NS1_11comp_targetILNS1_3genE10ELNS1_11target_archE1200ELNS1_3gpuE4ELNS1_3repE0EEENS1_30default_config_static_selectorELNS0_4arch9wavefront6targetE1EEEvT1_,comdat
.Lfunc_end5507:
	.size	_ZN7rocprim17ROCPRIM_400000_NS6detail17trampoline_kernelINS0_14default_configENS1_20scan_config_selectorItEEZZNS1_9scan_implILNS1_25lookback_scan_determinismE0ELb0ELb0ES3_N6thrust23THRUST_200600_302600_NS6detail15normal_iteratorINS9_10device_ptrItEEEENS9_16discard_iteratorINS9_11use_defaultEEEtNS9_4plusIvEEtEEDaPvRmT3_T4_T5_mT6_P12ihipStream_tbENKUlT_T0_E_clISt17integral_constantIbLb0EESW_IbLb1EEEEDaSS_ST_EUlSS_E0_NS1_11comp_targetILNS1_3genE10ELNS1_11target_archE1200ELNS1_3gpuE4ELNS1_3repE0EEENS1_30default_config_static_selectorELNS0_4arch9wavefront6targetE1EEEvT1_, .Lfunc_end5507-_ZN7rocprim17ROCPRIM_400000_NS6detail17trampoline_kernelINS0_14default_configENS1_20scan_config_selectorItEEZZNS1_9scan_implILNS1_25lookback_scan_determinismE0ELb0ELb0ES3_N6thrust23THRUST_200600_302600_NS6detail15normal_iteratorINS9_10device_ptrItEEEENS9_16discard_iteratorINS9_11use_defaultEEEtNS9_4plusIvEEtEEDaPvRmT3_T4_T5_mT6_P12ihipStream_tbENKUlT_T0_E_clISt17integral_constantIbLb0EESW_IbLb1EEEEDaSS_ST_EUlSS_E0_NS1_11comp_targetILNS1_3genE10ELNS1_11target_archE1200ELNS1_3gpuE4ELNS1_3repE0EEENS1_30default_config_static_selectorELNS0_4arch9wavefront6targetE1EEEvT1_
                                        ; -- End function
	.section	.AMDGPU.csdata,"",@progbits
; Kernel info:
; codeLenInByte = 0
; NumSgprs: 4
; NumVgprs: 0
; NumAgprs: 0
; TotalNumVgprs: 0
; ScratchSize: 0
; MemoryBound: 0
; FloatMode: 240
; IeeeMode: 1
; LDSByteSize: 0 bytes/workgroup (compile time only)
; SGPRBlocks: 0
; VGPRBlocks: 0
; NumSGPRsForWavesPerEU: 4
; NumVGPRsForWavesPerEU: 1
; AccumOffset: 4
; Occupancy: 8
; WaveLimiterHint : 0
; COMPUTE_PGM_RSRC2:SCRATCH_EN: 0
; COMPUTE_PGM_RSRC2:USER_SGPR: 6
; COMPUTE_PGM_RSRC2:TRAP_HANDLER: 0
; COMPUTE_PGM_RSRC2:TGID_X_EN: 1
; COMPUTE_PGM_RSRC2:TGID_Y_EN: 0
; COMPUTE_PGM_RSRC2:TGID_Z_EN: 0
; COMPUTE_PGM_RSRC2:TIDIG_COMP_CNT: 0
; COMPUTE_PGM_RSRC3_GFX90A:ACCUM_OFFSET: 0
; COMPUTE_PGM_RSRC3_GFX90A:TG_SPLIT: 0
	.section	.text._ZN7rocprim17ROCPRIM_400000_NS6detail17trampoline_kernelINS0_14default_configENS1_20scan_config_selectorItEEZZNS1_9scan_implILNS1_25lookback_scan_determinismE0ELb0ELb0ES3_N6thrust23THRUST_200600_302600_NS6detail15normal_iteratorINS9_10device_ptrItEEEENS9_16discard_iteratorINS9_11use_defaultEEEtNS9_4plusIvEEtEEDaPvRmT3_T4_T5_mT6_P12ihipStream_tbENKUlT_T0_E_clISt17integral_constantIbLb0EESW_IbLb1EEEEDaSS_ST_EUlSS_E0_NS1_11comp_targetILNS1_3genE9ELNS1_11target_archE1100ELNS1_3gpuE3ELNS1_3repE0EEENS1_30default_config_static_selectorELNS0_4arch9wavefront6targetE1EEEvT1_,"axG",@progbits,_ZN7rocprim17ROCPRIM_400000_NS6detail17trampoline_kernelINS0_14default_configENS1_20scan_config_selectorItEEZZNS1_9scan_implILNS1_25lookback_scan_determinismE0ELb0ELb0ES3_N6thrust23THRUST_200600_302600_NS6detail15normal_iteratorINS9_10device_ptrItEEEENS9_16discard_iteratorINS9_11use_defaultEEEtNS9_4plusIvEEtEEDaPvRmT3_T4_T5_mT6_P12ihipStream_tbENKUlT_T0_E_clISt17integral_constantIbLb0EESW_IbLb1EEEEDaSS_ST_EUlSS_E0_NS1_11comp_targetILNS1_3genE9ELNS1_11target_archE1100ELNS1_3gpuE3ELNS1_3repE0EEENS1_30default_config_static_selectorELNS0_4arch9wavefront6targetE1EEEvT1_,comdat
	.protected	_ZN7rocprim17ROCPRIM_400000_NS6detail17trampoline_kernelINS0_14default_configENS1_20scan_config_selectorItEEZZNS1_9scan_implILNS1_25lookback_scan_determinismE0ELb0ELb0ES3_N6thrust23THRUST_200600_302600_NS6detail15normal_iteratorINS9_10device_ptrItEEEENS9_16discard_iteratorINS9_11use_defaultEEEtNS9_4plusIvEEtEEDaPvRmT3_T4_T5_mT6_P12ihipStream_tbENKUlT_T0_E_clISt17integral_constantIbLb0EESW_IbLb1EEEEDaSS_ST_EUlSS_E0_NS1_11comp_targetILNS1_3genE9ELNS1_11target_archE1100ELNS1_3gpuE3ELNS1_3repE0EEENS1_30default_config_static_selectorELNS0_4arch9wavefront6targetE1EEEvT1_ ; -- Begin function _ZN7rocprim17ROCPRIM_400000_NS6detail17trampoline_kernelINS0_14default_configENS1_20scan_config_selectorItEEZZNS1_9scan_implILNS1_25lookback_scan_determinismE0ELb0ELb0ES3_N6thrust23THRUST_200600_302600_NS6detail15normal_iteratorINS9_10device_ptrItEEEENS9_16discard_iteratorINS9_11use_defaultEEEtNS9_4plusIvEEtEEDaPvRmT3_T4_T5_mT6_P12ihipStream_tbENKUlT_T0_E_clISt17integral_constantIbLb0EESW_IbLb1EEEEDaSS_ST_EUlSS_E0_NS1_11comp_targetILNS1_3genE9ELNS1_11target_archE1100ELNS1_3gpuE3ELNS1_3repE0EEENS1_30default_config_static_selectorELNS0_4arch9wavefront6targetE1EEEvT1_
	.globl	_ZN7rocprim17ROCPRIM_400000_NS6detail17trampoline_kernelINS0_14default_configENS1_20scan_config_selectorItEEZZNS1_9scan_implILNS1_25lookback_scan_determinismE0ELb0ELb0ES3_N6thrust23THRUST_200600_302600_NS6detail15normal_iteratorINS9_10device_ptrItEEEENS9_16discard_iteratorINS9_11use_defaultEEEtNS9_4plusIvEEtEEDaPvRmT3_T4_T5_mT6_P12ihipStream_tbENKUlT_T0_E_clISt17integral_constantIbLb0EESW_IbLb1EEEEDaSS_ST_EUlSS_E0_NS1_11comp_targetILNS1_3genE9ELNS1_11target_archE1100ELNS1_3gpuE3ELNS1_3repE0EEENS1_30default_config_static_selectorELNS0_4arch9wavefront6targetE1EEEvT1_
	.p2align	8
	.type	_ZN7rocprim17ROCPRIM_400000_NS6detail17trampoline_kernelINS0_14default_configENS1_20scan_config_selectorItEEZZNS1_9scan_implILNS1_25lookback_scan_determinismE0ELb0ELb0ES3_N6thrust23THRUST_200600_302600_NS6detail15normal_iteratorINS9_10device_ptrItEEEENS9_16discard_iteratorINS9_11use_defaultEEEtNS9_4plusIvEEtEEDaPvRmT3_T4_T5_mT6_P12ihipStream_tbENKUlT_T0_E_clISt17integral_constantIbLb0EESW_IbLb1EEEEDaSS_ST_EUlSS_E0_NS1_11comp_targetILNS1_3genE9ELNS1_11target_archE1100ELNS1_3gpuE3ELNS1_3repE0EEENS1_30default_config_static_selectorELNS0_4arch9wavefront6targetE1EEEvT1_,@function
_ZN7rocprim17ROCPRIM_400000_NS6detail17trampoline_kernelINS0_14default_configENS1_20scan_config_selectorItEEZZNS1_9scan_implILNS1_25lookback_scan_determinismE0ELb0ELb0ES3_N6thrust23THRUST_200600_302600_NS6detail15normal_iteratorINS9_10device_ptrItEEEENS9_16discard_iteratorINS9_11use_defaultEEEtNS9_4plusIvEEtEEDaPvRmT3_T4_T5_mT6_P12ihipStream_tbENKUlT_T0_E_clISt17integral_constantIbLb0EESW_IbLb1EEEEDaSS_ST_EUlSS_E0_NS1_11comp_targetILNS1_3genE9ELNS1_11target_archE1100ELNS1_3gpuE3ELNS1_3repE0EEENS1_30default_config_static_selectorELNS0_4arch9wavefront6targetE1EEEvT1_: ; @_ZN7rocprim17ROCPRIM_400000_NS6detail17trampoline_kernelINS0_14default_configENS1_20scan_config_selectorItEEZZNS1_9scan_implILNS1_25lookback_scan_determinismE0ELb0ELb0ES3_N6thrust23THRUST_200600_302600_NS6detail15normal_iteratorINS9_10device_ptrItEEEENS9_16discard_iteratorINS9_11use_defaultEEEtNS9_4plusIvEEtEEDaPvRmT3_T4_T5_mT6_P12ihipStream_tbENKUlT_T0_E_clISt17integral_constantIbLb0EESW_IbLb1EEEEDaSS_ST_EUlSS_E0_NS1_11comp_targetILNS1_3genE9ELNS1_11target_archE1100ELNS1_3gpuE3ELNS1_3repE0EEENS1_30default_config_static_selectorELNS0_4arch9wavefront6targetE1EEEvT1_
; %bb.0:
	.section	.rodata,"a",@progbits
	.p2align	6, 0x0
	.amdhsa_kernel _ZN7rocprim17ROCPRIM_400000_NS6detail17trampoline_kernelINS0_14default_configENS1_20scan_config_selectorItEEZZNS1_9scan_implILNS1_25lookback_scan_determinismE0ELb0ELb0ES3_N6thrust23THRUST_200600_302600_NS6detail15normal_iteratorINS9_10device_ptrItEEEENS9_16discard_iteratorINS9_11use_defaultEEEtNS9_4plusIvEEtEEDaPvRmT3_T4_T5_mT6_P12ihipStream_tbENKUlT_T0_E_clISt17integral_constantIbLb0EESW_IbLb1EEEEDaSS_ST_EUlSS_E0_NS1_11comp_targetILNS1_3genE9ELNS1_11target_archE1100ELNS1_3gpuE3ELNS1_3repE0EEENS1_30default_config_static_selectorELNS0_4arch9wavefront6targetE1EEEvT1_
		.amdhsa_group_segment_fixed_size 0
		.amdhsa_private_segment_fixed_size 0
		.amdhsa_kernarg_size 40
		.amdhsa_user_sgpr_count 6
		.amdhsa_user_sgpr_private_segment_buffer 1
		.amdhsa_user_sgpr_dispatch_ptr 0
		.amdhsa_user_sgpr_queue_ptr 0
		.amdhsa_user_sgpr_kernarg_segment_ptr 1
		.amdhsa_user_sgpr_dispatch_id 0
		.amdhsa_user_sgpr_flat_scratch_init 0
		.amdhsa_user_sgpr_kernarg_preload_length 0
		.amdhsa_user_sgpr_kernarg_preload_offset 0
		.amdhsa_user_sgpr_private_segment_size 0
		.amdhsa_uses_dynamic_stack 0
		.amdhsa_system_sgpr_private_segment_wavefront_offset 0
		.amdhsa_system_sgpr_workgroup_id_x 1
		.amdhsa_system_sgpr_workgroup_id_y 0
		.amdhsa_system_sgpr_workgroup_id_z 0
		.amdhsa_system_sgpr_workgroup_info 0
		.amdhsa_system_vgpr_workitem_id 0
		.amdhsa_next_free_vgpr 1
		.amdhsa_next_free_sgpr 0
		.amdhsa_accum_offset 4
		.amdhsa_reserve_vcc 0
		.amdhsa_reserve_flat_scratch 0
		.amdhsa_float_round_mode_32 0
		.amdhsa_float_round_mode_16_64 0
		.amdhsa_float_denorm_mode_32 3
		.amdhsa_float_denorm_mode_16_64 3
		.amdhsa_dx10_clamp 1
		.amdhsa_ieee_mode 1
		.amdhsa_fp16_overflow 0
		.amdhsa_tg_split 0
		.amdhsa_exception_fp_ieee_invalid_op 0
		.amdhsa_exception_fp_denorm_src 0
		.amdhsa_exception_fp_ieee_div_zero 0
		.amdhsa_exception_fp_ieee_overflow 0
		.amdhsa_exception_fp_ieee_underflow 0
		.amdhsa_exception_fp_ieee_inexact 0
		.amdhsa_exception_int_div_zero 0
	.end_amdhsa_kernel
	.section	.text._ZN7rocprim17ROCPRIM_400000_NS6detail17trampoline_kernelINS0_14default_configENS1_20scan_config_selectorItEEZZNS1_9scan_implILNS1_25lookback_scan_determinismE0ELb0ELb0ES3_N6thrust23THRUST_200600_302600_NS6detail15normal_iteratorINS9_10device_ptrItEEEENS9_16discard_iteratorINS9_11use_defaultEEEtNS9_4plusIvEEtEEDaPvRmT3_T4_T5_mT6_P12ihipStream_tbENKUlT_T0_E_clISt17integral_constantIbLb0EESW_IbLb1EEEEDaSS_ST_EUlSS_E0_NS1_11comp_targetILNS1_3genE9ELNS1_11target_archE1100ELNS1_3gpuE3ELNS1_3repE0EEENS1_30default_config_static_selectorELNS0_4arch9wavefront6targetE1EEEvT1_,"axG",@progbits,_ZN7rocprim17ROCPRIM_400000_NS6detail17trampoline_kernelINS0_14default_configENS1_20scan_config_selectorItEEZZNS1_9scan_implILNS1_25lookback_scan_determinismE0ELb0ELb0ES3_N6thrust23THRUST_200600_302600_NS6detail15normal_iteratorINS9_10device_ptrItEEEENS9_16discard_iteratorINS9_11use_defaultEEEtNS9_4plusIvEEtEEDaPvRmT3_T4_T5_mT6_P12ihipStream_tbENKUlT_T0_E_clISt17integral_constantIbLb0EESW_IbLb1EEEEDaSS_ST_EUlSS_E0_NS1_11comp_targetILNS1_3genE9ELNS1_11target_archE1100ELNS1_3gpuE3ELNS1_3repE0EEENS1_30default_config_static_selectorELNS0_4arch9wavefront6targetE1EEEvT1_,comdat
.Lfunc_end5508:
	.size	_ZN7rocprim17ROCPRIM_400000_NS6detail17trampoline_kernelINS0_14default_configENS1_20scan_config_selectorItEEZZNS1_9scan_implILNS1_25lookback_scan_determinismE0ELb0ELb0ES3_N6thrust23THRUST_200600_302600_NS6detail15normal_iteratorINS9_10device_ptrItEEEENS9_16discard_iteratorINS9_11use_defaultEEEtNS9_4plusIvEEtEEDaPvRmT3_T4_T5_mT6_P12ihipStream_tbENKUlT_T0_E_clISt17integral_constantIbLb0EESW_IbLb1EEEEDaSS_ST_EUlSS_E0_NS1_11comp_targetILNS1_3genE9ELNS1_11target_archE1100ELNS1_3gpuE3ELNS1_3repE0EEENS1_30default_config_static_selectorELNS0_4arch9wavefront6targetE1EEEvT1_, .Lfunc_end5508-_ZN7rocprim17ROCPRIM_400000_NS6detail17trampoline_kernelINS0_14default_configENS1_20scan_config_selectorItEEZZNS1_9scan_implILNS1_25lookback_scan_determinismE0ELb0ELb0ES3_N6thrust23THRUST_200600_302600_NS6detail15normal_iteratorINS9_10device_ptrItEEEENS9_16discard_iteratorINS9_11use_defaultEEEtNS9_4plusIvEEtEEDaPvRmT3_T4_T5_mT6_P12ihipStream_tbENKUlT_T0_E_clISt17integral_constantIbLb0EESW_IbLb1EEEEDaSS_ST_EUlSS_E0_NS1_11comp_targetILNS1_3genE9ELNS1_11target_archE1100ELNS1_3gpuE3ELNS1_3repE0EEENS1_30default_config_static_selectorELNS0_4arch9wavefront6targetE1EEEvT1_
                                        ; -- End function
	.section	.AMDGPU.csdata,"",@progbits
; Kernel info:
; codeLenInByte = 0
; NumSgprs: 4
; NumVgprs: 0
; NumAgprs: 0
; TotalNumVgprs: 0
; ScratchSize: 0
; MemoryBound: 0
; FloatMode: 240
; IeeeMode: 1
; LDSByteSize: 0 bytes/workgroup (compile time only)
; SGPRBlocks: 0
; VGPRBlocks: 0
; NumSGPRsForWavesPerEU: 4
; NumVGPRsForWavesPerEU: 1
; AccumOffset: 4
; Occupancy: 8
; WaveLimiterHint : 0
; COMPUTE_PGM_RSRC2:SCRATCH_EN: 0
; COMPUTE_PGM_RSRC2:USER_SGPR: 6
; COMPUTE_PGM_RSRC2:TRAP_HANDLER: 0
; COMPUTE_PGM_RSRC2:TGID_X_EN: 1
; COMPUTE_PGM_RSRC2:TGID_Y_EN: 0
; COMPUTE_PGM_RSRC2:TGID_Z_EN: 0
; COMPUTE_PGM_RSRC2:TIDIG_COMP_CNT: 0
; COMPUTE_PGM_RSRC3_GFX90A:ACCUM_OFFSET: 0
; COMPUTE_PGM_RSRC3_GFX90A:TG_SPLIT: 0
	.section	.text._ZN7rocprim17ROCPRIM_400000_NS6detail17trampoline_kernelINS0_14default_configENS1_20scan_config_selectorItEEZZNS1_9scan_implILNS1_25lookback_scan_determinismE0ELb0ELb0ES3_N6thrust23THRUST_200600_302600_NS6detail15normal_iteratorINS9_10device_ptrItEEEENS9_16discard_iteratorINS9_11use_defaultEEEtNS9_4plusIvEEtEEDaPvRmT3_T4_T5_mT6_P12ihipStream_tbENKUlT_T0_E_clISt17integral_constantIbLb0EESW_IbLb1EEEEDaSS_ST_EUlSS_E0_NS1_11comp_targetILNS1_3genE8ELNS1_11target_archE1030ELNS1_3gpuE2ELNS1_3repE0EEENS1_30default_config_static_selectorELNS0_4arch9wavefront6targetE1EEEvT1_,"axG",@progbits,_ZN7rocprim17ROCPRIM_400000_NS6detail17trampoline_kernelINS0_14default_configENS1_20scan_config_selectorItEEZZNS1_9scan_implILNS1_25lookback_scan_determinismE0ELb0ELb0ES3_N6thrust23THRUST_200600_302600_NS6detail15normal_iteratorINS9_10device_ptrItEEEENS9_16discard_iteratorINS9_11use_defaultEEEtNS9_4plusIvEEtEEDaPvRmT3_T4_T5_mT6_P12ihipStream_tbENKUlT_T0_E_clISt17integral_constantIbLb0EESW_IbLb1EEEEDaSS_ST_EUlSS_E0_NS1_11comp_targetILNS1_3genE8ELNS1_11target_archE1030ELNS1_3gpuE2ELNS1_3repE0EEENS1_30default_config_static_selectorELNS0_4arch9wavefront6targetE1EEEvT1_,comdat
	.protected	_ZN7rocprim17ROCPRIM_400000_NS6detail17trampoline_kernelINS0_14default_configENS1_20scan_config_selectorItEEZZNS1_9scan_implILNS1_25lookback_scan_determinismE0ELb0ELb0ES3_N6thrust23THRUST_200600_302600_NS6detail15normal_iteratorINS9_10device_ptrItEEEENS9_16discard_iteratorINS9_11use_defaultEEEtNS9_4plusIvEEtEEDaPvRmT3_T4_T5_mT6_P12ihipStream_tbENKUlT_T0_E_clISt17integral_constantIbLb0EESW_IbLb1EEEEDaSS_ST_EUlSS_E0_NS1_11comp_targetILNS1_3genE8ELNS1_11target_archE1030ELNS1_3gpuE2ELNS1_3repE0EEENS1_30default_config_static_selectorELNS0_4arch9wavefront6targetE1EEEvT1_ ; -- Begin function _ZN7rocprim17ROCPRIM_400000_NS6detail17trampoline_kernelINS0_14default_configENS1_20scan_config_selectorItEEZZNS1_9scan_implILNS1_25lookback_scan_determinismE0ELb0ELb0ES3_N6thrust23THRUST_200600_302600_NS6detail15normal_iteratorINS9_10device_ptrItEEEENS9_16discard_iteratorINS9_11use_defaultEEEtNS9_4plusIvEEtEEDaPvRmT3_T4_T5_mT6_P12ihipStream_tbENKUlT_T0_E_clISt17integral_constantIbLb0EESW_IbLb1EEEEDaSS_ST_EUlSS_E0_NS1_11comp_targetILNS1_3genE8ELNS1_11target_archE1030ELNS1_3gpuE2ELNS1_3repE0EEENS1_30default_config_static_selectorELNS0_4arch9wavefront6targetE1EEEvT1_
	.globl	_ZN7rocprim17ROCPRIM_400000_NS6detail17trampoline_kernelINS0_14default_configENS1_20scan_config_selectorItEEZZNS1_9scan_implILNS1_25lookback_scan_determinismE0ELb0ELb0ES3_N6thrust23THRUST_200600_302600_NS6detail15normal_iteratorINS9_10device_ptrItEEEENS9_16discard_iteratorINS9_11use_defaultEEEtNS9_4plusIvEEtEEDaPvRmT3_T4_T5_mT6_P12ihipStream_tbENKUlT_T0_E_clISt17integral_constantIbLb0EESW_IbLb1EEEEDaSS_ST_EUlSS_E0_NS1_11comp_targetILNS1_3genE8ELNS1_11target_archE1030ELNS1_3gpuE2ELNS1_3repE0EEENS1_30default_config_static_selectorELNS0_4arch9wavefront6targetE1EEEvT1_
	.p2align	8
	.type	_ZN7rocprim17ROCPRIM_400000_NS6detail17trampoline_kernelINS0_14default_configENS1_20scan_config_selectorItEEZZNS1_9scan_implILNS1_25lookback_scan_determinismE0ELb0ELb0ES3_N6thrust23THRUST_200600_302600_NS6detail15normal_iteratorINS9_10device_ptrItEEEENS9_16discard_iteratorINS9_11use_defaultEEEtNS9_4plusIvEEtEEDaPvRmT3_T4_T5_mT6_P12ihipStream_tbENKUlT_T0_E_clISt17integral_constantIbLb0EESW_IbLb1EEEEDaSS_ST_EUlSS_E0_NS1_11comp_targetILNS1_3genE8ELNS1_11target_archE1030ELNS1_3gpuE2ELNS1_3repE0EEENS1_30default_config_static_selectorELNS0_4arch9wavefront6targetE1EEEvT1_,@function
_ZN7rocprim17ROCPRIM_400000_NS6detail17trampoline_kernelINS0_14default_configENS1_20scan_config_selectorItEEZZNS1_9scan_implILNS1_25lookback_scan_determinismE0ELb0ELb0ES3_N6thrust23THRUST_200600_302600_NS6detail15normal_iteratorINS9_10device_ptrItEEEENS9_16discard_iteratorINS9_11use_defaultEEEtNS9_4plusIvEEtEEDaPvRmT3_T4_T5_mT6_P12ihipStream_tbENKUlT_T0_E_clISt17integral_constantIbLb0EESW_IbLb1EEEEDaSS_ST_EUlSS_E0_NS1_11comp_targetILNS1_3genE8ELNS1_11target_archE1030ELNS1_3gpuE2ELNS1_3repE0EEENS1_30default_config_static_selectorELNS0_4arch9wavefront6targetE1EEEvT1_: ; @_ZN7rocprim17ROCPRIM_400000_NS6detail17trampoline_kernelINS0_14default_configENS1_20scan_config_selectorItEEZZNS1_9scan_implILNS1_25lookback_scan_determinismE0ELb0ELb0ES3_N6thrust23THRUST_200600_302600_NS6detail15normal_iteratorINS9_10device_ptrItEEEENS9_16discard_iteratorINS9_11use_defaultEEEtNS9_4plusIvEEtEEDaPvRmT3_T4_T5_mT6_P12ihipStream_tbENKUlT_T0_E_clISt17integral_constantIbLb0EESW_IbLb1EEEEDaSS_ST_EUlSS_E0_NS1_11comp_targetILNS1_3genE8ELNS1_11target_archE1030ELNS1_3gpuE2ELNS1_3repE0EEENS1_30default_config_static_selectorELNS0_4arch9wavefront6targetE1EEEvT1_
; %bb.0:
	.section	.rodata,"a",@progbits
	.p2align	6, 0x0
	.amdhsa_kernel _ZN7rocprim17ROCPRIM_400000_NS6detail17trampoline_kernelINS0_14default_configENS1_20scan_config_selectorItEEZZNS1_9scan_implILNS1_25lookback_scan_determinismE0ELb0ELb0ES3_N6thrust23THRUST_200600_302600_NS6detail15normal_iteratorINS9_10device_ptrItEEEENS9_16discard_iteratorINS9_11use_defaultEEEtNS9_4plusIvEEtEEDaPvRmT3_T4_T5_mT6_P12ihipStream_tbENKUlT_T0_E_clISt17integral_constantIbLb0EESW_IbLb1EEEEDaSS_ST_EUlSS_E0_NS1_11comp_targetILNS1_3genE8ELNS1_11target_archE1030ELNS1_3gpuE2ELNS1_3repE0EEENS1_30default_config_static_selectorELNS0_4arch9wavefront6targetE1EEEvT1_
		.amdhsa_group_segment_fixed_size 0
		.amdhsa_private_segment_fixed_size 0
		.amdhsa_kernarg_size 40
		.amdhsa_user_sgpr_count 6
		.amdhsa_user_sgpr_private_segment_buffer 1
		.amdhsa_user_sgpr_dispatch_ptr 0
		.amdhsa_user_sgpr_queue_ptr 0
		.amdhsa_user_sgpr_kernarg_segment_ptr 1
		.amdhsa_user_sgpr_dispatch_id 0
		.amdhsa_user_sgpr_flat_scratch_init 0
		.amdhsa_user_sgpr_kernarg_preload_length 0
		.amdhsa_user_sgpr_kernarg_preload_offset 0
		.amdhsa_user_sgpr_private_segment_size 0
		.amdhsa_uses_dynamic_stack 0
		.amdhsa_system_sgpr_private_segment_wavefront_offset 0
		.amdhsa_system_sgpr_workgroup_id_x 1
		.amdhsa_system_sgpr_workgroup_id_y 0
		.amdhsa_system_sgpr_workgroup_id_z 0
		.amdhsa_system_sgpr_workgroup_info 0
		.amdhsa_system_vgpr_workitem_id 0
		.amdhsa_next_free_vgpr 1
		.amdhsa_next_free_sgpr 0
		.amdhsa_accum_offset 4
		.amdhsa_reserve_vcc 0
		.amdhsa_reserve_flat_scratch 0
		.amdhsa_float_round_mode_32 0
		.amdhsa_float_round_mode_16_64 0
		.amdhsa_float_denorm_mode_32 3
		.amdhsa_float_denorm_mode_16_64 3
		.amdhsa_dx10_clamp 1
		.amdhsa_ieee_mode 1
		.amdhsa_fp16_overflow 0
		.amdhsa_tg_split 0
		.amdhsa_exception_fp_ieee_invalid_op 0
		.amdhsa_exception_fp_denorm_src 0
		.amdhsa_exception_fp_ieee_div_zero 0
		.amdhsa_exception_fp_ieee_overflow 0
		.amdhsa_exception_fp_ieee_underflow 0
		.amdhsa_exception_fp_ieee_inexact 0
		.amdhsa_exception_int_div_zero 0
	.end_amdhsa_kernel
	.section	.text._ZN7rocprim17ROCPRIM_400000_NS6detail17trampoline_kernelINS0_14default_configENS1_20scan_config_selectorItEEZZNS1_9scan_implILNS1_25lookback_scan_determinismE0ELb0ELb0ES3_N6thrust23THRUST_200600_302600_NS6detail15normal_iteratorINS9_10device_ptrItEEEENS9_16discard_iteratorINS9_11use_defaultEEEtNS9_4plusIvEEtEEDaPvRmT3_T4_T5_mT6_P12ihipStream_tbENKUlT_T0_E_clISt17integral_constantIbLb0EESW_IbLb1EEEEDaSS_ST_EUlSS_E0_NS1_11comp_targetILNS1_3genE8ELNS1_11target_archE1030ELNS1_3gpuE2ELNS1_3repE0EEENS1_30default_config_static_selectorELNS0_4arch9wavefront6targetE1EEEvT1_,"axG",@progbits,_ZN7rocprim17ROCPRIM_400000_NS6detail17trampoline_kernelINS0_14default_configENS1_20scan_config_selectorItEEZZNS1_9scan_implILNS1_25lookback_scan_determinismE0ELb0ELb0ES3_N6thrust23THRUST_200600_302600_NS6detail15normal_iteratorINS9_10device_ptrItEEEENS9_16discard_iteratorINS9_11use_defaultEEEtNS9_4plusIvEEtEEDaPvRmT3_T4_T5_mT6_P12ihipStream_tbENKUlT_T0_E_clISt17integral_constantIbLb0EESW_IbLb1EEEEDaSS_ST_EUlSS_E0_NS1_11comp_targetILNS1_3genE8ELNS1_11target_archE1030ELNS1_3gpuE2ELNS1_3repE0EEENS1_30default_config_static_selectorELNS0_4arch9wavefront6targetE1EEEvT1_,comdat
.Lfunc_end5509:
	.size	_ZN7rocprim17ROCPRIM_400000_NS6detail17trampoline_kernelINS0_14default_configENS1_20scan_config_selectorItEEZZNS1_9scan_implILNS1_25lookback_scan_determinismE0ELb0ELb0ES3_N6thrust23THRUST_200600_302600_NS6detail15normal_iteratorINS9_10device_ptrItEEEENS9_16discard_iteratorINS9_11use_defaultEEEtNS9_4plusIvEEtEEDaPvRmT3_T4_T5_mT6_P12ihipStream_tbENKUlT_T0_E_clISt17integral_constantIbLb0EESW_IbLb1EEEEDaSS_ST_EUlSS_E0_NS1_11comp_targetILNS1_3genE8ELNS1_11target_archE1030ELNS1_3gpuE2ELNS1_3repE0EEENS1_30default_config_static_selectorELNS0_4arch9wavefront6targetE1EEEvT1_, .Lfunc_end5509-_ZN7rocprim17ROCPRIM_400000_NS6detail17trampoline_kernelINS0_14default_configENS1_20scan_config_selectorItEEZZNS1_9scan_implILNS1_25lookback_scan_determinismE0ELb0ELb0ES3_N6thrust23THRUST_200600_302600_NS6detail15normal_iteratorINS9_10device_ptrItEEEENS9_16discard_iteratorINS9_11use_defaultEEEtNS9_4plusIvEEtEEDaPvRmT3_T4_T5_mT6_P12ihipStream_tbENKUlT_T0_E_clISt17integral_constantIbLb0EESW_IbLb1EEEEDaSS_ST_EUlSS_E0_NS1_11comp_targetILNS1_3genE8ELNS1_11target_archE1030ELNS1_3gpuE2ELNS1_3repE0EEENS1_30default_config_static_selectorELNS0_4arch9wavefront6targetE1EEEvT1_
                                        ; -- End function
	.section	.AMDGPU.csdata,"",@progbits
; Kernel info:
; codeLenInByte = 0
; NumSgprs: 4
; NumVgprs: 0
; NumAgprs: 0
; TotalNumVgprs: 0
; ScratchSize: 0
; MemoryBound: 0
; FloatMode: 240
; IeeeMode: 1
; LDSByteSize: 0 bytes/workgroup (compile time only)
; SGPRBlocks: 0
; VGPRBlocks: 0
; NumSGPRsForWavesPerEU: 4
; NumVGPRsForWavesPerEU: 1
; AccumOffset: 4
; Occupancy: 8
; WaveLimiterHint : 0
; COMPUTE_PGM_RSRC2:SCRATCH_EN: 0
; COMPUTE_PGM_RSRC2:USER_SGPR: 6
; COMPUTE_PGM_RSRC2:TRAP_HANDLER: 0
; COMPUTE_PGM_RSRC2:TGID_X_EN: 1
; COMPUTE_PGM_RSRC2:TGID_Y_EN: 0
; COMPUTE_PGM_RSRC2:TGID_Z_EN: 0
; COMPUTE_PGM_RSRC2:TIDIG_COMP_CNT: 0
; COMPUTE_PGM_RSRC3_GFX90A:ACCUM_OFFSET: 0
; COMPUTE_PGM_RSRC3_GFX90A:TG_SPLIT: 0
	.section	.text._ZN7rocprim17ROCPRIM_400000_NS6detail17trampoline_kernelINS0_14default_configENS1_20scan_config_selectorItEEZZNS1_9scan_implILNS1_25lookback_scan_determinismE0ELb1ELb1ES3_N6thrust23THRUST_200600_302600_NS6detail15normal_iteratorINS9_10device_ptrItEEEENS9_16discard_iteratorINS9_11use_defaultEEEtNS9_4plusIvEEtEEDaPvRmT3_T4_T5_mT6_P12ihipStream_tbENKUlT_T0_E_clISt17integral_constantIbLb0EESX_EEDaSS_ST_EUlSS_E_NS1_11comp_targetILNS1_3genE0ELNS1_11target_archE4294967295ELNS1_3gpuE0ELNS1_3repE0EEENS1_30default_config_static_selectorELNS0_4arch9wavefront6targetE1EEEvT1_,"axG",@progbits,_ZN7rocprim17ROCPRIM_400000_NS6detail17trampoline_kernelINS0_14default_configENS1_20scan_config_selectorItEEZZNS1_9scan_implILNS1_25lookback_scan_determinismE0ELb1ELb1ES3_N6thrust23THRUST_200600_302600_NS6detail15normal_iteratorINS9_10device_ptrItEEEENS9_16discard_iteratorINS9_11use_defaultEEEtNS9_4plusIvEEtEEDaPvRmT3_T4_T5_mT6_P12ihipStream_tbENKUlT_T0_E_clISt17integral_constantIbLb0EESX_EEDaSS_ST_EUlSS_E_NS1_11comp_targetILNS1_3genE0ELNS1_11target_archE4294967295ELNS1_3gpuE0ELNS1_3repE0EEENS1_30default_config_static_selectorELNS0_4arch9wavefront6targetE1EEEvT1_,comdat
	.protected	_ZN7rocprim17ROCPRIM_400000_NS6detail17trampoline_kernelINS0_14default_configENS1_20scan_config_selectorItEEZZNS1_9scan_implILNS1_25lookback_scan_determinismE0ELb1ELb1ES3_N6thrust23THRUST_200600_302600_NS6detail15normal_iteratorINS9_10device_ptrItEEEENS9_16discard_iteratorINS9_11use_defaultEEEtNS9_4plusIvEEtEEDaPvRmT3_T4_T5_mT6_P12ihipStream_tbENKUlT_T0_E_clISt17integral_constantIbLb0EESX_EEDaSS_ST_EUlSS_E_NS1_11comp_targetILNS1_3genE0ELNS1_11target_archE4294967295ELNS1_3gpuE0ELNS1_3repE0EEENS1_30default_config_static_selectorELNS0_4arch9wavefront6targetE1EEEvT1_ ; -- Begin function _ZN7rocprim17ROCPRIM_400000_NS6detail17trampoline_kernelINS0_14default_configENS1_20scan_config_selectorItEEZZNS1_9scan_implILNS1_25lookback_scan_determinismE0ELb1ELb1ES3_N6thrust23THRUST_200600_302600_NS6detail15normal_iteratorINS9_10device_ptrItEEEENS9_16discard_iteratorINS9_11use_defaultEEEtNS9_4plusIvEEtEEDaPvRmT3_T4_T5_mT6_P12ihipStream_tbENKUlT_T0_E_clISt17integral_constantIbLb0EESX_EEDaSS_ST_EUlSS_E_NS1_11comp_targetILNS1_3genE0ELNS1_11target_archE4294967295ELNS1_3gpuE0ELNS1_3repE0EEENS1_30default_config_static_selectorELNS0_4arch9wavefront6targetE1EEEvT1_
	.globl	_ZN7rocprim17ROCPRIM_400000_NS6detail17trampoline_kernelINS0_14default_configENS1_20scan_config_selectorItEEZZNS1_9scan_implILNS1_25lookback_scan_determinismE0ELb1ELb1ES3_N6thrust23THRUST_200600_302600_NS6detail15normal_iteratorINS9_10device_ptrItEEEENS9_16discard_iteratorINS9_11use_defaultEEEtNS9_4plusIvEEtEEDaPvRmT3_T4_T5_mT6_P12ihipStream_tbENKUlT_T0_E_clISt17integral_constantIbLb0EESX_EEDaSS_ST_EUlSS_E_NS1_11comp_targetILNS1_3genE0ELNS1_11target_archE4294967295ELNS1_3gpuE0ELNS1_3repE0EEENS1_30default_config_static_selectorELNS0_4arch9wavefront6targetE1EEEvT1_
	.p2align	8
	.type	_ZN7rocprim17ROCPRIM_400000_NS6detail17trampoline_kernelINS0_14default_configENS1_20scan_config_selectorItEEZZNS1_9scan_implILNS1_25lookback_scan_determinismE0ELb1ELb1ES3_N6thrust23THRUST_200600_302600_NS6detail15normal_iteratorINS9_10device_ptrItEEEENS9_16discard_iteratorINS9_11use_defaultEEEtNS9_4plusIvEEtEEDaPvRmT3_T4_T5_mT6_P12ihipStream_tbENKUlT_T0_E_clISt17integral_constantIbLb0EESX_EEDaSS_ST_EUlSS_E_NS1_11comp_targetILNS1_3genE0ELNS1_11target_archE4294967295ELNS1_3gpuE0ELNS1_3repE0EEENS1_30default_config_static_selectorELNS0_4arch9wavefront6targetE1EEEvT1_,@function
_ZN7rocprim17ROCPRIM_400000_NS6detail17trampoline_kernelINS0_14default_configENS1_20scan_config_selectorItEEZZNS1_9scan_implILNS1_25lookback_scan_determinismE0ELb1ELb1ES3_N6thrust23THRUST_200600_302600_NS6detail15normal_iteratorINS9_10device_ptrItEEEENS9_16discard_iteratorINS9_11use_defaultEEEtNS9_4plusIvEEtEEDaPvRmT3_T4_T5_mT6_P12ihipStream_tbENKUlT_T0_E_clISt17integral_constantIbLb0EESX_EEDaSS_ST_EUlSS_E_NS1_11comp_targetILNS1_3genE0ELNS1_11target_archE4294967295ELNS1_3gpuE0ELNS1_3repE0EEENS1_30default_config_static_selectorELNS0_4arch9wavefront6targetE1EEEvT1_: ; @_ZN7rocprim17ROCPRIM_400000_NS6detail17trampoline_kernelINS0_14default_configENS1_20scan_config_selectorItEEZZNS1_9scan_implILNS1_25lookback_scan_determinismE0ELb1ELb1ES3_N6thrust23THRUST_200600_302600_NS6detail15normal_iteratorINS9_10device_ptrItEEEENS9_16discard_iteratorINS9_11use_defaultEEEtNS9_4plusIvEEtEEDaPvRmT3_T4_T5_mT6_P12ihipStream_tbENKUlT_T0_E_clISt17integral_constantIbLb0EESX_EEDaSS_ST_EUlSS_E_NS1_11comp_targetILNS1_3genE0ELNS1_11target_archE4294967295ELNS1_3gpuE0ELNS1_3repE0EEENS1_30default_config_static_selectorELNS0_4arch9wavefront6targetE1EEEvT1_
; %bb.0:
	.section	.rodata,"a",@progbits
	.p2align	6, 0x0
	.amdhsa_kernel _ZN7rocprim17ROCPRIM_400000_NS6detail17trampoline_kernelINS0_14default_configENS1_20scan_config_selectorItEEZZNS1_9scan_implILNS1_25lookback_scan_determinismE0ELb1ELb1ES3_N6thrust23THRUST_200600_302600_NS6detail15normal_iteratorINS9_10device_ptrItEEEENS9_16discard_iteratorINS9_11use_defaultEEEtNS9_4plusIvEEtEEDaPvRmT3_T4_T5_mT6_P12ihipStream_tbENKUlT_T0_E_clISt17integral_constantIbLb0EESX_EEDaSS_ST_EUlSS_E_NS1_11comp_targetILNS1_3genE0ELNS1_11target_archE4294967295ELNS1_3gpuE0ELNS1_3repE0EEENS1_30default_config_static_selectorELNS0_4arch9wavefront6targetE1EEEvT1_
		.amdhsa_group_segment_fixed_size 0
		.amdhsa_private_segment_fixed_size 0
		.amdhsa_kernarg_size 104
		.amdhsa_user_sgpr_count 6
		.amdhsa_user_sgpr_private_segment_buffer 1
		.amdhsa_user_sgpr_dispatch_ptr 0
		.amdhsa_user_sgpr_queue_ptr 0
		.amdhsa_user_sgpr_kernarg_segment_ptr 1
		.amdhsa_user_sgpr_dispatch_id 0
		.amdhsa_user_sgpr_flat_scratch_init 0
		.amdhsa_user_sgpr_kernarg_preload_length 0
		.amdhsa_user_sgpr_kernarg_preload_offset 0
		.amdhsa_user_sgpr_private_segment_size 0
		.amdhsa_uses_dynamic_stack 0
		.amdhsa_system_sgpr_private_segment_wavefront_offset 0
		.amdhsa_system_sgpr_workgroup_id_x 1
		.amdhsa_system_sgpr_workgroup_id_y 0
		.amdhsa_system_sgpr_workgroup_id_z 0
		.amdhsa_system_sgpr_workgroup_info 0
		.amdhsa_system_vgpr_workitem_id 0
		.amdhsa_next_free_vgpr 1
		.amdhsa_next_free_sgpr 0
		.amdhsa_accum_offset 4
		.amdhsa_reserve_vcc 0
		.amdhsa_reserve_flat_scratch 0
		.amdhsa_float_round_mode_32 0
		.amdhsa_float_round_mode_16_64 0
		.amdhsa_float_denorm_mode_32 3
		.amdhsa_float_denorm_mode_16_64 3
		.amdhsa_dx10_clamp 1
		.amdhsa_ieee_mode 1
		.amdhsa_fp16_overflow 0
		.amdhsa_tg_split 0
		.amdhsa_exception_fp_ieee_invalid_op 0
		.amdhsa_exception_fp_denorm_src 0
		.amdhsa_exception_fp_ieee_div_zero 0
		.amdhsa_exception_fp_ieee_overflow 0
		.amdhsa_exception_fp_ieee_underflow 0
		.amdhsa_exception_fp_ieee_inexact 0
		.amdhsa_exception_int_div_zero 0
	.end_amdhsa_kernel
	.section	.text._ZN7rocprim17ROCPRIM_400000_NS6detail17trampoline_kernelINS0_14default_configENS1_20scan_config_selectorItEEZZNS1_9scan_implILNS1_25lookback_scan_determinismE0ELb1ELb1ES3_N6thrust23THRUST_200600_302600_NS6detail15normal_iteratorINS9_10device_ptrItEEEENS9_16discard_iteratorINS9_11use_defaultEEEtNS9_4plusIvEEtEEDaPvRmT3_T4_T5_mT6_P12ihipStream_tbENKUlT_T0_E_clISt17integral_constantIbLb0EESX_EEDaSS_ST_EUlSS_E_NS1_11comp_targetILNS1_3genE0ELNS1_11target_archE4294967295ELNS1_3gpuE0ELNS1_3repE0EEENS1_30default_config_static_selectorELNS0_4arch9wavefront6targetE1EEEvT1_,"axG",@progbits,_ZN7rocprim17ROCPRIM_400000_NS6detail17trampoline_kernelINS0_14default_configENS1_20scan_config_selectorItEEZZNS1_9scan_implILNS1_25lookback_scan_determinismE0ELb1ELb1ES3_N6thrust23THRUST_200600_302600_NS6detail15normal_iteratorINS9_10device_ptrItEEEENS9_16discard_iteratorINS9_11use_defaultEEEtNS9_4plusIvEEtEEDaPvRmT3_T4_T5_mT6_P12ihipStream_tbENKUlT_T0_E_clISt17integral_constantIbLb0EESX_EEDaSS_ST_EUlSS_E_NS1_11comp_targetILNS1_3genE0ELNS1_11target_archE4294967295ELNS1_3gpuE0ELNS1_3repE0EEENS1_30default_config_static_selectorELNS0_4arch9wavefront6targetE1EEEvT1_,comdat
.Lfunc_end5510:
	.size	_ZN7rocprim17ROCPRIM_400000_NS6detail17trampoline_kernelINS0_14default_configENS1_20scan_config_selectorItEEZZNS1_9scan_implILNS1_25lookback_scan_determinismE0ELb1ELb1ES3_N6thrust23THRUST_200600_302600_NS6detail15normal_iteratorINS9_10device_ptrItEEEENS9_16discard_iteratorINS9_11use_defaultEEEtNS9_4plusIvEEtEEDaPvRmT3_T4_T5_mT6_P12ihipStream_tbENKUlT_T0_E_clISt17integral_constantIbLb0EESX_EEDaSS_ST_EUlSS_E_NS1_11comp_targetILNS1_3genE0ELNS1_11target_archE4294967295ELNS1_3gpuE0ELNS1_3repE0EEENS1_30default_config_static_selectorELNS0_4arch9wavefront6targetE1EEEvT1_, .Lfunc_end5510-_ZN7rocprim17ROCPRIM_400000_NS6detail17trampoline_kernelINS0_14default_configENS1_20scan_config_selectorItEEZZNS1_9scan_implILNS1_25lookback_scan_determinismE0ELb1ELb1ES3_N6thrust23THRUST_200600_302600_NS6detail15normal_iteratorINS9_10device_ptrItEEEENS9_16discard_iteratorINS9_11use_defaultEEEtNS9_4plusIvEEtEEDaPvRmT3_T4_T5_mT6_P12ihipStream_tbENKUlT_T0_E_clISt17integral_constantIbLb0EESX_EEDaSS_ST_EUlSS_E_NS1_11comp_targetILNS1_3genE0ELNS1_11target_archE4294967295ELNS1_3gpuE0ELNS1_3repE0EEENS1_30default_config_static_selectorELNS0_4arch9wavefront6targetE1EEEvT1_
                                        ; -- End function
	.section	.AMDGPU.csdata,"",@progbits
; Kernel info:
; codeLenInByte = 0
; NumSgprs: 4
; NumVgprs: 0
; NumAgprs: 0
; TotalNumVgprs: 0
; ScratchSize: 0
; MemoryBound: 0
; FloatMode: 240
; IeeeMode: 1
; LDSByteSize: 0 bytes/workgroup (compile time only)
; SGPRBlocks: 0
; VGPRBlocks: 0
; NumSGPRsForWavesPerEU: 4
; NumVGPRsForWavesPerEU: 1
; AccumOffset: 4
; Occupancy: 8
; WaveLimiterHint : 0
; COMPUTE_PGM_RSRC2:SCRATCH_EN: 0
; COMPUTE_PGM_RSRC2:USER_SGPR: 6
; COMPUTE_PGM_RSRC2:TRAP_HANDLER: 0
; COMPUTE_PGM_RSRC2:TGID_X_EN: 1
; COMPUTE_PGM_RSRC2:TGID_Y_EN: 0
; COMPUTE_PGM_RSRC2:TGID_Z_EN: 0
; COMPUTE_PGM_RSRC2:TIDIG_COMP_CNT: 0
; COMPUTE_PGM_RSRC3_GFX90A:ACCUM_OFFSET: 0
; COMPUTE_PGM_RSRC3_GFX90A:TG_SPLIT: 0
	.section	.text._ZN7rocprim17ROCPRIM_400000_NS6detail17trampoline_kernelINS0_14default_configENS1_20scan_config_selectorItEEZZNS1_9scan_implILNS1_25lookback_scan_determinismE0ELb1ELb1ES3_N6thrust23THRUST_200600_302600_NS6detail15normal_iteratorINS9_10device_ptrItEEEENS9_16discard_iteratorINS9_11use_defaultEEEtNS9_4plusIvEEtEEDaPvRmT3_T4_T5_mT6_P12ihipStream_tbENKUlT_T0_E_clISt17integral_constantIbLb0EESX_EEDaSS_ST_EUlSS_E_NS1_11comp_targetILNS1_3genE5ELNS1_11target_archE942ELNS1_3gpuE9ELNS1_3repE0EEENS1_30default_config_static_selectorELNS0_4arch9wavefront6targetE1EEEvT1_,"axG",@progbits,_ZN7rocprim17ROCPRIM_400000_NS6detail17trampoline_kernelINS0_14default_configENS1_20scan_config_selectorItEEZZNS1_9scan_implILNS1_25lookback_scan_determinismE0ELb1ELb1ES3_N6thrust23THRUST_200600_302600_NS6detail15normal_iteratorINS9_10device_ptrItEEEENS9_16discard_iteratorINS9_11use_defaultEEEtNS9_4plusIvEEtEEDaPvRmT3_T4_T5_mT6_P12ihipStream_tbENKUlT_T0_E_clISt17integral_constantIbLb0EESX_EEDaSS_ST_EUlSS_E_NS1_11comp_targetILNS1_3genE5ELNS1_11target_archE942ELNS1_3gpuE9ELNS1_3repE0EEENS1_30default_config_static_selectorELNS0_4arch9wavefront6targetE1EEEvT1_,comdat
	.protected	_ZN7rocprim17ROCPRIM_400000_NS6detail17trampoline_kernelINS0_14default_configENS1_20scan_config_selectorItEEZZNS1_9scan_implILNS1_25lookback_scan_determinismE0ELb1ELb1ES3_N6thrust23THRUST_200600_302600_NS6detail15normal_iteratorINS9_10device_ptrItEEEENS9_16discard_iteratorINS9_11use_defaultEEEtNS9_4plusIvEEtEEDaPvRmT3_T4_T5_mT6_P12ihipStream_tbENKUlT_T0_E_clISt17integral_constantIbLb0EESX_EEDaSS_ST_EUlSS_E_NS1_11comp_targetILNS1_3genE5ELNS1_11target_archE942ELNS1_3gpuE9ELNS1_3repE0EEENS1_30default_config_static_selectorELNS0_4arch9wavefront6targetE1EEEvT1_ ; -- Begin function _ZN7rocprim17ROCPRIM_400000_NS6detail17trampoline_kernelINS0_14default_configENS1_20scan_config_selectorItEEZZNS1_9scan_implILNS1_25lookback_scan_determinismE0ELb1ELb1ES3_N6thrust23THRUST_200600_302600_NS6detail15normal_iteratorINS9_10device_ptrItEEEENS9_16discard_iteratorINS9_11use_defaultEEEtNS9_4plusIvEEtEEDaPvRmT3_T4_T5_mT6_P12ihipStream_tbENKUlT_T0_E_clISt17integral_constantIbLb0EESX_EEDaSS_ST_EUlSS_E_NS1_11comp_targetILNS1_3genE5ELNS1_11target_archE942ELNS1_3gpuE9ELNS1_3repE0EEENS1_30default_config_static_selectorELNS0_4arch9wavefront6targetE1EEEvT1_
	.globl	_ZN7rocprim17ROCPRIM_400000_NS6detail17trampoline_kernelINS0_14default_configENS1_20scan_config_selectorItEEZZNS1_9scan_implILNS1_25lookback_scan_determinismE0ELb1ELb1ES3_N6thrust23THRUST_200600_302600_NS6detail15normal_iteratorINS9_10device_ptrItEEEENS9_16discard_iteratorINS9_11use_defaultEEEtNS9_4plusIvEEtEEDaPvRmT3_T4_T5_mT6_P12ihipStream_tbENKUlT_T0_E_clISt17integral_constantIbLb0EESX_EEDaSS_ST_EUlSS_E_NS1_11comp_targetILNS1_3genE5ELNS1_11target_archE942ELNS1_3gpuE9ELNS1_3repE0EEENS1_30default_config_static_selectorELNS0_4arch9wavefront6targetE1EEEvT1_
	.p2align	8
	.type	_ZN7rocprim17ROCPRIM_400000_NS6detail17trampoline_kernelINS0_14default_configENS1_20scan_config_selectorItEEZZNS1_9scan_implILNS1_25lookback_scan_determinismE0ELb1ELb1ES3_N6thrust23THRUST_200600_302600_NS6detail15normal_iteratorINS9_10device_ptrItEEEENS9_16discard_iteratorINS9_11use_defaultEEEtNS9_4plusIvEEtEEDaPvRmT3_T4_T5_mT6_P12ihipStream_tbENKUlT_T0_E_clISt17integral_constantIbLb0EESX_EEDaSS_ST_EUlSS_E_NS1_11comp_targetILNS1_3genE5ELNS1_11target_archE942ELNS1_3gpuE9ELNS1_3repE0EEENS1_30default_config_static_selectorELNS0_4arch9wavefront6targetE1EEEvT1_,@function
_ZN7rocprim17ROCPRIM_400000_NS6detail17trampoline_kernelINS0_14default_configENS1_20scan_config_selectorItEEZZNS1_9scan_implILNS1_25lookback_scan_determinismE0ELb1ELb1ES3_N6thrust23THRUST_200600_302600_NS6detail15normal_iteratorINS9_10device_ptrItEEEENS9_16discard_iteratorINS9_11use_defaultEEEtNS9_4plusIvEEtEEDaPvRmT3_T4_T5_mT6_P12ihipStream_tbENKUlT_T0_E_clISt17integral_constantIbLb0EESX_EEDaSS_ST_EUlSS_E_NS1_11comp_targetILNS1_3genE5ELNS1_11target_archE942ELNS1_3gpuE9ELNS1_3repE0EEENS1_30default_config_static_selectorELNS0_4arch9wavefront6targetE1EEEvT1_: ; @_ZN7rocprim17ROCPRIM_400000_NS6detail17trampoline_kernelINS0_14default_configENS1_20scan_config_selectorItEEZZNS1_9scan_implILNS1_25lookback_scan_determinismE0ELb1ELb1ES3_N6thrust23THRUST_200600_302600_NS6detail15normal_iteratorINS9_10device_ptrItEEEENS9_16discard_iteratorINS9_11use_defaultEEEtNS9_4plusIvEEtEEDaPvRmT3_T4_T5_mT6_P12ihipStream_tbENKUlT_T0_E_clISt17integral_constantIbLb0EESX_EEDaSS_ST_EUlSS_E_NS1_11comp_targetILNS1_3genE5ELNS1_11target_archE942ELNS1_3gpuE9ELNS1_3repE0EEENS1_30default_config_static_selectorELNS0_4arch9wavefront6targetE1EEEvT1_
; %bb.0:
	.section	.rodata,"a",@progbits
	.p2align	6, 0x0
	.amdhsa_kernel _ZN7rocprim17ROCPRIM_400000_NS6detail17trampoline_kernelINS0_14default_configENS1_20scan_config_selectorItEEZZNS1_9scan_implILNS1_25lookback_scan_determinismE0ELb1ELb1ES3_N6thrust23THRUST_200600_302600_NS6detail15normal_iteratorINS9_10device_ptrItEEEENS9_16discard_iteratorINS9_11use_defaultEEEtNS9_4plusIvEEtEEDaPvRmT3_T4_T5_mT6_P12ihipStream_tbENKUlT_T0_E_clISt17integral_constantIbLb0EESX_EEDaSS_ST_EUlSS_E_NS1_11comp_targetILNS1_3genE5ELNS1_11target_archE942ELNS1_3gpuE9ELNS1_3repE0EEENS1_30default_config_static_selectorELNS0_4arch9wavefront6targetE1EEEvT1_
		.amdhsa_group_segment_fixed_size 0
		.amdhsa_private_segment_fixed_size 0
		.amdhsa_kernarg_size 104
		.amdhsa_user_sgpr_count 6
		.amdhsa_user_sgpr_private_segment_buffer 1
		.amdhsa_user_sgpr_dispatch_ptr 0
		.amdhsa_user_sgpr_queue_ptr 0
		.amdhsa_user_sgpr_kernarg_segment_ptr 1
		.amdhsa_user_sgpr_dispatch_id 0
		.amdhsa_user_sgpr_flat_scratch_init 0
		.amdhsa_user_sgpr_kernarg_preload_length 0
		.amdhsa_user_sgpr_kernarg_preload_offset 0
		.amdhsa_user_sgpr_private_segment_size 0
		.amdhsa_uses_dynamic_stack 0
		.amdhsa_system_sgpr_private_segment_wavefront_offset 0
		.amdhsa_system_sgpr_workgroup_id_x 1
		.amdhsa_system_sgpr_workgroup_id_y 0
		.amdhsa_system_sgpr_workgroup_id_z 0
		.amdhsa_system_sgpr_workgroup_info 0
		.amdhsa_system_vgpr_workitem_id 0
		.amdhsa_next_free_vgpr 1
		.amdhsa_next_free_sgpr 0
		.amdhsa_accum_offset 4
		.amdhsa_reserve_vcc 0
		.amdhsa_reserve_flat_scratch 0
		.amdhsa_float_round_mode_32 0
		.amdhsa_float_round_mode_16_64 0
		.amdhsa_float_denorm_mode_32 3
		.amdhsa_float_denorm_mode_16_64 3
		.amdhsa_dx10_clamp 1
		.amdhsa_ieee_mode 1
		.amdhsa_fp16_overflow 0
		.amdhsa_tg_split 0
		.amdhsa_exception_fp_ieee_invalid_op 0
		.amdhsa_exception_fp_denorm_src 0
		.amdhsa_exception_fp_ieee_div_zero 0
		.amdhsa_exception_fp_ieee_overflow 0
		.amdhsa_exception_fp_ieee_underflow 0
		.amdhsa_exception_fp_ieee_inexact 0
		.amdhsa_exception_int_div_zero 0
	.end_amdhsa_kernel
	.section	.text._ZN7rocprim17ROCPRIM_400000_NS6detail17trampoline_kernelINS0_14default_configENS1_20scan_config_selectorItEEZZNS1_9scan_implILNS1_25lookback_scan_determinismE0ELb1ELb1ES3_N6thrust23THRUST_200600_302600_NS6detail15normal_iteratorINS9_10device_ptrItEEEENS9_16discard_iteratorINS9_11use_defaultEEEtNS9_4plusIvEEtEEDaPvRmT3_T4_T5_mT6_P12ihipStream_tbENKUlT_T0_E_clISt17integral_constantIbLb0EESX_EEDaSS_ST_EUlSS_E_NS1_11comp_targetILNS1_3genE5ELNS1_11target_archE942ELNS1_3gpuE9ELNS1_3repE0EEENS1_30default_config_static_selectorELNS0_4arch9wavefront6targetE1EEEvT1_,"axG",@progbits,_ZN7rocprim17ROCPRIM_400000_NS6detail17trampoline_kernelINS0_14default_configENS1_20scan_config_selectorItEEZZNS1_9scan_implILNS1_25lookback_scan_determinismE0ELb1ELb1ES3_N6thrust23THRUST_200600_302600_NS6detail15normal_iteratorINS9_10device_ptrItEEEENS9_16discard_iteratorINS9_11use_defaultEEEtNS9_4plusIvEEtEEDaPvRmT3_T4_T5_mT6_P12ihipStream_tbENKUlT_T0_E_clISt17integral_constantIbLb0EESX_EEDaSS_ST_EUlSS_E_NS1_11comp_targetILNS1_3genE5ELNS1_11target_archE942ELNS1_3gpuE9ELNS1_3repE0EEENS1_30default_config_static_selectorELNS0_4arch9wavefront6targetE1EEEvT1_,comdat
.Lfunc_end5511:
	.size	_ZN7rocprim17ROCPRIM_400000_NS6detail17trampoline_kernelINS0_14default_configENS1_20scan_config_selectorItEEZZNS1_9scan_implILNS1_25lookback_scan_determinismE0ELb1ELb1ES3_N6thrust23THRUST_200600_302600_NS6detail15normal_iteratorINS9_10device_ptrItEEEENS9_16discard_iteratorINS9_11use_defaultEEEtNS9_4plusIvEEtEEDaPvRmT3_T4_T5_mT6_P12ihipStream_tbENKUlT_T0_E_clISt17integral_constantIbLb0EESX_EEDaSS_ST_EUlSS_E_NS1_11comp_targetILNS1_3genE5ELNS1_11target_archE942ELNS1_3gpuE9ELNS1_3repE0EEENS1_30default_config_static_selectorELNS0_4arch9wavefront6targetE1EEEvT1_, .Lfunc_end5511-_ZN7rocprim17ROCPRIM_400000_NS6detail17trampoline_kernelINS0_14default_configENS1_20scan_config_selectorItEEZZNS1_9scan_implILNS1_25lookback_scan_determinismE0ELb1ELb1ES3_N6thrust23THRUST_200600_302600_NS6detail15normal_iteratorINS9_10device_ptrItEEEENS9_16discard_iteratorINS9_11use_defaultEEEtNS9_4plusIvEEtEEDaPvRmT3_T4_T5_mT6_P12ihipStream_tbENKUlT_T0_E_clISt17integral_constantIbLb0EESX_EEDaSS_ST_EUlSS_E_NS1_11comp_targetILNS1_3genE5ELNS1_11target_archE942ELNS1_3gpuE9ELNS1_3repE0EEENS1_30default_config_static_selectorELNS0_4arch9wavefront6targetE1EEEvT1_
                                        ; -- End function
	.section	.AMDGPU.csdata,"",@progbits
; Kernel info:
; codeLenInByte = 0
; NumSgprs: 4
; NumVgprs: 0
; NumAgprs: 0
; TotalNumVgprs: 0
; ScratchSize: 0
; MemoryBound: 0
; FloatMode: 240
; IeeeMode: 1
; LDSByteSize: 0 bytes/workgroup (compile time only)
; SGPRBlocks: 0
; VGPRBlocks: 0
; NumSGPRsForWavesPerEU: 4
; NumVGPRsForWavesPerEU: 1
; AccumOffset: 4
; Occupancy: 8
; WaveLimiterHint : 0
; COMPUTE_PGM_RSRC2:SCRATCH_EN: 0
; COMPUTE_PGM_RSRC2:USER_SGPR: 6
; COMPUTE_PGM_RSRC2:TRAP_HANDLER: 0
; COMPUTE_PGM_RSRC2:TGID_X_EN: 1
; COMPUTE_PGM_RSRC2:TGID_Y_EN: 0
; COMPUTE_PGM_RSRC2:TGID_Z_EN: 0
; COMPUTE_PGM_RSRC2:TIDIG_COMP_CNT: 0
; COMPUTE_PGM_RSRC3_GFX90A:ACCUM_OFFSET: 0
; COMPUTE_PGM_RSRC3_GFX90A:TG_SPLIT: 0
	.section	.text._ZN7rocprim17ROCPRIM_400000_NS6detail17trampoline_kernelINS0_14default_configENS1_20scan_config_selectorItEEZZNS1_9scan_implILNS1_25lookback_scan_determinismE0ELb1ELb1ES3_N6thrust23THRUST_200600_302600_NS6detail15normal_iteratorINS9_10device_ptrItEEEENS9_16discard_iteratorINS9_11use_defaultEEEtNS9_4plusIvEEtEEDaPvRmT3_T4_T5_mT6_P12ihipStream_tbENKUlT_T0_E_clISt17integral_constantIbLb0EESX_EEDaSS_ST_EUlSS_E_NS1_11comp_targetILNS1_3genE4ELNS1_11target_archE910ELNS1_3gpuE8ELNS1_3repE0EEENS1_30default_config_static_selectorELNS0_4arch9wavefront6targetE1EEEvT1_,"axG",@progbits,_ZN7rocprim17ROCPRIM_400000_NS6detail17trampoline_kernelINS0_14default_configENS1_20scan_config_selectorItEEZZNS1_9scan_implILNS1_25lookback_scan_determinismE0ELb1ELb1ES3_N6thrust23THRUST_200600_302600_NS6detail15normal_iteratorINS9_10device_ptrItEEEENS9_16discard_iteratorINS9_11use_defaultEEEtNS9_4plusIvEEtEEDaPvRmT3_T4_T5_mT6_P12ihipStream_tbENKUlT_T0_E_clISt17integral_constantIbLb0EESX_EEDaSS_ST_EUlSS_E_NS1_11comp_targetILNS1_3genE4ELNS1_11target_archE910ELNS1_3gpuE8ELNS1_3repE0EEENS1_30default_config_static_selectorELNS0_4arch9wavefront6targetE1EEEvT1_,comdat
	.protected	_ZN7rocprim17ROCPRIM_400000_NS6detail17trampoline_kernelINS0_14default_configENS1_20scan_config_selectorItEEZZNS1_9scan_implILNS1_25lookback_scan_determinismE0ELb1ELb1ES3_N6thrust23THRUST_200600_302600_NS6detail15normal_iteratorINS9_10device_ptrItEEEENS9_16discard_iteratorINS9_11use_defaultEEEtNS9_4plusIvEEtEEDaPvRmT3_T4_T5_mT6_P12ihipStream_tbENKUlT_T0_E_clISt17integral_constantIbLb0EESX_EEDaSS_ST_EUlSS_E_NS1_11comp_targetILNS1_3genE4ELNS1_11target_archE910ELNS1_3gpuE8ELNS1_3repE0EEENS1_30default_config_static_selectorELNS0_4arch9wavefront6targetE1EEEvT1_ ; -- Begin function _ZN7rocprim17ROCPRIM_400000_NS6detail17trampoline_kernelINS0_14default_configENS1_20scan_config_selectorItEEZZNS1_9scan_implILNS1_25lookback_scan_determinismE0ELb1ELb1ES3_N6thrust23THRUST_200600_302600_NS6detail15normal_iteratorINS9_10device_ptrItEEEENS9_16discard_iteratorINS9_11use_defaultEEEtNS9_4plusIvEEtEEDaPvRmT3_T4_T5_mT6_P12ihipStream_tbENKUlT_T0_E_clISt17integral_constantIbLb0EESX_EEDaSS_ST_EUlSS_E_NS1_11comp_targetILNS1_3genE4ELNS1_11target_archE910ELNS1_3gpuE8ELNS1_3repE0EEENS1_30default_config_static_selectorELNS0_4arch9wavefront6targetE1EEEvT1_
	.globl	_ZN7rocprim17ROCPRIM_400000_NS6detail17trampoline_kernelINS0_14default_configENS1_20scan_config_selectorItEEZZNS1_9scan_implILNS1_25lookback_scan_determinismE0ELb1ELb1ES3_N6thrust23THRUST_200600_302600_NS6detail15normal_iteratorINS9_10device_ptrItEEEENS9_16discard_iteratorINS9_11use_defaultEEEtNS9_4plusIvEEtEEDaPvRmT3_T4_T5_mT6_P12ihipStream_tbENKUlT_T0_E_clISt17integral_constantIbLb0EESX_EEDaSS_ST_EUlSS_E_NS1_11comp_targetILNS1_3genE4ELNS1_11target_archE910ELNS1_3gpuE8ELNS1_3repE0EEENS1_30default_config_static_selectorELNS0_4arch9wavefront6targetE1EEEvT1_
	.p2align	8
	.type	_ZN7rocprim17ROCPRIM_400000_NS6detail17trampoline_kernelINS0_14default_configENS1_20scan_config_selectorItEEZZNS1_9scan_implILNS1_25lookback_scan_determinismE0ELb1ELb1ES3_N6thrust23THRUST_200600_302600_NS6detail15normal_iteratorINS9_10device_ptrItEEEENS9_16discard_iteratorINS9_11use_defaultEEEtNS9_4plusIvEEtEEDaPvRmT3_T4_T5_mT6_P12ihipStream_tbENKUlT_T0_E_clISt17integral_constantIbLb0EESX_EEDaSS_ST_EUlSS_E_NS1_11comp_targetILNS1_3genE4ELNS1_11target_archE910ELNS1_3gpuE8ELNS1_3repE0EEENS1_30default_config_static_selectorELNS0_4arch9wavefront6targetE1EEEvT1_,@function
_ZN7rocprim17ROCPRIM_400000_NS6detail17trampoline_kernelINS0_14default_configENS1_20scan_config_selectorItEEZZNS1_9scan_implILNS1_25lookback_scan_determinismE0ELb1ELb1ES3_N6thrust23THRUST_200600_302600_NS6detail15normal_iteratorINS9_10device_ptrItEEEENS9_16discard_iteratorINS9_11use_defaultEEEtNS9_4plusIvEEtEEDaPvRmT3_T4_T5_mT6_P12ihipStream_tbENKUlT_T0_E_clISt17integral_constantIbLb0EESX_EEDaSS_ST_EUlSS_E_NS1_11comp_targetILNS1_3genE4ELNS1_11target_archE910ELNS1_3gpuE8ELNS1_3repE0EEENS1_30default_config_static_selectorELNS0_4arch9wavefront6targetE1EEEvT1_: ; @_ZN7rocprim17ROCPRIM_400000_NS6detail17trampoline_kernelINS0_14default_configENS1_20scan_config_selectorItEEZZNS1_9scan_implILNS1_25lookback_scan_determinismE0ELb1ELb1ES3_N6thrust23THRUST_200600_302600_NS6detail15normal_iteratorINS9_10device_ptrItEEEENS9_16discard_iteratorINS9_11use_defaultEEEtNS9_4plusIvEEtEEDaPvRmT3_T4_T5_mT6_P12ihipStream_tbENKUlT_T0_E_clISt17integral_constantIbLb0EESX_EEDaSS_ST_EUlSS_E_NS1_11comp_targetILNS1_3genE4ELNS1_11target_archE910ELNS1_3gpuE8ELNS1_3repE0EEENS1_30default_config_static_selectorELNS0_4arch9wavefront6targetE1EEEvT1_
; %bb.0:
	s_load_dwordx4 s[0:3], s[4:5], 0x0
	s_load_dwordx2 s[8:9], s[4:5], 0x20
	s_load_dword s7, s[4:5], 0x38
	s_waitcnt lgkmcnt(0)
	s_lshl_b64 s[2:3], s[2:3], 1
	s_add_u32 s21, s0, s2
	s_addc_u32 s22, s1, s3
	s_add_i32 s2, s7, -1
	s_mul_i32 s3, s2, 0x600
	s_sub_u32 s7, s8, s3
	s_subb_u32 s20, s9, 0
	s_mul_i32 s0, s6, 0x600
	s_mov_b32 s1, 0
	s_cmp_lg_u32 s6, s2
	s_cselect_b64 s[16:17], -1, 0
	s_lshl_b64 s[0:1], s[0:1], 1
	s_add_u32 s0, s21, s0
	s_addc_u32 s1, s22, s1
	s_mov_b64 s[2:3], -1
	s_and_b64 vcc, exec, s[16:17]
	s_cbranch_vccz .LBB5512_2
; %bb.1:
	v_lshlrev_b32_e32 v1, 1, v0
	v_mov_b32_e32 v3, s1
	v_add_co_u32_e32 v2, vcc, s0, v1
	v_addc_co_u32_e32 v3, vcc, 0, v3, vcc
	flat_load_ushort v4, v[2:3]
	flat_load_ushort v5, v[2:3] offset:128
	flat_load_ushort v6, v[2:3] offset:256
	;; [unrolled: 1-line block ×23, first 2 shown]
	s_mov_b64 s[2:3], 0
	s_waitcnt vmcnt(0) lgkmcnt(0)
	ds_write_b16 v1, v4
	ds_write_b16 v1, v5 offset:128
	ds_write_b16 v1, v6 offset:256
	;; [unrolled: 1-line block ×23, first 2 shown]
	s_waitcnt lgkmcnt(0)
	; wave barrier
.LBB5512_2:
	s_load_dwordx2 s[18:19], s[4:5], 0x30
	s_andn2_b64 vcc, exec, s[2:3]
	s_cbranch_vccnz .LBB5512_52
; %bb.3:
	v_pk_mov_b32 v[2:3], s[0:1], s[0:1] op_sel:[0,1]
	flat_load_ushort v1, v[2:3]
	v_cmp_gt_u32_e32 vcc, s7, v0
	s_waitcnt vmcnt(0) lgkmcnt(0)
	v_mov_b32_e32 v2, v1
	s_and_saveexec_b64 s[2:3], vcc
	s_cbranch_execz .LBB5512_5
; %bb.4:
	v_lshlrev_b32_e32 v2, 1, v0
	v_mov_b32_e32 v3, s1
	v_add_co_u32_e32 v2, vcc, s0, v2
	v_addc_co_u32_e32 v3, vcc, 0, v3, vcc
	flat_load_ushort v2, v[2:3]
.LBB5512_5:
	s_or_b64 exec, exec, s[2:3]
	v_or_b32_e32 v3, 64, v0
	v_cmp_gt_u32_e32 vcc, s7, v3
	v_mov_b32_e32 v3, v1
	s_and_saveexec_b64 s[2:3], vcc
	s_cbranch_execz .LBB5512_7
; %bb.6:
	v_lshlrev_b32_e32 v3, 1, v0
	v_mov_b32_e32 v5, s1
	v_add_co_u32_e32 v4, vcc, s0, v3
	v_addc_co_u32_e32 v5, vcc, 0, v5, vcc
	flat_load_ushort v3, v[4:5] offset:128
.LBB5512_7:
	s_or_b64 exec, exec, s[2:3]
	v_or_b32_e32 v4, 0x80, v0
	v_cmp_gt_u32_e32 vcc, s7, v4
	v_mov_b32_e32 v4, v1
	s_and_saveexec_b64 s[2:3], vcc
	s_cbranch_execz .LBB5512_9
; %bb.8:
	v_lshlrev_b32_e32 v4, 1, v0
	v_mov_b32_e32 v5, s1
	v_add_co_u32_e32 v4, vcc, s0, v4
	v_addc_co_u32_e32 v5, vcc, 0, v5, vcc
	flat_load_ushort v4, v[4:5] offset:256
.LBB5512_9:
	;; [unrolled: 13-line block ×22, first 2 shown]
	s_or_b64 exec, exec, s[2:3]
	v_or_b32_e32 v25, 0x5c0, v0
	v_cmp_gt_u32_e32 vcc, s7, v25
	s_and_saveexec_b64 s[2:3], vcc
	s_cbranch_execz .LBB5512_51
; %bb.50:
	v_lshlrev_b32_e32 v1, 1, v0
	v_mov_b32_e32 v25, s1
	v_add_co_u32_e32 v26, vcc, s0, v1
	v_addc_co_u32_e32 v27, vcc, 0, v25, vcc
	flat_load_ushort v1, v[26:27] offset:2944
.LBB5512_51:
	s_or_b64 exec, exec, s[2:3]
	v_lshlrev_b32_e32 v25, 1, v0
	s_waitcnt vmcnt(0) lgkmcnt(0)
	ds_write_b16 v25, v2
	ds_write_b16 v25, v3 offset:128
	ds_write_b16 v25, v4 offset:256
	;; [unrolled: 1-line block ×23, first 2 shown]
	s_waitcnt lgkmcnt(0)
	; wave barrier
.LBB5512_52:
	v_mul_u32_u24_e32 v20, 24, v0
	v_lshlrev_b32_e32 v1, 1, v20
	s_waitcnt lgkmcnt(0)
	ds_read_b128 v[10:13], v1
	ds_read_b128 v[6:9], v1 offset:16
	ds_read_b128 v[2:5], v1 offset:32
	s_cmp_lg_u32 s6, 0
	v_mbcnt_lo_u32_b32 v21, -1, 0
	s_waitcnt lgkmcnt(2)
	v_add_u16_sdwa v14, v10, v10 dst_sel:DWORD dst_unused:UNUSED_PAD src0_sel:WORD_1 src1_sel:DWORD
	v_add_u16_e32 v22, v14, v11
	v_cmp_eq_u32_e32 vcc, 63, v0
	s_waitcnt lgkmcnt(0)
	; wave barrier
	s_waitcnt lgkmcnt(0)
	s_cbranch_scc0 .LBB5512_75
; %bb.53:
	v_add_u16_sdwa v14, v22, v11 dst_sel:DWORD dst_unused:UNUSED_PAD src0_sel:DWORD src1_sel:WORD_1
	v_add_u16_e32 v14, v14, v12
	v_add_u16_sdwa v14, v14, v12 dst_sel:DWORD dst_unused:UNUSED_PAD src0_sel:DWORD src1_sel:WORD_1
	v_add_u16_e32 v14, v14, v13
	;; [unrolled: 2-line block ×10, first 2 shown]
	v_mbcnt_hi_u32_b32 v15, -1, v21
	v_add_u16_sdwa v14, v14, v5 dst_sel:DWORD dst_unused:UNUSED_PAD src0_sel:DWORD src1_sel:WORD_1
	v_and_b32_e32 v16, 15, v15
	v_cmp_ne_u32_e64 s[0:1], 0, v16
	v_mov_b32_dpp v17, v14 row_shr:1 row_mask:0xf bank_mask:0xf
	v_cndmask_b32_e64 v17, 0, v17, s[0:1]
	v_add_u16_e32 v14, v17, v14
	v_cmp_lt_u32_e64 s[0:1], 1, v16
	s_nop 0
	v_mov_b32_dpp v17, v14 row_shr:2 row_mask:0xf bank_mask:0xf
	v_cndmask_b32_e64 v17, 0, v17, s[0:1]
	v_add_u16_e32 v14, v14, v17
	v_cmp_lt_u32_e64 s[0:1], 3, v16
	s_nop 0
	;; [unrolled: 5-line block ×3, first 2 shown]
	v_mov_b32_dpp v17, v14 row_shr:8 row_mask:0xf bank_mask:0xf
	v_cndmask_b32_e64 v16, 0, v17, s[0:1]
	v_add_u16_e32 v14, v14, v16
	v_and_b32_e32 v17, 16, v15
	v_cmp_ne_u32_e64 s[0:1], 0, v17
	v_mov_b32_dpp v16, v14 row_bcast:15 row_mask:0xf bank_mask:0xf
	v_cndmask_b32_e64 v16, 0, v16, s[0:1]
	v_add_u16_e32 v14, v14, v16
	v_cmp_lt_u32_e64 s[0:1], 31, v15
	s_nop 0
	v_mov_b32_dpp v16, v14 row_bcast:31 row_mask:0xf bank_mask:0xf
	v_cndmask_b32_e64 v16, 0, v16, s[0:1]
	v_add_u16_e32 v14, v14, v16
	s_and_saveexec_b64 s[0:1], vcc
	s_cbranch_execz .LBB5512_55
; %bb.54:
	v_mov_b32_e32 v16, 0
	ds_write_b16 v16, v14
.LBB5512_55:
	s_or_b64 exec, exec, s[0:1]
	v_add_u32_e32 v16, -1, v15
	v_and_b32_e32 v17, 64, v15
	v_cmp_lt_i32_e32 vcc, v16, v17
	v_cndmask_b32_e32 v16, v16, v15, vcc
	v_lshlrev_b32_e32 v16, 2, v16
	ds_bpermute_b32 v23, v16, v14
	v_cmp_gt_u32_e32 vcc, 64, v0
	s_waitcnt lgkmcnt(0)
	; wave barrier
	s_waitcnt lgkmcnt(0)
	s_and_saveexec_b64 s[10:11], vcc
	s_cbranch_execz .LBB5512_74
; %bb.56:
	v_mov_b32_e32 v17, 0
	ds_read_u16 v24, v17
	s_mov_b32 s9, 0
	v_cmp_eq_u32_e64 s[0:1], 0, v15
	s_and_saveexec_b64 s[2:3], s[0:1]
	s_cbranch_execz .LBB5512_58
; %bb.57:
	s_add_i32 s8, s6, 64
	s_lshl_b64 s[8:9], s[8:9], 2
	s_add_u32 s8, s18, s8
	s_waitcnt lgkmcnt(0)
	v_or_b32_e32 v14, 0x10000, v24
	s_addc_u32 s9, s19, s9
	global_store_dword v17, v14, s[8:9]
.LBB5512_58:
	s_or_b64 exec, exec, s[2:3]
	v_xad_u32 v14, v15, -1, s6
	v_add_u32_e32 v16, 64, v14
	v_lshlrev_b64 v[18:19], 2, v[16:17]
	v_mov_b32_e32 v16, s19
	v_add_co_u32_e32 v18, vcc, s18, v18
	v_addc_co_u32_e32 v19, vcc, v16, v19, vcc
	global_load_dword v37, v[18:19], off glc
	s_waitcnt vmcnt(0)
	v_lshrrev_b32_e32 v26, 16, v37
	v_cmp_eq_u16_sdwa s[8:9], v26, v17 src0_sel:BYTE_0 src1_sel:DWORD
	s_and_saveexec_b64 s[2:3], s[8:9]
	s_cbranch_execz .LBB5512_62
; %bb.59:
	s_mov_b64 s[8:9], 0
	v_mov_b32_e32 v16, 0
.LBB5512_60:                            ; =>This Inner Loop Header: Depth=1
	global_load_dword v37, v[18:19], off glc
	s_waitcnt vmcnt(0)
	v_lshrrev_b32_e32 v26, 16, v37
	v_cmp_ne_u16_sdwa s[12:13], v26, v16 src0_sel:BYTE_0 src1_sel:DWORD
	s_or_b64 s[8:9], s[12:13], s[8:9]
	s_andn2_b64 exec, exec, s[8:9]
	s_cbranch_execnz .LBB5512_60
; %bb.61:
	s_or_b64 exec, exec, s[8:9]
.LBB5512_62:
	s_or_b64 exec, exec, s[2:3]
	v_and_b32_e32 v27, 63, v15
	v_cmp_ne_u32_e32 vcc, 63, v27
	v_mov_b32_e32 v25, 2
	v_addc_co_u32_e32 v28, vcc, 0, v15, vcc
	v_cmp_eq_u16_sdwa s[2:3], v26, v25 src0_sel:BYTE_0 src1_sel:DWORD
	v_lshlrev_b64 v[16:17], v15, -1
	v_and_b32_e32 v29, 0xffff, v37
	v_lshlrev_b32_e32 v28, 2, v28
	v_and_b32_e32 v18, s3, v17
	ds_bpermute_b32 v30, v28, v29
	v_or_b32_e32 v18, 0x80000000, v18
	v_and_b32_e32 v19, s2, v16
	v_ffbl_b32_e32 v18, v18
	v_add_u32_e32 v18, 32, v18
	v_ffbl_b32_e32 v19, v19
	v_min_u32_e32 v18, v19, v18
	s_waitcnt lgkmcnt(0)
	v_add_u16_e32 v19, v30, v37
	v_cmp_lt_u32_e32 vcc, v27, v18
	v_cmp_gt_u32_e64 s[2:3], 62, v27
	v_cndmask_b32_e32 v31, v29, v19, vcc
	v_cndmask_b32_e64 v29, 0, 1, s[2:3]
	v_lshlrev_b32_e32 v29, 1, v29
	v_add_lshl_u32 v29, v29, v15, 2
	ds_bpermute_b32 v32, v29, v31
	v_cndmask_b32_e32 v19, v37, v19, vcc
	v_add_u32_e32 v30, 2, v27
	v_cmp_gt_u32_e64 s[2:3], v30, v18
	v_cmp_gt_u32_e64 s[8:9], 60, v27
	s_waitcnt lgkmcnt(0)
	v_add_u16_e32 v32, v19, v32
	v_cndmask_b32_e64 v33, v32, v31, s[2:3]
	v_cndmask_b32_e64 v31, 0, 1, s[8:9]
	v_lshlrev_b32_e32 v31, 2, v31
	v_add_lshl_u32 v31, v31, v15, 2
	ds_bpermute_b32 v34, v31, v33
	v_cndmask_b32_e64 v19, v32, v19, s[2:3]
	v_add_u32_e32 v32, 4, v27
	v_cmp_gt_u32_e64 s[2:3], v32, v18
	v_cmp_gt_u32_e64 s[8:9], 56, v27
	s_waitcnt lgkmcnt(0)
	v_add_u16_e32 v34, v19, v34
	v_cndmask_b32_e64 v35, v34, v33, s[2:3]
	v_cndmask_b32_e64 v33, 0, 1, s[8:9]
	v_lshlrev_b32_e32 v33, 3, v33
	v_add_lshl_u32 v33, v33, v15, 2
	ds_bpermute_b32 v36, v33, v35
	v_cndmask_b32_e64 v19, v34, v19, s[2:3]
	;; [unrolled: 11-line block ×3, first 2 shown]
	v_add_u32_e32 v36, 16, v27
	v_cmp_gt_u32_e64 s[2:3], v36, v18
	v_cmp_gt_u32_e64 s[8:9], 32, v27
	s_waitcnt lgkmcnt(0)
	v_add_u16_e32 v40, v19, v39
	v_cndmask_b32_e64 v39, v40, v38, s[2:3]
	v_cndmask_b32_e64 v38, 0, 1, s[8:9]
	v_lshlrev_b32_e32 v38, 5, v38
	v_add_lshl_u32 v38, v38, v15, 2
	ds_bpermute_b32 v15, v38, v39
	v_add_u32_e32 v39, 32, v27
	v_cndmask_b32_e64 v19, v40, v19, s[2:3]
	v_cmp_le_u32_e64 s[2:3], v39, v18
	s_waitcnt lgkmcnt(0)
	v_cndmask_b32_e64 v15, 0, v15, s[2:3]
	v_add_u16_e32 v15, v19, v15
	v_cndmask_b32_e32 v18, v37, v15, vcc
	v_mov_b32_e32 v15, 0
	s_branch .LBB5512_64
.LBB5512_63:                            ;   in Loop: Header=BB5512_64 Depth=1
	s_or_b64 exec, exec, s[2:3]
	v_cmp_eq_u16_sdwa s[2:3], v26, v25 src0_sel:BYTE_0 src1_sel:DWORD
	v_and_b32_e32 v41, 0xffff, v40
	v_and_b32_e32 v18, s3, v17
	ds_bpermute_b32 v42, v28, v41
	v_or_b32_e32 v18, 0x80000000, v18
	v_and_b32_e32 v19, s2, v16
	v_ffbl_b32_e32 v18, v18
	v_add_u32_e32 v18, 32, v18
	v_ffbl_b32_e32 v19, v19
	v_min_u32_e32 v18, v19, v18
	s_waitcnt lgkmcnt(0)
	v_add_u16_e32 v19, v42, v40
	v_cmp_lt_u32_e32 vcc, v27, v18
	v_cndmask_b32_e32 v41, v41, v19, vcc
	ds_bpermute_b32 v42, v29, v41
	v_cndmask_b32_e32 v19, v40, v19, vcc
	v_cmp_gt_u32_e64 s[2:3], v30, v18
	v_subrev_u32_e32 v14, 64, v14
	s_waitcnt lgkmcnt(0)
	v_add_u16_e32 v42, v19, v42
	v_cndmask_b32_e64 v41, v42, v41, s[2:3]
	ds_bpermute_b32 v43, v31, v41
	v_cndmask_b32_e64 v19, v42, v19, s[2:3]
	v_cmp_gt_u32_e64 s[2:3], v32, v18
	s_waitcnt lgkmcnt(0)
	v_add_u16_e32 v42, v19, v43
	v_cndmask_b32_e64 v41, v42, v41, s[2:3]
	ds_bpermute_b32 v43, v33, v41
	v_cndmask_b32_e64 v19, v42, v19, s[2:3]
	v_cmp_gt_u32_e64 s[2:3], v34, v18
	;; [unrolled: 6-line block ×3, first 2 shown]
	s_waitcnt lgkmcnt(0)
	v_add_u16_e32 v42, v19, v43
	v_cndmask_b32_e64 v41, v42, v41, s[2:3]
	ds_bpermute_b32 v41, v38, v41
	v_cndmask_b32_e64 v19, v42, v19, s[2:3]
	v_cmp_le_u32_e64 s[2:3], v39, v18
	s_waitcnt lgkmcnt(0)
	v_cndmask_b32_e64 v18, 0, v41, s[2:3]
	v_add_u16_e32 v18, v19, v18
	v_cndmask_b32_e32 v18, v40, v18, vcc
	v_add_u16_e32 v18, v18, v37
.LBB5512_64:                            ; =>This Loop Header: Depth=1
                                        ;     Child Loop BB5512_67 Depth 2
	v_cmp_ne_u16_sdwa s[2:3], v26, v25 src0_sel:BYTE_0 src1_sel:DWORD
	v_cndmask_b32_e64 v19, 0, 1, s[2:3]
	;;#ASMSTART
	;;#ASMEND
	v_cmp_ne_u32_e32 vcc, 0, v19
	s_cmp_lg_u64 vcc, exec
	v_mov_b32_e32 v37, v18
	s_cbranch_scc1 .LBB5512_69
; %bb.65:                               ;   in Loop: Header=BB5512_64 Depth=1
	v_lshlrev_b64 v[18:19], 2, v[14:15]
	v_mov_b32_e32 v26, s19
	v_add_co_u32_e32 v18, vcc, s18, v18
	v_addc_co_u32_e32 v19, vcc, v26, v19, vcc
	global_load_dword v40, v[18:19], off glc
	s_waitcnt vmcnt(0)
	v_lshrrev_b32_e32 v26, 16, v40
	v_cmp_eq_u16_sdwa s[8:9], v26, v15 src0_sel:BYTE_0 src1_sel:DWORD
	s_and_saveexec_b64 s[2:3], s[8:9]
	s_cbranch_execz .LBB5512_63
; %bb.66:                               ;   in Loop: Header=BB5512_64 Depth=1
	s_mov_b64 s[8:9], 0
.LBB5512_67:                            ;   Parent Loop BB5512_64 Depth=1
                                        ; =>  This Inner Loop Header: Depth=2
	global_load_dword v40, v[18:19], off glc
	s_waitcnt vmcnt(0)
	v_lshrrev_b32_e32 v26, 16, v40
	v_cmp_ne_u16_sdwa s[12:13], v26, v15 src0_sel:BYTE_0 src1_sel:DWORD
	s_or_b64 s[8:9], s[12:13], s[8:9]
	s_andn2_b64 exec, exec, s[8:9]
	s_cbranch_execnz .LBB5512_67
; %bb.68:                               ;   in Loop: Header=BB5512_64 Depth=1
	s_or_b64 exec, exec, s[8:9]
	s_branch .LBB5512_63
.LBB5512_69:                            ;   in Loop: Header=BB5512_64 Depth=1
                                        ; implicit-def: $vgpr18
                                        ; implicit-def: $vgpr26
	s_cbranch_execz .LBB5512_64
; %bb.70:
	s_and_saveexec_b64 s[2:3], s[0:1]
	s_cbranch_execz .LBB5512_72
; %bb.71:
	s_add_i32 s0, s6, 64
	s_mov_b32 s1, 0
	s_lshl_b64 s[0:1], s[0:1], 2
	v_add_u16_e32 v14, v37, v24
	s_add_u32 s0, s18, s0
	v_or_b32_e32 v14, 0x20000, v14
	s_addc_u32 s1, s19, s1
	v_mov_b32_e32 v15, 0
	global_store_dword v15, v14, s[0:1]
.LBB5512_72:
	s_or_b64 exec, exec, s[2:3]
	v_cmp_eq_u32_e32 vcc, 0, v0
	s_and_b64 exec, exec, vcc
	s_cbranch_execz .LBB5512_74
; %bb.73:
	v_mov_b32_e32 v14, 0
	ds_write_b16 v14, v37
.LBB5512_74:
	s_or_b64 exec, exec, s[10:11]
	v_mov_b32_e32 v14, 0
	s_waitcnt lgkmcnt(0)
	; wave barrier
	s_waitcnt lgkmcnt(0)
	ds_read_u16 v14, v14
	v_cmp_ne_u32_e32 vcc, 0, v0
	v_cndmask_b32_e32 v15, 0, v23, vcc
	s_waitcnt lgkmcnt(0)
	v_add_u16_e32 v15, v14, v15
	s_load_dwordx8 s[8:15], s[4:5], 0x40
	s_branch .LBB5512_83
.LBB5512_75:
                                        ; implicit-def: $vgpr15
	s_load_dwordx8 s[8:15], s[4:5], 0x40
	s_cbranch_execz .LBB5512_83
; %bb.76:
	s_load_dword s0, s[4:5], 0x28
	s_waitcnt lgkmcnt(0)
	s_cmp_eq_u64 s[12:13], 0
	v_mov_b32_e32 v14, s0
	s_cbranch_scc1 .LBB5512_78
; %bb.77:
	v_mov_b32_e32 v15, s22
	v_add_co_u32_e64 v14, vcc, -2, s21
	v_addc_co_u32_e32 v15, vcc, -1, v15, vcc
	v_mov_b32_e32 v16, 0
	flat_load_ushort v17, v[14:15]
	global_load_ushort v18, v16, s[8:9]
	s_waitcnt vmcnt(0) lgkmcnt(0)
	v_add_u16_e32 v14, v18, v17
.LBB5512_78:
	v_add_u16_sdwa v15, v22, v11 dst_sel:DWORD dst_unused:UNUSED_PAD src0_sel:DWORD src1_sel:WORD_1
	v_add_u16_e32 v15, v15, v12
	v_add_u16_sdwa v15, v15, v12 dst_sel:DWORD dst_unused:UNUSED_PAD src0_sel:DWORD src1_sel:WORD_1
	v_add_u16_e32 v15, v15, v13
	;; [unrolled: 2-line block ×10, first 2 shown]
	v_add_u16_sdwa v16, v15, v5 dst_sel:DWORD dst_unused:UNUSED_PAD src0_sel:DWORD src1_sel:WORD_1
	v_mbcnt_hi_u32_b32 v15, -1, v21
	v_and_b32_e32 v17, 15, v15
	v_mov_b32_dpp v18, v16 row_shr:1 row_mask:0xf bank_mask:0xf
	v_cmp_ne_u32_e32 vcc, 0, v17
	v_cndmask_b32_e32 v18, 0, v18, vcc
	v_add_u16_e32 v16, v18, v16
	v_cmp_lt_u32_e32 vcc, 1, v17
	s_nop 0
	v_mov_b32_dpp v18, v16 row_shr:2 row_mask:0xf bank_mask:0xf
	v_cndmask_b32_e32 v18, 0, v18, vcc
	v_add_u16_e32 v16, v16, v18
	v_cmp_lt_u32_e32 vcc, 3, v17
	s_nop 0
	v_mov_b32_dpp v18, v16 row_shr:4 row_mask:0xf bank_mask:0xf
	;; [unrolled: 5-line block ×3, first 2 shown]
	v_cndmask_b32_e32 v17, 0, v18, vcc
	v_add_u16_e32 v16, v16, v17
	v_and_b32_e32 v18, 16, v15
	v_cmp_ne_u32_e32 vcc, 0, v18
	v_mov_b32_dpp v17, v16 row_bcast:15 row_mask:0xf bank_mask:0xf
	v_cndmask_b32_e32 v17, 0, v17, vcc
	v_add_u16_e32 v16, v16, v17
	v_cmp_lt_u32_e32 vcc, 31, v15
	s_nop 0
	v_mov_b32_dpp v17, v16 row_bcast:31 row_mask:0xf bank_mask:0xf
	v_cndmask_b32_e32 v17, 0, v17, vcc
	v_add_u16_e32 v16, v16, v17
	v_cmp_eq_u32_e32 vcc, 63, v0
	s_and_saveexec_b64 s[0:1], vcc
	s_cbranch_execz .LBB5512_80
; %bb.79:
	v_mov_b32_e32 v17, 0
	ds_write_b16 v17, v16
.LBB5512_80:
	s_or_b64 exec, exec, s[0:1]
	v_add_u32_e32 v17, -1, v15
	v_and_b32_e32 v18, 64, v15
	v_cmp_lt_i32_e32 vcc, v17, v18
	v_cndmask_b32_e32 v17, v17, v15, vcc
	v_add_u16_e32 v16, v16, v14
	v_lshlrev_b32_e32 v17, 2, v17
	ds_bpermute_b32 v16, v17, v16
	v_cmp_eq_u32_e32 vcc, 0, v15
	v_cmp_eq_u32_e64 s[0:1], 0, v0
	s_or_b64 vcc, s[0:1], vcc
	s_waitcnt lgkmcnt(0)
	v_cndmask_b32_e32 v15, v16, v14, vcc
	; wave barrier
	s_and_saveexec_b64 s[2:3], s[0:1]
	s_cbranch_execz .LBB5512_82
; %bb.81:
	v_mov_b32_e32 v15, 0
	ds_read_u16 v16, v15
	s_waitcnt lgkmcnt(0)
	v_add_u16_e32 v16, v16, v14
	v_or_b32_e32 v16, 0x20000, v16
	global_store_dword v15, v16, s[18:19] offset:256
	v_mov_b32_e32 v15, v14
.LBB5512_82:
	s_or_b64 exec, exec, s[2:3]
.LBB5512_83:
	v_add_u16_e32 v14, v15, v10
	v_add_u16_sdwa v10, v14, v10 dst_sel:DWORD dst_unused:UNUSED_PAD src0_sel:DWORD src1_sel:WORD_1
	v_add_u16_e32 v16, v10, v11
	v_add_u16_sdwa v11, v16, v11 dst_sel:DWORD dst_unused:UNUSED_PAD src0_sel:DWORD src1_sel:WORD_1
	;; [unrolled: 2-line block ×11, first 2 shown]
	s_mov_b32 s0, 0x5040100
	v_add_u16_e32 v30, v29, v5
	v_perm_b32 v3, v16, v10, s0
	v_perm_b32 v4, v17, v11, s0
	;; [unrolled: 1-line block ×4, first 2 shown]
	s_waitcnt lgkmcnt(0)
	; wave barrier
	s_waitcnt lgkmcnt(0)
	ds_write_b128 v1, v[2:5]
	v_perm_b32 v2, v19, v13, s0
	v_perm_b32 v3, v21, v6, s0
	;; [unrolled: 1-line block ×4, first 2 shown]
	ds_write_b128 v1, v[2:5] offset:16
	v_perm_b32 v2, v24, v9, s0
	v_perm_b32 v3, v26, v25, s0
	v_perm_b32 v4, v28, v27, s0
	v_perm_b32 v5, v30, v29, s0
	s_mov_b64 s[0:1], -1
	s_and_b64 vcc, exec, s[16:17]
	ds_write_b128 v1, v[2:5] offset:32
	s_waitcnt lgkmcnt(0)
	s_cbranch_vccz .LBB5512_85
; %bb.84:
	; wave barrier
	s_mov_b64 s[0:1], 0
.LBB5512_85:
	s_andn2_b64 vcc, exec, s[0:1]
	s_cbranch_vccnz .LBB5512_94
; %bb.86:
	v_cmp_lt_u64_e64 s[0:1], s[14:15], 2
	s_and_b64 vcc, exec, s[0:1]
	; wave barrier
	s_cbranch_vccnz .LBB5512_94
; %bb.87:
	s_add_u32 s0, s7, -1
	s_addc_u32 s1, s20, -1
	s_add_u32 s2, 0, 0xaaaa0000
	s_addc_u32 s3, 0, 42
	s_add_i32 s3, s3, 0xaaaaa80
	s_mul_hi_u32 s7, s2, 0xffffffe8
	s_sub_i32 s7, s7, s2
	s_mul_i32 s8, s3, 0xffffffe8
	s_mul_i32 s4, s2, 0xffffffe8
	s_add_i32 s7, s7, s8
	s_mul_hi_u32 s5, s3, s4
	s_mul_i32 s6, s3, s4
	s_mul_i32 s9, s2, s7
	s_mul_hi_u32 s4, s2, s4
	s_mul_hi_u32 s8, s2, s7
	s_add_u32 s4, s4, s9
	s_addc_u32 s8, 0, s8
	s_add_u32 s4, s4, s6
	s_mul_hi_u32 s9, s3, s7
	s_addc_u32 s4, s8, s5
	s_addc_u32 s5, s9, 0
	s_mul_i32 s6, s3, s7
	s_add_u32 s4, s4, s6
	v_mov_b32_e32 v2, s4
	s_addc_u32 s5, 0, s5
	v_add_co_u32_e32 v2, vcc, s2, v2
	s_cmp_lg_u64 vcc, 0
	s_addc_u32 s2, s3, s5
	v_readfirstlane_b32 s5, v2
	s_mul_i32 s4, s0, s2
	s_mul_hi_u32 s6, s0, s5
	s_mul_hi_u32 s3, s0, s2
	s_add_u32 s4, s6, s4
	s_addc_u32 s3, 0, s3
	s_mul_hi_u32 s7, s1, s5
	s_mul_i32 s5, s1, s5
	s_add_u32 s4, s4, s5
	s_mul_hi_u32 s6, s1, s2
	s_addc_u32 s3, s3, s7
	s_addc_u32 s4, s6, 0
	s_mul_i32 s2, s1, s2
	s_add_u32 s2, s3, s2
	s_addc_u32 s3, 0, s4
	s_add_u32 s4, s2, 1
	s_addc_u32 s5, s3, 0
	s_add_u32 s6, s2, 2
	s_mul_i32 s8, s3, 24
	s_mul_hi_u32 s9, s2, 24
	s_addc_u32 s7, s3, 0
	s_add_i32 s9, s9, s8
	s_mul_i32 s8, s2, 24
	v_mov_b32_e32 v2, s8
	v_sub_co_u32_e32 v2, vcc, s0, v2
	s_cmp_lg_u64 vcc, 0
	s_subb_u32 s8, s1, s9
	v_subrev_co_u32_e32 v3, vcc, 24, v2
	s_cmp_lg_u64 vcc, 0
	s_subb_u32 s9, s8, 0
	v_readfirstlane_b32 s12, v3
	s_cmp_gt_u32 s12, 23
	s_cselect_b32 s12, -1, 0
	s_cmp_eq_u32 s9, 0
	s_cselect_b32 s9, s12, -1
	s_cmp_lg_u32 s9, 0
	s_cselect_b32 s4, s6, s4
	v_readfirstlane_b32 s6, v2
	s_cselect_b32 s5, s7, s5
	s_cmp_gt_u32 s6, 23
	s_cselect_b32 s6, -1, 0
	s_cmp_eq_u32 s8, 0
	s_cselect_b32 s6, s6, -1
	s_cmp_lg_u32 s6, 0
	v_mov_b32_e32 v1, 0
	s_cselect_b32 s3, s5, s3
	s_cselect_b32 s2, s4, s2
	v_cmp_eq_u64_e32 vcc, s[2:3], v[0:1]
	s_and_saveexec_b64 s[2:3], vcc
	s_cbranch_execz .LBB5512_94
; %bb.88:
	v_lshlrev_b32_e32 v2, 1, v0
	v_mul_hi_u32_u24_e32 v1, 24, v0
	v_mov_b32_e32 v3, s1
	v_sub_co_u32_e32 v0, vcc, s0, v20
	v_subb_co_u32_e32 v1, vcc, v3, v1, vcc
	v_cmp_lt_i64_e32 vcc, 11, v[0:1]
	s_mov_b64 s[0:1], 0
	s_mov_b64 s[8:9], 0
	;; [unrolled: 1-line block ×4, first 2 shown]
                                        ; implicit-def: $vgpr3
                                        ; implicit-def: $vgpr4
                                        ; implicit-def: $vgpr5
	s_and_saveexec_b64 s[2:3], vcc
	s_xor_b64 s[2:3], exec, s[2:3]
	s_cbranch_execnz .LBB5512_95
; %bb.89:
	s_andn2_saveexec_b64 s[2:3], s[2:3]
	s_cbranch_execnz .LBB5512_140
.LBB5512_90:
	s_or_b64 exec, exec, s[2:3]
	s_and_saveexec_b64 s[2:3], s[8:9]
	s_cbranch_execnz .LBB5512_157
.LBB5512_91:
	s_or_b64 exec, exec, s[2:3]
	s_and_saveexec_b64 s[2:3], s[6:7]
	s_cbranch_execnz .LBB5512_158
.LBB5512_92:
	s_or_b64 exec, exec, s[2:3]
	s_and_saveexec_b64 s[2:3], s[4:5]
	s_xor_b64 s[2:3], exec, s[2:3]
	s_cbranch_execnz .LBB5512_159
.LBB5512_93:
	s_or_b64 exec, exec, s[2:3]
	s_and_b64 exec, exec, s[0:1]
	s_cbranch_execnz .LBB5512_160
.LBB5512_94:
	s_endpgm
.LBB5512_95:
	v_cmp_lt_i64_e32 vcc, 17, v[0:1]
                                        ; implicit-def: $vgpr3
                                        ; implicit-def: $vgpr4
                                        ; implicit-def: $vgpr5
	s_and_saveexec_b64 s[12:13], vcc
	s_xor_b64 s[12:13], exec, s[12:13]
	s_cbranch_execz .LBB5512_117
; %bb.96:
	v_cmp_lt_i64_e32 vcc, 20, v[0:1]
                                        ; implicit-def: $vgpr3
                                        ; implicit-def: $vgpr4
	s_and_saveexec_b64 s[14:15], vcc
	s_xor_b64 s[14:15], exec, s[14:15]
	s_cbranch_execz .LBB5512_106
; %bb.97:
	v_cmp_lt_i64_e32 vcc, 21, v[0:1]
	s_mov_b64 s[16:17], 0
                                        ; implicit-def: $vgpr3
	s_and_saveexec_b64 s[4:5], vcc
	s_xor_b64 s[4:5], exec, s[4:5]
	s_cbranch_execz .LBB5512_103
; %bb.98:
	v_cmp_lt_i64_e32 vcc, 22, v[0:1]
	s_and_saveexec_b64 s[16:17], vcc
	s_xor_b64 s[16:17], exec, s[16:17]
	s_cbranch_execz .LBB5512_100
; %bb.99:
	ds_read_u16 v3, v2 offset:2944
	v_mov_b32_e32 v4, 0
	s_waitcnt lgkmcnt(0)
	global_store_short v4, v3, s[10:11]
.LBB5512_100:
	s_or_saveexec_b64 s[16:17], s[16:17]
	s_mov_b64 s[18:19], 0
                                        ; implicit-def: $vgpr3
	s_xor_b64 exec, exec, s[16:17]
	s_cbranch_execz .LBB5512_102
; %bb.101:
	ds_read_u16 v3, v2 offset:2816
	s_mov_b64 s[18:19], exec
.LBB5512_102:
	s_or_b64 exec, exec, s[16:17]
	s_and_b64 s[16:17], s[18:19], exec
.LBB5512_103:
	s_or_saveexec_b64 s[4:5], s[4:5]
                                        ; implicit-def: $vgpr4
	s_xor_b64 exec, exec, s[4:5]
	s_cbranch_execz .LBB5512_105
; %bb.104:
	ds_read_u16 v4, v2 offset:2688
	s_mov_b64 s[6:7], exec
                                        ; implicit-def: $vgpr3
.LBB5512_105:
	s_or_b64 exec, exec, s[4:5]
	s_and_b64 s[4:5], s[16:17], exec
	s_and_b64 s[6:7], s[6:7], exec
.LBB5512_106:
	s_or_saveexec_b64 s[14:15], s[14:15]
                                        ; implicit-def: $vgpr5
	s_xor_b64 exec, exec, s[14:15]
	s_cbranch_execz .LBB5512_116
; %bb.107:
	v_cmp_lt_i64_e32 vcc, 18, v[0:1]
	s_mov_b64 s[16:17], 0
                                        ; implicit-def: $vgpr5
	s_and_saveexec_b64 s[8:9], vcc
	s_xor_b64 s[8:9], exec, s[8:9]
	s_cbranch_execz .LBB5512_113
; %bb.108:
	v_cmp_lt_i64_e32 vcc, 19, v[0:1]
                                        ; implicit-def: $vgpr5
	s_and_saveexec_b64 s[18:19], vcc
	s_xor_b64 s[18:19], exec, s[18:19]
	s_cbranch_execz .LBB5512_110
; %bb.109:
	ds_read_u16 v5, v2 offset:2560
	s_mov_b64 s[16:17], exec
.LBB5512_110:
	s_andn2_saveexec_b64 s[18:19], s[18:19]
	s_cbranch_execz .LBB5512_112
; %bb.111:
	s_waitcnt lgkmcnt(0)
	ds_read_u16 v3, v2 offset:2432
	v_mov_b32_e32 v4, 0
                                        ; implicit-def: $vgpr5
	s_waitcnt lgkmcnt(0)
	global_store_short v4, v3, s[10:11]
.LBB5512_112:
	s_or_b64 exec, exec, s[18:19]
	s_and_b64 s[16:17], s[16:17], exec
.LBB5512_113:
	s_andn2_saveexec_b64 s[8:9], s[8:9]
	s_cbranch_execz .LBB5512_115
; %bb.114:
	s_waitcnt lgkmcnt(0)
	ds_read_u16 v3, v2 offset:2304
	v_mov_b32_e32 v4, 0
                                        ; implicit-def: $vgpr5
	s_waitcnt lgkmcnt(0)
	global_store_short v4, v3, s[10:11]
.LBB5512_115:
	s_or_b64 exec, exec, s[8:9]
	s_and_b64 s[8:9], s[16:17], exec
                                        ; implicit-def: $vgpr3
                                        ; implicit-def: $vgpr4
.LBB5512_116:
	s_or_b64 exec, exec, s[14:15]
	s_and_b64 s[4:5], s[4:5], exec
	s_and_b64 s[6:7], s[6:7], exec
	s_and_b64 s[8:9], s[8:9], exec
.LBB5512_117:
	s_andn2_saveexec_b64 s[12:13], s[12:13]
	s_cbranch_execz .LBB5512_139
; %bb.118:
	v_cmp_lt_i64_e32 vcc, 14, v[0:1]
	s_mov_b64 s[14:15], s[4:5]
                                        ; implicit-def: $vgpr3
	s_and_saveexec_b64 s[16:17], vcc
	s_xor_b64 s[16:17], exec, s[16:17]
	s_cbranch_execz .LBB5512_128
; %bb.119:
	v_cmp_lt_i64_e32 vcc, 15, v[0:1]
	s_and_saveexec_b64 s[14:15], vcc
	s_xor_b64 s[14:15], exec, s[14:15]
	s_cbranch_execz .LBB5512_125
; %bb.120:
	v_cmp_lt_i64_e32 vcc, 16, v[0:1]
	s_and_saveexec_b64 s[18:19], vcc
	s_xor_b64 s[18:19], exec, s[18:19]
	s_cbranch_execz .LBB5512_122
; %bb.121:
	s_waitcnt lgkmcnt(0)
	ds_read_u16 v3, v2 offset:2176
	v_mov_b32_e32 v4, 0
	s_waitcnt lgkmcnt(0)
	global_store_short v4, v3, s[10:11]
.LBB5512_122:
	s_andn2_saveexec_b64 s[18:19], s[18:19]
	s_cbranch_execz .LBB5512_124
; %bb.123:
	s_waitcnt lgkmcnt(0)
	ds_read_u16 v3, v2 offset:2048
	v_mov_b32_e32 v4, 0
	s_waitcnt lgkmcnt(0)
	global_store_short v4, v3, s[10:11]
.LBB5512_124:
	s_or_b64 exec, exec, s[18:19]
.LBB5512_125:
	s_or_saveexec_b64 s[14:15], s[14:15]
	s_mov_b64 s[18:19], s[4:5]
                                        ; implicit-def: $vgpr3
	s_xor_b64 exec, exec, s[14:15]
	s_cbranch_execz .LBB5512_127
; %bb.126:
	s_waitcnt lgkmcnt(0)
	ds_read_u16 v3, v2 offset:1920
	s_or_b64 s[18:19], s[4:5], exec
.LBB5512_127:
	s_or_b64 exec, exec, s[14:15]
	s_andn2_b64 s[14:15], s[4:5], exec
	s_and_b64 s[18:19], s[18:19], exec
	s_or_b64 s[14:15], s[14:15], s[18:19]
.LBB5512_128:
	s_or_saveexec_b64 s[16:17], s[16:17]
	s_mov_b64 s[18:19], s[6:7]
                                        ; implicit-def: $vgpr4
	s_xor_b64 exec, exec, s[16:17]
	s_cbranch_execz .LBB5512_138
; %bb.129:
	v_cmp_lt_i64_e32 vcc, 12, v[0:1]
	s_mov_b64 s[20:21], s[6:7]
	s_mov_b64 s[22:23], s[14:15]
                                        ; implicit-def: $vgpr3
                                        ; implicit-def: $vgpr4
	s_and_saveexec_b64 s[18:19], vcc
	s_xor_b64 s[18:19], exec, s[18:19]
	s_cbranch_execz .LBB5512_135
; %bb.130:
	v_cmp_lt_i64_e32 vcc, 13, v[0:1]
	s_mov_b64 s[20:21], s[14:15]
                                        ; implicit-def: $vgpr3
	s_and_saveexec_b64 s[22:23], vcc
	s_xor_b64 s[22:23], exec, s[22:23]
	s_cbranch_execz .LBB5512_132
; %bb.131:
	s_waitcnt lgkmcnt(0)
	ds_read_u16 v3, v2 offset:1792
	s_or_b64 s[20:21], s[14:15], exec
.LBB5512_132:
	s_or_saveexec_b64 s[22:23], s[22:23]
	s_mov_b64 s[24:25], s[6:7]
                                        ; implicit-def: $vgpr4
	s_xor_b64 exec, exec, s[22:23]
	s_cbranch_execz .LBB5512_134
; %bb.133:
	s_waitcnt lgkmcnt(0)
	ds_read_u16 v4, v2 offset:1664
	s_or_b64 s[24:25], s[6:7], exec
                                        ; implicit-def: $vgpr3
.LBB5512_134:
	s_or_b64 exec, exec, s[22:23]
	s_andn2_b64 s[22:23], s[14:15], exec
	s_and_b64 s[20:21], s[20:21], exec
	s_or_b64 s[22:23], s[22:23], s[20:21]
	s_andn2_b64 s[20:21], s[6:7], exec
	s_and_b64 s[24:25], s[24:25], exec
	s_or_b64 s[20:21], s[20:21], s[24:25]
.LBB5512_135:
	s_andn2_saveexec_b64 s[18:19], s[18:19]
	s_cbranch_execz .LBB5512_137
; %bb.136:
	s_waitcnt lgkmcnt(0)
	ds_read_u16 v4, v2 offset:1536
	s_or_b64 s[20:21], s[20:21], exec
                                        ; implicit-def: $vgpr3
.LBB5512_137:
	s_or_b64 exec, exec, s[18:19]
	s_andn2_b64 s[14:15], s[14:15], exec
	s_and_b64 s[18:19], s[22:23], exec
	s_or_b64 s[14:15], s[14:15], s[18:19]
	s_andn2_b64 s[18:19], s[6:7], exec
	s_and_b64 s[20:21], s[20:21], exec
	s_or_b64 s[18:19], s[18:19], s[20:21]
.LBB5512_138:
	s_or_b64 exec, exec, s[16:17]
	s_andn2_b64 s[4:5], s[4:5], exec
	s_and_b64 s[14:15], s[14:15], exec
	s_or_b64 s[4:5], s[4:5], s[14:15]
	s_andn2_b64 s[6:7], s[6:7], exec
	s_and_b64 s[14:15], s[18:19], exec
	s_or_b64 s[6:7], s[6:7], s[14:15]
                                        ; implicit-def: $vgpr5
.LBB5512_139:
	s_or_b64 exec, exec, s[12:13]
	s_and_b64 s[4:5], s[4:5], exec
	s_and_b64 s[6:7], s[6:7], exec
	;; [unrolled: 1-line block ×3, first 2 shown]
	s_andn2_saveexec_b64 s[2:3], s[2:3]
	s_cbranch_execz .LBB5512_90
.LBB5512_140:
	v_cmp_lt_i64_e32 vcc, 5, v[0:1]
	s_mov_b64 s[14:15], -1
	s_mov_b64 s[12:13], s[8:9]
	s_mov_b64 s[16:17], s[6:7]
	;; [unrolled: 1-line block ×3, first 2 shown]
                                        ; implicit-def: $vgpr3
                                        ; implicit-def: $vgpr4
                                        ; implicit-def: $vgpr5
	s_and_saveexec_b64 s[0:1], vcc
	s_cbranch_execz .LBB5512_156
; %bb.141:
	v_cmp_lt_i64_e32 vcc, 8, v[0:1]
	s_mov_b64 s[12:13], s[8:9]
                                        ; implicit-def: $vgpr5
	s_and_saveexec_b64 s[14:15], vcc
	s_xor_b64 s[14:15], exec, s[14:15]
	s_cbranch_execz .LBB5512_151
; %bb.142:
	v_cmp_lt_i64_e32 vcc, 9, v[0:1]
                                        ; implicit-def: $vgpr5
	s_and_saveexec_b64 s[12:13], vcc
	s_xor_b64 s[12:13], exec, s[12:13]
	s_cbranch_execz .LBB5512_148
; %bb.143:
	v_cmp_lt_i64_e32 vcc, 10, v[0:1]
                                        ; implicit-def: $vgpr5
	s_and_saveexec_b64 s[16:17], vcc
	s_xor_b64 s[16:17], exec, s[16:17]
	s_cbranch_execz .LBB5512_145
; %bb.144:
	s_waitcnt lgkmcnt(0)
	ds_read_u16 v5, v2 offset:1408
.LBB5512_145:
	s_andn2_saveexec_b64 s[16:17], s[16:17]
	s_cbranch_execz .LBB5512_147
; %bb.146:
	s_waitcnt lgkmcnt(0)
	ds_read_u16 v5, v2 offset:1280
.LBB5512_147:
	s_or_b64 exec, exec, s[16:17]
.LBB5512_148:
	s_andn2_saveexec_b64 s[12:13], s[12:13]
	s_cbranch_execz .LBB5512_150
; %bb.149:
	s_waitcnt lgkmcnt(0)
	ds_read_u16 v5, v2 offset:1152
.LBB5512_150:
	s_or_b64 exec, exec, s[12:13]
	s_or_b64 s[12:13], s[8:9], exec
.LBB5512_151:
	s_or_saveexec_b64 s[14:15], s[14:15]
	s_mov_b64 s[16:17], s[6:7]
	s_mov_b64 s[20:21], s[4:5]
                                        ; implicit-def: $vgpr3
                                        ; implicit-def: $vgpr4
	s_xor_b64 exec, exec, s[14:15]
	s_cbranch_execz .LBB5512_155
; %bb.152:
	s_waitcnt lgkmcnt(0)
	ds_read_u16 v3, v2 offset:768
	v_cmp_lt_i64_e32 vcc, 6, v[0:1]
	s_mov_b64 s[20:21], -1
	s_mov_b64 s[18:19], s[12:13]
	s_mov_b64 s[16:17], s[6:7]
                                        ; implicit-def: $vgpr4
                                        ; implicit-def: $vgpr5
	s_and_saveexec_b64 s[22:23], vcc
	s_cbranch_execz .LBB5512_154
; %bb.153:
	ds_read_u16 v4, v2 offset:896
	ds_read_u16 v5, v2 offset:1024
	v_cmp_lt_i64_e32 vcc, 7, v[0:1]
	s_andn2_b64 s[18:19], s[12:13], exec
	s_and_b64 s[24:25], vcc, exec
	s_xor_b64 s[20:21], exec, -1
	s_or_b64 s[16:17], s[6:7], exec
	s_or_b64 s[18:19], s[18:19], s[24:25]
                                        ; implicit-def: $vgpr3
.LBB5512_154:
	s_or_b64 exec, exec, s[22:23]
	s_andn2_b64 s[22:23], s[4:5], exec
	s_and_b64 s[20:21], s[20:21], exec
	s_or_b64 s[20:21], s[22:23], s[20:21]
	s_andn2_b64 s[22:23], s[6:7], exec
	s_and_b64 s[16:17], s[16:17], exec
	s_andn2_b64 s[12:13], s[12:13], exec
	s_and_b64 s[18:19], s[18:19], exec
	s_or_b64 s[16:17], s[22:23], s[16:17]
	s_or_b64 s[12:13], s[12:13], s[18:19]
.LBB5512_155:
	s_or_b64 exec, exec, s[14:15]
	s_andn2_b64 s[18:19], s[4:5], exec
	s_and_b64 s[20:21], s[20:21], exec
	s_or_b64 s[18:19], s[18:19], s[20:21]
	s_andn2_b64 s[20:21], s[6:7], exec
	s_and_b64 s[16:17], s[16:17], exec
	s_or_b64 s[16:17], s[20:21], s[16:17]
	s_andn2_b64 s[20:21], s[8:9], exec
	s_and_b64 s[12:13], s[12:13], exec
	s_xor_b64 s[14:15], exec, -1
	s_or_b64 s[12:13], s[20:21], s[12:13]
.LBB5512_156:
	s_or_b64 exec, exec, s[0:1]
	s_and_b64 s[0:1], s[14:15], exec
	s_andn2_b64 s[4:5], s[4:5], exec
	s_and_b64 s[14:15], s[18:19], exec
	s_or_b64 s[4:5], s[4:5], s[14:15]
	s_andn2_b64 s[6:7], s[6:7], exec
	s_and_b64 s[14:15], s[16:17], exec
	s_andn2_b64 s[8:9], s[8:9], exec
	s_and_b64 s[12:13], s[12:13], exec
	s_or_b64 s[6:7], s[6:7], s[14:15]
	s_or_b64 s[8:9], s[8:9], s[12:13]
	s_or_b64 exec, exec, s[2:3]
	s_and_saveexec_b64 s[2:3], s[8:9]
	s_cbranch_execz .LBB5512_91
.LBB5512_157:
	s_waitcnt lgkmcnt(0)
	v_mov_b32_e32 v3, 0
	s_andn2_b64 s[6:7], s[6:7], exec
	global_store_short v3, v5, s[10:11]
                                        ; implicit-def: $vgpr3
                                        ; implicit-def: $vgpr4
	s_or_b64 exec, exec, s[2:3]
	s_and_saveexec_b64 s[2:3], s[6:7]
	s_cbranch_execz .LBB5512_92
.LBB5512_158:
	s_waitcnt lgkmcnt(0)
	v_mov_b32_e32 v3, 0
	global_store_short v3, v4, s[10:11]
                                        ; implicit-def: $vgpr3
	s_or_b64 exec, exec, s[2:3]
	s_and_saveexec_b64 s[2:3], s[4:5]
	s_xor_b64 s[2:3], exec, s[2:3]
	s_cbranch_execz .LBB5512_93
.LBB5512_159:
	s_waitcnt lgkmcnt(0)
	v_mov_b32_e32 v4, 0
	global_store_short v4, v3, s[10:11]
	s_or_b64 exec, exec, s[2:3]
	s_and_b64 exec, exec, s[0:1]
	s_cbranch_execz .LBB5512_94
.LBB5512_160:
	v_cmp_lt_i64_e32 vcc, 2, v[0:1]
	s_and_saveexec_b64 s[0:1], vcc
	s_xor_b64 s[0:1], exec, s[0:1]
	s_cbranch_execz .LBB5512_170
; %bb.161:
	v_cmp_lt_i64_e32 vcc, 3, v[0:1]
	s_and_saveexec_b64 s[2:3], vcc
	s_xor_b64 s[2:3], exec, s[2:3]
	s_cbranch_execz .LBB5512_167
; %bb.162:
	;; [unrolled: 5-line block ×3, first 2 shown]
	ds_read_u16 v0, v2 offset:640
	v_mov_b32_e32 v1, 0
                                        ; implicit-def: $vgpr2
	s_waitcnt lgkmcnt(0)
	global_store_short v1, v0, s[10:11]
.LBB5512_164:
	s_andn2_saveexec_b64 s[4:5], s[4:5]
	s_cbranch_execz .LBB5512_166
; %bb.165:
	ds_read_u16 v0, v2 offset:512
	v_mov_b32_e32 v1, 0
	s_waitcnt lgkmcnt(0)
	global_store_short v1, v0, s[10:11]
.LBB5512_166:
	s_or_b64 exec, exec, s[4:5]
                                        ; implicit-def: $vgpr2
.LBB5512_167:
	s_andn2_saveexec_b64 s[2:3], s[2:3]
	s_cbranch_execz .LBB5512_169
; %bb.168:
	ds_read_u16 v0, v2 offset:384
	v_mov_b32_e32 v1, 0
	s_waitcnt lgkmcnt(0)
	global_store_short v1, v0, s[10:11]
.LBB5512_169:
	s_or_b64 exec, exec, s[2:3]
                                        ; implicit-def: $vgpr0_vgpr1
                                        ; implicit-def: $vgpr2
.LBB5512_170:
	s_andn2_saveexec_b64 s[0:1], s[0:1]
	s_cbranch_execz .LBB5512_94
; %bb.171:
	v_cmp_lt_i64_e32 vcc, 1, v[0:1]
	s_and_saveexec_b64 s[0:1], vcc
	s_xor_b64 s[0:1], exec, s[0:1]
	s_cbranch_execz .LBB5512_173
; %bb.172:
	ds_read_u16 v0, v2 offset:256
	v_mov_b32_e32 v1, 0
                                        ; implicit-def: $vgpr2
	s_waitcnt lgkmcnt(0)
	global_store_short v1, v0, s[10:11]
                                        ; implicit-def: $vgpr0_vgpr1
.LBB5512_173:
	s_andn2_saveexec_b64 s[0:1], s[0:1]
	s_cbranch_execz .LBB5512_94
; %bb.174:
	v_cmp_ne_u64_e32 vcc, 1, v[0:1]
	s_and_saveexec_b64 s[0:1], vcc
	s_xor_b64 s[0:1], exec, s[0:1]
	s_cbranch_execz .LBB5512_176
; %bb.175:
	ds_read_u16 v0, v2
	v_mov_b32_e32 v1, 0
                                        ; implicit-def: $vgpr2
	s_waitcnt lgkmcnt(0)
	global_store_short v1, v0, s[10:11]
.LBB5512_176:
	s_andn2_saveexec_b64 s[0:1], s[0:1]
	s_cbranch_execz .LBB5512_94
; %bb.177:
	ds_read_u16 v0, v2 offset:128
	v_mov_b32_e32 v1, 0
	s_waitcnt lgkmcnt(0)
	global_store_short v1, v0, s[10:11]
	s_endpgm
	.section	.rodata,"a",@progbits
	.p2align	6, 0x0
	.amdhsa_kernel _ZN7rocprim17ROCPRIM_400000_NS6detail17trampoline_kernelINS0_14default_configENS1_20scan_config_selectorItEEZZNS1_9scan_implILNS1_25lookback_scan_determinismE0ELb1ELb1ES3_N6thrust23THRUST_200600_302600_NS6detail15normal_iteratorINS9_10device_ptrItEEEENS9_16discard_iteratorINS9_11use_defaultEEEtNS9_4plusIvEEtEEDaPvRmT3_T4_T5_mT6_P12ihipStream_tbENKUlT_T0_E_clISt17integral_constantIbLb0EESX_EEDaSS_ST_EUlSS_E_NS1_11comp_targetILNS1_3genE4ELNS1_11target_archE910ELNS1_3gpuE8ELNS1_3repE0EEENS1_30default_config_static_selectorELNS0_4arch9wavefront6targetE1EEEvT1_
		.amdhsa_group_segment_fixed_size 3072
		.amdhsa_private_segment_fixed_size 0
		.amdhsa_kernarg_size 104
		.amdhsa_user_sgpr_count 6
		.amdhsa_user_sgpr_private_segment_buffer 1
		.amdhsa_user_sgpr_dispatch_ptr 0
		.amdhsa_user_sgpr_queue_ptr 0
		.amdhsa_user_sgpr_kernarg_segment_ptr 1
		.amdhsa_user_sgpr_dispatch_id 0
		.amdhsa_user_sgpr_flat_scratch_init 0
		.amdhsa_user_sgpr_kernarg_preload_length 0
		.amdhsa_user_sgpr_kernarg_preload_offset 0
		.amdhsa_user_sgpr_private_segment_size 0
		.amdhsa_uses_dynamic_stack 0
		.amdhsa_system_sgpr_private_segment_wavefront_offset 0
		.amdhsa_system_sgpr_workgroup_id_x 1
		.amdhsa_system_sgpr_workgroup_id_y 0
		.amdhsa_system_sgpr_workgroup_id_z 0
		.amdhsa_system_sgpr_workgroup_info 0
		.amdhsa_system_vgpr_workitem_id 0
		.amdhsa_next_free_vgpr 44
		.amdhsa_next_free_sgpr 26
		.amdhsa_accum_offset 44
		.amdhsa_reserve_vcc 1
		.amdhsa_reserve_flat_scratch 0
		.amdhsa_float_round_mode_32 0
		.amdhsa_float_round_mode_16_64 0
		.amdhsa_float_denorm_mode_32 3
		.amdhsa_float_denorm_mode_16_64 3
		.amdhsa_dx10_clamp 1
		.amdhsa_ieee_mode 1
		.amdhsa_fp16_overflow 0
		.amdhsa_tg_split 0
		.amdhsa_exception_fp_ieee_invalid_op 0
		.amdhsa_exception_fp_denorm_src 0
		.amdhsa_exception_fp_ieee_div_zero 0
		.amdhsa_exception_fp_ieee_overflow 0
		.amdhsa_exception_fp_ieee_underflow 0
		.amdhsa_exception_fp_ieee_inexact 0
		.amdhsa_exception_int_div_zero 0
	.end_amdhsa_kernel
	.section	.text._ZN7rocprim17ROCPRIM_400000_NS6detail17trampoline_kernelINS0_14default_configENS1_20scan_config_selectorItEEZZNS1_9scan_implILNS1_25lookback_scan_determinismE0ELb1ELb1ES3_N6thrust23THRUST_200600_302600_NS6detail15normal_iteratorINS9_10device_ptrItEEEENS9_16discard_iteratorINS9_11use_defaultEEEtNS9_4plusIvEEtEEDaPvRmT3_T4_T5_mT6_P12ihipStream_tbENKUlT_T0_E_clISt17integral_constantIbLb0EESX_EEDaSS_ST_EUlSS_E_NS1_11comp_targetILNS1_3genE4ELNS1_11target_archE910ELNS1_3gpuE8ELNS1_3repE0EEENS1_30default_config_static_selectorELNS0_4arch9wavefront6targetE1EEEvT1_,"axG",@progbits,_ZN7rocprim17ROCPRIM_400000_NS6detail17trampoline_kernelINS0_14default_configENS1_20scan_config_selectorItEEZZNS1_9scan_implILNS1_25lookback_scan_determinismE0ELb1ELb1ES3_N6thrust23THRUST_200600_302600_NS6detail15normal_iteratorINS9_10device_ptrItEEEENS9_16discard_iteratorINS9_11use_defaultEEEtNS9_4plusIvEEtEEDaPvRmT3_T4_T5_mT6_P12ihipStream_tbENKUlT_T0_E_clISt17integral_constantIbLb0EESX_EEDaSS_ST_EUlSS_E_NS1_11comp_targetILNS1_3genE4ELNS1_11target_archE910ELNS1_3gpuE8ELNS1_3repE0EEENS1_30default_config_static_selectorELNS0_4arch9wavefront6targetE1EEEvT1_,comdat
.Lfunc_end5512:
	.size	_ZN7rocprim17ROCPRIM_400000_NS6detail17trampoline_kernelINS0_14default_configENS1_20scan_config_selectorItEEZZNS1_9scan_implILNS1_25lookback_scan_determinismE0ELb1ELb1ES3_N6thrust23THRUST_200600_302600_NS6detail15normal_iteratorINS9_10device_ptrItEEEENS9_16discard_iteratorINS9_11use_defaultEEEtNS9_4plusIvEEtEEDaPvRmT3_T4_T5_mT6_P12ihipStream_tbENKUlT_T0_E_clISt17integral_constantIbLb0EESX_EEDaSS_ST_EUlSS_E_NS1_11comp_targetILNS1_3genE4ELNS1_11target_archE910ELNS1_3gpuE8ELNS1_3repE0EEENS1_30default_config_static_selectorELNS0_4arch9wavefront6targetE1EEEvT1_, .Lfunc_end5512-_ZN7rocprim17ROCPRIM_400000_NS6detail17trampoline_kernelINS0_14default_configENS1_20scan_config_selectorItEEZZNS1_9scan_implILNS1_25lookback_scan_determinismE0ELb1ELb1ES3_N6thrust23THRUST_200600_302600_NS6detail15normal_iteratorINS9_10device_ptrItEEEENS9_16discard_iteratorINS9_11use_defaultEEEtNS9_4plusIvEEtEEDaPvRmT3_T4_T5_mT6_P12ihipStream_tbENKUlT_T0_E_clISt17integral_constantIbLb0EESX_EEDaSS_ST_EUlSS_E_NS1_11comp_targetILNS1_3genE4ELNS1_11target_archE910ELNS1_3gpuE8ELNS1_3repE0EEENS1_30default_config_static_selectorELNS0_4arch9wavefront6targetE1EEEvT1_
                                        ; -- End function
	.section	.AMDGPU.csdata,"",@progbits
; Kernel info:
; codeLenInByte = 6428
; NumSgprs: 30
; NumVgprs: 44
; NumAgprs: 0
; TotalNumVgprs: 44
; ScratchSize: 0
; MemoryBound: 0
; FloatMode: 240
; IeeeMode: 1
; LDSByteSize: 3072 bytes/workgroup (compile time only)
; SGPRBlocks: 3
; VGPRBlocks: 5
; NumSGPRsForWavesPerEU: 30
; NumVGPRsForWavesPerEU: 44
; AccumOffset: 44
; Occupancy: 6
; WaveLimiterHint : 1
; COMPUTE_PGM_RSRC2:SCRATCH_EN: 0
; COMPUTE_PGM_RSRC2:USER_SGPR: 6
; COMPUTE_PGM_RSRC2:TRAP_HANDLER: 0
; COMPUTE_PGM_RSRC2:TGID_X_EN: 1
; COMPUTE_PGM_RSRC2:TGID_Y_EN: 0
; COMPUTE_PGM_RSRC2:TGID_Z_EN: 0
; COMPUTE_PGM_RSRC2:TIDIG_COMP_CNT: 0
; COMPUTE_PGM_RSRC3_GFX90A:ACCUM_OFFSET: 10
; COMPUTE_PGM_RSRC3_GFX90A:TG_SPLIT: 0
	.section	.text._ZN7rocprim17ROCPRIM_400000_NS6detail17trampoline_kernelINS0_14default_configENS1_20scan_config_selectorItEEZZNS1_9scan_implILNS1_25lookback_scan_determinismE0ELb1ELb1ES3_N6thrust23THRUST_200600_302600_NS6detail15normal_iteratorINS9_10device_ptrItEEEENS9_16discard_iteratorINS9_11use_defaultEEEtNS9_4plusIvEEtEEDaPvRmT3_T4_T5_mT6_P12ihipStream_tbENKUlT_T0_E_clISt17integral_constantIbLb0EESX_EEDaSS_ST_EUlSS_E_NS1_11comp_targetILNS1_3genE3ELNS1_11target_archE908ELNS1_3gpuE7ELNS1_3repE0EEENS1_30default_config_static_selectorELNS0_4arch9wavefront6targetE1EEEvT1_,"axG",@progbits,_ZN7rocprim17ROCPRIM_400000_NS6detail17trampoline_kernelINS0_14default_configENS1_20scan_config_selectorItEEZZNS1_9scan_implILNS1_25lookback_scan_determinismE0ELb1ELb1ES3_N6thrust23THRUST_200600_302600_NS6detail15normal_iteratorINS9_10device_ptrItEEEENS9_16discard_iteratorINS9_11use_defaultEEEtNS9_4plusIvEEtEEDaPvRmT3_T4_T5_mT6_P12ihipStream_tbENKUlT_T0_E_clISt17integral_constantIbLb0EESX_EEDaSS_ST_EUlSS_E_NS1_11comp_targetILNS1_3genE3ELNS1_11target_archE908ELNS1_3gpuE7ELNS1_3repE0EEENS1_30default_config_static_selectorELNS0_4arch9wavefront6targetE1EEEvT1_,comdat
	.protected	_ZN7rocprim17ROCPRIM_400000_NS6detail17trampoline_kernelINS0_14default_configENS1_20scan_config_selectorItEEZZNS1_9scan_implILNS1_25lookback_scan_determinismE0ELb1ELb1ES3_N6thrust23THRUST_200600_302600_NS6detail15normal_iteratorINS9_10device_ptrItEEEENS9_16discard_iteratorINS9_11use_defaultEEEtNS9_4plusIvEEtEEDaPvRmT3_T4_T5_mT6_P12ihipStream_tbENKUlT_T0_E_clISt17integral_constantIbLb0EESX_EEDaSS_ST_EUlSS_E_NS1_11comp_targetILNS1_3genE3ELNS1_11target_archE908ELNS1_3gpuE7ELNS1_3repE0EEENS1_30default_config_static_selectorELNS0_4arch9wavefront6targetE1EEEvT1_ ; -- Begin function _ZN7rocprim17ROCPRIM_400000_NS6detail17trampoline_kernelINS0_14default_configENS1_20scan_config_selectorItEEZZNS1_9scan_implILNS1_25lookback_scan_determinismE0ELb1ELb1ES3_N6thrust23THRUST_200600_302600_NS6detail15normal_iteratorINS9_10device_ptrItEEEENS9_16discard_iteratorINS9_11use_defaultEEEtNS9_4plusIvEEtEEDaPvRmT3_T4_T5_mT6_P12ihipStream_tbENKUlT_T0_E_clISt17integral_constantIbLb0EESX_EEDaSS_ST_EUlSS_E_NS1_11comp_targetILNS1_3genE3ELNS1_11target_archE908ELNS1_3gpuE7ELNS1_3repE0EEENS1_30default_config_static_selectorELNS0_4arch9wavefront6targetE1EEEvT1_
	.globl	_ZN7rocprim17ROCPRIM_400000_NS6detail17trampoline_kernelINS0_14default_configENS1_20scan_config_selectorItEEZZNS1_9scan_implILNS1_25lookback_scan_determinismE0ELb1ELb1ES3_N6thrust23THRUST_200600_302600_NS6detail15normal_iteratorINS9_10device_ptrItEEEENS9_16discard_iteratorINS9_11use_defaultEEEtNS9_4plusIvEEtEEDaPvRmT3_T4_T5_mT6_P12ihipStream_tbENKUlT_T0_E_clISt17integral_constantIbLb0EESX_EEDaSS_ST_EUlSS_E_NS1_11comp_targetILNS1_3genE3ELNS1_11target_archE908ELNS1_3gpuE7ELNS1_3repE0EEENS1_30default_config_static_selectorELNS0_4arch9wavefront6targetE1EEEvT1_
	.p2align	8
	.type	_ZN7rocprim17ROCPRIM_400000_NS6detail17trampoline_kernelINS0_14default_configENS1_20scan_config_selectorItEEZZNS1_9scan_implILNS1_25lookback_scan_determinismE0ELb1ELb1ES3_N6thrust23THRUST_200600_302600_NS6detail15normal_iteratorINS9_10device_ptrItEEEENS9_16discard_iteratorINS9_11use_defaultEEEtNS9_4plusIvEEtEEDaPvRmT3_T4_T5_mT6_P12ihipStream_tbENKUlT_T0_E_clISt17integral_constantIbLb0EESX_EEDaSS_ST_EUlSS_E_NS1_11comp_targetILNS1_3genE3ELNS1_11target_archE908ELNS1_3gpuE7ELNS1_3repE0EEENS1_30default_config_static_selectorELNS0_4arch9wavefront6targetE1EEEvT1_,@function
_ZN7rocprim17ROCPRIM_400000_NS6detail17trampoline_kernelINS0_14default_configENS1_20scan_config_selectorItEEZZNS1_9scan_implILNS1_25lookback_scan_determinismE0ELb1ELb1ES3_N6thrust23THRUST_200600_302600_NS6detail15normal_iteratorINS9_10device_ptrItEEEENS9_16discard_iteratorINS9_11use_defaultEEEtNS9_4plusIvEEtEEDaPvRmT3_T4_T5_mT6_P12ihipStream_tbENKUlT_T0_E_clISt17integral_constantIbLb0EESX_EEDaSS_ST_EUlSS_E_NS1_11comp_targetILNS1_3genE3ELNS1_11target_archE908ELNS1_3gpuE7ELNS1_3repE0EEENS1_30default_config_static_selectorELNS0_4arch9wavefront6targetE1EEEvT1_: ; @_ZN7rocprim17ROCPRIM_400000_NS6detail17trampoline_kernelINS0_14default_configENS1_20scan_config_selectorItEEZZNS1_9scan_implILNS1_25lookback_scan_determinismE0ELb1ELb1ES3_N6thrust23THRUST_200600_302600_NS6detail15normal_iteratorINS9_10device_ptrItEEEENS9_16discard_iteratorINS9_11use_defaultEEEtNS9_4plusIvEEtEEDaPvRmT3_T4_T5_mT6_P12ihipStream_tbENKUlT_T0_E_clISt17integral_constantIbLb0EESX_EEDaSS_ST_EUlSS_E_NS1_11comp_targetILNS1_3genE3ELNS1_11target_archE908ELNS1_3gpuE7ELNS1_3repE0EEENS1_30default_config_static_selectorELNS0_4arch9wavefront6targetE1EEEvT1_
; %bb.0:
	.section	.rodata,"a",@progbits
	.p2align	6, 0x0
	.amdhsa_kernel _ZN7rocprim17ROCPRIM_400000_NS6detail17trampoline_kernelINS0_14default_configENS1_20scan_config_selectorItEEZZNS1_9scan_implILNS1_25lookback_scan_determinismE0ELb1ELb1ES3_N6thrust23THRUST_200600_302600_NS6detail15normal_iteratorINS9_10device_ptrItEEEENS9_16discard_iteratorINS9_11use_defaultEEEtNS9_4plusIvEEtEEDaPvRmT3_T4_T5_mT6_P12ihipStream_tbENKUlT_T0_E_clISt17integral_constantIbLb0EESX_EEDaSS_ST_EUlSS_E_NS1_11comp_targetILNS1_3genE3ELNS1_11target_archE908ELNS1_3gpuE7ELNS1_3repE0EEENS1_30default_config_static_selectorELNS0_4arch9wavefront6targetE1EEEvT1_
		.amdhsa_group_segment_fixed_size 0
		.amdhsa_private_segment_fixed_size 0
		.amdhsa_kernarg_size 104
		.amdhsa_user_sgpr_count 6
		.amdhsa_user_sgpr_private_segment_buffer 1
		.amdhsa_user_sgpr_dispatch_ptr 0
		.amdhsa_user_sgpr_queue_ptr 0
		.amdhsa_user_sgpr_kernarg_segment_ptr 1
		.amdhsa_user_sgpr_dispatch_id 0
		.amdhsa_user_sgpr_flat_scratch_init 0
		.amdhsa_user_sgpr_kernarg_preload_length 0
		.amdhsa_user_sgpr_kernarg_preload_offset 0
		.amdhsa_user_sgpr_private_segment_size 0
		.amdhsa_uses_dynamic_stack 0
		.amdhsa_system_sgpr_private_segment_wavefront_offset 0
		.amdhsa_system_sgpr_workgroup_id_x 1
		.amdhsa_system_sgpr_workgroup_id_y 0
		.amdhsa_system_sgpr_workgroup_id_z 0
		.amdhsa_system_sgpr_workgroup_info 0
		.amdhsa_system_vgpr_workitem_id 0
		.amdhsa_next_free_vgpr 1
		.amdhsa_next_free_sgpr 0
		.amdhsa_accum_offset 4
		.amdhsa_reserve_vcc 0
		.amdhsa_reserve_flat_scratch 0
		.amdhsa_float_round_mode_32 0
		.amdhsa_float_round_mode_16_64 0
		.amdhsa_float_denorm_mode_32 3
		.amdhsa_float_denorm_mode_16_64 3
		.amdhsa_dx10_clamp 1
		.amdhsa_ieee_mode 1
		.amdhsa_fp16_overflow 0
		.amdhsa_tg_split 0
		.amdhsa_exception_fp_ieee_invalid_op 0
		.amdhsa_exception_fp_denorm_src 0
		.amdhsa_exception_fp_ieee_div_zero 0
		.amdhsa_exception_fp_ieee_overflow 0
		.amdhsa_exception_fp_ieee_underflow 0
		.amdhsa_exception_fp_ieee_inexact 0
		.amdhsa_exception_int_div_zero 0
	.end_amdhsa_kernel
	.section	.text._ZN7rocprim17ROCPRIM_400000_NS6detail17trampoline_kernelINS0_14default_configENS1_20scan_config_selectorItEEZZNS1_9scan_implILNS1_25lookback_scan_determinismE0ELb1ELb1ES3_N6thrust23THRUST_200600_302600_NS6detail15normal_iteratorINS9_10device_ptrItEEEENS9_16discard_iteratorINS9_11use_defaultEEEtNS9_4plusIvEEtEEDaPvRmT3_T4_T5_mT6_P12ihipStream_tbENKUlT_T0_E_clISt17integral_constantIbLb0EESX_EEDaSS_ST_EUlSS_E_NS1_11comp_targetILNS1_3genE3ELNS1_11target_archE908ELNS1_3gpuE7ELNS1_3repE0EEENS1_30default_config_static_selectorELNS0_4arch9wavefront6targetE1EEEvT1_,"axG",@progbits,_ZN7rocprim17ROCPRIM_400000_NS6detail17trampoline_kernelINS0_14default_configENS1_20scan_config_selectorItEEZZNS1_9scan_implILNS1_25lookback_scan_determinismE0ELb1ELb1ES3_N6thrust23THRUST_200600_302600_NS6detail15normal_iteratorINS9_10device_ptrItEEEENS9_16discard_iteratorINS9_11use_defaultEEEtNS9_4plusIvEEtEEDaPvRmT3_T4_T5_mT6_P12ihipStream_tbENKUlT_T0_E_clISt17integral_constantIbLb0EESX_EEDaSS_ST_EUlSS_E_NS1_11comp_targetILNS1_3genE3ELNS1_11target_archE908ELNS1_3gpuE7ELNS1_3repE0EEENS1_30default_config_static_selectorELNS0_4arch9wavefront6targetE1EEEvT1_,comdat
.Lfunc_end5513:
	.size	_ZN7rocprim17ROCPRIM_400000_NS6detail17trampoline_kernelINS0_14default_configENS1_20scan_config_selectorItEEZZNS1_9scan_implILNS1_25lookback_scan_determinismE0ELb1ELb1ES3_N6thrust23THRUST_200600_302600_NS6detail15normal_iteratorINS9_10device_ptrItEEEENS9_16discard_iteratorINS9_11use_defaultEEEtNS9_4plusIvEEtEEDaPvRmT3_T4_T5_mT6_P12ihipStream_tbENKUlT_T0_E_clISt17integral_constantIbLb0EESX_EEDaSS_ST_EUlSS_E_NS1_11comp_targetILNS1_3genE3ELNS1_11target_archE908ELNS1_3gpuE7ELNS1_3repE0EEENS1_30default_config_static_selectorELNS0_4arch9wavefront6targetE1EEEvT1_, .Lfunc_end5513-_ZN7rocprim17ROCPRIM_400000_NS6detail17trampoline_kernelINS0_14default_configENS1_20scan_config_selectorItEEZZNS1_9scan_implILNS1_25lookback_scan_determinismE0ELb1ELb1ES3_N6thrust23THRUST_200600_302600_NS6detail15normal_iteratorINS9_10device_ptrItEEEENS9_16discard_iteratorINS9_11use_defaultEEEtNS9_4plusIvEEtEEDaPvRmT3_T4_T5_mT6_P12ihipStream_tbENKUlT_T0_E_clISt17integral_constantIbLb0EESX_EEDaSS_ST_EUlSS_E_NS1_11comp_targetILNS1_3genE3ELNS1_11target_archE908ELNS1_3gpuE7ELNS1_3repE0EEENS1_30default_config_static_selectorELNS0_4arch9wavefront6targetE1EEEvT1_
                                        ; -- End function
	.section	.AMDGPU.csdata,"",@progbits
; Kernel info:
; codeLenInByte = 0
; NumSgprs: 4
; NumVgprs: 0
; NumAgprs: 0
; TotalNumVgprs: 0
; ScratchSize: 0
; MemoryBound: 0
; FloatMode: 240
; IeeeMode: 1
; LDSByteSize: 0 bytes/workgroup (compile time only)
; SGPRBlocks: 0
; VGPRBlocks: 0
; NumSGPRsForWavesPerEU: 4
; NumVGPRsForWavesPerEU: 1
; AccumOffset: 4
; Occupancy: 8
; WaveLimiterHint : 0
; COMPUTE_PGM_RSRC2:SCRATCH_EN: 0
; COMPUTE_PGM_RSRC2:USER_SGPR: 6
; COMPUTE_PGM_RSRC2:TRAP_HANDLER: 0
; COMPUTE_PGM_RSRC2:TGID_X_EN: 1
; COMPUTE_PGM_RSRC2:TGID_Y_EN: 0
; COMPUTE_PGM_RSRC2:TGID_Z_EN: 0
; COMPUTE_PGM_RSRC2:TIDIG_COMP_CNT: 0
; COMPUTE_PGM_RSRC3_GFX90A:ACCUM_OFFSET: 0
; COMPUTE_PGM_RSRC3_GFX90A:TG_SPLIT: 0
	.section	.text._ZN7rocprim17ROCPRIM_400000_NS6detail17trampoline_kernelINS0_14default_configENS1_20scan_config_selectorItEEZZNS1_9scan_implILNS1_25lookback_scan_determinismE0ELb1ELb1ES3_N6thrust23THRUST_200600_302600_NS6detail15normal_iteratorINS9_10device_ptrItEEEENS9_16discard_iteratorINS9_11use_defaultEEEtNS9_4plusIvEEtEEDaPvRmT3_T4_T5_mT6_P12ihipStream_tbENKUlT_T0_E_clISt17integral_constantIbLb0EESX_EEDaSS_ST_EUlSS_E_NS1_11comp_targetILNS1_3genE2ELNS1_11target_archE906ELNS1_3gpuE6ELNS1_3repE0EEENS1_30default_config_static_selectorELNS0_4arch9wavefront6targetE1EEEvT1_,"axG",@progbits,_ZN7rocprim17ROCPRIM_400000_NS6detail17trampoline_kernelINS0_14default_configENS1_20scan_config_selectorItEEZZNS1_9scan_implILNS1_25lookback_scan_determinismE0ELb1ELb1ES3_N6thrust23THRUST_200600_302600_NS6detail15normal_iteratorINS9_10device_ptrItEEEENS9_16discard_iteratorINS9_11use_defaultEEEtNS9_4plusIvEEtEEDaPvRmT3_T4_T5_mT6_P12ihipStream_tbENKUlT_T0_E_clISt17integral_constantIbLb0EESX_EEDaSS_ST_EUlSS_E_NS1_11comp_targetILNS1_3genE2ELNS1_11target_archE906ELNS1_3gpuE6ELNS1_3repE0EEENS1_30default_config_static_selectorELNS0_4arch9wavefront6targetE1EEEvT1_,comdat
	.protected	_ZN7rocprim17ROCPRIM_400000_NS6detail17trampoline_kernelINS0_14default_configENS1_20scan_config_selectorItEEZZNS1_9scan_implILNS1_25lookback_scan_determinismE0ELb1ELb1ES3_N6thrust23THRUST_200600_302600_NS6detail15normal_iteratorINS9_10device_ptrItEEEENS9_16discard_iteratorINS9_11use_defaultEEEtNS9_4plusIvEEtEEDaPvRmT3_T4_T5_mT6_P12ihipStream_tbENKUlT_T0_E_clISt17integral_constantIbLb0EESX_EEDaSS_ST_EUlSS_E_NS1_11comp_targetILNS1_3genE2ELNS1_11target_archE906ELNS1_3gpuE6ELNS1_3repE0EEENS1_30default_config_static_selectorELNS0_4arch9wavefront6targetE1EEEvT1_ ; -- Begin function _ZN7rocprim17ROCPRIM_400000_NS6detail17trampoline_kernelINS0_14default_configENS1_20scan_config_selectorItEEZZNS1_9scan_implILNS1_25lookback_scan_determinismE0ELb1ELb1ES3_N6thrust23THRUST_200600_302600_NS6detail15normal_iteratorINS9_10device_ptrItEEEENS9_16discard_iteratorINS9_11use_defaultEEEtNS9_4plusIvEEtEEDaPvRmT3_T4_T5_mT6_P12ihipStream_tbENKUlT_T0_E_clISt17integral_constantIbLb0EESX_EEDaSS_ST_EUlSS_E_NS1_11comp_targetILNS1_3genE2ELNS1_11target_archE906ELNS1_3gpuE6ELNS1_3repE0EEENS1_30default_config_static_selectorELNS0_4arch9wavefront6targetE1EEEvT1_
	.globl	_ZN7rocprim17ROCPRIM_400000_NS6detail17trampoline_kernelINS0_14default_configENS1_20scan_config_selectorItEEZZNS1_9scan_implILNS1_25lookback_scan_determinismE0ELb1ELb1ES3_N6thrust23THRUST_200600_302600_NS6detail15normal_iteratorINS9_10device_ptrItEEEENS9_16discard_iteratorINS9_11use_defaultEEEtNS9_4plusIvEEtEEDaPvRmT3_T4_T5_mT6_P12ihipStream_tbENKUlT_T0_E_clISt17integral_constantIbLb0EESX_EEDaSS_ST_EUlSS_E_NS1_11comp_targetILNS1_3genE2ELNS1_11target_archE906ELNS1_3gpuE6ELNS1_3repE0EEENS1_30default_config_static_selectorELNS0_4arch9wavefront6targetE1EEEvT1_
	.p2align	8
	.type	_ZN7rocprim17ROCPRIM_400000_NS6detail17trampoline_kernelINS0_14default_configENS1_20scan_config_selectorItEEZZNS1_9scan_implILNS1_25lookback_scan_determinismE0ELb1ELb1ES3_N6thrust23THRUST_200600_302600_NS6detail15normal_iteratorINS9_10device_ptrItEEEENS9_16discard_iteratorINS9_11use_defaultEEEtNS9_4plusIvEEtEEDaPvRmT3_T4_T5_mT6_P12ihipStream_tbENKUlT_T0_E_clISt17integral_constantIbLb0EESX_EEDaSS_ST_EUlSS_E_NS1_11comp_targetILNS1_3genE2ELNS1_11target_archE906ELNS1_3gpuE6ELNS1_3repE0EEENS1_30default_config_static_selectorELNS0_4arch9wavefront6targetE1EEEvT1_,@function
_ZN7rocprim17ROCPRIM_400000_NS6detail17trampoline_kernelINS0_14default_configENS1_20scan_config_selectorItEEZZNS1_9scan_implILNS1_25lookback_scan_determinismE0ELb1ELb1ES3_N6thrust23THRUST_200600_302600_NS6detail15normal_iteratorINS9_10device_ptrItEEEENS9_16discard_iteratorINS9_11use_defaultEEEtNS9_4plusIvEEtEEDaPvRmT3_T4_T5_mT6_P12ihipStream_tbENKUlT_T0_E_clISt17integral_constantIbLb0EESX_EEDaSS_ST_EUlSS_E_NS1_11comp_targetILNS1_3genE2ELNS1_11target_archE906ELNS1_3gpuE6ELNS1_3repE0EEENS1_30default_config_static_selectorELNS0_4arch9wavefront6targetE1EEEvT1_: ; @_ZN7rocprim17ROCPRIM_400000_NS6detail17trampoline_kernelINS0_14default_configENS1_20scan_config_selectorItEEZZNS1_9scan_implILNS1_25lookback_scan_determinismE0ELb1ELb1ES3_N6thrust23THRUST_200600_302600_NS6detail15normal_iteratorINS9_10device_ptrItEEEENS9_16discard_iteratorINS9_11use_defaultEEEtNS9_4plusIvEEtEEDaPvRmT3_T4_T5_mT6_P12ihipStream_tbENKUlT_T0_E_clISt17integral_constantIbLb0EESX_EEDaSS_ST_EUlSS_E_NS1_11comp_targetILNS1_3genE2ELNS1_11target_archE906ELNS1_3gpuE6ELNS1_3repE0EEENS1_30default_config_static_selectorELNS0_4arch9wavefront6targetE1EEEvT1_
; %bb.0:
	.section	.rodata,"a",@progbits
	.p2align	6, 0x0
	.amdhsa_kernel _ZN7rocprim17ROCPRIM_400000_NS6detail17trampoline_kernelINS0_14default_configENS1_20scan_config_selectorItEEZZNS1_9scan_implILNS1_25lookback_scan_determinismE0ELb1ELb1ES3_N6thrust23THRUST_200600_302600_NS6detail15normal_iteratorINS9_10device_ptrItEEEENS9_16discard_iteratorINS9_11use_defaultEEEtNS9_4plusIvEEtEEDaPvRmT3_T4_T5_mT6_P12ihipStream_tbENKUlT_T0_E_clISt17integral_constantIbLb0EESX_EEDaSS_ST_EUlSS_E_NS1_11comp_targetILNS1_3genE2ELNS1_11target_archE906ELNS1_3gpuE6ELNS1_3repE0EEENS1_30default_config_static_selectorELNS0_4arch9wavefront6targetE1EEEvT1_
		.amdhsa_group_segment_fixed_size 0
		.amdhsa_private_segment_fixed_size 0
		.amdhsa_kernarg_size 104
		.amdhsa_user_sgpr_count 6
		.amdhsa_user_sgpr_private_segment_buffer 1
		.amdhsa_user_sgpr_dispatch_ptr 0
		.amdhsa_user_sgpr_queue_ptr 0
		.amdhsa_user_sgpr_kernarg_segment_ptr 1
		.amdhsa_user_sgpr_dispatch_id 0
		.amdhsa_user_sgpr_flat_scratch_init 0
		.amdhsa_user_sgpr_kernarg_preload_length 0
		.amdhsa_user_sgpr_kernarg_preload_offset 0
		.amdhsa_user_sgpr_private_segment_size 0
		.amdhsa_uses_dynamic_stack 0
		.amdhsa_system_sgpr_private_segment_wavefront_offset 0
		.amdhsa_system_sgpr_workgroup_id_x 1
		.amdhsa_system_sgpr_workgroup_id_y 0
		.amdhsa_system_sgpr_workgroup_id_z 0
		.amdhsa_system_sgpr_workgroup_info 0
		.amdhsa_system_vgpr_workitem_id 0
		.amdhsa_next_free_vgpr 1
		.amdhsa_next_free_sgpr 0
		.amdhsa_accum_offset 4
		.amdhsa_reserve_vcc 0
		.amdhsa_reserve_flat_scratch 0
		.amdhsa_float_round_mode_32 0
		.amdhsa_float_round_mode_16_64 0
		.amdhsa_float_denorm_mode_32 3
		.amdhsa_float_denorm_mode_16_64 3
		.amdhsa_dx10_clamp 1
		.amdhsa_ieee_mode 1
		.amdhsa_fp16_overflow 0
		.amdhsa_tg_split 0
		.amdhsa_exception_fp_ieee_invalid_op 0
		.amdhsa_exception_fp_denorm_src 0
		.amdhsa_exception_fp_ieee_div_zero 0
		.amdhsa_exception_fp_ieee_overflow 0
		.amdhsa_exception_fp_ieee_underflow 0
		.amdhsa_exception_fp_ieee_inexact 0
		.amdhsa_exception_int_div_zero 0
	.end_amdhsa_kernel
	.section	.text._ZN7rocprim17ROCPRIM_400000_NS6detail17trampoline_kernelINS0_14default_configENS1_20scan_config_selectorItEEZZNS1_9scan_implILNS1_25lookback_scan_determinismE0ELb1ELb1ES3_N6thrust23THRUST_200600_302600_NS6detail15normal_iteratorINS9_10device_ptrItEEEENS9_16discard_iteratorINS9_11use_defaultEEEtNS9_4plusIvEEtEEDaPvRmT3_T4_T5_mT6_P12ihipStream_tbENKUlT_T0_E_clISt17integral_constantIbLb0EESX_EEDaSS_ST_EUlSS_E_NS1_11comp_targetILNS1_3genE2ELNS1_11target_archE906ELNS1_3gpuE6ELNS1_3repE0EEENS1_30default_config_static_selectorELNS0_4arch9wavefront6targetE1EEEvT1_,"axG",@progbits,_ZN7rocprim17ROCPRIM_400000_NS6detail17trampoline_kernelINS0_14default_configENS1_20scan_config_selectorItEEZZNS1_9scan_implILNS1_25lookback_scan_determinismE0ELb1ELb1ES3_N6thrust23THRUST_200600_302600_NS6detail15normal_iteratorINS9_10device_ptrItEEEENS9_16discard_iteratorINS9_11use_defaultEEEtNS9_4plusIvEEtEEDaPvRmT3_T4_T5_mT6_P12ihipStream_tbENKUlT_T0_E_clISt17integral_constantIbLb0EESX_EEDaSS_ST_EUlSS_E_NS1_11comp_targetILNS1_3genE2ELNS1_11target_archE906ELNS1_3gpuE6ELNS1_3repE0EEENS1_30default_config_static_selectorELNS0_4arch9wavefront6targetE1EEEvT1_,comdat
.Lfunc_end5514:
	.size	_ZN7rocprim17ROCPRIM_400000_NS6detail17trampoline_kernelINS0_14default_configENS1_20scan_config_selectorItEEZZNS1_9scan_implILNS1_25lookback_scan_determinismE0ELb1ELb1ES3_N6thrust23THRUST_200600_302600_NS6detail15normal_iteratorINS9_10device_ptrItEEEENS9_16discard_iteratorINS9_11use_defaultEEEtNS9_4plusIvEEtEEDaPvRmT3_T4_T5_mT6_P12ihipStream_tbENKUlT_T0_E_clISt17integral_constantIbLb0EESX_EEDaSS_ST_EUlSS_E_NS1_11comp_targetILNS1_3genE2ELNS1_11target_archE906ELNS1_3gpuE6ELNS1_3repE0EEENS1_30default_config_static_selectorELNS0_4arch9wavefront6targetE1EEEvT1_, .Lfunc_end5514-_ZN7rocprim17ROCPRIM_400000_NS6detail17trampoline_kernelINS0_14default_configENS1_20scan_config_selectorItEEZZNS1_9scan_implILNS1_25lookback_scan_determinismE0ELb1ELb1ES3_N6thrust23THRUST_200600_302600_NS6detail15normal_iteratorINS9_10device_ptrItEEEENS9_16discard_iteratorINS9_11use_defaultEEEtNS9_4plusIvEEtEEDaPvRmT3_T4_T5_mT6_P12ihipStream_tbENKUlT_T0_E_clISt17integral_constantIbLb0EESX_EEDaSS_ST_EUlSS_E_NS1_11comp_targetILNS1_3genE2ELNS1_11target_archE906ELNS1_3gpuE6ELNS1_3repE0EEENS1_30default_config_static_selectorELNS0_4arch9wavefront6targetE1EEEvT1_
                                        ; -- End function
	.section	.AMDGPU.csdata,"",@progbits
; Kernel info:
; codeLenInByte = 0
; NumSgprs: 4
; NumVgprs: 0
; NumAgprs: 0
; TotalNumVgprs: 0
; ScratchSize: 0
; MemoryBound: 0
; FloatMode: 240
; IeeeMode: 1
; LDSByteSize: 0 bytes/workgroup (compile time only)
; SGPRBlocks: 0
; VGPRBlocks: 0
; NumSGPRsForWavesPerEU: 4
; NumVGPRsForWavesPerEU: 1
; AccumOffset: 4
; Occupancy: 8
; WaveLimiterHint : 0
; COMPUTE_PGM_RSRC2:SCRATCH_EN: 0
; COMPUTE_PGM_RSRC2:USER_SGPR: 6
; COMPUTE_PGM_RSRC2:TRAP_HANDLER: 0
; COMPUTE_PGM_RSRC2:TGID_X_EN: 1
; COMPUTE_PGM_RSRC2:TGID_Y_EN: 0
; COMPUTE_PGM_RSRC2:TGID_Z_EN: 0
; COMPUTE_PGM_RSRC2:TIDIG_COMP_CNT: 0
; COMPUTE_PGM_RSRC3_GFX90A:ACCUM_OFFSET: 0
; COMPUTE_PGM_RSRC3_GFX90A:TG_SPLIT: 0
	.section	.text._ZN7rocprim17ROCPRIM_400000_NS6detail17trampoline_kernelINS0_14default_configENS1_20scan_config_selectorItEEZZNS1_9scan_implILNS1_25lookback_scan_determinismE0ELb1ELb1ES3_N6thrust23THRUST_200600_302600_NS6detail15normal_iteratorINS9_10device_ptrItEEEENS9_16discard_iteratorINS9_11use_defaultEEEtNS9_4plusIvEEtEEDaPvRmT3_T4_T5_mT6_P12ihipStream_tbENKUlT_T0_E_clISt17integral_constantIbLb0EESX_EEDaSS_ST_EUlSS_E_NS1_11comp_targetILNS1_3genE10ELNS1_11target_archE1201ELNS1_3gpuE5ELNS1_3repE0EEENS1_30default_config_static_selectorELNS0_4arch9wavefront6targetE1EEEvT1_,"axG",@progbits,_ZN7rocprim17ROCPRIM_400000_NS6detail17trampoline_kernelINS0_14default_configENS1_20scan_config_selectorItEEZZNS1_9scan_implILNS1_25lookback_scan_determinismE0ELb1ELb1ES3_N6thrust23THRUST_200600_302600_NS6detail15normal_iteratorINS9_10device_ptrItEEEENS9_16discard_iteratorINS9_11use_defaultEEEtNS9_4plusIvEEtEEDaPvRmT3_T4_T5_mT6_P12ihipStream_tbENKUlT_T0_E_clISt17integral_constantIbLb0EESX_EEDaSS_ST_EUlSS_E_NS1_11comp_targetILNS1_3genE10ELNS1_11target_archE1201ELNS1_3gpuE5ELNS1_3repE0EEENS1_30default_config_static_selectorELNS0_4arch9wavefront6targetE1EEEvT1_,comdat
	.protected	_ZN7rocprim17ROCPRIM_400000_NS6detail17trampoline_kernelINS0_14default_configENS1_20scan_config_selectorItEEZZNS1_9scan_implILNS1_25lookback_scan_determinismE0ELb1ELb1ES3_N6thrust23THRUST_200600_302600_NS6detail15normal_iteratorINS9_10device_ptrItEEEENS9_16discard_iteratorINS9_11use_defaultEEEtNS9_4plusIvEEtEEDaPvRmT3_T4_T5_mT6_P12ihipStream_tbENKUlT_T0_E_clISt17integral_constantIbLb0EESX_EEDaSS_ST_EUlSS_E_NS1_11comp_targetILNS1_3genE10ELNS1_11target_archE1201ELNS1_3gpuE5ELNS1_3repE0EEENS1_30default_config_static_selectorELNS0_4arch9wavefront6targetE1EEEvT1_ ; -- Begin function _ZN7rocprim17ROCPRIM_400000_NS6detail17trampoline_kernelINS0_14default_configENS1_20scan_config_selectorItEEZZNS1_9scan_implILNS1_25lookback_scan_determinismE0ELb1ELb1ES3_N6thrust23THRUST_200600_302600_NS6detail15normal_iteratorINS9_10device_ptrItEEEENS9_16discard_iteratorINS9_11use_defaultEEEtNS9_4plusIvEEtEEDaPvRmT3_T4_T5_mT6_P12ihipStream_tbENKUlT_T0_E_clISt17integral_constantIbLb0EESX_EEDaSS_ST_EUlSS_E_NS1_11comp_targetILNS1_3genE10ELNS1_11target_archE1201ELNS1_3gpuE5ELNS1_3repE0EEENS1_30default_config_static_selectorELNS0_4arch9wavefront6targetE1EEEvT1_
	.globl	_ZN7rocprim17ROCPRIM_400000_NS6detail17trampoline_kernelINS0_14default_configENS1_20scan_config_selectorItEEZZNS1_9scan_implILNS1_25lookback_scan_determinismE0ELb1ELb1ES3_N6thrust23THRUST_200600_302600_NS6detail15normal_iteratorINS9_10device_ptrItEEEENS9_16discard_iteratorINS9_11use_defaultEEEtNS9_4plusIvEEtEEDaPvRmT3_T4_T5_mT6_P12ihipStream_tbENKUlT_T0_E_clISt17integral_constantIbLb0EESX_EEDaSS_ST_EUlSS_E_NS1_11comp_targetILNS1_3genE10ELNS1_11target_archE1201ELNS1_3gpuE5ELNS1_3repE0EEENS1_30default_config_static_selectorELNS0_4arch9wavefront6targetE1EEEvT1_
	.p2align	8
	.type	_ZN7rocprim17ROCPRIM_400000_NS6detail17trampoline_kernelINS0_14default_configENS1_20scan_config_selectorItEEZZNS1_9scan_implILNS1_25lookback_scan_determinismE0ELb1ELb1ES3_N6thrust23THRUST_200600_302600_NS6detail15normal_iteratorINS9_10device_ptrItEEEENS9_16discard_iteratorINS9_11use_defaultEEEtNS9_4plusIvEEtEEDaPvRmT3_T4_T5_mT6_P12ihipStream_tbENKUlT_T0_E_clISt17integral_constantIbLb0EESX_EEDaSS_ST_EUlSS_E_NS1_11comp_targetILNS1_3genE10ELNS1_11target_archE1201ELNS1_3gpuE5ELNS1_3repE0EEENS1_30default_config_static_selectorELNS0_4arch9wavefront6targetE1EEEvT1_,@function
_ZN7rocprim17ROCPRIM_400000_NS6detail17trampoline_kernelINS0_14default_configENS1_20scan_config_selectorItEEZZNS1_9scan_implILNS1_25lookback_scan_determinismE0ELb1ELb1ES3_N6thrust23THRUST_200600_302600_NS6detail15normal_iteratorINS9_10device_ptrItEEEENS9_16discard_iteratorINS9_11use_defaultEEEtNS9_4plusIvEEtEEDaPvRmT3_T4_T5_mT6_P12ihipStream_tbENKUlT_T0_E_clISt17integral_constantIbLb0EESX_EEDaSS_ST_EUlSS_E_NS1_11comp_targetILNS1_3genE10ELNS1_11target_archE1201ELNS1_3gpuE5ELNS1_3repE0EEENS1_30default_config_static_selectorELNS0_4arch9wavefront6targetE1EEEvT1_: ; @_ZN7rocprim17ROCPRIM_400000_NS6detail17trampoline_kernelINS0_14default_configENS1_20scan_config_selectorItEEZZNS1_9scan_implILNS1_25lookback_scan_determinismE0ELb1ELb1ES3_N6thrust23THRUST_200600_302600_NS6detail15normal_iteratorINS9_10device_ptrItEEEENS9_16discard_iteratorINS9_11use_defaultEEEtNS9_4plusIvEEtEEDaPvRmT3_T4_T5_mT6_P12ihipStream_tbENKUlT_T0_E_clISt17integral_constantIbLb0EESX_EEDaSS_ST_EUlSS_E_NS1_11comp_targetILNS1_3genE10ELNS1_11target_archE1201ELNS1_3gpuE5ELNS1_3repE0EEENS1_30default_config_static_selectorELNS0_4arch9wavefront6targetE1EEEvT1_
; %bb.0:
	.section	.rodata,"a",@progbits
	.p2align	6, 0x0
	.amdhsa_kernel _ZN7rocprim17ROCPRIM_400000_NS6detail17trampoline_kernelINS0_14default_configENS1_20scan_config_selectorItEEZZNS1_9scan_implILNS1_25lookback_scan_determinismE0ELb1ELb1ES3_N6thrust23THRUST_200600_302600_NS6detail15normal_iteratorINS9_10device_ptrItEEEENS9_16discard_iteratorINS9_11use_defaultEEEtNS9_4plusIvEEtEEDaPvRmT3_T4_T5_mT6_P12ihipStream_tbENKUlT_T0_E_clISt17integral_constantIbLb0EESX_EEDaSS_ST_EUlSS_E_NS1_11comp_targetILNS1_3genE10ELNS1_11target_archE1201ELNS1_3gpuE5ELNS1_3repE0EEENS1_30default_config_static_selectorELNS0_4arch9wavefront6targetE1EEEvT1_
		.amdhsa_group_segment_fixed_size 0
		.amdhsa_private_segment_fixed_size 0
		.amdhsa_kernarg_size 104
		.amdhsa_user_sgpr_count 6
		.amdhsa_user_sgpr_private_segment_buffer 1
		.amdhsa_user_sgpr_dispatch_ptr 0
		.amdhsa_user_sgpr_queue_ptr 0
		.amdhsa_user_sgpr_kernarg_segment_ptr 1
		.amdhsa_user_sgpr_dispatch_id 0
		.amdhsa_user_sgpr_flat_scratch_init 0
		.amdhsa_user_sgpr_kernarg_preload_length 0
		.amdhsa_user_sgpr_kernarg_preload_offset 0
		.amdhsa_user_sgpr_private_segment_size 0
		.amdhsa_uses_dynamic_stack 0
		.amdhsa_system_sgpr_private_segment_wavefront_offset 0
		.amdhsa_system_sgpr_workgroup_id_x 1
		.amdhsa_system_sgpr_workgroup_id_y 0
		.amdhsa_system_sgpr_workgroup_id_z 0
		.amdhsa_system_sgpr_workgroup_info 0
		.amdhsa_system_vgpr_workitem_id 0
		.amdhsa_next_free_vgpr 1
		.amdhsa_next_free_sgpr 0
		.amdhsa_accum_offset 4
		.amdhsa_reserve_vcc 0
		.amdhsa_reserve_flat_scratch 0
		.amdhsa_float_round_mode_32 0
		.amdhsa_float_round_mode_16_64 0
		.amdhsa_float_denorm_mode_32 3
		.amdhsa_float_denorm_mode_16_64 3
		.amdhsa_dx10_clamp 1
		.amdhsa_ieee_mode 1
		.amdhsa_fp16_overflow 0
		.amdhsa_tg_split 0
		.amdhsa_exception_fp_ieee_invalid_op 0
		.amdhsa_exception_fp_denorm_src 0
		.amdhsa_exception_fp_ieee_div_zero 0
		.amdhsa_exception_fp_ieee_overflow 0
		.amdhsa_exception_fp_ieee_underflow 0
		.amdhsa_exception_fp_ieee_inexact 0
		.amdhsa_exception_int_div_zero 0
	.end_amdhsa_kernel
	.section	.text._ZN7rocprim17ROCPRIM_400000_NS6detail17trampoline_kernelINS0_14default_configENS1_20scan_config_selectorItEEZZNS1_9scan_implILNS1_25lookback_scan_determinismE0ELb1ELb1ES3_N6thrust23THRUST_200600_302600_NS6detail15normal_iteratorINS9_10device_ptrItEEEENS9_16discard_iteratorINS9_11use_defaultEEEtNS9_4plusIvEEtEEDaPvRmT3_T4_T5_mT6_P12ihipStream_tbENKUlT_T0_E_clISt17integral_constantIbLb0EESX_EEDaSS_ST_EUlSS_E_NS1_11comp_targetILNS1_3genE10ELNS1_11target_archE1201ELNS1_3gpuE5ELNS1_3repE0EEENS1_30default_config_static_selectorELNS0_4arch9wavefront6targetE1EEEvT1_,"axG",@progbits,_ZN7rocprim17ROCPRIM_400000_NS6detail17trampoline_kernelINS0_14default_configENS1_20scan_config_selectorItEEZZNS1_9scan_implILNS1_25lookback_scan_determinismE0ELb1ELb1ES3_N6thrust23THRUST_200600_302600_NS6detail15normal_iteratorINS9_10device_ptrItEEEENS9_16discard_iteratorINS9_11use_defaultEEEtNS9_4plusIvEEtEEDaPvRmT3_T4_T5_mT6_P12ihipStream_tbENKUlT_T0_E_clISt17integral_constantIbLb0EESX_EEDaSS_ST_EUlSS_E_NS1_11comp_targetILNS1_3genE10ELNS1_11target_archE1201ELNS1_3gpuE5ELNS1_3repE0EEENS1_30default_config_static_selectorELNS0_4arch9wavefront6targetE1EEEvT1_,comdat
.Lfunc_end5515:
	.size	_ZN7rocprim17ROCPRIM_400000_NS6detail17trampoline_kernelINS0_14default_configENS1_20scan_config_selectorItEEZZNS1_9scan_implILNS1_25lookback_scan_determinismE0ELb1ELb1ES3_N6thrust23THRUST_200600_302600_NS6detail15normal_iteratorINS9_10device_ptrItEEEENS9_16discard_iteratorINS9_11use_defaultEEEtNS9_4plusIvEEtEEDaPvRmT3_T4_T5_mT6_P12ihipStream_tbENKUlT_T0_E_clISt17integral_constantIbLb0EESX_EEDaSS_ST_EUlSS_E_NS1_11comp_targetILNS1_3genE10ELNS1_11target_archE1201ELNS1_3gpuE5ELNS1_3repE0EEENS1_30default_config_static_selectorELNS0_4arch9wavefront6targetE1EEEvT1_, .Lfunc_end5515-_ZN7rocprim17ROCPRIM_400000_NS6detail17trampoline_kernelINS0_14default_configENS1_20scan_config_selectorItEEZZNS1_9scan_implILNS1_25lookback_scan_determinismE0ELb1ELb1ES3_N6thrust23THRUST_200600_302600_NS6detail15normal_iteratorINS9_10device_ptrItEEEENS9_16discard_iteratorINS9_11use_defaultEEEtNS9_4plusIvEEtEEDaPvRmT3_T4_T5_mT6_P12ihipStream_tbENKUlT_T0_E_clISt17integral_constantIbLb0EESX_EEDaSS_ST_EUlSS_E_NS1_11comp_targetILNS1_3genE10ELNS1_11target_archE1201ELNS1_3gpuE5ELNS1_3repE0EEENS1_30default_config_static_selectorELNS0_4arch9wavefront6targetE1EEEvT1_
                                        ; -- End function
	.section	.AMDGPU.csdata,"",@progbits
; Kernel info:
; codeLenInByte = 0
; NumSgprs: 4
; NumVgprs: 0
; NumAgprs: 0
; TotalNumVgprs: 0
; ScratchSize: 0
; MemoryBound: 0
; FloatMode: 240
; IeeeMode: 1
; LDSByteSize: 0 bytes/workgroup (compile time only)
; SGPRBlocks: 0
; VGPRBlocks: 0
; NumSGPRsForWavesPerEU: 4
; NumVGPRsForWavesPerEU: 1
; AccumOffset: 4
; Occupancy: 8
; WaveLimiterHint : 0
; COMPUTE_PGM_RSRC2:SCRATCH_EN: 0
; COMPUTE_PGM_RSRC2:USER_SGPR: 6
; COMPUTE_PGM_RSRC2:TRAP_HANDLER: 0
; COMPUTE_PGM_RSRC2:TGID_X_EN: 1
; COMPUTE_PGM_RSRC2:TGID_Y_EN: 0
; COMPUTE_PGM_RSRC2:TGID_Z_EN: 0
; COMPUTE_PGM_RSRC2:TIDIG_COMP_CNT: 0
; COMPUTE_PGM_RSRC3_GFX90A:ACCUM_OFFSET: 0
; COMPUTE_PGM_RSRC3_GFX90A:TG_SPLIT: 0
	.section	.text._ZN7rocprim17ROCPRIM_400000_NS6detail17trampoline_kernelINS0_14default_configENS1_20scan_config_selectorItEEZZNS1_9scan_implILNS1_25lookback_scan_determinismE0ELb1ELb1ES3_N6thrust23THRUST_200600_302600_NS6detail15normal_iteratorINS9_10device_ptrItEEEENS9_16discard_iteratorINS9_11use_defaultEEEtNS9_4plusIvEEtEEDaPvRmT3_T4_T5_mT6_P12ihipStream_tbENKUlT_T0_E_clISt17integral_constantIbLb0EESX_EEDaSS_ST_EUlSS_E_NS1_11comp_targetILNS1_3genE10ELNS1_11target_archE1200ELNS1_3gpuE4ELNS1_3repE0EEENS1_30default_config_static_selectorELNS0_4arch9wavefront6targetE1EEEvT1_,"axG",@progbits,_ZN7rocprim17ROCPRIM_400000_NS6detail17trampoline_kernelINS0_14default_configENS1_20scan_config_selectorItEEZZNS1_9scan_implILNS1_25lookback_scan_determinismE0ELb1ELb1ES3_N6thrust23THRUST_200600_302600_NS6detail15normal_iteratorINS9_10device_ptrItEEEENS9_16discard_iteratorINS9_11use_defaultEEEtNS9_4plusIvEEtEEDaPvRmT3_T4_T5_mT6_P12ihipStream_tbENKUlT_T0_E_clISt17integral_constantIbLb0EESX_EEDaSS_ST_EUlSS_E_NS1_11comp_targetILNS1_3genE10ELNS1_11target_archE1200ELNS1_3gpuE4ELNS1_3repE0EEENS1_30default_config_static_selectorELNS0_4arch9wavefront6targetE1EEEvT1_,comdat
	.protected	_ZN7rocprim17ROCPRIM_400000_NS6detail17trampoline_kernelINS0_14default_configENS1_20scan_config_selectorItEEZZNS1_9scan_implILNS1_25lookback_scan_determinismE0ELb1ELb1ES3_N6thrust23THRUST_200600_302600_NS6detail15normal_iteratorINS9_10device_ptrItEEEENS9_16discard_iteratorINS9_11use_defaultEEEtNS9_4plusIvEEtEEDaPvRmT3_T4_T5_mT6_P12ihipStream_tbENKUlT_T0_E_clISt17integral_constantIbLb0EESX_EEDaSS_ST_EUlSS_E_NS1_11comp_targetILNS1_3genE10ELNS1_11target_archE1200ELNS1_3gpuE4ELNS1_3repE0EEENS1_30default_config_static_selectorELNS0_4arch9wavefront6targetE1EEEvT1_ ; -- Begin function _ZN7rocprim17ROCPRIM_400000_NS6detail17trampoline_kernelINS0_14default_configENS1_20scan_config_selectorItEEZZNS1_9scan_implILNS1_25lookback_scan_determinismE0ELb1ELb1ES3_N6thrust23THRUST_200600_302600_NS6detail15normal_iteratorINS9_10device_ptrItEEEENS9_16discard_iteratorINS9_11use_defaultEEEtNS9_4plusIvEEtEEDaPvRmT3_T4_T5_mT6_P12ihipStream_tbENKUlT_T0_E_clISt17integral_constantIbLb0EESX_EEDaSS_ST_EUlSS_E_NS1_11comp_targetILNS1_3genE10ELNS1_11target_archE1200ELNS1_3gpuE4ELNS1_3repE0EEENS1_30default_config_static_selectorELNS0_4arch9wavefront6targetE1EEEvT1_
	.globl	_ZN7rocprim17ROCPRIM_400000_NS6detail17trampoline_kernelINS0_14default_configENS1_20scan_config_selectorItEEZZNS1_9scan_implILNS1_25lookback_scan_determinismE0ELb1ELb1ES3_N6thrust23THRUST_200600_302600_NS6detail15normal_iteratorINS9_10device_ptrItEEEENS9_16discard_iteratorINS9_11use_defaultEEEtNS9_4plusIvEEtEEDaPvRmT3_T4_T5_mT6_P12ihipStream_tbENKUlT_T0_E_clISt17integral_constantIbLb0EESX_EEDaSS_ST_EUlSS_E_NS1_11comp_targetILNS1_3genE10ELNS1_11target_archE1200ELNS1_3gpuE4ELNS1_3repE0EEENS1_30default_config_static_selectorELNS0_4arch9wavefront6targetE1EEEvT1_
	.p2align	8
	.type	_ZN7rocprim17ROCPRIM_400000_NS6detail17trampoline_kernelINS0_14default_configENS1_20scan_config_selectorItEEZZNS1_9scan_implILNS1_25lookback_scan_determinismE0ELb1ELb1ES3_N6thrust23THRUST_200600_302600_NS6detail15normal_iteratorINS9_10device_ptrItEEEENS9_16discard_iteratorINS9_11use_defaultEEEtNS9_4plusIvEEtEEDaPvRmT3_T4_T5_mT6_P12ihipStream_tbENKUlT_T0_E_clISt17integral_constantIbLb0EESX_EEDaSS_ST_EUlSS_E_NS1_11comp_targetILNS1_3genE10ELNS1_11target_archE1200ELNS1_3gpuE4ELNS1_3repE0EEENS1_30default_config_static_selectorELNS0_4arch9wavefront6targetE1EEEvT1_,@function
_ZN7rocprim17ROCPRIM_400000_NS6detail17trampoline_kernelINS0_14default_configENS1_20scan_config_selectorItEEZZNS1_9scan_implILNS1_25lookback_scan_determinismE0ELb1ELb1ES3_N6thrust23THRUST_200600_302600_NS6detail15normal_iteratorINS9_10device_ptrItEEEENS9_16discard_iteratorINS9_11use_defaultEEEtNS9_4plusIvEEtEEDaPvRmT3_T4_T5_mT6_P12ihipStream_tbENKUlT_T0_E_clISt17integral_constantIbLb0EESX_EEDaSS_ST_EUlSS_E_NS1_11comp_targetILNS1_3genE10ELNS1_11target_archE1200ELNS1_3gpuE4ELNS1_3repE0EEENS1_30default_config_static_selectorELNS0_4arch9wavefront6targetE1EEEvT1_: ; @_ZN7rocprim17ROCPRIM_400000_NS6detail17trampoline_kernelINS0_14default_configENS1_20scan_config_selectorItEEZZNS1_9scan_implILNS1_25lookback_scan_determinismE0ELb1ELb1ES3_N6thrust23THRUST_200600_302600_NS6detail15normal_iteratorINS9_10device_ptrItEEEENS9_16discard_iteratorINS9_11use_defaultEEEtNS9_4plusIvEEtEEDaPvRmT3_T4_T5_mT6_P12ihipStream_tbENKUlT_T0_E_clISt17integral_constantIbLb0EESX_EEDaSS_ST_EUlSS_E_NS1_11comp_targetILNS1_3genE10ELNS1_11target_archE1200ELNS1_3gpuE4ELNS1_3repE0EEENS1_30default_config_static_selectorELNS0_4arch9wavefront6targetE1EEEvT1_
; %bb.0:
	.section	.rodata,"a",@progbits
	.p2align	6, 0x0
	.amdhsa_kernel _ZN7rocprim17ROCPRIM_400000_NS6detail17trampoline_kernelINS0_14default_configENS1_20scan_config_selectorItEEZZNS1_9scan_implILNS1_25lookback_scan_determinismE0ELb1ELb1ES3_N6thrust23THRUST_200600_302600_NS6detail15normal_iteratorINS9_10device_ptrItEEEENS9_16discard_iteratorINS9_11use_defaultEEEtNS9_4plusIvEEtEEDaPvRmT3_T4_T5_mT6_P12ihipStream_tbENKUlT_T0_E_clISt17integral_constantIbLb0EESX_EEDaSS_ST_EUlSS_E_NS1_11comp_targetILNS1_3genE10ELNS1_11target_archE1200ELNS1_3gpuE4ELNS1_3repE0EEENS1_30default_config_static_selectorELNS0_4arch9wavefront6targetE1EEEvT1_
		.amdhsa_group_segment_fixed_size 0
		.amdhsa_private_segment_fixed_size 0
		.amdhsa_kernarg_size 104
		.amdhsa_user_sgpr_count 6
		.amdhsa_user_sgpr_private_segment_buffer 1
		.amdhsa_user_sgpr_dispatch_ptr 0
		.amdhsa_user_sgpr_queue_ptr 0
		.amdhsa_user_sgpr_kernarg_segment_ptr 1
		.amdhsa_user_sgpr_dispatch_id 0
		.amdhsa_user_sgpr_flat_scratch_init 0
		.amdhsa_user_sgpr_kernarg_preload_length 0
		.amdhsa_user_sgpr_kernarg_preload_offset 0
		.amdhsa_user_sgpr_private_segment_size 0
		.amdhsa_uses_dynamic_stack 0
		.amdhsa_system_sgpr_private_segment_wavefront_offset 0
		.amdhsa_system_sgpr_workgroup_id_x 1
		.amdhsa_system_sgpr_workgroup_id_y 0
		.amdhsa_system_sgpr_workgroup_id_z 0
		.amdhsa_system_sgpr_workgroup_info 0
		.amdhsa_system_vgpr_workitem_id 0
		.amdhsa_next_free_vgpr 1
		.amdhsa_next_free_sgpr 0
		.amdhsa_accum_offset 4
		.amdhsa_reserve_vcc 0
		.amdhsa_reserve_flat_scratch 0
		.amdhsa_float_round_mode_32 0
		.amdhsa_float_round_mode_16_64 0
		.amdhsa_float_denorm_mode_32 3
		.amdhsa_float_denorm_mode_16_64 3
		.amdhsa_dx10_clamp 1
		.amdhsa_ieee_mode 1
		.amdhsa_fp16_overflow 0
		.amdhsa_tg_split 0
		.amdhsa_exception_fp_ieee_invalid_op 0
		.amdhsa_exception_fp_denorm_src 0
		.amdhsa_exception_fp_ieee_div_zero 0
		.amdhsa_exception_fp_ieee_overflow 0
		.amdhsa_exception_fp_ieee_underflow 0
		.amdhsa_exception_fp_ieee_inexact 0
		.amdhsa_exception_int_div_zero 0
	.end_amdhsa_kernel
	.section	.text._ZN7rocprim17ROCPRIM_400000_NS6detail17trampoline_kernelINS0_14default_configENS1_20scan_config_selectorItEEZZNS1_9scan_implILNS1_25lookback_scan_determinismE0ELb1ELb1ES3_N6thrust23THRUST_200600_302600_NS6detail15normal_iteratorINS9_10device_ptrItEEEENS9_16discard_iteratorINS9_11use_defaultEEEtNS9_4plusIvEEtEEDaPvRmT3_T4_T5_mT6_P12ihipStream_tbENKUlT_T0_E_clISt17integral_constantIbLb0EESX_EEDaSS_ST_EUlSS_E_NS1_11comp_targetILNS1_3genE10ELNS1_11target_archE1200ELNS1_3gpuE4ELNS1_3repE0EEENS1_30default_config_static_selectorELNS0_4arch9wavefront6targetE1EEEvT1_,"axG",@progbits,_ZN7rocprim17ROCPRIM_400000_NS6detail17trampoline_kernelINS0_14default_configENS1_20scan_config_selectorItEEZZNS1_9scan_implILNS1_25lookback_scan_determinismE0ELb1ELb1ES3_N6thrust23THRUST_200600_302600_NS6detail15normal_iteratorINS9_10device_ptrItEEEENS9_16discard_iteratorINS9_11use_defaultEEEtNS9_4plusIvEEtEEDaPvRmT3_T4_T5_mT6_P12ihipStream_tbENKUlT_T0_E_clISt17integral_constantIbLb0EESX_EEDaSS_ST_EUlSS_E_NS1_11comp_targetILNS1_3genE10ELNS1_11target_archE1200ELNS1_3gpuE4ELNS1_3repE0EEENS1_30default_config_static_selectorELNS0_4arch9wavefront6targetE1EEEvT1_,comdat
.Lfunc_end5516:
	.size	_ZN7rocprim17ROCPRIM_400000_NS6detail17trampoline_kernelINS0_14default_configENS1_20scan_config_selectorItEEZZNS1_9scan_implILNS1_25lookback_scan_determinismE0ELb1ELb1ES3_N6thrust23THRUST_200600_302600_NS6detail15normal_iteratorINS9_10device_ptrItEEEENS9_16discard_iteratorINS9_11use_defaultEEEtNS9_4plusIvEEtEEDaPvRmT3_T4_T5_mT6_P12ihipStream_tbENKUlT_T0_E_clISt17integral_constantIbLb0EESX_EEDaSS_ST_EUlSS_E_NS1_11comp_targetILNS1_3genE10ELNS1_11target_archE1200ELNS1_3gpuE4ELNS1_3repE0EEENS1_30default_config_static_selectorELNS0_4arch9wavefront6targetE1EEEvT1_, .Lfunc_end5516-_ZN7rocprim17ROCPRIM_400000_NS6detail17trampoline_kernelINS0_14default_configENS1_20scan_config_selectorItEEZZNS1_9scan_implILNS1_25lookback_scan_determinismE0ELb1ELb1ES3_N6thrust23THRUST_200600_302600_NS6detail15normal_iteratorINS9_10device_ptrItEEEENS9_16discard_iteratorINS9_11use_defaultEEEtNS9_4plusIvEEtEEDaPvRmT3_T4_T5_mT6_P12ihipStream_tbENKUlT_T0_E_clISt17integral_constantIbLb0EESX_EEDaSS_ST_EUlSS_E_NS1_11comp_targetILNS1_3genE10ELNS1_11target_archE1200ELNS1_3gpuE4ELNS1_3repE0EEENS1_30default_config_static_selectorELNS0_4arch9wavefront6targetE1EEEvT1_
                                        ; -- End function
	.section	.AMDGPU.csdata,"",@progbits
; Kernel info:
; codeLenInByte = 0
; NumSgprs: 4
; NumVgprs: 0
; NumAgprs: 0
; TotalNumVgprs: 0
; ScratchSize: 0
; MemoryBound: 0
; FloatMode: 240
; IeeeMode: 1
; LDSByteSize: 0 bytes/workgroup (compile time only)
; SGPRBlocks: 0
; VGPRBlocks: 0
; NumSGPRsForWavesPerEU: 4
; NumVGPRsForWavesPerEU: 1
; AccumOffset: 4
; Occupancy: 8
; WaveLimiterHint : 0
; COMPUTE_PGM_RSRC2:SCRATCH_EN: 0
; COMPUTE_PGM_RSRC2:USER_SGPR: 6
; COMPUTE_PGM_RSRC2:TRAP_HANDLER: 0
; COMPUTE_PGM_RSRC2:TGID_X_EN: 1
; COMPUTE_PGM_RSRC2:TGID_Y_EN: 0
; COMPUTE_PGM_RSRC2:TGID_Z_EN: 0
; COMPUTE_PGM_RSRC2:TIDIG_COMP_CNT: 0
; COMPUTE_PGM_RSRC3_GFX90A:ACCUM_OFFSET: 0
; COMPUTE_PGM_RSRC3_GFX90A:TG_SPLIT: 0
	.section	.text._ZN7rocprim17ROCPRIM_400000_NS6detail17trampoline_kernelINS0_14default_configENS1_20scan_config_selectorItEEZZNS1_9scan_implILNS1_25lookback_scan_determinismE0ELb1ELb1ES3_N6thrust23THRUST_200600_302600_NS6detail15normal_iteratorINS9_10device_ptrItEEEENS9_16discard_iteratorINS9_11use_defaultEEEtNS9_4plusIvEEtEEDaPvRmT3_T4_T5_mT6_P12ihipStream_tbENKUlT_T0_E_clISt17integral_constantIbLb0EESX_EEDaSS_ST_EUlSS_E_NS1_11comp_targetILNS1_3genE9ELNS1_11target_archE1100ELNS1_3gpuE3ELNS1_3repE0EEENS1_30default_config_static_selectorELNS0_4arch9wavefront6targetE1EEEvT1_,"axG",@progbits,_ZN7rocprim17ROCPRIM_400000_NS6detail17trampoline_kernelINS0_14default_configENS1_20scan_config_selectorItEEZZNS1_9scan_implILNS1_25lookback_scan_determinismE0ELb1ELb1ES3_N6thrust23THRUST_200600_302600_NS6detail15normal_iteratorINS9_10device_ptrItEEEENS9_16discard_iteratorINS9_11use_defaultEEEtNS9_4plusIvEEtEEDaPvRmT3_T4_T5_mT6_P12ihipStream_tbENKUlT_T0_E_clISt17integral_constantIbLb0EESX_EEDaSS_ST_EUlSS_E_NS1_11comp_targetILNS1_3genE9ELNS1_11target_archE1100ELNS1_3gpuE3ELNS1_3repE0EEENS1_30default_config_static_selectorELNS0_4arch9wavefront6targetE1EEEvT1_,comdat
	.protected	_ZN7rocprim17ROCPRIM_400000_NS6detail17trampoline_kernelINS0_14default_configENS1_20scan_config_selectorItEEZZNS1_9scan_implILNS1_25lookback_scan_determinismE0ELb1ELb1ES3_N6thrust23THRUST_200600_302600_NS6detail15normal_iteratorINS9_10device_ptrItEEEENS9_16discard_iteratorINS9_11use_defaultEEEtNS9_4plusIvEEtEEDaPvRmT3_T4_T5_mT6_P12ihipStream_tbENKUlT_T0_E_clISt17integral_constantIbLb0EESX_EEDaSS_ST_EUlSS_E_NS1_11comp_targetILNS1_3genE9ELNS1_11target_archE1100ELNS1_3gpuE3ELNS1_3repE0EEENS1_30default_config_static_selectorELNS0_4arch9wavefront6targetE1EEEvT1_ ; -- Begin function _ZN7rocprim17ROCPRIM_400000_NS6detail17trampoline_kernelINS0_14default_configENS1_20scan_config_selectorItEEZZNS1_9scan_implILNS1_25lookback_scan_determinismE0ELb1ELb1ES3_N6thrust23THRUST_200600_302600_NS6detail15normal_iteratorINS9_10device_ptrItEEEENS9_16discard_iteratorINS9_11use_defaultEEEtNS9_4plusIvEEtEEDaPvRmT3_T4_T5_mT6_P12ihipStream_tbENKUlT_T0_E_clISt17integral_constantIbLb0EESX_EEDaSS_ST_EUlSS_E_NS1_11comp_targetILNS1_3genE9ELNS1_11target_archE1100ELNS1_3gpuE3ELNS1_3repE0EEENS1_30default_config_static_selectorELNS0_4arch9wavefront6targetE1EEEvT1_
	.globl	_ZN7rocprim17ROCPRIM_400000_NS6detail17trampoline_kernelINS0_14default_configENS1_20scan_config_selectorItEEZZNS1_9scan_implILNS1_25lookback_scan_determinismE0ELb1ELb1ES3_N6thrust23THRUST_200600_302600_NS6detail15normal_iteratorINS9_10device_ptrItEEEENS9_16discard_iteratorINS9_11use_defaultEEEtNS9_4plusIvEEtEEDaPvRmT3_T4_T5_mT6_P12ihipStream_tbENKUlT_T0_E_clISt17integral_constantIbLb0EESX_EEDaSS_ST_EUlSS_E_NS1_11comp_targetILNS1_3genE9ELNS1_11target_archE1100ELNS1_3gpuE3ELNS1_3repE0EEENS1_30default_config_static_selectorELNS0_4arch9wavefront6targetE1EEEvT1_
	.p2align	8
	.type	_ZN7rocprim17ROCPRIM_400000_NS6detail17trampoline_kernelINS0_14default_configENS1_20scan_config_selectorItEEZZNS1_9scan_implILNS1_25lookback_scan_determinismE0ELb1ELb1ES3_N6thrust23THRUST_200600_302600_NS6detail15normal_iteratorINS9_10device_ptrItEEEENS9_16discard_iteratorINS9_11use_defaultEEEtNS9_4plusIvEEtEEDaPvRmT3_T4_T5_mT6_P12ihipStream_tbENKUlT_T0_E_clISt17integral_constantIbLb0EESX_EEDaSS_ST_EUlSS_E_NS1_11comp_targetILNS1_3genE9ELNS1_11target_archE1100ELNS1_3gpuE3ELNS1_3repE0EEENS1_30default_config_static_selectorELNS0_4arch9wavefront6targetE1EEEvT1_,@function
_ZN7rocprim17ROCPRIM_400000_NS6detail17trampoline_kernelINS0_14default_configENS1_20scan_config_selectorItEEZZNS1_9scan_implILNS1_25lookback_scan_determinismE0ELb1ELb1ES3_N6thrust23THRUST_200600_302600_NS6detail15normal_iteratorINS9_10device_ptrItEEEENS9_16discard_iteratorINS9_11use_defaultEEEtNS9_4plusIvEEtEEDaPvRmT3_T4_T5_mT6_P12ihipStream_tbENKUlT_T0_E_clISt17integral_constantIbLb0EESX_EEDaSS_ST_EUlSS_E_NS1_11comp_targetILNS1_3genE9ELNS1_11target_archE1100ELNS1_3gpuE3ELNS1_3repE0EEENS1_30default_config_static_selectorELNS0_4arch9wavefront6targetE1EEEvT1_: ; @_ZN7rocprim17ROCPRIM_400000_NS6detail17trampoline_kernelINS0_14default_configENS1_20scan_config_selectorItEEZZNS1_9scan_implILNS1_25lookback_scan_determinismE0ELb1ELb1ES3_N6thrust23THRUST_200600_302600_NS6detail15normal_iteratorINS9_10device_ptrItEEEENS9_16discard_iteratorINS9_11use_defaultEEEtNS9_4plusIvEEtEEDaPvRmT3_T4_T5_mT6_P12ihipStream_tbENKUlT_T0_E_clISt17integral_constantIbLb0EESX_EEDaSS_ST_EUlSS_E_NS1_11comp_targetILNS1_3genE9ELNS1_11target_archE1100ELNS1_3gpuE3ELNS1_3repE0EEENS1_30default_config_static_selectorELNS0_4arch9wavefront6targetE1EEEvT1_
; %bb.0:
	.section	.rodata,"a",@progbits
	.p2align	6, 0x0
	.amdhsa_kernel _ZN7rocprim17ROCPRIM_400000_NS6detail17trampoline_kernelINS0_14default_configENS1_20scan_config_selectorItEEZZNS1_9scan_implILNS1_25lookback_scan_determinismE0ELb1ELb1ES3_N6thrust23THRUST_200600_302600_NS6detail15normal_iteratorINS9_10device_ptrItEEEENS9_16discard_iteratorINS9_11use_defaultEEEtNS9_4plusIvEEtEEDaPvRmT3_T4_T5_mT6_P12ihipStream_tbENKUlT_T0_E_clISt17integral_constantIbLb0EESX_EEDaSS_ST_EUlSS_E_NS1_11comp_targetILNS1_3genE9ELNS1_11target_archE1100ELNS1_3gpuE3ELNS1_3repE0EEENS1_30default_config_static_selectorELNS0_4arch9wavefront6targetE1EEEvT1_
		.amdhsa_group_segment_fixed_size 0
		.amdhsa_private_segment_fixed_size 0
		.amdhsa_kernarg_size 104
		.amdhsa_user_sgpr_count 6
		.amdhsa_user_sgpr_private_segment_buffer 1
		.amdhsa_user_sgpr_dispatch_ptr 0
		.amdhsa_user_sgpr_queue_ptr 0
		.amdhsa_user_sgpr_kernarg_segment_ptr 1
		.amdhsa_user_sgpr_dispatch_id 0
		.amdhsa_user_sgpr_flat_scratch_init 0
		.amdhsa_user_sgpr_kernarg_preload_length 0
		.amdhsa_user_sgpr_kernarg_preload_offset 0
		.amdhsa_user_sgpr_private_segment_size 0
		.amdhsa_uses_dynamic_stack 0
		.amdhsa_system_sgpr_private_segment_wavefront_offset 0
		.amdhsa_system_sgpr_workgroup_id_x 1
		.amdhsa_system_sgpr_workgroup_id_y 0
		.amdhsa_system_sgpr_workgroup_id_z 0
		.amdhsa_system_sgpr_workgroup_info 0
		.amdhsa_system_vgpr_workitem_id 0
		.amdhsa_next_free_vgpr 1
		.amdhsa_next_free_sgpr 0
		.amdhsa_accum_offset 4
		.amdhsa_reserve_vcc 0
		.amdhsa_reserve_flat_scratch 0
		.amdhsa_float_round_mode_32 0
		.amdhsa_float_round_mode_16_64 0
		.amdhsa_float_denorm_mode_32 3
		.amdhsa_float_denorm_mode_16_64 3
		.amdhsa_dx10_clamp 1
		.amdhsa_ieee_mode 1
		.amdhsa_fp16_overflow 0
		.amdhsa_tg_split 0
		.amdhsa_exception_fp_ieee_invalid_op 0
		.amdhsa_exception_fp_denorm_src 0
		.amdhsa_exception_fp_ieee_div_zero 0
		.amdhsa_exception_fp_ieee_overflow 0
		.amdhsa_exception_fp_ieee_underflow 0
		.amdhsa_exception_fp_ieee_inexact 0
		.amdhsa_exception_int_div_zero 0
	.end_amdhsa_kernel
	.section	.text._ZN7rocprim17ROCPRIM_400000_NS6detail17trampoline_kernelINS0_14default_configENS1_20scan_config_selectorItEEZZNS1_9scan_implILNS1_25lookback_scan_determinismE0ELb1ELb1ES3_N6thrust23THRUST_200600_302600_NS6detail15normal_iteratorINS9_10device_ptrItEEEENS9_16discard_iteratorINS9_11use_defaultEEEtNS9_4plusIvEEtEEDaPvRmT3_T4_T5_mT6_P12ihipStream_tbENKUlT_T0_E_clISt17integral_constantIbLb0EESX_EEDaSS_ST_EUlSS_E_NS1_11comp_targetILNS1_3genE9ELNS1_11target_archE1100ELNS1_3gpuE3ELNS1_3repE0EEENS1_30default_config_static_selectorELNS0_4arch9wavefront6targetE1EEEvT1_,"axG",@progbits,_ZN7rocprim17ROCPRIM_400000_NS6detail17trampoline_kernelINS0_14default_configENS1_20scan_config_selectorItEEZZNS1_9scan_implILNS1_25lookback_scan_determinismE0ELb1ELb1ES3_N6thrust23THRUST_200600_302600_NS6detail15normal_iteratorINS9_10device_ptrItEEEENS9_16discard_iteratorINS9_11use_defaultEEEtNS9_4plusIvEEtEEDaPvRmT3_T4_T5_mT6_P12ihipStream_tbENKUlT_T0_E_clISt17integral_constantIbLb0EESX_EEDaSS_ST_EUlSS_E_NS1_11comp_targetILNS1_3genE9ELNS1_11target_archE1100ELNS1_3gpuE3ELNS1_3repE0EEENS1_30default_config_static_selectorELNS0_4arch9wavefront6targetE1EEEvT1_,comdat
.Lfunc_end5517:
	.size	_ZN7rocprim17ROCPRIM_400000_NS6detail17trampoline_kernelINS0_14default_configENS1_20scan_config_selectorItEEZZNS1_9scan_implILNS1_25lookback_scan_determinismE0ELb1ELb1ES3_N6thrust23THRUST_200600_302600_NS6detail15normal_iteratorINS9_10device_ptrItEEEENS9_16discard_iteratorINS9_11use_defaultEEEtNS9_4plusIvEEtEEDaPvRmT3_T4_T5_mT6_P12ihipStream_tbENKUlT_T0_E_clISt17integral_constantIbLb0EESX_EEDaSS_ST_EUlSS_E_NS1_11comp_targetILNS1_3genE9ELNS1_11target_archE1100ELNS1_3gpuE3ELNS1_3repE0EEENS1_30default_config_static_selectorELNS0_4arch9wavefront6targetE1EEEvT1_, .Lfunc_end5517-_ZN7rocprim17ROCPRIM_400000_NS6detail17trampoline_kernelINS0_14default_configENS1_20scan_config_selectorItEEZZNS1_9scan_implILNS1_25lookback_scan_determinismE0ELb1ELb1ES3_N6thrust23THRUST_200600_302600_NS6detail15normal_iteratorINS9_10device_ptrItEEEENS9_16discard_iteratorINS9_11use_defaultEEEtNS9_4plusIvEEtEEDaPvRmT3_T4_T5_mT6_P12ihipStream_tbENKUlT_T0_E_clISt17integral_constantIbLb0EESX_EEDaSS_ST_EUlSS_E_NS1_11comp_targetILNS1_3genE9ELNS1_11target_archE1100ELNS1_3gpuE3ELNS1_3repE0EEENS1_30default_config_static_selectorELNS0_4arch9wavefront6targetE1EEEvT1_
                                        ; -- End function
	.section	.AMDGPU.csdata,"",@progbits
; Kernel info:
; codeLenInByte = 0
; NumSgprs: 4
; NumVgprs: 0
; NumAgprs: 0
; TotalNumVgprs: 0
; ScratchSize: 0
; MemoryBound: 0
; FloatMode: 240
; IeeeMode: 1
; LDSByteSize: 0 bytes/workgroup (compile time only)
; SGPRBlocks: 0
; VGPRBlocks: 0
; NumSGPRsForWavesPerEU: 4
; NumVGPRsForWavesPerEU: 1
; AccumOffset: 4
; Occupancy: 8
; WaveLimiterHint : 0
; COMPUTE_PGM_RSRC2:SCRATCH_EN: 0
; COMPUTE_PGM_RSRC2:USER_SGPR: 6
; COMPUTE_PGM_RSRC2:TRAP_HANDLER: 0
; COMPUTE_PGM_RSRC2:TGID_X_EN: 1
; COMPUTE_PGM_RSRC2:TGID_Y_EN: 0
; COMPUTE_PGM_RSRC2:TGID_Z_EN: 0
; COMPUTE_PGM_RSRC2:TIDIG_COMP_CNT: 0
; COMPUTE_PGM_RSRC3_GFX90A:ACCUM_OFFSET: 0
; COMPUTE_PGM_RSRC3_GFX90A:TG_SPLIT: 0
	.section	.text._ZN7rocprim17ROCPRIM_400000_NS6detail17trampoline_kernelINS0_14default_configENS1_20scan_config_selectorItEEZZNS1_9scan_implILNS1_25lookback_scan_determinismE0ELb1ELb1ES3_N6thrust23THRUST_200600_302600_NS6detail15normal_iteratorINS9_10device_ptrItEEEENS9_16discard_iteratorINS9_11use_defaultEEEtNS9_4plusIvEEtEEDaPvRmT3_T4_T5_mT6_P12ihipStream_tbENKUlT_T0_E_clISt17integral_constantIbLb0EESX_EEDaSS_ST_EUlSS_E_NS1_11comp_targetILNS1_3genE8ELNS1_11target_archE1030ELNS1_3gpuE2ELNS1_3repE0EEENS1_30default_config_static_selectorELNS0_4arch9wavefront6targetE1EEEvT1_,"axG",@progbits,_ZN7rocprim17ROCPRIM_400000_NS6detail17trampoline_kernelINS0_14default_configENS1_20scan_config_selectorItEEZZNS1_9scan_implILNS1_25lookback_scan_determinismE0ELb1ELb1ES3_N6thrust23THRUST_200600_302600_NS6detail15normal_iteratorINS9_10device_ptrItEEEENS9_16discard_iteratorINS9_11use_defaultEEEtNS9_4plusIvEEtEEDaPvRmT3_T4_T5_mT6_P12ihipStream_tbENKUlT_T0_E_clISt17integral_constantIbLb0EESX_EEDaSS_ST_EUlSS_E_NS1_11comp_targetILNS1_3genE8ELNS1_11target_archE1030ELNS1_3gpuE2ELNS1_3repE0EEENS1_30default_config_static_selectorELNS0_4arch9wavefront6targetE1EEEvT1_,comdat
	.protected	_ZN7rocprim17ROCPRIM_400000_NS6detail17trampoline_kernelINS0_14default_configENS1_20scan_config_selectorItEEZZNS1_9scan_implILNS1_25lookback_scan_determinismE0ELb1ELb1ES3_N6thrust23THRUST_200600_302600_NS6detail15normal_iteratorINS9_10device_ptrItEEEENS9_16discard_iteratorINS9_11use_defaultEEEtNS9_4plusIvEEtEEDaPvRmT3_T4_T5_mT6_P12ihipStream_tbENKUlT_T0_E_clISt17integral_constantIbLb0EESX_EEDaSS_ST_EUlSS_E_NS1_11comp_targetILNS1_3genE8ELNS1_11target_archE1030ELNS1_3gpuE2ELNS1_3repE0EEENS1_30default_config_static_selectorELNS0_4arch9wavefront6targetE1EEEvT1_ ; -- Begin function _ZN7rocprim17ROCPRIM_400000_NS6detail17trampoline_kernelINS0_14default_configENS1_20scan_config_selectorItEEZZNS1_9scan_implILNS1_25lookback_scan_determinismE0ELb1ELb1ES3_N6thrust23THRUST_200600_302600_NS6detail15normal_iteratorINS9_10device_ptrItEEEENS9_16discard_iteratorINS9_11use_defaultEEEtNS9_4plusIvEEtEEDaPvRmT3_T4_T5_mT6_P12ihipStream_tbENKUlT_T0_E_clISt17integral_constantIbLb0EESX_EEDaSS_ST_EUlSS_E_NS1_11comp_targetILNS1_3genE8ELNS1_11target_archE1030ELNS1_3gpuE2ELNS1_3repE0EEENS1_30default_config_static_selectorELNS0_4arch9wavefront6targetE1EEEvT1_
	.globl	_ZN7rocprim17ROCPRIM_400000_NS6detail17trampoline_kernelINS0_14default_configENS1_20scan_config_selectorItEEZZNS1_9scan_implILNS1_25lookback_scan_determinismE0ELb1ELb1ES3_N6thrust23THRUST_200600_302600_NS6detail15normal_iteratorINS9_10device_ptrItEEEENS9_16discard_iteratorINS9_11use_defaultEEEtNS9_4plusIvEEtEEDaPvRmT3_T4_T5_mT6_P12ihipStream_tbENKUlT_T0_E_clISt17integral_constantIbLb0EESX_EEDaSS_ST_EUlSS_E_NS1_11comp_targetILNS1_3genE8ELNS1_11target_archE1030ELNS1_3gpuE2ELNS1_3repE0EEENS1_30default_config_static_selectorELNS0_4arch9wavefront6targetE1EEEvT1_
	.p2align	8
	.type	_ZN7rocprim17ROCPRIM_400000_NS6detail17trampoline_kernelINS0_14default_configENS1_20scan_config_selectorItEEZZNS1_9scan_implILNS1_25lookback_scan_determinismE0ELb1ELb1ES3_N6thrust23THRUST_200600_302600_NS6detail15normal_iteratorINS9_10device_ptrItEEEENS9_16discard_iteratorINS9_11use_defaultEEEtNS9_4plusIvEEtEEDaPvRmT3_T4_T5_mT6_P12ihipStream_tbENKUlT_T0_E_clISt17integral_constantIbLb0EESX_EEDaSS_ST_EUlSS_E_NS1_11comp_targetILNS1_3genE8ELNS1_11target_archE1030ELNS1_3gpuE2ELNS1_3repE0EEENS1_30default_config_static_selectorELNS0_4arch9wavefront6targetE1EEEvT1_,@function
_ZN7rocprim17ROCPRIM_400000_NS6detail17trampoline_kernelINS0_14default_configENS1_20scan_config_selectorItEEZZNS1_9scan_implILNS1_25lookback_scan_determinismE0ELb1ELb1ES3_N6thrust23THRUST_200600_302600_NS6detail15normal_iteratorINS9_10device_ptrItEEEENS9_16discard_iteratorINS9_11use_defaultEEEtNS9_4plusIvEEtEEDaPvRmT3_T4_T5_mT6_P12ihipStream_tbENKUlT_T0_E_clISt17integral_constantIbLb0EESX_EEDaSS_ST_EUlSS_E_NS1_11comp_targetILNS1_3genE8ELNS1_11target_archE1030ELNS1_3gpuE2ELNS1_3repE0EEENS1_30default_config_static_selectorELNS0_4arch9wavefront6targetE1EEEvT1_: ; @_ZN7rocprim17ROCPRIM_400000_NS6detail17trampoline_kernelINS0_14default_configENS1_20scan_config_selectorItEEZZNS1_9scan_implILNS1_25lookback_scan_determinismE0ELb1ELb1ES3_N6thrust23THRUST_200600_302600_NS6detail15normal_iteratorINS9_10device_ptrItEEEENS9_16discard_iteratorINS9_11use_defaultEEEtNS9_4plusIvEEtEEDaPvRmT3_T4_T5_mT6_P12ihipStream_tbENKUlT_T0_E_clISt17integral_constantIbLb0EESX_EEDaSS_ST_EUlSS_E_NS1_11comp_targetILNS1_3genE8ELNS1_11target_archE1030ELNS1_3gpuE2ELNS1_3repE0EEENS1_30default_config_static_selectorELNS0_4arch9wavefront6targetE1EEEvT1_
; %bb.0:
	.section	.rodata,"a",@progbits
	.p2align	6, 0x0
	.amdhsa_kernel _ZN7rocprim17ROCPRIM_400000_NS6detail17trampoline_kernelINS0_14default_configENS1_20scan_config_selectorItEEZZNS1_9scan_implILNS1_25lookback_scan_determinismE0ELb1ELb1ES3_N6thrust23THRUST_200600_302600_NS6detail15normal_iteratorINS9_10device_ptrItEEEENS9_16discard_iteratorINS9_11use_defaultEEEtNS9_4plusIvEEtEEDaPvRmT3_T4_T5_mT6_P12ihipStream_tbENKUlT_T0_E_clISt17integral_constantIbLb0EESX_EEDaSS_ST_EUlSS_E_NS1_11comp_targetILNS1_3genE8ELNS1_11target_archE1030ELNS1_3gpuE2ELNS1_3repE0EEENS1_30default_config_static_selectorELNS0_4arch9wavefront6targetE1EEEvT1_
		.amdhsa_group_segment_fixed_size 0
		.amdhsa_private_segment_fixed_size 0
		.amdhsa_kernarg_size 104
		.amdhsa_user_sgpr_count 6
		.amdhsa_user_sgpr_private_segment_buffer 1
		.amdhsa_user_sgpr_dispatch_ptr 0
		.amdhsa_user_sgpr_queue_ptr 0
		.amdhsa_user_sgpr_kernarg_segment_ptr 1
		.amdhsa_user_sgpr_dispatch_id 0
		.amdhsa_user_sgpr_flat_scratch_init 0
		.amdhsa_user_sgpr_kernarg_preload_length 0
		.amdhsa_user_sgpr_kernarg_preload_offset 0
		.amdhsa_user_sgpr_private_segment_size 0
		.amdhsa_uses_dynamic_stack 0
		.amdhsa_system_sgpr_private_segment_wavefront_offset 0
		.amdhsa_system_sgpr_workgroup_id_x 1
		.amdhsa_system_sgpr_workgroup_id_y 0
		.amdhsa_system_sgpr_workgroup_id_z 0
		.amdhsa_system_sgpr_workgroup_info 0
		.amdhsa_system_vgpr_workitem_id 0
		.amdhsa_next_free_vgpr 1
		.amdhsa_next_free_sgpr 0
		.amdhsa_accum_offset 4
		.amdhsa_reserve_vcc 0
		.amdhsa_reserve_flat_scratch 0
		.amdhsa_float_round_mode_32 0
		.amdhsa_float_round_mode_16_64 0
		.amdhsa_float_denorm_mode_32 3
		.amdhsa_float_denorm_mode_16_64 3
		.amdhsa_dx10_clamp 1
		.amdhsa_ieee_mode 1
		.amdhsa_fp16_overflow 0
		.amdhsa_tg_split 0
		.amdhsa_exception_fp_ieee_invalid_op 0
		.amdhsa_exception_fp_denorm_src 0
		.amdhsa_exception_fp_ieee_div_zero 0
		.amdhsa_exception_fp_ieee_overflow 0
		.amdhsa_exception_fp_ieee_underflow 0
		.amdhsa_exception_fp_ieee_inexact 0
		.amdhsa_exception_int_div_zero 0
	.end_amdhsa_kernel
	.section	.text._ZN7rocprim17ROCPRIM_400000_NS6detail17trampoline_kernelINS0_14default_configENS1_20scan_config_selectorItEEZZNS1_9scan_implILNS1_25lookback_scan_determinismE0ELb1ELb1ES3_N6thrust23THRUST_200600_302600_NS6detail15normal_iteratorINS9_10device_ptrItEEEENS9_16discard_iteratorINS9_11use_defaultEEEtNS9_4plusIvEEtEEDaPvRmT3_T4_T5_mT6_P12ihipStream_tbENKUlT_T0_E_clISt17integral_constantIbLb0EESX_EEDaSS_ST_EUlSS_E_NS1_11comp_targetILNS1_3genE8ELNS1_11target_archE1030ELNS1_3gpuE2ELNS1_3repE0EEENS1_30default_config_static_selectorELNS0_4arch9wavefront6targetE1EEEvT1_,"axG",@progbits,_ZN7rocprim17ROCPRIM_400000_NS6detail17trampoline_kernelINS0_14default_configENS1_20scan_config_selectorItEEZZNS1_9scan_implILNS1_25lookback_scan_determinismE0ELb1ELb1ES3_N6thrust23THRUST_200600_302600_NS6detail15normal_iteratorINS9_10device_ptrItEEEENS9_16discard_iteratorINS9_11use_defaultEEEtNS9_4plusIvEEtEEDaPvRmT3_T4_T5_mT6_P12ihipStream_tbENKUlT_T0_E_clISt17integral_constantIbLb0EESX_EEDaSS_ST_EUlSS_E_NS1_11comp_targetILNS1_3genE8ELNS1_11target_archE1030ELNS1_3gpuE2ELNS1_3repE0EEENS1_30default_config_static_selectorELNS0_4arch9wavefront6targetE1EEEvT1_,comdat
.Lfunc_end5518:
	.size	_ZN7rocprim17ROCPRIM_400000_NS6detail17trampoline_kernelINS0_14default_configENS1_20scan_config_selectorItEEZZNS1_9scan_implILNS1_25lookback_scan_determinismE0ELb1ELb1ES3_N6thrust23THRUST_200600_302600_NS6detail15normal_iteratorINS9_10device_ptrItEEEENS9_16discard_iteratorINS9_11use_defaultEEEtNS9_4plusIvEEtEEDaPvRmT3_T4_T5_mT6_P12ihipStream_tbENKUlT_T0_E_clISt17integral_constantIbLb0EESX_EEDaSS_ST_EUlSS_E_NS1_11comp_targetILNS1_3genE8ELNS1_11target_archE1030ELNS1_3gpuE2ELNS1_3repE0EEENS1_30default_config_static_selectorELNS0_4arch9wavefront6targetE1EEEvT1_, .Lfunc_end5518-_ZN7rocprim17ROCPRIM_400000_NS6detail17trampoline_kernelINS0_14default_configENS1_20scan_config_selectorItEEZZNS1_9scan_implILNS1_25lookback_scan_determinismE0ELb1ELb1ES3_N6thrust23THRUST_200600_302600_NS6detail15normal_iteratorINS9_10device_ptrItEEEENS9_16discard_iteratorINS9_11use_defaultEEEtNS9_4plusIvEEtEEDaPvRmT3_T4_T5_mT6_P12ihipStream_tbENKUlT_T0_E_clISt17integral_constantIbLb0EESX_EEDaSS_ST_EUlSS_E_NS1_11comp_targetILNS1_3genE8ELNS1_11target_archE1030ELNS1_3gpuE2ELNS1_3repE0EEENS1_30default_config_static_selectorELNS0_4arch9wavefront6targetE1EEEvT1_
                                        ; -- End function
	.section	.AMDGPU.csdata,"",@progbits
; Kernel info:
; codeLenInByte = 0
; NumSgprs: 4
; NumVgprs: 0
; NumAgprs: 0
; TotalNumVgprs: 0
; ScratchSize: 0
; MemoryBound: 0
; FloatMode: 240
; IeeeMode: 1
; LDSByteSize: 0 bytes/workgroup (compile time only)
; SGPRBlocks: 0
; VGPRBlocks: 0
; NumSGPRsForWavesPerEU: 4
; NumVGPRsForWavesPerEU: 1
; AccumOffset: 4
; Occupancy: 8
; WaveLimiterHint : 0
; COMPUTE_PGM_RSRC2:SCRATCH_EN: 0
; COMPUTE_PGM_RSRC2:USER_SGPR: 6
; COMPUTE_PGM_RSRC2:TRAP_HANDLER: 0
; COMPUTE_PGM_RSRC2:TGID_X_EN: 1
; COMPUTE_PGM_RSRC2:TGID_Y_EN: 0
; COMPUTE_PGM_RSRC2:TGID_Z_EN: 0
; COMPUTE_PGM_RSRC2:TIDIG_COMP_CNT: 0
; COMPUTE_PGM_RSRC3_GFX90A:ACCUM_OFFSET: 0
; COMPUTE_PGM_RSRC3_GFX90A:TG_SPLIT: 0
	.section	.text._ZN7rocprim17ROCPRIM_400000_NS6detail17trampoline_kernelINS0_14default_configENS1_20scan_config_selectorItEEZZNS1_9scan_implILNS1_25lookback_scan_determinismE0ELb1ELb1ES3_N6thrust23THRUST_200600_302600_NS6detail15normal_iteratorINS9_10device_ptrItEEEENS9_16discard_iteratorINS9_11use_defaultEEEtNS9_4plusIvEEtEEDaPvRmT3_T4_T5_mT6_P12ihipStream_tbENKUlT_T0_E_clISt17integral_constantIbLb0EESX_EEDaSS_ST_EUlSS_E0_NS1_11comp_targetILNS1_3genE0ELNS1_11target_archE4294967295ELNS1_3gpuE0ELNS1_3repE0EEENS1_30default_config_static_selectorELNS0_4arch9wavefront6targetE1EEEvT1_,"axG",@progbits,_ZN7rocprim17ROCPRIM_400000_NS6detail17trampoline_kernelINS0_14default_configENS1_20scan_config_selectorItEEZZNS1_9scan_implILNS1_25lookback_scan_determinismE0ELb1ELb1ES3_N6thrust23THRUST_200600_302600_NS6detail15normal_iteratorINS9_10device_ptrItEEEENS9_16discard_iteratorINS9_11use_defaultEEEtNS9_4plusIvEEtEEDaPvRmT3_T4_T5_mT6_P12ihipStream_tbENKUlT_T0_E_clISt17integral_constantIbLb0EESX_EEDaSS_ST_EUlSS_E0_NS1_11comp_targetILNS1_3genE0ELNS1_11target_archE4294967295ELNS1_3gpuE0ELNS1_3repE0EEENS1_30default_config_static_selectorELNS0_4arch9wavefront6targetE1EEEvT1_,comdat
	.protected	_ZN7rocprim17ROCPRIM_400000_NS6detail17trampoline_kernelINS0_14default_configENS1_20scan_config_selectorItEEZZNS1_9scan_implILNS1_25lookback_scan_determinismE0ELb1ELb1ES3_N6thrust23THRUST_200600_302600_NS6detail15normal_iteratorINS9_10device_ptrItEEEENS9_16discard_iteratorINS9_11use_defaultEEEtNS9_4plusIvEEtEEDaPvRmT3_T4_T5_mT6_P12ihipStream_tbENKUlT_T0_E_clISt17integral_constantIbLb0EESX_EEDaSS_ST_EUlSS_E0_NS1_11comp_targetILNS1_3genE0ELNS1_11target_archE4294967295ELNS1_3gpuE0ELNS1_3repE0EEENS1_30default_config_static_selectorELNS0_4arch9wavefront6targetE1EEEvT1_ ; -- Begin function _ZN7rocprim17ROCPRIM_400000_NS6detail17trampoline_kernelINS0_14default_configENS1_20scan_config_selectorItEEZZNS1_9scan_implILNS1_25lookback_scan_determinismE0ELb1ELb1ES3_N6thrust23THRUST_200600_302600_NS6detail15normal_iteratorINS9_10device_ptrItEEEENS9_16discard_iteratorINS9_11use_defaultEEEtNS9_4plusIvEEtEEDaPvRmT3_T4_T5_mT6_P12ihipStream_tbENKUlT_T0_E_clISt17integral_constantIbLb0EESX_EEDaSS_ST_EUlSS_E0_NS1_11comp_targetILNS1_3genE0ELNS1_11target_archE4294967295ELNS1_3gpuE0ELNS1_3repE0EEENS1_30default_config_static_selectorELNS0_4arch9wavefront6targetE1EEEvT1_
	.globl	_ZN7rocprim17ROCPRIM_400000_NS6detail17trampoline_kernelINS0_14default_configENS1_20scan_config_selectorItEEZZNS1_9scan_implILNS1_25lookback_scan_determinismE0ELb1ELb1ES3_N6thrust23THRUST_200600_302600_NS6detail15normal_iteratorINS9_10device_ptrItEEEENS9_16discard_iteratorINS9_11use_defaultEEEtNS9_4plusIvEEtEEDaPvRmT3_T4_T5_mT6_P12ihipStream_tbENKUlT_T0_E_clISt17integral_constantIbLb0EESX_EEDaSS_ST_EUlSS_E0_NS1_11comp_targetILNS1_3genE0ELNS1_11target_archE4294967295ELNS1_3gpuE0ELNS1_3repE0EEENS1_30default_config_static_selectorELNS0_4arch9wavefront6targetE1EEEvT1_
	.p2align	8
	.type	_ZN7rocprim17ROCPRIM_400000_NS6detail17trampoline_kernelINS0_14default_configENS1_20scan_config_selectorItEEZZNS1_9scan_implILNS1_25lookback_scan_determinismE0ELb1ELb1ES3_N6thrust23THRUST_200600_302600_NS6detail15normal_iteratorINS9_10device_ptrItEEEENS9_16discard_iteratorINS9_11use_defaultEEEtNS9_4plusIvEEtEEDaPvRmT3_T4_T5_mT6_P12ihipStream_tbENKUlT_T0_E_clISt17integral_constantIbLb0EESX_EEDaSS_ST_EUlSS_E0_NS1_11comp_targetILNS1_3genE0ELNS1_11target_archE4294967295ELNS1_3gpuE0ELNS1_3repE0EEENS1_30default_config_static_selectorELNS0_4arch9wavefront6targetE1EEEvT1_,@function
_ZN7rocprim17ROCPRIM_400000_NS6detail17trampoline_kernelINS0_14default_configENS1_20scan_config_selectorItEEZZNS1_9scan_implILNS1_25lookback_scan_determinismE0ELb1ELb1ES3_N6thrust23THRUST_200600_302600_NS6detail15normal_iteratorINS9_10device_ptrItEEEENS9_16discard_iteratorINS9_11use_defaultEEEtNS9_4plusIvEEtEEDaPvRmT3_T4_T5_mT6_P12ihipStream_tbENKUlT_T0_E_clISt17integral_constantIbLb0EESX_EEDaSS_ST_EUlSS_E0_NS1_11comp_targetILNS1_3genE0ELNS1_11target_archE4294967295ELNS1_3gpuE0ELNS1_3repE0EEENS1_30default_config_static_selectorELNS0_4arch9wavefront6targetE1EEEvT1_: ; @_ZN7rocprim17ROCPRIM_400000_NS6detail17trampoline_kernelINS0_14default_configENS1_20scan_config_selectorItEEZZNS1_9scan_implILNS1_25lookback_scan_determinismE0ELb1ELb1ES3_N6thrust23THRUST_200600_302600_NS6detail15normal_iteratorINS9_10device_ptrItEEEENS9_16discard_iteratorINS9_11use_defaultEEEtNS9_4plusIvEEtEEDaPvRmT3_T4_T5_mT6_P12ihipStream_tbENKUlT_T0_E_clISt17integral_constantIbLb0EESX_EEDaSS_ST_EUlSS_E0_NS1_11comp_targetILNS1_3genE0ELNS1_11target_archE4294967295ELNS1_3gpuE0ELNS1_3repE0EEENS1_30default_config_static_selectorELNS0_4arch9wavefront6targetE1EEEvT1_
; %bb.0:
	.section	.rodata,"a",@progbits
	.p2align	6, 0x0
	.amdhsa_kernel _ZN7rocprim17ROCPRIM_400000_NS6detail17trampoline_kernelINS0_14default_configENS1_20scan_config_selectorItEEZZNS1_9scan_implILNS1_25lookback_scan_determinismE0ELb1ELb1ES3_N6thrust23THRUST_200600_302600_NS6detail15normal_iteratorINS9_10device_ptrItEEEENS9_16discard_iteratorINS9_11use_defaultEEEtNS9_4plusIvEEtEEDaPvRmT3_T4_T5_mT6_P12ihipStream_tbENKUlT_T0_E_clISt17integral_constantIbLb0EESX_EEDaSS_ST_EUlSS_E0_NS1_11comp_targetILNS1_3genE0ELNS1_11target_archE4294967295ELNS1_3gpuE0ELNS1_3repE0EEENS1_30default_config_static_selectorELNS0_4arch9wavefront6targetE1EEEvT1_
		.amdhsa_group_segment_fixed_size 0
		.amdhsa_private_segment_fixed_size 0
		.amdhsa_kernarg_size 40
		.amdhsa_user_sgpr_count 6
		.amdhsa_user_sgpr_private_segment_buffer 1
		.amdhsa_user_sgpr_dispatch_ptr 0
		.amdhsa_user_sgpr_queue_ptr 0
		.amdhsa_user_sgpr_kernarg_segment_ptr 1
		.amdhsa_user_sgpr_dispatch_id 0
		.amdhsa_user_sgpr_flat_scratch_init 0
		.amdhsa_user_sgpr_kernarg_preload_length 0
		.amdhsa_user_sgpr_kernarg_preload_offset 0
		.amdhsa_user_sgpr_private_segment_size 0
		.amdhsa_uses_dynamic_stack 0
		.amdhsa_system_sgpr_private_segment_wavefront_offset 0
		.amdhsa_system_sgpr_workgroup_id_x 1
		.amdhsa_system_sgpr_workgroup_id_y 0
		.amdhsa_system_sgpr_workgroup_id_z 0
		.amdhsa_system_sgpr_workgroup_info 0
		.amdhsa_system_vgpr_workitem_id 0
		.amdhsa_next_free_vgpr 1
		.amdhsa_next_free_sgpr 0
		.amdhsa_accum_offset 4
		.amdhsa_reserve_vcc 0
		.amdhsa_reserve_flat_scratch 0
		.amdhsa_float_round_mode_32 0
		.amdhsa_float_round_mode_16_64 0
		.amdhsa_float_denorm_mode_32 3
		.amdhsa_float_denorm_mode_16_64 3
		.amdhsa_dx10_clamp 1
		.amdhsa_ieee_mode 1
		.amdhsa_fp16_overflow 0
		.amdhsa_tg_split 0
		.amdhsa_exception_fp_ieee_invalid_op 0
		.amdhsa_exception_fp_denorm_src 0
		.amdhsa_exception_fp_ieee_div_zero 0
		.amdhsa_exception_fp_ieee_overflow 0
		.amdhsa_exception_fp_ieee_underflow 0
		.amdhsa_exception_fp_ieee_inexact 0
		.amdhsa_exception_int_div_zero 0
	.end_amdhsa_kernel
	.section	.text._ZN7rocprim17ROCPRIM_400000_NS6detail17trampoline_kernelINS0_14default_configENS1_20scan_config_selectorItEEZZNS1_9scan_implILNS1_25lookback_scan_determinismE0ELb1ELb1ES3_N6thrust23THRUST_200600_302600_NS6detail15normal_iteratorINS9_10device_ptrItEEEENS9_16discard_iteratorINS9_11use_defaultEEEtNS9_4plusIvEEtEEDaPvRmT3_T4_T5_mT6_P12ihipStream_tbENKUlT_T0_E_clISt17integral_constantIbLb0EESX_EEDaSS_ST_EUlSS_E0_NS1_11comp_targetILNS1_3genE0ELNS1_11target_archE4294967295ELNS1_3gpuE0ELNS1_3repE0EEENS1_30default_config_static_selectorELNS0_4arch9wavefront6targetE1EEEvT1_,"axG",@progbits,_ZN7rocprim17ROCPRIM_400000_NS6detail17trampoline_kernelINS0_14default_configENS1_20scan_config_selectorItEEZZNS1_9scan_implILNS1_25lookback_scan_determinismE0ELb1ELb1ES3_N6thrust23THRUST_200600_302600_NS6detail15normal_iteratorINS9_10device_ptrItEEEENS9_16discard_iteratorINS9_11use_defaultEEEtNS9_4plusIvEEtEEDaPvRmT3_T4_T5_mT6_P12ihipStream_tbENKUlT_T0_E_clISt17integral_constantIbLb0EESX_EEDaSS_ST_EUlSS_E0_NS1_11comp_targetILNS1_3genE0ELNS1_11target_archE4294967295ELNS1_3gpuE0ELNS1_3repE0EEENS1_30default_config_static_selectorELNS0_4arch9wavefront6targetE1EEEvT1_,comdat
.Lfunc_end5519:
	.size	_ZN7rocprim17ROCPRIM_400000_NS6detail17trampoline_kernelINS0_14default_configENS1_20scan_config_selectorItEEZZNS1_9scan_implILNS1_25lookback_scan_determinismE0ELb1ELb1ES3_N6thrust23THRUST_200600_302600_NS6detail15normal_iteratorINS9_10device_ptrItEEEENS9_16discard_iteratorINS9_11use_defaultEEEtNS9_4plusIvEEtEEDaPvRmT3_T4_T5_mT6_P12ihipStream_tbENKUlT_T0_E_clISt17integral_constantIbLb0EESX_EEDaSS_ST_EUlSS_E0_NS1_11comp_targetILNS1_3genE0ELNS1_11target_archE4294967295ELNS1_3gpuE0ELNS1_3repE0EEENS1_30default_config_static_selectorELNS0_4arch9wavefront6targetE1EEEvT1_, .Lfunc_end5519-_ZN7rocprim17ROCPRIM_400000_NS6detail17trampoline_kernelINS0_14default_configENS1_20scan_config_selectorItEEZZNS1_9scan_implILNS1_25lookback_scan_determinismE0ELb1ELb1ES3_N6thrust23THRUST_200600_302600_NS6detail15normal_iteratorINS9_10device_ptrItEEEENS9_16discard_iteratorINS9_11use_defaultEEEtNS9_4plusIvEEtEEDaPvRmT3_T4_T5_mT6_P12ihipStream_tbENKUlT_T0_E_clISt17integral_constantIbLb0EESX_EEDaSS_ST_EUlSS_E0_NS1_11comp_targetILNS1_3genE0ELNS1_11target_archE4294967295ELNS1_3gpuE0ELNS1_3repE0EEENS1_30default_config_static_selectorELNS0_4arch9wavefront6targetE1EEEvT1_
                                        ; -- End function
	.section	.AMDGPU.csdata,"",@progbits
; Kernel info:
; codeLenInByte = 0
; NumSgprs: 4
; NumVgprs: 0
; NumAgprs: 0
; TotalNumVgprs: 0
; ScratchSize: 0
; MemoryBound: 0
; FloatMode: 240
; IeeeMode: 1
; LDSByteSize: 0 bytes/workgroup (compile time only)
; SGPRBlocks: 0
; VGPRBlocks: 0
; NumSGPRsForWavesPerEU: 4
; NumVGPRsForWavesPerEU: 1
; AccumOffset: 4
; Occupancy: 8
; WaveLimiterHint : 0
; COMPUTE_PGM_RSRC2:SCRATCH_EN: 0
; COMPUTE_PGM_RSRC2:USER_SGPR: 6
; COMPUTE_PGM_RSRC2:TRAP_HANDLER: 0
; COMPUTE_PGM_RSRC2:TGID_X_EN: 1
; COMPUTE_PGM_RSRC2:TGID_Y_EN: 0
; COMPUTE_PGM_RSRC2:TGID_Z_EN: 0
; COMPUTE_PGM_RSRC2:TIDIG_COMP_CNT: 0
; COMPUTE_PGM_RSRC3_GFX90A:ACCUM_OFFSET: 0
; COMPUTE_PGM_RSRC3_GFX90A:TG_SPLIT: 0
	.section	.text._ZN7rocprim17ROCPRIM_400000_NS6detail17trampoline_kernelINS0_14default_configENS1_20scan_config_selectorItEEZZNS1_9scan_implILNS1_25lookback_scan_determinismE0ELb1ELb1ES3_N6thrust23THRUST_200600_302600_NS6detail15normal_iteratorINS9_10device_ptrItEEEENS9_16discard_iteratorINS9_11use_defaultEEEtNS9_4plusIvEEtEEDaPvRmT3_T4_T5_mT6_P12ihipStream_tbENKUlT_T0_E_clISt17integral_constantIbLb0EESX_EEDaSS_ST_EUlSS_E0_NS1_11comp_targetILNS1_3genE5ELNS1_11target_archE942ELNS1_3gpuE9ELNS1_3repE0EEENS1_30default_config_static_selectorELNS0_4arch9wavefront6targetE1EEEvT1_,"axG",@progbits,_ZN7rocprim17ROCPRIM_400000_NS6detail17trampoline_kernelINS0_14default_configENS1_20scan_config_selectorItEEZZNS1_9scan_implILNS1_25lookback_scan_determinismE0ELb1ELb1ES3_N6thrust23THRUST_200600_302600_NS6detail15normal_iteratorINS9_10device_ptrItEEEENS9_16discard_iteratorINS9_11use_defaultEEEtNS9_4plusIvEEtEEDaPvRmT3_T4_T5_mT6_P12ihipStream_tbENKUlT_T0_E_clISt17integral_constantIbLb0EESX_EEDaSS_ST_EUlSS_E0_NS1_11comp_targetILNS1_3genE5ELNS1_11target_archE942ELNS1_3gpuE9ELNS1_3repE0EEENS1_30default_config_static_selectorELNS0_4arch9wavefront6targetE1EEEvT1_,comdat
	.protected	_ZN7rocprim17ROCPRIM_400000_NS6detail17trampoline_kernelINS0_14default_configENS1_20scan_config_selectorItEEZZNS1_9scan_implILNS1_25lookback_scan_determinismE0ELb1ELb1ES3_N6thrust23THRUST_200600_302600_NS6detail15normal_iteratorINS9_10device_ptrItEEEENS9_16discard_iteratorINS9_11use_defaultEEEtNS9_4plusIvEEtEEDaPvRmT3_T4_T5_mT6_P12ihipStream_tbENKUlT_T0_E_clISt17integral_constantIbLb0EESX_EEDaSS_ST_EUlSS_E0_NS1_11comp_targetILNS1_3genE5ELNS1_11target_archE942ELNS1_3gpuE9ELNS1_3repE0EEENS1_30default_config_static_selectorELNS0_4arch9wavefront6targetE1EEEvT1_ ; -- Begin function _ZN7rocprim17ROCPRIM_400000_NS6detail17trampoline_kernelINS0_14default_configENS1_20scan_config_selectorItEEZZNS1_9scan_implILNS1_25lookback_scan_determinismE0ELb1ELb1ES3_N6thrust23THRUST_200600_302600_NS6detail15normal_iteratorINS9_10device_ptrItEEEENS9_16discard_iteratorINS9_11use_defaultEEEtNS9_4plusIvEEtEEDaPvRmT3_T4_T5_mT6_P12ihipStream_tbENKUlT_T0_E_clISt17integral_constantIbLb0EESX_EEDaSS_ST_EUlSS_E0_NS1_11comp_targetILNS1_3genE5ELNS1_11target_archE942ELNS1_3gpuE9ELNS1_3repE0EEENS1_30default_config_static_selectorELNS0_4arch9wavefront6targetE1EEEvT1_
	.globl	_ZN7rocprim17ROCPRIM_400000_NS6detail17trampoline_kernelINS0_14default_configENS1_20scan_config_selectorItEEZZNS1_9scan_implILNS1_25lookback_scan_determinismE0ELb1ELb1ES3_N6thrust23THRUST_200600_302600_NS6detail15normal_iteratorINS9_10device_ptrItEEEENS9_16discard_iteratorINS9_11use_defaultEEEtNS9_4plusIvEEtEEDaPvRmT3_T4_T5_mT6_P12ihipStream_tbENKUlT_T0_E_clISt17integral_constantIbLb0EESX_EEDaSS_ST_EUlSS_E0_NS1_11comp_targetILNS1_3genE5ELNS1_11target_archE942ELNS1_3gpuE9ELNS1_3repE0EEENS1_30default_config_static_selectorELNS0_4arch9wavefront6targetE1EEEvT1_
	.p2align	8
	.type	_ZN7rocprim17ROCPRIM_400000_NS6detail17trampoline_kernelINS0_14default_configENS1_20scan_config_selectorItEEZZNS1_9scan_implILNS1_25lookback_scan_determinismE0ELb1ELb1ES3_N6thrust23THRUST_200600_302600_NS6detail15normal_iteratorINS9_10device_ptrItEEEENS9_16discard_iteratorINS9_11use_defaultEEEtNS9_4plusIvEEtEEDaPvRmT3_T4_T5_mT6_P12ihipStream_tbENKUlT_T0_E_clISt17integral_constantIbLb0EESX_EEDaSS_ST_EUlSS_E0_NS1_11comp_targetILNS1_3genE5ELNS1_11target_archE942ELNS1_3gpuE9ELNS1_3repE0EEENS1_30default_config_static_selectorELNS0_4arch9wavefront6targetE1EEEvT1_,@function
_ZN7rocprim17ROCPRIM_400000_NS6detail17trampoline_kernelINS0_14default_configENS1_20scan_config_selectorItEEZZNS1_9scan_implILNS1_25lookback_scan_determinismE0ELb1ELb1ES3_N6thrust23THRUST_200600_302600_NS6detail15normal_iteratorINS9_10device_ptrItEEEENS9_16discard_iteratorINS9_11use_defaultEEEtNS9_4plusIvEEtEEDaPvRmT3_T4_T5_mT6_P12ihipStream_tbENKUlT_T0_E_clISt17integral_constantIbLb0EESX_EEDaSS_ST_EUlSS_E0_NS1_11comp_targetILNS1_3genE5ELNS1_11target_archE942ELNS1_3gpuE9ELNS1_3repE0EEENS1_30default_config_static_selectorELNS0_4arch9wavefront6targetE1EEEvT1_: ; @_ZN7rocprim17ROCPRIM_400000_NS6detail17trampoline_kernelINS0_14default_configENS1_20scan_config_selectorItEEZZNS1_9scan_implILNS1_25lookback_scan_determinismE0ELb1ELb1ES3_N6thrust23THRUST_200600_302600_NS6detail15normal_iteratorINS9_10device_ptrItEEEENS9_16discard_iteratorINS9_11use_defaultEEEtNS9_4plusIvEEtEEDaPvRmT3_T4_T5_mT6_P12ihipStream_tbENKUlT_T0_E_clISt17integral_constantIbLb0EESX_EEDaSS_ST_EUlSS_E0_NS1_11comp_targetILNS1_3genE5ELNS1_11target_archE942ELNS1_3gpuE9ELNS1_3repE0EEENS1_30default_config_static_selectorELNS0_4arch9wavefront6targetE1EEEvT1_
; %bb.0:
	.section	.rodata,"a",@progbits
	.p2align	6, 0x0
	.amdhsa_kernel _ZN7rocprim17ROCPRIM_400000_NS6detail17trampoline_kernelINS0_14default_configENS1_20scan_config_selectorItEEZZNS1_9scan_implILNS1_25lookback_scan_determinismE0ELb1ELb1ES3_N6thrust23THRUST_200600_302600_NS6detail15normal_iteratorINS9_10device_ptrItEEEENS9_16discard_iteratorINS9_11use_defaultEEEtNS9_4plusIvEEtEEDaPvRmT3_T4_T5_mT6_P12ihipStream_tbENKUlT_T0_E_clISt17integral_constantIbLb0EESX_EEDaSS_ST_EUlSS_E0_NS1_11comp_targetILNS1_3genE5ELNS1_11target_archE942ELNS1_3gpuE9ELNS1_3repE0EEENS1_30default_config_static_selectorELNS0_4arch9wavefront6targetE1EEEvT1_
		.amdhsa_group_segment_fixed_size 0
		.amdhsa_private_segment_fixed_size 0
		.amdhsa_kernarg_size 40
		.amdhsa_user_sgpr_count 6
		.amdhsa_user_sgpr_private_segment_buffer 1
		.amdhsa_user_sgpr_dispatch_ptr 0
		.amdhsa_user_sgpr_queue_ptr 0
		.amdhsa_user_sgpr_kernarg_segment_ptr 1
		.amdhsa_user_sgpr_dispatch_id 0
		.amdhsa_user_sgpr_flat_scratch_init 0
		.amdhsa_user_sgpr_kernarg_preload_length 0
		.amdhsa_user_sgpr_kernarg_preload_offset 0
		.amdhsa_user_sgpr_private_segment_size 0
		.amdhsa_uses_dynamic_stack 0
		.amdhsa_system_sgpr_private_segment_wavefront_offset 0
		.amdhsa_system_sgpr_workgroup_id_x 1
		.amdhsa_system_sgpr_workgroup_id_y 0
		.amdhsa_system_sgpr_workgroup_id_z 0
		.amdhsa_system_sgpr_workgroup_info 0
		.amdhsa_system_vgpr_workitem_id 0
		.amdhsa_next_free_vgpr 1
		.amdhsa_next_free_sgpr 0
		.amdhsa_accum_offset 4
		.amdhsa_reserve_vcc 0
		.amdhsa_reserve_flat_scratch 0
		.amdhsa_float_round_mode_32 0
		.amdhsa_float_round_mode_16_64 0
		.amdhsa_float_denorm_mode_32 3
		.amdhsa_float_denorm_mode_16_64 3
		.amdhsa_dx10_clamp 1
		.amdhsa_ieee_mode 1
		.amdhsa_fp16_overflow 0
		.amdhsa_tg_split 0
		.amdhsa_exception_fp_ieee_invalid_op 0
		.amdhsa_exception_fp_denorm_src 0
		.amdhsa_exception_fp_ieee_div_zero 0
		.amdhsa_exception_fp_ieee_overflow 0
		.amdhsa_exception_fp_ieee_underflow 0
		.amdhsa_exception_fp_ieee_inexact 0
		.amdhsa_exception_int_div_zero 0
	.end_amdhsa_kernel
	.section	.text._ZN7rocprim17ROCPRIM_400000_NS6detail17trampoline_kernelINS0_14default_configENS1_20scan_config_selectorItEEZZNS1_9scan_implILNS1_25lookback_scan_determinismE0ELb1ELb1ES3_N6thrust23THRUST_200600_302600_NS6detail15normal_iteratorINS9_10device_ptrItEEEENS9_16discard_iteratorINS9_11use_defaultEEEtNS9_4plusIvEEtEEDaPvRmT3_T4_T5_mT6_P12ihipStream_tbENKUlT_T0_E_clISt17integral_constantIbLb0EESX_EEDaSS_ST_EUlSS_E0_NS1_11comp_targetILNS1_3genE5ELNS1_11target_archE942ELNS1_3gpuE9ELNS1_3repE0EEENS1_30default_config_static_selectorELNS0_4arch9wavefront6targetE1EEEvT1_,"axG",@progbits,_ZN7rocprim17ROCPRIM_400000_NS6detail17trampoline_kernelINS0_14default_configENS1_20scan_config_selectorItEEZZNS1_9scan_implILNS1_25lookback_scan_determinismE0ELb1ELb1ES3_N6thrust23THRUST_200600_302600_NS6detail15normal_iteratorINS9_10device_ptrItEEEENS9_16discard_iteratorINS9_11use_defaultEEEtNS9_4plusIvEEtEEDaPvRmT3_T4_T5_mT6_P12ihipStream_tbENKUlT_T0_E_clISt17integral_constantIbLb0EESX_EEDaSS_ST_EUlSS_E0_NS1_11comp_targetILNS1_3genE5ELNS1_11target_archE942ELNS1_3gpuE9ELNS1_3repE0EEENS1_30default_config_static_selectorELNS0_4arch9wavefront6targetE1EEEvT1_,comdat
.Lfunc_end5520:
	.size	_ZN7rocprim17ROCPRIM_400000_NS6detail17trampoline_kernelINS0_14default_configENS1_20scan_config_selectorItEEZZNS1_9scan_implILNS1_25lookback_scan_determinismE0ELb1ELb1ES3_N6thrust23THRUST_200600_302600_NS6detail15normal_iteratorINS9_10device_ptrItEEEENS9_16discard_iteratorINS9_11use_defaultEEEtNS9_4plusIvEEtEEDaPvRmT3_T4_T5_mT6_P12ihipStream_tbENKUlT_T0_E_clISt17integral_constantIbLb0EESX_EEDaSS_ST_EUlSS_E0_NS1_11comp_targetILNS1_3genE5ELNS1_11target_archE942ELNS1_3gpuE9ELNS1_3repE0EEENS1_30default_config_static_selectorELNS0_4arch9wavefront6targetE1EEEvT1_, .Lfunc_end5520-_ZN7rocprim17ROCPRIM_400000_NS6detail17trampoline_kernelINS0_14default_configENS1_20scan_config_selectorItEEZZNS1_9scan_implILNS1_25lookback_scan_determinismE0ELb1ELb1ES3_N6thrust23THRUST_200600_302600_NS6detail15normal_iteratorINS9_10device_ptrItEEEENS9_16discard_iteratorINS9_11use_defaultEEEtNS9_4plusIvEEtEEDaPvRmT3_T4_T5_mT6_P12ihipStream_tbENKUlT_T0_E_clISt17integral_constantIbLb0EESX_EEDaSS_ST_EUlSS_E0_NS1_11comp_targetILNS1_3genE5ELNS1_11target_archE942ELNS1_3gpuE9ELNS1_3repE0EEENS1_30default_config_static_selectorELNS0_4arch9wavefront6targetE1EEEvT1_
                                        ; -- End function
	.section	.AMDGPU.csdata,"",@progbits
; Kernel info:
; codeLenInByte = 0
; NumSgprs: 4
; NumVgprs: 0
; NumAgprs: 0
; TotalNumVgprs: 0
; ScratchSize: 0
; MemoryBound: 0
; FloatMode: 240
; IeeeMode: 1
; LDSByteSize: 0 bytes/workgroup (compile time only)
; SGPRBlocks: 0
; VGPRBlocks: 0
; NumSGPRsForWavesPerEU: 4
; NumVGPRsForWavesPerEU: 1
; AccumOffset: 4
; Occupancy: 8
; WaveLimiterHint : 0
; COMPUTE_PGM_RSRC2:SCRATCH_EN: 0
; COMPUTE_PGM_RSRC2:USER_SGPR: 6
; COMPUTE_PGM_RSRC2:TRAP_HANDLER: 0
; COMPUTE_PGM_RSRC2:TGID_X_EN: 1
; COMPUTE_PGM_RSRC2:TGID_Y_EN: 0
; COMPUTE_PGM_RSRC2:TGID_Z_EN: 0
; COMPUTE_PGM_RSRC2:TIDIG_COMP_CNT: 0
; COMPUTE_PGM_RSRC3_GFX90A:ACCUM_OFFSET: 0
; COMPUTE_PGM_RSRC3_GFX90A:TG_SPLIT: 0
	.section	.text._ZN7rocprim17ROCPRIM_400000_NS6detail17trampoline_kernelINS0_14default_configENS1_20scan_config_selectorItEEZZNS1_9scan_implILNS1_25lookback_scan_determinismE0ELb1ELb1ES3_N6thrust23THRUST_200600_302600_NS6detail15normal_iteratorINS9_10device_ptrItEEEENS9_16discard_iteratorINS9_11use_defaultEEEtNS9_4plusIvEEtEEDaPvRmT3_T4_T5_mT6_P12ihipStream_tbENKUlT_T0_E_clISt17integral_constantIbLb0EESX_EEDaSS_ST_EUlSS_E0_NS1_11comp_targetILNS1_3genE4ELNS1_11target_archE910ELNS1_3gpuE8ELNS1_3repE0EEENS1_30default_config_static_selectorELNS0_4arch9wavefront6targetE1EEEvT1_,"axG",@progbits,_ZN7rocprim17ROCPRIM_400000_NS6detail17trampoline_kernelINS0_14default_configENS1_20scan_config_selectorItEEZZNS1_9scan_implILNS1_25lookback_scan_determinismE0ELb1ELb1ES3_N6thrust23THRUST_200600_302600_NS6detail15normal_iteratorINS9_10device_ptrItEEEENS9_16discard_iteratorINS9_11use_defaultEEEtNS9_4plusIvEEtEEDaPvRmT3_T4_T5_mT6_P12ihipStream_tbENKUlT_T0_E_clISt17integral_constantIbLb0EESX_EEDaSS_ST_EUlSS_E0_NS1_11comp_targetILNS1_3genE4ELNS1_11target_archE910ELNS1_3gpuE8ELNS1_3repE0EEENS1_30default_config_static_selectorELNS0_4arch9wavefront6targetE1EEEvT1_,comdat
	.protected	_ZN7rocprim17ROCPRIM_400000_NS6detail17trampoline_kernelINS0_14default_configENS1_20scan_config_selectorItEEZZNS1_9scan_implILNS1_25lookback_scan_determinismE0ELb1ELb1ES3_N6thrust23THRUST_200600_302600_NS6detail15normal_iteratorINS9_10device_ptrItEEEENS9_16discard_iteratorINS9_11use_defaultEEEtNS9_4plusIvEEtEEDaPvRmT3_T4_T5_mT6_P12ihipStream_tbENKUlT_T0_E_clISt17integral_constantIbLb0EESX_EEDaSS_ST_EUlSS_E0_NS1_11comp_targetILNS1_3genE4ELNS1_11target_archE910ELNS1_3gpuE8ELNS1_3repE0EEENS1_30default_config_static_selectorELNS0_4arch9wavefront6targetE1EEEvT1_ ; -- Begin function _ZN7rocprim17ROCPRIM_400000_NS6detail17trampoline_kernelINS0_14default_configENS1_20scan_config_selectorItEEZZNS1_9scan_implILNS1_25lookback_scan_determinismE0ELb1ELb1ES3_N6thrust23THRUST_200600_302600_NS6detail15normal_iteratorINS9_10device_ptrItEEEENS9_16discard_iteratorINS9_11use_defaultEEEtNS9_4plusIvEEtEEDaPvRmT3_T4_T5_mT6_P12ihipStream_tbENKUlT_T0_E_clISt17integral_constantIbLb0EESX_EEDaSS_ST_EUlSS_E0_NS1_11comp_targetILNS1_3genE4ELNS1_11target_archE910ELNS1_3gpuE8ELNS1_3repE0EEENS1_30default_config_static_selectorELNS0_4arch9wavefront6targetE1EEEvT1_
	.globl	_ZN7rocprim17ROCPRIM_400000_NS6detail17trampoline_kernelINS0_14default_configENS1_20scan_config_selectorItEEZZNS1_9scan_implILNS1_25lookback_scan_determinismE0ELb1ELb1ES3_N6thrust23THRUST_200600_302600_NS6detail15normal_iteratorINS9_10device_ptrItEEEENS9_16discard_iteratorINS9_11use_defaultEEEtNS9_4plusIvEEtEEDaPvRmT3_T4_T5_mT6_P12ihipStream_tbENKUlT_T0_E_clISt17integral_constantIbLb0EESX_EEDaSS_ST_EUlSS_E0_NS1_11comp_targetILNS1_3genE4ELNS1_11target_archE910ELNS1_3gpuE8ELNS1_3repE0EEENS1_30default_config_static_selectorELNS0_4arch9wavefront6targetE1EEEvT1_
	.p2align	8
	.type	_ZN7rocprim17ROCPRIM_400000_NS6detail17trampoline_kernelINS0_14default_configENS1_20scan_config_selectorItEEZZNS1_9scan_implILNS1_25lookback_scan_determinismE0ELb1ELb1ES3_N6thrust23THRUST_200600_302600_NS6detail15normal_iteratorINS9_10device_ptrItEEEENS9_16discard_iteratorINS9_11use_defaultEEEtNS9_4plusIvEEtEEDaPvRmT3_T4_T5_mT6_P12ihipStream_tbENKUlT_T0_E_clISt17integral_constantIbLb0EESX_EEDaSS_ST_EUlSS_E0_NS1_11comp_targetILNS1_3genE4ELNS1_11target_archE910ELNS1_3gpuE8ELNS1_3repE0EEENS1_30default_config_static_selectorELNS0_4arch9wavefront6targetE1EEEvT1_,@function
_ZN7rocprim17ROCPRIM_400000_NS6detail17trampoline_kernelINS0_14default_configENS1_20scan_config_selectorItEEZZNS1_9scan_implILNS1_25lookback_scan_determinismE0ELb1ELb1ES3_N6thrust23THRUST_200600_302600_NS6detail15normal_iteratorINS9_10device_ptrItEEEENS9_16discard_iteratorINS9_11use_defaultEEEtNS9_4plusIvEEtEEDaPvRmT3_T4_T5_mT6_P12ihipStream_tbENKUlT_T0_E_clISt17integral_constantIbLb0EESX_EEDaSS_ST_EUlSS_E0_NS1_11comp_targetILNS1_3genE4ELNS1_11target_archE910ELNS1_3gpuE8ELNS1_3repE0EEENS1_30default_config_static_selectorELNS0_4arch9wavefront6targetE1EEEvT1_: ; @_ZN7rocprim17ROCPRIM_400000_NS6detail17trampoline_kernelINS0_14default_configENS1_20scan_config_selectorItEEZZNS1_9scan_implILNS1_25lookback_scan_determinismE0ELb1ELb1ES3_N6thrust23THRUST_200600_302600_NS6detail15normal_iteratorINS9_10device_ptrItEEEENS9_16discard_iteratorINS9_11use_defaultEEEtNS9_4plusIvEEtEEDaPvRmT3_T4_T5_mT6_P12ihipStream_tbENKUlT_T0_E_clISt17integral_constantIbLb0EESX_EEDaSS_ST_EUlSS_E0_NS1_11comp_targetILNS1_3genE4ELNS1_11target_archE910ELNS1_3gpuE8ELNS1_3repE0EEENS1_30default_config_static_selectorELNS0_4arch9wavefront6targetE1EEEvT1_
; %bb.0:
	s_load_dwordx4 s[0:3], s[4:5], 0x0
	v_mov_b32_e32 v1, 0
	s_waitcnt lgkmcnt(0)
	global_load_ushort v2, v1, s[0:1]
	v_cmp_gt_u32_e32 vcc, s2, v0
	v_lshlrev_b32_e32 v1, 1, v0
	s_waitcnt vmcnt(0)
	v_mov_b32_e32 v3, v2
	s_and_saveexec_b64 s[6:7], vcc
	s_cbranch_execz .LBB5521_2
; %bb.1:
	global_load_ushort v3, v1, s[0:1]
.LBB5521_2:
	s_or_b64 exec, exec, s[6:7]
	v_or_b32_e32 v4, 64, v0
	v_cmp_gt_u32_e32 vcc, s2, v4
	v_mov_b32_e32 v4, v2
	s_and_saveexec_b64 s[6:7], vcc
	s_cbranch_execz .LBB5521_4
; %bb.3:
	global_load_ushort v4, v1, s[0:1] offset:128
.LBB5521_4:
	s_or_b64 exec, exec, s[6:7]
	v_or_b32_e32 v5, 0x80, v0
	v_cmp_gt_u32_e32 vcc, s2, v5
	v_mov_b32_e32 v5, v2
	s_and_saveexec_b64 s[6:7], vcc
	s_cbranch_execz .LBB5521_6
; %bb.5:
	global_load_ushort v5, v1, s[0:1] offset:256
.LBB5521_6:
	;; [unrolled: 9-line block ×22, first 2 shown]
	s_or_b64 exec, exec, s[6:7]
	s_load_dword s4, s[4:5], 0x10
	v_or_b32_e32 v26, 0x5c0, v0
	v_cmp_gt_u32_e32 vcc, s2, v26
	s_and_saveexec_b64 s[2:3], vcc
	s_cbranch_execz .LBB5521_48
; %bb.47:
	global_load_ushort v2, v1, s[0:1] offset:2944
.LBB5521_48:
	s_or_b64 exec, exec, s[2:3]
	s_waitcnt vmcnt(0)
	ds_write_b16 v1, v3
	ds_write_b16 v1, v4 offset:128
	ds_write_b16 v1, v5 offset:256
	;; [unrolled: 1-line block ×23, first 2 shown]
	v_mad_u32_u24 v2, v0, 46, v1
	s_waitcnt lgkmcnt(0)
	; wave barrier
	s_waitcnt lgkmcnt(0)
	ds_read_b128 v[10:13], v2
	ds_read_b128 v[6:9], v2 offset:16
	ds_read_b128 v[2:5], v2 offset:32
	v_mul_u32_u24_e32 v14, 46, v0
	s_waitcnt lgkmcnt(0)
	v_add_u16_sdwa v15, v10, v10 dst_sel:DWORD dst_unused:UNUSED_PAD src0_sel:WORD_1 src1_sel:DWORD
	v_add_u16_e32 v15, v15, v11
	v_add_u16_sdwa v15, v15, v11 dst_sel:DWORD dst_unused:UNUSED_PAD src0_sel:DWORD src1_sel:WORD_1
	v_add_u16_e32 v15, v15, v12
	v_add_u16_sdwa v15, v15, v12 dst_sel:DWORD dst_unused:UNUSED_PAD src0_sel:DWORD src1_sel:WORD_1
	;; [unrolled: 2-line block ×11, first 2 shown]
	v_mbcnt_lo_u32_b32 v15, -1, 0
	v_mbcnt_hi_u32_b32 v15, -1, v15
	v_and_b32_e32 v17, 15, v15
	v_mov_b32_dpp v18, v16 row_shr:1 row_mask:0xf bank_mask:0xf
	v_cmp_ne_u32_e32 vcc, 0, v17
	v_cndmask_b32_e32 v18, 0, v18, vcc
	v_add_u16_e32 v16, v18, v16
	v_cmp_lt_u32_e32 vcc, 1, v17
	; wave barrier
	s_nop 0
	v_mov_b32_dpp v18, v16 row_shr:2 row_mask:0xf bank_mask:0xf
	v_cndmask_b32_e32 v18, 0, v18, vcc
	v_add_u16_e32 v16, v16, v18
	v_cmp_lt_u32_e32 vcc, 3, v17
	s_nop 0
	v_mov_b32_dpp v18, v16 row_shr:4 row_mask:0xf bank_mask:0xf
	v_cndmask_b32_e32 v18, 0, v18, vcc
	v_add_u16_e32 v16, v16, v18
	v_cmp_lt_u32_e32 vcc, 7, v17
	s_nop 0
	v_mov_b32_dpp v18, v16 row_shr:8 row_mask:0xf bank_mask:0xf
	v_cndmask_b32_e32 v17, 0, v18, vcc
	v_add_u16_e32 v16, v16, v17
	v_and_b32_e32 v18, 16, v15
	v_cmp_ne_u32_e32 vcc, 0, v18
	v_mov_b32_dpp v17, v16 row_bcast:15 row_mask:0xf bank_mask:0xf
	v_cndmask_b32_e32 v17, 0, v17, vcc
	v_add_u16_e32 v16, v16, v17
	v_cmp_lt_u32_e32 vcc, 31, v15
	s_nop 0
	v_mov_b32_dpp v17, v16 row_bcast:31 row_mask:0xf bank_mask:0xf
	v_cndmask_b32_e32 v17, 0, v17, vcc
	v_add_u16_e32 v16, v16, v17
	v_cmp_eq_u32_e32 vcc, 63, v0
	s_and_saveexec_b64 s[0:1], vcc
	s_cbranch_execz .LBB5521_50
; %bb.49:
	v_mov_b32_e32 v17, 0
	ds_write_b16 v17, v16
.LBB5521_50:
	s_or_b64 exec, exec, s[0:1]
	v_add_u32_e32 v17, -1, v15
	v_and_b32_e32 v18, 64, v15
	v_cmp_lt_i32_e32 vcc, v17, v18
	v_cndmask_b32_e32 v17, v17, v15, vcc
	v_add_u16_e32 v16, s4, v16
	v_lshlrev_b32_e32 v17, 2, v17
	ds_bpermute_b32 v16, v17, v16
	v_cmp_eq_u32_e32 vcc, 0, v15
	v_cmp_eq_u32_e64 s[0:1], 0, v0
	v_mov_b32_e32 v0, s4
	s_or_b64 vcc, s[0:1], vcc
	s_waitcnt lgkmcnt(0)
	v_cndmask_b32_e32 v0, v16, v0, vcc
	v_add_u16_e32 v15, v0, v10
	v_add_u16_sdwa v10, v15, v10 dst_sel:DWORD dst_unused:UNUSED_PAD src0_sel:DWORD src1_sel:WORD_1
	v_add_u16_e32 v16, v10, v11
	v_add_u16_sdwa v11, v16, v11 dst_sel:DWORD dst_unused:UNUSED_PAD src0_sel:DWORD src1_sel:WORD_1
	v_add_u16_e32 v17, v11, v12
	v_add_u16_sdwa v12, v17, v12 dst_sel:DWORD dst_unused:UNUSED_PAD src0_sel:DWORD src1_sel:WORD_1
	v_add_u16_e32 v18, v12, v13
	v_add_u16_sdwa v13, v18, v13 dst_sel:DWORD dst_unused:UNUSED_PAD src0_sel:DWORD src1_sel:WORD_1
	v_add_u16_e32 v19, v13, v6
	v_add_u16_sdwa v6, v19, v6 dst_sel:DWORD dst_unused:UNUSED_PAD src0_sel:DWORD src1_sel:WORD_1
	v_add_u16_e32 v20, v6, v7
	v_add_u16_sdwa v7, v20, v7 dst_sel:DWORD dst_unused:UNUSED_PAD src0_sel:DWORD src1_sel:WORD_1
	v_add_u16_e32 v21, v7, v8
	v_add_u16_sdwa v8, v21, v8 dst_sel:DWORD dst_unused:UNUSED_PAD src0_sel:DWORD src1_sel:WORD_1
	v_add_u16_e32 v22, v8, v9
	v_add_u16_sdwa v9, v22, v9 dst_sel:DWORD dst_unused:UNUSED_PAD src0_sel:DWORD src1_sel:WORD_1
	v_add_u16_e32 v23, v9, v2
	v_add_u16_sdwa v24, v23, v2 dst_sel:DWORD dst_unused:UNUSED_PAD src0_sel:DWORD src1_sel:WORD_1
	v_add_u16_e32 v25, v24, v3
	v_add_u16_sdwa v26, v25, v3 dst_sel:DWORD dst_unused:UNUSED_PAD src0_sel:DWORD src1_sel:WORD_1
	v_add_u16_e32 v27, v26, v4
	s_mov_b32 s0, 0x5040100
	v_add_u16_sdwa v4, v27, v4 dst_sel:DWORD dst_unused:UNUSED_PAD src0_sel:DWORD src1_sel:WORD_1
	v_add_u32_e32 v14, v1, v14
	v_perm_b32 v0, v15, v0, s0
	v_perm_b32 v1, v16, v10, s0
	;; [unrolled: 1-line block ×4, first 2 shown]
	s_waitcnt lgkmcnt(0)
	; wave barrier
	v_add_u16_e32 v5, v4, v5
	s_waitcnt lgkmcnt(0)
	; wave barrier
	ds_write_b128 v14, v[0:3]
	v_perm_b32 v0, v19, v13, s0
	v_perm_b32 v1, v20, v6, s0
	v_perm_b32 v2, v21, v7, s0
	v_perm_b32 v3, v22, v8, s0
	ds_write_b128 v14, v[0:3] offset:16
	v_perm_b32 v0, v23, v9, s0
	v_perm_b32 v1, v25, v24, s0
	;; [unrolled: 1-line block ×4, first 2 shown]
	ds_write_b128 v14, v[0:3] offset:32
	s_waitcnt lgkmcnt(0)
	; wave barrier
	s_waitcnt lgkmcnt(0)
	s_endpgm
	.section	.rodata,"a",@progbits
	.p2align	6, 0x0
	.amdhsa_kernel _ZN7rocprim17ROCPRIM_400000_NS6detail17trampoline_kernelINS0_14default_configENS1_20scan_config_selectorItEEZZNS1_9scan_implILNS1_25lookback_scan_determinismE0ELb1ELb1ES3_N6thrust23THRUST_200600_302600_NS6detail15normal_iteratorINS9_10device_ptrItEEEENS9_16discard_iteratorINS9_11use_defaultEEEtNS9_4plusIvEEtEEDaPvRmT3_T4_T5_mT6_P12ihipStream_tbENKUlT_T0_E_clISt17integral_constantIbLb0EESX_EEDaSS_ST_EUlSS_E0_NS1_11comp_targetILNS1_3genE4ELNS1_11target_archE910ELNS1_3gpuE8ELNS1_3repE0EEENS1_30default_config_static_selectorELNS0_4arch9wavefront6targetE1EEEvT1_
		.amdhsa_group_segment_fixed_size 3072
		.amdhsa_private_segment_fixed_size 0
		.amdhsa_kernarg_size 40
		.amdhsa_user_sgpr_count 6
		.amdhsa_user_sgpr_private_segment_buffer 1
		.amdhsa_user_sgpr_dispatch_ptr 0
		.amdhsa_user_sgpr_queue_ptr 0
		.amdhsa_user_sgpr_kernarg_segment_ptr 1
		.amdhsa_user_sgpr_dispatch_id 0
		.amdhsa_user_sgpr_flat_scratch_init 0
		.amdhsa_user_sgpr_kernarg_preload_length 0
		.amdhsa_user_sgpr_kernarg_preload_offset 0
		.amdhsa_user_sgpr_private_segment_size 0
		.amdhsa_uses_dynamic_stack 0
		.amdhsa_system_sgpr_private_segment_wavefront_offset 0
		.amdhsa_system_sgpr_workgroup_id_x 1
		.amdhsa_system_sgpr_workgroup_id_y 0
		.amdhsa_system_sgpr_workgroup_id_z 0
		.amdhsa_system_sgpr_workgroup_info 0
		.amdhsa_system_vgpr_workitem_id 0
		.amdhsa_next_free_vgpr 28
		.amdhsa_next_free_sgpr 8
		.amdhsa_accum_offset 28
		.amdhsa_reserve_vcc 1
		.amdhsa_reserve_flat_scratch 0
		.amdhsa_float_round_mode_32 0
		.amdhsa_float_round_mode_16_64 0
		.amdhsa_float_denorm_mode_32 3
		.amdhsa_float_denorm_mode_16_64 3
		.amdhsa_dx10_clamp 1
		.amdhsa_ieee_mode 1
		.amdhsa_fp16_overflow 0
		.amdhsa_tg_split 0
		.amdhsa_exception_fp_ieee_invalid_op 0
		.amdhsa_exception_fp_denorm_src 0
		.amdhsa_exception_fp_ieee_div_zero 0
		.amdhsa_exception_fp_ieee_overflow 0
		.amdhsa_exception_fp_ieee_underflow 0
		.amdhsa_exception_fp_ieee_inexact 0
		.amdhsa_exception_int_div_zero 0
	.end_amdhsa_kernel
	.section	.text._ZN7rocprim17ROCPRIM_400000_NS6detail17trampoline_kernelINS0_14default_configENS1_20scan_config_selectorItEEZZNS1_9scan_implILNS1_25lookback_scan_determinismE0ELb1ELb1ES3_N6thrust23THRUST_200600_302600_NS6detail15normal_iteratorINS9_10device_ptrItEEEENS9_16discard_iteratorINS9_11use_defaultEEEtNS9_4plusIvEEtEEDaPvRmT3_T4_T5_mT6_P12ihipStream_tbENKUlT_T0_E_clISt17integral_constantIbLb0EESX_EEDaSS_ST_EUlSS_E0_NS1_11comp_targetILNS1_3genE4ELNS1_11target_archE910ELNS1_3gpuE8ELNS1_3repE0EEENS1_30default_config_static_selectorELNS0_4arch9wavefront6targetE1EEEvT1_,"axG",@progbits,_ZN7rocprim17ROCPRIM_400000_NS6detail17trampoline_kernelINS0_14default_configENS1_20scan_config_selectorItEEZZNS1_9scan_implILNS1_25lookback_scan_determinismE0ELb1ELb1ES3_N6thrust23THRUST_200600_302600_NS6detail15normal_iteratorINS9_10device_ptrItEEEENS9_16discard_iteratorINS9_11use_defaultEEEtNS9_4plusIvEEtEEDaPvRmT3_T4_T5_mT6_P12ihipStream_tbENKUlT_T0_E_clISt17integral_constantIbLb0EESX_EEDaSS_ST_EUlSS_E0_NS1_11comp_targetILNS1_3genE4ELNS1_11target_archE910ELNS1_3gpuE8ELNS1_3repE0EEENS1_30default_config_static_selectorELNS0_4arch9wavefront6targetE1EEEvT1_,comdat
.Lfunc_end5521:
	.size	_ZN7rocprim17ROCPRIM_400000_NS6detail17trampoline_kernelINS0_14default_configENS1_20scan_config_selectorItEEZZNS1_9scan_implILNS1_25lookback_scan_determinismE0ELb1ELb1ES3_N6thrust23THRUST_200600_302600_NS6detail15normal_iteratorINS9_10device_ptrItEEEENS9_16discard_iteratorINS9_11use_defaultEEEtNS9_4plusIvEEtEEDaPvRmT3_T4_T5_mT6_P12ihipStream_tbENKUlT_T0_E_clISt17integral_constantIbLb0EESX_EEDaSS_ST_EUlSS_E0_NS1_11comp_targetILNS1_3genE4ELNS1_11target_archE910ELNS1_3gpuE8ELNS1_3repE0EEENS1_30default_config_static_selectorELNS0_4arch9wavefront6targetE1EEEvT1_, .Lfunc_end5521-_ZN7rocprim17ROCPRIM_400000_NS6detail17trampoline_kernelINS0_14default_configENS1_20scan_config_selectorItEEZZNS1_9scan_implILNS1_25lookback_scan_determinismE0ELb1ELb1ES3_N6thrust23THRUST_200600_302600_NS6detail15normal_iteratorINS9_10device_ptrItEEEENS9_16discard_iteratorINS9_11use_defaultEEEtNS9_4plusIvEEtEEDaPvRmT3_T4_T5_mT6_P12ihipStream_tbENKUlT_T0_E_clISt17integral_constantIbLb0EESX_EEDaSS_ST_EUlSS_E0_NS1_11comp_targetILNS1_3genE4ELNS1_11target_archE910ELNS1_3gpuE8ELNS1_3repE0EEENS1_30default_config_static_selectorELNS0_4arch9wavefront6targetE1EEEvT1_
                                        ; -- End function
	.section	.AMDGPU.csdata,"",@progbits
; Kernel info:
; codeLenInByte = 1808
; NumSgprs: 12
; NumVgprs: 28
; NumAgprs: 0
; TotalNumVgprs: 28
; ScratchSize: 0
; MemoryBound: 0
; FloatMode: 240
; IeeeMode: 1
; LDSByteSize: 3072 bytes/workgroup (compile time only)
; SGPRBlocks: 1
; VGPRBlocks: 3
; NumSGPRsForWavesPerEU: 12
; NumVGPRsForWavesPerEU: 28
; AccumOffset: 28
; Occupancy: 6
; WaveLimiterHint : 0
; COMPUTE_PGM_RSRC2:SCRATCH_EN: 0
; COMPUTE_PGM_RSRC2:USER_SGPR: 6
; COMPUTE_PGM_RSRC2:TRAP_HANDLER: 0
; COMPUTE_PGM_RSRC2:TGID_X_EN: 1
; COMPUTE_PGM_RSRC2:TGID_Y_EN: 0
; COMPUTE_PGM_RSRC2:TGID_Z_EN: 0
; COMPUTE_PGM_RSRC2:TIDIG_COMP_CNT: 0
; COMPUTE_PGM_RSRC3_GFX90A:ACCUM_OFFSET: 6
; COMPUTE_PGM_RSRC3_GFX90A:TG_SPLIT: 0
	.section	.text._ZN7rocprim17ROCPRIM_400000_NS6detail17trampoline_kernelINS0_14default_configENS1_20scan_config_selectorItEEZZNS1_9scan_implILNS1_25lookback_scan_determinismE0ELb1ELb1ES3_N6thrust23THRUST_200600_302600_NS6detail15normal_iteratorINS9_10device_ptrItEEEENS9_16discard_iteratorINS9_11use_defaultEEEtNS9_4plusIvEEtEEDaPvRmT3_T4_T5_mT6_P12ihipStream_tbENKUlT_T0_E_clISt17integral_constantIbLb0EESX_EEDaSS_ST_EUlSS_E0_NS1_11comp_targetILNS1_3genE3ELNS1_11target_archE908ELNS1_3gpuE7ELNS1_3repE0EEENS1_30default_config_static_selectorELNS0_4arch9wavefront6targetE1EEEvT1_,"axG",@progbits,_ZN7rocprim17ROCPRIM_400000_NS6detail17trampoline_kernelINS0_14default_configENS1_20scan_config_selectorItEEZZNS1_9scan_implILNS1_25lookback_scan_determinismE0ELb1ELb1ES3_N6thrust23THRUST_200600_302600_NS6detail15normal_iteratorINS9_10device_ptrItEEEENS9_16discard_iteratorINS9_11use_defaultEEEtNS9_4plusIvEEtEEDaPvRmT3_T4_T5_mT6_P12ihipStream_tbENKUlT_T0_E_clISt17integral_constantIbLb0EESX_EEDaSS_ST_EUlSS_E0_NS1_11comp_targetILNS1_3genE3ELNS1_11target_archE908ELNS1_3gpuE7ELNS1_3repE0EEENS1_30default_config_static_selectorELNS0_4arch9wavefront6targetE1EEEvT1_,comdat
	.protected	_ZN7rocprim17ROCPRIM_400000_NS6detail17trampoline_kernelINS0_14default_configENS1_20scan_config_selectorItEEZZNS1_9scan_implILNS1_25lookback_scan_determinismE0ELb1ELb1ES3_N6thrust23THRUST_200600_302600_NS6detail15normal_iteratorINS9_10device_ptrItEEEENS9_16discard_iteratorINS9_11use_defaultEEEtNS9_4plusIvEEtEEDaPvRmT3_T4_T5_mT6_P12ihipStream_tbENKUlT_T0_E_clISt17integral_constantIbLb0EESX_EEDaSS_ST_EUlSS_E0_NS1_11comp_targetILNS1_3genE3ELNS1_11target_archE908ELNS1_3gpuE7ELNS1_3repE0EEENS1_30default_config_static_selectorELNS0_4arch9wavefront6targetE1EEEvT1_ ; -- Begin function _ZN7rocprim17ROCPRIM_400000_NS6detail17trampoline_kernelINS0_14default_configENS1_20scan_config_selectorItEEZZNS1_9scan_implILNS1_25lookback_scan_determinismE0ELb1ELb1ES3_N6thrust23THRUST_200600_302600_NS6detail15normal_iteratorINS9_10device_ptrItEEEENS9_16discard_iteratorINS9_11use_defaultEEEtNS9_4plusIvEEtEEDaPvRmT3_T4_T5_mT6_P12ihipStream_tbENKUlT_T0_E_clISt17integral_constantIbLb0EESX_EEDaSS_ST_EUlSS_E0_NS1_11comp_targetILNS1_3genE3ELNS1_11target_archE908ELNS1_3gpuE7ELNS1_3repE0EEENS1_30default_config_static_selectorELNS0_4arch9wavefront6targetE1EEEvT1_
	.globl	_ZN7rocprim17ROCPRIM_400000_NS6detail17trampoline_kernelINS0_14default_configENS1_20scan_config_selectorItEEZZNS1_9scan_implILNS1_25lookback_scan_determinismE0ELb1ELb1ES3_N6thrust23THRUST_200600_302600_NS6detail15normal_iteratorINS9_10device_ptrItEEEENS9_16discard_iteratorINS9_11use_defaultEEEtNS9_4plusIvEEtEEDaPvRmT3_T4_T5_mT6_P12ihipStream_tbENKUlT_T0_E_clISt17integral_constantIbLb0EESX_EEDaSS_ST_EUlSS_E0_NS1_11comp_targetILNS1_3genE3ELNS1_11target_archE908ELNS1_3gpuE7ELNS1_3repE0EEENS1_30default_config_static_selectorELNS0_4arch9wavefront6targetE1EEEvT1_
	.p2align	8
	.type	_ZN7rocprim17ROCPRIM_400000_NS6detail17trampoline_kernelINS0_14default_configENS1_20scan_config_selectorItEEZZNS1_9scan_implILNS1_25lookback_scan_determinismE0ELb1ELb1ES3_N6thrust23THRUST_200600_302600_NS6detail15normal_iteratorINS9_10device_ptrItEEEENS9_16discard_iteratorINS9_11use_defaultEEEtNS9_4plusIvEEtEEDaPvRmT3_T4_T5_mT6_P12ihipStream_tbENKUlT_T0_E_clISt17integral_constantIbLb0EESX_EEDaSS_ST_EUlSS_E0_NS1_11comp_targetILNS1_3genE3ELNS1_11target_archE908ELNS1_3gpuE7ELNS1_3repE0EEENS1_30default_config_static_selectorELNS0_4arch9wavefront6targetE1EEEvT1_,@function
_ZN7rocprim17ROCPRIM_400000_NS6detail17trampoline_kernelINS0_14default_configENS1_20scan_config_selectorItEEZZNS1_9scan_implILNS1_25lookback_scan_determinismE0ELb1ELb1ES3_N6thrust23THRUST_200600_302600_NS6detail15normal_iteratorINS9_10device_ptrItEEEENS9_16discard_iteratorINS9_11use_defaultEEEtNS9_4plusIvEEtEEDaPvRmT3_T4_T5_mT6_P12ihipStream_tbENKUlT_T0_E_clISt17integral_constantIbLb0EESX_EEDaSS_ST_EUlSS_E0_NS1_11comp_targetILNS1_3genE3ELNS1_11target_archE908ELNS1_3gpuE7ELNS1_3repE0EEENS1_30default_config_static_selectorELNS0_4arch9wavefront6targetE1EEEvT1_: ; @_ZN7rocprim17ROCPRIM_400000_NS6detail17trampoline_kernelINS0_14default_configENS1_20scan_config_selectorItEEZZNS1_9scan_implILNS1_25lookback_scan_determinismE0ELb1ELb1ES3_N6thrust23THRUST_200600_302600_NS6detail15normal_iteratorINS9_10device_ptrItEEEENS9_16discard_iteratorINS9_11use_defaultEEEtNS9_4plusIvEEtEEDaPvRmT3_T4_T5_mT6_P12ihipStream_tbENKUlT_T0_E_clISt17integral_constantIbLb0EESX_EEDaSS_ST_EUlSS_E0_NS1_11comp_targetILNS1_3genE3ELNS1_11target_archE908ELNS1_3gpuE7ELNS1_3repE0EEENS1_30default_config_static_selectorELNS0_4arch9wavefront6targetE1EEEvT1_
; %bb.0:
	.section	.rodata,"a",@progbits
	.p2align	6, 0x0
	.amdhsa_kernel _ZN7rocprim17ROCPRIM_400000_NS6detail17trampoline_kernelINS0_14default_configENS1_20scan_config_selectorItEEZZNS1_9scan_implILNS1_25lookback_scan_determinismE0ELb1ELb1ES3_N6thrust23THRUST_200600_302600_NS6detail15normal_iteratorINS9_10device_ptrItEEEENS9_16discard_iteratorINS9_11use_defaultEEEtNS9_4plusIvEEtEEDaPvRmT3_T4_T5_mT6_P12ihipStream_tbENKUlT_T0_E_clISt17integral_constantIbLb0EESX_EEDaSS_ST_EUlSS_E0_NS1_11comp_targetILNS1_3genE3ELNS1_11target_archE908ELNS1_3gpuE7ELNS1_3repE0EEENS1_30default_config_static_selectorELNS0_4arch9wavefront6targetE1EEEvT1_
		.amdhsa_group_segment_fixed_size 0
		.amdhsa_private_segment_fixed_size 0
		.amdhsa_kernarg_size 40
		.amdhsa_user_sgpr_count 6
		.amdhsa_user_sgpr_private_segment_buffer 1
		.amdhsa_user_sgpr_dispatch_ptr 0
		.amdhsa_user_sgpr_queue_ptr 0
		.amdhsa_user_sgpr_kernarg_segment_ptr 1
		.amdhsa_user_sgpr_dispatch_id 0
		.amdhsa_user_sgpr_flat_scratch_init 0
		.amdhsa_user_sgpr_kernarg_preload_length 0
		.amdhsa_user_sgpr_kernarg_preload_offset 0
		.amdhsa_user_sgpr_private_segment_size 0
		.amdhsa_uses_dynamic_stack 0
		.amdhsa_system_sgpr_private_segment_wavefront_offset 0
		.amdhsa_system_sgpr_workgroup_id_x 1
		.amdhsa_system_sgpr_workgroup_id_y 0
		.amdhsa_system_sgpr_workgroup_id_z 0
		.amdhsa_system_sgpr_workgroup_info 0
		.amdhsa_system_vgpr_workitem_id 0
		.amdhsa_next_free_vgpr 1
		.amdhsa_next_free_sgpr 0
		.amdhsa_accum_offset 4
		.amdhsa_reserve_vcc 0
		.amdhsa_reserve_flat_scratch 0
		.amdhsa_float_round_mode_32 0
		.amdhsa_float_round_mode_16_64 0
		.amdhsa_float_denorm_mode_32 3
		.amdhsa_float_denorm_mode_16_64 3
		.amdhsa_dx10_clamp 1
		.amdhsa_ieee_mode 1
		.amdhsa_fp16_overflow 0
		.amdhsa_tg_split 0
		.amdhsa_exception_fp_ieee_invalid_op 0
		.amdhsa_exception_fp_denorm_src 0
		.amdhsa_exception_fp_ieee_div_zero 0
		.amdhsa_exception_fp_ieee_overflow 0
		.amdhsa_exception_fp_ieee_underflow 0
		.amdhsa_exception_fp_ieee_inexact 0
		.amdhsa_exception_int_div_zero 0
	.end_amdhsa_kernel
	.section	.text._ZN7rocprim17ROCPRIM_400000_NS6detail17trampoline_kernelINS0_14default_configENS1_20scan_config_selectorItEEZZNS1_9scan_implILNS1_25lookback_scan_determinismE0ELb1ELb1ES3_N6thrust23THRUST_200600_302600_NS6detail15normal_iteratorINS9_10device_ptrItEEEENS9_16discard_iteratorINS9_11use_defaultEEEtNS9_4plusIvEEtEEDaPvRmT3_T4_T5_mT6_P12ihipStream_tbENKUlT_T0_E_clISt17integral_constantIbLb0EESX_EEDaSS_ST_EUlSS_E0_NS1_11comp_targetILNS1_3genE3ELNS1_11target_archE908ELNS1_3gpuE7ELNS1_3repE0EEENS1_30default_config_static_selectorELNS0_4arch9wavefront6targetE1EEEvT1_,"axG",@progbits,_ZN7rocprim17ROCPRIM_400000_NS6detail17trampoline_kernelINS0_14default_configENS1_20scan_config_selectorItEEZZNS1_9scan_implILNS1_25lookback_scan_determinismE0ELb1ELb1ES3_N6thrust23THRUST_200600_302600_NS6detail15normal_iteratorINS9_10device_ptrItEEEENS9_16discard_iteratorINS9_11use_defaultEEEtNS9_4plusIvEEtEEDaPvRmT3_T4_T5_mT6_P12ihipStream_tbENKUlT_T0_E_clISt17integral_constantIbLb0EESX_EEDaSS_ST_EUlSS_E0_NS1_11comp_targetILNS1_3genE3ELNS1_11target_archE908ELNS1_3gpuE7ELNS1_3repE0EEENS1_30default_config_static_selectorELNS0_4arch9wavefront6targetE1EEEvT1_,comdat
.Lfunc_end5522:
	.size	_ZN7rocprim17ROCPRIM_400000_NS6detail17trampoline_kernelINS0_14default_configENS1_20scan_config_selectorItEEZZNS1_9scan_implILNS1_25lookback_scan_determinismE0ELb1ELb1ES3_N6thrust23THRUST_200600_302600_NS6detail15normal_iteratorINS9_10device_ptrItEEEENS9_16discard_iteratorINS9_11use_defaultEEEtNS9_4plusIvEEtEEDaPvRmT3_T4_T5_mT6_P12ihipStream_tbENKUlT_T0_E_clISt17integral_constantIbLb0EESX_EEDaSS_ST_EUlSS_E0_NS1_11comp_targetILNS1_3genE3ELNS1_11target_archE908ELNS1_3gpuE7ELNS1_3repE0EEENS1_30default_config_static_selectorELNS0_4arch9wavefront6targetE1EEEvT1_, .Lfunc_end5522-_ZN7rocprim17ROCPRIM_400000_NS6detail17trampoline_kernelINS0_14default_configENS1_20scan_config_selectorItEEZZNS1_9scan_implILNS1_25lookback_scan_determinismE0ELb1ELb1ES3_N6thrust23THRUST_200600_302600_NS6detail15normal_iteratorINS9_10device_ptrItEEEENS9_16discard_iteratorINS9_11use_defaultEEEtNS9_4plusIvEEtEEDaPvRmT3_T4_T5_mT6_P12ihipStream_tbENKUlT_T0_E_clISt17integral_constantIbLb0EESX_EEDaSS_ST_EUlSS_E0_NS1_11comp_targetILNS1_3genE3ELNS1_11target_archE908ELNS1_3gpuE7ELNS1_3repE0EEENS1_30default_config_static_selectorELNS0_4arch9wavefront6targetE1EEEvT1_
                                        ; -- End function
	.section	.AMDGPU.csdata,"",@progbits
; Kernel info:
; codeLenInByte = 0
; NumSgprs: 4
; NumVgprs: 0
; NumAgprs: 0
; TotalNumVgprs: 0
; ScratchSize: 0
; MemoryBound: 0
; FloatMode: 240
; IeeeMode: 1
; LDSByteSize: 0 bytes/workgroup (compile time only)
; SGPRBlocks: 0
; VGPRBlocks: 0
; NumSGPRsForWavesPerEU: 4
; NumVGPRsForWavesPerEU: 1
; AccumOffset: 4
; Occupancy: 8
; WaveLimiterHint : 0
; COMPUTE_PGM_RSRC2:SCRATCH_EN: 0
; COMPUTE_PGM_RSRC2:USER_SGPR: 6
; COMPUTE_PGM_RSRC2:TRAP_HANDLER: 0
; COMPUTE_PGM_RSRC2:TGID_X_EN: 1
; COMPUTE_PGM_RSRC2:TGID_Y_EN: 0
; COMPUTE_PGM_RSRC2:TGID_Z_EN: 0
; COMPUTE_PGM_RSRC2:TIDIG_COMP_CNT: 0
; COMPUTE_PGM_RSRC3_GFX90A:ACCUM_OFFSET: 0
; COMPUTE_PGM_RSRC3_GFX90A:TG_SPLIT: 0
	.section	.text._ZN7rocprim17ROCPRIM_400000_NS6detail17trampoline_kernelINS0_14default_configENS1_20scan_config_selectorItEEZZNS1_9scan_implILNS1_25lookback_scan_determinismE0ELb1ELb1ES3_N6thrust23THRUST_200600_302600_NS6detail15normal_iteratorINS9_10device_ptrItEEEENS9_16discard_iteratorINS9_11use_defaultEEEtNS9_4plusIvEEtEEDaPvRmT3_T4_T5_mT6_P12ihipStream_tbENKUlT_T0_E_clISt17integral_constantIbLb0EESX_EEDaSS_ST_EUlSS_E0_NS1_11comp_targetILNS1_3genE2ELNS1_11target_archE906ELNS1_3gpuE6ELNS1_3repE0EEENS1_30default_config_static_selectorELNS0_4arch9wavefront6targetE1EEEvT1_,"axG",@progbits,_ZN7rocprim17ROCPRIM_400000_NS6detail17trampoline_kernelINS0_14default_configENS1_20scan_config_selectorItEEZZNS1_9scan_implILNS1_25lookback_scan_determinismE0ELb1ELb1ES3_N6thrust23THRUST_200600_302600_NS6detail15normal_iteratorINS9_10device_ptrItEEEENS9_16discard_iteratorINS9_11use_defaultEEEtNS9_4plusIvEEtEEDaPvRmT3_T4_T5_mT6_P12ihipStream_tbENKUlT_T0_E_clISt17integral_constantIbLb0EESX_EEDaSS_ST_EUlSS_E0_NS1_11comp_targetILNS1_3genE2ELNS1_11target_archE906ELNS1_3gpuE6ELNS1_3repE0EEENS1_30default_config_static_selectorELNS0_4arch9wavefront6targetE1EEEvT1_,comdat
	.protected	_ZN7rocprim17ROCPRIM_400000_NS6detail17trampoline_kernelINS0_14default_configENS1_20scan_config_selectorItEEZZNS1_9scan_implILNS1_25lookback_scan_determinismE0ELb1ELb1ES3_N6thrust23THRUST_200600_302600_NS6detail15normal_iteratorINS9_10device_ptrItEEEENS9_16discard_iteratorINS9_11use_defaultEEEtNS9_4plusIvEEtEEDaPvRmT3_T4_T5_mT6_P12ihipStream_tbENKUlT_T0_E_clISt17integral_constantIbLb0EESX_EEDaSS_ST_EUlSS_E0_NS1_11comp_targetILNS1_3genE2ELNS1_11target_archE906ELNS1_3gpuE6ELNS1_3repE0EEENS1_30default_config_static_selectorELNS0_4arch9wavefront6targetE1EEEvT1_ ; -- Begin function _ZN7rocprim17ROCPRIM_400000_NS6detail17trampoline_kernelINS0_14default_configENS1_20scan_config_selectorItEEZZNS1_9scan_implILNS1_25lookback_scan_determinismE0ELb1ELb1ES3_N6thrust23THRUST_200600_302600_NS6detail15normal_iteratorINS9_10device_ptrItEEEENS9_16discard_iteratorINS9_11use_defaultEEEtNS9_4plusIvEEtEEDaPvRmT3_T4_T5_mT6_P12ihipStream_tbENKUlT_T0_E_clISt17integral_constantIbLb0EESX_EEDaSS_ST_EUlSS_E0_NS1_11comp_targetILNS1_3genE2ELNS1_11target_archE906ELNS1_3gpuE6ELNS1_3repE0EEENS1_30default_config_static_selectorELNS0_4arch9wavefront6targetE1EEEvT1_
	.globl	_ZN7rocprim17ROCPRIM_400000_NS6detail17trampoline_kernelINS0_14default_configENS1_20scan_config_selectorItEEZZNS1_9scan_implILNS1_25lookback_scan_determinismE0ELb1ELb1ES3_N6thrust23THRUST_200600_302600_NS6detail15normal_iteratorINS9_10device_ptrItEEEENS9_16discard_iteratorINS9_11use_defaultEEEtNS9_4plusIvEEtEEDaPvRmT3_T4_T5_mT6_P12ihipStream_tbENKUlT_T0_E_clISt17integral_constantIbLb0EESX_EEDaSS_ST_EUlSS_E0_NS1_11comp_targetILNS1_3genE2ELNS1_11target_archE906ELNS1_3gpuE6ELNS1_3repE0EEENS1_30default_config_static_selectorELNS0_4arch9wavefront6targetE1EEEvT1_
	.p2align	8
	.type	_ZN7rocprim17ROCPRIM_400000_NS6detail17trampoline_kernelINS0_14default_configENS1_20scan_config_selectorItEEZZNS1_9scan_implILNS1_25lookback_scan_determinismE0ELb1ELb1ES3_N6thrust23THRUST_200600_302600_NS6detail15normal_iteratorINS9_10device_ptrItEEEENS9_16discard_iteratorINS9_11use_defaultEEEtNS9_4plusIvEEtEEDaPvRmT3_T4_T5_mT6_P12ihipStream_tbENKUlT_T0_E_clISt17integral_constantIbLb0EESX_EEDaSS_ST_EUlSS_E0_NS1_11comp_targetILNS1_3genE2ELNS1_11target_archE906ELNS1_3gpuE6ELNS1_3repE0EEENS1_30default_config_static_selectorELNS0_4arch9wavefront6targetE1EEEvT1_,@function
_ZN7rocprim17ROCPRIM_400000_NS6detail17trampoline_kernelINS0_14default_configENS1_20scan_config_selectorItEEZZNS1_9scan_implILNS1_25lookback_scan_determinismE0ELb1ELb1ES3_N6thrust23THRUST_200600_302600_NS6detail15normal_iteratorINS9_10device_ptrItEEEENS9_16discard_iteratorINS9_11use_defaultEEEtNS9_4plusIvEEtEEDaPvRmT3_T4_T5_mT6_P12ihipStream_tbENKUlT_T0_E_clISt17integral_constantIbLb0EESX_EEDaSS_ST_EUlSS_E0_NS1_11comp_targetILNS1_3genE2ELNS1_11target_archE906ELNS1_3gpuE6ELNS1_3repE0EEENS1_30default_config_static_selectorELNS0_4arch9wavefront6targetE1EEEvT1_: ; @_ZN7rocprim17ROCPRIM_400000_NS6detail17trampoline_kernelINS0_14default_configENS1_20scan_config_selectorItEEZZNS1_9scan_implILNS1_25lookback_scan_determinismE0ELb1ELb1ES3_N6thrust23THRUST_200600_302600_NS6detail15normal_iteratorINS9_10device_ptrItEEEENS9_16discard_iteratorINS9_11use_defaultEEEtNS9_4plusIvEEtEEDaPvRmT3_T4_T5_mT6_P12ihipStream_tbENKUlT_T0_E_clISt17integral_constantIbLb0EESX_EEDaSS_ST_EUlSS_E0_NS1_11comp_targetILNS1_3genE2ELNS1_11target_archE906ELNS1_3gpuE6ELNS1_3repE0EEENS1_30default_config_static_selectorELNS0_4arch9wavefront6targetE1EEEvT1_
; %bb.0:
	.section	.rodata,"a",@progbits
	.p2align	6, 0x0
	.amdhsa_kernel _ZN7rocprim17ROCPRIM_400000_NS6detail17trampoline_kernelINS0_14default_configENS1_20scan_config_selectorItEEZZNS1_9scan_implILNS1_25lookback_scan_determinismE0ELb1ELb1ES3_N6thrust23THRUST_200600_302600_NS6detail15normal_iteratorINS9_10device_ptrItEEEENS9_16discard_iteratorINS9_11use_defaultEEEtNS9_4plusIvEEtEEDaPvRmT3_T4_T5_mT6_P12ihipStream_tbENKUlT_T0_E_clISt17integral_constantIbLb0EESX_EEDaSS_ST_EUlSS_E0_NS1_11comp_targetILNS1_3genE2ELNS1_11target_archE906ELNS1_3gpuE6ELNS1_3repE0EEENS1_30default_config_static_selectorELNS0_4arch9wavefront6targetE1EEEvT1_
		.amdhsa_group_segment_fixed_size 0
		.amdhsa_private_segment_fixed_size 0
		.amdhsa_kernarg_size 40
		.amdhsa_user_sgpr_count 6
		.amdhsa_user_sgpr_private_segment_buffer 1
		.amdhsa_user_sgpr_dispatch_ptr 0
		.amdhsa_user_sgpr_queue_ptr 0
		.amdhsa_user_sgpr_kernarg_segment_ptr 1
		.amdhsa_user_sgpr_dispatch_id 0
		.amdhsa_user_sgpr_flat_scratch_init 0
		.amdhsa_user_sgpr_kernarg_preload_length 0
		.amdhsa_user_sgpr_kernarg_preload_offset 0
		.amdhsa_user_sgpr_private_segment_size 0
		.amdhsa_uses_dynamic_stack 0
		.amdhsa_system_sgpr_private_segment_wavefront_offset 0
		.amdhsa_system_sgpr_workgroup_id_x 1
		.amdhsa_system_sgpr_workgroup_id_y 0
		.amdhsa_system_sgpr_workgroup_id_z 0
		.amdhsa_system_sgpr_workgroup_info 0
		.amdhsa_system_vgpr_workitem_id 0
		.amdhsa_next_free_vgpr 1
		.amdhsa_next_free_sgpr 0
		.amdhsa_accum_offset 4
		.amdhsa_reserve_vcc 0
		.amdhsa_reserve_flat_scratch 0
		.amdhsa_float_round_mode_32 0
		.amdhsa_float_round_mode_16_64 0
		.amdhsa_float_denorm_mode_32 3
		.amdhsa_float_denorm_mode_16_64 3
		.amdhsa_dx10_clamp 1
		.amdhsa_ieee_mode 1
		.amdhsa_fp16_overflow 0
		.amdhsa_tg_split 0
		.amdhsa_exception_fp_ieee_invalid_op 0
		.amdhsa_exception_fp_denorm_src 0
		.amdhsa_exception_fp_ieee_div_zero 0
		.amdhsa_exception_fp_ieee_overflow 0
		.amdhsa_exception_fp_ieee_underflow 0
		.amdhsa_exception_fp_ieee_inexact 0
		.amdhsa_exception_int_div_zero 0
	.end_amdhsa_kernel
	.section	.text._ZN7rocprim17ROCPRIM_400000_NS6detail17trampoline_kernelINS0_14default_configENS1_20scan_config_selectorItEEZZNS1_9scan_implILNS1_25lookback_scan_determinismE0ELb1ELb1ES3_N6thrust23THRUST_200600_302600_NS6detail15normal_iteratorINS9_10device_ptrItEEEENS9_16discard_iteratorINS9_11use_defaultEEEtNS9_4plusIvEEtEEDaPvRmT3_T4_T5_mT6_P12ihipStream_tbENKUlT_T0_E_clISt17integral_constantIbLb0EESX_EEDaSS_ST_EUlSS_E0_NS1_11comp_targetILNS1_3genE2ELNS1_11target_archE906ELNS1_3gpuE6ELNS1_3repE0EEENS1_30default_config_static_selectorELNS0_4arch9wavefront6targetE1EEEvT1_,"axG",@progbits,_ZN7rocprim17ROCPRIM_400000_NS6detail17trampoline_kernelINS0_14default_configENS1_20scan_config_selectorItEEZZNS1_9scan_implILNS1_25lookback_scan_determinismE0ELb1ELb1ES3_N6thrust23THRUST_200600_302600_NS6detail15normal_iteratorINS9_10device_ptrItEEEENS9_16discard_iteratorINS9_11use_defaultEEEtNS9_4plusIvEEtEEDaPvRmT3_T4_T5_mT6_P12ihipStream_tbENKUlT_T0_E_clISt17integral_constantIbLb0EESX_EEDaSS_ST_EUlSS_E0_NS1_11comp_targetILNS1_3genE2ELNS1_11target_archE906ELNS1_3gpuE6ELNS1_3repE0EEENS1_30default_config_static_selectorELNS0_4arch9wavefront6targetE1EEEvT1_,comdat
.Lfunc_end5523:
	.size	_ZN7rocprim17ROCPRIM_400000_NS6detail17trampoline_kernelINS0_14default_configENS1_20scan_config_selectorItEEZZNS1_9scan_implILNS1_25lookback_scan_determinismE0ELb1ELb1ES3_N6thrust23THRUST_200600_302600_NS6detail15normal_iteratorINS9_10device_ptrItEEEENS9_16discard_iteratorINS9_11use_defaultEEEtNS9_4plusIvEEtEEDaPvRmT3_T4_T5_mT6_P12ihipStream_tbENKUlT_T0_E_clISt17integral_constantIbLb0EESX_EEDaSS_ST_EUlSS_E0_NS1_11comp_targetILNS1_3genE2ELNS1_11target_archE906ELNS1_3gpuE6ELNS1_3repE0EEENS1_30default_config_static_selectorELNS0_4arch9wavefront6targetE1EEEvT1_, .Lfunc_end5523-_ZN7rocprim17ROCPRIM_400000_NS6detail17trampoline_kernelINS0_14default_configENS1_20scan_config_selectorItEEZZNS1_9scan_implILNS1_25lookback_scan_determinismE0ELb1ELb1ES3_N6thrust23THRUST_200600_302600_NS6detail15normal_iteratorINS9_10device_ptrItEEEENS9_16discard_iteratorINS9_11use_defaultEEEtNS9_4plusIvEEtEEDaPvRmT3_T4_T5_mT6_P12ihipStream_tbENKUlT_T0_E_clISt17integral_constantIbLb0EESX_EEDaSS_ST_EUlSS_E0_NS1_11comp_targetILNS1_3genE2ELNS1_11target_archE906ELNS1_3gpuE6ELNS1_3repE0EEENS1_30default_config_static_selectorELNS0_4arch9wavefront6targetE1EEEvT1_
                                        ; -- End function
	.section	.AMDGPU.csdata,"",@progbits
; Kernel info:
; codeLenInByte = 0
; NumSgprs: 4
; NumVgprs: 0
; NumAgprs: 0
; TotalNumVgprs: 0
; ScratchSize: 0
; MemoryBound: 0
; FloatMode: 240
; IeeeMode: 1
; LDSByteSize: 0 bytes/workgroup (compile time only)
; SGPRBlocks: 0
; VGPRBlocks: 0
; NumSGPRsForWavesPerEU: 4
; NumVGPRsForWavesPerEU: 1
; AccumOffset: 4
; Occupancy: 8
; WaveLimiterHint : 0
; COMPUTE_PGM_RSRC2:SCRATCH_EN: 0
; COMPUTE_PGM_RSRC2:USER_SGPR: 6
; COMPUTE_PGM_RSRC2:TRAP_HANDLER: 0
; COMPUTE_PGM_RSRC2:TGID_X_EN: 1
; COMPUTE_PGM_RSRC2:TGID_Y_EN: 0
; COMPUTE_PGM_RSRC2:TGID_Z_EN: 0
; COMPUTE_PGM_RSRC2:TIDIG_COMP_CNT: 0
; COMPUTE_PGM_RSRC3_GFX90A:ACCUM_OFFSET: 0
; COMPUTE_PGM_RSRC3_GFX90A:TG_SPLIT: 0
	.section	.text._ZN7rocprim17ROCPRIM_400000_NS6detail17trampoline_kernelINS0_14default_configENS1_20scan_config_selectorItEEZZNS1_9scan_implILNS1_25lookback_scan_determinismE0ELb1ELb1ES3_N6thrust23THRUST_200600_302600_NS6detail15normal_iteratorINS9_10device_ptrItEEEENS9_16discard_iteratorINS9_11use_defaultEEEtNS9_4plusIvEEtEEDaPvRmT3_T4_T5_mT6_P12ihipStream_tbENKUlT_T0_E_clISt17integral_constantIbLb0EESX_EEDaSS_ST_EUlSS_E0_NS1_11comp_targetILNS1_3genE10ELNS1_11target_archE1201ELNS1_3gpuE5ELNS1_3repE0EEENS1_30default_config_static_selectorELNS0_4arch9wavefront6targetE1EEEvT1_,"axG",@progbits,_ZN7rocprim17ROCPRIM_400000_NS6detail17trampoline_kernelINS0_14default_configENS1_20scan_config_selectorItEEZZNS1_9scan_implILNS1_25lookback_scan_determinismE0ELb1ELb1ES3_N6thrust23THRUST_200600_302600_NS6detail15normal_iteratorINS9_10device_ptrItEEEENS9_16discard_iteratorINS9_11use_defaultEEEtNS9_4plusIvEEtEEDaPvRmT3_T4_T5_mT6_P12ihipStream_tbENKUlT_T0_E_clISt17integral_constantIbLb0EESX_EEDaSS_ST_EUlSS_E0_NS1_11comp_targetILNS1_3genE10ELNS1_11target_archE1201ELNS1_3gpuE5ELNS1_3repE0EEENS1_30default_config_static_selectorELNS0_4arch9wavefront6targetE1EEEvT1_,comdat
	.protected	_ZN7rocprim17ROCPRIM_400000_NS6detail17trampoline_kernelINS0_14default_configENS1_20scan_config_selectorItEEZZNS1_9scan_implILNS1_25lookback_scan_determinismE0ELb1ELb1ES3_N6thrust23THRUST_200600_302600_NS6detail15normal_iteratorINS9_10device_ptrItEEEENS9_16discard_iteratorINS9_11use_defaultEEEtNS9_4plusIvEEtEEDaPvRmT3_T4_T5_mT6_P12ihipStream_tbENKUlT_T0_E_clISt17integral_constantIbLb0EESX_EEDaSS_ST_EUlSS_E0_NS1_11comp_targetILNS1_3genE10ELNS1_11target_archE1201ELNS1_3gpuE5ELNS1_3repE0EEENS1_30default_config_static_selectorELNS0_4arch9wavefront6targetE1EEEvT1_ ; -- Begin function _ZN7rocprim17ROCPRIM_400000_NS6detail17trampoline_kernelINS0_14default_configENS1_20scan_config_selectorItEEZZNS1_9scan_implILNS1_25lookback_scan_determinismE0ELb1ELb1ES3_N6thrust23THRUST_200600_302600_NS6detail15normal_iteratorINS9_10device_ptrItEEEENS9_16discard_iteratorINS9_11use_defaultEEEtNS9_4plusIvEEtEEDaPvRmT3_T4_T5_mT6_P12ihipStream_tbENKUlT_T0_E_clISt17integral_constantIbLb0EESX_EEDaSS_ST_EUlSS_E0_NS1_11comp_targetILNS1_3genE10ELNS1_11target_archE1201ELNS1_3gpuE5ELNS1_3repE0EEENS1_30default_config_static_selectorELNS0_4arch9wavefront6targetE1EEEvT1_
	.globl	_ZN7rocprim17ROCPRIM_400000_NS6detail17trampoline_kernelINS0_14default_configENS1_20scan_config_selectorItEEZZNS1_9scan_implILNS1_25lookback_scan_determinismE0ELb1ELb1ES3_N6thrust23THRUST_200600_302600_NS6detail15normal_iteratorINS9_10device_ptrItEEEENS9_16discard_iteratorINS9_11use_defaultEEEtNS9_4plusIvEEtEEDaPvRmT3_T4_T5_mT6_P12ihipStream_tbENKUlT_T0_E_clISt17integral_constantIbLb0EESX_EEDaSS_ST_EUlSS_E0_NS1_11comp_targetILNS1_3genE10ELNS1_11target_archE1201ELNS1_3gpuE5ELNS1_3repE0EEENS1_30default_config_static_selectorELNS0_4arch9wavefront6targetE1EEEvT1_
	.p2align	8
	.type	_ZN7rocprim17ROCPRIM_400000_NS6detail17trampoline_kernelINS0_14default_configENS1_20scan_config_selectorItEEZZNS1_9scan_implILNS1_25lookback_scan_determinismE0ELb1ELb1ES3_N6thrust23THRUST_200600_302600_NS6detail15normal_iteratorINS9_10device_ptrItEEEENS9_16discard_iteratorINS9_11use_defaultEEEtNS9_4plusIvEEtEEDaPvRmT3_T4_T5_mT6_P12ihipStream_tbENKUlT_T0_E_clISt17integral_constantIbLb0EESX_EEDaSS_ST_EUlSS_E0_NS1_11comp_targetILNS1_3genE10ELNS1_11target_archE1201ELNS1_3gpuE5ELNS1_3repE0EEENS1_30default_config_static_selectorELNS0_4arch9wavefront6targetE1EEEvT1_,@function
_ZN7rocprim17ROCPRIM_400000_NS6detail17trampoline_kernelINS0_14default_configENS1_20scan_config_selectorItEEZZNS1_9scan_implILNS1_25lookback_scan_determinismE0ELb1ELb1ES3_N6thrust23THRUST_200600_302600_NS6detail15normal_iteratorINS9_10device_ptrItEEEENS9_16discard_iteratorINS9_11use_defaultEEEtNS9_4plusIvEEtEEDaPvRmT3_T4_T5_mT6_P12ihipStream_tbENKUlT_T0_E_clISt17integral_constantIbLb0EESX_EEDaSS_ST_EUlSS_E0_NS1_11comp_targetILNS1_3genE10ELNS1_11target_archE1201ELNS1_3gpuE5ELNS1_3repE0EEENS1_30default_config_static_selectorELNS0_4arch9wavefront6targetE1EEEvT1_: ; @_ZN7rocprim17ROCPRIM_400000_NS6detail17trampoline_kernelINS0_14default_configENS1_20scan_config_selectorItEEZZNS1_9scan_implILNS1_25lookback_scan_determinismE0ELb1ELb1ES3_N6thrust23THRUST_200600_302600_NS6detail15normal_iteratorINS9_10device_ptrItEEEENS9_16discard_iteratorINS9_11use_defaultEEEtNS9_4plusIvEEtEEDaPvRmT3_T4_T5_mT6_P12ihipStream_tbENKUlT_T0_E_clISt17integral_constantIbLb0EESX_EEDaSS_ST_EUlSS_E0_NS1_11comp_targetILNS1_3genE10ELNS1_11target_archE1201ELNS1_3gpuE5ELNS1_3repE0EEENS1_30default_config_static_selectorELNS0_4arch9wavefront6targetE1EEEvT1_
; %bb.0:
	.section	.rodata,"a",@progbits
	.p2align	6, 0x0
	.amdhsa_kernel _ZN7rocprim17ROCPRIM_400000_NS6detail17trampoline_kernelINS0_14default_configENS1_20scan_config_selectorItEEZZNS1_9scan_implILNS1_25lookback_scan_determinismE0ELb1ELb1ES3_N6thrust23THRUST_200600_302600_NS6detail15normal_iteratorINS9_10device_ptrItEEEENS9_16discard_iteratorINS9_11use_defaultEEEtNS9_4plusIvEEtEEDaPvRmT3_T4_T5_mT6_P12ihipStream_tbENKUlT_T0_E_clISt17integral_constantIbLb0EESX_EEDaSS_ST_EUlSS_E0_NS1_11comp_targetILNS1_3genE10ELNS1_11target_archE1201ELNS1_3gpuE5ELNS1_3repE0EEENS1_30default_config_static_selectorELNS0_4arch9wavefront6targetE1EEEvT1_
		.amdhsa_group_segment_fixed_size 0
		.amdhsa_private_segment_fixed_size 0
		.amdhsa_kernarg_size 40
		.amdhsa_user_sgpr_count 6
		.amdhsa_user_sgpr_private_segment_buffer 1
		.amdhsa_user_sgpr_dispatch_ptr 0
		.amdhsa_user_sgpr_queue_ptr 0
		.amdhsa_user_sgpr_kernarg_segment_ptr 1
		.amdhsa_user_sgpr_dispatch_id 0
		.amdhsa_user_sgpr_flat_scratch_init 0
		.amdhsa_user_sgpr_kernarg_preload_length 0
		.amdhsa_user_sgpr_kernarg_preload_offset 0
		.amdhsa_user_sgpr_private_segment_size 0
		.amdhsa_uses_dynamic_stack 0
		.amdhsa_system_sgpr_private_segment_wavefront_offset 0
		.amdhsa_system_sgpr_workgroup_id_x 1
		.amdhsa_system_sgpr_workgroup_id_y 0
		.amdhsa_system_sgpr_workgroup_id_z 0
		.amdhsa_system_sgpr_workgroup_info 0
		.amdhsa_system_vgpr_workitem_id 0
		.amdhsa_next_free_vgpr 1
		.amdhsa_next_free_sgpr 0
		.amdhsa_accum_offset 4
		.amdhsa_reserve_vcc 0
		.amdhsa_reserve_flat_scratch 0
		.amdhsa_float_round_mode_32 0
		.amdhsa_float_round_mode_16_64 0
		.amdhsa_float_denorm_mode_32 3
		.amdhsa_float_denorm_mode_16_64 3
		.amdhsa_dx10_clamp 1
		.amdhsa_ieee_mode 1
		.amdhsa_fp16_overflow 0
		.amdhsa_tg_split 0
		.amdhsa_exception_fp_ieee_invalid_op 0
		.amdhsa_exception_fp_denorm_src 0
		.amdhsa_exception_fp_ieee_div_zero 0
		.amdhsa_exception_fp_ieee_overflow 0
		.amdhsa_exception_fp_ieee_underflow 0
		.amdhsa_exception_fp_ieee_inexact 0
		.amdhsa_exception_int_div_zero 0
	.end_amdhsa_kernel
	.section	.text._ZN7rocprim17ROCPRIM_400000_NS6detail17trampoline_kernelINS0_14default_configENS1_20scan_config_selectorItEEZZNS1_9scan_implILNS1_25lookback_scan_determinismE0ELb1ELb1ES3_N6thrust23THRUST_200600_302600_NS6detail15normal_iteratorINS9_10device_ptrItEEEENS9_16discard_iteratorINS9_11use_defaultEEEtNS9_4plusIvEEtEEDaPvRmT3_T4_T5_mT6_P12ihipStream_tbENKUlT_T0_E_clISt17integral_constantIbLb0EESX_EEDaSS_ST_EUlSS_E0_NS1_11comp_targetILNS1_3genE10ELNS1_11target_archE1201ELNS1_3gpuE5ELNS1_3repE0EEENS1_30default_config_static_selectorELNS0_4arch9wavefront6targetE1EEEvT1_,"axG",@progbits,_ZN7rocprim17ROCPRIM_400000_NS6detail17trampoline_kernelINS0_14default_configENS1_20scan_config_selectorItEEZZNS1_9scan_implILNS1_25lookback_scan_determinismE0ELb1ELb1ES3_N6thrust23THRUST_200600_302600_NS6detail15normal_iteratorINS9_10device_ptrItEEEENS9_16discard_iteratorINS9_11use_defaultEEEtNS9_4plusIvEEtEEDaPvRmT3_T4_T5_mT6_P12ihipStream_tbENKUlT_T0_E_clISt17integral_constantIbLb0EESX_EEDaSS_ST_EUlSS_E0_NS1_11comp_targetILNS1_3genE10ELNS1_11target_archE1201ELNS1_3gpuE5ELNS1_3repE0EEENS1_30default_config_static_selectorELNS0_4arch9wavefront6targetE1EEEvT1_,comdat
.Lfunc_end5524:
	.size	_ZN7rocprim17ROCPRIM_400000_NS6detail17trampoline_kernelINS0_14default_configENS1_20scan_config_selectorItEEZZNS1_9scan_implILNS1_25lookback_scan_determinismE0ELb1ELb1ES3_N6thrust23THRUST_200600_302600_NS6detail15normal_iteratorINS9_10device_ptrItEEEENS9_16discard_iteratorINS9_11use_defaultEEEtNS9_4plusIvEEtEEDaPvRmT3_T4_T5_mT6_P12ihipStream_tbENKUlT_T0_E_clISt17integral_constantIbLb0EESX_EEDaSS_ST_EUlSS_E0_NS1_11comp_targetILNS1_3genE10ELNS1_11target_archE1201ELNS1_3gpuE5ELNS1_3repE0EEENS1_30default_config_static_selectorELNS0_4arch9wavefront6targetE1EEEvT1_, .Lfunc_end5524-_ZN7rocprim17ROCPRIM_400000_NS6detail17trampoline_kernelINS0_14default_configENS1_20scan_config_selectorItEEZZNS1_9scan_implILNS1_25lookback_scan_determinismE0ELb1ELb1ES3_N6thrust23THRUST_200600_302600_NS6detail15normal_iteratorINS9_10device_ptrItEEEENS9_16discard_iteratorINS9_11use_defaultEEEtNS9_4plusIvEEtEEDaPvRmT3_T4_T5_mT6_P12ihipStream_tbENKUlT_T0_E_clISt17integral_constantIbLb0EESX_EEDaSS_ST_EUlSS_E0_NS1_11comp_targetILNS1_3genE10ELNS1_11target_archE1201ELNS1_3gpuE5ELNS1_3repE0EEENS1_30default_config_static_selectorELNS0_4arch9wavefront6targetE1EEEvT1_
                                        ; -- End function
	.section	.AMDGPU.csdata,"",@progbits
; Kernel info:
; codeLenInByte = 0
; NumSgprs: 4
; NumVgprs: 0
; NumAgprs: 0
; TotalNumVgprs: 0
; ScratchSize: 0
; MemoryBound: 0
; FloatMode: 240
; IeeeMode: 1
; LDSByteSize: 0 bytes/workgroup (compile time only)
; SGPRBlocks: 0
; VGPRBlocks: 0
; NumSGPRsForWavesPerEU: 4
; NumVGPRsForWavesPerEU: 1
; AccumOffset: 4
; Occupancy: 8
; WaveLimiterHint : 0
; COMPUTE_PGM_RSRC2:SCRATCH_EN: 0
; COMPUTE_PGM_RSRC2:USER_SGPR: 6
; COMPUTE_PGM_RSRC2:TRAP_HANDLER: 0
; COMPUTE_PGM_RSRC2:TGID_X_EN: 1
; COMPUTE_PGM_RSRC2:TGID_Y_EN: 0
; COMPUTE_PGM_RSRC2:TGID_Z_EN: 0
; COMPUTE_PGM_RSRC2:TIDIG_COMP_CNT: 0
; COMPUTE_PGM_RSRC3_GFX90A:ACCUM_OFFSET: 0
; COMPUTE_PGM_RSRC3_GFX90A:TG_SPLIT: 0
	.section	.text._ZN7rocprim17ROCPRIM_400000_NS6detail17trampoline_kernelINS0_14default_configENS1_20scan_config_selectorItEEZZNS1_9scan_implILNS1_25lookback_scan_determinismE0ELb1ELb1ES3_N6thrust23THRUST_200600_302600_NS6detail15normal_iteratorINS9_10device_ptrItEEEENS9_16discard_iteratorINS9_11use_defaultEEEtNS9_4plusIvEEtEEDaPvRmT3_T4_T5_mT6_P12ihipStream_tbENKUlT_T0_E_clISt17integral_constantIbLb0EESX_EEDaSS_ST_EUlSS_E0_NS1_11comp_targetILNS1_3genE10ELNS1_11target_archE1200ELNS1_3gpuE4ELNS1_3repE0EEENS1_30default_config_static_selectorELNS0_4arch9wavefront6targetE1EEEvT1_,"axG",@progbits,_ZN7rocprim17ROCPRIM_400000_NS6detail17trampoline_kernelINS0_14default_configENS1_20scan_config_selectorItEEZZNS1_9scan_implILNS1_25lookback_scan_determinismE0ELb1ELb1ES3_N6thrust23THRUST_200600_302600_NS6detail15normal_iteratorINS9_10device_ptrItEEEENS9_16discard_iteratorINS9_11use_defaultEEEtNS9_4plusIvEEtEEDaPvRmT3_T4_T5_mT6_P12ihipStream_tbENKUlT_T0_E_clISt17integral_constantIbLb0EESX_EEDaSS_ST_EUlSS_E0_NS1_11comp_targetILNS1_3genE10ELNS1_11target_archE1200ELNS1_3gpuE4ELNS1_3repE0EEENS1_30default_config_static_selectorELNS0_4arch9wavefront6targetE1EEEvT1_,comdat
	.protected	_ZN7rocprim17ROCPRIM_400000_NS6detail17trampoline_kernelINS0_14default_configENS1_20scan_config_selectorItEEZZNS1_9scan_implILNS1_25lookback_scan_determinismE0ELb1ELb1ES3_N6thrust23THRUST_200600_302600_NS6detail15normal_iteratorINS9_10device_ptrItEEEENS9_16discard_iteratorINS9_11use_defaultEEEtNS9_4plusIvEEtEEDaPvRmT3_T4_T5_mT6_P12ihipStream_tbENKUlT_T0_E_clISt17integral_constantIbLb0EESX_EEDaSS_ST_EUlSS_E0_NS1_11comp_targetILNS1_3genE10ELNS1_11target_archE1200ELNS1_3gpuE4ELNS1_3repE0EEENS1_30default_config_static_selectorELNS0_4arch9wavefront6targetE1EEEvT1_ ; -- Begin function _ZN7rocprim17ROCPRIM_400000_NS6detail17trampoline_kernelINS0_14default_configENS1_20scan_config_selectorItEEZZNS1_9scan_implILNS1_25lookback_scan_determinismE0ELb1ELb1ES3_N6thrust23THRUST_200600_302600_NS6detail15normal_iteratorINS9_10device_ptrItEEEENS9_16discard_iteratorINS9_11use_defaultEEEtNS9_4plusIvEEtEEDaPvRmT3_T4_T5_mT6_P12ihipStream_tbENKUlT_T0_E_clISt17integral_constantIbLb0EESX_EEDaSS_ST_EUlSS_E0_NS1_11comp_targetILNS1_3genE10ELNS1_11target_archE1200ELNS1_3gpuE4ELNS1_3repE0EEENS1_30default_config_static_selectorELNS0_4arch9wavefront6targetE1EEEvT1_
	.globl	_ZN7rocprim17ROCPRIM_400000_NS6detail17trampoline_kernelINS0_14default_configENS1_20scan_config_selectorItEEZZNS1_9scan_implILNS1_25lookback_scan_determinismE0ELb1ELb1ES3_N6thrust23THRUST_200600_302600_NS6detail15normal_iteratorINS9_10device_ptrItEEEENS9_16discard_iteratorINS9_11use_defaultEEEtNS9_4plusIvEEtEEDaPvRmT3_T4_T5_mT6_P12ihipStream_tbENKUlT_T0_E_clISt17integral_constantIbLb0EESX_EEDaSS_ST_EUlSS_E0_NS1_11comp_targetILNS1_3genE10ELNS1_11target_archE1200ELNS1_3gpuE4ELNS1_3repE0EEENS1_30default_config_static_selectorELNS0_4arch9wavefront6targetE1EEEvT1_
	.p2align	8
	.type	_ZN7rocprim17ROCPRIM_400000_NS6detail17trampoline_kernelINS0_14default_configENS1_20scan_config_selectorItEEZZNS1_9scan_implILNS1_25lookback_scan_determinismE0ELb1ELb1ES3_N6thrust23THRUST_200600_302600_NS6detail15normal_iteratorINS9_10device_ptrItEEEENS9_16discard_iteratorINS9_11use_defaultEEEtNS9_4plusIvEEtEEDaPvRmT3_T4_T5_mT6_P12ihipStream_tbENKUlT_T0_E_clISt17integral_constantIbLb0EESX_EEDaSS_ST_EUlSS_E0_NS1_11comp_targetILNS1_3genE10ELNS1_11target_archE1200ELNS1_3gpuE4ELNS1_3repE0EEENS1_30default_config_static_selectorELNS0_4arch9wavefront6targetE1EEEvT1_,@function
_ZN7rocprim17ROCPRIM_400000_NS6detail17trampoline_kernelINS0_14default_configENS1_20scan_config_selectorItEEZZNS1_9scan_implILNS1_25lookback_scan_determinismE0ELb1ELb1ES3_N6thrust23THRUST_200600_302600_NS6detail15normal_iteratorINS9_10device_ptrItEEEENS9_16discard_iteratorINS9_11use_defaultEEEtNS9_4plusIvEEtEEDaPvRmT3_T4_T5_mT6_P12ihipStream_tbENKUlT_T0_E_clISt17integral_constantIbLb0EESX_EEDaSS_ST_EUlSS_E0_NS1_11comp_targetILNS1_3genE10ELNS1_11target_archE1200ELNS1_3gpuE4ELNS1_3repE0EEENS1_30default_config_static_selectorELNS0_4arch9wavefront6targetE1EEEvT1_: ; @_ZN7rocprim17ROCPRIM_400000_NS6detail17trampoline_kernelINS0_14default_configENS1_20scan_config_selectorItEEZZNS1_9scan_implILNS1_25lookback_scan_determinismE0ELb1ELb1ES3_N6thrust23THRUST_200600_302600_NS6detail15normal_iteratorINS9_10device_ptrItEEEENS9_16discard_iteratorINS9_11use_defaultEEEtNS9_4plusIvEEtEEDaPvRmT3_T4_T5_mT6_P12ihipStream_tbENKUlT_T0_E_clISt17integral_constantIbLb0EESX_EEDaSS_ST_EUlSS_E0_NS1_11comp_targetILNS1_3genE10ELNS1_11target_archE1200ELNS1_3gpuE4ELNS1_3repE0EEENS1_30default_config_static_selectorELNS0_4arch9wavefront6targetE1EEEvT1_
; %bb.0:
	.section	.rodata,"a",@progbits
	.p2align	6, 0x0
	.amdhsa_kernel _ZN7rocprim17ROCPRIM_400000_NS6detail17trampoline_kernelINS0_14default_configENS1_20scan_config_selectorItEEZZNS1_9scan_implILNS1_25lookback_scan_determinismE0ELb1ELb1ES3_N6thrust23THRUST_200600_302600_NS6detail15normal_iteratorINS9_10device_ptrItEEEENS9_16discard_iteratorINS9_11use_defaultEEEtNS9_4plusIvEEtEEDaPvRmT3_T4_T5_mT6_P12ihipStream_tbENKUlT_T0_E_clISt17integral_constantIbLb0EESX_EEDaSS_ST_EUlSS_E0_NS1_11comp_targetILNS1_3genE10ELNS1_11target_archE1200ELNS1_3gpuE4ELNS1_3repE0EEENS1_30default_config_static_selectorELNS0_4arch9wavefront6targetE1EEEvT1_
		.amdhsa_group_segment_fixed_size 0
		.amdhsa_private_segment_fixed_size 0
		.amdhsa_kernarg_size 40
		.amdhsa_user_sgpr_count 6
		.amdhsa_user_sgpr_private_segment_buffer 1
		.amdhsa_user_sgpr_dispatch_ptr 0
		.amdhsa_user_sgpr_queue_ptr 0
		.amdhsa_user_sgpr_kernarg_segment_ptr 1
		.amdhsa_user_sgpr_dispatch_id 0
		.amdhsa_user_sgpr_flat_scratch_init 0
		.amdhsa_user_sgpr_kernarg_preload_length 0
		.amdhsa_user_sgpr_kernarg_preload_offset 0
		.amdhsa_user_sgpr_private_segment_size 0
		.amdhsa_uses_dynamic_stack 0
		.amdhsa_system_sgpr_private_segment_wavefront_offset 0
		.amdhsa_system_sgpr_workgroup_id_x 1
		.amdhsa_system_sgpr_workgroup_id_y 0
		.amdhsa_system_sgpr_workgroup_id_z 0
		.amdhsa_system_sgpr_workgroup_info 0
		.amdhsa_system_vgpr_workitem_id 0
		.amdhsa_next_free_vgpr 1
		.amdhsa_next_free_sgpr 0
		.amdhsa_accum_offset 4
		.amdhsa_reserve_vcc 0
		.amdhsa_reserve_flat_scratch 0
		.amdhsa_float_round_mode_32 0
		.amdhsa_float_round_mode_16_64 0
		.amdhsa_float_denorm_mode_32 3
		.amdhsa_float_denorm_mode_16_64 3
		.amdhsa_dx10_clamp 1
		.amdhsa_ieee_mode 1
		.amdhsa_fp16_overflow 0
		.amdhsa_tg_split 0
		.amdhsa_exception_fp_ieee_invalid_op 0
		.amdhsa_exception_fp_denorm_src 0
		.amdhsa_exception_fp_ieee_div_zero 0
		.amdhsa_exception_fp_ieee_overflow 0
		.amdhsa_exception_fp_ieee_underflow 0
		.amdhsa_exception_fp_ieee_inexact 0
		.amdhsa_exception_int_div_zero 0
	.end_amdhsa_kernel
	.section	.text._ZN7rocprim17ROCPRIM_400000_NS6detail17trampoline_kernelINS0_14default_configENS1_20scan_config_selectorItEEZZNS1_9scan_implILNS1_25lookback_scan_determinismE0ELb1ELb1ES3_N6thrust23THRUST_200600_302600_NS6detail15normal_iteratorINS9_10device_ptrItEEEENS9_16discard_iteratorINS9_11use_defaultEEEtNS9_4plusIvEEtEEDaPvRmT3_T4_T5_mT6_P12ihipStream_tbENKUlT_T0_E_clISt17integral_constantIbLb0EESX_EEDaSS_ST_EUlSS_E0_NS1_11comp_targetILNS1_3genE10ELNS1_11target_archE1200ELNS1_3gpuE4ELNS1_3repE0EEENS1_30default_config_static_selectorELNS0_4arch9wavefront6targetE1EEEvT1_,"axG",@progbits,_ZN7rocprim17ROCPRIM_400000_NS6detail17trampoline_kernelINS0_14default_configENS1_20scan_config_selectorItEEZZNS1_9scan_implILNS1_25lookback_scan_determinismE0ELb1ELb1ES3_N6thrust23THRUST_200600_302600_NS6detail15normal_iteratorINS9_10device_ptrItEEEENS9_16discard_iteratorINS9_11use_defaultEEEtNS9_4plusIvEEtEEDaPvRmT3_T4_T5_mT6_P12ihipStream_tbENKUlT_T0_E_clISt17integral_constantIbLb0EESX_EEDaSS_ST_EUlSS_E0_NS1_11comp_targetILNS1_3genE10ELNS1_11target_archE1200ELNS1_3gpuE4ELNS1_3repE0EEENS1_30default_config_static_selectorELNS0_4arch9wavefront6targetE1EEEvT1_,comdat
.Lfunc_end5525:
	.size	_ZN7rocprim17ROCPRIM_400000_NS6detail17trampoline_kernelINS0_14default_configENS1_20scan_config_selectorItEEZZNS1_9scan_implILNS1_25lookback_scan_determinismE0ELb1ELb1ES3_N6thrust23THRUST_200600_302600_NS6detail15normal_iteratorINS9_10device_ptrItEEEENS9_16discard_iteratorINS9_11use_defaultEEEtNS9_4plusIvEEtEEDaPvRmT3_T4_T5_mT6_P12ihipStream_tbENKUlT_T0_E_clISt17integral_constantIbLb0EESX_EEDaSS_ST_EUlSS_E0_NS1_11comp_targetILNS1_3genE10ELNS1_11target_archE1200ELNS1_3gpuE4ELNS1_3repE0EEENS1_30default_config_static_selectorELNS0_4arch9wavefront6targetE1EEEvT1_, .Lfunc_end5525-_ZN7rocprim17ROCPRIM_400000_NS6detail17trampoline_kernelINS0_14default_configENS1_20scan_config_selectorItEEZZNS1_9scan_implILNS1_25lookback_scan_determinismE0ELb1ELb1ES3_N6thrust23THRUST_200600_302600_NS6detail15normal_iteratorINS9_10device_ptrItEEEENS9_16discard_iteratorINS9_11use_defaultEEEtNS9_4plusIvEEtEEDaPvRmT3_T4_T5_mT6_P12ihipStream_tbENKUlT_T0_E_clISt17integral_constantIbLb0EESX_EEDaSS_ST_EUlSS_E0_NS1_11comp_targetILNS1_3genE10ELNS1_11target_archE1200ELNS1_3gpuE4ELNS1_3repE0EEENS1_30default_config_static_selectorELNS0_4arch9wavefront6targetE1EEEvT1_
                                        ; -- End function
	.section	.AMDGPU.csdata,"",@progbits
; Kernel info:
; codeLenInByte = 0
; NumSgprs: 4
; NumVgprs: 0
; NumAgprs: 0
; TotalNumVgprs: 0
; ScratchSize: 0
; MemoryBound: 0
; FloatMode: 240
; IeeeMode: 1
; LDSByteSize: 0 bytes/workgroup (compile time only)
; SGPRBlocks: 0
; VGPRBlocks: 0
; NumSGPRsForWavesPerEU: 4
; NumVGPRsForWavesPerEU: 1
; AccumOffset: 4
; Occupancy: 8
; WaveLimiterHint : 0
; COMPUTE_PGM_RSRC2:SCRATCH_EN: 0
; COMPUTE_PGM_RSRC2:USER_SGPR: 6
; COMPUTE_PGM_RSRC2:TRAP_HANDLER: 0
; COMPUTE_PGM_RSRC2:TGID_X_EN: 1
; COMPUTE_PGM_RSRC2:TGID_Y_EN: 0
; COMPUTE_PGM_RSRC2:TGID_Z_EN: 0
; COMPUTE_PGM_RSRC2:TIDIG_COMP_CNT: 0
; COMPUTE_PGM_RSRC3_GFX90A:ACCUM_OFFSET: 0
; COMPUTE_PGM_RSRC3_GFX90A:TG_SPLIT: 0
	.section	.text._ZN7rocprim17ROCPRIM_400000_NS6detail17trampoline_kernelINS0_14default_configENS1_20scan_config_selectorItEEZZNS1_9scan_implILNS1_25lookback_scan_determinismE0ELb1ELb1ES3_N6thrust23THRUST_200600_302600_NS6detail15normal_iteratorINS9_10device_ptrItEEEENS9_16discard_iteratorINS9_11use_defaultEEEtNS9_4plusIvEEtEEDaPvRmT3_T4_T5_mT6_P12ihipStream_tbENKUlT_T0_E_clISt17integral_constantIbLb0EESX_EEDaSS_ST_EUlSS_E0_NS1_11comp_targetILNS1_3genE9ELNS1_11target_archE1100ELNS1_3gpuE3ELNS1_3repE0EEENS1_30default_config_static_selectorELNS0_4arch9wavefront6targetE1EEEvT1_,"axG",@progbits,_ZN7rocprim17ROCPRIM_400000_NS6detail17trampoline_kernelINS0_14default_configENS1_20scan_config_selectorItEEZZNS1_9scan_implILNS1_25lookback_scan_determinismE0ELb1ELb1ES3_N6thrust23THRUST_200600_302600_NS6detail15normal_iteratorINS9_10device_ptrItEEEENS9_16discard_iteratorINS9_11use_defaultEEEtNS9_4plusIvEEtEEDaPvRmT3_T4_T5_mT6_P12ihipStream_tbENKUlT_T0_E_clISt17integral_constantIbLb0EESX_EEDaSS_ST_EUlSS_E0_NS1_11comp_targetILNS1_3genE9ELNS1_11target_archE1100ELNS1_3gpuE3ELNS1_3repE0EEENS1_30default_config_static_selectorELNS0_4arch9wavefront6targetE1EEEvT1_,comdat
	.protected	_ZN7rocprim17ROCPRIM_400000_NS6detail17trampoline_kernelINS0_14default_configENS1_20scan_config_selectorItEEZZNS1_9scan_implILNS1_25lookback_scan_determinismE0ELb1ELb1ES3_N6thrust23THRUST_200600_302600_NS6detail15normal_iteratorINS9_10device_ptrItEEEENS9_16discard_iteratorINS9_11use_defaultEEEtNS9_4plusIvEEtEEDaPvRmT3_T4_T5_mT6_P12ihipStream_tbENKUlT_T0_E_clISt17integral_constantIbLb0EESX_EEDaSS_ST_EUlSS_E0_NS1_11comp_targetILNS1_3genE9ELNS1_11target_archE1100ELNS1_3gpuE3ELNS1_3repE0EEENS1_30default_config_static_selectorELNS0_4arch9wavefront6targetE1EEEvT1_ ; -- Begin function _ZN7rocprim17ROCPRIM_400000_NS6detail17trampoline_kernelINS0_14default_configENS1_20scan_config_selectorItEEZZNS1_9scan_implILNS1_25lookback_scan_determinismE0ELb1ELb1ES3_N6thrust23THRUST_200600_302600_NS6detail15normal_iteratorINS9_10device_ptrItEEEENS9_16discard_iteratorINS9_11use_defaultEEEtNS9_4plusIvEEtEEDaPvRmT3_T4_T5_mT6_P12ihipStream_tbENKUlT_T0_E_clISt17integral_constantIbLb0EESX_EEDaSS_ST_EUlSS_E0_NS1_11comp_targetILNS1_3genE9ELNS1_11target_archE1100ELNS1_3gpuE3ELNS1_3repE0EEENS1_30default_config_static_selectorELNS0_4arch9wavefront6targetE1EEEvT1_
	.globl	_ZN7rocprim17ROCPRIM_400000_NS6detail17trampoline_kernelINS0_14default_configENS1_20scan_config_selectorItEEZZNS1_9scan_implILNS1_25lookback_scan_determinismE0ELb1ELb1ES3_N6thrust23THRUST_200600_302600_NS6detail15normal_iteratorINS9_10device_ptrItEEEENS9_16discard_iteratorINS9_11use_defaultEEEtNS9_4plusIvEEtEEDaPvRmT3_T4_T5_mT6_P12ihipStream_tbENKUlT_T0_E_clISt17integral_constantIbLb0EESX_EEDaSS_ST_EUlSS_E0_NS1_11comp_targetILNS1_3genE9ELNS1_11target_archE1100ELNS1_3gpuE3ELNS1_3repE0EEENS1_30default_config_static_selectorELNS0_4arch9wavefront6targetE1EEEvT1_
	.p2align	8
	.type	_ZN7rocprim17ROCPRIM_400000_NS6detail17trampoline_kernelINS0_14default_configENS1_20scan_config_selectorItEEZZNS1_9scan_implILNS1_25lookback_scan_determinismE0ELb1ELb1ES3_N6thrust23THRUST_200600_302600_NS6detail15normal_iteratorINS9_10device_ptrItEEEENS9_16discard_iteratorINS9_11use_defaultEEEtNS9_4plusIvEEtEEDaPvRmT3_T4_T5_mT6_P12ihipStream_tbENKUlT_T0_E_clISt17integral_constantIbLb0EESX_EEDaSS_ST_EUlSS_E0_NS1_11comp_targetILNS1_3genE9ELNS1_11target_archE1100ELNS1_3gpuE3ELNS1_3repE0EEENS1_30default_config_static_selectorELNS0_4arch9wavefront6targetE1EEEvT1_,@function
_ZN7rocprim17ROCPRIM_400000_NS6detail17trampoline_kernelINS0_14default_configENS1_20scan_config_selectorItEEZZNS1_9scan_implILNS1_25lookback_scan_determinismE0ELb1ELb1ES3_N6thrust23THRUST_200600_302600_NS6detail15normal_iteratorINS9_10device_ptrItEEEENS9_16discard_iteratorINS9_11use_defaultEEEtNS9_4plusIvEEtEEDaPvRmT3_T4_T5_mT6_P12ihipStream_tbENKUlT_T0_E_clISt17integral_constantIbLb0EESX_EEDaSS_ST_EUlSS_E0_NS1_11comp_targetILNS1_3genE9ELNS1_11target_archE1100ELNS1_3gpuE3ELNS1_3repE0EEENS1_30default_config_static_selectorELNS0_4arch9wavefront6targetE1EEEvT1_: ; @_ZN7rocprim17ROCPRIM_400000_NS6detail17trampoline_kernelINS0_14default_configENS1_20scan_config_selectorItEEZZNS1_9scan_implILNS1_25lookback_scan_determinismE0ELb1ELb1ES3_N6thrust23THRUST_200600_302600_NS6detail15normal_iteratorINS9_10device_ptrItEEEENS9_16discard_iteratorINS9_11use_defaultEEEtNS9_4plusIvEEtEEDaPvRmT3_T4_T5_mT6_P12ihipStream_tbENKUlT_T0_E_clISt17integral_constantIbLb0EESX_EEDaSS_ST_EUlSS_E0_NS1_11comp_targetILNS1_3genE9ELNS1_11target_archE1100ELNS1_3gpuE3ELNS1_3repE0EEENS1_30default_config_static_selectorELNS0_4arch9wavefront6targetE1EEEvT1_
; %bb.0:
	.section	.rodata,"a",@progbits
	.p2align	6, 0x0
	.amdhsa_kernel _ZN7rocprim17ROCPRIM_400000_NS6detail17trampoline_kernelINS0_14default_configENS1_20scan_config_selectorItEEZZNS1_9scan_implILNS1_25lookback_scan_determinismE0ELb1ELb1ES3_N6thrust23THRUST_200600_302600_NS6detail15normal_iteratorINS9_10device_ptrItEEEENS9_16discard_iteratorINS9_11use_defaultEEEtNS9_4plusIvEEtEEDaPvRmT3_T4_T5_mT6_P12ihipStream_tbENKUlT_T0_E_clISt17integral_constantIbLb0EESX_EEDaSS_ST_EUlSS_E0_NS1_11comp_targetILNS1_3genE9ELNS1_11target_archE1100ELNS1_3gpuE3ELNS1_3repE0EEENS1_30default_config_static_selectorELNS0_4arch9wavefront6targetE1EEEvT1_
		.amdhsa_group_segment_fixed_size 0
		.amdhsa_private_segment_fixed_size 0
		.amdhsa_kernarg_size 40
		.amdhsa_user_sgpr_count 6
		.amdhsa_user_sgpr_private_segment_buffer 1
		.amdhsa_user_sgpr_dispatch_ptr 0
		.amdhsa_user_sgpr_queue_ptr 0
		.amdhsa_user_sgpr_kernarg_segment_ptr 1
		.amdhsa_user_sgpr_dispatch_id 0
		.amdhsa_user_sgpr_flat_scratch_init 0
		.amdhsa_user_sgpr_kernarg_preload_length 0
		.amdhsa_user_sgpr_kernarg_preload_offset 0
		.amdhsa_user_sgpr_private_segment_size 0
		.amdhsa_uses_dynamic_stack 0
		.amdhsa_system_sgpr_private_segment_wavefront_offset 0
		.amdhsa_system_sgpr_workgroup_id_x 1
		.amdhsa_system_sgpr_workgroup_id_y 0
		.amdhsa_system_sgpr_workgroup_id_z 0
		.amdhsa_system_sgpr_workgroup_info 0
		.amdhsa_system_vgpr_workitem_id 0
		.amdhsa_next_free_vgpr 1
		.amdhsa_next_free_sgpr 0
		.amdhsa_accum_offset 4
		.amdhsa_reserve_vcc 0
		.amdhsa_reserve_flat_scratch 0
		.amdhsa_float_round_mode_32 0
		.amdhsa_float_round_mode_16_64 0
		.amdhsa_float_denorm_mode_32 3
		.amdhsa_float_denorm_mode_16_64 3
		.amdhsa_dx10_clamp 1
		.amdhsa_ieee_mode 1
		.amdhsa_fp16_overflow 0
		.amdhsa_tg_split 0
		.amdhsa_exception_fp_ieee_invalid_op 0
		.amdhsa_exception_fp_denorm_src 0
		.amdhsa_exception_fp_ieee_div_zero 0
		.amdhsa_exception_fp_ieee_overflow 0
		.amdhsa_exception_fp_ieee_underflow 0
		.amdhsa_exception_fp_ieee_inexact 0
		.amdhsa_exception_int_div_zero 0
	.end_amdhsa_kernel
	.section	.text._ZN7rocprim17ROCPRIM_400000_NS6detail17trampoline_kernelINS0_14default_configENS1_20scan_config_selectorItEEZZNS1_9scan_implILNS1_25lookback_scan_determinismE0ELb1ELb1ES3_N6thrust23THRUST_200600_302600_NS6detail15normal_iteratorINS9_10device_ptrItEEEENS9_16discard_iteratorINS9_11use_defaultEEEtNS9_4plusIvEEtEEDaPvRmT3_T4_T5_mT6_P12ihipStream_tbENKUlT_T0_E_clISt17integral_constantIbLb0EESX_EEDaSS_ST_EUlSS_E0_NS1_11comp_targetILNS1_3genE9ELNS1_11target_archE1100ELNS1_3gpuE3ELNS1_3repE0EEENS1_30default_config_static_selectorELNS0_4arch9wavefront6targetE1EEEvT1_,"axG",@progbits,_ZN7rocprim17ROCPRIM_400000_NS6detail17trampoline_kernelINS0_14default_configENS1_20scan_config_selectorItEEZZNS1_9scan_implILNS1_25lookback_scan_determinismE0ELb1ELb1ES3_N6thrust23THRUST_200600_302600_NS6detail15normal_iteratorINS9_10device_ptrItEEEENS9_16discard_iteratorINS9_11use_defaultEEEtNS9_4plusIvEEtEEDaPvRmT3_T4_T5_mT6_P12ihipStream_tbENKUlT_T0_E_clISt17integral_constantIbLb0EESX_EEDaSS_ST_EUlSS_E0_NS1_11comp_targetILNS1_3genE9ELNS1_11target_archE1100ELNS1_3gpuE3ELNS1_3repE0EEENS1_30default_config_static_selectorELNS0_4arch9wavefront6targetE1EEEvT1_,comdat
.Lfunc_end5526:
	.size	_ZN7rocprim17ROCPRIM_400000_NS6detail17trampoline_kernelINS0_14default_configENS1_20scan_config_selectorItEEZZNS1_9scan_implILNS1_25lookback_scan_determinismE0ELb1ELb1ES3_N6thrust23THRUST_200600_302600_NS6detail15normal_iteratorINS9_10device_ptrItEEEENS9_16discard_iteratorINS9_11use_defaultEEEtNS9_4plusIvEEtEEDaPvRmT3_T4_T5_mT6_P12ihipStream_tbENKUlT_T0_E_clISt17integral_constantIbLb0EESX_EEDaSS_ST_EUlSS_E0_NS1_11comp_targetILNS1_3genE9ELNS1_11target_archE1100ELNS1_3gpuE3ELNS1_3repE0EEENS1_30default_config_static_selectorELNS0_4arch9wavefront6targetE1EEEvT1_, .Lfunc_end5526-_ZN7rocprim17ROCPRIM_400000_NS6detail17trampoline_kernelINS0_14default_configENS1_20scan_config_selectorItEEZZNS1_9scan_implILNS1_25lookback_scan_determinismE0ELb1ELb1ES3_N6thrust23THRUST_200600_302600_NS6detail15normal_iteratorINS9_10device_ptrItEEEENS9_16discard_iteratorINS9_11use_defaultEEEtNS9_4plusIvEEtEEDaPvRmT3_T4_T5_mT6_P12ihipStream_tbENKUlT_T0_E_clISt17integral_constantIbLb0EESX_EEDaSS_ST_EUlSS_E0_NS1_11comp_targetILNS1_3genE9ELNS1_11target_archE1100ELNS1_3gpuE3ELNS1_3repE0EEENS1_30default_config_static_selectorELNS0_4arch9wavefront6targetE1EEEvT1_
                                        ; -- End function
	.section	.AMDGPU.csdata,"",@progbits
; Kernel info:
; codeLenInByte = 0
; NumSgprs: 4
; NumVgprs: 0
; NumAgprs: 0
; TotalNumVgprs: 0
; ScratchSize: 0
; MemoryBound: 0
; FloatMode: 240
; IeeeMode: 1
; LDSByteSize: 0 bytes/workgroup (compile time only)
; SGPRBlocks: 0
; VGPRBlocks: 0
; NumSGPRsForWavesPerEU: 4
; NumVGPRsForWavesPerEU: 1
; AccumOffset: 4
; Occupancy: 8
; WaveLimiterHint : 0
; COMPUTE_PGM_RSRC2:SCRATCH_EN: 0
; COMPUTE_PGM_RSRC2:USER_SGPR: 6
; COMPUTE_PGM_RSRC2:TRAP_HANDLER: 0
; COMPUTE_PGM_RSRC2:TGID_X_EN: 1
; COMPUTE_PGM_RSRC2:TGID_Y_EN: 0
; COMPUTE_PGM_RSRC2:TGID_Z_EN: 0
; COMPUTE_PGM_RSRC2:TIDIG_COMP_CNT: 0
; COMPUTE_PGM_RSRC3_GFX90A:ACCUM_OFFSET: 0
; COMPUTE_PGM_RSRC3_GFX90A:TG_SPLIT: 0
	.section	.text._ZN7rocprim17ROCPRIM_400000_NS6detail17trampoline_kernelINS0_14default_configENS1_20scan_config_selectorItEEZZNS1_9scan_implILNS1_25lookback_scan_determinismE0ELb1ELb1ES3_N6thrust23THRUST_200600_302600_NS6detail15normal_iteratorINS9_10device_ptrItEEEENS9_16discard_iteratorINS9_11use_defaultEEEtNS9_4plusIvEEtEEDaPvRmT3_T4_T5_mT6_P12ihipStream_tbENKUlT_T0_E_clISt17integral_constantIbLb0EESX_EEDaSS_ST_EUlSS_E0_NS1_11comp_targetILNS1_3genE8ELNS1_11target_archE1030ELNS1_3gpuE2ELNS1_3repE0EEENS1_30default_config_static_selectorELNS0_4arch9wavefront6targetE1EEEvT1_,"axG",@progbits,_ZN7rocprim17ROCPRIM_400000_NS6detail17trampoline_kernelINS0_14default_configENS1_20scan_config_selectorItEEZZNS1_9scan_implILNS1_25lookback_scan_determinismE0ELb1ELb1ES3_N6thrust23THRUST_200600_302600_NS6detail15normal_iteratorINS9_10device_ptrItEEEENS9_16discard_iteratorINS9_11use_defaultEEEtNS9_4plusIvEEtEEDaPvRmT3_T4_T5_mT6_P12ihipStream_tbENKUlT_T0_E_clISt17integral_constantIbLb0EESX_EEDaSS_ST_EUlSS_E0_NS1_11comp_targetILNS1_3genE8ELNS1_11target_archE1030ELNS1_3gpuE2ELNS1_3repE0EEENS1_30default_config_static_selectorELNS0_4arch9wavefront6targetE1EEEvT1_,comdat
	.protected	_ZN7rocprim17ROCPRIM_400000_NS6detail17trampoline_kernelINS0_14default_configENS1_20scan_config_selectorItEEZZNS1_9scan_implILNS1_25lookback_scan_determinismE0ELb1ELb1ES3_N6thrust23THRUST_200600_302600_NS6detail15normal_iteratorINS9_10device_ptrItEEEENS9_16discard_iteratorINS9_11use_defaultEEEtNS9_4plusIvEEtEEDaPvRmT3_T4_T5_mT6_P12ihipStream_tbENKUlT_T0_E_clISt17integral_constantIbLb0EESX_EEDaSS_ST_EUlSS_E0_NS1_11comp_targetILNS1_3genE8ELNS1_11target_archE1030ELNS1_3gpuE2ELNS1_3repE0EEENS1_30default_config_static_selectorELNS0_4arch9wavefront6targetE1EEEvT1_ ; -- Begin function _ZN7rocprim17ROCPRIM_400000_NS6detail17trampoline_kernelINS0_14default_configENS1_20scan_config_selectorItEEZZNS1_9scan_implILNS1_25lookback_scan_determinismE0ELb1ELb1ES3_N6thrust23THRUST_200600_302600_NS6detail15normal_iteratorINS9_10device_ptrItEEEENS9_16discard_iteratorINS9_11use_defaultEEEtNS9_4plusIvEEtEEDaPvRmT3_T4_T5_mT6_P12ihipStream_tbENKUlT_T0_E_clISt17integral_constantIbLb0EESX_EEDaSS_ST_EUlSS_E0_NS1_11comp_targetILNS1_3genE8ELNS1_11target_archE1030ELNS1_3gpuE2ELNS1_3repE0EEENS1_30default_config_static_selectorELNS0_4arch9wavefront6targetE1EEEvT1_
	.globl	_ZN7rocprim17ROCPRIM_400000_NS6detail17trampoline_kernelINS0_14default_configENS1_20scan_config_selectorItEEZZNS1_9scan_implILNS1_25lookback_scan_determinismE0ELb1ELb1ES3_N6thrust23THRUST_200600_302600_NS6detail15normal_iteratorINS9_10device_ptrItEEEENS9_16discard_iteratorINS9_11use_defaultEEEtNS9_4plusIvEEtEEDaPvRmT3_T4_T5_mT6_P12ihipStream_tbENKUlT_T0_E_clISt17integral_constantIbLb0EESX_EEDaSS_ST_EUlSS_E0_NS1_11comp_targetILNS1_3genE8ELNS1_11target_archE1030ELNS1_3gpuE2ELNS1_3repE0EEENS1_30default_config_static_selectorELNS0_4arch9wavefront6targetE1EEEvT1_
	.p2align	8
	.type	_ZN7rocprim17ROCPRIM_400000_NS6detail17trampoline_kernelINS0_14default_configENS1_20scan_config_selectorItEEZZNS1_9scan_implILNS1_25lookback_scan_determinismE0ELb1ELb1ES3_N6thrust23THRUST_200600_302600_NS6detail15normal_iteratorINS9_10device_ptrItEEEENS9_16discard_iteratorINS9_11use_defaultEEEtNS9_4plusIvEEtEEDaPvRmT3_T4_T5_mT6_P12ihipStream_tbENKUlT_T0_E_clISt17integral_constantIbLb0EESX_EEDaSS_ST_EUlSS_E0_NS1_11comp_targetILNS1_3genE8ELNS1_11target_archE1030ELNS1_3gpuE2ELNS1_3repE0EEENS1_30default_config_static_selectorELNS0_4arch9wavefront6targetE1EEEvT1_,@function
_ZN7rocprim17ROCPRIM_400000_NS6detail17trampoline_kernelINS0_14default_configENS1_20scan_config_selectorItEEZZNS1_9scan_implILNS1_25lookback_scan_determinismE0ELb1ELb1ES3_N6thrust23THRUST_200600_302600_NS6detail15normal_iteratorINS9_10device_ptrItEEEENS9_16discard_iteratorINS9_11use_defaultEEEtNS9_4plusIvEEtEEDaPvRmT3_T4_T5_mT6_P12ihipStream_tbENKUlT_T0_E_clISt17integral_constantIbLb0EESX_EEDaSS_ST_EUlSS_E0_NS1_11comp_targetILNS1_3genE8ELNS1_11target_archE1030ELNS1_3gpuE2ELNS1_3repE0EEENS1_30default_config_static_selectorELNS0_4arch9wavefront6targetE1EEEvT1_: ; @_ZN7rocprim17ROCPRIM_400000_NS6detail17trampoline_kernelINS0_14default_configENS1_20scan_config_selectorItEEZZNS1_9scan_implILNS1_25lookback_scan_determinismE0ELb1ELb1ES3_N6thrust23THRUST_200600_302600_NS6detail15normal_iteratorINS9_10device_ptrItEEEENS9_16discard_iteratorINS9_11use_defaultEEEtNS9_4plusIvEEtEEDaPvRmT3_T4_T5_mT6_P12ihipStream_tbENKUlT_T0_E_clISt17integral_constantIbLb0EESX_EEDaSS_ST_EUlSS_E0_NS1_11comp_targetILNS1_3genE8ELNS1_11target_archE1030ELNS1_3gpuE2ELNS1_3repE0EEENS1_30default_config_static_selectorELNS0_4arch9wavefront6targetE1EEEvT1_
; %bb.0:
	.section	.rodata,"a",@progbits
	.p2align	6, 0x0
	.amdhsa_kernel _ZN7rocprim17ROCPRIM_400000_NS6detail17trampoline_kernelINS0_14default_configENS1_20scan_config_selectorItEEZZNS1_9scan_implILNS1_25lookback_scan_determinismE0ELb1ELb1ES3_N6thrust23THRUST_200600_302600_NS6detail15normal_iteratorINS9_10device_ptrItEEEENS9_16discard_iteratorINS9_11use_defaultEEEtNS9_4plusIvEEtEEDaPvRmT3_T4_T5_mT6_P12ihipStream_tbENKUlT_T0_E_clISt17integral_constantIbLb0EESX_EEDaSS_ST_EUlSS_E0_NS1_11comp_targetILNS1_3genE8ELNS1_11target_archE1030ELNS1_3gpuE2ELNS1_3repE0EEENS1_30default_config_static_selectorELNS0_4arch9wavefront6targetE1EEEvT1_
		.amdhsa_group_segment_fixed_size 0
		.amdhsa_private_segment_fixed_size 0
		.amdhsa_kernarg_size 40
		.amdhsa_user_sgpr_count 6
		.amdhsa_user_sgpr_private_segment_buffer 1
		.amdhsa_user_sgpr_dispatch_ptr 0
		.amdhsa_user_sgpr_queue_ptr 0
		.amdhsa_user_sgpr_kernarg_segment_ptr 1
		.amdhsa_user_sgpr_dispatch_id 0
		.amdhsa_user_sgpr_flat_scratch_init 0
		.amdhsa_user_sgpr_kernarg_preload_length 0
		.amdhsa_user_sgpr_kernarg_preload_offset 0
		.amdhsa_user_sgpr_private_segment_size 0
		.amdhsa_uses_dynamic_stack 0
		.amdhsa_system_sgpr_private_segment_wavefront_offset 0
		.amdhsa_system_sgpr_workgroup_id_x 1
		.amdhsa_system_sgpr_workgroup_id_y 0
		.amdhsa_system_sgpr_workgroup_id_z 0
		.amdhsa_system_sgpr_workgroup_info 0
		.amdhsa_system_vgpr_workitem_id 0
		.amdhsa_next_free_vgpr 1
		.amdhsa_next_free_sgpr 0
		.amdhsa_accum_offset 4
		.amdhsa_reserve_vcc 0
		.amdhsa_reserve_flat_scratch 0
		.amdhsa_float_round_mode_32 0
		.amdhsa_float_round_mode_16_64 0
		.amdhsa_float_denorm_mode_32 3
		.amdhsa_float_denorm_mode_16_64 3
		.amdhsa_dx10_clamp 1
		.amdhsa_ieee_mode 1
		.amdhsa_fp16_overflow 0
		.amdhsa_tg_split 0
		.amdhsa_exception_fp_ieee_invalid_op 0
		.amdhsa_exception_fp_denorm_src 0
		.amdhsa_exception_fp_ieee_div_zero 0
		.amdhsa_exception_fp_ieee_overflow 0
		.amdhsa_exception_fp_ieee_underflow 0
		.amdhsa_exception_fp_ieee_inexact 0
		.amdhsa_exception_int_div_zero 0
	.end_amdhsa_kernel
	.section	.text._ZN7rocprim17ROCPRIM_400000_NS6detail17trampoline_kernelINS0_14default_configENS1_20scan_config_selectorItEEZZNS1_9scan_implILNS1_25lookback_scan_determinismE0ELb1ELb1ES3_N6thrust23THRUST_200600_302600_NS6detail15normal_iteratorINS9_10device_ptrItEEEENS9_16discard_iteratorINS9_11use_defaultEEEtNS9_4plusIvEEtEEDaPvRmT3_T4_T5_mT6_P12ihipStream_tbENKUlT_T0_E_clISt17integral_constantIbLb0EESX_EEDaSS_ST_EUlSS_E0_NS1_11comp_targetILNS1_3genE8ELNS1_11target_archE1030ELNS1_3gpuE2ELNS1_3repE0EEENS1_30default_config_static_selectorELNS0_4arch9wavefront6targetE1EEEvT1_,"axG",@progbits,_ZN7rocprim17ROCPRIM_400000_NS6detail17trampoline_kernelINS0_14default_configENS1_20scan_config_selectorItEEZZNS1_9scan_implILNS1_25lookback_scan_determinismE0ELb1ELb1ES3_N6thrust23THRUST_200600_302600_NS6detail15normal_iteratorINS9_10device_ptrItEEEENS9_16discard_iteratorINS9_11use_defaultEEEtNS9_4plusIvEEtEEDaPvRmT3_T4_T5_mT6_P12ihipStream_tbENKUlT_T0_E_clISt17integral_constantIbLb0EESX_EEDaSS_ST_EUlSS_E0_NS1_11comp_targetILNS1_3genE8ELNS1_11target_archE1030ELNS1_3gpuE2ELNS1_3repE0EEENS1_30default_config_static_selectorELNS0_4arch9wavefront6targetE1EEEvT1_,comdat
.Lfunc_end5527:
	.size	_ZN7rocprim17ROCPRIM_400000_NS6detail17trampoline_kernelINS0_14default_configENS1_20scan_config_selectorItEEZZNS1_9scan_implILNS1_25lookback_scan_determinismE0ELb1ELb1ES3_N6thrust23THRUST_200600_302600_NS6detail15normal_iteratorINS9_10device_ptrItEEEENS9_16discard_iteratorINS9_11use_defaultEEEtNS9_4plusIvEEtEEDaPvRmT3_T4_T5_mT6_P12ihipStream_tbENKUlT_T0_E_clISt17integral_constantIbLb0EESX_EEDaSS_ST_EUlSS_E0_NS1_11comp_targetILNS1_3genE8ELNS1_11target_archE1030ELNS1_3gpuE2ELNS1_3repE0EEENS1_30default_config_static_selectorELNS0_4arch9wavefront6targetE1EEEvT1_, .Lfunc_end5527-_ZN7rocprim17ROCPRIM_400000_NS6detail17trampoline_kernelINS0_14default_configENS1_20scan_config_selectorItEEZZNS1_9scan_implILNS1_25lookback_scan_determinismE0ELb1ELb1ES3_N6thrust23THRUST_200600_302600_NS6detail15normal_iteratorINS9_10device_ptrItEEEENS9_16discard_iteratorINS9_11use_defaultEEEtNS9_4plusIvEEtEEDaPvRmT3_T4_T5_mT6_P12ihipStream_tbENKUlT_T0_E_clISt17integral_constantIbLb0EESX_EEDaSS_ST_EUlSS_E0_NS1_11comp_targetILNS1_3genE8ELNS1_11target_archE1030ELNS1_3gpuE2ELNS1_3repE0EEENS1_30default_config_static_selectorELNS0_4arch9wavefront6targetE1EEEvT1_
                                        ; -- End function
	.section	.AMDGPU.csdata,"",@progbits
; Kernel info:
; codeLenInByte = 0
; NumSgprs: 4
; NumVgprs: 0
; NumAgprs: 0
; TotalNumVgprs: 0
; ScratchSize: 0
; MemoryBound: 0
; FloatMode: 240
; IeeeMode: 1
; LDSByteSize: 0 bytes/workgroup (compile time only)
; SGPRBlocks: 0
; VGPRBlocks: 0
; NumSGPRsForWavesPerEU: 4
; NumVGPRsForWavesPerEU: 1
; AccumOffset: 4
; Occupancy: 8
; WaveLimiterHint : 0
; COMPUTE_PGM_RSRC2:SCRATCH_EN: 0
; COMPUTE_PGM_RSRC2:USER_SGPR: 6
; COMPUTE_PGM_RSRC2:TRAP_HANDLER: 0
; COMPUTE_PGM_RSRC2:TGID_X_EN: 1
; COMPUTE_PGM_RSRC2:TGID_Y_EN: 0
; COMPUTE_PGM_RSRC2:TGID_Z_EN: 0
; COMPUTE_PGM_RSRC2:TIDIG_COMP_CNT: 0
; COMPUTE_PGM_RSRC3_GFX90A:ACCUM_OFFSET: 0
; COMPUTE_PGM_RSRC3_GFX90A:TG_SPLIT: 0
	.section	.text._ZN7rocprim17ROCPRIM_400000_NS6detail17trampoline_kernelINS0_14default_configENS1_20scan_config_selectorItEEZZNS1_9scan_implILNS1_25lookback_scan_determinismE0ELb1ELb1ES3_N6thrust23THRUST_200600_302600_NS6detail15normal_iteratorINS9_10device_ptrItEEEENS9_16discard_iteratorINS9_11use_defaultEEEtNS9_4plusIvEEtEEDaPvRmT3_T4_T5_mT6_P12ihipStream_tbENKUlT_T0_E_clISt17integral_constantIbLb1EESX_EEDaSS_ST_EUlSS_E_NS1_11comp_targetILNS1_3genE0ELNS1_11target_archE4294967295ELNS1_3gpuE0ELNS1_3repE0EEENS1_30default_config_static_selectorELNS0_4arch9wavefront6targetE1EEEvT1_,"axG",@progbits,_ZN7rocprim17ROCPRIM_400000_NS6detail17trampoline_kernelINS0_14default_configENS1_20scan_config_selectorItEEZZNS1_9scan_implILNS1_25lookback_scan_determinismE0ELb1ELb1ES3_N6thrust23THRUST_200600_302600_NS6detail15normal_iteratorINS9_10device_ptrItEEEENS9_16discard_iteratorINS9_11use_defaultEEEtNS9_4plusIvEEtEEDaPvRmT3_T4_T5_mT6_P12ihipStream_tbENKUlT_T0_E_clISt17integral_constantIbLb1EESX_EEDaSS_ST_EUlSS_E_NS1_11comp_targetILNS1_3genE0ELNS1_11target_archE4294967295ELNS1_3gpuE0ELNS1_3repE0EEENS1_30default_config_static_selectorELNS0_4arch9wavefront6targetE1EEEvT1_,comdat
	.protected	_ZN7rocprim17ROCPRIM_400000_NS6detail17trampoline_kernelINS0_14default_configENS1_20scan_config_selectorItEEZZNS1_9scan_implILNS1_25lookback_scan_determinismE0ELb1ELb1ES3_N6thrust23THRUST_200600_302600_NS6detail15normal_iteratorINS9_10device_ptrItEEEENS9_16discard_iteratorINS9_11use_defaultEEEtNS9_4plusIvEEtEEDaPvRmT3_T4_T5_mT6_P12ihipStream_tbENKUlT_T0_E_clISt17integral_constantIbLb1EESX_EEDaSS_ST_EUlSS_E_NS1_11comp_targetILNS1_3genE0ELNS1_11target_archE4294967295ELNS1_3gpuE0ELNS1_3repE0EEENS1_30default_config_static_selectorELNS0_4arch9wavefront6targetE1EEEvT1_ ; -- Begin function _ZN7rocprim17ROCPRIM_400000_NS6detail17trampoline_kernelINS0_14default_configENS1_20scan_config_selectorItEEZZNS1_9scan_implILNS1_25lookback_scan_determinismE0ELb1ELb1ES3_N6thrust23THRUST_200600_302600_NS6detail15normal_iteratorINS9_10device_ptrItEEEENS9_16discard_iteratorINS9_11use_defaultEEEtNS9_4plusIvEEtEEDaPvRmT3_T4_T5_mT6_P12ihipStream_tbENKUlT_T0_E_clISt17integral_constantIbLb1EESX_EEDaSS_ST_EUlSS_E_NS1_11comp_targetILNS1_3genE0ELNS1_11target_archE4294967295ELNS1_3gpuE0ELNS1_3repE0EEENS1_30default_config_static_selectorELNS0_4arch9wavefront6targetE1EEEvT1_
	.globl	_ZN7rocprim17ROCPRIM_400000_NS6detail17trampoline_kernelINS0_14default_configENS1_20scan_config_selectorItEEZZNS1_9scan_implILNS1_25lookback_scan_determinismE0ELb1ELb1ES3_N6thrust23THRUST_200600_302600_NS6detail15normal_iteratorINS9_10device_ptrItEEEENS9_16discard_iteratorINS9_11use_defaultEEEtNS9_4plusIvEEtEEDaPvRmT3_T4_T5_mT6_P12ihipStream_tbENKUlT_T0_E_clISt17integral_constantIbLb1EESX_EEDaSS_ST_EUlSS_E_NS1_11comp_targetILNS1_3genE0ELNS1_11target_archE4294967295ELNS1_3gpuE0ELNS1_3repE0EEENS1_30default_config_static_selectorELNS0_4arch9wavefront6targetE1EEEvT1_
	.p2align	8
	.type	_ZN7rocprim17ROCPRIM_400000_NS6detail17trampoline_kernelINS0_14default_configENS1_20scan_config_selectorItEEZZNS1_9scan_implILNS1_25lookback_scan_determinismE0ELb1ELb1ES3_N6thrust23THRUST_200600_302600_NS6detail15normal_iteratorINS9_10device_ptrItEEEENS9_16discard_iteratorINS9_11use_defaultEEEtNS9_4plusIvEEtEEDaPvRmT3_T4_T5_mT6_P12ihipStream_tbENKUlT_T0_E_clISt17integral_constantIbLb1EESX_EEDaSS_ST_EUlSS_E_NS1_11comp_targetILNS1_3genE0ELNS1_11target_archE4294967295ELNS1_3gpuE0ELNS1_3repE0EEENS1_30default_config_static_selectorELNS0_4arch9wavefront6targetE1EEEvT1_,@function
_ZN7rocprim17ROCPRIM_400000_NS6detail17trampoline_kernelINS0_14default_configENS1_20scan_config_selectorItEEZZNS1_9scan_implILNS1_25lookback_scan_determinismE0ELb1ELb1ES3_N6thrust23THRUST_200600_302600_NS6detail15normal_iteratorINS9_10device_ptrItEEEENS9_16discard_iteratorINS9_11use_defaultEEEtNS9_4plusIvEEtEEDaPvRmT3_T4_T5_mT6_P12ihipStream_tbENKUlT_T0_E_clISt17integral_constantIbLb1EESX_EEDaSS_ST_EUlSS_E_NS1_11comp_targetILNS1_3genE0ELNS1_11target_archE4294967295ELNS1_3gpuE0ELNS1_3repE0EEENS1_30default_config_static_selectorELNS0_4arch9wavefront6targetE1EEEvT1_: ; @_ZN7rocprim17ROCPRIM_400000_NS6detail17trampoline_kernelINS0_14default_configENS1_20scan_config_selectorItEEZZNS1_9scan_implILNS1_25lookback_scan_determinismE0ELb1ELb1ES3_N6thrust23THRUST_200600_302600_NS6detail15normal_iteratorINS9_10device_ptrItEEEENS9_16discard_iteratorINS9_11use_defaultEEEtNS9_4plusIvEEtEEDaPvRmT3_T4_T5_mT6_P12ihipStream_tbENKUlT_T0_E_clISt17integral_constantIbLb1EESX_EEDaSS_ST_EUlSS_E_NS1_11comp_targetILNS1_3genE0ELNS1_11target_archE4294967295ELNS1_3gpuE0ELNS1_3repE0EEENS1_30default_config_static_selectorELNS0_4arch9wavefront6targetE1EEEvT1_
; %bb.0:
	.section	.rodata,"a",@progbits
	.p2align	6, 0x0
	.amdhsa_kernel _ZN7rocprim17ROCPRIM_400000_NS6detail17trampoline_kernelINS0_14default_configENS1_20scan_config_selectorItEEZZNS1_9scan_implILNS1_25lookback_scan_determinismE0ELb1ELb1ES3_N6thrust23THRUST_200600_302600_NS6detail15normal_iteratorINS9_10device_ptrItEEEENS9_16discard_iteratorINS9_11use_defaultEEEtNS9_4plusIvEEtEEDaPvRmT3_T4_T5_mT6_P12ihipStream_tbENKUlT_T0_E_clISt17integral_constantIbLb1EESX_EEDaSS_ST_EUlSS_E_NS1_11comp_targetILNS1_3genE0ELNS1_11target_archE4294967295ELNS1_3gpuE0ELNS1_3repE0EEENS1_30default_config_static_selectorELNS0_4arch9wavefront6targetE1EEEvT1_
		.amdhsa_group_segment_fixed_size 0
		.amdhsa_private_segment_fixed_size 0
		.amdhsa_kernarg_size 104
		.amdhsa_user_sgpr_count 6
		.amdhsa_user_sgpr_private_segment_buffer 1
		.amdhsa_user_sgpr_dispatch_ptr 0
		.amdhsa_user_sgpr_queue_ptr 0
		.amdhsa_user_sgpr_kernarg_segment_ptr 1
		.amdhsa_user_sgpr_dispatch_id 0
		.amdhsa_user_sgpr_flat_scratch_init 0
		.amdhsa_user_sgpr_kernarg_preload_length 0
		.amdhsa_user_sgpr_kernarg_preload_offset 0
		.amdhsa_user_sgpr_private_segment_size 0
		.amdhsa_uses_dynamic_stack 0
		.amdhsa_system_sgpr_private_segment_wavefront_offset 0
		.amdhsa_system_sgpr_workgroup_id_x 1
		.amdhsa_system_sgpr_workgroup_id_y 0
		.amdhsa_system_sgpr_workgroup_id_z 0
		.amdhsa_system_sgpr_workgroup_info 0
		.amdhsa_system_vgpr_workitem_id 0
		.amdhsa_next_free_vgpr 1
		.amdhsa_next_free_sgpr 0
		.amdhsa_accum_offset 4
		.amdhsa_reserve_vcc 0
		.amdhsa_reserve_flat_scratch 0
		.amdhsa_float_round_mode_32 0
		.amdhsa_float_round_mode_16_64 0
		.amdhsa_float_denorm_mode_32 3
		.amdhsa_float_denorm_mode_16_64 3
		.amdhsa_dx10_clamp 1
		.amdhsa_ieee_mode 1
		.amdhsa_fp16_overflow 0
		.amdhsa_tg_split 0
		.amdhsa_exception_fp_ieee_invalid_op 0
		.amdhsa_exception_fp_denorm_src 0
		.amdhsa_exception_fp_ieee_div_zero 0
		.amdhsa_exception_fp_ieee_overflow 0
		.amdhsa_exception_fp_ieee_underflow 0
		.amdhsa_exception_fp_ieee_inexact 0
		.amdhsa_exception_int_div_zero 0
	.end_amdhsa_kernel
	.section	.text._ZN7rocprim17ROCPRIM_400000_NS6detail17trampoline_kernelINS0_14default_configENS1_20scan_config_selectorItEEZZNS1_9scan_implILNS1_25lookback_scan_determinismE0ELb1ELb1ES3_N6thrust23THRUST_200600_302600_NS6detail15normal_iteratorINS9_10device_ptrItEEEENS9_16discard_iteratorINS9_11use_defaultEEEtNS9_4plusIvEEtEEDaPvRmT3_T4_T5_mT6_P12ihipStream_tbENKUlT_T0_E_clISt17integral_constantIbLb1EESX_EEDaSS_ST_EUlSS_E_NS1_11comp_targetILNS1_3genE0ELNS1_11target_archE4294967295ELNS1_3gpuE0ELNS1_3repE0EEENS1_30default_config_static_selectorELNS0_4arch9wavefront6targetE1EEEvT1_,"axG",@progbits,_ZN7rocprim17ROCPRIM_400000_NS6detail17trampoline_kernelINS0_14default_configENS1_20scan_config_selectorItEEZZNS1_9scan_implILNS1_25lookback_scan_determinismE0ELb1ELb1ES3_N6thrust23THRUST_200600_302600_NS6detail15normal_iteratorINS9_10device_ptrItEEEENS9_16discard_iteratorINS9_11use_defaultEEEtNS9_4plusIvEEtEEDaPvRmT3_T4_T5_mT6_P12ihipStream_tbENKUlT_T0_E_clISt17integral_constantIbLb1EESX_EEDaSS_ST_EUlSS_E_NS1_11comp_targetILNS1_3genE0ELNS1_11target_archE4294967295ELNS1_3gpuE0ELNS1_3repE0EEENS1_30default_config_static_selectorELNS0_4arch9wavefront6targetE1EEEvT1_,comdat
.Lfunc_end5528:
	.size	_ZN7rocprim17ROCPRIM_400000_NS6detail17trampoline_kernelINS0_14default_configENS1_20scan_config_selectorItEEZZNS1_9scan_implILNS1_25lookback_scan_determinismE0ELb1ELb1ES3_N6thrust23THRUST_200600_302600_NS6detail15normal_iteratorINS9_10device_ptrItEEEENS9_16discard_iteratorINS9_11use_defaultEEEtNS9_4plusIvEEtEEDaPvRmT3_T4_T5_mT6_P12ihipStream_tbENKUlT_T0_E_clISt17integral_constantIbLb1EESX_EEDaSS_ST_EUlSS_E_NS1_11comp_targetILNS1_3genE0ELNS1_11target_archE4294967295ELNS1_3gpuE0ELNS1_3repE0EEENS1_30default_config_static_selectorELNS0_4arch9wavefront6targetE1EEEvT1_, .Lfunc_end5528-_ZN7rocprim17ROCPRIM_400000_NS6detail17trampoline_kernelINS0_14default_configENS1_20scan_config_selectorItEEZZNS1_9scan_implILNS1_25lookback_scan_determinismE0ELb1ELb1ES3_N6thrust23THRUST_200600_302600_NS6detail15normal_iteratorINS9_10device_ptrItEEEENS9_16discard_iteratorINS9_11use_defaultEEEtNS9_4plusIvEEtEEDaPvRmT3_T4_T5_mT6_P12ihipStream_tbENKUlT_T0_E_clISt17integral_constantIbLb1EESX_EEDaSS_ST_EUlSS_E_NS1_11comp_targetILNS1_3genE0ELNS1_11target_archE4294967295ELNS1_3gpuE0ELNS1_3repE0EEENS1_30default_config_static_selectorELNS0_4arch9wavefront6targetE1EEEvT1_
                                        ; -- End function
	.section	.AMDGPU.csdata,"",@progbits
; Kernel info:
; codeLenInByte = 0
; NumSgprs: 4
; NumVgprs: 0
; NumAgprs: 0
; TotalNumVgprs: 0
; ScratchSize: 0
; MemoryBound: 0
; FloatMode: 240
; IeeeMode: 1
; LDSByteSize: 0 bytes/workgroup (compile time only)
; SGPRBlocks: 0
; VGPRBlocks: 0
; NumSGPRsForWavesPerEU: 4
; NumVGPRsForWavesPerEU: 1
; AccumOffset: 4
; Occupancy: 8
; WaveLimiterHint : 0
; COMPUTE_PGM_RSRC2:SCRATCH_EN: 0
; COMPUTE_PGM_RSRC2:USER_SGPR: 6
; COMPUTE_PGM_RSRC2:TRAP_HANDLER: 0
; COMPUTE_PGM_RSRC2:TGID_X_EN: 1
; COMPUTE_PGM_RSRC2:TGID_Y_EN: 0
; COMPUTE_PGM_RSRC2:TGID_Z_EN: 0
; COMPUTE_PGM_RSRC2:TIDIG_COMP_CNT: 0
; COMPUTE_PGM_RSRC3_GFX90A:ACCUM_OFFSET: 0
; COMPUTE_PGM_RSRC3_GFX90A:TG_SPLIT: 0
	.section	.text._ZN7rocprim17ROCPRIM_400000_NS6detail17trampoline_kernelINS0_14default_configENS1_20scan_config_selectorItEEZZNS1_9scan_implILNS1_25lookback_scan_determinismE0ELb1ELb1ES3_N6thrust23THRUST_200600_302600_NS6detail15normal_iteratorINS9_10device_ptrItEEEENS9_16discard_iteratorINS9_11use_defaultEEEtNS9_4plusIvEEtEEDaPvRmT3_T4_T5_mT6_P12ihipStream_tbENKUlT_T0_E_clISt17integral_constantIbLb1EESX_EEDaSS_ST_EUlSS_E_NS1_11comp_targetILNS1_3genE5ELNS1_11target_archE942ELNS1_3gpuE9ELNS1_3repE0EEENS1_30default_config_static_selectorELNS0_4arch9wavefront6targetE1EEEvT1_,"axG",@progbits,_ZN7rocprim17ROCPRIM_400000_NS6detail17trampoline_kernelINS0_14default_configENS1_20scan_config_selectorItEEZZNS1_9scan_implILNS1_25lookback_scan_determinismE0ELb1ELb1ES3_N6thrust23THRUST_200600_302600_NS6detail15normal_iteratorINS9_10device_ptrItEEEENS9_16discard_iteratorINS9_11use_defaultEEEtNS9_4plusIvEEtEEDaPvRmT3_T4_T5_mT6_P12ihipStream_tbENKUlT_T0_E_clISt17integral_constantIbLb1EESX_EEDaSS_ST_EUlSS_E_NS1_11comp_targetILNS1_3genE5ELNS1_11target_archE942ELNS1_3gpuE9ELNS1_3repE0EEENS1_30default_config_static_selectorELNS0_4arch9wavefront6targetE1EEEvT1_,comdat
	.protected	_ZN7rocprim17ROCPRIM_400000_NS6detail17trampoline_kernelINS0_14default_configENS1_20scan_config_selectorItEEZZNS1_9scan_implILNS1_25lookback_scan_determinismE0ELb1ELb1ES3_N6thrust23THRUST_200600_302600_NS6detail15normal_iteratorINS9_10device_ptrItEEEENS9_16discard_iteratorINS9_11use_defaultEEEtNS9_4plusIvEEtEEDaPvRmT3_T4_T5_mT6_P12ihipStream_tbENKUlT_T0_E_clISt17integral_constantIbLb1EESX_EEDaSS_ST_EUlSS_E_NS1_11comp_targetILNS1_3genE5ELNS1_11target_archE942ELNS1_3gpuE9ELNS1_3repE0EEENS1_30default_config_static_selectorELNS0_4arch9wavefront6targetE1EEEvT1_ ; -- Begin function _ZN7rocprim17ROCPRIM_400000_NS6detail17trampoline_kernelINS0_14default_configENS1_20scan_config_selectorItEEZZNS1_9scan_implILNS1_25lookback_scan_determinismE0ELb1ELb1ES3_N6thrust23THRUST_200600_302600_NS6detail15normal_iteratorINS9_10device_ptrItEEEENS9_16discard_iteratorINS9_11use_defaultEEEtNS9_4plusIvEEtEEDaPvRmT3_T4_T5_mT6_P12ihipStream_tbENKUlT_T0_E_clISt17integral_constantIbLb1EESX_EEDaSS_ST_EUlSS_E_NS1_11comp_targetILNS1_3genE5ELNS1_11target_archE942ELNS1_3gpuE9ELNS1_3repE0EEENS1_30default_config_static_selectorELNS0_4arch9wavefront6targetE1EEEvT1_
	.globl	_ZN7rocprim17ROCPRIM_400000_NS6detail17trampoline_kernelINS0_14default_configENS1_20scan_config_selectorItEEZZNS1_9scan_implILNS1_25lookback_scan_determinismE0ELb1ELb1ES3_N6thrust23THRUST_200600_302600_NS6detail15normal_iteratorINS9_10device_ptrItEEEENS9_16discard_iteratorINS9_11use_defaultEEEtNS9_4plusIvEEtEEDaPvRmT3_T4_T5_mT6_P12ihipStream_tbENKUlT_T0_E_clISt17integral_constantIbLb1EESX_EEDaSS_ST_EUlSS_E_NS1_11comp_targetILNS1_3genE5ELNS1_11target_archE942ELNS1_3gpuE9ELNS1_3repE0EEENS1_30default_config_static_selectorELNS0_4arch9wavefront6targetE1EEEvT1_
	.p2align	8
	.type	_ZN7rocprim17ROCPRIM_400000_NS6detail17trampoline_kernelINS0_14default_configENS1_20scan_config_selectorItEEZZNS1_9scan_implILNS1_25lookback_scan_determinismE0ELb1ELb1ES3_N6thrust23THRUST_200600_302600_NS6detail15normal_iteratorINS9_10device_ptrItEEEENS9_16discard_iteratorINS9_11use_defaultEEEtNS9_4plusIvEEtEEDaPvRmT3_T4_T5_mT6_P12ihipStream_tbENKUlT_T0_E_clISt17integral_constantIbLb1EESX_EEDaSS_ST_EUlSS_E_NS1_11comp_targetILNS1_3genE5ELNS1_11target_archE942ELNS1_3gpuE9ELNS1_3repE0EEENS1_30default_config_static_selectorELNS0_4arch9wavefront6targetE1EEEvT1_,@function
_ZN7rocprim17ROCPRIM_400000_NS6detail17trampoline_kernelINS0_14default_configENS1_20scan_config_selectorItEEZZNS1_9scan_implILNS1_25lookback_scan_determinismE0ELb1ELb1ES3_N6thrust23THRUST_200600_302600_NS6detail15normal_iteratorINS9_10device_ptrItEEEENS9_16discard_iteratorINS9_11use_defaultEEEtNS9_4plusIvEEtEEDaPvRmT3_T4_T5_mT6_P12ihipStream_tbENKUlT_T0_E_clISt17integral_constantIbLb1EESX_EEDaSS_ST_EUlSS_E_NS1_11comp_targetILNS1_3genE5ELNS1_11target_archE942ELNS1_3gpuE9ELNS1_3repE0EEENS1_30default_config_static_selectorELNS0_4arch9wavefront6targetE1EEEvT1_: ; @_ZN7rocprim17ROCPRIM_400000_NS6detail17trampoline_kernelINS0_14default_configENS1_20scan_config_selectorItEEZZNS1_9scan_implILNS1_25lookback_scan_determinismE0ELb1ELb1ES3_N6thrust23THRUST_200600_302600_NS6detail15normal_iteratorINS9_10device_ptrItEEEENS9_16discard_iteratorINS9_11use_defaultEEEtNS9_4plusIvEEtEEDaPvRmT3_T4_T5_mT6_P12ihipStream_tbENKUlT_T0_E_clISt17integral_constantIbLb1EESX_EEDaSS_ST_EUlSS_E_NS1_11comp_targetILNS1_3genE5ELNS1_11target_archE942ELNS1_3gpuE9ELNS1_3repE0EEENS1_30default_config_static_selectorELNS0_4arch9wavefront6targetE1EEEvT1_
; %bb.0:
	.section	.rodata,"a",@progbits
	.p2align	6, 0x0
	.amdhsa_kernel _ZN7rocprim17ROCPRIM_400000_NS6detail17trampoline_kernelINS0_14default_configENS1_20scan_config_selectorItEEZZNS1_9scan_implILNS1_25lookback_scan_determinismE0ELb1ELb1ES3_N6thrust23THRUST_200600_302600_NS6detail15normal_iteratorINS9_10device_ptrItEEEENS9_16discard_iteratorINS9_11use_defaultEEEtNS9_4plusIvEEtEEDaPvRmT3_T4_T5_mT6_P12ihipStream_tbENKUlT_T0_E_clISt17integral_constantIbLb1EESX_EEDaSS_ST_EUlSS_E_NS1_11comp_targetILNS1_3genE5ELNS1_11target_archE942ELNS1_3gpuE9ELNS1_3repE0EEENS1_30default_config_static_selectorELNS0_4arch9wavefront6targetE1EEEvT1_
		.amdhsa_group_segment_fixed_size 0
		.amdhsa_private_segment_fixed_size 0
		.amdhsa_kernarg_size 104
		.amdhsa_user_sgpr_count 6
		.amdhsa_user_sgpr_private_segment_buffer 1
		.amdhsa_user_sgpr_dispatch_ptr 0
		.amdhsa_user_sgpr_queue_ptr 0
		.amdhsa_user_sgpr_kernarg_segment_ptr 1
		.amdhsa_user_sgpr_dispatch_id 0
		.amdhsa_user_sgpr_flat_scratch_init 0
		.amdhsa_user_sgpr_kernarg_preload_length 0
		.amdhsa_user_sgpr_kernarg_preload_offset 0
		.amdhsa_user_sgpr_private_segment_size 0
		.amdhsa_uses_dynamic_stack 0
		.amdhsa_system_sgpr_private_segment_wavefront_offset 0
		.amdhsa_system_sgpr_workgroup_id_x 1
		.amdhsa_system_sgpr_workgroup_id_y 0
		.amdhsa_system_sgpr_workgroup_id_z 0
		.amdhsa_system_sgpr_workgroup_info 0
		.amdhsa_system_vgpr_workitem_id 0
		.amdhsa_next_free_vgpr 1
		.amdhsa_next_free_sgpr 0
		.amdhsa_accum_offset 4
		.amdhsa_reserve_vcc 0
		.amdhsa_reserve_flat_scratch 0
		.amdhsa_float_round_mode_32 0
		.amdhsa_float_round_mode_16_64 0
		.amdhsa_float_denorm_mode_32 3
		.amdhsa_float_denorm_mode_16_64 3
		.amdhsa_dx10_clamp 1
		.amdhsa_ieee_mode 1
		.amdhsa_fp16_overflow 0
		.amdhsa_tg_split 0
		.amdhsa_exception_fp_ieee_invalid_op 0
		.amdhsa_exception_fp_denorm_src 0
		.amdhsa_exception_fp_ieee_div_zero 0
		.amdhsa_exception_fp_ieee_overflow 0
		.amdhsa_exception_fp_ieee_underflow 0
		.amdhsa_exception_fp_ieee_inexact 0
		.amdhsa_exception_int_div_zero 0
	.end_amdhsa_kernel
	.section	.text._ZN7rocprim17ROCPRIM_400000_NS6detail17trampoline_kernelINS0_14default_configENS1_20scan_config_selectorItEEZZNS1_9scan_implILNS1_25lookback_scan_determinismE0ELb1ELb1ES3_N6thrust23THRUST_200600_302600_NS6detail15normal_iteratorINS9_10device_ptrItEEEENS9_16discard_iteratorINS9_11use_defaultEEEtNS9_4plusIvEEtEEDaPvRmT3_T4_T5_mT6_P12ihipStream_tbENKUlT_T0_E_clISt17integral_constantIbLb1EESX_EEDaSS_ST_EUlSS_E_NS1_11comp_targetILNS1_3genE5ELNS1_11target_archE942ELNS1_3gpuE9ELNS1_3repE0EEENS1_30default_config_static_selectorELNS0_4arch9wavefront6targetE1EEEvT1_,"axG",@progbits,_ZN7rocprim17ROCPRIM_400000_NS6detail17trampoline_kernelINS0_14default_configENS1_20scan_config_selectorItEEZZNS1_9scan_implILNS1_25lookback_scan_determinismE0ELb1ELb1ES3_N6thrust23THRUST_200600_302600_NS6detail15normal_iteratorINS9_10device_ptrItEEEENS9_16discard_iteratorINS9_11use_defaultEEEtNS9_4plusIvEEtEEDaPvRmT3_T4_T5_mT6_P12ihipStream_tbENKUlT_T0_E_clISt17integral_constantIbLb1EESX_EEDaSS_ST_EUlSS_E_NS1_11comp_targetILNS1_3genE5ELNS1_11target_archE942ELNS1_3gpuE9ELNS1_3repE0EEENS1_30default_config_static_selectorELNS0_4arch9wavefront6targetE1EEEvT1_,comdat
.Lfunc_end5529:
	.size	_ZN7rocprim17ROCPRIM_400000_NS6detail17trampoline_kernelINS0_14default_configENS1_20scan_config_selectorItEEZZNS1_9scan_implILNS1_25lookback_scan_determinismE0ELb1ELb1ES3_N6thrust23THRUST_200600_302600_NS6detail15normal_iteratorINS9_10device_ptrItEEEENS9_16discard_iteratorINS9_11use_defaultEEEtNS9_4plusIvEEtEEDaPvRmT3_T4_T5_mT6_P12ihipStream_tbENKUlT_T0_E_clISt17integral_constantIbLb1EESX_EEDaSS_ST_EUlSS_E_NS1_11comp_targetILNS1_3genE5ELNS1_11target_archE942ELNS1_3gpuE9ELNS1_3repE0EEENS1_30default_config_static_selectorELNS0_4arch9wavefront6targetE1EEEvT1_, .Lfunc_end5529-_ZN7rocprim17ROCPRIM_400000_NS6detail17trampoline_kernelINS0_14default_configENS1_20scan_config_selectorItEEZZNS1_9scan_implILNS1_25lookback_scan_determinismE0ELb1ELb1ES3_N6thrust23THRUST_200600_302600_NS6detail15normal_iteratorINS9_10device_ptrItEEEENS9_16discard_iteratorINS9_11use_defaultEEEtNS9_4plusIvEEtEEDaPvRmT3_T4_T5_mT6_P12ihipStream_tbENKUlT_T0_E_clISt17integral_constantIbLb1EESX_EEDaSS_ST_EUlSS_E_NS1_11comp_targetILNS1_3genE5ELNS1_11target_archE942ELNS1_3gpuE9ELNS1_3repE0EEENS1_30default_config_static_selectorELNS0_4arch9wavefront6targetE1EEEvT1_
                                        ; -- End function
	.section	.AMDGPU.csdata,"",@progbits
; Kernel info:
; codeLenInByte = 0
; NumSgprs: 4
; NumVgprs: 0
; NumAgprs: 0
; TotalNumVgprs: 0
; ScratchSize: 0
; MemoryBound: 0
; FloatMode: 240
; IeeeMode: 1
; LDSByteSize: 0 bytes/workgroup (compile time only)
; SGPRBlocks: 0
; VGPRBlocks: 0
; NumSGPRsForWavesPerEU: 4
; NumVGPRsForWavesPerEU: 1
; AccumOffset: 4
; Occupancy: 8
; WaveLimiterHint : 0
; COMPUTE_PGM_RSRC2:SCRATCH_EN: 0
; COMPUTE_PGM_RSRC2:USER_SGPR: 6
; COMPUTE_PGM_RSRC2:TRAP_HANDLER: 0
; COMPUTE_PGM_RSRC2:TGID_X_EN: 1
; COMPUTE_PGM_RSRC2:TGID_Y_EN: 0
; COMPUTE_PGM_RSRC2:TGID_Z_EN: 0
; COMPUTE_PGM_RSRC2:TIDIG_COMP_CNT: 0
; COMPUTE_PGM_RSRC3_GFX90A:ACCUM_OFFSET: 0
; COMPUTE_PGM_RSRC3_GFX90A:TG_SPLIT: 0
	.section	.text._ZN7rocprim17ROCPRIM_400000_NS6detail17trampoline_kernelINS0_14default_configENS1_20scan_config_selectorItEEZZNS1_9scan_implILNS1_25lookback_scan_determinismE0ELb1ELb1ES3_N6thrust23THRUST_200600_302600_NS6detail15normal_iteratorINS9_10device_ptrItEEEENS9_16discard_iteratorINS9_11use_defaultEEEtNS9_4plusIvEEtEEDaPvRmT3_T4_T5_mT6_P12ihipStream_tbENKUlT_T0_E_clISt17integral_constantIbLb1EESX_EEDaSS_ST_EUlSS_E_NS1_11comp_targetILNS1_3genE4ELNS1_11target_archE910ELNS1_3gpuE8ELNS1_3repE0EEENS1_30default_config_static_selectorELNS0_4arch9wavefront6targetE1EEEvT1_,"axG",@progbits,_ZN7rocprim17ROCPRIM_400000_NS6detail17trampoline_kernelINS0_14default_configENS1_20scan_config_selectorItEEZZNS1_9scan_implILNS1_25lookback_scan_determinismE0ELb1ELb1ES3_N6thrust23THRUST_200600_302600_NS6detail15normal_iteratorINS9_10device_ptrItEEEENS9_16discard_iteratorINS9_11use_defaultEEEtNS9_4plusIvEEtEEDaPvRmT3_T4_T5_mT6_P12ihipStream_tbENKUlT_T0_E_clISt17integral_constantIbLb1EESX_EEDaSS_ST_EUlSS_E_NS1_11comp_targetILNS1_3genE4ELNS1_11target_archE910ELNS1_3gpuE8ELNS1_3repE0EEENS1_30default_config_static_selectorELNS0_4arch9wavefront6targetE1EEEvT1_,comdat
	.protected	_ZN7rocprim17ROCPRIM_400000_NS6detail17trampoline_kernelINS0_14default_configENS1_20scan_config_selectorItEEZZNS1_9scan_implILNS1_25lookback_scan_determinismE0ELb1ELb1ES3_N6thrust23THRUST_200600_302600_NS6detail15normal_iteratorINS9_10device_ptrItEEEENS9_16discard_iteratorINS9_11use_defaultEEEtNS9_4plusIvEEtEEDaPvRmT3_T4_T5_mT6_P12ihipStream_tbENKUlT_T0_E_clISt17integral_constantIbLb1EESX_EEDaSS_ST_EUlSS_E_NS1_11comp_targetILNS1_3genE4ELNS1_11target_archE910ELNS1_3gpuE8ELNS1_3repE0EEENS1_30default_config_static_selectorELNS0_4arch9wavefront6targetE1EEEvT1_ ; -- Begin function _ZN7rocprim17ROCPRIM_400000_NS6detail17trampoline_kernelINS0_14default_configENS1_20scan_config_selectorItEEZZNS1_9scan_implILNS1_25lookback_scan_determinismE0ELb1ELb1ES3_N6thrust23THRUST_200600_302600_NS6detail15normal_iteratorINS9_10device_ptrItEEEENS9_16discard_iteratorINS9_11use_defaultEEEtNS9_4plusIvEEtEEDaPvRmT3_T4_T5_mT6_P12ihipStream_tbENKUlT_T0_E_clISt17integral_constantIbLb1EESX_EEDaSS_ST_EUlSS_E_NS1_11comp_targetILNS1_3genE4ELNS1_11target_archE910ELNS1_3gpuE8ELNS1_3repE0EEENS1_30default_config_static_selectorELNS0_4arch9wavefront6targetE1EEEvT1_
	.globl	_ZN7rocprim17ROCPRIM_400000_NS6detail17trampoline_kernelINS0_14default_configENS1_20scan_config_selectorItEEZZNS1_9scan_implILNS1_25lookback_scan_determinismE0ELb1ELb1ES3_N6thrust23THRUST_200600_302600_NS6detail15normal_iteratorINS9_10device_ptrItEEEENS9_16discard_iteratorINS9_11use_defaultEEEtNS9_4plusIvEEtEEDaPvRmT3_T4_T5_mT6_P12ihipStream_tbENKUlT_T0_E_clISt17integral_constantIbLb1EESX_EEDaSS_ST_EUlSS_E_NS1_11comp_targetILNS1_3genE4ELNS1_11target_archE910ELNS1_3gpuE8ELNS1_3repE0EEENS1_30default_config_static_selectorELNS0_4arch9wavefront6targetE1EEEvT1_
	.p2align	8
	.type	_ZN7rocprim17ROCPRIM_400000_NS6detail17trampoline_kernelINS0_14default_configENS1_20scan_config_selectorItEEZZNS1_9scan_implILNS1_25lookback_scan_determinismE0ELb1ELb1ES3_N6thrust23THRUST_200600_302600_NS6detail15normal_iteratorINS9_10device_ptrItEEEENS9_16discard_iteratorINS9_11use_defaultEEEtNS9_4plusIvEEtEEDaPvRmT3_T4_T5_mT6_P12ihipStream_tbENKUlT_T0_E_clISt17integral_constantIbLb1EESX_EEDaSS_ST_EUlSS_E_NS1_11comp_targetILNS1_3genE4ELNS1_11target_archE910ELNS1_3gpuE8ELNS1_3repE0EEENS1_30default_config_static_selectorELNS0_4arch9wavefront6targetE1EEEvT1_,@function
_ZN7rocprim17ROCPRIM_400000_NS6detail17trampoline_kernelINS0_14default_configENS1_20scan_config_selectorItEEZZNS1_9scan_implILNS1_25lookback_scan_determinismE0ELb1ELb1ES3_N6thrust23THRUST_200600_302600_NS6detail15normal_iteratorINS9_10device_ptrItEEEENS9_16discard_iteratorINS9_11use_defaultEEEtNS9_4plusIvEEtEEDaPvRmT3_T4_T5_mT6_P12ihipStream_tbENKUlT_T0_E_clISt17integral_constantIbLb1EESX_EEDaSS_ST_EUlSS_E_NS1_11comp_targetILNS1_3genE4ELNS1_11target_archE910ELNS1_3gpuE8ELNS1_3repE0EEENS1_30default_config_static_selectorELNS0_4arch9wavefront6targetE1EEEvT1_: ; @_ZN7rocprim17ROCPRIM_400000_NS6detail17trampoline_kernelINS0_14default_configENS1_20scan_config_selectorItEEZZNS1_9scan_implILNS1_25lookback_scan_determinismE0ELb1ELb1ES3_N6thrust23THRUST_200600_302600_NS6detail15normal_iteratorINS9_10device_ptrItEEEENS9_16discard_iteratorINS9_11use_defaultEEEtNS9_4plusIvEEtEEDaPvRmT3_T4_T5_mT6_P12ihipStream_tbENKUlT_T0_E_clISt17integral_constantIbLb1EESX_EEDaSS_ST_EUlSS_E_NS1_11comp_targetILNS1_3genE4ELNS1_11target_archE910ELNS1_3gpuE8ELNS1_3repE0EEENS1_30default_config_static_selectorELNS0_4arch9wavefront6targetE1EEEvT1_
; %bb.0:
	s_load_dwordx2 s[2:3], s[4:5], 0x20
	s_load_dword s24, s[4:5], 0x28
	s_load_dwordx2 s[20:21], s[4:5], 0x30
	v_cmp_eq_u32_e64 s[0:1], 0, v0
	s_and_saveexec_b64 s[6:7], s[0:1]
	s_cbranch_execz .LBB5530_4
; %bb.1:
	s_mov_b64 s[10:11], exec
	v_mbcnt_lo_u32_b32 v1, s10, 0
	v_mbcnt_hi_u32_b32 v1, s11, v1
	v_cmp_eq_u32_e32 vcc, 0, v1
                                        ; implicit-def: $vgpr2
	s_and_saveexec_b64 s[8:9], vcc
	s_cbranch_execz .LBB5530_3
; %bb.2:
	s_load_dwordx2 s[12:13], s[4:5], 0x60
	s_bcnt1_i32_b64 s10, s[10:11]
	v_mov_b32_e32 v2, 0
	v_mov_b32_e32 v3, s10
	s_waitcnt lgkmcnt(0)
	global_atomic_add v2, v2, v3, s[12:13] glc
.LBB5530_3:
	s_or_b64 exec, exec, s[8:9]
	s_waitcnt vmcnt(0)
	v_readfirstlane_b32 s8, v2
	v_add_u32_e32 v1, s8, v1
	v_mov_b32_e32 v2, 0
	ds_write_b32 v2, v1
.LBB5530_4:
	s_or_b64 exec, exec, s[6:7]
	v_mov_b32_e32 v3, 0
	s_load_dwordx4 s[16:19], s[4:5], 0x0
	s_load_dword s6, s[4:5], 0x38
	s_load_dwordx8 s[8:15], s[4:5], 0x40
	s_waitcnt lgkmcnt(0)
	; wave barrier
	s_waitcnt lgkmcnt(0)
	ds_read_b32 v1, v3
	s_lshl_b64 s[4:5], s[18:19], 1
	s_add_u32 s25, s16, s4
	s_movk_i32 s4, 0x600
	s_addc_u32 s26, s17, s5
	s_waitcnt lgkmcnt(0)
	v_mul_lo_u32 v2, v1, s4
	s_add_i32 s4, s6, -1
	s_mul_i32 s5, s4, 0x600
	s_sub_u32 s22, s2, s5
	v_readfirstlane_b32 s27, v1
	s_subb_u32 s23, s3, 0
	v_lshlrev_b64 v[2:3], 1, v[2:3]
	s_cmp_lg_u32 s27, s4
	v_mov_b32_e32 v1, s26
	v_add_co_u32_e32 v2, vcc, s25, v2
	s_cselect_b64 s[16:17], -1, 0
	v_addc_co_u32_e32 v3, vcc, v1, v3, vcc
	s_mov_b64 s[2:3], -1
	s_and_b64 vcc, exec, s[16:17]
	s_waitcnt lgkmcnt(0)
	; wave barrier
	s_cbranch_vccz .LBB5530_6
; %bb.5:
	v_lshlrev_b32_e32 v1, 1, v0
	v_add_co_u32_e32 v4, vcc, v2, v1
	v_addc_co_u32_e32 v5, vcc, 0, v3, vcc
	flat_load_ushort v6, v[4:5]
	flat_load_ushort v7, v[4:5] offset:128
	flat_load_ushort v8, v[4:5] offset:256
	;; [unrolled: 1-line block ×23, first 2 shown]
	s_mov_b64 s[2:3], 0
	s_waitcnt vmcnt(0) lgkmcnt(0)
	ds_write_b16 v1, v6
	ds_write_b16 v1, v7 offset:128
	ds_write_b16 v1, v8 offset:256
	;; [unrolled: 1-line block ×23, first 2 shown]
	s_waitcnt lgkmcnt(0)
	; wave barrier
.LBB5530_6:
	s_andn2_b64 vcc, exec, s[2:3]
	s_cbranch_vccnz .LBB5530_56
; %bb.7:
	flat_load_ushort v1, v[2:3]
	v_cmp_gt_u32_e32 vcc, s22, v0
	s_waitcnt vmcnt(0) lgkmcnt(0)
	v_mov_b32_e32 v4, v1
	s_and_saveexec_b64 s[2:3], vcc
	s_cbranch_execz .LBB5530_9
; %bb.8:
	v_lshlrev_b32_e32 v4, 1, v0
	v_add_co_u32_e32 v4, vcc, v2, v4
	v_addc_co_u32_e32 v5, vcc, 0, v3, vcc
	flat_load_ushort v4, v[4:5]
.LBB5530_9:
	s_or_b64 exec, exec, s[2:3]
	v_or_b32_e32 v5, 64, v0
	v_cmp_gt_u32_e32 vcc, s22, v5
	v_mov_b32_e32 v5, v1
	s_and_saveexec_b64 s[2:3], vcc
	s_cbranch_execz .LBB5530_11
; %bb.10:
	v_lshlrev_b32_e32 v5, 1, v0
	v_add_co_u32_e32 v6, vcc, v2, v5
	v_addc_co_u32_e32 v7, vcc, 0, v3, vcc
	flat_load_ushort v5, v[6:7] offset:128
.LBB5530_11:
	s_or_b64 exec, exec, s[2:3]
	v_or_b32_e32 v6, 0x80, v0
	v_cmp_gt_u32_e32 vcc, s22, v6
	v_mov_b32_e32 v6, v1
	s_and_saveexec_b64 s[2:3], vcc
	s_cbranch_execz .LBB5530_13
; %bb.12:
	v_lshlrev_b32_e32 v6, 1, v0
	v_add_co_u32_e32 v6, vcc, v2, v6
	v_addc_co_u32_e32 v7, vcc, 0, v3, vcc
	flat_load_ushort v6, v[6:7] offset:256
.LBB5530_13:
	;; [unrolled: 12-line block ×22, first 2 shown]
	s_or_b64 exec, exec, s[2:3]
	v_or_b32_e32 v27, 0x5c0, v0
	v_cmp_gt_u32_e32 vcc, s22, v27
	s_and_saveexec_b64 s[2:3], vcc
	s_cbranch_execz .LBB5530_55
; %bb.54:
	v_lshlrev_b32_e32 v1, 1, v0
	v_add_co_u32_e32 v2, vcc, v2, v1
	v_addc_co_u32_e32 v3, vcc, 0, v3, vcc
	flat_load_ushort v1, v[2:3] offset:2944
.LBB5530_55:
	s_or_b64 exec, exec, s[2:3]
	v_lshlrev_b32_e32 v2, 1, v0
	s_waitcnt vmcnt(0) lgkmcnt(0)
	ds_write_b16 v2, v4
	ds_write_b16 v2, v5 offset:128
	ds_write_b16 v2, v6 offset:256
	;; [unrolled: 1-line block ×23, first 2 shown]
	s_waitcnt lgkmcnt(0)
	; wave barrier
.LBB5530_56:
	v_mul_u32_u24_e32 v20, 24, v0
	v_lshlrev_b32_e32 v1, 1, v20
	s_waitcnt lgkmcnt(0)
	ds_read_b128 v[10:13], v1
	ds_read_b128 v[6:9], v1 offset:16
	ds_read_b128 v[2:5], v1 offset:32
	s_cmp_lg_u32 s27, 0
	v_mbcnt_lo_u32_b32 v21, -1, 0
	s_waitcnt lgkmcnt(2)
	v_add_u16_sdwa v14, v10, v10 dst_sel:DWORD dst_unused:UNUSED_PAD src0_sel:WORD_1 src1_sel:DWORD
	v_add_u16_e32 v22, v14, v11
	v_cmp_eq_u32_e32 vcc, 63, v0
	s_waitcnt lgkmcnt(0)
	; wave barrier
	s_waitcnt lgkmcnt(0)
	s_cbranch_scc0 .LBB5530_83
; %bb.57:
	v_add_u16_sdwa v14, v22, v11 dst_sel:DWORD dst_unused:UNUSED_PAD src0_sel:DWORD src1_sel:WORD_1
	v_add_u16_e32 v14, v14, v12
	v_add_u16_sdwa v14, v14, v12 dst_sel:DWORD dst_unused:UNUSED_PAD src0_sel:DWORD src1_sel:WORD_1
	v_add_u16_e32 v14, v14, v13
	;; [unrolled: 2-line block ×10, first 2 shown]
	v_mbcnt_hi_u32_b32 v15, -1, v21
	v_add_u16_sdwa v14, v14, v5 dst_sel:DWORD dst_unused:UNUSED_PAD src0_sel:DWORD src1_sel:WORD_1
	v_and_b32_e32 v16, 15, v15
	v_cmp_ne_u32_e64 s[2:3], 0, v16
	v_mov_b32_dpp v17, v14 row_shr:1 row_mask:0xf bank_mask:0xf
	v_cndmask_b32_e64 v17, 0, v17, s[2:3]
	v_add_u16_e32 v14, v17, v14
	v_cmp_lt_u32_e64 s[2:3], 1, v16
	s_nop 0
	v_mov_b32_dpp v17, v14 row_shr:2 row_mask:0xf bank_mask:0xf
	v_cndmask_b32_e64 v17, 0, v17, s[2:3]
	v_add_u16_e32 v14, v14, v17
	v_cmp_lt_u32_e64 s[2:3], 3, v16
	s_nop 0
	;; [unrolled: 5-line block ×3, first 2 shown]
	v_mov_b32_dpp v17, v14 row_shr:8 row_mask:0xf bank_mask:0xf
	v_cndmask_b32_e64 v16, 0, v17, s[2:3]
	v_add_u16_e32 v14, v14, v16
	v_and_b32_e32 v17, 16, v15
	v_cmp_ne_u32_e64 s[2:3], 0, v17
	v_mov_b32_dpp v16, v14 row_bcast:15 row_mask:0xf bank_mask:0xf
	v_cndmask_b32_e64 v16, 0, v16, s[2:3]
	v_add_u16_e32 v14, v14, v16
	v_cmp_lt_u32_e64 s[2:3], 31, v15
	s_nop 0
	v_mov_b32_dpp v16, v14 row_bcast:31 row_mask:0xf bank_mask:0xf
	v_cndmask_b32_e64 v16, 0, v16, s[2:3]
	v_add_u16_e32 v14, v14, v16
	s_and_saveexec_b64 s[2:3], vcc
	s_cbranch_execz .LBB5530_59
; %bb.58:
	v_mov_b32_e32 v16, 0
	ds_write_b16 v16, v14
.LBB5530_59:
	s_or_b64 exec, exec, s[2:3]
	v_add_u32_e32 v16, -1, v15
	v_and_b32_e32 v17, 64, v15
	v_cmp_lt_i32_e32 vcc, v16, v17
	v_cndmask_b32_e32 v16, v16, v15, vcc
	v_lshlrev_b32_e32 v16, 2, v16
	ds_bpermute_b32 v23, v16, v14
	v_cmp_gt_u32_e32 vcc, 64, v0
	s_waitcnt lgkmcnt(0)
	; wave barrier
	s_waitcnt lgkmcnt(0)
	s_and_saveexec_b64 s[18:19], vcc
	s_cbranch_execz .LBB5530_82
; %bb.60:
	v_mov_b32_e32 v19, 0
	ds_read_u16 v24, v19
	s_mov_b32 s7, 0
	v_cmp_eq_u32_e64 s[2:3], 0, v15
	s_and_saveexec_b64 s[4:5], s[2:3]
	s_cbranch_execz .LBB5530_62
; %bb.61:
	s_add_i32 s6, s27, 64
	s_lshl_b64 s[6:7], s[6:7], 2
	s_add_u32 s6, s20, s6
	s_waitcnt lgkmcnt(0)
	v_or_b32_e32 v14, 0x10000, v24
	s_addc_u32 s7, s21, s7
	global_store_dword v19, v14, s[6:7]
.LBB5530_62:
	s_or_b64 exec, exec, s[4:5]
	v_xad_u32 v14, v15, -1, s27
	v_add_u32_e32 v18, 64, v14
	v_lshlrev_b64 v[16:17], 2, v[18:19]
	v_mov_b32_e32 v18, s21
	v_add_co_u32_e32 v16, vcc, s20, v16
	v_addc_co_u32_e32 v17, vcc, v18, v17, vcc
	global_load_dword v18, v[16:17], off glc
	s_waitcnt vmcnt(0)
	v_lshrrev_b32_e32 v28, 16, v18
	v_cmp_eq_u16_sdwa s[6:7], v28, v19 src0_sel:BYTE_0 src1_sel:DWORD
	s_and_saveexec_b64 s[4:5], s[6:7]
	s_cbranch_execz .LBB5530_68
; %bb.63:
	s_mov_b32 s28, 1
	s_mov_b64 s[6:7], 0
	v_mov_b32_e32 v19, 0
.LBB5530_64:                            ; =>This Loop Header: Depth=1
                                        ;     Child Loop BB5530_65 Depth 2
	s_max_u32 s29, s28, 1
.LBB5530_65:                            ;   Parent Loop BB5530_64 Depth=1
                                        ; =>  This Inner Loop Header: Depth=2
	s_add_i32 s29, s29, -1
	s_cmp_eq_u32 s29, 0
	s_sleep 1
	s_cbranch_scc0 .LBB5530_65
; %bb.66:                               ;   in Loop: Header=BB5530_64 Depth=1
	global_load_dword v18, v[16:17], off glc
	s_cmp_lt_u32 s28, 32
	s_cselect_b64 s[30:31], -1, 0
	s_cmp_lg_u64 s[30:31], 0
	s_addc_u32 s28, s28, 0
	s_waitcnt vmcnt(0)
	v_lshrrev_b32_e32 v28, 16, v18
	v_cmp_ne_u16_sdwa s[30:31], v28, v19 src0_sel:BYTE_0 src1_sel:DWORD
	s_or_b64 s[6:7], s[30:31], s[6:7]
	s_andn2_b64 exec, exec, s[6:7]
	s_cbranch_execnz .LBB5530_64
; %bb.67:
	s_or_b64 exec, exec, s[6:7]
.LBB5530_68:
	s_or_b64 exec, exec, s[4:5]
	v_and_b32_e32 v26, 63, v15
	v_cmp_ne_u32_e32 vcc, 63, v26
	v_mov_b32_e32 v25, 2
	v_addc_co_u32_e32 v27, vcc, 0, v15, vcc
	v_cmp_eq_u16_sdwa s[4:5], v28, v25 src0_sel:BYTE_0 src1_sel:DWORD
	v_lshlrev_b64 v[16:17], v15, -1
	v_and_b32_e32 v30, 0xffff, v18
	v_lshlrev_b32_e32 v27, 2, v27
	v_and_b32_e32 v19, s5, v17
	ds_bpermute_b32 v31, v27, v30
	v_or_b32_e32 v19, 0x80000000, v19
	v_and_b32_e32 v29, s4, v16
	v_ffbl_b32_e32 v19, v19
	v_add_u32_e32 v19, 32, v19
	v_ffbl_b32_e32 v29, v29
	v_cmp_gt_u32_e64 s[4:5], 62, v26
	v_min_u32_e32 v19, v29, v19
	v_cndmask_b32_e64 v29, 0, 1, s[4:5]
	s_waitcnt lgkmcnt(0)
	v_add_u16_e32 v31, v31, v18
	v_cmp_lt_u32_e32 vcc, v26, v19
	v_lshlrev_b32_e32 v29, 1, v29
	v_cndmask_b32_e32 v32, v30, v31, vcc
	v_add_lshl_u32 v29, v29, v15, 2
	ds_bpermute_b32 v33, v29, v32
	v_cmp_gt_u32_e64 s[6:7], 60, v26
	v_cndmask_b32_e32 v34, v18, v31, vcc
	v_add_u32_e32 v30, 2, v26
	v_cndmask_b32_e64 v31, 0, 1, s[6:7]
	s_waitcnt lgkmcnt(0)
	v_add_u16_e32 v33, v34, v33
	v_cmp_gt_u32_e64 s[4:5], v30, v19
	v_lshlrev_b32_e32 v31, 2, v31
	v_cndmask_b32_e64 v35, v33, v32, s[4:5]
	v_add_lshl_u32 v31, v31, v15, 2
	ds_bpermute_b32 v36, v31, v35
	v_cmp_gt_u32_e64 s[6:7], 56, v26
	v_cndmask_b32_e64 v34, v33, v34, s[4:5]
	v_add_u32_e32 v32, 4, v26
	v_cndmask_b32_e64 v33, 0, 1, s[6:7]
	s_waitcnt lgkmcnt(0)
	v_add_u16_e32 v36, v34, v36
	v_cmp_gt_u32_e64 s[4:5], v32, v19
	v_lshlrev_b32_e32 v33, 3, v33
	v_cndmask_b32_e64 v35, v36, v35, s[4:5]
	v_add_lshl_u32 v33, v33, v15, 2
	ds_bpermute_b32 v37, v33, v35
	v_cndmask_b32_e64 v36, v36, v34, s[4:5]
	v_add_u32_e32 v34, 8, v26
	v_cmp_gt_u32_e64 s[4:5], v34, v19
	v_cmp_gt_u32_e64 s[6:7], 48, v26
	s_waitcnt lgkmcnt(0)
	v_add_u16_e32 v37, v36, v37
	v_cndmask_b32_e64 v38, v37, v35, s[4:5]
	v_cndmask_b32_e64 v35, 0, 1, s[6:7]
	v_lshlrev_b32_e32 v35, 4, v35
	v_add_lshl_u32 v35, v35, v15, 2
	ds_bpermute_b32 v39, v35, v38
	v_cndmask_b32_e64 v37, v37, v36, s[4:5]
	v_add_u32_e32 v36, 16, v26
	v_cmp_gt_u32_e64 s[4:5], v36, v19
	v_cmp_gt_u32_e64 s[6:7], 32, v26
	s_waitcnt lgkmcnt(0)
	v_add_u16_e32 v40, v37, v39
	v_cndmask_b32_e64 v39, v40, v38, s[4:5]
	v_cndmask_b32_e64 v38, 0, 1, s[6:7]
	v_lshlrev_b32_e32 v38, 5, v38
	v_add_lshl_u32 v38, v38, v15, 2
	ds_bpermute_b32 v15, v38, v39
	v_add_u32_e32 v39, 32, v26
	v_cndmask_b32_e64 v37, v40, v37, s[4:5]
	v_cmp_le_u32_e64 s[4:5], v39, v19
	s_waitcnt lgkmcnt(0)
	v_cndmask_b32_e64 v15, 0, v15, s[4:5]
	v_add_u16_e32 v15, v37, v15
	v_cndmask_b32_e32 v18, v18, v15, vcc
	v_mov_b32_e32 v15, 0
	s_branch .LBB5530_70
.LBB5530_69:                            ;   in Loop: Header=BB5530_70 Depth=1
	s_or_b64 exec, exec, s[4:5]
	v_cmp_eq_u16_sdwa s[4:5], v28, v25 src0_sel:BYTE_0 src1_sel:DWORD
	v_and_b32_e32 v41, 0xffff, v40
	v_and_b32_e32 v18, s5, v17
	ds_bpermute_b32 v42, v27, v41
	v_or_b32_e32 v18, 0x80000000, v18
	v_and_b32_e32 v19, s4, v16
	v_ffbl_b32_e32 v18, v18
	v_add_u32_e32 v18, 32, v18
	v_ffbl_b32_e32 v19, v19
	v_min_u32_e32 v18, v19, v18
	s_waitcnt lgkmcnt(0)
	v_add_u16_e32 v19, v42, v40
	v_cmp_lt_u32_e32 vcc, v26, v18
	v_cndmask_b32_e32 v41, v41, v19, vcc
	ds_bpermute_b32 v42, v29, v41
	v_cndmask_b32_e32 v19, v40, v19, vcc
	v_cmp_gt_u32_e64 s[4:5], v30, v18
	v_subrev_u32_e32 v14, 64, v14
	s_waitcnt lgkmcnt(0)
	v_add_u16_e32 v42, v19, v42
	v_cndmask_b32_e64 v41, v42, v41, s[4:5]
	ds_bpermute_b32 v43, v31, v41
	v_cndmask_b32_e64 v19, v42, v19, s[4:5]
	v_cmp_gt_u32_e64 s[4:5], v32, v18
	s_waitcnt lgkmcnt(0)
	v_add_u16_e32 v42, v19, v43
	v_cndmask_b32_e64 v41, v42, v41, s[4:5]
	ds_bpermute_b32 v43, v33, v41
	v_cndmask_b32_e64 v19, v42, v19, s[4:5]
	v_cmp_gt_u32_e64 s[4:5], v34, v18
	;; [unrolled: 6-line block ×3, first 2 shown]
	s_waitcnt lgkmcnt(0)
	v_add_u16_e32 v42, v19, v43
	v_cndmask_b32_e64 v41, v42, v41, s[4:5]
	ds_bpermute_b32 v41, v38, v41
	v_cndmask_b32_e64 v19, v42, v19, s[4:5]
	v_cmp_le_u32_e64 s[4:5], v39, v18
	s_waitcnt lgkmcnt(0)
	v_cndmask_b32_e64 v18, 0, v41, s[4:5]
	v_add_u16_e32 v18, v19, v18
	v_cndmask_b32_e32 v18, v40, v18, vcc
	v_add_u16_e32 v18, v18, v37
.LBB5530_70:                            ; =>This Loop Header: Depth=1
                                        ;     Child Loop BB5530_73 Depth 2
                                        ;       Child Loop BB5530_74 Depth 3
	v_cmp_ne_u16_sdwa s[4:5], v28, v25 src0_sel:BYTE_0 src1_sel:DWORD
	v_cndmask_b32_e64 v19, 0, 1, s[4:5]
	;;#ASMSTART
	;;#ASMEND
	v_cmp_ne_u32_e32 vcc, 0, v19
	s_cmp_lg_u64 vcc, exec
	v_mov_b32_e32 v37, v18
	s_cbranch_scc1 .LBB5530_77
; %bb.71:                               ;   in Loop: Header=BB5530_70 Depth=1
	v_lshlrev_b64 v[18:19], 2, v[14:15]
	v_mov_b32_e32 v28, s21
	v_add_co_u32_e32 v18, vcc, s20, v18
	v_addc_co_u32_e32 v19, vcc, v28, v19, vcc
	global_load_dword v40, v[18:19], off glc
	s_waitcnt vmcnt(0)
	v_lshrrev_b32_e32 v28, 16, v40
	v_cmp_eq_u16_sdwa s[6:7], v28, v15 src0_sel:BYTE_0 src1_sel:DWORD
	s_and_saveexec_b64 s[4:5], s[6:7]
	s_cbranch_execz .LBB5530_69
; %bb.72:                               ;   in Loop: Header=BB5530_70 Depth=1
	s_mov_b32 s28, 1
	s_mov_b64 s[6:7], 0
.LBB5530_73:                            ;   Parent Loop BB5530_70 Depth=1
                                        ; =>  This Loop Header: Depth=2
                                        ;       Child Loop BB5530_74 Depth 3
	s_max_u32 s29, s28, 1
.LBB5530_74:                            ;   Parent Loop BB5530_70 Depth=1
                                        ;     Parent Loop BB5530_73 Depth=2
                                        ; =>    This Inner Loop Header: Depth=3
	s_add_i32 s29, s29, -1
	s_cmp_eq_u32 s29, 0
	s_sleep 1
	s_cbranch_scc0 .LBB5530_74
; %bb.75:                               ;   in Loop: Header=BB5530_73 Depth=2
	global_load_dword v40, v[18:19], off glc
	s_cmp_lt_u32 s28, 32
	s_cselect_b64 s[30:31], -1, 0
	s_cmp_lg_u64 s[30:31], 0
	s_addc_u32 s28, s28, 0
	s_waitcnt vmcnt(0)
	v_lshrrev_b32_e32 v28, 16, v40
	v_cmp_ne_u16_sdwa s[30:31], v28, v15 src0_sel:BYTE_0 src1_sel:DWORD
	s_or_b64 s[6:7], s[30:31], s[6:7]
	s_andn2_b64 exec, exec, s[6:7]
	s_cbranch_execnz .LBB5530_73
; %bb.76:                               ;   in Loop: Header=BB5530_70 Depth=1
	s_or_b64 exec, exec, s[6:7]
	s_branch .LBB5530_69
.LBB5530_77:                            ;   in Loop: Header=BB5530_70 Depth=1
                                        ; implicit-def: $vgpr18
                                        ; implicit-def: $vgpr28
	s_cbranch_execz .LBB5530_70
; %bb.78:
	s_and_saveexec_b64 s[4:5], s[2:3]
	s_cbranch_execz .LBB5530_80
; %bb.79:
	s_add_i32 s2, s27, 64
	s_mov_b32 s3, 0
	s_lshl_b64 s[2:3], s[2:3], 2
	v_add_u16_e32 v14, v37, v24
	s_add_u32 s2, s20, s2
	v_or_b32_e32 v14, 0x20000, v14
	s_addc_u32 s3, s21, s3
	v_mov_b32_e32 v15, 0
	global_store_dword v15, v14, s[2:3]
.LBB5530_80:
	s_or_b64 exec, exec, s[4:5]
	s_and_b64 exec, exec, s[0:1]
	s_cbranch_execz .LBB5530_82
; %bb.81:
	v_mov_b32_e32 v14, 0
	ds_write_b16 v14, v37
.LBB5530_82:
	s_or_b64 exec, exec, s[18:19]
	v_mov_b32_e32 v14, 0
	s_waitcnt lgkmcnt(0)
	; wave barrier
	s_waitcnt lgkmcnt(0)
	ds_read_u16 v14, v14
	v_cndmask_b32_e64 v15, v23, 0, s[0:1]
	s_waitcnt lgkmcnt(0)
	v_add_u16_e32 v15, v14, v15
	s_branch .LBB5530_91
.LBB5530_83:
                                        ; implicit-def: $vgpr15
	s_cbranch_execz .LBB5530_91
; %bb.84:
	s_cmp_eq_u64 s[12:13], 0
	v_mov_b32_e32 v14, s24
	s_cbranch_scc1 .LBB5530_86
; %bb.85:
	v_mov_b32_e32 v15, s26
	v_add_co_u32_e64 v14, vcc, -2, s25
	v_addc_co_u32_e32 v15, vcc, -1, v15, vcc
	v_mov_b32_e32 v16, 0
	flat_load_ushort v17, v[14:15]
	global_load_ushort v18, v16, s[8:9]
	s_waitcnt vmcnt(0) lgkmcnt(0)
	v_add_u16_e32 v14, v18, v17
.LBB5530_86:
	v_add_u16_sdwa v15, v22, v11 dst_sel:DWORD dst_unused:UNUSED_PAD src0_sel:DWORD src1_sel:WORD_1
	v_add_u16_e32 v15, v15, v12
	v_add_u16_sdwa v15, v15, v12 dst_sel:DWORD dst_unused:UNUSED_PAD src0_sel:DWORD src1_sel:WORD_1
	v_add_u16_e32 v15, v15, v13
	;; [unrolled: 2-line block ×10, first 2 shown]
	v_add_u16_sdwa v16, v15, v5 dst_sel:DWORD dst_unused:UNUSED_PAD src0_sel:DWORD src1_sel:WORD_1
	v_mbcnt_hi_u32_b32 v15, -1, v21
	v_and_b32_e32 v17, 15, v15
	v_mov_b32_dpp v18, v16 row_shr:1 row_mask:0xf bank_mask:0xf
	v_cmp_ne_u32_e32 vcc, 0, v17
	v_cndmask_b32_e32 v18, 0, v18, vcc
	v_add_u16_e32 v16, v18, v16
	v_cmp_lt_u32_e32 vcc, 1, v17
	s_nop 0
	v_mov_b32_dpp v18, v16 row_shr:2 row_mask:0xf bank_mask:0xf
	v_cndmask_b32_e32 v18, 0, v18, vcc
	v_add_u16_e32 v16, v16, v18
	v_cmp_lt_u32_e32 vcc, 3, v17
	s_nop 0
	v_mov_b32_dpp v18, v16 row_shr:4 row_mask:0xf bank_mask:0xf
	;; [unrolled: 5-line block ×3, first 2 shown]
	v_cndmask_b32_e32 v17, 0, v18, vcc
	v_add_u16_e32 v16, v16, v17
	v_and_b32_e32 v18, 16, v15
	v_cmp_ne_u32_e32 vcc, 0, v18
	v_mov_b32_dpp v17, v16 row_bcast:15 row_mask:0xf bank_mask:0xf
	v_cndmask_b32_e32 v17, 0, v17, vcc
	v_add_u16_e32 v16, v16, v17
	v_cmp_lt_u32_e32 vcc, 31, v15
	s_nop 0
	v_mov_b32_dpp v17, v16 row_bcast:31 row_mask:0xf bank_mask:0xf
	v_cndmask_b32_e32 v17, 0, v17, vcc
	v_add_u16_e32 v16, v16, v17
	v_cmp_eq_u32_e32 vcc, 63, v0
	s_and_saveexec_b64 s[2:3], vcc
	s_cbranch_execz .LBB5530_88
; %bb.87:
	v_mov_b32_e32 v17, 0
	ds_write_b16 v17, v16
.LBB5530_88:
	s_or_b64 exec, exec, s[2:3]
	v_add_u32_e32 v17, -1, v15
	v_and_b32_e32 v18, 64, v15
	v_cmp_lt_i32_e32 vcc, v17, v18
	v_cndmask_b32_e32 v17, v17, v15, vcc
	v_add_u16_e32 v16, v16, v14
	v_lshlrev_b32_e32 v17, 2, v17
	ds_bpermute_b32 v16, v17, v16
	v_cmp_eq_u32_e32 vcc, 0, v15
	s_or_b64 vcc, s[0:1], vcc
	s_waitcnt lgkmcnt(0)
	; wave barrier
	s_waitcnt lgkmcnt(0)
	v_cndmask_b32_e32 v15, v16, v14, vcc
	s_and_saveexec_b64 s[2:3], s[0:1]
	s_cbranch_execz .LBB5530_90
; %bb.89:
	v_mov_b32_e32 v15, 0
	ds_read_u16 v16, v15
	s_waitcnt lgkmcnt(0)
	v_add_u16_e32 v16, v16, v14
	v_or_b32_e32 v16, 0x20000, v16
	global_store_dword v15, v16, s[20:21] offset:256
	v_mov_b32_e32 v15, v14
.LBB5530_90:
	s_or_b64 exec, exec, s[2:3]
.LBB5530_91:
	v_add_u16_e32 v14, v15, v10
	v_add_u16_sdwa v10, v14, v10 dst_sel:DWORD dst_unused:UNUSED_PAD src0_sel:DWORD src1_sel:WORD_1
	v_add_u16_e32 v16, v10, v11
	v_add_u16_sdwa v11, v16, v11 dst_sel:DWORD dst_unused:UNUSED_PAD src0_sel:DWORD src1_sel:WORD_1
	;; [unrolled: 2-line block ×11, first 2 shown]
	s_mov_b32 s0, 0x5040100
	v_add_u16_e32 v30, v29, v5
	v_perm_b32 v3, v16, v10, s0
	v_perm_b32 v4, v17, v11, s0
	;; [unrolled: 1-line block ×4, first 2 shown]
	s_waitcnt lgkmcnt(0)
	; wave barrier
	ds_write_b128 v1, v[2:5]
	v_perm_b32 v2, v19, v13, s0
	v_perm_b32 v3, v21, v6, s0
	;; [unrolled: 1-line block ×4, first 2 shown]
	ds_write_b128 v1, v[2:5] offset:16
	v_perm_b32 v2, v24, v9, s0
	v_perm_b32 v3, v26, v25, s0
	;; [unrolled: 1-line block ×4, first 2 shown]
	s_mov_b64 s[0:1], -1
	s_and_b64 vcc, exec, s[16:17]
	ds_write_b128 v1, v[2:5] offset:32
	s_waitcnt lgkmcnt(0)
	s_cbranch_vccz .LBB5530_93
; %bb.92:
	; wave barrier
	s_mov_b64 s[0:1], 0
.LBB5530_93:
	s_andn2_b64 vcc, exec, s[0:1]
	s_cbranch_vccnz .LBB5530_102
; %bb.94:
	v_cmp_lt_u64_e64 s[0:1], s[14:15], 2
	s_and_b64 vcc, exec, s[0:1]
	; wave barrier
	s_cbranch_vccnz .LBB5530_102
; %bb.95:
	s_add_u32 s0, s22, -1
	s_addc_u32 s1, s23, -1
	s_add_u32 s2, 0, 0xaaaa0000
	s_addc_u32 s3, 0, 42
	s_add_i32 s3, s3, 0xaaaaa80
	s_mul_hi_u32 s7, s2, 0xffffffe8
	s_sub_i32 s7, s7, s2
	s_mul_i32 s8, s3, 0xffffffe8
	s_mul_i32 s4, s2, 0xffffffe8
	s_add_i32 s7, s7, s8
	s_mul_hi_u32 s5, s3, s4
	s_mul_i32 s6, s3, s4
	s_mul_i32 s9, s2, s7
	s_mul_hi_u32 s4, s2, s4
	s_mul_hi_u32 s8, s2, s7
	s_add_u32 s4, s4, s9
	s_addc_u32 s8, 0, s8
	s_add_u32 s4, s4, s6
	s_mul_hi_u32 s9, s3, s7
	s_addc_u32 s4, s8, s5
	s_addc_u32 s5, s9, 0
	s_mul_i32 s6, s3, s7
	s_add_u32 s4, s4, s6
	v_mov_b32_e32 v2, s4
	s_addc_u32 s5, 0, s5
	v_add_co_u32_e32 v2, vcc, s2, v2
	s_cmp_lg_u64 vcc, 0
	s_addc_u32 s2, s3, s5
	v_readfirstlane_b32 s5, v2
	s_mul_i32 s4, s0, s2
	s_mul_hi_u32 s6, s0, s5
	s_mul_hi_u32 s3, s0, s2
	s_add_u32 s4, s6, s4
	s_addc_u32 s3, 0, s3
	s_mul_hi_u32 s7, s1, s5
	s_mul_i32 s5, s1, s5
	s_add_u32 s4, s4, s5
	s_mul_hi_u32 s6, s1, s2
	s_addc_u32 s3, s3, s7
	s_addc_u32 s4, s6, 0
	s_mul_i32 s2, s1, s2
	s_add_u32 s2, s3, s2
	s_addc_u32 s3, 0, s4
	s_add_u32 s4, s2, 1
	s_addc_u32 s5, s3, 0
	s_add_u32 s6, s2, 2
	s_mul_i32 s8, s3, 24
	s_mul_hi_u32 s9, s2, 24
	s_addc_u32 s7, s3, 0
	s_add_i32 s9, s9, s8
	s_mul_i32 s8, s2, 24
	v_mov_b32_e32 v2, s8
	v_sub_co_u32_e32 v2, vcc, s0, v2
	s_cmp_lg_u64 vcc, 0
	s_subb_u32 s8, s1, s9
	v_subrev_co_u32_e32 v3, vcc, 24, v2
	s_cmp_lg_u64 vcc, 0
	s_subb_u32 s9, s8, 0
	v_readfirstlane_b32 s12, v3
	s_cmp_gt_u32 s12, 23
	s_cselect_b32 s12, -1, 0
	s_cmp_eq_u32 s9, 0
	s_cselect_b32 s9, s12, -1
	s_cmp_lg_u32 s9, 0
	s_cselect_b32 s4, s6, s4
	v_readfirstlane_b32 s6, v2
	s_cselect_b32 s5, s7, s5
	s_cmp_gt_u32 s6, 23
	s_cselect_b32 s6, -1, 0
	s_cmp_eq_u32 s8, 0
	s_cselect_b32 s6, s6, -1
	s_cmp_lg_u32 s6, 0
	v_mov_b32_e32 v1, 0
	s_cselect_b32 s3, s5, s3
	s_cselect_b32 s2, s4, s2
	v_cmp_eq_u64_e32 vcc, s[2:3], v[0:1]
	s_and_saveexec_b64 s[2:3], vcc
	s_cbranch_execz .LBB5530_102
; %bb.96:
	v_lshlrev_b32_e32 v2, 1, v0
	v_mul_hi_u32_u24_e32 v1, 24, v0
	v_mov_b32_e32 v3, s1
	v_sub_co_u32_e32 v0, vcc, s0, v20
	v_subb_co_u32_e32 v1, vcc, v3, v1, vcc
	v_cmp_lt_i64_e32 vcc, 11, v[0:1]
	s_mov_b64 s[0:1], 0
	s_mov_b64 s[8:9], 0
	;; [unrolled: 1-line block ×4, first 2 shown]
                                        ; implicit-def: $vgpr3
                                        ; implicit-def: $vgpr4
                                        ; implicit-def: $vgpr5
	s_and_saveexec_b64 s[2:3], vcc
	s_xor_b64 s[2:3], exec, s[2:3]
	s_cbranch_execnz .LBB5530_103
; %bb.97:
	s_andn2_saveexec_b64 s[2:3], s[2:3]
	s_cbranch_execnz .LBB5530_148
.LBB5530_98:
	s_or_b64 exec, exec, s[2:3]
	s_and_saveexec_b64 s[2:3], s[8:9]
	s_cbranch_execnz .LBB5530_165
.LBB5530_99:
	s_or_b64 exec, exec, s[2:3]
	s_and_saveexec_b64 s[2:3], s[6:7]
	s_cbranch_execnz .LBB5530_166
.LBB5530_100:
	s_or_b64 exec, exec, s[2:3]
	s_and_saveexec_b64 s[2:3], s[4:5]
	s_xor_b64 s[2:3], exec, s[2:3]
	s_cbranch_execnz .LBB5530_167
.LBB5530_101:
	s_or_b64 exec, exec, s[2:3]
	s_and_b64 exec, exec, s[0:1]
	s_cbranch_execnz .LBB5530_168
.LBB5530_102:
	s_endpgm
.LBB5530_103:
	v_cmp_lt_i64_e32 vcc, 17, v[0:1]
                                        ; implicit-def: $vgpr3
                                        ; implicit-def: $vgpr4
                                        ; implicit-def: $vgpr5
	s_and_saveexec_b64 s[12:13], vcc
	s_xor_b64 s[12:13], exec, s[12:13]
	s_cbranch_execz .LBB5530_125
; %bb.104:
	v_cmp_lt_i64_e32 vcc, 20, v[0:1]
                                        ; implicit-def: $vgpr3
                                        ; implicit-def: $vgpr4
	s_and_saveexec_b64 s[14:15], vcc
	s_xor_b64 s[14:15], exec, s[14:15]
	s_cbranch_execz .LBB5530_114
; %bb.105:
	v_cmp_lt_i64_e32 vcc, 21, v[0:1]
	s_mov_b64 s[16:17], 0
                                        ; implicit-def: $vgpr3
	s_and_saveexec_b64 s[4:5], vcc
	s_xor_b64 s[4:5], exec, s[4:5]
	s_cbranch_execz .LBB5530_111
; %bb.106:
	v_cmp_lt_i64_e32 vcc, 22, v[0:1]
	s_and_saveexec_b64 s[16:17], vcc
	s_xor_b64 s[16:17], exec, s[16:17]
	s_cbranch_execz .LBB5530_108
; %bb.107:
	ds_read_u16 v3, v2 offset:2944
	v_mov_b32_e32 v4, 0
	s_waitcnt lgkmcnt(0)
	global_store_short v4, v3, s[10:11]
.LBB5530_108:
	s_or_saveexec_b64 s[16:17], s[16:17]
	s_mov_b64 s[18:19], 0
                                        ; implicit-def: $vgpr3
	s_xor_b64 exec, exec, s[16:17]
	s_cbranch_execz .LBB5530_110
; %bb.109:
	ds_read_u16 v3, v2 offset:2816
	s_mov_b64 s[18:19], exec
.LBB5530_110:
	s_or_b64 exec, exec, s[16:17]
	s_and_b64 s[16:17], s[18:19], exec
.LBB5530_111:
	s_or_saveexec_b64 s[4:5], s[4:5]
                                        ; implicit-def: $vgpr4
	s_xor_b64 exec, exec, s[4:5]
	s_cbranch_execz .LBB5530_113
; %bb.112:
	ds_read_u16 v4, v2 offset:2688
	s_mov_b64 s[6:7], exec
                                        ; implicit-def: $vgpr3
.LBB5530_113:
	s_or_b64 exec, exec, s[4:5]
	s_and_b64 s[4:5], s[16:17], exec
	s_and_b64 s[6:7], s[6:7], exec
.LBB5530_114:
	s_or_saveexec_b64 s[14:15], s[14:15]
                                        ; implicit-def: $vgpr5
	s_xor_b64 exec, exec, s[14:15]
	s_cbranch_execz .LBB5530_124
; %bb.115:
	v_cmp_lt_i64_e32 vcc, 18, v[0:1]
	s_mov_b64 s[16:17], 0
                                        ; implicit-def: $vgpr5
	s_and_saveexec_b64 s[8:9], vcc
	s_xor_b64 s[8:9], exec, s[8:9]
	s_cbranch_execz .LBB5530_121
; %bb.116:
	v_cmp_lt_i64_e32 vcc, 19, v[0:1]
                                        ; implicit-def: $vgpr5
	s_and_saveexec_b64 s[18:19], vcc
	s_xor_b64 s[18:19], exec, s[18:19]
	s_cbranch_execz .LBB5530_118
; %bb.117:
	ds_read_u16 v5, v2 offset:2560
	s_mov_b64 s[16:17], exec
.LBB5530_118:
	s_andn2_saveexec_b64 s[18:19], s[18:19]
	s_cbranch_execz .LBB5530_120
; %bb.119:
	s_waitcnt lgkmcnt(0)
	ds_read_u16 v3, v2 offset:2432
	v_mov_b32_e32 v4, 0
                                        ; implicit-def: $vgpr5
	s_waitcnt lgkmcnt(0)
	global_store_short v4, v3, s[10:11]
.LBB5530_120:
	s_or_b64 exec, exec, s[18:19]
	s_and_b64 s[16:17], s[16:17], exec
.LBB5530_121:
	s_andn2_saveexec_b64 s[8:9], s[8:9]
	s_cbranch_execz .LBB5530_123
; %bb.122:
	s_waitcnt lgkmcnt(0)
	ds_read_u16 v3, v2 offset:2304
	v_mov_b32_e32 v4, 0
                                        ; implicit-def: $vgpr5
	s_waitcnt lgkmcnt(0)
	global_store_short v4, v3, s[10:11]
.LBB5530_123:
	s_or_b64 exec, exec, s[8:9]
	s_and_b64 s[8:9], s[16:17], exec
                                        ; implicit-def: $vgpr3
                                        ; implicit-def: $vgpr4
.LBB5530_124:
	s_or_b64 exec, exec, s[14:15]
	s_and_b64 s[4:5], s[4:5], exec
	s_and_b64 s[6:7], s[6:7], exec
	;; [unrolled: 1-line block ×3, first 2 shown]
.LBB5530_125:
	s_andn2_saveexec_b64 s[12:13], s[12:13]
	s_cbranch_execz .LBB5530_147
; %bb.126:
	v_cmp_lt_i64_e32 vcc, 14, v[0:1]
	s_mov_b64 s[14:15], s[4:5]
                                        ; implicit-def: $vgpr3
	s_and_saveexec_b64 s[16:17], vcc
	s_xor_b64 s[16:17], exec, s[16:17]
	s_cbranch_execz .LBB5530_136
; %bb.127:
	v_cmp_lt_i64_e32 vcc, 15, v[0:1]
	s_and_saveexec_b64 s[14:15], vcc
	s_xor_b64 s[14:15], exec, s[14:15]
	s_cbranch_execz .LBB5530_133
; %bb.128:
	v_cmp_lt_i64_e32 vcc, 16, v[0:1]
	s_and_saveexec_b64 s[18:19], vcc
	s_xor_b64 s[18:19], exec, s[18:19]
	s_cbranch_execz .LBB5530_130
; %bb.129:
	s_waitcnt lgkmcnt(0)
	ds_read_u16 v3, v2 offset:2176
	v_mov_b32_e32 v4, 0
	s_waitcnt lgkmcnt(0)
	global_store_short v4, v3, s[10:11]
.LBB5530_130:
	s_andn2_saveexec_b64 s[18:19], s[18:19]
	s_cbranch_execz .LBB5530_132
; %bb.131:
	s_waitcnt lgkmcnt(0)
	ds_read_u16 v3, v2 offset:2048
	v_mov_b32_e32 v4, 0
	s_waitcnt lgkmcnt(0)
	global_store_short v4, v3, s[10:11]
.LBB5530_132:
	s_or_b64 exec, exec, s[18:19]
.LBB5530_133:
	s_or_saveexec_b64 s[14:15], s[14:15]
	s_mov_b64 s[18:19], s[4:5]
                                        ; implicit-def: $vgpr3
	s_xor_b64 exec, exec, s[14:15]
	s_cbranch_execz .LBB5530_135
; %bb.134:
	s_waitcnt lgkmcnt(0)
	ds_read_u16 v3, v2 offset:1920
	s_or_b64 s[18:19], s[4:5], exec
.LBB5530_135:
	s_or_b64 exec, exec, s[14:15]
	s_andn2_b64 s[14:15], s[4:5], exec
	s_and_b64 s[18:19], s[18:19], exec
	s_or_b64 s[14:15], s[14:15], s[18:19]
.LBB5530_136:
	s_or_saveexec_b64 s[16:17], s[16:17]
	s_mov_b64 s[18:19], s[6:7]
                                        ; implicit-def: $vgpr4
	s_xor_b64 exec, exec, s[16:17]
	s_cbranch_execz .LBB5530_146
; %bb.137:
	v_cmp_lt_i64_e32 vcc, 12, v[0:1]
	s_mov_b64 s[20:21], s[6:7]
	s_mov_b64 s[22:23], s[14:15]
                                        ; implicit-def: $vgpr3
                                        ; implicit-def: $vgpr4
	s_and_saveexec_b64 s[18:19], vcc
	s_xor_b64 s[18:19], exec, s[18:19]
	s_cbranch_execz .LBB5530_143
; %bb.138:
	v_cmp_lt_i64_e32 vcc, 13, v[0:1]
	s_mov_b64 s[20:21], s[14:15]
                                        ; implicit-def: $vgpr3
	s_and_saveexec_b64 s[22:23], vcc
	s_xor_b64 s[22:23], exec, s[22:23]
	s_cbranch_execz .LBB5530_140
; %bb.139:
	s_waitcnt lgkmcnt(0)
	ds_read_u16 v3, v2 offset:1792
	s_or_b64 s[20:21], s[14:15], exec
.LBB5530_140:
	s_or_saveexec_b64 s[22:23], s[22:23]
	s_mov_b64 s[24:25], s[6:7]
                                        ; implicit-def: $vgpr4
	s_xor_b64 exec, exec, s[22:23]
	s_cbranch_execz .LBB5530_142
; %bb.141:
	s_waitcnt lgkmcnt(0)
	ds_read_u16 v4, v2 offset:1664
	s_or_b64 s[24:25], s[6:7], exec
                                        ; implicit-def: $vgpr3
.LBB5530_142:
	s_or_b64 exec, exec, s[22:23]
	s_andn2_b64 s[22:23], s[14:15], exec
	s_and_b64 s[20:21], s[20:21], exec
	s_or_b64 s[22:23], s[22:23], s[20:21]
	s_andn2_b64 s[20:21], s[6:7], exec
	s_and_b64 s[24:25], s[24:25], exec
	s_or_b64 s[20:21], s[20:21], s[24:25]
.LBB5530_143:
	s_andn2_saveexec_b64 s[18:19], s[18:19]
	s_cbranch_execz .LBB5530_145
; %bb.144:
	s_waitcnt lgkmcnt(0)
	ds_read_u16 v4, v2 offset:1536
	s_or_b64 s[20:21], s[20:21], exec
                                        ; implicit-def: $vgpr3
.LBB5530_145:
	s_or_b64 exec, exec, s[18:19]
	s_andn2_b64 s[14:15], s[14:15], exec
	s_and_b64 s[18:19], s[22:23], exec
	s_or_b64 s[14:15], s[14:15], s[18:19]
	s_andn2_b64 s[18:19], s[6:7], exec
	s_and_b64 s[20:21], s[20:21], exec
	s_or_b64 s[18:19], s[18:19], s[20:21]
.LBB5530_146:
	s_or_b64 exec, exec, s[16:17]
	s_andn2_b64 s[4:5], s[4:5], exec
	s_and_b64 s[14:15], s[14:15], exec
	s_or_b64 s[4:5], s[4:5], s[14:15]
	s_andn2_b64 s[6:7], s[6:7], exec
	s_and_b64 s[14:15], s[18:19], exec
	s_or_b64 s[6:7], s[6:7], s[14:15]
                                        ; implicit-def: $vgpr5
.LBB5530_147:
	s_or_b64 exec, exec, s[12:13]
	s_and_b64 s[4:5], s[4:5], exec
	s_and_b64 s[6:7], s[6:7], exec
	;; [unrolled: 1-line block ×3, first 2 shown]
	s_andn2_saveexec_b64 s[2:3], s[2:3]
	s_cbranch_execz .LBB5530_98
.LBB5530_148:
	v_cmp_lt_i64_e32 vcc, 5, v[0:1]
	s_mov_b64 s[14:15], -1
	s_mov_b64 s[12:13], s[8:9]
	s_mov_b64 s[16:17], s[6:7]
	;; [unrolled: 1-line block ×3, first 2 shown]
                                        ; implicit-def: $vgpr3
                                        ; implicit-def: $vgpr4
                                        ; implicit-def: $vgpr5
	s_and_saveexec_b64 s[0:1], vcc
	s_cbranch_execz .LBB5530_164
; %bb.149:
	v_cmp_lt_i64_e32 vcc, 8, v[0:1]
	s_mov_b64 s[12:13], s[8:9]
                                        ; implicit-def: $vgpr5
	s_and_saveexec_b64 s[14:15], vcc
	s_xor_b64 s[14:15], exec, s[14:15]
	s_cbranch_execz .LBB5530_159
; %bb.150:
	v_cmp_lt_i64_e32 vcc, 9, v[0:1]
                                        ; implicit-def: $vgpr5
	s_and_saveexec_b64 s[12:13], vcc
	s_xor_b64 s[12:13], exec, s[12:13]
	s_cbranch_execz .LBB5530_156
; %bb.151:
	v_cmp_lt_i64_e32 vcc, 10, v[0:1]
                                        ; implicit-def: $vgpr5
	s_and_saveexec_b64 s[16:17], vcc
	s_xor_b64 s[16:17], exec, s[16:17]
	s_cbranch_execz .LBB5530_153
; %bb.152:
	s_waitcnt lgkmcnt(0)
	ds_read_u16 v5, v2 offset:1408
.LBB5530_153:
	s_andn2_saveexec_b64 s[16:17], s[16:17]
	s_cbranch_execz .LBB5530_155
; %bb.154:
	s_waitcnt lgkmcnt(0)
	ds_read_u16 v5, v2 offset:1280
.LBB5530_155:
	s_or_b64 exec, exec, s[16:17]
.LBB5530_156:
	s_andn2_saveexec_b64 s[12:13], s[12:13]
	s_cbranch_execz .LBB5530_158
; %bb.157:
	s_waitcnt lgkmcnt(0)
	ds_read_u16 v5, v2 offset:1152
.LBB5530_158:
	s_or_b64 exec, exec, s[12:13]
	s_or_b64 s[12:13], s[8:9], exec
.LBB5530_159:
	s_or_saveexec_b64 s[14:15], s[14:15]
	s_mov_b64 s[16:17], s[6:7]
	s_mov_b64 s[20:21], s[4:5]
                                        ; implicit-def: $vgpr3
                                        ; implicit-def: $vgpr4
	s_xor_b64 exec, exec, s[14:15]
	s_cbranch_execz .LBB5530_163
; %bb.160:
	s_waitcnt lgkmcnt(0)
	ds_read_u16 v3, v2 offset:768
	v_cmp_lt_i64_e32 vcc, 6, v[0:1]
	s_mov_b64 s[20:21], -1
	s_mov_b64 s[18:19], s[12:13]
	s_mov_b64 s[16:17], s[6:7]
                                        ; implicit-def: $vgpr4
                                        ; implicit-def: $vgpr5
	s_and_saveexec_b64 s[22:23], vcc
	s_cbranch_execz .LBB5530_162
; %bb.161:
	ds_read_u16 v4, v2 offset:896
	ds_read_u16 v5, v2 offset:1024
	v_cmp_lt_i64_e32 vcc, 7, v[0:1]
	s_andn2_b64 s[18:19], s[12:13], exec
	s_and_b64 s[24:25], vcc, exec
	s_xor_b64 s[20:21], exec, -1
	s_or_b64 s[16:17], s[6:7], exec
	s_or_b64 s[18:19], s[18:19], s[24:25]
                                        ; implicit-def: $vgpr3
.LBB5530_162:
	s_or_b64 exec, exec, s[22:23]
	s_andn2_b64 s[22:23], s[4:5], exec
	s_and_b64 s[20:21], s[20:21], exec
	s_or_b64 s[20:21], s[22:23], s[20:21]
	s_andn2_b64 s[22:23], s[6:7], exec
	s_and_b64 s[16:17], s[16:17], exec
	s_andn2_b64 s[12:13], s[12:13], exec
	s_and_b64 s[18:19], s[18:19], exec
	s_or_b64 s[16:17], s[22:23], s[16:17]
	s_or_b64 s[12:13], s[12:13], s[18:19]
.LBB5530_163:
	s_or_b64 exec, exec, s[14:15]
	s_andn2_b64 s[18:19], s[4:5], exec
	s_and_b64 s[20:21], s[20:21], exec
	s_or_b64 s[18:19], s[18:19], s[20:21]
	s_andn2_b64 s[20:21], s[6:7], exec
	s_and_b64 s[16:17], s[16:17], exec
	s_or_b64 s[16:17], s[20:21], s[16:17]
	s_andn2_b64 s[20:21], s[8:9], exec
	s_and_b64 s[12:13], s[12:13], exec
	s_xor_b64 s[14:15], exec, -1
	s_or_b64 s[12:13], s[20:21], s[12:13]
.LBB5530_164:
	s_or_b64 exec, exec, s[0:1]
	s_and_b64 s[0:1], s[14:15], exec
	s_andn2_b64 s[4:5], s[4:5], exec
	s_and_b64 s[14:15], s[18:19], exec
	s_or_b64 s[4:5], s[4:5], s[14:15]
	s_andn2_b64 s[6:7], s[6:7], exec
	s_and_b64 s[14:15], s[16:17], exec
	s_andn2_b64 s[8:9], s[8:9], exec
	s_and_b64 s[12:13], s[12:13], exec
	s_or_b64 s[6:7], s[6:7], s[14:15]
	s_or_b64 s[8:9], s[8:9], s[12:13]
	s_or_b64 exec, exec, s[2:3]
	s_and_saveexec_b64 s[2:3], s[8:9]
	s_cbranch_execz .LBB5530_99
.LBB5530_165:
	s_waitcnt lgkmcnt(0)
	v_mov_b32_e32 v3, 0
	s_andn2_b64 s[6:7], s[6:7], exec
	global_store_short v3, v5, s[10:11]
                                        ; implicit-def: $vgpr3
                                        ; implicit-def: $vgpr4
	s_or_b64 exec, exec, s[2:3]
	s_and_saveexec_b64 s[2:3], s[6:7]
	s_cbranch_execz .LBB5530_100
.LBB5530_166:
	s_waitcnt lgkmcnt(0)
	v_mov_b32_e32 v3, 0
	global_store_short v3, v4, s[10:11]
                                        ; implicit-def: $vgpr3
	s_or_b64 exec, exec, s[2:3]
	s_and_saveexec_b64 s[2:3], s[4:5]
	s_xor_b64 s[2:3], exec, s[2:3]
	s_cbranch_execz .LBB5530_101
.LBB5530_167:
	s_waitcnt lgkmcnt(0)
	v_mov_b32_e32 v4, 0
	global_store_short v4, v3, s[10:11]
	s_or_b64 exec, exec, s[2:3]
	s_and_b64 exec, exec, s[0:1]
	s_cbranch_execz .LBB5530_102
.LBB5530_168:
	v_cmp_lt_i64_e32 vcc, 2, v[0:1]
	s_and_saveexec_b64 s[0:1], vcc
	s_xor_b64 s[0:1], exec, s[0:1]
	s_cbranch_execz .LBB5530_178
; %bb.169:
	v_cmp_lt_i64_e32 vcc, 3, v[0:1]
	s_and_saveexec_b64 s[2:3], vcc
	s_xor_b64 s[2:3], exec, s[2:3]
	s_cbranch_execz .LBB5530_175
; %bb.170:
	;; [unrolled: 5-line block ×3, first 2 shown]
	ds_read_u16 v0, v2 offset:640
	v_mov_b32_e32 v1, 0
                                        ; implicit-def: $vgpr2
	s_waitcnt lgkmcnt(0)
	global_store_short v1, v0, s[10:11]
.LBB5530_172:
	s_andn2_saveexec_b64 s[4:5], s[4:5]
	s_cbranch_execz .LBB5530_174
; %bb.173:
	ds_read_u16 v0, v2 offset:512
	v_mov_b32_e32 v1, 0
	s_waitcnt lgkmcnt(0)
	global_store_short v1, v0, s[10:11]
.LBB5530_174:
	s_or_b64 exec, exec, s[4:5]
                                        ; implicit-def: $vgpr2
.LBB5530_175:
	s_andn2_saveexec_b64 s[2:3], s[2:3]
	s_cbranch_execz .LBB5530_177
; %bb.176:
	ds_read_u16 v0, v2 offset:384
	v_mov_b32_e32 v1, 0
	s_waitcnt lgkmcnt(0)
	global_store_short v1, v0, s[10:11]
.LBB5530_177:
	s_or_b64 exec, exec, s[2:3]
                                        ; implicit-def: $vgpr0_vgpr1
                                        ; implicit-def: $vgpr2
.LBB5530_178:
	s_andn2_saveexec_b64 s[0:1], s[0:1]
	s_cbranch_execz .LBB5530_102
; %bb.179:
	v_cmp_lt_i64_e32 vcc, 1, v[0:1]
	s_and_saveexec_b64 s[0:1], vcc
	s_xor_b64 s[0:1], exec, s[0:1]
	s_cbranch_execz .LBB5530_181
; %bb.180:
	ds_read_u16 v0, v2 offset:256
	v_mov_b32_e32 v1, 0
                                        ; implicit-def: $vgpr2
	s_waitcnt lgkmcnt(0)
	global_store_short v1, v0, s[10:11]
                                        ; implicit-def: $vgpr0_vgpr1
.LBB5530_181:
	s_andn2_saveexec_b64 s[0:1], s[0:1]
	s_cbranch_execz .LBB5530_102
; %bb.182:
	v_cmp_ne_u64_e32 vcc, 1, v[0:1]
	s_and_saveexec_b64 s[0:1], vcc
	s_xor_b64 s[0:1], exec, s[0:1]
	s_cbranch_execz .LBB5530_184
; %bb.183:
	ds_read_u16 v0, v2
	v_mov_b32_e32 v1, 0
                                        ; implicit-def: $vgpr2
	s_waitcnt lgkmcnt(0)
	global_store_short v1, v0, s[10:11]
.LBB5530_184:
	s_andn2_saveexec_b64 s[0:1], s[0:1]
	s_cbranch_execz .LBB5530_102
; %bb.185:
	ds_read_u16 v0, v2 offset:128
	v_mov_b32_e32 v1, 0
	s_waitcnt lgkmcnt(0)
	global_store_short v1, v0, s[10:11]
	s_endpgm
	.section	.rodata,"a",@progbits
	.p2align	6, 0x0
	.amdhsa_kernel _ZN7rocprim17ROCPRIM_400000_NS6detail17trampoline_kernelINS0_14default_configENS1_20scan_config_selectorItEEZZNS1_9scan_implILNS1_25lookback_scan_determinismE0ELb1ELb1ES3_N6thrust23THRUST_200600_302600_NS6detail15normal_iteratorINS9_10device_ptrItEEEENS9_16discard_iteratorINS9_11use_defaultEEEtNS9_4plusIvEEtEEDaPvRmT3_T4_T5_mT6_P12ihipStream_tbENKUlT_T0_E_clISt17integral_constantIbLb1EESX_EEDaSS_ST_EUlSS_E_NS1_11comp_targetILNS1_3genE4ELNS1_11target_archE910ELNS1_3gpuE8ELNS1_3repE0EEENS1_30default_config_static_selectorELNS0_4arch9wavefront6targetE1EEEvT1_
		.amdhsa_group_segment_fixed_size 3072
		.amdhsa_private_segment_fixed_size 0
		.amdhsa_kernarg_size 104
		.amdhsa_user_sgpr_count 6
		.amdhsa_user_sgpr_private_segment_buffer 1
		.amdhsa_user_sgpr_dispatch_ptr 0
		.amdhsa_user_sgpr_queue_ptr 0
		.amdhsa_user_sgpr_kernarg_segment_ptr 1
		.amdhsa_user_sgpr_dispatch_id 0
		.amdhsa_user_sgpr_flat_scratch_init 0
		.amdhsa_user_sgpr_kernarg_preload_length 0
		.amdhsa_user_sgpr_kernarg_preload_offset 0
		.amdhsa_user_sgpr_private_segment_size 0
		.amdhsa_uses_dynamic_stack 0
		.amdhsa_system_sgpr_private_segment_wavefront_offset 0
		.amdhsa_system_sgpr_workgroup_id_x 1
		.amdhsa_system_sgpr_workgroup_id_y 0
		.amdhsa_system_sgpr_workgroup_id_z 0
		.amdhsa_system_sgpr_workgroup_info 0
		.amdhsa_system_vgpr_workitem_id 0
		.amdhsa_next_free_vgpr 44
		.amdhsa_next_free_sgpr 32
		.amdhsa_accum_offset 44
		.amdhsa_reserve_vcc 1
		.amdhsa_reserve_flat_scratch 0
		.amdhsa_float_round_mode_32 0
		.amdhsa_float_round_mode_16_64 0
		.amdhsa_float_denorm_mode_32 3
		.amdhsa_float_denorm_mode_16_64 3
		.amdhsa_dx10_clamp 1
		.amdhsa_ieee_mode 1
		.amdhsa_fp16_overflow 0
		.amdhsa_tg_split 0
		.amdhsa_exception_fp_ieee_invalid_op 0
		.amdhsa_exception_fp_denorm_src 0
		.amdhsa_exception_fp_ieee_div_zero 0
		.amdhsa_exception_fp_ieee_overflow 0
		.amdhsa_exception_fp_ieee_underflow 0
		.amdhsa_exception_fp_ieee_inexact 0
		.amdhsa_exception_int_div_zero 0
	.end_amdhsa_kernel
	.section	.text._ZN7rocprim17ROCPRIM_400000_NS6detail17trampoline_kernelINS0_14default_configENS1_20scan_config_selectorItEEZZNS1_9scan_implILNS1_25lookback_scan_determinismE0ELb1ELb1ES3_N6thrust23THRUST_200600_302600_NS6detail15normal_iteratorINS9_10device_ptrItEEEENS9_16discard_iteratorINS9_11use_defaultEEEtNS9_4plusIvEEtEEDaPvRmT3_T4_T5_mT6_P12ihipStream_tbENKUlT_T0_E_clISt17integral_constantIbLb1EESX_EEDaSS_ST_EUlSS_E_NS1_11comp_targetILNS1_3genE4ELNS1_11target_archE910ELNS1_3gpuE8ELNS1_3repE0EEENS1_30default_config_static_selectorELNS0_4arch9wavefront6targetE1EEEvT1_,"axG",@progbits,_ZN7rocprim17ROCPRIM_400000_NS6detail17trampoline_kernelINS0_14default_configENS1_20scan_config_selectorItEEZZNS1_9scan_implILNS1_25lookback_scan_determinismE0ELb1ELb1ES3_N6thrust23THRUST_200600_302600_NS6detail15normal_iteratorINS9_10device_ptrItEEEENS9_16discard_iteratorINS9_11use_defaultEEEtNS9_4plusIvEEtEEDaPvRmT3_T4_T5_mT6_P12ihipStream_tbENKUlT_T0_E_clISt17integral_constantIbLb1EESX_EEDaSS_ST_EUlSS_E_NS1_11comp_targetILNS1_3genE4ELNS1_11target_archE910ELNS1_3gpuE8ELNS1_3repE0EEENS1_30default_config_static_selectorELNS0_4arch9wavefront6targetE1EEEvT1_,comdat
.Lfunc_end5530:
	.size	_ZN7rocprim17ROCPRIM_400000_NS6detail17trampoline_kernelINS0_14default_configENS1_20scan_config_selectorItEEZZNS1_9scan_implILNS1_25lookback_scan_determinismE0ELb1ELb1ES3_N6thrust23THRUST_200600_302600_NS6detail15normal_iteratorINS9_10device_ptrItEEEENS9_16discard_iteratorINS9_11use_defaultEEEtNS9_4plusIvEEtEEDaPvRmT3_T4_T5_mT6_P12ihipStream_tbENKUlT_T0_E_clISt17integral_constantIbLb1EESX_EEDaSS_ST_EUlSS_E_NS1_11comp_targetILNS1_3genE4ELNS1_11target_archE910ELNS1_3gpuE8ELNS1_3repE0EEENS1_30default_config_static_selectorELNS0_4arch9wavefront6targetE1EEEvT1_, .Lfunc_end5530-_ZN7rocprim17ROCPRIM_400000_NS6detail17trampoline_kernelINS0_14default_configENS1_20scan_config_selectorItEEZZNS1_9scan_implILNS1_25lookback_scan_determinismE0ELb1ELb1ES3_N6thrust23THRUST_200600_302600_NS6detail15normal_iteratorINS9_10device_ptrItEEEENS9_16discard_iteratorINS9_11use_defaultEEEtNS9_4plusIvEEtEEDaPvRmT3_T4_T5_mT6_P12ihipStream_tbENKUlT_T0_E_clISt17integral_constantIbLb1EESX_EEDaSS_ST_EUlSS_E_NS1_11comp_targetILNS1_3genE4ELNS1_11target_archE910ELNS1_3gpuE8ELNS1_3repE0EEENS1_30default_config_static_selectorELNS0_4arch9wavefront6targetE1EEEvT1_
                                        ; -- End function
	.section	.AMDGPU.csdata,"",@progbits
; Kernel info:
; codeLenInByte = 6524
; NumSgprs: 36
; NumVgprs: 44
; NumAgprs: 0
; TotalNumVgprs: 44
; ScratchSize: 0
; MemoryBound: 0
; FloatMode: 240
; IeeeMode: 1
; LDSByteSize: 3072 bytes/workgroup (compile time only)
; SGPRBlocks: 4
; VGPRBlocks: 5
; NumSGPRsForWavesPerEU: 36
; NumVGPRsForWavesPerEU: 44
; AccumOffset: 44
; Occupancy: 6
; WaveLimiterHint : 1
; COMPUTE_PGM_RSRC2:SCRATCH_EN: 0
; COMPUTE_PGM_RSRC2:USER_SGPR: 6
; COMPUTE_PGM_RSRC2:TRAP_HANDLER: 0
; COMPUTE_PGM_RSRC2:TGID_X_EN: 1
; COMPUTE_PGM_RSRC2:TGID_Y_EN: 0
; COMPUTE_PGM_RSRC2:TGID_Z_EN: 0
; COMPUTE_PGM_RSRC2:TIDIG_COMP_CNT: 0
; COMPUTE_PGM_RSRC3_GFX90A:ACCUM_OFFSET: 10
; COMPUTE_PGM_RSRC3_GFX90A:TG_SPLIT: 0
	.section	.text._ZN7rocprim17ROCPRIM_400000_NS6detail17trampoline_kernelINS0_14default_configENS1_20scan_config_selectorItEEZZNS1_9scan_implILNS1_25lookback_scan_determinismE0ELb1ELb1ES3_N6thrust23THRUST_200600_302600_NS6detail15normal_iteratorINS9_10device_ptrItEEEENS9_16discard_iteratorINS9_11use_defaultEEEtNS9_4plusIvEEtEEDaPvRmT3_T4_T5_mT6_P12ihipStream_tbENKUlT_T0_E_clISt17integral_constantIbLb1EESX_EEDaSS_ST_EUlSS_E_NS1_11comp_targetILNS1_3genE3ELNS1_11target_archE908ELNS1_3gpuE7ELNS1_3repE0EEENS1_30default_config_static_selectorELNS0_4arch9wavefront6targetE1EEEvT1_,"axG",@progbits,_ZN7rocprim17ROCPRIM_400000_NS6detail17trampoline_kernelINS0_14default_configENS1_20scan_config_selectorItEEZZNS1_9scan_implILNS1_25lookback_scan_determinismE0ELb1ELb1ES3_N6thrust23THRUST_200600_302600_NS6detail15normal_iteratorINS9_10device_ptrItEEEENS9_16discard_iteratorINS9_11use_defaultEEEtNS9_4plusIvEEtEEDaPvRmT3_T4_T5_mT6_P12ihipStream_tbENKUlT_T0_E_clISt17integral_constantIbLb1EESX_EEDaSS_ST_EUlSS_E_NS1_11comp_targetILNS1_3genE3ELNS1_11target_archE908ELNS1_3gpuE7ELNS1_3repE0EEENS1_30default_config_static_selectorELNS0_4arch9wavefront6targetE1EEEvT1_,comdat
	.protected	_ZN7rocprim17ROCPRIM_400000_NS6detail17trampoline_kernelINS0_14default_configENS1_20scan_config_selectorItEEZZNS1_9scan_implILNS1_25lookback_scan_determinismE0ELb1ELb1ES3_N6thrust23THRUST_200600_302600_NS6detail15normal_iteratorINS9_10device_ptrItEEEENS9_16discard_iteratorINS9_11use_defaultEEEtNS9_4plusIvEEtEEDaPvRmT3_T4_T5_mT6_P12ihipStream_tbENKUlT_T0_E_clISt17integral_constantIbLb1EESX_EEDaSS_ST_EUlSS_E_NS1_11comp_targetILNS1_3genE3ELNS1_11target_archE908ELNS1_3gpuE7ELNS1_3repE0EEENS1_30default_config_static_selectorELNS0_4arch9wavefront6targetE1EEEvT1_ ; -- Begin function _ZN7rocprim17ROCPRIM_400000_NS6detail17trampoline_kernelINS0_14default_configENS1_20scan_config_selectorItEEZZNS1_9scan_implILNS1_25lookback_scan_determinismE0ELb1ELb1ES3_N6thrust23THRUST_200600_302600_NS6detail15normal_iteratorINS9_10device_ptrItEEEENS9_16discard_iteratorINS9_11use_defaultEEEtNS9_4plusIvEEtEEDaPvRmT3_T4_T5_mT6_P12ihipStream_tbENKUlT_T0_E_clISt17integral_constantIbLb1EESX_EEDaSS_ST_EUlSS_E_NS1_11comp_targetILNS1_3genE3ELNS1_11target_archE908ELNS1_3gpuE7ELNS1_3repE0EEENS1_30default_config_static_selectorELNS0_4arch9wavefront6targetE1EEEvT1_
	.globl	_ZN7rocprim17ROCPRIM_400000_NS6detail17trampoline_kernelINS0_14default_configENS1_20scan_config_selectorItEEZZNS1_9scan_implILNS1_25lookback_scan_determinismE0ELb1ELb1ES3_N6thrust23THRUST_200600_302600_NS6detail15normal_iteratorINS9_10device_ptrItEEEENS9_16discard_iteratorINS9_11use_defaultEEEtNS9_4plusIvEEtEEDaPvRmT3_T4_T5_mT6_P12ihipStream_tbENKUlT_T0_E_clISt17integral_constantIbLb1EESX_EEDaSS_ST_EUlSS_E_NS1_11comp_targetILNS1_3genE3ELNS1_11target_archE908ELNS1_3gpuE7ELNS1_3repE0EEENS1_30default_config_static_selectorELNS0_4arch9wavefront6targetE1EEEvT1_
	.p2align	8
	.type	_ZN7rocprim17ROCPRIM_400000_NS6detail17trampoline_kernelINS0_14default_configENS1_20scan_config_selectorItEEZZNS1_9scan_implILNS1_25lookback_scan_determinismE0ELb1ELb1ES3_N6thrust23THRUST_200600_302600_NS6detail15normal_iteratorINS9_10device_ptrItEEEENS9_16discard_iteratorINS9_11use_defaultEEEtNS9_4plusIvEEtEEDaPvRmT3_T4_T5_mT6_P12ihipStream_tbENKUlT_T0_E_clISt17integral_constantIbLb1EESX_EEDaSS_ST_EUlSS_E_NS1_11comp_targetILNS1_3genE3ELNS1_11target_archE908ELNS1_3gpuE7ELNS1_3repE0EEENS1_30default_config_static_selectorELNS0_4arch9wavefront6targetE1EEEvT1_,@function
_ZN7rocprim17ROCPRIM_400000_NS6detail17trampoline_kernelINS0_14default_configENS1_20scan_config_selectorItEEZZNS1_9scan_implILNS1_25lookback_scan_determinismE0ELb1ELb1ES3_N6thrust23THRUST_200600_302600_NS6detail15normal_iteratorINS9_10device_ptrItEEEENS9_16discard_iteratorINS9_11use_defaultEEEtNS9_4plusIvEEtEEDaPvRmT3_T4_T5_mT6_P12ihipStream_tbENKUlT_T0_E_clISt17integral_constantIbLb1EESX_EEDaSS_ST_EUlSS_E_NS1_11comp_targetILNS1_3genE3ELNS1_11target_archE908ELNS1_3gpuE7ELNS1_3repE0EEENS1_30default_config_static_selectorELNS0_4arch9wavefront6targetE1EEEvT1_: ; @_ZN7rocprim17ROCPRIM_400000_NS6detail17trampoline_kernelINS0_14default_configENS1_20scan_config_selectorItEEZZNS1_9scan_implILNS1_25lookback_scan_determinismE0ELb1ELb1ES3_N6thrust23THRUST_200600_302600_NS6detail15normal_iteratorINS9_10device_ptrItEEEENS9_16discard_iteratorINS9_11use_defaultEEEtNS9_4plusIvEEtEEDaPvRmT3_T4_T5_mT6_P12ihipStream_tbENKUlT_T0_E_clISt17integral_constantIbLb1EESX_EEDaSS_ST_EUlSS_E_NS1_11comp_targetILNS1_3genE3ELNS1_11target_archE908ELNS1_3gpuE7ELNS1_3repE0EEENS1_30default_config_static_selectorELNS0_4arch9wavefront6targetE1EEEvT1_
; %bb.0:
	.section	.rodata,"a",@progbits
	.p2align	6, 0x0
	.amdhsa_kernel _ZN7rocprim17ROCPRIM_400000_NS6detail17trampoline_kernelINS0_14default_configENS1_20scan_config_selectorItEEZZNS1_9scan_implILNS1_25lookback_scan_determinismE0ELb1ELb1ES3_N6thrust23THRUST_200600_302600_NS6detail15normal_iteratorINS9_10device_ptrItEEEENS9_16discard_iteratorINS9_11use_defaultEEEtNS9_4plusIvEEtEEDaPvRmT3_T4_T5_mT6_P12ihipStream_tbENKUlT_T0_E_clISt17integral_constantIbLb1EESX_EEDaSS_ST_EUlSS_E_NS1_11comp_targetILNS1_3genE3ELNS1_11target_archE908ELNS1_3gpuE7ELNS1_3repE0EEENS1_30default_config_static_selectorELNS0_4arch9wavefront6targetE1EEEvT1_
		.amdhsa_group_segment_fixed_size 0
		.amdhsa_private_segment_fixed_size 0
		.amdhsa_kernarg_size 104
		.amdhsa_user_sgpr_count 6
		.amdhsa_user_sgpr_private_segment_buffer 1
		.amdhsa_user_sgpr_dispatch_ptr 0
		.amdhsa_user_sgpr_queue_ptr 0
		.amdhsa_user_sgpr_kernarg_segment_ptr 1
		.amdhsa_user_sgpr_dispatch_id 0
		.amdhsa_user_sgpr_flat_scratch_init 0
		.amdhsa_user_sgpr_kernarg_preload_length 0
		.amdhsa_user_sgpr_kernarg_preload_offset 0
		.amdhsa_user_sgpr_private_segment_size 0
		.amdhsa_uses_dynamic_stack 0
		.amdhsa_system_sgpr_private_segment_wavefront_offset 0
		.amdhsa_system_sgpr_workgroup_id_x 1
		.amdhsa_system_sgpr_workgroup_id_y 0
		.amdhsa_system_sgpr_workgroup_id_z 0
		.amdhsa_system_sgpr_workgroup_info 0
		.amdhsa_system_vgpr_workitem_id 0
		.amdhsa_next_free_vgpr 1
		.amdhsa_next_free_sgpr 0
		.amdhsa_accum_offset 4
		.amdhsa_reserve_vcc 0
		.amdhsa_reserve_flat_scratch 0
		.amdhsa_float_round_mode_32 0
		.amdhsa_float_round_mode_16_64 0
		.amdhsa_float_denorm_mode_32 3
		.amdhsa_float_denorm_mode_16_64 3
		.amdhsa_dx10_clamp 1
		.amdhsa_ieee_mode 1
		.amdhsa_fp16_overflow 0
		.amdhsa_tg_split 0
		.amdhsa_exception_fp_ieee_invalid_op 0
		.amdhsa_exception_fp_denorm_src 0
		.amdhsa_exception_fp_ieee_div_zero 0
		.amdhsa_exception_fp_ieee_overflow 0
		.amdhsa_exception_fp_ieee_underflow 0
		.amdhsa_exception_fp_ieee_inexact 0
		.amdhsa_exception_int_div_zero 0
	.end_amdhsa_kernel
	.section	.text._ZN7rocprim17ROCPRIM_400000_NS6detail17trampoline_kernelINS0_14default_configENS1_20scan_config_selectorItEEZZNS1_9scan_implILNS1_25lookback_scan_determinismE0ELb1ELb1ES3_N6thrust23THRUST_200600_302600_NS6detail15normal_iteratorINS9_10device_ptrItEEEENS9_16discard_iteratorINS9_11use_defaultEEEtNS9_4plusIvEEtEEDaPvRmT3_T4_T5_mT6_P12ihipStream_tbENKUlT_T0_E_clISt17integral_constantIbLb1EESX_EEDaSS_ST_EUlSS_E_NS1_11comp_targetILNS1_3genE3ELNS1_11target_archE908ELNS1_3gpuE7ELNS1_3repE0EEENS1_30default_config_static_selectorELNS0_4arch9wavefront6targetE1EEEvT1_,"axG",@progbits,_ZN7rocprim17ROCPRIM_400000_NS6detail17trampoline_kernelINS0_14default_configENS1_20scan_config_selectorItEEZZNS1_9scan_implILNS1_25lookback_scan_determinismE0ELb1ELb1ES3_N6thrust23THRUST_200600_302600_NS6detail15normal_iteratorINS9_10device_ptrItEEEENS9_16discard_iteratorINS9_11use_defaultEEEtNS9_4plusIvEEtEEDaPvRmT3_T4_T5_mT6_P12ihipStream_tbENKUlT_T0_E_clISt17integral_constantIbLb1EESX_EEDaSS_ST_EUlSS_E_NS1_11comp_targetILNS1_3genE3ELNS1_11target_archE908ELNS1_3gpuE7ELNS1_3repE0EEENS1_30default_config_static_selectorELNS0_4arch9wavefront6targetE1EEEvT1_,comdat
.Lfunc_end5531:
	.size	_ZN7rocprim17ROCPRIM_400000_NS6detail17trampoline_kernelINS0_14default_configENS1_20scan_config_selectorItEEZZNS1_9scan_implILNS1_25lookback_scan_determinismE0ELb1ELb1ES3_N6thrust23THRUST_200600_302600_NS6detail15normal_iteratorINS9_10device_ptrItEEEENS9_16discard_iteratorINS9_11use_defaultEEEtNS9_4plusIvEEtEEDaPvRmT3_T4_T5_mT6_P12ihipStream_tbENKUlT_T0_E_clISt17integral_constantIbLb1EESX_EEDaSS_ST_EUlSS_E_NS1_11comp_targetILNS1_3genE3ELNS1_11target_archE908ELNS1_3gpuE7ELNS1_3repE0EEENS1_30default_config_static_selectorELNS0_4arch9wavefront6targetE1EEEvT1_, .Lfunc_end5531-_ZN7rocprim17ROCPRIM_400000_NS6detail17trampoline_kernelINS0_14default_configENS1_20scan_config_selectorItEEZZNS1_9scan_implILNS1_25lookback_scan_determinismE0ELb1ELb1ES3_N6thrust23THRUST_200600_302600_NS6detail15normal_iteratorINS9_10device_ptrItEEEENS9_16discard_iteratorINS9_11use_defaultEEEtNS9_4plusIvEEtEEDaPvRmT3_T4_T5_mT6_P12ihipStream_tbENKUlT_T0_E_clISt17integral_constantIbLb1EESX_EEDaSS_ST_EUlSS_E_NS1_11comp_targetILNS1_3genE3ELNS1_11target_archE908ELNS1_3gpuE7ELNS1_3repE0EEENS1_30default_config_static_selectorELNS0_4arch9wavefront6targetE1EEEvT1_
                                        ; -- End function
	.section	.AMDGPU.csdata,"",@progbits
; Kernel info:
; codeLenInByte = 0
; NumSgprs: 4
; NumVgprs: 0
; NumAgprs: 0
; TotalNumVgprs: 0
; ScratchSize: 0
; MemoryBound: 0
; FloatMode: 240
; IeeeMode: 1
; LDSByteSize: 0 bytes/workgroup (compile time only)
; SGPRBlocks: 0
; VGPRBlocks: 0
; NumSGPRsForWavesPerEU: 4
; NumVGPRsForWavesPerEU: 1
; AccumOffset: 4
; Occupancy: 8
; WaveLimiterHint : 0
; COMPUTE_PGM_RSRC2:SCRATCH_EN: 0
; COMPUTE_PGM_RSRC2:USER_SGPR: 6
; COMPUTE_PGM_RSRC2:TRAP_HANDLER: 0
; COMPUTE_PGM_RSRC2:TGID_X_EN: 1
; COMPUTE_PGM_RSRC2:TGID_Y_EN: 0
; COMPUTE_PGM_RSRC2:TGID_Z_EN: 0
; COMPUTE_PGM_RSRC2:TIDIG_COMP_CNT: 0
; COMPUTE_PGM_RSRC3_GFX90A:ACCUM_OFFSET: 0
; COMPUTE_PGM_RSRC3_GFX90A:TG_SPLIT: 0
	.section	.text._ZN7rocprim17ROCPRIM_400000_NS6detail17trampoline_kernelINS0_14default_configENS1_20scan_config_selectorItEEZZNS1_9scan_implILNS1_25lookback_scan_determinismE0ELb1ELb1ES3_N6thrust23THRUST_200600_302600_NS6detail15normal_iteratorINS9_10device_ptrItEEEENS9_16discard_iteratorINS9_11use_defaultEEEtNS9_4plusIvEEtEEDaPvRmT3_T4_T5_mT6_P12ihipStream_tbENKUlT_T0_E_clISt17integral_constantIbLb1EESX_EEDaSS_ST_EUlSS_E_NS1_11comp_targetILNS1_3genE2ELNS1_11target_archE906ELNS1_3gpuE6ELNS1_3repE0EEENS1_30default_config_static_selectorELNS0_4arch9wavefront6targetE1EEEvT1_,"axG",@progbits,_ZN7rocprim17ROCPRIM_400000_NS6detail17trampoline_kernelINS0_14default_configENS1_20scan_config_selectorItEEZZNS1_9scan_implILNS1_25lookback_scan_determinismE0ELb1ELb1ES3_N6thrust23THRUST_200600_302600_NS6detail15normal_iteratorINS9_10device_ptrItEEEENS9_16discard_iteratorINS9_11use_defaultEEEtNS9_4plusIvEEtEEDaPvRmT3_T4_T5_mT6_P12ihipStream_tbENKUlT_T0_E_clISt17integral_constantIbLb1EESX_EEDaSS_ST_EUlSS_E_NS1_11comp_targetILNS1_3genE2ELNS1_11target_archE906ELNS1_3gpuE6ELNS1_3repE0EEENS1_30default_config_static_selectorELNS0_4arch9wavefront6targetE1EEEvT1_,comdat
	.protected	_ZN7rocprim17ROCPRIM_400000_NS6detail17trampoline_kernelINS0_14default_configENS1_20scan_config_selectorItEEZZNS1_9scan_implILNS1_25lookback_scan_determinismE0ELb1ELb1ES3_N6thrust23THRUST_200600_302600_NS6detail15normal_iteratorINS9_10device_ptrItEEEENS9_16discard_iteratorINS9_11use_defaultEEEtNS9_4plusIvEEtEEDaPvRmT3_T4_T5_mT6_P12ihipStream_tbENKUlT_T0_E_clISt17integral_constantIbLb1EESX_EEDaSS_ST_EUlSS_E_NS1_11comp_targetILNS1_3genE2ELNS1_11target_archE906ELNS1_3gpuE6ELNS1_3repE0EEENS1_30default_config_static_selectorELNS0_4arch9wavefront6targetE1EEEvT1_ ; -- Begin function _ZN7rocprim17ROCPRIM_400000_NS6detail17trampoline_kernelINS0_14default_configENS1_20scan_config_selectorItEEZZNS1_9scan_implILNS1_25lookback_scan_determinismE0ELb1ELb1ES3_N6thrust23THRUST_200600_302600_NS6detail15normal_iteratorINS9_10device_ptrItEEEENS9_16discard_iteratorINS9_11use_defaultEEEtNS9_4plusIvEEtEEDaPvRmT3_T4_T5_mT6_P12ihipStream_tbENKUlT_T0_E_clISt17integral_constantIbLb1EESX_EEDaSS_ST_EUlSS_E_NS1_11comp_targetILNS1_3genE2ELNS1_11target_archE906ELNS1_3gpuE6ELNS1_3repE0EEENS1_30default_config_static_selectorELNS0_4arch9wavefront6targetE1EEEvT1_
	.globl	_ZN7rocprim17ROCPRIM_400000_NS6detail17trampoline_kernelINS0_14default_configENS1_20scan_config_selectorItEEZZNS1_9scan_implILNS1_25lookback_scan_determinismE0ELb1ELb1ES3_N6thrust23THRUST_200600_302600_NS6detail15normal_iteratorINS9_10device_ptrItEEEENS9_16discard_iteratorINS9_11use_defaultEEEtNS9_4plusIvEEtEEDaPvRmT3_T4_T5_mT6_P12ihipStream_tbENKUlT_T0_E_clISt17integral_constantIbLb1EESX_EEDaSS_ST_EUlSS_E_NS1_11comp_targetILNS1_3genE2ELNS1_11target_archE906ELNS1_3gpuE6ELNS1_3repE0EEENS1_30default_config_static_selectorELNS0_4arch9wavefront6targetE1EEEvT1_
	.p2align	8
	.type	_ZN7rocprim17ROCPRIM_400000_NS6detail17trampoline_kernelINS0_14default_configENS1_20scan_config_selectorItEEZZNS1_9scan_implILNS1_25lookback_scan_determinismE0ELb1ELb1ES3_N6thrust23THRUST_200600_302600_NS6detail15normal_iteratorINS9_10device_ptrItEEEENS9_16discard_iteratorINS9_11use_defaultEEEtNS9_4plusIvEEtEEDaPvRmT3_T4_T5_mT6_P12ihipStream_tbENKUlT_T0_E_clISt17integral_constantIbLb1EESX_EEDaSS_ST_EUlSS_E_NS1_11comp_targetILNS1_3genE2ELNS1_11target_archE906ELNS1_3gpuE6ELNS1_3repE0EEENS1_30default_config_static_selectorELNS0_4arch9wavefront6targetE1EEEvT1_,@function
_ZN7rocprim17ROCPRIM_400000_NS6detail17trampoline_kernelINS0_14default_configENS1_20scan_config_selectorItEEZZNS1_9scan_implILNS1_25lookback_scan_determinismE0ELb1ELb1ES3_N6thrust23THRUST_200600_302600_NS6detail15normal_iteratorINS9_10device_ptrItEEEENS9_16discard_iteratorINS9_11use_defaultEEEtNS9_4plusIvEEtEEDaPvRmT3_T4_T5_mT6_P12ihipStream_tbENKUlT_T0_E_clISt17integral_constantIbLb1EESX_EEDaSS_ST_EUlSS_E_NS1_11comp_targetILNS1_3genE2ELNS1_11target_archE906ELNS1_3gpuE6ELNS1_3repE0EEENS1_30default_config_static_selectorELNS0_4arch9wavefront6targetE1EEEvT1_: ; @_ZN7rocprim17ROCPRIM_400000_NS6detail17trampoline_kernelINS0_14default_configENS1_20scan_config_selectorItEEZZNS1_9scan_implILNS1_25lookback_scan_determinismE0ELb1ELb1ES3_N6thrust23THRUST_200600_302600_NS6detail15normal_iteratorINS9_10device_ptrItEEEENS9_16discard_iteratorINS9_11use_defaultEEEtNS9_4plusIvEEtEEDaPvRmT3_T4_T5_mT6_P12ihipStream_tbENKUlT_T0_E_clISt17integral_constantIbLb1EESX_EEDaSS_ST_EUlSS_E_NS1_11comp_targetILNS1_3genE2ELNS1_11target_archE906ELNS1_3gpuE6ELNS1_3repE0EEENS1_30default_config_static_selectorELNS0_4arch9wavefront6targetE1EEEvT1_
; %bb.0:
	.section	.rodata,"a",@progbits
	.p2align	6, 0x0
	.amdhsa_kernel _ZN7rocprim17ROCPRIM_400000_NS6detail17trampoline_kernelINS0_14default_configENS1_20scan_config_selectorItEEZZNS1_9scan_implILNS1_25lookback_scan_determinismE0ELb1ELb1ES3_N6thrust23THRUST_200600_302600_NS6detail15normal_iteratorINS9_10device_ptrItEEEENS9_16discard_iteratorINS9_11use_defaultEEEtNS9_4plusIvEEtEEDaPvRmT3_T4_T5_mT6_P12ihipStream_tbENKUlT_T0_E_clISt17integral_constantIbLb1EESX_EEDaSS_ST_EUlSS_E_NS1_11comp_targetILNS1_3genE2ELNS1_11target_archE906ELNS1_3gpuE6ELNS1_3repE0EEENS1_30default_config_static_selectorELNS0_4arch9wavefront6targetE1EEEvT1_
		.amdhsa_group_segment_fixed_size 0
		.amdhsa_private_segment_fixed_size 0
		.amdhsa_kernarg_size 104
		.amdhsa_user_sgpr_count 6
		.amdhsa_user_sgpr_private_segment_buffer 1
		.amdhsa_user_sgpr_dispatch_ptr 0
		.amdhsa_user_sgpr_queue_ptr 0
		.amdhsa_user_sgpr_kernarg_segment_ptr 1
		.amdhsa_user_sgpr_dispatch_id 0
		.amdhsa_user_sgpr_flat_scratch_init 0
		.amdhsa_user_sgpr_kernarg_preload_length 0
		.amdhsa_user_sgpr_kernarg_preload_offset 0
		.amdhsa_user_sgpr_private_segment_size 0
		.amdhsa_uses_dynamic_stack 0
		.amdhsa_system_sgpr_private_segment_wavefront_offset 0
		.amdhsa_system_sgpr_workgroup_id_x 1
		.amdhsa_system_sgpr_workgroup_id_y 0
		.amdhsa_system_sgpr_workgroup_id_z 0
		.amdhsa_system_sgpr_workgroup_info 0
		.amdhsa_system_vgpr_workitem_id 0
		.amdhsa_next_free_vgpr 1
		.amdhsa_next_free_sgpr 0
		.amdhsa_accum_offset 4
		.amdhsa_reserve_vcc 0
		.amdhsa_reserve_flat_scratch 0
		.amdhsa_float_round_mode_32 0
		.amdhsa_float_round_mode_16_64 0
		.amdhsa_float_denorm_mode_32 3
		.amdhsa_float_denorm_mode_16_64 3
		.amdhsa_dx10_clamp 1
		.amdhsa_ieee_mode 1
		.amdhsa_fp16_overflow 0
		.amdhsa_tg_split 0
		.amdhsa_exception_fp_ieee_invalid_op 0
		.amdhsa_exception_fp_denorm_src 0
		.amdhsa_exception_fp_ieee_div_zero 0
		.amdhsa_exception_fp_ieee_overflow 0
		.amdhsa_exception_fp_ieee_underflow 0
		.amdhsa_exception_fp_ieee_inexact 0
		.amdhsa_exception_int_div_zero 0
	.end_amdhsa_kernel
	.section	.text._ZN7rocprim17ROCPRIM_400000_NS6detail17trampoline_kernelINS0_14default_configENS1_20scan_config_selectorItEEZZNS1_9scan_implILNS1_25lookback_scan_determinismE0ELb1ELb1ES3_N6thrust23THRUST_200600_302600_NS6detail15normal_iteratorINS9_10device_ptrItEEEENS9_16discard_iteratorINS9_11use_defaultEEEtNS9_4plusIvEEtEEDaPvRmT3_T4_T5_mT6_P12ihipStream_tbENKUlT_T0_E_clISt17integral_constantIbLb1EESX_EEDaSS_ST_EUlSS_E_NS1_11comp_targetILNS1_3genE2ELNS1_11target_archE906ELNS1_3gpuE6ELNS1_3repE0EEENS1_30default_config_static_selectorELNS0_4arch9wavefront6targetE1EEEvT1_,"axG",@progbits,_ZN7rocprim17ROCPRIM_400000_NS6detail17trampoline_kernelINS0_14default_configENS1_20scan_config_selectorItEEZZNS1_9scan_implILNS1_25lookback_scan_determinismE0ELb1ELb1ES3_N6thrust23THRUST_200600_302600_NS6detail15normal_iteratorINS9_10device_ptrItEEEENS9_16discard_iteratorINS9_11use_defaultEEEtNS9_4plusIvEEtEEDaPvRmT3_T4_T5_mT6_P12ihipStream_tbENKUlT_T0_E_clISt17integral_constantIbLb1EESX_EEDaSS_ST_EUlSS_E_NS1_11comp_targetILNS1_3genE2ELNS1_11target_archE906ELNS1_3gpuE6ELNS1_3repE0EEENS1_30default_config_static_selectorELNS0_4arch9wavefront6targetE1EEEvT1_,comdat
.Lfunc_end5532:
	.size	_ZN7rocprim17ROCPRIM_400000_NS6detail17trampoline_kernelINS0_14default_configENS1_20scan_config_selectorItEEZZNS1_9scan_implILNS1_25lookback_scan_determinismE0ELb1ELb1ES3_N6thrust23THRUST_200600_302600_NS6detail15normal_iteratorINS9_10device_ptrItEEEENS9_16discard_iteratorINS9_11use_defaultEEEtNS9_4plusIvEEtEEDaPvRmT3_T4_T5_mT6_P12ihipStream_tbENKUlT_T0_E_clISt17integral_constantIbLb1EESX_EEDaSS_ST_EUlSS_E_NS1_11comp_targetILNS1_3genE2ELNS1_11target_archE906ELNS1_3gpuE6ELNS1_3repE0EEENS1_30default_config_static_selectorELNS0_4arch9wavefront6targetE1EEEvT1_, .Lfunc_end5532-_ZN7rocprim17ROCPRIM_400000_NS6detail17trampoline_kernelINS0_14default_configENS1_20scan_config_selectorItEEZZNS1_9scan_implILNS1_25lookback_scan_determinismE0ELb1ELb1ES3_N6thrust23THRUST_200600_302600_NS6detail15normal_iteratorINS9_10device_ptrItEEEENS9_16discard_iteratorINS9_11use_defaultEEEtNS9_4plusIvEEtEEDaPvRmT3_T4_T5_mT6_P12ihipStream_tbENKUlT_T0_E_clISt17integral_constantIbLb1EESX_EEDaSS_ST_EUlSS_E_NS1_11comp_targetILNS1_3genE2ELNS1_11target_archE906ELNS1_3gpuE6ELNS1_3repE0EEENS1_30default_config_static_selectorELNS0_4arch9wavefront6targetE1EEEvT1_
                                        ; -- End function
	.section	.AMDGPU.csdata,"",@progbits
; Kernel info:
; codeLenInByte = 0
; NumSgprs: 4
; NumVgprs: 0
; NumAgprs: 0
; TotalNumVgprs: 0
; ScratchSize: 0
; MemoryBound: 0
; FloatMode: 240
; IeeeMode: 1
; LDSByteSize: 0 bytes/workgroup (compile time only)
; SGPRBlocks: 0
; VGPRBlocks: 0
; NumSGPRsForWavesPerEU: 4
; NumVGPRsForWavesPerEU: 1
; AccumOffset: 4
; Occupancy: 8
; WaveLimiterHint : 0
; COMPUTE_PGM_RSRC2:SCRATCH_EN: 0
; COMPUTE_PGM_RSRC2:USER_SGPR: 6
; COMPUTE_PGM_RSRC2:TRAP_HANDLER: 0
; COMPUTE_PGM_RSRC2:TGID_X_EN: 1
; COMPUTE_PGM_RSRC2:TGID_Y_EN: 0
; COMPUTE_PGM_RSRC2:TGID_Z_EN: 0
; COMPUTE_PGM_RSRC2:TIDIG_COMP_CNT: 0
; COMPUTE_PGM_RSRC3_GFX90A:ACCUM_OFFSET: 0
; COMPUTE_PGM_RSRC3_GFX90A:TG_SPLIT: 0
	.section	.text._ZN7rocprim17ROCPRIM_400000_NS6detail17trampoline_kernelINS0_14default_configENS1_20scan_config_selectorItEEZZNS1_9scan_implILNS1_25lookback_scan_determinismE0ELb1ELb1ES3_N6thrust23THRUST_200600_302600_NS6detail15normal_iteratorINS9_10device_ptrItEEEENS9_16discard_iteratorINS9_11use_defaultEEEtNS9_4plusIvEEtEEDaPvRmT3_T4_T5_mT6_P12ihipStream_tbENKUlT_T0_E_clISt17integral_constantIbLb1EESX_EEDaSS_ST_EUlSS_E_NS1_11comp_targetILNS1_3genE10ELNS1_11target_archE1201ELNS1_3gpuE5ELNS1_3repE0EEENS1_30default_config_static_selectorELNS0_4arch9wavefront6targetE1EEEvT1_,"axG",@progbits,_ZN7rocprim17ROCPRIM_400000_NS6detail17trampoline_kernelINS0_14default_configENS1_20scan_config_selectorItEEZZNS1_9scan_implILNS1_25lookback_scan_determinismE0ELb1ELb1ES3_N6thrust23THRUST_200600_302600_NS6detail15normal_iteratorINS9_10device_ptrItEEEENS9_16discard_iteratorINS9_11use_defaultEEEtNS9_4plusIvEEtEEDaPvRmT3_T4_T5_mT6_P12ihipStream_tbENKUlT_T0_E_clISt17integral_constantIbLb1EESX_EEDaSS_ST_EUlSS_E_NS1_11comp_targetILNS1_3genE10ELNS1_11target_archE1201ELNS1_3gpuE5ELNS1_3repE0EEENS1_30default_config_static_selectorELNS0_4arch9wavefront6targetE1EEEvT1_,comdat
	.protected	_ZN7rocprim17ROCPRIM_400000_NS6detail17trampoline_kernelINS0_14default_configENS1_20scan_config_selectorItEEZZNS1_9scan_implILNS1_25lookback_scan_determinismE0ELb1ELb1ES3_N6thrust23THRUST_200600_302600_NS6detail15normal_iteratorINS9_10device_ptrItEEEENS9_16discard_iteratorINS9_11use_defaultEEEtNS9_4plusIvEEtEEDaPvRmT3_T4_T5_mT6_P12ihipStream_tbENKUlT_T0_E_clISt17integral_constantIbLb1EESX_EEDaSS_ST_EUlSS_E_NS1_11comp_targetILNS1_3genE10ELNS1_11target_archE1201ELNS1_3gpuE5ELNS1_3repE0EEENS1_30default_config_static_selectorELNS0_4arch9wavefront6targetE1EEEvT1_ ; -- Begin function _ZN7rocprim17ROCPRIM_400000_NS6detail17trampoline_kernelINS0_14default_configENS1_20scan_config_selectorItEEZZNS1_9scan_implILNS1_25lookback_scan_determinismE0ELb1ELb1ES3_N6thrust23THRUST_200600_302600_NS6detail15normal_iteratorINS9_10device_ptrItEEEENS9_16discard_iteratorINS9_11use_defaultEEEtNS9_4plusIvEEtEEDaPvRmT3_T4_T5_mT6_P12ihipStream_tbENKUlT_T0_E_clISt17integral_constantIbLb1EESX_EEDaSS_ST_EUlSS_E_NS1_11comp_targetILNS1_3genE10ELNS1_11target_archE1201ELNS1_3gpuE5ELNS1_3repE0EEENS1_30default_config_static_selectorELNS0_4arch9wavefront6targetE1EEEvT1_
	.globl	_ZN7rocprim17ROCPRIM_400000_NS6detail17trampoline_kernelINS0_14default_configENS1_20scan_config_selectorItEEZZNS1_9scan_implILNS1_25lookback_scan_determinismE0ELb1ELb1ES3_N6thrust23THRUST_200600_302600_NS6detail15normal_iteratorINS9_10device_ptrItEEEENS9_16discard_iteratorINS9_11use_defaultEEEtNS9_4plusIvEEtEEDaPvRmT3_T4_T5_mT6_P12ihipStream_tbENKUlT_T0_E_clISt17integral_constantIbLb1EESX_EEDaSS_ST_EUlSS_E_NS1_11comp_targetILNS1_3genE10ELNS1_11target_archE1201ELNS1_3gpuE5ELNS1_3repE0EEENS1_30default_config_static_selectorELNS0_4arch9wavefront6targetE1EEEvT1_
	.p2align	8
	.type	_ZN7rocprim17ROCPRIM_400000_NS6detail17trampoline_kernelINS0_14default_configENS1_20scan_config_selectorItEEZZNS1_9scan_implILNS1_25lookback_scan_determinismE0ELb1ELb1ES3_N6thrust23THRUST_200600_302600_NS6detail15normal_iteratorINS9_10device_ptrItEEEENS9_16discard_iteratorINS9_11use_defaultEEEtNS9_4plusIvEEtEEDaPvRmT3_T4_T5_mT6_P12ihipStream_tbENKUlT_T0_E_clISt17integral_constantIbLb1EESX_EEDaSS_ST_EUlSS_E_NS1_11comp_targetILNS1_3genE10ELNS1_11target_archE1201ELNS1_3gpuE5ELNS1_3repE0EEENS1_30default_config_static_selectorELNS0_4arch9wavefront6targetE1EEEvT1_,@function
_ZN7rocprim17ROCPRIM_400000_NS6detail17trampoline_kernelINS0_14default_configENS1_20scan_config_selectorItEEZZNS1_9scan_implILNS1_25lookback_scan_determinismE0ELb1ELb1ES3_N6thrust23THRUST_200600_302600_NS6detail15normal_iteratorINS9_10device_ptrItEEEENS9_16discard_iteratorINS9_11use_defaultEEEtNS9_4plusIvEEtEEDaPvRmT3_T4_T5_mT6_P12ihipStream_tbENKUlT_T0_E_clISt17integral_constantIbLb1EESX_EEDaSS_ST_EUlSS_E_NS1_11comp_targetILNS1_3genE10ELNS1_11target_archE1201ELNS1_3gpuE5ELNS1_3repE0EEENS1_30default_config_static_selectorELNS0_4arch9wavefront6targetE1EEEvT1_: ; @_ZN7rocprim17ROCPRIM_400000_NS6detail17trampoline_kernelINS0_14default_configENS1_20scan_config_selectorItEEZZNS1_9scan_implILNS1_25lookback_scan_determinismE0ELb1ELb1ES3_N6thrust23THRUST_200600_302600_NS6detail15normal_iteratorINS9_10device_ptrItEEEENS9_16discard_iteratorINS9_11use_defaultEEEtNS9_4plusIvEEtEEDaPvRmT3_T4_T5_mT6_P12ihipStream_tbENKUlT_T0_E_clISt17integral_constantIbLb1EESX_EEDaSS_ST_EUlSS_E_NS1_11comp_targetILNS1_3genE10ELNS1_11target_archE1201ELNS1_3gpuE5ELNS1_3repE0EEENS1_30default_config_static_selectorELNS0_4arch9wavefront6targetE1EEEvT1_
; %bb.0:
	.section	.rodata,"a",@progbits
	.p2align	6, 0x0
	.amdhsa_kernel _ZN7rocprim17ROCPRIM_400000_NS6detail17trampoline_kernelINS0_14default_configENS1_20scan_config_selectorItEEZZNS1_9scan_implILNS1_25lookback_scan_determinismE0ELb1ELb1ES3_N6thrust23THRUST_200600_302600_NS6detail15normal_iteratorINS9_10device_ptrItEEEENS9_16discard_iteratorINS9_11use_defaultEEEtNS9_4plusIvEEtEEDaPvRmT3_T4_T5_mT6_P12ihipStream_tbENKUlT_T0_E_clISt17integral_constantIbLb1EESX_EEDaSS_ST_EUlSS_E_NS1_11comp_targetILNS1_3genE10ELNS1_11target_archE1201ELNS1_3gpuE5ELNS1_3repE0EEENS1_30default_config_static_selectorELNS0_4arch9wavefront6targetE1EEEvT1_
		.amdhsa_group_segment_fixed_size 0
		.amdhsa_private_segment_fixed_size 0
		.amdhsa_kernarg_size 104
		.amdhsa_user_sgpr_count 6
		.amdhsa_user_sgpr_private_segment_buffer 1
		.amdhsa_user_sgpr_dispatch_ptr 0
		.amdhsa_user_sgpr_queue_ptr 0
		.amdhsa_user_sgpr_kernarg_segment_ptr 1
		.amdhsa_user_sgpr_dispatch_id 0
		.amdhsa_user_sgpr_flat_scratch_init 0
		.amdhsa_user_sgpr_kernarg_preload_length 0
		.amdhsa_user_sgpr_kernarg_preload_offset 0
		.amdhsa_user_sgpr_private_segment_size 0
		.amdhsa_uses_dynamic_stack 0
		.amdhsa_system_sgpr_private_segment_wavefront_offset 0
		.amdhsa_system_sgpr_workgroup_id_x 1
		.amdhsa_system_sgpr_workgroup_id_y 0
		.amdhsa_system_sgpr_workgroup_id_z 0
		.amdhsa_system_sgpr_workgroup_info 0
		.amdhsa_system_vgpr_workitem_id 0
		.amdhsa_next_free_vgpr 1
		.amdhsa_next_free_sgpr 0
		.amdhsa_accum_offset 4
		.amdhsa_reserve_vcc 0
		.amdhsa_reserve_flat_scratch 0
		.amdhsa_float_round_mode_32 0
		.amdhsa_float_round_mode_16_64 0
		.amdhsa_float_denorm_mode_32 3
		.amdhsa_float_denorm_mode_16_64 3
		.amdhsa_dx10_clamp 1
		.amdhsa_ieee_mode 1
		.amdhsa_fp16_overflow 0
		.amdhsa_tg_split 0
		.amdhsa_exception_fp_ieee_invalid_op 0
		.amdhsa_exception_fp_denorm_src 0
		.amdhsa_exception_fp_ieee_div_zero 0
		.amdhsa_exception_fp_ieee_overflow 0
		.amdhsa_exception_fp_ieee_underflow 0
		.amdhsa_exception_fp_ieee_inexact 0
		.amdhsa_exception_int_div_zero 0
	.end_amdhsa_kernel
	.section	.text._ZN7rocprim17ROCPRIM_400000_NS6detail17trampoline_kernelINS0_14default_configENS1_20scan_config_selectorItEEZZNS1_9scan_implILNS1_25lookback_scan_determinismE0ELb1ELb1ES3_N6thrust23THRUST_200600_302600_NS6detail15normal_iteratorINS9_10device_ptrItEEEENS9_16discard_iteratorINS9_11use_defaultEEEtNS9_4plusIvEEtEEDaPvRmT3_T4_T5_mT6_P12ihipStream_tbENKUlT_T0_E_clISt17integral_constantIbLb1EESX_EEDaSS_ST_EUlSS_E_NS1_11comp_targetILNS1_3genE10ELNS1_11target_archE1201ELNS1_3gpuE5ELNS1_3repE0EEENS1_30default_config_static_selectorELNS0_4arch9wavefront6targetE1EEEvT1_,"axG",@progbits,_ZN7rocprim17ROCPRIM_400000_NS6detail17trampoline_kernelINS0_14default_configENS1_20scan_config_selectorItEEZZNS1_9scan_implILNS1_25lookback_scan_determinismE0ELb1ELb1ES3_N6thrust23THRUST_200600_302600_NS6detail15normal_iteratorINS9_10device_ptrItEEEENS9_16discard_iteratorINS9_11use_defaultEEEtNS9_4plusIvEEtEEDaPvRmT3_T4_T5_mT6_P12ihipStream_tbENKUlT_T0_E_clISt17integral_constantIbLb1EESX_EEDaSS_ST_EUlSS_E_NS1_11comp_targetILNS1_3genE10ELNS1_11target_archE1201ELNS1_3gpuE5ELNS1_3repE0EEENS1_30default_config_static_selectorELNS0_4arch9wavefront6targetE1EEEvT1_,comdat
.Lfunc_end5533:
	.size	_ZN7rocprim17ROCPRIM_400000_NS6detail17trampoline_kernelINS0_14default_configENS1_20scan_config_selectorItEEZZNS1_9scan_implILNS1_25lookback_scan_determinismE0ELb1ELb1ES3_N6thrust23THRUST_200600_302600_NS6detail15normal_iteratorINS9_10device_ptrItEEEENS9_16discard_iteratorINS9_11use_defaultEEEtNS9_4plusIvEEtEEDaPvRmT3_T4_T5_mT6_P12ihipStream_tbENKUlT_T0_E_clISt17integral_constantIbLb1EESX_EEDaSS_ST_EUlSS_E_NS1_11comp_targetILNS1_3genE10ELNS1_11target_archE1201ELNS1_3gpuE5ELNS1_3repE0EEENS1_30default_config_static_selectorELNS0_4arch9wavefront6targetE1EEEvT1_, .Lfunc_end5533-_ZN7rocprim17ROCPRIM_400000_NS6detail17trampoline_kernelINS0_14default_configENS1_20scan_config_selectorItEEZZNS1_9scan_implILNS1_25lookback_scan_determinismE0ELb1ELb1ES3_N6thrust23THRUST_200600_302600_NS6detail15normal_iteratorINS9_10device_ptrItEEEENS9_16discard_iteratorINS9_11use_defaultEEEtNS9_4plusIvEEtEEDaPvRmT3_T4_T5_mT6_P12ihipStream_tbENKUlT_T0_E_clISt17integral_constantIbLb1EESX_EEDaSS_ST_EUlSS_E_NS1_11comp_targetILNS1_3genE10ELNS1_11target_archE1201ELNS1_3gpuE5ELNS1_3repE0EEENS1_30default_config_static_selectorELNS0_4arch9wavefront6targetE1EEEvT1_
                                        ; -- End function
	.section	.AMDGPU.csdata,"",@progbits
; Kernel info:
; codeLenInByte = 0
; NumSgprs: 4
; NumVgprs: 0
; NumAgprs: 0
; TotalNumVgprs: 0
; ScratchSize: 0
; MemoryBound: 0
; FloatMode: 240
; IeeeMode: 1
; LDSByteSize: 0 bytes/workgroup (compile time only)
; SGPRBlocks: 0
; VGPRBlocks: 0
; NumSGPRsForWavesPerEU: 4
; NumVGPRsForWavesPerEU: 1
; AccumOffset: 4
; Occupancy: 8
; WaveLimiterHint : 0
; COMPUTE_PGM_RSRC2:SCRATCH_EN: 0
; COMPUTE_PGM_RSRC2:USER_SGPR: 6
; COMPUTE_PGM_RSRC2:TRAP_HANDLER: 0
; COMPUTE_PGM_RSRC2:TGID_X_EN: 1
; COMPUTE_PGM_RSRC2:TGID_Y_EN: 0
; COMPUTE_PGM_RSRC2:TGID_Z_EN: 0
; COMPUTE_PGM_RSRC2:TIDIG_COMP_CNT: 0
; COMPUTE_PGM_RSRC3_GFX90A:ACCUM_OFFSET: 0
; COMPUTE_PGM_RSRC3_GFX90A:TG_SPLIT: 0
	.section	.text._ZN7rocprim17ROCPRIM_400000_NS6detail17trampoline_kernelINS0_14default_configENS1_20scan_config_selectorItEEZZNS1_9scan_implILNS1_25lookback_scan_determinismE0ELb1ELb1ES3_N6thrust23THRUST_200600_302600_NS6detail15normal_iteratorINS9_10device_ptrItEEEENS9_16discard_iteratorINS9_11use_defaultEEEtNS9_4plusIvEEtEEDaPvRmT3_T4_T5_mT6_P12ihipStream_tbENKUlT_T0_E_clISt17integral_constantIbLb1EESX_EEDaSS_ST_EUlSS_E_NS1_11comp_targetILNS1_3genE10ELNS1_11target_archE1200ELNS1_3gpuE4ELNS1_3repE0EEENS1_30default_config_static_selectorELNS0_4arch9wavefront6targetE1EEEvT1_,"axG",@progbits,_ZN7rocprim17ROCPRIM_400000_NS6detail17trampoline_kernelINS0_14default_configENS1_20scan_config_selectorItEEZZNS1_9scan_implILNS1_25lookback_scan_determinismE0ELb1ELb1ES3_N6thrust23THRUST_200600_302600_NS6detail15normal_iteratorINS9_10device_ptrItEEEENS9_16discard_iteratorINS9_11use_defaultEEEtNS9_4plusIvEEtEEDaPvRmT3_T4_T5_mT6_P12ihipStream_tbENKUlT_T0_E_clISt17integral_constantIbLb1EESX_EEDaSS_ST_EUlSS_E_NS1_11comp_targetILNS1_3genE10ELNS1_11target_archE1200ELNS1_3gpuE4ELNS1_3repE0EEENS1_30default_config_static_selectorELNS0_4arch9wavefront6targetE1EEEvT1_,comdat
	.protected	_ZN7rocprim17ROCPRIM_400000_NS6detail17trampoline_kernelINS0_14default_configENS1_20scan_config_selectorItEEZZNS1_9scan_implILNS1_25lookback_scan_determinismE0ELb1ELb1ES3_N6thrust23THRUST_200600_302600_NS6detail15normal_iteratorINS9_10device_ptrItEEEENS9_16discard_iteratorINS9_11use_defaultEEEtNS9_4plusIvEEtEEDaPvRmT3_T4_T5_mT6_P12ihipStream_tbENKUlT_T0_E_clISt17integral_constantIbLb1EESX_EEDaSS_ST_EUlSS_E_NS1_11comp_targetILNS1_3genE10ELNS1_11target_archE1200ELNS1_3gpuE4ELNS1_3repE0EEENS1_30default_config_static_selectorELNS0_4arch9wavefront6targetE1EEEvT1_ ; -- Begin function _ZN7rocprim17ROCPRIM_400000_NS6detail17trampoline_kernelINS0_14default_configENS1_20scan_config_selectorItEEZZNS1_9scan_implILNS1_25lookback_scan_determinismE0ELb1ELb1ES3_N6thrust23THRUST_200600_302600_NS6detail15normal_iteratorINS9_10device_ptrItEEEENS9_16discard_iteratorINS9_11use_defaultEEEtNS9_4plusIvEEtEEDaPvRmT3_T4_T5_mT6_P12ihipStream_tbENKUlT_T0_E_clISt17integral_constantIbLb1EESX_EEDaSS_ST_EUlSS_E_NS1_11comp_targetILNS1_3genE10ELNS1_11target_archE1200ELNS1_3gpuE4ELNS1_3repE0EEENS1_30default_config_static_selectorELNS0_4arch9wavefront6targetE1EEEvT1_
	.globl	_ZN7rocprim17ROCPRIM_400000_NS6detail17trampoline_kernelINS0_14default_configENS1_20scan_config_selectorItEEZZNS1_9scan_implILNS1_25lookback_scan_determinismE0ELb1ELb1ES3_N6thrust23THRUST_200600_302600_NS6detail15normal_iteratorINS9_10device_ptrItEEEENS9_16discard_iteratorINS9_11use_defaultEEEtNS9_4plusIvEEtEEDaPvRmT3_T4_T5_mT6_P12ihipStream_tbENKUlT_T0_E_clISt17integral_constantIbLb1EESX_EEDaSS_ST_EUlSS_E_NS1_11comp_targetILNS1_3genE10ELNS1_11target_archE1200ELNS1_3gpuE4ELNS1_3repE0EEENS1_30default_config_static_selectorELNS0_4arch9wavefront6targetE1EEEvT1_
	.p2align	8
	.type	_ZN7rocprim17ROCPRIM_400000_NS6detail17trampoline_kernelINS0_14default_configENS1_20scan_config_selectorItEEZZNS1_9scan_implILNS1_25lookback_scan_determinismE0ELb1ELb1ES3_N6thrust23THRUST_200600_302600_NS6detail15normal_iteratorINS9_10device_ptrItEEEENS9_16discard_iteratorINS9_11use_defaultEEEtNS9_4plusIvEEtEEDaPvRmT3_T4_T5_mT6_P12ihipStream_tbENKUlT_T0_E_clISt17integral_constantIbLb1EESX_EEDaSS_ST_EUlSS_E_NS1_11comp_targetILNS1_3genE10ELNS1_11target_archE1200ELNS1_3gpuE4ELNS1_3repE0EEENS1_30default_config_static_selectorELNS0_4arch9wavefront6targetE1EEEvT1_,@function
_ZN7rocprim17ROCPRIM_400000_NS6detail17trampoline_kernelINS0_14default_configENS1_20scan_config_selectorItEEZZNS1_9scan_implILNS1_25lookback_scan_determinismE0ELb1ELb1ES3_N6thrust23THRUST_200600_302600_NS6detail15normal_iteratorINS9_10device_ptrItEEEENS9_16discard_iteratorINS9_11use_defaultEEEtNS9_4plusIvEEtEEDaPvRmT3_T4_T5_mT6_P12ihipStream_tbENKUlT_T0_E_clISt17integral_constantIbLb1EESX_EEDaSS_ST_EUlSS_E_NS1_11comp_targetILNS1_3genE10ELNS1_11target_archE1200ELNS1_3gpuE4ELNS1_3repE0EEENS1_30default_config_static_selectorELNS0_4arch9wavefront6targetE1EEEvT1_: ; @_ZN7rocprim17ROCPRIM_400000_NS6detail17trampoline_kernelINS0_14default_configENS1_20scan_config_selectorItEEZZNS1_9scan_implILNS1_25lookback_scan_determinismE0ELb1ELb1ES3_N6thrust23THRUST_200600_302600_NS6detail15normal_iteratorINS9_10device_ptrItEEEENS9_16discard_iteratorINS9_11use_defaultEEEtNS9_4plusIvEEtEEDaPvRmT3_T4_T5_mT6_P12ihipStream_tbENKUlT_T0_E_clISt17integral_constantIbLb1EESX_EEDaSS_ST_EUlSS_E_NS1_11comp_targetILNS1_3genE10ELNS1_11target_archE1200ELNS1_3gpuE4ELNS1_3repE0EEENS1_30default_config_static_selectorELNS0_4arch9wavefront6targetE1EEEvT1_
; %bb.0:
	.section	.rodata,"a",@progbits
	.p2align	6, 0x0
	.amdhsa_kernel _ZN7rocprim17ROCPRIM_400000_NS6detail17trampoline_kernelINS0_14default_configENS1_20scan_config_selectorItEEZZNS1_9scan_implILNS1_25lookback_scan_determinismE0ELb1ELb1ES3_N6thrust23THRUST_200600_302600_NS6detail15normal_iteratorINS9_10device_ptrItEEEENS9_16discard_iteratorINS9_11use_defaultEEEtNS9_4plusIvEEtEEDaPvRmT3_T4_T5_mT6_P12ihipStream_tbENKUlT_T0_E_clISt17integral_constantIbLb1EESX_EEDaSS_ST_EUlSS_E_NS1_11comp_targetILNS1_3genE10ELNS1_11target_archE1200ELNS1_3gpuE4ELNS1_3repE0EEENS1_30default_config_static_selectorELNS0_4arch9wavefront6targetE1EEEvT1_
		.amdhsa_group_segment_fixed_size 0
		.amdhsa_private_segment_fixed_size 0
		.amdhsa_kernarg_size 104
		.amdhsa_user_sgpr_count 6
		.amdhsa_user_sgpr_private_segment_buffer 1
		.amdhsa_user_sgpr_dispatch_ptr 0
		.amdhsa_user_sgpr_queue_ptr 0
		.amdhsa_user_sgpr_kernarg_segment_ptr 1
		.amdhsa_user_sgpr_dispatch_id 0
		.amdhsa_user_sgpr_flat_scratch_init 0
		.amdhsa_user_sgpr_kernarg_preload_length 0
		.amdhsa_user_sgpr_kernarg_preload_offset 0
		.amdhsa_user_sgpr_private_segment_size 0
		.amdhsa_uses_dynamic_stack 0
		.amdhsa_system_sgpr_private_segment_wavefront_offset 0
		.amdhsa_system_sgpr_workgroup_id_x 1
		.amdhsa_system_sgpr_workgroup_id_y 0
		.amdhsa_system_sgpr_workgroup_id_z 0
		.amdhsa_system_sgpr_workgroup_info 0
		.amdhsa_system_vgpr_workitem_id 0
		.amdhsa_next_free_vgpr 1
		.amdhsa_next_free_sgpr 0
		.amdhsa_accum_offset 4
		.amdhsa_reserve_vcc 0
		.amdhsa_reserve_flat_scratch 0
		.amdhsa_float_round_mode_32 0
		.amdhsa_float_round_mode_16_64 0
		.amdhsa_float_denorm_mode_32 3
		.amdhsa_float_denorm_mode_16_64 3
		.amdhsa_dx10_clamp 1
		.amdhsa_ieee_mode 1
		.amdhsa_fp16_overflow 0
		.amdhsa_tg_split 0
		.amdhsa_exception_fp_ieee_invalid_op 0
		.amdhsa_exception_fp_denorm_src 0
		.amdhsa_exception_fp_ieee_div_zero 0
		.amdhsa_exception_fp_ieee_overflow 0
		.amdhsa_exception_fp_ieee_underflow 0
		.amdhsa_exception_fp_ieee_inexact 0
		.amdhsa_exception_int_div_zero 0
	.end_amdhsa_kernel
	.section	.text._ZN7rocprim17ROCPRIM_400000_NS6detail17trampoline_kernelINS0_14default_configENS1_20scan_config_selectorItEEZZNS1_9scan_implILNS1_25lookback_scan_determinismE0ELb1ELb1ES3_N6thrust23THRUST_200600_302600_NS6detail15normal_iteratorINS9_10device_ptrItEEEENS9_16discard_iteratorINS9_11use_defaultEEEtNS9_4plusIvEEtEEDaPvRmT3_T4_T5_mT6_P12ihipStream_tbENKUlT_T0_E_clISt17integral_constantIbLb1EESX_EEDaSS_ST_EUlSS_E_NS1_11comp_targetILNS1_3genE10ELNS1_11target_archE1200ELNS1_3gpuE4ELNS1_3repE0EEENS1_30default_config_static_selectorELNS0_4arch9wavefront6targetE1EEEvT1_,"axG",@progbits,_ZN7rocprim17ROCPRIM_400000_NS6detail17trampoline_kernelINS0_14default_configENS1_20scan_config_selectorItEEZZNS1_9scan_implILNS1_25lookback_scan_determinismE0ELb1ELb1ES3_N6thrust23THRUST_200600_302600_NS6detail15normal_iteratorINS9_10device_ptrItEEEENS9_16discard_iteratorINS9_11use_defaultEEEtNS9_4plusIvEEtEEDaPvRmT3_T4_T5_mT6_P12ihipStream_tbENKUlT_T0_E_clISt17integral_constantIbLb1EESX_EEDaSS_ST_EUlSS_E_NS1_11comp_targetILNS1_3genE10ELNS1_11target_archE1200ELNS1_3gpuE4ELNS1_3repE0EEENS1_30default_config_static_selectorELNS0_4arch9wavefront6targetE1EEEvT1_,comdat
.Lfunc_end5534:
	.size	_ZN7rocprim17ROCPRIM_400000_NS6detail17trampoline_kernelINS0_14default_configENS1_20scan_config_selectorItEEZZNS1_9scan_implILNS1_25lookback_scan_determinismE0ELb1ELb1ES3_N6thrust23THRUST_200600_302600_NS6detail15normal_iteratorINS9_10device_ptrItEEEENS9_16discard_iteratorINS9_11use_defaultEEEtNS9_4plusIvEEtEEDaPvRmT3_T4_T5_mT6_P12ihipStream_tbENKUlT_T0_E_clISt17integral_constantIbLb1EESX_EEDaSS_ST_EUlSS_E_NS1_11comp_targetILNS1_3genE10ELNS1_11target_archE1200ELNS1_3gpuE4ELNS1_3repE0EEENS1_30default_config_static_selectorELNS0_4arch9wavefront6targetE1EEEvT1_, .Lfunc_end5534-_ZN7rocprim17ROCPRIM_400000_NS6detail17trampoline_kernelINS0_14default_configENS1_20scan_config_selectorItEEZZNS1_9scan_implILNS1_25lookback_scan_determinismE0ELb1ELb1ES3_N6thrust23THRUST_200600_302600_NS6detail15normal_iteratorINS9_10device_ptrItEEEENS9_16discard_iteratorINS9_11use_defaultEEEtNS9_4plusIvEEtEEDaPvRmT3_T4_T5_mT6_P12ihipStream_tbENKUlT_T0_E_clISt17integral_constantIbLb1EESX_EEDaSS_ST_EUlSS_E_NS1_11comp_targetILNS1_3genE10ELNS1_11target_archE1200ELNS1_3gpuE4ELNS1_3repE0EEENS1_30default_config_static_selectorELNS0_4arch9wavefront6targetE1EEEvT1_
                                        ; -- End function
	.section	.AMDGPU.csdata,"",@progbits
; Kernel info:
; codeLenInByte = 0
; NumSgprs: 4
; NumVgprs: 0
; NumAgprs: 0
; TotalNumVgprs: 0
; ScratchSize: 0
; MemoryBound: 0
; FloatMode: 240
; IeeeMode: 1
; LDSByteSize: 0 bytes/workgroup (compile time only)
; SGPRBlocks: 0
; VGPRBlocks: 0
; NumSGPRsForWavesPerEU: 4
; NumVGPRsForWavesPerEU: 1
; AccumOffset: 4
; Occupancy: 8
; WaveLimiterHint : 0
; COMPUTE_PGM_RSRC2:SCRATCH_EN: 0
; COMPUTE_PGM_RSRC2:USER_SGPR: 6
; COMPUTE_PGM_RSRC2:TRAP_HANDLER: 0
; COMPUTE_PGM_RSRC2:TGID_X_EN: 1
; COMPUTE_PGM_RSRC2:TGID_Y_EN: 0
; COMPUTE_PGM_RSRC2:TGID_Z_EN: 0
; COMPUTE_PGM_RSRC2:TIDIG_COMP_CNT: 0
; COMPUTE_PGM_RSRC3_GFX90A:ACCUM_OFFSET: 0
; COMPUTE_PGM_RSRC3_GFX90A:TG_SPLIT: 0
	.section	.text._ZN7rocprim17ROCPRIM_400000_NS6detail17trampoline_kernelINS0_14default_configENS1_20scan_config_selectorItEEZZNS1_9scan_implILNS1_25lookback_scan_determinismE0ELb1ELb1ES3_N6thrust23THRUST_200600_302600_NS6detail15normal_iteratorINS9_10device_ptrItEEEENS9_16discard_iteratorINS9_11use_defaultEEEtNS9_4plusIvEEtEEDaPvRmT3_T4_T5_mT6_P12ihipStream_tbENKUlT_T0_E_clISt17integral_constantIbLb1EESX_EEDaSS_ST_EUlSS_E_NS1_11comp_targetILNS1_3genE9ELNS1_11target_archE1100ELNS1_3gpuE3ELNS1_3repE0EEENS1_30default_config_static_selectorELNS0_4arch9wavefront6targetE1EEEvT1_,"axG",@progbits,_ZN7rocprim17ROCPRIM_400000_NS6detail17trampoline_kernelINS0_14default_configENS1_20scan_config_selectorItEEZZNS1_9scan_implILNS1_25lookback_scan_determinismE0ELb1ELb1ES3_N6thrust23THRUST_200600_302600_NS6detail15normal_iteratorINS9_10device_ptrItEEEENS9_16discard_iteratorINS9_11use_defaultEEEtNS9_4plusIvEEtEEDaPvRmT3_T4_T5_mT6_P12ihipStream_tbENKUlT_T0_E_clISt17integral_constantIbLb1EESX_EEDaSS_ST_EUlSS_E_NS1_11comp_targetILNS1_3genE9ELNS1_11target_archE1100ELNS1_3gpuE3ELNS1_3repE0EEENS1_30default_config_static_selectorELNS0_4arch9wavefront6targetE1EEEvT1_,comdat
	.protected	_ZN7rocprim17ROCPRIM_400000_NS6detail17trampoline_kernelINS0_14default_configENS1_20scan_config_selectorItEEZZNS1_9scan_implILNS1_25lookback_scan_determinismE0ELb1ELb1ES3_N6thrust23THRUST_200600_302600_NS6detail15normal_iteratorINS9_10device_ptrItEEEENS9_16discard_iteratorINS9_11use_defaultEEEtNS9_4plusIvEEtEEDaPvRmT3_T4_T5_mT6_P12ihipStream_tbENKUlT_T0_E_clISt17integral_constantIbLb1EESX_EEDaSS_ST_EUlSS_E_NS1_11comp_targetILNS1_3genE9ELNS1_11target_archE1100ELNS1_3gpuE3ELNS1_3repE0EEENS1_30default_config_static_selectorELNS0_4arch9wavefront6targetE1EEEvT1_ ; -- Begin function _ZN7rocprim17ROCPRIM_400000_NS6detail17trampoline_kernelINS0_14default_configENS1_20scan_config_selectorItEEZZNS1_9scan_implILNS1_25lookback_scan_determinismE0ELb1ELb1ES3_N6thrust23THRUST_200600_302600_NS6detail15normal_iteratorINS9_10device_ptrItEEEENS9_16discard_iteratorINS9_11use_defaultEEEtNS9_4plusIvEEtEEDaPvRmT3_T4_T5_mT6_P12ihipStream_tbENKUlT_T0_E_clISt17integral_constantIbLb1EESX_EEDaSS_ST_EUlSS_E_NS1_11comp_targetILNS1_3genE9ELNS1_11target_archE1100ELNS1_3gpuE3ELNS1_3repE0EEENS1_30default_config_static_selectorELNS0_4arch9wavefront6targetE1EEEvT1_
	.globl	_ZN7rocprim17ROCPRIM_400000_NS6detail17trampoline_kernelINS0_14default_configENS1_20scan_config_selectorItEEZZNS1_9scan_implILNS1_25lookback_scan_determinismE0ELb1ELb1ES3_N6thrust23THRUST_200600_302600_NS6detail15normal_iteratorINS9_10device_ptrItEEEENS9_16discard_iteratorINS9_11use_defaultEEEtNS9_4plusIvEEtEEDaPvRmT3_T4_T5_mT6_P12ihipStream_tbENKUlT_T0_E_clISt17integral_constantIbLb1EESX_EEDaSS_ST_EUlSS_E_NS1_11comp_targetILNS1_3genE9ELNS1_11target_archE1100ELNS1_3gpuE3ELNS1_3repE0EEENS1_30default_config_static_selectorELNS0_4arch9wavefront6targetE1EEEvT1_
	.p2align	8
	.type	_ZN7rocprim17ROCPRIM_400000_NS6detail17trampoline_kernelINS0_14default_configENS1_20scan_config_selectorItEEZZNS1_9scan_implILNS1_25lookback_scan_determinismE0ELb1ELb1ES3_N6thrust23THRUST_200600_302600_NS6detail15normal_iteratorINS9_10device_ptrItEEEENS9_16discard_iteratorINS9_11use_defaultEEEtNS9_4plusIvEEtEEDaPvRmT3_T4_T5_mT6_P12ihipStream_tbENKUlT_T0_E_clISt17integral_constantIbLb1EESX_EEDaSS_ST_EUlSS_E_NS1_11comp_targetILNS1_3genE9ELNS1_11target_archE1100ELNS1_3gpuE3ELNS1_3repE0EEENS1_30default_config_static_selectorELNS0_4arch9wavefront6targetE1EEEvT1_,@function
_ZN7rocprim17ROCPRIM_400000_NS6detail17trampoline_kernelINS0_14default_configENS1_20scan_config_selectorItEEZZNS1_9scan_implILNS1_25lookback_scan_determinismE0ELb1ELb1ES3_N6thrust23THRUST_200600_302600_NS6detail15normal_iteratorINS9_10device_ptrItEEEENS9_16discard_iteratorINS9_11use_defaultEEEtNS9_4plusIvEEtEEDaPvRmT3_T4_T5_mT6_P12ihipStream_tbENKUlT_T0_E_clISt17integral_constantIbLb1EESX_EEDaSS_ST_EUlSS_E_NS1_11comp_targetILNS1_3genE9ELNS1_11target_archE1100ELNS1_3gpuE3ELNS1_3repE0EEENS1_30default_config_static_selectorELNS0_4arch9wavefront6targetE1EEEvT1_: ; @_ZN7rocprim17ROCPRIM_400000_NS6detail17trampoline_kernelINS0_14default_configENS1_20scan_config_selectorItEEZZNS1_9scan_implILNS1_25lookback_scan_determinismE0ELb1ELb1ES3_N6thrust23THRUST_200600_302600_NS6detail15normal_iteratorINS9_10device_ptrItEEEENS9_16discard_iteratorINS9_11use_defaultEEEtNS9_4plusIvEEtEEDaPvRmT3_T4_T5_mT6_P12ihipStream_tbENKUlT_T0_E_clISt17integral_constantIbLb1EESX_EEDaSS_ST_EUlSS_E_NS1_11comp_targetILNS1_3genE9ELNS1_11target_archE1100ELNS1_3gpuE3ELNS1_3repE0EEENS1_30default_config_static_selectorELNS0_4arch9wavefront6targetE1EEEvT1_
; %bb.0:
	.section	.rodata,"a",@progbits
	.p2align	6, 0x0
	.amdhsa_kernel _ZN7rocprim17ROCPRIM_400000_NS6detail17trampoline_kernelINS0_14default_configENS1_20scan_config_selectorItEEZZNS1_9scan_implILNS1_25lookback_scan_determinismE0ELb1ELb1ES3_N6thrust23THRUST_200600_302600_NS6detail15normal_iteratorINS9_10device_ptrItEEEENS9_16discard_iteratorINS9_11use_defaultEEEtNS9_4plusIvEEtEEDaPvRmT3_T4_T5_mT6_P12ihipStream_tbENKUlT_T0_E_clISt17integral_constantIbLb1EESX_EEDaSS_ST_EUlSS_E_NS1_11comp_targetILNS1_3genE9ELNS1_11target_archE1100ELNS1_3gpuE3ELNS1_3repE0EEENS1_30default_config_static_selectorELNS0_4arch9wavefront6targetE1EEEvT1_
		.amdhsa_group_segment_fixed_size 0
		.amdhsa_private_segment_fixed_size 0
		.amdhsa_kernarg_size 104
		.amdhsa_user_sgpr_count 6
		.amdhsa_user_sgpr_private_segment_buffer 1
		.amdhsa_user_sgpr_dispatch_ptr 0
		.amdhsa_user_sgpr_queue_ptr 0
		.amdhsa_user_sgpr_kernarg_segment_ptr 1
		.amdhsa_user_sgpr_dispatch_id 0
		.amdhsa_user_sgpr_flat_scratch_init 0
		.amdhsa_user_sgpr_kernarg_preload_length 0
		.amdhsa_user_sgpr_kernarg_preload_offset 0
		.amdhsa_user_sgpr_private_segment_size 0
		.amdhsa_uses_dynamic_stack 0
		.amdhsa_system_sgpr_private_segment_wavefront_offset 0
		.amdhsa_system_sgpr_workgroup_id_x 1
		.amdhsa_system_sgpr_workgroup_id_y 0
		.amdhsa_system_sgpr_workgroup_id_z 0
		.amdhsa_system_sgpr_workgroup_info 0
		.amdhsa_system_vgpr_workitem_id 0
		.amdhsa_next_free_vgpr 1
		.amdhsa_next_free_sgpr 0
		.amdhsa_accum_offset 4
		.amdhsa_reserve_vcc 0
		.amdhsa_reserve_flat_scratch 0
		.amdhsa_float_round_mode_32 0
		.amdhsa_float_round_mode_16_64 0
		.amdhsa_float_denorm_mode_32 3
		.amdhsa_float_denorm_mode_16_64 3
		.amdhsa_dx10_clamp 1
		.amdhsa_ieee_mode 1
		.amdhsa_fp16_overflow 0
		.amdhsa_tg_split 0
		.amdhsa_exception_fp_ieee_invalid_op 0
		.amdhsa_exception_fp_denorm_src 0
		.amdhsa_exception_fp_ieee_div_zero 0
		.amdhsa_exception_fp_ieee_overflow 0
		.amdhsa_exception_fp_ieee_underflow 0
		.amdhsa_exception_fp_ieee_inexact 0
		.amdhsa_exception_int_div_zero 0
	.end_amdhsa_kernel
	.section	.text._ZN7rocprim17ROCPRIM_400000_NS6detail17trampoline_kernelINS0_14default_configENS1_20scan_config_selectorItEEZZNS1_9scan_implILNS1_25lookback_scan_determinismE0ELb1ELb1ES3_N6thrust23THRUST_200600_302600_NS6detail15normal_iteratorINS9_10device_ptrItEEEENS9_16discard_iteratorINS9_11use_defaultEEEtNS9_4plusIvEEtEEDaPvRmT3_T4_T5_mT6_P12ihipStream_tbENKUlT_T0_E_clISt17integral_constantIbLb1EESX_EEDaSS_ST_EUlSS_E_NS1_11comp_targetILNS1_3genE9ELNS1_11target_archE1100ELNS1_3gpuE3ELNS1_3repE0EEENS1_30default_config_static_selectorELNS0_4arch9wavefront6targetE1EEEvT1_,"axG",@progbits,_ZN7rocprim17ROCPRIM_400000_NS6detail17trampoline_kernelINS0_14default_configENS1_20scan_config_selectorItEEZZNS1_9scan_implILNS1_25lookback_scan_determinismE0ELb1ELb1ES3_N6thrust23THRUST_200600_302600_NS6detail15normal_iteratorINS9_10device_ptrItEEEENS9_16discard_iteratorINS9_11use_defaultEEEtNS9_4plusIvEEtEEDaPvRmT3_T4_T5_mT6_P12ihipStream_tbENKUlT_T0_E_clISt17integral_constantIbLb1EESX_EEDaSS_ST_EUlSS_E_NS1_11comp_targetILNS1_3genE9ELNS1_11target_archE1100ELNS1_3gpuE3ELNS1_3repE0EEENS1_30default_config_static_selectorELNS0_4arch9wavefront6targetE1EEEvT1_,comdat
.Lfunc_end5535:
	.size	_ZN7rocprim17ROCPRIM_400000_NS6detail17trampoline_kernelINS0_14default_configENS1_20scan_config_selectorItEEZZNS1_9scan_implILNS1_25lookback_scan_determinismE0ELb1ELb1ES3_N6thrust23THRUST_200600_302600_NS6detail15normal_iteratorINS9_10device_ptrItEEEENS9_16discard_iteratorINS9_11use_defaultEEEtNS9_4plusIvEEtEEDaPvRmT3_T4_T5_mT6_P12ihipStream_tbENKUlT_T0_E_clISt17integral_constantIbLb1EESX_EEDaSS_ST_EUlSS_E_NS1_11comp_targetILNS1_3genE9ELNS1_11target_archE1100ELNS1_3gpuE3ELNS1_3repE0EEENS1_30default_config_static_selectorELNS0_4arch9wavefront6targetE1EEEvT1_, .Lfunc_end5535-_ZN7rocprim17ROCPRIM_400000_NS6detail17trampoline_kernelINS0_14default_configENS1_20scan_config_selectorItEEZZNS1_9scan_implILNS1_25lookback_scan_determinismE0ELb1ELb1ES3_N6thrust23THRUST_200600_302600_NS6detail15normal_iteratorINS9_10device_ptrItEEEENS9_16discard_iteratorINS9_11use_defaultEEEtNS9_4plusIvEEtEEDaPvRmT3_T4_T5_mT6_P12ihipStream_tbENKUlT_T0_E_clISt17integral_constantIbLb1EESX_EEDaSS_ST_EUlSS_E_NS1_11comp_targetILNS1_3genE9ELNS1_11target_archE1100ELNS1_3gpuE3ELNS1_3repE0EEENS1_30default_config_static_selectorELNS0_4arch9wavefront6targetE1EEEvT1_
                                        ; -- End function
	.section	.AMDGPU.csdata,"",@progbits
; Kernel info:
; codeLenInByte = 0
; NumSgprs: 4
; NumVgprs: 0
; NumAgprs: 0
; TotalNumVgprs: 0
; ScratchSize: 0
; MemoryBound: 0
; FloatMode: 240
; IeeeMode: 1
; LDSByteSize: 0 bytes/workgroup (compile time only)
; SGPRBlocks: 0
; VGPRBlocks: 0
; NumSGPRsForWavesPerEU: 4
; NumVGPRsForWavesPerEU: 1
; AccumOffset: 4
; Occupancy: 8
; WaveLimiterHint : 0
; COMPUTE_PGM_RSRC2:SCRATCH_EN: 0
; COMPUTE_PGM_RSRC2:USER_SGPR: 6
; COMPUTE_PGM_RSRC2:TRAP_HANDLER: 0
; COMPUTE_PGM_RSRC2:TGID_X_EN: 1
; COMPUTE_PGM_RSRC2:TGID_Y_EN: 0
; COMPUTE_PGM_RSRC2:TGID_Z_EN: 0
; COMPUTE_PGM_RSRC2:TIDIG_COMP_CNT: 0
; COMPUTE_PGM_RSRC3_GFX90A:ACCUM_OFFSET: 0
; COMPUTE_PGM_RSRC3_GFX90A:TG_SPLIT: 0
	.section	.text._ZN7rocprim17ROCPRIM_400000_NS6detail17trampoline_kernelINS0_14default_configENS1_20scan_config_selectorItEEZZNS1_9scan_implILNS1_25lookback_scan_determinismE0ELb1ELb1ES3_N6thrust23THRUST_200600_302600_NS6detail15normal_iteratorINS9_10device_ptrItEEEENS9_16discard_iteratorINS9_11use_defaultEEEtNS9_4plusIvEEtEEDaPvRmT3_T4_T5_mT6_P12ihipStream_tbENKUlT_T0_E_clISt17integral_constantIbLb1EESX_EEDaSS_ST_EUlSS_E_NS1_11comp_targetILNS1_3genE8ELNS1_11target_archE1030ELNS1_3gpuE2ELNS1_3repE0EEENS1_30default_config_static_selectorELNS0_4arch9wavefront6targetE1EEEvT1_,"axG",@progbits,_ZN7rocprim17ROCPRIM_400000_NS6detail17trampoline_kernelINS0_14default_configENS1_20scan_config_selectorItEEZZNS1_9scan_implILNS1_25lookback_scan_determinismE0ELb1ELb1ES3_N6thrust23THRUST_200600_302600_NS6detail15normal_iteratorINS9_10device_ptrItEEEENS9_16discard_iteratorINS9_11use_defaultEEEtNS9_4plusIvEEtEEDaPvRmT3_T4_T5_mT6_P12ihipStream_tbENKUlT_T0_E_clISt17integral_constantIbLb1EESX_EEDaSS_ST_EUlSS_E_NS1_11comp_targetILNS1_3genE8ELNS1_11target_archE1030ELNS1_3gpuE2ELNS1_3repE0EEENS1_30default_config_static_selectorELNS0_4arch9wavefront6targetE1EEEvT1_,comdat
	.protected	_ZN7rocprim17ROCPRIM_400000_NS6detail17trampoline_kernelINS0_14default_configENS1_20scan_config_selectorItEEZZNS1_9scan_implILNS1_25lookback_scan_determinismE0ELb1ELb1ES3_N6thrust23THRUST_200600_302600_NS6detail15normal_iteratorINS9_10device_ptrItEEEENS9_16discard_iteratorINS9_11use_defaultEEEtNS9_4plusIvEEtEEDaPvRmT3_T4_T5_mT6_P12ihipStream_tbENKUlT_T0_E_clISt17integral_constantIbLb1EESX_EEDaSS_ST_EUlSS_E_NS1_11comp_targetILNS1_3genE8ELNS1_11target_archE1030ELNS1_3gpuE2ELNS1_3repE0EEENS1_30default_config_static_selectorELNS0_4arch9wavefront6targetE1EEEvT1_ ; -- Begin function _ZN7rocprim17ROCPRIM_400000_NS6detail17trampoline_kernelINS0_14default_configENS1_20scan_config_selectorItEEZZNS1_9scan_implILNS1_25lookback_scan_determinismE0ELb1ELb1ES3_N6thrust23THRUST_200600_302600_NS6detail15normal_iteratorINS9_10device_ptrItEEEENS9_16discard_iteratorINS9_11use_defaultEEEtNS9_4plusIvEEtEEDaPvRmT3_T4_T5_mT6_P12ihipStream_tbENKUlT_T0_E_clISt17integral_constantIbLb1EESX_EEDaSS_ST_EUlSS_E_NS1_11comp_targetILNS1_3genE8ELNS1_11target_archE1030ELNS1_3gpuE2ELNS1_3repE0EEENS1_30default_config_static_selectorELNS0_4arch9wavefront6targetE1EEEvT1_
	.globl	_ZN7rocprim17ROCPRIM_400000_NS6detail17trampoline_kernelINS0_14default_configENS1_20scan_config_selectorItEEZZNS1_9scan_implILNS1_25lookback_scan_determinismE0ELb1ELb1ES3_N6thrust23THRUST_200600_302600_NS6detail15normal_iteratorINS9_10device_ptrItEEEENS9_16discard_iteratorINS9_11use_defaultEEEtNS9_4plusIvEEtEEDaPvRmT3_T4_T5_mT6_P12ihipStream_tbENKUlT_T0_E_clISt17integral_constantIbLb1EESX_EEDaSS_ST_EUlSS_E_NS1_11comp_targetILNS1_3genE8ELNS1_11target_archE1030ELNS1_3gpuE2ELNS1_3repE0EEENS1_30default_config_static_selectorELNS0_4arch9wavefront6targetE1EEEvT1_
	.p2align	8
	.type	_ZN7rocprim17ROCPRIM_400000_NS6detail17trampoline_kernelINS0_14default_configENS1_20scan_config_selectorItEEZZNS1_9scan_implILNS1_25lookback_scan_determinismE0ELb1ELb1ES3_N6thrust23THRUST_200600_302600_NS6detail15normal_iteratorINS9_10device_ptrItEEEENS9_16discard_iteratorINS9_11use_defaultEEEtNS9_4plusIvEEtEEDaPvRmT3_T4_T5_mT6_P12ihipStream_tbENKUlT_T0_E_clISt17integral_constantIbLb1EESX_EEDaSS_ST_EUlSS_E_NS1_11comp_targetILNS1_3genE8ELNS1_11target_archE1030ELNS1_3gpuE2ELNS1_3repE0EEENS1_30default_config_static_selectorELNS0_4arch9wavefront6targetE1EEEvT1_,@function
_ZN7rocprim17ROCPRIM_400000_NS6detail17trampoline_kernelINS0_14default_configENS1_20scan_config_selectorItEEZZNS1_9scan_implILNS1_25lookback_scan_determinismE0ELb1ELb1ES3_N6thrust23THRUST_200600_302600_NS6detail15normal_iteratorINS9_10device_ptrItEEEENS9_16discard_iteratorINS9_11use_defaultEEEtNS9_4plusIvEEtEEDaPvRmT3_T4_T5_mT6_P12ihipStream_tbENKUlT_T0_E_clISt17integral_constantIbLb1EESX_EEDaSS_ST_EUlSS_E_NS1_11comp_targetILNS1_3genE8ELNS1_11target_archE1030ELNS1_3gpuE2ELNS1_3repE0EEENS1_30default_config_static_selectorELNS0_4arch9wavefront6targetE1EEEvT1_: ; @_ZN7rocprim17ROCPRIM_400000_NS6detail17trampoline_kernelINS0_14default_configENS1_20scan_config_selectorItEEZZNS1_9scan_implILNS1_25lookback_scan_determinismE0ELb1ELb1ES3_N6thrust23THRUST_200600_302600_NS6detail15normal_iteratorINS9_10device_ptrItEEEENS9_16discard_iteratorINS9_11use_defaultEEEtNS9_4plusIvEEtEEDaPvRmT3_T4_T5_mT6_P12ihipStream_tbENKUlT_T0_E_clISt17integral_constantIbLb1EESX_EEDaSS_ST_EUlSS_E_NS1_11comp_targetILNS1_3genE8ELNS1_11target_archE1030ELNS1_3gpuE2ELNS1_3repE0EEENS1_30default_config_static_selectorELNS0_4arch9wavefront6targetE1EEEvT1_
; %bb.0:
	.section	.rodata,"a",@progbits
	.p2align	6, 0x0
	.amdhsa_kernel _ZN7rocprim17ROCPRIM_400000_NS6detail17trampoline_kernelINS0_14default_configENS1_20scan_config_selectorItEEZZNS1_9scan_implILNS1_25lookback_scan_determinismE0ELb1ELb1ES3_N6thrust23THRUST_200600_302600_NS6detail15normal_iteratorINS9_10device_ptrItEEEENS9_16discard_iteratorINS9_11use_defaultEEEtNS9_4plusIvEEtEEDaPvRmT3_T4_T5_mT6_P12ihipStream_tbENKUlT_T0_E_clISt17integral_constantIbLb1EESX_EEDaSS_ST_EUlSS_E_NS1_11comp_targetILNS1_3genE8ELNS1_11target_archE1030ELNS1_3gpuE2ELNS1_3repE0EEENS1_30default_config_static_selectorELNS0_4arch9wavefront6targetE1EEEvT1_
		.amdhsa_group_segment_fixed_size 0
		.amdhsa_private_segment_fixed_size 0
		.amdhsa_kernarg_size 104
		.amdhsa_user_sgpr_count 6
		.amdhsa_user_sgpr_private_segment_buffer 1
		.amdhsa_user_sgpr_dispatch_ptr 0
		.amdhsa_user_sgpr_queue_ptr 0
		.amdhsa_user_sgpr_kernarg_segment_ptr 1
		.amdhsa_user_sgpr_dispatch_id 0
		.amdhsa_user_sgpr_flat_scratch_init 0
		.amdhsa_user_sgpr_kernarg_preload_length 0
		.amdhsa_user_sgpr_kernarg_preload_offset 0
		.amdhsa_user_sgpr_private_segment_size 0
		.amdhsa_uses_dynamic_stack 0
		.amdhsa_system_sgpr_private_segment_wavefront_offset 0
		.amdhsa_system_sgpr_workgroup_id_x 1
		.amdhsa_system_sgpr_workgroup_id_y 0
		.amdhsa_system_sgpr_workgroup_id_z 0
		.amdhsa_system_sgpr_workgroup_info 0
		.amdhsa_system_vgpr_workitem_id 0
		.amdhsa_next_free_vgpr 1
		.amdhsa_next_free_sgpr 0
		.amdhsa_accum_offset 4
		.amdhsa_reserve_vcc 0
		.amdhsa_reserve_flat_scratch 0
		.amdhsa_float_round_mode_32 0
		.amdhsa_float_round_mode_16_64 0
		.amdhsa_float_denorm_mode_32 3
		.amdhsa_float_denorm_mode_16_64 3
		.amdhsa_dx10_clamp 1
		.amdhsa_ieee_mode 1
		.amdhsa_fp16_overflow 0
		.amdhsa_tg_split 0
		.amdhsa_exception_fp_ieee_invalid_op 0
		.amdhsa_exception_fp_denorm_src 0
		.amdhsa_exception_fp_ieee_div_zero 0
		.amdhsa_exception_fp_ieee_overflow 0
		.amdhsa_exception_fp_ieee_underflow 0
		.amdhsa_exception_fp_ieee_inexact 0
		.amdhsa_exception_int_div_zero 0
	.end_amdhsa_kernel
	.section	.text._ZN7rocprim17ROCPRIM_400000_NS6detail17trampoline_kernelINS0_14default_configENS1_20scan_config_selectorItEEZZNS1_9scan_implILNS1_25lookback_scan_determinismE0ELb1ELb1ES3_N6thrust23THRUST_200600_302600_NS6detail15normal_iteratorINS9_10device_ptrItEEEENS9_16discard_iteratorINS9_11use_defaultEEEtNS9_4plusIvEEtEEDaPvRmT3_T4_T5_mT6_P12ihipStream_tbENKUlT_T0_E_clISt17integral_constantIbLb1EESX_EEDaSS_ST_EUlSS_E_NS1_11comp_targetILNS1_3genE8ELNS1_11target_archE1030ELNS1_3gpuE2ELNS1_3repE0EEENS1_30default_config_static_selectorELNS0_4arch9wavefront6targetE1EEEvT1_,"axG",@progbits,_ZN7rocprim17ROCPRIM_400000_NS6detail17trampoline_kernelINS0_14default_configENS1_20scan_config_selectorItEEZZNS1_9scan_implILNS1_25lookback_scan_determinismE0ELb1ELb1ES3_N6thrust23THRUST_200600_302600_NS6detail15normal_iteratorINS9_10device_ptrItEEEENS9_16discard_iteratorINS9_11use_defaultEEEtNS9_4plusIvEEtEEDaPvRmT3_T4_T5_mT6_P12ihipStream_tbENKUlT_T0_E_clISt17integral_constantIbLb1EESX_EEDaSS_ST_EUlSS_E_NS1_11comp_targetILNS1_3genE8ELNS1_11target_archE1030ELNS1_3gpuE2ELNS1_3repE0EEENS1_30default_config_static_selectorELNS0_4arch9wavefront6targetE1EEEvT1_,comdat
.Lfunc_end5536:
	.size	_ZN7rocprim17ROCPRIM_400000_NS6detail17trampoline_kernelINS0_14default_configENS1_20scan_config_selectorItEEZZNS1_9scan_implILNS1_25lookback_scan_determinismE0ELb1ELb1ES3_N6thrust23THRUST_200600_302600_NS6detail15normal_iteratorINS9_10device_ptrItEEEENS9_16discard_iteratorINS9_11use_defaultEEEtNS9_4plusIvEEtEEDaPvRmT3_T4_T5_mT6_P12ihipStream_tbENKUlT_T0_E_clISt17integral_constantIbLb1EESX_EEDaSS_ST_EUlSS_E_NS1_11comp_targetILNS1_3genE8ELNS1_11target_archE1030ELNS1_3gpuE2ELNS1_3repE0EEENS1_30default_config_static_selectorELNS0_4arch9wavefront6targetE1EEEvT1_, .Lfunc_end5536-_ZN7rocprim17ROCPRIM_400000_NS6detail17trampoline_kernelINS0_14default_configENS1_20scan_config_selectorItEEZZNS1_9scan_implILNS1_25lookback_scan_determinismE0ELb1ELb1ES3_N6thrust23THRUST_200600_302600_NS6detail15normal_iteratorINS9_10device_ptrItEEEENS9_16discard_iteratorINS9_11use_defaultEEEtNS9_4plusIvEEtEEDaPvRmT3_T4_T5_mT6_P12ihipStream_tbENKUlT_T0_E_clISt17integral_constantIbLb1EESX_EEDaSS_ST_EUlSS_E_NS1_11comp_targetILNS1_3genE8ELNS1_11target_archE1030ELNS1_3gpuE2ELNS1_3repE0EEENS1_30default_config_static_selectorELNS0_4arch9wavefront6targetE1EEEvT1_
                                        ; -- End function
	.section	.AMDGPU.csdata,"",@progbits
; Kernel info:
; codeLenInByte = 0
; NumSgprs: 4
; NumVgprs: 0
; NumAgprs: 0
; TotalNumVgprs: 0
; ScratchSize: 0
; MemoryBound: 0
; FloatMode: 240
; IeeeMode: 1
; LDSByteSize: 0 bytes/workgroup (compile time only)
; SGPRBlocks: 0
; VGPRBlocks: 0
; NumSGPRsForWavesPerEU: 4
; NumVGPRsForWavesPerEU: 1
; AccumOffset: 4
; Occupancy: 8
; WaveLimiterHint : 0
; COMPUTE_PGM_RSRC2:SCRATCH_EN: 0
; COMPUTE_PGM_RSRC2:USER_SGPR: 6
; COMPUTE_PGM_RSRC2:TRAP_HANDLER: 0
; COMPUTE_PGM_RSRC2:TGID_X_EN: 1
; COMPUTE_PGM_RSRC2:TGID_Y_EN: 0
; COMPUTE_PGM_RSRC2:TGID_Z_EN: 0
; COMPUTE_PGM_RSRC2:TIDIG_COMP_CNT: 0
; COMPUTE_PGM_RSRC3_GFX90A:ACCUM_OFFSET: 0
; COMPUTE_PGM_RSRC3_GFX90A:TG_SPLIT: 0
	.section	.text._ZN7rocprim17ROCPRIM_400000_NS6detail17trampoline_kernelINS0_14default_configENS1_20scan_config_selectorItEEZZNS1_9scan_implILNS1_25lookback_scan_determinismE0ELb1ELb1ES3_N6thrust23THRUST_200600_302600_NS6detail15normal_iteratorINS9_10device_ptrItEEEENS9_16discard_iteratorINS9_11use_defaultEEEtNS9_4plusIvEEtEEDaPvRmT3_T4_T5_mT6_P12ihipStream_tbENKUlT_T0_E_clISt17integral_constantIbLb1EESX_EEDaSS_ST_EUlSS_E0_NS1_11comp_targetILNS1_3genE0ELNS1_11target_archE4294967295ELNS1_3gpuE0ELNS1_3repE0EEENS1_30default_config_static_selectorELNS0_4arch9wavefront6targetE1EEEvT1_,"axG",@progbits,_ZN7rocprim17ROCPRIM_400000_NS6detail17trampoline_kernelINS0_14default_configENS1_20scan_config_selectorItEEZZNS1_9scan_implILNS1_25lookback_scan_determinismE0ELb1ELb1ES3_N6thrust23THRUST_200600_302600_NS6detail15normal_iteratorINS9_10device_ptrItEEEENS9_16discard_iteratorINS9_11use_defaultEEEtNS9_4plusIvEEtEEDaPvRmT3_T4_T5_mT6_P12ihipStream_tbENKUlT_T0_E_clISt17integral_constantIbLb1EESX_EEDaSS_ST_EUlSS_E0_NS1_11comp_targetILNS1_3genE0ELNS1_11target_archE4294967295ELNS1_3gpuE0ELNS1_3repE0EEENS1_30default_config_static_selectorELNS0_4arch9wavefront6targetE1EEEvT1_,comdat
	.protected	_ZN7rocprim17ROCPRIM_400000_NS6detail17trampoline_kernelINS0_14default_configENS1_20scan_config_selectorItEEZZNS1_9scan_implILNS1_25lookback_scan_determinismE0ELb1ELb1ES3_N6thrust23THRUST_200600_302600_NS6detail15normal_iteratorINS9_10device_ptrItEEEENS9_16discard_iteratorINS9_11use_defaultEEEtNS9_4plusIvEEtEEDaPvRmT3_T4_T5_mT6_P12ihipStream_tbENKUlT_T0_E_clISt17integral_constantIbLb1EESX_EEDaSS_ST_EUlSS_E0_NS1_11comp_targetILNS1_3genE0ELNS1_11target_archE4294967295ELNS1_3gpuE0ELNS1_3repE0EEENS1_30default_config_static_selectorELNS0_4arch9wavefront6targetE1EEEvT1_ ; -- Begin function _ZN7rocprim17ROCPRIM_400000_NS6detail17trampoline_kernelINS0_14default_configENS1_20scan_config_selectorItEEZZNS1_9scan_implILNS1_25lookback_scan_determinismE0ELb1ELb1ES3_N6thrust23THRUST_200600_302600_NS6detail15normal_iteratorINS9_10device_ptrItEEEENS9_16discard_iteratorINS9_11use_defaultEEEtNS9_4plusIvEEtEEDaPvRmT3_T4_T5_mT6_P12ihipStream_tbENKUlT_T0_E_clISt17integral_constantIbLb1EESX_EEDaSS_ST_EUlSS_E0_NS1_11comp_targetILNS1_3genE0ELNS1_11target_archE4294967295ELNS1_3gpuE0ELNS1_3repE0EEENS1_30default_config_static_selectorELNS0_4arch9wavefront6targetE1EEEvT1_
	.globl	_ZN7rocprim17ROCPRIM_400000_NS6detail17trampoline_kernelINS0_14default_configENS1_20scan_config_selectorItEEZZNS1_9scan_implILNS1_25lookback_scan_determinismE0ELb1ELb1ES3_N6thrust23THRUST_200600_302600_NS6detail15normal_iteratorINS9_10device_ptrItEEEENS9_16discard_iteratorINS9_11use_defaultEEEtNS9_4plusIvEEtEEDaPvRmT3_T4_T5_mT6_P12ihipStream_tbENKUlT_T0_E_clISt17integral_constantIbLb1EESX_EEDaSS_ST_EUlSS_E0_NS1_11comp_targetILNS1_3genE0ELNS1_11target_archE4294967295ELNS1_3gpuE0ELNS1_3repE0EEENS1_30default_config_static_selectorELNS0_4arch9wavefront6targetE1EEEvT1_
	.p2align	8
	.type	_ZN7rocprim17ROCPRIM_400000_NS6detail17trampoline_kernelINS0_14default_configENS1_20scan_config_selectorItEEZZNS1_9scan_implILNS1_25lookback_scan_determinismE0ELb1ELb1ES3_N6thrust23THRUST_200600_302600_NS6detail15normal_iteratorINS9_10device_ptrItEEEENS9_16discard_iteratorINS9_11use_defaultEEEtNS9_4plusIvEEtEEDaPvRmT3_T4_T5_mT6_P12ihipStream_tbENKUlT_T0_E_clISt17integral_constantIbLb1EESX_EEDaSS_ST_EUlSS_E0_NS1_11comp_targetILNS1_3genE0ELNS1_11target_archE4294967295ELNS1_3gpuE0ELNS1_3repE0EEENS1_30default_config_static_selectorELNS0_4arch9wavefront6targetE1EEEvT1_,@function
_ZN7rocprim17ROCPRIM_400000_NS6detail17trampoline_kernelINS0_14default_configENS1_20scan_config_selectorItEEZZNS1_9scan_implILNS1_25lookback_scan_determinismE0ELb1ELb1ES3_N6thrust23THRUST_200600_302600_NS6detail15normal_iteratorINS9_10device_ptrItEEEENS9_16discard_iteratorINS9_11use_defaultEEEtNS9_4plusIvEEtEEDaPvRmT3_T4_T5_mT6_P12ihipStream_tbENKUlT_T0_E_clISt17integral_constantIbLb1EESX_EEDaSS_ST_EUlSS_E0_NS1_11comp_targetILNS1_3genE0ELNS1_11target_archE4294967295ELNS1_3gpuE0ELNS1_3repE0EEENS1_30default_config_static_selectorELNS0_4arch9wavefront6targetE1EEEvT1_: ; @_ZN7rocprim17ROCPRIM_400000_NS6detail17trampoline_kernelINS0_14default_configENS1_20scan_config_selectorItEEZZNS1_9scan_implILNS1_25lookback_scan_determinismE0ELb1ELb1ES3_N6thrust23THRUST_200600_302600_NS6detail15normal_iteratorINS9_10device_ptrItEEEENS9_16discard_iteratorINS9_11use_defaultEEEtNS9_4plusIvEEtEEDaPvRmT3_T4_T5_mT6_P12ihipStream_tbENKUlT_T0_E_clISt17integral_constantIbLb1EESX_EEDaSS_ST_EUlSS_E0_NS1_11comp_targetILNS1_3genE0ELNS1_11target_archE4294967295ELNS1_3gpuE0ELNS1_3repE0EEENS1_30default_config_static_selectorELNS0_4arch9wavefront6targetE1EEEvT1_
; %bb.0:
	.section	.rodata,"a",@progbits
	.p2align	6, 0x0
	.amdhsa_kernel _ZN7rocprim17ROCPRIM_400000_NS6detail17trampoline_kernelINS0_14default_configENS1_20scan_config_selectorItEEZZNS1_9scan_implILNS1_25lookback_scan_determinismE0ELb1ELb1ES3_N6thrust23THRUST_200600_302600_NS6detail15normal_iteratorINS9_10device_ptrItEEEENS9_16discard_iteratorINS9_11use_defaultEEEtNS9_4plusIvEEtEEDaPvRmT3_T4_T5_mT6_P12ihipStream_tbENKUlT_T0_E_clISt17integral_constantIbLb1EESX_EEDaSS_ST_EUlSS_E0_NS1_11comp_targetILNS1_3genE0ELNS1_11target_archE4294967295ELNS1_3gpuE0ELNS1_3repE0EEENS1_30default_config_static_selectorELNS0_4arch9wavefront6targetE1EEEvT1_
		.amdhsa_group_segment_fixed_size 0
		.amdhsa_private_segment_fixed_size 0
		.amdhsa_kernarg_size 40
		.amdhsa_user_sgpr_count 6
		.amdhsa_user_sgpr_private_segment_buffer 1
		.amdhsa_user_sgpr_dispatch_ptr 0
		.amdhsa_user_sgpr_queue_ptr 0
		.amdhsa_user_sgpr_kernarg_segment_ptr 1
		.amdhsa_user_sgpr_dispatch_id 0
		.amdhsa_user_sgpr_flat_scratch_init 0
		.amdhsa_user_sgpr_kernarg_preload_length 0
		.amdhsa_user_sgpr_kernarg_preload_offset 0
		.amdhsa_user_sgpr_private_segment_size 0
		.amdhsa_uses_dynamic_stack 0
		.amdhsa_system_sgpr_private_segment_wavefront_offset 0
		.amdhsa_system_sgpr_workgroup_id_x 1
		.amdhsa_system_sgpr_workgroup_id_y 0
		.amdhsa_system_sgpr_workgroup_id_z 0
		.amdhsa_system_sgpr_workgroup_info 0
		.amdhsa_system_vgpr_workitem_id 0
		.amdhsa_next_free_vgpr 1
		.amdhsa_next_free_sgpr 0
		.amdhsa_accum_offset 4
		.amdhsa_reserve_vcc 0
		.amdhsa_reserve_flat_scratch 0
		.amdhsa_float_round_mode_32 0
		.amdhsa_float_round_mode_16_64 0
		.amdhsa_float_denorm_mode_32 3
		.amdhsa_float_denorm_mode_16_64 3
		.amdhsa_dx10_clamp 1
		.amdhsa_ieee_mode 1
		.amdhsa_fp16_overflow 0
		.amdhsa_tg_split 0
		.amdhsa_exception_fp_ieee_invalid_op 0
		.amdhsa_exception_fp_denorm_src 0
		.amdhsa_exception_fp_ieee_div_zero 0
		.amdhsa_exception_fp_ieee_overflow 0
		.amdhsa_exception_fp_ieee_underflow 0
		.amdhsa_exception_fp_ieee_inexact 0
		.amdhsa_exception_int_div_zero 0
	.end_amdhsa_kernel
	.section	.text._ZN7rocprim17ROCPRIM_400000_NS6detail17trampoline_kernelINS0_14default_configENS1_20scan_config_selectorItEEZZNS1_9scan_implILNS1_25lookback_scan_determinismE0ELb1ELb1ES3_N6thrust23THRUST_200600_302600_NS6detail15normal_iteratorINS9_10device_ptrItEEEENS9_16discard_iteratorINS9_11use_defaultEEEtNS9_4plusIvEEtEEDaPvRmT3_T4_T5_mT6_P12ihipStream_tbENKUlT_T0_E_clISt17integral_constantIbLb1EESX_EEDaSS_ST_EUlSS_E0_NS1_11comp_targetILNS1_3genE0ELNS1_11target_archE4294967295ELNS1_3gpuE0ELNS1_3repE0EEENS1_30default_config_static_selectorELNS0_4arch9wavefront6targetE1EEEvT1_,"axG",@progbits,_ZN7rocprim17ROCPRIM_400000_NS6detail17trampoline_kernelINS0_14default_configENS1_20scan_config_selectorItEEZZNS1_9scan_implILNS1_25lookback_scan_determinismE0ELb1ELb1ES3_N6thrust23THRUST_200600_302600_NS6detail15normal_iteratorINS9_10device_ptrItEEEENS9_16discard_iteratorINS9_11use_defaultEEEtNS9_4plusIvEEtEEDaPvRmT3_T4_T5_mT6_P12ihipStream_tbENKUlT_T0_E_clISt17integral_constantIbLb1EESX_EEDaSS_ST_EUlSS_E0_NS1_11comp_targetILNS1_3genE0ELNS1_11target_archE4294967295ELNS1_3gpuE0ELNS1_3repE0EEENS1_30default_config_static_selectorELNS0_4arch9wavefront6targetE1EEEvT1_,comdat
.Lfunc_end5537:
	.size	_ZN7rocprim17ROCPRIM_400000_NS6detail17trampoline_kernelINS0_14default_configENS1_20scan_config_selectorItEEZZNS1_9scan_implILNS1_25lookback_scan_determinismE0ELb1ELb1ES3_N6thrust23THRUST_200600_302600_NS6detail15normal_iteratorINS9_10device_ptrItEEEENS9_16discard_iteratorINS9_11use_defaultEEEtNS9_4plusIvEEtEEDaPvRmT3_T4_T5_mT6_P12ihipStream_tbENKUlT_T0_E_clISt17integral_constantIbLb1EESX_EEDaSS_ST_EUlSS_E0_NS1_11comp_targetILNS1_3genE0ELNS1_11target_archE4294967295ELNS1_3gpuE0ELNS1_3repE0EEENS1_30default_config_static_selectorELNS0_4arch9wavefront6targetE1EEEvT1_, .Lfunc_end5537-_ZN7rocprim17ROCPRIM_400000_NS6detail17trampoline_kernelINS0_14default_configENS1_20scan_config_selectorItEEZZNS1_9scan_implILNS1_25lookback_scan_determinismE0ELb1ELb1ES3_N6thrust23THRUST_200600_302600_NS6detail15normal_iteratorINS9_10device_ptrItEEEENS9_16discard_iteratorINS9_11use_defaultEEEtNS9_4plusIvEEtEEDaPvRmT3_T4_T5_mT6_P12ihipStream_tbENKUlT_T0_E_clISt17integral_constantIbLb1EESX_EEDaSS_ST_EUlSS_E0_NS1_11comp_targetILNS1_3genE0ELNS1_11target_archE4294967295ELNS1_3gpuE0ELNS1_3repE0EEENS1_30default_config_static_selectorELNS0_4arch9wavefront6targetE1EEEvT1_
                                        ; -- End function
	.section	.AMDGPU.csdata,"",@progbits
; Kernel info:
; codeLenInByte = 0
; NumSgprs: 4
; NumVgprs: 0
; NumAgprs: 0
; TotalNumVgprs: 0
; ScratchSize: 0
; MemoryBound: 0
; FloatMode: 240
; IeeeMode: 1
; LDSByteSize: 0 bytes/workgroup (compile time only)
; SGPRBlocks: 0
; VGPRBlocks: 0
; NumSGPRsForWavesPerEU: 4
; NumVGPRsForWavesPerEU: 1
; AccumOffset: 4
; Occupancy: 8
; WaveLimiterHint : 0
; COMPUTE_PGM_RSRC2:SCRATCH_EN: 0
; COMPUTE_PGM_RSRC2:USER_SGPR: 6
; COMPUTE_PGM_RSRC2:TRAP_HANDLER: 0
; COMPUTE_PGM_RSRC2:TGID_X_EN: 1
; COMPUTE_PGM_RSRC2:TGID_Y_EN: 0
; COMPUTE_PGM_RSRC2:TGID_Z_EN: 0
; COMPUTE_PGM_RSRC2:TIDIG_COMP_CNT: 0
; COMPUTE_PGM_RSRC3_GFX90A:ACCUM_OFFSET: 0
; COMPUTE_PGM_RSRC3_GFX90A:TG_SPLIT: 0
	.section	.text._ZN7rocprim17ROCPRIM_400000_NS6detail17trampoline_kernelINS0_14default_configENS1_20scan_config_selectorItEEZZNS1_9scan_implILNS1_25lookback_scan_determinismE0ELb1ELb1ES3_N6thrust23THRUST_200600_302600_NS6detail15normal_iteratorINS9_10device_ptrItEEEENS9_16discard_iteratorINS9_11use_defaultEEEtNS9_4plusIvEEtEEDaPvRmT3_T4_T5_mT6_P12ihipStream_tbENKUlT_T0_E_clISt17integral_constantIbLb1EESX_EEDaSS_ST_EUlSS_E0_NS1_11comp_targetILNS1_3genE5ELNS1_11target_archE942ELNS1_3gpuE9ELNS1_3repE0EEENS1_30default_config_static_selectorELNS0_4arch9wavefront6targetE1EEEvT1_,"axG",@progbits,_ZN7rocprim17ROCPRIM_400000_NS6detail17trampoline_kernelINS0_14default_configENS1_20scan_config_selectorItEEZZNS1_9scan_implILNS1_25lookback_scan_determinismE0ELb1ELb1ES3_N6thrust23THRUST_200600_302600_NS6detail15normal_iteratorINS9_10device_ptrItEEEENS9_16discard_iteratorINS9_11use_defaultEEEtNS9_4plusIvEEtEEDaPvRmT3_T4_T5_mT6_P12ihipStream_tbENKUlT_T0_E_clISt17integral_constantIbLb1EESX_EEDaSS_ST_EUlSS_E0_NS1_11comp_targetILNS1_3genE5ELNS1_11target_archE942ELNS1_3gpuE9ELNS1_3repE0EEENS1_30default_config_static_selectorELNS0_4arch9wavefront6targetE1EEEvT1_,comdat
	.protected	_ZN7rocprim17ROCPRIM_400000_NS6detail17trampoline_kernelINS0_14default_configENS1_20scan_config_selectorItEEZZNS1_9scan_implILNS1_25lookback_scan_determinismE0ELb1ELb1ES3_N6thrust23THRUST_200600_302600_NS6detail15normal_iteratorINS9_10device_ptrItEEEENS9_16discard_iteratorINS9_11use_defaultEEEtNS9_4plusIvEEtEEDaPvRmT3_T4_T5_mT6_P12ihipStream_tbENKUlT_T0_E_clISt17integral_constantIbLb1EESX_EEDaSS_ST_EUlSS_E0_NS1_11comp_targetILNS1_3genE5ELNS1_11target_archE942ELNS1_3gpuE9ELNS1_3repE0EEENS1_30default_config_static_selectorELNS0_4arch9wavefront6targetE1EEEvT1_ ; -- Begin function _ZN7rocprim17ROCPRIM_400000_NS6detail17trampoline_kernelINS0_14default_configENS1_20scan_config_selectorItEEZZNS1_9scan_implILNS1_25lookback_scan_determinismE0ELb1ELb1ES3_N6thrust23THRUST_200600_302600_NS6detail15normal_iteratorINS9_10device_ptrItEEEENS9_16discard_iteratorINS9_11use_defaultEEEtNS9_4plusIvEEtEEDaPvRmT3_T4_T5_mT6_P12ihipStream_tbENKUlT_T0_E_clISt17integral_constantIbLb1EESX_EEDaSS_ST_EUlSS_E0_NS1_11comp_targetILNS1_3genE5ELNS1_11target_archE942ELNS1_3gpuE9ELNS1_3repE0EEENS1_30default_config_static_selectorELNS0_4arch9wavefront6targetE1EEEvT1_
	.globl	_ZN7rocprim17ROCPRIM_400000_NS6detail17trampoline_kernelINS0_14default_configENS1_20scan_config_selectorItEEZZNS1_9scan_implILNS1_25lookback_scan_determinismE0ELb1ELb1ES3_N6thrust23THRUST_200600_302600_NS6detail15normal_iteratorINS9_10device_ptrItEEEENS9_16discard_iteratorINS9_11use_defaultEEEtNS9_4plusIvEEtEEDaPvRmT3_T4_T5_mT6_P12ihipStream_tbENKUlT_T0_E_clISt17integral_constantIbLb1EESX_EEDaSS_ST_EUlSS_E0_NS1_11comp_targetILNS1_3genE5ELNS1_11target_archE942ELNS1_3gpuE9ELNS1_3repE0EEENS1_30default_config_static_selectorELNS0_4arch9wavefront6targetE1EEEvT1_
	.p2align	8
	.type	_ZN7rocprim17ROCPRIM_400000_NS6detail17trampoline_kernelINS0_14default_configENS1_20scan_config_selectorItEEZZNS1_9scan_implILNS1_25lookback_scan_determinismE0ELb1ELb1ES3_N6thrust23THRUST_200600_302600_NS6detail15normal_iteratorINS9_10device_ptrItEEEENS9_16discard_iteratorINS9_11use_defaultEEEtNS9_4plusIvEEtEEDaPvRmT3_T4_T5_mT6_P12ihipStream_tbENKUlT_T0_E_clISt17integral_constantIbLb1EESX_EEDaSS_ST_EUlSS_E0_NS1_11comp_targetILNS1_3genE5ELNS1_11target_archE942ELNS1_3gpuE9ELNS1_3repE0EEENS1_30default_config_static_selectorELNS0_4arch9wavefront6targetE1EEEvT1_,@function
_ZN7rocprim17ROCPRIM_400000_NS6detail17trampoline_kernelINS0_14default_configENS1_20scan_config_selectorItEEZZNS1_9scan_implILNS1_25lookback_scan_determinismE0ELb1ELb1ES3_N6thrust23THRUST_200600_302600_NS6detail15normal_iteratorINS9_10device_ptrItEEEENS9_16discard_iteratorINS9_11use_defaultEEEtNS9_4plusIvEEtEEDaPvRmT3_T4_T5_mT6_P12ihipStream_tbENKUlT_T0_E_clISt17integral_constantIbLb1EESX_EEDaSS_ST_EUlSS_E0_NS1_11comp_targetILNS1_3genE5ELNS1_11target_archE942ELNS1_3gpuE9ELNS1_3repE0EEENS1_30default_config_static_selectorELNS0_4arch9wavefront6targetE1EEEvT1_: ; @_ZN7rocprim17ROCPRIM_400000_NS6detail17trampoline_kernelINS0_14default_configENS1_20scan_config_selectorItEEZZNS1_9scan_implILNS1_25lookback_scan_determinismE0ELb1ELb1ES3_N6thrust23THRUST_200600_302600_NS6detail15normal_iteratorINS9_10device_ptrItEEEENS9_16discard_iteratorINS9_11use_defaultEEEtNS9_4plusIvEEtEEDaPvRmT3_T4_T5_mT6_P12ihipStream_tbENKUlT_T0_E_clISt17integral_constantIbLb1EESX_EEDaSS_ST_EUlSS_E0_NS1_11comp_targetILNS1_3genE5ELNS1_11target_archE942ELNS1_3gpuE9ELNS1_3repE0EEENS1_30default_config_static_selectorELNS0_4arch9wavefront6targetE1EEEvT1_
; %bb.0:
	.section	.rodata,"a",@progbits
	.p2align	6, 0x0
	.amdhsa_kernel _ZN7rocprim17ROCPRIM_400000_NS6detail17trampoline_kernelINS0_14default_configENS1_20scan_config_selectorItEEZZNS1_9scan_implILNS1_25lookback_scan_determinismE0ELb1ELb1ES3_N6thrust23THRUST_200600_302600_NS6detail15normal_iteratorINS9_10device_ptrItEEEENS9_16discard_iteratorINS9_11use_defaultEEEtNS9_4plusIvEEtEEDaPvRmT3_T4_T5_mT6_P12ihipStream_tbENKUlT_T0_E_clISt17integral_constantIbLb1EESX_EEDaSS_ST_EUlSS_E0_NS1_11comp_targetILNS1_3genE5ELNS1_11target_archE942ELNS1_3gpuE9ELNS1_3repE0EEENS1_30default_config_static_selectorELNS0_4arch9wavefront6targetE1EEEvT1_
		.amdhsa_group_segment_fixed_size 0
		.amdhsa_private_segment_fixed_size 0
		.amdhsa_kernarg_size 40
		.amdhsa_user_sgpr_count 6
		.amdhsa_user_sgpr_private_segment_buffer 1
		.amdhsa_user_sgpr_dispatch_ptr 0
		.amdhsa_user_sgpr_queue_ptr 0
		.amdhsa_user_sgpr_kernarg_segment_ptr 1
		.amdhsa_user_sgpr_dispatch_id 0
		.amdhsa_user_sgpr_flat_scratch_init 0
		.amdhsa_user_sgpr_kernarg_preload_length 0
		.amdhsa_user_sgpr_kernarg_preload_offset 0
		.amdhsa_user_sgpr_private_segment_size 0
		.amdhsa_uses_dynamic_stack 0
		.amdhsa_system_sgpr_private_segment_wavefront_offset 0
		.amdhsa_system_sgpr_workgroup_id_x 1
		.amdhsa_system_sgpr_workgroup_id_y 0
		.amdhsa_system_sgpr_workgroup_id_z 0
		.amdhsa_system_sgpr_workgroup_info 0
		.amdhsa_system_vgpr_workitem_id 0
		.amdhsa_next_free_vgpr 1
		.amdhsa_next_free_sgpr 0
		.amdhsa_accum_offset 4
		.amdhsa_reserve_vcc 0
		.amdhsa_reserve_flat_scratch 0
		.amdhsa_float_round_mode_32 0
		.amdhsa_float_round_mode_16_64 0
		.amdhsa_float_denorm_mode_32 3
		.amdhsa_float_denorm_mode_16_64 3
		.amdhsa_dx10_clamp 1
		.amdhsa_ieee_mode 1
		.amdhsa_fp16_overflow 0
		.amdhsa_tg_split 0
		.amdhsa_exception_fp_ieee_invalid_op 0
		.amdhsa_exception_fp_denorm_src 0
		.amdhsa_exception_fp_ieee_div_zero 0
		.amdhsa_exception_fp_ieee_overflow 0
		.amdhsa_exception_fp_ieee_underflow 0
		.amdhsa_exception_fp_ieee_inexact 0
		.amdhsa_exception_int_div_zero 0
	.end_amdhsa_kernel
	.section	.text._ZN7rocprim17ROCPRIM_400000_NS6detail17trampoline_kernelINS0_14default_configENS1_20scan_config_selectorItEEZZNS1_9scan_implILNS1_25lookback_scan_determinismE0ELb1ELb1ES3_N6thrust23THRUST_200600_302600_NS6detail15normal_iteratorINS9_10device_ptrItEEEENS9_16discard_iteratorINS9_11use_defaultEEEtNS9_4plusIvEEtEEDaPvRmT3_T4_T5_mT6_P12ihipStream_tbENKUlT_T0_E_clISt17integral_constantIbLb1EESX_EEDaSS_ST_EUlSS_E0_NS1_11comp_targetILNS1_3genE5ELNS1_11target_archE942ELNS1_3gpuE9ELNS1_3repE0EEENS1_30default_config_static_selectorELNS0_4arch9wavefront6targetE1EEEvT1_,"axG",@progbits,_ZN7rocprim17ROCPRIM_400000_NS6detail17trampoline_kernelINS0_14default_configENS1_20scan_config_selectorItEEZZNS1_9scan_implILNS1_25lookback_scan_determinismE0ELb1ELb1ES3_N6thrust23THRUST_200600_302600_NS6detail15normal_iteratorINS9_10device_ptrItEEEENS9_16discard_iteratorINS9_11use_defaultEEEtNS9_4plusIvEEtEEDaPvRmT3_T4_T5_mT6_P12ihipStream_tbENKUlT_T0_E_clISt17integral_constantIbLb1EESX_EEDaSS_ST_EUlSS_E0_NS1_11comp_targetILNS1_3genE5ELNS1_11target_archE942ELNS1_3gpuE9ELNS1_3repE0EEENS1_30default_config_static_selectorELNS0_4arch9wavefront6targetE1EEEvT1_,comdat
.Lfunc_end5538:
	.size	_ZN7rocprim17ROCPRIM_400000_NS6detail17trampoline_kernelINS0_14default_configENS1_20scan_config_selectorItEEZZNS1_9scan_implILNS1_25lookback_scan_determinismE0ELb1ELb1ES3_N6thrust23THRUST_200600_302600_NS6detail15normal_iteratorINS9_10device_ptrItEEEENS9_16discard_iteratorINS9_11use_defaultEEEtNS9_4plusIvEEtEEDaPvRmT3_T4_T5_mT6_P12ihipStream_tbENKUlT_T0_E_clISt17integral_constantIbLb1EESX_EEDaSS_ST_EUlSS_E0_NS1_11comp_targetILNS1_3genE5ELNS1_11target_archE942ELNS1_3gpuE9ELNS1_3repE0EEENS1_30default_config_static_selectorELNS0_4arch9wavefront6targetE1EEEvT1_, .Lfunc_end5538-_ZN7rocprim17ROCPRIM_400000_NS6detail17trampoline_kernelINS0_14default_configENS1_20scan_config_selectorItEEZZNS1_9scan_implILNS1_25lookback_scan_determinismE0ELb1ELb1ES3_N6thrust23THRUST_200600_302600_NS6detail15normal_iteratorINS9_10device_ptrItEEEENS9_16discard_iteratorINS9_11use_defaultEEEtNS9_4plusIvEEtEEDaPvRmT3_T4_T5_mT6_P12ihipStream_tbENKUlT_T0_E_clISt17integral_constantIbLb1EESX_EEDaSS_ST_EUlSS_E0_NS1_11comp_targetILNS1_3genE5ELNS1_11target_archE942ELNS1_3gpuE9ELNS1_3repE0EEENS1_30default_config_static_selectorELNS0_4arch9wavefront6targetE1EEEvT1_
                                        ; -- End function
	.section	.AMDGPU.csdata,"",@progbits
; Kernel info:
; codeLenInByte = 0
; NumSgprs: 4
; NumVgprs: 0
; NumAgprs: 0
; TotalNumVgprs: 0
; ScratchSize: 0
; MemoryBound: 0
; FloatMode: 240
; IeeeMode: 1
; LDSByteSize: 0 bytes/workgroup (compile time only)
; SGPRBlocks: 0
; VGPRBlocks: 0
; NumSGPRsForWavesPerEU: 4
; NumVGPRsForWavesPerEU: 1
; AccumOffset: 4
; Occupancy: 8
; WaveLimiterHint : 0
; COMPUTE_PGM_RSRC2:SCRATCH_EN: 0
; COMPUTE_PGM_RSRC2:USER_SGPR: 6
; COMPUTE_PGM_RSRC2:TRAP_HANDLER: 0
; COMPUTE_PGM_RSRC2:TGID_X_EN: 1
; COMPUTE_PGM_RSRC2:TGID_Y_EN: 0
; COMPUTE_PGM_RSRC2:TGID_Z_EN: 0
; COMPUTE_PGM_RSRC2:TIDIG_COMP_CNT: 0
; COMPUTE_PGM_RSRC3_GFX90A:ACCUM_OFFSET: 0
; COMPUTE_PGM_RSRC3_GFX90A:TG_SPLIT: 0
	.section	.text._ZN7rocprim17ROCPRIM_400000_NS6detail17trampoline_kernelINS0_14default_configENS1_20scan_config_selectorItEEZZNS1_9scan_implILNS1_25lookback_scan_determinismE0ELb1ELb1ES3_N6thrust23THRUST_200600_302600_NS6detail15normal_iteratorINS9_10device_ptrItEEEENS9_16discard_iteratorINS9_11use_defaultEEEtNS9_4plusIvEEtEEDaPvRmT3_T4_T5_mT6_P12ihipStream_tbENKUlT_T0_E_clISt17integral_constantIbLb1EESX_EEDaSS_ST_EUlSS_E0_NS1_11comp_targetILNS1_3genE4ELNS1_11target_archE910ELNS1_3gpuE8ELNS1_3repE0EEENS1_30default_config_static_selectorELNS0_4arch9wavefront6targetE1EEEvT1_,"axG",@progbits,_ZN7rocprim17ROCPRIM_400000_NS6detail17trampoline_kernelINS0_14default_configENS1_20scan_config_selectorItEEZZNS1_9scan_implILNS1_25lookback_scan_determinismE0ELb1ELb1ES3_N6thrust23THRUST_200600_302600_NS6detail15normal_iteratorINS9_10device_ptrItEEEENS9_16discard_iteratorINS9_11use_defaultEEEtNS9_4plusIvEEtEEDaPvRmT3_T4_T5_mT6_P12ihipStream_tbENKUlT_T0_E_clISt17integral_constantIbLb1EESX_EEDaSS_ST_EUlSS_E0_NS1_11comp_targetILNS1_3genE4ELNS1_11target_archE910ELNS1_3gpuE8ELNS1_3repE0EEENS1_30default_config_static_selectorELNS0_4arch9wavefront6targetE1EEEvT1_,comdat
	.protected	_ZN7rocprim17ROCPRIM_400000_NS6detail17trampoline_kernelINS0_14default_configENS1_20scan_config_selectorItEEZZNS1_9scan_implILNS1_25lookback_scan_determinismE0ELb1ELb1ES3_N6thrust23THRUST_200600_302600_NS6detail15normal_iteratorINS9_10device_ptrItEEEENS9_16discard_iteratorINS9_11use_defaultEEEtNS9_4plusIvEEtEEDaPvRmT3_T4_T5_mT6_P12ihipStream_tbENKUlT_T0_E_clISt17integral_constantIbLb1EESX_EEDaSS_ST_EUlSS_E0_NS1_11comp_targetILNS1_3genE4ELNS1_11target_archE910ELNS1_3gpuE8ELNS1_3repE0EEENS1_30default_config_static_selectorELNS0_4arch9wavefront6targetE1EEEvT1_ ; -- Begin function _ZN7rocprim17ROCPRIM_400000_NS6detail17trampoline_kernelINS0_14default_configENS1_20scan_config_selectorItEEZZNS1_9scan_implILNS1_25lookback_scan_determinismE0ELb1ELb1ES3_N6thrust23THRUST_200600_302600_NS6detail15normal_iteratorINS9_10device_ptrItEEEENS9_16discard_iteratorINS9_11use_defaultEEEtNS9_4plusIvEEtEEDaPvRmT3_T4_T5_mT6_P12ihipStream_tbENKUlT_T0_E_clISt17integral_constantIbLb1EESX_EEDaSS_ST_EUlSS_E0_NS1_11comp_targetILNS1_3genE4ELNS1_11target_archE910ELNS1_3gpuE8ELNS1_3repE0EEENS1_30default_config_static_selectorELNS0_4arch9wavefront6targetE1EEEvT1_
	.globl	_ZN7rocprim17ROCPRIM_400000_NS6detail17trampoline_kernelINS0_14default_configENS1_20scan_config_selectorItEEZZNS1_9scan_implILNS1_25lookback_scan_determinismE0ELb1ELb1ES3_N6thrust23THRUST_200600_302600_NS6detail15normal_iteratorINS9_10device_ptrItEEEENS9_16discard_iteratorINS9_11use_defaultEEEtNS9_4plusIvEEtEEDaPvRmT3_T4_T5_mT6_P12ihipStream_tbENKUlT_T0_E_clISt17integral_constantIbLb1EESX_EEDaSS_ST_EUlSS_E0_NS1_11comp_targetILNS1_3genE4ELNS1_11target_archE910ELNS1_3gpuE8ELNS1_3repE0EEENS1_30default_config_static_selectorELNS0_4arch9wavefront6targetE1EEEvT1_
	.p2align	8
	.type	_ZN7rocprim17ROCPRIM_400000_NS6detail17trampoline_kernelINS0_14default_configENS1_20scan_config_selectorItEEZZNS1_9scan_implILNS1_25lookback_scan_determinismE0ELb1ELb1ES3_N6thrust23THRUST_200600_302600_NS6detail15normal_iteratorINS9_10device_ptrItEEEENS9_16discard_iteratorINS9_11use_defaultEEEtNS9_4plusIvEEtEEDaPvRmT3_T4_T5_mT6_P12ihipStream_tbENKUlT_T0_E_clISt17integral_constantIbLb1EESX_EEDaSS_ST_EUlSS_E0_NS1_11comp_targetILNS1_3genE4ELNS1_11target_archE910ELNS1_3gpuE8ELNS1_3repE0EEENS1_30default_config_static_selectorELNS0_4arch9wavefront6targetE1EEEvT1_,@function
_ZN7rocprim17ROCPRIM_400000_NS6detail17trampoline_kernelINS0_14default_configENS1_20scan_config_selectorItEEZZNS1_9scan_implILNS1_25lookback_scan_determinismE0ELb1ELb1ES3_N6thrust23THRUST_200600_302600_NS6detail15normal_iteratorINS9_10device_ptrItEEEENS9_16discard_iteratorINS9_11use_defaultEEEtNS9_4plusIvEEtEEDaPvRmT3_T4_T5_mT6_P12ihipStream_tbENKUlT_T0_E_clISt17integral_constantIbLb1EESX_EEDaSS_ST_EUlSS_E0_NS1_11comp_targetILNS1_3genE4ELNS1_11target_archE910ELNS1_3gpuE8ELNS1_3repE0EEENS1_30default_config_static_selectorELNS0_4arch9wavefront6targetE1EEEvT1_: ; @_ZN7rocprim17ROCPRIM_400000_NS6detail17trampoline_kernelINS0_14default_configENS1_20scan_config_selectorItEEZZNS1_9scan_implILNS1_25lookback_scan_determinismE0ELb1ELb1ES3_N6thrust23THRUST_200600_302600_NS6detail15normal_iteratorINS9_10device_ptrItEEEENS9_16discard_iteratorINS9_11use_defaultEEEtNS9_4plusIvEEtEEDaPvRmT3_T4_T5_mT6_P12ihipStream_tbENKUlT_T0_E_clISt17integral_constantIbLb1EESX_EEDaSS_ST_EUlSS_E0_NS1_11comp_targetILNS1_3genE4ELNS1_11target_archE910ELNS1_3gpuE8ELNS1_3repE0EEENS1_30default_config_static_selectorELNS0_4arch9wavefront6targetE1EEEvT1_
; %bb.0:
	s_load_dwordx4 s[0:3], s[4:5], 0x0
	v_mov_b32_e32 v1, 0
	s_waitcnt lgkmcnt(0)
	global_load_ushort v2, v1, s[0:1]
	v_cmp_gt_u32_e32 vcc, s2, v0
	v_lshlrev_b32_e32 v1, 1, v0
	s_waitcnt vmcnt(0)
	v_mov_b32_e32 v3, v2
	s_and_saveexec_b64 s[6:7], vcc
	s_cbranch_execz .LBB5539_2
; %bb.1:
	global_load_ushort v3, v1, s[0:1]
.LBB5539_2:
	s_or_b64 exec, exec, s[6:7]
	v_or_b32_e32 v4, 64, v0
	v_cmp_gt_u32_e32 vcc, s2, v4
	v_mov_b32_e32 v4, v2
	s_and_saveexec_b64 s[6:7], vcc
	s_cbranch_execz .LBB5539_4
; %bb.3:
	global_load_ushort v4, v1, s[0:1] offset:128
.LBB5539_4:
	s_or_b64 exec, exec, s[6:7]
	v_or_b32_e32 v5, 0x80, v0
	v_cmp_gt_u32_e32 vcc, s2, v5
	v_mov_b32_e32 v5, v2
	s_and_saveexec_b64 s[6:7], vcc
	s_cbranch_execz .LBB5539_6
; %bb.5:
	global_load_ushort v5, v1, s[0:1] offset:256
.LBB5539_6:
	;; [unrolled: 9-line block ×22, first 2 shown]
	s_or_b64 exec, exec, s[6:7]
	s_load_dword s4, s[4:5], 0x10
	v_or_b32_e32 v26, 0x5c0, v0
	v_cmp_gt_u32_e32 vcc, s2, v26
	s_and_saveexec_b64 s[2:3], vcc
	s_cbranch_execz .LBB5539_48
; %bb.47:
	global_load_ushort v2, v1, s[0:1] offset:2944
.LBB5539_48:
	s_or_b64 exec, exec, s[2:3]
	s_waitcnt vmcnt(0)
	ds_write_b16 v1, v3
	ds_write_b16 v1, v4 offset:128
	ds_write_b16 v1, v5 offset:256
	;; [unrolled: 1-line block ×23, first 2 shown]
	v_mad_u32_u24 v2, v0, 46, v1
	s_waitcnt lgkmcnt(0)
	; wave barrier
	s_waitcnt lgkmcnt(0)
	ds_read_b128 v[10:13], v2
	ds_read_b128 v[6:9], v2 offset:16
	ds_read_b128 v[2:5], v2 offset:32
	v_mul_u32_u24_e32 v14, 46, v0
	s_waitcnt lgkmcnt(0)
	v_add_u16_sdwa v15, v10, v10 dst_sel:DWORD dst_unused:UNUSED_PAD src0_sel:WORD_1 src1_sel:DWORD
	v_add_u16_e32 v15, v15, v11
	v_add_u16_sdwa v15, v15, v11 dst_sel:DWORD dst_unused:UNUSED_PAD src0_sel:DWORD src1_sel:WORD_1
	v_add_u16_e32 v15, v15, v12
	v_add_u16_sdwa v15, v15, v12 dst_sel:DWORD dst_unused:UNUSED_PAD src0_sel:DWORD src1_sel:WORD_1
	;; [unrolled: 2-line block ×11, first 2 shown]
	v_mbcnt_lo_u32_b32 v15, -1, 0
	v_mbcnt_hi_u32_b32 v15, -1, v15
	v_and_b32_e32 v17, 15, v15
	v_mov_b32_dpp v18, v16 row_shr:1 row_mask:0xf bank_mask:0xf
	v_cmp_ne_u32_e32 vcc, 0, v17
	v_cndmask_b32_e32 v18, 0, v18, vcc
	v_add_u16_e32 v16, v18, v16
	v_cmp_lt_u32_e32 vcc, 1, v17
	; wave barrier
	s_nop 0
	v_mov_b32_dpp v18, v16 row_shr:2 row_mask:0xf bank_mask:0xf
	v_cndmask_b32_e32 v18, 0, v18, vcc
	v_add_u16_e32 v16, v16, v18
	v_cmp_lt_u32_e32 vcc, 3, v17
	s_nop 0
	v_mov_b32_dpp v18, v16 row_shr:4 row_mask:0xf bank_mask:0xf
	v_cndmask_b32_e32 v18, 0, v18, vcc
	v_add_u16_e32 v16, v16, v18
	v_cmp_lt_u32_e32 vcc, 7, v17
	s_nop 0
	v_mov_b32_dpp v18, v16 row_shr:8 row_mask:0xf bank_mask:0xf
	v_cndmask_b32_e32 v17, 0, v18, vcc
	v_add_u16_e32 v16, v16, v17
	v_and_b32_e32 v18, 16, v15
	v_cmp_ne_u32_e32 vcc, 0, v18
	v_mov_b32_dpp v17, v16 row_bcast:15 row_mask:0xf bank_mask:0xf
	v_cndmask_b32_e32 v17, 0, v17, vcc
	v_add_u16_e32 v16, v16, v17
	v_cmp_lt_u32_e32 vcc, 31, v15
	s_nop 0
	v_mov_b32_dpp v17, v16 row_bcast:31 row_mask:0xf bank_mask:0xf
	v_cndmask_b32_e32 v17, 0, v17, vcc
	v_add_u16_e32 v16, v16, v17
	v_cmp_eq_u32_e32 vcc, 63, v0
	s_and_saveexec_b64 s[0:1], vcc
	s_cbranch_execz .LBB5539_50
; %bb.49:
	v_mov_b32_e32 v17, 0
	ds_write_b16 v17, v16
.LBB5539_50:
	s_or_b64 exec, exec, s[0:1]
	v_add_u32_e32 v17, -1, v15
	v_and_b32_e32 v18, 64, v15
	v_cmp_lt_i32_e32 vcc, v17, v18
	v_cndmask_b32_e32 v17, v17, v15, vcc
	v_add_u16_e32 v16, s4, v16
	v_lshlrev_b32_e32 v17, 2, v17
	ds_bpermute_b32 v16, v17, v16
	v_cmp_eq_u32_e32 vcc, 0, v15
	v_cmp_eq_u32_e64 s[0:1], 0, v0
	v_mov_b32_e32 v0, s4
	s_or_b64 vcc, s[0:1], vcc
	s_waitcnt lgkmcnt(0)
	v_cndmask_b32_e32 v0, v16, v0, vcc
	v_add_u16_e32 v15, v0, v10
	v_add_u16_sdwa v10, v15, v10 dst_sel:DWORD dst_unused:UNUSED_PAD src0_sel:DWORD src1_sel:WORD_1
	v_add_u16_e32 v16, v10, v11
	v_add_u16_sdwa v11, v16, v11 dst_sel:DWORD dst_unused:UNUSED_PAD src0_sel:DWORD src1_sel:WORD_1
	;; [unrolled: 2-line block ×10, first 2 shown]
	v_add_u16_e32 v27, v26, v4
	s_mov_b32 s0, 0x5040100
	v_add_u16_sdwa v4, v27, v4 dst_sel:DWORD dst_unused:UNUSED_PAD src0_sel:DWORD src1_sel:WORD_1
	v_add_u32_e32 v14, v1, v14
	v_perm_b32 v0, v15, v0, s0
	v_perm_b32 v1, v16, v10, s0
	;; [unrolled: 1-line block ×4, first 2 shown]
	s_waitcnt lgkmcnt(0)
	; wave barrier
	v_add_u16_e32 v5, v4, v5
	s_waitcnt lgkmcnt(0)
	; wave barrier
	ds_write_b128 v14, v[0:3]
	v_perm_b32 v0, v19, v13, s0
	v_perm_b32 v1, v20, v6, s0
	;; [unrolled: 1-line block ×4, first 2 shown]
	ds_write_b128 v14, v[0:3] offset:16
	v_perm_b32 v0, v23, v9, s0
	v_perm_b32 v1, v25, v24, s0
	;; [unrolled: 1-line block ×4, first 2 shown]
	ds_write_b128 v14, v[0:3] offset:32
	s_waitcnt lgkmcnt(0)
	; wave barrier
	s_waitcnt lgkmcnt(0)
	s_endpgm
	.section	.rodata,"a",@progbits
	.p2align	6, 0x0
	.amdhsa_kernel _ZN7rocprim17ROCPRIM_400000_NS6detail17trampoline_kernelINS0_14default_configENS1_20scan_config_selectorItEEZZNS1_9scan_implILNS1_25lookback_scan_determinismE0ELb1ELb1ES3_N6thrust23THRUST_200600_302600_NS6detail15normal_iteratorINS9_10device_ptrItEEEENS9_16discard_iteratorINS9_11use_defaultEEEtNS9_4plusIvEEtEEDaPvRmT3_T4_T5_mT6_P12ihipStream_tbENKUlT_T0_E_clISt17integral_constantIbLb1EESX_EEDaSS_ST_EUlSS_E0_NS1_11comp_targetILNS1_3genE4ELNS1_11target_archE910ELNS1_3gpuE8ELNS1_3repE0EEENS1_30default_config_static_selectorELNS0_4arch9wavefront6targetE1EEEvT1_
		.amdhsa_group_segment_fixed_size 3072
		.amdhsa_private_segment_fixed_size 0
		.amdhsa_kernarg_size 40
		.amdhsa_user_sgpr_count 6
		.amdhsa_user_sgpr_private_segment_buffer 1
		.amdhsa_user_sgpr_dispatch_ptr 0
		.amdhsa_user_sgpr_queue_ptr 0
		.amdhsa_user_sgpr_kernarg_segment_ptr 1
		.amdhsa_user_sgpr_dispatch_id 0
		.amdhsa_user_sgpr_flat_scratch_init 0
		.amdhsa_user_sgpr_kernarg_preload_length 0
		.amdhsa_user_sgpr_kernarg_preload_offset 0
		.amdhsa_user_sgpr_private_segment_size 0
		.amdhsa_uses_dynamic_stack 0
		.amdhsa_system_sgpr_private_segment_wavefront_offset 0
		.amdhsa_system_sgpr_workgroup_id_x 1
		.amdhsa_system_sgpr_workgroup_id_y 0
		.amdhsa_system_sgpr_workgroup_id_z 0
		.amdhsa_system_sgpr_workgroup_info 0
		.amdhsa_system_vgpr_workitem_id 0
		.amdhsa_next_free_vgpr 28
		.amdhsa_next_free_sgpr 8
		.amdhsa_accum_offset 28
		.amdhsa_reserve_vcc 1
		.amdhsa_reserve_flat_scratch 0
		.amdhsa_float_round_mode_32 0
		.amdhsa_float_round_mode_16_64 0
		.amdhsa_float_denorm_mode_32 3
		.amdhsa_float_denorm_mode_16_64 3
		.amdhsa_dx10_clamp 1
		.amdhsa_ieee_mode 1
		.amdhsa_fp16_overflow 0
		.amdhsa_tg_split 0
		.amdhsa_exception_fp_ieee_invalid_op 0
		.amdhsa_exception_fp_denorm_src 0
		.amdhsa_exception_fp_ieee_div_zero 0
		.amdhsa_exception_fp_ieee_overflow 0
		.amdhsa_exception_fp_ieee_underflow 0
		.amdhsa_exception_fp_ieee_inexact 0
		.amdhsa_exception_int_div_zero 0
	.end_amdhsa_kernel
	.section	.text._ZN7rocprim17ROCPRIM_400000_NS6detail17trampoline_kernelINS0_14default_configENS1_20scan_config_selectorItEEZZNS1_9scan_implILNS1_25lookback_scan_determinismE0ELb1ELb1ES3_N6thrust23THRUST_200600_302600_NS6detail15normal_iteratorINS9_10device_ptrItEEEENS9_16discard_iteratorINS9_11use_defaultEEEtNS9_4plusIvEEtEEDaPvRmT3_T4_T5_mT6_P12ihipStream_tbENKUlT_T0_E_clISt17integral_constantIbLb1EESX_EEDaSS_ST_EUlSS_E0_NS1_11comp_targetILNS1_3genE4ELNS1_11target_archE910ELNS1_3gpuE8ELNS1_3repE0EEENS1_30default_config_static_selectorELNS0_4arch9wavefront6targetE1EEEvT1_,"axG",@progbits,_ZN7rocprim17ROCPRIM_400000_NS6detail17trampoline_kernelINS0_14default_configENS1_20scan_config_selectorItEEZZNS1_9scan_implILNS1_25lookback_scan_determinismE0ELb1ELb1ES3_N6thrust23THRUST_200600_302600_NS6detail15normal_iteratorINS9_10device_ptrItEEEENS9_16discard_iteratorINS9_11use_defaultEEEtNS9_4plusIvEEtEEDaPvRmT3_T4_T5_mT6_P12ihipStream_tbENKUlT_T0_E_clISt17integral_constantIbLb1EESX_EEDaSS_ST_EUlSS_E0_NS1_11comp_targetILNS1_3genE4ELNS1_11target_archE910ELNS1_3gpuE8ELNS1_3repE0EEENS1_30default_config_static_selectorELNS0_4arch9wavefront6targetE1EEEvT1_,comdat
.Lfunc_end5539:
	.size	_ZN7rocprim17ROCPRIM_400000_NS6detail17trampoline_kernelINS0_14default_configENS1_20scan_config_selectorItEEZZNS1_9scan_implILNS1_25lookback_scan_determinismE0ELb1ELb1ES3_N6thrust23THRUST_200600_302600_NS6detail15normal_iteratorINS9_10device_ptrItEEEENS9_16discard_iteratorINS9_11use_defaultEEEtNS9_4plusIvEEtEEDaPvRmT3_T4_T5_mT6_P12ihipStream_tbENKUlT_T0_E_clISt17integral_constantIbLb1EESX_EEDaSS_ST_EUlSS_E0_NS1_11comp_targetILNS1_3genE4ELNS1_11target_archE910ELNS1_3gpuE8ELNS1_3repE0EEENS1_30default_config_static_selectorELNS0_4arch9wavefront6targetE1EEEvT1_, .Lfunc_end5539-_ZN7rocprim17ROCPRIM_400000_NS6detail17trampoline_kernelINS0_14default_configENS1_20scan_config_selectorItEEZZNS1_9scan_implILNS1_25lookback_scan_determinismE0ELb1ELb1ES3_N6thrust23THRUST_200600_302600_NS6detail15normal_iteratorINS9_10device_ptrItEEEENS9_16discard_iteratorINS9_11use_defaultEEEtNS9_4plusIvEEtEEDaPvRmT3_T4_T5_mT6_P12ihipStream_tbENKUlT_T0_E_clISt17integral_constantIbLb1EESX_EEDaSS_ST_EUlSS_E0_NS1_11comp_targetILNS1_3genE4ELNS1_11target_archE910ELNS1_3gpuE8ELNS1_3repE0EEENS1_30default_config_static_selectorELNS0_4arch9wavefront6targetE1EEEvT1_
                                        ; -- End function
	.section	.AMDGPU.csdata,"",@progbits
; Kernel info:
; codeLenInByte = 1808
; NumSgprs: 12
; NumVgprs: 28
; NumAgprs: 0
; TotalNumVgprs: 28
; ScratchSize: 0
; MemoryBound: 0
; FloatMode: 240
; IeeeMode: 1
; LDSByteSize: 3072 bytes/workgroup (compile time only)
; SGPRBlocks: 1
; VGPRBlocks: 3
; NumSGPRsForWavesPerEU: 12
; NumVGPRsForWavesPerEU: 28
; AccumOffset: 28
; Occupancy: 6
; WaveLimiterHint : 0
; COMPUTE_PGM_RSRC2:SCRATCH_EN: 0
; COMPUTE_PGM_RSRC2:USER_SGPR: 6
; COMPUTE_PGM_RSRC2:TRAP_HANDLER: 0
; COMPUTE_PGM_RSRC2:TGID_X_EN: 1
; COMPUTE_PGM_RSRC2:TGID_Y_EN: 0
; COMPUTE_PGM_RSRC2:TGID_Z_EN: 0
; COMPUTE_PGM_RSRC2:TIDIG_COMP_CNT: 0
; COMPUTE_PGM_RSRC3_GFX90A:ACCUM_OFFSET: 6
; COMPUTE_PGM_RSRC3_GFX90A:TG_SPLIT: 0
	.section	.text._ZN7rocprim17ROCPRIM_400000_NS6detail17trampoline_kernelINS0_14default_configENS1_20scan_config_selectorItEEZZNS1_9scan_implILNS1_25lookback_scan_determinismE0ELb1ELb1ES3_N6thrust23THRUST_200600_302600_NS6detail15normal_iteratorINS9_10device_ptrItEEEENS9_16discard_iteratorINS9_11use_defaultEEEtNS9_4plusIvEEtEEDaPvRmT3_T4_T5_mT6_P12ihipStream_tbENKUlT_T0_E_clISt17integral_constantIbLb1EESX_EEDaSS_ST_EUlSS_E0_NS1_11comp_targetILNS1_3genE3ELNS1_11target_archE908ELNS1_3gpuE7ELNS1_3repE0EEENS1_30default_config_static_selectorELNS0_4arch9wavefront6targetE1EEEvT1_,"axG",@progbits,_ZN7rocprim17ROCPRIM_400000_NS6detail17trampoline_kernelINS0_14default_configENS1_20scan_config_selectorItEEZZNS1_9scan_implILNS1_25lookback_scan_determinismE0ELb1ELb1ES3_N6thrust23THRUST_200600_302600_NS6detail15normal_iteratorINS9_10device_ptrItEEEENS9_16discard_iteratorINS9_11use_defaultEEEtNS9_4plusIvEEtEEDaPvRmT3_T4_T5_mT6_P12ihipStream_tbENKUlT_T0_E_clISt17integral_constantIbLb1EESX_EEDaSS_ST_EUlSS_E0_NS1_11comp_targetILNS1_3genE3ELNS1_11target_archE908ELNS1_3gpuE7ELNS1_3repE0EEENS1_30default_config_static_selectorELNS0_4arch9wavefront6targetE1EEEvT1_,comdat
	.protected	_ZN7rocprim17ROCPRIM_400000_NS6detail17trampoline_kernelINS0_14default_configENS1_20scan_config_selectorItEEZZNS1_9scan_implILNS1_25lookback_scan_determinismE0ELb1ELb1ES3_N6thrust23THRUST_200600_302600_NS6detail15normal_iteratorINS9_10device_ptrItEEEENS9_16discard_iteratorINS9_11use_defaultEEEtNS9_4plusIvEEtEEDaPvRmT3_T4_T5_mT6_P12ihipStream_tbENKUlT_T0_E_clISt17integral_constantIbLb1EESX_EEDaSS_ST_EUlSS_E0_NS1_11comp_targetILNS1_3genE3ELNS1_11target_archE908ELNS1_3gpuE7ELNS1_3repE0EEENS1_30default_config_static_selectorELNS0_4arch9wavefront6targetE1EEEvT1_ ; -- Begin function _ZN7rocprim17ROCPRIM_400000_NS6detail17trampoline_kernelINS0_14default_configENS1_20scan_config_selectorItEEZZNS1_9scan_implILNS1_25lookback_scan_determinismE0ELb1ELb1ES3_N6thrust23THRUST_200600_302600_NS6detail15normal_iteratorINS9_10device_ptrItEEEENS9_16discard_iteratorINS9_11use_defaultEEEtNS9_4plusIvEEtEEDaPvRmT3_T4_T5_mT6_P12ihipStream_tbENKUlT_T0_E_clISt17integral_constantIbLb1EESX_EEDaSS_ST_EUlSS_E0_NS1_11comp_targetILNS1_3genE3ELNS1_11target_archE908ELNS1_3gpuE7ELNS1_3repE0EEENS1_30default_config_static_selectorELNS0_4arch9wavefront6targetE1EEEvT1_
	.globl	_ZN7rocprim17ROCPRIM_400000_NS6detail17trampoline_kernelINS0_14default_configENS1_20scan_config_selectorItEEZZNS1_9scan_implILNS1_25lookback_scan_determinismE0ELb1ELb1ES3_N6thrust23THRUST_200600_302600_NS6detail15normal_iteratorINS9_10device_ptrItEEEENS9_16discard_iteratorINS9_11use_defaultEEEtNS9_4plusIvEEtEEDaPvRmT3_T4_T5_mT6_P12ihipStream_tbENKUlT_T0_E_clISt17integral_constantIbLb1EESX_EEDaSS_ST_EUlSS_E0_NS1_11comp_targetILNS1_3genE3ELNS1_11target_archE908ELNS1_3gpuE7ELNS1_3repE0EEENS1_30default_config_static_selectorELNS0_4arch9wavefront6targetE1EEEvT1_
	.p2align	8
	.type	_ZN7rocprim17ROCPRIM_400000_NS6detail17trampoline_kernelINS0_14default_configENS1_20scan_config_selectorItEEZZNS1_9scan_implILNS1_25lookback_scan_determinismE0ELb1ELb1ES3_N6thrust23THRUST_200600_302600_NS6detail15normal_iteratorINS9_10device_ptrItEEEENS9_16discard_iteratorINS9_11use_defaultEEEtNS9_4plusIvEEtEEDaPvRmT3_T4_T5_mT6_P12ihipStream_tbENKUlT_T0_E_clISt17integral_constantIbLb1EESX_EEDaSS_ST_EUlSS_E0_NS1_11comp_targetILNS1_3genE3ELNS1_11target_archE908ELNS1_3gpuE7ELNS1_3repE0EEENS1_30default_config_static_selectorELNS0_4arch9wavefront6targetE1EEEvT1_,@function
_ZN7rocprim17ROCPRIM_400000_NS6detail17trampoline_kernelINS0_14default_configENS1_20scan_config_selectorItEEZZNS1_9scan_implILNS1_25lookback_scan_determinismE0ELb1ELb1ES3_N6thrust23THRUST_200600_302600_NS6detail15normal_iteratorINS9_10device_ptrItEEEENS9_16discard_iteratorINS9_11use_defaultEEEtNS9_4plusIvEEtEEDaPvRmT3_T4_T5_mT6_P12ihipStream_tbENKUlT_T0_E_clISt17integral_constantIbLb1EESX_EEDaSS_ST_EUlSS_E0_NS1_11comp_targetILNS1_3genE3ELNS1_11target_archE908ELNS1_3gpuE7ELNS1_3repE0EEENS1_30default_config_static_selectorELNS0_4arch9wavefront6targetE1EEEvT1_: ; @_ZN7rocprim17ROCPRIM_400000_NS6detail17trampoline_kernelINS0_14default_configENS1_20scan_config_selectorItEEZZNS1_9scan_implILNS1_25lookback_scan_determinismE0ELb1ELb1ES3_N6thrust23THRUST_200600_302600_NS6detail15normal_iteratorINS9_10device_ptrItEEEENS9_16discard_iteratorINS9_11use_defaultEEEtNS9_4plusIvEEtEEDaPvRmT3_T4_T5_mT6_P12ihipStream_tbENKUlT_T0_E_clISt17integral_constantIbLb1EESX_EEDaSS_ST_EUlSS_E0_NS1_11comp_targetILNS1_3genE3ELNS1_11target_archE908ELNS1_3gpuE7ELNS1_3repE0EEENS1_30default_config_static_selectorELNS0_4arch9wavefront6targetE1EEEvT1_
; %bb.0:
	.section	.rodata,"a",@progbits
	.p2align	6, 0x0
	.amdhsa_kernel _ZN7rocprim17ROCPRIM_400000_NS6detail17trampoline_kernelINS0_14default_configENS1_20scan_config_selectorItEEZZNS1_9scan_implILNS1_25lookback_scan_determinismE0ELb1ELb1ES3_N6thrust23THRUST_200600_302600_NS6detail15normal_iteratorINS9_10device_ptrItEEEENS9_16discard_iteratorINS9_11use_defaultEEEtNS9_4plusIvEEtEEDaPvRmT3_T4_T5_mT6_P12ihipStream_tbENKUlT_T0_E_clISt17integral_constantIbLb1EESX_EEDaSS_ST_EUlSS_E0_NS1_11comp_targetILNS1_3genE3ELNS1_11target_archE908ELNS1_3gpuE7ELNS1_3repE0EEENS1_30default_config_static_selectorELNS0_4arch9wavefront6targetE1EEEvT1_
		.amdhsa_group_segment_fixed_size 0
		.amdhsa_private_segment_fixed_size 0
		.amdhsa_kernarg_size 40
		.amdhsa_user_sgpr_count 6
		.amdhsa_user_sgpr_private_segment_buffer 1
		.amdhsa_user_sgpr_dispatch_ptr 0
		.amdhsa_user_sgpr_queue_ptr 0
		.amdhsa_user_sgpr_kernarg_segment_ptr 1
		.amdhsa_user_sgpr_dispatch_id 0
		.amdhsa_user_sgpr_flat_scratch_init 0
		.amdhsa_user_sgpr_kernarg_preload_length 0
		.amdhsa_user_sgpr_kernarg_preload_offset 0
		.amdhsa_user_sgpr_private_segment_size 0
		.amdhsa_uses_dynamic_stack 0
		.amdhsa_system_sgpr_private_segment_wavefront_offset 0
		.amdhsa_system_sgpr_workgroup_id_x 1
		.amdhsa_system_sgpr_workgroup_id_y 0
		.amdhsa_system_sgpr_workgroup_id_z 0
		.amdhsa_system_sgpr_workgroup_info 0
		.amdhsa_system_vgpr_workitem_id 0
		.amdhsa_next_free_vgpr 1
		.amdhsa_next_free_sgpr 0
		.amdhsa_accum_offset 4
		.amdhsa_reserve_vcc 0
		.amdhsa_reserve_flat_scratch 0
		.amdhsa_float_round_mode_32 0
		.amdhsa_float_round_mode_16_64 0
		.amdhsa_float_denorm_mode_32 3
		.amdhsa_float_denorm_mode_16_64 3
		.amdhsa_dx10_clamp 1
		.amdhsa_ieee_mode 1
		.amdhsa_fp16_overflow 0
		.amdhsa_tg_split 0
		.amdhsa_exception_fp_ieee_invalid_op 0
		.amdhsa_exception_fp_denorm_src 0
		.amdhsa_exception_fp_ieee_div_zero 0
		.amdhsa_exception_fp_ieee_overflow 0
		.amdhsa_exception_fp_ieee_underflow 0
		.amdhsa_exception_fp_ieee_inexact 0
		.amdhsa_exception_int_div_zero 0
	.end_amdhsa_kernel
	.section	.text._ZN7rocprim17ROCPRIM_400000_NS6detail17trampoline_kernelINS0_14default_configENS1_20scan_config_selectorItEEZZNS1_9scan_implILNS1_25lookback_scan_determinismE0ELb1ELb1ES3_N6thrust23THRUST_200600_302600_NS6detail15normal_iteratorINS9_10device_ptrItEEEENS9_16discard_iteratorINS9_11use_defaultEEEtNS9_4plusIvEEtEEDaPvRmT3_T4_T5_mT6_P12ihipStream_tbENKUlT_T0_E_clISt17integral_constantIbLb1EESX_EEDaSS_ST_EUlSS_E0_NS1_11comp_targetILNS1_3genE3ELNS1_11target_archE908ELNS1_3gpuE7ELNS1_3repE0EEENS1_30default_config_static_selectorELNS0_4arch9wavefront6targetE1EEEvT1_,"axG",@progbits,_ZN7rocprim17ROCPRIM_400000_NS6detail17trampoline_kernelINS0_14default_configENS1_20scan_config_selectorItEEZZNS1_9scan_implILNS1_25lookback_scan_determinismE0ELb1ELb1ES3_N6thrust23THRUST_200600_302600_NS6detail15normal_iteratorINS9_10device_ptrItEEEENS9_16discard_iteratorINS9_11use_defaultEEEtNS9_4plusIvEEtEEDaPvRmT3_T4_T5_mT6_P12ihipStream_tbENKUlT_T0_E_clISt17integral_constantIbLb1EESX_EEDaSS_ST_EUlSS_E0_NS1_11comp_targetILNS1_3genE3ELNS1_11target_archE908ELNS1_3gpuE7ELNS1_3repE0EEENS1_30default_config_static_selectorELNS0_4arch9wavefront6targetE1EEEvT1_,comdat
.Lfunc_end5540:
	.size	_ZN7rocprim17ROCPRIM_400000_NS6detail17trampoline_kernelINS0_14default_configENS1_20scan_config_selectorItEEZZNS1_9scan_implILNS1_25lookback_scan_determinismE0ELb1ELb1ES3_N6thrust23THRUST_200600_302600_NS6detail15normal_iteratorINS9_10device_ptrItEEEENS9_16discard_iteratorINS9_11use_defaultEEEtNS9_4plusIvEEtEEDaPvRmT3_T4_T5_mT6_P12ihipStream_tbENKUlT_T0_E_clISt17integral_constantIbLb1EESX_EEDaSS_ST_EUlSS_E0_NS1_11comp_targetILNS1_3genE3ELNS1_11target_archE908ELNS1_3gpuE7ELNS1_3repE0EEENS1_30default_config_static_selectorELNS0_4arch9wavefront6targetE1EEEvT1_, .Lfunc_end5540-_ZN7rocprim17ROCPRIM_400000_NS6detail17trampoline_kernelINS0_14default_configENS1_20scan_config_selectorItEEZZNS1_9scan_implILNS1_25lookback_scan_determinismE0ELb1ELb1ES3_N6thrust23THRUST_200600_302600_NS6detail15normal_iteratorINS9_10device_ptrItEEEENS9_16discard_iteratorINS9_11use_defaultEEEtNS9_4plusIvEEtEEDaPvRmT3_T4_T5_mT6_P12ihipStream_tbENKUlT_T0_E_clISt17integral_constantIbLb1EESX_EEDaSS_ST_EUlSS_E0_NS1_11comp_targetILNS1_3genE3ELNS1_11target_archE908ELNS1_3gpuE7ELNS1_3repE0EEENS1_30default_config_static_selectorELNS0_4arch9wavefront6targetE1EEEvT1_
                                        ; -- End function
	.section	.AMDGPU.csdata,"",@progbits
; Kernel info:
; codeLenInByte = 0
; NumSgprs: 4
; NumVgprs: 0
; NumAgprs: 0
; TotalNumVgprs: 0
; ScratchSize: 0
; MemoryBound: 0
; FloatMode: 240
; IeeeMode: 1
; LDSByteSize: 0 bytes/workgroup (compile time only)
; SGPRBlocks: 0
; VGPRBlocks: 0
; NumSGPRsForWavesPerEU: 4
; NumVGPRsForWavesPerEU: 1
; AccumOffset: 4
; Occupancy: 8
; WaveLimiterHint : 0
; COMPUTE_PGM_RSRC2:SCRATCH_EN: 0
; COMPUTE_PGM_RSRC2:USER_SGPR: 6
; COMPUTE_PGM_RSRC2:TRAP_HANDLER: 0
; COMPUTE_PGM_RSRC2:TGID_X_EN: 1
; COMPUTE_PGM_RSRC2:TGID_Y_EN: 0
; COMPUTE_PGM_RSRC2:TGID_Z_EN: 0
; COMPUTE_PGM_RSRC2:TIDIG_COMP_CNT: 0
; COMPUTE_PGM_RSRC3_GFX90A:ACCUM_OFFSET: 0
; COMPUTE_PGM_RSRC3_GFX90A:TG_SPLIT: 0
	.section	.text._ZN7rocprim17ROCPRIM_400000_NS6detail17trampoline_kernelINS0_14default_configENS1_20scan_config_selectorItEEZZNS1_9scan_implILNS1_25lookback_scan_determinismE0ELb1ELb1ES3_N6thrust23THRUST_200600_302600_NS6detail15normal_iteratorINS9_10device_ptrItEEEENS9_16discard_iteratorINS9_11use_defaultEEEtNS9_4plusIvEEtEEDaPvRmT3_T4_T5_mT6_P12ihipStream_tbENKUlT_T0_E_clISt17integral_constantIbLb1EESX_EEDaSS_ST_EUlSS_E0_NS1_11comp_targetILNS1_3genE2ELNS1_11target_archE906ELNS1_3gpuE6ELNS1_3repE0EEENS1_30default_config_static_selectorELNS0_4arch9wavefront6targetE1EEEvT1_,"axG",@progbits,_ZN7rocprim17ROCPRIM_400000_NS6detail17trampoline_kernelINS0_14default_configENS1_20scan_config_selectorItEEZZNS1_9scan_implILNS1_25lookback_scan_determinismE0ELb1ELb1ES3_N6thrust23THRUST_200600_302600_NS6detail15normal_iteratorINS9_10device_ptrItEEEENS9_16discard_iteratorINS9_11use_defaultEEEtNS9_4plusIvEEtEEDaPvRmT3_T4_T5_mT6_P12ihipStream_tbENKUlT_T0_E_clISt17integral_constantIbLb1EESX_EEDaSS_ST_EUlSS_E0_NS1_11comp_targetILNS1_3genE2ELNS1_11target_archE906ELNS1_3gpuE6ELNS1_3repE0EEENS1_30default_config_static_selectorELNS0_4arch9wavefront6targetE1EEEvT1_,comdat
	.protected	_ZN7rocprim17ROCPRIM_400000_NS6detail17trampoline_kernelINS0_14default_configENS1_20scan_config_selectorItEEZZNS1_9scan_implILNS1_25lookback_scan_determinismE0ELb1ELb1ES3_N6thrust23THRUST_200600_302600_NS6detail15normal_iteratorINS9_10device_ptrItEEEENS9_16discard_iteratorINS9_11use_defaultEEEtNS9_4plusIvEEtEEDaPvRmT3_T4_T5_mT6_P12ihipStream_tbENKUlT_T0_E_clISt17integral_constantIbLb1EESX_EEDaSS_ST_EUlSS_E0_NS1_11comp_targetILNS1_3genE2ELNS1_11target_archE906ELNS1_3gpuE6ELNS1_3repE0EEENS1_30default_config_static_selectorELNS0_4arch9wavefront6targetE1EEEvT1_ ; -- Begin function _ZN7rocprim17ROCPRIM_400000_NS6detail17trampoline_kernelINS0_14default_configENS1_20scan_config_selectorItEEZZNS1_9scan_implILNS1_25lookback_scan_determinismE0ELb1ELb1ES3_N6thrust23THRUST_200600_302600_NS6detail15normal_iteratorINS9_10device_ptrItEEEENS9_16discard_iteratorINS9_11use_defaultEEEtNS9_4plusIvEEtEEDaPvRmT3_T4_T5_mT6_P12ihipStream_tbENKUlT_T0_E_clISt17integral_constantIbLb1EESX_EEDaSS_ST_EUlSS_E0_NS1_11comp_targetILNS1_3genE2ELNS1_11target_archE906ELNS1_3gpuE6ELNS1_3repE0EEENS1_30default_config_static_selectorELNS0_4arch9wavefront6targetE1EEEvT1_
	.globl	_ZN7rocprim17ROCPRIM_400000_NS6detail17trampoline_kernelINS0_14default_configENS1_20scan_config_selectorItEEZZNS1_9scan_implILNS1_25lookback_scan_determinismE0ELb1ELb1ES3_N6thrust23THRUST_200600_302600_NS6detail15normal_iteratorINS9_10device_ptrItEEEENS9_16discard_iteratorINS9_11use_defaultEEEtNS9_4plusIvEEtEEDaPvRmT3_T4_T5_mT6_P12ihipStream_tbENKUlT_T0_E_clISt17integral_constantIbLb1EESX_EEDaSS_ST_EUlSS_E0_NS1_11comp_targetILNS1_3genE2ELNS1_11target_archE906ELNS1_3gpuE6ELNS1_3repE0EEENS1_30default_config_static_selectorELNS0_4arch9wavefront6targetE1EEEvT1_
	.p2align	8
	.type	_ZN7rocprim17ROCPRIM_400000_NS6detail17trampoline_kernelINS0_14default_configENS1_20scan_config_selectorItEEZZNS1_9scan_implILNS1_25lookback_scan_determinismE0ELb1ELb1ES3_N6thrust23THRUST_200600_302600_NS6detail15normal_iteratorINS9_10device_ptrItEEEENS9_16discard_iteratorINS9_11use_defaultEEEtNS9_4plusIvEEtEEDaPvRmT3_T4_T5_mT6_P12ihipStream_tbENKUlT_T0_E_clISt17integral_constantIbLb1EESX_EEDaSS_ST_EUlSS_E0_NS1_11comp_targetILNS1_3genE2ELNS1_11target_archE906ELNS1_3gpuE6ELNS1_3repE0EEENS1_30default_config_static_selectorELNS0_4arch9wavefront6targetE1EEEvT1_,@function
_ZN7rocprim17ROCPRIM_400000_NS6detail17trampoline_kernelINS0_14default_configENS1_20scan_config_selectorItEEZZNS1_9scan_implILNS1_25lookback_scan_determinismE0ELb1ELb1ES3_N6thrust23THRUST_200600_302600_NS6detail15normal_iteratorINS9_10device_ptrItEEEENS9_16discard_iteratorINS9_11use_defaultEEEtNS9_4plusIvEEtEEDaPvRmT3_T4_T5_mT6_P12ihipStream_tbENKUlT_T0_E_clISt17integral_constantIbLb1EESX_EEDaSS_ST_EUlSS_E0_NS1_11comp_targetILNS1_3genE2ELNS1_11target_archE906ELNS1_3gpuE6ELNS1_3repE0EEENS1_30default_config_static_selectorELNS0_4arch9wavefront6targetE1EEEvT1_: ; @_ZN7rocprim17ROCPRIM_400000_NS6detail17trampoline_kernelINS0_14default_configENS1_20scan_config_selectorItEEZZNS1_9scan_implILNS1_25lookback_scan_determinismE0ELb1ELb1ES3_N6thrust23THRUST_200600_302600_NS6detail15normal_iteratorINS9_10device_ptrItEEEENS9_16discard_iteratorINS9_11use_defaultEEEtNS9_4plusIvEEtEEDaPvRmT3_T4_T5_mT6_P12ihipStream_tbENKUlT_T0_E_clISt17integral_constantIbLb1EESX_EEDaSS_ST_EUlSS_E0_NS1_11comp_targetILNS1_3genE2ELNS1_11target_archE906ELNS1_3gpuE6ELNS1_3repE0EEENS1_30default_config_static_selectorELNS0_4arch9wavefront6targetE1EEEvT1_
; %bb.0:
	.section	.rodata,"a",@progbits
	.p2align	6, 0x0
	.amdhsa_kernel _ZN7rocprim17ROCPRIM_400000_NS6detail17trampoline_kernelINS0_14default_configENS1_20scan_config_selectorItEEZZNS1_9scan_implILNS1_25lookback_scan_determinismE0ELb1ELb1ES3_N6thrust23THRUST_200600_302600_NS6detail15normal_iteratorINS9_10device_ptrItEEEENS9_16discard_iteratorINS9_11use_defaultEEEtNS9_4plusIvEEtEEDaPvRmT3_T4_T5_mT6_P12ihipStream_tbENKUlT_T0_E_clISt17integral_constantIbLb1EESX_EEDaSS_ST_EUlSS_E0_NS1_11comp_targetILNS1_3genE2ELNS1_11target_archE906ELNS1_3gpuE6ELNS1_3repE0EEENS1_30default_config_static_selectorELNS0_4arch9wavefront6targetE1EEEvT1_
		.amdhsa_group_segment_fixed_size 0
		.amdhsa_private_segment_fixed_size 0
		.amdhsa_kernarg_size 40
		.amdhsa_user_sgpr_count 6
		.amdhsa_user_sgpr_private_segment_buffer 1
		.amdhsa_user_sgpr_dispatch_ptr 0
		.amdhsa_user_sgpr_queue_ptr 0
		.amdhsa_user_sgpr_kernarg_segment_ptr 1
		.amdhsa_user_sgpr_dispatch_id 0
		.amdhsa_user_sgpr_flat_scratch_init 0
		.amdhsa_user_sgpr_kernarg_preload_length 0
		.amdhsa_user_sgpr_kernarg_preload_offset 0
		.amdhsa_user_sgpr_private_segment_size 0
		.amdhsa_uses_dynamic_stack 0
		.amdhsa_system_sgpr_private_segment_wavefront_offset 0
		.amdhsa_system_sgpr_workgroup_id_x 1
		.amdhsa_system_sgpr_workgroup_id_y 0
		.amdhsa_system_sgpr_workgroup_id_z 0
		.amdhsa_system_sgpr_workgroup_info 0
		.amdhsa_system_vgpr_workitem_id 0
		.amdhsa_next_free_vgpr 1
		.amdhsa_next_free_sgpr 0
		.amdhsa_accum_offset 4
		.amdhsa_reserve_vcc 0
		.amdhsa_reserve_flat_scratch 0
		.amdhsa_float_round_mode_32 0
		.amdhsa_float_round_mode_16_64 0
		.amdhsa_float_denorm_mode_32 3
		.amdhsa_float_denorm_mode_16_64 3
		.amdhsa_dx10_clamp 1
		.amdhsa_ieee_mode 1
		.amdhsa_fp16_overflow 0
		.amdhsa_tg_split 0
		.amdhsa_exception_fp_ieee_invalid_op 0
		.amdhsa_exception_fp_denorm_src 0
		.amdhsa_exception_fp_ieee_div_zero 0
		.amdhsa_exception_fp_ieee_overflow 0
		.amdhsa_exception_fp_ieee_underflow 0
		.amdhsa_exception_fp_ieee_inexact 0
		.amdhsa_exception_int_div_zero 0
	.end_amdhsa_kernel
	.section	.text._ZN7rocprim17ROCPRIM_400000_NS6detail17trampoline_kernelINS0_14default_configENS1_20scan_config_selectorItEEZZNS1_9scan_implILNS1_25lookback_scan_determinismE0ELb1ELb1ES3_N6thrust23THRUST_200600_302600_NS6detail15normal_iteratorINS9_10device_ptrItEEEENS9_16discard_iteratorINS9_11use_defaultEEEtNS9_4plusIvEEtEEDaPvRmT3_T4_T5_mT6_P12ihipStream_tbENKUlT_T0_E_clISt17integral_constantIbLb1EESX_EEDaSS_ST_EUlSS_E0_NS1_11comp_targetILNS1_3genE2ELNS1_11target_archE906ELNS1_3gpuE6ELNS1_3repE0EEENS1_30default_config_static_selectorELNS0_4arch9wavefront6targetE1EEEvT1_,"axG",@progbits,_ZN7rocprim17ROCPRIM_400000_NS6detail17trampoline_kernelINS0_14default_configENS1_20scan_config_selectorItEEZZNS1_9scan_implILNS1_25lookback_scan_determinismE0ELb1ELb1ES3_N6thrust23THRUST_200600_302600_NS6detail15normal_iteratorINS9_10device_ptrItEEEENS9_16discard_iteratorINS9_11use_defaultEEEtNS9_4plusIvEEtEEDaPvRmT3_T4_T5_mT6_P12ihipStream_tbENKUlT_T0_E_clISt17integral_constantIbLb1EESX_EEDaSS_ST_EUlSS_E0_NS1_11comp_targetILNS1_3genE2ELNS1_11target_archE906ELNS1_3gpuE6ELNS1_3repE0EEENS1_30default_config_static_selectorELNS0_4arch9wavefront6targetE1EEEvT1_,comdat
.Lfunc_end5541:
	.size	_ZN7rocprim17ROCPRIM_400000_NS6detail17trampoline_kernelINS0_14default_configENS1_20scan_config_selectorItEEZZNS1_9scan_implILNS1_25lookback_scan_determinismE0ELb1ELb1ES3_N6thrust23THRUST_200600_302600_NS6detail15normal_iteratorINS9_10device_ptrItEEEENS9_16discard_iteratorINS9_11use_defaultEEEtNS9_4plusIvEEtEEDaPvRmT3_T4_T5_mT6_P12ihipStream_tbENKUlT_T0_E_clISt17integral_constantIbLb1EESX_EEDaSS_ST_EUlSS_E0_NS1_11comp_targetILNS1_3genE2ELNS1_11target_archE906ELNS1_3gpuE6ELNS1_3repE0EEENS1_30default_config_static_selectorELNS0_4arch9wavefront6targetE1EEEvT1_, .Lfunc_end5541-_ZN7rocprim17ROCPRIM_400000_NS6detail17trampoline_kernelINS0_14default_configENS1_20scan_config_selectorItEEZZNS1_9scan_implILNS1_25lookback_scan_determinismE0ELb1ELb1ES3_N6thrust23THRUST_200600_302600_NS6detail15normal_iteratorINS9_10device_ptrItEEEENS9_16discard_iteratorINS9_11use_defaultEEEtNS9_4plusIvEEtEEDaPvRmT3_T4_T5_mT6_P12ihipStream_tbENKUlT_T0_E_clISt17integral_constantIbLb1EESX_EEDaSS_ST_EUlSS_E0_NS1_11comp_targetILNS1_3genE2ELNS1_11target_archE906ELNS1_3gpuE6ELNS1_3repE0EEENS1_30default_config_static_selectorELNS0_4arch9wavefront6targetE1EEEvT1_
                                        ; -- End function
	.section	.AMDGPU.csdata,"",@progbits
; Kernel info:
; codeLenInByte = 0
; NumSgprs: 4
; NumVgprs: 0
; NumAgprs: 0
; TotalNumVgprs: 0
; ScratchSize: 0
; MemoryBound: 0
; FloatMode: 240
; IeeeMode: 1
; LDSByteSize: 0 bytes/workgroup (compile time only)
; SGPRBlocks: 0
; VGPRBlocks: 0
; NumSGPRsForWavesPerEU: 4
; NumVGPRsForWavesPerEU: 1
; AccumOffset: 4
; Occupancy: 8
; WaveLimiterHint : 0
; COMPUTE_PGM_RSRC2:SCRATCH_EN: 0
; COMPUTE_PGM_RSRC2:USER_SGPR: 6
; COMPUTE_PGM_RSRC2:TRAP_HANDLER: 0
; COMPUTE_PGM_RSRC2:TGID_X_EN: 1
; COMPUTE_PGM_RSRC2:TGID_Y_EN: 0
; COMPUTE_PGM_RSRC2:TGID_Z_EN: 0
; COMPUTE_PGM_RSRC2:TIDIG_COMP_CNT: 0
; COMPUTE_PGM_RSRC3_GFX90A:ACCUM_OFFSET: 0
; COMPUTE_PGM_RSRC3_GFX90A:TG_SPLIT: 0
	.section	.text._ZN7rocprim17ROCPRIM_400000_NS6detail17trampoline_kernelINS0_14default_configENS1_20scan_config_selectorItEEZZNS1_9scan_implILNS1_25lookback_scan_determinismE0ELb1ELb1ES3_N6thrust23THRUST_200600_302600_NS6detail15normal_iteratorINS9_10device_ptrItEEEENS9_16discard_iteratorINS9_11use_defaultEEEtNS9_4plusIvEEtEEDaPvRmT3_T4_T5_mT6_P12ihipStream_tbENKUlT_T0_E_clISt17integral_constantIbLb1EESX_EEDaSS_ST_EUlSS_E0_NS1_11comp_targetILNS1_3genE10ELNS1_11target_archE1201ELNS1_3gpuE5ELNS1_3repE0EEENS1_30default_config_static_selectorELNS0_4arch9wavefront6targetE1EEEvT1_,"axG",@progbits,_ZN7rocprim17ROCPRIM_400000_NS6detail17trampoline_kernelINS0_14default_configENS1_20scan_config_selectorItEEZZNS1_9scan_implILNS1_25lookback_scan_determinismE0ELb1ELb1ES3_N6thrust23THRUST_200600_302600_NS6detail15normal_iteratorINS9_10device_ptrItEEEENS9_16discard_iteratorINS9_11use_defaultEEEtNS9_4plusIvEEtEEDaPvRmT3_T4_T5_mT6_P12ihipStream_tbENKUlT_T0_E_clISt17integral_constantIbLb1EESX_EEDaSS_ST_EUlSS_E0_NS1_11comp_targetILNS1_3genE10ELNS1_11target_archE1201ELNS1_3gpuE5ELNS1_3repE0EEENS1_30default_config_static_selectorELNS0_4arch9wavefront6targetE1EEEvT1_,comdat
	.protected	_ZN7rocprim17ROCPRIM_400000_NS6detail17trampoline_kernelINS0_14default_configENS1_20scan_config_selectorItEEZZNS1_9scan_implILNS1_25lookback_scan_determinismE0ELb1ELb1ES3_N6thrust23THRUST_200600_302600_NS6detail15normal_iteratorINS9_10device_ptrItEEEENS9_16discard_iteratorINS9_11use_defaultEEEtNS9_4plusIvEEtEEDaPvRmT3_T4_T5_mT6_P12ihipStream_tbENKUlT_T0_E_clISt17integral_constantIbLb1EESX_EEDaSS_ST_EUlSS_E0_NS1_11comp_targetILNS1_3genE10ELNS1_11target_archE1201ELNS1_3gpuE5ELNS1_3repE0EEENS1_30default_config_static_selectorELNS0_4arch9wavefront6targetE1EEEvT1_ ; -- Begin function _ZN7rocprim17ROCPRIM_400000_NS6detail17trampoline_kernelINS0_14default_configENS1_20scan_config_selectorItEEZZNS1_9scan_implILNS1_25lookback_scan_determinismE0ELb1ELb1ES3_N6thrust23THRUST_200600_302600_NS6detail15normal_iteratorINS9_10device_ptrItEEEENS9_16discard_iteratorINS9_11use_defaultEEEtNS9_4plusIvEEtEEDaPvRmT3_T4_T5_mT6_P12ihipStream_tbENKUlT_T0_E_clISt17integral_constantIbLb1EESX_EEDaSS_ST_EUlSS_E0_NS1_11comp_targetILNS1_3genE10ELNS1_11target_archE1201ELNS1_3gpuE5ELNS1_3repE0EEENS1_30default_config_static_selectorELNS0_4arch9wavefront6targetE1EEEvT1_
	.globl	_ZN7rocprim17ROCPRIM_400000_NS6detail17trampoline_kernelINS0_14default_configENS1_20scan_config_selectorItEEZZNS1_9scan_implILNS1_25lookback_scan_determinismE0ELb1ELb1ES3_N6thrust23THRUST_200600_302600_NS6detail15normal_iteratorINS9_10device_ptrItEEEENS9_16discard_iteratorINS9_11use_defaultEEEtNS9_4plusIvEEtEEDaPvRmT3_T4_T5_mT6_P12ihipStream_tbENKUlT_T0_E_clISt17integral_constantIbLb1EESX_EEDaSS_ST_EUlSS_E0_NS1_11comp_targetILNS1_3genE10ELNS1_11target_archE1201ELNS1_3gpuE5ELNS1_3repE0EEENS1_30default_config_static_selectorELNS0_4arch9wavefront6targetE1EEEvT1_
	.p2align	8
	.type	_ZN7rocprim17ROCPRIM_400000_NS6detail17trampoline_kernelINS0_14default_configENS1_20scan_config_selectorItEEZZNS1_9scan_implILNS1_25lookback_scan_determinismE0ELb1ELb1ES3_N6thrust23THRUST_200600_302600_NS6detail15normal_iteratorINS9_10device_ptrItEEEENS9_16discard_iteratorINS9_11use_defaultEEEtNS9_4plusIvEEtEEDaPvRmT3_T4_T5_mT6_P12ihipStream_tbENKUlT_T0_E_clISt17integral_constantIbLb1EESX_EEDaSS_ST_EUlSS_E0_NS1_11comp_targetILNS1_3genE10ELNS1_11target_archE1201ELNS1_3gpuE5ELNS1_3repE0EEENS1_30default_config_static_selectorELNS0_4arch9wavefront6targetE1EEEvT1_,@function
_ZN7rocprim17ROCPRIM_400000_NS6detail17trampoline_kernelINS0_14default_configENS1_20scan_config_selectorItEEZZNS1_9scan_implILNS1_25lookback_scan_determinismE0ELb1ELb1ES3_N6thrust23THRUST_200600_302600_NS6detail15normal_iteratorINS9_10device_ptrItEEEENS9_16discard_iteratorINS9_11use_defaultEEEtNS9_4plusIvEEtEEDaPvRmT3_T4_T5_mT6_P12ihipStream_tbENKUlT_T0_E_clISt17integral_constantIbLb1EESX_EEDaSS_ST_EUlSS_E0_NS1_11comp_targetILNS1_3genE10ELNS1_11target_archE1201ELNS1_3gpuE5ELNS1_3repE0EEENS1_30default_config_static_selectorELNS0_4arch9wavefront6targetE1EEEvT1_: ; @_ZN7rocprim17ROCPRIM_400000_NS6detail17trampoline_kernelINS0_14default_configENS1_20scan_config_selectorItEEZZNS1_9scan_implILNS1_25lookback_scan_determinismE0ELb1ELb1ES3_N6thrust23THRUST_200600_302600_NS6detail15normal_iteratorINS9_10device_ptrItEEEENS9_16discard_iteratorINS9_11use_defaultEEEtNS9_4plusIvEEtEEDaPvRmT3_T4_T5_mT6_P12ihipStream_tbENKUlT_T0_E_clISt17integral_constantIbLb1EESX_EEDaSS_ST_EUlSS_E0_NS1_11comp_targetILNS1_3genE10ELNS1_11target_archE1201ELNS1_3gpuE5ELNS1_3repE0EEENS1_30default_config_static_selectorELNS0_4arch9wavefront6targetE1EEEvT1_
; %bb.0:
	.section	.rodata,"a",@progbits
	.p2align	6, 0x0
	.amdhsa_kernel _ZN7rocprim17ROCPRIM_400000_NS6detail17trampoline_kernelINS0_14default_configENS1_20scan_config_selectorItEEZZNS1_9scan_implILNS1_25lookback_scan_determinismE0ELb1ELb1ES3_N6thrust23THRUST_200600_302600_NS6detail15normal_iteratorINS9_10device_ptrItEEEENS9_16discard_iteratorINS9_11use_defaultEEEtNS9_4plusIvEEtEEDaPvRmT3_T4_T5_mT6_P12ihipStream_tbENKUlT_T0_E_clISt17integral_constantIbLb1EESX_EEDaSS_ST_EUlSS_E0_NS1_11comp_targetILNS1_3genE10ELNS1_11target_archE1201ELNS1_3gpuE5ELNS1_3repE0EEENS1_30default_config_static_selectorELNS0_4arch9wavefront6targetE1EEEvT1_
		.amdhsa_group_segment_fixed_size 0
		.amdhsa_private_segment_fixed_size 0
		.amdhsa_kernarg_size 40
		.amdhsa_user_sgpr_count 6
		.amdhsa_user_sgpr_private_segment_buffer 1
		.amdhsa_user_sgpr_dispatch_ptr 0
		.amdhsa_user_sgpr_queue_ptr 0
		.amdhsa_user_sgpr_kernarg_segment_ptr 1
		.amdhsa_user_sgpr_dispatch_id 0
		.amdhsa_user_sgpr_flat_scratch_init 0
		.amdhsa_user_sgpr_kernarg_preload_length 0
		.amdhsa_user_sgpr_kernarg_preload_offset 0
		.amdhsa_user_sgpr_private_segment_size 0
		.amdhsa_uses_dynamic_stack 0
		.amdhsa_system_sgpr_private_segment_wavefront_offset 0
		.amdhsa_system_sgpr_workgroup_id_x 1
		.amdhsa_system_sgpr_workgroup_id_y 0
		.amdhsa_system_sgpr_workgroup_id_z 0
		.amdhsa_system_sgpr_workgroup_info 0
		.amdhsa_system_vgpr_workitem_id 0
		.amdhsa_next_free_vgpr 1
		.amdhsa_next_free_sgpr 0
		.amdhsa_accum_offset 4
		.amdhsa_reserve_vcc 0
		.amdhsa_reserve_flat_scratch 0
		.amdhsa_float_round_mode_32 0
		.amdhsa_float_round_mode_16_64 0
		.amdhsa_float_denorm_mode_32 3
		.amdhsa_float_denorm_mode_16_64 3
		.amdhsa_dx10_clamp 1
		.amdhsa_ieee_mode 1
		.amdhsa_fp16_overflow 0
		.amdhsa_tg_split 0
		.amdhsa_exception_fp_ieee_invalid_op 0
		.amdhsa_exception_fp_denorm_src 0
		.amdhsa_exception_fp_ieee_div_zero 0
		.amdhsa_exception_fp_ieee_overflow 0
		.amdhsa_exception_fp_ieee_underflow 0
		.amdhsa_exception_fp_ieee_inexact 0
		.amdhsa_exception_int_div_zero 0
	.end_amdhsa_kernel
	.section	.text._ZN7rocprim17ROCPRIM_400000_NS6detail17trampoline_kernelINS0_14default_configENS1_20scan_config_selectorItEEZZNS1_9scan_implILNS1_25lookback_scan_determinismE0ELb1ELb1ES3_N6thrust23THRUST_200600_302600_NS6detail15normal_iteratorINS9_10device_ptrItEEEENS9_16discard_iteratorINS9_11use_defaultEEEtNS9_4plusIvEEtEEDaPvRmT3_T4_T5_mT6_P12ihipStream_tbENKUlT_T0_E_clISt17integral_constantIbLb1EESX_EEDaSS_ST_EUlSS_E0_NS1_11comp_targetILNS1_3genE10ELNS1_11target_archE1201ELNS1_3gpuE5ELNS1_3repE0EEENS1_30default_config_static_selectorELNS0_4arch9wavefront6targetE1EEEvT1_,"axG",@progbits,_ZN7rocprim17ROCPRIM_400000_NS6detail17trampoline_kernelINS0_14default_configENS1_20scan_config_selectorItEEZZNS1_9scan_implILNS1_25lookback_scan_determinismE0ELb1ELb1ES3_N6thrust23THRUST_200600_302600_NS6detail15normal_iteratorINS9_10device_ptrItEEEENS9_16discard_iteratorINS9_11use_defaultEEEtNS9_4plusIvEEtEEDaPvRmT3_T4_T5_mT6_P12ihipStream_tbENKUlT_T0_E_clISt17integral_constantIbLb1EESX_EEDaSS_ST_EUlSS_E0_NS1_11comp_targetILNS1_3genE10ELNS1_11target_archE1201ELNS1_3gpuE5ELNS1_3repE0EEENS1_30default_config_static_selectorELNS0_4arch9wavefront6targetE1EEEvT1_,comdat
.Lfunc_end5542:
	.size	_ZN7rocprim17ROCPRIM_400000_NS6detail17trampoline_kernelINS0_14default_configENS1_20scan_config_selectorItEEZZNS1_9scan_implILNS1_25lookback_scan_determinismE0ELb1ELb1ES3_N6thrust23THRUST_200600_302600_NS6detail15normal_iteratorINS9_10device_ptrItEEEENS9_16discard_iteratorINS9_11use_defaultEEEtNS9_4plusIvEEtEEDaPvRmT3_T4_T5_mT6_P12ihipStream_tbENKUlT_T0_E_clISt17integral_constantIbLb1EESX_EEDaSS_ST_EUlSS_E0_NS1_11comp_targetILNS1_3genE10ELNS1_11target_archE1201ELNS1_3gpuE5ELNS1_3repE0EEENS1_30default_config_static_selectorELNS0_4arch9wavefront6targetE1EEEvT1_, .Lfunc_end5542-_ZN7rocprim17ROCPRIM_400000_NS6detail17trampoline_kernelINS0_14default_configENS1_20scan_config_selectorItEEZZNS1_9scan_implILNS1_25lookback_scan_determinismE0ELb1ELb1ES3_N6thrust23THRUST_200600_302600_NS6detail15normal_iteratorINS9_10device_ptrItEEEENS9_16discard_iteratorINS9_11use_defaultEEEtNS9_4plusIvEEtEEDaPvRmT3_T4_T5_mT6_P12ihipStream_tbENKUlT_T0_E_clISt17integral_constantIbLb1EESX_EEDaSS_ST_EUlSS_E0_NS1_11comp_targetILNS1_3genE10ELNS1_11target_archE1201ELNS1_3gpuE5ELNS1_3repE0EEENS1_30default_config_static_selectorELNS0_4arch9wavefront6targetE1EEEvT1_
                                        ; -- End function
	.section	.AMDGPU.csdata,"",@progbits
; Kernel info:
; codeLenInByte = 0
; NumSgprs: 4
; NumVgprs: 0
; NumAgprs: 0
; TotalNumVgprs: 0
; ScratchSize: 0
; MemoryBound: 0
; FloatMode: 240
; IeeeMode: 1
; LDSByteSize: 0 bytes/workgroup (compile time only)
; SGPRBlocks: 0
; VGPRBlocks: 0
; NumSGPRsForWavesPerEU: 4
; NumVGPRsForWavesPerEU: 1
; AccumOffset: 4
; Occupancy: 8
; WaveLimiterHint : 0
; COMPUTE_PGM_RSRC2:SCRATCH_EN: 0
; COMPUTE_PGM_RSRC2:USER_SGPR: 6
; COMPUTE_PGM_RSRC2:TRAP_HANDLER: 0
; COMPUTE_PGM_RSRC2:TGID_X_EN: 1
; COMPUTE_PGM_RSRC2:TGID_Y_EN: 0
; COMPUTE_PGM_RSRC2:TGID_Z_EN: 0
; COMPUTE_PGM_RSRC2:TIDIG_COMP_CNT: 0
; COMPUTE_PGM_RSRC3_GFX90A:ACCUM_OFFSET: 0
; COMPUTE_PGM_RSRC3_GFX90A:TG_SPLIT: 0
	.section	.text._ZN7rocprim17ROCPRIM_400000_NS6detail17trampoline_kernelINS0_14default_configENS1_20scan_config_selectorItEEZZNS1_9scan_implILNS1_25lookback_scan_determinismE0ELb1ELb1ES3_N6thrust23THRUST_200600_302600_NS6detail15normal_iteratorINS9_10device_ptrItEEEENS9_16discard_iteratorINS9_11use_defaultEEEtNS9_4plusIvEEtEEDaPvRmT3_T4_T5_mT6_P12ihipStream_tbENKUlT_T0_E_clISt17integral_constantIbLb1EESX_EEDaSS_ST_EUlSS_E0_NS1_11comp_targetILNS1_3genE10ELNS1_11target_archE1200ELNS1_3gpuE4ELNS1_3repE0EEENS1_30default_config_static_selectorELNS0_4arch9wavefront6targetE1EEEvT1_,"axG",@progbits,_ZN7rocprim17ROCPRIM_400000_NS6detail17trampoline_kernelINS0_14default_configENS1_20scan_config_selectorItEEZZNS1_9scan_implILNS1_25lookback_scan_determinismE0ELb1ELb1ES3_N6thrust23THRUST_200600_302600_NS6detail15normal_iteratorINS9_10device_ptrItEEEENS9_16discard_iteratorINS9_11use_defaultEEEtNS9_4plusIvEEtEEDaPvRmT3_T4_T5_mT6_P12ihipStream_tbENKUlT_T0_E_clISt17integral_constantIbLb1EESX_EEDaSS_ST_EUlSS_E0_NS1_11comp_targetILNS1_3genE10ELNS1_11target_archE1200ELNS1_3gpuE4ELNS1_3repE0EEENS1_30default_config_static_selectorELNS0_4arch9wavefront6targetE1EEEvT1_,comdat
	.protected	_ZN7rocprim17ROCPRIM_400000_NS6detail17trampoline_kernelINS0_14default_configENS1_20scan_config_selectorItEEZZNS1_9scan_implILNS1_25lookback_scan_determinismE0ELb1ELb1ES3_N6thrust23THRUST_200600_302600_NS6detail15normal_iteratorINS9_10device_ptrItEEEENS9_16discard_iteratorINS9_11use_defaultEEEtNS9_4plusIvEEtEEDaPvRmT3_T4_T5_mT6_P12ihipStream_tbENKUlT_T0_E_clISt17integral_constantIbLb1EESX_EEDaSS_ST_EUlSS_E0_NS1_11comp_targetILNS1_3genE10ELNS1_11target_archE1200ELNS1_3gpuE4ELNS1_3repE0EEENS1_30default_config_static_selectorELNS0_4arch9wavefront6targetE1EEEvT1_ ; -- Begin function _ZN7rocprim17ROCPRIM_400000_NS6detail17trampoline_kernelINS0_14default_configENS1_20scan_config_selectorItEEZZNS1_9scan_implILNS1_25lookback_scan_determinismE0ELb1ELb1ES3_N6thrust23THRUST_200600_302600_NS6detail15normal_iteratorINS9_10device_ptrItEEEENS9_16discard_iteratorINS9_11use_defaultEEEtNS9_4plusIvEEtEEDaPvRmT3_T4_T5_mT6_P12ihipStream_tbENKUlT_T0_E_clISt17integral_constantIbLb1EESX_EEDaSS_ST_EUlSS_E0_NS1_11comp_targetILNS1_3genE10ELNS1_11target_archE1200ELNS1_3gpuE4ELNS1_3repE0EEENS1_30default_config_static_selectorELNS0_4arch9wavefront6targetE1EEEvT1_
	.globl	_ZN7rocprim17ROCPRIM_400000_NS6detail17trampoline_kernelINS0_14default_configENS1_20scan_config_selectorItEEZZNS1_9scan_implILNS1_25lookback_scan_determinismE0ELb1ELb1ES3_N6thrust23THRUST_200600_302600_NS6detail15normal_iteratorINS9_10device_ptrItEEEENS9_16discard_iteratorINS9_11use_defaultEEEtNS9_4plusIvEEtEEDaPvRmT3_T4_T5_mT6_P12ihipStream_tbENKUlT_T0_E_clISt17integral_constantIbLb1EESX_EEDaSS_ST_EUlSS_E0_NS1_11comp_targetILNS1_3genE10ELNS1_11target_archE1200ELNS1_3gpuE4ELNS1_3repE0EEENS1_30default_config_static_selectorELNS0_4arch9wavefront6targetE1EEEvT1_
	.p2align	8
	.type	_ZN7rocprim17ROCPRIM_400000_NS6detail17trampoline_kernelINS0_14default_configENS1_20scan_config_selectorItEEZZNS1_9scan_implILNS1_25lookback_scan_determinismE0ELb1ELb1ES3_N6thrust23THRUST_200600_302600_NS6detail15normal_iteratorINS9_10device_ptrItEEEENS9_16discard_iteratorINS9_11use_defaultEEEtNS9_4plusIvEEtEEDaPvRmT3_T4_T5_mT6_P12ihipStream_tbENKUlT_T0_E_clISt17integral_constantIbLb1EESX_EEDaSS_ST_EUlSS_E0_NS1_11comp_targetILNS1_3genE10ELNS1_11target_archE1200ELNS1_3gpuE4ELNS1_3repE0EEENS1_30default_config_static_selectorELNS0_4arch9wavefront6targetE1EEEvT1_,@function
_ZN7rocprim17ROCPRIM_400000_NS6detail17trampoline_kernelINS0_14default_configENS1_20scan_config_selectorItEEZZNS1_9scan_implILNS1_25lookback_scan_determinismE0ELb1ELb1ES3_N6thrust23THRUST_200600_302600_NS6detail15normal_iteratorINS9_10device_ptrItEEEENS9_16discard_iteratorINS9_11use_defaultEEEtNS9_4plusIvEEtEEDaPvRmT3_T4_T5_mT6_P12ihipStream_tbENKUlT_T0_E_clISt17integral_constantIbLb1EESX_EEDaSS_ST_EUlSS_E0_NS1_11comp_targetILNS1_3genE10ELNS1_11target_archE1200ELNS1_3gpuE4ELNS1_3repE0EEENS1_30default_config_static_selectorELNS0_4arch9wavefront6targetE1EEEvT1_: ; @_ZN7rocprim17ROCPRIM_400000_NS6detail17trampoline_kernelINS0_14default_configENS1_20scan_config_selectorItEEZZNS1_9scan_implILNS1_25lookback_scan_determinismE0ELb1ELb1ES3_N6thrust23THRUST_200600_302600_NS6detail15normal_iteratorINS9_10device_ptrItEEEENS9_16discard_iteratorINS9_11use_defaultEEEtNS9_4plusIvEEtEEDaPvRmT3_T4_T5_mT6_P12ihipStream_tbENKUlT_T0_E_clISt17integral_constantIbLb1EESX_EEDaSS_ST_EUlSS_E0_NS1_11comp_targetILNS1_3genE10ELNS1_11target_archE1200ELNS1_3gpuE4ELNS1_3repE0EEENS1_30default_config_static_selectorELNS0_4arch9wavefront6targetE1EEEvT1_
; %bb.0:
	.section	.rodata,"a",@progbits
	.p2align	6, 0x0
	.amdhsa_kernel _ZN7rocprim17ROCPRIM_400000_NS6detail17trampoline_kernelINS0_14default_configENS1_20scan_config_selectorItEEZZNS1_9scan_implILNS1_25lookback_scan_determinismE0ELb1ELb1ES3_N6thrust23THRUST_200600_302600_NS6detail15normal_iteratorINS9_10device_ptrItEEEENS9_16discard_iteratorINS9_11use_defaultEEEtNS9_4plusIvEEtEEDaPvRmT3_T4_T5_mT6_P12ihipStream_tbENKUlT_T0_E_clISt17integral_constantIbLb1EESX_EEDaSS_ST_EUlSS_E0_NS1_11comp_targetILNS1_3genE10ELNS1_11target_archE1200ELNS1_3gpuE4ELNS1_3repE0EEENS1_30default_config_static_selectorELNS0_4arch9wavefront6targetE1EEEvT1_
		.amdhsa_group_segment_fixed_size 0
		.amdhsa_private_segment_fixed_size 0
		.amdhsa_kernarg_size 40
		.amdhsa_user_sgpr_count 6
		.amdhsa_user_sgpr_private_segment_buffer 1
		.amdhsa_user_sgpr_dispatch_ptr 0
		.amdhsa_user_sgpr_queue_ptr 0
		.amdhsa_user_sgpr_kernarg_segment_ptr 1
		.amdhsa_user_sgpr_dispatch_id 0
		.amdhsa_user_sgpr_flat_scratch_init 0
		.amdhsa_user_sgpr_kernarg_preload_length 0
		.amdhsa_user_sgpr_kernarg_preload_offset 0
		.amdhsa_user_sgpr_private_segment_size 0
		.amdhsa_uses_dynamic_stack 0
		.amdhsa_system_sgpr_private_segment_wavefront_offset 0
		.amdhsa_system_sgpr_workgroup_id_x 1
		.amdhsa_system_sgpr_workgroup_id_y 0
		.amdhsa_system_sgpr_workgroup_id_z 0
		.amdhsa_system_sgpr_workgroup_info 0
		.amdhsa_system_vgpr_workitem_id 0
		.amdhsa_next_free_vgpr 1
		.amdhsa_next_free_sgpr 0
		.amdhsa_accum_offset 4
		.amdhsa_reserve_vcc 0
		.amdhsa_reserve_flat_scratch 0
		.amdhsa_float_round_mode_32 0
		.amdhsa_float_round_mode_16_64 0
		.amdhsa_float_denorm_mode_32 3
		.amdhsa_float_denorm_mode_16_64 3
		.amdhsa_dx10_clamp 1
		.amdhsa_ieee_mode 1
		.amdhsa_fp16_overflow 0
		.amdhsa_tg_split 0
		.amdhsa_exception_fp_ieee_invalid_op 0
		.amdhsa_exception_fp_denorm_src 0
		.amdhsa_exception_fp_ieee_div_zero 0
		.amdhsa_exception_fp_ieee_overflow 0
		.amdhsa_exception_fp_ieee_underflow 0
		.amdhsa_exception_fp_ieee_inexact 0
		.amdhsa_exception_int_div_zero 0
	.end_amdhsa_kernel
	.section	.text._ZN7rocprim17ROCPRIM_400000_NS6detail17trampoline_kernelINS0_14default_configENS1_20scan_config_selectorItEEZZNS1_9scan_implILNS1_25lookback_scan_determinismE0ELb1ELb1ES3_N6thrust23THRUST_200600_302600_NS6detail15normal_iteratorINS9_10device_ptrItEEEENS9_16discard_iteratorINS9_11use_defaultEEEtNS9_4plusIvEEtEEDaPvRmT3_T4_T5_mT6_P12ihipStream_tbENKUlT_T0_E_clISt17integral_constantIbLb1EESX_EEDaSS_ST_EUlSS_E0_NS1_11comp_targetILNS1_3genE10ELNS1_11target_archE1200ELNS1_3gpuE4ELNS1_3repE0EEENS1_30default_config_static_selectorELNS0_4arch9wavefront6targetE1EEEvT1_,"axG",@progbits,_ZN7rocprim17ROCPRIM_400000_NS6detail17trampoline_kernelINS0_14default_configENS1_20scan_config_selectorItEEZZNS1_9scan_implILNS1_25lookback_scan_determinismE0ELb1ELb1ES3_N6thrust23THRUST_200600_302600_NS6detail15normal_iteratorINS9_10device_ptrItEEEENS9_16discard_iteratorINS9_11use_defaultEEEtNS9_4plusIvEEtEEDaPvRmT3_T4_T5_mT6_P12ihipStream_tbENKUlT_T0_E_clISt17integral_constantIbLb1EESX_EEDaSS_ST_EUlSS_E0_NS1_11comp_targetILNS1_3genE10ELNS1_11target_archE1200ELNS1_3gpuE4ELNS1_3repE0EEENS1_30default_config_static_selectorELNS0_4arch9wavefront6targetE1EEEvT1_,comdat
.Lfunc_end5543:
	.size	_ZN7rocprim17ROCPRIM_400000_NS6detail17trampoline_kernelINS0_14default_configENS1_20scan_config_selectorItEEZZNS1_9scan_implILNS1_25lookback_scan_determinismE0ELb1ELb1ES3_N6thrust23THRUST_200600_302600_NS6detail15normal_iteratorINS9_10device_ptrItEEEENS9_16discard_iteratorINS9_11use_defaultEEEtNS9_4plusIvEEtEEDaPvRmT3_T4_T5_mT6_P12ihipStream_tbENKUlT_T0_E_clISt17integral_constantIbLb1EESX_EEDaSS_ST_EUlSS_E0_NS1_11comp_targetILNS1_3genE10ELNS1_11target_archE1200ELNS1_3gpuE4ELNS1_3repE0EEENS1_30default_config_static_selectorELNS0_4arch9wavefront6targetE1EEEvT1_, .Lfunc_end5543-_ZN7rocprim17ROCPRIM_400000_NS6detail17trampoline_kernelINS0_14default_configENS1_20scan_config_selectorItEEZZNS1_9scan_implILNS1_25lookback_scan_determinismE0ELb1ELb1ES3_N6thrust23THRUST_200600_302600_NS6detail15normal_iteratorINS9_10device_ptrItEEEENS9_16discard_iteratorINS9_11use_defaultEEEtNS9_4plusIvEEtEEDaPvRmT3_T4_T5_mT6_P12ihipStream_tbENKUlT_T0_E_clISt17integral_constantIbLb1EESX_EEDaSS_ST_EUlSS_E0_NS1_11comp_targetILNS1_3genE10ELNS1_11target_archE1200ELNS1_3gpuE4ELNS1_3repE0EEENS1_30default_config_static_selectorELNS0_4arch9wavefront6targetE1EEEvT1_
                                        ; -- End function
	.section	.AMDGPU.csdata,"",@progbits
; Kernel info:
; codeLenInByte = 0
; NumSgprs: 4
; NumVgprs: 0
; NumAgprs: 0
; TotalNumVgprs: 0
; ScratchSize: 0
; MemoryBound: 0
; FloatMode: 240
; IeeeMode: 1
; LDSByteSize: 0 bytes/workgroup (compile time only)
; SGPRBlocks: 0
; VGPRBlocks: 0
; NumSGPRsForWavesPerEU: 4
; NumVGPRsForWavesPerEU: 1
; AccumOffset: 4
; Occupancy: 8
; WaveLimiterHint : 0
; COMPUTE_PGM_RSRC2:SCRATCH_EN: 0
; COMPUTE_PGM_RSRC2:USER_SGPR: 6
; COMPUTE_PGM_RSRC2:TRAP_HANDLER: 0
; COMPUTE_PGM_RSRC2:TGID_X_EN: 1
; COMPUTE_PGM_RSRC2:TGID_Y_EN: 0
; COMPUTE_PGM_RSRC2:TGID_Z_EN: 0
; COMPUTE_PGM_RSRC2:TIDIG_COMP_CNT: 0
; COMPUTE_PGM_RSRC3_GFX90A:ACCUM_OFFSET: 0
; COMPUTE_PGM_RSRC3_GFX90A:TG_SPLIT: 0
	.section	.text._ZN7rocprim17ROCPRIM_400000_NS6detail17trampoline_kernelINS0_14default_configENS1_20scan_config_selectorItEEZZNS1_9scan_implILNS1_25lookback_scan_determinismE0ELb1ELb1ES3_N6thrust23THRUST_200600_302600_NS6detail15normal_iteratorINS9_10device_ptrItEEEENS9_16discard_iteratorINS9_11use_defaultEEEtNS9_4plusIvEEtEEDaPvRmT3_T4_T5_mT6_P12ihipStream_tbENKUlT_T0_E_clISt17integral_constantIbLb1EESX_EEDaSS_ST_EUlSS_E0_NS1_11comp_targetILNS1_3genE9ELNS1_11target_archE1100ELNS1_3gpuE3ELNS1_3repE0EEENS1_30default_config_static_selectorELNS0_4arch9wavefront6targetE1EEEvT1_,"axG",@progbits,_ZN7rocprim17ROCPRIM_400000_NS6detail17trampoline_kernelINS0_14default_configENS1_20scan_config_selectorItEEZZNS1_9scan_implILNS1_25lookback_scan_determinismE0ELb1ELb1ES3_N6thrust23THRUST_200600_302600_NS6detail15normal_iteratorINS9_10device_ptrItEEEENS9_16discard_iteratorINS9_11use_defaultEEEtNS9_4plusIvEEtEEDaPvRmT3_T4_T5_mT6_P12ihipStream_tbENKUlT_T0_E_clISt17integral_constantIbLb1EESX_EEDaSS_ST_EUlSS_E0_NS1_11comp_targetILNS1_3genE9ELNS1_11target_archE1100ELNS1_3gpuE3ELNS1_3repE0EEENS1_30default_config_static_selectorELNS0_4arch9wavefront6targetE1EEEvT1_,comdat
	.protected	_ZN7rocprim17ROCPRIM_400000_NS6detail17trampoline_kernelINS0_14default_configENS1_20scan_config_selectorItEEZZNS1_9scan_implILNS1_25lookback_scan_determinismE0ELb1ELb1ES3_N6thrust23THRUST_200600_302600_NS6detail15normal_iteratorINS9_10device_ptrItEEEENS9_16discard_iteratorINS9_11use_defaultEEEtNS9_4plusIvEEtEEDaPvRmT3_T4_T5_mT6_P12ihipStream_tbENKUlT_T0_E_clISt17integral_constantIbLb1EESX_EEDaSS_ST_EUlSS_E0_NS1_11comp_targetILNS1_3genE9ELNS1_11target_archE1100ELNS1_3gpuE3ELNS1_3repE0EEENS1_30default_config_static_selectorELNS0_4arch9wavefront6targetE1EEEvT1_ ; -- Begin function _ZN7rocprim17ROCPRIM_400000_NS6detail17trampoline_kernelINS0_14default_configENS1_20scan_config_selectorItEEZZNS1_9scan_implILNS1_25lookback_scan_determinismE0ELb1ELb1ES3_N6thrust23THRUST_200600_302600_NS6detail15normal_iteratorINS9_10device_ptrItEEEENS9_16discard_iteratorINS9_11use_defaultEEEtNS9_4plusIvEEtEEDaPvRmT3_T4_T5_mT6_P12ihipStream_tbENKUlT_T0_E_clISt17integral_constantIbLb1EESX_EEDaSS_ST_EUlSS_E0_NS1_11comp_targetILNS1_3genE9ELNS1_11target_archE1100ELNS1_3gpuE3ELNS1_3repE0EEENS1_30default_config_static_selectorELNS0_4arch9wavefront6targetE1EEEvT1_
	.globl	_ZN7rocprim17ROCPRIM_400000_NS6detail17trampoline_kernelINS0_14default_configENS1_20scan_config_selectorItEEZZNS1_9scan_implILNS1_25lookback_scan_determinismE0ELb1ELb1ES3_N6thrust23THRUST_200600_302600_NS6detail15normal_iteratorINS9_10device_ptrItEEEENS9_16discard_iteratorINS9_11use_defaultEEEtNS9_4plusIvEEtEEDaPvRmT3_T4_T5_mT6_P12ihipStream_tbENKUlT_T0_E_clISt17integral_constantIbLb1EESX_EEDaSS_ST_EUlSS_E0_NS1_11comp_targetILNS1_3genE9ELNS1_11target_archE1100ELNS1_3gpuE3ELNS1_3repE0EEENS1_30default_config_static_selectorELNS0_4arch9wavefront6targetE1EEEvT1_
	.p2align	8
	.type	_ZN7rocprim17ROCPRIM_400000_NS6detail17trampoline_kernelINS0_14default_configENS1_20scan_config_selectorItEEZZNS1_9scan_implILNS1_25lookback_scan_determinismE0ELb1ELb1ES3_N6thrust23THRUST_200600_302600_NS6detail15normal_iteratorINS9_10device_ptrItEEEENS9_16discard_iteratorINS9_11use_defaultEEEtNS9_4plusIvEEtEEDaPvRmT3_T4_T5_mT6_P12ihipStream_tbENKUlT_T0_E_clISt17integral_constantIbLb1EESX_EEDaSS_ST_EUlSS_E0_NS1_11comp_targetILNS1_3genE9ELNS1_11target_archE1100ELNS1_3gpuE3ELNS1_3repE0EEENS1_30default_config_static_selectorELNS0_4arch9wavefront6targetE1EEEvT1_,@function
_ZN7rocprim17ROCPRIM_400000_NS6detail17trampoline_kernelINS0_14default_configENS1_20scan_config_selectorItEEZZNS1_9scan_implILNS1_25lookback_scan_determinismE0ELb1ELb1ES3_N6thrust23THRUST_200600_302600_NS6detail15normal_iteratorINS9_10device_ptrItEEEENS9_16discard_iteratorINS9_11use_defaultEEEtNS9_4plusIvEEtEEDaPvRmT3_T4_T5_mT6_P12ihipStream_tbENKUlT_T0_E_clISt17integral_constantIbLb1EESX_EEDaSS_ST_EUlSS_E0_NS1_11comp_targetILNS1_3genE9ELNS1_11target_archE1100ELNS1_3gpuE3ELNS1_3repE0EEENS1_30default_config_static_selectorELNS0_4arch9wavefront6targetE1EEEvT1_: ; @_ZN7rocprim17ROCPRIM_400000_NS6detail17trampoline_kernelINS0_14default_configENS1_20scan_config_selectorItEEZZNS1_9scan_implILNS1_25lookback_scan_determinismE0ELb1ELb1ES3_N6thrust23THRUST_200600_302600_NS6detail15normal_iteratorINS9_10device_ptrItEEEENS9_16discard_iteratorINS9_11use_defaultEEEtNS9_4plusIvEEtEEDaPvRmT3_T4_T5_mT6_P12ihipStream_tbENKUlT_T0_E_clISt17integral_constantIbLb1EESX_EEDaSS_ST_EUlSS_E0_NS1_11comp_targetILNS1_3genE9ELNS1_11target_archE1100ELNS1_3gpuE3ELNS1_3repE0EEENS1_30default_config_static_selectorELNS0_4arch9wavefront6targetE1EEEvT1_
; %bb.0:
	.section	.rodata,"a",@progbits
	.p2align	6, 0x0
	.amdhsa_kernel _ZN7rocprim17ROCPRIM_400000_NS6detail17trampoline_kernelINS0_14default_configENS1_20scan_config_selectorItEEZZNS1_9scan_implILNS1_25lookback_scan_determinismE0ELb1ELb1ES3_N6thrust23THRUST_200600_302600_NS6detail15normal_iteratorINS9_10device_ptrItEEEENS9_16discard_iteratorINS9_11use_defaultEEEtNS9_4plusIvEEtEEDaPvRmT3_T4_T5_mT6_P12ihipStream_tbENKUlT_T0_E_clISt17integral_constantIbLb1EESX_EEDaSS_ST_EUlSS_E0_NS1_11comp_targetILNS1_3genE9ELNS1_11target_archE1100ELNS1_3gpuE3ELNS1_3repE0EEENS1_30default_config_static_selectorELNS0_4arch9wavefront6targetE1EEEvT1_
		.amdhsa_group_segment_fixed_size 0
		.amdhsa_private_segment_fixed_size 0
		.amdhsa_kernarg_size 40
		.amdhsa_user_sgpr_count 6
		.amdhsa_user_sgpr_private_segment_buffer 1
		.amdhsa_user_sgpr_dispatch_ptr 0
		.amdhsa_user_sgpr_queue_ptr 0
		.amdhsa_user_sgpr_kernarg_segment_ptr 1
		.amdhsa_user_sgpr_dispatch_id 0
		.amdhsa_user_sgpr_flat_scratch_init 0
		.amdhsa_user_sgpr_kernarg_preload_length 0
		.amdhsa_user_sgpr_kernarg_preload_offset 0
		.amdhsa_user_sgpr_private_segment_size 0
		.amdhsa_uses_dynamic_stack 0
		.amdhsa_system_sgpr_private_segment_wavefront_offset 0
		.amdhsa_system_sgpr_workgroup_id_x 1
		.amdhsa_system_sgpr_workgroup_id_y 0
		.amdhsa_system_sgpr_workgroup_id_z 0
		.amdhsa_system_sgpr_workgroup_info 0
		.amdhsa_system_vgpr_workitem_id 0
		.amdhsa_next_free_vgpr 1
		.amdhsa_next_free_sgpr 0
		.amdhsa_accum_offset 4
		.amdhsa_reserve_vcc 0
		.amdhsa_reserve_flat_scratch 0
		.amdhsa_float_round_mode_32 0
		.amdhsa_float_round_mode_16_64 0
		.amdhsa_float_denorm_mode_32 3
		.amdhsa_float_denorm_mode_16_64 3
		.amdhsa_dx10_clamp 1
		.amdhsa_ieee_mode 1
		.amdhsa_fp16_overflow 0
		.amdhsa_tg_split 0
		.amdhsa_exception_fp_ieee_invalid_op 0
		.amdhsa_exception_fp_denorm_src 0
		.amdhsa_exception_fp_ieee_div_zero 0
		.amdhsa_exception_fp_ieee_overflow 0
		.amdhsa_exception_fp_ieee_underflow 0
		.amdhsa_exception_fp_ieee_inexact 0
		.amdhsa_exception_int_div_zero 0
	.end_amdhsa_kernel
	.section	.text._ZN7rocprim17ROCPRIM_400000_NS6detail17trampoline_kernelINS0_14default_configENS1_20scan_config_selectorItEEZZNS1_9scan_implILNS1_25lookback_scan_determinismE0ELb1ELb1ES3_N6thrust23THRUST_200600_302600_NS6detail15normal_iteratorINS9_10device_ptrItEEEENS9_16discard_iteratorINS9_11use_defaultEEEtNS9_4plusIvEEtEEDaPvRmT3_T4_T5_mT6_P12ihipStream_tbENKUlT_T0_E_clISt17integral_constantIbLb1EESX_EEDaSS_ST_EUlSS_E0_NS1_11comp_targetILNS1_3genE9ELNS1_11target_archE1100ELNS1_3gpuE3ELNS1_3repE0EEENS1_30default_config_static_selectorELNS0_4arch9wavefront6targetE1EEEvT1_,"axG",@progbits,_ZN7rocprim17ROCPRIM_400000_NS6detail17trampoline_kernelINS0_14default_configENS1_20scan_config_selectorItEEZZNS1_9scan_implILNS1_25lookback_scan_determinismE0ELb1ELb1ES3_N6thrust23THRUST_200600_302600_NS6detail15normal_iteratorINS9_10device_ptrItEEEENS9_16discard_iteratorINS9_11use_defaultEEEtNS9_4plusIvEEtEEDaPvRmT3_T4_T5_mT6_P12ihipStream_tbENKUlT_T0_E_clISt17integral_constantIbLb1EESX_EEDaSS_ST_EUlSS_E0_NS1_11comp_targetILNS1_3genE9ELNS1_11target_archE1100ELNS1_3gpuE3ELNS1_3repE0EEENS1_30default_config_static_selectorELNS0_4arch9wavefront6targetE1EEEvT1_,comdat
.Lfunc_end5544:
	.size	_ZN7rocprim17ROCPRIM_400000_NS6detail17trampoline_kernelINS0_14default_configENS1_20scan_config_selectorItEEZZNS1_9scan_implILNS1_25lookback_scan_determinismE0ELb1ELb1ES3_N6thrust23THRUST_200600_302600_NS6detail15normal_iteratorINS9_10device_ptrItEEEENS9_16discard_iteratorINS9_11use_defaultEEEtNS9_4plusIvEEtEEDaPvRmT3_T4_T5_mT6_P12ihipStream_tbENKUlT_T0_E_clISt17integral_constantIbLb1EESX_EEDaSS_ST_EUlSS_E0_NS1_11comp_targetILNS1_3genE9ELNS1_11target_archE1100ELNS1_3gpuE3ELNS1_3repE0EEENS1_30default_config_static_selectorELNS0_4arch9wavefront6targetE1EEEvT1_, .Lfunc_end5544-_ZN7rocprim17ROCPRIM_400000_NS6detail17trampoline_kernelINS0_14default_configENS1_20scan_config_selectorItEEZZNS1_9scan_implILNS1_25lookback_scan_determinismE0ELb1ELb1ES3_N6thrust23THRUST_200600_302600_NS6detail15normal_iteratorINS9_10device_ptrItEEEENS9_16discard_iteratorINS9_11use_defaultEEEtNS9_4plusIvEEtEEDaPvRmT3_T4_T5_mT6_P12ihipStream_tbENKUlT_T0_E_clISt17integral_constantIbLb1EESX_EEDaSS_ST_EUlSS_E0_NS1_11comp_targetILNS1_3genE9ELNS1_11target_archE1100ELNS1_3gpuE3ELNS1_3repE0EEENS1_30default_config_static_selectorELNS0_4arch9wavefront6targetE1EEEvT1_
                                        ; -- End function
	.section	.AMDGPU.csdata,"",@progbits
; Kernel info:
; codeLenInByte = 0
; NumSgprs: 4
; NumVgprs: 0
; NumAgprs: 0
; TotalNumVgprs: 0
; ScratchSize: 0
; MemoryBound: 0
; FloatMode: 240
; IeeeMode: 1
; LDSByteSize: 0 bytes/workgroup (compile time only)
; SGPRBlocks: 0
; VGPRBlocks: 0
; NumSGPRsForWavesPerEU: 4
; NumVGPRsForWavesPerEU: 1
; AccumOffset: 4
; Occupancy: 8
; WaveLimiterHint : 0
; COMPUTE_PGM_RSRC2:SCRATCH_EN: 0
; COMPUTE_PGM_RSRC2:USER_SGPR: 6
; COMPUTE_PGM_RSRC2:TRAP_HANDLER: 0
; COMPUTE_PGM_RSRC2:TGID_X_EN: 1
; COMPUTE_PGM_RSRC2:TGID_Y_EN: 0
; COMPUTE_PGM_RSRC2:TGID_Z_EN: 0
; COMPUTE_PGM_RSRC2:TIDIG_COMP_CNT: 0
; COMPUTE_PGM_RSRC3_GFX90A:ACCUM_OFFSET: 0
; COMPUTE_PGM_RSRC3_GFX90A:TG_SPLIT: 0
	.section	.text._ZN7rocprim17ROCPRIM_400000_NS6detail17trampoline_kernelINS0_14default_configENS1_20scan_config_selectorItEEZZNS1_9scan_implILNS1_25lookback_scan_determinismE0ELb1ELb1ES3_N6thrust23THRUST_200600_302600_NS6detail15normal_iteratorINS9_10device_ptrItEEEENS9_16discard_iteratorINS9_11use_defaultEEEtNS9_4plusIvEEtEEDaPvRmT3_T4_T5_mT6_P12ihipStream_tbENKUlT_T0_E_clISt17integral_constantIbLb1EESX_EEDaSS_ST_EUlSS_E0_NS1_11comp_targetILNS1_3genE8ELNS1_11target_archE1030ELNS1_3gpuE2ELNS1_3repE0EEENS1_30default_config_static_selectorELNS0_4arch9wavefront6targetE1EEEvT1_,"axG",@progbits,_ZN7rocprim17ROCPRIM_400000_NS6detail17trampoline_kernelINS0_14default_configENS1_20scan_config_selectorItEEZZNS1_9scan_implILNS1_25lookback_scan_determinismE0ELb1ELb1ES3_N6thrust23THRUST_200600_302600_NS6detail15normal_iteratorINS9_10device_ptrItEEEENS9_16discard_iteratorINS9_11use_defaultEEEtNS9_4plusIvEEtEEDaPvRmT3_T4_T5_mT6_P12ihipStream_tbENKUlT_T0_E_clISt17integral_constantIbLb1EESX_EEDaSS_ST_EUlSS_E0_NS1_11comp_targetILNS1_3genE8ELNS1_11target_archE1030ELNS1_3gpuE2ELNS1_3repE0EEENS1_30default_config_static_selectorELNS0_4arch9wavefront6targetE1EEEvT1_,comdat
	.protected	_ZN7rocprim17ROCPRIM_400000_NS6detail17trampoline_kernelINS0_14default_configENS1_20scan_config_selectorItEEZZNS1_9scan_implILNS1_25lookback_scan_determinismE0ELb1ELb1ES3_N6thrust23THRUST_200600_302600_NS6detail15normal_iteratorINS9_10device_ptrItEEEENS9_16discard_iteratorINS9_11use_defaultEEEtNS9_4plusIvEEtEEDaPvRmT3_T4_T5_mT6_P12ihipStream_tbENKUlT_T0_E_clISt17integral_constantIbLb1EESX_EEDaSS_ST_EUlSS_E0_NS1_11comp_targetILNS1_3genE8ELNS1_11target_archE1030ELNS1_3gpuE2ELNS1_3repE0EEENS1_30default_config_static_selectorELNS0_4arch9wavefront6targetE1EEEvT1_ ; -- Begin function _ZN7rocprim17ROCPRIM_400000_NS6detail17trampoline_kernelINS0_14default_configENS1_20scan_config_selectorItEEZZNS1_9scan_implILNS1_25lookback_scan_determinismE0ELb1ELb1ES3_N6thrust23THRUST_200600_302600_NS6detail15normal_iteratorINS9_10device_ptrItEEEENS9_16discard_iteratorINS9_11use_defaultEEEtNS9_4plusIvEEtEEDaPvRmT3_T4_T5_mT6_P12ihipStream_tbENKUlT_T0_E_clISt17integral_constantIbLb1EESX_EEDaSS_ST_EUlSS_E0_NS1_11comp_targetILNS1_3genE8ELNS1_11target_archE1030ELNS1_3gpuE2ELNS1_3repE0EEENS1_30default_config_static_selectorELNS0_4arch9wavefront6targetE1EEEvT1_
	.globl	_ZN7rocprim17ROCPRIM_400000_NS6detail17trampoline_kernelINS0_14default_configENS1_20scan_config_selectorItEEZZNS1_9scan_implILNS1_25lookback_scan_determinismE0ELb1ELb1ES3_N6thrust23THRUST_200600_302600_NS6detail15normal_iteratorINS9_10device_ptrItEEEENS9_16discard_iteratorINS9_11use_defaultEEEtNS9_4plusIvEEtEEDaPvRmT3_T4_T5_mT6_P12ihipStream_tbENKUlT_T0_E_clISt17integral_constantIbLb1EESX_EEDaSS_ST_EUlSS_E0_NS1_11comp_targetILNS1_3genE8ELNS1_11target_archE1030ELNS1_3gpuE2ELNS1_3repE0EEENS1_30default_config_static_selectorELNS0_4arch9wavefront6targetE1EEEvT1_
	.p2align	8
	.type	_ZN7rocprim17ROCPRIM_400000_NS6detail17trampoline_kernelINS0_14default_configENS1_20scan_config_selectorItEEZZNS1_9scan_implILNS1_25lookback_scan_determinismE0ELb1ELb1ES3_N6thrust23THRUST_200600_302600_NS6detail15normal_iteratorINS9_10device_ptrItEEEENS9_16discard_iteratorINS9_11use_defaultEEEtNS9_4plusIvEEtEEDaPvRmT3_T4_T5_mT6_P12ihipStream_tbENKUlT_T0_E_clISt17integral_constantIbLb1EESX_EEDaSS_ST_EUlSS_E0_NS1_11comp_targetILNS1_3genE8ELNS1_11target_archE1030ELNS1_3gpuE2ELNS1_3repE0EEENS1_30default_config_static_selectorELNS0_4arch9wavefront6targetE1EEEvT1_,@function
_ZN7rocprim17ROCPRIM_400000_NS6detail17trampoline_kernelINS0_14default_configENS1_20scan_config_selectorItEEZZNS1_9scan_implILNS1_25lookback_scan_determinismE0ELb1ELb1ES3_N6thrust23THRUST_200600_302600_NS6detail15normal_iteratorINS9_10device_ptrItEEEENS9_16discard_iteratorINS9_11use_defaultEEEtNS9_4plusIvEEtEEDaPvRmT3_T4_T5_mT6_P12ihipStream_tbENKUlT_T0_E_clISt17integral_constantIbLb1EESX_EEDaSS_ST_EUlSS_E0_NS1_11comp_targetILNS1_3genE8ELNS1_11target_archE1030ELNS1_3gpuE2ELNS1_3repE0EEENS1_30default_config_static_selectorELNS0_4arch9wavefront6targetE1EEEvT1_: ; @_ZN7rocprim17ROCPRIM_400000_NS6detail17trampoline_kernelINS0_14default_configENS1_20scan_config_selectorItEEZZNS1_9scan_implILNS1_25lookback_scan_determinismE0ELb1ELb1ES3_N6thrust23THRUST_200600_302600_NS6detail15normal_iteratorINS9_10device_ptrItEEEENS9_16discard_iteratorINS9_11use_defaultEEEtNS9_4plusIvEEtEEDaPvRmT3_T4_T5_mT6_P12ihipStream_tbENKUlT_T0_E_clISt17integral_constantIbLb1EESX_EEDaSS_ST_EUlSS_E0_NS1_11comp_targetILNS1_3genE8ELNS1_11target_archE1030ELNS1_3gpuE2ELNS1_3repE0EEENS1_30default_config_static_selectorELNS0_4arch9wavefront6targetE1EEEvT1_
; %bb.0:
	.section	.rodata,"a",@progbits
	.p2align	6, 0x0
	.amdhsa_kernel _ZN7rocprim17ROCPRIM_400000_NS6detail17trampoline_kernelINS0_14default_configENS1_20scan_config_selectorItEEZZNS1_9scan_implILNS1_25lookback_scan_determinismE0ELb1ELb1ES3_N6thrust23THRUST_200600_302600_NS6detail15normal_iteratorINS9_10device_ptrItEEEENS9_16discard_iteratorINS9_11use_defaultEEEtNS9_4plusIvEEtEEDaPvRmT3_T4_T5_mT6_P12ihipStream_tbENKUlT_T0_E_clISt17integral_constantIbLb1EESX_EEDaSS_ST_EUlSS_E0_NS1_11comp_targetILNS1_3genE8ELNS1_11target_archE1030ELNS1_3gpuE2ELNS1_3repE0EEENS1_30default_config_static_selectorELNS0_4arch9wavefront6targetE1EEEvT1_
		.amdhsa_group_segment_fixed_size 0
		.amdhsa_private_segment_fixed_size 0
		.amdhsa_kernarg_size 40
		.amdhsa_user_sgpr_count 6
		.amdhsa_user_sgpr_private_segment_buffer 1
		.amdhsa_user_sgpr_dispatch_ptr 0
		.amdhsa_user_sgpr_queue_ptr 0
		.amdhsa_user_sgpr_kernarg_segment_ptr 1
		.amdhsa_user_sgpr_dispatch_id 0
		.amdhsa_user_sgpr_flat_scratch_init 0
		.amdhsa_user_sgpr_kernarg_preload_length 0
		.amdhsa_user_sgpr_kernarg_preload_offset 0
		.amdhsa_user_sgpr_private_segment_size 0
		.amdhsa_uses_dynamic_stack 0
		.amdhsa_system_sgpr_private_segment_wavefront_offset 0
		.amdhsa_system_sgpr_workgroup_id_x 1
		.amdhsa_system_sgpr_workgroup_id_y 0
		.amdhsa_system_sgpr_workgroup_id_z 0
		.amdhsa_system_sgpr_workgroup_info 0
		.amdhsa_system_vgpr_workitem_id 0
		.amdhsa_next_free_vgpr 1
		.amdhsa_next_free_sgpr 0
		.amdhsa_accum_offset 4
		.amdhsa_reserve_vcc 0
		.amdhsa_reserve_flat_scratch 0
		.amdhsa_float_round_mode_32 0
		.amdhsa_float_round_mode_16_64 0
		.amdhsa_float_denorm_mode_32 3
		.amdhsa_float_denorm_mode_16_64 3
		.amdhsa_dx10_clamp 1
		.amdhsa_ieee_mode 1
		.amdhsa_fp16_overflow 0
		.amdhsa_tg_split 0
		.amdhsa_exception_fp_ieee_invalid_op 0
		.amdhsa_exception_fp_denorm_src 0
		.amdhsa_exception_fp_ieee_div_zero 0
		.amdhsa_exception_fp_ieee_overflow 0
		.amdhsa_exception_fp_ieee_underflow 0
		.amdhsa_exception_fp_ieee_inexact 0
		.amdhsa_exception_int_div_zero 0
	.end_amdhsa_kernel
	.section	.text._ZN7rocprim17ROCPRIM_400000_NS6detail17trampoline_kernelINS0_14default_configENS1_20scan_config_selectorItEEZZNS1_9scan_implILNS1_25lookback_scan_determinismE0ELb1ELb1ES3_N6thrust23THRUST_200600_302600_NS6detail15normal_iteratorINS9_10device_ptrItEEEENS9_16discard_iteratorINS9_11use_defaultEEEtNS9_4plusIvEEtEEDaPvRmT3_T4_T5_mT6_P12ihipStream_tbENKUlT_T0_E_clISt17integral_constantIbLb1EESX_EEDaSS_ST_EUlSS_E0_NS1_11comp_targetILNS1_3genE8ELNS1_11target_archE1030ELNS1_3gpuE2ELNS1_3repE0EEENS1_30default_config_static_selectorELNS0_4arch9wavefront6targetE1EEEvT1_,"axG",@progbits,_ZN7rocprim17ROCPRIM_400000_NS6detail17trampoline_kernelINS0_14default_configENS1_20scan_config_selectorItEEZZNS1_9scan_implILNS1_25lookback_scan_determinismE0ELb1ELb1ES3_N6thrust23THRUST_200600_302600_NS6detail15normal_iteratorINS9_10device_ptrItEEEENS9_16discard_iteratorINS9_11use_defaultEEEtNS9_4plusIvEEtEEDaPvRmT3_T4_T5_mT6_P12ihipStream_tbENKUlT_T0_E_clISt17integral_constantIbLb1EESX_EEDaSS_ST_EUlSS_E0_NS1_11comp_targetILNS1_3genE8ELNS1_11target_archE1030ELNS1_3gpuE2ELNS1_3repE0EEENS1_30default_config_static_selectorELNS0_4arch9wavefront6targetE1EEEvT1_,comdat
.Lfunc_end5545:
	.size	_ZN7rocprim17ROCPRIM_400000_NS6detail17trampoline_kernelINS0_14default_configENS1_20scan_config_selectorItEEZZNS1_9scan_implILNS1_25lookback_scan_determinismE0ELb1ELb1ES3_N6thrust23THRUST_200600_302600_NS6detail15normal_iteratorINS9_10device_ptrItEEEENS9_16discard_iteratorINS9_11use_defaultEEEtNS9_4plusIvEEtEEDaPvRmT3_T4_T5_mT6_P12ihipStream_tbENKUlT_T0_E_clISt17integral_constantIbLb1EESX_EEDaSS_ST_EUlSS_E0_NS1_11comp_targetILNS1_3genE8ELNS1_11target_archE1030ELNS1_3gpuE2ELNS1_3repE0EEENS1_30default_config_static_selectorELNS0_4arch9wavefront6targetE1EEEvT1_, .Lfunc_end5545-_ZN7rocprim17ROCPRIM_400000_NS6detail17trampoline_kernelINS0_14default_configENS1_20scan_config_selectorItEEZZNS1_9scan_implILNS1_25lookback_scan_determinismE0ELb1ELb1ES3_N6thrust23THRUST_200600_302600_NS6detail15normal_iteratorINS9_10device_ptrItEEEENS9_16discard_iteratorINS9_11use_defaultEEEtNS9_4plusIvEEtEEDaPvRmT3_T4_T5_mT6_P12ihipStream_tbENKUlT_T0_E_clISt17integral_constantIbLb1EESX_EEDaSS_ST_EUlSS_E0_NS1_11comp_targetILNS1_3genE8ELNS1_11target_archE1030ELNS1_3gpuE2ELNS1_3repE0EEENS1_30default_config_static_selectorELNS0_4arch9wavefront6targetE1EEEvT1_
                                        ; -- End function
	.section	.AMDGPU.csdata,"",@progbits
; Kernel info:
; codeLenInByte = 0
; NumSgprs: 4
; NumVgprs: 0
; NumAgprs: 0
; TotalNumVgprs: 0
; ScratchSize: 0
; MemoryBound: 0
; FloatMode: 240
; IeeeMode: 1
; LDSByteSize: 0 bytes/workgroup (compile time only)
; SGPRBlocks: 0
; VGPRBlocks: 0
; NumSGPRsForWavesPerEU: 4
; NumVGPRsForWavesPerEU: 1
; AccumOffset: 4
; Occupancy: 8
; WaveLimiterHint : 0
; COMPUTE_PGM_RSRC2:SCRATCH_EN: 0
; COMPUTE_PGM_RSRC2:USER_SGPR: 6
; COMPUTE_PGM_RSRC2:TRAP_HANDLER: 0
; COMPUTE_PGM_RSRC2:TGID_X_EN: 1
; COMPUTE_PGM_RSRC2:TGID_Y_EN: 0
; COMPUTE_PGM_RSRC2:TGID_Z_EN: 0
; COMPUTE_PGM_RSRC2:TIDIG_COMP_CNT: 0
; COMPUTE_PGM_RSRC3_GFX90A:ACCUM_OFFSET: 0
; COMPUTE_PGM_RSRC3_GFX90A:TG_SPLIT: 0
	.section	.text._ZN7rocprim17ROCPRIM_400000_NS6detail17trampoline_kernelINS0_14default_configENS1_20scan_config_selectorItEEZZNS1_9scan_implILNS1_25lookback_scan_determinismE0ELb1ELb1ES3_N6thrust23THRUST_200600_302600_NS6detail15normal_iteratorINS9_10device_ptrItEEEENS9_16discard_iteratorINS9_11use_defaultEEEtNS9_4plusIvEEtEEDaPvRmT3_T4_T5_mT6_P12ihipStream_tbENKUlT_T0_E_clISt17integral_constantIbLb1EESW_IbLb0EEEEDaSS_ST_EUlSS_E_NS1_11comp_targetILNS1_3genE0ELNS1_11target_archE4294967295ELNS1_3gpuE0ELNS1_3repE0EEENS1_30default_config_static_selectorELNS0_4arch9wavefront6targetE1EEEvT1_,"axG",@progbits,_ZN7rocprim17ROCPRIM_400000_NS6detail17trampoline_kernelINS0_14default_configENS1_20scan_config_selectorItEEZZNS1_9scan_implILNS1_25lookback_scan_determinismE0ELb1ELb1ES3_N6thrust23THRUST_200600_302600_NS6detail15normal_iteratorINS9_10device_ptrItEEEENS9_16discard_iteratorINS9_11use_defaultEEEtNS9_4plusIvEEtEEDaPvRmT3_T4_T5_mT6_P12ihipStream_tbENKUlT_T0_E_clISt17integral_constantIbLb1EESW_IbLb0EEEEDaSS_ST_EUlSS_E_NS1_11comp_targetILNS1_3genE0ELNS1_11target_archE4294967295ELNS1_3gpuE0ELNS1_3repE0EEENS1_30default_config_static_selectorELNS0_4arch9wavefront6targetE1EEEvT1_,comdat
	.protected	_ZN7rocprim17ROCPRIM_400000_NS6detail17trampoline_kernelINS0_14default_configENS1_20scan_config_selectorItEEZZNS1_9scan_implILNS1_25lookback_scan_determinismE0ELb1ELb1ES3_N6thrust23THRUST_200600_302600_NS6detail15normal_iteratorINS9_10device_ptrItEEEENS9_16discard_iteratorINS9_11use_defaultEEEtNS9_4plusIvEEtEEDaPvRmT3_T4_T5_mT6_P12ihipStream_tbENKUlT_T0_E_clISt17integral_constantIbLb1EESW_IbLb0EEEEDaSS_ST_EUlSS_E_NS1_11comp_targetILNS1_3genE0ELNS1_11target_archE4294967295ELNS1_3gpuE0ELNS1_3repE0EEENS1_30default_config_static_selectorELNS0_4arch9wavefront6targetE1EEEvT1_ ; -- Begin function _ZN7rocprim17ROCPRIM_400000_NS6detail17trampoline_kernelINS0_14default_configENS1_20scan_config_selectorItEEZZNS1_9scan_implILNS1_25lookback_scan_determinismE0ELb1ELb1ES3_N6thrust23THRUST_200600_302600_NS6detail15normal_iteratorINS9_10device_ptrItEEEENS9_16discard_iteratorINS9_11use_defaultEEEtNS9_4plusIvEEtEEDaPvRmT3_T4_T5_mT6_P12ihipStream_tbENKUlT_T0_E_clISt17integral_constantIbLb1EESW_IbLb0EEEEDaSS_ST_EUlSS_E_NS1_11comp_targetILNS1_3genE0ELNS1_11target_archE4294967295ELNS1_3gpuE0ELNS1_3repE0EEENS1_30default_config_static_selectorELNS0_4arch9wavefront6targetE1EEEvT1_
	.globl	_ZN7rocprim17ROCPRIM_400000_NS6detail17trampoline_kernelINS0_14default_configENS1_20scan_config_selectorItEEZZNS1_9scan_implILNS1_25lookback_scan_determinismE0ELb1ELb1ES3_N6thrust23THRUST_200600_302600_NS6detail15normal_iteratorINS9_10device_ptrItEEEENS9_16discard_iteratorINS9_11use_defaultEEEtNS9_4plusIvEEtEEDaPvRmT3_T4_T5_mT6_P12ihipStream_tbENKUlT_T0_E_clISt17integral_constantIbLb1EESW_IbLb0EEEEDaSS_ST_EUlSS_E_NS1_11comp_targetILNS1_3genE0ELNS1_11target_archE4294967295ELNS1_3gpuE0ELNS1_3repE0EEENS1_30default_config_static_selectorELNS0_4arch9wavefront6targetE1EEEvT1_
	.p2align	8
	.type	_ZN7rocprim17ROCPRIM_400000_NS6detail17trampoline_kernelINS0_14default_configENS1_20scan_config_selectorItEEZZNS1_9scan_implILNS1_25lookback_scan_determinismE0ELb1ELb1ES3_N6thrust23THRUST_200600_302600_NS6detail15normal_iteratorINS9_10device_ptrItEEEENS9_16discard_iteratorINS9_11use_defaultEEEtNS9_4plusIvEEtEEDaPvRmT3_T4_T5_mT6_P12ihipStream_tbENKUlT_T0_E_clISt17integral_constantIbLb1EESW_IbLb0EEEEDaSS_ST_EUlSS_E_NS1_11comp_targetILNS1_3genE0ELNS1_11target_archE4294967295ELNS1_3gpuE0ELNS1_3repE0EEENS1_30default_config_static_selectorELNS0_4arch9wavefront6targetE1EEEvT1_,@function
_ZN7rocprim17ROCPRIM_400000_NS6detail17trampoline_kernelINS0_14default_configENS1_20scan_config_selectorItEEZZNS1_9scan_implILNS1_25lookback_scan_determinismE0ELb1ELb1ES3_N6thrust23THRUST_200600_302600_NS6detail15normal_iteratorINS9_10device_ptrItEEEENS9_16discard_iteratorINS9_11use_defaultEEEtNS9_4plusIvEEtEEDaPvRmT3_T4_T5_mT6_P12ihipStream_tbENKUlT_T0_E_clISt17integral_constantIbLb1EESW_IbLb0EEEEDaSS_ST_EUlSS_E_NS1_11comp_targetILNS1_3genE0ELNS1_11target_archE4294967295ELNS1_3gpuE0ELNS1_3repE0EEENS1_30default_config_static_selectorELNS0_4arch9wavefront6targetE1EEEvT1_: ; @_ZN7rocprim17ROCPRIM_400000_NS6detail17trampoline_kernelINS0_14default_configENS1_20scan_config_selectorItEEZZNS1_9scan_implILNS1_25lookback_scan_determinismE0ELb1ELb1ES3_N6thrust23THRUST_200600_302600_NS6detail15normal_iteratorINS9_10device_ptrItEEEENS9_16discard_iteratorINS9_11use_defaultEEEtNS9_4plusIvEEtEEDaPvRmT3_T4_T5_mT6_P12ihipStream_tbENKUlT_T0_E_clISt17integral_constantIbLb1EESW_IbLb0EEEEDaSS_ST_EUlSS_E_NS1_11comp_targetILNS1_3genE0ELNS1_11target_archE4294967295ELNS1_3gpuE0ELNS1_3repE0EEENS1_30default_config_static_selectorELNS0_4arch9wavefront6targetE1EEEvT1_
; %bb.0:
	.section	.rodata,"a",@progbits
	.p2align	6, 0x0
	.amdhsa_kernel _ZN7rocprim17ROCPRIM_400000_NS6detail17trampoline_kernelINS0_14default_configENS1_20scan_config_selectorItEEZZNS1_9scan_implILNS1_25lookback_scan_determinismE0ELb1ELb1ES3_N6thrust23THRUST_200600_302600_NS6detail15normal_iteratorINS9_10device_ptrItEEEENS9_16discard_iteratorINS9_11use_defaultEEEtNS9_4plusIvEEtEEDaPvRmT3_T4_T5_mT6_P12ihipStream_tbENKUlT_T0_E_clISt17integral_constantIbLb1EESW_IbLb0EEEEDaSS_ST_EUlSS_E_NS1_11comp_targetILNS1_3genE0ELNS1_11target_archE4294967295ELNS1_3gpuE0ELNS1_3repE0EEENS1_30default_config_static_selectorELNS0_4arch9wavefront6targetE1EEEvT1_
		.amdhsa_group_segment_fixed_size 0
		.amdhsa_private_segment_fixed_size 0
		.amdhsa_kernarg_size 104
		.amdhsa_user_sgpr_count 6
		.amdhsa_user_sgpr_private_segment_buffer 1
		.amdhsa_user_sgpr_dispatch_ptr 0
		.amdhsa_user_sgpr_queue_ptr 0
		.amdhsa_user_sgpr_kernarg_segment_ptr 1
		.amdhsa_user_sgpr_dispatch_id 0
		.amdhsa_user_sgpr_flat_scratch_init 0
		.amdhsa_user_sgpr_kernarg_preload_length 0
		.amdhsa_user_sgpr_kernarg_preload_offset 0
		.amdhsa_user_sgpr_private_segment_size 0
		.amdhsa_uses_dynamic_stack 0
		.amdhsa_system_sgpr_private_segment_wavefront_offset 0
		.amdhsa_system_sgpr_workgroup_id_x 1
		.amdhsa_system_sgpr_workgroup_id_y 0
		.amdhsa_system_sgpr_workgroup_id_z 0
		.amdhsa_system_sgpr_workgroup_info 0
		.amdhsa_system_vgpr_workitem_id 0
		.amdhsa_next_free_vgpr 1
		.amdhsa_next_free_sgpr 0
		.amdhsa_accum_offset 4
		.amdhsa_reserve_vcc 0
		.amdhsa_reserve_flat_scratch 0
		.amdhsa_float_round_mode_32 0
		.amdhsa_float_round_mode_16_64 0
		.amdhsa_float_denorm_mode_32 3
		.amdhsa_float_denorm_mode_16_64 3
		.amdhsa_dx10_clamp 1
		.amdhsa_ieee_mode 1
		.amdhsa_fp16_overflow 0
		.amdhsa_tg_split 0
		.amdhsa_exception_fp_ieee_invalid_op 0
		.amdhsa_exception_fp_denorm_src 0
		.amdhsa_exception_fp_ieee_div_zero 0
		.amdhsa_exception_fp_ieee_overflow 0
		.amdhsa_exception_fp_ieee_underflow 0
		.amdhsa_exception_fp_ieee_inexact 0
		.amdhsa_exception_int_div_zero 0
	.end_amdhsa_kernel
	.section	.text._ZN7rocprim17ROCPRIM_400000_NS6detail17trampoline_kernelINS0_14default_configENS1_20scan_config_selectorItEEZZNS1_9scan_implILNS1_25lookback_scan_determinismE0ELb1ELb1ES3_N6thrust23THRUST_200600_302600_NS6detail15normal_iteratorINS9_10device_ptrItEEEENS9_16discard_iteratorINS9_11use_defaultEEEtNS9_4plusIvEEtEEDaPvRmT3_T4_T5_mT6_P12ihipStream_tbENKUlT_T0_E_clISt17integral_constantIbLb1EESW_IbLb0EEEEDaSS_ST_EUlSS_E_NS1_11comp_targetILNS1_3genE0ELNS1_11target_archE4294967295ELNS1_3gpuE0ELNS1_3repE0EEENS1_30default_config_static_selectorELNS0_4arch9wavefront6targetE1EEEvT1_,"axG",@progbits,_ZN7rocprim17ROCPRIM_400000_NS6detail17trampoline_kernelINS0_14default_configENS1_20scan_config_selectorItEEZZNS1_9scan_implILNS1_25lookback_scan_determinismE0ELb1ELb1ES3_N6thrust23THRUST_200600_302600_NS6detail15normal_iteratorINS9_10device_ptrItEEEENS9_16discard_iteratorINS9_11use_defaultEEEtNS9_4plusIvEEtEEDaPvRmT3_T4_T5_mT6_P12ihipStream_tbENKUlT_T0_E_clISt17integral_constantIbLb1EESW_IbLb0EEEEDaSS_ST_EUlSS_E_NS1_11comp_targetILNS1_3genE0ELNS1_11target_archE4294967295ELNS1_3gpuE0ELNS1_3repE0EEENS1_30default_config_static_selectorELNS0_4arch9wavefront6targetE1EEEvT1_,comdat
.Lfunc_end5546:
	.size	_ZN7rocprim17ROCPRIM_400000_NS6detail17trampoline_kernelINS0_14default_configENS1_20scan_config_selectorItEEZZNS1_9scan_implILNS1_25lookback_scan_determinismE0ELb1ELb1ES3_N6thrust23THRUST_200600_302600_NS6detail15normal_iteratorINS9_10device_ptrItEEEENS9_16discard_iteratorINS9_11use_defaultEEEtNS9_4plusIvEEtEEDaPvRmT3_T4_T5_mT6_P12ihipStream_tbENKUlT_T0_E_clISt17integral_constantIbLb1EESW_IbLb0EEEEDaSS_ST_EUlSS_E_NS1_11comp_targetILNS1_3genE0ELNS1_11target_archE4294967295ELNS1_3gpuE0ELNS1_3repE0EEENS1_30default_config_static_selectorELNS0_4arch9wavefront6targetE1EEEvT1_, .Lfunc_end5546-_ZN7rocprim17ROCPRIM_400000_NS6detail17trampoline_kernelINS0_14default_configENS1_20scan_config_selectorItEEZZNS1_9scan_implILNS1_25lookback_scan_determinismE0ELb1ELb1ES3_N6thrust23THRUST_200600_302600_NS6detail15normal_iteratorINS9_10device_ptrItEEEENS9_16discard_iteratorINS9_11use_defaultEEEtNS9_4plusIvEEtEEDaPvRmT3_T4_T5_mT6_P12ihipStream_tbENKUlT_T0_E_clISt17integral_constantIbLb1EESW_IbLb0EEEEDaSS_ST_EUlSS_E_NS1_11comp_targetILNS1_3genE0ELNS1_11target_archE4294967295ELNS1_3gpuE0ELNS1_3repE0EEENS1_30default_config_static_selectorELNS0_4arch9wavefront6targetE1EEEvT1_
                                        ; -- End function
	.section	.AMDGPU.csdata,"",@progbits
; Kernel info:
; codeLenInByte = 0
; NumSgprs: 4
; NumVgprs: 0
; NumAgprs: 0
; TotalNumVgprs: 0
; ScratchSize: 0
; MemoryBound: 0
; FloatMode: 240
; IeeeMode: 1
; LDSByteSize: 0 bytes/workgroup (compile time only)
; SGPRBlocks: 0
; VGPRBlocks: 0
; NumSGPRsForWavesPerEU: 4
; NumVGPRsForWavesPerEU: 1
; AccumOffset: 4
; Occupancy: 8
; WaveLimiterHint : 0
; COMPUTE_PGM_RSRC2:SCRATCH_EN: 0
; COMPUTE_PGM_RSRC2:USER_SGPR: 6
; COMPUTE_PGM_RSRC2:TRAP_HANDLER: 0
; COMPUTE_PGM_RSRC2:TGID_X_EN: 1
; COMPUTE_PGM_RSRC2:TGID_Y_EN: 0
; COMPUTE_PGM_RSRC2:TGID_Z_EN: 0
; COMPUTE_PGM_RSRC2:TIDIG_COMP_CNT: 0
; COMPUTE_PGM_RSRC3_GFX90A:ACCUM_OFFSET: 0
; COMPUTE_PGM_RSRC3_GFX90A:TG_SPLIT: 0
	.section	.text._ZN7rocprim17ROCPRIM_400000_NS6detail17trampoline_kernelINS0_14default_configENS1_20scan_config_selectorItEEZZNS1_9scan_implILNS1_25lookback_scan_determinismE0ELb1ELb1ES3_N6thrust23THRUST_200600_302600_NS6detail15normal_iteratorINS9_10device_ptrItEEEENS9_16discard_iteratorINS9_11use_defaultEEEtNS9_4plusIvEEtEEDaPvRmT3_T4_T5_mT6_P12ihipStream_tbENKUlT_T0_E_clISt17integral_constantIbLb1EESW_IbLb0EEEEDaSS_ST_EUlSS_E_NS1_11comp_targetILNS1_3genE5ELNS1_11target_archE942ELNS1_3gpuE9ELNS1_3repE0EEENS1_30default_config_static_selectorELNS0_4arch9wavefront6targetE1EEEvT1_,"axG",@progbits,_ZN7rocprim17ROCPRIM_400000_NS6detail17trampoline_kernelINS0_14default_configENS1_20scan_config_selectorItEEZZNS1_9scan_implILNS1_25lookback_scan_determinismE0ELb1ELb1ES3_N6thrust23THRUST_200600_302600_NS6detail15normal_iteratorINS9_10device_ptrItEEEENS9_16discard_iteratorINS9_11use_defaultEEEtNS9_4plusIvEEtEEDaPvRmT3_T4_T5_mT6_P12ihipStream_tbENKUlT_T0_E_clISt17integral_constantIbLb1EESW_IbLb0EEEEDaSS_ST_EUlSS_E_NS1_11comp_targetILNS1_3genE5ELNS1_11target_archE942ELNS1_3gpuE9ELNS1_3repE0EEENS1_30default_config_static_selectorELNS0_4arch9wavefront6targetE1EEEvT1_,comdat
	.protected	_ZN7rocprim17ROCPRIM_400000_NS6detail17trampoline_kernelINS0_14default_configENS1_20scan_config_selectorItEEZZNS1_9scan_implILNS1_25lookback_scan_determinismE0ELb1ELb1ES3_N6thrust23THRUST_200600_302600_NS6detail15normal_iteratorINS9_10device_ptrItEEEENS9_16discard_iteratorINS9_11use_defaultEEEtNS9_4plusIvEEtEEDaPvRmT3_T4_T5_mT6_P12ihipStream_tbENKUlT_T0_E_clISt17integral_constantIbLb1EESW_IbLb0EEEEDaSS_ST_EUlSS_E_NS1_11comp_targetILNS1_3genE5ELNS1_11target_archE942ELNS1_3gpuE9ELNS1_3repE0EEENS1_30default_config_static_selectorELNS0_4arch9wavefront6targetE1EEEvT1_ ; -- Begin function _ZN7rocprim17ROCPRIM_400000_NS6detail17trampoline_kernelINS0_14default_configENS1_20scan_config_selectorItEEZZNS1_9scan_implILNS1_25lookback_scan_determinismE0ELb1ELb1ES3_N6thrust23THRUST_200600_302600_NS6detail15normal_iteratorINS9_10device_ptrItEEEENS9_16discard_iteratorINS9_11use_defaultEEEtNS9_4plusIvEEtEEDaPvRmT3_T4_T5_mT6_P12ihipStream_tbENKUlT_T0_E_clISt17integral_constantIbLb1EESW_IbLb0EEEEDaSS_ST_EUlSS_E_NS1_11comp_targetILNS1_3genE5ELNS1_11target_archE942ELNS1_3gpuE9ELNS1_3repE0EEENS1_30default_config_static_selectorELNS0_4arch9wavefront6targetE1EEEvT1_
	.globl	_ZN7rocprim17ROCPRIM_400000_NS6detail17trampoline_kernelINS0_14default_configENS1_20scan_config_selectorItEEZZNS1_9scan_implILNS1_25lookback_scan_determinismE0ELb1ELb1ES3_N6thrust23THRUST_200600_302600_NS6detail15normal_iteratorINS9_10device_ptrItEEEENS9_16discard_iteratorINS9_11use_defaultEEEtNS9_4plusIvEEtEEDaPvRmT3_T4_T5_mT6_P12ihipStream_tbENKUlT_T0_E_clISt17integral_constantIbLb1EESW_IbLb0EEEEDaSS_ST_EUlSS_E_NS1_11comp_targetILNS1_3genE5ELNS1_11target_archE942ELNS1_3gpuE9ELNS1_3repE0EEENS1_30default_config_static_selectorELNS0_4arch9wavefront6targetE1EEEvT1_
	.p2align	8
	.type	_ZN7rocprim17ROCPRIM_400000_NS6detail17trampoline_kernelINS0_14default_configENS1_20scan_config_selectorItEEZZNS1_9scan_implILNS1_25lookback_scan_determinismE0ELb1ELb1ES3_N6thrust23THRUST_200600_302600_NS6detail15normal_iteratorINS9_10device_ptrItEEEENS9_16discard_iteratorINS9_11use_defaultEEEtNS9_4plusIvEEtEEDaPvRmT3_T4_T5_mT6_P12ihipStream_tbENKUlT_T0_E_clISt17integral_constantIbLb1EESW_IbLb0EEEEDaSS_ST_EUlSS_E_NS1_11comp_targetILNS1_3genE5ELNS1_11target_archE942ELNS1_3gpuE9ELNS1_3repE0EEENS1_30default_config_static_selectorELNS0_4arch9wavefront6targetE1EEEvT1_,@function
_ZN7rocprim17ROCPRIM_400000_NS6detail17trampoline_kernelINS0_14default_configENS1_20scan_config_selectorItEEZZNS1_9scan_implILNS1_25lookback_scan_determinismE0ELb1ELb1ES3_N6thrust23THRUST_200600_302600_NS6detail15normal_iteratorINS9_10device_ptrItEEEENS9_16discard_iteratorINS9_11use_defaultEEEtNS9_4plusIvEEtEEDaPvRmT3_T4_T5_mT6_P12ihipStream_tbENKUlT_T0_E_clISt17integral_constantIbLb1EESW_IbLb0EEEEDaSS_ST_EUlSS_E_NS1_11comp_targetILNS1_3genE5ELNS1_11target_archE942ELNS1_3gpuE9ELNS1_3repE0EEENS1_30default_config_static_selectorELNS0_4arch9wavefront6targetE1EEEvT1_: ; @_ZN7rocprim17ROCPRIM_400000_NS6detail17trampoline_kernelINS0_14default_configENS1_20scan_config_selectorItEEZZNS1_9scan_implILNS1_25lookback_scan_determinismE0ELb1ELb1ES3_N6thrust23THRUST_200600_302600_NS6detail15normal_iteratorINS9_10device_ptrItEEEENS9_16discard_iteratorINS9_11use_defaultEEEtNS9_4plusIvEEtEEDaPvRmT3_T4_T5_mT6_P12ihipStream_tbENKUlT_T0_E_clISt17integral_constantIbLb1EESW_IbLb0EEEEDaSS_ST_EUlSS_E_NS1_11comp_targetILNS1_3genE5ELNS1_11target_archE942ELNS1_3gpuE9ELNS1_3repE0EEENS1_30default_config_static_selectorELNS0_4arch9wavefront6targetE1EEEvT1_
; %bb.0:
	.section	.rodata,"a",@progbits
	.p2align	6, 0x0
	.amdhsa_kernel _ZN7rocprim17ROCPRIM_400000_NS6detail17trampoline_kernelINS0_14default_configENS1_20scan_config_selectorItEEZZNS1_9scan_implILNS1_25lookback_scan_determinismE0ELb1ELb1ES3_N6thrust23THRUST_200600_302600_NS6detail15normal_iteratorINS9_10device_ptrItEEEENS9_16discard_iteratorINS9_11use_defaultEEEtNS9_4plusIvEEtEEDaPvRmT3_T4_T5_mT6_P12ihipStream_tbENKUlT_T0_E_clISt17integral_constantIbLb1EESW_IbLb0EEEEDaSS_ST_EUlSS_E_NS1_11comp_targetILNS1_3genE5ELNS1_11target_archE942ELNS1_3gpuE9ELNS1_3repE0EEENS1_30default_config_static_selectorELNS0_4arch9wavefront6targetE1EEEvT1_
		.amdhsa_group_segment_fixed_size 0
		.amdhsa_private_segment_fixed_size 0
		.amdhsa_kernarg_size 104
		.amdhsa_user_sgpr_count 6
		.amdhsa_user_sgpr_private_segment_buffer 1
		.amdhsa_user_sgpr_dispatch_ptr 0
		.amdhsa_user_sgpr_queue_ptr 0
		.amdhsa_user_sgpr_kernarg_segment_ptr 1
		.amdhsa_user_sgpr_dispatch_id 0
		.amdhsa_user_sgpr_flat_scratch_init 0
		.amdhsa_user_sgpr_kernarg_preload_length 0
		.amdhsa_user_sgpr_kernarg_preload_offset 0
		.amdhsa_user_sgpr_private_segment_size 0
		.amdhsa_uses_dynamic_stack 0
		.amdhsa_system_sgpr_private_segment_wavefront_offset 0
		.amdhsa_system_sgpr_workgroup_id_x 1
		.amdhsa_system_sgpr_workgroup_id_y 0
		.amdhsa_system_sgpr_workgroup_id_z 0
		.amdhsa_system_sgpr_workgroup_info 0
		.amdhsa_system_vgpr_workitem_id 0
		.amdhsa_next_free_vgpr 1
		.amdhsa_next_free_sgpr 0
		.amdhsa_accum_offset 4
		.amdhsa_reserve_vcc 0
		.amdhsa_reserve_flat_scratch 0
		.amdhsa_float_round_mode_32 0
		.amdhsa_float_round_mode_16_64 0
		.amdhsa_float_denorm_mode_32 3
		.amdhsa_float_denorm_mode_16_64 3
		.amdhsa_dx10_clamp 1
		.amdhsa_ieee_mode 1
		.amdhsa_fp16_overflow 0
		.amdhsa_tg_split 0
		.amdhsa_exception_fp_ieee_invalid_op 0
		.amdhsa_exception_fp_denorm_src 0
		.amdhsa_exception_fp_ieee_div_zero 0
		.amdhsa_exception_fp_ieee_overflow 0
		.amdhsa_exception_fp_ieee_underflow 0
		.amdhsa_exception_fp_ieee_inexact 0
		.amdhsa_exception_int_div_zero 0
	.end_amdhsa_kernel
	.section	.text._ZN7rocprim17ROCPRIM_400000_NS6detail17trampoline_kernelINS0_14default_configENS1_20scan_config_selectorItEEZZNS1_9scan_implILNS1_25lookback_scan_determinismE0ELb1ELb1ES3_N6thrust23THRUST_200600_302600_NS6detail15normal_iteratorINS9_10device_ptrItEEEENS9_16discard_iteratorINS9_11use_defaultEEEtNS9_4plusIvEEtEEDaPvRmT3_T4_T5_mT6_P12ihipStream_tbENKUlT_T0_E_clISt17integral_constantIbLb1EESW_IbLb0EEEEDaSS_ST_EUlSS_E_NS1_11comp_targetILNS1_3genE5ELNS1_11target_archE942ELNS1_3gpuE9ELNS1_3repE0EEENS1_30default_config_static_selectorELNS0_4arch9wavefront6targetE1EEEvT1_,"axG",@progbits,_ZN7rocprim17ROCPRIM_400000_NS6detail17trampoline_kernelINS0_14default_configENS1_20scan_config_selectorItEEZZNS1_9scan_implILNS1_25lookback_scan_determinismE0ELb1ELb1ES3_N6thrust23THRUST_200600_302600_NS6detail15normal_iteratorINS9_10device_ptrItEEEENS9_16discard_iteratorINS9_11use_defaultEEEtNS9_4plusIvEEtEEDaPvRmT3_T4_T5_mT6_P12ihipStream_tbENKUlT_T0_E_clISt17integral_constantIbLb1EESW_IbLb0EEEEDaSS_ST_EUlSS_E_NS1_11comp_targetILNS1_3genE5ELNS1_11target_archE942ELNS1_3gpuE9ELNS1_3repE0EEENS1_30default_config_static_selectorELNS0_4arch9wavefront6targetE1EEEvT1_,comdat
.Lfunc_end5547:
	.size	_ZN7rocprim17ROCPRIM_400000_NS6detail17trampoline_kernelINS0_14default_configENS1_20scan_config_selectorItEEZZNS1_9scan_implILNS1_25lookback_scan_determinismE0ELb1ELb1ES3_N6thrust23THRUST_200600_302600_NS6detail15normal_iteratorINS9_10device_ptrItEEEENS9_16discard_iteratorINS9_11use_defaultEEEtNS9_4plusIvEEtEEDaPvRmT3_T4_T5_mT6_P12ihipStream_tbENKUlT_T0_E_clISt17integral_constantIbLb1EESW_IbLb0EEEEDaSS_ST_EUlSS_E_NS1_11comp_targetILNS1_3genE5ELNS1_11target_archE942ELNS1_3gpuE9ELNS1_3repE0EEENS1_30default_config_static_selectorELNS0_4arch9wavefront6targetE1EEEvT1_, .Lfunc_end5547-_ZN7rocprim17ROCPRIM_400000_NS6detail17trampoline_kernelINS0_14default_configENS1_20scan_config_selectorItEEZZNS1_9scan_implILNS1_25lookback_scan_determinismE0ELb1ELb1ES3_N6thrust23THRUST_200600_302600_NS6detail15normal_iteratorINS9_10device_ptrItEEEENS9_16discard_iteratorINS9_11use_defaultEEEtNS9_4plusIvEEtEEDaPvRmT3_T4_T5_mT6_P12ihipStream_tbENKUlT_T0_E_clISt17integral_constantIbLb1EESW_IbLb0EEEEDaSS_ST_EUlSS_E_NS1_11comp_targetILNS1_3genE5ELNS1_11target_archE942ELNS1_3gpuE9ELNS1_3repE0EEENS1_30default_config_static_selectorELNS0_4arch9wavefront6targetE1EEEvT1_
                                        ; -- End function
	.section	.AMDGPU.csdata,"",@progbits
; Kernel info:
; codeLenInByte = 0
; NumSgprs: 4
; NumVgprs: 0
; NumAgprs: 0
; TotalNumVgprs: 0
; ScratchSize: 0
; MemoryBound: 0
; FloatMode: 240
; IeeeMode: 1
; LDSByteSize: 0 bytes/workgroup (compile time only)
; SGPRBlocks: 0
; VGPRBlocks: 0
; NumSGPRsForWavesPerEU: 4
; NumVGPRsForWavesPerEU: 1
; AccumOffset: 4
; Occupancy: 8
; WaveLimiterHint : 0
; COMPUTE_PGM_RSRC2:SCRATCH_EN: 0
; COMPUTE_PGM_RSRC2:USER_SGPR: 6
; COMPUTE_PGM_RSRC2:TRAP_HANDLER: 0
; COMPUTE_PGM_RSRC2:TGID_X_EN: 1
; COMPUTE_PGM_RSRC2:TGID_Y_EN: 0
; COMPUTE_PGM_RSRC2:TGID_Z_EN: 0
; COMPUTE_PGM_RSRC2:TIDIG_COMP_CNT: 0
; COMPUTE_PGM_RSRC3_GFX90A:ACCUM_OFFSET: 0
; COMPUTE_PGM_RSRC3_GFX90A:TG_SPLIT: 0
	.section	.text._ZN7rocprim17ROCPRIM_400000_NS6detail17trampoline_kernelINS0_14default_configENS1_20scan_config_selectorItEEZZNS1_9scan_implILNS1_25lookback_scan_determinismE0ELb1ELb1ES3_N6thrust23THRUST_200600_302600_NS6detail15normal_iteratorINS9_10device_ptrItEEEENS9_16discard_iteratorINS9_11use_defaultEEEtNS9_4plusIvEEtEEDaPvRmT3_T4_T5_mT6_P12ihipStream_tbENKUlT_T0_E_clISt17integral_constantIbLb1EESW_IbLb0EEEEDaSS_ST_EUlSS_E_NS1_11comp_targetILNS1_3genE4ELNS1_11target_archE910ELNS1_3gpuE8ELNS1_3repE0EEENS1_30default_config_static_selectorELNS0_4arch9wavefront6targetE1EEEvT1_,"axG",@progbits,_ZN7rocprim17ROCPRIM_400000_NS6detail17trampoline_kernelINS0_14default_configENS1_20scan_config_selectorItEEZZNS1_9scan_implILNS1_25lookback_scan_determinismE0ELb1ELb1ES3_N6thrust23THRUST_200600_302600_NS6detail15normal_iteratorINS9_10device_ptrItEEEENS9_16discard_iteratorINS9_11use_defaultEEEtNS9_4plusIvEEtEEDaPvRmT3_T4_T5_mT6_P12ihipStream_tbENKUlT_T0_E_clISt17integral_constantIbLb1EESW_IbLb0EEEEDaSS_ST_EUlSS_E_NS1_11comp_targetILNS1_3genE4ELNS1_11target_archE910ELNS1_3gpuE8ELNS1_3repE0EEENS1_30default_config_static_selectorELNS0_4arch9wavefront6targetE1EEEvT1_,comdat
	.protected	_ZN7rocprim17ROCPRIM_400000_NS6detail17trampoline_kernelINS0_14default_configENS1_20scan_config_selectorItEEZZNS1_9scan_implILNS1_25lookback_scan_determinismE0ELb1ELb1ES3_N6thrust23THRUST_200600_302600_NS6detail15normal_iteratorINS9_10device_ptrItEEEENS9_16discard_iteratorINS9_11use_defaultEEEtNS9_4plusIvEEtEEDaPvRmT3_T4_T5_mT6_P12ihipStream_tbENKUlT_T0_E_clISt17integral_constantIbLb1EESW_IbLb0EEEEDaSS_ST_EUlSS_E_NS1_11comp_targetILNS1_3genE4ELNS1_11target_archE910ELNS1_3gpuE8ELNS1_3repE0EEENS1_30default_config_static_selectorELNS0_4arch9wavefront6targetE1EEEvT1_ ; -- Begin function _ZN7rocprim17ROCPRIM_400000_NS6detail17trampoline_kernelINS0_14default_configENS1_20scan_config_selectorItEEZZNS1_9scan_implILNS1_25lookback_scan_determinismE0ELb1ELb1ES3_N6thrust23THRUST_200600_302600_NS6detail15normal_iteratorINS9_10device_ptrItEEEENS9_16discard_iteratorINS9_11use_defaultEEEtNS9_4plusIvEEtEEDaPvRmT3_T4_T5_mT6_P12ihipStream_tbENKUlT_T0_E_clISt17integral_constantIbLb1EESW_IbLb0EEEEDaSS_ST_EUlSS_E_NS1_11comp_targetILNS1_3genE4ELNS1_11target_archE910ELNS1_3gpuE8ELNS1_3repE0EEENS1_30default_config_static_selectorELNS0_4arch9wavefront6targetE1EEEvT1_
	.globl	_ZN7rocprim17ROCPRIM_400000_NS6detail17trampoline_kernelINS0_14default_configENS1_20scan_config_selectorItEEZZNS1_9scan_implILNS1_25lookback_scan_determinismE0ELb1ELb1ES3_N6thrust23THRUST_200600_302600_NS6detail15normal_iteratorINS9_10device_ptrItEEEENS9_16discard_iteratorINS9_11use_defaultEEEtNS9_4plusIvEEtEEDaPvRmT3_T4_T5_mT6_P12ihipStream_tbENKUlT_T0_E_clISt17integral_constantIbLb1EESW_IbLb0EEEEDaSS_ST_EUlSS_E_NS1_11comp_targetILNS1_3genE4ELNS1_11target_archE910ELNS1_3gpuE8ELNS1_3repE0EEENS1_30default_config_static_selectorELNS0_4arch9wavefront6targetE1EEEvT1_
	.p2align	8
	.type	_ZN7rocprim17ROCPRIM_400000_NS6detail17trampoline_kernelINS0_14default_configENS1_20scan_config_selectorItEEZZNS1_9scan_implILNS1_25lookback_scan_determinismE0ELb1ELb1ES3_N6thrust23THRUST_200600_302600_NS6detail15normal_iteratorINS9_10device_ptrItEEEENS9_16discard_iteratorINS9_11use_defaultEEEtNS9_4plusIvEEtEEDaPvRmT3_T4_T5_mT6_P12ihipStream_tbENKUlT_T0_E_clISt17integral_constantIbLb1EESW_IbLb0EEEEDaSS_ST_EUlSS_E_NS1_11comp_targetILNS1_3genE4ELNS1_11target_archE910ELNS1_3gpuE8ELNS1_3repE0EEENS1_30default_config_static_selectorELNS0_4arch9wavefront6targetE1EEEvT1_,@function
_ZN7rocprim17ROCPRIM_400000_NS6detail17trampoline_kernelINS0_14default_configENS1_20scan_config_selectorItEEZZNS1_9scan_implILNS1_25lookback_scan_determinismE0ELb1ELb1ES3_N6thrust23THRUST_200600_302600_NS6detail15normal_iteratorINS9_10device_ptrItEEEENS9_16discard_iteratorINS9_11use_defaultEEEtNS9_4plusIvEEtEEDaPvRmT3_T4_T5_mT6_P12ihipStream_tbENKUlT_T0_E_clISt17integral_constantIbLb1EESW_IbLb0EEEEDaSS_ST_EUlSS_E_NS1_11comp_targetILNS1_3genE4ELNS1_11target_archE910ELNS1_3gpuE8ELNS1_3repE0EEENS1_30default_config_static_selectorELNS0_4arch9wavefront6targetE1EEEvT1_: ; @_ZN7rocprim17ROCPRIM_400000_NS6detail17trampoline_kernelINS0_14default_configENS1_20scan_config_selectorItEEZZNS1_9scan_implILNS1_25lookback_scan_determinismE0ELb1ELb1ES3_N6thrust23THRUST_200600_302600_NS6detail15normal_iteratorINS9_10device_ptrItEEEENS9_16discard_iteratorINS9_11use_defaultEEEtNS9_4plusIvEEtEEDaPvRmT3_T4_T5_mT6_P12ihipStream_tbENKUlT_T0_E_clISt17integral_constantIbLb1EESW_IbLb0EEEEDaSS_ST_EUlSS_E_NS1_11comp_targetILNS1_3genE4ELNS1_11target_archE910ELNS1_3gpuE8ELNS1_3repE0EEENS1_30default_config_static_selectorELNS0_4arch9wavefront6targetE1EEEvT1_
; %bb.0:
	s_load_dwordx4 s[0:3], s[4:5], 0x0
	s_load_dwordx2 s[8:9], s[4:5], 0x20
	s_load_dword s7, s[4:5], 0x38
	s_waitcnt lgkmcnt(0)
	s_lshl_b64 s[2:3], s[2:3], 1
	s_add_u32 s21, s0, s2
	s_addc_u32 s22, s1, s3
	s_add_i32 s2, s7, -1
	s_mul_i32 s3, s2, 0x600
	s_sub_u32 s7, s8, s3
	s_subb_u32 s20, s9, 0
	s_mul_i32 s0, s6, 0x600
	s_mov_b32 s1, 0
	s_cmp_lg_u32 s6, s2
	s_cselect_b64 s[16:17], -1, 0
	s_lshl_b64 s[0:1], s[0:1], 1
	s_add_u32 s0, s21, s0
	s_addc_u32 s1, s22, s1
	s_mov_b64 s[2:3], -1
	s_and_b64 vcc, exec, s[16:17]
	s_cbranch_vccz .LBB5548_2
; %bb.1:
	v_lshlrev_b32_e32 v1, 1, v0
	v_mov_b32_e32 v3, s1
	v_add_co_u32_e32 v2, vcc, s0, v1
	v_addc_co_u32_e32 v3, vcc, 0, v3, vcc
	flat_load_ushort v4, v[2:3]
	flat_load_ushort v5, v[2:3] offset:128
	flat_load_ushort v6, v[2:3] offset:256
	flat_load_ushort v7, v[2:3] offset:384
	flat_load_ushort v8, v[2:3] offset:512
	flat_load_ushort v9, v[2:3] offset:640
	flat_load_ushort v10, v[2:3] offset:768
	flat_load_ushort v11, v[2:3] offset:896
	flat_load_ushort v12, v[2:3] offset:1024
	flat_load_ushort v13, v[2:3] offset:1152
	flat_load_ushort v14, v[2:3] offset:1280
	flat_load_ushort v15, v[2:3] offset:1408
	flat_load_ushort v16, v[2:3] offset:1536
	flat_load_ushort v17, v[2:3] offset:1664
	flat_load_ushort v18, v[2:3] offset:1792
	flat_load_ushort v19, v[2:3] offset:1920
	flat_load_ushort v20, v[2:3] offset:2048
	flat_load_ushort v21, v[2:3] offset:2176
	flat_load_ushort v22, v[2:3] offset:2304
	flat_load_ushort v23, v[2:3] offset:2432
	flat_load_ushort v24, v[2:3] offset:2560
	flat_load_ushort v25, v[2:3] offset:2688
	flat_load_ushort v26, v[2:3] offset:2816
	flat_load_ushort v27, v[2:3] offset:2944
	s_mov_b64 s[2:3], 0
	s_waitcnt vmcnt(0) lgkmcnt(0)
	ds_write_b16 v1, v4
	ds_write_b16 v1, v5 offset:128
	ds_write_b16 v1, v6 offset:256
	;; [unrolled: 1-line block ×23, first 2 shown]
	s_waitcnt lgkmcnt(0)
	; wave barrier
.LBB5548_2:
	s_load_dwordx2 s[18:19], s[4:5], 0x30
	s_andn2_b64 vcc, exec, s[2:3]
	s_cbranch_vccnz .LBB5548_52
; %bb.3:
	v_pk_mov_b32 v[2:3], s[0:1], s[0:1] op_sel:[0,1]
	flat_load_ushort v1, v[2:3]
	v_cmp_gt_u32_e32 vcc, s7, v0
	s_waitcnt vmcnt(0) lgkmcnt(0)
	v_mov_b32_e32 v2, v1
	s_and_saveexec_b64 s[2:3], vcc
	s_cbranch_execz .LBB5548_5
; %bb.4:
	v_lshlrev_b32_e32 v2, 1, v0
	v_mov_b32_e32 v3, s1
	v_add_co_u32_e32 v2, vcc, s0, v2
	v_addc_co_u32_e32 v3, vcc, 0, v3, vcc
	flat_load_ushort v2, v[2:3]
.LBB5548_5:
	s_or_b64 exec, exec, s[2:3]
	v_or_b32_e32 v3, 64, v0
	v_cmp_gt_u32_e32 vcc, s7, v3
	v_mov_b32_e32 v3, v1
	s_and_saveexec_b64 s[2:3], vcc
	s_cbranch_execz .LBB5548_7
; %bb.6:
	v_lshlrev_b32_e32 v3, 1, v0
	v_mov_b32_e32 v5, s1
	v_add_co_u32_e32 v4, vcc, s0, v3
	v_addc_co_u32_e32 v5, vcc, 0, v5, vcc
	flat_load_ushort v3, v[4:5] offset:128
.LBB5548_7:
	s_or_b64 exec, exec, s[2:3]
	v_or_b32_e32 v4, 0x80, v0
	v_cmp_gt_u32_e32 vcc, s7, v4
	v_mov_b32_e32 v4, v1
	s_and_saveexec_b64 s[2:3], vcc
	s_cbranch_execz .LBB5548_9
; %bb.8:
	v_lshlrev_b32_e32 v4, 1, v0
	v_mov_b32_e32 v5, s1
	v_add_co_u32_e32 v4, vcc, s0, v4
	v_addc_co_u32_e32 v5, vcc, 0, v5, vcc
	flat_load_ushort v4, v[4:5] offset:256
.LBB5548_9:
	;; [unrolled: 13-line block ×22, first 2 shown]
	s_or_b64 exec, exec, s[2:3]
	v_or_b32_e32 v25, 0x5c0, v0
	v_cmp_gt_u32_e32 vcc, s7, v25
	s_and_saveexec_b64 s[2:3], vcc
	s_cbranch_execz .LBB5548_51
; %bb.50:
	v_lshlrev_b32_e32 v1, 1, v0
	v_mov_b32_e32 v25, s1
	v_add_co_u32_e32 v26, vcc, s0, v1
	v_addc_co_u32_e32 v27, vcc, 0, v25, vcc
	flat_load_ushort v1, v[26:27] offset:2944
.LBB5548_51:
	s_or_b64 exec, exec, s[2:3]
	v_lshlrev_b32_e32 v25, 1, v0
	s_waitcnt vmcnt(0) lgkmcnt(0)
	ds_write_b16 v25, v2
	ds_write_b16 v25, v3 offset:128
	ds_write_b16 v25, v4 offset:256
	;; [unrolled: 1-line block ×23, first 2 shown]
	s_waitcnt lgkmcnt(0)
	; wave barrier
.LBB5548_52:
	v_mul_u32_u24_e32 v20, 24, v0
	v_lshlrev_b32_e32 v1, 1, v20
	s_waitcnt lgkmcnt(0)
	ds_read_b128 v[10:13], v1
	ds_read_b128 v[6:9], v1 offset:16
	ds_read_b128 v[2:5], v1 offset:32
	s_cmp_lg_u32 s6, 0
	v_mbcnt_lo_u32_b32 v21, -1, 0
	s_waitcnt lgkmcnt(2)
	v_add_u16_sdwa v14, v10, v10 dst_sel:DWORD dst_unused:UNUSED_PAD src0_sel:WORD_1 src1_sel:DWORD
	v_add_u16_e32 v22, v14, v11
	v_cmp_eq_u32_e32 vcc, 63, v0
	s_waitcnt lgkmcnt(0)
	; wave barrier
	s_waitcnt lgkmcnt(0)
	s_cbranch_scc0 .LBB5548_79
; %bb.53:
	v_add_u16_sdwa v14, v22, v11 dst_sel:DWORD dst_unused:UNUSED_PAD src0_sel:DWORD src1_sel:WORD_1
	v_add_u16_e32 v14, v14, v12
	v_add_u16_sdwa v14, v14, v12 dst_sel:DWORD dst_unused:UNUSED_PAD src0_sel:DWORD src1_sel:WORD_1
	v_add_u16_e32 v14, v14, v13
	;; [unrolled: 2-line block ×10, first 2 shown]
	v_mbcnt_hi_u32_b32 v15, -1, v21
	v_add_u16_sdwa v14, v14, v5 dst_sel:DWORD dst_unused:UNUSED_PAD src0_sel:DWORD src1_sel:WORD_1
	v_and_b32_e32 v16, 15, v15
	v_cmp_ne_u32_e64 s[0:1], 0, v16
	v_mov_b32_dpp v17, v14 row_shr:1 row_mask:0xf bank_mask:0xf
	v_cndmask_b32_e64 v17, 0, v17, s[0:1]
	v_add_u16_e32 v14, v17, v14
	v_cmp_lt_u32_e64 s[0:1], 1, v16
	s_nop 0
	v_mov_b32_dpp v17, v14 row_shr:2 row_mask:0xf bank_mask:0xf
	v_cndmask_b32_e64 v17, 0, v17, s[0:1]
	v_add_u16_e32 v14, v14, v17
	v_cmp_lt_u32_e64 s[0:1], 3, v16
	s_nop 0
	;; [unrolled: 5-line block ×3, first 2 shown]
	v_mov_b32_dpp v17, v14 row_shr:8 row_mask:0xf bank_mask:0xf
	v_cndmask_b32_e64 v16, 0, v17, s[0:1]
	v_add_u16_e32 v14, v14, v16
	v_and_b32_e32 v17, 16, v15
	v_cmp_ne_u32_e64 s[0:1], 0, v17
	v_mov_b32_dpp v16, v14 row_bcast:15 row_mask:0xf bank_mask:0xf
	v_cndmask_b32_e64 v16, 0, v16, s[0:1]
	v_add_u16_e32 v14, v14, v16
	v_cmp_lt_u32_e64 s[0:1], 31, v15
	s_nop 0
	v_mov_b32_dpp v16, v14 row_bcast:31 row_mask:0xf bank_mask:0xf
	v_cndmask_b32_e64 v16, 0, v16, s[0:1]
	v_add_u16_e32 v14, v14, v16
	s_and_saveexec_b64 s[0:1], vcc
	s_cbranch_execz .LBB5548_55
; %bb.54:
	v_mov_b32_e32 v16, 0
	ds_write_b16 v16, v14
.LBB5548_55:
	s_or_b64 exec, exec, s[0:1]
	v_add_u32_e32 v16, -1, v15
	v_and_b32_e32 v17, 64, v15
	v_cmp_lt_i32_e32 vcc, v16, v17
	v_cndmask_b32_e32 v16, v16, v15, vcc
	v_lshlrev_b32_e32 v16, 2, v16
	ds_bpermute_b32 v23, v16, v14
	v_cmp_gt_u32_e32 vcc, 64, v0
	s_waitcnt lgkmcnt(0)
	; wave barrier
	s_waitcnt lgkmcnt(0)
	s_and_saveexec_b64 s[10:11], vcc
	s_cbranch_execz .LBB5548_78
; %bb.56:
	v_mov_b32_e32 v19, 0
	ds_read_u16 v24, v19
	s_mov_b32 s9, 0
	v_cmp_eq_u32_e64 s[0:1], 0, v15
	s_and_saveexec_b64 s[2:3], s[0:1]
	s_cbranch_execz .LBB5548_58
; %bb.57:
	s_add_i32 s8, s6, 64
	s_lshl_b64 s[8:9], s[8:9], 2
	s_add_u32 s8, s18, s8
	s_waitcnt lgkmcnt(0)
	v_or_b32_e32 v14, 0x10000, v24
	s_addc_u32 s9, s19, s9
	global_store_dword v19, v14, s[8:9]
.LBB5548_58:
	s_or_b64 exec, exec, s[2:3]
	v_xad_u32 v14, v15, -1, s6
	v_add_u32_e32 v18, 64, v14
	v_lshlrev_b64 v[16:17], 2, v[18:19]
	v_mov_b32_e32 v18, s19
	v_add_co_u32_e32 v16, vcc, s18, v16
	v_addc_co_u32_e32 v17, vcc, v18, v17, vcc
	global_load_dword v18, v[16:17], off glc
	s_waitcnt vmcnt(0)
	v_lshrrev_b32_e32 v28, 16, v18
	v_cmp_eq_u16_sdwa s[8:9], v28, v19 src0_sel:BYTE_0 src1_sel:DWORD
	s_and_saveexec_b64 s[2:3], s[8:9]
	s_cbranch_execz .LBB5548_64
; %bb.59:
	s_mov_b32 s12, 1
	s_mov_b64 s[8:9], 0
	v_mov_b32_e32 v19, 0
.LBB5548_60:                            ; =>This Loop Header: Depth=1
                                        ;     Child Loop BB5548_61 Depth 2
	s_max_u32 s13, s12, 1
.LBB5548_61:                            ;   Parent Loop BB5548_60 Depth=1
                                        ; =>  This Inner Loop Header: Depth=2
	s_add_i32 s13, s13, -1
	s_cmp_eq_u32 s13, 0
	s_sleep 1
	s_cbranch_scc0 .LBB5548_61
; %bb.62:                               ;   in Loop: Header=BB5548_60 Depth=1
	global_load_dword v18, v[16:17], off glc
	s_cmp_lt_u32 s12, 32
	s_cselect_b64 s[14:15], -1, 0
	s_cmp_lg_u64 s[14:15], 0
	s_addc_u32 s12, s12, 0
	s_waitcnt vmcnt(0)
	v_lshrrev_b32_e32 v28, 16, v18
	v_cmp_ne_u16_sdwa s[14:15], v28, v19 src0_sel:BYTE_0 src1_sel:DWORD
	s_or_b64 s[8:9], s[14:15], s[8:9]
	s_andn2_b64 exec, exec, s[8:9]
	s_cbranch_execnz .LBB5548_60
; %bb.63:
	s_or_b64 exec, exec, s[8:9]
.LBB5548_64:
	s_or_b64 exec, exec, s[2:3]
	v_and_b32_e32 v26, 63, v15
	v_cmp_ne_u32_e32 vcc, 63, v26
	v_mov_b32_e32 v25, 2
	v_addc_co_u32_e32 v27, vcc, 0, v15, vcc
	v_cmp_eq_u16_sdwa s[2:3], v28, v25 src0_sel:BYTE_0 src1_sel:DWORD
	v_lshlrev_b64 v[16:17], v15, -1
	v_and_b32_e32 v30, 0xffff, v18
	v_lshlrev_b32_e32 v27, 2, v27
	v_and_b32_e32 v19, s3, v17
	ds_bpermute_b32 v31, v27, v30
	v_or_b32_e32 v19, 0x80000000, v19
	v_and_b32_e32 v29, s2, v16
	v_ffbl_b32_e32 v19, v19
	v_add_u32_e32 v19, 32, v19
	v_ffbl_b32_e32 v29, v29
	v_cmp_gt_u32_e64 s[2:3], 62, v26
	v_min_u32_e32 v19, v29, v19
	v_cndmask_b32_e64 v29, 0, 1, s[2:3]
	s_waitcnt lgkmcnt(0)
	v_add_u16_e32 v31, v31, v18
	v_cmp_lt_u32_e32 vcc, v26, v19
	v_lshlrev_b32_e32 v29, 1, v29
	v_cndmask_b32_e32 v32, v30, v31, vcc
	v_add_lshl_u32 v29, v29, v15, 2
	ds_bpermute_b32 v33, v29, v32
	v_cmp_gt_u32_e64 s[8:9], 60, v26
	v_cndmask_b32_e32 v34, v18, v31, vcc
	v_add_u32_e32 v30, 2, v26
	v_cndmask_b32_e64 v31, 0, 1, s[8:9]
	s_waitcnt lgkmcnt(0)
	v_add_u16_e32 v33, v34, v33
	v_cmp_gt_u32_e64 s[2:3], v30, v19
	v_lshlrev_b32_e32 v31, 2, v31
	v_cndmask_b32_e64 v35, v33, v32, s[2:3]
	v_add_lshl_u32 v31, v31, v15, 2
	ds_bpermute_b32 v36, v31, v35
	v_cmp_gt_u32_e64 s[8:9], 56, v26
	v_cndmask_b32_e64 v34, v33, v34, s[2:3]
	v_add_u32_e32 v32, 4, v26
	v_cndmask_b32_e64 v33, 0, 1, s[8:9]
	s_waitcnt lgkmcnt(0)
	v_add_u16_e32 v36, v34, v36
	v_cmp_gt_u32_e64 s[2:3], v32, v19
	v_lshlrev_b32_e32 v33, 3, v33
	v_cndmask_b32_e64 v35, v36, v35, s[2:3]
	v_add_lshl_u32 v33, v33, v15, 2
	ds_bpermute_b32 v37, v33, v35
	v_cndmask_b32_e64 v36, v36, v34, s[2:3]
	v_add_u32_e32 v34, 8, v26
	v_cmp_gt_u32_e64 s[2:3], v34, v19
	v_cmp_gt_u32_e64 s[8:9], 48, v26
	s_waitcnt lgkmcnt(0)
	v_add_u16_e32 v37, v36, v37
	v_cndmask_b32_e64 v38, v37, v35, s[2:3]
	v_cndmask_b32_e64 v35, 0, 1, s[8:9]
	v_lshlrev_b32_e32 v35, 4, v35
	v_add_lshl_u32 v35, v35, v15, 2
	ds_bpermute_b32 v39, v35, v38
	v_cndmask_b32_e64 v37, v37, v36, s[2:3]
	v_add_u32_e32 v36, 16, v26
	v_cmp_gt_u32_e64 s[2:3], v36, v19
	v_cmp_gt_u32_e64 s[8:9], 32, v26
	s_waitcnt lgkmcnt(0)
	v_add_u16_e32 v40, v37, v39
	v_cndmask_b32_e64 v39, v40, v38, s[2:3]
	v_cndmask_b32_e64 v38, 0, 1, s[8:9]
	v_lshlrev_b32_e32 v38, 5, v38
	v_add_lshl_u32 v38, v38, v15, 2
	ds_bpermute_b32 v15, v38, v39
	v_add_u32_e32 v39, 32, v26
	v_cndmask_b32_e64 v37, v40, v37, s[2:3]
	v_cmp_le_u32_e64 s[2:3], v39, v19
	s_waitcnt lgkmcnt(0)
	v_cndmask_b32_e64 v15, 0, v15, s[2:3]
	v_add_u16_e32 v15, v37, v15
	v_cndmask_b32_e32 v18, v18, v15, vcc
	v_mov_b32_e32 v15, 0
	s_branch .LBB5548_66
.LBB5548_65:                            ;   in Loop: Header=BB5548_66 Depth=1
	s_or_b64 exec, exec, s[2:3]
	v_cmp_eq_u16_sdwa s[2:3], v28, v25 src0_sel:BYTE_0 src1_sel:DWORD
	v_and_b32_e32 v41, 0xffff, v40
	v_and_b32_e32 v18, s3, v17
	ds_bpermute_b32 v42, v27, v41
	v_or_b32_e32 v18, 0x80000000, v18
	v_and_b32_e32 v19, s2, v16
	v_ffbl_b32_e32 v18, v18
	v_add_u32_e32 v18, 32, v18
	v_ffbl_b32_e32 v19, v19
	v_min_u32_e32 v18, v19, v18
	s_waitcnt lgkmcnt(0)
	v_add_u16_e32 v19, v42, v40
	v_cmp_lt_u32_e32 vcc, v26, v18
	v_cndmask_b32_e32 v41, v41, v19, vcc
	ds_bpermute_b32 v42, v29, v41
	v_cndmask_b32_e32 v19, v40, v19, vcc
	v_cmp_gt_u32_e64 s[2:3], v30, v18
	v_subrev_u32_e32 v14, 64, v14
	s_waitcnt lgkmcnt(0)
	v_add_u16_e32 v42, v19, v42
	v_cndmask_b32_e64 v41, v42, v41, s[2:3]
	ds_bpermute_b32 v43, v31, v41
	v_cndmask_b32_e64 v19, v42, v19, s[2:3]
	v_cmp_gt_u32_e64 s[2:3], v32, v18
	s_waitcnt lgkmcnt(0)
	v_add_u16_e32 v42, v19, v43
	v_cndmask_b32_e64 v41, v42, v41, s[2:3]
	ds_bpermute_b32 v43, v33, v41
	v_cndmask_b32_e64 v19, v42, v19, s[2:3]
	v_cmp_gt_u32_e64 s[2:3], v34, v18
	;; [unrolled: 6-line block ×3, first 2 shown]
	s_waitcnt lgkmcnt(0)
	v_add_u16_e32 v42, v19, v43
	v_cndmask_b32_e64 v41, v42, v41, s[2:3]
	ds_bpermute_b32 v41, v38, v41
	v_cndmask_b32_e64 v19, v42, v19, s[2:3]
	v_cmp_le_u32_e64 s[2:3], v39, v18
	s_waitcnt lgkmcnt(0)
	v_cndmask_b32_e64 v18, 0, v41, s[2:3]
	v_add_u16_e32 v18, v19, v18
	v_cndmask_b32_e32 v18, v40, v18, vcc
	v_add_u16_e32 v18, v18, v37
.LBB5548_66:                            ; =>This Loop Header: Depth=1
                                        ;     Child Loop BB5548_69 Depth 2
                                        ;       Child Loop BB5548_70 Depth 3
	v_cmp_ne_u16_sdwa s[2:3], v28, v25 src0_sel:BYTE_0 src1_sel:DWORD
	v_cndmask_b32_e64 v19, 0, 1, s[2:3]
	;;#ASMSTART
	;;#ASMEND
	v_cmp_ne_u32_e32 vcc, 0, v19
	s_cmp_lg_u64 vcc, exec
	v_mov_b32_e32 v37, v18
	s_cbranch_scc1 .LBB5548_73
; %bb.67:                               ;   in Loop: Header=BB5548_66 Depth=1
	v_lshlrev_b64 v[18:19], 2, v[14:15]
	v_mov_b32_e32 v28, s19
	v_add_co_u32_e32 v18, vcc, s18, v18
	v_addc_co_u32_e32 v19, vcc, v28, v19, vcc
	global_load_dword v40, v[18:19], off glc
	s_waitcnt vmcnt(0)
	v_lshrrev_b32_e32 v28, 16, v40
	v_cmp_eq_u16_sdwa s[8:9], v28, v15 src0_sel:BYTE_0 src1_sel:DWORD
	s_and_saveexec_b64 s[2:3], s[8:9]
	s_cbranch_execz .LBB5548_65
; %bb.68:                               ;   in Loop: Header=BB5548_66 Depth=1
	s_mov_b32 s12, 1
	s_mov_b64 s[8:9], 0
.LBB5548_69:                            ;   Parent Loop BB5548_66 Depth=1
                                        ; =>  This Loop Header: Depth=2
                                        ;       Child Loop BB5548_70 Depth 3
	s_max_u32 s13, s12, 1
.LBB5548_70:                            ;   Parent Loop BB5548_66 Depth=1
                                        ;     Parent Loop BB5548_69 Depth=2
                                        ; =>    This Inner Loop Header: Depth=3
	s_add_i32 s13, s13, -1
	s_cmp_eq_u32 s13, 0
	s_sleep 1
	s_cbranch_scc0 .LBB5548_70
; %bb.71:                               ;   in Loop: Header=BB5548_69 Depth=2
	global_load_dword v40, v[18:19], off glc
	s_cmp_lt_u32 s12, 32
	s_cselect_b64 s[14:15], -1, 0
	s_cmp_lg_u64 s[14:15], 0
	s_addc_u32 s12, s12, 0
	s_waitcnt vmcnt(0)
	v_lshrrev_b32_e32 v28, 16, v40
	v_cmp_ne_u16_sdwa s[14:15], v28, v15 src0_sel:BYTE_0 src1_sel:DWORD
	s_or_b64 s[8:9], s[14:15], s[8:9]
	s_andn2_b64 exec, exec, s[8:9]
	s_cbranch_execnz .LBB5548_69
; %bb.72:                               ;   in Loop: Header=BB5548_66 Depth=1
	s_or_b64 exec, exec, s[8:9]
	s_branch .LBB5548_65
.LBB5548_73:                            ;   in Loop: Header=BB5548_66 Depth=1
                                        ; implicit-def: $vgpr18
                                        ; implicit-def: $vgpr28
	s_cbranch_execz .LBB5548_66
; %bb.74:
	s_and_saveexec_b64 s[2:3], s[0:1]
	s_cbranch_execz .LBB5548_76
; %bb.75:
	s_add_i32 s0, s6, 64
	s_mov_b32 s1, 0
	s_lshl_b64 s[0:1], s[0:1], 2
	v_add_u16_e32 v14, v37, v24
	s_add_u32 s0, s18, s0
	v_or_b32_e32 v14, 0x20000, v14
	s_addc_u32 s1, s19, s1
	v_mov_b32_e32 v15, 0
	global_store_dword v15, v14, s[0:1]
.LBB5548_76:
	s_or_b64 exec, exec, s[2:3]
	v_cmp_eq_u32_e32 vcc, 0, v0
	s_and_b64 exec, exec, vcc
	s_cbranch_execz .LBB5548_78
; %bb.77:
	v_mov_b32_e32 v14, 0
	ds_write_b16 v14, v37
.LBB5548_78:
	s_or_b64 exec, exec, s[10:11]
	v_mov_b32_e32 v14, 0
	s_waitcnt lgkmcnt(0)
	; wave barrier
	s_waitcnt lgkmcnt(0)
	ds_read_u16 v14, v14
	v_cmp_ne_u32_e32 vcc, 0, v0
	v_cndmask_b32_e32 v15, 0, v23, vcc
	s_waitcnt lgkmcnt(0)
	v_add_u16_e32 v15, v14, v15
	s_load_dwordx8 s[8:15], s[4:5], 0x40
	s_branch .LBB5548_87
.LBB5548_79:
                                        ; implicit-def: $vgpr15
	s_load_dwordx8 s[8:15], s[4:5], 0x40
	s_cbranch_execz .LBB5548_87
; %bb.80:
	s_load_dword s0, s[4:5], 0x28
	s_waitcnt lgkmcnt(0)
	s_cmp_eq_u64 s[12:13], 0
	v_mov_b32_e32 v14, s0
	s_cbranch_scc1 .LBB5548_82
; %bb.81:
	v_mov_b32_e32 v15, s22
	v_add_co_u32_e64 v14, vcc, -2, s21
	v_addc_co_u32_e32 v15, vcc, -1, v15, vcc
	v_mov_b32_e32 v16, 0
	flat_load_ushort v17, v[14:15]
	global_load_ushort v18, v16, s[8:9]
	s_waitcnt vmcnt(0) lgkmcnt(0)
	v_add_u16_e32 v14, v18, v17
.LBB5548_82:
	v_add_u16_sdwa v15, v22, v11 dst_sel:DWORD dst_unused:UNUSED_PAD src0_sel:DWORD src1_sel:WORD_1
	v_add_u16_e32 v15, v15, v12
	v_add_u16_sdwa v15, v15, v12 dst_sel:DWORD dst_unused:UNUSED_PAD src0_sel:DWORD src1_sel:WORD_1
	v_add_u16_e32 v15, v15, v13
	;; [unrolled: 2-line block ×10, first 2 shown]
	v_add_u16_sdwa v16, v15, v5 dst_sel:DWORD dst_unused:UNUSED_PAD src0_sel:DWORD src1_sel:WORD_1
	v_mbcnt_hi_u32_b32 v15, -1, v21
	v_and_b32_e32 v17, 15, v15
	v_mov_b32_dpp v18, v16 row_shr:1 row_mask:0xf bank_mask:0xf
	v_cmp_ne_u32_e32 vcc, 0, v17
	v_cndmask_b32_e32 v18, 0, v18, vcc
	v_add_u16_e32 v16, v18, v16
	v_cmp_lt_u32_e32 vcc, 1, v17
	s_nop 0
	v_mov_b32_dpp v18, v16 row_shr:2 row_mask:0xf bank_mask:0xf
	v_cndmask_b32_e32 v18, 0, v18, vcc
	v_add_u16_e32 v16, v16, v18
	v_cmp_lt_u32_e32 vcc, 3, v17
	s_nop 0
	v_mov_b32_dpp v18, v16 row_shr:4 row_mask:0xf bank_mask:0xf
	;; [unrolled: 5-line block ×3, first 2 shown]
	v_cndmask_b32_e32 v17, 0, v18, vcc
	v_add_u16_e32 v16, v16, v17
	v_and_b32_e32 v18, 16, v15
	v_cmp_ne_u32_e32 vcc, 0, v18
	v_mov_b32_dpp v17, v16 row_bcast:15 row_mask:0xf bank_mask:0xf
	v_cndmask_b32_e32 v17, 0, v17, vcc
	v_add_u16_e32 v16, v16, v17
	v_cmp_lt_u32_e32 vcc, 31, v15
	s_nop 0
	v_mov_b32_dpp v17, v16 row_bcast:31 row_mask:0xf bank_mask:0xf
	v_cndmask_b32_e32 v17, 0, v17, vcc
	v_add_u16_e32 v16, v16, v17
	v_cmp_eq_u32_e32 vcc, 63, v0
	s_and_saveexec_b64 s[0:1], vcc
	s_cbranch_execz .LBB5548_84
; %bb.83:
	v_mov_b32_e32 v17, 0
	ds_write_b16 v17, v16
.LBB5548_84:
	s_or_b64 exec, exec, s[0:1]
	v_add_u32_e32 v17, -1, v15
	v_and_b32_e32 v18, 64, v15
	v_cmp_lt_i32_e32 vcc, v17, v18
	v_cndmask_b32_e32 v17, v17, v15, vcc
	v_add_u16_e32 v16, v16, v14
	v_lshlrev_b32_e32 v17, 2, v17
	ds_bpermute_b32 v16, v17, v16
	v_cmp_eq_u32_e32 vcc, 0, v15
	v_cmp_eq_u32_e64 s[0:1], 0, v0
	s_or_b64 vcc, s[0:1], vcc
	s_waitcnt lgkmcnt(0)
	v_cndmask_b32_e32 v15, v16, v14, vcc
	; wave barrier
	s_and_saveexec_b64 s[2:3], s[0:1]
	s_cbranch_execz .LBB5548_86
; %bb.85:
	v_mov_b32_e32 v15, 0
	ds_read_u16 v16, v15
	s_waitcnt lgkmcnt(0)
	v_add_u16_e32 v16, v16, v14
	v_or_b32_e32 v16, 0x20000, v16
	global_store_dword v15, v16, s[18:19] offset:256
	v_mov_b32_e32 v15, v14
.LBB5548_86:
	s_or_b64 exec, exec, s[2:3]
.LBB5548_87:
	v_add_u16_e32 v14, v15, v10
	v_add_u16_sdwa v10, v14, v10 dst_sel:DWORD dst_unused:UNUSED_PAD src0_sel:DWORD src1_sel:WORD_1
	v_add_u16_e32 v16, v10, v11
	v_add_u16_sdwa v11, v16, v11 dst_sel:DWORD dst_unused:UNUSED_PAD src0_sel:DWORD src1_sel:WORD_1
	;; [unrolled: 2-line block ×11, first 2 shown]
	s_mov_b32 s0, 0x5040100
	v_add_u16_e32 v30, v29, v5
	v_perm_b32 v3, v16, v10, s0
	v_perm_b32 v4, v17, v11, s0
	;; [unrolled: 1-line block ×4, first 2 shown]
	s_waitcnt lgkmcnt(0)
	; wave barrier
	s_waitcnt lgkmcnt(0)
	ds_write_b128 v1, v[2:5]
	v_perm_b32 v2, v19, v13, s0
	v_perm_b32 v3, v21, v6, s0
	;; [unrolled: 1-line block ×4, first 2 shown]
	ds_write_b128 v1, v[2:5] offset:16
	v_perm_b32 v2, v24, v9, s0
	v_perm_b32 v3, v26, v25, s0
	;; [unrolled: 1-line block ×4, first 2 shown]
	s_mov_b64 s[0:1], -1
	s_and_b64 vcc, exec, s[16:17]
	ds_write_b128 v1, v[2:5] offset:32
	s_waitcnt lgkmcnt(0)
	s_cbranch_vccz .LBB5548_89
; %bb.88:
	; wave barrier
	s_mov_b64 s[0:1], 0
.LBB5548_89:
	s_andn2_b64 vcc, exec, s[0:1]
	s_cbranch_vccnz .LBB5548_98
; %bb.90:
	v_cmp_lt_u64_e64 s[0:1], s[14:15], 2
	s_and_b64 vcc, exec, s[0:1]
	; wave barrier
	s_cbranch_vccnz .LBB5548_98
; %bb.91:
	s_add_u32 s0, s7, -1
	s_addc_u32 s1, s20, -1
	s_add_u32 s2, 0, 0xaaaa0000
	s_addc_u32 s3, 0, 42
	s_add_i32 s3, s3, 0xaaaaa80
	s_mul_hi_u32 s7, s2, 0xffffffe8
	s_sub_i32 s7, s7, s2
	s_mul_i32 s8, s3, 0xffffffe8
	s_mul_i32 s4, s2, 0xffffffe8
	s_add_i32 s7, s7, s8
	s_mul_hi_u32 s5, s3, s4
	s_mul_i32 s6, s3, s4
	s_mul_i32 s9, s2, s7
	s_mul_hi_u32 s4, s2, s4
	s_mul_hi_u32 s8, s2, s7
	s_add_u32 s4, s4, s9
	s_addc_u32 s8, 0, s8
	s_add_u32 s4, s4, s6
	s_mul_hi_u32 s9, s3, s7
	s_addc_u32 s4, s8, s5
	s_addc_u32 s5, s9, 0
	s_mul_i32 s6, s3, s7
	s_add_u32 s4, s4, s6
	v_mov_b32_e32 v2, s4
	s_addc_u32 s5, 0, s5
	v_add_co_u32_e32 v2, vcc, s2, v2
	s_cmp_lg_u64 vcc, 0
	s_addc_u32 s2, s3, s5
	v_readfirstlane_b32 s5, v2
	s_mul_i32 s4, s0, s2
	s_mul_hi_u32 s6, s0, s5
	s_mul_hi_u32 s3, s0, s2
	s_add_u32 s4, s6, s4
	s_addc_u32 s3, 0, s3
	s_mul_hi_u32 s7, s1, s5
	s_mul_i32 s5, s1, s5
	s_add_u32 s4, s4, s5
	s_mul_hi_u32 s6, s1, s2
	s_addc_u32 s3, s3, s7
	s_addc_u32 s4, s6, 0
	s_mul_i32 s2, s1, s2
	s_add_u32 s2, s3, s2
	s_addc_u32 s3, 0, s4
	s_add_u32 s4, s2, 1
	s_addc_u32 s5, s3, 0
	s_add_u32 s6, s2, 2
	s_mul_i32 s8, s3, 24
	s_mul_hi_u32 s9, s2, 24
	s_addc_u32 s7, s3, 0
	s_add_i32 s9, s9, s8
	s_mul_i32 s8, s2, 24
	v_mov_b32_e32 v2, s8
	v_sub_co_u32_e32 v2, vcc, s0, v2
	s_cmp_lg_u64 vcc, 0
	s_subb_u32 s8, s1, s9
	v_subrev_co_u32_e32 v3, vcc, 24, v2
	s_cmp_lg_u64 vcc, 0
	s_subb_u32 s9, s8, 0
	v_readfirstlane_b32 s12, v3
	s_cmp_gt_u32 s12, 23
	s_cselect_b32 s12, -1, 0
	s_cmp_eq_u32 s9, 0
	s_cselect_b32 s9, s12, -1
	s_cmp_lg_u32 s9, 0
	s_cselect_b32 s4, s6, s4
	v_readfirstlane_b32 s6, v2
	s_cselect_b32 s5, s7, s5
	s_cmp_gt_u32 s6, 23
	s_cselect_b32 s6, -1, 0
	s_cmp_eq_u32 s8, 0
	s_cselect_b32 s6, s6, -1
	s_cmp_lg_u32 s6, 0
	v_mov_b32_e32 v1, 0
	s_cselect_b32 s3, s5, s3
	s_cselect_b32 s2, s4, s2
	v_cmp_eq_u64_e32 vcc, s[2:3], v[0:1]
	s_and_saveexec_b64 s[2:3], vcc
	s_cbranch_execz .LBB5548_98
; %bb.92:
	v_lshlrev_b32_e32 v2, 1, v0
	v_mul_hi_u32_u24_e32 v1, 24, v0
	v_mov_b32_e32 v3, s1
	v_sub_co_u32_e32 v0, vcc, s0, v20
	v_subb_co_u32_e32 v1, vcc, v3, v1, vcc
	v_cmp_lt_i64_e32 vcc, 11, v[0:1]
	s_mov_b64 s[0:1], 0
	s_mov_b64 s[8:9], 0
	;; [unrolled: 1-line block ×4, first 2 shown]
                                        ; implicit-def: $vgpr3
                                        ; implicit-def: $vgpr4
                                        ; implicit-def: $vgpr5
	s_and_saveexec_b64 s[2:3], vcc
	s_xor_b64 s[2:3], exec, s[2:3]
	s_cbranch_execnz .LBB5548_99
; %bb.93:
	s_andn2_saveexec_b64 s[2:3], s[2:3]
	s_cbranch_execnz .LBB5548_144
.LBB5548_94:
	s_or_b64 exec, exec, s[2:3]
	s_and_saveexec_b64 s[2:3], s[8:9]
	s_cbranch_execnz .LBB5548_161
.LBB5548_95:
	s_or_b64 exec, exec, s[2:3]
	s_and_saveexec_b64 s[2:3], s[6:7]
	s_cbranch_execnz .LBB5548_162
.LBB5548_96:
	s_or_b64 exec, exec, s[2:3]
	s_and_saveexec_b64 s[2:3], s[4:5]
	s_xor_b64 s[2:3], exec, s[2:3]
	s_cbranch_execnz .LBB5548_163
.LBB5548_97:
	s_or_b64 exec, exec, s[2:3]
	s_and_b64 exec, exec, s[0:1]
	s_cbranch_execnz .LBB5548_164
.LBB5548_98:
	s_endpgm
.LBB5548_99:
	v_cmp_lt_i64_e32 vcc, 17, v[0:1]
                                        ; implicit-def: $vgpr3
                                        ; implicit-def: $vgpr4
                                        ; implicit-def: $vgpr5
	s_and_saveexec_b64 s[12:13], vcc
	s_xor_b64 s[12:13], exec, s[12:13]
	s_cbranch_execz .LBB5548_121
; %bb.100:
	v_cmp_lt_i64_e32 vcc, 20, v[0:1]
                                        ; implicit-def: $vgpr3
                                        ; implicit-def: $vgpr4
	s_and_saveexec_b64 s[14:15], vcc
	s_xor_b64 s[14:15], exec, s[14:15]
	s_cbranch_execz .LBB5548_110
; %bb.101:
	v_cmp_lt_i64_e32 vcc, 21, v[0:1]
	s_mov_b64 s[16:17], 0
                                        ; implicit-def: $vgpr3
	s_and_saveexec_b64 s[4:5], vcc
	s_xor_b64 s[4:5], exec, s[4:5]
	s_cbranch_execz .LBB5548_107
; %bb.102:
	v_cmp_lt_i64_e32 vcc, 22, v[0:1]
	s_and_saveexec_b64 s[16:17], vcc
	s_xor_b64 s[16:17], exec, s[16:17]
	s_cbranch_execz .LBB5548_104
; %bb.103:
	ds_read_u16 v3, v2 offset:2944
	v_mov_b32_e32 v4, 0
	s_waitcnt lgkmcnt(0)
	global_store_short v4, v3, s[10:11]
.LBB5548_104:
	s_or_saveexec_b64 s[16:17], s[16:17]
	s_mov_b64 s[18:19], 0
                                        ; implicit-def: $vgpr3
	s_xor_b64 exec, exec, s[16:17]
	s_cbranch_execz .LBB5548_106
; %bb.105:
	ds_read_u16 v3, v2 offset:2816
	s_mov_b64 s[18:19], exec
.LBB5548_106:
	s_or_b64 exec, exec, s[16:17]
	s_and_b64 s[16:17], s[18:19], exec
.LBB5548_107:
	s_or_saveexec_b64 s[4:5], s[4:5]
                                        ; implicit-def: $vgpr4
	s_xor_b64 exec, exec, s[4:5]
	s_cbranch_execz .LBB5548_109
; %bb.108:
	ds_read_u16 v4, v2 offset:2688
	s_mov_b64 s[6:7], exec
                                        ; implicit-def: $vgpr3
.LBB5548_109:
	s_or_b64 exec, exec, s[4:5]
	s_and_b64 s[4:5], s[16:17], exec
	s_and_b64 s[6:7], s[6:7], exec
.LBB5548_110:
	s_or_saveexec_b64 s[14:15], s[14:15]
                                        ; implicit-def: $vgpr5
	s_xor_b64 exec, exec, s[14:15]
	s_cbranch_execz .LBB5548_120
; %bb.111:
	v_cmp_lt_i64_e32 vcc, 18, v[0:1]
	s_mov_b64 s[16:17], 0
                                        ; implicit-def: $vgpr5
	s_and_saveexec_b64 s[8:9], vcc
	s_xor_b64 s[8:9], exec, s[8:9]
	s_cbranch_execz .LBB5548_117
; %bb.112:
	v_cmp_lt_i64_e32 vcc, 19, v[0:1]
                                        ; implicit-def: $vgpr5
	s_and_saveexec_b64 s[18:19], vcc
	s_xor_b64 s[18:19], exec, s[18:19]
	s_cbranch_execz .LBB5548_114
; %bb.113:
	ds_read_u16 v5, v2 offset:2560
	s_mov_b64 s[16:17], exec
.LBB5548_114:
	s_andn2_saveexec_b64 s[18:19], s[18:19]
	s_cbranch_execz .LBB5548_116
; %bb.115:
	s_waitcnt lgkmcnt(0)
	ds_read_u16 v3, v2 offset:2432
	v_mov_b32_e32 v4, 0
                                        ; implicit-def: $vgpr5
	s_waitcnt lgkmcnt(0)
	global_store_short v4, v3, s[10:11]
.LBB5548_116:
	s_or_b64 exec, exec, s[18:19]
	s_and_b64 s[16:17], s[16:17], exec
.LBB5548_117:
	s_andn2_saveexec_b64 s[8:9], s[8:9]
	s_cbranch_execz .LBB5548_119
; %bb.118:
	s_waitcnt lgkmcnt(0)
	ds_read_u16 v3, v2 offset:2304
	v_mov_b32_e32 v4, 0
                                        ; implicit-def: $vgpr5
	s_waitcnt lgkmcnt(0)
	global_store_short v4, v3, s[10:11]
.LBB5548_119:
	s_or_b64 exec, exec, s[8:9]
	s_and_b64 s[8:9], s[16:17], exec
                                        ; implicit-def: $vgpr3
                                        ; implicit-def: $vgpr4
.LBB5548_120:
	s_or_b64 exec, exec, s[14:15]
	s_and_b64 s[4:5], s[4:5], exec
	s_and_b64 s[6:7], s[6:7], exec
	;; [unrolled: 1-line block ×3, first 2 shown]
.LBB5548_121:
	s_andn2_saveexec_b64 s[12:13], s[12:13]
	s_cbranch_execz .LBB5548_143
; %bb.122:
	v_cmp_lt_i64_e32 vcc, 14, v[0:1]
	s_mov_b64 s[14:15], s[4:5]
                                        ; implicit-def: $vgpr3
	s_and_saveexec_b64 s[16:17], vcc
	s_xor_b64 s[16:17], exec, s[16:17]
	s_cbranch_execz .LBB5548_132
; %bb.123:
	v_cmp_lt_i64_e32 vcc, 15, v[0:1]
	s_and_saveexec_b64 s[14:15], vcc
	s_xor_b64 s[14:15], exec, s[14:15]
	s_cbranch_execz .LBB5548_129
; %bb.124:
	v_cmp_lt_i64_e32 vcc, 16, v[0:1]
	s_and_saveexec_b64 s[18:19], vcc
	s_xor_b64 s[18:19], exec, s[18:19]
	s_cbranch_execz .LBB5548_126
; %bb.125:
	s_waitcnt lgkmcnt(0)
	ds_read_u16 v3, v2 offset:2176
	v_mov_b32_e32 v4, 0
	s_waitcnt lgkmcnt(0)
	global_store_short v4, v3, s[10:11]
.LBB5548_126:
	s_andn2_saveexec_b64 s[18:19], s[18:19]
	s_cbranch_execz .LBB5548_128
; %bb.127:
	s_waitcnt lgkmcnt(0)
	ds_read_u16 v3, v2 offset:2048
	v_mov_b32_e32 v4, 0
	s_waitcnt lgkmcnt(0)
	global_store_short v4, v3, s[10:11]
.LBB5548_128:
	s_or_b64 exec, exec, s[18:19]
.LBB5548_129:
	s_or_saveexec_b64 s[14:15], s[14:15]
	s_mov_b64 s[18:19], s[4:5]
                                        ; implicit-def: $vgpr3
	s_xor_b64 exec, exec, s[14:15]
	s_cbranch_execz .LBB5548_131
; %bb.130:
	s_waitcnt lgkmcnt(0)
	ds_read_u16 v3, v2 offset:1920
	s_or_b64 s[18:19], s[4:5], exec
.LBB5548_131:
	s_or_b64 exec, exec, s[14:15]
	s_andn2_b64 s[14:15], s[4:5], exec
	s_and_b64 s[18:19], s[18:19], exec
	s_or_b64 s[14:15], s[14:15], s[18:19]
.LBB5548_132:
	s_or_saveexec_b64 s[16:17], s[16:17]
	s_mov_b64 s[18:19], s[6:7]
                                        ; implicit-def: $vgpr4
	s_xor_b64 exec, exec, s[16:17]
	s_cbranch_execz .LBB5548_142
; %bb.133:
	v_cmp_lt_i64_e32 vcc, 12, v[0:1]
	s_mov_b64 s[20:21], s[6:7]
	s_mov_b64 s[22:23], s[14:15]
                                        ; implicit-def: $vgpr3
                                        ; implicit-def: $vgpr4
	s_and_saveexec_b64 s[18:19], vcc
	s_xor_b64 s[18:19], exec, s[18:19]
	s_cbranch_execz .LBB5548_139
; %bb.134:
	v_cmp_lt_i64_e32 vcc, 13, v[0:1]
	s_mov_b64 s[20:21], s[14:15]
                                        ; implicit-def: $vgpr3
	s_and_saveexec_b64 s[22:23], vcc
	s_xor_b64 s[22:23], exec, s[22:23]
	s_cbranch_execz .LBB5548_136
; %bb.135:
	s_waitcnt lgkmcnt(0)
	ds_read_u16 v3, v2 offset:1792
	s_or_b64 s[20:21], s[14:15], exec
.LBB5548_136:
	s_or_saveexec_b64 s[22:23], s[22:23]
	s_mov_b64 s[24:25], s[6:7]
                                        ; implicit-def: $vgpr4
	s_xor_b64 exec, exec, s[22:23]
	s_cbranch_execz .LBB5548_138
; %bb.137:
	s_waitcnt lgkmcnt(0)
	ds_read_u16 v4, v2 offset:1664
	s_or_b64 s[24:25], s[6:7], exec
                                        ; implicit-def: $vgpr3
.LBB5548_138:
	s_or_b64 exec, exec, s[22:23]
	s_andn2_b64 s[22:23], s[14:15], exec
	s_and_b64 s[20:21], s[20:21], exec
	s_or_b64 s[22:23], s[22:23], s[20:21]
	s_andn2_b64 s[20:21], s[6:7], exec
	s_and_b64 s[24:25], s[24:25], exec
	s_or_b64 s[20:21], s[20:21], s[24:25]
.LBB5548_139:
	s_andn2_saveexec_b64 s[18:19], s[18:19]
	s_cbranch_execz .LBB5548_141
; %bb.140:
	s_waitcnt lgkmcnt(0)
	ds_read_u16 v4, v2 offset:1536
	s_or_b64 s[20:21], s[20:21], exec
                                        ; implicit-def: $vgpr3
.LBB5548_141:
	s_or_b64 exec, exec, s[18:19]
	s_andn2_b64 s[14:15], s[14:15], exec
	s_and_b64 s[18:19], s[22:23], exec
	s_or_b64 s[14:15], s[14:15], s[18:19]
	s_andn2_b64 s[18:19], s[6:7], exec
	s_and_b64 s[20:21], s[20:21], exec
	s_or_b64 s[18:19], s[18:19], s[20:21]
.LBB5548_142:
	s_or_b64 exec, exec, s[16:17]
	s_andn2_b64 s[4:5], s[4:5], exec
	s_and_b64 s[14:15], s[14:15], exec
	s_or_b64 s[4:5], s[4:5], s[14:15]
	s_andn2_b64 s[6:7], s[6:7], exec
	s_and_b64 s[14:15], s[18:19], exec
	s_or_b64 s[6:7], s[6:7], s[14:15]
                                        ; implicit-def: $vgpr5
.LBB5548_143:
	s_or_b64 exec, exec, s[12:13]
	s_and_b64 s[4:5], s[4:5], exec
	s_and_b64 s[6:7], s[6:7], exec
	s_and_b64 s[8:9], s[8:9], exec
	s_andn2_saveexec_b64 s[2:3], s[2:3]
	s_cbranch_execz .LBB5548_94
.LBB5548_144:
	v_cmp_lt_i64_e32 vcc, 5, v[0:1]
	s_mov_b64 s[14:15], -1
	s_mov_b64 s[12:13], s[8:9]
	s_mov_b64 s[16:17], s[6:7]
	s_mov_b64 s[18:19], s[4:5]
                                        ; implicit-def: $vgpr3
                                        ; implicit-def: $vgpr4
                                        ; implicit-def: $vgpr5
	s_and_saveexec_b64 s[0:1], vcc
	s_cbranch_execz .LBB5548_160
; %bb.145:
	v_cmp_lt_i64_e32 vcc, 8, v[0:1]
	s_mov_b64 s[12:13], s[8:9]
                                        ; implicit-def: $vgpr5
	s_and_saveexec_b64 s[14:15], vcc
	s_xor_b64 s[14:15], exec, s[14:15]
	s_cbranch_execz .LBB5548_155
; %bb.146:
	v_cmp_lt_i64_e32 vcc, 9, v[0:1]
                                        ; implicit-def: $vgpr5
	s_and_saveexec_b64 s[12:13], vcc
	s_xor_b64 s[12:13], exec, s[12:13]
	s_cbranch_execz .LBB5548_152
; %bb.147:
	v_cmp_lt_i64_e32 vcc, 10, v[0:1]
                                        ; implicit-def: $vgpr5
	s_and_saveexec_b64 s[16:17], vcc
	s_xor_b64 s[16:17], exec, s[16:17]
	s_cbranch_execz .LBB5548_149
; %bb.148:
	s_waitcnt lgkmcnt(0)
	ds_read_u16 v5, v2 offset:1408
.LBB5548_149:
	s_andn2_saveexec_b64 s[16:17], s[16:17]
	s_cbranch_execz .LBB5548_151
; %bb.150:
	s_waitcnt lgkmcnt(0)
	ds_read_u16 v5, v2 offset:1280
.LBB5548_151:
	s_or_b64 exec, exec, s[16:17]
.LBB5548_152:
	s_andn2_saveexec_b64 s[12:13], s[12:13]
	s_cbranch_execz .LBB5548_154
; %bb.153:
	s_waitcnt lgkmcnt(0)
	ds_read_u16 v5, v2 offset:1152
.LBB5548_154:
	s_or_b64 exec, exec, s[12:13]
	s_or_b64 s[12:13], s[8:9], exec
.LBB5548_155:
	s_or_saveexec_b64 s[14:15], s[14:15]
	s_mov_b64 s[16:17], s[6:7]
	s_mov_b64 s[20:21], s[4:5]
                                        ; implicit-def: $vgpr3
                                        ; implicit-def: $vgpr4
	s_xor_b64 exec, exec, s[14:15]
	s_cbranch_execz .LBB5548_159
; %bb.156:
	s_waitcnt lgkmcnt(0)
	ds_read_u16 v3, v2 offset:768
	v_cmp_lt_i64_e32 vcc, 6, v[0:1]
	s_mov_b64 s[20:21], -1
	s_mov_b64 s[18:19], s[12:13]
	s_mov_b64 s[16:17], s[6:7]
                                        ; implicit-def: $vgpr4
                                        ; implicit-def: $vgpr5
	s_and_saveexec_b64 s[22:23], vcc
	s_cbranch_execz .LBB5548_158
; %bb.157:
	ds_read_u16 v4, v2 offset:896
	ds_read_u16 v5, v2 offset:1024
	v_cmp_lt_i64_e32 vcc, 7, v[0:1]
	s_andn2_b64 s[18:19], s[12:13], exec
	s_and_b64 s[24:25], vcc, exec
	s_xor_b64 s[20:21], exec, -1
	s_or_b64 s[16:17], s[6:7], exec
	s_or_b64 s[18:19], s[18:19], s[24:25]
                                        ; implicit-def: $vgpr3
.LBB5548_158:
	s_or_b64 exec, exec, s[22:23]
	s_andn2_b64 s[22:23], s[4:5], exec
	s_and_b64 s[20:21], s[20:21], exec
	s_or_b64 s[20:21], s[22:23], s[20:21]
	s_andn2_b64 s[22:23], s[6:7], exec
	s_and_b64 s[16:17], s[16:17], exec
	s_andn2_b64 s[12:13], s[12:13], exec
	s_and_b64 s[18:19], s[18:19], exec
	s_or_b64 s[16:17], s[22:23], s[16:17]
	s_or_b64 s[12:13], s[12:13], s[18:19]
.LBB5548_159:
	s_or_b64 exec, exec, s[14:15]
	s_andn2_b64 s[18:19], s[4:5], exec
	s_and_b64 s[20:21], s[20:21], exec
	s_or_b64 s[18:19], s[18:19], s[20:21]
	s_andn2_b64 s[20:21], s[6:7], exec
	s_and_b64 s[16:17], s[16:17], exec
	s_or_b64 s[16:17], s[20:21], s[16:17]
	s_andn2_b64 s[20:21], s[8:9], exec
	s_and_b64 s[12:13], s[12:13], exec
	s_xor_b64 s[14:15], exec, -1
	s_or_b64 s[12:13], s[20:21], s[12:13]
.LBB5548_160:
	s_or_b64 exec, exec, s[0:1]
	s_and_b64 s[0:1], s[14:15], exec
	s_andn2_b64 s[4:5], s[4:5], exec
	s_and_b64 s[14:15], s[18:19], exec
	s_or_b64 s[4:5], s[4:5], s[14:15]
	s_andn2_b64 s[6:7], s[6:7], exec
	s_and_b64 s[14:15], s[16:17], exec
	s_andn2_b64 s[8:9], s[8:9], exec
	s_and_b64 s[12:13], s[12:13], exec
	s_or_b64 s[6:7], s[6:7], s[14:15]
	s_or_b64 s[8:9], s[8:9], s[12:13]
	s_or_b64 exec, exec, s[2:3]
	s_and_saveexec_b64 s[2:3], s[8:9]
	s_cbranch_execz .LBB5548_95
.LBB5548_161:
	s_waitcnt lgkmcnt(0)
	v_mov_b32_e32 v3, 0
	s_andn2_b64 s[6:7], s[6:7], exec
	global_store_short v3, v5, s[10:11]
                                        ; implicit-def: $vgpr3
                                        ; implicit-def: $vgpr4
	s_or_b64 exec, exec, s[2:3]
	s_and_saveexec_b64 s[2:3], s[6:7]
	s_cbranch_execz .LBB5548_96
.LBB5548_162:
	s_waitcnt lgkmcnt(0)
	v_mov_b32_e32 v3, 0
	global_store_short v3, v4, s[10:11]
                                        ; implicit-def: $vgpr3
	s_or_b64 exec, exec, s[2:3]
	s_and_saveexec_b64 s[2:3], s[4:5]
	s_xor_b64 s[2:3], exec, s[2:3]
	s_cbranch_execz .LBB5548_97
.LBB5548_163:
	s_waitcnt lgkmcnt(0)
	v_mov_b32_e32 v4, 0
	global_store_short v4, v3, s[10:11]
	s_or_b64 exec, exec, s[2:3]
	s_and_b64 exec, exec, s[0:1]
	s_cbranch_execz .LBB5548_98
.LBB5548_164:
	v_cmp_lt_i64_e32 vcc, 2, v[0:1]
	s_and_saveexec_b64 s[0:1], vcc
	s_xor_b64 s[0:1], exec, s[0:1]
	s_cbranch_execz .LBB5548_174
; %bb.165:
	v_cmp_lt_i64_e32 vcc, 3, v[0:1]
	s_and_saveexec_b64 s[2:3], vcc
	s_xor_b64 s[2:3], exec, s[2:3]
	s_cbranch_execz .LBB5548_171
; %bb.166:
	;; [unrolled: 5-line block ×3, first 2 shown]
	ds_read_u16 v0, v2 offset:640
	v_mov_b32_e32 v1, 0
                                        ; implicit-def: $vgpr2
	s_waitcnt lgkmcnt(0)
	global_store_short v1, v0, s[10:11]
.LBB5548_168:
	s_andn2_saveexec_b64 s[4:5], s[4:5]
	s_cbranch_execz .LBB5548_170
; %bb.169:
	ds_read_u16 v0, v2 offset:512
	v_mov_b32_e32 v1, 0
	s_waitcnt lgkmcnt(0)
	global_store_short v1, v0, s[10:11]
.LBB5548_170:
	s_or_b64 exec, exec, s[4:5]
                                        ; implicit-def: $vgpr2
.LBB5548_171:
	s_andn2_saveexec_b64 s[2:3], s[2:3]
	s_cbranch_execz .LBB5548_173
; %bb.172:
	ds_read_u16 v0, v2 offset:384
	v_mov_b32_e32 v1, 0
	s_waitcnt lgkmcnt(0)
	global_store_short v1, v0, s[10:11]
.LBB5548_173:
	s_or_b64 exec, exec, s[2:3]
                                        ; implicit-def: $vgpr0_vgpr1
                                        ; implicit-def: $vgpr2
.LBB5548_174:
	s_andn2_saveexec_b64 s[0:1], s[0:1]
	s_cbranch_execz .LBB5548_98
; %bb.175:
	v_cmp_lt_i64_e32 vcc, 1, v[0:1]
	s_and_saveexec_b64 s[0:1], vcc
	s_xor_b64 s[0:1], exec, s[0:1]
	s_cbranch_execz .LBB5548_177
; %bb.176:
	ds_read_u16 v0, v2 offset:256
	v_mov_b32_e32 v1, 0
                                        ; implicit-def: $vgpr2
	s_waitcnt lgkmcnt(0)
	global_store_short v1, v0, s[10:11]
                                        ; implicit-def: $vgpr0_vgpr1
.LBB5548_177:
	s_andn2_saveexec_b64 s[0:1], s[0:1]
	s_cbranch_execz .LBB5548_98
; %bb.178:
	v_cmp_ne_u64_e32 vcc, 1, v[0:1]
	s_and_saveexec_b64 s[0:1], vcc
	s_xor_b64 s[0:1], exec, s[0:1]
	s_cbranch_execz .LBB5548_180
; %bb.179:
	ds_read_u16 v0, v2
	v_mov_b32_e32 v1, 0
                                        ; implicit-def: $vgpr2
	s_waitcnt lgkmcnt(0)
	global_store_short v1, v0, s[10:11]
.LBB5548_180:
	s_andn2_saveexec_b64 s[0:1], s[0:1]
	s_cbranch_execz .LBB5548_98
; %bb.181:
	ds_read_u16 v0, v2 offset:128
	v_mov_b32_e32 v1, 0
	s_waitcnt lgkmcnt(0)
	global_store_short v1, v0, s[10:11]
	s_endpgm
	.section	.rodata,"a",@progbits
	.p2align	6, 0x0
	.amdhsa_kernel _ZN7rocprim17ROCPRIM_400000_NS6detail17trampoline_kernelINS0_14default_configENS1_20scan_config_selectorItEEZZNS1_9scan_implILNS1_25lookback_scan_determinismE0ELb1ELb1ES3_N6thrust23THRUST_200600_302600_NS6detail15normal_iteratorINS9_10device_ptrItEEEENS9_16discard_iteratorINS9_11use_defaultEEEtNS9_4plusIvEEtEEDaPvRmT3_T4_T5_mT6_P12ihipStream_tbENKUlT_T0_E_clISt17integral_constantIbLb1EESW_IbLb0EEEEDaSS_ST_EUlSS_E_NS1_11comp_targetILNS1_3genE4ELNS1_11target_archE910ELNS1_3gpuE8ELNS1_3repE0EEENS1_30default_config_static_selectorELNS0_4arch9wavefront6targetE1EEEvT1_
		.amdhsa_group_segment_fixed_size 3072
		.amdhsa_private_segment_fixed_size 0
		.amdhsa_kernarg_size 104
		.amdhsa_user_sgpr_count 6
		.amdhsa_user_sgpr_private_segment_buffer 1
		.amdhsa_user_sgpr_dispatch_ptr 0
		.amdhsa_user_sgpr_queue_ptr 0
		.amdhsa_user_sgpr_kernarg_segment_ptr 1
		.amdhsa_user_sgpr_dispatch_id 0
		.amdhsa_user_sgpr_flat_scratch_init 0
		.amdhsa_user_sgpr_kernarg_preload_length 0
		.amdhsa_user_sgpr_kernarg_preload_offset 0
		.amdhsa_user_sgpr_private_segment_size 0
		.amdhsa_uses_dynamic_stack 0
		.amdhsa_system_sgpr_private_segment_wavefront_offset 0
		.amdhsa_system_sgpr_workgroup_id_x 1
		.amdhsa_system_sgpr_workgroup_id_y 0
		.amdhsa_system_sgpr_workgroup_id_z 0
		.amdhsa_system_sgpr_workgroup_info 0
		.amdhsa_system_vgpr_workitem_id 0
		.amdhsa_next_free_vgpr 44
		.amdhsa_next_free_sgpr 26
		.amdhsa_accum_offset 44
		.amdhsa_reserve_vcc 1
		.amdhsa_reserve_flat_scratch 0
		.amdhsa_float_round_mode_32 0
		.amdhsa_float_round_mode_16_64 0
		.amdhsa_float_denorm_mode_32 3
		.amdhsa_float_denorm_mode_16_64 3
		.amdhsa_dx10_clamp 1
		.amdhsa_ieee_mode 1
		.amdhsa_fp16_overflow 0
		.amdhsa_tg_split 0
		.amdhsa_exception_fp_ieee_invalid_op 0
		.amdhsa_exception_fp_denorm_src 0
		.amdhsa_exception_fp_ieee_div_zero 0
		.amdhsa_exception_fp_ieee_overflow 0
		.amdhsa_exception_fp_ieee_underflow 0
		.amdhsa_exception_fp_ieee_inexact 0
		.amdhsa_exception_int_div_zero 0
	.end_amdhsa_kernel
	.section	.text._ZN7rocprim17ROCPRIM_400000_NS6detail17trampoline_kernelINS0_14default_configENS1_20scan_config_selectorItEEZZNS1_9scan_implILNS1_25lookback_scan_determinismE0ELb1ELb1ES3_N6thrust23THRUST_200600_302600_NS6detail15normal_iteratorINS9_10device_ptrItEEEENS9_16discard_iteratorINS9_11use_defaultEEEtNS9_4plusIvEEtEEDaPvRmT3_T4_T5_mT6_P12ihipStream_tbENKUlT_T0_E_clISt17integral_constantIbLb1EESW_IbLb0EEEEDaSS_ST_EUlSS_E_NS1_11comp_targetILNS1_3genE4ELNS1_11target_archE910ELNS1_3gpuE8ELNS1_3repE0EEENS1_30default_config_static_selectorELNS0_4arch9wavefront6targetE1EEEvT1_,"axG",@progbits,_ZN7rocprim17ROCPRIM_400000_NS6detail17trampoline_kernelINS0_14default_configENS1_20scan_config_selectorItEEZZNS1_9scan_implILNS1_25lookback_scan_determinismE0ELb1ELb1ES3_N6thrust23THRUST_200600_302600_NS6detail15normal_iteratorINS9_10device_ptrItEEEENS9_16discard_iteratorINS9_11use_defaultEEEtNS9_4plusIvEEtEEDaPvRmT3_T4_T5_mT6_P12ihipStream_tbENKUlT_T0_E_clISt17integral_constantIbLb1EESW_IbLb0EEEEDaSS_ST_EUlSS_E_NS1_11comp_targetILNS1_3genE4ELNS1_11target_archE910ELNS1_3gpuE8ELNS1_3repE0EEENS1_30default_config_static_selectorELNS0_4arch9wavefront6targetE1EEEvT1_,comdat
.Lfunc_end5548:
	.size	_ZN7rocprim17ROCPRIM_400000_NS6detail17trampoline_kernelINS0_14default_configENS1_20scan_config_selectorItEEZZNS1_9scan_implILNS1_25lookback_scan_determinismE0ELb1ELb1ES3_N6thrust23THRUST_200600_302600_NS6detail15normal_iteratorINS9_10device_ptrItEEEENS9_16discard_iteratorINS9_11use_defaultEEEtNS9_4plusIvEEtEEDaPvRmT3_T4_T5_mT6_P12ihipStream_tbENKUlT_T0_E_clISt17integral_constantIbLb1EESW_IbLb0EEEEDaSS_ST_EUlSS_E_NS1_11comp_targetILNS1_3genE4ELNS1_11target_archE910ELNS1_3gpuE8ELNS1_3repE0EEENS1_30default_config_static_selectorELNS0_4arch9wavefront6targetE1EEEvT1_, .Lfunc_end5548-_ZN7rocprim17ROCPRIM_400000_NS6detail17trampoline_kernelINS0_14default_configENS1_20scan_config_selectorItEEZZNS1_9scan_implILNS1_25lookback_scan_determinismE0ELb1ELb1ES3_N6thrust23THRUST_200600_302600_NS6detail15normal_iteratorINS9_10device_ptrItEEEENS9_16discard_iteratorINS9_11use_defaultEEEtNS9_4plusIvEEtEEDaPvRmT3_T4_T5_mT6_P12ihipStream_tbENKUlT_T0_E_clISt17integral_constantIbLb1EESW_IbLb0EEEEDaSS_ST_EUlSS_E_NS1_11comp_targetILNS1_3genE4ELNS1_11target_archE910ELNS1_3gpuE8ELNS1_3repE0EEENS1_30default_config_static_selectorELNS0_4arch9wavefront6targetE1EEEvT1_
                                        ; -- End function
	.section	.AMDGPU.csdata,"",@progbits
; Kernel info:
; codeLenInByte = 6508
; NumSgprs: 30
; NumVgprs: 44
; NumAgprs: 0
; TotalNumVgprs: 44
; ScratchSize: 0
; MemoryBound: 0
; FloatMode: 240
; IeeeMode: 1
; LDSByteSize: 3072 bytes/workgroup (compile time only)
; SGPRBlocks: 3
; VGPRBlocks: 5
; NumSGPRsForWavesPerEU: 30
; NumVGPRsForWavesPerEU: 44
; AccumOffset: 44
; Occupancy: 6
; WaveLimiterHint : 1
; COMPUTE_PGM_RSRC2:SCRATCH_EN: 0
; COMPUTE_PGM_RSRC2:USER_SGPR: 6
; COMPUTE_PGM_RSRC2:TRAP_HANDLER: 0
; COMPUTE_PGM_RSRC2:TGID_X_EN: 1
; COMPUTE_PGM_RSRC2:TGID_Y_EN: 0
; COMPUTE_PGM_RSRC2:TGID_Z_EN: 0
; COMPUTE_PGM_RSRC2:TIDIG_COMP_CNT: 0
; COMPUTE_PGM_RSRC3_GFX90A:ACCUM_OFFSET: 10
; COMPUTE_PGM_RSRC3_GFX90A:TG_SPLIT: 0
	.section	.text._ZN7rocprim17ROCPRIM_400000_NS6detail17trampoline_kernelINS0_14default_configENS1_20scan_config_selectorItEEZZNS1_9scan_implILNS1_25lookback_scan_determinismE0ELb1ELb1ES3_N6thrust23THRUST_200600_302600_NS6detail15normal_iteratorINS9_10device_ptrItEEEENS9_16discard_iteratorINS9_11use_defaultEEEtNS9_4plusIvEEtEEDaPvRmT3_T4_T5_mT6_P12ihipStream_tbENKUlT_T0_E_clISt17integral_constantIbLb1EESW_IbLb0EEEEDaSS_ST_EUlSS_E_NS1_11comp_targetILNS1_3genE3ELNS1_11target_archE908ELNS1_3gpuE7ELNS1_3repE0EEENS1_30default_config_static_selectorELNS0_4arch9wavefront6targetE1EEEvT1_,"axG",@progbits,_ZN7rocprim17ROCPRIM_400000_NS6detail17trampoline_kernelINS0_14default_configENS1_20scan_config_selectorItEEZZNS1_9scan_implILNS1_25lookback_scan_determinismE0ELb1ELb1ES3_N6thrust23THRUST_200600_302600_NS6detail15normal_iteratorINS9_10device_ptrItEEEENS9_16discard_iteratorINS9_11use_defaultEEEtNS9_4plusIvEEtEEDaPvRmT3_T4_T5_mT6_P12ihipStream_tbENKUlT_T0_E_clISt17integral_constantIbLb1EESW_IbLb0EEEEDaSS_ST_EUlSS_E_NS1_11comp_targetILNS1_3genE3ELNS1_11target_archE908ELNS1_3gpuE7ELNS1_3repE0EEENS1_30default_config_static_selectorELNS0_4arch9wavefront6targetE1EEEvT1_,comdat
	.protected	_ZN7rocprim17ROCPRIM_400000_NS6detail17trampoline_kernelINS0_14default_configENS1_20scan_config_selectorItEEZZNS1_9scan_implILNS1_25lookback_scan_determinismE0ELb1ELb1ES3_N6thrust23THRUST_200600_302600_NS6detail15normal_iteratorINS9_10device_ptrItEEEENS9_16discard_iteratorINS9_11use_defaultEEEtNS9_4plusIvEEtEEDaPvRmT3_T4_T5_mT6_P12ihipStream_tbENKUlT_T0_E_clISt17integral_constantIbLb1EESW_IbLb0EEEEDaSS_ST_EUlSS_E_NS1_11comp_targetILNS1_3genE3ELNS1_11target_archE908ELNS1_3gpuE7ELNS1_3repE0EEENS1_30default_config_static_selectorELNS0_4arch9wavefront6targetE1EEEvT1_ ; -- Begin function _ZN7rocprim17ROCPRIM_400000_NS6detail17trampoline_kernelINS0_14default_configENS1_20scan_config_selectorItEEZZNS1_9scan_implILNS1_25lookback_scan_determinismE0ELb1ELb1ES3_N6thrust23THRUST_200600_302600_NS6detail15normal_iteratorINS9_10device_ptrItEEEENS9_16discard_iteratorINS9_11use_defaultEEEtNS9_4plusIvEEtEEDaPvRmT3_T4_T5_mT6_P12ihipStream_tbENKUlT_T0_E_clISt17integral_constantIbLb1EESW_IbLb0EEEEDaSS_ST_EUlSS_E_NS1_11comp_targetILNS1_3genE3ELNS1_11target_archE908ELNS1_3gpuE7ELNS1_3repE0EEENS1_30default_config_static_selectorELNS0_4arch9wavefront6targetE1EEEvT1_
	.globl	_ZN7rocprim17ROCPRIM_400000_NS6detail17trampoline_kernelINS0_14default_configENS1_20scan_config_selectorItEEZZNS1_9scan_implILNS1_25lookback_scan_determinismE0ELb1ELb1ES3_N6thrust23THRUST_200600_302600_NS6detail15normal_iteratorINS9_10device_ptrItEEEENS9_16discard_iteratorINS9_11use_defaultEEEtNS9_4plusIvEEtEEDaPvRmT3_T4_T5_mT6_P12ihipStream_tbENKUlT_T0_E_clISt17integral_constantIbLb1EESW_IbLb0EEEEDaSS_ST_EUlSS_E_NS1_11comp_targetILNS1_3genE3ELNS1_11target_archE908ELNS1_3gpuE7ELNS1_3repE0EEENS1_30default_config_static_selectorELNS0_4arch9wavefront6targetE1EEEvT1_
	.p2align	8
	.type	_ZN7rocprim17ROCPRIM_400000_NS6detail17trampoline_kernelINS0_14default_configENS1_20scan_config_selectorItEEZZNS1_9scan_implILNS1_25lookback_scan_determinismE0ELb1ELb1ES3_N6thrust23THRUST_200600_302600_NS6detail15normal_iteratorINS9_10device_ptrItEEEENS9_16discard_iteratorINS9_11use_defaultEEEtNS9_4plusIvEEtEEDaPvRmT3_T4_T5_mT6_P12ihipStream_tbENKUlT_T0_E_clISt17integral_constantIbLb1EESW_IbLb0EEEEDaSS_ST_EUlSS_E_NS1_11comp_targetILNS1_3genE3ELNS1_11target_archE908ELNS1_3gpuE7ELNS1_3repE0EEENS1_30default_config_static_selectorELNS0_4arch9wavefront6targetE1EEEvT1_,@function
_ZN7rocprim17ROCPRIM_400000_NS6detail17trampoline_kernelINS0_14default_configENS1_20scan_config_selectorItEEZZNS1_9scan_implILNS1_25lookback_scan_determinismE0ELb1ELb1ES3_N6thrust23THRUST_200600_302600_NS6detail15normal_iteratorINS9_10device_ptrItEEEENS9_16discard_iteratorINS9_11use_defaultEEEtNS9_4plusIvEEtEEDaPvRmT3_T4_T5_mT6_P12ihipStream_tbENKUlT_T0_E_clISt17integral_constantIbLb1EESW_IbLb0EEEEDaSS_ST_EUlSS_E_NS1_11comp_targetILNS1_3genE3ELNS1_11target_archE908ELNS1_3gpuE7ELNS1_3repE0EEENS1_30default_config_static_selectorELNS0_4arch9wavefront6targetE1EEEvT1_: ; @_ZN7rocprim17ROCPRIM_400000_NS6detail17trampoline_kernelINS0_14default_configENS1_20scan_config_selectorItEEZZNS1_9scan_implILNS1_25lookback_scan_determinismE0ELb1ELb1ES3_N6thrust23THRUST_200600_302600_NS6detail15normal_iteratorINS9_10device_ptrItEEEENS9_16discard_iteratorINS9_11use_defaultEEEtNS9_4plusIvEEtEEDaPvRmT3_T4_T5_mT6_P12ihipStream_tbENKUlT_T0_E_clISt17integral_constantIbLb1EESW_IbLb0EEEEDaSS_ST_EUlSS_E_NS1_11comp_targetILNS1_3genE3ELNS1_11target_archE908ELNS1_3gpuE7ELNS1_3repE0EEENS1_30default_config_static_selectorELNS0_4arch9wavefront6targetE1EEEvT1_
; %bb.0:
	.section	.rodata,"a",@progbits
	.p2align	6, 0x0
	.amdhsa_kernel _ZN7rocprim17ROCPRIM_400000_NS6detail17trampoline_kernelINS0_14default_configENS1_20scan_config_selectorItEEZZNS1_9scan_implILNS1_25lookback_scan_determinismE0ELb1ELb1ES3_N6thrust23THRUST_200600_302600_NS6detail15normal_iteratorINS9_10device_ptrItEEEENS9_16discard_iteratorINS9_11use_defaultEEEtNS9_4plusIvEEtEEDaPvRmT3_T4_T5_mT6_P12ihipStream_tbENKUlT_T0_E_clISt17integral_constantIbLb1EESW_IbLb0EEEEDaSS_ST_EUlSS_E_NS1_11comp_targetILNS1_3genE3ELNS1_11target_archE908ELNS1_3gpuE7ELNS1_3repE0EEENS1_30default_config_static_selectorELNS0_4arch9wavefront6targetE1EEEvT1_
		.amdhsa_group_segment_fixed_size 0
		.amdhsa_private_segment_fixed_size 0
		.amdhsa_kernarg_size 104
		.amdhsa_user_sgpr_count 6
		.amdhsa_user_sgpr_private_segment_buffer 1
		.amdhsa_user_sgpr_dispatch_ptr 0
		.amdhsa_user_sgpr_queue_ptr 0
		.amdhsa_user_sgpr_kernarg_segment_ptr 1
		.amdhsa_user_sgpr_dispatch_id 0
		.amdhsa_user_sgpr_flat_scratch_init 0
		.amdhsa_user_sgpr_kernarg_preload_length 0
		.amdhsa_user_sgpr_kernarg_preload_offset 0
		.amdhsa_user_sgpr_private_segment_size 0
		.amdhsa_uses_dynamic_stack 0
		.amdhsa_system_sgpr_private_segment_wavefront_offset 0
		.amdhsa_system_sgpr_workgroup_id_x 1
		.amdhsa_system_sgpr_workgroup_id_y 0
		.amdhsa_system_sgpr_workgroup_id_z 0
		.amdhsa_system_sgpr_workgroup_info 0
		.amdhsa_system_vgpr_workitem_id 0
		.amdhsa_next_free_vgpr 1
		.amdhsa_next_free_sgpr 0
		.amdhsa_accum_offset 4
		.amdhsa_reserve_vcc 0
		.amdhsa_reserve_flat_scratch 0
		.amdhsa_float_round_mode_32 0
		.amdhsa_float_round_mode_16_64 0
		.amdhsa_float_denorm_mode_32 3
		.amdhsa_float_denorm_mode_16_64 3
		.amdhsa_dx10_clamp 1
		.amdhsa_ieee_mode 1
		.amdhsa_fp16_overflow 0
		.amdhsa_tg_split 0
		.amdhsa_exception_fp_ieee_invalid_op 0
		.amdhsa_exception_fp_denorm_src 0
		.amdhsa_exception_fp_ieee_div_zero 0
		.amdhsa_exception_fp_ieee_overflow 0
		.amdhsa_exception_fp_ieee_underflow 0
		.amdhsa_exception_fp_ieee_inexact 0
		.amdhsa_exception_int_div_zero 0
	.end_amdhsa_kernel
	.section	.text._ZN7rocprim17ROCPRIM_400000_NS6detail17trampoline_kernelINS0_14default_configENS1_20scan_config_selectorItEEZZNS1_9scan_implILNS1_25lookback_scan_determinismE0ELb1ELb1ES3_N6thrust23THRUST_200600_302600_NS6detail15normal_iteratorINS9_10device_ptrItEEEENS9_16discard_iteratorINS9_11use_defaultEEEtNS9_4plusIvEEtEEDaPvRmT3_T4_T5_mT6_P12ihipStream_tbENKUlT_T0_E_clISt17integral_constantIbLb1EESW_IbLb0EEEEDaSS_ST_EUlSS_E_NS1_11comp_targetILNS1_3genE3ELNS1_11target_archE908ELNS1_3gpuE7ELNS1_3repE0EEENS1_30default_config_static_selectorELNS0_4arch9wavefront6targetE1EEEvT1_,"axG",@progbits,_ZN7rocprim17ROCPRIM_400000_NS6detail17trampoline_kernelINS0_14default_configENS1_20scan_config_selectorItEEZZNS1_9scan_implILNS1_25lookback_scan_determinismE0ELb1ELb1ES3_N6thrust23THRUST_200600_302600_NS6detail15normal_iteratorINS9_10device_ptrItEEEENS9_16discard_iteratorINS9_11use_defaultEEEtNS9_4plusIvEEtEEDaPvRmT3_T4_T5_mT6_P12ihipStream_tbENKUlT_T0_E_clISt17integral_constantIbLb1EESW_IbLb0EEEEDaSS_ST_EUlSS_E_NS1_11comp_targetILNS1_3genE3ELNS1_11target_archE908ELNS1_3gpuE7ELNS1_3repE0EEENS1_30default_config_static_selectorELNS0_4arch9wavefront6targetE1EEEvT1_,comdat
.Lfunc_end5549:
	.size	_ZN7rocprim17ROCPRIM_400000_NS6detail17trampoline_kernelINS0_14default_configENS1_20scan_config_selectorItEEZZNS1_9scan_implILNS1_25lookback_scan_determinismE0ELb1ELb1ES3_N6thrust23THRUST_200600_302600_NS6detail15normal_iteratorINS9_10device_ptrItEEEENS9_16discard_iteratorINS9_11use_defaultEEEtNS9_4plusIvEEtEEDaPvRmT3_T4_T5_mT6_P12ihipStream_tbENKUlT_T0_E_clISt17integral_constantIbLb1EESW_IbLb0EEEEDaSS_ST_EUlSS_E_NS1_11comp_targetILNS1_3genE3ELNS1_11target_archE908ELNS1_3gpuE7ELNS1_3repE0EEENS1_30default_config_static_selectorELNS0_4arch9wavefront6targetE1EEEvT1_, .Lfunc_end5549-_ZN7rocprim17ROCPRIM_400000_NS6detail17trampoline_kernelINS0_14default_configENS1_20scan_config_selectorItEEZZNS1_9scan_implILNS1_25lookback_scan_determinismE0ELb1ELb1ES3_N6thrust23THRUST_200600_302600_NS6detail15normal_iteratorINS9_10device_ptrItEEEENS9_16discard_iteratorINS9_11use_defaultEEEtNS9_4plusIvEEtEEDaPvRmT3_T4_T5_mT6_P12ihipStream_tbENKUlT_T0_E_clISt17integral_constantIbLb1EESW_IbLb0EEEEDaSS_ST_EUlSS_E_NS1_11comp_targetILNS1_3genE3ELNS1_11target_archE908ELNS1_3gpuE7ELNS1_3repE0EEENS1_30default_config_static_selectorELNS0_4arch9wavefront6targetE1EEEvT1_
                                        ; -- End function
	.section	.AMDGPU.csdata,"",@progbits
; Kernel info:
; codeLenInByte = 0
; NumSgprs: 4
; NumVgprs: 0
; NumAgprs: 0
; TotalNumVgprs: 0
; ScratchSize: 0
; MemoryBound: 0
; FloatMode: 240
; IeeeMode: 1
; LDSByteSize: 0 bytes/workgroup (compile time only)
; SGPRBlocks: 0
; VGPRBlocks: 0
; NumSGPRsForWavesPerEU: 4
; NumVGPRsForWavesPerEU: 1
; AccumOffset: 4
; Occupancy: 8
; WaveLimiterHint : 0
; COMPUTE_PGM_RSRC2:SCRATCH_EN: 0
; COMPUTE_PGM_RSRC2:USER_SGPR: 6
; COMPUTE_PGM_RSRC2:TRAP_HANDLER: 0
; COMPUTE_PGM_RSRC2:TGID_X_EN: 1
; COMPUTE_PGM_RSRC2:TGID_Y_EN: 0
; COMPUTE_PGM_RSRC2:TGID_Z_EN: 0
; COMPUTE_PGM_RSRC2:TIDIG_COMP_CNT: 0
; COMPUTE_PGM_RSRC3_GFX90A:ACCUM_OFFSET: 0
; COMPUTE_PGM_RSRC3_GFX90A:TG_SPLIT: 0
	.section	.text._ZN7rocprim17ROCPRIM_400000_NS6detail17trampoline_kernelINS0_14default_configENS1_20scan_config_selectorItEEZZNS1_9scan_implILNS1_25lookback_scan_determinismE0ELb1ELb1ES3_N6thrust23THRUST_200600_302600_NS6detail15normal_iteratorINS9_10device_ptrItEEEENS9_16discard_iteratorINS9_11use_defaultEEEtNS9_4plusIvEEtEEDaPvRmT3_T4_T5_mT6_P12ihipStream_tbENKUlT_T0_E_clISt17integral_constantIbLb1EESW_IbLb0EEEEDaSS_ST_EUlSS_E_NS1_11comp_targetILNS1_3genE2ELNS1_11target_archE906ELNS1_3gpuE6ELNS1_3repE0EEENS1_30default_config_static_selectorELNS0_4arch9wavefront6targetE1EEEvT1_,"axG",@progbits,_ZN7rocprim17ROCPRIM_400000_NS6detail17trampoline_kernelINS0_14default_configENS1_20scan_config_selectorItEEZZNS1_9scan_implILNS1_25lookback_scan_determinismE0ELb1ELb1ES3_N6thrust23THRUST_200600_302600_NS6detail15normal_iteratorINS9_10device_ptrItEEEENS9_16discard_iteratorINS9_11use_defaultEEEtNS9_4plusIvEEtEEDaPvRmT3_T4_T5_mT6_P12ihipStream_tbENKUlT_T0_E_clISt17integral_constantIbLb1EESW_IbLb0EEEEDaSS_ST_EUlSS_E_NS1_11comp_targetILNS1_3genE2ELNS1_11target_archE906ELNS1_3gpuE6ELNS1_3repE0EEENS1_30default_config_static_selectorELNS0_4arch9wavefront6targetE1EEEvT1_,comdat
	.protected	_ZN7rocprim17ROCPRIM_400000_NS6detail17trampoline_kernelINS0_14default_configENS1_20scan_config_selectorItEEZZNS1_9scan_implILNS1_25lookback_scan_determinismE0ELb1ELb1ES3_N6thrust23THRUST_200600_302600_NS6detail15normal_iteratorINS9_10device_ptrItEEEENS9_16discard_iteratorINS9_11use_defaultEEEtNS9_4plusIvEEtEEDaPvRmT3_T4_T5_mT6_P12ihipStream_tbENKUlT_T0_E_clISt17integral_constantIbLb1EESW_IbLb0EEEEDaSS_ST_EUlSS_E_NS1_11comp_targetILNS1_3genE2ELNS1_11target_archE906ELNS1_3gpuE6ELNS1_3repE0EEENS1_30default_config_static_selectorELNS0_4arch9wavefront6targetE1EEEvT1_ ; -- Begin function _ZN7rocprim17ROCPRIM_400000_NS6detail17trampoline_kernelINS0_14default_configENS1_20scan_config_selectorItEEZZNS1_9scan_implILNS1_25lookback_scan_determinismE0ELb1ELb1ES3_N6thrust23THRUST_200600_302600_NS6detail15normal_iteratorINS9_10device_ptrItEEEENS9_16discard_iteratorINS9_11use_defaultEEEtNS9_4plusIvEEtEEDaPvRmT3_T4_T5_mT6_P12ihipStream_tbENKUlT_T0_E_clISt17integral_constantIbLb1EESW_IbLb0EEEEDaSS_ST_EUlSS_E_NS1_11comp_targetILNS1_3genE2ELNS1_11target_archE906ELNS1_3gpuE6ELNS1_3repE0EEENS1_30default_config_static_selectorELNS0_4arch9wavefront6targetE1EEEvT1_
	.globl	_ZN7rocprim17ROCPRIM_400000_NS6detail17trampoline_kernelINS0_14default_configENS1_20scan_config_selectorItEEZZNS1_9scan_implILNS1_25lookback_scan_determinismE0ELb1ELb1ES3_N6thrust23THRUST_200600_302600_NS6detail15normal_iteratorINS9_10device_ptrItEEEENS9_16discard_iteratorINS9_11use_defaultEEEtNS9_4plusIvEEtEEDaPvRmT3_T4_T5_mT6_P12ihipStream_tbENKUlT_T0_E_clISt17integral_constantIbLb1EESW_IbLb0EEEEDaSS_ST_EUlSS_E_NS1_11comp_targetILNS1_3genE2ELNS1_11target_archE906ELNS1_3gpuE6ELNS1_3repE0EEENS1_30default_config_static_selectorELNS0_4arch9wavefront6targetE1EEEvT1_
	.p2align	8
	.type	_ZN7rocprim17ROCPRIM_400000_NS6detail17trampoline_kernelINS0_14default_configENS1_20scan_config_selectorItEEZZNS1_9scan_implILNS1_25lookback_scan_determinismE0ELb1ELb1ES3_N6thrust23THRUST_200600_302600_NS6detail15normal_iteratorINS9_10device_ptrItEEEENS9_16discard_iteratorINS9_11use_defaultEEEtNS9_4plusIvEEtEEDaPvRmT3_T4_T5_mT6_P12ihipStream_tbENKUlT_T0_E_clISt17integral_constantIbLb1EESW_IbLb0EEEEDaSS_ST_EUlSS_E_NS1_11comp_targetILNS1_3genE2ELNS1_11target_archE906ELNS1_3gpuE6ELNS1_3repE0EEENS1_30default_config_static_selectorELNS0_4arch9wavefront6targetE1EEEvT1_,@function
_ZN7rocprim17ROCPRIM_400000_NS6detail17trampoline_kernelINS0_14default_configENS1_20scan_config_selectorItEEZZNS1_9scan_implILNS1_25lookback_scan_determinismE0ELb1ELb1ES3_N6thrust23THRUST_200600_302600_NS6detail15normal_iteratorINS9_10device_ptrItEEEENS9_16discard_iteratorINS9_11use_defaultEEEtNS9_4plusIvEEtEEDaPvRmT3_T4_T5_mT6_P12ihipStream_tbENKUlT_T0_E_clISt17integral_constantIbLb1EESW_IbLb0EEEEDaSS_ST_EUlSS_E_NS1_11comp_targetILNS1_3genE2ELNS1_11target_archE906ELNS1_3gpuE6ELNS1_3repE0EEENS1_30default_config_static_selectorELNS0_4arch9wavefront6targetE1EEEvT1_: ; @_ZN7rocprim17ROCPRIM_400000_NS6detail17trampoline_kernelINS0_14default_configENS1_20scan_config_selectorItEEZZNS1_9scan_implILNS1_25lookback_scan_determinismE0ELb1ELb1ES3_N6thrust23THRUST_200600_302600_NS6detail15normal_iteratorINS9_10device_ptrItEEEENS9_16discard_iteratorINS9_11use_defaultEEEtNS9_4plusIvEEtEEDaPvRmT3_T4_T5_mT6_P12ihipStream_tbENKUlT_T0_E_clISt17integral_constantIbLb1EESW_IbLb0EEEEDaSS_ST_EUlSS_E_NS1_11comp_targetILNS1_3genE2ELNS1_11target_archE906ELNS1_3gpuE6ELNS1_3repE0EEENS1_30default_config_static_selectorELNS0_4arch9wavefront6targetE1EEEvT1_
; %bb.0:
	.section	.rodata,"a",@progbits
	.p2align	6, 0x0
	.amdhsa_kernel _ZN7rocprim17ROCPRIM_400000_NS6detail17trampoline_kernelINS0_14default_configENS1_20scan_config_selectorItEEZZNS1_9scan_implILNS1_25lookback_scan_determinismE0ELb1ELb1ES3_N6thrust23THRUST_200600_302600_NS6detail15normal_iteratorINS9_10device_ptrItEEEENS9_16discard_iteratorINS9_11use_defaultEEEtNS9_4plusIvEEtEEDaPvRmT3_T4_T5_mT6_P12ihipStream_tbENKUlT_T0_E_clISt17integral_constantIbLb1EESW_IbLb0EEEEDaSS_ST_EUlSS_E_NS1_11comp_targetILNS1_3genE2ELNS1_11target_archE906ELNS1_3gpuE6ELNS1_3repE0EEENS1_30default_config_static_selectorELNS0_4arch9wavefront6targetE1EEEvT1_
		.amdhsa_group_segment_fixed_size 0
		.amdhsa_private_segment_fixed_size 0
		.amdhsa_kernarg_size 104
		.amdhsa_user_sgpr_count 6
		.amdhsa_user_sgpr_private_segment_buffer 1
		.amdhsa_user_sgpr_dispatch_ptr 0
		.amdhsa_user_sgpr_queue_ptr 0
		.amdhsa_user_sgpr_kernarg_segment_ptr 1
		.amdhsa_user_sgpr_dispatch_id 0
		.amdhsa_user_sgpr_flat_scratch_init 0
		.amdhsa_user_sgpr_kernarg_preload_length 0
		.amdhsa_user_sgpr_kernarg_preload_offset 0
		.amdhsa_user_sgpr_private_segment_size 0
		.amdhsa_uses_dynamic_stack 0
		.amdhsa_system_sgpr_private_segment_wavefront_offset 0
		.amdhsa_system_sgpr_workgroup_id_x 1
		.amdhsa_system_sgpr_workgroup_id_y 0
		.amdhsa_system_sgpr_workgroup_id_z 0
		.amdhsa_system_sgpr_workgroup_info 0
		.amdhsa_system_vgpr_workitem_id 0
		.amdhsa_next_free_vgpr 1
		.amdhsa_next_free_sgpr 0
		.amdhsa_accum_offset 4
		.amdhsa_reserve_vcc 0
		.amdhsa_reserve_flat_scratch 0
		.amdhsa_float_round_mode_32 0
		.amdhsa_float_round_mode_16_64 0
		.amdhsa_float_denorm_mode_32 3
		.amdhsa_float_denorm_mode_16_64 3
		.amdhsa_dx10_clamp 1
		.amdhsa_ieee_mode 1
		.amdhsa_fp16_overflow 0
		.amdhsa_tg_split 0
		.amdhsa_exception_fp_ieee_invalid_op 0
		.amdhsa_exception_fp_denorm_src 0
		.amdhsa_exception_fp_ieee_div_zero 0
		.amdhsa_exception_fp_ieee_overflow 0
		.amdhsa_exception_fp_ieee_underflow 0
		.amdhsa_exception_fp_ieee_inexact 0
		.amdhsa_exception_int_div_zero 0
	.end_amdhsa_kernel
	.section	.text._ZN7rocprim17ROCPRIM_400000_NS6detail17trampoline_kernelINS0_14default_configENS1_20scan_config_selectorItEEZZNS1_9scan_implILNS1_25lookback_scan_determinismE0ELb1ELb1ES3_N6thrust23THRUST_200600_302600_NS6detail15normal_iteratorINS9_10device_ptrItEEEENS9_16discard_iteratorINS9_11use_defaultEEEtNS9_4plusIvEEtEEDaPvRmT3_T4_T5_mT6_P12ihipStream_tbENKUlT_T0_E_clISt17integral_constantIbLb1EESW_IbLb0EEEEDaSS_ST_EUlSS_E_NS1_11comp_targetILNS1_3genE2ELNS1_11target_archE906ELNS1_3gpuE6ELNS1_3repE0EEENS1_30default_config_static_selectorELNS0_4arch9wavefront6targetE1EEEvT1_,"axG",@progbits,_ZN7rocprim17ROCPRIM_400000_NS6detail17trampoline_kernelINS0_14default_configENS1_20scan_config_selectorItEEZZNS1_9scan_implILNS1_25lookback_scan_determinismE0ELb1ELb1ES3_N6thrust23THRUST_200600_302600_NS6detail15normal_iteratorINS9_10device_ptrItEEEENS9_16discard_iteratorINS9_11use_defaultEEEtNS9_4plusIvEEtEEDaPvRmT3_T4_T5_mT6_P12ihipStream_tbENKUlT_T0_E_clISt17integral_constantIbLb1EESW_IbLb0EEEEDaSS_ST_EUlSS_E_NS1_11comp_targetILNS1_3genE2ELNS1_11target_archE906ELNS1_3gpuE6ELNS1_3repE0EEENS1_30default_config_static_selectorELNS0_4arch9wavefront6targetE1EEEvT1_,comdat
.Lfunc_end5550:
	.size	_ZN7rocprim17ROCPRIM_400000_NS6detail17trampoline_kernelINS0_14default_configENS1_20scan_config_selectorItEEZZNS1_9scan_implILNS1_25lookback_scan_determinismE0ELb1ELb1ES3_N6thrust23THRUST_200600_302600_NS6detail15normal_iteratorINS9_10device_ptrItEEEENS9_16discard_iteratorINS9_11use_defaultEEEtNS9_4plusIvEEtEEDaPvRmT3_T4_T5_mT6_P12ihipStream_tbENKUlT_T0_E_clISt17integral_constantIbLb1EESW_IbLb0EEEEDaSS_ST_EUlSS_E_NS1_11comp_targetILNS1_3genE2ELNS1_11target_archE906ELNS1_3gpuE6ELNS1_3repE0EEENS1_30default_config_static_selectorELNS0_4arch9wavefront6targetE1EEEvT1_, .Lfunc_end5550-_ZN7rocprim17ROCPRIM_400000_NS6detail17trampoline_kernelINS0_14default_configENS1_20scan_config_selectorItEEZZNS1_9scan_implILNS1_25lookback_scan_determinismE0ELb1ELb1ES3_N6thrust23THRUST_200600_302600_NS6detail15normal_iteratorINS9_10device_ptrItEEEENS9_16discard_iteratorINS9_11use_defaultEEEtNS9_4plusIvEEtEEDaPvRmT3_T4_T5_mT6_P12ihipStream_tbENKUlT_T0_E_clISt17integral_constantIbLb1EESW_IbLb0EEEEDaSS_ST_EUlSS_E_NS1_11comp_targetILNS1_3genE2ELNS1_11target_archE906ELNS1_3gpuE6ELNS1_3repE0EEENS1_30default_config_static_selectorELNS0_4arch9wavefront6targetE1EEEvT1_
                                        ; -- End function
	.section	.AMDGPU.csdata,"",@progbits
; Kernel info:
; codeLenInByte = 0
; NumSgprs: 4
; NumVgprs: 0
; NumAgprs: 0
; TotalNumVgprs: 0
; ScratchSize: 0
; MemoryBound: 0
; FloatMode: 240
; IeeeMode: 1
; LDSByteSize: 0 bytes/workgroup (compile time only)
; SGPRBlocks: 0
; VGPRBlocks: 0
; NumSGPRsForWavesPerEU: 4
; NumVGPRsForWavesPerEU: 1
; AccumOffset: 4
; Occupancy: 8
; WaveLimiterHint : 0
; COMPUTE_PGM_RSRC2:SCRATCH_EN: 0
; COMPUTE_PGM_RSRC2:USER_SGPR: 6
; COMPUTE_PGM_RSRC2:TRAP_HANDLER: 0
; COMPUTE_PGM_RSRC2:TGID_X_EN: 1
; COMPUTE_PGM_RSRC2:TGID_Y_EN: 0
; COMPUTE_PGM_RSRC2:TGID_Z_EN: 0
; COMPUTE_PGM_RSRC2:TIDIG_COMP_CNT: 0
; COMPUTE_PGM_RSRC3_GFX90A:ACCUM_OFFSET: 0
; COMPUTE_PGM_RSRC3_GFX90A:TG_SPLIT: 0
	.section	.text._ZN7rocprim17ROCPRIM_400000_NS6detail17trampoline_kernelINS0_14default_configENS1_20scan_config_selectorItEEZZNS1_9scan_implILNS1_25lookback_scan_determinismE0ELb1ELb1ES3_N6thrust23THRUST_200600_302600_NS6detail15normal_iteratorINS9_10device_ptrItEEEENS9_16discard_iteratorINS9_11use_defaultEEEtNS9_4plusIvEEtEEDaPvRmT3_T4_T5_mT6_P12ihipStream_tbENKUlT_T0_E_clISt17integral_constantIbLb1EESW_IbLb0EEEEDaSS_ST_EUlSS_E_NS1_11comp_targetILNS1_3genE10ELNS1_11target_archE1201ELNS1_3gpuE5ELNS1_3repE0EEENS1_30default_config_static_selectorELNS0_4arch9wavefront6targetE1EEEvT1_,"axG",@progbits,_ZN7rocprim17ROCPRIM_400000_NS6detail17trampoline_kernelINS0_14default_configENS1_20scan_config_selectorItEEZZNS1_9scan_implILNS1_25lookback_scan_determinismE0ELb1ELb1ES3_N6thrust23THRUST_200600_302600_NS6detail15normal_iteratorINS9_10device_ptrItEEEENS9_16discard_iteratorINS9_11use_defaultEEEtNS9_4plusIvEEtEEDaPvRmT3_T4_T5_mT6_P12ihipStream_tbENKUlT_T0_E_clISt17integral_constantIbLb1EESW_IbLb0EEEEDaSS_ST_EUlSS_E_NS1_11comp_targetILNS1_3genE10ELNS1_11target_archE1201ELNS1_3gpuE5ELNS1_3repE0EEENS1_30default_config_static_selectorELNS0_4arch9wavefront6targetE1EEEvT1_,comdat
	.protected	_ZN7rocprim17ROCPRIM_400000_NS6detail17trampoline_kernelINS0_14default_configENS1_20scan_config_selectorItEEZZNS1_9scan_implILNS1_25lookback_scan_determinismE0ELb1ELb1ES3_N6thrust23THRUST_200600_302600_NS6detail15normal_iteratorINS9_10device_ptrItEEEENS9_16discard_iteratorINS9_11use_defaultEEEtNS9_4plusIvEEtEEDaPvRmT3_T4_T5_mT6_P12ihipStream_tbENKUlT_T0_E_clISt17integral_constantIbLb1EESW_IbLb0EEEEDaSS_ST_EUlSS_E_NS1_11comp_targetILNS1_3genE10ELNS1_11target_archE1201ELNS1_3gpuE5ELNS1_3repE0EEENS1_30default_config_static_selectorELNS0_4arch9wavefront6targetE1EEEvT1_ ; -- Begin function _ZN7rocprim17ROCPRIM_400000_NS6detail17trampoline_kernelINS0_14default_configENS1_20scan_config_selectorItEEZZNS1_9scan_implILNS1_25lookback_scan_determinismE0ELb1ELb1ES3_N6thrust23THRUST_200600_302600_NS6detail15normal_iteratorINS9_10device_ptrItEEEENS9_16discard_iteratorINS9_11use_defaultEEEtNS9_4plusIvEEtEEDaPvRmT3_T4_T5_mT6_P12ihipStream_tbENKUlT_T0_E_clISt17integral_constantIbLb1EESW_IbLb0EEEEDaSS_ST_EUlSS_E_NS1_11comp_targetILNS1_3genE10ELNS1_11target_archE1201ELNS1_3gpuE5ELNS1_3repE0EEENS1_30default_config_static_selectorELNS0_4arch9wavefront6targetE1EEEvT1_
	.globl	_ZN7rocprim17ROCPRIM_400000_NS6detail17trampoline_kernelINS0_14default_configENS1_20scan_config_selectorItEEZZNS1_9scan_implILNS1_25lookback_scan_determinismE0ELb1ELb1ES3_N6thrust23THRUST_200600_302600_NS6detail15normal_iteratorINS9_10device_ptrItEEEENS9_16discard_iteratorINS9_11use_defaultEEEtNS9_4plusIvEEtEEDaPvRmT3_T4_T5_mT6_P12ihipStream_tbENKUlT_T0_E_clISt17integral_constantIbLb1EESW_IbLb0EEEEDaSS_ST_EUlSS_E_NS1_11comp_targetILNS1_3genE10ELNS1_11target_archE1201ELNS1_3gpuE5ELNS1_3repE0EEENS1_30default_config_static_selectorELNS0_4arch9wavefront6targetE1EEEvT1_
	.p2align	8
	.type	_ZN7rocprim17ROCPRIM_400000_NS6detail17trampoline_kernelINS0_14default_configENS1_20scan_config_selectorItEEZZNS1_9scan_implILNS1_25lookback_scan_determinismE0ELb1ELb1ES3_N6thrust23THRUST_200600_302600_NS6detail15normal_iteratorINS9_10device_ptrItEEEENS9_16discard_iteratorINS9_11use_defaultEEEtNS9_4plusIvEEtEEDaPvRmT3_T4_T5_mT6_P12ihipStream_tbENKUlT_T0_E_clISt17integral_constantIbLb1EESW_IbLb0EEEEDaSS_ST_EUlSS_E_NS1_11comp_targetILNS1_3genE10ELNS1_11target_archE1201ELNS1_3gpuE5ELNS1_3repE0EEENS1_30default_config_static_selectorELNS0_4arch9wavefront6targetE1EEEvT1_,@function
_ZN7rocprim17ROCPRIM_400000_NS6detail17trampoline_kernelINS0_14default_configENS1_20scan_config_selectorItEEZZNS1_9scan_implILNS1_25lookback_scan_determinismE0ELb1ELb1ES3_N6thrust23THRUST_200600_302600_NS6detail15normal_iteratorINS9_10device_ptrItEEEENS9_16discard_iteratorINS9_11use_defaultEEEtNS9_4plusIvEEtEEDaPvRmT3_T4_T5_mT6_P12ihipStream_tbENKUlT_T0_E_clISt17integral_constantIbLb1EESW_IbLb0EEEEDaSS_ST_EUlSS_E_NS1_11comp_targetILNS1_3genE10ELNS1_11target_archE1201ELNS1_3gpuE5ELNS1_3repE0EEENS1_30default_config_static_selectorELNS0_4arch9wavefront6targetE1EEEvT1_: ; @_ZN7rocprim17ROCPRIM_400000_NS6detail17trampoline_kernelINS0_14default_configENS1_20scan_config_selectorItEEZZNS1_9scan_implILNS1_25lookback_scan_determinismE0ELb1ELb1ES3_N6thrust23THRUST_200600_302600_NS6detail15normal_iteratorINS9_10device_ptrItEEEENS9_16discard_iteratorINS9_11use_defaultEEEtNS9_4plusIvEEtEEDaPvRmT3_T4_T5_mT6_P12ihipStream_tbENKUlT_T0_E_clISt17integral_constantIbLb1EESW_IbLb0EEEEDaSS_ST_EUlSS_E_NS1_11comp_targetILNS1_3genE10ELNS1_11target_archE1201ELNS1_3gpuE5ELNS1_3repE0EEENS1_30default_config_static_selectorELNS0_4arch9wavefront6targetE1EEEvT1_
; %bb.0:
	.section	.rodata,"a",@progbits
	.p2align	6, 0x0
	.amdhsa_kernel _ZN7rocprim17ROCPRIM_400000_NS6detail17trampoline_kernelINS0_14default_configENS1_20scan_config_selectorItEEZZNS1_9scan_implILNS1_25lookback_scan_determinismE0ELb1ELb1ES3_N6thrust23THRUST_200600_302600_NS6detail15normal_iteratorINS9_10device_ptrItEEEENS9_16discard_iteratorINS9_11use_defaultEEEtNS9_4plusIvEEtEEDaPvRmT3_T4_T5_mT6_P12ihipStream_tbENKUlT_T0_E_clISt17integral_constantIbLb1EESW_IbLb0EEEEDaSS_ST_EUlSS_E_NS1_11comp_targetILNS1_3genE10ELNS1_11target_archE1201ELNS1_3gpuE5ELNS1_3repE0EEENS1_30default_config_static_selectorELNS0_4arch9wavefront6targetE1EEEvT1_
		.amdhsa_group_segment_fixed_size 0
		.amdhsa_private_segment_fixed_size 0
		.amdhsa_kernarg_size 104
		.amdhsa_user_sgpr_count 6
		.amdhsa_user_sgpr_private_segment_buffer 1
		.amdhsa_user_sgpr_dispatch_ptr 0
		.amdhsa_user_sgpr_queue_ptr 0
		.amdhsa_user_sgpr_kernarg_segment_ptr 1
		.amdhsa_user_sgpr_dispatch_id 0
		.amdhsa_user_sgpr_flat_scratch_init 0
		.amdhsa_user_sgpr_kernarg_preload_length 0
		.amdhsa_user_sgpr_kernarg_preload_offset 0
		.amdhsa_user_sgpr_private_segment_size 0
		.amdhsa_uses_dynamic_stack 0
		.amdhsa_system_sgpr_private_segment_wavefront_offset 0
		.amdhsa_system_sgpr_workgroup_id_x 1
		.amdhsa_system_sgpr_workgroup_id_y 0
		.amdhsa_system_sgpr_workgroup_id_z 0
		.amdhsa_system_sgpr_workgroup_info 0
		.amdhsa_system_vgpr_workitem_id 0
		.amdhsa_next_free_vgpr 1
		.amdhsa_next_free_sgpr 0
		.amdhsa_accum_offset 4
		.amdhsa_reserve_vcc 0
		.amdhsa_reserve_flat_scratch 0
		.amdhsa_float_round_mode_32 0
		.amdhsa_float_round_mode_16_64 0
		.amdhsa_float_denorm_mode_32 3
		.amdhsa_float_denorm_mode_16_64 3
		.amdhsa_dx10_clamp 1
		.amdhsa_ieee_mode 1
		.amdhsa_fp16_overflow 0
		.amdhsa_tg_split 0
		.amdhsa_exception_fp_ieee_invalid_op 0
		.amdhsa_exception_fp_denorm_src 0
		.amdhsa_exception_fp_ieee_div_zero 0
		.amdhsa_exception_fp_ieee_overflow 0
		.amdhsa_exception_fp_ieee_underflow 0
		.amdhsa_exception_fp_ieee_inexact 0
		.amdhsa_exception_int_div_zero 0
	.end_amdhsa_kernel
	.section	.text._ZN7rocprim17ROCPRIM_400000_NS6detail17trampoline_kernelINS0_14default_configENS1_20scan_config_selectorItEEZZNS1_9scan_implILNS1_25lookback_scan_determinismE0ELb1ELb1ES3_N6thrust23THRUST_200600_302600_NS6detail15normal_iteratorINS9_10device_ptrItEEEENS9_16discard_iteratorINS9_11use_defaultEEEtNS9_4plusIvEEtEEDaPvRmT3_T4_T5_mT6_P12ihipStream_tbENKUlT_T0_E_clISt17integral_constantIbLb1EESW_IbLb0EEEEDaSS_ST_EUlSS_E_NS1_11comp_targetILNS1_3genE10ELNS1_11target_archE1201ELNS1_3gpuE5ELNS1_3repE0EEENS1_30default_config_static_selectorELNS0_4arch9wavefront6targetE1EEEvT1_,"axG",@progbits,_ZN7rocprim17ROCPRIM_400000_NS6detail17trampoline_kernelINS0_14default_configENS1_20scan_config_selectorItEEZZNS1_9scan_implILNS1_25lookback_scan_determinismE0ELb1ELb1ES3_N6thrust23THRUST_200600_302600_NS6detail15normal_iteratorINS9_10device_ptrItEEEENS9_16discard_iteratorINS9_11use_defaultEEEtNS9_4plusIvEEtEEDaPvRmT3_T4_T5_mT6_P12ihipStream_tbENKUlT_T0_E_clISt17integral_constantIbLb1EESW_IbLb0EEEEDaSS_ST_EUlSS_E_NS1_11comp_targetILNS1_3genE10ELNS1_11target_archE1201ELNS1_3gpuE5ELNS1_3repE0EEENS1_30default_config_static_selectorELNS0_4arch9wavefront6targetE1EEEvT1_,comdat
.Lfunc_end5551:
	.size	_ZN7rocprim17ROCPRIM_400000_NS6detail17trampoline_kernelINS0_14default_configENS1_20scan_config_selectorItEEZZNS1_9scan_implILNS1_25lookback_scan_determinismE0ELb1ELb1ES3_N6thrust23THRUST_200600_302600_NS6detail15normal_iteratorINS9_10device_ptrItEEEENS9_16discard_iteratorINS9_11use_defaultEEEtNS9_4plusIvEEtEEDaPvRmT3_T4_T5_mT6_P12ihipStream_tbENKUlT_T0_E_clISt17integral_constantIbLb1EESW_IbLb0EEEEDaSS_ST_EUlSS_E_NS1_11comp_targetILNS1_3genE10ELNS1_11target_archE1201ELNS1_3gpuE5ELNS1_3repE0EEENS1_30default_config_static_selectorELNS0_4arch9wavefront6targetE1EEEvT1_, .Lfunc_end5551-_ZN7rocprim17ROCPRIM_400000_NS6detail17trampoline_kernelINS0_14default_configENS1_20scan_config_selectorItEEZZNS1_9scan_implILNS1_25lookback_scan_determinismE0ELb1ELb1ES3_N6thrust23THRUST_200600_302600_NS6detail15normal_iteratorINS9_10device_ptrItEEEENS9_16discard_iteratorINS9_11use_defaultEEEtNS9_4plusIvEEtEEDaPvRmT3_T4_T5_mT6_P12ihipStream_tbENKUlT_T0_E_clISt17integral_constantIbLb1EESW_IbLb0EEEEDaSS_ST_EUlSS_E_NS1_11comp_targetILNS1_3genE10ELNS1_11target_archE1201ELNS1_3gpuE5ELNS1_3repE0EEENS1_30default_config_static_selectorELNS0_4arch9wavefront6targetE1EEEvT1_
                                        ; -- End function
	.section	.AMDGPU.csdata,"",@progbits
; Kernel info:
; codeLenInByte = 0
; NumSgprs: 4
; NumVgprs: 0
; NumAgprs: 0
; TotalNumVgprs: 0
; ScratchSize: 0
; MemoryBound: 0
; FloatMode: 240
; IeeeMode: 1
; LDSByteSize: 0 bytes/workgroup (compile time only)
; SGPRBlocks: 0
; VGPRBlocks: 0
; NumSGPRsForWavesPerEU: 4
; NumVGPRsForWavesPerEU: 1
; AccumOffset: 4
; Occupancy: 8
; WaveLimiterHint : 0
; COMPUTE_PGM_RSRC2:SCRATCH_EN: 0
; COMPUTE_PGM_RSRC2:USER_SGPR: 6
; COMPUTE_PGM_RSRC2:TRAP_HANDLER: 0
; COMPUTE_PGM_RSRC2:TGID_X_EN: 1
; COMPUTE_PGM_RSRC2:TGID_Y_EN: 0
; COMPUTE_PGM_RSRC2:TGID_Z_EN: 0
; COMPUTE_PGM_RSRC2:TIDIG_COMP_CNT: 0
; COMPUTE_PGM_RSRC3_GFX90A:ACCUM_OFFSET: 0
; COMPUTE_PGM_RSRC3_GFX90A:TG_SPLIT: 0
	.section	.text._ZN7rocprim17ROCPRIM_400000_NS6detail17trampoline_kernelINS0_14default_configENS1_20scan_config_selectorItEEZZNS1_9scan_implILNS1_25lookback_scan_determinismE0ELb1ELb1ES3_N6thrust23THRUST_200600_302600_NS6detail15normal_iteratorINS9_10device_ptrItEEEENS9_16discard_iteratorINS9_11use_defaultEEEtNS9_4plusIvEEtEEDaPvRmT3_T4_T5_mT6_P12ihipStream_tbENKUlT_T0_E_clISt17integral_constantIbLb1EESW_IbLb0EEEEDaSS_ST_EUlSS_E_NS1_11comp_targetILNS1_3genE10ELNS1_11target_archE1200ELNS1_3gpuE4ELNS1_3repE0EEENS1_30default_config_static_selectorELNS0_4arch9wavefront6targetE1EEEvT1_,"axG",@progbits,_ZN7rocprim17ROCPRIM_400000_NS6detail17trampoline_kernelINS0_14default_configENS1_20scan_config_selectorItEEZZNS1_9scan_implILNS1_25lookback_scan_determinismE0ELb1ELb1ES3_N6thrust23THRUST_200600_302600_NS6detail15normal_iteratorINS9_10device_ptrItEEEENS9_16discard_iteratorINS9_11use_defaultEEEtNS9_4plusIvEEtEEDaPvRmT3_T4_T5_mT6_P12ihipStream_tbENKUlT_T0_E_clISt17integral_constantIbLb1EESW_IbLb0EEEEDaSS_ST_EUlSS_E_NS1_11comp_targetILNS1_3genE10ELNS1_11target_archE1200ELNS1_3gpuE4ELNS1_3repE0EEENS1_30default_config_static_selectorELNS0_4arch9wavefront6targetE1EEEvT1_,comdat
	.protected	_ZN7rocprim17ROCPRIM_400000_NS6detail17trampoline_kernelINS0_14default_configENS1_20scan_config_selectorItEEZZNS1_9scan_implILNS1_25lookback_scan_determinismE0ELb1ELb1ES3_N6thrust23THRUST_200600_302600_NS6detail15normal_iteratorINS9_10device_ptrItEEEENS9_16discard_iteratorINS9_11use_defaultEEEtNS9_4plusIvEEtEEDaPvRmT3_T4_T5_mT6_P12ihipStream_tbENKUlT_T0_E_clISt17integral_constantIbLb1EESW_IbLb0EEEEDaSS_ST_EUlSS_E_NS1_11comp_targetILNS1_3genE10ELNS1_11target_archE1200ELNS1_3gpuE4ELNS1_3repE0EEENS1_30default_config_static_selectorELNS0_4arch9wavefront6targetE1EEEvT1_ ; -- Begin function _ZN7rocprim17ROCPRIM_400000_NS6detail17trampoline_kernelINS0_14default_configENS1_20scan_config_selectorItEEZZNS1_9scan_implILNS1_25lookback_scan_determinismE0ELb1ELb1ES3_N6thrust23THRUST_200600_302600_NS6detail15normal_iteratorINS9_10device_ptrItEEEENS9_16discard_iteratorINS9_11use_defaultEEEtNS9_4plusIvEEtEEDaPvRmT3_T4_T5_mT6_P12ihipStream_tbENKUlT_T0_E_clISt17integral_constantIbLb1EESW_IbLb0EEEEDaSS_ST_EUlSS_E_NS1_11comp_targetILNS1_3genE10ELNS1_11target_archE1200ELNS1_3gpuE4ELNS1_3repE0EEENS1_30default_config_static_selectorELNS0_4arch9wavefront6targetE1EEEvT1_
	.globl	_ZN7rocprim17ROCPRIM_400000_NS6detail17trampoline_kernelINS0_14default_configENS1_20scan_config_selectorItEEZZNS1_9scan_implILNS1_25lookback_scan_determinismE0ELb1ELb1ES3_N6thrust23THRUST_200600_302600_NS6detail15normal_iteratorINS9_10device_ptrItEEEENS9_16discard_iteratorINS9_11use_defaultEEEtNS9_4plusIvEEtEEDaPvRmT3_T4_T5_mT6_P12ihipStream_tbENKUlT_T0_E_clISt17integral_constantIbLb1EESW_IbLb0EEEEDaSS_ST_EUlSS_E_NS1_11comp_targetILNS1_3genE10ELNS1_11target_archE1200ELNS1_3gpuE4ELNS1_3repE0EEENS1_30default_config_static_selectorELNS0_4arch9wavefront6targetE1EEEvT1_
	.p2align	8
	.type	_ZN7rocprim17ROCPRIM_400000_NS6detail17trampoline_kernelINS0_14default_configENS1_20scan_config_selectorItEEZZNS1_9scan_implILNS1_25lookback_scan_determinismE0ELb1ELb1ES3_N6thrust23THRUST_200600_302600_NS6detail15normal_iteratorINS9_10device_ptrItEEEENS9_16discard_iteratorINS9_11use_defaultEEEtNS9_4plusIvEEtEEDaPvRmT3_T4_T5_mT6_P12ihipStream_tbENKUlT_T0_E_clISt17integral_constantIbLb1EESW_IbLb0EEEEDaSS_ST_EUlSS_E_NS1_11comp_targetILNS1_3genE10ELNS1_11target_archE1200ELNS1_3gpuE4ELNS1_3repE0EEENS1_30default_config_static_selectorELNS0_4arch9wavefront6targetE1EEEvT1_,@function
_ZN7rocprim17ROCPRIM_400000_NS6detail17trampoline_kernelINS0_14default_configENS1_20scan_config_selectorItEEZZNS1_9scan_implILNS1_25lookback_scan_determinismE0ELb1ELb1ES3_N6thrust23THRUST_200600_302600_NS6detail15normal_iteratorINS9_10device_ptrItEEEENS9_16discard_iteratorINS9_11use_defaultEEEtNS9_4plusIvEEtEEDaPvRmT3_T4_T5_mT6_P12ihipStream_tbENKUlT_T0_E_clISt17integral_constantIbLb1EESW_IbLb0EEEEDaSS_ST_EUlSS_E_NS1_11comp_targetILNS1_3genE10ELNS1_11target_archE1200ELNS1_3gpuE4ELNS1_3repE0EEENS1_30default_config_static_selectorELNS0_4arch9wavefront6targetE1EEEvT1_: ; @_ZN7rocprim17ROCPRIM_400000_NS6detail17trampoline_kernelINS0_14default_configENS1_20scan_config_selectorItEEZZNS1_9scan_implILNS1_25lookback_scan_determinismE0ELb1ELb1ES3_N6thrust23THRUST_200600_302600_NS6detail15normal_iteratorINS9_10device_ptrItEEEENS9_16discard_iteratorINS9_11use_defaultEEEtNS9_4plusIvEEtEEDaPvRmT3_T4_T5_mT6_P12ihipStream_tbENKUlT_T0_E_clISt17integral_constantIbLb1EESW_IbLb0EEEEDaSS_ST_EUlSS_E_NS1_11comp_targetILNS1_3genE10ELNS1_11target_archE1200ELNS1_3gpuE4ELNS1_3repE0EEENS1_30default_config_static_selectorELNS0_4arch9wavefront6targetE1EEEvT1_
; %bb.0:
	.section	.rodata,"a",@progbits
	.p2align	6, 0x0
	.amdhsa_kernel _ZN7rocprim17ROCPRIM_400000_NS6detail17trampoline_kernelINS0_14default_configENS1_20scan_config_selectorItEEZZNS1_9scan_implILNS1_25lookback_scan_determinismE0ELb1ELb1ES3_N6thrust23THRUST_200600_302600_NS6detail15normal_iteratorINS9_10device_ptrItEEEENS9_16discard_iteratorINS9_11use_defaultEEEtNS9_4plusIvEEtEEDaPvRmT3_T4_T5_mT6_P12ihipStream_tbENKUlT_T0_E_clISt17integral_constantIbLb1EESW_IbLb0EEEEDaSS_ST_EUlSS_E_NS1_11comp_targetILNS1_3genE10ELNS1_11target_archE1200ELNS1_3gpuE4ELNS1_3repE0EEENS1_30default_config_static_selectorELNS0_4arch9wavefront6targetE1EEEvT1_
		.amdhsa_group_segment_fixed_size 0
		.amdhsa_private_segment_fixed_size 0
		.amdhsa_kernarg_size 104
		.amdhsa_user_sgpr_count 6
		.amdhsa_user_sgpr_private_segment_buffer 1
		.amdhsa_user_sgpr_dispatch_ptr 0
		.amdhsa_user_sgpr_queue_ptr 0
		.amdhsa_user_sgpr_kernarg_segment_ptr 1
		.amdhsa_user_sgpr_dispatch_id 0
		.amdhsa_user_sgpr_flat_scratch_init 0
		.amdhsa_user_sgpr_kernarg_preload_length 0
		.amdhsa_user_sgpr_kernarg_preload_offset 0
		.amdhsa_user_sgpr_private_segment_size 0
		.amdhsa_uses_dynamic_stack 0
		.amdhsa_system_sgpr_private_segment_wavefront_offset 0
		.amdhsa_system_sgpr_workgroup_id_x 1
		.amdhsa_system_sgpr_workgroup_id_y 0
		.amdhsa_system_sgpr_workgroup_id_z 0
		.amdhsa_system_sgpr_workgroup_info 0
		.amdhsa_system_vgpr_workitem_id 0
		.amdhsa_next_free_vgpr 1
		.amdhsa_next_free_sgpr 0
		.amdhsa_accum_offset 4
		.amdhsa_reserve_vcc 0
		.amdhsa_reserve_flat_scratch 0
		.amdhsa_float_round_mode_32 0
		.amdhsa_float_round_mode_16_64 0
		.amdhsa_float_denorm_mode_32 3
		.amdhsa_float_denorm_mode_16_64 3
		.amdhsa_dx10_clamp 1
		.amdhsa_ieee_mode 1
		.amdhsa_fp16_overflow 0
		.amdhsa_tg_split 0
		.amdhsa_exception_fp_ieee_invalid_op 0
		.amdhsa_exception_fp_denorm_src 0
		.amdhsa_exception_fp_ieee_div_zero 0
		.amdhsa_exception_fp_ieee_overflow 0
		.amdhsa_exception_fp_ieee_underflow 0
		.amdhsa_exception_fp_ieee_inexact 0
		.amdhsa_exception_int_div_zero 0
	.end_amdhsa_kernel
	.section	.text._ZN7rocprim17ROCPRIM_400000_NS6detail17trampoline_kernelINS0_14default_configENS1_20scan_config_selectorItEEZZNS1_9scan_implILNS1_25lookback_scan_determinismE0ELb1ELb1ES3_N6thrust23THRUST_200600_302600_NS6detail15normal_iteratorINS9_10device_ptrItEEEENS9_16discard_iteratorINS9_11use_defaultEEEtNS9_4plusIvEEtEEDaPvRmT3_T4_T5_mT6_P12ihipStream_tbENKUlT_T0_E_clISt17integral_constantIbLb1EESW_IbLb0EEEEDaSS_ST_EUlSS_E_NS1_11comp_targetILNS1_3genE10ELNS1_11target_archE1200ELNS1_3gpuE4ELNS1_3repE0EEENS1_30default_config_static_selectorELNS0_4arch9wavefront6targetE1EEEvT1_,"axG",@progbits,_ZN7rocprim17ROCPRIM_400000_NS6detail17trampoline_kernelINS0_14default_configENS1_20scan_config_selectorItEEZZNS1_9scan_implILNS1_25lookback_scan_determinismE0ELb1ELb1ES3_N6thrust23THRUST_200600_302600_NS6detail15normal_iteratorINS9_10device_ptrItEEEENS9_16discard_iteratorINS9_11use_defaultEEEtNS9_4plusIvEEtEEDaPvRmT3_T4_T5_mT6_P12ihipStream_tbENKUlT_T0_E_clISt17integral_constantIbLb1EESW_IbLb0EEEEDaSS_ST_EUlSS_E_NS1_11comp_targetILNS1_3genE10ELNS1_11target_archE1200ELNS1_3gpuE4ELNS1_3repE0EEENS1_30default_config_static_selectorELNS0_4arch9wavefront6targetE1EEEvT1_,comdat
.Lfunc_end5552:
	.size	_ZN7rocprim17ROCPRIM_400000_NS6detail17trampoline_kernelINS0_14default_configENS1_20scan_config_selectorItEEZZNS1_9scan_implILNS1_25lookback_scan_determinismE0ELb1ELb1ES3_N6thrust23THRUST_200600_302600_NS6detail15normal_iteratorINS9_10device_ptrItEEEENS9_16discard_iteratorINS9_11use_defaultEEEtNS9_4plusIvEEtEEDaPvRmT3_T4_T5_mT6_P12ihipStream_tbENKUlT_T0_E_clISt17integral_constantIbLb1EESW_IbLb0EEEEDaSS_ST_EUlSS_E_NS1_11comp_targetILNS1_3genE10ELNS1_11target_archE1200ELNS1_3gpuE4ELNS1_3repE0EEENS1_30default_config_static_selectorELNS0_4arch9wavefront6targetE1EEEvT1_, .Lfunc_end5552-_ZN7rocprim17ROCPRIM_400000_NS6detail17trampoline_kernelINS0_14default_configENS1_20scan_config_selectorItEEZZNS1_9scan_implILNS1_25lookback_scan_determinismE0ELb1ELb1ES3_N6thrust23THRUST_200600_302600_NS6detail15normal_iteratorINS9_10device_ptrItEEEENS9_16discard_iteratorINS9_11use_defaultEEEtNS9_4plusIvEEtEEDaPvRmT3_T4_T5_mT6_P12ihipStream_tbENKUlT_T0_E_clISt17integral_constantIbLb1EESW_IbLb0EEEEDaSS_ST_EUlSS_E_NS1_11comp_targetILNS1_3genE10ELNS1_11target_archE1200ELNS1_3gpuE4ELNS1_3repE0EEENS1_30default_config_static_selectorELNS0_4arch9wavefront6targetE1EEEvT1_
                                        ; -- End function
	.section	.AMDGPU.csdata,"",@progbits
; Kernel info:
; codeLenInByte = 0
; NumSgprs: 4
; NumVgprs: 0
; NumAgprs: 0
; TotalNumVgprs: 0
; ScratchSize: 0
; MemoryBound: 0
; FloatMode: 240
; IeeeMode: 1
; LDSByteSize: 0 bytes/workgroup (compile time only)
; SGPRBlocks: 0
; VGPRBlocks: 0
; NumSGPRsForWavesPerEU: 4
; NumVGPRsForWavesPerEU: 1
; AccumOffset: 4
; Occupancy: 8
; WaveLimiterHint : 0
; COMPUTE_PGM_RSRC2:SCRATCH_EN: 0
; COMPUTE_PGM_RSRC2:USER_SGPR: 6
; COMPUTE_PGM_RSRC2:TRAP_HANDLER: 0
; COMPUTE_PGM_RSRC2:TGID_X_EN: 1
; COMPUTE_PGM_RSRC2:TGID_Y_EN: 0
; COMPUTE_PGM_RSRC2:TGID_Z_EN: 0
; COMPUTE_PGM_RSRC2:TIDIG_COMP_CNT: 0
; COMPUTE_PGM_RSRC3_GFX90A:ACCUM_OFFSET: 0
; COMPUTE_PGM_RSRC3_GFX90A:TG_SPLIT: 0
	.section	.text._ZN7rocprim17ROCPRIM_400000_NS6detail17trampoline_kernelINS0_14default_configENS1_20scan_config_selectorItEEZZNS1_9scan_implILNS1_25lookback_scan_determinismE0ELb1ELb1ES3_N6thrust23THRUST_200600_302600_NS6detail15normal_iteratorINS9_10device_ptrItEEEENS9_16discard_iteratorINS9_11use_defaultEEEtNS9_4plusIvEEtEEDaPvRmT3_T4_T5_mT6_P12ihipStream_tbENKUlT_T0_E_clISt17integral_constantIbLb1EESW_IbLb0EEEEDaSS_ST_EUlSS_E_NS1_11comp_targetILNS1_3genE9ELNS1_11target_archE1100ELNS1_3gpuE3ELNS1_3repE0EEENS1_30default_config_static_selectorELNS0_4arch9wavefront6targetE1EEEvT1_,"axG",@progbits,_ZN7rocprim17ROCPRIM_400000_NS6detail17trampoline_kernelINS0_14default_configENS1_20scan_config_selectorItEEZZNS1_9scan_implILNS1_25lookback_scan_determinismE0ELb1ELb1ES3_N6thrust23THRUST_200600_302600_NS6detail15normal_iteratorINS9_10device_ptrItEEEENS9_16discard_iteratorINS9_11use_defaultEEEtNS9_4plusIvEEtEEDaPvRmT3_T4_T5_mT6_P12ihipStream_tbENKUlT_T0_E_clISt17integral_constantIbLb1EESW_IbLb0EEEEDaSS_ST_EUlSS_E_NS1_11comp_targetILNS1_3genE9ELNS1_11target_archE1100ELNS1_3gpuE3ELNS1_3repE0EEENS1_30default_config_static_selectorELNS0_4arch9wavefront6targetE1EEEvT1_,comdat
	.protected	_ZN7rocprim17ROCPRIM_400000_NS6detail17trampoline_kernelINS0_14default_configENS1_20scan_config_selectorItEEZZNS1_9scan_implILNS1_25lookback_scan_determinismE0ELb1ELb1ES3_N6thrust23THRUST_200600_302600_NS6detail15normal_iteratorINS9_10device_ptrItEEEENS9_16discard_iteratorINS9_11use_defaultEEEtNS9_4plusIvEEtEEDaPvRmT3_T4_T5_mT6_P12ihipStream_tbENKUlT_T0_E_clISt17integral_constantIbLb1EESW_IbLb0EEEEDaSS_ST_EUlSS_E_NS1_11comp_targetILNS1_3genE9ELNS1_11target_archE1100ELNS1_3gpuE3ELNS1_3repE0EEENS1_30default_config_static_selectorELNS0_4arch9wavefront6targetE1EEEvT1_ ; -- Begin function _ZN7rocprim17ROCPRIM_400000_NS6detail17trampoline_kernelINS0_14default_configENS1_20scan_config_selectorItEEZZNS1_9scan_implILNS1_25lookback_scan_determinismE0ELb1ELb1ES3_N6thrust23THRUST_200600_302600_NS6detail15normal_iteratorINS9_10device_ptrItEEEENS9_16discard_iteratorINS9_11use_defaultEEEtNS9_4plusIvEEtEEDaPvRmT3_T4_T5_mT6_P12ihipStream_tbENKUlT_T0_E_clISt17integral_constantIbLb1EESW_IbLb0EEEEDaSS_ST_EUlSS_E_NS1_11comp_targetILNS1_3genE9ELNS1_11target_archE1100ELNS1_3gpuE3ELNS1_3repE0EEENS1_30default_config_static_selectorELNS0_4arch9wavefront6targetE1EEEvT1_
	.globl	_ZN7rocprim17ROCPRIM_400000_NS6detail17trampoline_kernelINS0_14default_configENS1_20scan_config_selectorItEEZZNS1_9scan_implILNS1_25lookback_scan_determinismE0ELb1ELb1ES3_N6thrust23THRUST_200600_302600_NS6detail15normal_iteratorINS9_10device_ptrItEEEENS9_16discard_iteratorINS9_11use_defaultEEEtNS9_4plusIvEEtEEDaPvRmT3_T4_T5_mT6_P12ihipStream_tbENKUlT_T0_E_clISt17integral_constantIbLb1EESW_IbLb0EEEEDaSS_ST_EUlSS_E_NS1_11comp_targetILNS1_3genE9ELNS1_11target_archE1100ELNS1_3gpuE3ELNS1_3repE0EEENS1_30default_config_static_selectorELNS0_4arch9wavefront6targetE1EEEvT1_
	.p2align	8
	.type	_ZN7rocprim17ROCPRIM_400000_NS6detail17trampoline_kernelINS0_14default_configENS1_20scan_config_selectorItEEZZNS1_9scan_implILNS1_25lookback_scan_determinismE0ELb1ELb1ES3_N6thrust23THRUST_200600_302600_NS6detail15normal_iteratorINS9_10device_ptrItEEEENS9_16discard_iteratorINS9_11use_defaultEEEtNS9_4plusIvEEtEEDaPvRmT3_T4_T5_mT6_P12ihipStream_tbENKUlT_T0_E_clISt17integral_constantIbLb1EESW_IbLb0EEEEDaSS_ST_EUlSS_E_NS1_11comp_targetILNS1_3genE9ELNS1_11target_archE1100ELNS1_3gpuE3ELNS1_3repE0EEENS1_30default_config_static_selectorELNS0_4arch9wavefront6targetE1EEEvT1_,@function
_ZN7rocprim17ROCPRIM_400000_NS6detail17trampoline_kernelINS0_14default_configENS1_20scan_config_selectorItEEZZNS1_9scan_implILNS1_25lookback_scan_determinismE0ELb1ELb1ES3_N6thrust23THRUST_200600_302600_NS6detail15normal_iteratorINS9_10device_ptrItEEEENS9_16discard_iteratorINS9_11use_defaultEEEtNS9_4plusIvEEtEEDaPvRmT3_T4_T5_mT6_P12ihipStream_tbENKUlT_T0_E_clISt17integral_constantIbLb1EESW_IbLb0EEEEDaSS_ST_EUlSS_E_NS1_11comp_targetILNS1_3genE9ELNS1_11target_archE1100ELNS1_3gpuE3ELNS1_3repE0EEENS1_30default_config_static_selectorELNS0_4arch9wavefront6targetE1EEEvT1_: ; @_ZN7rocprim17ROCPRIM_400000_NS6detail17trampoline_kernelINS0_14default_configENS1_20scan_config_selectorItEEZZNS1_9scan_implILNS1_25lookback_scan_determinismE0ELb1ELb1ES3_N6thrust23THRUST_200600_302600_NS6detail15normal_iteratorINS9_10device_ptrItEEEENS9_16discard_iteratorINS9_11use_defaultEEEtNS9_4plusIvEEtEEDaPvRmT3_T4_T5_mT6_P12ihipStream_tbENKUlT_T0_E_clISt17integral_constantIbLb1EESW_IbLb0EEEEDaSS_ST_EUlSS_E_NS1_11comp_targetILNS1_3genE9ELNS1_11target_archE1100ELNS1_3gpuE3ELNS1_3repE0EEENS1_30default_config_static_selectorELNS0_4arch9wavefront6targetE1EEEvT1_
; %bb.0:
	.section	.rodata,"a",@progbits
	.p2align	6, 0x0
	.amdhsa_kernel _ZN7rocprim17ROCPRIM_400000_NS6detail17trampoline_kernelINS0_14default_configENS1_20scan_config_selectorItEEZZNS1_9scan_implILNS1_25lookback_scan_determinismE0ELb1ELb1ES3_N6thrust23THRUST_200600_302600_NS6detail15normal_iteratorINS9_10device_ptrItEEEENS9_16discard_iteratorINS9_11use_defaultEEEtNS9_4plusIvEEtEEDaPvRmT3_T4_T5_mT6_P12ihipStream_tbENKUlT_T0_E_clISt17integral_constantIbLb1EESW_IbLb0EEEEDaSS_ST_EUlSS_E_NS1_11comp_targetILNS1_3genE9ELNS1_11target_archE1100ELNS1_3gpuE3ELNS1_3repE0EEENS1_30default_config_static_selectorELNS0_4arch9wavefront6targetE1EEEvT1_
		.amdhsa_group_segment_fixed_size 0
		.amdhsa_private_segment_fixed_size 0
		.amdhsa_kernarg_size 104
		.amdhsa_user_sgpr_count 6
		.amdhsa_user_sgpr_private_segment_buffer 1
		.amdhsa_user_sgpr_dispatch_ptr 0
		.amdhsa_user_sgpr_queue_ptr 0
		.amdhsa_user_sgpr_kernarg_segment_ptr 1
		.amdhsa_user_sgpr_dispatch_id 0
		.amdhsa_user_sgpr_flat_scratch_init 0
		.amdhsa_user_sgpr_kernarg_preload_length 0
		.amdhsa_user_sgpr_kernarg_preload_offset 0
		.amdhsa_user_sgpr_private_segment_size 0
		.amdhsa_uses_dynamic_stack 0
		.amdhsa_system_sgpr_private_segment_wavefront_offset 0
		.amdhsa_system_sgpr_workgroup_id_x 1
		.amdhsa_system_sgpr_workgroup_id_y 0
		.amdhsa_system_sgpr_workgroup_id_z 0
		.amdhsa_system_sgpr_workgroup_info 0
		.amdhsa_system_vgpr_workitem_id 0
		.amdhsa_next_free_vgpr 1
		.amdhsa_next_free_sgpr 0
		.amdhsa_accum_offset 4
		.amdhsa_reserve_vcc 0
		.amdhsa_reserve_flat_scratch 0
		.amdhsa_float_round_mode_32 0
		.amdhsa_float_round_mode_16_64 0
		.amdhsa_float_denorm_mode_32 3
		.amdhsa_float_denorm_mode_16_64 3
		.amdhsa_dx10_clamp 1
		.amdhsa_ieee_mode 1
		.amdhsa_fp16_overflow 0
		.amdhsa_tg_split 0
		.amdhsa_exception_fp_ieee_invalid_op 0
		.amdhsa_exception_fp_denorm_src 0
		.amdhsa_exception_fp_ieee_div_zero 0
		.amdhsa_exception_fp_ieee_overflow 0
		.amdhsa_exception_fp_ieee_underflow 0
		.amdhsa_exception_fp_ieee_inexact 0
		.amdhsa_exception_int_div_zero 0
	.end_amdhsa_kernel
	.section	.text._ZN7rocprim17ROCPRIM_400000_NS6detail17trampoline_kernelINS0_14default_configENS1_20scan_config_selectorItEEZZNS1_9scan_implILNS1_25lookback_scan_determinismE0ELb1ELb1ES3_N6thrust23THRUST_200600_302600_NS6detail15normal_iteratorINS9_10device_ptrItEEEENS9_16discard_iteratorINS9_11use_defaultEEEtNS9_4plusIvEEtEEDaPvRmT3_T4_T5_mT6_P12ihipStream_tbENKUlT_T0_E_clISt17integral_constantIbLb1EESW_IbLb0EEEEDaSS_ST_EUlSS_E_NS1_11comp_targetILNS1_3genE9ELNS1_11target_archE1100ELNS1_3gpuE3ELNS1_3repE0EEENS1_30default_config_static_selectorELNS0_4arch9wavefront6targetE1EEEvT1_,"axG",@progbits,_ZN7rocprim17ROCPRIM_400000_NS6detail17trampoline_kernelINS0_14default_configENS1_20scan_config_selectorItEEZZNS1_9scan_implILNS1_25lookback_scan_determinismE0ELb1ELb1ES3_N6thrust23THRUST_200600_302600_NS6detail15normal_iteratorINS9_10device_ptrItEEEENS9_16discard_iteratorINS9_11use_defaultEEEtNS9_4plusIvEEtEEDaPvRmT3_T4_T5_mT6_P12ihipStream_tbENKUlT_T0_E_clISt17integral_constantIbLb1EESW_IbLb0EEEEDaSS_ST_EUlSS_E_NS1_11comp_targetILNS1_3genE9ELNS1_11target_archE1100ELNS1_3gpuE3ELNS1_3repE0EEENS1_30default_config_static_selectorELNS0_4arch9wavefront6targetE1EEEvT1_,comdat
.Lfunc_end5553:
	.size	_ZN7rocprim17ROCPRIM_400000_NS6detail17trampoline_kernelINS0_14default_configENS1_20scan_config_selectorItEEZZNS1_9scan_implILNS1_25lookback_scan_determinismE0ELb1ELb1ES3_N6thrust23THRUST_200600_302600_NS6detail15normal_iteratorINS9_10device_ptrItEEEENS9_16discard_iteratorINS9_11use_defaultEEEtNS9_4plusIvEEtEEDaPvRmT3_T4_T5_mT6_P12ihipStream_tbENKUlT_T0_E_clISt17integral_constantIbLb1EESW_IbLb0EEEEDaSS_ST_EUlSS_E_NS1_11comp_targetILNS1_3genE9ELNS1_11target_archE1100ELNS1_3gpuE3ELNS1_3repE0EEENS1_30default_config_static_selectorELNS0_4arch9wavefront6targetE1EEEvT1_, .Lfunc_end5553-_ZN7rocprim17ROCPRIM_400000_NS6detail17trampoline_kernelINS0_14default_configENS1_20scan_config_selectorItEEZZNS1_9scan_implILNS1_25lookback_scan_determinismE0ELb1ELb1ES3_N6thrust23THRUST_200600_302600_NS6detail15normal_iteratorINS9_10device_ptrItEEEENS9_16discard_iteratorINS9_11use_defaultEEEtNS9_4plusIvEEtEEDaPvRmT3_T4_T5_mT6_P12ihipStream_tbENKUlT_T0_E_clISt17integral_constantIbLb1EESW_IbLb0EEEEDaSS_ST_EUlSS_E_NS1_11comp_targetILNS1_3genE9ELNS1_11target_archE1100ELNS1_3gpuE3ELNS1_3repE0EEENS1_30default_config_static_selectorELNS0_4arch9wavefront6targetE1EEEvT1_
                                        ; -- End function
	.section	.AMDGPU.csdata,"",@progbits
; Kernel info:
; codeLenInByte = 0
; NumSgprs: 4
; NumVgprs: 0
; NumAgprs: 0
; TotalNumVgprs: 0
; ScratchSize: 0
; MemoryBound: 0
; FloatMode: 240
; IeeeMode: 1
; LDSByteSize: 0 bytes/workgroup (compile time only)
; SGPRBlocks: 0
; VGPRBlocks: 0
; NumSGPRsForWavesPerEU: 4
; NumVGPRsForWavesPerEU: 1
; AccumOffset: 4
; Occupancy: 8
; WaveLimiterHint : 0
; COMPUTE_PGM_RSRC2:SCRATCH_EN: 0
; COMPUTE_PGM_RSRC2:USER_SGPR: 6
; COMPUTE_PGM_RSRC2:TRAP_HANDLER: 0
; COMPUTE_PGM_RSRC2:TGID_X_EN: 1
; COMPUTE_PGM_RSRC2:TGID_Y_EN: 0
; COMPUTE_PGM_RSRC2:TGID_Z_EN: 0
; COMPUTE_PGM_RSRC2:TIDIG_COMP_CNT: 0
; COMPUTE_PGM_RSRC3_GFX90A:ACCUM_OFFSET: 0
; COMPUTE_PGM_RSRC3_GFX90A:TG_SPLIT: 0
	.section	.text._ZN7rocprim17ROCPRIM_400000_NS6detail17trampoline_kernelINS0_14default_configENS1_20scan_config_selectorItEEZZNS1_9scan_implILNS1_25lookback_scan_determinismE0ELb1ELb1ES3_N6thrust23THRUST_200600_302600_NS6detail15normal_iteratorINS9_10device_ptrItEEEENS9_16discard_iteratorINS9_11use_defaultEEEtNS9_4plusIvEEtEEDaPvRmT3_T4_T5_mT6_P12ihipStream_tbENKUlT_T0_E_clISt17integral_constantIbLb1EESW_IbLb0EEEEDaSS_ST_EUlSS_E_NS1_11comp_targetILNS1_3genE8ELNS1_11target_archE1030ELNS1_3gpuE2ELNS1_3repE0EEENS1_30default_config_static_selectorELNS0_4arch9wavefront6targetE1EEEvT1_,"axG",@progbits,_ZN7rocprim17ROCPRIM_400000_NS6detail17trampoline_kernelINS0_14default_configENS1_20scan_config_selectorItEEZZNS1_9scan_implILNS1_25lookback_scan_determinismE0ELb1ELb1ES3_N6thrust23THRUST_200600_302600_NS6detail15normal_iteratorINS9_10device_ptrItEEEENS9_16discard_iteratorINS9_11use_defaultEEEtNS9_4plusIvEEtEEDaPvRmT3_T4_T5_mT6_P12ihipStream_tbENKUlT_T0_E_clISt17integral_constantIbLb1EESW_IbLb0EEEEDaSS_ST_EUlSS_E_NS1_11comp_targetILNS1_3genE8ELNS1_11target_archE1030ELNS1_3gpuE2ELNS1_3repE0EEENS1_30default_config_static_selectorELNS0_4arch9wavefront6targetE1EEEvT1_,comdat
	.protected	_ZN7rocprim17ROCPRIM_400000_NS6detail17trampoline_kernelINS0_14default_configENS1_20scan_config_selectorItEEZZNS1_9scan_implILNS1_25lookback_scan_determinismE0ELb1ELb1ES3_N6thrust23THRUST_200600_302600_NS6detail15normal_iteratorINS9_10device_ptrItEEEENS9_16discard_iteratorINS9_11use_defaultEEEtNS9_4plusIvEEtEEDaPvRmT3_T4_T5_mT6_P12ihipStream_tbENKUlT_T0_E_clISt17integral_constantIbLb1EESW_IbLb0EEEEDaSS_ST_EUlSS_E_NS1_11comp_targetILNS1_3genE8ELNS1_11target_archE1030ELNS1_3gpuE2ELNS1_3repE0EEENS1_30default_config_static_selectorELNS0_4arch9wavefront6targetE1EEEvT1_ ; -- Begin function _ZN7rocprim17ROCPRIM_400000_NS6detail17trampoline_kernelINS0_14default_configENS1_20scan_config_selectorItEEZZNS1_9scan_implILNS1_25lookback_scan_determinismE0ELb1ELb1ES3_N6thrust23THRUST_200600_302600_NS6detail15normal_iteratorINS9_10device_ptrItEEEENS9_16discard_iteratorINS9_11use_defaultEEEtNS9_4plusIvEEtEEDaPvRmT3_T4_T5_mT6_P12ihipStream_tbENKUlT_T0_E_clISt17integral_constantIbLb1EESW_IbLb0EEEEDaSS_ST_EUlSS_E_NS1_11comp_targetILNS1_3genE8ELNS1_11target_archE1030ELNS1_3gpuE2ELNS1_3repE0EEENS1_30default_config_static_selectorELNS0_4arch9wavefront6targetE1EEEvT1_
	.globl	_ZN7rocprim17ROCPRIM_400000_NS6detail17trampoline_kernelINS0_14default_configENS1_20scan_config_selectorItEEZZNS1_9scan_implILNS1_25lookback_scan_determinismE0ELb1ELb1ES3_N6thrust23THRUST_200600_302600_NS6detail15normal_iteratorINS9_10device_ptrItEEEENS9_16discard_iteratorINS9_11use_defaultEEEtNS9_4plusIvEEtEEDaPvRmT3_T4_T5_mT6_P12ihipStream_tbENKUlT_T0_E_clISt17integral_constantIbLb1EESW_IbLb0EEEEDaSS_ST_EUlSS_E_NS1_11comp_targetILNS1_3genE8ELNS1_11target_archE1030ELNS1_3gpuE2ELNS1_3repE0EEENS1_30default_config_static_selectorELNS0_4arch9wavefront6targetE1EEEvT1_
	.p2align	8
	.type	_ZN7rocprim17ROCPRIM_400000_NS6detail17trampoline_kernelINS0_14default_configENS1_20scan_config_selectorItEEZZNS1_9scan_implILNS1_25lookback_scan_determinismE0ELb1ELb1ES3_N6thrust23THRUST_200600_302600_NS6detail15normal_iteratorINS9_10device_ptrItEEEENS9_16discard_iteratorINS9_11use_defaultEEEtNS9_4plusIvEEtEEDaPvRmT3_T4_T5_mT6_P12ihipStream_tbENKUlT_T0_E_clISt17integral_constantIbLb1EESW_IbLb0EEEEDaSS_ST_EUlSS_E_NS1_11comp_targetILNS1_3genE8ELNS1_11target_archE1030ELNS1_3gpuE2ELNS1_3repE0EEENS1_30default_config_static_selectorELNS0_4arch9wavefront6targetE1EEEvT1_,@function
_ZN7rocprim17ROCPRIM_400000_NS6detail17trampoline_kernelINS0_14default_configENS1_20scan_config_selectorItEEZZNS1_9scan_implILNS1_25lookback_scan_determinismE0ELb1ELb1ES3_N6thrust23THRUST_200600_302600_NS6detail15normal_iteratorINS9_10device_ptrItEEEENS9_16discard_iteratorINS9_11use_defaultEEEtNS9_4plusIvEEtEEDaPvRmT3_T4_T5_mT6_P12ihipStream_tbENKUlT_T0_E_clISt17integral_constantIbLb1EESW_IbLb0EEEEDaSS_ST_EUlSS_E_NS1_11comp_targetILNS1_3genE8ELNS1_11target_archE1030ELNS1_3gpuE2ELNS1_3repE0EEENS1_30default_config_static_selectorELNS0_4arch9wavefront6targetE1EEEvT1_: ; @_ZN7rocprim17ROCPRIM_400000_NS6detail17trampoline_kernelINS0_14default_configENS1_20scan_config_selectorItEEZZNS1_9scan_implILNS1_25lookback_scan_determinismE0ELb1ELb1ES3_N6thrust23THRUST_200600_302600_NS6detail15normal_iteratorINS9_10device_ptrItEEEENS9_16discard_iteratorINS9_11use_defaultEEEtNS9_4plusIvEEtEEDaPvRmT3_T4_T5_mT6_P12ihipStream_tbENKUlT_T0_E_clISt17integral_constantIbLb1EESW_IbLb0EEEEDaSS_ST_EUlSS_E_NS1_11comp_targetILNS1_3genE8ELNS1_11target_archE1030ELNS1_3gpuE2ELNS1_3repE0EEENS1_30default_config_static_selectorELNS0_4arch9wavefront6targetE1EEEvT1_
; %bb.0:
	.section	.rodata,"a",@progbits
	.p2align	6, 0x0
	.amdhsa_kernel _ZN7rocprim17ROCPRIM_400000_NS6detail17trampoline_kernelINS0_14default_configENS1_20scan_config_selectorItEEZZNS1_9scan_implILNS1_25lookback_scan_determinismE0ELb1ELb1ES3_N6thrust23THRUST_200600_302600_NS6detail15normal_iteratorINS9_10device_ptrItEEEENS9_16discard_iteratorINS9_11use_defaultEEEtNS9_4plusIvEEtEEDaPvRmT3_T4_T5_mT6_P12ihipStream_tbENKUlT_T0_E_clISt17integral_constantIbLb1EESW_IbLb0EEEEDaSS_ST_EUlSS_E_NS1_11comp_targetILNS1_3genE8ELNS1_11target_archE1030ELNS1_3gpuE2ELNS1_3repE0EEENS1_30default_config_static_selectorELNS0_4arch9wavefront6targetE1EEEvT1_
		.amdhsa_group_segment_fixed_size 0
		.amdhsa_private_segment_fixed_size 0
		.amdhsa_kernarg_size 104
		.amdhsa_user_sgpr_count 6
		.amdhsa_user_sgpr_private_segment_buffer 1
		.amdhsa_user_sgpr_dispatch_ptr 0
		.amdhsa_user_sgpr_queue_ptr 0
		.amdhsa_user_sgpr_kernarg_segment_ptr 1
		.amdhsa_user_sgpr_dispatch_id 0
		.amdhsa_user_sgpr_flat_scratch_init 0
		.amdhsa_user_sgpr_kernarg_preload_length 0
		.amdhsa_user_sgpr_kernarg_preload_offset 0
		.amdhsa_user_sgpr_private_segment_size 0
		.amdhsa_uses_dynamic_stack 0
		.amdhsa_system_sgpr_private_segment_wavefront_offset 0
		.amdhsa_system_sgpr_workgroup_id_x 1
		.amdhsa_system_sgpr_workgroup_id_y 0
		.amdhsa_system_sgpr_workgroup_id_z 0
		.amdhsa_system_sgpr_workgroup_info 0
		.amdhsa_system_vgpr_workitem_id 0
		.amdhsa_next_free_vgpr 1
		.amdhsa_next_free_sgpr 0
		.amdhsa_accum_offset 4
		.amdhsa_reserve_vcc 0
		.amdhsa_reserve_flat_scratch 0
		.amdhsa_float_round_mode_32 0
		.amdhsa_float_round_mode_16_64 0
		.amdhsa_float_denorm_mode_32 3
		.amdhsa_float_denorm_mode_16_64 3
		.amdhsa_dx10_clamp 1
		.amdhsa_ieee_mode 1
		.amdhsa_fp16_overflow 0
		.amdhsa_tg_split 0
		.amdhsa_exception_fp_ieee_invalid_op 0
		.amdhsa_exception_fp_denorm_src 0
		.amdhsa_exception_fp_ieee_div_zero 0
		.amdhsa_exception_fp_ieee_overflow 0
		.amdhsa_exception_fp_ieee_underflow 0
		.amdhsa_exception_fp_ieee_inexact 0
		.amdhsa_exception_int_div_zero 0
	.end_amdhsa_kernel
	.section	.text._ZN7rocprim17ROCPRIM_400000_NS6detail17trampoline_kernelINS0_14default_configENS1_20scan_config_selectorItEEZZNS1_9scan_implILNS1_25lookback_scan_determinismE0ELb1ELb1ES3_N6thrust23THRUST_200600_302600_NS6detail15normal_iteratorINS9_10device_ptrItEEEENS9_16discard_iteratorINS9_11use_defaultEEEtNS9_4plusIvEEtEEDaPvRmT3_T4_T5_mT6_P12ihipStream_tbENKUlT_T0_E_clISt17integral_constantIbLb1EESW_IbLb0EEEEDaSS_ST_EUlSS_E_NS1_11comp_targetILNS1_3genE8ELNS1_11target_archE1030ELNS1_3gpuE2ELNS1_3repE0EEENS1_30default_config_static_selectorELNS0_4arch9wavefront6targetE1EEEvT1_,"axG",@progbits,_ZN7rocprim17ROCPRIM_400000_NS6detail17trampoline_kernelINS0_14default_configENS1_20scan_config_selectorItEEZZNS1_9scan_implILNS1_25lookback_scan_determinismE0ELb1ELb1ES3_N6thrust23THRUST_200600_302600_NS6detail15normal_iteratorINS9_10device_ptrItEEEENS9_16discard_iteratorINS9_11use_defaultEEEtNS9_4plusIvEEtEEDaPvRmT3_T4_T5_mT6_P12ihipStream_tbENKUlT_T0_E_clISt17integral_constantIbLb1EESW_IbLb0EEEEDaSS_ST_EUlSS_E_NS1_11comp_targetILNS1_3genE8ELNS1_11target_archE1030ELNS1_3gpuE2ELNS1_3repE0EEENS1_30default_config_static_selectorELNS0_4arch9wavefront6targetE1EEEvT1_,comdat
.Lfunc_end5554:
	.size	_ZN7rocprim17ROCPRIM_400000_NS6detail17trampoline_kernelINS0_14default_configENS1_20scan_config_selectorItEEZZNS1_9scan_implILNS1_25lookback_scan_determinismE0ELb1ELb1ES3_N6thrust23THRUST_200600_302600_NS6detail15normal_iteratorINS9_10device_ptrItEEEENS9_16discard_iteratorINS9_11use_defaultEEEtNS9_4plusIvEEtEEDaPvRmT3_T4_T5_mT6_P12ihipStream_tbENKUlT_T0_E_clISt17integral_constantIbLb1EESW_IbLb0EEEEDaSS_ST_EUlSS_E_NS1_11comp_targetILNS1_3genE8ELNS1_11target_archE1030ELNS1_3gpuE2ELNS1_3repE0EEENS1_30default_config_static_selectorELNS0_4arch9wavefront6targetE1EEEvT1_, .Lfunc_end5554-_ZN7rocprim17ROCPRIM_400000_NS6detail17trampoline_kernelINS0_14default_configENS1_20scan_config_selectorItEEZZNS1_9scan_implILNS1_25lookback_scan_determinismE0ELb1ELb1ES3_N6thrust23THRUST_200600_302600_NS6detail15normal_iteratorINS9_10device_ptrItEEEENS9_16discard_iteratorINS9_11use_defaultEEEtNS9_4plusIvEEtEEDaPvRmT3_T4_T5_mT6_P12ihipStream_tbENKUlT_T0_E_clISt17integral_constantIbLb1EESW_IbLb0EEEEDaSS_ST_EUlSS_E_NS1_11comp_targetILNS1_3genE8ELNS1_11target_archE1030ELNS1_3gpuE2ELNS1_3repE0EEENS1_30default_config_static_selectorELNS0_4arch9wavefront6targetE1EEEvT1_
                                        ; -- End function
	.section	.AMDGPU.csdata,"",@progbits
; Kernel info:
; codeLenInByte = 0
; NumSgprs: 4
; NumVgprs: 0
; NumAgprs: 0
; TotalNumVgprs: 0
; ScratchSize: 0
; MemoryBound: 0
; FloatMode: 240
; IeeeMode: 1
; LDSByteSize: 0 bytes/workgroup (compile time only)
; SGPRBlocks: 0
; VGPRBlocks: 0
; NumSGPRsForWavesPerEU: 4
; NumVGPRsForWavesPerEU: 1
; AccumOffset: 4
; Occupancy: 8
; WaveLimiterHint : 0
; COMPUTE_PGM_RSRC2:SCRATCH_EN: 0
; COMPUTE_PGM_RSRC2:USER_SGPR: 6
; COMPUTE_PGM_RSRC2:TRAP_HANDLER: 0
; COMPUTE_PGM_RSRC2:TGID_X_EN: 1
; COMPUTE_PGM_RSRC2:TGID_Y_EN: 0
; COMPUTE_PGM_RSRC2:TGID_Z_EN: 0
; COMPUTE_PGM_RSRC2:TIDIG_COMP_CNT: 0
; COMPUTE_PGM_RSRC3_GFX90A:ACCUM_OFFSET: 0
; COMPUTE_PGM_RSRC3_GFX90A:TG_SPLIT: 0
	.section	.text._ZN7rocprim17ROCPRIM_400000_NS6detail17trampoline_kernelINS0_14default_configENS1_20scan_config_selectorItEEZZNS1_9scan_implILNS1_25lookback_scan_determinismE0ELb1ELb1ES3_N6thrust23THRUST_200600_302600_NS6detail15normal_iteratorINS9_10device_ptrItEEEENS9_16discard_iteratorINS9_11use_defaultEEEtNS9_4plusIvEEtEEDaPvRmT3_T4_T5_mT6_P12ihipStream_tbENKUlT_T0_E_clISt17integral_constantIbLb1EESW_IbLb0EEEEDaSS_ST_EUlSS_E0_NS1_11comp_targetILNS1_3genE0ELNS1_11target_archE4294967295ELNS1_3gpuE0ELNS1_3repE0EEENS1_30default_config_static_selectorELNS0_4arch9wavefront6targetE1EEEvT1_,"axG",@progbits,_ZN7rocprim17ROCPRIM_400000_NS6detail17trampoline_kernelINS0_14default_configENS1_20scan_config_selectorItEEZZNS1_9scan_implILNS1_25lookback_scan_determinismE0ELb1ELb1ES3_N6thrust23THRUST_200600_302600_NS6detail15normal_iteratorINS9_10device_ptrItEEEENS9_16discard_iteratorINS9_11use_defaultEEEtNS9_4plusIvEEtEEDaPvRmT3_T4_T5_mT6_P12ihipStream_tbENKUlT_T0_E_clISt17integral_constantIbLb1EESW_IbLb0EEEEDaSS_ST_EUlSS_E0_NS1_11comp_targetILNS1_3genE0ELNS1_11target_archE4294967295ELNS1_3gpuE0ELNS1_3repE0EEENS1_30default_config_static_selectorELNS0_4arch9wavefront6targetE1EEEvT1_,comdat
	.protected	_ZN7rocprim17ROCPRIM_400000_NS6detail17trampoline_kernelINS0_14default_configENS1_20scan_config_selectorItEEZZNS1_9scan_implILNS1_25lookback_scan_determinismE0ELb1ELb1ES3_N6thrust23THRUST_200600_302600_NS6detail15normal_iteratorINS9_10device_ptrItEEEENS9_16discard_iteratorINS9_11use_defaultEEEtNS9_4plusIvEEtEEDaPvRmT3_T4_T5_mT6_P12ihipStream_tbENKUlT_T0_E_clISt17integral_constantIbLb1EESW_IbLb0EEEEDaSS_ST_EUlSS_E0_NS1_11comp_targetILNS1_3genE0ELNS1_11target_archE4294967295ELNS1_3gpuE0ELNS1_3repE0EEENS1_30default_config_static_selectorELNS0_4arch9wavefront6targetE1EEEvT1_ ; -- Begin function _ZN7rocprim17ROCPRIM_400000_NS6detail17trampoline_kernelINS0_14default_configENS1_20scan_config_selectorItEEZZNS1_9scan_implILNS1_25lookback_scan_determinismE0ELb1ELb1ES3_N6thrust23THRUST_200600_302600_NS6detail15normal_iteratorINS9_10device_ptrItEEEENS9_16discard_iteratorINS9_11use_defaultEEEtNS9_4plusIvEEtEEDaPvRmT3_T4_T5_mT6_P12ihipStream_tbENKUlT_T0_E_clISt17integral_constantIbLb1EESW_IbLb0EEEEDaSS_ST_EUlSS_E0_NS1_11comp_targetILNS1_3genE0ELNS1_11target_archE4294967295ELNS1_3gpuE0ELNS1_3repE0EEENS1_30default_config_static_selectorELNS0_4arch9wavefront6targetE1EEEvT1_
	.globl	_ZN7rocprim17ROCPRIM_400000_NS6detail17trampoline_kernelINS0_14default_configENS1_20scan_config_selectorItEEZZNS1_9scan_implILNS1_25lookback_scan_determinismE0ELb1ELb1ES3_N6thrust23THRUST_200600_302600_NS6detail15normal_iteratorINS9_10device_ptrItEEEENS9_16discard_iteratorINS9_11use_defaultEEEtNS9_4plusIvEEtEEDaPvRmT3_T4_T5_mT6_P12ihipStream_tbENKUlT_T0_E_clISt17integral_constantIbLb1EESW_IbLb0EEEEDaSS_ST_EUlSS_E0_NS1_11comp_targetILNS1_3genE0ELNS1_11target_archE4294967295ELNS1_3gpuE0ELNS1_3repE0EEENS1_30default_config_static_selectorELNS0_4arch9wavefront6targetE1EEEvT1_
	.p2align	8
	.type	_ZN7rocprim17ROCPRIM_400000_NS6detail17trampoline_kernelINS0_14default_configENS1_20scan_config_selectorItEEZZNS1_9scan_implILNS1_25lookback_scan_determinismE0ELb1ELb1ES3_N6thrust23THRUST_200600_302600_NS6detail15normal_iteratorINS9_10device_ptrItEEEENS9_16discard_iteratorINS9_11use_defaultEEEtNS9_4plusIvEEtEEDaPvRmT3_T4_T5_mT6_P12ihipStream_tbENKUlT_T0_E_clISt17integral_constantIbLb1EESW_IbLb0EEEEDaSS_ST_EUlSS_E0_NS1_11comp_targetILNS1_3genE0ELNS1_11target_archE4294967295ELNS1_3gpuE0ELNS1_3repE0EEENS1_30default_config_static_selectorELNS0_4arch9wavefront6targetE1EEEvT1_,@function
_ZN7rocprim17ROCPRIM_400000_NS6detail17trampoline_kernelINS0_14default_configENS1_20scan_config_selectorItEEZZNS1_9scan_implILNS1_25lookback_scan_determinismE0ELb1ELb1ES3_N6thrust23THRUST_200600_302600_NS6detail15normal_iteratorINS9_10device_ptrItEEEENS9_16discard_iteratorINS9_11use_defaultEEEtNS9_4plusIvEEtEEDaPvRmT3_T4_T5_mT6_P12ihipStream_tbENKUlT_T0_E_clISt17integral_constantIbLb1EESW_IbLb0EEEEDaSS_ST_EUlSS_E0_NS1_11comp_targetILNS1_3genE0ELNS1_11target_archE4294967295ELNS1_3gpuE0ELNS1_3repE0EEENS1_30default_config_static_selectorELNS0_4arch9wavefront6targetE1EEEvT1_: ; @_ZN7rocprim17ROCPRIM_400000_NS6detail17trampoline_kernelINS0_14default_configENS1_20scan_config_selectorItEEZZNS1_9scan_implILNS1_25lookback_scan_determinismE0ELb1ELb1ES3_N6thrust23THRUST_200600_302600_NS6detail15normal_iteratorINS9_10device_ptrItEEEENS9_16discard_iteratorINS9_11use_defaultEEEtNS9_4plusIvEEtEEDaPvRmT3_T4_T5_mT6_P12ihipStream_tbENKUlT_T0_E_clISt17integral_constantIbLb1EESW_IbLb0EEEEDaSS_ST_EUlSS_E0_NS1_11comp_targetILNS1_3genE0ELNS1_11target_archE4294967295ELNS1_3gpuE0ELNS1_3repE0EEENS1_30default_config_static_selectorELNS0_4arch9wavefront6targetE1EEEvT1_
; %bb.0:
	.section	.rodata,"a",@progbits
	.p2align	6, 0x0
	.amdhsa_kernel _ZN7rocprim17ROCPRIM_400000_NS6detail17trampoline_kernelINS0_14default_configENS1_20scan_config_selectorItEEZZNS1_9scan_implILNS1_25lookback_scan_determinismE0ELb1ELb1ES3_N6thrust23THRUST_200600_302600_NS6detail15normal_iteratorINS9_10device_ptrItEEEENS9_16discard_iteratorINS9_11use_defaultEEEtNS9_4plusIvEEtEEDaPvRmT3_T4_T5_mT6_P12ihipStream_tbENKUlT_T0_E_clISt17integral_constantIbLb1EESW_IbLb0EEEEDaSS_ST_EUlSS_E0_NS1_11comp_targetILNS1_3genE0ELNS1_11target_archE4294967295ELNS1_3gpuE0ELNS1_3repE0EEENS1_30default_config_static_selectorELNS0_4arch9wavefront6targetE1EEEvT1_
		.amdhsa_group_segment_fixed_size 0
		.amdhsa_private_segment_fixed_size 0
		.amdhsa_kernarg_size 40
		.amdhsa_user_sgpr_count 6
		.amdhsa_user_sgpr_private_segment_buffer 1
		.amdhsa_user_sgpr_dispatch_ptr 0
		.amdhsa_user_sgpr_queue_ptr 0
		.amdhsa_user_sgpr_kernarg_segment_ptr 1
		.amdhsa_user_sgpr_dispatch_id 0
		.amdhsa_user_sgpr_flat_scratch_init 0
		.amdhsa_user_sgpr_kernarg_preload_length 0
		.amdhsa_user_sgpr_kernarg_preload_offset 0
		.amdhsa_user_sgpr_private_segment_size 0
		.amdhsa_uses_dynamic_stack 0
		.amdhsa_system_sgpr_private_segment_wavefront_offset 0
		.amdhsa_system_sgpr_workgroup_id_x 1
		.amdhsa_system_sgpr_workgroup_id_y 0
		.amdhsa_system_sgpr_workgroup_id_z 0
		.amdhsa_system_sgpr_workgroup_info 0
		.amdhsa_system_vgpr_workitem_id 0
		.amdhsa_next_free_vgpr 1
		.amdhsa_next_free_sgpr 0
		.amdhsa_accum_offset 4
		.amdhsa_reserve_vcc 0
		.amdhsa_reserve_flat_scratch 0
		.amdhsa_float_round_mode_32 0
		.amdhsa_float_round_mode_16_64 0
		.amdhsa_float_denorm_mode_32 3
		.amdhsa_float_denorm_mode_16_64 3
		.amdhsa_dx10_clamp 1
		.amdhsa_ieee_mode 1
		.amdhsa_fp16_overflow 0
		.amdhsa_tg_split 0
		.amdhsa_exception_fp_ieee_invalid_op 0
		.amdhsa_exception_fp_denorm_src 0
		.amdhsa_exception_fp_ieee_div_zero 0
		.amdhsa_exception_fp_ieee_overflow 0
		.amdhsa_exception_fp_ieee_underflow 0
		.amdhsa_exception_fp_ieee_inexact 0
		.amdhsa_exception_int_div_zero 0
	.end_amdhsa_kernel
	.section	.text._ZN7rocprim17ROCPRIM_400000_NS6detail17trampoline_kernelINS0_14default_configENS1_20scan_config_selectorItEEZZNS1_9scan_implILNS1_25lookback_scan_determinismE0ELb1ELb1ES3_N6thrust23THRUST_200600_302600_NS6detail15normal_iteratorINS9_10device_ptrItEEEENS9_16discard_iteratorINS9_11use_defaultEEEtNS9_4plusIvEEtEEDaPvRmT3_T4_T5_mT6_P12ihipStream_tbENKUlT_T0_E_clISt17integral_constantIbLb1EESW_IbLb0EEEEDaSS_ST_EUlSS_E0_NS1_11comp_targetILNS1_3genE0ELNS1_11target_archE4294967295ELNS1_3gpuE0ELNS1_3repE0EEENS1_30default_config_static_selectorELNS0_4arch9wavefront6targetE1EEEvT1_,"axG",@progbits,_ZN7rocprim17ROCPRIM_400000_NS6detail17trampoline_kernelINS0_14default_configENS1_20scan_config_selectorItEEZZNS1_9scan_implILNS1_25lookback_scan_determinismE0ELb1ELb1ES3_N6thrust23THRUST_200600_302600_NS6detail15normal_iteratorINS9_10device_ptrItEEEENS9_16discard_iteratorINS9_11use_defaultEEEtNS9_4plusIvEEtEEDaPvRmT3_T4_T5_mT6_P12ihipStream_tbENKUlT_T0_E_clISt17integral_constantIbLb1EESW_IbLb0EEEEDaSS_ST_EUlSS_E0_NS1_11comp_targetILNS1_3genE0ELNS1_11target_archE4294967295ELNS1_3gpuE0ELNS1_3repE0EEENS1_30default_config_static_selectorELNS0_4arch9wavefront6targetE1EEEvT1_,comdat
.Lfunc_end5555:
	.size	_ZN7rocprim17ROCPRIM_400000_NS6detail17trampoline_kernelINS0_14default_configENS1_20scan_config_selectorItEEZZNS1_9scan_implILNS1_25lookback_scan_determinismE0ELb1ELb1ES3_N6thrust23THRUST_200600_302600_NS6detail15normal_iteratorINS9_10device_ptrItEEEENS9_16discard_iteratorINS9_11use_defaultEEEtNS9_4plusIvEEtEEDaPvRmT3_T4_T5_mT6_P12ihipStream_tbENKUlT_T0_E_clISt17integral_constantIbLb1EESW_IbLb0EEEEDaSS_ST_EUlSS_E0_NS1_11comp_targetILNS1_3genE0ELNS1_11target_archE4294967295ELNS1_3gpuE0ELNS1_3repE0EEENS1_30default_config_static_selectorELNS0_4arch9wavefront6targetE1EEEvT1_, .Lfunc_end5555-_ZN7rocprim17ROCPRIM_400000_NS6detail17trampoline_kernelINS0_14default_configENS1_20scan_config_selectorItEEZZNS1_9scan_implILNS1_25lookback_scan_determinismE0ELb1ELb1ES3_N6thrust23THRUST_200600_302600_NS6detail15normal_iteratorINS9_10device_ptrItEEEENS9_16discard_iteratorINS9_11use_defaultEEEtNS9_4plusIvEEtEEDaPvRmT3_T4_T5_mT6_P12ihipStream_tbENKUlT_T0_E_clISt17integral_constantIbLb1EESW_IbLb0EEEEDaSS_ST_EUlSS_E0_NS1_11comp_targetILNS1_3genE0ELNS1_11target_archE4294967295ELNS1_3gpuE0ELNS1_3repE0EEENS1_30default_config_static_selectorELNS0_4arch9wavefront6targetE1EEEvT1_
                                        ; -- End function
	.section	.AMDGPU.csdata,"",@progbits
; Kernel info:
; codeLenInByte = 0
; NumSgprs: 4
; NumVgprs: 0
; NumAgprs: 0
; TotalNumVgprs: 0
; ScratchSize: 0
; MemoryBound: 0
; FloatMode: 240
; IeeeMode: 1
; LDSByteSize: 0 bytes/workgroup (compile time only)
; SGPRBlocks: 0
; VGPRBlocks: 0
; NumSGPRsForWavesPerEU: 4
; NumVGPRsForWavesPerEU: 1
; AccumOffset: 4
; Occupancy: 8
; WaveLimiterHint : 0
; COMPUTE_PGM_RSRC2:SCRATCH_EN: 0
; COMPUTE_PGM_RSRC2:USER_SGPR: 6
; COMPUTE_PGM_RSRC2:TRAP_HANDLER: 0
; COMPUTE_PGM_RSRC2:TGID_X_EN: 1
; COMPUTE_PGM_RSRC2:TGID_Y_EN: 0
; COMPUTE_PGM_RSRC2:TGID_Z_EN: 0
; COMPUTE_PGM_RSRC2:TIDIG_COMP_CNT: 0
; COMPUTE_PGM_RSRC3_GFX90A:ACCUM_OFFSET: 0
; COMPUTE_PGM_RSRC3_GFX90A:TG_SPLIT: 0
	.section	.text._ZN7rocprim17ROCPRIM_400000_NS6detail17trampoline_kernelINS0_14default_configENS1_20scan_config_selectorItEEZZNS1_9scan_implILNS1_25lookback_scan_determinismE0ELb1ELb1ES3_N6thrust23THRUST_200600_302600_NS6detail15normal_iteratorINS9_10device_ptrItEEEENS9_16discard_iteratorINS9_11use_defaultEEEtNS9_4plusIvEEtEEDaPvRmT3_T4_T5_mT6_P12ihipStream_tbENKUlT_T0_E_clISt17integral_constantIbLb1EESW_IbLb0EEEEDaSS_ST_EUlSS_E0_NS1_11comp_targetILNS1_3genE5ELNS1_11target_archE942ELNS1_3gpuE9ELNS1_3repE0EEENS1_30default_config_static_selectorELNS0_4arch9wavefront6targetE1EEEvT1_,"axG",@progbits,_ZN7rocprim17ROCPRIM_400000_NS6detail17trampoline_kernelINS0_14default_configENS1_20scan_config_selectorItEEZZNS1_9scan_implILNS1_25lookback_scan_determinismE0ELb1ELb1ES3_N6thrust23THRUST_200600_302600_NS6detail15normal_iteratorINS9_10device_ptrItEEEENS9_16discard_iteratorINS9_11use_defaultEEEtNS9_4plusIvEEtEEDaPvRmT3_T4_T5_mT6_P12ihipStream_tbENKUlT_T0_E_clISt17integral_constantIbLb1EESW_IbLb0EEEEDaSS_ST_EUlSS_E0_NS1_11comp_targetILNS1_3genE5ELNS1_11target_archE942ELNS1_3gpuE9ELNS1_3repE0EEENS1_30default_config_static_selectorELNS0_4arch9wavefront6targetE1EEEvT1_,comdat
	.protected	_ZN7rocprim17ROCPRIM_400000_NS6detail17trampoline_kernelINS0_14default_configENS1_20scan_config_selectorItEEZZNS1_9scan_implILNS1_25lookback_scan_determinismE0ELb1ELb1ES3_N6thrust23THRUST_200600_302600_NS6detail15normal_iteratorINS9_10device_ptrItEEEENS9_16discard_iteratorINS9_11use_defaultEEEtNS9_4plusIvEEtEEDaPvRmT3_T4_T5_mT6_P12ihipStream_tbENKUlT_T0_E_clISt17integral_constantIbLb1EESW_IbLb0EEEEDaSS_ST_EUlSS_E0_NS1_11comp_targetILNS1_3genE5ELNS1_11target_archE942ELNS1_3gpuE9ELNS1_3repE0EEENS1_30default_config_static_selectorELNS0_4arch9wavefront6targetE1EEEvT1_ ; -- Begin function _ZN7rocprim17ROCPRIM_400000_NS6detail17trampoline_kernelINS0_14default_configENS1_20scan_config_selectorItEEZZNS1_9scan_implILNS1_25lookback_scan_determinismE0ELb1ELb1ES3_N6thrust23THRUST_200600_302600_NS6detail15normal_iteratorINS9_10device_ptrItEEEENS9_16discard_iteratorINS9_11use_defaultEEEtNS9_4plusIvEEtEEDaPvRmT3_T4_T5_mT6_P12ihipStream_tbENKUlT_T0_E_clISt17integral_constantIbLb1EESW_IbLb0EEEEDaSS_ST_EUlSS_E0_NS1_11comp_targetILNS1_3genE5ELNS1_11target_archE942ELNS1_3gpuE9ELNS1_3repE0EEENS1_30default_config_static_selectorELNS0_4arch9wavefront6targetE1EEEvT1_
	.globl	_ZN7rocprim17ROCPRIM_400000_NS6detail17trampoline_kernelINS0_14default_configENS1_20scan_config_selectorItEEZZNS1_9scan_implILNS1_25lookback_scan_determinismE0ELb1ELb1ES3_N6thrust23THRUST_200600_302600_NS6detail15normal_iteratorINS9_10device_ptrItEEEENS9_16discard_iteratorINS9_11use_defaultEEEtNS9_4plusIvEEtEEDaPvRmT3_T4_T5_mT6_P12ihipStream_tbENKUlT_T0_E_clISt17integral_constantIbLb1EESW_IbLb0EEEEDaSS_ST_EUlSS_E0_NS1_11comp_targetILNS1_3genE5ELNS1_11target_archE942ELNS1_3gpuE9ELNS1_3repE0EEENS1_30default_config_static_selectorELNS0_4arch9wavefront6targetE1EEEvT1_
	.p2align	8
	.type	_ZN7rocprim17ROCPRIM_400000_NS6detail17trampoline_kernelINS0_14default_configENS1_20scan_config_selectorItEEZZNS1_9scan_implILNS1_25lookback_scan_determinismE0ELb1ELb1ES3_N6thrust23THRUST_200600_302600_NS6detail15normal_iteratorINS9_10device_ptrItEEEENS9_16discard_iteratorINS9_11use_defaultEEEtNS9_4plusIvEEtEEDaPvRmT3_T4_T5_mT6_P12ihipStream_tbENKUlT_T0_E_clISt17integral_constantIbLb1EESW_IbLb0EEEEDaSS_ST_EUlSS_E0_NS1_11comp_targetILNS1_3genE5ELNS1_11target_archE942ELNS1_3gpuE9ELNS1_3repE0EEENS1_30default_config_static_selectorELNS0_4arch9wavefront6targetE1EEEvT1_,@function
_ZN7rocprim17ROCPRIM_400000_NS6detail17trampoline_kernelINS0_14default_configENS1_20scan_config_selectorItEEZZNS1_9scan_implILNS1_25lookback_scan_determinismE0ELb1ELb1ES3_N6thrust23THRUST_200600_302600_NS6detail15normal_iteratorINS9_10device_ptrItEEEENS9_16discard_iteratorINS9_11use_defaultEEEtNS9_4plusIvEEtEEDaPvRmT3_T4_T5_mT6_P12ihipStream_tbENKUlT_T0_E_clISt17integral_constantIbLb1EESW_IbLb0EEEEDaSS_ST_EUlSS_E0_NS1_11comp_targetILNS1_3genE5ELNS1_11target_archE942ELNS1_3gpuE9ELNS1_3repE0EEENS1_30default_config_static_selectorELNS0_4arch9wavefront6targetE1EEEvT1_: ; @_ZN7rocprim17ROCPRIM_400000_NS6detail17trampoline_kernelINS0_14default_configENS1_20scan_config_selectorItEEZZNS1_9scan_implILNS1_25lookback_scan_determinismE0ELb1ELb1ES3_N6thrust23THRUST_200600_302600_NS6detail15normal_iteratorINS9_10device_ptrItEEEENS9_16discard_iteratorINS9_11use_defaultEEEtNS9_4plusIvEEtEEDaPvRmT3_T4_T5_mT6_P12ihipStream_tbENKUlT_T0_E_clISt17integral_constantIbLb1EESW_IbLb0EEEEDaSS_ST_EUlSS_E0_NS1_11comp_targetILNS1_3genE5ELNS1_11target_archE942ELNS1_3gpuE9ELNS1_3repE0EEENS1_30default_config_static_selectorELNS0_4arch9wavefront6targetE1EEEvT1_
; %bb.0:
	.section	.rodata,"a",@progbits
	.p2align	6, 0x0
	.amdhsa_kernel _ZN7rocprim17ROCPRIM_400000_NS6detail17trampoline_kernelINS0_14default_configENS1_20scan_config_selectorItEEZZNS1_9scan_implILNS1_25lookback_scan_determinismE0ELb1ELb1ES3_N6thrust23THRUST_200600_302600_NS6detail15normal_iteratorINS9_10device_ptrItEEEENS9_16discard_iteratorINS9_11use_defaultEEEtNS9_4plusIvEEtEEDaPvRmT3_T4_T5_mT6_P12ihipStream_tbENKUlT_T0_E_clISt17integral_constantIbLb1EESW_IbLb0EEEEDaSS_ST_EUlSS_E0_NS1_11comp_targetILNS1_3genE5ELNS1_11target_archE942ELNS1_3gpuE9ELNS1_3repE0EEENS1_30default_config_static_selectorELNS0_4arch9wavefront6targetE1EEEvT1_
		.amdhsa_group_segment_fixed_size 0
		.amdhsa_private_segment_fixed_size 0
		.amdhsa_kernarg_size 40
		.amdhsa_user_sgpr_count 6
		.amdhsa_user_sgpr_private_segment_buffer 1
		.amdhsa_user_sgpr_dispatch_ptr 0
		.amdhsa_user_sgpr_queue_ptr 0
		.amdhsa_user_sgpr_kernarg_segment_ptr 1
		.amdhsa_user_sgpr_dispatch_id 0
		.amdhsa_user_sgpr_flat_scratch_init 0
		.amdhsa_user_sgpr_kernarg_preload_length 0
		.amdhsa_user_sgpr_kernarg_preload_offset 0
		.amdhsa_user_sgpr_private_segment_size 0
		.amdhsa_uses_dynamic_stack 0
		.amdhsa_system_sgpr_private_segment_wavefront_offset 0
		.amdhsa_system_sgpr_workgroup_id_x 1
		.amdhsa_system_sgpr_workgroup_id_y 0
		.amdhsa_system_sgpr_workgroup_id_z 0
		.amdhsa_system_sgpr_workgroup_info 0
		.amdhsa_system_vgpr_workitem_id 0
		.amdhsa_next_free_vgpr 1
		.amdhsa_next_free_sgpr 0
		.amdhsa_accum_offset 4
		.amdhsa_reserve_vcc 0
		.amdhsa_reserve_flat_scratch 0
		.amdhsa_float_round_mode_32 0
		.amdhsa_float_round_mode_16_64 0
		.amdhsa_float_denorm_mode_32 3
		.amdhsa_float_denorm_mode_16_64 3
		.amdhsa_dx10_clamp 1
		.amdhsa_ieee_mode 1
		.amdhsa_fp16_overflow 0
		.amdhsa_tg_split 0
		.amdhsa_exception_fp_ieee_invalid_op 0
		.amdhsa_exception_fp_denorm_src 0
		.amdhsa_exception_fp_ieee_div_zero 0
		.amdhsa_exception_fp_ieee_overflow 0
		.amdhsa_exception_fp_ieee_underflow 0
		.amdhsa_exception_fp_ieee_inexact 0
		.amdhsa_exception_int_div_zero 0
	.end_amdhsa_kernel
	.section	.text._ZN7rocprim17ROCPRIM_400000_NS6detail17trampoline_kernelINS0_14default_configENS1_20scan_config_selectorItEEZZNS1_9scan_implILNS1_25lookback_scan_determinismE0ELb1ELb1ES3_N6thrust23THRUST_200600_302600_NS6detail15normal_iteratorINS9_10device_ptrItEEEENS9_16discard_iteratorINS9_11use_defaultEEEtNS9_4plusIvEEtEEDaPvRmT3_T4_T5_mT6_P12ihipStream_tbENKUlT_T0_E_clISt17integral_constantIbLb1EESW_IbLb0EEEEDaSS_ST_EUlSS_E0_NS1_11comp_targetILNS1_3genE5ELNS1_11target_archE942ELNS1_3gpuE9ELNS1_3repE0EEENS1_30default_config_static_selectorELNS0_4arch9wavefront6targetE1EEEvT1_,"axG",@progbits,_ZN7rocprim17ROCPRIM_400000_NS6detail17trampoline_kernelINS0_14default_configENS1_20scan_config_selectorItEEZZNS1_9scan_implILNS1_25lookback_scan_determinismE0ELb1ELb1ES3_N6thrust23THRUST_200600_302600_NS6detail15normal_iteratorINS9_10device_ptrItEEEENS9_16discard_iteratorINS9_11use_defaultEEEtNS9_4plusIvEEtEEDaPvRmT3_T4_T5_mT6_P12ihipStream_tbENKUlT_T0_E_clISt17integral_constantIbLb1EESW_IbLb0EEEEDaSS_ST_EUlSS_E0_NS1_11comp_targetILNS1_3genE5ELNS1_11target_archE942ELNS1_3gpuE9ELNS1_3repE0EEENS1_30default_config_static_selectorELNS0_4arch9wavefront6targetE1EEEvT1_,comdat
.Lfunc_end5556:
	.size	_ZN7rocprim17ROCPRIM_400000_NS6detail17trampoline_kernelINS0_14default_configENS1_20scan_config_selectorItEEZZNS1_9scan_implILNS1_25lookback_scan_determinismE0ELb1ELb1ES3_N6thrust23THRUST_200600_302600_NS6detail15normal_iteratorINS9_10device_ptrItEEEENS9_16discard_iteratorINS9_11use_defaultEEEtNS9_4plusIvEEtEEDaPvRmT3_T4_T5_mT6_P12ihipStream_tbENKUlT_T0_E_clISt17integral_constantIbLb1EESW_IbLb0EEEEDaSS_ST_EUlSS_E0_NS1_11comp_targetILNS1_3genE5ELNS1_11target_archE942ELNS1_3gpuE9ELNS1_3repE0EEENS1_30default_config_static_selectorELNS0_4arch9wavefront6targetE1EEEvT1_, .Lfunc_end5556-_ZN7rocprim17ROCPRIM_400000_NS6detail17trampoline_kernelINS0_14default_configENS1_20scan_config_selectorItEEZZNS1_9scan_implILNS1_25lookback_scan_determinismE0ELb1ELb1ES3_N6thrust23THRUST_200600_302600_NS6detail15normal_iteratorINS9_10device_ptrItEEEENS9_16discard_iteratorINS9_11use_defaultEEEtNS9_4plusIvEEtEEDaPvRmT3_T4_T5_mT6_P12ihipStream_tbENKUlT_T0_E_clISt17integral_constantIbLb1EESW_IbLb0EEEEDaSS_ST_EUlSS_E0_NS1_11comp_targetILNS1_3genE5ELNS1_11target_archE942ELNS1_3gpuE9ELNS1_3repE0EEENS1_30default_config_static_selectorELNS0_4arch9wavefront6targetE1EEEvT1_
                                        ; -- End function
	.section	.AMDGPU.csdata,"",@progbits
; Kernel info:
; codeLenInByte = 0
; NumSgprs: 4
; NumVgprs: 0
; NumAgprs: 0
; TotalNumVgprs: 0
; ScratchSize: 0
; MemoryBound: 0
; FloatMode: 240
; IeeeMode: 1
; LDSByteSize: 0 bytes/workgroup (compile time only)
; SGPRBlocks: 0
; VGPRBlocks: 0
; NumSGPRsForWavesPerEU: 4
; NumVGPRsForWavesPerEU: 1
; AccumOffset: 4
; Occupancy: 8
; WaveLimiterHint : 0
; COMPUTE_PGM_RSRC2:SCRATCH_EN: 0
; COMPUTE_PGM_RSRC2:USER_SGPR: 6
; COMPUTE_PGM_RSRC2:TRAP_HANDLER: 0
; COMPUTE_PGM_RSRC2:TGID_X_EN: 1
; COMPUTE_PGM_RSRC2:TGID_Y_EN: 0
; COMPUTE_PGM_RSRC2:TGID_Z_EN: 0
; COMPUTE_PGM_RSRC2:TIDIG_COMP_CNT: 0
; COMPUTE_PGM_RSRC3_GFX90A:ACCUM_OFFSET: 0
; COMPUTE_PGM_RSRC3_GFX90A:TG_SPLIT: 0
	.section	.text._ZN7rocprim17ROCPRIM_400000_NS6detail17trampoline_kernelINS0_14default_configENS1_20scan_config_selectorItEEZZNS1_9scan_implILNS1_25lookback_scan_determinismE0ELb1ELb1ES3_N6thrust23THRUST_200600_302600_NS6detail15normal_iteratorINS9_10device_ptrItEEEENS9_16discard_iteratorINS9_11use_defaultEEEtNS9_4plusIvEEtEEDaPvRmT3_T4_T5_mT6_P12ihipStream_tbENKUlT_T0_E_clISt17integral_constantIbLb1EESW_IbLb0EEEEDaSS_ST_EUlSS_E0_NS1_11comp_targetILNS1_3genE4ELNS1_11target_archE910ELNS1_3gpuE8ELNS1_3repE0EEENS1_30default_config_static_selectorELNS0_4arch9wavefront6targetE1EEEvT1_,"axG",@progbits,_ZN7rocprim17ROCPRIM_400000_NS6detail17trampoline_kernelINS0_14default_configENS1_20scan_config_selectorItEEZZNS1_9scan_implILNS1_25lookback_scan_determinismE0ELb1ELb1ES3_N6thrust23THRUST_200600_302600_NS6detail15normal_iteratorINS9_10device_ptrItEEEENS9_16discard_iteratorINS9_11use_defaultEEEtNS9_4plusIvEEtEEDaPvRmT3_T4_T5_mT6_P12ihipStream_tbENKUlT_T0_E_clISt17integral_constantIbLb1EESW_IbLb0EEEEDaSS_ST_EUlSS_E0_NS1_11comp_targetILNS1_3genE4ELNS1_11target_archE910ELNS1_3gpuE8ELNS1_3repE0EEENS1_30default_config_static_selectorELNS0_4arch9wavefront6targetE1EEEvT1_,comdat
	.protected	_ZN7rocprim17ROCPRIM_400000_NS6detail17trampoline_kernelINS0_14default_configENS1_20scan_config_selectorItEEZZNS1_9scan_implILNS1_25lookback_scan_determinismE0ELb1ELb1ES3_N6thrust23THRUST_200600_302600_NS6detail15normal_iteratorINS9_10device_ptrItEEEENS9_16discard_iteratorINS9_11use_defaultEEEtNS9_4plusIvEEtEEDaPvRmT3_T4_T5_mT6_P12ihipStream_tbENKUlT_T0_E_clISt17integral_constantIbLb1EESW_IbLb0EEEEDaSS_ST_EUlSS_E0_NS1_11comp_targetILNS1_3genE4ELNS1_11target_archE910ELNS1_3gpuE8ELNS1_3repE0EEENS1_30default_config_static_selectorELNS0_4arch9wavefront6targetE1EEEvT1_ ; -- Begin function _ZN7rocprim17ROCPRIM_400000_NS6detail17trampoline_kernelINS0_14default_configENS1_20scan_config_selectorItEEZZNS1_9scan_implILNS1_25lookback_scan_determinismE0ELb1ELb1ES3_N6thrust23THRUST_200600_302600_NS6detail15normal_iteratorINS9_10device_ptrItEEEENS9_16discard_iteratorINS9_11use_defaultEEEtNS9_4plusIvEEtEEDaPvRmT3_T4_T5_mT6_P12ihipStream_tbENKUlT_T0_E_clISt17integral_constantIbLb1EESW_IbLb0EEEEDaSS_ST_EUlSS_E0_NS1_11comp_targetILNS1_3genE4ELNS1_11target_archE910ELNS1_3gpuE8ELNS1_3repE0EEENS1_30default_config_static_selectorELNS0_4arch9wavefront6targetE1EEEvT1_
	.globl	_ZN7rocprim17ROCPRIM_400000_NS6detail17trampoline_kernelINS0_14default_configENS1_20scan_config_selectorItEEZZNS1_9scan_implILNS1_25lookback_scan_determinismE0ELb1ELb1ES3_N6thrust23THRUST_200600_302600_NS6detail15normal_iteratorINS9_10device_ptrItEEEENS9_16discard_iteratorINS9_11use_defaultEEEtNS9_4plusIvEEtEEDaPvRmT3_T4_T5_mT6_P12ihipStream_tbENKUlT_T0_E_clISt17integral_constantIbLb1EESW_IbLb0EEEEDaSS_ST_EUlSS_E0_NS1_11comp_targetILNS1_3genE4ELNS1_11target_archE910ELNS1_3gpuE8ELNS1_3repE0EEENS1_30default_config_static_selectorELNS0_4arch9wavefront6targetE1EEEvT1_
	.p2align	8
	.type	_ZN7rocprim17ROCPRIM_400000_NS6detail17trampoline_kernelINS0_14default_configENS1_20scan_config_selectorItEEZZNS1_9scan_implILNS1_25lookback_scan_determinismE0ELb1ELb1ES3_N6thrust23THRUST_200600_302600_NS6detail15normal_iteratorINS9_10device_ptrItEEEENS9_16discard_iteratorINS9_11use_defaultEEEtNS9_4plusIvEEtEEDaPvRmT3_T4_T5_mT6_P12ihipStream_tbENKUlT_T0_E_clISt17integral_constantIbLb1EESW_IbLb0EEEEDaSS_ST_EUlSS_E0_NS1_11comp_targetILNS1_3genE4ELNS1_11target_archE910ELNS1_3gpuE8ELNS1_3repE0EEENS1_30default_config_static_selectorELNS0_4arch9wavefront6targetE1EEEvT1_,@function
_ZN7rocprim17ROCPRIM_400000_NS6detail17trampoline_kernelINS0_14default_configENS1_20scan_config_selectorItEEZZNS1_9scan_implILNS1_25lookback_scan_determinismE0ELb1ELb1ES3_N6thrust23THRUST_200600_302600_NS6detail15normal_iteratorINS9_10device_ptrItEEEENS9_16discard_iteratorINS9_11use_defaultEEEtNS9_4plusIvEEtEEDaPvRmT3_T4_T5_mT6_P12ihipStream_tbENKUlT_T0_E_clISt17integral_constantIbLb1EESW_IbLb0EEEEDaSS_ST_EUlSS_E0_NS1_11comp_targetILNS1_3genE4ELNS1_11target_archE910ELNS1_3gpuE8ELNS1_3repE0EEENS1_30default_config_static_selectorELNS0_4arch9wavefront6targetE1EEEvT1_: ; @_ZN7rocprim17ROCPRIM_400000_NS6detail17trampoline_kernelINS0_14default_configENS1_20scan_config_selectorItEEZZNS1_9scan_implILNS1_25lookback_scan_determinismE0ELb1ELb1ES3_N6thrust23THRUST_200600_302600_NS6detail15normal_iteratorINS9_10device_ptrItEEEENS9_16discard_iteratorINS9_11use_defaultEEEtNS9_4plusIvEEtEEDaPvRmT3_T4_T5_mT6_P12ihipStream_tbENKUlT_T0_E_clISt17integral_constantIbLb1EESW_IbLb0EEEEDaSS_ST_EUlSS_E0_NS1_11comp_targetILNS1_3genE4ELNS1_11target_archE910ELNS1_3gpuE8ELNS1_3repE0EEENS1_30default_config_static_selectorELNS0_4arch9wavefront6targetE1EEEvT1_
; %bb.0:
	s_load_dwordx4 s[0:3], s[4:5], 0x0
	v_mov_b32_e32 v1, 0
	s_waitcnt lgkmcnt(0)
	global_load_ushort v2, v1, s[0:1]
	v_cmp_gt_u32_e32 vcc, s2, v0
	v_lshlrev_b32_e32 v1, 1, v0
	s_waitcnt vmcnt(0)
	v_mov_b32_e32 v3, v2
	s_and_saveexec_b64 s[6:7], vcc
	s_cbranch_execz .LBB5557_2
; %bb.1:
	global_load_ushort v3, v1, s[0:1]
.LBB5557_2:
	s_or_b64 exec, exec, s[6:7]
	v_or_b32_e32 v4, 64, v0
	v_cmp_gt_u32_e32 vcc, s2, v4
	v_mov_b32_e32 v4, v2
	s_and_saveexec_b64 s[6:7], vcc
	s_cbranch_execz .LBB5557_4
; %bb.3:
	global_load_ushort v4, v1, s[0:1] offset:128
.LBB5557_4:
	s_or_b64 exec, exec, s[6:7]
	v_or_b32_e32 v5, 0x80, v0
	v_cmp_gt_u32_e32 vcc, s2, v5
	v_mov_b32_e32 v5, v2
	s_and_saveexec_b64 s[6:7], vcc
	s_cbranch_execz .LBB5557_6
; %bb.5:
	global_load_ushort v5, v1, s[0:1] offset:256
.LBB5557_6:
	;; [unrolled: 9-line block ×22, first 2 shown]
	s_or_b64 exec, exec, s[6:7]
	s_load_dword s4, s[4:5], 0x10
	v_or_b32_e32 v26, 0x5c0, v0
	v_cmp_gt_u32_e32 vcc, s2, v26
	s_and_saveexec_b64 s[2:3], vcc
	s_cbranch_execz .LBB5557_48
; %bb.47:
	global_load_ushort v2, v1, s[0:1] offset:2944
.LBB5557_48:
	s_or_b64 exec, exec, s[2:3]
	s_waitcnt vmcnt(0)
	ds_write_b16 v1, v3
	ds_write_b16 v1, v4 offset:128
	ds_write_b16 v1, v5 offset:256
	;; [unrolled: 1-line block ×23, first 2 shown]
	v_mad_u32_u24 v2, v0, 46, v1
	s_waitcnt lgkmcnt(0)
	; wave barrier
	s_waitcnt lgkmcnt(0)
	ds_read_b128 v[10:13], v2
	ds_read_b128 v[6:9], v2 offset:16
	ds_read_b128 v[2:5], v2 offset:32
	v_mul_u32_u24_e32 v14, 46, v0
	s_waitcnt lgkmcnt(0)
	v_add_u16_sdwa v15, v10, v10 dst_sel:DWORD dst_unused:UNUSED_PAD src0_sel:WORD_1 src1_sel:DWORD
	v_add_u16_e32 v15, v15, v11
	v_add_u16_sdwa v15, v15, v11 dst_sel:DWORD dst_unused:UNUSED_PAD src0_sel:DWORD src1_sel:WORD_1
	v_add_u16_e32 v15, v15, v12
	v_add_u16_sdwa v15, v15, v12 dst_sel:DWORD dst_unused:UNUSED_PAD src0_sel:DWORD src1_sel:WORD_1
	;; [unrolled: 2-line block ×11, first 2 shown]
	v_mbcnt_lo_u32_b32 v15, -1, 0
	v_mbcnt_hi_u32_b32 v15, -1, v15
	v_and_b32_e32 v17, 15, v15
	v_mov_b32_dpp v18, v16 row_shr:1 row_mask:0xf bank_mask:0xf
	v_cmp_ne_u32_e32 vcc, 0, v17
	v_cndmask_b32_e32 v18, 0, v18, vcc
	v_add_u16_e32 v16, v18, v16
	v_cmp_lt_u32_e32 vcc, 1, v17
	; wave barrier
	s_nop 0
	v_mov_b32_dpp v18, v16 row_shr:2 row_mask:0xf bank_mask:0xf
	v_cndmask_b32_e32 v18, 0, v18, vcc
	v_add_u16_e32 v16, v16, v18
	v_cmp_lt_u32_e32 vcc, 3, v17
	s_nop 0
	v_mov_b32_dpp v18, v16 row_shr:4 row_mask:0xf bank_mask:0xf
	v_cndmask_b32_e32 v18, 0, v18, vcc
	v_add_u16_e32 v16, v16, v18
	v_cmp_lt_u32_e32 vcc, 7, v17
	s_nop 0
	v_mov_b32_dpp v18, v16 row_shr:8 row_mask:0xf bank_mask:0xf
	v_cndmask_b32_e32 v17, 0, v18, vcc
	v_add_u16_e32 v16, v16, v17
	v_and_b32_e32 v18, 16, v15
	v_cmp_ne_u32_e32 vcc, 0, v18
	v_mov_b32_dpp v17, v16 row_bcast:15 row_mask:0xf bank_mask:0xf
	v_cndmask_b32_e32 v17, 0, v17, vcc
	v_add_u16_e32 v16, v16, v17
	v_cmp_lt_u32_e32 vcc, 31, v15
	s_nop 0
	v_mov_b32_dpp v17, v16 row_bcast:31 row_mask:0xf bank_mask:0xf
	v_cndmask_b32_e32 v17, 0, v17, vcc
	v_add_u16_e32 v16, v16, v17
	v_cmp_eq_u32_e32 vcc, 63, v0
	s_and_saveexec_b64 s[0:1], vcc
	s_cbranch_execz .LBB5557_50
; %bb.49:
	v_mov_b32_e32 v17, 0
	ds_write_b16 v17, v16
.LBB5557_50:
	s_or_b64 exec, exec, s[0:1]
	v_add_u32_e32 v17, -1, v15
	v_and_b32_e32 v18, 64, v15
	v_cmp_lt_i32_e32 vcc, v17, v18
	v_cndmask_b32_e32 v17, v17, v15, vcc
	v_add_u16_e32 v16, s4, v16
	v_lshlrev_b32_e32 v17, 2, v17
	ds_bpermute_b32 v16, v17, v16
	v_cmp_eq_u32_e32 vcc, 0, v15
	v_cmp_eq_u32_e64 s[0:1], 0, v0
	v_mov_b32_e32 v0, s4
	s_or_b64 vcc, s[0:1], vcc
	s_waitcnt lgkmcnt(0)
	v_cndmask_b32_e32 v0, v16, v0, vcc
	v_add_u16_e32 v15, v0, v10
	v_add_u16_sdwa v10, v15, v10 dst_sel:DWORD dst_unused:UNUSED_PAD src0_sel:DWORD src1_sel:WORD_1
	v_add_u16_e32 v16, v10, v11
	v_add_u16_sdwa v11, v16, v11 dst_sel:DWORD dst_unused:UNUSED_PAD src0_sel:DWORD src1_sel:WORD_1
	;; [unrolled: 2-line block ×10, first 2 shown]
	v_add_u16_e32 v27, v26, v4
	s_mov_b32 s0, 0x5040100
	v_add_u16_sdwa v4, v27, v4 dst_sel:DWORD dst_unused:UNUSED_PAD src0_sel:DWORD src1_sel:WORD_1
	v_add_u32_e32 v14, v1, v14
	v_perm_b32 v0, v15, v0, s0
	v_perm_b32 v1, v16, v10, s0
	;; [unrolled: 1-line block ×4, first 2 shown]
	s_waitcnt lgkmcnt(0)
	; wave barrier
	v_add_u16_e32 v5, v4, v5
	s_waitcnt lgkmcnt(0)
	; wave barrier
	ds_write_b128 v14, v[0:3]
	v_perm_b32 v0, v19, v13, s0
	v_perm_b32 v1, v20, v6, s0
	;; [unrolled: 1-line block ×4, first 2 shown]
	ds_write_b128 v14, v[0:3] offset:16
	v_perm_b32 v0, v23, v9, s0
	v_perm_b32 v1, v25, v24, s0
	;; [unrolled: 1-line block ×4, first 2 shown]
	ds_write_b128 v14, v[0:3] offset:32
	s_waitcnt lgkmcnt(0)
	; wave barrier
	s_waitcnt lgkmcnt(0)
	s_endpgm
	.section	.rodata,"a",@progbits
	.p2align	6, 0x0
	.amdhsa_kernel _ZN7rocprim17ROCPRIM_400000_NS6detail17trampoline_kernelINS0_14default_configENS1_20scan_config_selectorItEEZZNS1_9scan_implILNS1_25lookback_scan_determinismE0ELb1ELb1ES3_N6thrust23THRUST_200600_302600_NS6detail15normal_iteratorINS9_10device_ptrItEEEENS9_16discard_iteratorINS9_11use_defaultEEEtNS9_4plusIvEEtEEDaPvRmT3_T4_T5_mT6_P12ihipStream_tbENKUlT_T0_E_clISt17integral_constantIbLb1EESW_IbLb0EEEEDaSS_ST_EUlSS_E0_NS1_11comp_targetILNS1_3genE4ELNS1_11target_archE910ELNS1_3gpuE8ELNS1_3repE0EEENS1_30default_config_static_selectorELNS0_4arch9wavefront6targetE1EEEvT1_
		.amdhsa_group_segment_fixed_size 3072
		.amdhsa_private_segment_fixed_size 0
		.amdhsa_kernarg_size 40
		.amdhsa_user_sgpr_count 6
		.amdhsa_user_sgpr_private_segment_buffer 1
		.amdhsa_user_sgpr_dispatch_ptr 0
		.amdhsa_user_sgpr_queue_ptr 0
		.amdhsa_user_sgpr_kernarg_segment_ptr 1
		.amdhsa_user_sgpr_dispatch_id 0
		.amdhsa_user_sgpr_flat_scratch_init 0
		.amdhsa_user_sgpr_kernarg_preload_length 0
		.amdhsa_user_sgpr_kernarg_preload_offset 0
		.amdhsa_user_sgpr_private_segment_size 0
		.amdhsa_uses_dynamic_stack 0
		.amdhsa_system_sgpr_private_segment_wavefront_offset 0
		.amdhsa_system_sgpr_workgroup_id_x 1
		.amdhsa_system_sgpr_workgroup_id_y 0
		.amdhsa_system_sgpr_workgroup_id_z 0
		.amdhsa_system_sgpr_workgroup_info 0
		.amdhsa_system_vgpr_workitem_id 0
		.amdhsa_next_free_vgpr 28
		.amdhsa_next_free_sgpr 8
		.amdhsa_accum_offset 28
		.amdhsa_reserve_vcc 1
		.amdhsa_reserve_flat_scratch 0
		.amdhsa_float_round_mode_32 0
		.amdhsa_float_round_mode_16_64 0
		.amdhsa_float_denorm_mode_32 3
		.amdhsa_float_denorm_mode_16_64 3
		.amdhsa_dx10_clamp 1
		.amdhsa_ieee_mode 1
		.amdhsa_fp16_overflow 0
		.amdhsa_tg_split 0
		.amdhsa_exception_fp_ieee_invalid_op 0
		.amdhsa_exception_fp_denorm_src 0
		.amdhsa_exception_fp_ieee_div_zero 0
		.amdhsa_exception_fp_ieee_overflow 0
		.amdhsa_exception_fp_ieee_underflow 0
		.amdhsa_exception_fp_ieee_inexact 0
		.amdhsa_exception_int_div_zero 0
	.end_amdhsa_kernel
	.section	.text._ZN7rocprim17ROCPRIM_400000_NS6detail17trampoline_kernelINS0_14default_configENS1_20scan_config_selectorItEEZZNS1_9scan_implILNS1_25lookback_scan_determinismE0ELb1ELb1ES3_N6thrust23THRUST_200600_302600_NS6detail15normal_iteratorINS9_10device_ptrItEEEENS9_16discard_iteratorINS9_11use_defaultEEEtNS9_4plusIvEEtEEDaPvRmT3_T4_T5_mT6_P12ihipStream_tbENKUlT_T0_E_clISt17integral_constantIbLb1EESW_IbLb0EEEEDaSS_ST_EUlSS_E0_NS1_11comp_targetILNS1_3genE4ELNS1_11target_archE910ELNS1_3gpuE8ELNS1_3repE0EEENS1_30default_config_static_selectorELNS0_4arch9wavefront6targetE1EEEvT1_,"axG",@progbits,_ZN7rocprim17ROCPRIM_400000_NS6detail17trampoline_kernelINS0_14default_configENS1_20scan_config_selectorItEEZZNS1_9scan_implILNS1_25lookback_scan_determinismE0ELb1ELb1ES3_N6thrust23THRUST_200600_302600_NS6detail15normal_iteratorINS9_10device_ptrItEEEENS9_16discard_iteratorINS9_11use_defaultEEEtNS9_4plusIvEEtEEDaPvRmT3_T4_T5_mT6_P12ihipStream_tbENKUlT_T0_E_clISt17integral_constantIbLb1EESW_IbLb0EEEEDaSS_ST_EUlSS_E0_NS1_11comp_targetILNS1_3genE4ELNS1_11target_archE910ELNS1_3gpuE8ELNS1_3repE0EEENS1_30default_config_static_selectorELNS0_4arch9wavefront6targetE1EEEvT1_,comdat
.Lfunc_end5557:
	.size	_ZN7rocprim17ROCPRIM_400000_NS6detail17trampoline_kernelINS0_14default_configENS1_20scan_config_selectorItEEZZNS1_9scan_implILNS1_25lookback_scan_determinismE0ELb1ELb1ES3_N6thrust23THRUST_200600_302600_NS6detail15normal_iteratorINS9_10device_ptrItEEEENS9_16discard_iteratorINS9_11use_defaultEEEtNS9_4plusIvEEtEEDaPvRmT3_T4_T5_mT6_P12ihipStream_tbENKUlT_T0_E_clISt17integral_constantIbLb1EESW_IbLb0EEEEDaSS_ST_EUlSS_E0_NS1_11comp_targetILNS1_3genE4ELNS1_11target_archE910ELNS1_3gpuE8ELNS1_3repE0EEENS1_30default_config_static_selectorELNS0_4arch9wavefront6targetE1EEEvT1_, .Lfunc_end5557-_ZN7rocprim17ROCPRIM_400000_NS6detail17trampoline_kernelINS0_14default_configENS1_20scan_config_selectorItEEZZNS1_9scan_implILNS1_25lookback_scan_determinismE0ELb1ELb1ES3_N6thrust23THRUST_200600_302600_NS6detail15normal_iteratorINS9_10device_ptrItEEEENS9_16discard_iteratorINS9_11use_defaultEEEtNS9_4plusIvEEtEEDaPvRmT3_T4_T5_mT6_P12ihipStream_tbENKUlT_T0_E_clISt17integral_constantIbLb1EESW_IbLb0EEEEDaSS_ST_EUlSS_E0_NS1_11comp_targetILNS1_3genE4ELNS1_11target_archE910ELNS1_3gpuE8ELNS1_3repE0EEENS1_30default_config_static_selectorELNS0_4arch9wavefront6targetE1EEEvT1_
                                        ; -- End function
	.section	.AMDGPU.csdata,"",@progbits
; Kernel info:
; codeLenInByte = 1808
; NumSgprs: 12
; NumVgprs: 28
; NumAgprs: 0
; TotalNumVgprs: 28
; ScratchSize: 0
; MemoryBound: 0
; FloatMode: 240
; IeeeMode: 1
; LDSByteSize: 3072 bytes/workgroup (compile time only)
; SGPRBlocks: 1
; VGPRBlocks: 3
; NumSGPRsForWavesPerEU: 12
; NumVGPRsForWavesPerEU: 28
; AccumOffset: 28
; Occupancy: 6
; WaveLimiterHint : 0
; COMPUTE_PGM_RSRC2:SCRATCH_EN: 0
; COMPUTE_PGM_RSRC2:USER_SGPR: 6
; COMPUTE_PGM_RSRC2:TRAP_HANDLER: 0
; COMPUTE_PGM_RSRC2:TGID_X_EN: 1
; COMPUTE_PGM_RSRC2:TGID_Y_EN: 0
; COMPUTE_PGM_RSRC2:TGID_Z_EN: 0
; COMPUTE_PGM_RSRC2:TIDIG_COMP_CNT: 0
; COMPUTE_PGM_RSRC3_GFX90A:ACCUM_OFFSET: 6
; COMPUTE_PGM_RSRC3_GFX90A:TG_SPLIT: 0
	.section	.text._ZN7rocprim17ROCPRIM_400000_NS6detail17trampoline_kernelINS0_14default_configENS1_20scan_config_selectorItEEZZNS1_9scan_implILNS1_25lookback_scan_determinismE0ELb1ELb1ES3_N6thrust23THRUST_200600_302600_NS6detail15normal_iteratorINS9_10device_ptrItEEEENS9_16discard_iteratorINS9_11use_defaultEEEtNS9_4plusIvEEtEEDaPvRmT3_T4_T5_mT6_P12ihipStream_tbENKUlT_T0_E_clISt17integral_constantIbLb1EESW_IbLb0EEEEDaSS_ST_EUlSS_E0_NS1_11comp_targetILNS1_3genE3ELNS1_11target_archE908ELNS1_3gpuE7ELNS1_3repE0EEENS1_30default_config_static_selectorELNS0_4arch9wavefront6targetE1EEEvT1_,"axG",@progbits,_ZN7rocprim17ROCPRIM_400000_NS6detail17trampoline_kernelINS0_14default_configENS1_20scan_config_selectorItEEZZNS1_9scan_implILNS1_25lookback_scan_determinismE0ELb1ELb1ES3_N6thrust23THRUST_200600_302600_NS6detail15normal_iteratorINS9_10device_ptrItEEEENS9_16discard_iteratorINS9_11use_defaultEEEtNS9_4plusIvEEtEEDaPvRmT3_T4_T5_mT6_P12ihipStream_tbENKUlT_T0_E_clISt17integral_constantIbLb1EESW_IbLb0EEEEDaSS_ST_EUlSS_E0_NS1_11comp_targetILNS1_3genE3ELNS1_11target_archE908ELNS1_3gpuE7ELNS1_3repE0EEENS1_30default_config_static_selectorELNS0_4arch9wavefront6targetE1EEEvT1_,comdat
	.protected	_ZN7rocprim17ROCPRIM_400000_NS6detail17trampoline_kernelINS0_14default_configENS1_20scan_config_selectorItEEZZNS1_9scan_implILNS1_25lookback_scan_determinismE0ELb1ELb1ES3_N6thrust23THRUST_200600_302600_NS6detail15normal_iteratorINS9_10device_ptrItEEEENS9_16discard_iteratorINS9_11use_defaultEEEtNS9_4plusIvEEtEEDaPvRmT3_T4_T5_mT6_P12ihipStream_tbENKUlT_T0_E_clISt17integral_constantIbLb1EESW_IbLb0EEEEDaSS_ST_EUlSS_E0_NS1_11comp_targetILNS1_3genE3ELNS1_11target_archE908ELNS1_3gpuE7ELNS1_3repE0EEENS1_30default_config_static_selectorELNS0_4arch9wavefront6targetE1EEEvT1_ ; -- Begin function _ZN7rocprim17ROCPRIM_400000_NS6detail17trampoline_kernelINS0_14default_configENS1_20scan_config_selectorItEEZZNS1_9scan_implILNS1_25lookback_scan_determinismE0ELb1ELb1ES3_N6thrust23THRUST_200600_302600_NS6detail15normal_iteratorINS9_10device_ptrItEEEENS9_16discard_iteratorINS9_11use_defaultEEEtNS9_4plusIvEEtEEDaPvRmT3_T4_T5_mT6_P12ihipStream_tbENKUlT_T0_E_clISt17integral_constantIbLb1EESW_IbLb0EEEEDaSS_ST_EUlSS_E0_NS1_11comp_targetILNS1_3genE3ELNS1_11target_archE908ELNS1_3gpuE7ELNS1_3repE0EEENS1_30default_config_static_selectorELNS0_4arch9wavefront6targetE1EEEvT1_
	.globl	_ZN7rocprim17ROCPRIM_400000_NS6detail17trampoline_kernelINS0_14default_configENS1_20scan_config_selectorItEEZZNS1_9scan_implILNS1_25lookback_scan_determinismE0ELb1ELb1ES3_N6thrust23THRUST_200600_302600_NS6detail15normal_iteratorINS9_10device_ptrItEEEENS9_16discard_iteratorINS9_11use_defaultEEEtNS9_4plusIvEEtEEDaPvRmT3_T4_T5_mT6_P12ihipStream_tbENKUlT_T0_E_clISt17integral_constantIbLb1EESW_IbLb0EEEEDaSS_ST_EUlSS_E0_NS1_11comp_targetILNS1_3genE3ELNS1_11target_archE908ELNS1_3gpuE7ELNS1_3repE0EEENS1_30default_config_static_selectorELNS0_4arch9wavefront6targetE1EEEvT1_
	.p2align	8
	.type	_ZN7rocprim17ROCPRIM_400000_NS6detail17trampoline_kernelINS0_14default_configENS1_20scan_config_selectorItEEZZNS1_9scan_implILNS1_25lookback_scan_determinismE0ELb1ELb1ES3_N6thrust23THRUST_200600_302600_NS6detail15normal_iteratorINS9_10device_ptrItEEEENS9_16discard_iteratorINS9_11use_defaultEEEtNS9_4plusIvEEtEEDaPvRmT3_T4_T5_mT6_P12ihipStream_tbENKUlT_T0_E_clISt17integral_constantIbLb1EESW_IbLb0EEEEDaSS_ST_EUlSS_E0_NS1_11comp_targetILNS1_3genE3ELNS1_11target_archE908ELNS1_3gpuE7ELNS1_3repE0EEENS1_30default_config_static_selectorELNS0_4arch9wavefront6targetE1EEEvT1_,@function
_ZN7rocprim17ROCPRIM_400000_NS6detail17trampoline_kernelINS0_14default_configENS1_20scan_config_selectorItEEZZNS1_9scan_implILNS1_25lookback_scan_determinismE0ELb1ELb1ES3_N6thrust23THRUST_200600_302600_NS6detail15normal_iteratorINS9_10device_ptrItEEEENS9_16discard_iteratorINS9_11use_defaultEEEtNS9_4plusIvEEtEEDaPvRmT3_T4_T5_mT6_P12ihipStream_tbENKUlT_T0_E_clISt17integral_constantIbLb1EESW_IbLb0EEEEDaSS_ST_EUlSS_E0_NS1_11comp_targetILNS1_3genE3ELNS1_11target_archE908ELNS1_3gpuE7ELNS1_3repE0EEENS1_30default_config_static_selectorELNS0_4arch9wavefront6targetE1EEEvT1_: ; @_ZN7rocprim17ROCPRIM_400000_NS6detail17trampoline_kernelINS0_14default_configENS1_20scan_config_selectorItEEZZNS1_9scan_implILNS1_25lookback_scan_determinismE0ELb1ELb1ES3_N6thrust23THRUST_200600_302600_NS6detail15normal_iteratorINS9_10device_ptrItEEEENS9_16discard_iteratorINS9_11use_defaultEEEtNS9_4plusIvEEtEEDaPvRmT3_T4_T5_mT6_P12ihipStream_tbENKUlT_T0_E_clISt17integral_constantIbLb1EESW_IbLb0EEEEDaSS_ST_EUlSS_E0_NS1_11comp_targetILNS1_3genE3ELNS1_11target_archE908ELNS1_3gpuE7ELNS1_3repE0EEENS1_30default_config_static_selectorELNS0_4arch9wavefront6targetE1EEEvT1_
; %bb.0:
	.section	.rodata,"a",@progbits
	.p2align	6, 0x0
	.amdhsa_kernel _ZN7rocprim17ROCPRIM_400000_NS6detail17trampoline_kernelINS0_14default_configENS1_20scan_config_selectorItEEZZNS1_9scan_implILNS1_25lookback_scan_determinismE0ELb1ELb1ES3_N6thrust23THRUST_200600_302600_NS6detail15normal_iteratorINS9_10device_ptrItEEEENS9_16discard_iteratorINS9_11use_defaultEEEtNS9_4plusIvEEtEEDaPvRmT3_T4_T5_mT6_P12ihipStream_tbENKUlT_T0_E_clISt17integral_constantIbLb1EESW_IbLb0EEEEDaSS_ST_EUlSS_E0_NS1_11comp_targetILNS1_3genE3ELNS1_11target_archE908ELNS1_3gpuE7ELNS1_3repE0EEENS1_30default_config_static_selectorELNS0_4arch9wavefront6targetE1EEEvT1_
		.amdhsa_group_segment_fixed_size 0
		.amdhsa_private_segment_fixed_size 0
		.amdhsa_kernarg_size 40
		.amdhsa_user_sgpr_count 6
		.amdhsa_user_sgpr_private_segment_buffer 1
		.amdhsa_user_sgpr_dispatch_ptr 0
		.amdhsa_user_sgpr_queue_ptr 0
		.amdhsa_user_sgpr_kernarg_segment_ptr 1
		.amdhsa_user_sgpr_dispatch_id 0
		.amdhsa_user_sgpr_flat_scratch_init 0
		.amdhsa_user_sgpr_kernarg_preload_length 0
		.amdhsa_user_sgpr_kernarg_preload_offset 0
		.amdhsa_user_sgpr_private_segment_size 0
		.amdhsa_uses_dynamic_stack 0
		.amdhsa_system_sgpr_private_segment_wavefront_offset 0
		.amdhsa_system_sgpr_workgroup_id_x 1
		.amdhsa_system_sgpr_workgroup_id_y 0
		.amdhsa_system_sgpr_workgroup_id_z 0
		.amdhsa_system_sgpr_workgroup_info 0
		.amdhsa_system_vgpr_workitem_id 0
		.amdhsa_next_free_vgpr 1
		.amdhsa_next_free_sgpr 0
		.amdhsa_accum_offset 4
		.amdhsa_reserve_vcc 0
		.amdhsa_reserve_flat_scratch 0
		.amdhsa_float_round_mode_32 0
		.amdhsa_float_round_mode_16_64 0
		.amdhsa_float_denorm_mode_32 3
		.amdhsa_float_denorm_mode_16_64 3
		.amdhsa_dx10_clamp 1
		.amdhsa_ieee_mode 1
		.amdhsa_fp16_overflow 0
		.amdhsa_tg_split 0
		.amdhsa_exception_fp_ieee_invalid_op 0
		.amdhsa_exception_fp_denorm_src 0
		.amdhsa_exception_fp_ieee_div_zero 0
		.amdhsa_exception_fp_ieee_overflow 0
		.amdhsa_exception_fp_ieee_underflow 0
		.amdhsa_exception_fp_ieee_inexact 0
		.amdhsa_exception_int_div_zero 0
	.end_amdhsa_kernel
	.section	.text._ZN7rocprim17ROCPRIM_400000_NS6detail17trampoline_kernelINS0_14default_configENS1_20scan_config_selectorItEEZZNS1_9scan_implILNS1_25lookback_scan_determinismE0ELb1ELb1ES3_N6thrust23THRUST_200600_302600_NS6detail15normal_iteratorINS9_10device_ptrItEEEENS9_16discard_iteratorINS9_11use_defaultEEEtNS9_4plusIvEEtEEDaPvRmT3_T4_T5_mT6_P12ihipStream_tbENKUlT_T0_E_clISt17integral_constantIbLb1EESW_IbLb0EEEEDaSS_ST_EUlSS_E0_NS1_11comp_targetILNS1_3genE3ELNS1_11target_archE908ELNS1_3gpuE7ELNS1_3repE0EEENS1_30default_config_static_selectorELNS0_4arch9wavefront6targetE1EEEvT1_,"axG",@progbits,_ZN7rocprim17ROCPRIM_400000_NS6detail17trampoline_kernelINS0_14default_configENS1_20scan_config_selectorItEEZZNS1_9scan_implILNS1_25lookback_scan_determinismE0ELb1ELb1ES3_N6thrust23THRUST_200600_302600_NS6detail15normal_iteratorINS9_10device_ptrItEEEENS9_16discard_iteratorINS9_11use_defaultEEEtNS9_4plusIvEEtEEDaPvRmT3_T4_T5_mT6_P12ihipStream_tbENKUlT_T0_E_clISt17integral_constantIbLb1EESW_IbLb0EEEEDaSS_ST_EUlSS_E0_NS1_11comp_targetILNS1_3genE3ELNS1_11target_archE908ELNS1_3gpuE7ELNS1_3repE0EEENS1_30default_config_static_selectorELNS0_4arch9wavefront6targetE1EEEvT1_,comdat
.Lfunc_end5558:
	.size	_ZN7rocprim17ROCPRIM_400000_NS6detail17trampoline_kernelINS0_14default_configENS1_20scan_config_selectorItEEZZNS1_9scan_implILNS1_25lookback_scan_determinismE0ELb1ELb1ES3_N6thrust23THRUST_200600_302600_NS6detail15normal_iteratorINS9_10device_ptrItEEEENS9_16discard_iteratorINS9_11use_defaultEEEtNS9_4plusIvEEtEEDaPvRmT3_T4_T5_mT6_P12ihipStream_tbENKUlT_T0_E_clISt17integral_constantIbLb1EESW_IbLb0EEEEDaSS_ST_EUlSS_E0_NS1_11comp_targetILNS1_3genE3ELNS1_11target_archE908ELNS1_3gpuE7ELNS1_3repE0EEENS1_30default_config_static_selectorELNS0_4arch9wavefront6targetE1EEEvT1_, .Lfunc_end5558-_ZN7rocprim17ROCPRIM_400000_NS6detail17trampoline_kernelINS0_14default_configENS1_20scan_config_selectorItEEZZNS1_9scan_implILNS1_25lookback_scan_determinismE0ELb1ELb1ES3_N6thrust23THRUST_200600_302600_NS6detail15normal_iteratorINS9_10device_ptrItEEEENS9_16discard_iteratorINS9_11use_defaultEEEtNS9_4plusIvEEtEEDaPvRmT3_T4_T5_mT6_P12ihipStream_tbENKUlT_T0_E_clISt17integral_constantIbLb1EESW_IbLb0EEEEDaSS_ST_EUlSS_E0_NS1_11comp_targetILNS1_3genE3ELNS1_11target_archE908ELNS1_3gpuE7ELNS1_3repE0EEENS1_30default_config_static_selectorELNS0_4arch9wavefront6targetE1EEEvT1_
                                        ; -- End function
	.section	.AMDGPU.csdata,"",@progbits
; Kernel info:
; codeLenInByte = 0
; NumSgprs: 4
; NumVgprs: 0
; NumAgprs: 0
; TotalNumVgprs: 0
; ScratchSize: 0
; MemoryBound: 0
; FloatMode: 240
; IeeeMode: 1
; LDSByteSize: 0 bytes/workgroup (compile time only)
; SGPRBlocks: 0
; VGPRBlocks: 0
; NumSGPRsForWavesPerEU: 4
; NumVGPRsForWavesPerEU: 1
; AccumOffset: 4
; Occupancy: 8
; WaveLimiterHint : 0
; COMPUTE_PGM_RSRC2:SCRATCH_EN: 0
; COMPUTE_PGM_RSRC2:USER_SGPR: 6
; COMPUTE_PGM_RSRC2:TRAP_HANDLER: 0
; COMPUTE_PGM_RSRC2:TGID_X_EN: 1
; COMPUTE_PGM_RSRC2:TGID_Y_EN: 0
; COMPUTE_PGM_RSRC2:TGID_Z_EN: 0
; COMPUTE_PGM_RSRC2:TIDIG_COMP_CNT: 0
; COMPUTE_PGM_RSRC3_GFX90A:ACCUM_OFFSET: 0
; COMPUTE_PGM_RSRC3_GFX90A:TG_SPLIT: 0
	.section	.text._ZN7rocprim17ROCPRIM_400000_NS6detail17trampoline_kernelINS0_14default_configENS1_20scan_config_selectorItEEZZNS1_9scan_implILNS1_25lookback_scan_determinismE0ELb1ELb1ES3_N6thrust23THRUST_200600_302600_NS6detail15normal_iteratorINS9_10device_ptrItEEEENS9_16discard_iteratorINS9_11use_defaultEEEtNS9_4plusIvEEtEEDaPvRmT3_T4_T5_mT6_P12ihipStream_tbENKUlT_T0_E_clISt17integral_constantIbLb1EESW_IbLb0EEEEDaSS_ST_EUlSS_E0_NS1_11comp_targetILNS1_3genE2ELNS1_11target_archE906ELNS1_3gpuE6ELNS1_3repE0EEENS1_30default_config_static_selectorELNS0_4arch9wavefront6targetE1EEEvT1_,"axG",@progbits,_ZN7rocprim17ROCPRIM_400000_NS6detail17trampoline_kernelINS0_14default_configENS1_20scan_config_selectorItEEZZNS1_9scan_implILNS1_25lookback_scan_determinismE0ELb1ELb1ES3_N6thrust23THRUST_200600_302600_NS6detail15normal_iteratorINS9_10device_ptrItEEEENS9_16discard_iteratorINS9_11use_defaultEEEtNS9_4plusIvEEtEEDaPvRmT3_T4_T5_mT6_P12ihipStream_tbENKUlT_T0_E_clISt17integral_constantIbLb1EESW_IbLb0EEEEDaSS_ST_EUlSS_E0_NS1_11comp_targetILNS1_3genE2ELNS1_11target_archE906ELNS1_3gpuE6ELNS1_3repE0EEENS1_30default_config_static_selectorELNS0_4arch9wavefront6targetE1EEEvT1_,comdat
	.protected	_ZN7rocprim17ROCPRIM_400000_NS6detail17trampoline_kernelINS0_14default_configENS1_20scan_config_selectorItEEZZNS1_9scan_implILNS1_25lookback_scan_determinismE0ELb1ELb1ES3_N6thrust23THRUST_200600_302600_NS6detail15normal_iteratorINS9_10device_ptrItEEEENS9_16discard_iteratorINS9_11use_defaultEEEtNS9_4plusIvEEtEEDaPvRmT3_T4_T5_mT6_P12ihipStream_tbENKUlT_T0_E_clISt17integral_constantIbLb1EESW_IbLb0EEEEDaSS_ST_EUlSS_E0_NS1_11comp_targetILNS1_3genE2ELNS1_11target_archE906ELNS1_3gpuE6ELNS1_3repE0EEENS1_30default_config_static_selectorELNS0_4arch9wavefront6targetE1EEEvT1_ ; -- Begin function _ZN7rocprim17ROCPRIM_400000_NS6detail17trampoline_kernelINS0_14default_configENS1_20scan_config_selectorItEEZZNS1_9scan_implILNS1_25lookback_scan_determinismE0ELb1ELb1ES3_N6thrust23THRUST_200600_302600_NS6detail15normal_iteratorINS9_10device_ptrItEEEENS9_16discard_iteratorINS9_11use_defaultEEEtNS9_4plusIvEEtEEDaPvRmT3_T4_T5_mT6_P12ihipStream_tbENKUlT_T0_E_clISt17integral_constantIbLb1EESW_IbLb0EEEEDaSS_ST_EUlSS_E0_NS1_11comp_targetILNS1_3genE2ELNS1_11target_archE906ELNS1_3gpuE6ELNS1_3repE0EEENS1_30default_config_static_selectorELNS0_4arch9wavefront6targetE1EEEvT1_
	.globl	_ZN7rocprim17ROCPRIM_400000_NS6detail17trampoline_kernelINS0_14default_configENS1_20scan_config_selectorItEEZZNS1_9scan_implILNS1_25lookback_scan_determinismE0ELb1ELb1ES3_N6thrust23THRUST_200600_302600_NS6detail15normal_iteratorINS9_10device_ptrItEEEENS9_16discard_iteratorINS9_11use_defaultEEEtNS9_4plusIvEEtEEDaPvRmT3_T4_T5_mT6_P12ihipStream_tbENKUlT_T0_E_clISt17integral_constantIbLb1EESW_IbLb0EEEEDaSS_ST_EUlSS_E0_NS1_11comp_targetILNS1_3genE2ELNS1_11target_archE906ELNS1_3gpuE6ELNS1_3repE0EEENS1_30default_config_static_selectorELNS0_4arch9wavefront6targetE1EEEvT1_
	.p2align	8
	.type	_ZN7rocprim17ROCPRIM_400000_NS6detail17trampoline_kernelINS0_14default_configENS1_20scan_config_selectorItEEZZNS1_9scan_implILNS1_25lookback_scan_determinismE0ELb1ELb1ES3_N6thrust23THRUST_200600_302600_NS6detail15normal_iteratorINS9_10device_ptrItEEEENS9_16discard_iteratorINS9_11use_defaultEEEtNS9_4plusIvEEtEEDaPvRmT3_T4_T5_mT6_P12ihipStream_tbENKUlT_T0_E_clISt17integral_constantIbLb1EESW_IbLb0EEEEDaSS_ST_EUlSS_E0_NS1_11comp_targetILNS1_3genE2ELNS1_11target_archE906ELNS1_3gpuE6ELNS1_3repE0EEENS1_30default_config_static_selectorELNS0_4arch9wavefront6targetE1EEEvT1_,@function
_ZN7rocprim17ROCPRIM_400000_NS6detail17trampoline_kernelINS0_14default_configENS1_20scan_config_selectorItEEZZNS1_9scan_implILNS1_25lookback_scan_determinismE0ELb1ELb1ES3_N6thrust23THRUST_200600_302600_NS6detail15normal_iteratorINS9_10device_ptrItEEEENS9_16discard_iteratorINS9_11use_defaultEEEtNS9_4plusIvEEtEEDaPvRmT3_T4_T5_mT6_P12ihipStream_tbENKUlT_T0_E_clISt17integral_constantIbLb1EESW_IbLb0EEEEDaSS_ST_EUlSS_E0_NS1_11comp_targetILNS1_3genE2ELNS1_11target_archE906ELNS1_3gpuE6ELNS1_3repE0EEENS1_30default_config_static_selectorELNS0_4arch9wavefront6targetE1EEEvT1_: ; @_ZN7rocprim17ROCPRIM_400000_NS6detail17trampoline_kernelINS0_14default_configENS1_20scan_config_selectorItEEZZNS1_9scan_implILNS1_25lookback_scan_determinismE0ELb1ELb1ES3_N6thrust23THRUST_200600_302600_NS6detail15normal_iteratorINS9_10device_ptrItEEEENS9_16discard_iteratorINS9_11use_defaultEEEtNS9_4plusIvEEtEEDaPvRmT3_T4_T5_mT6_P12ihipStream_tbENKUlT_T0_E_clISt17integral_constantIbLb1EESW_IbLb0EEEEDaSS_ST_EUlSS_E0_NS1_11comp_targetILNS1_3genE2ELNS1_11target_archE906ELNS1_3gpuE6ELNS1_3repE0EEENS1_30default_config_static_selectorELNS0_4arch9wavefront6targetE1EEEvT1_
; %bb.0:
	.section	.rodata,"a",@progbits
	.p2align	6, 0x0
	.amdhsa_kernel _ZN7rocprim17ROCPRIM_400000_NS6detail17trampoline_kernelINS0_14default_configENS1_20scan_config_selectorItEEZZNS1_9scan_implILNS1_25lookback_scan_determinismE0ELb1ELb1ES3_N6thrust23THRUST_200600_302600_NS6detail15normal_iteratorINS9_10device_ptrItEEEENS9_16discard_iteratorINS9_11use_defaultEEEtNS9_4plusIvEEtEEDaPvRmT3_T4_T5_mT6_P12ihipStream_tbENKUlT_T0_E_clISt17integral_constantIbLb1EESW_IbLb0EEEEDaSS_ST_EUlSS_E0_NS1_11comp_targetILNS1_3genE2ELNS1_11target_archE906ELNS1_3gpuE6ELNS1_3repE0EEENS1_30default_config_static_selectorELNS0_4arch9wavefront6targetE1EEEvT1_
		.amdhsa_group_segment_fixed_size 0
		.amdhsa_private_segment_fixed_size 0
		.amdhsa_kernarg_size 40
		.amdhsa_user_sgpr_count 6
		.amdhsa_user_sgpr_private_segment_buffer 1
		.amdhsa_user_sgpr_dispatch_ptr 0
		.amdhsa_user_sgpr_queue_ptr 0
		.amdhsa_user_sgpr_kernarg_segment_ptr 1
		.amdhsa_user_sgpr_dispatch_id 0
		.amdhsa_user_sgpr_flat_scratch_init 0
		.amdhsa_user_sgpr_kernarg_preload_length 0
		.amdhsa_user_sgpr_kernarg_preload_offset 0
		.amdhsa_user_sgpr_private_segment_size 0
		.amdhsa_uses_dynamic_stack 0
		.amdhsa_system_sgpr_private_segment_wavefront_offset 0
		.amdhsa_system_sgpr_workgroup_id_x 1
		.amdhsa_system_sgpr_workgroup_id_y 0
		.amdhsa_system_sgpr_workgroup_id_z 0
		.amdhsa_system_sgpr_workgroup_info 0
		.amdhsa_system_vgpr_workitem_id 0
		.amdhsa_next_free_vgpr 1
		.amdhsa_next_free_sgpr 0
		.amdhsa_accum_offset 4
		.amdhsa_reserve_vcc 0
		.amdhsa_reserve_flat_scratch 0
		.amdhsa_float_round_mode_32 0
		.amdhsa_float_round_mode_16_64 0
		.amdhsa_float_denorm_mode_32 3
		.amdhsa_float_denorm_mode_16_64 3
		.amdhsa_dx10_clamp 1
		.amdhsa_ieee_mode 1
		.amdhsa_fp16_overflow 0
		.amdhsa_tg_split 0
		.amdhsa_exception_fp_ieee_invalid_op 0
		.amdhsa_exception_fp_denorm_src 0
		.amdhsa_exception_fp_ieee_div_zero 0
		.amdhsa_exception_fp_ieee_overflow 0
		.amdhsa_exception_fp_ieee_underflow 0
		.amdhsa_exception_fp_ieee_inexact 0
		.amdhsa_exception_int_div_zero 0
	.end_amdhsa_kernel
	.section	.text._ZN7rocprim17ROCPRIM_400000_NS6detail17trampoline_kernelINS0_14default_configENS1_20scan_config_selectorItEEZZNS1_9scan_implILNS1_25lookback_scan_determinismE0ELb1ELb1ES3_N6thrust23THRUST_200600_302600_NS6detail15normal_iteratorINS9_10device_ptrItEEEENS9_16discard_iteratorINS9_11use_defaultEEEtNS9_4plusIvEEtEEDaPvRmT3_T4_T5_mT6_P12ihipStream_tbENKUlT_T0_E_clISt17integral_constantIbLb1EESW_IbLb0EEEEDaSS_ST_EUlSS_E0_NS1_11comp_targetILNS1_3genE2ELNS1_11target_archE906ELNS1_3gpuE6ELNS1_3repE0EEENS1_30default_config_static_selectorELNS0_4arch9wavefront6targetE1EEEvT1_,"axG",@progbits,_ZN7rocprim17ROCPRIM_400000_NS6detail17trampoline_kernelINS0_14default_configENS1_20scan_config_selectorItEEZZNS1_9scan_implILNS1_25lookback_scan_determinismE0ELb1ELb1ES3_N6thrust23THRUST_200600_302600_NS6detail15normal_iteratorINS9_10device_ptrItEEEENS9_16discard_iteratorINS9_11use_defaultEEEtNS9_4plusIvEEtEEDaPvRmT3_T4_T5_mT6_P12ihipStream_tbENKUlT_T0_E_clISt17integral_constantIbLb1EESW_IbLb0EEEEDaSS_ST_EUlSS_E0_NS1_11comp_targetILNS1_3genE2ELNS1_11target_archE906ELNS1_3gpuE6ELNS1_3repE0EEENS1_30default_config_static_selectorELNS0_4arch9wavefront6targetE1EEEvT1_,comdat
.Lfunc_end5559:
	.size	_ZN7rocprim17ROCPRIM_400000_NS6detail17trampoline_kernelINS0_14default_configENS1_20scan_config_selectorItEEZZNS1_9scan_implILNS1_25lookback_scan_determinismE0ELb1ELb1ES3_N6thrust23THRUST_200600_302600_NS6detail15normal_iteratorINS9_10device_ptrItEEEENS9_16discard_iteratorINS9_11use_defaultEEEtNS9_4plusIvEEtEEDaPvRmT3_T4_T5_mT6_P12ihipStream_tbENKUlT_T0_E_clISt17integral_constantIbLb1EESW_IbLb0EEEEDaSS_ST_EUlSS_E0_NS1_11comp_targetILNS1_3genE2ELNS1_11target_archE906ELNS1_3gpuE6ELNS1_3repE0EEENS1_30default_config_static_selectorELNS0_4arch9wavefront6targetE1EEEvT1_, .Lfunc_end5559-_ZN7rocprim17ROCPRIM_400000_NS6detail17trampoline_kernelINS0_14default_configENS1_20scan_config_selectorItEEZZNS1_9scan_implILNS1_25lookback_scan_determinismE0ELb1ELb1ES3_N6thrust23THRUST_200600_302600_NS6detail15normal_iteratorINS9_10device_ptrItEEEENS9_16discard_iteratorINS9_11use_defaultEEEtNS9_4plusIvEEtEEDaPvRmT3_T4_T5_mT6_P12ihipStream_tbENKUlT_T0_E_clISt17integral_constantIbLb1EESW_IbLb0EEEEDaSS_ST_EUlSS_E0_NS1_11comp_targetILNS1_3genE2ELNS1_11target_archE906ELNS1_3gpuE6ELNS1_3repE0EEENS1_30default_config_static_selectorELNS0_4arch9wavefront6targetE1EEEvT1_
                                        ; -- End function
	.section	.AMDGPU.csdata,"",@progbits
; Kernel info:
; codeLenInByte = 0
; NumSgprs: 4
; NumVgprs: 0
; NumAgprs: 0
; TotalNumVgprs: 0
; ScratchSize: 0
; MemoryBound: 0
; FloatMode: 240
; IeeeMode: 1
; LDSByteSize: 0 bytes/workgroup (compile time only)
; SGPRBlocks: 0
; VGPRBlocks: 0
; NumSGPRsForWavesPerEU: 4
; NumVGPRsForWavesPerEU: 1
; AccumOffset: 4
; Occupancy: 8
; WaveLimiterHint : 0
; COMPUTE_PGM_RSRC2:SCRATCH_EN: 0
; COMPUTE_PGM_RSRC2:USER_SGPR: 6
; COMPUTE_PGM_RSRC2:TRAP_HANDLER: 0
; COMPUTE_PGM_RSRC2:TGID_X_EN: 1
; COMPUTE_PGM_RSRC2:TGID_Y_EN: 0
; COMPUTE_PGM_RSRC2:TGID_Z_EN: 0
; COMPUTE_PGM_RSRC2:TIDIG_COMP_CNT: 0
; COMPUTE_PGM_RSRC3_GFX90A:ACCUM_OFFSET: 0
; COMPUTE_PGM_RSRC3_GFX90A:TG_SPLIT: 0
	.section	.text._ZN7rocprim17ROCPRIM_400000_NS6detail17trampoline_kernelINS0_14default_configENS1_20scan_config_selectorItEEZZNS1_9scan_implILNS1_25lookback_scan_determinismE0ELb1ELb1ES3_N6thrust23THRUST_200600_302600_NS6detail15normal_iteratorINS9_10device_ptrItEEEENS9_16discard_iteratorINS9_11use_defaultEEEtNS9_4plusIvEEtEEDaPvRmT3_T4_T5_mT6_P12ihipStream_tbENKUlT_T0_E_clISt17integral_constantIbLb1EESW_IbLb0EEEEDaSS_ST_EUlSS_E0_NS1_11comp_targetILNS1_3genE10ELNS1_11target_archE1201ELNS1_3gpuE5ELNS1_3repE0EEENS1_30default_config_static_selectorELNS0_4arch9wavefront6targetE1EEEvT1_,"axG",@progbits,_ZN7rocprim17ROCPRIM_400000_NS6detail17trampoline_kernelINS0_14default_configENS1_20scan_config_selectorItEEZZNS1_9scan_implILNS1_25lookback_scan_determinismE0ELb1ELb1ES3_N6thrust23THRUST_200600_302600_NS6detail15normal_iteratorINS9_10device_ptrItEEEENS9_16discard_iteratorINS9_11use_defaultEEEtNS9_4plusIvEEtEEDaPvRmT3_T4_T5_mT6_P12ihipStream_tbENKUlT_T0_E_clISt17integral_constantIbLb1EESW_IbLb0EEEEDaSS_ST_EUlSS_E0_NS1_11comp_targetILNS1_3genE10ELNS1_11target_archE1201ELNS1_3gpuE5ELNS1_3repE0EEENS1_30default_config_static_selectorELNS0_4arch9wavefront6targetE1EEEvT1_,comdat
	.protected	_ZN7rocprim17ROCPRIM_400000_NS6detail17trampoline_kernelINS0_14default_configENS1_20scan_config_selectorItEEZZNS1_9scan_implILNS1_25lookback_scan_determinismE0ELb1ELb1ES3_N6thrust23THRUST_200600_302600_NS6detail15normal_iteratorINS9_10device_ptrItEEEENS9_16discard_iteratorINS9_11use_defaultEEEtNS9_4plusIvEEtEEDaPvRmT3_T4_T5_mT6_P12ihipStream_tbENKUlT_T0_E_clISt17integral_constantIbLb1EESW_IbLb0EEEEDaSS_ST_EUlSS_E0_NS1_11comp_targetILNS1_3genE10ELNS1_11target_archE1201ELNS1_3gpuE5ELNS1_3repE0EEENS1_30default_config_static_selectorELNS0_4arch9wavefront6targetE1EEEvT1_ ; -- Begin function _ZN7rocprim17ROCPRIM_400000_NS6detail17trampoline_kernelINS0_14default_configENS1_20scan_config_selectorItEEZZNS1_9scan_implILNS1_25lookback_scan_determinismE0ELb1ELb1ES3_N6thrust23THRUST_200600_302600_NS6detail15normal_iteratorINS9_10device_ptrItEEEENS9_16discard_iteratorINS9_11use_defaultEEEtNS9_4plusIvEEtEEDaPvRmT3_T4_T5_mT6_P12ihipStream_tbENKUlT_T0_E_clISt17integral_constantIbLb1EESW_IbLb0EEEEDaSS_ST_EUlSS_E0_NS1_11comp_targetILNS1_3genE10ELNS1_11target_archE1201ELNS1_3gpuE5ELNS1_3repE0EEENS1_30default_config_static_selectorELNS0_4arch9wavefront6targetE1EEEvT1_
	.globl	_ZN7rocprim17ROCPRIM_400000_NS6detail17trampoline_kernelINS0_14default_configENS1_20scan_config_selectorItEEZZNS1_9scan_implILNS1_25lookback_scan_determinismE0ELb1ELb1ES3_N6thrust23THRUST_200600_302600_NS6detail15normal_iteratorINS9_10device_ptrItEEEENS9_16discard_iteratorINS9_11use_defaultEEEtNS9_4plusIvEEtEEDaPvRmT3_T4_T5_mT6_P12ihipStream_tbENKUlT_T0_E_clISt17integral_constantIbLb1EESW_IbLb0EEEEDaSS_ST_EUlSS_E0_NS1_11comp_targetILNS1_3genE10ELNS1_11target_archE1201ELNS1_3gpuE5ELNS1_3repE0EEENS1_30default_config_static_selectorELNS0_4arch9wavefront6targetE1EEEvT1_
	.p2align	8
	.type	_ZN7rocprim17ROCPRIM_400000_NS6detail17trampoline_kernelINS0_14default_configENS1_20scan_config_selectorItEEZZNS1_9scan_implILNS1_25lookback_scan_determinismE0ELb1ELb1ES3_N6thrust23THRUST_200600_302600_NS6detail15normal_iteratorINS9_10device_ptrItEEEENS9_16discard_iteratorINS9_11use_defaultEEEtNS9_4plusIvEEtEEDaPvRmT3_T4_T5_mT6_P12ihipStream_tbENKUlT_T0_E_clISt17integral_constantIbLb1EESW_IbLb0EEEEDaSS_ST_EUlSS_E0_NS1_11comp_targetILNS1_3genE10ELNS1_11target_archE1201ELNS1_3gpuE5ELNS1_3repE0EEENS1_30default_config_static_selectorELNS0_4arch9wavefront6targetE1EEEvT1_,@function
_ZN7rocprim17ROCPRIM_400000_NS6detail17trampoline_kernelINS0_14default_configENS1_20scan_config_selectorItEEZZNS1_9scan_implILNS1_25lookback_scan_determinismE0ELb1ELb1ES3_N6thrust23THRUST_200600_302600_NS6detail15normal_iteratorINS9_10device_ptrItEEEENS9_16discard_iteratorINS9_11use_defaultEEEtNS9_4plusIvEEtEEDaPvRmT3_T4_T5_mT6_P12ihipStream_tbENKUlT_T0_E_clISt17integral_constantIbLb1EESW_IbLb0EEEEDaSS_ST_EUlSS_E0_NS1_11comp_targetILNS1_3genE10ELNS1_11target_archE1201ELNS1_3gpuE5ELNS1_3repE0EEENS1_30default_config_static_selectorELNS0_4arch9wavefront6targetE1EEEvT1_: ; @_ZN7rocprim17ROCPRIM_400000_NS6detail17trampoline_kernelINS0_14default_configENS1_20scan_config_selectorItEEZZNS1_9scan_implILNS1_25lookback_scan_determinismE0ELb1ELb1ES3_N6thrust23THRUST_200600_302600_NS6detail15normal_iteratorINS9_10device_ptrItEEEENS9_16discard_iteratorINS9_11use_defaultEEEtNS9_4plusIvEEtEEDaPvRmT3_T4_T5_mT6_P12ihipStream_tbENKUlT_T0_E_clISt17integral_constantIbLb1EESW_IbLb0EEEEDaSS_ST_EUlSS_E0_NS1_11comp_targetILNS1_3genE10ELNS1_11target_archE1201ELNS1_3gpuE5ELNS1_3repE0EEENS1_30default_config_static_selectorELNS0_4arch9wavefront6targetE1EEEvT1_
; %bb.0:
	.section	.rodata,"a",@progbits
	.p2align	6, 0x0
	.amdhsa_kernel _ZN7rocprim17ROCPRIM_400000_NS6detail17trampoline_kernelINS0_14default_configENS1_20scan_config_selectorItEEZZNS1_9scan_implILNS1_25lookback_scan_determinismE0ELb1ELb1ES3_N6thrust23THRUST_200600_302600_NS6detail15normal_iteratorINS9_10device_ptrItEEEENS9_16discard_iteratorINS9_11use_defaultEEEtNS9_4plusIvEEtEEDaPvRmT3_T4_T5_mT6_P12ihipStream_tbENKUlT_T0_E_clISt17integral_constantIbLb1EESW_IbLb0EEEEDaSS_ST_EUlSS_E0_NS1_11comp_targetILNS1_3genE10ELNS1_11target_archE1201ELNS1_3gpuE5ELNS1_3repE0EEENS1_30default_config_static_selectorELNS0_4arch9wavefront6targetE1EEEvT1_
		.amdhsa_group_segment_fixed_size 0
		.amdhsa_private_segment_fixed_size 0
		.amdhsa_kernarg_size 40
		.amdhsa_user_sgpr_count 6
		.amdhsa_user_sgpr_private_segment_buffer 1
		.amdhsa_user_sgpr_dispatch_ptr 0
		.amdhsa_user_sgpr_queue_ptr 0
		.amdhsa_user_sgpr_kernarg_segment_ptr 1
		.amdhsa_user_sgpr_dispatch_id 0
		.amdhsa_user_sgpr_flat_scratch_init 0
		.amdhsa_user_sgpr_kernarg_preload_length 0
		.amdhsa_user_sgpr_kernarg_preload_offset 0
		.amdhsa_user_sgpr_private_segment_size 0
		.amdhsa_uses_dynamic_stack 0
		.amdhsa_system_sgpr_private_segment_wavefront_offset 0
		.amdhsa_system_sgpr_workgroup_id_x 1
		.amdhsa_system_sgpr_workgroup_id_y 0
		.amdhsa_system_sgpr_workgroup_id_z 0
		.amdhsa_system_sgpr_workgroup_info 0
		.amdhsa_system_vgpr_workitem_id 0
		.amdhsa_next_free_vgpr 1
		.amdhsa_next_free_sgpr 0
		.amdhsa_accum_offset 4
		.amdhsa_reserve_vcc 0
		.amdhsa_reserve_flat_scratch 0
		.amdhsa_float_round_mode_32 0
		.amdhsa_float_round_mode_16_64 0
		.amdhsa_float_denorm_mode_32 3
		.amdhsa_float_denorm_mode_16_64 3
		.amdhsa_dx10_clamp 1
		.amdhsa_ieee_mode 1
		.amdhsa_fp16_overflow 0
		.amdhsa_tg_split 0
		.amdhsa_exception_fp_ieee_invalid_op 0
		.amdhsa_exception_fp_denorm_src 0
		.amdhsa_exception_fp_ieee_div_zero 0
		.amdhsa_exception_fp_ieee_overflow 0
		.amdhsa_exception_fp_ieee_underflow 0
		.amdhsa_exception_fp_ieee_inexact 0
		.amdhsa_exception_int_div_zero 0
	.end_amdhsa_kernel
	.section	.text._ZN7rocprim17ROCPRIM_400000_NS6detail17trampoline_kernelINS0_14default_configENS1_20scan_config_selectorItEEZZNS1_9scan_implILNS1_25lookback_scan_determinismE0ELb1ELb1ES3_N6thrust23THRUST_200600_302600_NS6detail15normal_iteratorINS9_10device_ptrItEEEENS9_16discard_iteratorINS9_11use_defaultEEEtNS9_4plusIvEEtEEDaPvRmT3_T4_T5_mT6_P12ihipStream_tbENKUlT_T0_E_clISt17integral_constantIbLb1EESW_IbLb0EEEEDaSS_ST_EUlSS_E0_NS1_11comp_targetILNS1_3genE10ELNS1_11target_archE1201ELNS1_3gpuE5ELNS1_3repE0EEENS1_30default_config_static_selectorELNS0_4arch9wavefront6targetE1EEEvT1_,"axG",@progbits,_ZN7rocprim17ROCPRIM_400000_NS6detail17trampoline_kernelINS0_14default_configENS1_20scan_config_selectorItEEZZNS1_9scan_implILNS1_25lookback_scan_determinismE0ELb1ELb1ES3_N6thrust23THRUST_200600_302600_NS6detail15normal_iteratorINS9_10device_ptrItEEEENS9_16discard_iteratorINS9_11use_defaultEEEtNS9_4plusIvEEtEEDaPvRmT3_T4_T5_mT6_P12ihipStream_tbENKUlT_T0_E_clISt17integral_constantIbLb1EESW_IbLb0EEEEDaSS_ST_EUlSS_E0_NS1_11comp_targetILNS1_3genE10ELNS1_11target_archE1201ELNS1_3gpuE5ELNS1_3repE0EEENS1_30default_config_static_selectorELNS0_4arch9wavefront6targetE1EEEvT1_,comdat
.Lfunc_end5560:
	.size	_ZN7rocprim17ROCPRIM_400000_NS6detail17trampoline_kernelINS0_14default_configENS1_20scan_config_selectorItEEZZNS1_9scan_implILNS1_25lookback_scan_determinismE0ELb1ELb1ES3_N6thrust23THRUST_200600_302600_NS6detail15normal_iteratorINS9_10device_ptrItEEEENS9_16discard_iteratorINS9_11use_defaultEEEtNS9_4plusIvEEtEEDaPvRmT3_T4_T5_mT6_P12ihipStream_tbENKUlT_T0_E_clISt17integral_constantIbLb1EESW_IbLb0EEEEDaSS_ST_EUlSS_E0_NS1_11comp_targetILNS1_3genE10ELNS1_11target_archE1201ELNS1_3gpuE5ELNS1_3repE0EEENS1_30default_config_static_selectorELNS0_4arch9wavefront6targetE1EEEvT1_, .Lfunc_end5560-_ZN7rocprim17ROCPRIM_400000_NS6detail17trampoline_kernelINS0_14default_configENS1_20scan_config_selectorItEEZZNS1_9scan_implILNS1_25lookback_scan_determinismE0ELb1ELb1ES3_N6thrust23THRUST_200600_302600_NS6detail15normal_iteratorINS9_10device_ptrItEEEENS9_16discard_iteratorINS9_11use_defaultEEEtNS9_4plusIvEEtEEDaPvRmT3_T4_T5_mT6_P12ihipStream_tbENKUlT_T0_E_clISt17integral_constantIbLb1EESW_IbLb0EEEEDaSS_ST_EUlSS_E0_NS1_11comp_targetILNS1_3genE10ELNS1_11target_archE1201ELNS1_3gpuE5ELNS1_3repE0EEENS1_30default_config_static_selectorELNS0_4arch9wavefront6targetE1EEEvT1_
                                        ; -- End function
	.section	.AMDGPU.csdata,"",@progbits
; Kernel info:
; codeLenInByte = 0
; NumSgprs: 4
; NumVgprs: 0
; NumAgprs: 0
; TotalNumVgprs: 0
; ScratchSize: 0
; MemoryBound: 0
; FloatMode: 240
; IeeeMode: 1
; LDSByteSize: 0 bytes/workgroup (compile time only)
; SGPRBlocks: 0
; VGPRBlocks: 0
; NumSGPRsForWavesPerEU: 4
; NumVGPRsForWavesPerEU: 1
; AccumOffset: 4
; Occupancy: 8
; WaveLimiterHint : 0
; COMPUTE_PGM_RSRC2:SCRATCH_EN: 0
; COMPUTE_PGM_RSRC2:USER_SGPR: 6
; COMPUTE_PGM_RSRC2:TRAP_HANDLER: 0
; COMPUTE_PGM_RSRC2:TGID_X_EN: 1
; COMPUTE_PGM_RSRC2:TGID_Y_EN: 0
; COMPUTE_PGM_RSRC2:TGID_Z_EN: 0
; COMPUTE_PGM_RSRC2:TIDIG_COMP_CNT: 0
; COMPUTE_PGM_RSRC3_GFX90A:ACCUM_OFFSET: 0
; COMPUTE_PGM_RSRC3_GFX90A:TG_SPLIT: 0
	.section	.text._ZN7rocprim17ROCPRIM_400000_NS6detail17trampoline_kernelINS0_14default_configENS1_20scan_config_selectorItEEZZNS1_9scan_implILNS1_25lookback_scan_determinismE0ELb1ELb1ES3_N6thrust23THRUST_200600_302600_NS6detail15normal_iteratorINS9_10device_ptrItEEEENS9_16discard_iteratorINS9_11use_defaultEEEtNS9_4plusIvEEtEEDaPvRmT3_T4_T5_mT6_P12ihipStream_tbENKUlT_T0_E_clISt17integral_constantIbLb1EESW_IbLb0EEEEDaSS_ST_EUlSS_E0_NS1_11comp_targetILNS1_3genE10ELNS1_11target_archE1200ELNS1_3gpuE4ELNS1_3repE0EEENS1_30default_config_static_selectorELNS0_4arch9wavefront6targetE1EEEvT1_,"axG",@progbits,_ZN7rocprim17ROCPRIM_400000_NS6detail17trampoline_kernelINS0_14default_configENS1_20scan_config_selectorItEEZZNS1_9scan_implILNS1_25lookback_scan_determinismE0ELb1ELb1ES3_N6thrust23THRUST_200600_302600_NS6detail15normal_iteratorINS9_10device_ptrItEEEENS9_16discard_iteratorINS9_11use_defaultEEEtNS9_4plusIvEEtEEDaPvRmT3_T4_T5_mT6_P12ihipStream_tbENKUlT_T0_E_clISt17integral_constantIbLb1EESW_IbLb0EEEEDaSS_ST_EUlSS_E0_NS1_11comp_targetILNS1_3genE10ELNS1_11target_archE1200ELNS1_3gpuE4ELNS1_3repE0EEENS1_30default_config_static_selectorELNS0_4arch9wavefront6targetE1EEEvT1_,comdat
	.protected	_ZN7rocprim17ROCPRIM_400000_NS6detail17trampoline_kernelINS0_14default_configENS1_20scan_config_selectorItEEZZNS1_9scan_implILNS1_25lookback_scan_determinismE0ELb1ELb1ES3_N6thrust23THRUST_200600_302600_NS6detail15normal_iteratorINS9_10device_ptrItEEEENS9_16discard_iteratorINS9_11use_defaultEEEtNS9_4plusIvEEtEEDaPvRmT3_T4_T5_mT6_P12ihipStream_tbENKUlT_T0_E_clISt17integral_constantIbLb1EESW_IbLb0EEEEDaSS_ST_EUlSS_E0_NS1_11comp_targetILNS1_3genE10ELNS1_11target_archE1200ELNS1_3gpuE4ELNS1_3repE0EEENS1_30default_config_static_selectorELNS0_4arch9wavefront6targetE1EEEvT1_ ; -- Begin function _ZN7rocprim17ROCPRIM_400000_NS6detail17trampoline_kernelINS0_14default_configENS1_20scan_config_selectorItEEZZNS1_9scan_implILNS1_25lookback_scan_determinismE0ELb1ELb1ES3_N6thrust23THRUST_200600_302600_NS6detail15normal_iteratorINS9_10device_ptrItEEEENS9_16discard_iteratorINS9_11use_defaultEEEtNS9_4plusIvEEtEEDaPvRmT3_T4_T5_mT6_P12ihipStream_tbENKUlT_T0_E_clISt17integral_constantIbLb1EESW_IbLb0EEEEDaSS_ST_EUlSS_E0_NS1_11comp_targetILNS1_3genE10ELNS1_11target_archE1200ELNS1_3gpuE4ELNS1_3repE0EEENS1_30default_config_static_selectorELNS0_4arch9wavefront6targetE1EEEvT1_
	.globl	_ZN7rocprim17ROCPRIM_400000_NS6detail17trampoline_kernelINS0_14default_configENS1_20scan_config_selectorItEEZZNS1_9scan_implILNS1_25lookback_scan_determinismE0ELb1ELb1ES3_N6thrust23THRUST_200600_302600_NS6detail15normal_iteratorINS9_10device_ptrItEEEENS9_16discard_iteratorINS9_11use_defaultEEEtNS9_4plusIvEEtEEDaPvRmT3_T4_T5_mT6_P12ihipStream_tbENKUlT_T0_E_clISt17integral_constantIbLb1EESW_IbLb0EEEEDaSS_ST_EUlSS_E0_NS1_11comp_targetILNS1_3genE10ELNS1_11target_archE1200ELNS1_3gpuE4ELNS1_3repE0EEENS1_30default_config_static_selectorELNS0_4arch9wavefront6targetE1EEEvT1_
	.p2align	8
	.type	_ZN7rocprim17ROCPRIM_400000_NS6detail17trampoline_kernelINS0_14default_configENS1_20scan_config_selectorItEEZZNS1_9scan_implILNS1_25lookback_scan_determinismE0ELb1ELb1ES3_N6thrust23THRUST_200600_302600_NS6detail15normal_iteratorINS9_10device_ptrItEEEENS9_16discard_iteratorINS9_11use_defaultEEEtNS9_4plusIvEEtEEDaPvRmT3_T4_T5_mT6_P12ihipStream_tbENKUlT_T0_E_clISt17integral_constantIbLb1EESW_IbLb0EEEEDaSS_ST_EUlSS_E0_NS1_11comp_targetILNS1_3genE10ELNS1_11target_archE1200ELNS1_3gpuE4ELNS1_3repE0EEENS1_30default_config_static_selectorELNS0_4arch9wavefront6targetE1EEEvT1_,@function
_ZN7rocprim17ROCPRIM_400000_NS6detail17trampoline_kernelINS0_14default_configENS1_20scan_config_selectorItEEZZNS1_9scan_implILNS1_25lookback_scan_determinismE0ELb1ELb1ES3_N6thrust23THRUST_200600_302600_NS6detail15normal_iteratorINS9_10device_ptrItEEEENS9_16discard_iteratorINS9_11use_defaultEEEtNS9_4plusIvEEtEEDaPvRmT3_T4_T5_mT6_P12ihipStream_tbENKUlT_T0_E_clISt17integral_constantIbLb1EESW_IbLb0EEEEDaSS_ST_EUlSS_E0_NS1_11comp_targetILNS1_3genE10ELNS1_11target_archE1200ELNS1_3gpuE4ELNS1_3repE0EEENS1_30default_config_static_selectorELNS0_4arch9wavefront6targetE1EEEvT1_: ; @_ZN7rocprim17ROCPRIM_400000_NS6detail17trampoline_kernelINS0_14default_configENS1_20scan_config_selectorItEEZZNS1_9scan_implILNS1_25lookback_scan_determinismE0ELb1ELb1ES3_N6thrust23THRUST_200600_302600_NS6detail15normal_iteratorINS9_10device_ptrItEEEENS9_16discard_iteratorINS9_11use_defaultEEEtNS9_4plusIvEEtEEDaPvRmT3_T4_T5_mT6_P12ihipStream_tbENKUlT_T0_E_clISt17integral_constantIbLb1EESW_IbLb0EEEEDaSS_ST_EUlSS_E0_NS1_11comp_targetILNS1_3genE10ELNS1_11target_archE1200ELNS1_3gpuE4ELNS1_3repE0EEENS1_30default_config_static_selectorELNS0_4arch9wavefront6targetE1EEEvT1_
; %bb.0:
	.section	.rodata,"a",@progbits
	.p2align	6, 0x0
	.amdhsa_kernel _ZN7rocprim17ROCPRIM_400000_NS6detail17trampoline_kernelINS0_14default_configENS1_20scan_config_selectorItEEZZNS1_9scan_implILNS1_25lookback_scan_determinismE0ELb1ELb1ES3_N6thrust23THRUST_200600_302600_NS6detail15normal_iteratorINS9_10device_ptrItEEEENS9_16discard_iteratorINS9_11use_defaultEEEtNS9_4plusIvEEtEEDaPvRmT3_T4_T5_mT6_P12ihipStream_tbENKUlT_T0_E_clISt17integral_constantIbLb1EESW_IbLb0EEEEDaSS_ST_EUlSS_E0_NS1_11comp_targetILNS1_3genE10ELNS1_11target_archE1200ELNS1_3gpuE4ELNS1_3repE0EEENS1_30default_config_static_selectorELNS0_4arch9wavefront6targetE1EEEvT1_
		.amdhsa_group_segment_fixed_size 0
		.amdhsa_private_segment_fixed_size 0
		.amdhsa_kernarg_size 40
		.amdhsa_user_sgpr_count 6
		.amdhsa_user_sgpr_private_segment_buffer 1
		.amdhsa_user_sgpr_dispatch_ptr 0
		.amdhsa_user_sgpr_queue_ptr 0
		.amdhsa_user_sgpr_kernarg_segment_ptr 1
		.amdhsa_user_sgpr_dispatch_id 0
		.amdhsa_user_sgpr_flat_scratch_init 0
		.amdhsa_user_sgpr_kernarg_preload_length 0
		.amdhsa_user_sgpr_kernarg_preload_offset 0
		.amdhsa_user_sgpr_private_segment_size 0
		.amdhsa_uses_dynamic_stack 0
		.amdhsa_system_sgpr_private_segment_wavefront_offset 0
		.amdhsa_system_sgpr_workgroup_id_x 1
		.amdhsa_system_sgpr_workgroup_id_y 0
		.amdhsa_system_sgpr_workgroup_id_z 0
		.amdhsa_system_sgpr_workgroup_info 0
		.amdhsa_system_vgpr_workitem_id 0
		.amdhsa_next_free_vgpr 1
		.amdhsa_next_free_sgpr 0
		.amdhsa_accum_offset 4
		.amdhsa_reserve_vcc 0
		.amdhsa_reserve_flat_scratch 0
		.amdhsa_float_round_mode_32 0
		.amdhsa_float_round_mode_16_64 0
		.amdhsa_float_denorm_mode_32 3
		.amdhsa_float_denorm_mode_16_64 3
		.amdhsa_dx10_clamp 1
		.amdhsa_ieee_mode 1
		.amdhsa_fp16_overflow 0
		.amdhsa_tg_split 0
		.amdhsa_exception_fp_ieee_invalid_op 0
		.amdhsa_exception_fp_denorm_src 0
		.amdhsa_exception_fp_ieee_div_zero 0
		.amdhsa_exception_fp_ieee_overflow 0
		.amdhsa_exception_fp_ieee_underflow 0
		.amdhsa_exception_fp_ieee_inexact 0
		.amdhsa_exception_int_div_zero 0
	.end_amdhsa_kernel
	.section	.text._ZN7rocprim17ROCPRIM_400000_NS6detail17trampoline_kernelINS0_14default_configENS1_20scan_config_selectorItEEZZNS1_9scan_implILNS1_25lookback_scan_determinismE0ELb1ELb1ES3_N6thrust23THRUST_200600_302600_NS6detail15normal_iteratorINS9_10device_ptrItEEEENS9_16discard_iteratorINS9_11use_defaultEEEtNS9_4plusIvEEtEEDaPvRmT3_T4_T5_mT6_P12ihipStream_tbENKUlT_T0_E_clISt17integral_constantIbLb1EESW_IbLb0EEEEDaSS_ST_EUlSS_E0_NS1_11comp_targetILNS1_3genE10ELNS1_11target_archE1200ELNS1_3gpuE4ELNS1_3repE0EEENS1_30default_config_static_selectorELNS0_4arch9wavefront6targetE1EEEvT1_,"axG",@progbits,_ZN7rocprim17ROCPRIM_400000_NS6detail17trampoline_kernelINS0_14default_configENS1_20scan_config_selectorItEEZZNS1_9scan_implILNS1_25lookback_scan_determinismE0ELb1ELb1ES3_N6thrust23THRUST_200600_302600_NS6detail15normal_iteratorINS9_10device_ptrItEEEENS9_16discard_iteratorINS9_11use_defaultEEEtNS9_4plusIvEEtEEDaPvRmT3_T4_T5_mT6_P12ihipStream_tbENKUlT_T0_E_clISt17integral_constantIbLb1EESW_IbLb0EEEEDaSS_ST_EUlSS_E0_NS1_11comp_targetILNS1_3genE10ELNS1_11target_archE1200ELNS1_3gpuE4ELNS1_3repE0EEENS1_30default_config_static_selectorELNS0_4arch9wavefront6targetE1EEEvT1_,comdat
.Lfunc_end5561:
	.size	_ZN7rocprim17ROCPRIM_400000_NS6detail17trampoline_kernelINS0_14default_configENS1_20scan_config_selectorItEEZZNS1_9scan_implILNS1_25lookback_scan_determinismE0ELb1ELb1ES3_N6thrust23THRUST_200600_302600_NS6detail15normal_iteratorINS9_10device_ptrItEEEENS9_16discard_iteratorINS9_11use_defaultEEEtNS9_4plusIvEEtEEDaPvRmT3_T4_T5_mT6_P12ihipStream_tbENKUlT_T0_E_clISt17integral_constantIbLb1EESW_IbLb0EEEEDaSS_ST_EUlSS_E0_NS1_11comp_targetILNS1_3genE10ELNS1_11target_archE1200ELNS1_3gpuE4ELNS1_3repE0EEENS1_30default_config_static_selectorELNS0_4arch9wavefront6targetE1EEEvT1_, .Lfunc_end5561-_ZN7rocprim17ROCPRIM_400000_NS6detail17trampoline_kernelINS0_14default_configENS1_20scan_config_selectorItEEZZNS1_9scan_implILNS1_25lookback_scan_determinismE0ELb1ELb1ES3_N6thrust23THRUST_200600_302600_NS6detail15normal_iteratorINS9_10device_ptrItEEEENS9_16discard_iteratorINS9_11use_defaultEEEtNS9_4plusIvEEtEEDaPvRmT3_T4_T5_mT6_P12ihipStream_tbENKUlT_T0_E_clISt17integral_constantIbLb1EESW_IbLb0EEEEDaSS_ST_EUlSS_E0_NS1_11comp_targetILNS1_3genE10ELNS1_11target_archE1200ELNS1_3gpuE4ELNS1_3repE0EEENS1_30default_config_static_selectorELNS0_4arch9wavefront6targetE1EEEvT1_
                                        ; -- End function
	.section	.AMDGPU.csdata,"",@progbits
; Kernel info:
; codeLenInByte = 0
; NumSgprs: 4
; NumVgprs: 0
; NumAgprs: 0
; TotalNumVgprs: 0
; ScratchSize: 0
; MemoryBound: 0
; FloatMode: 240
; IeeeMode: 1
; LDSByteSize: 0 bytes/workgroup (compile time only)
; SGPRBlocks: 0
; VGPRBlocks: 0
; NumSGPRsForWavesPerEU: 4
; NumVGPRsForWavesPerEU: 1
; AccumOffset: 4
; Occupancy: 8
; WaveLimiterHint : 0
; COMPUTE_PGM_RSRC2:SCRATCH_EN: 0
; COMPUTE_PGM_RSRC2:USER_SGPR: 6
; COMPUTE_PGM_RSRC2:TRAP_HANDLER: 0
; COMPUTE_PGM_RSRC2:TGID_X_EN: 1
; COMPUTE_PGM_RSRC2:TGID_Y_EN: 0
; COMPUTE_PGM_RSRC2:TGID_Z_EN: 0
; COMPUTE_PGM_RSRC2:TIDIG_COMP_CNT: 0
; COMPUTE_PGM_RSRC3_GFX90A:ACCUM_OFFSET: 0
; COMPUTE_PGM_RSRC3_GFX90A:TG_SPLIT: 0
	.section	.text._ZN7rocprim17ROCPRIM_400000_NS6detail17trampoline_kernelINS0_14default_configENS1_20scan_config_selectorItEEZZNS1_9scan_implILNS1_25lookback_scan_determinismE0ELb1ELb1ES3_N6thrust23THRUST_200600_302600_NS6detail15normal_iteratorINS9_10device_ptrItEEEENS9_16discard_iteratorINS9_11use_defaultEEEtNS9_4plusIvEEtEEDaPvRmT3_T4_T5_mT6_P12ihipStream_tbENKUlT_T0_E_clISt17integral_constantIbLb1EESW_IbLb0EEEEDaSS_ST_EUlSS_E0_NS1_11comp_targetILNS1_3genE9ELNS1_11target_archE1100ELNS1_3gpuE3ELNS1_3repE0EEENS1_30default_config_static_selectorELNS0_4arch9wavefront6targetE1EEEvT1_,"axG",@progbits,_ZN7rocprim17ROCPRIM_400000_NS6detail17trampoline_kernelINS0_14default_configENS1_20scan_config_selectorItEEZZNS1_9scan_implILNS1_25lookback_scan_determinismE0ELb1ELb1ES3_N6thrust23THRUST_200600_302600_NS6detail15normal_iteratorINS9_10device_ptrItEEEENS9_16discard_iteratorINS9_11use_defaultEEEtNS9_4plusIvEEtEEDaPvRmT3_T4_T5_mT6_P12ihipStream_tbENKUlT_T0_E_clISt17integral_constantIbLb1EESW_IbLb0EEEEDaSS_ST_EUlSS_E0_NS1_11comp_targetILNS1_3genE9ELNS1_11target_archE1100ELNS1_3gpuE3ELNS1_3repE0EEENS1_30default_config_static_selectorELNS0_4arch9wavefront6targetE1EEEvT1_,comdat
	.protected	_ZN7rocprim17ROCPRIM_400000_NS6detail17trampoline_kernelINS0_14default_configENS1_20scan_config_selectorItEEZZNS1_9scan_implILNS1_25lookback_scan_determinismE0ELb1ELb1ES3_N6thrust23THRUST_200600_302600_NS6detail15normal_iteratorINS9_10device_ptrItEEEENS9_16discard_iteratorINS9_11use_defaultEEEtNS9_4plusIvEEtEEDaPvRmT3_T4_T5_mT6_P12ihipStream_tbENKUlT_T0_E_clISt17integral_constantIbLb1EESW_IbLb0EEEEDaSS_ST_EUlSS_E0_NS1_11comp_targetILNS1_3genE9ELNS1_11target_archE1100ELNS1_3gpuE3ELNS1_3repE0EEENS1_30default_config_static_selectorELNS0_4arch9wavefront6targetE1EEEvT1_ ; -- Begin function _ZN7rocprim17ROCPRIM_400000_NS6detail17trampoline_kernelINS0_14default_configENS1_20scan_config_selectorItEEZZNS1_9scan_implILNS1_25lookback_scan_determinismE0ELb1ELb1ES3_N6thrust23THRUST_200600_302600_NS6detail15normal_iteratorINS9_10device_ptrItEEEENS9_16discard_iteratorINS9_11use_defaultEEEtNS9_4plusIvEEtEEDaPvRmT3_T4_T5_mT6_P12ihipStream_tbENKUlT_T0_E_clISt17integral_constantIbLb1EESW_IbLb0EEEEDaSS_ST_EUlSS_E0_NS1_11comp_targetILNS1_3genE9ELNS1_11target_archE1100ELNS1_3gpuE3ELNS1_3repE0EEENS1_30default_config_static_selectorELNS0_4arch9wavefront6targetE1EEEvT1_
	.globl	_ZN7rocprim17ROCPRIM_400000_NS6detail17trampoline_kernelINS0_14default_configENS1_20scan_config_selectorItEEZZNS1_9scan_implILNS1_25lookback_scan_determinismE0ELb1ELb1ES3_N6thrust23THRUST_200600_302600_NS6detail15normal_iteratorINS9_10device_ptrItEEEENS9_16discard_iteratorINS9_11use_defaultEEEtNS9_4plusIvEEtEEDaPvRmT3_T4_T5_mT6_P12ihipStream_tbENKUlT_T0_E_clISt17integral_constantIbLb1EESW_IbLb0EEEEDaSS_ST_EUlSS_E0_NS1_11comp_targetILNS1_3genE9ELNS1_11target_archE1100ELNS1_3gpuE3ELNS1_3repE0EEENS1_30default_config_static_selectorELNS0_4arch9wavefront6targetE1EEEvT1_
	.p2align	8
	.type	_ZN7rocprim17ROCPRIM_400000_NS6detail17trampoline_kernelINS0_14default_configENS1_20scan_config_selectorItEEZZNS1_9scan_implILNS1_25lookback_scan_determinismE0ELb1ELb1ES3_N6thrust23THRUST_200600_302600_NS6detail15normal_iteratorINS9_10device_ptrItEEEENS9_16discard_iteratorINS9_11use_defaultEEEtNS9_4plusIvEEtEEDaPvRmT3_T4_T5_mT6_P12ihipStream_tbENKUlT_T0_E_clISt17integral_constantIbLb1EESW_IbLb0EEEEDaSS_ST_EUlSS_E0_NS1_11comp_targetILNS1_3genE9ELNS1_11target_archE1100ELNS1_3gpuE3ELNS1_3repE0EEENS1_30default_config_static_selectorELNS0_4arch9wavefront6targetE1EEEvT1_,@function
_ZN7rocprim17ROCPRIM_400000_NS6detail17trampoline_kernelINS0_14default_configENS1_20scan_config_selectorItEEZZNS1_9scan_implILNS1_25lookback_scan_determinismE0ELb1ELb1ES3_N6thrust23THRUST_200600_302600_NS6detail15normal_iteratorINS9_10device_ptrItEEEENS9_16discard_iteratorINS9_11use_defaultEEEtNS9_4plusIvEEtEEDaPvRmT3_T4_T5_mT6_P12ihipStream_tbENKUlT_T0_E_clISt17integral_constantIbLb1EESW_IbLb0EEEEDaSS_ST_EUlSS_E0_NS1_11comp_targetILNS1_3genE9ELNS1_11target_archE1100ELNS1_3gpuE3ELNS1_3repE0EEENS1_30default_config_static_selectorELNS0_4arch9wavefront6targetE1EEEvT1_: ; @_ZN7rocprim17ROCPRIM_400000_NS6detail17trampoline_kernelINS0_14default_configENS1_20scan_config_selectorItEEZZNS1_9scan_implILNS1_25lookback_scan_determinismE0ELb1ELb1ES3_N6thrust23THRUST_200600_302600_NS6detail15normal_iteratorINS9_10device_ptrItEEEENS9_16discard_iteratorINS9_11use_defaultEEEtNS9_4plusIvEEtEEDaPvRmT3_T4_T5_mT6_P12ihipStream_tbENKUlT_T0_E_clISt17integral_constantIbLb1EESW_IbLb0EEEEDaSS_ST_EUlSS_E0_NS1_11comp_targetILNS1_3genE9ELNS1_11target_archE1100ELNS1_3gpuE3ELNS1_3repE0EEENS1_30default_config_static_selectorELNS0_4arch9wavefront6targetE1EEEvT1_
; %bb.0:
	.section	.rodata,"a",@progbits
	.p2align	6, 0x0
	.amdhsa_kernel _ZN7rocprim17ROCPRIM_400000_NS6detail17trampoline_kernelINS0_14default_configENS1_20scan_config_selectorItEEZZNS1_9scan_implILNS1_25lookback_scan_determinismE0ELb1ELb1ES3_N6thrust23THRUST_200600_302600_NS6detail15normal_iteratorINS9_10device_ptrItEEEENS9_16discard_iteratorINS9_11use_defaultEEEtNS9_4plusIvEEtEEDaPvRmT3_T4_T5_mT6_P12ihipStream_tbENKUlT_T0_E_clISt17integral_constantIbLb1EESW_IbLb0EEEEDaSS_ST_EUlSS_E0_NS1_11comp_targetILNS1_3genE9ELNS1_11target_archE1100ELNS1_3gpuE3ELNS1_3repE0EEENS1_30default_config_static_selectorELNS0_4arch9wavefront6targetE1EEEvT1_
		.amdhsa_group_segment_fixed_size 0
		.amdhsa_private_segment_fixed_size 0
		.amdhsa_kernarg_size 40
		.amdhsa_user_sgpr_count 6
		.amdhsa_user_sgpr_private_segment_buffer 1
		.amdhsa_user_sgpr_dispatch_ptr 0
		.amdhsa_user_sgpr_queue_ptr 0
		.amdhsa_user_sgpr_kernarg_segment_ptr 1
		.amdhsa_user_sgpr_dispatch_id 0
		.amdhsa_user_sgpr_flat_scratch_init 0
		.amdhsa_user_sgpr_kernarg_preload_length 0
		.amdhsa_user_sgpr_kernarg_preload_offset 0
		.amdhsa_user_sgpr_private_segment_size 0
		.amdhsa_uses_dynamic_stack 0
		.amdhsa_system_sgpr_private_segment_wavefront_offset 0
		.amdhsa_system_sgpr_workgroup_id_x 1
		.amdhsa_system_sgpr_workgroup_id_y 0
		.amdhsa_system_sgpr_workgroup_id_z 0
		.amdhsa_system_sgpr_workgroup_info 0
		.amdhsa_system_vgpr_workitem_id 0
		.amdhsa_next_free_vgpr 1
		.amdhsa_next_free_sgpr 0
		.amdhsa_accum_offset 4
		.amdhsa_reserve_vcc 0
		.amdhsa_reserve_flat_scratch 0
		.amdhsa_float_round_mode_32 0
		.amdhsa_float_round_mode_16_64 0
		.amdhsa_float_denorm_mode_32 3
		.amdhsa_float_denorm_mode_16_64 3
		.amdhsa_dx10_clamp 1
		.amdhsa_ieee_mode 1
		.amdhsa_fp16_overflow 0
		.amdhsa_tg_split 0
		.amdhsa_exception_fp_ieee_invalid_op 0
		.amdhsa_exception_fp_denorm_src 0
		.amdhsa_exception_fp_ieee_div_zero 0
		.amdhsa_exception_fp_ieee_overflow 0
		.amdhsa_exception_fp_ieee_underflow 0
		.amdhsa_exception_fp_ieee_inexact 0
		.amdhsa_exception_int_div_zero 0
	.end_amdhsa_kernel
	.section	.text._ZN7rocprim17ROCPRIM_400000_NS6detail17trampoline_kernelINS0_14default_configENS1_20scan_config_selectorItEEZZNS1_9scan_implILNS1_25lookback_scan_determinismE0ELb1ELb1ES3_N6thrust23THRUST_200600_302600_NS6detail15normal_iteratorINS9_10device_ptrItEEEENS9_16discard_iteratorINS9_11use_defaultEEEtNS9_4plusIvEEtEEDaPvRmT3_T4_T5_mT6_P12ihipStream_tbENKUlT_T0_E_clISt17integral_constantIbLb1EESW_IbLb0EEEEDaSS_ST_EUlSS_E0_NS1_11comp_targetILNS1_3genE9ELNS1_11target_archE1100ELNS1_3gpuE3ELNS1_3repE0EEENS1_30default_config_static_selectorELNS0_4arch9wavefront6targetE1EEEvT1_,"axG",@progbits,_ZN7rocprim17ROCPRIM_400000_NS6detail17trampoline_kernelINS0_14default_configENS1_20scan_config_selectorItEEZZNS1_9scan_implILNS1_25lookback_scan_determinismE0ELb1ELb1ES3_N6thrust23THRUST_200600_302600_NS6detail15normal_iteratorINS9_10device_ptrItEEEENS9_16discard_iteratorINS9_11use_defaultEEEtNS9_4plusIvEEtEEDaPvRmT3_T4_T5_mT6_P12ihipStream_tbENKUlT_T0_E_clISt17integral_constantIbLb1EESW_IbLb0EEEEDaSS_ST_EUlSS_E0_NS1_11comp_targetILNS1_3genE9ELNS1_11target_archE1100ELNS1_3gpuE3ELNS1_3repE0EEENS1_30default_config_static_selectorELNS0_4arch9wavefront6targetE1EEEvT1_,comdat
.Lfunc_end5562:
	.size	_ZN7rocprim17ROCPRIM_400000_NS6detail17trampoline_kernelINS0_14default_configENS1_20scan_config_selectorItEEZZNS1_9scan_implILNS1_25lookback_scan_determinismE0ELb1ELb1ES3_N6thrust23THRUST_200600_302600_NS6detail15normal_iteratorINS9_10device_ptrItEEEENS9_16discard_iteratorINS9_11use_defaultEEEtNS9_4plusIvEEtEEDaPvRmT3_T4_T5_mT6_P12ihipStream_tbENKUlT_T0_E_clISt17integral_constantIbLb1EESW_IbLb0EEEEDaSS_ST_EUlSS_E0_NS1_11comp_targetILNS1_3genE9ELNS1_11target_archE1100ELNS1_3gpuE3ELNS1_3repE0EEENS1_30default_config_static_selectorELNS0_4arch9wavefront6targetE1EEEvT1_, .Lfunc_end5562-_ZN7rocprim17ROCPRIM_400000_NS6detail17trampoline_kernelINS0_14default_configENS1_20scan_config_selectorItEEZZNS1_9scan_implILNS1_25lookback_scan_determinismE0ELb1ELb1ES3_N6thrust23THRUST_200600_302600_NS6detail15normal_iteratorINS9_10device_ptrItEEEENS9_16discard_iteratorINS9_11use_defaultEEEtNS9_4plusIvEEtEEDaPvRmT3_T4_T5_mT6_P12ihipStream_tbENKUlT_T0_E_clISt17integral_constantIbLb1EESW_IbLb0EEEEDaSS_ST_EUlSS_E0_NS1_11comp_targetILNS1_3genE9ELNS1_11target_archE1100ELNS1_3gpuE3ELNS1_3repE0EEENS1_30default_config_static_selectorELNS0_4arch9wavefront6targetE1EEEvT1_
                                        ; -- End function
	.section	.AMDGPU.csdata,"",@progbits
; Kernel info:
; codeLenInByte = 0
; NumSgprs: 4
; NumVgprs: 0
; NumAgprs: 0
; TotalNumVgprs: 0
; ScratchSize: 0
; MemoryBound: 0
; FloatMode: 240
; IeeeMode: 1
; LDSByteSize: 0 bytes/workgroup (compile time only)
; SGPRBlocks: 0
; VGPRBlocks: 0
; NumSGPRsForWavesPerEU: 4
; NumVGPRsForWavesPerEU: 1
; AccumOffset: 4
; Occupancy: 8
; WaveLimiterHint : 0
; COMPUTE_PGM_RSRC2:SCRATCH_EN: 0
; COMPUTE_PGM_RSRC2:USER_SGPR: 6
; COMPUTE_PGM_RSRC2:TRAP_HANDLER: 0
; COMPUTE_PGM_RSRC2:TGID_X_EN: 1
; COMPUTE_PGM_RSRC2:TGID_Y_EN: 0
; COMPUTE_PGM_RSRC2:TGID_Z_EN: 0
; COMPUTE_PGM_RSRC2:TIDIG_COMP_CNT: 0
; COMPUTE_PGM_RSRC3_GFX90A:ACCUM_OFFSET: 0
; COMPUTE_PGM_RSRC3_GFX90A:TG_SPLIT: 0
	.section	.text._ZN7rocprim17ROCPRIM_400000_NS6detail17trampoline_kernelINS0_14default_configENS1_20scan_config_selectorItEEZZNS1_9scan_implILNS1_25lookback_scan_determinismE0ELb1ELb1ES3_N6thrust23THRUST_200600_302600_NS6detail15normal_iteratorINS9_10device_ptrItEEEENS9_16discard_iteratorINS9_11use_defaultEEEtNS9_4plusIvEEtEEDaPvRmT3_T4_T5_mT6_P12ihipStream_tbENKUlT_T0_E_clISt17integral_constantIbLb1EESW_IbLb0EEEEDaSS_ST_EUlSS_E0_NS1_11comp_targetILNS1_3genE8ELNS1_11target_archE1030ELNS1_3gpuE2ELNS1_3repE0EEENS1_30default_config_static_selectorELNS0_4arch9wavefront6targetE1EEEvT1_,"axG",@progbits,_ZN7rocprim17ROCPRIM_400000_NS6detail17trampoline_kernelINS0_14default_configENS1_20scan_config_selectorItEEZZNS1_9scan_implILNS1_25lookback_scan_determinismE0ELb1ELb1ES3_N6thrust23THRUST_200600_302600_NS6detail15normal_iteratorINS9_10device_ptrItEEEENS9_16discard_iteratorINS9_11use_defaultEEEtNS9_4plusIvEEtEEDaPvRmT3_T4_T5_mT6_P12ihipStream_tbENKUlT_T0_E_clISt17integral_constantIbLb1EESW_IbLb0EEEEDaSS_ST_EUlSS_E0_NS1_11comp_targetILNS1_3genE8ELNS1_11target_archE1030ELNS1_3gpuE2ELNS1_3repE0EEENS1_30default_config_static_selectorELNS0_4arch9wavefront6targetE1EEEvT1_,comdat
	.protected	_ZN7rocprim17ROCPRIM_400000_NS6detail17trampoline_kernelINS0_14default_configENS1_20scan_config_selectorItEEZZNS1_9scan_implILNS1_25lookback_scan_determinismE0ELb1ELb1ES3_N6thrust23THRUST_200600_302600_NS6detail15normal_iteratorINS9_10device_ptrItEEEENS9_16discard_iteratorINS9_11use_defaultEEEtNS9_4plusIvEEtEEDaPvRmT3_T4_T5_mT6_P12ihipStream_tbENKUlT_T0_E_clISt17integral_constantIbLb1EESW_IbLb0EEEEDaSS_ST_EUlSS_E0_NS1_11comp_targetILNS1_3genE8ELNS1_11target_archE1030ELNS1_3gpuE2ELNS1_3repE0EEENS1_30default_config_static_selectorELNS0_4arch9wavefront6targetE1EEEvT1_ ; -- Begin function _ZN7rocprim17ROCPRIM_400000_NS6detail17trampoline_kernelINS0_14default_configENS1_20scan_config_selectorItEEZZNS1_9scan_implILNS1_25lookback_scan_determinismE0ELb1ELb1ES3_N6thrust23THRUST_200600_302600_NS6detail15normal_iteratorINS9_10device_ptrItEEEENS9_16discard_iteratorINS9_11use_defaultEEEtNS9_4plusIvEEtEEDaPvRmT3_T4_T5_mT6_P12ihipStream_tbENKUlT_T0_E_clISt17integral_constantIbLb1EESW_IbLb0EEEEDaSS_ST_EUlSS_E0_NS1_11comp_targetILNS1_3genE8ELNS1_11target_archE1030ELNS1_3gpuE2ELNS1_3repE0EEENS1_30default_config_static_selectorELNS0_4arch9wavefront6targetE1EEEvT1_
	.globl	_ZN7rocprim17ROCPRIM_400000_NS6detail17trampoline_kernelINS0_14default_configENS1_20scan_config_selectorItEEZZNS1_9scan_implILNS1_25lookback_scan_determinismE0ELb1ELb1ES3_N6thrust23THRUST_200600_302600_NS6detail15normal_iteratorINS9_10device_ptrItEEEENS9_16discard_iteratorINS9_11use_defaultEEEtNS9_4plusIvEEtEEDaPvRmT3_T4_T5_mT6_P12ihipStream_tbENKUlT_T0_E_clISt17integral_constantIbLb1EESW_IbLb0EEEEDaSS_ST_EUlSS_E0_NS1_11comp_targetILNS1_3genE8ELNS1_11target_archE1030ELNS1_3gpuE2ELNS1_3repE0EEENS1_30default_config_static_selectorELNS0_4arch9wavefront6targetE1EEEvT1_
	.p2align	8
	.type	_ZN7rocprim17ROCPRIM_400000_NS6detail17trampoline_kernelINS0_14default_configENS1_20scan_config_selectorItEEZZNS1_9scan_implILNS1_25lookback_scan_determinismE0ELb1ELb1ES3_N6thrust23THRUST_200600_302600_NS6detail15normal_iteratorINS9_10device_ptrItEEEENS9_16discard_iteratorINS9_11use_defaultEEEtNS9_4plusIvEEtEEDaPvRmT3_T4_T5_mT6_P12ihipStream_tbENKUlT_T0_E_clISt17integral_constantIbLb1EESW_IbLb0EEEEDaSS_ST_EUlSS_E0_NS1_11comp_targetILNS1_3genE8ELNS1_11target_archE1030ELNS1_3gpuE2ELNS1_3repE0EEENS1_30default_config_static_selectorELNS0_4arch9wavefront6targetE1EEEvT1_,@function
_ZN7rocprim17ROCPRIM_400000_NS6detail17trampoline_kernelINS0_14default_configENS1_20scan_config_selectorItEEZZNS1_9scan_implILNS1_25lookback_scan_determinismE0ELb1ELb1ES3_N6thrust23THRUST_200600_302600_NS6detail15normal_iteratorINS9_10device_ptrItEEEENS9_16discard_iteratorINS9_11use_defaultEEEtNS9_4plusIvEEtEEDaPvRmT3_T4_T5_mT6_P12ihipStream_tbENKUlT_T0_E_clISt17integral_constantIbLb1EESW_IbLb0EEEEDaSS_ST_EUlSS_E0_NS1_11comp_targetILNS1_3genE8ELNS1_11target_archE1030ELNS1_3gpuE2ELNS1_3repE0EEENS1_30default_config_static_selectorELNS0_4arch9wavefront6targetE1EEEvT1_: ; @_ZN7rocprim17ROCPRIM_400000_NS6detail17trampoline_kernelINS0_14default_configENS1_20scan_config_selectorItEEZZNS1_9scan_implILNS1_25lookback_scan_determinismE0ELb1ELb1ES3_N6thrust23THRUST_200600_302600_NS6detail15normal_iteratorINS9_10device_ptrItEEEENS9_16discard_iteratorINS9_11use_defaultEEEtNS9_4plusIvEEtEEDaPvRmT3_T4_T5_mT6_P12ihipStream_tbENKUlT_T0_E_clISt17integral_constantIbLb1EESW_IbLb0EEEEDaSS_ST_EUlSS_E0_NS1_11comp_targetILNS1_3genE8ELNS1_11target_archE1030ELNS1_3gpuE2ELNS1_3repE0EEENS1_30default_config_static_selectorELNS0_4arch9wavefront6targetE1EEEvT1_
; %bb.0:
	.section	.rodata,"a",@progbits
	.p2align	6, 0x0
	.amdhsa_kernel _ZN7rocprim17ROCPRIM_400000_NS6detail17trampoline_kernelINS0_14default_configENS1_20scan_config_selectorItEEZZNS1_9scan_implILNS1_25lookback_scan_determinismE0ELb1ELb1ES3_N6thrust23THRUST_200600_302600_NS6detail15normal_iteratorINS9_10device_ptrItEEEENS9_16discard_iteratorINS9_11use_defaultEEEtNS9_4plusIvEEtEEDaPvRmT3_T4_T5_mT6_P12ihipStream_tbENKUlT_T0_E_clISt17integral_constantIbLb1EESW_IbLb0EEEEDaSS_ST_EUlSS_E0_NS1_11comp_targetILNS1_3genE8ELNS1_11target_archE1030ELNS1_3gpuE2ELNS1_3repE0EEENS1_30default_config_static_selectorELNS0_4arch9wavefront6targetE1EEEvT1_
		.amdhsa_group_segment_fixed_size 0
		.amdhsa_private_segment_fixed_size 0
		.amdhsa_kernarg_size 40
		.amdhsa_user_sgpr_count 6
		.amdhsa_user_sgpr_private_segment_buffer 1
		.amdhsa_user_sgpr_dispatch_ptr 0
		.amdhsa_user_sgpr_queue_ptr 0
		.amdhsa_user_sgpr_kernarg_segment_ptr 1
		.amdhsa_user_sgpr_dispatch_id 0
		.amdhsa_user_sgpr_flat_scratch_init 0
		.amdhsa_user_sgpr_kernarg_preload_length 0
		.amdhsa_user_sgpr_kernarg_preload_offset 0
		.amdhsa_user_sgpr_private_segment_size 0
		.amdhsa_uses_dynamic_stack 0
		.amdhsa_system_sgpr_private_segment_wavefront_offset 0
		.amdhsa_system_sgpr_workgroup_id_x 1
		.amdhsa_system_sgpr_workgroup_id_y 0
		.amdhsa_system_sgpr_workgroup_id_z 0
		.amdhsa_system_sgpr_workgroup_info 0
		.amdhsa_system_vgpr_workitem_id 0
		.amdhsa_next_free_vgpr 1
		.amdhsa_next_free_sgpr 0
		.amdhsa_accum_offset 4
		.amdhsa_reserve_vcc 0
		.amdhsa_reserve_flat_scratch 0
		.amdhsa_float_round_mode_32 0
		.amdhsa_float_round_mode_16_64 0
		.amdhsa_float_denorm_mode_32 3
		.amdhsa_float_denorm_mode_16_64 3
		.amdhsa_dx10_clamp 1
		.amdhsa_ieee_mode 1
		.amdhsa_fp16_overflow 0
		.amdhsa_tg_split 0
		.amdhsa_exception_fp_ieee_invalid_op 0
		.amdhsa_exception_fp_denorm_src 0
		.amdhsa_exception_fp_ieee_div_zero 0
		.amdhsa_exception_fp_ieee_overflow 0
		.amdhsa_exception_fp_ieee_underflow 0
		.amdhsa_exception_fp_ieee_inexact 0
		.amdhsa_exception_int_div_zero 0
	.end_amdhsa_kernel
	.section	.text._ZN7rocprim17ROCPRIM_400000_NS6detail17trampoline_kernelINS0_14default_configENS1_20scan_config_selectorItEEZZNS1_9scan_implILNS1_25lookback_scan_determinismE0ELb1ELb1ES3_N6thrust23THRUST_200600_302600_NS6detail15normal_iteratorINS9_10device_ptrItEEEENS9_16discard_iteratorINS9_11use_defaultEEEtNS9_4plusIvEEtEEDaPvRmT3_T4_T5_mT6_P12ihipStream_tbENKUlT_T0_E_clISt17integral_constantIbLb1EESW_IbLb0EEEEDaSS_ST_EUlSS_E0_NS1_11comp_targetILNS1_3genE8ELNS1_11target_archE1030ELNS1_3gpuE2ELNS1_3repE0EEENS1_30default_config_static_selectorELNS0_4arch9wavefront6targetE1EEEvT1_,"axG",@progbits,_ZN7rocprim17ROCPRIM_400000_NS6detail17trampoline_kernelINS0_14default_configENS1_20scan_config_selectorItEEZZNS1_9scan_implILNS1_25lookback_scan_determinismE0ELb1ELb1ES3_N6thrust23THRUST_200600_302600_NS6detail15normal_iteratorINS9_10device_ptrItEEEENS9_16discard_iteratorINS9_11use_defaultEEEtNS9_4plusIvEEtEEDaPvRmT3_T4_T5_mT6_P12ihipStream_tbENKUlT_T0_E_clISt17integral_constantIbLb1EESW_IbLb0EEEEDaSS_ST_EUlSS_E0_NS1_11comp_targetILNS1_3genE8ELNS1_11target_archE1030ELNS1_3gpuE2ELNS1_3repE0EEENS1_30default_config_static_selectorELNS0_4arch9wavefront6targetE1EEEvT1_,comdat
.Lfunc_end5563:
	.size	_ZN7rocprim17ROCPRIM_400000_NS6detail17trampoline_kernelINS0_14default_configENS1_20scan_config_selectorItEEZZNS1_9scan_implILNS1_25lookback_scan_determinismE0ELb1ELb1ES3_N6thrust23THRUST_200600_302600_NS6detail15normal_iteratorINS9_10device_ptrItEEEENS9_16discard_iteratorINS9_11use_defaultEEEtNS9_4plusIvEEtEEDaPvRmT3_T4_T5_mT6_P12ihipStream_tbENKUlT_T0_E_clISt17integral_constantIbLb1EESW_IbLb0EEEEDaSS_ST_EUlSS_E0_NS1_11comp_targetILNS1_3genE8ELNS1_11target_archE1030ELNS1_3gpuE2ELNS1_3repE0EEENS1_30default_config_static_selectorELNS0_4arch9wavefront6targetE1EEEvT1_, .Lfunc_end5563-_ZN7rocprim17ROCPRIM_400000_NS6detail17trampoline_kernelINS0_14default_configENS1_20scan_config_selectorItEEZZNS1_9scan_implILNS1_25lookback_scan_determinismE0ELb1ELb1ES3_N6thrust23THRUST_200600_302600_NS6detail15normal_iteratorINS9_10device_ptrItEEEENS9_16discard_iteratorINS9_11use_defaultEEEtNS9_4plusIvEEtEEDaPvRmT3_T4_T5_mT6_P12ihipStream_tbENKUlT_T0_E_clISt17integral_constantIbLb1EESW_IbLb0EEEEDaSS_ST_EUlSS_E0_NS1_11comp_targetILNS1_3genE8ELNS1_11target_archE1030ELNS1_3gpuE2ELNS1_3repE0EEENS1_30default_config_static_selectorELNS0_4arch9wavefront6targetE1EEEvT1_
                                        ; -- End function
	.section	.AMDGPU.csdata,"",@progbits
; Kernel info:
; codeLenInByte = 0
; NumSgprs: 4
; NumVgprs: 0
; NumAgprs: 0
; TotalNumVgprs: 0
; ScratchSize: 0
; MemoryBound: 0
; FloatMode: 240
; IeeeMode: 1
; LDSByteSize: 0 bytes/workgroup (compile time only)
; SGPRBlocks: 0
; VGPRBlocks: 0
; NumSGPRsForWavesPerEU: 4
; NumVGPRsForWavesPerEU: 1
; AccumOffset: 4
; Occupancy: 8
; WaveLimiterHint : 0
; COMPUTE_PGM_RSRC2:SCRATCH_EN: 0
; COMPUTE_PGM_RSRC2:USER_SGPR: 6
; COMPUTE_PGM_RSRC2:TRAP_HANDLER: 0
; COMPUTE_PGM_RSRC2:TGID_X_EN: 1
; COMPUTE_PGM_RSRC2:TGID_Y_EN: 0
; COMPUTE_PGM_RSRC2:TGID_Z_EN: 0
; COMPUTE_PGM_RSRC2:TIDIG_COMP_CNT: 0
; COMPUTE_PGM_RSRC3_GFX90A:ACCUM_OFFSET: 0
; COMPUTE_PGM_RSRC3_GFX90A:TG_SPLIT: 0
	.section	.text._ZN7rocprim17ROCPRIM_400000_NS6detail17trampoline_kernelINS0_14default_configENS1_20scan_config_selectorItEEZZNS1_9scan_implILNS1_25lookback_scan_determinismE0ELb1ELb1ES3_N6thrust23THRUST_200600_302600_NS6detail15normal_iteratorINS9_10device_ptrItEEEENS9_16discard_iteratorINS9_11use_defaultEEEtNS9_4plusIvEEtEEDaPvRmT3_T4_T5_mT6_P12ihipStream_tbENKUlT_T0_E_clISt17integral_constantIbLb0EESW_IbLb1EEEEDaSS_ST_EUlSS_E_NS1_11comp_targetILNS1_3genE0ELNS1_11target_archE4294967295ELNS1_3gpuE0ELNS1_3repE0EEENS1_30default_config_static_selectorELNS0_4arch9wavefront6targetE1EEEvT1_,"axG",@progbits,_ZN7rocprim17ROCPRIM_400000_NS6detail17trampoline_kernelINS0_14default_configENS1_20scan_config_selectorItEEZZNS1_9scan_implILNS1_25lookback_scan_determinismE0ELb1ELb1ES3_N6thrust23THRUST_200600_302600_NS6detail15normal_iteratorINS9_10device_ptrItEEEENS9_16discard_iteratorINS9_11use_defaultEEEtNS9_4plusIvEEtEEDaPvRmT3_T4_T5_mT6_P12ihipStream_tbENKUlT_T0_E_clISt17integral_constantIbLb0EESW_IbLb1EEEEDaSS_ST_EUlSS_E_NS1_11comp_targetILNS1_3genE0ELNS1_11target_archE4294967295ELNS1_3gpuE0ELNS1_3repE0EEENS1_30default_config_static_selectorELNS0_4arch9wavefront6targetE1EEEvT1_,comdat
	.protected	_ZN7rocprim17ROCPRIM_400000_NS6detail17trampoline_kernelINS0_14default_configENS1_20scan_config_selectorItEEZZNS1_9scan_implILNS1_25lookback_scan_determinismE0ELb1ELb1ES3_N6thrust23THRUST_200600_302600_NS6detail15normal_iteratorINS9_10device_ptrItEEEENS9_16discard_iteratorINS9_11use_defaultEEEtNS9_4plusIvEEtEEDaPvRmT3_T4_T5_mT6_P12ihipStream_tbENKUlT_T0_E_clISt17integral_constantIbLb0EESW_IbLb1EEEEDaSS_ST_EUlSS_E_NS1_11comp_targetILNS1_3genE0ELNS1_11target_archE4294967295ELNS1_3gpuE0ELNS1_3repE0EEENS1_30default_config_static_selectorELNS0_4arch9wavefront6targetE1EEEvT1_ ; -- Begin function _ZN7rocprim17ROCPRIM_400000_NS6detail17trampoline_kernelINS0_14default_configENS1_20scan_config_selectorItEEZZNS1_9scan_implILNS1_25lookback_scan_determinismE0ELb1ELb1ES3_N6thrust23THRUST_200600_302600_NS6detail15normal_iteratorINS9_10device_ptrItEEEENS9_16discard_iteratorINS9_11use_defaultEEEtNS9_4plusIvEEtEEDaPvRmT3_T4_T5_mT6_P12ihipStream_tbENKUlT_T0_E_clISt17integral_constantIbLb0EESW_IbLb1EEEEDaSS_ST_EUlSS_E_NS1_11comp_targetILNS1_3genE0ELNS1_11target_archE4294967295ELNS1_3gpuE0ELNS1_3repE0EEENS1_30default_config_static_selectorELNS0_4arch9wavefront6targetE1EEEvT1_
	.globl	_ZN7rocprim17ROCPRIM_400000_NS6detail17trampoline_kernelINS0_14default_configENS1_20scan_config_selectorItEEZZNS1_9scan_implILNS1_25lookback_scan_determinismE0ELb1ELb1ES3_N6thrust23THRUST_200600_302600_NS6detail15normal_iteratorINS9_10device_ptrItEEEENS9_16discard_iteratorINS9_11use_defaultEEEtNS9_4plusIvEEtEEDaPvRmT3_T4_T5_mT6_P12ihipStream_tbENKUlT_T0_E_clISt17integral_constantIbLb0EESW_IbLb1EEEEDaSS_ST_EUlSS_E_NS1_11comp_targetILNS1_3genE0ELNS1_11target_archE4294967295ELNS1_3gpuE0ELNS1_3repE0EEENS1_30default_config_static_selectorELNS0_4arch9wavefront6targetE1EEEvT1_
	.p2align	8
	.type	_ZN7rocprim17ROCPRIM_400000_NS6detail17trampoline_kernelINS0_14default_configENS1_20scan_config_selectorItEEZZNS1_9scan_implILNS1_25lookback_scan_determinismE0ELb1ELb1ES3_N6thrust23THRUST_200600_302600_NS6detail15normal_iteratorINS9_10device_ptrItEEEENS9_16discard_iteratorINS9_11use_defaultEEEtNS9_4plusIvEEtEEDaPvRmT3_T4_T5_mT6_P12ihipStream_tbENKUlT_T0_E_clISt17integral_constantIbLb0EESW_IbLb1EEEEDaSS_ST_EUlSS_E_NS1_11comp_targetILNS1_3genE0ELNS1_11target_archE4294967295ELNS1_3gpuE0ELNS1_3repE0EEENS1_30default_config_static_selectorELNS0_4arch9wavefront6targetE1EEEvT1_,@function
_ZN7rocprim17ROCPRIM_400000_NS6detail17trampoline_kernelINS0_14default_configENS1_20scan_config_selectorItEEZZNS1_9scan_implILNS1_25lookback_scan_determinismE0ELb1ELb1ES3_N6thrust23THRUST_200600_302600_NS6detail15normal_iteratorINS9_10device_ptrItEEEENS9_16discard_iteratorINS9_11use_defaultEEEtNS9_4plusIvEEtEEDaPvRmT3_T4_T5_mT6_P12ihipStream_tbENKUlT_T0_E_clISt17integral_constantIbLb0EESW_IbLb1EEEEDaSS_ST_EUlSS_E_NS1_11comp_targetILNS1_3genE0ELNS1_11target_archE4294967295ELNS1_3gpuE0ELNS1_3repE0EEENS1_30default_config_static_selectorELNS0_4arch9wavefront6targetE1EEEvT1_: ; @_ZN7rocprim17ROCPRIM_400000_NS6detail17trampoline_kernelINS0_14default_configENS1_20scan_config_selectorItEEZZNS1_9scan_implILNS1_25lookback_scan_determinismE0ELb1ELb1ES3_N6thrust23THRUST_200600_302600_NS6detail15normal_iteratorINS9_10device_ptrItEEEENS9_16discard_iteratorINS9_11use_defaultEEEtNS9_4plusIvEEtEEDaPvRmT3_T4_T5_mT6_P12ihipStream_tbENKUlT_T0_E_clISt17integral_constantIbLb0EESW_IbLb1EEEEDaSS_ST_EUlSS_E_NS1_11comp_targetILNS1_3genE0ELNS1_11target_archE4294967295ELNS1_3gpuE0ELNS1_3repE0EEENS1_30default_config_static_selectorELNS0_4arch9wavefront6targetE1EEEvT1_
; %bb.0:
	.section	.rodata,"a",@progbits
	.p2align	6, 0x0
	.amdhsa_kernel _ZN7rocprim17ROCPRIM_400000_NS6detail17trampoline_kernelINS0_14default_configENS1_20scan_config_selectorItEEZZNS1_9scan_implILNS1_25lookback_scan_determinismE0ELb1ELb1ES3_N6thrust23THRUST_200600_302600_NS6detail15normal_iteratorINS9_10device_ptrItEEEENS9_16discard_iteratorINS9_11use_defaultEEEtNS9_4plusIvEEtEEDaPvRmT3_T4_T5_mT6_P12ihipStream_tbENKUlT_T0_E_clISt17integral_constantIbLb0EESW_IbLb1EEEEDaSS_ST_EUlSS_E_NS1_11comp_targetILNS1_3genE0ELNS1_11target_archE4294967295ELNS1_3gpuE0ELNS1_3repE0EEENS1_30default_config_static_selectorELNS0_4arch9wavefront6targetE1EEEvT1_
		.amdhsa_group_segment_fixed_size 0
		.amdhsa_private_segment_fixed_size 0
		.amdhsa_kernarg_size 104
		.amdhsa_user_sgpr_count 6
		.amdhsa_user_sgpr_private_segment_buffer 1
		.amdhsa_user_sgpr_dispatch_ptr 0
		.amdhsa_user_sgpr_queue_ptr 0
		.amdhsa_user_sgpr_kernarg_segment_ptr 1
		.amdhsa_user_sgpr_dispatch_id 0
		.amdhsa_user_sgpr_flat_scratch_init 0
		.amdhsa_user_sgpr_kernarg_preload_length 0
		.amdhsa_user_sgpr_kernarg_preload_offset 0
		.amdhsa_user_sgpr_private_segment_size 0
		.amdhsa_uses_dynamic_stack 0
		.amdhsa_system_sgpr_private_segment_wavefront_offset 0
		.amdhsa_system_sgpr_workgroup_id_x 1
		.amdhsa_system_sgpr_workgroup_id_y 0
		.amdhsa_system_sgpr_workgroup_id_z 0
		.amdhsa_system_sgpr_workgroup_info 0
		.amdhsa_system_vgpr_workitem_id 0
		.amdhsa_next_free_vgpr 1
		.amdhsa_next_free_sgpr 0
		.amdhsa_accum_offset 4
		.amdhsa_reserve_vcc 0
		.amdhsa_reserve_flat_scratch 0
		.amdhsa_float_round_mode_32 0
		.amdhsa_float_round_mode_16_64 0
		.amdhsa_float_denorm_mode_32 3
		.amdhsa_float_denorm_mode_16_64 3
		.amdhsa_dx10_clamp 1
		.amdhsa_ieee_mode 1
		.amdhsa_fp16_overflow 0
		.amdhsa_tg_split 0
		.amdhsa_exception_fp_ieee_invalid_op 0
		.amdhsa_exception_fp_denorm_src 0
		.amdhsa_exception_fp_ieee_div_zero 0
		.amdhsa_exception_fp_ieee_overflow 0
		.amdhsa_exception_fp_ieee_underflow 0
		.amdhsa_exception_fp_ieee_inexact 0
		.amdhsa_exception_int_div_zero 0
	.end_amdhsa_kernel
	.section	.text._ZN7rocprim17ROCPRIM_400000_NS6detail17trampoline_kernelINS0_14default_configENS1_20scan_config_selectorItEEZZNS1_9scan_implILNS1_25lookback_scan_determinismE0ELb1ELb1ES3_N6thrust23THRUST_200600_302600_NS6detail15normal_iteratorINS9_10device_ptrItEEEENS9_16discard_iteratorINS9_11use_defaultEEEtNS9_4plusIvEEtEEDaPvRmT3_T4_T5_mT6_P12ihipStream_tbENKUlT_T0_E_clISt17integral_constantIbLb0EESW_IbLb1EEEEDaSS_ST_EUlSS_E_NS1_11comp_targetILNS1_3genE0ELNS1_11target_archE4294967295ELNS1_3gpuE0ELNS1_3repE0EEENS1_30default_config_static_selectorELNS0_4arch9wavefront6targetE1EEEvT1_,"axG",@progbits,_ZN7rocprim17ROCPRIM_400000_NS6detail17trampoline_kernelINS0_14default_configENS1_20scan_config_selectorItEEZZNS1_9scan_implILNS1_25lookback_scan_determinismE0ELb1ELb1ES3_N6thrust23THRUST_200600_302600_NS6detail15normal_iteratorINS9_10device_ptrItEEEENS9_16discard_iteratorINS9_11use_defaultEEEtNS9_4plusIvEEtEEDaPvRmT3_T4_T5_mT6_P12ihipStream_tbENKUlT_T0_E_clISt17integral_constantIbLb0EESW_IbLb1EEEEDaSS_ST_EUlSS_E_NS1_11comp_targetILNS1_3genE0ELNS1_11target_archE4294967295ELNS1_3gpuE0ELNS1_3repE0EEENS1_30default_config_static_selectorELNS0_4arch9wavefront6targetE1EEEvT1_,comdat
.Lfunc_end5564:
	.size	_ZN7rocprim17ROCPRIM_400000_NS6detail17trampoline_kernelINS0_14default_configENS1_20scan_config_selectorItEEZZNS1_9scan_implILNS1_25lookback_scan_determinismE0ELb1ELb1ES3_N6thrust23THRUST_200600_302600_NS6detail15normal_iteratorINS9_10device_ptrItEEEENS9_16discard_iteratorINS9_11use_defaultEEEtNS9_4plusIvEEtEEDaPvRmT3_T4_T5_mT6_P12ihipStream_tbENKUlT_T0_E_clISt17integral_constantIbLb0EESW_IbLb1EEEEDaSS_ST_EUlSS_E_NS1_11comp_targetILNS1_3genE0ELNS1_11target_archE4294967295ELNS1_3gpuE0ELNS1_3repE0EEENS1_30default_config_static_selectorELNS0_4arch9wavefront6targetE1EEEvT1_, .Lfunc_end5564-_ZN7rocprim17ROCPRIM_400000_NS6detail17trampoline_kernelINS0_14default_configENS1_20scan_config_selectorItEEZZNS1_9scan_implILNS1_25lookback_scan_determinismE0ELb1ELb1ES3_N6thrust23THRUST_200600_302600_NS6detail15normal_iteratorINS9_10device_ptrItEEEENS9_16discard_iteratorINS9_11use_defaultEEEtNS9_4plusIvEEtEEDaPvRmT3_T4_T5_mT6_P12ihipStream_tbENKUlT_T0_E_clISt17integral_constantIbLb0EESW_IbLb1EEEEDaSS_ST_EUlSS_E_NS1_11comp_targetILNS1_3genE0ELNS1_11target_archE4294967295ELNS1_3gpuE0ELNS1_3repE0EEENS1_30default_config_static_selectorELNS0_4arch9wavefront6targetE1EEEvT1_
                                        ; -- End function
	.section	.AMDGPU.csdata,"",@progbits
; Kernel info:
; codeLenInByte = 0
; NumSgprs: 4
; NumVgprs: 0
; NumAgprs: 0
; TotalNumVgprs: 0
; ScratchSize: 0
; MemoryBound: 0
; FloatMode: 240
; IeeeMode: 1
; LDSByteSize: 0 bytes/workgroup (compile time only)
; SGPRBlocks: 0
; VGPRBlocks: 0
; NumSGPRsForWavesPerEU: 4
; NumVGPRsForWavesPerEU: 1
; AccumOffset: 4
; Occupancy: 8
; WaveLimiterHint : 0
; COMPUTE_PGM_RSRC2:SCRATCH_EN: 0
; COMPUTE_PGM_RSRC2:USER_SGPR: 6
; COMPUTE_PGM_RSRC2:TRAP_HANDLER: 0
; COMPUTE_PGM_RSRC2:TGID_X_EN: 1
; COMPUTE_PGM_RSRC2:TGID_Y_EN: 0
; COMPUTE_PGM_RSRC2:TGID_Z_EN: 0
; COMPUTE_PGM_RSRC2:TIDIG_COMP_CNT: 0
; COMPUTE_PGM_RSRC3_GFX90A:ACCUM_OFFSET: 0
; COMPUTE_PGM_RSRC3_GFX90A:TG_SPLIT: 0
	.section	.text._ZN7rocprim17ROCPRIM_400000_NS6detail17trampoline_kernelINS0_14default_configENS1_20scan_config_selectorItEEZZNS1_9scan_implILNS1_25lookback_scan_determinismE0ELb1ELb1ES3_N6thrust23THRUST_200600_302600_NS6detail15normal_iteratorINS9_10device_ptrItEEEENS9_16discard_iteratorINS9_11use_defaultEEEtNS9_4plusIvEEtEEDaPvRmT3_T4_T5_mT6_P12ihipStream_tbENKUlT_T0_E_clISt17integral_constantIbLb0EESW_IbLb1EEEEDaSS_ST_EUlSS_E_NS1_11comp_targetILNS1_3genE5ELNS1_11target_archE942ELNS1_3gpuE9ELNS1_3repE0EEENS1_30default_config_static_selectorELNS0_4arch9wavefront6targetE1EEEvT1_,"axG",@progbits,_ZN7rocprim17ROCPRIM_400000_NS6detail17trampoline_kernelINS0_14default_configENS1_20scan_config_selectorItEEZZNS1_9scan_implILNS1_25lookback_scan_determinismE0ELb1ELb1ES3_N6thrust23THRUST_200600_302600_NS6detail15normal_iteratorINS9_10device_ptrItEEEENS9_16discard_iteratorINS9_11use_defaultEEEtNS9_4plusIvEEtEEDaPvRmT3_T4_T5_mT6_P12ihipStream_tbENKUlT_T0_E_clISt17integral_constantIbLb0EESW_IbLb1EEEEDaSS_ST_EUlSS_E_NS1_11comp_targetILNS1_3genE5ELNS1_11target_archE942ELNS1_3gpuE9ELNS1_3repE0EEENS1_30default_config_static_selectorELNS0_4arch9wavefront6targetE1EEEvT1_,comdat
	.protected	_ZN7rocprim17ROCPRIM_400000_NS6detail17trampoline_kernelINS0_14default_configENS1_20scan_config_selectorItEEZZNS1_9scan_implILNS1_25lookback_scan_determinismE0ELb1ELb1ES3_N6thrust23THRUST_200600_302600_NS6detail15normal_iteratorINS9_10device_ptrItEEEENS9_16discard_iteratorINS9_11use_defaultEEEtNS9_4plusIvEEtEEDaPvRmT3_T4_T5_mT6_P12ihipStream_tbENKUlT_T0_E_clISt17integral_constantIbLb0EESW_IbLb1EEEEDaSS_ST_EUlSS_E_NS1_11comp_targetILNS1_3genE5ELNS1_11target_archE942ELNS1_3gpuE9ELNS1_3repE0EEENS1_30default_config_static_selectorELNS0_4arch9wavefront6targetE1EEEvT1_ ; -- Begin function _ZN7rocprim17ROCPRIM_400000_NS6detail17trampoline_kernelINS0_14default_configENS1_20scan_config_selectorItEEZZNS1_9scan_implILNS1_25lookback_scan_determinismE0ELb1ELb1ES3_N6thrust23THRUST_200600_302600_NS6detail15normal_iteratorINS9_10device_ptrItEEEENS9_16discard_iteratorINS9_11use_defaultEEEtNS9_4plusIvEEtEEDaPvRmT3_T4_T5_mT6_P12ihipStream_tbENKUlT_T0_E_clISt17integral_constantIbLb0EESW_IbLb1EEEEDaSS_ST_EUlSS_E_NS1_11comp_targetILNS1_3genE5ELNS1_11target_archE942ELNS1_3gpuE9ELNS1_3repE0EEENS1_30default_config_static_selectorELNS0_4arch9wavefront6targetE1EEEvT1_
	.globl	_ZN7rocprim17ROCPRIM_400000_NS6detail17trampoline_kernelINS0_14default_configENS1_20scan_config_selectorItEEZZNS1_9scan_implILNS1_25lookback_scan_determinismE0ELb1ELb1ES3_N6thrust23THRUST_200600_302600_NS6detail15normal_iteratorINS9_10device_ptrItEEEENS9_16discard_iteratorINS9_11use_defaultEEEtNS9_4plusIvEEtEEDaPvRmT3_T4_T5_mT6_P12ihipStream_tbENKUlT_T0_E_clISt17integral_constantIbLb0EESW_IbLb1EEEEDaSS_ST_EUlSS_E_NS1_11comp_targetILNS1_3genE5ELNS1_11target_archE942ELNS1_3gpuE9ELNS1_3repE0EEENS1_30default_config_static_selectorELNS0_4arch9wavefront6targetE1EEEvT1_
	.p2align	8
	.type	_ZN7rocprim17ROCPRIM_400000_NS6detail17trampoline_kernelINS0_14default_configENS1_20scan_config_selectorItEEZZNS1_9scan_implILNS1_25lookback_scan_determinismE0ELb1ELb1ES3_N6thrust23THRUST_200600_302600_NS6detail15normal_iteratorINS9_10device_ptrItEEEENS9_16discard_iteratorINS9_11use_defaultEEEtNS9_4plusIvEEtEEDaPvRmT3_T4_T5_mT6_P12ihipStream_tbENKUlT_T0_E_clISt17integral_constantIbLb0EESW_IbLb1EEEEDaSS_ST_EUlSS_E_NS1_11comp_targetILNS1_3genE5ELNS1_11target_archE942ELNS1_3gpuE9ELNS1_3repE0EEENS1_30default_config_static_selectorELNS0_4arch9wavefront6targetE1EEEvT1_,@function
_ZN7rocprim17ROCPRIM_400000_NS6detail17trampoline_kernelINS0_14default_configENS1_20scan_config_selectorItEEZZNS1_9scan_implILNS1_25lookback_scan_determinismE0ELb1ELb1ES3_N6thrust23THRUST_200600_302600_NS6detail15normal_iteratorINS9_10device_ptrItEEEENS9_16discard_iteratorINS9_11use_defaultEEEtNS9_4plusIvEEtEEDaPvRmT3_T4_T5_mT6_P12ihipStream_tbENKUlT_T0_E_clISt17integral_constantIbLb0EESW_IbLb1EEEEDaSS_ST_EUlSS_E_NS1_11comp_targetILNS1_3genE5ELNS1_11target_archE942ELNS1_3gpuE9ELNS1_3repE0EEENS1_30default_config_static_selectorELNS0_4arch9wavefront6targetE1EEEvT1_: ; @_ZN7rocprim17ROCPRIM_400000_NS6detail17trampoline_kernelINS0_14default_configENS1_20scan_config_selectorItEEZZNS1_9scan_implILNS1_25lookback_scan_determinismE0ELb1ELb1ES3_N6thrust23THRUST_200600_302600_NS6detail15normal_iteratorINS9_10device_ptrItEEEENS9_16discard_iteratorINS9_11use_defaultEEEtNS9_4plusIvEEtEEDaPvRmT3_T4_T5_mT6_P12ihipStream_tbENKUlT_T0_E_clISt17integral_constantIbLb0EESW_IbLb1EEEEDaSS_ST_EUlSS_E_NS1_11comp_targetILNS1_3genE5ELNS1_11target_archE942ELNS1_3gpuE9ELNS1_3repE0EEENS1_30default_config_static_selectorELNS0_4arch9wavefront6targetE1EEEvT1_
; %bb.0:
	.section	.rodata,"a",@progbits
	.p2align	6, 0x0
	.amdhsa_kernel _ZN7rocprim17ROCPRIM_400000_NS6detail17trampoline_kernelINS0_14default_configENS1_20scan_config_selectorItEEZZNS1_9scan_implILNS1_25lookback_scan_determinismE0ELb1ELb1ES3_N6thrust23THRUST_200600_302600_NS6detail15normal_iteratorINS9_10device_ptrItEEEENS9_16discard_iteratorINS9_11use_defaultEEEtNS9_4plusIvEEtEEDaPvRmT3_T4_T5_mT6_P12ihipStream_tbENKUlT_T0_E_clISt17integral_constantIbLb0EESW_IbLb1EEEEDaSS_ST_EUlSS_E_NS1_11comp_targetILNS1_3genE5ELNS1_11target_archE942ELNS1_3gpuE9ELNS1_3repE0EEENS1_30default_config_static_selectorELNS0_4arch9wavefront6targetE1EEEvT1_
		.amdhsa_group_segment_fixed_size 0
		.amdhsa_private_segment_fixed_size 0
		.amdhsa_kernarg_size 104
		.amdhsa_user_sgpr_count 6
		.amdhsa_user_sgpr_private_segment_buffer 1
		.amdhsa_user_sgpr_dispatch_ptr 0
		.amdhsa_user_sgpr_queue_ptr 0
		.amdhsa_user_sgpr_kernarg_segment_ptr 1
		.amdhsa_user_sgpr_dispatch_id 0
		.amdhsa_user_sgpr_flat_scratch_init 0
		.amdhsa_user_sgpr_kernarg_preload_length 0
		.amdhsa_user_sgpr_kernarg_preload_offset 0
		.amdhsa_user_sgpr_private_segment_size 0
		.amdhsa_uses_dynamic_stack 0
		.amdhsa_system_sgpr_private_segment_wavefront_offset 0
		.amdhsa_system_sgpr_workgroup_id_x 1
		.amdhsa_system_sgpr_workgroup_id_y 0
		.amdhsa_system_sgpr_workgroup_id_z 0
		.amdhsa_system_sgpr_workgroup_info 0
		.amdhsa_system_vgpr_workitem_id 0
		.amdhsa_next_free_vgpr 1
		.amdhsa_next_free_sgpr 0
		.amdhsa_accum_offset 4
		.amdhsa_reserve_vcc 0
		.amdhsa_reserve_flat_scratch 0
		.amdhsa_float_round_mode_32 0
		.amdhsa_float_round_mode_16_64 0
		.amdhsa_float_denorm_mode_32 3
		.amdhsa_float_denorm_mode_16_64 3
		.amdhsa_dx10_clamp 1
		.amdhsa_ieee_mode 1
		.amdhsa_fp16_overflow 0
		.amdhsa_tg_split 0
		.amdhsa_exception_fp_ieee_invalid_op 0
		.amdhsa_exception_fp_denorm_src 0
		.amdhsa_exception_fp_ieee_div_zero 0
		.amdhsa_exception_fp_ieee_overflow 0
		.amdhsa_exception_fp_ieee_underflow 0
		.amdhsa_exception_fp_ieee_inexact 0
		.amdhsa_exception_int_div_zero 0
	.end_amdhsa_kernel
	.section	.text._ZN7rocprim17ROCPRIM_400000_NS6detail17trampoline_kernelINS0_14default_configENS1_20scan_config_selectorItEEZZNS1_9scan_implILNS1_25lookback_scan_determinismE0ELb1ELb1ES3_N6thrust23THRUST_200600_302600_NS6detail15normal_iteratorINS9_10device_ptrItEEEENS9_16discard_iteratorINS9_11use_defaultEEEtNS9_4plusIvEEtEEDaPvRmT3_T4_T5_mT6_P12ihipStream_tbENKUlT_T0_E_clISt17integral_constantIbLb0EESW_IbLb1EEEEDaSS_ST_EUlSS_E_NS1_11comp_targetILNS1_3genE5ELNS1_11target_archE942ELNS1_3gpuE9ELNS1_3repE0EEENS1_30default_config_static_selectorELNS0_4arch9wavefront6targetE1EEEvT1_,"axG",@progbits,_ZN7rocprim17ROCPRIM_400000_NS6detail17trampoline_kernelINS0_14default_configENS1_20scan_config_selectorItEEZZNS1_9scan_implILNS1_25lookback_scan_determinismE0ELb1ELb1ES3_N6thrust23THRUST_200600_302600_NS6detail15normal_iteratorINS9_10device_ptrItEEEENS9_16discard_iteratorINS9_11use_defaultEEEtNS9_4plusIvEEtEEDaPvRmT3_T4_T5_mT6_P12ihipStream_tbENKUlT_T0_E_clISt17integral_constantIbLb0EESW_IbLb1EEEEDaSS_ST_EUlSS_E_NS1_11comp_targetILNS1_3genE5ELNS1_11target_archE942ELNS1_3gpuE9ELNS1_3repE0EEENS1_30default_config_static_selectorELNS0_4arch9wavefront6targetE1EEEvT1_,comdat
.Lfunc_end5565:
	.size	_ZN7rocprim17ROCPRIM_400000_NS6detail17trampoline_kernelINS0_14default_configENS1_20scan_config_selectorItEEZZNS1_9scan_implILNS1_25lookback_scan_determinismE0ELb1ELb1ES3_N6thrust23THRUST_200600_302600_NS6detail15normal_iteratorINS9_10device_ptrItEEEENS9_16discard_iteratorINS9_11use_defaultEEEtNS9_4plusIvEEtEEDaPvRmT3_T4_T5_mT6_P12ihipStream_tbENKUlT_T0_E_clISt17integral_constantIbLb0EESW_IbLb1EEEEDaSS_ST_EUlSS_E_NS1_11comp_targetILNS1_3genE5ELNS1_11target_archE942ELNS1_3gpuE9ELNS1_3repE0EEENS1_30default_config_static_selectorELNS0_4arch9wavefront6targetE1EEEvT1_, .Lfunc_end5565-_ZN7rocprim17ROCPRIM_400000_NS6detail17trampoline_kernelINS0_14default_configENS1_20scan_config_selectorItEEZZNS1_9scan_implILNS1_25lookback_scan_determinismE0ELb1ELb1ES3_N6thrust23THRUST_200600_302600_NS6detail15normal_iteratorINS9_10device_ptrItEEEENS9_16discard_iteratorINS9_11use_defaultEEEtNS9_4plusIvEEtEEDaPvRmT3_T4_T5_mT6_P12ihipStream_tbENKUlT_T0_E_clISt17integral_constantIbLb0EESW_IbLb1EEEEDaSS_ST_EUlSS_E_NS1_11comp_targetILNS1_3genE5ELNS1_11target_archE942ELNS1_3gpuE9ELNS1_3repE0EEENS1_30default_config_static_selectorELNS0_4arch9wavefront6targetE1EEEvT1_
                                        ; -- End function
	.section	.AMDGPU.csdata,"",@progbits
; Kernel info:
; codeLenInByte = 0
; NumSgprs: 4
; NumVgprs: 0
; NumAgprs: 0
; TotalNumVgprs: 0
; ScratchSize: 0
; MemoryBound: 0
; FloatMode: 240
; IeeeMode: 1
; LDSByteSize: 0 bytes/workgroup (compile time only)
; SGPRBlocks: 0
; VGPRBlocks: 0
; NumSGPRsForWavesPerEU: 4
; NumVGPRsForWavesPerEU: 1
; AccumOffset: 4
; Occupancy: 8
; WaveLimiterHint : 0
; COMPUTE_PGM_RSRC2:SCRATCH_EN: 0
; COMPUTE_PGM_RSRC2:USER_SGPR: 6
; COMPUTE_PGM_RSRC2:TRAP_HANDLER: 0
; COMPUTE_PGM_RSRC2:TGID_X_EN: 1
; COMPUTE_PGM_RSRC2:TGID_Y_EN: 0
; COMPUTE_PGM_RSRC2:TGID_Z_EN: 0
; COMPUTE_PGM_RSRC2:TIDIG_COMP_CNT: 0
; COMPUTE_PGM_RSRC3_GFX90A:ACCUM_OFFSET: 0
; COMPUTE_PGM_RSRC3_GFX90A:TG_SPLIT: 0
	.section	.text._ZN7rocprim17ROCPRIM_400000_NS6detail17trampoline_kernelINS0_14default_configENS1_20scan_config_selectorItEEZZNS1_9scan_implILNS1_25lookback_scan_determinismE0ELb1ELb1ES3_N6thrust23THRUST_200600_302600_NS6detail15normal_iteratorINS9_10device_ptrItEEEENS9_16discard_iteratorINS9_11use_defaultEEEtNS9_4plusIvEEtEEDaPvRmT3_T4_T5_mT6_P12ihipStream_tbENKUlT_T0_E_clISt17integral_constantIbLb0EESW_IbLb1EEEEDaSS_ST_EUlSS_E_NS1_11comp_targetILNS1_3genE4ELNS1_11target_archE910ELNS1_3gpuE8ELNS1_3repE0EEENS1_30default_config_static_selectorELNS0_4arch9wavefront6targetE1EEEvT1_,"axG",@progbits,_ZN7rocprim17ROCPRIM_400000_NS6detail17trampoline_kernelINS0_14default_configENS1_20scan_config_selectorItEEZZNS1_9scan_implILNS1_25lookback_scan_determinismE0ELb1ELb1ES3_N6thrust23THRUST_200600_302600_NS6detail15normal_iteratorINS9_10device_ptrItEEEENS9_16discard_iteratorINS9_11use_defaultEEEtNS9_4plusIvEEtEEDaPvRmT3_T4_T5_mT6_P12ihipStream_tbENKUlT_T0_E_clISt17integral_constantIbLb0EESW_IbLb1EEEEDaSS_ST_EUlSS_E_NS1_11comp_targetILNS1_3genE4ELNS1_11target_archE910ELNS1_3gpuE8ELNS1_3repE0EEENS1_30default_config_static_selectorELNS0_4arch9wavefront6targetE1EEEvT1_,comdat
	.protected	_ZN7rocprim17ROCPRIM_400000_NS6detail17trampoline_kernelINS0_14default_configENS1_20scan_config_selectorItEEZZNS1_9scan_implILNS1_25lookback_scan_determinismE0ELb1ELb1ES3_N6thrust23THRUST_200600_302600_NS6detail15normal_iteratorINS9_10device_ptrItEEEENS9_16discard_iteratorINS9_11use_defaultEEEtNS9_4plusIvEEtEEDaPvRmT3_T4_T5_mT6_P12ihipStream_tbENKUlT_T0_E_clISt17integral_constantIbLb0EESW_IbLb1EEEEDaSS_ST_EUlSS_E_NS1_11comp_targetILNS1_3genE4ELNS1_11target_archE910ELNS1_3gpuE8ELNS1_3repE0EEENS1_30default_config_static_selectorELNS0_4arch9wavefront6targetE1EEEvT1_ ; -- Begin function _ZN7rocprim17ROCPRIM_400000_NS6detail17trampoline_kernelINS0_14default_configENS1_20scan_config_selectorItEEZZNS1_9scan_implILNS1_25lookback_scan_determinismE0ELb1ELb1ES3_N6thrust23THRUST_200600_302600_NS6detail15normal_iteratorINS9_10device_ptrItEEEENS9_16discard_iteratorINS9_11use_defaultEEEtNS9_4plusIvEEtEEDaPvRmT3_T4_T5_mT6_P12ihipStream_tbENKUlT_T0_E_clISt17integral_constantIbLb0EESW_IbLb1EEEEDaSS_ST_EUlSS_E_NS1_11comp_targetILNS1_3genE4ELNS1_11target_archE910ELNS1_3gpuE8ELNS1_3repE0EEENS1_30default_config_static_selectorELNS0_4arch9wavefront6targetE1EEEvT1_
	.globl	_ZN7rocprim17ROCPRIM_400000_NS6detail17trampoline_kernelINS0_14default_configENS1_20scan_config_selectorItEEZZNS1_9scan_implILNS1_25lookback_scan_determinismE0ELb1ELb1ES3_N6thrust23THRUST_200600_302600_NS6detail15normal_iteratorINS9_10device_ptrItEEEENS9_16discard_iteratorINS9_11use_defaultEEEtNS9_4plusIvEEtEEDaPvRmT3_T4_T5_mT6_P12ihipStream_tbENKUlT_T0_E_clISt17integral_constantIbLb0EESW_IbLb1EEEEDaSS_ST_EUlSS_E_NS1_11comp_targetILNS1_3genE4ELNS1_11target_archE910ELNS1_3gpuE8ELNS1_3repE0EEENS1_30default_config_static_selectorELNS0_4arch9wavefront6targetE1EEEvT1_
	.p2align	8
	.type	_ZN7rocprim17ROCPRIM_400000_NS6detail17trampoline_kernelINS0_14default_configENS1_20scan_config_selectorItEEZZNS1_9scan_implILNS1_25lookback_scan_determinismE0ELb1ELb1ES3_N6thrust23THRUST_200600_302600_NS6detail15normal_iteratorINS9_10device_ptrItEEEENS9_16discard_iteratorINS9_11use_defaultEEEtNS9_4plusIvEEtEEDaPvRmT3_T4_T5_mT6_P12ihipStream_tbENKUlT_T0_E_clISt17integral_constantIbLb0EESW_IbLb1EEEEDaSS_ST_EUlSS_E_NS1_11comp_targetILNS1_3genE4ELNS1_11target_archE910ELNS1_3gpuE8ELNS1_3repE0EEENS1_30default_config_static_selectorELNS0_4arch9wavefront6targetE1EEEvT1_,@function
_ZN7rocprim17ROCPRIM_400000_NS6detail17trampoline_kernelINS0_14default_configENS1_20scan_config_selectorItEEZZNS1_9scan_implILNS1_25lookback_scan_determinismE0ELb1ELb1ES3_N6thrust23THRUST_200600_302600_NS6detail15normal_iteratorINS9_10device_ptrItEEEENS9_16discard_iteratorINS9_11use_defaultEEEtNS9_4plusIvEEtEEDaPvRmT3_T4_T5_mT6_P12ihipStream_tbENKUlT_T0_E_clISt17integral_constantIbLb0EESW_IbLb1EEEEDaSS_ST_EUlSS_E_NS1_11comp_targetILNS1_3genE4ELNS1_11target_archE910ELNS1_3gpuE8ELNS1_3repE0EEENS1_30default_config_static_selectorELNS0_4arch9wavefront6targetE1EEEvT1_: ; @_ZN7rocprim17ROCPRIM_400000_NS6detail17trampoline_kernelINS0_14default_configENS1_20scan_config_selectorItEEZZNS1_9scan_implILNS1_25lookback_scan_determinismE0ELb1ELb1ES3_N6thrust23THRUST_200600_302600_NS6detail15normal_iteratorINS9_10device_ptrItEEEENS9_16discard_iteratorINS9_11use_defaultEEEtNS9_4plusIvEEtEEDaPvRmT3_T4_T5_mT6_P12ihipStream_tbENKUlT_T0_E_clISt17integral_constantIbLb0EESW_IbLb1EEEEDaSS_ST_EUlSS_E_NS1_11comp_targetILNS1_3genE4ELNS1_11target_archE910ELNS1_3gpuE8ELNS1_3repE0EEENS1_30default_config_static_selectorELNS0_4arch9wavefront6targetE1EEEvT1_
; %bb.0:
	s_load_dwordx2 s[2:3], s[4:5], 0x20
	s_load_dword s24, s[4:5], 0x28
	s_load_dwordx2 s[20:21], s[4:5], 0x30
	v_cmp_eq_u32_e64 s[0:1], 0, v0
	s_and_saveexec_b64 s[6:7], s[0:1]
	s_cbranch_execz .LBB5566_4
; %bb.1:
	s_mov_b64 s[10:11], exec
	v_mbcnt_lo_u32_b32 v1, s10, 0
	v_mbcnt_hi_u32_b32 v1, s11, v1
	v_cmp_eq_u32_e32 vcc, 0, v1
                                        ; implicit-def: $vgpr2
	s_and_saveexec_b64 s[8:9], vcc
	s_cbranch_execz .LBB5566_3
; %bb.2:
	s_load_dwordx2 s[12:13], s[4:5], 0x60
	s_bcnt1_i32_b64 s10, s[10:11]
	v_mov_b32_e32 v2, 0
	v_mov_b32_e32 v3, s10
	s_waitcnt lgkmcnt(0)
	global_atomic_add v2, v2, v3, s[12:13] glc
.LBB5566_3:
	s_or_b64 exec, exec, s[8:9]
	s_waitcnt vmcnt(0)
	v_readfirstlane_b32 s8, v2
	v_add_u32_e32 v1, s8, v1
	v_mov_b32_e32 v2, 0
	ds_write_b32 v2, v1
.LBB5566_4:
	s_or_b64 exec, exec, s[6:7]
	v_mov_b32_e32 v3, 0
	s_load_dwordx4 s[16:19], s[4:5], 0x0
	s_load_dword s6, s[4:5], 0x38
	s_load_dwordx8 s[8:15], s[4:5], 0x40
	s_waitcnt lgkmcnt(0)
	; wave barrier
	s_waitcnt lgkmcnt(0)
	ds_read_b32 v1, v3
	s_lshl_b64 s[4:5], s[18:19], 1
	s_add_u32 s25, s16, s4
	s_movk_i32 s4, 0x600
	s_addc_u32 s26, s17, s5
	s_waitcnt lgkmcnt(0)
	v_mul_lo_u32 v2, v1, s4
	s_add_i32 s4, s6, -1
	s_mul_i32 s5, s4, 0x600
	s_sub_u32 s22, s2, s5
	v_readfirstlane_b32 s27, v1
	s_subb_u32 s23, s3, 0
	v_lshlrev_b64 v[2:3], 1, v[2:3]
	s_cmp_lg_u32 s27, s4
	v_mov_b32_e32 v1, s26
	v_add_co_u32_e32 v2, vcc, s25, v2
	s_cselect_b64 s[16:17], -1, 0
	v_addc_co_u32_e32 v3, vcc, v1, v3, vcc
	s_mov_b64 s[2:3], -1
	s_and_b64 vcc, exec, s[16:17]
	s_waitcnt lgkmcnt(0)
	; wave barrier
	s_cbranch_vccz .LBB5566_6
; %bb.5:
	v_lshlrev_b32_e32 v1, 1, v0
	v_add_co_u32_e32 v4, vcc, v2, v1
	v_addc_co_u32_e32 v5, vcc, 0, v3, vcc
	flat_load_ushort v6, v[4:5]
	flat_load_ushort v7, v[4:5] offset:128
	flat_load_ushort v8, v[4:5] offset:256
	;; [unrolled: 1-line block ×23, first 2 shown]
	s_mov_b64 s[2:3], 0
	s_waitcnt vmcnt(0) lgkmcnt(0)
	ds_write_b16 v1, v6
	ds_write_b16 v1, v7 offset:128
	ds_write_b16 v1, v8 offset:256
	;; [unrolled: 1-line block ×23, first 2 shown]
	s_waitcnt lgkmcnt(0)
	; wave barrier
.LBB5566_6:
	s_andn2_b64 vcc, exec, s[2:3]
	s_cbranch_vccnz .LBB5566_56
; %bb.7:
	flat_load_ushort v1, v[2:3]
	v_cmp_gt_u32_e32 vcc, s22, v0
	s_waitcnt vmcnt(0) lgkmcnt(0)
	v_mov_b32_e32 v4, v1
	s_and_saveexec_b64 s[2:3], vcc
	s_cbranch_execz .LBB5566_9
; %bb.8:
	v_lshlrev_b32_e32 v4, 1, v0
	v_add_co_u32_e32 v4, vcc, v2, v4
	v_addc_co_u32_e32 v5, vcc, 0, v3, vcc
	flat_load_ushort v4, v[4:5]
.LBB5566_9:
	s_or_b64 exec, exec, s[2:3]
	v_or_b32_e32 v5, 64, v0
	v_cmp_gt_u32_e32 vcc, s22, v5
	v_mov_b32_e32 v5, v1
	s_and_saveexec_b64 s[2:3], vcc
	s_cbranch_execz .LBB5566_11
; %bb.10:
	v_lshlrev_b32_e32 v5, 1, v0
	v_add_co_u32_e32 v6, vcc, v2, v5
	v_addc_co_u32_e32 v7, vcc, 0, v3, vcc
	flat_load_ushort v5, v[6:7] offset:128
.LBB5566_11:
	s_or_b64 exec, exec, s[2:3]
	v_or_b32_e32 v6, 0x80, v0
	v_cmp_gt_u32_e32 vcc, s22, v6
	v_mov_b32_e32 v6, v1
	s_and_saveexec_b64 s[2:3], vcc
	s_cbranch_execz .LBB5566_13
; %bb.12:
	v_lshlrev_b32_e32 v6, 1, v0
	v_add_co_u32_e32 v6, vcc, v2, v6
	v_addc_co_u32_e32 v7, vcc, 0, v3, vcc
	flat_load_ushort v6, v[6:7] offset:256
.LBB5566_13:
	;; [unrolled: 12-line block ×22, first 2 shown]
	s_or_b64 exec, exec, s[2:3]
	v_or_b32_e32 v27, 0x5c0, v0
	v_cmp_gt_u32_e32 vcc, s22, v27
	s_and_saveexec_b64 s[2:3], vcc
	s_cbranch_execz .LBB5566_55
; %bb.54:
	v_lshlrev_b32_e32 v1, 1, v0
	v_add_co_u32_e32 v2, vcc, v2, v1
	v_addc_co_u32_e32 v3, vcc, 0, v3, vcc
	flat_load_ushort v1, v[2:3] offset:2944
.LBB5566_55:
	s_or_b64 exec, exec, s[2:3]
	v_lshlrev_b32_e32 v2, 1, v0
	s_waitcnt vmcnt(0) lgkmcnt(0)
	ds_write_b16 v2, v4
	ds_write_b16 v2, v5 offset:128
	ds_write_b16 v2, v6 offset:256
	;; [unrolled: 1-line block ×23, first 2 shown]
	s_waitcnt lgkmcnt(0)
	; wave barrier
.LBB5566_56:
	v_mul_u32_u24_e32 v20, 24, v0
	v_lshlrev_b32_e32 v1, 1, v20
	s_waitcnt lgkmcnt(0)
	ds_read_b128 v[10:13], v1
	ds_read_b128 v[6:9], v1 offset:16
	ds_read_b128 v[2:5], v1 offset:32
	s_cmp_lg_u32 s27, 0
	v_mbcnt_lo_u32_b32 v21, -1, 0
	s_waitcnt lgkmcnt(2)
	v_add_u16_sdwa v14, v10, v10 dst_sel:DWORD dst_unused:UNUSED_PAD src0_sel:WORD_1 src1_sel:DWORD
	v_add_u16_e32 v22, v14, v11
	v_cmp_eq_u32_e32 vcc, 63, v0
	s_waitcnt lgkmcnt(0)
	; wave barrier
	s_waitcnt lgkmcnt(0)
	s_cbranch_scc0 .LBB5566_79
; %bb.57:
	v_add_u16_sdwa v14, v22, v11 dst_sel:DWORD dst_unused:UNUSED_PAD src0_sel:DWORD src1_sel:WORD_1
	v_add_u16_e32 v14, v14, v12
	v_add_u16_sdwa v14, v14, v12 dst_sel:DWORD dst_unused:UNUSED_PAD src0_sel:DWORD src1_sel:WORD_1
	v_add_u16_e32 v14, v14, v13
	;; [unrolled: 2-line block ×10, first 2 shown]
	v_mbcnt_hi_u32_b32 v15, -1, v21
	v_add_u16_sdwa v14, v14, v5 dst_sel:DWORD dst_unused:UNUSED_PAD src0_sel:DWORD src1_sel:WORD_1
	v_and_b32_e32 v16, 15, v15
	v_cmp_ne_u32_e64 s[2:3], 0, v16
	v_mov_b32_dpp v17, v14 row_shr:1 row_mask:0xf bank_mask:0xf
	v_cndmask_b32_e64 v17, 0, v17, s[2:3]
	v_add_u16_e32 v14, v17, v14
	v_cmp_lt_u32_e64 s[2:3], 1, v16
	s_nop 0
	v_mov_b32_dpp v17, v14 row_shr:2 row_mask:0xf bank_mask:0xf
	v_cndmask_b32_e64 v17, 0, v17, s[2:3]
	v_add_u16_e32 v14, v14, v17
	v_cmp_lt_u32_e64 s[2:3], 3, v16
	s_nop 0
	;; [unrolled: 5-line block ×3, first 2 shown]
	v_mov_b32_dpp v17, v14 row_shr:8 row_mask:0xf bank_mask:0xf
	v_cndmask_b32_e64 v16, 0, v17, s[2:3]
	v_add_u16_e32 v14, v14, v16
	v_and_b32_e32 v17, 16, v15
	v_cmp_ne_u32_e64 s[2:3], 0, v17
	v_mov_b32_dpp v16, v14 row_bcast:15 row_mask:0xf bank_mask:0xf
	v_cndmask_b32_e64 v16, 0, v16, s[2:3]
	v_add_u16_e32 v14, v14, v16
	v_cmp_lt_u32_e64 s[2:3], 31, v15
	s_nop 0
	v_mov_b32_dpp v16, v14 row_bcast:31 row_mask:0xf bank_mask:0xf
	v_cndmask_b32_e64 v16, 0, v16, s[2:3]
	v_add_u16_e32 v14, v14, v16
	s_and_saveexec_b64 s[2:3], vcc
	s_cbranch_execz .LBB5566_59
; %bb.58:
	v_mov_b32_e32 v16, 0
	ds_write_b16 v16, v14
.LBB5566_59:
	s_or_b64 exec, exec, s[2:3]
	v_add_u32_e32 v16, -1, v15
	v_and_b32_e32 v17, 64, v15
	v_cmp_lt_i32_e32 vcc, v16, v17
	v_cndmask_b32_e32 v16, v16, v15, vcc
	v_lshlrev_b32_e32 v16, 2, v16
	ds_bpermute_b32 v23, v16, v14
	v_cmp_gt_u32_e32 vcc, 64, v0
	s_waitcnt lgkmcnt(0)
	; wave barrier
	s_waitcnt lgkmcnt(0)
	s_and_saveexec_b64 s[18:19], vcc
	s_cbranch_execz .LBB5566_78
; %bb.60:
	v_mov_b32_e32 v17, 0
	ds_read_u16 v24, v17
	s_mov_b32 s7, 0
	v_cmp_eq_u32_e64 s[2:3], 0, v15
	s_and_saveexec_b64 s[4:5], s[2:3]
	s_cbranch_execz .LBB5566_62
; %bb.61:
	s_add_i32 s6, s27, 64
	s_lshl_b64 s[6:7], s[6:7], 2
	s_add_u32 s6, s20, s6
	s_waitcnt lgkmcnt(0)
	v_or_b32_e32 v14, 0x10000, v24
	s_addc_u32 s7, s21, s7
	global_store_dword v17, v14, s[6:7]
.LBB5566_62:
	s_or_b64 exec, exec, s[4:5]
	v_xad_u32 v14, v15, -1, s27
	v_add_u32_e32 v16, 64, v14
	v_lshlrev_b64 v[18:19], 2, v[16:17]
	v_mov_b32_e32 v16, s21
	v_add_co_u32_e32 v18, vcc, s20, v18
	v_addc_co_u32_e32 v19, vcc, v16, v19, vcc
	global_load_dword v37, v[18:19], off glc
	s_waitcnt vmcnt(0)
	v_lshrrev_b32_e32 v26, 16, v37
	v_cmp_eq_u16_sdwa s[6:7], v26, v17 src0_sel:BYTE_0 src1_sel:DWORD
	s_and_saveexec_b64 s[4:5], s[6:7]
	s_cbranch_execz .LBB5566_66
; %bb.63:
	s_mov_b64 s[6:7], 0
	v_mov_b32_e32 v16, 0
.LBB5566_64:                            ; =>This Inner Loop Header: Depth=1
	global_load_dword v37, v[18:19], off glc
	s_waitcnt vmcnt(0)
	v_lshrrev_b32_e32 v26, 16, v37
	v_cmp_ne_u16_sdwa s[28:29], v26, v16 src0_sel:BYTE_0 src1_sel:DWORD
	s_or_b64 s[6:7], s[28:29], s[6:7]
	s_andn2_b64 exec, exec, s[6:7]
	s_cbranch_execnz .LBB5566_64
; %bb.65:
	s_or_b64 exec, exec, s[6:7]
.LBB5566_66:
	s_or_b64 exec, exec, s[4:5]
	v_and_b32_e32 v27, 63, v15
	v_cmp_ne_u32_e32 vcc, 63, v27
	v_mov_b32_e32 v25, 2
	v_addc_co_u32_e32 v28, vcc, 0, v15, vcc
	v_cmp_eq_u16_sdwa s[4:5], v26, v25 src0_sel:BYTE_0 src1_sel:DWORD
	v_lshlrev_b64 v[16:17], v15, -1
	v_and_b32_e32 v29, 0xffff, v37
	v_lshlrev_b32_e32 v28, 2, v28
	v_and_b32_e32 v18, s5, v17
	ds_bpermute_b32 v30, v28, v29
	v_or_b32_e32 v18, 0x80000000, v18
	v_and_b32_e32 v19, s4, v16
	v_ffbl_b32_e32 v18, v18
	v_add_u32_e32 v18, 32, v18
	v_ffbl_b32_e32 v19, v19
	v_min_u32_e32 v18, v19, v18
	s_waitcnt lgkmcnt(0)
	v_add_u16_e32 v19, v30, v37
	v_cmp_lt_u32_e32 vcc, v27, v18
	v_cmp_gt_u32_e64 s[4:5], 62, v27
	v_cndmask_b32_e32 v31, v29, v19, vcc
	v_cndmask_b32_e64 v29, 0, 1, s[4:5]
	v_lshlrev_b32_e32 v29, 1, v29
	v_add_lshl_u32 v29, v29, v15, 2
	ds_bpermute_b32 v32, v29, v31
	v_cndmask_b32_e32 v19, v37, v19, vcc
	v_add_u32_e32 v30, 2, v27
	v_cmp_gt_u32_e64 s[4:5], v30, v18
	v_cmp_gt_u32_e64 s[6:7], 60, v27
	s_waitcnt lgkmcnt(0)
	v_add_u16_e32 v32, v19, v32
	v_cndmask_b32_e64 v33, v32, v31, s[4:5]
	v_cndmask_b32_e64 v31, 0, 1, s[6:7]
	v_lshlrev_b32_e32 v31, 2, v31
	v_add_lshl_u32 v31, v31, v15, 2
	ds_bpermute_b32 v34, v31, v33
	v_cndmask_b32_e64 v19, v32, v19, s[4:5]
	v_add_u32_e32 v32, 4, v27
	v_cmp_gt_u32_e64 s[4:5], v32, v18
	v_cmp_gt_u32_e64 s[6:7], 56, v27
	s_waitcnt lgkmcnt(0)
	v_add_u16_e32 v34, v19, v34
	v_cndmask_b32_e64 v35, v34, v33, s[4:5]
	v_cndmask_b32_e64 v33, 0, 1, s[6:7]
	v_lshlrev_b32_e32 v33, 3, v33
	v_add_lshl_u32 v33, v33, v15, 2
	ds_bpermute_b32 v36, v33, v35
	v_cndmask_b32_e64 v19, v34, v19, s[4:5]
	;; [unrolled: 11-line block ×3, first 2 shown]
	v_add_u32_e32 v36, 16, v27
	v_cmp_gt_u32_e64 s[4:5], v36, v18
	v_cmp_gt_u32_e64 s[6:7], 32, v27
	s_waitcnt lgkmcnt(0)
	v_add_u16_e32 v40, v19, v39
	v_cndmask_b32_e64 v39, v40, v38, s[4:5]
	v_cndmask_b32_e64 v38, 0, 1, s[6:7]
	v_lshlrev_b32_e32 v38, 5, v38
	v_add_lshl_u32 v38, v38, v15, 2
	ds_bpermute_b32 v15, v38, v39
	v_add_u32_e32 v39, 32, v27
	v_cndmask_b32_e64 v19, v40, v19, s[4:5]
	v_cmp_le_u32_e64 s[4:5], v39, v18
	s_waitcnt lgkmcnt(0)
	v_cndmask_b32_e64 v15, 0, v15, s[4:5]
	v_add_u16_e32 v15, v19, v15
	v_cndmask_b32_e32 v18, v37, v15, vcc
	v_mov_b32_e32 v15, 0
	s_branch .LBB5566_68
.LBB5566_67:                            ;   in Loop: Header=BB5566_68 Depth=1
	s_or_b64 exec, exec, s[4:5]
	v_cmp_eq_u16_sdwa s[4:5], v26, v25 src0_sel:BYTE_0 src1_sel:DWORD
	v_and_b32_e32 v41, 0xffff, v40
	v_and_b32_e32 v18, s5, v17
	ds_bpermute_b32 v42, v28, v41
	v_or_b32_e32 v18, 0x80000000, v18
	v_and_b32_e32 v19, s4, v16
	v_ffbl_b32_e32 v18, v18
	v_add_u32_e32 v18, 32, v18
	v_ffbl_b32_e32 v19, v19
	v_min_u32_e32 v18, v19, v18
	s_waitcnt lgkmcnt(0)
	v_add_u16_e32 v19, v42, v40
	v_cmp_lt_u32_e32 vcc, v27, v18
	v_cndmask_b32_e32 v41, v41, v19, vcc
	ds_bpermute_b32 v42, v29, v41
	v_cndmask_b32_e32 v19, v40, v19, vcc
	v_cmp_gt_u32_e64 s[4:5], v30, v18
	v_subrev_u32_e32 v14, 64, v14
	s_waitcnt lgkmcnt(0)
	v_add_u16_e32 v42, v19, v42
	v_cndmask_b32_e64 v41, v42, v41, s[4:5]
	ds_bpermute_b32 v43, v31, v41
	v_cndmask_b32_e64 v19, v42, v19, s[4:5]
	v_cmp_gt_u32_e64 s[4:5], v32, v18
	s_waitcnt lgkmcnt(0)
	v_add_u16_e32 v42, v19, v43
	v_cndmask_b32_e64 v41, v42, v41, s[4:5]
	ds_bpermute_b32 v43, v33, v41
	v_cndmask_b32_e64 v19, v42, v19, s[4:5]
	v_cmp_gt_u32_e64 s[4:5], v34, v18
	;; [unrolled: 6-line block ×3, first 2 shown]
	s_waitcnt lgkmcnt(0)
	v_add_u16_e32 v42, v19, v43
	v_cndmask_b32_e64 v41, v42, v41, s[4:5]
	ds_bpermute_b32 v41, v38, v41
	v_cndmask_b32_e64 v19, v42, v19, s[4:5]
	v_cmp_le_u32_e64 s[4:5], v39, v18
	s_waitcnt lgkmcnt(0)
	v_cndmask_b32_e64 v18, 0, v41, s[4:5]
	v_add_u16_e32 v18, v19, v18
	v_cndmask_b32_e32 v18, v40, v18, vcc
	v_add_u16_e32 v18, v18, v37
.LBB5566_68:                            ; =>This Loop Header: Depth=1
                                        ;     Child Loop BB5566_71 Depth 2
	v_cmp_ne_u16_sdwa s[4:5], v26, v25 src0_sel:BYTE_0 src1_sel:DWORD
	v_cndmask_b32_e64 v19, 0, 1, s[4:5]
	;;#ASMSTART
	;;#ASMEND
	v_cmp_ne_u32_e32 vcc, 0, v19
	s_cmp_lg_u64 vcc, exec
	v_mov_b32_e32 v37, v18
	s_cbranch_scc1 .LBB5566_73
; %bb.69:                               ;   in Loop: Header=BB5566_68 Depth=1
	v_lshlrev_b64 v[18:19], 2, v[14:15]
	v_mov_b32_e32 v26, s21
	v_add_co_u32_e32 v18, vcc, s20, v18
	v_addc_co_u32_e32 v19, vcc, v26, v19, vcc
	global_load_dword v40, v[18:19], off glc
	s_waitcnt vmcnt(0)
	v_lshrrev_b32_e32 v26, 16, v40
	v_cmp_eq_u16_sdwa s[6:7], v26, v15 src0_sel:BYTE_0 src1_sel:DWORD
	s_and_saveexec_b64 s[4:5], s[6:7]
	s_cbranch_execz .LBB5566_67
; %bb.70:                               ;   in Loop: Header=BB5566_68 Depth=1
	s_mov_b64 s[6:7], 0
.LBB5566_71:                            ;   Parent Loop BB5566_68 Depth=1
                                        ; =>  This Inner Loop Header: Depth=2
	global_load_dword v40, v[18:19], off glc
	s_waitcnt vmcnt(0)
	v_lshrrev_b32_e32 v26, 16, v40
	v_cmp_ne_u16_sdwa s[28:29], v26, v15 src0_sel:BYTE_0 src1_sel:DWORD
	s_or_b64 s[6:7], s[28:29], s[6:7]
	s_andn2_b64 exec, exec, s[6:7]
	s_cbranch_execnz .LBB5566_71
; %bb.72:                               ;   in Loop: Header=BB5566_68 Depth=1
	s_or_b64 exec, exec, s[6:7]
	s_branch .LBB5566_67
.LBB5566_73:                            ;   in Loop: Header=BB5566_68 Depth=1
                                        ; implicit-def: $vgpr18
                                        ; implicit-def: $vgpr26
	s_cbranch_execz .LBB5566_68
; %bb.74:
	s_and_saveexec_b64 s[4:5], s[2:3]
	s_cbranch_execz .LBB5566_76
; %bb.75:
	s_add_i32 s2, s27, 64
	s_mov_b32 s3, 0
	s_lshl_b64 s[2:3], s[2:3], 2
	v_add_u16_e32 v14, v37, v24
	s_add_u32 s2, s20, s2
	v_or_b32_e32 v14, 0x20000, v14
	s_addc_u32 s3, s21, s3
	v_mov_b32_e32 v15, 0
	global_store_dword v15, v14, s[2:3]
.LBB5566_76:
	s_or_b64 exec, exec, s[4:5]
	s_and_b64 exec, exec, s[0:1]
	s_cbranch_execz .LBB5566_78
; %bb.77:
	v_mov_b32_e32 v14, 0
	ds_write_b16 v14, v37
.LBB5566_78:
	s_or_b64 exec, exec, s[18:19]
	v_mov_b32_e32 v14, 0
	s_waitcnt lgkmcnt(0)
	; wave barrier
	s_waitcnt lgkmcnt(0)
	ds_read_u16 v14, v14
	v_cndmask_b32_e64 v15, v23, 0, s[0:1]
	s_waitcnt lgkmcnt(0)
	v_add_u16_e32 v15, v14, v15
	s_branch .LBB5566_87
.LBB5566_79:
                                        ; implicit-def: $vgpr15
	s_cbranch_execz .LBB5566_87
; %bb.80:
	s_cmp_eq_u64 s[12:13], 0
	v_mov_b32_e32 v14, s24
	s_cbranch_scc1 .LBB5566_82
; %bb.81:
	v_mov_b32_e32 v15, s26
	v_add_co_u32_e64 v14, vcc, -2, s25
	v_addc_co_u32_e32 v15, vcc, -1, v15, vcc
	v_mov_b32_e32 v16, 0
	flat_load_ushort v17, v[14:15]
	global_load_ushort v18, v16, s[8:9]
	s_waitcnt vmcnt(0) lgkmcnt(0)
	v_add_u16_e32 v14, v18, v17
.LBB5566_82:
	v_add_u16_sdwa v15, v22, v11 dst_sel:DWORD dst_unused:UNUSED_PAD src0_sel:DWORD src1_sel:WORD_1
	v_add_u16_e32 v15, v15, v12
	v_add_u16_sdwa v15, v15, v12 dst_sel:DWORD dst_unused:UNUSED_PAD src0_sel:DWORD src1_sel:WORD_1
	v_add_u16_e32 v15, v15, v13
	;; [unrolled: 2-line block ×10, first 2 shown]
	v_add_u16_sdwa v16, v15, v5 dst_sel:DWORD dst_unused:UNUSED_PAD src0_sel:DWORD src1_sel:WORD_1
	v_mbcnt_hi_u32_b32 v15, -1, v21
	v_and_b32_e32 v17, 15, v15
	v_mov_b32_dpp v18, v16 row_shr:1 row_mask:0xf bank_mask:0xf
	v_cmp_ne_u32_e32 vcc, 0, v17
	v_cndmask_b32_e32 v18, 0, v18, vcc
	v_add_u16_e32 v16, v18, v16
	v_cmp_lt_u32_e32 vcc, 1, v17
	s_nop 0
	v_mov_b32_dpp v18, v16 row_shr:2 row_mask:0xf bank_mask:0xf
	v_cndmask_b32_e32 v18, 0, v18, vcc
	v_add_u16_e32 v16, v16, v18
	v_cmp_lt_u32_e32 vcc, 3, v17
	s_nop 0
	v_mov_b32_dpp v18, v16 row_shr:4 row_mask:0xf bank_mask:0xf
	;; [unrolled: 5-line block ×3, first 2 shown]
	v_cndmask_b32_e32 v17, 0, v18, vcc
	v_add_u16_e32 v16, v16, v17
	v_and_b32_e32 v18, 16, v15
	v_cmp_ne_u32_e32 vcc, 0, v18
	v_mov_b32_dpp v17, v16 row_bcast:15 row_mask:0xf bank_mask:0xf
	v_cndmask_b32_e32 v17, 0, v17, vcc
	v_add_u16_e32 v16, v16, v17
	v_cmp_lt_u32_e32 vcc, 31, v15
	s_nop 0
	v_mov_b32_dpp v17, v16 row_bcast:31 row_mask:0xf bank_mask:0xf
	v_cndmask_b32_e32 v17, 0, v17, vcc
	v_add_u16_e32 v16, v16, v17
	v_cmp_eq_u32_e32 vcc, 63, v0
	s_and_saveexec_b64 s[2:3], vcc
	s_cbranch_execz .LBB5566_84
; %bb.83:
	v_mov_b32_e32 v17, 0
	ds_write_b16 v17, v16
.LBB5566_84:
	s_or_b64 exec, exec, s[2:3]
	v_add_u32_e32 v17, -1, v15
	v_and_b32_e32 v18, 64, v15
	v_cmp_lt_i32_e32 vcc, v17, v18
	v_cndmask_b32_e32 v17, v17, v15, vcc
	v_add_u16_e32 v16, v16, v14
	v_lshlrev_b32_e32 v17, 2, v17
	ds_bpermute_b32 v16, v17, v16
	v_cmp_eq_u32_e32 vcc, 0, v15
	s_or_b64 vcc, s[0:1], vcc
	s_waitcnt lgkmcnt(0)
	; wave barrier
	s_waitcnt lgkmcnt(0)
	v_cndmask_b32_e32 v15, v16, v14, vcc
	s_and_saveexec_b64 s[2:3], s[0:1]
	s_cbranch_execz .LBB5566_86
; %bb.85:
	v_mov_b32_e32 v15, 0
	ds_read_u16 v16, v15
	s_waitcnt lgkmcnt(0)
	v_add_u16_e32 v16, v16, v14
	v_or_b32_e32 v16, 0x20000, v16
	global_store_dword v15, v16, s[20:21] offset:256
	v_mov_b32_e32 v15, v14
.LBB5566_86:
	s_or_b64 exec, exec, s[2:3]
.LBB5566_87:
	v_add_u16_e32 v14, v15, v10
	v_add_u16_sdwa v10, v14, v10 dst_sel:DWORD dst_unused:UNUSED_PAD src0_sel:DWORD src1_sel:WORD_1
	v_add_u16_e32 v16, v10, v11
	v_add_u16_sdwa v11, v16, v11 dst_sel:DWORD dst_unused:UNUSED_PAD src0_sel:DWORD src1_sel:WORD_1
	v_add_u16_e32 v17, v11, v12
	v_add_u16_sdwa v12, v17, v12 dst_sel:DWORD dst_unused:UNUSED_PAD src0_sel:DWORD src1_sel:WORD_1
	v_add_u16_e32 v18, v12, v13
	v_add_u16_sdwa v13, v18, v13 dst_sel:DWORD dst_unused:UNUSED_PAD src0_sel:DWORD src1_sel:WORD_1
	v_add_u16_e32 v19, v13, v6
	v_add_u16_sdwa v6, v19, v6 dst_sel:DWORD dst_unused:UNUSED_PAD src0_sel:DWORD src1_sel:WORD_1
	v_add_u16_e32 v21, v6, v7
	v_add_u16_sdwa v7, v21, v7 dst_sel:DWORD dst_unused:UNUSED_PAD src0_sel:DWORD src1_sel:WORD_1
	v_add_u16_e32 v22, v7, v8
	v_add_u16_sdwa v8, v22, v8 dst_sel:DWORD dst_unused:UNUSED_PAD src0_sel:DWORD src1_sel:WORD_1
	v_add_u16_e32 v23, v8, v9
	v_add_u16_sdwa v9, v23, v9 dst_sel:DWORD dst_unused:UNUSED_PAD src0_sel:DWORD src1_sel:WORD_1
	v_add_u16_e32 v24, v9, v2
	v_add_u16_sdwa v25, v24, v2 dst_sel:DWORD dst_unused:UNUSED_PAD src0_sel:DWORD src1_sel:WORD_1
	v_add_u16_e32 v26, v25, v3
	v_add_u16_sdwa v27, v26, v3 dst_sel:DWORD dst_unused:UNUSED_PAD src0_sel:DWORD src1_sel:WORD_1
	v_add_u16_e32 v28, v27, v4
	v_add_u16_sdwa v29, v28, v4 dst_sel:DWORD dst_unused:UNUSED_PAD src0_sel:DWORD src1_sel:WORD_1
	s_mov_b32 s0, 0x5040100
	v_add_u16_e32 v30, v29, v5
	v_perm_b32 v3, v16, v10, s0
	v_perm_b32 v4, v17, v11, s0
	;; [unrolled: 1-line block ×4, first 2 shown]
	s_waitcnt lgkmcnt(0)
	; wave barrier
	ds_write_b128 v1, v[2:5]
	v_perm_b32 v2, v19, v13, s0
	v_perm_b32 v3, v21, v6, s0
	;; [unrolled: 1-line block ×4, first 2 shown]
	ds_write_b128 v1, v[2:5] offset:16
	v_perm_b32 v2, v24, v9, s0
	v_perm_b32 v3, v26, v25, s0
	;; [unrolled: 1-line block ×4, first 2 shown]
	s_mov_b64 s[0:1], -1
	s_and_b64 vcc, exec, s[16:17]
	ds_write_b128 v1, v[2:5] offset:32
	s_waitcnt lgkmcnt(0)
	s_cbranch_vccz .LBB5566_89
; %bb.88:
	; wave barrier
	s_mov_b64 s[0:1], 0
.LBB5566_89:
	s_andn2_b64 vcc, exec, s[0:1]
	s_cbranch_vccnz .LBB5566_98
; %bb.90:
	v_cmp_lt_u64_e64 s[0:1], s[14:15], 2
	s_and_b64 vcc, exec, s[0:1]
	; wave barrier
	s_cbranch_vccnz .LBB5566_98
; %bb.91:
	s_add_u32 s0, s22, -1
	s_addc_u32 s1, s23, -1
	s_add_u32 s2, 0, 0xaaaa0000
	s_addc_u32 s3, 0, 42
	s_add_i32 s3, s3, 0xaaaaa80
	s_mul_hi_u32 s7, s2, 0xffffffe8
	s_sub_i32 s7, s7, s2
	s_mul_i32 s8, s3, 0xffffffe8
	s_mul_i32 s4, s2, 0xffffffe8
	s_add_i32 s7, s7, s8
	s_mul_hi_u32 s5, s3, s4
	s_mul_i32 s6, s3, s4
	s_mul_i32 s9, s2, s7
	s_mul_hi_u32 s4, s2, s4
	s_mul_hi_u32 s8, s2, s7
	s_add_u32 s4, s4, s9
	s_addc_u32 s8, 0, s8
	s_add_u32 s4, s4, s6
	s_mul_hi_u32 s9, s3, s7
	s_addc_u32 s4, s8, s5
	s_addc_u32 s5, s9, 0
	s_mul_i32 s6, s3, s7
	s_add_u32 s4, s4, s6
	v_mov_b32_e32 v2, s4
	s_addc_u32 s5, 0, s5
	v_add_co_u32_e32 v2, vcc, s2, v2
	s_cmp_lg_u64 vcc, 0
	s_addc_u32 s2, s3, s5
	v_readfirstlane_b32 s5, v2
	s_mul_i32 s4, s0, s2
	s_mul_hi_u32 s6, s0, s5
	s_mul_hi_u32 s3, s0, s2
	s_add_u32 s4, s6, s4
	s_addc_u32 s3, 0, s3
	s_mul_hi_u32 s7, s1, s5
	s_mul_i32 s5, s1, s5
	s_add_u32 s4, s4, s5
	s_mul_hi_u32 s6, s1, s2
	s_addc_u32 s3, s3, s7
	s_addc_u32 s4, s6, 0
	s_mul_i32 s2, s1, s2
	s_add_u32 s2, s3, s2
	s_addc_u32 s3, 0, s4
	s_add_u32 s4, s2, 1
	s_addc_u32 s5, s3, 0
	s_add_u32 s6, s2, 2
	s_mul_i32 s8, s3, 24
	s_mul_hi_u32 s9, s2, 24
	s_addc_u32 s7, s3, 0
	s_add_i32 s9, s9, s8
	s_mul_i32 s8, s2, 24
	v_mov_b32_e32 v2, s8
	v_sub_co_u32_e32 v2, vcc, s0, v2
	s_cmp_lg_u64 vcc, 0
	s_subb_u32 s8, s1, s9
	v_subrev_co_u32_e32 v3, vcc, 24, v2
	s_cmp_lg_u64 vcc, 0
	s_subb_u32 s9, s8, 0
	v_readfirstlane_b32 s12, v3
	s_cmp_gt_u32 s12, 23
	s_cselect_b32 s12, -1, 0
	s_cmp_eq_u32 s9, 0
	s_cselect_b32 s9, s12, -1
	s_cmp_lg_u32 s9, 0
	s_cselect_b32 s4, s6, s4
	v_readfirstlane_b32 s6, v2
	s_cselect_b32 s5, s7, s5
	s_cmp_gt_u32 s6, 23
	s_cselect_b32 s6, -1, 0
	s_cmp_eq_u32 s8, 0
	s_cselect_b32 s6, s6, -1
	s_cmp_lg_u32 s6, 0
	v_mov_b32_e32 v1, 0
	s_cselect_b32 s3, s5, s3
	s_cselect_b32 s2, s4, s2
	v_cmp_eq_u64_e32 vcc, s[2:3], v[0:1]
	s_and_saveexec_b64 s[2:3], vcc
	s_cbranch_execz .LBB5566_98
; %bb.92:
	v_lshlrev_b32_e32 v2, 1, v0
	v_mul_hi_u32_u24_e32 v1, 24, v0
	v_mov_b32_e32 v3, s1
	v_sub_co_u32_e32 v0, vcc, s0, v20
	v_subb_co_u32_e32 v1, vcc, v3, v1, vcc
	v_cmp_lt_i64_e32 vcc, 11, v[0:1]
	s_mov_b64 s[0:1], 0
	s_mov_b64 s[8:9], 0
	;; [unrolled: 1-line block ×4, first 2 shown]
                                        ; implicit-def: $vgpr3
                                        ; implicit-def: $vgpr4
                                        ; implicit-def: $vgpr5
	s_and_saveexec_b64 s[2:3], vcc
	s_xor_b64 s[2:3], exec, s[2:3]
	s_cbranch_execnz .LBB5566_99
; %bb.93:
	s_andn2_saveexec_b64 s[2:3], s[2:3]
	s_cbranch_execnz .LBB5566_144
.LBB5566_94:
	s_or_b64 exec, exec, s[2:3]
	s_and_saveexec_b64 s[2:3], s[8:9]
	s_cbranch_execnz .LBB5566_161
.LBB5566_95:
	s_or_b64 exec, exec, s[2:3]
	s_and_saveexec_b64 s[2:3], s[6:7]
	s_cbranch_execnz .LBB5566_162
.LBB5566_96:
	s_or_b64 exec, exec, s[2:3]
	s_and_saveexec_b64 s[2:3], s[4:5]
	s_xor_b64 s[2:3], exec, s[2:3]
	s_cbranch_execnz .LBB5566_163
.LBB5566_97:
	s_or_b64 exec, exec, s[2:3]
	s_and_b64 exec, exec, s[0:1]
	s_cbranch_execnz .LBB5566_164
.LBB5566_98:
	s_endpgm
.LBB5566_99:
	v_cmp_lt_i64_e32 vcc, 17, v[0:1]
                                        ; implicit-def: $vgpr3
                                        ; implicit-def: $vgpr4
                                        ; implicit-def: $vgpr5
	s_and_saveexec_b64 s[12:13], vcc
	s_xor_b64 s[12:13], exec, s[12:13]
	s_cbranch_execz .LBB5566_121
; %bb.100:
	v_cmp_lt_i64_e32 vcc, 20, v[0:1]
                                        ; implicit-def: $vgpr3
                                        ; implicit-def: $vgpr4
	s_and_saveexec_b64 s[14:15], vcc
	s_xor_b64 s[14:15], exec, s[14:15]
	s_cbranch_execz .LBB5566_110
; %bb.101:
	v_cmp_lt_i64_e32 vcc, 21, v[0:1]
	s_mov_b64 s[16:17], 0
                                        ; implicit-def: $vgpr3
	s_and_saveexec_b64 s[4:5], vcc
	s_xor_b64 s[4:5], exec, s[4:5]
	s_cbranch_execz .LBB5566_107
; %bb.102:
	v_cmp_lt_i64_e32 vcc, 22, v[0:1]
	s_and_saveexec_b64 s[16:17], vcc
	s_xor_b64 s[16:17], exec, s[16:17]
	s_cbranch_execz .LBB5566_104
; %bb.103:
	ds_read_u16 v3, v2 offset:2944
	v_mov_b32_e32 v4, 0
	s_waitcnt lgkmcnt(0)
	global_store_short v4, v3, s[10:11]
.LBB5566_104:
	s_or_saveexec_b64 s[16:17], s[16:17]
	s_mov_b64 s[18:19], 0
                                        ; implicit-def: $vgpr3
	s_xor_b64 exec, exec, s[16:17]
	s_cbranch_execz .LBB5566_106
; %bb.105:
	ds_read_u16 v3, v2 offset:2816
	s_mov_b64 s[18:19], exec
.LBB5566_106:
	s_or_b64 exec, exec, s[16:17]
	s_and_b64 s[16:17], s[18:19], exec
.LBB5566_107:
	s_or_saveexec_b64 s[4:5], s[4:5]
                                        ; implicit-def: $vgpr4
	s_xor_b64 exec, exec, s[4:5]
	s_cbranch_execz .LBB5566_109
; %bb.108:
	ds_read_u16 v4, v2 offset:2688
	s_mov_b64 s[6:7], exec
                                        ; implicit-def: $vgpr3
.LBB5566_109:
	s_or_b64 exec, exec, s[4:5]
	s_and_b64 s[4:5], s[16:17], exec
	s_and_b64 s[6:7], s[6:7], exec
.LBB5566_110:
	s_or_saveexec_b64 s[14:15], s[14:15]
                                        ; implicit-def: $vgpr5
	s_xor_b64 exec, exec, s[14:15]
	s_cbranch_execz .LBB5566_120
; %bb.111:
	v_cmp_lt_i64_e32 vcc, 18, v[0:1]
	s_mov_b64 s[16:17], 0
                                        ; implicit-def: $vgpr5
	s_and_saveexec_b64 s[8:9], vcc
	s_xor_b64 s[8:9], exec, s[8:9]
	s_cbranch_execz .LBB5566_117
; %bb.112:
	v_cmp_lt_i64_e32 vcc, 19, v[0:1]
                                        ; implicit-def: $vgpr5
	s_and_saveexec_b64 s[18:19], vcc
	s_xor_b64 s[18:19], exec, s[18:19]
	s_cbranch_execz .LBB5566_114
; %bb.113:
	ds_read_u16 v5, v2 offset:2560
	s_mov_b64 s[16:17], exec
.LBB5566_114:
	s_andn2_saveexec_b64 s[18:19], s[18:19]
	s_cbranch_execz .LBB5566_116
; %bb.115:
	s_waitcnt lgkmcnt(0)
	ds_read_u16 v3, v2 offset:2432
	v_mov_b32_e32 v4, 0
                                        ; implicit-def: $vgpr5
	s_waitcnt lgkmcnt(0)
	global_store_short v4, v3, s[10:11]
.LBB5566_116:
	s_or_b64 exec, exec, s[18:19]
	s_and_b64 s[16:17], s[16:17], exec
.LBB5566_117:
	s_andn2_saveexec_b64 s[8:9], s[8:9]
	s_cbranch_execz .LBB5566_119
; %bb.118:
	s_waitcnt lgkmcnt(0)
	ds_read_u16 v3, v2 offset:2304
	v_mov_b32_e32 v4, 0
                                        ; implicit-def: $vgpr5
	s_waitcnt lgkmcnt(0)
	global_store_short v4, v3, s[10:11]
.LBB5566_119:
	s_or_b64 exec, exec, s[8:9]
	s_and_b64 s[8:9], s[16:17], exec
                                        ; implicit-def: $vgpr3
                                        ; implicit-def: $vgpr4
.LBB5566_120:
	s_or_b64 exec, exec, s[14:15]
	s_and_b64 s[4:5], s[4:5], exec
	s_and_b64 s[6:7], s[6:7], exec
	;; [unrolled: 1-line block ×3, first 2 shown]
.LBB5566_121:
	s_andn2_saveexec_b64 s[12:13], s[12:13]
	s_cbranch_execz .LBB5566_143
; %bb.122:
	v_cmp_lt_i64_e32 vcc, 14, v[0:1]
	s_mov_b64 s[14:15], s[4:5]
                                        ; implicit-def: $vgpr3
	s_and_saveexec_b64 s[16:17], vcc
	s_xor_b64 s[16:17], exec, s[16:17]
	s_cbranch_execz .LBB5566_132
; %bb.123:
	v_cmp_lt_i64_e32 vcc, 15, v[0:1]
	s_and_saveexec_b64 s[14:15], vcc
	s_xor_b64 s[14:15], exec, s[14:15]
	s_cbranch_execz .LBB5566_129
; %bb.124:
	v_cmp_lt_i64_e32 vcc, 16, v[0:1]
	s_and_saveexec_b64 s[18:19], vcc
	s_xor_b64 s[18:19], exec, s[18:19]
	s_cbranch_execz .LBB5566_126
; %bb.125:
	s_waitcnt lgkmcnt(0)
	ds_read_u16 v3, v2 offset:2176
	v_mov_b32_e32 v4, 0
	s_waitcnt lgkmcnt(0)
	global_store_short v4, v3, s[10:11]
.LBB5566_126:
	s_andn2_saveexec_b64 s[18:19], s[18:19]
	s_cbranch_execz .LBB5566_128
; %bb.127:
	s_waitcnt lgkmcnt(0)
	ds_read_u16 v3, v2 offset:2048
	v_mov_b32_e32 v4, 0
	s_waitcnt lgkmcnt(0)
	global_store_short v4, v3, s[10:11]
.LBB5566_128:
	s_or_b64 exec, exec, s[18:19]
.LBB5566_129:
	s_or_saveexec_b64 s[14:15], s[14:15]
	s_mov_b64 s[18:19], s[4:5]
                                        ; implicit-def: $vgpr3
	s_xor_b64 exec, exec, s[14:15]
	s_cbranch_execz .LBB5566_131
; %bb.130:
	s_waitcnt lgkmcnt(0)
	ds_read_u16 v3, v2 offset:1920
	s_or_b64 s[18:19], s[4:5], exec
.LBB5566_131:
	s_or_b64 exec, exec, s[14:15]
	s_andn2_b64 s[14:15], s[4:5], exec
	s_and_b64 s[18:19], s[18:19], exec
	s_or_b64 s[14:15], s[14:15], s[18:19]
.LBB5566_132:
	s_or_saveexec_b64 s[16:17], s[16:17]
	s_mov_b64 s[18:19], s[6:7]
                                        ; implicit-def: $vgpr4
	s_xor_b64 exec, exec, s[16:17]
	s_cbranch_execz .LBB5566_142
; %bb.133:
	v_cmp_lt_i64_e32 vcc, 12, v[0:1]
	s_mov_b64 s[20:21], s[6:7]
	s_mov_b64 s[22:23], s[14:15]
                                        ; implicit-def: $vgpr3
                                        ; implicit-def: $vgpr4
	s_and_saveexec_b64 s[18:19], vcc
	s_xor_b64 s[18:19], exec, s[18:19]
	s_cbranch_execz .LBB5566_139
; %bb.134:
	v_cmp_lt_i64_e32 vcc, 13, v[0:1]
	s_mov_b64 s[20:21], s[14:15]
                                        ; implicit-def: $vgpr3
	s_and_saveexec_b64 s[22:23], vcc
	s_xor_b64 s[22:23], exec, s[22:23]
	s_cbranch_execz .LBB5566_136
; %bb.135:
	s_waitcnt lgkmcnt(0)
	ds_read_u16 v3, v2 offset:1792
	s_or_b64 s[20:21], s[14:15], exec
.LBB5566_136:
	s_or_saveexec_b64 s[22:23], s[22:23]
	s_mov_b64 s[24:25], s[6:7]
                                        ; implicit-def: $vgpr4
	s_xor_b64 exec, exec, s[22:23]
	s_cbranch_execz .LBB5566_138
; %bb.137:
	s_waitcnt lgkmcnt(0)
	ds_read_u16 v4, v2 offset:1664
	s_or_b64 s[24:25], s[6:7], exec
                                        ; implicit-def: $vgpr3
.LBB5566_138:
	s_or_b64 exec, exec, s[22:23]
	s_andn2_b64 s[22:23], s[14:15], exec
	s_and_b64 s[20:21], s[20:21], exec
	s_or_b64 s[22:23], s[22:23], s[20:21]
	s_andn2_b64 s[20:21], s[6:7], exec
	s_and_b64 s[24:25], s[24:25], exec
	s_or_b64 s[20:21], s[20:21], s[24:25]
.LBB5566_139:
	s_andn2_saveexec_b64 s[18:19], s[18:19]
	s_cbranch_execz .LBB5566_141
; %bb.140:
	s_waitcnt lgkmcnt(0)
	ds_read_u16 v4, v2 offset:1536
	s_or_b64 s[20:21], s[20:21], exec
                                        ; implicit-def: $vgpr3
.LBB5566_141:
	s_or_b64 exec, exec, s[18:19]
	s_andn2_b64 s[14:15], s[14:15], exec
	s_and_b64 s[18:19], s[22:23], exec
	s_or_b64 s[14:15], s[14:15], s[18:19]
	s_andn2_b64 s[18:19], s[6:7], exec
	s_and_b64 s[20:21], s[20:21], exec
	s_or_b64 s[18:19], s[18:19], s[20:21]
.LBB5566_142:
	s_or_b64 exec, exec, s[16:17]
	s_andn2_b64 s[4:5], s[4:5], exec
	s_and_b64 s[14:15], s[14:15], exec
	s_or_b64 s[4:5], s[4:5], s[14:15]
	s_andn2_b64 s[6:7], s[6:7], exec
	s_and_b64 s[14:15], s[18:19], exec
	s_or_b64 s[6:7], s[6:7], s[14:15]
                                        ; implicit-def: $vgpr5
.LBB5566_143:
	s_or_b64 exec, exec, s[12:13]
	s_and_b64 s[4:5], s[4:5], exec
	s_and_b64 s[6:7], s[6:7], exec
	;; [unrolled: 1-line block ×3, first 2 shown]
	s_andn2_saveexec_b64 s[2:3], s[2:3]
	s_cbranch_execz .LBB5566_94
.LBB5566_144:
	v_cmp_lt_i64_e32 vcc, 5, v[0:1]
	s_mov_b64 s[14:15], -1
	s_mov_b64 s[12:13], s[8:9]
	s_mov_b64 s[16:17], s[6:7]
	s_mov_b64 s[18:19], s[4:5]
                                        ; implicit-def: $vgpr3
                                        ; implicit-def: $vgpr4
                                        ; implicit-def: $vgpr5
	s_and_saveexec_b64 s[0:1], vcc
	s_cbranch_execz .LBB5566_160
; %bb.145:
	v_cmp_lt_i64_e32 vcc, 8, v[0:1]
	s_mov_b64 s[12:13], s[8:9]
                                        ; implicit-def: $vgpr5
	s_and_saveexec_b64 s[14:15], vcc
	s_xor_b64 s[14:15], exec, s[14:15]
	s_cbranch_execz .LBB5566_155
; %bb.146:
	v_cmp_lt_i64_e32 vcc, 9, v[0:1]
                                        ; implicit-def: $vgpr5
	s_and_saveexec_b64 s[12:13], vcc
	s_xor_b64 s[12:13], exec, s[12:13]
	s_cbranch_execz .LBB5566_152
; %bb.147:
	v_cmp_lt_i64_e32 vcc, 10, v[0:1]
                                        ; implicit-def: $vgpr5
	s_and_saveexec_b64 s[16:17], vcc
	s_xor_b64 s[16:17], exec, s[16:17]
	s_cbranch_execz .LBB5566_149
; %bb.148:
	s_waitcnt lgkmcnt(0)
	ds_read_u16 v5, v2 offset:1408
.LBB5566_149:
	s_andn2_saveexec_b64 s[16:17], s[16:17]
	s_cbranch_execz .LBB5566_151
; %bb.150:
	s_waitcnt lgkmcnt(0)
	ds_read_u16 v5, v2 offset:1280
.LBB5566_151:
	s_or_b64 exec, exec, s[16:17]
.LBB5566_152:
	s_andn2_saveexec_b64 s[12:13], s[12:13]
	s_cbranch_execz .LBB5566_154
; %bb.153:
	s_waitcnt lgkmcnt(0)
	ds_read_u16 v5, v2 offset:1152
.LBB5566_154:
	s_or_b64 exec, exec, s[12:13]
	s_or_b64 s[12:13], s[8:9], exec
.LBB5566_155:
	s_or_saveexec_b64 s[14:15], s[14:15]
	s_mov_b64 s[16:17], s[6:7]
	s_mov_b64 s[20:21], s[4:5]
                                        ; implicit-def: $vgpr3
                                        ; implicit-def: $vgpr4
	s_xor_b64 exec, exec, s[14:15]
	s_cbranch_execz .LBB5566_159
; %bb.156:
	s_waitcnt lgkmcnt(0)
	ds_read_u16 v3, v2 offset:768
	v_cmp_lt_i64_e32 vcc, 6, v[0:1]
	s_mov_b64 s[20:21], -1
	s_mov_b64 s[18:19], s[12:13]
	s_mov_b64 s[16:17], s[6:7]
                                        ; implicit-def: $vgpr4
                                        ; implicit-def: $vgpr5
	s_and_saveexec_b64 s[22:23], vcc
	s_cbranch_execz .LBB5566_158
; %bb.157:
	ds_read_u16 v4, v2 offset:896
	ds_read_u16 v5, v2 offset:1024
	v_cmp_lt_i64_e32 vcc, 7, v[0:1]
	s_andn2_b64 s[18:19], s[12:13], exec
	s_and_b64 s[24:25], vcc, exec
	s_xor_b64 s[20:21], exec, -1
	s_or_b64 s[16:17], s[6:7], exec
	s_or_b64 s[18:19], s[18:19], s[24:25]
                                        ; implicit-def: $vgpr3
.LBB5566_158:
	s_or_b64 exec, exec, s[22:23]
	s_andn2_b64 s[22:23], s[4:5], exec
	s_and_b64 s[20:21], s[20:21], exec
	s_or_b64 s[20:21], s[22:23], s[20:21]
	s_andn2_b64 s[22:23], s[6:7], exec
	s_and_b64 s[16:17], s[16:17], exec
	s_andn2_b64 s[12:13], s[12:13], exec
	s_and_b64 s[18:19], s[18:19], exec
	s_or_b64 s[16:17], s[22:23], s[16:17]
	s_or_b64 s[12:13], s[12:13], s[18:19]
.LBB5566_159:
	s_or_b64 exec, exec, s[14:15]
	s_andn2_b64 s[18:19], s[4:5], exec
	s_and_b64 s[20:21], s[20:21], exec
	s_or_b64 s[18:19], s[18:19], s[20:21]
	s_andn2_b64 s[20:21], s[6:7], exec
	s_and_b64 s[16:17], s[16:17], exec
	s_or_b64 s[16:17], s[20:21], s[16:17]
	s_andn2_b64 s[20:21], s[8:9], exec
	s_and_b64 s[12:13], s[12:13], exec
	s_xor_b64 s[14:15], exec, -1
	s_or_b64 s[12:13], s[20:21], s[12:13]
.LBB5566_160:
	s_or_b64 exec, exec, s[0:1]
	s_and_b64 s[0:1], s[14:15], exec
	s_andn2_b64 s[4:5], s[4:5], exec
	s_and_b64 s[14:15], s[18:19], exec
	s_or_b64 s[4:5], s[4:5], s[14:15]
	s_andn2_b64 s[6:7], s[6:7], exec
	s_and_b64 s[14:15], s[16:17], exec
	s_andn2_b64 s[8:9], s[8:9], exec
	s_and_b64 s[12:13], s[12:13], exec
	s_or_b64 s[6:7], s[6:7], s[14:15]
	s_or_b64 s[8:9], s[8:9], s[12:13]
	s_or_b64 exec, exec, s[2:3]
	s_and_saveexec_b64 s[2:3], s[8:9]
	s_cbranch_execz .LBB5566_95
.LBB5566_161:
	s_waitcnt lgkmcnt(0)
	v_mov_b32_e32 v3, 0
	s_andn2_b64 s[6:7], s[6:7], exec
	global_store_short v3, v5, s[10:11]
                                        ; implicit-def: $vgpr3
                                        ; implicit-def: $vgpr4
	s_or_b64 exec, exec, s[2:3]
	s_and_saveexec_b64 s[2:3], s[6:7]
	s_cbranch_execz .LBB5566_96
.LBB5566_162:
	s_waitcnt lgkmcnt(0)
	v_mov_b32_e32 v3, 0
	global_store_short v3, v4, s[10:11]
                                        ; implicit-def: $vgpr3
	s_or_b64 exec, exec, s[2:3]
	s_and_saveexec_b64 s[2:3], s[4:5]
	s_xor_b64 s[2:3], exec, s[2:3]
	s_cbranch_execz .LBB5566_97
.LBB5566_163:
	s_waitcnt lgkmcnt(0)
	v_mov_b32_e32 v4, 0
	global_store_short v4, v3, s[10:11]
	s_or_b64 exec, exec, s[2:3]
	s_and_b64 exec, exec, s[0:1]
	s_cbranch_execz .LBB5566_98
.LBB5566_164:
	v_cmp_lt_i64_e32 vcc, 2, v[0:1]
	s_and_saveexec_b64 s[0:1], vcc
	s_xor_b64 s[0:1], exec, s[0:1]
	s_cbranch_execz .LBB5566_174
; %bb.165:
	v_cmp_lt_i64_e32 vcc, 3, v[0:1]
	s_and_saveexec_b64 s[2:3], vcc
	s_xor_b64 s[2:3], exec, s[2:3]
	s_cbranch_execz .LBB5566_171
; %bb.166:
	;; [unrolled: 5-line block ×3, first 2 shown]
	ds_read_u16 v0, v2 offset:640
	v_mov_b32_e32 v1, 0
                                        ; implicit-def: $vgpr2
	s_waitcnt lgkmcnt(0)
	global_store_short v1, v0, s[10:11]
.LBB5566_168:
	s_andn2_saveexec_b64 s[4:5], s[4:5]
	s_cbranch_execz .LBB5566_170
; %bb.169:
	ds_read_u16 v0, v2 offset:512
	v_mov_b32_e32 v1, 0
	s_waitcnt lgkmcnt(0)
	global_store_short v1, v0, s[10:11]
.LBB5566_170:
	s_or_b64 exec, exec, s[4:5]
                                        ; implicit-def: $vgpr2
.LBB5566_171:
	s_andn2_saveexec_b64 s[2:3], s[2:3]
	s_cbranch_execz .LBB5566_173
; %bb.172:
	ds_read_u16 v0, v2 offset:384
	v_mov_b32_e32 v1, 0
	s_waitcnt lgkmcnt(0)
	global_store_short v1, v0, s[10:11]
.LBB5566_173:
	s_or_b64 exec, exec, s[2:3]
                                        ; implicit-def: $vgpr0_vgpr1
                                        ; implicit-def: $vgpr2
.LBB5566_174:
	s_andn2_saveexec_b64 s[0:1], s[0:1]
	s_cbranch_execz .LBB5566_98
; %bb.175:
	v_cmp_lt_i64_e32 vcc, 1, v[0:1]
	s_and_saveexec_b64 s[0:1], vcc
	s_xor_b64 s[0:1], exec, s[0:1]
	s_cbranch_execz .LBB5566_177
; %bb.176:
	ds_read_u16 v0, v2 offset:256
	v_mov_b32_e32 v1, 0
                                        ; implicit-def: $vgpr2
	s_waitcnt lgkmcnt(0)
	global_store_short v1, v0, s[10:11]
                                        ; implicit-def: $vgpr0_vgpr1
.LBB5566_177:
	s_andn2_saveexec_b64 s[0:1], s[0:1]
	s_cbranch_execz .LBB5566_98
; %bb.178:
	v_cmp_ne_u64_e32 vcc, 1, v[0:1]
	s_and_saveexec_b64 s[0:1], vcc
	s_xor_b64 s[0:1], exec, s[0:1]
	s_cbranch_execz .LBB5566_180
; %bb.179:
	ds_read_u16 v0, v2
	v_mov_b32_e32 v1, 0
                                        ; implicit-def: $vgpr2
	s_waitcnt lgkmcnt(0)
	global_store_short v1, v0, s[10:11]
.LBB5566_180:
	s_andn2_saveexec_b64 s[0:1], s[0:1]
	s_cbranch_execz .LBB5566_98
; %bb.181:
	ds_read_u16 v0, v2 offset:128
	v_mov_b32_e32 v1, 0
	s_waitcnt lgkmcnt(0)
	global_store_short v1, v0, s[10:11]
	s_endpgm
	.section	.rodata,"a",@progbits
	.p2align	6, 0x0
	.amdhsa_kernel _ZN7rocprim17ROCPRIM_400000_NS6detail17trampoline_kernelINS0_14default_configENS1_20scan_config_selectorItEEZZNS1_9scan_implILNS1_25lookback_scan_determinismE0ELb1ELb1ES3_N6thrust23THRUST_200600_302600_NS6detail15normal_iteratorINS9_10device_ptrItEEEENS9_16discard_iteratorINS9_11use_defaultEEEtNS9_4plusIvEEtEEDaPvRmT3_T4_T5_mT6_P12ihipStream_tbENKUlT_T0_E_clISt17integral_constantIbLb0EESW_IbLb1EEEEDaSS_ST_EUlSS_E_NS1_11comp_targetILNS1_3genE4ELNS1_11target_archE910ELNS1_3gpuE8ELNS1_3repE0EEENS1_30default_config_static_selectorELNS0_4arch9wavefront6targetE1EEEvT1_
		.amdhsa_group_segment_fixed_size 3072
		.amdhsa_private_segment_fixed_size 0
		.amdhsa_kernarg_size 104
		.amdhsa_user_sgpr_count 6
		.amdhsa_user_sgpr_private_segment_buffer 1
		.amdhsa_user_sgpr_dispatch_ptr 0
		.amdhsa_user_sgpr_queue_ptr 0
		.amdhsa_user_sgpr_kernarg_segment_ptr 1
		.amdhsa_user_sgpr_dispatch_id 0
		.amdhsa_user_sgpr_flat_scratch_init 0
		.amdhsa_user_sgpr_kernarg_preload_length 0
		.amdhsa_user_sgpr_kernarg_preload_offset 0
		.amdhsa_user_sgpr_private_segment_size 0
		.amdhsa_uses_dynamic_stack 0
		.amdhsa_system_sgpr_private_segment_wavefront_offset 0
		.amdhsa_system_sgpr_workgroup_id_x 1
		.amdhsa_system_sgpr_workgroup_id_y 0
		.amdhsa_system_sgpr_workgroup_id_z 0
		.amdhsa_system_sgpr_workgroup_info 0
		.amdhsa_system_vgpr_workitem_id 0
		.amdhsa_next_free_vgpr 44
		.amdhsa_next_free_sgpr 30
		.amdhsa_accum_offset 44
		.amdhsa_reserve_vcc 1
		.amdhsa_reserve_flat_scratch 0
		.amdhsa_float_round_mode_32 0
		.amdhsa_float_round_mode_16_64 0
		.amdhsa_float_denorm_mode_32 3
		.amdhsa_float_denorm_mode_16_64 3
		.amdhsa_dx10_clamp 1
		.amdhsa_ieee_mode 1
		.amdhsa_fp16_overflow 0
		.amdhsa_tg_split 0
		.amdhsa_exception_fp_ieee_invalid_op 0
		.amdhsa_exception_fp_denorm_src 0
		.amdhsa_exception_fp_ieee_div_zero 0
		.amdhsa_exception_fp_ieee_overflow 0
		.amdhsa_exception_fp_ieee_underflow 0
		.amdhsa_exception_fp_ieee_inexact 0
		.amdhsa_exception_int_div_zero 0
	.end_amdhsa_kernel
	.section	.text._ZN7rocprim17ROCPRIM_400000_NS6detail17trampoline_kernelINS0_14default_configENS1_20scan_config_selectorItEEZZNS1_9scan_implILNS1_25lookback_scan_determinismE0ELb1ELb1ES3_N6thrust23THRUST_200600_302600_NS6detail15normal_iteratorINS9_10device_ptrItEEEENS9_16discard_iteratorINS9_11use_defaultEEEtNS9_4plusIvEEtEEDaPvRmT3_T4_T5_mT6_P12ihipStream_tbENKUlT_T0_E_clISt17integral_constantIbLb0EESW_IbLb1EEEEDaSS_ST_EUlSS_E_NS1_11comp_targetILNS1_3genE4ELNS1_11target_archE910ELNS1_3gpuE8ELNS1_3repE0EEENS1_30default_config_static_selectorELNS0_4arch9wavefront6targetE1EEEvT1_,"axG",@progbits,_ZN7rocprim17ROCPRIM_400000_NS6detail17trampoline_kernelINS0_14default_configENS1_20scan_config_selectorItEEZZNS1_9scan_implILNS1_25lookback_scan_determinismE0ELb1ELb1ES3_N6thrust23THRUST_200600_302600_NS6detail15normal_iteratorINS9_10device_ptrItEEEENS9_16discard_iteratorINS9_11use_defaultEEEtNS9_4plusIvEEtEEDaPvRmT3_T4_T5_mT6_P12ihipStream_tbENKUlT_T0_E_clISt17integral_constantIbLb0EESW_IbLb1EEEEDaSS_ST_EUlSS_E_NS1_11comp_targetILNS1_3genE4ELNS1_11target_archE910ELNS1_3gpuE8ELNS1_3repE0EEENS1_30default_config_static_selectorELNS0_4arch9wavefront6targetE1EEEvT1_,comdat
.Lfunc_end5566:
	.size	_ZN7rocprim17ROCPRIM_400000_NS6detail17trampoline_kernelINS0_14default_configENS1_20scan_config_selectorItEEZZNS1_9scan_implILNS1_25lookback_scan_determinismE0ELb1ELb1ES3_N6thrust23THRUST_200600_302600_NS6detail15normal_iteratorINS9_10device_ptrItEEEENS9_16discard_iteratorINS9_11use_defaultEEEtNS9_4plusIvEEtEEDaPvRmT3_T4_T5_mT6_P12ihipStream_tbENKUlT_T0_E_clISt17integral_constantIbLb0EESW_IbLb1EEEEDaSS_ST_EUlSS_E_NS1_11comp_targetILNS1_3genE4ELNS1_11target_archE910ELNS1_3gpuE8ELNS1_3repE0EEENS1_30default_config_static_selectorELNS0_4arch9wavefront6targetE1EEEvT1_, .Lfunc_end5566-_ZN7rocprim17ROCPRIM_400000_NS6detail17trampoline_kernelINS0_14default_configENS1_20scan_config_selectorItEEZZNS1_9scan_implILNS1_25lookback_scan_determinismE0ELb1ELb1ES3_N6thrust23THRUST_200600_302600_NS6detail15normal_iteratorINS9_10device_ptrItEEEENS9_16discard_iteratorINS9_11use_defaultEEEtNS9_4plusIvEEtEEDaPvRmT3_T4_T5_mT6_P12ihipStream_tbENKUlT_T0_E_clISt17integral_constantIbLb0EESW_IbLb1EEEEDaSS_ST_EUlSS_E_NS1_11comp_targetILNS1_3genE4ELNS1_11target_archE910ELNS1_3gpuE8ELNS1_3repE0EEENS1_30default_config_static_selectorELNS0_4arch9wavefront6targetE1EEEvT1_
                                        ; -- End function
	.section	.AMDGPU.csdata,"",@progbits
; Kernel info:
; codeLenInByte = 6444
; NumSgprs: 34
; NumVgprs: 44
; NumAgprs: 0
; TotalNumVgprs: 44
; ScratchSize: 0
; MemoryBound: 0
; FloatMode: 240
; IeeeMode: 1
; LDSByteSize: 3072 bytes/workgroup (compile time only)
; SGPRBlocks: 4
; VGPRBlocks: 5
; NumSGPRsForWavesPerEU: 34
; NumVGPRsForWavesPerEU: 44
; AccumOffset: 44
; Occupancy: 6
; WaveLimiterHint : 1
; COMPUTE_PGM_RSRC2:SCRATCH_EN: 0
; COMPUTE_PGM_RSRC2:USER_SGPR: 6
; COMPUTE_PGM_RSRC2:TRAP_HANDLER: 0
; COMPUTE_PGM_RSRC2:TGID_X_EN: 1
; COMPUTE_PGM_RSRC2:TGID_Y_EN: 0
; COMPUTE_PGM_RSRC2:TGID_Z_EN: 0
; COMPUTE_PGM_RSRC2:TIDIG_COMP_CNT: 0
; COMPUTE_PGM_RSRC3_GFX90A:ACCUM_OFFSET: 10
; COMPUTE_PGM_RSRC3_GFX90A:TG_SPLIT: 0
	.section	.text._ZN7rocprim17ROCPRIM_400000_NS6detail17trampoline_kernelINS0_14default_configENS1_20scan_config_selectorItEEZZNS1_9scan_implILNS1_25lookback_scan_determinismE0ELb1ELb1ES3_N6thrust23THRUST_200600_302600_NS6detail15normal_iteratorINS9_10device_ptrItEEEENS9_16discard_iteratorINS9_11use_defaultEEEtNS9_4plusIvEEtEEDaPvRmT3_T4_T5_mT6_P12ihipStream_tbENKUlT_T0_E_clISt17integral_constantIbLb0EESW_IbLb1EEEEDaSS_ST_EUlSS_E_NS1_11comp_targetILNS1_3genE3ELNS1_11target_archE908ELNS1_3gpuE7ELNS1_3repE0EEENS1_30default_config_static_selectorELNS0_4arch9wavefront6targetE1EEEvT1_,"axG",@progbits,_ZN7rocprim17ROCPRIM_400000_NS6detail17trampoline_kernelINS0_14default_configENS1_20scan_config_selectorItEEZZNS1_9scan_implILNS1_25lookback_scan_determinismE0ELb1ELb1ES3_N6thrust23THRUST_200600_302600_NS6detail15normal_iteratorINS9_10device_ptrItEEEENS9_16discard_iteratorINS9_11use_defaultEEEtNS9_4plusIvEEtEEDaPvRmT3_T4_T5_mT6_P12ihipStream_tbENKUlT_T0_E_clISt17integral_constantIbLb0EESW_IbLb1EEEEDaSS_ST_EUlSS_E_NS1_11comp_targetILNS1_3genE3ELNS1_11target_archE908ELNS1_3gpuE7ELNS1_3repE0EEENS1_30default_config_static_selectorELNS0_4arch9wavefront6targetE1EEEvT1_,comdat
	.protected	_ZN7rocprim17ROCPRIM_400000_NS6detail17trampoline_kernelINS0_14default_configENS1_20scan_config_selectorItEEZZNS1_9scan_implILNS1_25lookback_scan_determinismE0ELb1ELb1ES3_N6thrust23THRUST_200600_302600_NS6detail15normal_iteratorINS9_10device_ptrItEEEENS9_16discard_iteratorINS9_11use_defaultEEEtNS9_4plusIvEEtEEDaPvRmT3_T4_T5_mT6_P12ihipStream_tbENKUlT_T0_E_clISt17integral_constantIbLb0EESW_IbLb1EEEEDaSS_ST_EUlSS_E_NS1_11comp_targetILNS1_3genE3ELNS1_11target_archE908ELNS1_3gpuE7ELNS1_3repE0EEENS1_30default_config_static_selectorELNS0_4arch9wavefront6targetE1EEEvT1_ ; -- Begin function _ZN7rocprim17ROCPRIM_400000_NS6detail17trampoline_kernelINS0_14default_configENS1_20scan_config_selectorItEEZZNS1_9scan_implILNS1_25lookback_scan_determinismE0ELb1ELb1ES3_N6thrust23THRUST_200600_302600_NS6detail15normal_iteratorINS9_10device_ptrItEEEENS9_16discard_iteratorINS9_11use_defaultEEEtNS9_4plusIvEEtEEDaPvRmT3_T4_T5_mT6_P12ihipStream_tbENKUlT_T0_E_clISt17integral_constantIbLb0EESW_IbLb1EEEEDaSS_ST_EUlSS_E_NS1_11comp_targetILNS1_3genE3ELNS1_11target_archE908ELNS1_3gpuE7ELNS1_3repE0EEENS1_30default_config_static_selectorELNS0_4arch9wavefront6targetE1EEEvT1_
	.globl	_ZN7rocprim17ROCPRIM_400000_NS6detail17trampoline_kernelINS0_14default_configENS1_20scan_config_selectorItEEZZNS1_9scan_implILNS1_25lookback_scan_determinismE0ELb1ELb1ES3_N6thrust23THRUST_200600_302600_NS6detail15normal_iteratorINS9_10device_ptrItEEEENS9_16discard_iteratorINS9_11use_defaultEEEtNS9_4plusIvEEtEEDaPvRmT3_T4_T5_mT6_P12ihipStream_tbENKUlT_T0_E_clISt17integral_constantIbLb0EESW_IbLb1EEEEDaSS_ST_EUlSS_E_NS1_11comp_targetILNS1_3genE3ELNS1_11target_archE908ELNS1_3gpuE7ELNS1_3repE0EEENS1_30default_config_static_selectorELNS0_4arch9wavefront6targetE1EEEvT1_
	.p2align	8
	.type	_ZN7rocprim17ROCPRIM_400000_NS6detail17trampoline_kernelINS0_14default_configENS1_20scan_config_selectorItEEZZNS1_9scan_implILNS1_25lookback_scan_determinismE0ELb1ELb1ES3_N6thrust23THRUST_200600_302600_NS6detail15normal_iteratorINS9_10device_ptrItEEEENS9_16discard_iteratorINS9_11use_defaultEEEtNS9_4plusIvEEtEEDaPvRmT3_T4_T5_mT6_P12ihipStream_tbENKUlT_T0_E_clISt17integral_constantIbLb0EESW_IbLb1EEEEDaSS_ST_EUlSS_E_NS1_11comp_targetILNS1_3genE3ELNS1_11target_archE908ELNS1_3gpuE7ELNS1_3repE0EEENS1_30default_config_static_selectorELNS0_4arch9wavefront6targetE1EEEvT1_,@function
_ZN7rocprim17ROCPRIM_400000_NS6detail17trampoline_kernelINS0_14default_configENS1_20scan_config_selectorItEEZZNS1_9scan_implILNS1_25lookback_scan_determinismE0ELb1ELb1ES3_N6thrust23THRUST_200600_302600_NS6detail15normal_iteratorINS9_10device_ptrItEEEENS9_16discard_iteratorINS9_11use_defaultEEEtNS9_4plusIvEEtEEDaPvRmT3_T4_T5_mT6_P12ihipStream_tbENKUlT_T0_E_clISt17integral_constantIbLb0EESW_IbLb1EEEEDaSS_ST_EUlSS_E_NS1_11comp_targetILNS1_3genE3ELNS1_11target_archE908ELNS1_3gpuE7ELNS1_3repE0EEENS1_30default_config_static_selectorELNS0_4arch9wavefront6targetE1EEEvT1_: ; @_ZN7rocprim17ROCPRIM_400000_NS6detail17trampoline_kernelINS0_14default_configENS1_20scan_config_selectorItEEZZNS1_9scan_implILNS1_25lookback_scan_determinismE0ELb1ELb1ES3_N6thrust23THRUST_200600_302600_NS6detail15normal_iteratorINS9_10device_ptrItEEEENS9_16discard_iteratorINS9_11use_defaultEEEtNS9_4plusIvEEtEEDaPvRmT3_T4_T5_mT6_P12ihipStream_tbENKUlT_T0_E_clISt17integral_constantIbLb0EESW_IbLb1EEEEDaSS_ST_EUlSS_E_NS1_11comp_targetILNS1_3genE3ELNS1_11target_archE908ELNS1_3gpuE7ELNS1_3repE0EEENS1_30default_config_static_selectorELNS0_4arch9wavefront6targetE1EEEvT1_
; %bb.0:
	.section	.rodata,"a",@progbits
	.p2align	6, 0x0
	.amdhsa_kernel _ZN7rocprim17ROCPRIM_400000_NS6detail17trampoline_kernelINS0_14default_configENS1_20scan_config_selectorItEEZZNS1_9scan_implILNS1_25lookback_scan_determinismE0ELb1ELb1ES3_N6thrust23THRUST_200600_302600_NS6detail15normal_iteratorINS9_10device_ptrItEEEENS9_16discard_iteratorINS9_11use_defaultEEEtNS9_4plusIvEEtEEDaPvRmT3_T4_T5_mT6_P12ihipStream_tbENKUlT_T0_E_clISt17integral_constantIbLb0EESW_IbLb1EEEEDaSS_ST_EUlSS_E_NS1_11comp_targetILNS1_3genE3ELNS1_11target_archE908ELNS1_3gpuE7ELNS1_3repE0EEENS1_30default_config_static_selectorELNS0_4arch9wavefront6targetE1EEEvT1_
		.amdhsa_group_segment_fixed_size 0
		.amdhsa_private_segment_fixed_size 0
		.amdhsa_kernarg_size 104
		.amdhsa_user_sgpr_count 6
		.amdhsa_user_sgpr_private_segment_buffer 1
		.amdhsa_user_sgpr_dispatch_ptr 0
		.amdhsa_user_sgpr_queue_ptr 0
		.amdhsa_user_sgpr_kernarg_segment_ptr 1
		.amdhsa_user_sgpr_dispatch_id 0
		.amdhsa_user_sgpr_flat_scratch_init 0
		.amdhsa_user_sgpr_kernarg_preload_length 0
		.amdhsa_user_sgpr_kernarg_preload_offset 0
		.amdhsa_user_sgpr_private_segment_size 0
		.amdhsa_uses_dynamic_stack 0
		.amdhsa_system_sgpr_private_segment_wavefront_offset 0
		.amdhsa_system_sgpr_workgroup_id_x 1
		.amdhsa_system_sgpr_workgroup_id_y 0
		.amdhsa_system_sgpr_workgroup_id_z 0
		.amdhsa_system_sgpr_workgroup_info 0
		.amdhsa_system_vgpr_workitem_id 0
		.amdhsa_next_free_vgpr 1
		.amdhsa_next_free_sgpr 0
		.amdhsa_accum_offset 4
		.amdhsa_reserve_vcc 0
		.amdhsa_reserve_flat_scratch 0
		.amdhsa_float_round_mode_32 0
		.amdhsa_float_round_mode_16_64 0
		.amdhsa_float_denorm_mode_32 3
		.amdhsa_float_denorm_mode_16_64 3
		.amdhsa_dx10_clamp 1
		.amdhsa_ieee_mode 1
		.amdhsa_fp16_overflow 0
		.amdhsa_tg_split 0
		.amdhsa_exception_fp_ieee_invalid_op 0
		.amdhsa_exception_fp_denorm_src 0
		.amdhsa_exception_fp_ieee_div_zero 0
		.amdhsa_exception_fp_ieee_overflow 0
		.amdhsa_exception_fp_ieee_underflow 0
		.amdhsa_exception_fp_ieee_inexact 0
		.amdhsa_exception_int_div_zero 0
	.end_amdhsa_kernel
	.section	.text._ZN7rocprim17ROCPRIM_400000_NS6detail17trampoline_kernelINS0_14default_configENS1_20scan_config_selectorItEEZZNS1_9scan_implILNS1_25lookback_scan_determinismE0ELb1ELb1ES3_N6thrust23THRUST_200600_302600_NS6detail15normal_iteratorINS9_10device_ptrItEEEENS9_16discard_iteratorINS9_11use_defaultEEEtNS9_4plusIvEEtEEDaPvRmT3_T4_T5_mT6_P12ihipStream_tbENKUlT_T0_E_clISt17integral_constantIbLb0EESW_IbLb1EEEEDaSS_ST_EUlSS_E_NS1_11comp_targetILNS1_3genE3ELNS1_11target_archE908ELNS1_3gpuE7ELNS1_3repE0EEENS1_30default_config_static_selectorELNS0_4arch9wavefront6targetE1EEEvT1_,"axG",@progbits,_ZN7rocprim17ROCPRIM_400000_NS6detail17trampoline_kernelINS0_14default_configENS1_20scan_config_selectorItEEZZNS1_9scan_implILNS1_25lookback_scan_determinismE0ELb1ELb1ES3_N6thrust23THRUST_200600_302600_NS6detail15normal_iteratorINS9_10device_ptrItEEEENS9_16discard_iteratorINS9_11use_defaultEEEtNS9_4plusIvEEtEEDaPvRmT3_T4_T5_mT6_P12ihipStream_tbENKUlT_T0_E_clISt17integral_constantIbLb0EESW_IbLb1EEEEDaSS_ST_EUlSS_E_NS1_11comp_targetILNS1_3genE3ELNS1_11target_archE908ELNS1_3gpuE7ELNS1_3repE0EEENS1_30default_config_static_selectorELNS0_4arch9wavefront6targetE1EEEvT1_,comdat
.Lfunc_end5567:
	.size	_ZN7rocprim17ROCPRIM_400000_NS6detail17trampoline_kernelINS0_14default_configENS1_20scan_config_selectorItEEZZNS1_9scan_implILNS1_25lookback_scan_determinismE0ELb1ELb1ES3_N6thrust23THRUST_200600_302600_NS6detail15normal_iteratorINS9_10device_ptrItEEEENS9_16discard_iteratorINS9_11use_defaultEEEtNS9_4plusIvEEtEEDaPvRmT3_T4_T5_mT6_P12ihipStream_tbENKUlT_T0_E_clISt17integral_constantIbLb0EESW_IbLb1EEEEDaSS_ST_EUlSS_E_NS1_11comp_targetILNS1_3genE3ELNS1_11target_archE908ELNS1_3gpuE7ELNS1_3repE0EEENS1_30default_config_static_selectorELNS0_4arch9wavefront6targetE1EEEvT1_, .Lfunc_end5567-_ZN7rocprim17ROCPRIM_400000_NS6detail17trampoline_kernelINS0_14default_configENS1_20scan_config_selectorItEEZZNS1_9scan_implILNS1_25lookback_scan_determinismE0ELb1ELb1ES3_N6thrust23THRUST_200600_302600_NS6detail15normal_iteratorINS9_10device_ptrItEEEENS9_16discard_iteratorINS9_11use_defaultEEEtNS9_4plusIvEEtEEDaPvRmT3_T4_T5_mT6_P12ihipStream_tbENKUlT_T0_E_clISt17integral_constantIbLb0EESW_IbLb1EEEEDaSS_ST_EUlSS_E_NS1_11comp_targetILNS1_3genE3ELNS1_11target_archE908ELNS1_3gpuE7ELNS1_3repE0EEENS1_30default_config_static_selectorELNS0_4arch9wavefront6targetE1EEEvT1_
                                        ; -- End function
	.section	.AMDGPU.csdata,"",@progbits
; Kernel info:
; codeLenInByte = 0
; NumSgprs: 4
; NumVgprs: 0
; NumAgprs: 0
; TotalNumVgprs: 0
; ScratchSize: 0
; MemoryBound: 0
; FloatMode: 240
; IeeeMode: 1
; LDSByteSize: 0 bytes/workgroup (compile time only)
; SGPRBlocks: 0
; VGPRBlocks: 0
; NumSGPRsForWavesPerEU: 4
; NumVGPRsForWavesPerEU: 1
; AccumOffset: 4
; Occupancy: 8
; WaveLimiterHint : 0
; COMPUTE_PGM_RSRC2:SCRATCH_EN: 0
; COMPUTE_PGM_RSRC2:USER_SGPR: 6
; COMPUTE_PGM_RSRC2:TRAP_HANDLER: 0
; COMPUTE_PGM_RSRC2:TGID_X_EN: 1
; COMPUTE_PGM_RSRC2:TGID_Y_EN: 0
; COMPUTE_PGM_RSRC2:TGID_Z_EN: 0
; COMPUTE_PGM_RSRC2:TIDIG_COMP_CNT: 0
; COMPUTE_PGM_RSRC3_GFX90A:ACCUM_OFFSET: 0
; COMPUTE_PGM_RSRC3_GFX90A:TG_SPLIT: 0
	.section	.text._ZN7rocprim17ROCPRIM_400000_NS6detail17trampoline_kernelINS0_14default_configENS1_20scan_config_selectorItEEZZNS1_9scan_implILNS1_25lookback_scan_determinismE0ELb1ELb1ES3_N6thrust23THRUST_200600_302600_NS6detail15normal_iteratorINS9_10device_ptrItEEEENS9_16discard_iteratorINS9_11use_defaultEEEtNS9_4plusIvEEtEEDaPvRmT3_T4_T5_mT6_P12ihipStream_tbENKUlT_T0_E_clISt17integral_constantIbLb0EESW_IbLb1EEEEDaSS_ST_EUlSS_E_NS1_11comp_targetILNS1_3genE2ELNS1_11target_archE906ELNS1_3gpuE6ELNS1_3repE0EEENS1_30default_config_static_selectorELNS0_4arch9wavefront6targetE1EEEvT1_,"axG",@progbits,_ZN7rocprim17ROCPRIM_400000_NS6detail17trampoline_kernelINS0_14default_configENS1_20scan_config_selectorItEEZZNS1_9scan_implILNS1_25lookback_scan_determinismE0ELb1ELb1ES3_N6thrust23THRUST_200600_302600_NS6detail15normal_iteratorINS9_10device_ptrItEEEENS9_16discard_iteratorINS9_11use_defaultEEEtNS9_4plusIvEEtEEDaPvRmT3_T4_T5_mT6_P12ihipStream_tbENKUlT_T0_E_clISt17integral_constantIbLb0EESW_IbLb1EEEEDaSS_ST_EUlSS_E_NS1_11comp_targetILNS1_3genE2ELNS1_11target_archE906ELNS1_3gpuE6ELNS1_3repE0EEENS1_30default_config_static_selectorELNS0_4arch9wavefront6targetE1EEEvT1_,comdat
	.protected	_ZN7rocprim17ROCPRIM_400000_NS6detail17trampoline_kernelINS0_14default_configENS1_20scan_config_selectorItEEZZNS1_9scan_implILNS1_25lookback_scan_determinismE0ELb1ELb1ES3_N6thrust23THRUST_200600_302600_NS6detail15normal_iteratorINS9_10device_ptrItEEEENS9_16discard_iteratorINS9_11use_defaultEEEtNS9_4plusIvEEtEEDaPvRmT3_T4_T5_mT6_P12ihipStream_tbENKUlT_T0_E_clISt17integral_constantIbLb0EESW_IbLb1EEEEDaSS_ST_EUlSS_E_NS1_11comp_targetILNS1_3genE2ELNS1_11target_archE906ELNS1_3gpuE6ELNS1_3repE0EEENS1_30default_config_static_selectorELNS0_4arch9wavefront6targetE1EEEvT1_ ; -- Begin function _ZN7rocprim17ROCPRIM_400000_NS6detail17trampoline_kernelINS0_14default_configENS1_20scan_config_selectorItEEZZNS1_9scan_implILNS1_25lookback_scan_determinismE0ELb1ELb1ES3_N6thrust23THRUST_200600_302600_NS6detail15normal_iteratorINS9_10device_ptrItEEEENS9_16discard_iteratorINS9_11use_defaultEEEtNS9_4plusIvEEtEEDaPvRmT3_T4_T5_mT6_P12ihipStream_tbENKUlT_T0_E_clISt17integral_constantIbLb0EESW_IbLb1EEEEDaSS_ST_EUlSS_E_NS1_11comp_targetILNS1_3genE2ELNS1_11target_archE906ELNS1_3gpuE6ELNS1_3repE0EEENS1_30default_config_static_selectorELNS0_4arch9wavefront6targetE1EEEvT1_
	.globl	_ZN7rocprim17ROCPRIM_400000_NS6detail17trampoline_kernelINS0_14default_configENS1_20scan_config_selectorItEEZZNS1_9scan_implILNS1_25lookback_scan_determinismE0ELb1ELb1ES3_N6thrust23THRUST_200600_302600_NS6detail15normal_iteratorINS9_10device_ptrItEEEENS9_16discard_iteratorINS9_11use_defaultEEEtNS9_4plusIvEEtEEDaPvRmT3_T4_T5_mT6_P12ihipStream_tbENKUlT_T0_E_clISt17integral_constantIbLb0EESW_IbLb1EEEEDaSS_ST_EUlSS_E_NS1_11comp_targetILNS1_3genE2ELNS1_11target_archE906ELNS1_3gpuE6ELNS1_3repE0EEENS1_30default_config_static_selectorELNS0_4arch9wavefront6targetE1EEEvT1_
	.p2align	8
	.type	_ZN7rocprim17ROCPRIM_400000_NS6detail17trampoline_kernelINS0_14default_configENS1_20scan_config_selectorItEEZZNS1_9scan_implILNS1_25lookback_scan_determinismE0ELb1ELb1ES3_N6thrust23THRUST_200600_302600_NS6detail15normal_iteratorINS9_10device_ptrItEEEENS9_16discard_iteratorINS9_11use_defaultEEEtNS9_4plusIvEEtEEDaPvRmT3_T4_T5_mT6_P12ihipStream_tbENKUlT_T0_E_clISt17integral_constantIbLb0EESW_IbLb1EEEEDaSS_ST_EUlSS_E_NS1_11comp_targetILNS1_3genE2ELNS1_11target_archE906ELNS1_3gpuE6ELNS1_3repE0EEENS1_30default_config_static_selectorELNS0_4arch9wavefront6targetE1EEEvT1_,@function
_ZN7rocprim17ROCPRIM_400000_NS6detail17trampoline_kernelINS0_14default_configENS1_20scan_config_selectorItEEZZNS1_9scan_implILNS1_25lookback_scan_determinismE0ELb1ELb1ES3_N6thrust23THRUST_200600_302600_NS6detail15normal_iteratorINS9_10device_ptrItEEEENS9_16discard_iteratorINS9_11use_defaultEEEtNS9_4plusIvEEtEEDaPvRmT3_T4_T5_mT6_P12ihipStream_tbENKUlT_T0_E_clISt17integral_constantIbLb0EESW_IbLb1EEEEDaSS_ST_EUlSS_E_NS1_11comp_targetILNS1_3genE2ELNS1_11target_archE906ELNS1_3gpuE6ELNS1_3repE0EEENS1_30default_config_static_selectorELNS0_4arch9wavefront6targetE1EEEvT1_: ; @_ZN7rocprim17ROCPRIM_400000_NS6detail17trampoline_kernelINS0_14default_configENS1_20scan_config_selectorItEEZZNS1_9scan_implILNS1_25lookback_scan_determinismE0ELb1ELb1ES3_N6thrust23THRUST_200600_302600_NS6detail15normal_iteratorINS9_10device_ptrItEEEENS9_16discard_iteratorINS9_11use_defaultEEEtNS9_4plusIvEEtEEDaPvRmT3_T4_T5_mT6_P12ihipStream_tbENKUlT_T0_E_clISt17integral_constantIbLb0EESW_IbLb1EEEEDaSS_ST_EUlSS_E_NS1_11comp_targetILNS1_3genE2ELNS1_11target_archE906ELNS1_3gpuE6ELNS1_3repE0EEENS1_30default_config_static_selectorELNS0_4arch9wavefront6targetE1EEEvT1_
; %bb.0:
	.section	.rodata,"a",@progbits
	.p2align	6, 0x0
	.amdhsa_kernel _ZN7rocprim17ROCPRIM_400000_NS6detail17trampoline_kernelINS0_14default_configENS1_20scan_config_selectorItEEZZNS1_9scan_implILNS1_25lookback_scan_determinismE0ELb1ELb1ES3_N6thrust23THRUST_200600_302600_NS6detail15normal_iteratorINS9_10device_ptrItEEEENS9_16discard_iteratorINS9_11use_defaultEEEtNS9_4plusIvEEtEEDaPvRmT3_T4_T5_mT6_P12ihipStream_tbENKUlT_T0_E_clISt17integral_constantIbLb0EESW_IbLb1EEEEDaSS_ST_EUlSS_E_NS1_11comp_targetILNS1_3genE2ELNS1_11target_archE906ELNS1_3gpuE6ELNS1_3repE0EEENS1_30default_config_static_selectorELNS0_4arch9wavefront6targetE1EEEvT1_
		.amdhsa_group_segment_fixed_size 0
		.amdhsa_private_segment_fixed_size 0
		.amdhsa_kernarg_size 104
		.amdhsa_user_sgpr_count 6
		.amdhsa_user_sgpr_private_segment_buffer 1
		.amdhsa_user_sgpr_dispatch_ptr 0
		.amdhsa_user_sgpr_queue_ptr 0
		.amdhsa_user_sgpr_kernarg_segment_ptr 1
		.amdhsa_user_sgpr_dispatch_id 0
		.amdhsa_user_sgpr_flat_scratch_init 0
		.amdhsa_user_sgpr_kernarg_preload_length 0
		.amdhsa_user_sgpr_kernarg_preload_offset 0
		.amdhsa_user_sgpr_private_segment_size 0
		.amdhsa_uses_dynamic_stack 0
		.amdhsa_system_sgpr_private_segment_wavefront_offset 0
		.amdhsa_system_sgpr_workgroup_id_x 1
		.amdhsa_system_sgpr_workgroup_id_y 0
		.amdhsa_system_sgpr_workgroup_id_z 0
		.amdhsa_system_sgpr_workgroup_info 0
		.amdhsa_system_vgpr_workitem_id 0
		.amdhsa_next_free_vgpr 1
		.amdhsa_next_free_sgpr 0
		.amdhsa_accum_offset 4
		.amdhsa_reserve_vcc 0
		.amdhsa_reserve_flat_scratch 0
		.amdhsa_float_round_mode_32 0
		.amdhsa_float_round_mode_16_64 0
		.amdhsa_float_denorm_mode_32 3
		.amdhsa_float_denorm_mode_16_64 3
		.amdhsa_dx10_clamp 1
		.amdhsa_ieee_mode 1
		.amdhsa_fp16_overflow 0
		.amdhsa_tg_split 0
		.amdhsa_exception_fp_ieee_invalid_op 0
		.amdhsa_exception_fp_denorm_src 0
		.amdhsa_exception_fp_ieee_div_zero 0
		.amdhsa_exception_fp_ieee_overflow 0
		.amdhsa_exception_fp_ieee_underflow 0
		.amdhsa_exception_fp_ieee_inexact 0
		.amdhsa_exception_int_div_zero 0
	.end_amdhsa_kernel
	.section	.text._ZN7rocprim17ROCPRIM_400000_NS6detail17trampoline_kernelINS0_14default_configENS1_20scan_config_selectorItEEZZNS1_9scan_implILNS1_25lookback_scan_determinismE0ELb1ELb1ES3_N6thrust23THRUST_200600_302600_NS6detail15normal_iteratorINS9_10device_ptrItEEEENS9_16discard_iteratorINS9_11use_defaultEEEtNS9_4plusIvEEtEEDaPvRmT3_T4_T5_mT6_P12ihipStream_tbENKUlT_T0_E_clISt17integral_constantIbLb0EESW_IbLb1EEEEDaSS_ST_EUlSS_E_NS1_11comp_targetILNS1_3genE2ELNS1_11target_archE906ELNS1_3gpuE6ELNS1_3repE0EEENS1_30default_config_static_selectorELNS0_4arch9wavefront6targetE1EEEvT1_,"axG",@progbits,_ZN7rocprim17ROCPRIM_400000_NS6detail17trampoline_kernelINS0_14default_configENS1_20scan_config_selectorItEEZZNS1_9scan_implILNS1_25lookback_scan_determinismE0ELb1ELb1ES3_N6thrust23THRUST_200600_302600_NS6detail15normal_iteratorINS9_10device_ptrItEEEENS9_16discard_iteratorINS9_11use_defaultEEEtNS9_4plusIvEEtEEDaPvRmT3_T4_T5_mT6_P12ihipStream_tbENKUlT_T0_E_clISt17integral_constantIbLb0EESW_IbLb1EEEEDaSS_ST_EUlSS_E_NS1_11comp_targetILNS1_3genE2ELNS1_11target_archE906ELNS1_3gpuE6ELNS1_3repE0EEENS1_30default_config_static_selectorELNS0_4arch9wavefront6targetE1EEEvT1_,comdat
.Lfunc_end5568:
	.size	_ZN7rocprim17ROCPRIM_400000_NS6detail17trampoline_kernelINS0_14default_configENS1_20scan_config_selectorItEEZZNS1_9scan_implILNS1_25lookback_scan_determinismE0ELb1ELb1ES3_N6thrust23THRUST_200600_302600_NS6detail15normal_iteratorINS9_10device_ptrItEEEENS9_16discard_iteratorINS9_11use_defaultEEEtNS9_4plusIvEEtEEDaPvRmT3_T4_T5_mT6_P12ihipStream_tbENKUlT_T0_E_clISt17integral_constantIbLb0EESW_IbLb1EEEEDaSS_ST_EUlSS_E_NS1_11comp_targetILNS1_3genE2ELNS1_11target_archE906ELNS1_3gpuE6ELNS1_3repE0EEENS1_30default_config_static_selectorELNS0_4arch9wavefront6targetE1EEEvT1_, .Lfunc_end5568-_ZN7rocprim17ROCPRIM_400000_NS6detail17trampoline_kernelINS0_14default_configENS1_20scan_config_selectorItEEZZNS1_9scan_implILNS1_25lookback_scan_determinismE0ELb1ELb1ES3_N6thrust23THRUST_200600_302600_NS6detail15normal_iteratorINS9_10device_ptrItEEEENS9_16discard_iteratorINS9_11use_defaultEEEtNS9_4plusIvEEtEEDaPvRmT3_T4_T5_mT6_P12ihipStream_tbENKUlT_T0_E_clISt17integral_constantIbLb0EESW_IbLb1EEEEDaSS_ST_EUlSS_E_NS1_11comp_targetILNS1_3genE2ELNS1_11target_archE906ELNS1_3gpuE6ELNS1_3repE0EEENS1_30default_config_static_selectorELNS0_4arch9wavefront6targetE1EEEvT1_
                                        ; -- End function
	.section	.AMDGPU.csdata,"",@progbits
; Kernel info:
; codeLenInByte = 0
; NumSgprs: 4
; NumVgprs: 0
; NumAgprs: 0
; TotalNumVgprs: 0
; ScratchSize: 0
; MemoryBound: 0
; FloatMode: 240
; IeeeMode: 1
; LDSByteSize: 0 bytes/workgroup (compile time only)
; SGPRBlocks: 0
; VGPRBlocks: 0
; NumSGPRsForWavesPerEU: 4
; NumVGPRsForWavesPerEU: 1
; AccumOffset: 4
; Occupancy: 8
; WaveLimiterHint : 0
; COMPUTE_PGM_RSRC2:SCRATCH_EN: 0
; COMPUTE_PGM_RSRC2:USER_SGPR: 6
; COMPUTE_PGM_RSRC2:TRAP_HANDLER: 0
; COMPUTE_PGM_RSRC2:TGID_X_EN: 1
; COMPUTE_PGM_RSRC2:TGID_Y_EN: 0
; COMPUTE_PGM_RSRC2:TGID_Z_EN: 0
; COMPUTE_PGM_RSRC2:TIDIG_COMP_CNT: 0
; COMPUTE_PGM_RSRC3_GFX90A:ACCUM_OFFSET: 0
; COMPUTE_PGM_RSRC3_GFX90A:TG_SPLIT: 0
	.section	.text._ZN7rocprim17ROCPRIM_400000_NS6detail17trampoline_kernelINS0_14default_configENS1_20scan_config_selectorItEEZZNS1_9scan_implILNS1_25lookback_scan_determinismE0ELb1ELb1ES3_N6thrust23THRUST_200600_302600_NS6detail15normal_iteratorINS9_10device_ptrItEEEENS9_16discard_iteratorINS9_11use_defaultEEEtNS9_4plusIvEEtEEDaPvRmT3_T4_T5_mT6_P12ihipStream_tbENKUlT_T0_E_clISt17integral_constantIbLb0EESW_IbLb1EEEEDaSS_ST_EUlSS_E_NS1_11comp_targetILNS1_3genE10ELNS1_11target_archE1201ELNS1_3gpuE5ELNS1_3repE0EEENS1_30default_config_static_selectorELNS0_4arch9wavefront6targetE1EEEvT1_,"axG",@progbits,_ZN7rocprim17ROCPRIM_400000_NS6detail17trampoline_kernelINS0_14default_configENS1_20scan_config_selectorItEEZZNS1_9scan_implILNS1_25lookback_scan_determinismE0ELb1ELb1ES3_N6thrust23THRUST_200600_302600_NS6detail15normal_iteratorINS9_10device_ptrItEEEENS9_16discard_iteratorINS9_11use_defaultEEEtNS9_4plusIvEEtEEDaPvRmT3_T4_T5_mT6_P12ihipStream_tbENKUlT_T0_E_clISt17integral_constantIbLb0EESW_IbLb1EEEEDaSS_ST_EUlSS_E_NS1_11comp_targetILNS1_3genE10ELNS1_11target_archE1201ELNS1_3gpuE5ELNS1_3repE0EEENS1_30default_config_static_selectorELNS0_4arch9wavefront6targetE1EEEvT1_,comdat
	.protected	_ZN7rocprim17ROCPRIM_400000_NS6detail17trampoline_kernelINS0_14default_configENS1_20scan_config_selectorItEEZZNS1_9scan_implILNS1_25lookback_scan_determinismE0ELb1ELb1ES3_N6thrust23THRUST_200600_302600_NS6detail15normal_iteratorINS9_10device_ptrItEEEENS9_16discard_iteratorINS9_11use_defaultEEEtNS9_4plusIvEEtEEDaPvRmT3_T4_T5_mT6_P12ihipStream_tbENKUlT_T0_E_clISt17integral_constantIbLb0EESW_IbLb1EEEEDaSS_ST_EUlSS_E_NS1_11comp_targetILNS1_3genE10ELNS1_11target_archE1201ELNS1_3gpuE5ELNS1_3repE0EEENS1_30default_config_static_selectorELNS0_4arch9wavefront6targetE1EEEvT1_ ; -- Begin function _ZN7rocprim17ROCPRIM_400000_NS6detail17trampoline_kernelINS0_14default_configENS1_20scan_config_selectorItEEZZNS1_9scan_implILNS1_25lookback_scan_determinismE0ELb1ELb1ES3_N6thrust23THRUST_200600_302600_NS6detail15normal_iteratorINS9_10device_ptrItEEEENS9_16discard_iteratorINS9_11use_defaultEEEtNS9_4plusIvEEtEEDaPvRmT3_T4_T5_mT6_P12ihipStream_tbENKUlT_T0_E_clISt17integral_constantIbLb0EESW_IbLb1EEEEDaSS_ST_EUlSS_E_NS1_11comp_targetILNS1_3genE10ELNS1_11target_archE1201ELNS1_3gpuE5ELNS1_3repE0EEENS1_30default_config_static_selectorELNS0_4arch9wavefront6targetE1EEEvT1_
	.globl	_ZN7rocprim17ROCPRIM_400000_NS6detail17trampoline_kernelINS0_14default_configENS1_20scan_config_selectorItEEZZNS1_9scan_implILNS1_25lookback_scan_determinismE0ELb1ELb1ES3_N6thrust23THRUST_200600_302600_NS6detail15normal_iteratorINS9_10device_ptrItEEEENS9_16discard_iteratorINS9_11use_defaultEEEtNS9_4plusIvEEtEEDaPvRmT3_T4_T5_mT6_P12ihipStream_tbENKUlT_T0_E_clISt17integral_constantIbLb0EESW_IbLb1EEEEDaSS_ST_EUlSS_E_NS1_11comp_targetILNS1_3genE10ELNS1_11target_archE1201ELNS1_3gpuE5ELNS1_3repE0EEENS1_30default_config_static_selectorELNS0_4arch9wavefront6targetE1EEEvT1_
	.p2align	8
	.type	_ZN7rocprim17ROCPRIM_400000_NS6detail17trampoline_kernelINS0_14default_configENS1_20scan_config_selectorItEEZZNS1_9scan_implILNS1_25lookback_scan_determinismE0ELb1ELb1ES3_N6thrust23THRUST_200600_302600_NS6detail15normal_iteratorINS9_10device_ptrItEEEENS9_16discard_iteratorINS9_11use_defaultEEEtNS9_4plusIvEEtEEDaPvRmT3_T4_T5_mT6_P12ihipStream_tbENKUlT_T0_E_clISt17integral_constantIbLb0EESW_IbLb1EEEEDaSS_ST_EUlSS_E_NS1_11comp_targetILNS1_3genE10ELNS1_11target_archE1201ELNS1_3gpuE5ELNS1_3repE0EEENS1_30default_config_static_selectorELNS0_4arch9wavefront6targetE1EEEvT1_,@function
_ZN7rocprim17ROCPRIM_400000_NS6detail17trampoline_kernelINS0_14default_configENS1_20scan_config_selectorItEEZZNS1_9scan_implILNS1_25lookback_scan_determinismE0ELb1ELb1ES3_N6thrust23THRUST_200600_302600_NS6detail15normal_iteratorINS9_10device_ptrItEEEENS9_16discard_iteratorINS9_11use_defaultEEEtNS9_4plusIvEEtEEDaPvRmT3_T4_T5_mT6_P12ihipStream_tbENKUlT_T0_E_clISt17integral_constantIbLb0EESW_IbLb1EEEEDaSS_ST_EUlSS_E_NS1_11comp_targetILNS1_3genE10ELNS1_11target_archE1201ELNS1_3gpuE5ELNS1_3repE0EEENS1_30default_config_static_selectorELNS0_4arch9wavefront6targetE1EEEvT1_: ; @_ZN7rocprim17ROCPRIM_400000_NS6detail17trampoline_kernelINS0_14default_configENS1_20scan_config_selectorItEEZZNS1_9scan_implILNS1_25lookback_scan_determinismE0ELb1ELb1ES3_N6thrust23THRUST_200600_302600_NS6detail15normal_iteratorINS9_10device_ptrItEEEENS9_16discard_iteratorINS9_11use_defaultEEEtNS9_4plusIvEEtEEDaPvRmT3_T4_T5_mT6_P12ihipStream_tbENKUlT_T0_E_clISt17integral_constantIbLb0EESW_IbLb1EEEEDaSS_ST_EUlSS_E_NS1_11comp_targetILNS1_3genE10ELNS1_11target_archE1201ELNS1_3gpuE5ELNS1_3repE0EEENS1_30default_config_static_selectorELNS0_4arch9wavefront6targetE1EEEvT1_
; %bb.0:
	.section	.rodata,"a",@progbits
	.p2align	6, 0x0
	.amdhsa_kernel _ZN7rocprim17ROCPRIM_400000_NS6detail17trampoline_kernelINS0_14default_configENS1_20scan_config_selectorItEEZZNS1_9scan_implILNS1_25lookback_scan_determinismE0ELb1ELb1ES3_N6thrust23THRUST_200600_302600_NS6detail15normal_iteratorINS9_10device_ptrItEEEENS9_16discard_iteratorINS9_11use_defaultEEEtNS9_4plusIvEEtEEDaPvRmT3_T4_T5_mT6_P12ihipStream_tbENKUlT_T0_E_clISt17integral_constantIbLb0EESW_IbLb1EEEEDaSS_ST_EUlSS_E_NS1_11comp_targetILNS1_3genE10ELNS1_11target_archE1201ELNS1_3gpuE5ELNS1_3repE0EEENS1_30default_config_static_selectorELNS0_4arch9wavefront6targetE1EEEvT1_
		.amdhsa_group_segment_fixed_size 0
		.amdhsa_private_segment_fixed_size 0
		.amdhsa_kernarg_size 104
		.amdhsa_user_sgpr_count 6
		.amdhsa_user_sgpr_private_segment_buffer 1
		.amdhsa_user_sgpr_dispatch_ptr 0
		.amdhsa_user_sgpr_queue_ptr 0
		.amdhsa_user_sgpr_kernarg_segment_ptr 1
		.amdhsa_user_sgpr_dispatch_id 0
		.amdhsa_user_sgpr_flat_scratch_init 0
		.amdhsa_user_sgpr_kernarg_preload_length 0
		.amdhsa_user_sgpr_kernarg_preload_offset 0
		.amdhsa_user_sgpr_private_segment_size 0
		.amdhsa_uses_dynamic_stack 0
		.amdhsa_system_sgpr_private_segment_wavefront_offset 0
		.amdhsa_system_sgpr_workgroup_id_x 1
		.amdhsa_system_sgpr_workgroup_id_y 0
		.amdhsa_system_sgpr_workgroup_id_z 0
		.amdhsa_system_sgpr_workgroup_info 0
		.amdhsa_system_vgpr_workitem_id 0
		.amdhsa_next_free_vgpr 1
		.amdhsa_next_free_sgpr 0
		.amdhsa_accum_offset 4
		.amdhsa_reserve_vcc 0
		.amdhsa_reserve_flat_scratch 0
		.amdhsa_float_round_mode_32 0
		.amdhsa_float_round_mode_16_64 0
		.amdhsa_float_denorm_mode_32 3
		.amdhsa_float_denorm_mode_16_64 3
		.amdhsa_dx10_clamp 1
		.amdhsa_ieee_mode 1
		.amdhsa_fp16_overflow 0
		.amdhsa_tg_split 0
		.amdhsa_exception_fp_ieee_invalid_op 0
		.amdhsa_exception_fp_denorm_src 0
		.amdhsa_exception_fp_ieee_div_zero 0
		.amdhsa_exception_fp_ieee_overflow 0
		.amdhsa_exception_fp_ieee_underflow 0
		.amdhsa_exception_fp_ieee_inexact 0
		.amdhsa_exception_int_div_zero 0
	.end_amdhsa_kernel
	.section	.text._ZN7rocprim17ROCPRIM_400000_NS6detail17trampoline_kernelINS0_14default_configENS1_20scan_config_selectorItEEZZNS1_9scan_implILNS1_25lookback_scan_determinismE0ELb1ELb1ES3_N6thrust23THRUST_200600_302600_NS6detail15normal_iteratorINS9_10device_ptrItEEEENS9_16discard_iteratorINS9_11use_defaultEEEtNS9_4plusIvEEtEEDaPvRmT3_T4_T5_mT6_P12ihipStream_tbENKUlT_T0_E_clISt17integral_constantIbLb0EESW_IbLb1EEEEDaSS_ST_EUlSS_E_NS1_11comp_targetILNS1_3genE10ELNS1_11target_archE1201ELNS1_3gpuE5ELNS1_3repE0EEENS1_30default_config_static_selectorELNS0_4arch9wavefront6targetE1EEEvT1_,"axG",@progbits,_ZN7rocprim17ROCPRIM_400000_NS6detail17trampoline_kernelINS0_14default_configENS1_20scan_config_selectorItEEZZNS1_9scan_implILNS1_25lookback_scan_determinismE0ELb1ELb1ES3_N6thrust23THRUST_200600_302600_NS6detail15normal_iteratorINS9_10device_ptrItEEEENS9_16discard_iteratorINS9_11use_defaultEEEtNS9_4plusIvEEtEEDaPvRmT3_T4_T5_mT6_P12ihipStream_tbENKUlT_T0_E_clISt17integral_constantIbLb0EESW_IbLb1EEEEDaSS_ST_EUlSS_E_NS1_11comp_targetILNS1_3genE10ELNS1_11target_archE1201ELNS1_3gpuE5ELNS1_3repE0EEENS1_30default_config_static_selectorELNS0_4arch9wavefront6targetE1EEEvT1_,comdat
.Lfunc_end5569:
	.size	_ZN7rocprim17ROCPRIM_400000_NS6detail17trampoline_kernelINS0_14default_configENS1_20scan_config_selectorItEEZZNS1_9scan_implILNS1_25lookback_scan_determinismE0ELb1ELb1ES3_N6thrust23THRUST_200600_302600_NS6detail15normal_iteratorINS9_10device_ptrItEEEENS9_16discard_iteratorINS9_11use_defaultEEEtNS9_4plusIvEEtEEDaPvRmT3_T4_T5_mT6_P12ihipStream_tbENKUlT_T0_E_clISt17integral_constantIbLb0EESW_IbLb1EEEEDaSS_ST_EUlSS_E_NS1_11comp_targetILNS1_3genE10ELNS1_11target_archE1201ELNS1_3gpuE5ELNS1_3repE0EEENS1_30default_config_static_selectorELNS0_4arch9wavefront6targetE1EEEvT1_, .Lfunc_end5569-_ZN7rocprim17ROCPRIM_400000_NS6detail17trampoline_kernelINS0_14default_configENS1_20scan_config_selectorItEEZZNS1_9scan_implILNS1_25lookback_scan_determinismE0ELb1ELb1ES3_N6thrust23THRUST_200600_302600_NS6detail15normal_iteratorINS9_10device_ptrItEEEENS9_16discard_iteratorINS9_11use_defaultEEEtNS9_4plusIvEEtEEDaPvRmT3_T4_T5_mT6_P12ihipStream_tbENKUlT_T0_E_clISt17integral_constantIbLb0EESW_IbLb1EEEEDaSS_ST_EUlSS_E_NS1_11comp_targetILNS1_3genE10ELNS1_11target_archE1201ELNS1_3gpuE5ELNS1_3repE0EEENS1_30default_config_static_selectorELNS0_4arch9wavefront6targetE1EEEvT1_
                                        ; -- End function
	.section	.AMDGPU.csdata,"",@progbits
; Kernel info:
; codeLenInByte = 0
; NumSgprs: 4
; NumVgprs: 0
; NumAgprs: 0
; TotalNumVgprs: 0
; ScratchSize: 0
; MemoryBound: 0
; FloatMode: 240
; IeeeMode: 1
; LDSByteSize: 0 bytes/workgroup (compile time only)
; SGPRBlocks: 0
; VGPRBlocks: 0
; NumSGPRsForWavesPerEU: 4
; NumVGPRsForWavesPerEU: 1
; AccumOffset: 4
; Occupancy: 8
; WaveLimiterHint : 0
; COMPUTE_PGM_RSRC2:SCRATCH_EN: 0
; COMPUTE_PGM_RSRC2:USER_SGPR: 6
; COMPUTE_PGM_RSRC2:TRAP_HANDLER: 0
; COMPUTE_PGM_RSRC2:TGID_X_EN: 1
; COMPUTE_PGM_RSRC2:TGID_Y_EN: 0
; COMPUTE_PGM_RSRC2:TGID_Z_EN: 0
; COMPUTE_PGM_RSRC2:TIDIG_COMP_CNT: 0
; COMPUTE_PGM_RSRC3_GFX90A:ACCUM_OFFSET: 0
; COMPUTE_PGM_RSRC3_GFX90A:TG_SPLIT: 0
	.section	.text._ZN7rocprim17ROCPRIM_400000_NS6detail17trampoline_kernelINS0_14default_configENS1_20scan_config_selectorItEEZZNS1_9scan_implILNS1_25lookback_scan_determinismE0ELb1ELb1ES3_N6thrust23THRUST_200600_302600_NS6detail15normal_iteratorINS9_10device_ptrItEEEENS9_16discard_iteratorINS9_11use_defaultEEEtNS9_4plusIvEEtEEDaPvRmT3_T4_T5_mT6_P12ihipStream_tbENKUlT_T0_E_clISt17integral_constantIbLb0EESW_IbLb1EEEEDaSS_ST_EUlSS_E_NS1_11comp_targetILNS1_3genE10ELNS1_11target_archE1200ELNS1_3gpuE4ELNS1_3repE0EEENS1_30default_config_static_selectorELNS0_4arch9wavefront6targetE1EEEvT1_,"axG",@progbits,_ZN7rocprim17ROCPRIM_400000_NS6detail17trampoline_kernelINS0_14default_configENS1_20scan_config_selectorItEEZZNS1_9scan_implILNS1_25lookback_scan_determinismE0ELb1ELb1ES3_N6thrust23THRUST_200600_302600_NS6detail15normal_iteratorINS9_10device_ptrItEEEENS9_16discard_iteratorINS9_11use_defaultEEEtNS9_4plusIvEEtEEDaPvRmT3_T4_T5_mT6_P12ihipStream_tbENKUlT_T0_E_clISt17integral_constantIbLb0EESW_IbLb1EEEEDaSS_ST_EUlSS_E_NS1_11comp_targetILNS1_3genE10ELNS1_11target_archE1200ELNS1_3gpuE4ELNS1_3repE0EEENS1_30default_config_static_selectorELNS0_4arch9wavefront6targetE1EEEvT1_,comdat
	.protected	_ZN7rocprim17ROCPRIM_400000_NS6detail17trampoline_kernelINS0_14default_configENS1_20scan_config_selectorItEEZZNS1_9scan_implILNS1_25lookback_scan_determinismE0ELb1ELb1ES3_N6thrust23THRUST_200600_302600_NS6detail15normal_iteratorINS9_10device_ptrItEEEENS9_16discard_iteratorINS9_11use_defaultEEEtNS9_4plusIvEEtEEDaPvRmT3_T4_T5_mT6_P12ihipStream_tbENKUlT_T0_E_clISt17integral_constantIbLb0EESW_IbLb1EEEEDaSS_ST_EUlSS_E_NS1_11comp_targetILNS1_3genE10ELNS1_11target_archE1200ELNS1_3gpuE4ELNS1_3repE0EEENS1_30default_config_static_selectorELNS0_4arch9wavefront6targetE1EEEvT1_ ; -- Begin function _ZN7rocprim17ROCPRIM_400000_NS6detail17trampoline_kernelINS0_14default_configENS1_20scan_config_selectorItEEZZNS1_9scan_implILNS1_25lookback_scan_determinismE0ELb1ELb1ES3_N6thrust23THRUST_200600_302600_NS6detail15normal_iteratorINS9_10device_ptrItEEEENS9_16discard_iteratorINS9_11use_defaultEEEtNS9_4plusIvEEtEEDaPvRmT3_T4_T5_mT6_P12ihipStream_tbENKUlT_T0_E_clISt17integral_constantIbLb0EESW_IbLb1EEEEDaSS_ST_EUlSS_E_NS1_11comp_targetILNS1_3genE10ELNS1_11target_archE1200ELNS1_3gpuE4ELNS1_3repE0EEENS1_30default_config_static_selectorELNS0_4arch9wavefront6targetE1EEEvT1_
	.globl	_ZN7rocprim17ROCPRIM_400000_NS6detail17trampoline_kernelINS0_14default_configENS1_20scan_config_selectorItEEZZNS1_9scan_implILNS1_25lookback_scan_determinismE0ELb1ELb1ES3_N6thrust23THRUST_200600_302600_NS6detail15normal_iteratorINS9_10device_ptrItEEEENS9_16discard_iteratorINS9_11use_defaultEEEtNS9_4plusIvEEtEEDaPvRmT3_T4_T5_mT6_P12ihipStream_tbENKUlT_T0_E_clISt17integral_constantIbLb0EESW_IbLb1EEEEDaSS_ST_EUlSS_E_NS1_11comp_targetILNS1_3genE10ELNS1_11target_archE1200ELNS1_3gpuE4ELNS1_3repE0EEENS1_30default_config_static_selectorELNS0_4arch9wavefront6targetE1EEEvT1_
	.p2align	8
	.type	_ZN7rocprim17ROCPRIM_400000_NS6detail17trampoline_kernelINS0_14default_configENS1_20scan_config_selectorItEEZZNS1_9scan_implILNS1_25lookback_scan_determinismE0ELb1ELb1ES3_N6thrust23THRUST_200600_302600_NS6detail15normal_iteratorINS9_10device_ptrItEEEENS9_16discard_iteratorINS9_11use_defaultEEEtNS9_4plusIvEEtEEDaPvRmT3_T4_T5_mT6_P12ihipStream_tbENKUlT_T0_E_clISt17integral_constantIbLb0EESW_IbLb1EEEEDaSS_ST_EUlSS_E_NS1_11comp_targetILNS1_3genE10ELNS1_11target_archE1200ELNS1_3gpuE4ELNS1_3repE0EEENS1_30default_config_static_selectorELNS0_4arch9wavefront6targetE1EEEvT1_,@function
_ZN7rocprim17ROCPRIM_400000_NS6detail17trampoline_kernelINS0_14default_configENS1_20scan_config_selectorItEEZZNS1_9scan_implILNS1_25lookback_scan_determinismE0ELb1ELb1ES3_N6thrust23THRUST_200600_302600_NS6detail15normal_iteratorINS9_10device_ptrItEEEENS9_16discard_iteratorINS9_11use_defaultEEEtNS9_4plusIvEEtEEDaPvRmT3_T4_T5_mT6_P12ihipStream_tbENKUlT_T0_E_clISt17integral_constantIbLb0EESW_IbLb1EEEEDaSS_ST_EUlSS_E_NS1_11comp_targetILNS1_3genE10ELNS1_11target_archE1200ELNS1_3gpuE4ELNS1_3repE0EEENS1_30default_config_static_selectorELNS0_4arch9wavefront6targetE1EEEvT1_: ; @_ZN7rocprim17ROCPRIM_400000_NS6detail17trampoline_kernelINS0_14default_configENS1_20scan_config_selectorItEEZZNS1_9scan_implILNS1_25lookback_scan_determinismE0ELb1ELb1ES3_N6thrust23THRUST_200600_302600_NS6detail15normal_iteratorINS9_10device_ptrItEEEENS9_16discard_iteratorINS9_11use_defaultEEEtNS9_4plusIvEEtEEDaPvRmT3_T4_T5_mT6_P12ihipStream_tbENKUlT_T0_E_clISt17integral_constantIbLb0EESW_IbLb1EEEEDaSS_ST_EUlSS_E_NS1_11comp_targetILNS1_3genE10ELNS1_11target_archE1200ELNS1_3gpuE4ELNS1_3repE0EEENS1_30default_config_static_selectorELNS0_4arch9wavefront6targetE1EEEvT1_
; %bb.0:
	.section	.rodata,"a",@progbits
	.p2align	6, 0x0
	.amdhsa_kernel _ZN7rocprim17ROCPRIM_400000_NS6detail17trampoline_kernelINS0_14default_configENS1_20scan_config_selectorItEEZZNS1_9scan_implILNS1_25lookback_scan_determinismE0ELb1ELb1ES3_N6thrust23THRUST_200600_302600_NS6detail15normal_iteratorINS9_10device_ptrItEEEENS9_16discard_iteratorINS9_11use_defaultEEEtNS9_4plusIvEEtEEDaPvRmT3_T4_T5_mT6_P12ihipStream_tbENKUlT_T0_E_clISt17integral_constantIbLb0EESW_IbLb1EEEEDaSS_ST_EUlSS_E_NS1_11comp_targetILNS1_3genE10ELNS1_11target_archE1200ELNS1_3gpuE4ELNS1_3repE0EEENS1_30default_config_static_selectorELNS0_4arch9wavefront6targetE1EEEvT1_
		.amdhsa_group_segment_fixed_size 0
		.amdhsa_private_segment_fixed_size 0
		.amdhsa_kernarg_size 104
		.amdhsa_user_sgpr_count 6
		.amdhsa_user_sgpr_private_segment_buffer 1
		.amdhsa_user_sgpr_dispatch_ptr 0
		.amdhsa_user_sgpr_queue_ptr 0
		.amdhsa_user_sgpr_kernarg_segment_ptr 1
		.amdhsa_user_sgpr_dispatch_id 0
		.amdhsa_user_sgpr_flat_scratch_init 0
		.amdhsa_user_sgpr_kernarg_preload_length 0
		.amdhsa_user_sgpr_kernarg_preload_offset 0
		.amdhsa_user_sgpr_private_segment_size 0
		.amdhsa_uses_dynamic_stack 0
		.amdhsa_system_sgpr_private_segment_wavefront_offset 0
		.amdhsa_system_sgpr_workgroup_id_x 1
		.amdhsa_system_sgpr_workgroup_id_y 0
		.amdhsa_system_sgpr_workgroup_id_z 0
		.amdhsa_system_sgpr_workgroup_info 0
		.amdhsa_system_vgpr_workitem_id 0
		.amdhsa_next_free_vgpr 1
		.amdhsa_next_free_sgpr 0
		.amdhsa_accum_offset 4
		.amdhsa_reserve_vcc 0
		.amdhsa_reserve_flat_scratch 0
		.amdhsa_float_round_mode_32 0
		.amdhsa_float_round_mode_16_64 0
		.amdhsa_float_denorm_mode_32 3
		.amdhsa_float_denorm_mode_16_64 3
		.amdhsa_dx10_clamp 1
		.amdhsa_ieee_mode 1
		.amdhsa_fp16_overflow 0
		.amdhsa_tg_split 0
		.amdhsa_exception_fp_ieee_invalid_op 0
		.amdhsa_exception_fp_denorm_src 0
		.amdhsa_exception_fp_ieee_div_zero 0
		.amdhsa_exception_fp_ieee_overflow 0
		.amdhsa_exception_fp_ieee_underflow 0
		.amdhsa_exception_fp_ieee_inexact 0
		.amdhsa_exception_int_div_zero 0
	.end_amdhsa_kernel
	.section	.text._ZN7rocprim17ROCPRIM_400000_NS6detail17trampoline_kernelINS0_14default_configENS1_20scan_config_selectorItEEZZNS1_9scan_implILNS1_25lookback_scan_determinismE0ELb1ELb1ES3_N6thrust23THRUST_200600_302600_NS6detail15normal_iteratorINS9_10device_ptrItEEEENS9_16discard_iteratorINS9_11use_defaultEEEtNS9_4plusIvEEtEEDaPvRmT3_T4_T5_mT6_P12ihipStream_tbENKUlT_T0_E_clISt17integral_constantIbLb0EESW_IbLb1EEEEDaSS_ST_EUlSS_E_NS1_11comp_targetILNS1_3genE10ELNS1_11target_archE1200ELNS1_3gpuE4ELNS1_3repE0EEENS1_30default_config_static_selectorELNS0_4arch9wavefront6targetE1EEEvT1_,"axG",@progbits,_ZN7rocprim17ROCPRIM_400000_NS6detail17trampoline_kernelINS0_14default_configENS1_20scan_config_selectorItEEZZNS1_9scan_implILNS1_25lookback_scan_determinismE0ELb1ELb1ES3_N6thrust23THRUST_200600_302600_NS6detail15normal_iteratorINS9_10device_ptrItEEEENS9_16discard_iteratorINS9_11use_defaultEEEtNS9_4plusIvEEtEEDaPvRmT3_T4_T5_mT6_P12ihipStream_tbENKUlT_T0_E_clISt17integral_constantIbLb0EESW_IbLb1EEEEDaSS_ST_EUlSS_E_NS1_11comp_targetILNS1_3genE10ELNS1_11target_archE1200ELNS1_3gpuE4ELNS1_3repE0EEENS1_30default_config_static_selectorELNS0_4arch9wavefront6targetE1EEEvT1_,comdat
.Lfunc_end5570:
	.size	_ZN7rocprim17ROCPRIM_400000_NS6detail17trampoline_kernelINS0_14default_configENS1_20scan_config_selectorItEEZZNS1_9scan_implILNS1_25lookback_scan_determinismE0ELb1ELb1ES3_N6thrust23THRUST_200600_302600_NS6detail15normal_iteratorINS9_10device_ptrItEEEENS9_16discard_iteratorINS9_11use_defaultEEEtNS9_4plusIvEEtEEDaPvRmT3_T4_T5_mT6_P12ihipStream_tbENKUlT_T0_E_clISt17integral_constantIbLb0EESW_IbLb1EEEEDaSS_ST_EUlSS_E_NS1_11comp_targetILNS1_3genE10ELNS1_11target_archE1200ELNS1_3gpuE4ELNS1_3repE0EEENS1_30default_config_static_selectorELNS0_4arch9wavefront6targetE1EEEvT1_, .Lfunc_end5570-_ZN7rocprim17ROCPRIM_400000_NS6detail17trampoline_kernelINS0_14default_configENS1_20scan_config_selectorItEEZZNS1_9scan_implILNS1_25lookback_scan_determinismE0ELb1ELb1ES3_N6thrust23THRUST_200600_302600_NS6detail15normal_iteratorINS9_10device_ptrItEEEENS9_16discard_iteratorINS9_11use_defaultEEEtNS9_4plusIvEEtEEDaPvRmT3_T4_T5_mT6_P12ihipStream_tbENKUlT_T0_E_clISt17integral_constantIbLb0EESW_IbLb1EEEEDaSS_ST_EUlSS_E_NS1_11comp_targetILNS1_3genE10ELNS1_11target_archE1200ELNS1_3gpuE4ELNS1_3repE0EEENS1_30default_config_static_selectorELNS0_4arch9wavefront6targetE1EEEvT1_
                                        ; -- End function
	.section	.AMDGPU.csdata,"",@progbits
; Kernel info:
; codeLenInByte = 0
; NumSgprs: 4
; NumVgprs: 0
; NumAgprs: 0
; TotalNumVgprs: 0
; ScratchSize: 0
; MemoryBound: 0
; FloatMode: 240
; IeeeMode: 1
; LDSByteSize: 0 bytes/workgroup (compile time only)
; SGPRBlocks: 0
; VGPRBlocks: 0
; NumSGPRsForWavesPerEU: 4
; NumVGPRsForWavesPerEU: 1
; AccumOffset: 4
; Occupancy: 8
; WaveLimiterHint : 0
; COMPUTE_PGM_RSRC2:SCRATCH_EN: 0
; COMPUTE_PGM_RSRC2:USER_SGPR: 6
; COMPUTE_PGM_RSRC2:TRAP_HANDLER: 0
; COMPUTE_PGM_RSRC2:TGID_X_EN: 1
; COMPUTE_PGM_RSRC2:TGID_Y_EN: 0
; COMPUTE_PGM_RSRC2:TGID_Z_EN: 0
; COMPUTE_PGM_RSRC2:TIDIG_COMP_CNT: 0
; COMPUTE_PGM_RSRC3_GFX90A:ACCUM_OFFSET: 0
; COMPUTE_PGM_RSRC3_GFX90A:TG_SPLIT: 0
	.section	.text._ZN7rocprim17ROCPRIM_400000_NS6detail17trampoline_kernelINS0_14default_configENS1_20scan_config_selectorItEEZZNS1_9scan_implILNS1_25lookback_scan_determinismE0ELb1ELb1ES3_N6thrust23THRUST_200600_302600_NS6detail15normal_iteratorINS9_10device_ptrItEEEENS9_16discard_iteratorINS9_11use_defaultEEEtNS9_4plusIvEEtEEDaPvRmT3_T4_T5_mT6_P12ihipStream_tbENKUlT_T0_E_clISt17integral_constantIbLb0EESW_IbLb1EEEEDaSS_ST_EUlSS_E_NS1_11comp_targetILNS1_3genE9ELNS1_11target_archE1100ELNS1_3gpuE3ELNS1_3repE0EEENS1_30default_config_static_selectorELNS0_4arch9wavefront6targetE1EEEvT1_,"axG",@progbits,_ZN7rocprim17ROCPRIM_400000_NS6detail17trampoline_kernelINS0_14default_configENS1_20scan_config_selectorItEEZZNS1_9scan_implILNS1_25lookback_scan_determinismE0ELb1ELb1ES3_N6thrust23THRUST_200600_302600_NS6detail15normal_iteratorINS9_10device_ptrItEEEENS9_16discard_iteratorINS9_11use_defaultEEEtNS9_4plusIvEEtEEDaPvRmT3_T4_T5_mT6_P12ihipStream_tbENKUlT_T0_E_clISt17integral_constantIbLb0EESW_IbLb1EEEEDaSS_ST_EUlSS_E_NS1_11comp_targetILNS1_3genE9ELNS1_11target_archE1100ELNS1_3gpuE3ELNS1_3repE0EEENS1_30default_config_static_selectorELNS0_4arch9wavefront6targetE1EEEvT1_,comdat
	.protected	_ZN7rocprim17ROCPRIM_400000_NS6detail17trampoline_kernelINS0_14default_configENS1_20scan_config_selectorItEEZZNS1_9scan_implILNS1_25lookback_scan_determinismE0ELb1ELb1ES3_N6thrust23THRUST_200600_302600_NS6detail15normal_iteratorINS9_10device_ptrItEEEENS9_16discard_iteratorINS9_11use_defaultEEEtNS9_4plusIvEEtEEDaPvRmT3_T4_T5_mT6_P12ihipStream_tbENKUlT_T0_E_clISt17integral_constantIbLb0EESW_IbLb1EEEEDaSS_ST_EUlSS_E_NS1_11comp_targetILNS1_3genE9ELNS1_11target_archE1100ELNS1_3gpuE3ELNS1_3repE0EEENS1_30default_config_static_selectorELNS0_4arch9wavefront6targetE1EEEvT1_ ; -- Begin function _ZN7rocprim17ROCPRIM_400000_NS6detail17trampoline_kernelINS0_14default_configENS1_20scan_config_selectorItEEZZNS1_9scan_implILNS1_25lookback_scan_determinismE0ELb1ELb1ES3_N6thrust23THRUST_200600_302600_NS6detail15normal_iteratorINS9_10device_ptrItEEEENS9_16discard_iteratorINS9_11use_defaultEEEtNS9_4plusIvEEtEEDaPvRmT3_T4_T5_mT6_P12ihipStream_tbENKUlT_T0_E_clISt17integral_constantIbLb0EESW_IbLb1EEEEDaSS_ST_EUlSS_E_NS1_11comp_targetILNS1_3genE9ELNS1_11target_archE1100ELNS1_3gpuE3ELNS1_3repE0EEENS1_30default_config_static_selectorELNS0_4arch9wavefront6targetE1EEEvT1_
	.globl	_ZN7rocprim17ROCPRIM_400000_NS6detail17trampoline_kernelINS0_14default_configENS1_20scan_config_selectorItEEZZNS1_9scan_implILNS1_25lookback_scan_determinismE0ELb1ELb1ES3_N6thrust23THRUST_200600_302600_NS6detail15normal_iteratorINS9_10device_ptrItEEEENS9_16discard_iteratorINS9_11use_defaultEEEtNS9_4plusIvEEtEEDaPvRmT3_T4_T5_mT6_P12ihipStream_tbENKUlT_T0_E_clISt17integral_constantIbLb0EESW_IbLb1EEEEDaSS_ST_EUlSS_E_NS1_11comp_targetILNS1_3genE9ELNS1_11target_archE1100ELNS1_3gpuE3ELNS1_3repE0EEENS1_30default_config_static_selectorELNS0_4arch9wavefront6targetE1EEEvT1_
	.p2align	8
	.type	_ZN7rocprim17ROCPRIM_400000_NS6detail17trampoline_kernelINS0_14default_configENS1_20scan_config_selectorItEEZZNS1_9scan_implILNS1_25lookback_scan_determinismE0ELb1ELb1ES3_N6thrust23THRUST_200600_302600_NS6detail15normal_iteratorINS9_10device_ptrItEEEENS9_16discard_iteratorINS9_11use_defaultEEEtNS9_4plusIvEEtEEDaPvRmT3_T4_T5_mT6_P12ihipStream_tbENKUlT_T0_E_clISt17integral_constantIbLb0EESW_IbLb1EEEEDaSS_ST_EUlSS_E_NS1_11comp_targetILNS1_3genE9ELNS1_11target_archE1100ELNS1_3gpuE3ELNS1_3repE0EEENS1_30default_config_static_selectorELNS0_4arch9wavefront6targetE1EEEvT1_,@function
_ZN7rocprim17ROCPRIM_400000_NS6detail17trampoline_kernelINS0_14default_configENS1_20scan_config_selectorItEEZZNS1_9scan_implILNS1_25lookback_scan_determinismE0ELb1ELb1ES3_N6thrust23THRUST_200600_302600_NS6detail15normal_iteratorINS9_10device_ptrItEEEENS9_16discard_iteratorINS9_11use_defaultEEEtNS9_4plusIvEEtEEDaPvRmT3_T4_T5_mT6_P12ihipStream_tbENKUlT_T0_E_clISt17integral_constantIbLb0EESW_IbLb1EEEEDaSS_ST_EUlSS_E_NS1_11comp_targetILNS1_3genE9ELNS1_11target_archE1100ELNS1_3gpuE3ELNS1_3repE0EEENS1_30default_config_static_selectorELNS0_4arch9wavefront6targetE1EEEvT1_: ; @_ZN7rocprim17ROCPRIM_400000_NS6detail17trampoline_kernelINS0_14default_configENS1_20scan_config_selectorItEEZZNS1_9scan_implILNS1_25lookback_scan_determinismE0ELb1ELb1ES3_N6thrust23THRUST_200600_302600_NS6detail15normal_iteratorINS9_10device_ptrItEEEENS9_16discard_iteratorINS9_11use_defaultEEEtNS9_4plusIvEEtEEDaPvRmT3_T4_T5_mT6_P12ihipStream_tbENKUlT_T0_E_clISt17integral_constantIbLb0EESW_IbLb1EEEEDaSS_ST_EUlSS_E_NS1_11comp_targetILNS1_3genE9ELNS1_11target_archE1100ELNS1_3gpuE3ELNS1_3repE0EEENS1_30default_config_static_selectorELNS0_4arch9wavefront6targetE1EEEvT1_
; %bb.0:
	.section	.rodata,"a",@progbits
	.p2align	6, 0x0
	.amdhsa_kernel _ZN7rocprim17ROCPRIM_400000_NS6detail17trampoline_kernelINS0_14default_configENS1_20scan_config_selectorItEEZZNS1_9scan_implILNS1_25lookback_scan_determinismE0ELb1ELb1ES3_N6thrust23THRUST_200600_302600_NS6detail15normal_iteratorINS9_10device_ptrItEEEENS9_16discard_iteratorINS9_11use_defaultEEEtNS9_4plusIvEEtEEDaPvRmT3_T4_T5_mT6_P12ihipStream_tbENKUlT_T0_E_clISt17integral_constantIbLb0EESW_IbLb1EEEEDaSS_ST_EUlSS_E_NS1_11comp_targetILNS1_3genE9ELNS1_11target_archE1100ELNS1_3gpuE3ELNS1_3repE0EEENS1_30default_config_static_selectorELNS0_4arch9wavefront6targetE1EEEvT1_
		.amdhsa_group_segment_fixed_size 0
		.amdhsa_private_segment_fixed_size 0
		.amdhsa_kernarg_size 104
		.amdhsa_user_sgpr_count 6
		.amdhsa_user_sgpr_private_segment_buffer 1
		.amdhsa_user_sgpr_dispatch_ptr 0
		.amdhsa_user_sgpr_queue_ptr 0
		.amdhsa_user_sgpr_kernarg_segment_ptr 1
		.amdhsa_user_sgpr_dispatch_id 0
		.amdhsa_user_sgpr_flat_scratch_init 0
		.amdhsa_user_sgpr_kernarg_preload_length 0
		.amdhsa_user_sgpr_kernarg_preload_offset 0
		.amdhsa_user_sgpr_private_segment_size 0
		.amdhsa_uses_dynamic_stack 0
		.amdhsa_system_sgpr_private_segment_wavefront_offset 0
		.amdhsa_system_sgpr_workgroup_id_x 1
		.amdhsa_system_sgpr_workgroup_id_y 0
		.amdhsa_system_sgpr_workgroup_id_z 0
		.amdhsa_system_sgpr_workgroup_info 0
		.amdhsa_system_vgpr_workitem_id 0
		.amdhsa_next_free_vgpr 1
		.amdhsa_next_free_sgpr 0
		.amdhsa_accum_offset 4
		.amdhsa_reserve_vcc 0
		.amdhsa_reserve_flat_scratch 0
		.amdhsa_float_round_mode_32 0
		.amdhsa_float_round_mode_16_64 0
		.amdhsa_float_denorm_mode_32 3
		.amdhsa_float_denorm_mode_16_64 3
		.amdhsa_dx10_clamp 1
		.amdhsa_ieee_mode 1
		.amdhsa_fp16_overflow 0
		.amdhsa_tg_split 0
		.amdhsa_exception_fp_ieee_invalid_op 0
		.amdhsa_exception_fp_denorm_src 0
		.amdhsa_exception_fp_ieee_div_zero 0
		.amdhsa_exception_fp_ieee_overflow 0
		.amdhsa_exception_fp_ieee_underflow 0
		.amdhsa_exception_fp_ieee_inexact 0
		.amdhsa_exception_int_div_zero 0
	.end_amdhsa_kernel
	.section	.text._ZN7rocprim17ROCPRIM_400000_NS6detail17trampoline_kernelINS0_14default_configENS1_20scan_config_selectorItEEZZNS1_9scan_implILNS1_25lookback_scan_determinismE0ELb1ELb1ES3_N6thrust23THRUST_200600_302600_NS6detail15normal_iteratorINS9_10device_ptrItEEEENS9_16discard_iteratorINS9_11use_defaultEEEtNS9_4plusIvEEtEEDaPvRmT3_T4_T5_mT6_P12ihipStream_tbENKUlT_T0_E_clISt17integral_constantIbLb0EESW_IbLb1EEEEDaSS_ST_EUlSS_E_NS1_11comp_targetILNS1_3genE9ELNS1_11target_archE1100ELNS1_3gpuE3ELNS1_3repE0EEENS1_30default_config_static_selectorELNS0_4arch9wavefront6targetE1EEEvT1_,"axG",@progbits,_ZN7rocprim17ROCPRIM_400000_NS6detail17trampoline_kernelINS0_14default_configENS1_20scan_config_selectorItEEZZNS1_9scan_implILNS1_25lookback_scan_determinismE0ELb1ELb1ES3_N6thrust23THRUST_200600_302600_NS6detail15normal_iteratorINS9_10device_ptrItEEEENS9_16discard_iteratorINS9_11use_defaultEEEtNS9_4plusIvEEtEEDaPvRmT3_T4_T5_mT6_P12ihipStream_tbENKUlT_T0_E_clISt17integral_constantIbLb0EESW_IbLb1EEEEDaSS_ST_EUlSS_E_NS1_11comp_targetILNS1_3genE9ELNS1_11target_archE1100ELNS1_3gpuE3ELNS1_3repE0EEENS1_30default_config_static_selectorELNS0_4arch9wavefront6targetE1EEEvT1_,comdat
.Lfunc_end5571:
	.size	_ZN7rocprim17ROCPRIM_400000_NS6detail17trampoline_kernelINS0_14default_configENS1_20scan_config_selectorItEEZZNS1_9scan_implILNS1_25lookback_scan_determinismE0ELb1ELb1ES3_N6thrust23THRUST_200600_302600_NS6detail15normal_iteratorINS9_10device_ptrItEEEENS9_16discard_iteratorINS9_11use_defaultEEEtNS9_4plusIvEEtEEDaPvRmT3_T4_T5_mT6_P12ihipStream_tbENKUlT_T0_E_clISt17integral_constantIbLb0EESW_IbLb1EEEEDaSS_ST_EUlSS_E_NS1_11comp_targetILNS1_3genE9ELNS1_11target_archE1100ELNS1_3gpuE3ELNS1_3repE0EEENS1_30default_config_static_selectorELNS0_4arch9wavefront6targetE1EEEvT1_, .Lfunc_end5571-_ZN7rocprim17ROCPRIM_400000_NS6detail17trampoline_kernelINS0_14default_configENS1_20scan_config_selectorItEEZZNS1_9scan_implILNS1_25lookback_scan_determinismE0ELb1ELb1ES3_N6thrust23THRUST_200600_302600_NS6detail15normal_iteratorINS9_10device_ptrItEEEENS9_16discard_iteratorINS9_11use_defaultEEEtNS9_4plusIvEEtEEDaPvRmT3_T4_T5_mT6_P12ihipStream_tbENKUlT_T0_E_clISt17integral_constantIbLb0EESW_IbLb1EEEEDaSS_ST_EUlSS_E_NS1_11comp_targetILNS1_3genE9ELNS1_11target_archE1100ELNS1_3gpuE3ELNS1_3repE0EEENS1_30default_config_static_selectorELNS0_4arch9wavefront6targetE1EEEvT1_
                                        ; -- End function
	.section	.AMDGPU.csdata,"",@progbits
; Kernel info:
; codeLenInByte = 0
; NumSgprs: 4
; NumVgprs: 0
; NumAgprs: 0
; TotalNumVgprs: 0
; ScratchSize: 0
; MemoryBound: 0
; FloatMode: 240
; IeeeMode: 1
; LDSByteSize: 0 bytes/workgroup (compile time only)
; SGPRBlocks: 0
; VGPRBlocks: 0
; NumSGPRsForWavesPerEU: 4
; NumVGPRsForWavesPerEU: 1
; AccumOffset: 4
; Occupancy: 8
; WaveLimiterHint : 0
; COMPUTE_PGM_RSRC2:SCRATCH_EN: 0
; COMPUTE_PGM_RSRC2:USER_SGPR: 6
; COMPUTE_PGM_RSRC2:TRAP_HANDLER: 0
; COMPUTE_PGM_RSRC2:TGID_X_EN: 1
; COMPUTE_PGM_RSRC2:TGID_Y_EN: 0
; COMPUTE_PGM_RSRC2:TGID_Z_EN: 0
; COMPUTE_PGM_RSRC2:TIDIG_COMP_CNT: 0
; COMPUTE_PGM_RSRC3_GFX90A:ACCUM_OFFSET: 0
; COMPUTE_PGM_RSRC3_GFX90A:TG_SPLIT: 0
	.section	.text._ZN7rocprim17ROCPRIM_400000_NS6detail17trampoline_kernelINS0_14default_configENS1_20scan_config_selectorItEEZZNS1_9scan_implILNS1_25lookback_scan_determinismE0ELb1ELb1ES3_N6thrust23THRUST_200600_302600_NS6detail15normal_iteratorINS9_10device_ptrItEEEENS9_16discard_iteratorINS9_11use_defaultEEEtNS9_4plusIvEEtEEDaPvRmT3_T4_T5_mT6_P12ihipStream_tbENKUlT_T0_E_clISt17integral_constantIbLb0EESW_IbLb1EEEEDaSS_ST_EUlSS_E_NS1_11comp_targetILNS1_3genE8ELNS1_11target_archE1030ELNS1_3gpuE2ELNS1_3repE0EEENS1_30default_config_static_selectorELNS0_4arch9wavefront6targetE1EEEvT1_,"axG",@progbits,_ZN7rocprim17ROCPRIM_400000_NS6detail17trampoline_kernelINS0_14default_configENS1_20scan_config_selectorItEEZZNS1_9scan_implILNS1_25lookback_scan_determinismE0ELb1ELb1ES3_N6thrust23THRUST_200600_302600_NS6detail15normal_iteratorINS9_10device_ptrItEEEENS9_16discard_iteratorINS9_11use_defaultEEEtNS9_4plusIvEEtEEDaPvRmT3_T4_T5_mT6_P12ihipStream_tbENKUlT_T0_E_clISt17integral_constantIbLb0EESW_IbLb1EEEEDaSS_ST_EUlSS_E_NS1_11comp_targetILNS1_3genE8ELNS1_11target_archE1030ELNS1_3gpuE2ELNS1_3repE0EEENS1_30default_config_static_selectorELNS0_4arch9wavefront6targetE1EEEvT1_,comdat
	.protected	_ZN7rocprim17ROCPRIM_400000_NS6detail17trampoline_kernelINS0_14default_configENS1_20scan_config_selectorItEEZZNS1_9scan_implILNS1_25lookback_scan_determinismE0ELb1ELb1ES3_N6thrust23THRUST_200600_302600_NS6detail15normal_iteratorINS9_10device_ptrItEEEENS9_16discard_iteratorINS9_11use_defaultEEEtNS9_4plusIvEEtEEDaPvRmT3_T4_T5_mT6_P12ihipStream_tbENKUlT_T0_E_clISt17integral_constantIbLb0EESW_IbLb1EEEEDaSS_ST_EUlSS_E_NS1_11comp_targetILNS1_3genE8ELNS1_11target_archE1030ELNS1_3gpuE2ELNS1_3repE0EEENS1_30default_config_static_selectorELNS0_4arch9wavefront6targetE1EEEvT1_ ; -- Begin function _ZN7rocprim17ROCPRIM_400000_NS6detail17trampoline_kernelINS0_14default_configENS1_20scan_config_selectorItEEZZNS1_9scan_implILNS1_25lookback_scan_determinismE0ELb1ELb1ES3_N6thrust23THRUST_200600_302600_NS6detail15normal_iteratorINS9_10device_ptrItEEEENS9_16discard_iteratorINS9_11use_defaultEEEtNS9_4plusIvEEtEEDaPvRmT3_T4_T5_mT6_P12ihipStream_tbENKUlT_T0_E_clISt17integral_constantIbLb0EESW_IbLb1EEEEDaSS_ST_EUlSS_E_NS1_11comp_targetILNS1_3genE8ELNS1_11target_archE1030ELNS1_3gpuE2ELNS1_3repE0EEENS1_30default_config_static_selectorELNS0_4arch9wavefront6targetE1EEEvT1_
	.globl	_ZN7rocprim17ROCPRIM_400000_NS6detail17trampoline_kernelINS0_14default_configENS1_20scan_config_selectorItEEZZNS1_9scan_implILNS1_25lookback_scan_determinismE0ELb1ELb1ES3_N6thrust23THRUST_200600_302600_NS6detail15normal_iteratorINS9_10device_ptrItEEEENS9_16discard_iteratorINS9_11use_defaultEEEtNS9_4plusIvEEtEEDaPvRmT3_T4_T5_mT6_P12ihipStream_tbENKUlT_T0_E_clISt17integral_constantIbLb0EESW_IbLb1EEEEDaSS_ST_EUlSS_E_NS1_11comp_targetILNS1_3genE8ELNS1_11target_archE1030ELNS1_3gpuE2ELNS1_3repE0EEENS1_30default_config_static_selectorELNS0_4arch9wavefront6targetE1EEEvT1_
	.p2align	8
	.type	_ZN7rocprim17ROCPRIM_400000_NS6detail17trampoline_kernelINS0_14default_configENS1_20scan_config_selectorItEEZZNS1_9scan_implILNS1_25lookback_scan_determinismE0ELb1ELb1ES3_N6thrust23THRUST_200600_302600_NS6detail15normal_iteratorINS9_10device_ptrItEEEENS9_16discard_iteratorINS9_11use_defaultEEEtNS9_4plusIvEEtEEDaPvRmT3_T4_T5_mT6_P12ihipStream_tbENKUlT_T0_E_clISt17integral_constantIbLb0EESW_IbLb1EEEEDaSS_ST_EUlSS_E_NS1_11comp_targetILNS1_3genE8ELNS1_11target_archE1030ELNS1_3gpuE2ELNS1_3repE0EEENS1_30default_config_static_selectorELNS0_4arch9wavefront6targetE1EEEvT1_,@function
_ZN7rocprim17ROCPRIM_400000_NS6detail17trampoline_kernelINS0_14default_configENS1_20scan_config_selectorItEEZZNS1_9scan_implILNS1_25lookback_scan_determinismE0ELb1ELb1ES3_N6thrust23THRUST_200600_302600_NS6detail15normal_iteratorINS9_10device_ptrItEEEENS9_16discard_iteratorINS9_11use_defaultEEEtNS9_4plusIvEEtEEDaPvRmT3_T4_T5_mT6_P12ihipStream_tbENKUlT_T0_E_clISt17integral_constantIbLb0EESW_IbLb1EEEEDaSS_ST_EUlSS_E_NS1_11comp_targetILNS1_3genE8ELNS1_11target_archE1030ELNS1_3gpuE2ELNS1_3repE0EEENS1_30default_config_static_selectorELNS0_4arch9wavefront6targetE1EEEvT1_: ; @_ZN7rocprim17ROCPRIM_400000_NS6detail17trampoline_kernelINS0_14default_configENS1_20scan_config_selectorItEEZZNS1_9scan_implILNS1_25lookback_scan_determinismE0ELb1ELb1ES3_N6thrust23THRUST_200600_302600_NS6detail15normal_iteratorINS9_10device_ptrItEEEENS9_16discard_iteratorINS9_11use_defaultEEEtNS9_4plusIvEEtEEDaPvRmT3_T4_T5_mT6_P12ihipStream_tbENKUlT_T0_E_clISt17integral_constantIbLb0EESW_IbLb1EEEEDaSS_ST_EUlSS_E_NS1_11comp_targetILNS1_3genE8ELNS1_11target_archE1030ELNS1_3gpuE2ELNS1_3repE0EEENS1_30default_config_static_selectorELNS0_4arch9wavefront6targetE1EEEvT1_
; %bb.0:
	.section	.rodata,"a",@progbits
	.p2align	6, 0x0
	.amdhsa_kernel _ZN7rocprim17ROCPRIM_400000_NS6detail17trampoline_kernelINS0_14default_configENS1_20scan_config_selectorItEEZZNS1_9scan_implILNS1_25lookback_scan_determinismE0ELb1ELb1ES3_N6thrust23THRUST_200600_302600_NS6detail15normal_iteratorINS9_10device_ptrItEEEENS9_16discard_iteratorINS9_11use_defaultEEEtNS9_4plusIvEEtEEDaPvRmT3_T4_T5_mT6_P12ihipStream_tbENKUlT_T0_E_clISt17integral_constantIbLb0EESW_IbLb1EEEEDaSS_ST_EUlSS_E_NS1_11comp_targetILNS1_3genE8ELNS1_11target_archE1030ELNS1_3gpuE2ELNS1_3repE0EEENS1_30default_config_static_selectorELNS0_4arch9wavefront6targetE1EEEvT1_
		.amdhsa_group_segment_fixed_size 0
		.amdhsa_private_segment_fixed_size 0
		.amdhsa_kernarg_size 104
		.amdhsa_user_sgpr_count 6
		.amdhsa_user_sgpr_private_segment_buffer 1
		.amdhsa_user_sgpr_dispatch_ptr 0
		.amdhsa_user_sgpr_queue_ptr 0
		.amdhsa_user_sgpr_kernarg_segment_ptr 1
		.amdhsa_user_sgpr_dispatch_id 0
		.amdhsa_user_sgpr_flat_scratch_init 0
		.amdhsa_user_sgpr_kernarg_preload_length 0
		.amdhsa_user_sgpr_kernarg_preload_offset 0
		.amdhsa_user_sgpr_private_segment_size 0
		.amdhsa_uses_dynamic_stack 0
		.amdhsa_system_sgpr_private_segment_wavefront_offset 0
		.amdhsa_system_sgpr_workgroup_id_x 1
		.amdhsa_system_sgpr_workgroup_id_y 0
		.amdhsa_system_sgpr_workgroup_id_z 0
		.amdhsa_system_sgpr_workgroup_info 0
		.amdhsa_system_vgpr_workitem_id 0
		.amdhsa_next_free_vgpr 1
		.amdhsa_next_free_sgpr 0
		.amdhsa_accum_offset 4
		.amdhsa_reserve_vcc 0
		.amdhsa_reserve_flat_scratch 0
		.amdhsa_float_round_mode_32 0
		.amdhsa_float_round_mode_16_64 0
		.amdhsa_float_denorm_mode_32 3
		.amdhsa_float_denorm_mode_16_64 3
		.amdhsa_dx10_clamp 1
		.amdhsa_ieee_mode 1
		.amdhsa_fp16_overflow 0
		.amdhsa_tg_split 0
		.amdhsa_exception_fp_ieee_invalid_op 0
		.amdhsa_exception_fp_denorm_src 0
		.amdhsa_exception_fp_ieee_div_zero 0
		.amdhsa_exception_fp_ieee_overflow 0
		.amdhsa_exception_fp_ieee_underflow 0
		.amdhsa_exception_fp_ieee_inexact 0
		.amdhsa_exception_int_div_zero 0
	.end_amdhsa_kernel
	.section	.text._ZN7rocprim17ROCPRIM_400000_NS6detail17trampoline_kernelINS0_14default_configENS1_20scan_config_selectorItEEZZNS1_9scan_implILNS1_25lookback_scan_determinismE0ELb1ELb1ES3_N6thrust23THRUST_200600_302600_NS6detail15normal_iteratorINS9_10device_ptrItEEEENS9_16discard_iteratorINS9_11use_defaultEEEtNS9_4plusIvEEtEEDaPvRmT3_T4_T5_mT6_P12ihipStream_tbENKUlT_T0_E_clISt17integral_constantIbLb0EESW_IbLb1EEEEDaSS_ST_EUlSS_E_NS1_11comp_targetILNS1_3genE8ELNS1_11target_archE1030ELNS1_3gpuE2ELNS1_3repE0EEENS1_30default_config_static_selectorELNS0_4arch9wavefront6targetE1EEEvT1_,"axG",@progbits,_ZN7rocprim17ROCPRIM_400000_NS6detail17trampoline_kernelINS0_14default_configENS1_20scan_config_selectorItEEZZNS1_9scan_implILNS1_25lookback_scan_determinismE0ELb1ELb1ES3_N6thrust23THRUST_200600_302600_NS6detail15normal_iteratorINS9_10device_ptrItEEEENS9_16discard_iteratorINS9_11use_defaultEEEtNS9_4plusIvEEtEEDaPvRmT3_T4_T5_mT6_P12ihipStream_tbENKUlT_T0_E_clISt17integral_constantIbLb0EESW_IbLb1EEEEDaSS_ST_EUlSS_E_NS1_11comp_targetILNS1_3genE8ELNS1_11target_archE1030ELNS1_3gpuE2ELNS1_3repE0EEENS1_30default_config_static_selectorELNS0_4arch9wavefront6targetE1EEEvT1_,comdat
.Lfunc_end5572:
	.size	_ZN7rocprim17ROCPRIM_400000_NS6detail17trampoline_kernelINS0_14default_configENS1_20scan_config_selectorItEEZZNS1_9scan_implILNS1_25lookback_scan_determinismE0ELb1ELb1ES3_N6thrust23THRUST_200600_302600_NS6detail15normal_iteratorINS9_10device_ptrItEEEENS9_16discard_iteratorINS9_11use_defaultEEEtNS9_4plusIvEEtEEDaPvRmT3_T4_T5_mT6_P12ihipStream_tbENKUlT_T0_E_clISt17integral_constantIbLb0EESW_IbLb1EEEEDaSS_ST_EUlSS_E_NS1_11comp_targetILNS1_3genE8ELNS1_11target_archE1030ELNS1_3gpuE2ELNS1_3repE0EEENS1_30default_config_static_selectorELNS0_4arch9wavefront6targetE1EEEvT1_, .Lfunc_end5572-_ZN7rocprim17ROCPRIM_400000_NS6detail17trampoline_kernelINS0_14default_configENS1_20scan_config_selectorItEEZZNS1_9scan_implILNS1_25lookback_scan_determinismE0ELb1ELb1ES3_N6thrust23THRUST_200600_302600_NS6detail15normal_iteratorINS9_10device_ptrItEEEENS9_16discard_iteratorINS9_11use_defaultEEEtNS9_4plusIvEEtEEDaPvRmT3_T4_T5_mT6_P12ihipStream_tbENKUlT_T0_E_clISt17integral_constantIbLb0EESW_IbLb1EEEEDaSS_ST_EUlSS_E_NS1_11comp_targetILNS1_3genE8ELNS1_11target_archE1030ELNS1_3gpuE2ELNS1_3repE0EEENS1_30default_config_static_selectorELNS0_4arch9wavefront6targetE1EEEvT1_
                                        ; -- End function
	.section	.AMDGPU.csdata,"",@progbits
; Kernel info:
; codeLenInByte = 0
; NumSgprs: 4
; NumVgprs: 0
; NumAgprs: 0
; TotalNumVgprs: 0
; ScratchSize: 0
; MemoryBound: 0
; FloatMode: 240
; IeeeMode: 1
; LDSByteSize: 0 bytes/workgroup (compile time only)
; SGPRBlocks: 0
; VGPRBlocks: 0
; NumSGPRsForWavesPerEU: 4
; NumVGPRsForWavesPerEU: 1
; AccumOffset: 4
; Occupancy: 8
; WaveLimiterHint : 0
; COMPUTE_PGM_RSRC2:SCRATCH_EN: 0
; COMPUTE_PGM_RSRC2:USER_SGPR: 6
; COMPUTE_PGM_RSRC2:TRAP_HANDLER: 0
; COMPUTE_PGM_RSRC2:TGID_X_EN: 1
; COMPUTE_PGM_RSRC2:TGID_Y_EN: 0
; COMPUTE_PGM_RSRC2:TGID_Z_EN: 0
; COMPUTE_PGM_RSRC2:TIDIG_COMP_CNT: 0
; COMPUTE_PGM_RSRC3_GFX90A:ACCUM_OFFSET: 0
; COMPUTE_PGM_RSRC3_GFX90A:TG_SPLIT: 0
	.section	.text._ZN7rocprim17ROCPRIM_400000_NS6detail17trampoline_kernelINS0_14default_configENS1_20scan_config_selectorItEEZZNS1_9scan_implILNS1_25lookback_scan_determinismE0ELb1ELb1ES3_N6thrust23THRUST_200600_302600_NS6detail15normal_iteratorINS9_10device_ptrItEEEENS9_16discard_iteratorINS9_11use_defaultEEEtNS9_4plusIvEEtEEDaPvRmT3_T4_T5_mT6_P12ihipStream_tbENKUlT_T0_E_clISt17integral_constantIbLb0EESW_IbLb1EEEEDaSS_ST_EUlSS_E0_NS1_11comp_targetILNS1_3genE0ELNS1_11target_archE4294967295ELNS1_3gpuE0ELNS1_3repE0EEENS1_30default_config_static_selectorELNS0_4arch9wavefront6targetE1EEEvT1_,"axG",@progbits,_ZN7rocprim17ROCPRIM_400000_NS6detail17trampoline_kernelINS0_14default_configENS1_20scan_config_selectorItEEZZNS1_9scan_implILNS1_25lookback_scan_determinismE0ELb1ELb1ES3_N6thrust23THRUST_200600_302600_NS6detail15normal_iteratorINS9_10device_ptrItEEEENS9_16discard_iteratorINS9_11use_defaultEEEtNS9_4plusIvEEtEEDaPvRmT3_T4_T5_mT6_P12ihipStream_tbENKUlT_T0_E_clISt17integral_constantIbLb0EESW_IbLb1EEEEDaSS_ST_EUlSS_E0_NS1_11comp_targetILNS1_3genE0ELNS1_11target_archE4294967295ELNS1_3gpuE0ELNS1_3repE0EEENS1_30default_config_static_selectorELNS0_4arch9wavefront6targetE1EEEvT1_,comdat
	.protected	_ZN7rocprim17ROCPRIM_400000_NS6detail17trampoline_kernelINS0_14default_configENS1_20scan_config_selectorItEEZZNS1_9scan_implILNS1_25lookback_scan_determinismE0ELb1ELb1ES3_N6thrust23THRUST_200600_302600_NS6detail15normal_iteratorINS9_10device_ptrItEEEENS9_16discard_iteratorINS9_11use_defaultEEEtNS9_4plusIvEEtEEDaPvRmT3_T4_T5_mT6_P12ihipStream_tbENKUlT_T0_E_clISt17integral_constantIbLb0EESW_IbLb1EEEEDaSS_ST_EUlSS_E0_NS1_11comp_targetILNS1_3genE0ELNS1_11target_archE4294967295ELNS1_3gpuE0ELNS1_3repE0EEENS1_30default_config_static_selectorELNS0_4arch9wavefront6targetE1EEEvT1_ ; -- Begin function _ZN7rocprim17ROCPRIM_400000_NS6detail17trampoline_kernelINS0_14default_configENS1_20scan_config_selectorItEEZZNS1_9scan_implILNS1_25lookback_scan_determinismE0ELb1ELb1ES3_N6thrust23THRUST_200600_302600_NS6detail15normal_iteratorINS9_10device_ptrItEEEENS9_16discard_iteratorINS9_11use_defaultEEEtNS9_4plusIvEEtEEDaPvRmT3_T4_T5_mT6_P12ihipStream_tbENKUlT_T0_E_clISt17integral_constantIbLb0EESW_IbLb1EEEEDaSS_ST_EUlSS_E0_NS1_11comp_targetILNS1_3genE0ELNS1_11target_archE4294967295ELNS1_3gpuE0ELNS1_3repE0EEENS1_30default_config_static_selectorELNS0_4arch9wavefront6targetE1EEEvT1_
	.globl	_ZN7rocprim17ROCPRIM_400000_NS6detail17trampoline_kernelINS0_14default_configENS1_20scan_config_selectorItEEZZNS1_9scan_implILNS1_25lookback_scan_determinismE0ELb1ELb1ES3_N6thrust23THRUST_200600_302600_NS6detail15normal_iteratorINS9_10device_ptrItEEEENS9_16discard_iteratorINS9_11use_defaultEEEtNS9_4plusIvEEtEEDaPvRmT3_T4_T5_mT6_P12ihipStream_tbENKUlT_T0_E_clISt17integral_constantIbLb0EESW_IbLb1EEEEDaSS_ST_EUlSS_E0_NS1_11comp_targetILNS1_3genE0ELNS1_11target_archE4294967295ELNS1_3gpuE0ELNS1_3repE0EEENS1_30default_config_static_selectorELNS0_4arch9wavefront6targetE1EEEvT1_
	.p2align	8
	.type	_ZN7rocprim17ROCPRIM_400000_NS6detail17trampoline_kernelINS0_14default_configENS1_20scan_config_selectorItEEZZNS1_9scan_implILNS1_25lookback_scan_determinismE0ELb1ELb1ES3_N6thrust23THRUST_200600_302600_NS6detail15normal_iteratorINS9_10device_ptrItEEEENS9_16discard_iteratorINS9_11use_defaultEEEtNS9_4plusIvEEtEEDaPvRmT3_T4_T5_mT6_P12ihipStream_tbENKUlT_T0_E_clISt17integral_constantIbLb0EESW_IbLb1EEEEDaSS_ST_EUlSS_E0_NS1_11comp_targetILNS1_3genE0ELNS1_11target_archE4294967295ELNS1_3gpuE0ELNS1_3repE0EEENS1_30default_config_static_selectorELNS0_4arch9wavefront6targetE1EEEvT1_,@function
_ZN7rocprim17ROCPRIM_400000_NS6detail17trampoline_kernelINS0_14default_configENS1_20scan_config_selectorItEEZZNS1_9scan_implILNS1_25lookback_scan_determinismE0ELb1ELb1ES3_N6thrust23THRUST_200600_302600_NS6detail15normal_iteratorINS9_10device_ptrItEEEENS9_16discard_iteratorINS9_11use_defaultEEEtNS9_4plusIvEEtEEDaPvRmT3_T4_T5_mT6_P12ihipStream_tbENKUlT_T0_E_clISt17integral_constantIbLb0EESW_IbLb1EEEEDaSS_ST_EUlSS_E0_NS1_11comp_targetILNS1_3genE0ELNS1_11target_archE4294967295ELNS1_3gpuE0ELNS1_3repE0EEENS1_30default_config_static_selectorELNS0_4arch9wavefront6targetE1EEEvT1_: ; @_ZN7rocprim17ROCPRIM_400000_NS6detail17trampoline_kernelINS0_14default_configENS1_20scan_config_selectorItEEZZNS1_9scan_implILNS1_25lookback_scan_determinismE0ELb1ELb1ES3_N6thrust23THRUST_200600_302600_NS6detail15normal_iteratorINS9_10device_ptrItEEEENS9_16discard_iteratorINS9_11use_defaultEEEtNS9_4plusIvEEtEEDaPvRmT3_T4_T5_mT6_P12ihipStream_tbENKUlT_T0_E_clISt17integral_constantIbLb0EESW_IbLb1EEEEDaSS_ST_EUlSS_E0_NS1_11comp_targetILNS1_3genE0ELNS1_11target_archE4294967295ELNS1_3gpuE0ELNS1_3repE0EEENS1_30default_config_static_selectorELNS0_4arch9wavefront6targetE1EEEvT1_
; %bb.0:
	.section	.rodata,"a",@progbits
	.p2align	6, 0x0
	.amdhsa_kernel _ZN7rocprim17ROCPRIM_400000_NS6detail17trampoline_kernelINS0_14default_configENS1_20scan_config_selectorItEEZZNS1_9scan_implILNS1_25lookback_scan_determinismE0ELb1ELb1ES3_N6thrust23THRUST_200600_302600_NS6detail15normal_iteratorINS9_10device_ptrItEEEENS9_16discard_iteratorINS9_11use_defaultEEEtNS9_4plusIvEEtEEDaPvRmT3_T4_T5_mT6_P12ihipStream_tbENKUlT_T0_E_clISt17integral_constantIbLb0EESW_IbLb1EEEEDaSS_ST_EUlSS_E0_NS1_11comp_targetILNS1_3genE0ELNS1_11target_archE4294967295ELNS1_3gpuE0ELNS1_3repE0EEENS1_30default_config_static_selectorELNS0_4arch9wavefront6targetE1EEEvT1_
		.amdhsa_group_segment_fixed_size 0
		.amdhsa_private_segment_fixed_size 0
		.amdhsa_kernarg_size 40
		.amdhsa_user_sgpr_count 6
		.amdhsa_user_sgpr_private_segment_buffer 1
		.amdhsa_user_sgpr_dispatch_ptr 0
		.amdhsa_user_sgpr_queue_ptr 0
		.amdhsa_user_sgpr_kernarg_segment_ptr 1
		.amdhsa_user_sgpr_dispatch_id 0
		.amdhsa_user_sgpr_flat_scratch_init 0
		.amdhsa_user_sgpr_kernarg_preload_length 0
		.amdhsa_user_sgpr_kernarg_preload_offset 0
		.amdhsa_user_sgpr_private_segment_size 0
		.amdhsa_uses_dynamic_stack 0
		.amdhsa_system_sgpr_private_segment_wavefront_offset 0
		.amdhsa_system_sgpr_workgroup_id_x 1
		.amdhsa_system_sgpr_workgroup_id_y 0
		.amdhsa_system_sgpr_workgroup_id_z 0
		.amdhsa_system_sgpr_workgroup_info 0
		.amdhsa_system_vgpr_workitem_id 0
		.amdhsa_next_free_vgpr 1
		.amdhsa_next_free_sgpr 0
		.amdhsa_accum_offset 4
		.amdhsa_reserve_vcc 0
		.amdhsa_reserve_flat_scratch 0
		.amdhsa_float_round_mode_32 0
		.amdhsa_float_round_mode_16_64 0
		.amdhsa_float_denorm_mode_32 3
		.amdhsa_float_denorm_mode_16_64 3
		.amdhsa_dx10_clamp 1
		.amdhsa_ieee_mode 1
		.amdhsa_fp16_overflow 0
		.amdhsa_tg_split 0
		.amdhsa_exception_fp_ieee_invalid_op 0
		.amdhsa_exception_fp_denorm_src 0
		.amdhsa_exception_fp_ieee_div_zero 0
		.amdhsa_exception_fp_ieee_overflow 0
		.amdhsa_exception_fp_ieee_underflow 0
		.amdhsa_exception_fp_ieee_inexact 0
		.amdhsa_exception_int_div_zero 0
	.end_amdhsa_kernel
	.section	.text._ZN7rocprim17ROCPRIM_400000_NS6detail17trampoline_kernelINS0_14default_configENS1_20scan_config_selectorItEEZZNS1_9scan_implILNS1_25lookback_scan_determinismE0ELb1ELb1ES3_N6thrust23THRUST_200600_302600_NS6detail15normal_iteratorINS9_10device_ptrItEEEENS9_16discard_iteratorINS9_11use_defaultEEEtNS9_4plusIvEEtEEDaPvRmT3_T4_T5_mT6_P12ihipStream_tbENKUlT_T0_E_clISt17integral_constantIbLb0EESW_IbLb1EEEEDaSS_ST_EUlSS_E0_NS1_11comp_targetILNS1_3genE0ELNS1_11target_archE4294967295ELNS1_3gpuE0ELNS1_3repE0EEENS1_30default_config_static_selectorELNS0_4arch9wavefront6targetE1EEEvT1_,"axG",@progbits,_ZN7rocprim17ROCPRIM_400000_NS6detail17trampoline_kernelINS0_14default_configENS1_20scan_config_selectorItEEZZNS1_9scan_implILNS1_25lookback_scan_determinismE0ELb1ELb1ES3_N6thrust23THRUST_200600_302600_NS6detail15normal_iteratorINS9_10device_ptrItEEEENS9_16discard_iteratorINS9_11use_defaultEEEtNS9_4plusIvEEtEEDaPvRmT3_T4_T5_mT6_P12ihipStream_tbENKUlT_T0_E_clISt17integral_constantIbLb0EESW_IbLb1EEEEDaSS_ST_EUlSS_E0_NS1_11comp_targetILNS1_3genE0ELNS1_11target_archE4294967295ELNS1_3gpuE0ELNS1_3repE0EEENS1_30default_config_static_selectorELNS0_4arch9wavefront6targetE1EEEvT1_,comdat
.Lfunc_end5573:
	.size	_ZN7rocprim17ROCPRIM_400000_NS6detail17trampoline_kernelINS0_14default_configENS1_20scan_config_selectorItEEZZNS1_9scan_implILNS1_25lookback_scan_determinismE0ELb1ELb1ES3_N6thrust23THRUST_200600_302600_NS6detail15normal_iteratorINS9_10device_ptrItEEEENS9_16discard_iteratorINS9_11use_defaultEEEtNS9_4plusIvEEtEEDaPvRmT3_T4_T5_mT6_P12ihipStream_tbENKUlT_T0_E_clISt17integral_constantIbLb0EESW_IbLb1EEEEDaSS_ST_EUlSS_E0_NS1_11comp_targetILNS1_3genE0ELNS1_11target_archE4294967295ELNS1_3gpuE0ELNS1_3repE0EEENS1_30default_config_static_selectorELNS0_4arch9wavefront6targetE1EEEvT1_, .Lfunc_end5573-_ZN7rocprim17ROCPRIM_400000_NS6detail17trampoline_kernelINS0_14default_configENS1_20scan_config_selectorItEEZZNS1_9scan_implILNS1_25lookback_scan_determinismE0ELb1ELb1ES3_N6thrust23THRUST_200600_302600_NS6detail15normal_iteratorINS9_10device_ptrItEEEENS9_16discard_iteratorINS9_11use_defaultEEEtNS9_4plusIvEEtEEDaPvRmT3_T4_T5_mT6_P12ihipStream_tbENKUlT_T0_E_clISt17integral_constantIbLb0EESW_IbLb1EEEEDaSS_ST_EUlSS_E0_NS1_11comp_targetILNS1_3genE0ELNS1_11target_archE4294967295ELNS1_3gpuE0ELNS1_3repE0EEENS1_30default_config_static_selectorELNS0_4arch9wavefront6targetE1EEEvT1_
                                        ; -- End function
	.section	.AMDGPU.csdata,"",@progbits
; Kernel info:
; codeLenInByte = 0
; NumSgprs: 4
; NumVgprs: 0
; NumAgprs: 0
; TotalNumVgprs: 0
; ScratchSize: 0
; MemoryBound: 0
; FloatMode: 240
; IeeeMode: 1
; LDSByteSize: 0 bytes/workgroup (compile time only)
; SGPRBlocks: 0
; VGPRBlocks: 0
; NumSGPRsForWavesPerEU: 4
; NumVGPRsForWavesPerEU: 1
; AccumOffset: 4
; Occupancy: 8
; WaveLimiterHint : 0
; COMPUTE_PGM_RSRC2:SCRATCH_EN: 0
; COMPUTE_PGM_RSRC2:USER_SGPR: 6
; COMPUTE_PGM_RSRC2:TRAP_HANDLER: 0
; COMPUTE_PGM_RSRC2:TGID_X_EN: 1
; COMPUTE_PGM_RSRC2:TGID_Y_EN: 0
; COMPUTE_PGM_RSRC2:TGID_Z_EN: 0
; COMPUTE_PGM_RSRC2:TIDIG_COMP_CNT: 0
; COMPUTE_PGM_RSRC3_GFX90A:ACCUM_OFFSET: 0
; COMPUTE_PGM_RSRC3_GFX90A:TG_SPLIT: 0
	.section	.text._ZN7rocprim17ROCPRIM_400000_NS6detail17trampoline_kernelINS0_14default_configENS1_20scan_config_selectorItEEZZNS1_9scan_implILNS1_25lookback_scan_determinismE0ELb1ELb1ES3_N6thrust23THRUST_200600_302600_NS6detail15normal_iteratorINS9_10device_ptrItEEEENS9_16discard_iteratorINS9_11use_defaultEEEtNS9_4plusIvEEtEEDaPvRmT3_T4_T5_mT6_P12ihipStream_tbENKUlT_T0_E_clISt17integral_constantIbLb0EESW_IbLb1EEEEDaSS_ST_EUlSS_E0_NS1_11comp_targetILNS1_3genE5ELNS1_11target_archE942ELNS1_3gpuE9ELNS1_3repE0EEENS1_30default_config_static_selectorELNS0_4arch9wavefront6targetE1EEEvT1_,"axG",@progbits,_ZN7rocprim17ROCPRIM_400000_NS6detail17trampoline_kernelINS0_14default_configENS1_20scan_config_selectorItEEZZNS1_9scan_implILNS1_25lookback_scan_determinismE0ELb1ELb1ES3_N6thrust23THRUST_200600_302600_NS6detail15normal_iteratorINS9_10device_ptrItEEEENS9_16discard_iteratorINS9_11use_defaultEEEtNS9_4plusIvEEtEEDaPvRmT3_T4_T5_mT6_P12ihipStream_tbENKUlT_T0_E_clISt17integral_constantIbLb0EESW_IbLb1EEEEDaSS_ST_EUlSS_E0_NS1_11comp_targetILNS1_3genE5ELNS1_11target_archE942ELNS1_3gpuE9ELNS1_3repE0EEENS1_30default_config_static_selectorELNS0_4arch9wavefront6targetE1EEEvT1_,comdat
	.protected	_ZN7rocprim17ROCPRIM_400000_NS6detail17trampoline_kernelINS0_14default_configENS1_20scan_config_selectorItEEZZNS1_9scan_implILNS1_25lookback_scan_determinismE0ELb1ELb1ES3_N6thrust23THRUST_200600_302600_NS6detail15normal_iteratorINS9_10device_ptrItEEEENS9_16discard_iteratorINS9_11use_defaultEEEtNS9_4plusIvEEtEEDaPvRmT3_T4_T5_mT6_P12ihipStream_tbENKUlT_T0_E_clISt17integral_constantIbLb0EESW_IbLb1EEEEDaSS_ST_EUlSS_E0_NS1_11comp_targetILNS1_3genE5ELNS1_11target_archE942ELNS1_3gpuE9ELNS1_3repE0EEENS1_30default_config_static_selectorELNS0_4arch9wavefront6targetE1EEEvT1_ ; -- Begin function _ZN7rocprim17ROCPRIM_400000_NS6detail17trampoline_kernelINS0_14default_configENS1_20scan_config_selectorItEEZZNS1_9scan_implILNS1_25lookback_scan_determinismE0ELb1ELb1ES3_N6thrust23THRUST_200600_302600_NS6detail15normal_iteratorINS9_10device_ptrItEEEENS9_16discard_iteratorINS9_11use_defaultEEEtNS9_4plusIvEEtEEDaPvRmT3_T4_T5_mT6_P12ihipStream_tbENKUlT_T0_E_clISt17integral_constantIbLb0EESW_IbLb1EEEEDaSS_ST_EUlSS_E0_NS1_11comp_targetILNS1_3genE5ELNS1_11target_archE942ELNS1_3gpuE9ELNS1_3repE0EEENS1_30default_config_static_selectorELNS0_4arch9wavefront6targetE1EEEvT1_
	.globl	_ZN7rocprim17ROCPRIM_400000_NS6detail17trampoline_kernelINS0_14default_configENS1_20scan_config_selectorItEEZZNS1_9scan_implILNS1_25lookback_scan_determinismE0ELb1ELb1ES3_N6thrust23THRUST_200600_302600_NS6detail15normal_iteratorINS9_10device_ptrItEEEENS9_16discard_iteratorINS9_11use_defaultEEEtNS9_4plusIvEEtEEDaPvRmT3_T4_T5_mT6_P12ihipStream_tbENKUlT_T0_E_clISt17integral_constantIbLb0EESW_IbLb1EEEEDaSS_ST_EUlSS_E0_NS1_11comp_targetILNS1_3genE5ELNS1_11target_archE942ELNS1_3gpuE9ELNS1_3repE0EEENS1_30default_config_static_selectorELNS0_4arch9wavefront6targetE1EEEvT1_
	.p2align	8
	.type	_ZN7rocprim17ROCPRIM_400000_NS6detail17trampoline_kernelINS0_14default_configENS1_20scan_config_selectorItEEZZNS1_9scan_implILNS1_25lookback_scan_determinismE0ELb1ELb1ES3_N6thrust23THRUST_200600_302600_NS6detail15normal_iteratorINS9_10device_ptrItEEEENS9_16discard_iteratorINS9_11use_defaultEEEtNS9_4plusIvEEtEEDaPvRmT3_T4_T5_mT6_P12ihipStream_tbENKUlT_T0_E_clISt17integral_constantIbLb0EESW_IbLb1EEEEDaSS_ST_EUlSS_E0_NS1_11comp_targetILNS1_3genE5ELNS1_11target_archE942ELNS1_3gpuE9ELNS1_3repE0EEENS1_30default_config_static_selectorELNS0_4arch9wavefront6targetE1EEEvT1_,@function
_ZN7rocprim17ROCPRIM_400000_NS6detail17trampoline_kernelINS0_14default_configENS1_20scan_config_selectorItEEZZNS1_9scan_implILNS1_25lookback_scan_determinismE0ELb1ELb1ES3_N6thrust23THRUST_200600_302600_NS6detail15normal_iteratorINS9_10device_ptrItEEEENS9_16discard_iteratorINS9_11use_defaultEEEtNS9_4plusIvEEtEEDaPvRmT3_T4_T5_mT6_P12ihipStream_tbENKUlT_T0_E_clISt17integral_constantIbLb0EESW_IbLb1EEEEDaSS_ST_EUlSS_E0_NS1_11comp_targetILNS1_3genE5ELNS1_11target_archE942ELNS1_3gpuE9ELNS1_3repE0EEENS1_30default_config_static_selectorELNS0_4arch9wavefront6targetE1EEEvT1_: ; @_ZN7rocprim17ROCPRIM_400000_NS6detail17trampoline_kernelINS0_14default_configENS1_20scan_config_selectorItEEZZNS1_9scan_implILNS1_25lookback_scan_determinismE0ELb1ELb1ES3_N6thrust23THRUST_200600_302600_NS6detail15normal_iteratorINS9_10device_ptrItEEEENS9_16discard_iteratorINS9_11use_defaultEEEtNS9_4plusIvEEtEEDaPvRmT3_T4_T5_mT6_P12ihipStream_tbENKUlT_T0_E_clISt17integral_constantIbLb0EESW_IbLb1EEEEDaSS_ST_EUlSS_E0_NS1_11comp_targetILNS1_3genE5ELNS1_11target_archE942ELNS1_3gpuE9ELNS1_3repE0EEENS1_30default_config_static_selectorELNS0_4arch9wavefront6targetE1EEEvT1_
; %bb.0:
	.section	.rodata,"a",@progbits
	.p2align	6, 0x0
	.amdhsa_kernel _ZN7rocprim17ROCPRIM_400000_NS6detail17trampoline_kernelINS0_14default_configENS1_20scan_config_selectorItEEZZNS1_9scan_implILNS1_25lookback_scan_determinismE0ELb1ELb1ES3_N6thrust23THRUST_200600_302600_NS6detail15normal_iteratorINS9_10device_ptrItEEEENS9_16discard_iteratorINS9_11use_defaultEEEtNS9_4plusIvEEtEEDaPvRmT3_T4_T5_mT6_P12ihipStream_tbENKUlT_T0_E_clISt17integral_constantIbLb0EESW_IbLb1EEEEDaSS_ST_EUlSS_E0_NS1_11comp_targetILNS1_3genE5ELNS1_11target_archE942ELNS1_3gpuE9ELNS1_3repE0EEENS1_30default_config_static_selectorELNS0_4arch9wavefront6targetE1EEEvT1_
		.amdhsa_group_segment_fixed_size 0
		.amdhsa_private_segment_fixed_size 0
		.amdhsa_kernarg_size 40
		.amdhsa_user_sgpr_count 6
		.amdhsa_user_sgpr_private_segment_buffer 1
		.amdhsa_user_sgpr_dispatch_ptr 0
		.amdhsa_user_sgpr_queue_ptr 0
		.amdhsa_user_sgpr_kernarg_segment_ptr 1
		.amdhsa_user_sgpr_dispatch_id 0
		.amdhsa_user_sgpr_flat_scratch_init 0
		.amdhsa_user_sgpr_kernarg_preload_length 0
		.amdhsa_user_sgpr_kernarg_preload_offset 0
		.amdhsa_user_sgpr_private_segment_size 0
		.amdhsa_uses_dynamic_stack 0
		.amdhsa_system_sgpr_private_segment_wavefront_offset 0
		.amdhsa_system_sgpr_workgroup_id_x 1
		.amdhsa_system_sgpr_workgroup_id_y 0
		.amdhsa_system_sgpr_workgroup_id_z 0
		.amdhsa_system_sgpr_workgroup_info 0
		.amdhsa_system_vgpr_workitem_id 0
		.amdhsa_next_free_vgpr 1
		.amdhsa_next_free_sgpr 0
		.amdhsa_accum_offset 4
		.amdhsa_reserve_vcc 0
		.amdhsa_reserve_flat_scratch 0
		.amdhsa_float_round_mode_32 0
		.amdhsa_float_round_mode_16_64 0
		.amdhsa_float_denorm_mode_32 3
		.amdhsa_float_denorm_mode_16_64 3
		.amdhsa_dx10_clamp 1
		.amdhsa_ieee_mode 1
		.amdhsa_fp16_overflow 0
		.amdhsa_tg_split 0
		.amdhsa_exception_fp_ieee_invalid_op 0
		.amdhsa_exception_fp_denorm_src 0
		.amdhsa_exception_fp_ieee_div_zero 0
		.amdhsa_exception_fp_ieee_overflow 0
		.amdhsa_exception_fp_ieee_underflow 0
		.amdhsa_exception_fp_ieee_inexact 0
		.amdhsa_exception_int_div_zero 0
	.end_amdhsa_kernel
	.section	.text._ZN7rocprim17ROCPRIM_400000_NS6detail17trampoline_kernelINS0_14default_configENS1_20scan_config_selectorItEEZZNS1_9scan_implILNS1_25lookback_scan_determinismE0ELb1ELb1ES3_N6thrust23THRUST_200600_302600_NS6detail15normal_iteratorINS9_10device_ptrItEEEENS9_16discard_iteratorINS9_11use_defaultEEEtNS9_4plusIvEEtEEDaPvRmT3_T4_T5_mT6_P12ihipStream_tbENKUlT_T0_E_clISt17integral_constantIbLb0EESW_IbLb1EEEEDaSS_ST_EUlSS_E0_NS1_11comp_targetILNS1_3genE5ELNS1_11target_archE942ELNS1_3gpuE9ELNS1_3repE0EEENS1_30default_config_static_selectorELNS0_4arch9wavefront6targetE1EEEvT1_,"axG",@progbits,_ZN7rocprim17ROCPRIM_400000_NS6detail17trampoline_kernelINS0_14default_configENS1_20scan_config_selectorItEEZZNS1_9scan_implILNS1_25lookback_scan_determinismE0ELb1ELb1ES3_N6thrust23THRUST_200600_302600_NS6detail15normal_iteratorINS9_10device_ptrItEEEENS9_16discard_iteratorINS9_11use_defaultEEEtNS9_4plusIvEEtEEDaPvRmT3_T4_T5_mT6_P12ihipStream_tbENKUlT_T0_E_clISt17integral_constantIbLb0EESW_IbLb1EEEEDaSS_ST_EUlSS_E0_NS1_11comp_targetILNS1_3genE5ELNS1_11target_archE942ELNS1_3gpuE9ELNS1_3repE0EEENS1_30default_config_static_selectorELNS0_4arch9wavefront6targetE1EEEvT1_,comdat
.Lfunc_end5574:
	.size	_ZN7rocprim17ROCPRIM_400000_NS6detail17trampoline_kernelINS0_14default_configENS1_20scan_config_selectorItEEZZNS1_9scan_implILNS1_25lookback_scan_determinismE0ELb1ELb1ES3_N6thrust23THRUST_200600_302600_NS6detail15normal_iteratorINS9_10device_ptrItEEEENS9_16discard_iteratorINS9_11use_defaultEEEtNS9_4plusIvEEtEEDaPvRmT3_T4_T5_mT6_P12ihipStream_tbENKUlT_T0_E_clISt17integral_constantIbLb0EESW_IbLb1EEEEDaSS_ST_EUlSS_E0_NS1_11comp_targetILNS1_3genE5ELNS1_11target_archE942ELNS1_3gpuE9ELNS1_3repE0EEENS1_30default_config_static_selectorELNS0_4arch9wavefront6targetE1EEEvT1_, .Lfunc_end5574-_ZN7rocprim17ROCPRIM_400000_NS6detail17trampoline_kernelINS0_14default_configENS1_20scan_config_selectorItEEZZNS1_9scan_implILNS1_25lookback_scan_determinismE0ELb1ELb1ES3_N6thrust23THRUST_200600_302600_NS6detail15normal_iteratorINS9_10device_ptrItEEEENS9_16discard_iteratorINS9_11use_defaultEEEtNS9_4plusIvEEtEEDaPvRmT3_T4_T5_mT6_P12ihipStream_tbENKUlT_T0_E_clISt17integral_constantIbLb0EESW_IbLb1EEEEDaSS_ST_EUlSS_E0_NS1_11comp_targetILNS1_3genE5ELNS1_11target_archE942ELNS1_3gpuE9ELNS1_3repE0EEENS1_30default_config_static_selectorELNS0_4arch9wavefront6targetE1EEEvT1_
                                        ; -- End function
	.section	.AMDGPU.csdata,"",@progbits
; Kernel info:
; codeLenInByte = 0
; NumSgprs: 4
; NumVgprs: 0
; NumAgprs: 0
; TotalNumVgprs: 0
; ScratchSize: 0
; MemoryBound: 0
; FloatMode: 240
; IeeeMode: 1
; LDSByteSize: 0 bytes/workgroup (compile time only)
; SGPRBlocks: 0
; VGPRBlocks: 0
; NumSGPRsForWavesPerEU: 4
; NumVGPRsForWavesPerEU: 1
; AccumOffset: 4
; Occupancy: 8
; WaveLimiterHint : 0
; COMPUTE_PGM_RSRC2:SCRATCH_EN: 0
; COMPUTE_PGM_RSRC2:USER_SGPR: 6
; COMPUTE_PGM_RSRC2:TRAP_HANDLER: 0
; COMPUTE_PGM_RSRC2:TGID_X_EN: 1
; COMPUTE_PGM_RSRC2:TGID_Y_EN: 0
; COMPUTE_PGM_RSRC2:TGID_Z_EN: 0
; COMPUTE_PGM_RSRC2:TIDIG_COMP_CNT: 0
; COMPUTE_PGM_RSRC3_GFX90A:ACCUM_OFFSET: 0
; COMPUTE_PGM_RSRC3_GFX90A:TG_SPLIT: 0
	.section	.text._ZN7rocprim17ROCPRIM_400000_NS6detail17trampoline_kernelINS0_14default_configENS1_20scan_config_selectorItEEZZNS1_9scan_implILNS1_25lookback_scan_determinismE0ELb1ELb1ES3_N6thrust23THRUST_200600_302600_NS6detail15normal_iteratorINS9_10device_ptrItEEEENS9_16discard_iteratorINS9_11use_defaultEEEtNS9_4plusIvEEtEEDaPvRmT3_T4_T5_mT6_P12ihipStream_tbENKUlT_T0_E_clISt17integral_constantIbLb0EESW_IbLb1EEEEDaSS_ST_EUlSS_E0_NS1_11comp_targetILNS1_3genE4ELNS1_11target_archE910ELNS1_3gpuE8ELNS1_3repE0EEENS1_30default_config_static_selectorELNS0_4arch9wavefront6targetE1EEEvT1_,"axG",@progbits,_ZN7rocprim17ROCPRIM_400000_NS6detail17trampoline_kernelINS0_14default_configENS1_20scan_config_selectorItEEZZNS1_9scan_implILNS1_25lookback_scan_determinismE0ELb1ELb1ES3_N6thrust23THRUST_200600_302600_NS6detail15normal_iteratorINS9_10device_ptrItEEEENS9_16discard_iteratorINS9_11use_defaultEEEtNS9_4plusIvEEtEEDaPvRmT3_T4_T5_mT6_P12ihipStream_tbENKUlT_T0_E_clISt17integral_constantIbLb0EESW_IbLb1EEEEDaSS_ST_EUlSS_E0_NS1_11comp_targetILNS1_3genE4ELNS1_11target_archE910ELNS1_3gpuE8ELNS1_3repE0EEENS1_30default_config_static_selectorELNS0_4arch9wavefront6targetE1EEEvT1_,comdat
	.protected	_ZN7rocprim17ROCPRIM_400000_NS6detail17trampoline_kernelINS0_14default_configENS1_20scan_config_selectorItEEZZNS1_9scan_implILNS1_25lookback_scan_determinismE0ELb1ELb1ES3_N6thrust23THRUST_200600_302600_NS6detail15normal_iteratorINS9_10device_ptrItEEEENS9_16discard_iteratorINS9_11use_defaultEEEtNS9_4plusIvEEtEEDaPvRmT3_T4_T5_mT6_P12ihipStream_tbENKUlT_T0_E_clISt17integral_constantIbLb0EESW_IbLb1EEEEDaSS_ST_EUlSS_E0_NS1_11comp_targetILNS1_3genE4ELNS1_11target_archE910ELNS1_3gpuE8ELNS1_3repE0EEENS1_30default_config_static_selectorELNS0_4arch9wavefront6targetE1EEEvT1_ ; -- Begin function _ZN7rocprim17ROCPRIM_400000_NS6detail17trampoline_kernelINS0_14default_configENS1_20scan_config_selectorItEEZZNS1_9scan_implILNS1_25lookback_scan_determinismE0ELb1ELb1ES3_N6thrust23THRUST_200600_302600_NS6detail15normal_iteratorINS9_10device_ptrItEEEENS9_16discard_iteratorINS9_11use_defaultEEEtNS9_4plusIvEEtEEDaPvRmT3_T4_T5_mT6_P12ihipStream_tbENKUlT_T0_E_clISt17integral_constantIbLb0EESW_IbLb1EEEEDaSS_ST_EUlSS_E0_NS1_11comp_targetILNS1_3genE4ELNS1_11target_archE910ELNS1_3gpuE8ELNS1_3repE0EEENS1_30default_config_static_selectorELNS0_4arch9wavefront6targetE1EEEvT1_
	.globl	_ZN7rocprim17ROCPRIM_400000_NS6detail17trampoline_kernelINS0_14default_configENS1_20scan_config_selectorItEEZZNS1_9scan_implILNS1_25lookback_scan_determinismE0ELb1ELb1ES3_N6thrust23THRUST_200600_302600_NS6detail15normal_iteratorINS9_10device_ptrItEEEENS9_16discard_iteratorINS9_11use_defaultEEEtNS9_4plusIvEEtEEDaPvRmT3_T4_T5_mT6_P12ihipStream_tbENKUlT_T0_E_clISt17integral_constantIbLb0EESW_IbLb1EEEEDaSS_ST_EUlSS_E0_NS1_11comp_targetILNS1_3genE4ELNS1_11target_archE910ELNS1_3gpuE8ELNS1_3repE0EEENS1_30default_config_static_selectorELNS0_4arch9wavefront6targetE1EEEvT1_
	.p2align	8
	.type	_ZN7rocprim17ROCPRIM_400000_NS6detail17trampoline_kernelINS0_14default_configENS1_20scan_config_selectorItEEZZNS1_9scan_implILNS1_25lookback_scan_determinismE0ELb1ELb1ES3_N6thrust23THRUST_200600_302600_NS6detail15normal_iteratorINS9_10device_ptrItEEEENS9_16discard_iteratorINS9_11use_defaultEEEtNS9_4plusIvEEtEEDaPvRmT3_T4_T5_mT6_P12ihipStream_tbENKUlT_T0_E_clISt17integral_constantIbLb0EESW_IbLb1EEEEDaSS_ST_EUlSS_E0_NS1_11comp_targetILNS1_3genE4ELNS1_11target_archE910ELNS1_3gpuE8ELNS1_3repE0EEENS1_30default_config_static_selectorELNS0_4arch9wavefront6targetE1EEEvT1_,@function
_ZN7rocprim17ROCPRIM_400000_NS6detail17trampoline_kernelINS0_14default_configENS1_20scan_config_selectorItEEZZNS1_9scan_implILNS1_25lookback_scan_determinismE0ELb1ELb1ES3_N6thrust23THRUST_200600_302600_NS6detail15normal_iteratorINS9_10device_ptrItEEEENS9_16discard_iteratorINS9_11use_defaultEEEtNS9_4plusIvEEtEEDaPvRmT3_T4_T5_mT6_P12ihipStream_tbENKUlT_T0_E_clISt17integral_constantIbLb0EESW_IbLb1EEEEDaSS_ST_EUlSS_E0_NS1_11comp_targetILNS1_3genE4ELNS1_11target_archE910ELNS1_3gpuE8ELNS1_3repE0EEENS1_30default_config_static_selectorELNS0_4arch9wavefront6targetE1EEEvT1_: ; @_ZN7rocprim17ROCPRIM_400000_NS6detail17trampoline_kernelINS0_14default_configENS1_20scan_config_selectorItEEZZNS1_9scan_implILNS1_25lookback_scan_determinismE0ELb1ELb1ES3_N6thrust23THRUST_200600_302600_NS6detail15normal_iteratorINS9_10device_ptrItEEEENS9_16discard_iteratorINS9_11use_defaultEEEtNS9_4plusIvEEtEEDaPvRmT3_T4_T5_mT6_P12ihipStream_tbENKUlT_T0_E_clISt17integral_constantIbLb0EESW_IbLb1EEEEDaSS_ST_EUlSS_E0_NS1_11comp_targetILNS1_3genE4ELNS1_11target_archE910ELNS1_3gpuE8ELNS1_3repE0EEENS1_30default_config_static_selectorELNS0_4arch9wavefront6targetE1EEEvT1_
; %bb.0:
	s_load_dwordx4 s[0:3], s[4:5], 0x0
	v_mov_b32_e32 v1, 0
	s_waitcnt lgkmcnt(0)
	global_load_ushort v2, v1, s[0:1]
	v_cmp_gt_u32_e32 vcc, s2, v0
	v_lshlrev_b32_e32 v1, 1, v0
	s_waitcnt vmcnt(0)
	v_mov_b32_e32 v3, v2
	s_and_saveexec_b64 s[6:7], vcc
	s_cbranch_execz .LBB5575_2
; %bb.1:
	global_load_ushort v3, v1, s[0:1]
.LBB5575_2:
	s_or_b64 exec, exec, s[6:7]
	v_or_b32_e32 v4, 64, v0
	v_cmp_gt_u32_e32 vcc, s2, v4
	v_mov_b32_e32 v4, v2
	s_and_saveexec_b64 s[6:7], vcc
	s_cbranch_execz .LBB5575_4
; %bb.3:
	global_load_ushort v4, v1, s[0:1] offset:128
.LBB5575_4:
	s_or_b64 exec, exec, s[6:7]
	v_or_b32_e32 v5, 0x80, v0
	v_cmp_gt_u32_e32 vcc, s2, v5
	v_mov_b32_e32 v5, v2
	s_and_saveexec_b64 s[6:7], vcc
	s_cbranch_execz .LBB5575_6
; %bb.5:
	global_load_ushort v5, v1, s[0:1] offset:256
.LBB5575_6:
	;; [unrolled: 9-line block ×22, first 2 shown]
	s_or_b64 exec, exec, s[6:7]
	s_load_dword s4, s[4:5], 0x10
	v_or_b32_e32 v26, 0x5c0, v0
	v_cmp_gt_u32_e32 vcc, s2, v26
	s_and_saveexec_b64 s[2:3], vcc
	s_cbranch_execz .LBB5575_48
; %bb.47:
	global_load_ushort v2, v1, s[0:1] offset:2944
.LBB5575_48:
	s_or_b64 exec, exec, s[2:3]
	s_waitcnt vmcnt(0)
	ds_write_b16 v1, v3
	ds_write_b16 v1, v4 offset:128
	ds_write_b16 v1, v5 offset:256
	;; [unrolled: 1-line block ×23, first 2 shown]
	v_mad_u32_u24 v2, v0, 46, v1
	s_waitcnt lgkmcnt(0)
	; wave barrier
	s_waitcnt lgkmcnt(0)
	ds_read_b128 v[10:13], v2
	ds_read_b128 v[6:9], v2 offset:16
	ds_read_b128 v[2:5], v2 offset:32
	v_mul_u32_u24_e32 v14, 46, v0
	s_waitcnt lgkmcnt(0)
	v_add_u16_sdwa v15, v10, v10 dst_sel:DWORD dst_unused:UNUSED_PAD src0_sel:WORD_1 src1_sel:DWORD
	v_add_u16_e32 v15, v15, v11
	v_add_u16_sdwa v15, v15, v11 dst_sel:DWORD dst_unused:UNUSED_PAD src0_sel:DWORD src1_sel:WORD_1
	v_add_u16_e32 v15, v15, v12
	v_add_u16_sdwa v15, v15, v12 dst_sel:DWORD dst_unused:UNUSED_PAD src0_sel:DWORD src1_sel:WORD_1
	;; [unrolled: 2-line block ×11, first 2 shown]
	v_mbcnt_lo_u32_b32 v15, -1, 0
	v_mbcnt_hi_u32_b32 v15, -1, v15
	v_and_b32_e32 v17, 15, v15
	v_mov_b32_dpp v18, v16 row_shr:1 row_mask:0xf bank_mask:0xf
	v_cmp_ne_u32_e32 vcc, 0, v17
	v_cndmask_b32_e32 v18, 0, v18, vcc
	v_add_u16_e32 v16, v18, v16
	v_cmp_lt_u32_e32 vcc, 1, v17
	; wave barrier
	s_nop 0
	v_mov_b32_dpp v18, v16 row_shr:2 row_mask:0xf bank_mask:0xf
	v_cndmask_b32_e32 v18, 0, v18, vcc
	v_add_u16_e32 v16, v16, v18
	v_cmp_lt_u32_e32 vcc, 3, v17
	s_nop 0
	v_mov_b32_dpp v18, v16 row_shr:4 row_mask:0xf bank_mask:0xf
	v_cndmask_b32_e32 v18, 0, v18, vcc
	v_add_u16_e32 v16, v16, v18
	v_cmp_lt_u32_e32 vcc, 7, v17
	s_nop 0
	v_mov_b32_dpp v18, v16 row_shr:8 row_mask:0xf bank_mask:0xf
	v_cndmask_b32_e32 v17, 0, v18, vcc
	v_add_u16_e32 v16, v16, v17
	v_and_b32_e32 v18, 16, v15
	v_cmp_ne_u32_e32 vcc, 0, v18
	v_mov_b32_dpp v17, v16 row_bcast:15 row_mask:0xf bank_mask:0xf
	v_cndmask_b32_e32 v17, 0, v17, vcc
	v_add_u16_e32 v16, v16, v17
	v_cmp_lt_u32_e32 vcc, 31, v15
	s_nop 0
	v_mov_b32_dpp v17, v16 row_bcast:31 row_mask:0xf bank_mask:0xf
	v_cndmask_b32_e32 v17, 0, v17, vcc
	v_add_u16_e32 v16, v16, v17
	v_cmp_eq_u32_e32 vcc, 63, v0
	s_and_saveexec_b64 s[0:1], vcc
	s_cbranch_execz .LBB5575_50
; %bb.49:
	v_mov_b32_e32 v17, 0
	ds_write_b16 v17, v16
.LBB5575_50:
	s_or_b64 exec, exec, s[0:1]
	v_add_u32_e32 v17, -1, v15
	v_and_b32_e32 v18, 64, v15
	v_cmp_lt_i32_e32 vcc, v17, v18
	v_cndmask_b32_e32 v17, v17, v15, vcc
	v_add_u16_e32 v16, s4, v16
	v_lshlrev_b32_e32 v17, 2, v17
	ds_bpermute_b32 v16, v17, v16
	v_cmp_eq_u32_e32 vcc, 0, v15
	v_cmp_eq_u32_e64 s[0:1], 0, v0
	v_mov_b32_e32 v0, s4
	s_or_b64 vcc, s[0:1], vcc
	s_waitcnt lgkmcnt(0)
	v_cndmask_b32_e32 v0, v16, v0, vcc
	v_add_u16_e32 v15, v0, v10
	v_add_u16_sdwa v10, v15, v10 dst_sel:DWORD dst_unused:UNUSED_PAD src0_sel:DWORD src1_sel:WORD_1
	v_add_u16_e32 v16, v10, v11
	v_add_u16_sdwa v11, v16, v11 dst_sel:DWORD dst_unused:UNUSED_PAD src0_sel:DWORD src1_sel:WORD_1
	;; [unrolled: 2-line block ×10, first 2 shown]
	v_add_u16_e32 v27, v26, v4
	s_mov_b32 s0, 0x5040100
	v_add_u16_sdwa v4, v27, v4 dst_sel:DWORD dst_unused:UNUSED_PAD src0_sel:DWORD src1_sel:WORD_1
	v_add_u32_e32 v14, v1, v14
	v_perm_b32 v0, v15, v0, s0
	v_perm_b32 v1, v16, v10, s0
	;; [unrolled: 1-line block ×4, first 2 shown]
	s_waitcnt lgkmcnt(0)
	; wave barrier
	v_add_u16_e32 v5, v4, v5
	s_waitcnt lgkmcnt(0)
	; wave barrier
	ds_write_b128 v14, v[0:3]
	v_perm_b32 v0, v19, v13, s0
	v_perm_b32 v1, v20, v6, s0
	;; [unrolled: 1-line block ×4, first 2 shown]
	ds_write_b128 v14, v[0:3] offset:16
	v_perm_b32 v0, v23, v9, s0
	v_perm_b32 v1, v25, v24, s0
	v_perm_b32 v2, v27, v26, s0
	v_perm_b32 v3, v5, v4, s0
	ds_write_b128 v14, v[0:3] offset:32
	s_waitcnt lgkmcnt(0)
	; wave barrier
	s_waitcnt lgkmcnt(0)
	s_endpgm
	.section	.rodata,"a",@progbits
	.p2align	6, 0x0
	.amdhsa_kernel _ZN7rocprim17ROCPRIM_400000_NS6detail17trampoline_kernelINS0_14default_configENS1_20scan_config_selectorItEEZZNS1_9scan_implILNS1_25lookback_scan_determinismE0ELb1ELb1ES3_N6thrust23THRUST_200600_302600_NS6detail15normal_iteratorINS9_10device_ptrItEEEENS9_16discard_iteratorINS9_11use_defaultEEEtNS9_4plusIvEEtEEDaPvRmT3_T4_T5_mT6_P12ihipStream_tbENKUlT_T0_E_clISt17integral_constantIbLb0EESW_IbLb1EEEEDaSS_ST_EUlSS_E0_NS1_11comp_targetILNS1_3genE4ELNS1_11target_archE910ELNS1_3gpuE8ELNS1_3repE0EEENS1_30default_config_static_selectorELNS0_4arch9wavefront6targetE1EEEvT1_
		.amdhsa_group_segment_fixed_size 3072
		.amdhsa_private_segment_fixed_size 0
		.amdhsa_kernarg_size 40
		.amdhsa_user_sgpr_count 6
		.amdhsa_user_sgpr_private_segment_buffer 1
		.amdhsa_user_sgpr_dispatch_ptr 0
		.amdhsa_user_sgpr_queue_ptr 0
		.amdhsa_user_sgpr_kernarg_segment_ptr 1
		.amdhsa_user_sgpr_dispatch_id 0
		.amdhsa_user_sgpr_flat_scratch_init 0
		.amdhsa_user_sgpr_kernarg_preload_length 0
		.amdhsa_user_sgpr_kernarg_preload_offset 0
		.amdhsa_user_sgpr_private_segment_size 0
		.amdhsa_uses_dynamic_stack 0
		.amdhsa_system_sgpr_private_segment_wavefront_offset 0
		.amdhsa_system_sgpr_workgroup_id_x 1
		.amdhsa_system_sgpr_workgroup_id_y 0
		.amdhsa_system_sgpr_workgroup_id_z 0
		.amdhsa_system_sgpr_workgroup_info 0
		.amdhsa_system_vgpr_workitem_id 0
		.amdhsa_next_free_vgpr 28
		.amdhsa_next_free_sgpr 8
		.amdhsa_accum_offset 28
		.amdhsa_reserve_vcc 1
		.amdhsa_reserve_flat_scratch 0
		.amdhsa_float_round_mode_32 0
		.amdhsa_float_round_mode_16_64 0
		.amdhsa_float_denorm_mode_32 3
		.amdhsa_float_denorm_mode_16_64 3
		.amdhsa_dx10_clamp 1
		.amdhsa_ieee_mode 1
		.amdhsa_fp16_overflow 0
		.amdhsa_tg_split 0
		.amdhsa_exception_fp_ieee_invalid_op 0
		.amdhsa_exception_fp_denorm_src 0
		.amdhsa_exception_fp_ieee_div_zero 0
		.amdhsa_exception_fp_ieee_overflow 0
		.amdhsa_exception_fp_ieee_underflow 0
		.amdhsa_exception_fp_ieee_inexact 0
		.amdhsa_exception_int_div_zero 0
	.end_amdhsa_kernel
	.section	.text._ZN7rocprim17ROCPRIM_400000_NS6detail17trampoline_kernelINS0_14default_configENS1_20scan_config_selectorItEEZZNS1_9scan_implILNS1_25lookback_scan_determinismE0ELb1ELb1ES3_N6thrust23THRUST_200600_302600_NS6detail15normal_iteratorINS9_10device_ptrItEEEENS9_16discard_iteratorINS9_11use_defaultEEEtNS9_4plusIvEEtEEDaPvRmT3_T4_T5_mT6_P12ihipStream_tbENKUlT_T0_E_clISt17integral_constantIbLb0EESW_IbLb1EEEEDaSS_ST_EUlSS_E0_NS1_11comp_targetILNS1_3genE4ELNS1_11target_archE910ELNS1_3gpuE8ELNS1_3repE0EEENS1_30default_config_static_selectorELNS0_4arch9wavefront6targetE1EEEvT1_,"axG",@progbits,_ZN7rocprim17ROCPRIM_400000_NS6detail17trampoline_kernelINS0_14default_configENS1_20scan_config_selectorItEEZZNS1_9scan_implILNS1_25lookback_scan_determinismE0ELb1ELb1ES3_N6thrust23THRUST_200600_302600_NS6detail15normal_iteratorINS9_10device_ptrItEEEENS9_16discard_iteratorINS9_11use_defaultEEEtNS9_4plusIvEEtEEDaPvRmT3_T4_T5_mT6_P12ihipStream_tbENKUlT_T0_E_clISt17integral_constantIbLb0EESW_IbLb1EEEEDaSS_ST_EUlSS_E0_NS1_11comp_targetILNS1_3genE4ELNS1_11target_archE910ELNS1_3gpuE8ELNS1_3repE0EEENS1_30default_config_static_selectorELNS0_4arch9wavefront6targetE1EEEvT1_,comdat
.Lfunc_end5575:
	.size	_ZN7rocprim17ROCPRIM_400000_NS6detail17trampoline_kernelINS0_14default_configENS1_20scan_config_selectorItEEZZNS1_9scan_implILNS1_25lookback_scan_determinismE0ELb1ELb1ES3_N6thrust23THRUST_200600_302600_NS6detail15normal_iteratorINS9_10device_ptrItEEEENS9_16discard_iteratorINS9_11use_defaultEEEtNS9_4plusIvEEtEEDaPvRmT3_T4_T5_mT6_P12ihipStream_tbENKUlT_T0_E_clISt17integral_constantIbLb0EESW_IbLb1EEEEDaSS_ST_EUlSS_E0_NS1_11comp_targetILNS1_3genE4ELNS1_11target_archE910ELNS1_3gpuE8ELNS1_3repE0EEENS1_30default_config_static_selectorELNS0_4arch9wavefront6targetE1EEEvT1_, .Lfunc_end5575-_ZN7rocprim17ROCPRIM_400000_NS6detail17trampoline_kernelINS0_14default_configENS1_20scan_config_selectorItEEZZNS1_9scan_implILNS1_25lookback_scan_determinismE0ELb1ELb1ES3_N6thrust23THRUST_200600_302600_NS6detail15normal_iteratorINS9_10device_ptrItEEEENS9_16discard_iteratorINS9_11use_defaultEEEtNS9_4plusIvEEtEEDaPvRmT3_T4_T5_mT6_P12ihipStream_tbENKUlT_T0_E_clISt17integral_constantIbLb0EESW_IbLb1EEEEDaSS_ST_EUlSS_E0_NS1_11comp_targetILNS1_3genE4ELNS1_11target_archE910ELNS1_3gpuE8ELNS1_3repE0EEENS1_30default_config_static_selectorELNS0_4arch9wavefront6targetE1EEEvT1_
                                        ; -- End function
	.section	.AMDGPU.csdata,"",@progbits
; Kernel info:
; codeLenInByte = 1808
; NumSgprs: 12
; NumVgprs: 28
; NumAgprs: 0
; TotalNumVgprs: 28
; ScratchSize: 0
; MemoryBound: 0
; FloatMode: 240
; IeeeMode: 1
; LDSByteSize: 3072 bytes/workgroup (compile time only)
; SGPRBlocks: 1
; VGPRBlocks: 3
; NumSGPRsForWavesPerEU: 12
; NumVGPRsForWavesPerEU: 28
; AccumOffset: 28
; Occupancy: 6
; WaveLimiterHint : 0
; COMPUTE_PGM_RSRC2:SCRATCH_EN: 0
; COMPUTE_PGM_RSRC2:USER_SGPR: 6
; COMPUTE_PGM_RSRC2:TRAP_HANDLER: 0
; COMPUTE_PGM_RSRC2:TGID_X_EN: 1
; COMPUTE_PGM_RSRC2:TGID_Y_EN: 0
; COMPUTE_PGM_RSRC2:TGID_Z_EN: 0
; COMPUTE_PGM_RSRC2:TIDIG_COMP_CNT: 0
; COMPUTE_PGM_RSRC3_GFX90A:ACCUM_OFFSET: 6
; COMPUTE_PGM_RSRC3_GFX90A:TG_SPLIT: 0
	.section	.text._ZN7rocprim17ROCPRIM_400000_NS6detail17trampoline_kernelINS0_14default_configENS1_20scan_config_selectorItEEZZNS1_9scan_implILNS1_25lookback_scan_determinismE0ELb1ELb1ES3_N6thrust23THRUST_200600_302600_NS6detail15normal_iteratorINS9_10device_ptrItEEEENS9_16discard_iteratorINS9_11use_defaultEEEtNS9_4plusIvEEtEEDaPvRmT3_T4_T5_mT6_P12ihipStream_tbENKUlT_T0_E_clISt17integral_constantIbLb0EESW_IbLb1EEEEDaSS_ST_EUlSS_E0_NS1_11comp_targetILNS1_3genE3ELNS1_11target_archE908ELNS1_3gpuE7ELNS1_3repE0EEENS1_30default_config_static_selectorELNS0_4arch9wavefront6targetE1EEEvT1_,"axG",@progbits,_ZN7rocprim17ROCPRIM_400000_NS6detail17trampoline_kernelINS0_14default_configENS1_20scan_config_selectorItEEZZNS1_9scan_implILNS1_25lookback_scan_determinismE0ELb1ELb1ES3_N6thrust23THRUST_200600_302600_NS6detail15normal_iteratorINS9_10device_ptrItEEEENS9_16discard_iteratorINS9_11use_defaultEEEtNS9_4plusIvEEtEEDaPvRmT3_T4_T5_mT6_P12ihipStream_tbENKUlT_T0_E_clISt17integral_constantIbLb0EESW_IbLb1EEEEDaSS_ST_EUlSS_E0_NS1_11comp_targetILNS1_3genE3ELNS1_11target_archE908ELNS1_3gpuE7ELNS1_3repE0EEENS1_30default_config_static_selectorELNS0_4arch9wavefront6targetE1EEEvT1_,comdat
	.protected	_ZN7rocprim17ROCPRIM_400000_NS6detail17trampoline_kernelINS0_14default_configENS1_20scan_config_selectorItEEZZNS1_9scan_implILNS1_25lookback_scan_determinismE0ELb1ELb1ES3_N6thrust23THRUST_200600_302600_NS6detail15normal_iteratorINS9_10device_ptrItEEEENS9_16discard_iteratorINS9_11use_defaultEEEtNS9_4plusIvEEtEEDaPvRmT3_T4_T5_mT6_P12ihipStream_tbENKUlT_T0_E_clISt17integral_constantIbLb0EESW_IbLb1EEEEDaSS_ST_EUlSS_E0_NS1_11comp_targetILNS1_3genE3ELNS1_11target_archE908ELNS1_3gpuE7ELNS1_3repE0EEENS1_30default_config_static_selectorELNS0_4arch9wavefront6targetE1EEEvT1_ ; -- Begin function _ZN7rocprim17ROCPRIM_400000_NS6detail17trampoline_kernelINS0_14default_configENS1_20scan_config_selectorItEEZZNS1_9scan_implILNS1_25lookback_scan_determinismE0ELb1ELb1ES3_N6thrust23THRUST_200600_302600_NS6detail15normal_iteratorINS9_10device_ptrItEEEENS9_16discard_iteratorINS9_11use_defaultEEEtNS9_4plusIvEEtEEDaPvRmT3_T4_T5_mT6_P12ihipStream_tbENKUlT_T0_E_clISt17integral_constantIbLb0EESW_IbLb1EEEEDaSS_ST_EUlSS_E0_NS1_11comp_targetILNS1_3genE3ELNS1_11target_archE908ELNS1_3gpuE7ELNS1_3repE0EEENS1_30default_config_static_selectorELNS0_4arch9wavefront6targetE1EEEvT1_
	.globl	_ZN7rocprim17ROCPRIM_400000_NS6detail17trampoline_kernelINS0_14default_configENS1_20scan_config_selectorItEEZZNS1_9scan_implILNS1_25lookback_scan_determinismE0ELb1ELb1ES3_N6thrust23THRUST_200600_302600_NS6detail15normal_iteratorINS9_10device_ptrItEEEENS9_16discard_iteratorINS9_11use_defaultEEEtNS9_4plusIvEEtEEDaPvRmT3_T4_T5_mT6_P12ihipStream_tbENKUlT_T0_E_clISt17integral_constantIbLb0EESW_IbLb1EEEEDaSS_ST_EUlSS_E0_NS1_11comp_targetILNS1_3genE3ELNS1_11target_archE908ELNS1_3gpuE7ELNS1_3repE0EEENS1_30default_config_static_selectorELNS0_4arch9wavefront6targetE1EEEvT1_
	.p2align	8
	.type	_ZN7rocprim17ROCPRIM_400000_NS6detail17trampoline_kernelINS0_14default_configENS1_20scan_config_selectorItEEZZNS1_9scan_implILNS1_25lookback_scan_determinismE0ELb1ELb1ES3_N6thrust23THRUST_200600_302600_NS6detail15normal_iteratorINS9_10device_ptrItEEEENS9_16discard_iteratorINS9_11use_defaultEEEtNS9_4plusIvEEtEEDaPvRmT3_T4_T5_mT6_P12ihipStream_tbENKUlT_T0_E_clISt17integral_constantIbLb0EESW_IbLb1EEEEDaSS_ST_EUlSS_E0_NS1_11comp_targetILNS1_3genE3ELNS1_11target_archE908ELNS1_3gpuE7ELNS1_3repE0EEENS1_30default_config_static_selectorELNS0_4arch9wavefront6targetE1EEEvT1_,@function
_ZN7rocprim17ROCPRIM_400000_NS6detail17trampoline_kernelINS0_14default_configENS1_20scan_config_selectorItEEZZNS1_9scan_implILNS1_25lookback_scan_determinismE0ELb1ELb1ES3_N6thrust23THRUST_200600_302600_NS6detail15normal_iteratorINS9_10device_ptrItEEEENS9_16discard_iteratorINS9_11use_defaultEEEtNS9_4plusIvEEtEEDaPvRmT3_T4_T5_mT6_P12ihipStream_tbENKUlT_T0_E_clISt17integral_constantIbLb0EESW_IbLb1EEEEDaSS_ST_EUlSS_E0_NS1_11comp_targetILNS1_3genE3ELNS1_11target_archE908ELNS1_3gpuE7ELNS1_3repE0EEENS1_30default_config_static_selectorELNS0_4arch9wavefront6targetE1EEEvT1_: ; @_ZN7rocprim17ROCPRIM_400000_NS6detail17trampoline_kernelINS0_14default_configENS1_20scan_config_selectorItEEZZNS1_9scan_implILNS1_25lookback_scan_determinismE0ELb1ELb1ES3_N6thrust23THRUST_200600_302600_NS6detail15normal_iteratorINS9_10device_ptrItEEEENS9_16discard_iteratorINS9_11use_defaultEEEtNS9_4plusIvEEtEEDaPvRmT3_T4_T5_mT6_P12ihipStream_tbENKUlT_T0_E_clISt17integral_constantIbLb0EESW_IbLb1EEEEDaSS_ST_EUlSS_E0_NS1_11comp_targetILNS1_3genE3ELNS1_11target_archE908ELNS1_3gpuE7ELNS1_3repE0EEENS1_30default_config_static_selectorELNS0_4arch9wavefront6targetE1EEEvT1_
; %bb.0:
	.section	.rodata,"a",@progbits
	.p2align	6, 0x0
	.amdhsa_kernel _ZN7rocprim17ROCPRIM_400000_NS6detail17trampoline_kernelINS0_14default_configENS1_20scan_config_selectorItEEZZNS1_9scan_implILNS1_25lookback_scan_determinismE0ELb1ELb1ES3_N6thrust23THRUST_200600_302600_NS6detail15normal_iteratorINS9_10device_ptrItEEEENS9_16discard_iteratorINS9_11use_defaultEEEtNS9_4plusIvEEtEEDaPvRmT3_T4_T5_mT6_P12ihipStream_tbENKUlT_T0_E_clISt17integral_constantIbLb0EESW_IbLb1EEEEDaSS_ST_EUlSS_E0_NS1_11comp_targetILNS1_3genE3ELNS1_11target_archE908ELNS1_3gpuE7ELNS1_3repE0EEENS1_30default_config_static_selectorELNS0_4arch9wavefront6targetE1EEEvT1_
		.amdhsa_group_segment_fixed_size 0
		.amdhsa_private_segment_fixed_size 0
		.amdhsa_kernarg_size 40
		.amdhsa_user_sgpr_count 6
		.amdhsa_user_sgpr_private_segment_buffer 1
		.amdhsa_user_sgpr_dispatch_ptr 0
		.amdhsa_user_sgpr_queue_ptr 0
		.amdhsa_user_sgpr_kernarg_segment_ptr 1
		.amdhsa_user_sgpr_dispatch_id 0
		.amdhsa_user_sgpr_flat_scratch_init 0
		.amdhsa_user_sgpr_kernarg_preload_length 0
		.amdhsa_user_sgpr_kernarg_preload_offset 0
		.amdhsa_user_sgpr_private_segment_size 0
		.amdhsa_uses_dynamic_stack 0
		.amdhsa_system_sgpr_private_segment_wavefront_offset 0
		.amdhsa_system_sgpr_workgroup_id_x 1
		.amdhsa_system_sgpr_workgroup_id_y 0
		.amdhsa_system_sgpr_workgroup_id_z 0
		.amdhsa_system_sgpr_workgroup_info 0
		.amdhsa_system_vgpr_workitem_id 0
		.amdhsa_next_free_vgpr 1
		.amdhsa_next_free_sgpr 0
		.amdhsa_accum_offset 4
		.amdhsa_reserve_vcc 0
		.amdhsa_reserve_flat_scratch 0
		.amdhsa_float_round_mode_32 0
		.amdhsa_float_round_mode_16_64 0
		.amdhsa_float_denorm_mode_32 3
		.amdhsa_float_denorm_mode_16_64 3
		.amdhsa_dx10_clamp 1
		.amdhsa_ieee_mode 1
		.amdhsa_fp16_overflow 0
		.amdhsa_tg_split 0
		.amdhsa_exception_fp_ieee_invalid_op 0
		.amdhsa_exception_fp_denorm_src 0
		.amdhsa_exception_fp_ieee_div_zero 0
		.amdhsa_exception_fp_ieee_overflow 0
		.amdhsa_exception_fp_ieee_underflow 0
		.amdhsa_exception_fp_ieee_inexact 0
		.amdhsa_exception_int_div_zero 0
	.end_amdhsa_kernel
	.section	.text._ZN7rocprim17ROCPRIM_400000_NS6detail17trampoline_kernelINS0_14default_configENS1_20scan_config_selectorItEEZZNS1_9scan_implILNS1_25lookback_scan_determinismE0ELb1ELb1ES3_N6thrust23THRUST_200600_302600_NS6detail15normal_iteratorINS9_10device_ptrItEEEENS9_16discard_iteratorINS9_11use_defaultEEEtNS9_4plusIvEEtEEDaPvRmT3_T4_T5_mT6_P12ihipStream_tbENKUlT_T0_E_clISt17integral_constantIbLb0EESW_IbLb1EEEEDaSS_ST_EUlSS_E0_NS1_11comp_targetILNS1_3genE3ELNS1_11target_archE908ELNS1_3gpuE7ELNS1_3repE0EEENS1_30default_config_static_selectorELNS0_4arch9wavefront6targetE1EEEvT1_,"axG",@progbits,_ZN7rocprim17ROCPRIM_400000_NS6detail17trampoline_kernelINS0_14default_configENS1_20scan_config_selectorItEEZZNS1_9scan_implILNS1_25lookback_scan_determinismE0ELb1ELb1ES3_N6thrust23THRUST_200600_302600_NS6detail15normal_iteratorINS9_10device_ptrItEEEENS9_16discard_iteratorINS9_11use_defaultEEEtNS9_4plusIvEEtEEDaPvRmT3_T4_T5_mT6_P12ihipStream_tbENKUlT_T0_E_clISt17integral_constantIbLb0EESW_IbLb1EEEEDaSS_ST_EUlSS_E0_NS1_11comp_targetILNS1_3genE3ELNS1_11target_archE908ELNS1_3gpuE7ELNS1_3repE0EEENS1_30default_config_static_selectorELNS0_4arch9wavefront6targetE1EEEvT1_,comdat
.Lfunc_end5576:
	.size	_ZN7rocprim17ROCPRIM_400000_NS6detail17trampoline_kernelINS0_14default_configENS1_20scan_config_selectorItEEZZNS1_9scan_implILNS1_25lookback_scan_determinismE0ELb1ELb1ES3_N6thrust23THRUST_200600_302600_NS6detail15normal_iteratorINS9_10device_ptrItEEEENS9_16discard_iteratorINS9_11use_defaultEEEtNS9_4plusIvEEtEEDaPvRmT3_T4_T5_mT6_P12ihipStream_tbENKUlT_T0_E_clISt17integral_constantIbLb0EESW_IbLb1EEEEDaSS_ST_EUlSS_E0_NS1_11comp_targetILNS1_3genE3ELNS1_11target_archE908ELNS1_3gpuE7ELNS1_3repE0EEENS1_30default_config_static_selectorELNS0_4arch9wavefront6targetE1EEEvT1_, .Lfunc_end5576-_ZN7rocprim17ROCPRIM_400000_NS6detail17trampoline_kernelINS0_14default_configENS1_20scan_config_selectorItEEZZNS1_9scan_implILNS1_25lookback_scan_determinismE0ELb1ELb1ES3_N6thrust23THRUST_200600_302600_NS6detail15normal_iteratorINS9_10device_ptrItEEEENS9_16discard_iteratorINS9_11use_defaultEEEtNS9_4plusIvEEtEEDaPvRmT3_T4_T5_mT6_P12ihipStream_tbENKUlT_T0_E_clISt17integral_constantIbLb0EESW_IbLb1EEEEDaSS_ST_EUlSS_E0_NS1_11comp_targetILNS1_3genE3ELNS1_11target_archE908ELNS1_3gpuE7ELNS1_3repE0EEENS1_30default_config_static_selectorELNS0_4arch9wavefront6targetE1EEEvT1_
                                        ; -- End function
	.section	.AMDGPU.csdata,"",@progbits
; Kernel info:
; codeLenInByte = 0
; NumSgprs: 4
; NumVgprs: 0
; NumAgprs: 0
; TotalNumVgprs: 0
; ScratchSize: 0
; MemoryBound: 0
; FloatMode: 240
; IeeeMode: 1
; LDSByteSize: 0 bytes/workgroup (compile time only)
; SGPRBlocks: 0
; VGPRBlocks: 0
; NumSGPRsForWavesPerEU: 4
; NumVGPRsForWavesPerEU: 1
; AccumOffset: 4
; Occupancy: 8
; WaveLimiterHint : 0
; COMPUTE_PGM_RSRC2:SCRATCH_EN: 0
; COMPUTE_PGM_RSRC2:USER_SGPR: 6
; COMPUTE_PGM_RSRC2:TRAP_HANDLER: 0
; COMPUTE_PGM_RSRC2:TGID_X_EN: 1
; COMPUTE_PGM_RSRC2:TGID_Y_EN: 0
; COMPUTE_PGM_RSRC2:TGID_Z_EN: 0
; COMPUTE_PGM_RSRC2:TIDIG_COMP_CNT: 0
; COMPUTE_PGM_RSRC3_GFX90A:ACCUM_OFFSET: 0
; COMPUTE_PGM_RSRC3_GFX90A:TG_SPLIT: 0
	.section	.text._ZN7rocprim17ROCPRIM_400000_NS6detail17trampoline_kernelINS0_14default_configENS1_20scan_config_selectorItEEZZNS1_9scan_implILNS1_25lookback_scan_determinismE0ELb1ELb1ES3_N6thrust23THRUST_200600_302600_NS6detail15normal_iteratorINS9_10device_ptrItEEEENS9_16discard_iteratorINS9_11use_defaultEEEtNS9_4plusIvEEtEEDaPvRmT3_T4_T5_mT6_P12ihipStream_tbENKUlT_T0_E_clISt17integral_constantIbLb0EESW_IbLb1EEEEDaSS_ST_EUlSS_E0_NS1_11comp_targetILNS1_3genE2ELNS1_11target_archE906ELNS1_3gpuE6ELNS1_3repE0EEENS1_30default_config_static_selectorELNS0_4arch9wavefront6targetE1EEEvT1_,"axG",@progbits,_ZN7rocprim17ROCPRIM_400000_NS6detail17trampoline_kernelINS0_14default_configENS1_20scan_config_selectorItEEZZNS1_9scan_implILNS1_25lookback_scan_determinismE0ELb1ELb1ES3_N6thrust23THRUST_200600_302600_NS6detail15normal_iteratorINS9_10device_ptrItEEEENS9_16discard_iteratorINS9_11use_defaultEEEtNS9_4plusIvEEtEEDaPvRmT3_T4_T5_mT6_P12ihipStream_tbENKUlT_T0_E_clISt17integral_constantIbLb0EESW_IbLb1EEEEDaSS_ST_EUlSS_E0_NS1_11comp_targetILNS1_3genE2ELNS1_11target_archE906ELNS1_3gpuE6ELNS1_3repE0EEENS1_30default_config_static_selectorELNS0_4arch9wavefront6targetE1EEEvT1_,comdat
	.protected	_ZN7rocprim17ROCPRIM_400000_NS6detail17trampoline_kernelINS0_14default_configENS1_20scan_config_selectorItEEZZNS1_9scan_implILNS1_25lookback_scan_determinismE0ELb1ELb1ES3_N6thrust23THRUST_200600_302600_NS6detail15normal_iteratorINS9_10device_ptrItEEEENS9_16discard_iteratorINS9_11use_defaultEEEtNS9_4plusIvEEtEEDaPvRmT3_T4_T5_mT6_P12ihipStream_tbENKUlT_T0_E_clISt17integral_constantIbLb0EESW_IbLb1EEEEDaSS_ST_EUlSS_E0_NS1_11comp_targetILNS1_3genE2ELNS1_11target_archE906ELNS1_3gpuE6ELNS1_3repE0EEENS1_30default_config_static_selectorELNS0_4arch9wavefront6targetE1EEEvT1_ ; -- Begin function _ZN7rocprim17ROCPRIM_400000_NS6detail17trampoline_kernelINS0_14default_configENS1_20scan_config_selectorItEEZZNS1_9scan_implILNS1_25lookback_scan_determinismE0ELb1ELb1ES3_N6thrust23THRUST_200600_302600_NS6detail15normal_iteratorINS9_10device_ptrItEEEENS9_16discard_iteratorINS9_11use_defaultEEEtNS9_4plusIvEEtEEDaPvRmT3_T4_T5_mT6_P12ihipStream_tbENKUlT_T0_E_clISt17integral_constantIbLb0EESW_IbLb1EEEEDaSS_ST_EUlSS_E0_NS1_11comp_targetILNS1_3genE2ELNS1_11target_archE906ELNS1_3gpuE6ELNS1_3repE0EEENS1_30default_config_static_selectorELNS0_4arch9wavefront6targetE1EEEvT1_
	.globl	_ZN7rocprim17ROCPRIM_400000_NS6detail17trampoline_kernelINS0_14default_configENS1_20scan_config_selectorItEEZZNS1_9scan_implILNS1_25lookback_scan_determinismE0ELb1ELb1ES3_N6thrust23THRUST_200600_302600_NS6detail15normal_iteratorINS9_10device_ptrItEEEENS9_16discard_iteratorINS9_11use_defaultEEEtNS9_4plusIvEEtEEDaPvRmT3_T4_T5_mT6_P12ihipStream_tbENKUlT_T0_E_clISt17integral_constantIbLb0EESW_IbLb1EEEEDaSS_ST_EUlSS_E0_NS1_11comp_targetILNS1_3genE2ELNS1_11target_archE906ELNS1_3gpuE6ELNS1_3repE0EEENS1_30default_config_static_selectorELNS0_4arch9wavefront6targetE1EEEvT1_
	.p2align	8
	.type	_ZN7rocprim17ROCPRIM_400000_NS6detail17trampoline_kernelINS0_14default_configENS1_20scan_config_selectorItEEZZNS1_9scan_implILNS1_25lookback_scan_determinismE0ELb1ELb1ES3_N6thrust23THRUST_200600_302600_NS6detail15normal_iteratorINS9_10device_ptrItEEEENS9_16discard_iteratorINS9_11use_defaultEEEtNS9_4plusIvEEtEEDaPvRmT3_T4_T5_mT6_P12ihipStream_tbENKUlT_T0_E_clISt17integral_constantIbLb0EESW_IbLb1EEEEDaSS_ST_EUlSS_E0_NS1_11comp_targetILNS1_3genE2ELNS1_11target_archE906ELNS1_3gpuE6ELNS1_3repE0EEENS1_30default_config_static_selectorELNS0_4arch9wavefront6targetE1EEEvT1_,@function
_ZN7rocprim17ROCPRIM_400000_NS6detail17trampoline_kernelINS0_14default_configENS1_20scan_config_selectorItEEZZNS1_9scan_implILNS1_25lookback_scan_determinismE0ELb1ELb1ES3_N6thrust23THRUST_200600_302600_NS6detail15normal_iteratorINS9_10device_ptrItEEEENS9_16discard_iteratorINS9_11use_defaultEEEtNS9_4plusIvEEtEEDaPvRmT3_T4_T5_mT6_P12ihipStream_tbENKUlT_T0_E_clISt17integral_constantIbLb0EESW_IbLb1EEEEDaSS_ST_EUlSS_E0_NS1_11comp_targetILNS1_3genE2ELNS1_11target_archE906ELNS1_3gpuE6ELNS1_3repE0EEENS1_30default_config_static_selectorELNS0_4arch9wavefront6targetE1EEEvT1_: ; @_ZN7rocprim17ROCPRIM_400000_NS6detail17trampoline_kernelINS0_14default_configENS1_20scan_config_selectorItEEZZNS1_9scan_implILNS1_25lookback_scan_determinismE0ELb1ELb1ES3_N6thrust23THRUST_200600_302600_NS6detail15normal_iteratorINS9_10device_ptrItEEEENS9_16discard_iteratorINS9_11use_defaultEEEtNS9_4plusIvEEtEEDaPvRmT3_T4_T5_mT6_P12ihipStream_tbENKUlT_T0_E_clISt17integral_constantIbLb0EESW_IbLb1EEEEDaSS_ST_EUlSS_E0_NS1_11comp_targetILNS1_3genE2ELNS1_11target_archE906ELNS1_3gpuE6ELNS1_3repE0EEENS1_30default_config_static_selectorELNS0_4arch9wavefront6targetE1EEEvT1_
; %bb.0:
	.section	.rodata,"a",@progbits
	.p2align	6, 0x0
	.amdhsa_kernel _ZN7rocprim17ROCPRIM_400000_NS6detail17trampoline_kernelINS0_14default_configENS1_20scan_config_selectorItEEZZNS1_9scan_implILNS1_25lookback_scan_determinismE0ELb1ELb1ES3_N6thrust23THRUST_200600_302600_NS6detail15normal_iteratorINS9_10device_ptrItEEEENS9_16discard_iteratorINS9_11use_defaultEEEtNS9_4plusIvEEtEEDaPvRmT3_T4_T5_mT6_P12ihipStream_tbENKUlT_T0_E_clISt17integral_constantIbLb0EESW_IbLb1EEEEDaSS_ST_EUlSS_E0_NS1_11comp_targetILNS1_3genE2ELNS1_11target_archE906ELNS1_3gpuE6ELNS1_3repE0EEENS1_30default_config_static_selectorELNS0_4arch9wavefront6targetE1EEEvT1_
		.amdhsa_group_segment_fixed_size 0
		.amdhsa_private_segment_fixed_size 0
		.amdhsa_kernarg_size 40
		.amdhsa_user_sgpr_count 6
		.amdhsa_user_sgpr_private_segment_buffer 1
		.amdhsa_user_sgpr_dispatch_ptr 0
		.amdhsa_user_sgpr_queue_ptr 0
		.amdhsa_user_sgpr_kernarg_segment_ptr 1
		.amdhsa_user_sgpr_dispatch_id 0
		.amdhsa_user_sgpr_flat_scratch_init 0
		.amdhsa_user_sgpr_kernarg_preload_length 0
		.amdhsa_user_sgpr_kernarg_preload_offset 0
		.amdhsa_user_sgpr_private_segment_size 0
		.amdhsa_uses_dynamic_stack 0
		.amdhsa_system_sgpr_private_segment_wavefront_offset 0
		.amdhsa_system_sgpr_workgroup_id_x 1
		.amdhsa_system_sgpr_workgroup_id_y 0
		.amdhsa_system_sgpr_workgroup_id_z 0
		.amdhsa_system_sgpr_workgroup_info 0
		.amdhsa_system_vgpr_workitem_id 0
		.amdhsa_next_free_vgpr 1
		.amdhsa_next_free_sgpr 0
		.amdhsa_accum_offset 4
		.amdhsa_reserve_vcc 0
		.amdhsa_reserve_flat_scratch 0
		.amdhsa_float_round_mode_32 0
		.amdhsa_float_round_mode_16_64 0
		.amdhsa_float_denorm_mode_32 3
		.amdhsa_float_denorm_mode_16_64 3
		.amdhsa_dx10_clamp 1
		.amdhsa_ieee_mode 1
		.amdhsa_fp16_overflow 0
		.amdhsa_tg_split 0
		.amdhsa_exception_fp_ieee_invalid_op 0
		.amdhsa_exception_fp_denorm_src 0
		.amdhsa_exception_fp_ieee_div_zero 0
		.amdhsa_exception_fp_ieee_overflow 0
		.amdhsa_exception_fp_ieee_underflow 0
		.amdhsa_exception_fp_ieee_inexact 0
		.amdhsa_exception_int_div_zero 0
	.end_amdhsa_kernel
	.section	.text._ZN7rocprim17ROCPRIM_400000_NS6detail17trampoline_kernelINS0_14default_configENS1_20scan_config_selectorItEEZZNS1_9scan_implILNS1_25lookback_scan_determinismE0ELb1ELb1ES3_N6thrust23THRUST_200600_302600_NS6detail15normal_iteratorINS9_10device_ptrItEEEENS9_16discard_iteratorINS9_11use_defaultEEEtNS9_4plusIvEEtEEDaPvRmT3_T4_T5_mT6_P12ihipStream_tbENKUlT_T0_E_clISt17integral_constantIbLb0EESW_IbLb1EEEEDaSS_ST_EUlSS_E0_NS1_11comp_targetILNS1_3genE2ELNS1_11target_archE906ELNS1_3gpuE6ELNS1_3repE0EEENS1_30default_config_static_selectorELNS0_4arch9wavefront6targetE1EEEvT1_,"axG",@progbits,_ZN7rocprim17ROCPRIM_400000_NS6detail17trampoline_kernelINS0_14default_configENS1_20scan_config_selectorItEEZZNS1_9scan_implILNS1_25lookback_scan_determinismE0ELb1ELb1ES3_N6thrust23THRUST_200600_302600_NS6detail15normal_iteratorINS9_10device_ptrItEEEENS9_16discard_iteratorINS9_11use_defaultEEEtNS9_4plusIvEEtEEDaPvRmT3_T4_T5_mT6_P12ihipStream_tbENKUlT_T0_E_clISt17integral_constantIbLb0EESW_IbLb1EEEEDaSS_ST_EUlSS_E0_NS1_11comp_targetILNS1_3genE2ELNS1_11target_archE906ELNS1_3gpuE6ELNS1_3repE0EEENS1_30default_config_static_selectorELNS0_4arch9wavefront6targetE1EEEvT1_,comdat
.Lfunc_end5577:
	.size	_ZN7rocprim17ROCPRIM_400000_NS6detail17trampoline_kernelINS0_14default_configENS1_20scan_config_selectorItEEZZNS1_9scan_implILNS1_25lookback_scan_determinismE0ELb1ELb1ES3_N6thrust23THRUST_200600_302600_NS6detail15normal_iteratorINS9_10device_ptrItEEEENS9_16discard_iteratorINS9_11use_defaultEEEtNS9_4plusIvEEtEEDaPvRmT3_T4_T5_mT6_P12ihipStream_tbENKUlT_T0_E_clISt17integral_constantIbLb0EESW_IbLb1EEEEDaSS_ST_EUlSS_E0_NS1_11comp_targetILNS1_3genE2ELNS1_11target_archE906ELNS1_3gpuE6ELNS1_3repE0EEENS1_30default_config_static_selectorELNS0_4arch9wavefront6targetE1EEEvT1_, .Lfunc_end5577-_ZN7rocprim17ROCPRIM_400000_NS6detail17trampoline_kernelINS0_14default_configENS1_20scan_config_selectorItEEZZNS1_9scan_implILNS1_25lookback_scan_determinismE0ELb1ELb1ES3_N6thrust23THRUST_200600_302600_NS6detail15normal_iteratorINS9_10device_ptrItEEEENS9_16discard_iteratorINS9_11use_defaultEEEtNS9_4plusIvEEtEEDaPvRmT3_T4_T5_mT6_P12ihipStream_tbENKUlT_T0_E_clISt17integral_constantIbLb0EESW_IbLb1EEEEDaSS_ST_EUlSS_E0_NS1_11comp_targetILNS1_3genE2ELNS1_11target_archE906ELNS1_3gpuE6ELNS1_3repE0EEENS1_30default_config_static_selectorELNS0_4arch9wavefront6targetE1EEEvT1_
                                        ; -- End function
	.section	.AMDGPU.csdata,"",@progbits
; Kernel info:
; codeLenInByte = 0
; NumSgprs: 4
; NumVgprs: 0
; NumAgprs: 0
; TotalNumVgprs: 0
; ScratchSize: 0
; MemoryBound: 0
; FloatMode: 240
; IeeeMode: 1
; LDSByteSize: 0 bytes/workgroup (compile time only)
; SGPRBlocks: 0
; VGPRBlocks: 0
; NumSGPRsForWavesPerEU: 4
; NumVGPRsForWavesPerEU: 1
; AccumOffset: 4
; Occupancy: 8
; WaveLimiterHint : 0
; COMPUTE_PGM_RSRC2:SCRATCH_EN: 0
; COMPUTE_PGM_RSRC2:USER_SGPR: 6
; COMPUTE_PGM_RSRC2:TRAP_HANDLER: 0
; COMPUTE_PGM_RSRC2:TGID_X_EN: 1
; COMPUTE_PGM_RSRC2:TGID_Y_EN: 0
; COMPUTE_PGM_RSRC2:TGID_Z_EN: 0
; COMPUTE_PGM_RSRC2:TIDIG_COMP_CNT: 0
; COMPUTE_PGM_RSRC3_GFX90A:ACCUM_OFFSET: 0
; COMPUTE_PGM_RSRC3_GFX90A:TG_SPLIT: 0
	.section	.text._ZN7rocprim17ROCPRIM_400000_NS6detail17trampoline_kernelINS0_14default_configENS1_20scan_config_selectorItEEZZNS1_9scan_implILNS1_25lookback_scan_determinismE0ELb1ELb1ES3_N6thrust23THRUST_200600_302600_NS6detail15normal_iteratorINS9_10device_ptrItEEEENS9_16discard_iteratorINS9_11use_defaultEEEtNS9_4plusIvEEtEEDaPvRmT3_T4_T5_mT6_P12ihipStream_tbENKUlT_T0_E_clISt17integral_constantIbLb0EESW_IbLb1EEEEDaSS_ST_EUlSS_E0_NS1_11comp_targetILNS1_3genE10ELNS1_11target_archE1201ELNS1_3gpuE5ELNS1_3repE0EEENS1_30default_config_static_selectorELNS0_4arch9wavefront6targetE1EEEvT1_,"axG",@progbits,_ZN7rocprim17ROCPRIM_400000_NS6detail17trampoline_kernelINS0_14default_configENS1_20scan_config_selectorItEEZZNS1_9scan_implILNS1_25lookback_scan_determinismE0ELb1ELb1ES3_N6thrust23THRUST_200600_302600_NS6detail15normal_iteratorINS9_10device_ptrItEEEENS9_16discard_iteratorINS9_11use_defaultEEEtNS9_4plusIvEEtEEDaPvRmT3_T4_T5_mT6_P12ihipStream_tbENKUlT_T0_E_clISt17integral_constantIbLb0EESW_IbLb1EEEEDaSS_ST_EUlSS_E0_NS1_11comp_targetILNS1_3genE10ELNS1_11target_archE1201ELNS1_3gpuE5ELNS1_3repE0EEENS1_30default_config_static_selectorELNS0_4arch9wavefront6targetE1EEEvT1_,comdat
	.protected	_ZN7rocprim17ROCPRIM_400000_NS6detail17trampoline_kernelINS0_14default_configENS1_20scan_config_selectorItEEZZNS1_9scan_implILNS1_25lookback_scan_determinismE0ELb1ELb1ES3_N6thrust23THRUST_200600_302600_NS6detail15normal_iteratorINS9_10device_ptrItEEEENS9_16discard_iteratorINS9_11use_defaultEEEtNS9_4plusIvEEtEEDaPvRmT3_T4_T5_mT6_P12ihipStream_tbENKUlT_T0_E_clISt17integral_constantIbLb0EESW_IbLb1EEEEDaSS_ST_EUlSS_E0_NS1_11comp_targetILNS1_3genE10ELNS1_11target_archE1201ELNS1_3gpuE5ELNS1_3repE0EEENS1_30default_config_static_selectorELNS0_4arch9wavefront6targetE1EEEvT1_ ; -- Begin function _ZN7rocprim17ROCPRIM_400000_NS6detail17trampoline_kernelINS0_14default_configENS1_20scan_config_selectorItEEZZNS1_9scan_implILNS1_25lookback_scan_determinismE0ELb1ELb1ES3_N6thrust23THRUST_200600_302600_NS6detail15normal_iteratorINS9_10device_ptrItEEEENS9_16discard_iteratorINS9_11use_defaultEEEtNS9_4plusIvEEtEEDaPvRmT3_T4_T5_mT6_P12ihipStream_tbENKUlT_T0_E_clISt17integral_constantIbLb0EESW_IbLb1EEEEDaSS_ST_EUlSS_E0_NS1_11comp_targetILNS1_3genE10ELNS1_11target_archE1201ELNS1_3gpuE5ELNS1_3repE0EEENS1_30default_config_static_selectorELNS0_4arch9wavefront6targetE1EEEvT1_
	.globl	_ZN7rocprim17ROCPRIM_400000_NS6detail17trampoline_kernelINS0_14default_configENS1_20scan_config_selectorItEEZZNS1_9scan_implILNS1_25lookback_scan_determinismE0ELb1ELb1ES3_N6thrust23THRUST_200600_302600_NS6detail15normal_iteratorINS9_10device_ptrItEEEENS9_16discard_iteratorINS9_11use_defaultEEEtNS9_4plusIvEEtEEDaPvRmT3_T4_T5_mT6_P12ihipStream_tbENKUlT_T0_E_clISt17integral_constantIbLb0EESW_IbLb1EEEEDaSS_ST_EUlSS_E0_NS1_11comp_targetILNS1_3genE10ELNS1_11target_archE1201ELNS1_3gpuE5ELNS1_3repE0EEENS1_30default_config_static_selectorELNS0_4arch9wavefront6targetE1EEEvT1_
	.p2align	8
	.type	_ZN7rocprim17ROCPRIM_400000_NS6detail17trampoline_kernelINS0_14default_configENS1_20scan_config_selectorItEEZZNS1_9scan_implILNS1_25lookback_scan_determinismE0ELb1ELb1ES3_N6thrust23THRUST_200600_302600_NS6detail15normal_iteratorINS9_10device_ptrItEEEENS9_16discard_iteratorINS9_11use_defaultEEEtNS9_4plusIvEEtEEDaPvRmT3_T4_T5_mT6_P12ihipStream_tbENKUlT_T0_E_clISt17integral_constantIbLb0EESW_IbLb1EEEEDaSS_ST_EUlSS_E0_NS1_11comp_targetILNS1_3genE10ELNS1_11target_archE1201ELNS1_3gpuE5ELNS1_3repE0EEENS1_30default_config_static_selectorELNS0_4arch9wavefront6targetE1EEEvT1_,@function
_ZN7rocprim17ROCPRIM_400000_NS6detail17trampoline_kernelINS0_14default_configENS1_20scan_config_selectorItEEZZNS1_9scan_implILNS1_25lookback_scan_determinismE0ELb1ELb1ES3_N6thrust23THRUST_200600_302600_NS6detail15normal_iteratorINS9_10device_ptrItEEEENS9_16discard_iteratorINS9_11use_defaultEEEtNS9_4plusIvEEtEEDaPvRmT3_T4_T5_mT6_P12ihipStream_tbENKUlT_T0_E_clISt17integral_constantIbLb0EESW_IbLb1EEEEDaSS_ST_EUlSS_E0_NS1_11comp_targetILNS1_3genE10ELNS1_11target_archE1201ELNS1_3gpuE5ELNS1_3repE0EEENS1_30default_config_static_selectorELNS0_4arch9wavefront6targetE1EEEvT1_: ; @_ZN7rocprim17ROCPRIM_400000_NS6detail17trampoline_kernelINS0_14default_configENS1_20scan_config_selectorItEEZZNS1_9scan_implILNS1_25lookback_scan_determinismE0ELb1ELb1ES3_N6thrust23THRUST_200600_302600_NS6detail15normal_iteratorINS9_10device_ptrItEEEENS9_16discard_iteratorINS9_11use_defaultEEEtNS9_4plusIvEEtEEDaPvRmT3_T4_T5_mT6_P12ihipStream_tbENKUlT_T0_E_clISt17integral_constantIbLb0EESW_IbLb1EEEEDaSS_ST_EUlSS_E0_NS1_11comp_targetILNS1_3genE10ELNS1_11target_archE1201ELNS1_3gpuE5ELNS1_3repE0EEENS1_30default_config_static_selectorELNS0_4arch9wavefront6targetE1EEEvT1_
; %bb.0:
	.section	.rodata,"a",@progbits
	.p2align	6, 0x0
	.amdhsa_kernel _ZN7rocprim17ROCPRIM_400000_NS6detail17trampoline_kernelINS0_14default_configENS1_20scan_config_selectorItEEZZNS1_9scan_implILNS1_25lookback_scan_determinismE0ELb1ELb1ES3_N6thrust23THRUST_200600_302600_NS6detail15normal_iteratorINS9_10device_ptrItEEEENS9_16discard_iteratorINS9_11use_defaultEEEtNS9_4plusIvEEtEEDaPvRmT3_T4_T5_mT6_P12ihipStream_tbENKUlT_T0_E_clISt17integral_constantIbLb0EESW_IbLb1EEEEDaSS_ST_EUlSS_E0_NS1_11comp_targetILNS1_3genE10ELNS1_11target_archE1201ELNS1_3gpuE5ELNS1_3repE0EEENS1_30default_config_static_selectorELNS0_4arch9wavefront6targetE1EEEvT1_
		.amdhsa_group_segment_fixed_size 0
		.amdhsa_private_segment_fixed_size 0
		.amdhsa_kernarg_size 40
		.amdhsa_user_sgpr_count 6
		.amdhsa_user_sgpr_private_segment_buffer 1
		.amdhsa_user_sgpr_dispatch_ptr 0
		.amdhsa_user_sgpr_queue_ptr 0
		.amdhsa_user_sgpr_kernarg_segment_ptr 1
		.amdhsa_user_sgpr_dispatch_id 0
		.amdhsa_user_sgpr_flat_scratch_init 0
		.amdhsa_user_sgpr_kernarg_preload_length 0
		.amdhsa_user_sgpr_kernarg_preload_offset 0
		.amdhsa_user_sgpr_private_segment_size 0
		.amdhsa_uses_dynamic_stack 0
		.amdhsa_system_sgpr_private_segment_wavefront_offset 0
		.amdhsa_system_sgpr_workgroup_id_x 1
		.amdhsa_system_sgpr_workgroup_id_y 0
		.amdhsa_system_sgpr_workgroup_id_z 0
		.amdhsa_system_sgpr_workgroup_info 0
		.amdhsa_system_vgpr_workitem_id 0
		.amdhsa_next_free_vgpr 1
		.amdhsa_next_free_sgpr 0
		.amdhsa_accum_offset 4
		.amdhsa_reserve_vcc 0
		.amdhsa_reserve_flat_scratch 0
		.amdhsa_float_round_mode_32 0
		.amdhsa_float_round_mode_16_64 0
		.amdhsa_float_denorm_mode_32 3
		.amdhsa_float_denorm_mode_16_64 3
		.amdhsa_dx10_clamp 1
		.amdhsa_ieee_mode 1
		.amdhsa_fp16_overflow 0
		.amdhsa_tg_split 0
		.amdhsa_exception_fp_ieee_invalid_op 0
		.amdhsa_exception_fp_denorm_src 0
		.amdhsa_exception_fp_ieee_div_zero 0
		.amdhsa_exception_fp_ieee_overflow 0
		.amdhsa_exception_fp_ieee_underflow 0
		.amdhsa_exception_fp_ieee_inexact 0
		.amdhsa_exception_int_div_zero 0
	.end_amdhsa_kernel
	.section	.text._ZN7rocprim17ROCPRIM_400000_NS6detail17trampoline_kernelINS0_14default_configENS1_20scan_config_selectorItEEZZNS1_9scan_implILNS1_25lookback_scan_determinismE0ELb1ELb1ES3_N6thrust23THRUST_200600_302600_NS6detail15normal_iteratorINS9_10device_ptrItEEEENS9_16discard_iteratorINS9_11use_defaultEEEtNS9_4plusIvEEtEEDaPvRmT3_T4_T5_mT6_P12ihipStream_tbENKUlT_T0_E_clISt17integral_constantIbLb0EESW_IbLb1EEEEDaSS_ST_EUlSS_E0_NS1_11comp_targetILNS1_3genE10ELNS1_11target_archE1201ELNS1_3gpuE5ELNS1_3repE0EEENS1_30default_config_static_selectorELNS0_4arch9wavefront6targetE1EEEvT1_,"axG",@progbits,_ZN7rocprim17ROCPRIM_400000_NS6detail17trampoline_kernelINS0_14default_configENS1_20scan_config_selectorItEEZZNS1_9scan_implILNS1_25lookback_scan_determinismE0ELb1ELb1ES3_N6thrust23THRUST_200600_302600_NS6detail15normal_iteratorINS9_10device_ptrItEEEENS9_16discard_iteratorINS9_11use_defaultEEEtNS9_4plusIvEEtEEDaPvRmT3_T4_T5_mT6_P12ihipStream_tbENKUlT_T0_E_clISt17integral_constantIbLb0EESW_IbLb1EEEEDaSS_ST_EUlSS_E0_NS1_11comp_targetILNS1_3genE10ELNS1_11target_archE1201ELNS1_3gpuE5ELNS1_3repE0EEENS1_30default_config_static_selectorELNS0_4arch9wavefront6targetE1EEEvT1_,comdat
.Lfunc_end5578:
	.size	_ZN7rocprim17ROCPRIM_400000_NS6detail17trampoline_kernelINS0_14default_configENS1_20scan_config_selectorItEEZZNS1_9scan_implILNS1_25lookback_scan_determinismE0ELb1ELb1ES3_N6thrust23THRUST_200600_302600_NS6detail15normal_iteratorINS9_10device_ptrItEEEENS9_16discard_iteratorINS9_11use_defaultEEEtNS9_4plusIvEEtEEDaPvRmT3_T4_T5_mT6_P12ihipStream_tbENKUlT_T0_E_clISt17integral_constantIbLb0EESW_IbLb1EEEEDaSS_ST_EUlSS_E0_NS1_11comp_targetILNS1_3genE10ELNS1_11target_archE1201ELNS1_3gpuE5ELNS1_3repE0EEENS1_30default_config_static_selectorELNS0_4arch9wavefront6targetE1EEEvT1_, .Lfunc_end5578-_ZN7rocprim17ROCPRIM_400000_NS6detail17trampoline_kernelINS0_14default_configENS1_20scan_config_selectorItEEZZNS1_9scan_implILNS1_25lookback_scan_determinismE0ELb1ELb1ES3_N6thrust23THRUST_200600_302600_NS6detail15normal_iteratorINS9_10device_ptrItEEEENS9_16discard_iteratorINS9_11use_defaultEEEtNS9_4plusIvEEtEEDaPvRmT3_T4_T5_mT6_P12ihipStream_tbENKUlT_T0_E_clISt17integral_constantIbLb0EESW_IbLb1EEEEDaSS_ST_EUlSS_E0_NS1_11comp_targetILNS1_3genE10ELNS1_11target_archE1201ELNS1_3gpuE5ELNS1_3repE0EEENS1_30default_config_static_selectorELNS0_4arch9wavefront6targetE1EEEvT1_
                                        ; -- End function
	.section	.AMDGPU.csdata,"",@progbits
; Kernel info:
; codeLenInByte = 0
; NumSgprs: 4
; NumVgprs: 0
; NumAgprs: 0
; TotalNumVgprs: 0
; ScratchSize: 0
; MemoryBound: 0
; FloatMode: 240
; IeeeMode: 1
; LDSByteSize: 0 bytes/workgroup (compile time only)
; SGPRBlocks: 0
; VGPRBlocks: 0
; NumSGPRsForWavesPerEU: 4
; NumVGPRsForWavesPerEU: 1
; AccumOffset: 4
; Occupancy: 8
; WaveLimiterHint : 0
; COMPUTE_PGM_RSRC2:SCRATCH_EN: 0
; COMPUTE_PGM_RSRC2:USER_SGPR: 6
; COMPUTE_PGM_RSRC2:TRAP_HANDLER: 0
; COMPUTE_PGM_RSRC2:TGID_X_EN: 1
; COMPUTE_PGM_RSRC2:TGID_Y_EN: 0
; COMPUTE_PGM_RSRC2:TGID_Z_EN: 0
; COMPUTE_PGM_RSRC2:TIDIG_COMP_CNT: 0
; COMPUTE_PGM_RSRC3_GFX90A:ACCUM_OFFSET: 0
; COMPUTE_PGM_RSRC3_GFX90A:TG_SPLIT: 0
	.section	.text._ZN7rocprim17ROCPRIM_400000_NS6detail17trampoline_kernelINS0_14default_configENS1_20scan_config_selectorItEEZZNS1_9scan_implILNS1_25lookback_scan_determinismE0ELb1ELb1ES3_N6thrust23THRUST_200600_302600_NS6detail15normal_iteratorINS9_10device_ptrItEEEENS9_16discard_iteratorINS9_11use_defaultEEEtNS9_4plusIvEEtEEDaPvRmT3_T4_T5_mT6_P12ihipStream_tbENKUlT_T0_E_clISt17integral_constantIbLb0EESW_IbLb1EEEEDaSS_ST_EUlSS_E0_NS1_11comp_targetILNS1_3genE10ELNS1_11target_archE1200ELNS1_3gpuE4ELNS1_3repE0EEENS1_30default_config_static_selectorELNS0_4arch9wavefront6targetE1EEEvT1_,"axG",@progbits,_ZN7rocprim17ROCPRIM_400000_NS6detail17trampoline_kernelINS0_14default_configENS1_20scan_config_selectorItEEZZNS1_9scan_implILNS1_25lookback_scan_determinismE0ELb1ELb1ES3_N6thrust23THRUST_200600_302600_NS6detail15normal_iteratorINS9_10device_ptrItEEEENS9_16discard_iteratorINS9_11use_defaultEEEtNS9_4plusIvEEtEEDaPvRmT3_T4_T5_mT6_P12ihipStream_tbENKUlT_T0_E_clISt17integral_constantIbLb0EESW_IbLb1EEEEDaSS_ST_EUlSS_E0_NS1_11comp_targetILNS1_3genE10ELNS1_11target_archE1200ELNS1_3gpuE4ELNS1_3repE0EEENS1_30default_config_static_selectorELNS0_4arch9wavefront6targetE1EEEvT1_,comdat
	.protected	_ZN7rocprim17ROCPRIM_400000_NS6detail17trampoline_kernelINS0_14default_configENS1_20scan_config_selectorItEEZZNS1_9scan_implILNS1_25lookback_scan_determinismE0ELb1ELb1ES3_N6thrust23THRUST_200600_302600_NS6detail15normal_iteratorINS9_10device_ptrItEEEENS9_16discard_iteratorINS9_11use_defaultEEEtNS9_4plusIvEEtEEDaPvRmT3_T4_T5_mT6_P12ihipStream_tbENKUlT_T0_E_clISt17integral_constantIbLb0EESW_IbLb1EEEEDaSS_ST_EUlSS_E0_NS1_11comp_targetILNS1_3genE10ELNS1_11target_archE1200ELNS1_3gpuE4ELNS1_3repE0EEENS1_30default_config_static_selectorELNS0_4arch9wavefront6targetE1EEEvT1_ ; -- Begin function _ZN7rocprim17ROCPRIM_400000_NS6detail17trampoline_kernelINS0_14default_configENS1_20scan_config_selectorItEEZZNS1_9scan_implILNS1_25lookback_scan_determinismE0ELb1ELb1ES3_N6thrust23THRUST_200600_302600_NS6detail15normal_iteratorINS9_10device_ptrItEEEENS9_16discard_iteratorINS9_11use_defaultEEEtNS9_4plusIvEEtEEDaPvRmT3_T4_T5_mT6_P12ihipStream_tbENKUlT_T0_E_clISt17integral_constantIbLb0EESW_IbLb1EEEEDaSS_ST_EUlSS_E0_NS1_11comp_targetILNS1_3genE10ELNS1_11target_archE1200ELNS1_3gpuE4ELNS1_3repE0EEENS1_30default_config_static_selectorELNS0_4arch9wavefront6targetE1EEEvT1_
	.globl	_ZN7rocprim17ROCPRIM_400000_NS6detail17trampoline_kernelINS0_14default_configENS1_20scan_config_selectorItEEZZNS1_9scan_implILNS1_25lookback_scan_determinismE0ELb1ELb1ES3_N6thrust23THRUST_200600_302600_NS6detail15normal_iteratorINS9_10device_ptrItEEEENS9_16discard_iteratorINS9_11use_defaultEEEtNS9_4plusIvEEtEEDaPvRmT3_T4_T5_mT6_P12ihipStream_tbENKUlT_T0_E_clISt17integral_constantIbLb0EESW_IbLb1EEEEDaSS_ST_EUlSS_E0_NS1_11comp_targetILNS1_3genE10ELNS1_11target_archE1200ELNS1_3gpuE4ELNS1_3repE0EEENS1_30default_config_static_selectorELNS0_4arch9wavefront6targetE1EEEvT1_
	.p2align	8
	.type	_ZN7rocprim17ROCPRIM_400000_NS6detail17trampoline_kernelINS0_14default_configENS1_20scan_config_selectorItEEZZNS1_9scan_implILNS1_25lookback_scan_determinismE0ELb1ELb1ES3_N6thrust23THRUST_200600_302600_NS6detail15normal_iteratorINS9_10device_ptrItEEEENS9_16discard_iteratorINS9_11use_defaultEEEtNS9_4plusIvEEtEEDaPvRmT3_T4_T5_mT6_P12ihipStream_tbENKUlT_T0_E_clISt17integral_constantIbLb0EESW_IbLb1EEEEDaSS_ST_EUlSS_E0_NS1_11comp_targetILNS1_3genE10ELNS1_11target_archE1200ELNS1_3gpuE4ELNS1_3repE0EEENS1_30default_config_static_selectorELNS0_4arch9wavefront6targetE1EEEvT1_,@function
_ZN7rocprim17ROCPRIM_400000_NS6detail17trampoline_kernelINS0_14default_configENS1_20scan_config_selectorItEEZZNS1_9scan_implILNS1_25lookback_scan_determinismE0ELb1ELb1ES3_N6thrust23THRUST_200600_302600_NS6detail15normal_iteratorINS9_10device_ptrItEEEENS9_16discard_iteratorINS9_11use_defaultEEEtNS9_4plusIvEEtEEDaPvRmT3_T4_T5_mT6_P12ihipStream_tbENKUlT_T0_E_clISt17integral_constantIbLb0EESW_IbLb1EEEEDaSS_ST_EUlSS_E0_NS1_11comp_targetILNS1_3genE10ELNS1_11target_archE1200ELNS1_3gpuE4ELNS1_3repE0EEENS1_30default_config_static_selectorELNS0_4arch9wavefront6targetE1EEEvT1_: ; @_ZN7rocprim17ROCPRIM_400000_NS6detail17trampoline_kernelINS0_14default_configENS1_20scan_config_selectorItEEZZNS1_9scan_implILNS1_25lookback_scan_determinismE0ELb1ELb1ES3_N6thrust23THRUST_200600_302600_NS6detail15normal_iteratorINS9_10device_ptrItEEEENS9_16discard_iteratorINS9_11use_defaultEEEtNS9_4plusIvEEtEEDaPvRmT3_T4_T5_mT6_P12ihipStream_tbENKUlT_T0_E_clISt17integral_constantIbLb0EESW_IbLb1EEEEDaSS_ST_EUlSS_E0_NS1_11comp_targetILNS1_3genE10ELNS1_11target_archE1200ELNS1_3gpuE4ELNS1_3repE0EEENS1_30default_config_static_selectorELNS0_4arch9wavefront6targetE1EEEvT1_
; %bb.0:
	.section	.rodata,"a",@progbits
	.p2align	6, 0x0
	.amdhsa_kernel _ZN7rocprim17ROCPRIM_400000_NS6detail17trampoline_kernelINS0_14default_configENS1_20scan_config_selectorItEEZZNS1_9scan_implILNS1_25lookback_scan_determinismE0ELb1ELb1ES3_N6thrust23THRUST_200600_302600_NS6detail15normal_iteratorINS9_10device_ptrItEEEENS9_16discard_iteratorINS9_11use_defaultEEEtNS9_4plusIvEEtEEDaPvRmT3_T4_T5_mT6_P12ihipStream_tbENKUlT_T0_E_clISt17integral_constantIbLb0EESW_IbLb1EEEEDaSS_ST_EUlSS_E0_NS1_11comp_targetILNS1_3genE10ELNS1_11target_archE1200ELNS1_3gpuE4ELNS1_3repE0EEENS1_30default_config_static_selectorELNS0_4arch9wavefront6targetE1EEEvT1_
		.amdhsa_group_segment_fixed_size 0
		.amdhsa_private_segment_fixed_size 0
		.amdhsa_kernarg_size 40
		.amdhsa_user_sgpr_count 6
		.amdhsa_user_sgpr_private_segment_buffer 1
		.amdhsa_user_sgpr_dispatch_ptr 0
		.amdhsa_user_sgpr_queue_ptr 0
		.amdhsa_user_sgpr_kernarg_segment_ptr 1
		.amdhsa_user_sgpr_dispatch_id 0
		.amdhsa_user_sgpr_flat_scratch_init 0
		.amdhsa_user_sgpr_kernarg_preload_length 0
		.amdhsa_user_sgpr_kernarg_preload_offset 0
		.amdhsa_user_sgpr_private_segment_size 0
		.amdhsa_uses_dynamic_stack 0
		.amdhsa_system_sgpr_private_segment_wavefront_offset 0
		.amdhsa_system_sgpr_workgroup_id_x 1
		.amdhsa_system_sgpr_workgroup_id_y 0
		.amdhsa_system_sgpr_workgroup_id_z 0
		.amdhsa_system_sgpr_workgroup_info 0
		.amdhsa_system_vgpr_workitem_id 0
		.amdhsa_next_free_vgpr 1
		.amdhsa_next_free_sgpr 0
		.amdhsa_accum_offset 4
		.amdhsa_reserve_vcc 0
		.amdhsa_reserve_flat_scratch 0
		.amdhsa_float_round_mode_32 0
		.amdhsa_float_round_mode_16_64 0
		.amdhsa_float_denorm_mode_32 3
		.amdhsa_float_denorm_mode_16_64 3
		.amdhsa_dx10_clamp 1
		.amdhsa_ieee_mode 1
		.amdhsa_fp16_overflow 0
		.amdhsa_tg_split 0
		.amdhsa_exception_fp_ieee_invalid_op 0
		.amdhsa_exception_fp_denorm_src 0
		.amdhsa_exception_fp_ieee_div_zero 0
		.amdhsa_exception_fp_ieee_overflow 0
		.amdhsa_exception_fp_ieee_underflow 0
		.amdhsa_exception_fp_ieee_inexact 0
		.amdhsa_exception_int_div_zero 0
	.end_amdhsa_kernel
	.section	.text._ZN7rocprim17ROCPRIM_400000_NS6detail17trampoline_kernelINS0_14default_configENS1_20scan_config_selectorItEEZZNS1_9scan_implILNS1_25lookback_scan_determinismE0ELb1ELb1ES3_N6thrust23THRUST_200600_302600_NS6detail15normal_iteratorINS9_10device_ptrItEEEENS9_16discard_iteratorINS9_11use_defaultEEEtNS9_4plusIvEEtEEDaPvRmT3_T4_T5_mT6_P12ihipStream_tbENKUlT_T0_E_clISt17integral_constantIbLb0EESW_IbLb1EEEEDaSS_ST_EUlSS_E0_NS1_11comp_targetILNS1_3genE10ELNS1_11target_archE1200ELNS1_3gpuE4ELNS1_3repE0EEENS1_30default_config_static_selectorELNS0_4arch9wavefront6targetE1EEEvT1_,"axG",@progbits,_ZN7rocprim17ROCPRIM_400000_NS6detail17trampoline_kernelINS0_14default_configENS1_20scan_config_selectorItEEZZNS1_9scan_implILNS1_25lookback_scan_determinismE0ELb1ELb1ES3_N6thrust23THRUST_200600_302600_NS6detail15normal_iteratorINS9_10device_ptrItEEEENS9_16discard_iteratorINS9_11use_defaultEEEtNS9_4plusIvEEtEEDaPvRmT3_T4_T5_mT6_P12ihipStream_tbENKUlT_T0_E_clISt17integral_constantIbLb0EESW_IbLb1EEEEDaSS_ST_EUlSS_E0_NS1_11comp_targetILNS1_3genE10ELNS1_11target_archE1200ELNS1_3gpuE4ELNS1_3repE0EEENS1_30default_config_static_selectorELNS0_4arch9wavefront6targetE1EEEvT1_,comdat
.Lfunc_end5579:
	.size	_ZN7rocprim17ROCPRIM_400000_NS6detail17trampoline_kernelINS0_14default_configENS1_20scan_config_selectorItEEZZNS1_9scan_implILNS1_25lookback_scan_determinismE0ELb1ELb1ES3_N6thrust23THRUST_200600_302600_NS6detail15normal_iteratorINS9_10device_ptrItEEEENS9_16discard_iteratorINS9_11use_defaultEEEtNS9_4plusIvEEtEEDaPvRmT3_T4_T5_mT6_P12ihipStream_tbENKUlT_T0_E_clISt17integral_constantIbLb0EESW_IbLb1EEEEDaSS_ST_EUlSS_E0_NS1_11comp_targetILNS1_3genE10ELNS1_11target_archE1200ELNS1_3gpuE4ELNS1_3repE0EEENS1_30default_config_static_selectorELNS0_4arch9wavefront6targetE1EEEvT1_, .Lfunc_end5579-_ZN7rocprim17ROCPRIM_400000_NS6detail17trampoline_kernelINS0_14default_configENS1_20scan_config_selectorItEEZZNS1_9scan_implILNS1_25lookback_scan_determinismE0ELb1ELb1ES3_N6thrust23THRUST_200600_302600_NS6detail15normal_iteratorINS9_10device_ptrItEEEENS9_16discard_iteratorINS9_11use_defaultEEEtNS9_4plusIvEEtEEDaPvRmT3_T4_T5_mT6_P12ihipStream_tbENKUlT_T0_E_clISt17integral_constantIbLb0EESW_IbLb1EEEEDaSS_ST_EUlSS_E0_NS1_11comp_targetILNS1_3genE10ELNS1_11target_archE1200ELNS1_3gpuE4ELNS1_3repE0EEENS1_30default_config_static_selectorELNS0_4arch9wavefront6targetE1EEEvT1_
                                        ; -- End function
	.section	.AMDGPU.csdata,"",@progbits
; Kernel info:
; codeLenInByte = 0
; NumSgprs: 4
; NumVgprs: 0
; NumAgprs: 0
; TotalNumVgprs: 0
; ScratchSize: 0
; MemoryBound: 0
; FloatMode: 240
; IeeeMode: 1
; LDSByteSize: 0 bytes/workgroup (compile time only)
; SGPRBlocks: 0
; VGPRBlocks: 0
; NumSGPRsForWavesPerEU: 4
; NumVGPRsForWavesPerEU: 1
; AccumOffset: 4
; Occupancy: 8
; WaveLimiterHint : 0
; COMPUTE_PGM_RSRC2:SCRATCH_EN: 0
; COMPUTE_PGM_RSRC2:USER_SGPR: 6
; COMPUTE_PGM_RSRC2:TRAP_HANDLER: 0
; COMPUTE_PGM_RSRC2:TGID_X_EN: 1
; COMPUTE_PGM_RSRC2:TGID_Y_EN: 0
; COMPUTE_PGM_RSRC2:TGID_Z_EN: 0
; COMPUTE_PGM_RSRC2:TIDIG_COMP_CNT: 0
; COMPUTE_PGM_RSRC3_GFX90A:ACCUM_OFFSET: 0
; COMPUTE_PGM_RSRC3_GFX90A:TG_SPLIT: 0
	.section	.text._ZN7rocprim17ROCPRIM_400000_NS6detail17trampoline_kernelINS0_14default_configENS1_20scan_config_selectorItEEZZNS1_9scan_implILNS1_25lookback_scan_determinismE0ELb1ELb1ES3_N6thrust23THRUST_200600_302600_NS6detail15normal_iteratorINS9_10device_ptrItEEEENS9_16discard_iteratorINS9_11use_defaultEEEtNS9_4plusIvEEtEEDaPvRmT3_T4_T5_mT6_P12ihipStream_tbENKUlT_T0_E_clISt17integral_constantIbLb0EESW_IbLb1EEEEDaSS_ST_EUlSS_E0_NS1_11comp_targetILNS1_3genE9ELNS1_11target_archE1100ELNS1_3gpuE3ELNS1_3repE0EEENS1_30default_config_static_selectorELNS0_4arch9wavefront6targetE1EEEvT1_,"axG",@progbits,_ZN7rocprim17ROCPRIM_400000_NS6detail17trampoline_kernelINS0_14default_configENS1_20scan_config_selectorItEEZZNS1_9scan_implILNS1_25lookback_scan_determinismE0ELb1ELb1ES3_N6thrust23THRUST_200600_302600_NS6detail15normal_iteratorINS9_10device_ptrItEEEENS9_16discard_iteratorINS9_11use_defaultEEEtNS9_4plusIvEEtEEDaPvRmT3_T4_T5_mT6_P12ihipStream_tbENKUlT_T0_E_clISt17integral_constantIbLb0EESW_IbLb1EEEEDaSS_ST_EUlSS_E0_NS1_11comp_targetILNS1_3genE9ELNS1_11target_archE1100ELNS1_3gpuE3ELNS1_3repE0EEENS1_30default_config_static_selectorELNS0_4arch9wavefront6targetE1EEEvT1_,comdat
	.protected	_ZN7rocprim17ROCPRIM_400000_NS6detail17trampoline_kernelINS0_14default_configENS1_20scan_config_selectorItEEZZNS1_9scan_implILNS1_25lookback_scan_determinismE0ELb1ELb1ES3_N6thrust23THRUST_200600_302600_NS6detail15normal_iteratorINS9_10device_ptrItEEEENS9_16discard_iteratorINS9_11use_defaultEEEtNS9_4plusIvEEtEEDaPvRmT3_T4_T5_mT6_P12ihipStream_tbENKUlT_T0_E_clISt17integral_constantIbLb0EESW_IbLb1EEEEDaSS_ST_EUlSS_E0_NS1_11comp_targetILNS1_3genE9ELNS1_11target_archE1100ELNS1_3gpuE3ELNS1_3repE0EEENS1_30default_config_static_selectorELNS0_4arch9wavefront6targetE1EEEvT1_ ; -- Begin function _ZN7rocprim17ROCPRIM_400000_NS6detail17trampoline_kernelINS0_14default_configENS1_20scan_config_selectorItEEZZNS1_9scan_implILNS1_25lookback_scan_determinismE0ELb1ELb1ES3_N6thrust23THRUST_200600_302600_NS6detail15normal_iteratorINS9_10device_ptrItEEEENS9_16discard_iteratorINS9_11use_defaultEEEtNS9_4plusIvEEtEEDaPvRmT3_T4_T5_mT6_P12ihipStream_tbENKUlT_T0_E_clISt17integral_constantIbLb0EESW_IbLb1EEEEDaSS_ST_EUlSS_E0_NS1_11comp_targetILNS1_3genE9ELNS1_11target_archE1100ELNS1_3gpuE3ELNS1_3repE0EEENS1_30default_config_static_selectorELNS0_4arch9wavefront6targetE1EEEvT1_
	.globl	_ZN7rocprim17ROCPRIM_400000_NS6detail17trampoline_kernelINS0_14default_configENS1_20scan_config_selectorItEEZZNS1_9scan_implILNS1_25lookback_scan_determinismE0ELb1ELb1ES3_N6thrust23THRUST_200600_302600_NS6detail15normal_iteratorINS9_10device_ptrItEEEENS9_16discard_iteratorINS9_11use_defaultEEEtNS9_4plusIvEEtEEDaPvRmT3_T4_T5_mT6_P12ihipStream_tbENKUlT_T0_E_clISt17integral_constantIbLb0EESW_IbLb1EEEEDaSS_ST_EUlSS_E0_NS1_11comp_targetILNS1_3genE9ELNS1_11target_archE1100ELNS1_3gpuE3ELNS1_3repE0EEENS1_30default_config_static_selectorELNS0_4arch9wavefront6targetE1EEEvT1_
	.p2align	8
	.type	_ZN7rocprim17ROCPRIM_400000_NS6detail17trampoline_kernelINS0_14default_configENS1_20scan_config_selectorItEEZZNS1_9scan_implILNS1_25lookback_scan_determinismE0ELb1ELb1ES3_N6thrust23THRUST_200600_302600_NS6detail15normal_iteratorINS9_10device_ptrItEEEENS9_16discard_iteratorINS9_11use_defaultEEEtNS9_4plusIvEEtEEDaPvRmT3_T4_T5_mT6_P12ihipStream_tbENKUlT_T0_E_clISt17integral_constantIbLb0EESW_IbLb1EEEEDaSS_ST_EUlSS_E0_NS1_11comp_targetILNS1_3genE9ELNS1_11target_archE1100ELNS1_3gpuE3ELNS1_3repE0EEENS1_30default_config_static_selectorELNS0_4arch9wavefront6targetE1EEEvT1_,@function
_ZN7rocprim17ROCPRIM_400000_NS6detail17trampoline_kernelINS0_14default_configENS1_20scan_config_selectorItEEZZNS1_9scan_implILNS1_25lookback_scan_determinismE0ELb1ELb1ES3_N6thrust23THRUST_200600_302600_NS6detail15normal_iteratorINS9_10device_ptrItEEEENS9_16discard_iteratorINS9_11use_defaultEEEtNS9_4plusIvEEtEEDaPvRmT3_T4_T5_mT6_P12ihipStream_tbENKUlT_T0_E_clISt17integral_constantIbLb0EESW_IbLb1EEEEDaSS_ST_EUlSS_E0_NS1_11comp_targetILNS1_3genE9ELNS1_11target_archE1100ELNS1_3gpuE3ELNS1_3repE0EEENS1_30default_config_static_selectorELNS0_4arch9wavefront6targetE1EEEvT1_: ; @_ZN7rocprim17ROCPRIM_400000_NS6detail17trampoline_kernelINS0_14default_configENS1_20scan_config_selectorItEEZZNS1_9scan_implILNS1_25lookback_scan_determinismE0ELb1ELb1ES3_N6thrust23THRUST_200600_302600_NS6detail15normal_iteratorINS9_10device_ptrItEEEENS9_16discard_iteratorINS9_11use_defaultEEEtNS9_4plusIvEEtEEDaPvRmT3_T4_T5_mT6_P12ihipStream_tbENKUlT_T0_E_clISt17integral_constantIbLb0EESW_IbLb1EEEEDaSS_ST_EUlSS_E0_NS1_11comp_targetILNS1_3genE9ELNS1_11target_archE1100ELNS1_3gpuE3ELNS1_3repE0EEENS1_30default_config_static_selectorELNS0_4arch9wavefront6targetE1EEEvT1_
; %bb.0:
	.section	.rodata,"a",@progbits
	.p2align	6, 0x0
	.amdhsa_kernel _ZN7rocprim17ROCPRIM_400000_NS6detail17trampoline_kernelINS0_14default_configENS1_20scan_config_selectorItEEZZNS1_9scan_implILNS1_25lookback_scan_determinismE0ELb1ELb1ES3_N6thrust23THRUST_200600_302600_NS6detail15normal_iteratorINS9_10device_ptrItEEEENS9_16discard_iteratorINS9_11use_defaultEEEtNS9_4plusIvEEtEEDaPvRmT3_T4_T5_mT6_P12ihipStream_tbENKUlT_T0_E_clISt17integral_constantIbLb0EESW_IbLb1EEEEDaSS_ST_EUlSS_E0_NS1_11comp_targetILNS1_3genE9ELNS1_11target_archE1100ELNS1_3gpuE3ELNS1_3repE0EEENS1_30default_config_static_selectorELNS0_4arch9wavefront6targetE1EEEvT1_
		.amdhsa_group_segment_fixed_size 0
		.amdhsa_private_segment_fixed_size 0
		.amdhsa_kernarg_size 40
		.amdhsa_user_sgpr_count 6
		.amdhsa_user_sgpr_private_segment_buffer 1
		.amdhsa_user_sgpr_dispatch_ptr 0
		.amdhsa_user_sgpr_queue_ptr 0
		.amdhsa_user_sgpr_kernarg_segment_ptr 1
		.amdhsa_user_sgpr_dispatch_id 0
		.amdhsa_user_sgpr_flat_scratch_init 0
		.amdhsa_user_sgpr_kernarg_preload_length 0
		.amdhsa_user_sgpr_kernarg_preload_offset 0
		.amdhsa_user_sgpr_private_segment_size 0
		.amdhsa_uses_dynamic_stack 0
		.amdhsa_system_sgpr_private_segment_wavefront_offset 0
		.amdhsa_system_sgpr_workgroup_id_x 1
		.amdhsa_system_sgpr_workgroup_id_y 0
		.amdhsa_system_sgpr_workgroup_id_z 0
		.amdhsa_system_sgpr_workgroup_info 0
		.amdhsa_system_vgpr_workitem_id 0
		.amdhsa_next_free_vgpr 1
		.amdhsa_next_free_sgpr 0
		.amdhsa_accum_offset 4
		.amdhsa_reserve_vcc 0
		.amdhsa_reserve_flat_scratch 0
		.amdhsa_float_round_mode_32 0
		.amdhsa_float_round_mode_16_64 0
		.amdhsa_float_denorm_mode_32 3
		.amdhsa_float_denorm_mode_16_64 3
		.amdhsa_dx10_clamp 1
		.amdhsa_ieee_mode 1
		.amdhsa_fp16_overflow 0
		.amdhsa_tg_split 0
		.amdhsa_exception_fp_ieee_invalid_op 0
		.amdhsa_exception_fp_denorm_src 0
		.amdhsa_exception_fp_ieee_div_zero 0
		.amdhsa_exception_fp_ieee_overflow 0
		.amdhsa_exception_fp_ieee_underflow 0
		.amdhsa_exception_fp_ieee_inexact 0
		.amdhsa_exception_int_div_zero 0
	.end_amdhsa_kernel
	.section	.text._ZN7rocprim17ROCPRIM_400000_NS6detail17trampoline_kernelINS0_14default_configENS1_20scan_config_selectorItEEZZNS1_9scan_implILNS1_25lookback_scan_determinismE0ELb1ELb1ES3_N6thrust23THRUST_200600_302600_NS6detail15normal_iteratorINS9_10device_ptrItEEEENS9_16discard_iteratorINS9_11use_defaultEEEtNS9_4plusIvEEtEEDaPvRmT3_T4_T5_mT6_P12ihipStream_tbENKUlT_T0_E_clISt17integral_constantIbLb0EESW_IbLb1EEEEDaSS_ST_EUlSS_E0_NS1_11comp_targetILNS1_3genE9ELNS1_11target_archE1100ELNS1_3gpuE3ELNS1_3repE0EEENS1_30default_config_static_selectorELNS0_4arch9wavefront6targetE1EEEvT1_,"axG",@progbits,_ZN7rocprim17ROCPRIM_400000_NS6detail17trampoline_kernelINS0_14default_configENS1_20scan_config_selectorItEEZZNS1_9scan_implILNS1_25lookback_scan_determinismE0ELb1ELb1ES3_N6thrust23THRUST_200600_302600_NS6detail15normal_iteratorINS9_10device_ptrItEEEENS9_16discard_iteratorINS9_11use_defaultEEEtNS9_4plusIvEEtEEDaPvRmT3_T4_T5_mT6_P12ihipStream_tbENKUlT_T0_E_clISt17integral_constantIbLb0EESW_IbLb1EEEEDaSS_ST_EUlSS_E0_NS1_11comp_targetILNS1_3genE9ELNS1_11target_archE1100ELNS1_3gpuE3ELNS1_3repE0EEENS1_30default_config_static_selectorELNS0_4arch9wavefront6targetE1EEEvT1_,comdat
.Lfunc_end5580:
	.size	_ZN7rocprim17ROCPRIM_400000_NS6detail17trampoline_kernelINS0_14default_configENS1_20scan_config_selectorItEEZZNS1_9scan_implILNS1_25lookback_scan_determinismE0ELb1ELb1ES3_N6thrust23THRUST_200600_302600_NS6detail15normal_iteratorINS9_10device_ptrItEEEENS9_16discard_iteratorINS9_11use_defaultEEEtNS9_4plusIvEEtEEDaPvRmT3_T4_T5_mT6_P12ihipStream_tbENKUlT_T0_E_clISt17integral_constantIbLb0EESW_IbLb1EEEEDaSS_ST_EUlSS_E0_NS1_11comp_targetILNS1_3genE9ELNS1_11target_archE1100ELNS1_3gpuE3ELNS1_3repE0EEENS1_30default_config_static_selectorELNS0_4arch9wavefront6targetE1EEEvT1_, .Lfunc_end5580-_ZN7rocprim17ROCPRIM_400000_NS6detail17trampoline_kernelINS0_14default_configENS1_20scan_config_selectorItEEZZNS1_9scan_implILNS1_25lookback_scan_determinismE0ELb1ELb1ES3_N6thrust23THRUST_200600_302600_NS6detail15normal_iteratorINS9_10device_ptrItEEEENS9_16discard_iteratorINS9_11use_defaultEEEtNS9_4plusIvEEtEEDaPvRmT3_T4_T5_mT6_P12ihipStream_tbENKUlT_T0_E_clISt17integral_constantIbLb0EESW_IbLb1EEEEDaSS_ST_EUlSS_E0_NS1_11comp_targetILNS1_3genE9ELNS1_11target_archE1100ELNS1_3gpuE3ELNS1_3repE0EEENS1_30default_config_static_selectorELNS0_4arch9wavefront6targetE1EEEvT1_
                                        ; -- End function
	.section	.AMDGPU.csdata,"",@progbits
; Kernel info:
; codeLenInByte = 0
; NumSgprs: 4
; NumVgprs: 0
; NumAgprs: 0
; TotalNumVgprs: 0
; ScratchSize: 0
; MemoryBound: 0
; FloatMode: 240
; IeeeMode: 1
; LDSByteSize: 0 bytes/workgroup (compile time only)
; SGPRBlocks: 0
; VGPRBlocks: 0
; NumSGPRsForWavesPerEU: 4
; NumVGPRsForWavesPerEU: 1
; AccumOffset: 4
; Occupancy: 8
; WaveLimiterHint : 0
; COMPUTE_PGM_RSRC2:SCRATCH_EN: 0
; COMPUTE_PGM_RSRC2:USER_SGPR: 6
; COMPUTE_PGM_RSRC2:TRAP_HANDLER: 0
; COMPUTE_PGM_RSRC2:TGID_X_EN: 1
; COMPUTE_PGM_RSRC2:TGID_Y_EN: 0
; COMPUTE_PGM_RSRC2:TGID_Z_EN: 0
; COMPUTE_PGM_RSRC2:TIDIG_COMP_CNT: 0
; COMPUTE_PGM_RSRC3_GFX90A:ACCUM_OFFSET: 0
; COMPUTE_PGM_RSRC3_GFX90A:TG_SPLIT: 0
	.section	.text._ZN7rocprim17ROCPRIM_400000_NS6detail17trampoline_kernelINS0_14default_configENS1_20scan_config_selectorItEEZZNS1_9scan_implILNS1_25lookback_scan_determinismE0ELb1ELb1ES3_N6thrust23THRUST_200600_302600_NS6detail15normal_iteratorINS9_10device_ptrItEEEENS9_16discard_iteratorINS9_11use_defaultEEEtNS9_4plusIvEEtEEDaPvRmT3_T4_T5_mT6_P12ihipStream_tbENKUlT_T0_E_clISt17integral_constantIbLb0EESW_IbLb1EEEEDaSS_ST_EUlSS_E0_NS1_11comp_targetILNS1_3genE8ELNS1_11target_archE1030ELNS1_3gpuE2ELNS1_3repE0EEENS1_30default_config_static_selectorELNS0_4arch9wavefront6targetE1EEEvT1_,"axG",@progbits,_ZN7rocprim17ROCPRIM_400000_NS6detail17trampoline_kernelINS0_14default_configENS1_20scan_config_selectorItEEZZNS1_9scan_implILNS1_25lookback_scan_determinismE0ELb1ELb1ES3_N6thrust23THRUST_200600_302600_NS6detail15normal_iteratorINS9_10device_ptrItEEEENS9_16discard_iteratorINS9_11use_defaultEEEtNS9_4plusIvEEtEEDaPvRmT3_T4_T5_mT6_P12ihipStream_tbENKUlT_T0_E_clISt17integral_constantIbLb0EESW_IbLb1EEEEDaSS_ST_EUlSS_E0_NS1_11comp_targetILNS1_3genE8ELNS1_11target_archE1030ELNS1_3gpuE2ELNS1_3repE0EEENS1_30default_config_static_selectorELNS0_4arch9wavefront6targetE1EEEvT1_,comdat
	.protected	_ZN7rocprim17ROCPRIM_400000_NS6detail17trampoline_kernelINS0_14default_configENS1_20scan_config_selectorItEEZZNS1_9scan_implILNS1_25lookback_scan_determinismE0ELb1ELb1ES3_N6thrust23THRUST_200600_302600_NS6detail15normal_iteratorINS9_10device_ptrItEEEENS9_16discard_iteratorINS9_11use_defaultEEEtNS9_4plusIvEEtEEDaPvRmT3_T4_T5_mT6_P12ihipStream_tbENKUlT_T0_E_clISt17integral_constantIbLb0EESW_IbLb1EEEEDaSS_ST_EUlSS_E0_NS1_11comp_targetILNS1_3genE8ELNS1_11target_archE1030ELNS1_3gpuE2ELNS1_3repE0EEENS1_30default_config_static_selectorELNS0_4arch9wavefront6targetE1EEEvT1_ ; -- Begin function _ZN7rocprim17ROCPRIM_400000_NS6detail17trampoline_kernelINS0_14default_configENS1_20scan_config_selectorItEEZZNS1_9scan_implILNS1_25lookback_scan_determinismE0ELb1ELb1ES3_N6thrust23THRUST_200600_302600_NS6detail15normal_iteratorINS9_10device_ptrItEEEENS9_16discard_iteratorINS9_11use_defaultEEEtNS9_4plusIvEEtEEDaPvRmT3_T4_T5_mT6_P12ihipStream_tbENKUlT_T0_E_clISt17integral_constantIbLb0EESW_IbLb1EEEEDaSS_ST_EUlSS_E0_NS1_11comp_targetILNS1_3genE8ELNS1_11target_archE1030ELNS1_3gpuE2ELNS1_3repE0EEENS1_30default_config_static_selectorELNS0_4arch9wavefront6targetE1EEEvT1_
	.globl	_ZN7rocprim17ROCPRIM_400000_NS6detail17trampoline_kernelINS0_14default_configENS1_20scan_config_selectorItEEZZNS1_9scan_implILNS1_25lookback_scan_determinismE0ELb1ELb1ES3_N6thrust23THRUST_200600_302600_NS6detail15normal_iteratorINS9_10device_ptrItEEEENS9_16discard_iteratorINS9_11use_defaultEEEtNS9_4plusIvEEtEEDaPvRmT3_T4_T5_mT6_P12ihipStream_tbENKUlT_T0_E_clISt17integral_constantIbLb0EESW_IbLb1EEEEDaSS_ST_EUlSS_E0_NS1_11comp_targetILNS1_3genE8ELNS1_11target_archE1030ELNS1_3gpuE2ELNS1_3repE0EEENS1_30default_config_static_selectorELNS0_4arch9wavefront6targetE1EEEvT1_
	.p2align	8
	.type	_ZN7rocprim17ROCPRIM_400000_NS6detail17trampoline_kernelINS0_14default_configENS1_20scan_config_selectorItEEZZNS1_9scan_implILNS1_25lookback_scan_determinismE0ELb1ELb1ES3_N6thrust23THRUST_200600_302600_NS6detail15normal_iteratorINS9_10device_ptrItEEEENS9_16discard_iteratorINS9_11use_defaultEEEtNS9_4plusIvEEtEEDaPvRmT3_T4_T5_mT6_P12ihipStream_tbENKUlT_T0_E_clISt17integral_constantIbLb0EESW_IbLb1EEEEDaSS_ST_EUlSS_E0_NS1_11comp_targetILNS1_3genE8ELNS1_11target_archE1030ELNS1_3gpuE2ELNS1_3repE0EEENS1_30default_config_static_selectorELNS0_4arch9wavefront6targetE1EEEvT1_,@function
_ZN7rocprim17ROCPRIM_400000_NS6detail17trampoline_kernelINS0_14default_configENS1_20scan_config_selectorItEEZZNS1_9scan_implILNS1_25lookback_scan_determinismE0ELb1ELb1ES3_N6thrust23THRUST_200600_302600_NS6detail15normal_iteratorINS9_10device_ptrItEEEENS9_16discard_iteratorINS9_11use_defaultEEEtNS9_4plusIvEEtEEDaPvRmT3_T4_T5_mT6_P12ihipStream_tbENKUlT_T0_E_clISt17integral_constantIbLb0EESW_IbLb1EEEEDaSS_ST_EUlSS_E0_NS1_11comp_targetILNS1_3genE8ELNS1_11target_archE1030ELNS1_3gpuE2ELNS1_3repE0EEENS1_30default_config_static_selectorELNS0_4arch9wavefront6targetE1EEEvT1_: ; @_ZN7rocprim17ROCPRIM_400000_NS6detail17trampoline_kernelINS0_14default_configENS1_20scan_config_selectorItEEZZNS1_9scan_implILNS1_25lookback_scan_determinismE0ELb1ELb1ES3_N6thrust23THRUST_200600_302600_NS6detail15normal_iteratorINS9_10device_ptrItEEEENS9_16discard_iteratorINS9_11use_defaultEEEtNS9_4plusIvEEtEEDaPvRmT3_T4_T5_mT6_P12ihipStream_tbENKUlT_T0_E_clISt17integral_constantIbLb0EESW_IbLb1EEEEDaSS_ST_EUlSS_E0_NS1_11comp_targetILNS1_3genE8ELNS1_11target_archE1030ELNS1_3gpuE2ELNS1_3repE0EEENS1_30default_config_static_selectorELNS0_4arch9wavefront6targetE1EEEvT1_
; %bb.0:
	.section	.rodata,"a",@progbits
	.p2align	6, 0x0
	.amdhsa_kernel _ZN7rocprim17ROCPRIM_400000_NS6detail17trampoline_kernelINS0_14default_configENS1_20scan_config_selectorItEEZZNS1_9scan_implILNS1_25lookback_scan_determinismE0ELb1ELb1ES3_N6thrust23THRUST_200600_302600_NS6detail15normal_iteratorINS9_10device_ptrItEEEENS9_16discard_iteratorINS9_11use_defaultEEEtNS9_4plusIvEEtEEDaPvRmT3_T4_T5_mT6_P12ihipStream_tbENKUlT_T0_E_clISt17integral_constantIbLb0EESW_IbLb1EEEEDaSS_ST_EUlSS_E0_NS1_11comp_targetILNS1_3genE8ELNS1_11target_archE1030ELNS1_3gpuE2ELNS1_3repE0EEENS1_30default_config_static_selectorELNS0_4arch9wavefront6targetE1EEEvT1_
		.amdhsa_group_segment_fixed_size 0
		.amdhsa_private_segment_fixed_size 0
		.amdhsa_kernarg_size 40
		.amdhsa_user_sgpr_count 6
		.amdhsa_user_sgpr_private_segment_buffer 1
		.amdhsa_user_sgpr_dispatch_ptr 0
		.amdhsa_user_sgpr_queue_ptr 0
		.amdhsa_user_sgpr_kernarg_segment_ptr 1
		.amdhsa_user_sgpr_dispatch_id 0
		.amdhsa_user_sgpr_flat_scratch_init 0
		.amdhsa_user_sgpr_kernarg_preload_length 0
		.amdhsa_user_sgpr_kernarg_preload_offset 0
		.amdhsa_user_sgpr_private_segment_size 0
		.amdhsa_uses_dynamic_stack 0
		.amdhsa_system_sgpr_private_segment_wavefront_offset 0
		.amdhsa_system_sgpr_workgroup_id_x 1
		.amdhsa_system_sgpr_workgroup_id_y 0
		.amdhsa_system_sgpr_workgroup_id_z 0
		.amdhsa_system_sgpr_workgroup_info 0
		.amdhsa_system_vgpr_workitem_id 0
		.amdhsa_next_free_vgpr 1
		.amdhsa_next_free_sgpr 0
		.amdhsa_accum_offset 4
		.amdhsa_reserve_vcc 0
		.amdhsa_reserve_flat_scratch 0
		.amdhsa_float_round_mode_32 0
		.amdhsa_float_round_mode_16_64 0
		.amdhsa_float_denorm_mode_32 3
		.amdhsa_float_denorm_mode_16_64 3
		.amdhsa_dx10_clamp 1
		.amdhsa_ieee_mode 1
		.amdhsa_fp16_overflow 0
		.amdhsa_tg_split 0
		.amdhsa_exception_fp_ieee_invalid_op 0
		.amdhsa_exception_fp_denorm_src 0
		.amdhsa_exception_fp_ieee_div_zero 0
		.amdhsa_exception_fp_ieee_overflow 0
		.amdhsa_exception_fp_ieee_underflow 0
		.amdhsa_exception_fp_ieee_inexact 0
		.amdhsa_exception_int_div_zero 0
	.end_amdhsa_kernel
	.section	.text._ZN7rocprim17ROCPRIM_400000_NS6detail17trampoline_kernelINS0_14default_configENS1_20scan_config_selectorItEEZZNS1_9scan_implILNS1_25lookback_scan_determinismE0ELb1ELb1ES3_N6thrust23THRUST_200600_302600_NS6detail15normal_iteratorINS9_10device_ptrItEEEENS9_16discard_iteratorINS9_11use_defaultEEEtNS9_4plusIvEEtEEDaPvRmT3_T4_T5_mT6_P12ihipStream_tbENKUlT_T0_E_clISt17integral_constantIbLb0EESW_IbLb1EEEEDaSS_ST_EUlSS_E0_NS1_11comp_targetILNS1_3genE8ELNS1_11target_archE1030ELNS1_3gpuE2ELNS1_3repE0EEENS1_30default_config_static_selectorELNS0_4arch9wavefront6targetE1EEEvT1_,"axG",@progbits,_ZN7rocprim17ROCPRIM_400000_NS6detail17trampoline_kernelINS0_14default_configENS1_20scan_config_selectorItEEZZNS1_9scan_implILNS1_25lookback_scan_determinismE0ELb1ELb1ES3_N6thrust23THRUST_200600_302600_NS6detail15normal_iteratorINS9_10device_ptrItEEEENS9_16discard_iteratorINS9_11use_defaultEEEtNS9_4plusIvEEtEEDaPvRmT3_T4_T5_mT6_P12ihipStream_tbENKUlT_T0_E_clISt17integral_constantIbLb0EESW_IbLb1EEEEDaSS_ST_EUlSS_E0_NS1_11comp_targetILNS1_3genE8ELNS1_11target_archE1030ELNS1_3gpuE2ELNS1_3repE0EEENS1_30default_config_static_selectorELNS0_4arch9wavefront6targetE1EEEvT1_,comdat
.Lfunc_end5581:
	.size	_ZN7rocprim17ROCPRIM_400000_NS6detail17trampoline_kernelINS0_14default_configENS1_20scan_config_selectorItEEZZNS1_9scan_implILNS1_25lookback_scan_determinismE0ELb1ELb1ES3_N6thrust23THRUST_200600_302600_NS6detail15normal_iteratorINS9_10device_ptrItEEEENS9_16discard_iteratorINS9_11use_defaultEEEtNS9_4plusIvEEtEEDaPvRmT3_T4_T5_mT6_P12ihipStream_tbENKUlT_T0_E_clISt17integral_constantIbLb0EESW_IbLb1EEEEDaSS_ST_EUlSS_E0_NS1_11comp_targetILNS1_3genE8ELNS1_11target_archE1030ELNS1_3gpuE2ELNS1_3repE0EEENS1_30default_config_static_selectorELNS0_4arch9wavefront6targetE1EEEvT1_, .Lfunc_end5581-_ZN7rocprim17ROCPRIM_400000_NS6detail17trampoline_kernelINS0_14default_configENS1_20scan_config_selectorItEEZZNS1_9scan_implILNS1_25lookback_scan_determinismE0ELb1ELb1ES3_N6thrust23THRUST_200600_302600_NS6detail15normal_iteratorINS9_10device_ptrItEEEENS9_16discard_iteratorINS9_11use_defaultEEEtNS9_4plusIvEEtEEDaPvRmT3_T4_T5_mT6_P12ihipStream_tbENKUlT_T0_E_clISt17integral_constantIbLb0EESW_IbLb1EEEEDaSS_ST_EUlSS_E0_NS1_11comp_targetILNS1_3genE8ELNS1_11target_archE1030ELNS1_3gpuE2ELNS1_3repE0EEENS1_30default_config_static_selectorELNS0_4arch9wavefront6targetE1EEEvT1_
                                        ; -- End function
	.section	.AMDGPU.csdata,"",@progbits
; Kernel info:
; codeLenInByte = 0
; NumSgprs: 4
; NumVgprs: 0
; NumAgprs: 0
; TotalNumVgprs: 0
; ScratchSize: 0
; MemoryBound: 0
; FloatMode: 240
; IeeeMode: 1
; LDSByteSize: 0 bytes/workgroup (compile time only)
; SGPRBlocks: 0
; VGPRBlocks: 0
; NumSGPRsForWavesPerEU: 4
; NumVGPRsForWavesPerEU: 1
; AccumOffset: 4
; Occupancy: 8
; WaveLimiterHint : 0
; COMPUTE_PGM_RSRC2:SCRATCH_EN: 0
; COMPUTE_PGM_RSRC2:USER_SGPR: 6
; COMPUTE_PGM_RSRC2:TRAP_HANDLER: 0
; COMPUTE_PGM_RSRC2:TGID_X_EN: 1
; COMPUTE_PGM_RSRC2:TGID_Y_EN: 0
; COMPUTE_PGM_RSRC2:TGID_Z_EN: 0
; COMPUTE_PGM_RSRC2:TIDIG_COMP_CNT: 0
; COMPUTE_PGM_RSRC3_GFX90A:ACCUM_OFFSET: 0
; COMPUTE_PGM_RSRC3_GFX90A:TG_SPLIT: 0
	.section	.text._ZN7rocprim17ROCPRIM_400000_NS6detail17trampoline_kernelINS0_14default_configENS1_20scan_config_selectorIxEEZZNS1_9scan_implILNS1_25lookback_scan_determinismE0ELb0ELb0ES3_N6thrust23THRUST_200600_302600_NS6detail15normal_iteratorINS9_10device_ptrIxEEEENS9_16discard_iteratorINS9_11use_defaultEEExNS9_4plusIvEExEEDaPvRmT3_T4_T5_mT6_P12ihipStream_tbENKUlT_T0_E_clISt17integral_constantIbLb0EESX_EEDaSS_ST_EUlSS_E_NS1_11comp_targetILNS1_3genE0ELNS1_11target_archE4294967295ELNS1_3gpuE0ELNS1_3repE0EEENS1_30default_config_static_selectorELNS0_4arch9wavefront6targetE1EEEvT1_,"axG",@progbits,_ZN7rocprim17ROCPRIM_400000_NS6detail17trampoline_kernelINS0_14default_configENS1_20scan_config_selectorIxEEZZNS1_9scan_implILNS1_25lookback_scan_determinismE0ELb0ELb0ES3_N6thrust23THRUST_200600_302600_NS6detail15normal_iteratorINS9_10device_ptrIxEEEENS9_16discard_iteratorINS9_11use_defaultEEExNS9_4plusIvEExEEDaPvRmT3_T4_T5_mT6_P12ihipStream_tbENKUlT_T0_E_clISt17integral_constantIbLb0EESX_EEDaSS_ST_EUlSS_E_NS1_11comp_targetILNS1_3genE0ELNS1_11target_archE4294967295ELNS1_3gpuE0ELNS1_3repE0EEENS1_30default_config_static_selectorELNS0_4arch9wavefront6targetE1EEEvT1_,comdat
	.protected	_ZN7rocprim17ROCPRIM_400000_NS6detail17trampoline_kernelINS0_14default_configENS1_20scan_config_selectorIxEEZZNS1_9scan_implILNS1_25lookback_scan_determinismE0ELb0ELb0ES3_N6thrust23THRUST_200600_302600_NS6detail15normal_iteratorINS9_10device_ptrIxEEEENS9_16discard_iteratorINS9_11use_defaultEEExNS9_4plusIvEExEEDaPvRmT3_T4_T5_mT6_P12ihipStream_tbENKUlT_T0_E_clISt17integral_constantIbLb0EESX_EEDaSS_ST_EUlSS_E_NS1_11comp_targetILNS1_3genE0ELNS1_11target_archE4294967295ELNS1_3gpuE0ELNS1_3repE0EEENS1_30default_config_static_selectorELNS0_4arch9wavefront6targetE1EEEvT1_ ; -- Begin function _ZN7rocprim17ROCPRIM_400000_NS6detail17trampoline_kernelINS0_14default_configENS1_20scan_config_selectorIxEEZZNS1_9scan_implILNS1_25lookback_scan_determinismE0ELb0ELb0ES3_N6thrust23THRUST_200600_302600_NS6detail15normal_iteratorINS9_10device_ptrIxEEEENS9_16discard_iteratorINS9_11use_defaultEEExNS9_4plusIvEExEEDaPvRmT3_T4_T5_mT6_P12ihipStream_tbENKUlT_T0_E_clISt17integral_constantIbLb0EESX_EEDaSS_ST_EUlSS_E_NS1_11comp_targetILNS1_3genE0ELNS1_11target_archE4294967295ELNS1_3gpuE0ELNS1_3repE0EEENS1_30default_config_static_selectorELNS0_4arch9wavefront6targetE1EEEvT1_
	.globl	_ZN7rocprim17ROCPRIM_400000_NS6detail17trampoline_kernelINS0_14default_configENS1_20scan_config_selectorIxEEZZNS1_9scan_implILNS1_25lookback_scan_determinismE0ELb0ELb0ES3_N6thrust23THRUST_200600_302600_NS6detail15normal_iteratorINS9_10device_ptrIxEEEENS9_16discard_iteratorINS9_11use_defaultEEExNS9_4plusIvEExEEDaPvRmT3_T4_T5_mT6_P12ihipStream_tbENKUlT_T0_E_clISt17integral_constantIbLb0EESX_EEDaSS_ST_EUlSS_E_NS1_11comp_targetILNS1_3genE0ELNS1_11target_archE4294967295ELNS1_3gpuE0ELNS1_3repE0EEENS1_30default_config_static_selectorELNS0_4arch9wavefront6targetE1EEEvT1_
	.p2align	8
	.type	_ZN7rocprim17ROCPRIM_400000_NS6detail17trampoline_kernelINS0_14default_configENS1_20scan_config_selectorIxEEZZNS1_9scan_implILNS1_25lookback_scan_determinismE0ELb0ELb0ES3_N6thrust23THRUST_200600_302600_NS6detail15normal_iteratorINS9_10device_ptrIxEEEENS9_16discard_iteratorINS9_11use_defaultEEExNS9_4plusIvEExEEDaPvRmT3_T4_T5_mT6_P12ihipStream_tbENKUlT_T0_E_clISt17integral_constantIbLb0EESX_EEDaSS_ST_EUlSS_E_NS1_11comp_targetILNS1_3genE0ELNS1_11target_archE4294967295ELNS1_3gpuE0ELNS1_3repE0EEENS1_30default_config_static_selectorELNS0_4arch9wavefront6targetE1EEEvT1_,@function
_ZN7rocprim17ROCPRIM_400000_NS6detail17trampoline_kernelINS0_14default_configENS1_20scan_config_selectorIxEEZZNS1_9scan_implILNS1_25lookback_scan_determinismE0ELb0ELb0ES3_N6thrust23THRUST_200600_302600_NS6detail15normal_iteratorINS9_10device_ptrIxEEEENS9_16discard_iteratorINS9_11use_defaultEEExNS9_4plusIvEExEEDaPvRmT3_T4_T5_mT6_P12ihipStream_tbENKUlT_T0_E_clISt17integral_constantIbLb0EESX_EEDaSS_ST_EUlSS_E_NS1_11comp_targetILNS1_3genE0ELNS1_11target_archE4294967295ELNS1_3gpuE0ELNS1_3repE0EEENS1_30default_config_static_selectorELNS0_4arch9wavefront6targetE1EEEvT1_: ; @_ZN7rocprim17ROCPRIM_400000_NS6detail17trampoline_kernelINS0_14default_configENS1_20scan_config_selectorIxEEZZNS1_9scan_implILNS1_25lookback_scan_determinismE0ELb0ELb0ES3_N6thrust23THRUST_200600_302600_NS6detail15normal_iteratorINS9_10device_ptrIxEEEENS9_16discard_iteratorINS9_11use_defaultEEExNS9_4plusIvEExEEDaPvRmT3_T4_T5_mT6_P12ihipStream_tbENKUlT_T0_E_clISt17integral_constantIbLb0EESX_EEDaSS_ST_EUlSS_E_NS1_11comp_targetILNS1_3genE0ELNS1_11target_archE4294967295ELNS1_3gpuE0ELNS1_3repE0EEENS1_30default_config_static_selectorELNS0_4arch9wavefront6targetE1EEEvT1_
; %bb.0:
	.section	.rodata,"a",@progbits
	.p2align	6, 0x0
	.amdhsa_kernel _ZN7rocprim17ROCPRIM_400000_NS6detail17trampoline_kernelINS0_14default_configENS1_20scan_config_selectorIxEEZZNS1_9scan_implILNS1_25lookback_scan_determinismE0ELb0ELb0ES3_N6thrust23THRUST_200600_302600_NS6detail15normal_iteratorINS9_10device_ptrIxEEEENS9_16discard_iteratorINS9_11use_defaultEEExNS9_4plusIvEExEEDaPvRmT3_T4_T5_mT6_P12ihipStream_tbENKUlT_T0_E_clISt17integral_constantIbLb0EESX_EEDaSS_ST_EUlSS_E_NS1_11comp_targetILNS1_3genE0ELNS1_11target_archE4294967295ELNS1_3gpuE0ELNS1_3repE0EEENS1_30default_config_static_selectorELNS0_4arch9wavefront6targetE1EEEvT1_
		.amdhsa_group_segment_fixed_size 0
		.amdhsa_private_segment_fixed_size 0
		.amdhsa_kernarg_size 112
		.amdhsa_user_sgpr_count 6
		.amdhsa_user_sgpr_private_segment_buffer 1
		.amdhsa_user_sgpr_dispatch_ptr 0
		.amdhsa_user_sgpr_queue_ptr 0
		.amdhsa_user_sgpr_kernarg_segment_ptr 1
		.amdhsa_user_sgpr_dispatch_id 0
		.amdhsa_user_sgpr_flat_scratch_init 0
		.amdhsa_user_sgpr_kernarg_preload_length 0
		.amdhsa_user_sgpr_kernarg_preload_offset 0
		.amdhsa_user_sgpr_private_segment_size 0
		.amdhsa_uses_dynamic_stack 0
		.amdhsa_system_sgpr_private_segment_wavefront_offset 0
		.amdhsa_system_sgpr_workgroup_id_x 1
		.amdhsa_system_sgpr_workgroup_id_y 0
		.amdhsa_system_sgpr_workgroup_id_z 0
		.amdhsa_system_sgpr_workgroup_info 0
		.amdhsa_system_vgpr_workitem_id 0
		.amdhsa_next_free_vgpr 1
		.amdhsa_next_free_sgpr 0
		.amdhsa_accum_offset 4
		.amdhsa_reserve_vcc 0
		.amdhsa_reserve_flat_scratch 0
		.amdhsa_float_round_mode_32 0
		.amdhsa_float_round_mode_16_64 0
		.amdhsa_float_denorm_mode_32 3
		.amdhsa_float_denorm_mode_16_64 3
		.amdhsa_dx10_clamp 1
		.amdhsa_ieee_mode 1
		.amdhsa_fp16_overflow 0
		.amdhsa_tg_split 0
		.amdhsa_exception_fp_ieee_invalid_op 0
		.amdhsa_exception_fp_denorm_src 0
		.amdhsa_exception_fp_ieee_div_zero 0
		.amdhsa_exception_fp_ieee_overflow 0
		.amdhsa_exception_fp_ieee_underflow 0
		.amdhsa_exception_fp_ieee_inexact 0
		.amdhsa_exception_int_div_zero 0
	.end_amdhsa_kernel
	.section	.text._ZN7rocprim17ROCPRIM_400000_NS6detail17trampoline_kernelINS0_14default_configENS1_20scan_config_selectorIxEEZZNS1_9scan_implILNS1_25lookback_scan_determinismE0ELb0ELb0ES3_N6thrust23THRUST_200600_302600_NS6detail15normal_iteratorINS9_10device_ptrIxEEEENS9_16discard_iteratorINS9_11use_defaultEEExNS9_4plusIvEExEEDaPvRmT3_T4_T5_mT6_P12ihipStream_tbENKUlT_T0_E_clISt17integral_constantIbLb0EESX_EEDaSS_ST_EUlSS_E_NS1_11comp_targetILNS1_3genE0ELNS1_11target_archE4294967295ELNS1_3gpuE0ELNS1_3repE0EEENS1_30default_config_static_selectorELNS0_4arch9wavefront6targetE1EEEvT1_,"axG",@progbits,_ZN7rocprim17ROCPRIM_400000_NS6detail17trampoline_kernelINS0_14default_configENS1_20scan_config_selectorIxEEZZNS1_9scan_implILNS1_25lookback_scan_determinismE0ELb0ELb0ES3_N6thrust23THRUST_200600_302600_NS6detail15normal_iteratorINS9_10device_ptrIxEEEENS9_16discard_iteratorINS9_11use_defaultEEExNS9_4plusIvEExEEDaPvRmT3_T4_T5_mT6_P12ihipStream_tbENKUlT_T0_E_clISt17integral_constantIbLb0EESX_EEDaSS_ST_EUlSS_E_NS1_11comp_targetILNS1_3genE0ELNS1_11target_archE4294967295ELNS1_3gpuE0ELNS1_3repE0EEENS1_30default_config_static_selectorELNS0_4arch9wavefront6targetE1EEEvT1_,comdat
.Lfunc_end5582:
	.size	_ZN7rocprim17ROCPRIM_400000_NS6detail17trampoline_kernelINS0_14default_configENS1_20scan_config_selectorIxEEZZNS1_9scan_implILNS1_25lookback_scan_determinismE0ELb0ELb0ES3_N6thrust23THRUST_200600_302600_NS6detail15normal_iteratorINS9_10device_ptrIxEEEENS9_16discard_iteratorINS9_11use_defaultEEExNS9_4plusIvEExEEDaPvRmT3_T4_T5_mT6_P12ihipStream_tbENKUlT_T0_E_clISt17integral_constantIbLb0EESX_EEDaSS_ST_EUlSS_E_NS1_11comp_targetILNS1_3genE0ELNS1_11target_archE4294967295ELNS1_3gpuE0ELNS1_3repE0EEENS1_30default_config_static_selectorELNS0_4arch9wavefront6targetE1EEEvT1_, .Lfunc_end5582-_ZN7rocprim17ROCPRIM_400000_NS6detail17trampoline_kernelINS0_14default_configENS1_20scan_config_selectorIxEEZZNS1_9scan_implILNS1_25lookback_scan_determinismE0ELb0ELb0ES3_N6thrust23THRUST_200600_302600_NS6detail15normal_iteratorINS9_10device_ptrIxEEEENS9_16discard_iteratorINS9_11use_defaultEEExNS9_4plusIvEExEEDaPvRmT3_T4_T5_mT6_P12ihipStream_tbENKUlT_T0_E_clISt17integral_constantIbLb0EESX_EEDaSS_ST_EUlSS_E_NS1_11comp_targetILNS1_3genE0ELNS1_11target_archE4294967295ELNS1_3gpuE0ELNS1_3repE0EEENS1_30default_config_static_selectorELNS0_4arch9wavefront6targetE1EEEvT1_
                                        ; -- End function
	.section	.AMDGPU.csdata,"",@progbits
; Kernel info:
; codeLenInByte = 0
; NumSgprs: 4
; NumVgprs: 0
; NumAgprs: 0
; TotalNumVgprs: 0
; ScratchSize: 0
; MemoryBound: 0
; FloatMode: 240
; IeeeMode: 1
; LDSByteSize: 0 bytes/workgroup (compile time only)
; SGPRBlocks: 0
; VGPRBlocks: 0
; NumSGPRsForWavesPerEU: 4
; NumVGPRsForWavesPerEU: 1
; AccumOffset: 4
; Occupancy: 8
; WaveLimiterHint : 0
; COMPUTE_PGM_RSRC2:SCRATCH_EN: 0
; COMPUTE_PGM_RSRC2:USER_SGPR: 6
; COMPUTE_PGM_RSRC2:TRAP_HANDLER: 0
; COMPUTE_PGM_RSRC2:TGID_X_EN: 1
; COMPUTE_PGM_RSRC2:TGID_Y_EN: 0
; COMPUTE_PGM_RSRC2:TGID_Z_EN: 0
; COMPUTE_PGM_RSRC2:TIDIG_COMP_CNT: 0
; COMPUTE_PGM_RSRC3_GFX90A:ACCUM_OFFSET: 0
; COMPUTE_PGM_RSRC3_GFX90A:TG_SPLIT: 0
	.section	.text._ZN7rocprim17ROCPRIM_400000_NS6detail17trampoline_kernelINS0_14default_configENS1_20scan_config_selectorIxEEZZNS1_9scan_implILNS1_25lookback_scan_determinismE0ELb0ELb0ES3_N6thrust23THRUST_200600_302600_NS6detail15normal_iteratorINS9_10device_ptrIxEEEENS9_16discard_iteratorINS9_11use_defaultEEExNS9_4plusIvEExEEDaPvRmT3_T4_T5_mT6_P12ihipStream_tbENKUlT_T0_E_clISt17integral_constantIbLb0EESX_EEDaSS_ST_EUlSS_E_NS1_11comp_targetILNS1_3genE5ELNS1_11target_archE942ELNS1_3gpuE9ELNS1_3repE0EEENS1_30default_config_static_selectorELNS0_4arch9wavefront6targetE1EEEvT1_,"axG",@progbits,_ZN7rocprim17ROCPRIM_400000_NS6detail17trampoline_kernelINS0_14default_configENS1_20scan_config_selectorIxEEZZNS1_9scan_implILNS1_25lookback_scan_determinismE0ELb0ELb0ES3_N6thrust23THRUST_200600_302600_NS6detail15normal_iteratorINS9_10device_ptrIxEEEENS9_16discard_iteratorINS9_11use_defaultEEExNS9_4plusIvEExEEDaPvRmT3_T4_T5_mT6_P12ihipStream_tbENKUlT_T0_E_clISt17integral_constantIbLb0EESX_EEDaSS_ST_EUlSS_E_NS1_11comp_targetILNS1_3genE5ELNS1_11target_archE942ELNS1_3gpuE9ELNS1_3repE0EEENS1_30default_config_static_selectorELNS0_4arch9wavefront6targetE1EEEvT1_,comdat
	.protected	_ZN7rocprim17ROCPRIM_400000_NS6detail17trampoline_kernelINS0_14default_configENS1_20scan_config_selectorIxEEZZNS1_9scan_implILNS1_25lookback_scan_determinismE0ELb0ELb0ES3_N6thrust23THRUST_200600_302600_NS6detail15normal_iteratorINS9_10device_ptrIxEEEENS9_16discard_iteratorINS9_11use_defaultEEExNS9_4plusIvEExEEDaPvRmT3_T4_T5_mT6_P12ihipStream_tbENKUlT_T0_E_clISt17integral_constantIbLb0EESX_EEDaSS_ST_EUlSS_E_NS1_11comp_targetILNS1_3genE5ELNS1_11target_archE942ELNS1_3gpuE9ELNS1_3repE0EEENS1_30default_config_static_selectorELNS0_4arch9wavefront6targetE1EEEvT1_ ; -- Begin function _ZN7rocprim17ROCPRIM_400000_NS6detail17trampoline_kernelINS0_14default_configENS1_20scan_config_selectorIxEEZZNS1_9scan_implILNS1_25lookback_scan_determinismE0ELb0ELb0ES3_N6thrust23THRUST_200600_302600_NS6detail15normal_iteratorINS9_10device_ptrIxEEEENS9_16discard_iteratorINS9_11use_defaultEEExNS9_4plusIvEExEEDaPvRmT3_T4_T5_mT6_P12ihipStream_tbENKUlT_T0_E_clISt17integral_constantIbLb0EESX_EEDaSS_ST_EUlSS_E_NS1_11comp_targetILNS1_3genE5ELNS1_11target_archE942ELNS1_3gpuE9ELNS1_3repE0EEENS1_30default_config_static_selectorELNS0_4arch9wavefront6targetE1EEEvT1_
	.globl	_ZN7rocprim17ROCPRIM_400000_NS6detail17trampoline_kernelINS0_14default_configENS1_20scan_config_selectorIxEEZZNS1_9scan_implILNS1_25lookback_scan_determinismE0ELb0ELb0ES3_N6thrust23THRUST_200600_302600_NS6detail15normal_iteratorINS9_10device_ptrIxEEEENS9_16discard_iteratorINS9_11use_defaultEEExNS9_4plusIvEExEEDaPvRmT3_T4_T5_mT6_P12ihipStream_tbENKUlT_T0_E_clISt17integral_constantIbLb0EESX_EEDaSS_ST_EUlSS_E_NS1_11comp_targetILNS1_3genE5ELNS1_11target_archE942ELNS1_3gpuE9ELNS1_3repE0EEENS1_30default_config_static_selectorELNS0_4arch9wavefront6targetE1EEEvT1_
	.p2align	8
	.type	_ZN7rocprim17ROCPRIM_400000_NS6detail17trampoline_kernelINS0_14default_configENS1_20scan_config_selectorIxEEZZNS1_9scan_implILNS1_25lookback_scan_determinismE0ELb0ELb0ES3_N6thrust23THRUST_200600_302600_NS6detail15normal_iteratorINS9_10device_ptrIxEEEENS9_16discard_iteratorINS9_11use_defaultEEExNS9_4plusIvEExEEDaPvRmT3_T4_T5_mT6_P12ihipStream_tbENKUlT_T0_E_clISt17integral_constantIbLb0EESX_EEDaSS_ST_EUlSS_E_NS1_11comp_targetILNS1_3genE5ELNS1_11target_archE942ELNS1_3gpuE9ELNS1_3repE0EEENS1_30default_config_static_selectorELNS0_4arch9wavefront6targetE1EEEvT1_,@function
_ZN7rocprim17ROCPRIM_400000_NS6detail17trampoline_kernelINS0_14default_configENS1_20scan_config_selectorIxEEZZNS1_9scan_implILNS1_25lookback_scan_determinismE0ELb0ELb0ES3_N6thrust23THRUST_200600_302600_NS6detail15normal_iteratorINS9_10device_ptrIxEEEENS9_16discard_iteratorINS9_11use_defaultEEExNS9_4plusIvEExEEDaPvRmT3_T4_T5_mT6_P12ihipStream_tbENKUlT_T0_E_clISt17integral_constantIbLb0EESX_EEDaSS_ST_EUlSS_E_NS1_11comp_targetILNS1_3genE5ELNS1_11target_archE942ELNS1_3gpuE9ELNS1_3repE0EEENS1_30default_config_static_selectorELNS0_4arch9wavefront6targetE1EEEvT1_: ; @_ZN7rocprim17ROCPRIM_400000_NS6detail17trampoline_kernelINS0_14default_configENS1_20scan_config_selectorIxEEZZNS1_9scan_implILNS1_25lookback_scan_determinismE0ELb0ELb0ES3_N6thrust23THRUST_200600_302600_NS6detail15normal_iteratorINS9_10device_ptrIxEEEENS9_16discard_iteratorINS9_11use_defaultEEExNS9_4plusIvEExEEDaPvRmT3_T4_T5_mT6_P12ihipStream_tbENKUlT_T0_E_clISt17integral_constantIbLb0EESX_EEDaSS_ST_EUlSS_E_NS1_11comp_targetILNS1_3genE5ELNS1_11target_archE942ELNS1_3gpuE9ELNS1_3repE0EEENS1_30default_config_static_selectorELNS0_4arch9wavefront6targetE1EEEvT1_
; %bb.0:
	.section	.rodata,"a",@progbits
	.p2align	6, 0x0
	.amdhsa_kernel _ZN7rocprim17ROCPRIM_400000_NS6detail17trampoline_kernelINS0_14default_configENS1_20scan_config_selectorIxEEZZNS1_9scan_implILNS1_25lookback_scan_determinismE0ELb0ELb0ES3_N6thrust23THRUST_200600_302600_NS6detail15normal_iteratorINS9_10device_ptrIxEEEENS9_16discard_iteratorINS9_11use_defaultEEExNS9_4plusIvEExEEDaPvRmT3_T4_T5_mT6_P12ihipStream_tbENKUlT_T0_E_clISt17integral_constantIbLb0EESX_EEDaSS_ST_EUlSS_E_NS1_11comp_targetILNS1_3genE5ELNS1_11target_archE942ELNS1_3gpuE9ELNS1_3repE0EEENS1_30default_config_static_selectorELNS0_4arch9wavefront6targetE1EEEvT1_
		.amdhsa_group_segment_fixed_size 0
		.amdhsa_private_segment_fixed_size 0
		.amdhsa_kernarg_size 112
		.amdhsa_user_sgpr_count 6
		.amdhsa_user_sgpr_private_segment_buffer 1
		.amdhsa_user_sgpr_dispatch_ptr 0
		.amdhsa_user_sgpr_queue_ptr 0
		.amdhsa_user_sgpr_kernarg_segment_ptr 1
		.amdhsa_user_sgpr_dispatch_id 0
		.amdhsa_user_sgpr_flat_scratch_init 0
		.amdhsa_user_sgpr_kernarg_preload_length 0
		.amdhsa_user_sgpr_kernarg_preload_offset 0
		.amdhsa_user_sgpr_private_segment_size 0
		.amdhsa_uses_dynamic_stack 0
		.amdhsa_system_sgpr_private_segment_wavefront_offset 0
		.amdhsa_system_sgpr_workgroup_id_x 1
		.amdhsa_system_sgpr_workgroup_id_y 0
		.amdhsa_system_sgpr_workgroup_id_z 0
		.amdhsa_system_sgpr_workgroup_info 0
		.amdhsa_system_vgpr_workitem_id 0
		.amdhsa_next_free_vgpr 1
		.amdhsa_next_free_sgpr 0
		.amdhsa_accum_offset 4
		.amdhsa_reserve_vcc 0
		.amdhsa_reserve_flat_scratch 0
		.amdhsa_float_round_mode_32 0
		.amdhsa_float_round_mode_16_64 0
		.amdhsa_float_denorm_mode_32 3
		.amdhsa_float_denorm_mode_16_64 3
		.amdhsa_dx10_clamp 1
		.amdhsa_ieee_mode 1
		.amdhsa_fp16_overflow 0
		.amdhsa_tg_split 0
		.amdhsa_exception_fp_ieee_invalid_op 0
		.amdhsa_exception_fp_denorm_src 0
		.amdhsa_exception_fp_ieee_div_zero 0
		.amdhsa_exception_fp_ieee_overflow 0
		.amdhsa_exception_fp_ieee_underflow 0
		.amdhsa_exception_fp_ieee_inexact 0
		.amdhsa_exception_int_div_zero 0
	.end_amdhsa_kernel
	.section	.text._ZN7rocprim17ROCPRIM_400000_NS6detail17trampoline_kernelINS0_14default_configENS1_20scan_config_selectorIxEEZZNS1_9scan_implILNS1_25lookback_scan_determinismE0ELb0ELb0ES3_N6thrust23THRUST_200600_302600_NS6detail15normal_iteratorINS9_10device_ptrIxEEEENS9_16discard_iteratorINS9_11use_defaultEEExNS9_4plusIvEExEEDaPvRmT3_T4_T5_mT6_P12ihipStream_tbENKUlT_T0_E_clISt17integral_constantIbLb0EESX_EEDaSS_ST_EUlSS_E_NS1_11comp_targetILNS1_3genE5ELNS1_11target_archE942ELNS1_3gpuE9ELNS1_3repE0EEENS1_30default_config_static_selectorELNS0_4arch9wavefront6targetE1EEEvT1_,"axG",@progbits,_ZN7rocprim17ROCPRIM_400000_NS6detail17trampoline_kernelINS0_14default_configENS1_20scan_config_selectorIxEEZZNS1_9scan_implILNS1_25lookback_scan_determinismE0ELb0ELb0ES3_N6thrust23THRUST_200600_302600_NS6detail15normal_iteratorINS9_10device_ptrIxEEEENS9_16discard_iteratorINS9_11use_defaultEEExNS9_4plusIvEExEEDaPvRmT3_T4_T5_mT6_P12ihipStream_tbENKUlT_T0_E_clISt17integral_constantIbLb0EESX_EEDaSS_ST_EUlSS_E_NS1_11comp_targetILNS1_3genE5ELNS1_11target_archE942ELNS1_3gpuE9ELNS1_3repE0EEENS1_30default_config_static_selectorELNS0_4arch9wavefront6targetE1EEEvT1_,comdat
.Lfunc_end5583:
	.size	_ZN7rocprim17ROCPRIM_400000_NS6detail17trampoline_kernelINS0_14default_configENS1_20scan_config_selectorIxEEZZNS1_9scan_implILNS1_25lookback_scan_determinismE0ELb0ELb0ES3_N6thrust23THRUST_200600_302600_NS6detail15normal_iteratorINS9_10device_ptrIxEEEENS9_16discard_iteratorINS9_11use_defaultEEExNS9_4plusIvEExEEDaPvRmT3_T4_T5_mT6_P12ihipStream_tbENKUlT_T0_E_clISt17integral_constantIbLb0EESX_EEDaSS_ST_EUlSS_E_NS1_11comp_targetILNS1_3genE5ELNS1_11target_archE942ELNS1_3gpuE9ELNS1_3repE0EEENS1_30default_config_static_selectorELNS0_4arch9wavefront6targetE1EEEvT1_, .Lfunc_end5583-_ZN7rocprim17ROCPRIM_400000_NS6detail17trampoline_kernelINS0_14default_configENS1_20scan_config_selectorIxEEZZNS1_9scan_implILNS1_25lookback_scan_determinismE0ELb0ELb0ES3_N6thrust23THRUST_200600_302600_NS6detail15normal_iteratorINS9_10device_ptrIxEEEENS9_16discard_iteratorINS9_11use_defaultEEExNS9_4plusIvEExEEDaPvRmT3_T4_T5_mT6_P12ihipStream_tbENKUlT_T0_E_clISt17integral_constantIbLb0EESX_EEDaSS_ST_EUlSS_E_NS1_11comp_targetILNS1_3genE5ELNS1_11target_archE942ELNS1_3gpuE9ELNS1_3repE0EEENS1_30default_config_static_selectorELNS0_4arch9wavefront6targetE1EEEvT1_
                                        ; -- End function
	.section	.AMDGPU.csdata,"",@progbits
; Kernel info:
; codeLenInByte = 0
; NumSgprs: 4
; NumVgprs: 0
; NumAgprs: 0
; TotalNumVgprs: 0
; ScratchSize: 0
; MemoryBound: 0
; FloatMode: 240
; IeeeMode: 1
; LDSByteSize: 0 bytes/workgroup (compile time only)
; SGPRBlocks: 0
; VGPRBlocks: 0
; NumSGPRsForWavesPerEU: 4
; NumVGPRsForWavesPerEU: 1
; AccumOffset: 4
; Occupancy: 8
; WaveLimiterHint : 0
; COMPUTE_PGM_RSRC2:SCRATCH_EN: 0
; COMPUTE_PGM_RSRC2:USER_SGPR: 6
; COMPUTE_PGM_RSRC2:TRAP_HANDLER: 0
; COMPUTE_PGM_RSRC2:TGID_X_EN: 1
; COMPUTE_PGM_RSRC2:TGID_Y_EN: 0
; COMPUTE_PGM_RSRC2:TGID_Z_EN: 0
; COMPUTE_PGM_RSRC2:TIDIG_COMP_CNT: 0
; COMPUTE_PGM_RSRC3_GFX90A:ACCUM_OFFSET: 0
; COMPUTE_PGM_RSRC3_GFX90A:TG_SPLIT: 0
	.section	.text._ZN7rocprim17ROCPRIM_400000_NS6detail17trampoline_kernelINS0_14default_configENS1_20scan_config_selectorIxEEZZNS1_9scan_implILNS1_25lookback_scan_determinismE0ELb0ELb0ES3_N6thrust23THRUST_200600_302600_NS6detail15normal_iteratorINS9_10device_ptrIxEEEENS9_16discard_iteratorINS9_11use_defaultEEExNS9_4plusIvEExEEDaPvRmT3_T4_T5_mT6_P12ihipStream_tbENKUlT_T0_E_clISt17integral_constantIbLb0EESX_EEDaSS_ST_EUlSS_E_NS1_11comp_targetILNS1_3genE4ELNS1_11target_archE910ELNS1_3gpuE8ELNS1_3repE0EEENS1_30default_config_static_selectorELNS0_4arch9wavefront6targetE1EEEvT1_,"axG",@progbits,_ZN7rocprim17ROCPRIM_400000_NS6detail17trampoline_kernelINS0_14default_configENS1_20scan_config_selectorIxEEZZNS1_9scan_implILNS1_25lookback_scan_determinismE0ELb0ELb0ES3_N6thrust23THRUST_200600_302600_NS6detail15normal_iteratorINS9_10device_ptrIxEEEENS9_16discard_iteratorINS9_11use_defaultEEExNS9_4plusIvEExEEDaPvRmT3_T4_T5_mT6_P12ihipStream_tbENKUlT_T0_E_clISt17integral_constantIbLb0EESX_EEDaSS_ST_EUlSS_E_NS1_11comp_targetILNS1_3genE4ELNS1_11target_archE910ELNS1_3gpuE8ELNS1_3repE0EEENS1_30default_config_static_selectorELNS0_4arch9wavefront6targetE1EEEvT1_,comdat
	.protected	_ZN7rocprim17ROCPRIM_400000_NS6detail17trampoline_kernelINS0_14default_configENS1_20scan_config_selectorIxEEZZNS1_9scan_implILNS1_25lookback_scan_determinismE0ELb0ELb0ES3_N6thrust23THRUST_200600_302600_NS6detail15normal_iteratorINS9_10device_ptrIxEEEENS9_16discard_iteratorINS9_11use_defaultEEExNS9_4plusIvEExEEDaPvRmT3_T4_T5_mT6_P12ihipStream_tbENKUlT_T0_E_clISt17integral_constantIbLb0EESX_EEDaSS_ST_EUlSS_E_NS1_11comp_targetILNS1_3genE4ELNS1_11target_archE910ELNS1_3gpuE8ELNS1_3repE0EEENS1_30default_config_static_selectorELNS0_4arch9wavefront6targetE1EEEvT1_ ; -- Begin function _ZN7rocprim17ROCPRIM_400000_NS6detail17trampoline_kernelINS0_14default_configENS1_20scan_config_selectorIxEEZZNS1_9scan_implILNS1_25lookback_scan_determinismE0ELb0ELb0ES3_N6thrust23THRUST_200600_302600_NS6detail15normal_iteratorINS9_10device_ptrIxEEEENS9_16discard_iteratorINS9_11use_defaultEEExNS9_4plusIvEExEEDaPvRmT3_T4_T5_mT6_P12ihipStream_tbENKUlT_T0_E_clISt17integral_constantIbLb0EESX_EEDaSS_ST_EUlSS_E_NS1_11comp_targetILNS1_3genE4ELNS1_11target_archE910ELNS1_3gpuE8ELNS1_3repE0EEENS1_30default_config_static_selectorELNS0_4arch9wavefront6targetE1EEEvT1_
	.globl	_ZN7rocprim17ROCPRIM_400000_NS6detail17trampoline_kernelINS0_14default_configENS1_20scan_config_selectorIxEEZZNS1_9scan_implILNS1_25lookback_scan_determinismE0ELb0ELb0ES3_N6thrust23THRUST_200600_302600_NS6detail15normal_iteratorINS9_10device_ptrIxEEEENS9_16discard_iteratorINS9_11use_defaultEEExNS9_4plusIvEExEEDaPvRmT3_T4_T5_mT6_P12ihipStream_tbENKUlT_T0_E_clISt17integral_constantIbLb0EESX_EEDaSS_ST_EUlSS_E_NS1_11comp_targetILNS1_3genE4ELNS1_11target_archE910ELNS1_3gpuE8ELNS1_3repE0EEENS1_30default_config_static_selectorELNS0_4arch9wavefront6targetE1EEEvT1_
	.p2align	8
	.type	_ZN7rocprim17ROCPRIM_400000_NS6detail17trampoline_kernelINS0_14default_configENS1_20scan_config_selectorIxEEZZNS1_9scan_implILNS1_25lookback_scan_determinismE0ELb0ELb0ES3_N6thrust23THRUST_200600_302600_NS6detail15normal_iteratorINS9_10device_ptrIxEEEENS9_16discard_iteratorINS9_11use_defaultEEExNS9_4plusIvEExEEDaPvRmT3_T4_T5_mT6_P12ihipStream_tbENKUlT_T0_E_clISt17integral_constantIbLb0EESX_EEDaSS_ST_EUlSS_E_NS1_11comp_targetILNS1_3genE4ELNS1_11target_archE910ELNS1_3gpuE8ELNS1_3repE0EEENS1_30default_config_static_selectorELNS0_4arch9wavefront6targetE1EEEvT1_,@function
_ZN7rocprim17ROCPRIM_400000_NS6detail17trampoline_kernelINS0_14default_configENS1_20scan_config_selectorIxEEZZNS1_9scan_implILNS1_25lookback_scan_determinismE0ELb0ELb0ES3_N6thrust23THRUST_200600_302600_NS6detail15normal_iteratorINS9_10device_ptrIxEEEENS9_16discard_iteratorINS9_11use_defaultEEExNS9_4plusIvEExEEDaPvRmT3_T4_T5_mT6_P12ihipStream_tbENKUlT_T0_E_clISt17integral_constantIbLb0EESX_EEDaSS_ST_EUlSS_E_NS1_11comp_targetILNS1_3genE4ELNS1_11target_archE910ELNS1_3gpuE8ELNS1_3repE0EEENS1_30default_config_static_selectorELNS0_4arch9wavefront6targetE1EEEvT1_: ; @_ZN7rocprim17ROCPRIM_400000_NS6detail17trampoline_kernelINS0_14default_configENS1_20scan_config_selectorIxEEZZNS1_9scan_implILNS1_25lookback_scan_determinismE0ELb0ELb0ES3_N6thrust23THRUST_200600_302600_NS6detail15normal_iteratorINS9_10device_ptrIxEEEENS9_16discard_iteratorINS9_11use_defaultEEExNS9_4plusIvEExEEDaPvRmT3_T4_T5_mT6_P12ihipStream_tbENKUlT_T0_E_clISt17integral_constantIbLb0EESX_EEDaSS_ST_EUlSS_E_NS1_11comp_targetILNS1_3genE4ELNS1_11target_archE910ELNS1_3gpuE8ELNS1_3repE0EEENS1_30default_config_static_selectorELNS0_4arch9wavefront6targetE1EEEvT1_
; %bb.0:
	s_load_dwordx4 s[0:3], s[4:5], 0x0
	s_load_dwordx2 s[8:9], s[4:5], 0x20
	s_load_dword s7, s[4:5], 0x40
	v_lshlrev_b32_e32 v1, 3, v0
	s_waitcnt lgkmcnt(0)
	s_lshl_b64 s[2:3], s[2:3], 3
	s_add_u32 s2, s0, s2
	s_addc_u32 s3, s1, s3
	s_add_i32 s7, s7, -1
	s_mul_i32 s10, s7, 0x380
	s_sub_u32 s18, s8, s10
	s_subb_u32 s19, s9, 0
	s_mul_i32 s0, s6, 0x380
	s_mov_b32 s1, 0
	s_cmp_lg_u32 s6, s7
	s_cselect_b64 s[12:13], -1, 0
	s_lshl_b64 s[0:1], s[0:1], 3
	s_add_u32 s0, s2, s0
	s_addc_u32 s1, s3, s1
	s_mov_b64 s[2:3], -1
	s_and_b64 vcc, exec, s[12:13]
	s_cbranch_vccz .LBB5584_2
; %bb.1:
	v_mov_b32_e32 v3, s1
	v_add_co_u32_e32 v2, vcc, s0, v1
	v_addc_co_u32_e32 v3, vcc, 0, v3, vcc
	flat_load_dwordx2 v[4:5], v[2:3]
	flat_load_dwordx2 v[6:7], v[2:3] offset:1024
	flat_load_dwordx2 v[8:9], v[2:3] offset:2048
	;; [unrolled: 1-line block ×3, first 2 shown]
	v_add_co_u32_e32 v2, vcc, 0x1000, v2
	v_addc_co_u32_e32 v3, vcc, 0, v3, vcc
	flat_load_dwordx2 v[12:13], v[2:3]
	flat_load_dwordx2 v[14:15], v[2:3] offset:1024
	flat_load_dwordx2 v[16:17], v[2:3] offset:2048
	s_mov_b64 s[2:3], 0
	s_waitcnt vmcnt(0) lgkmcnt(0)
	ds_write2st64_b64 v1, v[4:5], v[6:7] offset1:2
	ds_write2st64_b64 v1, v[8:9], v[10:11] offset0:4 offset1:6
	ds_write2st64_b64 v1, v[12:13], v[14:15] offset0:8 offset1:10
	ds_write_b64 v1, v[16:17] offset:6144
	s_waitcnt lgkmcnt(0)
	s_barrier
.LBB5584_2:
	s_load_dwordx2 s[14:15], s[4:5], 0x38
	s_andn2_b64 vcc, exec, s[2:3]
	s_cbranch_vccnz .LBB5584_18
; %bb.3:
	v_pk_mov_b32 v[2:3], s[0:1], s[0:1] op_sel:[0,1]
	flat_load_dwordx2 v[2:3], v[2:3]
	v_cmp_gt_u32_e32 vcc, s18, v0
	s_waitcnt vmcnt(0) lgkmcnt(0)
	v_mov_b32_e32 v4, v2
	v_mov_b32_e32 v5, v3
	;; [unrolled: 1-line block ×10, first 2 shown]
	v_pk_mov_b32 v[18:19], v[14:15], v[14:15] op_sel:[0,1]
	v_pk_mov_b32 v[16:17], v[12:13], v[12:13] op_sel:[0,1]
	;; [unrolled: 1-line block ×8, first 2 shown]
	s_and_saveexec_b64 s[2:3], vcc
	s_cbranch_execz .LBB5584_5
; %bb.4:
	v_mov_b32_e32 v5, s1
	v_add_co_u32_e32 v4, vcc, s0, v1
	v_addc_co_u32_e32 v5, vcc, 0, v5, vcc
	flat_load_dwordx2 v[20:21], v[4:5]
	v_mov_b32_e32 v4, v2
	v_mov_b32_e32 v5, v3
	;; [unrolled: 1-line block ×10, first 2 shown]
	v_pk_mov_b32 v[18:19], v[14:15], v[14:15] op_sel:[0,1]
	v_pk_mov_b32 v[16:17], v[12:13], v[12:13] op_sel:[0,1]
	;; [unrolled: 1-line block ×8, first 2 shown]
	s_waitcnt vmcnt(0) lgkmcnt(0)
	v_pk_mov_b32 v[2:3], v[20:21], v[20:21] op_sel:[0,1]
.LBB5584_5:
	s_or_b64 exec, exec, s[2:3]
	v_or_b32_e32 v4, 0x80, v0
	v_cmp_gt_u32_e32 vcc, s18, v4
	s_and_saveexec_b64 s[2:3], vcc
	s_cbranch_execz .LBB5584_7
; %bb.6:
	v_mov_b32_e32 v5, s1
	v_add_co_u32_e32 v4, vcc, s0, v1
	v_addc_co_u32_e32 v5, vcc, 0, v5, vcc
	flat_load_dwordx2 v[6:7], v[4:5] offset:1024
.LBB5584_7:
	s_or_b64 exec, exec, s[2:3]
	v_or_b32_e32 v4, 0x100, v0
	v_cmp_gt_u32_e32 vcc, s18, v4
	s_and_saveexec_b64 s[2:3], vcc
	s_cbranch_execz .LBB5584_9
; %bb.8:
	v_mov_b32_e32 v5, s1
	v_add_co_u32_e32 v4, vcc, s0, v1
	v_addc_co_u32_e32 v5, vcc, 0, v5, vcc
	flat_load_dwordx2 v[8:9], v[4:5] offset:2048
.LBB5584_9:
	;; [unrolled: 11-line block ×3, first 2 shown]
	s_or_b64 exec, exec, s[2:3]
	v_or_b32_e32 v4, 0x200, v0
	v_cmp_gt_u32_e32 vcc, s18, v4
	s_and_saveexec_b64 s[2:3], vcc
	s_cbranch_execz .LBB5584_13
; %bb.12:
	v_lshlrev_b32_e32 v4, 3, v4
	v_mov_b32_e32 v5, s1
	v_add_co_u32_e32 v4, vcc, s0, v4
	v_addc_co_u32_e32 v5, vcc, 0, v5, vcc
	flat_load_dwordx2 v[12:13], v[4:5]
.LBB5584_13:
	s_or_b64 exec, exec, s[2:3]
	v_or_b32_e32 v4, 0x280, v0
	v_cmp_gt_u32_e32 vcc, s18, v4
	s_and_saveexec_b64 s[2:3], vcc
	s_cbranch_execz .LBB5584_15
; %bb.14:
	v_lshlrev_b32_e32 v4, 3, v4
	v_mov_b32_e32 v5, s1
	v_add_co_u32_e32 v4, vcc, s0, v4
	v_addc_co_u32_e32 v5, vcc, 0, v5, vcc
	flat_load_dwordx2 v[14:15], v[4:5]
.LBB5584_15:
	;; [unrolled: 12-line block ×3, first 2 shown]
	s_or_b64 exec, exec, s[2:3]
	s_waitcnt vmcnt(0) lgkmcnt(0)
	ds_write2st64_b64 v1, v[2:3], v[6:7] offset1:2
	ds_write2st64_b64 v1, v[8:9], v[10:11] offset0:4 offset1:6
	ds_write2st64_b64 v1, v[12:13], v[14:15] offset0:8 offset1:10
	ds_write_b64 v1, v[16:17] offset:6144
	s_waitcnt lgkmcnt(0)
	s_barrier
.LBB5584_18:
	v_mul_u32_u24_e32 v36, 7, v0
	v_lshlrev_b32_e32 v1, 3, v36
	s_waitcnt lgkmcnt(0)
	ds_read2_b64 v[2:5], v1 offset1:1
	ds_read2_b64 v[10:13], v1 offset0:2 offset1:3
	ds_read2_b64 v[6:9], v1 offset0:4 offset1:5
	ds_read_b64 v[28:29], v1 offset:48
	s_cmp_lg_u32 s6, 0
	v_lshrrev_b32_e32 v37, 5, v0
	v_cmp_gt_u32_e32 vcc, 64, v0
	s_waitcnt lgkmcnt(0)
	s_barrier
	s_cbranch_scc0 .LBB5584_45
; %bb.19:
	v_add_co_u32_e64 v1, s[0:1], v4, v2
	v_addc_co_u32_e64 v14, s[0:1], v5, v3, s[0:1]
	v_add_co_u32_e64 v1, s[0:1], v1, v10
	v_addc_co_u32_e64 v14, s[0:1], v14, v11, s[0:1]
	;; [unrolled: 2-line block ×6, first 2 shown]
	v_add_lshl_u32 v1, v37, v0, 3
	ds_write_b64 v1, v[18:19]
	s_waitcnt lgkmcnt(0)
	s_barrier
	s_and_saveexec_b64 s[8:9], vcc
	s_cbranch_execz .LBB5584_23
; %bb.20:
	v_lshlrev_b32_e32 v1, 1, v0
	v_lshrrev_b32_e32 v14, 4, v0
	v_add_lshl_u32 v20, v14, v1, 3
	ds_read2_b64 v[14:17], v20 offset1:1
	v_mbcnt_lo_u32_b32 v1, -1, 0
	s_waitcnt lgkmcnt(0)
	v_add_co_u32_e64 v21, s[0:1], v16, v14
	v_addc_co_u32_e64 v22, s[0:1], v17, v15, s[0:1]
	s_nop 0
	v_mov_b32_dpp v16, v21 row_shr:1 row_mask:0xf bank_mask:0xf
	v_add_co_u32_e64 v16, s[0:1], v21, v16
	v_addc_co_u32_e64 v24, s[0:1], 0, v22, s[0:1]
	v_mbcnt_hi_u32_b32 v17, -1, v1
	v_mov_b32_dpp v23, v22 row_shr:1 row_mask:0xf bank_mask:0xf
	v_add_co_u32_e64 v25, s[0:1], 0, v16
	v_and_b32_e32 v1, 15, v17
	v_addc_co_u32_e64 v23, s[0:1], v23, v24, s[0:1]
	v_cmp_eq_u32_e64 s[0:1], 0, v1
	v_cndmask_b32_e64 v16, v16, v21, s[0:1]
	v_cndmask_b32_e64 v23, v23, v22, s[0:1]
	v_cndmask_b32_e64 v24, v25, v21, s[0:1]
	v_mov_b32_dpp v25, v16 row_shr:2 row_mask:0xf bank_mask:0xf
	v_mov_b32_dpp v26, v23 row_shr:2 row_mask:0xf bank_mask:0xf
	v_add_co_u32_e64 v25, s[0:1], v25, v24
	v_addc_co_u32_e64 v26, s[0:1], v26, v23, s[0:1]
	v_cmp_lt_u32_e64 s[0:1], 1, v1
	v_cndmask_b32_e64 v16, v16, v25, s[0:1]
	v_cndmask_b32_e64 v23, v23, v26, s[0:1]
	v_cndmask_b32_e64 v24, v24, v25, s[0:1]
	v_mov_b32_dpp v25, v16 row_shr:4 row_mask:0xf bank_mask:0xf
	v_mov_b32_dpp v26, v23 row_shr:4 row_mask:0xf bank_mask:0xf
	v_add_co_u32_e64 v25, s[0:1], v25, v24
	v_addc_co_u32_e64 v26, s[0:1], v26, v23, s[0:1]
	v_cmp_lt_u32_e64 s[0:1], 3, v1
	;; [unrolled: 8-line block ×3, first 2 shown]
	v_cndmask_b32_e64 v27, v16, v25, s[0:1]
	v_cndmask_b32_e64 v1, v23, v26, s[0:1]
	;; [unrolled: 1-line block ×3, first 2 shown]
	v_mov_b32_dpp v23, v27 row_bcast:15 row_mask:0xf bank_mask:0xf
	v_mov_b32_dpp v24, v1 row_bcast:15 row_mask:0xf bank_mask:0xf
	v_add_co_u32_e64 v23, s[0:1], v23, v16
	v_and_b32_e32 v26, 16, v17
	v_addc_co_u32_e64 v25, s[0:1], v24, v1, s[0:1]
	v_cmp_eq_u32_e64 s[0:1], 0, v26
	v_cndmask_b32_e64 v26, v25, v1, s[0:1]
	v_cndmask_b32_e64 v24, v23, v27, s[0:1]
	v_cmp_ne_u32_e64 s[2:3], 0, v17
	v_mov_b32_dpp v26, v26 row_bcast:31 row_mask:0xf bank_mask:0xf
	v_mov_b32_dpp v24, v24 row_bcast:31 row_mask:0xf bank_mask:0xf
	s_and_saveexec_b64 s[10:11], s[2:3]
; %bb.21:
	v_cndmask_b32_e64 v1, v25, v1, s[0:1]
	v_cndmask_b32_e64 v16, v23, v16, s[0:1]
	v_cmp_lt_u32_e64 s[0:1], 31, v17
	v_cndmask_b32_e64 v21, 0, v24, s[0:1]
	v_cndmask_b32_e64 v22, 0, v26, s[0:1]
	v_add_co_u32_e64 v21, s[0:1], v21, v16
	v_addc_co_u32_e64 v22, s[0:1], v22, v1, s[0:1]
; %bb.22:
	s_or_b64 exec, exec, s[10:11]
	v_add_u32_e32 v1, -1, v17
	v_and_b32_e32 v16, 64, v17
	v_cmp_lt_i32_e64 s[0:1], v1, v16
	v_cndmask_b32_e64 v1, v1, v17, s[0:1]
	v_lshlrev_b32_e32 v1, 2, v1
	ds_bpermute_b32 v16, v1, v21
	ds_bpermute_b32 v1, v1, v22
	; wave barrier
	s_waitcnt lgkmcnt(1)
	v_add_co_u32_e64 v14, s[0:1], v14, v16
	v_addc_co_u32_e64 v15, s[0:1], 0, v15, s[0:1]
	v_add_co_u32_e64 v14, s[0:1], 0, v14
	s_waitcnt lgkmcnt(0)
	v_addc_co_u32_e64 v1, s[0:1], v15, v1, s[0:1]
	v_cmp_eq_u32_e64 s[0:1], 0, v0
	v_cndmask_b32_e64 v15, v1, v19, s[0:1]
	v_cndmask_b32_e64 v14, v14, v18, s[0:1]
	ds_write_b64 v20, v[14:15]
	; wave barrier
	ds_read_b64 v[16:17], v20 offset:8
	s_waitcnt lgkmcnt(0)
	v_add_co_u32_e64 v14, s[0:1], v16, v14
	v_addc_co_u32_e64 v15, s[0:1], v17, v15, s[0:1]
	ds_write_b64 v20, v[14:15] offset:8
.LBB5584_23:
	s_or_b64 exec, exec, s[8:9]
	v_cmp_eq_u32_e64 s[0:1], 0, v0
	v_cmp_ne_u32_e64 s[2:3], 0, v0
	v_pk_mov_b32 v[22:23], 0, 0
	s_waitcnt lgkmcnt(0)
	s_barrier
	s_and_saveexec_b64 s[8:9], s[2:3]
	s_cbranch_execz .LBB5584_25
; %bb.24:
	v_add_u32_e32 v1, -1, v0
	v_lshrrev_b32_e32 v14, 5, v1
	v_add_lshl_u32 v1, v14, v1, 3
	ds_read_b64 v[22:23], v1
.LBB5584_25:
	s_or_b64 exec, exec, s[8:9]
	s_and_saveexec_b64 s[16:17], vcc
	s_cbranch_execz .LBB5584_44
; %bb.26:
	v_mov_b32_e32 v17, 0
	ds_read_b64 v[14:15], v17 offset:1040
	v_mbcnt_lo_u32_b32 v1, -1, 0
	v_mbcnt_hi_u32_b32 v30, -1, v1
	s_mov_b32 s11, 0
	v_cmp_eq_u32_e64 s[2:3], 0, v30
	s_and_saveexec_b64 s[8:9], s[2:3]
	s_cbranch_execz .LBB5584_28
; %bb.27:
	s_add_i32 s10, s6, 64
	s_lshl_b64 s[10:11], s[10:11], 4
	s_add_u32 s10, s14, s10
	s_addc_u32 s11, s15, s11
	v_mov_b32_e32 v16, 1
	v_pk_mov_b32 v[18:19], s[10:11], s[10:11] op_sel:[0,1]
	s_waitcnt lgkmcnt(0)
	;;#ASMSTART
	global_store_dwordx4 v[18:19], v[14:17] off	
s_waitcnt vmcnt(0)
	;;#ASMEND
.LBB5584_28:
	s_or_b64 exec, exec, s[8:9]
	v_xad_u32 v24, v30, -1, s6
	v_add_u32_e32 v16, 64, v24
	v_lshlrev_b64 v[18:19], 4, v[16:17]
	v_mov_b32_e32 v1, s15
	v_add_co_u32_e32 v26, vcc, s14, v18
	v_addc_co_u32_e32 v27, vcc, v1, v19, vcc
	;;#ASMSTART
	global_load_dwordx4 v[18:21], v[26:27] off glc	
s_waitcnt vmcnt(0)
	;;#ASMEND
	v_and_b32_e32 v1, 0xff, v19
	v_and_b32_e32 v16, 0xff00, v19
	v_or3_b32 v1, 0, v1, v16
	v_or3_b32 v16, v18, 0, 0
	v_and_b32_e32 v18, 0xff000000, v19
	v_and_b32_e32 v19, 0xff0000, v19
	v_or3_b32 v19, v1, v19, v18
	v_or3_b32 v18, v16, 0, 0
	v_cmp_eq_u16_sdwa s[10:11], v20, v17 src0_sel:BYTE_0 src1_sel:DWORD
	s_and_saveexec_b64 s[8:9], s[10:11]
	s_cbranch_execz .LBB5584_32
; %bb.29:
	s_mov_b64 s[10:11], 0
	v_mov_b32_e32 v1, 0
.LBB5584_30:                            ; =>This Inner Loop Header: Depth=1
	;;#ASMSTART
	global_load_dwordx4 v[18:21], v[26:27] off glc	
s_waitcnt vmcnt(0)
	;;#ASMEND
	v_cmp_ne_u16_sdwa s[20:21], v20, v1 src0_sel:BYTE_0 src1_sel:DWORD
	s_or_b64 s[10:11], s[20:21], s[10:11]
	s_andn2_b64 exec, exec, s[10:11]
	s_cbranch_execnz .LBB5584_30
; %bb.31:
	s_or_b64 exec, exec, s[10:11]
.LBB5584_32:
	s_or_b64 exec, exec, s[8:9]
	v_and_b32_e32 v32, 63, v30
	v_cmp_ne_u32_e32 vcc, 63, v32
	v_addc_co_u32_e32 v26, vcc, 0, v30, vcc
	v_lshlrev_b32_e32 v33, 2, v26
	ds_bpermute_b32 v26, v33, v18
	v_mov_b32_e32 v1, 2
	v_cmp_eq_u16_sdwa s[8:9], v20, v1 src0_sel:BYTE_0 src1_sel:DWORD
	v_lshlrev_b64 v[16:17], v30, -1
	ds_bpermute_b32 v27, v33, v19
	v_and_b32_e32 v21, s9, v17
	v_or_b32_e32 v21, 0x80000000, v21
	s_waitcnt lgkmcnt(1)
	v_add_co_u32_e32 v26, vcc, v18, v26
	v_and_b32_e32 v25, s8, v16
	v_ffbl_b32_e32 v21, v21
	v_addc_co_u32_e32 v31, vcc, 0, v19, vcc
	v_add_u32_e32 v21, 32, v21
	v_ffbl_b32_e32 v25, v25
	v_add_co_u32_e32 v35, vcc, 0, v26
	v_cmp_gt_u32_e64 s[8:9], 62, v32
	v_min_u32_e32 v21, v25, v21
	s_waitcnt lgkmcnt(0)
	v_addc_co_u32_e32 v27, vcc, v27, v31, vcc
	v_cndmask_b32_e64 v31, 0, 1, s[8:9]
	v_cmp_lt_u32_e32 vcc, v32, v21
	v_lshlrev_b32_e32 v31, 1, v31
	v_cndmask_b32_e32 v26, v18, v26, vcc
	v_add_lshl_u32 v34, v31, v30, 2
	v_cndmask_b32_e32 v27, v19, v27, vcc
	ds_bpermute_b32 v31, v34, v26
	ds_bpermute_b32 v38, v34, v27
	v_cndmask_b32_e32 v39, v18, v35, vcc
	v_add_u32_e32 v35, 2, v32
	v_cmp_gt_u32_e64 s[10:11], 60, v32
	s_waitcnt lgkmcnt(1)
	v_add_co_u32_e64 v31, s[8:9], v31, v39
	s_waitcnt lgkmcnt(0)
	v_addc_co_u32_e64 v38, s[8:9], v38, v27, s[8:9]
	v_cmp_gt_u32_e64 s[8:9], v35, v21
	v_cndmask_b32_e64 v27, v38, v27, s[8:9]
	v_cndmask_b32_e64 v38, 0, 1, s[10:11]
	v_lshlrev_b32_e32 v38, 2, v38
	v_cndmask_b32_e64 v26, v31, v26, s[8:9]
	v_add_lshl_u32 v38, v38, v30, 2
	ds_bpermute_b32 v40, v38, v26
	ds_bpermute_b32 v41, v38, v27
	v_cndmask_b32_e64 v31, v31, v39, s[8:9]
	v_add_u32_e32 v39, 4, v32
	v_cmp_gt_u32_e64 s[10:11], 56, v32
	s_waitcnt lgkmcnt(1)
	v_add_co_u32_e64 v42, s[8:9], v40, v31
	s_waitcnt lgkmcnt(0)
	v_addc_co_u32_e64 v40, s[8:9], v41, v27, s[8:9]
	v_cmp_gt_u32_e64 s[8:9], v39, v21
	v_cndmask_b32_e64 v27, v40, v27, s[8:9]
	v_cndmask_b32_e64 v40, 0, 1, s[10:11]
	v_lshlrev_b32_e32 v40, 3, v40
	v_cndmask_b32_e64 v26, v42, v26, s[8:9]
	v_add_lshl_u32 v40, v40, v30, 2
	ds_bpermute_b32 v43, v40, v26
	v_cndmask_b32_e64 v31, v42, v31, s[8:9]
	ds_bpermute_b32 v42, v40, v27
	v_add_u32_e32 v41, 8, v32
	v_cmp_gt_u32_e64 s[10:11], 48, v32
	s_waitcnt lgkmcnt(1)
	v_add_co_u32_e64 v43, s[8:9], v43, v31
	s_waitcnt lgkmcnt(0)
	v_addc_co_u32_e64 v42, s[8:9], v42, v27, s[8:9]
	v_cmp_gt_u32_e64 s[8:9], v41, v21
	v_cndmask_b32_e64 v27, v42, v27, s[8:9]
	v_cndmask_b32_e64 v42, 0, 1, s[10:11]
	v_lshlrev_b32_e32 v42, 4, v42
	v_cndmask_b32_e64 v26, v43, v26, s[8:9]
	v_add_lshl_u32 v42, v42, v30, 2
	ds_bpermute_b32 v44, v42, v26
	ds_bpermute_b32 v45, v42, v27
	v_cndmask_b32_e64 v31, v43, v31, s[8:9]
	v_cmp_gt_u32_e64 s[10:11], 32, v32
	v_add_u32_e32 v43, 16, v32
	s_waitcnt lgkmcnt(1)
	v_add_co_u32_e64 v46, s[8:9], v44, v31
	s_waitcnt lgkmcnt(0)
	v_addc_co_u32_e64 v45, s[8:9], v45, v27, s[8:9]
	v_cndmask_b32_e64 v44, 0, 1, s[10:11]
	v_cmp_gt_u32_e64 s[8:9], v43, v21
	v_lshlrev_b32_e32 v44, 5, v44
	v_cndmask_b32_e64 v26, v46, v26, s[8:9]
	v_add_lshl_u32 v44, v44, v30, 2
	v_cndmask_b32_e64 v27, v45, v27, s[8:9]
	ds_bpermute_b32 v26, v44, v26
	ds_bpermute_b32 v30, v44, v27
	v_add_u32_e32 v45, 32, v32
	v_cndmask_b32_e64 v31, v46, v31, s[8:9]
	v_cmp_le_u32_e64 s[8:9], v45, v21
	s_waitcnt lgkmcnt(1)
	v_cndmask_b32_e64 v26, 0, v26, s[8:9]
	s_waitcnt lgkmcnt(0)
	v_cndmask_b32_e64 v21, 0, v30, s[8:9]
	v_add_co_u32_e64 v26, s[8:9], v26, v31
	v_addc_co_u32_e64 v21, s[8:9], v21, v27, s[8:9]
	v_mov_b32_e32 v25, 0
	v_cndmask_b32_e32 v19, v19, v21, vcc
	v_cndmask_b32_e32 v18, v18, v26, vcc
	s_branch .LBB5584_34
.LBB5584_33:                            ;   in Loop: Header=BB5584_34 Depth=1
	s_or_b64 exec, exec, s[8:9]
	v_cmp_eq_u16_sdwa s[8:9], v20, v1 src0_sel:BYTE_0 src1_sel:DWORD
	v_and_b32_e32 v21, s9, v17
	v_or_b32_e32 v21, 0x80000000, v21
	ds_bpermute_b32 v31, v33, v18
	v_and_b32_e32 v30, s8, v16
	v_ffbl_b32_e32 v21, v21
	v_add_u32_e32 v21, 32, v21
	v_ffbl_b32_e32 v30, v30
	v_min_u32_e32 v21, v30, v21
	ds_bpermute_b32 v30, v33, v19
	s_waitcnt lgkmcnt(1)
	v_add_co_u32_e32 v31, vcc, v18, v31
	v_addc_co_u32_e32 v46, vcc, 0, v19, vcc
	v_add_co_u32_e32 v47, vcc, 0, v31
	s_waitcnt lgkmcnt(0)
	v_addc_co_u32_e32 v30, vcc, v30, v46, vcc
	v_cmp_lt_u32_e32 vcc, v32, v21
	v_cndmask_b32_e32 v31, v18, v31, vcc
	ds_bpermute_b32 v46, v34, v31
	v_cndmask_b32_e32 v30, v19, v30, vcc
	ds_bpermute_b32 v48, v34, v30
	v_cndmask_b32_e32 v47, v18, v47, vcc
	v_subrev_u32_e32 v24, 64, v24
	s_waitcnt lgkmcnt(1)
	v_add_co_u32_e64 v46, s[8:9], v46, v47
	s_waitcnt lgkmcnt(0)
	v_addc_co_u32_e64 v48, s[8:9], v48, v30, s[8:9]
	v_cmp_gt_u32_e64 s[8:9], v35, v21
	v_cndmask_b32_e64 v31, v46, v31, s[8:9]
	ds_bpermute_b32 v49, v38, v31
	v_cndmask_b32_e64 v30, v48, v30, s[8:9]
	ds_bpermute_b32 v48, v38, v30
	v_cndmask_b32_e64 v46, v46, v47, s[8:9]
	s_waitcnt lgkmcnt(1)
	v_add_co_u32_e64 v47, s[8:9], v49, v46
	s_waitcnt lgkmcnt(0)
	v_addc_co_u32_e64 v48, s[8:9], v48, v30, s[8:9]
	v_cmp_gt_u32_e64 s[8:9], v39, v21
	v_cndmask_b32_e64 v31, v47, v31, s[8:9]
	ds_bpermute_b32 v49, v40, v31
	v_cndmask_b32_e64 v30, v48, v30, s[8:9]
	ds_bpermute_b32 v48, v40, v30
	v_cndmask_b32_e64 v46, v47, v46, s[8:9]
	;; [unrolled: 10-line block ×3, first 2 shown]
	s_waitcnt lgkmcnt(1)
	v_add_co_u32_e64 v47, s[8:9], v49, v46
	s_waitcnt lgkmcnt(0)
	v_addc_co_u32_e64 v48, s[8:9], v48, v30, s[8:9]
	v_cmp_gt_u32_e64 s[8:9], v43, v21
	v_cndmask_b32_e64 v31, v47, v31, s[8:9]
	v_cndmask_b32_e64 v30, v48, v30, s[8:9]
	ds_bpermute_b32 v31, v44, v31
	ds_bpermute_b32 v48, v44, v30
	v_cndmask_b32_e64 v46, v47, v46, s[8:9]
	v_cmp_le_u32_e64 s[8:9], v45, v21
	s_waitcnt lgkmcnt(1)
	v_cndmask_b32_e64 v31, 0, v31, s[8:9]
	s_waitcnt lgkmcnt(0)
	v_cndmask_b32_e64 v21, 0, v48, s[8:9]
	v_add_co_u32_e64 v31, s[8:9], v31, v46
	v_addc_co_u32_e64 v21, s[8:9], v21, v30, s[8:9]
	v_cndmask_b32_e32 v18, v18, v31, vcc
	v_cndmask_b32_e32 v19, v19, v21, vcc
	v_add_co_u32_e32 v18, vcc, v18, v26
	v_addc_co_u32_e32 v19, vcc, v19, v27, vcc
.LBB5584_34:                            ; =>This Loop Header: Depth=1
                                        ;     Child Loop BB5584_37 Depth 2
	v_cmp_ne_u16_sdwa s[8:9], v20, v1 src0_sel:BYTE_0 src1_sel:DWORD
	v_cndmask_b32_e64 v20, 0, 1, s[8:9]
	;;#ASMSTART
	;;#ASMEND
	v_cmp_ne_u32_e32 vcc, 0, v20
	s_cmp_lg_u64 vcc, exec
	v_pk_mov_b32 v[26:27], v[18:19], v[18:19] op_sel:[0,1]
	s_cbranch_scc1 .LBB5584_39
; %bb.35:                               ;   in Loop: Header=BB5584_34 Depth=1
	v_lshlrev_b64 v[18:19], 4, v[24:25]
	v_mov_b32_e32 v20, s15
	v_add_co_u32_e32 v30, vcc, s14, v18
	v_addc_co_u32_e32 v31, vcc, v20, v19, vcc
	;;#ASMSTART
	global_load_dwordx4 v[18:21], v[30:31] off glc	
s_waitcnt vmcnt(0)
	;;#ASMEND
	v_and_b32_e32 v21, 0xff, v19
	v_and_b32_e32 v46, 0xff00, v19
	v_or3_b32 v21, 0, v21, v46
	v_or3_b32 v18, v18, 0, 0
	v_and_b32_e32 v46, 0xff000000, v19
	v_and_b32_e32 v19, 0xff0000, v19
	v_or3_b32 v19, v21, v19, v46
	v_or3_b32 v18, v18, 0, 0
	v_cmp_eq_u16_sdwa s[10:11], v20, v25 src0_sel:BYTE_0 src1_sel:DWORD
	s_and_saveexec_b64 s[8:9], s[10:11]
	s_cbranch_execz .LBB5584_33
; %bb.36:                               ;   in Loop: Header=BB5584_34 Depth=1
	s_mov_b64 s[10:11], 0
.LBB5584_37:                            ;   Parent Loop BB5584_34 Depth=1
                                        ; =>  This Inner Loop Header: Depth=2
	;;#ASMSTART
	global_load_dwordx4 v[18:21], v[30:31] off glc	
s_waitcnt vmcnt(0)
	;;#ASMEND
	v_cmp_ne_u16_sdwa s[20:21], v20, v25 src0_sel:BYTE_0 src1_sel:DWORD
	s_or_b64 s[10:11], s[20:21], s[10:11]
	s_andn2_b64 exec, exec, s[10:11]
	s_cbranch_execnz .LBB5584_37
; %bb.38:                               ;   in Loop: Header=BB5584_34 Depth=1
	s_or_b64 exec, exec, s[10:11]
	s_branch .LBB5584_33
.LBB5584_39:                            ;   in Loop: Header=BB5584_34 Depth=1
                                        ; implicit-def: $vgpr18_vgpr19
                                        ; implicit-def: $vgpr20
	s_cbranch_execz .LBB5584_34
; %bb.40:
	s_and_saveexec_b64 s[8:9], s[2:3]
	s_cbranch_execz .LBB5584_42
; %bb.41:
	s_add_i32 s2, s6, 64
	s_mov_b32 s3, 0
	s_lshl_b64 s[2:3], s[2:3], 4
	s_add_u32 s2, s14, s2
	v_add_co_u32_e32 v14, vcc, v26, v14
	s_addc_u32 s3, s15, s3
	v_addc_co_u32_e32 v15, vcc, v27, v15, vcc
	v_mov_b32_e32 v16, 2
	v_mov_b32_e32 v17, 0
	v_pk_mov_b32 v[18:19], s[2:3], s[2:3] op_sel:[0,1]
	;;#ASMSTART
	global_store_dwordx4 v[18:19], v[14:17] off	
s_waitcnt vmcnt(0)
	;;#ASMEND
.LBB5584_42:
	s_or_b64 exec, exec, s[8:9]
	s_and_b64 exec, exec, s[0:1]
	s_cbranch_execz .LBB5584_44
; %bb.43:
	v_mov_b32_e32 v1, 0
	ds_write_b64 v1, v[26:27]
.LBB5584_44:
	s_or_b64 exec, exec, s[16:17]
	v_mov_b32_e32 v1, 0
	s_waitcnt lgkmcnt(0)
	s_barrier
	ds_read_b64 v[14:15], v1
	v_add_co_u32_e32 v1, vcc, v22, v2
	v_addc_co_u32_e32 v16, vcc, v23, v3, vcc
	s_waitcnt lgkmcnt(0)
	v_add_co_u32_e32 v24, vcc, v1, v14
	v_addc_co_u32_e32 v25, vcc, v16, v15, vcc
	v_add_co_u32_e32 v30, vcc, v24, v4
	v_addc_co_u32_e32 v31, vcc, v25, v5, vcc
	;; [unrolled: 2-line block ×7, first 2 shown]
	s_load_dwordx8 s[4:11], s[4:5], 0x48
	s_branch .LBB5584_59
.LBB5584_45:
                                        ; implicit-def: $vgpr22_vgpr23
                                        ; implicit-def: $vgpr34_vgpr35
                                        ; implicit-def: $vgpr32_vgpr33
                                        ; implicit-def: $vgpr30_vgpr31
                                        ; implicit-def: $vgpr18_vgpr19_vgpr20_vgpr21
                                        ; implicit-def: $vgpr14_vgpr15_vgpr16_vgpr17
                                        ; implicit-def: $vgpr24_vgpr25_vgpr26_vgpr27
	s_load_dwordx8 s[4:11], s[4:5], 0x48
	s_cbranch_execz .LBB5584_59
; %bb.46:
	s_waitcnt lgkmcnt(0)
	s_cmp_lg_u64 s[8:9], 0
	s_cselect_b64 s[2:3], -1, 0
	v_cmp_eq_u32_e64 s[0:1], 0, v0
	v_cmp_ne_u32_e32 vcc, 0, v0
	s_and_b64 s[2:3], s[0:1], s[2:3]
	s_and_saveexec_b64 s[8:9], s[2:3]
	s_cbranch_execz .LBB5584_48
; %bb.47:
	v_mov_b32_e32 v1, 0
	global_load_dwordx2 v[14:15], v1, s[4:5]
	s_waitcnt vmcnt(0)
	v_add_co_u32_e64 v2, s[2:3], v14, v2
	v_addc_co_u32_e64 v3, s[2:3], v15, v3, s[2:3]
.LBB5584_48:
	s_or_b64 exec, exec, s[8:9]
	v_add_co_u32_e64 v30, s[2:3], v4, v2
	v_addc_co_u32_e64 v31, s[2:3], v5, v3, s[2:3]
	v_add_co_u32_e64 v14, s[2:3], v30, v10
	v_addc_co_u32_e64 v15, s[2:3], v31, v11, s[2:3]
	;; [unrolled: 2-line block ×6, first 2 shown]
	v_add_lshl_u32 v1, v37, v0, 3
	v_cmp_gt_u32_e64 s[2:3], 64, v0
	ds_write_b64 v1, v[22:23]
	s_waitcnt lgkmcnt(0)
	s_barrier
	s_and_saveexec_b64 s[8:9], s[2:3]
	s_cbranch_execz .LBB5584_52
; %bb.49:
	v_lshlrev_b32_e32 v1, 1, v0
	v_lshrrev_b32_e32 v16, 4, v0
	v_add_lshl_u32 v17, v16, v1, 3
	ds_read2_b64 v[24:27], v17 offset1:1
	v_mbcnt_lo_u32_b32 v1, -1, 0
	v_mbcnt_hi_u32_b32 v20, -1, v1
	v_and_b32_e32 v1, 15, v20
	v_cmp_ne_u32_e64 s[4:5], 0, v20
	s_waitcnt lgkmcnt(0)
	v_add_co_u32_e64 v21, s[2:3], v26, v24
	v_addc_co_u32_e64 v26, s[2:3], v27, v25, s[2:3]
	s_nop 0
	v_mov_b32_dpp v16, v21 row_shr:1 row_mask:0xf bank_mask:0xf
	v_add_co_u32_e64 v16, s[2:3], v21, v16
	v_addc_co_u32_e64 v37, s[2:3], 0, v26, s[2:3]
	v_mov_b32_dpp v27, v26 row_shr:1 row_mask:0xf bank_mask:0xf
	v_add_co_u32_e64 v38, s[2:3], 0, v16
	v_addc_co_u32_e64 v27, s[2:3], v27, v37, s[2:3]
	v_cmp_eq_u32_e64 s[2:3], 0, v1
	v_cndmask_b32_e64 v16, v16, v21, s[2:3]
	v_cndmask_b32_e64 v27, v27, v26, s[2:3]
	v_cndmask_b32_e64 v37, v38, v21, s[2:3]
	v_mov_b32_dpp v38, v16 row_shr:2 row_mask:0xf bank_mask:0xf
	v_mov_b32_dpp v39, v27 row_shr:2 row_mask:0xf bank_mask:0xf
	v_add_co_u32_e64 v38, s[2:3], v38, v37
	v_addc_co_u32_e64 v39, s[2:3], v39, v27, s[2:3]
	v_cmp_lt_u32_e64 s[2:3], 1, v1
	v_cndmask_b32_e64 v16, v16, v38, s[2:3]
	v_cndmask_b32_e64 v27, v27, v39, s[2:3]
	v_cndmask_b32_e64 v37, v37, v38, s[2:3]
	v_mov_b32_dpp v38, v16 row_shr:4 row_mask:0xf bank_mask:0xf
	v_mov_b32_dpp v39, v27 row_shr:4 row_mask:0xf bank_mask:0xf
	v_add_co_u32_e64 v38, s[2:3], v38, v37
	v_addc_co_u32_e64 v39, s[2:3], v39, v27, s[2:3]
	v_cmp_lt_u32_e64 s[2:3], 3, v1
	;; [unrolled: 8-line block ×3, first 2 shown]
	v_cndmask_b32_e64 v40, v16, v38, s[2:3]
	v_cndmask_b32_e64 v1, v27, v39, s[2:3]
	;; [unrolled: 1-line block ×3, first 2 shown]
	v_mov_b32_dpp v27, v40 row_bcast:15 row_mask:0xf bank_mask:0xf
	v_mov_b32_dpp v37, v1 row_bcast:15 row_mask:0xf bank_mask:0xf
	v_add_co_u32_e64 v27, s[2:3], v27, v16
	v_and_b32_e32 v39, 16, v20
	v_addc_co_u32_e64 v38, s[2:3], v37, v1, s[2:3]
	v_cmp_eq_u32_e64 s[2:3], 0, v39
	v_cndmask_b32_e64 v39, v38, v1, s[2:3]
	v_cndmask_b32_e64 v37, v27, v40, s[2:3]
	s_nop 0
	v_mov_b32_dpp v39, v39 row_bcast:31 row_mask:0xf bank_mask:0xf
	v_mov_b32_dpp v37, v37 row_bcast:31 row_mask:0xf bank_mask:0xf
	s_and_saveexec_b64 s[16:17], s[4:5]
; %bb.50:
	v_cndmask_b32_e64 v1, v38, v1, s[2:3]
	v_cndmask_b32_e64 v16, v27, v16, s[2:3]
	v_cmp_lt_u32_e64 s[2:3], 31, v20
	v_cndmask_b32_e64 v21, 0, v37, s[2:3]
	v_cndmask_b32_e64 v26, 0, v39, s[2:3]
	v_add_co_u32_e64 v21, s[2:3], v21, v16
	v_addc_co_u32_e64 v26, s[2:3], v26, v1, s[2:3]
; %bb.51:
	s_or_b64 exec, exec, s[16:17]
	v_add_u32_e32 v1, -1, v20
	v_and_b32_e32 v16, 64, v20
	v_cmp_lt_i32_e64 s[2:3], v1, v16
	v_cndmask_b32_e64 v1, v1, v20, s[2:3]
	v_lshlrev_b32_e32 v1, 2, v1
	ds_bpermute_b32 v16, v1, v21
	ds_bpermute_b32 v1, v1, v26
	; wave barrier
	s_waitcnt lgkmcnt(1)
	v_add_co_u32_e64 v16, s[2:3], v24, v16
	v_addc_co_u32_e64 v20, s[2:3], 0, v25, s[2:3]
	v_add_co_u32_e64 v16, s[2:3], 0, v16
	s_waitcnt lgkmcnt(0)
	v_addc_co_u32_e64 v1, s[2:3], v20, v1, s[2:3]
	v_cndmask_b32_e64 v21, v1, v23, s[0:1]
	v_cndmask_b32_e64 v20, v16, v22, s[0:1]
	ds_write_b64 v17, v[20:21]
	; wave barrier
	ds_read_b64 v[24:25], v17 offset:8
	s_waitcnt lgkmcnt(0)
	v_add_co_u32_e64 v20, s[0:1], v24, v20
	v_addc_co_u32_e64 v21, s[0:1], v25, v21, s[0:1]
	ds_write_b64 v17, v[20:21] offset:8
.LBB5584_52:
	s_or_b64 exec, exec, s[8:9]
	v_pk_mov_b32 v[16:17], v[22:23], v[22:23] op_sel:[0,1]
	s_waitcnt lgkmcnt(0)
	s_barrier
	s_and_saveexec_b64 s[0:1], vcc
	s_cbranch_execz .LBB5584_54
; %bb.53:
	v_add_u32_e32 v1, -1, v0
	v_lshrrev_b32_e32 v16, 5, v1
	v_add_lshl_u32 v1, v16, v1, 3
	ds_read_b64 v[16:17], v1
.LBB5584_54:
	s_or_b64 exec, exec, s[0:1]
	s_and_saveexec_b64 s[0:1], vcc
	s_cbranch_execz .LBB5584_56
; %bb.55:
	s_waitcnt lgkmcnt(0)
	v_add_co_u32_e32 v2, vcc, v16, v2
	v_addc_co_u32_e32 v3, vcc, v17, v3, vcc
	v_add_co_u32_e32 v30, vcc, v2, v4
	v_addc_co_u32_e32 v31, vcc, v3, v5, vcc
	v_add_co_u32_e32 v14, vcc, v30, v10
	v_addc_co_u32_e32 v15, vcc, v31, v11, vcc
	v_add_co_u32_e32 v32, vcc, v14, v12
	v_addc_co_u32_e32 v33, vcc, v15, v13, vcc
	v_add_co_u32_e32 v18, vcc, v32, v6
	v_addc_co_u32_e32 v19, vcc, v33, v7, vcc
	v_add_co_u32_e32 v34, vcc, v18, v8
	v_addc_co_u32_e32 v35, vcc, v19, v9, vcc
	v_add_co_u32_e32 v22, vcc, v34, v28
	v_addc_co_u32_e32 v23, vcc, v35, v29, vcc
	;;#ASMSTART
	;;#ASMEND
.LBB5584_56:
	s_or_b64 exec, exec, s[0:1]
	s_movk_i32 s0, 0x7f
	v_cmp_eq_u32_e32 vcc, s0, v0
	s_and_saveexec_b64 s[0:1], vcc
	s_cbranch_execz .LBB5584_58
; %bb.57:
	s_add_u32 s2, s14, 0x400
	s_addc_u32 s3, s15, 0
	v_mov_b32_e32 v24, 2
	v_mov_b32_e32 v25, 0
	v_pk_mov_b32 v[4:5], s[2:3], s[2:3] op_sel:[0,1]
	;;#ASMSTART
	global_store_dwordx4 v[4:5], v[22:25] off	
s_waitcnt vmcnt(0)
	;;#ASMEND
.LBB5584_58:
	s_or_b64 exec, exec, s[0:1]
	v_pk_mov_b32 v[24:25], v[2:3], v[2:3] op_sel:[0,1]
.LBB5584_59:
	v_mul_u32_u24_e32 v2, 56, v0
	s_mov_b64 s[0:1], -1
	s_and_b64 vcc, exec, s[12:13]
	s_waitcnt lgkmcnt(0)
	s_barrier
	ds_write2_b64 v2, v[24:25], v[30:31] offset1:1
	ds_write2_b64 v2, v[14:15], v[32:33] offset0:2 offset1:3
	ds_write2_b64 v2, v[18:19], v[34:35] offset0:4 offset1:5
	ds_write_b64 v2, v[22:23] offset:48
	s_waitcnt lgkmcnt(0)
	s_cbranch_vccz .LBB5584_61
; %bb.60:
	s_barrier
	s_mov_b64 s[0:1], 0
.LBB5584_61:
	s_andn2_b64 vcc, exec, s[0:1]
	s_cbranch_vccnz .LBB5584_86
; %bb.62:
	v_cmp_lt_u64_e64 s[0:1], s[10:11], 2
	s_and_b64 vcc, exec, s[0:1]
	s_barrier
	s_cbranch_vccnz .LBB5584_86
; %bb.63:
	s_add_u32 s0, s18, -1
	s_addc_u32 s1, s19, -1
	s_add_u32 s2, 0, 0x92481000
	s_addc_u32 s3, 0, 0x64
	s_add_i32 s3, s3, 0x249248c0
	s_mul_hi_u32 s9, s2, -7
	s_sub_i32 s9, s9, s2
	s_mul_i32 s10, s3, -7
	s_mul_i32 s4, s2, -7
	s_add_i32 s9, s9, s10
	s_mul_hi_u32 s5, s3, s4
	s_mul_i32 s8, s3, s4
	s_mul_i32 s11, s2, s9
	s_mul_hi_u32 s4, s2, s4
	s_mul_hi_u32 s10, s2, s9
	s_add_u32 s4, s4, s11
	s_addc_u32 s10, 0, s10
	s_add_u32 s4, s4, s8
	s_mul_hi_u32 s11, s3, s9
	s_addc_u32 s4, s10, s5
	s_addc_u32 s5, s11, 0
	s_mul_i32 s8, s3, s9
	s_add_u32 s4, s4, s8
	v_mov_b32_e32 v3, s4
	s_addc_u32 s5, 0, s5
	v_add_co_u32_e32 v3, vcc, s2, v3
	s_cmp_lg_u64 vcc, 0
	s_addc_u32 s2, s3, s5
	v_readfirstlane_b32 s5, v3
	s_mul_i32 s4, s0, s2
	s_mul_hi_u32 s8, s0, s5
	s_mul_hi_u32 s3, s0, s2
	s_add_u32 s4, s8, s4
	s_addc_u32 s3, 0, s3
	s_mul_hi_u32 s9, s1, s5
	s_mul_i32 s5, s1, s5
	s_add_u32 s4, s4, s5
	s_mul_hi_u32 s8, s1, s2
	s_addc_u32 s3, s3, s9
	s_addc_u32 s4, s8, 0
	s_mul_i32 s2, s1, s2
	s_add_u32 s2, s3, s2
	s_addc_u32 s3, 0, s4
	s_add_u32 s4, s2, 1
	s_addc_u32 s5, s3, 0
	s_add_u32 s8, s2, 2
	s_mul_i32 s10, s3, 7
	s_mul_hi_u32 s11, s2, 7
	s_addc_u32 s9, s3, 0
	s_add_i32 s11, s11, s10
	s_mul_i32 s10, s2, 7
	v_mov_b32_e32 v3, s10
	v_sub_co_u32_e32 v3, vcc, s0, v3
	s_cmp_lg_u64 vcc, 0
	s_subb_u32 s10, s1, s11
	v_subrev_co_u32_e32 v4, vcc, 7, v3
	s_cmp_lg_u64 vcc, 0
	s_subb_u32 s11, s10, 0
	v_readfirstlane_b32 s12, v4
	s_cmp_gt_u32 s12, 6
	s_cselect_b32 s12, -1, 0
	s_cmp_eq_u32 s11, 0
	s_cselect_b32 s11, s12, -1
	s_cmp_lg_u32 s11, 0
	s_cselect_b32 s4, s8, s4
	v_readfirstlane_b32 s8, v3
	s_cselect_b32 s5, s9, s5
	s_cmp_gt_u32 s8, 6
	s_cselect_b32 s8, -1, 0
	s_cmp_eq_u32 s10, 0
	s_cselect_b32 s8, s8, -1
	s_cmp_lg_u32 s8, 0
	v_mov_b32_e32 v1, 0
	s_cselect_b32 s3, s5, s3
	s_cselect_b32 s2, s4, s2
	v_cmp_eq_u64_e32 vcc, s[2:3], v[0:1]
	s_and_saveexec_b64 s[2:3], vcc
	s_cbranch_execz .LBB5584_86
; %bb.64:
	s_movk_i32 s2, 0xffd0
	v_mad_i32_i24 v2, v0, s2, v2
	v_mul_hi_u32_u24_e32 v1, 7, v0
	v_mov_b32_e32 v3, s1
	v_sub_co_u32_e32 v0, vcc, s0, v36
	v_subb_co_u32_e32 v1, vcc, v3, v1, vcc
	v_cmp_lt_i64_e32 vcc, 3, v[0:1]
	s_and_saveexec_b64 s[0:1], vcc
	s_xor_b64 s[0:1], exec, s[0:1]
	s_cbranch_execz .LBB5584_74
; %bb.65:
	v_cmp_lt_i64_e32 vcc, 4, v[0:1]
	s_and_saveexec_b64 s[2:3], vcc
	s_xor_b64 s[2:3], exec, s[2:3]
	s_cbranch_execz .LBB5584_71
; %bb.66:
	;; [unrolled: 5-line block ×3, first 2 shown]
	ds_read_b64 v[0:1], v2 offset:6144
	v_mov_b32_e32 v2, 0
	s_waitcnt lgkmcnt(0)
	global_store_dwordx2 v2, v[0:1], s[6:7]
                                        ; implicit-def: $vgpr2
.LBB5584_68:
	s_andn2_saveexec_b64 s[4:5], s[4:5]
	s_cbranch_execz .LBB5584_70
; %bb.69:
	ds_read_b64 v[0:1], v2 offset:5120
	v_mov_b32_e32 v2, 0
	s_waitcnt lgkmcnt(0)
	global_store_dwordx2 v2, v[0:1], s[6:7]
.LBB5584_70:
	s_or_b64 exec, exec, s[4:5]
                                        ; implicit-def: $vgpr2
.LBB5584_71:
	s_andn2_saveexec_b64 s[2:3], s[2:3]
	s_cbranch_execz .LBB5584_73
; %bb.72:
	ds_read_b64 v[0:1], v2 offset:4096
	v_mov_b32_e32 v2, 0
	s_waitcnt lgkmcnt(0)
	global_store_dwordx2 v2, v[0:1], s[6:7]
.LBB5584_73:
	s_or_b64 exec, exec, s[2:3]
                                        ; implicit-def: $vgpr0_vgpr1
                                        ; implicit-def: $vgpr2
.LBB5584_74:
	s_andn2_saveexec_b64 s[0:1], s[0:1]
	s_cbranch_execz .LBB5584_86
; %bb.75:
	v_cmp_lt_i64_e32 vcc, 1, v[0:1]
	s_and_saveexec_b64 s[0:1], vcc
	s_xor_b64 s[0:1], exec, s[0:1]
	s_cbranch_execz .LBB5584_81
; %bb.76:
	v_cmp_lt_i64_e32 vcc, 2, v[0:1]
	s_and_saveexec_b64 s[2:3], vcc
	s_xor_b64 s[2:3], exec, s[2:3]
	s_cbranch_execz .LBB5584_78
; %bb.77:
	ds_read_b64 v[0:1], v2 offset:3072
	v_mov_b32_e32 v2, 0
	s_waitcnt lgkmcnt(0)
	global_store_dwordx2 v2, v[0:1], s[6:7]
                                        ; implicit-def: $vgpr2
.LBB5584_78:
	s_andn2_saveexec_b64 s[2:3], s[2:3]
	s_cbranch_execz .LBB5584_80
; %bb.79:
	ds_read_b64 v[0:1], v2 offset:2048
	v_mov_b32_e32 v2, 0
	s_waitcnt lgkmcnt(0)
	global_store_dwordx2 v2, v[0:1], s[6:7]
.LBB5584_80:
	s_or_b64 exec, exec, s[2:3]
                                        ; implicit-def: $vgpr2
                                        ; implicit-def: $vgpr0_vgpr1
.LBB5584_81:
	s_andn2_saveexec_b64 s[0:1], s[0:1]
	s_cbranch_execz .LBB5584_86
; %bb.82:
	v_cmp_ne_u64_e32 vcc, 1, v[0:1]
	s_and_saveexec_b64 s[0:1], vcc
	s_xor_b64 s[0:1], exec, s[0:1]
	s_cbranch_execz .LBB5584_84
; %bb.83:
	ds_read_b64 v[0:1], v2
	v_mov_b32_e32 v2, 0
	s_waitcnt lgkmcnt(0)
	global_store_dwordx2 v2, v[0:1], s[6:7]
                                        ; implicit-def: $vgpr2
.LBB5584_84:
	s_andn2_saveexec_b64 s[0:1], s[0:1]
	s_cbranch_execz .LBB5584_86
; %bb.85:
	ds_read_b64 v[0:1], v2 offset:1024
	v_mov_b32_e32 v2, 0
	s_waitcnt lgkmcnt(0)
	global_store_dwordx2 v2, v[0:1], s[6:7]
.LBB5584_86:
	s_endpgm
	.section	.rodata,"a",@progbits
	.p2align	6, 0x0
	.amdhsa_kernel _ZN7rocprim17ROCPRIM_400000_NS6detail17trampoline_kernelINS0_14default_configENS1_20scan_config_selectorIxEEZZNS1_9scan_implILNS1_25lookback_scan_determinismE0ELb0ELb0ES3_N6thrust23THRUST_200600_302600_NS6detail15normal_iteratorINS9_10device_ptrIxEEEENS9_16discard_iteratorINS9_11use_defaultEEExNS9_4plusIvEExEEDaPvRmT3_T4_T5_mT6_P12ihipStream_tbENKUlT_T0_E_clISt17integral_constantIbLb0EESX_EEDaSS_ST_EUlSS_E_NS1_11comp_targetILNS1_3genE4ELNS1_11target_archE910ELNS1_3gpuE8ELNS1_3repE0EEENS1_30default_config_static_selectorELNS0_4arch9wavefront6targetE1EEEvT1_
		.amdhsa_group_segment_fixed_size 7168
		.amdhsa_private_segment_fixed_size 0
		.amdhsa_kernarg_size 112
		.amdhsa_user_sgpr_count 6
		.amdhsa_user_sgpr_private_segment_buffer 1
		.amdhsa_user_sgpr_dispatch_ptr 0
		.amdhsa_user_sgpr_queue_ptr 0
		.amdhsa_user_sgpr_kernarg_segment_ptr 1
		.amdhsa_user_sgpr_dispatch_id 0
		.amdhsa_user_sgpr_flat_scratch_init 0
		.amdhsa_user_sgpr_kernarg_preload_length 0
		.amdhsa_user_sgpr_kernarg_preload_offset 0
		.amdhsa_user_sgpr_private_segment_size 0
		.amdhsa_uses_dynamic_stack 0
		.amdhsa_system_sgpr_private_segment_wavefront_offset 0
		.amdhsa_system_sgpr_workgroup_id_x 1
		.amdhsa_system_sgpr_workgroup_id_y 0
		.amdhsa_system_sgpr_workgroup_id_z 0
		.amdhsa_system_sgpr_workgroup_info 0
		.amdhsa_system_vgpr_workitem_id 0
		.amdhsa_next_free_vgpr 50
		.amdhsa_next_free_sgpr 22
		.amdhsa_accum_offset 52
		.amdhsa_reserve_vcc 1
		.amdhsa_reserve_flat_scratch 0
		.amdhsa_float_round_mode_32 0
		.amdhsa_float_round_mode_16_64 0
		.amdhsa_float_denorm_mode_32 3
		.amdhsa_float_denorm_mode_16_64 3
		.amdhsa_dx10_clamp 1
		.amdhsa_ieee_mode 1
		.amdhsa_fp16_overflow 0
		.amdhsa_tg_split 0
		.amdhsa_exception_fp_ieee_invalid_op 0
		.amdhsa_exception_fp_denorm_src 0
		.amdhsa_exception_fp_ieee_div_zero 0
		.amdhsa_exception_fp_ieee_overflow 0
		.amdhsa_exception_fp_ieee_underflow 0
		.amdhsa_exception_fp_ieee_inexact 0
		.amdhsa_exception_int_div_zero 0
	.end_amdhsa_kernel
	.section	.text._ZN7rocprim17ROCPRIM_400000_NS6detail17trampoline_kernelINS0_14default_configENS1_20scan_config_selectorIxEEZZNS1_9scan_implILNS1_25lookback_scan_determinismE0ELb0ELb0ES3_N6thrust23THRUST_200600_302600_NS6detail15normal_iteratorINS9_10device_ptrIxEEEENS9_16discard_iteratorINS9_11use_defaultEEExNS9_4plusIvEExEEDaPvRmT3_T4_T5_mT6_P12ihipStream_tbENKUlT_T0_E_clISt17integral_constantIbLb0EESX_EEDaSS_ST_EUlSS_E_NS1_11comp_targetILNS1_3genE4ELNS1_11target_archE910ELNS1_3gpuE8ELNS1_3repE0EEENS1_30default_config_static_selectorELNS0_4arch9wavefront6targetE1EEEvT1_,"axG",@progbits,_ZN7rocprim17ROCPRIM_400000_NS6detail17trampoline_kernelINS0_14default_configENS1_20scan_config_selectorIxEEZZNS1_9scan_implILNS1_25lookback_scan_determinismE0ELb0ELb0ES3_N6thrust23THRUST_200600_302600_NS6detail15normal_iteratorINS9_10device_ptrIxEEEENS9_16discard_iteratorINS9_11use_defaultEEExNS9_4plusIvEExEEDaPvRmT3_T4_T5_mT6_P12ihipStream_tbENKUlT_T0_E_clISt17integral_constantIbLb0EESX_EEDaSS_ST_EUlSS_E_NS1_11comp_targetILNS1_3genE4ELNS1_11target_archE910ELNS1_3gpuE8ELNS1_3repE0EEENS1_30default_config_static_selectorELNS0_4arch9wavefront6targetE1EEEvT1_,comdat
.Lfunc_end5584:
	.size	_ZN7rocprim17ROCPRIM_400000_NS6detail17trampoline_kernelINS0_14default_configENS1_20scan_config_selectorIxEEZZNS1_9scan_implILNS1_25lookback_scan_determinismE0ELb0ELb0ES3_N6thrust23THRUST_200600_302600_NS6detail15normal_iteratorINS9_10device_ptrIxEEEENS9_16discard_iteratorINS9_11use_defaultEEExNS9_4plusIvEExEEDaPvRmT3_T4_T5_mT6_P12ihipStream_tbENKUlT_T0_E_clISt17integral_constantIbLb0EESX_EEDaSS_ST_EUlSS_E_NS1_11comp_targetILNS1_3genE4ELNS1_11target_archE910ELNS1_3gpuE8ELNS1_3repE0EEENS1_30default_config_static_selectorELNS0_4arch9wavefront6targetE1EEEvT1_, .Lfunc_end5584-_ZN7rocprim17ROCPRIM_400000_NS6detail17trampoline_kernelINS0_14default_configENS1_20scan_config_selectorIxEEZZNS1_9scan_implILNS1_25lookback_scan_determinismE0ELb0ELb0ES3_N6thrust23THRUST_200600_302600_NS6detail15normal_iteratorINS9_10device_ptrIxEEEENS9_16discard_iteratorINS9_11use_defaultEEExNS9_4plusIvEExEEDaPvRmT3_T4_T5_mT6_P12ihipStream_tbENKUlT_T0_E_clISt17integral_constantIbLb0EESX_EEDaSS_ST_EUlSS_E_NS1_11comp_targetILNS1_3genE4ELNS1_11target_archE910ELNS1_3gpuE8ELNS1_3repE0EEENS1_30default_config_static_selectorELNS0_4arch9wavefront6targetE1EEEvT1_
                                        ; -- End function
	.section	.AMDGPU.csdata,"",@progbits
; Kernel info:
; codeLenInByte = 5400
; NumSgprs: 26
; NumVgprs: 50
; NumAgprs: 0
; TotalNumVgprs: 50
; ScratchSize: 0
; MemoryBound: 0
; FloatMode: 240
; IeeeMode: 1
; LDSByteSize: 7168 bytes/workgroup (compile time only)
; SGPRBlocks: 3
; VGPRBlocks: 6
; NumSGPRsForWavesPerEU: 26
; NumVGPRsForWavesPerEU: 50
; AccumOffset: 52
; Occupancy: 5
; WaveLimiterHint : 1
; COMPUTE_PGM_RSRC2:SCRATCH_EN: 0
; COMPUTE_PGM_RSRC2:USER_SGPR: 6
; COMPUTE_PGM_RSRC2:TRAP_HANDLER: 0
; COMPUTE_PGM_RSRC2:TGID_X_EN: 1
; COMPUTE_PGM_RSRC2:TGID_Y_EN: 0
; COMPUTE_PGM_RSRC2:TGID_Z_EN: 0
; COMPUTE_PGM_RSRC2:TIDIG_COMP_CNT: 0
; COMPUTE_PGM_RSRC3_GFX90A:ACCUM_OFFSET: 12
; COMPUTE_PGM_RSRC3_GFX90A:TG_SPLIT: 0
	.section	.text._ZN7rocprim17ROCPRIM_400000_NS6detail17trampoline_kernelINS0_14default_configENS1_20scan_config_selectorIxEEZZNS1_9scan_implILNS1_25lookback_scan_determinismE0ELb0ELb0ES3_N6thrust23THRUST_200600_302600_NS6detail15normal_iteratorINS9_10device_ptrIxEEEENS9_16discard_iteratorINS9_11use_defaultEEExNS9_4plusIvEExEEDaPvRmT3_T4_T5_mT6_P12ihipStream_tbENKUlT_T0_E_clISt17integral_constantIbLb0EESX_EEDaSS_ST_EUlSS_E_NS1_11comp_targetILNS1_3genE3ELNS1_11target_archE908ELNS1_3gpuE7ELNS1_3repE0EEENS1_30default_config_static_selectorELNS0_4arch9wavefront6targetE1EEEvT1_,"axG",@progbits,_ZN7rocprim17ROCPRIM_400000_NS6detail17trampoline_kernelINS0_14default_configENS1_20scan_config_selectorIxEEZZNS1_9scan_implILNS1_25lookback_scan_determinismE0ELb0ELb0ES3_N6thrust23THRUST_200600_302600_NS6detail15normal_iteratorINS9_10device_ptrIxEEEENS9_16discard_iteratorINS9_11use_defaultEEExNS9_4plusIvEExEEDaPvRmT3_T4_T5_mT6_P12ihipStream_tbENKUlT_T0_E_clISt17integral_constantIbLb0EESX_EEDaSS_ST_EUlSS_E_NS1_11comp_targetILNS1_3genE3ELNS1_11target_archE908ELNS1_3gpuE7ELNS1_3repE0EEENS1_30default_config_static_selectorELNS0_4arch9wavefront6targetE1EEEvT1_,comdat
	.protected	_ZN7rocprim17ROCPRIM_400000_NS6detail17trampoline_kernelINS0_14default_configENS1_20scan_config_selectorIxEEZZNS1_9scan_implILNS1_25lookback_scan_determinismE0ELb0ELb0ES3_N6thrust23THRUST_200600_302600_NS6detail15normal_iteratorINS9_10device_ptrIxEEEENS9_16discard_iteratorINS9_11use_defaultEEExNS9_4plusIvEExEEDaPvRmT3_T4_T5_mT6_P12ihipStream_tbENKUlT_T0_E_clISt17integral_constantIbLb0EESX_EEDaSS_ST_EUlSS_E_NS1_11comp_targetILNS1_3genE3ELNS1_11target_archE908ELNS1_3gpuE7ELNS1_3repE0EEENS1_30default_config_static_selectorELNS0_4arch9wavefront6targetE1EEEvT1_ ; -- Begin function _ZN7rocprim17ROCPRIM_400000_NS6detail17trampoline_kernelINS0_14default_configENS1_20scan_config_selectorIxEEZZNS1_9scan_implILNS1_25lookback_scan_determinismE0ELb0ELb0ES3_N6thrust23THRUST_200600_302600_NS6detail15normal_iteratorINS9_10device_ptrIxEEEENS9_16discard_iteratorINS9_11use_defaultEEExNS9_4plusIvEExEEDaPvRmT3_T4_T5_mT6_P12ihipStream_tbENKUlT_T0_E_clISt17integral_constantIbLb0EESX_EEDaSS_ST_EUlSS_E_NS1_11comp_targetILNS1_3genE3ELNS1_11target_archE908ELNS1_3gpuE7ELNS1_3repE0EEENS1_30default_config_static_selectorELNS0_4arch9wavefront6targetE1EEEvT1_
	.globl	_ZN7rocprim17ROCPRIM_400000_NS6detail17trampoline_kernelINS0_14default_configENS1_20scan_config_selectorIxEEZZNS1_9scan_implILNS1_25lookback_scan_determinismE0ELb0ELb0ES3_N6thrust23THRUST_200600_302600_NS6detail15normal_iteratorINS9_10device_ptrIxEEEENS9_16discard_iteratorINS9_11use_defaultEEExNS9_4plusIvEExEEDaPvRmT3_T4_T5_mT6_P12ihipStream_tbENKUlT_T0_E_clISt17integral_constantIbLb0EESX_EEDaSS_ST_EUlSS_E_NS1_11comp_targetILNS1_3genE3ELNS1_11target_archE908ELNS1_3gpuE7ELNS1_3repE0EEENS1_30default_config_static_selectorELNS0_4arch9wavefront6targetE1EEEvT1_
	.p2align	8
	.type	_ZN7rocprim17ROCPRIM_400000_NS6detail17trampoline_kernelINS0_14default_configENS1_20scan_config_selectorIxEEZZNS1_9scan_implILNS1_25lookback_scan_determinismE0ELb0ELb0ES3_N6thrust23THRUST_200600_302600_NS6detail15normal_iteratorINS9_10device_ptrIxEEEENS9_16discard_iteratorINS9_11use_defaultEEExNS9_4plusIvEExEEDaPvRmT3_T4_T5_mT6_P12ihipStream_tbENKUlT_T0_E_clISt17integral_constantIbLb0EESX_EEDaSS_ST_EUlSS_E_NS1_11comp_targetILNS1_3genE3ELNS1_11target_archE908ELNS1_3gpuE7ELNS1_3repE0EEENS1_30default_config_static_selectorELNS0_4arch9wavefront6targetE1EEEvT1_,@function
_ZN7rocprim17ROCPRIM_400000_NS6detail17trampoline_kernelINS0_14default_configENS1_20scan_config_selectorIxEEZZNS1_9scan_implILNS1_25lookback_scan_determinismE0ELb0ELb0ES3_N6thrust23THRUST_200600_302600_NS6detail15normal_iteratorINS9_10device_ptrIxEEEENS9_16discard_iteratorINS9_11use_defaultEEExNS9_4plusIvEExEEDaPvRmT3_T4_T5_mT6_P12ihipStream_tbENKUlT_T0_E_clISt17integral_constantIbLb0EESX_EEDaSS_ST_EUlSS_E_NS1_11comp_targetILNS1_3genE3ELNS1_11target_archE908ELNS1_3gpuE7ELNS1_3repE0EEENS1_30default_config_static_selectorELNS0_4arch9wavefront6targetE1EEEvT1_: ; @_ZN7rocprim17ROCPRIM_400000_NS6detail17trampoline_kernelINS0_14default_configENS1_20scan_config_selectorIxEEZZNS1_9scan_implILNS1_25lookback_scan_determinismE0ELb0ELb0ES3_N6thrust23THRUST_200600_302600_NS6detail15normal_iteratorINS9_10device_ptrIxEEEENS9_16discard_iteratorINS9_11use_defaultEEExNS9_4plusIvEExEEDaPvRmT3_T4_T5_mT6_P12ihipStream_tbENKUlT_T0_E_clISt17integral_constantIbLb0EESX_EEDaSS_ST_EUlSS_E_NS1_11comp_targetILNS1_3genE3ELNS1_11target_archE908ELNS1_3gpuE7ELNS1_3repE0EEENS1_30default_config_static_selectorELNS0_4arch9wavefront6targetE1EEEvT1_
; %bb.0:
	.section	.rodata,"a",@progbits
	.p2align	6, 0x0
	.amdhsa_kernel _ZN7rocprim17ROCPRIM_400000_NS6detail17trampoline_kernelINS0_14default_configENS1_20scan_config_selectorIxEEZZNS1_9scan_implILNS1_25lookback_scan_determinismE0ELb0ELb0ES3_N6thrust23THRUST_200600_302600_NS6detail15normal_iteratorINS9_10device_ptrIxEEEENS9_16discard_iteratorINS9_11use_defaultEEExNS9_4plusIvEExEEDaPvRmT3_T4_T5_mT6_P12ihipStream_tbENKUlT_T0_E_clISt17integral_constantIbLb0EESX_EEDaSS_ST_EUlSS_E_NS1_11comp_targetILNS1_3genE3ELNS1_11target_archE908ELNS1_3gpuE7ELNS1_3repE0EEENS1_30default_config_static_selectorELNS0_4arch9wavefront6targetE1EEEvT1_
		.amdhsa_group_segment_fixed_size 0
		.amdhsa_private_segment_fixed_size 0
		.amdhsa_kernarg_size 112
		.amdhsa_user_sgpr_count 6
		.amdhsa_user_sgpr_private_segment_buffer 1
		.amdhsa_user_sgpr_dispatch_ptr 0
		.amdhsa_user_sgpr_queue_ptr 0
		.amdhsa_user_sgpr_kernarg_segment_ptr 1
		.amdhsa_user_sgpr_dispatch_id 0
		.amdhsa_user_sgpr_flat_scratch_init 0
		.amdhsa_user_sgpr_kernarg_preload_length 0
		.amdhsa_user_sgpr_kernarg_preload_offset 0
		.amdhsa_user_sgpr_private_segment_size 0
		.amdhsa_uses_dynamic_stack 0
		.amdhsa_system_sgpr_private_segment_wavefront_offset 0
		.amdhsa_system_sgpr_workgroup_id_x 1
		.amdhsa_system_sgpr_workgroup_id_y 0
		.amdhsa_system_sgpr_workgroup_id_z 0
		.amdhsa_system_sgpr_workgroup_info 0
		.amdhsa_system_vgpr_workitem_id 0
		.amdhsa_next_free_vgpr 1
		.amdhsa_next_free_sgpr 0
		.amdhsa_accum_offset 4
		.amdhsa_reserve_vcc 0
		.amdhsa_reserve_flat_scratch 0
		.amdhsa_float_round_mode_32 0
		.amdhsa_float_round_mode_16_64 0
		.amdhsa_float_denorm_mode_32 3
		.amdhsa_float_denorm_mode_16_64 3
		.amdhsa_dx10_clamp 1
		.amdhsa_ieee_mode 1
		.amdhsa_fp16_overflow 0
		.amdhsa_tg_split 0
		.amdhsa_exception_fp_ieee_invalid_op 0
		.amdhsa_exception_fp_denorm_src 0
		.amdhsa_exception_fp_ieee_div_zero 0
		.amdhsa_exception_fp_ieee_overflow 0
		.amdhsa_exception_fp_ieee_underflow 0
		.amdhsa_exception_fp_ieee_inexact 0
		.amdhsa_exception_int_div_zero 0
	.end_amdhsa_kernel
	.section	.text._ZN7rocprim17ROCPRIM_400000_NS6detail17trampoline_kernelINS0_14default_configENS1_20scan_config_selectorIxEEZZNS1_9scan_implILNS1_25lookback_scan_determinismE0ELb0ELb0ES3_N6thrust23THRUST_200600_302600_NS6detail15normal_iteratorINS9_10device_ptrIxEEEENS9_16discard_iteratorINS9_11use_defaultEEExNS9_4plusIvEExEEDaPvRmT3_T4_T5_mT6_P12ihipStream_tbENKUlT_T0_E_clISt17integral_constantIbLb0EESX_EEDaSS_ST_EUlSS_E_NS1_11comp_targetILNS1_3genE3ELNS1_11target_archE908ELNS1_3gpuE7ELNS1_3repE0EEENS1_30default_config_static_selectorELNS0_4arch9wavefront6targetE1EEEvT1_,"axG",@progbits,_ZN7rocprim17ROCPRIM_400000_NS6detail17trampoline_kernelINS0_14default_configENS1_20scan_config_selectorIxEEZZNS1_9scan_implILNS1_25lookback_scan_determinismE0ELb0ELb0ES3_N6thrust23THRUST_200600_302600_NS6detail15normal_iteratorINS9_10device_ptrIxEEEENS9_16discard_iteratorINS9_11use_defaultEEExNS9_4plusIvEExEEDaPvRmT3_T4_T5_mT6_P12ihipStream_tbENKUlT_T0_E_clISt17integral_constantIbLb0EESX_EEDaSS_ST_EUlSS_E_NS1_11comp_targetILNS1_3genE3ELNS1_11target_archE908ELNS1_3gpuE7ELNS1_3repE0EEENS1_30default_config_static_selectorELNS0_4arch9wavefront6targetE1EEEvT1_,comdat
.Lfunc_end5585:
	.size	_ZN7rocprim17ROCPRIM_400000_NS6detail17trampoline_kernelINS0_14default_configENS1_20scan_config_selectorIxEEZZNS1_9scan_implILNS1_25lookback_scan_determinismE0ELb0ELb0ES3_N6thrust23THRUST_200600_302600_NS6detail15normal_iteratorINS9_10device_ptrIxEEEENS9_16discard_iteratorINS9_11use_defaultEEExNS9_4plusIvEExEEDaPvRmT3_T4_T5_mT6_P12ihipStream_tbENKUlT_T0_E_clISt17integral_constantIbLb0EESX_EEDaSS_ST_EUlSS_E_NS1_11comp_targetILNS1_3genE3ELNS1_11target_archE908ELNS1_3gpuE7ELNS1_3repE0EEENS1_30default_config_static_selectorELNS0_4arch9wavefront6targetE1EEEvT1_, .Lfunc_end5585-_ZN7rocprim17ROCPRIM_400000_NS6detail17trampoline_kernelINS0_14default_configENS1_20scan_config_selectorIxEEZZNS1_9scan_implILNS1_25lookback_scan_determinismE0ELb0ELb0ES3_N6thrust23THRUST_200600_302600_NS6detail15normal_iteratorINS9_10device_ptrIxEEEENS9_16discard_iteratorINS9_11use_defaultEEExNS9_4plusIvEExEEDaPvRmT3_T4_T5_mT6_P12ihipStream_tbENKUlT_T0_E_clISt17integral_constantIbLb0EESX_EEDaSS_ST_EUlSS_E_NS1_11comp_targetILNS1_3genE3ELNS1_11target_archE908ELNS1_3gpuE7ELNS1_3repE0EEENS1_30default_config_static_selectorELNS0_4arch9wavefront6targetE1EEEvT1_
                                        ; -- End function
	.section	.AMDGPU.csdata,"",@progbits
; Kernel info:
; codeLenInByte = 0
; NumSgprs: 4
; NumVgprs: 0
; NumAgprs: 0
; TotalNumVgprs: 0
; ScratchSize: 0
; MemoryBound: 0
; FloatMode: 240
; IeeeMode: 1
; LDSByteSize: 0 bytes/workgroup (compile time only)
; SGPRBlocks: 0
; VGPRBlocks: 0
; NumSGPRsForWavesPerEU: 4
; NumVGPRsForWavesPerEU: 1
; AccumOffset: 4
; Occupancy: 8
; WaveLimiterHint : 0
; COMPUTE_PGM_RSRC2:SCRATCH_EN: 0
; COMPUTE_PGM_RSRC2:USER_SGPR: 6
; COMPUTE_PGM_RSRC2:TRAP_HANDLER: 0
; COMPUTE_PGM_RSRC2:TGID_X_EN: 1
; COMPUTE_PGM_RSRC2:TGID_Y_EN: 0
; COMPUTE_PGM_RSRC2:TGID_Z_EN: 0
; COMPUTE_PGM_RSRC2:TIDIG_COMP_CNT: 0
; COMPUTE_PGM_RSRC3_GFX90A:ACCUM_OFFSET: 0
; COMPUTE_PGM_RSRC3_GFX90A:TG_SPLIT: 0
	.section	.text._ZN7rocprim17ROCPRIM_400000_NS6detail17trampoline_kernelINS0_14default_configENS1_20scan_config_selectorIxEEZZNS1_9scan_implILNS1_25lookback_scan_determinismE0ELb0ELb0ES3_N6thrust23THRUST_200600_302600_NS6detail15normal_iteratorINS9_10device_ptrIxEEEENS9_16discard_iteratorINS9_11use_defaultEEExNS9_4plusIvEExEEDaPvRmT3_T4_T5_mT6_P12ihipStream_tbENKUlT_T0_E_clISt17integral_constantIbLb0EESX_EEDaSS_ST_EUlSS_E_NS1_11comp_targetILNS1_3genE2ELNS1_11target_archE906ELNS1_3gpuE6ELNS1_3repE0EEENS1_30default_config_static_selectorELNS0_4arch9wavefront6targetE1EEEvT1_,"axG",@progbits,_ZN7rocprim17ROCPRIM_400000_NS6detail17trampoline_kernelINS0_14default_configENS1_20scan_config_selectorIxEEZZNS1_9scan_implILNS1_25lookback_scan_determinismE0ELb0ELb0ES3_N6thrust23THRUST_200600_302600_NS6detail15normal_iteratorINS9_10device_ptrIxEEEENS9_16discard_iteratorINS9_11use_defaultEEExNS9_4plusIvEExEEDaPvRmT3_T4_T5_mT6_P12ihipStream_tbENKUlT_T0_E_clISt17integral_constantIbLb0EESX_EEDaSS_ST_EUlSS_E_NS1_11comp_targetILNS1_3genE2ELNS1_11target_archE906ELNS1_3gpuE6ELNS1_3repE0EEENS1_30default_config_static_selectorELNS0_4arch9wavefront6targetE1EEEvT1_,comdat
	.protected	_ZN7rocprim17ROCPRIM_400000_NS6detail17trampoline_kernelINS0_14default_configENS1_20scan_config_selectorIxEEZZNS1_9scan_implILNS1_25lookback_scan_determinismE0ELb0ELb0ES3_N6thrust23THRUST_200600_302600_NS6detail15normal_iteratorINS9_10device_ptrIxEEEENS9_16discard_iteratorINS9_11use_defaultEEExNS9_4plusIvEExEEDaPvRmT3_T4_T5_mT6_P12ihipStream_tbENKUlT_T0_E_clISt17integral_constantIbLb0EESX_EEDaSS_ST_EUlSS_E_NS1_11comp_targetILNS1_3genE2ELNS1_11target_archE906ELNS1_3gpuE6ELNS1_3repE0EEENS1_30default_config_static_selectorELNS0_4arch9wavefront6targetE1EEEvT1_ ; -- Begin function _ZN7rocprim17ROCPRIM_400000_NS6detail17trampoline_kernelINS0_14default_configENS1_20scan_config_selectorIxEEZZNS1_9scan_implILNS1_25lookback_scan_determinismE0ELb0ELb0ES3_N6thrust23THRUST_200600_302600_NS6detail15normal_iteratorINS9_10device_ptrIxEEEENS9_16discard_iteratorINS9_11use_defaultEEExNS9_4plusIvEExEEDaPvRmT3_T4_T5_mT6_P12ihipStream_tbENKUlT_T0_E_clISt17integral_constantIbLb0EESX_EEDaSS_ST_EUlSS_E_NS1_11comp_targetILNS1_3genE2ELNS1_11target_archE906ELNS1_3gpuE6ELNS1_3repE0EEENS1_30default_config_static_selectorELNS0_4arch9wavefront6targetE1EEEvT1_
	.globl	_ZN7rocprim17ROCPRIM_400000_NS6detail17trampoline_kernelINS0_14default_configENS1_20scan_config_selectorIxEEZZNS1_9scan_implILNS1_25lookback_scan_determinismE0ELb0ELb0ES3_N6thrust23THRUST_200600_302600_NS6detail15normal_iteratorINS9_10device_ptrIxEEEENS9_16discard_iteratorINS9_11use_defaultEEExNS9_4plusIvEExEEDaPvRmT3_T4_T5_mT6_P12ihipStream_tbENKUlT_T0_E_clISt17integral_constantIbLb0EESX_EEDaSS_ST_EUlSS_E_NS1_11comp_targetILNS1_3genE2ELNS1_11target_archE906ELNS1_3gpuE6ELNS1_3repE0EEENS1_30default_config_static_selectorELNS0_4arch9wavefront6targetE1EEEvT1_
	.p2align	8
	.type	_ZN7rocprim17ROCPRIM_400000_NS6detail17trampoline_kernelINS0_14default_configENS1_20scan_config_selectorIxEEZZNS1_9scan_implILNS1_25lookback_scan_determinismE0ELb0ELb0ES3_N6thrust23THRUST_200600_302600_NS6detail15normal_iteratorINS9_10device_ptrIxEEEENS9_16discard_iteratorINS9_11use_defaultEEExNS9_4plusIvEExEEDaPvRmT3_T4_T5_mT6_P12ihipStream_tbENKUlT_T0_E_clISt17integral_constantIbLb0EESX_EEDaSS_ST_EUlSS_E_NS1_11comp_targetILNS1_3genE2ELNS1_11target_archE906ELNS1_3gpuE6ELNS1_3repE0EEENS1_30default_config_static_selectorELNS0_4arch9wavefront6targetE1EEEvT1_,@function
_ZN7rocprim17ROCPRIM_400000_NS6detail17trampoline_kernelINS0_14default_configENS1_20scan_config_selectorIxEEZZNS1_9scan_implILNS1_25lookback_scan_determinismE0ELb0ELb0ES3_N6thrust23THRUST_200600_302600_NS6detail15normal_iteratorINS9_10device_ptrIxEEEENS9_16discard_iteratorINS9_11use_defaultEEExNS9_4plusIvEExEEDaPvRmT3_T4_T5_mT6_P12ihipStream_tbENKUlT_T0_E_clISt17integral_constantIbLb0EESX_EEDaSS_ST_EUlSS_E_NS1_11comp_targetILNS1_3genE2ELNS1_11target_archE906ELNS1_3gpuE6ELNS1_3repE0EEENS1_30default_config_static_selectorELNS0_4arch9wavefront6targetE1EEEvT1_: ; @_ZN7rocprim17ROCPRIM_400000_NS6detail17trampoline_kernelINS0_14default_configENS1_20scan_config_selectorIxEEZZNS1_9scan_implILNS1_25lookback_scan_determinismE0ELb0ELb0ES3_N6thrust23THRUST_200600_302600_NS6detail15normal_iteratorINS9_10device_ptrIxEEEENS9_16discard_iteratorINS9_11use_defaultEEExNS9_4plusIvEExEEDaPvRmT3_T4_T5_mT6_P12ihipStream_tbENKUlT_T0_E_clISt17integral_constantIbLb0EESX_EEDaSS_ST_EUlSS_E_NS1_11comp_targetILNS1_3genE2ELNS1_11target_archE906ELNS1_3gpuE6ELNS1_3repE0EEENS1_30default_config_static_selectorELNS0_4arch9wavefront6targetE1EEEvT1_
; %bb.0:
	.section	.rodata,"a",@progbits
	.p2align	6, 0x0
	.amdhsa_kernel _ZN7rocprim17ROCPRIM_400000_NS6detail17trampoline_kernelINS0_14default_configENS1_20scan_config_selectorIxEEZZNS1_9scan_implILNS1_25lookback_scan_determinismE0ELb0ELb0ES3_N6thrust23THRUST_200600_302600_NS6detail15normal_iteratorINS9_10device_ptrIxEEEENS9_16discard_iteratorINS9_11use_defaultEEExNS9_4plusIvEExEEDaPvRmT3_T4_T5_mT6_P12ihipStream_tbENKUlT_T0_E_clISt17integral_constantIbLb0EESX_EEDaSS_ST_EUlSS_E_NS1_11comp_targetILNS1_3genE2ELNS1_11target_archE906ELNS1_3gpuE6ELNS1_3repE0EEENS1_30default_config_static_selectorELNS0_4arch9wavefront6targetE1EEEvT1_
		.amdhsa_group_segment_fixed_size 0
		.amdhsa_private_segment_fixed_size 0
		.amdhsa_kernarg_size 112
		.amdhsa_user_sgpr_count 6
		.amdhsa_user_sgpr_private_segment_buffer 1
		.amdhsa_user_sgpr_dispatch_ptr 0
		.amdhsa_user_sgpr_queue_ptr 0
		.amdhsa_user_sgpr_kernarg_segment_ptr 1
		.amdhsa_user_sgpr_dispatch_id 0
		.amdhsa_user_sgpr_flat_scratch_init 0
		.amdhsa_user_sgpr_kernarg_preload_length 0
		.amdhsa_user_sgpr_kernarg_preload_offset 0
		.amdhsa_user_sgpr_private_segment_size 0
		.amdhsa_uses_dynamic_stack 0
		.amdhsa_system_sgpr_private_segment_wavefront_offset 0
		.amdhsa_system_sgpr_workgroup_id_x 1
		.amdhsa_system_sgpr_workgroup_id_y 0
		.amdhsa_system_sgpr_workgroup_id_z 0
		.amdhsa_system_sgpr_workgroup_info 0
		.amdhsa_system_vgpr_workitem_id 0
		.amdhsa_next_free_vgpr 1
		.amdhsa_next_free_sgpr 0
		.amdhsa_accum_offset 4
		.amdhsa_reserve_vcc 0
		.amdhsa_reserve_flat_scratch 0
		.amdhsa_float_round_mode_32 0
		.amdhsa_float_round_mode_16_64 0
		.amdhsa_float_denorm_mode_32 3
		.amdhsa_float_denorm_mode_16_64 3
		.amdhsa_dx10_clamp 1
		.amdhsa_ieee_mode 1
		.amdhsa_fp16_overflow 0
		.amdhsa_tg_split 0
		.amdhsa_exception_fp_ieee_invalid_op 0
		.amdhsa_exception_fp_denorm_src 0
		.amdhsa_exception_fp_ieee_div_zero 0
		.amdhsa_exception_fp_ieee_overflow 0
		.amdhsa_exception_fp_ieee_underflow 0
		.amdhsa_exception_fp_ieee_inexact 0
		.amdhsa_exception_int_div_zero 0
	.end_amdhsa_kernel
	.section	.text._ZN7rocprim17ROCPRIM_400000_NS6detail17trampoline_kernelINS0_14default_configENS1_20scan_config_selectorIxEEZZNS1_9scan_implILNS1_25lookback_scan_determinismE0ELb0ELb0ES3_N6thrust23THRUST_200600_302600_NS6detail15normal_iteratorINS9_10device_ptrIxEEEENS9_16discard_iteratorINS9_11use_defaultEEExNS9_4plusIvEExEEDaPvRmT3_T4_T5_mT6_P12ihipStream_tbENKUlT_T0_E_clISt17integral_constantIbLb0EESX_EEDaSS_ST_EUlSS_E_NS1_11comp_targetILNS1_3genE2ELNS1_11target_archE906ELNS1_3gpuE6ELNS1_3repE0EEENS1_30default_config_static_selectorELNS0_4arch9wavefront6targetE1EEEvT1_,"axG",@progbits,_ZN7rocprim17ROCPRIM_400000_NS6detail17trampoline_kernelINS0_14default_configENS1_20scan_config_selectorIxEEZZNS1_9scan_implILNS1_25lookback_scan_determinismE0ELb0ELb0ES3_N6thrust23THRUST_200600_302600_NS6detail15normal_iteratorINS9_10device_ptrIxEEEENS9_16discard_iteratorINS9_11use_defaultEEExNS9_4plusIvEExEEDaPvRmT3_T4_T5_mT6_P12ihipStream_tbENKUlT_T0_E_clISt17integral_constantIbLb0EESX_EEDaSS_ST_EUlSS_E_NS1_11comp_targetILNS1_3genE2ELNS1_11target_archE906ELNS1_3gpuE6ELNS1_3repE0EEENS1_30default_config_static_selectorELNS0_4arch9wavefront6targetE1EEEvT1_,comdat
.Lfunc_end5586:
	.size	_ZN7rocprim17ROCPRIM_400000_NS6detail17trampoline_kernelINS0_14default_configENS1_20scan_config_selectorIxEEZZNS1_9scan_implILNS1_25lookback_scan_determinismE0ELb0ELb0ES3_N6thrust23THRUST_200600_302600_NS6detail15normal_iteratorINS9_10device_ptrIxEEEENS9_16discard_iteratorINS9_11use_defaultEEExNS9_4plusIvEExEEDaPvRmT3_T4_T5_mT6_P12ihipStream_tbENKUlT_T0_E_clISt17integral_constantIbLb0EESX_EEDaSS_ST_EUlSS_E_NS1_11comp_targetILNS1_3genE2ELNS1_11target_archE906ELNS1_3gpuE6ELNS1_3repE0EEENS1_30default_config_static_selectorELNS0_4arch9wavefront6targetE1EEEvT1_, .Lfunc_end5586-_ZN7rocprim17ROCPRIM_400000_NS6detail17trampoline_kernelINS0_14default_configENS1_20scan_config_selectorIxEEZZNS1_9scan_implILNS1_25lookback_scan_determinismE0ELb0ELb0ES3_N6thrust23THRUST_200600_302600_NS6detail15normal_iteratorINS9_10device_ptrIxEEEENS9_16discard_iteratorINS9_11use_defaultEEExNS9_4plusIvEExEEDaPvRmT3_T4_T5_mT6_P12ihipStream_tbENKUlT_T0_E_clISt17integral_constantIbLb0EESX_EEDaSS_ST_EUlSS_E_NS1_11comp_targetILNS1_3genE2ELNS1_11target_archE906ELNS1_3gpuE6ELNS1_3repE0EEENS1_30default_config_static_selectorELNS0_4arch9wavefront6targetE1EEEvT1_
                                        ; -- End function
	.section	.AMDGPU.csdata,"",@progbits
; Kernel info:
; codeLenInByte = 0
; NumSgprs: 4
; NumVgprs: 0
; NumAgprs: 0
; TotalNumVgprs: 0
; ScratchSize: 0
; MemoryBound: 0
; FloatMode: 240
; IeeeMode: 1
; LDSByteSize: 0 bytes/workgroup (compile time only)
; SGPRBlocks: 0
; VGPRBlocks: 0
; NumSGPRsForWavesPerEU: 4
; NumVGPRsForWavesPerEU: 1
; AccumOffset: 4
; Occupancy: 8
; WaveLimiterHint : 0
; COMPUTE_PGM_RSRC2:SCRATCH_EN: 0
; COMPUTE_PGM_RSRC2:USER_SGPR: 6
; COMPUTE_PGM_RSRC2:TRAP_HANDLER: 0
; COMPUTE_PGM_RSRC2:TGID_X_EN: 1
; COMPUTE_PGM_RSRC2:TGID_Y_EN: 0
; COMPUTE_PGM_RSRC2:TGID_Z_EN: 0
; COMPUTE_PGM_RSRC2:TIDIG_COMP_CNT: 0
; COMPUTE_PGM_RSRC3_GFX90A:ACCUM_OFFSET: 0
; COMPUTE_PGM_RSRC3_GFX90A:TG_SPLIT: 0
	.section	.text._ZN7rocprim17ROCPRIM_400000_NS6detail17trampoline_kernelINS0_14default_configENS1_20scan_config_selectorIxEEZZNS1_9scan_implILNS1_25lookback_scan_determinismE0ELb0ELb0ES3_N6thrust23THRUST_200600_302600_NS6detail15normal_iteratorINS9_10device_ptrIxEEEENS9_16discard_iteratorINS9_11use_defaultEEExNS9_4plusIvEExEEDaPvRmT3_T4_T5_mT6_P12ihipStream_tbENKUlT_T0_E_clISt17integral_constantIbLb0EESX_EEDaSS_ST_EUlSS_E_NS1_11comp_targetILNS1_3genE10ELNS1_11target_archE1201ELNS1_3gpuE5ELNS1_3repE0EEENS1_30default_config_static_selectorELNS0_4arch9wavefront6targetE1EEEvT1_,"axG",@progbits,_ZN7rocprim17ROCPRIM_400000_NS6detail17trampoline_kernelINS0_14default_configENS1_20scan_config_selectorIxEEZZNS1_9scan_implILNS1_25lookback_scan_determinismE0ELb0ELb0ES3_N6thrust23THRUST_200600_302600_NS6detail15normal_iteratorINS9_10device_ptrIxEEEENS9_16discard_iteratorINS9_11use_defaultEEExNS9_4plusIvEExEEDaPvRmT3_T4_T5_mT6_P12ihipStream_tbENKUlT_T0_E_clISt17integral_constantIbLb0EESX_EEDaSS_ST_EUlSS_E_NS1_11comp_targetILNS1_3genE10ELNS1_11target_archE1201ELNS1_3gpuE5ELNS1_3repE0EEENS1_30default_config_static_selectorELNS0_4arch9wavefront6targetE1EEEvT1_,comdat
	.protected	_ZN7rocprim17ROCPRIM_400000_NS6detail17trampoline_kernelINS0_14default_configENS1_20scan_config_selectorIxEEZZNS1_9scan_implILNS1_25lookback_scan_determinismE0ELb0ELb0ES3_N6thrust23THRUST_200600_302600_NS6detail15normal_iteratorINS9_10device_ptrIxEEEENS9_16discard_iteratorINS9_11use_defaultEEExNS9_4plusIvEExEEDaPvRmT3_T4_T5_mT6_P12ihipStream_tbENKUlT_T0_E_clISt17integral_constantIbLb0EESX_EEDaSS_ST_EUlSS_E_NS1_11comp_targetILNS1_3genE10ELNS1_11target_archE1201ELNS1_3gpuE5ELNS1_3repE0EEENS1_30default_config_static_selectorELNS0_4arch9wavefront6targetE1EEEvT1_ ; -- Begin function _ZN7rocprim17ROCPRIM_400000_NS6detail17trampoline_kernelINS0_14default_configENS1_20scan_config_selectorIxEEZZNS1_9scan_implILNS1_25lookback_scan_determinismE0ELb0ELb0ES3_N6thrust23THRUST_200600_302600_NS6detail15normal_iteratorINS9_10device_ptrIxEEEENS9_16discard_iteratorINS9_11use_defaultEEExNS9_4plusIvEExEEDaPvRmT3_T4_T5_mT6_P12ihipStream_tbENKUlT_T0_E_clISt17integral_constantIbLb0EESX_EEDaSS_ST_EUlSS_E_NS1_11comp_targetILNS1_3genE10ELNS1_11target_archE1201ELNS1_3gpuE5ELNS1_3repE0EEENS1_30default_config_static_selectorELNS0_4arch9wavefront6targetE1EEEvT1_
	.globl	_ZN7rocprim17ROCPRIM_400000_NS6detail17trampoline_kernelINS0_14default_configENS1_20scan_config_selectorIxEEZZNS1_9scan_implILNS1_25lookback_scan_determinismE0ELb0ELb0ES3_N6thrust23THRUST_200600_302600_NS6detail15normal_iteratorINS9_10device_ptrIxEEEENS9_16discard_iteratorINS9_11use_defaultEEExNS9_4plusIvEExEEDaPvRmT3_T4_T5_mT6_P12ihipStream_tbENKUlT_T0_E_clISt17integral_constantIbLb0EESX_EEDaSS_ST_EUlSS_E_NS1_11comp_targetILNS1_3genE10ELNS1_11target_archE1201ELNS1_3gpuE5ELNS1_3repE0EEENS1_30default_config_static_selectorELNS0_4arch9wavefront6targetE1EEEvT1_
	.p2align	8
	.type	_ZN7rocprim17ROCPRIM_400000_NS6detail17trampoline_kernelINS0_14default_configENS1_20scan_config_selectorIxEEZZNS1_9scan_implILNS1_25lookback_scan_determinismE0ELb0ELb0ES3_N6thrust23THRUST_200600_302600_NS6detail15normal_iteratorINS9_10device_ptrIxEEEENS9_16discard_iteratorINS9_11use_defaultEEExNS9_4plusIvEExEEDaPvRmT3_T4_T5_mT6_P12ihipStream_tbENKUlT_T0_E_clISt17integral_constantIbLb0EESX_EEDaSS_ST_EUlSS_E_NS1_11comp_targetILNS1_3genE10ELNS1_11target_archE1201ELNS1_3gpuE5ELNS1_3repE0EEENS1_30default_config_static_selectorELNS0_4arch9wavefront6targetE1EEEvT1_,@function
_ZN7rocprim17ROCPRIM_400000_NS6detail17trampoline_kernelINS0_14default_configENS1_20scan_config_selectorIxEEZZNS1_9scan_implILNS1_25lookback_scan_determinismE0ELb0ELb0ES3_N6thrust23THRUST_200600_302600_NS6detail15normal_iteratorINS9_10device_ptrIxEEEENS9_16discard_iteratorINS9_11use_defaultEEExNS9_4plusIvEExEEDaPvRmT3_T4_T5_mT6_P12ihipStream_tbENKUlT_T0_E_clISt17integral_constantIbLb0EESX_EEDaSS_ST_EUlSS_E_NS1_11comp_targetILNS1_3genE10ELNS1_11target_archE1201ELNS1_3gpuE5ELNS1_3repE0EEENS1_30default_config_static_selectorELNS0_4arch9wavefront6targetE1EEEvT1_: ; @_ZN7rocprim17ROCPRIM_400000_NS6detail17trampoline_kernelINS0_14default_configENS1_20scan_config_selectorIxEEZZNS1_9scan_implILNS1_25lookback_scan_determinismE0ELb0ELb0ES3_N6thrust23THRUST_200600_302600_NS6detail15normal_iteratorINS9_10device_ptrIxEEEENS9_16discard_iteratorINS9_11use_defaultEEExNS9_4plusIvEExEEDaPvRmT3_T4_T5_mT6_P12ihipStream_tbENKUlT_T0_E_clISt17integral_constantIbLb0EESX_EEDaSS_ST_EUlSS_E_NS1_11comp_targetILNS1_3genE10ELNS1_11target_archE1201ELNS1_3gpuE5ELNS1_3repE0EEENS1_30default_config_static_selectorELNS0_4arch9wavefront6targetE1EEEvT1_
; %bb.0:
	.section	.rodata,"a",@progbits
	.p2align	6, 0x0
	.amdhsa_kernel _ZN7rocprim17ROCPRIM_400000_NS6detail17trampoline_kernelINS0_14default_configENS1_20scan_config_selectorIxEEZZNS1_9scan_implILNS1_25lookback_scan_determinismE0ELb0ELb0ES3_N6thrust23THRUST_200600_302600_NS6detail15normal_iteratorINS9_10device_ptrIxEEEENS9_16discard_iteratorINS9_11use_defaultEEExNS9_4plusIvEExEEDaPvRmT3_T4_T5_mT6_P12ihipStream_tbENKUlT_T0_E_clISt17integral_constantIbLb0EESX_EEDaSS_ST_EUlSS_E_NS1_11comp_targetILNS1_3genE10ELNS1_11target_archE1201ELNS1_3gpuE5ELNS1_3repE0EEENS1_30default_config_static_selectorELNS0_4arch9wavefront6targetE1EEEvT1_
		.amdhsa_group_segment_fixed_size 0
		.amdhsa_private_segment_fixed_size 0
		.amdhsa_kernarg_size 112
		.amdhsa_user_sgpr_count 6
		.amdhsa_user_sgpr_private_segment_buffer 1
		.amdhsa_user_sgpr_dispatch_ptr 0
		.amdhsa_user_sgpr_queue_ptr 0
		.amdhsa_user_sgpr_kernarg_segment_ptr 1
		.amdhsa_user_sgpr_dispatch_id 0
		.amdhsa_user_sgpr_flat_scratch_init 0
		.amdhsa_user_sgpr_kernarg_preload_length 0
		.amdhsa_user_sgpr_kernarg_preload_offset 0
		.amdhsa_user_sgpr_private_segment_size 0
		.amdhsa_uses_dynamic_stack 0
		.amdhsa_system_sgpr_private_segment_wavefront_offset 0
		.amdhsa_system_sgpr_workgroup_id_x 1
		.amdhsa_system_sgpr_workgroup_id_y 0
		.amdhsa_system_sgpr_workgroup_id_z 0
		.amdhsa_system_sgpr_workgroup_info 0
		.amdhsa_system_vgpr_workitem_id 0
		.amdhsa_next_free_vgpr 1
		.amdhsa_next_free_sgpr 0
		.amdhsa_accum_offset 4
		.amdhsa_reserve_vcc 0
		.amdhsa_reserve_flat_scratch 0
		.amdhsa_float_round_mode_32 0
		.amdhsa_float_round_mode_16_64 0
		.amdhsa_float_denorm_mode_32 3
		.amdhsa_float_denorm_mode_16_64 3
		.amdhsa_dx10_clamp 1
		.amdhsa_ieee_mode 1
		.amdhsa_fp16_overflow 0
		.amdhsa_tg_split 0
		.amdhsa_exception_fp_ieee_invalid_op 0
		.amdhsa_exception_fp_denorm_src 0
		.amdhsa_exception_fp_ieee_div_zero 0
		.amdhsa_exception_fp_ieee_overflow 0
		.amdhsa_exception_fp_ieee_underflow 0
		.amdhsa_exception_fp_ieee_inexact 0
		.amdhsa_exception_int_div_zero 0
	.end_amdhsa_kernel
	.section	.text._ZN7rocprim17ROCPRIM_400000_NS6detail17trampoline_kernelINS0_14default_configENS1_20scan_config_selectorIxEEZZNS1_9scan_implILNS1_25lookback_scan_determinismE0ELb0ELb0ES3_N6thrust23THRUST_200600_302600_NS6detail15normal_iteratorINS9_10device_ptrIxEEEENS9_16discard_iteratorINS9_11use_defaultEEExNS9_4plusIvEExEEDaPvRmT3_T4_T5_mT6_P12ihipStream_tbENKUlT_T0_E_clISt17integral_constantIbLb0EESX_EEDaSS_ST_EUlSS_E_NS1_11comp_targetILNS1_3genE10ELNS1_11target_archE1201ELNS1_3gpuE5ELNS1_3repE0EEENS1_30default_config_static_selectorELNS0_4arch9wavefront6targetE1EEEvT1_,"axG",@progbits,_ZN7rocprim17ROCPRIM_400000_NS6detail17trampoline_kernelINS0_14default_configENS1_20scan_config_selectorIxEEZZNS1_9scan_implILNS1_25lookback_scan_determinismE0ELb0ELb0ES3_N6thrust23THRUST_200600_302600_NS6detail15normal_iteratorINS9_10device_ptrIxEEEENS9_16discard_iteratorINS9_11use_defaultEEExNS9_4plusIvEExEEDaPvRmT3_T4_T5_mT6_P12ihipStream_tbENKUlT_T0_E_clISt17integral_constantIbLb0EESX_EEDaSS_ST_EUlSS_E_NS1_11comp_targetILNS1_3genE10ELNS1_11target_archE1201ELNS1_3gpuE5ELNS1_3repE0EEENS1_30default_config_static_selectorELNS0_4arch9wavefront6targetE1EEEvT1_,comdat
.Lfunc_end5587:
	.size	_ZN7rocprim17ROCPRIM_400000_NS6detail17trampoline_kernelINS0_14default_configENS1_20scan_config_selectorIxEEZZNS1_9scan_implILNS1_25lookback_scan_determinismE0ELb0ELb0ES3_N6thrust23THRUST_200600_302600_NS6detail15normal_iteratorINS9_10device_ptrIxEEEENS9_16discard_iteratorINS9_11use_defaultEEExNS9_4plusIvEExEEDaPvRmT3_T4_T5_mT6_P12ihipStream_tbENKUlT_T0_E_clISt17integral_constantIbLb0EESX_EEDaSS_ST_EUlSS_E_NS1_11comp_targetILNS1_3genE10ELNS1_11target_archE1201ELNS1_3gpuE5ELNS1_3repE0EEENS1_30default_config_static_selectorELNS0_4arch9wavefront6targetE1EEEvT1_, .Lfunc_end5587-_ZN7rocprim17ROCPRIM_400000_NS6detail17trampoline_kernelINS0_14default_configENS1_20scan_config_selectorIxEEZZNS1_9scan_implILNS1_25lookback_scan_determinismE0ELb0ELb0ES3_N6thrust23THRUST_200600_302600_NS6detail15normal_iteratorINS9_10device_ptrIxEEEENS9_16discard_iteratorINS9_11use_defaultEEExNS9_4plusIvEExEEDaPvRmT3_T4_T5_mT6_P12ihipStream_tbENKUlT_T0_E_clISt17integral_constantIbLb0EESX_EEDaSS_ST_EUlSS_E_NS1_11comp_targetILNS1_3genE10ELNS1_11target_archE1201ELNS1_3gpuE5ELNS1_3repE0EEENS1_30default_config_static_selectorELNS0_4arch9wavefront6targetE1EEEvT1_
                                        ; -- End function
	.section	.AMDGPU.csdata,"",@progbits
; Kernel info:
; codeLenInByte = 0
; NumSgprs: 4
; NumVgprs: 0
; NumAgprs: 0
; TotalNumVgprs: 0
; ScratchSize: 0
; MemoryBound: 0
; FloatMode: 240
; IeeeMode: 1
; LDSByteSize: 0 bytes/workgroup (compile time only)
; SGPRBlocks: 0
; VGPRBlocks: 0
; NumSGPRsForWavesPerEU: 4
; NumVGPRsForWavesPerEU: 1
; AccumOffset: 4
; Occupancy: 8
; WaveLimiterHint : 0
; COMPUTE_PGM_RSRC2:SCRATCH_EN: 0
; COMPUTE_PGM_RSRC2:USER_SGPR: 6
; COMPUTE_PGM_RSRC2:TRAP_HANDLER: 0
; COMPUTE_PGM_RSRC2:TGID_X_EN: 1
; COMPUTE_PGM_RSRC2:TGID_Y_EN: 0
; COMPUTE_PGM_RSRC2:TGID_Z_EN: 0
; COMPUTE_PGM_RSRC2:TIDIG_COMP_CNT: 0
; COMPUTE_PGM_RSRC3_GFX90A:ACCUM_OFFSET: 0
; COMPUTE_PGM_RSRC3_GFX90A:TG_SPLIT: 0
	.section	.text._ZN7rocprim17ROCPRIM_400000_NS6detail17trampoline_kernelINS0_14default_configENS1_20scan_config_selectorIxEEZZNS1_9scan_implILNS1_25lookback_scan_determinismE0ELb0ELb0ES3_N6thrust23THRUST_200600_302600_NS6detail15normal_iteratorINS9_10device_ptrIxEEEENS9_16discard_iteratorINS9_11use_defaultEEExNS9_4plusIvEExEEDaPvRmT3_T4_T5_mT6_P12ihipStream_tbENKUlT_T0_E_clISt17integral_constantIbLb0EESX_EEDaSS_ST_EUlSS_E_NS1_11comp_targetILNS1_3genE10ELNS1_11target_archE1200ELNS1_3gpuE4ELNS1_3repE0EEENS1_30default_config_static_selectorELNS0_4arch9wavefront6targetE1EEEvT1_,"axG",@progbits,_ZN7rocprim17ROCPRIM_400000_NS6detail17trampoline_kernelINS0_14default_configENS1_20scan_config_selectorIxEEZZNS1_9scan_implILNS1_25lookback_scan_determinismE0ELb0ELb0ES3_N6thrust23THRUST_200600_302600_NS6detail15normal_iteratorINS9_10device_ptrIxEEEENS9_16discard_iteratorINS9_11use_defaultEEExNS9_4plusIvEExEEDaPvRmT3_T4_T5_mT6_P12ihipStream_tbENKUlT_T0_E_clISt17integral_constantIbLb0EESX_EEDaSS_ST_EUlSS_E_NS1_11comp_targetILNS1_3genE10ELNS1_11target_archE1200ELNS1_3gpuE4ELNS1_3repE0EEENS1_30default_config_static_selectorELNS0_4arch9wavefront6targetE1EEEvT1_,comdat
	.protected	_ZN7rocprim17ROCPRIM_400000_NS6detail17trampoline_kernelINS0_14default_configENS1_20scan_config_selectorIxEEZZNS1_9scan_implILNS1_25lookback_scan_determinismE0ELb0ELb0ES3_N6thrust23THRUST_200600_302600_NS6detail15normal_iteratorINS9_10device_ptrIxEEEENS9_16discard_iteratorINS9_11use_defaultEEExNS9_4plusIvEExEEDaPvRmT3_T4_T5_mT6_P12ihipStream_tbENKUlT_T0_E_clISt17integral_constantIbLb0EESX_EEDaSS_ST_EUlSS_E_NS1_11comp_targetILNS1_3genE10ELNS1_11target_archE1200ELNS1_3gpuE4ELNS1_3repE0EEENS1_30default_config_static_selectorELNS0_4arch9wavefront6targetE1EEEvT1_ ; -- Begin function _ZN7rocprim17ROCPRIM_400000_NS6detail17trampoline_kernelINS0_14default_configENS1_20scan_config_selectorIxEEZZNS1_9scan_implILNS1_25lookback_scan_determinismE0ELb0ELb0ES3_N6thrust23THRUST_200600_302600_NS6detail15normal_iteratorINS9_10device_ptrIxEEEENS9_16discard_iteratorINS9_11use_defaultEEExNS9_4plusIvEExEEDaPvRmT3_T4_T5_mT6_P12ihipStream_tbENKUlT_T0_E_clISt17integral_constantIbLb0EESX_EEDaSS_ST_EUlSS_E_NS1_11comp_targetILNS1_3genE10ELNS1_11target_archE1200ELNS1_3gpuE4ELNS1_3repE0EEENS1_30default_config_static_selectorELNS0_4arch9wavefront6targetE1EEEvT1_
	.globl	_ZN7rocprim17ROCPRIM_400000_NS6detail17trampoline_kernelINS0_14default_configENS1_20scan_config_selectorIxEEZZNS1_9scan_implILNS1_25lookback_scan_determinismE0ELb0ELb0ES3_N6thrust23THRUST_200600_302600_NS6detail15normal_iteratorINS9_10device_ptrIxEEEENS9_16discard_iteratorINS9_11use_defaultEEExNS9_4plusIvEExEEDaPvRmT3_T4_T5_mT6_P12ihipStream_tbENKUlT_T0_E_clISt17integral_constantIbLb0EESX_EEDaSS_ST_EUlSS_E_NS1_11comp_targetILNS1_3genE10ELNS1_11target_archE1200ELNS1_3gpuE4ELNS1_3repE0EEENS1_30default_config_static_selectorELNS0_4arch9wavefront6targetE1EEEvT1_
	.p2align	8
	.type	_ZN7rocprim17ROCPRIM_400000_NS6detail17trampoline_kernelINS0_14default_configENS1_20scan_config_selectorIxEEZZNS1_9scan_implILNS1_25lookback_scan_determinismE0ELb0ELb0ES3_N6thrust23THRUST_200600_302600_NS6detail15normal_iteratorINS9_10device_ptrIxEEEENS9_16discard_iteratorINS9_11use_defaultEEExNS9_4plusIvEExEEDaPvRmT3_T4_T5_mT6_P12ihipStream_tbENKUlT_T0_E_clISt17integral_constantIbLb0EESX_EEDaSS_ST_EUlSS_E_NS1_11comp_targetILNS1_3genE10ELNS1_11target_archE1200ELNS1_3gpuE4ELNS1_3repE0EEENS1_30default_config_static_selectorELNS0_4arch9wavefront6targetE1EEEvT1_,@function
_ZN7rocprim17ROCPRIM_400000_NS6detail17trampoline_kernelINS0_14default_configENS1_20scan_config_selectorIxEEZZNS1_9scan_implILNS1_25lookback_scan_determinismE0ELb0ELb0ES3_N6thrust23THRUST_200600_302600_NS6detail15normal_iteratorINS9_10device_ptrIxEEEENS9_16discard_iteratorINS9_11use_defaultEEExNS9_4plusIvEExEEDaPvRmT3_T4_T5_mT6_P12ihipStream_tbENKUlT_T0_E_clISt17integral_constantIbLb0EESX_EEDaSS_ST_EUlSS_E_NS1_11comp_targetILNS1_3genE10ELNS1_11target_archE1200ELNS1_3gpuE4ELNS1_3repE0EEENS1_30default_config_static_selectorELNS0_4arch9wavefront6targetE1EEEvT1_: ; @_ZN7rocprim17ROCPRIM_400000_NS6detail17trampoline_kernelINS0_14default_configENS1_20scan_config_selectorIxEEZZNS1_9scan_implILNS1_25lookback_scan_determinismE0ELb0ELb0ES3_N6thrust23THRUST_200600_302600_NS6detail15normal_iteratorINS9_10device_ptrIxEEEENS9_16discard_iteratorINS9_11use_defaultEEExNS9_4plusIvEExEEDaPvRmT3_T4_T5_mT6_P12ihipStream_tbENKUlT_T0_E_clISt17integral_constantIbLb0EESX_EEDaSS_ST_EUlSS_E_NS1_11comp_targetILNS1_3genE10ELNS1_11target_archE1200ELNS1_3gpuE4ELNS1_3repE0EEENS1_30default_config_static_selectorELNS0_4arch9wavefront6targetE1EEEvT1_
; %bb.0:
	.section	.rodata,"a",@progbits
	.p2align	6, 0x0
	.amdhsa_kernel _ZN7rocprim17ROCPRIM_400000_NS6detail17trampoline_kernelINS0_14default_configENS1_20scan_config_selectorIxEEZZNS1_9scan_implILNS1_25lookback_scan_determinismE0ELb0ELb0ES3_N6thrust23THRUST_200600_302600_NS6detail15normal_iteratorINS9_10device_ptrIxEEEENS9_16discard_iteratorINS9_11use_defaultEEExNS9_4plusIvEExEEDaPvRmT3_T4_T5_mT6_P12ihipStream_tbENKUlT_T0_E_clISt17integral_constantIbLb0EESX_EEDaSS_ST_EUlSS_E_NS1_11comp_targetILNS1_3genE10ELNS1_11target_archE1200ELNS1_3gpuE4ELNS1_3repE0EEENS1_30default_config_static_selectorELNS0_4arch9wavefront6targetE1EEEvT1_
		.amdhsa_group_segment_fixed_size 0
		.amdhsa_private_segment_fixed_size 0
		.amdhsa_kernarg_size 112
		.amdhsa_user_sgpr_count 6
		.amdhsa_user_sgpr_private_segment_buffer 1
		.amdhsa_user_sgpr_dispatch_ptr 0
		.amdhsa_user_sgpr_queue_ptr 0
		.amdhsa_user_sgpr_kernarg_segment_ptr 1
		.amdhsa_user_sgpr_dispatch_id 0
		.amdhsa_user_sgpr_flat_scratch_init 0
		.amdhsa_user_sgpr_kernarg_preload_length 0
		.amdhsa_user_sgpr_kernarg_preload_offset 0
		.amdhsa_user_sgpr_private_segment_size 0
		.amdhsa_uses_dynamic_stack 0
		.amdhsa_system_sgpr_private_segment_wavefront_offset 0
		.amdhsa_system_sgpr_workgroup_id_x 1
		.amdhsa_system_sgpr_workgroup_id_y 0
		.amdhsa_system_sgpr_workgroup_id_z 0
		.amdhsa_system_sgpr_workgroup_info 0
		.amdhsa_system_vgpr_workitem_id 0
		.amdhsa_next_free_vgpr 1
		.amdhsa_next_free_sgpr 0
		.amdhsa_accum_offset 4
		.amdhsa_reserve_vcc 0
		.amdhsa_reserve_flat_scratch 0
		.amdhsa_float_round_mode_32 0
		.amdhsa_float_round_mode_16_64 0
		.amdhsa_float_denorm_mode_32 3
		.amdhsa_float_denorm_mode_16_64 3
		.amdhsa_dx10_clamp 1
		.amdhsa_ieee_mode 1
		.amdhsa_fp16_overflow 0
		.amdhsa_tg_split 0
		.amdhsa_exception_fp_ieee_invalid_op 0
		.amdhsa_exception_fp_denorm_src 0
		.amdhsa_exception_fp_ieee_div_zero 0
		.amdhsa_exception_fp_ieee_overflow 0
		.amdhsa_exception_fp_ieee_underflow 0
		.amdhsa_exception_fp_ieee_inexact 0
		.amdhsa_exception_int_div_zero 0
	.end_amdhsa_kernel
	.section	.text._ZN7rocprim17ROCPRIM_400000_NS6detail17trampoline_kernelINS0_14default_configENS1_20scan_config_selectorIxEEZZNS1_9scan_implILNS1_25lookback_scan_determinismE0ELb0ELb0ES3_N6thrust23THRUST_200600_302600_NS6detail15normal_iteratorINS9_10device_ptrIxEEEENS9_16discard_iteratorINS9_11use_defaultEEExNS9_4plusIvEExEEDaPvRmT3_T4_T5_mT6_P12ihipStream_tbENKUlT_T0_E_clISt17integral_constantIbLb0EESX_EEDaSS_ST_EUlSS_E_NS1_11comp_targetILNS1_3genE10ELNS1_11target_archE1200ELNS1_3gpuE4ELNS1_3repE0EEENS1_30default_config_static_selectorELNS0_4arch9wavefront6targetE1EEEvT1_,"axG",@progbits,_ZN7rocprim17ROCPRIM_400000_NS6detail17trampoline_kernelINS0_14default_configENS1_20scan_config_selectorIxEEZZNS1_9scan_implILNS1_25lookback_scan_determinismE0ELb0ELb0ES3_N6thrust23THRUST_200600_302600_NS6detail15normal_iteratorINS9_10device_ptrIxEEEENS9_16discard_iteratorINS9_11use_defaultEEExNS9_4plusIvEExEEDaPvRmT3_T4_T5_mT6_P12ihipStream_tbENKUlT_T0_E_clISt17integral_constantIbLb0EESX_EEDaSS_ST_EUlSS_E_NS1_11comp_targetILNS1_3genE10ELNS1_11target_archE1200ELNS1_3gpuE4ELNS1_3repE0EEENS1_30default_config_static_selectorELNS0_4arch9wavefront6targetE1EEEvT1_,comdat
.Lfunc_end5588:
	.size	_ZN7rocprim17ROCPRIM_400000_NS6detail17trampoline_kernelINS0_14default_configENS1_20scan_config_selectorIxEEZZNS1_9scan_implILNS1_25lookback_scan_determinismE0ELb0ELb0ES3_N6thrust23THRUST_200600_302600_NS6detail15normal_iteratorINS9_10device_ptrIxEEEENS9_16discard_iteratorINS9_11use_defaultEEExNS9_4plusIvEExEEDaPvRmT3_T4_T5_mT6_P12ihipStream_tbENKUlT_T0_E_clISt17integral_constantIbLb0EESX_EEDaSS_ST_EUlSS_E_NS1_11comp_targetILNS1_3genE10ELNS1_11target_archE1200ELNS1_3gpuE4ELNS1_3repE0EEENS1_30default_config_static_selectorELNS0_4arch9wavefront6targetE1EEEvT1_, .Lfunc_end5588-_ZN7rocprim17ROCPRIM_400000_NS6detail17trampoline_kernelINS0_14default_configENS1_20scan_config_selectorIxEEZZNS1_9scan_implILNS1_25lookback_scan_determinismE0ELb0ELb0ES3_N6thrust23THRUST_200600_302600_NS6detail15normal_iteratorINS9_10device_ptrIxEEEENS9_16discard_iteratorINS9_11use_defaultEEExNS9_4plusIvEExEEDaPvRmT3_T4_T5_mT6_P12ihipStream_tbENKUlT_T0_E_clISt17integral_constantIbLb0EESX_EEDaSS_ST_EUlSS_E_NS1_11comp_targetILNS1_3genE10ELNS1_11target_archE1200ELNS1_3gpuE4ELNS1_3repE0EEENS1_30default_config_static_selectorELNS0_4arch9wavefront6targetE1EEEvT1_
                                        ; -- End function
	.section	.AMDGPU.csdata,"",@progbits
; Kernel info:
; codeLenInByte = 0
; NumSgprs: 4
; NumVgprs: 0
; NumAgprs: 0
; TotalNumVgprs: 0
; ScratchSize: 0
; MemoryBound: 0
; FloatMode: 240
; IeeeMode: 1
; LDSByteSize: 0 bytes/workgroup (compile time only)
; SGPRBlocks: 0
; VGPRBlocks: 0
; NumSGPRsForWavesPerEU: 4
; NumVGPRsForWavesPerEU: 1
; AccumOffset: 4
; Occupancy: 8
; WaveLimiterHint : 0
; COMPUTE_PGM_RSRC2:SCRATCH_EN: 0
; COMPUTE_PGM_RSRC2:USER_SGPR: 6
; COMPUTE_PGM_RSRC2:TRAP_HANDLER: 0
; COMPUTE_PGM_RSRC2:TGID_X_EN: 1
; COMPUTE_PGM_RSRC2:TGID_Y_EN: 0
; COMPUTE_PGM_RSRC2:TGID_Z_EN: 0
; COMPUTE_PGM_RSRC2:TIDIG_COMP_CNT: 0
; COMPUTE_PGM_RSRC3_GFX90A:ACCUM_OFFSET: 0
; COMPUTE_PGM_RSRC3_GFX90A:TG_SPLIT: 0
	.section	.text._ZN7rocprim17ROCPRIM_400000_NS6detail17trampoline_kernelINS0_14default_configENS1_20scan_config_selectorIxEEZZNS1_9scan_implILNS1_25lookback_scan_determinismE0ELb0ELb0ES3_N6thrust23THRUST_200600_302600_NS6detail15normal_iteratorINS9_10device_ptrIxEEEENS9_16discard_iteratorINS9_11use_defaultEEExNS9_4plusIvEExEEDaPvRmT3_T4_T5_mT6_P12ihipStream_tbENKUlT_T0_E_clISt17integral_constantIbLb0EESX_EEDaSS_ST_EUlSS_E_NS1_11comp_targetILNS1_3genE9ELNS1_11target_archE1100ELNS1_3gpuE3ELNS1_3repE0EEENS1_30default_config_static_selectorELNS0_4arch9wavefront6targetE1EEEvT1_,"axG",@progbits,_ZN7rocprim17ROCPRIM_400000_NS6detail17trampoline_kernelINS0_14default_configENS1_20scan_config_selectorIxEEZZNS1_9scan_implILNS1_25lookback_scan_determinismE0ELb0ELb0ES3_N6thrust23THRUST_200600_302600_NS6detail15normal_iteratorINS9_10device_ptrIxEEEENS9_16discard_iteratorINS9_11use_defaultEEExNS9_4plusIvEExEEDaPvRmT3_T4_T5_mT6_P12ihipStream_tbENKUlT_T0_E_clISt17integral_constantIbLb0EESX_EEDaSS_ST_EUlSS_E_NS1_11comp_targetILNS1_3genE9ELNS1_11target_archE1100ELNS1_3gpuE3ELNS1_3repE0EEENS1_30default_config_static_selectorELNS0_4arch9wavefront6targetE1EEEvT1_,comdat
	.protected	_ZN7rocprim17ROCPRIM_400000_NS6detail17trampoline_kernelINS0_14default_configENS1_20scan_config_selectorIxEEZZNS1_9scan_implILNS1_25lookback_scan_determinismE0ELb0ELb0ES3_N6thrust23THRUST_200600_302600_NS6detail15normal_iteratorINS9_10device_ptrIxEEEENS9_16discard_iteratorINS9_11use_defaultEEExNS9_4plusIvEExEEDaPvRmT3_T4_T5_mT6_P12ihipStream_tbENKUlT_T0_E_clISt17integral_constantIbLb0EESX_EEDaSS_ST_EUlSS_E_NS1_11comp_targetILNS1_3genE9ELNS1_11target_archE1100ELNS1_3gpuE3ELNS1_3repE0EEENS1_30default_config_static_selectorELNS0_4arch9wavefront6targetE1EEEvT1_ ; -- Begin function _ZN7rocprim17ROCPRIM_400000_NS6detail17trampoline_kernelINS0_14default_configENS1_20scan_config_selectorIxEEZZNS1_9scan_implILNS1_25lookback_scan_determinismE0ELb0ELb0ES3_N6thrust23THRUST_200600_302600_NS6detail15normal_iteratorINS9_10device_ptrIxEEEENS9_16discard_iteratorINS9_11use_defaultEEExNS9_4plusIvEExEEDaPvRmT3_T4_T5_mT6_P12ihipStream_tbENKUlT_T0_E_clISt17integral_constantIbLb0EESX_EEDaSS_ST_EUlSS_E_NS1_11comp_targetILNS1_3genE9ELNS1_11target_archE1100ELNS1_3gpuE3ELNS1_3repE0EEENS1_30default_config_static_selectorELNS0_4arch9wavefront6targetE1EEEvT1_
	.globl	_ZN7rocprim17ROCPRIM_400000_NS6detail17trampoline_kernelINS0_14default_configENS1_20scan_config_selectorIxEEZZNS1_9scan_implILNS1_25lookback_scan_determinismE0ELb0ELb0ES3_N6thrust23THRUST_200600_302600_NS6detail15normal_iteratorINS9_10device_ptrIxEEEENS9_16discard_iteratorINS9_11use_defaultEEExNS9_4plusIvEExEEDaPvRmT3_T4_T5_mT6_P12ihipStream_tbENKUlT_T0_E_clISt17integral_constantIbLb0EESX_EEDaSS_ST_EUlSS_E_NS1_11comp_targetILNS1_3genE9ELNS1_11target_archE1100ELNS1_3gpuE3ELNS1_3repE0EEENS1_30default_config_static_selectorELNS0_4arch9wavefront6targetE1EEEvT1_
	.p2align	8
	.type	_ZN7rocprim17ROCPRIM_400000_NS6detail17trampoline_kernelINS0_14default_configENS1_20scan_config_selectorIxEEZZNS1_9scan_implILNS1_25lookback_scan_determinismE0ELb0ELb0ES3_N6thrust23THRUST_200600_302600_NS6detail15normal_iteratorINS9_10device_ptrIxEEEENS9_16discard_iteratorINS9_11use_defaultEEExNS9_4plusIvEExEEDaPvRmT3_T4_T5_mT6_P12ihipStream_tbENKUlT_T0_E_clISt17integral_constantIbLb0EESX_EEDaSS_ST_EUlSS_E_NS1_11comp_targetILNS1_3genE9ELNS1_11target_archE1100ELNS1_3gpuE3ELNS1_3repE0EEENS1_30default_config_static_selectorELNS0_4arch9wavefront6targetE1EEEvT1_,@function
_ZN7rocprim17ROCPRIM_400000_NS6detail17trampoline_kernelINS0_14default_configENS1_20scan_config_selectorIxEEZZNS1_9scan_implILNS1_25lookback_scan_determinismE0ELb0ELb0ES3_N6thrust23THRUST_200600_302600_NS6detail15normal_iteratorINS9_10device_ptrIxEEEENS9_16discard_iteratorINS9_11use_defaultEEExNS9_4plusIvEExEEDaPvRmT3_T4_T5_mT6_P12ihipStream_tbENKUlT_T0_E_clISt17integral_constantIbLb0EESX_EEDaSS_ST_EUlSS_E_NS1_11comp_targetILNS1_3genE9ELNS1_11target_archE1100ELNS1_3gpuE3ELNS1_3repE0EEENS1_30default_config_static_selectorELNS0_4arch9wavefront6targetE1EEEvT1_: ; @_ZN7rocprim17ROCPRIM_400000_NS6detail17trampoline_kernelINS0_14default_configENS1_20scan_config_selectorIxEEZZNS1_9scan_implILNS1_25lookback_scan_determinismE0ELb0ELb0ES3_N6thrust23THRUST_200600_302600_NS6detail15normal_iteratorINS9_10device_ptrIxEEEENS9_16discard_iteratorINS9_11use_defaultEEExNS9_4plusIvEExEEDaPvRmT3_T4_T5_mT6_P12ihipStream_tbENKUlT_T0_E_clISt17integral_constantIbLb0EESX_EEDaSS_ST_EUlSS_E_NS1_11comp_targetILNS1_3genE9ELNS1_11target_archE1100ELNS1_3gpuE3ELNS1_3repE0EEENS1_30default_config_static_selectorELNS0_4arch9wavefront6targetE1EEEvT1_
; %bb.0:
	.section	.rodata,"a",@progbits
	.p2align	6, 0x0
	.amdhsa_kernel _ZN7rocprim17ROCPRIM_400000_NS6detail17trampoline_kernelINS0_14default_configENS1_20scan_config_selectorIxEEZZNS1_9scan_implILNS1_25lookback_scan_determinismE0ELb0ELb0ES3_N6thrust23THRUST_200600_302600_NS6detail15normal_iteratorINS9_10device_ptrIxEEEENS9_16discard_iteratorINS9_11use_defaultEEExNS9_4plusIvEExEEDaPvRmT3_T4_T5_mT6_P12ihipStream_tbENKUlT_T0_E_clISt17integral_constantIbLb0EESX_EEDaSS_ST_EUlSS_E_NS1_11comp_targetILNS1_3genE9ELNS1_11target_archE1100ELNS1_3gpuE3ELNS1_3repE0EEENS1_30default_config_static_selectorELNS0_4arch9wavefront6targetE1EEEvT1_
		.amdhsa_group_segment_fixed_size 0
		.amdhsa_private_segment_fixed_size 0
		.amdhsa_kernarg_size 112
		.amdhsa_user_sgpr_count 6
		.amdhsa_user_sgpr_private_segment_buffer 1
		.amdhsa_user_sgpr_dispatch_ptr 0
		.amdhsa_user_sgpr_queue_ptr 0
		.amdhsa_user_sgpr_kernarg_segment_ptr 1
		.amdhsa_user_sgpr_dispatch_id 0
		.amdhsa_user_sgpr_flat_scratch_init 0
		.amdhsa_user_sgpr_kernarg_preload_length 0
		.amdhsa_user_sgpr_kernarg_preload_offset 0
		.amdhsa_user_sgpr_private_segment_size 0
		.amdhsa_uses_dynamic_stack 0
		.amdhsa_system_sgpr_private_segment_wavefront_offset 0
		.amdhsa_system_sgpr_workgroup_id_x 1
		.amdhsa_system_sgpr_workgroup_id_y 0
		.amdhsa_system_sgpr_workgroup_id_z 0
		.amdhsa_system_sgpr_workgroup_info 0
		.amdhsa_system_vgpr_workitem_id 0
		.amdhsa_next_free_vgpr 1
		.amdhsa_next_free_sgpr 0
		.amdhsa_accum_offset 4
		.amdhsa_reserve_vcc 0
		.amdhsa_reserve_flat_scratch 0
		.amdhsa_float_round_mode_32 0
		.amdhsa_float_round_mode_16_64 0
		.amdhsa_float_denorm_mode_32 3
		.amdhsa_float_denorm_mode_16_64 3
		.amdhsa_dx10_clamp 1
		.amdhsa_ieee_mode 1
		.amdhsa_fp16_overflow 0
		.amdhsa_tg_split 0
		.amdhsa_exception_fp_ieee_invalid_op 0
		.amdhsa_exception_fp_denorm_src 0
		.amdhsa_exception_fp_ieee_div_zero 0
		.amdhsa_exception_fp_ieee_overflow 0
		.amdhsa_exception_fp_ieee_underflow 0
		.amdhsa_exception_fp_ieee_inexact 0
		.amdhsa_exception_int_div_zero 0
	.end_amdhsa_kernel
	.section	.text._ZN7rocprim17ROCPRIM_400000_NS6detail17trampoline_kernelINS0_14default_configENS1_20scan_config_selectorIxEEZZNS1_9scan_implILNS1_25lookback_scan_determinismE0ELb0ELb0ES3_N6thrust23THRUST_200600_302600_NS6detail15normal_iteratorINS9_10device_ptrIxEEEENS9_16discard_iteratorINS9_11use_defaultEEExNS9_4plusIvEExEEDaPvRmT3_T4_T5_mT6_P12ihipStream_tbENKUlT_T0_E_clISt17integral_constantIbLb0EESX_EEDaSS_ST_EUlSS_E_NS1_11comp_targetILNS1_3genE9ELNS1_11target_archE1100ELNS1_3gpuE3ELNS1_3repE0EEENS1_30default_config_static_selectorELNS0_4arch9wavefront6targetE1EEEvT1_,"axG",@progbits,_ZN7rocprim17ROCPRIM_400000_NS6detail17trampoline_kernelINS0_14default_configENS1_20scan_config_selectorIxEEZZNS1_9scan_implILNS1_25lookback_scan_determinismE0ELb0ELb0ES3_N6thrust23THRUST_200600_302600_NS6detail15normal_iteratorINS9_10device_ptrIxEEEENS9_16discard_iteratorINS9_11use_defaultEEExNS9_4plusIvEExEEDaPvRmT3_T4_T5_mT6_P12ihipStream_tbENKUlT_T0_E_clISt17integral_constantIbLb0EESX_EEDaSS_ST_EUlSS_E_NS1_11comp_targetILNS1_3genE9ELNS1_11target_archE1100ELNS1_3gpuE3ELNS1_3repE0EEENS1_30default_config_static_selectorELNS0_4arch9wavefront6targetE1EEEvT1_,comdat
.Lfunc_end5589:
	.size	_ZN7rocprim17ROCPRIM_400000_NS6detail17trampoline_kernelINS0_14default_configENS1_20scan_config_selectorIxEEZZNS1_9scan_implILNS1_25lookback_scan_determinismE0ELb0ELb0ES3_N6thrust23THRUST_200600_302600_NS6detail15normal_iteratorINS9_10device_ptrIxEEEENS9_16discard_iteratorINS9_11use_defaultEEExNS9_4plusIvEExEEDaPvRmT3_T4_T5_mT6_P12ihipStream_tbENKUlT_T0_E_clISt17integral_constantIbLb0EESX_EEDaSS_ST_EUlSS_E_NS1_11comp_targetILNS1_3genE9ELNS1_11target_archE1100ELNS1_3gpuE3ELNS1_3repE0EEENS1_30default_config_static_selectorELNS0_4arch9wavefront6targetE1EEEvT1_, .Lfunc_end5589-_ZN7rocprim17ROCPRIM_400000_NS6detail17trampoline_kernelINS0_14default_configENS1_20scan_config_selectorIxEEZZNS1_9scan_implILNS1_25lookback_scan_determinismE0ELb0ELb0ES3_N6thrust23THRUST_200600_302600_NS6detail15normal_iteratorINS9_10device_ptrIxEEEENS9_16discard_iteratorINS9_11use_defaultEEExNS9_4plusIvEExEEDaPvRmT3_T4_T5_mT6_P12ihipStream_tbENKUlT_T0_E_clISt17integral_constantIbLb0EESX_EEDaSS_ST_EUlSS_E_NS1_11comp_targetILNS1_3genE9ELNS1_11target_archE1100ELNS1_3gpuE3ELNS1_3repE0EEENS1_30default_config_static_selectorELNS0_4arch9wavefront6targetE1EEEvT1_
                                        ; -- End function
	.section	.AMDGPU.csdata,"",@progbits
; Kernel info:
; codeLenInByte = 0
; NumSgprs: 4
; NumVgprs: 0
; NumAgprs: 0
; TotalNumVgprs: 0
; ScratchSize: 0
; MemoryBound: 0
; FloatMode: 240
; IeeeMode: 1
; LDSByteSize: 0 bytes/workgroup (compile time only)
; SGPRBlocks: 0
; VGPRBlocks: 0
; NumSGPRsForWavesPerEU: 4
; NumVGPRsForWavesPerEU: 1
; AccumOffset: 4
; Occupancy: 8
; WaveLimiterHint : 0
; COMPUTE_PGM_RSRC2:SCRATCH_EN: 0
; COMPUTE_PGM_RSRC2:USER_SGPR: 6
; COMPUTE_PGM_RSRC2:TRAP_HANDLER: 0
; COMPUTE_PGM_RSRC2:TGID_X_EN: 1
; COMPUTE_PGM_RSRC2:TGID_Y_EN: 0
; COMPUTE_PGM_RSRC2:TGID_Z_EN: 0
; COMPUTE_PGM_RSRC2:TIDIG_COMP_CNT: 0
; COMPUTE_PGM_RSRC3_GFX90A:ACCUM_OFFSET: 0
; COMPUTE_PGM_RSRC3_GFX90A:TG_SPLIT: 0
	.section	.text._ZN7rocprim17ROCPRIM_400000_NS6detail17trampoline_kernelINS0_14default_configENS1_20scan_config_selectorIxEEZZNS1_9scan_implILNS1_25lookback_scan_determinismE0ELb0ELb0ES3_N6thrust23THRUST_200600_302600_NS6detail15normal_iteratorINS9_10device_ptrIxEEEENS9_16discard_iteratorINS9_11use_defaultEEExNS9_4plusIvEExEEDaPvRmT3_T4_T5_mT6_P12ihipStream_tbENKUlT_T0_E_clISt17integral_constantIbLb0EESX_EEDaSS_ST_EUlSS_E_NS1_11comp_targetILNS1_3genE8ELNS1_11target_archE1030ELNS1_3gpuE2ELNS1_3repE0EEENS1_30default_config_static_selectorELNS0_4arch9wavefront6targetE1EEEvT1_,"axG",@progbits,_ZN7rocprim17ROCPRIM_400000_NS6detail17trampoline_kernelINS0_14default_configENS1_20scan_config_selectorIxEEZZNS1_9scan_implILNS1_25lookback_scan_determinismE0ELb0ELb0ES3_N6thrust23THRUST_200600_302600_NS6detail15normal_iteratorINS9_10device_ptrIxEEEENS9_16discard_iteratorINS9_11use_defaultEEExNS9_4plusIvEExEEDaPvRmT3_T4_T5_mT6_P12ihipStream_tbENKUlT_T0_E_clISt17integral_constantIbLb0EESX_EEDaSS_ST_EUlSS_E_NS1_11comp_targetILNS1_3genE8ELNS1_11target_archE1030ELNS1_3gpuE2ELNS1_3repE0EEENS1_30default_config_static_selectorELNS0_4arch9wavefront6targetE1EEEvT1_,comdat
	.protected	_ZN7rocprim17ROCPRIM_400000_NS6detail17trampoline_kernelINS0_14default_configENS1_20scan_config_selectorIxEEZZNS1_9scan_implILNS1_25lookback_scan_determinismE0ELb0ELb0ES3_N6thrust23THRUST_200600_302600_NS6detail15normal_iteratorINS9_10device_ptrIxEEEENS9_16discard_iteratorINS9_11use_defaultEEExNS9_4plusIvEExEEDaPvRmT3_T4_T5_mT6_P12ihipStream_tbENKUlT_T0_E_clISt17integral_constantIbLb0EESX_EEDaSS_ST_EUlSS_E_NS1_11comp_targetILNS1_3genE8ELNS1_11target_archE1030ELNS1_3gpuE2ELNS1_3repE0EEENS1_30default_config_static_selectorELNS0_4arch9wavefront6targetE1EEEvT1_ ; -- Begin function _ZN7rocprim17ROCPRIM_400000_NS6detail17trampoline_kernelINS0_14default_configENS1_20scan_config_selectorIxEEZZNS1_9scan_implILNS1_25lookback_scan_determinismE0ELb0ELb0ES3_N6thrust23THRUST_200600_302600_NS6detail15normal_iteratorINS9_10device_ptrIxEEEENS9_16discard_iteratorINS9_11use_defaultEEExNS9_4plusIvEExEEDaPvRmT3_T4_T5_mT6_P12ihipStream_tbENKUlT_T0_E_clISt17integral_constantIbLb0EESX_EEDaSS_ST_EUlSS_E_NS1_11comp_targetILNS1_3genE8ELNS1_11target_archE1030ELNS1_3gpuE2ELNS1_3repE0EEENS1_30default_config_static_selectorELNS0_4arch9wavefront6targetE1EEEvT1_
	.globl	_ZN7rocprim17ROCPRIM_400000_NS6detail17trampoline_kernelINS0_14default_configENS1_20scan_config_selectorIxEEZZNS1_9scan_implILNS1_25lookback_scan_determinismE0ELb0ELb0ES3_N6thrust23THRUST_200600_302600_NS6detail15normal_iteratorINS9_10device_ptrIxEEEENS9_16discard_iteratorINS9_11use_defaultEEExNS9_4plusIvEExEEDaPvRmT3_T4_T5_mT6_P12ihipStream_tbENKUlT_T0_E_clISt17integral_constantIbLb0EESX_EEDaSS_ST_EUlSS_E_NS1_11comp_targetILNS1_3genE8ELNS1_11target_archE1030ELNS1_3gpuE2ELNS1_3repE0EEENS1_30default_config_static_selectorELNS0_4arch9wavefront6targetE1EEEvT1_
	.p2align	8
	.type	_ZN7rocprim17ROCPRIM_400000_NS6detail17trampoline_kernelINS0_14default_configENS1_20scan_config_selectorIxEEZZNS1_9scan_implILNS1_25lookback_scan_determinismE0ELb0ELb0ES3_N6thrust23THRUST_200600_302600_NS6detail15normal_iteratorINS9_10device_ptrIxEEEENS9_16discard_iteratorINS9_11use_defaultEEExNS9_4plusIvEExEEDaPvRmT3_T4_T5_mT6_P12ihipStream_tbENKUlT_T0_E_clISt17integral_constantIbLb0EESX_EEDaSS_ST_EUlSS_E_NS1_11comp_targetILNS1_3genE8ELNS1_11target_archE1030ELNS1_3gpuE2ELNS1_3repE0EEENS1_30default_config_static_selectorELNS0_4arch9wavefront6targetE1EEEvT1_,@function
_ZN7rocprim17ROCPRIM_400000_NS6detail17trampoline_kernelINS0_14default_configENS1_20scan_config_selectorIxEEZZNS1_9scan_implILNS1_25lookback_scan_determinismE0ELb0ELb0ES3_N6thrust23THRUST_200600_302600_NS6detail15normal_iteratorINS9_10device_ptrIxEEEENS9_16discard_iteratorINS9_11use_defaultEEExNS9_4plusIvEExEEDaPvRmT3_T4_T5_mT6_P12ihipStream_tbENKUlT_T0_E_clISt17integral_constantIbLb0EESX_EEDaSS_ST_EUlSS_E_NS1_11comp_targetILNS1_3genE8ELNS1_11target_archE1030ELNS1_3gpuE2ELNS1_3repE0EEENS1_30default_config_static_selectorELNS0_4arch9wavefront6targetE1EEEvT1_: ; @_ZN7rocprim17ROCPRIM_400000_NS6detail17trampoline_kernelINS0_14default_configENS1_20scan_config_selectorIxEEZZNS1_9scan_implILNS1_25lookback_scan_determinismE0ELb0ELb0ES3_N6thrust23THRUST_200600_302600_NS6detail15normal_iteratorINS9_10device_ptrIxEEEENS9_16discard_iteratorINS9_11use_defaultEEExNS9_4plusIvEExEEDaPvRmT3_T4_T5_mT6_P12ihipStream_tbENKUlT_T0_E_clISt17integral_constantIbLb0EESX_EEDaSS_ST_EUlSS_E_NS1_11comp_targetILNS1_3genE8ELNS1_11target_archE1030ELNS1_3gpuE2ELNS1_3repE0EEENS1_30default_config_static_selectorELNS0_4arch9wavefront6targetE1EEEvT1_
; %bb.0:
	.section	.rodata,"a",@progbits
	.p2align	6, 0x0
	.amdhsa_kernel _ZN7rocprim17ROCPRIM_400000_NS6detail17trampoline_kernelINS0_14default_configENS1_20scan_config_selectorIxEEZZNS1_9scan_implILNS1_25lookback_scan_determinismE0ELb0ELb0ES3_N6thrust23THRUST_200600_302600_NS6detail15normal_iteratorINS9_10device_ptrIxEEEENS9_16discard_iteratorINS9_11use_defaultEEExNS9_4plusIvEExEEDaPvRmT3_T4_T5_mT6_P12ihipStream_tbENKUlT_T0_E_clISt17integral_constantIbLb0EESX_EEDaSS_ST_EUlSS_E_NS1_11comp_targetILNS1_3genE8ELNS1_11target_archE1030ELNS1_3gpuE2ELNS1_3repE0EEENS1_30default_config_static_selectorELNS0_4arch9wavefront6targetE1EEEvT1_
		.amdhsa_group_segment_fixed_size 0
		.amdhsa_private_segment_fixed_size 0
		.amdhsa_kernarg_size 112
		.amdhsa_user_sgpr_count 6
		.amdhsa_user_sgpr_private_segment_buffer 1
		.amdhsa_user_sgpr_dispatch_ptr 0
		.amdhsa_user_sgpr_queue_ptr 0
		.amdhsa_user_sgpr_kernarg_segment_ptr 1
		.amdhsa_user_sgpr_dispatch_id 0
		.amdhsa_user_sgpr_flat_scratch_init 0
		.amdhsa_user_sgpr_kernarg_preload_length 0
		.amdhsa_user_sgpr_kernarg_preload_offset 0
		.amdhsa_user_sgpr_private_segment_size 0
		.amdhsa_uses_dynamic_stack 0
		.amdhsa_system_sgpr_private_segment_wavefront_offset 0
		.amdhsa_system_sgpr_workgroup_id_x 1
		.amdhsa_system_sgpr_workgroup_id_y 0
		.amdhsa_system_sgpr_workgroup_id_z 0
		.amdhsa_system_sgpr_workgroup_info 0
		.amdhsa_system_vgpr_workitem_id 0
		.amdhsa_next_free_vgpr 1
		.amdhsa_next_free_sgpr 0
		.amdhsa_accum_offset 4
		.amdhsa_reserve_vcc 0
		.amdhsa_reserve_flat_scratch 0
		.amdhsa_float_round_mode_32 0
		.amdhsa_float_round_mode_16_64 0
		.amdhsa_float_denorm_mode_32 3
		.amdhsa_float_denorm_mode_16_64 3
		.amdhsa_dx10_clamp 1
		.amdhsa_ieee_mode 1
		.amdhsa_fp16_overflow 0
		.amdhsa_tg_split 0
		.amdhsa_exception_fp_ieee_invalid_op 0
		.amdhsa_exception_fp_denorm_src 0
		.amdhsa_exception_fp_ieee_div_zero 0
		.amdhsa_exception_fp_ieee_overflow 0
		.amdhsa_exception_fp_ieee_underflow 0
		.amdhsa_exception_fp_ieee_inexact 0
		.amdhsa_exception_int_div_zero 0
	.end_amdhsa_kernel
	.section	.text._ZN7rocprim17ROCPRIM_400000_NS6detail17trampoline_kernelINS0_14default_configENS1_20scan_config_selectorIxEEZZNS1_9scan_implILNS1_25lookback_scan_determinismE0ELb0ELb0ES3_N6thrust23THRUST_200600_302600_NS6detail15normal_iteratorINS9_10device_ptrIxEEEENS9_16discard_iteratorINS9_11use_defaultEEExNS9_4plusIvEExEEDaPvRmT3_T4_T5_mT6_P12ihipStream_tbENKUlT_T0_E_clISt17integral_constantIbLb0EESX_EEDaSS_ST_EUlSS_E_NS1_11comp_targetILNS1_3genE8ELNS1_11target_archE1030ELNS1_3gpuE2ELNS1_3repE0EEENS1_30default_config_static_selectorELNS0_4arch9wavefront6targetE1EEEvT1_,"axG",@progbits,_ZN7rocprim17ROCPRIM_400000_NS6detail17trampoline_kernelINS0_14default_configENS1_20scan_config_selectorIxEEZZNS1_9scan_implILNS1_25lookback_scan_determinismE0ELb0ELb0ES3_N6thrust23THRUST_200600_302600_NS6detail15normal_iteratorINS9_10device_ptrIxEEEENS9_16discard_iteratorINS9_11use_defaultEEExNS9_4plusIvEExEEDaPvRmT3_T4_T5_mT6_P12ihipStream_tbENKUlT_T0_E_clISt17integral_constantIbLb0EESX_EEDaSS_ST_EUlSS_E_NS1_11comp_targetILNS1_3genE8ELNS1_11target_archE1030ELNS1_3gpuE2ELNS1_3repE0EEENS1_30default_config_static_selectorELNS0_4arch9wavefront6targetE1EEEvT1_,comdat
.Lfunc_end5590:
	.size	_ZN7rocprim17ROCPRIM_400000_NS6detail17trampoline_kernelINS0_14default_configENS1_20scan_config_selectorIxEEZZNS1_9scan_implILNS1_25lookback_scan_determinismE0ELb0ELb0ES3_N6thrust23THRUST_200600_302600_NS6detail15normal_iteratorINS9_10device_ptrIxEEEENS9_16discard_iteratorINS9_11use_defaultEEExNS9_4plusIvEExEEDaPvRmT3_T4_T5_mT6_P12ihipStream_tbENKUlT_T0_E_clISt17integral_constantIbLb0EESX_EEDaSS_ST_EUlSS_E_NS1_11comp_targetILNS1_3genE8ELNS1_11target_archE1030ELNS1_3gpuE2ELNS1_3repE0EEENS1_30default_config_static_selectorELNS0_4arch9wavefront6targetE1EEEvT1_, .Lfunc_end5590-_ZN7rocprim17ROCPRIM_400000_NS6detail17trampoline_kernelINS0_14default_configENS1_20scan_config_selectorIxEEZZNS1_9scan_implILNS1_25lookback_scan_determinismE0ELb0ELb0ES3_N6thrust23THRUST_200600_302600_NS6detail15normal_iteratorINS9_10device_ptrIxEEEENS9_16discard_iteratorINS9_11use_defaultEEExNS9_4plusIvEExEEDaPvRmT3_T4_T5_mT6_P12ihipStream_tbENKUlT_T0_E_clISt17integral_constantIbLb0EESX_EEDaSS_ST_EUlSS_E_NS1_11comp_targetILNS1_3genE8ELNS1_11target_archE1030ELNS1_3gpuE2ELNS1_3repE0EEENS1_30default_config_static_selectorELNS0_4arch9wavefront6targetE1EEEvT1_
                                        ; -- End function
	.section	.AMDGPU.csdata,"",@progbits
; Kernel info:
; codeLenInByte = 0
; NumSgprs: 4
; NumVgprs: 0
; NumAgprs: 0
; TotalNumVgprs: 0
; ScratchSize: 0
; MemoryBound: 0
; FloatMode: 240
; IeeeMode: 1
; LDSByteSize: 0 bytes/workgroup (compile time only)
; SGPRBlocks: 0
; VGPRBlocks: 0
; NumSGPRsForWavesPerEU: 4
; NumVGPRsForWavesPerEU: 1
; AccumOffset: 4
; Occupancy: 8
; WaveLimiterHint : 0
; COMPUTE_PGM_RSRC2:SCRATCH_EN: 0
; COMPUTE_PGM_RSRC2:USER_SGPR: 6
; COMPUTE_PGM_RSRC2:TRAP_HANDLER: 0
; COMPUTE_PGM_RSRC2:TGID_X_EN: 1
; COMPUTE_PGM_RSRC2:TGID_Y_EN: 0
; COMPUTE_PGM_RSRC2:TGID_Z_EN: 0
; COMPUTE_PGM_RSRC2:TIDIG_COMP_CNT: 0
; COMPUTE_PGM_RSRC3_GFX90A:ACCUM_OFFSET: 0
; COMPUTE_PGM_RSRC3_GFX90A:TG_SPLIT: 0
	.section	.text._ZN7rocprim17ROCPRIM_400000_NS6detail17trampoline_kernelINS0_14default_configENS1_20scan_config_selectorIxEEZZNS1_9scan_implILNS1_25lookback_scan_determinismE0ELb0ELb0ES3_N6thrust23THRUST_200600_302600_NS6detail15normal_iteratorINS9_10device_ptrIxEEEENS9_16discard_iteratorINS9_11use_defaultEEExNS9_4plusIvEExEEDaPvRmT3_T4_T5_mT6_P12ihipStream_tbENKUlT_T0_E_clISt17integral_constantIbLb0EESX_EEDaSS_ST_EUlSS_E0_NS1_11comp_targetILNS1_3genE0ELNS1_11target_archE4294967295ELNS1_3gpuE0ELNS1_3repE0EEENS1_30default_config_static_selectorELNS0_4arch9wavefront6targetE1EEEvT1_,"axG",@progbits,_ZN7rocprim17ROCPRIM_400000_NS6detail17trampoline_kernelINS0_14default_configENS1_20scan_config_selectorIxEEZZNS1_9scan_implILNS1_25lookback_scan_determinismE0ELb0ELb0ES3_N6thrust23THRUST_200600_302600_NS6detail15normal_iteratorINS9_10device_ptrIxEEEENS9_16discard_iteratorINS9_11use_defaultEEExNS9_4plusIvEExEEDaPvRmT3_T4_T5_mT6_P12ihipStream_tbENKUlT_T0_E_clISt17integral_constantIbLb0EESX_EEDaSS_ST_EUlSS_E0_NS1_11comp_targetILNS1_3genE0ELNS1_11target_archE4294967295ELNS1_3gpuE0ELNS1_3repE0EEENS1_30default_config_static_selectorELNS0_4arch9wavefront6targetE1EEEvT1_,comdat
	.protected	_ZN7rocprim17ROCPRIM_400000_NS6detail17trampoline_kernelINS0_14default_configENS1_20scan_config_selectorIxEEZZNS1_9scan_implILNS1_25lookback_scan_determinismE0ELb0ELb0ES3_N6thrust23THRUST_200600_302600_NS6detail15normal_iteratorINS9_10device_ptrIxEEEENS9_16discard_iteratorINS9_11use_defaultEEExNS9_4plusIvEExEEDaPvRmT3_T4_T5_mT6_P12ihipStream_tbENKUlT_T0_E_clISt17integral_constantIbLb0EESX_EEDaSS_ST_EUlSS_E0_NS1_11comp_targetILNS1_3genE0ELNS1_11target_archE4294967295ELNS1_3gpuE0ELNS1_3repE0EEENS1_30default_config_static_selectorELNS0_4arch9wavefront6targetE1EEEvT1_ ; -- Begin function _ZN7rocprim17ROCPRIM_400000_NS6detail17trampoline_kernelINS0_14default_configENS1_20scan_config_selectorIxEEZZNS1_9scan_implILNS1_25lookback_scan_determinismE0ELb0ELb0ES3_N6thrust23THRUST_200600_302600_NS6detail15normal_iteratorINS9_10device_ptrIxEEEENS9_16discard_iteratorINS9_11use_defaultEEExNS9_4plusIvEExEEDaPvRmT3_T4_T5_mT6_P12ihipStream_tbENKUlT_T0_E_clISt17integral_constantIbLb0EESX_EEDaSS_ST_EUlSS_E0_NS1_11comp_targetILNS1_3genE0ELNS1_11target_archE4294967295ELNS1_3gpuE0ELNS1_3repE0EEENS1_30default_config_static_selectorELNS0_4arch9wavefront6targetE1EEEvT1_
	.globl	_ZN7rocprim17ROCPRIM_400000_NS6detail17trampoline_kernelINS0_14default_configENS1_20scan_config_selectorIxEEZZNS1_9scan_implILNS1_25lookback_scan_determinismE0ELb0ELb0ES3_N6thrust23THRUST_200600_302600_NS6detail15normal_iteratorINS9_10device_ptrIxEEEENS9_16discard_iteratorINS9_11use_defaultEEExNS9_4plusIvEExEEDaPvRmT3_T4_T5_mT6_P12ihipStream_tbENKUlT_T0_E_clISt17integral_constantIbLb0EESX_EEDaSS_ST_EUlSS_E0_NS1_11comp_targetILNS1_3genE0ELNS1_11target_archE4294967295ELNS1_3gpuE0ELNS1_3repE0EEENS1_30default_config_static_selectorELNS0_4arch9wavefront6targetE1EEEvT1_
	.p2align	8
	.type	_ZN7rocprim17ROCPRIM_400000_NS6detail17trampoline_kernelINS0_14default_configENS1_20scan_config_selectorIxEEZZNS1_9scan_implILNS1_25lookback_scan_determinismE0ELb0ELb0ES3_N6thrust23THRUST_200600_302600_NS6detail15normal_iteratorINS9_10device_ptrIxEEEENS9_16discard_iteratorINS9_11use_defaultEEExNS9_4plusIvEExEEDaPvRmT3_T4_T5_mT6_P12ihipStream_tbENKUlT_T0_E_clISt17integral_constantIbLb0EESX_EEDaSS_ST_EUlSS_E0_NS1_11comp_targetILNS1_3genE0ELNS1_11target_archE4294967295ELNS1_3gpuE0ELNS1_3repE0EEENS1_30default_config_static_selectorELNS0_4arch9wavefront6targetE1EEEvT1_,@function
_ZN7rocprim17ROCPRIM_400000_NS6detail17trampoline_kernelINS0_14default_configENS1_20scan_config_selectorIxEEZZNS1_9scan_implILNS1_25lookback_scan_determinismE0ELb0ELb0ES3_N6thrust23THRUST_200600_302600_NS6detail15normal_iteratorINS9_10device_ptrIxEEEENS9_16discard_iteratorINS9_11use_defaultEEExNS9_4plusIvEExEEDaPvRmT3_T4_T5_mT6_P12ihipStream_tbENKUlT_T0_E_clISt17integral_constantIbLb0EESX_EEDaSS_ST_EUlSS_E0_NS1_11comp_targetILNS1_3genE0ELNS1_11target_archE4294967295ELNS1_3gpuE0ELNS1_3repE0EEENS1_30default_config_static_selectorELNS0_4arch9wavefront6targetE1EEEvT1_: ; @_ZN7rocprim17ROCPRIM_400000_NS6detail17trampoline_kernelINS0_14default_configENS1_20scan_config_selectorIxEEZZNS1_9scan_implILNS1_25lookback_scan_determinismE0ELb0ELb0ES3_N6thrust23THRUST_200600_302600_NS6detail15normal_iteratorINS9_10device_ptrIxEEEENS9_16discard_iteratorINS9_11use_defaultEEExNS9_4plusIvEExEEDaPvRmT3_T4_T5_mT6_P12ihipStream_tbENKUlT_T0_E_clISt17integral_constantIbLb0EESX_EEDaSS_ST_EUlSS_E0_NS1_11comp_targetILNS1_3genE0ELNS1_11target_archE4294967295ELNS1_3gpuE0ELNS1_3repE0EEENS1_30default_config_static_selectorELNS0_4arch9wavefront6targetE1EEEvT1_
; %bb.0:
	.section	.rodata,"a",@progbits
	.p2align	6, 0x0
	.amdhsa_kernel _ZN7rocprim17ROCPRIM_400000_NS6detail17trampoline_kernelINS0_14default_configENS1_20scan_config_selectorIxEEZZNS1_9scan_implILNS1_25lookback_scan_determinismE0ELb0ELb0ES3_N6thrust23THRUST_200600_302600_NS6detail15normal_iteratorINS9_10device_ptrIxEEEENS9_16discard_iteratorINS9_11use_defaultEEExNS9_4plusIvEExEEDaPvRmT3_T4_T5_mT6_P12ihipStream_tbENKUlT_T0_E_clISt17integral_constantIbLb0EESX_EEDaSS_ST_EUlSS_E0_NS1_11comp_targetILNS1_3genE0ELNS1_11target_archE4294967295ELNS1_3gpuE0ELNS1_3repE0EEENS1_30default_config_static_selectorELNS0_4arch9wavefront6targetE1EEEvT1_
		.amdhsa_group_segment_fixed_size 0
		.amdhsa_private_segment_fixed_size 0
		.amdhsa_kernarg_size 48
		.amdhsa_user_sgpr_count 6
		.amdhsa_user_sgpr_private_segment_buffer 1
		.amdhsa_user_sgpr_dispatch_ptr 0
		.amdhsa_user_sgpr_queue_ptr 0
		.amdhsa_user_sgpr_kernarg_segment_ptr 1
		.amdhsa_user_sgpr_dispatch_id 0
		.amdhsa_user_sgpr_flat_scratch_init 0
		.amdhsa_user_sgpr_kernarg_preload_length 0
		.amdhsa_user_sgpr_kernarg_preload_offset 0
		.amdhsa_user_sgpr_private_segment_size 0
		.amdhsa_uses_dynamic_stack 0
		.amdhsa_system_sgpr_private_segment_wavefront_offset 0
		.amdhsa_system_sgpr_workgroup_id_x 1
		.amdhsa_system_sgpr_workgroup_id_y 0
		.amdhsa_system_sgpr_workgroup_id_z 0
		.amdhsa_system_sgpr_workgroup_info 0
		.amdhsa_system_vgpr_workitem_id 0
		.amdhsa_next_free_vgpr 1
		.amdhsa_next_free_sgpr 0
		.amdhsa_accum_offset 4
		.amdhsa_reserve_vcc 0
		.amdhsa_reserve_flat_scratch 0
		.amdhsa_float_round_mode_32 0
		.amdhsa_float_round_mode_16_64 0
		.amdhsa_float_denorm_mode_32 3
		.amdhsa_float_denorm_mode_16_64 3
		.amdhsa_dx10_clamp 1
		.amdhsa_ieee_mode 1
		.amdhsa_fp16_overflow 0
		.amdhsa_tg_split 0
		.amdhsa_exception_fp_ieee_invalid_op 0
		.amdhsa_exception_fp_denorm_src 0
		.amdhsa_exception_fp_ieee_div_zero 0
		.amdhsa_exception_fp_ieee_overflow 0
		.amdhsa_exception_fp_ieee_underflow 0
		.amdhsa_exception_fp_ieee_inexact 0
		.amdhsa_exception_int_div_zero 0
	.end_amdhsa_kernel
	.section	.text._ZN7rocprim17ROCPRIM_400000_NS6detail17trampoline_kernelINS0_14default_configENS1_20scan_config_selectorIxEEZZNS1_9scan_implILNS1_25lookback_scan_determinismE0ELb0ELb0ES3_N6thrust23THRUST_200600_302600_NS6detail15normal_iteratorINS9_10device_ptrIxEEEENS9_16discard_iteratorINS9_11use_defaultEEExNS9_4plusIvEExEEDaPvRmT3_T4_T5_mT6_P12ihipStream_tbENKUlT_T0_E_clISt17integral_constantIbLb0EESX_EEDaSS_ST_EUlSS_E0_NS1_11comp_targetILNS1_3genE0ELNS1_11target_archE4294967295ELNS1_3gpuE0ELNS1_3repE0EEENS1_30default_config_static_selectorELNS0_4arch9wavefront6targetE1EEEvT1_,"axG",@progbits,_ZN7rocprim17ROCPRIM_400000_NS6detail17trampoline_kernelINS0_14default_configENS1_20scan_config_selectorIxEEZZNS1_9scan_implILNS1_25lookback_scan_determinismE0ELb0ELb0ES3_N6thrust23THRUST_200600_302600_NS6detail15normal_iteratorINS9_10device_ptrIxEEEENS9_16discard_iteratorINS9_11use_defaultEEExNS9_4plusIvEExEEDaPvRmT3_T4_T5_mT6_P12ihipStream_tbENKUlT_T0_E_clISt17integral_constantIbLb0EESX_EEDaSS_ST_EUlSS_E0_NS1_11comp_targetILNS1_3genE0ELNS1_11target_archE4294967295ELNS1_3gpuE0ELNS1_3repE0EEENS1_30default_config_static_selectorELNS0_4arch9wavefront6targetE1EEEvT1_,comdat
.Lfunc_end5591:
	.size	_ZN7rocprim17ROCPRIM_400000_NS6detail17trampoline_kernelINS0_14default_configENS1_20scan_config_selectorIxEEZZNS1_9scan_implILNS1_25lookback_scan_determinismE0ELb0ELb0ES3_N6thrust23THRUST_200600_302600_NS6detail15normal_iteratorINS9_10device_ptrIxEEEENS9_16discard_iteratorINS9_11use_defaultEEExNS9_4plusIvEExEEDaPvRmT3_T4_T5_mT6_P12ihipStream_tbENKUlT_T0_E_clISt17integral_constantIbLb0EESX_EEDaSS_ST_EUlSS_E0_NS1_11comp_targetILNS1_3genE0ELNS1_11target_archE4294967295ELNS1_3gpuE0ELNS1_3repE0EEENS1_30default_config_static_selectorELNS0_4arch9wavefront6targetE1EEEvT1_, .Lfunc_end5591-_ZN7rocprim17ROCPRIM_400000_NS6detail17trampoline_kernelINS0_14default_configENS1_20scan_config_selectorIxEEZZNS1_9scan_implILNS1_25lookback_scan_determinismE0ELb0ELb0ES3_N6thrust23THRUST_200600_302600_NS6detail15normal_iteratorINS9_10device_ptrIxEEEENS9_16discard_iteratorINS9_11use_defaultEEExNS9_4plusIvEExEEDaPvRmT3_T4_T5_mT6_P12ihipStream_tbENKUlT_T0_E_clISt17integral_constantIbLb0EESX_EEDaSS_ST_EUlSS_E0_NS1_11comp_targetILNS1_3genE0ELNS1_11target_archE4294967295ELNS1_3gpuE0ELNS1_3repE0EEENS1_30default_config_static_selectorELNS0_4arch9wavefront6targetE1EEEvT1_
                                        ; -- End function
	.section	.AMDGPU.csdata,"",@progbits
; Kernel info:
; codeLenInByte = 0
; NumSgprs: 4
; NumVgprs: 0
; NumAgprs: 0
; TotalNumVgprs: 0
; ScratchSize: 0
; MemoryBound: 0
; FloatMode: 240
; IeeeMode: 1
; LDSByteSize: 0 bytes/workgroup (compile time only)
; SGPRBlocks: 0
; VGPRBlocks: 0
; NumSGPRsForWavesPerEU: 4
; NumVGPRsForWavesPerEU: 1
; AccumOffset: 4
; Occupancy: 8
; WaveLimiterHint : 0
; COMPUTE_PGM_RSRC2:SCRATCH_EN: 0
; COMPUTE_PGM_RSRC2:USER_SGPR: 6
; COMPUTE_PGM_RSRC2:TRAP_HANDLER: 0
; COMPUTE_PGM_RSRC2:TGID_X_EN: 1
; COMPUTE_PGM_RSRC2:TGID_Y_EN: 0
; COMPUTE_PGM_RSRC2:TGID_Z_EN: 0
; COMPUTE_PGM_RSRC2:TIDIG_COMP_CNT: 0
; COMPUTE_PGM_RSRC3_GFX90A:ACCUM_OFFSET: 0
; COMPUTE_PGM_RSRC3_GFX90A:TG_SPLIT: 0
	.section	.text._ZN7rocprim17ROCPRIM_400000_NS6detail17trampoline_kernelINS0_14default_configENS1_20scan_config_selectorIxEEZZNS1_9scan_implILNS1_25lookback_scan_determinismE0ELb0ELb0ES3_N6thrust23THRUST_200600_302600_NS6detail15normal_iteratorINS9_10device_ptrIxEEEENS9_16discard_iteratorINS9_11use_defaultEEExNS9_4plusIvEExEEDaPvRmT3_T4_T5_mT6_P12ihipStream_tbENKUlT_T0_E_clISt17integral_constantIbLb0EESX_EEDaSS_ST_EUlSS_E0_NS1_11comp_targetILNS1_3genE5ELNS1_11target_archE942ELNS1_3gpuE9ELNS1_3repE0EEENS1_30default_config_static_selectorELNS0_4arch9wavefront6targetE1EEEvT1_,"axG",@progbits,_ZN7rocprim17ROCPRIM_400000_NS6detail17trampoline_kernelINS0_14default_configENS1_20scan_config_selectorIxEEZZNS1_9scan_implILNS1_25lookback_scan_determinismE0ELb0ELb0ES3_N6thrust23THRUST_200600_302600_NS6detail15normal_iteratorINS9_10device_ptrIxEEEENS9_16discard_iteratorINS9_11use_defaultEEExNS9_4plusIvEExEEDaPvRmT3_T4_T5_mT6_P12ihipStream_tbENKUlT_T0_E_clISt17integral_constantIbLb0EESX_EEDaSS_ST_EUlSS_E0_NS1_11comp_targetILNS1_3genE5ELNS1_11target_archE942ELNS1_3gpuE9ELNS1_3repE0EEENS1_30default_config_static_selectorELNS0_4arch9wavefront6targetE1EEEvT1_,comdat
	.protected	_ZN7rocprim17ROCPRIM_400000_NS6detail17trampoline_kernelINS0_14default_configENS1_20scan_config_selectorIxEEZZNS1_9scan_implILNS1_25lookback_scan_determinismE0ELb0ELb0ES3_N6thrust23THRUST_200600_302600_NS6detail15normal_iteratorINS9_10device_ptrIxEEEENS9_16discard_iteratorINS9_11use_defaultEEExNS9_4plusIvEExEEDaPvRmT3_T4_T5_mT6_P12ihipStream_tbENKUlT_T0_E_clISt17integral_constantIbLb0EESX_EEDaSS_ST_EUlSS_E0_NS1_11comp_targetILNS1_3genE5ELNS1_11target_archE942ELNS1_3gpuE9ELNS1_3repE0EEENS1_30default_config_static_selectorELNS0_4arch9wavefront6targetE1EEEvT1_ ; -- Begin function _ZN7rocprim17ROCPRIM_400000_NS6detail17trampoline_kernelINS0_14default_configENS1_20scan_config_selectorIxEEZZNS1_9scan_implILNS1_25lookback_scan_determinismE0ELb0ELb0ES3_N6thrust23THRUST_200600_302600_NS6detail15normal_iteratorINS9_10device_ptrIxEEEENS9_16discard_iteratorINS9_11use_defaultEEExNS9_4plusIvEExEEDaPvRmT3_T4_T5_mT6_P12ihipStream_tbENKUlT_T0_E_clISt17integral_constantIbLb0EESX_EEDaSS_ST_EUlSS_E0_NS1_11comp_targetILNS1_3genE5ELNS1_11target_archE942ELNS1_3gpuE9ELNS1_3repE0EEENS1_30default_config_static_selectorELNS0_4arch9wavefront6targetE1EEEvT1_
	.globl	_ZN7rocprim17ROCPRIM_400000_NS6detail17trampoline_kernelINS0_14default_configENS1_20scan_config_selectorIxEEZZNS1_9scan_implILNS1_25lookback_scan_determinismE0ELb0ELb0ES3_N6thrust23THRUST_200600_302600_NS6detail15normal_iteratorINS9_10device_ptrIxEEEENS9_16discard_iteratorINS9_11use_defaultEEExNS9_4plusIvEExEEDaPvRmT3_T4_T5_mT6_P12ihipStream_tbENKUlT_T0_E_clISt17integral_constantIbLb0EESX_EEDaSS_ST_EUlSS_E0_NS1_11comp_targetILNS1_3genE5ELNS1_11target_archE942ELNS1_3gpuE9ELNS1_3repE0EEENS1_30default_config_static_selectorELNS0_4arch9wavefront6targetE1EEEvT1_
	.p2align	8
	.type	_ZN7rocprim17ROCPRIM_400000_NS6detail17trampoline_kernelINS0_14default_configENS1_20scan_config_selectorIxEEZZNS1_9scan_implILNS1_25lookback_scan_determinismE0ELb0ELb0ES3_N6thrust23THRUST_200600_302600_NS6detail15normal_iteratorINS9_10device_ptrIxEEEENS9_16discard_iteratorINS9_11use_defaultEEExNS9_4plusIvEExEEDaPvRmT3_T4_T5_mT6_P12ihipStream_tbENKUlT_T0_E_clISt17integral_constantIbLb0EESX_EEDaSS_ST_EUlSS_E0_NS1_11comp_targetILNS1_3genE5ELNS1_11target_archE942ELNS1_3gpuE9ELNS1_3repE0EEENS1_30default_config_static_selectorELNS0_4arch9wavefront6targetE1EEEvT1_,@function
_ZN7rocprim17ROCPRIM_400000_NS6detail17trampoline_kernelINS0_14default_configENS1_20scan_config_selectorIxEEZZNS1_9scan_implILNS1_25lookback_scan_determinismE0ELb0ELb0ES3_N6thrust23THRUST_200600_302600_NS6detail15normal_iteratorINS9_10device_ptrIxEEEENS9_16discard_iteratorINS9_11use_defaultEEExNS9_4plusIvEExEEDaPvRmT3_T4_T5_mT6_P12ihipStream_tbENKUlT_T0_E_clISt17integral_constantIbLb0EESX_EEDaSS_ST_EUlSS_E0_NS1_11comp_targetILNS1_3genE5ELNS1_11target_archE942ELNS1_3gpuE9ELNS1_3repE0EEENS1_30default_config_static_selectorELNS0_4arch9wavefront6targetE1EEEvT1_: ; @_ZN7rocprim17ROCPRIM_400000_NS6detail17trampoline_kernelINS0_14default_configENS1_20scan_config_selectorIxEEZZNS1_9scan_implILNS1_25lookback_scan_determinismE0ELb0ELb0ES3_N6thrust23THRUST_200600_302600_NS6detail15normal_iteratorINS9_10device_ptrIxEEEENS9_16discard_iteratorINS9_11use_defaultEEExNS9_4plusIvEExEEDaPvRmT3_T4_T5_mT6_P12ihipStream_tbENKUlT_T0_E_clISt17integral_constantIbLb0EESX_EEDaSS_ST_EUlSS_E0_NS1_11comp_targetILNS1_3genE5ELNS1_11target_archE942ELNS1_3gpuE9ELNS1_3repE0EEENS1_30default_config_static_selectorELNS0_4arch9wavefront6targetE1EEEvT1_
; %bb.0:
	.section	.rodata,"a",@progbits
	.p2align	6, 0x0
	.amdhsa_kernel _ZN7rocprim17ROCPRIM_400000_NS6detail17trampoline_kernelINS0_14default_configENS1_20scan_config_selectorIxEEZZNS1_9scan_implILNS1_25lookback_scan_determinismE0ELb0ELb0ES3_N6thrust23THRUST_200600_302600_NS6detail15normal_iteratorINS9_10device_ptrIxEEEENS9_16discard_iteratorINS9_11use_defaultEEExNS9_4plusIvEExEEDaPvRmT3_T4_T5_mT6_P12ihipStream_tbENKUlT_T0_E_clISt17integral_constantIbLb0EESX_EEDaSS_ST_EUlSS_E0_NS1_11comp_targetILNS1_3genE5ELNS1_11target_archE942ELNS1_3gpuE9ELNS1_3repE0EEENS1_30default_config_static_selectorELNS0_4arch9wavefront6targetE1EEEvT1_
		.amdhsa_group_segment_fixed_size 0
		.amdhsa_private_segment_fixed_size 0
		.amdhsa_kernarg_size 48
		.amdhsa_user_sgpr_count 6
		.amdhsa_user_sgpr_private_segment_buffer 1
		.amdhsa_user_sgpr_dispatch_ptr 0
		.amdhsa_user_sgpr_queue_ptr 0
		.amdhsa_user_sgpr_kernarg_segment_ptr 1
		.amdhsa_user_sgpr_dispatch_id 0
		.amdhsa_user_sgpr_flat_scratch_init 0
		.amdhsa_user_sgpr_kernarg_preload_length 0
		.amdhsa_user_sgpr_kernarg_preload_offset 0
		.amdhsa_user_sgpr_private_segment_size 0
		.amdhsa_uses_dynamic_stack 0
		.amdhsa_system_sgpr_private_segment_wavefront_offset 0
		.amdhsa_system_sgpr_workgroup_id_x 1
		.amdhsa_system_sgpr_workgroup_id_y 0
		.amdhsa_system_sgpr_workgroup_id_z 0
		.amdhsa_system_sgpr_workgroup_info 0
		.amdhsa_system_vgpr_workitem_id 0
		.amdhsa_next_free_vgpr 1
		.amdhsa_next_free_sgpr 0
		.amdhsa_accum_offset 4
		.amdhsa_reserve_vcc 0
		.amdhsa_reserve_flat_scratch 0
		.amdhsa_float_round_mode_32 0
		.amdhsa_float_round_mode_16_64 0
		.amdhsa_float_denorm_mode_32 3
		.amdhsa_float_denorm_mode_16_64 3
		.amdhsa_dx10_clamp 1
		.amdhsa_ieee_mode 1
		.amdhsa_fp16_overflow 0
		.amdhsa_tg_split 0
		.amdhsa_exception_fp_ieee_invalid_op 0
		.amdhsa_exception_fp_denorm_src 0
		.amdhsa_exception_fp_ieee_div_zero 0
		.amdhsa_exception_fp_ieee_overflow 0
		.amdhsa_exception_fp_ieee_underflow 0
		.amdhsa_exception_fp_ieee_inexact 0
		.amdhsa_exception_int_div_zero 0
	.end_amdhsa_kernel
	.section	.text._ZN7rocprim17ROCPRIM_400000_NS6detail17trampoline_kernelINS0_14default_configENS1_20scan_config_selectorIxEEZZNS1_9scan_implILNS1_25lookback_scan_determinismE0ELb0ELb0ES3_N6thrust23THRUST_200600_302600_NS6detail15normal_iteratorINS9_10device_ptrIxEEEENS9_16discard_iteratorINS9_11use_defaultEEExNS9_4plusIvEExEEDaPvRmT3_T4_T5_mT6_P12ihipStream_tbENKUlT_T0_E_clISt17integral_constantIbLb0EESX_EEDaSS_ST_EUlSS_E0_NS1_11comp_targetILNS1_3genE5ELNS1_11target_archE942ELNS1_3gpuE9ELNS1_3repE0EEENS1_30default_config_static_selectorELNS0_4arch9wavefront6targetE1EEEvT1_,"axG",@progbits,_ZN7rocprim17ROCPRIM_400000_NS6detail17trampoline_kernelINS0_14default_configENS1_20scan_config_selectorIxEEZZNS1_9scan_implILNS1_25lookback_scan_determinismE0ELb0ELb0ES3_N6thrust23THRUST_200600_302600_NS6detail15normal_iteratorINS9_10device_ptrIxEEEENS9_16discard_iteratorINS9_11use_defaultEEExNS9_4plusIvEExEEDaPvRmT3_T4_T5_mT6_P12ihipStream_tbENKUlT_T0_E_clISt17integral_constantIbLb0EESX_EEDaSS_ST_EUlSS_E0_NS1_11comp_targetILNS1_3genE5ELNS1_11target_archE942ELNS1_3gpuE9ELNS1_3repE0EEENS1_30default_config_static_selectorELNS0_4arch9wavefront6targetE1EEEvT1_,comdat
.Lfunc_end5592:
	.size	_ZN7rocprim17ROCPRIM_400000_NS6detail17trampoline_kernelINS0_14default_configENS1_20scan_config_selectorIxEEZZNS1_9scan_implILNS1_25lookback_scan_determinismE0ELb0ELb0ES3_N6thrust23THRUST_200600_302600_NS6detail15normal_iteratorINS9_10device_ptrIxEEEENS9_16discard_iteratorINS9_11use_defaultEEExNS9_4plusIvEExEEDaPvRmT3_T4_T5_mT6_P12ihipStream_tbENKUlT_T0_E_clISt17integral_constantIbLb0EESX_EEDaSS_ST_EUlSS_E0_NS1_11comp_targetILNS1_3genE5ELNS1_11target_archE942ELNS1_3gpuE9ELNS1_3repE0EEENS1_30default_config_static_selectorELNS0_4arch9wavefront6targetE1EEEvT1_, .Lfunc_end5592-_ZN7rocprim17ROCPRIM_400000_NS6detail17trampoline_kernelINS0_14default_configENS1_20scan_config_selectorIxEEZZNS1_9scan_implILNS1_25lookback_scan_determinismE0ELb0ELb0ES3_N6thrust23THRUST_200600_302600_NS6detail15normal_iteratorINS9_10device_ptrIxEEEENS9_16discard_iteratorINS9_11use_defaultEEExNS9_4plusIvEExEEDaPvRmT3_T4_T5_mT6_P12ihipStream_tbENKUlT_T0_E_clISt17integral_constantIbLb0EESX_EEDaSS_ST_EUlSS_E0_NS1_11comp_targetILNS1_3genE5ELNS1_11target_archE942ELNS1_3gpuE9ELNS1_3repE0EEENS1_30default_config_static_selectorELNS0_4arch9wavefront6targetE1EEEvT1_
                                        ; -- End function
	.section	.AMDGPU.csdata,"",@progbits
; Kernel info:
; codeLenInByte = 0
; NumSgprs: 4
; NumVgprs: 0
; NumAgprs: 0
; TotalNumVgprs: 0
; ScratchSize: 0
; MemoryBound: 0
; FloatMode: 240
; IeeeMode: 1
; LDSByteSize: 0 bytes/workgroup (compile time only)
; SGPRBlocks: 0
; VGPRBlocks: 0
; NumSGPRsForWavesPerEU: 4
; NumVGPRsForWavesPerEU: 1
; AccumOffset: 4
; Occupancy: 8
; WaveLimiterHint : 0
; COMPUTE_PGM_RSRC2:SCRATCH_EN: 0
; COMPUTE_PGM_RSRC2:USER_SGPR: 6
; COMPUTE_PGM_RSRC2:TRAP_HANDLER: 0
; COMPUTE_PGM_RSRC2:TGID_X_EN: 1
; COMPUTE_PGM_RSRC2:TGID_Y_EN: 0
; COMPUTE_PGM_RSRC2:TGID_Z_EN: 0
; COMPUTE_PGM_RSRC2:TIDIG_COMP_CNT: 0
; COMPUTE_PGM_RSRC3_GFX90A:ACCUM_OFFSET: 0
; COMPUTE_PGM_RSRC3_GFX90A:TG_SPLIT: 0
	.section	.text._ZN7rocprim17ROCPRIM_400000_NS6detail17trampoline_kernelINS0_14default_configENS1_20scan_config_selectorIxEEZZNS1_9scan_implILNS1_25lookback_scan_determinismE0ELb0ELb0ES3_N6thrust23THRUST_200600_302600_NS6detail15normal_iteratorINS9_10device_ptrIxEEEENS9_16discard_iteratorINS9_11use_defaultEEExNS9_4plusIvEExEEDaPvRmT3_T4_T5_mT6_P12ihipStream_tbENKUlT_T0_E_clISt17integral_constantIbLb0EESX_EEDaSS_ST_EUlSS_E0_NS1_11comp_targetILNS1_3genE4ELNS1_11target_archE910ELNS1_3gpuE8ELNS1_3repE0EEENS1_30default_config_static_selectorELNS0_4arch9wavefront6targetE1EEEvT1_,"axG",@progbits,_ZN7rocprim17ROCPRIM_400000_NS6detail17trampoline_kernelINS0_14default_configENS1_20scan_config_selectorIxEEZZNS1_9scan_implILNS1_25lookback_scan_determinismE0ELb0ELb0ES3_N6thrust23THRUST_200600_302600_NS6detail15normal_iteratorINS9_10device_ptrIxEEEENS9_16discard_iteratorINS9_11use_defaultEEExNS9_4plusIvEExEEDaPvRmT3_T4_T5_mT6_P12ihipStream_tbENKUlT_T0_E_clISt17integral_constantIbLb0EESX_EEDaSS_ST_EUlSS_E0_NS1_11comp_targetILNS1_3genE4ELNS1_11target_archE910ELNS1_3gpuE8ELNS1_3repE0EEENS1_30default_config_static_selectorELNS0_4arch9wavefront6targetE1EEEvT1_,comdat
	.protected	_ZN7rocprim17ROCPRIM_400000_NS6detail17trampoline_kernelINS0_14default_configENS1_20scan_config_selectorIxEEZZNS1_9scan_implILNS1_25lookback_scan_determinismE0ELb0ELb0ES3_N6thrust23THRUST_200600_302600_NS6detail15normal_iteratorINS9_10device_ptrIxEEEENS9_16discard_iteratorINS9_11use_defaultEEExNS9_4plusIvEExEEDaPvRmT3_T4_T5_mT6_P12ihipStream_tbENKUlT_T0_E_clISt17integral_constantIbLb0EESX_EEDaSS_ST_EUlSS_E0_NS1_11comp_targetILNS1_3genE4ELNS1_11target_archE910ELNS1_3gpuE8ELNS1_3repE0EEENS1_30default_config_static_selectorELNS0_4arch9wavefront6targetE1EEEvT1_ ; -- Begin function _ZN7rocprim17ROCPRIM_400000_NS6detail17trampoline_kernelINS0_14default_configENS1_20scan_config_selectorIxEEZZNS1_9scan_implILNS1_25lookback_scan_determinismE0ELb0ELb0ES3_N6thrust23THRUST_200600_302600_NS6detail15normal_iteratorINS9_10device_ptrIxEEEENS9_16discard_iteratorINS9_11use_defaultEEExNS9_4plusIvEExEEDaPvRmT3_T4_T5_mT6_P12ihipStream_tbENKUlT_T0_E_clISt17integral_constantIbLb0EESX_EEDaSS_ST_EUlSS_E0_NS1_11comp_targetILNS1_3genE4ELNS1_11target_archE910ELNS1_3gpuE8ELNS1_3repE0EEENS1_30default_config_static_selectorELNS0_4arch9wavefront6targetE1EEEvT1_
	.globl	_ZN7rocprim17ROCPRIM_400000_NS6detail17trampoline_kernelINS0_14default_configENS1_20scan_config_selectorIxEEZZNS1_9scan_implILNS1_25lookback_scan_determinismE0ELb0ELb0ES3_N6thrust23THRUST_200600_302600_NS6detail15normal_iteratorINS9_10device_ptrIxEEEENS9_16discard_iteratorINS9_11use_defaultEEExNS9_4plusIvEExEEDaPvRmT3_T4_T5_mT6_P12ihipStream_tbENKUlT_T0_E_clISt17integral_constantIbLb0EESX_EEDaSS_ST_EUlSS_E0_NS1_11comp_targetILNS1_3genE4ELNS1_11target_archE910ELNS1_3gpuE8ELNS1_3repE0EEENS1_30default_config_static_selectorELNS0_4arch9wavefront6targetE1EEEvT1_
	.p2align	8
	.type	_ZN7rocprim17ROCPRIM_400000_NS6detail17trampoline_kernelINS0_14default_configENS1_20scan_config_selectorIxEEZZNS1_9scan_implILNS1_25lookback_scan_determinismE0ELb0ELb0ES3_N6thrust23THRUST_200600_302600_NS6detail15normal_iteratorINS9_10device_ptrIxEEEENS9_16discard_iteratorINS9_11use_defaultEEExNS9_4plusIvEExEEDaPvRmT3_T4_T5_mT6_P12ihipStream_tbENKUlT_T0_E_clISt17integral_constantIbLb0EESX_EEDaSS_ST_EUlSS_E0_NS1_11comp_targetILNS1_3genE4ELNS1_11target_archE910ELNS1_3gpuE8ELNS1_3repE0EEENS1_30default_config_static_selectorELNS0_4arch9wavefront6targetE1EEEvT1_,@function
_ZN7rocprim17ROCPRIM_400000_NS6detail17trampoline_kernelINS0_14default_configENS1_20scan_config_selectorIxEEZZNS1_9scan_implILNS1_25lookback_scan_determinismE0ELb0ELb0ES3_N6thrust23THRUST_200600_302600_NS6detail15normal_iteratorINS9_10device_ptrIxEEEENS9_16discard_iteratorINS9_11use_defaultEEExNS9_4plusIvEExEEDaPvRmT3_T4_T5_mT6_P12ihipStream_tbENKUlT_T0_E_clISt17integral_constantIbLb0EESX_EEDaSS_ST_EUlSS_E0_NS1_11comp_targetILNS1_3genE4ELNS1_11target_archE910ELNS1_3gpuE8ELNS1_3repE0EEENS1_30default_config_static_selectorELNS0_4arch9wavefront6targetE1EEEvT1_: ; @_ZN7rocprim17ROCPRIM_400000_NS6detail17trampoline_kernelINS0_14default_configENS1_20scan_config_selectorIxEEZZNS1_9scan_implILNS1_25lookback_scan_determinismE0ELb0ELb0ES3_N6thrust23THRUST_200600_302600_NS6detail15normal_iteratorINS9_10device_ptrIxEEEENS9_16discard_iteratorINS9_11use_defaultEEExNS9_4plusIvEExEEDaPvRmT3_T4_T5_mT6_P12ihipStream_tbENKUlT_T0_E_clISt17integral_constantIbLb0EESX_EEDaSS_ST_EUlSS_E0_NS1_11comp_targetILNS1_3genE4ELNS1_11target_archE910ELNS1_3gpuE8ELNS1_3repE0EEENS1_30default_config_static_selectorELNS0_4arch9wavefront6targetE1EEEvT1_
; %bb.0:
	s_load_dwordx4 s[0:3], s[4:5], 0x0
	v_lshlrev_b32_e32 v21, 3, v0
	s_waitcnt lgkmcnt(0)
	s_load_dwordx2 s[4:5], s[0:1], 0x0
	v_cmp_gt_u32_e32 vcc, s2, v0
	s_waitcnt lgkmcnt(0)
	v_pk_mov_b32 v[2:3], s[4:5], s[4:5] op_sel:[0,1]
	s_and_saveexec_b64 s[6:7], vcc
	s_cbranch_execz .LBB5593_2
; %bb.1:
	global_load_dwordx2 v[2:3], v21, s[0:1]
.LBB5593_2:
	s_or_b64 exec, exec, s[6:7]
	v_or_b32_e32 v1, 0x80, v0
	v_cmp_gt_u32_e32 vcc, s2, v1
	v_pk_mov_b32 v[4:5], s[4:5], s[4:5] op_sel:[0,1]
	s_and_saveexec_b64 s[6:7], vcc
	s_cbranch_execz .LBB5593_4
; %bb.3:
	global_load_dwordx2 v[4:5], v21, s[0:1] offset:1024
.LBB5593_4:
	s_or_b64 exec, exec, s[6:7]
	v_or_b32_e32 v1, 0x100, v0
	v_cmp_gt_u32_e32 vcc, s2, v1
	v_pk_mov_b32 v[6:7], s[4:5], s[4:5] op_sel:[0,1]
	s_and_saveexec_b64 s[6:7], vcc
	s_cbranch_execz .LBB5593_6
; %bb.5:
	global_load_dwordx2 v[6:7], v21, s[0:1] offset:2048
.LBB5593_6:
	;; [unrolled: 9-line block ×3, first 2 shown]
	s_or_b64 exec, exec, s[6:7]
	v_or_b32_e32 v1, 0x200, v0
	v_cmp_gt_u32_e32 vcc, s2, v1
	v_pk_mov_b32 v[10:11], s[4:5], s[4:5] op_sel:[0,1]
	s_and_saveexec_b64 s[6:7], vcc
	s_cbranch_execz .LBB5593_10
; %bb.9:
	v_lshlrev_b32_e32 v1, 3, v1
	global_load_dwordx2 v[10:11], v1, s[0:1]
.LBB5593_10:
	s_or_b64 exec, exec, s[6:7]
	v_or_b32_e32 v1, 0x280, v0
	v_cmp_gt_u32_e32 vcc, s2, v1
	v_pk_mov_b32 v[12:13], s[4:5], s[4:5] op_sel:[0,1]
	s_and_saveexec_b64 s[6:7], vcc
	s_cbranch_execz .LBB5593_12
; %bb.11:
	v_lshlrev_b32_e32 v1, 3, v1
	global_load_dwordx2 v[12:13], v1, s[0:1]
.LBB5593_12:
	;; [unrolled: 10-line block ×3, first 2 shown]
	s_or_b64 exec, exec, s[2:3]
	v_mad_u32_u24 v1, v0, 48, v21
	s_waitcnt vmcnt(0)
	ds_write2st64_b64 v21, v[2:3], v[4:5] offset1:2
	ds_write2st64_b64 v21, v[6:7], v[8:9] offset0:4 offset1:6
	ds_write2st64_b64 v21, v[10:11], v[12:13] offset0:8 offset1:10
	ds_write_b64 v21, v[14:15] offset:6144
	s_waitcnt lgkmcnt(0)
	s_barrier
	ds_read2_b64 v[2:5], v1 offset1:1
	ds_read2_b64 v[6:9], v1 offset0:2 offset1:3
	ds_read2_b64 v[10:13], v1 offset0:4 offset1:5
	ds_read_b64 v[28:29], v1 offset:48
	v_lshrrev_b32_e32 v14, 2, v0
	s_waitcnt lgkmcnt(3)
	v_add_co_u32_e32 v20, vcc, v4, v2
	v_addc_co_u32_e32 v1, vcc, v5, v3, vcc
	s_waitcnt lgkmcnt(2)
	v_add_co_u32_e32 v18, vcc, v20, v6
	v_addc_co_u32_e32 v19, vcc, v1, v7, vcc
	v_add_co_u32_e32 v24, vcc, v18, v8
	v_addc_co_u32_e32 v25, vcc, v19, v9, vcc
	s_waitcnt lgkmcnt(1)
	v_add_co_u32_e32 v22, vcc, v24, v10
	v_addc_co_u32_e32 v23, vcc, v25, v11, vcc
	;; [unrolled: 5-line block ×3, first 2 shown]
	v_and_b32_e32 v14, 24, v14
	v_add_u32_e32 v14, v21, v14
	v_cmp_gt_u32_e32 vcc, 64, v0
	s_barrier
	ds_write_b64 v14, v[30:31]
	s_waitcnt lgkmcnt(0)
	s_barrier
	s_and_saveexec_b64 s[2:3], vcc
	s_cbranch_execz .LBB5593_18
; %bb.15:
	v_lshlrev_b32_e32 v14, 1, v0
	v_lshrrev_b32_e32 v15, 4, v0
	v_add_lshl_u32 v32, v15, v14, 3
	ds_read2_b64 v[14:17], v32 offset1:1
	s_waitcnt lgkmcnt(0)
	v_add_co_u32_e32 v34, vcc, v16, v14
	v_addc_co_u32_e32 v35, vcc, v17, v15, vcc
	s_nop 0
	v_mov_b32_dpp v17, v34 row_shr:1 row_mask:0xf bank_mask:0xf
	v_add_co_u32_e32 v17, vcc, v34, v17
	v_mbcnt_lo_u32_b32 v16, -1, 0
	v_addc_co_u32_e32 v37, vcc, 0, v35, vcc
	v_mbcnt_hi_u32_b32 v33, -1, v16
	v_mov_b32_dpp v36, v35 row_shr:1 row_mask:0xf bank_mask:0xf
	v_add_co_u32_e32 v38, vcc, 0, v17
	v_and_b32_e32 v16, 15, v33
	v_addc_co_u32_e32 v36, vcc, v36, v37, vcc
	v_cmp_eq_u32_e32 vcc, 0, v16
	v_cndmask_b32_e32 v17, v17, v34, vcc
	v_cndmask_b32_e32 v36, v36, v35, vcc
	v_cndmask_b32_e32 v37, v38, v34, vcc
	v_mov_b32_dpp v38, v17 row_shr:2 row_mask:0xf bank_mask:0xf
	v_mov_b32_dpp v39, v36 row_shr:2 row_mask:0xf bank_mask:0xf
	v_add_co_u32_e32 v38, vcc, v38, v37
	v_addc_co_u32_e32 v39, vcc, v39, v36, vcc
	v_cmp_lt_u32_e32 vcc, 1, v16
	v_cndmask_b32_e32 v17, v17, v38, vcc
	v_cndmask_b32_e32 v36, v36, v39, vcc
	v_cndmask_b32_e32 v37, v37, v38, vcc
	v_mov_b32_dpp v38, v17 row_shr:4 row_mask:0xf bank_mask:0xf
	v_mov_b32_dpp v39, v36 row_shr:4 row_mask:0xf bank_mask:0xf
	v_add_co_u32_e32 v38, vcc, v38, v37
	v_addc_co_u32_e32 v39, vcc, v39, v36, vcc
	v_cmp_lt_u32_e32 vcc, 3, v16
	;; [unrolled: 8-line block ×3, first 2 shown]
	v_cndmask_b32_e32 v40, v17, v38, vcc
	v_cndmask_b32_e32 v17, v36, v39, vcc
	;; [unrolled: 1-line block ×3, first 2 shown]
	v_mov_b32_dpp v36, v40 row_bcast:15 row_mask:0xf bank_mask:0xf
	v_mov_b32_dpp v37, v17 row_bcast:15 row_mask:0xf bank_mask:0xf
	v_add_co_u32_e32 v36, vcc, v36, v16
	v_and_b32_e32 v39, 16, v33
	v_addc_co_u32_e32 v38, vcc, v37, v17, vcc
	v_cmp_eq_u32_e32 vcc, 0, v39
	v_cndmask_b32_e32 v39, v38, v17, vcc
	v_cndmask_b32_e32 v37, v36, v40, vcc
	v_cmp_ne_u32_e64 s[0:1], 0, v33
	v_mov_b32_dpp v39, v39 row_bcast:31 row_mask:0xf bank_mask:0xf
	v_mov_b32_dpp v37, v37 row_bcast:31 row_mask:0xf bank_mask:0xf
	s_and_saveexec_b64 s[4:5], s[0:1]
; %bb.16:
	v_cndmask_b32_e32 v17, v38, v17, vcc
	v_cndmask_b32_e32 v16, v36, v16, vcc
	v_cmp_lt_u32_e32 vcc, 31, v33
	v_cndmask_b32_e32 v34, 0, v37, vcc
	v_cndmask_b32_e32 v35, 0, v39, vcc
	v_add_co_u32_e32 v34, vcc, v34, v16
	v_addc_co_u32_e32 v35, vcc, v35, v17, vcc
; %bb.17:
	s_or_b64 exec, exec, s[4:5]
	v_add_u32_e32 v16, -1, v33
	v_and_b32_e32 v17, 64, v33
	v_cmp_lt_i32_e32 vcc, v16, v17
	v_cndmask_b32_e32 v16, v16, v33, vcc
	v_lshlrev_b32_e32 v16, 2, v16
	ds_bpermute_b32 v17, v16, v34
	ds_bpermute_b32 v16, v16, v35
	; wave barrier
	s_waitcnt lgkmcnt(1)
	v_add_co_u32_e32 v14, vcc, v14, v17
	v_addc_co_u32_e32 v15, vcc, 0, v15, vcc
	v_add_co_u32_e32 v14, vcc, 0, v14
	s_waitcnt lgkmcnt(0)
	v_addc_co_u32_e32 v15, vcc, v15, v16, vcc
	v_cmp_eq_u32_e32 vcc, 0, v0
	v_cndmask_b32_e32 v15, v15, v31, vcc
	v_cndmask_b32_e32 v14, v14, v30, vcc
	ds_write_b64 v32, v[14:15]
	; wave barrier
	ds_read_b64 v[16:17], v32 offset:8
	s_waitcnt lgkmcnt(0)
	v_add_co_u32_e32 v14, vcc, v16, v14
	v_addc_co_u32_e32 v15, vcc, v17, v15, vcc
	ds_write_b64 v32, v[14:15] offset:8
.LBB5593_18:
	s_or_b64 exec, exec, s[2:3]
	v_mul_u32_u24_e32 v16, 48, v0
	v_cmp_ne_u32_e32 vcc, 0, v0
	v_pk_mov_b32 v[14:15], v[30:31], v[30:31] op_sel:[0,1]
	s_waitcnt lgkmcnt(0)
	s_barrier
	s_and_saveexec_b64 s[0:1], vcc
	s_cbranch_execz .LBB5593_20
; %bb.19:
	v_add_u32_e32 v0, -1, v0
	v_lshrrev_b32_e32 v14, 5, v0
	v_add_lshl_u32 v0, v14, v0, 3
	ds_read_b64 v[14:15], v0
.LBB5593_20:
	s_or_b64 exec, exec, s[0:1]
	s_and_saveexec_b64 s[0:1], vcc
	s_cbranch_execz .LBB5593_22
; %bb.21:
	s_waitcnt lgkmcnt(0)
	v_add_co_u32_e32 v2, vcc, v14, v2
	v_addc_co_u32_e32 v3, vcc, v15, v3, vcc
	v_add_co_u32_e32 v20, vcc, v2, v4
	v_addc_co_u32_e32 v1, vcc, v3, v5, vcc
	;; [unrolled: 2-line block ×7, first 2 shown]
	;;#ASMSTART
	;;#ASMEND
.LBB5593_22:
	s_or_b64 exec, exec, s[0:1]
	v_add_u32_e32 v0, v21, v16
	v_mov_b32_e32 v21, v1
	s_waitcnt lgkmcnt(0)
	s_barrier
	ds_write2_b64 v0, v[2:3], v[20:21] offset1:1
	ds_write2_b64 v0, v[18:19], v[24:25] offset0:2 offset1:3
	ds_write2_b64 v0, v[22:23], v[26:27] offset0:4 offset1:5
	ds_write_b64 v0, v[30:31] offset:48
	s_waitcnt lgkmcnt(0)
	s_barrier
	s_endpgm
	.section	.rodata,"a",@progbits
	.p2align	6, 0x0
	.amdhsa_kernel _ZN7rocprim17ROCPRIM_400000_NS6detail17trampoline_kernelINS0_14default_configENS1_20scan_config_selectorIxEEZZNS1_9scan_implILNS1_25lookback_scan_determinismE0ELb0ELb0ES3_N6thrust23THRUST_200600_302600_NS6detail15normal_iteratorINS9_10device_ptrIxEEEENS9_16discard_iteratorINS9_11use_defaultEEExNS9_4plusIvEExEEDaPvRmT3_T4_T5_mT6_P12ihipStream_tbENKUlT_T0_E_clISt17integral_constantIbLb0EESX_EEDaSS_ST_EUlSS_E0_NS1_11comp_targetILNS1_3genE4ELNS1_11target_archE910ELNS1_3gpuE8ELNS1_3repE0EEENS1_30default_config_static_selectorELNS0_4arch9wavefront6targetE1EEEvT1_
		.amdhsa_group_segment_fixed_size 7168
		.amdhsa_private_segment_fixed_size 0
		.amdhsa_kernarg_size 48
		.amdhsa_user_sgpr_count 6
		.amdhsa_user_sgpr_private_segment_buffer 1
		.amdhsa_user_sgpr_dispatch_ptr 0
		.amdhsa_user_sgpr_queue_ptr 0
		.amdhsa_user_sgpr_kernarg_segment_ptr 1
		.amdhsa_user_sgpr_dispatch_id 0
		.amdhsa_user_sgpr_flat_scratch_init 0
		.amdhsa_user_sgpr_kernarg_preload_length 0
		.amdhsa_user_sgpr_kernarg_preload_offset 0
		.amdhsa_user_sgpr_private_segment_size 0
		.amdhsa_uses_dynamic_stack 0
		.amdhsa_system_sgpr_private_segment_wavefront_offset 0
		.amdhsa_system_sgpr_workgroup_id_x 1
		.amdhsa_system_sgpr_workgroup_id_y 0
		.amdhsa_system_sgpr_workgroup_id_z 0
		.amdhsa_system_sgpr_workgroup_info 0
		.amdhsa_system_vgpr_workitem_id 0
		.amdhsa_next_free_vgpr 41
		.amdhsa_next_free_sgpr 8
		.amdhsa_accum_offset 44
		.amdhsa_reserve_vcc 1
		.amdhsa_reserve_flat_scratch 0
		.amdhsa_float_round_mode_32 0
		.amdhsa_float_round_mode_16_64 0
		.amdhsa_float_denorm_mode_32 3
		.amdhsa_float_denorm_mode_16_64 3
		.amdhsa_dx10_clamp 1
		.amdhsa_ieee_mode 1
		.amdhsa_fp16_overflow 0
		.amdhsa_tg_split 0
		.amdhsa_exception_fp_ieee_invalid_op 0
		.amdhsa_exception_fp_denorm_src 0
		.amdhsa_exception_fp_ieee_div_zero 0
		.amdhsa_exception_fp_ieee_overflow 0
		.amdhsa_exception_fp_ieee_underflow 0
		.amdhsa_exception_fp_ieee_inexact 0
		.amdhsa_exception_int_div_zero 0
	.end_amdhsa_kernel
	.section	.text._ZN7rocprim17ROCPRIM_400000_NS6detail17trampoline_kernelINS0_14default_configENS1_20scan_config_selectorIxEEZZNS1_9scan_implILNS1_25lookback_scan_determinismE0ELb0ELb0ES3_N6thrust23THRUST_200600_302600_NS6detail15normal_iteratorINS9_10device_ptrIxEEEENS9_16discard_iteratorINS9_11use_defaultEEExNS9_4plusIvEExEEDaPvRmT3_T4_T5_mT6_P12ihipStream_tbENKUlT_T0_E_clISt17integral_constantIbLb0EESX_EEDaSS_ST_EUlSS_E0_NS1_11comp_targetILNS1_3genE4ELNS1_11target_archE910ELNS1_3gpuE8ELNS1_3repE0EEENS1_30default_config_static_selectorELNS0_4arch9wavefront6targetE1EEEvT1_,"axG",@progbits,_ZN7rocprim17ROCPRIM_400000_NS6detail17trampoline_kernelINS0_14default_configENS1_20scan_config_selectorIxEEZZNS1_9scan_implILNS1_25lookback_scan_determinismE0ELb0ELb0ES3_N6thrust23THRUST_200600_302600_NS6detail15normal_iteratorINS9_10device_ptrIxEEEENS9_16discard_iteratorINS9_11use_defaultEEExNS9_4plusIvEExEEDaPvRmT3_T4_T5_mT6_P12ihipStream_tbENKUlT_T0_E_clISt17integral_constantIbLb0EESX_EEDaSS_ST_EUlSS_E0_NS1_11comp_targetILNS1_3genE4ELNS1_11target_archE910ELNS1_3gpuE8ELNS1_3repE0EEENS1_30default_config_static_selectorELNS0_4arch9wavefront6targetE1EEEvT1_,comdat
.Lfunc_end5593:
	.size	_ZN7rocprim17ROCPRIM_400000_NS6detail17trampoline_kernelINS0_14default_configENS1_20scan_config_selectorIxEEZZNS1_9scan_implILNS1_25lookback_scan_determinismE0ELb0ELb0ES3_N6thrust23THRUST_200600_302600_NS6detail15normal_iteratorINS9_10device_ptrIxEEEENS9_16discard_iteratorINS9_11use_defaultEEExNS9_4plusIvEExEEDaPvRmT3_T4_T5_mT6_P12ihipStream_tbENKUlT_T0_E_clISt17integral_constantIbLb0EESX_EEDaSS_ST_EUlSS_E0_NS1_11comp_targetILNS1_3genE4ELNS1_11target_archE910ELNS1_3gpuE8ELNS1_3repE0EEENS1_30default_config_static_selectorELNS0_4arch9wavefront6targetE1EEEvT1_, .Lfunc_end5593-_ZN7rocprim17ROCPRIM_400000_NS6detail17trampoline_kernelINS0_14default_configENS1_20scan_config_selectorIxEEZZNS1_9scan_implILNS1_25lookback_scan_determinismE0ELb0ELb0ES3_N6thrust23THRUST_200600_302600_NS6detail15normal_iteratorINS9_10device_ptrIxEEEENS9_16discard_iteratorINS9_11use_defaultEEExNS9_4plusIvEExEEDaPvRmT3_T4_T5_mT6_P12ihipStream_tbENKUlT_T0_E_clISt17integral_constantIbLb0EESX_EEDaSS_ST_EUlSS_E0_NS1_11comp_targetILNS1_3genE4ELNS1_11target_archE910ELNS1_3gpuE8ELNS1_3repE0EEENS1_30default_config_static_selectorELNS0_4arch9wavefront6targetE1EEEvT1_
                                        ; -- End function
	.section	.AMDGPU.csdata,"",@progbits
; Kernel info:
; codeLenInByte = 1136
; NumSgprs: 12
; NumVgprs: 41
; NumAgprs: 0
; TotalNumVgprs: 41
; ScratchSize: 0
; MemoryBound: 0
; FloatMode: 240
; IeeeMode: 1
; LDSByteSize: 7168 bytes/workgroup (compile time only)
; SGPRBlocks: 1
; VGPRBlocks: 5
; NumSGPRsForWavesPerEU: 12
; NumVGPRsForWavesPerEU: 41
; AccumOffset: 44
; Occupancy: 5
; WaveLimiterHint : 0
; COMPUTE_PGM_RSRC2:SCRATCH_EN: 0
; COMPUTE_PGM_RSRC2:USER_SGPR: 6
; COMPUTE_PGM_RSRC2:TRAP_HANDLER: 0
; COMPUTE_PGM_RSRC2:TGID_X_EN: 1
; COMPUTE_PGM_RSRC2:TGID_Y_EN: 0
; COMPUTE_PGM_RSRC2:TGID_Z_EN: 0
; COMPUTE_PGM_RSRC2:TIDIG_COMP_CNT: 0
; COMPUTE_PGM_RSRC3_GFX90A:ACCUM_OFFSET: 10
; COMPUTE_PGM_RSRC3_GFX90A:TG_SPLIT: 0
	.section	.text._ZN7rocprim17ROCPRIM_400000_NS6detail17trampoline_kernelINS0_14default_configENS1_20scan_config_selectorIxEEZZNS1_9scan_implILNS1_25lookback_scan_determinismE0ELb0ELb0ES3_N6thrust23THRUST_200600_302600_NS6detail15normal_iteratorINS9_10device_ptrIxEEEENS9_16discard_iteratorINS9_11use_defaultEEExNS9_4plusIvEExEEDaPvRmT3_T4_T5_mT6_P12ihipStream_tbENKUlT_T0_E_clISt17integral_constantIbLb0EESX_EEDaSS_ST_EUlSS_E0_NS1_11comp_targetILNS1_3genE3ELNS1_11target_archE908ELNS1_3gpuE7ELNS1_3repE0EEENS1_30default_config_static_selectorELNS0_4arch9wavefront6targetE1EEEvT1_,"axG",@progbits,_ZN7rocprim17ROCPRIM_400000_NS6detail17trampoline_kernelINS0_14default_configENS1_20scan_config_selectorIxEEZZNS1_9scan_implILNS1_25lookback_scan_determinismE0ELb0ELb0ES3_N6thrust23THRUST_200600_302600_NS6detail15normal_iteratorINS9_10device_ptrIxEEEENS9_16discard_iteratorINS9_11use_defaultEEExNS9_4plusIvEExEEDaPvRmT3_T4_T5_mT6_P12ihipStream_tbENKUlT_T0_E_clISt17integral_constantIbLb0EESX_EEDaSS_ST_EUlSS_E0_NS1_11comp_targetILNS1_3genE3ELNS1_11target_archE908ELNS1_3gpuE7ELNS1_3repE0EEENS1_30default_config_static_selectorELNS0_4arch9wavefront6targetE1EEEvT1_,comdat
	.protected	_ZN7rocprim17ROCPRIM_400000_NS6detail17trampoline_kernelINS0_14default_configENS1_20scan_config_selectorIxEEZZNS1_9scan_implILNS1_25lookback_scan_determinismE0ELb0ELb0ES3_N6thrust23THRUST_200600_302600_NS6detail15normal_iteratorINS9_10device_ptrIxEEEENS9_16discard_iteratorINS9_11use_defaultEEExNS9_4plusIvEExEEDaPvRmT3_T4_T5_mT6_P12ihipStream_tbENKUlT_T0_E_clISt17integral_constantIbLb0EESX_EEDaSS_ST_EUlSS_E0_NS1_11comp_targetILNS1_3genE3ELNS1_11target_archE908ELNS1_3gpuE7ELNS1_3repE0EEENS1_30default_config_static_selectorELNS0_4arch9wavefront6targetE1EEEvT1_ ; -- Begin function _ZN7rocprim17ROCPRIM_400000_NS6detail17trampoline_kernelINS0_14default_configENS1_20scan_config_selectorIxEEZZNS1_9scan_implILNS1_25lookback_scan_determinismE0ELb0ELb0ES3_N6thrust23THRUST_200600_302600_NS6detail15normal_iteratorINS9_10device_ptrIxEEEENS9_16discard_iteratorINS9_11use_defaultEEExNS9_4plusIvEExEEDaPvRmT3_T4_T5_mT6_P12ihipStream_tbENKUlT_T0_E_clISt17integral_constantIbLb0EESX_EEDaSS_ST_EUlSS_E0_NS1_11comp_targetILNS1_3genE3ELNS1_11target_archE908ELNS1_3gpuE7ELNS1_3repE0EEENS1_30default_config_static_selectorELNS0_4arch9wavefront6targetE1EEEvT1_
	.globl	_ZN7rocprim17ROCPRIM_400000_NS6detail17trampoline_kernelINS0_14default_configENS1_20scan_config_selectorIxEEZZNS1_9scan_implILNS1_25lookback_scan_determinismE0ELb0ELb0ES3_N6thrust23THRUST_200600_302600_NS6detail15normal_iteratorINS9_10device_ptrIxEEEENS9_16discard_iteratorINS9_11use_defaultEEExNS9_4plusIvEExEEDaPvRmT3_T4_T5_mT6_P12ihipStream_tbENKUlT_T0_E_clISt17integral_constantIbLb0EESX_EEDaSS_ST_EUlSS_E0_NS1_11comp_targetILNS1_3genE3ELNS1_11target_archE908ELNS1_3gpuE7ELNS1_3repE0EEENS1_30default_config_static_selectorELNS0_4arch9wavefront6targetE1EEEvT1_
	.p2align	8
	.type	_ZN7rocprim17ROCPRIM_400000_NS6detail17trampoline_kernelINS0_14default_configENS1_20scan_config_selectorIxEEZZNS1_9scan_implILNS1_25lookback_scan_determinismE0ELb0ELb0ES3_N6thrust23THRUST_200600_302600_NS6detail15normal_iteratorINS9_10device_ptrIxEEEENS9_16discard_iteratorINS9_11use_defaultEEExNS9_4plusIvEExEEDaPvRmT3_T4_T5_mT6_P12ihipStream_tbENKUlT_T0_E_clISt17integral_constantIbLb0EESX_EEDaSS_ST_EUlSS_E0_NS1_11comp_targetILNS1_3genE3ELNS1_11target_archE908ELNS1_3gpuE7ELNS1_3repE0EEENS1_30default_config_static_selectorELNS0_4arch9wavefront6targetE1EEEvT1_,@function
_ZN7rocprim17ROCPRIM_400000_NS6detail17trampoline_kernelINS0_14default_configENS1_20scan_config_selectorIxEEZZNS1_9scan_implILNS1_25lookback_scan_determinismE0ELb0ELb0ES3_N6thrust23THRUST_200600_302600_NS6detail15normal_iteratorINS9_10device_ptrIxEEEENS9_16discard_iteratorINS9_11use_defaultEEExNS9_4plusIvEExEEDaPvRmT3_T4_T5_mT6_P12ihipStream_tbENKUlT_T0_E_clISt17integral_constantIbLb0EESX_EEDaSS_ST_EUlSS_E0_NS1_11comp_targetILNS1_3genE3ELNS1_11target_archE908ELNS1_3gpuE7ELNS1_3repE0EEENS1_30default_config_static_selectorELNS0_4arch9wavefront6targetE1EEEvT1_: ; @_ZN7rocprim17ROCPRIM_400000_NS6detail17trampoline_kernelINS0_14default_configENS1_20scan_config_selectorIxEEZZNS1_9scan_implILNS1_25lookback_scan_determinismE0ELb0ELb0ES3_N6thrust23THRUST_200600_302600_NS6detail15normal_iteratorINS9_10device_ptrIxEEEENS9_16discard_iteratorINS9_11use_defaultEEExNS9_4plusIvEExEEDaPvRmT3_T4_T5_mT6_P12ihipStream_tbENKUlT_T0_E_clISt17integral_constantIbLb0EESX_EEDaSS_ST_EUlSS_E0_NS1_11comp_targetILNS1_3genE3ELNS1_11target_archE908ELNS1_3gpuE7ELNS1_3repE0EEENS1_30default_config_static_selectorELNS0_4arch9wavefront6targetE1EEEvT1_
; %bb.0:
	.section	.rodata,"a",@progbits
	.p2align	6, 0x0
	.amdhsa_kernel _ZN7rocprim17ROCPRIM_400000_NS6detail17trampoline_kernelINS0_14default_configENS1_20scan_config_selectorIxEEZZNS1_9scan_implILNS1_25lookback_scan_determinismE0ELb0ELb0ES3_N6thrust23THRUST_200600_302600_NS6detail15normal_iteratorINS9_10device_ptrIxEEEENS9_16discard_iteratorINS9_11use_defaultEEExNS9_4plusIvEExEEDaPvRmT3_T4_T5_mT6_P12ihipStream_tbENKUlT_T0_E_clISt17integral_constantIbLb0EESX_EEDaSS_ST_EUlSS_E0_NS1_11comp_targetILNS1_3genE3ELNS1_11target_archE908ELNS1_3gpuE7ELNS1_3repE0EEENS1_30default_config_static_selectorELNS0_4arch9wavefront6targetE1EEEvT1_
		.amdhsa_group_segment_fixed_size 0
		.amdhsa_private_segment_fixed_size 0
		.amdhsa_kernarg_size 48
		.amdhsa_user_sgpr_count 6
		.amdhsa_user_sgpr_private_segment_buffer 1
		.amdhsa_user_sgpr_dispatch_ptr 0
		.amdhsa_user_sgpr_queue_ptr 0
		.amdhsa_user_sgpr_kernarg_segment_ptr 1
		.amdhsa_user_sgpr_dispatch_id 0
		.amdhsa_user_sgpr_flat_scratch_init 0
		.amdhsa_user_sgpr_kernarg_preload_length 0
		.amdhsa_user_sgpr_kernarg_preload_offset 0
		.amdhsa_user_sgpr_private_segment_size 0
		.amdhsa_uses_dynamic_stack 0
		.amdhsa_system_sgpr_private_segment_wavefront_offset 0
		.amdhsa_system_sgpr_workgroup_id_x 1
		.amdhsa_system_sgpr_workgroup_id_y 0
		.amdhsa_system_sgpr_workgroup_id_z 0
		.amdhsa_system_sgpr_workgroup_info 0
		.amdhsa_system_vgpr_workitem_id 0
		.amdhsa_next_free_vgpr 1
		.amdhsa_next_free_sgpr 0
		.amdhsa_accum_offset 4
		.amdhsa_reserve_vcc 0
		.amdhsa_reserve_flat_scratch 0
		.amdhsa_float_round_mode_32 0
		.amdhsa_float_round_mode_16_64 0
		.amdhsa_float_denorm_mode_32 3
		.amdhsa_float_denorm_mode_16_64 3
		.amdhsa_dx10_clamp 1
		.amdhsa_ieee_mode 1
		.amdhsa_fp16_overflow 0
		.amdhsa_tg_split 0
		.amdhsa_exception_fp_ieee_invalid_op 0
		.amdhsa_exception_fp_denorm_src 0
		.amdhsa_exception_fp_ieee_div_zero 0
		.amdhsa_exception_fp_ieee_overflow 0
		.amdhsa_exception_fp_ieee_underflow 0
		.amdhsa_exception_fp_ieee_inexact 0
		.amdhsa_exception_int_div_zero 0
	.end_amdhsa_kernel
	.section	.text._ZN7rocprim17ROCPRIM_400000_NS6detail17trampoline_kernelINS0_14default_configENS1_20scan_config_selectorIxEEZZNS1_9scan_implILNS1_25lookback_scan_determinismE0ELb0ELb0ES3_N6thrust23THRUST_200600_302600_NS6detail15normal_iteratorINS9_10device_ptrIxEEEENS9_16discard_iteratorINS9_11use_defaultEEExNS9_4plusIvEExEEDaPvRmT3_T4_T5_mT6_P12ihipStream_tbENKUlT_T0_E_clISt17integral_constantIbLb0EESX_EEDaSS_ST_EUlSS_E0_NS1_11comp_targetILNS1_3genE3ELNS1_11target_archE908ELNS1_3gpuE7ELNS1_3repE0EEENS1_30default_config_static_selectorELNS0_4arch9wavefront6targetE1EEEvT1_,"axG",@progbits,_ZN7rocprim17ROCPRIM_400000_NS6detail17trampoline_kernelINS0_14default_configENS1_20scan_config_selectorIxEEZZNS1_9scan_implILNS1_25lookback_scan_determinismE0ELb0ELb0ES3_N6thrust23THRUST_200600_302600_NS6detail15normal_iteratorINS9_10device_ptrIxEEEENS9_16discard_iteratorINS9_11use_defaultEEExNS9_4plusIvEExEEDaPvRmT3_T4_T5_mT6_P12ihipStream_tbENKUlT_T0_E_clISt17integral_constantIbLb0EESX_EEDaSS_ST_EUlSS_E0_NS1_11comp_targetILNS1_3genE3ELNS1_11target_archE908ELNS1_3gpuE7ELNS1_3repE0EEENS1_30default_config_static_selectorELNS0_4arch9wavefront6targetE1EEEvT1_,comdat
.Lfunc_end5594:
	.size	_ZN7rocprim17ROCPRIM_400000_NS6detail17trampoline_kernelINS0_14default_configENS1_20scan_config_selectorIxEEZZNS1_9scan_implILNS1_25lookback_scan_determinismE0ELb0ELb0ES3_N6thrust23THRUST_200600_302600_NS6detail15normal_iteratorINS9_10device_ptrIxEEEENS9_16discard_iteratorINS9_11use_defaultEEExNS9_4plusIvEExEEDaPvRmT3_T4_T5_mT6_P12ihipStream_tbENKUlT_T0_E_clISt17integral_constantIbLb0EESX_EEDaSS_ST_EUlSS_E0_NS1_11comp_targetILNS1_3genE3ELNS1_11target_archE908ELNS1_3gpuE7ELNS1_3repE0EEENS1_30default_config_static_selectorELNS0_4arch9wavefront6targetE1EEEvT1_, .Lfunc_end5594-_ZN7rocprim17ROCPRIM_400000_NS6detail17trampoline_kernelINS0_14default_configENS1_20scan_config_selectorIxEEZZNS1_9scan_implILNS1_25lookback_scan_determinismE0ELb0ELb0ES3_N6thrust23THRUST_200600_302600_NS6detail15normal_iteratorINS9_10device_ptrIxEEEENS9_16discard_iteratorINS9_11use_defaultEEExNS9_4plusIvEExEEDaPvRmT3_T4_T5_mT6_P12ihipStream_tbENKUlT_T0_E_clISt17integral_constantIbLb0EESX_EEDaSS_ST_EUlSS_E0_NS1_11comp_targetILNS1_3genE3ELNS1_11target_archE908ELNS1_3gpuE7ELNS1_3repE0EEENS1_30default_config_static_selectorELNS0_4arch9wavefront6targetE1EEEvT1_
                                        ; -- End function
	.section	.AMDGPU.csdata,"",@progbits
; Kernel info:
; codeLenInByte = 0
; NumSgprs: 4
; NumVgprs: 0
; NumAgprs: 0
; TotalNumVgprs: 0
; ScratchSize: 0
; MemoryBound: 0
; FloatMode: 240
; IeeeMode: 1
; LDSByteSize: 0 bytes/workgroup (compile time only)
; SGPRBlocks: 0
; VGPRBlocks: 0
; NumSGPRsForWavesPerEU: 4
; NumVGPRsForWavesPerEU: 1
; AccumOffset: 4
; Occupancy: 8
; WaveLimiterHint : 0
; COMPUTE_PGM_RSRC2:SCRATCH_EN: 0
; COMPUTE_PGM_RSRC2:USER_SGPR: 6
; COMPUTE_PGM_RSRC2:TRAP_HANDLER: 0
; COMPUTE_PGM_RSRC2:TGID_X_EN: 1
; COMPUTE_PGM_RSRC2:TGID_Y_EN: 0
; COMPUTE_PGM_RSRC2:TGID_Z_EN: 0
; COMPUTE_PGM_RSRC2:TIDIG_COMP_CNT: 0
; COMPUTE_PGM_RSRC3_GFX90A:ACCUM_OFFSET: 0
; COMPUTE_PGM_RSRC3_GFX90A:TG_SPLIT: 0
	.section	.text._ZN7rocprim17ROCPRIM_400000_NS6detail17trampoline_kernelINS0_14default_configENS1_20scan_config_selectorIxEEZZNS1_9scan_implILNS1_25lookback_scan_determinismE0ELb0ELb0ES3_N6thrust23THRUST_200600_302600_NS6detail15normal_iteratorINS9_10device_ptrIxEEEENS9_16discard_iteratorINS9_11use_defaultEEExNS9_4plusIvEExEEDaPvRmT3_T4_T5_mT6_P12ihipStream_tbENKUlT_T0_E_clISt17integral_constantIbLb0EESX_EEDaSS_ST_EUlSS_E0_NS1_11comp_targetILNS1_3genE2ELNS1_11target_archE906ELNS1_3gpuE6ELNS1_3repE0EEENS1_30default_config_static_selectorELNS0_4arch9wavefront6targetE1EEEvT1_,"axG",@progbits,_ZN7rocprim17ROCPRIM_400000_NS6detail17trampoline_kernelINS0_14default_configENS1_20scan_config_selectorIxEEZZNS1_9scan_implILNS1_25lookback_scan_determinismE0ELb0ELb0ES3_N6thrust23THRUST_200600_302600_NS6detail15normal_iteratorINS9_10device_ptrIxEEEENS9_16discard_iteratorINS9_11use_defaultEEExNS9_4plusIvEExEEDaPvRmT3_T4_T5_mT6_P12ihipStream_tbENKUlT_T0_E_clISt17integral_constantIbLb0EESX_EEDaSS_ST_EUlSS_E0_NS1_11comp_targetILNS1_3genE2ELNS1_11target_archE906ELNS1_3gpuE6ELNS1_3repE0EEENS1_30default_config_static_selectorELNS0_4arch9wavefront6targetE1EEEvT1_,comdat
	.protected	_ZN7rocprim17ROCPRIM_400000_NS6detail17trampoline_kernelINS0_14default_configENS1_20scan_config_selectorIxEEZZNS1_9scan_implILNS1_25lookback_scan_determinismE0ELb0ELb0ES3_N6thrust23THRUST_200600_302600_NS6detail15normal_iteratorINS9_10device_ptrIxEEEENS9_16discard_iteratorINS9_11use_defaultEEExNS9_4plusIvEExEEDaPvRmT3_T4_T5_mT6_P12ihipStream_tbENKUlT_T0_E_clISt17integral_constantIbLb0EESX_EEDaSS_ST_EUlSS_E0_NS1_11comp_targetILNS1_3genE2ELNS1_11target_archE906ELNS1_3gpuE6ELNS1_3repE0EEENS1_30default_config_static_selectorELNS0_4arch9wavefront6targetE1EEEvT1_ ; -- Begin function _ZN7rocprim17ROCPRIM_400000_NS6detail17trampoline_kernelINS0_14default_configENS1_20scan_config_selectorIxEEZZNS1_9scan_implILNS1_25lookback_scan_determinismE0ELb0ELb0ES3_N6thrust23THRUST_200600_302600_NS6detail15normal_iteratorINS9_10device_ptrIxEEEENS9_16discard_iteratorINS9_11use_defaultEEExNS9_4plusIvEExEEDaPvRmT3_T4_T5_mT6_P12ihipStream_tbENKUlT_T0_E_clISt17integral_constantIbLb0EESX_EEDaSS_ST_EUlSS_E0_NS1_11comp_targetILNS1_3genE2ELNS1_11target_archE906ELNS1_3gpuE6ELNS1_3repE0EEENS1_30default_config_static_selectorELNS0_4arch9wavefront6targetE1EEEvT1_
	.globl	_ZN7rocprim17ROCPRIM_400000_NS6detail17trampoline_kernelINS0_14default_configENS1_20scan_config_selectorIxEEZZNS1_9scan_implILNS1_25lookback_scan_determinismE0ELb0ELb0ES3_N6thrust23THRUST_200600_302600_NS6detail15normal_iteratorINS9_10device_ptrIxEEEENS9_16discard_iteratorINS9_11use_defaultEEExNS9_4plusIvEExEEDaPvRmT3_T4_T5_mT6_P12ihipStream_tbENKUlT_T0_E_clISt17integral_constantIbLb0EESX_EEDaSS_ST_EUlSS_E0_NS1_11comp_targetILNS1_3genE2ELNS1_11target_archE906ELNS1_3gpuE6ELNS1_3repE0EEENS1_30default_config_static_selectorELNS0_4arch9wavefront6targetE1EEEvT1_
	.p2align	8
	.type	_ZN7rocprim17ROCPRIM_400000_NS6detail17trampoline_kernelINS0_14default_configENS1_20scan_config_selectorIxEEZZNS1_9scan_implILNS1_25lookback_scan_determinismE0ELb0ELb0ES3_N6thrust23THRUST_200600_302600_NS6detail15normal_iteratorINS9_10device_ptrIxEEEENS9_16discard_iteratorINS9_11use_defaultEEExNS9_4plusIvEExEEDaPvRmT3_T4_T5_mT6_P12ihipStream_tbENKUlT_T0_E_clISt17integral_constantIbLb0EESX_EEDaSS_ST_EUlSS_E0_NS1_11comp_targetILNS1_3genE2ELNS1_11target_archE906ELNS1_3gpuE6ELNS1_3repE0EEENS1_30default_config_static_selectorELNS0_4arch9wavefront6targetE1EEEvT1_,@function
_ZN7rocprim17ROCPRIM_400000_NS6detail17trampoline_kernelINS0_14default_configENS1_20scan_config_selectorIxEEZZNS1_9scan_implILNS1_25lookback_scan_determinismE0ELb0ELb0ES3_N6thrust23THRUST_200600_302600_NS6detail15normal_iteratorINS9_10device_ptrIxEEEENS9_16discard_iteratorINS9_11use_defaultEEExNS9_4plusIvEExEEDaPvRmT3_T4_T5_mT6_P12ihipStream_tbENKUlT_T0_E_clISt17integral_constantIbLb0EESX_EEDaSS_ST_EUlSS_E0_NS1_11comp_targetILNS1_3genE2ELNS1_11target_archE906ELNS1_3gpuE6ELNS1_3repE0EEENS1_30default_config_static_selectorELNS0_4arch9wavefront6targetE1EEEvT1_: ; @_ZN7rocprim17ROCPRIM_400000_NS6detail17trampoline_kernelINS0_14default_configENS1_20scan_config_selectorIxEEZZNS1_9scan_implILNS1_25lookback_scan_determinismE0ELb0ELb0ES3_N6thrust23THRUST_200600_302600_NS6detail15normal_iteratorINS9_10device_ptrIxEEEENS9_16discard_iteratorINS9_11use_defaultEEExNS9_4plusIvEExEEDaPvRmT3_T4_T5_mT6_P12ihipStream_tbENKUlT_T0_E_clISt17integral_constantIbLb0EESX_EEDaSS_ST_EUlSS_E0_NS1_11comp_targetILNS1_3genE2ELNS1_11target_archE906ELNS1_3gpuE6ELNS1_3repE0EEENS1_30default_config_static_selectorELNS0_4arch9wavefront6targetE1EEEvT1_
; %bb.0:
	.section	.rodata,"a",@progbits
	.p2align	6, 0x0
	.amdhsa_kernel _ZN7rocprim17ROCPRIM_400000_NS6detail17trampoline_kernelINS0_14default_configENS1_20scan_config_selectorIxEEZZNS1_9scan_implILNS1_25lookback_scan_determinismE0ELb0ELb0ES3_N6thrust23THRUST_200600_302600_NS6detail15normal_iteratorINS9_10device_ptrIxEEEENS9_16discard_iteratorINS9_11use_defaultEEExNS9_4plusIvEExEEDaPvRmT3_T4_T5_mT6_P12ihipStream_tbENKUlT_T0_E_clISt17integral_constantIbLb0EESX_EEDaSS_ST_EUlSS_E0_NS1_11comp_targetILNS1_3genE2ELNS1_11target_archE906ELNS1_3gpuE6ELNS1_3repE0EEENS1_30default_config_static_selectorELNS0_4arch9wavefront6targetE1EEEvT1_
		.amdhsa_group_segment_fixed_size 0
		.amdhsa_private_segment_fixed_size 0
		.amdhsa_kernarg_size 48
		.amdhsa_user_sgpr_count 6
		.amdhsa_user_sgpr_private_segment_buffer 1
		.amdhsa_user_sgpr_dispatch_ptr 0
		.amdhsa_user_sgpr_queue_ptr 0
		.amdhsa_user_sgpr_kernarg_segment_ptr 1
		.amdhsa_user_sgpr_dispatch_id 0
		.amdhsa_user_sgpr_flat_scratch_init 0
		.amdhsa_user_sgpr_kernarg_preload_length 0
		.amdhsa_user_sgpr_kernarg_preload_offset 0
		.amdhsa_user_sgpr_private_segment_size 0
		.amdhsa_uses_dynamic_stack 0
		.amdhsa_system_sgpr_private_segment_wavefront_offset 0
		.amdhsa_system_sgpr_workgroup_id_x 1
		.amdhsa_system_sgpr_workgroup_id_y 0
		.amdhsa_system_sgpr_workgroup_id_z 0
		.amdhsa_system_sgpr_workgroup_info 0
		.amdhsa_system_vgpr_workitem_id 0
		.amdhsa_next_free_vgpr 1
		.amdhsa_next_free_sgpr 0
		.amdhsa_accum_offset 4
		.amdhsa_reserve_vcc 0
		.amdhsa_reserve_flat_scratch 0
		.amdhsa_float_round_mode_32 0
		.amdhsa_float_round_mode_16_64 0
		.amdhsa_float_denorm_mode_32 3
		.amdhsa_float_denorm_mode_16_64 3
		.amdhsa_dx10_clamp 1
		.amdhsa_ieee_mode 1
		.amdhsa_fp16_overflow 0
		.amdhsa_tg_split 0
		.amdhsa_exception_fp_ieee_invalid_op 0
		.amdhsa_exception_fp_denorm_src 0
		.amdhsa_exception_fp_ieee_div_zero 0
		.amdhsa_exception_fp_ieee_overflow 0
		.amdhsa_exception_fp_ieee_underflow 0
		.amdhsa_exception_fp_ieee_inexact 0
		.amdhsa_exception_int_div_zero 0
	.end_amdhsa_kernel
	.section	.text._ZN7rocprim17ROCPRIM_400000_NS6detail17trampoline_kernelINS0_14default_configENS1_20scan_config_selectorIxEEZZNS1_9scan_implILNS1_25lookback_scan_determinismE0ELb0ELb0ES3_N6thrust23THRUST_200600_302600_NS6detail15normal_iteratorINS9_10device_ptrIxEEEENS9_16discard_iteratorINS9_11use_defaultEEExNS9_4plusIvEExEEDaPvRmT3_T4_T5_mT6_P12ihipStream_tbENKUlT_T0_E_clISt17integral_constantIbLb0EESX_EEDaSS_ST_EUlSS_E0_NS1_11comp_targetILNS1_3genE2ELNS1_11target_archE906ELNS1_3gpuE6ELNS1_3repE0EEENS1_30default_config_static_selectorELNS0_4arch9wavefront6targetE1EEEvT1_,"axG",@progbits,_ZN7rocprim17ROCPRIM_400000_NS6detail17trampoline_kernelINS0_14default_configENS1_20scan_config_selectorIxEEZZNS1_9scan_implILNS1_25lookback_scan_determinismE0ELb0ELb0ES3_N6thrust23THRUST_200600_302600_NS6detail15normal_iteratorINS9_10device_ptrIxEEEENS9_16discard_iteratorINS9_11use_defaultEEExNS9_4plusIvEExEEDaPvRmT3_T4_T5_mT6_P12ihipStream_tbENKUlT_T0_E_clISt17integral_constantIbLb0EESX_EEDaSS_ST_EUlSS_E0_NS1_11comp_targetILNS1_3genE2ELNS1_11target_archE906ELNS1_3gpuE6ELNS1_3repE0EEENS1_30default_config_static_selectorELNS0_4arch9wavefront6targetE1EEEvT1_,comdat
.Lfunc_end5595:
	.size	_ZN7rocprim17ROCPRIM_400000_NS6detail17trampoline_kernelINS0_14default_configENS1_20scan_config_selectorIxEEZZNS1_9scan_implILNS1_25lookback_scan_determinismE0ELb0ELb0ES3_N6thrust23THRUST_200600_302600_NS6detail15normal_iteratorINS9_10device_ptrIxEEEENS9_16discard_iteratorINS9_11use_defaultEEExNS9_4plusIvEExEEDaPvRmT3_T4_T5_mT6_P12ihipStream_tbENKUlT_T0_E_clISt17integral_constantIbLb0EESX_EEDaSS_ST_EUlSS_E0_NS1_11comp_targetILNS1_3genE2ELNS1_11target_archE906ELNS1_3gpuE6ELNS1_3repE0EEENS1_30default_config_static_selectorELNS0_4arch9wavefront6targetE1EEEvT1_, .Lfunc_end5595-_ZN7rocprim17ROCPRIM_400000_NS6detail17trampoline_kernelINS0_14default_configENS1_20scan_config_selectorIxEEZZNS1_9scan_implILNS1_25lookback_scan_determinismE0ELb0ELb0ES3_N6thrust23THRUST_200600_302600_NS6detail15normal_iteratorINS9_10device_ptrIxEEEENS9_16discard_iteratorINS9_11use_defaultEEExNS9_4plusIvEExEEDaPvRmT3_T4_T5_mT6_P12ihipStream_tbENKUlT_T0_E_clISt17integral_constantIbLb0EESX_EEDaSS_ST_EUlSS_E0_NS1_11comp_targetILNS1_3genE2ELNS1_11target_archE906ELNS1_3gpuE6ELNS1_3repE0EEENS1_30default_config_static_selectorELNS0_4arch9wavefront6targetE1EEEvT1_
                                        ; -- End function
	.section	.AMDGPU.csdata,"",@progbits
; Kernel info:
; codeLenInByte = 0
; NumSgprs: 4
; NumVgprs: 0
; NumAgprs: 0
; TotalNumVgprs: 0
; ScratchSize: 0
; MemoryBound: 0
; FloatMode: 240
; IeeeMode: 1
; LDSByteSize: 0 bytes/workgroup (compile time only)
; SGPRBlocks: 0
; VGPRBlocks: 0
; NumSGPRsForWavesPerEU: 4
; NumVGPRsForWavesPerEU: 1
; AccumOffset: 4
; Occupancy: 8
; WaveLimiterHint : 0
; COMPUTE_PGM_RSRC2:SCRATCH_EN: 0
; COMPUTE_PGM_RSRC2:USER_SGPR: 6
; COMPUTE_PGM_RSRC2:TRAP_HANDLER: 0
; COMPUTE_PGM_RSRC2:TGID_X_EN: 1
; COMPUTE_PGM_RSRC2:TGID_Y_EN: 0
; COMPUTE_PGM_RSRC2:TGID_Z_EN: 0
; COMPUTE_PGM_RSRC2:TIDIG_COMP_CNT: 0
; COMPUTE_PGM_RSRC3_GFX90A:ACCUM_OFFSET: 0
; COMPUTE_PGM_RSRC3_GFX90A:TG_SPLIT: 0
	.section	.text._ZN7rocprim17ROCPRIM_400000_NS6detail17trampoline_kernelINS0_14default_configENS1_20scan_config_selectorIxEEZZNS1_9scan_implILNS1_25lookback_scan_determinismE0ELb0ELb0ES3_N6thrust23THRUST_200600_302600_NS6detail15normal_iteratorINS9_10device_ptrIxEEEENS9_16discard_iteratorINS9_11use_defaultEEExNS9_4plusIvEExEEDaPvRmT3_T4_T5_mT6_P12ihipStream_tbENKUlT_T0_E_clISt17integral_constantIbLb0EESX_EEDaSS_ST_EUlSS_E0_NS1_11comp_targetILNS1_3genE10ELNS1_11target_archE1201ELNS1_3gpuE5ELNS1_3repE0EEENS1_30default_config_static_selectorELNS0_4arch9wavefront6targetE1EEEvT1_,"axG",@progbits,_ZN7rocprim17ROCPRIM_400000_NS6detail17trampoline_kernelINS0_14default_configENS1_20scan_config_selectorIxEEZZNS1_9scan_implILNS1_25lookback_scan_determinismE0ELb0ELb0ES3_N6thrust23THRUST_200600_302600_NS6detail15normal_iteratorINS9_10device_ptrIxEEEENS9_16discard_iteratorINS9_11use_defaultEEExNS9_4plusIvEExEEDaPvRmT3_T4_T5_mT6_P12ihipStream_tbENKUlT_T0_E_clISt17integral_constantIbLb0EESX_EEDaSS_ST_EUlSS_E0_NS1_11comp_targetILNS1_3genE10ELNS1_11target_archE1201ELNS1_3gpuE5ELNS1_3repE0EEENS1_30default_config_static_selectorELNS0_4arch9wavefront6targetE1EEEvT1_,comdat
	.protected	_ZN7rocprim17ROCPRIM_400000_NS6detail17trampoline_kernelINS0_14default_configENS1_20scan_config_selectorIxEEZZNS1_9scan_implILNS1_25lookback_scan_determinismE0ELb0ELb0ES3_N6thrust23THRUST_200600_302600_NS6detail15normal_iteratorINS9_10device_ptrIxEEEENS9_16discard_iteratorINS9_11use_defaultEEExNS9_4plusIvEExEEDaPvRmT3_T4_T5_mT6_P12ihipStream_tbENKUlT_T0_E_clISt17integral_constantIbLb0EESX_EEDaSS_ST_EUlSS_E0_NS1_11comp_targetILNS1_3genE10ELNS1_11target_archE1201ELNS1_3gpuE5ELNS1_3repE0EEENS1_30default_config_static_selectorELNS0_4arch9wavefront6targetE1EEEvT1_ ; -- Begin function _ZN7rocprim17ROCPRIM_400000_NS6detail17trampoline_kernelINS0_14default_configENS1_20scan_config_selectorIxEEZZNS1_9scan_implILNS1_25lookback_scan_determinismE0ELb0ELb0ES3_N6thrust23THRUST_200600_302600_NS6detail15normal_iteratorINS9_10device_ptrIxEEEENS9_16discard_iteratorINS9_11use_defaultEEExNS9_4plusIvEExEEDaPvRmT3_T4_T5_mT6_P12ihipStream_tbENKUlT_T0_E_clISt17integral_constantIbLb0EESX_EEDaSS_ST_EUlSS_E0_NS1_11comp_targetILNS1_3genE10ELNS1_11target_archE1201ELNS1_3gpuE5ELNS1_3repE0EEENS1_30default_config_static_selectorELNS0_4arch9wavefront6targetE1EEEvT1_
	.globl	_ZN7rocprim17ROCPRIM_400000_NS6detail17trampoline_kernelINS0_14default_configENS1_20scan_config_selectorIxEEZZNS1_9scan_implILNS1_25lookback_scan_determinismE0ELb0ELb0ES3_N6thrust23THRUST_200600_302600_NS6detail15normal_iteratorINS9_10device_ptrIxEEEENS9_16discard_iteratorINS9_11use_defaultEEExNS9_4plusIvEExEEDaPvRmT3_T4_T5_mT6_P12ihipStream_tbENKUlT_T0_E_clISt17integral_constantIbLb0EESX_EEDaSS_ST_EUlSS_E0_NS1_11comp_targetILNS1_3genE10ELNS1_11target_archE1201ELNS1_3gpuE5ELNS1_3repE0EEENS1_30default_config_static_selectorELNS0_4arch9wavefront6targetE1EEEvT1_
	.p2align	8
	.type	_ZN7rocprim17ROCPRIM_400000_NS6detail17trampoline_kernelINS0_14default_configENS1_20scan_config_selectorIxEEZZNS1_9scan_implILNS1_25lookback_scan_determinismE0ELb0ELb0ES3_N6thrust23THRUST_200600_302600_NS6detail15normal_iteratorINS9_10device_ptrIxEEEENS9_16discard_iteratorINS9_11use_defaultEEExNS9_4plusIvEExEEDaPvRmT3_T4_T5_mT6_P12ihipStream_tbENKUlT_T0_E_clISt17integral_constantIbLb0EESX_EEDaSS_ST_EUlSS_E0_NS1_11comp_targetILNS1_3genE10ELNS1_11target_archE1201ELNS1_3gpuE5ELNS1_3repE0EEENS1_30default_config_static_selectorELNS0_4arch9wavefront6targetE1EEEvT1_,@function
_ZN7rocprim17ROCPRIM_400000_NS6detail17trampoline_kernelINS0_14default_configENS1_20scan_config_selectorIxEEZZNS1_9scan_implILNS1_25lookback_scan_determinismE0ELb0ELb0ES3_N6thrust23THRUST_200600_302600_NS6detail15normal_iteratorINS9_10device_ptrIxEEEENS9_16discard_iteratorINS9_11use_defaultEEExNS9_4plusIvEExEEDaPvRmT3_T4_T5_mT6_P12ihipStream_tbENKUlT_T0_E_clISt17integral_constantIbLb0EESX_EEDaSS_ST_EUlSS_E0_NS1_11comp_targetILNS1_3genE10ELNS1_11target_archE1201ELNS1_3gpuE5ELNS1_3repE0EEENS1_30default_config_static_selectorELNS0_4arch9wavefront6targetE1EEEvT1_: ; @_ZN7rocprim17ROCPRIM_400000_NS6detail17trampoline_kernelINS0_14default_configENS1_20scan_config_selectorIxEEZZNS1_9scan_implILNS1_25lookback_scan_determinismE0ELb0ELb0ES3_N6thrust23THRUST_200600_302600_NS6detail15normal_iteratorINS9_10device_ptrIxEEEENS9_16discard_iteratorINS9_11use_defaultEEExNS9_4plusIvEExEEDaPvRmT3_T4_T5_mT6_P12ihipStream_tbENKUlT_T0_E_clISt17integral_constantIbLb0EESX_EEDaSS_ST_EUlSS_E0_NS1_11comp_targetILNS1_3genE10ELNS1_11target_archE1201ELNS1_3gpuE5ELNS1_3repE0EEENS1_30default_config_static_selectorELNS0_4arch9wavefront6targetE1EEEvT1_
; %bb.0:
	.section	.rodata,"a",@progbits
	.p2align	6, 0x0
	.amdhsa_kernel _ZN7rocprim17ROCPRIM_400000_NS6detail17trampoline_kernelINS0_14default_configENS1_20scan_config_selectorIxEEZZNS1_9scan_implILNS1_25lookback_scan_determinismE0ELb0ELb0ES3_N6thrust23THRUST_200600_302600_NS6detail15normal_iteratorINS9_10device_ptrIxEEEENS9_16discard_iteratorINS9_11use_defaultEEExNS9_4plusIvEExEEDaPvRmT3_T4_T5_mT6_P12ihipStream_tbENKUlT_T0_E_clISt17integral_constantIbLb0EESX_EEDaSS_ST_EUlSS_E0_NS1_11comp_targetILNS1_3genE10ELNS1_11target_archE1201ELNS1_3gpuE5ELNS1_3repE0EEENS1_30default_config_static_selectorELNS0_4arch9wavefront6targetE1EEEvT1_
		.amdhsa_group_segment_fixed_size 0
		.amdhsa_private_segment_fixed_size 0
		.amdhsa_kernarg_size 48
		.amdhsa_user_sgpr_count 6
		.amdhsa_user_sgpr_private_segment_buffer 1
		.amdhsa_user_sgpr_dispatch_ptr 0
		.amdhsa_user_sgpr_queue_ptr 0
		.amdhsa_user_sgpr_kernarg_segment_ptr 1
		.amdhsa_user_sgpr_dispatch_id 0
		.amdhsa_user_sgpr_flat_scratch_init 0
		.amdhsa_user_sgpr_kernarg_preload_length 0
		.amdhsa_user_sgpr_kernarg_preload_offset 0
		.amdhsa_user_sgpr_private_segment_size 0
		.amdhsa_uses_dynamic_stack 0
		.amdhsa_system_sgpr_private_segment_wavefront_offset 0
		.amdhsa_system_sgpr_workgroup_id_x 1
		.amdhsa_system_sgpr_workgroup_id_y 0
		.amdhsa_system_sgpr_workgroup_id_z 0
		.amdhsa_system_sgpr_workgroup_info 0
		.amdhsa_system_vgpr_workitem_id 0
		.amdhsa_next_free_vgpr 1
		.amdhsa_next_free_sgpr 0
		.amdhsa_accum_offset 4
		.amdhsa_reserve_vcc 0
		.amdhsa_reserve_flat_scratch 0
		.amdhsa_float_round_mode_32 0
		.amdhsa_float_round_mode_16_64 0
		.amdhsa_float_denorm_mode_32 3
		.amdhsa_float_denorm_mode_16_64 3
		.amdhsa_dx10_clamp 1
		.amdhsa_ieee_mode 1
		.amdhsa_fp16_overflow 0
		.amdhsa_tg_split 0
		.amdhsa_exception_fp_ieee_invalid_op 0
		.amdhsa_exception_fp_denorm_src 0
		.amdhsa_exception_fp_ieee_div_zero 0
		.amdhsa_exception_fp_ieee_overflow 0
		.amdhsa_exception_fp_ieee_underflow 0
		.amdhsa_exception_fp_ieee_inexact 0
		.amdhsa_exception_int_div_zero 0
	.end_amdhsa_kernel
	.section	.text._ZN7rocprim17ROCPRIM_400000_NS6detail17trampoline_kernelINS0_14default_configENS1_20scan_config_selectorIxEEZZNS1_9scan_implILNS1_25lookback_scan_determinismE0ELb0ELb0ES3_N6thrust23THRUST_200600_302600_NS6detail15normal_iteratorINS9_10device_ptrIxEEEENS9_16discard_iteratorINS9_11use_defaultEEExNS9_4plusIvEExEEDaPvRmT3_T4_T5_mT6_P12ihipStream_tbENKUlT_T0_E_clISt17integral_constantIbLb0EESX_EEDaSS_ST_EUlSS_E0_NS1_11comp_targetILNS1_3genE10ELNS1_11target_archE1201ELNS1_3gpuE5ELNS1_3repE0EEENS1_30default_config_static_selectorELNS0_4arch9wavefront6targetE1EEEvT1_,"axG",@progbits,_ZN7rocprim17ROCPRIM_400000_NS6detail17trampoline_kernelINS0_14default_configENS1_20scan_config_selectorIxEEZZNS1_9scan_implILNS1_25lookback_scan_determinismE0ELb0ELb0ES3_N6thrust23THRUST_200600_302600_NS6detail15normal_iteratorINS9_10device_ptrIxEEEENS9_16discard_iteratorINS9_11use_defaultEEExNS9_4plusIvEExEEDaPvRmT3_T4_T5_mT6_P12ihipStream_tbENKUlT_T0_E_clISt17integral_constantIbLb0EESX_EEDaSS_ST_EUlSS_E0_NS1_11comp_targetILNS1_3genE10ELNS1_11target_archE1201ELNS1_3gpuE5ELNS1_3repE0EEENS1_30default_config_static_selectorELNS0_4arch9wavefront6targetE1EEEvT1_,comdat
.Lfunc_end5596:
	.size	_ZN7rocprim17ROCPRIM_400000_NS6detail17trampoline_kernelINS0_14default_configENS1_20scan_config_selectorIxEEZZNS1_9scan_implILNS1_25lookback_scan_determinismE0ELb0ELb0ES3_N6thrust23THRUST_200600_302600_NS6detail15normal_iteratorINS9_10device_ptrIxEEEENS9_16discard_iteratorINS9_11use_defaultEEExNS9_4plusIvEExEEDaPvRmT3_T4_T5_mT6_P12ihipStream_tbENKUlT_T0_E_clISt17integral_constantIbLb0EESX_EEDaSS_ST_EUlSS_E0_NS1_11comp_targetILNS1_3genE10ELNS1_11target_archE1201ELNS1_3gpuE5ELNS1_3repE0EEENS1_30default_config_static_selectorELNS0_4arch9wavefront6targetE1EEEvT1_, .Lfunc_end5596-_ZN7rocprim17ROCPRIM_400000_NS6detail17trampoline_kernelINS0_14default_configENS1_20scan_config_selectorIxEEZZNS1_9scan_implILNS1_25lookback_scan_determinismE0ELb0ELb0ES3_N6thrust23THRUST_200600_302600_NS6detail15normal_iteratorINS9_10device_ptrIxEEEENS9_16discard_iteratorINS9_11use_defaultEEExNS9_4plusIvEExEEDaPvRmT3_T4_T5_mT6_P12ihipStream_tbENKUlT_T0_E_clISt17integral_constantIbLb0EESX_EEDaSS_ST_EUlSS_E0_NS1_11comp_targetILNS1_3genE10ELNS1_11target_archE1201ELNS1_3gpuE5ELNS1_3repE0EEENS1_30default_config_static_selectorELNS0_4arch9wavefront6targetE1EEEvT1_
                                        ; -- End function
	.section	.AMDGPU.csdata,"",@progbits
; Kernel info:
; codeLenInByte = 0
; NumSgprs: 4
; NumVgprs: 0
; NumAgprs: 0
; TotalNumVgprs: 0
; ScratchSize: 0
; MemoryBound: 0
; FloatMode: 240
; IeeeMode: 1
; LDSByteSize: 0 bytes/workgroup (compile time only)
; SGPRBlocks: 0
; VGPRBlocks: 0
; NumSGPRsForWavesPerEU: 4
; NumVGPRsForWavesPerEU: 1
; AccumOffset: 4
; Occupancy: 8
; WaveLimiterHint : 0
; COMPUTE_PGM_RSRC2:SCRATCH_EN: 0
; COMPUTE_PGM_RSRC2:USER_SGPR: 6
; COMPUTE_PGM_RSRC2:TRAP_HANDLER: 0
; COMPUTE_PGM_RSRC2:TGID_X_EN: 1
; COMPUTE_PGM_RSRC2:TGID_Y_EN: 0
; COMPUTE_PGM_RSRC2:TGID_Z_EN: 0
; COMPUTE_PGM_RSRC2:TIDIG_COMP_CNT: 0
; COMPUTE_PGM_RSRC3_GFX90A:ACCUM_OFFSET: 0
; COMPUTE_PGM_RSRC3_GFX90A:TG_SPLIT: 0
	.section	.text._ZN7rocprim17ROCPRIM_400000_NS6detail17trampoline_kernelINS0_14default_configENS1_20scan_config_selectorIxEEZZNS1_9scan_implILNS1_25lookback_scan_determinismE0ELb0ELb0ES3_N6thrust23THRUST_200600_302600_NS6detail15normal_iteratorINS9_10device_ptrIxEEEENS9_16discard_iteratorINS9_11use_defaultEEExNS9_4plusIvEExEEDaPvRmT3_T4_T5_mT6_P12ihipStream_tbENKUlT_T0_E_clISt17integral_constantIbLb0EESX_EEDaSS_ST_EUlSS_E0_NS1_11comp_targetILNS1_3genE10ELNS1_11target_archE1200ELNS1_3gpuE4ELNS1_3repE0EEENS1_30default_config_static_selectorELNS0_4arch9wavefront6targetE1EEEvT1_,"axG",@progbits,_ZN7rocprim17ROCPRIM_400000_NS6detail17trampoline_kernelINS0_14default_configENS1_20scan_config_selectorIxEEZZNS1_9scan_implILNS1_25lookback_scan_determinismE0ELb0ELb0ES3_N6thrust23THRUST_200600_302600_NS6detail15normal_iteratorINS9_10device_ptrIxEEEENS9_16discard_iteratorINS9_11use_defaultEEExNS9_4plusIvEExEEDaPvRmT3_T4_T5_mT6_P12ihipStream_tbENKUlT_T0_E_clISt17integral_constantIbLb0EESX_EEDaSS_ST_EUlSS_E0_NS1_11comp_targetILNS1_3genE10ELNS1_11target_archE1200ELNS1_3gpuE4ELNS1_3repE0EEENS1_30default_config_static_selectorELNS0_4arch9wavefront6targetE1EEEvT1_,comdat
	.protected	_ZN7rocprim17ROCPRIM_400000_NS6detail17trampoline_kernelINS0_14default_configENS1_20scan_config_selectorIxEEZZNS1_9scan_implILNS1_25lookback_scan_determinismE0ELb0ELb0ES3_N6thrust23THRUST_200600_302600_NS6detail15normal_iteratorINS9_10device_ptrIxEEEENS9_16discard_iteratorINS9_11use_defaultEEExNS9_4plusIvEExEEDaPvRmT3_T4_T5_mT6_P12ihipStream_tbENKUlT_T0_E_clISt17integral_constantIbLb0EESX_EEDaSS_ST_EUlSS_E0_NS1_11comp_targetILNS1_3genE10ELNS1_11target_archE1200ELNS1_3gpuE4ELNS1_3repE0EEENS1_30default_config_static_selectorELNS0_4arch9wavefront6targetE1EEEvT1_ ; -- Begin function _ZN7rocprim17ROCPRIM_400000_NS6detail17trampoline_kernelINS0_14default_configENS1_20scan_config_selectorIxEEZZNS1_9scan_implILNS1_25lookback_scan_determinismE0ELb0ELb0ES3_N6thrust23THRUST_200600_302600_NS6detail15normal_iteratorINS9_10device_ptrIxEEEENS9_16discard_iteratorINS9_11use_defaultEEExNS9_4plusIvEExEEDaPvRmT3_T4_T5_mT6_P12ihipStream_tbENKUlT_T0_E_clISt17integral_constantIbLb0EESX_EEDaSS_ST_EUlSS_E0_NS1_11comp_targetILNS1_3genE10ELNS1_11target_archE1200ELNS1_3gpuE4ELNS1_3repE0EEENS1_30default_config_static_selectorELNS0_4arch9wavefront6targetE1EEEvT1_
	.globl	_ZN7rocprim17ROCPRIM_400000_NS6detail17trampoline_kernelINS0_14default_configENS1_20scan_config_selectorIxEEZZNS1_9scan_implILNS1_25lookback_scan_determinismE0ELb0ELb0ES3_N6thrust23THRUST_200600_302600_NS6detail15normal_iteratorINS9_10device_ptrIxEEEENS9_16discard_iteratorINS9_11use_defaultEEExNS9_4plusIvEExEEDaPvRmT3_T4_T5_mT6_P12ihipStream_tbENKUlT_T0_E_clISt17integral_constantIbLb0EESX_EEDaSS_ST_EUlSS_E0_NS1_11comp_targetILNS1_3genE10ELNS1_11target_archE1200ELNS1_3gpuE4ELNS1_3repE0EEENS1_30default_config_static_selectorELNS0_4arch9wavefront6targetE1EEEvT1_
	.p2align	8
	.type	_ZN7rocprim17ROCPRIM_400000_NS6detail17trampoline_kernelINS0_14default_configENS1_20scan_config_selectorIxEEZZNS1_9scan_implILNS1_25lookback_scan_determinismE0ELb0ELb0ES3_N6thrust23THRUST_200600_302600_NS6detail15normal_iteratorINS9_10device_ptrIxEEEENS9_16discard_iteratorINS9_11use_defaultEEExNS9_4plusIvEExEEDaPvRmT3_T4_T5_mT6_P12ihipStream_tbENKUlT_T0_E_clISt17integral_constantIbLb0EESX_EEDaSS_ST_EUlSS_E0_NS1_11comp_targetILNS1_3genE10ELNS1_11target_archE1200ELNS1_3gpuE4ELNS1_3repE0EEENS1_30default_config_static_selectorELNS0_4arch9wavefront6targetE1EEEvT1_,@function
_ZN7rocprim17ROCPRIM_400000_NS6detail17trampoline_kernelINS0_14default_configENS1_20scan_config_selectorIxEEZZNS1_9scan_implILNS1_25lookback_scan_determinismE0ELb0ELb0ES3_N6thrust23THRUST_200600_302600_NS6detail15normal_iteratorINS9_10device_ptrIxEEEENS9_16discard_iteratorINS9_11use_defaultEEExNS9_4plusIvEExEEDaPvRmT3_T4_T5_mT6_P12ihipStream_tbENKUlT_T0_E_clISt17integral_constantIbLb0EESX_EEDaSS_ST_EUlSS_E0_NS1_11comp_targetILNS1_3genE10ELNS1_11target_archE1200ELNS1_3gpuE4ELNS1_3repE0EEENS1_30default_config_static_selectorELNS0_4arch9wavefront6targetE1EEEvT1_: ; @_ZN7rocprim17ROCPRIM_400000_NS6detail17trampoline_kernelINS0_14default_configENS1_20scan_config_selectorIxEEZZNS1_9scan_implILNS1_25lookback_scan_determinismE0ELb0ELb0ES3_N6thrust23THRUST_200600_302600_NS6detail15normal_iteratorINS9_10device_ptrIxEEEENS9_16discard_iteratorINS9_11use_defaultEEExNS9_4plusIvEExEEDaPvRmT3_T4_T5_mT6_P12ihipStream_tbENKUlT_T0_E_clISt17integral_constantIbLb0EESX_EEDaSS_ST_EUlSS_E0_NS1_11comp_targetILNS1_3genE10ELNS1_11target_archE1200ELNS1_3gpuE4ELNS1_3repE0EEENS1_30default_config_static_selectorELNS0_4arch9wavefront6targetE1EEEvT1_
; %bb.0:
	.section	.rodata,"a",@progbits
	.p2align	6, 0x0
	.amdhsa_kernel _ZN7rocprim17ROCPRIM_400000_NS6detail17trampoline_kernelINS0_14default_configENS1_20scan_config_selectorIxEEZZNS1_9scan_implILNS1_25lookback_scan_determinismE0ELb0ELb0ES3_N6thrust23THRUST_200600_302600_NS6detail15normal_iteratorINS9_10device_ptrIxEEEENS9_16discard_iteratorINS9_11use_defaultEEExNS9_4plusIvEExEEDaPvRmT3_T4_T5_mT6_P12ihipStream_tbENKUlT_T0_E_clISt17integral_constantIbLb0EESX_EEDaSS_ST_EUlSS_E0_NS1_11comp_targetILNS1_3genE10ELNS1_11target_archE1200ELNS1_3gpuE4ELNS1_3repE0EEENS1_30default_config_static_selectorELNS0_4arch9wavefront6targetE1EEEvT1_
		.amdhsa_group_segment_fixed_size 0
		.amdhsa_private_segment_fixed_size 0
		.amdhsa_kernarg_size 48
		.amdhsa_user_sgpr_count 6
		.amdhsa_user_sgpr_private_segment_buffer 1
		.amdhsa_user_sgpr_dispatch_ptr 0
		.amdhsa_user_sgpr_queue_ptr 0
		.amdhsa_user_sgpr_kernarg_segment_ptr 1
		.amdhsa_user_sgpr_dispatch_id 0
		.amdhsa_user_sgpr_flat_scratch_init 0
		.amdhsa_user_sgpr_kernarg_preload_length 0
		.amdhsa_user_sgpr_kernarg_preload_offset 0
		.amdhsa_user_sgpr_private_segment_size 0
		.amdhsa_uses_dynamic_stack 0
		.amdhsa_system_sgpr_private_segment_wavefront_offset 0
		.amdhsa_system_sgpr_workgroup_id_x 1
		.amdhsa_system_sgpr_workgroup_id_y 0
		.amdhsa_system_sgpr_workgroup_id_z 0
		.amdhsa_system_sgpr_workgroup_info 0
		.amdhsa_system_vgpr_workitem_id 0
		.amdhsa_next_free_vgpr 1
		.amdhsa_next_free_sgpr 0
		.amdhsa_accum_offset 4
		.amdhsa_reserve_vcc 0
		.amdhsa_reserve_flat_scratch 0
		.amdhsa_float_round_mode_32 0
		.amdhsa_float_round_mode_16_64 0
		.amdhsa_float_denorm_mode_32 3
		.amdhsa_float_denorm_mode_16_64 3
		.amdhsa_dx10_clamp 1
		.amdhsa_ieee_mode 1
		.amdhsa_fp16_overflow 0
		.amdhsa_tg_split 0
		.amdhsa_exception_fp_ieee_invalid_op 0
		.amdhsa_exception_fp_denorm_src 0
		.amdhsa_exception_fp_ieee_div_zero 0
		.amdhsa_exception_fp_ieee_overflow 0
		.amdhsa_exception_fp_ieee_underflow 0
		.amdhsa_exception_fp_ieee_inexact 0
		.amdhsa_exception_int_div_zero 0
	.end_amdhsa_kernel
	.section	.text._ZN7rocprim17ROCPRIM_400000_NS6detail17trampoline_kernelINS0_14default_configENS1_20scan_config_selectorIxEEZZNS1_9scan_implILNS1_25lookback_scan_determinismE0ELb0ELb0ES3_N6thrust23THRUST_200600_302600_NS6detail15normal_iteratorINS9_10device_ptrIxEEEENS9_16discard_iteratorINS9_11use_defaultEEExNS9_4plusIvEExEEDaPvRmT3_T4_T5_mT6_P12ihipStream_tbENKUlT_T0_E_clISt17integral_constantIbLb0EESX_EEDaSS_ST_EUlSS_E0_NS1_11comp_targetILNS1_3genE10ELNS1_11target_archE1200ELNS1_3gpuE4ELNS1_3repE0EEENS1_30default_config_static_selectorELNS0_4arch9wavefront6targetE1EEEvT1_,"axG",@progbits,_ZN7rocprim17ROCPRIM_400000_NS6detail17trampoline_kernelINS0_14default_configENS1_20scan_config_selectorIxEEZZNS1_9scan_implILNS1_25lookback_scan_determinismE0ELb0ELb0ES3_N6thrust23THRUST_200600_302600_NS6detail15normal_iteratorINS9_10device_ptrIxEEEENS9_16discard_iteratorINS9_11use_defaultEEExNS9_4plusIvEExEEDaPvRmT3_T4_T5_mT6_P12ihipStream_tbENKUlT_T0_E_clISt17integral_constantIbLb0EESX_EEDaSS_ST_EUlSS_E0_NS1_11comp_targetILNS1_3genE10ELNS1_11target_archE1200ELNS1_3gpuE4ELNS1_3repE0EEENS1_30default_config_static_selectorELNS0_4arch9wavefront6targetE1EEEvT1_,comdat
.Lfunc_end5597:
	.size	_ZN7rocprim17ROCPRIM_400000_NS6detail17trampoline_kernelINS0_14default_configENS1_20scan_config_selectorIxEEZZNS1_9scan_implILNS1_25lookback_scan_determinismE0ELb0ELb0ES3_N6thrust23THRUST_200600_302600_NS6detail15normal_iteratorINS9_10device_ptrIxEEEENS9_16discard_iteratorINS9_11use_defaultEEExNS9_4plusIvEExEEDaPvRmT3_T4_T5_mT6_P12ihipStream_tbENKUlT_T0_E_clISt17integral_constantIbLb0EESX_EEDaSS_ST_EUlSS_E0_NS1_11comp_targetILNS1_3genE10ELNS1_11target_archE1200ELNS1_3gpuE4ELNS1_3repE0EEENS1_30default_config_static_selectorELNS0_4arch9wavefront6targetE1EEEvT1_, .Lfunc_end5597-_ZN7rocprim17ROCPRIM_400000_NS6detail17trampoline_kernelINS0_14default_configENS1_20scan_config_selectorIxEEZZNS1_9scan_implILNS1_25lookback_scan_determinismE0ELb0ELb0ES3_N6thrust23THRUST_200600_302600_NS6detail15normal_iteratorINS9_10device_ptrIxEEEENS9_16discard_iteratorINS9_11use_defaultEEExNS9_4plusIvEExEEDaPvRmT3_T4_T5_mT6_P12ihipStream_tbENKUlT_T0_E_clISt17integral_constantIbLb0EESX_EEDaSS_ST_EUlSS_E0_NS1_11comp_targetILNS1_3genE10ELNS1_11target_archE1200ELNS1_3gpuE4ELNS1_3repE0EEENS1_30default_config_static_selectorELNS0_4arch9wavefront6targetE1EEEvT1_
                                        ; -- End function
	.section	.AMDGPU.csdata,"",@progbits
; Kernel info:
; codeLenInByte = 0
; NumSgprs: 4
; NumVgprs: 0
; NumAgprs: 0
; TotalNumVgprs: 0
; ScratchSize: 0
; MemoryBound: 0
; FloatMode: 240
; IeeeMode: 1
; LDSByteSize: 0 bytes/workgroup (compile time only)
; SGPRBlocks: 0
; VGPRBlocks: 0
; NumSGPRsForWavesPerEU: 4
; NumVGPRsForWavesPerEU: 1
; AccumOffset: 4
; Occupancy: 8
; WaveLimiterHint : 0
; COMPUTE_PGM_RSRC2:SCRATCH_EN: 0
; COMPUTE_PGM_RSRC2:USER_SGPR: 6
; COMPUTE_PGM_RSRC2:TRAP_HANDLER: 0
; COMPUTE_PGM_RSRC2:TGID_X_EN: 1
; COMPUTE_PGM_RSRC2:TGID_Y_EN: 0
; COMPUTE_PGM_RSRC2:TGID_Z_EN: 0
; COMPUTE_PGM_RSRC2:TIDIG_COMP_CNT: 0
; COMPUTE_PGM_RSRC3_GFX90A:ACCUM_OFFSET: 0
; COMPUTE_PGM_RSRC3_GFX90A:TG_SPLIT: 0
	.section	.text._ZN7rocprim17ROCPRIM_400000_NS6detail17trampoline_kernelINS0_14default_configENS1_20scan_config_selectorIxEEZZNS1_9scan_implILNS1_25lookback_scan_determinismE0ELb0ELb0ES3_N6thrust23THRUST_200600_302600_NS6detail15normal_iteratorINS9_10device_ptrIxEEEENS9_16discard_iteratorINS9_11use_defaultEEExNS9_4plusIvEExEEDaPvRmT3_T4_T5_mT6_P12ihipStream_tbENKUlT_T0_E_clISt17integral_constantIbLb0EESX_EEDaSS_ST_EUlSS_E0_NS1_11comp_targetILNS1_3genE9ELNS1_11target_archE1100ELNS1_3gpuE3ELNS1_3repE0EEENS1_30default_config_static_selectorELNS0_4arch9wavefront6targetE1EEEvT1_,"axG",@progbits,_ZN7rocprim17ROCPRIM_400000_NS6detail17trampoline_kernelINS0_14default_configENS1_20scan_config_selectorIxEEZZNS1_9scan_implILNS1_25lookback_scan_determinismE0ELb0ELb0ES3_N6thrust23THRUST_200600_302600_NS6detail15normal_iteratorINS9_10device_ptrIxEEEENS9_16discard_iteratorINS9_11use_defaultEEExNS9_4plusIvEExEEDaPvRmT3_T4_T5_mT6_P12ihipStream_tbENKUlT_T0_E_clISt17integral_constantIbLb0EESX_EEDaSS_ST_EUlSS_E0_NS1_11comp_targetILNS1_3genE9ELNS1_11target_archE1100ELNS1_3gpuE3ELNS1_3repE0EEENS1_30default_config_static_selectorELNS0_4arch9wavefront6targetE1EEEvT1_,comdat
	.protected	_ZN7rocprim17ROCPRIM_400000_NS6detail17trampoline_kernelINS0_14default_configENS1_20scan_config_selectorIxEEZZNS1_9scan_implILNS1_25lookback_scan_determinismE0ELb0ELb0ES3_N6thrust23THRUST_200600_302600_NS6detail15normal_iteratorINS9_10device_ptrIxEEEENS9_16discard_iteratorINS9_11use_defaultEEExNS9_4plusIvEExEEDaPvRmT3_T4_T5_mT6_P12ihipStream_tbENKUlT_T0_E_clISt17integral_constantIbLb0EESX_EEDaSS_ST_EUlSS_E0_NS1_11comp_targetILNS1_3genE9ELNS1_11target_archE1100ELNS1_3gpuE3ELNS1_3repE0EEENS1_30default_config_static_selectorELNS0_4arch9wavefront6targetE1EEEvT1_ ; -- Begin function _ZN7rocprim17ROCPRIM_400000_NS6detail17trampoline_kernelINS0_14default_configENS1_20scan_config_selectorIxEEZZNS1_9scan_implILNS1_25lookback_scan_determinismE0ELb0ELb0ES3_N6thrust23THRUST_200600_302600_NS6detail15normal_iteratorINS9_10device_ptrIxEEEENS9_16discard_iteratorINS9_11use_defaultEEExNS9_4plusIvEExEEDaPvRmT3_T4_T5_mT6_P12ihipStream_tbENKUlT_T0_E_clISt17integral_constantIbLb0EESX_EEDaSS_ST_EUlSS_E0_NS1_11comp_targetILNS1_3genE9ELNS1_11target_archE1100ELNS1_3gpuE3ELNS1_3repE0EEENS1_30default_config_static_selectorELNS0_4arch9wavefront6targetE1EEEvT1_
	.globl	_ZN7rocprim17ROCPRIM_400000_NS6detail17trampoline_kernelINS0_14default_configENS1_20scan_config_selectorIxEEZZNS1_9scan_implILNS1_25lookback_scan_determinismE0ELb0ELb0ES3_N6thrust23THRUST_200600_302600_NS6detail15normal_iteratorINS9_10device_ptrIxEEEENS9_16discard_iteratorINS9_11use_defaultEEExNS9_4plusIvEExEEDaPvRmT3_T4_T5_mT6_P12ihipStream_tbENKUlT_T0_E_clISt17integral_constantIbLb0EESX_EEDaSS_ST_EUlSS_E0_NS1_11comp_targetILNS1_3genE9ELNS1_11target_archE1100ELNS1_3gpuE3ELNS1_3repE0EEENS1_30default_config_static_selectorELNS0_4arch9wavefront6targetE1EEEvT1_
	.p2align	8
	.type	_ZN7rocprim17ROCPRIM_400000_NS6detail17trampoline_kernelINS0_14default_configENS1_20scan_config_selectorIxEEZZNS1_9scan_implILNS1_25lookback_scan_determinismE0ELb0ELb0ES3_N6thrust23THRUST_200600_302600_NS6detail15normal_iteratorINS9_10device_ptrIxEEEENS9_16discard_iteratorINS9_11use_defaultEEExNS9_4plusIvEExEEDaPvRmT3_T4_T5_mT6_P12ihipStream_tbENKUlT_T0_E_clISt17integral_constantIbLb0EESX_EEDaSS_ST_EUlSS_E0_NS1_11comp_targetILNS1_3genE9ELNS1_11target_archE1100ELNS1_3gpuE3ELNS1_3repE0EEENS1_30default_config_static_selectorELNS0_4arch9wavefront6targetE1EEEvT1_,@function
_ZN7rocprim17ROCPRIM_400000_NS6detail17trampoline_kernelINS0_14default_configENS1_20scan_config_selectorIxEEZZNS1_9scan_implILNS1_25lookback_scan_determinismE0ELb0ELb0ES3_N6thrust23THRUST_200600_302600_NS6detail15normal_iteratorINS9_10device_ptrIxEEEENS9_16discard_iteratorINS9_11use_defaultEEExNS9_4plusIvEExEEDaPvRmT3_T4_T5_mT6_P12ihipStream_tbENKUlT_T0_E_clISt17integral_constantIbLb0EESX_EEDaSS_ST_EUlSS_E0_NS1_11comp_targetILNS1_3genE9ELNS1_11target_archE1100ELNS1_3gpuE3ELNS1_3repE0EEENS1_30default_config_static_selectorELNS0_4arch9wavefront6targetE1EEEvT1_: ; @_ZN7rocprim17ROCPRIM_400000_NS6detail17trampoline_kernelINS0_14default_configENS1_20scan_config_selectorIxEEZZNS1_9scan_implILNS1_25lookback_scan_determinismE0ELb0ELb0ES3_N6thrust23THRUST_200600_302600_NS6detail15normal_iteratorINS9_10device_ptrIxEEEENS9_16discard_iteratorINS9_11use_defaultEEExNS9_4plusIvEExEEDaPvRmT3_T4_T5_mT6_P12ihipStream_tbENKUlT_T0_E_clISt17integral_constantIbLb0EESX_EEDaSS_ST_EUlSS_E0_NS1_11comp_targetILNS1_3genE9ELNS1_11target_archE1100ELNS1_3gpuE3ELNS1_3repE0EEENS1_30default_config_static_selectorELNS0_4arch9wavefront6targetE1EEEvT1_
; %bb.0:
	.section	.rodata,"a",@progbits
	.p2align	6, 0x0
	.amdhsa_kernel _ZN7rocprim17ROCPRIM_400000_NS6detail17trampoline_kernelINS0_14default_configENS1_20scan_config_selectorIxEEZZNS1_9scan_implILNS1_25lookback_scan_determinismE0ELb0ELb0ES3_N6thrust23THRUST_200600_302600_NS6detail15normal_iteratorINS9_10device_ptrIxEEEENS9_16discard_iteratorINS9_11use_defaultEEExNS9_4plusIvEExEEDaPvRmT3_T4_T5_mT6_P12ihipStream_tbENKUlT_T0_E_clISt17integral_constantIbLb0EESX_EEDaSS_ST_EUlSS_E0_NS1_11comp_targetILNS1_3genE9ELNS1_11target_archE1100ELNS1_3gpuE3ELNS1_3repE0EEENS1_30default_config_static_selectorELNS0_4arch9wavefront6targetE1EEEvT1_
		.amdhsa_group_segment_fixed_size 0
		.amdhsa_private_segment_fixed_size 0
		.amdhsa_kernarg_size 48
		.amdhsa_user_sgpr_count 6
		.amdhsa_user_sgpr_private_segment_buffer 1
		.amdhsa_user_sgpr_dispatch_ptr 0
		.amdhsa_user_sgpr_queue_ptr 0
		.amdhsa_user_sgpr_kernarg_segment_ptr 1
		.amdhsa_user_sgpr_dispatch_id 0
		.amdhsa_user_sgpr_flat_scratch_init 0
		.amdhsa_user_sgpr_kernarg_preload_length 0
		.amdhsa_user_sgpr_kernarg_preload_offset 0
		.amdhsa_user_sgpr_private_segment_size 0
		.amdhsa_uses_dynamic_stack 0
		.amdhsa_system_sgpr_private_segment_wavefront_offset 0
		.amdhsa_system_sgpr_workgroup_id_x 1
		.amdhsa_system_sgpr_workgroup_id_y 0
		.amdhsa_system_sgpr_workgroup_id_z 0
		.amdhsa_system_sgpr_workgroup_info 0
		.amdhsa_system_vgpr_workitem_id 0
		.amdhsa_next_free_vgpr 1
		.amdhsa_next_free_sgpr 0
		.amdhsa_accum_offset 4
		.amdhsa_reserve_vcc 0
		.amdhsa_reserve_flat_scratch 0
		.amdhsa_float_round_mode_32 0
		.amdhsa_float_round_mode_16_64 0
		.amdhsa_float_denorm_mode_32 3
		.amdhsa_float_denorm_mode_16_64 3
		.amdhsa_dx10_clamp 1
		.amdhsa_ieee_mode 1
		.amdhsa_fp16_overflow 0
		.amdhsa_tg_split 0
		.amdhsa_exception_fp_ieee_invalid_op 0
		.amdhsa_exception_fp_denorm_src 0
		.amdhsa_exception_fp_ieee_div_zero 0
		.amdhsa_exception_fp_ieee_overflow 0
		.amdhsa_exception_fp_ieee_underflow 0
		.amdhsa_exception_fp_ieee_inexact 0
		.amdhsa_exception_int_div_zero 0
	.end_amdhsa_kernel
	.section	.text._ZN7rocprim17ROCPRIM_400000_NS6detail17trampoline_kernelINS0_14default_configENS1_20scan_config_selectorIxEEZZNS1_9scan_implILNS1_25lookback_scan_determinismE0ELb0ELb0ES3_N6thrust23THRUST_200600_302600_NS6detail15normal_iteratorINS9_10device_ptrIxEEEENS9_16discard_iteratorINS9_11use_defaultEEExNS9_4plusIvEExEEDaPvRmT3_T4_T5_mT6_P12ihipStream_tbENKUlT_T0_E_clISt17integral_constantIbLb0EESX_EEDaSS_ST_EUlSS_E0_NS1_11comp_targetILNS1_3genE9ELNS1_11target_archE1100ELNS1_3gpuE3ELNS1_3repE0EEENS1_30default_config_static_selectorELNS0_4arch9wavefront6targetE1EEEvT1_,"axG",@progbits,_ZN7rocprim17ROCPRIM_400000_NS6detail17trampoline_kernelINS0_14default_configENS1_20scan_config_selectorIxEEZZNS1_9scan_implILNS1_25lookback_scan_determinismE0ELb0ELb0ES3_N6thrust23THRUST_200600_302600_NS6detail15normal_iteratorINS9_10device_ptrIxEEEENS9_16discard_iteratorINS9_11use_defaultEEExNS9_4plusIvEExEEDaPvRmT3_T4_T5_mT6_P12ihipStream_tbENKUlT_T0_E_clISt17integral_constantIbLb0EESX_EEDaSS_ST_EUlSS_E0_NS1_11comp_targetILNS1_3genE9ELNS1_11target_archE1100ELNS1_3gpuE3ELNS1_3repE0EEENS1_30default_config_static_selectorELNS0_4arch9wavefront6targetE1EEEvT1_,comdat
.Lfunc_end5598:
	.size	_ZN7rocprim17ROCPRIM_400000_NS6detail17trampoline_kernelINS0_14default_configENS1_20scan_config_selectorIxEEZZNS1_9scan_implILNS1_25lookback_scan_determinismE0ELb0ELb0ES3_N6thrust23THRUST_200600_302600_NS6detail15normal_iteratorINS9_10device_ptrIxEEEENS9_16discard_iteratorINS9_11use_defaultEEExNS9_4plusIvEExEEDaPvRmT3_T4_T5_mT6_P12ihipStream_tbENKUlT_T0_E_clISt17integral_constantIbLb0EESX_EEDaSS_ST_EUlSS_E0_NS1_11comp_targetILNS1_3genE9ELNS1_11target_archE1100ELNS1_3gpuE3ELNS1_3repE0EEENS1_30default_config_static_selectorELNS0_4arch9wavefront6targetE1EEEvT1_, .Lfunc_end5598-_ZN7rocprim17ROCPRIM_400000_NS6detail17trampoline_kernelINS0_14default_configENS1_20scan_config_selectorIxEEZZNS1_9scan_implILNS1_25lookback_scan_determinismE0ELb0ELb0ES3_N6thrust23THRUST_200600_302600_NS6detail15normal_iteratorINS9_10device_ptrIxEEEENS9_16discard_iteratorINS9_11use_defaultEEExNS9_4plusIvEExEEDaPvRmT3_T4_T5_mT6_P12ihipStream_tbENKUlT_T0_E_clISt17integral_constantIbLb0EESX_EEDaSS_ST_EUlSS_E0_NS1_11comp_targetILNS1_3genE9ELNS1_11target_archE1100ELNS1_3gpuE3ELNS1_3repE0EEENS1_30default_config_static_selectorELNS0_4arch9wavefront6targetE1EEEvT1_
                                        ; -- End function
	.section	.AMDGPU.csdata,"",@progbits
; Kernel info:
; codeLenInByte = 0
; NumSgprs: 4
; NumVgprs: 0
; NumAgprs: 0
; TotalNumVgprs: 0
; ScratchSize: 0
; MemoryBound: 0
; FloatMode: 240
; IeeeMode: 1
; LDSByteSize: 0 bytes/workgroup (compile time only)
; SGPRBlocks: 0
; VGPRBlocks: 0
; NumSGPRsForWavesPerEU: 4
; NumVGPRsForWavesPerEU: 1
; AccumOffset: 4
; Occupancy: 8
; WaveLimiterHint : 0
; COMPUTE_PGM_RSRC2:SCRATCH_EN: 0
; COMPUTE_PGM_RSRC2:USER_SGPR: 6
; COMPUTE_PGM_RSRC2:TRAP_HANDLER: 0
; COMPUTE_PGM_RSRC2:TGID_X_EN: 1
; COMPUTE_PGM_RSRC2:TGID_Y_EN: 0
; COMPUTE_PGM_RSRC2:TGID_Z_EN: 0
; COMPUTE_PGM_RSRC2:TIDIG_COMP_CNT: 0
; COMPUTE_PGM_RSRC3_GFX90A:ACCUM_OFFSET: 0
; COMPUTE_PGM_RSRC3_GFX90A:TG_SPLIT: 0
	.section	.text._ZN7rocprim17ROCPRIM_400000_NS6detail17trampoline_kernelINS0_14default_configENS1_20scan_config_selectorIxEEZZNS1_9scan_implILNS1_25lookback_scan_determinismE0ELb0ELb0ES3_N6thrust23THRUST_200600_302600_NS6detail15normal_iteratorINS9_10device_ptrIxEEEENS9_16discard_iteratorINS9_11use_defaultEEExNS9_4plusIvEExEEDaPvRmT3_T4_T5_mT6_P12ihipStream_tbENKUlT_T0_E_clISt17integral_constantIbLb0EESX_EEDaSS_ST_EUlSS_E0_NS1_11comp_targetILNS1_3genE8ELNS1_11target_archE1030ELNS1_3gpuE2ELNS1_3repE0EEENS1_30default_config_static_selectorELNS0_4arch9wavefront6targetE1EEEvT1_,"axG",@progbits,_ZN7rocprim17ROCPRIM_400000_NS6detail17trampoline_kernelINS0_14default_configENS1_20scan_config_selectorIxEEZZNS1_9scan_implILNS1_25lookback_scan_determinismE0ELb0ELb0ES3_N6thrust23THRUST_200600_302600_NS6detail15normal_iteratorINS9_10device_ptrIxEEEENS9_16discard_iteratorINS9_11use_defaultEEExNS9_4plusIvEExEEDaPvRmT3_T4_T5_mT6_P12ihipStream_tbENKUlT_T0_E_clISt17integral_constantIbLb0EESX_EEDaSS_ST_EUlSS_E0_NS1_11comp_targetILNS1_3genE8ELNS1_11target_archE1030ELNS1_3gpuE2ELNS1_3repE0EEENS1_30default_config_static_selectorELNS0_4arch9wavefront6targetE1EEEvT1_,comdat
	.protected	_ZN7rocprim17ROCPRIM_400000_NS6detail17trampoline_kernelINS0_14default_configENS1_20scan_config_selectorIxEEZZNS1_9scan_implILNS1_25lookback_scan_determinismE0ELb0ELb0ES3_N6thrust23THRUST_200600_302600_NS6detail15normal_iteratorINS9_10device_ptrIxEEEENS9_16discard_iteratorINS9_11use_defaultEEExNS9_4plusIvEExEEDaPvRmT3_T4_T5_mT6_P12ihipStream_tbENKUlT_T0_E_clISt17integral_constantIbLb0EESX_EEDaSS_ST_EUlSS_E0_NS1_11comp_targetILNS1_3genE8ELNS1_11target_archE1030ELNS1_3gpuE2ELNS1_3repE0EEENS1_30default_config_static_selectorELNS0_4arch9wavefront6targetE1EEEvT1_ ; -- Begin function _ZN7rocprim17ROCPRIM_400000_NS6detail17trampoline_kernelINS0_14default_configENS1_20scan_config_selectorIxEEZZNS1_9scan_implILNS1_25lookback_scan_determinismE0ELb0ELb0ES3_N6thrust23THRUST_200600_302600_NS6detail15normal_iteratorINS9_10device_ptrIxEEEENS9_16discard_iteratorINS9_11use_defaultEEExNS9_4plusIvEExEEDaPvRmT3_T4_T5_mT6_P12ihipStream_tbENKUlT_T0_E_clISt17integral_constantIbLb0EESX_EEDaSS_ST_EUlSS_E0_NS1_11comp_targetILNS1_3genE8ELNS1_11target_archE1030ELNS1_3gpuE2ELNS1_3repE0EEENS1_30default_config_static_selectorELNS0_4arch9wavefront6targetE1EEEvT1_
	.globl	_ZN7rocprim17ROCPRIM_400000_NS6detail17trampoline_kernelINS0_14default_configENS1_20scan_config_selectorIxEEZZNS1_9scan_implILNS1_25lookback_scan_determinismE0ELb0ELb0ES3_N6thrust23THRUST_200600_302600_NS6detail15normal_iteratorINS9_10device_ptrIxEEEENS9_16discard_iteratorINS9_11use_defaultEEExNS9_4plusIvEExEEDaPvRmT3_T4_T5_mT6_P12ihipStream_tbENKUlT_T0_E_clISt17integral_constantIbLb0EESX_EEDaSS_ST_EUlSS_E0_NS1_11comp_targetILNS1_3genE8ELNS1_11target_archE1030ELNS1_3gpuE2ELNS1_3repE0EEENS1_30default_config_static_selectorELNS0_4arch9wavefront6targetE1EEEvT1_
	.p2align	8
	.type	_ZN7rocprim17ROCPRIM_400000_NS6detail17trampoline_kernelINS0_14default_configENS1_20scan_config_selectorIxEEZZNS1_9scan_implILNS1_25lookback_scan_determinismE0ELb0ELb0ES3_N6thrust23THRUST_200600_302600_NS6detail15normal_iteratorINS9_10device_ptrIxEEEENS9_16discard_iteratorINS9_11use_defaultEEExNS9_4plusIvEExEEDaPvRmT3_T4_T5_mT6_P12ihipStream_tbENKUlT_T0_E_clISt17integral_constantIbLb0EESX_EEDaSS_ST_EUlSS_E0_NS1_11comp_targetILNS1_3genE8ELNS1_11target_archE1030ELNS1_3gpuE2ELNS1_3repE0EEENS1_30default_config_static_selectorELNS0_4arch9wavefront6targetE1EEEvT1_,@function
_ZN7rocprim17ROCPRIM_400000_NS6detail17trampoline_kernelINS0_14default_configENS1_20scan_config_selectorIxEEZZNS1_9scan_implILNS1_25lookback_scan_determinismE0ELb0ELb0ES3_N6thrust23THRUST_200600_302600_NS6detail15normal_iteratorINS9_10device_ptrIxEEEENS9_16discard_iteratorINS9_11use_defaultEEExNS9_4plusIvEExEEDaPvRmT3_T4_T5_mT6_P12ihipStream_tbENKUlT_T0_E_clISt17integral_constantIbLb0EESX_EEDaSS_ST_EUlSS_E0_NS1_11comp_targetILNS1_3genE8ELNS1_11target_archE1030ELNS1_3gpuE2ELNS1_3repE0EEENS1_30default_config_static_selectorELNS0_4arch9wavefront6targetE1EEEvT1_: ; @_ZN7rocprim17ROCPRIM_400000_NS6detail17trampoline_kernelINS0_14default_configENS1_20scan_config_selectorIxEEZZNS1_9scan_implILNS1_25lookback_scan_determinismE0ELb0ELb0ES3_N6thrust23THRUST_200600_302600_NS6detail15normal_iteratorINS9_10device_ptrIxEEEENS9_16discard_iteratorINS9_11use_defaultEEExNS9_4plusIvEExEEDaPvRmT3_T4_T5_mT6_P12ihipStream_tbENKUlT_T0_E_clISt17integral_constantIbLb0EESX_EEDaSS_ST_EUlSS_E0_NS1_11comp_targetILNS1_3genE8ELNS1_11target_archE1030ELNS1_3gpuE2ELNS1_3repE0EEENS1_30default_config_static_selectorELNS0_4arch9wavefront6targetE1EEEvT1_
; %bb.0:
	.section	.rodata,"a",@progbits
	.p2align	6, 0x0
	.amdhsa_kernel _ZN7rocprim17ROCPRIM_400000_NS6detail17trampoline_kernelINS0_14default_configENS1_20scan_config_selectorIxEEZZNS1_9scan_implILNS1_25lookback_scan_determinismE0ELb0ELb0ES3_N6thrust23THRUST_200600_302600_NS6detail15normal_iteratorINS9_10device_ptrIxEEEENS9_16discard_iteratorINS9_11use_defaultEEExNS9_4plusIvEExEEDaPvRmT3_T4_T5_mT6_P12ihipStream_tbENKUlT_T0_E_clISt17integral_constantIbLb0EESX_EEDaSS_ST_EUlSS_E0_NS1_11comp_targetILNS1_3genE8ELNS1_11target_archE1030ELNS1_3gpuE2ELNS1_3repE0EEENS1_30default_config_static_selectorELNS0_4arch9wavefront6targetE1EEEvT1_
		.amdhsa_group_segment_fixed_size 0
		.amdhsa_private_segment_fixed_size 0
		.amdhsa_kernarg_size 48
		.amdhsa_user_sgpr_count 6
		.amdhsa_user_sgpr_private_segment_buffer 1
		.amdhsa_user_sgpr_dispatch_ptr 0
		.amdhsa_user_sgpr_queue_ptr 0
		.amdhsa_user_sgpr_kernarg_segment_ptr 1
		.amdhsa_user_sgpr_dispatch_id 0
		.amdhsa_user_sgpr_flat_scratch_init 0
		.amdhsa_user_sgpr_kernarg_preload_length 0
		.amdhsa_user_sgpr_kernarg_preload_offset 0
		.amdhsa_user_sgpr_private_segment_size 0
		.amdhsa_uses_dynamic_stack 0
		.amdhsa_system_sgpr_private_segment_wavefront_offset 0
		.amdhsa_system_sgpr_workgroup_id_x 1
		.amdhsa_system_sgpr_workgroup_id_y 0
		.amdhsa_system_sgpr_workgroup_id_z 0
		.amdhsa_system_sgpr_workgroup_info 0
		.amdhsa_system_vgpr_workitem_id 0
		.amdhsa_next_free_vgpr 1
		.amdhsa_next_free_sgpr 0
		.amdhsa_accum_offset 4
		.amdhsa_reserve_vcc 0
		.amdhsa_reserve_flat_scratch 0
		.amdhsa_float_round_mode_32 0
		.amdhsa_float_round_mode_16_64 0
		.amdhsa_float_denorm_mode_32 3
		.amdhsa_float_denorm_mode_16_64 3
		.amdhsa_dx10_clamp 1
		.amdhsa_ieee_mode 1
		.amdhsa_fp16_overflow 0
		.amdhsa_tg_split 0
		.amdhsa_exception_fp_ieee_invalid_op 0
		.amdhsa_exception_fp_denorm_src 0
		.amdhsa_exception_fp_ieee_div_zero 0
		.amdhsa_exception_fp_ieee_overflow 0
		.amdhsa_exception_fp_ieee_underflow 0
		.amdhsa_exception_fp_ieee_inexact 0
		.amdhsa_exception_int_div_zero 0
	.end_amdhsa_kernel
	.section	.text._ZN7rocprim17ROCPRIM_400000_NS6detail17trampoline_kernelINS0_14default_configENS1_20scan_config_selectorIxEEZZNS1_9scan_implILNS1_25lookback_scan_determinismE0ELb0ELb0ES3_N6thrust23THRUST_200600_302600_NS6detail15normal_iteratorINS9_10device_ptrIxEEEENS9_16discard_iteratorINS9_11use_defaultEEExNS9_4plusIvEExEEDaPvRmT3_T4_T5_mT6_P12ihipStream_tbENKUlT_T0_E_clISt17integral_constantIbLb0EESX_EEDaSS_ST_EUlSS_E0_NS1_11comp_targetILNS1_3genE8ELNS1_11target_archE1030ELNS1_3gpuE2ELNS1_3repE0EEENS1_30default_config_static_selectorELNS0_4arch9wavefront6targetE1EEEvT1_,"axG",@progbits,_ZN7rocprim17ROCPRIM_400000_NS6detail17trampoline_kernelINS0_14default_configENS1_20scan_config_selectorIxEEZZNS1_9scan_implILNS1_25lookback_scan_determinismE0ELb0ELb0ES3_N6thrust23THRUST_200600_302600_NS6detail15normal_iteratorINS9_10device_ptrIxEEEENS9_16discard_iteratorINS9_11use_defaultEEExNS9_4plusIvEExEEDaPvRmT3_T4_T5_mT6_P12ihipStream_tbENKUlT_T0_E_clISt17integral_constantIbLb0EESX_EEDaSS_ST_EUlSS_E0_NS1_11comp_targetILNS1_3genE8ELNS1_11target_archE1030ELNS1_3gpuE2ELNS1_3repE0EEENS1_30default_config_static_selectorELNS0_4arch9wavefront6targetE1EEEvT1_,comdat
.Lfunc_end5599:
	.size	_ZN7rocprim17ROCPRIM_400000_NS6detail17trampoline_kernelINS0_14default_configENS1_20scan_config_selectorIxEEZZNS1_9scan_implILNS1_25lookback_scan_determinismE0ELb0ELb0ES3_N6thrust23THRUST_200600_302600_NS6detail15normal_iteratorINS9_10device_ptrIxEEEENS9_16discard_iteratorINS9_11use_defaultEEExNS9_4plusIvEExEEDaPvRmT3_T4_T5_mT6_P12ihipStream_tbENKUlT_T0_E_clISt17integral_constantIbLb0EESX_EEDaSS_ST_EUlSS_E0_NS1_11comp_targetILNS1_3genE8ELNS1_11target_archE1030ELNS1_3gpuE2ELNS1_3repE0EEENS1_30default_config_static_selectorELNS0_4arch9wavefront6targetE1EEEvT1_, .Lfunc_end5599-_ZN7rocprim17ROCPRIM_400000_NS6detail17trampoline_kernelINS0_14default_configENS1_20scan_config_selectorIxEEZZNS1_9scan_implILNS1_25lookback_scan_determinismE0ELb0ELb0ES3_N6thrust23THRUST_200600_302600_NS6detail15normal_iteratorINS9_10device_ptrIxEEEENS9_16discard_iteratorINS9_11use_defaultEEExNS9_4plusIvEExEEDaPvRmT3_T4_T5_mT6_P12ihipStream_tbENKUlT_T0_E_clISt17integral_constantIbLb0EESX_EEDaSS_ST_EUlSS_E0_NS1_11comp_targetILNS1_3genE8ELNS1_11target_archE1030ELNS1_3gpuE2ELNS1_3repE0EEENS1_30default_config_static_selectorELNS0_4arch9wavefront6targetE1EEEvT1_
                                        ; -- End function
	.section	.AMDGPU.csdata,"",@progbits
; Kernel info:
; codeLenInByte = 0
; NumSgprs: 4
; NumVgprs: 0
; NumAgprs: 0
; TotalNumVgprs: 0
; ScratchSize: 0
; MemoryBound: 0
; FloatMode: 240
; IeeeMode: 1
; LDSByteSize: 0 bytes/workgroup (compile time only)
; SGPRBlocks: 0
; VGPRBlocks: 0
; NumSGPRsForWavesPerEU: 4
; NumVGPRsForWavesPerEU: 1
; AccumOffset: 4
; Occupancy: 8
; WaveLimiterHint : 0
; COMPUTE_PGM_RSRC2:SCRATCH_EN: 0
; COMPUTE_PGM_RSRC2:USER_SGPR: 6
; COMPUTE_PGM_RSRC2:TRAP_HANDLER: 0
; COMPUTE_PGM_RSRC2:TGID_X_EN: 1
; COMPUTE_PGM_RSRC2:TGID_Y_EN: 0
; COMPUTE_PGM_RSRC2:TGID_Z_EN: 0
; COMPUTE_PGM_RSRC2:TIDIG_COMP_CNT: 0
; COMPUTE_PGM_RSRC3_GFX90A:ACCUM_OFFSET: 0
; COMPUTE_PGM_RSRC3_GFX90A:TG_SPLIT: 0
	.section	.text._ZN7rocprim17ROCPRIM_400000_NS6detail17trampoline_kernelINS0_14default_configENS1_20scan_config_selectorIxEEZZNS1_9scan_implILNS1_25lookback_scan_determinismE0ELb0ELb0ES3_N6thrust23THRUST_200600_302600_NS6detail15normal_iteratorINS9_10device_ptrIxEEEENS9_16discard_iteratorINS9_11use_defaultEEExNS9_4plusIvEExEEDaPvRmT3_T4_T5_mT6_P12ihipStream_tbENKUlT_T0_E_clISt17integral_constantIbLb1EESX_EEDaSS_ST_EUlSS_E_NS1_11comp_targetILNS1_3genE0ELNS1_11target_archE4294967295ELNS1_3gpuE0ELNS1_3repE0EEENS1_30default_config_static_selectorELNS0_4arch9wavefront6targetE1EEEvT1_,"axG",@progbits,_ZN7rocprim17ROCPRIM_400000_NS6detail17trampoline_kernelINS0_14default_configENS1_20scan_config_selectorIxEEZZNS1_9scan_implILNS1_25lookback_scan_determinismE0ELb0ELb0ES3_N6thrust23THRUST_200600_302600_NS6detail15normal_iteratorINS9_10device_ptrIxEEEENS9_16discard_iteratorINS9_11use_defaultEEExNS9_4plusIvEExEEDaPvRmT3_T4_T5_mT6_P12ihipStream_tbENKUlT_T0_E_clISt17integral_constantIbLb1EESX_EEDaSS_ST_EUlSS_E_NS1_11comp_targetILNS1_3genE0ELNS1_11target_archE4294967295ELNS1_3gpuE0ELNS1_3repE0EEENS1_30default_config_static_selectorELNS0_4arch9wavefront6targetE1EEEvT1_,comdat
	.protected	_ZN7rocprim17ROCPRIM_400000_NS6detail17trampoline_kernelINS0_14default_configENS1_20scan_config_selectorIxEEZZNS1_9scan_implILNS1_25lookback_scan_determinismE0ELb0ELb0ES3_N6thrust23THRUST_200600_302600_NS6detail15normal_iteratorINS9_10device_ptrIxEEEENS9_16discard_iteratorINS9_11use_defaultEEExNS9_4plusIvEExEEDaPvRmT3_T4_T5_mT6_P12ihipStream_tbENKUlT_T0_E_clISt17integral_constantIbLb1EESX_EEDaSS_ST_EUlSS_E_NS1_11comp_targetILNS1_3genE0ELNS1_11target_archE4294967295ELNS1_3gpuE0ELNS1_3repE0EEENS1_30default_config_static_selectorELNS0_4arch9wavefront6targetE1EEEvT1_ ; -- Begin function _ZN7rocprim17ROCPRIM_400000_NS6detail17trampoline_kernelINS0_14default_configENS1_20scan_config_selectorIxEEZZNS1_9scan_implILNS1_25lookback_scan_determinismE0ELb0ELb0ES3_N6thrust23THRUST_200600_302600_NS6detail15normal_iteratorINS9_10device_ptrIxEEEENS9_16discard_iteratorINS9_11use_defaultEEExNS9_4plusIvEExEEDaPvRmT3_T4_T5_mT6_P12ihipStream_tbENKUlT_T0_E_clISt17integral_constantIbLb1EESX_EEDaSS_ST_EUlSS_E_NS1_11comp_targetILNS1_3genE0ELNS1_11target_archE4294967295ELNS1_3gpuE0ELNS1_3repE0EEENS1_30default_config_static_selectorELNS0_4arch9wavefront6targetE1EEEvT1_
	.globl	_ZN7rocprim17ROCPRIM_400000_NS6detail17trampoline_kernelINS0_14default_configENS1_20scan_config_selectorIxEEZZNS1_9scan_implILNS1_25lookback_scan_determinismE0ELb0ELb0ES3_N6thrust23THRUST_200600_302600_NS6detail15normal_iteratorINS9_10device_ptrIxEEEENS9_16discard_iteratorINS9_11use_defaultEEExNS9_4plusIvEExEEDaPvRmT3_T4_T5_mT6_P12ihipStream_tbENKUlT_T0_E_clISt17integral_constantIbLb1EESX_EEDaSS_ST_EUlSS_E_NS1_11comp_targetILNS1_3genE0ELNS1_11target_archE4294967295ELNS1_3gpuE0ELNS1_3repE0EEENS1_30default_config_static_selectorELNS0_4arch9wavefront6targetE1EEEvT1_
	.p2align	8
	.type	_ZN7rocprim17ROCPRIM_400000_NS6detail17trampoline_kernelINS0_14default_configENS1_20scan_config_selectorIxEEZZNS1_9scan_implILNS1_25lookback_scan_determinismE0ELb0ELb0ES3_N6thrust23THRUST_200600_302600_NS6detail15normal_iteratorINS9_10device_ptrIxEEEENS9_16discard_iteratorINS9_11use_defaultEEExNS9_4plusIvEExEEDaPvRmT3_T4_T5_mT6_P12ihipStream_tbENKUlT_T0_E_clISt17integral_constantIbLb1EESX_EEDaSS_ST_EUlSS_E_NS1_11comp_targetILNS1_3genE0ELNS1_11target_archE4294967295ELNS1_3gpuE0ELNS1_3repE0EEENS1_30default_config_static_selectorELNS0_4arch9wavefront6targetE1EEEvT1_,@function
_ZN7rocprim17ROCPRIM_400000_NS6detail17trampoline_kernelINS0_14default_configENS1_20scan_config_selectorIxEEZZNS1_9scan_implILNS1_25lookback_scan_determinismE0ELb0ELb0ES3_N6thrust23THRUST_200600_302600_NS6detail15normal_iteratorINS9_10device_ptrIxEEEENS9_16discard_iteratorINS9_11use_defaultEEExNS9_4plusIvEExEEDaPvRmT3_T4_T5_mT6_P12ihipStream_tbENKUlT_T0_E_clISt17integral_constantIbLb1EESX_EEDaSS_ST_EUlSS_E_NS1_11comp_targetILNS1_3genE0ELNS1_11target_archE4294967295ELNS1_3gpuE0ELNS1_3repE0EEENS1_30default_config_static_selectorELNS0_4arch9wavefront6targetE1EEEvT1_: ; @_ZN7rocprim17ROCPRIM_400000_NS6detail17trampoline_kernelINS0_14default_configENS1_20scan_config_selectorIxEEZZNS1_9scan_implILNS1_25lookback_scan_determinismE0ELb0ELb0ES3_N6thrust23THRUST_200600_302600_NS6detail15normal_iteratorINS9_10device_ptrIxEEEENS9_16discard_iteratorINS9_11use_defaultEEExNS9_4plusIvEExEEDaPvRmT3_T4_T5_mT6_P12ihipStream_tbENKUlT_T0_E_clISt17integral_constantIbLb1EESX_EEDaSS_ST_EUlSS_E_NS1_11comp_targetILNS1_3genE0ELNS1_11target_archE4294967295ELNS1_3gpuE0ELNS1_3repE0EEENS1_30default_config_static_selectorELNS0_4arch9wavefront6targetE1EEEvT1_
; %bb.0:
	.section	.rodata,"a",@progbits
	.p2align	6, 0x0
	.amdhsa_kernel _ZN7rocprim17ROCPRIM_400000_NS6detail17trampoline_kernelINS0_14default_configENS1_20scan_config_selectorIxEEZZNS1_9scan_implILNS1_25lookback_scan_determinismE0ELb0ELb0ES3_N6thrust23THRUST_200600_302600_NS6detail15normal_iteratorINS9_10device_ptrIxEEEENS9_16discard_iteratorINS9_11use_defaultEEExNS9_4plusIvEExEEDaPvRmT3_T4_T5_mT6_P12ihipStream_tbENKUlT_T0_E_clISt17integral_constantIbLb1EESX_EEDaSS_ST_EUlSS_E_NS1_11comp_targetILNS1_3genE0ELNS1_11target_archE4294967295ELNS1_3gpuE0ELNS1_3repE0EEENS1_30default_config_static_selectorELNS0_4arch9wavefront6targetE1EEEvT1_
		.amdhsa_group_segment_fixed_size 0
		.amdhsa_private_segment_fixed_size 0
		.amdhsa_kernarg_size 112
		.amdhsa_user_sgpr_count 6
		.amdhsa_user_sgpr_private_segment_buffer 1
		.amdhsa_user_sgpr_dispatch_ptr 0
		.amdhsa_user_sgpr_queue_ptr 0
		.amdhsa_user_sgpr_kernarg_segment_ptr 1
		.amdhsa_user_sgpr_dispatch_id 0
		.amdhsa_user_sgpr_flat_scratch_init 0
		.amdhsa_user_sgpr_kernarg_preload_length 0
		.amdhsa_user_sgpr_kernarg_preload_offset 0
		.amdhsa_user_sgpr_private_segment_size 0
		.amdhsa_uses_dynamic_stack 0
		.amdhsa_system_sgpr_private_segment_wavefront_offset 0
		.amdhsa_system_sgpr_workgroup_id_x 1
		.amdhsa_system_sgpr_workgroup_id_y 0
		.amdhsa_system_sgpr_workgroup_id_z 0
		.amdhsa_system_sgpr_workgroup_info 0
		.amdhsa_system_vgpr_workitem_id 0
		.amdhsa_next_free_vgpr 1
		.amdhsa_next_free_sgpr 0
		.amdhsa_accum_offset 4
		.amdhsa_reserve_vcc 0
		.amdhsa_reserve_flat_scratch 0
		.amdhsa_float_round_mode_32 0
		.amdhsa_float_round_mode_16_64 0
		.amdhsa_float_denorm_mode_32 3
		.amdhsa_float_denorm_mode_16_64 3
		.amdhsa_dx10_clamp 1
		.amdhsa_ieee_mode 1
		.amdhsa_fp16_overflow 0
		.amdhsa_tg_split 0
		.amdhsa_exception_fp_ieee_invalid_op 0
		.amdhsa_exception_fp_denorm_src 0
		.amdhsa_exception_fp_ieee_div_zero 0
		.amdhsa_exception_fp_ieee_overflow 0
		.amdhsa_exception_fp_ieee_underflow 0
		.amdhsa_exception_fp_ieee_inexact 0
		.amdhsa_exception_int_div_zero 0
	.end_amdhsa_kernel
	.section	.text._ZN7rocprim17ROCPRIM_400000_NS6detail17trampoline_kernelINS0_14default_configENS1_20scan_config_selectorIxEEZZNS1_9scan_implILNS1_25lookback_scan_determinismE0ELb0ELb0ES3_N6thrust23THRUST_200600_302600_NS6detail15normal_iteratorINS9_10device_ptrIxEEEENS9_16discard_iteratorINS9_11use_defaultEEExNS9_4plusIvEExEEDaPvRmT3_T4_T5_mT6_P12ihipStream_tbENKUlT_T0_E_clISt17integral_constantIbLb1EESX_EEDaSS_ST_EUlSS_E_NS1_11comp_targetILNS1_3genE0ELNS1_11target_archE4294967295ELNS1_3gpuE0ELNS1_3repE0EEENS1_30default_config_static_selectorELNS0_4arch9wavefront6targetE1EEEvT1_,"axG",@progbits,_ZN7rocprim17ROCPRIM_400000_NS6detail17trampoline_kernelINS0_14default_configENS1_20scan_config_selectorIxEEZZNS1_9scan_implILNS1_25lookback_scan_determinismE0ELb0ELb0ES3_N6thrust23THRUST_200600_302600_NS6detail15normal_iteratorINS9_10device_ptrIxEEEENS9_16discard_iteratorINS9_11use_defaultEEExNS9_4plusIvEExEEDaPvRmT3_T4_T5_mT6_P12ihipStream_tbENKUlT_T0_E_clISt17integral_constantIbLb1EESX_EEDaSS_ST_EUlSS_E_NS1_11comp_targetILNS1_3genE0ELNS1_11target_archE4294967295ELNS1_3gpuE0ELNS1_3repE0EEENS1_30default_config_static_selectorELNS0_4arch9wavefront6targetE1EEEvT1_,comdat
.Lfunc_end5600:
	.size	_ZN7rocprim17ROCPRIM_400000_NS6detail17trampoline_kernelINS0_14default_configENS1_20scan_config_selectorIxEEZZNS1_9scan_implILNS1_25lookback_scan_determinismE0ELb0ELb0ES3_N6thrust23THRUST_200600_302600_NS6detail15normal_iteratorINS9_10device_ptrIxEEEENS9_16discard_iteratorINS9_11use_defaultEEExNS9_4plusIvEExEEDaPvRmT3_T4_T5_mT6_P12ihipStream_tbENKUlT_T0_E_clISt17integral_constantIbLb1EESX_EEDaSS_ST_EUlSS_E_NS1_11comp_targetILNS1_3genE0ELNS1_11target_archE4294967295ELNS1_3gpuE0ELNS1_3repE0EEENS1_30default_config_static_selectorELNS0_4arch9wavefront6targetE1EEEvT1_, .Lfunc_end5600-_ZN7rocprim17ROCPRIM_400000_NS6detail17trampoline_kernelINS0_14default_configENS1_20scan_config_selectorIxEEZZNS1_9scan_implILNS1_25lookback_scan_determinismE0ELb0ELb0ES3_N6thrust23THRUST_200600_302600_NS6detail15normal_iteratorINS9_10device_ptrIxEEEENS9_16discard_iteratorINS9_11use_defaultEEExNS9_4plusIvEExEEDaPvRmT3_T4_T5_mT6_P12ihipStream_tbENKUlT_T0_E_clISt17integral_constantIbLb1EESX_EEDaSS_ST_EUlSS_E_NS1_11comp_targetILNS1_3genE0ELNS1_11target_archE4294967295ELNS1_3gpuE0ELNS1_3repE0EEENS1_30default_config_static_selectorELNS0_4arch9wavefront6targetE1EEEvT1_
                                        ; -- End function
	.section	.AMDGPU.csdata,"",@progbits
; Kernel info:
; codeLenInByte = 0
; NumSgprs: 4
; NumVgprs: 0
; NumAgprs: 0
; TotalNumVgprs: 0
; ScratchSize: 0
; MemoryBound: 0
; FloatMode: 240
; IeeeMode: 1
; LDSByteSize: 0 bytes/workgroup (compile time only)
; SGPRBlocks: 0
; VGPRBlocks: 0
; NumSGPRsForWavesPerEU: 4
; NumVGPRsForWavesPerEU: 1
; AccumOffset: 4
; Occupancy: 8
; WaveLimiterHint : 0
; COMPUTE_PGM_RSRC2:SCRATCH_EN: 0
; COMPUTE_PGM_RSRC2:USER_SGPR: 6
; COMPUTE_PGM_RSRC2:TRAP_HANDLER: 0
; COMPUTE_PGM_RSRC2:TGID_X_EN: 1
; COMPUTE_PGM_RSRC2:TGID_Y_EN: 0
; COMPUTE_PGM_RSRC2:TGID_Z_EN: 0
; COMPUTE_PGM_RSRC2:TIDIG_COMP_CNT: 0
; COMPUTE_PGM_RSRC3_GFX90A:ACCUM_OFFSET: 0
; COMPUTE_PGM_RSRC3_GFX90A:TG_SPLIT: 0
	.section	.text._ZN7rocprim17ROCPRIM_400000_NS6detail17trampoline_kernelINS0_14default_configENS1_20scan_config_selectorIxEEZZNS1_9scan_implILNS1_25lookback_scan_determinismE0ELb0ELb0ES3_N6thrust23THRUST_200600_302600_NS6detail15normal_iteratorINS9_10device_ptrIxEEEENS9_16discard_iteratorINS9_11use_defaultEEExNS9_4plusIvEExEEDaPvRmT3_T4_T5_mT6_P12ihipStream_tbENKUlT_T0_E_clISt17integral_constantIbLb1EESX_EEDaSS_ST_EUlSS_E_NS1_11comp_targetILNS1_3genE5ELNS1_11target_archE942ELNS1_3gpuE9ELNS1_3repE0EEENS1_30default_config_static_selectorELNS0_4arch9wavefront6targetE1EEEvT1_,"axG",@progbits,_ZN7rocprim17ROCPRIM_400000_NS6detail17trampoline_kernelINS0_14default_configENS1_20scan_config_selectorIxEEZZNS1_9scan_implILNS1_25lookback_scan_determinismE0ELb0ELb0ES3_N6thrust23THRUST_200600_302600_NS6detail15normal_iteratorINS9_10device_ptrIxEEEENS9_16discard_iteratorINS9_11use_defaultEEExNS9_4plusIvEExEEDaPvRmT3_T4_T5_mT6_P12ihipStream_tbENKUlT_T0_E_clISt17integral_constantIbLb1EESX_EEDaSS_ST_EUlSS_E_NS1_11comp_targetILNS1_3genE5ELNS1_11target_archE942ELNS1_3gpuE9ELNS1_3repE0EEENS1_30default_config_static_selectorELNS0_4arch9wavefront6targetE1EEEvT1_,comdat
	.protected	_ZN7rocprim17ROCPRIM_400000_NS6detail17trampoline_kernelINS0_14default_configENS1_20scan_config_selectorIxEEZZNS1_9scan_implILNS1_25lookback_scan_determinismE0ELb0ELb0ES3_N6thrust23THRUST_200600_302600_NS6detail15normal_iteratorINS9_10device_ptrIxEEEENS9_16discard_iteratorINS9_11use_defaultEEExNS9_4plusIvEExEEDaPvRmT3_T4_T5_mT6_P12ihipStream_tbENKUlT_T0_E_clISt17integral_constantIbLb1EESX_EEDaSS_ST_EUlSS_E_NS1_11comp_targetILNS1_3genE5ELNS1_11target_archE942ELNS1_3gpuE9ELNS1_3repE0EEENS1_30default_config_static_selectorELNS0_4arch9wavefront6targetE1EEEvT1_ ; -- Begin function _ZN7rocprim17ROCPRIM_400000_NS6detail17trampoline_kernelINS0_14default_configENS1_20scan_config_selectorIxEEZZNS1_9scan_implILNS1_25lookback_scan_determinismE0ELb0ELb0ES3_N6thrust23THRUST_200600_302600_NS6detail15normal_iteratorINS9_10device_ptrIxEEEENS9_16discard_iteratorINS9_11use_defaultEEExNS9_4plusIvEExEEDaPvRmT3_T4_T5_mT6_P12ihipStream_tbENKUlT_T0_E_clISt17integral_constantIbLb1EESX_EEDaSS_ST_EUlSS_E_NS1_11comp_targetILNS1_3genE5ELNS1_11target_archE942ELNS1_3gpuE9ELNS1_3repE0EEENS1_30default_config_static_selectorELNS0_4arch9wavefront6targetE1EEEvT1_
	.globl	_ZN7rocprim17ROCPRIM_400000_NS6detail17trampoline_kernelINS0_14default_configENS1_20scan_config_selectorIxEEZZNS1_9scan_implILNS1_25lookback_scan_determinismE0ELb0ELb0ES3_N6thrust23THRUST_200600_302600_NS6detail15normal_iteratorINS9_10device_ptrIxEEEENS9_16discard_iteratorINS9_11use_defaultEEExNS9_4plusIvEExEEDaPvRmT3_T4_T5_mT6_P12ihipStream_tbENKUlT_T0_E_clISt17integral_constantIbLb1EESX_EEDaSS_ST_EUlSS_E_NS1_11comp_targetILNS1_3genE5ELNS1_11target_archE942ELNS1_3gpuE9ELNS1_3repE0EEENS1_30default_config_static_selectorELNS0_4arch9wavefront6targetE1EEEvT1_
	.p2align	8
	.type	_ZN7rocprim17ROCPRIM_400000_NS6detail17trampoline_kernelINS0_14default_configENS1_20scan_config_selectorIxEEZZNS1_9scan_implILNS1_25lookback_scan_determinismE0ELb0ELb0ES3_N6thrust23THRUST_200600_302600_NS6detail15normal_iteratorINS9_10device_ptrIxEEEENS9_16discard_iteratorINS9_11use_defaultEEExNS9_4plusIvEExEEDaPvRmT3_T4_T5_mT6_P12ihipStream_tbENKUlT_T0_E_clISt17integral_constantIbLb1EESX_EEDaSS_ST_EUlSS_E_NS1_11comp_targetILNS1_3genE5ELNS1_11target_archE942ELNS1_3gpuE9ELNS1_3repE0EEENS1_30default_config_static_selectorELNS0_4arch9wavefront6targetE1EEEvT1_,@function
_ZN7rocprim17ROCPRIM_400000_NS6detail17trampoline_kernelINS0_14default_configENS1_20scan_config_selectorIxEEZZNS1_9scan_implILNS1_25lookback_scan_determinismE0ELb0ELb0ES3_N6thrust23THRUST_200600_302600_NS6detail15normal_iteratorINS9_10device_ptrIxEEEENS9_16discard_iteratorINS9_11use_defaultEEExNS9_4plusIvEExEEDaPvRmT3_T4_T5_mT6_P12ihipStream_tbENKUlT_T0_E_clISt17integral_constantIbLb1EESX_EEDaSS_ST_EUlSS_E_NS1_11comp_targetILNS1_3genE5ELNS1_11target_archE942ELNS1_3gpuE9ELNS1_3repE0EEENS1_30default_config_static_selectorELNS0_4arch9wavefront6targetE1EEEvT1_: ; @_ZN7rocprim17ROCPRIM_400000_NS6detail17trampoline_kernelINS0_14default_configENS1_20scan_config_selectorIxEEZZNS1_9scan_implILNS1_25lookback_scan_determinismE0ELb0ELb0ES3_N6thrust23THRUST_200600_302600_NS6detail15normal_iteratorINS9_10device_ptrIxEEEENS9_16discard_iteratorINS9_11use_defaultEEExNS9_4plusIvEExEEDaPvRmT3_T4_T5_mT6_P12ihipStream_tbENKUlT_T0_E_clISt17integral_constantIbLb1EESX_EEDaSS_ST_EUlSS_E_NS1_11comp_targetILNS1_3genE5ELNS1_11target_archE942ELNS1_3gpuE9ELNS1_3repE0EEENS1_30default_config_static_selectorELNS0_4arch9wavefront6targetE1EEEvT1_
; %bb.0:
	.section	.rodata,"a",@progbits
	.p2align	6, 0x0
	.amdhsa_kernel _ZN7rocprim17ROCPRIM_400000_NS6detail17trampoline_kernelINS0_14default_configENS1_20scan_config_selectorIxEEZZNS1_9scan_implILNS1_25lookback_scan_determinismE0ELb0ELb0ES3_N6thrust23THRUST_200600_302600_NS6detail15normal_iteratorINS9_10device_ptrIxEEEENS9_16discard_iteratorINS9_11use_defaultEEExNS9_4plusIvEExEEDaPvRmT3_T4_T5_mT6_P12ihipStream_tbENKUlT_T0_E_clISt17integral_constantIbLb1EESX_EEDaSS_ST_EUlSS_E_NS1_11comp_targetILNS1_3genE5ELNS1_11target_archE942ELNS1_3gpuE9ELNS1_3repE0EEENS1_30default_config_static_selectorELNS0_4arch9wavefront6targetE1EEEvT1_
		.amdhsa_group_segment_fixed_size 0
		.amdhsa_private_segment_fixed_size 0
		.amdhsa_kernarg_size 112
		.amdhsa_user_sgpr_count 6
		.amdhsa_user_sgpr_private_segment_buffer 1
		.amdhsa_user_sgpr_dispatch_ptr 0
		.amdhsa_user_sgpr_queue_ptr 0
		.amdhsa_user_sgpr_kernarg_segment_ptr 1
		.amdhsa_user_sgpr_dispatch_id 0
		.amdhsa_user_sgpr_flat_scratch_init 0
		.amdhsa_user_sgpr_kernarg_preload_length 0
		.amdhsa_user_sgpr_kernarg_preload_offset 0
		.amdhsa_user_sgpr_private_segment_size 0
		.amdhsa_uses_dynamic_stack 0
		.amdhsa_system_sgpr_private_segment_wavefront_offset 0
		.amdhsa_system_sgpr_workgroup_id_x 1
		.amdhsa_system_sgpr_workgroup_id_y 0
		.amdhsa_system_sgpr_workgroup_id_z 0
		.amdhsa_system_sgpr_workgroup_info 0
		.amdhsa_system_vgpr_workitem_id 0
		.amdhsa_next_free_vgpr 1
		.amdhsa_next_free_sgpr 0
		.amdhsa_accum_offset 4
		.amdhsa_reserve_vcc 0
		.amdhsa_reserve_flat_scratch 0
		.amdhsa_float_round_mode_32 0
		.amdhsa_float_round_mode_16_64 0
		.amdhsa_float_denorm_mode_32 3
		.amdhsa_float_denorm_mode_16_64 3
		.amdhsa_dx10_clamp 1
		.amdhsa_ieee_mode 1
		.amdhsa_fp16_overflow 0
		.amdhsa_tg_split 0
		.amdhsa_exception_fp_ieee_invalid_op 0
		.amdhsa_exception_fp_denorm_src 0
		.amdhsa_exception_fp_ieee_div_zero 0
		.amdhsa_exception_fp_ieee_overflow 0
		.amdhsa_exception_fp_ieee_underflow 0
		.amdhsa_exception_fp_ieee_inexact 0
		.amdhsa_exception_int_div_zero 0
	.end_amdhsa_kernel
	.section	.text._ZN7rocprim17ROCPRIM_400000_NS6detail17trampoline_kernelINS0_14default_configENS1_20scan_config_selectorIxEEZZNS1_9scan_implILNS1_25lookback_scan_determinismE0ELb0ELb0ES3_N6thrust23THRUST_200600_302600_NS6detail15normal_iteratorINS9_10device_ptrIxEEEENS9_16discard_iteratorINS9_11use_defaultEEExNS9_4plusIvEExEEDaPvRmT3_T4_T5_mT6_P12ihipStream_tbENKUlT_T0_E_clISt17integral_constantIbLb1EESX_EEDaSS_ST_EUlSS_E_NS1_11comp_targetILNS1_3genE5ELNS1_11target_archE942ELNS1_3gpuE9ELNS1_3repE0EEENS1_30default_config_static_selectorELNS0_4arch9wavefront6targetE1EEEvT1_,"axG",@progbits,_ZN7rocprim17ROCPRIM_400000_NS6detail17trampoline_kernelINS0_14default_configENS1_20scan_config_selectorIxEEZZNS1_9scan_implILNS1_25lookback_scan_determinismE0ELb0ELb0ES3_N6thrust23THRUST_200600_302600_NS6detail15normal_iteratorINS9_10device_ptrIxEEEENS9_16discard_iteratorINS9_11use_defaultEEExNS9_4plusIvEExEEDaPvRmT3_T4_T5_mT6_P12ihipStream_tbENKUlT_T0_E_clISt17integral_constantIbLb1EESX_EEDaSS_ST_EUlSS_E_NS1_11comp_targetILNS1_3genE5ELNS1_11target_archE942ELNS1_3gpuE9ELNS1_3repE0EEENS1_30default_config_static_selectorELNS0_4arch9wavefront6targetE1EEEvT1_,comdat
.Lfunc_end5601:
	.size	_ZN7rocprim17ROCPRIM_400000_NS6detail17trampoline_kernelINS0_14default_configENS1_20scan_config_selectorIxEEZZNS1_9scan_implILNS1_25lookback_scan_determinismE0ELb0ELb0ES3_N6thrust23THRUST_200600_302600_NS6detail15normal_iteratorINS9_10device_ptrIxEEEENS9_16discard_iteratorINS9_11use_defaultEEExNS9_4plusIvEExEEDaPvRmT3_T4_T5_mT6_P12ihipStream_tbENKUlT_T0_E_clISt17integral_constantIbLb1EESX_EEDaSS_ST_EUlSS_E_NS1_11comp_targetILNS1_3genE5ELNS1_11target_archE942ELNS1_3gpuE9ELNS1_3repE0EEENS1_30default_config_static_selectorELNS0_4arch9wavefront6targetE1EEEvT1_, .Lfunc_end5601-_ZN7rocprim17ROCPRIM_400000_NS6detail17trampoline_kernelINS0_14default_configENS1_20scan_config_selectorIxEEZZNS1_9scan_implILNS1_25lookback_scan_determinismE0ELb0ELb0ES3_N6thrust23THRUST_200600_302600_NS6detail15normal_iteratorINS9_10device_ptrIxEEEENS9_16discard_iteratorINS9_11use_defaultEEExNS9_4plusIvEExEEDaPvRmT3_T4_T5_mT6_P12ihipStream_tbENKUlT_T0_E_clISt17integral_constantIbLb1EESX_EEDaSS_ST_EUlSS_E_NS1_11comp_targetILNS1_3genE5ELNS1_11target_archE942ELNS1_3gpuE9ELNS1_3repE0EEENS1_30default_config_static_selectorELNS0_4arch9wavefront6targetE1EEEvT1_
                                        ; -- End function
	.section	.AMDGPU.csdata,"",@progbits
; Kernel info:
; codeLenInByte = 0
; NumSgprs: 4
; NumVgprs: 0
; NumAgprs: 0
; TotalNumVgprs: 0
; ScratchSize: 0
; MemoryBound: 0
; FloatMode: 240
; IeeeMode: 1
; LDSByteSize: 0 bytes/workgroup (compile time only)
; SGPRBlocks: 0
; VGPRBlocks: 0
; NumSGPRsForWavesPerEU: 4
; NumVGPRsForWavesPerEU: 1
; AccumOffset: 4
; Occupancy: 8
; WaveLimiterHint : 0
; COMPUTE_PGM_RSRC2:SCRATCH_EN: 0
; COMPUTE_PGM_RSRC2:USER_SGPR: 6
; COMPUTE_PGM_RSRC2:TRAP_HANDLER: 0
; COMPUTE_PGM_RSRC2:TGID_X_EN: 1
; COMPUTE_PGM_RSRC2:TGID_Y_EN: 0
; COMPUTE_PGM_RSRC2:TGID_Z_EN: 0
; COMPUTE_PGM_RSRC2:TIDIG_COMP_CNT: 0
; COMPUTE_PGM_RSRC3_GFX90A:ACCUM_OFFSET: 0
; COMPUTE_PGM_RSRC3_GFX90A:TG_SPLIT: 0
	.section	.text._ZN7rocprim17ROCPRIM_400000_NS6detail17trampoline_kernelINS0_14default_configENS1_20scan_config_selectorIxEEZZNS1_9scan_implILNS1_25lookback_scan_determinismE0ELb0ELb0ES3_N6thrust23THRUST_200600_302600_NS6detail15normal_iteratorINS9_10device_ptrIxEEEENS9_16discard_iteratorINS9_11use_defaultEEExNS9_4plusIvEExEEDaPvRmT3_T4_T5_mT6_P12ihipStream_tbENKUlT_T0_E_clISt17integral_constantIbLb1EESX_EEDaSS_ST_EUlSS_E_NS1_11comp_targetILNS1_3genE4ELNS1_11target_archE910ELNS1_3gpuE8ELNS1_3repE0EEENS1_30default_config_static_selectorELNS0_4arch9wavefront6targetE1EEEvT1_,"axG",@progbits,_ZN7rocprim17ROCPRIM_400000_NS6detail17trampoline_kernelINS0_14default_configENS1_20scan_config_selectorIxEEZZNS1_9scan_implILNS1_25lookback_scan_determinismE0ELb0ELb0ES3_N6thrust23THRUST_200600_302600_NS6detail15normal_iteratorINS9_10device_ptrIxEEEENS9_16discard_iteratorINS9_11use_defaultEEExNS9_4plusIvEExEEDaPvRmT3_T4_T5_mT6_P12ihipStream_tbENKUlT_T0_E_clISt17integral_constantIbLb1EESX_EEDaSS_ST_EUlSS_E_NS1_11comp_targetILNS1_3genE4ELNS1_11target_archE910ELNS1_3gpuE8ELNS1_3repE0EEENS1_30default_config_static_selectorELNS0_4arch9wavefront6targetE1EEEvT1_,comdat
	.protected	_ZN7rocprim17ROCPRIM_400000_NS6detail17trampoline_kernelINS0_14default_configENS1_20scan_config_selectorIxEEZZNS1_9scan_implILNS1_25lookback_scan_determinismE0ELb0ELb0ES3_N6thrust23THRUST_200600_302600_NS6detail15normal_iteratorINS9_10device_ptrIxEEEENS9_16discard_iteratorINS9_11use_defaultEEExNS9_4plusIvEExEEDaPvRmT3_T4_T5_mT6_P12ihipStream_tbENKUlT_T0_E_clISt17integral_constantIbLb1EESX_EEDaSS_ST_EUlSS_E_NS1_11comp_targetILNS1_3genE4ELNS1_11target_archE910ELNS1_3gpuE8ELNS1_3repE0EEENS1_30default_config_static_selectorELNS0_4arch9wavefront6targetE1EEEvT1_ ; -- Begin function _ZN7rocprim17ROCPRIM_400000_NS6detail17trampoline_kernelINS0_14default_configENS1_20scan_config_selectorIxEEZZNS1_9scan_implILNS1_25lookback_scan_determinismE0ELb0ELb0ES3_N6thrust23THRUST_200600_302600_NS6detail15normal_iteratorINS9_10device_ptrIxEEEENS9_16discard_iteratorINS9_11use_defaultEEExNS9_4plusIvEExEEDaPvRmT3_T4_T5_mT6_P12ihipStream_tbENKUlT_T0_E_clISt17integral_constantIbLb1EESX_EEDaSS_ST_EUlSS_E_NS1_11comp_targetILNS1_3genE4ELNS1_11target_archE910ELNS1_3gpuE8ELNS1_3repE0EEENS1_30default_config_static_selectorELNS0_4arch9wavefront6targetE1EEEvT1_
	.globl	_ZN7rocprim17ROCPRIM_400000_NS6detail17trampoline_kernelINS0_14default_configENS1_20scan_config_selectorIxEEZZNS1_9scan_implILNS1_25lookback_scan_determinismE0ELb0ELb0ES3_N6thrust23THRUST_200600_302600_NS6detail15normal_iteratorINS9_10device_ptrIxEEEENS9_16discard_iteratorINS9_11use_defaultEEExNS9_4plusIvEExEEDaPvRmT3_T4_T5_mT6_P12ihipStream_tbENKUlT_T0_E_clISt17integral_constantIbLb1EESX_EEDaSS_ST_EUlSS_E_NS1_11comp_targetILNS1_3genE4ELNS1_11target_archE910ELNS1_3gpuE8ELNS1_3repE0EEENS1_30default_config_static_selectorELNS0_4arch9wavefront6targetE1EEEvT1_
	.p2align	8
	.type	_ZN7rocprim17ROCPRIM_400000_NS6detail17trampoline_kernelINS0_14default_configENS1_20scan_config_selectorIxEEZZNS1_9scan_implILNS1_25lookback_scan_determinismE0ELb0ELb0ES3_N6thrust23THRUST_200600_302600_NS6detail15normal_iteratorINS9_10device_ptrIxEEEENS9_16discard_iteratorINS9_11use_defaultEEExNS9_4plusIvEExEEDaPvRmT3_T4_T5_mT6_P12ihipStream_tbENKUlT_T0_E_clISt17integral_constantIbLb1EESX_EEDaSS_ST_EUlSS_E_NS1_11comp_targetILNS1_3genE4ELNS1_11target_archE910ELNS1_3gpuE8ELNS1_3repE0EEENS1_30default_config_static_selectorELNS0_4arch9wavefront6targetE1EEEvT1_,@function
_ZN7rocprim17ROCPRIM_400000_NS6detail17trampoline_kernelINS0_14default_configENS1_20scan_config_selectorIxEEZZNS1_9scan_implILNS1_25lookback_scan_determinismE0ELb0ELb0ES3_N6thrust23THRUST_200600_302600_NS6detail15normal_iteratorINS9_10device_ptrIxEEEENS9_16discard_iteratorINS9_11use_defaultEEExNS9_4plusIvEExEEDaPvRmT3_T4_T5_mT6_P12ihipStream_tbENKUlT_T0_E_clISt17integral_constantIbLb1EESX_EEDaSS_ST_EUlSS_E_NS1_11comp_targetILNS1_3genE4ELNS1_11target_archE910ELNS1_3gpuE8ELNS1_3repE0EEENS1_30default_config_static_selectorELNS0_4arch9wavefront6targetE1EEEvT1_: ; @_ZN7rocprim17ROCPRIM_400000_NS6detail17trampoline_kernelINS0_14default_configENS1_20scan_config_selectorIxEEZZNS1_9scan_implILNS1_25lookback_scan_determinismE0ELb0ELb0ES3_N6thrust23THRUST_200600_302600_NS6detail15normal_iteratorINS9_10device_ptrIxEEEENS9_16discard_iteratorINS9_11use_defaultEEExNS9_4plusIvEExEEDaPvRmT3_T4_T5_mT6_P12ihipStream_tbENKUlT_T0_E_clISt17integral_constantIbLb1EESX_EEDaSS_ST_EUlSS_E_NS1_11comp_targetILNS1_3genE4ELNS1_11target_archE910ELNS1_3gpuE8ELNS1_3repE0EEENS1_30default_config_static_selectorELNS0_4arch9wavefront6targetE1EEEvT1_
; %bb.0:
	s_load_dwordx2 s[6:7], s[4:5], 0x20
	s_load_dwordx2 s[20:21], s[4:5], 0x38
	v_cmp_ne_u32_e64 s[0:1], 0, v0
	v_cmp_eq_u32_e64 s[2:3], 0, v0
	s_and_saveexec_b64 s[8:9], s[2:3]
	s_cbranch_execz .LBB5602_4
; %bb.1:
	s_mov_b64 s[12:13], exec
	v_mbcnt_lo_u32_b32 v1, s12, 0
	v_mbcnt_hi_u32_b32 v1, s13, v1
	v_cmp_eq_u32_e32 vcc, 0, v1
                                        ; implicit-def: $vgpr2
	s_and_saveexec_b64 s[10:11], vcc
	s_cbranch_execz .LBB5602_3
; %bb.2:
	s_load_dwordx2 s[14:15], s[4:5], 0x68
	s_bcnt1_i32_b64 s12, s[12:13]
	v_mov_b32_e32 v2, 0
	v_mov_b32_e32 v3, s12
	s_waitcnt lgkmcnt(0)
	global_atomic_add v2, v2, v3, s[14:15] glc
.LBB5602_3:
	s_or_b64 exec, exec, s[10:11]
	s_waitcnt vmcnt(0)
	v_readfirstlane_b32 s10, v2
	v_add_u32_e32 v1, s10, v1
	v_mov_b32_e32 v2, 0
	ds_write_b32 v2, v1
.LBB5602_4:
	s_or_b64 exec, exec, s[8:9]
	v_mov_b32_e32 v3, 0
	s_load_dwordx4 s[8:11], s[4:5], 0x0
	s_load_dword s22, s[4:5], 0x40
	s_load_dwordx8 s[12:19], s[4:5], 0x48
	s_waitcnt lgkmcnt(0)
	s_barrier
	ds_read_b32 v1, v3
	s_lshl_b64 s[4:5], s[10:11], 3
	s_add_u32 s4, s8, s4
	s_movk_i32 s8, 0x380
	s_addc_u32 s5, s9, s5
	s_waitcnt lgkmcnt(0)
	v_mul_lo_u32 v2, v1, s8
	s_add_i32 s8, s22, -1
	s_mul_i32 s9, s8, 0x380
	s_sub_u32 s24, s6, s9
	v_readfirstlane_b32 s26, v1
	s_subb_u32 s25, s7, 0
	v_lshlrev_b64 v[2:3], 3, v[2:3]
	s_cmp_lg_u32 s26, s8
	v_mov_b32_e32 v1, s5
	v_add_co_u32_e32 v20, vcc, s4, v2
	s_cselect_b64 s[10:11], -1, 0
	v_addc_co_u32_e32 v21, vcc, v1, v3, vcc
	s_mov_b64 s[4:5], -1
	s_and_b64 vcc, exec, s[10:11]
	v_lshlrev_b32_e32 v1, 3, v0
	s_barrier
	s_cbranch_vccz .LBB5602_6
; %bb.5:
	v_add_co_u32_e32 v2, vcc, v20, v1
	v_addc_co_u32_e32 v3, vcc, 0, v21, vcc
	flat_load_dwordx2 v[4:5], v[2:3]
	flat_load_dwordx2 v[6:7], v[2:3] offset:1024
	flat_load_dwordx2 v[8:9], v[2:3] offset:2048
	;; [unrolled: 1-line block ×3, first 2 shown]
	v_add_co_u32_e32 v2, vcc, 0x1000, v2
	v_addc_co_u32_e32 v3, vcc, 0, v3, vcc
	flat_load_dwordx2 v[12:13], v[2:3]
	flat_load_dwordx2 v[14:15], v[2:3] offset:1024
	flat_load_dwordx2 v[16:17], v[2:3] offset:2048
	s_mov_b64 s[4:5], 0
	s_waitcnt vmcnt(0) lgkmcnt(0)
	ds_write2st64_b64 v1, v[4:5], v[6:7] offset1:2
	ds_write2st64_b64 v1, v[8:9], v[10:11] offset0:4 offset1:6
	ds_write2st64_b64 v1, v[12:13], v[14:15] offset0:8 offset1:10
	ds_write_b64 v1, v[16:17] offset:6144
	s_waitcnt lgkmcnt(0)
	s_barrier
.LBB5602_6:
	s_andn2_b64 vcc, exec, s[4:5]
	s_cbranch_vccnz .LBB5602_22
; %bb.7:
	flat_load_dwordx2 v[2:3], v[20:21]
	v_cmp_gt_u32_e32 vcc, s24, v0
	s_waitcnt vmcnt(0) lgkmcnt(0)
	v_mov_b32_e32 v4, v2
	v_mov_b32_e32 v5, v3
	;; [unrolled: 1-line block ×10, first 2 shown]
	v_pk_mov_b32 v[18:19], v[14:15], v[14:15] op_sel:[0,1]
	v_pk_mov_b32 v[16:17], v[12:13], v[12:13] op_sel:[0,1]
	;; [unrolled: 1-line block ×8, first 2 shown]
	s_and_saveexec_b64 s[4:5], vcc
	s_cbranch_execz .LBB5602_9
; %bb.8:
	v_add_co_u32_e32 v4, vcc, v20, v1
	v_addc_co_u32_e32 v5, vcc, 0, v21, vcc
	flat_load_dwordx2 v[22:23], v[4:5]
	v_mov_b32_e32 v4, v2
	v_mov_b32_e32 v5, v3
	;; [unrolled: 1-line block ×10, first 2 shown]
	v_pk_mov_b32 v[18:19], v[14:15], v[14:15] op_sel:[0,1]
	v_pk_mov_b32 v[16:17], v[12:13], v[12:13] op_sel:[0,1]
	;; [unrolled: 1-line block ×8, first 2 shown]
	s_waitcnt vmcnt(0) lgkmcnt(0)
	v_pk_mov_b32 v[2:3], v[22:23], v[22:23] op_sel:[0,1]
.LBB5602_9:
	s_or_b64 exec, exec, s[4:5]
	v_or_b32_e32 v4, 0x80, v0
	v_cmp_gt_u32_e32 vcc, s24, v4
	s_and_saveexec_b64 s[4:5], vcc
	s_cbranch_execz .LBB5602_11
; %bb.10:
	v_add_co_u32_e32 v4, vcc, v20, v1
	v_addc_co_u32_e32 v5, vcc, 0, v21, vcc
	flat_load_dwordx2 v[6:7], v[4:5] offset:1024
.LBB5602_11:
	s_or_b64 exec, exec, s[4:5]
	v_or_b32_e32 v4, 0x100, v0
	v_cmp_gt_u32_e32 vcc, s24, v4
	s_and_saveexec_b64 s[4:5], vcc
	s_cbranch_execz .LBB5602_13
; %bb.12:
	v_add_co_u32_e32 v4, vcc, v20, v1
	v_addc_co_u32_e32 v5, vcc, 0, v21, vcc
	flat_load_dwordx2 v[8:9], v[4:5] offset:2048
.LBB5602_13:
	;; [unrolled: 10-line block ×3, first 2 shown]
	s_or_b64 exec, exec, s[4:5]
	v_or_b32_e32 v4, 0x200, v0
	v_cmp_gt_u32_e32 vcc, s24, v4
	s_and_saveexec_b64 s[4:5], vcc
	s_cbranch_execz .LBB5602_17
; %bb.16:
	v_lshlrev_b32_e32 v4, 3, v4
	v_add_co_u32_e32 v4, vcc, v20, v4
	v_addc_co_u32_e32 v5, vcc, 0, v21, vcc
	flat_load_dwordx2 v[12:13], v[4:5]
.LBB5602_17:
	s_or_b64 exec, exec, s[4:5]
	v_or_b32_e32 v4, 0x280, v0
	v_cmp_gt_u32_e32 vcc, s24, v4
	s_and_saveexec_b64 s[4:5], vcc
	s_cbranch_execz .LBB5602_19
; %bb.18:
	v_lshlrev_b32_e32 v4, 3, v4
	v_add_co_u32_e32 v4, vcc, v20, v4
	v_addc_co_u32_e32 v5, vcc, 0, v21, vcc
	flat_load_dwordx2 v[14:15], v[4:5]
.LBB5602_19:
	;; [unrolled: 11-line block ×3, first 2 shown]
	s_or_b64 exec, exec, s[4:5]
	s_waitcnt vmcnt(0) lgkmcnt(0)
	ds_write2st64_b64 v1, v[2:3], v[6:7] offset1:2
	ds_write2st64_b64 v1, v[8:9], v[10:11] offset0:4 offset1:6
	ds_write2st64_b64 v1, v[12:13], v[14:15] offset0:8 offset1:10
	ds_write_b64 v1, v[16:17] offset:6144
	s_waitcnt lgkmcnt(0)
	s_barrier
.LBB5602_22:
	v_mul_u32_u24_e32 v36, 7, v0
	v_lshlrev_b32_e32 v1, 3, v36
	ds_read2_b64 v[2:5], v1 offset1:1
	ds_read2_b64 v[10:13], v1 offset0:2 offset1:3
	ds_read2_b64 v[6:9], v1 offset0:4 offset1:5
	ds_read_b64 v[28:29], v1 offset:48
	s_cmp_lg_u32 s26, 0
	v_lshrrev_b32_e32 v37, 5, v0
	v_cmp_gt_u32_e32 vcc, 64, v0
	s_waitcnt lgkmcnt(0)
	s_barrier
	s_cbranch_scc0 .LBB5602_53
; %bb.23:
	v_add_co_u32_e64 v1, s[4:5], v4, v2
	v_addc_co_u32_e64 v14, s[4:5], v5, v3, s[4:5]
	v_add_co_u32_e64 v1, s[4:5], v1, v10
	v_addc_co_u32_e64 v14, s[4:5], v14, v11, s[4:5]
	;; [unrolled: 2-line block ×6, first 2 shown]
	v_add_lshl_u32 v1, v37, v0, 3
	ds_write_b64 v1, v[18:19]
	s_waitcnt lgkmcnt(0)
	s_barrier
	s_and_saveexec_b64 s[8:9], vcc
	s_cbranch_execz .LBB5602_27
; %bb.24:
	v_lshlrev_b32_e32 v1, 1, v0
	v_lshrrev_b32_e32 v14, 4, v0
	v_add_lshl_u32 v20, v14, v1, 3
	ds_read2_b64 v[14:17], v20 offset1:1
	v_mbcnt_lo_u32_b32 v1, -1, 0
	s_waitcnt lgkmcnt(0)
	v_add_co_u32_e64 v21, s[4:5], v16, v14
	v_addc_co_u32_e64 v22, s[4:5], v17, v15, s[4:5]
	s_nop 0
	v_mov_b32_dpp v16, v21 row_shr:1 row_mask:0xf bank_mask:0xf
	v_add_co_u32_e64 v16, s[4:5], v21, v16
	v_addc_co_u32_e64 v24, s[4:5], 0, v22, s[4:5]
	v_mbcnt_hi_u32_b32 v17, -1, v1
	v_mov_b32_dpp v23, v22 row_shr:1 row_mask:0xf bank_mask:0xf
	v_add_co_u32_e64 v25, s[4:5], 0, v16
	v_and_b32_e32 v1, 15, v17
	v_addc_co_u32_e64 v23, s[4:5], v23, v24, s[4:5]
	v_cmp_eq_u32_e64 s[4:5], 0, v1
	v_cndmask_b32_e64 v16, v16, v21, s[4:5]
	v_cndmask_b32_e64 v23, v23, v22, s[4:5]
	v_cndmask_b32_e64 v24, v25, v21, s[4:5]
	v_mov_b32_dpp v25, v16 row_shr:2 row_mask:0xf bank_mask:0xf
	v_mov_b32_dpp v26, v23 row_shr:2 row_mask:0xf bank_mask:0xf
	v_add_co_u32_e64 v25, s[4:5], v25, v24
	v_addc_co_u32_e64 v26, s[4:5], v26, v23, s[4:5]
	v_cmp_lt_u32_e64 s[4:5], 1, v1
	v_cndmask_b32_e64 v16, v16, v25, s[4:5]
	v_cndmask_b32_e64 v23, v23, v26, s[4:5]
	v_cndmask_b32_e64 v24, v24, v25, s[4:5]
	v_mov_b32_dpp v25, v16 row_shr:4 row_mask:0xf bank_mask:0xf
	v_mov_b32_dpp v26, v23 row_shr:4 row_mask:0xf bank_mask:0xf
	v_add_co_u32_e64 v25, s[4:5], v25, v24
	v_addc_co_u32_e64 v26, s[4:5], v26, v23, s[4:5]
	v_cmp_lt_u32_e64 s[4:5], 3, v1
	;; [unrolled: 8-line block ×3, first 2 shown]
	v_cndmask_b32_e64 v27, v16, v25, s[4:5]
	v_cndmask_b32_e64 v1, v23, v26, s[4:5]
	;; [unrolled: 1-line block ×3, first 2 shown]
	v_mov_b32_dpp v23, v27 row_bcast:15 row_mask:0xf bank_mask:0xf
	v_mov_b32_dpp v24, v1 row_bcast:15 row_mask:0xf bank_mask:0xf
	v_add_co_u32_e64 v23, s[4:5], v23, v16
	v_and_b32_e32 v26, 16, v17
	v_addc_co_u32_e64 v25, s[4:5], v24, v1, s[4:5]
	v_cmp_eq_u32_e64 s[4:5], 0, v26
	v_cndmask_b32_e64 v26, v25, v1, s[4:5]
	v_cndmask_b32_e64 v24, v23, v27, s[4:5]
	v_cmp_ne_u32_e64 s[6:7], 0, v17
	v_mov_b32_dpp v26, v26 row_bcast:31 row_mask:0xf bank_mask:0xf
	v_mov_b32_dpp v24, v24 row_bcast:31 row_mask:0xf bank_mask:0xf
	s_and_saveexec_b64 s[22:23], s[6:7]
; %bb.25:
	v_cndmask_b32_e64 v1, v25, v1, s[4:5]
	v_cndmask_b32_e64 v16, v23, v16, s[4:5]
	v_cmp_lt_u32_e64 s[4:5], 31, v17
	v_cndmask_b32_e64 v21, 0, v24, s[4:5]
	v_cndmask_b32_e64 v22, 0, v26, s[4:5]
	v_add_co_u32_e64 v21, s[4:5], v21, v16
	v_addc_co_u32_e64 v22, s[4:5], v22, v1, s[4:5]
; %bb.26:
	s_or_b64 exec, exec, s[22:23]
	v_add_u32_e32 v1, -1, v17
	v_and_b32_e32 v16, 64, v17
	v_cmp_lt_i32_e64 s[4:5], v1, v16
	v_cndmask_b32_e64 v1, v1, v17, s[4:5]
	v_lshlrev_b32_e32 v1, 2, v1
	ds_bpermute_b32 v16, v1, v21
	ds_bpermute_b32 v1, v1, v22
	; wave barrier
	s_waitcnt lgkmcnt(1)
	v_add_co_u32_e64 v14, s[4:5], v14, v16
	v_addc_co_u32_e64 v15, s[4:5], 0, v15, s[4:5]
	v_add_co_u32_e64 v14, s[4:5], 0, v14
	s_waitcnt lgkmcnt(0)
	v_addc_co_u32_e64 v1, s[4:5], v15, v1, s[4:5]
	v_cndmask_b32_e64 v15, v1, v19, s[2:3]
	v_cndmask_b32_e64 v14, v14, v18, s[2:3]
	ds_write_b64 v20, v[14:15]
	; wave barrier
	ds_read_b64 v[16:17], v20 offset:8
	s_waitcnt lgkmcnt(0)
	v_add_co_u32_e64 v14, s[4:5], v16, v14
	v_addc_co_u32_e64 v15, s[4:5], v17, v15, s[4:5]
	ds_write_b64 v20, v[14:15] offset:8
.LBB5602_27:
	s_or_b64 exec, exec, s[8:9]
	v_pk_mov_b32 v[22:23], 0, 0
	s_waitcnt lgkmcnt(0)
	s_barrier
	s_and_saveexec_b64 s[4:5], s[0:1]
	s_cbranch_execz .LBB5602_29
; %bb.28:
	v_add_u32_e32 v1, -1, v0
	v_lshrrev_b32_e32 v14, 5, v1
	v_add_lshl_u32 v1, v14, v1, 3
	ds_read_b64 v[22:23], v1
.LBB5602_29:
	s_or_b64 exec, exec, s[4:5]
	s_and_saveexec_b64 s[22:23], vcc
	s_cbranch_execz .LBB5602_52
; %bb.30:
	v_mov_b32_e32 v17, 0
	ds_read_b64 v[14:15], v17 offset:1040
	v_mbcnt_lo_u32_b32 v1, -1, 0
	v_mbcnt_hi_u32_b32 v30, -1, v1
	s_mov_b32 s9, 0
	v_cmp_eq_u32_e64 s[4:5], 0, v30
	s_and_saveexec_b64 s[6:7], s[4:5]
	s_cbranch_execz .LBB5602_32
; %bb.31:
	s_add_i32 s8, s26, 64
	s_lshl_b64 s[8:9], s[8:9], 4
	s_add_u32 s8, s20, s8
	s_addc_u32 s9, s21, s9
	v_mov_b32_e32 v16, 1
	v_pk_mov_b32 v[18:19], s[8:9], s[8:9] op_sel:[0,1]
	s_waitcnt lgkmcnt(0)
	;;#ASMSTART
	global_store_dwordx4 v[18:19], v[14:17] off	
s_waitcnt vmcnt(0)
	;;#ASMEND
.LBB5602_32:
	s_or_b64 exec, exec, s[6:7]
	v_xad_u32 v24, v30, -1, s26
	v_add_u32_e32 v16, 64, v24
	v_lshlrev_b64 v[18:19], 4, v[16:17]
	v_mov_b32_e32 v1, s21
	v_add_co_u32_e32 v26, vcc, s20, v18
	v_addc_co_u32_e32 v27, vcc, v1, v19, vcc
	;;#ASMSTART
	global_load_dwordx4 v[18:21], v[26:27] off glc	
s_waitcnt vmcnt(0)
	;;#ASMEND
	v_and_b32_e32 v1, 0xff, v19
	v_and_b32_e32 v16, 0xff00, v19
	v_or3_b32 v1, 0, v1, v16
	v_or3_b32 v16, v18, 0, 0
	v_and_b32_e32 v18, 0xff000000, v19
	v_and_b32_e32 v19, 0xff0000, v19
	v_or3_b32 v19, v1, v19, v18
	v_or3_b32 v18, v16, 0, 0
	v_cmp_eq_u16_sdwa s[8:9], v20, v17 src0_sel:BYTE_0 src1_sel:DWORD
	s_and_saveexec_b64 s[6:7], s[8:9]
	s_cbranch_execz .LBB5602_38
; %bb.33:
	s_mov_b32 s27, 1
	s_mov_b64 s[8:9], 0
	v_mov_b32_e32 v1, 0
.LBB5602_34:                            ; =>This Loop Header: Depth=1
                                        ;     Child Loop BB5602_35 Depth 2
	s_max_u32 s28, s27, 1
.LBB5602_35:                            ;   Parent Loop BB5602_34 Depth=1
                                        ; =>  This Inner Loop Header: Depth=2
	s_add_i32 s28, s28, -1
	s_cmp_eq_u32 s28, 0
	s_sleep 1
	s_cbranch_scc0 .LBB5602_35
; %bb.36:                               ;   in Loop: Header=BB5602_34 Depth=1
	s_cmp_lt_u32 s27, 32
	s_cselect_b64 s[28:29], -1, 0
	s_cmp_lg_u64 s[28:29], 0
	s_addc_u32 s27, s27, 0
	;;#ASMSTART
	global_load_dwordx4 v[18:21], v[26:27] off glc	
s_waitcnt vmcnt(0)
	;;#ASMEND
	v_cmp_ne_u16_sdwa s[28:29], v20, v1 src0_sel:BYTE_0 src1_sel:DWORD
	s_or_b64 s[8:9], s[28:29], s[8:9]
	s_andn2_b64 exec, exec, s[8:9]
	s_cbranch_execnz .LBB5602_34
; %bb.37:
	s_or_b64 exec, exec, s[8:9]
.LBB5602_38:
	s_or_b64 exec, exec, s[6:7]
	v_and_b32_e32 v32, 63, v30
	v_cmp_ne_u32_e32 vcc, 63, v32
	v_addc_co_u32_e32 v26, vcc, 0, v30, vcc
	v_lshlrev_b32_e32 v33, 2, v26
	ds_bpermute_b32 v26, v33, v18
	v_mov_b32_e32 v1, 2
	v_cmp_eq_u16_sdwa s[6:7], v20, v1 src0_sel:BYTE_0 src1_sel:DWORD
	v_lshlrev_b64 v[16:17], v30, -1
	ds_bpermute_b32 v27, v33, v19
	v_and_b32_e32 v21, s7, v17
	v_or_b32_e32 v21, 0x80000000, v21
	s_waitcnt lgkmcnt(1)
	v_add_co_u32_e32 v26, vcc, v18, v26
	v_and_b32_e32 v25, s6, v16
	v_ffbl_b32_e32 v21, v21
	v_addc_co_u32_e32 v31, vcc, 0, v19, vcc
	v_add_u32_e32 v21, 32, v21
	v_ffbl_b32_e32 v25, v25
	v_add_co_u32_e32 v35, vcc, 0, v26
	v_cmp_gt_u32_e64 s[6:7], 62, v32
	v_min_u32_e32 v21, v25, v21
	s_waitcnt lgkmcnt(0)
	v_addc_co_u32_e32 v27, vcc, v27, v31, vcc
	v_cndmask_b32_e64 v31, 0, 1, s[6:7]
	v_cmp_lt_u32_e32 vcc, v32, v21
	v_lshlrev_b32_e32 v31, 1, v31
	v_cndmask_b32_e32 v26, v18, v26, vcc
	v_add_lshl_u32 v34, v31, v30, 2
	v_cndmask_b32_e32 v27, v19, v27, vcc
	ds_bpermute_b32 v31, v34, v26
	ds_bpermute_b32 v38, v34, v27
	v_cndmask_b32_e32 v39, v18, v35, vcc
	v_add_u32_e32 v35, 2, v32
	v_cmp_gt_u32_e64 s[8:9], 60, v32
	s_waitcnt lgkmcnt(1)
	v_add_co_u32_e64 v31, s[6:7], v31, v39
	s_waitcnt lgkmcnt(0)
	v_addc_co_u32_e64 v38, s[6:7], v38, v27, s[6:7]
	v_cmp_gt_u32_e64 s[6:7], v35, v21
	v_cndmask_b32_e64 v27, v38, v27, s[6:7]
	v_cndmask_b32_e64 v38, 0, 1, s[8:9]
	v_lshlrev_b32_e32 v38, 2, v38
	v_cndmask_b32_e64 v26, v31, v26, s[6:7]
	v_add_lshl_u32 v38, v38, v30, 2
	ds_bpermute_b32 v40, v38, v26
	ds_bpermute_b32 v41, v38, v27
	v_cndmask_b32_e64 v31, v31, v39, s[6:7]
	v_add_u32_e32 v39, 4, v32
	v_cmp_gt_u32_e64 s[8:9], 56, v32
	s_waitcnt lgkmcnt(1)
	v_add_co_u32_e64 v42, s[6:7], v40, v31
	s_waitcnt lgkmcnt(0)
	v_addc_co_u32_e64 v40, s[6:7], v41, v27, s[6:7]
	v_cmp_gt_u32_e64 s[6:7], v39, v21
	v_cndmask_b32_e64 v27, v40, v27, s[6:7]
	v_cndmask_b32_e64 v40, 0, 1, s[8:9]
	v_lshlrev_b32_e32 v40, 3, v40
	v_cndmask_b32_e64 v26, v42, v26, s[6:7]
	v_add_lshl_u32 v40, v40, v30, 2
	ds_bpermute_b32 v43, v40, v26
	v_cndmask_b32_e64 v31, v42, v31, s[6:7]
	ds_bpermute_b32 v42, v40, v27
	v_add_u32_e32 v41, 8, v32
	v_cmp_gt_u32_e64 s[8:9], 48, v32
	s_waitcnt lgkmcnt(1)
	v_add_co_u32_e64 v43, s[6:7], v43, v31
	s_waitcnt lgkmcnt(0)
	v_addc_co_u32_e64 v42, s[6:7], v42, v27, s[6:7]
	v_cmp_gt_u32_e64 s[6:7], v41, v21
	v_cndmask_b32_e64 v27, v42, v27, s[6:7]
	v_cndmask_b32_e64 v42, 0, 1, s[8:9]
	v_lshlrev_b32_e32 v42, 4, v42
	v_cndmask_b32_e64 v26, v43, v26, s[6:7]
	v_add_lshl_u32 v42, v42, v30, 2
	ds_bpermute_b32 v44, v42, v26
	ds_bpermute_b32 v45, v42, v27
	v_cndmask_b32_e64 v31, v43, v31, s[6:7]
	v_cmp_gt_u32_e64 s[8:9], 32, v32
	v_add_u32_e32 v43, 16, v32
	s_waitcnt lgkmcnt(1)
	v_add_co_u32_e64 v46, s[6:7], v44, v31
	s_waitcnt lgkmcnt(0)
	v_addc_co_u32_e64 v45, s[6:7], v45, v27, s[6:7]
	v_cndmask_b32_e64 v44, 0, 1, s[8:9]
	v_cmp_gt_u32_e64 s[6:7], v43, v21
	v_lshlrev_b32_e32 v44, 5, v44
	v_cndmask_b32_e64 v26, v46, v26, s[6:7]
	v_add_lshl_u32 v44, v44, v30, 2
	v_cndmask_b32_e64 v27, v45, v27, s[6:7]
	ds_bpermute_b32 v26, v44, v26
	ds_bpermute_b32 v30, v44, v27
	v_add_u32_e32 v45, 32, v32
	v_cndmask_b32_e64 v31, v46, v31, s[6:7]
	v_cmp_le_u32_e64 s[6:7], v45, v21
	s_waitcnt lgkmcnt(1)
	v_cndmask_b32_e64 v26, 0, v26, s[6:7]
	s_waitcnt lgkmcnt(0)
	v_cndmask_b32_e64 v21, 0, v30, s[6:7]
	v_add_co_u32_e64 v26, s[6:7], v26, v31
	v_addc_co_u32_e64 v21, s[6:7], v21, v27, s[6:7]
	v_mov_b32_e32 v25, 0
	v_cndmask_b32_e32 v19, v19, v21, vcc
	v_cndmask_b32_e32 v18, v18, v26, vcc
	s_branch .LBB5602_40
.LBB5602_39:                            ;   in Loop: Header=BB5602_40 Depth=1
	s_or_b64 exec, exec, s[6:7]
	v_cmp_eq_u16_sdwa s[6:7], v20, v1 src0_sel:BYTE_0 src1_sel:DWORD
	v_and_b32_e32 v21, s7, v17
	v_or_b32_e32 v21, 0x80000000, v21
	ds_bpermute_b32 v31, v33, v18
	v_and_b32_e32 v30, s6, v16
	v_ffbl_b32_e32 v21, v21
	v_add_u32_e32 v21, 32, v21
	v_ffbl_b32_e32 v30, v30
	v_min_u32_e32 v21, v30, v21
	ds_bpermute_b32 v30, v33, v19
	s_waitcnt lgkmcnt(1)
	v_add_co_u32_e32 v31, vcc, v18, v31
	v_addc_co_u32_e32 v46, vcc, 0, v19, vcc
	v_add_co_u32_e32 v47, vcc, 0, v31
	s_waitcnt lgkmcnt(0)
	v_addc_co_u32_e32 v30, vcc, v30, v46, vcc
	v_cmp_lt_u32_e32 vcc, v32, v21
	v_cndmask_b32_e32 v31, v18, v31, vcc
	ds_bpermute_b32 v46, v34, v31
	v_cndmask_b32_e32 v30, v19, v30, vcc
	ds_bpermute_b32 v48, v34, v30
	v_cndmask_b32_e32 v47, v18, v47, vcc
	v_subrev_u32_e32 v24, 64, v24
	s_waitcnt lgkmcnt(1)
	v_add_co_u32_e64 v46, s[6:7], v46, v47
	s_waitcnt lgkmcnt(0)
	v_addc_co_u32_e64 v48, s[6:7], v48, v30, s[6:7]
	v_cmp_gt_u32_e64 s[6:7], v35, v21
	v_cndmask_b32_e64 v31, v46, v31, s[6:7]
	ds_bpermute_b32 v49, v38, v31
	v_cndmask_b32_e64 v30, v48, v30, s[6:7]
	ds_bpermute_b32 v48, v38, v30
	v_cndmask_b32_e64 v46, v46, v47, s[6:7]
	s_waitcnt lgkmcnt(1)
	v_add_co_u32_e64 v47, s[6:7], v49, v46
	s_waitcnt lgkmcnt(0)
	v_addc_co_u32_e64 v48, s[6:7], v48, v30, s[6:7]
	v_cmp_gt_u32_e64 s[6:7], v39, v21
	v_cndmask_b32_e64 v31, v47, v31, s[6:7]
	ds_bpermute_b32 v49, v40, v31
	v_cndmask_b32_e64 v30, v48, v30, s[6:7]
	ds_bpermute_b32 v48, v40, v30
	v_cndmask_b32_e64 v46, v47, v46, s[6:7]
	;; [unrolled: 10-line block ×3, first 2 shown]
	s_waitcnt lgkmcnt(1)
	v_add_co_u32_e64 v47, s[6:7], v49, v46
	s_waitcnt lgkmcnt(0)
	v_addc_co_u32_e64 v48, s[6:7], v48, v30, s[6:7]
	v_cmp_gt_u32_e64 s[6:7], v43, v21
	v_cndmask_b32_e64 v31, v47, v31, s[6:7]
	v_cndmask_b32_e64 v30, v48, v30, s[6:7]
	ds_bpermute_b32 v31, v44, v31
	ds_bpermute_b32 v48, v44, v30
	v_cndmask_b32_e64 v46, v47, v46, s[6:7]
	v_cmp_le_u32_e64 s[6:7], v45, v21
	s_waitcnt lgkmcnt(1)
	v_cndmask_b32_e64 v31, 0, v31, s[6:7]
	s_waitcnt lgkmcnt(0)
	v_cndmask_b32_e64 v21, 0, v48, s[6:7]
	v_add_co_u32_e64 v31, s[6:7], v31, v46
	v_addc_co_u32_e64 v21, s[6:7], v21, v30, s[6:7]
	v_cndmask_b32_e32 v18, v18, v31, vcc
	v_cndmask_b32_e32 v19, v19, v21, vcc
	v_add_co_u32_e32 v18, vcc, v18, v26
	v_addc_co_u32_e32 v19, vcc, v19, v27, vcc
.LBB5602_40:                            ; =>This Loop Header: Depth=1
                                        ;     Child Loop BB5602_43 Depth 2
                                        ;       Child Loop BB5602_44 Depth 3
	v_cmp_ne_u16_sdwa s[6:7], v20, v1 src0_sel:BYTE_0 src1_sel:DWORD
	v_cndmask_b32_e64 v20, 0, 1, s[6:7]
	;;#ASMSTART
	;;#ASMEND
	v_cmp_ne_u32_e32 vcc, 0, v20
	s_cmp_lg_u64 vcc, exec
	v_pk_mov_b32 v[26:27], v[18:19], v[18:19] op_sel:[0,1]
	s_cbranch_scc1 .LBB5602_47
; %bb.41:                               ;   in Loop: Header=BB5602_40 Depth=1
	v_lshlrev_b64 v[18:19], 4, v[24:25]
	v_mov_b32_e32 v20, s21
	v_add_co_u32_e32 v30, vcc, s20, v18
	v_addc_co_u32_e32 v31, vcc, v20, v19, vcc
	;;#ASMSTART
	global_load_dwordx4 v[18:21], v[30:31] off glc	
s_waitcnt vmcnt(0)
	;;#ASMEND
	v_and_b32_e32 v21, 0xff, v19
	v_and_b32_e32 v46, 0xff00, v19
	v_or3_b32 v21, 0, v21, v46
	v_or3_b32 v18, v18, 0, 0
	v_and_b32_e32 v46, 0xff000000, v19
	v_and_b32_e32 v19, 0xff0000, v19
	v_or3_b32 v19, v21, v19, v46
	v_or3_b32 v18, v18, 0, 0
	v_cmp_eq_u16_sdwa s[8:9], v20, v25 src0_sel:BYTE_0 src1_sel:DWORD
	s_and_saveexec_b64 s[6:7], s[8:9]
	s_cbranch_execz .LBB5602_39
; %bb.42:                               ;   in Loop: Header=BB5602_40 Depth=1
	s_mov_b32 s27, 1
	s_mov_b64 s[8:9], 0
.LBB5602_43:                            ;   Parent Loop BB5602_40 Depth=1
                                        ; =>  This Loop Header: Depth=2
                                        ;       Child Loop BB5602_44 Depth 3
	s_max_u32 s28, s27, 1
.LBB5602_44:                            ;   Parent Loop BB5602_40 Depth=1
                                        ;     Parent Loop BB5602_43 Depth=2
                                        ; =>    This Inner Loop Header: Depth=3
	s_add_i32 s28, s28, -1
	s_cmp_eq_u32 s28, 0
	s_sleep 1
	s_cbranch_scc0 .LBB5602_44
; %bb.45:                               ;   in Loop: Header=BB5602_43 Depth=2
	s_cmp_lt_u32 s27, 32
	s_cselect_b64 s[28:29], -1, 0
	s_cmp_lg_u64 s[28:29], 0
	s_addc_u32 s27, s27, 0
	;;#ASMSTART
	global_load_dwordx4 v[18:21], v[30:31] off glc	
s_waitcnt vmcnt(0)
	;;#ASMEND
	v_cmp_ne_u16_sdwa s[28:29], v20, v25 src0_sel:BYTE_0 src1_sel:DWORD
	s_or_b64 s[8:9], s[28:29], s[8:9]
	s_andn2_b64 exec, exec, s[8:9]
	s_cbranch_execnz .LBB5602_43
; %bb.46:                               ;   in Loop: Header=BB5602_40 Depth=1
	s_or_b64 exec, exec, s[8:9]
	s_branch .LBB5602_39
.LBB5602_47:                            ;   in Loop: Header=BB5602_40 Depth=1
                                        ; implicit-def: $vgpr18_vgpr19
                                        ; implicit-def: $vgpr20
	s_cbranch_execz .LBB5602_40
; %bb.48:
	s_and_saveexec_b64 s[6:7], s[4:5]
	s_cbranch_execz .LBB5602_50
; %bb.49:
	s_add_i32 s4, s26, 64
	s_mov_b32 s5, 0
	s_lshl_b64 s[4:5], s[4:5], 4
	s_add_u32 s4, s20, s4
	v_add_co_u32_e32 v14, vcc, v26, v14
	s_addc_u32 s5, s21, s5
	v_addc_co_u32_e32 v15, vcc, v27, v15, vcc
	v_mov_b32_e32 v16, 2
	v_mov_b32_e32 v17, 0
	v_pk_mov_b32 v[18:19], s[4:5], s[4:5] op_sel:[0,1]
	;;#ASMSTART
	global_store_dwordx4 v[18:19], v[14:17] off	
s_waitcnt vmcnt(0)
	;;#ASMEND
.LBB5602_50:
	s_or_b64 exec, exec, s[6:7]
	s_and_b64 exec, exec, s[2:3]
	s_cbranch_execz .LBB5602_52
; %bb.51:
	v_mov_b32_e32 v1, 0
	ds_write_b64 v1, v[26:27]
.LBB5602_52:
	s_or_b64 exec, exec, s[22:23]
	v_mov_b32_e32 v1, 0
	s_waitcnt lgkmcnt(0)
	s_barrier
	ds_read_b64 v[14:15], v1
	v_add_co_u32_e32 v1, vcc, v22, v2
	v_addc_co_u32_e32 v16, vcc, v23, v3, vcc
	s_waitcnt lgkmcnt(0)
	v_add_co_u32_e32 v24, vcc, v1, v14
	v_addc_co_u32_e32 v25, vcc, v16, v15, vcc
	v_add_co_u32_e32 v30, vcc, v24, v4
	v_addc_co_u32_e32 v31, vcc, v25, v5, vcc
	;; [unrolled: 2-line block ×7, first 2 shown]
	s_branch .LBB5602_67
.LBB5602_53:
                                        ; implicit-def: $vgpr22_vgpr23
                                        ; implicit-def: $vgpr34_vgpr35
                                        ; implicit-def: $vgpr32_vgpr33
                                        ; implicit-def: $vgpr30_vgpr31
                                        ; implicit-def: $vgpr18_vgpr19_vgpr20_vgpr21
                                        ; implicit-def: $vgpr14_vgpr15_vgpr16_vgpr17
                                        ; implicit-def: $vgpr24_vgpr25_vgpr26_vgpr27
	s_cbranch_execz .LBB5602_67
; %bb.54:
	s_cmp_lg_u64 s[16:17], 0
	s_cselect_b64 s[4:5], -1, 0
	s_and_b64 s[6:7], s[2:3], s[4:5]
	s_and_saveexec_b64 s[4:5], s[6:7]
	s_cbranch_execz .LBB5602_56
; %bb.55:
	v_mov_b32_e32 v1, 0
	global_load_dwordx2 v[14:15], v1, s[12:13]
	s_waitcnt vmcnt(0)
	v_add_co_u32_e32 v2, vcc, v14, v2
	v_addc_co_u32_e32 v3, vcc, v15, v3, vcc
.LBB5602_56:
	s_or_b64 exec, exec, s[4:5]
	v_add_co_u32_e32 v30, vcc, v4, v2
	v_addc_co_u32_e32 v31, vcc, v5, v3, vcc
	v_add_co_u32_e32 v14, vcc, v30, v10
	v_addc_co_u32_e32 v15, vcc, v31, v11, vcc
	;; [unrolled: 2-line block ×6, first 2 shown]
	v_add_lshl_u32 v1, v37, v0, 3
	v_cmp_gt_u32_e32 vcc, 64, v0
	ds_write_b64 v1, v[22:23]
	s_waitcnt lgkmcnt(0)
	s_barrier
	s_and_saveexec_b64 s[6:7], vcc
	s_cbranch_execz .LBB5602_60
; %bb.57:
	v_lshlrev_b32_e32 v1, 1, v0
	v_lshrrev_b32_e32 v16, 4, v0
	v_add_lshl_u32 v17, v16, v1, 3
	ds_read2_b64 v[24:27], v17 offset1:1
	v_mbcnt_lo_u32_b32 v1, -1, 0
	v_mbcnt_hi_u32_b32 v20, -1, v1
	v_and_b32_e32 v1, 15, v20
	v_cmp_ne_u32_e64 s[4:5], 0, v20
	s_waitcnt lgkmcnt(0)
	v_add_co_u32_e32 v21, vcc, v26, v24
	v_addc_co_u32_e32 v26, vcc, v27, v25, vcc
	s_nop 0
	v_mov_b32_dpp v16, v21 row_shr:1 row_mask:0xf bank_mask:0xf
	v_add_co_u32_e32 v16, vcc, v21, v16
	v_addc_co_u32_e32 v37, vcc, 0, v26, vcc
	v_mov_b32_dpp v27, v26 row_shr:1 row_mask:0xf bank_mask:0xf
	v_add_co_u32_e32 v38, vcc, 0, v16
	v_addc_co_u32_e32 v27, vcc, v27, v37, vcc
	v_cmp_eq_u32_e32 vcc, 0, v1
	v_cndmask_b32_e32 v16, v16, v21, vcc
	v_cndmask_b32_e32 v27, v27, v26, vcc
	v_cndmask_b32_e32 v37, v38, v21, vcc
	v_mov_b32_dpp v38, v16 row_shr:2 row_mask:0xf bank_mask:0xf
	v_mov_b32_dpp v39, v27 row_shr:2 row_mask:0xf bank_mask:0xf
	v_add_co_u32_e32 v38, vcc, v38, v37
	v_addc_co_u32_e32 v39, vcc, v39, v27, vcc
	v_cmp_lt_u32_e32 vcc, 1, v1
	v_cndmask_b32_e32 v16, v16, v38, vcc
	v_cndmask_b32_e32 v27, v27, v39, vcc
	v_cndmask_b32_e32 v37, v37, v38, vcc
	v_mov_b32_dpp v38, v16 row_shr:4 row_mask:0xf bank_mask:0xf
	v_mov_b32_dpp v39, v27 row_shr:4 row_mask:0xf bank_mask:0xf
	v_add_co_u32_e32 v38, vcc, v38, v37
	v_addc_co_u32_e32 v39, vcc, v39, v27, vcc
	v_cmp_lt_u32_e32 vcc, 3, v1
	v_cndmask_b32_e32 v16, v16, v38, vcc
	v_cndmask_b32_e32 v27, v27, v39, vcc
	v_cndmask_b32_e32 v37, v37, v38, vcc
	v_mov_b32_dpp v38, v16 row_shr:8 row_mask:0xf bank_mask:0xf
	v_mov_b32_dpp v39, v27 row_shr:8 row_mask:0xf bank_mask:0xf
	v_add_co_u32_e32 v38, vcc, v38, v37
	v_addc_co_u32_e32 v39, vcc, v39, v27, vcc
	v_cmp_lt_u32_e32 vcc, 7, v1
	v_cndmask_b32_e32 v40, v16, v38, vcc
	v_cndmask_b32_e32 v1, v27, v39, vcc
	;; [unrolled: 1-line block ×3, first 2 shown]
	v_mov_b32_dpp v27, v40 row_bcast:15 row_mask:0xf bank_mask:0xf
	v_mov_b32_dpp v37, v1 row_bcast:15 row_mask:0xf bank_mask:0xf
	v_add_co_u32_e32 v27, vcc, v27, v16
	v_and_b32_e32 v39, 16, v20
	v_addc_co_u32_e32 v38, vcc, v37, v1, vcc
	v_cmp_eq_u32_e32 vcc, 0, v39
	v_cndmask_b32_e32 v39, v38, v1, vcc
	v_cndmask_b32_e32 v37, v27, v40, vcc
	s_nop 0
	v_mov_b32_dpp v39, v39 row_bcast:31 row_mask:0xf bank_mask:0xf
	v_mov_b32_dpp v37, v37 row_bcast:31 row_mask:0xf bank_mask:0xf
	s_and_saveexec_b64 s[8:9], s[4:5]
; %bb.58:
	v_cndmask_b32_e32 v1, v38, v1, vcc
	v_cndmask_b32_e32 v16, v27, v16, vcc
	v_cmp_lt_u32_e32 vcc, 31, v20
	v_cndmask_b32_e32 v21, 0, v37, vcc
	v_cndmask_b32_e32 v26, 0, v39, vcc
	v_add_co_u32_e32 v21, vcc, v21, v16
	v_addc_co_u32_e32 v26, vcc, v26, v1, vcc
; %bb.59:
	s_or_b64 exec, exec, s[8:9]
	v_add_u32_e32 v1, -1, v20
	v_and_b32_e32 v16, 64, v20
	v_cmp_lt_i32_e32 vcc, v1, v16
	v_cndmask_b32_e32 v1, v1, v20, vcc
	v_lshlrev_b32_e32 v1, 2, v1
	ds_bpermute_b32 v16, v1, v21
	ds_bpermute_b32 v1, v1, v26
	; wave barrier
	s_waitcnt lgkmcnt(1)
	v_add_co_u32_e32 v16, vcc, v24, v16
	v_addc_co_u32_e32 v20, vcc, 0, v25, vcc
	v_add_co_u32_e32 v16, vcc, 0, v16
	s_waitcnt lgkmcnt(0)
	v_addc_co_u32_e32 v1, vcc, v20, v1, vcc
	v_cndmask_b32_e64 v21, v1, v23, s[2:3]
	v_cndmask_b32_e64 v20, v16, v22, s[2:3]
	ds_write_b64 v17, v[20:21]
	; wave barrier
	ds_read_b64 v[24:25], v17 offset:8
	s_waitcnt lgkmcnt(0)
	v_add_co_u32_e32 v20, vcc, v24, v20
	v_addc_co_u32_e32 v21, vcc, v25, v21, vcc
	ds_write_b64 v17, v[20:21] offset:8
.LBB5602_60:
	s_or_b64 exec, exec, s[6:7]
	v_pk_mov_b32 v[16:17], v[22:23], v[22:23] op_sel:[0,1]
	s_waitcnt lgkmcnt(0)
	s_barrier
	s_and_saveexec_b64 s[2:3], s[0:1]
	s_cbranch_execz .LBB5602_62
; %bb.61:
	v_add_u32_e32 v1, -1, v0
	v_lshrrev_b32_e32 v16, 5, v1
	v_add_lshl_u32 v1, v16, v1, 3
	ds_read_b64 v[16:17], v1
.LBB5602_62:
	s_or_b64 exec, exec, s[2:3]
	s_and_saveexec_b64 s[2:3], s[0:1]
	s_cbranch_execz .LBB5602_64
; %bb.63:
	s_waitcnt lgkmcnt(0)
	v_add_co_u32_e32 v2, vcc, v16, v2
	v_addc_co_u32_e32 v3, vcc, v17, v3, vcc
	v_add_co_u32_e32 v30, vcc, v2, v4
	v_addc_co_u32_e32 v31, vcc, v3, v5, vcc
	;; [unrolled: 2-line block ×7, first 2 shown]
	;;#ASMSTART
	;;#ASMEND
.LBB5602_64:
	s_or_b64 exec, exec, s[2:3]
	s_movk_i32 s0, 0x7f
	v_cmp_eq_u32_e32 vcc, s0, v0
	s_and_saveexec_b64 s[0:1], vcc
	s_cbranch_execz .LBB5602_66
; %bb.65:
	s_add_u32 s2, s20, 0x400
	s_addc_u32 s3, s21, 0
	v_mov_b32_e32 v24, 2
	v_mov_b32_e32 v25, 0
	v_pk_mov_b32 v[4:5], s[2:3], s[2:3] op_sel:[0,1]
	;;#ASMSTART
	global_store_dwordx4 v[4:5], v[22:25] off	
s_waitcnt vmcnt(0)
	;;#ASMEND
.LBB5602_66:
	s_or_b64 exec, exec, s[0:1]
	v_pk_mov_b32 v[24:25], v[2:3], v[2:3] op_sel:[0,1]
.LBB5602_67:
	v_mul_u32_u24_e32 v2, 56, v0
	s_mov_b64 s[0:1], -1
	s_and_b64 vcc, exec, s[10:11]
	s_waitcnt lgkmcnt(0)
	s_barrier
	ds_write2_b64 v2, v[24:25], v[30:31] offset1:1
	ds_write2_b64 v2, v[14:15], v[32:33] offset0:2 offset1:3
	ds_write2_b64 v2, v[18:19], v[34:35] offset0:4 offset1:5
	ds_write_b64 v2, v[22:23] offset:48
	s_waitcnt lgkmcnt(0)
	s_cbranch_vccz .LBB5602_69
; %bb.68:
	s_barrier
	s_mov_b64 s[0:1], 0
.LBB5602_69:
	s_andn2_b64 vcc, exec, s[0:1]
	s_cbranch_vccnz .LBB5602_94
; %bb.70:
	v_cmp_lt_u64_e64 s[0:1], s[18:19], 2
	s_and_b64 vcc, exec, s[0:1]
	s_barrier
	s_cbranch_vccnz .LBB5602_94
; %bb.71:
	s_add_u32 s0, s24, -1
	s_addc_u32 s1, s25, -1
	s_add_u32 s2, 0, 0x92481000
	s_addc_u32 s3, 0, 0x64
	s_add_i32 s3, s3, 0x249248c0
	s_mul_hi_u32 s7, s2, -7
	s_sub_i32 s7, s7, s2
	s_mul_i32 s8, s3, -7
	s_mul_i32 s4, s2, -7
	s_add_i32 s7, s7, s8
	s_mul_hi_u32 s5, s3, s4
	s_mul_i32 s6, s3, s4
	s_mul_i32 s9, s2, s7
	s_mul_hi_u32 s4, s2, s4
	s_mul_hi_u32 s8, s2, s7
	s_add_u32 s4, s4, s9
	s_addc_u32 s8, 0, s8
	s_add_u32 s4, s4, s6
	s_mul_hi_u32 s9, s3, s7
	s_addc_u32 s4, s8, s5
	s_addc_u32 s5, s9, 0
	s_mul_i32 s6, s3, s7
	s_add_u32 s4, s4, s6
	v_mov_b32_e32 v3, s4
	s_addc_u32 s5, 0, s5
	v_add_co_u32_e32 v3, vcc, s2, v3
	s_cmp_lg_u64 vcc, 0
	s_addc_u32 s2, s3, s5
	v_readfirstlane_b32 s5, v3
	s_mul_i32 s4, s0, s2
	s_mul_hi_u32 s6, s0, s5
	s_mul_hi_u32 s3, s0, s2
	s_add_u32 s4, s6, s4
	s_addc_u32 s3, 0, s3
	s_mul_hi_u32 s7, s1, s5
	s_mul_i32 s5, s1, s5
	s_add_u32 s4, s4, s5
	s_mul_hi_u32 s6, s1, s2
	s_addc_u32 s3, s3, s7
	s_addc_u32 s4, s6, 0
	s_mul_i32 s2, s1, s2
	s_add_u32 s2, s3, s2
	s_addc_u32 s3, 0, s4
	s_add_u32 s4, s2, 1
	s_addc_u32 s5, s3, 0
	s_add_u32 s6, s2, 2
	s_mul_i32 s8, s3, 7
	s_mul_hi_u32 s9, s2, 7
	s_addc_u32 s7, s3, 0
	s_add_i32 s9, s9, s8
	s_mul_i32 s8, s2, 7
	v_mov_b32_e32 v3, s8
	v_sub_co_u32_e32 v3, vcc, s0, v3
	s_cmp_lg_u64 vcc, 0
	s_subb_u32 s8, s1, s9
	v_subrev_co_u32_e32 v4, vcc, 7, v3
	s_cmp_lg_u64 vcc, 0
	s_subb_u32 s9, s8, 0
	v_readfirstlane_b32 s10, v4
	s_cmp_gt_u32 s10, 6
	s_cselect_b32 s10, -1, 0
	s_cmp_eq_u32 s9, 0
	s_cselect_b32 s9, s10, -1
	s_cmp_lg_u32 s9, 0
	s_cselect_b32 s4, s6, s4
	v_readfirstlane_b32 s6, v3
	s_cselect_b32 s5, s7, s5
	s_cmp_gt_u32 s6, 6
	s_cselect_b32 s6, -1, 0
	s_cmp_eq_u32 s8, 0
	s_cselect_b32 s6, s6, -1
	s_cmp_lg_u32 s6, 0
	v_mov_b32_e32 v1, 0
	s_cselect_b32 s3, s5, s3
	s_cselect_b32 s2, s4, s2
	v_cmp_eq_u64_e32 vcc, s[2:3], v[0:1]
	s_and_saveexec_b64 s[2:3], vcc
	s_cbranch_execz .LBB5602_94
; %bb.72:
	s_movk_i32 s2, 0xffd0
	v_mad_i32_i24 v2, v0, s2, v2
	v_mul_hi_u32_u24_e32 v1, 7, v0
	v_mov_b32_e32 v3, s1
	v_sub_co_u32_e32 v0, vcc, s0, v36
	v_subb_co_u32_e32 v1, vcc, v3, v1, vcc
	v_cmp_lt_i64_e32 vcc, 3, v[0:1]
	s_and_saveexec_b64 s[0:1], vcc
	s_xor_b64 s[0:1], exec, s[0:1]
	s_cbranch_execz .LBB5602_82
; %bb.73:
	v_cmp_lt_i64_e32 vcc, 4, v[0:1]
	s_and_saveexec_b64 s[2:3], vcc
	s_xor_b64 s[2:3], exec, s[2:3]
	s_cbranch_execz .LBB5602_79
; %bb.74:
	v_cmp_lt_i64_e32 vcc, 5, v[0:1]
	s_and_saveexec_b64 s[4:5], vcc
	s_xor_b64 s[4:5], exec, s[4:5]
	s_cbranch_execz .LBB5602_76
; %bb.75:
	ds_read_b64 v[0:1], v2 offset:6144
	v_mov_b32_e32 v2, 0
	s_waitcnt lgkmcnt(0)
	global_store_dwordx2 v2, v[0:1], s[14:15]
                                        ; implicit-def: $vgpr2
.LBB5602_76:
	s_andn2_saveexec_b64 s[4:5], s[4:5]
	s_cbranch_execz .LBB5602_78
; %bb.77:
	ds_read_b64 v[0:1], v2 offset:5120
	v_mov_b32_e32 v2, 0
	s_waitcnt lgkmcnt(0)
	global_store_dwordx2 v2, v[0:1], s[14:15]
.LBB5602_78:
	s_or_b64 exec, exec, s[4:5]
                                        ; implicit-def: $vgpr2
.LBB5602_79:
	s_andn2_saveexec_b64 s[2:3], s[2:3]
	s_cbranch_execz .LBB5602_81
; %bb.80:
	ds_read_b64 v[0:1], v2 offset:4096
	v_mov_b32_e32 v2, 0
	s_waitcnt lgkmcnt(0)
	global_store_dwordx2 v2, v[0:1], s[14:15]
.LBB5602_81:
	s_or_b64 exec, exec, s[2:3]
                                        ; implicit-def: $vgpr0_vgpr1
                                        ; implicit-def: $vgpr2
.LBB5602_82:
	s_andn2_saveexec_b64 s[0:1], s[0:1]
	s_cbranch_execz .LBB5602_94
; %bb.83:
	v_cmp_lt_i64_e32 vcc, 1, v[0:1]
	s_and_saveexec_b64 s[0:1], vcc
	s_xor_b64 s[0:1], exec, s[0:1]
	s_cbranch_execz .LBB5602_89
; %bb.84:
	v_cmp_lt_i64_e32 vcc, 2, v[0:1]
	s_and_saveexec_b64 s[2:3], vcc
	s_xor_b64 s[2:3], exec, s[2:3]
	s_cbranch_execz .LBB5602_86
; %bb.85:
	ds_read_b64 v[0:1], v2 offset:3072
	v_mov_b32_e32 v2, 0
	s_waitcnt lgkmcnt(0)
	global_store_dwordx2 v2, v[0:1], s[14:15]
                                        ; implicit-def: $vgpr2
.LBB5602_86:
	s_andn2_saveexec_b64 s[2:3], s[2:3]
	s_cbranch_execz .LBB5602_88
; %bb.87:
	ds_read_b64 v[0:1], v2 offset:2048
	v_mov_b32_e32 v2, 0
	s_waitcnt lgkmcnt(0)
	global_store_dwordx2 v2, v[0:1], s[14:15]
.LBB5602_88:
	s_or_b64 exec, exec, s[2:3]
                                        ; implicit-def: $vgpr2
                                        ; implicit-def: $vgpr0_vgpr1
.LBB5602_89:
	s_andn2_saveexec_b64 s[0:1], s[0:1]
	s_cbranch_execz .LBB5602_94
; %bb.90:
	v_cmp_ne_u64_e32 vcc, 1, v[0:1]
	s_and_saveexec_b64 s[0:1], vcc
	s_xor_b64 s[0:1], exec, s[0:1]
	s_cbranch_execz .LBB5602_92
; %bb.91:
	ds_read_b64 v[0:1], v2
	v_mov_b32_e32 v2, 0
	s_waitcnt lgkmcnt(0)
	global_store_dwordx2 v2, v[0:1], s[14:15]
                                        ; implicit-def: $vgpr2
.LBB5602_92:
	s_andn2_saveexec_b64 s[0:1], s[0:1]
	s_cbranch_execz .LBB5602_94
; %bb.93:
	ds_read_b64 v[0:1], v2 offset:1024
	v_mov_b32_e32 v2, 0
	s_waitcnt lgkmcnt(0)
	global_store_dwordx2 v2, v[0:1], s[14:15]
.LBB5602_94:
	s_endpgm
	.section	.rodata,"a",@progbits
	.p2align	6, 0x0
	.amdhsa_kernel _ZN7rocprim17ROCPRIM_400000_NS6detail17trampoline_kernelINS0_14default_configENS1_20scan_config_selectorIxEEZZNS1_9scan_implILNS1_25lookback_scan_determinismE0ELb0ELb0ES3_N6thrust23THRUST_200600_302600_NS6detail15normal_iteratorINS9_10device_ptrIxEEEENS9_16discard_iteratorINS9_11use_defaultEEExNS9_4plusIvEExEEDaPvRmT3_T4_T5_mT6_P12ihipStream_tbENKUlT_T0_E_clISt17integral_constantIbLb1EESX_EEDaSS_ST_EUlSS_E_NS1_11comp_targetILNS1_3genE4ELNS1_11target_archE910ELNS1_3gpuE8ELNS1_3repE0EEENS1_30default_config_static_selectorELNS0_4arch9wavefront6targetE1EEEvT1_
		.amdhsa_group_segment_fixed_size 7168
		.amdhsa_private_segment_fixed_size 0
		.amdhsa_kernarg_size 112
		.amdhsa_user_sgpr_count 6
		.amdhsa_user_sgpr_private_segment_buffer 1
		.amdhsa_user_sgpr_dispatch_ptr 0
		.amdhsa_user_sgpr_queue_ptr 0
		.amdhsa_user_sgpr_kernarg_segment_ptr 1
		.amdhsa_user_sgpr_dispatch_id 0
		.amdhsa_user_sgpr_flat_scratch_init 0
		.amdhsa_user_sgpr_kernarg_preload_length 0
		.amdhsa_user_sgpr_kernarg_preload_offset 0
		.amdhsa_user_sgpr_private_segment_size 0
		.amdhsa_uses_dynamic_stack 0
		.amdhsa_system_sgpr_private_segment_wavefront_offset 0
		.amdhsa_system_sgpr_workgroup_id_x 1
		.amdhsa_system_sgpr_workgroup_id_y 0
		.amdhsa_system_sgpr_workgroup_id_z 0
		.amdhsa_system_sgpr_workgroup_info 0
		.amdhsa_system_vgpr_workitem_id 0
		.amdhsa_next_free_vgpr 50
		.amdhsa_next_free_sgpr 30
		.amdhsa_accum_offset 52
		.amdhsa_reserve_vcc 1
		.amdhsa_reserve_flat_scratch 0
		.amdhsa_float_round_mode_32 0
		.amdhsa_float_round_mode_16_64 0
		.amdhsa_float_denorm_mode_32 3
		.amdhsa_float_denorm_mode_16_64 3
		.amdhsa_dx10_clamp 1
		.amdhsa_ieee_mode 1
		.amdhsa_fp16_overflow 0
		.amdhsa_tg_split 0
		.amdhsa_exception_fp_ieee_invalid_op 0
		.amdhsa_exception_fp_denorm_src 0
		.amdhsa_exception_fp_ieee_div_zero 0
		.amdhsa_exception_fp_ieee_overflow 0
		.amdhsa_exception_fp_ieee_underflow 0
		.amdhsa_exception_fp_ieee_inexact 0
		.amdhsa_exception_int_div_zero 0
	.end_amdhsa_kernel
	.section	.text._ZN7rocprim17ROCPRIM_400000_NS6detail17trampoline_kernelINS0_14default_configENS1_20scan_config_selectorIxEEZZNS1_9scan_implILNS1_25lookback_scan_determinismE0ELb0ELb0ES3_N6thrust23THRUST_200600_302600_NS6detail15normal_iteratorINS9_10device_ptrIxEEEENS9_16discard_iteratorINS9_11use_defaultEEExNS9_4plusIvEExEEDaPvRmT3_T4_T5_mT6_P12ihipStream_tbENKUlT_T0_E_clISt17integral_constantIbLb1EESX_EEDaSS_ST_EUlSS_E_NS1_11comp_targetILNS1_3genE4ELNS1_11target_archE910ELNS1_3gpuE8ELNS1_3repE0EEENS1_30default_config_static_selectorELNS0_4arch9wavefront6targetE1EEEvT1_,"axG",@progbits,_ZN7rocprim17ROCPRIM_400000_NS6detail17trampoline_kernelINS0_14default_configENS1_20scan_config_selectorIxEEZZNS1_9scan_implILNS1_25lookback_scan_determinismE0ELb0ELb0ES3_N6thrust23THRUST_200600_302600_NS6detail15normal_iteratorINS9_10device_ptrIxEEEENS9_16discard_iteratorINS9_11use_defaultEEExNS9_4plusIvEExEEDaPvRmT3_T4_T5_mT6_P12ihipStream_tbENKUlT_T0_E_clISt17integral_constantIbLb1EESX_EEDaSS_ST_EUlSS_E_NS1_11comp_targetILNS1_3genE4ELNS1_11target_archE910ELNS1_3gpuE8ELNS1_3repE0EEENS1_30default_config_static_selectorELNS0_4arch9wavefront6targetE1EEEvT1_,comdat
.Lfunc_end5602:
	.size	_ZN7rocprim17ROCPRIM_400000_NS6detail17trampoline_kernelINS0_14default_configENS1_20scan_config_selectorIxEEZZNS1_9scan_implILNS1_25lookback_scan_determinismE0ELb0ELb0ES3_N6thrust23THRUST_200600_302600_NS6detail15normal_iteratorINS9_10device_ptrIxEEEENS9_16discard_iteratorINS9_11use_defaultEEExNS9_4plusIvEExEEDaPvRmT3_T4_T5_mT6_P12ihipStream_tbENKUlT_T0_E_clISt17integral_constantIbLb1EESX_EEDaSS_ST_EUlSS_E_NS1_11comp_targetILNS1_3genE4ELNS1_11target_archE910ELNS1_3gpuE8ELNS1_3repE0EEENS1_30default_config_static_selectorELNS0_4arch9wavefront6targetE1EEEvT1_, .Lfunc_end5602-_ZN7rocprim17ROCPRIM_400000_NS6detail17trampoline_kernelINS0_14default_configENS1_20scan_config_selectorIxEEZZNS1_9scan_implILNS1_25lookback_scan_determinismE0ELb0ELb0ES3_N6thrust23THRUST_200600_302600_NS6detail15normal_iteratorINS9_10device_ptrIxEEEENS9_16discard_iteratorINS9_11use_defaultEEExNS9_4plusIvEExEEDaPvRmT3_T4_T5_mT6_P12ihipStream_tbENKUlT_T0_E_clISt17integral_constantIbLb1EESX_EEDaSS_ST_EUlSS_E_NS1_11comp_targetILNS1_3genE4ELNS1_11target_archE910ELNS1_3gpuE8ELNS1_3repE0EEENS1_30default_config_static_selectorELNS0_4arch9wavefront6targetE1EEEvT1_
                                        ; -- End function
	.section	.AMDGPU.csdata,"",@progbits
; Kernel info:
; codeLenInByte = 5292
; NumSgprs: 34
; NumVgprs: 50
; NumAgprs: 0
; TotalNumVgprs: 50
; ScratchSize: 0
; MemoryBound: 0
; FloatMode: 240
; IeeeMode: 1
; LDSByteSize: 7168 bytes/workgroup (compile time only)
; SGPRBlocks: 4
; VGPRBlocks: 6
; NumSGPRsForWavesPerEU: 34
; NumVGPRsForWavesPerEU: 50
; AccumOffset: 52
; Occupancy: 5
; WaveLimiterHint : 1
; COMPUTE_PGM_RSRC2:SCRATCH_EN: 0
; COMPUTE_PGM_RSRC2:USER_SGPR: 6
; COMPUTE_PGM_RSRC2:TRAP_HANDLER: 0
; COMPUTE_PGM_RSRC2:TGID_X_EN: 1
; COMPUTE_PGM_RSRC2:TGID_Y_EN: 0
; COMPUTE_PGM_RSRC2:TGID_Z_EN: 0
; COMPUTE_PGM_RSRC2:TIDIG_COMP_CNT: 0
; COMPUTE_PGM_RSRC3_GFX90A:ACCUM_OFFSET: 12
; COMPUTE_PGM_RSRC3_GFX90A:TG_SPLIT: 0
	.section	.text._ZN7rocprim17ROCPRIM_400000_NS6detail17trampoline_kernelINS0_14default_configENS1_20scan_config_selectorIxEEZZNS1_9scan_implILNS1_25lookback_scan_determinismE0ELb0ELb0ES3_N6thrust23THRUST_200600_302600_NS6detail15normal_iteratorINS9_10device_ptrIxEEEENS9_16discard_iteratorINS9_11use_defaultEEExNS9_4plusIvEExEEDaPvRmT3_T4_T5_mT6_P12ihipStream_tbENKUlT_T0_E_clISt17integral_constantIbLb1EESX_EEDaSS_ST_EUlSS_E_NS1_11comp_targetILNS1_3genE3ELNS1_11target_archE908ELNS1_3gpuE7ELNS1_3repE0EEENS1_30default_config_static_selectorELNS0_4arch9wavefront6targetE1EEEvT1_,"axG",@progbits,_ZN7rocprim17ROCPRIM_400000_NS6detail17trampoline_kernelINS0_14default_configENS1_20scan_config_selectorIxEEZZNS1_9scan_implILNS1_25lookback_scan_determinismE0ELb0ELb0ES3_N6thrust23THRUST_200600_302600_NS6detail15normal_iteratorINS9_10device_ptrIxEEEENS9_16discard_iteratorINS9_11use_defaultEEExNS9_4plusIvEExEEDaPvRmT3_T4_T5_mT6_P12ihipStream_tbENKUlT_T0_E_clISt17integral_constantIbLb1EESX_EEDaSS_ST_EUlSS_E_NS1_11comp_targetILNS1_3genE3ELNS1_11target_archE908ELNS1_3gpuE7ELNS1_3repE0EEENS1_30default_config_static_selectorELNS0_4arch9wavefront6targetE1EEEvT1_,comdat
	.protected	_ZN7rocprim17ROCPRIM_400000_NS6detail17trampoline_kernelINS0_14default_configENS1_20scan_config_selectorIxEEZZNS1_9scan_implILNS1_25lookback_scan_determinismE0ELb0ELb0ES3_N6thrust23THRUST_200600_302600_NS6detail15normal_iteratorINS9_10device_ptrIxEEEENS9_16discard_iteratorINS9_11use_defaultEEExNS9_4plusIvEExEEDaPvRmT3_T4_T5_mT6_P12ihipStream_tbENKUlT_T0_E_clISt17integral_constantIbLb1EESX_EEDaSS_ST_EUlSS_E_NS1_11comp_targetILNS1_3genE3ELNS1_11target_archE908ELNS1_3gpuE7ELNS1_3repE0EEENS1_30default_config_static_selectorELNS0_4arch9wavefront6targetE1EEEvT1_ ; -- Begin function _ZN7rocprim17ROCPRIM_400000_NS6detail17trampoline_kernelINS0_14default_configENS1_20scan_config_selectorIxEEZZNS1_9scan_implILNS1_25lookback_scan_determinismE0ELb0ELb0ES3_N6thrust23THRUST_200600_302600_NS6detail15normal_iteratorINS9_10device_ptrIxEEEENS9_16discard_iteratorINS9_11use_defaultEEExNS9_4plusIvEExEEDaPvRmT3_T4_T5_mT6_P12ihipStream_tbENKUlT_T0_E_clISt17integral_constantIbLb1EESX_EEDaSS_ST_EUlSS_E_NS1_11comp_targetILNS1_3genE3ELNS1_11target_archE908ELNS1_3gpuE7ELNS1_3repE0EEENS1_30default_config_static_selectorELNS0_4arch9wavefront6targetE1EEEvT1_
	.globl	_ZN7rocprim17ROCPRIM_400000_NS6detail17trampoline_kernelINS0_14default_configENS1_20scan_config_selectorIxEEZZNS1_9scan_implILNS1_25lookback_scan_determinismE0ELb0ELb0ES3_N6thrust23THRUST_200600_302600_NS6detail15normal_iteratorINS9_10device_ptrIxEEEENS9_16discard_iteratorINS9_11use_defaultEEExNS9_4plusIvEExEEDaPvRmT3_T4_T5_mT6_P12ihipStream_tbENKUlT_T0_E_clISt17integral_constantIbLb1EESX_EEDaSS_ST_EUlSS_E_NS1_11comp_targetILNS1_3genE3ELNS1_11target_archE908ELNS1_3gpuE7ELNS1_3repE0EEENS1_30default_config_static_selectorELNS0_4arch9wavefront6targetE1EEEvT1_
	.p2align	8
	.type	_ZN7rocprim17ROCPRIM_400000_NS6detail17trampoline_kernelINS0_14default_configENS1_20scan_config_selectorIxEEZZNS1_9scan_implILNS1_25lookback_scan_determinismE0ELb0ELb0ES3_N6thrust23THRUST_200600_302600_NS6detail15normal_iteratorINS9_10device_ptrIxEEEENS9_16discard_iteratorINS9_11use_defaultEEExNS9_4plusIvEExEEDaPvRmT3_T4_T5_mT6_P12ihipStream_tbENKUlT_T0_E_clISt17integral_constantIbLb1EESX_EEDaSS_ST_EUlSS_E_NS1_11comp_targetILNS1_3genE3ELNS1_11target_archE908ELNS1_3gpuE7ELNS1_3repE0EEENS1_30default_config_static_selectorELNS0_4arch9wavefront6targetE1EEEvT1_,@function
_ZN7rocprim17ROCPRIM_400000_NS6detail17trampoline_kernelINS0_14default_configENS1_20scan_config_selectorIxEEZZNS1_9scan_implILNS1_25lookback_scan_determinismE0ELb0ELb0ES3_N6thrust23THRUST_200600_302600_NS6detail15normal_iteratorINS9_10device_ptrIxEEEENS9_16discard_iteratorINS9_11use_defaultEEExNS9_4plusIvEExEEDaPvRmT3_T4_T5_mT6_P12ihipStream_tbENKUlT_T0_E_clISt17integral_constantIbLb1EESX_EEDaSS_ST_EUlSS_E_NS1_11comp_targetILNS1_3genE3ELNS1_11target_archE908ELNS1_3gpuE7ELNS1_3repE0EEENS1_30default_config_static_selectorELNS0_4arch9wavefront6targetE1EEEvT1_: ; @_ZN7rocprim17ROCPRIM_400000_NS6detail17trampoline_kernelINS0_14default_configENS1_20scan_config_selectorIxEEZZNS1_9scan_implILNS1_25lookback_scan_determinismE0ELb0ELb0ES3_N6thrust23THRUST_200600_302600_NS6detail15normal_iteratorINS9_10device_ptrIxEEEENS9_16discard_iteratorINS9_11use_defaultEEExNS9_4plusIvEExEEDaPvRmT3_T4_T5_mT6_P12ihipStream_tbENKUlT_T0_E_clISt17integral_constantIbLb1EESX_EEDaSS_ST_EUlSS_E_NS1_11comp_targetILNS1_3genE3ELNS1_11target_archE908ELNS1_3gpuE7ELNS1_3repE0EEENS1_30default_config_static_selectorELNS0_4arch9wavefront6targetE1EEEvT1_
; %bb.0:
	.section	.rodata,"a",@progbits
	.p2align	6, 0x0
	.amdhsa_kernel _ZN7rocprim17ROCPRIM_400000_NS6detail17trampoline_kernelINS0_14default_configENS1_20scan_config_selectorIxEEZZNS1_9scan_implILNS1_25lookback_scan_determinismE0ELb0ELb0ES3_N6thrust23THRUST_200600_302600_NS6detail15normal_iteratorINS9_10device_ptrIxEEEENS9_16discard_iteratorINS9_11use_defaultEEExNS9_4plusIvEExEEDaPvRmT3_T4_T5_mT6_P12ihipStream_tbENKUlT_T0_E_clISt17integral_constantIbLb1EESX_EEDaSS_ST_EUlSS_E_NS1_11comp_targetILNS1_3genE3ELNS1_11target_archE908ELNS1_3gpuE7ELNS1_3repE0EEENS1_30default_config_static_selectorELNS0_4arch9wavefront6targetE1EEEvT1_
		.amdhsa_group_segment_fixed_size 0
		.amdhsa_private_segment_fixed_size 0
		.amdhsa_kernarg_size 112
		.amdhsa_user_sgpr_count 6
		.amdhsa_user_sgpr_private_segment_buffer 1
		.amdhsa_user_sgpr_dispatch_ptr 0
		.amdhsa_user_sgpr_queue_ptr 0
		.amdhsa_user_sgpr_kernarg_segment_ptr 1
		.amdhsa_user_sgpr_dispatch_id 0
		.amdhsa_user_sgpr_flat_scratch_init 0
		.amdhsa_user_sgpr_kernarg_preload_length 0
		.amdhsa_user_sgpr_kernarg_preload_offset 0
		.amdhsa_user_sgpr_private_segment_size 0
		.amdhsa_uses_dynamic_stack 0
		.amdhsa_system_sgpr_private_segment_wavefront_offset 0
		.amdhsa_system_sgpr_workgroup_id_x 1
		.amdhsa_system_sgpr_workgroup_id_y 0
		.amdhsa_system_sgpr_workgroup_id_z 0
		.amdhsa_system_sgpr_workgroup_info 0
		.amdhsa_system_vgpr_workitem_id 0
		.amdhsa_next_free_vgpr 1
		.amdhsa_next_free_sgpr 0
		.amdhsa_accum_offset 4
		.amdhsa_reserve_vcc 0
		.amdhsa_reserve_flat_scratch 0
		.amdhsa_float_round_mode_32 0
		.amdhsa_float_round_mode_16_64 0
		.amdhsa_float_denorm_mode_32 3
		.amdhsa_float_denorm_mode_16_64 3
		.amdhsa_dx10_clamp 1
		.amdhsa_ieee_mode 1
		.amdhsa_fp16_overflow 0
		.amdhsa_tg_split 0
		.amdhsa_exception_fp_ieee_invalid_op 0
		.amdhsa_exception_fp_denorm_src 0
		.amdhsa_exception_fp_ieee_div_zero 0
		.amdhsa_exception_fp_ieee_overflow 0
		.amdhsa_exception_fp_ieee_underflow 0
		.amdhsa_exception_fp_ieee_inexact 0
		.amdhsa_exception_int_div_zero 0
	.end_amdhsa_kernel
	.section	.text._ZN7rocprim17ROCPRIM_400000_NS6detail17trampoline_kernelINS0_14default_configENS1_20scan_config_selectorIxEEZZNS1_9scan_implILNS1_25lookback_scan_determinismE0ELb0ELb0ES3_N6thrust23THRUST_200600_302600_NS6detail15normal_iteratorINS9_10device_ptrIxEEEENS9_16discard_iteratorINS9_11use_defaultEEExNS9_4plusIvEExEEDaPvRmT3_T4_T5_mT6_P12ihipStream_tbENKUlT_T0_E_clISt17integral_constantIbLb1EESX_EEDaSS_ST_EUlSS_E_NS1_11comp_targetILNS1_3genE3ELNS1_11target_archE908ELNS1_3gpuE7ELNS1_3repE0EEENS1_30default_config_static_selectorELNS0_4arch9wavefront6targetE1EEEvT1_,"axG",@progbits,_ZN7rocprim17ROCPRIM_400000_NS6detail17trampoline_kernelINS0_14default_configENS1_20scan_config_selectorIxEEZZNS1_9scan_implILNS1_25lookback_scan_determinismE0ELb0ELb0ES3_N6thrust23THRUST_200600_302600_NS6detail15normal_iteratorINS9_10device_ptrIxEEEENS9_16discard_iteratorINS9_11use_defaultEEExNS9_4plusIvEExEEDaPvRmT3_T4_T5_mT6_P12ihipStream_tbENKUlT_T0_E_clISt17integral_constantIbLb1EESX_EEDaSS_ST_EUlSS_E_NS1_11comp_targetILNS1_3genE3ELNS1_11target_archE908ELNS1_3gpuE7ELNS1_3repE0EEENS1_30default_config_static_selectorELNS0_4arch9wavefront6targetE1EEEvT1_,comdat
.Lfunc_end5603:
	.size	_ZN7rocprim17ROCPRIM_400000_NS6detail17trampoline_kernelINS0_14default_configENS1_20scan_config_selectorIxEEZZNS1_9scan_implILNS1_25lookback_scan_determinismE0ELb0ELb0ES3_N6thrust23THRUST_200600_302600_NS6detail15normal_iteratorINS9_10device_ptrIxEEEENS9_16discard_iteratorINS9_11use_defaultEEExNS9_4plusIvEExEEDaPvRmT3_T4_T5_mT6_P12ihipStream_tbENKUlT_T0_E_clISt17integral_constantIbLb1EESX_EEDaSS_ST_EUlSS_E_NS1_11comp_targetILNS1_3genE3ELNS1_11target_archE908ELNS1_3gpuE7ELNS1_3repE0EEENS1_30default_config_static_selectorELNS0_4arch9wavefront6targetE1EEEvT1_, .Lfunc_end5603-_ZN7rocprim17ROCPRIM_400000_NS6detail17trampoline_kernelINS0_14default_configENS1_20scan_config_selectorIxEEZZNS1_9scan_implILNS1_25lookback_scan_determinismE0ELb0ELb0ES3_N6thrust23THRUST_200600_302600_NS6detail15normal_iteratorINS9_10device_ptrIxEEEENS9_16discard_iteratorINS9_11use_defaultEEExNS9_4plusIvEExEEDaPvRmT3_T4_T5_mT6_P12ihipStream_tbENKUlT_T0_E_clISt17integral_constantIbLb1EESX_EEDaSS_ST_EUlSS_E_NS1_11comp_targetILNS1_3genE3ELNS1_11target_archE908ELNS1_3gpuE7ELNS1_3repE0EEENS1_30default_config_static_selectorELNS0_4arch9wavefront6targetE1EEEvT1_
                                        ; -- End function
	.section	.AMDGPU.csdata,"",@progbits
; Kernel info:
; codeLenInByte = 0
; NumSgprs: 4
; NumVgprs: 0
; NumAgprs: 0
; TotalNumVgprs: 0
; ScratchSize: 0
; MemoryBound: 0
; FloatMode: 240
; IeeeMode: 1
; LDSByteSize: 0 bytes/workgroup (compile time only)
; SGPRBlocks: 0
; VGPRBlocks: 0
; NumSGPRsForWavesPerEU: 4
; NumVGPRsForWavesPerEU: 1
; AccumOffset: 4
; Occupancy: 8
; WaveLimiterHint : 0
; COMPUTE_PGM_RSRC2:SCRATCH_EN: 0
; COMPUTE_PGM_RSRC2:USER_SGPR: 6
; COMPUTE_PGM_RSRC2:TRAP_HANDLER: 0
; COMPUTE_PGM_RSRC2:TGID_X_EN: 1
; COMPUTE_PGM_RSRC2:TGID_Y_EN: 0
; COMPUTE_PGM_RSRC2:TGID_Z_EN: 0
; COMPUTE_PGM_RSRC2:TIDIG_COMP_CNT: 0
; COMPUTE_PGM_RSRC3_GFX90A:ACCUM_OFFSET: 0
; COMPUTE_PGM_RSRC3_GFX90A:TG_SPLIT: 0
	.section	.text._ZN7rocprim17ROCPRIM_400000_NS6detail17trampoline_kernelINS0_14default_configENS1_20scan_config_selectorIxEEZZNS1_9scan_implILNS1_25lookback_scan_determinismE0ELb0ELb0ES3_N6thrust23THRUST_200600_302600_NS6detail15normal_iteratorINS9_10device_ptrIxEEEENS9_16discard_iteratorINS9_11use_defaultEEExNS9_4plusIvEExEEDaPvRmT3_T4_T5_mT6_P12ihipStream_tbENKUlT_T0_E_clISt17integral_constantIbLb1EESX_EEDaSS_ST_EUlSS_E_NS1_11comp_targetILNS1_3genE2ELNS1_11target_archE906ELNS1_3gpuE6ELNS1_3repE0EEENS1_30default_config_static_selectorELNS0_4arch9wavefront6targetE1EEEvT1_,"axG",@progbits,_ZN7rocprim17ROCPRIM_400000_NS6detail17trampoline_kernelINS0_14default_configENS1_20scan_config_selectorIxEEZZNS1_9scan_implILNS1_25lookback_scan_determinismE0ELb0ELb0ES3_N6thrust23THRUST_200600_302600_NS6detail15normal_iteratorINS9_10device_ptrIxEEEENS9_16discard_iteratorINS9_11use_defaultEEExNS9_4plusIvEExEEDaPvRmT3_T4_T5_mT6_P12ihipStream_tbENKUlT_T0_E_clISt17integral_constantIbLb1EESX_EEDaSS_ST_EUlSS_E_NS1_11comp_targetILNS1_3genE2ELNS1_11target_archE906ELNS1_3gpuE6ELNS1_3repE0EEENS1_30default_config_static_selectorELNS0_4arch9wavefront6targetE1EEEvT1_,comdat
	.protected	_ZN7rocprim17ROCPRIM_400000_NS6detail17trampoline_kernelINS0_14default_configENS1_20scan_config_selectorIxEEZZNS1_9scan_implILNS1_25lookback_scan_determinismE0ELb0ELb0ES3_N6thrust23THRUST_200600_302600_NS6detail15normal_iteratorINS9_10device_ptrIxEEEENS9_16discard_iteratorINS9_11use_defaultEEExNS9_4plusIvEExEEDaPvRmT3_T4_T5_mT6_P12ihipStream_tbENKUlT_T0_E_clISt17integral_constantIbLb1EESX_EEDaSS_ST_EUlSS_E_NS1_11comp_targetILNS1_3genE2ELNS1_11target_archE906ELNS1_3gpuE6ELNS1_3repE0EEENS1_30default_config_static_selectorELNS0_4arch9wavefront6targetE1EEEvT1_ ; -- Begin function _ZN7rocprim17ROCPRIM_400000_NS6detail17trampoline_kernelINS0_14default_configENS1_20scan_config_selectorIxEEZZNS1_9scan_implILNS1_25lookback_scan_determinismE0ELb0ELb0ES3_N6thrust23THRUST_200600_302600_NS6detail15normal_iteratorINS9_10device_ptrIxEEEENS9_16discard_iteratorINS9_11use_defaultEEExNS9_4plusIvEExEEDaPvRmT3_T4_T5_mT6_P12ihipStream_tbENKUlT_T0_E_clISt17integral_constantIbLb1EESX_EEDaSS_ST_EUlSS_E_NS1_11comp_targetILNS1_3genE2ELNS1_11target_archE906ELNS1_3gpuE6ELNS1_3repE0EEENS1_30default_config_static_selectorELNS0_4arch9wavefront6targetE1EEEvT1_
	.globl	_ZN7rocprim17ROCPRIM_400000_NS6detail17trampoline_kernelINS0_14default_configENS1_20scan_config_selectorIxEEZZNS1_9scan_implILNS1_25lookback_scan_determinismE0ELb0ELb0ES3_N6thrust23THRUST_200600_302600_NS6detail15normal_iteratorINS9_10device_ptrIxEEEENS9_16discard_iteratorINS9_11use_defaultEEExNS9_4plusIvEExEEDaPvRmT3_T4_T5_mT6_P12ihipStream_tbENKUlT_T0_E_clISt17integral_constantIbLb1EESX_EEDaSS_ST_EUlSS_E_NS1_11comp_targetILNS1_3genE2ELNS1_11target_archE906ELNS1_3gpuE6ELNS1_3repE0EEENS1_30default_config_static_selectorELNS0_4arch9wavefront6targetE1EEEvT1_
	.p2align	8
	.type	_ZN7rocprim17ROCPRIM_400000_NS6detail17trampoline_kernelINS0_14default_configENS1_20scan_config_selectorIxEEZZNS1_9scan_implILNS1_25lookback_scan_determinismE0ELb0ELb0ES3_N6thrust23THRUST_200600_302600_NS6detail15normal_iteratorINS9_10device_ptrIxEEEENS9_16discard_iteratorINS9_11use_defaultEEExNS9_4plusIvEExEEDaPvRmT3_T4_T5_mT6_P12ihipStream_tbENKUlT_T0_E_clISt17integral_constantIbLb1EESX_EEDaSS_ST_EUlSS_E_NS1_11comp_targetILNS1_3genE2ELNS1_11target_archE906ELNS1_3gpuE6ELNS1_3repE0EEENS1_30default_config_static_selectorELNS0_4arch9wavefront6targetE1EEEvT1_,@function
_ZN7rocprim17ROCPRIM_400000_NS6detail17trampoline_kernelINS0_14default_configENS1_20scan_config_selectorIxEEZZNS1_9scan_implILNS1_25lookback_scan_determinismE0ELb0ELb0ES3_N6thrust23THRUST_200600_302600_NS6detail15normal_iteratorINS9_10device_ptrIxEEEENS9_16discard_iteratorINS9_11use_defaultEEExNS9_4plusIvEExEEDaPvRmT3_T4_T5_mT6_P12ihipStream_tbENKUlT_T0_E_clISt17integral_constantIbLb1EESX_EEDaSS_ST_EUlSS_E_NS1_11comp_targetILNS1_3genE2ELNS1_11target_archE906ELNS1_3gpuE6ELNS1_3repE0EEENS1_30default_config_static_selectorELNS0_4arch9wavefront6targetE1EEEvT1_: ; @_ZN7rocprim17ROCPRIM_400000_NS6detail17trampoline_kernelINS0_14default_configENS1_20scan_config_selectorIxEEZZNS1_9scan_implILNS1_25lookback_scan_determinismE0ELb0ELb0ES3_N6thrust23THRUST_200600_302600_NS6detail15normal_iteratorINS9_10device_ptrIxEEEENS9_16discard_iteratorINS9_11use_defaultEEExNS9_4plusIvEExEEDaPvRmT3_T4_T5_mT6_P12ihipStream_tbENKUlT_T0_E_clISt17integral_constantIbLb1EESX_EEDaSS_ST_EUlSS_E_NS1_11comp_targetILNS1_3genE2ELNS1_11target_archE906ELNS1_3gpuE6ELNS1_3repE0EEENS1_30default_config_static_selectorELNS0_4arch9wavefront6targetE1EEEvT1_
; %bb.0:
	.section	.rodata,"a",@progbits
	.p2align	6, 0x0
	.amdhsa_kernel _ZN7rocprim17ROCPRIM_400000_NS6detail17trampoline_kernelINS0_14default_configENS1_20scan_config_selectorIxEEZZNS1_9scan_implILNS1_25lookback_scan_determinismE0ELb0ELb0ES3_N6thrust23THRUST_200600_302600_NS6detail15normal_iteratorINS9_10device_ptrIxEEEENS9_16discard_iteratorINS9_11use_defaultEEExNS9_4plusIvEExEEDaPvRmT3_T4_T5_mT6_P12ihipStream_tbENKUlT_T0_E_clISt17integral_constantIbLb1EESX_EEDaSS_ST_EUlSS_E_NS1_11comp_targetILNS1_3genE2ELNS1_11target_archE906ELNS1_3gpuE6ELNS1_3repE0EEENS1_30default_config_static_selectorELNS0_4arch9wavefront6targetE1EEEvT1_
		.amdhsa_group_segment_fixed_size 0
		.amdhsa_private_segment_fixed_size 0
		.amdhsa_kernarg_size 112
		.amdhsa_user_sgpr_count 6
		.amdhsa_user_sgpr_private_segment_buffer 1
		.amdhsa_user_sgpr_dispatch_ptr 0
		.amdhsa_user_sgpr_queue_ptr 0
		.amdhsa_user_sgpr_kernarg_segment_ptr 1
		.amdhsa_user_sgpr_dispatch_id 0
		.amdhsa_user_sgpr_flat_scratch_init 0
		.amdhsa_user_sgpr_kernarg_preload_length 0
		.amdhsa_user_sgpr_kernarg_preload_offset 0
		.amdhsa_user_sgpr_private_segment_size 0
		.amdhsa_uses_dynamic_stack 0
		.amdhsa_system_sgpr_private_segment_wavefront_offset 0
		.amdhsa_system_sgpr_workgroup_id_x 1
		.amdhsa_system_sgpr_workgroup_id_y 0
		.amdhsa_system_sgpr_workgroup_id_z 0
		.amdhsa_system_sgpr_workgroup_info 0
		.amdhsa_system_vgpr_workitem_id 0
		.amdhsa_next_free_vgpr 1
		.amdhsa_next_free_sgpr 0
		.amdhsa_accum_offset 4
		.amdhsa_reserve_vcc 0
		.amdhsa_reserve_flat_scratch 0
		.amdhsa_float_round_mode_32 0
		.amdhsa_float_round_mode_16_64 0
		.amdhsa_float_denorm_mode_32 3
		.amdhsa_float_denorm_mode_16_64 3
		.amdhsa_dx10_clamp 1
		.amdhsa_ieee_mode 1
		.amdhsa_fp16_overflow 0
		.amdhsa_tg_split 0
		.amdhsa_exception_fp_ieee_invalid_op 0
		.amdhsa_exception_fp_denorm_src 0
		.amdhsa_exception_fp_ieee_div_zero 0
		.amdhsa_exception_fp_ieee_overflow 0
		.amdhsa_exception_fp_ieee_underflow 0
		.amdhsa_exception_fp_ieee_inexact 0
		.amdhsa_exception_int_div_zero 0
	.end_amdhsa_kernel
	.section	.text._ZN7rocprim17ROCPRIM_400000_NS6detail17trampoline_kernelINS0_14default_configENS1_20scan_config_selectorIxEEZZNS1_9scan_implILNS1_25lookback_scan_determinismE0ELb0ELb0ES3_N6thrust23THRUST_200600_302600_NS6detail15normal_iteratorINS9_10device_ptrIxEEEENS9_16discard_iteratorINS9_11use_defaultEEExNS9_4plusIvEExEEDaPvRmT3_T4_T5_mT6_P12ihipStream_tbENKUlT_T0_E_clISt17integral_constantIbLb1EESX_EEDaSS_ST_EUlSS_E_NS1_11comp_targetILNS1_3genE2ELNS1_11target_archE906ELNS1_3gpuE6ELNS1_3repE0EEENS1_30default_config_static_selectorELNS0_4arch9wavefront6targetE1EEEvT1_,"axG",@progbits,_ZN7rocprim17ROCPRIM_400000_NS6detail17trampoline_kernelINS0_14default_configENS1_20scan_config_selectorIxEEZZNS1_9scan_implILNS1_25lookback_scan_determinismE0ELb0ELb0ES3_N6thrust23THRUST_200600_302600_NS6detail15normal_iteratorINS9_10device_ptrIxEEEENS9_16discard_iteratorINS9_11use_defaultEEExNS9_4plusIvEExEEDaPvRmT3_T4_T5_mT6_P12ihipStream_tbENKUlT_T0_E_clISt17integral_constantIbLb1EESX_EEDaSS_ST_EUlSS_E_NS1_11comp_targetILNS1_3genE2ELNS1_11target_archE906ELNS1_3gpuE6ELNS1_3repE0EEENS1_30default_config_static_selectorELNS0_4arch9wavefront6targetE1EEEvT1_,comdat
.Lfunc_end5604:
	.size	_ZN7rocprim17ROCPRIM_400000_NS6detail17trampoline_kernelINS0_14default_configENS1_20scan_config_selectorIxEEZZNS1_9scan_implILNS1_25lookback_scan_determinismE0ELb0ELb0ES3_N6thrust23THRUST_200600_302600_NS6detail15normal_iteratorINS9_10device_ptrIxEEEENS9_16discard_iteratorINS9_11use_defaultEEExNS9_4plusIvEExEEDaPvRmT3_T4_T5_mT6_P12ihipStream_tbENKUlT_T0_E_clISt17integral_constantIbLb1EESX_EEDaSS_ST_EUlSS_E_NS1_11comp_targetILNS1_3genE2ELNS1_11target_archE906ELNS1_3gpuE6ELNS1_3repE0EEENS1_30default_config_static_selectorELNS0_4arch9wavefront6targetE1EEEvT1_, .Lfunc_end5604-_ZN7rocprim17ROCPRIM_400000_NS6detail17trampoline_kernelINS0_14default_configENS1_20scan_config_selectorIxEEZZNS1_9scan_implILNS1_25lookback_scan_determinismE0ELb0ELb0ES3_N6thrust23THRUST_200600_302600_NS6detail15normal_iteratorINS9_10device_ptrIxEEEENS9_16discard_iteratorINS9_11use_defaultEEExNS9_4plusIvEExEEDaPvRmT3_T4_T5_mT6_P12ihipStream_tbENKUlT_T0_E_clISt17integral_constantIbLb1EESX_EEDaSS_ST_EUlSS_E_NS1_11comp_targetILNS1_3genE2ELNS1_11target_archE906ELNS1_3gpuE6ELNS1_3repE0EEENS1_30default_config_static_selectorELNS0_4arch9wavefront6targetE1EEEvT1_
                                        ; -- End function
	.section	.AMDGPU.csdata,"",@progbits
; Kernel info:
; codeLenInByte = 0
; NumSgprs: 4
; NumVgprs: 0
; NumAgprs: 0
; TotalNumVgprs: 0
; ScratchSize: 0
; MemoryBound: 0
; FloatMode: 240
; IeeeMode: 1
; LDSByteSize: 0 bytes/workgroup (compile time only)
; SGPRBlocks: 0
; VGPRBlocks: 0
; NumSGPRsForWavesPerEU: 4
; NumVGPRsForWavesPerEU: 1
; AccumOffset: 4
; Occupancy: 8
; WaveLimiterHint : 0
; COMPUTE_PGM_RSRC2:SCRATCH_EN: 0
; COMPUTE_PGM_RSRC2:USER_SGPR: 6
; COMPUTE_PGM_RSRC2:TRAP_HANDLER: 0
; COMPUTE_PGM_RSRC2:TGID_X_EN: 1
; COMPUTE_PGM_RSRC2:TGID_Y_EN: 0
; COMPUTE_PGM_RSRC2:TGID_Z_EN: 0
; COMPUTE_PGM_RSRC2:TIDIG_COMP_CNT: 0
; COMPUTE_PGM_RSRC3_GFX90A:ACCUM_OFFSET: 0
; COMPUTE_PGM_RSRC3_GFX90A:TG_SPLIT: 0
	.section	.text._ZN7rocprim17ROCPRIM_400000_NS6detail17trampoline_kernelINS0_14default_configENS1_20scan_config_selectorIxEEZZNS1_9scan_implILNS1_25lookback_scan_determinismE0ELb0ELb0ES3_N6thrust23THRUST_200600_302600_NS6detail15normal_iteratorINS9_10device_ptrIxEEEENS9_16discard_iteratorINS9_11use_defaultEEExNS9_4plusIvEExEEDaPvRmT3_T4_T5_mT6_P12ihipStream_tbENKUlT_T0_E_clISt17integral_constantIbLb1EESX_EEDaSS_ST_EUlSS_E_NS1_11comp_targetILNS1_3genE10ELNS1_11target_archE1201ELNS1_3gpuE5ELNS1_3repE0EEENS1_30default_config_static_selectorELNS0_4arch9wavefront6targetE1EEEvT1_,"axG",@progbits,_ZN7rocprim17ROCPRIM_400000_NS6detail17trampoline_kernelINS0_14default_configENS1_20scan_config_selectorIxEEZZNS1_9scan_implILNS1_25lookback_scan_determinismE0ELb0ELb0ES3_N6thrust23THRUST_200600_302600_NS6detail15normal_iteratorINS9_10device_ptrIxEEEENS9_16discard_iteratorINS9_11use_defaultEEExNS9_4plusIvEExEEDaPvRmT3_T4_T5_mT6_P12ihipStream_tbENKUlT_T0_E_clISt17integral_constantIbLb1EESX_EEDaSS_ST_EUlSS_E_NS1_11comp_targetILNS1_3genE10ELNS1_11target_archE1201ELNS1_3gpuE5ELNS1_3repE0EEENS1_30default_config_static_selectorELNS0_4arch9wavefront6targetE1EEEvT1_,comdat
	.protected	_ZN7rocprim17ROCPRIM_400000_NS6detail17trampoline_kernelINS0_14default_configENS1_20scan_config_selectorIxEEZZNS1_9scan_implILNS1_25lookback_scan_determinismE0ELb0ELb0ES3_N6thrust23THRUST_200600_302600_NS6detail15normal_iteratorINS9_10device_ptrIxEEEENS9_16discard_iteratorINS9_11use_defaultEEExNS9_4plusIvEExEEDaPvRmT3_T4_T5_mT6_P12ihipStream_tbENKUlT_T0_E_clISt17integral_constantIbLb1EESX_EEDaSS_ST_EUlSS_E_NS1_11comp_targetILNS1_3genE10ELNS1_11target_archE1201ELNS1_3gpuE5ELNS1_3repE0EEENS1_30default_config_static_selectorELNS0_4arch9wavefront6targetE1EEEvT1_ ; -- Begin function _ZN7rocprim17ROCPRIM_400000_NS6detail17trampoline_kernelINS0_14default_configENS1_20scan_config_selectorIxEEZZNS1_9scan_implILNS1_25lookback_scan_determinismE0ELb0ELb0ES3_N6thrust23THRUST_200600_302600_NS6detail15normal_iteratorINS9_10device_ptrIxEEEENS9_16discard_iteratorINS9_11use_defaultEEExNS9_4plusIvEExEEDaPvRmT3_T4_T5_mT6_P12ihipStream_tbENKUlT_T0_E_clISt17integral_constantIbLb1EESX_EEDaSS_ST_EUlSS_E_NS1_11comp_targetILNS1_3genE10ELNS1_11target_archE1201ELNS1_3gpuE5ELNS1_3repE0EEENS1_30default_config_static_selectorELNS0_4arch9wavefront6targetE1EEEvT1_
	.globl	_ZN7rocprim17ROCPRIM_400000_NS6detail17trampoline_kernelINS0_14default_configENS1_20scan_config_selectorIxEEZZNS1_9scan_implILNS1_25lookback_scan_determinismE0ELb0ELb0ES3_N6thrust23THRUST_200600_302600_NS6detail15normal_iteratorINS9_10device_ptrIxEEEENS9_16discard_iteratorINS9_11use_defaultEEExNS9_4plusIvEExEEDaPvRmT3_T4_T5_mT6_P12ihipStream_tbENKUlT_T0_E_clISt17integral_constantIbLb1EESX_EEDaSS_ST_EUlSS_E_NS1_11comp_targetILNS1_3genE10ELNS1_11target_archE1201ELNS1_3gpuE5ELNS1_3repE0EEENS1_30default_config_static_selectorELNS0_4arch9wavefront6targetE1EEEvT1_
	.p2align	8
	.type	_ZN7rocprim17ROCPRIM_400000_NS6detail17trampoline_kernelINS0_14default_configENS1_20scan_config_selectorIxEEZZNS1_9scan_implILNS1_25lookback_scan_determinismE0ELb0ELb0ES3_N6thrust23THRUST_200600_302600_NS6detail15normal_iteratorINS9_10device_ptrIxEEEENS9_16discard_iteratorINS9_11use_defaultEEExNS9_4plusIvEExEEDaPvRmT3_T4_T5_mT6_P12ihipStream_tbENKUlT_T0_E_clISt17integral_constantIbLb1EESX_EEDaSS_ST_EUlSS_E_NS1_11comp_targetILNS1_3genE10ELNS1_11target_archE1201ELNS1_3gpuE5ELNS1_3repE0EEENS1_30default_config_static_selectorELNS0_4arch9wavefront6targetE1EEEvT1_,@function
_ZN7rocprim17ROCPRIM_400000_NS6detail17trampoline_kernelINS0_14default_configENS1_20scan_config_selectorIxEEZZNS1_9scan_implILNS1_25lookback_scan_determinismE0ELb0ELb0ES3_N6thrust23THRUST_200600_302600_NS6detail15normal_iteratorINS9_10device_ptrIxEEEENS9_16discard_iteratorINS9_11use_defaultEEExNS9_4plusIvEExEEDaPvRmT3_T4_T5_mT6_P12ihipStream_tbENKUlT_T0_E_clISt17integral_constantIbLb1EESX_EEDaSS_ST_EUlSS_E_NS1_11comp_targetILNS1_3genE10ELNS1_11target_archE1201ELNS1_3gpuE5ELNS1_3repE0EEENS1_30default_config_static_selectorELNS0_4arch9wavefront6targetE1EEEvT1_: ; @_ZN7rocprim17ROCPRIM_400000_NS6detail17trampoline_kernelINS0_14default_configENS1_20scan_config_selectorIxEEZZNS1_9scan_implILNS1_25lookback_scan_determinismE0ELb0ELb0ES3_N6thrust23THRUST_200600_302600_NS6detail15normal_iteratorINS9_10device_ptrIxEEEENS9_16discard_iteratorINS9_11use_defaultEEExNS9_4plusIvEExEEDaPvRmT3_T4_T5_mT6_P12ihipStream_tbENKUlT_T0_E_clISt17integral_constantIbLb1EESX_EEDaSS_ST_EUlSS_E_NS1_11comp_targetILNS1_3genE10ELNS1_11target_archE1201ELNS1_3gpuE5ELNS1_3repE0EEENS1_30default_config_static_selectorELNS0_4arch9wavefront6targetE1EEEvT1_
; %bb.0:
	.section	.rodata,"a",@progbits
	.p2align	6, 0x0
	.amdhsa_kernel _ZN7rocprim17ROCPRIM_400000_NS6detail17trampoline_kernelINS0_14default_configENS1_20scan_config_selectorIxEEZZNS1_9scan_implILNS1_25lookback_scan_determinismE0ELb0ELb0ES3_N6thrust23THRUST_200600_302600_NS6detail15normal_iteratorINS9_10device_ptrIxEEEENS9_16discard_iteratorINS9_11use_defaultEEExNS9_4plusIvEExEEDaPvRmT3_T4_T5_mT6_P12ihipStream_tbENKUlT_T0_E_clISt17integral_constantIbLb1EESX_EEDaSS_ST_EUlSS_E_NS1_11comp_targetILNS1_3genE10ELNS1_11target_archE1201ELNS1_3gpuE5ELNS1_3repE0EEENS1_30default_config_static_selectorELNS0_4arch9wavefront6targetE1EEEvT1_
		.amdhsa_group_segment_fixed_size 0
		.amdhsa_private_segment_fixed_size 0
		.amdhsa_kernarg_size 112
		.amdhsa_user_sgpr_count 6
		.amdhsa_user_sgpr_private_segment_buffer 1
		.amdhsa_user_sgpr_dispatch_ptr 0
		.amdhsa_user_sgpr_queue_ptr 0
		.amdhsa_user_sgpr_kernarg_segment_ptr 1
		.amdhsa_user_sgpr_dispatch_id 0
		.amdhsa_user_sgpr_flat_scratch_init 0
		.amdhsa_user_sgpr_kernarg_preload_length 0
		.amdhsa_user_sgpr_kernarg_preload_offset 0
		.amdhsa_user_sgpr_private_segment_size 0
		.amdhsa_uses_dynamic_stack 0
		.amdhsa_system_sgpr_private_segment_wavefront_offset 0
		.amdhsa_system_sgpr_workgroup_id_x 1
		.amdhsa_system_sgpr_workgroup_id_y 0
		.amdhsa_system_sgpr_workgroup_id_z 0
		.amdhsa_system_sgpr_workgroup_info 0
		.amdhsa_system_vgpr_workitem_id 0
		.amdhsa_next_free_vgpr 1
		.amdhsa_next_free_sgpr 0
		.amdhsa_accum_offset 4
		.amdhsa_reserve_vcc 0
		.amdhsa_reserve_flat_scratch 0
		.amdhsa_float_round_mode_32 0
		.amdhsa_float_round_mode_16_64 0
		.amdhsa_float_denorm_mode_32 3
		.amdhsa_float_denorm_mode_16_64 3
		.amdhsa_dx10_clamp 1
		.amdhsa_ieee_mode 1
		.amdhsa_fp16_overflow 0
		.amdhsa_tg_split 0
		.amdhsa_exception_fp_ieee_invalid_op 0
		.amdhsa_exception_fp_denorm_src 0
		.amdhsa_exception_fp_ieee_div_zero 0
		.amdhsa_exception_fp_ieee_overflow 0
		.amdhsa_exception_fp_ieee_underflow 0
		.amdhsa_exception_fp_ieee_inexact 0
		.amdhsa_exception_int_div_zero 0
	.end_amdhsa_kernel
	.section	.text._ZN7rocprim17ROCPRIM_400000_NS6detail17trampoline_kernelINS0_14default_configENS1_20scan_config_selectorIxEEZZNS1_9scan_implILNS1_25lookback_scan_determinismE0ELb0ELb0ES3_N6thrust23THRUST_200600_302600_NS6detail15normal_iteratorINS9_10device_ptrIxEEEENS9_16discard_iteratorINS9_11use_defaultEEExNS9_4plusIvEExEEDaPvRmT3_T4_T5_mT6_P12ihipStream_tbENKUlT_T0_E_clISt17integral_constantIbLb1EESX_EEDaSS_ST_EUlSS_E_NS1_11comp_targetILNS1_3genE10ELNS1_11target_archE1201ELNS1_3gpuE5ELNS1_3repE0EEENS1_30default_config_static_selectorELNS0_4arch9wavefront6targetE1EEEvT1_,"axG",@progbits,_ZN7rocprim17ROCPRIM_400000_NS6detail17trampoline_kernelINS0_14default_configENS1_20scan_config_selectorIxEEZZNS1_9scan_implILNS1_25lookback_scan_determinismE0ELb0ELb0ES3_N6thrust23THRUST_200600_302600_NS6detail15normal_iteratorINS9_10device_ptrIxEEEENS9_16discard_iteratorINS9_11use_defaultEEExNS9_4plusIvEExEEDaPvRmT3_T4_T5_mT6_P12ihipStream_tbENKUlT_T0_E_clISt17integral_constantIbLb1EESX_EEDaSS_ST_EUlSS_E_NS1_11comp_targetILNS1_3genE10ELNS1_11target_archE1201ELNS1_3gpuE5ELNS1_3repE0EEENS1_30default_config_static_selectorELNS0_4arch9wavefront6targetE1EEEvT1_,comdat
.Lfunc_end5605:
	.size	_ZN7rocprim17ROCPRIM_400000_NS6detail17trampoline_kernelINS0_14default_configENS1_20scan_config_selectorIxEEZZNS1_9scan_implILNS1_25lookback_scan_determinismE0ELb0ELb0ES3_N6thrust23THRUST_200600_302600_NS6detail15normal_iteratorINS9_10device_ptrIxEEEENS9_16discard_iteratorINS9_11use_defaultEEExNS9_4plusIvEExEEDaPvRmT3_T4_T5_mT6_P12ihipStream_tbENKUlT_T0_E_clISt17integral_constantIbLb1EESX_EEDaSS_ST_EUlSS_E_NS1_11comp_targetILNS1_3genE10ELNS1_11target_archE1201ELNS1_3gpuE5ELNS1_3repE0EEENS1_30default_config_static_selectorELNS0_4arch9wavefront6targetE1EEEvT1_, .Lfunc_end5605-_ZN7rocprim17ROCPRIM_400000_NS6detail17trampoline_kernelINS0_14default_configENS1_20scan_config_selectorIxEEZZNS1_9scan_implILNS1_25lookback_scan_determinismE0ELb0ELb0ES3_N6thrust23THRUST_200600_302600_NS6detail15normal_iteratorINS9_10device_ptrIxEEEENS9_16discard_iteratorINS9_11use_defaultEEExNS9_4plusIvEExEEDaPvRmT3_T4_T5_mT6_P12ihipStream_tbENKUlT_T0_E_clISt17integral_constantIbLb1EESX_EEDaSS_ST_EUlSS_E_NS1_11comp_targetILNS1_3genE10ELNS1_11target_archE1201ELNS1_3gpuE5ELNS1_3repE0EEENS1_30default_config_static_selectorELNS0_4arch9wavefront6targetE1EEEvT1_
                                        ; -- End function
	.section	.AMDGPU.csdata,"",@progbits
; Kernel info:
; codeLenInByte = 0
; NumSgprs: 4
; NumVgprs: 0
; NumAgprs: 0
; TotalNumVgprs: 0
; ScratchSize: 0
; MemoryBound: 0
; FloatMode: 240
; IeeeMode: 1
; LDSByteSize: 0 bytes/workgroup (compile time only)
; SGPRBlocks: 0
; VGPRBlocks: 0
; NumSGPRsForWavesPerEU: 4
; NumVGPRsForWavesPerEU: 1
; AccumOffset: 4
; Occupancy: 8
; WaveLimiterHint : 0
; COMPUTE_PGM_RSRC2:SCRATCH_EN: 0
; COMPUTE_PGM_RSRC2:USER_SGPR: 6
; COMPUTE_PGM_RSRC2:TRAP_HANDLER: 0
; COMPUTE_PGM_RSRC2:TGID_X_EN: 1
; COMPUTE_PGM_RSRC2:TGID_Y_EN: 0
; COMPUTE_PGM_RSRC2:TGID_Z_EN: 0
; COMPUTE_PGM_RSRC2:TIDIG_COMP_CNT: 0
; COMPUTE_PGM_RSRC3_GFX90A:ACCUM_OFFSET: 0
; COMPUTE_PGM_RSRC3_GFX90A:TG_SPLIT: 0
	.section	.text._ZN7rocprim17ROCPRIM_400000_NS6detail17trampoline_kernelINS0_14default_configENS1_20scan_config_selectorIxEEZZNS1_9scan_implILNS1_25lookback_scan_determinismE0ELb0ELb0ES3_N6thrust23THRUST_200600_302600_NS6detail15normal_iteratorINS9_10device_ptrIxEEEENS9_16discard_iteratorINS9_11use_defaultEEExNS9_4plusIvEExEEDaPvRmT3_T4_T5_mT6_P12ihipStream_tbENKUlT_T0_E_clISt17integral_constantIbLb1EESX_EEDaSS_ST_EUlSS_E_NS1_11comp_targetILNS1_3genE10ELNS1_11target_archE1200ELNS1_3gpuE4ELNS1_3repE0EEENS1_30default_config_static_selectorELNS0_4arch9wavefront6targetE1EEEvT1_,"axG",@progbits,_ZN7rocprim17ROCPRIM_400000_NS6detail17trampoline_kernelINS0_14default_configENS1_20scan_config_selectorIxEEZZNS1_9scan_implILNS1_25lookback_scan_determinismE0ELb0ELb0ES3_N6thrust23THRUST_200600_302600_NS6detail15normal_iteratorINS9_10device_ptrIxEEEENS9_16discard_iteratorINS9_11use_defaultEEExNS9_4plusIvEExEEDaPvRmT3_T4_T5_mT6_P12ihipStream_tbENKUlT_T0_E_clISt17integral_constantIbLb1EESX_EEDaSS_ST_EUlSS_E_NS1_11comp_targetILNS1_3genE10ELNS1_11target_archE1200ELNS1_3gpuE4ELNS1_3repE0EEENS1_30default_config_static_selectorELNS0_4arch9wavefront6targetE1EEEvT1_,comdat
	.protected	_ZN7rocprim17ROCPRIM_400000_NS6detail17trampoline_kernelINS0_14default_configENS1_20scan_config_selectorIxEEZZNS1_9scan_implILNS1_25lookback_scan_determinismE0ELb0ELb0ES3_N6thrust23THRUST_200600_302600_NS6detail15normal_iteratorINS9_10device_ptrIxEEEENS9_16discard_iteratorINS9_11use_defaultEEExNS9_4plusIvEExEEDaPvRmT3_T4_T5_mT6_P12ihipStream_tbENKUlT_T0_E_clISt17integral_constantIbLb1EESX_EEDaSS_ST_EUlSS_E_NS1_11comp_targetILNS1_3genE10ELNS1_11target_archE1200ELNS1_3gpuE4ELNS1_3repE0EEENS1_30default_config_static_selectorELNS0_4arch9wavefront6targetE1EEEvT1_ ; -- Begin function _ZN7rocprim17ROCPRIM_400000_NS6detail17trampoline_kernelINS0_14default_configENS1_20scan_config_selectorIxEEZZNS1_9scan_implILNS1_25lookback_scan_determinismE0ELb0ELb0ES3_N6thrust23THRUST_200600_302600_NS6detail15normal_iteratorINS9_10device_ptrIxEEEENS9_16discard_iteratorINS9_11use_defaultEEExNS9_4plusIvEExEEDaPvRmT3_T4_T5_mT6_P12ihipStream_tbENKUlT_T0_E_clISt17integral_constantIbLb1EESX_EEDaSS_ST_EUlSS_E_NS1_11comp_targetILNS1_3genE10ELNS1_11target_archE1200ELNS1_3gpuE4ELNS1_3repE0EEENS1_30default_config_static_selectorELNS0_4arch9wavefront6targetE1EEEvT1_
	.globl	_ZN7rocprim17ROCPRIM_400000_NS6detail17trampoline_kernelINS0_14default_configENS1_20scan_config_selectorIxEEZZNS1_9scan_implILNS1_25lookback_scan_determinismE0ELb0ELb0ES3_N6thrust23THRUST_200600_302600_NS6detail15normal_iteratorINS9_10device_ptrIxEEEENS9_16discard_iteratorINS9_11use_defaultEEExNS9_4plusIvEExEEDaPvRmT3_T4_T5_mT6_P12ihipStream_tbENKUlT_T0_E_clISt17integral_constantIbLb1EESX_EEDaSS_ST_EUlSS_E_NS1_11comp_targetILNS1_3genE10ELNS1_11target_archE1200ELNS1_3gpuE4ELNS1_3repE0EEENS1_30default_config_static_selectorELNS0_4arch9wavefront6targetE1EEEvT1_
	.p2align	8
	.type	_ZN7rocprim17ROCPRIM_400000_NS6detail17trampoline_kernelINS0_14default_configENS1_20scan_config_selectorIxEEZZNS1_9scan_implILNS1_25lookback_scan_determinismE0ELb0ELb0ES3_N6thrust23THRUST_200600_302600_NS6detail15normal_iteratorINS9_10device_ptrIxEEEENS9_16discard_iteratorINS9_11use_defaultEEExNS9_4plusIvEExEEDaPvRmT3_T4_T5_mT6_P12ihipStream_tbENKUlT_T0_E_clISt17integral_constantIbLb1EESX_EEDaSS_ST_EUlSS_E_NS1_11comp_targetILNS1_3genE10ELNS1_11target_archE1200ELNS1_3gpuE4ELNS1_3repE0EEENS1_30default_config_static_selectorELNS0_4arch9wavefront6targetE1EEEvT1_,@function
_ZN7rocprim17ROCPRIM_400000_NS6detail17trampoline_kernelINS0_14default_configENS1_20scan_config_selectorIxEEZZNS1_9scan_implILNS1_25lookback_scan_determinismE0ELb0ELb0ES3_N6thrust23THRUST_200600_302600_NS6detail15normal_iteratorINS9_10device_ptrIxEEEENS9_16discard_iteratorINS9_11use_defaultEEExNS9_4plusIvEExEEDaPvRmT3_T4_T5_mT6_P12ihipStream_tbENKUlT_T0_E_clISt17integral_constantIbLb1EESX_EEDaSS_ST_EUlSS_E_NS1_11comp_targetILNS1_3genE10ELNS1_11target_archE1200ELNS1_3gpuE4ELNS1_3repE0EEENS1_30default_config_static_selectorELNS0_4arch9wavefront6targetE1EEEvT1_: ; @_ZN7rocprim17ROCPRIM_400000_NS6detail17trampoline_kernelINS0_14default_configENS1_20scan_config_selectorIxEEZZNS1_9scan_implILNS1_25lookback_scan_determinismE0ELb0ELb0ES3_N6thrust23THRUST_200600_302600_NS6detail15normal_iteratorINS9_10device_ptrIxEEEENS9_16discard_iteratorINS9_11use_defaultEEExNS9_4plusIvEExEEDaPvRmT3_T4_T5_mT6_P12ihipStream_tbENKUlT_T0_E_clISt17integral_constantIbLb1EESX_EEDaSS_ST_EUlSS_E_NS1_11comp_targetILNS1_3genE10ELNS1_11target_archE1200ELNS1_3gpuE4ELNS1_3repE0EEENS1_30default_config_static_selectorELNS0_4arch9wavefront6targetE1EEEvT1_
; %bb.0:
	.section	.rodata,"a",@progbits
	.p2align	6, 0x0
	.amdhsa_kernel _ZN7rocprim17ROCPRIM_400000_NS6detail17trampoline_kernelINS0_14default_configENS1_20scan_config_selectorIxEEZZNS1_9scan_implILNS1_25lookback_scan_determinismE0ELb0ELb0ES3_N6thrust23THRUST_200600_302600_NS6detail15normal_iteratorINS9_10device_ptrIxEEEENS9_16discard_iteratorINS9_11use_defaultEEExNS9_4plusIvEExEEDaPvRmT3_T4_T5_mT6_P12ihipStream_tbENKUlT_T0_E_clISt17integral_constantIbLb1EESX_EEDaSS_ST_EUlSS_E_NS1_11comp_targetILNS1_3genE10ELNS1_11target_archE1200ELNS1_3gpuE4ELNS1_3repE0EEENS1_30default_config_static_selectorELNS0_4arch9wavefront6targetE1EEEvT1_
		.amdhsa_group_segment_fixed_size 0
		.amdhsa_private_segment_fixed_size 0
		.amdhsa_kernarg_size 112
		.amdhsa_user_sgpr_count 6
		.amdhsa_user_sgpr_private_segment_buffer 1
		.amdhsa_user_sgpr_dispatch_ptr 0
		.amdhsa_user_sgpr_queue_ptr 0
		.amdhsa_user_sgpr_kernarg_segment_ptr 1
		.amdhsa_user_sgpr_dispatch_id 0
		.amdhsa_user_sgpr_flat_scratch_init 0
		.amdhsa_user_sgpr_kernarg_preload_length 0
		.amdhsa_user_sgpr_kernarg_preload_offset 0
		.amdhsa_user_sgpr_private_segment_size 0
		.amdhsa_uses_dynamic_stack 0
		.amdhsa_system_sgpr_private_segment_wavefront_offset 0
		.amdhsa_system_sgpr_workgroup_id_x 1
		.amdhsa_system_sgpr_workgroup_id_y 0
		.amdhsa_system_sgpr_workgroup_id_z 0
		.amdhsa_system_sgpr_workgroup_info 0
		.amdhsa_system_vgpr_workitem_id 0
		.amdhsa_next_free_vgpr 1
		.amdhsa_next_free_sgpr 0
		.amdhsa_accum_offset 4
		.amdhsa_reserve_vcc 0
		.amdhsa_reserve_flat_scratch 0
		.amdhsa_float_round_mode_32 0
		.amdhsa_float_round_mode_16_64 0
		.amdhsa_float_denorm_mode_32 3
		.amdhsa_float_denorm_mode_16_64 3
		.amdhsa_dx10_clamp 1
		.amdhsa_ieee_mode 1
		.amdhsa_fp16_overflow 0
		.amdhsa_tg_split 0
		.amdhsa_exception_fp_ieee_invalid_op 0
		.amdhsa_exception_fp_denorm_src 0
		.amdhsa_exception_fp_ieee_div_zero 0
		.amdhsa_exception_fp_ieee_overflow 0
		.amdhsa_exception_fp_ieee_underflow 0
		.amdhsa_exception_fp_ieee_inexact 0
		.amdhsa_exception_int_div_zero 0
	.end_amdhsa_kernel
	.section	.text._ZN7rocprim17ROCPRIM_400000_NS6detail17trampoline_kernelINS0_14default_configENS1_20scan_config_selectorIxEEZZNS1_9scan_implILNS1_25lookback_scan_determinismE0ELb0ELb0ES3_N6thrust23THRUST_200600_302600_NS6detail15normal_iteratorINS9_10device_ptrIxEEEENS9_16discard_iteratorINS9_11use_defaultEEExNS9_4plusIvEExEEDaPvRmT3_T4_T5_mT6_P12ihipStream_tbENKUlT_T0_E_clISt17integral_constantIbLb1EESX_EEDaSS_ST_EUlSS_E_NS1_11comp_targetILNS1_3genE10ELNS1_11target_archE1200ELNS1_3gpuE4ELNS1_3repE0EEENS1_30default_config_static_selectorELNS0_4arch9wavefront6targetE1EEEvT1_,"axG",@progbits,_ZN7rocprim17ROCPRIM_400000_NS6detail17trampoline_kernelINS0_14default_configENS1_20scan_config_selectorIxEEZZNS1_9scan_implILNS1_25lookback_scan_determinismE0ELb0ELb0ES3_N6thrust23THRUST_200600_302600_NS6detail15normal_iteratorINS9_10device_ptrIxEEEENS9_16discard_iteratorINS9_11use_defaultEEExNS9_4plusIvEExEEDaPvRmT3_T4_T5_mT6_P12ihipStream_tbENKUlT_T0_E_clISt17integral_constantIbLb1EESX_EEDaSS_ST_EUlSS_E_NS1_11comp_targetILNS1_3genE10ELNS1_11target_archE1200ELNS1_3gpuE4ELNS1_3repE0EEENS1_30default_config_static_selectorELNS0_4arch9wavefront6targetE1EEEvT1_,comdat
.Lfunc_end5606:
	.size	_ZN7rocprim17ROCPRIM_400000_NS6detail17trampoline_kernelINS0_14default_configENS1_20scan_config_selectorIxEEZZNS1_9scan_implILNS1_25lookback_scan_determinismE0ELb0ELb0ES3_N6thrust23THRUST_200600_302600_NS6detail15normal_iteratorINS9_10device_ptrIxEEEENS9_16discard_iteratorINS9_11use_defaultEEExNS9_4plusIvEExEEDaPvRmT3_T4_T5_mT6_P12ihipStream_tbENKUlT_T0_E_clISt17integral_constantIbLb1EESX_EEDaSS_ST_EUlSS_E_NS1_11comp_targetILNS1_3genE10ELNS1_11target_archE1200ELNS1_3gpuE4ELNS1_3repE0EEENS1_30default_config_static_selectorELNS0_4arch9wavefront6targetE1EEEvT1_, .Lfunc_end5606-_ZN7rocprim17ROCPRIM_400000_NS6detail17trampoline_kernelINS0_14default_configENS1_20scan_config_selectorIxEEZZNS1_9scan_implILNS1_25lookback_scan_determinismE0ELb0ELb0ES3_N6thrust23THRUST_200600_302600_NS6detail15normal_iteratorINS9_10device_ptrIxEEEENS9_16discard_iteratorINS9_11use_defaultEEExNS9_4plusIvEExEEDaPvRmT3_T4_T5_mT6_P12ihipStream_tbENKUlT_T0_E_clISt17integral_constantIbLb1EESX_EEDaSS_ST_EUlSS_E_NS1_11comp_targetILNS1_3genE10ELNS1_11target_archE1200ELNS1_3gpuE4ELNS1_3repE0EEENS1_30default_config_static_selectorELNS0_4arch9wavefront6targetE1EEEvT1_
                                        ; -- End function
	.section	.AMDGPU.csdata,"",@progbits
; Kernel info:
; codeLenInByte = 0
; NumSgprs: 4
; NumVgprs: 0
; NumAgprs: 0
; TotalNumVgprs: 0
; ScratchSize: 0
; MemoryBound: 0
; FloatMode: 240
; IeeeMode: 1
; LDSByteSize: 0 bytes/workgroup (compile time only)
; SGPRBlocks: 0
; VGPRBlocks: 0
; NumSGPRsForWavesPerEU: 4
; NumVGPRsForWavesPerEU: 1
; AccumOffset: 4
; Occupancy: 8
; WaveLimiterHint : 0
; COMPUTE_PGM_RSRC2:SCRATCH_EN: 0
; COMPUTE_PGM_RSRC2:USER_SGPR: 6
; COMPUTE_PGM_RSRC2:TRAP_HANDLER: 0
; COMPUTE_PGM_RSRC2:TGID_X_EN: 1
; COMPUTE_PGM_RSRC2:TGID_Y_EN: 0
; COMPUTE_PGM_RSRC2:TGID_Z_EN: 0
; COMPUTE_PGM_RSRC2:TIDIG_COMP_CNT: 0
; COMPUTE_PGM_RSRC3_GFX90A:ACCUM_OFFSET: 0
; COMPUTE_PGM_RSRC3_GFX90A:TG_SPLIT: 0
	.section	.text._ZN7rocprim17ROCPRIM_400000_NS6detail17trampoline_kernelINS0_14default_configENS1_20scan_config_selectorIxEEZZNS1_9scan_implILNS1_25lookback_scan_determinismE0ELb0ELb0ES3_N6thrust23THRUST_200600_302600_NS6detail15normal_iteratorINS9_10device_ptrIxEEEENS9_16discard_iteratorINS9_11use_defaultEEExNS9_4plusIvEExEEDaPvRmT3_T4_T5_mT6_P12ihipStream_tbENKUlT_T0_E_clISt17integral_constantIbLb1EESX_EEDaSS_ST_EUlSS_E_NS1_11comp_targetILNS1_3genE9ELNS1_11target_archE1100ELNS1_3gpuE3ELNS1_3repE0EEENS1_30default_config_static_selectorELNS0_4arch9wavefront6targetE1EEEvT1_,"axG",@progbits,_ZN7rocprim17ROCPRIM_400000_NS6detail17trampoline_kernelINS0_14default_configENS1_20scan_config_selectorIxEEZZNS1_9scan_implILNS1_25lookback_scan_determinismE0ELb0ELb0ES3_N6thrust23THRUST_200600_302600_NS6detail15normal_iteratorINS9_10device_ptrIxEEEENS9_16discard_iteratorINS9_11use_defaultEEExNS9_4plusIvEExEEDaPvRmT3_T4_T5_mT6_P12ihipStream_tbENKUlT_T0_E_clISt17integral_constantIbLb1EESX_EEDaSS_ST_EUlSS_E_NS1_11comp_targetILNS1_3genE9ELNS1_11target_archE1100ELNS1_3gpuE3ELNS1_3repE0EEENS1_30default_config_static_selectorELNS0_4arch9wavefront6targetE1EEEvT1_,comdat
	.protected	_ZN7rocprim17ROCPRIM_400000_NS6detail17trampoline_kernelINS0_14default_configENS1_20scan_config_selectorIxEEZZNS1_9scan_implILNS1_25lookback_scan_determinismE0ELb0ELb0ES3_N6thrust23THRUST_200600_302600_NS6detail15normal_iteratorINS9_10device_ptrIxEEEENS9_16discard_iteratorINS9_11use_defaultEEExNS9_4plusIvEExEEDaPvRmT3_T4_T5_mT6_P12ihipStream_tbENKUlT_T0_E_clISt17integral_constantIbLb1EESX_EEDaSS_ST_EUlSS_E_NS1_11comp_targetILNS1_3genE9ELNS1_11target_archE1100ELNS1_3gpuE3ELNS1_3repE0EEENS1_30default_config_static_selectorELNS0_4arch9wavefront6targetE1EEEvT1_ ; -- Begin function _ZN7rocprim17ROCPRIM_400000_NS6detail17trampoline_kernelINS0_14default_configENS1_20scan_config_selectorIxEEZZNS1_9scan_implILNS1_25lookback_scan_determinismE0ELb0ELb0ES3_N6thrust23THRUST_200600_302600_NS6detail15normal_iteratorINS9_10device_ptrIxEEEENS9_16discard_iteratorINS9_11use_defaultEEExNS9_4plusIvEExEEDaPvRmT3_T4_T5_mT6_P12ihipStream_tbENKUlT_T0_E_clISt17integral_constantIbLb1EESX_EEDaSS_ST_EUlSS_E_NS1_11comp_targetILNS1_3genE9ELNS1_11target_archE1100ELNS1_3gpuE3ELNS1_3repE0EEENS1_30default_config_static_selectorELNS0_4arch9wavefront6targetE1EEEvT1_
	.globl	_ZN7rocprim17ROCPRIM_400000_NS6detail17trampoline_kernelINS0_14default_configENS1_20scan_config_selectorIxEEZZNS1_9scan_implILNS1_25lookback_scan_determinismE0ELb0ELb0ES3_N6thrust23THRUST_200600_302600_NS6detail15normal_iteratorINS9_10device_ptrIxEEEENS9_16discard_iteratorINS9_11use_defaultEEExNS9_4plusIvEExEEDaPvRmT3_T4_T5_mT6_P12ihipStream_tbENKUlT_T0_E_clISt17integral_constantIbLb1EESX_EEDaSS_ST_EUlSS_E_NS1_11comp_targetILNS1_3genE9ELNS1_11target_archE1100ELNS1_3gpuE3ELNS1_3repE0EEENS1_30default_config_static_selectorELNS0_4arch9wavefront6targetE1EEEvT1_
	.p2align	8
	.type	_ZN7rocprim17ROCPRIM_400000_NS6detail17trampoline_kernelINS0_14default_configENS1_20scan_config_selectorIxEEZZNS1_9scan_implILNS1_25lookback_scan_determinismE0ELb0ELb0ES3_N6thrust23THRUST_200600_302600_NS6detail15normal_iteratorINS9_10device_ptrIxEEEENS9_16discard_iteratorINS9_11use_defaultEEExNS9_4plusIvEExEEDaPvRmT3_T4_T5_mT6_P12ihipStream_tbENKUlT_T0_E_clISt17integral_constantIbLb1EESX_EEDaSS_ST_EUlSS_E_NS1_11comp_targetILNS1_3genE9ELNS1_11target_archE1100ELNS1_3gpuE3ELNS1_3repE0EEENS1_30default_config_static_selectorELNS0_4arch9wavefront6targetE1EEEvT1_,@function
_ZN7rocprim17ROCPRIM_400000_NS6detail17trampoline_kernelINS0_14default_configENS1_20scan_config_selectorIxEEZZNS1_9scan_implILNS1_25lookback_scan_determinismE0ELb0ELb0ES3_N6thrust23THRUST_200600_302600_NS6detail15normal_iteratorINS9_10device_ptrIxEEEENS9_16discard_iteratorINS9_11use_defaultEEExNS9_4plusIvEExEEDaPvRmT3_T4_T5_mT6_P12ihipStream_tbENKUlT_T0_E_clISt17integral_constantIbLb1EESX_EEDaSS_ST_EUlSS_E_NS1_11comp_targetILNS1_3genE9ELNS1_11target_archE1100ELNS1_3gpuE3ELNS1_3repE0EEENS1_30default_config_static_selectorELNS0_4arch9wavefront6targetE1EEEvT1_: ; @_ZN7rocprim17ROCPRIM_400000_NS6detail17trampoline_kernelINS0_14default_configENS1_20scan_config_selectorIxEEZZNS1_9scan_implILNS1_25lookback_scan_determinismE0ELb0ELb0ES3_N6thrust23THRUST_200600_302600_NS6detail15normal_iteratorINS9_10device_ptrIxEEEENS9_16discard_iteratorINS9_11use_defaultEEExNS9_4plusIvEExEEDaPvRmT3_T4_T5_mT6_P12ihipStream_tbENKUlT_T0_E_clISt17integral_constantIbLb1EESX_EEDaSS_ST_EUlSS_E_NS1_11comp_targetILNS1_3genE9ELNS1_11target_archE1100ELNS1_3gpuE3ELNS1_3repE0EEENS1_30default_config_static_selectorELNS0_4arch9wavefront6targetE1EEEvT1_
; %bb.0:
	.section	.rodata,"a",@progbits
	.p2align	6, 0x0
	.amdhsa_kernel _ZN7rocprim17ROCPRIM_400000_NS6detail17trampoline_kernelINS0_14default_configENS1_20scan_config_selectorIxEEZZNS1_9scan_implILNS1_25lookback_scan_determinismE0ELb0ELb0ES3_N6thrust23THRUST_200600_302600_NS6detail15normal_iteratorINS9_10device_ptrIxEEEENS9_16discard_iteratorINS9_11use_defaultEEExNS9_4plusIvEExEEDaPvRmT3_T4_T5_mT6_P12ihipStream_tbENKUlT_T0_E_clISt17integral_constantIbLb1EESX_EEDaSS_ST_EUlSS_E_NS1_11comp_targetILNS1_3genE9ELNS1_11target_archE1100ELNS1_3gpuE3ELNS1_3repE0EEENS1_30default_config_static_selectorELNS0_4arch9wavefront6targetE1EEEvT1_
		.amdhsa_group_segment_fixed_size 0
		.amdhsa_private_segment_fixed_size 0
		.amdhsa_kernarg_size 112
		.amdhsa_user_sgpr_count 6
		.amdhsa_user_sgpr_private_segment_buffer 1
		.amdhsa_user_sgpr_dispatch_ptr 0
		.amdhsa_user_sgpr_queue_ptr 0
		.amdhsa_user_sgpr_kernarg_segment_ptr 1
		.amdhsa_user_sgpr_dispatch_id 0
		.amdhsa_user_sgpr_flat_scratch_init 0
		.amdhsa_user_sgpr_kernarg_preload_length 0
		.amdhsa_user_sgpr_kernarg_preload_offset 0
		.amdhsa_user_sgpr_private_segment_size 0
		.amdhsa_uses_dynamic_stack 0
		.amdhsa_system_sgpr_private_segment_wavefront_offset 0
		.amdhsa_system_sgpr_workgroup_id_x 1
		.amdhsa_system_sgpr_workgroup_id_y 0
		.amdhsa_system_sgpr_workgroup_id_z 0
		.amdhsa_system_sgpr_workgroup_info 0
		.amdhsa_system_vgpr_workitem_id 0
		.amdhsa_next_free_vgpr 1
		.amdhsa_next_free_sgpr 0
		.amdhsa_accum_offset 4
		.amdhsa_reserve_vcc 0
		.amdhsa_reserve_flat_scratch 0
		.amdhsa_float_round_mode_32 0
		.amdhsa_float_round_mode_16_64 0
		.amdhsa_float_denorm_mode_32 3
		.amdhsa_float_denorm_mode_16_64 3
		.amdhsa_dx10_clamp 1
		.amdhsa_ieee_mode 1
		.amdhsa_fp16_overflow 0
		.amdhsa_tg_split 0
		.amdhsa_exception_fp_ieee_invalid_op 0
		.amdhsa_exception_fp_denorm_src 0
		.amdhsa_exception_fp_ieee_div_zero 0
		.amdhsa_exception_fp_ieee_overflow 0
		.amdhsa_exception_fp_ieee_underflow 0
		.amdhsa_exception_fp_ieee_inexact 0
		.amdhsa_exception_int_div_zero 0
	.end_amdhsa_kernel
	.section	.text._ZN7rocprim17ROCPRIM_400000_NS6detail17trampoline_kernelINS0_14default_configENS1_20scan_config_selectorIxEEZZNS1_9scan_implILNS1_25lookback_scan_determinismE0ELb0ELb0ES3_N6thrust23THRUST_200600_302600_NS6detail15normal_iteratorINS9_10device_ptrIxEEEENS9_16discard_iteratorINS9_11use_defaultEEExNS9_4plusIvEExEEDaPvRmT3_T4_T5_mT6_P12ihipStream_tbENKUlT_T0_E_clISt17integral_constantIbLb1EESX_EEDaSS_ST_EUlSS_E_NS1_11comp_targetILNS1_3genE9ELNS1_11target_archE1100ELNS1_3gpuE3ELNS1_3repE0EEENS1_30default_config_static_selectorELNS0_4arch9wavefront6targetE1EEEvT1_,"axG",@progbits,_ZN7rocprim17ROCPRIM_400000_NS6detail17trampoline_kernelINS0_14default_configENS1_20scan_config_selectorIxEEZZNS1_9scan_implILNS1_25lookback_scan_determinismE0ELb0ELb0ES3_N6thrust23THRUST_200600_302600_NS6detail15normal_iteratorINS9_10device_ptrIxEEEENS9_16discard_iteratorINS9_11use_defaultEEExNS9_4plusIvEExEEDaPvRmT3_T4_T5_mT6_P12ihipStream_tbENKUlT_T0_E_clISt17integral_constantIbLb1EESX_EEDaSS_ST_EUlSS_E_NS1_11comp_targetILNS1_3genE9ELNS1_11target_archE1100ELNS1_3gpuE3ELNS1_3repE0EEENS1_30default_config_static_selectorELNS0_4arch9wavefront6targetE1EEEvT1_,comdat
.Lfunc_end5607:
	.size	_ZN7rocprim17ROCPRIM_400000_NS6detail17trampoline_kernelINS0_14default_configENS1_20scan_config_selectorIxEEZZNS1_9scan_implILNS1_25lookback_scan_determinismE0ELb0ELb0ES3_N6thrust23THRUST_200600_302600_NS6detail15normal_iteratorINS9_10device_ptrIxEEEENS9_16discard_iteratorINS9_11use_defaultEEExNS9_4plusIvEExEEDaPvRmT3_T4_T5_mT6_P12ihipStream_tbENKUlT_T0_E_clISt17integral_constantIbLb1EESX_EEDaSS_ST_EUlSS_E_NS1_11comp_targetILNS1_3genE9ELNS1_11target_archE1100ELNS1_3gpuE3ELNS1_3repE0EEENS1_30default_config_static_selectorELNS0_4arch9wavefront6targetE1EEEvT1_, .Lfunc_end5607-_ZN7rocprim17ROCPRIM_400000_NS6detail17trampoline_kernelINS0_14default_configENS1_20scan_config_selectorIxEEZZNS1_9scan_implILNS1_25lookback_scan_determinismE0ELb0ELb0ES3_N6thrust23THRUST_200600_302600_NS6detail15normal_iteratorINS9_10device_ptrIxEEEENS9_16discard_iteratorINS9_11use_defaultEEExNS9_4plusIvEExEEDaPvRmT3_T4_T5_mT6_P12ihipStream_tbENKUlT_T0_E_clISt17integral_constantIbLb1EESX_EEDaSS_ST_EUlSS_E_NS1_11comp_targetILNS1_3genE9ELNS1_11target_archE1100ELNS1_3gpuE3ELNS1_3repE0EEENS1_30default_config_static_selectorELNS0_4arch9wavefront6targetE1EEEvT1_
                                        ; -- End function
	.section	.AMDGPU.csdata,"",@progbits
; Kernel info:
; codeLenInByte = 0
; NumSgprs: 4
; NumVgprs: 0
; NumAgprs: 0
; TotalNumVgprs: 0
; ScratchSize: 0
; MemoryBound: 0
; FloatMode: 240
; IeeeMode: 1
; LDSByteSize: 0 bytes/workgroup (compile time only)
; SGPRBlocks: 0
; VGPRBlocks: 0
; NumSGPRsForWavesPerEU: 4
; NumVGPRsForWavesPerEU: 1
; AccumOffset: 4
; Occupancy: 8
; WaveLimiterHint : 0
; COMPUTE_PGM_RSRC2:SCRATCH_EN: 0
; COMPUTE_PGM_RSRC2:USER_SGPR: 6
; COMPUTE_PGM_RSRC2:TRAP_HANDLER: 0
; COMPUTE_PGM_RSRC2:TGID_X_EN: 1
; COMPUTE_PGM_RSRC2:TGID_Y_EN: 0
; COMPUTE_PGM_RSRC2:TGID_Z_EN: 0
; COMPUTE_PGM_RSRC2:TIDIG_COMP_CNT: 0
; COMPUTE_PGM_RSRC3_GFX90A:ACCUM_OFFSET: 0
; COMPUTE_PGM_RSRC3_GFX90A:TG_SPLIT: 0
	.section	.text._ZN7rocprim17ROCPRIM_400000_NS6detail17trampoline_kernelINS0_14default_configENS1_20scan_config_selectorIxEEZZNS1_9scan_implILNS1_25lookback_scan_determinismE0ELb0ELb0ES3_N6thrust23THRUST_200600_302600_NS6detail15normal_iteratorINS9_10device_ptrIxEEEENS9_16discard_iteratorINS9_11use_defaultEEExNS9_4plusIvEExEEDaPvRmT3_T4_T5_mT6_P12ihipStream_tbENKUlT_T0_E_clISt17integral_constantIbLb1EESX_EEDaSS_ST_EUlSS_E_NS1_11comp_targetILNS1_3genE8ELNS1_11target_archE1030ELNS1_3gpuE2ELNS1_3repE0EEENS1_30default_config_static_selectorELNS0_4arch9wavefront6targetE1EEEvT1_,"axG",@progbits,_ZN7rocprim17ROCPRIM_400000_NS6detail17trampoline_kernelINS0_14default_configENS1_20scan_config_selectorIxEEZZNS1_9scan_implILNS1_25lookback_scan_determinismE0ELb0ELb0ES3_N6thrust23THRUST_200600_302600_NS6detail15normal_iteratorINS9_10device_ptrIxEEEENS9_16discard_iteratorINS9_11use_defaultEEExNS9_4plusIvEExEEDaPvRmT3_T4_T5_mT6_P12ihipStream_tbENKUlT_T0_E_clISt17integral_constantIbLb1EESX_EEDaSS_ST_EUlSS_E_NS1_11comp_targetILNS1_3genE8ELNS1_11target_archE1030ELNS1_3gpuE2ELNS1_3repE0EEENS1_30default_config_static_selectorELNS0_4arch9wavefront6targetE1EEEvT1_,comdat
	.protected	_ZN7rocprim17ROCPRIM_400000_NS6detail17trampoline_kernelINS0_14default_configENS1_20scan_config_selectorIxEEZZNS1_9scan_implILNS1_25lookback_scan_determinismE0ELb0ELb0ES3_N6thrust23THRUST_200600_302600_NS6detail15normal_iteratorINS9_10device_ptrIxEEEENS9_16discard_iteratorINS9_11use_defaultEEExNS9_4plusIvEExEEDaPvRmT3_T4_T5_mT6_P12ihipStream_tbENKUlT_T0_E_clISt17integral_constantIbLb1EESX_EEDaSS_ST_EUlSS_E_NS1_11comp_targetILNS1_3genE8ELNS1_11target_archE1030ELNS1_3gpuE2ELNS1_3repE0EEENS1_30default_config_static_selectorELNS0_4arch9wavefront6targetE1EEEvT1_ ; -- Begin function _ZN7rocprim17ROCPRIM_400000_NS6detail17trampoline_kernelINS0_14default_configENS1_20scan_config_selectorIxEEZZNS1_9scan_implILNS1_25lookback_scan_determinismE0ELb0ELb0ES3_N6thrust23THRUST_200600_302600_NS6detail15normal_iteratorINS9_10device_ptrIxEEEENS9_16discard_iteratorINS9_11use_defaultEEExNS9_4plusIvEExEEDaPvRmT3_T4_T5_mT6_P12ihipStream_tbENKUlT_T0_E_clISt17integral_constantIbLb1EESX_EEDaSS_ST_EUlSS_E_NS1_11comp_targetILNS1_3genE8ELNS1_11target_archE1030ELNS1_3gpuE2ELNS1_3repE0EEENS1_30default_config_static_selectorELNS0_4arch9wavefront6targetE1EEEvT1_
	.globl	_ZN7rocprim17ROCPRIM_400000_NS6detail17trampoline_kernelINS0_14default_configENS1_20scan_config_selectorIxEEZZNS1_9scan_implILNS1_25lookback_scan_determinismE0ELb0ELb0ES3_N6thrust23THRUST_200600_302600_NS6detail15normal_iteratorINS9_10device_ptrIxEEEENS9_16discard_iteratorINS9_11use_defaultEEExNS9_4plusIvEExEEDaPvRmT3_T4_T5_mT6_P12ihipStream_tbENKUlT_T0_E_clISt17integral_constantIbLb1EESX_EEDaSS_ST_EUlSS_E_NS1_11comp_targetILNS1_3genE8ELNS1_11target_archE1030ELNS1_3gpuE2ELNS1_3repE0EEENS1_30default_config_static_selectorELNS0_4arch9wavefront6targetE1EEEvT1_
	.p2align	8
	.type	_ZN7rocprim17ROCPRIM_400000_NS6detail17trampoline_kernelINS0_14default_configENS1_20scan_config_selectorIxEEZZNS1_9scan_implILNS1_25lookback_scan_determinismE0ELb0ELb0ES3_N6thrust23THRUST_200600_302600_NS6detail15normal_iteratorINS9_10device_ptrIxEEEENS9_16discard_iteratorINS9_11use_defaultEEExNS9_4plusIvEExEEDaPvRmT3_T4_T5_mT6_P12ihipStream_tbENKUlT_T0_E_clISt17integral_constantIbLb1EESX_EEDaSS_ST_EUlSS_E_NS1_11comp_targetILNS1_3genE8ELNS1_11target_archE1030ELNS1_3gpuE2ELNS1_3repE0EEENS1_30default_config_static_selectorELNS0_4arch9wavefront6targetE1EEEvT1_,@function
_ZN7rocprim17ROCPRIM_400000_NS6detail17trampoline_kernelINS0_14default_configENS1_20scan_config_selectorIxEEZZNS1_9scan_implILNS1_25lookback_scan_determinismE0ELb0ELb0ES3_N6thrust23THRUST_200600_302600_NS6detail15normal_iteratorINS9_10device_ptrIxEEEENS9_16discard_iteratorINS9_11use_defaultEEExNS9_4plusIvEExEEDaPvRmT3_T4_T5_mT6_P12ihipStream_tbENKUlT_T0_E_clISt17integral_constantIbLb1EESX_EEDaSS_ST_EUlSS_E_NS1_11comp_targetILNS1_3genE8ELNS1_11target_archE1030ELNS1_3gpuE2ELNS1_3repE0EEENS1_30default_config_static_selectorELNS0_4arch9wavefront6targetE1EEEvT1_: ; @_ZN7rocprim17ROCPRIM_400000_NS6detail17trampoline_kernelINS0_14default_configENS1_20scan_config_selectorIxEEZZNS1_9scan_implILNS1_25lookback_scan_determinismE0ELb0ELb0ES3_N6thrust23THRUST_200600_302600_NS6detail15normal_iteratorINS9_10device_ptrIxEEEENS9_16discard_iteratorINS9_11use_defaultEEExNS9_4plusIvEExEEDaPvRmT3_T4_T5_mT6_P12ihipStream_tbENKUlT_T0_E_clISt17integral_constantIbLb1EESX_EEDaSS_ST_EUlSS_E_NS1_11comp_targetILNS1_3genE8ELNS1_11target_archE1030ELNS1_3gpuE2ELNS1_3repE0EEENS1_30default_config_static_selectorELNS0_4arch9wavefront6targetE1EEEvT1_
; %bb.0:
	.section	.rodata,"a",@progbits
	.p2align	6, 0x0
	.amdhsa_kernel _ZN7rocprim17ROCPRIM_400000_NS6detail17trampoline_kernelINS0_14default_configENS1_20scan_config_selectorIxEEZZNS1_9scan_implILNS1_25lookback_scan_determinismE0ELb0ELb0ES3_N6thrust23THRUST_200600_302600_NS6detail15normal_iteratorINS9_10device_ptrIxEEEENS9_16discard_iteratorINS9_11use_defaultEEExNS9_4plusIvEExEEDaPvRmT3_T4_T5_mT6_P12ihipStream_tbENKUlT_T0_E_clISt17integral_constantIbLb1EESX_EEDaSS_ST_EUlSS_E_NS1_11comp_targetILNS1_3genE8ELNS1_11target_archE1030ELNS1_3gpuE2ELNS1_3repE0EEENS1_30default_config_static_selectorELNS0_4arch9wavefront6targetE1EEEvT1_
		.amdhsa_group_segment_fixed_size 0
		.amdhsa_private_segment_fixed_size 0
		.amdhsa_kernarg_size 112
		.amdhsa_user_sgpr_count 6
		.amdhsa_user_sgpr_private_segment_buffer 1
		.amdhsa_user_sgpr_dispatch_ptr 0
		.amdhsa_user_sgpr_queue_ptr 0
		.amdhsa_user_sgpr_kernarg_segment_ptr 1
		.amdhsa_user_sgpr_dispatch_id 0
		.amdhsa_user_sgpr_flat_scratch_init 0
		.amdhsa_user_sgpr_kernarg_preload_length 0
		.amdhsa_user_sgpr_kernarg_preload_offset 0
		.amdhsa_user_sgpr_private_segment_size 0
		.amdhsa_uses_dynamic_stack 0
		.amdhsa_system_sgpr_private_segment_wavefront_offset 0
		.amdhsa_system_sgpr_workgroup_id_x 1
		.amdhsa_system_sgpr_workgroup_id_y 0
		.amdhsa_system_sgpr_workgroup_id_z 0
		.amdhsa_system_sgpr_workgroup_info 0
		.amdhsa_system_vgpr_workitem_id 0
		.amdhsa_next_free_vgpr 1
		.amdhsa_next_free_sgpr 0
		.amdhsa_accum_offset 4
		.amdhsa_reserve_vcc 0
		.amdhsa_reserve_flat_scratch 0
		.amdhsa_float_round_mode_32 0
		.amdhsa_float_round_mode_16_64 0
		.amdhsa_float_denorm_mode_32 3
		.amdhsa_float_denorm_mode_16_64 3
		.amdhsa_dx10_clamp 1
		.amdhsa_ieee_mode 1
		.amdhsa_fp16_overflow 0
		.amdhsa_tg_split 0
		.amdhsa_exception_fp_ieee_invalid_op 0
		.amdhsa_exception_fp_denorm_src 0
		.amdhsa_exception_fp_ieee_div_zero 0
		.amdhsa_exception_fp_ieee_overflow 0
		.amdhsa_exception_fp_ieee_underflow 0
		.amdhsa_exception_fp_ieee_inexact 0
		.amdhsa_exception_int_div_zero 0
	.end_amdhsa_kernel
	.section	.text._ZN7rocprim17ROCPRIM_400000_NS6detail17trampoline_kernelINS0_14default_configENS1_20scan_config_selectorIxEEZZNS1_9scan_implILNS1_25lookback_scan_determinismE0ELb0ELb0ES3_N6thrust23THRUST_200600_302600_NS6detail15normal_iteratorINS9_10device_ptrIxEEEENS9_16discard_iteratorINS9_11use_defaultEEExNS9_4plusIvEExEEDaPvRmT3_T4_T5_mT6_P12ihipStream_tbENKUlT_T0_E_clISt17integral_constantIbLb1EESX_EEDaSS_ST_EUlSS_E_NS1_11comp_targetILNS1_3genE8ELNS1_11target_archE1030ELNS1_3gpuE2ELNS1_3repE0EEENS1_30default_config_static_selectorELNS0_4arch9wavefront6targetE1EEEvT1_,"axG",@progbits,_ZN7rocprim17ROCPRIM_400000_NS6detail17trampoline_kernelINS0_14default_configENS1_20scan_config_selectorIxEEZZNS1_9scan_implILNS1_25lookback_scan_determinismE0ELb0ELb0ES3_N6thrust23THRUST_200600_302600_NS6detail15normal_iteratorINS9_10device_ptrIxEEEENS9_16discard_iteratorINS9_11use_defaultEEExNS9_4plusIvEExEEDaPvRmT3_T4_T5_mT6_P12ihipStream_tbENKUlT_T0_E_clISt17integral_constantIbLb1EESX_EEDaSS_ST_EUlSS_E_NS1_11comp_targetILNS1_3genE8ELNS1_11target_archE1030ELNS1_3gpuE2ELNS1_3repE0EEENS1_30default_config_static_selectorELNS0_4arch9wavefront6targetE1EEEvT1_,comdat
.Lfunc_end5608:
	.size	_ZN7rocprim17ROCPRIM_400000_NS6detail17trampoline_kernelINS0_14default_configENS1_20scan_config_selectorIxEEZZNS1_9scan_implILNS1_25lookback_scan_determinismE0ELb0ELb0ES3_N6thrust23THRUST_200600_302600_NS6detail15normal_iteratorINS9_10device_ptrIxEEEENS9_16discard_iteratorINS9_11use_defaultEEExNS9_4plusIvEExEEDaPvRmT3_T4_T5_mT6_P12ihipStream_tbENKUlT_T0_E_clISt17integral_constantIbLb1EESX_EEDaSS_ST_EUlSS_E_NS1_11comp_targetILNS1_3genE8ELNS1_11target_archE1030ELNS1_3gpuE2ELNS1_3repE0EEENS1_30default_config_static_selectorELNS0_4arch9wavefront6targetE1EEEvT1_, .Lfunc_end5608-_ZN7rocprim17ROCPRIM_400000_NS6detail17trampoline_kernelINS0_14default_configENS1_20scan_config_selectorIxEEZZNS1_9scan_implILNS1_25lookback_scan_determinismE0ELb0ELb0ES3_N6thrust23THRUST_200600_302600_NS6detail15normal_iteratorINS9_10device_ptrIxEEEENS9_16discard_iteratorINS9_11use_defaultEEExNS9_4plusIvEExEEDaPvRmT3_T4_T5_mT6_P12ihipStream_tbENKUlT_T0_E_clISt17integral_constantIbLb1EESX_EEDaSS_ST_EUlSS_E_NS1_11comp_targetILNS1_3genE8ELNS1_11target_archE1030ELNS1_3gpuE2ELNS1_3repE0EEENS1_30default_config_static_selectorELNS0_4arch9wavefront6targetE1EEEvT1_
                                        ; -- End function
	.section	.AMDGPU.csdata,"",@progbits
; Kernel info:
; codeLenInByte = 0
; NumSgprs: 4
; NumVgprs: 0
; NumAgprs: 0
; TotalNumVgprs: 0
; ScratchSize: 0
; MemoryBound: 0
; FloatMode: 240
; IeeeMode: 1
; LDSByteSize: 0 bytes/workgroup (compile time only)
; SGPRBlocks: 0
; VGPRBlocks: 0
; NumSGPRsForWavesPerEU: 4
; NumVGPRsForWavesPerEU: 1
; AccumOffset: 4
; Occupancy: 8
; WaveLimiterHint : 0
; COMPUTE_PGM_RSRC2:SCRATCH_EN: 0
; COMPUTE_PGM_RSRC2:USER_SGPR: 6
; COMPUTE_PGM_RSRC2:TRAP_HANDLER: 0
; COMPUTE_PGM_RSRC2:TGID_X_EN: 1
; COMPUTE_PGM_RSRC2:TGID_Y_EN: 0
; COMPUTE_PGM_RSRC2:TGID_Z_EN: 0
; COMPUTE_PGM_RSRC2:TIDIG_COMP_CNT: 0
; COMPUTE_PGM_RSRC3_GFX90A:ACCUM_OFFSET: 0
; COMPUTE_PGM_RSRC3_GFX90A:TG_SPLIT: 0
	.section	.text._ZN7rocprim17ROCPRIM_400000_NS6detail17trampoline_kernelINS0_14default_configENS1_20scan_config_selectorIxEEZZNS1_9scan_implILNS1_25lookback_scan_determinismE0ELb0ELb0ES3_N6thrust23THRUST_200600_302600_NS6detail15normal_iteratorINS9_10device_ptrIxEEEENS9_16discard_iteratorINS9_11use_defaultEEExNS9_4plusIvEExEEDaPvRmT3_T4_T5_mT6_P12ihipStream_tbENKUlT_T0_E_clISt17integral_constantIbLb1EESX_EEDaSS_ST_EUlSS_E0_NS1_11comp_targetILNS1_3genE0ELNS1_11target_archE4294967295ELNS1_3gpuE0ELNS1_3repE0EEENS1_30default_config_static_selectorELNS0_4arch9wavefront6targetE1EEEvT1_,"axG",@progbits,_ZN7rocprim17ROCPRIM_400000_NS6detail17trampoline_kernelINS0_14default_configENS1_20scan_config_selectorIxEEZZNS1_9scan_implILNS1_25lookback_scan_determinismE0ELb0ELb0ES3_N6thrust23THRUST_200600_302600_NS6detail15normal_iteratorINS9_10device_ptrIxEEEENS9_16discard_iteratorINS9_11use_defaultEEExNS9_4plusIvEExEEDaPvRmT3_T4_T5_mT6_P12ihipStream_tbENKUlT_T0_E_clISt17integral_constantIbLb1EESX_EEDaSS_ST_EUlSS_E0_NS1_11comp_targetILNS1_3genE0ELNS1_11target_archE4294967295ELNS1_3gpuE0ELNS1_3repE0EEENS1_30default_config_static_selectorELNS0_4arch9wavefront6targetE1EEEvT1_,comdat
	.protected	_ZN7rocprim17ROCPRIM_400000_NS6detail17trampoline_kernelINS0_14default_configENS1_20scan_config_selectorIxEEZZNS1_9scan_implILNS1_25lookback_scan_determinismE0ELb0ELb0ES3_N6thrust23THRUST_200600_302600_NS6detail15normal_iteratorINS9_10device_ptrIxEEEENS9_16discard_iteratorINS9_11use_defaultEEExNS9_4plusIvEExEEDaPvRmT3_T4_T5_mT6_P12ihipStream_tbENKUlT_T0_E_clISt17integral_constantIbLb1EESX_EEDaSS_ST_EUlSS_E0_NS1_11comp_targetILNS1_3genE0ELNS1_11target_archE4294967295ELNS1_3gpuE0ELNS1_3repE0EEENS1_30default_config_static_selectorELNS0_4arch9wavefront6targetE1EEEvT1_ ; -- Begin function _ZN7rocprim17ROCPRIM_400000_NS6detail17trampoline_kernelINS0_14default_configENS1_20scan_config_selectorIxEEZZNS1_9scan_implILNS1_25lookback_scan_determinismE0ELb0ELb0ES3_N6thrust23THRUST_200600_302600_NS6detail15normal_iteratorINS9_10device_ptrIxEEEENS9_16discard_iteratorINS9_11use_defaultEEExNS9_4plusIvEExEEDaPvRmT3_T4_T5_mT6_P12ihipStream_tbENKUlT_T0_E_clISt17integral_constantIbLb1EESX_EEDaSS_ST_EUlSS_E0_NS1_11comp_targetILNS1_3genE0ELNS1_11target_archE4294967295ELNS1_3gpuE0ELNS1_3repE0EEENS1_30default_config_static_selectorELNS0_4arch9wavefront6targetE1EEEvT1_
	.globl	_ZN7rocprim17ROCPRIM_400000_NS6detail17trampoline_kernelINS0_14default_configENS1_20scan_config_selectorIxEEZZNS1_9scan_implILNS1_25lookback_scan_determinismE0ELb0ELb0ES3_N6thrust23THRUST_200600_302600_NS6detail15normal_iteratorINS9_10device_ptrIxEEEENS9_16discard_iteratorINS9_11use_defaultEEExNS9_4plusIvEExEEDaPvRmT3_T4_T5_mT6_P12ihipStream_tbENKUlT_T0_E_clISt17integral_constantIbLb1EESX_EEDaSS_ST_EUlSS_E0_NS1_11comp_targetILNS1_3genE0ELNS1_11target_archE4294967295ELNS1_3gpuE0ELNS1_3repE0EEENS1_30default_config_static_selectorELNS0_4arch9wavefront6targetE1EEEvT1_
	.p2align	8
	.type	_ZN7rocprim17ROCPRIM_400000_NS6detail17trampoline_kernelINS0_14default_configENS1_20scan_config_selectorIxEEZZNS1_9scan_implILNS1_25lookback_scan_determinismE0ELb0ELb0ES3_N6thrust23THRUST_200600_302600_NS6detail15normal_iteratorINS9_10device_ptrIxEEEENS9_16discard_iteratorINS9_11use_defaultEEExNS9_4plusIvEExEEDaPvRmT3_T4_T5_mT6_P12ihipStream_tbENKUlT_T0_E_clISt17integral_constantIbLb1EESX_EEDaSS_ST_EUlSS_E0_NS1_11comp_targetILNS1_3genE0ELNS1_11target_archE4294967295ELNS1_3gpuE0ELNS1_3repE0EEENS1_30default_config_static_selectorELNS0_4arch9wavefront6targetE1EEEvT1_,@function
_ZN7rocprim17ROCPRIM_400000_NS6detail17trampoline_kernelINS0_14default_configENS1_20scan_config_selectorIxEEZZNS1_9scan_implILNS1_25lookback_scan_determinismE0ELb0ELb0ES3_N6thrust23THRUST_200600_302600_NS6detail15normal_iteratorINS9_10device_ptrIxEEEENS9_16discard_iteratorINS9_11use_defaultEEExNS9_4plusIvEExEEDaPvRmT3_T4_T5_mT6_P12ihipStream_tbENKUlT_T0_E_clISt17integral_constantIbLb1EESX_EEDaSS_ST_EUlSS_E0_NS1_11comp_targetILNS1_3genE0ELNS1_11target_archE4294967295ELNS1_3gpuE0ELNS1_3repE0EEENS1_30default_config_static_selectorELNS0_4arch9wavefront6targetE1EEEvT1_: ; @_ZN7rocprim17ROCPRIM_400000_NS6detail17trampoline_kernelINS0_14default_configENS1_20scan_config_selectorIxEEZZNS1_9scan_implILNS1_25lookback_scan_determinismE0ELb0ELb0ES3_N6thrust23THRUST_200600_302600_NS6detail15normal_iteratorINS9_10device_ptrIxEEEENS9_16discard_iteratorINS9_11use_defaultEEExNS9_4plusIvEExEEDaPvRmT3_T4_T5_mT6_P12ihipStream_tbENKUlT_T0_E_clISt17integral_constantIbLb1EESX_EEDaSS_ST_EUlSS_E0_NS1_11comp_targetILNS1_3genE0ELNS1_11target_archE4294967295ELNS1_3gpuE0ELNS1_3repE0EEENS1_30default_config_static_selectorELNS0_4arch9wavefront6targetE1EEEvT1_
; %bb.0:
	.section	.rodata,"a",@progbits
	.p2align	6, 0x0
	.amdhsa_kernel _ZN7rocprim17ROCPRIM_400000_NS6detail17trampoline_kernelINS0_14default_configENS1_20scan_config_selectorIxEEZZNS1_9scan_implILNS1_25lookback_scan_determinismE0ELb0ELb0ES3_N6thrust23THRUST_200600_302600_NS6detail15normal_iteratorINS9_10device_ptrIxEEEENS9_16discard_iteratorINS9_11use_defaultEEExNS9_4plusIvEExEEDaPvRmT3_T4_T5_mT6_P12ihipStream_tbENKUlT_T0_E_clISt17integral_constantIbLb1EESX_EEDaSS_ST_EUlSS_E0_NS1_11comp_targetILNS1_3genE0ELNS1_11target_archE4294967295ELNS1_3gpuE0ELNS1_3repE0EEENS1_30default_config_static_selectorELNS0_4arch9wavefront6targetE1EEEvT1_
		.amdhsa_group_segment_fixed_size 0
		.amdhsa_private_segment_fixed_size 0
		.amdhsa_kernarg_size 48
		.amdhsa_user_sgpr_count 6
		.amdhsa_user_sgpr_private_segment_buffer 1
		.amdhsa_user_sgpr_dispatch_ptr 0
		.amdhsa_user_sgpr_queue_ptr 0
		.amdhsa_user_sgpr_kernarg_segment_ptr 1
		.amdhsa_user_sgpr_dispatch_id 0
		.amdhsa_user_sgpr_flat_scratch_init 0
		.amdhsa_user_sgpr_kernarg_preload_length 0
		.amdhsa_user_sgpr_kernarg_preload_offset 0
		.amdhsa_user_sgpr_private_segment_size 0
		.amdhsa_uses_dynamic_stack 0
		.amdhsa_system_sgpr_private_segment_wavefront_offset 0
		.amdhsa_system_sgpr_workgroup_id_x 1
		.amdhsa_system_sgpr_workgroup_id_y 0
		.amdhsa_system_sgpr_workgroup_id_z 0
		.amdhsa_system_sgpr_workgroup_info 0
		.amdhsa_system_vgpr_workitem_id 0
		.amdhsa_next_free_vgpr 1
		.amdhsa_next_free_sgpr 0
		.amdhsa_accum_offset 4
		.amdhsa_reserve_vcc 0
		.amdhsa_reserve_flat_scratch 0
		.amdhsa_float_round_mode_32 0
		.amdhsa_float_round_mode_16_64 0
		.amdhsa_float_denorm_mode_32 3
		.amdhsa_float_denorm_mode_16_64 3
		.amdhsa_dx10_clamp 1
		.amdhsa_ieee_mode 1
		.amdhsa_fp16_overflow 0
		.amdhsa_tg_split 0
		.amdhsa_exception_fp_ieee_invalid_op 0
		.amdhsa_exception_fp_denorm_src 0
		.amdhsa_exception_fp_ieee_div_zero 0
		.amdhsa_exception_fp_ieee_overflow 0
		.amdhsa_exception_fp_ieee_underflow 0
		.amdhsa_exception_fp_ieee_inexact 0
		.amdhsa_exception_int_div_zero 0
	.end_amdhsa_kernel
	.section	.text._ZN7rocprim17ROCPRIM_400000_NS6detail17trampoline_kernelINS0_14default_configENS1_20scan_config_selectorIxEEZZNS1_9scan_implILNS1_25lookback_scan_determinismE0ELb0ELb0ES3_N6thrust23THRUST_200600_302600_NS6detail15normal_iteratorINS9_10device_ptrIxEEEENS9_16discard_iteratorINS9_11use_defaultEEExNS9_4plusIvEExEEDaPvRmT3_T4_T5_mT6_P12ihipStream_tbENKUlT_T0_E_clISt17integral_constantIbLb1EESX_EEDaSS_ST_EUlSS_E0_NS1_11comp_targetILNS1_3genE0ELNS1_11target_archE4294967295ELNS1_3gpuE0ELNS1_3repE0EEENS1_30default_config_static_selectorELNS0_4arch9wavefront6targetE1EEEvT1_,"axG",@progbits,_ZN7rocprim17ROCPRIM_400000_NS6detail17trampoline_kernelINS0_14default_configENS1_20scan_config_selectorIxEEZZNS1_9scan_implILNS1_25lookback_scan_determinismE0ELb0ELb0ES3_N6thrust23THRUST_200600_302600_NS6detail15normal_iteratorINS9_10device_ptrIxEEEENS9_16discard_iteratorINS9_11use_defaultEEExNS9_4plusIvEExEEDaPvRmT3_T4_T5_mT6_P12ihipStream_tbENKUlT_T0_E_clISt17integral_constantIbLb1EESX_EEDaSS_ST_EUlSS_E0_NS1_11comp_targetILNS1_3genE0ELNS1_11target_archE4294967295ELNS1_3gpuE0ELNS1_3repE0EEENS1_30default_config_static_selectorELNS0_4arch9wavefront6targetE1EEEvT1_,comdat
.Lfunc_end5609:
	.size	_ZN7rocprim17ROCPRIM_400000_NS6detail17trampoline_kernelINS0_14default_configENS1_20scan_config_selectorIxEEZZNS1_9scan_implILNS1_25lookback_scan_determinismE0ELb0ELb0ES3_N6thrust23THRUST_200600_302600_NS6detail15normal_iteratorINS9_10device_ptrIxEEEENS9_16discard_iteratorINS9_11use_defaultEEExNS9_4plusIvEExEEDaPvRmT3_T4_T5_mT6_P12ihipStream_tbENKUlT_T0_E_clISt17integral_constantIbLb1EESX_EEDaSS_ST_EUlSS_E0_NS1_11comp_targetILNS1_3genE0ELNS1_11target_archE4294967295ELNS1_3gpuE0ELNS1_3repE0EEENS1_30default_config_static_selectorELNS0_4arch9wavefront6targetE1EEEvT1_, .Lfunc_end5609-_ZN7rocprim17ROCPRIM_400000_NS6detail17trampoline_kernelINS0_14default_configENS1_20scan_config_selectorIxEEZZNS1_9scan_implILNS1_25lookback_scan_determinismE0ELb0ELb0ES3_N6thrust23THRUST_200600_302600_NS6detail15normal_iteratorINS9_10device_ptrIxEEEENS9_16discard_iteratorINS9_11use_defaultEEExNS9_4plusIvEExEEDaPvRmT3_T4_T5_mT6_P12ihipStream_tbENKUlT_T0_E_clISt17integral_constantIbLb1EESX_EEDaSS_ST_EUlSS_E0_NS1_11comp_targetILNS1_3genE0ELNS1_11target_archE4294967295ELNS1_3gpuE0ELNS1_3repE0EEENS1_30default_config_static_selectorELNS0_4arch9wavefront6targetE1EEEvT1_
                                        ; -- End function
	.section	.AMDGPU.csdata,"",@progbits
; Kernel info:
; codeLenInByte = 0
; NumSgprs: 4
; NumVgprs: 0
; NumAgprs: 0
; TotalNumVgprs: 0
; ScratchSize: 0
; MemoryBound: 0
; FloatMode: 240
; IeeeMode: 1
; LDSByteSize: 0 bytes/workgroup (compile time only)
; SGPRBlocks: 0
; VGPRBlocks: 0
; NumSGPRsForWavesPerEU: 4
; NumVGPRsForWavesPerEU: 1
; AccumOffset: 4
; Occupancy: 8
; WaveLimiterHint : 0
; COMPUTE_PGM_RSRC2:SCRATCH_EN: 0
; COMPUTE_PGM_RSRC2:USER_SGPR: 6
; COMPUTE_PGM_RSRC2:TRAP_HANDLER: 0
; COMPUTE_PGM_RSRC2:TGID_X_EN: 1
; COMPUTE_PGM_RSRC2:TGID_Y_EN: 0
; COMPUTE_PGM_RSRC2:TGID_Z_EN: 0
; COMPUTE_PGM_RSRC2:TIDIG_COMP_CNT: 0
; COMPUTE_PGM_RSRC3_GFX90A:ACCUM_OFFSET: 0
; COMPUTE_PGM_RSRC3_GFX90A:TG_SPLIT: 0
	.section	.text._ZN7rocprim17ROCPRIM_400000_NS6detail17trampoline_kernelINS0_14default_configENS1_20scan_config_selectorIxEEZZNS1_9scan_implILNS1_25lookback_scan_determinismE0ELb0ELb0ES3_N6thrust23THRUST_200600_302600_NS6detail15normal_iteratorINS9_10device_ptrIxEEEENS9_16discard_iteratorINS9_11use_defaultEEExNS9_4plusIvEExEEDaPvRmT3_T4_T5_mT6_P12ihipStream_tbENKUlT_T0_E_clISt17integral_constantIbLb1EESX_EEDaSS_ST_EUlSS_E0_NS1_11comp_targetILNS1_3genE5ELNS1_11target_archE942ELNS1_3gpuE9ELNS1_3repE0EEENS1_30default_config_static_selectorELNS0_4arch9wavefront6targetE1EEEvT1_,"axG",@progbits,_ZN7rocprim17ROCPRIM_400000_NS6detail17trampoline_kernelINS0_14default_configENS1_20scan_config_selectorIxEEZZNS1_9scan_implILNS1_25lookback_scan_determinismE0ELb0ELb0ES3_N6thrust23THRUST_200600_302600_NS6detail15normal_iteratorINS9_10device_ptrIxEEEENS9_16discard_iteratorINS9_11use_defaultEEExNS9_4plusIvEExEEDaPvRmT3_T4_T5_mT6_P12ihipStream_tbENKUlT_T0_E_clISt17integral_constantIbLb1EESX_EEDaSS_ST_EUlSS_E0_NS1_11comp_targetILNS1_3genE5ELNS1_11target_archE942ELNS1_3gpuE9ELNS1_3repE0EEENS1_30default_config_static_selectorELNS0_4arch9wavefront6targetE1EEEvT1_,comdat
	.protected	_ZN7rocprim17ROCPRIM_400000_NS6detail17trampoline_kernelINS0_14default_configENS1_20scan_config_selectorIxEEZZNS1_9scan_implILNS1_25lookback_scan_determinismE0ELb0ELb0ES3_N6thrust23THRUST_200600_302600_NS6detail15normal_iteratorINS9_10device_ptrIxEEEENS9_16discard_iteratorINS9_11use_defaultEEExNS9_4plusIvEExEEDaPvRmT3_T4_T5_mT6_P12ihipStream_tbENKUlT_T0_E_clISt17integral_constantIbLb1EESX_EEDaSS_ST_EUlSS_E0_NS1_11comp_targetILNS1_3genE5ELNS1_11target_archE942ELNS1_3gpuE9ELNS1_3repE0EEENS1_30default_config_static_selectorELNS0_4arch9wavefront6targetE1EEEvT1_ ; -- Begin function _ZN7rocprim17ROCPRIM_400000_NS6detail17trampoline_kernelINS0_14default_configENS1_20scan_config_selectorIxEEZZNS1_9scan_implILNS1_25lookback_scan_determinismE0ELb0ELb0ES3_N6thrust23THRUST_200600_302600_NS6detail15normal_iteratorINS9_10device_ptrIxEEEENS9_16discard_iteratorINS9_11use_defaultEEExNS9_4plusIvEExEEDaPvRmT3_T4_T5_mT6_P12ihipStream_tbENKUlT_T0_E_clISt17integral_constantIbLb1EESX_EEDaSS_ST_EUlSS_E0_NS1_11comp_targetILNS1_3genE5ELNS1_11target_archE942ELNS1_3gpuE9ELNS1_3repE0EEENS1_30default_config_static_selectorELNS0_4arch9wavefront6targetE1EEEvT1_
	.globl	_ZN7rocprim17ROCPRIM_400000_NS6detail17trampoline_kernelINS0_14default_configENS1_20scan_config_selectorIxEEZZNS1_9scan_implILNS1_25lookback_scan_determinismE0ELb0ELb0ES3_N6thrust23THRUST_200600_302600_NS6detail15normal_iteratorINS9_10device_ptrIxEEEENS9_16discard_iteratorINS9_11use_defaultEEExNS9_4plusIvEExEEDaPvRmT3_T4_T5_mT6_P12ihipStream_tbENKUlT_T0_E_clISt17integral_constantIbLb1EESX_EEDaSS_ST_EUlSS_E0_NS1_11comp_targetILNS1_3genE5ELNS1_11target_archE942ELNS1_3gpuE9ELNS1_3repE0EEENS1_30default_config_static_selectorELNS0_4arch9wavefront6targetE1EEEvT1_
	.p2align	8
	.type	_ZN7rocprim17ROCPRIM_400000_NS6detail17trampoline_kernelINS0_14default_configENS1_20scan_config_selectorIxEEZZNS1_9scan_implILNS1_25lookback_scan_determinismE0ELb0ELb0ES3_N6thrust23THRUST_200600_302600_NS6detail15normal_iteratorINS9_10device_ptrIxEEEENS9_16discard_iteratorINS9_11use_defaultEEExNS9_4plusIvEExEEDaPvRmT3_T4_T5_mT6_P12ihipStream_tbENKUlT_T0_E_clISt17integral_constantIbLb1EESX_EEDaSS_ST_EUlSS_E0_NS1_11comp_targetILNS1_3genE5ELNS1_11target_archE942ELNS1_3gpuE9ELNS1_3repE0EEENS1_30default_config_static_selectorELNS0_4arch9wavefront6targetE1EEEvT1_,@function
_ZN7rocprim17ROCPRIM_400000_NS6detail17trampoline_kernelINS0_14default_configENS1_20scan_config_selectorIxEEZZNS1_9scan_implILNS1_25lookback_scan_determinismE0ELb0ELb0ES3_N6thrust23THRUST_200600_302600_NS6detail15normal_iteratorINS9_10device_ptrIxEEEENS9_16discard_iteratorINS9_11use_defaultEEExNS9_4plusIvEExEEDaPvRmT3_T4_T5_mT6_P12ihipStream_tbENKUlT_T0_E_clISt17integral_constantIbLb1EESX_EEDaSS_ST_EUlSS_E0_NS1_11comp_targetILNS1_3genE5ELNS1_11target_archE942ELNS1_3gpuE9ELNS1_3repE0EEENS1_30default_config_static_selectorELNS0_4arch9wavefront6targetE1EEEvT1_: ; @_ZN7rocprim17ROCPRIM_400000_NS6detail17trampoline_kernelINS0_14default_configENS1_20scan_config_selectorIxEEZZNS1_9scan_implILNS1_25lookback_scan_determinismE0ELb0ELb0ES3_N6thrust23THRUST_200600_302600_NS6detail15normal_iteratorINS9_10device_ptrIxEEEENS9_16discard_iteratorINS9_11use_defaultEEExNS9_4plusIvEExEEDaPvRmT3_T4_T5_mT6_P12ihipStream_tbENKUlT_T0_E_clISt17integral_constantIbLb1EESX_EEDaSS_ST_EUlSS_E0_NS1_11comp_targetILNS1_3genE5ELNS1_11target_archE942ELNS1_3gpuE9ELNS1_3repE0EEENS1_30default_config_static_selectorELNS0_4arch9wavefront6targetE1EEEvT1_
; %bb.0:
	.section	.rodata,"a",@progbits
	.p2align	6, 0x0
	.amdhsa_kernel _ZN7rocprim17ROCPRIM_400000_NS6detail17trampoline_kernelINS0_14default_configENS1_20scan_config_selectorIxEEZZNS1_9scan_implILNS1_25lookback_scan_determinismE0ELb0ELb0ES3_N6thrust23THRUST_200600_302600_NS6detail15normal_iteratorINS9_10device_ptrIxEEEENS9_16discard_iteratorINS9_11use_defaultEEExNS9_4plusIvEExEEDaPvRmT3_T4_T5_mT6_P12ihipStream_tbENKUlT_T0_E_clISt17integral_constantIbLb1EESX_EEDaSS_ST_EUlSS_E0_NS1_11comp_targetILNS1_3genE5ELNS1_11target_archE942ELNS1_3gpuE9ELNS1_3repE0EEENS1_30default_config_static_selectorELNS0_4arch9wavefront6targetE1EEEvT1_
		.amdhsa_group_segment_fixed_size 0
		.amdhsa_private_segment_fixed_size 0
		.amdhsa_kernarg_size 48
		.amdhsa_user_sgpr_count 6
		.amdhsa_user_sgpr_private_segment_buffer 1
		.amdhsa_user_sgpr_dispatch_ptr 0
		.amdhsa_user_sgpr_queue_ptr 0
		.amdhsa_user_sgpr_kernarg_segment_ptr 1
		.amdhsa_user_sgpr_dispatch_id 0
		.amdhsa_user_sgpr_flat_scratch_init 0
		.amdhsa_user_sgpr_kernarg_preload_length 0
		.amdhsa_user_sgpr_kernarg_preload_offset 0
		.amdhsa_user_sgpr_private_segment_size 0
		.amdhsa_uses_dynamic_stack 0
		.amdhsa_system_sgpr_private_segment_wavefront_offset 0
		.amdhsa_system_sgpr_workgroup_id_x 1
		.amdhsa_system_sgpr_workgroup_id_y 0
		.amdhsa_system_sgpr_workgroup_id_z 0
		.amdhsa_system_sgpr_workgroup_info 0
		.amdhsa_system_vgpr_workitem_id 0
		.amdhsa_next_free_vgpr 1
		.amdhsa_next_free_sgpr 0
		.amdhsa_accum_offset 4
		.amdhsa_reserve_vcc 0
		.amdhsa_reserve_flat_scratch 0
		.amdhsa_float_round_mode_32 0
		.amdhsa_float_round_mode_16_64 0
		.amdhsa_float_denorm_mode_32 3
		.amdhsa_float_denorm_mode_16_64 3
		.amdhsa_dx10_clamp 1
		.amdhsa_ieee_mode 1
		.amdhsa_fp16_overflow 0
		.amdhsa_tg_split 0
		.amdhsa_exception_fp_ieee_invalid_op 0
		.amdhsa_exception_fp_denorm_src 0
		.amdhsa_exception_fp_ieee_div_zero 0
		.amdhsa_exception_fp_ieee_overflow 0
		.amdhsa_exception_fp_ieee_underflow 0
		.amdhsa_exception_fp_ieee_inexact 0
		.amdhsa_exception_int_div_zero 0
	.end_amdhsa_kernel
	.section	.text._ZN7rocprim17ROCPRIM_400000_NS6detail17trampoline_kernelINS0_14default_configENS1_20scan_config_selectorIxEEZZNS1_9scan_implILNS1_25lookback_scan_determinismE0ELb0ELb0ES3_N6thrust23THRUST_200600_302600_NS6detail15normal_iteratorINS9_10device_ptrIxEEEENS9_16discard_iteratorINS9_11use_defaultEEExNS9_4plusIvEExEEDaPvRmT3_T4_T5_mT6_P12ihipStream_tbENKUlT_T0_E_clISt17integral_constantIbLb1EESX_EEDaSS_ST_EUlSS_E0_NS1_11comp_targetILNS1_3genE5ELNS1_11target_archE942ELNS1_3gpuE9ELNS1_3repE0EEENS1_30default_config_static_selectorELNS0_4arch9wavefront6targetE1EEEvT1_,"axG",@progbits,_ZN7rocprim17ROCPRIM_400000_NS6detail17trampoline_kernelINS0_14default_configENS1_20scan_config_selectorIxEEZZNS1_9scan_implILNS1_25lookback_scan_determinismE0ELb0ELb0ES3_N6thrust23THRUST_200600_302600_NS6detail15normal_iteratorINS9_10device_ptrIxEEEENS9_16discard_iteratorINS9_11use_defaultEEExNS9_4plusIvEExEEDaPvRmT3_T4_T5_mT6_P12ihipStream_tbENKUlT_T0_E_clISt17integral_constantIbLb1EESX_EEDaSS_ST_EUlSS_E0_NS1_11comp_targetILNS1_3genE5ELNS1_11target_archE942ELNS1_3gpuE9ELNS1_3repE0EEENS1_30default_config_static_selectorELNS0_4arch9wavefront6targetE1EEEvT1_,comdat
.Lfunc_end5610:
	.size	_ZN7rocprim17ROCPRIM_400000_NS6detail17trampoline_kernelINS0_14default_configENS1_20scan_config_selectorIxEEZZNS1_9scan_implILNS1_25lookback_scan_determinismE0ELb0ELb0ES3_N6thrust23THRUST_200600_302600_NS6detail15normal_iteratorINS9_10device_ptrIxEEEENS9_16discard_iteratorINS9_11use_defaultEEExNS9_4plusIvEExEEDaPvRmT3_T4_T5_mT6_P12ihipStream_tbENKUlT_T0_E_clISt17integral_constantIbLb1EESX_EEDaSS_ST_EUlSS_E0_NS1_11comp_targetILNS1_3genE5ELNS1_11target_archE942ELNS1_3gpuE9ELNS1_3repE0EEENS1_30default_config_static_selectorELNS0_4arch9wavefront6targetE1EEEvT1_, .Lfunc_end5610-_ZN7rocprim17ROCPRIM_400000_NS6detail17trampoline_kernelINS0_14default_configENS1_20scan_config_selectorIxEEZZNS1_9scan_implILNS1_25lookback_scan_determinismE0ELb0ELb0ES3_N6thrust23THRUST_200600_302600_NS6detail15normal_iteratorINS9_10device_ptrIxEEEENS9_16discard_iteratorINS9_11use_defaultEEExNS9_4plusIvEExEEDaPvRmT3_T4_T5_mT6_P12ihipStream_tbENKUlT_T0_E_clISt17integral_constantIbLb1EESX_EEDaSS_ST_EUlSS_E0_NS1_11comp_targetILNS1_3genE5ELNS1_11target_archE942ELNS1_3gpuE9ELNS1_3repE0EEENS1_30default_config_static_selectorELNS0_4arch9wavefront6targetE1EEEvT1_
                                        ; -- End function
	.section	.AMDGPU.csdata,"",@progbits
; Kernel info:
; codeLenInByte = 0
; NumSgprs: 4
; NumVgprs: 0
; NumAgprs: 0
; TotalNumVgprs: 0
; ScratchSize: 0
; MemoryBound: 0
; FloatMode: 240
; IeeeMode: 1
; LDSByteSize: 0 bytes/workgroup (compile time only)
; SGPRBlocks: 0
; VGPRBlocks: 0
; NumSGPRsForWavesPerEU: 4
; NumVGPRsForWavesPerEU: 1
; AccumOffset: 4
; Occupancy: 8
; WaveLimiterHint : 0
; COMPUTE_PGM_RSRC2:SCRATCH_EN: 0
; COMPUTE_PGM_RSRC2:USER_SGPR: 6
; COMPUTE_PGM_RSRC2:TRAP_HANDLER: 0
; COMPUTE_PGM_RSRC2:TGID_X_EN: 1
; COMPUTE_PGM_RSRC2:TGID_Y_EN: 0
; COMPUTE_PGM_RSRC2:TGID_Z_EN: 0
; COMPUTE_PGM_RSRC2:TIDIG_COMP_CNT: 0
; COMPUTE_PGM_RSRC3_GFX90A:ACCUM_OFFSET: 0
; COMPUTE_PGM_RSRC3_GFX90A:TG_SPLIT: 0
	.section	.text._ZN7rocprim17ROCPRIM_400000_NS6detail17trampoline_kernelINS0_14default_configENS1_20scan_config_selectorIxEEZZNS1_9scan_implILNS1_25lookback_scan_determinismE0ELb0ELb0ES3_N6thrust23THRUST_200600_302600_NS6detail15normal_iteratorINS9_10device_ptrIxEEEENS9_16discard_iteratorINS9_11use_defaultEEExNS9_4plusIvEExEEDaPvRmT3_T4_T5_mT6_P12ihipStream_tbENKUlT_T0_E_clISt17integral_constantIbLb1EESX_EEDaSS_ST_EUlSS_E0_NS1_11comp_targetILNS1_3genE4ELNS1_11target_archE910ELNS1_3gpuE8ELNS1_3repE0EEENS1_30default_config_static_selectorELNS0_4arch9wavefront6targetE1EEEvT1_,"axG",@progbits,_ZN7rocprim17ROCPRIM_400000_NS6detail17trampoline_kernelINS0_14default_configENS1_20scan_config_selectorIxEEZZNS1_9scan_implILNS1_25lookback_scan_determinismE0ELb0ELb0ES3_N6thrust23THRUST_200600_302600_NS6detail15normal_iteratorINS9_10device_ptrIxEEEENS9_16discard_iteratorINS9_11use_defaultEEExNS9_4plusIvEExEEDaPvRmT3_T4_T5_mT6_P12ihipStream_tbENKUlT_T0_E_clISt17integral_constantIbLb1EESX_EEDaSS_ST_EUlSS_E0_NS1_11comp_targetILNS1_3genE4ELNS1_11target_archE910ELNS1_3gpuE8ELNS1_3repE0EEENS1_30default_config_static_selectorELNS0_4arch9wavefront6targetE1EEEvT1_,comdat
	.protected	_ZN7rocprim17ROCPRIM_400000_NS6detail17trampoline_kernelINS0_14default_configENS1_20scan_config_selectorIxEEZZNS1_9scan_implILNS1_25lookback_scan_determinismE0ELb0ELb0ES3_N6thrust23THRUST_200600_302600_NS6detail15normal_iteratorINS9_10device_ptrIxEEEENS9_16discard_iteratorINS9_11use_defaultEEExNS9_4plusIvEExEEDaPvRmT3_T4_T5_mT6_P12ihipStream_tbENKUlT_T0_E_clISt17integral_constantIbLb1EESX_EEDaSS_ST_EUlSS_E0_NS1_11comp_targetILNS1_3genE4ELNS1_11target_archE910ELNS1_3gpuE8ELNS1_3repE0EEENS1_30default_config_static_selectorELNS0_4arch9wavefront6targetE1EEEvT1_ ; -- Begin function _ZN7rocprim17ROCPRIM_400000_NS6detail17trampoline_kernelINS0_14default_configENS1_20scan_config_selectorIxEEZZNS1_9scan_implILNS1_25lookback_scan_determinismE0ELb0ELb0ES3_N6thrust23THRUST_200600_302600_NS6detail15normal_iteratorINS9_10device_ptrIxEEEENS9_16discard_iteratorINS9_11use_defaultEEExNS9_4plusIvEExEEDaPvRmT3_T4_T5_mT6_P12ihipStream_tbENKUlT_T0_E_clISt17integral_constantIbLb1EESX_EEDaSS_ST_EUlSS_E0_NS1_11comp_targetILNS1_3genE4ELNS1_11target_archE910ELNS1_3gpuE8ELNS1_3repE0EEENS1_30default_config_static_selectorELNS0_4arch9wavefront6targetE1EEEvT1_
	.globl	_ZN7rocprim17ROCPRIM_400000_NS6detail17trampoline_kernelINS0_14default_configENS1_20scan_config_selectorIxEEZZNS1_9scan_implILNS1_25lookback_scan_determinismE0ELb0ELb0ES3_N6thrust23THRUST_200600_302600_NS6detail15normal_iteratorINS9_10device_ptrIxEEEENS9_16discard_iteratorINS9_11use_defaultEEExNS9_4plusIvEExEEDaPvRmT3_T4_T5_mT6_P12ihipStream_tbENKUlT_T0_E_clISt17integral_constantIbLb1EESX_EEDaSS_ST_EUlSS_E0_NS1_11comp_targetILNS1_3genE4ELNS1_11target_archE910ELNS1_3gpuE8ELNS1_3repE0EEENS1_30default_config_static_selectorELNS0_4arch9wavefront6targetE1EEEvT1_
	.p2align	8
	.type	_ZN7rocprim17ROCPRIM_400000_NS6detail17trampoline_kernelINS0_14default_configENS1_20scan_config_selectorIxEEZZNS1_9scan_implILNS1_25lookback_scan_determinismE0ELb0ELb0ES3_N6thrust23THRUST_200600_302600_NS6detail15normal_iteratorINS9_10device_ptrIxEEEENS9_16discard_iteratorINS9_11use_defaultEEExNS9_4plusIvEExEEDaPvRmT3_T4_T5_mT6_P12ihipStream_tbENKUlT_T0_E_clISt17integral_constantIbLb1EESX_EEDaSS_ST_EUlSS_E0_NS1_11comp_targetILNS1_3genE4ELNS1_11target_archE910ELNS1_3gpuE8ELNS1_3repE0EEENS1_30default_config_static_selectorELNS0_4arch9wavefront6targetE1EEEvT1_,@function
_ZN7rocprim17ROCPRIM_400000_NS6detail17trampoline_kernelINS0_14default_configENS1_20scan_config_selectorIxEEZZNS1_9scan_implILNS1_25lookback_scan_determinismE0ELb0ELb0ES3_N6thrust23THRUST_200600_302600_NS6detail15normal_iteratorINS9_10device_ptrIxEEEENS9_16discard_iteratorINS9_11use_defaultEEExNS9_4plusIvEExEEDaPvRmT3_T4_T5_mT6_P12ihipStream_tbENKUlT_T0_E_clISt17integral_constantIbLb1EESX_EEDaSS_ST_EUlSS_E0_NS1_11comp_targetILNS1_3genE4ELNS1_11target_archE910ELNS1_3gpuE8ELNS1_3repE0EEENS1_30default_config_static_selectorELNS0_4arch9wavefront6targetE1EEEvT1_: ; @_ZN7rocprim17ROCPRIM_400000_NS6detail17trampoline_kernelINS0_14default_configENS1_20scan_config_selectorIxEEZZNS1_9scan_implILNS1_25lookback_scan_determinismE0ELb0ELb0ES3_N6thrust23THRUST_200600_302600_NS6detail15normal_iteratorINS9_10device_ptrIxEEEENS9_16discard_iteratorINS9_11use_defaultEEExNS9_4plusIvEExEEDaPvRmT3_T4_T5_mT6_P12ihipStream_tbENKUlT_T0_E_clISt17integral_constantIbLb1EESX_EEDaSS_ST_EUlSS_E0_NS1_11comp_targetILNS1_3genE4ELNS1_11target_archE910ELNS1_3gpuE8ELNS1_3repE0EEENS1_30default_config_static_selectorELNS0_4arch9wavefront6targetE1EEEvT1_
; %bb.0:
	s_load_dwordx4 s[0:3], s[4:5], 0x0
	v_lshlrev_b32_e32 v21, 3, v0
	s_waitcnt lgkmcnt(0)
	s_load_dwordx2 s[4:5], s[0:1], 0x0
	v_cmp_gt_u32_e32 vcc, s2, v0
	s_waitcnt lgkmcnt(0)
	v_pk_mov_b32 v[2:3], s[4:5], s[4:5] op_sel:[0,1]
	s_and_saveexec_b64 s[6:7], vcc
	s_cbranch_execz .LBB5611_2
; %bb.1:
	global_load_dwordx2 v[2:3], v21, s[0:1]
.LBB5611_2:
	s_or_b64 exec, exec, s[6:7]
	v_or_b32_e32 v1, 0x80, v0
	v_cmp_gt_u32_e32 vcc, s2, v1
	v_pk_mov_b32 v[4:5], s[4:5], s[4:5] op_sel:[0,1]
	s_and_saveexec_b64 s[6:7], vcc
	s_cbranch_execz .LBB5611_4
; %bb.3:
	global_load_dwordx2 v[4:5], v21, s[0:1] offset:1024
.LBB5611_4:
	s_or_b64 exec, exec, s[6:7]
	v_or_b32_e32 v1, 0x100, v0
	v_cmp_gt_u32_e32 vcc, s2, v1
	v_pk_mov_b32 v[6:7], s[4:5], s[4:5] op_sel:[0,1]
	s_and_saveexec_b64 s[6:7], vcc
	s_cbranch_execz .LBB5611_6
; %bb.5:
	global_load_dwordx2 v[6:7], v21, s[0:1] offset:2048
.LBB5611_6:
	;; [unrolled: 9-line block ×3, first 2 shown]
	s_or_b64 exec, exec, s[6:7]
	v_or_b32_e32 v1, 0x200, v0
	v_cmp_gt_u32_e32 vcc, s2, v1
	v_pk_mov_b32 v[10:11], s[4:5], s[4:5] op_sel:[0,1]
	s_and_saveexec_b64 s[6:7], vcc
	s_cbranch_execz .LBB5611_10
; %bb.9:
	v_lshlrev_b32_e32 v1, 3, v1
	global_load_dwordx2 v[10:11], v1, s[0:1]
.LBB5611_10:
	s_or_b64 exec, exec, s[6:7]
	v_or_b32_e32 v1, 0x280, v0
	v_cmp_gt_u32_e32 vcc, s2, v1
	v_pk_mov_b32 v[12:13], s[4:5], s[4:5] op_sel:[0,1]
	s_and_saveexec_b64 s[6:7], vcc
	s_cbranch_execz .LBB5611_12
; %bb.11:
	v_lshlrev_b32_e32 v1, 3, v1
	global_load_dwordx2 v[12:13], v1, s[0:1]
.LBB5611_12:
	;; [unrolled: 10-line block ×3, first 2 shown]
	s_or_b64 exec, exec, s[2:3]
	v_mad_u32_u24 v1, v0, 48, v21
	s_waitcnt vmcnt(0)
	ds_write2st64_b64 v21, v[2:3], v[4:5] offset1:2
	ds_write2st64_b64 v21, v[6:7], v[8:9] offset0:4 offset1:6
	ds_write2st64_b64 v21, v[10:11], v[12:13] offset0:8 offset1:10
	ds_write_b64 v21, v[14:15] offset:6144
	s_waitcnt lgkmcnt(0)
	s_barrier
	ds_read2_b64 v[2:5], v1 offset1:1
	ds_read2_b64 v[6:9], v1 offset0:2 offset1:3
	ds_read2_b64 v[10:13], v1 offset0:4 offset1:5
	ds_read_b64 v[28:29], v1 offset:48
	v_lshrrev_b32_e32 v14, 2, v0
	s_waitcnt lgkmcnt(3)
	v_add_co_u32_e32 v20, vcc, v4, v2
	v_addc_co_u32_e32 v1, vcc, v5, v3, vcc
	s_waitcnt lgkmcnt(2)
	v_add_co_u32_e32 v18, vcc, v20, v6
	v_addc_co_u32_e32 v19, vcc, v1, v7, vcc
	v_add_co_u32_e32 v24, vcc, v18, v8
	v_addc_co_u32_e32 v25, vcc, v19, v9, vcc
	s_waitcnt lgkmcnt(1)
	v_add_co_u32_e32 v22, vcc, v24, v10
	v_addc_co_u32_e32 v23, vcc, v25, v11, vcc
	;; [unrolled: 5-line block ×3, first 2 shown]
	v_and_b32_e32 v14, 24, v14
	v_add_u32_e32 v14, v21, v14
	v_cmp_gt_u32_e32 vcc, 64, v0
	s_barrier
	ds_write_b64 v14, v[30:31]
	s_waitcnt lgkmcnt(0)
	s_barrier
	s_and_saveexec_b64 s[2:3], vcc
	s_cbranch_execz .LBB5611_18
; %bb.15:
	v_lshlrev_b32_e32 v14, 1, v0
	v_lshrrev_b32_e32 v15, 4, v0
	v_add_lshl_u32 v32, v15, v14, 3
	ds_read2_b64 v[14:17], v32 offset1:1
	s_waitcnt lgkmcnt(0)
	v_add_co_u32_e32 v34, vcc, v16, v14
	v_addc_co_u32_e32 v35, vcc, v17, v15, vcc
	s_nop 0
	v_mov_b32_dpp v17, v34 row_shr:1 row_mask:0xf bank_mask:0xf
	v_add_co_u32_e32 v17, vcc, v34, v17
	v_mbcnt_lo_u32_b32 v16, -1, 0
	v_addc_co_u32_e32 v37, vcc, 0, v35, vcc
	v_mbcnt_hi_u32_b32 v33, -1, v16
	v_mov_b32_dpp v36, v35 row_shr:1 row_mask:0xf bank_mask:0xf
	v_add_co_u32_e32 v38, vcc, 0, v17
	v_and_b32_e32 v16, 15, v33
	v_addc_co_u32_e32 v36, vcc, v36, v37, vcc
	v_cmp_eq_u32_e32 vcc, 0, v16
	v_cndmask_b32_e32 v17, v17, v34, vcc
	v_cndmask_b32_e32 v36, v36, v35, vcc
	v_cndmask_b32_e32 v37, v38, v34, vcc
	v_mov_b32_dpp v38, v17 row_shr:2 row_mask:0xf bank_mask:0xf
	v_mov_b32_dpp v39, v36 row_shr:2 row_mask:0xf bank_mask:0xf
	v_add_co_u32_e32 v38, vcc, v38, v37
	v_addc_co_u32_e32 v39, vcc, v39, v36, vcc
	v_cmp_lt_u32_e32 vcc, 1, v16
	v_cndmask_b32_e32 v17, v17, v38, vcc
	v_cndmask_b32_e32 v36, v36, v39, vcc
	v_cndmask_b32_e32 v37, v37, v38, vcc
	v_mov_b32_dpp v38, v17 row_shr:4 row_mask:0xf bank_mask:0xf
	v_mov_b32_dpp v39, v36 row_shr:4 row_mask:0xf bank_mask:0xf
	v_add_co_u32_e32 v38, vcc, v38, v37
	v_addc_co_u32_e32 v39, vcc, v39, v36, vcc
	v_cmp_lt_u32_e32 vcc, 3, v16
	;; [unrolled: 8-line block ×3, first 2 shown]
	v_cndmask_b32_e32 v40, v17, v38, vcc
	v_cndmask_b32_e32 v17, v36, v39, vcc
	;; [unrolled: 1-line block ×3, first 2 shown]
	v_mov_b32_dpp v36, v40 row_bcast:15 row_mask:0xf bank_mask:0xf
	v_mov_b32_dpp v37, v17 row_bcast:15 row_mask:0xf bank_mask:0xf
	v_add_co_u32_e32 v36, vcc, v36, v16
	v_and_b32_e32 v39, 16, v33
	v_addc_co_u32_e32 v38, vcc, v37, v17, vcc
	v_cmp_eq_u32_e32 vcc, 0, v39
	v_cndmask_b32_e32 v39, v38, v17, vcc
	v_cndmask_b32_e32 v37, v36, v40, vcc
	v_cmp_ne_u32_e64 s[0:1], 0, v33
	v_mov_b32_dpp v39, v39 row_bcast:31 row_mask:0xf bank_mask:0xf
	v_mov_b32_dpp v37, v37 row_bcast:31 row_mask:0xf bank_mask:0xf
	s_and_saveexec_b64 s[4:5], s[0:1]
; %bb.16:
	v_cndmask_b32_e32 v17, v38, v17, vcc
	v_cndmask_b32_e32 v16, v36, v16, vcc
	v_cmp_lt_u32_e32 vcc, 31, v33
	v_cndmask_b32_e32 v34, 0, v37, vcc
	v_cndmask_b32_e32 v35, 0, v39, vcc
	v_add_co_u32_e32 v34, vcc, v34, v16
	v_addc_co_u32_e32 v35, vcc, v35, v17, vcc
; %bb.17:
	s_or_b64 exec, exec, s[4:5]
	v_add_u32_e32 v16, -1, v33
	v_and_b32_e32 v17, 64, v33
	v_cmp_lt_i32_e32 vcc, v16, v17
	v_cndmask_b32_e32 v16, v16, v33, vcc
	v_lshlrev_b32_e32 v16, 2, v16
	ds_bpermute_b32 v17, v16, v34
	ds_bpermute_b32 v16, v16, v35
	; wave barrier
	s_waitcnt lgkmcnt(1)
	v_add_co_u32_e32 v14, vcc, v14, v17
	v_addc_co_u32_e32 v15, vcc, 0, v15, vcc
	v_add_co_u32_e32 v14, vcc, 0, v14
	s_waitcnt lgkmcnt(0)
	v_addc_co_u32_e32 v15, vcc, v15, v16, vcc
	v_cmp_eq_u32_e32 vcc, 0, v0
	v_cndmask_b32_e32 v15, v15, v31, vcc
	v_cndmask_b32_e32 v14, v14, v30, vcc
	ds_write_b64 v32, v[14:15]
	; wave barrier
	ds_read_b64 v[16:17], v32 offset:8
	s_waitcnt lgkmcnt(0)
	v_add_co_u32_e32 v14, vcc, v16, v14
	v_addc_co_u32_e32 v15, vcc, v17, v15, vcc
	ds_write_b64 v32, v[14:15] offset:8
.LBB5611_18:
	s_or_b64 exec, exec, s[2:3]
	v_mul_u32_u24_e32 v16, 48, v0
	v_cmp_ne_u32_e32 vcc, 0, v0
	v_pk_mov_b32 v[14:15], v[30:31], v[30:31] op_sel:[0,1]
	s_waitcnt lgkmcnt(0)
	s_barrier
	s_and_saveexec_b64 s[0:1], vcc
	s_cbranch_execz .LBB5611_20
; %bb.19:
	v_add_u32_e32 v0, -1, v0
	v_lshrrev_b32_e32 v14, 5, v0
	v_add_lshl_u32 v0, v14, v0, 3
	ds_read_b64 v[14:15], v0
.LBB5611_20:
	s_or_b64 exec, exec, s[0:1]
	s_and_saveexec_b64 s[0:1], vcc
	s_cbranch_execz .LBB5611_22
; %bb.21:
	s_waitcnt lgkmcnt(0)
	v_add_co_u32_e32 v2, vcc, v14, v2
	v_addc_co_u32_e32 v3, vcc, v15, v3, vcc
	v_add_co_u32_e32 v20, vcc, v2, v4
	v_addc_co_u32_e32 v1, vcc, v3, v5, vcc
	;; [unrolled: 2-line block ×7, first 2 shown]
	;;#ASMSTART
	;;#ASMEND
.LBB5611_22:
	s_or_b64 exec, exec, s[0:1]
	v_add_u32_e32 v0, v21, v16
	v_mov_b32_e32 v21, v1
	s_waitcnt lgkmcnt(0)
	s_barrier
	ds_write2_b64 v0, v[2:3], v[20:21] offset1:1
	ds_write2_b64 v0, v[18:19], v[24:25] offset0:2 offset1:3
	ds_write2_b64 v0, v[22:23], v[26:27] offset0:4 offset1:5
	ds_write_b64 v0, v[30:31] offset:48
	s_waitcnt lgkmcnt(0)
	s_barrier
	s_endpgm
	.section	.rodata,"a",@progbits
	.p2align	6, 0x0
	.amdhsa_kernel _ZN7rocprim17ROCPRIM_400000_NS6detail17trampoline_kernelINS0_14default_configENS1_20scan_config_selectorIxEEZZNS1_9scan_implILNS1_25lookback_scan_determinismE0ELb0ELb0ES3_N6thrust23THRUST_200600_302600_NS6detail15normal_iteratorINS9_10device_ptrIxEEEENS9_16discard_iteratorINS9_11use_defaultEEExNS9_4plusIvEExEEDaPvRmT3_T4_T5_mT6_P12ihipStream_tbENKUlT_T0_E_clISt17integral_constantIbLb1EESX_EEDaSS_ST_EUlSS_E0_NS1_11comp_targetILNS1_3genE4ELNS1_11target_archE910ELNS1_3gpuE8ELNS1_3repE0EEENS1_30default_config_static_selectorELNS0_4arch9wavefront6targetE1EEEvT1_
		.amdhsa_group_segment_fixed_size 7168
		.amdhsa_private_segment_fixed_size 0
		.amdhsa_kernarg_size 48
		.amdhsa_user_sgpr_count 6
		.amdhsa_user_sgpr_private_segment_buffer 1
		.amdhsa_user_sgpr_dispatch_ptr 0
		.amdhsa_user_sgpr_queue_ptr 0
		.amdhsa_user_sgpr_kernarg_segment_ptr 1
		.amdhsa_user_sgpr_dispatch_id 0
		.amdhsa_user_sgpr_flat_scratch_init 0
		.amdhsa_user_sgpr_kernarg_preload_length 0
		.amdhsa_user_sgpr_kernarg_preload_offset 0
		.amdhsa_user_sgpr_private_segment_size 0
		.amdhsa_uses_dynamic_stack 0
		.amdhsa_system_sgpr_private_segment_wavefront_offset 0
		.amdhsa_system_sgpr_workgroup_id_x 1
		.amdhsa_system_sgpr_workgroup_id_y 0
		.amdhsa_system_sgpr_workgroup_id_z 0
		.amdhsa_system_sgpr_workgroup_info 0
		.amdhsa_system_vgpr_workitem_id 0
		.amdhsa_next_free_vgpr 41
		.amdhsa_next_free_sgpr 8
		.amdhsa_accum_offset 44
		.amdhsa_reserve_vcc 1
		.amdhsa_reserve_flat_scratch 0
		.amdhsa_float_round_mode_32 0
		.amdhsa_float_round_mode_16_64 0
		.amdhsa_float_denorm_mode_32 3
		.amdhsa_float_denorm_mode_16_64 3
		.amdhsa_dx10_clamp 1
		.amdhsa_ieee_mode 1
		.amdhsa_fp16_overflow 0
		.amdhsa_tg_split 0
		.amdhsa_exception_fp_ieee_invalid_op 0
		.amdhsa_exception_fp_denorm_src 0
		.amdhsa_exception_fp_ieee_div_zero 0
		.amdhsa_exception_fp_ieee_overflow 0
		.amdhsa_exception_fp_ieee_underflow 0
		.amdhsa_exception_fp_ieee_inexact 0
		.amdhsa_exception_int_div_zero 0
	.end_amdhsa_kernel
	.section	.text._ZN7rocprim17ROCPRIM_400000_NS6detail17trampoline_kernelINS0_14default_configENS1_20scan_config_selectorIxEEZZNS1_9scan_implILNS1_25lookback_scan_determinismE0ELb0ELb0ES3_N6thrust23THRUST_200600_302600_NS6detail15normal_iteratorINS9_10device_ptrIxEEEENS9_16discard_iteratorINS9_11use_defaultEEExNS9_4plusIvEExEEDaPvRmT3_T4_T5_mT6_P12ihipStream_tbENKUlT_T0_E_clISt17integral_constantIbLb1EESX_EEDaSS_ST_EUlSS_E0_NS1_11comp_targetILNS1_3genE4ELNS1_11target_archE910ELNS1_3gpuE8ELNS1_3repE0EEENS1_30default_config_static_selectorELNS0_4arch9wavefront6targetE1EEEvT1_,"axG",@progbits,_ZN7rocprim17ROCPRIM_400000_NS6detail17trampoline_kernelINS0_14default_configENS1_20scan_config_selectorIxEEZZNS1_9scan_implILNS1_25lookback_scan_determinismE0ELb0ELb0ES3_N6thrust23THRUST_200600_302600_NS6detail15normal_iteratorINS9_10device_ptrIxEEEENS9_16discard_iteratorINS9_11use_defaultEEExNS9_4plusIvEExEEDaPvRmT3_T4_T5_mT6_P12ihipStream_tbENKUlT_T0_E_clISt17integral_constantIbLb1EESX_EEDaSS_ST_EUlSS_E0_NS1_11comp_targetILNS1_3genE4ELNS1_11target_archE910ELNS1_3gpuE8ELNS1_3repE0EEENS1_30default_config_static_selectorELNS0_4arch9wavefront6targetE1EEEvT1_,comdat
.Lfunc_end5611:
	.size	_ZN7rocprim17ROCPRIM_400000_NS6detail17trampoline_kernelINS0_14default_configENS1_20scan_config_selectorIxEEZZNS1_9scan_implILNS1_25lookback_scan_determinismE0ELb0ELb0ES3_N6thrust23THRUST_200600_302600_NS6detail15normal_iteratorINS9_10device_ptrIxEEEENS9_16discard_iteratorINS9_11use_defaultEEExNS9_4plusIvEExEEDaPvRmT3_T4_T5_mT6_P12ihipStream_tbENKUlT_T0_E_clISt17integral_constantIbLb1EESX_EEDaSS_ST_EUlSS_E0_NS1_11comp_targetILNS1_3genE4ELNS1_11target_archE910ELNS1_3gpuE8ELNS1_3repE0EEENS1_30default_config_static_selectorELNS0_4arch9wavefront6targetE1EEEvT1_, .Lfunc_end5611-_ZN7rocprim17ROCPRIM_400000_NS6detail17trampoline_kernelINS0_14default_configENS1_20scan_config_selectorIxEEZZNS1_9scan_implILNS1_25lookback_scan_determinismE0ELb0ELb0ES3_N6thrust23THRUST_200600_302600_NS6detail15normal_iteratorINS9_10device_ptrIxEEEENS9_16discard_iteratorINS9_11use_defaultEEExNS9_4plusIvEExEEDaPvRmT3_T4_T5_mT6_P12ihipStream_tbENKUlT_T0_E_clISt17integral_constantIbLb1EESX_EEDaSS_ST_EUlSS_E0_NS1_11comp_targetILNS1_3genE4ELNS1_11target_archE910ELNS1_3gpuE8ELNS1_3repE0EEENS1_30default_config_static_selectorELNS0_4arch9wavefront6targetE1EEEvT1_
                                        ; -- End function
	.section	.AMDGPU.csdata,"",@progbits
; Kernel info:
; codeLenInByte = 1136
; NumSgprs: 12
; NumVgprs: 41
; NumAgprs: 0
; TotalNumVgprs: 41
; ScratchSize: 0
; MemoryBound: 0
; FloatMode: 240
; IeeeMode: 1
; LDSByteSize: 7168 bytes/workgroup (compile time only)
; SGPRBlocks: 1
; VGPRBlocks: 5
; NumSGPRsForWavesPerEU: 12
; NumVGPRsForWavesPerEU: 41
; AccumOffset: 44
; Occupancy: 5
; WaveLimiterHint : 0
; COMPUTE_PGM_RSRC2:SCRATCH_EN: 0
; COMPUTE_PGM_RSRC2:USER_SGPR: 6
; COMPUTE_PGM_RSRC2:TRAP_HANDLER: 0
; COMPUTE_PGM_RSRC2:TGID_X_EN: 1
; COMPUTE_PGM_RSRC2:TGID_Y_EN: 0
; COMPUTE_PGM_RSRC2:TGID_Z_EN: 0
; COMPUTE_PGM_RSRC2:TIDIG_COMP_CNT: 0
; COMPUTE_PGM_RSRC3_GFX90A:ACCUM_OFFSET: 10
; COMPUTE_PGM_RSRC3_GFX90A:TG_SPLIT: 0
	.section	.text._ZN7rocprim17ROCPRIM_400000_NS6detail17trampoline_kernelINS0_14default_configENS1_20scan_config_selectorIxEEZZNS1_9scan_implILNS1_25lookback_scan_determinismE0ELb0ELb0ES3_N6thrust23THRUST_200600_302600_NS6detail15normal_iteratorINS9_10device_ptrIxEEEENS9_16discard_iteratorINS9_11use_defaultEEExNS9_4plusIvEExEEDaPvRmT3_T4_T5_mT6_P12ihipStream_tbENKUlT_T0_E_clISt17integral_constantIbLb1EESX_EEDaSS_ST_EUlSS_E0_NS1_11comp_targetILNS1_3genE3ELNS1_11target_archE908ELNS1_3gpuE7ELNS1_3repE0EEENS1_30default_config_static_selectorELNS0_4arch9wavefront6targetE1EEEvT1_,"axG",@progbits,_ZN7rocprim17ROCPRIM_400000_NS6detail17trampoline_kernelINS0_14default_configENS1_20scan_config_selectorIxEEZZNS1_9scan_implILNS1_25lookback_scan_determinismE0ELb0ELb0ES3_N6thrust23THRUST_200600_302600_NS6detail15normal_iteratorINS9_10device_ptrIxEEEENS9_16discard_iteratorINS9_11use_defaultEEExNS9_4plusIvEExEEDaPvRmT3_T4_T5_mT6_P12ihipStream_tbENKUlT_T0_E_clISt17integral_constantIbLb1EESX_EEDaSS_ST_EUlSS_E0_NS1_11comp_targetILNS1_3genE3ELNS1_11target_archE908ELNS1_3gpuE7ELNS1_3repE0EEENS1_30default_config_static_selectorELNS0_4arch9wavefront6targetE1EEEvT1_,comdat
	.protected	_ZN7rocprim17ROCPRIM_400000_NS6detail17trampoline_kernelINS0_14default_configENS1_20scan_config_selectorIxEEZZNS1_9scan_implILNS1_25lookback_scan_determinismE0ELb0ELb0ES3_N6thrust23THRUST_200600_302600_NS6detail15normal_iteratorINS9_10device_ptrIxEEEENS9_16discard_iteratorINS9_11use_defaultEEExNS9_4plusIvEExEEDaPvRmT3_T4_T5_mT6_P12ihipStream_tbENKUlT_T0_E_clISt17integral_constantIbLb1EESX_EEDaSS_ST_EUlSS_E0_NS1_11comp_targetILNS1_3genE3ELNS1_11target_archE908ELNS1_3gpuE7ELNS1_3repE0EEENS1_30default_config_static_selectorELNS0_4arch9wavefront6targetE1EEEvT1_ ; -- Begin function _ZN7rocprim17ROCPRIM_400000_NS6detail17trampoline_kernelINS0_14default_configENS1_20scan_config_selectorIxEEZZNS1_9scan_implILNS1_25lookback_scan_determinismE0ELb0ELb0ES3_N6thrust23THRUST_200600_302600_NS6detail15normal_iteratorINS9_10device_ptrIxEEEENS9_16discard_iteratorINS9_11use_defaultEEExNS9_4plusIvEExEEDaPvRmT3_T4_T5_mT6_P12ihipStream_tbENKUlT_T0_E_clISt17integral_constantIbLb1EESX_EEDaSS_ST_EUlSS_E0_NS1_11comp_targetILNS1_3genE3ELNS1_11target_archE908ELNS1_3gpuE7ELNS1_3repE0EEENS1_30default_config_static_selectorELNS0_4arch9wavefront6targetE1EEEvT1_
	.globl	_ZN7rocprim17ROCPRIM_400000_NS6detail17trampoline_kernelINS0_14default_configENS1_20scan_config_selectorIxEEZZNS1_9scan_implILNS1_25lookback_scan_determinismE0ELb0ELb0ES3_N6thrust23THRUST_200600_302600_NS6detail15normal_iteratorINS9_10device_ptrIxEEEENS9_16discard_iteratorINS9_11use_defaultEEExNS9_4plusIvEExEEDaPvRmT3_T4_T5_mT6_P12ihipStream_tbENKUlT_T0_E_clISt17integral_constantIbLb1EESX_EEDaSS_ST_EUlSS_E0_NS1_11comp_targetILNS1_3genE3ELNS1_11target_archE908ELNS1_3gpuE7ELNS1_3repE0EEENS1_30default_config_static_selectorELNS0_4arch9wavefront6targetE1EEEvT1_
	.p2align	8
	.type	_ZN7rocprim17ROCPRIM_400000_NS6detail17trampoline_kernelINS0_14default_configENS1_20scan_config_selectorIxEEZZNS1_9scan_implILNS1_25lookback_scan_determinismE0ELb0ELb0ES3_N6thrust23THRUST_200600_302600_NS6detail15normal_iteratorINS9_10device_ptrIxEEEENS9_16discard_iteratorINS9_11use_defaultEEExNS9_4plusIvEExEEDaPvRmT3_T4_T5_mT6_P12ihipStream_tbENKUlT_T0_E_clISt17integral_constantIbLb1EESX_EEDaSS_ST_EUlSS_E0_NS1_11comp_targetILNS1_3genE3ELNS1_11target_archE908ELNS1_3gpuE7ELNS1_3repE0EEENS1_30default_config_static_selectorELNS0_4arch9wavefront6targetE1EEEvT1_,@function
_ZN7rocprim17ROCPRIM_400000_NS6detail17trampoline_kernelINS0_14default_configENS1_20scan_config_selectorIxEEZZNS1_9scan_implILNS1_25lookback_scan_determinismE0ELb0ELb0ES3_N6thrust23THRUST_200600_302600_NS6detail15normal_iteratorINS9_10device_ptrIxEEEENS9_16discard_iteratorINS9_11use_defaultEEExNS9_4plusIvEExEEDaPvRmT3_T4_T5_mT6_P12ihipStream_tbENKUlT_T0_E_clISt17integral_constantIbLb1EESX_EEDaSS_ST_EUlSS_E0_NS1_11comp_targetILNS1_3genE3ELNS1_11target_archE908ELNS1_3gpuE7ELNS1_3repE0EEENS1_30default_config_static_selectorELNS0_4arch9wavefront6targetE1EEEvT1_: ; @_ZN7rocprim17ROCPRIM_400000_NS6detail17trampoline_kernelINS0_14default_configENS1_20scan_config_selectorIxEEZZNS1_9scan_implILNS1_25lookback_scan_determinismE0ELb0ELb0ES3_N6thrust23THRUST_200600_302600_NS6detail15normal_iteratorINS9_10device_ptrIxEEEENS9_16discard_iteratorINS9_11use_defaultEEExNS9_4plusIvEExEEDaPvRmT3_T4_T5_mT6_P12ihipStream_tbENKUlT_T0_E_clISt17integral_constantIbLb1EESX_EEDaSS_ST_EUlSS_E0_NS1_11comp_targetILNS1_3genE3ELNS1_11target_archE908ELNS1_3gpuE7ELNS1_3repE0EEENS1_30default_config_static_selectorELNS0_4arch9wavefront6targetE1EEEvT1_
; %bb.0:
	.section	.rodata,"a",@progbits
	.p2align	6, 0x0
	.amdhsa_kernel _ZN7rocprim17ROCPRIM_400000_NS6detail17trampoline_kernelINS0_14default_configENS1_20scan_config_selectorIxEEZZNS1_9scan_implILNS1_25lookback_scan_determinismE0ELb0ELb0ES3_N6thrust23THRUST_200600_302600_NS6detail15normal_iteratorINS9_10device_ptrIxEEEENS9_16discard_iteratorINS9_11use_defaultEEExNS9_4plusIvEExEEDaPvRmT3_T4_T5_mT6_P12ihipStream_tbENKUlT_T0_E_clISt17integral_constantIbLb1EESX_EEDaSS_ST_EUlSS_E0_NS1_11comp_targetILNS1_3genE3ELNS1_11target_archE908ELNS1_3gpuE7ELNS1_3repE0EEENS1_30default_config_static_selectorELNS0_4arch9wavefront6targetE1EEEvT1_
		.amdhsa_group_segment_fixed_size 0
		.amdhsa_private_segment_fixed_size 0
		.amdhsa_kernarg_size 48
		.amdhsa_user_sgpr_count 6
		.amdhsa_user_sgpr_private_segment_buffer 1
		.amdhsa_user_sgpr_dispatch_ptr 0
		.amdhsa_user_sgpr_queue_ptr 0
		.amdhsa_user_sgpr_kernarg_segment_ptr 1
		.amdhsa_user_sgpr_dispatch_id 0
		.amdhsa_user_sgpr_flat_scratch_init 0
		.amdhsa_user_sgpr_kernarg_preload_length 0
		.amdhsa_user_sgpr_kernarg_preload_offset 0
		.amdhsa_user_sgpr_private_segment_size 0
		.amdhsa_uses_dynamic_stack 0
		.amdhsa_system_sgpr_private_segment_wavefront_offset 0
		.amdhsa_system_sgpr_workgroup_id_x 1
		.amdhsa_system_sgpr_workgroup_id_y 0
		.amdhsa_system_sgpr_workgroup_id_z 0
		.amdhsa_system_sgpr_workgroup_info 0
		.amdhsa_system_vgpr_workitem_id 0
		.amdhsa_next_free_vgpr 1
		.amdhsa_next_free_sgpr 0
		.amdhsa_accum_offset 4
		.amdhsa_reserve_vcc 0
		.amdhsa_reserve_flat_scratch 0
		.amdhsa_float_round_mode_32 0
		.amdhsa_float_round_mode_16_64 0
		.amdhsa_float_denorm_mode_32 3
		.amdhsa_float_denorm_mode_16_64 3
		.amdhsa_dx10_clamp 1
		.amdhsa_ieee_mode 1
		.amdhsa_fp16_overflow 0
		.amdhsa_tg_split 0
		.amdhsa_exception_fp_ieee_invalid_op 0
		.amdhsa_exception_fp_denorm_src 0
		.amdhsa_exception_fp_ieee_div_zero 0
		.amdhsa_exception_fp_ieee_overflow 0
		.amdhsa_exception_fp_ieee_underflow 0
		.amdhsa_exception_fp_ieee_inexact 0
		.amdhsa_exception_int_div_zero 0
	.end_amdhsa_kernel
	.section	.text._ZN7rocprim17ROCPRIM_400000_NS6detail17trampoline_kernelINS0_14default_configENS1_20scan_config_selectorIxEEZZNS1_9scan_implILNS1_25lookback_scan_determinismE0ELb0ELb0ES3_N6thrust23THRUST_200600_302600_NS6detail15normal_iteratorINS9_10device_ptrIxEEEENS9_16discard_iteratorINS9_11use_defaultEEExNS9_4plusIvEExEEDaPvRmT3_T4_T5_mT6_P12ihipStream_tbENKUlT_T0_E_clISt17integral_constantIbLb1EESX_EEDaSS_ST_EUlSS_E0_NS1_11comp_targetILNS1_3genE3ELNS1_11target_archE908ELNS1_3gpuE7ELNS1_3repE0EEENS1_30default_config_static_selectorELNS0_4arch9wavefront6targetE1EEEvT1_,"axG",@progbits,_ZN7rocprim17ROCPRIM_400000_NS6detail17trampoline_kernelINS0_14default_configENS1_20scan_config_selectorIxEEZZNS1_9scan_implILNS1_25lookback_scan_determinismE0ELb0ELb0ES3_N6thrust23THRUST_200600_302600_NS6detail15normal_iteratorINS9_10device_ptrIxEEEENS9_16discard_iteratorINS9_11use_defaultEEExNS9_4plusIvEExEEDaPvRmT3_T4_T5_mT6_P12ihipStream_tbENKUlT_T0_E_clISt17integral_constantIbLb1EESX_EEDaSS_ST_EUlSS_E0_NS1_11comp_targetILNS1_3genE3ELNS1_11target_archE908ELNS1_3gpuE7ELNS1_3repE0EEENS1_30default_config_static_selectorELNS0_4arch9wavefront6targetE1EEEvT1_,comdat
.Lfunc_end5612:
	.size	_ZN7rocprim17ROCPRIM_400000_NS6detail17trampoline_kernelINS0_14default_configENS1_20scan_config_selectorIxEEZZNS1_9scan_implILNS1_25lookback_scan_determinismE0ELb0ELb0ES3_N6thrust23THRUST_200600_302600_NS6detail15normal_iteratorINS9_10device_ptrIxEEEENS9_16discard_iteratorINS9_11use_defaultEEExNS9_4plusIvEExEEDaPvRmT3_T4_T5_mT6_P12ihipStream_tbENKUlT_T0_E_clISt17integral_constantIbLb1EESX_EEDaSS_ST_EUlSS_E0_NS1_11comp_targetILNS1_3genE3ELNS1_11target_archE908ELNS1_3gpuE7ELNS1_3repE0EEENS1_30default_config_static_selectorELNS0_4arch9wavefront6targetE1EEEvT1_, .Lfunc_end5612-_ZN7rocprim17ROCPRIM_400000_NS6detail17trampoline_kernelINS0_14default_configENS1_20scan_config_selectorIxEEZZNS1_9scan_implILNS1_25lookback_scan_determinismE0ELb0ELb0ES3_N6thrust23THRUST_200600_302600_NS6detail15normal_iteratorINS9_10device_ptrIxEEEENS9_16discard_iteratorINS9_11use_defaultEEExNS9_4plusIvEExEEDaPvRmT3_T4_T5_mT6_P12ihipStream_tbENKUlT_T0_E_clISt17integral_constantIbLb1EESX_EEDaSS_ST_EUlSS_E0_NS1_11comp_targetILNS1_3genE3ELNS1_11target_archE908ELNS1_3gpuE7ELNS1_3repE0EEENS1_30default_config_static_selectorELNS0_4arch9wavefront6targetE1EEEvT1_
                                        ; -- End function
	.section	.AMDGPU.csdata,"",@progbits
; Kernel info:
; codeLenInByte = 0
; NumSgprs: 4
; NumVgprs: 0
; NumAgprs: 0
; TotalNumVgprs: 0
; ScratchSize: 0
; MemoryBound: 0
; FloatMode: 240
; IeeeMode: 1
; LDSByteSize: 0 bytes/workgroup (compile time only)
; SGPRBlocks: 0
; VGPRBlocks: 0
; NumSGPRsForWavesPerEU: 4
; NumVGPRsForWavesPerEU: 1
; AccumOffset: 4
; Occupancy: 8
; WaveLimiterHint : 0
; COMPUTE_PGM_RSRC2:SCRATCH_EN: 0
; COMPUTE_PGM_RSRC2:USER_SGPR: 6
; COMPUTE_PGM_RSRC2:TRAP_HANDLER: 0
; COMPUTE_PGM_RSRC2:TGID_X_EN: 1
; COMPUTE_PGM_RSRC2:TGID_Y_EN: 0
; COMPUTE_PGM_RSRC2:TGID_Z_EN: 0
; COMPUTE_PGM_RSRC2:TIDIG_COMP_CNT: 0
; COMPUTE_PGM_RSRC3_GFX90A:ACCUM_OFFSET: 0
; COMPUTE_PGM_RSRC3_GFX90A:TG_SPLIT: 0
	.section	.text._ZN7rocprim17ROCPRIM_400000_NS6detail17trampoline_kernelINS0_14default_configENS1_20scan_config_selectorIxEEZZNS1_9scan_implILNS1_25lookback_scan_determinismE0ELb0ELb0ES3_N6thrust23THRUST_200600_302600_NS6detail15normal_iteratorINS9_10device_ptrIxEEEENS9_16discard_iteratorINS9_11use_defaultEEExNS9_4plusIvEExEEDaPvRmT3_T4_T5_mT6_P12ihipStream_tbENKUlT_T0_E_clISt17integral_constantIbLb1EESX_EEDaSS_ST_EUlSS_E0_NS1_11comp_targetILNS1_3genE2ELNS1_11target_archE906ELNS1_3gpuE6ELNS1_3repE0EEENS1_30default_config_static_selectorELNS0_4arch9wavefront6targetE1EEEvT1_,"axG",@progbits,_ZN7rocprim17ROCPRIM_400000_NS6detail17trampoline_kernelINS0_14default_configENS1_20scan_config_selectorIxEEZZNS1_9scan_implILNS1_25lookback_scan_determinismE0ELb0ELb0ES3_N6thrust23THRUST_200600_302600_NS6detail15normal_iteratorINS9_10device_ptrIxEEEENS9_16discard_iteratorINS9_11use_defaultEEExNS9_4plusIvEExEEDaPvRmT3_T4_T5_mT6_P12ihipStream_tbENKUlT_T0_E_clISt17integral_constantIbLb1EESX_EEDaSS_ST_EUlSS_E0_NS1_11comp_targetILNS1_3genE2ELNS1_11target_archE906ELNS1_3gpuE6ELNS1_3repE0EEENS1_30default_config_static_selectorELNS0_4arch9wavefront6targetE1EEEvT1_,comdat
	.protected	_ZN7rocprim17ROCPRIM_400000_NS6detail17trampoline_kernelINS0_14default_configENS1_20scan_config_selectorIxEEZZNS1_9scan_implILNS1_25lookback_scan_determinismE0ELb0ELb0ES3_N6thrust23THRUST_200600_302600_NS6detail15normal_iteratorINS9_10device_ptrIxEEEENS9_16discard_iteratorINS9_11use_defaultEEExNS9_4plusIvEExEEDaPvRmT3_T4_T5_mT6_P12ihipStream_tbENKUlT_T0_E_clISt17integral_constantIbLb1EESX_EEDaSS_ST_EUlSS_E0_NS1_11comp_targetILNS1_3genE2ELNS1_11target_archE906ELNS1_3gpuE6ELNS1_3repE0EEENS1_30default_config_static_selectorELNS0_4arch9wavefront6targetE1EEEvT1_ ; -- Begin function _ZN7rocprim17ROCPRIM_400000_NS6detail17trampoline_kernelINS0_14default_configENS1_20scan_config_selectorIxEEZZNS1_9scan_implILNS1_25lookback_scan_determinismE0ELb0ELb0ES3_N6thrust23THRUST_200600_302600_NS6detail15normal_iteratorINS9_10device_ptrIxEEEENS9_16discard_iteratorINS9_11use_defaultEEExNS9_4plusIvEExEEDaPvRmT3_T4_T5_mT6_P12ihipStream_tbENKUlT_T0_E_clISt17integral_constantIbLb1EESX_EEDaSS_ST_EUlSS_E0_NS1_11comp_targetILNS1_3genE2ELNS1_11target_archE906ELNS1_3gpuE6ELNS1_3repE0EEENS1_30default_config_static_selectorELNS0_4arch9wavefront6targetE1EEEvT1_
	.globl	_ZN7rocprim17ROCPRIM_400000_NS6detail17trampoline_kernelINS0_14default_configENS1_20scan_config_selectorIxEEZZNS1_9scan_implILNS1_25lookback_scan_determinismE0ELb0ELb0ES3_N6thrust23THRUST_200600_302600_NS6detail15normal_iteratorINS9_10device_ptrIxEEEENS9_16discard_iteratorINS9_11use_defaultEEExNS9_4plusIvEExEEDaPvRmT3_T4_T5_mT6_P12ihipStream_tbENKUlT_T0_E_clISt17integral_constantIbLb1EESX_EEDaSS_ST_EUlSS_E0_NS1_11comp_targetILNS1_3genE2ELNS1_11target_archE906ELNS1_3gpuE6ELNS1_3repE0EEENS1_30default_config_static_selectorELNS0_4arch9wavefront6targetE1EEEvT1_
	.p2align	8
	.type	_ZN7rocprim17ROCPRIM_400000_NS6detail17trampoline_kernelINS0_14default_configENS1_20scan_config_selectorIxEEZZNS1_9scan_implILNS1_25lookback_scan_determinismE0ELb0ELb0ES3_N6thrust23THRUST_200600_302600_NS6detail15normal_iteratorINS9_10device_ptrIxEEEENS9_16discard_iteratorINS9_11use_defaultEEExNS9_4plusIvEExEEDaPvRmT3_T4_T5_mT6_P12ihipStream_tbENKUlT_T0_E_clISt17integral_constantIbLb1EESX_EEDaSS_ST_EUlSS_E0_NS1_11comp_targetILNS1_3genE2ELNS1_11target_archE906ELNS1_3gpuE6ELNS1_3repE0EEENS1_30default_config_static_selectorELNS0_4arch9wavefront6targetE1EEEvT1_,@function
_ZN7rocprim17ROCPRIM_400000_NS6detail17trampoline_kernelINS0_14default_configENS1_20scan_config_selectorIxEEZZNS1_9scan_implILNS1_25lookback_scan_determinismE0ELb0ELb0ES3_N6thrust23THRUST_200600_302600_NS6detail15normal_iteratorINS9_10device_ptrIxEEEENS9_16discard_iteratorINS9_11use_defaultEEExNS9_4plusIvEExEEDaPvRmT3_T4_T5_mT6_P12ihipStream_tbENKUlT_T0_E_clISt17integral_constantIbLb1EESX_EEDaSS_ST_EUlSS_E0_NS1_11comp_targetILNS1_3genE2ELNS1_11target_archE906ELNS1_3gpuE6ELNS1_3repE0EEENS1_30default_config_static_selectorELNS0_4arch9wavefront6targetE1EEEvT1_: ; @_ZN7rocprim17ROCPRIM_400000_NS6detail17trampoline_kernelINS0_14default_configENS1_20scan_config_selectorIxEEZZNS1_9scan_implILNS1_25lookback_scan_determinismE0ELb0ELb0ES3_N6thrust23THRUST_200600_302600_NS6detail15normal_iteratorINS9_10device_ptrIxEEEENS9_16discard_iteratorINS9_11use_defaultEEExNS9_4plusIvEExEEDaPvRmT3_T4_T5_mT6_P12ihipStream_tbENKUlT_T0_E_clISt17integral_constantIbLb1EESX_EEDaSS_ST_EUlSS_E0_NS1_11comp_targetILNS1_3genE2ELNS1_11target_archE906ELNS1_3gpuE6ELNS1_3repE0EEENS1_30default_config_static_selectorELNS0_4arch9wavefront6targetE1EEEvT1_
; %bb.0:
	.section	.rodata,"a",@progbits
	.p2align	6, 0x0
	.amdhsa_kernel _ZN7rocprim17ROCPRIM_400000_NS6detail17trampoline_kernelINS0_14default_configENS1_20scan_config_selectorIxEEZZNS1_9scan_implILNS1_25lookback_scan_determinismE0ELb0ELb0ES3_N6thrust23THRUST_200600_302600_NS6detail15normal_iteratorINS9_10device_ptrIxEEEENS9_16discard_iteratorINS9_11use_defaultEEExNS9_4plusIvEExEEDaPvRmT3_T4_T5_mT6_P12ihipStream_tbENKUlT_T0_E_clISt17integral_constantIbLb1EESX_EEDaSS_ST_EUlSS_E0_NS1_11comp_targetILNS1_3genE2ELNS1_11target_archE906ELNS1_3gpuE6ELNS1_3repE0EEENS1_30default_config_static_selectorELNS0_4arch9wavefront6targetE1EEEvT1_
		.amdhsa_group_segment_fixed_size 0
		.amdhsa_private_segment_fixed_size 0
		.amdhsa_kernarg_size 48
		.amdhsa_user_sgpr_count 6
		.amdhsa_user_sgpr_private_segment_buffer 1
		.amdhsa_user_sgpr_dispatch_ptr 0
		.amdhsa_user_sgpr_queue_ptr 0
		.amdhsa_user_sgpr_kernarg_segment_ptr 1
		.amdhsa_user_sgpr_dispatch_id 0
		.amdhsa_user_sgpr_flat_scratch_init 0
		.amdhsa_user_sgpr_kernarg_preload_length 0
		.amdhsa_user_sgpr_kernarg_preload_offset 0
		.amdhsa_user_sgpr_private_segment_size 0
		.amdhsa_uses_dynamic_stack 0
		.amdhsa_system_sgpr_private_segment_wavefront_offset 0
		.amdhsa_system_sgpr_workgroup_id_x 1
		.amdhsa_system_sgpr_workgroup_id_y 0
		.amdhsa_system_sgpr_workgroup_id_z 0
		.amdhsa_system_sgpr_workgroup_info 0
		.amdhsa_system_vgpr_workitem_id 0
		.amdhsa_next_free_vgpr 1
		.amdhsa_next_free_sgpr 0
		.amdhsa_accum_offset 4
		.amdhsa_reserve_vcc 0
		.amdhsa_reserve_flat_scratch 0
		.amdhsa_float_round_mode_32 0
		.amdhsa_float_round_mode_16_64 0
		.amdhsa_float_denorm_mode_32 3
		.amdhsa_float_denorm_mode_16_64 3
		.amdhsa_dx10_clamp 1
		.amdhsa_ieee_mode 1
		.amdhsa_fp16_overflow 0
		.amdhsa_tg_split 0
		.amdhsa_exception_fp_ieee_invalid_op 0
		.amdhsa_exception_fp_denorm_src 0
		.amdhsa_exception_fp_ieee_div_zero 0
		.amdhsa_exception_fp_ieee_overflow 0
		.amdhsa_exception_fp_ieee_underflow 0
		.amdhsa_exception_fp_ieee_inexact 0
		.amdhsa_exception_int_div_zero 0
	.end_amdhsa_kernel
	.section	.text._ZN7rocprim17ROCPRIM_400000_NS6detail17trampoline_kernelINS0_14default_configENS1_20scan_config_selectorIxEEZZNS1_9scan_implILNS1_25lookback_scan_determinismE0ELb0ELb0ES3_N6thrust23THRUST_200600_302600_NS6detail15normal_iteratorINS9_10device_ptrIxEEEENS9_16discard_iteratorINS9_11use_defaultEEExNS9_4plusIvEExEEDaPvRmT3_T4_T5_mT6_P12ihipStream_tbENKUlT_T0_E_clISt17integral_constantIbLb1EESX_EEDaSS_ST_EUlSS_E0_NS1_11comp_targetILNS1_3genE2ELNS1_11target_archE906ELNS1_3gpuE6ELNS1_3repE0EEENS1_30default_config_static_selectorELNS0_4arch9wavefront6targetE1EEEvT1_,"axG",@progbits,_ZN7rocprim17ROCPRIM_400000_NS6detail17trampoline_kernelINS0_14default_configENS1_20scan_config_selectorIxEEZZNS1_9scan_implILNS1_25lookback_scan_determinismE0ELb0ELb0ES3_N6thrust23THRUST_200600_302600_NS6detail15normal_iteratorINS9_10device_ptrIxEEEENS9_16discard_iteratorINS9_11use_defaultEEExNS9_4plusIvEExEEDaPvRmT3_T4_T5_mT6_P12ihipStream_tbENKUlT_T0_E_clISt17integral_constantIbLb1EESX_EEDaSS_ST_EUlSS_E0_NS1_11comp_targetILNS1_3genE2ELNS1_11target_archE906ELNS1_3gpuE6ELNS1_3repE0EEENS1_30default_config_static_selectorELNS0_4arch9wavefront6targetE1EEEvT1_,comdat
.Lfunc_end5613:
	.size	_ZN7rocprim17ROCPRIM_400000_NS6detail17trampoline_kernelINS0_14default_configENS1_20scan_config_selectorIxEEZZNS1_9scan_implILNS1_25lookback_scan_determinismE0ELb0ELb0ES3_N6thrust23THRUST_200600_302600_NS6detail15normal_iteratorINS9_10device_ptrIxEEEENS9_16discard_iteratorINS9_11use_defaultEEExNS9_4plusIvEExEEDaPvRmT3_T4_T5_mT6_P12ihipStream_tbENKUlT_T0_E_clISt17integral_constantIbLb1EESX_EEDaSS_ST_EUlSS_E0_NS1_11comp_targetILNS1_3genE2ELNS1_11target_archE906ELNS1_3gpuE6ELNS1_3repE0EEENS1_30default_config_static_selectorELNS0_4arch9wavefront6targetE1EEEvT1_, .Lfunc_end5613-_ZN7rocprim17ROCPRIM_400000_NS6detail17trampoline_kernelINS0_14default_configENS1_20scan_config_selectorIxEEZZNS1_9scan_implILNS1_25lookback_scan_determinismE0ELb0ELb0ES3_N6thrust23THRUST_200600_302600_NS6detail15normal_iteratorINS9_10device_ptrIxEEEENS9_16discard_iteratorINS9_11use_defaultEEExNS9_4plusIvEExEEDaPvRmT3_T4_T5_mT6_P12ihipStream_tbENKUlT_T0_E_clISt17integral_constantIbLb1EESX_EEDaSS_ST_EUlSS_E0_NS1_11comp_targetILNS1_3genE2ELNS1_11target_archE906ELNS1_3gpuE6ELNS1_3repE0EEENS1_30default_config_static_selectorELNS0_4arch9wavefront6targetE1EEEvT1_
                                        ; -- End function
	.section	.AMDGPU.csdata,"",@progbits
; Kernel info:
; codeLenInByte = 0
; NumSgprs: 4
; NumVgprs: 0
; NumAgprs: 0
; TotalNumVgprs: 0
; ScratchSize: 0
; MemoryBound: 0
; FloatMode: 240
; IeeeMode: 1
; LDSByteSize: 0 bytes/workgroup (compile time only)
; SGPRBlocks: 0
; VGPRBlocks: 0
; NumSGPRsForWavesPerEU: 4
; NumVGPRsForWavesPerEU: 1
; AccumOffset: 4
; Occupancy: 8
; WaveLimiterHint : 0
; COMPUTE_PGM_RSRC2:SCRATCH_EN: 0
; COMPUTE_PGM_RSRC2:USER_SGPR: 6
; COMPUTE_PGM_RSRC2:TRAP_HANDLER: 0
; COMPUTE_PGM_RSRC2:TGID_X_EN: 1
; COMPUTE_PGM_RSRC2:TGID_Y_EN: 0
; COMPUTE_PGM_RSRC2:TGID_Z_EN: 0
; COMPUTE_PGM_RSRC2:TIDIG_COMP_CNT: 0
; COMPUTE_PGM_RSRC3_GFX90A:ACCUM_OFFSET: 0
; COMPUTE_PGM_RSRC3_GFX90A:TG_SPLIT: 0
	.section	.text._ZN7rocprim17ROCPRIM_400000_NS6detail17trampoline_kernelINS0_14default_configENS1_20scan_config_selectorIxEEZZNS1_9scan_implILNS1_25lookback_scan_determinismE0ELb0ELb0ES3_N6thrust23THRUST_200600_302600_NS6detail15normal_iteratorINS9_10device_ptrIxEEEENS9_16discard_iteratorINS9_11use_defaultEEExNS9_4plusIvEExEEDaPvRmT3_T4_T5_mT6_P12ihipStream_tbENKUlT_T0_E_clISt17integral_constantIbLb1EESX_EEDaSS_ST_EUlSS_E0_NS1_11comp_targetILNS1_3genE10ELNS1_11target_archE1201ELNS1_3gpuE5ELNS1_3repE0EEENS1_30default_config_static_selectorELNS0_4arch9wavefront6targetE1EEEvT1_,"axG",@progbits,_ZN7rocprim17ROCPRIM_400000_NS6detail17trampoline_kernelINS0_14default_configENS1_20scan_config_selectorIxEEZZNS1_9scan_implILNS1_25lookback_scan_determinismE0ELb0ELb0ES3_N6thrust23THRUST_200600_302600_NS6detail15normal_iteratorINS9_10device_ptrIxEEEENS9_16discard_iteratorINS9_11use_defaultEEExNS9_4plusIvEExEEDaPvRmT3_T4_T5_mT6_P12ihipStream_tbENKUlT_T0_E_clISt17integral_constantIbLb1EESX_EEDaSS_ST_EUlSS_E0_NS1_11comp_targetILNS1_3genE10ELNS1_11target_archE1201ELNS1_3gpuE5ELNS1_3repE0EEENS1_30default_config_static_selectorELNS0_4arch9wavefront6targetE1EEEvT1_,comdat
	.protected	_ZN7rocprim17ROCPRIM_400000_NS6detail17trampoline_kernelINS0_14default_configENS1_20scan_config_selectorIxEEZZNS1_9scan_implILNS1_25lookback_scan_determinismE0ELb0ELb0ES3_N6thrust23THRUST_200600_302600_NS6detail15normal_iteratorINS9_10device_ptrIxEEEENS9_16discard_iteratorINS9_11use_defaultEEExNS9_4plusIvEExEEDaPvRmT3_T4_T5_mT6_P12ihipStream_tbENKUlT_T0_E_clISt17integral_constantIbLb1EESX_EEDaSS_ST_EUlSS_E0_NS1_11comp_targetILNS1_3genE10ELNS1_11target_archE1201ELNS1_3gpuE5ELNS1_3repE0EEENS1_30default_config_static_selectorELNS0_4arch9wavefront6targetE1EEEvT1_ ; -- Begin function _ZN7rocprim17ROCPRIM_400000_NS6detail17trampoline_kernelINS0_14default_configENS1_20scan_config_selectorIxEEZZNS1_9scan_implILNS1_25lookback_scan_determinismE0ELb0ELb0ES3_N6thrust23THRUST_200600_302600_NS6detail15normal_iteratorINS9_10device_ptrIxEEEENS9_16discard_iteratorINS9_11use_defaultEEExNS9_4plusIvEExEEDaPvRmT3_T4_T5_mT6_P12ihipStream_tbENKUlT_T0_E_clISt17integral_constantIbLb1EESX_EEDaSS_ST_EUlSS_E0_NS1_11comp_targetILNS1_3genE10ELNS1_11target_archE1201ELNS1_3gpuE5ELNS1_3repE0EEENS1_30default_config_static_selectorELNS0_4arch9wavefront6targetE1EEEvT1_
	.globl	_ZN7rocprim17ROCPRIM_400000_NS6detail17trampoline_kernelINS0_14default_configENS1_20scan_config_selectorIxEEZZNS1_9scan_implILNS1_25lookback_scan_determinismE0ELb0ELb0ES3_N6thrust23THRUST_200600_302600_NS6detail15normal_iteratorINS9_10device_ptrIxEEEENS9_16discard_iteratorINS9_11use_defaultEEExNS9_4plusIvEExEEDaPvRmT3_T4_T5_mT6_P12ihipStream_tbENKUlT_T0_E_clISt17integral_constantIbLb1EESX_EEDaSS_ST_EUlSS_E0_NS1_11comp_targetILNS1_3genE10ELNS1_11target_archE1201ELNS1_3gpuE5ELNS1_3repE0EEENS1_30default_config_static_selectorELNS0_4arch9wavefront6targetE1EEEvT1_
	.p2align	8
	.type	_ZN7rocprim17ROCPRIM_400000_NS6detail17trampoline_kernelINS0_14default_configENS1_20scan_config_selectorIxEEZZNS1_9scan_implILNS1_25lookback_scan_determinismE0ELb0ELb0ES3_N6thrust23THRUST_200600_302600_NS6detail15normal_iteratorINS9_10device_ptrIxEEEENS9_16discard_iteratorINS9_11use_defaultEEExNS9_4plusIvEExEEDaPvRmT3_T4_T5_mT6_P12ihipStream_tbENKUlT_T0_E_clISt17integral_constantIbLb1EESX_EEDaSS_ST_EUlSS_E0_NS1_11comp_targetILNS1_3genE10ELNS1_11target_archE1201ELNS1_3gpuE5ELNS1_3repE0EEENS1_30default_config_static_selectorELNS0_4arch9wavefront6targetE1EEEvT1_,@function
_ZN7rocprim17ROCPRIM_400000_NS6detail17trampoline_kernelINS0_14default_configENS1_20scan_config_selectorIxEEZZNS1_9scan_implILNS1_25lookback_scan_determinismE0ELb0ELb0ES3_N6thrust23THRUST_200600_302600_NS6detail15normal_iteratorINS9_10device_ptrIxEEEENS9_16discard_iteratorINS9_11use_defaultEEExNS9_4plusIvEExEEDaPvRmT3_T4_T5_mT6_P12ihipStream_tbENKUlT_T0_E_clISt17integral_constantIbLb1EESX_EEDaSS_ST_EUlSS_E0_NS1_11comp_targetILNS1_3genE10ELNS1_11target_archE1201ELNS1_3gpuE5ELNS1_3repE0EEENS1_30default_config_static_selectorELNS0_4arch9wavefront6targetE1EEEvT1_: ; @_ZN7rocprim17ROCPRIM_400000_NS6detail17trampoline_kernelINS0_14default_configENS1_20scan_config_selectorIxEEZZNS1_9scan_implILNS1_25lookback_scan_determinismE0ELb0ELb0ES3_N6thrust23THRUST_200600_302600_NS6detail15normal_iteratorINS9_10device_ptrIxEEEENS9_16discard_iteratorINS9_11use_defaultEEExNS9_4plusIvEExEEDaPvRmT3_T4_T5_mT6_P12ihipStream_tbENKUlT_T0_E_clISt17integral_constantIbLb1EESX_EEDaSS_ST_EUlSS_E0_NS1_11comp_targetILNS1_3genE10ELNS1_11target_archE1201ELNS1_3gpuE5ELNS1_3repE0EEENS1_30default_config_static_selectorELNS0_4arch9wavefront6targetE1EEEvT1_
; %bb.0:
	.section	.rodata,"a",@progbits
	.p2align	6, 0x0
	.amdhsa_kernel _ZN7rocprim17ROCPRIM_400000_NS6detail17trampoline_kernelINS0_14default_configENS1_20scan_config_selectorIxEEZZNS1_9scan_implILNS1_25lookback_scan_determinismE0ELb0ELb0ES3_N6thrust23THRUST_200600_302600_NS6detail15normal_iteratorINS9_10device_ptrIxEEEENS9_16discard_iteratorINS9_11use_defaultEEExNS9_4plusIvEExEEDaPvRmT3_T4_T5_mT6_P12ihipStream_tbENKUlT_T0_E_clISt17integral_constantIbLb1EESX_EEDaSS_ST_EUlSS_E0_NS1_11comp_targetILNS1_3genE10ELNS1_11target_archE1201ELNS1_3gpuE5ELNS1_3repE0EEENS1_30default_config_static_selectorELNS0_4arch9wavefront6targetE1EEEvT1_
		.amdhsa_group_segment_fixed_size 0
		.amdhsa_private_segment_fixed_size 0
		.amdhsa_kernarg_size 48
		.amdhsa_user_sgpr_count 6
		.amdhsa_user_sgpr_private_segment_buffer 1
		.amdhsa_user_sgpr_dispatch_ptr 0
		.amdhsa_user_sgpr_queue_ptr 0
		.amdhsa_user_sgpr_kernarg_segment_ptr 1
		.amdhsa_user_sgpr_dispatch_id 0
		.amdhsa_user_sgpr_flat_scratch_init 0
		.amdhsa_user_sgpr_kernarg_preload_length 0
		.amdhsa_user_sgpr_kernarg_preload_offset 0
		.amdhsa_user_sgpr_private_segment_size 0
		.amdhsa_uses_dynamic_stack 0
		.amdhsa_system_sgpr_private_segment_wavefront_offset 0
		.amdhsa_system_sgpr_workgroup_id_x 1
		.amdhsa_system_sgpr_workgroup_id_y 0
		.amdhsa_system_sgpr_workgroup_id_z 0
		.amdhsa_system_sgpr_workgroup_info 0
		.amdhsa_system_vgpr_workitem_id 0
		.amdhsa_next_free_vgpr 1
		.amdhsa_next_free_sgpr 0
		.amdhsa_accum_offset 4
		.amdhsa_reserve_vcc 0
		.amdhsa_reserve_flat_scratch 0
		.amdhsa_float_round_mode_32 0
		.amdhsa_float_round_mode_16_64 0
		.amdhsa_float_denorm_mode_32 3
		.amdhsa_float_denorm_mode_16_64 3
		.amdhsa_dx10_clamp 1
		.amdhsa_ieee_mode 1
		.amdhsa_fp16_overflow 0
		.amdhsa_tg_split 0
		.amdhsa_exception_fp_ieee_invalid_op 0
		.amdhsa_exception_fp_denorm_src 0
		.amdhsa_exception_fp_ieee_div_zero 0
		.amdhsa_exception_fp_ieee_overflow 0
		.amdhsa_exception_fp_ieee_underflow 0
		.amdhsa_exception_fp_ieee_inexact 0
		.amdhsa_exception_int_div_zero 0
	.end_amdhsa_kernel
	.section	.text._ZN7rocprim17ROCPRIM_400000_NS6detail17trampoline_kernelINS0_14default_configENS1_20scan_config_selectorIxEEZZNS1_9scan_implILNS1_25lookback_scan_determinismE0ELb0ELb0ES3_N6thrust23THRUST_200600_302600_NS6detail15normal_iteratorINS9_10device_ptrIxEEEENS9_16discard_iteratorINS9_11use_defaultEEExNS9_4plusIvEExEEDaPvRmT3_T4_T5_mT6_P12ihipStream_tbENKUlT_T0_E_clISt17integral_constantIbLb1EESX_EEDaSS_ST_EUlSS_E0_NS1_11comp_targetILNS1_3genE10ELNS1_11target_archE1201ELNS1_3gpuE5ELNS1_3repE0EEENS1_30default_config_static_selectorELNS0_4arch9wavefront6targetE1EEEvT1_,"axG",@progbits,_ZN7rocprim17ROCPRIM_400000_NS6detail17trampoline_kernelINS0_14default_configENS1_20scan_config_selectorIxEEZZNS1_9scan_implILNS1_25lookback_scan_determinismE0ELb0ELb0ES3_N6thrust23THRUST_200600_302600_NS6detail15normal_iteratorINS9_10device_ptrIxEEEENS9_16discard_iteratorINS9_11use_defaultEEExNS9_4plusIvEExEEDaPvRmT3_T4_T5_mT6_P12ihipStream_tbENKUlT_T0_E_clISt17integral_constantIbLb1EESX_EEDaSS_ST_EUlSS_E0_NS1_11comp_targetILNS1_3genE10ELNS1_11target_archE1201ELNS1_3gpuE5ELNS1_3repE0EEENS1_30default_config_static_selectorELNS0_4arch9wavefront6targetE1EEEvT1_,comdat
.Lfunc_end5614:
	.size	_ZN7rocprim17ROCPRIM_400000_NS6detail17trampoline_kernelINS0_14default_configENS1_20scan_config_selectorIxEEZZNS1_9scan_implILNS1_25lookback_scan_determinismE0ELb0ELb0ES3_N6thrust23THRUST_200600_302600_NS6detail15normal_iteratorINS9_10device_ptrIxEEEENS9_16discard_iteratorINS9_11use_defaultEEExNS9_4plusIvEExEEDaPvRmT3_T4_T5_mT6_P12ihipStream_tbENKUlT_T0_E_clISt17integral_constantIbLb1EESX_EEDaSS_ST_EUlSS_E0_NS1_11comp_targetILNS1_3genE10ELNS1_11target_archE1201ELNS1_3gpuE5ELNS1_3repE0EEENS1_30default_config_static_selectorELNS0_4arch9wavefront6targetE1EEEvT1_, .Lfunc_end5614-_ZN7rocprim17ROCPRIM_400000_NS6detail17trampoline_kernelINS0_14default_configENS1_20scan_config_selectorIxEEZZNS1_9scan_implILNS1_25lookback_scan_determinismE0ELb0ELb0ES3_N6thrust23THRUST_200600_302600_NS6detail15normal_iteratorINS9_10device_ptrIxEEEENS9_16discard_iteratorINS9_11use_defaultEEExNS9_4plusIvEExEEDaPvRmT3_T4_T5_mT6_P12ihipStream_tbENKUlT_T0_E_clISt17integral_constantIbLb1EESX_EEDaSS_ST_EUlSS_E0_NS1_11comp_targetILNS1_3genE10ELNS1_11target_archE1201ELNS1_3gpuE5ELNS1_3repE0EEENS1_30default_config_static_selectorELNS0_4arch9wavefront6targetE1EEEvT1_
                                        ; -- End function
	.section	.AMDGPU.csdata,"",@progbits
; Kernel info:
; codeLenInByte = 0
; NumSgprs: 4
; NumVgprs: 0
; NumAgprs: 0
; TotalNumVgprs: 0
; ScratchSize: 0
; MemoryBound: 0
; FloatMode: 240
; IeeeMode: 1
; LDSByteSize: 0 bytes/workgroup (compile time only)
; SGPRBlocks: 0
; VGPRBlocks: 0
; NumSGPRsForWavesPerEU: 4
; NumVGPRsForWavesPerEU: 1
; AccumOffset: 4
; Occupancy: 8
; WaveLimiterHint : 0
; COMPUTE_PGM_RSRC2:SCRATCH_EN: 0
; COMPUTE_PGM_RSRC2:USER_SGPR: 6
; COMPUTE_PGM_RSRC2:TRAP_HANDLER: 0
; COMPUTE_PGM_RSRC2:TGID_X_EN: 1
; COMPUTE_PGM_RSRC2:TGID_Y_EN: 0
; COMPUTE_PGM_RSRC2:TGID_Z_EN: 0
; COMPUTE_PGM_RSRC2:TIDIG_COMP_CNT: 0
; COMPUTE_PGM_RSRC3_GFX90A:ACCUM_OFFSET: 0
; COMPUTE_PGM_RSRC3_GFX90A:TG_SPLIT: 0
	.section	.text._ZN7rocprim17ROCPRIM_400000_NS6detail17trampoline_kernelINS0_14default_configENS1_20scan_config_selectorIxEEZZNS1_9scan_implILNS1_25lookback_scan_determinismE0ELb0ELb0ES3_N6thrust23THRUST_200600_302600_NS6detail15normal_iteratorINS9_10device_ptrIxEEEENS9_16discard_iteratorINS9_11use_defaultEEExNS9_4plusIvEExEEDaPvRmT3_T4_T5_mT6_P12ihipStream_tbENKUlT_T0_E_clISt17integral_constantIbLb1EESX_EEDaSS_ST_EUlSS_E0_NS1_11comp_targetILNS1_3genE10ELNS1_11target_archE1200ELNS1_3gpuE4ELNS1_3repE0EEENS1_30default_config_static_selectorELNS0_4arch9wavefront6targetE1EEEvT1_,"axG",@progbits,_ZN7rocprim17ROCPRIM_400000_NS6detail17trampoline_kernelINS0_14default_configENS1_20scan_config_selectorIxEEZZNS1_9scan_implILNS1_25lookback_scan_determinismE0ELb0ELb0ES3_N6thrust23THRUST_200600_302600_NS6detail15normal_iteratorINS9_10device_ptrIxEEEENS9_16discard_iteratorINS9_11use_defaultEEExNS9_4plusIvEExEEDaPvRmT3_T4_T5_mT6_P12ihipStream_tbENKUlT_T0_E_clISt17integral_constantIbLb1EESX_EEDaSS_ST_EUlSS_E0_NS1_11comp_targetILNS1_3genE10ELNS1_11target_archE1200ELNS1_3gpuE4ELNS1_3repE0EEENS1_30default_config_static_selectorELNS0_4arch9wavefront6targetE1EEEvT1_,comdat
	.protected	_ZN7rocprim17ROCPRIM_400000_NS6detail17trampoline_kernelINS0_14default_configENS1_20scan_config_selectorIxEEZZNS1_9scan_implILNS1_25lookback_scan_determinismE0ELb0ELb0ES3_N6thrust23THRUST_200600_302600_NS6detail15normal_iteratorINS9_10device_ptrIxEEEENS9_16discard_iteratorINS9_11use_defaultEEExNS9_4plusIvEExEEDaPvRmT3_T4_T5_mT6_P12ihipStream_tbENKUlT_T0_E_clISt17integral_constantIbLb1EESX_EEDaSS_ST_EUlSS_E0_NS1_11comp_targetILNS1_3genE10ELNS1_11target_archE1200ELNS1_3gpuE4ELNS1_3repE0EEENS1_30default_config_static_selectorELNS0_4arch9wavefront6targetE1EEEvT1_ ; -- Begin function _ZN7rocprim17ROCPRIM_400000_NS6detail17trampoline_kernelINS0_14default_configENS1_20scan_config_selectorIxEEZZNS1_9scan_implILNS1_25lookback_scan_determinismE0ELb0ELb0ES3_N6thrust23THRUST_200600_302600_NS6detail15normal_iteratorINS9_10device_ptrIxEEEENS9_16discard_iteratorINS9_11use_defaultEEExNS9_4plusIvEExEEDaPvRmT3_T4_T5_mT6_P12ihipStream_tbENKUlT_T0_E_clISt17integral_constantIbLb1EESX_EEDaSS_ST_EUlSS_E0_NS1_11comp_targetILNS1_3genE10ELNS1_11target_archE1200ELNS1_3gpuE4ELNS1_3repE0EEENS1_30default_config_static_selectorELNS0_4arch9wavefront6targetE1EEEvT1_
	.globl	_ZN7rocprim17ROCPRIM_400000_NS6detail17trampoline_kernelINS0_14default_configENS1_20scan_config_selectorIxEEZZNS1_9scan_implILNS1_25lookback_scan_determinismE0ELb0ELb0ES3_N6thrust23THRUST_200600_302600_NS6detail15normal_iteratorINS9_10device_ptrIxEEEENS9_16discard_iteratorINS9_11use_defaultEEExNS9_4plusIvEExEEDaPvRmT3_T4_T5_mT6_P12ihipStream_tbENKUlT_T0_E_clISt17integral_constantIbLb1EESX_EEDaSS_ST_EUlSS_E0_NS1_11comp_targetILNS1_3genE10ELNS1_11target_archE1200ELNS1_3gpuE4ELNS1_3repE0EEENS1_30default_config_static_selectorELNS0_4arch9wavefront6targetE1EEEvT1_
	.p2align	8
	.type	_ZN7rocprim17ROCPRIM_400000_NS6detail17trampoline_kernelINS0_14default_configENS1_20scan_config_selectorIxEEZZNS1_9scan_implILNS1_25lookback_scan_determinismE0ELb0ELb0ES3_N6thrust23THRUST_200600_302600_NS6detail15normal_iteratorINS9_10device_ptrIxEEEENS9_16discard_iteratorINS9_11use_defaultEEExNS9_4plusIvEExEEDaPvRmT3_T4_T5_mT6_P12ihipStream_tbENKUlT_T0_E_clISt17integral_constantIbLb1EESX_EEDaSS_ST_EUlSS_E0_NS1_11comp_targetILNS1_3genE10ELNS1_11target_archE1200ELNS1_3gpuE4ELNS1_3repE0EEENS1_30default_config_static_selectorELNS0_4arch9wavefront6targetE1EEEvT1_,@function
_ZN7rocprim17ROCPRIM_400000_NS6detail17trampoline_kernelINS0_14default_configENS1_20scan_config_selectorIxEEZZNS1_9scan_implILNS1_25lookback_scan_determinismE0ELb0ELb0ES3_N6thrust23THRUST_200600_302600_NS6detail15normal_iteratorINS9_10device_ptrIxEEEENS9_16discard_iteratorINS9_11use_defaultEEExNS9_4plusIvEExEEDaPvRmT3_T4_T5_mT6_P12ihipStream_tbENKUlT_T0_E_clISt17integral_constantIbLb1EESX_EEDaSS_ST_EUlSS_E0_NS1_11comp_targetILNS1_3genE10ELNS1_11target_archE1200ELNS1_3gpuE4ELNS1_3repE0EEENS1_30default_config_static_selectorELNS0_4arch9wavefront6targetE1EEEvT1_: ; @_ZN7rocprim17ROCPRIM_400000_NS6detail17trampoline_kernelINS0_14default_configENS1_20scan_config_selectorIxEEZZNS1_9scan_implILNS1_25lookback_scan_determinismE0ELb0ELb0ES3_N6thrust23THRUST_200600_302600_NS6detail15normal_iteratorINS9_10device_ptrIxEEEENS9_16discard_iteratorINS9_11use_defaultEEExNS9_4plusIvEExEEDaPvRmT3_T4_T5_mT6_P12ihipStream_tbENKUlT_T0_E_clISt17integral_constantIbLb1EESX_EEDaSS_ST_EUlSS_E0_NS1_11comp_targetILNS1_3genE10ELNS1_11target_archE1200ELNS1_3gpuE4ELNS1_3repE0EEENS1_30default_config_static_selectorELNS0_4arch9wavefront6targetE1EEEvT1_
; %bb.0:
	.section	.rodata,"a",@progbits
	.p2align	6, 0x0
	.amdhsa_kernel _ZN7rocprim17ROCPRIM_400000_NS6detail17trampoline_kernelINS0_14default_configENS1_20scan_config_selectorIxEEZZNS1_9scan_implILNS1_25lookback_scan_determinismE0ELb0ELb0ES3_N6thrust23THRUST_200600_302600_NS6detail15normal_iteratorINS9_10device_ptrIxEEEENS9_16discard_iteratorINS9_11use_defaultEEExNS9_4plusIvEExEEDaPvRmT3_T4_T5_mT6_P12ihipStream_tbENKUlT_T0_E_clISt17integral_constantIbLb1EESX_EEDaSS_ST_EUlSS_E0_NS1_11comp_targetILNS1_3genE10ELNS1_11target_archE1200ELNS1_3gpuE4ELNS1_3repE0EEENS1_30default_config_static_selectorELNS0_4arch9wavefront6targetE1EEEvT1_
		.amdhsa_group_segment_fixed_size 0
		.amdhsa_private_segment_fixed_size 0
		.amdhsa_kernarg_size 48
		.amdhsa_user_sgpr_count 6
		.amdhsa_user_sgpr_private_segment_buffer 1
		.amdhsa_user_sgpr_dispatch_ptr 0
		.amdhsa_user_sgpr_queue_ptr 0
		.amdhsa_user_sgpr_kernarg_segment_ptr 1
		.amdhsa_user_sgpr_dispatch_id 0
		.amdhsa_user_sgpr_flat_scratch_init 0
		.amdhsa_user_sgpr_kernarg_preload_length 0
		.amdhsa_user_sgpr_kernarg_preload_offset 0
		.amdhsa_user_sgpr_private_segment_size 0
		.amdhsa_uses_dynamic_stack 0
		.amdhsa_system_sgpr_private_segment_wavefront_offset 0
		.amdhsa_system_sgpr_workgroup_id_x 1
		.amdhsa_system_sgpr_workgroup_id_y 0
		.amdhsa_system_sgpr_workgroup_id_z 0
		.amdhsa_system_sgpr_workgroup_info 0
		.amdhsa_system_vgpr_workitem_id 0
		.amdhsa_next_free_vgpr 1
		.amdhsa_next_free_sgpr 0
		.amdhsa_accum_offset 4
		.amdhsa_reserve_vcc 0
		.amdhsa_reserve_flat_scratch 0
		.amdhsa_float_round_mode_32 0
		.amdhsa_float_round_mode_16_64 0
		.amdhsa_float_denorm_mode_32 3
		.amdhsa_float_denorm_mode_16_64 3
		.amdhsa_dx10_clamp 1
		.amdhsa_ieee_mode 1
		.amdhsa_fp16_overflow 0
		.amdhsa_tg_split 0
		.amdhsa_exception_fp_ieee_invalid_op 0
		.amdhsa_exception_fp_denorm_src 0
		.amdhsa_exception_fp_ieee_div_zero 0
		.amdhsa_exception_fp_ieee_overflow 0
		.amdhsa_exception_fp_ieee_underflow 0
		.amdhsa_exception_fp_ieee_inexact 0
		.amdhsa_exception_int_div_zero 0
	.end_amdhsa_kernel
	.section	.text._ZN7rocprim17ROCPRIM_400000_NS6detail17trampoline_kernelINS0_14default_configENS1_20scan_config_selectorIxEEZZNS1_9scan_implILNS1_25lookback_scan_determinismE0ELb0ELb0ES3_N6thrust23THRUST_200600_302600_NS6detail15normal_iteratorINS9_10device_ptrIxEEEENS9_16discard_iteratorINS9_11use_defaultEEExNS9_4plusIvEExEEDaPvRmT3_T4_T5_mT6_P12ihipStream_tbENKUlT_T0_E_clISt17integral_constantIbLb1EESX_EEDaSS_ST_EUlSS_E0_NS1_11comp_targetILNS1_3genE10ELNS1_11target_archE1200ELNS1_3gpuE4ELNS1_3repE0EEENS1_30default_config_static_selectorELNS0_4arch9wavefront6targetE1EEEvT1_,"axG",@progbits,_ZN7rocprim17ROCPRIM_400000_NS6detail17trampoline_kernelINS0_14default_configENS1_20scan_config_selectorIxEEZZNS1_9scan_implILNS1_25lookback_scan_determinismE0ELb0ELb0ES3_N6thrust23THRUST_200600_302600_NS6detail15normal_iteratorINS9_10device_ptrIxEEEENS9_16discard_iteratorINS9_11use_defaultEEExNS9_4plusIvEExEEDaPvRmT3_T4_T5_mT6_P12ihipStream_tbENKUlT_T0_E_clISt17integral_constantIbLb1EESX_EEDaSS_ST_EUlSS_E0_NS1_11comp_targetILNS1_3genE10ELNS1_11target_archE1200ELNS1_3gpuE4ELNS1_3repE0EEENS1_30default_config_static_selectorELNS0_4arch9wavefront6targetE1EEEvT1_,comdat
.Lfunc_end5615:
	.size	_ZN7rocprim17ROCPRIM_400000_NS6detail17trampoline_kernelINS0_14default_configENS1_20scan_config_selectorIxEEZZNS1_9scan_implILNS1_25lookback_scan_determinismE0ELb0ELb0ES3_N6thrust23THRUST_200600_302600_NS6detail15normal_iteratorINS9_10device_ptrIxEEEENS9_16discard_iteratorINS9_11use_defaultEEExNS9_4plusIvEExEEDaPvRmT3_T4_T5_mT6_P12ihipStream_tbENKUlT_T0_E_clISt17integral_constantIbLb1EESX_EEDaSS_ST_EUlSS_E0_NS1_11comp_targetILNS1_3genE10ELNS1_11target_archE1200ELNS1_3gpuE4ELNS1_3repE0EEENS1_30default_config_static_selectorELNS0_4arch9wavefront6targetE1EEEvT1_, .Lfunc_end5615-_ZN7rocprim17ROCPRIM_400000_NS6detail17trampoline_kernelINS0_14default_configENS1_20scan_config_selectorIxEEZZNS1_9scan_implILNS1_25lookback_scan_determinismE0ELb0ELb0ES3_N6thrust23THRUST_200600_302600_NS6detail15normal_iteratorINS9_10device_ptrIxEEEENS9_16discard_iteratorINS9_11use_defaultEEExNS9_4plusIvEExEEDaPvRmT3_T4_T5_mT6_P12ihipStream_tbENKUlT_T0_E_clISt17integral_constantIbLb1EESX_EEDaSS_ST_EUlSS_E0_NS1_11comp_targetILNS1_3genE10ELNS1_11target_archE1200ELNS1_3gpuE4ELNS1_3repE0EEENS1_30default_config_static_selectorELNS0_4arch9wavefront6targetE1EEEvT1_
                                        ; -- End function
	.section	.AMDGPU.csdata,"",@progbits
; Kernel info:
; codeLenInByte = 0
; NumSgprs: 4
; NumVgprs: 0
; NumAgprs: 0
; TotalNumVgprs: 0
; ScratchSize: 0
; MemoryBound: 0
; FloatMode: 240
; IeeeMode: 1
; LDSByteSize: 0 bytes/workgroup (compile time only)
; SGPRBlocks: 0
; VGPRBlocks: 0
; NumSGPRsForWavesPerEU: 4
; NumVGPRsForWavesPerEU: 1
; AccumOffset: 4
; Occupancy: 8
; WaveLimiterHint : 0
; COMPUTE_PGM_RSRC2:SCRATCH_EN: 0
; COMPUTE_PGM_RSRC2:USER_SGPR: 6
; COMPUTE_PGM_RSRC2:TRAP_HANDLER: 0
; COMPUTE_PGM_RSRC2:TGID_X_EN: 1
; COMPUTE_PGM_RSRC2:TGID_Y_EN: 0
; COMPUTE_PGM_RSRC2:TGID_Z_EN: 0
; COMPUTE_PGM_RSRC2:TIDIG_COMP_CNT: 0
; COMPUTE_PGM_RSRC3_GFX90A:ACCUM_OFFSET: 0
; COMPUTE_PGM_RSRC3_GFX90A:TG_SPLIT: 0
	.section	.text._ZN7rocprim17ROCPRIM_400000_NS6detail17trampoline_kernelINS0_14default_configENS1_20scan_config_selectorIxEEZZNS1_9scan_implILNS1_25lookback_scan_determinismE0ELb0ELb0ES3_N6thrust23THRUST_200600_302600_NS6detail15normal_iteratorINS9_10device_ptrIxEEEENS9_16discard_iteratorINS9_11use_defaultEEExNS9_4plusIvEExEEDaPvRmT3_T4_T5_mT6_P12ihipStream_tbENKUlT_T0_E_clISt17integral_constantIbLb1EESX_EEDaSS_ST_EUlSS_E0_NS1_11comp_targetILNS1_3genE9ELNS1_11target_archE1100ELNS1_3gpuE3ELNS1_3repE0EEENS1_30default_config_static_selectorELNS0_4arch9wavefront6targetE1EEEvT1_,"axG",@progbits,_ZN7rocprim17ROCPRIM_400000_NS6detail17trampoline_kernelINS0_14default_configENS1_20scan_config_selectorIxEEZZNS1_9scan_implILNS1_25lookback_scan_determinismE0ELb0ELb0ES3_N6thrust23THRUST_200600_302600_NS6detail15normal_iteratorINS9_10device_ptrIxEEEENS9_16discard_iteratorINS9_11use_defaultEEExNS9_4plusIvEExEEDaPvRmT3_T4_T5_mT6_P12ihipStream_tbENKUlT_T0_E_clISt17integral_constantIbLb1EESX_EEDaSS_ST_EUlSS_E0_NS1_11comp_targetILNS1_3genE9ELNS1_11target_archE1100ELNS1_3gpuE3ELNS1_3repE0EEENS1_30default_config_static_selectorELNS0_4arch9wavefront6targetE1EEEvT1_,comdat
	.protected	_ZN7rocprim17ROCPRIM_400000_NS6detail17trampoline_kernelINS0_14default_configENS1_20scan_config_selectorIxEEZZNS1_9scan_implILNS1_25lookback_scan_determinismE0ELb0ELb0ES3_N6thrust23THRUST_200600_302600_NS6detail15normal_iteratorINS9_10device_ptrIxEEEENS9_16discard_iteratorINS9_11use_defaultEEExNS9_4plusIvEExEEDaPvRmT3_T4_T5_mT6_P12ihipStream_tbENKUlT_T0_E_clISt17integral_constantIbLb1EESX_EEDaSS_ST_EUlSS_E0_NS1_11comp_targetILNS1_3genE9ELNS1_11target_archE1100ELNS1_3gpuE3ELNS1_3repE0EEENS1_30default_config_static_selectorELNS0_4arch9wavefront6targetE1EEEvT1_ ; -- Begin function _ZN7rocprim17ROCPRIM_400000_NS6detail17trampoline_kernelINS0_14default_configENS1_20scan_config_selectorIxEEZZNS1_9scan_implILNS1_25lookback_scan_determinismE0ELb0ELb0ES3_N6thrust23THRUST_200600_302600_NS6detail15normal_iteratorINS9_10device_ptrIxEEEENS9_16discard_iteratorINS9_11use_defaultEEExNS9_4plusIvEExEEDaPvRmT3_T4_T5_mT6_P12ihipStream_tbENKUlT_T0_E_clISt17integral_constantIbLb1EESX_EEDaSS_ST_EUlSS_E0_NS1_11comp_targetILNS1_3genE9ELNS1_11target_archE1100ELNS1_3gpuE3ELNS1_3repE0EEENS1_30default_config_static_selectorELNS0_4arch9wavefront6targetE1EEEvT1_
	.globl	_ZN7rocprim17ROCPRIM_400000_NS6detail17trampoline_kernelINS0_14default_configENS1_20scan_config_selectorIxEEZZNS1_9scan_implILNS1_25lookback_scan_determinismE0ELb0ELb0ES3_N6thrust23THRUST_200600_302600_NS6detail15normal_iteratorINS9_10device_ptrIxEEEENS9_16discard_iteratorINS9_11use_defaultEEExNS9_4plusIvEExEEDaPvRmT3_T4_T5_mT6_P12ihipStream_tbENKUlT_T0_E_clISt17integral_constantIbLb1EESX_EEDaSS_ST_EUlSS_E0_NS1_11comp_targetILNS1_3genE9ELNS1_11target_archE1100ELNS1_3gpuE3ELNS1_3repE0EEENS1_30default_config_static_selectorELNS0_4arch9wavefront6targetE1EEEvT1_
	.p2align	8
	.type	_ZN7rocprim17ROCPRIM_400000_NS6detail17trampoline_kernelINS0_14default_configENS1_20scan_config_selectorIxEEZZNS1_9scan_implILNS1_25lookback_scan_determinismE0ELb0ELb0ES3_N6thrust23THRUST_200600_302600_NS6detail15normal_iteratorINS9_10device_ptrIxEEEENS9_16discard_iteratorINS9_11use_defaultEEExNS9_4plusIvEExEEDaPvRmT3_T4_T5_mT6_P12ihipStream_tbENKUlT_T0_E_clISt17integral_constantIbLb1EESX_EEDaSS_ST_EUlSS_E0_NS1_11comp_targetILNS1_3genE9ELNS1_11target_archE1100ELNS1_3gpuE3ELNS1_3repE0EEENS1_30default_config_static_selectorELNS0_4arch9wavefront6targetE1EEEvT1_,@function
_ZN7rocprim17ROCPRIM_400000_NS6detail17trampoline_kernelINS0_14default_configENS1_20scan_config_selectorIxEEZZNS1_9scan_implILNS1_25lookback_scan_determinismE0ELb0ELb0ES3_N6thrust23THRUST_200600_302600_NS6detail15normal_iteratorINS9_10device_ptrIxEEEENS9_16discard_iteratorINS9_11use_defaultEEExNS9_4plusIvEExEEDaPvRmT3_T4_T5_mT6_P12ihipStream_tbENKUlT_T0_E_clISt17integral_constantIbLb1EESX_EEDaSS_ST_EUlSS_E0_NS1_11comp_targetILNS1_3genE9ELNS1_11target_archE1100ELNS1_3gpuE3ELNS1_3repE0EEENS1_30default_config_static_selectorELNS0_4arch9wavefront6targetE1EEEvT1_: ; @_ZN7rocprim17ROCPRIM_400000_NS6detail17trampoline_kernelINS0_14default_configENS1_20scan_config_selectorIxEEZZNS1_9scan_implILNS1_25lookback_scan_determinismE0ELb0ELb0ES3_N6thrust23THRUST_200600_302600_NS6detail15normal_iteratorINS9_10device_ptrIxEEEENS9_16discard_iteratorINS9_11use_defaultEEExNS9_4plusIvEExEEDaPvRmT3_T4_T5_mT6_P12ihipStream_tbENKUlT_T0_E_clISt17integral_constantIbLb1EESX_EEDaSS_ST_EUlSS_E0_NS1_11comp_targetILNS1_3genE9ELNS1_11target_archE1100ELNS1_3gpuE3ELNS1_3repE0EEENS1_30default_config_static_selectorELNS0_4arch9wavefront6targetE1EEEvT1_
; %bb.0:
	.section	.rodata,"a",@progbits
	.p2align	6, 0x0
	.amdhsa_kernel _ZN7rocprim17ROCPRIM_400000_NS6detail17trampoline_kernelINS0_14default_configENS1_20scan_config_selectorIxEEZZNS1_9scan_implILNS1_25lookback_scan_determinismE0ELb0ELb0ES3_N6thrust23THRUST_200600_302600_NS6detail15normal_iteratorINS9_10device_ptrIxEEEENS9_16discard_iteratorINS9_11use_defaultEEExNS9_4plusIvEExEEDaPvRmT3_T4_T5_mT6_P12ihipStream_tbENKUlT_T0_E_clISt17integral_constantIbLb1EESX_EEDaSS_ST_EUlSS_E0_NS1_11comp_targetILNS1_3genE9ELNS1_11target_archE1100ELNS1_3gpuE3ELNS1_3repE0EEENS1_30default_config_static_selectorELNS0_4arch9wavefront6targetE1EEEvT1_
		.amdhsa_group_segment_fixed_size 0
		.amdhsa_private_segment_fixed_size 0
		.amdhsa_kernarg_size 48
		.amdhsa_user_sgpr_count 6
		.amdhsa_user_sgpr_private_segment_buffer 1
		.amdhsa_user_sgpr_dispatch_ptr 0
		.amdhsa_user_sgpr_queue_ptr 0
		.amdhsa_user_sgpr_kernarg_segment_ptr 1
		.amdhsa_user_sgpr_dispatch_id 0
		.amdhsa_user_sgpr_flat_scratch_init 0
		.amdhsa_user_sgpr_kernarg_preload_length 0
		.amdhsa_user_sgpr_kernarg_preload_offset 0
		.amdhsa_user_sgpr_private_segment_size 0
		.amdhsa_uses_dynamic_stack 0
		.amdhsa_system_sgpr_private_segment_wavefront_offset 0
		.amdhsa_system_sgpr_workgroup_id_x 1
		.amdhsa_system_sgpr_workgroup_id_y 0
		.amdhsa_system_sgpr_workgroup_id_z 0
		.amdhsa_system_sgpr_workgroup_info 0
		.amdhsa_system_vgpr_workitem_id 0
		.amdhsa_next_free_vgpr 1
		.amdhsa_next_free_sgpr 0
		.amdhsa_accum_offset 4
		.amdhsa_reserve_vcc 0
		.amdhsa_reserve_flat_scratch 0
		.amdhsa_float_round_mode_32 0
		.amdhsa_float_round_mode_16_64 0
		.amdhsa_float_denorm_mode_32 3
		.amdhsa_float_denorm_mode_16_64 3
		.amdhsa_dx10_clamp 1
		.amdhsa_ieee_mode 1
		.amdhsa_fp16_overflow 0
		.amdhsa_tg_split 0
		.amdhsa_exception_fp_ieee_invalid_op 0
		.amdhsa_exception_fp_denorm_src 0
		.amdhsa_exception_fp_ieee_div_zero 0
		.amdhsa_exception_fp_ieee_overflow 0
		.amdhsa_exception_fp_ieee_underflow 0
		.amdhsa_exception_fp_ieee_inexact 0
		.amdhsa_exception_int_div_zero 0
	.end_amdhsa_kernel
	.section	.text._ZN7rocprim17ROCPRIM_400000_NS6detail17trampoline_kernelINS0_14default_configENS1_20scan_config_selectorIxEEZZNS1_9scan_implILNS1_25lookback_scan_determinismE0ELb0ELb0ES3_N6thrust23THRUST_200600_302600_NS6detail15normal_iteratorINS9_10device_ptrIxEEEENS9_16discard_iteratorINS9_11use_defaultEEExNS9_4plusIvEExEEDaPvRmT3_T4_T5_mT6_P12ihipStream_tbENKUlT_T0_E_clISt17integral_constantIbLb1EESX_EEDaSS_ST_EUlSS_E0_NS1_11comp_targetILNS1_3genE9ELNS1_11target_archE1100ELNS1_3gpuE3ELNS1_3repE0EEENS1_30default_config_static_selectorELNS0_4arch9wavefront6targetE1EEEvT1_,"axG",@progbits,_ZN7rocprim17ROCPRIM_400000_NS6detail17trampoline_kernelINS0_14default_configENS1_20scan_config_selectorIxEEZZNS1_9scan_implILNS1_25lookback_scan_determinismE0ELb0ELb0ES3_N6thrust23THRUST_200600_302600_NS6detail15normal_iteratorINS9_10device_ptrIxEEEENS9_16discard_iteratorINS9_11use_defaultEEExNS9_4plusIvEExEEDaPvRmT3_T4_T5_mT6_P12ihipStream_tbENKUlT_T0_E_clISt17integral_constantIbLb1EESX_EEDaSS_ST_EUlSS_E0_NS1_11comp_targetILNS1_3genE9ELNS1_11target_archE1100ELNS1_3gpuE3ELNS1_3repE0EEENS1_30default_config_static_selectorELNS0_4arch9wavefront6targetE1EEEvT1_,comdat
.Lfunc_end5616:
	.size	_ZN7rocprim17ROCPRIM_400000_NS6detail17trampoline_kernelINS0_14default_configENS1_20scan_config_selectorIxEEZZNS1_9scan_implILNS1_25lookback_scan_determinismE0ELb0ELb0ES3_N6thrust23THRUST_200600_302600_NS6detail15normal_iteratorINS9_10device_ptrIxEEEENS9_16discard_iteratorINS9_11use_defaultEEExNS9_4plusIvEExEEDaPvRmT3_T4_T5_mT6_P12ihipStream_tbENKUlT_T0_E_clISt17integral_constantIbLb1EESX_EEDaSS_ST_EUlSS_E0_NS1_11comp_targetILNS1_3genE9ELNS1_11target_archE1100ELNS1_3gpuE3ELNS1_3repE0EEENS1_30default_config_static_selectorELNS0_4arch9wavefront6targetE1EEEvT1_, .Lfunc_end5616-_ZN7rocprim17ROCPRIM_400000_NS6detail17trampoline_kernelINS0_14default_configENS1_20scan_config_selectorIxEEZZNS1_9scan_implILNS1_25lookback_scan_determinismE0ELb0ELb0ES3_N6thrust23THRUST_200600_302600_NS6detail15normal_iteratorINS9_10device_ptrIxEEEENS9_16discard_iteratorINS9_11use_defaultEEExNS9_4plusIvEExEEDaPvRmT3_T4_T5_mT6_P12ihipStream_tbENKUlT_T0_E_clISt17integral_constantIbLb1EESX_EEDaSS_ST_EUlSS_E0_NS1_11comp_targetILNS1_3genE9ELNS1_11target_archE1100ELNS1_3gpuE3ELNS1_3repE0EEENS1_30default_config_static_selectorELNS0_4arch9wavefront6targetE1EEEvT1_
                                        ; -- End function
	.section	.AMDGPU.csdata,"",@progbits
; Kernel info:
; codeLenInByte = 0
; NumSgprs: 4
; NumVgprs: 0
; NumAgprs: 0
; TotalNumVgprs: 0
; ScratchSize: 0
; MemoryBound: 0
; FloatMode: 240
; IeeeMode: 1
; LDSByteSize: 0 bytes/workgroup (compile time only)
; SGPRBlocks: 0
; VGPRBlocks: 0
; NumSGPRsForWavesPerEU: 4
; NumVGPRsForWavesPerEU: 1
; AccumOffset: 4
; Occupancy: 8
; WaveLimiterHint : 0
; COMPUTE_PGM_RSRC2:SCRATCH_EN: 0
; COMPUTE_PGM_RSRC2:USER_SGPR: 6
; COMPUTE_PGM_RSRC2:TRAP_HANDLER: 0
; COMPUTE_PGM_RSRC2:TGID_X_EN: 1
; COMPUTE_PGM_RSRC2:TGID_Y_EN: 0
; COMPUTE_PGM_RSRC2:TGID_Z_EN: 0
; COMPUTE_PGM_RSRC2:TIDIG_COMP_CNT: 0
; COMPUTE_PGM_RSRC3_GFX90A:ACCUM_OFFSET: 0
; COMPUTE_PGM_RSRC3_GFX90A:TG_SPLIT: 0
	.section	.text._ZN7rocprim17ROCPRIM_400000_NS6detail17trampoline_kernelINS0_14default_configENS1_20scan_config_selectorIxEEZZNS1_9scan_implILNS1_25lookback_scan_determinismE0ELb0ELb0ES3_N6thrust23THRUST_200600_302600_NS6detail15normal_iteratorINS9_10device_ptrIxEEEENS9_16discard_iteratorINS9_11use_defaultEEExNS9_4plusIvEExEEDaPvRmT3_T4_T5_mT6_P12ihipStream_tbENKUlT_T0_E_clISt17integral_constantIbLb1EESX_EEDaSS_ST_EUlSS_E0_NS1_11comp_targetILNS1_3genE8ELNS1_11target_archE1030ELNS1_3gpuE2ELNS1_3repE0EEENS1_30default_config_static_selectorELNS0_4arch9wavefront6targetE1EEEvT1_,"axG",@progbits,_ZN7rocprim17ROCPRIM_400000_NS6detail17trampoline_kernelINS0_14default_configENS1_20scan_config_selectorIxEEZZNS1_9scan_implILNS1_25lookback_scan_determinismE0ELb0ELb0ES3_N6thrust23THRUST_200600_302600_NS6detail15normal_iteratorINS9_10device_ptrIxEEEENS9_16discard_iteratorINS9_11use_defaultEEExNS9_4plusIvEExEEDaPvRmT3_T4_T5_mT6_P12ihipStream_tbENKUlT_T0_E_clISt17integral_constantIbLb1EESX_EEDaSS_ST_EUlSS_E0_NS1_11comp_targetILNS1_3genE8ELNS1_11target_archE1030ELNS1_3gpuE2ELNS1_3repE0EEENS1_30default_config_static_selectorELNS0_4arch9wavefront6targetE1EEEvT1_,comdat
	.protected	_ZN7rocprim17ROCPRIM_400000_NS6detail17trampoline_kernelINS0_14default_configENS1_20scan_config_selectorIxEEZZNS1_9scan_implILNS1_25lookback_scan_determinismE0ELb0ELb0ES3_N6thrust23THRUST_200600_302600_NS6detail15normal_iteratorINS9_10device_ptrIxEEEENS9_16discard_iteratorINS9_11use_defaultEEExNS9_4plusIvEExEEDaPvRmT3_T4_T5_mT6_P12ihipStream_tbENKUlT_T0_E_clISt17integral_constantIbLb1EESX_EEDaSS_ST_EUlSS_E0_NS1_11comp_targetILNS1_3genE8ELNS1_11target_archE1030ELNS1_3gpuE2ELNS1_3repE0EEENS1_30default_config_static_selectorELNS0_4arch9wavefront6targetE1EEEvT1_ ; -- Begin function _ZN7rocprim17ROCPRIM_400000_NS6detail17trampoline_kernelINS0_14default_configENS1_20scan_config_selectorIxEEZZNS1_9scan_implILNS1_25lookback_scan_determinismE0ELb0ELb0ES3_N6thrust23THRUST_200600_302600_NS6detail15normal_iteratorINS9_10device_ptrIxEEEENS9_16discard_iteratorINS9_11use_defaultEEExNS9_4plusIvEExEEDaPvRmT3_T4_T5_mT6_P12ihipStream_tbENKUlT_T0_E_clISt17integral_constantIbLb1EESX_EEDaSS_ST_EUlSS_E0_NS1_11comp_targetILNS1_3genE8ELNS1_11target_archE1030ELNS1_3gpuE2ELNS1_3repE0EEENS1_30default_config_static_selectorELNS0_4arch9wavefront6targetE1EEEvT1_
	.globl	_ZN7rocprim17ROCPRIM_400000_NS6detail17trampoline_kernelINS0_14default_configENS1_20scan_config_selectorIxEEZZNS1_9scan_implILNS1_25lookback_scan_determinismE0ELb0ELb0ES3_N6thrust23THRUST_200600_302600_NS6detail15normal_iteratorINS9_10device_ptrIxEEEENS9_16discard_iteratorINS9_11use_defaultEEExNS9_4plusIvEExEEDaPvRmT3_T4_T5_mT6_P12ihipStream_tbENKUlT_T0_E_clISt17integral_constantIbLb1EESX_EEDaSS_ST_EUlSS_E0_NS1_11comp_targetILNS1_3genE8ELNS1_11target_archE1030ELNS1_3gpuE2ELNS1_3repE0EEENS1_30default_config_static_selectorELNS0_4arch9wavefront6targetE1EEEvT1_
	.p2align	8
	.type	_ZN7rocprim17ROCPRIM_400000_NS6detail17trampoline_kernelINS0_14default_configENS1_20scan_config_selectorIxEEZZNS1_9scan_implILNS1_25lookback_scan_determinismE0ELb0ELb0ES3_N6thrust23THRUST_200600_302600_NS6detail15normal_iteratorINS9_10device_ptrIxEEEENS9_16discard_iteratorINS9_11use_defaultEEExNS9_4plusIvEExEEDaPvRmT3_T4_T5_mT6_P12ihipStream_tbENKUlT_T0_E_clISt17integral_constantIbLb1EESX_EEDaSS_ST_EUlSS_E0_NS1_11comp_targetILNS1_3genE8ELNS1_11target_archE1030ELNS1_3gpuE2ELNS1_3repE0EEENS1_30default_config_static_selectorELNS0_4arch9wavefront6targetE1EEEvT1_,@function
_ZN7rocprim17ROCPRIM_400000_NS6detail17trampoline_kernelINS0_14default_configENS1_20scan_config_selectorIxEEZZNS1_9scan_implILNS1_25lookback_scan_determinismE0ELb0ELb0ES3_N6thrust23THRUST_200600_302600_NS6detail15normal_iteratorINS9_10device_ptrIxEEEENS9_16discard_iteratorINS9_11use_defaultEEExNS9_4plusIvEExEEDaPvRmT3_T4_T5_mT6_P12ihipStream_tbENKUlT_T0_E_clISt17integral_constantIbLb1EESX_EEDaSS_ST_EUlSS_E0_NS1_11comp_targetILNS1_3genE8ELNS1_11target_archE1030ELNS1_3gpuE2ELNS1_3repE0EEENS1_30default_config_static_selectorELNS0_4arch9wavefront6targetE1EEEvT1_: ; @_ZN7rocprim17ROCPRIM_400000_NS6detail17trampoline_kernelINS0_14default_configENS1_20scan_config_selectorIxEEZZNS1_9scan_implILNS1_25lookback_scan_determinismE0ELb0ELb0ES3_N6thrust23THRUST_200600_302600_NS6detail15normal_iteratorINS9_10device_ptrIxEEEENS9_16discard_iteratorINS9_11use_defaultEEExNS9_4plusIvEExEEDaPvRmT3_T4_T5_mT6_P12ihipStream_tbENKUlT_T0_E_clISt17integral_constantIbLb1EESX_EEDaSS_ST_EUlSS_E0_NS1_11comp_targetILNS1_3genE8ELNS1_11target_archE1030ELNS1_3gpuE2ELNS1_3repE0EEENS1_30default_config_static_selectorELNS0_4arch9wavefront6targetE1EEEvT1_
; %bb.0:
	.section	.rodata,"a",@progbits
	.p2align	6, 0x0
	.amdhsa_kernel _ZN7rocprim17ROCPRIM_400000_NS6detail17trampoline_kernelINS0_14default_configENS1_20scan_config_selectorIxEEZZNS1_9scan_implILNS1_25lookback_scan_determinismE0ELb0ELb0ES3_N6thrust23THRUST_200600_302600_NS6detail15normal_iteratorINS9_10device_ptrIxEEEENS9_16discard_iteratorINS9_11use_defaultEEExNS9_4plusIvEExEEDaPvRmT3_T4_T5_mT6_P12ihipStream_tbENKUlT_T0_E_clISt17integral_constantIbLb1EESX_EEDaSS_ST_EUlSS_E0_NS1_11comp_targetILNS1_3genE8ELNS1_11target_archE1030ELNS1_3gpuE2ELNS1_3repE0EEENS1_30default_config_static_selectorELNS0_4arch9wavefront6targetE1EEEvT1_
		.amdhsa_group_segment_fixed_size 0
		.amdhsa_private_segment_fixed_size 0
		.amdhsa_kernarg_size 48
		.amdhsa_user_sgpr_count 6
		.amdhsa_user_sgpr_private_segment_buffer 1
		.amdhsa_user_sgpr_dispatch_ptr 0
		.amdhsa_user_sgpr_queue_ptr 0
		.amdhsa_user_sgpr_kernarg_segment_ptr 1
		.amdhsa_user_sgpr_dispatch_id 0
		.amdhsa_user_sgpr_flat_scratch_init 0
		.amdhsa_user_sgpr_kernarg_preload_length 0
		.amdhsa_user_sgpr_kernarg_preload_offset 0
		.amdhsa_user_sgpr_private_segment_size 0
		.amdhsa_uses_dynamic_stack 0
		.amdhsa_system_sgpr_private_segment_wavefront_offset 0
		.amdhsa_system_sgpr_workgroup_id_x 1
		.amdhsa_system_sgpr_workgroup_id_y 0
		.amdhsa_system_sgpr_workgroup_id_z 0
		.amdhsa_system_sgpr_workgroup_info 0
		.amdhsa_system_vgpr_workitem_id 0
		.amdhsa_next_free_vgpr 1
		.amdhsa_next_free_sgpr 0
		.amdhsa_accum_offset 4
		.amdhsa_reserve_vcc 0
		.amdhsa_reserve_flat_scratch 0
		.amdhsa_float_round_mode_32 0
		.amdhsa_float_round_mode_16_64 0
		.amdhsa_float_denorm_mode_32 3
		.amdhsa_float_denorm_mode_16_64 3
		.amdhsa_dx10_clamp 1
		.amdhsa_ieee_mode 1
		.amdhsa_fp16_overflow 0
		.amdhsa_tg_split 0
		.amdhsa_exception_fp_ieee_invalid_op 0
		.amdhsa_exception_fp_denorm_src 0
		.amdhsa_exception_fp_ieee_div_zero 0
		.amdhsa_exception_fp_ieee_overflow 0
		.amdhsa_exception_fp_ieee_underflow 0
		.amdhsa_exception_fp_ieee_inexact 0
		.amdhsa_exception_int_div_zero 0
	.end_amdhsa_kernel
	.section	.text._ZN7rocprim17ROCPRIM_400000_NS6detail17trampoline_kernelINS0_14default_configENS1_20scan_config_selectorIxEEZZNS1_9scan_implILNS1_25lookback_scan_determinismE0ELb0ELb0ES3_N6thrust23THRUST_200600_302600_NS6detail15normal_iteratorINS9_10device_ptrIxEEEENS9_16discard_iteratorINS9_11use_defaultEEExNS9_4plusIvEExEEDaPvRmT3_T4_T5_mT6_P12ihipStream_tbENKUlT_T0_E_clISt17integral_constantIbLb1EESX_EEDaSS_ST_EUlSS_E0_NS1_11comp_targetILNS1_3genE8ELNS1_11target_archE1030ELNS1_3gpuE2ELNS1_3repE0EEENS1_30default_config_static_selectorELNS0_4arch9wavefront6targetE1EEEvT1_,"axG",@progbits,_ZN7rocprim17ROCPRIM_400000_NS6detail17trampoline_kernelINS0_14default_configENS1_20scan_config_selectorIxEEZZNS1_9scan_implILNS1_25lookback_scan_determinismE0ELb0ELb0ES3_N6thrust23THRUST_200600_302600_NS6detail15normal_iteratorINS9_10device_ptrIxEEEENS9_16discard_iteratorINS9_11use_defaultEEExNS9_4plusIvEExEEDaPvRmT3_T4_T5_mT6_P12ihipStream_tbENKUlT_T0_E_clISt17integral_constantIbLb1EESX_EEDaSS_ST_EUlSS_E0_NS1_11comp_targetILNS1_3genE8ELNS1_11target_archE1030ELNS1_3gpuE2ELNS1_3repE0EEENS1_30default_config_static_selectorELNS0_4arch9wavefront6targetE1EEEvT1_,comdat
.Lfunc_end5617:
	.size	_ZN7rocprim17ROCPRIM_400000_NS6detail17trampoline_kernelINS0_14default_configENS1_20scan_config_selectorIxEEZZNS1_9scan_implILNS1_25lookback_scan_determinismE0ELb0ELb0ES3_N6thrust23THRUST_200600_302600_NS6detail15normal_iteratorINS9_10device_ptrIxEEEENS9_16discard_iteratorINS9_11use_defaultEEExNS9_4plusIvEExEEDaPvRmT3_T4_T5_mT6_P12ihipStream_tbENKUlT_T0_E_clISt17integral_constantIbLb1EESX_EEDaSS_ST_EUlSS_E0_NS1_11comp_targetILNS1_3genE8ELNS1_11target_archE1030ELNS1_3gpuE2ELNS1_3repE0EEENS1_30default_config_static_selectorELNS0_4arch9wavefront6targetE1EEEvT1_, .Lfunc_end5617-_ZN7rocprim17ROCPRIM_400000_NS6detail17trampoline_kernelINS0_14default_configENS1_20scan_config_selectorIxEEZZNS1_9scan_implILNS1_25lookback_scan_determinismE0ELb0ELb0ES3_N6thrust23THRUST_200600_302600_NS6detail15normal_iteratorINS9_10device_ptrIxEEEENS9_16discard_iteratorINS9_11use_defaultEEExNS9_4plusIvEExEEDaPvRmT3_T4_T5_mT6_P12ihipStream_tbENKUlT_T0_E_clISt17integral_constantIbLb1EESX_EEDaSS_ST_EUlSS_E0_NS1_11comp_targetILNS1_3genE8ELNS1_11target_archE1030ELNS1_3gpuE2ELNS1_3repE0EEENS1_30default_config_static_selectorELNS0_4arch9wavefront6targetE1EEEvT1_
                                        ; -- End function
	.section	.AMDGPU.csdata,"",@progbits
; Kernel info:
; codeLenInByte = 0
; NumSgprs: 4
; NumVgprs: 0
; NumAgprs: 0
; TotalNumVgprs: 0
; ScratchSize: 0
; MemoryBound: 0
; FloatMode: 240
; IeeeMode: 1
; LDSByteSize: 0 bytes/workgroup (compile time only)
; SGPRBlocks: 0
; VGPRBlocks: 0
; NumSGPRsForWavesPerEU: 4
; NumVGPRsForWavesPerEU: 1
; AccumOffset: 4
; Occupancy: 8
; WaveLimiterHint : 0
; COMPUTE_PGM_RSRC2:SCRATCH_EN: 0
; COMPUTE_PGM_RSRC2:USER_SGPR: 6
; COMPUTE_PGM_RSRC2:TRAP_HANDLER: 0
; COMPUTE_PGM_RSRC2:TGID_X_EN: 1
; COMPUTE_PGM_RSRC2:TGID_Y_EN: 0
; COMPUTE_PGM_RSRC2:TGID_Z_EN: 0
; COMPUTE_PGM_RSRC2:TIDIG_COMP_CNT: 0
; COMPUTE_PGM_RSRC3_GFX90A:ACCUM_OFFSET: 0
; COMPUTE_PGM_RSRC3_GFX90A:TG_SPLIT: 0
	.section	.text._ZN7rocprim17ROCPRIM_400000_NS6detail17trampoline_kernelINS0_14default_configENS1_20scan_config_selectorIxEEZZNS1_9scan_implILNS1_25lookback_scan_determinismE0ELb0ELb0ES3_N6thrust23THRUST_200600_302600_NS6detail15normal_iteratorINS9_10device_ptrIxEEEENS9_16discard_iteratorINS9_11use_defaultEEExNS9_4plusIvEExEEDaPvRmT3_T4_T5_mT6_P12ihipStream_tbENKUlT_T0_E_clISt17integral_constantIbLb1EESW_IbLb0EEEEDaSS_ST_EUlSS_E_NS1_11comp_targetILNS1_3genE0ELNS1_11target_archE4294967295ELNS1_3gpuE0ELNS1_3repE0EEENS1_30default_config_static_selectorELNS0_4arch9wavefront6targetE1EEEvT1_,"axG",@progbits,_ZN7rocprim17ROCPRIM_400000_NS6detail17trampoline_kernelINS0_14default_configENS1_20scan_config_selectorIxEEZZNS1_9scan_implILNS1_25lookback_scan_determinismE0ELb0ELb0ES3_N6thrust23THRUST_200600_302600_NS6detail15normal_iteratorINS9_10device_ptrIxEEEENS9_16discard_iteratorINS9_11use_defaultEEExNS9_4plusIvEExEEDaPvRmT3_T4_T5_mT6_P12ihipStream_tbENKUlT_T0_E_clISt17integral_constantIbLb1EESW_IbLb0EEEEDaSS_ST_EUlSS_E_NS1_11comp_targetILNS1_3genE0ELNS1_11target_archE4294967295ELNS1_3gpuE0ELNS1_3repE0EEENS1_30default_config_static_selectorELNS0_4arch9wavefront6targetE1EEEvT1_,comdat
	.protected	_ZN7rocprim17ROCPRIM_400000_NS6detail17trampoline_kernelINS0_14default_configENS1_20scan_config_selectorIxEEZZNS1_9scan_implILNS1_25lookback_scan_determinismE0ELb0ELb0ES3_N6thrust23THRUST_200600_302600_NS6detail15normal_iteratorINS9_10device_ptrIxEEEENS9_16discard_iteratorINS9_11use_defaultEEExNS9_4plusIvEExEEDaPvRmT3_T4_T5_mT6_P12ihipStream_tbENKUlT_T0_E_clISt17integral_constantIbLb1EESW_IbLb0EEEEDaSS_ST_EUlSS_E_NS1_11comp_targetILNS1_3genE0ELNS1_11target_archE4294967295ELNS1_3gpuE0ELNS1_3repE0EEENS1_30default_config_static_selectorELNS0_4arch9wavefront6targetE1EEEvT1_ ; -- Begin function _ZN7rocprim17ROCPRIM_400000_NS6detail17trampoline_kernelINS0_14default_configENS1_20scan_config_selectorIxEEZZNS1_9scan_implILNS1_25lookback_scan_determinismE0ELb0ELb0ES3_N6thrust23THRUST_200600_302600_NS6detail15normal_iteratorINS9_10device_ptrIxEEEENS9_16discard_iteratorINS9_11use_defaultEEExNS9_4plusIvEExEEDaPvRmT3_T4_T5_mT6_P12ihipStream_tbENKUlT_T0_E_clISt17integral_constantIbLb1EESW_IbLb0EEEEDaSS_ST_EUlSS_E_NS1_11comp_targetILNS1_3genE0ELNS1_11target_archE4294967295ELNS1_3gpuE0ELNS1_3repE0EEENS1_30default_config_static_selectorELNS0_4arch9wavefront6targetE1EEEvT1_
	.globl	_ZN7rocprim17ROCPRIM_400000_NS6detail17trampoline_kernelINS0_14default_configENS1_20scan_config_selectorIxEEZZNS1_9scan_implILNS1_25lookback_scan_determinismE0ELb0ELb0ES3_N6thrust23THRUST_200600_302600_NS6detail15normal_iteratorINS9_10device_ptrIxEEEENS9_16discard_iteratorINS9_11use_defaultEEExNS9_4plusIvEExEEDaPvRmT3_T4_T5_mT6_P12ihipStream_tbENKUlT_T0_E_clISt17integral_constantIbLb1EESW_IbLb0EEEEDaSS_ST_EUlSS_E_NS1_11comp_targetILNS1_3genE0ELNS1_11target_archE4294967295ELNS1_3gpuE0ELNS1_3repE0EEENS1_30default_config_static_selectorELNS0_4arch9wavefront6targetE1EEEvT1_
	.p2align	8
	.type	_ZN7rocprim17ROCPRIM_400000_NS6detail17trampoline_kernelINS0_14default_configENS1_20scan_config_selectorIxEEZZNS1_9scan_implILNS1_25lookback_scan_determinismE0ELb0ELb0ES3_N6thrust23THRUST_200600_302600_NS6detail15normal_iteratorINS9_10device_ptrIxEEEENS9_16discard_iteratorINS9_11use_defaultEEExNS9_4plusIvEExEEDaPvRmT3_T4_T5_mT6_P12ihipStream_tbENKUlT_T0_E_clISt17integral_constantIbLb1EESW_IbLb0EEEEDaSS_ST_EUlSS_E_NS1_11comp_targetILNS1_3genE0ELNS1_11target_archE4294967295ELNS1_3gpuE0ELNS1_3repE0EEENS1_30default_config_static_selectorELNS0_4arch9wavefront6targetE1EEEvT1_,@function
_ZN7rocprim17ROCPRIM_400000_NS6detail17trampoline_kernelINS0_14default_configENS1_20scan_config_selectorIxEEZZNS1_9scan_implILNS1_25lookback_scan_determinismE0ELb0ELb0ES3_N6thrust23THRUST_200600_302600_NS6detail15normal_iteratorINS9_10device_ptrIxEEEENS9_16discard_iteratorINS9_11use_defaultEEExNS9_4plusIvEExEEDaPvRmT3_T4_T5_mT6_P12ihipStream_tbENKUlT_T0_E_clISt17integral_constantIbLb1EESW_IbLb0EEEEDaSS_ST_EUlSS_E_NS1_11comp_targetILNS1_3genE0ELNS1_11target_archE4294967295ELNS1_3gpuE0ELNS1_3repE0EEENS1_30default_config_static_selectorELNS0_4arch9wavefront6targetE1EEEvT1_: ; @_ZN7rocprim17ROCPRIM_400000_NS6detail17trampoline_kernelINS0_14default_configENS1_20scan_config_selectorIxEEZZNS1_9scan_implILNS1_25lookback_scan_determinismE0ELb0ELb0ES3_N6thrust23THRUST_200600_302600_NS6detail15normal_iteratorINS9_10device_ptrIxEEEENS9_16discard_iteratorINS9_11use_defaultEEExNS9_4plusIvEExEEDaPvRmT3_T4_T5_mT6_P12ihipStream_tbENKUlT_T0_E_clISt17integral_constantIbLb1EESW_IbLb0EEEEDaSS_ST_EUlSS_E_NS1_11comp_targetILNS1_3genE0ELNS1_11target_archE4294967295ELNS1_3gpuE0ELNS1_3repE0EEENS1_30default_config_static_selectorELNS0_4arch9wavefront6targetE1EEEvT1_
; %bb.0:
	.section	.rodata,"a",@progbits
	.p2align	6, 0x0
	.amdhsa_kernel _ZN7rocprim17ROCPRIM_400000_NS6detail17trampoline_kernelINS0_14default_configENS1_20scan_config_selectorIxEEZZNS1_9scan_implILNS1_25lookback_scan_determinismE0ELb0ELb0ES3_N6thrust23THRUST_200600_302600_NS6detail15normal_iteratorINS9_10device_ptrIxEEEENS9_16discard_iteratorINS9_11use_defaultEEExNS9_4plusIvEExEEDaPvRmT3_T4_T5_mT6_P12ihipStream_tbENKUlT_T0_E_clISt17integral_constantIbLb1EESW_IbLb0EEEEDaSS_ST_EUlSS_E_NS1_11comp_targetILNS1_3genE0ELNS1_11target_archE4294967295ELNS1_3gpuE0ELNS1_3repE0EEENS1_30default_config_static_selectorELNS0_4arch9wavefront6targetE1EEEvT1_
		.amdhsa_group_segment_fixed_size 0
		.amdhsa_private_segment_fixed_size 0
		.amdhsa_kernarg_size 112
		.amdhsa_user_sgpr_count 6
		.amdhsa_user_sgpr_private_segment_buffer 1
		.amdhsa_user_sgpr_dispatch_ptr 0
		.amdhsa_user_sgpr_queue_ptr 0
		.amdhsa_user_sgpr_kernarg_segment_ptr 1
		.amdhsa_user_sgpr_dispatch_id 0
		.amdhsa_user_sgpr_flat_scratch_init 0
		.amdhsa_user_sgpr_kernarg_preload_length 0
		.amdhsa_user_sgpr_kernarg_preload_offset 0
		.amdhsa_user_sgpr_private_segment_size 0
		.amdhsa_uses_dynamic_stack 0
		.amdhsa_system_sgpr_private_segment_wavefront_offset 0
		.amdhsa_system_sgpr_workgroup_id_x 1
		.amdhsa_system_sgpr_workgroup_id_y 0
		.amdhsa_system_sgpr_workgroup_id_z 0
		.amdhsa_system_sgpr_workgroup_info 0
		.amdhsa_system_vgpr_workitem_id 0
		.amdhsa_next_free_vgpr 1
		.amdhsa_next_free_sgpr 0
		.amdhsa_accum_offset 4
		.amdhsa_reserve_vcc 0
		.amdhsa_reserve_flat_scratch 0
		.amdhsa_float_round_mode_32 0
		.amdhsa_float_round_mode_16_64 0
		.amdhsa_float_denorm_mode_32 3
		.amdhsa_float_denorm_mode_16_64 3
		.amdhsa_dx10_clamp 1
		.amdhsa_ieee_mode 1
		.amdhsa_fp16_overflow 0
		.amdhsa_tg_split 0
		.amdhsa_exception_fp_ieee_invalid_op 0
		.amdhsa_exception_fp_denorm_src 0
		.amdhsa_exception_fp_ieee_div_zero 0
		.amdhsa_exception_fp_ieee_overflow 0
		.amdhsa_exception_fp_ieee_underflow 0
		.amdhsa_exception_fp_ieee_inexact 0
		.amdhsa_exception_int_div_zero 0
	.end_amdhsa_kernel
	.section	.text._ZN7rocprim17ROCPRIM_400000_NS6detail17trampoline_kernelINS0_14default_configENS1_20scan_config_selectorIxEEZZNS1_9scan_implILNS1_25lookback_scan_determinismE0ELb0ELb0ES3_N6thrust23THRUST_200600_302600_NS6detail15normal_iteratorINS9_10device_ptrIxEEEENS9_16discard_iteratorINS9_11use_defaultEEExNS9_4plusIvEExEEDaPvRmT3_T4_T5_mT6_P12ihipStream_tbENKUlT_T0_E_clISt17integral_constantIbLb1EESW_IbLb0EEEEDaSS_ST_EUlSS_E_NS1_11comp_targetILNS1_3genE0ELNS1_11target_archE4294967295ELNS1_3gpuE0ELNS1_3repE0EEENS1_30default_config_static_selectorELNS0_4arch9wavefront6targetE1EEEvT1_,"axG",@progbits,_ZN7rocprim17ROCPRIM_400000_NS6detail17trampoline_kernelINS0_14default_configENS1_20scan_config_selectorIxEEZZNS1_9scan_implILNS1_25lookback_scan_determinismE0ELb0ELb0ES3_N6thrust23THRUST_200600_302600_NS6detail15normal_iteratorINS9_10device_ptrIxEEEENS9_16discard_iteratorINS9_11use_defaultEEExNS9_4plusIvEExEEDaPvRmT3_T4_T5_mT6_P12ihipStream_tbENKUlT_T0_E_clISt17integral_constantIbLb1EESW_IbLb0EEEEDaSS_ST_EUlSS_E_NS1_11comp_targetILNS1_3genE0ELNS1_11target_archE4294967295ELNS1_3gpuE0ELNS1_3repE0EEENS1_30default_config_static_selectorELNS0_4arch9wavefront6targetE1EEEvT1_,comdat
.Lfunc_end5618:
	.size	_ZN7rocprim17ROCPRIM_400000_NS6detail17trampoline_kernelINS0_14default_configENS1_20scan_config_selectorIxEEZZNS1_9scan_implILNS1_25lookback_scan_determinismE0ELb0ELb0ES3_N6thrust23THRUST_200600_302600_NS6detail15normal_iteratorINS9_10device_ptrIxEEEENS9_16discard_iteratorINS9_11use_defaultEEExNS9_4plusIvEExEEDaPvRmT3_T4_T5_mT6_P12ihipStream_tbENKUlT_T0_E_clISt17integral_constantIbLb1EESW_IbLb0EEEEDaSS_ST_EUlSS_E_NS1_11comp_targetILNS1_3genE0ELNS1_11target_archE4294967295ELNS1_3gpuE0ELNS1_3repE0EEENS1_30default_config_static_selectorELNS0_4arch9wavefront6targetE1EEEvT1_, .Lfunc_end5618-_ZN7rocprim17ROCPRIM_400000_NS6detail17trampoline_kernelINS0_14default_configENS1_20scan_config_selectorIxEEZZNS1_9scan_implILNS1_25lookback_scan_determinismE0ELb0ELb0ES3_N6thrust23THRUST_200600_302600_NS6detail15normal_iteratorINS9_10device_ptrIxEEEENS9_16discard_iteratorINS9_11use_defaultEEExNS9_4plusIvEExEEDaPvRmT3_T4_T5_mT6_P12ihipStream_tbENKUlT_T0_E_clISt17integral_constantIbLb1EESW_IbLb0EEEEDaSS_ST_EUlSS_E_NS1_11comp_targetILNS1_3genE0ELNS1_11target_archE4294967295ELNS1_3gpuE0ELNS1_3repE0EEENS1_30default_config_static_selectorELNS0_4arch9wavefront6targetE1EEEvT1_
                                        ; -- End function
	.section	.AMDGPU.csdata,"",@progbits
; Kernel info:
; codeLenInByte = 0
; NumSgprs: 4
; NumVgprs: 0
; NumAgprs: 0
; TotalNumVgprs: 0
; ScratchSize: 0
; MemoryBound: 0
; FloatMode: 240
; IeeeMode: 1
; LDSByteSize: 0 bytes/workgroup (compile time only)
; SGPRBlocks: 0
; VGPRBlocks: 0
; NumSGPRsForWavesPerEU: 4
; NumVGPRsForWavesPerEU: 1
; AccumOffset: 4
; Occupancy: 8
; WaveLimiterHint : 0
; COMPUTE_PGM_RSRC2:SCRATCH_EN: 0
; COMPUTE_PGM_RSRC2:USER_SGPR: 6
; COMPUTE_PGM_RSRC2:TRAP_HANDLER: 0
; COMPUTE_PGM_RSRC2:TGID_X_EN: 1
; COMPUTE_PGM_RSRC2:TGID_Y_EN: 0
; COMPUTE_PGM_RSRC2:TGID_Z_EN: 0
; COMPUTE_PGM_RSRC2:TIDIG_COMP_CNT: 0
; COMPUTE_PGM_RSRC3_GFX90A:ACCUM_OFFSET: 0
; COMPUTE_PGM_RSRC3_GFX90A:TG_SPLIT: 0
	.section	.text._ZN7rocprim17ROCPRIM_400000_NS6detail17trampoline_kernelINS0_14default_configENS1_20scan_config_selectorIxEEZZNS1_9scan_implILNS1_25lookback_scan_determinismE0ELb0ELb0ES3_N6thrust23THRUST_200600_302600_NS6detail15normal_iteratorINS9_10device_ptrIxEEEENS9_16discard_iteratorINS9_11use_defaultEEExNS9_4plusIvEExEEDaPvRmT3_T4_T5_mT6_P12ihipStream_tbENKUlT_T0_E_clISt17integral_constantIbLb1EESW_IbLb0EEEEDaSS_ST_EUlSS_E_NS1_11comp_targetILNS1_3genE5ELNS1_11target_archE942ELNS1_3gpuE9ELNS1_3repE0EEENS1_30default_config_static_selectorELNS0_4arch9wavefront6targetE1EEEvT1_,"axG",@progbits,_ZN7rocprim17ROCPRIM_400000_NS6detail17trampoline_kernelINS0_14default_configENS1_20scan_config_selectorIxEEZZNS1_9scan_implILNS1_25lookback_scan_determinismE0ELb0ELb0ES3_N6thrust23THRUST_200600_302600_NS6detail15normal_iteratorINS9_10device_ptrIxEEEENS9_16discard_iteratorINS9_11use_defaultEEExNS9_4plusIvEExEEDaPvRmT3_T4_T5_mT6_P12ihipStream_tbENKUlT_T0_E_clISt17integral_constantIbLb1EESW_IbLb0EEEEDaSS_ST_EUlSS_E_NS1_11comp_targetILNS1_3genE5ELNS1_11target_archE942ELNS1_3gpuE9ELNS1_3repE0EEENS1_30default_config_static_selectorELNS0_4arch9wavefront6targetE1EEEvT1_,comdat
	.protected	_ZN7rocprim17ROCPRIM_400000_NS6detail17trampoline_kernelINS0_14default_configENS1_20scan_config_selectorIxEEZZNS1_9scan_implILNS1_25lookback_scan_determinismE0ELb0ELb0ES3_N6thrust23THRUST_200600_302600_NS6detail15normal_iteratorINS9_10device_ptrIxEEEENS9_16discard_iteratorINS9_11use_defaultEEExNS9_4plusIvEExEEDaPvRmT3_T4_T5_mT6_P12ihipStream_tbENKUlT_T0_E_clISt17integral_constantIbLb1EESW_IbLb0EEEEDaSS_ST_EUlSS_E_NS1_11comp_targetILNS1_3genE5ELNS1_11target_archE942ELNS1_3gpuE9ELNS1_3repE0EEENS1_30default_config_static_selectorELNS0_4arch9wavefront6targetE1EEEvT1_ ; -- Begin function _ZN7rocprim17ROCPRIM_400000_NS6detail17trampoline_kernelINS0_14default_configENS1_20scan_config_selectorIxEEZZNS1_9scan_implILNS1_25lookback_scan_determinismE0ELb0ELb0ES3_N6thrust23THRUST_200600_302600_NS6detail15normal_iteratorINS9_10device_ptrIxEEEENS9_16discard_iteratorINS9_11use_defaultEEExNS9_4plusIvEExEEDaPvRmT3_T4_T5_mT6_P12ihipStream_tbENKUlT_T0_E_clISt17integral_constantIbLb1EESW_IbLb0EEEEDaSS_ST_EUlSS_E_NS1_11comp_targetILNS1_3genE5ELNS1_11target_archE942ELNS1_3gpuE9ELNS1_3repE0EEENS1_30default_config_static_selectorELNS0_4arch9wavefront6targetE1EEEvT1_
	.globl	_ZN7rocprim17ROCPRIM_400000_NS6detail17trampoline_kernelINS0_14default_configENS1_20scan_config_selectorIxEEZZNS1_9scan_implILNS1_25lookback_scan_determinismE0ELb0ELb0ES3_N6thrust23THRUST_200600_302600_NS6detail15normal_iteratorINS9_10device_ptrIxEEEENS9_16discard_iteratorINS9_11use_defaultEEExNS9_4plusIvEExEEDaPvRmT3_T4_T5_mT6_P12ihipStream_tbENKUlT_T0_E_clISt17integral_constantIbLb1EESW_IbLb0EEEEDaSS_ST_EUlSS_E_NS1_11comp_targetILNS1_3genE5ELNS1_11target_archE942ELNS1_3gpuE9ELNS1_3repE0EEENS1_30default_config_static_selectorELNS0_4arch9wavefront6targetE1EEEvT1_
	.p2align	8
	.type	_ZN7rocprim17ROCPRIM_400000_NS6detail17trampoline_kernelINS0_14default_configENS1_20scan_config_selectorIxEEZZNS1_9scan_implILNS1_25lookback_scan_determinismE0ELb0ELb0ES3_N6thrust23THRUST_200600_302600_NS6detail15normal_iteratorINS9_10device_ptrIxEEEENS9_16discard_iteratorINS9_11use_defaultEEExNS9_4plusIvEExEEDaPvRmT3_T4_T5_mT6_P12ihipStream_tbENKUlT_T0_E_clISt17integral_constantIbLb1EESW_IbLb0EEEEDaSS_ST_EUlSS_E_NS1_11comp_targetILNS1_3genE5ELNS1_11target_archE942ELNS1_3gpuE9ELNS1_3repE0EEENS1_30default_config_static_selectorELNS0_4arch9wavefront6targetE1EEEvT1_,@function
_ZN7rocprim17ROCPRIM_400000_NS6detail17trampoline_kernelINS0_14default_configENS1_20scan_config_selectorIxEEZZNS1_9scan_implILNS1_25lookback_scan_determinismE0ELb0ELb0ES3_N6thrust23THRUST_200600_302600_NS6detail15normal_iteratorINS9_10device_ptrIxEEEENS9_16discard_iteratorINS9_11use_defaultEEExNS9_4plusIvEExEEDaPvRmT3_T4_T5_mT6_P12ihipStream_tbENKUlT_T0_E_clISt17integral_constantIbLb1EESW_IbLb0EEEEDaSS_ST_EUlSS_E_NS1_11comp_targetILNS1_3genE5ELNS1_11target_archE942ELNS1_3gpuE9ELNS1_3repE0EEENS1_30default_config_static_selectorELNS0_4arch9wavefront6targetE1EEEvT1_: ; @_ZN7rocprim17ROCPRIM_400000_NS6detail17trampoline_kernelINS0_14default_configENS1_20scan_config_selectorIxEEZZNS1_9scan_implILNS1_25lookback_scan_determinismE0ELb0ELb0ES3_N6thrust23THRUST_200600_302600_NS6detail15normal_iteratorINS9_10device_ptrIxEEEENS9_16discard_iteratorINS9_11use_defaultEEExNS9_4plusIvEExEEDaPvRmT3_T4_T5_mT6_P12ihipStream_tbENKUlT_T0_E_clISt17integral_constantIbLb1EESW_IbLb0EEEEDaSS_ST_EUlSS_E_NS1_11comp_targetILNS1_3genE5ELNS1_11target_archE942ELNS1_3gpuE9ELNS1_3repE0EEENS1_30default_config_static_selectorELNS0_4arch9wavefront6targetE1EEEvT1_
; %bb.0:
	.section	.rodata,"a",@progbits
	.p2align	6, 0x0
	.amdhsa_kernel _ZN7rocprim17ROCPRIM_400000_NS6detail17trampoline_kernelINS0_14default_configENS1_20scan_config_selectorIxEEZZNS1_9scan_implILNS1_25lookback_scan_determinismE0ELb0ELb0ES3_N6thrust23THRUST_200600_302600_NS6detail15normal_iteratorINS9_10device_ptrIxEEEENS9_16discard_iteratorINS9_11use_defaultEEExNS9_4plusIvEExEEDaPvRmT3_T4_T5_mT6_P12ihipStream_tbENKUlT_T0_E_clISt17integral_constantIbLb1EESW_IbLb0EEEEDaSS_ST_EUlSS_E_NS1_11comp_targetILNS1_3genE5ELNS1_11target_archE942ELNS1_3gpuE9ELNS1_3repE0EEENS1_30default_config_static_selectorELNS0_4arch9wavefront6targetE1EEEvT1_
		.amdhsa_group_segment_fixed_size 0
		.amdhsa_private_segment_fixed_size 0
		.amdhsa_kernarg_size 112
		.amdhsa_user_sgpr_count 6
		.amdhsa_user_sgpr_private_segment_buffer 1
		.amdhsa_user_sgpr_dispatch_ptr 0
		.amdhsa_user_sgpr_queue_ptr 0
		.amdhsa_user_sgpr_kernarg_segment_ptr 1
		.amdhsa_user_sgpr_dispatch_id 0
		.amdhsa_user_sgpr_flat_scratch_init 0
		.amdhsa_user_sgpr_kernarg_preload_length 0
		.amdhsa_user_sgpr_kernarg_preload_offset 0
		.amdhsa_user_sgpr_private_segment_size 0
		.amdhsa_uses_dynamic_stack 0
		.amdhsa_system_sgpr_private_segment_wavefront_offset 0
		.amdhsa_system_sgpr_workgroup_id_x 1
		.amdhsa_system_sgpr_workgroup_id_y 0
		.amdhsa_system_sgpr_workgroup_id_z 0
		.amdhsa_system_sgpr_workgroup_info 0
		.amdhsa_system_vgpr_workitem_id 0
		.amdhsa_next_free_vgpr 1
		.amdhsa_next_free_sgpr 0
		.amdhsa_accum_offset 4
		.amdhsa_reserve_vcc 0
		.amdhsa_reserve_flat_scratch 0
		.amdhsa_float_round_mode_32 0
		.amdhsa_float_round_mode_16_64 0
		.amdhsa_float_denorm_mode_32 3
		.amdhsa_float_denorm_mode_16_64 3
		.amdhsa_dx10_clamp 1
		.amdhsa_ieee_mode 1
		.amdhsa_fp16_overflow 0
		.amdhsa_tg_split 0
		.amdhsa_exception_fp_ieee_invalid_op 0
		.amdhsa_exception_fp_denorm_src 0
		.amdhsa_exception_fp_ieee_div_zero 0
		.amdhsa_exception_fp_ieee_overflow 0
		.amdhsa_exception_fp_ieee_underflow 0
		.amdhsa_exception_fp_ieee_inexact 0
		.amdhsa_exception_int_div_zero 0
	.end_amdhsa_kernel
	.section	.text._ZN7rocprim17ROCPRIM_400000_NS6detail17trampoline_kernelINS0_14default_configENS1_20scan_config_selectorIxEEZZNS1_9scan_implILNS1_25lookback_scan_determinismE0ELb0ELb0ES3_N6thrust23THRUST_200600_302600_NS6detail15normal_iteratorINS9_10device_ptrIxEEEENS9_16discard_iteratorINS9_11use_defaultEEExNS9_4plusIvEExEEDaPvRmT3_T4_T5_mT6_P12ihipStream_tbENKUlT_T0_E_clISt17integral_constantIbLb1EESW_IbLb0EEEEDaSS_ST_EUlSS_E_NS1_11comp_targetILNS1_3genE5ELNS1_11target_archE942ELNS1_3gpuE9ELNS1_3repE0EEENS1_30default_config_static_selectorELNS0_4arch9wavefront6targetE1EEEvT1_,"axG",@progbits,_ZN7rocprim17ROCPRIM_400000_NS6detail17trampoline_kernelINS0_14default_configENS1_20scan_config_selectorIxEEZZNS1_9scan_implILNS1_25lookback_scan_determinismE0ELb0ELb0ES3_N6thrust23THRUST_200600_302600_NS6detail15normal_iteratorINS9_10device_ptrIxEEEENS9_16discard_iteratorINS9_11use_defaultEEExNS9_4plusIvEExEEDaPvRmT3_T4_T5_mT6_P12ihipStream_tbENKUlT_T0_E_clISt17integral_constantIbLb1EESW_IbLb0EEEEDaSS_ST_EUlSS_E_NS1_11comp_targetILNS1_3genE5ELNS1_11target_archE942ELNS1_3gpuE9ELNS1_3repE0EEENS1_30default_config_static_selectorELNS0_4arch9wavefront6targetE1EEEvT1_,comdat
.Lfunc_end5619:
	.size	_ZN7rocprim17ROCPRIM_400000_NS6detail17trampoline_kernelINS0_14default_configENS1_20scan_config_selectorIxEEZZNS1_9scan_implILNS1_25lookback_scan_determinismE0ELb0ELb0ES3_N6thrust23THRUST_200600_302600_NS6detail15normal_iteratorINS9_10device_ptrIxEEEENS9_16discard_iteratorINS9_11use_defaultEEExNS9_4plusIvEExEEDaPvRmT3_T4_T5_mT6_P12ihipStream_tbENKUlT_T0_E_clISt17integral_constantIbLb1EESW_IbLb0EEEEDaSS_ST_EUlSS_E_NS1_11comp_targetILNS1_3genE5ELNS1_11target_archE942ELNS1_3gpuE9ELNS1_3repE0EEENS1_30default_config_static_selectorELNS0_4arch9wavefront6targetE1EEEvT1_, .Lfunc_end5619-_ZN7rocprim17ROCPRIM_400000_NS6detail17trampoline_kernelINS0_14default_configENS1_20scan_config_selectorIxEEZZNS1_9scan_implILNS1_25lookback_scan_determinismE0ELb0ELb0ES3_N6thrust23THRUST_200600_302600_NS6detail15normal_iteratorINS9_10device_ptrIxEEEENS9_16discard_iteratorINS9_11use_defaultEEExNS9_4plusIvEExEEDaPvRmT3_T4_T5_mT6_P12ihipStream_tbENKUlT_T0_E_clISt17integral_constantIbLb1EESW_IbLb0EEEEDaSS_ST_EUlSS_E_NS1_11comp_targetILNS1_3genE5ELNS1_11target_archE942ELNS1_3gpuE9ELNS1_3repE0EEENS1_30default_config_static_selectorELNS0_4arch9wavefront6targetE1EEEvT1_
                                        ; -- End function
	.section	.AMDGPU.csdata,"",@progbits
; Kernel info:
; codeLenInByte = 0
; NumSgprs: 4
; NumVgprs: 0
; NumAgprs: 0
; TotalNumVgprs: 0
; ScratchSize: 0
; MemoryBound: 0
; FloatMode: 240
; IeeeMode: 1
; LDSByteSize: 0 bytes/workgroup (compile time only)
; SGPRBlocks: 0
; VGPRBlocks: 0
; NumSGPRsForWavesPerEU: 4
; NumVGPRsForWavesPerEU: 1
; AccumOffset: 4
; Occupancy: 8
; WaveLimiterHint : 0
; COMPUTE_PGM_RSRC2:SCRATCH_EN: 0
; COMPUTE_PGM_RSRC2:USER_SGPR: 6
; COMPUTE_PGM_RSRC2:TRAP_HANDLER: 0
; COMPUTE_PGM_RSRC2:TGID_X_EN: 1
; COMPUTE_PGM_RSRC2:TGID_Y_EN: 0
; COMPUTE_PGM_RSRC2:TGID_Z_EN: 0
; COMPUTE_PGM_RSRC2:TIDIG_COMP_CNT: 0
; COMPUTE_PGM_RSRC3_GFX90A:ACCUM_OFFSET: 0
; COMPUTE_PGM_RSRC3_GFX90A:TG_SPLIT: 0
	.section	.text._ZN7rocprim17ROCPRIM_400000_NS6detail17trampoline_kernelINS0_14default_configENS1_20scan_config_selectorIxEEZZNS1_9scan_implILNS1_25lookback_scan_determinismE0ELb0ELb0ES3_N6thrust23THRUST_200600_302600_NS6detail15normal_iteratorINS9_10device_ptrIxEEEENS9_16discard_iteratorINS9_11use_defaultEEExNS9_4plusIvEExEEDaPvRmT3_T4_T5_mT6_P12ihipStream_tbENKUlT_T0_E_clISt17integral_constantIbLb1EESW_IbLb0EEEEDaSS_ST_EUlSS_E_NS1_11comp_targetILNS1_3genE4ELNS1_11target_archE910ELNS1_3gpuE8ELNS1_3repE0EEENS1_30default_config_static_selectorELNS0_4arch9wavefront6targetE1EEEvT1_,"axG",@progbits,_ZN7rocprim17ROCPRIM_400000_NS6detail17trampoline_kernelINS0_14default_configENS1_20scan_config_selectorIxEEZZNS1_9scan_implILNS1_25lookback_scan_determinismE0ELb0ELb0ES3_N6thrust23THRUST_200600_302600_NS6detail15normal_iteratorINS9_10device_ptrIxEEEENS9_16discard_iteratorINS9_11use_defaultEEExNS9_4plusIvEExEEDaPvRmT3_T4_T5_mT6_P12ihipStream_tbENKUlT_T0_E_clISt17integral_constantIbLb1EESW_IbLb0EEEEDaSS_ST_EUlSS_E_NS1_11comp_targetILNS1_3genE4ELNS1_11target_archE910ELNS1_3gpuE8ELNS1_3repE0EEENS1_30default_config_static_selectorELNS0_4arch9wavefront6targetE1EEEvT1_,comdat
	.protected	_ZN7rocprim17ROCPRIM_400000_NS6detail17trampoline_kernelINS0_14default_configENS1_20scan_config_selectorIxEEZZNS1_9scan_implILNS1_25lookback_scan_determinismE0ELb0ELb0ES3_N6thrust23THRUST_200600_302600_NS6detail15normal_iteratorINS9_10device_ptrIxEEEENS9_16discard_iteratorINS9_11use_defaultEEExNS9_4plusIvEExEEDaPvRmT3_T4_T5_mT6_P12ihipStream_tbENKUlT_T0_E_clISt17integral_constantIbLb1EESW_IbLb0EEEEDaSS_ST_EUlSS_E_NS1_11comp_targetILNS1_3genE4ELNS1_11target_archE910ELNS1_3gpuE8ELNS1_3repE0EEENS1_30default_config_static_selectorELNS0_4arch9wavefront6targetE1EEEvT1_ ; -- Begin function _ZN7rocprim17ROCPRIM_400000_NS6detail17trampoline_kernelINS0_14default_configENS1_20scan_config_selectorIxEEZZNS1_9scan_implILNS1_25lookback_scan_determinismE0ELb0ELb0ES3_N6thrust23THRUST_200600_302600_NS6detail15normal_iteratorINS9_10device_ptrIxEEEENS9_16discard_iteratorINS9_11use_defaultEEExNS9_4plusIvEExEEDaPvRmT3_T4_T5_mT6_P12ihipStream_tbENKUlT_T0_E_clISt17integral_constantIbLb1EESW_IbLb0EEEEDaSS_ST_EUlSS_E_NS1_11comp_targetILNS1_3genE4ELNS1_11target_archE910ELNS1_3gpuE8ELNS1_3repE0EEENS1_30default_config_static_selectorELNS0_4arch9wavefront6targetE1EEEvT1_
	.globl	_ZN7rocprim17ROCPRIM_400000_NS6detail17trampoline_kernelINS0_14default_configENS1_20scan_config_selectorIxEEZZNS1_9scan_implILNS1_25lookback_scan_determinismE0ELb0ELb0ES3_N6thrust23THRUST_200600_302600_NS6detail15normal_iteratorINS9_10device_ptrIxEEEENS9_16discard_iteratorINS9_11use_defaultEEExNS9_4plusIvEExEEDaPvRmT3_T4_T5_mT6_P12ihipStream_tbENKUlT_T0_E_clISt17integral_constantIbLb1EESW_IbLb0EEEEDaSS_ST_EUlSS_E_NS1_11comp_targetILNS1_3genE4ELNS1_11target_archE910ELNS1_3gpuE8ELNS1_3repE0EEENS1_30default_config_static_selectorELNS0_4arch9wavefront6targetE1EEEvT1_
	.p2align	8
	.type	_ZN7rocprim17ROCPRIM_400000_NS6detail17trampoline_kernelINS0_14default_configENS1_20scan_config_selectorIxEEZZNS1_9scan_implILNS1_25lookback_scan_determinismE0ELb0ELb0ES3_N6thrust23THRUST_200600_302600_NS6detail15normal_iteratorINS9_10device_ptrIxEEEENS9_16discard_iteratorINS9_11use_defaultEEExNS9_4plusIvEExEEDaPvRmT3_T4_T5_mT6_P12ihipStream_tbENKUlT_T0_E_clISt17integral_constantIbLb1EESW_IbLb0EEEEDaSS_ST_EUlSS_E_NS1_11comp_targetILNS1_3genE4ELNS1_11target_archE910ELNS1_3gpuE8ELNS1_3repE0EEENS1_30default_config_static_selectorELNS0_4arch9wavefront6targetE1EEEvT1_,@function
_ZN7rocprim17ROCPRIM_400000_NS6detail17trampoline_kernelINS0_14default_configENS1_20scan_config_selectorIxEEZZNS1_9scan_implILNS1_25lookback_scan_determinismE0ELb0ELb0ES3_N6thrust23THRUST_200600_302600_NS6detail15normal_iteratorINS9_10device_ptrIxEEEENS9_16discard_iteratorINS9_11use_defaultEEExNS9_4plusIvEExEEDaPvRmT3_T4_T5_mT6_P12ihipStream_tbENKUlT_T0_E_clISt17integral_constantIbLb1EESW_IbLb0EEEEDaSS_ST_EUlSS_E_NS1_11comp_targetILNS1_3genE4ELNS1_11target_archE910ELNS1_3gpuE8ELNS1_3repE0EEENS1_30default_config_static_selectorELNS0_4arch9wavefront6targetE1EEEvT1_: ; @_ZN7rocprim17ROCPRIM_400000_NS6detail17trampoline_kernelINS0_14default_configENS1_20scan_config_selectorIxEEZZNS1_9scan_implILNS1_25lookback_scan_determinismE0ELb0ELb0ES3_N6thrust23THRUST_200600_302600_NS6detail15normal_iteratorINS9_10device_ptrIxEEEENS9_16discard_iteratorINS9_11use_defaultEEExNS9_4plusIvEExEEDaPvRmT3_T4_T5_mT6_P12ihipStream_tbENKUlT_T0_E_clISt17integral_constantIbLb1EESW_IbLb0EEEEDaSS_ST_EUlSS_E_NS1_11comp_targetILNS1_3genE4ELNS1_11target_archE910ELNS1_3gpuE8ELNS1_3repE0EEENS1_30default_config_static_selectorELNS0_4arch9wavefront6targetE1EEEvT1_
; %bb.0:
	s_load_dwordx4 s[0:3], s[4:5], 0x0
	s_load_dwordx2 s[8:9], s[4:5], 0x20
	s_load_dword s7, s[4:5], 0x40
	v_lshlrev_b32_e32 v1, 3, v0
	s_waitcnt lgkmcnt(0)
	s_lshl_b64 s[2:3], s[2:3], 3
	s_add_u32 s2, s0, s2
	s_addc_u32 s3, s1, s3
	s_add_i32 s7, s7, -1
	s_mul_i32 s10, s7, 0x380
	s_sub_u32 s18, s8, s10
	s_subb_u32 s19, s9, 0
	s_mul_i32 s0, s6, 0x380
	s_mov_b32 s1, 0
	s_cmp_lg_u32 s6, s7
	s_cselect_b64 s[12:13], -1, 0
	s_lshl_b64 s[0:1], s[0:1], 3
	s_add_u32 s0, s2, s0
	s_addc_u32 s1, s3, s1
	s_mov_b64 s[2:3], -1
	s_and_b64 vcc, exec, s[12:13]
	s_cbranch_vccz .LBB5620_2
; %bb.1:
	v_mov_b32_e32 v3, s1
	v_add_co_u32_e32 v2, vcc, s0, v1
	v_addc_co_u32_e32 v3, vcc, 0, v3, vcc
	flat_load_dwordx2 v[4:5], v[2:3]
	flat_load_dwordx2 v[6:7], v[2:3] offset:1024
	flat_load_dwordx2 v[8:9], v[2:3] offset:2048
	flat_load_dwordx2 v[10:11], v[2:3] offset:3072
	v_add_co_u32_e32 v2, vcc, 0x1000, v2
	v_addc_co_u32_e32 v3, vcc, 0, v3, vcc
	flat_load_dwordx2 v[12:13], v[2:3]
	flat_load_dwordx2 v[14:15], v[2:3] offset:1024
	flat_load_dwordx2 v[16:17], v[2:3] offset:2048
	s_mov_b64 s[2:3], 0
	s_waitcnt vmcnt(0) lgkmcnt(0)
	ds_write2st64_b64 v1, v[4:5], v[6:7] offset1:2
	ds_write2st64_b64 v1, v[8:9], v[10:11] offset0:4 offset1:6
	ds_write2st64_b64 v1, v[12:13], v[14:15] offset0:8 offset1:10
	ds_write_b64 v1, v[16:17] offset:6144
	s_waitcnt lgkmcnt(0)
	s_barrier
.LBB5620_2:
	s_load_dwordx2 s[14:15], s[4:5], 0x38
	s_andn2_b64 vcc, exec, s[2:3]
	s_cbranch_vccnz .LBB5620_18
; %bb.3:
	v_pk_mov_b32 v[2:3], s[0:1], s[0:1] op_sel:[0,1]
	flat_load_dwordx2 v[2:3], v[2:3]
	v_cmp_gt_u32_e32 vcc, s18, v0
	s_waitcnt vmcnt(0) lgkmcnt(0)
	v_mov_b32_e32 v4, v2
	v_mov_b32_e32 v5, v3
	;; [unrolled: 1-line block ×10, first 2 shown]
	v_pk_mov_b32 v[18:19], v[14:15], v[14:15] op_sel:[0,1]
	v_pk_mov_b32 v[16:17], v[12:13], v[12:13] op_sel:[0,1]
	;; [unrolled: 1-line block ×8, first 2 shown]
	s_and_saveexec_b64 s[2:3], vcc
	s_cbranch_execz .LBB5620_5
; %bb.4:
	v_mov_b32_e32 v5, s1
	v_add_co_u32_e32 v4, vcc, s0, v1
	v_addc_co_u32_e32 v5, vcc, 0, v5, vcc
	flat_load_dwordx2 v[20:21], v[4:5]
	v_mov_b32_e32 v4, v2
	v_mov_b32_e32 v5, v3
	;; [unrolled: 1-line block ×10, first 2 shown]
	v_pk_mov_b32 v[18:19], v[14:15], v[14:15] op_sel:[0,1]
	v_pk_mov_b32 v[16:17], v[12:13], v[12:13] op_sel:[0,1]
	;; [unrolled: 1-line block ×8, first 2 shown]
	s_waitcnt vmcnt(0) lgkmcnt(0)
	v_pk_mov_b32 v[2:3], v[20:21], v[20:21] op_sel:[0,1]
.LBB5620_5:
	s_or_b64 exec, exec, s[2:3]
	v_or_b32_e32 v4, 0x80, v0
	v_cmp_gt_u32_e32 vcc, s18, v4
	s_and_saveexec_b64 s[2:3], vcc
	s_cbranch_execz .LBB5620_7
; %bb.6:
	v_mov_b32_e32 v5, s1
	v_add_co_u32_e32 v4, vcc, s0, v1
	v_addc_co_u32_e32 v5, vcc, 0, v5, vcc
	flat_load_dwordx2 v[6:7], v[4:5] offset:1024
.LBB5620_7:
	s_or_b64 exec, exec, s[2:3]
	v_or_b32_e32 v4, 0x100, v0
	v_cmp_gt_u32_e32 vcc, s18, v4
	s_and_saveexec_b64 s[2:3], vcc
	s_cbranch_execz .LBB5620_9
; %bb.8:
	v_mov_b32_e32 v5, s1
	v_add_co_u32_e32 v4, vcc, s0, v1
	v_addc_co_u32_e32 v5, vcc, 0, v5, vcc
	flat_load_dwordx2 v[8:9], v[4:5] offset:2048
.LBB5620_9:
	;; [unrolled: 11-line block ×3, first 2 shown]
	s_or_b64 exec, exec, s[2:3]
	v_or_b32_e32 v4, 0x200, v0
	v_cmp_gt_u32_e32 vcc, s18, v4
	s_and_saveexec_b64 s[2:3], vcc
	s_cbranch_execz .LBB5620_13
; %bb.12:
	v_lshlrev_b32_e32 v4, 3, v4
	v_mov_b32_e32 v5, s1
	v_add_co_u32_e32 v4, vcc, s0, v4
	v_addc_co_u32_e32 v5, vcc, 0, v5, vcc
	flat_load_dwordx2 v[12:13], v[4:5]
.LBB5620_13:
	s_or_b64 exec, exec, s[2:3]
	v_or_b32_e32 v4, 0x280, v0
	v_cmp_gt_u32_e32 vcc, s18, v4
	s_and_saveexec_b64 s[2:3], vcc
	s_cbranch_execz .LBB5620_15
; %bb.14:
	v_lshlrev_b32_e32 v4, 3, v4
	v_mov_b32_e32 v5, s1
	v_add_co_u32_e32 v4, vcc, s0, v4
	v_addc_co_u32_e32 v5, vcc, 0, v5, vcc
	flat_load_dwordx2 v[14:15], v[4:5]
.LBB5620_15:
	;; [unrolled: 12-line block ×3, first 2 shown]
	s_or_b64 exec, exec, s[2:3]
	s_waitcnt vmcnt(0) lgkmcnt(0)
	ds_write2st64_b64 v1, v[2:3], v[6:7] offset1:2
	ds_write2st64_b64 v1, v[8:9], v[10:11] offset0:4 offset1:6
	ds_write2st64_b64 v1, v[12:13], v[14:15] offset0:8 offset1:10
	ds_write_b64 v1, v[16:17] offset:6144
	s_waitcnt lgkmcnt(0)
	s_barrier
.LBB5620_18:
	v_mul_u32_u24_e32 v36, 7, v0
	v_lshlrev_b32_e32 v1, 3, v36
	s_waitcnt lgkmcnt(0)
	ds_read2_b64 v[2:5], v1 offset1:1
	ds_read2_b64 v[10:13], v1 offset0:2 offset1:3
	ds_read2_b64 v[6:9], v1 offset0:4 offset1:5
	ds_read_b64 v[28:29], v1 offset:48
	s_cmp_lg_u32 s6, 0
	v_lshrrev_b32_e32 v37, 5, v0
	v_cmp_gt_u32_e32 vcc, 64, v0
	s_waitcnt lgkmcnt(0)
	s_barrier
	s_cbranch_scc0 .LBB5620_49
; %bb.19:
	v_add_co_u32_e64 v1, s[0:1], v4, v2
	v_addc_co_u32_e64 v14, s[0:1], v5, v3, s[0:1]
	v_add_co_u32_e64 v1, s[0:1], v1, v10
	v_addc_co_u32_e64 v14, s[0:1], v14, v11, s[0:1]
	;; [unrolled: 2-line block ×6, first 2 shown]
	v_add_lshl_u32 v1, v37, v0, 3
	ds_write_b64 v1, v[18:19]
	s_waitcnt lgkmcnt(0)
	s_barrier
	s_and_saveexec_b64 s[8:9], vcc
	s_cbranch_execz .LBB5620_23
; %bb.20:
	v_lshlrev_b32_e32 v1, 1, v0
	v_lshrrev_b32_e32 v14, 4, v0
	v_add_lshl_u32 v20, v14, v1, 3
	ds_read2_b64 v[14:17], v20 offset1:1
	v_mbcnt_lo_u32_b32 v1, -1, 0
	s_waitcnt lgkmcnt(0)
	v_add_co_u32_e64 v21, s[0:1], v16, v14
	v_addc_co_u32_e64 v22, s[0:1], v17, v15, s[0:1]
	s_nop 0
	v_mov_b32_dpp v16, v21 row_shr:1 row_mask:0xf bank_mask:0xf
	v_add_co_u32_e64 v16, s[0:1], v21, v16
	v_addc_co_u32_e64 v24, s[0:1], 0, v22, s[0:1]
	v_mbcnt_hi_u32_b32 v17, -1, v1
	v_mov_b32_dpp v23, v22 row_shr:1 row_mask:0xf bank_mask:0xf
	v_add_co_u32_e64 v25, s[0:1], 0, v16
	v_and_b32_e32 v1, 15, v17
	v_addc_co_u32_e64 v23, s[0:1], v23, v24, s[0:1]
	v_cmp_eq_u32_e64 s[0:1], 0, v1
	v_cndmask_b32_e64 v16, v16, v21, s[0:1]
	v_cndmask_b32_e64 v23, v23, v22, s[0:1]
	v_cndmask_b32_e64 v24, v25, v21, s[0:1]
	v_mov_b32_dpp v25, v16 row_shr:2 row_mask:0xf bank_mask:0xf
	v_mov_b32_dpp v26, v23 row_shr:2 row_mask:0xf bank_mask:0xf
	v_add_co_u32_e64 v25, s[0:1], v25, v24
	v_addc_co_u32_e64 v26, s[0:1], v26, v23, s[0:1]
	v_cmp_lt_u32_e64 s[0:1], 1, v1
	v_cndmask_b32_e64 v16, v16, v25, s[0:1]
	v_cndmask_b32_e64 v23, v23, v26, s[0:1]
	v_cndmask_b32_e64 v24, v24, v25, s[0:1]
	v_mov_b32_dpp v25, v16 row_shr:4 row_mask:0xf bank_mask:0xf
	v_mov_b32_dpp v26, v23 row_shr:4 row_mask:0xf bank_mask:0xf
	v_add_co_u32_e64 v25, s[0:1], v25, v24
	v_addc_co_u32_e64 v26, s[0:1], v26, v23, s[0:1]
	v_cmp_lt_u32_e64 s[0:1], 3, v1
	;; [unrolled: 8-line block ×3, first 2 shown]
	v_cndmask_b32_e64 v27, v16, v25, s[0:1]
	v_cndmask_b32_e64 v1, v23, v26, s[0:1]
	;; [unrolled: 1-line block ×3, first 2 shown]
	v_mov_b32_dpp v23, v27 row_bcast:15 row_mask:0xf bank_mask:0xf
	v_mov_b32_dpp v24, v1 row_bcast:15 row_mask:0xf bank_mask:0xf
	v_add_co_u32_e64 v23, s[0:1], v23, v16
	v_and_b32_e32 v26, 16, v17
	v_addc_co_u32_e64 v25, s[0:1], v24, v1, s[0:1]
	v_cmp_eq_u32_e64 s[0:1], 0, v26
	v_cndmask_b32_e64 v26, v25, v1, s[0:1]
	v_cndmask_b32_e64 v24, v23, v27, s[0:1]
	v_cmp_ne_u32_e64 s[2:3], 0, v17
	v_mov_b32_dpp v26, v26 row_bcast:31 row_mask:0xf bank_mask:0xf
	v_mov_b32_dpp v24, v24 row_bcast:31 row_mask:0xf bank_mask:0xf
	s_and_saveexec_b64 s[10:11], s[2:3]
; %bb.21:
	v_cndmask_b32_e64 v1, v25, v1, s[0:1]
	v_cndmask_b32_e64 v16, v23, v16, s[0:1]
	v_cmp_lt_u32_e64 s[0:1], 31, v17
	v_cndmask_b32_e64 v21, 0, v24, s[0:1]
	v_cndmask_b32_e64 v22, 0, v26, s[0:1]
	v_add_co_u32_e64 v21, s[0:1], v21, v16
	v_addc_co_u32_e64 v22, s[0:1], v22, v1, s[0:1]
; %bb.22:
	s_or_b64 exec, exec, s[10:11]
	v_add_u32_e32 v1, -1, v17
	v_and_b32_e32 v16, 64, v17
	v_cmp_lt_i32_e64 s[0:1], v1, v16
	v_cndmask_b32_e64 v1, v1, v17, s[0:1]
	v_lshlrev_b32_e32 v1, 2, v1
	ds_bpermute_b32 v16, v1, v21
	ds_bpermute_b32 v1, v1, v22
	; wave barrier
	s_waitcnt lgkmcnt(1)
	v_add_co_u32_e64 v14, s[0:1], v14, v16
	v_addc_co_u32_e64 v15, s[0:1], 0, v15, s[0:1]
	v_add_co_u32_e64 v14, s[0:1], 0, v14
	s_waitcnt lgkmcnt(0)
	v_addc_co_u32_e64 v1, s[0:1], v15, v1, s[0:1]
	v_cmp_eq_u32_e64 s[0:1], 0, v0
	v_cndmask_b32_e64 v15, v1, v19, s[0:1]
	v_cndmask_b32_e64 v14, v14, v18, s[0:1]
	ds_write_b64 v20, v[14:15]
	; wave barrier
	ds_read_b64 v[16:17], v20 offset:8
	s_waitcnt lgkmcnt(0)
	v_add_co_u32_e64 v14, s[0:1], v16, v14
	v_addc_co_u32_e64 v15, s[0:1], v17, v15, s[0:1]
	ds_write_b64 v20, v[14:15] offset:8
.LBB5620_23:
	s_or_b64 exec, exec, s[8:9]
	v_cmp_eq_u32_e64 s[0:1], 0, v0
	v_cmp_ne_u32_e64 s[2:3], 0, v0
	v_pk_mov_b32 v[22:23], 0, 0
	s_waitcnt lgkmcnt(0)
	s_barrier
	s_and_saveexec_b64 s[8:9], s[2:3]
	s_cbranch_execz .LBB5620_25
; %bb.24:
	v_add_u32_e32 v1, -1, v0
	v_lshrrev_b32_e32 v14, 5, v1
	v_add_lshl_u32 v1, v14, v1, 3
	ds_read_b64 v[22:23], v1
.LBB5620_25:
	s_or_b64 exec, exec, s[8:9]
	s_and_saveexec_b64 s[16:17], vcc
	s_cbranch_execz .LBB5620_48
; %bb.26:
	v_mov_b32_e32 v17, 0
	ds_read_b64 v[14:15], v17 offset:1040
	v_mbcnt_lo_u32_b32 v1, -1, 0
	v_mbcnt_hi_u32_b32 v30, -1, v1
	s_mov_b32 s11, 0
	v_cmp_eq_u32_e64 s[2:3], 0, v30
	s_and_saveexec_b64 s[8:9], s[2:3]
	s_cbranch_execz .LBB5620_28
; %bb.27:
	s_add_i32 s10, s6, 64
	s_lshl_b64 s[10:11], s[10:11], 4
	s_add_u32 s10, s14, s10
	s_addc_u32 s11, s15, s11
	v_mov_b32_e32 v16, 1
	v_pk_mov_b32 v[18:19], s[10:11], s[10:11] op_sel:[0,1]
	s_waitcnt lgkmcnt(0)
	;;#ASMSTART
	global_store_dwordx4 v[18:19], v[14:17] off	
s_waitcnt vmcnt(0)
	;;#ASMEND
.LBB5620_28:
	s_or_b64 exec, exec, s[8:9]
	v_xad_u32 v24, v30, -1, s6
	v_add_u32_e32 v16, 64, v24
	v_lshlrev_b64 v[18:19], 4, v[16:17]
	v_mov_b32_e32 v1, s15
	v_add_co_u32_e32 v26, vcc, s14, v18
	v_addc_co_u32_e32 v27, vcc, v1, v19, vcc
	;;#ASMSTART
	global_load_dwordx4 v[18:21], v[26:27] off glc	
s_waitcnt vmcnt(0)
	;;#ASMEND
	v_and_b32_e32 v1, 0xff, v19
	v_and_b32_e32 v16, 0xff00, v19
	v_or3_b32 v1, 0, v1, v16
	v_or3_b32 v16, v18, 0, 0
	v_and_b32_e32 v18, 0xff000000, v19
	v_and_b32_e32 v19, 0xff0000, v19
	v_or3_b32 v19, v1, v19, v18
	v_or3_b32 v18, v16, 0, 0
	v_cmp_eq_u16_sdwa s[10:11], v20, v17 src0_sel:BYTE_0 src1_sel:DWORD
	s_and_saveexec_b64 s[8:9], s[10:11]
	s_cbranch_execz .LBB5620_34
; %bb.29:
	s_mov_b32 s7, 1
	s_mov_b64 s[10:11], 0
	v_mov_b32_e32 v1, 0
.LBB5620_30:                            ; =>This Loop Header: Depth=1
                                        ;     Child Loop BB5620_31 Depth 2
	s_max_u32 s20, s7, 1
.LBB5620_31:                            ;   Parent Loop BB5620_30 Depth=1
                                        ; =>  This Inner Loop Header: Depth=2
	s_add_i32 s20, s20, -1
	s_cmp_eq_u32 s20, 0
	s_sleep 1
	s_cbranch_scc0 .LBB5620_31
; %bb.32:                               ;   in Loop: Header=BB5620_30 Depth=1
	s_cmp_lt_u32 s7, 32
	s_cselect_b64 s[20:21], -1, 0
	s_cmp_lg_u64 s[20:21], 0
	s_addc_u32 s7, s7, 0
	;;#ASMSTART
	global_load_dwordx4 v[18:21], v[26:27] off glc	
s_waitcnt vmcnt(0)
	;;#ASMEND
	v_cmp_ne_u16_sdwa s[20:21], v20, v1 src0_sel:BYTE_0 src1_sel:DWORD
	s_or_b64 s[10:11], s[20:21], s[10:11]
	s_andn2_b64 exec, exec, s[10:11]
	s_cbranch_execnz .LBB5620_30
; %bb.33:
	s_or_b64 exec, exec, s[10:11]
.LBB5620_34:
	s_or_b64 exec, exec, s[8:9]
	v_and_b32_e32 v32, 63, v30
	v_cmp_ne_u32_e32 vcc, 63, v32
	v_addc_co_u32_e32 v26, vcc, 0, v30, vcc
	v_lshlrev_b32_e32 v33, 2, v26
	ds_bpermute_b32 v26, v33, v18
	v_mov_b32_e32 v1, 2
	v_cmp_eq_u16_sdwa s[8:9], v20, v1 src0_sel:BYTE_0 src1_sel:DWORD
	v_lshlrev_b64 v[16:17], v30, -1
	ds_bpermute_b32 v27, v33, v19
	v_and_b32_e32 v21, s9, v17
	v_or_b32_e32 v21, 0x80000000, v21
	s_waitcnt lgkmcnt(1)
	v_add_co_u32_e32 v26, vcc, v18, v26
	v_and_b32_e32 v25, s8, v16
	v_ffbl_b32_e32 v21, v21
	v_addc_co_u32_e32 v31, vcc, 0, v19, vcc
	v_add_u32_e32 v21, 32, v21
	v_ffbl_b32_e32 v25, v25
	v_add_co_u32_e32 v35, vcc, 0, v26
	v_cmp_gt_u32_e64 s[8:9], 62, v32
	v_min_u32_e32 v21, v25, v21
	s_waitcnt lgkmcnt(0)
	v_addc_co_u32_e32 v27, vcc, v27, v31, vcc
	v_cndmask_b32_e64 v31, 0, 1, s[8:9]
	v_cmp_lt_u32_e32 vcc, v32, v21
	v_lshlrev_b32_e32 v31, 1, v31
	v_cndmask_b32_e32 v26, v18, v26, vcc
	v_add_lshl_u32 v34, v31, v30, 2
	v_cndmask_b32_e32 v27, v19, v27, vcc
	ds_bpermute_b32 v31, v34, v26
	ds_bpermute_b32 v38, v34, v27
	v_cndmask_b32_e32 v39, v18, v35, vcc
	v_add_u32_e32 v35, 2, v32
	v_cmp_gt_u32_e64 s[10:11], 60, v32
	s_waitcnt lgkmcnt(1)
	v_add_co_u32_e64 v31, s[8:9], v31, v39
	s_waitcnt lgkmcnt(0)
	v_addc_co_u32_e64 v38, s[8:9], v38, v27, s[8:9]
	v_cmp_gt_u32_e64 s[8:9], v35, v21
	v_cndmask_b32_e64 v27, v38, v27, s[8:9]
	v_cndmask_b32_e64 v38, 0, 1, s[10:11]
	v_lshlrev_b32_e32 v38, 2, v38
	v_cndmask_b32_e64 v26, v31, v26, s[8:9]
	v_add_lshl_u32 v38, v38, v30, 2
	ds_bpermute_b32 v40, v38, v26
	ds_bpermute_b32 v41, v38, v27
	v_cndmask_b32_e64 v31, v31, v39, s[8:9]
	v_add_u32_e32 v39, 4, v32
	v_cmp_gt_u32_e64 s[10:11], 56, v32
	s_waitcnt lgkmcnt(1)
	v_add_co_u32_e64 v42, s[8:9], v40, v31
	s_waitcnt lgkmcnt(0)
	v_addc_co_u32_e64 v40, s[8:9], v41, v27, s[8:9]
	v_cmp_gt_u32_e64 s[8:9], v39, v21
	v_cndmask_b32_e64 v27, v40, v27, s[8:9]
	v_cndmask_b32_e64 v40, 0, 1, s[10:11]
	v_lshlrev_b32_e32 v40, 3, v40
	v_cndmask_b32_e64 v26, v42, v26, s[8:9]
	v_add_lshl_u32 v40, v40, v30, 2
	ds_bpermute_b32 v43, v40, v26
	v_cndmask_b32_e64 v31, v42, v31, s[8:9]
	ds_bpermute_b32 v42, v40, v27
	v_add_u32_e32 v41, 8, v32
	v_cmp_gt_u32_e64 s[10:11], 48, v32
	s_waitcnt lgkmcnt(1)
	v_add_co_u32_e64 v43, s[8:9], v43, v31
	s_waitcnt lgkmcnt(0)
	v_addc_co_u32_e64 v42, s[8:9], v42, v27, s[8:9]
	v_cmp_gt_u32_e64 s[8:9], v41, v21
	v_cndmask_b32_e64 v27, v42, v27, s[8:9]
	v_cndmask_b32_e64 v42, 0, 1, s[10:11]
	v_lshlrev_b32_e32 v42, 4, v42
	v_cndmask_b32_e64 v26, v43, v26, s[8:9]
	v_add_lshl_u32 v42, v42, v30, 2
	ds_bpermute_b32 v44, v42, v26
	ds_bpermute_b32 v45, v42, v27
	v_cndmask_b32_e64 v31, v43, v31, s[8:9]
	v_cmp_gt_u32_e64 s[10:11], 32, v32
	v_add_u32_e32 v43, 16, v32
	s_waitcnt lgkmcnt(1)
	v_add_co_u32_e64 v46, s[8:9], v44, v31
	s_waitcnt lgkmcnt(0)
	v_addc_co_u32_e64 v45, s[8:9], v45, v27, s[8:9]
	v_cndmask_b32_e64 v44, 0, 1, s[10:11]
	v_cmp_gt_u32_e64 s[8:9], v43, v21
	v_lshlrev_b32_e32 v44, 5, v44
	v_cndmask_b32_e64 v26, v46, v26, s[8:9]
	v_add_lshl_u32 v44, v44, v30, 2
	v_cndmask_b32_e64 v27, v45, v27, s[8:9]
	ds_bpermute_b32 v26, v44, v26
	ds_bpermute_b32 v30, v44, v27
	v_add_u32_e32 v45, 32, v32
	v_cndmask_b32_e64 v31, v46, v31, s[8:9]
	v_cmp_le_u32_e64 s[8:9], v45, v21
	s_waitcnt lgkmcnt(1)
	v_cndmask_b32_e64 v26, 0, v26, s[8:9]
	s_waitcnt lgkmcnt(0)
	v_cndmask_b32_e64 v21, 0, v30, s[8:9]
	v_add_co_u32_e64 v26, s[8:9], v26, v31
	v_addc_co_u32_e64 v21, s[8:9], v21, v27, s[8:9]
	v_mov_b32_e32 v25, 0
	v_cndmask_b32_e32 v19, v19, v21, vcc
	v_cndmask_b32_e32 v18, v18, v26, vcc
	s_branch .LBB5620_36
.LBB5620_35:                            ;   in Loop: Header=BB5620_36 Depth=1
	s_or_b64 exec, exec, s[8:9]
	v_cmp_eq_u16_sdwa s[8:9], v20, v1 src0_sel:BYTE_0 src1_sel:DWORD
	v_and_b32_e32 v21, s9, v17
	v_or_b32_e32 v21, 0x80000000, v21
	ds_bpermute_b32 v31, v33, v18
	v_and_b32_e32 v30, s8, v16
	v_ffbl_b32_e32 v21, v21
	v_add_u32_e32 v21, 32, v21
	v_ffbl_b32_e32 v30, v30
	v_min_u32_e32 v21, v30, v21
	ds_bpermute_b32 v30, v33, v19
	s_waitcnt lgkmcnt(1)
	v_add_co_u32_e32 v31, vcc, v18, v31
	v_addc_co_u32_e32 v46, vcc, 0, v19, vcc
	v_add_co_u32_e32 v47, vcc, 0, v31
	s_waitcnt lgkmcnt(0)
	v_addc_co_u32_e32 v30, vcc, v30, v46, vcc
	v_cmp_lt_u32_e32 vcc, v32, v21
	v_cndmask_b32_e32 v31, v18, v31, vcc
	ds_bpermute_b32 v46, v34, v31
	v_cndmask_b32_e32 v30, v19, v30, vcc
	ds_bpermute_b32 v48, v34, v30
	v_cndmask_b32_e32 v47, v18, v47, vcc
	v_subrev_u32_e32 v24, 64, v24
	s_waitcnt lgkmcnt(1)
	v_add_co_u32_e64 v46, s[8:9], v46, v47
	s_waitcnt lgkmcnt(0)
	v_addc_co_u32_e64 v48, s[8:9], v48, v30, s[8:9]
	v_cmp_gt_u32_e64 s[8:9], v35, v21
	v_cndmask_b32_e64 v31, v46, v31, s[8:9]
	ds_bpermute_b32 v49, v38, v31
	v_cndmask_b32_e64 v30, v48, v30, s[8:9]
	ds_bpermute_b32 v48, v38, v30
	v_cndmask_b32_e64 v46, v46, v47, s[8:9]
	s_waitcnt lgkmcnt(1)
	v_add_co_u32_e64 v47, s[8:9], v49, v46
	s_waitcnt lgkmcnt(0)
	v_addc_co_u32_e64 v48, s[8:9], v48, v30, s[8:9]
	v_cmp_gt_u32_e64 s[8:9], v39, v21
	v_cndmask_b32_e64 v31, v47, v31, s[8:9]
	ds_bpermute_b32 v49, v40, v31
	v_cndmask_b32_e64 v30, v48, v30, s[8:9]
	ds_bpermute_b32 v48, v40, v30
	v_cndmask_b32_e64 v46, v47, v46, s[8:9]
	;; [unrolled: 10-line block ×3, first 2 shown]
	s_waitcnt lgkmcnt(1)
	v_add_co_u32_e64 v47, s[8:9], v49, v46
	s_waitcnt lgkmcnt(0)
	v_addc_co_u32_e64 v48, s[8:9], v48, v30, s[8:9]
	v_cmp_gt_u32_e64 s[8:9], v43, v21
	v_cndmask_b32_e64 v31, v47, v31, s[8:9]
	v_cndmask_b32_e64 v30, v48, v30, s[8:9]
	ds_bpermute_b32 v31, v44, v31
	ds_bpermute_b32 v48, v44, v30
	v_cndmask_b32_e64 v46, v47, v46, s[8:9]
	v_cmp_le_u32_e64 s[8:9], v45, v21
	s_waitcnt lgkmcnt(1)
	v_cndmask_b32_e64 v31, 0, v31, s[8:9]
	s_waitcnt lgkmcnt(0)
	v_cndmask_b32_e64 v21, 0, v48, s[8:9]
	v_add_co_u32_e64 v31, s[8:9], v31, v46
	v_addc_co_u32_e64 v21, s[8:9], v21, v30, s[8:9]
	v_cndmask_b32_e32 v18, v18, v31, vcc
	v_cndmask_b32_e32 v19, v19, v21, vcc
	v_add_co_u32_e32 v18, vcc, v18, v26
	v_addc_co_u32_e32 v19, vcc, v19, v27, vcc
.LBB5620_36:                            ; =>This Loop Header: Depth=1
                                        ;     Child Loop BB5620_39 Depth 2
                                        ;       Child Loop BB5620_40 Depth 3
	v_cmp_ne_u16_sdwa s[8:9], v20, v1 src0_sel:BYTE_0 src1_sel:DWORD
	v_cndmask_b32_e64 v20, 0, 1, s[8:9]
	;;#ASMSTART
	;;#ASMEND
	v_cmp_ne_u32_e32 vcc, 0, v20
	s_cmp_lg_u64 vcc, exec
	v_pk_mov_b32 v[26:27], v[18:19], v[18:19] op_sel:[0,1]
	s_cbranch_scc1 .LBB5620_43
; %bb.37:                               ;   in Loop: Header=BB5620_36 Depth=1
	v_lshlrev_b64 v[18:19], 4, v[24:25]
	v_mov_b32_e32 v20, s15
	v_add_co_u32_e32 v30, vcc, s14, v18
	v_addc_co_u32_e32 v31, vcc, v20, v19, vcc
	;;#ASMSTART
	global_load_dwordx4 v[18:21], v[30:31] off glc	
s_waitcnt vmcnt(0)
	;;#ASMEND
	v_and_b32_e32 v21, 0xff, v19
	v_and_b32_e32 v46, 0xff00, v19
	v_or3_b32 v21, 0, v21, v46
	v_or3_b32 v18, v18, 0, 0
	v_and_b32_e32 v46, 0xff000000, v19
	v_and_b32_e32 v19, 0xff0000, v19
	v_or3_b32 v19, v21, v19, v46
	v_or3_b32 v18, v18, 0, 0
	v_cmp_eq_u16_sdwa s[10:11], v20, v25 src0_sel:BYTE_0 src1_sel:DWORD
	s_and_saveexec_b64 s[8:9], s[10:11]
	s_cbranch_execz .LBB5620_35
; %bb.38:                               ;   in Loop: Header=BB5620_36 Depth=1
	s_mov_b32 s7, 1
	s_mov_b64 s[10:11], 0
.LBB5620_39:                            ;   Parent Loop BB5620_36 Depth=1
                                        ; =>  This Loop Header: Depth=2
                                        ;       Child Loop BB5620_40 Depth 3
	s_max_u32 s20, s7, 1
.LBB5620_40:                            ;   Parent Loop BB5620_36 Depth=1
                                        ;     Parent Loop BB5620_39 Depth=2
                                        ; =>    This Inner Loop Header: Depth=3
	s_add_i32 s20, s20, -1
	s_cmp_eq_u32 s20, 0
	s_sleep 1
	s_cbranch_scc0 .LBB5620_40
; %bb.41:                               ;   in Loop: Header=BB5620_39 Depth=2
	s_cmp_lt_u32 s7, 32
	s_cselect_b64 s[20:21], -1, 0
	s_cmp_lg_u64 s[20:21], 0
	s_addc_u32 s7, s7, 0
	;;#ASMSTART
	global_load_dwordx4 v[18:21], v[30:31] off glc	
s_waitcnt vmcnt(0)
	;;#ASMEND
	v_cmp_ne_u16_sdwa s[20:21], v20, v25 src0_sel:BYTE_0 src1_sel:DWORD
	s_or_b64 s[10:11], s[20:21], s[10:11]
	s_andn2_b64 exec, exec, s[10:11]
	s_cbranch_execnz .LBB5620_39
; %bb.42:                               ;   in Loop: Header=BB5620_36 Depth=1
	s_or_b64 exec, exec, s[10:11]
	s_branch .LBB5620_35
.LBB5620_43:                            ;   in Loop: Header=BB5620_36 Depth=1
                                        ; implicit-def: $vgpr18_vgpr19
                                        ; implicit-def: $vgpr20
	s_cbranch_execz .LBB5620_36
; %bb.44:
	s_and_saveexec_b64 s[8:9], s[2:3]
	s_cbranch_execz .LBB5620_46
; %bb.45:
	s_add_i32 s2, s6, 64
	s_mov_b32 s3, 0
	s_lshl_b64 s[2:3], s[2:3], 4
	s_add_u32 s2, s14, s2
	v_add_co_u32_e32 v14, vcc, v26, v14
	s_addc_u32 s3, s15, s3
	v_addc_co_u32_e32 v15, vcc, v27, v15, vcc
	v_mov_b32_e32 v16, 2
	v_mov_b32_e32 v17, 0
	v_pk_mov_b32 v[18:19], s[2:3], s[2:3] op_sel:[0,1]
	;;#ASMSTART
	global_store_dwordx4 v[18:19], v[14:17] off	
s_waitcnt vmcnt(0)
	;;#ASMEND
.LBB5620_46:
	s_or_b64 exec, exec, s[8:9]
	s_and_b64 exec, exec, s[0:1]
	s_cbranch_execz .LBB5620_48
; %bb.47:
	v_mov_b32_e32 v1, 0
	ds_write_b64 v1, v[26:27]
.LBB5620_48:
	s_or_b64 exec, exec, s[16:17]
	v_mov_b32_e32 v1, 0
	s_waitcnt lgkmcnt(0)
	s_barrier
	ds_read_b64 v[14:15], v1
	v_add_co_u32_e32 v1, vcc, v22, v2
	v_addc_co_u32_e32 v16, vcc, v23, v3, vcc
	s_waitcnt lgkmcnt(0)
	v_add_co_u32_e32 v24, vcc, v1, v14
	v_addc_co_u32_e32 v25, vcc, v16, v15, vcc
	v_add_co_u32_e32 v30, vcc, v24, v4
	v_addc_co_u32_e32 v31, vcc, v25, v5, vcc
	;; [unrolled: 2-line block ×7, first 2 shown]
	s_load_dwordx8 s[4:11], s[4:5], 0x48
	s_branch .LBB5620_63
.LBB5620_49:
                                        ; implicit-def: $vgpr22_vgpr23
                                        ; implicit-def: $vgpr34_vgpr35
                                        ; implicit-def: $vgpr32_vgpr33
                                        ; implicit-def: $vgpr30_vgpr31
                                        ; implicit-def: $vgpr18_vgpr19_vgpr20_vgpr21
                                        ; implicit-def: $vgpr14_vgpr15_vgpr16_vgpr17
                                        ; implicit-def: $vgpr24_vgpr25_vgpr26_vgpr27
	s_load_dwordx8 s[4:11], s[4:5], 0x48
	s_cbranch_execz .LBB5620_63
; %bb.50:
	s_waitcnt lgkmcnt(0)
	s_cmp_lg_u64 s[8:9], 0
	s_cselect_b64 s[2:3], -1, 0
	v_cmp_eq_u32_e64 s[0:1], 0, v0
	v_cmp_ne_u32_e32 vcc, 0, v0
	s_and_b64 s[2:3], s[0:1], s[2:3]
	s_and_saveexec_b64 s[8:9], s[2:3]
	s_cbranch_execz .LBB5620_52
; %bb.51:
	v_mov_b32_e32 v1, 0
	global_load_dwordx2 v[14:15], v1, s[4:5]
	s_waitcnt vmcnt(0)
	v_add_co_u32_e64 v2, s[2:3], v14, v2
	v_addc_co_u32_e64 v3, s[2:3], v15, v3, s[2:3]
.LBB5620_52:
	s_or_b64 exec, exec, s[8:9]
	v_add_co_u32_e64 v30, s[2:3], v4, v2
	v_addc_co_u32_e64 v31, s[2:3], v5, v3, s[2:3]
	v_add_co_u32_e64 v14, s[2:3], v30, v10
	v_addc_co_u32_e64 v15, s[2:3], v31, v11, s[2:3]
	;; [unrolled: 2-line block ×6, first 2 shown]
	v_add_lshl_u32 v1, v37, v0, 3
	v_cmp_gt_u32_e64 s[2:3], 64, v0
	ds_write_b64 v1, v[22:23]
	s_waitcnt lgkmcnt(0)
	s_barrier
	s_and_saveexec_b64 s[8:9], s[2:3]
	s_cbranch_execz .LBB5620_56
; %bb.53:
	v_lshlrev_b32_e32 v1, 1, v0
	v_lshrrev_b32_e32 v16, 4, v0
	v_add_lshl_u32 v17, v16, v1, 3
	ds_read2_b64 v[24:27], v17 offset1:1
	v_mbcnt_lo_u32_b32 v1, -1, 0
	v_mbcnt_hi_u32_b32 v20, -1, v1
	v_and_b32_e32 v1, 15, v20
	v_cmp_ne_u32_e64 s[4:5], 0, v20
	s_waitcnt lgkmcnt(0)
	v_add_co_u32_e64 v21, s[2:3], v26, v24
	v_addc_co_u32_e64 v26, s[2:3], v27, v25, s[2:3]
	s_nop 0
	v_mov_b32_dpp v16, v21 row_shr:1 row_mask:0xf bank_mask:0xf
	v_add_co_u32_e64 v16, s[2:3], v21, v16
	v_addc_co_u32_e64 v37, s[2:3], 0, v26, s[2:3]
	v_mov_b32_dpp v27, v26 row_shr:1 row_mask:0xf bank_mask:0xf
	v_add_co_u32_e64 v38, s[2:3], 0, v16
	v_addc_co_u32_e64 v27, s[2:3], v27, v37, s[2:3]
	v_cmp_eq_u32_e64 s[2:3], 0, v1
	v_cndmask_b32_e64 v16, v16, v21, s[2:3]
	v_cndmask_b32_e64 v27, v27, v26, s[2:3]
	v_cndmask_b32_e64 v37, v38, v21, s[2:3]
	v_mov_b32_dpp v38, v16 row_shr:2 row_mask:0xf bank_mask:0xf
	v_mov_b32_dpp v39, v27 row_shr:2 row_mask:0xf bank_mask:0xf
	v_add_co_u32_e64 v38, s[2:3], v38, v37
	v_addc_co_u32_e64 v39, s[2:3], v39, v27, s[2:3]
	v_cmp_lt_u32_e64 s[2:3], 1, v1
	v_cndmask_b32_e64 v16, v16, v38, s[2:3]
	v_cndmask_b32_e64 v27, v27, v39, s[2:3]
	v_cndmask_b32_e64 v37, v37, v38, s[2:3]
	v_mov_b32_dpp v38, v16 row_shr:4 row_mask:0xf bank_mask:0xf
	v_mov_b32_dpp v39, v27 row_shr:4 row_mask:0xf bank_mask:0xf
	v_add_co_u32_e64 v38, s[2:3], v38, v37
	v_addc_co_u32_e64 v39, s[2:3], v39, v27, s[2:3]
	v_cmp_lt_u32_e64 s[2:3], 3, v1
	;; [unrolled: 8-line block ×3, first 2 shown]
	v_cndmask_b32_e64 v40, v16, v38, s[2:3]
	v_cndmask_b32_e64 v1, v27, v39, s[2:3]
	;; [unrolled: 1-line block ×3, first 2 shown]
	v_mov_b32_dpp v27, v40 row_bcast:15 row_mask:0xf bank_mask:0xf
	v_mov_b32_dpp v37, v1 row_bcast:15 row_mask:0xf bank_mask:0xf
	v_add_co_u32_e64 v27, s[2:3], v27, v16
	v_and_b32_e32 v39, 16, v20
	v_addc_co_u32_e64 v38, s[2:3], v37, v1, s[2:3]
	v_cmp_eq_u32_e64 s[2:3], 0, v39
	v_cndmask_b32_e64 v39, v38, v1, s[2:3]
	v_cndmask_b32_e64 v37, v27, v40, s[2:3]
	s_nop 0
	v_mov_b32_dpp v39, v39 row_bcast:31 row_mask:0xf bank_mask:0xf
	v_mov_b32_dpp v37, v37 row_bcast:31 row_mask:0xf bank_mask:0xf
	s_and_saveexec_b64 s[16:17], s[4:5]
; %bb.54:
	v_cndmask_b32_e64 v1, v38, v1, s[2:3]
	v_cndmask_b32_e64 v16, v27, v16, s[2:3]
	v_cmp_lt_u32_e64 s[2:3], 31, v20
	v_cndmask_b32_e64 v21, 0, v37, s[2:3]
	v_cndmask_b32_e64 v26, 0, v39, s[2:3]
	v_add_co_u32_e64 v21, s[2:3], v21, v16
	v_addc_co_u32_e64 v26, s[2:3], v26, v1, s[2:3]
; %bb.55:
	s_or_b64 exec, exec, s[16:17]
	v_add_u32_e32 v1, -1, v20
	v_and_b32_e32 v16, 64, v20
	v_cmp_lt_i32_e64 s[2:3], v1, v16
	v_cndmask_b32_e64 v1, v1, v20, s[2:3]
	v_lshlrev_b32_e32 v1, 2, v1
	ds_bpermute_b32 v16, v1, v21
	ds_bpermute_b32 v1, v1, v26
	; wave barrier
	s_waitcnt lgkmcnt(1)
	v_add_co_u32_e64 v16, s[2:3], v24, v16
	v_addc_co_u32_e64 v20, s[2:3], 0, v25, s[2:3]
	v_add_co_u32_e64 v16, s[2:3], 0, v16
	s_waitcnt lgkmcnt(0)
	v_addc_co_u32_e64 v1, s[2:3], v20, v1, s[2:3]
	v_cndmask_b32_e64 v21, v1, v23, s[0:1]
	v_cndmask_b32_e64 v20, v16, v22, s[0:1]
	ds_write_b64 v17, v[20:21]
	; wave barrier
	ds_read_b64 v[24:25], v17 offset:8
	s_waitcnt lgkmcnt(0)
	v_add_co_u32_e64 v20, s[0:1], v24, v20
	v_addc_co_u32_e64 v21, s[0:1], v25, v21, s[0:1]
	ds_write_b64 v17, v[20:21] offset:8
.LBB5620_56:
	s_or_b64 exec, exec, s[8:9]
	v_pk_mov_b32 v[16:17], v[22:23], v[22:23] op_sel:[0,1]
	s_waitcnt lgkmcnt(0)
	s_barrier
	s_and_saveexec_b64 s[0:1], vcc
	s_cbranch_execz .LBB5620_58
; %bb.57:
	v_add_u32_e32 v1, -1, v0
	v_lshrrev_b32_e32 v16, 5, v1
	v_add_lshl_u32 v1, v16, v1, 3
	ds_read_b64 v[16:17], v1
.LBB5620_58:
	s_or_b64 exec, exec, s[0:1]
	s_and_saveexec_b64 s[0:1], vcc
	s_cbranch_execz .LBB5620_60
; %bb.59:
	s_waitcnt lgkmcnt(0)
	v_add_co_u32_e32 v2, vcc, v16, v2
	v_addc_co_u32_e32 v3, vcc, v17, v3, vcc
	v_add_co_u32_e32 v30, vcc, v2, v4
	v_addc_co_u32_e32 v31, vcc, v3, v5, vcc
	;; [unrolled: 2-line block ×7, first 2 shown]
	;;#ASMSTART
	;;#ASMEND
.LBB5620_60:
	s_or_b64 exec, exec, s[0:1]
	s_movk_i32 s0, 0x7f
	v_cmp_eq_u32_e32 vcc, s0, v0
	s_and_saveexec_b64 s[0:1], vcc
	s_cbranch_execz .LBB5620_62
; %bb.61:
	s_add_u32 s2, s14, 0x400
	s_addc_u32 s3, s15, 0
	v_mov_b32_e32 v24, 2
	v_mov_b32_e32 v25, 0
	v_pk_mov_b32 v[4:5], s[2:3], s[2:3] op_sel:[0,1]
	;;#ASMSTART
	global_store_dwordx4 v[4:5], v[22:25] off	
s_waitcnt vmcnt(0)
	;;#ASMEND
.LBB5620_62:
	s_or_b64 exec, exec, s[0:1]
	v_pk_mov_b32 v[24:25], v[2:3], v[2:3] op_sel:[0,1]
.LBB5620_63:
	v_mul_u32_u24_e32 v2, 56, v0
	s_mov_b64 s[0:1], -1
	s_and_b64 vcc, exec, s[12:13]
	s_waitcnt lgkmcnt(0)
	s_barrier
	ds_write2_b64 v2, v[24:25], v[30:31] offset1:1
	ds_write2_b64 v2, v[14:15], v[32:33] offset0:2 offset1:3
	ds_write2_b64 v2, v[18:19], v[34:35] offset0:4 offset1:5
	ds_write_b64 v2, v[22:23] offset:48
	s_waitcnt lgkmcnt(0)
	s_cbranch_vccz .LBB5620_65
; %bb.64:
	s_barrier
	s_mov_b64 s[0:1], 0
.LBB5620_65:
	s_andn2_b64 vcc, exec, s[0:1]
	s_cbranch_vccnz .LBB5620_90
; %bb.66:
	v_cmp_lt_u64_e64 s[0:1], s[10:11], 2
	s_and_b64 vcc, exec, s[0:1]
	s_barrier
	s_cbranch_vccnz .LBB5620_90
; %bb.67:
	s_add_u32 s0, s18, -1
	s_addc_u32 s1, s19, -1
	s_add_u32 s2, 0, 0x92481000
	s_addc_u32 s3, 0, 0x64
	s_add_i32 s3, s3, 0x249248c0
	s_mul_hi_u32 s9, s2, -7
	s_sub_i32 s9, s9, s2
	s_mul_i32 s10, s3, -7
	s_mul_i32 s4, s2, -7
	s_add_i32 s9, s9, s10
	s_mul_hi_u32 s5, s3, s4
	s_mul_i32 s8, s3, s4
	s_mul_i32 s11, s2, s9
	s_mul_hi_u32 s4, s2, s4
	s_mul_hi_u32 s10, s2, s9
	s_add_u32 s4, s4, s11
	s_addc_u32 s10, 0, s10
	s_add_u32 s4, s4, s8
	s_mul_hi_u32 s11, s3, s9
	s_addc_u32 s4, s10, s5
	s_addc_u32 s5, s11, 0
	s_mul_i32 s8, s3, s9
	s_add_u32 s4, s4, s8
	v_mov_b32_e32 v3, s4
	s_addc_u32 s5, 0, s5
	v_add_co_u32_e32 v3, vcc, s2, v3
	s_cmp_lg_u64 vcc, 0
	s_addc_u32 s2, s3, s5
	v_readfirstlane_b32 s5, v3
	s_mul_i32 s4, s0, s2
	s_mul_hi_u32 s8, s0, s5
	s_mul_hi_u32 s3, s0, s2
	s_add_u32 s4, s8, s4
	s_addc_u32 s3, 0, s3
	s_mul_hi_u32 s9, s1, s5
	s_mul_i32 s5, s1, s5
	s_add_u32 s4, s4, s5
	s_mul_hi_u32 s8, s1, s2
	s_addc_u32 s3, s3, s9
	s_addc_u32 s4, s8, 0
	s_mul_i32 s2, s1, s2
	s_add_u32 s2, s3, s2
	s_addc_u32 s3, 0, s4
	s_add_u32 s4, s2, 1
	s_addc_u32 s5, s3, 0
	s_add_u32 s8, s2, 2
	s_mul_i32 s10, s3, 7
	s_mul_hi_u32 s11, s2, 7
	s_addc_u32 s9, s3, 0
	s_add_i32 s11, s11, s10
	s_mul_i32 s10, s2, 7
	v_mov_b32_e32 v3, s10
	v_sub_co_u32_e32 v3, vcc, s0, v3
	s_cmp_lg_u64 vcc, 0
	s_subb_u32 s10, s1, s11
	v_subrev_co_u32_e32 v4, vcc, 7, v3
	s_cmp_lg_u64 vcc, 0
	s_subb_u32 s11, s10, 0
	v_readfirstlane_b32 s12, v4
	s_cmp_gt_u32 s12, 6
	s_cselect_b32 s12, -1, 0
	s_cmp_eq_u32 s11, 0
	s_cselect_b32 s11, s12, -1
	s_cmp_lg_u32 s11, 0
	s_cselect_b32 s4, s8, s4
	v_readfirstlane_b32 s8, v3
	s_cselect_b32 s5, s9, s5
	s_cmp_gt_u32 s8, 6
	s_cselect_b32 s8, -1, 0
	s_cmp_eq_u32 s10, 0
	s_cselect_b32 s8, s8, -1
	s_cmp_lg_u32 s8, 0
	v_mov_b32_e32 v1, 0
	s_cselect_b32 s3, s5, s3
	s_cselect_b32 s2, s4, s2
	v_cmp_eq_u64_e32 vcc, s[2:3], v[0:1]
	s_and_saveexec_b64 s[2:3], vcc
	s_cbranch_execz .LBB5620_90
; %bb.68:
	s_movk_i32 s2, 0xffd0
	v_mad_i32_i24 v2, v0, s2, v2
	v_mul_hi_u32_u24_e32 v1, 7, v0
	v_mov_b32_e32 v3, s1
	v_sub_co_u32_e32 v0, vcc, s0, v36
	v_subb_co_u32_e32 v1, vcc, v3, v1, vcc
	v_cmp_lt_i64_e32 vcc, 3, v[0:1]
	s_and_saveexec_b64 s[0:1], vcc
	s_xor_b64 s[0:1], exec, s[0:1]
	s_cbranch_execz .LBB5620_78
; %bb.69:
	v_cmp_lt_i64_e32 vcc, 4, v[0:1]
	s_and_saveexec_b64 s[2:3], vcc
	s_xor_b64 s[2:3], exec, s[2:3]
	s_cbranch_execz .LBB5620_75
; %bb.70:
	v_cmp_lt_i64_e32 vcc, 5, v[0:1]
	s_and_saveexec_b64 s[4:5], vcc
	s_xor_b64 s[4:5], exec, s[4:5]
	s_cbranch_execz .LBB5620_72
; %bb.71:
	ds_read_b64 v[0:1], v2 offset:6144
	v_mov_b32_e32 v2, 0
	s_waitcnt lgkmcnt(0)
	global_store_dwordx2 v2, v[0:1], s[6:7]
                                        ; implicit-def: $vgpr2
.LBB5620_72:
	s_andn2_saveexec_b64 s[4:5], s[4:5]
	s_cbranch_execz .LBB5620_74
; %bb.73:
	ds_read_b64 v[0:1], v2 offset:5120
	v_mov_b32_e32 v2, 0
	s_waitcnt lgkmcnt(0)
	global_store_dwordx2 v2, v[0:1], s[6:7]
.LBB5620_74:
	s_or_b64 exec, exec, s[4:5]
                                        ; implicit-def: $vgpr2
.LBB5620_75:
	s_andn2_saveexec_b64 s[2:3], s[2:3]
	s_cbranch_execz .LBB5620_77
; %bb.76:
	ds_read_b64 v[0:1], v2 offset:4096
	v_mov_b32_e32 v2, 0
	s_waitcnt lgkmcnt(0)
	global_store_dwordx2 v2, v[0:1], s[6:7]
.LBB5620_77:
	s_or_b64 exec, exec, s[2:3]
                                        ; implicit-def: $vgpr0_vgpr1
                                        ; implicit-def: $vgpr2
.LBB5620_78:
	s_andn2_saveexec_b64 s[0:1], s[0:1]
	s_cbranch_execz .LBB5620_90
; %bb.79:
	v_cmp_lt_i64_e32 vcc, 1, v[0:1]
	s_and_saveexec_b64 s[0:1], vcc
	s_xor_b64 s[0:1], exec, s[0:1]
	s_cbranch_execz .LBB5620_85
; %bb.80:
	v_cmp_lt_i64_e32 vcc, 2, v[0:1]
	s_and_saveexec_b64 s[2:3], vcc
	s_xor_b64 s[2:3], exec, s[2:3]
	s_cbranch_execz .LBB5620_82
; %bb.81:
	ds_read_b64 v[0:1], v2 offset:3072
	v_mov_b32_e32 v2, 0
	s_waitcnt lgkmcnt(0)
	global_store_dwordx2 v2, v[0:1], s[6:7]
                                        ; implicit-def: $vgpr2
.LBB5620_82:
	s_andn2_saveexec_b64 s[2:3], s[2:3]
	s_cbranch_execz .LBB5620_84
; %bb.83:
	ds_read_b64 v[0:1], v2 offset:2048
	v_mov_b32_e32 v2, 0
	s_waitcnt lgkmcnt(0)
	global_store_dwordx2 v2, v[0:1], s[6:7]
.LBB5620_84:
	s_or_b64 exec, exec, s[2:3]
                                        ; implicit-def: $vgpr2
                                        ; implicit-def: $vgpr0_vgpr1
.LBB5620_85:
	s_andn2_saveexec_b64 s[0:1], s[0:1]
	s_cbranch_execz .LBB5620_90
; %bb.86:
	v_cmp_ne_u64_e32 vcc, 1, v[0:1]
	s_and_saveexec_b64 s[0:1], vcc
	s_xor_b64 s[0:1], exec, s[0:1]
	s_cbranch_execz .LBB5620_88
; %bb.87:
	ds_read_b64 v[0:1], v2
	v_mov_b32_e32 v2, 0
	s_waitcnt lgkmcnt(0)
	global_store_dwordx2 v2, v[0:1], s[6:7]
                                        ; implicit-def: $vgpr2
.LBB5620_88:
	s_andn2_saveexec_b64 s[0:1], s[0:1]
	s_cbranch_execz .LBB5620_90
; %bb.89:
	ds_read_b64 v[0:1], v2 offset:1024
	v_mov_b32_e32 v2, 0
	s_waitcnt lgkmcnt(0)
	global_store_dwordx2 v2, v[0:1], s[6:7]
.LBB5620_90:
	s_endpgm
	.section	.rodata,"a",@progbits
	.p2align	6, 0x0
	.amdhsa_kernel _ZN7rocprim17ROCPRIM_400000_NS6detail17trampoline_kernelINS0_14default_configENS1_20scan_config_selectorIxEEZZNS1_9scan_implILNS1_25lookback_scan_determinismE0ELb0ELb0ES3_N6thrust23THRUST_200600_302600_NS6detail15normal_iteratorINS9_10device_ptrIxEEEENS9_16discard_iteratorINS9_11use_defaultEEExNS9_4plusIvEExEEDaPvRmT3_T4_T5_mT6_P12ihipStream_tbENKUlT_T0_E_clISt17integral_constantIbLb1EESW_IbLb0EEEEDaSS_ST_EUlSS_E_NS1_11comp_targetILNS1_3genE4ELNS1_11target_archE910ELNS1_3gpuE8ELNS1_3repE0EEENS1_30default_config_static_selectorELNS0_4arch9wavefront6targetE1EEEvT1_
		.amdhsa_group_segment_fixed_size 7168
		.amdhsa_private_segment_fixed_size 0
		.amdhsa_kernarg_size 112
		.amdhsa_user_sgpr_count 6
		.amdhsa_user_sgpr_private_segment_buffer 1
		.amdhsa_user_sgpr_dispatch_ptr 0
		.amdhsa_user_sgpr_queue_ptr 0
		.amdhsa_user_sgpr_kernarg_segment_ptr 1
		.amdhsa_user_sgpr_dispatch_id 0
		.amdhsa_user_sgpr_flat_scratch_init 0
		.amdhsa_user_sgpr_kernarg_preload_length 0
		.amdhsa_user_sgpr_kernarg_preload_offset 0
		.amdhsa_user_sgpr_private_segment_size 0
		.amdhsa_uses_dynamic_stack 0
		.amdhsa_system_sgpr_private_segment_wavefront_offset 0
		.amdhsa_system_sgpr_workgroup_id_x 1
		.amdhsa_system_sgpr_workgroup_id_y 0
		.amdhsa_system_sgpr_workgroup_id_z 0
		.amdhsa_system_sgpr_workgroup_info 0
		.amdhsa_system_vgpr_workitem_id 0
		.amdhsa_next_free_vgpr 50
		.amdhsa_next_free_sgpr 22
		.amdhsa_accum_offset 52
		.amdhsa_reserve_vcc 1
		.amdhsa_reserve_flat_scratch 0
		.amdhsa_float_round_mode_32 0
		.amdhsa_float_round_mode_16_64 0
		.amdhsa_float_denorm_mode_32 3
		.amdhsa_float_denorm_mode_16_64 3
		.amdhsa_dx10_clamp 1
		.amdhsa_ieee_mode 1
		.amdhsa_fp16_overflow 0
		.amdhsa_tg_split 0
		.amdhsa_exception_fp_ieee_invalid_op 0
		.amdhsa_exception_fp_denorm_src 0
		.amdhsa_exception_fp_ieee_div_zero 0
		.amdhsa_exception_fp_ieee_overflow 0
		.amdhsa_exception_fp_ieee_underflow 0
		.amdhsa_exception_fp_ieee_inexact 0
		.amdhsa_exception_int_div_zero 0
	.end_amdhsa_kernel
	.section	.text._ZN7rocprim17ROCPRIM_400000_NS6detail17trampoline_kernelINS0_14default_configENS1_20scan_config_selectorIxEEZZNS1_9scan_implILNS1_25lookback_scan_determinismE0ELb0ELb0ES3_N6thrust23THRUST_200600_302600_NS6detail15normal_iteratorINS9_10device_ptrIxEEEENS9_16discard_iteratorINS9_11use_defaultEEExNS9_4plusIvEExEEDaPvRmT3_T4_T5_mT6_P12ihipStream_tbENKUlT_T0_E_clISt17integral_constantIbLb1EESW_IbLb0EEEEDaSS_ST_EUlSS_E_NS1_11comp_targetILNS1_3genE4ELNS1_11target_archE910ELNS1_3gpuE8ELNS1_3repE0EEENS1_30default_config_static_selectorELNS0_4arch9wavefront6targetE1EEEvT1_,"axG",@progbits,_ZN7rocprim17ROCPRIM_400000_NS6detail17trampoline_kernelINS0_14default_configENS1_20scan_config_selectorIxEEZZNS1_9scan_implILNS1_25lookback_scan_determinismE0ELb0ELb0ES3_N6thrust23THRUST_200600_302600_NS6detail15normal_iteratorINS9_10device_ptrIxEEEENS9_16discard_iteratorINS9_11use_defaultEEExNS9_4plusIvEExEEDaPvRmT3_T4_T5_mT6_P12ihipStream_tbENKUlT_T0_E_clISt17integral_constantIbLb1EESW_IbLb0EEEEDaSS_ST_EUlSS_E_NS1_11comp_targetILNS1_3genE4ELNS1_11target_archE910ELNS1_3gpuE8ELNS1_3repE0EEENS1_30default_config_static_selectorELNS0_4arch9wavefront6targetE1EEEvT1_,comdat
.Lfunc_end5620:
	.size	_ZN7rocprim17ROCPRIM_400000_NS6detail17trampoline_kernelINS0_14default_configENS1_20scan_config_selectorIxEEZZNS1_9scan_implILNS1_25lookback_scan_determinismE0ELb0ELb0ES3_N6thrust23THRUST_200600_302600_NS6detail15normal_iteratorINS9_10device_ptrIxEEEENS9_16discard_iteratorINS9_11use_defaultEEExNS9_4plusIvEExEEDaPvRmT3_T4_T5_mT6_P12ihipStream_tbENKUlT_T0_E_clISt17integral_constantIbLb1EESW_IbLb0EEEEDaSS_ST_EUlSS_E_NS1_11comp_targetILNS1_3genE4ELNS1_11target_archE910ELNS1_3gpuE8ELNS1_3repE0EEENS1_30default_config_static_selectorELNS0_4arch9wavefront6targetE1EEEvT1_, .Lfunc_end5620-_ZN7rocprim17ROCPRIM_400000_NS6detail17trampoline_kernelINS0_14default_configENS1_20scan_config_selectorIxEEZZNS1_9scan_implILNS1_25lookback_scan_determinismE0ELb0ELb0ES3_N6thrust23THRUST_200600_302600_NS6detail15normal_iteratorINS9_10device_ptrIxEEEENS9_16discard_iteratorINS9_11use_defaultEEExNS9_4plusIvEExEEDaPvRmT3_T4_T5_mT6_P12ihipStream_tbENKUlT_T0_E_clISt17integral_constantIbLb1EESW_IbLb0EEEEDaSS_ST_EUlSS_E_NS1_11comp_targetILNS1_3genE4ELNS1_11target_archE910ELNS1_3gpuE8ELNS1_3repE0EEENS1_30default_config_static_selectorELNS0_4arch9wavefront6targetE1EEEvT1_
                                        ; -- End function
	.section	.AMDGPU.csdata,"",@progbits
; Kernel info:
; codeLenInByte = 5480
; NumSgprs: 26
; NumVgprs: 50
; NumAgprs: 0
; TotalNumVgprs: 50
; ScratchSize: 0
; MemoryBound: 0
; FloatMode: 240
; IeeeMode: 1
; LDSByteSize: 7168 bytes/workgroup (compile time only)
; SGPRBlocks: 3
; VGPRBlocks: 6
; NumSGPRsForWavesPerEU: 26
; NumVGPRsForWavesPerEU: 50
; AccumOffset: 52
; Occupancy: 5
; WaveLimiterHint : 1
; COMPUTE_PGM_RSRC2:SCRATCH_EN: 0
; COMPUTE_PGM_RSRC2:USER_SGPR: 6
; COMPUTE_PGM_RSRC2:TRAP_HANDLER: 0
; COMPUTE_PGM_RSRC2:TGID_X_EN: 1
; COMPUTE_PGM_RSRC2:TGID_Y_EN: 0
; COMPUTE_PGM_RSRC2:TGID_Z_EN: 0
; COMPUTE_PGM_RSRC2:TIDIG_COMP_CNT: 0
; COMPUTE_PGM_RSRC3_GFX90A:ACCUM_OFFSET: 12
; COMPUTE_PGM_RSRC3_GFX90A:TG_SPLIT: 0
	.section	.text._ZN7rocprim17ROCPRIM_400000_NS6detail17trampoline_kernelINS0_14default_configENS1_20scan_config_selectorIxEEZZNS1_9scan_implILNS1_25lookback_scan_determinismE0ELb0ELb0ES3_N6thrust23THRUST_200600_302600_NS6detail15normal_iteratorINS9_10device_ptrIxEEEENS9_16discard_iteratorINS9_11use_defaultEEExNS9_4plusIvEExEEDaPvRmT3_T4_T5_mT6_P12ihipStream_tbENKUlT_T0_E_clISt17integral_constantIbLb1EESW_IbLb0EEEEDaSS_ST_EUlSS_E_NS1_11comp_targetILNS1_3genE3ELNS1_11target_archE908ELNS1_3gpuE7ELNS1_3repE0EEENS1_30default_config_static_selectorELNS0_4arch9wavefront6targetE1EEEvT1_,"axG",@progbits,_ZN7rocprim17ROCPRIM_400000_NS6detail17trampoline_kernelINS0_14default_configENS1_20scan_config_selectorIxEEZZNS1_9scan_implILNS1_25lookback_scan_determinismE0ELb0ELb0ES3_N6thrust23THRUST_200600_302600_NS6detail15normal_iteratorINS9_10device_ptrIxEEEENS9_16discard_iteratorINS9_11use_defaultEEExNS9_4plusIvEExEEDaPvRmT3_T4_T5_mT6_P12ihipStream_tbENKUlT_T0_E_clISt17integral_constantIbLb1EESW_IbLb0EEEEDaSS_ST_EUlSS_E_NS1_11comp_targetILNS1_3genE3ELNS1_11target_archE908ELNS1_3gpuE7ELNS1_3repE0EEENS1_30default_config_static_selectorELNS0_4arch9wavefront6targetE1EEEvT1_,comdat
	.protected	_ZN7rocprim17ROCPRIM_400000_NS6detail17trampoline_kernelINS0_14default_configENS1_20scan_config_selectorIxEEZZNS1_9scan_implILNS1_25lookback_scan_determinismE0ELb0ELb0ES3_N6thrust23THRUST_200600_302600_NS6detail15normal_iteratorINS9_10device_ptrIxEEEENS9_16discard_iteratorINS9_11use_defaultEEExNS9_4plusIvEExEEDaPvRmT3_T4_T5_mT6_P12ihipStream_tbENKUlT_T0_E_clISt17integral_constantIbLb1EESW_IbLb0EEEEDaSS_ST_EUlSS_E_NS1_11comp_targetILNS1_3genE3ELNS1_11target_archE908ELNS1_3gpuE7ELNS1_3repE0EEENS1_30default_config_static_selectorELNS0_4arch9wavefront6targetE1EEEvT1_ ; -- Begin function _ZN7rocprim17ROCPRIM_400000_NS6detail17trampoline_kernelINS0_14default_configENS1_20scan_config_selectorIxEEZZNS1_9scan_implILNS1_25lookback_scan_determinismE0ELb0ELb0ES3_N6thrust23THRUST_200600_302600_NS6detail15normal_iteratorINS9_10device_ptrIxEEEENS9_16discard_iteratorINS9_11use_defaultEEExNS9_4plusIvEExEEDaPvRmT3_T4_T5_mT6_P12ihipStream_tbENKUlT_T0_E_clISt17integral_constantIbLb1EESW_IbLb0EEEEDaSS_ST_EUlSS_E_NS1_11comp_targetILNS1_3genE3ELNS1_11target_archE908ELNS1_3gpuE7ELNS1_3repE0EEENS1_30default_config_static_selectorELNS0_4arch9wavefront6targetE1EEEvT1_
	.globl	_ZN7rocprim17ROCPRIM_400000_NS6detail17trampoline_kernelINS0_14default_configENS1_20scan_config_selectorIxEEZZNS1_9scan_implILNS1_25lookback_scan_determinismE0ELb0ELb0ES3_N6thrust23THRUST_200600_302600_NS6detail15normal_iteratorINS9_10device_ptrIxEEEENS9_16discard_iteratorINS9_11use_defaultEEExNS9_4plusIvEExEEDaPvRmT3_T4_T5_mT6_P12ihipStream_tbENKUlT_T0_E_clISt17integral_constantIbLb1EESW_IbLb0EEEEDaSS_ST_EUlSS_E_NS1_11comp_targetILNS1_3genE3ELNS1_11target_archE908ELNS1_3gpuE7ELNS1_3repE0EEENS1_30default_config_static_selectorELNS0_4arch9wavefront6targetE1EEEvT1_
	.p2align	8
	.type	_ZN7rocprim17ROCPRIM_400000_NS6detail17trampoline_kernelINS0_14default_configENS1_20scan_config_selectorIxEEZZNS1_9scan_implILNS1_25lookback_scan_determinismE0ELb0ELb0ES3_N6thrust23THRUST_200600_302600_NS6detail15normal_iteratorINS9_10device_ptrIxEEEENS9_16discard_iteratorINS9_11use_defaultEEExNS9_4plusIvEExEEDaPvRmT3_T4_T5_mT6_P12ihipStream_tbENKUlT_T0_E_clISt17integral_constantIbLb1EESW_IbLb0EEEEDaSS_ST_EUlSS_E_NS1_11comp_targetILNS1_3genE3ELNS1_11target_archE908ELNS1_3gpuE7ELNS1_3repE0EEENS1_30default_config_static_selectorELNS0_4arch9wavefront6targetE1EEEvT1_,@function
_ZN7rocprim17ROCPRIM_400000_NS6detail17trampoline_kernelINS0_14default_configENS1_20scan_config_selectorIxEEZZNS1_9scan_implILNS1_25lookback_scan_determinismE0ELb0ELb0ES3_N6thrust23THRUST_200600_302600_NS6detail15normal_iteratorINS9_10device_ptrIxEEEENS9_16discard_iteratorINS9_11use_defaultEEExNS9_4plusIvEExEEDaPvRmT3_T4_T5_mT6_P12ihipStream_tbENKUlT_T0_E_clISt17integral_constantIbLb1EESW_IbLb0EEEEDaSS_ST_EUlSS_E_NS1_11comp_targetILNS1_3genE3ELNS1_11target_archE908ELNS1_3gpuE7ELNS1_3repE0EEENS1_30default_config_static_selectorELNS0_4arch9wavefront6targetE1EEEvT1_: ; @_ZN7rocprim17ROCPRIM_400000_NS6detail17trampoline_kernelINS0_14default_configENS1_20scan_config_selectorIxEEZZNS1_9scan_implILNS1_25lookback_scan_determinismE0ELb0ELb0ES3_N6thrust23THRUST_200600_302600_NS6detail15normal_iteratorINS9_10device_ptrIxEEEENS9_16discard_iteratorINS9_11use_defaultEEExNS9_4plusIvEExEEDaPvRmT3_T4_T5_mT6_P12ihipStream_tbENKUlT_T0_E_clISt17integral_constantIbLb1EESW_IbLb0EEEEDaSS_ST_EUlSS_E_NS1_11comp_targetILNS1_3genE3ELNS1_11target_archE908ELNS1_3gpuE7ELNS1_3repE0EEENS1_30default_config_static_selectorELNS0_4arch9wavefront6targetE1EEEvT1_
; %bb.0:
	.section	.rodata,"a",@progbits
	.p2align	6, 0x0
	.amdhsa_kernel _ZN7rocprim17ROCPRIM_400000_NS6detail17trampoline_kernelINS0_14default_configENS1_20scan_config_selectorIxEEZZNS1_9scan_implILNS1_25lookback_scan_determinismE0ELb0ELb0ES3_N6thrust23THRUST_200600_302600_NS6detail15normal_iteratorINS9_10device_ptrIxEEEENS9_16discard_iteratorINS9_11use_defaultEEExNS9_4plusIvEExEEDaPvRmT3_T4_T5_mT6_P12ihipStream_tbENKUlT_T0_E_clISt17integral_constantIbLb1EESW_IbLb0EEEEDaSS_ST_EUlSS_E_NS1_11comp_targetILNS1_3genE3ELNS1_11target_archE908ELNS1_3gpuE7ELNS1_3repE0EEENS1_30default_config_static_selectorELNS0_4arch9wavefront6targetE1EEEvT1_
		.amdhsa_group_segment_fixed_size 0
		.amdhsa_private_segment_fixed_size 0
		.amdhsa_kernarg_size 112
		.amdhsa_user_sgpr_count 6
		.amdhsa_user_sgpr_private_segment_buffer 1
		.amdhsa_user_sgpr_dispatch_ptr 0
		.amdhsa_user_sgpr_queue_ptr 0
		.amdhsa_user_sgpr_kernarg_segment_ptr 1
		.amdhsa_user_sgpr_dispatch_id 0
		.amdhsa_user_sgpr_flat_scratch_init 0
		.amdhsa_user_sgpr_kernarg_preload_length 0
		.amdhsa_user_sgpr_kernarg_preload_offset 0
		.amdhsa_user_sgpr_private_segment_size 0
		.amdhsa_uses_dynamic_stack 0
		.amdhsa_system_sgpr_private_segment_wavefront_offset 0
		.amdhsa_system_sgpr_workgroup_id_x 1
		.amdhsa_system_sgpr_workgroup_id_y 0
		.amdhsa_system_sgpr_workgroup_id_z 0
		.amdhsa_system_sgpr_workgroup_info 0
		.amdhsa_system_vgpr_workitem_id 0
		.amdhsa_next_free_vgpr 1
		.amdhsa_next_free_sgpr 0
		.amdhsa_accum_offset 4
		.amdhsa_reserve_vcc 0
		.amdhsa_reserve_flat_scratch 0
		.amdhsa_float_round_mode_32 0
		.amdhsa_float_round_mode_16_64 0
		.amdhsa_float_denorm_mode_32 3
		.amdhsa_float_denorm_mode_16_64 3
		.amdhsa_dx10_clamp 1
		.amdhsa_ieee_mode 1
		.amdhsa_fp16_overflow 0
		.amdhsa_tg_split 0
		.amdhsa_exception_fp_ieee_invalid_op 0
		.amdhsa_exception_fp_denorm_src 0
		.amdhsa_exception_fp_ieee_div_zero 0
		.amdhsa_exception_fp_ieee_overflow 0
		.amdhsa_exception_fp_ieee_underflow 0
		.amdhsa_exception_fp_ieee_inexact 0
		.amdhsa_exception_int_div_zero 0
	.end_amdhsa_kernel
	.section	.text._ZN7rocprim17ROCPRIM_400000_NS6detail17trampoline_kernelINS0_14default_configENS1_20scan_config_selectorIxEEZZNS1_9scan_implILNS1_25lookback_scan_determinismE0ELb0ELb0ES3_N6thrust23THRUST_200600_302600_NS6detail15normal_iteratorINS9_10device_ptrIxEEEENS9_16discard_iteratorINS9_11use_defaultEEExNS9_4plusIvEExEEDaPvRmT3_T4_T5_mT6_P12ihipStream_tbENKUlT_T0_E_clISt17integral_constantIbLb1EESW_IbLb0EEEEDaSS_ST_EUlSS_E_NS1_11comp_targetILNS1_3genE3ELNS1_11target_archE908ELNS1_3gpuE7ELNS1_3repE0EEENS1_30default_config_static_selectorELNS0_4arch9wavefront6targetE1EEEvT1_,"axG",@progbits,_ZN7rocprim17ROCPRIM_400000_NS6detail17trampoline_kernelINS0_14default_configENS1_20scan_config_selectorIxEEZZNS1_9scan_implILNS1_25lookback_scan_determinismE0ELb0ELb0ES3_N6thrust23THRUST_200600_302600_NS6detail15normal_iteratorINS9_10device_ptrIxEEEENS9_16discard_iteratorINS9_11use_defaultEEExNS9_4plusIvEExEEDaPvRmT3_T4_T5_mT6_P12ihipStream_tbENKUlT_T0_E_clISt17integral_constantIbLb1EESW_IbLb0EEEEDaSS_ST_EUlSS_E_NS1_11comp_targetILNS1_3genE3ELNS1_11target_archE908ELNS1_3gpuE7ELNS1_3repE0EEENS1_30default_config_static_selectorELNS0_4arch9wavefront6targetE1EEEvT1_,comdat
.Lfunc_end5621:
	.size	_ZN7rocprim17ROCPRIM_400000_NS6detail17trampoline_kernelINS0_14default_configENS1_20scan_config_selectorIxEEZZNS1_9scan_implILNS1_25lookback_scan_determinismE0ELb0ELb0ES3_N6thrust23THRUST_200600_302600_NS6detail15normal_iteratorINS9_10device_ptrIxEEEENS9_16discard_iteratorINS9_11use_defaultEEExNS9_4plusIvEExEEDaPvRmT3_T4_T5_mT6_P12ihipStream_tbENKUlT_T0_E_clISt17integral_constantIbLb1EESW_IbLb0EEEEDaSS_ST_EUlSS_E_NS1_11comp_targetILNS1_3genE3ELNS1_11target_archE908ELNS1_3gpuE7ELNS1_3repE0EEENS1_30default_config_static_selectorELNS0_4arch9wavefront6targetE1EEEvT1_, .Lfunc_end5621-_ZN7rocprim17ROCPRIM_400000_NS6detail17trampoline_kernelINS0_14default_configENS1_20scan_config_selectorIxEEZZNS1_9scan_implILNS1_25lookback_scan_determinismE0ELb0ELb0ES3_N6thrust23THRUST_200600_302600_NS6detail15normal_iteratorINS9_10device_ptrIxEEEENS9_16discard_iteratorINS9_11use_defaultEEExNS9_4plusIvEExEEDaPvRmT3_T4_T5_mT6_P12ihipStream_tbENKUlT_T0_E_clISt17integral_constantIbLb1EESW_IbLb0EEEEDaSS_ST_EUlSS_E_NS1_11comp_targetILNS1_3genE3ELNS1_11target_archE908ELNS1_3gpuE7ELNS1_3repE0EEENS1_30default_config_static_selectorELNS0_4arch9wavefront6targetE1EEEvT1_
                                        ; -- End function
	.section	.AMDGPU.csdata,"",@progbits
; Kernel info:
; codeLenInByte = 0
; NumSgprs: 4
; NumVgprs: 0
; NumAgprs: 0
; TotalNumVgprs: 0
; ScratchSize: 0
; MemoryBound: 0
; FloatMode: 240
; IeeeMode: 1
; LDSByteSize: 0 bytes/workgroup (compile time only)
; SGPRBlocks: 0
; VGPRBlocks: 0
; NumSGPRsForWavesPerEU: 4
; NumVGPRsForWavesPerEU: 1
; AccumOffset: 4
; Occupancy: 8
; WaveLimiterHint : 0
; COMPUTE_PGM_RSRC2:SCRATCH_EN: 0
; COMPUTE_PGM_RSRC2:USER_SGPR: 6
; COMPUTE_PGM_RSRC2:TRAP_HANDLER: 0
; COMPUTE_PGM_RSRC2:TGID_X_EN: 1
; COMPUTE_PGM_RSRC2:TGID_Y_EN: 0
; COMPUTE_PGM_RSRC2:TGID_Z_EN: 0
; COMPUTE_PGM_RSRC2:TIDIG_COMP_CNT: 0
; COMPUTE_PGM_RSRC3_GFX90A:ACCUM_OFFSET: 0
; COMPUTE_PGM_RSRC3_GFX90A:TG_SPLIT: 0
	.section	.text._ZN7rocprim17ROCPRIM_400000_NS6detail17trampoline_kernelINS0_14default_configENS1_20scan_config_selectorIxEEZZNS1_9scan_implILNS1_25lookback_scan_determinismE0ELb0ELb0ES3_N6thrust23THRUST_200600_302600_NS6detail15normal_iteratorINS9_10device_ptrIxEEEENS9_16discard_iteratorINS9_11use_defaultEEExNS9_4plusIvEExEEDaPvRmT3_T4_T5_mT6_P12ihipStream_tbENKUlT_T0_E_clISt17integral_constantIbLb1EESW_IbLb0EEEEDaSS_ST_EUlSS_E_NS1_11comp_targetILNS1_3genE2ELNS1_11target_archE906ELNS1_3gpuE6ELNS1_3repE0EEENS1_30default_config_static_selectorELNS0_4arch9wavefront6targetE1EEEvT1_,"axG",@progbits,_ZN7rocprim17ROCPRIM_400000_NS6detail17trampoline_kernelINS0_14default_configENS1_20scan_config_selectorIxEEZZNS1_9scan_implILNS1_25lookback_scan_determinismE0ELb0ELb0ES3_N6thrust23THRUST_200600_302600_NS6detail15normal_iteratorINS9_10device_ptrIxEEEENS9_16discard_iteratorINS9_11use_defaultEEExNS9_4plusIvEExEEDaPvRmT3_T4_T5_mT6_P12ihipStream_tbENKUlT_T0_E_clISt17integral_constantIbLb1EESW_IbLb0EEEEDaSS_ST_EUlSS_E_NS1_11comp_targetILNS1_3genE2ELNS1_11target_archE906ELNS1_3gpuE6ELNS1_3repE0EEENS1_30default_config_static_selectorELNS0_4arch9wavefront6targetE1EEEvT1_,comdat
	.protected	_ZN7rocprim17ROCPRIM_400000_NS6detail17trampoline_kernelINS0_14default_configENS1_20scan_config_selectorIxEEZZNS1_9scan_implILNS1_25lookback_scan_determinismE0ELb0ELb0ES3_N6thrust23THRUST_200600_302600_NS6detail15normal_iteratorINS9_10device_ptrIxEEEENS9_16discard_iteratorINS9_11use_defaultEEExNS9_4plusIvEExEEDaPvRmT3_T4_T5_mT6_P12ihipStream_tbENKUlT_T0_E_clISt17integral_constantIbLb1EESW_IbLb0EEEEDaSS_ST_EUlSS_E_NS1_11comp_targetILNS1_3genE2ELNS1_11target_archE906ELNS1_3gpuE6ELNS1_3repE0EEENS1_30default_config_static_selectorELNS0_4arch9wavefront6targetE1EEEvT1_ ; -- Begin function _ZN7rocprim17ROCPRIM_400000_NS6detail17trampoline_kernelINS0_14default_configENS1_20scan_config_selectorIxEEZZNS1_9scan_implILNS1_25lookback_scan_determinismE0ELb0ELb0ES3_N6thrust23THRUST_200600_302600_NS6detail15normal_iteratorINS9_10device_ptrIxEEEENS9_16discard_iteratorINS9_11use_defaultEEExNS9_4plusIvEExEEDaPvRmT3_T4_T5_mT6_P12ihipStream_tbENKUlT_T0_E_clISt17integral_constantIbLb1EESW_IbLb0EEEEDaSS_ST_EUlSS_E_NS1_11comp_targetILNS1_3genE2ELNS1_11target_archE906ELNS1_3gpuE6ELNS1_3repE0EEENS1_30default_config_static_selectorELNS0_4arch9wavefront6targetE1EEEvT1_
	.globl	_ZN7rocprim17ROCPRIM_400000_NS6detail17trampoline_kernelINS0_14default_configENS1_20scan_config_selectorIxEEZZNS1_9scan_implILNS1_25lookback_scan_determinismE0ELb0ELb0ES3_N6thrust23THRUST_200600_302600_NS6detail15normal_iteratorINS9_10device_ptrIxEEEENS9_16discard_iteratorINS9_11use_defaultEEExNS9_4plusIvEExEEDaPvRmT3_T4_T5_mT6_P12ihipStream_tbENKUlT_T0_E_clISt17integral_constantIbLb1EESW_IbLb0EEEEDaSS_ST_EUlSS_E_NS1_11comp_targetILNS1_3genE2ELNS1_11target_archE906ELNS1_3gpuE6ELNS1_3repE0EEENS1_30default_config_static_selectorELNS0_4arch9wavefront6targetE1EEEvT1_
	.p2align	8
	.type	_ZN7rocprim17ROCPRIM_400000_NS6detail17trampoline_kernelINS0_14default_configENS1_20scan_config_selectorIxEEZZNS1_9scan_implILNS1_25lookback_scan_determinismE0ELb0ELb0ES3_N6thrust23THRUST_200600_302600_NS6detail15normal_iteratorINS9_10device_ptrIxEEEENS9_16discard_iteratorINS9_11use_defaultEEExNS9_4plusIvEExEEDaPvRmT3_T4_T5_mT6_P12ihipStream_tbENKUlT_T0_E_clISt17integral_constantIbLb1EESW_IbLb0EEEEDaSS_ST_EUlSS_E_NS1_11comp_targetILNS1_3genE2ELNS1_11target_archE906ELNS1_3gpuE6ELNS1_3repE0EEENS1_30default_config_static_selectorELNS0_4arch9wavefront6targetE1EEEvT1_,@function
_ZN7rocprim17ROCPRIM_400000_NS6detail17trampoline_kernelINS0_14default_configENS1_20scan_config_selectorIxEEZZNS1_9scan_implILNS1_25lookback_scan_determinismE0ELb0ELb0ES3_N6thrust23THRUST_200600_302600_NS6detail15normal_iteratorINS9_10device_ptrIxEEEENS9_16discard_iteratorINS9_11use_defaultEEExNS9_4plusIvEExEEDaPvRmT3_T4_T5_mT6_P12ihipStream_tbENKUlT_T0_E_clISt17integral_constantIbLb1EESW_IbLb0EEEEDaSS_ST_EUlSS_E_NS1_11comp_targetILNS1_3genE2ELNS1_11target_archE906ELNS1_3gpuE6ELNS1_3repE0EEENS1_30default_config_static_selectorELNS0_4arch9wavefront6targetE1EEEvT1_: ; @_ZN7rocprim17ROCPRIM_400000_NS6detail17trampoline_kernelINS0_14default_configENS1_20scan_config_selectorIxEEZZNS1_9scan_implILNS1_25lookback_scan_determinismE0ELb0ELb0ES3_N6thrust23THRUST_200600_302600_NS6detail15normal_iteratorINS9_10device_ptrIxEEEENS9_16discard_iteratorINS9_11use_defaultEEExNS9_4plusIvEExEEDaPvRmT3_T4_T5_mT6_P12ihipStream_tbENKUlT_T0_E_clISt17integral_constantIbLb1EESW_IbLb0EEEEDaSS_ST_EUlSS_E_NS1_11comp_targetILNS1_3genE2ELNS1_11target_archE906ELNS1_3gpuE6ELNS1_3repE0EEENS1_30default_config_static_selectorELNS0_4arch9wavefront6targetE1EEEvT1_
; %bb.0:
	.section	.rodata,"a",@progbits
	.p2align	6, 0x0
	.amdhsa_kernel _ZN7rocprim17ROCPRIM_400000_NS6detail17trampoline_kernelINS0_14default_configENS1_20scan_config_selectorIxEEZZNS1_9scan_implILNS1_25lookback_scan_determinismE0ELb0ELb0ES3_N6thrust23THRUST_200600_302600_NS6detail15normal_iteratorINS9_10device_ptrIxEEEENS9_16discard_iteratorINS9_11use_defaultEEExNS9_4plusIvEExEEDaPvRmT3_T4_T5_mT6_P12ihipStream_tbENKUlT_T0_E_clISt17integral_constantIbLb1EESW_IbLb0EEEEDaSS_ST_EUlSS_E_NS1_11comp_targetILNS1_3genE2ELNS1_11target_archE906ELNS1_3gpuE6ELNS1_3repE0EEENS1_30default_config_static_selectorELNS0_4arch9wavefront6targetE1EEEvT1_
		.amdhsa_group_segment_fixed_size 0
		.amdhsa_private_segment_fixed_size 0
		.amdhsa_kernarg_size 112
		.amdhsa_user_sgpr_count 6
		.amdhsa_user_sgpr_private_segment_buffer 1
		.amdhsa_user_sgpr_dispatch_ptr 0
		.amdhsa_user_sgpr_queue_ptr 0
		.amdhsa_user_sgpr_kernarg_segment_ptr 1
		.amdhsa_user_sgpr_dispatch_id 0
		.amdhsa_user_sgpr_flat_scratch_init 0
		.amdhsa_user_sgpr_kernarg_preload_length 0
		.amdhsa_user_sgpr_kernarg_preload_offset 0
		.amdhsa_user_sgpr_private_segment_size 0
		.amdhsa_uses_dynamic_stack 0
		.amdhsa_system_sgpr_private_segment_wavefront_offset 0
		.amdhsa_system_sgpr_workgroup_id_x 1
		.amdhsa_system_sgpr_workgroup_id_y 0
		.amdhsa_system_sgpr_workgroup_id_z 0
		.amdhsa_system_sgpr_workgroup_info 0
		.amdhsa_system_vgpr_workitem_id 0
		.amdhsa_next_free_vgpr 1
		.amdhsa_next_free_sgpr 0
		.amdhsa_accum_offset 4
		.amdhsa_reserve_vcc 0
		.amdhsa_reserve_flat_scratch 0
		.amdhsa_float_round_mode_32 0
		.amdhsa_float_round_mode_16_64 0
		.amdhsa_float_denorm_mode_32 3
		.amdhsa_float_denorm_mode_16_64 3
		.amdhsa_dx10_clamp 1
		.amdhsa_ieee_mode 1
		.amdhsa_fp16_overflow 0
		.amdhsa_tg_split 0
		.amdhsa_exception_fp_ieee_invalid_op 0
		.amdhsa_exception_fp_denorm_src 0
		.amdhsa_exception_fp_ieee_div_zero 0
		.amdhsa_exception_fp_ieee_overflow 0
		.amdhsa_exception_fp_ieee_underflow 0
		.amdhsa_exception_fp_ieee_inexact 0
		.amdhsa_exception_int_div_zero 0
	.end_amdhsa_kernel
	.section	.text._ZN7rocprim17ROCPRIM_400000_NS6detail17trampoline_kernelINS0_14default_configENS1_20scan_config_selectorIxEEZZNS1_9scan_implILNS1_25lookback_scan_determinismE0ELb0ELb0ES3_N6thrust23THRUST_200600_302600_NS6detail15normal_iteratorINS9_10device_ptrIxEEEENS9_16discard_iteratorINS9_11use_defaultEEExNS9_4plusIvEExEEDaPvRmT3_T4_T5_mT6_P12ihipStream_tbENKUlT_T0_E_clISt17integral_constantIbLb1EESW_IbLb0EEEEDaSS_ST_EUlSS_E_NS1_11comp_targetILNS1_3genE2ELNS1_11target_archE906ELNS1_3gpuE6ELNS1_3repE0EEENS1_30default_config_static_selectorELNS0_4arch9wavefront6targetE1EEEvT1_,"axG",@progbits,_ZN7rocprim17ROCPRIM_400000_NS6detail17trampoline_kernelINS0_14default_configENS1_20scan_config_selectorIxEEZZNS1_9scan_implILNS1_25lookback_scan_determinismE0ELb0ELb0ES3_N6thrust23THRUST_200600_302600_NS6detail15normal_iteratorINS9_10device_ptrIxEEEENS9_16discard_iteratorINS9_11use_defaultEEExNS9_4plusIvEExEEDaPvRmT3_T4_T5_mT6_P12ihipStream_tbENKUlT_T0_E_clISt17integral_constantIbLb1EESW_IbLb0EEEEDaSS_ST_EUlSS_E_NS1_11comp_targetILNS1_3genE2ELNS1_11target_archE906ELNS1_3gpuE6ELNS1_3repE0EEENS1_30default_config_static_selectorELNS0_4arch9wavefront6targetE1EEEvT1_,comdat
.Lfunc_end5622:
	.size	_ZN7rocprim17ROCPRIM_400000_NS6detail17trampoline_kernelINS0_14default_configENS1_20scan_config_selectorIxEEZZNS1_9scan_implILNS1_25lookback_scan_determinismE0ELb0ELb0ES3_N6thrust23THRUST_200600_302600_NS6detail15normal_iteratorINS9_10device_ptrIxEEEENS9_16discard_iteratorINS9_11use_defaultEEExNS9_4plusIvEExEEDaPvRmT3_T4_T5_mT6_P12ihipStream_tbENKUlT_T0_E_clISt17integral_constantIbLb1EESW_IbLb0EEEEDaSS_ST_EUlSS_E_NS1_11comp_targetILNS1_3genE2ELNS1_11target_archE906ELNS1_3gpuE6ELNS1_3repE0EEENS1_30default_config_static_selectorELNS0_4arch9wavefront6targetE1EEEvT1_, .Lfunc_end5622-_ZN7rocprim17ROCPRIM_400000_NS6detail17trampoline_kernelINS0_14default_configENS1_20scan_config_selectorIxEEZZNS1_9scan_implILNS1_25lookback_scan_determinismE0ELb0ELb0ES3_N6thrust23THRUST_200600_302600_NS6detail15normal_iteratorINS9_10device_ptrIxEEEENS9_16discard_iteratorINS9_11use_defaultEEExNS9_4plusIvEExEEDaPvRmT3_T4_T5_mT6_P12ihipStream_tbENKUlT_T0_E_clISt17integral_constantIbLb1EESW_IbLb0EEEEDaSS_ST_EUlSS_E_NS1_11comp_targetILNS1_3genE2ELNS1_11target_archE906ELNS1_3gpuE6ELNS1_3repE0EEENS1_30default_config_static_selectorELNS0_4arch9wavefront6targetE1EEEvT1_
                                        ; -- End function
	.section	.AMDGPU.csdata,"",@progbits
; Kernel info:
; codeLenInByte = 0
; NumSgprs: 4
; NumVgprs: 0
; NumAgprs: 0
; TotalNumVgprs: 0
; ScratchSize: 0
; MemoryBound: 0
; FloatMode: 240
; IeeeMode: 1
; LDSByteSize: 0 bytes/workgroup (compile time only)
; SGPRBlocks: 0
; VGPRBlocks: 0
; NumSGPRsForWavesPerEU: 4
; NumVGPRsForWavesPerEU: 1
; AccumOffset: 4
; Occupancy: 8
; WaveLimiterHint : 0
; COMPUTE_PGM_RSRC2:SCRATCH_EN: 0
; COMPUTE_PGM_RSRC2:USER_SGPR: 6
; COMPUTE_PGM_RSRC2:TRAP_HANDLER: 0
; COMPUTE_PGM_RSRC2:TGID_X_EN: 1
; COMPUTE_PGM_RSRC2:TGID_Y_EN: 0
; COMPUTE_PGM_RSRC2:TGID_Z_EN: 0
; COMPUTE_PGM_RSRC2:TIDIG_COMP_CNT: 0
; COMPUTE_PGM_RSRC3_GFX90A:ACCUM_OFFSET: 0
; COMPUTE_PGM_RSRC3_GFX90A:TG_SPLIT: 0
	.section	.text._ZN7rocprim17ROCPRIM_400000_NS6detail17trampoline_kernelINS0_14default_configENS1_20scan_config_selectorIxEEZZNS1_9scan_implILNS1_25lookback_scan_determinismE0ELb0ELb0ES3_N6thrust23THRUST_200600_302600_NS6detail15normal_iteratorINS9_10device_ptrIxEEEENS9_16discard_iteratorINS9_11use_defaultEEExNS9_4plusIvEExEEDaPvRmT3_T4_T5_mT6_P12ihipStream_tbENKUlT_T0_E_clISt17integral_constantIbLb1EESW_IbLb0EEEEDaSS_ST_EUlSS_E_NS1_11comp_targetILNS1_3genE10ELNS1_11target_archE1201ELNS1_3gpuE5ELNS1_3repE0EEENS1_30default_config_static_selectorELNS0_4arch9wavefront6targetE1EEEvT1_,"axG",@progbits,_ZN7rocprim17ROCPRIM_400000_NS6detail17trampoline_kernelINS0_14default_configENS1_20scan_config_selectorIxEEZZNS1_9scan_implILNS1_25lookback_scan_determinismE0ELb0ELb0ES3_N6thrust23THRUST_200600_302600_NS6detail15normal_iteratorINS9_10device_ptrIxEEEENS9_16discard_iteratorINS9_11use_defaultEEExNS9_4plusIvEExEEDaPvRmT3_T4_T5_mT6_P12ihipStream_tbENKUlT_T0_E_clISt17integral_constantIbLb1EESW_IbLb0EEEEDaSS_ST_EUlSS_E_NS1_11comp_targetILNS1_3genE10ELNS1_11target_archE1201ELNS1_3gpuE5ELNS1_3repE0EEENS1_30default_config_static_selectorELNS0_4arch9wavefront6targetE1EEEvT1_,comdat
	.protected	_ZN7rocprim17ROCPRIM_400000_NS6detail17trampoline_kernelINS0_14default_configENS1_20scan_config_selectorIxEEZZNS1_9scan_implILNS1_25lookback_scan_determinismE0ELb0ELb0ES3_N6thrust23THRUST_200600_302600_NS6detail15normal_iteratorINS9_10device_ptrIxEEEENS9_16discard_iteratorINS9_11use_defaultEEExNS9_4plusIvEExEEDaPvRmT3_T4_T5_mT6_P12ihipStream_tbENKUlT_T0_E_clISt17integral_constantIbLb1EESW_IbLb0EEEEDaSS_ST_EUlSS_E_NS1_11comp_targetILNS1_3genE10ELNS1_11target_archE1201ELNS1_3gpuE5ELNS1_3repE0EEENS1_30default_config_static_selectorELNS0_4arch9wavefront6targetE1EEEvT1_ ; -- Begin function _ZN7rocprim17ROCPRIM_400000_NS6detail17trampoline_kernelINS0_14default_configENS1_20scan_config_selectorIxEEZZNS1_9scan_implILNS1_25lookback_scan_determinismE0ELb0ELb0ES3_N6thrust23THRUST_200600_302600_NS6detail15normal_iteratorINS9_10device_ptrIxEEEENS9_16discard_iteratorINS9_11use_defaultEEExNS9_4plusIvEExEEDaPvRmT3_T4_T5_mT6_P12ihipStream_tbENKUlT_T0_E_clISt17integral_constantIbLb1EESW_IbLb0EEEEDaSS_ST_EUlSS_E_NS1_11comp_targetILNS1_3genE10ELNS1_11target_archE1201ELNS1_3gpuE5ELNS1_3repE0EEENS1_30default_config_static_selectorELNS0_4arch9wavefront6targetE1EEEvT1_
	.globl	_ZN7rocprim17ROCPRIM_400000_NS6detail17trampoline_kernelINS0_14default_configENS1_20scan_config_selectorIxEEZZNS1_9scan_implILNS1_25lookback_scan_determinismE0ELb0ELb0ES3_N6thrust23THRUST_200600_302600_NS6detail15normal_iteratorINS9_10device_ptrIxEEEENS9_16discard_iteratorINS9_11use_defaultEEExNS9_4plusIvEExEEDaPvRmT3_T4_T5_mT6_P12ihipStream_tbENKUlT_T0_E_clISt17integral_constantIbLb1EESW_IbLb0EEEEDaSS_ST_EUlSS_E_NS1_11comp_targetILNS1_3genE10ELNS1_11target_archE1201ELNS1_3gpuE5ELNS1_3repE0EEENS1_30default_config_static_selectorELNS0_4arch9wavefront6targetE1EEEvT1_
	.p2align	8
	.type	_ZN7rocprim17ROCPRIM_400000_NS6detail17trampoline_kernelINS0_14default_configENS1_20scan_config_selectorIxEEZZNS1_9scan_implILNS1_25lookback_scan_determinismE0ELb0ELb0ES3_N6thrust23THRUST_200600_302600_NS6detail15normal_iteratorINS9_10device_ptrIxEEEENS9_16discard_iteratorINS9_11use_defaultEEExNS9_4plusIvEExEEDaPvRmT3_T4_T5_mT6_P12ihipStream_tbENKUlT_T0_E_clISt17integral_constantIbLb1EESW_IbLb0EEEEDaSS_ST_EUlSS_E_NS1_11comp_targetILNS1_3genE10ELNS1_11target_archE1201ELNS1_3gpuE5ELNS1_3repE0EEENS1_30default_config_static_selectorELNS0_4arch9wavefront6targetE1EEEvT1_,@function
_ZN7rocprim17ROCPRIM_400000_NS6detail17trampoline_kernelINS0_14default_configENS1_20scan_config_selectorIxEEZZNS1_9scan_implILNS1_25lookback_scan_determinismE0ELb0ELb0ES3_N6thrust23THRUST_200600_302600_NS6detail15normal_iteratorINS9_10device_ptrIxEEEENS9_16discard_iteratorINS9_11use_defaultEEExNS9_4plusIvEExEEDaPvRmT3_T4_T5_mT6_P12ihipStream_tbENKUlT_T0_E_clISt17integral_constantIbLb1EESW_IbLb0EEEEDaSS_ST_EUlSS_E_NS1_11comp_targetILNS1_3genE10ELNS1_11target_archE1201ELNS1_3gpuE5ELNS1_3repE0EEENS1_30default_config_static_selectorELNS0_4arch9wavefront6targetE1EEEvT1_: ; @_ZN7rocprim17ROCPRIM_400000_NS6detail17trampoline_kernelINS0_14default_configENS1_20scan_config_selectorIxEEZZNS1_9scan_implILNS1_25lookback_scan_determinismE0ELb0ELb0ES3_N6thrust23THRUST_200600_302600_NS6detail15normal_iteratorINS9_10device_ptrIxEEEENS9_16discard_iteratorINS9_11use_defaultEEExNS9_4plusIvEExEEDaPvRmT3_T4_T5_mT6_P12ihipStream_tbENKUlT_T0_E_clISt17integral_constantIbLb1EESW_IbLb0EEEEDaSS_ST_EUlSS_E_NS1_11comp_targetILNS1_3genE10ELNS1_11target_archE1201ELNS1_3gpuE5ELNS1_3repE0EEENS1_30default_config_static_selectorELNS0_4arch9wavefront6targetE1EEEvT1_
; %bb.0:
	.section	.rodata,"a",@progbits
	.p2align	6, 0x0
	.amdhsa_kernel _ZN7rocprim17ROCPRIM_400000_NS6detail17trampoline_kernelINS0_14default_configENS1_20scan_config_selectorIxEEZZNS1_9scan_implILNS1_25lookback_scan_determinismE0ELb0ELb0ES3_N6thrust23THRUST_200600_302600_NS6detail15normal_iteratorINS9_10device_ptrIxEEEENS9_16discard_iteratorINS9_11use_defaultEEExNS9_4plusIvEExEEDaPvRmT3_T4_T5_mT6_P12ihipStream_tbENKUlT_T0_E_clISt17integral_constantIbLb1EESW_IbLb0EEEEDaSS_ST_EUlSS_E_NS1_11comp_targetILNS1_3genE10ELNS1_11target_archE1201ELNS1_3gpuE5ELNS1_3repE0EEENS1_30default_config_static_selectorELNS0_4arch9wavefront6targetE1EEEvT1_
		.amdhsa_group_segment_fixed_size 0
		.amdhsa_private_segment_fixed_size 0
		.amdhsa_kernarg_size 112
		.amdhsa_user_sgpr_count 6
		.amdhsa_user_sgpr_private_segment_buffer 1
		.amdhsa_user_sgpr_dispatch_ptr 0
		.amdhsa_user_sgpr_queue_ptr 0
		.amdhsa_user_sgpr_kernarg_segment_ptr 1
		.amdhsa_user_sgpr_dispatch_id 0
		.amdhsa_user_sgpr_flat_scratch_init 0
		.amdhsa_user_sgpr_kernarg_preload_length 0
		.amdhsa_user_sgpr_kernarg_preload_offset 0
		.amdhsa_user_sgpr_private_segment_size 0
		.amdhsa_uses_dynamic_stack 0
		.amdhsa_system_sgpr_private_segment_wavefront_offset 0
		.amdhsa_system_sgpr_workgroup_id_x 1
		.amdhsa_system_sgpr_workgroup_id_y 0
		.amdhsa_system_sgpr_workgroup_id_z 0
		.amdhsa_system_sgpr_workgroup_info 0
		.amdhsa_system_vgpr_workitem_id 0
		.amdhsa_next_free_vgpr 1
		.amdhsa_next_free_sgpr 0
		.amdhsa_accum_offset 4
		.amdhsa_reserve_vcc 0
		.amdhsa_reserve_flat_scratch 0
		.amdhsa_float_round_mode_32 0
		.amdhsa_float_round_mode_16_64 0
		.amdhsa_float_denorm_mode_32 3
		.amdhsa_float_denorm_mode_16_64 3
		.amdhsa_dx10_clamp 1
		.amdhsa_ieee_mode 1
		.amdhsa_fp16_overflow 0
		.amdhsa_tg_split 0
		.amdhsa_exception_fp_ieee_invalid_op 0
		.amdhsa_exception_fp_denorm_src 0
		.amdhsa_exception_fp_ieee_div_zero 0
		.amdhsa_exception_fp_ieee_overflow 0
		.amdhsa_exception_fp_ieee_underflow 0
		.amdhsa_exception_fp_ieee_inexact 0
		.amdhsa_exception_int_div_zero 0
	.end_amdhsa_kernel
	.section	.text._ZN7rocprim17ROCPRIM_400000_NS6detail17trampoline_kernelINS0_14default_configENS1_20scan_config_selectorIxEEZZNS1_9scan_implILNS1_25lookback_scan_determinismE0ELb0ELb0ES3_N6thrust23THRUST_200600_302600_NS6detail15normal_iteratorINS9_10device_ptrIxEEEENS9_16discard_iteratorINS9_11use_defaultEEExNS9_4plusIvEExEEDaPvRmT3_T4_T5_mT6_P12ihipStream_tbENKUlT_T0_E_clISt17integral_constantIbLb1EESW_IbLb0EEEEDaSS_ST_EUlSS_E_NS1_11comp_targetILNS1_3genE10ELNS1_11target_archE1201ELNS1_3gpuE5ELNS1_3repE0EEENS1_30default_config_static_selectorELNS0_4arch9wavefront6targetE1EEEvT1_,"axG",@progbits,_ZN7rocprim17ROCPRIM_400000_NS6detail17trampoline_kernelINS0_14default_configENS1_20scan_config_selectorIxEEZZNS1_9scan_implILNS1_25lookback_scan_determinismE0ELb0ELb0ES3_N6thrust23THRUST_200600_302600_NS6detail15normal_iteratorINS9_10device_ptrIxEEEENS9_16discard_iteratorINS9_11use_defaultEEExNS9_4plusIvEExEEDaPvRmT3_T4_T5_mT6_P12ihipStream_tbENKUlT_T0_E_clISt17integral_constantIbLb1EESW_IbLb0EEEEDaSS_ST_EUlSS_E_NS1_11comp_targetILNS1_3genE10ELNS1_11target_archE1201ELNS1_3gpuE5ELNS1_3repE0EEENS1_30default_config_static_selectorELNS0_4arch9wavefront6targetE1EEEvT1_,comdat
.Lfunc_end5623:
	.size	_ZN7rocprim17ROCPRIM_400000_NS6detail17trampoline_kernelINS0_14default_configENS1_20scan_config_selectorIxEEZZNS1_9scan_implILNS1_25lookback_scan_determinismE0ELb0ELb0ES3_N6thrust23THRUST_200600_302600_NS6detail15normal_iteratorINS9_10device_ptrIxEEEENS9_16discard_iteratorINS9_11use_defaultEEExNS9_4plusIvEExEEDaPvRmT3_T4_T5_mT6_P12ihipStream_tbENKUlT_T0_E_clISt17integral_constantIbLb1EESW_IbLb0EEEEDaSS_ST_EUlSS_E_NS1_11comp_targetILNS1_3genE10ELNS1_11target_archE1201ELNS1_3gpuE5ELNS1_3repE0EEENS1_30default_config_static_selectorELNS0_4arch9wavefront6targetE1EEEvT1_, .Lfunc_end5623-_ZN7rocprim17ROCPRIM_400000_NS6detail17trampoline_kernelINS0_14default_configENS1_20scan_config_selectorIxEEZZNS1_9scan_implILNS1_25lookback_scan_determinismE0ELb0ELb0ES3_N6thrust23THRUST_200600_302600_NS6detail15normal_iteratorINS9_10device_ptrIxEEEENS9_16discard_iteratorINS9_11use_defaultEEExNS9_4plusIvEExEEDaPvRmT3_T4_T5_mT6_P12ihipStream_tbENKUlT_T0_E_clISt17integral_constantIbLb1EESW_IbLb0EEEEDaSS_ST_EUlSS_E_NS1_11comp_targetILNS1_3genE10ELNS1_11target_archE1201ELNS1_3gpuE5ELNS1_3repE0EEENS1_30default_config_static_selectorELNS0_4arch9wavefront6targetE1EEEvT1_
                                        ; -- End function
	.section	.AMDGPU.csdata,"",@progbits
; Kernel info:
; codeLenInByte = 0
; NumSgprs: 4
; NumVgprs: 0
; NumAgprs: 0
; TotalNumVgprs: 0
; ScratchSize: 0
; MemoryBound: 0
; FloatMode: 240
; IeeeMode: 1
; LDSByteSize: 0 bytes/workgroup (compile time only)
; SGPRBlocks: 0
; VGPRBlocks: 0
; NumSGPRsForWavesPerEU: 4
; NumVGPRsForWavesPerEU: 1
; AccumOffset: 4
; Occupancy: 8
; WaveLimiterHint : 0
; COMPUTE_PGM_RSRC2:SCRATCH_EN: 0
; COMPUTE_PGM_RSRC2:USER_SGPR: 6
; COMPUTE_PGM_RSRC2:TRAP_HANDLER: 0
; COMPUTE_PGM_RSRC2:TGID_X_EN: 1
; COMPUTE_PGM_RSRC2:TGID_Y_EN: 0
; COMPUTE_PGM_RSRC2:TGID_Z_EN: 0
; COMPUTE_PGM_RSRC2:TIDIG_COMP_CNT: 0
; COMPUTE_PGM_RSRC3_GFX90A:ACCUM_OFFSET: 0
; COMPUTE_PGM_RSRC3_GFX90A:TG_SPLIT: 0
	.section	.text._ZN7rocprim17ROCPRIM_400000_NS6detail17trampoline_kernelINS0_14default_configENS1_20scan_config_selectorIxEEZZNS1_9scan_implILNS1_25lookback_scan_determinismE0ELb0ELb0ES3_N6thrust23THRUST_200600_302600_NS6detail15normal_iteratorINS9_10device_ptrIxEEEENS9_16discard_iteratorINS9_11use_defaultEEExNS9_4plusIvEExEEDaPvRmT3_T4_T5_mT6_P12ihipStream_tbENKUlT_T0_E_clISt17integral_constantIbLb1EESW_IbLb0EEEEDaSS_ST_EUlSS_E_NS1_11comp_targetILNS1_3genE10ELNS1_11target_archE1200ELNS1_3gpuE4ELNS1_3repE0EEENS1_30default_config_static_selectorELNS0_4arch9wavefront6targetE1EEEvT1_,"axG",@progbits,_ZN7rocprim17ROCPRIM_400000_NS6detail17trampoline_kernelINS0_14default_configENS1_20scan_config_selectorIxEEZZNS1_9scan_implILNS1_25lookback_scan_determinismE0ELb0ELb0ES3_N6thrust23THRUST_200600_302600_NS6detail15normal_iteratorINS9_10device_ptrIxEEEENS9_16discard_iteratorINS9_11use_defaultEEExNS9_4plusIvEExEEDaPvRmT3_T4_T5_mT6_P12ihipStream_tbENKUlT_T0_E_clISt17integral_constantIbLb1EESW_IbLb0EEEEDaSS_ST_EUlSS_E_NS1_11comp_targetILNS1_3genE10ELNS1_11target_archE1200ELNS1_3gpuE4ELNS1_3repE0EEENS1_30default_config_static_selectorELNS0_4arch9wavefront6targetE1EEEvT1_,comdat
	.protected	_ZN7rocprim17ROCPRIM_400000_NS6detail17trampoline_kernelINS0_14default_configENS1_20scan_config_selectorIxEEZZNS1_9scan_implILNS1_25lookback_scan_determinismE0ELb0ELb0ES3_N6thrust23THRUST_200600_302600_NS6detail15normal_iteratorINS9_10device_ptrIxEEEENS9_16discard_iteratorINS9_11use_defaultEEExNS9_4plusIvEExEEDaPvRmT3_T4_T5_mT6_P12ihipStream_tbENKUlT_T0_E_clISt17integral_constantIbLb1EESW_IbLb0EEEEDaSS_ST_EUlSS_E_NS1_11comp_targetILNS1_3genE10ELNS1_11target_archE1200ELNS1_3gpuE4ELNS1_3repE0EEENS1_30default_config_static_selectorELNS0_4arch9wavefront6targetE1EEEvT1_ ; -- Begin function _ZN7rocprim17ROCPRIM_400000_NS6detail17trampoline_kernelINS0_14default_configENS1_20scan_config_selectorIxEEZZNS1_9scan_implILNS1_25lookback_scan_determinismE0ELb0ELb0ES3_N6thrust23THRUST_200600_302600_NS6detail15normal_iteratorINS9_10device_ptrIxEEEENS9_16discard_iteratorINS9_11use_defaultEEExNS9_4plusIvEExEEDaPvRmT3_T4_T5_mT6_P12ihipStream_tbENKUlT_T0_E_clISt17integral_constantIbLb1EESW_IbLb0EEEEDaSS_ST_EUlSS_E_NS1_11comp_targetILNS1_3genE10ELNS1_11target_archE1200ELNS1_3gpuE4ELNS1_3repE0EEENS1_30default_config_static_selectorELNS0_4arch9wavefront6targetE1EEEvT1_
	.globl	_ZN7rocprim17ROCPRIM_400000_NS6detail17trampoline_kernelINS0_14default_configENS1_20scan_config_selectorIxEEZZNS1_9scan_implILNS1_25lookback_scan_determinismE0ELb0ELb0ES3_N6thrust23THRUST_200600_302600_NS6detail15normal_iteratorINS9_10device_ptrIxEEEENS9_16discard_iteratorINS9_11use_defaultEEExNS9_4plusIvEExEEDaPvRmT3_T4_T5_mT6_P12ihipStream_tbENKUlT_T0_E_clISt17integral_constantIbLb1EESW_IbLb0EEEEDaSS_ST_EUlSS_E_NS1_11comp_targetILNS1_3genE10ELNS1_11target_archE1200ELNS1_3gpuE4ELNS1_3repE0EEENS1_30default_config_static_selectorELNS0_4arch9wavefront6targetE1EEEvT1_
	.p2align	8
	.type	_ZN7rocprim17ROCPRIM_400000_NS6detail17trampoline_kernelINS0_14default_configENS1_20scan_config_selectorIxEEZZNS1_9scan_implILNS1_25lookback_scan_determinismE0ELb0ELb0ES3_N6thrust23THRUST_200600_302600_NS6detail15normal_iteratorINS9_10device_ptrIxEEEENS9_16discard_iteratorINS9_11use_defaultEEExNS9_4plusIvEExEEDaPvRmT3_T4_T5_mT6_P12ihipStream_tbENKUlT_T0_E_clISt17integral_constantIbLb1EESW_IbLb0EEEEDaSS_ST_EUlSS_E_NS1_11comp_targetILNS1_3genE10ELNS1_11target_archE1200ELNS1_3gpuE4ELNS1_3repE0EEENS1_30default_config_static_selectorELNS0_4arch9wavefront6targetE1EEEvT1_,@function
_ZN7rocprim17ROCPRIM_400000_NS6detail17trampoline_kernelINS0_14default_configENS1_20scan_config_selectorIxEEZZNS1_9scan_implILNS1_25lookback_scan_determinismE0ELb0ELb0ES3_N6thrust23THRUST_200600_302600_NS6detail15normal_iteratorINS9_10device_ptrIxEEEENS9_16discard_iteratorINS9_11use_defaultEEExNS9_4plusIvEExEEDaPvRmT3_T4_T5_mT6_P12ihipStream_tbENKUlT_T0_E_clISt17integral_constantIbLb1EESW_IbLb0EEEEDaSS_ST_EUlSS_E_NS1_11comp_targetILNS1_3genE10ELNS1_11target_archE1200ELNS1_3gpuE4ELNS1_3repE0EEENS1_30default_config_static_selectorELNS0_4arch9wavefront6targetE1EEEvT1_: ; @_ZN7rocprim17ROCPRIM_400000_NS6detail17trampoline_kernelINS0_14default_configENS1_20scan_config_selectorIxEEZZNS1_9scan_implILNS1_25lookback_scan_determinismE0ELb0ELb0ES3_N6thrust23THRUST_200600_302600_NS6detail15normal_iteratorINS9_10device_ptrIxEEEENS9_16discard_iteratorINS9_11use_defaultEEExNS9_4plusIvEExEEDaPvRmT3_T4_T5_mT6_P12ihipStream_tbENKUlT_T0_E_clISt17integral_constantIbLb1EESW_IbLb0EEEEDaSS_ST_EUlSS_E_NS1_11comp_targetILNS1_3genE10ELNS1_11target_archE1200ELNS1_3gpuE4ELNS1_3repE0EEENS1_30default_config_static_selectorELNS0_4arch9wavefront6targetE1EEEvT1_
; %bb.0:
	.section	.rodata,"a",@progbits
	.p2align	6, 0x0
	.amdhsa_kernel _ZN7rocprim17ROCPRIM_400000_NS6detail17trampoline_kernelINS0_14default_configENS1_20scan_config_selectorIxEEZZNS1_9scan_implILNS1_25lookback_scan_determinismE0ELb0ELb0ES3_N6thrust23THRUST_200600_302600_NS6detail15normal_iteratorINS9_10device_ptrIxEEEENS9_16discard_iteratorINS9_11use_defaultEEExNS9_4plusIvEExEEDaPvRmT3_T4_T5_mT6_P12ihipStream_tbENKUlT_T0_E_clISt17integral_constantIbLb1EESW_IbLb0EEEEDaSS_ST_EUlSS_E_NS1_11comp_targetILNS1_3genE10ELNS1_11target_archE1200ELNS1_3gpuE4ELNS1_3repE0EEENS1_30default_config_static_selectorELNS0_4arch9wavefront6targetE1EEEvT1_
		.amdhsa_group_segment_fixed_size 0
		.amdhsa_private_segment_fixed_size 0
		.amdhsa_kernarg_size 112
		.amdhsa_user_sgpr_count 6
		.amdhsa_user_sgpr_private_segment_buffer 1
		.amdhsa_user_sgpr_dispatch_ptr 0
		.amdhsa_user_sgpr_queue_ptr 0
		.amdhsa_user_sgpr_kernarg_segment_ptr 1
		.amdhsa_user_sgpr_dispatch_id 0
		.amdhsa_user_sgpr_flat_scratch_init 0
		.amdhsa_user_sgpr_kernarg_preload_length 0
		.amdhsa_user_sgpr_kernarg_preload_offset 0
		.amdhsa_user_sgpr_private_segment_size 0
		.amdhsa_uses_dynamic_stack 0
		.amdhsa_system_sgpr_private_segment_wavefront_offset 0
		.amdhsa_system_sgpr_workgroup_id_x 1
		.amdhsa_system_sgpr_workgroup_id_y 0
		.amdhsa_system_sgpr_workgroup_id_z 0
		.amdhsa_system_sgpr_workgroup_info 0
		.amdhsa_system_vgpr_workitem_id 0
		.amdhsa_next_free_vgpr 1
		.amdhsa_next_free_sgpr 0
		.amdhsa_accum_offset 4
		.amdhsa_reserve_vcc 0
		.amdhsa_reserve_flat_scratch 0
		.amdhsa_float_round_mode_32 0
		.amdhsa_float_round_mode_16_64 0
		.amdhsa_float_denorm_mode_32 3
		.amdhsa_float_denorm_mode_16_64 3
		.amdhsa_dx10_clamp 1
		.amdhsa_ieee_mode 1
		.amdhsa_fp16_overflow 0
		.amdhsa_tg_split 0
		.amdhsa_exception_fp_ieee_invalid_op 0
		.amdhsa_exception_fp_denorm_src 0
		.amdhsa_exception_fp_ieee_div_zero 0
		.amdhsa_exception_fp_ieee_overflow 0
		.amdhsa_exception_fp_ieee_underflow 0
		.amdhsa_exception_fp_ieee_inexact 0
		.amdhsa_exception_int_div_zero 0
	.end_amdhsa_kernel
	.section	.text._ZN7rocprim17ROCPRIM_400000_NS6detail17trampoline_kernelINS0_14default_configENS1_20scan_config_selectorIxEEZZNS1_9scan_implILNS1_25lookback_scan_determinismE0ELb0ELb0ES3_N6thrust23THRUST_200600_302600_NS6detail15normal_iteratorINS9_10device_ptrIxEEEENS9_16discard_iteratorINS9_11use_defaultEEExNS9_4plusIvEExEEDaPvRmT3_T4_T5_mT6_P12ihipStream_tbENKUlT_T0_E_clISt17integral_constantIbLb1EESW_IbLb0EEEEDaSS_ST_EUlSS_E_NS1_11comp_targetILNS1_3genE10ELNS1_11target_archE1200ELNS1_3gpuE4ELNS1_3repE0EEENS1_30default_config_static_selectorELNS0_4arch9wavefront6targetE1EEEvT1_,"axG",@progbits,_ZN7rocprim17ROCPRIM_400000_NS6detail17trampoline_kernelINS0_14default_configENS1_20scan_config_selectorIxEEZZNS1_9scan_implILNS1_25lookback_scan_determinismE0ELb0ELb0ES3_N6thrust23THRUST_200600_302600_NS6detail15normal_iteratorINS9_10device_ptrIxEEEENS9_16discard_iteratorINS9_11use_defaultEEExNS9_4plusIvEExEEDaPvRmT3_T4_T5_mT6_P12ihipStream_tbENKUlT_T0_E_clISt17integral_constantIbLb1EESW_IbLb0EEEEDaSS_ST_EUlSS_E_NS1_11comp_targetILNS1_3genE10ELNS1_11target_archE1200ELNS1_3gpuE4ELNS1_3repE0EEENS1_30default_config_static_selectorELNS0_4arch9wavefront6targetE1EEEvT1_,comdat
.Lfunc_end5624:
	.size	_ZN7rocprim17ROCPRIM_400000_NS6detail17trampoline_kernelINS0_14default_configENS1_20scan_config_selectorIxEEZZNS1_9scan_implILNS1_25lookback_scan_determinismE0ELb0ELb0ES3_N6thrust23THRUST_200600_302600_NS6detail15normal_iteratorINS9_10device_ptrIxEEEENS9_16discard_iteratorINS9_11use_defaultEEExNS9_4plusIvEExEEDaPvRmT3_T4_T5_mT6_P12ihipStream_tbENKUlT_T0_E_clISt17integral_constantIbLb1EESW_IbLb0EEEEDaSS_ST_EUlSS_E_NS1_11comp_targetILNS1_3genE10ELNS1_11target_archE1200ELNS1_3gpuE4ELNS1_3repE0EEENS1_30default_config_static_selectorELNS0_4arch9wavefront6targetE1EEEvT1_, .Lfunc_end5624-_ZN7rocprim17ROCPRIM_400000_NS6detail17trampoline_kernelINS0_14default_configENS1_20scan_config_selectorIxEEZZNS1_9scan_implILNS1_25lookback_scan_determinismE0ELb0ELb0ES3_N6thrust23THRUST_200600_302600_NS6detail15normal_iteratorINS9_10device_ptrIxEEEENS9_16discard_iteratorINS9_11use_defaultEEExNS9_4plusIvEExEEDaPvRmT3_T4_T5_mT6_P12ihipStream_tbENKUlT_T0_E_clISt17integral_constantIbLb1EESW_IbLb0EEEEDaSS_ST_EUlSS_E_NS1_11comp_targetILNS1_3genE10ELNS1_11target_archE1200ELNS1_3gpuE4ELNS1_3repE0EEENS1_30default_config_static_selectorELNS0_4arch9wavefront6targetE1EEEvT1_
                                        ; -- End function
	.section	.AMDGPU.csdata,"",@progbits
; Kernel info:
; codeLenInByte = 0
; NumSgprs: 4
; NumVgprs: 0
; NumAgprs: 0
; TotalNumVgprs: 0
; ScratchSize: 0
; MemoryBound: 0
; FloatMode: 240
; IeeeMode: 1
; LDSByteSize: 0 bytes/workgroup (compile time only)
; SGPRBlocks: 0
; VGPRBlocks: 0
; NumSGPRsForWavesPerEU: 4
; NumVGPRsForWavesPerEU: 1
; AccumOffset: 4
; Occupancy: 8
; WaveLimiterHint : 0
; COMPUTE_PGM_RSRC2:SCRATCH_EN: 0
; COMPUTE_PGM_RSRC2:USER_SGPR: 6
; COMPUTE_PGM_RSRC2:TRAP_HANDLER: 0
; COMPUTE_PGM_RSRC2:TGID_X_EN: 1
; COMPUTE_PGM_RSRC2:TGID_Y_EN: 0
; COMPUTE_PGM_RSRC2:TGID_Z_EN: 0
; COMPUTE_PGM_RSRC2:TIDIG_COMP_CNT: 0
; COMPUTE_PGM_RSRC3_GFX90A:ACCUM_OFFSET: 0
; COMPUTE_PGM_RSRC3_GFX90A:TG_SPLIT: 0
	.section	.text._ZN7rocprim17ROCPRIM_400000_NS6detail17trampoline_kernelINS0_14default_configENS1_20scan_config_selectorIxEEZZNS1_9scan_implILNS1_25lookback_scan_determinismE0ELb0ELb0ES3_N6thrust23THRUST_200600_302600_NS6detail15normal_iteratorINS9_10device_ptrIxEEEENS9_16discard_iteratorINS9_11use_defaultEEExNS9_4plusIvEExEEDaPvRmT3_T4_T5_mT6_P12ihipStream_tbENKUlT_T0_E_clISt17integral_constantIbLb1EESW_IbLb0EEEEDaSS_ST_EUlSS_E_NS1_11comp_targetILNS1_3genE9ELNS1_11target_archE1100ELNS1_3gpuE3ELNS1_3repE0EEENS1_30default_config_static_selectorELNS0_4arch9wavefront6targetE1EEEvT1_,"axG",@progbits,_ZN7rocprim17ROCPRIM_400000_NS6detail17trampoline_kernelINS0_14default_configENS1_20scan_config_selectorIxEEZZNS1_9scan_implILNS1_25lookback_scan_determinismE0ELb0ELb0ES3_N6thrust23THRUST_200600_302600_NS6detail15normal_iteratorINS9_10device_ptrIxEEEENS9_16discard_iteratorINS9_11use_defaultEEExNS9_4plusIvEExEEDaPvRmT3_T4_T5_mT6_P12ihipStream_tbENKUlT_T0_E_clISt17integral_constantIbLb1EESW_IbLb0EEEEDaSS_ST_EUlSS_E_NS1_11comp_targetILNS1_3genE9ELNS1_11target_archE1100ELNS1_3gpuE3ELNS1_3repE0EEENS1_30default_config_static_selectorELNS0_4arch9wavefront6targetE1EEEvT1_,comdat
	.protected	_ZN7rocprim17ROCPRIM_400000_NS6detail17trampoline_kernelINS0_14default_configENS1_20scan_config_selectorIxEEZZNS1_9scan_implILNS1_25lookback_scan_determinismE0ELb0ELb0ES3_N6thrust23THRUST_200600_302600_NS6detail15normal_iteratorINS9_10device_ptrIxEEEENS9_16discard_iteratorINS9_11use_defaultEEExNS9_4plusIvEExEEDaPvRmT3_T4_T5_mT6_P12ihipStream_tbENKUlT_T0_E_clISt17integral_constantIbLb1EESW_IbLb0EEEEDaSS_ST_EUlSS_E_NS1_11comp_targetILNS1_3genE9ELNS1_11target_archE1100ELNS1_3gpuE3ELNS1_3repE0EEENS1_30default_config_static_selectorELNS0_4arch9wavefront6targetE1EEEvT1_ ; -- Begin function _ZN7rocprim17ROCPRIM_400000_NS6detail17trampoline_kernelINS0_14default_configENS1_20scan_config_selectorIxEEZZNS1_9scan_implILNS1_25lookback_scan_determinismE0ELb0ELb0ES3_N6thrust23THRUST_200600_302600_NS6detail15normal_iteratorINS9_10device_ptrIxEEEENS9_16discard_iteratorINS9_11use_defaultEEExNS9_4plusIvEExEEDaPvRmT3_T4_T5_mT6_P12ihipStream_tbENKUlT_T0_E_clISt17integral_constantIbLb1EESW_IbLb0EEEEDaSS_ST_EUlSS_E_NS1_11comp_targetILNS1_3genE9ELNS1_11target_archE1100ELNS1_3gpuE3ELNS1_3repE0EEENS1_30default_config_static_selectorELNS0_4arch9wavefront6targetE1EEEvT1_
	.globl	_ZN7rocprim17ROCPRIM_400000_NS6detail17trampoline_kernelINS0_14default_configENS1_20scan_config_selectorIxEEZZNS1_9scan_implILNS1_25lookback_scan_determinismE0ELb0ELb0ES3_N6thrust23THRUST_200600_302600_NS6detail15normal_iteratorINS9_10device_ptrIxEEEENS9_16discard_iteratorINS9_11use_defaultEEExNS9_4plusIvEExEEDaPvRmT3_T4_T5_mT6_P12ihipStream_tbENKUlT_T0_E_clISt17integral_constantIbLb1EESW_IbLb0EEEEDaSS_ST_EUlSS_E_NS1_11comp_targetILNS1_3genE9ELNS1_11target_archE1100ELNS1_3gpuE3ELNS1_3repE0EEENS1_30default_config_static_selectorELNS0_4arch9wavefront6targetE1EEEvT1_
	.p2align	8
	.type	_ZN7rocprim17ROCPRIM_400000_NS6detail17trampoline_kernelINS0_14default_configENS1_20scan_config_selectorIxEEZZNS1_9scan_implILNS1_25lookback_scan_determinismE0ELb0ELb0ES3_N6thrust23THRUST_200600_302600_NS6detail15normal_iteratorINS9_10device_ptrIxEEEENS9_16discard_iteratorINS9_11use_defaultEEExNS9_4plusIvEExEEDaPvRmT3_T4_T5_mT6_P12ihipStream_tbENKUlT_T0_E_clISt17integral_constantIbLb1EESW_IbLb0EEEEDaSS_ST_EUlSS_E_NS1_11comp_targetILNS1_3genE9ELNS1_11target_archE1100ELNS1_3gpuE3ELNS1_3repE0EEENS1_30default_config_static_selectorELNS0_4arch9wavefront6targetE1EEEvT1_,@function
_ZN7rocprim17ROCPRIM_400000_NS6detail17trampoline_kernelINS0_14default_configENS1_20scan_config_selectorIxEEZZNS1_9scan_implILNS1_25lookback_scan_determinismE0ELb0ELb0ES3_N6thrust23THRUST_200600_302600_NS6detail15normal_iteratorINS9_10device_ptrIxEEEENS9_16discard_iteratorINS9_11use_defaultEEExNS9_4plusIvEExEEDaPvRmT3_T4_T5_mT6_P12ihipStream_tbENKUlT_T0_E_clISt17integral_constantIbLb1EESW_IbLb0EEEEDaSS_ST_EUlSS_E_NS1_11comp_targetILNS1_3genE9ELNS1_11target_archE1100ELNS1_3gpuE3ELNS1_3repE0EEENS1_30default_config_static_selectorELNS0_4arch9wavefront6targetE1EEEvT1_: ; @_ZN7rocprim17ROCPRIM_400000_NS6detail17trampoline_kernelINS0_14default_configENS1_20scan_config_selectorIxEEZZNS1_9scan_implILNS1_25lookback_scan_determinismE0ELb0ELb0ES3_N6thrust23THRUST_200600_302600_NS6detail15normal_iteratorINS9_10device_ptrIxEEEENS9_16discard_iteratorINS9_11use_defaultEEExNS9_4plusIvEExEEDaPvRmT3_T4_T5_mT6_P12ihipStream_tbENKUlT_T0_E_clISt17integral_constantIbLb1EESW_IbLb0EEEEDaSS_ST_EUlSS_E_NS1_11comp_targetILNS1_3genE9ELNS1_11target_archE1100ELNS1_3gpuE3ELNS1_3repE0EEENS1_30default_config_static_selectorELNS0_4arch9wavefront6targetE1EEEvT1_
; %bb.0:
	.section	.rodata,"a",@progbits
	.p2align	6, 0x0
	.amdhsa_kernel _ZN7rocprim17ROCPRIM_400000_NS6detail17trampoline_kernelINS0_14default_configENS1_20scan_config_selectorIxEEZZNS1_9scan_implILNS1_25lookback_scan_determinismE0ELb0ELb0ES3_N6thrust23THRUST_200600_302600_NS6detail15normal_iteratorINS9_10device_ptrIxEEEENS9_16discard_iteratorINS9_11use_defaultEEExNS9_4plusIvEExEEDaPvRmT3_T4_T5_mT6_P12ihipStream_tbENKUlT_T0_E_clISt17integral_constantIbLb1EESW_IbLb0EEEEDaSS_ST_EUlSS_E_NS1_11comp_targetILNS1_3genE9ELNS1_11target_archE1100ELNS1_3gpuE3ELNS1_3repE0EEENS1_30default_config_static_selectorELNS0_4arch9wavefront6targetE1EEEvT1_
		.amdhsa_group_segment_fixed_size 0
		.amdhsa_private_segment_fixed_size 0
		.amdhsa_kernarg_size 112
		.amdhsa_user_sgpr_count 6
		.amdhsa_user_sgpr_private_segment_buffer 1
		.amdhsa_user_sgpr_dispatch_ptr 0
		.amdhsa_user_sgpr_queue_ptr 0
		.amdhsa_user_sgpr_kernarg_segment_ptr 1
		.amdhsa_user_sgpr_dispatch_id 0
		.amdhsa_user_sgpr_flat_scratch_init 0
		.amdhsa_user_sgpr_kernarg_preload_length 0
		.amdhsa_user_sgpr_kernarg_preload_offset 0
		.amdhsa_user_sgpr_private_segment_size 0
		.amdhsa_uses_dynamic_stack 0
		.amdhsa_system_sgpr_private_segment_wavefront_offset 0
		.amdhsa_system_sgpr_workgroup_id_x 1
		.amdhsa_system_sgpr_workgroup_id_y 0
		.amdhsa_system_sgpr_workgroup_id_z 0
		.amdhsa_system_sgpr_workgroup_info 0
		.amdhsa_system_vgpr_workitem_id 0
		.amdhsa_next_free_vgpr 1
		.amdhsa_next_free_sgpr 0
		.amdhsa_accum_offset 4
		.amdhsa_reserve_vcc 0
		.amdhsa_reserve_flat_scratch 0
		.amdhsa_float_round_mode_32 0
		.amdhsa_float_round_mode_16_64 0
		.amdhsa_float_denorm_mode_32 3
		.amdhsa_float_denorm_mode_16_64 3
		.amdhsa_dx10_clamp 1
		.amdhsa_ieee_mode 1
		.amdhsa_fp16_overflow 0
		.amdhsa_tg_split 0
		.amdhsa_exception_fp_ieee_invalid_op 0
		.amdhsa_exception_fp_denorm_src 0
		.amdhsa_exception_fp_ieee_div_zero 0
		.amdhsa_exception_fp_ieee_overflow 0
		.amdhsa_exception_fp_ieee_underflow 0
		.amdhsa_exception_fp_ieee_inexact 0
		.amdhsa_exception_int_div_zero 0
	.end_amdhsa_kernel
	.section	.text._ZN7rocprim17ROCPRIM_400000_NS6detail17trampoline_kernelINS0_14default_configENS1_20scan_config_selectorIxEEZZNS1_9scan_implILNS1_25lookback_scan_determinismE0ELb0ELb0ES3_N6thrust23THRUST_200600_302600_NS6detail15normal_iteratorINS9_10device_ptrIxEEEENS9_16discard_iteratorINS9_11use_defaultEEExNS9_4plusIvEExEEDaPvRmT3_T4_T5_mT6_P12ihipStream_tbENKUlT_T0_E_clISt17integral_constantIbLb1EESW_IbLb0EEEEDaSS_ST_EUlSS_E_NS1_11comp_targetILNS1_3genE9ELNS1_11target_archE1100ELNS1_3gpuE3ELNS1_3repE0EEENS1_30default_config_static_selectorELNS0_4arch9wavefront6targetE1EEEvT1_,"axG",@progbits,_ZN7rocprim17ROCPRIM_400000_NS6detail17trampoline_kernelINS0_14default_configENS1_20scan_config_selectorIxEEZZNS1_9scan_implILNS1_25lookback_scan_determinismE0ELb0ELb0ES3_N6thrust23THRUST_200600_302600_NS6detail15normal_iteratorINS9_10device_ptrIxEEEENS9_16discard_iteratorINS9_11use_defaultEEExNS9_4plusIvEExEEDaPvRmT3_T4_T5_mT6_P12ihipStream_tbENKUlT_T0_E_clISt17integral_constantIbLb1EESW_IbLb0EEEEDaSS_ST_EUlSS_E_NS1_11comp_targetILNS1_3genE9ELNS1_11target_archE1100ELNS1_3gpuE3ELNS1_3repE0EEENS1_30default_config_static_selectorELNS0_4arch9wavefront6targetE1EEEvT1_,comdat
.Lfunc_end5625:
	.size	_ZN7rocprim17ROCPRIM_400000_NS6detail17trampoline_kernelINS0_14default_configENS1_20scan_config_selectorIxEEZZNS1_9scan_implILNS1_25lookback_scan_determinismE0ELb0ELb0ES3_N6thrust23THRUST_200600_302600_NS6detail15normal_iteratorINS9_10device_ptrIxEEEENS9_16discard_iteratorINS9_11use_defaultEEExNS9_4plusIvEExEEDaPvRmT3_T4_T5_mT6_P12ihipStream_tbENKUlT_T0_E_clISt17integral_constantIbLb1EESW_IbLb0EEEEDaSS_ST_EUlSS_E_NS1_11comp_targetILNS1_3genE9ELNS1_11target_archE1100ELNS1_3gpuE3ELNS1_3repE0EEENS1_30default_config_static_selectorELNS0_4arch9wavefront6targetE1EEEvT1_, .Lfunc_end5625-_ZN7rocprim17ROCPRIM_400000_NS6detail17trampoline_kernelINS0_14default_configENS1_20scan_config_selectorIxEEZZNS1_9scan_implILNS1_25lookback_scan_determinismE0ELb0ELb0ES3_N6thrust23THRUST_200600_302600_NS6detail15normal_iteratorINS9_10device_ptrIxEEEENS9_16discard_iteratorINS9_11use_defaultEEExNS9_4plusIvEExEEDaPvRmT3_T4_T5_mT6_P12ihipStream_tbENKUlT_T0_E_clISt17integral_constantIbLb1EESW_IbLb0EEEEDaSS_ST_EUlSS_E_NS1_11comp_targetILNS1_3genE9ELNS1_11target_archE1100ELNS1_3gpuE3ELNS1_3repE0EEENS1_30default_config_static_selectorELNS0_4arch9wavefront6targetE1EEEvT1_
                                        ; -- End function
	.section	.AMDGPU.csdata,"",@progbits
; Kernel info:
; codeLenInByte = 0
; NumSgprs: 4
; NumVgprs: 0
; NumAgprs: 0
; TotalNumVgprs: 0
; ScratchSize: 0
; MemoryBound: 0
; FloatMode: 240
; IeeeMode: 1
; LDSByteSize: 0 bytes/workgroup (compile time only)
; SGPRBlocks: 0
; VGPRBlocks: 0
; NumSGPRsForWavesPerEU: 4
; NumVGPRsForWavesPerEU: 1
; AccumOffset: 4
; Occupancy: 8
; WaveLimiterHint : 0
; COMPUTE_PGM_RSRC2:SCRATCH_EN: 0
; COMPUTE_PGM_RSRC2:USER_SGPR: 6
; COMPUTE_PGM_RSRC2:TRAP_HANDLER: 0
; COMPUTE_PGM_RSRC2:TGID_X_EN: 1
; COMPUTE_PGM_RSRC2:TGID_Y_EN: 0
; COMPUTE_PGM_RSRC2:TGID_Z_EN: 0
; COMPUTE_PGM_RSRC2:TIDIG_COMP_CNT: 0
; COMPUTE_PGM_RSRC3_GFX90A:ACCUM_OFFSET: 0
; COMPUTE_PGM_RSRC3_GFX90A:TG_SPLIT: 0
	.section	.text._ZN7rocprim17ROCPRIM_400000_NS6detail17trampoline_kernelINS0_14default_configENS1_20scan_config_selectorIxEEZZNS1_9scan_implILNS1_25lookback_scan_determinismE0ELb0ELb0ES3_N6thrust23THRUST_200600_302600_NS6detail15normal_iteratorINS9_10device_ptrIxEEEENS9_16discard_iteratorINS9_11use_defaultEEExNS9_4plusIvEExEEDaPvRmT3_T4_T5_mT6_P12ihipStream_tbENKUlT_T0_E_clISt17integral_constantIbLb1EESW_IbLb0EEEEDaSS_ST_EUlSS_E_NS1_11comp_targetILNS1_3genE8ELNS1_11target_archE1030ELNS1_3gpuE2ELNS1_3repE0EEENS1_30default_config_static_selectorELNS0_4arch9wavefront6targetE1EEEvT1_,"axG",@progbits,_ZN7rocprim17ROCPRIM_400000_NS6detail17trampoline_kernelINS0_14default_configENS1_20scan_config_selectorIxEEZZNS1_9scan_implILNS1_25lookback_scan_determinismE0ELb0ELb0ES3_N6thrust23THRUST_200600_302600_NS6detail15normal_iteratorINS9_10device_ptrIxEEEENS9_16discard_iteratorINS9_11use_defaultEEExNS9_4plusIvEExEEDaPvRmT3_T4_T5_mT6_P12ihipStream_tbENKUlT_T0_E_clISt17integral_constantIbLb1EESW_IbLb0EEEEDaSS_ST_EUlSS_E_NS1_11comp_targetILNS1_3genE8ELNS1_11target_archE1030ELNS1_3gpuE2ELNS1_3repE0EEENS1_30default_config_static_selectorELNS0_4arch9wavefront6targetE1EEEvT1_,comdat
	.protected	_ZN7rocprim17ROCPRIM_400000_NS6detail17trampoline_kernelINS0_14default_configENS1_20scan_config_selectorIxEEZZNS1_9scan_implILNS1_25lookback_scan_determinismE0ELb0ELb0ES3_N6thrust23THRUST_200600_302600_NS6detail15normal_iteratorINS9_10device_ptrIxEEEENS9_16discard_iteratorINS9_11use_defaultEEExNS9_4plusIvEExEEDaPvRmT3_T4_T5_mT6_P12ihipStream_tbENKUlT_T0_E_clISt17integral_constantIbLb1EESW_IbLb0EEEEDaSS_ST_EUlSS_E_NS1_11comp_targetILNS1_3genE8ELNS1_11target_archE1030ELNS1_3gpuE2ELNS1_3repE0EEENS1_30default_config_static_selectorELNS0_4arch9wavefront6targetE1EEEvT1_ ; -- Begin function _ZN7rocprim17ROCPRIM_400000_NS6detail17trampoline_kernelINS0_14default_configENS1_20scan_config_selectorIxEEZZNS1_9scan_implILNS1_25lookback_scan_determinismE0ELb0ELb0ES3_N6thrust23THRUST_200600_302600_NS6detail15normal_iteratorINS9_10device_ptrIxEEEENS9_16discard_iteratorINS9_11use_defaultEEExNS9_4plusIvEExEEDaPvRmT3_T4_T5_mT6_P12ihipStream_tbENKUlT_T0_E_clISt17integral_constantIbLb1EESW_IbLb0EEEEDaSS_ST_EUlSS_E_NS1_11comp_targetILNS1_3genE8ELNS1_11target_archE1030ELNS1_3gpuE2ELNS1_3repE0EEENS1_30default_config_static_selectorELNS0_4arch9wavefront6targetE1EEEvT1_
	.globl	_ZN7rocprim17ROCPRIM_400000_NS6detail17trampoline_kernelINS0_14default_configENS1_20scan_config_selectorIxEEZZNS1_9scan_implILNS1_25lookback_scan_determinismE0ELb0ELb0ES3_N6thrust23THRUST_200600_302600_NS6detail15normal_iteratorINS9_10device_ptrIxEEEENS9_16discard_iteratorINS9_11use_defaultEEExNS9_4plusIvEExEEDaPvRmT3_T4_T5_mT6_P12ihipStream_tbENKUlT_T0_E_clISt17integral_constantIbLb1EESW_IbLb0EEEEDaSS_ST_EUlSS_E_NS1_11comp_targetILNS1_3genE8ELNS1_11target_archE1030ELNS1_3gpuE2ELNS1_3repE0EEENS1_30default_config_static_selectorELNS0_4arch9wavefront6targetE1EEEvT1_
	.p2align	8
	.type	_ZN7rocprim17ROCPRIM_400000_NS6detail17trampoline_kernelINS0_14default_configENS1_20scan_config_selectorIxEEZZNS1_9scan_implILNS1_25lookback_scan_determinismE0ELb0ELb0ES3_N6thrust23THRUST_200600_302600_NS6detail15normal_iteratorINS9_10device_ptrIxEEEENS9_16discard_iteratorINS9_11use_defaultEEExNS9_4plusIvEExEEDaPvRmT3_T4_T5_mT6_P12ihipStream_tbENKUlT_T0_E_clISt17integral_constantIbLb1EESW_IbLb0EEEEDaSS_ST_EUlSS_E_NS1_11comp_targetILNS1_3genE8ELNS1_11target_archE1030ELNS1_3gpuE2ELNS1_3repE0EEENS1_30default_config_static_selectorELNS0_4arch9wavefront6targetE1EEEvT1_,@function
_ZN7rocprim17ROCPRIM_400000_NS6detail17trampoline_kernelINS0_14default_configENS1_20scan_config_selectorIxEEZZNS1_9scan_implILNS1_25lookback_scan_determinismE0ELb0ELb0ES3_N6thrust23THRUST_200600_302600_NS6detail15normal_iteratorINS9_10device_ptrIxEEEENS9_16discard_iteratorINS9_11use_defaultEEExNS9_4plusIvEExEEDaPvRmT3_T4_T5_mT6_P12ihipStream_tbENKUlT_T0_E_clISt17integral_constantIbLb1EESW_IbLb0EEEEDaSS_ST_EUlSS_E_NS1_11comp_targetILNS1_3genE8ELNS1_11target_archE1030ELNS1_3gpuE2ELNS1_3repE0EEENS1_30default_config_static_selectorELNS0_4arch9wavefront6targetE1EEEvT1_: ; @_ZN7rocprim17ROCPRIM_400000_NS6detail17trampoline_kernelINS0_14default_configENS1_20scan_config_selectorIxEEZZNS1_9scan_implILNS1_25lookback_scan_determinismE0ELb0ELb0ES3_N6thrust23THRUST_200600_302600_NS6detail15normal_iteratorINS9_10device_ptrIxEEEENS9_16discard_iteratorINS9_11use_defaultEEExNS9_4plusIvEExEEDaPvRmT3_T4_T5_mT6_P12ihipStream_tbENKUlT_T0_E_clISt17integral_constantIbLb1EESW_IbLb0EEEEDaSS_ST_EUlSS_E_NS1_11comp_targetILNS1_3genE8ELNS1_11target_archE1030ELNS1_3gpuE2ELNS1_3repE0EEENS1_30default_config_static_selectorELNS0_4arch9wavefront6targetE1EEEvT1_
; %bb.0:
	.section	.rodata,"a",@progbits
	.p2align	6, 0x0
	.amdhsa_kernel _ZN7rocprim17ROCPRIM_400000_NS6detail17trampoline_kernelINS0_14default_configENS1_20scan_config_selectorIxEEZZNS1_9scan_implILNS1_25lookback_scan_determinismE0ELb0ELb0ES3_N6thrust23THRUST_200600_302600_NS6detail15normal_iteratorINS9_10device_ptrIxEEEENS9_16discard_iteratorINS9_11use_defaultEEExNS9_4plusIvEExEEDaPvRmT3_T4_T5_mT6_P12ihipStream_tbENKUlT_T0_E_clISt17integral_constantIbLb1EESW_IbLb0EEEEDaSS_ST_EUlSS_E_NS1_11comp_targetILNS1_3genE8ELNS1_11target_archE1030ELNS1_3gpuE2ELNS1_3repE0EEENS1_30default_config_static_selectorELNS0_4arch9wavefront6targetE1EEEvT1_
		.amdhsa_group_segment_fixed_size 0
		.amdhsa_private_segment_fixed_size 0
		.amdhsa_kernarg_size 112
		.amdhsa_user_sgpr_count 6
		.amdhsa_user_sgpr_private_segment_buffer 1
		.amdhsa_user_sgpr_dispatch_ptr 0
		.amdhsa_user_sgpr_queue_ptr 0
		.amdhsa_user_sgpr_kernarg_segment_ptr 1
		.amdhsa_user_sgpr_dispatch_id 0
		.amdhsa_user_sgpr_flat_scratch_init 0
		.amdhsa_user_sgpr_kernarg_preload_length 0
		.amdhsa_user_sgpr_kernarg_preload_offset 0
		.amdhsa_user_sgpr_private_segment_size 0
		.amdhsa_uses_dynamic_stack 0
		.amdhsa_system_sgpr_private_segment_wavefront_offset 0
		.amdhsa_system_sgpr_workgroup_id_x 1
		.amdhsa_system_sgpr_workgroup_id_y 0
		.amdhsa_system_sgpr_workgroup_id_z 0
		.amdhsa_system_sgpr_workgroup_info 0
		.amdhsa_system_vgpr_workitem_id 0
		.amdhsa_next_free_vgpr 1
		.amdhsa_next_free_sgpr 0
		.amdhsa_accum_offset 4
		.amdhsa_reserve_vcc 0
		.amdhsa_reserve_flat_scratch 0
		.amdhsa_float_round_mode_32 0
		.amdhsa_float_round_mode_16_64 0
		.amdhsa_float_denorm_mode_32 3
		.amdhsa_float_denorm_mode_16_64 3
		.amdhsa_dx10_clamp 1
		.amdhsa_ieee_mode 1
		.amdhsa_fp16_overflow 0
		.amdhsa_tg_split 0
		.amdhsa_exception_fp_ieee_invalid_op 0
		.amdhsa_exception_fp_denorm_src 0
		.amdhsa_exception_fp_ieee_div_zero 0
		.amdhsa_exception_fp_ieee_overflow 0
		.amdhsa_exception_fp_ieee_underflow 0
		.amdhsa_exception_fp_ieee_inexact 0
		.amdhsa_exception_int_div_zero 0
	.end_amdhsa_kernel
	.section	.text._ZN7rocprim17ROCPRIM_400000_NS6detail17trampoline_kernelINS0_14default_configENS1_20scan_config_selectorIxEEZZNS1_9scan_implILNS1_25lookback_scan_determinismE0ELb0ELb0ES3_N6thrust23THRUST_200600_302600_NS6detail15normal_iteratorINS9_10device_ptrIxEEEENS9_16discard_iteratorINS9_11use_defaultEEExNS9_4plusIvEExEEDaPvRmT3_T4_T5_mT6_P12ihipStream_tbENKUlT_T0_E_clISt17integral_constantIbLb1EESW_IbLb0EEEEDaSS_ST_EUlSS_E_NS1_11comp_targetILNS1_3genE8ELNS1_11target_archE1030ELNS1_3gpuE2ELNS1_3repE0EEENS1_30default_config_static_selectorELNS0_4arch9wavefront6targetE1EEEvT1_,"axG",@progbits,_ZN7rocprim17ROCPRIM_400000_NS6detail17trampoline_kernelINS0_14default_configENS1_20scan_config_selectorIxEEZZNS1_9scan_implILNS1_25lookback_scan_determinismE0ELb0ELb0ES3_N6thrust23THRUST_200600_302600_NS6detail15normal_iteratorINS9_10device_ptrIxEEEENS9_16discard_iteratorINS9_11use_defaultEEExNS9_4plusIvEExEEDaPvRmT3_T4_T5_mT6_P12ihipStream_tbENKUlT_T0_E_clISt17integral_constantIbLb1EESW_IbLb0EEEEDaSS_ST_EUlSS_E_NS1_11comp_targetILNS1_3genE8ELNS1_11target_archE1030ELNS1_3gpuE2ELNS1_3repE0EEENS1_30default_config_static_selectorELNS0_4arch9wavefront6targetE1EEEvT1_,comdat
.Lfunc_end5626:
	.size	_ZN7rocprim17ROCPRIM_400000_NS6detail17trampoline_kernelINS0_14default_configENS1_20scan_config_selectorIxEEZZNS1_9scan_implILNS1_25lookback_scan_determinismE0ELb0ELb0ES3_N6thrust23THRUST_200600_302600_NS6detail15normal_iteratorINS9_10device_ptrIxEEEENS9_16discard_iteratorINS9_11use_defaultEEExNS9_4plusIvEExEEDaPvRmT3_T4_T5_mT6_P12ihipStream_tbENKUlT_T0_E_clISt17integral_constantIbLb1EESW_IbLb0EEEEDaSS_ST_EUlSS_E_NS1_11comp_targetILNS1_3genE8ELNS1_11target_archE1030ELNS1_3gpuE2ELNS1_3repE0EEENS1_30default_config_static_selectorELNS0_4arch9wavefront6targetE1EEEvT1_, .Lfunc_end5626-_ZN7rocprim17ROCPRIM_400000_NS6detail17trampoline_kernelINS0_14default_configENS1_20scan_config_selectorIxEEZZNS1_9scan_implILNS1_25lookback_scan_determinismE0ELb0ELb0ES3_N6thrust23THRUST_200600_302600_NS6detail15normal_iteratorINS9_10device_ptrIxEEEENS9_16discard_iteratorINS9_11use_defaultEEExNS9_4plusIvEExEEDaPvRmT3_T4_T5_mT6_P12ihipStream_tbENKUlT_T0_E_clISt17integral_constantIbLb1EESW_IbLb0EEEEDaSS_ST_EUlSS_E_NS1_11comp_targetILNS1_3genE8ELNS1_11target_archE1030ELNS1_3gpuE2ELNS1_3repE0EEENS1_30default_config_static_selectorELNS0_4arch9wavefront6targetE1EEEvT1_
                                        ; -- End function
	.section	.AMDGPU.csdata,"",@progbits
; Kernel info:
; codeLenInByte = 0
; NumSgprs: 4
; NumVgprs: 0
; NumAgprs: 0
; TotalNumVgprs: 0
; ScratchSize: 0
; MemoryBound: 0
; FloatMode: 240
; IeeeMode: 1
; LDSByteSize: 0 bytes/workgroup (compile time only)
; SGPRBlocks: 0
; VGPRBlocks: 0
; NumSGPRsForWavesPerEU: 4
; NumVGPRsForWavesPerEU: 1
; AccumOffset: 4
; Occupancy: 8
; WaveLimiterHint : 0
; COMPUTE_PGM_RSRC2:SCRATCH_EN: 0
; COMPUTE_PGM_RSRC2:USER_SGPR: 6
; COMPUTE_PGM_RSRC2:TRAP_HANDLER: 0
; COMPUTE_PGM_RSRC2:TGID_X_EN: 1
; COMPUTE_PGM_RSRC2:TGID_Y_EN: 0
; COMPUTE_PGM_RSRC2:TGID_Z_EN: 0
; COMPUTE_PGM_RSRC2:TIDIG_COMP_CNT: 0
; COMPUTE_PGM_RSRC3_GFX90A:ACCUM_OFFSET: 0
; COMPUTE_PGM_RSRC3_GFX90A:TG_SPLIT: 0
	.section	.text._ZN7rocprim17ROCPRIM_400000_NS6detail17trampoline_kernelINS0_14default_configENS1_20scan_config_selectorIxEEZZNS1_9scan_implILNS1_25lookback_scan_determinismE0ELb0ELb0ES3_N6thrust23THRUST_200600_302600_NS6detail15normal_iteratorINS9_10device_ptrIxEEEENS9_16discard_iteratorINS9_11use_defaultEEExNS9_4plusIvEExEEDaPvRmT3_T4_T5_mT6_P12ihipStream_tbENKUlT_T0_E_clISt17integral_constantIbLb1EESW_IbLb0EEEEDaSS_ST_EUlSS_E0_NS1_11comp_targetILNS1_3genE0ELNS1_11target_archE4294967295ELNS1_3gpuE0ELNS1_3repE0EEENS1_30default_config_static_selectorELNS0_4arch9wavefront6targetE1EEEvT1_,"axG",@progbits,_ZN7rocprim17ROCPRIM_400000_NS6detail17trampoline_kernelINS0_14default_configENS1_20scan_config_selectorIxEEZZNS1_9scan_implILNS1_25lookback_scan_determinismE0ELb0ELb0ES3_N6thrust23THRUST_200600_302600_NS6detail15normal_iteratorINS9_10device_ptrIxEEEENS9_16discard_iteratorINS9_11use_defaultEEExNS9_4plusIvEExEEDaPvRmT3_T4_T5_mT6_P12ihipStream_tbENKUlT_T0_E_clISt17integral_constantIbLb1EESW_IbLb0EEEEDaSS_ST_EUlSS_E0_NS1_11comp_targetILNS1_3genE0ELNS1_11target_archE4294967295ELNS1_3gpuE0ELNS1_3repE0EEENS1_30default_config_static_selectorELNS0_4arch9wavefront6targetE1EEEvT1_,comdat
	.protected	_ZN7rocprim17ROCPRIM_400000_NS6detail17trampoline_kernelINS0_14default_configENS1_20scan_config_selectorIxEEZZNS1_9scan_implILNS1_25lookback_scan_determinismE0ELb0ELb0ES3_N6thrust23THRUST_200600_302600_NS6detail15normal_iteratorINS9_10device_ptrIxEEEENS9_16discard_iteratorINS9_11use_defaultEEExNS9_4plusIvEExEEDaPvRmT3_T4_T5_mT6_P12ihipStream_tbENKUlT_T0_E_clISt17integral_constantIbLb1EESW_IbLb0EEEEDaSS_ST_EUlSS_E0_NS1_11comp_targetILNS1_3genE0ELNS1_11target_archE4294967295ELNS1_3gpuE0ELNS1_3repE0EEENS1_30default_config_static_selectorELNS0_4arch9wavefront6targetE1EEEvT1_ ; -- Begin function _ZN7rocprim17ROCPRIM_400000_NS6detail17trampoline_kernelINS0_14default_configENS1_20scan_config_selectorIxEEZZNS1_9scan_implILNS1_25lookback_scan_determinismE0ELb0ELb0ES3_N6thrust23THRUST_200600_302600_NS6detail15normal_iteratorINS9_10device_ptrIxEEEENS9_16discard_iteratorINS9_11use_defaultEEExNS9_4plusIvEExEEDaPvRmT3_T4_T5_mT6_P12ihipStream_tbENKUlT_T0_E_clISt17integral_constantIbLb1EESW_IbLb0EEEEDaSS_ST_EUlSS_E0_NS1_11comp_targetILNS1_3genE0ELNS1_11target_archE4294967295ELNS1_3gpuE0ELNS1_3repE0EEENS1_30default_config_static_selectorELNS0_4arch9wavefront6targetE1EEEvT1_
	.globl	_ZN7rocprim17ROCPRIM_400000_NS6detail17trampoline_kernelINS0_14default_configENS1_20scan_config_selectorIxEEZZNS1_9scan_implILNS1_25lookback_scan_determinismE0ELb0ELb0ES3_N6thrust23THRUST_200600_302600_NS6detail15normal_iteratorINS9_10device_ptrIxEEEENS9_16discard_iteratorINS9_11use_defaultEEExNS9_4plusIvEExEEDaPvRmT3_T4_T5_mT6_P12ihipStream_tbENKUlT_T0_E_clISt17integral_constantIbLb1EESW_IbLb0EEEEDaSS_ST_EUlSS_E0_NS1_11comp_targetILNS1_3genE0ELNS1_11target_archE4294967295ELNS1_3gpuE0ELNS1_3repE0EEENS1_30default_config_static_selectorELNS0_4arch9wavefront6targetE1EEEvT1_
	.p2align	8
	.type	_ZN7rocprim17ROCPRIM_400000_NS6detail17trampoline_kernelINS0_14default_configENS1_20scan_config_selectorIxEEZZNS1_9scan_implILNS1_25lookback_scan_determinismE0ELb0ELb0ES3_N6thrust23THRUST_200600_302600_NS6detail15normal_iteratorINS9_10device_ptrIxEEEENS9_16discard_iteratorINS9_11use_defaultEEExNS9_4plusIvEExEEDaPvRmT3_T4_T5_mT6_P12ihipStream_tbENKUlT_T0_E_clISt17integral_constantIbLb1EESW_IbLb0EEEEDaSS_ST_EUlSS_E0_NS1_11comp_targetILNS1_3genE0ELNS1_11target_archE4294967295ELNS1_3gpuE0ELNS1_3repE0EEENS1_30default_config_static_selectorELNS0_4arch9wavefront6targetE1EEEvT1_,@function
_ZN7rocprim17ROCPRIM_400000_NS6detail17trampoline_kernelINS0_14default_configENS1_20scan_config_selectorIxEEZZNS1_9scan_implILNS1_25lookback_scan_determinismE0ELb0ELb0ES3_N6thrust23THRUST_200600_302600_NS6detail15normal_iteratorINS9_10device_ptrIxEEEENS9_16discard_iteratorINS9_11use_defaultEEExNS9_4plusIvEExEEDaPvRmT3_T4_T5_mT6_P12ihipStream_tbENKUlT_T0_E_clISt17integral_constantIbLb1EESW_IbLb0EEEEDaSS_ST_EUlSS_E0_NS1_11comp_targetILNS1_3genE0ELNS1_11target_archE4294967295ELNS1_3gpuE0ELNS1_3repE0EEENS1_30default_config_static_selectorELNS0_4arch9wavefront6targetE1EEEvT1_: ; @_ZN7rocprim17ROCPRIM_400000_NS6detail17trampoline_kernelINS0_14default_configENS1_20scan_config_selectorIxEEZZNS1_9scan_implILNS1_25lookback_scan_determinismE0ELb0ELb0ES3_N6thrust23THRUST_200600_302600_NS6detail15normal_iteratorINS9_10device_ptrIxEEEENS9_16discard_iteratorINS9_11use_defaultEEExNS9_4plusIvEExEEDaPvRmT3_T4_T5_mT6_P12ihipStream_tbENKUlT_T0_E_clISt17integral_constantIbLb1EESW_IbLb0EEEEDaSS_ST_EUlSS_E0_NS1_11comp_targetILNS1_3genE0ELNS1_11target_archE4294967295ELNS1_3gpuE0ELNS1_3repE0EEENS1_30default_config_static_selectorELNS0_4arch9wavefront6targetE1EEEvT1_
; %bb.0:
	.section	.rodata,"a",@progbits
	.p2align	6, 0x0
	.amdhsa_kernel _ZN7rocprim17ROCPRIM_400000_NS6detail17trampoline_kernelINS0_14default_configENS1_20scan_config_selectorIxEEZZNS1_9scan_implILNS1_25lookback_scan_determinismE0ELb0ELb0ES3_N6thrust23THRUST_200600_302600_NS6detail15normal_iteratorINS9_10device_ptrIxEEEENS9_16discard_iteratorINS9_11use_defaultEEExNS9_4plusIvEExEEDaPvRmT3_T4_T5_mT6_P12ihipStream_tbENKUlT_T0_E_clISt17integral_constantIbLb1EESW_IbLb0EEEEDaSS_ST_EUlSS_E0_NS1_11comp_targetILNS1_3genE0ELNS1_11target_archE4294967295ELNS1_3gpuE0ELNS1_3repE0EEENS1_30default_config_static_selectorELNS0_4arch9wavefront6targetE1EEEvT1_
		.amdhsa_group_segment_fixed_size 0
		.amdhsa_private_segment_fixed_size 0
		.amdhsa_kernarg_size 48
		.amdhsa_user_sgpr_count 6
		.amdhsa_user_sgpr_private_segment_buffer 1
		.amdhsa_user_sgpr_dispatch_ptr 0
		.amdhsa_user_sgpr_queue_ptr 0
		.amdhsa_user_sgpr_kernarg_segment_ptr 1
		.amdhsa_user_sgpr_dispatch_id 0
		.amdhsa_user_sgpr_flat_scratch_init 0
		.amdhsa_user_sgpr_kernarg_preload_length 0
		.amdhsa_user_sgpr_kernarg_preload_offset 0
		.amdhsa_user_sgpr_private_segment_size 0
		.amdhsa_uses_dynamic_stack 0
		.amdhsa_system_sgpr_private_segment_wavefront_offset 0
		.amdhsa_system_sgpr_workgroup_id_x 1
		.amdhsa_system_sgpr_workgroup_id_y 0
		.amdhsa_system_sgpr_workgroup_id_z 0
		.amdhsa_system_sgpr_workgroup_info 0
		.amdhsa_system_vgpr_workitem_id 0
		.amdhsa_next_free_vgpr 1
		.amdhsa_next_free_sgpr 0
		.amdhsa_accum_offset 4
		.amdhsa_reserve_vcc 0
		.amdhsa_reserve_flat_scratch 0
		.amdhsa_float_round_mode_32 0
		.amdhsa_float_round_mode_16_64 0
		.amdhsa_float_denorm_mode_32 3
		.amdhsa_float_denorm_mode_16_64 3
		.amdhsa_dx10_clamp 1
		.amdhsa_ieee_mode 1
		.amdhsa_fp16_overflow 0
		.amdhsa_tg_split 0
		.amdhsa_exception_fp_ieee_invalid_op 0
		.amdhsa_exception_fp_denorm_src 0
		.amdhsa_exception_fp_ieee_div_zero 0
		.amdhsa_exception_fp_ieee_overflow 0
		.amdhsa_exception_fp_ieee_underflow 0
		.amdhsa_exception_fp_ieee_inexact 0
		.amdhsa_exception_int_div_zero 0
	.end_amdhsa_kernel
	.section	.text._ZN7rocprim17ROCPRIM_400000_NS6detail17trampoline_kernelINS0_14default_configENS1_20scan_config_selectorIxEEZZNS1_9scan_implILNS1_25lookback_scan_determinismE0ELb0ELb0ES3_N6thrust23THRUST_200600_302600_NS6detail15normal_iteratorINS9_10device_ptrIxEEEENS9_16discard_iteratorINS9_11use_defaultEEExNS9_4plusIvEExEEDaPvRmT3_T4_T5_mT6_P12ihipStream_tbENKUlT_T0_E_clISt17integral_constantIbLb1EESW_IbLb0EEEEDaSS_ST_EUlSS_E0_NS1_11comp_targetILNS1_3genE0ELNS1_11target_archE4294967295ELNS1_3gpuE0ELNS1_3repE0EEENS1_30default_config_static_selectorELNS0_4arch9wavefront6targetE1EEEvT1_,"axG",@progbits,_ZN7rocprim17ROCPRIM_400000_NS6detail17trampoline_kernelINS0_14default_configENS1_20scan_config_selectorIxEEZZNS1_9scan_implILNS1_25lookback_scan_determinismE0ELb0ELb0ES3_N6thrust23THRUST_200600_302600_NS6detail15normal_iteratorINS9_10device_ptrIxEEEENS9_16discard_iteratorINS9_11use_defaultEEExNS9_4plusIvEExEEDaPvRmT3_T4_T5_mT6_P12ihipStream_tbENKUlT_T0_E_clISt17integral_constantIbLb1EESW_IbLb0EEEEDaSS_ST_EUlSS_E0_NS1_11comp_targetILNS1_3genE0ELNS1_11target_archE4294967295ELNS1_3gpuE0ELNS1_3repE0EEENS1_30default_config_static_selectorELNS0_4arch9wavefront6targetE1EEEvT1_,comdat
.Lfunc_end5627:
	.size	_ZN7rocprim17ROCPRIM_400000_NS6detail17trampoline_kernelINS0_14default_configENS1_20scan_config_selectorIxEEZZNS1_9scan_implILNS1_25lookback_scan_determinismE0ELb0ELb0ES3_N6thrust23THRUST_200600_302600_NS6detail15normal_iteratorINS9_10device_ptrIxEEEENS9_16discard_iteratorINS9_11use_defaultEEExNS9_4plusIvEExEEDaPvRmT3_T4_T5_mT6_P12ihipStream_tbENKUlT_T0_E_clISt17integral_constantIbLb1EESW_IbLb0EEEEDaSS_ST_EUlSS_E0_NS1_11comp_targetILNS1_3genE0ELNS1_11target_archE4294967295ELNS1_3gpuE0ELNS1_3repE0EEENS1_30default_config_static_selectorELNS0_4arch9wavefront6targetE1EEEvT1_, .Lfunc_end5627-_ZN7rocprim17ROCPRIM_400000_NS6detail17trampoline_kernelINS0_14default_configENS1_20scan_config_selectorIxEEZZNS1_9scan_implILNS1_25lookback_scan_determinismE0ELb0ELb0ES3_N6thrust23THRUST_200600_302600_NS6detail15normal_iteratorINS9_10device_ptrIxEEEENS9_16discard_iteratorINS9_11use_defaultEEExNS9_4plusIvEExEEDaPvRmT3_T4_T5_mT6_P12ihipStream_tbENKUlT_T0_E_clISt17integral_constantIbLb1EESW_IbLb0EEEEDaSS_ST_EUlSS_E0_NS1_11comp_targetILNS1_3genE0ELNS1_11target_archE4294967295ELNS1_3gpuE0ELNS1_3repE0EEENS1_30default_config_static_selectorELNS0_4arch9wavefront6targetE1EEEvT1_
                                        ; -- End function
	.section	.AMDGPU.csdata,"",@progbits
; Kernel info:
; codeLenInByte = 0
; NumSgprs: 4
; NumVgprs: 0
; NumAgprs: 0
; TotalNumVgprs: 0
; ScratchSize: 0
; MemoryBound: 0
; FloatMode: 240
; IeeeMode: 1
; LDSByteSize: 0 bytes/workgroup (compile time only)
; SGPRBlocks: 0
; VGPRBlocks: 0
; NumSGPRsForWavesPerEU: 4
; NumVGPRsForWavesPerEU: 1
; AccumOffset: 4
; Occupancy: 8
; WaveLimiterHint : 0
; COMPUTE_PGM_RSRC2:SCRATCH_EN: 0
; COMPUTE_PGM_RSRC2:USER_SGPR: 6
; COMPUTE_PGM_RSRC2:TRAP_HANDLER: 0
; COMPUTE_PGM_RSRC2:TGID_X_EN: 1
; COMPUTE_PGM_RSRC2:TGID_Y_EN: 0
; COMPUTE_PGM_RSRC2:TGID_Z_EN: 0
; COMPUTE_PGM_RSRC2:TIDIG_COMP_CNT: 0
; COMPUTE_PGM_RSRC3_GFX90A:ACCUM_OFFSET: 0
; COMPUTE_PGM_RSRC3_GFX90A:TG_SPLIT: 0
	.section	.text._ZN7rocprim17ROCPRIM_400000_NS6detail17trampoline_kernelINS0_14default_configENS1_20scan_config_selectorIxEEZZNS1_9scan_implILNS1_25lookback_scan_determinismE0ELb0ELb0ES3_N6thrust23THRUST_200600_302600_NS6detail15normal_iteratorINS9_10device_ptrIxEEEENS9_16discard_iteratorINS9_11use_defaultEEExNS9_4plusIvEExEEDaPvRmT3_T4_T5_mT6_P12ihipStream_tbENKUlT_T0_E_clISt17integral_constantIbLb1EESW_IbLb0EEEEDaSS_ST_EUlSS_E0_NS1_11comp_targetILNS1_3genE5ELNS1_11target_archE942ELNS1_3gpuE9ELNS1_3repE0EEENS1_30default_config_static_selectorELNS0_4arch9wavefront6targetE1EEEvT1_,"axG",@progbits,_ZN7rocprim17ROCPRIM_400000_NS6detail17trampoline_kernelINS0_14default_configENS1_20scan_config_selectorIxEEZZNS1_9scan_implILNS1_25lookback_scan_determinismE0ELb0ELb0ES3_N6thrust23THRUST_200600_302600_NS6detail15normal_iteratorINS9_10device_ptrIxEEEENS9_16discard_iteratorINS9_11use_defaultEEExNS9_4plusIvEExEEDaPvRmT3_T4_T5_mT6_P12ihipStream_tbENKUlT_T0_E_clISt17integral_constantIbLb1EESW_IbLb0EEEEDaSS_ST_EUlSS_E0_NS1_11comp_targetILNS1_3genE5ELNS1_11target_archE942ELNS1_3gpuE9ELNS1_3repE0EEENS1_30default_config_static_selectorELNS0_4arch9wavefront6targetE1EEEvT1_,comdat
	.protected	_ZN7rocprim17ROCPRIM_400000_NS6detail17trampoline_kernelINS0_14default_configENS1_20scan_config_selectorIxEEZZNS1_9scan_implILNS1_25lookback_scan_determinismE0ELb0ELb0ES3_N6thrust23THRUST_200600_302600_NS6detail15normal_iteratorINS9_10device_ptrIxEEEENS9_16discard_iteratorINS9_11use_defaultEEExNS9_4plusIvEExEEDaPvRmT3_T4_T5_mT6_P12ihipStream_tbENKUlT_T0_E_clISt17integral_constantIbLb1EESW_IbLb0EEEEDaSS_ST_EUlSS_E0_NS1_11comp_targetILNS1_3genE5ELNS1_11target_archE942ELNS1_3gpuE9ELNS1_3repE0EEENS1_30default_config_static_selectorELNS0_4arch9wavefront6targetE1EEEvT1_ ; -- Begin function _ZN7rocprim17ROCPRIM_400000_NS6detail17trampoline_kernelINS0_14default_configENS1_20scan_config_selectorIxEEZZNS1_9scan_implILNS1_25lookback_scan_determinismE0ELb0ELb0ES3_N6thrust23THRUST_200600_302600_NS6detail15normal_iteratorINS9_10device_ptrIxEEEENS9_16discard_iteratorINS9_11use_defaultEEExNS9_4plusIvEExEEDaPvRmT3_T4_T5_mT6_P12ihipStream_tbENKUlT_T0_E_clISt17integral_constantIbLb1EESW_IbLb0EEEEDaSS_ST_EUlSS_E0_NS1_11comp_targetILNS1_3genE5ELNS1_11target_archE942ELNS1_3gpuE9ELNS1_3repE0EEENS1_30default_config_static_selectorELNS0_4arch9wavefront6targetE1EEEvT1_
	.globl	_ZN7rocprim17ROCPRIM_400000_NS6detail17trampoline_kernelINS0_14default_configENS1_20scan_config_selectorIxEEZZNS1_9scan_implILNS1_25lookback_scan_determinismE0ELb0ELb0ES3_N6thrust23THRUST_200600_302600_NS6detail15normal_iteratorINS9_10device_ptrIxEEEENS9_16discard_iteratorINS9_11use_defaultEEExNS9_4plusIvEExEEDaPvRmT3_T4_T5_mT6_P12ihipStream_tbENKUlT_T0_E_clISt17integral_constantIbLb1EESW_IbLb0EEEEDaSS_ST_EUlSS_E0_NS1_11comp_targetILNS1_3genE5ELNS1_11target_archE942ELNS1_3gpuE9ELNS1_3repE0EEENS1_30default_config_static_selectorELNS0_4arch9wavefront6targetE1EEEvT1_
	.p2align	8
	.type	_ZN7rocprim17ROCPRIM_400000_NS6detail17trampoline_kernelINS0_14default_configENS1_20scan_config_selectorIxEEZZNS1_9scan_implILNS1_25lookback_scan_determinismE0ELb0ELb0ES3_N6thrust23THRUST_200600_302600_NS6detail15normal_iteratorINS9_10device_ptrIxEEEENS9_16discard_iteratorINS9_11use_defaultEEExNS9_4plusIvEExEEDaPvRmT3_T4_T5_mT6_P12ihipStream_tbENKUlT_T0_E_clISt17integral_constantIbLb1EESW_IbLb0EEEEDaSS_ST_EUlSS_E0_NS1_11comp_targetILNS1_3genE5ELNS1_11target_archE942ELNS1_3gpuE9ELNS1_3repE0EEENS1_30default_config_static_selectorELNS0_4arch9wavefront6targetE1EEEvT1_,@function
_ZN7rocprim17ROCPRIM_400000_NS6detail17trampoline_kernelINS0_14default_configENS1_20scan_config_selectorIxEEZZNS1_9scan_implILNS1_25lookback_scan_determinismE0ELb0ELb0ES3_N6thrust23THRUST_200600_302600_NS6detail15normal_iteratorINS9_10device_ptrIxEEEENS9_16discard_iteratorINS9_11use_defaultEEExNS9_4plusIvEExEEDaPvRmT3_T4_T5_mT6_P12ihipStream_tbENKUlT_T0_E_clISt17integral_constantIbLb1EESW_IbLb0EEEEDaSS_ST_EUlSS_E0_NS1_11comp_targetILNS1_3genE5ELNS1_11target_archE942ELNS1_3gpuE9ELNS1_3repE0EEENS1_30default_config_static_selectorELNS0_4arch9wavefront6targetE1EEEvT1_: ; @_ZN7rocprim17ROCPRIM_400000_NS6detail17trampoline_kernelINS0_14default_configENS1_20scan_config_selectorIxEEZZNS1_9scan_implILNS1_25lookback_scan_determinismE0ELb0ELb0ES3_N6thrust23THRUST_200600_302600_NS6detail15normal_iteratorINS9_10device_ptrIxEEEENS9_16discard_iteratorINS9_11use_defaultEEExNS9_4plusIvEExEEDaPvRmT3_T4_T5_mT6_P12ihipStream_tbENKUlT_T0_E_clISt17integral_constantIbLb1EESW_IbLb0EEEEDaSS_ST_EUlSS_E0_NS1_11comp_targetILNS1_3genE5ELNS1_11target_archE942ELNS1_3gpuE9ELNS1_3repE0EEENS1_30default_config_static_selectorELNS0_4arch9wavefront6targetE1EEEvT1_
; %bb.0:
	.section	.rodata,"a",@progbits
	.p2align	6, 0x0
	.amdhsa_kernel _ZN7rocprim17ROCPRIM_400000_NS6detail17trampoline_kernelINS0_14default_configENS1_20scan_config_selectorIxEEZZNS1_9scan_implILNS1_25lookback_scan_determinismE0ELb0ELb0ES3_N6thrust23THRUST_200600_302600_NS6detail15normal_iteratorINS9_10device_ptrIxEEEENS9_16discard_iteratorINS9_11use_defaultEEExNS9_4plusIvEExEEDaPvRmT3_T4_T5_mT6_P12ihipStream_tbENKUlT_T0_E_clISt17integral_constantIbLb1EESW_IbLb0EEEEDaSS_ST_EUlSS_E0_NS1_11comp_targetILNS1_3genE5ELNS1_11target_archE942ELNS1_3gpuE9ELNS1_3repE0EEENS1_30default_config_static_selectorELNS0_4arch9wavefront6targetE1EEEvT1_
		.amdhsa_group_segment_fixed_size 0
		.amdhsa_private_segment_fixed_size 0
		.amdhsa_kernarg_size 48
		.amdhsa_user_sgpr_count 6
		.amdhsa_user_sgpr_private_segment_buffer 1
		.amdhsa_user_sgpr_dispatch_ptr 0
		.amdhsa_user_sgpr_queue_ptr 0
		.amdhsa_user_sgpr_kernarg_segment_ptr 1
		.amdhsa_user_sgpr_dispatch_id 0
		.amdhsa_user_sgpr_flat_scratch_init 0
		.amdhsa_user_sgpr_kernarg_preload_length 0
		.amdhsa_user_sgpr_kernarg_preload_offset 0
		.amdhsa_user_sgpr_private_segment_size 0
		.amdhsa_uses_dynamic_stack 0
		.amdhsa_system_sgpr_private_segment_wavefront_offset 0
		.amdhsa_system_sgpr_workgroup_id_x 1
		.amdhsa_system_sgpr_workgroup_id_y 0
		.amdhsa_system_sgpr_workgroup_id_z 0
		.amdhsa_system_sgpr_workgroup_info 0
		.amdhsa_system_vgpr_workitem_id 0
		.amdhsa_next_free_vgpr 1
		.amdhsa_next_free_sgpr 0
		.amdhsa_accum_offset 4
		.amdhsa_reserve_vcc 0
		.amdhsa_reserve_flat_scratch 0
		.amdhsa_float_round_mode_32 0
		.amdhsa_float_round_mode_16_64 0
		.amdhsa_float_denorm_mode_32 3
		.amdhsa_float_denorm_mode_16_64 3
		.amdhsa_dx10_clamp 1
		.amdhsa_ieee_mode 1
		.amdhsa_fp16_overflow 0
		.amdhsa_tg_split 0
		.amdhsa_exception_fp_ieee_invalid_op 0
		.amdhsa_exception_fp_denorm_src 0
		.amdhsa_exception_fp_ieee_div_zero 0
		.amdhsa_exception_fp_ieee_overflow 0
		.amdhsa_exception_fp_ieee_underflow 0
		.amdhsa_exception_fp_ieee_inexact 0
		.amdhsa_exception_int_div_zero 0
	.end_amdhsa_kernel
	.section	.text._ZN7rocprim17ROCPRIM_400000_NS6detail17trampoline_kernelINS0_14default_configENS1_20scan_config_selectorIxEEZZNS1_9scan_implILNS1_25lookback_scan_determinismE0ELb0ELb0ES3_N6thrust23THRUST_200600_302600_NS6detail15normal_iteratorINS9_10device_ptrIxEEEENS9_16discard_iteratorINS9_11use_defaultEEExNS9_4plusIvEExEEDaPvRmT3_T4_T5_mT6_P12ihipStream_tbENKUlT_T0_E_clISt17integral_constantIbLb1EESW_IbLb0EEEEDaSS_ST_EUlSS_E0_NS1_11comp_targetILNS1_3genE5ELNS1_11target_archE942ELNS1_3gpuE9ELNS1_3repE0EEENS1_30default_config_static_selectorELNS0_4arch9wavefront6targetE1EEEvT1_,"axG",@progbits,_ZN7rocprim17ROCPRIM_400000_NS6detail17trampoline_kernelINS0_14default_configENS1_20scan_config_selectorIxEEZZNS1_9scan_implILNS1_25lookback_scan_determinismE0ELb0ELb0ES3_N6thrust23THRUST_200600_302600_NS6detail15normal_iteratorINS9_10device_ptrIxEEEENS9_16discard_iteratorINS9_11use_defaultEEExNS9_4plusIvEExEEDaPvRmT3_T4_T5_mT6_P12ihipStream_tbENKUlT_T0_E_clISt17integral_constantIbLb1EESW_IbLb0EEEEDaSS_ST_EUlSS_E0_NS1_11comp_targetILNS1_3genE5ELNS1_11target_archE942ELNS1_3gpuE9ELNS1_3repE0EEENS1_30default_config_static_selectorELNS0_4arch9wavefront6targetE1EEEvT1_,comdat
.Lfunc_end5628:
	.size	_ZN7rocprim17ROCPRIM_400000_NS6detail17trampoline_kernelINS0_14default_configENS1_20scan_config_selectorIxEEZZNS1_9scan_implILNS1_25lookback_scan_determinismE0ELb0ELb0ES3_N6thrust23THRUST_200600_302600_NS6detail15normal_iteratorINS9_10device_ptrIxEEEENS9_16discard_iteratorINS9_11use_defaultEEExNS9_4plusIvEExEEDaPvRmT3_T4_T5_mT6_P12ihipStream_tbENKUlT_T0_E_clISt17integral_constantIbLb1EESW_IbLb0EEEEDaSS_ST_EUlSS_E0_NS1_11comp_targetILNS1_3genE5ELNS1_11target_archE942ELNS1_3gpuE9ELNS1_3repE0EEENS1_30default_config_static_selectorELNS0_4arch9wavefront6targetE1EEEvT1_, .Lfunc_end5628-_ZN7rocprim17ROCPRIM_400000_NS6detail17trampoline_kernelINS0_14default_configENS1_20scan_config_selectorIxEEZZNS1_9scan_implILNS1_25lookback_scan_determinismE0ELb0ELb0ES3_N6thrust23THRUST_200600_302600_NS6detail15normal_iteratorINS9_10device_ptrIxEEEENS9_16discard_iteratorINS9_11use_defaultEEExNS9_4plusIvEExEEDaPvRmT3_T4_T5_mT6_P12ihipStream_tbENKUlT_T0_E_clISt17integral_constantIbLb1EESW_IbLb0EEEEDaSS_ST_EUlSS_E0_NS1_11comp_targetILNS1_3genE5ELNS1_11target_archE942ELNS1_3gpuE9ELNS1_3repE0EEENS1_30default_config_static_selectorELNS0_4arch9wavefront6targetE1EEEvT1_
                                        ; -- End function
	.section	.AMDGPU.csdata,"",@progbits
; Kernel info:
; codeLenInByte = 0
; NumSgprs: 4
; NumVgprs: 0
; NumAgprs: 0
; TotalNumVgprs: 0
; ScratchSize: 0
; MemoryBound: 0
; FloatMode: 240
; IeeeMode: 1
; LDSByteSize: 0 bytes/workgroup (compile time only)
; SGPRBlocks: 0
; VGPRBlocks: 0
; NumSGPRsForWavesPerEU: 4
; NumVGPRsForWavesPerEU: 1
; AccumOffset: 4
; Occupancy: 8
; WaveLimiterHint : 0
; COMPUTE_PGM_RSRC2:SCRATCH_EN: 0
; COMPUTE_PGM_RSRC2:USER_SGPR: 6
; COMPUTE_PGM_RSRC2:TRAP_HANDLER: 0
; COMPUTE_PGM_RSRC2:TGID_X_EN: 1
; COMPUTE_PGM_RSRC2:TGID_Y_EN: 0
; COMPUTE_PGM_RSRC2:TGID_Z_EN: 0
; COMPUTE_PGM_RSRC2:TIDIG_COMP_CNT: 0
; COMPUTE_PGM_RSRC3_GFX90A:ACCUM_OFFSET: 0
; COMPUTE_PGM_RSRC3_GFX90A:TG_SPLIT: 0
	.section	.text._ZN7rocprim17ROCPRIM_400000_NS6detail17trampoline_kernelINS0_14default_configENS1_20scan_config_selectorIxEEZZNS1_9scan_implILNS1_25lookback_scan_determinismE0ELb0ELb0ES3_N6thrust23THRUST_200600_302600_NS6detail15normal_iteratorINS9_10device_ptrIxEEEENS9_16discard_iteratorINS9_11use_defaultEEExNS9_4plusIvEExEEDaPvRmT3_T4_T5_mT6_P12ihipStream_tbENKUlT_T0_E_clISt17integral_constantIbLb1EESW_IbLb0EEEEDaSS_ST_EUlSS_E0_NS1_11comp_targetILNS1_3genE4ELNS1_11target_archE910ELNS1_3gpuE8ELNS1_3repE0EEENS1_30default_config_static_selectorELNS0_4arch9wavefront6targetE1EEEvT1_,"axG",@progbits,_ZN7rocprim17ROCPRIM_400000_NS6detail17trampoline_kernelINS0_14default_configENS1_20scan_config_selectorIxEEZZNS1_9scan_implILNS1_25lookback_scan_determinismE0ELb0ELb0ES3_N6thrust23THRUST_200600_302600_NS6detail15normal_iteratorINS9_10device_ptrIxEEEENS9_16discard_iteratorINS9_11use_defaultEEExNS9_4plusIvEExEEDaPvRmT3_T4_T5_mT6_P12ihipStream_tbENKUlT_T0_E_clISt17integral_constantIbLb1EESW_IbLb0EEEEDaSS_ST_EUlSS_E0_NS1_11comp_targetILNS1_3genE4ELNS1_11target_archE910ELNS1_3gpuE8ELNS1_3repE0EEENS1_30default_config_static_selectorELNS0_4arch9wavefront6targetE1EEEvT1_,comdat
	.protected	_ZN7rocprim17ROCPRIM_400000_NS6detail17trampoline_kernelINS0_14default_configENS1_20scan_config_selectorIxEEZZNS1_9scan_implILNS1_25lookback_scan_determinismE0ELb0ELb0ES3_N6thrust23THRUST_200600_302600_NS6detail15normal_iteratorINS9_10device_ptrIxEEEENS9_16discard_iteratorINS9_11use_defaultEEExNS9_4plusIvEExEEDaPvRmT3_T4_T5_mT6_P12ihipStream_tbENKUlT_T0_E_clISt17integral_constantIbLb1EESW_IbLb0EEEEDaSS_ST_EUlSS_E0_NS1_11comp_targetILNS1_3genE4ELNS1_11target_archE910ELNS1_3gpuE8ELNS1_3repE0EEENS1_30default_config_static_selectorELNS0_4arch9wavefront6targetE1EEEvT1_ ; -- Begin function _ZN7rocprim17ROCPRIM_400000_NS6detail17trampoline_kernelINS0_14default_configENS1_20scan_config_selectorIxEEZZNS1_9scan_implILNS1_25lookback_scan_determinismE0ELb0ELb0ES3_N6thrust23THRUST_200600_302600_NS6detail15normal_iteratorINS9_10device_ptrIxEEEENS9_16discard_iteratorINS9_11use_defaultEEExNS9_4plusIvEExEEDaPvRmT3_T4_T5_mT6_P12ihipStream_tbENKUlT_T0_E_clISt17integral_constantIbLb1EESW_IbLb0EEEEDaSS_ST_EUlSS_E0_NS1_11comp_targetILNS1_3genE4ELNS1_11target_archE910ELNS1_3gpuE8ELNS1_3repE0EEENS1_30default_config_static_selectorELNS0_4arch9wavefront6targetE1EEEvT1_
	.globl	_ZN7rocprim17ROCPRIM_400000_NS6detail17trampoline_kernelINS0_14default_configENS1_20scan_config_selectorIxEEZZNS1_9scan_implILNS1_25lookback_scan_determinismE0ELb0ELb0ES3_N6thrust23THRUST_200600_302600_NS6detail15normal_iteratorINS9_10device_ptrIxEEEENS9_16discard_iteratorINS9_11use_defaultEEExNS9_4plusIvEExEEDaPvRmT3_T4_T5_mT6_P12ihipStream_tbENKUlT_T0_E_clISt17integral_constantIbLb1EESW_IbLb0EEEEDaSS_ST_EUlSS_E0_NS1_11comp_targetILNS1_3genE4ELNS1_11target_archE910ELNS1_3gpuE8ELNS1_3repE0EEENS1_30default_config_static_selectorELNS0_4arch9wavefront6targetE1EEEvT1_
	.p2align	8
	.type	_ZN7rocprim17ROCPRIM_400000_NS6detail17trampoline_kernelINS0_14default_configENS1_20scan_config_selectorIxEEZZNS1_9scan_implILNS1_25lookback_scan_determinismE0ELb0ELb0ES3_N6thrust23THRUST_200600_302600_NS6detail15normal_iteratorINS9_10device_ptrIxEEEENS9_16discard_iteratorINS9_11use_defaultEEExNS9_4plusIvEExEEDaPvRmT3_T4_T5_mT6_P12ihipStream_tbENKUlT_T0_E_clISt17integral_constantIbLb1EESW_IbLb0EEEEDaSS_ST_EUlSS_E0_NS1_11comp_targetILNS1_3genE4ELNS1_11target_archE910ELNS1_3gpuE8ELNS1_3repE0EEENS1_30default_config_static_selectorELNS0_4arch9wavefront6targetE1EEEvT1_,@function
_ZN7rocprim17ROCPRIM_400000_NS6detail17trampoline_kernelINS0_14default_configENS1_20scan_config_selectorIxEEZZNS1_9scan_implILNS1_25lookback_scan_determinismE0ELb0ELb0ES3_N6thrust23THRUST_200600_302600_NS6detail15normal_iteratorINS9_10device_ptrIxEEEENS9_16discard_iteratorINS9_11use_defaultEEExNS9_4plusIvEExEEDaPvRmT3_T4_T5_mT6_P12ihipStream_tbENKUlT_T0_E_clISt17integral_constantIbLb1EESW_IbLb0EEEEDaSS_ST_EUlSS_E0_NS1_11comp_targetILNS1_3genE4ELNS1_11target_archE910ELNS1_3gpuE8ELNS1_3repE0EEENS1_30default_config_static_selectorELNS0_4arch9wavefront6targetE1EEEvT1_: ; @_ZN7rocprim17ROCPRIM_400000_NS6detail17trampoline_kernelINS0_14default_configENS1_20scan_config_selectorIxEEZZNS1_9scan_implILNS1_25lookback_scan_determinismE0ELb0ELb0ES3_N6thrust23THRUST_200600_302600_NS6detail15normal_iteratorINS9_10device_ptrIxEEEENS9_16discard_iteratorINS9_11use_defaultEEExNS9_4plusIvEExEEDaPvRmT3_T4_T5_mT6_P12ihipStream_tbENKUlT_T0_E_clISt17integral_constantIbLb1EESW_IbLb0EEEEDaSS_ST_EUlSS_E0_NS1_11comp_targetILNS1_3genE4ELNS1_11target_archE910ELNS1_3gpuE8ELNS1_3repE0EEENS1_30default_config_static_selectorELNS0_4arch9wavefront6targetE1EEEvT1_
; %bb.0:
	s_load_dwordx4 s[0:3], s[4:5], 0x0
	v_lshlrev_b32_e32 v21, 3, v0
	s_waitcnt lgkmcnt(0)
	s_load_dwordx2 s[4:5], s[0:1], 0x0
	v_cmp_gt_u32_e32 vcc, s2, v0
	s_waitcnt lgkmcnt(0)
	v_pk_mov_b32 v[2:3], s[4:5], s[4:5] op_sel:[0,1]
	s_and_saveexec_b64 s[6:7], vcc
	s_cbranch_execz .LBB5629_2
; %bb.1:
	global_load_dwordx2 v[2:3], v21, s[0:1]
.LBB5629_2:
	s_or_b64 exec, exec, s[6:7]
	v_or_b32_e32 v1, 0x80, v0
	v_cmp_gt_u32_e32 vcc, s2, v1
	v_pk_mov_b32 v[4:5], s[4:5], s[4:5] op_sel:[0,1]
	s_and_saveexec_b64 s[6:7], vcc
	s_cbranch_execz .LBB5629_4
; %bb.3:
	global_load_dwordx2 v[4:5], v21, s[0:1] offset:1024
.LBB5629_4:
	s_or_b64 exec, exec, s[6:7]
	v_or_b32_e32 v1, 0x100, v0
	v_cmp_gt_u32_e32 vcc, s2, v1
	v_pk_mov_b32 v[6:7], s[4:5], s[4:5] op_sel:[0,1]
	s_and_saveexec_b64 s[6:7], vcc
	s_cbranch_execz .LBB5629_6
; %bb.5:
	global_load_dwordx2 v[6:7], v21, s[0:1] offset:2048
.LBB5629_6:
	;; [unrolled: 9-line block ×3, first 2 shown]
	s_or_b64 exec, exec, s[6:7]
	v_or_b32_e32 v1, 0x200, v0
	v_cmp_gt_u32_e32 vcc, s2, v1
	v_pk_mov_b32 v[10:11], s[4:5], s[4:5] op_sel:[0,1]
	s_and_saveexec_b64 s[6:7], vcc
	s_cbranch_execz .LBB5629_10
; %bb.9:
	v_lshlrev_b32_e32 v1, 3, v1
	global_load_dwordx2 v[10:11], v1, s[0:1]
.LBB5629_10:
	s_or_b64 exec, exec, s[6:7]
	v_or_b32_e32 v1, 0x280, v0
	v_cmp_gt_u32_e32 vcc, s2, v1
	v_pk_mov_b32 v[12:13], s[4:5], s[4:5] op_sel:[0,1]
	s_and_saveexec_b64 s[6:7], vcc
	s_cbranch_execz .LBB5629_12
; %bb.11:
	v_lshlrev_b32_e32 v1, 3, v1
	global_load_dwordx2 v[12:13], v1, s[0:1]
.LBB5629_12:
	;; [unrolled: 10-line block ×3, first 2 shown]
	s_or_b64 exec, exec, s[2:3]
	v_mad_u32_u24 v1, v0, 48, v21
	s_waitcnt vmcnt(0)
	ds_write2st64_b64 v21, v[2:3], v[4:5] offset1:2
	ds_write2st64_b64 v21, v[6:7], v[8:9] offset0:4 offset1:6
	ds_write2st64_b64 v21, v[10:11], v[12:13] offset0:8 offset1:10
	ds_write_b64 v21, v[14:15] offset:6144
	s_waitcnt lgkmcnt(0)
	s_barrier
	ds_read2_b64 v[2:5], v1 offset1:1
	ds_read2_b64 v[6:9], v1 offset0:2 offset1:3
	ds_read2_b64 v[10:13], v1 offset0:4 offset1:5
	ds_read_b64 v[28:29], v1 offset:48
	v_lshrrev_b32_e32 v14, 2, v0
	s_waitcnt lgkmcnt(3)
	v_add_co_u32_e32 v20, vcc, v4, v2
	v_addc_co_u32_e32 v1, vcc, v5, v3, vcc
	s_waitcnt lgkmcnt(2)
	v_add_co_u32_e32 v18, vcc, v20, v6
	v_addc_co_u32_e32 v19, vcc, v1, v7, vcc
	v_add_co_u32_e32 v24, vcc, v18, v8
	v_addc_co_u32_e32 v25, vcc, v19, v9, vcc
	s_waitcnt lgkmcnt(1)
	v_add_co_u32_e32 v22, vcc, v24, v10
	v_addc_co_u32_e32 v23, vcc, v25, v11, vcc
	;; [unrolled: 5-line block ×3, first 2 shown]
	v_and_b32_e32 v14, 24, v14
	v_add_u32_e32 v14, v21, v14
	v_cmp_gt_u32_e32 vcc, 64, v0
	s_barrier
	ds_write_b64 v14, v[30:31]
	s_waitcnt lgkmcnt(0)
	s_barrier
	s_and_saveexec_b64 s[2:3], vcc
	s_cbranch_execz .LBB5629_18
; %bb.15:
	v_lshlrev_b32_e32 v14, 1, v0
	v_lshrrev_b32_e32 v15, 4, v0
	v_add_lshl_u32 v32, v15, v14, 3
	ds_read2_b64 v[14:17], v32 offset1:1
	s_waitcnt lgkmcnt(0)
	v_add_co_u32_e32 v34, vcc, v16, v14
	v_addc_co_u32_e32 v35, vcc, v17, v15, vcc
	s_nop 0
	v_mov_b32_dpp v17, v34 row_shr:1 row_mask:0xf bank_mask:0xf
	v_add_co_u32_e32 v17, vcc, v34, v17
	v_mbcnt_lo_u32_b32 v16, -1, 0
	v_addc_co_u32_e32 v37, vcc, 0, v35, vcc
	v_mbcnt_hi_u32_b32 v33, -1, v16
	v_mov_b32_dpp v36, v35 row_shr:1 row_mask:0xf bank_mask:0xf
	v_add_co_u32_e32 v38, vcc, 0, v17
	v_and_b32_e32 v16, 15, v33
	v_addc_co_u32_e32 v36, vcc, v36, v37, vcc
	v_cmp_eq_u32_e32 vcc, 0, v16
	v_cndmask_b32_e32 v17, v17, v34, vcc
	v_cndmask_b32_e32 v36, v36, v35, vcc
	v_cndmask_b32_e32 v37, v38, v34, vcc
	v_mov_b32_dpp v38, v17 row_shr:2 row_mask:0xf bank_mask:0xf
	v_mov_b32_dpp v39, v36 row_shr:2 row_mask:0xf bank_mask:0xf
	v_add_co_u32_e32 v38, vcc, v38, v37
	v_addc_co_u32_e32 v39, vcc, v39, v36, vcc
	v_cmp_lt_u32_e32 vcc, 1, v16
	v_cndmask_b32_e32 v17, v17, v38, vcc
	v_cndmask_b32_e32 v36, v36, v39, vcc
	v_cndmask_b32_e32 v37, v37, v38, vcc
	v_mov_b32_dpp v38, v17 row_shr:4 row_mask:0xf bank_mask:0xf
	v_mov_b32_dpp v39, v36 row_shr:4 row_mask:0xf bank_mask:0xf
	v_add_co_u32_e32 v38, vcc, v38, v37
	v_addc_co_u32_e32 v39, vcc, v39, v36, vcc
	v_cmp_lt_u32_e32 vcc, 3, v16
	;; [unrolled: 8-line block ×3, first 2 shown]
	v_cndmask_b32_e32 v40, v17, v38, vcc
	v_cndmask_b32_e32 v17, v36, v39, vcc
	;; [unrolled: 1-line block ×3, first 2 shown]
	v_mov_b32_dpp v36, v40 row_bcast:15 row_mask:0xf bank_mask:0xf
	v_mov_b32_dpp v37, v17 row_bcast:15 row_mask:0xf bank_mask:0xf
	v_add_co_u32_e32 v36, vcc, v36, v16
	v_and_b32_e32 v39, 16, v33
	v_addc_co_u32_e32 v38, vcc, v37, v17, vcc
	v_cmp_eq_u32_e32 vcc, 0, v39
	v_cndmask_b32_e32 v39, v38, v17, vcc
	v_cndmask_b32_e32 v37, v36, v40, vcc
	v_cmp_ne_u32_e64 s[0:1], 0, v33
	v_mov_b32_dpp v39, v39 row_bcast:31 row_mask:0xf bank_mask:0xf
	v_mov_b32_dpp v37, v37 row_bcast:31 row_mask:0xf bank_mask:0xf
	s_and_saveexec_b64 s[4:5], s[0:1]
; %bb.16:
	v_cndmask_b32_e32 v17, v38, v17, vcc
	v_cndmask_b32_e32 v16, v36, v16, vcc
	v_cmp_lt_u32_e32 vcc, 31, v33
	v_cndmask_b32_e32 v34, 0, v37, vcc
	v_cndmask_b32_e32 v35, 0, v39, vcc
	v_add_co_u32_e32 v34, vcc, v34, v16
	v_addc_co_u32_e32 v35, vcc, v35, v17, vcc
; %bb.17:
	s_or_b64 exec, exec, s[4:5]
	v_add_u32_e32 v16, -1, v33
	v_and_b32_e32 v17, 64, v33
	v_cmp_lt_i32_e32 vcc, v16, v17
	v_cndmask_b32_e32 v16, v16, v33, vcc
	v_lshlrev_b32_e32 v16, 2, v16
	ds_bpermute_b32 v17, v16, v34
	ds_bpermute_b32 v16, v16, v35
	; wave barrier
	s_waitcnt lgkmcnt(1)
	v_add_co_u32_e32 v14, vcc, v14, v17
	v_addc_co_u32_e32 v15, vcc, 0, v15, vcc
	v_add_co_u32_e32 v14, vcc, 0, v14
	s_waitcnt lgkmcnt(0)
	v_addc_co_u32_e32 v15, vcc, v15, v16, vcc
	v_cmp_eq_u32_e32 vcc, 0, v0
	v_cndmask_b32_e32 v15, v15, v31, vcc
	v_cndmask_b32_e32 v14, v14, v30, vcc
	ds_write_b64 v32, v[14:15]
	; wave barrier
	ds_read_b64 v[16:17], v32 offset:8
	s_waitcnt lgkmcnt(0)
	v_add_co_u32_e32 v14, vcc, v16, v14
	v_addc_co_u32_e32 v15, vcc, v17, v15, vcc
	ds_write_b64 v32, v[14:15] offset:8
.LBB5629_18:
	s_or_b64 exec, exec, s[2:3]
	v_mul_u32_u24_e32 v16, 48, v0
	v_cmp_ne_u32_e32 vcc, 0, v0
	v_pk_mov_b32 v[14:15], v[30:31], v[30:31] op_sel:[0,1]
	s_waitcnt lgkmcnt(0)
	s_barrier
	s_and_saveexec_b64 s[0:1], vcc
	s_cbranch_execz .LBB5629_20
; %bb.19:
	v_add_u32_e32 v0, -1, v0
	v_lshrrev_b32_e32 v14, 5, v0
	v_add_lshl_u32 v0, v14, v0, 3
	ds_read_b64 v[14:15], v0
.LBB5629_20:
	s_or_b64 exec, exec, s[0:1]
	s_and_saveexec_b64 s[0:1], vcc
	s_cbranch_execz .LBB5629_22
; %bb.21:
	s_waitcnt lgkmcnt(0)
	v_add_co_u32_e32 v2, vcc, v14, v2
	v_addc_co_u32_e32 v3, vcc, v15, v3, vcc
	v_add_co_u32_e32 v20, vcc, v2, v4
	v_addc_co_u32_e32 v1, vcc, v3, v5, vcc
	;; [unrolled: 2-line block ×7, first 2 shown]
	;;#ASMSTART
	;;#ASMEND
.LBB5629_22:
	s_or_b64 exec, exec, s[0:1]
	v_add_u32_e32 v0, v21, v16
	v_mov_b32_e32 v21, v1
	s_waitcnt lgkmcnt(0)
	s_barrier
	ds_write2_b64 v0, v[2:3], v[20:21] offset1:1
	ds_write2_b64 v0, v[18:19], v[24:25] offset0:2 offset1:3
	ds_write2_b64 v0, v[22:23], v[26:27] offset0:4 offset1:5
	ds_write_b64 v0, v[30:31] offset:48
	s_waitcnt lgkmcnt(0)
	s_barrier
	s_endpgm
	.section	.rodata,"a",@progbits
	.p2align	6, 0x0
	.amdhsa_kernel _ZN7rocprim17ROCPRIM_400000_NS6detail17trampoline_kernelINS0_14default_configENS1_20scan_config_selectorIxEEZZNS1_9scan_implILNS1_25lookback_scan_determinismE0ELb0ELb0ES3_N6thrust23THRUST_200600_302600_NS6detail15normal_iteratorINS9_10device_ptrIxEEEENS9_16discard_iteratorINS9_11use_defaultEEExNS9_4plusIvEExEEDaPvRmT3_T4_T5_mT6_P12ihipStream_tbENKUlT_T0_E_clISt17integral_constantIbLb1EESW_IbLb0EEEEDaSS_ST_EUlSS_E0_NS1_11comp_targetILNS1_3genE4ELNS1_11target_archE910ELNS1_3gpuE8ELNS1_3repE0EEENS1_30default_config_static_selectorELNS0_4arch9wavefront6targetE1EEEvT1_
		.amdhsa_group_segment_fixed_size 7168
		.amdhsa_private_segment_fixed_size 0
		.amdhsa_kernarg_size 48
		.amdhsa_user_sgpr_count 6
		.amdhsa_user_sgpr_private_segment_buffer 1
		.amdhsa_user_sgpr_dispatch_ptr 0
		.amdhsa_user_sgpr_queue_ptr 0
		.amdhsa_user_sgpr_kernarg_segment_ptr 1
		.amdhsa_user_sgpr_dispatch_id 0
		.amdhsa_user_sgpr_flat_scratch_init 0
		.amdhsa_user_sgpr_kernarg_preload_length 0
		.amdhsa_user_sgpr_kernarg_preload_offset 0
		.amdhsa_user_sgpr_private_segment_size 0
		.amdhsa_uses_dynamic_stack 0
		.amdhsa_system_sgpr_private_segment_wavefront_offset 0
		.amdhsa_system_sgpr_workgroup_id_x 1
		.amdhsa_system_sgpr_workgroup_id_y 0
		.amdhsa_system_sgpr_workgroup_id_z 0
		.amdhsa_system_sgpr_workgroup_info 0
		.amdhsa_system_vgpr_workitem_id 0
		.amdhsa_next_free_vgpr 41
		.amdhsa_next_free_sgpr 8
		.amdhsa_accum_offset 44
		.amdhsa_reserve_vcc 1
		.amdhsa_reserve_flat_scratch 0
		.amdhsa_float_round_mode_32 0
		.amdhsa_float_round_mode_16_64 0
		.amdhsa_float_denorm_mode_32 3
		.amdhsa_float_denorm_mode_16_64 3
		.amdhsa_dx10_clamp 1
		.amdhsa_ieee_mode 1
		.amdhsa_fp16_overflow 0
		.amdhsa_tg_split 0
		.amdhsa_exception_fp_ieee_invalid_op 0
		.amdhsa_exception_fp_denorm_src 0
		.amdhsa_exception_fp_ieee_div_zero 0
		.amdhsa_exception_fp_ieee_overflow 0
		.amdhsa_exception_fp_ieee_underflow 0
		.amdhsa_exception_fp_ieee_inexact 0
		.amdhsa_exception_int_div_zero 0
	.end_amdhsa_kernel
	.section	.text._ZN7rocprim17ROCPRIM_400000_NS6detail17trampoline_kernelINS0_14default_configENS1_20scan_config_selectorIxEEZZNS1_9scan_implILNS1_25lookback_scan_determinismE0ELb0ELb0ES3_N6thrust23THRUST_200600_302600_NS6detail15normal_iteratorINS9_10device_ptrIxEEEENS9_16discard_iteratorINS9_11use_defaultEEExNS9_4plusIvEExEEDaPvRmT3_T4_T5_mT6_P12ihipStream_tbENKUlT_T0_E_clISt17integral_constantIbLb1EESW_IbLb0EEEEDaSS_ST_EUlSS_E0_NS1_11comp_targetILNS1_3genE4ELNS1_11target_archE910ELNS1_3gpuE8ELNS1_3repE0EEENS1_30default_config_static_selectorELNS0_4arch9wavefront6targetE1EEEvT1_,"axG",@progbits,_ZN7rocprim17ROCPRIM_400000_NS6detail17trampoline_kernelINS0_14default_configENS1_20scan_config_selectorIxEEZZNS1_9scan_implILNS1_25lookback_scan_determinismE0ELb0ELb0ES3_N6thrust23THRUST_200600_302600_NS6detail15normal_iteratorINS9_10device_ptrIxEEEENS9_16discard_iteratorINS9_11use_defaultEEExNS9_4plusIvEExEEDaPvRmT3_T4_T5_mT6_P12ihipStream_tbENKUlT_T0_E_clISt17integral_constantIbLb1EESW_IbLb0EEEEDaSS_ST_EUlSS_E0_NS1_11comp_targetILNS1_3genE4ELNS1_11target_archE910ELNS1_3gpuE8ELNS1_3repE0EEENS1_30default_config_static_selectorELNS0_4arch9wavefront6targetE1EEEvT1_,comdat
.Lfunc_end5629:
	.size	_ZN7rocprim17ROCPRIM_400000_NS6detail17trampoline_kernelINS0_14default_configENS1_20scan_config_selectorIxEEZZNS1_9scan_implILNS1_25lookback_scan_determinismE0ELb0ELb0ES3_N6thrust23THRUST_200600_302600_NS6detail15normal_iteratorINS9_10device_ptrIxEEEENS9_16discard_iteratorINS9_11use_defaultEEExNS9_4plusIvEExEEDaPvRmT3_T4_T5_mT6_P12ihipStream_tbENKUlT_T0_E_clISt17integral_constantIbLb1EESW_IbLb0EEEEDaSS_ST_EUlSS_E0_NS1_11comp_targetILNS1_3genE4ELNS1_11target_archE910ELNS1_3gpuE8ELNS1_3repE0EEENS1_30default_config_static_selectorELNS0_4arch9wavefront6targetE1EEEvT1_, .Lfunc_end5629-_ZN7rocprim17ROCPRIM_400000_NS6detail17trampoline_kernelINS0_14default_configENS1_20scan_config_selectorIxEEZZNS1_9scan_implILNS1_25lookback_scan_determinismE0ELb0ELb0ES3_N6thrust23THRUST_200600_302600_NS6detail15normal_iteratorINS9_10device_ptrIxEEEENS9_16discard_iteratorINS9_11use_defaultEEExNS9_4plusIvEExEEDaPvRmT3_T4_T5_mT6_P12ihipStream_tbENKUlT_T0_E_clISt17integral_constantIbLb1EESW_IbLb0EEEEDaSS_ST_EUlSS_E0_NS1_11comp_targetILNS1_3genE4ELNS1_11target_archE910ELNS1_3gpuE8ELNS1_3repE0EEENS1_30default_config_static_selectorELNS0_4arch9wavefront6targetE1EEEvT1_
                                        ; -- End function
	.section	.AMDGPU.csdata,"",@progbits
; Kernel info:
; codeLenInByte = 1136
; NumSgprs: 12
; NumVgprs: 41
; NumAgprs: 0
; TotalNumVgprs: 41
; ScratchSize: 0
; MemoryBound: 0
; FloatMode: 240
; IeeeMode: 1
; LDSByteSize: 7168 bytes/workgroup (compile time only)
; SGPRBlocks: 1
; VGPRBlocks: 5
; NumSGPRsForWavesPerEU: 12
; NumVGPRsForWavesPerEU: 41
; AccumOffset: 44
; Occupancy: 5
; WaveLimiterHint : 0
; COMPUTE_PGM_RSRC2:SCRATCH_EN: 0
; COMPUTE_PGM_RSRC2:USER_SGPR: 6
; COMPUTE_PGM_RSRC2:TRAP_HANDLER: 0
; COMPUTE_PGM_RSRC2:TGID_X_EN: 1
; COMPUTE_PGM_RSRC2:TGID_Y_EN: 0
; COMPUTE_PGM_RSRC2:TGID_Z_EN: 0
; COMPUTE_PGM_RSRC2:TIDIG_COMP_CNT: 0
; COMPUTE_PGM_RSRC3_GFX90A:ACCUM_OFFSET: 10
; COMPUTE_PGM_RSRC3_GFX90A:TG_SPLIT: 0
	.section	.text._ZN7rocprim17ROCPRIM_400000_NS6detail17trampoline_kernelINS0_14default_configENS1_20scan_config_selectorIxEEZZNS1_9scan_implILNS1_25lookback_scan_determinismE0ELb0ELb0ES3_N6thrust23THRUST_200600_302600_NS6detail15normal_iteratorINS9_10device_ptrIxEEEENS9_16discard_iteratorINS9_11use_defaultEEExNS9_4plusIvEExEEDaPvRmT3_T4_T5_mT6_P12ihipStream_tbENKUlT_T0_E_clISt17integral_constantIbLb1EESW_IbLb0EEEEDaSS_ST_EUlSS_E0_NS1_11comp_targetILNS1_3genE3ELNS1_11target_archE908ELNS1_3gpuE7ELNS1_3repE0EEENS1_30default_config_static_selectorELNS0_4arch9wavefront6targetE1EEEvT1_,"axG",@progbits,_ZN7rocprim17ROCPRIM_400000_NS6detail17trampoline_kernelINS0_14default_configENS1_20scan_config_selectorIxEEZZNS1_9scan_implILNS1_25lookback_scan_determinismE0ELb0ELb0ES3_N6thrust23THRUST_200600_302600_NS6detail15normal_iteratorINS9_10device_ptrIxEEEENS9_16discard_iteratorINS9_11use_defaultEEExNS9_4plusIvEExEEDaPvRmT3_T4_T5_mT6_P12ihipStream_tbENKUlT_T0_E_clISt17integral_constantIbLb1EESW_IbLb0EEEEDaSS_ST_EUlSS_E0_NS1_11comp_targetILNS1_3genE3ELNS1_11target_archE908ELNS1_3gpuE7ELNS1_3repE0EEENS1_30default_config_static_selectorELNS0_4arch9wavefront6targetE1EEEvT1_,comdat
	.protected	_ZN7rocprim17ROCPRIM_400000_NS6detail17trampoline_kernelINS0_14default_configENS1_20scan_config_selectorIxEEZZNS1_9scan_implILNS1_25lookback_scan_determinismE0ELb0ELb0ES3_N6thrust23THRUST_200600_302600_NS6detail15normal_iteratorINS9_10device_ptrIxEEEENS9_16discard_iteratorINS9_11use_defaultEEExNS9_4plusIvEExEEDaPvRmT3_T4_T5_mT6_P12ihipStream_tbENKUlT_T0_E_clISt17integral_constantIbLb1EESW_IbLb0EEEEDaSS_ST_EUlSS_E0_NS1_11comp_targetILNS1_3genE3ELNS1_11target_archE908ELNS1_3gpuE7ELNS1_3repE0EEENS1_30default_config_static_selectorELNS0_4arch9wavefront6targetE1EEEvT1_ ; -- Begin function _ZN7rocprim17ROCPRIM_400000_NS6detail17trampoline_kernelINS0_14default_configENS1_20scan_config_selectorIxEEZZNS1_9scan_implILNS1_25lookback_scan_determinismE0ELb0ELb0ES3_N6thrust23THRUST_200600_302600_NS6detail15normal_iteratorINS9_10device_ptrIxEEEENS9_16discard_iteratorINS9_11use_defaultEEExNS9_4plusIvEExEEDaPvRmT3_T4_T5_mT6_P12ihipStream_tbENKUlT_T0_E_clISt17integral_constantIbLb1EESW_IbLb0EEEEDaSS_ST_EUlSS_E0_NS1_11comp_targetILNS1_3genE3ELNS1_11target_archE908ELNS1_3gpuE7ELNS1_3repE0EEENS1_30default_config_static_selectorELNS0_4arch9wavefront6targetE1EEEvT1_
	.globl	_ZN7rocprim17ROCPRIM_400000_NS6detail17trampoline_kernelINS0_14default_configENS1_20scan_config_selectorIxEEZZNS1_9scan_implILNS1_25lookback_scan_determinismE0ELb0ELb0ES3_N6thrust23THRUST_200600_302600_NS6detail15normal_iteratorINS9_10device_ptrIxEEEENS9_16discard_iteratorINS9_11use_defaultEEExNS9_4plusIvEExEEDaPvRmT3_T4_T5_mT6_P12ihipStream_tbENKUlT_T0_E_clISt17integral_constantIbLb1EESW_IbLb0EEEEDaSS_ST_EUlSS_E0_NS1_11comp_targetILNS1_3genE3ELNS1_11target_archE908ELNS1_3gpuE7ELNS1_3repE0EEENS1_30default_config_static_selectorELNS0_4arch9wavefront6targetE1EEEvT1_
	.p2align	8
	.type	_ZN7rocprim17ROCPRIM_400000_NS6detail17trampoline_kernelINS0_14default_configENS1_20scan_config_selectorIxEEZZNS1_9scan_implILNS1_25lookback_scan_determinismE0ELb0ELb0ES3_N6thrust23THRUST_200600_302600_NS6detail15normal_iteratorINS9_10device_ptrIxEEEENS9_16discard_iteratorINS9_11use_defaultEEExNS9_4plusIvEExEEDaPvRmT3_T4_T5_mT6_P12ihipStream_tbENKUlT_T0_E_clISt17integral_constantIbLb1EESW_IbLb0EEEEDaSS_ST_EUlSS_E0_NS1_11comp_targetILNS1_3genE3ELNS1_11target_archE908ELNS1_3gpuE7ELNS1_3repE0EEENS1_30default_config_static_selectorELNS0_4arch9wavefront6targetE1EEEvT1_,@function
_ZN7rocprim17ROCPRIM_400000_NS6detail17trampoline_kernelINS0_14default_configENS1_20scan_config_selectorIxEEZZNS1_9scan_implILNS1_25lookback_scan_determinismE0ELb0ELb0ES3_N6thrust23THRUST_200600_302600_NS6detail15normal_iteratorINS9_10device_ptrIxEEEENS9_16discard_iteratorINS9_11use_defaultEEExNS9_4plusIvEExEEDaPvRmT3_T4_T5_mT6_P12ihipStream_tbENKUlT_T0_E_clISt17integral_constantIbLb1EESW_IbLb0EEEEDaSS_ST_EUlSS_E0_NS1_11comp_targetILNS1_3genE3ELNS1_11target_archE908ELNS1_3gpuE7ELNS1_3repE0EEENS1_30default_config_static_selectorELNS0_4arch9wavefront6targetE1EEEvT1_: ; @_ZN7rocprim17ROCPRIM_400000_NS6detail17trampoline_kernelINS0_14default_configENS1_20scan_config_selectorIxEEZZNS1_9scan_implILNS1_25lookback_scan_determinismE0ELb0ELb0ES3_N6thrust23THRUST_200600_302600_NS6detail15normal_iteratorINS9_10device_ptrIxEEEENS9_16discard_iteratorINS9_11use_defaultEEExNS9_4plusIvEExEEDaPvRmT3_T4_T5_mT6_P12ihipStream_tbENKUlT_T0_E_clISt17integral_constantIbLb1EESW_IbLb0EEEEDaSS_ST_EUlSS_E0_NS1_11comp_targetILNS1_3genE3ELNS1_11target_archE908ELNS1_3gpuE7ELNS1_3repE0EEENS1_30default_config_static_selectorELNS0_4arch9wavefront6targetE1EEEvT1_
; %bb.0:
	.section	.rodata,"a",@progbits
	.p2align	6, 0x0
	.amdhsa_kernel _ZN7rocprim17ROCPRIM_400000_NS6detail17trampoline_kernelINS0_14default_configENS1_20scan_config_selectorIxEEZZNS1_9scan_implILNS1_25lookback_scan_determinismE0ELb0ELb0ES3_N6thrust23THRUST_200600_302600_NS6detail15normal_iteratorINS9_10device_ptrIxEEEENS9_16discard_iteratorINS9_11use_defaultEEExNS9_4plusIvEExEEDaPvRmT3_T4_T5_mT6_P12ihipStream_tbENKUlT_T0_E_clISt17integral_constantIbLb1EESW_IbLb0EEEEDaSS_ST_EUlSS_E0_NS1_11comp_targetILNS1_3genE3ELNS1_11target_archE908ELNS1_3gpuE7ELNS1_3repE0EEENS1_30default_config_static_selectorELNS0_4arch9wavefront6targetE1EEEvT1_
		.amdhsa_group_segment_fixed_size 0
		.amdhsa_private_segment_fixed_size 0
		.amdhsa_kernarg_size 48
		.amdhsa_user_sgpr_count 6
		.amdhsa_user_sgpr_private_segment_buffer 1
		.amdhsa_user_sgpr_dispatch_ptr 0
		.amdhsa_user_sgpr_queue_ptr 0
		.amdhsa_user_sgpr_kernarg_segment_ptr 1
		.amdhsa_user_sgpr_dispatch_id 0
		.amdhsa_user_sgpr_flat_scratch_init 0
		.amdhsa_user_sgpr_kernarg_preload_length 0
		.amdhsa_user_sgpr_kernarg_preload_offset 0
		.amdhsa_user_sgpr_private_segment_size 0
		.amdhsa_uses_dynamic_stack 0
		.amdhsa_system_sgpr_private_segment_wavefront_offset 0
		.amdhsa_system_sgpr_workgroup_id_x 1
		.amdhsa_system_sgpr_workgroup_id_y 0
		.amdhsa_system_sgpr_workgroup_id_z 0
		.amdhsa_system_sgpr_workgroup_info 0
		.amdhsa_system_vgpr_workitem_id 0
		.amdhsa_next_free_vgpr 1
		.amdhsa_next_free_sgpr 0
		.amdhsa_accum_offset 4
		.amdhsa_reserve_vcc 0
		.amdhsa_reserve_flat_scratch 0
		.amdhsa_float_round_mode_32 0
		.amdhsa_float_round_mode_16_64 0
		.amdhsa_float_denorm_mode_32 3
		.amdhsa_float_denorm_mode_16_64 3
		.amdhsa_dx10_clamp 1
		.amdhsa_ieee_mode 1
		.amdhsa_fp16_overflow 0
		.amdhsa_tg_split 0
		.amdhsa_exception_fp_ieee_invalid_op 0
		.amdhsa_exception_fp_denorm_src 0
		.amdhsa_exception_fp_ieee_div_zero 0
		.amdhsa_exception_fp_ieee_overflow 0
		.amdhsa_exception_fp_ieee_underflow 0
		.amdhsa_exception_fp_ieee_inexact 0
		.amdhsa_exception_int_div_zero 0
	.end_amdhsa_kernel
	.section	.text._ZN7rocprim17ROCPRIM_400000_NS6detail17trampoline_kernelINS0_14default_configENS1_20scan_config_selectorIxEEZZNS1_9scan_implILNS1_25lookback_scan_determinismE0ELb0ELb0ES3_N6thrust23THRUST_200600_302600_NS6detail15normal_iteratorINS9_10device_ptrIxEEEENS9_16discard_iteratorINS9_11use_defaultEEExNS9_4plusIvEExEEDaPvRmT3_T4_T5_mT6_P12ihipStream_tbENKUlT_T0_E_clISt17integral_constantIbLb1EESW_IbLb0EEEEDaSS_ST_EUlSS_E0_NS1_11comp_targetILNS1_3genE3ELNS1_11target_archE908ELNS1_3gpuE7ELNS1_3repE0EEENS1_30default_config_static_selectorELNS0_4arch9wavefront6targetE1EEEvT1_,"axG",@progbits,_ZN7rocprim17ROCPRIM_400000_NS6detail17trampoline_kernelINS0_14default_configENS1_20scan_config_selectorIxEEZZNS1_9scan_implILNS1_25lookback_scan_determinismE0ELb0ELb0ES3_N6thrust23THRUST_200600_302600_NS6detail15normal_iteratorINS9_10device_ptrIxEEEENS9_16discard_iteratorINS9_11use_defaultEEExNS9_4plusIvEExEEDaPvRmT3_T4_T5_mT6_P12ihipStream_tbENKUlT_T0_E_clISt17integral_constantIbLb1EESW_IbLb0EEEEDaSS_ST_EUlSS_E0_NS1_11comp_targetILNS1_3genE3ELNS1_11target_archE908ELNS1_3gpuE7ELNS1_3repE0EEENS1_30default_config_static_selectorELNS0_4arch9wavefront6targetE1EEEvT1_,comdat
.Lfunc_end5630:
	.size	_ZN7rocprim17ROCPRIM_400000_NS6detail17trampoline_kernelINS0_14default_configENS1_20scan_config_selectorIxEEZZNS1_9scan_implILNS1_25lookback_scan_determinismE0ELb0ELb0ES3_N6thrust23THRUST_200600_302600_NS6detail15normal_iteratorINS9_10device_ptrIxEEEENS9_16discard_iteratorINS9_11use_defaultEEExNS9_4plusIvEExEEDaPvRmT3_T4_T5_mT6_P12ihipStream_tbENKUlT_T0_E_clISt17integral_constantIbLb1EESW_IbLb0EEEEDaSS_ST_EUlSS_E0_NS1_11comp_targetILNS1_3genE3ELNS1_11target_archE908ELNS1_3gpuE7ELNS1_3repE0EEENS1_30default_config_static_selectorELNS0_4arch9wavefront6targetE1EEEvT1_, .Lfunc_end5630-_ZN7rocprim17ROCPRIM_400000_NS6detail17trampoline_kernelINS0_14default_configENS1_20scan_config_selectorIxEEZZNS1_9scan_implILNS1_25lookback_scan_determinismE0ELb0ELb0ES3_N6thrust23THRUST_200600_302600_NS6detail15normal_iteratorINS9_10device_ptrIxEEEENS9_16discard_iteratorINS9_11use_defaultEEExNS9_4plusIvEExEEDaPvRmT3_T4_T5_mT6_P12ihipStream_tbENKUlT_T0_E_clISt17integral_constantIbLb1EESW_IbLb0EEEEDaSS_ST_EUlSS_E0_NS1_11comp_targetILNS1_3genE3ELNS1_11target_archE908ELNS1_3gpuE7ELNS1_3repE0EEENS1_30default_config_static_selectorELNS0_4arch9wavefront6targetE1EEEvT1_
                                        ; -- End function
	.section	.AMDGPU.csdata,"",@progbits
; Kernel info:
; codeLenInByte = 0
; NumSgprs: 4
; NumVgprs: 0
; NumAgprs: 0
; TotalNumVgprs: 0
; ScratchSize: 0
; MemoryBound: 0
; FloatMode: 240
; IeeeMode: 1
; LDSByteSize: 0 bytes/workgroup (compile time only)
; SGPRBlocks: 0
; VGPRBlocks: 0
; NumSGPRsForWavesPerEU: 4
; NumVGPRsForWavesPerEU: 1
; AccumOffset: 4
; Occupancy: 8
; WaveLimiterHint : 0
; COMPUTE_PGM_RSRC2:SCRATCH_EN: 0
; COMPUTE_PGM_RSRC2:USER_SGPR: 6
; COMPUTE_PGM_RSRC2:TRAP_HANDLER: 0
; COMPUTE_PGM_RSRC2:TGID_X_EN: 1
; COMPUTE_PGM_RSRC2:TGID_Y_EN: 0
; COMPUTE_PGM_RSRC2:TGID_Z_EN: 0
; COMPUTE_PGM_RSRC2:TIDIG_COMP_CNT: 0
; COMPUTE_PGM_RSRC3_GFX90A:ACCUM_OFFSET: 0
; COMPUTE_PGM_RSRC3_GFX90A:TG_SPLIT: 0
	.section	.text._ZN7rocprim17ROCPRIM_400000_NS6detail17trampoline_kernelINS0_14default_configENS1_20scan_config_selectorIxEEZZNS1_9scan_implILNS1_25lookback_scan_determinismE0ELb0ELb0ES3_N6thrust23THRUST_200600_302600_NS6detail15normal_iteratorINS9_10device_ptrIxEEEENS9_16discard_iteratorINS9_11use_defaultEEExNS9_4plusIvEExEEDaPvRmT3_T4_T5_mT6_P12ihipStream_tbENKUlT_T0_E_clISt17integral_constantIbLb1EESW_IbLb0EEEEDaSS_ST_EUlSS_E0_NS1_11comp_targetILNS1_3genE2ELNS1_11target_archE906ELNS1_3gpuE6ELNS1_3repE0EEENS1_30default_config_static_selectorELNS0_4arch9wavefront6targetE1EEEvT1_,"axG",@progbits,_ZN7rocprim17ROCPRIM_400000_NS6detail17trampoline_kernelINS0_14default_configENS1_20scan_config_selectorIxEEZZNS1_9scan_implILNS1_25lookback_scan_determinismE0ELb0ELb0ES3_N6thrust23THRUST_200600_302600_NS6detail15normal_iteratorINS9_10device_ptrIxEEEENS9_16discard_iteratorINS9_11use_defaultEEExNS9_4plusIvEExEEDaPvRmT3_T4_T5_mT6_P12ihipStream_tbENKUlT_T0_E_clISt17integral_constantIbLb1EESW_IbLb0EEEEDaSS_ST_EUlSS_E0_NS1_11comp_targetILNS1_3genE2ELNS1_11target_archE906ELNS1_3gpuE6ELNS1_3repE0EEENS1_30default_config_static_selectorELNS0_4arch9wavefront6targetE1EEEvT1_,comdat
	.protected	_ZN7rocprim17ROCPRIM_400000_NS6detail17trampoline_kernelINS0_14default_configENS1_20scan_config_selectorIxEEZZNS1_9scan_implILNS1_25lookback_scan_determinismE0ELb0ELb0ES3_N6thrust23THRUST_200600_302600_NS6detail15normal_iteratorINS9_10device_ptrIxEEEENS9_16discard_iteratorINS9_11use_defaultEEExNS9_4plusIvEExEEDaPvRmT3_T4_T5_mT6_P12ihipStream_tbENKUlT_T0_E_clISt17integral_constantIbLb1EESW_IbLb0EEEEDaSS_ST_EUlSS_E0_NS1_11comp_targetILNS1_3genE2ELNS1_11target_archE906ELNS1_3gpuE6ELNS1_3repE0EEENS1_30default_config_static_selectorELNS0_4arch9wavefront6targetE1EEEvT1_ ; -- Begin function _ZN7rocprim17ROCPRIM_400000_NS6detail17trampoline_kernelINS0_14default_configENS1_20scan_config_selectorIxEEZZNS1_9scan_implILNS1_25lookback_scan_determinismE0ELb0ELb0ES3_N6thrust23THRUST_200600_302600_NS6detail15normal_iteratorINS9_10device_ptrIxEEEENS9_16discard_iteratorINS9_11use_defaultEEExNS9_4plusIvEExEEDaPvRmT3_T4_T5_mT6_P12ihipStream_tbENKUlT_T0_E_clISt17integral_constantIbLb1EESW_IbLb0EEEEDaSS_ST_EUlSS_E0_NS1_11comp_targetILNS1_3genE2ELNS1_11target_archE906ELNS1_3gpuE6ELNS1_3repE0EEENS1_30default_config_static_selectorELNS0_4arch9wavefront6targetE1EEEvT1_
	.globl	_ZN7rocprim17ROCPRIM_400000_NS6detail17trampoline_kernelINS0_14default_configENS1_20scan_config_selectorIxEEZZNS1_9scan_implILNS1_25lookback_scan_determinismE0ELb0ELb0ES3_N6thrust23THRUST_200600_302600_NS6detail15normal_iteratorINS9_10device_ptrIxEEEENS9_16discard_iteratorINS9_11use_defaultEEExNS9_4plusIvEExEEDaPvRmT3_T4_T5_mT6_P12ihipStream_tbENKUlT_T0_E_clISt17integral_constantIbLb1EESW_IbLb0EEEEDaSS_ST_EUlSS_E0_NS1_11comp_targetILNS1_3genE2ELNS1_11target_archE906ELNS1_3gpuE6ELNS1_3repE0EEENS1_30default_config_static_selectorELNS0_4arch9wavefront6targetE1EEEvT1_
	.p2align	8
	.type	_ZN7rocprim17ROCPRIM_400000_NS6detail17trampoline_kernelINS0_14default_configENS1_20scan_config_selectorIxEEZZNS1_9scan_implILNS1_25lookback_scan_determinismE0ELb0ELb0ES3_N6thrust23THRUST_200600_302600_NS6detail15normal_iteratorINS9_10device_ptrIxEEEENS9_16discard_iteratorINS9_11use_defaultEEExNS9_4plusIvEExEEDaPvRmT3_T4_T5_mT6_P12ihipStream_tbENKUlT_T0_E_clISt17integral_constantIbLb1EESW_IbLb0EEEEDaSS_ST_EUlSS_E0_NS1_11comp_targetILNS1_3genE2ELNS1_11target_archE906ELNS1_3gpuE6ELNS1_3repE0EEENS1_30default_config_static_selectorELNS0_4arch9wavefront6targetE1EEEvT1_,@function
_ZN7rocprim17ROCPRIM_400000_NS6detail17trampoline_kernelINS0_14default_configENS1_20scan_config_selectorIxEEZZNS1_9scan_implILNS1_25lookback_scan_determinismE0ELb0ELb0ES3_N6thrust23THRUST_200600_302600_NS6detail15normal_iteratorINS9_10device_ptrIxEEEENS9_16discard_iteratorINS9_11use_defaultEEExNS9_4plusIvEExEEDaPvRmT3_T4_T5_mT6_P12ihipStream_tbENKUlT_T0_E_clISt17integral_constantIbLb1EESW_IbLb0EEEEDaSS_ST_EUlSS_E0_NS1_11comp_targetILNS1_3genE2ELNS1_11target_archE906ELNS1_3gpuE6ELNS1_3repE0EEENS1_30default_config_static_selectorELNS0_4arch9wavefront6targetE1EEEvT1_: ; @_ZN7rocprim17ROCPRIM_400000_NS6detail17trampoline_kernelINS0_14default_configENS1_20scan_config_selectorIxEEZZNS1_9scan_implILNS1_25lookback_scan_determinismE0ELb0ELb0ES3_N6thrust23THRUST_200600_302600_NS6detail15normal_iteratorINS9_10device_ptrIxEEEENS9_16discard_iteratorINS9_11use_defaultEEExNS9_4plusIvEExEEDaPvRmT3_T4_T5_mT6_P12ihipStream_tbENKUlT_T0_E_clISt17integral_constantIbLb1EESW_IbLb0EEEEDaSS_ST_EUlSS_E0_NS1_11comp_targetILNS1_3genE2ELNS1_11target_archE906ELNS1_3gpuE6ELNS1_3repE0EEENS1_30default_config_static_selectorELNS0_4arch9wavefront6targetE1EEEvT1_
; %bb.0:
	.section	.rodata,"a",@progbits
	.p2align	6, 0x0
	.amdhsa_kernel _ZN7rocprim17ROCPRIM_400000_NS6detail17trampoline_kernelINS0_14default_configENS1_20scan_config_selectorIxEEZZNS1_9scan_implILNS1_25lookback_scan_determinismE0ELb0ELb0ES3_N6thrust23THRUST_200600_302600_NS6detail15normal_iteratorINS9_10device_ptrIxEEEENS9_16discard_iteratorINS9_11use_defaultEEExNS9_4plusIvEExEEDaPvRmT3_T4_T5_mT6_P12ihipStream_tbENKUlT_T0_E_clISt17integral_constantIbLb1EESW_IbLb0EEEEDaSS_ST_EUlSS_E0_NS1_11comp_targetILNS1_3genE2ELNS1_11target_archE906ELNS1_3gpuE6ELNS1_3repE0EEENS1_30default_config_static_selectorELNS0_4arch9wavefront6targetE1EEEvT1_
		.amdhsa_group_segment_fixed_size 0
		.amdhsa_private_segment_fixed_size 0
		.amdhsa_kernarg_size 48
		.amdhsa_user_sgpr_count 6
		.amdhsa_user_sgpr_private_segment_buffer 1
		.amdhsa_user_sgpr_dispatch_ptr 0
		.amdhsa_user_sgpr_queue_ptr 0
		.amdhsa_user_sgpr_kernarg_segment_ptr 1
		.amdhsa_user_sgpr_dispatch_id 0
		.amdhsa_user_sgpr_flat_scratch_init 0
		.amdhsa_user_sgpr_kernarg_preload_length 0
		.amdhsa_user_sgpr_kernarg_preload_offset 0
		.amdhsa_user_sgpr_private_segment_size 0
		.amdhsa_uses_dynamic_stack 0
		.amdhsa_system_sgpr_private_segment_wavefront_offset 0
		.amdhsa_system_sgpr_workgroup_id_x 1
		.amdhsa_system_sgpr_workgroup_id_y 0
		.amdhsa_system_sgpr_workgroup_id_z 0
		.amdhsa_system_sgpr_workgroup_info 0
		.amdhsa_system_vgpr_workitem_id 0
		.amdhsa_next_free_vgpr 1
		.amdhsa_next_free_sgpr 0
		.amdhsa_accum_offset 4
		.amdhsa_reserve_vcc 0
		.amdhsa_reserve_flat_scratch 0
		.amdhsa_float_round_mode_32 0
		.amdhsa_float_round_mode_16_64 0
		.amdhsa_float_denorm_mode_32 3
		.amdhsa_float_denorm_mode_16_64 3
		.amdhsa_dx10_clamp 1
		.amdhsa_ieee_mode 1
		.amdhsa_fp16_overflow 0
		.amdhsa_tg_split 0
		.amdhsa_exception_fp_ieee_invalid_op 0
		.amdhsa_exception_fp_denorm_src 0
		.amdhsa_exception_fp_ieee_div_zero 0
		.amdhsa_exception_fp_ieee_overflow 0
		.amdhsa_exception_fp_ieee_underflow 0
		.amdhsa_exception_fp_ieee_inexact 0
		.amdhsa_exception_int_div_zero 0
	.end_amdhsa_kernel
	.section	.text._ZN7rocprim17ROCPRIM_400000_NS6detail17trampoline_kernelINS0_14default_configENS1_20scan_config_selectorIxEEZZNS1_9scan_implILNS1_25lookback_scan_determinismE0ELb0ELb0ES3_N6thrust23THRUST_200600_302600_NS6detail15normal_iteratorINS9_10device_ptrIxEEEENS9_16discard_iteratorINS9_11use_defaultEEExNS9_4plusIvEExEEDaPvRmT3_T4_T5_mT6_P12ihipStream_tbENKUlT_T0_E_clISt17integral_constantIbLb1EESW_IbLb0EEEEDaSS_ST_EUlSS_E0_NS1_11comp_targetILNS1_3genE2ELNS1_11target_archE906ELNS1_3gpuE6ELNS1_3repE0EEENS1_30default_config_static_selectorELNS0_4arch9wavefront6targetE1EEEvT1_,"axG",@progbits,_ZN7rocprim17ROCPRIM_400000_NS6detail17trampoline_kernelINS0_14default_configENS1_20scan_config_selectorIxEEZZNS1_9scan_implILNS1_25lookback_scan_determinismE0ELb0ELb0ES3_N6thrust23THRUST_200600_302600_NS6detail15normal_iteratorINS9_10device_ptrIxEEEENS9_16discard_iteratorINS9_11use_defaultEEExNS9_4plusIvEExEEDaPvRmT3_T4_T5_mT6_P12ihipStream_tbENKUlT_T0_E_clISt17integral_constantIbLb1EESW_IbLb0EEEEDaSS_ST_EUlSS_E0_NS1_11comp_targetILNS1_3genE2ELNS1_11target_archE906ELNS1_3gpuE6ELNS1_3repE0EEENS1_30default_config_static_selectorELNS0_4arch9wavefront6targetE1EEEvT1_,comdat
.Lfunc_end5631:
	.size	_ZN7rocprim17ROCPRIM_400000_NS6detail17trampoline_kernelINS0_14default_configENS1_20scan_config_selectorIxEEZZNS1_9scan_implILNS1_25lookback_scan_determinismE0ELb0ELb0ES3_N6thrust23THRUST_200600_302600_NS6detail15normal_iteratorINS9_10device_ptrIxEEEENS9_16discard_iteratorINS9_11use_defaultEEExNS9_4plusIvEExEEDaPvRmT3_T4_T5_mT6_P12ihipStream_tbENKUlT_T0_E_clISt17integral_constantIbLb1EESW_IbLb0EEEEDaSS_ST_EUlSS_E0_NS1_11comp_targetILNS1_3genE2ELNS1_11target_archE906ELNS1_3gpuE6ELNS1_3repE0EEENS1_30default_config_static_selectorELNS0_4arch9wavefront6targetE1EEEvT1_, .Lfunc_end5631-_ZN7rocprim17ROCPRIM_400000_NS6detail17trampoline_kernelINS0_14default_configENS1_20scan_config_selectorIxEEZZNS1_9scan_implILNS1_25lookback_scan_determinismE0ELb0ELb0ES3_N6thrust23THRUST_200600_302600_NS6detail15normal_iteratorINS9_10device_ptrIxEEEENS9_16discard_iteratorINS9_11use_defaultEEExNS9_4plusIvEExEEDaPvRmT3_T4_T5_mT6_P12ihipStream_tbENKUlT_T0_E_clISt17integral_constantIbLb1EESW_IbLb0EEEEDaSS_ST_EUlSS_E0_NS1_11comp_targetILNS1_3genE2ELNS1_11target_archE906ELNS1_3gpuE6ELNS1_3repE0EEENS1_30default_config_static_selectorELNS0_4arch9wavefront6targetE1EEEvT1_
                                        ; -- End function
	.section	.AMDGPU.csdata,"",@progbits
; Kernel info:
; codeLenInByte = 0
; NumSgprs: 4
; NumVgprs: 0
; NumAgprs: 0
; TotalNumVgprs: 0
; ScratchSize: 0
; MemoryBound: 0
; FloatMode: 240
; IeeeMode: 1
; LDSByteSize: 0 bytes/workgroup (compile time only)
; SGPRBlocks: 0
; VGPRBlocks: 0
; NumSGPRsForWavesPerEU: 4
; NumVGPRsForWavesPerEU: 1
; AccumOffset: 4
; Occupancy: 8
; WaveLimiterHint : 0
; COMPUTE_PGM_RSRC2:SCRATCH_EN: 0
; COMPUTE_PGM_RSRC2:USER_SGPR: 6
; COMPUTE_PGM_RSRC2:TRAP_HANDLER: 0
; COMPUTE_PGM_RSRC2:TGID_X_EN: 1
; COMPUTE_PGM_RSRC2:TGID_Y_EN: 0
; COMPUTE_PGM_RSRC2:TGID_Z_EN: 0
; COMPUTE_PGM_RSRC2:TIDIG_COMP_CNT: 0
; COMPUTE_PGM_RSRC3_GFX90A:ACCUM_OFFSET: 0
; COMPUTE_PGM_RSRC3_GFX90A:TG_SPLIT: 0
	.section	.text._ZN7rocprim17ROCPRIM_400000_NS6detail17trampoline_kernelINS0_14default_configENS1_20scan_config_selectorIxEEZZNS1_9scan_implILNS1_25lookback_scan_determinismE0ELb0ELb0ES3_N6thrust23THRUST_200600_302600_NS6detail15normal_iteratorINS9_10device_ptrIxEEEENS9_16discard_iteratorINS9_11use_defaultEEExNS9_4plusIvEExEEDaPvRmT3_T4_T5_mT6_P12ihipStream_tbENKUlT_T0_E_clISt17integral_constantIbLb1EESW_IbLb0EEEEDaSS_ST_EUlSS_E0_NS1_11comp_targetILNS1_3genE10ELNS1_11target_archE1201ELNS1_3gpuE5ELNS1_3repE0EEENS1_30default_config_static_selectorELNS0_4arch9wavefront6targetE1EEEvT1_,"axG",@progbits,_ZN7rocprim17ROCPRIM_400000_NS6detail17trampoline_kernelINS0_14default_configENS1_20scan_config_selectorIxEEZZNS1_9scan_implILNS1_25lookback_scan_determinismE0ELb0ELb0ES3_N6thrust23THRUST_200600_302600_NS6detail15normal_iteratorINS9_10device_ptrIxEEEENS9_16discard_iteratorINS9_11use_defaultEEExNS9_4plusIvEExEEDaPvRmT3_T4_T5_mT6_P12ihipStream_tbENKUlT_T0_E_clISt17integral_constantIbLb1EESW_IbLb0EEEEDaSS_ST_EUlSS_E0_NS1_11comp_targetILNS1_3genE10ELNS1_11target_archE1201ELNS1_3gpuE5ELNS1_3repE0EEENS1_30default_config_static_selectorELNS0_4arch9wavefront6targetE1EEEvT1_,comdat
	.protected	_ZN7rocprim17ROCPRIM_400000_NS6detail17trampoline_kernelINS0_14default_configENS1_20scan_config_selectorIxEEZZNS1_9scan_implILNS1_25lookback_scan_determinismE0ELb0ELb0ES3_N6thrust23THRUST_200600_302600_NS6detail15normal_iteratorINS9_10device_ptrIxEEEENS9_16discard_iteratorINS9_11use_defaultEEExNS9_4plusIvEExEEDaPvRmT3_T4_T5_mT6_P12ihipStream_tbENKUlT_T0_E_clISt17integral_constantIbLb1EESW_IbLb0EEEEDaSS_ST_EUlSS_E0_NS1_11comp_targetILNS1_3genE10ELNS1_11target_archE1201ELNS1_3gpuE5ELNS1_3repE0EEENS1_30default_config_static_selectorELNS0_4arch9wavefront6targetE1EEEvT1_ ; -- Begin function _ZN7rocprim17ROCPRIM_400000_NS6detail17trampoline_kernelINS0_14default_configENS1_20scan_config_selectorIxEEZZNS1_9scan_implILNS1_25lookback_scan_determinismE0ELb0ELb0ES3_N6thrust23THRUST_200600_302600_NS6detail15normal_iteratorINS9_10device_ptrIxEEEENS9_16discard_iteratorINS9_11use_defaultEEExNS9_4plusIvEExEEDaPvRmT3_T4_T5_mT6_P12ihipStream_tbENKUlT_T0_E_clISt17integral_constantIbLb1EESW_IbLb0EEEEDaSS_ST_EUlSS_E0_NS1_11comp_targetILNS1_3genE10ELNS1_11target_archE1201ELNS1_3gpuE5ELNS1_3repE0EEENS1_30default_config_static_selectorELNS0_4arch9wavefront6targetE1EEEvT1_
	.globl	_ZN7rocprim17ROCPRIM_400000_NS6detail17trampoline_kernelINS0_14default_configENS1_20scan_config_selectorIxEEZZNS1_9scan_implILNS1_25lookback_scan_determinismE0ELb0ELb0ES3_N6thrust23THRUST_200600_302600_NS6detail15normal_iteratorINS9_10device_ptrIxEEEENS9_16discard_iteratorINS9_11use_defaultEEExNS9_4plusIvEExEEDaPvRmT3_T4_T5_mT6_P12ihipStream_tbENKUlT_T0_E_clISt17integral_constantIbLb1EESW_IbLb0EEEEDaSS_ST_EUlSS_E0_NS1_11comp_targetILNS1_3genE10ELNS1_11target_archE1201ELNS1_3gpuE5ELNS1_3repE0EEENS1_30default_config_static_selectorELNS0_4arch9wavefront6targetE1EEEvT1_
	.p2align	8
	.type	_ZN7rocprim17ROCPRIM_400000_NS6detail17trampoline_kernelINS0_14default_configENS1_20scan_config_selectorIxEEZZNS1_9scan_implILNS1_25lookback_scan_determinismE0ELb0ELb0ES3_N6thrust23THRUST_200600_302600_NS6detail15normal_iteratorINS9_10device_ptrIxEEEENS9_16discard_iteratorINS9_11use_defaultEEExNS9_4plusIvEExEEDaPvRmT3_T4_T5_mT6_P12ihipStream_tbENKUlT_T0_E_clISt17integral_constantIbLb1EESW_IbLb0EEEEDaSS_ST_EUlSS_E0_NS1_11comp_targetILNS1_3genE10ELNS1_11target_archE1201ELNS1_3gpuE5ELNS1_3repE0EEENS1_30default_config_static_selectorELNS0_4arch9wavefront6targetE1EEEvT1_,@function
_ZN7rocprim17ROCPRIM_400000_NS6detail17trampoline_kernelINS0_14default_configENS1_20scan_config_selectorIxEEZZNS1_9scan_implILNS1_25lookback_scan_determinismE0ELb0ELb0ES3_N6thrust23THRUST_200600_302600_NS6detail15normal_iteratorINS9_10device_ptrIxEEEENS9_16discard_iteratorINS9_11use_defaultEEExNS9_4plusIvEExEEDaPvRmT3_T4_T5_mT6_P12ihipStream_tbENKUlT_T0_E_clISt17integral_constantIbLb1EESW_IbLb0EEEEDaSS_ST_EUlSS_E0_NS1_11comp_targetILNS1_3genE10ELNS1_11target_archE1201ELNS1_3gpuE5ELNS1_3repE0EEENS1_30default_config_static_selectorELNS0_4arch9wavefront6targetE1EEEvT1_: ; @_ZN7rocprim17ROCPRIM_400000_NS6detail17trampoline_kernelINS0_14default_configENS1_20scan_config_selectorIxEEZZNS1_9scan_implILNS1_25lookback_scan_determinismE0ELb0ELb0ES3_N6thrust23THRUST_200600_302600_NS6detail15normal_iteratorINS9_10device_ptrIxEEEENS9_16discard_iteratorINS9_11use_defaultEEExNS9_4plusIvEExEEDaPvRmT3_T4_T5_mT6_P12ihipStream_tbENKUlT_T0_E_clISt17integral_constantIbLb1EESW_IbLb0EEEEDaSS_ST_EUlSS_E0_NS1_11comp_targetILNS1_3genE10ELNS1_11target_archE1201ELNS1_3gpuE5ELNS1_3repE0EEENS1_30default_config_static_selectorELNS0_4arch9wavefront6targetE1EEEvT1_
; %bb.0:
	.section	.rodata,"a",@progbits
	.p2align	6, 0x0
	.amdhsa_kernel _ZN7rocprim17ROCPRIM_400000_NS6detail17trampoline_kernelINS0_14default_configENS1_20scan_config_selectorIxEEZZNS1_9scan_implILNS1_25lookback_scan_determinismE0ELb0ELb0ES3_N6thrust23THRUST_200600_302600_NS6detail15normal_iteratorINS9_10device_ptrIxEEEENS9_16discard_iteratorINS9_11use_defaultEEExNS9_4plusIvEExEEDaPvRmT3_T4_T5_mT6_P12ihipStream_tbENKUlT_T0_E_clISt17integral_constantIbLb1EESW_IbLb0EEEEDaSS_ST_EUlSS_E0_NS1_11comp_targetILNS1_3genE10ELNS1_11target_archE1201ELNS1_3gpuE5ELNS1_3repE0EEENS1_30default_config_static_selectorELNS0_4arch9wavefront6targetE1EEEvT1_
		.amdhsa_group_segment_fixed_size 0
		.amdhsa_private_segment_fixed_size 0
		.amdhsa_kernarg_size 48
		.amdhsa_user_sgpr_count 6
		.amdhsa_user_sgpr_private_segment_buffer 1
		.amdhsa_user_sgpr_dispatch_ptr 0
		.amdhsa_user_sgpr_queue_ptr 0
		.amdhsa_user_sgpr_kernarg_segment_ptr 1
		.amdhsa_user_sgpr_dispatch_id 0
		.amdhsa_user_sgpr_flat_scratch_init 0
		.amdhsa_user_sgpr_kernarg_preload_length 0
		.amdhsa_user_sgpr_kernarg_preload_offset 0
		.amdhsa_user_sgpr_private_segment_size 0
		.amdhsa_uses_dynamic_stack 0
		.amdhsa_system_sgpr_private_segment_wavefront_offset 0
		.amdhsa_system_sgpr_workgroup_id_x 1
		.amdhsa_system_sgpr_workgroup_id_y 0
		.amdhsa_system_sgpr_workgroup_id_z 0
		.amdhsa_system_sgpr_workgroup_info 0
		.amdhsa_system_vgpr_workitem_id 0
		.amdhsa_next_free_vgpr 1
		.amdhsa_next_free_sgpr 0
		.amdhsa_accum_offset 4
		.amdhsa_reserve_vcc 0
		.amdhsa_reserve_flat_scratch 0
		.amdhsa_float_round_mode_32 0
		.amdhsa_float_round_mode_16_64 0
		.amdhsa_float_denorm_mode_32 3
		.amdhsa_float_denorm_mode_16_64 3
		.amdhsa_dx10_clamp 1
		.amdhsa_ieee_mode 1
		.amdhsa_fp16_overflow 0
		.amdhsa_tg_split 0
		.amdhsa_exception_fp_ieee_invalid_op 0
		.amdhsa_exception_fp_denorm_src 0
		.amdhsa_exception_fp_ieee_div_zero 0
		.amdhsa_exception_fp_ieee_overflow 0
		.amdhsa_exception_fp_ieee_underflow 0
		.amdhsa_exception_fp_ieee_inexact 0
		.amdhsa_exception_int_div_zero 0
	.end_amdhsa_kernel
	.section	.text._ZN7rocprim17ROCPRIM_400000_NS6detail17trampoline_kernelINS0_14default_configENS1_20scan_config_selectorIxEEZZNS1_9scan_implILNS1_25lookback_scan_determinismE0ELb0ELb0ES3_N6thrust23THRUST_200600_302600_NS6detail15normal_iteratorINS9_10device_ptrIxEEEENS9_16discard_iteratorINS9_11use_defaultEEExNS9_4plusIvEExEEDaPvRmT3_T4_T5_mT6_P12ihipStream_tbENKUlT_T0_E_clISt17integral_constantIbLb1EESW_IbLb0EEEEDaSS_ST_EUlSS_E0_NS1_11comp_targetILNS1_3genE10ELNS1_11target_archE1201ELNS1_3gpuE5ELNS1_3repE0EEENS1_30default_config_static_selectorELNS0_4arch9wavefront6targetE1EEEvT1_,"axG",@progbits,_ZN7rocprim17ROCPRIM_400000_NS6detail17trampoline_kernelINS0_14default_configENS1_20scan_config_selectorIxEEZZNS1_9scan_implILNS1_25lookback_scan_determinismE0ELb0ELb0ES3_N6thrust23THRUST_200600_302600_NS6detail15normal_iteratorINS9_10device_ptrIxEEEENS9_16discard_iteratorINS9_11use_defaultEEExNS9_4plusIvEExEEDaPvRmT3_T4_T5_mT6_P12ihipStream_tbENKUlT_T0_E_clISt17integral_constantIbLb1EESW_IbLb0EEEEDaSS_ST_EUlSS_E0_NS1_11comp_targetILNS1_3genE10ELNS1_11target_archE1201ELNS1_3gpuE5ELNS1_3repE0EEENS1_30default_config_static_selectorELNS0_4arch9wavefront6targetE1EEEvT1_,comdat
.Lfunc_end5632:
	.size	_ZN7rocprim17ROCPRIM_400000_NS6detail17trampoline_kernelINS0_14default_configENS1_20scan_config_selectorIxEEZZNS1_9scan_implILNS1_25lookback_scan_determinismE0ELb0ELb0ES3_N6thrust23THRUST_200600_302600_NS6detail15normal_iteratorINS9_10device_ptrIxEEEENS9_16discard_iteratorINS9_11use_defaultEEExNS9_4plusIvEExEEDaPvRmT3_T4_T5_mT6_P12ihipStream_tbENKUlT_T0_E_clISt17integral_constantIbLb1EESW_IbLb0EEEEDaSS_ST_EUlSS_E0_NS1_11comp_targetILNS1_3genE10ELNS1_11target_archE1201ELNS1_3gpuE5ELNS1_3repE0EEENS1_30default_config_static_selectorELNS0_4arch9wavefront6targetE1EEEvT1_, .Lfunc_end5632-_ZN7rocprim17ROCPRIM_400000_NS6detail17trampoline_kernelINS0_14default_configENS1_20scan_config_selectorIxEEZZNS1_9scan_implILNS1_25lookback_scan_determinismE0ELb0ELb0ES3_N6thrust23THRUST_200600_302600_NS6detail15normal_iteratorINS9_10device_ptrIxEEEENS9_16discard_iteratorINS9_11use_defaultEEExNS9_4plusIvEExEEDaPvRmT3_T4_T5_mT6_P12ihipStream_tbENKUlT_T0_E_clISt17integral_constantIbLb1EESW_IbLb0EEEEDaSS_ST_EUlSS_E0_NS1_11comp_targetILNS1_3genE10ELNS1_11target_archE1201ELNS1_3gpuE5ELNS1_3repE0EEENS1_30default_config_static_selectorELNS0_4arch9wavefront6targetE1EEEvT1_
                                        ; -- End function
	.section	.AMDGPU.csdata,"",@progbits
; Kernel info:
; codeLenInByte = 0
; NumSgprs: 4
; NumVgprs: 0
; NumAgprs: 0
; TotalNumVgprs: 0
; ScratchSize: 0
; MemoryBound: 0
; FloatMode: 240
; IeeeMode: 1
; LDSByteSize: 0 bytes/workgroup (compile time only)
; SGPRBlocks: 0
; VGPRBlocks: 0
; NumSGPRsForWavesPerEU: 4
; NumVGPRsForWavesPerEU: 1
; AccumOffset: 4
; Occupancy: 8
; WaveLimiterHint : 0
; COMPUTE_PGM_RSRC2:SCRATCH_EN: 0
; COMPUTE_PGM_RSRC2:USER_SGPR: 6
; COMPUTE_PGM_RSRC2:TRAP_HANDLER: 0
; COMPUTE_PGM_RSRC2:TGID_X_EN: 1
; COMPUTE_PGM_RSRC2:TGID_Y_EN: 0
; COMPUTE_PGM_RSRC2:TGID_Z_EN: 0
; COMPUTE_PGM_RSRC2:TIDIG_COMP_CNT: 0
; COMPUTE_PGM_RSRC3_GFX90A:ACCUM_OFFSET: 0
; COMPUTE_PGM_RSRC3_GFX90A:TG_SPLIT: 0
	.section	.text._ZN7rocprim17ROCPRIM_400000_NS6detail17trampoline_kernelINS0_14default_configENS1_20scan_config_selectorIxEEZZNS1_9scan_implILNS1_25lookback_scan_determinismE0ELb0ELb0ES3_N6thrust23THRUST_200600_302600_NS6detail15normal_iteratorINS9_10device_ptrIxEEEENS9_16discard_iteratorINS9_11use_defaultEEExNS9_4plusIvEExEEDaPvRmT3_T4_T5_mT6_P12ihipStream_tbENKUlT_T0_E_clISt17integral_constantIbLb1EESW_IbLb0EEEEDaSS_ST_EUlSS_E0_NS1_11comp_targetILNS1_3genE10ELNS1_11target_archE1200ELNS1_3gpuE4ELNS1_3repE0EEENS1_30default_config_static_selectorELNS0_4arch9wavefront6targetE1EEEvT1_,"axG",@progbits,_ZN7rocprim17ROCPRIM_400000_NS6detail17trampoline_kernelINS0_14default_configENS1_20scan_config_selectorIxEEZZNS1_9scan_implILNS1_25lookback_scan_determinismE0ELb0ELb0ES3_N6thrust23THRUST_200600_302600_NS6detail15normal_iteratorINS9_10device_ptrIxEEEENS9_16discard_iteratorINS9_11use_defaultEEExNS9_4plusIvEExEEDaPvRmT3_T4_T5_mT6_P12ihipStream_tbENKUlT_T0_E_clISt17integral_constantIbLb1EESW_IbLb0EEEEDaSS_ST_EUlSS_E0_NS1_11comp_targetILNS1_3genE10ELNS1_11target_archE1200ELNS1_3gpuE4ELNS1_3repE0EEENS1_30default_config_static_selectorELNS0_4arch9wavefront6targetE1EEEvT1_,comdat
	.protected	_ZN7rocprim17ROCPRIM_400000_NS6detail17trampoline_kernelINS0_14default_configENS1_20scan_config_selectorIxEEZZNS1_9scan_implILNS1_25lookback_scan_determinismE0ELb0ELb0ES3_N6thrust23THRUST_200600_302600_NS6detail15normal_iteratorINS9_10device_ptrIxEEEENS9_16discard_iteratorINS9_11use_defaultEEExNS9_4plusIvEExEEDaPvRmT3_T4_T5_mT6_P12ihipStream_tbENKUlT_T0_E_clISt17integral_constantIbLb1EESW_IbLb0EEEEDaSS_ST_EUlSS_E0_NS1_11comp_targetILNS1_3genE10ELNS1_11target_archE1200ELNS1_3gpuE4ELNS1_3repE0EEENS1_30default_config_static_selectorELNS0_4arch9wavefront6targetE1EEEvT1_ ; -- Begin function _ZN7rocprim17ROCPRIM_400000_NS6detail17trampoline_kernelINS0_14default_configENS1_20scan_config_selectorIxEEZZNS1_9scan_implILNS1_25lookback_scan_determinismE0ELb0ELb0ES3_N6thrust23THRUST_200600_302600_NS6detail15normal_iteratorINS9_10device_ptrIxEEEENS9_16discard_iteratorINS9_11use_defaultEEExNS9_4plusIvEExEEDaPvRmT3_T4_T5_mT6_P12ihipStream_tbENKUlT_T0_E_clISt17integral_constantIbLb1EESW_IbLb0EEEEDaSS_ST_EUlSS_E0_NS1_11comp_targetILNS1_3genE10ELNS1_11target_archE1200ELNS1_3gpuE4ELNS1_3repE0EEENS1_30default_config_static_selectorELNS0_4arch9wavefront6targetE1EEEvT1_
	.globl	_ZN7rocprim17ROCPRIM_400000_NS6detail17trampoline_kernelINS0_14default_configENS1_20scan_config_selectorIxEEZZNS1_9scan_implILNS1_25lookback_scan_determinismE0ELb0ELb0ES3_N6thrust23THRUST_200600_302600_NS6detail15normal_iteratorINS9_10device_ptrIxEEEENS9_16discard_iteratorINS9_11use_defaultEEExNS9_4plusIvEExEEDaPvRmT3_T4_T5_mT6_P12ihipStream_tbENKUlT_T0_E_clISt17integral_constantIbLb1EESW_IbLb0EEEEDaSS_ST_EUlSS_E0_NS1_11comp_targetILNS1_3genE10ELNS1_11target_archE1200ELNS1_3gpuE4ELNS1_3repE0EEENS1_30default_config_static_selectorELNS0_4arch9wavefront6targetE1EEEvT1_
	.p2align	8
	.type	_ZN7rocprim17ROCPRIM_400000_NS6detail17trampoline_kernelINS0_14default_configENS1_20scan_config_selectorIxEEZZNS1_9scan_implILNS1_25lookback_scan_determinismE0ELb0ELb0ES3_N6thrust23THRUST_200600_302600_NS6detail15normal_iteratorINS9_10device_ptrIxEEEENS9_16discard_iteratorINS9_11use_defaultEEExNS9_4plusIvEExEEDaPvRmT3_T4_T5_mT6_P12ihipStream_tbENKUlT_T0_E_clISt17integral_constantIbLb1EESW_IbLb0EEEEDaSS_ST_EUlSS_E0_NS1_11comp_targetILNS1_3genE10ELNS1_11target_archE1200ELNS1_3gpuE4ELNS1_3repE0EEENS1_30default_config_static_selectorELNS0_4arch9wavefront6targetE1EEEvT1_,@function
_ZN7rocprim17ROCPRIM_400000_NS6detail17trampoline_kernelINS0_14default_configENS1_20scan_config_selectorIxEEZZNS1_9scan_implILNS1_25lookback_scan_determinismE0ELb0ELb0ES3_N6thrust23THRUST_200600_302600_NS6detail15normal_iteratorINS9_10device_ptrIxEEEENS9_16discard_iteratorINS9_11use_defaultEEExNS9_4plusIvEExEEDaPvRmT3_T4_T5_mT6_P12ihipStream_tbENKUlT_T0_E_clISt17integral_constantIbLb1EESW_IbLb0EEEEDaSS_ST_EUlSS_E0_NS1_11comp_targetILNS1_3genE10ELNS1_11target_archE1200ELNS1_3gpuE4ELNS1_3repE0EEENS1_30default_config_static_selectorELNS0_4arch9wavefront6targetE1EEEvT1_: ; @_ZN7rocprim17ROCPRIM_400000_NS6detail17trampoline_kernelINS0_14default_configENS1_20scan_config_selectorIxEEZZNS1_9scan_implILNS1_25lookback_scan_determinismE0ELb0ELb0ES3_N6thrust23THRUST_200600_302600_NS6detail15normal_iteratorINS9_10device_ptrIxEEEENS9_16discard_iteratorINS9_11use_defaultEEExNS9_4plusIvEExEEDaPvRmT3_T4_T5_mT6_P12ihipStream_tbENKUlT_T0_E_clISt17integral_constantIbLb1EESW_IbLb0EEEEDaSS_ST_EUlSS_E0_NS1_11comp_targetILNS1_3genE10ELNS1_11target_archE1200ELNS1_3gpuE4ELNS1_3repE0EEENS1_30default_config_static_selectorELNS0_4arch9wavefront6targetE1EEEvT1_
; %bb.0:
	.section	.rodata,"a",@progbits
	.p2align	6, 0x0
	.amdhsa_kernel _ZN7rocprim17ROCPRIM_400000_NS6detail17trampoline_kernelINS0_14default_configENS1_20scan_config_selectorIxEEZZNS1_9scan_implILNS1_25lookback_scan_determinismE0ELb0ELb0ES3_N6thrust23THRUST_200600_302600_NS6detail15normal_iteratorINS9_10device_ptrIxEEEENS9_16discard_iteratorINS9_11use_defaultEEExNS9_4plusIvEExEEDaPvRmT3_T4_T5_mT6_P12ihipStream_tbENKUlT_T0_E_clISt17integral_constantIbLb1EESW_IbLb0EEEEDaSS_ST_EUlSS_E0_NS1_11comp_targetILNS1_3genE10ELNS1_11target_archE1200ELNS1_3gpuE4ELNS1_3repE0EEENS1_30default_config_static_selectorELNS0_4arch9wavefront6targetE1EEEvT1_
		.amdhsa_group_segment_fixed_size 0
		.amdhsa_private_segment_fixed_size 0
		.amdhsa_kernarg_size 48
		.amdhsa_user_sgpr_count 6
		.amdhsa_user_sgpr_private_segment_buffer 1
		.amdhsa_user_sgpr_dispatch_ptr 0
		.amdhsa_user_sgpr_queue_ptr 0
		.amdhsa_user_sgpr_kernarg_segment_ptr 1
		.amdhsa_user_sgpr_dispatch_id 0
		.amdhsa_user_sgpr_flat_scratch_init 0
		.amdhsa_user_sgpr_kernarg_preload_length 0
		.amdhsa_user_sgpr_kernarg_preload_offset 0
		.amdhsa_user_sgpr_private_segment_size 0
		.amdhsa_uses_dynamic_stack 0
		.amdhsa_system_sgpr_private_segment_wavefront_offset 0
		.amdhsa_system_sgpr_workgroup_id_x 1
		.amdhsa_system_sgpr_workgroup_id_y 0
		.amdhsa_system_sgpr_workgroup_id_z 0
		.amdhsa_system_sgpr_workgroup_info 0
		.amdhsa_system_vgpr_workitem_id 0
		.amdhsa_next_free_vgpr 1
		.amdhsa_next_free_sgpr 0
		.amdhsa_accum_offset 4
		.amdhsa_reserve_vcc 0
		.amdhsa_reserve_flat_scratch 0
		.amdhsa_float_round_mode_32 0
		.amdhsa_float_round_mode_16_64 0
		.amdhsa_float_denorm_mode_32 3
		.amdhsa_float_denorm_mode_16_64 3
		.amdhsa_dx10_clamp 1
		.amdhsa_ieee_mode 1
		.amdhsa_fp16_overflow 0
		.amdhsa_tg_split 0
		.amdhsa_exception_fp_ieee_invalid_op 0
		.amdhsa_exception_fp_denorm_src 0
		.amdhsa_exception_fp_ieee_div_zero 0
		.amdhsa_exception_fp_ieee_overflow 0
		.amdhsa_exception_fp_ieee_underflow 0
		.amdhsa_exception_fp_ieee_inexact 0
		.amdhsa_exception_int_div_zero 0
	.end_amdhsa_kernel
	.section	.text._ZN7rocprim17ROCPRIM_400000_NS6detail17trampoline_kernelINS0_14default_configENS1_20scan_config_selectorIxEEZZNS1_9scan_implILNS1_25lookback_scan_determinismE0ELb0ELb0ES3_N6thrust23THRUST_200600_302600_NS6detail15normal_iteratorINS9_10device_ptrIxEEEENS9_16discard_iteratorINS9_11use_defaultEEExNS9_4plusIvEExEEDaPvRmT3_T4_T5_mT6_P12ihipStream_tbENKUlT_T0_E_clISt17integral_constantIbLb1EESW_IbLb0EEEEDaSS_ST_EUlSS_E0_NS1_11comp_targetILNS1_3genE10ELNS1_11target_archE1200ELNS1_3gpuE4ELNS1_3repE0EEENS1_30default_config_static_selectorELNS0_4arch9wavefront6targetE1EEEvT1_,"axG",@progbits,_ZN7rocprim17ROCPRIM_400000_NS6detail17trampoline_kernelINS0_14default_configENS1_20scan_config_selectorIxEEZZNS1_9scan_implILNS1_25lookback_scan_determinismE0ELb0ELb0ES3_N6thrust23THRUST_200600_302600_NS6detail15normal_iteratorINS9_10device_ptrIxEEEENS9_16discard_iteratorINS9_11use_defaultEEExNS9_4plusIvEExEEDaPvRmT3_T4_T5_mT6_P12ihipStream_tbENKUlT_T0_E_clISt17integral_constantIbLb1EESW_IbLb0EEEEDaSS_ST_EUlSS_E0_NS1_11comp_targetILNS1_3genE10ELNS1_11target_archE1200ELNS1_3gpuE4ELNS1_3repE0EEENS1_30default_config_static_selectorELNS0_4arch9wavefront6targetE1EEEvT1_,comdat
.Lfunc_end5633:
	.size	_ZN7rocprim17ROCPRIM_400000_NS6detail17trampoline_kernelINS0_14default_configENS1_20scan_config_selectorIxEEZZNS1_9scan_implILNS1_25lookback_scan_determinismE0ELb0ELb0ES3_N6thrust23THRUST_200600_302600_NS6detail15normal_iteratorINS9_10device_ptrIxEEEENS9_16discard_iteratorINS9_11use_defaultEEExNS9_4plusIvEExEEDaPvRmT3_T4_T5_mT6_P12ihipStream_tbENKUlT_T0_E_clISt17integral_constantIbLb1EESW_IbLb0EEEEDaSS_ST_EUlSS_E0_NS1_11comp_targetILNS1_3genE10ELNS1_11target_archE1200ELNS1_3gpuE4ELNS1_3repE0EEENS1_30default_config_static_selectorELNS0_4arch9wavefront6targetE1EEEvT1_, .Lfunc_end5633-_ZN7rocprim17ROCPRIM_400000_NS6detail17trampoline_kernelINS0_14default_configENS1_20scan_config_selectorIxEEZZNS1_9scan_implILNS1_25lookback_scan_determinismE0ELb0ELb0ES3_N6thrust23THRUST_200600_302600_NS6detail15normal_iteratorINS9_10device_ptrIxEEEENS9_16discard_iteratorINS9_11use_defaultEEExNS9_4plusIvEExEEDaPvRmT3_T4_T5_mT6_P12ihipStream_tbENKUlT_T0_E_clISt17integral_constantIbLb1EESW_IbLb0EEEEDaSS_ST_EUlSS_E0_NS1_11comp_targetILNS1_3genE10ELNS1_11target_archE1200ELNS1_3gpuE4ELNS1_3repE0EEENS1_30default_config_static_selectorELNS0_4arch9wavefront6targetE1EEEvT1_
                                        ; -- End function
	.section	.AMDGPU.csdata,"",@progbits
; Kernel info:
; codeLenInByte = 0
; NumSgprs: 4
; NumVgprs: 0
; NumAgprs: 0
; TotalNumVgprs: 0
; ScratchSize: 0
; MemoryBound: 0
; FloatMode: 240
; IeeeMode: 1
; LDSByteSize: 0 bytes/workgroup (compile time only)
; SGPRBlocks: 0
; VGPRBlocks: 0
; NumSGPRsForWavesPerEU: 4
; NumVGPRsForWavesPerEU: 1
; AccumOffset: 4
; Occupancy: 8
; WaveLimiterHint : 0
; COMPUTE_PGM_RSRC2:SCRATCH_EN: 0
; COMPUTE_PGM_RSRC2:USER_SGPR: 6
; COMPUTE_PGM_RSRC2:TRAP_HANDLER: 0
; COMPUTE_PGM_RSRC2:TGID_X_EN: 1
; COMPUTE_PGM_RSRC2:TGID_Y_EN: 0
; COMPUTE_PGM_RSRC2:TGID_Z_EN: 0
; COMPUTE_PGM_RSRC2:TIDIG_COMP_CNT: 0
; COMPUTE_PGM_RSRC3_GFX90A:ACCUM_OFFSET: 0
; COMPUTE_PGM_RSRC3_GFX90A:TG_SPLIT: 0
	.section	.text._ZN7rocprim17ROCPRIM_400000_NS6detail17trampoline_kernelINS0_14default_configENS1_20scan_config_selectorIxEEZZNS1_9scan_implILNS1_25lookback_scan_determinismE0ELb0ELb0ES3_N6thrust23THRUST_200600_302600_NS6detail15normal_iteratorINS9_10device_ptrIxEEEENS9_16discard_iteratorINS9_11use_defaultEEExNS9_4plusIvEExEEDaPvRmT3_T4_T5_mT6_P12ihipStream_tbENKUlT_T0_E_clISt17integral_constantIbLb1EESW_IbLb0EEEEDaSS_ST_EUlSS_E0_NS1_11comp_targetILNS1_3genE9ELNS1_11target_archE1100ELNS1_3gpuE3ELNS1_3repE0EEENS1_30default_config_static_selectorELNS0_4arch9wavefront6targetE1EEEvT1_,"axG",@progbits,_ZN7rocprim17ROCPRIM_400000_NS6detail17trampoline_kernelINS0_14default_configENS1_20scan_config_selectorIxEEZZNS1_9scan_implILNS1_25lookback_scan_determinismE0ELb0ELb0ES3_N6thrust23THRUST_200600_302600_NS6detail15normal_iteratorINS9_10device_ptrIxEEEENS9_16discard_iteratorINS9_11use_defaultEEExNS9_4plusIvEExEEDaPvRmT3_T4_T5_mT6_P12ihipStream_tbENKUlT_T0_E_clISt17integral_constantIbLb1EESW_IbLb0EEEEDaSS_ST_EUlSS_E0_NS1_11comp_targetILNS1_3genE9ELNS1_11target_archE1100ELNS1_3gpuE3ELNS1_3repE0EEENS1_30default_config_static_selectorELNS0_4arch9wavefront6targetE1EEEvT1_,comdat
	.protected	_ZN7rocprim17ROCPRIM_400000_NS6detail17trampoline_kernelINS0_14default_configENS1_20scan_config_selectorIxEEZZNS1_9scan_implILNS1_25lookback_scan_determinismE0ELb0ELb0ES3_N6thrust23THRUST_200600_302600_NS6detail15normal_iteratorINS9_10device_ptrIxEEEENS9_16discard_iteratorINS9_11use_defaultEEExNS9_4plusIvEExEEDaPvRmT3_T4_T5_mT6_P12ihipStream_tbENKUlT_T0_E_clISt17integral_constantIbLb1EESW_IbLb0EEEEDaSS_ST_EUlSS_E0_NS1_11comp_targetILNS1_3genE9ELNS1_11target_archE1100ELNS1_3gpuE3ELNS1_3repE0EEENS1_30default_config_static_selectorELNS0_4arch9wavefront6targetE1EEEvT1_ ; -- Begin function _ZN7rocprim17ROCPRIM_400000_NS6detail17trampoline_kernelINS0_14default_configENS1_20scan_config_selectorIxEEZZNS1_9scan_implILNS1_25lookback_scan_determinismE0ELb0ELb0ES3_N6thrust23THRUST_200600_302600_NS6detail15normal_iteratorINS9_10device_ptrIxEEEENS9_16discard_iteratorINS9_11use_defaultEEExNS9_4plusIvEExEEDaPvRmT3_T4_T5_mT6_P12ihipStream_tbENKUlT_T0_E_clISt17integral_constantIbLb1EESW_IbLb0EEEEDaSS_ST_EUlSS_E0_NS1_11comp_targetILNS1_3genE9ELNS1_11target_archE1100ELNS1_3gpuE3ELNS1_3repE0EEENS1_30default_config_static_selectorELNS0_4arch9wavefront6targetE1EEEvT1_
	.globl	_ZN7rocprim17ROCPRIM_400000_NS6detail17trampoline_kernelINS0_14default_configENS1_20scan_config_selectorIxEEZZNS1_9scan_implILNS1_25lookback_scan_determinismE0ELb0ELb0ES3_N6thrust23THRUST_200600_302600_NS6detail15normal_iteratorINS9_10device_ptrIxEEEENS9_16discard_iteratorINS9_11use_defaultEEExNS9_4plusIvEExEEDaPvRmT3_T4_T5_mT6_P12ihipStream_tbENKUlT_T0_E_clISt17integral_constantIbLb1EESW_IbLb0EEEEDaSS_ST_EUlSS_E0_NS1_11comp_targetILNS1_3genE9ELNS1_11target_archE1100ELNS1_3gpuE3ELNS1_3repE0EEENS1_30default_config_static_selectorELNS0_4arch9wavefront6targetE1EEEvT1_
	.p2align	8
	.type	_ZN7rocprim17ROCPRIM_400000_NS6detail17trampoline_kernelINS0_14default_configENS1_20scan_config_selectorIxEEZZNS1_9scan_implILNS1_25lookback_scan_determinismE0ELb0ELb0ES3_N6thrust23THRUST_200600_302600_NS6detail15normal_iteratorINS9_10device_ptrIxEEEENS9_16discard_iteratorINS9_11use_defaultEEExNS9_4plusIvEExEEDaPvRmT3_T4_T5_mT6_P12ihipStream_tbENKUlT_T0_E_clISt17integral_constantIbLb1EESW_IbLb0EEEEDaSS_ST_EUlSS_E0_NS1_11comp_targetILNS1_3genE9ELNS1_11target_archE1100ELNS1_3gpuE3ELNS1_3repE0EEENS1_30default_config_static_selectorELNS0_4arch9wavefront6targetE1EEEvT1_,@function
_ZN7rocprim17ROCPRIM_400000_NS6detail17trampoline_kernelINS0_14default_configENS1_20scan_config_selectorIxEEZZNS1_9scan_implILNS1_25lookback_scan_determinismE0ELb0ELb0ES3_N6thrust23THRUST_200600_302600_NS6detail15normal_iteratorINS9_10device_ptrIxEEEENS9_16discard_iteratorINS9_11use_defaultEEExNS9_4plusIvEExEEDaPvRmT3_T4_T5_mT6_P12ihipStream_tbENKUlT_T0_E_clISt17integral_constantIbLb1EESW_IbLb0EEEEDaSS_ST_EUlSS_E0_NS1_11comp_targetILNS1_3genE9ELNS1_11target_archE1100ELNS1_3gpuE3ELNS1_3repE0EEENS1_30default_config_static_selectorELNS0_4arch9wavefront6targetE1EEEvT1_: ; @_ZN7rocprim17ROCPRIM_400000_NS6detail17trampoline_kernelINS0_14default_configENS1_20scan_config_selectorIxEEZZNS1_9scan_implILNS1_25lookback_scan_determinismE0ELb0ELb0ES3_N6thrust23THRUST_200600_302600_NS6detail15normal_iteratorINS9_10device_ptrIxEEEENS9_16discard_iteratorINS9_11use_defaultEEExNS9_4plusIvEExEEDaPvRmT3_T4_T5_mT6_P12ihipStream_tbENKUlT_T0_E_clISt17integral_constantIbLb1EESW_IbLb0EEEEDaSS_ST_EUlSS_E0_NS1_11comp_targetILNS1_3genE9ELNS1_11target_archE1100ELNS1_3gpuE3ELNS1_3repE0EEENS1_30default_config_static_selectorELNS0_4arch9wavefront6targetE1EEEvT1_
; %bb.0:
	.section	.rodata,"a",@progbits
	.p2align	6, 0x0
	.amdhsa_kernel _ZN7rocprim17ROCPRIM_400000_NS6detail17trampoline_kernelINS0_14default_configENS1_20scan_config_selectorIxEEZZNS1_9scan_implILNS1_25lookback_scan_determinismE0ELb0ELb0ES3_N6thrust23THRUST_200600_302600_NS6detail15normal_iteratorINS9_10device_ptrIxEEEENS9_16discard_iteratorINS9_11use_defaultEEExNS9_4plusIvEExEEDaPvRmT3_T4_T5_mT6_P12ihipStream_tbENKUlT_T0_E_clISt17integral_constantIbLb1EESW_IbLb0EEEEDaSS_ST_EUlSS_E0_NS1_11comp_targetILNS1_3genE9ELNS1_11target_archE1100ELNS1_3gpuE3ELNS1_3repE0EEENS1_30default_config_static_selectorELNS0_4arch9wavefront6targetE1EEEvT1_
		.amdhsa_group_segment_fixed_size 0
		.amdhsa_private_segment_fixed_size 0
		.amdhsa_kernarg_size 48
		.amdhsa_user_sgpr_count 6
		.amdhsa_user_sgpr_private_segment_buffer 1
		.amdhsa_user_sgpr_dispatch_ptr 0
		.amdhsa_user_sgpr_queue_ptr 0
		.amdhsa_user_sgpr_kernarg_segment_ptr 1
		.amdhsa_user_sgpr_dispatch_id 0
		.amdhsa_user_sgpr_flat_scratch_init 0
		.amdhsa_user_sgpr_kernarg_preload_length 0
		.amdhsa_user_sgpr_kernarg_preload_offset 0
		.amdhsa_user_sgpr_private_segment_size 0
		.amdhsa_uses_dynamic_stack 0
		.amdhsa_system_sgpr_private_segment_wavefront_offset 0
		.amdhsa_system_sgpr_workgroup_id_x 1
		.amdhsa_system_sgpr_workgroup_id_y 0
		.amdhsa_system_sgpr_workgroup_id_z 0
		.amdhsa_system_sgpr_workgroup_info 0
		.amdhsa_system_vgpr_workitem_id 0
		.amdhsa_next_free_vgpr 1
		.amdhsa_next_free_sgpr 0
		.amdhsa_accum_offset 4
		.amdhsa_reserve_vcc 0
		.amdhsa_reserve_flat_scratch 0
		.amdhsa_float_round_mode_32 0
		.amdhsa_float_round_mode_16_64 0
		.amdhsa_float_denorm_mode_32 3
		.amdhsa_float_denorm_mode_16_64 3
		.amdhsa_dx10_clamp 1
		.amdhsa_ieee_mode 1
		.amdhsa_fp16_overflow 0
		.amdhsa_tg_split 0
		.amdhsa_exception_fp_ieee_invalid_op 0
		.amdhsa_exception_fp_denorm_src 0
		.amdhsa_exception_fp_ieee_div_zero 0
		.amdhsa_exception_fp_ieee_overflow 0
		.amdhsa_exception_fp_ieee_underflow 0
		.amdhsa_exception_fp_ieee_inexact 0
		.amdhsa_exception_int_div_zero 0
	.end_amdhsa_kernel
	.section	.text._ZN7rocprim17ROCPRIM_400000_NS6detail17trampoline_kernelINS0_14default_configENS1_20scan_config_selectorIxEEZZNS1_9scan_implILNS1_25lookback_scan_determinismE0ELb0ELb0ES3_N6thrust23THRUST_200600_302600_NS6detail15normal_iteratorINS9_10device_ptrIxEEEENS9_16discard_iteratorINS9_11use_defaultEEExNS9_4plusIvEExEEDaPvRmT3_T4_T5_mT6_P12ihipStream_tbENKUlT_T0_E_clISt17integral_constantIbLb1EESW_IbLb0EEEEDaSS_ST_EUlSS_E0_NS1_11comp_targetILNS1_3genE9ELNS1_11target_archE1100ELNS1_3gpuE3ELNS1_3repE0EEENS1_30default_config_static_selectorELNS0_4arch9wavefront6targetE1EEEvT1_,"axG",@progbits,_ZN7rocprim17ROCPRIM_400000_NS6detail17trampoline_kernelINS0_14default_configENS1_20scan_config_selectorIxEEZZNS1_9scan_implILNS1_25lookback_scan_determinismE0ELb0ELb0ES3_N6thrust23THRUST_200600_302600_NS6detail15normal_iteratorINS9_10device_ptrIxEEEENS9_16discard_iteratorINS9_11use_defaultEEExNS9_4plusIvEExEEDaPvRmT3_T4_T5_mT6_P12ihipStream_tbENKUlT_T0_E_clISt17integral_constantIbLb1EESW_IbLb0EEEEDaSS_ST_EUlSS_E0_NS1_11comp_targetILNS1_3genE9ELNS1_11target_archE1100ELNS1_3gpuE3ELNS1_3repE0EEENS1_30default_config_static_selectorELNS0_4arch9wavefront6targetE1EEEvT1_,comdat
.Lfunc_end5634:
	.size	_ZN7rocprim17ROCPRIM_400000_NS6detail17trampoline_kernelINS0_14default_configENS1_20scan_config_selectorIxEEZZNS1_9scan_implILNS1_25lookback_scan_determinismE0ELb0ELb0ES3_N6thrust23THRUST_200600_302600_NS6detail15normal_iteratorINS9_10device_ptrIxEEEENS9_16discard_iteratorINS9_11use_defaultEEExNS9_4plusIvEExEEDaPvRmT3_T4_T5_mT6_P12ihipStream_tbENKUlT_T0_E_clISt17integral_constantIbLb1EESW_IbLb0EEEEDaSS_ST_EUlSS_E0_NS1_11comp_targetILNS1_3genE9ELNS1_11target_archE1100ELNS1_3gpuE3ELNS1_3repE0EEENS1_30default_config_static_selectorELNS0_4arch9wavefront6targetE1EEEvT1_, .Lfunc_end5634-_ZN7rocprim17ROCPRIM_400000_NS6detail17trampoline_kernelINS0_14default_configENS1_20scan_config_selectorIxEEZZNS1_9scan_implILNS1_25lookback_scan_determinismE0ELb0ELb0ES3_N6thrust23THRUST_200600_302600_NS6detail15normal_iteratorINS9_10device_ptrIxEEEENS9_16discard_iteratorINS9_11use_defaultEEExNS9_4plusIvEExEEDaPvRmT3_T4_T5_mT6_P12ihipStream_tbENKUlT_T0_E_clISt17integral_constantIbLb1EESW_IbLb0EEEEDaSS_ST_EUlSS_E0_NS1_11comp_targetILNS1_3genE9ELNS1_11target_archE1100ELNS1_3gpuE3ELNS1_3repE0EEENS1_30default_config_static_selectorELNS0_4arch9wavefront6targetE1EEEvT1_
                                        ; -- End function
	.section	.AMDGPU.csdata,"",@progbits
; Kernel info:
; codeLenInByte = 0
; NumSgprs: 4
; NumVgprs: 0
; NumAgprs: 0
; TotalNumVgprs: 0
; ScratchSize: 0
; MemoryBound: 0
; FloatMode: 240
; IeeeMode: 1
; LDSByteSize: 0 bytes/workgroup (compile time only)
; SGPRBlocks: 0
; VGPRBlocks: 0
; NumSGPRsForWavesPerEU: 4
; NumVGPRsForWavesPerEU: 1
; AccumOffset: 4
; Occupancy: 8
; WaveLimiterHint : 0
; COMPUTE_PGM_RSRC2:SCRATCH_EN: 0
; COMPUTE_PGM_RSRC2:USER_SGPR: 6
; COMPUTE_PGM_RSRC2:TRAP_HANDLER: 0
; COMPUTE_PGM_RSRC2:TGID_X_EN: 1
; COMPUTE_PGM_RSRC2:TGID_Y_EN: 0
; COMPUTE_PGM_RSRC2:TGID_Z_EN: 0
; COMPUTE_PGM_RSRC2:TIDIG_COMP_CNT: 0
; COMPUTE_PGM_RSRC3_GFX90A:ACCUM_OFFSET: 0
; COMPUTE_PGM_RSRC3_GFX90A:TG_SPLIT: 0
	.section	.text._ZN7rocprim17ROCPRIM_400000_NS6detail17trampoline_kernelINS0_14default_configENS1_20scan_config_selectorIxEEZZNS1_9scan_implILNS1_25lookback_scan_determinismE0ELb0ELb0ES3_N6thrust23THRUST_200600_302600_NS6detail15normal_iteratorINS9_10device_ptrIxEEEENS9_16discard_iteratorINS9_11use_defaultEEExNS9_4plusIvEExEEDaPvRmT3_T4_T5_mT6_P12ihipStream_tbENKUlT_T0_E_clISt17integral_constantIbLb1EESW_IbLb0EEEEDaSS_ST_EUlSS_E0_NS1_11comp_targetILNS1_3genE8ELNS1_11target_archE1030ELNS1_3gpuE2ELNS1_3repE0EEENS1_30default_config_static_selectorELNS0_4arch9wavefront6targetE1EEEvT1_,"axG",@progbits,_ZN7rocprim17ROCPRIM_400000_NS6detail17trampoline_kernelINS0_14default_configENS1_20scan_config_selectorIxEEZZNS1_9scan_implILNS1_25lookback_scan_determinismE0ELb0ELb0ES3_N6thrust23THRUST_200600_302600_NS6detail15normal_iteratorINS9_10device_ptrIxEEEENS9_16discard_iteratorINS9_11use_defaultEEExNS9_4plusIvEExEEDaPvRmT3_T4_T5_mT6_P12ihipStream_tbENKUlT_T0_E_clISt17integral_constantIbLb1EESW_IbLb0EEEEDaSS_ST_EUlSS_E0_NS1_11comp_targetILNS1_3genE8ELNS1_11target_archE1030ELNS1_3gpuE2ELNS1_3repE0EEENS1_30default_config_static_selectorELNS0_4arch9wavefront6targetE1EEEvT1_,comdat
	.protected	_ZN7rocprim17ROCPRIM_400000_NS6detail17trampoline_kernelINS0_14default_configENS1_20scan_config_selectorIxEEZZNS1_9scan_implILNS1_25lookback_scan_determinismE0ELb0ELb0ES3_N6thrust23THRUST_200600_302600_NS6detail15normal_iteratorINS9_10device_ptrIxEEEENS9_16discard_iteratorINS9_11use_defaultEEExNS9_4plusIvEExEEDaPvRmT3_T4_T5_mT6_P12ihipStream_tbENKUlT_T0_E_clISt17integral_constantIbLb1EESW_IbLb0EEEEDaSS_ST_EUlSS_E0_NS1_11comp_targetILNS1_3genE8ELNS1_11target_archE1030ELNS1_3gpuE2ELNS1_3repE0EEENS1_30default_config_static_selectorELNS0_4arch9wavefront6targetE1EEEvT1_ ; -- Begin function _ZN7rocprim17ROCPRIM_400000_NS6detail17trampoline_kernelINS0_14default_configENS1_20scan_config_selectorIxEEZZNS1_9scan_implILNS1_25lookback_scan_determinismE0ELb0ELb0ES3_N6thrust23THRUST_200600_302600_NS6detail15normal_iteratorINS9_10device_ptrIxEEEENS9_16discard_iteratorINS9_11use_defaultEEExNS9_4plusIvEExEEDaPvRmT3_T4_T5_mT6_P12ihipStream_tbENKUlT_T0_E_clISt17integral_constantIbLb1EESW_IbLb0EEEEDaSS_ST_EUlSS_E0_NS1_11comp_targetILNS1_3genE8ELNS1_11target_archE1030ELNS1_3gpuE2ELNS1_3repE0EEENS1_30default_config_static_selectorELNS0_4arch9wavefront6targetE1EEEvT1_
	.globl	_ZN7rocprim17ROCPRIM_400000_NS6detail17trampoline_kernelINS0_14default_configENS1_20scan_config_selectorIxEEZZNS1_9scan_implILNS1_25lookback_scan_determinismE0ELb0ELb0ES3_N6thrust23THRUST_200600_302600_NS6detail15normal_iteratorINS9_10device_ptrIxEEEENS9_16discard_iteratorINS9_11use_defaultEEExNS9_4plusIvEExEEDaPvRmT3_T4_T5_mT6_P12ihipStream_tbENKUlT_T0_E_clISt17integral_constantIbLb1EESW_IbLb0EEEEDaSS_ST_EUlSS_E0_NS1_11comp_targetILNS1_3genE8ELNS1_11target_archE1030ELNS1_3gpuE2ELNS1_3repE0EEENS1_30default_config_static_selectorELNS0_4arch9wavefront6targetE1EEEvT1_
	.p2align	8
	.type	_ZN7rocprim17ROCPRIM_400000_NS6detail17trampoline_kernelINS0_14default_configENS1_20scan_config_selectorIxEEZZNS1_9scan_implILNS1_25lookback_scan_determinismE0ELb0ELb0ES3_N6thrust23THRUST_200600_302600_NS6detail15normal_iteratorINS9_10device_ptrIxEEEENS9_16discard_iteratorINS9_11use_defaultEEExNS9_4plusIvEExEEDaPvRmT3_T4_T5_mT6_P12ihipStream_tbENKUlT_T0_E_clISt17integral_constantIbLb1EESW_IbLb0EEEEDaSS_ST_EUlSS_E0_NS1_11comp_targetILNS1_3genE8ELNS1_11target_archE1030ELNS1_3gpuE2ELNS1_3repE0EEENS1_30default_config_static_selectorELNS0_4arch9wavefront6targetE1EEEvT1_,@function
_ZN7rocprim17ROCPRIM_400000_NS6detail17trampoline_kernelINS0_14default_configENS1_20scan_config_selectorIxEEZZNS1_9scan_implILNS1_25lookback_scan_determinismE0ELb0ELb0ES3_N6thrust23THRUST_200600_302600_NS6detail15normal_iteratorINS9_10device_ptrIxEEEENS9_16discard_iteratorINS9_11use_defaultEEExNS9_4plusIvEExEEDaPvRmT3_T4_T5_mT6_P12ihipStream_tbENKUlT_T0_E_clISt17integral_constantIbLb1EESW_IbLb0EEEEDaSS_ST_EUlSS_E0_NS1_11comp_targetILNS1_3genE8ELNS1_11target_archE1030ELNS1_3gpuE2ELNS1_3repE0EEENS1_30default_config_static_selectorELNS0_4arch9wavefront6targetE1EEEvT1_: ; @_ZN7rocprim17ROCPRIM_400000_NS6detail17trampoline_kernelINS0_14default_configENS1_20scan_config_selectorIxEEZZNS1_9scan_implILNS1_25lookback_scan_determinismE0ELb0ELb0ES3_N6thrust23THRUST_200600_302600_NS6detail15normal_iteratorINS9_10device_ptrIxEEEENS9_16discard_iteratorINS9_11use_defaultEEExNS9_4plusIvEExEEDaPvRmT3_T4_T5_mT6_P12ihipStream_tbENKUlT_T0_E_clISt17integral_constantIbLb1EESW_IbLb0EEEEDaSS_ST_EUlSS_E0_NS1_11comp_targetILNS1_3genE8ELNS1_11target_archE1030ELNS1_3gpuE2ELNS1_3repE0EEENS1_30default_config_static_selectorELNS0_4arch9wavefront6targetE1EEEvT1_
; %bb.0:
	.section	.rodata,"a",@progbits
	.p2align	6, 0x0
	.amdhsa_kernel _ZN7rocprim17ROCPRIM_400000_NS6detail17trampoline_kernelINS0_14default_configENS1_20scan_config_selectorIxEEZZNS1_9scan_implILNS1_25lookback_scan_determinismE0ELb0ELb0ES3_N6thrust23THRUST_200600_302600_NS6detail15normal_iteratorINS9_10device_ptrIxEEEENS9_16discard_iteratorINS9_11use_defaultEEExNS9_4plusIvEExEEDaPvRmT3_T4_T5_mT6_P12ihipStream_tbENKUlT_T0_E_clISt17integral_constantIbLb1EESW_IbLb0EEEEDaSS_ST_EUlSS_E0_NS1_11comp_targetILNS1_3genE8ELNS1_11target_archE1030ELNS1_3gpuE2ELNS1_3repE0EEENS1_30default_config_static_selectorELNS0_4arch9wavefront6targetE1EEEvT1_
		.amdhsa_group_segment_fixed_size 0
		.amdhsa_private_segment_fixed_size 0
		.amdhsa_kernarg_size 48
		.amdhsa_user_sgpr_count 6
		.amdhsa_user_sgpr_private_segment_buffer 1
		.amdhsa_user_sgpr_dispatch_ptr 0
		.amdhsa_user_sgpr_queue_ptr 0
		.amdhsa_user_sgpr_kernarg_segment_ptr 1
		.amdhsa_user_sgpr_dispatch_id 0
		.amdhsa_user_sgpr_flat_scratch_init 0
		.amdhsa_user_sgpr_kernarg_preload_length 0
		.amdhsa_user_sgpr_kernarg_preload_offset 0
		.amdhsa_user_sgpr_private_segment_size 0
		.amdhsa_uses_dynamic_stack 0
		.amdhsa_system_sgpr_private_segment_wavefront_offset 0
		.amdhsa_system_sgpr_workgroup_id_x 1
		.amdhsa_system_sgpr_workgroup_id_y 0
		.amdhsa_system_sgpr_workgroup_id_z 0
		.amdhsa_system_sgpr_workgroup_info 0
		.amdhsa_system_vgpr_workitem_id 0
		.amdhsa_next_free_vgpr 1
		.amdhsa_next_free_sgpr 0
		.amdhsa_accum_offset 4
		.amdhsa_reserve_vcc 0
		.amdhsa_reserve_flat_scratch 0
		.amdhsa_float_round_mode_32 0
		.amdhsa_float_round_mode_16_64 0
		.amdhsa_float_denorm_mode_32 3
		.amdhsa_float_denorm_mode_16_64 3
		.amdhsa_dx10_clamp 1
		.amdhsa_ieee_mode 1
		.amdhsa_fp16_overflow 0
		.amdhsa_tg_split 0
		.amdhsa_exception_fp_ieee_invalid_op 0
		.amdhsa_exception_fp_denorm_src 0
		.amdhsa_exception_fp_ieee_div_zero 0
		.amdhsa_exception_fp_ieee_overflow 0
		.amdhsa_exception_fp_ieee_underflow 0
		.amdhsa_exception_fp_ieee_inexact 0
		.amdhsa_exception_int_div_zero 0
	.end_amdhsa_kernel
	.section	.text._ZN7rocprim17ROCPRIM_400000_NS6detail17trampoline_kernelINS0_14default_configENS1_20scan_config_selectorIxEEZZNS1_9scan_implILNS1_25lookback_scan_determinismE0ELb0ELb0ES3_N6thrust23THRUST_200600_302600_NS6detail15normal_iteratorINS9_10device_ptrIxEEEENS9_16discard_iteratorINS9_11use_defaultEEExNS9_4plusIvEExEEDaPvRmT3_T4_T5_mT6_P12ihipStream_tbENKUlT_T0_E_clISt17integral_constantIbLb1EESW_IbLb0EEEEDaSS_ST_EUlSS_E0_NS1_11comp_targetILNS1_3genE8ELNS1_11target_archE1030ELNS1_3gpuE2ELNS1_3repE0EEENS1_30default_config_static_selectorELNS0_4arch9wavefront6targetE1EEEvT1_,"axG",@progbits,_ZN7rocprim17ROCPRIM_400000_NS6detail17trampoline_kernelINS0_14default_configENS1_20scan_config_selectorIxEEZZNS1_9scan_implILNS1_25lookback_scan_determinismE0ELb0ELb0ES3_N6thrust23THRUST_200600_302600_NS6detail15normal_iteratorINS9_10device_ptrIxEEEENS9_16discard_iteratorINS9_11use_defaultEEExNS9_4plusIvEExEEDaPvRmT3_T4_T5_mT6_P12ihipStream_tbENKUlT_T0_E_clISt17integral_constantIbLb1EESW_IbLb0EEEEDaSS_ST_EUlSS_E0_NS1_11comp_targetILNS1_3genE8ELNS1_11target_archE1030ELNS1_3gpuE2ELNS1_3repE0EEENS1_30default_config_static_selectorELNS0_4arch9wavefront6targetE1EEEvT1_,comdat
.Lfunc_end5635:
	.size	_ZN7rocprim17ROCPRIM_400000_NS6detail17trampoline_kernelINS0_14default_configENS1_20scan_config_selectorIxEEZZNS1_9scan_implILNS1_25lookback_scan_determinismE0ELb0ELb0ES3_N6thrust23THRUST_200600_302600_NS6detail15normal_iteratorINS9_10device_ptrIxEEEENS9_16discard_iteratorINS9_11use_defaultEEExNS9_4plusIvEExEEDaPvRmT3_T4_T5_mT6_P12ihipStream_tbENKUlT_T0_E_clISt17integral_constantIbLb1EESW_IbLb0EEEEDaSS_ST_EUlSS_E0_NS1_11comp_targetILNS1_3genE8ELNS1_11target_archE1030ELNS1_3gpuE2ELNS1_3repE0EEENS1_30default_config_static_selectorELNS0_4arch9wavefront6targetE1EEEvT1_, .Lfunc_end5635-_ZN7rocprim17ROCPRIM_400000_NS6detail17trampoline_kernelINS0_14default_configENS1_20scan_config_selectorIxEEZZNS1_9scan_implILNS1_25lookback_scan_determinismE0ELb0ELb0ES3_N6thrust23THRUST_200600_302600_NS6detail15normal_iteratorINS9_10device_ptrIxEEEENS9_16discard_iteratorINS9_11use_defaultEEExNS9_4plusIvEExEEDaPvRmT3_T4_T5_mT6_P12ihipStream_tbENKUlT_T0_E_clISt17integral_constantIbLb1EESW_IbLb0EEEEDaSS_ST_EUlSS_E0_NS1_11comp_targetILNS1_3genE8ELNS1_11target_archE1030ELNS1_3gpuE2ELNS1_3repE0EEENS1_30default_config_static_selectorELNS0_4arch9wavefront6targetE1EEEvT1_
                                        ; -- End function
	.section	.AMDGPU.csdata,"",@progbits
; Kernel info:
; codeLenInByte = 0
; NumSgprs: 4
; NumVgprs: 0
; NumAgprs: 0
; TotalNumVgprs: 0
; ScratchSize: 0
; MemoryBound: 0
; FloatMode: 240
; IeeeMode: 1
; LDSByteSize: 0 bytes/workgroup (compile time only)
; SGPRBlocks: 0
; VGPRBlocks: 0
; NumSGPRsForWavesPerEU: 4
; NumVGPRsForWavesPerEU: 1
; AccumOffset: 4
; Occupancy: 8
; WaveLimiterHint : 0
; COMPUTE_PGM_RSRC2:SCRATCH_EN: 0
; COMPUTE_PGM_RSRC2:USER_SGPR: 6
; COMPUTE_PGM_RSRC2:TRAP_HANDLER: 0
; COMPUTE_PGM_RSRC2:TGID_X_EN: 1
; COMPUTE_PGM_RSRC2:TGID_Y_EN: 0
; COMPUTE_PGM_RSRC2:TGID_Z_EN: 0
; COMPUTE_PGM_RSRC2:TIDIG_COMP_CNT: 0
; COMPUTE_PGM_RSRC3_GFX90A:ACCUM_OFFSET: 0
; COMPUTE_PGM_RSRC3_GFX90A:TG_SPLIT: 0
	.section	.text._ZN7rocprim17ROCPRIM_400000_NS6detail17trampoline_kernelINS0_14default_configENS1_20scan_config_selectorIxEEZZNS1_9scan_implILNS1_25lookback_scan_determinismE0ELb0ELb0ES3_N6thrust23THRUST_200600_302600_NS6detail15normal_iteratorINS9_10device_ptrIxEEEENS9_16discard_iteratorINS9_11use_defaultEEExNS9_4plusIvEExEEDaPvRmT3_T4_T5_mT6_P12ihipStream_tbENKUlT_T0_E_clISt17integral_constantIbLb0EESW_IbLb1EEEEDaSS_ST_EUlSS_E_NS1_11comp_targetILNS1_3genE0ELNS1_11target_archE4294967295ELNS1_3gpuE0ELNS1_3repE0EEENS1_30default_config_static_selectorELNS0_4arch9wavefront6targetE1EEEvT1_,"axG",@progbits,_ZN7rocprim17ROCPRIM_400000_NS6detail17trampoline_kernelINS0_14default_configENS1_20scan_config_selectorIxEEZZNS1_9scan_implILNS1_25lookback_scan_determinismE0ELb0ELb0ES3_N6thrust23THRUST_200600_302600_NS6detail15normal_iteratorINS9_10device_ptrIxEEEENS9_16discard_iteratorINS9_11use_defaultEEExNS9_4plusIvEExEEDaPvRmT3_T4_T5_mT6_P12ihipStream_tbENKUlT_T0_E_clISt17integral_constantIbLb0EESW_IbLb1EEEEDaSS_ST_EUlSS_E_NS1_11comp_targetILNS1_3genE0ELNS1_11target_archE4294967295ELNS1_3gpuE0ELNS1_3repE0EEENS1_30default_config_static_selectorELNS0_4arch9wavefront6targetE1EEEvT1_,comdat
	.protected	_ZN7rocprim17ROCPRIM_400000_NS6detail17trampoline_kernelINS0_14default_configENS1_20scan_config_selectorIxEEZZNS1_9scan_implILNS1_25lookback_scan_determinismE0ELb0ELb0ES3_N6thrust23THRUST_200600_302600_NS6detail15normal_iteratorINS9_10device_ptrIxEEEENS9_16discard_iteratorINS9_11use_defaultEEExNS9_4plusIvEExEEDaPvRmT3_T4_T5_mT6_P12ihipStream_tbENKUlT_T0_E_clISt17integral_constantIbLb0EESW_IbLb1EEEEDaSS_ST_EUlSS_E_NS1_11comp_targetILNS1_3genE0ELNS1_11target_archE4294967295ELNS1_3gpuE0ELNS1_3repE0EEENS1_30default_config_static_selectorELNS0_4arch9wavefront6targetE1EEEvT1_ ; -- Begin function _ZN7rocprim17ROCPRIM_400000_NS6detail17trampoline_kernelINS0_14default_configENS1_20scan_config_selectorIxEEZZNS1_9scan_implILNS1_25lookback_scan_determinismE0ELb0ELb0ES3_N6thrust23THRUST_200600_302600_NS6detail15normal_iteratorINS9_10device_ptrIxEEEENS9_16discard_iteratorINS9_11use_defaultEEExNS9_4plusIvEExEEDaPvRmT3_T4_T5_mT6_P12ihipStream_tbENKUlT_T0_E_clISt17integral_constantIbLb0EESW_IbLb1EEEEDaSS_ST_EUlSS_E_NS1_11comp_targetILNS1_3genE0ELNS1_11target_archE4294967295ELNS1_3gpuE0ELNS1_3repE0EEENS1_30default_config_static_selectorELNS0_4arch9wavefront6targetE1EEEvT1_
	.globl	_ZN7rocprim17ROCPRIM_400000_NS6detail17trampoline_kernelINS0_14default_configENS1_20scan_config_selectorIxEEZZNS1_9scan_implILNS1_25lookback_scan_determinismE0ELb0ELb0ES3_N6thrust23THRUST_200600_302600_NS6detail15normal_iteratorINS9_10device_ptrIxEEEENS9_16discard_iteratorINS9_11use_defaultEEExNS9_4plusIvEExEEDaPvRmT3_T4_T5_mT6_P12ihipStream_tbENKUlT_T0_E_clISt17integral_constantIbLb0EESW_IbLb1EEEEDaSS_ST_EUlSS_E_NS1_11comp_targetILNS1_3genE0ELNS1_11target_archE4294967295ELNS1_3gpuE0ELNS1_3repE0EEENS1_30default_config_static_selectorELNS0_4arch9wavefront6targetE1EEEvT1_
	.p2align	8
	.type	_ZN7rocprim17ROCPRIM_400000_NS6detail17trampoline_kernelINS0_14default_configENS1_20scan_config_selectorIxEEZZNS1_9scan_implILNS1_25lookback_scan_determinismE0ELb0ELb0ES3_N6thrust23THRUST_200600_302600_NS6detail15normal_iteratorINS9_10device_ptrIxEEEENS9_16discard_iteratorINS9_11use_defaultEEExNS9_4plusIvEExEEDaPvRmT3_T4_T5_mT6_P12ihipStream_tbENKUlT_T0_E_clISt17integral_constantIbLb0EESW_IbLb1EEEEDaSS_ST_EUlSS_E_NS1_11comp_targetILNS1_3genE0ELNS1_11target_archE4294967295ELNS1_3gpuE0ELNS1_3repE0EEENS1_30default_config_static_selectorELNS0_4arch9wavefront6targetE1EEEvT1_,@function
_ZN7rocprim17ROCPRIM_400000_NS6detail17trampoline_kernelINS0_14default_configENS1_20scan_config_selectorIxEEZZNS1_9scan_implILNS1_25lookback_scan_determinismE0ELb0ELb0ES3_N6thrust23THRUST_200600_302600_NS6detail15normal_iteratorINS9_10device_ptrIxEEEENS9_16discard_iteratorINS9_11use_defaultEEExNS9_4plusIvEExEEDaPvRmT3_T4_T5_mT6_P12ihipStream_tbENKUlT_T0_E_clISt17integral_constantIbLb0EESW_IbLb1EEEEDaSS_ST_EUlSS_E_NS1_11comp_targetILNS1_3genE0ELNS1_11target_archE4294967295ELNS1_3gpuE0ELNS1_3repE0EEENS1_30default_config_static_selectorELNS0_4arch9wavefront6targetE1EEEvT1_: ; @_ZN7rocprim17ROCPRIM_400000_NS6detail17trampoline_kernelINS0_14default_configENS1_20scan_config_selectorIxEEZZNS1_9scan_implILNS1_25lookback_scan_determinismE0ELb0ELb0ES3_N6thrust23THRUST_200600_302600_NS6detail15normal_iteratorINS9_10device_ptrIxEEEENS9_16discard_iteratorINS9_11use_defaultEEExNS9_4plusIvEExEEDaPvRmT3_T4_T5_mT6_P12ihipStream_tbENKUlT_T0_E_clISt17integral_constantIbLb0EESW_IbLb1EEEEDaSS_ST_EUlSS_E_NS1_11comp_targetILNS1_3genE0ELNS1_11target_archE4294967295ELNS1_3gpuE0ELNS1_3repE0EEENS1_30default_config_static_selectorELNS0_4arch9wavefront6targetE1EEEvT1_
; %bb.0:
	.section	.rodata,"a",@progbits
	.p2align	6, 0x0
	.amdhsa_kernel _ZN7rocprim17ROCPRIM_400000_NS6detail17trampoline_kernelINS0_14default_configENS1_20scan_config_selectorIxEEZZNS1_9scan_implILNS1_25lookback_scan_determinismE0ELb0ELb0ES3_N6thrust23THRUST_200600_302600_NS6detail15normal_iteratorINS9_10device_ptrIxEEEENS9_16discard_iteratorINS9_11use_defaultEEExNS9_4plusIvEExEEDaPvRmT3_T4_T5_mT6_P12ihipStream_tbENKUlT_T0_E_clISt17integral_constantIbLb0EESW_IbLb1EEEEDaSS_ST_EUlSS_E_NS1_11comp_targetILNS1_3genE0ELNS1_11target_archE4294967295ELNS1_3gpuE0ELNS1_3repE0EEENS1_30default_config_static_selectorELNS0_4arch9wavefront6targetE1EEEvT1_
		.amdhsa_group_segment_fixed_size 0
		.amdhsa_private_segment_fixed_size 0
		.amdhsa_kernarg_size 112
		.amdhsa_user_sgpr_count 6
		.amdhsa_user_sgpr_private_segment_buffer 1
		.amdhsa_user_sgpr_dispatch_ptr 0
		.amdhsa_user_sgpr_queue_ptr 0
		.amdhsa_user_sgpr_kernarg_segment_ptr 1
		.amdhsa_user_sgpr_dispatch_id 0
		.amdhsa_user_sgpr_flat_scratch_init 0
		.amdhsa_user_sgpr_kernarg_preload_length 0
		.amdhsa_user_sgpr_kernarg_preload_offset 0
		.amdhsa_user_sgpr_private_segment_size 0
		.amdhsa_uses_dynamic_stack 0
		.amdhsa_system_sgpr_private_segment_wavefront_offset 0
		.amdhsa_system_sgpr_workgroup_id_x 1
		.amdhsa_system_sgpr_workgroup_id_y 0
		.amdhsa_system_sgpr_workgroup_id_z 0
		.amdhsa_system_sgpr_workgroup_info 0
		.amdhsa_system_vgpr_workitem_id 0
		.amdhsa_next_free_vgpr 1
		.amdhsa_next_free_sgpr 0
		.amdhsa_accum_offset 4
		.amdhsa_reserve_vcc 0
		.amdhsa_reserve_flat_scratch 0
		.amdhsa_float_round_mode_32 0
		.amdhsa_float_round_mode_16_64 0
		.amdhsa_float_denorm_mode_32 3
		.amdhsa_float_denorm_mode_16_64 3
		.amdhsa_dx10_clamp 1
		.amdhsa_ieee_mode 1
		.amdhsa_fp16_overflow 0
		.amdhsa_tg_split 0
		.amdhsa_exception_fp_ieee_invalid_op 0
		.amdhsa_exception_fp_denorm_src 0
		.amdhsa_exception_fp_ieee_div_zero 0
		.amdhsa_exception_fp_ieee_overflow 0
		.amdhsa_exception_fp_ieee_underflow 0
		.amdhsa_exception_fp_ieee_inexact 0
		.amdhsa_exception_int_div_zero 0
	.end_amdhsa_kernel
	.section	.text._ZN7rocprim17ROCPRIM_400000_NS6detail17trampoline_kernelINS0_14default_configENS1_20scan_config_selectorIxEEZZNS1_9scan_implILNS1_25lookback_scan_determinismE0ELb0ELb0ES3_N6thrust23THRUST_200600_302600_NS6detail15normal_iteratorINS9_10device_ptrIxEEEENS9_16discard_iteratorINS9_11use_defaultEEExNS9_4plusIvEExEEDaPvRmT3_T4_T5_mT6_P12ihipStream_tbENKUlT_T0_E_clISt17integral_constantIbLb0EESW_IbLb1EEEEDaSS_ST_EUlSS_E_NS1_11comp_targetILNS1_3genE0ELNS1_11target_archE4294967295ELNS1_3gpuE0ELNS1_3repE0EEENS1_30default_config_static_selectorELNS0_4arch9wavefront6targetE1EEEvT1_,"axG",@progbits,_ZN7rocprim17ROCPRIM_400000_NS6detail17trampoline_kernelINS0_14default_configENS1_20scan_config_selectorIxEEZZNS1_9scan_implILNS1_25lookback_scan_determinismE0ELb0ELb0ES3_N6thrust23THRUST_200600_302600_NS6detail15normal_iteratorINS9_10device_ptrIxEEEENS9_16discard_iteratorINS9_11use_defaultEEExNS9_4plusIvEExEEDaPvRmT3_T4_T5_mT6_P12ihipStream_tbENKUlT_T0_E_clISt17integral_constantIbLb0EESW_IbLb1EEEEDaSS_ST_EUlSS_E_NS1_11comp_targetILNS1_3genE0ELNS1_11target_archE4294967295ELNS1_3gpuE0ELNS1_3repE0EEENS1_30default_config_static_selectorELNS0_4arch9wavefront6targetE1EEEvT1_,comdat
.Lfunc_end5636:
	.size	_ZN7rocprim17ROCPRIM_400000_NS6detail17trampoline_kernelINS0_14default_configENS1_20scan_config_selectorIxEEZZNS1_9scan_implILNS1_25lookback_scan_determinismE0ELb0ELb0ES3_N6thrust23THRUST_200600_302600_NS6detail15normal_iteratorINS9_10device_ptrIxEEEENS9_16discard_iteratorINS9_11use_defaultEEExNS9_4plusIvEExEEDaPvRmT3_T4_T5_mT6_P12ihipStream_tbENKUlT_T0_E_clISt17integral_constantIbLb0EESW_IbLb1EEEEDaSS_ST_EUlSS_E_NS1_11comp_targetILNS1_3genE0ELNS1_11target_archE4294967295ELNS1_3gpuE0ELNS1_3repE0EEENS1_30default_config_static_selectorELNS0_4arch9wavefront6targetE1EEEvT1_, .Lfunc_end5636-_ZN7rocprim17ROCPRIM_400000_NS6detail17trampoline_kernelINS0_14default_configENS1_20scan_config_selectorIxEEZZNS1_9scan_implILNS1_25lookback_scan_determinismE0ELb0ELb0ES3_N6thrust23THRUST_200600_302600_NS6detail15normal_iteratorINS9_10device_ptrIxEEEENS9_16discard_iteratorINS9_11use_defaultEEExNS9_4plusIvEExEEDaPvRmT3_T4_T5_mT6_P12ihipStream_tbENKUlT_T0_E_clISt17integral_constantIbLb0EESW_IbLb1EEEEDaSS_ST_EUlSS_E_NS1_11comp_targetILNS1_3genE0ELNS1_11target_archE4294967295ELNS1_3gpuE0ELNS1_3repE0EEENS1_30default_config_static_selectorELNS0_4arch9wavefront6targetE1EEEvT1_
                                        ; -- End function
	.section	.AMDGPU.csdata,"",@progbits
; Kernel info:
; codeLenInByte = 0
; NumSgprs: 4
; NumVgprs: 0
; NumAgprs: 0
; TotalNumVgprs: 0
; ScratchSize: 0
; MemoryBound: 0
; FloatMode: 240
; IeeeMode: 1
; LDSByteSize: 0 bytes/workgroup (compile time only)
; SGPRBlocks: 0
; VGPRBlocks: 0
; NumSGPRsForWavesPerEU: 4
; NumVGPRsForWavesPerEU: 1
; AccumOffset: 4
; Occupancy: 8
; WaveLimiterHint : 0
; COMPUTE_PGM_RSRC2:SCRATCH_EN: 0
; COMPUTE_PGM_RSRC2:USER_SGPR: 6
; COMPUTE_PGM_RSRC2:TRAP_HANDLER: 0
; COMPUTE_PGM_RSRC2:TGID_X_EN: 1
; COMPUTE_PGM_RSRC2:TGID_Y_EN: 0
; COMPUTE_PGM_RSRC2:TGID_Z_EN: 0
; COMPUTE_PGM_RSRC2:TIDIG_COMP_CNT: 0
; COMPUTE_PGM_RSRC3_GFX90A:ACCUM_OFFSET: 0
; COMPUTE_PGM_RSRC3_GFX90A:TG_SPLIT: 0
	.section	.text._ZN7rocprim17ROCPRIM_400000_NS6detail17trampoline_kernelINS0_14default_configENS1_20scan_config_selectorIxEEZZNS1_9scan_implILNS1_25lookback_scan_determinismE0ELb0ELb0ES3_N6thrust23THRUST_200600_302600_NS6detail15normal_iteratorINS9_10device_ptrIxEEEENS9_16discard_iteratorINS9_11use_defaultEEExNS9_4plusIvEExEEDaPvRmT3_T4_T5_mT6_P12ihipStream_tbENKUlT_T0_E_clISt17integral_constantIbLb0EESW_IbLb1EEEEDaSS_ST_EUlSS_E_NS1_11comp_targetILNS1_3genE5ELNS1_11target_archE942ELNS1_3gpuE9ELNS1_3repE0EEENS1_30default_config_static_selectorELNS0_4arch9wavefront6targetE1EEEvT1_,"axG",@progbits,_ZN7rocprim17ROCPRIM_400000_NS6detail17trampoline_kernelINS0_14default_configENS1_20scan_config_selectorIxEEZZNS1_9scan_implILNS1_25lookback_scan_determinismE0ELb0ELb0ES3_N6thrust23THRUST_200600_302600_NS6detail15normal_iteratorINS9_10device_ptrIxEEEENS9_16discard_iteratorINS9_11use_defaultEEExNS9_4plusIvEExEEDaPvRmT3_T4_T5_mT6_P12ihipStream_tbENKUlT_T0_E_clISt17integral_constantIbLb0EESW_IbLb1EEEEDaSS_ST_EUlSS_E_NS1_11comp_targetILNS1_3genE5ELNS1_11target_archE942ELNS1_3gpuE9ELNS1_3repE0EEENS1_30default_config_static_selectorELNS0_4arch9wavefront6targetE1EEEvT1_,comdat
	.protected	_ZN7rocprim17ROCPRIM_400000_NS6detail17trampoline_kernelINS0_14default_configENS1_20scan_config_selectorIxEEZZNS1_9scan_implILNS1_25lookback_scan_determinismE0ELb0ELb0ES3_N6thrust23THRUST_200600_302600_NS6detail15normal_iteratorINS9_10device_ptrIxEEEENS9_16discard_iteratorINS9_11use_defaultEEExNS9_4plusIvEExEEDaPvRmT3_T4_T5_mT6_P12ihipStream_tbENKUlT_T0_E_clISt17integral_constantIbLb0EESW_IbLb1EEEEDaSS_ST_EUlSS_E_NS1_11comp_targetILNS1_3genE5ELNS1_11target_archE942ELNS1_3gpuE9ELNS1_3repE0EEENS1_30default_config_static_selectorELNS0_4arch9wavefront6targetE1EEEvT1_ ; -- Begin function _ZN7rocprim17ROCPRIM_400000_NS6detail17trampoline_kernelINS0_14default_configENS1_20scan_config_selectorIxEEZZNS1_9scan_implILNS1_25lookback_scan_determinismE0ELb0ELb0ES3_N6thrust23THRUST_200600_302600_NS6detail15normal_iteratorINS9_10device_ptrIxEEEENS9_16discard_iteratorINS9_11use_defaultEEExNS9_4plusIvEExEEDaPvRmT3_T4_T5_mT6_P12ihipStream_tbENKUlT_T0_E_clISt17integral_constantIbLb0EESW_IbLb1EEEEDaSS_ST_EUlSS_E_NS1_11comp_targetILNS1_3genE5ELNS1_11target_archE942ELNS1_3gpuE9ELNS1_3repE0EEENS1_30default_config_static_selectorELNS0_4arch9wavefront6targetE1EEEvT1_
	.globl	_ZN7rocprim17ROCPRIM_400000_NS6detail17trampoline_kernelINS0_14default_configENS1_20scan_config_selectorIxEEZZNS1_9scan_implILNS1_25lookback_scan_determinismE0ELb0ELb0ES3_N6thrust23THRUST_200600_302600_NS6detail15normal_iteratorINS9_10device_ptrIxEEEENS9_16discard_iteratorINS9_11use_defaultEEExNS9_4plusIvEExEEDaPvRmT3_T4_T5_mT6_P12ihipStream_tbENKUlT_T0_E_clISt17integral_constantIbLb0EESW_IbLb1EEEEDaSS_ST_EUlSS_E_NS1_11comp_targetILNS1_3genE5ELNS1_11target_archE942ELNS1_3gpuE9ELNS1_3repE0EEENS1_30default_config_static_selectorELNS0_4arch9wavefront6targetE1EEEvT1_
	.p2align	8
	.type	_ZN7rocprim17ROCPRIM_400000_NS6detail17trampoline_kernelINS0_14default_configENS1_20scan_config_selectorIxEEZZNS1_9scan_implILNS1_25lookback_scan_determinismE0ELb0ELb0ES3_N6thrust23THRUST_200600_302600_NS6detail15normal_iteratorINS9_10device_ptrIxEEEENS9_16discard_iteratorINS9_11use_defaultEEExNS9_4plusIvEExEEDaPvRmT3_T4_T5_mT6_P12ihipStream_tbENKUlT_T0_E_clISt17integral_constantIbLb0EESW_IbLb1EEEEDaSS_ST_EUlSS_E_NS1_11comp_targetILNS1_3genE5ELNS1_11target_archE942ELNS1_3gpuE9ELNS1_3repE0EEENS1_30default_config_static_selectorELNS0_4arch9wavefront6targetE1EEEvT1_,@function
_ZN7rocprim17ROCPRIM_400000_NS6detail17trampoline_kernelINS0_14default_configENS1_20scan_config_selectorIxEEZZNS1_9scan_implILNS1_25lookback_scan_determinismE0ELb0ELb0ES3_N6thrust23THRUST_200600_302600_NS6detail15normal_iteratorINS9_10device_ptrIxEEEENS9_16discard_iteratorINS9_11use_defaultEEExNS9_4plusIvEExEEDaPvRmT3_T4_T5_mT6_P12ihipStream_tbENKUlT_T0_E_clISt17integral_constantIbLb0EESW_IbLb1EEEEDaSS_ST_EUlSS_E_NS1_11comp_targetILNS1_3genE5ELNS1_11target_archE942ELNS1_3gpuE9ELNS1_3repE0EEENS1_30default_config_static_selectorELNS0_4arch9wavefront6targetE1EEEvT1_: ; @_ZN7rocprim17ROCPRIM_400000_NS6detail17trampoline_kernelINS0_14default_configENS1_20scan_config_selectorIxEEZZNS1_9scan_implILNS1_25lookback_scan_determinismE0ELb0ELb0ES3_N6thrust23THRUST_200600_302600_NS6detail15normal_iteratorINS9_10device_ptrIxEEEENS9_16discard_iteratorINS9_11use_defaultEEExNS9_4plusIvEExEEDaPvRmT3_T4_T5_mT6_P12ihipStream_tbENKUlT_T0_E_clISt17integral_constantIbLb0EESW_IbLb1EEEEDaSS_ST_EUlSS_E_NS1_11comp_targetILNS1_3genE5ELNS1_11target_archE942ELNS1_3gpuE9ELNS1_3repE0EEENS1_30default_config_static_selectorELNS0_4arch9wavefront6targetE1EEEvT1_
; %bb.0:
	.section	.rodata,"a",@progbits
	.p2align	6, 0x0
	.amdhsa_kernel _ZN7rocprim17ROCPRIM_400000_NS6detail17trampoline_kernelINS0_14default_configENS1_20scan_config_selectorIxEEZZNS1_9scan_implILNS1_25lookback_scan_determinismE0ELb0ELb0ES3_N6thrust23THRUST_200600_302600_NS6detail15normal_iteratorINS9_10device_ptrIxEEEENS9_16discard_iteratorINS9_11use_defaultEEExNS9_4plusIvEExEEDaPvRmT3_T4_T5_mT6_P12ihipStream_tbENKUlT_T0_E_clISt17integral_constantIbLb0EESW_IbLb1EEEEDaSS_ST_EUlSS_E_NS1_11comp_targetILNS1_3genE5ELNS1_11target_archE942ELNS1_3gpuE9ELNS1_3repE0EEENS1_30default_config_static_selectorELNS0_4arch9wavefront6targetE1EEEvT1_
		.amdhsa_group_segment_fixed_size 0
		.amdhsa_private_segment_fixed_size 0
		.amdhsa_kernarg_size 112
		.amdhsa_user_sgpr_count 6
		.amdhsa_user_sgpr_private_segment_buffer 1
		.amdhsa_user_sgpr_dispatch_ptr 0
		.amdhsa_user_sgpr_queue_ptr 0
		.amdhsa_user_sgpr_kernarg_segment_ptr 1
		.amdhsa_user_sgpr_dispatch_id 0
		.amdhsa_user_sgpr_flat_scratch_init 0
		.amdhsa_user_sgpr_kernarg_preload_length 0
		.amdhsa_user_sgpr_kernarg_preload_offset 0
		.amdhsa_user_sgpr_private_segment_size 0
		.amdhsa_uses_dynamic_stack 0
		.amdhsa_system_sgpr_private_segment_wavefront_offset 0
		.amdhsa_system_sgpr_workgroup_id_x 1
		.amdhsa_system_sgpr_workgroup_id_y 0
		.amdhsa_system_sgpr_workgroup_id_z 0
		.amdhsa_system_sgpr_workgroup_info 0
		.amdhsa_system_vgpr_workitem_id 0
		.amdhsa_next_free_vgpr 1
		.amdhsa_next_free_sgpr 0
		.amdhsa_accum_offset 4
		.amdhsa_reserve_vcc 0
		.amdhsa_reserve_flat_scratch 0
		.amdhsa_float_round_mode_32 0
		.amdhsa_float_round_mode_16_64 0
		.amdhsa_float_denorm_mode_32 3
		.amdhsa_float_denorm_mode_16_64 3
		.amdhsa_dx10_clamp 1
		.amdhsa_ieee_mode 1
		.amdhsa_fp16_overflow 0
		.amdhsa_tg_split 0
		.amdhsa_exception_fp_ieee_invalid_op 0
		.amdhsa_exception_fp_denorm_src 0
		.amdhsa_exception_fp_ieee_div_zero 0
		.amdhsa_exception_fp_ieee_overflow 0
		.amdhsa_exception_fp_ieee_underflow 0
		.amdhsa_exception_fp_ieee_inexact 0
		.amdhsa_exception_int_div_zero 0
	.end_amdhsa_kernel
	.section	.text._ZN7rocprim17ROCPRIM_400000_NS6detail17trampoline_kernelINS0_14default_configENS1_20scan_config_selectorIxEEZZNS1_9scan_implILNS1_25lookback_scan_determinismE0ELb0ELb0ES3_N6thrust23THRUST_200600_302600_NS6detail15normal_iteratorINS9_10device_ptrIxEEEENS9_16discard_iteratorINS9_11use_defaultEEExNS9_4plusIvEExEEDaPvRmT3_T4_T5_mT6_P12ihipStream_tbENKUlT_T0_E_clISt17integral_constantIbLb0EESW_IbLb1EEEEDaSS_ST_EUlSS_E_NS1_11comp_targetILNS1_3genE5ELNS1_11target_archE942ELNS1_3gpuE9ELNS1_3repE0EEENS1_30default_config_static_selectorELNS0_4arch9wavefront6targetE1EEEvT1_,"axG",@progbits,_ZN7rocprim17ROCPRIM_400000_NS6detail17trampoline_kernelINS0_14default_configENS1_20scan_config_selectorIxEEZZNS1_9scan_implILNS1_25lookback_scan_determinismE0ELb0ELb0ES3_N6thrust23THRUST_200600_302600_NS6detail15normal_iteratorINS9_10device_ptrIxEEEENS9_16discard_iteratorINS9_11use_defaultEEExNS9_4plusIvEExEEDaPvRmT3_T4_T5_mT6_P12ihipStream_tbENKUlT_T0_E_clISt17integral_constantIbLb0EESW_IbLb1EEEEDaSS_ST_EUlSS_E_NS1_11comp_targetILNS1_3genE5ELNS1_11target_archE942ELNS1_3gpuE9ELNS1_3repE0EEENS1_30default_config_static_selectorELNS0_4arch9wavefront6targetE1EEEvT1_,comdat
.Lfunc_end5637:
	.size	_ZN7rocprim17ROCPRIM_400000_NS6detail17trampoline_kernelINS0_14default_configENS1_20scan_config_selectorIxEEZZNS1_9scan_implILNS1_25lookback_scan_determinismE0ELb0ELb0ES3_N6thrust23THRUST_200600_302600_NS6detail15normal_iteratorINS9_10device_ptrIxEEEENS9_16discard_iteratorINS9_11use_defaultEEExNS9_4plusIvEExEEDaPvRmT3_T4_T5_mT6_P12ihipStream_tbENKUlT_T0_E_clISt17integral_constantIbLb0EESW_IbLb1EEEEDaSS_ST_EUlSS_E_NS1_11comp_targetILNS1_3genE5ELNS1_11target_archE942ELNS1_3gpuE9ELNS1_3repE0EEENS1_30default_config_static_selectorELNS0_4arch9wavefront6targetE1EEEvT1_, .Lfunc_end5637-_ZN7rocprim17ROCPRIM_400000_NS6detail17trampoline_kernelINS0_14default_configENS1_20scan_config_selectorIxEEZZNS1_9scan_implILNS1_25lookback_scan_determinismE0ELb0ELb0ES3_N6thrust23THRUST_200600_302600_NS6detail15normal_iteratorINS9_10device_ptrIxEEEENS9_16discard_iteratorINS9_11use_defaultEEExNS9_4plusIvEExEEDaPvRmT3_T4_T5_mT6_P12ihipStream_tbENKUlT_T0_E_clISt17integral_constantIbLb0EESW_IbLb1EEEEDaSS_ST_EUlSS_E_NS1_11comp_targetILNS1_3genE5ELNS1_11target_archE942ELNS1_3gpuE9ELNS1_3repE0EEENS1_30default_config_static_selectorELNS0_4arch9wavefront6targetE1EEEvT1_
                                        ; -- End function
	.section	.AMDGPU.csdata,"",@progbits
; Kernel info:
; codeLenInByte = 0
; NumSgprs: 4
; NumVgprs: 0
; NumAgprs: 0
; TotalNumVgprs: 0
; ScratchSize: 0
; MemoryBound: 0
; FloatMode: 240
; IeeeMode: 1
; LDSByteSize: 0 bytes/workgroup (compile time only)
; SGPRBlocks: 0
; VGPRBlocks: 0
; NumSGPRsForWavesPerEU: 4
; NumVGPRsForWavesPerEU: 1
; AccumOffset: 4
; Occupancy: 8
; WaveLimiterHint : 0
; COMPUTE_PGM_RSRC2:SCRATCH_EN: 0
; COMPUTE_PGM_RSRC2:USER_SGPR: 6
; COMPUTE_PGM_RSRC2:TRAP_HANDLER: 0
; COMPUTE_PGM_RSRC2:TGID_X_EN: 1
; COMPUTE_PGM_RSRC2:TGID_Y_EN: 0
; COMPUTE_PGM_RSRC2:TGID_Z_EN: 0
; COMPUTE_PGM_RSRC2:TIDIG_COMP_CNT: 0
; COMPUTE_PGM_RSRC3_GFX90A:ACCUM_OFFSET: 0
; COMPUTE_PGM_RSRC3_GFX90A:TG_SPLIT: 0
	.section	.text._ZN7rocprim17ROCPRIM_400000_NS6detail17trampoline_kernelINS0_14default_configENS1_20scan_config_selectorIxEEZZNS1_9scan_implILNS1_25lookback_scan_determinismE0ELb0ELb0ES3_N6thrust23THRUST_200600_302600_NS6detail15normal_iteratorINS9_10device_ptrIxEEEENS9_16discard_iteratorINS9_11use_defaultEEExNS9_4plusIvEExEEDaPvRmT3_T4_T5_mT6_P12ihipStream_tbENKUlT_T0_E_clISt17integral_constantIbLb0EESW_IbLb1EEEEDaSS_ST_EUlSS_E_NS1_11comp_targetILNS1_3genE4ELNS1_11target_archE910ELNS1_3gpuE8ELNS1_3repE0EEENS1_30default_config_static_selectorELNS0_4arch9wavefront6targetE1EEEvT1_,"axG",@progbits,_ZN7rocprim17ROCPRIM_400000_NS6detail17trampoline_kernelINS0_14default_configENS1_20scan_config_selectorIxEEZZNS1_9scan_implILNS1_25lookback_scan_determinismE0ELb0ELb0ES3_N6thrust23THRUST_200600_302600_NS6detail15normal_iteratorINS9_10device_ptrIxEEEENS9_16discard_iteratorINS9_11use_defaultEEExNS9_4plusIvEExEEDaPvRmT3_T4_T5_mT6_P12ihipStream_tbENKUlT_T0_E_clISt17integral_constantIbLb0EESW_IbLb1EEEEDaSS_ST_EUlSS_E_NS1_11comp_targetILNS1_3genE4ELNS1_11target_archE910ELNS1_3gpuE8ELNS1_3repE0EEENS1_30default_config_static_selectorELNS0_4arch9wavefront6targetE1EEEvT1_,comdat
	.protected	_ZN7rocprim17ROCPRIM_400000_NS6detail17trampoline_kernelINS0_14default_configENS1_20scan_config_selectorIxEEZZNS1_9scan_implILNS1_25lookback_scan_determinismE0ELb0ELb0ES3_N6thrust23THRUST_200600_302600_NS6detail15normal_iteratorINS9_10device_ptrIxEEEENS9_16discard_iteratorINS9_11use_defaultEEExNS9_4plusIvEExEEDaPvRmT3_T4_T5_mT6_P12ihipStream_tbENKUlT_T0_E_clISt17integral_constantIbLb0EESW_IbLb1EEEEDaSS_ST_EUlSS_E_NS1_11comp_targetILNS1_3genE4ELNS1_11target_archE910ELNS1_3gpuE8ELNS1_3repE0EEENS1_30default_config_static_selectorELNS0_4arch9wavefront6targetE1EEEvT1_ ; -- Begin function _ZN7rocprim17ROCPRIM_400000_NS6detail17trampoline_kernelINS0_14default_configENS1_20scan_config_selectorIxEEZZNS1_9scan_implILNS1_25lookback_scan_determinismE0ELb0ELb0ES3_N6thrust23THRUST_200600_302600_NS6detail15normal_iteratorINS9_10device_ptrIxEEEENS9_16discard_iteratorINS9_11use_defaultEEExNS9_4plusIvEExEEDaPvRmT3_T4_T5_mT6_P12ihipStream_tbENKUlT_T0_E_clISt17integral_constantIbLb0EESW_IbLb1EEEEDaSS_ST_EUlSS_E_NS1_11comp_targetILNS1_3genE4ELNS1_11target_archE910ELNS1_3gpuE8ELNS1_3repE0EEENS1_30default_config_static_selectorELNS0_4arch9wavefront6targetE1EEEvT1_
	.globl	_ZN7rocprim17ROCPRIM_400000_NS6detail17trampoline_kernelINS0_14default_configENS1_20scan_config_selectorIxEEZZNS1_9scan_implILNS1_25lookback_scan_determinismE0ELb0ELb0ES3_N6thrust23THRUST_200600_302600_NS6detail15normal_iteratorINS9_10device_ptrIxEEEENS9_16discard_iteratorINS9_11use_defaultEEExNS9_4plusIvEExEEDaPvRmT3_T4_T5_mT6_P12ihipStream_tbENKUlT_T0_E_clISt17integral_constantIbLb0EESW_IbLb1EEEEDaSS_ST_EUlSS_E_NS1_11comp_targetILNS1_3genE4ELNS1_11target_archE910ELNS1_3gpuE8ELNS1_3repE0EEENS1_30default_config_static_selectorELNS0_4arch9wavefront6targetE1EEEvT1_
	.p2align	8
	.type	_ZN7rocprim17ROCPRIM_400000_NS6detail17trampoline_kernelINS0_14default_configENS1_20scan_config_selectorIxEEZZNS1_9scan_implILNS1_25lookback_scan_determinismE0ELb0ELb0ES3_N6thrust23THRUST_200600_302600_NS6detail15normal_iteratorINS9_10device_ptrIxEEEENS9_16discard_iteratorINS9_11use_defaultEEExNS9_4plusIvEExEEDaPvRmT3_T4_T5_mT6_P12ihipStream_tbENKUlT_T0_E_clISt17integral_constantIbLb0EESW_IbLb1EEEEDaSS_ST_EUlSS_E_NS1_11comp_targetILNS1_3genE4ELNS1_11target_archE910ELNS1_3gpuE8ELNS1_3repE0EEENS1_30default_config_static_selectorELNS0_4arch9wavefront6targetE1EEEvT1_,@function
_ZN7rocprim17ROCPRIM_400000_NS6detail17trampoline_kernelINS0_14default_configENS1_20scan_config_selectorIxEEZZNS1_9scan_implILNS1_25lookback_scan_determinismE0ELb0ELb0ES3_N6thrust23THRUST_200600_302600_NS6detail15normal_iteratorINS9_10device_ptrIxEEEENS9_16discard_iteratorINS9_11use_defaultEEExNS9_4plusIvEExEEDaPvRmT3_T4_T5_mT6_P12ihipStream_tbENKUlT_T0_E_clISt17integral_constantIbLb0EESW_IbLb1EEEEDaSS_ST_EUlSS_E_NS1_11comp_targetILNS1_3genE4ELNS1_11target_archE910ELNS1_3gpuE8ELNS1_3repE0EEENS1_30default_config_static_selectorELNS0_4arch9wavefront6targetE1EEEvT1_: ; @_ZN7rocprim17ROCPRIM_400000_NS6detail17trampoline_kernelINS0_14default_configENS1_20scan_config_selectorIxEEZZNS1_9scan_implILNS1_25lookback_scan_determinismE0ELb0ELb0ES3_N6thrust23THRUST_200600_302600_NS6detail15normal_iteratorINS9_10device_ptrIxEEEENS9_16discard_iteratorINS9_11use_defaultEEExNS9_4plusIvEExEEDaPvRmT3_T4_T5_mT6_P12ihipStream_tbENKUlT_T0_E_clISt17integral_constantIbLb0EESW_IbLb1EEEEDaSS_ST_EUlSS_E_NS1_11comp_targetILNS1_3genE4ELNS1_11target_archE910ELNS1_3gpuE8ELNS1_3repE0EEENS1_30default_config_static_selectorELNS0_4arch9wavefront6targetE1EEEvT1_
; %bb.0:
	s_load_dwordx2 s[6:7], s[4:5], 0x20
	s_load_dwordx2 s[20:21], s[4:5], 0x38
	v_cmp_ne_u32_e64 s[0:1], 0, v0
	v_cmp_eq_u32_e64 s[2:3], 0, v0
	s_and_saveexec_b64 s[8:9], s[2:3]
	s_cbranch_execz .LBB5638_4
; %bb.1:
	s_mov_b64 s[12:13], exec
	v_mbcnt_lo_u32_b32 v1, s12, 0
	v_mbcnt_hi_u32_b32 v1, s13, v1
	v_cmp_eq_u32_e32 vcc, 0, v1
                                        ; implicit-def: $vgpr2
	s_and_saveexec_b64 s[10:11], vcc
	s_cbranch_execz .LBB5638_3
; %bb.2:
	s_load_dwordx2 s[14:15], s[4:5], 0x68
	s_bcnt1_i32_b64 s12, s[12:13]
	v_mov_b32_e32 v2, 0
	v_mov_b32_e32 v3, s12
	s_waitcnt lgkmcnt(0)
	global_atomic_add v2, v2, v3, s[14:15] glc
.LBB5638_3:
	s_or_b64 exec, exec, s[10:11]
	s_waitcnt vmcnt(0)
	v_readfirstlane_b32 s10, v2
	v_add_u32_e32 v1, s10, v1
	v_mov_b32_e32 v2, 0
	ds_write_b32 v2, v1
.LBB5638_4:
	s_or_b64 exec, exec, s[8:9]
	v_mov_b32_e32 v3, 0
	s_load_dwordx4 s[8:11], s[4:5], 0x0
	s_load_dword s22, s[4:5], 0x40
	s_load_dwordx8 s[12:19], s[4:5], 0x48
	s_waitcnt lgkmcnt(0)
	s_barrier
	ds_read_b32 v1, v3
	s_lshl_b64 s[4:5], s[10:11], 3
	s_add_u32 s4, s8, s4
	s_movk_i32 s8, 0x380
	s_addc_u32 s5, s9, s5
	s_waitcnt lgkmcnt(0)
	v_mul_lo_u32 v2, v1, s8
	s_add_i32 s8, s22, -1
	s_mul_i32 s9, s8, 0x380
	s_sub_u32 s24, s6, s9
	v_readfirstlane_b32 s26, v1
	s_subb_u32 s25, s7, 0
	v_lshlrev_b64 v[2:3], 3, v[2:3]
	s_cmp_lg_u32 s26, s8
	v_mov_b32_e32 v1, s5
	v_add_co_u32_e32 v20, vcc, s4, v2
	s_cselect_b64 s[10:11], -1, 0
	v_addc_co_u32_e32 v21, vcc, v1, v3, vcc
	s_mov_b64 s[4:5], -1
	s_and_b64 vcc, exec, s[10:11]
	v_lshlrev_b32_e32 v1, 3, v0
	s_barrier
	s_cbranch_vccz .LBB5638_6
; %bb.5:
	v_add_co_u32_e32 v2, vcc, v20, v1
	v_addc_co_u32_e32 v3, vcc, 0, v21, vcc
	flat_load_dwordx2 v[4:5], v[2:3]
	flat_load_dwordx2 v[6:7], v[2:3] offset:1024
	flat_load_dwordx2 v[8:9], v[2:3] offset:2048
	;; [unrolled: 1-line block ×3, first 2 shown]
	v_add_co_u32_e32 v2, vcc, 0x1000, v2
	v_addc_co_u32_e32 v3, vcc, 0, v3, vcc
	flat_load_dwordx2 v[12:13], v[2:3]
	flat_load_dwordx2 v[14:15], v[2:3] offset:1024
	flat_load_dwordx2 v[16:17], v[2:3] offset:2048
	s_mov_b64 s[4:5], 0
	s_waitcnt vmcnt(0) lgkmcnt(0)
	ds_write2st64_b64 v1, v[4:5], v[6:7] offset1:2
	ds_write2st64_b64 v1, v[8:9], v[10:11] offset0:4 offset1:6
	ds_write2st64_b64 v1, v[12:13], v[14:15] offset0:8 offset1:10
	ds_write_b64 v1, v[16:17] offset:6144
	s_waitcnt lgkmcnt(0)
	s_barrier
.LBB5638_6:
	s_andn2_b64 vcc, exec, s[4:5]
	s_cbranch_vccnz .LBB5638_22
; %bb.7:
	flat_load_dwordx2 v[2:3], v[20:21]
	v_cmp_gt_u32_e32 vcc, s24, v0
	s_waitcnt vmcnt(0) lgkmcnt(0)
	v_mov_b32_e32 v4, v2
	v_mov_b32_e32 v5, v3
	;; [unrolled: 1-line block ×10, first 2 shown]
	v_pk_mov_b32 v[18:19], v[14:15], v[14:15] op_sel:[0,1]
	v_pk_mov_b32 v[16:17], v[12:13], v[12:13] op_sel:[0,1]
	;; [unrolled: 1-line block ×8, first 2 shown]
	s_and_saveexec_b64 s[4:5], vcc
	s_cbranch_execz .LBB5638_9
; %bb.8:
	v_add_co_u32_e32 v4, vcc, v20, v1
	v_addc_co_u32_e32 v5, vcc, 0, v21, vcc
	flat_load_dwordx2 v[22:23], v[4:5]
	v_mov_b32_e32 v4, v2
	v_mov_b32_e32 v5, v3
	;; [unrolled: 1-line block ×10, first 2 shown]
	v_pk_mov_b32 v[18:19], v[14:15], v[14:15] op_sel:[0,1]
	v_pk_mov_b32 v[16:17], v[12:13], v[12:13] op_sel:[0,1]
	;; [unrolled: 1-line block ×8, first 2 shown]
	s_waitcnt vmcnt(0) lgkmcnt(0)
	v_pk_mov_b32 v[2:3], v[22:23], v[22:23] op_sel:[0,1]
.LBB5638_9:
	s_or_b64 exec, exec, s[4:5]
	v_or_b32_e32 v4, 0x80, v0
	v_cmp_gt_u32_e32 vcc, s24, v4
	s_and_saveexec_b64 s[4:5], vcc
	s_cbranch_execz .LBB5638_11
; %bb.10:
	v_add_co_u32_e32 v4, vcc, v20, v1
	v_addc_co_u32_e32 v5, vcc, 0, v21, vcc
	flat_load_dwordx2 v[6:7], v[4:5] offset:1024
.LBB5638_11:
	s_or_b64 exec, exec, s[4:5]
	v_or_b32_e32 v4, 0x100, v0
	v_cmp_gt_u32_e32 vcc, s24, v4
	s_and_saveexec_b64 s[4:5], vcc
	s_cbranch_execz .LBB5638_13
; %bb.12:
	v_add_co_u32_e32 v4, vcc, v20, v1
	v_addc_co_u32_e32 v5, vcc, 0, v21, vcc
	flat_load_dwordx2 v[8:9], v[4:5] offset:2048
.LBB5638_13:
	;; [unrolled: 10-line block ×3, first 2 shown]
	s_or_b64 exec, exec, s[4:5]
	v_or_b32_e32 v4, 0x200, v0
	v_cmp_gt_u32_e32 vcc, s24, v4
	s_and_saveexec_b64 s[4:5], vcc
	s_cbranch_execz .LBB5638_17
; %bb.16:
	v_lshlrev_b32_e32 v4, 3, v4
	v_add_co_u32_e32 v4, vcc, v20, v4
	v_addc_co_u32_e32 v5, vcc, 0, v21, vcc
	flat_load_dwordx2 v[12:13], v[4:5]
.LBB5638_17:
	s_or_b64 exec, exec, s[4:5]
	v_or_b32_e32 v4, 0x280, v0
	v_cmp_gt_u32_e32 vcc, s24, v4
	s_and_saveexec_b64 s[4:5], vcc
	s_cbranch_execz .LBB5638_19
; %bb.18:
	v_lshlrev_b32_e32 v4, 3, v4
	v_add_co_u32_e32 v4, vcc, v20, v4
	v_addc_co_u32_e32 v5, vcc, 0, v21, vcc
	flat_load_dwordx2 v[14:15], v[4:5]
.LBB5638_19:
	;; [unrolled: 11-line block ×3, first 2 shown]
	s_or_b64 exec, exec, s[4:5]
	s_waitcnt vmcnt(0) lgkmcnt(0)
	ds_write2st64_b64 v1, v[2:3], v[6:7] offset1:2
	ds_write2st64_b64 v1, v[8:9], v[10:11] offset0:4 offset1:6
	ds_write2st64_b64 v1, v[12:13], v[14:15] offset0:8 offset1:10
	ds_write_b64 v1, v[16:17] offset:6144
	s_waitcnt lgkmcnt(0)
	s_barrier
.LBB5638_22:
	v_mul_u32_u24_e32 v36, 7, v0
	v_lshlrev_b32_e32 v1, 3, v36
	ds_read2_b64 v[2:5], v1 offset1:1
	ds_read2_b64 v[10:13], v1 offset0:2 offset1:3
	ds_read2_b64 v[6:9], v1 offset0:4 offset1:5
	ds_read_b64 v[28:29], v1 offset:48
	s_cmp_lg_u32 s26, 0
	v_lshrrev_b32_e32 v37, 5, v0
	v_cmp_gt_u32_e32 vcc, 64, v0
	s_waitcnt lgkmcnt(0)
	s_barrier
	s_cbranch_scc0 .LBB5638_49
; %bb.23:
	v_add_co_u32_e64 v1, s[4:5], v4, v2
	v_addc_co_u32_e64 v14, s[4:5], v5, v3, s[4:5]
	v_add_co_u32_e64 v1, s[4:5], v1, v10
	v_addc_co_u32_e64 v14, s[4:5], v14, v11, s[4:5]
	v_add_co_u32_e64 v1, s[4:5], v1, v12
	v_addc_co_u32_e64 v14, s[4:5], v14, v13, s[4:5]
	v_add_co_u32_e64 v1, s[4:5], v1, v6
	v_addc_co_u32_e64 v14, s[4:5], v14, v7, s[4:5]
	v_add_co_u32_e64 v1, s[4:5], v1, v8
	v_addc_co_u32_e64 v14, s[4:5], v14, v9, s[4:5]
	v_add_co_u32_e64 v18, s[4:5], v1, v28
	v_addc_co_u32_e64 v19, s[4:5], v14, v29, s[4:5]
	v_add_lshl_u32 v1, v37, v0, 3
	ds_write_b64 v1, v[18:19]
	s_waitcnt lgkmcnt(0)
	s_barrier
	s_and_saveexec_b64 s[8:9], vcc
	s_cbranch_execz .LBB5638_27
; %bb.24:
	v_lshlrev_b32_e32 v1, 1, v0
	v_lshrrev_b32_e32 v14, 4, v0
	v_add_lshl_u32 v20, v14, v1, 3
	ds_read2_b64 v[14:17], v20 offset1:1
	v_mbcnt_lo_u32_b32 v1, -1, 0
	s_waitcnt lgkmcnt(0)
	v_add_co_u32_e64 v21, s[4:5], v16, v14
	v_addc_co_u32_e64 v22, s[4:5], v17, v15, s[4:5]
	s_nop 0
	v_mov_b32_dpp v16, v21 row_shr:1 row_mask:0xf bank_mask:0xf
	v_add_co_u32_e64 v16, s[4:5], v21, v16
	v_addc_co_u32_e64 v24, s[4:5], 0, v22, s[4:5]
	v_mbcnt_hi_u32_b32 v17, -1, v1
	v_mov_b32_dpp v23, v22 row_shr:1 row_mask:0xf bank_mask:0xf
	v_add_co_u32_e64 v25, s[4:5], 0, v16
	v_and_b32_e32 v1, 15, v17
	v_addc_co_u32_e64 v23, s[4:5], v23, v24, s[4:5]
	v_cmp_eq_u32_e64 s[4:5], 0, v1
	v_cndmask_b32_e64 v16, v16, v21, s[4:5]
	v_cndmask_b32_e64 v23, v23, v22, s[4:5]
	v_cndmask_b32_e64 v24, v25, v21, s[4:5]
	v_mov_b32_dpp v25, v16 row_shr:2 row_mask:0xf bank_mask:0xf
	v_mov_b32_dpp v26, v23 row_shr:2 row_mask:0xf bank_mask:0xf
	v_add_co_u32_e64 v25, s[4:5], v25, v24
	v_addc_co_u32_e64 v26, s[4:5], v26, v23, s[4:5]
	v_cmp_lt_u32_e64 s[4:5], 1, v1
	v_cndmask_b32_e64 v16, v16, v25, s[4:5]
	v_cndmask_b32_e64 v23, v23, v26, s[4:5]
	v_cndmask_b32_e64 v24, v24, v25, s[4:5]
	v_mov_b32_dpp v25, v16 row_shr:4 row_mask:0xf bank_mask:0xf
	v_mov_b32_dpp v26, v23 row_shr:4 row_mask:0xf bank_mask:0xf
	v_add_co_u32_e64 v25, s[4:5], v25, v24
	v_addc_co_u32_e64 v26, s[4:5], v26, v23, s[4:5]
	v_cmp_lt_u32_e64 s[4:5], 3, v1
	;; [unrolled: 8-line block ×3, first 2 shown]
	v_cndmask_b32_e64 v27, v16, v25, s[4:5]
	v_cndmask_b32_e64 v1, v23, v26, s[4:5]
	;; [unrolled: 1-line block ×3, first 2 shown]
	v_mov_b32_dpp v23, v27 row_bcast:15 row_mask:0xf bank_mask:0xf
	v_mov_b32_dpp v24, v1 row_bcast:15 row_mask:0xf bank_mask:0xf
	v_add_co_u32_e64 v23, s[4:5], v23, v16
	v_and_b32_e32 v26, 16, v17
	v_addc_co_u32_e64 v25, s[4:5], v24, v1, s[4:5]
	v_cmp_eq_u32_e64 s[4:5], 0, v26
	v_cndmask_b32_e64 v26, v25, v1, s[4:5]
	v_cndmask_b32_e64 v24, v23, v27, s[4:5]
	v_cmp_ne_u32_e64 s[6:7], 0, v17
	v_mov_b32_dpp v26, v26 row_bcast:31 row_mask:0xf bank_mask:0xf
	v_mov_b32_dpp v24, v24 row_bcast:31 row_mask:0xf bank_mask:0xf
	s_and_saveexec_b64 s[22:23], s[6:7]
; %bb.25:
	v_cndmask_b32_e64 v1, v25, v1, s[4:5]
	v_cndmask_b32_e64 v16, v23, v16, s[4:5]
	v_cmp_lt_u32_e64 s[4:5], 31, v17
	v_cndmask_b32_e64 v21, 0, v24, s[4:5]
	v_cndmask_b32_e64 v22, 0, v26, s[4:5]
	v_add_co_u32_e64 v21, s[4:5], v21, v16
	v_addc_co_u32_e64 v22, s[4:5], v22, v1, s[4:5]
; %bb.26:
	s_or_b64 exec, exec, s[22:23]
	v_add_u32_e32 v1, -1, v17
	v_and_b32_e32 v16, 64, v17
	v_cmp_lt_i32_e64 s[4:5], v1, v16
	v_cndmask_b32_e64 v1, v1, v17, s[4:5]
	v_lshlrev_b32_e32 v1, 2, v1
	ds_bpermute_b32 v16, v1, v21
	ds_bpermute_b32 v1, v1, v22
	; wave barrier
	s_waitcnt lgkmcnt(1)
	v_add_co_u32_e64 v14, s[4:5], v14, v16
	v_addc_co_u32_e64 v15, s[4:5], 0, v15, s[4:5]
	v_add_co_u32_e64 v14, s[4:5], 0, v14
	s_waitcnt lgkmcnt(0)
	v_addc_co_u32_e64 v1, s[4:5], v15, v1, s[4:5]
	v_cndmask_b32_e64 v15, v1, v19, s[2:3]
	v_cndmask_b32_e64 v14, v14, v18, s[2:3]
	ds_write_b64 v20, v[14:15]
	; wave barrier
	ds_read_b64 v[16:17], v20 offset:8
	s_waitcnt lgkmcnt(0)
	v_add_co_u32_e64 v14, s[4:5], v16, v14
	v_addc_co_u32_e64 v15, s[4:5], v17, v15, s[4:5]
	ds_write_b64 v20, v[14:15] offset:8
.LBB5638_27:
	s_or_b64 exec, exec, s[8:9]
	v_pk_mov_b32 v[22:23], 0, 0
	s_waitcnt lgkmcnt(0)
	s_barrier
	s_and_saveexec_b64 s[4:5], s[0:1]
	s_cbranch_execz .LBB5638_29
; %bb.28:
	v_add_u32_e32 v1, -1, v0
	v_lshrrev_b32_e32 v14, 5, v1
	v_add_lshl_u32 v1, v14, v1, 3
	ds_read_b64 v[22:23], v1
.LBB5638_29:
	s_or_b64 exec, exec, s[4:5]
	s_and_saveexec_b64 s[22:23], vcc
	s_cbranch_execz .LBB5638_48
; %bb.30:
	v_mov_b32_e32 v17, 0
	ds_read_b64 v[14:15], v17 offset:1040
	v_mbcnt_lo_u32_b32 v1, -1, 0
	v_mbcnt_hi_u32_b32 v30, -1, v1
	s_mov_b32 s9, 0
	v_cmp_eq_u32_e64 s[4:5], 0, v30
	s_and_saveexec_b64 s[6:7], s[4:5]
	s_cbranch_execz .LBB5638_32
; %bb.31:
	s_add_i32 s8, s26, 64
	s_lshl_b64 s[8:9], s[8:9], 4
	s_add_u32 s8, s20, s8
	s_addc_u32 s9, s21, s9
	v_mov_b32_e32 v16, 1
	v_pk_mov_b32 v[18:19], s[8:9], s[8:9] op_sel:[0,1]
	s_waitcnt lgkmcnt(0)
	;;#ASMSTART
	global_store_dwordx4 v[18:19], v[14:17] off	
s_waitcnt vmcnt(0)
	;;#ASMEND
.LBB5638_32:
	s_or_b64 exec, exec, s[6:7]
	v_xad_u32 v24, v30, -1, s26
	v_add_u32_e32 v16, 64, v24
	v_lshlrev_b64 v[18:19], 4, v[16:17]
	v_mov_b32_e32 v1, s21
	v_add_co_u32_e32 v26, vcc, s20, v18
	v_addc_co_u32_e32 v27, vcc, v1, v19, vcc
	;;#ASMSTART
	global_load_dwordx4 v[18:21], v[26:27] off glc	
s_waitcnt vmcnt(0)
	;;#ASMEND
	v_and_b32_e32 v1, 0xff, v19
	v_and_b32_e32 v16, 0xff00, v19
	v_or3_b32 v1, 0, v1, v16
	v_or3_b32 v16, v18, 0, 0
	v_and_b32_e32 v18, 0xff000000, v19
	v_and_b32_e32 v19, 0xff0000, v19
	v_or3_b32 v19, v1, v19, v18
	v_or3_b32 v18, v16, 0, 0
	v_cmp_eq_u16_sdwa s[8:9], v20, v17 src0_sel:BYTE_0 src1_sel:DWORD
	s_and_saveexec_b64 s[6:7], s[8:9]
	s_cbranch_execz .LBB5638_36
; %bb.33:
	s_mov_b64 s[8:9], 0
	v_mov_b32_e32 v1, 0
.LBB5638_34:                            ; =>This Inner Loop Header: Depth=1
	;;#ASMSTART
	global_load_dwordx4 v[18:21], v[26:27] off glc	
s_waitcnt vmcnt(0)
	;;#ASMEND
	v_cmp_ne_u16_sdwa s[28:29], v20, v1 src0_sel:BYTE_0 src1_sel:DWORD
	s_or_b64 s[8:9], s[28:29], s[8:9]
	s_andn2_b64 exec, exec, s[8:9]
	s_cbranch_execnz .LBB5638_34
; %bb.35:
	s_or_b64 exec, exec, s[8:9]
.LBB5638_36:
	s_or_b64 exec, exec, s[6:7]
	v_and_b32_e32 v32, 63, v30
	v_cmp_ne_u32_e32 vcc, 63, v32
	v_addc_co_u32_e32 v26, vcc, 0, v30, vcc
	v_lshlrev_b32_e32 v33, 2, v26
	ds_bpermute_b32 v26, v33, v18
	v_mov_b32_e32 v1, 2
	v_cmp_eq_u16_sdwa s[6:7], v20, v1 src0_sel:BYTE_0 src1_sel:DWORD
	v_lshlrev_b64 v[16:17], v30, -1
	ds_bpermute_b32 v27, v33, v19
	v_and_b32_e32 v21, s7, v17
	v_or_b32_e32 v21, 0x80000000, v21
	s_waitcnt lgkmcnt(1)
	v_add_co_u32_e32 v26, vcc, v18, v26
	v_and_b32_e32 v25, s6, v16
	v_ffbl_b32_e32 v21, v21
	v_addc_co_u32_e32 v31, vcc, 0, v19, vcc
	v_add_u32_e32 v21, 32, v21
	v_ffbl_b32_e32 v25, v25
	v_add_co_u32_e32 v35, vcc, 0, v26
	v_cmp_gt_u32_e64 s[6:7], 62, v32
	v_min_u32_e32 v21, v25, v21
	s_waitcnt lgkmcnt(0)
	v_addc_co_u32_e32 v27, vcc, v27, v31, vcc
	v_cndmask_b32_e64 v31, 0, 1, s[6:7]
	v_cmp_lt_u32_e32 vcc, v32, v21
	v_lshlrev_b32_e32 v31, 1, v31
	v_cndmask_b32_e32 v26, v18, v26, vcc
	v_add_lshl_u32 v34, v31, v30, 2
	v_cndmask_b32_e32 v27, v19, v27, vcc
	ds_bpermute_b32 v31, v34, v26
	ds_bpermute_b32 v38, v34, v27
	v_cndmask_b32_e32 v39, v18, v35, vcc
	v_add_u32_e32 v35, 2, v32
	v_cmp_gt_u32_e64 s[8:9], 60, v32
	s_waitcnt lgkmcnt(1)
	v_add_co_u32_e64 v31, s[6:7], v31, v39
	s_waitcnt lgkmcnt(0)
	v_addc_co_u32_e64 v38, s[6:7], v38, v27, s[6:7]
	v_cmp_gt_u32_e64 s[6:7], v35, v21
	v_cndmask_b32_e64 v27, v38, v27, s[6:7]
	v_cndmask_b32_e64 v38, 0, 1, s[8:9]
	v_lshlrev_b32_e32 v38, 2, v38
	v_cndmask_b32_e64 v26, v31, v26, s[6:7]
	v_add_lshl_u32 v38, v38, v30, 2
	ds_bpermute_b32 v40, v38, v26
	ds_bpermute_b32 v41, v38, v27
	v_cndmask_b32_e64 v31, v31, v39, s[6:7]
	v_add_u32_e32 v39, 4, v32
	v_cmp_gt_u32_e64 s[8:9], 56, v32
	s_waitcnt lgkmcnt(1)
	v_add_co_u32_e64 v42, s[6:7], v40, v31
	s_waitcnt lgkmcnt(0)
	v_addc_co_u32_e64 v40, s[6:7], v41, v27, s[6:7]
	v_cmp_gt_u32_e64 s[6:7], v39, v21
	v_cndmask_b32_e64 v27, v40, v27, s[6:7]
	v_cndmask_b32_e64 v40, 0, 1, s[8:9]
	v_lshlrev_b32_e32 v40, 3, v40
	v_cndmask_b32_e64 v26, v42, v26, s[6:7]
	v_add_lshl_u32 v40, v40, v30, 2
	ds_bpermute_b32 v43, v40, v26
	v_cndmask_b32_e64 v31, v42, v31, s[6:7]
	ds_bpermute_b32 v42, v40, v27
	v_add_u32_e32 v41, 8, v32
	v_cmp_gt_u32_e64 s[8:9], 48, v32
	s_waitcnt lgkmcnt(1)
	v_add_co_u32_e64 v43, s[6:7], v43, v31
	s_waitcnt lgkmcnt(0)
	v_addc_co_u32_e64 v42, s[6:7], v42, v27, s[6:7]
	v_cmp_gt_u32_e64 s[6:7], v41, v21
	v_cndmask_b32_e64 v27, v42, v27, s[6:7]
	v_cndmask_b32_e64 v42, 0, 1, s[8:9]
	v_lshlrev_b32_e32 v42, 4, v42
	v_cndmask_b32_e64 v26, v43, v26, s[6:7]
	v_add_lshl_u32 v42, v42, v30, 2
	ds_bpermute_b32 v44, v42, v26
	ds_bpermute_b32 v45, v42, v27
	v_cndmask_b32_e64 v31, v43, v31, s[6:7]
	v_cmp_gt_u32_e64 s[8:9], 32, v32
	v_add_u32_e32 v43, 16, v32
	s_waitcnt lgkmcnt(1)
	v_add_co_u32_e64 v46, s[6:7], v44, v31
	s_waitcnt lgkmcnt(0)
	v_addc_co_u32_e64 v45, s[6:7], v45, v27, s[6:7]
	v_cndmask_b32_e64 v44, 0, 1, s[8:9]
	v_cmp_gt_u32_e64 s[6:7], v43, v21
	v_lshlrev_b32_e32 v44, 5, v44
	v_cndmask_b32_e64 v26, v46, v26, s[6:7]
	v_add_lshl_u32 v44, v44, v30, 2
	v_cndmask_b32_e64 v27, v45, v27, s[6:7]
	ds_bpermute_b32 v26, v44, v26
	ds_bpermute_b32 v30, v44, v27
	v_add_u32_e32 v45, 32, v32
	v_cndmask_b32_e64 v31, v46, v31, s[6:7]
	v_cmp_le_u32_e64 s[6:7], v45, v21
	s_waitcnt lgkmcnt(1)
	v_cndmask_b32_e64 v26, 0, v26, s[6:7]
	s_waitcnt lgkmcnt(0)
	v_cndmask_b32_e64 v21, 0, v30, s[6:7]
	v_add_co_u32_e64 v26, s[6:7], v26, v31
	v_addc_co_u32_e64 v21, s[6:7], v21, v27, s[6:7]
	v_mov_b32_e32 v25, 0
	v_cndmask_b32_e32 v19, v19, v21, vcc
	v_cndmask_b32_e32 v18, v18, v26, vcc
	s_branch .LBB5638_38
.LBB5638_37:                            ;   in Loop: Header=BB5638_38 Depth=1
	s_or_b64 exec, exec, s[6:7]
	v_cmp_eq_u16_sdwa s[6:7], v20, v1 src0_sel:BYTE_0 src1_sel:DWORD
	v_and_b32_e32 v21, s7, v17
	v_or_b32_e32 v21, 0x80000000, v21
	ds_bpermute_b32 v31, v33, v18
	v_and_b32_e32 v30, s6, v16
	v_ffbl_b32_e32 v21, v21
	v_add_u32_e32 v21, 32, v21
	v_ffbl_b32_e32 v30, v30
	v_min_u32_e32 v21, v30, v21
	ds_bpermute_b32 v30, v33, v19
	s_waitcnt lgkmcnt(1)
	v_add_co_u32_e32 v31, vcc, v18, v31
	v_addc_co_u32_e32 v46, vcc, 0, v19, vcc
	v_add_co_u32_e32 v47, vcc, 0, v31
	s_waitcnt lgkmcnt(0)
	v_addc_co_u32_e32 v30, vcc, v30, v46, vcc
	v_cmp_lt_u32_e32 vcc, v32, v21
	v_cndmask_b32_e32 v31, v18, v31, vcc
	ds_bpermute_b32 v46, v34, v31
	v_cndmask_b32_e32 v30, v19, v30, vcc
	ds_bpermute_b32 v48, v34, v30
	v_cndmask_b32_e32 v47, v18, v47, vcc
	v_subrev_u32_e32 v24, 64, v24
	s_waitcnt lgkmcnt(1)
	v_add_co_u32_e64 v46, s[6:7], v46, v47
	s_waitcnt lgkmcnt(0)
	v_addc_co_u32_e64 v48, s[6:7], v48, v30, s[6:7]
	v_cmp_gt_u32_e64 s[6:7], v35, v21
	v_cndmask_b32_e64 v31, v46, v31, s[6:7]
	ds_bpermute_b32 v49, v38, v31
	v_cndmask_b32_e64 v30, v48, v30, s[6:7]
	ds_bpermute_b32 v48, v38, v30
	v_cndmask_b32_e64 v46, v46, v47, s[6:7]
	s_waitcnt lgkmcnt(1)
	v_add_co_u32_e64 v47, s[6:7], v49, v46
	s_waitcnt lgkmcnt(0)
	v_addc_co_u32_e64 v48, s[6:7], v48, v30, s[6:7]
	v_cmp_gt_u32_e64 s[6:7], v39, v21
	v_cndmask_b32_e64 v31, v47, v31, s[6:7]
	ds_bpermute_b32 v49, v40, v31
	v_cndmask_b32_e64 v30, v48, v30, s[6:7]
	ds_bpermute_b32 v48, v40, v30
	v_cndmask_b32_e64 v46, v47, v46, s[6:7]
	;; [unrolled: 10-line block ×3, first 2 shown]
	s_waitcnt lgkmcnt(1)
	v_add_co_u32_e64 v47, s[6:7], v49, v46
	s_waitcnt lgkmcnt(0)
	v_addc_co_u32_e64 v48, s[6:7], v48, v30, s[6:7]
	v_cmp_gt_u32_e64 s[6:7], v43, v21
	v_cndmask_b32_e64 v31, v47, v31, s[6:7]
	v_cndmask_b32_e64 v30, v48, v30, s[6:7]
	ds_bpermute_b32 v31, v44, v31
	ds_bpermute_b32 v48, v44, v30
	v_cndmask_b32_e64 v46, v47, v46, s[6:7]
	v_cmp_le_u32_e64 s[6:7], v45, v21
	s_waitcnt lgkmcnt(1)
	v_cndmask_b32_e64 v31, 0, v31, s[6:7]
	s_waitcnt lgkmcnt(0)
	v_cndmask_b32_e64 v21, 0, v48, s[6:7]
	v_add_co_u32_e64 v31, s[6:7], v31, v46
	v_addc_co_u32_e64 v21, s[6:7], v21, v30, s[6:7]
	v_cndmask_b32_e32 v18, v18, v31, vcc
	v_cndmask_b32_e32 v19, v19, v21, vcc
	v_add_co_u32_e32 v18, vcc, v18, v26
	v_addc_co_u32_e32 v19, vcc, v19, v27, vcc
.LBB5638_38:                            ; =>This Loop Header: Depth=1
                                        ;     Child Loop BB5638_41 Depth 2
	v_cmp_ne_u16_sdwa s[6:7], v20, v1 src0_sel:BYTE_0 src1_sel:DWORD
	v_cndmask_b32_e64 v20, 0, 1, s[6:7]
	;;#ASMSTART
	;;#ASMEND
	v_cmp_ne_u32_e32 vcc, 0, v20
	s_cmp_lg_u64 vcc, exec
	v_pk_mov_b32 v[26:27], v[18:19], v[18:19] op_sel:[0,1]
	s_cbranch_scc1 .LBB5638_43
; %bb.39:                               ;   in Loop: Header=BB5638_38 Depth=1
	v_lshlrev_b64 v[18:19], 4, v[24:25]
	v_mov_b32_e32 v20, s21
	v_add_co_u32_e32 v30, vcc, s20, v18
	v_addc_co_u32_e32 v31, vcc, v20, v19, vcc
	;;#ASMSTART
	global_load_dwordx4 v[18:21], v[30:31] off glc	
s_waitcnt vmcnt(0)
	;;#ASMEND
	v_and_b32_e32 v21, 0xff, v19
	v_and_b32_e32 v46, 0xff00, v19
	v_or3_b32 v21, 0, v21, v46
	v_or3_b32 v18, v18, 0, 0
	v_and_b32_e32 v46, 0xff000000, v19
	v_and_b32_e32 v19, 0xff0000, v19
	v_or3_b32 v19, v21, v19, v46
	v_or3_b32 v18, v18, 0, 0
	v_cmp_eq_u16_sdwa s[8:9], v20, v25 src0_sel:BYTE_0 src1_sel:DWORD
	s_and_saveexec_b64 s[6:7], s[8:9]
	s_cbranch_execz .LBB5638_37
; %bb.40:                               ;   in Loop: Header=BB5638_38 Depth=1
	s_mov_b64 s[8:9], 0
.LBB5638_41:                            ;   Parent Loop BB5638_38 Depth=1
                                        ; =>  This Inner Loop Header: Depth=2
	;;#ASMSTART
	global_load_dwordx4 v[18:21], v[30:31] off glc	
s_waitcnt vmcnt(0)
	;;#ASMEND
	v_cmp_ne_u16_sdwa s[28:29], v20, v25 src0_sel:BYTE_0 src1_sel:DWORD
	s_or_b64 s[8:9], s[28:29], s[8:9]
	s_andn2_b64 exec, exec, s[8:9]
	s_cbranch_execnz .LBB5638_41
; %bb.42:                               ;   in Loop: Header=BB5638_38 Depth=1
	s_or_b64 exec, exec, s[8:9]
	s_branch .LBB5638_37
.LBB5638_43:                            ;   in Loop: Header=BB5638_38 Depth=1
                                        ; implicit-def: $vgpr18_vgpr19
                                        ; implicit-def: $vgpr20
	s_cbranch_execz .LBB5638_38
; %bb.44:
	s_and_saveexec_b64 s[6:7], s[4:5]
	s_cbranch_execz .LBB5638_46
; %bb.45:
	s_add_i32 s4, s26, 64
	s_mov_b32 s5, 0
	s_lshl_b64 s[4:5], s[4:5], 4
	s_add_u32 s4, s20, s4
	v_add_co_u32_e32 v14, vcc, v26, v14
	s_addc_u32 s5, s21, s5
	v_addc_co_u32_e32 v15, vcc, v27, v15, vcc
	v_mov_b32_e32 v16, 2
	v_mov_b32_e32 v17, 0
	v_pk_mov_b32 v[18:19], s[4:5], s[4:5] op_sel:[0,1]
	;;#ASMSTART
	global_store_dwordx4 v[18:19], v[14:17] off	
s_waitcnt vmcnt(0)
	;;#ASMEND
.LBB5638_46:
	s_or_b64 exec, exec, s[6:7]
	s_and_b64 exec, exec, s[2:3]
	s_cbranch_execz .LBB5638_48
; %bb.47:
	v_mov_b32_e32 v1, 0
	ds_write_b64 v1, v[26:27]
.LBB5638_48:
	s_or_b64 exec, exec, s[22:23]
	v_mov_b32_e32 v1, 0
	s_waitcnt lgkmcnt(0)
	s_barrier
	ds_read_b64 v[14:15], v1
	v_add_co_u32_e32 v1, vcc, v22, v2
	v_addc_co_u32_e32 v16, vcc, v23, v3, vcc
	s_waitcnt lgkmcnt(0)
	v_add_co_u32_e32 v24, vcc, v1, v14
	v_addc_co_u32_e32 v25, vcc, v16, v15, vcc
	v_add_co_u32_e32 v30, vcc, v24, v4
	v_addc_co_u32_e32 v31, vcc, v25, v5, vcc
	;; [unrolled: 2-line block ×7, first 2 shown]
	s_branch .LBB5638_63
.LBB5638_49:
                                        ; implicit-def: $vgpr22_vgpr23
                                        ; implicit-def: $vgpr34_vgpr35
                                        ; implicit-def: $vgpr32_vgpr33
                                        ; implicit-def: $vgpr30_vgpr31
                                        ; implicit-def: $vgpr18_vgpr19_vgpr20_vgpr21
                                        ; implicit-def: $vgpr14_vgpr15_vgpr16_vgpr17
                                        ; implicit-def: $vgpr24_vgpr25_vgpr26_vgpr27
	s_cbranch_execz .LBB5638_63
; %bb.50:
	s_cmp_lg_u64 s[16:17], 0
	s_cselect_b64 s[4:5], -1, 0
	s_and_b64 s[6:7], s[2:3], s[4:5]
	s_and_saveexec_b64 s[4:5], s[6:7]
	s_cbranch_execz .LBB5638_52
; %bb.51:
	v_mov_b32_e32 v1, 0
	global_load_dwordx2 v[14:15], v1, s[12:13]
	s_waitcnt vmcnt(0)
	v_add_co_u32_e32 v2, vcc, v14, v2
	v_addc_co_u32_e32 v3, vcc, v15, v3, vcc
.LBB5638_52:
	s_or_b64 exec, exec, s[4:5]
	v_add_co_u32_e32 v30, vcc, v4, v2
	v_addc_co_u32_e32 v31, vcc, v5, v3, vcc
	v_add_co_u32_e32 v14, vcc, v30, v10
	v_addc_co_u32_e32 v15, vcc, v31, v11, vcc
	;; [unrolled: 2-line block ×6, first 2 shown]
	v_add_lshl_u32 v1, v37, v0, 3
	v_cmp_gt_u32_e32 vcc, 64, v0
	ds_write_b64 v1, v[22:23]
	s_waitcnt lgkmcnt(0)
	s_barrier
	s_and_saveexec_b64 s[6:7], vcc
	s_cbranch_execz .LBB5638_56
; %bb.53:
	v_lshlrev_b32_e32 v1, 1, v0
	v_lshrrev_b32_e32 v16, 4, v0
	v_add_lshl_u32 v17, v16, v1, 3
	ds_read2_b64 v[24:27], v17 offset1:1
	v_mbcnt_lo_u32_b32 v1, -1, 0
	v_mbcnt_hi_u32_b32 v20, -1, v1
	v_and_b32_e32 v1, 15, v20
	v_cmp_ne_u32_e64 s[4:5], 0, v20
	s_waitcnt lgkmcnt(0)
	v_add_co_u32_e32 v21, vcc, v26, v24
	v_addc_co_u32_e32 v26, vcc, v27, v25, vcc
	s_nop 0
	v_mov_b32_dpp v16, v21 row_shr:1 row_mask:0xf bank_mask:0xf
	v_add_co_u32_e32 v16, vcc, v21, v16
	v_addc_co_u32_e32 v37, vcc, 0, v26, vcc
	v_mov_b32_dpp v27, v26 row_shr:1 row_mask:0xf bank_mask:0xf
	v_add_co_u32_e32 v38, vcc, 0, v16
	v_addc_co_u32_e32 v27, vcc, v27, v37, vcc
	v_cmp_eq_u32_e32 vcc, 0, v1
	v_cndmask_b32_e32 v16, v16, v21, vcc
	v_cndmask_b32_e32 v27, v27, v26, vcc
	v_cndmask_b32_e32 v37, v38, v21, vcc
	v_mov_b32_dpp v38, v16 row_shr:2 row_mask:0xf bank_mask:0xf
	v_mov_b32_dpp v39, v27 row_shr:2 row_mask:0xf bank_mask:0xf
	v_add_co_u32_e32 v38, vcc, v38, v37
	v_addc_co_u32_e32 v39, vcc, v39, v27, vcc
	v_cmp_lt_u32_e32 vcc, 1, v1
	v_cndmask_b32_e32 v16, v16, v38, vcc
	v_cndmask_b32_e32 v27, v27, v39, vcc
	v_cndmask_b32_e32 v37, v37, v38, vcc
	v_mov_b32_dpp v38, v16 row_shr:4 row_mask:0xf bank_mask:0xf
	v_mov_b32_dpp v39, v27 row_shr:4 row_mask:0xf bank_mask:0xf
	v_add_co_u32_e32 v38, vcc, v38, v37
	v_addc_co_u32_e32 v39, vcc, v39, v27, vcc
	v_cmp_lt_u32_e32 vcc, 3, v1
	;; [unrolled: 8-line block ×3, first 2 shown]
	v_cndmask_b32_e32 v40, v16, v38, vcc
	v_cndmask_b32_e32 v1, v27, v39, vcc
	;; [unrolled: 1-line block ×3, first 2 shown]
	v_mov_b32_dpp v27, v40 row_bcast:15 row_mask:0xf bank_mask:0xf
	v_mov_b32_dpp v37, v1 row_bcast:15 row_mask:0xf bank_mask:0xf
	v_add_co_u32_e32 v27, vcc, v27, v16
	v_and_b32_e32 v39, 16, v20
	v_addc_co_u32_e32 v38, vcc, v37, v1, vcc
	v_cmp_eq_u32_e32 vcc, 0, v39
	v_cndmask_b32_e32 v39, v38, v1, vcc
	v_cndmask_b32_e32 v37, v27, v40, vcc
	s_nop 0
	v_mov_b32_dpp v39, v39 row_bcast:31 row_mask:0xf bank_mask:0xf
	v_mov_b32_dpp v37, v37 row_bcast:31 row_mask:0xf bank_mask:0xf
	s_and_saveexec_b64 s[8:9], s[4:5]
; %bb.54:
	v_cndmask_b32_e32 v1, v38, v1, vcc
	v_cndmask_b32_e32 v16, v27, v16, vcc
	v_cmp_lt_u32_e32 vcc, 31, v20
	v_cndmask_b32_e32 v21, 0, v37, vcc
	v_cndmask_b32_e32 v26, 0, v39, vcc
	v_add_co_u32_e32 v21, vcc, v21, v16
	v_addc_co_u32_e32 v26, vcc, v26, v1, vcc
; %bb.55:
	s_or_b64 exec, exec, s[8:9]
	v_add_u32_e32 v1, -1, v20
	v_and_b32_e32 v16, 64, v20
	v_cmp_lt_i32_e32 vcc, v1, v16
	v_cndmask_b32_e32 v1, v1, v20, vcc
	v_lshlrev_b32_e32 v1, 2, v1
	ds_bpermute_b32 v16, v1, v21
	ds_bpermute_b32 v1, v1, v26
	; wave barrier
	s_waitcnt lgkmcnt(1)
	v_add_co_u32_e32 v16, vcc, v24, v16
	v_addc_co_u32_e32 v20, vcc, 0, v25, vcc
	v_add_co_u32_e32 v16, vcc, 0, v16
	s_waitcnt lgkmcnt(0)
	v_addc_co_u32_e32 v1, vcc, v20, v1, vcc
	v_cndmask_b32_e64 v21, v1, v23, s[2:3]
	v_cndmask_b32_e64 v20, v16, v22, s[2:3]
	ds_write_b64 v17, v[20:21]
	; wave barrier
	ds_read_b64 v[24:25], v17 offset:8
	s_waitcnt lgkmcnt(0)
	v_add_co_u32_e32 v20, vcc, v24, v20
	v_addc_co_u32_e32 v21, vcc, v25, v21, vcc
	ds_write_b64 v17, v[20:21] offset:8
.LBB5638_56:
	s_or_b64 exec, exec, s[6:7]
	v_pk_mov_b32 v[16:17], v[22:23], v[22:23] op_sel:[0,1]
	s_waitcnt lgkmcnt(0)
	s_barrier
	s_and_saveexec_b64 s[2:3], s[0:1]
	s_cbranch_execz .LBB5638_58
; %bb.57:
	v_add_u32_e32 v1, -1, v0
	v_lshrrev_b32_e32 v16, 5, v1
	v_add_lshl_u32 v1, v16, v1, 3
	ds_read_b64 v[16:17], v1
.LBB5638_58:
	s_or_b64 exec, exec, s[2:3]
	s_and_saveexec_b64 s[2:3], s[0:1]
	s_cbranch_execz .LBB5638_60
; %bb.59:
	s_waitcnt lgkmcnt(0)
	v_add_co_u32_e32 v2, vcc, v16, v2
	v_addc_co_u32_e32 v3, vcc, v17, v3, vcc
	v_add_co_u32_e32 v30, vcc, v2, v4
	v_addc_co_u32_e32 v31, vcc, v3, v5, vcc
	;; [unrolled: 2-line block ×7, first 2 shown]
	;;#ASMSTART
	;;#ASMEND
.LBB5638_60:
	s_or_b64 exec, exec, s[2:3]
	s_movk_i32 s0, 0x7f
	v_cmp_eq_u32_e32 vcc, s0, v0
	s_and_saveexec_b64 s[0:1], vcc
	s_cbranch_execz .LBB5638_62
; %bb.61:
	s_add_u32 s2, s20, 0x400
	s_addc_u32 s3, s21, 0
	v_mov_b32_e32 v24, 2
	v_mov_b32_e32 v25, 0
	v_pk_mov_b32 v[4:5], s[2:3], s[2:3] op_sel:[0,1]
	;;#ASMSTART
	global_store_dwordx4 v[4:5], v[22:25] off	
s_waitcnt vmcnt(0)
	;;#ASMEND
.LBB5638_62:
	s_or_b64 exec, exec, s[0:1]
	v_pk_mov_b32 v[24:25], v[2:3], v[2:3] op_sel:[0,1]
.LBB5638_63:
	v_mul_u32_u24_e32 v2, 56, v0
	s_mov_b64 s[0:1], -1
	s_and_b64 vcc, exec, s[10:11]
	s_waitcnt lgkmcnt(0)
	s_barrier
	ds_write2_b64 v2, v[24:25], v[30:31] offset1:1
	ds_write2_b64 v2, v[14:15], v[32:33] offset0:2 offset1:3
	ds_write2_b64 v2, v[18:19], v[34:35] offset0:4 offset1:5
	ds_write_b64 v2, v[22:23] offset:48
	s_waitcnt lgkmcnt(0)
	s_cbranch_vccz .LBB5638_65
; %bb.64:
	s_barrier
	s_mov_b64 s[0:1], 0
.LBB5638_65:
	s_andn2_b64 vcc, exec, s[0:1]
	s_cbranch_vccnz .LBB5638_90
; %bb.66:
	v_cmp_lt_u64_e64 s[0:1], s[18:19], 2
	s_and_b64 vcc, exec, s[0:1]
	s_barrier
	s_cbranch_vccnz .LBB5638_90
; %bb.67:
	s_add_u32 s0, s24, -1
	s_addc_u32 s1, s25, -1
	s_add_u32 s2, 0, 0x92481000
	s_addc_u32 s3, 0, 0x64
	s_add_i32 s3, s3, 0x249248c0
	s_mul_hi_u32 s7, s2, -7
	s_sub_i32 s7, s7, s2
	s_mul_i32 s8, s3, -7
	s_mul_i32 s4, s2, -7
	s_add_i32 s7, s7, s8
	s_mul_hi_u32 s5, s3, s4
	s_mul_i32 s6, s3, s4
	s_mul_i32 s9, s2, s7
	s_mul_hi_u32 s4, s2, s4
	s_mul_hi_u32 s8, s2, s7
	s_add_u32 s4, s4, s9
	s_addc_u32 s8, 0, s8
	s_add_u32 s4, s4, s6
	s_mul_hi_u32 s9, s3, s7
	s_addc_u32 s4, s8, s5
	s_addc_u32 s5, s9, 0
	s_mul_i32 s6, s3, s7
	s_add_u32 s4, s4, s6
	v_mov_b32_e32 v3, s4
	s_addc_u32 s5, 0, s5
	v_add_co_u32_e32 v3, vcc, s2, v3
	s_cmp_lg_u64 vcc, 0
	s_addc_u32 s2, s3, s5
	v_readfirstlane_b32 s5, v3
	s_mul_i32 s4, s0, s2
	s_mul_hi_u32 s6, s0, s5
	s_mul_hi_u32 s3, s0, s2
	s_add_u32 s4, s6, s4
	s_addc_u32 s3, 0, s3
	s_mul_hi_u32 s7, s1, s5
	s_mul_i32 s5, s1, s5
	s_add_u32 s4, s4, s5
	s_mul_hi_u32 s6, s1, s2
	s_addc_u32 s3, s3, s7
	s_addc_u32 s4, s6, 0
	s_mul_i32 s2, s1, s2
	s_add_u32 s2, s3, s2
	s_addc_u32 s3, 0, s4
	s_add_u32 s4, s2, 1
	s_addc_u32 s5, s3, 0
	s_add_u32 s6, s2, 2
	s_mul_i32 s8, s3, 7
	s_mul_hi_u32 s9, s2, 7
	s_addc_u32 s7, s3, 0
	s_add_i32 s9, s9, s8
	s_mul_i32 s8, s2, 7
	v_mov_b32_e32 v3, s8
	v_sub_co_u32_e32 v3, vcc, s0, v3
	s_cmp_lg_u64 vcc, 0
	s_subb_u32 s8, s1, s9
	v_subrev_co_u32_e32 v4, vcc, 7, v3
	s_cmp_lg_u64 vcc, 0
	s_subb_u32 s9, s8, 0
	v_readfirstlane_b32 s10, v4
	s_cmp_gt_u32 s10, 6
	s_cselect_b32 s10, -1, 0
	s_cmp_eq_u32 s9, 0
	s_cselect_b32 s9, s10, -1
	s_cmp_lg_u32 s9, 0
	s_cselect_b32 s4, s6, s4
	v_readfirstlane_b32 s6, v3
	s_cselect_b32 s5, s7, s5
	s_cmp_gt_u32 s6, 6
	s_cselect_b32 s6, -1, 0
	s_cmp_eq_u32 s8, 0
	s_cselect_b32 s6, s6, -1
	s_cmp_lg_u32 s6, 0
	v_mov_b32_e32 v1, 0
	s_cselect_b32 s3, s5, s3
	s_cselect_b32 s2, s4, s2
	v_cmp_eq_u64_e32 vcc, s[2:3], v[0:1]
	s_and_saveexec_b64 s[2:3], vcc
	s_cbranch_execz .LBB5638_90
; %bb.68:
	s_movk_i32 s2, 0xffd0
	v_mad_i32_i24 v2, v0, s2, v2
	v_mul_hi_u32_u24_e32 v1, 7, v0
	v_mov_b32_e32 v3, s1
	v_sub_co_u32_e32 v0, vcc, s0, v36
	v_subb_co_u32_e32 v1, vcc, v3, v1, vcc
	v_cmp_lt_i64_e32 vcc, 3, v[0:1]
	s_and_saveexec_b64 s[0:1], vcc
	s_xor_b64 s[0:1], exec, s[0:1]
	s_cbranch_execz .LBB5638_78
; %bb.69:
	v_cmp_lt_i64_e32 vcc, 4, v[0:1]
	s_and_saveexec_b64 s[2:3], vcc
	s_xor_b64 s[2:3], exec, s[2:3]
	s_cbranch_execz .LBB5638_75
; %bb.70:
	;; [unrolled: 5-line block ×3, first 2 shown]
	ds_read_b64 v[0:1], v2 offset:6144
	v_mov_b32_e32 v2, 0
	s_waitcnt lgkmcnt(0)
	global_store_dwordx2 v2, v[0:1], s[14:15]
                                        ; implicit-def: $vgpr2
.LBB5638_72:
	s_andn2_saveexec_b64 s[4:5], s[4:5]
	s_cbranch_execz .LBB5638_74
; %bb.73:
	ds_read_b64 v[0:1], v2 offset:5120
	v_mov_b32_e32 v2, 0
	s_waitcnt lgkmcnt(0)
	global_store_dwordx2 v2, v[0:1], s[14:15]
.LBB5638_74:
	s_or_b64 exec, exec, s[4:5]
                                        ; implicit-def: $vgpr2
.LBB5638_75:
	s_andn2_saveexec_b64 s[2:3], s[2:3]
	s_cbranch_execz .LBB5638_77
; %bb.76:
	ds_read_b64 v[0:1], v2 offset:4096
	v_mov_b32_e32 v2, 0
	s_waitcnt lgkmcnt(0)
	global_store_dwordx2 v2, v[0:1], s[14:15]
.LBB5638_77:
	s_or_b64 exec, exec, s[2:3]
                                        ; implicit-def: $vgpr0_vgpr1
                                        ; implicit-def: $vgpr2
.LBB5638_78:
	s_andn2_saveexec_b64 s[0:1], s[0:1]
	s_cbranch_execz .LBB5638_90
; %bb.79:
	v_cmp_lt_i64_e32 vcc, 1, v[0:1]
	s_and_saveexec_b64 s[0:1], vcc
	s_xor_b64 s[0:1], exec, s[0:1]
	s_cbranch_execz .LBB5638_85
; %bb.80:
	v_cmp_lt_i64_e32 vcc, 2, v[0:1]
	s_and_saveexec_b64 s[2:3], vcc
	s_xor_b64 s[2:3], exec, s[2:3]
	s_cbranch_execz .LBB5638_82
; %bb.81:
	ds_read_b64 v[0:1], v2 offset:3072
	v_mov_b32_e32 v2, 0
	s_waitcnt lgkmcnt(0)
	global_store_dwordx2 v2, v[0:1], s[14:15]
                                        ; implicit-def: $vgpr2
.LBB5638_82:
	s_andn2_saveexec_b64 s[2:3], s[2:3]
	s_cbranch_execz .LBB5638_84
; %bb.83:
	ds_read_b64 v[0:1], v2 offset:2048
	v_mov_b32_e32 v2, 0
	s_waitcnt lgkmcnt(0)
	global_store_dwordx2 v2, v[0:1], s[14:15]
.LBB5638_84:
	s_or_b64 exec, exec, s[2:3]
                                        ; implicit-def: $vgpr2
                                        ; implicit-def: $vgpr0_vgpr1
.LBB5638_85:
	s_andn2_saveexec_b64 s[0:1], s[0:1]
	s_cbranch_execz .LBB5638_90
; %bb.86:
	v_cmp_ne_u64_e32 vcc, 1, v[0:1]
	s_and_saveexec_b64 s[0:1], vcc
	s_xor_b64 s[0:1], exec, s[0:1]
	s_cbranch_execz .LBB5638_88
; %bb.87:
	ds_read_b64 v[0:1], v2
	v_mov_b32_e32 v2, 0
	s_waitcnt lgkmcnt(0)
	global_store_dwordx2 v2, v[0:1], s[14:15]
                                        ; implicit-def: $vgpr2
.LBB5638_88:
	s_andn2_saveexec_b64 s[0:1], s[0:1]
	s_cbranch_execz .LBB5638_90
; %bb.89:
	ds_read_b64 v[0:1], v2 offset:1024
	v_mov_b32_e32 v2, 0
	s_waitcnt lgkmcnt(0)
	global_store_dwordx2 v2, v[0:1], s[14:15]
.LBB5638_90:
	s_endpgm
	.section	.rodata,"a",@progbits
	.p2align	6, 0x0
	.amdhsa_kernel _ZN7rocprim17ROCPRIM_400000_NS6detail17trampoline_kernelINS0_14default_configENS1_20scan_config_selectorIxEEZZNS1_9scan_implILNS1_25lookback_scan_determinismE0ELb0ELb0ES3_N6thrust23THRUST_200600_302600_NS6detail15normal_iteratorINS9_10device_ptrIxEEEENS9_16discard_iteratorINS9_11use_defaultEEExNS9_4plusIvEExEEDaPvRmT3_T4_T5_mT6_P12ihipStream_tbENKUlT_T0_E_clISt17integral_constantIbLb0EESW_IbLb1EEEEDaSS_ST_EUlSS_E_NS1_11comp_targetILNS1_3genE4ELNS1_11target_archE910ELNS1_3gpuE8ELNS1_3repE0EEENS1_30default_config_static_selectorELNS0_4arch9wavefront6targetE1EEEvT1_
		.amdhsa_group_segment_fixed_size 7168
		.amdhsa_private_segment_fixed_size 0
		.amdhsa_kernarg_size 112
		.amdhsa_user_sgpr_count 6
		.amdhsa_user_sgpr_private_segment_buffer 1
		.amdhsa_user_sgpr_dispatch_ptr 0
		.amdhsa_user_sgpr_queue_ptr 0
		.amdhsa_user_sgpr_kernarg_segment_ptr 1
		.amdhsa_user_sgpr_dispatch_id 0
		.amdhsa_user_sgpr_flat_scratch_init 0
		.amdhsa_user_sgpr_kernarg_preload_length 0
		.amdhsa_user_sgpr_kernarg_preload_offset 0
		.amdhsa_user_sgpr_private_segment_size 0
		.amdhsa_uses_dynamic_stack 0
		.amdhsa_system_sgpr_private_segment_wavefront_offset 0
		.amdhsa_system_sgpr_workgroup_id_x 1
		.amdhsa_system_sgpr_workgroup_id_y 0
		.amdhsa_system_sgpr_workgroup_id_z 0
		.amdhsa_system_sgpr_workgroup_info 0
		.amdhsa_system_vgpr_workitem_id 0
		.amdhsa_next_free_vgpr 50
		.amdhsa_next_free_sgpr 30
		.amdhsa_accum_offset 52
		.amdhsa_reserve_vcc 1
		.amdhsa_reserve_flat_scratch 0
		.amdhsa_float_round_mode_32 0
		.amdhsa_float_round_mode_16_64 0
		.amdhsa_float_denorm_mode_32 3
		.amdhsa_float_denorm_mode_16_64 3
		.amdhsa_dx10_clamp 1
		.amdhsa_ieee_mode 1
		.amdhsa_fp16_overflow 0
		.amdhsa_tg_split 0
		.amdhsa_exception_fp_ieee_invalid_op 0
		.amdhsa_exception_fp_denorm_src 0
		.amdhsa_exception_fp_ieee_div_zero 0
		.amdhsa_exception_fp_ieee_overflow 0
		.amdhsa_exception_fp_ieee_underflow 0
		.amdhsa_exception_fp_ieee_inexact 0
		.amdhsa_exception_int_div_zero 0
	.end_amdhsa_kernel
	.section	.text._ZN7rocprim17ROCPRIM_400000_NS6detail17trampoline_kernelINS0_14default_configENS1_20scan_config_selectorIxEEZZNS1_9scan_implILNS1_25lookback_scan_determinismE0ELb0ELb0ES3_N6thrust23THRUST_200600_302600_NS6detail15normal_iteratorINS9_10device_ptrIxEEEENS9_16discard_iteratorINS9_11use_defaultEEExNS9_4plusIvEExEEDaPvRmT3_T4_T5_mT6_P12ihipStream_tbENKUlT_T0_E_clISt17integral_constantIbLb0EESW_IbLb1EEEEDaSS_ST_EUlSS_E_NS1_11comp_targetILNS1_3genE4ELNS1_11target_archE910ELNS1_3gpuE8ELNS1_3repE0EEENS1_30default_config_static_selectorELNS0_4arch9wavefront6targetE1EEEvT1_,"axG",@progbits,_ZN7rocprim17ROCPRIM_400000_NS6detail17trampoline_kernelINS0_14default_configENS1_20scan_config_selectorIxEEZZNS1_9scan_implILNS1_25lookback_scan_determinismE0ELb0ELb0ES3_N6thrust23THRUST_200600_302600_NS6detail15normal_iteratorINS9_10device_ptrIxEEEENS9_16discard_iteratorINS9_11use_defaultEEExNS9_4plusIvEExEEDaPvRmT3_T4_T5_mT6_P12ihipStream_tbENKUlT_T0_E_clISt17integral_constantIbLb0EESW_IbLb1EEEEDaSS_ST_EUlSS_E_NS1_11comp_targetILNS1_3genE4ELNS1_11target_archE910ELNS1_3gpuE8ELNS1_3repE0EEENS1_30default_config_static_selectorELNS0_4arch9wavefront6targetE1EEEvT1_,comdat
.Lfunc_end5638:
	.size	_ZN7rocprim17ROCPRIM_400000_NS6detail17trampoline_kernelINS0_14default_configENS1_20scan_config_selectorIxEEZZNS1_9scan_implILNS1_25lookback_scan_determinismE0ELb0ELb0ES3_N6thrust23THRUST_200600_302600_NS6detail15normal_iteratorINS9_10device_ptrIxEEEENS9_16discard_iteratorINS9_11use_defaultEEExNS9_4plusIvEExEEDaPvRmT3_T4_T5_mT6_P12ihipStream_tbENKUlT_T0_E_clISt17integral_constantIbLb0EESW_IbLb1EEEEDaSS_ST_EUlSS_E_NS1_11comp_targetILNS1_3genE4ELNS1_11target_archE910ELNS1_3gpuE8ELNS1_3repE0EEENS1_30default_config_static_selectorELNS0_4arch9wavefront6targetE1EEEvT1_, .Lfunc_end5638-_ZN7rocprim17ROCPRIM_400000_NS6detail17trampoline_kernelINS0_14default_configENS1_20scan_config_selectorIxEEZZNS1_9scan_implILNS1_25lookback_scan_determinismE0ELb0ELb0ES3_N6thrust23THRUST_200600_302600_NS6detail15normal_iteratorINS9_10device_ptrIxEEEENS9_16discard_iteratorINS9_11use_defaultEEExNS9_4plusIvEExEEDaPvRmT3_T4_T5_mT6_P12ihipStream_tbENKUlT_T0_E_clISt17integral_constantIbLb0EESW_IbLb1EEEEDaSS_ST_EUlSS_E_NS1_11comp_targetILNS1_3genE4ELNS1_11target_archE910ELNS1_3gpuE8ELNS1_3repE0EEENS1_30default_config_static_selectorELNS0_4arch9wavefront6targetE1EEEvT1_
                                        ; -- End function
	.section	.AMDGPU.csdata,"",@progbits
; Kernel info:
; codeLenInByte = 5212
; NumSgprs: 34
; NumVgprs: 50
; NumAgprs: 0
; TotalNumVgprs: 50
; ScratchSize: 0
; MemoryBound: 0
; FloatMode: 240
; IeeeMode: 1
; LDSByteSize: 7168 bytes/workgroup (compile time only)
; SGPRBlocks: 4
; VGPRBlocks: 6
; NumSGPRsForWavesPerEU: 34
; NumVGPRsForWavesPerEU: 50
; AccumOffset: 52
; Occupancy: 5
; WaveLimiterHint : 1
; COMPUTE_PGM_RSRC2:SCRATCH_EN: 0
; COMPUTE_PGM_RSRC2:USER_SGPR: 6
; COMPUTE_PGM_RSRC2:TRAP_HANDLER: 0
; COMPUTE_PGM_RSRC2:TGID_X_EN: 1
; COMPUTE_PGM_RSRC2:TGID_Y_EN: 0
; COMPUTE_PGM_RSRC2:TGID_Z_EN: 0
; COMPUTE_PGM_RSRC2:TIDIG_COMP_CNT: 0
; COMPUTE_PGM_RSRC3_GFX90A:ACCUM_OFFSET: 12
; COMPUTE_PGM_RSRC3_GFX90A:TG_SPLIT: 0
	.section	.text._ZN7rocprim17ROCPRIM_400000_NS6detail17trampoline_kernelINS0_14default_configENS1_20scan_config_selectorIxEEZZNS1_9scan_implILNS1_25lookback_scan_determinismE0ELb0ELb0ES3_N6thrust23THRUST_200600_302600_NS6detail15normal_iteratorINS9_10device_ptrIxEEEENS9_16discard_iteratorINS9_11use_defaultEEExNS9_4plusIvEExEEDaPvRmT3_T4_T5_mT6_P12ihipStream_tbENKUlT_T0_E_clISt17integral_constantIbLb0EESW_IbLb1EEEEDaSS_ST_EUlSS_E_NS1_11comp_targetILNS1_3genE3ELNS1_11target_archE908ELNS1_3gpuE7ELNS1_3repE0EEENS1_30default_config_static_selectorELNS0_4arch9wavefront6targetE1EEEvT1_,"axG",@progbits,_ZN7rocprim17ROCPRIM_400000_NS6detail17trampoline_kernelINS0_14default_configENS1_20scan_config_selectorIxEEZZNS1_9scan_implILNS1_25lookback_scan_determinismE0ELb0ELb0ES3_N6thrust23THRUST_200600_302600_NS6detail15normal_iteratorINS9_10device_ptrIxEEEENS9_16discard_iteratorINS9_11use_defaultEEExNS9_4plusIvEExEEDaPvRmT3_T4_T5_mT6_P12ihipStream_tbENKUlT_T0_E_clISt17integral_constantIbLb0EESW_IbLb1EEEEDaSS_ST_EUlSS_E_NS1_11comp_targetILNS1_3genE3ELNS1_11target_archE908ELNS1_3gpuE7ELNS1_3repE0EEENS1_30default_config_static_selectorELNS0_4arch9wavefront6targetE1EEEvT1_,comdat
	.protected	_ZN7rocprim17ROCPRIM_400000_NS6detail17trampoline_kernelINS0_14default_configENS1_20scan_config_selectorIxEEZZNS1_9scan_implILNS1_25lookback_scan_determinismE0ELb0ELb0ES3_N6thrust23THRUST_200600_302600_NS6detail15normal_iteratorINS9_10device_ptrIxEEEENS9_16discard_iteratorINS9_11use_defaultEEExNS9_4plusIvEExEEDaPvRmT3_T4_T5_mT6_P12ihipStream_tbENKUlT_T0_E_clISt17integral_constantIbLb0EESW_IbLb1EEEEDaSS_ST_EUlSS_E_NS1_11comp_targetILNS1_3genE3ELNS1_11target_archE908ELNS1_3gpuE7ELNS1_3repE0EEENS1_30default_config_static_selectorELNS0_4arch9wavefront6targetE1EEEvT1_ ; -- Begin function _ZN7rocprim17ROCPRIM_400000_NS6detail17trampoline_kernelINS0_14default_configENS1_20scan_config_selectorIxEEZZNS1_9scan_implILNS1_25lookback_scan_determinismE0ELb0ELb0ES3_N6thrust23THRUST_200600_302600_NS6detail15normal_iteratorINS9_10device_ptrIxEEEENS9_16discard_iteratorINS9_11use_defaultEEExNS9_4plusIvEExEEDaPvRmT3_T4_T5_mT6_P12ihipStream_tbENKUlT_T0_E_clISt17integral_constantIbLb0EESW_IbLb1EEEEDaSS_ST_EUlSS_E_NS1_11comp_targetILNS1_3genE3ELNS1_11target_archE908ELNS1_3gpuE7ELNS1_3repE0EEENS1_30default_config_static_selectorELNS0_4arch9wavefront6targetE1EEEvT1_
	.globl	_ZN7rocprim17ROCPRIM_400000_NS6detail17trampoline_kernelINS0_14default_configENS1_20scan_config_selectorIxEEZZNS1_9scan_implILNS1_25lookback_scan_determinismE0ELb0ELb0ES3_N6thrust23THRUST_200600_302600_NS6detail15normal_iteratorINS9_10device_ptrIxEEEENS9_16discard_iteratorINS9_11use_defaultEEExNS9_4plusIvEExEEDaPvRmT3_T4_T5_mT6_P12ihipStream_tbENKUlT_T0_E_clISt17integral_constantIbLb0EESW_IbLb1EEEEDaSS_ST_EUlSS_E_NS1_11comp_targetILNS1_3genE3ELNS1_11target_archE908ELNS1_3gpuE7ELNS1_3repE0EEENS1_30default_config_static_selectorELNS0_4arch9wavefront6targetE1EEEvT1_
	.p2align	8
	.type	_ZN7rocprim17ROCPRIM_400000_NS6detail17trampoline_kernelINS0_14default_configENS1_20scan_config_selectorIxEEZZNS1_9scan_implILNS1_25lookback_scan_determinismE0ELb0ELb0ES3_N6thrust23THRUST_200600_302600_NS6detail15normal_iteratorINS9_10device_ptrIxEEEENS9_16discard_iteratorINS9_11use_defaultEEExNS9_4plusIvEExEEDaPvRmT3_T4_T5_mT6_P12ihipStream_tbENKUlT_T0_E_clISt17integral_constantIbLb0EESW_IbLb1EEEEDaSS_ST_EUlSS_E_NS1_11comp_targetILNS1_3genE3ELNS1_11target_archE908ELNS1_3gpuE7ELNS1_3repE0EEENS1_30default_config_static_selectorELNS0_4arch9wavefront6targetE1EEEvT1_,@function
_ZN7rocprim17ROCPRIM_400000_NS6detail17trampoline_kernelINS0_14default_configENS1_20scan_config_selectorIxEEZZNS1_9scan_implILNS1_25lookback_scan_determinismE0ELb0ELb0ES3_N6thrust23THRUST_200600_302600_NS6detail15normal_iteratorINS9_10device_ptrIxEEEENS9_16discard_iteratorINS9_11use_defaultEEExNS9_4plusIvEExEEDaPvRmT3_T4_T5_mT6_P12ihipStream_tbENKUlT_T0_E_clISt17integral_constantIbLb0EESW_IbLb1EEEEDaSS_ST_EUlSS_E_NS1_11comp_targetILNS1_3genE3ELNS1_11target_archE908ELNS1_3gpuE7ELNS1_3repE0EEENS1_30default_config_static_selectorELNS0_4arch9wavefront6targetE1EEEvT1_: ; @_ZN7rocprim17ROCPRIM_400000_NS6detail17trampoline_kernelINS0_14default_configENS1_20scan_config_selectorIxEEZZNS1_9scan_implILNS1_25lookback_scan_determinismE0ELb0ELb0ES3_N6thrust23THRUST_200600_302600_NS6detail15normal_iteratorINS9_10device_ptrIxEEEENS9_16discard_iteratorINS9_11use_defaultEEExNS9_4plusIvEExEEDaPvRmT3_T4_T5_mT6_P12ihipStream_tbENKUlT_T0_E_clISt17integral_constantIbLb0EESW_IbLb1EEEEDaSS_ST_EUlSS_E_NS1_11comp_targetILNS1_3genE3ELNS1_11target_archE908ELNS1_3gpuE7ELNS1_3repE0EEENS1_30default_config_static_selectorELNS0_4arch9wavefront6targetE1EEEvT1_
; %bb.0:
	.section	.rodata,"a",@progbits
	.p2align	6, 0x0
	.amdhsa_kernel _ZN7rocprim17ROCPRIM_400000_NS6detail17trampoline_kernelINS0_14default_configENS1_20scan_config_selectorIxEEZZNS1_9scan_implILNS1_25lookback_scan_determinismE0ELb0ELb0ES3_N6thrust23THRUST_200600_302600_NS6detail15normal_iteratorINS9_10device_ptrIxEEEENS9_16discard_iteratorINS9_11use_defaultEEExNS9_4plusIvEExEEDaPvRmT3_T4_T5_mT6_P12ihipStream_tbENKUlT_T0_E_clISt17integral_constantIbLb0EESW_IbLb1EEEEDaSS_ST_EUlSS_E_NS1_11comp_targetILNS1_3genE3ELNS1_11target_archE908ELNS1_3gpuE7ELNS1_3repE0EEENS1_30default_config_static_selectorELNS0_4arch9wavefront6targetE1EEEvT1_
		.amdhsa_group_segment_fixed_size 0
		.amdhsa_private_segment_fixed_size 0
		.amdhsa_kernarg_size 112
		.amdhsa_user_sgpr_count 6
		.amdhsa_user_sgpr_private_segment_buffer 1
		.amdhsa_user_sgpr_dispatch_ptr 0
		.amdhsa_user_sgpr_queue_ptr 0
		.amdhsa_user_sgpr_kernarg_segment_ptr 1
		.amdhsa_user_sgpr_dispatch_id 0
		.amdhsa_user_sgpr_flat_scratch_init 0
		.amdhsa_user_sgpr_kernarg_preload_length 0
		.amdhsa_user_sgpr_kernarg_preload_offset 0
		.amdhsa_user_sgpr_private_segment_size 0
		.amdhsa_uses_dynamic_stack 0
		.amdhsa_system_sgpr_private_segment_wavefront_offset 0
		.amdhsa_system_sgpr_workgroup_id_x 1
		.amdhsa_system_sgpr_workgroup_id_y 0
		.amdhsa_system_sgpr_workgroup_id_z 0
		.amdhsa_system_sgpr_workgroup_info 0
		.amdhsa_system_vgpr_workitem_id 0
		.amdhsa_next_free_vgpr 1
		.amdhsa_next_free_sgpr 0
		.amdhsa_accum_offset 4
		.amdhsa_reserve_vcc 0
		.amdhsa_reserve_flat_scratch 0
		.amdhsa_float_round_mode_32 0
		.amdhsa_float_round_mode_16_64 0
		.amdhsa_float_denorm_mode_32 3
		.amdhsa_float_denorm_mode_16_64 3
		.amdhsa_dx10_clamp 1
		.amdhsa_ieee_mode 1
		.amdhsa_fp16_overflow 0
		.amdhsa_tg_split 0
		.amdhsa_exception_fp_ieee_invalid_op 0
		.amdhsa_exception_fp_denorm_src 0
		.amdhsa_exception_fp_ieee_div_zero 0
		.amdhsa_exception_fp_ieee_overflow 0
		.amdhsa_exception_fp_ieee_underflow 0
		.amdhsa_exception_fp_ieee_inexact 0
		.amdhsa_exception_int_div_zero 0
	.end_amdhsa_kernel
	.section	.text._ZN7rocprim17ROCPRIM_400000_NS6detail17trampoline_kernelINS0_14default_configENS1_20scan_config_selectorIxEEZZNS1_9scan_implILNS1_25lookback_scan_determinismE0ELb0ELb0ES3_N6thrust23THRUST_200600_302600_NS6detail15normal_iteratorINS9_10device_ptrIxEEEENS9_16discard_iteratorINS9_11use_defaultEEExNS9_4plusIvEExEEDaPvRmT3_T4_T5_mT6_P12ihipStream_tbENKUlT_T0_E_clISt17integral_constantIbLb0EESW_IbLb1EEEEDaSS_ST_EUlSS_E_NS1_11comp_targetILNS1_3genE3ELNS1_11target_archE908ELNS1_3gpuE7ELNS1_3repE0EEENS1_30default_config_static_selectorELNS0_4arch9wavefront6targetE1EEEvT1_,"axG",@progbits,_ZN7rocprim17ROCPRIM_400000_NS6detail17trampoline_kernelINS0_14default_configENS1_20scan_config_selectorIxEEZZNS1_9scan_implILNS1_25lookback_scan_determinismE0ELb0ELb0ES3_N6thrust23THRUST_200600_302600_NS6detail15normal_iteratorINS9_10device_ptrIxEEEENS9_16discard_iteratorINS9_11use_defaultEEExNS9_4plusIvEExEEDaPvRmT3_T4_T5_mT6_P12ihipStream_tbENKUlT_T0_E_clISt17integral_constantIbLb0EESW_IbLb1EEEEDaSS_ST_EUlSS_E_NS1_11comp_targetILNS1_3genE3ELNS1_11target_archE908ELNS1_3gpuE7ELNS1_3repE0EEENS1_30default_config_static_selectorELNS0_4arch9wavefront6targetE1EEEvT1_,comdat
.Lfunc_end5639:
	.size	_ZN7rocprim17ROCPRIM_400000_NS6detail17trampoline_kernelINS0_14default_configENS1_20scan_config_selectorIxEEZZNS1_9scan_implILNS1_25lookback_scan_determinismE0ELb0ELb0ES3_N6thrust23THRUST_200600_302600_NS6detail15normal_iteratorINS9_10device_ptrIxEEEENS9_16discard_iteratorINS9_11use_defaultEEExNS9_4plusIvEExEEDaPvRmT3_T4_T5_mT6_P12ihipStream_tbENKUlT_T0_E_clISt17integral_constantIbLb0EESW_IbLb1EEEEDaSS_ST_EUlSS_E_NS1_11comp_targetILNS1_3genE3ELNS1_11target_archE908ELNS1_3gpuE7ELNS1_3repE0EEENS1_30default_config_static_selectorELNS0_4arch9wavefront6targetE1EEEvT1_, .Lfunc_end5639-_ZN7rocprim17ROCPRIM_400000_NS6detail17trampoline_kernelINS0_14default_configENS1_20scan_config_selectorIxEEZZNS1_9scan_implILNS1_25lookback_scan_determinismE0ELb0ELb0ES3_N6thrust23THRUST_200600_302600_NS6detail15normal_iteratorINS9_10device_ptrIxEEEENS9_16discard_iteratorINS9_11use_defaultEEExNS9_4plusIvEExEEDaPvRmT3_T4_T5_mT6_P12ihipStream_tbENKUlT_T0_E_clISt17integral_constantIbLb0EESW_IbLb1EEEEDaSS_ST_EUlSS_E_NS1_11comp_targetILNS1_3genE3ELNS1_11target_archE908ELNS1_3gpuE7ELNS1_3repE0EEENS1_30default_config_static_selectorELNS0_4arch9wavefront6targetE1EEEvT1_
                                        ; -- End function
	.section	.AMDGPU.csdata,"",@progbits
; Kernel info:
; codeLenInByte = 0
; NumSgprs: 4
; NumVgprs: 0
; NumAgprs: 0
; TotalNumVgprs: 0
; ScratchSize: 0
; MemoryBound: 0
; FloatMode: 240
; IeeeMode: 1
; LDSByteSize: 0 bytes/workgroup (compile time only)
; SGPRBlocks: 0
; VGPRBlocks: 0
; NumSGPRsForWavesPerEU: 4
; NumVGPRsForWavesPerEU: 1
; AccumOffset: 4
; Occupancy: 8
; WaveLimiterHint : 0
; COMPUTE_PGM_RSRC2:SCRATCH_EN: 0
; COMPUTE_PGM_RSRC2:USER_SGPR: 6
; COMPUTE_PGM_RSRC2:TRAP_HANDLER: 0
; COMPUTE_PGM_RSRC2:TGID_X_EN: 1
; COMPUTE_PGM_RSRC2:TGID_Y_EN: 0
; COMPUTE_PGM_RSRC2:TGID_Z_EN: 0
; COMPUTE_PGM_RSRC2:TIDIG_COMP_CNT: 0
; COMPUTE_PGM_RSRC3_GFX90A:ACCUM_OFFSET: 0
; COMPUTE_PGM_RSRC3_GFX90A:TG_SPLIT: 0
	.section	.text._ZN7rocprim17ROCPRIM_400000_NS6detail17trampoline_kernelINS0_14default_configENS1_20scan_config_selectorIxEEZZNS1_9scan_implILNS1_25lookback_scan_determinismE0ELb0ELb0ES3_N6thrust23THRUST_200600_302600_NS6detail15normal_iteratorINS9_10device_ptrIxEEEENS9_16discard_iteratorINS9_11use_defaultEEExNS9_4plusIvEExEEDaPvRmT3_T4_T5_mT6_P12ihipStream_tbENKUlT_T0_E_clISt17integral_constantIbLb0EESW_IbLb1EEEEDaSS_ST_EUlSS_E_NS1_11comp_targetILNS1_3genE2ELNS1_11target_archE906ELNS1_3gpuE6ELNS1_3repE0EEENS1_30default_config_static_selectorELNS0_4arch9wavefront6targetE1EEEvT1_,"axG",@progbits,_ZN7rocprim17ROCPRIM_400000_NS6detail17trampoline_kernelINS0_14default_configENS1_20scan_config_selectorIxEEZZNS1_9scan_implILNS1_25lookback_scan_determinismE0ELb0ELb0ES3_N6thrust23THRUST_200600_302600_NS6detail15normal_iteratorINS9_10device_ptrIxEEEENS9_16discard_iteratorINS9_11use_defaultEEExNS9_4plusIvEExEEDaPvRmT3_T4_T5_mT6_P12ihipStream_tbENKUlT_T0_E_clISt17integral_constantIbLb0EESW_IbLb1EEEEDaSS_ST_EUlSS_E_NS1_11comp_targetILNS1_3genE2ELNS1_11target_archE906ELNS1_3gpuE6ELNS1_3repE0EEENS1_30default_config_static_selectorELNS0_4arch9wavefront6targetE1EEEvT1_,comdat
	.protected	_ZN7rocprim17ROCPRIM_400000_NS6detail17trampoline_kernelINS0_14default_configENS1_20scan_config_selectorIxEEZZNS1_9scan_implILNS1_25lookback_scan_determinismE0ELb0ELb0ES3_N6thrust23THRUST_200600_302600_NS6detail15normal_iteratorINS9_10device_ptrIxEEEENS9_16discard_iteratorINS9_11use_defaultEEExNS9_4plusIvEExEEDaPvRmT3_T4_T5_mT6_P12ihipStream_tbENKUlT_T0_E_clISt17integral_constantIbLb0EESW_IbLb1EEEEDaSS_ST_EUlSS_E_NS1_11comp_targetILNS1_3genE2ELNS1_11target_archE906ELNS1_3gpuE6ELNS1_3repE0EEENS1_30default_config_static_selectorELNS0_4arch9wavefront6targetE1EEEvT1_ ; -- Begin function _ZN7rocprim17ROCPRIM_400000_NS6detail17trampoline_kernelINS0_14default_configENS1_20scan_config_selectorIxEEZZNS1_9scan_implILNS1_25lookback_scan_determinismE0ELb0ELb0ES3_N6thrust23THRUST_200600_302600_NS6detail15normal_iteratorINS9_10device_ptrIxEEEENS9_16discard_iteratorINS9_11use_defaultEEExNS9_4plusIvEExEEDaPvRmT3_T4_T5_mT6_P12ihipStream_tbENKUlT_T0_E_clISt17integral_constantIbLb0EESW_IbLb1EEEEDaSS_ST_EUlSS_E_NS1_11comp_targetILNS1_3genE2ELNS1_11target_archE906ELNS1_3gpuE6ELNS1_3repE0EEENS1_30default_config_static_selectorELNS0_4arch9wavefront6targetE1EEEvT1_
	.globl	_ZN7rocprim17ROCPRIM_400000_NS6detail17trampoline_kernelINS0_14default_configENS1_20scan_config_selectorIxEEZZNS1_9scan_implILNS1_25lookback_scan_determinismE0ELb0ELb0ES3_N6thrust23THRUST_200600_302600_NS6detail15normal_iteratorINS9_10device_ptrIxEEEENS9_16discard_iteratorINS9_11use_defaultEEExNS9_4plusIvEExEEDaPvRmT3_T4_T5_mT6_P12ihipStream_tbENKUlT_T0_E_clISt17integral_constantIbLb0EESW_IbLb1EEEEDaSS_ST_EUlSS_E_NS1_11comp_targetILNS1_3genE2ELNS1_11target_archE906ELNS1_3gpuE6ELNS1_3repE0EEENS1_30default_config_static_selectorELNS0_4arch9wavefront6targetE1EEEvT1_
	.p2align	8
	.type	_ZN7rocprim17ROCPRIM_400000_NS6detail17trampoline_kernelINS0_14default_configENS1_20scan_config_selectorIxEEZZNS1_9scan_implILNS1_25lookback_scan_determinismE0ELb0ELb0ES3_N6thrust23THRUST_200600_302600_NS6detail15normal_iteratorINS9_10device_ptrIxEEEENS9_16discard_iteratorINS9_11use_defaultEEExNS9_4plusIvEExEEDaPvRmT3_T4_T5_mT6_P12ihipStream_tbENKUlT_T0_E_clISt17integral_constantIbLb0EESW_IbLb1EEEEDaSS_ST_EUlSS_E_NS1_11comp_targetILNS1_3genE2ELNS1_11target_archE906ELNS1_3gpuE6ELNS1_3repE0EEENS1_30default_config_static_selectorELNS0_4arch9wavefront6targetE1EEEvT1_,@function
_ZN7rocprim17ROCPRIM_400000_NS6detail17trampoline_kernelINS0_14default_configENS1_20scan_config_selectorIxEEZZNS1_9scan_implILNS1_25lookback_scan_determinismE0ELb0ELb0ES3_N6thrust23THRUST_200600_302600_NS6detail15normal_iteratorINS9_10device_ptrIxEEEENS9_16discard_iteratorINS9_11use_defaultEEExNS9_4plusIvEExEEDaPvRmT3_T4_T5_mT6_P12ihipStream_tbENKUlT_T0_E_clISt17integral_constantIbLb0EESW_IbLb1EEEEDaSS_ST_EUlSS_E_NS1_11comp_targetILNS1_3genE2ELNS1_11target_archE906ELNS1_3gpuE6ELNS1_3repE0EEENS1_30default_config_static_selectorELNS0_4arch9wavefront6targetE1EEEvT1_: ; @_ZN7rocprim17ROCPRIM_400000_NS6detail17trampoline_kernelINS0_14default_configENS1_20scan_config_selectorIxEEZZNS1_9scan_implILNS1_25lookback_scan_determinismE0ELb0ELb0ES3_N6thrust23THRUST_200600_302600_NS6detail15normal_iteratorINS9_10device_ptrIxEEEENS9_16discard_iteratorINS9_11use_defaultEEExNS9_4plusIvEExEEDaPvRmT3_T4_T5_mT6_P12ihipStream_tbENKUlT_T0_E_clISt17integral_constantIbLb0EESW_IbLb1EEEEDaSS_ST_EUlSS_E_NS1_11comp_targetILNS1_3genE2ELNS1_11target_archE906ELNS1_3gpuE6ELNS1_3repE0EEENS1_30default_config_static_selectorELNS0_4arch9wavefront6targetE1EEEvT1_
; %bb.0:
	.section	.rodata,"a",@progbits
	.p2align	6, 0x0
	.amdhsa_kernel _ZN7rocprim17ROCPRIM_400000_NS6detail17trampoline_kernelINS0_14default_configENS1_20scan_config_selectorIxEEZZNS1_9scan_implILNS1_25lookback_scan_determinismE0ELb0ELb0ES3_N6thrust23THRUST_200600_302600_NS6detail15normal_iteratorINS9_10device_ptrIxEEEENS9_16discard_iteratorINS9_11use_defaultEEExNS9_4plusIvEExEEDaPvRmT3_T4_T5_mT6_P12ihipStream_tbENKUlT_T0_E_clISt17integral_constantIbLb0EESW_IbLb1EEEEDaSS_ST_EUlSS_E_NS1_11comp_targetILNS1_3genE2ELNS1_11target_archE906ELNS1_3gpuE6ELNS1_3repE0EEENS1_30default_config_static_selectorELNS0_4arch9wavefront6targetE1EEEvT1_
		.amdhsa_group_segment_fixed_size 0
		.amdhsa_private_segment_fixed_size 0
		.amdhsa_kernarg_size 112
		.amdhsa_user_sgpr_count 6
		.amdhsa_user_sgpr_private_segment_buffer 1
		.amdhsa_user_sgpr_dispatch_ptr 0
		.amdhsa_user_sgpr_queue_ptr 0
		.amdhsa_user_sgpr_kernarg_segment_ptr 1
		.amdhsa_user_sgpr_dispatch_id 0
		.amdhsa_user_sgpr_flat_scratch_init 0
		.amdhsa_user_sgpr_kernarg_preload_length 0
		.amdhsa_user_sgpr_kernarg_preload_offset 0
		.amdhsa_user_sgpr_private_segment_size 0
		.amdhsa_uses_dynamic_stack 0
		.amdhsa_system_sgpr_private_segment_wavefront_offset 0
		.amdhsa_system_sgpr_workgroup_id_x 1
		.amdhsa_system_sgpr_workgroup_id_y 0
		.amdhsa_system_sgpr_workgroup_id_z 0
		.amdhsa_system_sgpr_workgroup_info 0
		.amdhsa_system_vgpr_workitem_id 0
		.amdhsa_next_free_vgpr 1
		.amdhsa_next_free_sgpr 0
		.amdhsa_accum_offset 4
		.amdhsa_reserve_vcc 0
		.amdhsa_reserve_flat_scratch 0
		.amdhsa_float_round_mode_32 0
		.amdhsa_float_round_mode_16_64 0
		.amdhsa_float_denorm_mode_32 3
		.amdhsa_float_denorm_mode_16_64 3
		.amdhsa_dx10_clamp 1
		.amdhsa_ieee_mode 1
		.amdhsa_fp16_overflow 0
		.amdhsa_tg_split 0
		.amdhsa_exception_fp_ieee_invalid_op 0
		.amdhsa_exception_fp_denorm_src 0
		.amdhsa_exception_fp_ieee_div_zero 0
		.amdhsa_exception_fp_ieee_overflow 0
		.amdhsa_exception_fp_ieee_underflow 0
		.amdhsa_exception_fp_ieee_inexact 0
		.amdhsa_exception_int_div_zero 0
	.end_amdhsa_kernel
	.section	.text._ZN7rocprim17ROCPRIM_400000_NS6detail17trampoline_kernelINS0_14default_configENS1_20scan_config_selectorIxEEZZNS1_9scan_implILNS1_25lookback_scan_determinismE0ELb0ELb0ES3_N6thrust23THRUST_200600_302600_NS6detail15normal_iteratorINS9_10device_ptrIxEEEENS9_16discard_iteratorINS9_11use_defaultEEExNS9_4plusIvEExEEDaPvRmT3_T4_T5_mT6_P12ihipStream_tbENKUlT_T0_E_clISt17integral_constantIbLb0EESW_IbLb1EEEEDaSS_ST_EUlSS_E_NS1_11comp_targetILNS1_3genE2ELNS1_11target_archE906ELNS1_3gpuE6ELNS1_3repE0EEENS1_30default_config_static_selectorELNS0_4arch9wavefront6targetE1EEEvT1_,"axG",@progbits,_ZN7rocprim17ROCPRIM_400000_NS6detail17trampoline_kernelINS0_14default_configENS1_20scan_config_selectorIxEEZZNS1_9scan_implILNS1_25lookback_scan_determinismE0ELb0ELb0ES3_N6thrust23THRUST_200600_302600_NS6detail15normal_iteratorINS9_10device_ptrIxEEEENS9_16discard_iteratorINS9_11use_defaultEEExNS9_4plusIvEExEEDaPvRmT3_T4_T5_mT6_P12ihipStream_tbENKUlT_T0_E_clISt17integral_constantIbLb0EESW_IbLb1EEEEDaSS_ST_EUlSS_E_NS1_11comp_targetILNS1_3genE2ELNS1_11target_archE906ELNS1_3gpuE6ELNS1_3repE0EEENS1_30default_config_static_selectorELNS0_4arch9wavefront6targetE1EEEvT1_,comdat
.Lfunc_end5640:
	.size	_ZN7rocprim17ROCPRIM_400000_NS6detail17trampoline_kernelINS0_14default_configENS1_20scan_config_selectorIxEEZZNS1_9scan_implILNS1_25lookback_scan_determinismE0ELb0ELb0ES3_N6thrust23THRUST_200600_302600_NS6detail15normal_iteratorINS9_10device_ptrIxEEEENS9_16discard_iteratorINS9_11use_defaultEEExNS9_4plusIvEExEEDaPvRmT3_T4_T5_mT6_P12ihipStream_tbENKUlT_T0_E_clISt17integral_constantIbLb0EESW_IbLb1EEEEDaSS_ST_EUlSS_E_NS1_11comp_targetILNS1_3genE2ELNS1_11target_archE906ELNS1_3gpuE6ELNS1_3repE0EEENS1_30default_config_static_selectorELNS0_4arch9wavefront6targetE1EEEvT1_, .Lfunc_end5640-_ZN7rocprim17ROCPRIM_400000_NS6detail17trampoline_kernelINS0_14default_configENS1_20scan_config_selectorIxEEZZNS1_9scan_implILNS1_25lookback_scan_determinismE0ELb0ELb0ES3_N6thrust23THRUST_200600_302600_NS6detail15normal_iteratorINS9_10device_ptrIxEEEENS9_16discard_iteratorINS9_11use_defaultEEExNS9_4plusIvEExEEDaPvRmT3_T4_T5_mT6_P12ihipStream_tbENKUlT_T0_E_clISt17integral_constantIbLb0EESW_IbLb1EEEEDaSS_ST_EUlSS_E_NS1_11comp_targetILNS1_3genE2ELNS1_11target_archE906ELNS1_3gpuE6ELNS1_3repE0EEENS1_30default_config_static_selectorELNS0_4arch9wavefront6targetE1EEEvT1_
                                        ; -- End function
	.section	.AMDGPU.csdata,"",@progbits
; Kernel info:
; codeLenInByte = 0
; NumSgprs: 4
; NumVgprs: 0
; NumAgprs: 0
; TotalNumVgprs: 0
; ScratchSize: 0
; MemoryBound: 0
; FloatMode: 240
; IeeeMode: 1
; LDSByteSize: 0 bytes/workgroup (compile time only)
; SGPRBlocks: 0
; VGPRBlocks: 0
; NumSGPRsForWavesPerEU: 4
; NumVGPRsForWavesPerEU: 1
; AccumOffset: 4
; Occupancy: 8
; WaveLimiterHint : 0
; COMPUTE_PGM_RSRC2:SCRATCH_EN: 0
; COMPUTE_PGM_RSRC2:USER_SGPR: 6
; COMPUTE_PGM_RSRC2:TRAP_HANDLER: 0
; COMPUTE_PGM_RSRC2:TGID_X_EN: 1
; COMPUTE_PGM_RSRC2:TGID_Y_EN: 0
; COMPUTE_PGM_RSRC2:TGID_Z_EN: 0
; COMPUTE_PGM_RSRC2:TIDIG_COMP_CNT: 0
; COMPUTE_PGM_RSRC3_GFX90A:ACCUM_OFFSET: 0
; COMPUTE_PGM_RSRC3_GFX90A:TG_SPLIT: 0
	.section	.text._ZN7rocprim17ROCPRIM_400000_NS6detail17trampoline_kernelINS0_14default_configENS1_20scan_config_selectorIxEEZZNS1_9scan_implILNS1_25lookback_scan_determinismE0ELb0ELb0ES3_N6thrust23THRUST_200600_302600_NS6detail15normal_iteratorINS9_10device_ptrIxEEEENS9_16discard_iteratorINS9_11use_defaultEEExNS9_4plusIvEExEEDaPvRmT3_T4_T5_mT6_P12ihipStream_tbENKUlT_T0_E_clISt17integral_constantIbLb0EESW_IbLb1EEEEDaSS_ST_EUlSS_E_NS1_11comp_targetILNS1_3genE10ELNS1_11target_archE1201ELNS1_3gpuE5ELNS1_3repE0EEENS1_30default_config_static_selectorELNS0_4arch9wavefront6targetE1EEEvT1_,"axG",@progbits,_ZN7rocprim17ROCPRIM_400000_NS6detail17trampoline_kernelINS0_14default_configENS1_20scan_config_selectorIxEEZZNS1_9scan_implILNS1_25lookback_scan_determinismE0ELb0ELb0ES3_N6thrust23THRUST_200600_302600_NS6detail15normal_iteratorINS9_10device_ptrIxEEEENS9_16discard_iteratorINS9_11use_defaultEEExNS9_4plusIvEExEEDaPvRmT3_T4_T5_mT6_P12ihipStream_tbENKUlT_T0_E_clISt17integral_constantIbLb0EESW_IbLb1EEEEDaSS_ST_EUlSS_E_NS1_11comp_targetILNS1_3genE10ELNS1_11target_archE1201ELNS1_3gpuE5ELNS1_3repE0EEENS1_30default_config_static_selectorELNS0_4arch9wavefront6targetE1EEEvT1_,comdat
	.protected	_ZN7rocprim17ROCPRIM_400000_NS6detail17trampoline_kernelINS0_14default_configENS1_20scan_config_selectorIxEEZZNS1_9scan_implILNS1_25lookback_scan_determinismE0ELb0ELb0ES3_N6thrust23THRUST_200600_302600_NS6detail15normal_iteratorINS9_10device_ptrIxEEEENS9_16discard_iteratorINS9_11use_defaultEEExNS9_4plusIvEExEEDaPvRmT3_T4_T5_mT6_P12ihipStream_tbENKUlT_T0_E_clISt17integral_constantIbLb0EESW_IbLb1EEEEDaSS_ST_EUlSS_E_NS1_11comp_targetILNS1_3genE10ELNS1_11target_archE1201ELNS1_3gpuE5ELNS1_3repE0EEENS1_30default_config_static_selectorELNS0_4arch9wavefront6targetE1EEEvT1_ ; -- Begin function _ZN7rocprim17ROCPRIM_400000_NS6detail17trampoline_kernelINS0_14default_configENS1_20scan_config_selectorIxEEZZNS1_9scan_implILNS1_25lookback_scan_determinismE0ELb0ELb0ES3_N6thrust23THRUST_200600_302600_NS6detail15normal_iteratorINS9_10device_ptrIxEEEENS9_16discard_iteratorINS9_11use_defaultEEExNS9_4plusIvEExEEDaPvRmT3_T4_T5_mT6_P12ihipStream_tbENKUlT_T0_E_clISt17integral_constantIbLb0EESW_IbLb1EEEEDaSS_ST_EUlSS_E_NS1_11comp_targetILNS1_3genE10ELNS1_11target_archE1201ELNS1_3gpuE5ELNS1_3repE0EEENS1_30default_config_static_selectorELNS0_4arch9wavefront6targetE1EEEvT1_
	.globl	_ZN7rocprim17ROCPRIM_400000_NS6detail17trampoline_kernelINS0_14default_configENS1_20scan_config_selectorIxEEZZNS1_9scan_implILNS1_25lookback_scan_determinismE0ELb0ELb0ES3_N6thrust23THRUST_200600_302600_NS6detail15normal_iteratorINS9_10device_ptrIxEEEENS9_16discard_iteratorINS9_11use_defaultEEExNS9_4plusIvEExEEDaPvRmT3_T4_T5_mT6_P12ihipStream_tbENKUlT_T0_E_clISt17integral_constantIbLb0EESW_IbLb1EEEEDaSS_ST_EUlSS_E_NS1_11comp_targetILNS1_3genE10ELNS1_11target_archE1201ELNS1_3gpuE5ELNS1_3repE0EEENS1_30default_config_static_selectorELNS0_4arch9wavefront6targetE1EEEvT1_
	.p2align	8
	.type	_ZN7rocprim17ROCPRIM_400000_NS6detail17trampoline_kernelINS0_14default_configENS1_20scan_config_selectorIxEEZZNS1_9scan_implILNS1_25lookback_scan_determinismE0ELb0ELb0ES3_N6thrust23THRUST_200600_302600_NS6detail15normal_iteratorINS9_10device_ptrIxEEEENS9_16discard_iteratorINS9_11use_defaultEEExNS9_4plusIvEExEEDaPvRmT3_T4_T5_mT6_P12ihipStream_tbENKUlT_T0_E_clISt17integral_constantIbLb0EESW_IbLb1EEEEDaSS_ST_EUlSS_E_NS1_11comp_targetILNS1_3genE10ELNS1_11target_archE1201ELNS1_3gpuE5ELNS1_3repE0EEENS1_30default_config_static_selectorELNS0_4arch9wavefront6targetE1EEEvT1_,@function
_ZN7rocprim17ROCPRIM_400000_NS6detail17trampoline_kernelINS0_14default_configENS1_20scan_config_selectorIxEEZZNS1_9scan_implILNS1_25lookback_scan_determinismE0ELb0ELb0ES3_N6thrust23THRUST_200600_302600_NS6detail15normal_iteratorINS9_10device_ptrIxEEEENS9_16discard_iteratorINS9_11use_defaultEEExNS9_4plusIvEExEEDaPvRmT3_T4_T5_mT6_P12ihipStream_tbENKUlT_T0_E_clISt17integral_constantIbLb0EESW_IbLb1EEEEDaSS_ST_EUlSS_E_NS1_11comp_targetILNS1_3genE10ELNS1_11target_archE1201ELNS1_3gpuE5ELNS1_3repE0EEENS1_30default_config_static_selectorELNS0_4arch9wavefront6targetE1EEEvT1_: ; @_ZN7rocprim17ROCPRIM_400000_NS6detail17trampoline_kernelINS0_14default_configENS1_20scan_config_selectorIxEEZZNS1_9scan_implILNS1_25lookback_scan_determinismE0ELb0ELb0ES3_N6thrust23THRUST_200600_302600_NS6detail15normal_iteratorINS9_10device_ptrIxEEEENS9_16discard_iteratorINS9_11use_defaultEEExNS9_4plusIvEExEEDaPvRmT3_T4_T5_mT6_P12ihipStream_tbENKUlT_T0_E_clISt17integral_constantIbLb0EESW_IbLb1EEEEDaSS_ST_EUlSS_E_NS1_11comp_targetILNS1_3genE10ELNS1_11target_archE1201ELNS1_3gpuE5ELNS1_3repE0EEENS1_30default_config_static_selectorELNS0_4arch9wavefront6targetE1EEEvT1_
; %bb.0:
	.section	.rodata,"a",@progbits
	.p2align	6, 0x0
	.amdhsa_kernel _ZN7rocprim17ROCPRIM_400000_NS6detail17trampoline_kernelINS0_14default_configENS1_20scan_config_selectorIxEEZZNS1_9scan_implILNS1_25lookback_scan_determinismE0ELb0ELb0ES3_N6thrust23THRUST_200600_302600_NS6detail15normal_iteratorINS9_10device_ptrIxEEEENS9_16discard_iteratorINS9_11use_defaultEEExNS9_4plusIvEExEEDaPvRmT3_T4_T5_mT6_P12ihipStream_tbENKUlT_T0_E_clISt17integral_constantIbLb0EESW_IbLb1EEEEDaSS_ST_EUlSS_E_NS1_11comp_targetILNS1_3genE10ELNS1_11target_archE1201ELNS1_3gpuE5ELNS1_3repE0EEENS1_30default_config_static_selectorELNS0_4arch9wavefront6targetE1EEEvT1_
		.amdhsa_group_segment_fixed_size 0
		.amdhsa_private_segment_fixed_size 0
		.amdhsa_kernarg_size 112
		.amdhsa_user_sgpr_count 6
		.amdhsa_user_sgpr_private_segment_buffer 1
		.amdhsa_user_sgpr_dispatch_ptr 0
		.amdhsa_user_sgpr_queue_ptr 0
		.amdhsa_user_sgpr_kernarg_segment_ptr 1
		.amdhsa_user_sgpr_dispatch_id 0
		.amdhsa_user_sgpr_flat_scratch_init 0
		.amdhsa_user_sgpr_kernarg_preload_length 0
		.amdhsa_user_sgpr_kernarg_preload_offset 0
		.amdhsa_user_sgpr_private_segment_size 0
		.amdhsa_uses_dynamic_stack 0
		.amdhsa_system_sgpr_private_segment_wavefront_offset 0
		.amdhsa_system_sgpr_workgroup_id_x 1
		.amdhsa_system_sgpr_workgroup_id_y 0
		.amdhsa_system_sgpr_workgroup_id_z 0
		.amdhsa_system_sgpr_workgroup_info 0
		.amdhsa_system_vgpr_workitem_id 0
		.amdhsa_next_free_vgpr 1
		.amdhsa_next_free_sgpr 0
		.amdhsa_accum_offset 4
		.amdhsa_reserve_vcc 0
		.amdhsa_reserve_flat_scratch 0
		.amdhsa_float_round_mode_32 0
		.amdhsa_float_round_mode_16_64 0
		.amdhsa_float_denorm_mode_32 3
		.amdhsa_float_denorm_mode_16_64 3
		.amdhsa_dx10_clamp 1
		.amdhsa_ieee_mode 1
		.amdhsa_fp16_overflow 0
		.amdhsa_tg_split 0
		.amdhsa_exception_fp_ieee_invalid_op 0
		.amdhsa_exception_fp_denorm_src 0
		.amdhsa_exception_fp_ieee_div_zero 0
		.amdhsa_exception_fp_ieee_overflow 0
		.amdhsa_exception_fp_ieee_underflow 0
		.amdhsa_exception_fp_ieee_inexact 0
		.amdhsa_exception_int_div_zero 0
	.end_amdhsa_kernel
	.section	.text._ZN7rocprim17ROCPRIM_400000_NS6detail17trampoline_kernelINS0_14default_configENS1_20scan_config_selectorIxEEZZNS1_9scan_implILNS1_25lookback_scan_determinismE0ELb0ELb0ES3_N6thrust23THRUST_200600_302600_NS6detail15normal_iteratorINS9_10device_ptrIxEEEENS9_16discard_iteratorINS9_11use_defaultEEExNS9_4plusIvEExEEDaPvRmT3_T4_T5_mT6_P12ihipStream_tbENKUlT_T0_E_clISt17integral_constantIbLb0EESW_IbLb1EEEEDaSS_ST_EUlSS_E_NS1_11comp_targetILNS1_3genE10ELNS1_11target_archE1201ELNS1_3gpuE5ELNS1_3repE0EEENS1_30default_config_static_selectorELNS0_4arch9wavefront6targetE1EEEvT1_,"axG",@progbits,_ZN7rocprim17ROCPRIM_400000_NS6detail17trampoline_kernelINS0_14default_configENS1_20scan_config_selectorIxEEZZNS1_9scan_implILNS1_25lookback_scan_determinismE0ELb0ELb0ES3_N6thrust23THRUST_200600_302600_NS6detail15normal_iteratorINS9_10device_ptrIxEEEENS9_16discard_iteratorINS9_11use_defaultEEExNS9_4plusIvEExEEDaPvRmT3_T4_T5_mT6_P12ihipStream_tbENKUlT_T0_E_clISt17integral_constantIbLb0EESW_IbLb1EEEEDaSS_ST_EUlSS_E_NS1_11comp_targetILNS1_3genE10ELNS1_11target_archE1201ELNS1_3gpuE5ELNS1_3repE0EEENS1_30default_config_static_selectorELNS0_4arch9wavefront6targetE1EEEvT1_,comdat
.Lfunc_end5641:
	.size	_ZN7rocprim17ROCPRIM_400000_NS6detail17trampoline_kernelINS0_14default_configENS1_20scan_config_selectorIxEEZZNS1_9scan_implILNS1_25lookback_scan_determinismE0ELb0ELb0ES3_N6thrust23THRUST_200600_302600_NS6detail15normal_iteratorINS9_10device_ptrIxEEEENS9_16discard_iteratorINS9_11use_defaultEEExNS9_4plusIvEExEEDaPvRmT3_T4_T5_mT6_P12ihipStream_tbENKUlT_T0_E_clISt17integral_constantIbLb0EESW_IbLb1EEEEDaSS_ST_EUlSS_E_NS1_11comp_targetILNS1_3genE10ELNS1_11target_archE1201ELNS1_3gpuE5ELNS1_3repE0EEENS1_30default_config_static_selectorELNS0_4arch9wavefront6targetE1EEEvT1_, .Lfunc_end5641-_ZN7rocprim17ROCPRIM_400000_NS6detail17trampoline_kernelINS0_14default_configENS1_20scan_config_selectorIxEEZZNS1_9scan_implILNS1_25lookback_scan_determinismE0ELb0ELb0ES3_N6thrust23THRUST_200600_302600_NS6detail15normal_iteratorINS9_10device_ptrIxEEEENS9_16discard_iteratorINS9_11use_defaultEEExNS9_4plusIvEExEEDaPvRmT3_T4_T5_mT6_P12ihipStream_tbENKUlT_T0_E_clISt17integral_constantIbLb0EESW_IbLb1EEEEDaSS_ST_EUlSS_E_NS1_11comp_targetILNS1_3genE10ELNS1_11target_archE1201ELNS1_3gpuE5ELNS1_3repE0EEENS1_30default_config_static_selectorELNS0_4arch9wavefront6targetE1EEEvT1_
                                        ; -- End function
	.section	.AMDGPU.csdata,"",@progbits
; Kernel info:
; codeLenInByte = 0
; NumSgprs: 4
; NumVgprs: 0
; NumAgprs: 0
; TotalNumVgprs: 0
; ScratchSize: 0
; MemoryBound: 0
; FloatMode: 240
; IeeeMode: 1
; LDSByteSize: 0 bytes/workgroup (compile time only)
; SGPRBlocks: 0
; VGPRBlocks: 0
; NumSGPRsForWavesPerEU: 4
; NumVGPRsForWavesPerEU: 1
; AccumOffset: 4
; Occupancy: 8
; WaveLimiterHint : 0
; COMPUTE_PGM_RSRC2:SCRATCH_EN: 0
; COMPUTE_PGM_RSRC2:USER_SGPR: 6
; COMPUTE_PGM_RSRC2:TRAP_HANDLER: 0
; COMPUTE_PGM_RSRC2:TGID_X_EN: 1
; COMPUTE_PGM_RSRC2:TGID_Y_EN: 0
; COMPUTE_PGM_RSRC2:TGID_Z_EN: 0
; COMPUTE_PGM_RSRC2:TIDIG_COMP_CNT: 0
; COMPUTE_PGM_RSRC3_GFX90A:ACCUM_OFFSET: 0
; COMPUTE_PGM_RSRC3_GFX90A:TG_SPLIT: 0
	.section	.text._ZN7rocprim17ROCPRIM_400000_NS6detail17trampoline_kernelINS0_14default_configENS1_20scan_config_selectorIxEEZZNS1_9scan_implILNS1_25lookback_scan_determinismE0ELb0ELb0ES3_N6thrust23THRUST_200600_302600_NS6detail15normal_iteratorINS9_10device_ptrIxEEEENS9_16discard_iteratorINS9_11use_defaultEEExNS9_4plusIvEExEEDaPvRmT3_T4_T5_mT6_P12ihipStream_tbENKUlT_T0_E_clISt17integral_constantIbLb0EESW_IbLb1EEEEDaSS_ST_EUlSS_E_NS1_11comp_targetILNS1_3genE10ELNS1_11target_archE1200ELNS1_3gpuE4ELNS1_3repE0EEENS1_30default_config_static_selectorELNS0_4arch9wavefront6targetE1EEEvT1_,"axG",@progbits,_ZN7rocprim17ROCPRIM_400000_NS6detail17trampoline_kernelINS0_14default_configENS1_20scan_config_selectorIxEEZZNS1_9scan_implILNS1_25lookback_scan_determinismE0ELb0ELb0ES3_N6thrust23THRUST_200600_302600_NS6detail15normal_iteratorINS9_10device_ptrIxEEEENS9_16discard_iteratorINS9_11use_defaultEEExNS9_4plusIvEExEEDaPvRmT3_T4_T5_mT6_P12ihipStream_tbENKUlT_T0_E_clISt17integral_constantIbLb0EESW_IbLb1EEEEDaSS_ST_EUlSS_E_NS1_11comp_targetILNS1_3genE10ELNS1_11target_archE1200ELNS1_3gpuE4ELNS1_3repE0EEENS1_30default_config_static_selectorELNS0_4arch9wavefront6targetE1EEEvT1_,comdat
	.protected	_ZN7rocprim17ROCPRIM_400000_NS6detail17trampoline_kernelINS0_14default_configENS1_20scan_config_selectorIxEEZZNS1_9scan_implILNS1_25lookback_scan_determinismE0ELb0ELb0ES3_N6thrust23THRUST_200600_302600_NS6detail15normal_iteratorINS9_10device_ptrIxEEEENS9_16discard_iteratorINS9_11use_defaultEEExNS9_4plusIvEExEEDaPvRmT3_T4_T5_mT6_P12ihipStream_tbENKUlT_T0_E_clISt17integral_constantIbLb0EESW_IbLb1EEEEDaSS_ST_EUlSS_E_NS1_11comp_targetILNS1_3genE10ELNS1_11target_archE1200ELNS1_3gpuE4ELNS1_3repE0EEENS1_30default_config_static_selectorELNS0_4arch9wavefront6targetE1EEEvT1_ ; -- Begin function _ZN7rocprim17ROCPRIM_400000_NS6detail17trampoline_kernelINS0_14default_configENS1_20scan_config_selectorIxEEZZNS1_9scan_implILNS1_25lookback_scan_determinismE0ELb0ELb0ES3_N6thrust23THRUST_200600_302600_NS6detail15normal_iteratorINS9_10device_ptrIxEEEENS9_16discard_iteratorINS9_11use_defaultEEExNS9_4plusIvEExEEDaPvRmT3_T4_T5_mT6_P12ihipStream_tbENKUlT_T0_E_clISt17integral_constantIbLb0EESW_IbLb1EEEEDaSS_ST_EUlSS_E_NS1_11comp_targetILNS1_3genE10ELNS1_11target_archE1200ELNS1_3gpuE4ELNS1_3repE0EEENS1_30default_config_static_selectorELNS0_4arch9wavefront6targetE1EEEvT1_
	.globl	_ZN7rocprim17ROCPRIM_400000_NS6detail17trampoline_kernelINS0_14default_configENS1_20scan_config_selectorIxEEZZNS1_9scan_implILNS1_25lookback_scan_determinismE0ELb0ELb0ES3_N6thrust23THRUST_200600_302600_NS6detail15normal_iteratorINS9_10device_ptrIxEEEENS9_16discard_iteratorINS9_11use_defaultEEExNS9_4plusIvEExEEDaPvRmT3_T4_T5_mT6_P12ihipStream_tbENKUlT_T0_E_clISt17integral_constantIbLb0EESW_IbLb1EEEEDaSS_ST_EUlSS_E_NS1_11comp_targetILNS1_3genE10ELNS1_11target_archE1200ELNS1_3gpuE4ELNS1_3repE0EEENS1_30default_config_static_selectorELNS0_4arch9wavefront6targetE1EEEvT1_
	.p2align	8
	.type	_ZN7rocprim17ROCPRIM_400000_NS6detail17trampoline_kernelINS0_14default_configENS1_20scan_config_selectorIxEEZZNS1_9scan_implILNS1_25lookback_scan_determinismE0ELb0ELb0ES3_N6thrust23THRUST_200600_302600_NS6detail15normal_iteratorINS9_10device_ptrIxEEEENS9_16discard_iteratorINS9_11use_defaultEEExNS9_4plusIvEExEEDaPvRmT3_T4_T5_mT6_P12ihipStream_tbENKUlT_T0_E_clISt17integral_constantIbLb0EESW_IbLb1EEEEDaSS_ST_EUlSS_E_NS1_11comp_targetILNS1_3genE10ELNS1_11target_archE1200ELNS1_3gpuE4ELNS1_3repE0EEENS1_30default_config_static_selectorELNS0_4arch9wavefront6targetE1EEEvT1_,@function
_ZN7rocprim17ROCPRIM_400000_NS6detail17trampoline_kernelINS0_14default_configENS1_20scan_config_selectorIxEEZZNS1_9scan_implILNS1_25lookback_scan_determinismE0ELb0ELb0ES3_N6thrust23THRUST_200600_302600_NS6detail15normal_iteratorINS9_10device_ptrIxEEEENS9_16discard_iteratorINS9_11use_defaultEEExNS9_4plusIvEExEEDaPvRmT3_T4_T5_mT6_P12ihipStream_tbENKUlT_T0_E_clISt17integral_constantIbLb0EESW_IbLb1EEEEDaSS_ST_EUlSS_E_NS1_11comp_targetILNS1_3genE10ELNS1_11target_archE1200ELNS1_3gpuE4ELNS1_3repE0EEENS1_30default_config_static_selectorELNS0_4arch9wavefront6targetE1EEEvT1_: ; @_ZN7rocprim17ROCPRIM_400000_NS6detail17trampoline_kernelINS0_14default_configENS1_20scan_config_selectorIxEEZZNS1_9scan_implILNS1_25lookback_scan_determinismE0ELb0ELb0ES3_N6thrust23THRUST_200600_302600_NS6detail15normal_iteratorINS9_10device_ptrIxEEEENS9_16discard_iteratorINS9_11use_defaultEEExNS9_4plusIvEExEEDaPvRmT3_T4_T5_mT6_P12ihipStream_tbENKUlT_T0_E_clISt17integral_constantIbLb0EESW_IbLb1EEEEDaSS_ST_EUlSS_E_NS1_11comp_targetILNS1_3genE10ELNS1_11target_archE1200ELNS1_3gpuE4ELNS1_3repE0EEENS1_30default_config_static_selectorELNS0_4arch9wavefront6targetE1EEEvT1_
; %bb.0:
	.section	.rodata,"a",@progbits
	.p2align	6, 0x0
	.amdhsa_kernel _ZN7rocprim17ROCPRIM_400000_NS6detail17trampoline_kernelINS0_14default_configENS1_20scan_config_selectorIxEEZZNS1_9scan_implILNS1_25lookback_scan_determinismE0ELb0ELb0ES3_N6thrust23THRUST_200600_302600_NS6detail15normal_iteratorINS9_10device_ptrIxEEEENS9_16discard_iteratorINS9_11use_defaultEEExNS9_4plusIvEExEEDaPvRmT3_T4_T5_mT6_P12ihipStream_tbENKUlT_T0_E_clISt17integral_constantIbLb0EESW_IbLb1EEEEDaSS_ST_EUlSS_E_NS1_11comp_targetILNS1_3genE10ELNS1_11target_archE1200ELNS1_3gpuE4ELNS1_3repE0EEENS1_30default_config_static_selectorELNS0_4arch9wavefront6targetE1EEEvT1_
		.amdhsa_group_segment_fixed_size 0
		.amdhsa_private_segment_fixed_size 0
		.amdhsa_kernarg_size 112
		.amdhsa_user_sgpr_count 6
		.amdhsa_user_sgpr_private_segment_buffer 1
		.amdhsa_user_sgpr_dispatch_ptr 0
		.amdhsa_user_sgpr_queue_ptr 0
		.amdhsa_user_sgpr_kernarg_segment_ptr 1
		.amdhsa_user_sgpr_dispatch_id 0
		.amdhsa_user_sgpr_flat_scratch_init 0
		.amdhsa_user_sgpr_kernarg_preload_length 0
		.amdhsa_user_sgpr_kernarg_preload_offset 0
		.amdhsa_user_sgpr_private_segment_size 0
		.amdhsa_uses_dynamic_stack 0
		.amdhsa_system_sgpr_private_segment_wavefront_offset 0
		.amdhsa_system_sgpr_workgroup_id_x 1
		.amdhsa_system_sgpr_workgroup_id_y 0
		.amdhsa_system_sgpr_workgroup_id_z 0
		.amdhsa_system_sgpr_workgroup_info 0
		.amdhsa_system_vgpr_workitem_id 0
		.amdhsa_next_free_vgpr 1
		.amdhsa_next_free_sgpr 0
		.amdhsa_accum_offset 4
		.amdhsa_reserve_vcc 0
		.amdhsa_reserve_flat_scratch 0
		.amdhsa_float_round_mode_32 0
		.amdhsa_float_round_mode_16_64 0
		.amdhsa_float_denorm_mode_32 3
		.amdhsa_float_denorm_mode_16_64 3
		.amdhsa_dx10_clamp 1
		.amdhsa_ieee_mode 1
		.amdhsa_fp16_overflow 0
		.amdhsa_tg_split 0
		.amdhsa_exception_fp_ieee_invalid_op 0
		.amdhsa_exception_fp_denorm_src 0
		.amdhsa_exception_fp_ieee_div_zero 0
		.amdhsa_exception_fp_ieee_overflow 0
		.amdhsa_exception_fp_ieee_underflow 0
		.amdhsa_exception_fp_ieee_inexact 0
		.amdhsa_exception_int_div_zero 0
	.end_amdhsa_kernel
	.section	.text._ZN7rocprim17ROCPRIM_400000_NS6detail17trampoline_kernelINS0_14default_configENS1_20scan_config_selectorIxEEZZNS1_9scan_implILNS1_25lookback_scan_determinismE0ELb0ELb0ES3_N6thrust23THRUST_200600_302600_NS6detail15normal_iteratorINS9_10device_ptrIxEEEENS9_16discard_iteratorINS9_11use_defaultEEExNS9_4plusIvEExEEDaPvRmT3_T4_T5_mT6_P12ihipStream_tbENKUlT_T0_E_clISt17integral_constantIbLb0EESW_IbLb1EEEEDaSS_ST_EUlSS_E_NS1_11comp_targetILNS1_3genE10ELNS1_11target_archE1200ELNS1_3gpuE4ELNS1_3repE0EEENS1_30default_config_static_selectorELNS0_4arch9wavefront6targetE1EEEvT1_,"axG",@progbits,_ZN7rocprim17ROCPRIM_400000_NS6detail17trampoline_kernelINS0_14default_configENS1_20scan_config_selectorIxEEZZNS1_9scan_implILNS1_25lookback_scan_determinismE0ELb0ELb0ES3_N6thrust23THRUST_200600_302600_NS6detail15normal_iteratorINS9_10device_ptrIxEEEENS9_16discard_iteratorINS9_11use_defaultEEExNS9_4plusIvEExEEDaPvRmT3_T4_T5_mT6_P12ihipStream_tbENKUlT_T0_E_clISt17integral_constantIbLb0EESW_IbLb1EEEEDaSS_ST_EUlSS_E_NS1_11comp_targetILNS1_3genE10ELNS1_11target_archE1200ELNS1_3gpuE4ELNS1_3repE0EEENS1_30default_config_static_selectorELNS0_4arch9wavefront6targetE1EEEvT1_,comdat
.Lfunc_end5642:
	.size	_ZN7rocprim17ROCPRIM_400000_NS6detail17trampoline_kernelINS0_14default_configENS1_20scan_config_selectorIxEEZZNS1_9scan_implILNS1_25lookback_scan_determinismE0ELb0ELb0ES3_N6thrust23THRUST_200600_302600_NS6detail15normal_iteratorINS9_10device_ptrIxEEEENS9_16discard_iteratorINS9_11use_defaultEEExNS9_4plusIvEExEEDaPvRmT3_T4_T5_mT6_P12ihipStream_tbENKUlT_T0_E_clISt17integral_constantIbLb0EESW_IbLb1EEEEDaSS_ST_EUlSS_E_NS1_11comp_targetILNS1_3genE10ELNS1_11target_archE1200ELNS1_3gpuE4ELNS1_3repE0EEENS1_30default_config_static_selectorELNS0_4arch9wavefront6targetE1EEEvT1_, .Lfunc_end5642-_ZN7rocprim17ROCPRIM_400000_NS6detail17trampoline_kernelINS0_14default_configENS1_20scan_config_selectorIxEEZZNS1_9scan_implILNS1_25lookback_scan_determinismE0ELb0ELb0ES3_N6thrust23THRUST_200600_302600_NS6detail15normal_iteratorINS9_10device_ptrIxEEEENS9_16discard_iteratorINS9_11use_defaultEEExNS9_4plusIvEExEEDaPvRmT3_T4_T5_mT6_P12ihipStream_tbENKUlT_T0_E_clISt17integral_constantIbLb0EESW_IbLb1EEEEDaSS_ST_EUlSS_E_NS1_11comp_targetILNS1_3genE10ELNS1_11target_archE1200ELNS1_3gpuE4ELNS1_3repE0EEENS1_30default_config_static_selectorELNS0_4arch9wavefront6targetE1EEEvT1_
                                        ; -- End function
	.section	.AMDGPU.csdata,"",@progbits
; Kernel info:
; codeLenInByte = 0
; NumSgprs: 4
; NumVgprs: 0
; NumAgprs: 0
; TotalNumVgprs: 0
; ScratchSize: 0
; MemoryBound: 0
; FloatMode: 240
; IeeeMode: 1
; LDSByteSize: 0 bytes/workgroup (compile time only)
; SGPRBlocks: 0
; VGPRBlocks: 0
; NumSGPRsForWavesPerEU: 4
; NumVGPRsForWavesPerEU: 1
; AccumOffset: 4
; Occupancy: 8
; WaveLimiterHint : 0
; COMPUTE_PGM_RSRC2:SCRATCH_EN: 0
; COMPUTE_PGM_RSRC2:USER_SGPR: 6
; COMPUTE_PGM_RSRC2:TRAP_HANDLER: 0
; COMPUTE_PGM_RSRC2:TGID_X_EN: 1
; COMPUTE_PGM_RSRC2:TGID_Y_EN: 0
; COMPUTE_PGM_RSRC2:TGID_Z_EN: 0
; COMPUTE_PGM_RSRC2:TIDIG_COMP_CNT: 0
; COMPUTE_PGM_RSRC3_GFX90A:ACCUM_OFFSET: 0
; COMPUTE_PGM_RSRC3_GFX90A:TG_SPLIT: 0
	.section	.text._ZN7rocprim17ROCPRIM_400000_NS6detail17trampoline_kernelINS0_14default_configENS1_20scan_config_selectorIxEEZZNS1_9scan_implILNS1_25lookback_scan_determinismE0ELb0ELb0ES3_N6thrust23THRUST_200600_302600_NS6detail15normal_iteratorINS9_10device_ptrIxEEEENS9_16discard_iteratorINS9_11use_defaultEEExNS9_4plusIvEExEEDaPvRmT3_T4_T5_mT6_P12ihipStream_tbENKUlT_T0_E_clISt17integral_constantIbLb0EESW_IbLb1EEEEDaSS_ST_EUlSS_E_NS1_11comp_targetILNS1_3genE9ELNS1_11target_archE1100ELNS1_3gpuE3ELNS1_3repE0EEENS1_30default_config_static_selectorELNS0_4arch9wavefront6targetE1EEEvT1_,"axG",@progbits,_ZN7rocprim17ROCPRIM_400000_NS6detail17trampoline_kernelINS0_14default_configENS1_20scan_config_selectorIxEEZZNS1_9scan_implILNS1_25lookback_scan_determinismE0ELb0ELb0ES3_N6thrust23THRUST_200600_302600_NS6detail15normal_iteratorINS9_10device_ptrIxEEEENS9_16discard_iteratorINS9_11use_defaultEEExNS9_4plusIvEExEEDaPvRmT3_T4_T5_mT6_P12ihipStream_tbENKUlT_T0_E_clISt17integral_constantIbLb0EESW_IbLb1EEEEDaSS_ST_EUlSS_E_NS1_11comp_targetILNS1_3genE9ELNS1_11target_archE1100ELNS1_3gpuE3ELNS1_3repE0EEENS1_30default_config_static_selectorELNS0_4arch9wavefront6targetE1EEEvT1_,comdat
	.protected	_ZN7rocprim17ROCPRIM_400000_NS6detail17trampoline_kernelINS0_14default_configENS1_20scan_config_selectorIxEEZZNS1_9scan_implILNS1_25lookback_scan_determinismE0ELb0ELb0ES3_N6thrust23THRUST_200600_302600_NS6detail15normal_iteratorINS9_10device_ptrIxEEEENS9_16discard_iteratorINS9_11use_defaultEEExNS9_4plusIvEExEEDaPvRmT3_T4_T5_mT6_P12ihipStream_tbENKUlT_T0_E_clISt17integral_constantIbLb0EESW_IbLb1EEEEDaSS_ST_EUlSS_E_NS1_11comp_targetILNS1_3genE9ELNS1_11target_archE1100ELNS1_3gpuE3ELNS1_3repE0EEENS1_30default_config_static_selectorELNS0_4arch9wavefront6targetE1EEEvT1_ ; -- Begin function _ZN7rocprim17ROCPRIM_400000_NS6detail17trampoline_kernelINS0_14default_configENS1_20scan_config_selectorIxEEZZNS1_9scan_implILNS1_25lookback_scan_determinismE0ELb0ELb0ES3_N6thrust23THRUST_200600_302600_NS6detail15normal_iteratorINS9_10device_ptrIxEEEENS9_16discard_iteratorINS9_11use_defaultEEExNS9_4plusIvEExEEDaPvRmT3_T4_T5_mT6_P12ihipStream_tbENKUlT_T0_E_clISt17integral_constantIbLb0EESW_IbLb1EEEEDaSS_ST_EUlSS_E_NS1_11comp_targetILNS1_3genE9ELNS1_11target_archE1100ELNS1_3gpuE3ELNS1_3repE0EEENS1_30default_config_static_selectorELNS0_4arch9wavefront6targetE1EEEvT1_
	.globl	_ZN7rocprim17ROCPRIM_400000_NS6detail17trampoline_kernelINS0_14default_configENS1_20scan_config_selectorIxEEZZNS1_9scan_implILNS1_25lookback_scan_determinismE0ELb0ELb0ES3_N6thrust23THRUST_200600_302600_NS6detail15normal_iteratorINS9_10device_ptrIxEEEENS9_16discard_iteratorINS9_11use_defaultEEExNS9_4plusIvEExEEDaPvRmT3_T4_T5_mT6_P12ihipStream_tbENKUlT_T0_E_clISt17integral_constantIbLb0EESW_IbLb1EEEEDaSS_ST_EUlSS_E_NS1_11comp_targetILNS1_3genE9ELNS1_11target_archE1100ELNS1_3gpuE3ELNS1_3repE0EEENS1_30default_config_static_selectorELNS0_4arch9wavefront6targetE1EEEvT1_
	.p2align	8
	.type	_ZN7rocprim17ROCPRIM_400000_NS6detail17trampoline_kernelINS0_14default_configENS1_20scan_config_selectorIxEEZZNS1_9scan_implILNS1_25lookback_scan_determinismE0ELb0ELb0ES3_N6thrust23THRUST_200600_302600_NS6detail15normal_iteratorINS9_10device_ptrIxEEEENS9_16discard_iteratorINS9_11use_defaultEEExNS9_4plusIvEExEEDaPvRmT3_T4_T5_mT6_P12ihipStream_tbENKUlT_T0_E_clISt17integral_constantIbLb0EESW_IbLb1EEEEDaSS_ST_EUlSS_E_NS1_11comp_targetILNS1_3genE9ELNS1_11target_archE1100ELNS1_3gpuE3ELNS1_3repE0EEENS1_30default_config_static_selectorELNS0_4arch9wavefront6targetE1EEEvT1_,@function
_ZN7rocprim17ROCPRIM_400000_NS6detail17trampoline_kernelINS0_14default_configENS1_20scan_config_selectorIxEEZZNS1_9scan_implILNS1_25lookback_scan_determinismE0ELb0ELb0ES3_N6thrust23THRUST_200600_302600_NS6detail15normal_iteratorINS9_10device_ptrIxEEEENS9_16discard_iteratorINS9_11use_defaultEEExNS9_4plusIvEExEEDaPvRmT3_T4_T5_mT6_P12ihipStream_tbENKUlT_T0_E_clISt17integral_constantIbLb0EESW_IbLb1EEEEDaSS_ST_EUlSS_E_NS1_11comp_targetILNS1_3genE9ELNS1_11target_archE1100ELNS1_3gpuE3ELNS1_3repE0EEENS1_30default_config_static_selectorELNS0_4arch9wavefront6targetE1EEEvT1_: ; @_ZN7rocprim17ROCPRIM_400000_NS6detail17trampoline_kernelINS0_14default_configENS1_20scan_config_selectorIxEEZZNS1_9scan_implILNS1_25lookback_scan_determinismE0ELb0ELb0ES3_N6thrust23THRUST_200600_302600_NS6detail15normal_iteratorINS9_10device_ptrIxEEEENS9_16discard_iteratorINS9_11use_defaultEEExNS9_4plusIvEExEEDaPvRmT3_T4_T5_mT6_P12ihipStream_tbENKUlT_T0_E_clISt17integral_constantIbLb0EESW_IbLb1EEEEDaSS_ST_EUlSS_E_NS1_11comp_targetILNS1_3genE9ELNS1_11target_archE1100ELNS1_3gpuE3ELNS1_3repE0EEENS1_30default_config_static_selectorELNS0_4arch9wavefront6targetE1EEEvT1_
; %bb.0:
	.section	.rodata,"a",@progbits
	.p2align	6, 0x0
	.amdhsa_kernel _ZN7rocprim17ROCPRIM_400000_NS6detail17trampoline_kernelINS0_14default_configENS1_20scan_config_selectorIxEEZZNS1_9scan_implILNS1_25lookback_scan_determinismE0ELb0ELb0ES3_N6thrust23THRUST_200600_302600_NS6detail15normal_iteratorINS9_10device_ptrIxEEEENS9_16discard_iteratorINS9_11use_defaultEEExNS9_4plusIvEExEEDaPvRmT3_T4_T5_mT6_P12ihipStream_tbENKUlT_T0_E_clISt17integral_constantIbLb0EESW_IbLb1EEEEDaSS_ST_EUlSS_E_NS1_11comp_targetILNS1_3genE9ELNS1_11target_archE1100ELNS1_3gpuE3ELNS1_3repE0EEENS1_30default_config_static_selectorELNS0_4arch9wavefront6targetE1EEEvT1_
		.amdhsa_group_segment_fixed_size 0
		.amdhsa_private_segment_fixed_size 0
		.amdhsa_kernarg_size 112
		.amdhsa_user_sgpr_count 6
		.amdhsa_user_sgpr_private_segment_buffer 1
		.amdhsa_user_sgpr_dispatch_ptr 0
		.amdhsa_user_sgpr_queue_ptr 0
		.amdhsa_user_sgpr_kernarg_segment_ptr 1
		.amdhsa_user_sgpr_dispatch_id 0
		.amdhsa_user_sgpr_flat_scratch_init 0
		.amdhsa_user_sgpr_kernarg_preload_length 0
		.amdhsa_user_sgpr_kernarg_preload_offset 0
		.amdhsa_user_sgpr_private_segment_size 0
		.amdhsa_uses_dynamic_stack 0
		.amdhsa_system_sgpr_private_segment_wavefront_offset 0
		.amdhsa_system_sgpr_workgroup_id_x 1
		.amdhsa_system_sgpr_workgroup_id_y 0
		.amdhsa_system_sgpr_workgroup_id_z 0
		.amdhsa_system_sgpr_workgroup_info 0
		.amdhsa_system_vgpr_workitem_id 0
		.amdhsa_next_free_vgpr 1
		.amdhsa_next_free_sgpr 0
		.amdhsa_accum_offset 4
		.amdhsa_reserve_vcc 0
		.amdhsa_reserve_flat_scratch 0
		.amdhsa_float_round_mode_32 0
		.amdhsa_float_round_mode_16_64 0
		.amdhsa_float_denorm_mode_32 3
		.amdhsa_float_denorm_mode_16_64 3
		.amdhsa_dx10_clamp 1
		.amdhsa_ieee_mode 1
		.amdhsa_fp16_overflow 0
		.amdhsa_tg_split 0
		.amdhsa_exception_fp_ieee_invalid_op 0
		.amdhsa_exception_fp_denorm_src 0
		.amdhsa_exception_fp_ieee_div_zero 0
		.amdhsa_exception_fp_ieee_overflow 0
		.amdhsa_exception_fp_ieee_underflow 0
		.amdhsa_exception_fp_ieee_inexact 0
		.amdhsa_exception_int_div_zero 0
	.end_amdhsa_kernel
	.section	.text._ZN7rocprim17ROCPRIM_400000_NS6detail17trampoline_kernelINS0_14default_configENS1_20scan_config_selectorIxEEZZNS1_9scan_implILNS1_25lookback_scan_determinismE0ELb0ELb0ES3_N6thrust23THRUST_200600_302600_NS6detail15normal_iteratorINS9_10device_ptrIxEEEENS9_16discard_iteratorINS9_11use_defaultEEExNS9_4plusIvEExEEDaPvRmT3_T4_T5_mT6_P12ihipStream_tbENKUlT_T0_E_clISt17integral_constantIbLb0EESW_IbLb1EEEEDaSS_ST_EUlSS_E_NS1_11comp_targetILNS1_3genE9ELNS1_11target_archE1100ELNS1_3gpuE3ELNS1_3repE0EEENS1_30default_config_static_selectorELNS0_4arch9wavefront6targetE1EEEvT1_,"axG",@progbits,_ZN7rocprim17ROCPRIM_400000_NS6detail17trampoline_kernelINS0_14default_configENS1_20scan_config_selectorIxEEZZNS1_9scan_implILNS1_25lookback_scan_determinismE0ELb0ELb0ES3_N6thrust23THRUST_200600_302600_NS6detail15normal_iteratorINS9_10device_ptrIxEEEENS9_16discard_iteratorINS9_11use_defaultEEExNS9_4plusIvEExEEDaPvRmT3_T4_T5_mT6_P12ihipStream_tbENKUlT_T0_E_clISt17integral_constantIbLb0EESW_IbLb1EEEEDaSS_ST_EUlSS_E_NS1_11comp_targetILNS1_3genE9ELNS1_11target_archE1100ELNS1_3gpuE3ELNS1_3repE0EEENS1_30default_config_static_selectorELNS0_4arch9wavefront6targetE1EEEvT1_,comdat
.Lfunc_end5643:
	.size	_ZN7rocprim17ROCPRIM_400000_NS6detail17trampoline_kernelINS0_14default_configENS1_20scan_config_selectorIxEEZZNS1_9scan_implILNS1_25lookback_scan_determinismE0ELb0ELb0ES3_N6thrust23THRUST_200600_302600_NS6detail15normal_iteratorINS9_10device_ptrIxEEEENS9_16discard_iteratorINS9_11use_defaultEEExNS9_4plusIvEExEEDaPvRmT3_T4_T5_mT6_P12ihipStream_tbENKUlT_T0_E_clISt17integral_constantIbLb0EESW_IbLb1EEEEDaSS_ST_EUlSS_E_NS1_11comp_targetILNS1_3genE9ELNS1_11target_archE1100ELNS1_3gpuE3ELNS1_3repE0EEENS1_30default_config_static_selectorELNS0_4arch9wavefront6targetE1EEEvT1_, .Lfunc_end5643-_ZN7rocprim17ROCPRIM_400000_NS6detail17trampoline_kernelINS0_14default_configENS1_20scan_config_selectorIxEEZZNS1_9scan_implILNS1_25lookback_scan_determinismE0ELb0ELb0ES3_N6thrust23THRUST_200600_302600_NS6detail15normal_iteratorINS9_10device_ptrIxEEEENS9_16discard_iteratorINS9_11use_defaultEEExNS9_4plusIvEExEEDaPvRmT3_T4_T5_mT6_P12ihipStream_tbENKUlT_T0_E_clISt17integral_constantIbLb0EESW_IbLb1EEEEDaSS_ST_EUlSS_E_NS1_11comp_targetILNS1_3genE9ELNS1_11target_archE1100ELNS1_3gpuE3ELNS1_3repE0EEENS1_30default_config_static_selectorELNS0_4arch9wavefront6targetE1EEEvT1_
                                        ; -- End function
	.section	.AMDGPU.csdata,"",@progbits
; Kernel info:
; codeLenInByte = 0
; NumSgprs: 4
; NumVgprs: 0
; NumAgprs: 0
; TotalNumVgprs: 0
; ScratchSize: 0
; MemoryBound: 0
; FloatMode: 240
; IeeeMode: 1
; LDSByteSize: 0 bytes/workgroup (compile time only)
; SGPRBlocks: 0
; VGPRBlocks: 0
; NumSGPRsForWavesPerEU: 4
; NumVGPRsForWavesPerEU: 1
; AccumOffset: 4
; Occupancy: 8
; WaveLimiterHint : 0
; COMPUTE_PGM_RSRC2:SCRATCH_EN: 0
; COMPUTE_PGM_RSRC2:USER_SGPR: 6
; COMPUTE_PGM_RSRC2:TRAP_HANDLER: 0
; COMPUTE_PGM_RSRC2:TGID_X_EN: 1
; COMPUTE_PGM_RSRC2:TGID_Y_EN: 0
; COMPUTE_PGM_RSRC2:TGID_Z_EN: 0
; COMPUTE_PGM_RSRC2:TIDIG_COMP_CNT: 0
; COMPUTE_PGM_RSRC3_GFX90A:ACCUM_OFFSET: 0
; COMPUTE_PGM_RSRC3_GFX90A:TG_SPLIT: 0
	.section	.text._ZN7rocprim17ROCPRIM_400000_NS6detail17trampoline_kernelINS0_14default_configENS1_20scan_config_selectorIxEEZZNS1_9scan_implILNS1_25lookback_scan_determinismE0ELb0ELb0ES3_N6thrust23THRUST_200600_302600_NS6detail15normal_iteratorINS9_10device_ptrIxEEEENS9_16discard_iteratorINS9_11use_defaultEEExNS9_4plusIvEExEEDaPvRmT3_T4_T5_mT6_P12ihipStream_tbENKUlT_T0_E_clISt17integral_constantIbLb0EESW_IbLb1EEEEDaSS_ST_EUlSS_E_NS1_11comp_targetILNS1_3genE8ELNS1_11target_archE1030ELNS1_3gpuE2ELNS1_3repE0EEENS1_30default_config_static_selectorELNS0_4arch9wavefront6targetE1EEEvT1_,"axG",@progbits,_ZN7rocprim17ROCPRIM_400000_NS6detail17trampoline_kernelINS0_14default_configENS1_20scan_config_selectorIxEEZZNS1_9scan_implILNS1_25lookback_scan_determinismE0ELb0ELb0ES3_N6thrust23THRUST_200600_302600_NS6detail15normal_iteratorINS9_10device_ptrIxEEEENS9_16discard_iteratorINS9_11use_defaultEEExNS9_4plusIvEExEEDaPvRmT3_T4_T5_mT6_P12ihipStream_tbENKUlT_T0_E_clISt17integral_constantIbLb0EESW_IbLb1EEEEDaSS_ST_EUlSS_E_NS1_11comp_targetILNS1_3genE8ELNS1_11target_archE1030ELNS1_3gpuE2ELNS1_3repE0EEENS1_30default_config_static_selectorELNS0_4arch9wavefront6targetE1EEEvT1_,comdat
	.protected	_ZN7rocprim17ROCPRIM_400000_NS6detail17trampoline_kernelINS0_14default_configENS1_20scan_config_selectorIxEEZZNS1_9scan_implILNS1_25lookback_scan_determinismE0ELb0ELb0ES3_N6thrust23THRUST_200600_302600_NS6detail15normal_iteratorINS9_10device_ptrIxEEEENS9_16discard_iteratorINS9_11use_defaultEEExNS9_4plusIvEExEEDaPvRmT3_T4_T5_mT6_P12ihipStream_tbENKUlT_T0_E_clISt17integral_constantIbLb0EESW_IbLb1EEEEDaSS_ST_EUlSS_E_NS1_11comp_targetILNS1_3genE8ELNS1_11target_archE1030ELNS1_3gpuE2ELNS1_3repE0EEENS1_30default_config_static_selectorELNS0_4arch9wavefront6targetE1EEEvT1_ ; -- Begin function _ZN7rocprim17ROCPRIM_400000_NS6detail17trampoline_kernelINS0_14default_configENS1_20scan_config_selectorIxEEZZNS1_9scan_implILNS1_25lookback_scan_determinismE0ELb0ELb0ES3_N6thrust23THRUST_200600_302600_NS6detail15normal_iteratorINS9_10device_ptrIxEEEENS9_16discard_iteratorINS9_11use_defaultEEExNS9_4plusIvEExEEDaPvRmT3_T4_T5_mT6_P12ihipStream_tbENKUlT_T0_E_clISt17integral_constantIbLb0EESW_IbLb1EEEEDaSS_ST_EUlSS_E_NS1_11comp_targetILNS1_3genE8ELNS1_11target_archE1030ELNS1_3gpuE2ELNS1_3repE0EEENS1_30default_config_static_selectorELNS0_4arch9wavefront6targetE1EEEvT1_
	.globl	_ZN7rocprim17ROCPRIM_400000_NS6detail17trampoline_kernelINS0_14default_configENS1_20scan_config_selectorIxEEZZNS1_9scan_implILNS1_25lookback_scan_determinismE0ELb0ELb0ES3_N6thrust23THRUST_200600_302600_NS6detail15normal_iteratorINS9_10device_ptrIxEEEENS9_16discard_iteratorINS9_11use_defaultEEExNS9_4plusIvEExEEDaPvRmT3_T4_T5_mT6_P12ihipStream_tbENKUlT_T0_E_clISt17integral_constantIbLb0EESW_IbLb1EEEEDaSS_ST_EUlSS_E_NS1_11comp_targetILNS1_3genE8ELNS1_11target_archE1030ELNS1_3gpuE2ELNS1_3repE0EEENS1_30default_config_static_selectorELNS0_4arch9wavefront6targetE1EEEvT1_
	.p2align	8
	.type	_ZN7rocprim17ROCPRIM_400000_NS6detail17trampoline_kernelINS0_14default_configENS1_20scan_config_selectorIxEEZZNS1_9scan_implILNS1_25lookback_scan_determinismE0ELb0ELb0ES3_N6thrust23THRUST_200600_302600_NS6detail15normal_iteratorINS9_10device_ptrIxEEEENS9_16discard_iteratorINS9_11use_defaultEEExNS9_4plusIvEExEEDaPvRmT3_T4_T5_mT6_P12ihipStream_tbENKUlT_T0_E_clISt17integral_constantIbLb0EESW_IbLb1EEEEDaSS_ST_EUlSS_E_NS1_11comp_targetILNS1_3genE8ELNS1_11target_archE1030ELNS1_3gpuE2ELNS1_3repE0EEENS1_30default_config_static_selectorELNS0_4arch9wavefront6targetE1EEEvT1_,@function
_ZN7rocprim17ROCPRIM_400000_NS6detail17trampoline_kernelINS0_14default_configENS1_20scan_config_selectorIxEEZZNS1_9scan_implILNS1_25lookback_scan_determinismE0ELb0ELb0ES3_N6thrust23THRUST_200600_302600_NS6detail15normal_iteratorINS9_10device_ptrIxEEEENS9_16discard_iteratorINS9_11use_defaultEEExNS9_4plusIvEExEEDaPvRmT3_T4_T5_mT6_P12ihipStream_tbENKUlT_T0_E_clISt17integral_constantIbLb0EESW_IbLb1EEEEDaSS_ST_EUlSS_E_NS1_11comp_targetILNS1_3genE8ELNS1_11target_archE1030ELNS1_3gpuE2ELNS1_3repE0EEENS1_30default_config_static_selectorELNS0_4arch9wavefront6targetE1EEEvT1_: ; @_ZN7rocprim17ROCPRIM_400000_NS6detail17trampoline_kernelINS0_14default_configENS1_20scan_config_selectorIxEEZZNS1_9scan_implILNS1_25lookback_scan_determinismE0ELb0ELb0ES3_N6thrust23THRUST_200600_302600_NS6detail15normal_iteratorINS9_10device_ptrIxEEEENS9_16discard_iteratorINS9_11use_defaultEEExNS9_4plusIvEExEEDaPvRmT3_T4_T5_mT6_P12ihipStream_tbENKUlT_T0_E_clISt17integral_constantIbLb0EESW_IbLb1EEEEDaSS_ST_EUlSS_E_NS1_11comp_targetILNS1_3genE8ELNS1_11target_archE1030ELNS1_3gpuE2ELNS1_3repE0EEENS1_30default_config_static_selectorELNS0_4arch9wavefront6targetE1EEEvT1_
; %bb.0:
	.section	.rodata,"a",@progbits
	.p2align	6, 0x0
	.amdhsa_kernel _ZN7rocprim17ROCPRIM_400000_NS6detail17trampoline_kernelINS0_14default_configENS1_20scan_config_selectorIxEEZZNS1_9scan_implILNS1_25lookback_scan_determinismE0ELb0ELb0ES3_N6thrust23THRUST_200600_302600_NS6detail15normal_iteratorINS9_10device_ptrIxEEEENS9_16discard_iteratorINS9_11use_defaultEEExNS9_4plusIvEExEEDaPvRmT3_T4_T5_mT6_P12ihipStream_tbENKUlT_T0_E_clISt17integral_constantIbLb0EESW_IbLb1EEEEDaSS_ST_EUlSS_E_NS1_11comp_targetILNS1_3genE8ELNS1_11target_archE1030ELNS1_3gpuE2ELNS1_3repE0EEENS1_30default_config_static_selectorELNS0_4arch9wavefront6targetE1EEEvT1_
		.amdhsa_group_segment_fixed_size 0
		.amdhsa_private_segment_fixed_size 0
		.amdhsa_kernarg_size 112
		.amdhsa_user_sgpr_count 6
		.amdhsa_user_sgpr_private_segment_buffer 1
		.amdhsa_user_sgpr_dispatch_ptr 0
		.amdhsa_user_sgpr_queue_ptr 0
		.amdhsa_user_sgpr_kernarg_segment_ptr 1
		.amdhsa_user_sgpr_dispatch_id 0
		.amdhsa_user_sgpr_flat_scratch_init 0
		.amdhsa_user_sgpr_kernarg_preload_length 0
		.amdhsa_user_sgpr_kernarg_preload_offset 0
		.amdhsa_user_sgpr_private_segment_size 0
		.amdhsa_uses_dynamic_stack 0
		.amdhsa_system_sgpr_private_segment_wavefront_offset 0
		.amdhsa_system_sgpr_workgroup_id_x 1
		.amdhsa_system_sgpr_workgroup_id_y 0
		.amdhsa_system_sgpr_workgroup_id_z 0
		.amdhsa_system_sgpr_workgroup_info 0
		.amdhsa_system_vgpr_workitem_id 0
		.amdhsa_next_free_vgpr 1
		.amdhsa_next_free_sgpr 0
		.amdhsa_accum_offset 4
		.amdhsa_reserve_vcc 0
		.amdhsa_reserve_flat_scratch 0
		.amdhsa_float_round_mode_32 0
		.amdhsa_float_round_mode_16_64 0
		.amdhsa_float_denorm_mode_32 3
		.amdhsa_float_denorm_mode_16_64 3
		.amdhsa_dx10_clamp 1
		.amdhsa_ieee_mode 1
		.amdhsa_fp16_overflow 0
		.amdhsa_tg_split 0
		.amdhsa_exception_fp_ieee_invalid_op 0
		.amdhsa_exception_fp_denorm_src 0
		.amdhsa_exception_fp_ieee_div_zero 0
		.amdhsa_exception_fp_ieee_overflow 0
		.amdhsa_exception_fp_ieee_underflow 0
		.amdhsa_exception_fp_ieee_inexact 0
		.amdhsa_exception_int_div_zero 0
	.end_amdhsa_kernel
	.section	.text._ZN7rocprim17ROCPRIM_400000_NS6detail17trampoline_kernelINS0_14default_configENS1_20scan_config_selectorIxEEZZNS1_9scan_implILNS1_25lookback_scan_determinismE0ELb0ELb0ES3_N6thrust23THRUST_200600_302600_NS6detail15normal_iteratorINS9_10device_ptrIxEEEENS9_16discard_iteratorINS9_11use_defaultEEExNS9_4plusIvEExEEDaPvRmT3_T4_T5_mT6_P12ihipStream_tbENKUlT_T0_E_clISt17integral_constantIbLb0EESW_IbLb1EEEEDaSS_ST_EUlSS_E_NS1_11comp_targetILNS1_3genE8ELNS1_11target_archE1030ELNS1_3gpuE2ELNS1_3repE0EEENS1_30default_config_static_selectorELNS0_4arch9wavefront6targetE1EEEvT1_,"axG",@progbits,_ZN7rocprim17ROCPRIM_400000_NS6detail17trampoline_kernelINS0_14default_configENS1_20scan_config_selectorIxEEZZNS1_9scan_implILNS1_25lookback_scan_determinismE0ELb0ELb0ES3_N6thrust23THRUST_200600_302600_NS6detail15normal_iteratorINS9_10device_ptrIxEEEENS9_16discard_iteratorINS9_11use_defaultEEExNS9_4plusIvEExEEDaPvRmT3_T4_T5_mT6_P12ihipStream_tbENKUlT_T0_E_clISt17integral_constantIbLb0EESW_IbLb1EEEEDaSS_ST_EUlSS_E_NS1_11comp_targetILNS1_3genE8ELNS1_11target_archE1030ELNS1_3gpuE2ELNS1_3repE0EEENS1_30default_config_static_selectorELNS0_4arch9wavefront6targetE1EEEvT1_,comdat
.Lfunc_end5644:
	.size	_ZN7rocprim17ROCPRIM_400000_NS6detail17trampoline_kernelINS0_14default_configENS1_20scan_config_selectorIxEEZZNS1_9scan_implILNS1_25lookback_scan_determinismE0ELb0ELb0ES3_N6thrust23THRUST_200600_302600_NS6detail15normal_iteratorINS9_10device_ptrIxEEEENS9_16discard_iteratorINS9_11use_defaultEEExNS9_4plusIvEExEEDaPvRmT3_T4_T5_mT6_P12ihipStream_tbENKUlT_T0_E_clISt17integral_constantIbLb0EESW_IbLb1EEEEDaSS_ST_EUlSS_E_NS1_11comp_targetILNS1_3genE8ELNS1_11target_archE1030ELNS1_3gpuE2ELNS1_3repE0EEENS1_30default_config_static_selectorELNS0_4arch9wavefront6targetE1EEEvT1_, .Lfunc_end5644-_ZN7rocprim17ROCPRIM_400000_NS6detail17trampoline_kernelINS0_14default_configENS1_20scan_config_selectorIxEEZZNS1_9scan_implILNS1_25lookback_scan_determinismE0ELb0ELb0ES3_N6thrust23THRUST_200600_302600_NS6detail15normal_iteratorINS9_10device_ptrIxEEEENS9_16discard_iteratorINS9_11use_defaultEEExNS9_4plusIvEExEEDaPvRmT3_T4_T5_mT6_P12ihipStream_tbENKUlT_T0_E_clISt17integral_constantIbLb0EESW_IbLb1EEEEDaSS_ST_EUlSS_E_NS1_11comp_targetILNS1_3genE8ELNS1_11target_archE1030ELNS1_3gpuE2ELNS1_3repE0EEENS1_30default_config_static_selectorELNS0_4arch9wavefront6targetE1EEEvT1_
                                        ; -- End function
	.section	.AMDGPU.csdata,"",@progbits
; Kernel info:
; codeLenInByte = 0
; NumSgprs: 4
; NumVgprs: 0
; NumAgprs: 0
; TotalNumVgprs: 0
; ScratchSize: 0
; MemoryBound: 0
; FloatMode: 240
; IeeeMode: 1
; LDSByteSize: 0 bytes/workgroup (compile time only)
; SGPRBlocks: 0
; VGPRBlocks: 0
; NumSGPRsForWavesPerEU: 4
; NumVGPRsForWavesPerEU: 1
; AccumOffset: 4
; Occupancy: 8
; WaveLimiterHint : 0
; COMPUTE_PGM_RSRC2:SCRATCH_EN: 0
; COMPUTE_PGM_RSRC2:USER_SGPR: 6
; COMPUTE_PGM_RSRC2:TRAP_HANDLER: 0
; COMPUTE_PGM_RSRC2:TGID_X_EN: 1
; COMPUTE_PGM_RSRC2:TGID_Y_EN: 0
; COMPUTE_PGM_RSRC2:TGID_Z_EN: 0
; COMPUTE_PGM_RSRC2:TIDIG_COMP_CNT: 0
; COMPUTE_PGM_RSRC3_GFX90A:ACCUM_OFFSET: 0
; COMPUTE_PGM_RSRC3_GFX90A:TG_SPLIT: 0
	.section	.text._ZN7rocprim17ROCPRIM_400000_NS6detail17trampoline_kernelINS0_14default_configENS1_20scan_config_selectorIxEEZZNS1_9scan_implILNS1_25lookback_scan_determinismE0ELb0ELb0ES3_N6thrust23THRUST_200600_302600_NS6detail15normal_iteratorINS9_10device_ptrIxEEEENS9_16discard_iteratorINS9_11use_defaultEEExNS9_4plusIvEExEEDaPvRmT3_T4_T5_mT6_P12ihipStream_tbENKUlT_T0_E_clISt17integral_constantIbLb0EESW_IbLb1EEEEDaSS_ST_EUlSS_E0_NS1_11comp_targetILNS1_3genE0ELNS1_11target_archE4294967295ELNS1_3gpuE0ELNS1_3repE0EEENS1_30default_config_static_selectorELNS0_4arch9wavefront6targetE1EEEvT1_,"axG",@progbits,_ZN7rocprim17ROCPRIM_400000_NS6detail17trampoline_kernelINS0_14default_configENS1_20scan_config_selectorIxEEZZNS1_9scan_implILNS1_25lookback_scan_determinismE0ELb0ELb0ES3_N6thrust23THRUST_200600_302600_NS6detail15normal_iteratorINS9_10device_ptrIxEEEENS9_16discard_iteratorINS9_11use_defaultEEExNS9_4plusIvEExEEDaPvRmT3_T4_T5_mT6_P12ihipStream_tbENKUlT_T0_E_clISt17integral_constantIbLb0EESW_IbLb1EEEEDaSS_ST_EUlSS_E0_NS1_11comp_targetILNS1_3genE0ELNS1_11target_archE4294967295ELNS1_3gpuE0ELNS1_3repE0EEENS1_30default_config_static_selectorELNS0_4arch9wavefront6targetE1EEEvT1_,comdat
	.protected	_ZN7rocprim17ROCPRIM_400000_NS6detail17trampoline_kernelINS0_14default_configENS1_20scan_config_selectorIxEEZZNS1_9scan_implILNS1_25lookback_scan_determinismE0ELb0ELb0ES3_N6thrust23THRUST_200600_302600_NS6detail15normal_iteratorINS9_10device_ptrIxEEEENS9_16discard_iteratorINS9_11use_defaultEEExNS9_4plusIvEExEEDaPvRmT3_T4_T5_mT6_P12ihipStream_tbENKUlT_T0_E_clISt17integral_constantIbLb0EESW_IbLb1EEEEDaSS_ST_EUlSS_E0_NS1_11comp_targetILNS1_3genE0ELNS1_11target_archE4294967295ELNS1_3gpuE0ELNS1_3repE0EEENS1_30default_config_static_selectorELNS0_4arch9wavefront6targetE1EEEvT1_ ; -- Begin function _ZN7rocprim17ROCPRIM_400000_NS6detail17trampoline_kernelINS0_14default_configENS1_20scan_config_selectorIxEEZZNS1_9scan_implILNS1_25lookback_scan_determinismE0ELb0ELb0ES3_N6thrust23THRUST_200600_302600_NS6detail15normal_iteratorINS9_10device_ptrIxEEEENS9_16discard_iteratorINS9_11use_defaultEEExNS9_4plusIvEExEEDaPvRmT3_T4_T5_mT6_P12ihipStream_tbENKUlT_T0_E_clISt17integral_constantIbLb0EESW_IbLb1EEEEDaSS_ST_EUlSS_E0_NS1_11comp_targetILNS1_3genE0ELNS1_11target_archE4294967295ELNS1_3gpuE0ELNS1_3repE0EEENS1_30default_config_static_selectorELNS0_4arch9wavefront6targetE1EEEvT1_
	.globl	_ZN7rocprim17ROCPRIM_400000_NS6detail17trampoline_kernelINS0_14default_configENS1_20scan_config_selectorIxEEZZNS1_9scan_implILNS1_25lookback_scan_determinismE0ELb0ELb0ES3_N6thrust23THRUST_200600_302600_NS6detail15normal_iteratorINS9_10device_ptrIxEEEENS9_16discard_iteratorINS9_11use_defaultEEExNS9_4plusIvEExEEDaPvRmT3_T4_T5_mT6_P12ihipStream_tbENKUlT_T0_E_clISt17integral_constantIbLb0EESW_IbLb1EEEEDaSS_ST_EUlSS_E0_NS1_11comp_targetILNS1_3genE0ELNS1_11target_archE4294967295ELNS1_3gpuE0ELNS1_3repE0EEENS1_30default_config_static_selectorELNS0_4arch9wavefront6targetE1EEEvT1_
	.p2align	8
	.type	_ZN7rocprim17ROCPRIM_400000_NS6detail17trampoline_kernelINS0_14default_configENS1_20scan_config_selectorIxEEZZNS1_9scan_implILNS1_25lookback_scan_determinismE0ELb0ELb0ES3_N6thrust23THRUST_200600_302600_NS6detail15normal_iteratorINS9_10device_ptrIxEEEENS9_16discard_iteratorINS9_11use_defaultEEExNS9_4plusIvEExEEDaPvRmT3_T4_T5_mT6_P12ihipStream_tbENKUlT_T0_E_clISt17integral_constantIbLb0EESW_IbLb1EEEEDaSS_ST_EUlSS_E0_NS1_11comp_targetILNS1_3genE0ELNS1_11target_archE4294967295ELNS1_3gpuE0ELNS1_3repE0EEENS1_30default_config_static_selectorELNS0_4arch9wavefront6targetE1EEEvT1_,@function
_ZN7rocprim17ROCPRIM_400000_NS6detail17trampoline_kernelINS0_14default_configENS1_20scan_config_selectorIxEEZZNS1_9scan_implILNS1_25lookback_scan_determinismE0ELb0ELb0ES3_N6thrust23THRUST_200600_302600_NS6detail15normal_iteratorINS9_10device_ptrIxEEEENS9_16discard_iteratorINS9_11use_defaultEEExNS9_4plusIvEExEEDaPvRmT3_T4_T5_mT6_P12ihipStream_tbENKUlT_T0_E_clISt17integral_constantIbLb0EESW_IbLb1EEEEDaSS_ST_EUlSS_E0_NS1_11comp_targetILNS1_3genE0ELNS1_11target_archE4294967295ELNS1_3gpuE0ELNS1_3repE0EEENS1_30default_config_static_selectorELNS0_4arch9wavefront6targetE1EEEvT1_: ; @_ZN7rocprim17ROCPRIM_400000_NS6detail17trampoline_kernelINS0_14default_configENS1_20scan_config_selectorIxEEZZNS1_9scan_implILNS1_25lookback_scan_determinismE0ELb0ELb0ES3_N6thrust23THRUST_200600_302600_NS6detail15normal_iteratorINS9_10device_ptrIxEEEENS9_16discard_iteratorINS9_11use_defaultEEExNS9_4plusIvEExEEDaPvRmT3_T4_T5_mT6_P12ihipStream_tbENKUlT_T0_E_clISt17integral_constantIbLb0EESW_IbLb1EEEEDaSS_ST_EUlSS_E0_NS1_11comp_targetILNS1_3genE0ELNS1_11target_archE4294967295ELNS1_3gpuE0ELNS1_3repE0EEENS1_30default_config_static_selectorELNS0_4arch9wavefront6targetE1EEEvT1_
; %bb.0:
	.section	.rodata,"a",@progbits
	.p2align	6, 0x0
	.amdhsa_kernel _ZN7rocprim17ROCPRIM_400000_NS6detail17trampoline_kernelINS0_14default_configENS1_20scan_config_selectorIxEEZZNS1_9scan_implILNS1_25lookback_scan_determinismE0ELb0ELb0ES3_N6thrust23THRUST_200600_302600_NS6detail15normal_iteratorINS9_10device_ptrIxEEEENS9_16discard_iteratorINS9_11use_defaultEEExNS9_4plusIvEExEEDaPvRmT3_T4_T5_mT6_P12ihipStream_tbENKUlT_T0_E_clISt17integral_constantIbLb0EESW_IbLb1EEEEDaSS_ST_EUlSS_E0_NS1_11comp_targetILNS1_3genE0ELNS1_11target_archE4294967295ELNS1_3gpuE0ELNS1_3repE0EEENS1_30default_config_static_selectorELNS0_4arch9wavefront6targetE1EEEvT1_
		.amdhsa_group_segment_fixed_size 0
		.amdhsa_private_segment_fixed_size 0
		.amdhsa_kernarg_size 48
		.amdhsa_user_sgpr_count 6
		.amdhsa_user_sgpr_private_segment_buffer 1
		.amdhsa_user_sgpr_dispatch_ptr 0
		.amdhsa_user_sgpr_queue_ptr 0
		.amdhsa_user_sgpr_kernarg_segment_ptr 1
		.amdhsa_user_sgpr_dispatch_id 0
		.amdhsa_user_sgpr_flat_scratch_init 0
		.amdhsa_user_sgpr_kernarg_preload_length 0
		.amdhsa_user_sgpr_kernarg_preload_offset 0
		.amdhsa_user_sgpr_private_segment_size 0
		.amdhsa_uses_dynamic_stack 0
		.amdhsa_system_sgpr_private_segment_wavefront_offset 0
		.amdhsa_system_sgpr_workgroup_id_x 1
		.amdhsa_system_sgpr_workgroup_id_y 0
		.amdhsa_system_sgpr_workgroup_id_z 0
		.amdhsa_system_sgpr_workgroup_info 0
		.amdhsa_system_vgpr_workitem_id 0
		.amdhsa_next_free_vgpr 1
		.amdhsa_next_free_sgpr 0
		.amdhsa_accum_offset 4
		.amdhsa_reserve_vcc 0
		.amdhsa_reserve_flat_scratch 0
		.amdhsa_float_round_mode_32 0
		.amdhsa_float_round_mode_16_64 0
		.amdhsa_float_denorm_mode_32 3
		.amdhsa_float_denorm_mode_16_64 3
		.amdhsa_dx10_clamp 1
		.amdhsa_ieee_mode 1
		.amdhsa_fp16_overflow 0
		.amdhsa_tg_split 0
		.amdhsa_exception_fp_ieee_invalid_op 0
		.amdhsa_exception_fp_denorm_src 0
		.amdhsa_exception_fp_ieee_div_zero 0
		.amdhsa_exception_fp_ieee_overflow 0
		.amdhsa_exception_fp_ieee_underflow 0
		.amdhsa_exception_fp_ieee_inexact 0
		.amdhsa_exception_int_div_zero 0
	.end_amdhsa_kernel
	.section	.text._ZN7rocprim17ROCPRIM_400000_NS6detail17trampoline_kernelINS0_14default_configENS1_20scan_config_selectorIxEEZZNS1_9scan_implILNS1_25lookback_scan_determinismE0ELb0ELb0ES3_N6thrust23THRUST_200600_302600_NS6detail15normal_iteratorINS9_10device_ptrIxEEEENS9_16discard_iteratorINS9_11use_defaultEEExNS9_4plusIvEExEEDaPvRmT3_T4_T5_mT6_P12ihipStream_tbENKUlT_T0_E_clISt17integral_constantIbLb0EESW_IbLb1EEEEDaSS_ST_EUlSS_E0_NS1_11comp_targetILNS1_3genE0ELNS1_11target_archE4294967295ELNS1_3gpuE0ELNS1_3repE0EEENS1_30default_config_static_selectorELNS0_4arch9wavefront6targetE1EEEvT1_,"axG",@progbits,_ZN7rocprim17ROCPRIM_400000_NS6detail17trampoline_kernelINS0_14default_configENS1_20scan_config_selectorIxEEZZNS1_9scan_implILNS1_25lookback_scan_determinismE0ELb0ELb0ES3_N6thrust23THRUST_200600_302600_NS6detail15normal_iteratorINS9_10device_ptrIxEEEENS9_16discard_iteratorINS9_11use_defaultEEExNS9_4plusIvEExEEDaPvRmT3_T4_T5_mT6_P12ihipStream_tbENKUlT_T0_E_clISt17integral_constantIbLb0EESW_IbLb1EEEEDaSS_ST_EUlSS_E0_NS1_11comp_targetILNS1_3genE0ELNS1_11target_archE4294967295ELNS1_3gpuE0ELNS1_3repE0EEENS1_30default_config_static_selectorELNS0_4arch9wavefront6targetE1EEEvT1_,comdat
.Lfunc_end5645:
	.size	_ZN7rocprim17ROCPRIM_400000_NS6detail17trampoline_kernelINS0_14default_configENS1_20scan_config_selectorIxEEZZNS1_9scan_implILNS1_25lookback_scan_determinismE0ELb0ELb0ES3_N6thrust23THRUST_200600_302600_NS6detail15normal_iteratorINS9_10device_ptrIxEEEENS9_16discard_iteratorINS9_11use_defaultEEExNS9_4plusIvEExEEDaPvRmT3_T4_T5_mT6_P12ihipStream_tbENKUlT_T0_E_clISt17integral_constantIbLb0EESW_IbLb1EEEEDaSS_ST_EUlSS_E0_NS1_11comp_targetILNS1_3genE0ELNS1_11target_archE4294967295ELNS1_3gpuE0ELNS1_3repE0EEENS1_30default_config_static_selectorELNS0_4arch9wavefront6targetE1EEEvT1_, .Lfunc_end5645-_ZN7rocprim17ROCPRIM_400000_NS6detail17trampoline_kernelINS0_14default_configENS1_20scan_config_selectorIxEEZZNS1_9scan_implILNS1_25lookback_scan_determinismE0ELb0ELb0ES3_N6thrust23THRUST_200600_302600_NS6detail15normal_iteratorINS9_10device_ptrIxEEEENS9_16discard_iteratorINS9_11use_defaultEEExNS9_4plusIvEExEEDaPvRmT3_T4_T5_mT6_P12ihipStream_tbENKUlT_T0_E_clISt17integral_constantIbLb0EESW_IbLb1EEEEDaSS_ST_EUlSS_E0_NS1_11comp_targetILNS1_3genE0ELNS1_11target_archE4294967295ELNS1_3gpuE0ELNS1_3repE0EEENS1_30default_config_static_selectorELNS0_4arch9wavefront6targetE1EEEvT1_
                                        ; -- End function
	.section	.AMDGPU.csdata,"",@progbits
; Kernel info:
; codeLenInByte = 0
; NumSgprs: 4
; NumVgprs: 0
; NumAgprs: 0
; TotalNumVgprs: 0
; ScratchSize: 0
; MemoryBound: 0
; FloatMode: 240
; IeeeMode: 1
; LDSByteSize: 0 bytes/workgroup (compile time only)
; SGPRBlocks: 0
; VGPRBlocks: 0
; NumSGPRsForWavesPerEU: 4
; NumVGPRsForWavesPerEU: 1
; AccumOffset: 4
; Occupancy: 8
; WaveLimiterHint : 0
; COMPUTE_PGM_RSRC2:SCRATCH_EN: 0
; COMPUTE_PGM_RSRC2:USER_SGPR: 6
; COMPUTE_PGM_RSRC2:TRAP_HANDLER: 0
; COMPUTE_PGM_RSRC2:TGID_X_EN: 1
; COMPUTE_PGM_RSRC2:TGID_Y_EN: 0
; COMPUTE_PGM_RSRC2:TGID_Z_EN: 0
; COMPUTE_PGM_RSRC2:TIDIG_COMP_CNT: 0
; COMPUTE_PGM_RSRC3_GFX90A:ACCUM_OFFSET: 0
; COMPUTE_PGM_RSRC3_GFX90A:TG_SPLIT: 0
	.section	.text._ZN7rocprim17ROCPRIM_400000_NS6detail17trampoline_kernelINS0_14default_configENS1_20scan_config_selectorIxEEZZNS1_9scan_implILNS1_25lookback_scan_determinismE0ELb0ELb0ES3_N6thrust23THRUST_200600_302600_NS6detail15normal_iteratorINS9_10device_ptrIxEEEENS9_16discard_iteratorINS9_11use_defaultEEExNS9_4plusIvEExEEDaPvRmT3_T4_T5_mT6_P12ihipStream_tbENKUlT_T0_E_clISt17integral_constantIbLb0EESW_IbLb1EEEEDaSS_ST_EUlSS_E0_NS1_11comp_targetILNS1_3genE5ELNS1_11target_archE942ELNS1_3gpuE9ELNS1_3repE0EEENS1_30default_config_static_selectorELNS0_4arch9wavefront6targetE1EEEvT1_,"axG",@progbits,_ZN7rocprim17ROCPRIM_400000_NS6detail17trampoline_kernelINS0_14default_configENS1_20scan_config_selectorIxEEZZNS1_9scan_implILNS1_25lookback_scan_determinismE0ELb0ELb0ES3_N6thrust23THRUST_200600_302600_NS6detail15normal_iteratorINS9_10device_ptrIxEEEENS9_16discard_iteratorINS9_11use_defaultEEExNS9_4plusIvEExEEDaPvRmT3_T4_T5_mT6_P12ihipStream_tbENKUlT_T0_E_clISt17integral_constantIbLb0EESW_IbLb1EEEEDaSS_ST_EUlSS_E0_NS1_11comp_targetILNS1_3genE5ELNS1_11target_archE942ELNS1_3gpuE9ELNS1_3repE0EEENS1_30default_config_static_selectorELNS0_4arch9wavefront6targetE1EEEvT1_,comdat
	.protected	_ZN7rocprim17ROCPRIM_400000_NS6detail17trampoline_kernelINS0_14default_configENS1_20scan_config_selectorIxEEZZNS1_9scan_implILNS1_25lookback_scan_determinismE0ELb0ELb0ES3_N6thrust23THRUST_200600_302600_NS6detail15normal_iteratorINS9_10device_ptrIxEEEENS9_16discard_iteratorINS9_11use_defaultEEExNS9_4plusIvEExEEDaPvRmT3_T4_T5_mT6_P12ihipStream_tbENKUlT_T0_E_clISt17integral_constantIbLb0EESW_IbLb1EEEEDaSS_ST_EUlSS_E0_NS1_11comp_targetILNS1_3genE5ELNS1_11target_archE942ELNS1_3gpuE9ELNS1_3repE0EEENS1_30default_config_static_selectorELNS0_4arch9wavefront6targetE1EEEvT1_ ; -- Begin function _ZN7rocprim17ROCPRIM_400000_NS6detail17trampoline_kernelINS0_14default_configENS1_20scan_config_selectorIxEEZZNS1_9scan_implILNS1_25lookback_scan_determinismE0ELb0ELb0ES3_N6thrust23THRUST_200600_302600_NS6detail15normal_iteratorINS9_10device_ptrIxEEEENS9_16discard_iteratorINS9_11use_defaultEEExNS9_4plusIvEExEEDaPvRmT3_T4_T5_mT6_P12ihipStream_tbENKUlT_T0_E_clISt17integral_constantIbLb0EESW_IbLb1EEEEDaSS_ST_EUlSS_E0_NS1_11comp_targetILNS1_3genE5ELNS1_11target_archE942ELNS1_3gpuE9ELNS1_3repE0EEENS1_30default_config_static_selectorELNS0_4arch9wavefront6targetE1EEEvT1_
	.globl	_ZN7rocprim17ROCPRIM_400000_NS6detail17trampoline_kernelINS0_14default_configENS1_20scan_config_selectorIxEEZZNS1_9scan_implILNS1_25lookback_scan_determinismE0ELb0ELb0ES3_N6thrust23THRUST_200600_302600_NS6detail15normal_iteratorINS9_10device_ptrIxEEEENS9_16discard_iteratorINS9_11use_defaultEEExNS9_4plusIvEExEEDaPvRmT3_T4_T5_mT6_P12ihipStream_tbENKUlT_T0_E_clISt17integral_constantIbLb0EESW_IbLb1EEEEDaSS_ST_EUlSS_E0_NS1_11comp_targetILNS1_3genE5ELNS1_11target_archE942ELNS1_3gpuE9ELNS1_3repE0EEENS1_30default_config_static_selectorELNS0_4arch9wavefront6targetE1EEEvT1_
	.p2align	8
	.type	_ZN7rocprim17ROCPRIM_400000_NS6detail17trampoline_kernelINS0_14default_configENS1_20scan_config_selectorIxEEZZNS1_9scan_implILNS1_25lookback_scan_determinismE0ELb0ELb0ES3_N6thrust23THRUST_200600_302600_NS6detail15normal_iteratorINS9_10device_ptrIxEEEENS9_16discard_iteratorINS9_11use_defaultEEExNS9_4plusIvEExEEDaPvRmT3_T4_T5_mT6_P12ihipStream_tbENKUlT_T0_E_clISt17integral_constantIbLb0EESW_IbLb1EEEEDaSS_ST_EUlSS_E0_NS1_11comp_targetILNS1_3genE5ELNS1_11target_archE942ELNS1_3gpuE9ELNS1_3repE0EEENS1_30default_config_static_selectorELNS0_4arch9wavefront6targetE1EEEvT1_,@function
_ZN7rocprim17ROCPRIM_400000_NS6detail17trampoline_kernelINS0_14default_configENS1_20scan_config_selectorIxEEZZNS1_9scan_implILNS1_25lookback_scan_determinismE0ELb0ELb0ES3_N6thrust23THRUST_200600_302600_NS6detail15normal_iteratorINS9_10device_ptrIxEEEENS9_16discard_iteratorINS9_11use_defaultEEExNS9_4plusIvEExEEDaPvRmT3_T4_T5_mT6_P12ihipStream_tbENKUlT_T0_E_clISt17integral_constantIbLb0EESW_IbLb1EEEEDaSS_ST_EUlSS_E0_NS1_11comp_targetILNS1_3genE5ELNS1_11target_archE942ELNS1_3gpuE9ELNS1_3repE0EEENS1_30default_config_static_selectorELNS0_4arch9wavefront6targetE1EEEvT1_: ; @_ZN7rocprim17ROCPRIM_400000_NS6detail17trampoline_kernelINS0_14default_configENS1_20scan_config_selectorIxEEZZNS1_9scan_implILNS1_25lookback_scan_determinismE0ELb0ELb0ES3_N6thrust23THRUST_200600_302600_NS6detail15normal_iteratorINS9_10device_ptrIxEEEENS9_16discard_iteratorINS9_11use_defaultEEExNS9_4plusIvEExEEDaPvRmT3_T4_T5_mT6_P12ihipStream_tbENKUlT_T0_E_clISt17integral_constantIbLb0EESW_IbLb1EEEEDaSS_ST_EUlSS_E0_NS1_11comp_targetILNS1_3genE5ELNS1_11target_archE942ELNS1_3gpuE9ELNS1_3repE0EEENS1_30default_config_static_selectorELNS0_4arch9wavefront6targetE1EEEvT1_
; %bb.0:
	.section	.rodata,"a",@progbits
	.p2align	6, 0x0
	.amdhsa_kernel _ZN7rocprim17ROCPRIM_400000_NS6detail17trampoline_kernelINS0_14default_configENS1_20scan_config_selectorIxEEZZNS1_9scan_implILNS1_25lookback_scan_determinismE0ELb0ELb0ES3_N6thrust23THRUST_200600_302600_NS6detail15normal_iteratorINS9_10device_ptrIxEEEENS9_16discard_iteratorINS9_11use_defaultEEExNS9_4plusIvEExEEDaPvRmT3_T4_T5_mT6_P12ihipStream_tbENKUlT_T0_E_clISt17integral_constantIbLb0EESW_IbLb1EEEEDaSS_ST_EUlSS_E0_NS1_11comp_targetILNS1_3genE5ELNS1_11target_archE942ELNS1_3gpuE9ELNS1_3repE0EEENS1_30default_config_static_selectorELNS0_4arch9wavefront6targetE1EEEvT1_
		.amdhsa_group_segment_fixed_size 0
		.amdhsa_private_segment_fixed_size 0
		.amdhsa_kernarg_size 48
		.amdhsa_user_sgpr_count 6
		.amdhsa_user_sgpr_private_segment_buffer 1
		.amdhsa_user_sgpr_dispatch_ptr 0
		.amdhsa_user_sgpr_queue_ptr 0
		.amdhsa_user_sgpr_kernarg_segment_ptr 1
		.amdhsa_user_sgpr_dispatch_id 0
		.amdhsa_user_sgpr_flat_scratch_init 0
		.amdhsa_user_sgpr_kernarg_preload_length 0
		.amdhsa_user_sgpr_kernarg_preload_offset 0
		.amdhsa_user_sgpr_private_segment_size 0
		.amdhsa_uses_dynamic_stack 0
		.amdhsa_system_sgpr_private_segment_wavefront_offset 0
		.amdhsa_system_sgpr_workgroup_id_x 1
		.amdhsa_system_sgpr_workgroup_id_y 0
		.amdhsa_system_sgpr_workgroup_id_z 0
		.amdhsa_system_sgpr_workgroup_info 0
		.amdhsa_system_vgpr_workitem_id 0
		.amdhsa_next_free_vgpr 1
		.amdhsa_next_free_sgpr 0
		.amdhsa_accum_offset 4
		.amdhsa_reserve_vcc 0
		.amdhsa_reserve_flat_scratch 0
		.amdhsa_float_round_mode_32 0
		.amdhsa_float_round_mode_16_64 0
		.amdhsa_float_denorm_mode_32 3
		.amdhsa_float_denorm_mode_16_64 3
		.amdhsa_dx10_clamp 1
		.amdhsa_ieee_mode 1
		.amdhsa_fp16_overflow 0
		.amdhsa_tg_split 0
		.amdhsa_exception_fp_ieee_invalid_op 0
		.amdhsa_exception_fp_denorm_src 0
		.amdhsa_exception_fp_ieee_div_zero 0
		.amdhsa_exception_fp_ieee_overflow 0
		.amdhsa_exception_fp_ieee_underflow 0
		.amdhsa_exception_fp_ieee_inexact 0
		.amdhsa_exception_int_div_zero 0
	.end_amdhsa_kernel
	.section	.text._ZN7rocprim17ROCPRIM_400000_NS6detail17trampoline_kernelINS0_14default_configENS1_20scan_config_selectorIxEEZZNS1_9scan_implILNS1_25lookback_scan_determinismE0ELb0ELb0ES3_N6thrust23THRUST_200600_302600_NS6detail15normal_iteratorINS9_10device_ptrIxEEEENS9_16discard_iteratorINS9_11use_defaultEEExNS9_4plusIvEExEEDaPvRmT3_T4_T5_mT6_P12ihipStream_tbENKUlT_T0_E_clISt17integral_constantIbLb0EESW_IbLb1EEEEDaSS_ST_EUlSS_E0_NS1_11comp_targetILNS1_3genE5ELNS1_11target_archE942ELNS1_3gpuE9ELNS1_3repE0EEENS1_30default_config_static_selectorELNS0_4arch9wavefront6targetE1EEEvT1_,"axG",@progbits,_ZN7rocprim17ROCPRIM_400000_NS6detail17trampoline_kernelINS0_14default_configENS1_20scan_config_selectorIxEEZZNS1_9scan_implILNS1_25lookback_scan_determinismE0ELb0ELb0ES3_N6thrust23THRUST_200600_302600_NS6detail15normal_iteratorINS9_10device_ptrIxEEEENS9_16discard_iteratorINS9_11use_defaultEEExNS9_4plusIvEExEEDaPvRmT3_T4_T5_mT6_P12ihipStream_tbENKUlT_T0_E_clISt17integral_constantIbLb0EESW_IbLb1EEEEDaSS_ST_EUlSS_E0_NS1_11comp_targetILNS1_3genE5ELNS1_11target_archE942ELNS1_3gpuE9ELNS1_3repE0EEENS1_30default_config_static_selectorELNS0_4arch9wavefront6targetE1EEEvT1_,comdat
.Lfunc_end5646:
	.size	_ZN7rocprim17ROCPRIM_400000_NS6detail17trampoline_kernelINS0_14default_configENS1_20scan_config_selectorIxEEZZNS1_9scan_implILNS1_25lookback_scan_determinismE0ELb0ELb0ES3_N6thrust23THRUST_200600_302600_NS6detail15normal_iteratorINS9_10device_ptrIxEEEENS9_16discard_iteratorINS9_11use_defaultEEExNS9_4plusIvEExEEDaPvRmT3_T4_T5_mT6_P12ihipStream_tbENKUlT_T0_E_clISt17integral_constantIbLb0EESW_IbLb1EEEEDaSS_ST_EUlSS_E0_NS1_11comp_targetILNS1_3genE5ELNS1_11target_archE942ELNS1_3gpuE9ELNS1_3repE0EEENS1_30default_config_static_selectorELNS0_4arch9wavefront6targetE1EEEvT1_, .Lfunc_end5646-_ZN7rocprim17ROCPRIM_400000_NS6detail17trampoline_kernelINS0_14default_configENS1_20scan_config_selectorIxEEZZNS1_9scan_implILNS1_25lookback_scan_determinismE0ELb0ELb0ES3_N6thrust23THRUST_200600_302600_NS6detail15normal_iteratorINS9_10device_ptrIxEEEENS9_16discard_iteratorINS9_11use_defaultEEExNS9_4plusIvEExEEDaPvRmT3_T4_T5_mT6_P12ihipStream_tbENKUlT_T0_E_clISt17integral_constantIbLb0EESW_IbLb1EEEEDaSS_ST_EUlSS_E0_NS1_11comp_targetILNS1_3genE5ELNS1_11target_archE942ELNS1_3gpuE9ELNS1_3repE0EEENS1_30default_config_static_selectorELNS0_4arch9wavefront6targetE1EEEvT1_
                                        ; -- End function
	.section	.AMDGPU.csdata,"",@progbits
; Kernel info:
; codeLenInByte = 0
; NumSgprs: 4
; NumVgprs: 0
; NumAgprs: 0
; TotalNumVgprs: 0
; ScratchSize: 0
; MemoryBound: 0
; FloatMode: 240
; IeeeMode: 1
; LDSByteSize: 0 bytes/workgroup (compile time only)
; SGPRBlocks: 0
; VGPRBlocks: 0
; NumSGPRsForWavesPerEU: 4
; NumVGPRsForWavesPerEU: 1
; AccumOffset: 4
; Occupancy: 8
; WaveLimiterHint : 0
; COMPUTE_PGM_RSRC2:SCRATCH_EN: 0
; COMPUTE_PGM_RSRC2:USER_SGPR: 6
; COMPUTE_PGM_RSRC2:TRAP_HANDLER: 0
; COMPUTE_PGM_RSRC2:TGID_X_EN: 1
; COMPUTE_PGM_RSRC2:TGID_Y_EN: 0
; COMPUTE_PGM_RSRC2:TGID_Z_EN: 0
; COMPUTE_PGM_RSRC2:TIDIG_COMP_CNT: 0
; COMPUTE_PGM_RSRC3_GFX90A:ACCUM_OFFSET: 0
; COMPUTE_PGM_RSRC3_GFX90A:TG_SPLIT: 0
	.section	.text._ZN7rocprim17ROCPRIM_400000_NS6detail17trampoline_kernelINS0_14default_configENS1_20scan_config_selectorIxEEZZNS1_9scan_implILNS1_25lookback_scan_determinismE0ELb0ELb0ES3_N6thrust23THRUST_200600_302600_NS6detail15normal_iteratorINS9_10device_ptrIxEEEENS9_16discard_iteratorINS9_11use_defaultEEExNS9_4plusIvEExEEDaPvRmT3_T4_T5_mT6_P12ihipStream_tbENKUlT_T0_E_clISt17integral_constantIbLb0EESW_IbLb1EEEEDaSS_ST_EUlSS_E0_NS1_11comp_targetILNS1_3genE4ELNS1_11target_archE910ELNS1_3gpuE8ELNS1_3repE0EEENS1_30default_config_static_selectorELNS0_4arch9wavefront6targetE1EEEvT1_,"axG",@progbits,_ZN7rocprim17ROCPRIM_400000_NS6detail17trampoline_kernelINS0_14default_configENS1_20scan_config_selectorIxEEZZNS1_9scan_implILNS1_25lookback_scan_determinismE0ELb0ELb0ES3_N6thrust23THRUST_200600_302600_NS6detail15normal_iteratorINS9_10device_ptrIxEEEENS9_16discard_iteratorINS9_11use_defaultEEExNS9_4plusIvEExEEDaPvRmT3_T4_T5_mT6_P12ihipStream_tbENKUlT_T0_E_clISt17integral_constantIbLb0EESW_IbLb1EEEEDaSS_ST_EUlSS_E0_NS1_11comp_targetILNS1_3genE4ELNS1_11target_archE910ELNS1_3gpuE8ELNS1_3repE0EEENS1_30default_config_static_selectorELNS0_4arch9wavefront6targetE1EEEvT1_,comdat
	.protected	_ZN7rocprim17ROCPRIM_400000_NS6detail17trampoline_kernelINS0_14default_configENS1_20scan_config_selectorIxEEZZNS1_9scan_implILNS1_25lookback_scan_determinismE0ELb0ELb0ES3_N6thrust23THRUST_200600_302600_NS6detail15normal_iteratorINS9_10device_ptrIxEEEENS9_16discard_iteratorINS9_11use_defaultEEExNS9_4plusIvEExEEDaPvRmT3_T4_T5_mT6_P12ihipStream_tbENKUlT_T0_E_clISt17integral_constantIbLb0EESW_IbLb1EEEEDaSS_ST_EUlSS_E0_NS1_11comp_targetILNS1_3genE4ELNS1_11target_archE910ELNS1_3gpuE8ELNS1_3repE0EEENS1_30default_config_static_selectorELNS0_4arch9wavefront6targetE1EEEvT1_ ; -- Begin function _ZN7rocprim17ROCPRIM_400000_NS6detail17trampoline_kernelINS0_14default_configENS1_20scan_config_selectorIxEEZZNS1_9scan_implILNS1_25lookback_scan_determinismE0ELb0ELb0ES3_N6thrust23THRUST_200600_302600_NS6detail15normal_iteratorINS9_10device_ptrIxEEEENS9_16discard_iteratorINS9_11use_defaultEEExNS9_4plusIvEExEEDaPvRmT3_T4_T5_mT6_P12ihipStream_tbENKUlT_T0_E_clISt17integral_constantIbLb0EESW_IbLb1EEEEDaSS_ST_EUlSS_E0_NS1_11comp_targetILNS1_3genE4ELNS1_11target_archE910ELNS1_3gpuE8ELNS1_3repE0EEENS1_30default_config_static_selectorELNS0_4arch9wavefront6targetE1EEEvT1_
	.globl	_ZN7rocprim17ROCPRIM_400000_NS6detail17trampoline_kernelINS0_14default_configENS1_20scan_config_selectorIxEEZZNS1_9scan_implILNS1_25lookback_scan_determinismE0ELb0ELb0ES3_N6thrust23THRUST_200600_302600_NS6detail15normal_iteratorINS9_10device_ptrIxEEEENS9_16discard_iteratorINS9_11use_defaultEEExNS9_4plusIvEExEEDaPvRmT3_T4_T5_mT6_P12ihipStream_tbENKUlT_T0_E_clISt17integral_constantIbLb0EESW_IbLb1EEEEDaSS_ST_EUlSS_E0_NS1_11comp_targetILNS1_3genE4ELNS1_11target_archE910ELNS1_3gpuE8ELNS1_3repE0EEENS1_30default_config_static_selectorELNS0_4arch9wavefront6targetE1EEEvT1_
	.p2align	8
	.type	_ZN7rocprim17ROCPRIM_400000_NS6detail17trampoline_kernelINS0_14default_configENS1_20scan_config_selectorIxEEZZNS1_9scan_implILNS1_25lookback_scan_determinismE0ELb0ELb0ES3_N6thrust23THRUST_200600_302600_NS6detail15normal_iteratorINS9_10device_ptrIxEEEENS9_16discard_iteratorINS9_11use_defaultEEExNS9_4plusIvEExEEDaPvRmT3_T4_T5_mT6_P12ihipStream_tbENKUlT_T0_E_clISt17integral_constantIbLb0EESW_IbLb1EEEEDaSS_ST_EUlSS_E0_NS1_11comp_targetILNS1_3genE4ELNS1_11target_archE910ELNS1_3gpuE8ELNS1_3repE0EEENS1_30default_config_static_selectorELNS0_4arch9wavefront6targetE1EEEvT1_,@function
_ZN7rocprim17ROCPRIM_400000_NS6detail17trampoline_kernelINS0_14default_configENS1_20scan_config_selectorIxEEZZNS1_9scan_implILNS1_25lookback_scan_determinismE0ELb0ELb0ES3_N6thrust23THRUST_200600_302600_NS6detail15normal_iteratorINS9_10device_ptrIxEEEENS9_16discard_iteratorINS9_11use_defaultEEExNS9_4plusIvEExEEDaPvRmT3_T4_T5_mT6_P12ihipStream_tbENKUlT_T0_E_clISt17integral_constantIbLb0EESW_IbLb1EEEEDaSS_ST_EUlSS_E0_NS1_11comp_targetILNS1_3genE4ELNS1_11target_archE910ELNS1_3gpuE8ELNS1_3repE0EEENS1_30default_config_static_selectorELNS0_4arch9wavefront6targetE1EEEvT1_: ; @_ZN7rocprim17ROCPRIM_400000_NS6detail17trampoline_kernelINS0_14default_configENS1_20scan_config_selectorIxEEZZNS1_9scan_implILNS1_25lookback_scan_determinismE0ELb0ELb0ES3_N6thrust23THRUST_200600_302600_NS6detail15normal_iteratorINS9_10device_ptrIxEEEENS9_16discard_iteratorINS9_11use_defaultEEExNS9_4plusIvEExEEDaPvRmT3_T4_T5_mT6_P12ihipStream_tbENKUlT_T0_E_clISt17integral_constantIbLb0EESW_IbLb1EEEEDaSS_ST_EUlSS_E0_NS1_11comp_targetILNS1_3genE4ELNS1_11target_archE910ELNS1_3gpuE8ELNS1_3repE0EEENS1_30default_config_static_selectorELNS0_4arch9wavefront6targetE1EEEvT1_
; %bb.0:
	s_load_dwordx4 s[0:3], s[4:5], 0x0
	v_lshlrev_b32_e32 v21, 3, v0
	s_waitcnt lgkmcnt(0)
	s_load_dwordx2 s[4:5], s[0:1], 0x0
	v_cmp_gt_u32_e32 vcc, s2, v0
	s_waitcnt lgkmcnt(0)
	v_pk_mov_b32 v[2:3], s[4:5], s[4:5] op_sel:[0,1]
	s_and_saveexec_b64 s[6:7], vcc
	s_cbranch_execz .LBB5647_2
; %bb.1:
	global_load_dwordx2 v[2:3], v21, s[0:1]
.LBB5647_2:
	s_or_b64 exec, exec, s[6:7]
	v_or_b32_e32 v1, 0x80, v0
	v_cmp_gt_u32_e32 vcc, s2, v1
	v_pk_mov_b32 v[4:5], s[4:5], s[4:5] op_sel:[0,1]
	s_and_saveexec_b64 s[6:7], vcc
	s_cbranch_execz .LBB5647_4
; %bb.3:
	global_load_dwordx2 v[4:5], v21, s[0:1] offset:1024
.LBB5647_4:
	s_or_b64 exec, exec, s[6:7]
	v_or_b32_e32 v1, 0x100, v0
	v_cmp_gt_u32_e32 vcc, s2, v1
	v_pk_mov_b32 v[6:7], s[4:5], s[4:5] op_sel:[0,1]
	s_and_saveexec_b64 s[6:7], vcc
	s_cbranch_execz .LBB5647_6
; %bb.5:
	global_load_dwordx2 v[6:7], v21, s[0:1] offset:2048
.LBB5647_6:
	;; [unrolled: 9-line block ×3, first 2 shown]
	s_or_b64 exec, exec, s[6:7]
	v_or_b32_e32 v1, 0x200, v0
	v_cmp_gt_u32_e32 vcc, s2, v1
	v_pk_mov_b32 v[10:11], s[4:5], s[4:5] op_sel:[0,1]
	s_and_saveexec_b64 s[6:7], vcc
	s_cbranch_execz .LBB5647_10
; %bb.9:
	v_lshlrev_b32_e32 v1, 3, v1
	global_load_dwordx2 v[10:11], v1, s[0:1]
.LBB5647_10:
	s_or_b64 exec, exec, s[6:7]
	v_or_b32_e32 v1, 0x280, v0
	v_cmp_gt_u32_e32 vcc, s2, v1
	v_pk_mov_b32 v[12:13], s[4:5], s[4:5] op_sel:[0,1]
	s_and_saveexec_b64 s[6:7], vcc
	s_cbranch_execz .LBB5647_12
; %bb.11:
	v_lshlrev_b32_e32 v1, 3, v1
	global_load_dwordx2 v[12:13], v1, s[0:1]
.LBB5647_12:
	;; [unrolled: 10-line block ×3, first 2 shown]
	s_or_b64 exec, exec, s[2:3]
	v_mad_u32_u24 v1, v0, 48, v21
	s_waitcnt vmcnt(0)
	ds_write2st64_b64 v21, v[2:3], v[4:5] offset1:2
	ds_write2st64_b64 v21, v[6:7], v[8:9] offset0:4 offset1:6
	ds_write2st64_b64 v21, v[10:11], v[12:13] offset0:8 offset1:10
	ds_write_b64 v21, v[14:15] offset:6144
	s_waitcnt lgkmcnt(0)
	s_barrier
	ds_read2_b64 v[2:5], v1 offset1:1
	ds_read2_b64 v[6:9], v1 offset0:2 offset1:3
	ds_read2_b64 v[10:13], v1 offset0:4 offset1:5
	ds_read_b64 v[28:29], v1 offset:48
	v_lshrrev_b32_e32 v14, 2, v0
	s_waitcnt lgkmcnt(3)
	v_add_co_u32_e32 v20, vcc, v4, v2
	v_addc_co_u32_e32 v1, vcc, v5, v3, vcc
	s_waitcnt lgkmcnt(2)
	v_add_co_u32_e32 v18, vcc, v20, v6
	v_addc_co_u32_e32 v19, vcc, v1, v7, vcc
	v_add_co_u32_e32 v24, vcc, v18, v8
	v_addc_co_u32_e32 v25, vcc, v19, v9, vcc
	s_waitcnt lgkmcnt(1)
	v_add_co_u32_e32 v22, vcc, v24, v10
	v_addc_co_u32_e32 v23, vcc, v25, v11, vcc
	;; [unrolled: 5-line block ×3, first 2 shown]
	v_and_b32_e32 v14, 24, v14
	v_add_u32_e32 v14, v21, v14
	v_cmp_gt_u32_e32 vcc, 64, v0
	s_barrier
	ds_write_b64 v14, v[30:31]
	s_waitcnt lgkmcnt(0)
	s_barrier
	s_and_saveexec_b64 s[2:3], vcc
	s_cbranch_execz .LBB5647_18
; %bb.15:
	v_lshlrev_b32_e32 v14, 1, v0
	v_lshrrev_b32_e32 v15, 4, v0
	v_add_lshl_u32 v32, v15, v14, 3
	ds_read2_b64 v[14:17], v32 offset1:1
	s_waitcnt lgkmcnt(0)
	v_add_co_u32_e32 v34, vcc, v16, v14
	v_addc_co_u32_e32 v35, vcc, v17, v15, vcc
	s_nop 0
	v_mov_b32_dpp v17, v34 row_shr:1 row_mask:0xf bank_mask:0xf
	v_add_co_u32_e32 v17, vcc, v34, v17
	v_mbcnt_lo_u32_b32 v16, -1, 0
	v_addc_co_u32_e32 v37, vcc, 0, v35, vcc
	v_mbcnt_hi_u32_b32 v33, -1, v16
	v_mov_b32_dpp v36, v35 row_shr:1 row_mask:0xf bank_mask:0xf
	v_add_co_u32_e32 v38, vcc, 0, v17
	v_and_b32_e32 v16, 15, v33
	v_addc_co_u32_e32 v36, vcc, v36, v37, vcc
	v_cmp_eq_u32_e32 vcc, 0, v16
	v_cndmask_b32_e32 v17, v17, v34, vcc
	v_cndmask_b32_e32 v36, v36, v35, vcc
	v_cndmask_b32_e32 v37, v38, v34, vcc
	v_mov_b32_dpp v38, v17 row_shr:2 row_mask:0xf bank_mask:0xf
	v_mov_b32_dpp v39, v36 row_shr:2 row_mask:0xf bank_mask:0xf
	v_add_co_u32_e32 v38, vcc, v38, v37
	v_addc_co_u32_e32 v39, vcc, v39, v36, vcc
	v_cmp_lt_u32_e32 vcc, 1, v16
	v_cndmask_b32_e32 v17, v17, v38, vcc
	v_cndmask_b32_e32 v36, v36, v39, vcc
	v_cndmask_b32_e32 v37, v37, v38, vcc
	v_mov_b32_dpp v38, v17 row_shr:4 row_mask:0xf bank_mask:0xf
	v_mov_b32_dpp v39, v36 row_shr:4 row_mask:0xf bank_mask:0xf
	v_add_co_u32_e32 v38, vcc, v38, v37
	v_addc_co_u32_e32 v39, vcc, v39, v36, vcc
	v_cmp_lt_u32_e32 vcc, 3, v16
	;; [unrolled: 8-line block ×3, first 2 shown]
	v_cndmask_b32_e32 v40, v17, v38, vcc
	v_cndmask_b32_e32 v17, v36, v39, vcc
	;; [unrolled: 1-line block ×3, first 2 shown]
	v_mov_b32_dpp v36, v40 row_bcast:15 row_mask:0xf bank_mask:0xf
	v_mov_b32_dpp v37, v17 row_bcast:15 row_mask:0xf bank_mask:0xf
	v_add_co_u32_e32 v36, vcc, v36, v16
	v_and_b32_e32 v39, 16, v33
	v_addc_co_u32_e32 v38, vcc, v37, v17, vcc
	v_cmp_eq_u32_e32 vcc, 0, v39
	v_cndmask_b32_e32 v39, v38, v17, vcc
	v_cndmask_b32_e32 v37, v36, v40, vcc
	v_cmp_ne_u32_e64 s[0:1], 0, v33
	v_mov_b32_dpp v39, v39 row_bcast:31 row_mask:0xf bank_mask:0xf
	v_mov_b32_dpp v37, v37 row_bcast:31 row_mask:0xf bank_mask:0xf
	s_and_saveexec_b64 s[4:5], s[0:1]
; %bb.16:
	v_cndmask_b32_e32 v17, v38, v17, vcc
	v_cndmask_b32_e32 v16, v36, v16, vcc
	v_cmp_lt_u32_e32 vcc, 31, v33
	v_cndmask_b32_e32 v34, 0, v37, vcc
	v_cndmask_b32_e32 v35, 0, v39, vcc
	v_add_co_u32_e32 v34, vcc, v34, v16
	v_addc_co_u32_e32 v35, vcc, v35, v17, vcc
; %bb.17:
	s_or_b64 exec, exec, s[4:5]
	v_add_u32_e32 v16, -1, v33
	v_and_b32_e32 v17, 64, v33
	v_cmp_lt_i32_e32 vcc, v16, v17
	v_cndmask_b32_e32 v16, v16, v33, vcc
	v_lshlrev_b32_e32 v16, 2, v16
	ds_bpermute_b32 v17, v16, v34
	ds_bpermute_b32 v16, v16, v35
	; wave barrier
	s_waitcnt lgkmcnt(1)
	v_add_co_u32_e32 v14, vcc, v14, v17
	v_addc_co_u32_e32 v15, vcc, 0, v15, vcc
	v_add_co_u32_e32 v14, vcc, 0, v14
	s_waitcnt lgkmcnt(0)
	v_addc_co_u32_e32 v15, vcc, v15, v16, vcc
	v_cmp_eq_u32_e32 vcc, 0, v0
	v_cndmask_b32_e32 v15, v15, v31, vcc
	v_cndmask_b32_e32 v14, v14, v30, vcc
	ds_write_b64 v32, v[14:15]
	; wave barrier
	ds_read_b64 v[16:17], v32 offset:8
	s_waitcnt lgkmcnt(0)
	v_add_co_u32_e32 v14, vcc, v16, v14
	v_addc_co_u32_e32 v15, vcc, v17, v15, vcc
	ds_write_b64 v32, v[14:15] offset:8
.LBB5647_18:
	s_or_b64 exec, exec, s[2:3]
	v_mul_u32_u24_e32 v16, 48, v0
	v_cmp_ne_u32_e32 vcc, 0, v0
	v_pk_mov_b32 v[14:15], v[30:31], v[30:31] op_sel:[0,1]
	s_waitcnt lgkmcnt(0)
	s_barrier
	s_and_saveexec_b64 s[0:1], vcc
	s_cbranch_execz .LBB5647_20
; %bb.19:
	v_add_u32_e32 v0, -1, v0
	v_lshrrev_b32_e32 v14, 5, v0
	v_add_lshl_u32 v0, v14, v0, 3
	ds_read_b64 v[14:15], v0
.LBB5647_20:
	s_or_b64 exec, exec, s[0:1]
	s_and_saveexec_b64 s[0:1], vcc
	s_cbranch_execz .LBB5647_22
; %bb.21:
	s_waitcnt lgkmcnt(0)
	v_add_co_u32_e32 v2, vcc, v14, v2
	v_addc_co_u32_e32 v3, vcc, v15, v3, vcc
	v_add_co_u32_e32 v20, vcc, v2, v4
	v_addc_co_u32_e32 v1, vcc, v3, v5, vcc
	;; [unrolled: 2-line block ×7, first 2 shown]
	;;#ASMSTART
	;;#ASMEND
.LBB5647_22:
	s_or_b64 exec, exec, s[0:1]
	v_add_u32_e32 v0, v21, v16
	v_mov_b32_e32 v21, v1
	s_waitcnt lgkmcnt(0)
	s_barrier
	ds_write2_b64 v0, v[2:3], v[20:21] offset1:1
	ds_write2_b64 v0, v[18:19], v[24:25] offset0:2 offset1:3
	ds_write2_b64 v0, v[22:23], v[26:27] offset0:4 offset1:5
	ds_write_b64 v0, v[30:31] offset:48
	s_waitcnt lgkmcnt(0)
	s_barrier
	s_endpgm
	.section	.rodata,"a",@progbits
	.p2align	6, 0x0
	.amdhsa_kernel _ZN7rocprim17ROCPRIM_400000_NS6detail17trampoline_kernelINS0_14default_configENS1_20scan_config_selectorIxEEZZNS1_9scan_implILNS1_25lookback_scan_determinismE0ELb0ELb0ES3_N6thrust23THRUST_200600_302600_NS6detail15normal_iteratorINS9_10device_ptrIxEEEENS9_16discard_iteratorINS9_11use_defaultEEExNS9_4plusIvEExEEDaPvRmT3_T4_T5_mT6_P12ihipStream_tbENKUlT_T0_E_clISt17integral_constantIbLb0EESW_IbLb1EEEEDaSS_ST_EUlSS_E0_NS1_11comp_targetILNS1_3genE4ELNS1_11target_archE910ELNS1_3gpuE8ELNS1_3repE0EEENS1_30default_config_static_selectorELNS0_4arch9wavefront6targetE1EEEvT1_
		.amdhsa_group_segment_fixed_size 7168
		.amdhsa_private_segment_fixed_size 0
		.amdhsa_kernarg_size 48
		.amdhsa_user_sgpr_count 6
		.amdhsa_user_sgpr_private_segment_buffer 1
		.amdhsa_user_sgpr_dispatch_ptr 0
		.amdhsa_user_sgpr_queue_ptr 0
		.amdhsa_user_sgpr_kernarg_segment_ptr 1
		.amdhsa_user_sgpr_dispatch_id 0
		.amdhsa_user_sgpr_flat_scratch_init 0
		.amdhsa_user_sgpr_kernarg_preload_length 0
		.amdhsa_user_sgpr_kernarg_preload_offset 0
		.amdhsa_user_sgpr_private_segment_size 0
		.amdhsa_uses_dynamic_stack 0
		.amdhsa_system_sgpr_private_segment_wavefront_offset 0
		.amdhsa_system_sgpr_workgroup_id_x 1
		.amdhsa_system_sgpr_workgroup_id_y 0
		.amdhsa_system_sgpr_workgroup_id_z 0
		.amdhsa_system_sgpr_workgroup_info 0
		.amdhsa_system_vgpr_workitem_id 0
		.amdhsa_next_free_vgpr 41
		.amdhsa_next_free_sgpr 8
		.amdhsa_accum_offset 44
		.amdhsa_reserve_vcc 1
		.amdhsa_reserve_flat_scratch 0
		.amdhsa_float_round_mode_32 0
		.amdhsa_float_round_mode_16_64 0
		.amdhsa_float_denorm_mode_32 3
		.amdhsa_float_denorm_mode_16_64 3
		.amdhsa_dx10_clamp 1
		.amdhsa_ieee_mode 1
		.amdhsa_fp16_overflow 0
		.amdhsa_tg_split 0
		.amdhsa_exception_fp_ieee_invalid_op 0
		.amdhsa_exception_fp_denorm_src 0
		.amdhsa_exception_fp_ieee_div_zero 0
		.amdhsa_exception_fp_ieee_overflow 0
		.amdhsa_exception_fp_ieee_underflow 0
		.amdhsa_exception_fp_ieee_inexact 0
		.amdhsa_exception_int_div_zero 0
	.end_amdhsa_kernel
	.section	.text._ZN7rocprim17ROCPRIM_400000_NS6detail17trampoline_kernelINS0_14default_configENS1_20scan_config_selectorIxEEZZNS1_9scan_implILNS1_25lookback_scan_determinismE0ELb0ELb0ES3_N6thrust23THRUST_200600_302600_NS6detail15normal_iteratorINS9_10device_ptrIxEEEENS9_16discard_iteratorINS9_11use_defaultEEExNS9_4plusIvEExEEDaPvRmT3_T4_T5_mT6_P12ihipStream_tbENKUlT_T0_E_clISt17integral_constantIbLb0EESW_IbLb1EEEEDaSS_ST_EUlSS_E0_NS1_11comp_targetILNS1_3genE4ELNS1_11target_archE910ELNS1_3gpuE8ELNS1_3repE0EEENS1_30default_config_static_selectorELNS0_4arch9wavefront6targetE1EEEvT1_,"axG",@progbits,_ZN7rocprim17ROCPRIM_400000_NS6detail17trampoline_kernelINS0_14default_configENS1_20scan_config_selectorIxEEZZNS1_9scan_implILNS1_25lookback_scan_determinismE0ELb0ELb0ES3_N6thrust23THRUST_200600_302600_NS6detail15normal_iteratorINS9_10device_ptrIxEEEENS9_16discard_iteratorINS9_11use_defaultEEExNS9_4plusIvEExEEDaPvRmT3_T4_T5_mT6_P12ihipStream_tbENKUlT_T0_E_clISt17integral_constantIbLb0EESW_IbLb1EEEEDaSS_ST_EUlSS_E0_NS1_11comp_targetILNS1_3genE4ELNS1_11target_archE910ELNS1_3gpuE8ELNS1_3repE0EEENS1_30default_config_static_selectorELNS0_4arch9wavefront6targetE1EEEvT1_,comdat
.Lfunc_end5647:
	.size	_ZN7rocprim17ROCPRIM_400000_NS6detail17trampoline_kernelINS0_14default_configENS1_20scan_config_selectorIxEEZZNS1_9scan_implILNS1_25lookback_scan_determinismE0ELb0ELb0ES3_N6thrust23THRUST_200600_302600_NS6detail15normal_iteratorINS9_10device_ptrIxEEEENS9_16discard_iteratorINS9_11use_defaultEEExNS9_4plusIvEExEEDaPvRmT3_T4_T5_mT6_P12ihipStream_tbENKUlT_T0_E_clISt17integral_constantIbLb0EESW_IbLb1EEEEDaSS_ST_EUlSS_E0_NS1_11comp_targetILNS1_3genE4ELNS1_11target_archE910ELNS1_3gpuE8ELNS1_3repE0EEENS1_30default_config_static_selectorELNS0_4arch9wavefront6targetE1EEEvT1_, .Lfunc_end5647-_ZN7rocprim17ROCPRIM_400000_NS6detail17trampoline_kernelINS0_14default_configENS1_20scan_config_selectorIxEEZZNS1_9scan_implILNS1_25lookback_scan_determinismE0ELb0ELb0ES3_N6thrust23THRUST_200600_302600_NS6detail15normal_iteratorINS9_10device_ptrIxEEEENS9_16discard_iteratorINS9_11use_defaultEEExNS9_4plusIvEExEEDaPvRmT3_T4_T5_mT6_P12ihipStream_tbENKUlT_T0_E_clISt17integral_constantIbLb0EESW_IbLb1EEEEDaSS_ST_EUlSS_E0_NS1_11comp_targetILNS1_3genE4ELNS1_11target_archE910ELNS1_3gpuE8ELNS1_3repE0EEENS1_30default_config_static_selectorELNS0_4arch9wavefront6targetE1EEEvT1_
                                        ; -- End function
	.section	.AMDGPU.csdata,"",@progbits
; Kernel info:
; codeLenInByte = 1136
; NumSgprs: 12
; NumVgprs: 41
; NumAgprs: 0
; TotalNumVgprs: 41
; ScratchSize: 0
; MemoryBound: 0
; FloatMode: 240
; IeeeMode: 1
; LDSByteSize: 7168 bytes/workgroup (compile time only)
; SGPRBlocks: 1
; VGPRBlocks: 5
; NumSGPRsForWavesPerEU: 12
; NumVGPRsForWavesPerEU: 41
; AccumOffset: 44
; Occupancy: 5
; WaveLimiterHint : 0
; COMPUTE_PGM_RSRC2:SCRATCH_EN: 0
; COMPUTE_PGM_RSRC2:USER_SGPR: 6
; COMPUTE_PGM_RSRC2:TRAP_HANDLER: 0
; COMPUTE_PGM_RSRC2:TGID_X_EN: 1
; COMPUTE_PGM_RSRC2:TGID_Y_EN: 0
; COMPUTE_PGM_RSRC2:TGID_Z_EN: 0
; COMPUTE_PGM_RSRC2:TIDIG_COMP_CNT: 0
; COMPUTE_PGM_RSRC3_GFX90A:ACCUM_OFFSET: 10
; COMPUTE_PGM_RSRC3_GFX90A:TG_SPLIT: 0
	.section	.text._ZN7rocprim17ROCPRIM_400000_NS6detail17trampoline_kernelINS0_14default_configENS1_20scan_config_selectorIxEEZZNS1_9scan_implILNS1_25lookback_scan_determinismE0ELb0ELb0ES3_N6thrust23THRUST_200600_302600_NS6detail15normal_iteratorINS9_10device_ptrIxEEEENS9_16discard_iteratorINS9_11use_defaultEEExNS9_4plusIvEExEEDaPvRmT3_T4_T5_mT6_P12ihipStream_tbENKUlT_T0_E_clISt17integral_constantIbLb0EESW_IbLb1EEEEDaSS_ST_EUlSS_E0_NS1_11comp_targetILNS1_3genE3ELNS1_11target_archE908ELNS1_3gpuE7ELNS1_3repE0EEENS1_30default_config_static_selectorELNS0_4arch9wavefront6targetE1EEEvT1_,"axG",@progbits,_ZN7rocprim17ROCPRIM_400000_NS6detail17trampoline_kernelINS0_14default_configENS1_20scan_config_selectorIxEEZZNS1_9scan_implILNS1_25lookback_scan_determinismE0ELb0ELb0ES3_N6thrust23THRUST_200600_302600_NS6detail15normal_iteratorINS9_10device_ptrIxEEEENS9_16discard_iteratorINS9_11use_defaultEEExNS9_4plusIvEExEEDaPvRmT3_T4_T5_mT6_P12ihipStream_tbENKUlT_T0_E_clISt17integral_constantIbLb0EESW_IbLb1EEEEDaSS_ST_EUlSS_E0_NS1_11comp_targetILNS1_3genE3ELNS1_11target_archE908ELNS1_3gpuE7ELNS1_3repE0EEENS1_30default_config_static_selectorELNS0_4arch9wavefront6targetE1EEEvT1_,comdat
	.protected	_ZN7rocprim17ROCPRIM_400000_NS6detail17trampoline_kernelINS0_14default_configENS1_20scan_config_selectorIxEEZZNS1_9scan_implILNS1_25lookback_scan_determinismE0ELb0ELb0ES3_N6thrust23THRUST_200600_302600_NS6detail15normal_iteratorINS9_10device_ptrIxEEEENS9_16discard_iteratorINS9_11use_defaultEEExNS9_4plusIvEExEEDaPvRmT3_T4_T5_mT6_P12ihipStream_tbENKUlT_T0_E_clISt17integral_constantIbLb0EESW_IbLb1EEEEDaSS_ST_EUlSS_E0_NS1_11comp_targetILNS1_3genE3ELNS1_11target_archE908ELNS1_3gpuE7ELNS1_3repE0EEENS1_30default_config_static_selectorELNS0_4arch9wavefront6targetE1EEEvT1_ ; -- Begin function _ZN7rocprim17ROCPRIM_400000_NS6detail17trampoline_kernelINS0_14default_configENS1_20scan_config_selectorIxEEZZNS1_9scan_implILNS1_25lookback_scan_determinismE0ELb0ELb0ES3_N6thrust23THRUST_200600_302600_NS6detail15normal_iteratorINS9_10device_ptrIxEEEENS9_16discard_iteratorINS9_11use_defaultEEExNS9_4plusIvEExEEDaPvRmT3_T4_T5_mT6_P12ihipStream_tbENKUlT_T0_E_clISt17integral_constantIbLb0EESW_IbLb1EEEEDaSS_ST_EUlSS_E0_NS1_11comp_targetILNS1_3genE3ELNS1_11target_archE908ELNS1_3gpuE7ELNS1_3repE0EEENS1_30default_config_static_selectorELNS0_4arch9wavefront6targetE1EEEvT1_
	.globl	_ZN7rocprim17ROCPRIM_400000_NS6detail17trampoline_kernelINS0_14default_configENS1_20scan_config_selectorIxEEZZNS1_9scan_implILNS1_25lookback_scan_determinismE0ELb0ELb0ES3_N6thrust23THRUST_200600_302600_NS6detail15normal_iteratorINS9_10device_ptrIxEEEENS9_16discard_iteratorINS9_11use_defaultEEExNS9_4plusIvEExEEDaPvRmT3_T4_T5_mT6_P12ihipStream_tbENKUlT_T0_E_clISt17integral_constantIbLb0EESW_IbLb1EEEEDaSS_ST_EUlSS_E0_NS1_11comp_targetILNS1_3genE3ELNS1_11target_archE908ELNS1_3gpuE7ELNS1_3repE0EEENS1_30default_config_static_selectorELNS0_4arch9wavefront6targetE1EEEvT1_
	.p2align	8
	.type	_ZN7rocprim17ROCPRIM_400000_NS6detail17trampoline_kernelINS0_14default_configENS1_20scan_config_selectorIxEEZZNS1_9scan_implILNS1_25lookback_scan_determinismE0ELb0ELb0ES3_N6thrust23THRUST_200600_302600_NS6detail15normal_iteratorINS9_10device_ptrIxEEEENS9_16discard_iteratorINS9_11use_defaultEEExNS9_4plusIvEExEEDaPvRmT3_T4_T5_mT6_P12ihipStream_tbENKUlT_T0_E_clISt17integral_constantIbLb0EESW_IbLb1EEEEDaSS_ST_EUlSS_E0_NS1_11comp_targetILNS1_3genE3ELNS1_11target_archE908ELNS1_3gpuE7ELNS1_3repE0EEENS1_30default_config_static_selectorELNS0_4arch9wavefront6targetE1EEEvT1_,@function
_ZN7rocprim17ROCPRIM_400000_NS6detail17trampoline_kernelINS0_14default_configENS1_20scan_config_selectorIxEEZZNS1_9scan_implILNS1_25lookback_scan_determinismE0ELb0ELb0ES3_N6thrust23THRUST_200600_302600_NS6detail15normal_iteratorINS9_10device_ptrIxEEEENS9_16discard_iteratorINS9_11use_defaultEEExNS9_4plusIvEExEEDaPvRmT3_T4_T5_mT6_P12ihipStream_tbENKUlT_T0_E_clISt17integral_constantIbLb0EESW_IbLb1EEEEDaSS_ST_EUlSS_E0_NS1_11comp_targetILNS1_3genE3ELNS1_11target_archE908ELNS1_3gpuE7ELNS1_3repE0EEENS1_30default_config_static_selectorELNS0_4arch9wavefront6targetE1EEEvT1_: ; @_ZN7rocprim17ROCPRIM_400000_NS6detail17trampoline_kernelINS0_14default_configENS1_20scan_config_selectorIxEEZZNS1_9scan_implILNS1_25lookback_scan_determinismE0ELb0ELb0ES3_N6thrust23THRUST_200600_302600_NS6detail15normal_iteratorINS9_10device_ptrIxEEEENS9_16discard_iteratorINS9_11use_defaultEEExNS9_4plusIvEExEEDaPvRmT3_T4_T5_mT6_P12ihipStream_tbENKUlT_T0_E_clISt17integral_constantIbLb0EESW_IbLb1EEEEDaSS_ST_EUlSS_E0_NS1_11comp_targetILNS1_3genE3ELNS1_11target_archE908ELNS1_3gpuE7ELNS1_3repE0EEENS1_30default_config_static_selectorELNS0_4arch9wavefront6targetE1EEEvT1_
; %bb.0:
	.section	.rodata,"a",@progbits
	.p2align	6, 0x0
	.amdhsa_kernel _ZN7rocprim17ROCPRIM_400000_NS6detail17trampoline_kernelINS0_14default_configENS1_20scan_config_selectorIxEEZZNS1_9scan_implILNS1_25lookback_scan_determinismE0ELb0ELb0ES3_N6thrust23THRUST_200600_302600_NS6detail15normal_iteratorINS9_10device_ptrIxEEEENS9_16discard_iteratorINS9_11use_defaultEEExNS9_4plusIvEExEEDaPvRmT3_T4_T5_mT6_P12ihipStream_tbENKUlT_T0_E_clISt17integral_constantIbLb0EESW_IbLb1EEEEDaSS_ST_EUlSS_E0_NS1_11comp_targetILNS1_3genE3ELNS1_11target_archE908ELNS1_3gpuE7ELNS1_3repE0EEENS1_30default_config_static_selectorELNS0_4arch9wavefront6targetE1EEEvT1_
		.amdhsa_group_segment_fixed_size 0
		.amdhsa_private_segment_fixed_size 0
		.amdhsa_kernarg_size 48
		.amdhsa_user_sgpr_count 6
		.amdhsa_user_sgpr_private_segment_buffer 1
		.amdhsa_user_sgpr_dispatch_ptr 0
		.amdhsa_user_sgpr_queue_ptr 0
		.amdhsa_user_sgpr_kernarg_segment_ptr 1
		.amdhsa_user_sgpr_dispatch_id 0
		.amdhsa_user_sgpr_flat_scratch_init 0
		.amdhsa_user_sgpr_kernarg_preload_length 0
		.amdhsa_user_sgpr_kernarg_preload_offset 0
		.amdhsa_user_sgpr_private_segment_size 0
		.amdhsa_uses_dynamic_stack 0
		.amdhsa_system_sgpr_private_segment_wavefront_offset 0
		.amdhsa_system_sgpr_workgroup_id_x 1
		.amdhsa_system_sgpr_workgroup_id_y 0
		.amdhsa_system_sgpr_workgroup_id_z 0
		.amdhsa_system_sgpr_workgroup_info 0
		.amdhsa_system_vgpr_workitem_id 0
		.amdhsa_next_free_vgpr 1
		.amdhsa_next_free_sgpr 0
		.amdhsa_accum_offset 4
		.amdhsa_reserve_vcc 0
		.amdhsa_reserve_flat_scratch 0
		.amdhsa_float_round_mode_32 0
		.amdhsa_float_round_mode_16_64 0
		.amdhsa_float_denorm_mode_32 3
		.amdhsa_float_denorm_mode_16_64 3
		.amdhsa_dx10_clamp 1
		.amdhsa_ieee_mode 1
		.amdhsa_fp16_overflow 0
		.amdhsa_tg_split 0
		.amdhsa_exception_fp_ieee_invalid_op 0
		.amdhsa_exception_fp_denorm_src 0
		.amdhsa_exception_fp_ieee_div_zero 0
		.amdhsa_exception_fp_ieee_overflow 0
		.amdhsa_exception_fp_ieee_underflow 0
		.amdhsa_exception_fp_ieee_inexact 0
		.amdhsa_exception_int_div_zero 0
	.end_amdhsa_kernel
	.section	.text._ZN7rocprim17ROCPRIM_400000_NS6detail17trampoline_kernelINS0_14default_configENS1_20scan_config_selectorIxEEZZNS1_9scan_implILNS1_25lookback_scan_determinismE0ELb0ELb0ES3_N6thrust23THRUST_200600_302600_NS6detail15normal_iteratorINS9_10device_ptrIxEEEENS9_16discard_iteratorINS9_11use_defaultEEExNS9_4plusIvEExEEDaPvRmT3_T4_T5_mT6_P12ihipStream_tbENKUlT_T0_E_clISt17integral_constantIbLb0EESW_IbLb1EEEEDaSS_ST_EUlSS_E0_NS1_11comp_targetILNS1_3genE3ELNS1_11target_archE908ELNS1_3gpuE7ELNS1_3repE0EEENS1_30default_config_static_selectorELNS0_4arch9wavefront6targetE1EEEvT1_,"axG",@progbits,_ZN7rocprim17ROCPRIM_400000_NS6detail17trampoline_kernelINS0_14default_configENS1_20scan_config_selectorIxEEZZNS1_9scan_implILNS1_25lookback_scan_determinismE0ELb0ELb0ES3_N6thrust23THRUST_200600_302600_NS6detail15normal_iteratorINS9_10device_ptrIxEEEENS9_16discard_iteratorINS9_11use_defaultEEExNS9_4plusIvEExEEDaPvRmT3_T4_T5_mT6_P12ihipStream_tbENKUlT_T0_E_clISt17integral_constantIbLb0EESW_IbLb1EEEEDaSS_ST_EUlSS_E0_NS1_11comp_targetILNS1_3genE3ELNS1_11target_archE908ELNS1_3gpuE7ELNS1_3repE0EEENS1_30default_config_static_selectorELNS0_4arch9wavefront6targetE1EEEvT1_,comdat
.Lfunc_end5648:
	.size	_ZN7rocprim17ROCPRIM_400000_NS6detail17trampoline_kernelINS0_14default_configENS1_20scan_config_selectorIxEEZZNS1_9scan_implILNS1_25lookback_scan_determinismE0ELb0ELb0ES3_N6thrust23THRUST_200600_302600_NS6detail15normal_iteratorINS9_10device_ptrIxEEEENS9_16discard_iteratorINS9_11use_defaultEEExNS9_4plusIvEExEEDaPvRmT3_T4_T5_mT6_P12ihipStream_tbENKUlT_T0_E_clISt17integral_constantIbLb0EESW_IbLb1EEEEDaSS_ST_EUlSS_E0_NS1_11comp_targetILNS1_3genE3ELNS1_11target_archE908ELNS1_3gpuE7ELNS1_3repE0EEENS1_30default_config_static_selectorELNS0_4arch9wavefront6targetE1EEEvT1_, .Lfunc_end5648-_ZN7rocprim17ROCPRIM_400000_NS6detail17trampoline_kernelINS0_14default_configENS1_20scan_config_selectorIxEEZZNS1_9scan_implILNS1_25lookback_scan_determinismE0ELb0ELb0ES3_N6thrust23THRUST_200600_302600_NS6detail15normal_iteratorINS9_10device_ptrIxEEEENS9_16discard_iteratorINS9_11use_defaultEEExNS9_4plusIvEExEEDaPvRmT3_T4_T5_mT6_P12ihipStream_tbENKUlT_T0_E_clISt17integral_constantIbLb0EESW_IbLb1EEEEDaSS_ST_EUlSS_E0_NS1_11comp_targetILNS1_3genE3ELNS1_11target_archE908ELNS1_3gpuE7ELNS1_3repE0EEENS1_30default_config_static_selectorELNS0_4arch9wavefront6targetE1EEEvT1_
                                        ; -- End function
	.section	.AMDGPU.csdata,"",@progbits
; Kernel info:
; codeLenInByte = 0
; NumSgprs: 4
; NumVgprs: 0
; NumAgprs: 0
; TotalNumVgprs: 0
; ScratchSize: 0
; MemoryBound: 0
; FloatMode: 240
; IeeeMode: 1
; LDSByteSize: 0 bytes/workgroup (compile time only)
; SGPRBlocks: 0
; VGPRBlocks: 0
; NumSGPRsForWavesPerEU: 4
; NumVGPRsForWavesPerEU: 1
; AccumOffset: 4
; Occupancy: 8
; WaveLimiterHint : 0
; COMPUTE_PGM_RSRC2:SCRATCH_EN: 0
; COMPUTE_PGM_RSRC2:USER_SGPR: 6
; COMPUTE_PGM_RSRC2:TRAP_HANDLER: 0
; COMPUTE_PGM_RSRC2:TGID_X_EN: 1
; COMPUTE_PGM_RSRC2:TGID_Y_EN: 0
; COMPUTE_PGM_RSRC2:TGID_Z_EN: 0
; COMPUTE_PGM_RSRC2:TIDIG_COMP_CNT: 0
; COMPUTE_PGM_RSRC3_GFX90A:ACCUM_OFFSET: 0
; COMPUTE_PGM_RSRC3_GFX90A:TG_SPLIT: 0
	.section	.text._ZN7rocprim17ROCPRIM_400000_NS6detail17trampoline_kernelINS0_14default_configENS1_20scan_config_selectorIxEEZZNS1_9scan_implILNS1_25lookback_scan_determinismE0ELb0ELb0ES3_N6thrust23THRUST_200600_302600_NS6detail15normal_iteratorINS9_10device_ptrIxEEEENS9_16discard_iteratorINS9_11use_defaultEEExNS9_4plusIvEExEEDaPvRmT3_T4_T5_mT6_P12ihipStream_tbENKUlT_T0_E_clISt17integral_constantIbLb0EESW_IbLb1EEEEDaSS_ST_EUlSS_E0_NS1_11comp_targetILNS1_3genE2ELNS1_11target_archE906ELNS1_3gpuE6ELNS1_3repE0EEENS1_30default_config_static_selectorELNS0_4arch9wavefront6targetE1EEEvT1_,"axG",@progbits,_ZN7rocprim17ROCPRIM_400000_NS6detail17trampoline_kernelINS0_14default_configENS1_20scan_config_selectorIxEEZZNS1_9scan_implILNS1_25lookback_scan_determinismE0ELb0ELb0ES3_N6thrust23THRUST_200600_302600_NS6detail15normal_iteratorINS9_10device_ptrIxEEEENS9_16discard_iteratorINS9_11use_defaultEEExNS9_4plusIvEExEEDaPvRmT3_T4_T5_mT6_P12ihipStream_tbENKUlT_T0_E_clISt17integral_constantIbLb0EESW_IbLb1EEEEDaSS_ST_EUlSS_E0_NS1_11comp_targetILNS1_3genE2ELNS1_11target_archE906ELNS1_3gpuE6ELNS1_3repE0EEENS1_30default_config_static_selectorELNS0_4arch9wavefront6targetE1EEEvT1_,comdat
	.protected	_ZN7rocprim17ROCPRIM_400000_NS6detail17trampoline_kernelINS0_14default_configENS1_20scan_config_selectorIxEEZZNS1_9scan_implILNS1_25lookback_scan_determinismE0ELb0ELb0ES3_N6thrust23THRUST_200600_302600_NS6detail15normal_iteratorINS9_10device_ptrIxEEEENS9_16discard_iteratorINS9_11use_defaultEEExNS9_4plusIvEExEEDaPvRmT3_T4_T5_mT6_P12ihipStream_tbENKUlT_T0_E_clISt17integral_constantIbLb0EESW_IbLb1EEEEDaSS_ST_EUlSS_E0_NS1_11comp_targetILNS1_3genE2ELNS1_11target_archE906ELNS1_3gpuE6ELNS1_3repE0EEENS1_30default_config_static_selectorELNS0_4arch9wavefront6targetE1EEEvT1_ ; -- Begin function _ZN7rocprim17ROCPRIM_400000_NS6detail17trampoline_kernelINS0_14default_configENS1_20scan_config_selectorIxEEZZNS1_9scan_implILNS1_25lookback_scan_determinismE0ELb0ELb0ES3_N6thrust23THRUST_200600_302600_NS6detail15normal_iteratorINS9_10device_ptrIxEEEENS9_16discard_iteratorINS9_11use_defaultEEExNS9_4plusIvEExEEDaPvRmT3_T4_T5_mT6_P12ihipStream_tbENKUlT_T0_E_clISt17integral_constantIbLb0EESW_IbLb1EEEEDaSS_ST_EUlSS_E0_NS1_11comp_targetILNS1_3genE2ELNS1_11target_archE906ELNS1_3gpuE6ELNS1_3repE0EEENS1_30default_config_static_selectorELNS0_4arch9wavefront6targetE1EEEvT1_
	.globl	_ZN7rocprim17ROCPRIM_400000_NS6detail17trampoline_kernelINS0_14default_configENS1_20scan_config_selectorIxEEZZNS1_9scan_implILNS1_25lookback_scan_determinismE0ELb0ELb0ES3_N6thrust23THRUST_200600_302600_NS6detail15normal_iteratorINS9_10device_ptrIxEEEENS9_16discard_iteratorINS9_11use_defaultEEExNS9_4plusIvEExEEDaPvRmT3_T4_T5_mT6_P12ihipStream_tbENKUlT_T0_E_clISt17integral_constantIbLb0EESW_IbLb1EEEEDaSS_ST_EUlSS_E0_NS1_11comp_targetILNS1_3genE2ELNS1_11target_archE906ELNS1_3gpuE6ELNS1_3repE0EEENS1_30default_config_static_selectorELNS0_4arch9wavefront6targetE1EEEvT1_
	.p2align	8
	.type	_ZN7rocprim17ROCPRIM_400000_NS6detail17trampoline_kernelINS0_14default_configENS1_20scan_config_selectorIxEEZZNS1_9scan_implILNS1_25lookback_scan_determinismE0ELb0ELb0ES3_N6thrust23THRUST_200600_302600_NS6detail15normal_iteratorINS9_10device_ptrIxEEEENS9_16discard_iteratorINS9_11use_defaultEEExNS9_4plusIvEExEEDaPvRmT3_T4_T5_mT6_P12ihipStream_tbENKUlT_T0_E_clISt17integral_constantIbLb0EESW_IbLb1EEEEDaSS_ST_EUlSS_E0_NS1_11comp_targetILNS1_3genE2ELNS1_11target_archE906ELNS1_3gpuE6ELNS1_3repE0EEENS1_30default_config_static_selectorELNS0_4arch9wavefront6targetE1EEEvT1_,@function
_ZN7rocprim17ROCPRIM_400000_NS6detail17trampoline_kernelINS0_14default_configENS1_20scan_config_selectorIxEEZZNS1_9scan_implILNS1_25lookback_scan_determinismE0ELb0ELb0ES3_N6thrust23THRUST_200600_302600_NS6detail15normal_iteratorINS9_10device_ptrIxEEEENS9_16discard_iteratorINS9_11use_defaultEEExNS9_4plusIvEExEEDaPvRmT3_T4_T5_mT6_P12ihipStream_tbENKUlT_T0_E_clISt17integral_constantIbLb0EESW_IbLb1EEEEDaSS_ST_EUlSS_E0_NS1_11comp_targetILNS1_3genE2ELNS1_11target_archE906ELNS1_3gpuE6ELNS1_3repE0EEENS1_30default_config_static_selectorELNS0_4arch9wavefront6targetE1EEEvT1_: ; @_ZN7rocprim17ROCPRIM_400000_NS6detail17trampoline_kernelINS0_14default_configENS1_20scan_config_selectorIxEEZZNS1_9scan_implILNS1_25lookback_scan_determinismE0ELb0ELb0ES3_N6thrust23THRUST_200600_302600_NS6detail15normal_iteratorINS9_10device_ptrIxEEEENS9_16discard_iteratorINS9_11use_defaultEEExNS9_4plusIvEExEEDaPvRmT3_T4_T5_mT6_P12ihipStream_tbENKUlT_T0_E_clISt17integral_constantIbLb0EESW_IbLb1EEEEDaSS_ST_EUlSS_E0_NS1_11comp_targetILNS1_3genE2ELNS1_11target_archE906ELNS1_3gpuE6ELNS1_3repE0EEENS1_30default_config_static_selectorELNS0_4arch9wavefront6targetE1EEEvT1_
; %bb.0:
	.section	.rodata,"a",@progbits
	.p2align	6, 0x0
	.amdhsa_kernel _ZN7rocprim17ROCPRIM_400000_NS6detail17trampoline_kernelINS0_14default_configENS1_20scan_config_selectorIxEEZZNS1_9scan_implILNS1_25lookback_scan_determinismE0ELb0ELb0ES3_N6thrust23THRUST_200600_302600_NS6detail15normal_iteratorINS9_10device_ptrIxEEEENS9_16discard_iteratorINS9_11use_defaultEEExNS9_4plusIvEExEEDaPvRmT3_T4_T5_mT6_P12ihipStream_tbENKUlT_T0_E_clISt17integral_constantIbLb0EESW_IbLb1EEEEDaSS_ST_EUlSS_E0_NS1_11comp_targetILNS1_3genE2ELNS1_11target_archE906ELNS1_3gpuE6ELNS1_3repE0EEENS1_30default_config_static_selectorELNS0_4arch9wavefront6targetE1EEEvT1_
		.amdhsa_group_segment_fixed_size 0
		.amdhsa_private_segment_fixed_size 0
		.amdhsa_kernarg_size 48
		.amdhsa_user_sgpr_count 6
		.amdhsa_user_sgpr_private_segment_buffer 1
		.amdhsa_user_sgpr_dispatch_ptr 0
		.amdhsa_user_sgpr_queue_ptr 0
		.amdhsa_user_sgpr_kernarg_segment_ptr 1
		.amdhsa_user_sgpr_dispatch_id 0
		.amdhsa_user_sgpr_flat_scratch_init 0
		.amdhsa_user_sgpr_kernarg_preload_length 0
		.amdhsa_user_sgpr_kernarg_preload_offset 0
		.amdhsa_user_sgpr_private_segment_size 0
		.amdhsa_uses_dynamic_stack 0
		.amdhsa_system_sgpr_private_segment_wavefront_offset 0
		.amdhsa_system_sgpr_workgroup_id_x 1
		.amdhsa_system_sgpr_workgroup_id_y 0
		.amdhsa_system_sgpr_workgroup_id_z 0
		.amdhsa_system_sgpr_workgroup_info 0
		.amdhsa_system_vgpr_workitem_id 0
		.amdhsa_next_free_vgpr 1
		.amdhsa_next_free_sgpr 0
		.amdhsa_accum_offset 4
		.amdhsa_reserve_vcc 0
		.amdhsa_reserve_flat_scratch 0
		.amdhsa_float_round_mode_32 0
		.amdhsa_float_round_mode_16_64 0
		.amdhsa_float_denorm_mode_32 3
		.amdhsa_float_denorm_mode_16_64 3
		.amdhsa_dx10_clamp 1
		.amdhsa_ieee_mode 1
		.amdhsa_fp16_overflow 0
		.amdhsa_tg_split 0
		.amdhsa_exception_fp_ieee_invalid_op 0
		.amdhsa_exception_fp_denorm_src 0
		.amdhsa_exception_fp_ieee_div_zero 0
		.amdhsa_exception_fp_ieee_overflow 0
		.amdhsa_exception_fp_ieee_underflow 0
		.amdhsa_exception_fp_ieee_inexact 0
		.amdhsa_exception_int_div_zero 0
	.end_amdhsa_kernel
	.section	.text._ZN7rocprim17ROCPRIM_400000_NS6detail17trampoline_kernelINS0_14default_configENS1_20scan_config_selectorIxEEZZNS1_9scan_implILNS1_25lookback_scan_determinismE0ELb0ELb0ES3_N6thrust23THRUST_200600_302600_NS6detail15normal_iteratorINS9_10device_ptrIxEEEENS9_16discard_iteratorINS9_11use_defaultEEExNS9_4plusIvEExEEDaPvRmT3_T4_T5_mT6_P12ihipStream_tbENKUlT_T0_E_clISt17integral_constantIbLb0EESW_IbLb1EEEEDaSS_ST_EUlSS_E0_NS1_11comp_targetILNS1_3genE2ELNS1_11target_archE906ELNS1_3gpuE6ELNS1_3repE0EEENS1_30default_config_static_selectorELNS0_4arch9wavefront6targetE1EEEvT1_,"axG",@progbits,_ZN7rocprim17ROCPRIM_400000_NS6detail17trampoline_kernelINS0_14default_configENS1_20scan_config_selectorIxEEZZNS1_9scan_implILNS1_25lookback_scan_determinismE0ELb0ELb0ES3_N6thrust23THRUST_200600_302600_NS6detail15normal_iteratorINS9_10device_ptrIxEEEENS9_16discard_iteratorINS9_11use_defaultEEExNS9_4plusIvEExEEDaPvRmT3_T4_T5_mT6_P12ihipStream_tbENKUlT_T0_E_clISt17integral_constantIbLb0EESW_IbLb1EEEEDaSS_ST_EUlSS_E0_NS1_11comp_targetILNS1_3genE2ELNS1_11target_archE906ELNS1_3gpuE6ELNS1_3repE0EEENS1_30default_config_static_selectorELNS0_4arch9wavefront6targetE1EEEvT1_,comdat
.Lfunc_end5649:
	.size	_ZN7rocprim17ROCPRIM_400000_NS6detail17trampoline_kernelINS0_14default_configENS1_20scan_config_selectorIxEEZZNS1_9scan_implILNS1_25lookback_scan_determinismE0ELb0ELb0ES3_N6thrust23THRUST_200600_302600_NS6detail15normal_iteratorINS9_10device_ptrIxEEEENS9_16discard_iteratorINS9_11use_defaultEEExNS9_4plusIvEExEEDaPvRmT3_T4_T5_mT6_P12ihipStream_tbENKUlT_T0_E_clISt17integral_constantIbLb0EESW_IbLb1EEEEDaSS_ST_EUlSS_E0_NS1_11comp_targetILNS1_3genE2ELNS1_11target_archE906ELNS1_3gpuE6ELNS1_3repE0EEENS1_30default_config_static_selectorELNS0_4arch9wavefront6targetE1EEEvT1_, .Lfunc_end5649-_ZN7rocprim17ROCPRIM_400000_NS6detail17trampoline_kernelINS0_14default_configENS1_20scan_config_selectorIxEEZZNS1_9scan_implILNS1_25lookback_scan_determinismE0ELb0ELb0ES3_N6thrust23THRUST_200600_302600_NS6detail15normal_iteratorINS9_10device_ptrIxEEEENS9_16discard_iteratorINS9_11use_defaultEEExNS9_4plusIvEExEEDaPvRmT3_T4_T5_mT6_P12ihipStream_tbENKUlT_T0_E_clISt17integral_constantIbLb0EESW_IbLb1EEEEDaSS_ST_EUlSS_E0_NS1_11comp_targetILNS1_3genE2ELNS1_11target_archE906ELNS1_3gpuE6ELNS1_3repE0EEENS1_30default_config_static_selectorELNS0_4arch9wavefront6targetE1EEEvT1_
                                        ; -- End function
	.section	.AMDGPU.csdata,"",@progbits
; Kernel info:
; codeLenInByte = 0
; NumSgprs: 4
; NumVgprs: 0
; NumAgprs: 0
; TotalNumVgprs: 0
; ScratchSize: 0
; MemoryBound: 0
; FloatMode: 240
; IeeeMode: 1
; LDSByteSize: 0 bytes/workgroup (compile time only)
; SGPRBlocks: 0
; VGPRBlocks: 0
; NumSGPRsForWavesPerEU: 4
; NumVGPRsForWavesPerEU: 1
; AccumOffset: 4
; Occupancy: 8
; WaveLimiterHint : 0
; COMPUTE_PGM_RSRC2:SCRATCH_EN: 0
; COMPUTE_PGM_RSRC2:USER_SGPR: 6
; COMPUTE_PGM_RSRC2:TRAP_HANDLER: 0
; COMPUTE_PGM_RSRC2:TGID_X_EN: 1
; COMPUTE_PGM_RSRC2:TGID_Y_EN: 0
; COMPUTE_PGM_RSRC2:TGID_Z_EN: 0
; COMPUTE_PGM_RSRC2:TIDIG_COMP_CNT: 0
; COMPUTE_PGM_RSRC3_GFX90A:ACCUM_OFFSET: 0
; COMPUTE_PGM_RSRC3_GFX90A:TG_SPLIT: 0
	.section	.text._ZN7rocprim17ROCPRIM_400000_NS6detail17trampoline_kernelINS0_14default_configENS1_20scan_config_selectorIxEEZZNS1_9scan_implILNS1_25lookback_scan_determinismE0ELb0ELb0ES3_N6thrust23THRUST_200600_302600_NS6detail15normal_iteratorINS9_10device_ptrIxEEEENS9_16discard_iteratorINS9_11use_defaultEEExNS9_4plusIvEExEEDaPvRmT3_T4_T5_mT6_P12ihipStream_tbENKUlT_T0_E_clISt17integral_constantIbLb0EESW_IbLb1EEEEDaSS_ST_EUlSS_E0_NS1_11comp_targetILNS1_3genE10ELNS1_11target_archE1201ELNS1_3gpuE5ELNS1_3repE0EEENS1_30default_config_static_selectorELNS0_4arch9wavefront6targetE1EEEvT1_,"axG",@progbits,_ZN7rocprim17ROCPRIM_400000_NS6detail17trampoline_kernelINS0_14default_configENS1_20scan_config_selectorIxEEZZNS1_9scan_implILNS1_25lookback_scan_determinismE0ELb0ELb0ES3_N6thrust23THRUST_200600_302600_NS6detail15normal_iteratorINS9_10device_ptrIxEEEENS9_16discard_iteratorINS9_11use_defaultEEExNS9_4plusIvEExEEDaPvRmT3_T4_T5_mT6_P12ihipStream_tbENKUlT_T0_E_clISt17integral_constantIbLb0EESW_IbLb1EEEEDaSS_ST_EUlSS_E0_NS1_11comp_targetILNS1_3genE10ELNS1_11target_archE1201ELNS1_3gpuE5ELNS1_3repE0EEENS1_30default_config_static_selectorELNS0_4arch9wavefront6targetE1EEEvT1_,comdat
	.protected	_ZN7rocprim17ROCPRIM_400000_NS6detail17trampoline_kernelINS0_14default_configENS1_20scan_config_selectorIxEEZZNS1_9scan_implILNS1_25lookback_scan_determinismE0ELb0ELb0ES3_N6thrust23THRUST_200600_302600_NS6detail15normal_iteratorINS9_10device_ptrIxEEEENS9_16discard_iteratorINS9_11use_defaultEEExNS9_4plusIvEExEEDaPvRmT3_T4_T5_mT6_P12ihipStream_tbENKUlT_T0_E_clISt17integral_constantIbLb0EESW_IbLb1EEEEDaSS_ST_EUlSS_E0_NS1_11comp_targetILNS1_3genE10ELNS1_11target_archE1201ELNS1_3gpuE5ELNS1_3repE0EEENS1_30default_config_static_selectorELNS0_4arch9wavefront6targetE1EEEvT1_ ; -- Begin function _ZN7rocprim17ROCPRIM_400000_NS6detail17trampoline_kernelINS0_14default_configENS1_20scan_config_selectorIxEEZZNS1_9scan_implILNS1_25lookback_scan_determinismE0ELb0ELb0ES3_N6thrust23THRUST_200600_302600_NS6detail15normal_iteratorINS9_10device_ptrIxEEEENS9_16discard_iteratorINS9_11use_defaultEEExNS9_4plusIvEExEEDaPvRmT3_T4_T5_mT6_P12ihipStream_tbENKUlT_T0_E_clISt17integral_constantIbLb0EESW_IbLb1EEEEDaSS_ST_EUlSS_E0_NS1_11comp_targetILNS1_3genE10ELNS1_11target_archE1201ELNS1_3gpuE5ELNS1_3repE0EEENS1_30default_config_static_selectorELNS0_4arch9wavefront6targetE1EEEvT1_
	.globl	_ZN7rocprim17ROCPRIM_400000_NS6detail17trampoline_kernelINS0_14default_configENS1_20scan_config_selectorIxEEZZNS1_9scan_implILNS1_25lookback_scan_determinismE0ELb0ELb0ES3_N6thrust23THRUST_200600_302600_NS6detail15normal_iteratorINS9_10device_ptrIxEEEENS9_16discard_iteratorINS9_11use_defaultEEExNS9_4plusIvEExEEDaPvRmT3_T4_T5_mT6_P12ihipStream_tbENKUlT_T0_E_clISt17integral_constantIbLb0EESW_IbLb1EEEEDaSS_ST_EUlSS_E0_NS1_11comp_targetILNS1_3genE10ELNS1_11target_archE1201ELNS1_3gpuE5ELNS1_3repE0EEENS1_30default_config_static_selectorELNS0_4arch9wavefront6targetE1EEEvT1_
	.p2align	8
	.type	_ZN7rocprim17ROCPRIM_400000_NS6detail17trampoline_kernelINS0_14default_configENS1_20scan_config_selectorIxEEZZNS1_9scan_implILNS1_25lookback_scan_determinismE0ELb0ELb0ES3_N6thrust23THRUST_200600_302600_NS6detail15normal_iteratorINS9_10device_ptrIxEEEENS9_16discard_iteratorINS9_11use_defaultEEExNS9_4plusIvEExEEDaPvRmT3_T4_T5_mT6_P12ihipStream_tbENKUlT_T0_E_clISt17integral_constantIbLb0EESW_IbLb1EEEEDaSS_ST_EUlSS_E0_NS1_11comp_targetILNS1_3genE10ELNS1_11target_archE1201ELNS1_3gpuE5ELNS1_3repE0EEENS1_30default_config_static_selectorELNS0_4arch9wavefront6targetE1EEEvT1_,@function
_ZN7rocprim17ROCPRIM_400000_NS6detail17trampoline_kernelINS0_14default_configENS1_20scan_config_selectorIxEEZZNS1_9scan_implILNS1_25lookback_scan_determinismE0ELb0ELb0ES3_N6thrust23THRUST_200600_302600_NS6detail15normal_iteratorINS9_10device_ptrIxEEEENS9_16discard_iteratorINS9_11use_defaultEEExNS9_4plusIvEExEEDaPvRmT3_T4_T5_mT6_P12ihipStream_tbENKUlT_T0_E_clISt17integral_constantIbLb0EESW_IbLb1EEEEDaSS_ST_EUlSS_E0_NS1_11comp_targetILNS1_3genE10ELNS1_11target_archE1201ELNS1_3gpuE5ELNS1_3repE0EEENS1_30default_config_static_selectorELNS0_4arch9wavefront6targetE1EEEvT1_: ; @_ZN7rocprim17ROCPRIM_400000_NS6detail17trampoline_kernelINS0_14default_configENS1_20scan_config_selectorIxEEZZNS1_9scan_implILNS1_25lookback_scan_determinismE0ELb0ELb0ES3_N6thrust23THRUST_200600_302600_NS6detail15normal_iteratorINS9_10device_ptrIxEEEENS9_16discard_iteratorINS9_11use_defaultEEExNS9_4plusIvEExEEDaPvRmT3_T4_T5_mT6_P12ihipStream_tbENKUlT_T0_E_clISt17integral_constantIbLb0EESW_IbLb1EEEEDaSS_ST_EUlSS_E0_NS1_11comp_targetILNS1_3genE10ELNS1_11target_archE1201ELNS1_3gpuE5ELNS1_3repE0EEENS1_30default_config_static_selectorELNS0_4arch9wavefront6targetE1EEEvT1_
; %bb.0:
	.section	.rodata,"a",@progbits
	.p2align	6, 0x0
	.amdhsa_kernel _ZN7rocprim17ROCPRIM_400000_NS6detail17trampoline_kernelINS0_14default_configENS1_20scan_config_selectorIxEEZZNS1_9scan_implILNS1_25lookback_scan_determinismE0ELb0ELb0ES3_N6thrust23THRUST_200600_302600_NS6detail15normal_iteratorINS9_10device_ptrIxEEEENS9_16discard_iteratorINS9_11use_defaultEEExNS9_4plusIvEExEEDaPvRmT3_T4_T5_mT6_P12ihipStream_tbENKUlT_T0_E_clISt17integral_constantIbLb0EESW_IbLb1EEEEDaSS_ST_EUlSS_E0_NS1_11comp_targetILNS1_3genE10ELNS1_11target_archE1201ELNS1_3gpuE5ELNS1_3repE0EEENS1_30default_config_static_selectorELNS0_4arch9wavefront6targetE1EEEvT1_
		.amdhsa_group_segment_fixed_size 0
		.amdhsa_private_segment_fixed_size 0
		.amdhsa_kernarg_size 48
		.amdhsa_user_sgpr_count 6
		.amdhsa_user_sgpr_private_segment_buffer 1
		.amdhsa_user_sgpr_dispatch_ptr 0
		.amdhsa_user_sgpr_queue_ptr 0
		.amdhsa_user_sgpr_kernarg_segment_ptr 1
		.amdhsa_user_sgpr_dispatch_id 0
		.amdhsa_user_sgpr_flat_scratch_init 0
		.amdhsa_user_sgpr_kernarg_preload_length 0
		.amdhsa_user_sgpr_kernarg_preload_offset 0
		.amdhsa_user_sgpr_private_segment_size 0
		.amdhsa_uses_dynamic_stack 0
		.amdhsa_system_sgpr_private_segment_wavefront_offset 0
		.amdhsa_system_sgpr_workgroup_id_x 1
		.amdhsa_system_sgpr_workgroup_id_y 0
		.amdhsa_system_sgpr_workgroup_id_z 0
		.amdhsa_system_sgpr_workgroup_info 0
		.amdhsa_system_vgpr_workitem_id 0
		.amdhsa_next_free_vgpr 1
		.amdhsa_next_free_sgpr 0
		.amdhsa_accum_offset 4
		.amdhsa_reserve_vcc 0
		.amdhsa_reserve_flat_scratch 0
		.amdhsa_float_round_mode_32 0
		.amdhsa_float_round_mode_16_64 0
		.amdhsa_float_denorm_mode_32 3
		.amdhsa_float_denorm_mode_16_64 3
		.amdhsa_dx10_clamp 1
		.amdhsa_ieee_mode 1
		.amdhsa_fp16_overflow 0
		.amdhsa_tg_split 0
		.amdhsa_exception_fp_ieee_invalid_op 0
		.amdhsa_exception_fp_denorm_src 0
		.amdhsa_exception_fp_ieee_div_zero 0
		.amdhsa_exception_fp_ieee_overflow 0
		.amdhsa_exception_fp_ieee_underflow 0
		.amdhsa_exception_fp_ieee_inexact 0
		.amdhsa_exception_int_div_zero 0
	.end_amdhsa_kernel
	.section	.text._ZN7rocprim17ROCPRIM_400000_NS6detail17trampoline_kernelINS0_14default_configENS1_20scan_config_selectorIxEEZZNS1_9scan_implILNS1_25lookback_scan_determinismE0ELb0ELb0ES3_N6thrust23THRUST_200600_302600_NS6detail15normal_iteratorINS9_10device_ptrIxEEEENS9_16discard_iteratorINS9_11use_defaultEEExNS9_4plusIvEExEEDaPvRmT3_T4_T5_mT6_P12ihipStream_tbENKUlT_T0_E_clISt17integral_constantIbLb0EESW_IbLb1EEEEDaSS_ST_EUlSS_E0_NS1_11comp_targetILNS1_3genE10ELNS1_11target_archE1201ELNS1_3gpuE5ELNS1_3repE0EEENS1_30default_config_static_selectorELNS0_4arch9wavefront6targetE1EEEvT1_,"axG",@progbits,_ZN7rocprim17ROCPRIM_400000_NS6detail17trampoline_kernelINS0_14default_configENS1_20scan_config_selectorIxEEZZNS1_9scan_implILNS1_25lookback_scan_determinismE0ELb0ELb0ES3_N6thrust23THRUST_200600_302600_NS6detail15normal_iteratorINS9_10device_ptrIxEEEENS9_16discard_iteratorINS9_11use_defaultEEExNS9_4plusIvEExEEDaPvRmT3_T4_T5_mT6_P12ihipStream_tbENKUlT_T0_E_clISt17integral_constantIbLb0EESW_IbLb1EEEEDaSS_ST_EUlSS_E0_NS1_11comp_targetILNS1_3genE10ELNS1_11target_archE1201ELNS1_3gpuE5ELNS1_3repE0EEENS1_30default_config_static_selectorELNS0_4arch9wavefront6targetE1EEEvT1_,comdat
.Lfunc_end5650:
	.size	_ZN7rocprim17ROCPRIM_400000_NS6detail17trampoline_kernelINS0_14default_configENS1_20scan_config_selectorIxEEZZNS1_9scan_implILNS1_25lookback_scan_determinismE0ELb0ELb0ES3_N6thrust23THRUST_200600_302600_NS6detail15normal_iteratorINS9_10device_ptrIxEEEENS9_16discard_iteratorINS9_11use_defaultEEExNS9_4plusIvEExEEDaPvRmT3_T4_T5_mT6_P12ihipStream_tbENKUlT_T0_E_clISt17integral_constantIbLb0EESW_IbLb1EEEEDaSS_ST_EUlSS_E0_NS1_11comp_targetILNS1_3genE10ELNS1_11target_archE1201ELNS1_3gpuE5ELNS1_3repE0EEENS1_30default_config_static_selectorELNS0_4arch9wavefront6targetE1EEEvT1_, .Lfunc_end5650-_ZN7rocprim17ROCPRIM_400000_NS6detail17trampoline_kernelINS0_14default_configENS1_20scan_config_selectorIxEEZZNS1_9scan_implILNS1_25lookback_scan_determinismE0ELb0ELb0ES3_N6thrust23THRUST_200600_302600_NS6detail15normal_iteratorINS9_10device_ptrIxEEEENS9_16discard_iteratorINS9_11use_defaultEEExNS9_4plusIvEExEEDaPvRmT3_T4_T5_mT6_P12ihipStream_tbENKUlT_T0_E_clISt17integral_constantIbLb0EESW_IbLb1EEEEDaSS_ST_EUlSS_E0_NS1_11comp_targetILNS1_3genE10ELNS1_11target_archE1201ELNS1_3gpuE5ELNS1_3repE0EEENS1_30default_config_static_selectorELNS0_4arch9wavefront6targetE1EEEvT1_
                                        ; -- End function
	.section	.AMDGPU.csdata,"",@progbits
; Kernel info:
; codeLenInByte = 0
; NumSgprs: 4
; NumVgprs: 0
; NumAgprs: 0
; TotalNumVgprs: 0
; ScratchSize: 0
; MemoryBound: 0
; FloatMode: 240
; IeeeMode: 1
; LDSByteSize: 0 bytes/workgroup (compile time only)
; SGPRBlocks: 0
; VGPRBlocks: 0
; NumSGPRsForWavesPerEU: 4
; NumVGPRsForWavesPerEU: 1
; AccumOffset: 4
; Occupancy: 8
; WaveLimiterHint : 0
; COMPUTE_PGM_RSRC2:SCRATCH_EN: 0
; COMPUTE_PGM_RSRC2:USER_SGPR: 6
; COMPUTE_PGM_RSRC2:TRAP_HANDLER: 0
; COMPUTE_PGM_RSRC2:TGID_X_EN: 1
; COMPUTE_PGM_RSRC2:TGID_Y_EN: 0
; COMPUTE_PGM_RSRC2:TGID_Z_EN: 0
; COMPUTE_PGM_RSRC2:TIDIG_COMP_CNT: 0
; COMPUTE_PGM_RSRC3_GFX90A:ACCUM_OFFSET: 0
; COMPUTE_PGM_RSRC3_GFX90A:TG_SPLIT: 0
	.section	.text._ZN7rocprim17ROCPRIM_400000_NS6detail17trampoline_kernelINS0_14default_configENS1_20scan_config_selectorIxEEZZNS1_9scan_implILNS1_25lookback_scan_determinismE0ELb0ELb0ES3_N6thrust23THRUST_200600_302600_NS6detail15normal_iteratorINS9_10device_ptrIxEEEENS9_16discard_iteratorINS9_11use_defaultEEExNS9_4plusIvEExEEDaPvRmT3_T4_T5_mT6_P12ihipStream_tbENKUlT_T0_E_clISt17integral_constantIbLb0EESW_IbLb1EEEEDaSS_ST_EUlSS_E0_NS1_11comp_targetILNS1_3genE10ELNS1_11target_archE1200ELNS1_3gpuE4ELNS1_3repE0EEENS1_30default_config_static_selectorELNS0_4arch9wavefront6targetE1EEEvT1_,"axG",@progbits,_ZN7rocprim17ROCPRIM_400000_NS6detail17trampoline_kernelINS0_14default_configENS1_20scan_config_selectorIxEEZZNS1_9scan_implILNS1_25lookback_scan_determinismE0ELb0ELb0ES3_N6thrust23THRUST_200600_302600_NS6detail15normal_iteratorINS9_10device_ptrIxEEEENS9_16discard_iteratorINS9_11use_defaultEEExNS9_4plusIvEExEEDaPvRmT3_T4_T5_mT6_P12ihipStream_tbENKUlT_T0_E_clISt17integral_constantIbLb0EESW_IbLb1EEEEDaSS_ST_EUlSS_E0_NS1_11comp_targetILNS1_3genE10ELNS1_11target_archE1200ELNS1_3gpuE4ELNS1_3repE0EEENS1_30default_config_static_selectorELNS0_4arch9wavefront6targetE1EEEvT1_,comdat
	.protected	_ZN7rocprim17ROCPRIM_400000_NS6detail17trampoline_kernelINS0_14default_configENS1_20scan_config_selectorIxEEZZNS1_9scan_implILNS1_25lookback_scan_determinismE0ELb0ELb0ES3_N6thrust23THRUST_200600_302600_NS6detail15normal_iteratorINS9_10device_ptrIxEEEENS9_16discard_iteratorINS9_11use_defaultEEExNS9_4plusIvEExEEDaPvRmT3_T4_T5_mT6_P12ihipStream_tbENKUlT_T0_E_clISt17integral_constantIbLb0EESW_IbLb1EEEEDaSS_ST_EUlSS_E0_NS1_11comp_targetILNS1_3genE10ELNS1_11target_archE1200ELNS1_3gpuE4ELNS1_3repE0EEENS1_30default_config_static_selectorELNS0_4arch9wavefront6targetE1EEEvT1_ ; -- Begin function _ZN7rocprim17ROCPRIM_400000_NS6detail17trampoline_kernelINS0_14default_configENS1_20scan_config_selectorIxEEZZNS1_9scan_implILNS1_25lookback_scan_determinismE0ELb0ELb0ES3_N6thrust23THRUST_200600_302600_NS6detail15normal_iteratorINS9_10device_ptrIxEEEENS9_16discard_iteratorINS9_11use_defaultEEExNS9_4plusIvEExEEDaPvRmT3_T4_T5_mT6_P12ihipStream_tbENKUlT_T0_E_clISt17integral_constantIbLb0EESW_IbLb1EEEEDaSS_ST_EUlSS_E0_NS1_11comp_targetILNS1_3genE10ELNS1_11target_archE1200ELNS1_3gpuE4ELNS1_3repE0EEENS1_30default_config_static_selectorELNS0_4arch9wavefront6targetE1EEEvT1_
	.globl	_ZN7rocprim17ROCPRIM_400000_NS6detail17trampoline_kernelINS0_14default_configENS1_20scan_config_selectorIxEEZZNS1_9scan_implILNS1_25lookback_scan_determinismE0ELb0ELb0ES3_N6thrust23THRUST_200600_302600_NS6detail15normal_iteratorINS9_10device_ptrIxEEEENS9_16discard_iteratorINS9_11use_defaultEEExNS9_4plusIvEExEEDaPvRmT3_T4_T5_mT6_P12ihipStream_tbENKUlT_T0_E_clISt17integral_constantIbLb0EESW_IbLb1EEEEDaSS_ST_EUlSS_E0_NS1_11comp_targetILNS1_3genE10ELNS1_11target_archE1200ELNS1_3gpuE4ELNS1_3repE0EEENS1_30default_config_static_selectorELNS0_4arch9wavefront6targetE1EEEvT1_
	.p2align	8
	.type	_ZN7rocprim17ROCPRIM_400000_NS6detail17trampoline_kernelINS0_14default_configENS1_20scan_config_selectorIxEEZZNS1_9scan_implILNS1_25lookback_scan_determinismE0ELb0ELb0ES3_N6thrust23THRUST_200600_302600_NS6detail15normal_iteratorINS9_10device_ptrIxEEEENS9_16discard_iteratorINS9_11use_defaultEEExNS9_4plusIvEExEEDaPvRmT3_T4_T5_mT6_P12ihipStream_tbENKUlT_T0_E_clISt17integral_constantIbLb0EESW_IbLb1EEEEDaSS_ST_EUlSS_E0_NS1_11comp_targetILNS1_3genE10ELNS1_11target_archE1200ELNS1_3gpuE4ELNS1_3repE0EEENS1_30default_config_static_selectorELNS0_4arch9wavefront6targetE1EEEvT1_,@function
_ZN7rocprim17ROCPRIM_400000_NS6detail17trampoline_kernelINS0_14default_configENS1_20scan_config_selectorIxEEZZNS1_9scan_implILNS1_25lookback_scan_determinismE0ELb0ELb0ES3_N6thrust23THRUST_200600_302600_NS6detail15normal_iteratorINS9_10device_ptrIxEEEENS9_16discard_iteratorINS9_11use_defaultEEExNS9_4plusIvEExEEDaPvRmT3_T4_T5_mT6_P12ihipStream_tbENKUlT_T0_E_clISt17integral_constantIbLb0EESW_IbLb1EEEEDaSS_ST_EUlSS_E0_NS1_11comp_targetILNS1_3genE10ELNS1_11target_archE1200ELNS1_3gpuE4ELNS1_3repE0EEENS1_30default_config_static_selectorELNS0_4arch9wavefront6targetE1EEEvT1_: ; @_ZN7rocprim17ROCPRIM_400000_NS6detail17trampoline_kernelINS0_14default_configENS1_20scan_config_selectorIxEEZZNS1_9scan_implILNS1_25lookback_scan_determinismE0ELb0ELb0ES3_N6thrust23THRUST_200600_302600_NS6detail15normal_iteratorINS9_10device_ptrIxEEEENS9_16discard_iteratorINS9_11use_defaultEEExNS9_4plusIvEExEEDaPvRmT3_T4_T5_mT6_P12ihipStream_tbENKUlT_T0_E_clISt17integral_constantIbLb0EESW_IbLb1EEEEDaSS_ST_EUlSS_E0_NS1_11comp_targetILNS1_3genE10ELNS1_11target_archE1200ELNS1_3gpuE4ELNS1_3repE0EEENS1_30default_config_static_selectorELNS0_4arch9wavefront6targetE1EEEvT1_
; %bb.0:
	.section	.rodata,"a",@progbits
	.p2align	6, 0x0
	.amdhsa_kernel _ZN7rocprim17ROCPRIM_400000_NS6detail17trampoline_kernelINS0_14default_configENS1_20scan_config_selectorIxEEZZNS1_9scan_implILNS1_25lookback_scan_determinismE0ELb0ELb0ES3_N6thrust23THRUST_200600_302600_NS6detail15normal_iteratorINS9_10device_ptrIxEEEENS9_16discard_iteratorINS9_11use_defaultEEExNS9_4plusIvEExEEDaPvRmT3_T4_T5_mT6_P12ihipStream_tbENKUlT_T0_E_clISt17integral_constantIbLb0EESW_IbLb1EEEEDaSS_ST_EUlSS_E0_NS1_11comp_targetILNS1_3genE10ELNS1_11target_archE1200ELNS1_3gpuE4ELNS1_3repE0EEENS1_30default_config_static_selectorELNS0_4arch9wavefront6targetE1EEEvT1_
		.amdhsa_group_segment_fixed_size 0
		.amdhsa_private_segment_fixed_size 0
		.amdhsa_kernarg_size 48
		.amdhsa_user_sgpr_count 6
		.amdhsa_user_sgpr_private_segment_buffer 1
		.amdhsa_user_sgpr_dispatch_ptr 0
		.amdhsa_user_sgpr_queue_ptr 0
		.amdhsa_user_sgpr_kernarg_segment_ptr 1
		.amdhsa_user_sgpr_dispatch_id 0
		.amdhsa_user_sgpr_flat_scratch_init 0
		.amdhsa_user_sgpr_kernarg_preload_length 0
		.amdhsa_user_sgpr_kernarg_preload_offset 0
		.amdhsa_user_sgpr_private_segment_size 0
		.amdhsa_uses_dynamic_stack 0
		.amdhsa_system_sgpr_private_segment_wavefront_offset 0
		.amdhsa_system_sgpr_workgroup_id_x 1
		.amdhsa_system_sgpr_workgroup_id_y 0
		.amdhsa_system_sgpr_workgroup_id_z 0
		.amdhsa_system_sgpr_workgroup_info 0
		.amdhsa_system_vgpr_workitem_id 0
		.amdhsa_next_free_vgpr 1
		.amdhsa_next_free_sgpr 0
		.amdhsa_accum_offset 4
		.amdhsa_reserve_vcc 0
		.amdhsa_reserve_flat_scratch 0
		.amdhsa_float_round_mode_32 0
		.amdhsa_float_round_mode_16_64 0
		.amdhsa_float_denorm_mode_32 3
		.amdhsa_float_denorm_mode_16_64 3
		.amdhsa_dx10_clamp 1
		.amdhsa_ieee_mode 1
		.amdhsa_fp16_overflow 0
		.amdhsa_tg_split 0
		.amdhsa_exception_fp_ieee_invalid_op 0
		.amdhsa_exception_fp_denorm_src 0
		.amdhsa_exception_fp_ieee_div_zero 0
		.amdhsa_exception_fp_ieee_overflow 0
		.amdhsa_exception_fp_ieee_underflow 0
		.amdhsa_exception_fp_ieee_inexact 0
		.amdhsa_exception_int_div_zero 0
	.end_amdhsa_kernel
	.section	.text._ZN7rocprim17ROCPRIM_400000_NS6detail17trampoline_kernelINS0_14default_configENS1_20scan_config_selectorIxEEZZNS1_9scan_implILNS1_25lookback_scan_determinismE0ELb0ELb0ES3_N6thrust23THRUST_200600_302600_NS6detail15normal_iteratorINS9_10device_ptrIxEEEENS9_16discard_iteratorINS9_11use_defaultEEExNS9_4plusIvEExEEDaPvRmT3_T4_T5_mT6_P12ihipStream_tbENKUlT_T0_E_clISt17integral_constantIbLb0EESW_IbLb1EEEEDaSS_ST_EUlSS_E0_NS1_11comp_targetILNS1_3genE10ELNS1_11target_archE1200ELNS1_3gpuE4ELNS1_3repE0EEENS1_30default_config_static_selectorELNS0_4arch9wavefront6targetE1EEEvT1_,"axG",@progbits,_ZN7rocprim17ROCPRIM_400000_NS6detail17trampoline_kernelINS0_14default_configENS1_20scan_config_selectorIxEEZZNS1_9scan_implILNS1_25lookback_scan_determinismE0ELb0ELb0ES3_N6thrust23THRUST_200600_302600_NS6detail15normal_iteratorINS9_10device_ptrIxEEEENS9_16discard_iteratorINS9_11use_defaultEEExNS9_4plusIvEExEEDaPvRmT3_T4_T5_mT6_P12ihipStream_tbENKUlT_T0_E_clISt17integral_constantIbLb0EESW_IbLb1EEEEDaSS_ST_EUlSS_E0_NS1_11comp_targetILNS1_3genE10ELNS1_11target_archE1200ELNS1_3gpuE4ELNS1_3repE0EEENS1_30default_config_static_selectorELNS0_4arch9wavefront6targetE1EEEvT1_,comdat
.Lfunc_end5651:
	.size	_ZN7rocprim17ROCPRIM_400000_NS6detail17trampoline_kernelINS0_14default_configENS1_20scan_config_selectorIxEEZZNS1_9scan_implILNS1_25lookback_scan_determinismE0ELb0ELb0ES3_N6thrust23THRUST_200600_302600_NS6detail15normal_iteratorINS9_10device_ptrIxEEEENS9_16discard_iteratorINS9_11use_defaultEEExNS9_4plusIvEExEEDaPvRmT3_T4_T5_mT6_P12ihipStream_tbENKUlT_T0_E_clISt17integral_constantIbLb0EESW_IbLb1EEEEDaSS_ST_EUlSS_E0_NS1_11comp_targetILNS1_3genE10ELNS1_11target_archE1200ELNS1_3gpuE4ELNS1_3repE0EEENS1_30default_config_static_selectorELNS0_4arch9wavefront6targetE1EEEvT1_, .Lfunc_end5651-_ZN7rocprim17ROCPRIM_400000_NS6detail17trampoline_kernelINS0_14default_configENS1_20scan_config_selectorIxEEZZNS1_9scan_implILNS1_25lookback_scan_determinismE0ELb0ELb0ES3_N6thrust23THRUST_200600_302600_NS6detail15normal_iteratorINS9_10device_ptrIxEEEENS9_16discard_iteratorINS9_11use_defaultEEExNS9_4plusIvEExEEDaPvRmT3_T4_T5_mT6_P12ihipStream_tbENKUlT_T0_E_clISt17integral_constantIbLb0EESW_IbLb1EEEEDaSS_ST_EUlSS_E0_NS1_11comp_targetILNS1_3genE10ELNS1_11target_archE1200ELNS1_3gpuE4ELNS1_3repE0EEENS1_30default_config_static_selectorELNS0_4arch9wavefront6targetE1EEEvT1_
                                        ; -- End function
	.section	.AMDGPU.csdata,"",@progbits
; Kernel info:
; codeLenInByte = 0
; NumSgprs: 4
; NumVgprs: 0
; NumAgprs: 0
; TotalNumVgprs: 0
; ScratchSize: 0
; MemoryBound: 0
; FloatMode: 240
; IeeeMode: 1
; LDSByteSize: 0 bytes/workgroup (compile time only)
; SGPRBlocks: 0
; VGPRBlocks: 0
; NumSGPRsForWavesPerEU: 4
; NumVGPRsForWavesPerEU: 1
; AccumOffset: 4
; Occupancy: 8
; WaveLimiterHint : 0
; COMPUTE_PGM_RSRC2:SCRATCH_EN: 0
; COMPUTE_PGM_RSRC2:USER_SGPR: 6
; COMPUTE_PGM_RSRC2:TRAP_HANDLER: 0
; COMPUTE_PGM_RSRC2:TGID_X_EN: 1
; COMPUTE_PGM_RSRC2:TGID_Y_EN: 0
; COMPUTE_PGM_RSRC2:TGID_Z_EN: 0
; COMPUTE_PGM_RSRC2:TIDIG_COMP_CNT: 0
; COMPUTE_PGM_RSRC3_GFX90A:ACCUM_OFFSET: 0
; COMPUTE_PGM_RSRC3_GFX90A:TG_SPLIT: 0
	.section	.text._ZN7rocprim17ROCPRIM_400000_NS6detail17trampoline_kernelINS0_14default_configENS1_20scan_config_selectorIxEEZZNS1_9scan_implILNS1_25lookback_scan_determinismE0ELb0ELb0ES3_N6thrust23THRUST_200600_302600_NS6detail15normal_iteratorINS9_10device_ptrIxEEEENS9_16discard_iteratorINS9_11use_defaultEEExNS9_4plusIvEExEEDaPvRmT3_T4_T5_mT6_P12ihipStream_tbENKUlT_T0_E_clISt17integral_constantIbLb0EESW_IbLb1EEEEDaSS_ST_EUlSS_E0_NS1_11comp_targetILNS1_3genE9ELNS1_11target_archE1100ELNS1_3gpuE3ELNS1_3repE0EEENS1_30default_config_static_selectorELNS0_4arch9wavefront6targetE1EEEvT1_,"axG",@progbits,_ZN7rocprim17ROCPRIM_400000_NS6detail17trampoline_kernelINS0_14default_configENS1_20scan_config_selectorIxEEZZNS1_9scan_implILNS1_25lookback_scan_determinismE0ELb0ELb0ES3_N6thrust23THRUST_200600_302600_NS6detail15normal_iteratorINS9_10device_ptrIxEEEENS9_16discard_iteratorINS9_11use_defaultEEExNS9_4plusIvEExEEDaPvRmT3_T4_T5_mT6_P12ihipStream_tbENKUlT_T0_E_clISt17integral_constantIbLb0EESW_IbLb1EEEEDaSS_ST_EUlSS_E0_NS1_11comp_targetILNS1_3genE9ELNS1_11target_archE1100ELNS1_3gpuE3ELNS1_3repE0EEENS1_30default_config_static_selectorELNS0_4arch9wavefront6targetE1EEEvT1_,comdat
	.protected	_ZN7rocprim17ROCPRIM_400000_NS6detail17trampoline_kernelINS0_14default_configENS1_20scan_config_selectorIxEEZZNS1_9scan_implILNS1_25lookback_scan_determinismE0ELb0ELb0ES3_N6thrust23THRUST_200600_302600_NS6detail15normal_iteratorINS9_10device_ptrIxEEEENS9_16discard_iteratorINS9_11use_defaultEEExNS9_4plusIvEExEEDaPvRmT3_T4_T5_mT6_P12ihipStream_tbENKUlT_T0_E_clISt17integral_constantIbLb0EESW_IbLb1EEEEDaSS_ST_EUlSS_E0_NS1_11comp_targetILNS1_3genE9ELNS1_11target_archE1100ELNS1_3gpuE3ELNS1_3repE0EEENS1_30default_config_static_selectorELNS0_4arch9wavefront6targetE1EEEvT1_ ; -- Begin function _ZN7rocprim17ROCPRIM_400000_NS6detail17trampoline_kernelINS0_14default_configENS1_20scan_config_selectorIxEEZZNS1_9scan_implILNS1_25lookback_scan_determinismE0ELb0ELb0ES3_N6thrust23THRUST_200600_302600_NS6detail15normal_iteratorINS9_10device_ptrIxEEEENS9_16discard_iteratorINS9_11use_defaultEEExNS9_4plusIvEExEEDaPvRmT3_T4_T5_mT6_P12ihipStream_tbENKUlT_T0_E_clISt17integral_constantIbLb0EESW_IbLb1EEEEDaSS_ST_EUlSS_E0_NS1_11comp_targetILNS1_3genE9ELNS1_11target_archE1100ELNS1_3gpuE3ELNS1_3repE0EEENS1_30default_config_static_selectorELNS0_4arch9wavefront6targetE1EEEvT1_
	.globl	_ZN7rocprim17ROCPRIM_400000_NS6detail17trampoline_kernelINS0_14default_configENS1_20scan_config_selectorIxEEZZNS1_9scan_implILNS1_25lookback_scan_determinismE0ELb0ELb0ES3_N6thrust23THRUST_200600_302600_NS6detail15normal_iteratorINS9_10device_ptrIxEEEENS9_16discard_iteratorINS9_11use_defaultEEExNS9_4plusIvEExEEDaPvRmT3_T4_T5_mT6_P12ihipStream_tbENKUlT_T0_E_clISt17integral_constantIbLb0EESW_IbLb1EEEEDaSS_ST_EUlSS_E0_NS1_11comp_targetILNS1_3genE9ELNS1_11target_archE1100ELNS1_3gpuE3ELNS1_3repE0EEENS1_30default_config_static_selectorELNS0_4arch9wavefront6targetE1EEEvT1_
	.p2align	8
	.type	_ZN7rocprim17ROCPRIM_400000_NS6detail17trampoline_kernelINS0_14default_configENS1_20scan_config_selectorIxEEZZNS1_9scan_implILNS1_25lookback_scan_determinismE0ELb0ELb0ES3_N6thrust23THRUST_200600_302600_NS6detail15normal_iteratorINS9_10device_ptrIxEEEENS9_16discard_iteratorINS9_11use_defaultEEExNS9_4plusIvEExEEDaPvRmT3_T4_T5_mT6_P12ihipStream_tbENKUlT_T0_E_clISt17integral_constantIbLb0EESW_IbLb1EEEEDaSS_ST_EUlSS_E0_NS1_11comp_targetILNS1_3genE9ELNS1_11target_archE1100ELNS1_3gpuE3ELNS1_3repE0EEENS1_30default_config_static_selectorELNS0_4arch9wavefront6targetE1EEEvT1_,@function
_ZN7rocprim17ROCPRIM_400000_NS6detail17trampoline_kernelINS0_14default_configENS1_20scan_config_selectorIxEEZZNS1_9scan_implILNS1_25lookback_scan_determinismE0ELb0ELb0ES3_N6thrust23THRUST_200600_302600_NS6detail15normal_iteratorINS9_10device_ptrIxEEEENS9_16discard_iteratorINS9_11use_defaultEEExNS9_4plusIvEExEEDaPvRmT3_T4_T5_mT6_P12ihipStream_tbENKUlT_T0_E_clISt17integral_constantIbLb0EESW_IbLb1EEEEDaSS_ST_EUlSS_E0_NS1_11comp_targetILNS1_3genE9ELNS1_11target_archE1100ELNS1_3gpuE3ELNS1_3repE0EEENS1_30default_config_static_selectorELNS0_4arch9wavefront6targetE1EEEvT1_: ; @_ZN7rocprim17ROCPRIM_400000_NS6detail17trampoline_kernelINS0_14default_configENS1_20scan_config_selectorIxEEZZNS1_9scan_implILNS1_25lookback_scan_determinismE0ELb0ELb0ES3_N6thrust23THRUST_200600_302600_NS6detail15normal_iteratorINS9_10device_ptrIxEEEENS9_16discard_iteratorINS9_11use_defaultEEExNS9_4plusIvEExEEDaPvRmT3_T4_T5_mT6_P12ihipStream_tbENKUlT_T0_E_clISt17integral_constantIbLb0EESW_IbLb1EEEEDaSS_ST_EUlSS_E0_NS1_11comp_targetILNS1_3genE9ELNS1_11target_archE1100ELNS1_3gpuE3ELNS1_3repE0EEENS1_30default_config_static_selectorELNS0_4arch9wavefront6targetE1EEEvT1_
; %bb.0:
	.section	.rodata,"a",@progbits
	.p2align	6, 0x0
	.amdhsa_kernel _ZN7rocprim17ROCPRIM_400000_NS6detail17trampoline_kernelINS0_14default_configENS1_20scan_config_selectorIxEEZZNS1_9scan_implILNS1_25lookback_scan_determinismE0ELb0ELb0ES3_N6thrust23THRUST_200600_302600_NS6detail15normal_iteratorINS9_10device_ptrIxEEEENS9_16discard_iteratorINS9_11use_defaultEEExNS9_4plusIvEExEEDaPvRmT3_T4_T5_mT6_P12ihipStream_tbENKUlT_T0_E_clISt17integral_constantIbLb0EESW_IbLb1EEEEDaSS_ST_EUlSS_E0_NS1_11comp_targetILNS1_3genE9ELNS1_11target_archE1100ELNS1_3gpuE3ELNS1_3repE0EEENS1_30default_config_static_selectorELNS0_4arch9wavefront6targetE1EEEvT1_
		.amdhsa_group_segment_fixed_size 0
		.amdhsa_private_segment_fixed_size 0
		.amdhsa_kernarg_size 48
		.amdhsa_user_sgpr_count 6
		.amdhsa_user_sgpr_private_segment_buffer 1
		.amdhsa_user_sgpr_dispatch_ptr 0
		.amdhsa_user_sgpr_queue_ptr 0
		.amdhsa_user_sgpr_kernarg_segment_ptr 1
		.amdhsa_user_sgpr_dispatch_id 0
		.amdhsa_user_sgpr_flat_scratch_init 0
		.amdhsa_user_sgpr_kernarg_preload_length 0
		.amdhsa_user_sgpr_kernarg_preload_offset 0
		.amdhsa_user_sgpr_private_segment_size 0
		.amdhsa_uses_dynamic_stack 0
		.amdhsa_system_sgpr_private_segment_wavefront_offset 0
		.amdhsa_system_sgpr_workgroup_id_x 1
		.amdhsa_system_sgpr_workgroup_id_y 0
		.amdhsa_system_sgpr_workgroup_id_z 0
		.amdhsa_system_sgpr_workgroup_info 0
		.amdhsa_system_vgpr_workitem_id 0
		.amdhsa_next_free_vgpr 1
		.amdhsa_next_free_sgpr 0
		.amdhsa_accum_offset 4
		.amdhsa_reserve_vcc 0
		.amdhsa_reserve_flat_scratch 0
		.amdhsa_float_round_mode_32 0
		.amdhsa_float_round_mode_16_64 0
		.amdhsa_float_denorm_mode_32 3
		.amdhsa_float_denorm_mode_16_64 3
		.amdhsa_dx10_clamp 1
		.amdhsa_ieee_mode 1
		.amdhsa_fp16_overflow 0
		.amdhsa_tg_split 0
		.amdhsa_exception_fp_ieee_invalid_op 0
		.amdhsa_exception_fp_denorm_src 0
		.amdhsa_exception_fp_ieee_div_zero 0
		.amdhsa_exception_fp_ieee_overflow 0
		.amdhsa_exception_fp_ieee_underflow 0
		.amdhsa_exception_fp_ieee_inexact 0
		.amdhsa_exception_int_div_zero 0
	.end_amdhsa_kernel
	.section	.text._ZN7rocprim17ROCPRIM_400000_NS6detail17trampoline_kernelINS0_14default_configENS1_20scan_config_selectorIxEEZZNS1_9scan_implILNS1_25lookback_scan_determinismE0ELb0ELb0ES3_N6thrust23THRUST_200600_302600_NS6detail15normal_iteratorINS9_10device_ptrIxEEEENS9_16discard_iteratorINS9_11use_defaultEEExNS9_4plusIvEExEEDaPvRmT3_T4_T5_mT6_P12ihipStream_tbENKUlT_T0_E_clISt17integral_constantIbLb0EESW_IbLb1EEEEDaSS_ST_EUlSS_E0_NS1_11comp_targetILNS1_3genE9ELNS1_11target_archE1100ELNS1_3gpuE3ELNS1_3repE0EEENS1_30default_config_static_selectorELNS0_4arch9wavefront6targetE1EEEvT1_,"axG",@progbits,_ZN7rocprim17ROCPRIM_400000_NS6detail17trampoline_kernelINS0_14default_configENS1_20scan_config_selectorIxEEZZNS1_9scan_implILNS1_25lookback_scan_determinismE0ELb0ELb0ES3_N6thrust23THRUST_200600_302600_NS6detail15normal_iteratorINS9_10device_ptrIxEEEENS9_16discard_iteratorINS9_11use_defaultEEExNS9_4plusIvEExEEDaPvRmT3_T4_T5_mT6_P12ihipStream_tbENKUlT_T0_E_clISt17integral_constantIbLb0EESW_IbLb1EEEEDaSS_ST_EUlSS_E0_NS1_11comp_targetILNS1_3genE9ELNS1_11target_archE1100ELNS1_3gpuE3ELNS1_3repE0EEENS1_30default_config_static_selectorELNS0_4arch9wavefront6targetE1EEEvT1_,comdat
.Lfunc_end5652:
	.size	_ZN7rocprim17ROCPRIM_400000_NS6detail17trampoline_kernelINS0_14default_configENS1_20scan_config_selectorIxEEZZNS1_9scan_implILNS1_25lookback_scan_determinismE0ELb0ELb0ES3_N6thrust23THRUST_200600_302600_NS6detail15normal_iteratorINS9_10device_ptrIxEEEENS9_16discard_iteratorINS9_11use_defaultEEExNS9_4plusIvEExEEDaPvRmT3_T4_T5_mT6_P12ihipStream_tbENKUlT_T0_E_clISt17integral_constantIbLb0EESW_IbLb1EEEEDaSS_ST_EUlSS_E0_NS1_11comp_targetILNS1_3genE9ELNS1_11target_archE1100ELNS1_3gpuE3ELNS1_3repE0EEENS1_30default_config_static_selectorELNS0_4arch9wavefront6targetE1EEEvT1_, .Lfunc_end5652-_ZN7rocprim17ROCPRIM_400000_NS6detail17trampoline_kernelINS0_14default_configENS1_20scan_config_selectorIxEEZZNS1_9scan_implILNS1_25lookback_scan_determinismE0ELb0ELb0ES3_N6thrust23THRUST_200600_302600_NS6detail15normal_iteratorINS9_10device_ptrIxEEEENS9_16discard_iteratorINS9_11use_defaultEEExNS9_4plusIvEExEEDaPvRmT3_T4_T5_mT6_P12ihipStream_tbENKUlT_T0_E_clISt17integral_constantIbLb0EESW_IbLb1EEEEDaSS_ST_EUlSS_E0_NS1_11comp_targetILNS1_3genE9ELNS1_11target_archE1100ELNS1_3gpuE3ELNS1_3repE0EEENS1_30default_config_static_selectorELNS0_4arch9wavefront6targetE1EEEvT1_
                                        ; -- End function
	.section	.AMDGPU.csdata,"",@progbits
; Kernel info:
; codeLenInByte = 0
; NumSgprs: 4
; NumVgprs: 0
; NumAgprs: 0
; TotalNumVgprs: 0
; ScratchSize: 0
; MemoryBound: 0
; FloatMode: 240
; IeeeMode: 1
; LDSByteSize: 0 bytes/workgroup (compile time only)
; SGPRBlocks: 0
; VGPRBlocks: 0
; NumSGPRsForWavesPerEU: 4
; NumVGPRsForWavesPerEU: 1
; AccumOffset: 4
; Occupancy: 8
; WaveLimiterHint : 0
; COMPUTE_PGM_RSRC2:SCRATCH_EN: 0
; COMPUTE_PGM_RSRC2:USER_SGPR: 6
; COMPUTE_PGM_RSRC2:TRAP_HANDLER: 0
; COMPUTE_PGM_RSRC2:TGID_X_EN: 1
; COMPUTE_PGM_RSRC2:TGID_Y_EN: 0
; COMPUTE_PGM_RSRC2:TGID_Z_EN: 0
; COMPUTE_PGM_RSRC2:TIDIG_COMP_CNT: 0
; COMPUTE_PGM_RSRC3_GFX90A:ACCUM_OFFSET: 0
; COMPUTE_PGM_RSRC3_GFX90A:TG_SPLIT: 0
	.section	.text._ZN7rocprim17ROCPRIM_400000_NS6detail17trampoline_kernelINS0_14default_configENS1_20scan_config_selectorIxEEZZNS1_9scan_implILNS1_25lookback_scan_determinismE0ELb0ELb0ES3_N6thrust23THRUST_200600_302600_NS6detail15normal_iteratorINS9_10device_ptrIxEEEENS9_16discard_iteratorINS9_11use_defaultEEExNS9_4plusIvEExEEDaPvRmT3_T4_T5_mT6_P12ihipStream_tbENKUlT_T0_E_clISt17integral_constantIbLb0EESW_IbLb1EEEEDaSS_ST_EUlSS_E0_NS1_11comp_targetILNS1_3genE8ELNS1_11target_archE1030ELNS1_3gpuE2ELNS1_3repE0EEENS1_30default_config_static_selectorELNS0_4arch9wavefront6targetE1EEEvT1_,"axG",@progbits,_ZN7rocprim17ROCPRIM_400000_NS6detail17trampoline_kernelINS0_14default_configENS1_20scan_config_selectorIxEEZZNS1_9scan_implILNS1_25lookback_scan_determinismE0ELb0ELb0ES3_N6thrust23THRUST_200600_302600_NS6detail15normal_iteratorINS9_10device_ptrIxEEEENS9_16discard_iteratorINS9_11use_defaultEEExNS9_4plusIvEExEEDaPvRmT3_T4_T5_mT6_P12ihipStream_tbENKUlT_T0_E_clISt17integral_constantIbLb0EESW_IbLb1EEEEDaSS_ST_EUlSS_E0_NS1_11comp_targetILNS1_3genE8ELNS1_11target_archE1030ELNS1_3gpuE2ELNS1_3repE0EEENS1_30default_config_static_selectorELNS0_4arch9wavefront6targetE1EEEvT1_,comdat
	.protected	_ZN7rocprim17ROCPRIM_400000_NS6detail17trampoline_kernelINS0_14default_configENS1_20scan_config_selectorIxEEZZNS1_9scan_implILNS1_25lookback_scan_determinismE0ELb0ELb0ES3_N6thrust23THRUST_200600_302600_NS6detail15normal_iteratorINS9_10device_ptrIxEEEENS9_16discard_iteratorINS9_11use_defaultEEExNS9_4plusIvEExEEDaPvRmT3_T4_T5_mT6_P12ihipStream_tbENKUlT_T0_E_clISt17integral_constantIbLb0EESW_IbLb1EEEEDaSS_ST_EUlSS_E0_NS1_11comp_targetILNS1_3genE8ELNS1_11target_archE1030ELNS1_3gpuE2ELNS1_3repE0EEENS1_30default_config_static_selectorELNS0_4arch9wavefront6targetE1EEEvT1_ ; -- Begin function _ZN7rocprim17ROCPRIM_400000_NS6detail17trampoline_kernelINS0_14default_configENS1_20scan_config_selectorIxEEZZNS1_9scan_implILNS1_25lookback_scan_determinismE0ELb0ELb0ES3_N6thrust23THRUST_200600_302600_NS6detail15normal_iteratorINS9_10device_ptrIxEEEENS9_16discard_iteratorINS9_11use_defaultEEExNS9_4plusIvEExEEDaPvRmT3_T4_T5_mT6_P12ihipStream_tbENKUlT_T0_E_clISt17integral_constantIbLb0EESW_IbLb1EEEEDaSS_ST_EUlSS_E0_NS1_11comp_targetILNS1_3genE8ELNS1_11target_archE1030ELNS1_3gpuE2ELNS1_3repE0EEENS1_30default_config_static_selectorELNS0_4arch9wavefront6targetE1EEEvT1_
	.globl	_ZN7rocprim17ROCPRIM_400000_NS6detail17trampoline_kernelINS0_14default_configENS1_20scan_config_selectorIxEEZZNS1_9scan_implILNS1_25lookback_scan_determinismE0ELb0ELb0ES3_N6thrust23THRUST_200600_302600_NS6detail15normal_iteratorINS9_10device_ptrIxEEEENS9_16discard_iteratorINS9_11use_defaultEEExNS9_4plusIvEExEEDaPvRmT3_T4_T5_mT6_P12ihipStream_tbENKUlT_T0_E_clISt17integral_constantIbLb0EESW_IbLb1EEEEDaSS_ST_EUlSS_E0_NS1_11comp_targetILNS1_3genE8ELNS1_11target_archE1030ELNS1_3gpuE2ELNS1_3repE0EEENS1_30default_config_static_selectorELNS0_4arch9wavefront6targetE1EEEvT1_
	.p2align	8
	.type	_ZN7rocprim17ROCPRIM_400000_NS6detail17trampoline_kernelINS0_14default_configENS1_20scan_config_selectorIxEEZZNS1_9scan_implILNS1_25lookback_scan_determinismE0ELb0ELb0ES3_N6thrust23THRUST_200600_302600_NS6detail15normal_iteratorINS9_10device_ptrIxEEEENS9_16discard_iteratorINS9_11use_defaultEEExNS9_4plusIvEExEEDaPvRmT3_T4_T5_mT6_P12ihipStream_tbENKUlT_T0_E_clISt17integral_constantIbLb0EESW_IbLb1EEEEDaSS_ST_EUlSS_E0_NS1_11comp_targetILNS1_3genE8ELNS1_11target_archE1030ELNS1_3gpuE2ELNS1_3repE0EEENS1_30default_config_static_selectorELNS0_4arch9wavefront6targetE1EEEvT1_,@function
_ZN7rocprim17ROCPRIM_400000_NS6detail17trampoline_kernelINS0_14default_configENS1_20scan_config_selectorIxEEZZNS1_9scan_implILNS1_25lookback_scan_determinismE0ELb0ELb0ES3_N6thrust23THRUST_200600_302600_NS6detail15normal_iteratorINS9_10device_ptrIxEEEENS9_16discard_iteratorINS9_11use_defaultEEExNS9_4plusIvEExEEDaPvRmT3_T4_T5_mT6_P12ihipStream_tbENKUlT_T0_E_clISt17integral_constantIbLb0EESW_IbLb1EEEEDaSS_ST_EUlSS_E0_NS1_11comp_targetILNS1_3genE8ELNS1_11target_archE1030ELNS1_3gpuE2ELNS1_3repE0EEENS1_30default_config_static_selectorELNS0_4arch9wavefront6targetE1EEEvT1_: ; @_ZN7rocprim17ROCPRIM_400000_NS6detail17trampoline_kernelINS0_14default_configENS1_20scan_config_selectorIxEEZZNS1_9scan_implILNS1_25lookback_scan_determinismE0ELb0ELb0ES3_N6thrust23THRUST_200600_302600_NS6detail15normal_iteratorINS9_10device_ptrIxEEEENS9_16discard_iteratorINS9_11use_defaultEEExNS9_4plusIvEExEEDaPvRmT3_T4_T5_mT6_P12ihipStream_tbENKUlT_T0_E_clISt17integral_constantIbLb0EESW_IbLb1EEEEDaSS_ST_EUlSS_E0_NS1_11comp_targetILNS1_3genE8ELNS1_11target_archE1030ELNS1_3gpuE2ELNS1_3repE0EEENS1_30default_config_static_selectorELNS0_4arch9wavefront6targetE1EEEvT1_
; %bb.0:
	.section	.rodata,"a",@progbits
	.p2align	6, 0x0
	.amdhsa_kernel _ZN7rocprim17ROCPRIM_400000_NS6detail17trampoline_kernelINS0_14default_configENS1_20scan_config_selectorIxEEZZNS1_9scan_implILNS1_25lookback_scan_determinismE0ELb0ELb0ES3_N6thrust23THRUST_200600_302600_NS6detail15normal_iteratorINS9_10device_ptrIxEEEENS9_16discard_iteratorINS9_11use_defaultEEExNS9_4plusIvEExEEDaPvRmT3_T4_T5_mT6_P12ihipStream_tbENKUlT_T0_E_clISt17integral_constantIbLb0EESW_IbLb1EEEEDaSS_ST_EUlSS_E0_NS1_11comp_targetILNS1_3genE8ELNS1_11target_archE1030ELNS1_3gpuE2ELNS1_3repE0EEENS1_30default_config_static_selectorELNS0_4arch9wavefront6targetE1EEEvT1_
		.amdhsa_group_segment_fixed_size 0
		.amdhsa_private_segment_fixed_size 0
		.amdhsa_kernarg_size 48
		.amdhsa_user_sgpr_count 6
		.amdhsa_user_sgpr_private_segment_buffer 1
		.amdhsa_user_sgpr_dispatch_ptr 0
		.amdhsa_user_sgpr_queue_ptr 0
		.amdhsa_user_sgpr_kernarg_segment_ptr 1
		.amdhsa_user_sgpr_dispatch_id 0
		.amdhsa_user_sgpr_flat_scratch_init 0
		.amdhsa_user_sgpr_kernarg_preload_length 0
		.amdhsa_user_sgpr_kernarg_preload_offset 0
		.amdhsa_user_sgpr_private_segment_size 0
		.amdhsa_uses_dynamic_stack 0
		.amdhsa_system_sgpr_private_segment_wavefront_offset 0
		.amdhsa_system_sgpr_workgroup_id_x 1
		.amdhsa_system_sgpr_workgroup_id_y 0
		.amdhsa_system_sgpr_workgroup_id_z 0
		.amdhsa_system_sgpr_workgroup_info 0
		.amdhsa_system_vgpr_workitem_id 0
		.amdhsa_next_free_vgpr 1
		.amdhsa_next_free_sgpr 0
		.amdhsa_accum_offset 4
		.amdhsa_reserve_vcc 0
		.amdhsa_reserve_flat_scratch 0
		.amdhsa_float_round_mode_32 0
		.amdhsa_float_round_mode_16_64 0
		.amdhsa_float_denorm_mode_32 3
		.amdhsa_float_denorm_mode_16_64 3
		.amdhsa_dx10_clamp 1
		.amdhsa_ieee_mode 1
		.amdhsa_fp16_overflow 0
		.amdhsa_tg_split 0
		.amdhsa_exception_fp_ieee_invalid_op 0
		.amdhsa_exception_fp_denorm_src 0
		.amdhsa_exception_fp_ieee_div_zero 0
		.amdhsa_exception_fp_ieee_overflow 0
		.amdhsa_exception_fp_ieee_underflow 0
		.amdhsa_exception_fp_ieee_inexact 0
		.amdhsa_exception_int_div_zero 0
	.end_amdhsa_kernel
	.section	.text._ZN7rocprim17ROCPRIM_400000_NS6detail17trampoline_kernelINS0_14default_configENS1_20scan_config_selectorIxEEZZNS1_9scan_implILNS1_25lookback_scan_determinismE0ELb0ELb0ES3_N6thrust23THRUST_200600_302600_NS6detail15normal_iteratorINS9_10device_ptrIxEEEENS9_16discard_iteratorINS9_11use_defaultEEExNS9_4plusIvEExEEDaPvRmT3_T4_T5_mT6_P12ihipStream_tbENKUlT_T0_E_clISt17integral_constantIbLb0EESW_IbLb1EEEEDaSS_ST_EUlSS_E0_NS1_11comp_targetILNS1_3genE8ELNS1_11target_archE1030ELNS1_3gpuE2ELNS1_3repE0EEENS1_30default_config_static_selectorELNS0_4arch9wavefront6targetE1EEEvT1_,"axG",@progbits,_ZN7rocprim17ROCPRIM_400000_NS6detail17trampoline_kernelINS0_14default_configENS1_20scan_config_selectorIxEEZZNS1_9scan_implILNS1_25lookback_scan_determinismE0ELb0ELb0ES3_N6thrust23THRUST_200600_302600_NS6detail15normal_iteratorINS9_10device_ptrIxEEEENS9_16discard_iteratorINS9_11use_defaultEEExNS9_4plusIvEExEEDaPvRmT3_T4_T5_mT6_P12ihipStream_tbENKUlT_T0_E_clISt17integral_constantIbLb0EESW_IbLb1EEEEDaSS_ST_EUlSS_E0_NS1_11comp_targetILNS1_3genE8ELNS1_11target_archE1030ELNS1_3gpuE2ELNS1_3repE0EEENS1_30default_config_static_selectorELNS0_4arch9wavefront6targetE1EEEvT1_,comdat
.Lfunc_end5653:
	.size	_ZN7rocprim17ROCPRIM_400000_NS6detail17trampoline_kernelINS0_14default_configENS1_20scan_config_selectorIxEEZZNS1_9scan_implILNS1_25lookback_scan_determinismE0ELb0ELb0ES3_N6thrust23THRUST_200600_302600_NS6detail15normal_iteratorINS9_10device_ptrIxEEEENS9_16discard_iteratorINS9_11use_defaultEEExNS9_4plusIvEExEEDaPvRmT3_T4_T5_mT6_P12ihipStream_tbENKUlT_T0_E_clISt17integral_constantIbLb0EESW_IbLb1EEEEDaSS_ST_EUlSS_E0_NS1_11comp_targetILNS1_3genE8ELNS1_11target_archE1030ELNS1_3gpuE2ELNS1_3repE0EEENS1_30default_config_static_selectorELNS0_4arch9wavefront6targetE1EEEvT1_, .Lfunc_end5653-_ZN7rocprim17ROCPRIM_400000_NS6detail17trampoline_kernelINS0_14default_configENS1_20scan_config_selectorIxEEZZNS1_9scan_implILNS1_25lookback_scan_determinismE0ELb0ELb0ES3_N6thrust23THRUST_200600_302600_NS6detail15normal_iteratorINS9_10device_ptrIxEEEENS9_16discard_iteratorINS9_11use_defaultEEExNS9_4plusIvEExEEDaPvRmT3_T4_T5_mT6_P12ihipStream_tbENKUlT_T0_E_clISt17integral_constantIbLb0EESW_IbLb1EEEEDaSS_ST_EUlSS_E0_NS1_11comp_targetILNS1_3genE8ELNS1_11target_archE1030ELNS1_3gpuE2ELNS1_3repE0EEENS1_30default_config_static_selectorELNS0_4arch9wavefront6targetE1EEEvT1_
                                        ; -- End function
	.section	.AMDGPU.csdata,"",@progbits
; Kernel info:
; codeLenInByte = 0
; NumSgprs: 4
; NumVgprs: 0
; NumAgprs: 0
; TotalNumVgprs: 0
; ScratchSize: 0
; MemoryBound: 0
; FloatMode: 240
; IeeeMode: 1
; LDSByteSize: 0 bytes/workgroup (compile time only)
; SGPRBlocks: 0
; VGPRBlocks: 0
; NumSGPRsForWavesPerEU: 4
; NumVGPRsForWavesPerEU: 1
; AccumOffset: 4
; Occupancy: 8
; WaveLimiterHint : 0
; COMPUTE_PGM_RSRC2:SCRATCH_EN: 0
; COMPUTE_PGM_RSRC2:USER_SGPR: 6
; COMPUTE_PGM_RSRC2:TRAP_HANDLER: 0
; COMPUTE_PGM_RSRC2:TGID_X_EN: 1
; COMPUTE_PGM_RSRC2:TGID_Y_EN: 0
; COMPUTE_PGM_RSRC2:TGID_Z_EN: 0
; COMPUTE_PGM_RSRC2:TIDIG_COMP_CNT: 0
; COMPUTE_PGM_RSRC3_GFX90A:ACCUM_OFFSET: 0
; COMPUTE_PGM_RSRC3_GFX90A:TG_SPLIT: 0
	.section	.text._ZN7rocprim17ROCPRIM_400000_NS6detail17trampoline_kernelINS0_14default_configENS1_20scan_config_selectorIxEEZZNS1_9scan_implILNS1_25lookback_scan_determinismE0ELb1ELb1ES3_N6thrust23THRUST_200600_302600_NS6detail15normal_iteratorINS9_10device_ptrIxEEEENS9_16discard_iteratorINS9_11use_defaultEEExNS9_4plusIvEExEEDaPvRmT3_T4_T5_mT6_P12ihipStream_tbENKUlT_T0_E_clISt17integral_constantIbLb0EESX_EEDaSS_ST_EUlSS_E_NS1_11comp_targetILNS1_3genE0ELNS1_11target_archE4294967295ELNS1_3gpuE0ELNS1_3repE0EEENS1_30default_config_static_selectorELNS0_4arch9wavefront6targetE1EEEvT1_,"axG",@progbits,_ZN7rocprim17ROCPRIM_400000_NS6detail17trampoline_kernelINS0_14default_configENS1_20scan_config_selectorIxEEZZNS1_9scan_implILNS1_25lookback_scan_determinismE0ELb1ELb1ES3_N6thrust23THRUST_200600_302600_NS6detail15normal_iteratorINS9_10device_ptrIxEEEENS9_16discard_iteratorINS9_11use_defaultEEExNS9_4plusIvEExEEDaPvRmT3_T4_T5_mT6_P12ihipStream_tbENKUlT_T0_E_clISt17integral_constantIbLb0EESX_EEDaSS_ST_EUlSS_E_NS1_11comp_targetILNS1_3genE0ELNS1_11target_archE4294967295ELNS1_3gpuE0ELNS1_3repE0EEENS1_30default_config_static_selectorELNS0_4arch9wavefront6targetE1EEEvT1_,comdat
	.protected	_ZN7rocprim17ROCPRIM_400000_NS6detail17trampoline_kernelINS0_14default_configENS1_20scan_config_selectorIxEEZZNS1_9scan_implILNS1_25lookback_scan_determinismE0ELb1ELb1ES3_N6thrust23THRUST_200600_302600_NS6detail15normal_iteratorINS9_10device_ptrIxEEEENS9_16discard_iteratorINS9_11use_defaultEEExNS9_4plusIvEExEEDaPvRmT3_T4_T5_mT6_P12ihipStream_tbENKUlT_T0_E_clISt17integral_constantIbLb0EESX_EEDaSS_ST_EUlSS_E_NS1_11comp_targetILNS1_3genE0ELNS1_11target_archE4294967295ELNS1_3gpuE0ELNS1_3repE0EEENS1_30default_config_static_selectorELNS0_4arch9wavefront6targetE1EEEvT1_ ; -- Begin function _ZN7rocprim17ROCPRIM_400000_NS6detail17trampoline_kernelINS0_14default_configENS1_20scan_config_selectorIxEEZZNS1_9scan_implILNS1_25lookback_scan_determinismE0ELb1ELb1ES3_N6thrust23THRUST_200600_302600_NS6detail15normal_iteratorINS9_10device_ptrIxEEEENS9_16discard_iteratorINS9_11use_defaultEEExNS9_4plusIvEExEEDaPvRmT3_T4_T5_mT6_P12ihipStream_tbENKUlT_T0_E_clISt17integral_constantIbLb0EESX_EEDaSS_ST_EUlSS_E_NS1_11comp_targetILNS1_3genE0ELNS1_11target_archE4294967295ELNS1_3gpuE0ELNS1_3repE0EEENS1_30default_config_static_selectorELNS0_4arch9wavefront6targetE1EEEvT1_
	.globl	_ZN7rocprim17ROCPRIM_400000_NS6detail17trampoline_kernelINS0_14default_configENS1_20scan_config_selectorIxEEZZNS1_9scan_implILNS1_25lookback_scan_determinismE0ELb1ELb1ES3_N6thrust23THRUST_200600_302600_NS6detail15normal_iteratorINS9_10device_ptrIxEEEENS9_16discard_iteratorINS9_11use_defaultEEExNS9_4plusIvEExEEDaPvRmT3_T4_T5_mT6_P12ihipStream_tbENKUlT_T0_E_clISt17integral_constantIbLb0EESX_EEDaSS_ST_EUlSS_E_NS1_11comp_targetILNS1_3genE0ELNS1_11target_archE4294967295ELNS1_3gpuE0ELNS1_3repE0EEENS1_30default_config_static_selectorELNS0_4arch9wavefront6targetE1EEEvT1_
	.p2align	8
	.type	_ZN7rocprim17ROCPRIM_400000_NS6detail17trampoline_kernelINS0_14default_configENS1_20scan_config_selectorIxEEZZNS1_9scan_implILNS1_25lookback_scan_determinismE0ELb1ELb1ES3_N6thrust23THRUST_200600_302600_NS6detail15normal_iteratorINS9_10device_ptrIxEEEENS9_16discard_iteratorINS9_11use_defaultEEExNS9_4plusIvEExEEDaPvRmT3_T4_T5_mT6_P12ihipStream_tbENKUlT_T0_E_clISt17integral_constantIbLb0EESX_EEDaSS_ST_EUlSS_E_NS1_11comp_targetILNS1_3genE0ELNS1_11target_archE4294967295ELNS1_3gpuE0ELNS1_3repE0EEENS1_30default_config_static_selectorELNS0_4arch9wavefront6targetE1EEEvT1_,@function
_ZN7rocprim17ROCPRIM_400000_NS6detail17trampoline_kernelINS0_14default_configENS1_20scan_config_selectorIxEEZZNS1_9scan_implILNS1_25lookback_scan_determinismE0ELb1ELb1ES3_N6thrust23THRUST_200600_302600_NS6detail15normal_iteratorINS9_10device_ptrIxEEEENS9_16discard_iteratorINS9_11use_defaultEEExNS9_4plusIvEExEEDaPvRmT3_T4_T5_mT6_P12ihipStream_tbENKUlT_T0_E_clISt17integral_constantIbLb0EESX_EEDaSS_ST_EUlSS_E_NS1_11comp_targetILNS1_3genE0ELNS1_11target_archE4294967295ELNS1_3gpuE0ELNS1_3repE0EEENS1_30default_config_static_selectorELNS0_4arch9wavefront6targetE1EEEvT1_: ; @_ZN7rocprim17ROCPRIM_400000_NS6detail17trampoline_kernelINS0_14default_configENS1_20scan_config_selectorIxEEZZNS1_9scan_implILNS1_25lookback_scan_determinismE0ELb1ELb1ES3_N6thrust23THRUST_200600_302600_NS6detail15normal_iteratorINS9_10device_ptrIxEEEENS9_16discard_iteratorINS9_11use_defaultEEExNS9_4plusIvEExEEDaPvRmT3_T4_T5_mT6_P12ihipStream_tbENKUlT_T0_E_clISt17integral_constantIbLb0EESX_EEDaSS_ST_EUlSS_E_NS1_11comp_targetILNS1_3genE0ELNS1_11target_archE4294967295ELNS1_3gpuE0ELNS1_3repE0EEENS1_30default_config_static_selectorELNS0_4arch9wavefront6targetE1EEEvT1_
; %bb.0:
	.section	.rodata,"a",@progbits
	.p2align	6, 0x0
	.amdhsa_kernel _ZN7rocprim17ROCPRIM_400000_NS6detail17trampoline_kernelINS0_14default_configENS1_20scan_config_selectorIxEEZZNS1_9scan_implILNS1_25lookback_scan_determinismE0ELb1ELb1ES3_N6thrust23THRUST_200600_302600_NS6detail15normal_iteratorINS9_10device_ptrIxEEEENS9_16discard_iteratorINS9_11use_defaultEEExNS9_4plusIvEExEEDaPvRmT3_T4_T5_mT6_P12ihipStream_tbENKUlT_T0_E_clISt17integral_constantIbLb0EESX_EEDaSS_ST_EUlSS_E_NS1_11comp_targetILNS1_3genE0ELNS1_11target_archE4294967295ELNS1_3gpuE0ELNS1_3repE0EEENS1_30default_config_static_selectorELNS0_4arch9wavefront6targetE1EEEvT1_
		.amdhsa_group_segment_fixed_size 0
		.amdhsa_private_segment_fixed_size 0
		.amdhsa_kernarg_size 112
		.amdhsa_user_sgpr_count 6
		.amdhsa_user_sgpr_private_segment_buffer 1
		.amdhsa_user_sgpr_dispatch_ptr 0
		.amdhsa_user_sgpr_queue_ptr 0
		.amdhsa_user_sgpr_kernarg_segment_ptr 1
		.amdhsa_user_sgpr_dispatch_id 0
		.amdhsa_user_sgpr_flat_scratch_init 0
		.amdhsa_user_sgpr_kernarg_preload_length 0
		.amdhsa_user_sgpr_kernarg_preload_offset 0
		.amdhsa_user_sgpr_private_segment_size 0
		.amdhsa_uses_dynamic_stack 0
		.amdhsa_system_sgpr_private_segment_wavefront_offset 0
		.amdhsa_system_sgpr_workgroup_id_x 1
		.amdhsa_system_sgpr_workgroup_id_y 0
		.amdhsa_system_sgpr_workgroup_id_z 0
		.amdhsa_system_sgpr_workgroup_info 0
		.amdhsa_system_vgpr_workitem_id 0
		.amdhsa_next_free_vgpr 1
		.amdhsa_next_free_sgpr 0
		.amdhsa_accum_offset 4
		.amdhsa_reserve_vcc 0
		.amdhsa_reserve_flat_scratch 0
		.amdhsa_float_round_mode_32 0
		.amdhsa_float_round_mode_16_64 0
		.amdhsa_float_denorm_mode_32 3
		.amdhsa_float_denorm_mode_16_64 3
		.amdhsa_dx10_clamp 1
		.amdhsa_ieee_mode 1
		.amdhsa_fp16_overflow 0
		.amdhsa_tg_split 0
		.amdhsa_exception_fp_ieee_invalid_op 0
		.amdhsa_exception_fp_denorm_src 0
		.amdhsa_exception_fp_ieee_div_zero 0
		.amdhsa_exception_fp_ieee_overflow 0
		.amdhsa_exception_fp_ieee_underflow 0
		.amdhsa_exception_fp_ieee_inexact 0
		.amdhsa_exception_int_div_zero 0
	.end_amdhsa_kernel
	.section	.text._ZN7rocprim17ROCPRIM_400000_NS6detail17trampoline_kernelINS0_14default_configENS1_20scan_config_selectorIxEEZZNS1_9scan_implILNS1_25lookback_scan_determinismE0ELb1ELb1ES3_N6thrust23THRUST_200600_302600_NS6detail15normal_iteratorINS9_10device_ptrIxEEEENS9_16discard_iteratorINS9_11use_defaultEEExNS9_4plusIvEExEEDaPvRmT3_T4_T5_mT6_P12ihipStream_tbENKUlT_T0_E_clISt17integral_constantIbLb0EESX_EEDaSS_ST_EUlSS_E_NS1_11comp_targetILNS1_3genE0ELNS1_11target_archE4294967295ELNS1_3gpuE0ELNS1_3repE0EEENS1_30default_config_static_selectorELNS0_4arch9wavefront6targetE1EEEvT1_,"axG",@progbits,_ZN7rocprim17ROCPRIM_400000_NS6detail17trampoline_kernelINS0_14default_configENS1_20scan_config_selectorIxEEZZNS1_9scan_implILNS1_25lookback_scan_determinismE0ELb1ELb1ES3_N6thrust23THRUST_200600_302600_NS6detail15normal_iteratorINS9_10device_ptrIxEEEENS9_16discard_iteratorINS9_11use_defaultEEExNS9_4plusIvEExEEDaPvRmT3_T4_T5_mT6_P12ihipStream_tbENKUlT_T0_E_clISt17integral_constantIbLb0EESX_EEDaSS_ST_EUlSS_E_NS1_11comp_targetILNS1_3genE0ELNS1_11target_archE4294967295ELNS1_3gpuE0ELNS1_3repE0EEENS1_30default_config_static_selectorELNS0_4arch9wavefront6targetE1EEEvT1_,comdat
.Lfunc_end5654:
	.size	_ZN7rocprim17ROCPRIM_400000_NS6detail17trampoline_kernelINS0_14default_configENS1_20scan_config_selectorIxEEZZNS1_9scan_implILNS1_25lookback_scan_determinismE0ELb1ELb1ES3_N6thrust23THRUST_200600_302600_NS6detail15normal_iteratorINS9_10device_ptrIxEEEENS9_16discard_iteratorINS9_11use_defaultEEExNS9_4plusIvEExEEDaPvRmT3_T4_T5_mT6_P12ihipStream_tbENKUlT_T0_E_clISt17integral_constantIbLb0EESX_EEDaSS_ST_EUlSS_E_NS1_11comp_targetILNS1_3genE0ELNS1_11target_archE4294967295ELNS1_3gpuE0ELNS1_3repE0EEENS1_30default_config_static_selectorELNS0_4arch9wavefront6targetE1EEEvT1_, .Lfunc_end5654-_ZN7rocprim17ROCPRIM_400000_NS6detail17trampoline_kernelINS0_14default_configENS1_20scan_config_selectorIxEEZZNS1_9scan_implILNS1_25lookback_scan_determinismE0ELb1ELb1ES3_N6thrust23THRUST_200600_302600_NS6detail15normal_iteratorINS9_10device_ptrIxEEEENS9_16discard_iteratorINS9_11use_defaultEEExNS9_4plusIvEExEEDaPvRmT3_T4_T5_mT6_P12ihipStream_tbENKUlT_T0_E_clISt17integral_constantIbLb0EESX_EEDaSS_ST_EUlSS_E_NS1_11comp_targetILNS1_3genE0ELNS1_11target_archE4294967295ELNS1_3gpuE0ELNS1_3repE0EEENS1_30default_config_static_selectorELNS0_4arch9wavefront6targetE1EEEvT1_
                                        ; -- End function
	.section	.AMDGPU.csdata,"",@progbits
; Kernel info:
; codeLenInByte = 0
; NumSgprs: 4
; NumVgprs: 0
; NumAgprs: 0
; TotalNumVgprs: 0
; ScratchSize: 0
; MemoryBound: 0
; FloatMode: 240
; IeeeMode: 1
; LDSByteSize: 0 bytes/workgroup (compile time only)
; SGPRBlocks: 0
; VGPRBlocks: 0
; NumSGPRsForWavesPerEU: 4
; NumVGPRsForWavesPerEU: 1
; AccumOffset: 4
; Occupancy: 8
; WaveLimiterHint : 0
; COMPUTE_PGM_RSRC2:SCRATCH_EN: 0
; COMPUTE_PGM_RSRC2:USER_SGPR: 6
; COMPUTE_PGM_RSRC2:TRAP_HANDLER: 0
; COMPUTE_PGM_RSRC2:TGID_X_EN: 1
; COMPUTE_PGM_RSRC2:TGID_Y_EN: 0
; COMPUTE_PGM_RSRC2:TGID_Z_EN: 0
; COMPUTE_PGM_RSRC2:TIDIG_COMP_CNT: 0
; COMPUTE_PGM_RSRC3_GFX90A:ACCUM_OFFSET: 0
; COMPUTE_PGM_RSRC3_GFX90A:TG_SPLIT: 0
	.section	.text._ZN7rocprim17ROCPRIM_400000_NS6detail17trampoline_kernelINS0_14default_configENS1_20scan_config_selectorIxEEZZNS1_9scan_implILNS1_25lookback_scan_determinismE0ELb1ELb1ES3_N6thrust23THRUST_200600_302600_NS6detail15normal_iteratorINS9_10device_ptrIxEEEENS9_16discard_iteratorINS9_11use_defaultEEExNS9_4plusIvEExEEDaPvRmT3_T4_T5_mT6_P12ihipStream_tbENKUlT_T0_E_clISt17integral_constantIbLb0EESX_EEDaSS_ST_EUlSS_E_NS1_11comp_targetILNS1_3genE5ELNS1_11target_archE942ELNS1_3gpuE9ELNS1_3repE0EEENS1_30default_config_static_selectorELNS0_4arch9wavefront6targetE1EEEvT1_,"axG",@progbits,_ZN7rocprim17ROCPRIM_400000_NS6detail17trampoline_kernelINS0_14default_configENS1_20scan_config_selectorIxEEZZNS1_9scan_implILNS1_25lookback_scan_determinismE0ELb1ELb1ES3_N6thrust23THRUST_200600_302600_NS6detail15normal_iteratorINS9_10device_ptrIxEEEENS9_16discard_iteratorINS9_11use_defaultEEExNS9_4plusIvEExEEDaPvRmT3_T4_T5_mT6_P12ihipStream_tbENKUlT_T0_E_clISt17integral_constantIbLb0EESX_EEDaSS_ST_EUlSS_E_NS1_11comp_targetILNS1_3genE5ELNS1_11target_archE942ELNS1_3gpuE9ELNS1_3repE0EEENS1_30default_config_static_selectorELNS0_4arch9wavefront6targetE1EEEvT1_,comdat
	.protected	_ZN7rocprim17ROCPRIM_400000_NS6detail17trampoline_kernelINS0_14default_configENS1_20scan_config_selectorIxEEZZNS1_9scan_implILNS1_25lookback_scan_determinismE0ELb1ELb1ES3_N6thrust23THRUST_200600_302600_NS6detail15normal_iteratorINS9_10device_ptrIxEEEENS9_16discard_iteratorINS9_11use_defaultEEExNS9_4plusIvEExEEDaPvRmT3_T4_T5_mT6_P12ihipStream_tbENKUlT_T0_E_clISt17integral_constantIbLb0EESX_EEDaSS_ST_EUlSS_E_NS1_11comp_targetILNS1_3genE5ELNS1_11target_archE942ELNS1_3gpuE9ELNS1_3repE0EEENS1_30default_config_static_selectorELNS0_4arch9wavefront6targetE1EEEvT1_ ; -- Begin function _ZN7rocprim17ROCPRIM_400000_NS6detail17trampoline_kernelINS0_14default_configENS1_20scan_config_selectorIxEEZZNS1_9scan_implILNS1_25lookback_scan_determinismE0ELb1ELb1ES3_N6thrust23THRUST_200600_302600_NS6detail15normal_iteratorINS9_10device_ptrIxEEEENS9_16discard_iteratorINS9_11use_defaultEEExNS9_4plusIvEExEEDaPvRmT3_T4_T5_mT6_P12ihipStream_tbENKUlT_T0_E_clISt17integral_constantIbLb0EESX_EEDaSS_ST_EUlSS_E_NS1_11comp_targetILNS1_3genE5ELNS1_11target_archE942ELNS1_3gpuE9ELNS1_3repE0EEENS1_30default_config_static_selectorELNS0_4arch9wavefront6targetE1EEEvT1_
	.globl	_ZN7rocprim17ROCPRIM_400000_NS6detail17trampoline_kernelINS0_14default_configENS1_20scan_config_selectorIxEEZZNS1_9scan_implILNS1_25lookback_scan_determinismE0ELb1ELb1ES3_N6thrust23THRUST_200600_302600_NS6detail15normal_iteratorINS9_10device_ptrIxEEEENS9_16discard_iteratorINS9_11use_defaultEEExNS9_4plusIvEExEEDaPvRmT3_T4_T5_mT6_P12ihipStream_tbENKUlT_T0_E_clISt17integral_constantIbLb0EESX_EEDaSS_ST_EUlSS_E_NS1_11comp_targetILNS1_3genE5ELNS1_11target_archE942ELNS1_3gpuE9ELNS1_3repE0EEENS1_30default_config_static_selectorELNS0_4arch9wavefront6targetE1EEEvT1_
	.p2align	8
	.type	_ZN7rocprim17ROCPRIM_400000_NS6detail17trampoline_kernelINS0_14default_configENS1_20scan_config_selectorIxEEZZNS1_9scan_implILNS1_25lookback_scan_determinismE0ELb1ELb1ES3_N6thrust23THRUST_200600_302600_NS6detail15normal_iteratorINS9_10device_ptrIxEEEENS9_16discard_iteratorINS9_11use_defaultEEExNS9_4plusIvEExEEDaPvRmT3_T4_T5_mT6_P12ihipStream_tbENKUlT_T0_E_clISt17integral_constantIbLb0EESX_EEDaSS_ST_EUlSS_E_NS1_11comp_targetILNS1_3genE5ELNS1_11target_archE942ELNS1_3gpuE9ELNS1_3repE0EEENS1_30default_config_static_selectorELNS0_4arch9wavefront6targetE1EEEvT1_,@function
_ZN7rocprim17ROCPRIM_400000_NS6detail17trampoline_kernelINS0_14default_configENS1_20scan_config_selectorIxEEZZNS1_9scan_implILNS1_25lookback_scan_determinismE0ELb1ELb1ES3_N6thrust23THRUST_200600_302600_NS6detail15normal_iteratorINS9_10device_ptrIxEEEENS9_16discard_iteratorINS9_11use_defaultEEExNS9_4plusIvEExEEDaPvRmT3_T4_T5_mT6_P12ihipStream_tbENKUlT_T0_E_clISt17integral_constantIbLb0EESX_EEDaSS_ST_EUlSS_E_NS1_11comp_targetILNS1_3genE5ELNS1_11target_archE942ELNS1_3gpuE9ELNS1_3repE0EEENS1_30default_config_static_selectorELNS0_4arch9wavefront6targetE1EEEvT1_: ; @_ZN7rocprim17ROCPRIM_400000_NS6detail17trampoline_kernelINS0_14default_configENS1_20scan_config_selectorIxEEZZNS1_9scan_implILNS1_25lookback_scan_determinismE0ELb1ELb1ES3_N6thrust23THRUST_200600_302600_NS6detail15normal_iteratorINS9_10device_ptrIxEEEENS9_16discard_iteratorINS9_11use_defaultEEExNS9_4plusIvEExEEDaPvRmT3_T4_T5_mT6_P12ihipStream_tbENKUlT_T0_E_clISt17integral_constantIbLb0EESX_EEDaSS_ST_EUlSS_E_NS1_11comp_targetILNS1_3genE5ELNS1_11target_archE942ELNS1_3gpuE9ELNS1_3repE0EEENS1_30default_config_static_selectorELNS0_4arch9wavefront6targetE1EEEvT1_
; %bb.0:
	.section	.rodata,"a",@progbits
	.p2align	6, 0x0
	.amdhsa_kernel _ZN7rocprim17ROCPRIM_400000_NS6detail17trampoline_kernelINS0_14default_configENS1_20scan_config_selectorIxEEZZNS1_9scan_implILNS1_25lookback_scan_determinismE0ELb1ELb1ES3_N6thrust23THRUST_200600_302600_NS6detail15normal_iteratorINS9_10device_ptrIxEEEENS9_16discard_iteratorINS9_11use_defaultEEExNS9_4plusIvEExEEDaPvRmT3_T4_T5_mT6_P12ihipStream_tbENKUlT_T0_E_clISt17integral_constantIbLb0EESX_EEDaSS_ST_EUlSS_E_NS1_11comp_targetILNS1_3genE5ELNS1_11target_archE942ELNS1_3gpuE9ELNS1_3repE0EEENS1_30default_config_static_selectorELNS0_4arch9wavefront6targetE1EEEvT1_
		.amdhsa_group_segment_fixed_size 0
		.amdhsa_private_segment_fixed_size 0
		.amdhsa_kernarg_size 112
		.amdhsa_user_sgpr_count 6
		.amdhsa_user_sgpr_private_segment_buffer 1
		.amdhsa_user_sgpr_dispatch_ptr 0
		.amdhsa_user_sgpr_queue_ptr 0
		.amdhsa_user_sgpr_kernarg_segment_ptr 1
		.amdhsa_user_sgpr_dispatch_id 0
		.amdhsa_user_sgpr_flat_scratch_init 0
		.amdhsa_user_sgpr_kernarg_preload_length 0
		.amdhsa_user_sgpr_kernarg_preload_offset 0
		.amdhsa_user_sgpr_private_segment_size 0
		.amdhsa_uses_dynamic_stack 0
		.amdhsa_system_sgpr_private_segment_wavefront_offset 0
		.amdhsa_system_sgpr_workgroup_id_x 1
		.amdhsa_system_sgpr_workgroup_id_y 0
		.amdhsa_system_sgpr_workgroup_id_z 0
		.amdhsa_system_sgpr_workgroup_info 0
		.amdhsa_system_vgpr_workitem_id 0
		.amdhsa_next_free_vgpr 1
		.amdhsa_next_free_sgpr 0
		.amdhsa_accum_offset 4
		.amdhsa_reserve_vcc 0
		.amdhsa_reserve_flat_scratch 0
		.amdhsa_float_round_mode_32 0
		.amdhsa_float_round_mode_16_64 0
		.amdhsa_float_denorm_mode_32 3
		.amdhsa_float_denorm_mode_16_64 3
		.amdhsa_dx10_clamp 1
		.amdhsa_ieee_mode 1
		.amdhsa_fp16_overflow 0
		.amdhsa_tg_split 0
		.amdhsa_exception_fp_ieee_invalid_op 0
		.amdhsa_exception_fp_denorm_src 0
		.amdhsa_exception_fp_ieee_div_zero 0
		.amdhsa_exception_fp_ieee_overflow 0
		.amdhsa_exception_fp_ieee_underflow 0
		.amdhsa_exception_fp_ieee_inexact 0
		.amdhsa_exception_int_div_zero 0
	.end_amdhsa_kernel
	.section	.text._ZN7rocprim17ROCPRIM_400000_NS6detail17trampoline_kernelINS0_14default_configENS1_20scan_config_selectorIxEEZZNS1_9scan_implILNS1_25lookback_scan_determinismE0ELb1ELb1ES3_N6thrust23THRUST_200600_302600_NS6detail15normal_iteratorINS9_10device_ptrIxEEEENS9_16discard_iteratorINS9_11use_defaultEEExNS9_4plusIvEExEEDaPvRmT3_T4_T5_mT6_P12ihipStream_tbENKUlT_T0_E_clISt17integral_constantIbLb0EESX_EEDaSS_ST_EUlSS_E_NS1_11comp_targetILNS1_3genE5ELNS1_11target_archE942ELNS1_3gpuE9ELNS1_3repE0EEENS1_30default_config_static_selectorELNS0_4arch9wavefront6targetE1EEEvT1_,"axG",@progbits,_ZN7rocprim17ROCPRIM_400000_NS6detail17trampoline_kernelINS0_14default_configENS1_20scan_config_selectorIxEEZZNS1_9scan_implILNS1_25lookback_scan_determinismE0ELb1ELb1ES3_N6thrust23THRUST_200600_302600_NS6detail15normal_iteratorINS9_10device_ptrIxEEEENS9_16discard_iteratorINS9_11use_defaultEEExNS9_4plusIvEExEEDaPvRmT3_T4_T5_mT6_P12ihipStream_tbENKUlT_T0_E_clISt17integral_constantIbLb0EESX_EEDaSS_ST_EUlSS_E_NS1_11comp_targetILNS1_3genE5ELNS1_11target_archE942ELNS1_3gpuE9ELNS1_3repE0EEENS1_30default_config_static_selectorELNS0_4arch9wavefront6targetE1EEEvT1_,comdat
.Lfunc_end5655:
	.size	_ZN7rocprim17ROCPRIM_400000_NS6detail17trampoline_kernelINS0_14default_configENS1_20scan_config_selectorIxEEZZNS1_9scan_implILNS1_25lookback_scan_determinismE0ELb1ELb1ES3_N6thrust23THRUST_200600_302600_NS6detail15normal_iteratorINS9_10device_ptrIxEEEENS9_16discard_iteratorINS9_11use_defaultEEExNS9_4plusIvEExEEDaPvRmT3_T4_T5_mT6_P12ihipStream_tbENKUlT_T0_E_clISt17integral_constantIbLb0EESX_EEDaSS_ST_EUlSS_E_NS1_11comp_targetILNS1_3genE5ELNS1_11target_archE942ELNS1_3gpuE9ELNS1_3repE0EEENS1_30default_config_static_selectorELNS0_4arch9wavefront6targetE1EEEvT1_, .Lfunc_end5655-_ZN7rocprim17ROCPRIM_400000_NS6detail17trampoline_kernelINS0_14default_configENS1_20scan_config_selectorIxEEZZNS1_9scan_implILNS1_25lookback_scan_determinismE0ELb1ELb1ES3_N6thrust23THRUST_200600_302600_NS6detail15normal_iteratorINS9_10device_ptrIxEEEENS9_16discard_iteratorINS9_11use_defaultEEExNS9_4plusIvEExEEDaPvRmT3_T4_T5_mT6_P12ihipStream_tbENKUlT_T0_E_clISt17integral_constantIbLb0EESX_EEDaSS_ST_EUlSS_E_NS1_11comp_targetILNS1_3genE5ELNS1_11target_archE942ELNS1_3gpuE9ELNS1_3repE0EEENS1_30default_config_static_selectorELNS0_4arch9wavefront6targetE1EEEvT1_
                                        ; -- End function
	.section	.AMDGPU.csdata,"",@progbits
; Kernel info:
; codeLenInByte = 0
; NumSgprs: 4
; NumVgprs: 0
; NumAgprs: 0
; TotalNumVgprs: 0
; ScratchSize: 0
; MemoryBound: 0
; FloatMode: 240
; IeeeMode: 1
; LDSByteSize: 0 bytes/workgroup (compile time only)
; SGPRBlocks: 0
; VGPRBlocks: 0
; NumSGPRsForWavesPerEU: 4
; NumVGPRsForWavesPerEU: 1
; AccumOffset: 4
; Occupancy: 8
; WaveLimiterHint : 0
; COMPUTE_PGM_RSRC2:SCRATCH_EN: 0
; COMPUTE_PGM_RSRC2:USER_SGPR: 6
; COMPUTE_PGM_RSRC2:TRAP_HANDLER: 0
; COMPUTE_PGM_RSRC2:TGID_X_EN: 1
; COMPUTE_PGM_RSRC2:TGID_Y_EN: 0
; COMPUTE_PGM_RSRC2:TGID_Z_EN: 0
; COMPUTE_PGM_RSRC2:TIDIG_COMP_CNT: 0
; COMPUTE_PGM_RSRC3_GFX90A:ACCUM_OFFSET: 0
; COMPUTE_PGM_RSRC3_GFX90A:TG_SPLIT: 0
	.section	.text._ZN7rocprim17ROCPRIM_400000_NS6detail17trampoline_kernelINS0_14default_configENS1_20scan_config_selectorIxEEZZNS1_9scan_implILNS1_25lookback_scan_determinismE0ELb1ELb1ES3_N6thrust23THRUST_200600_302600_NS6detail15normal_iteratorINS9_10device_ptrIxEEEENS9_16discard_iteratorINS9_11use_defaultEEExNS9_4plusIvEExEEDaPvRmT3_T4_T5_mT6_P12ihipStream_tbENKUlT_T0_E_clISt17integral_constantIbLb0EESX_EEDaSS_ST_EUlSS_E_NS1_11comp_targetILNS1_3genE4ELNS1_11target_archE910ELNS1_3gpuE8ELNS1_3repE0EEENS1_30default_config_static_selectorELNS0_4arch9wavefront6targetE1EEEvT1_,"axG",@progbits,_ZN7rocprim17ROCPRIM_400000_NS6detail17trampoline_kernelINS0_14default_configENS1_20scan_config_selectorIxEEZZNS1_9scan_implILNS1_25lookback_scan_determinismE0ELb1ELb1ES3_N6thrust23THRUST_200600_302600_NS6detail15normal_iteratorINS9_10device_ptrIxEEEENS9_16discard_iteratorINS9_11use_defaultEEExNS9_4plusIvEExEEDaPvRmT3_T4_T5_mT6_P12ihipStream_tbENKUlT_T0_E_clISt17integral_constantIbLb0EESX_EEDaSS_ST_EUlSS_E_NS1_11comp_targetILNS1_3genE4ELNS1_11target_archE910ELNS1_3gpuE8ELNS1_3repE0EEENS1_30default_config_static_selectorELNS0_4arch9wavefront6targetE1EEEvT1_,comdat
	.protected	_ZN7rocprim17ROCPRIM_400000_NS6detail17trampoline_kernelINS0_14default_configENS1_20scan_config_selectorIxEEZZNS1_9scan_implILNS1_25lookback_scan_determinismE0ELb1ELb1ES3_N6thrust23THRUST_200600_302600_NS6detail15normal_iteratorINS9_10device_ptrIxEEEENS9_16discard_iteratorINS9_11use_defaultEEExNS9_4plusIvEExEEDaPvRmT3_T4_T5_mT6_P12ihipStream_tbENKUlT_T0_E_clISt17integral_constantIbLb0EESX_EEDaSS_ST_EUlSS_E_NS1_11comp_targetILNS1_3genE4ELNS1_11target_archE910ELNS1_3gpuE8ELNS1_3repE0EEENS1_30default_config_static_selectorELNS0_4arch9wavefront6targetE1EEEvT1_ ; -- Begin function _ZN7rocprim17ROCPRIM_400000_NS6detail17trampoline_kernelINS0_14default_configENS1_20scan_config_selectorIxEEZZNS1_9scan_implILNS1_25lookback_scan_determinismE0ELb1ELb1ES3_N6thrust23THRUST_200600_302600_NS6detail15normal_iteratorINS9_10device_ptrIxEEEENS9_16discard_iteratorINS9_11use_defaultEEExNS9_4plusIvEExEEDaPvRmT3_T4_T5_mT6_P12ihipStream_tbENKUlT_T0_E_clISt17integral_constantIbLb0EESX_EEDaSS_ST_EUlSS_E_NS1_11comp_targetILNS1_3genE4ELNS1_11target_archE910ELNS1_3gpuE8ELNS1_3repE0EEENS1_30default_config_static_selectorELNS0_4arch9wavefront6targetE1EEEvT1_
	.globl	_ZN7rocprim17ROCPRIM_400000_NS6detail17trampoline_kernelINS0_14default_configENS1_20scan_config_selectorIxEEZZNS1_9scan_implILNS1_25lookback_scan_determinismE0ELb1ELb1ES3_N6thrust23THRUST_200600_302600_NS6detail15normal_iteratorINS9_10device_ptrIxEEEENS9_16discard_iteratorINS9_11use_defaultEEExNS9_4plusIvEExEEDaPvRmT3_T4_T5_mT6_P12ihipStream_tbENKUlT_T0_E_clISt17integral_constantIbLb0EESX_EEDaSS_ST_EUlSS_E_NS1_11comp_targetILNS1_3genE4ELNS1_11target_archE910ELNS1_3gpuE8ELNS1_3repE0EEENS1_30default_config_static_selectorELNS0_4arch9wavefront6targetE1EEEvT1_
	.p2align	8
	.type	_ZN7rocprim17ROCPRIM_400000_NS6detail17trampoline_kernelINS0_14default_configENS1_20scan_config_selectorIxEEZZNS1_9scan_implILNS1_25lookback_scan_determinismE0ELb1ELb1ES3_N6thrust23THRUST_200600_302600_NS6detail15normal_iteratorINS9_10device_ptrIxEEEENS9_16discard_iteratorINS9_11use_defaultEEExNS9_4plusIvEExEEDaPvRmT3_T4_T5_mT6_P12ihipStream_tbENKUlT_T0_E_clISt17integral_constantIbLb0EESX_EEDaSS_ST_EUlSS_E_NS1_11comp_targetILNS1_3genE4ELNS1_11target_archE910ELNS1_3gpuE8ELNS1_3repE0EEENS1_30default_config_static_selectorELNS0_4arch9wavefront6targetE1EEEvT1_,@function
_ZN7rocprim17ROCPRIM_400000_NS6detail17trampoline_kernelINS0_14default_configENS1_20scan_config_selectorIxEEZZNS1_9scan_implILNS1_25lookback_scan_determinismE0ELb1ELb1ES3_N6thrust23THRUST_200600_302600_NS6detail15normal_iteratorINS9_10device_ptrIxEEEENS9_16discard_iteratorINS9_11use_defaultEEExNS9_4plusIvEExEEDaPvRmT3_T4_T5_mT6_P12ihipStream_tbENKUlT_T0_E_clISt17integral_constantIbLb0EESX_EEDaSS_ST_EUlSS_E_NS1_11comp_targetILNS1_3genE4ELNS1_11target_archE910ELNS1_3gpuE8ELNS1_3repE0EEENS1_30default_config_static_selectorELNS0_4arch9wavefront6targetE1EEEvT1_: ; @_ZN7rocprim17ROCPRIM_400000_NS6detail17trampoline_kernelINS0_14default_configENS1_20scan_config_selectorIxEEZZNS1_9scan_implILNS1_25lookback_scan_determinismE0ELb1ELb1ES3_N6thrust23THRUST_200600_302600_NS6detail15normal_iteratorINS9_10device_ptrIxEEEENS9_16discard_iteratorINS9_11use_defaultEEExNS9_4plusIvEExEEDaPvRmT3_T4_T5_mT6_P12ihipStream_tbENKUlT_T0_E_clISt17integral_constantIbLb0EESX_EEDaSS_ST_EUlSS_E_NS1_11comp_targetILNS1_3genE4ELNS1_11target_archE910ELNS1_3gpuE8ELNS1_3repE0EEENS1_30default_config_static_selectorELNS0_4arch9wavefront6targetE1EEEvT1_
; %bb.0:
	s_load_dwordx4 s[0:3], s[4:5], 0x0
	s_load_dwordx4 s[12:15], s[4:5], 0x20
	s_load_dword s7, s[4:5], 0x40
	v_lshlrev_b32_e32 v1, 3, v0
	s_waitcnt lgkmcnt(0)
	s_lshl_b64 s[2:3], s[2:3], 3
	s_add_u32 s22, s0, s2
	s_addc_u32 s23, s1, s3
	s_add_i32 s2, s7, -1
	s_mul_i32 s3, s2, 0x380
	s_sub_u32 s20, s12, s3
	s_subb_u32 s21, s13, 0
	s_mul_i32 s0, s6, 0x380
	s_mov_b32 s1, 0
	s_cmp_lg_u32 s6, s2
	s_cselect_b64 s[12:13], -1, 0
	s_lshl_b64 s[0:1], s[0:1], 3
	s_add_u32 s0, s22, s0
	s_addc_u32 s1, s23, s1
	s_mov_b64 s[2:3], -1
	s_and_b64 vcc, exec, s[12:13]
	s_cbranch_vccz .LBB5656_2
; %bb.1:
	v_mov_b32_e32 v3, s1
	v_add_co_u32_e32 v2, vcc, s0, v1
	v_addc_co_u32_e32 v3, vcc, 0, v3, vcc
	flat_load_dwordx2 v[4:5], v[2:3]
	flat_load_dwordx2 v[6:7], v[2:3] offset:1024
	flat_load_dwordx2 v[8:9], v[2:3] offset:2048
	;; [unrolled: 1-line block ×3, first 2 shown]
	v_add_co_u32_e32 v2, vcc, 0x1000, v2
	v_addc_co_u32_e32 v3, vcc, 0, v3, vcc
	flat_load_dwordx2 v[12:13], v[2:3]
	flat_load_dwordx2 v[14:15], v[2:3] offset:1024
	flat_load_dwordx2 v[16:17], v[2:3] offset:2048
	s_mov_b64 s[2:3], 0
	s_waitcnt vmcnt(0) lgkmcnt(0)
	ds_write2st64_b64 v1, v[4:5], v[6:7] offset1:2
	ds_write2st64_b64 v1, v[8:9], v[10:11] offset0:4 offset1:6
	ds_write2st64_b64 v1, v[12:13], v[14:15] offset0:8 offset1:10
	ds_write_b64 v1, v[16:17] offset:6144
	s_waitcnt lgkmcnt(0)
	s_barrier
.LBB5656_2:
	s_load_dwordx2 s[16:17], s[4:5], 0x38
	s_andn2_b64 vcc, exec, s[2:3]
	s_cbranch_vccnz .LBB5656_18
; %bb.3:
	v_pk_mov_b32 v[2:3], s[0:1], s[0:1] op_sel:[0,1]
	flat_load_dwordx2 v[2:3], v[2:3]
	v_cmp_gt_u32_e32 vcc, s20, v0
	s_waitcnt vmcnt(0) lgkmcnt(0)
	v_mov_b32_e32 v4, v2
	v_mov_b32_e32 v5, v3
	;; [unrolled: 1-line block ×10, first 2 shown]
	v_pk_mov_b32 v[18:19], v[14:15], v[14:15] op_sel:[0,1]
	v_pk_mov_b32 v[16:17], v[12:13], v[12:13] op_sel:[0,1]
	;; [unrolled: 1-line block ×8, first 2 shown]
	s_and_saveexec_b64 s[2:3], vcc
	s_cbranch_execz .LBB5656_5
; %bb.4:
	v_mov_b32_e32 v5, s1
	v_add_co_u32_e32 v4, vcc, s0, v1
	v_addc_co_u32_e32 v5, vcc, 0, v5, vcc
	flat_load_dwordx2 v[20:21], v[4:5]
	v_mov_b32_e32 v4, v2
	v_mov_b32_e32 v5, v3
	;; [unrolled: 1-line block ×10, first 2 shown]
	v_pk_mov_b32 v[18:19], v[14:15], v[14:15] op_sel:[0,1]
	v_pk_mov_b32 v[16:17], v[12:13], v[12:13] op_sel:[0,1]
	;; [unrolled: 1-line block ×8, first 2 shown]
	s_waitcnt vmcnt(0) lgkmcnt(0)
	v_pk_mov_b32 v[2:3], v[20:21], v[20:21] op_sel:[0,1]
.LBB5656_5:
	s_or_b64 exec, exec, s[2:3]
	v_or_b32_e32 v4, 0x80, v0
	v_cmp_gt_u32_e32 vcc, s20, v4
	s_and_saveexec_b64 s[2:3], vcc
	s_cbranch_execz .LBB5656_7
; %bb.6:
	v_mov_b32_e32 v5, s1
	v_add_co_u32_e32 v4, vcc, s0, v1
	v_addc_co_u32_e32 v5, vcc, 0, v5, vcc
	flat_load_dwordx2 v[6:7], v[4:5] offset:1024
.LBB5656_7:
	s_or_b64 exec, exec, s[2:3]
	v_or_b32_e32 v4, 0x100, v0
	v_cmp_gt_u32_e32 vcc, s20, v4
	s_and_saveexec_b64 s[2:3], vcc
	s_cbranch_execz .LBB5656_9
; %bb.8:
	v_mov_b32_e32 v5, s1
	v_add_co_u32_e32 v4, vcc, s0, v1
	v_addc_co_u32_e32 v5, vcc, 0, v5, vcc
	flat_load_dwordx2 v[8:9], v[4:5] offset:2048
.LBB5656_9:
	s_or_b64 exec, exec, s[2:3]
	v_or_b32_e32 v4, 0x180, v0
	v_cmp_gt_u32_e32 vcc, s20, v4
	s_and_saveexec_b64 s[2:3], vcc
	s_cbranch_execz .LBB5656_11
; %bb.10:
	v_mov_b32_e32 v5, s1
	v_add_co_u32_e32 v4, vcc, s0, v1
	v_addc_co_u32_e32 v5, vcc, 0, v5, vcc
	flat_load_dwordx2 v[10:11], v[4:5] offset:3072
.LBB5656_11:
	s_or_b64 exec, exec, s[2:3]
	v_or_b32_e32 v4, 0x200, v0
	v_cmp_gt_u32_e32 vcc, s20, v4
	s_and_saveexec_b64 s[2:3], vcc
	s_cbranch_execz .LBB5656_13
; %bb.12:
	v_lshlrev_b32_e32 v4, 3, v4
	v_mov_b32_e32 v5, s1
	v_add_co_u32_e32 v4, vcc, s0, v4
	v_addc_co_u32_e32 v5, vcc, 0, v5, vcc
	flat_load_dwordx2 v[12:13], v[4:5]
.LBB5656_13:
	s_or_b64 exec, exec, s[2:3]
	v_or_b32_e32 v4, 0x280, v0
	v_cmp_gt_u32_e32 vcc, s20, v4
	s_and_saveexec_b64 s[2:3], vcc
	s_cbranch_execz .LBB5656_15
; %bb.14:
	v_lshlrev_b32_e32 v4, 3, v4
	v_mov_b32_e32 v5, s1
	v_add_co_u32_e32 v4, vcc, s0, v4
	v_addc_co_u32_e32 v5, vcc, 0, v5, vcc
	flat_load_dwordx2 v[14:15], v[4:5]
.LBB5656_15:
	;; [unrolled: 12-line block ×3, first 2 shown]
	s_or_b64 exec, exec, s[2:3]
	s_waitcnt vmcnt(0) lgkmcnt(0)
	ds_write2st64_b64 v1, v[2:3], v[6:7] offset1:2
	ds_write2st64_b64 v1, v[8:9], v[10:11] offset0:4 offset1:6
	ds_write2st64_b64 v1, v[12:13], v[14:15] offset0:8 offset1:10
	ds_write_b64 v1, v[16:17] offset:6144
	s_waitcnt lgkmcnt(0)
	s_barrier
.LBB5656_18:
	v_mul_u32_u24_e32 v36, 7, v0
	v_lshlrev_b32_e32 v1, 3, v36
	s_waitcnt lgkmcnt(0)
	ds_read2_b64 v[10:13], v1 offset1:1
	ds_read2_b64 v[6:9], v1 offset0:2 offset1:3
	ds_read2_b64 v[2:5], v1 offset0:4 offset1:5
	ds_read_b64 v[26:27], v1 offset:48
	s_cmp_lg_u32 s6, 0
	v_lshrrev_b32_e32 v37, 5, v0
	v_cmp_gt_u32_e32 vcc, 64, v0
	s_waitcnt lgkmcnt(0)
	s_barrier
	s_cbranch_scc0 .LBB5656_45
; %bb.19:
	v_add_co_u32_e64 v1, s[0:1], v12, v10
	v_addc_co_u32_e64 v14, s[0:1], v13, v11, s[0:1]
	v_add_co_u32_e64 v1, s[0:1], v1, v6
	v_addc_co_u32_e64 v14, s[0:1], v14, v7, s[0:1]
	;; [unrolled: 2-line block ×6, first 2 shown]
	v_add_lshl_u32 v1, v37, v0, 3
	ds_write_b64 v1, v[18:19]
	s_waitcnt lgkmcnt(0)
	s_barrier
	s_and_saveexec_b64 s[8:9], vcc
	s_cbranch_execz .LBB5656_23
; %bb.20:
	v_lshlrev_b32_e32 v1, 1, v0
	v_lshrrev_b32_e32 v14, 4, v0
	v_add_lshl_u32 v20, v14, v1, 3
	ds_read2_b64 v[14:17], v20 offset1:1
	v_mbcnt_lo_u32_b32 v1, -1, 0
	s_waitcnt lgkmcnt(0)
	v_add_co_u32_e64 v21, s[0:1], v16, v14
	v_addc_co_u32_e64 v22, s[0:1], v17, v15, s[0:1]
	s_nop 0
	v_mov_b32_dpp v16, v21 row_shr:1 row_mask:0xf bank_mask:0xf
	v_add_co_u32_e64 v16, s[0:1], v21, v16
	v_addc_co_u32_e64 v24, s[0:1], 0, v22, s[0:1]
	v_mbcnt_hi_u32_b32 v17, -1, v1
	v_mov_b32_dpp v23, v22 row_shr:1 row_mask:0xf bank_mask:0xf
	v_add_co_u32_e64 v25, s[0:1], 0, v16
	v_and_b32_e32 v1, 15, v17
	v_addc_co_u32_e64 v23, s[0:1], v23, v24, s[0:1]
	v_cmp_eq_u32_e64 s[0:1], 0, v1
	v_cndmask_b32_e64 v16, v16, v21, s[0:1]
	v_cndmask_b32_e64 v23, v23, v22, s[0:1]
	v_cndmask_b32_e64 v24, v25, v21, s[0:1]
	v_mov_b32_dpp v25, v16 row_shr:2 row_mask:0xf bank_mask:0xf
	v_mov_b32_dpp v28, v23 row_shr:2 row_mask:0xf bank_mask:0xf
	v_add_co_u32_e64 v25, s[0:1], v25, v24
	v_addc_co_u32_e64 v28, s[0:1], v28, v23, s[0:1]
	v_cmp_lt_u32_e64 s[0:1], 1, v1
	v_cndmask_b32_e64 v16, v16, v25, s[0:1]
	v_cndmask_b32_e64 v23, v23, v28, s[0:1]
	v_cndmask_b32_e64 v24, v24, v25, s[0:1]
	v_mov_b32_dpp v25, v16 row_shr:4 row_mask:0xf bank_mask:0xf
	v_mov_b32_dpp v28, v23 row_shr:4 row_mask:0xf bank_mask:0xf
	v_add_co_u32_e64 v25, s[0:1], v25, v24
	v_addc_co_u32_e64 v28, s[0:1], v28, v23, s[0:1]
	v_cmp_lt_u32_e64 s[0:1], 3, v1
	;; [unrolled: 8-line block ×3, first 2 shown]
	v_cndmask_b32_e64 v29, v16, v25, s[0:1]
	v_cndmask_b32_e64 v1, v23, v28, s[0:1]
	;; [unrolled: 1-line block ×3, first 2 shown]
	v_mov_b32_dpp v23, v29 row_bcast:15 row_mask:0xf bank_mask:0xf
	v_mov_b32_dpp v24, v1 row_bcast:15 row_mask:0xf bank_mask:0xf
	v_add_co_u32_e64 v23, s[0:1], v23, v16
	v_and_b32_e32 v28, 16, v17
	v_addc_co_u32_e64 v25, s[0:1], v24, v1, s[0:1]
	v_cmp_eq_u32_e64 s[0:1], 0, v28
	v_cndmask_b32_e64 v28, v25, v1, s[0:1]
	v_cndmask_b32_e64 v24, v23, v29, s[0:1]
	v_cmp_ne_u32_e64 s[2:3], 0, v17
	v_mov_b32_dpp v28, v28 row_bcast:31 row_mask:0xf bank_mask:0xf
	v_mov_b32_dpp v24, v24 row_bcast:31 row_mask:0xf bank_mask:0xf
	s_and_saveexec_b64 s[10:11], s[2:3]
; %bb.21:
	v_cndmask_b32_e64 v1, v25, v1, s[0:1]
	v_cndmask_b32_e64 v16, v23, v16, s[0:1]
	v_cmp_lt_u32_e64 s[0:1], 31, v17
	v_cndmask_b32_e64 v21, 0, v24, s[0:1]
	v_cndmask_b32_e64 v22, 0, v28, s[0:1]
	v_add_co_u32_e64 v21, s[0:1], v21, v16
	v_addc_co_u32_e64 v22, s[0:1], v22, v1, s[0:1]
; %bb.22:
	s_or_b64 exec, exec, s[10:11]
	v_add_u32_e32 v1, -1, v17
	v_and_b32_e32 v16, 64, v17
	v_cmp_lt_i32_e64 s[0:1], v1, v16
	v_cndmask_b32_e64 v1, v1, v17, s[0:1]
	v_lshlrev_b32_e32 v1, 2, v1
	ds_bpermute_b32 v16, v1, v21
	ds_bpermute_b32 v1, v1, v22
	; wave barrier
	s_waitcnt lgkmcnt(1)
	v_add_co_u32_e64 v14, s[0:1], v14, v16
	v_addc_co_u32_e64 v15, s[0:1], 0, v15, s[0:1]
	v_add_co_u32_e64 v14, s[0:1], 0, v14
	s_waitcnt lgkmcnt(0)
	v_addc_co_u32_e64 v1, s[0:1], v15, v1, s[0:1]
	v_cmp_eq_u32_e64 s[0:1], 0, v0
	v_cndmask_b32_e64 v15, v1, v19, s[0:1]
	v_cndmask_b32_e64 v14, v14, v18, s[0:1]
	ds_write_b64 v20, v[14:15]
	; wave barrier
	ds_read_b64 v[16:17], v20 offset:8
	s_waitcnt lgkmcnt(0)
	v_add_co_u32_e64 v14, s[0:1], v16, v14
	v_addc_co_u32_e64 v15, s[0:1], v17, v15, s[0:1]
	ds_write_b64 v20, v[14:15] offset:8
.LBB5656_23:
	s_or_b64 exec, exec, s[8:9]
	v_cmp_eq_u32_e64 s[0:1], 0, v0
	v_cmp_ne_u32_e64 s[2:3], 0, v0
	v_pk_mov_b32 v[22:23], 0, 0
	s_waitcnt lgkmcnt(0)
	s_barrier
	s_and_saveexec_b64 s[8:9], s[2:3]
	s_cbranch_execz .LBB5656_25
; %bb.24:
	v_add_u32_e32 v1, -1, v0
	v_lshrrev_b32_e32 v14, 5, v1
	v_add_lshl_u32 v1, v14, v1, 3
	ds_read_b64 v[22:23], v1
.LBB5656_25:
	s_or_b64 exec, exec, s[8:9]
	s_and_saveexec_b64 s[18:19], vcc
	s_cbranch_execz .LBB5656_44
; %bb.26:
	v_mov_b32_e32 v17, 0
	ds_read_b64 v[14:15], v17 offset:1040
	v_mbcnt_lo_u32_b32 v1, -1, 0
	v_mbcnt_hi_u32_b32 v30, -1, v1
	s_mov_b32 s11, 0
	v_cmp_eq_u32_e64 s[2:3], 0, v30
	s_and_saveexec_b64 s[8:9], s[2:3]
	s_cbranch_execz .LBB5656_28
; %bb.27:
	s_add_i32 s10, s6, 64
	s_lshl_b64 s[10:11], s[10:11], 4
	s_add_u32 s10, s16, s10
	s_addc_u32 s11, s17, s11
	v_mov_b32_e32 v16, 1
	v_pk_mov_b32 v[18:19], s[10:11], s[10:11] op_sel:[0,1]
	s_waitcnt lgkmcnt(0)
	;;#ASMSTART
	global_store_dwordx4 v[18:19], v[14:17] off	
s_waitcnt vmcnt(0)
	;;#ASMEND
.LBB5656_28:
	s_or_b64 exec, exec, s[8:9]
	v_xad_u32 v24, v30, -1, s6
	v_add_u32_e32 v16, 64, v24
	v_lshlrev_b64 v[18:19], 4, v[16:17]
	v_mov_b32_e32 v1, s17
	v_add_co_u32_e32 v28, vcc, s16, v18
	v_addc_co_u32_e32 v29, vcc, v1, v19, vcc
	;;#ASMSTART
	global_load_dwordx4 v[18:21], v[28:29] off glc	
s_waitcnt vmcnt(0)
	;;#ASMEND
	v_and_b32_e32 v1, 0xff, v19
	v_and_b32_e32 v16, 0xff00, v19
	v_or3_b32 v1, 0, v1, v16
	v_or3_b32 v16, v18, 0, 0
	v_and_b32_e32 v18, 0xff000000, v19
	v_and_b32_e32 v19, 0xff0000, v19
	v_or3_b32 v19, v1, v19, v18
	v_or3_b32 v18, v16, 0, 0
	v_cmp_eq_u16_sdwa s[10:11], v20, v17 src0_sel:BYTE_0 src1_sel:DWORD
	s_and_saveexec_b64 s[8:9], s[10:11]
	s_cbranch_execz .LBB5656_32
; %bb.29:
	s_mov_b64 s[10:11], 0
	v_mov_b32_e32 v1, 0
.LBB5656_30:                            ; =>This Inner Loop Header: Depth=1
	;;#ASMSTART
	global_load_dwordx4 v[18:21], v[28:29] off glc	
s_waitcnt vmcnt(0)
	;;#ASMEND
	v_cmp_ne_u16_sdwa s[24:25], v20, v1 src0_sel:BYTE_0 src1_sel:DWORD
	s_or_b64 s[10:11], s[24:25], s[10:11]
	s_andn2_b64 exec, exec, s[10:11]
	s_cbranch_execnz .LBB5656_30
; %bb.31:
	s_or_b64 exec, exec, s[10:11]
.LBB5656_32:
	s_or_b64 exec, exec, s[8:9]
	v_and_b32_e32 v32, 63, v30
	v_cmp_ne_u32_e32 vcc, 63, v32
	v_addc_co_u32_e32 v28, vcc, 0, v30, vcc
	v_lshlrev_b32_e32 v33, 2, v28
	ds_bpermute_b32 v28, v33, v18
	v_mov_b32_e32 v1, 2
	v_cmp_eq_u16_sdwa s[8:9], v20, v1 src0_sel:BYTE_0 src1_sel:DWORD
	v_lshlrev_b64 v[16:17], v30, -1
	ds_bpermute_b32 v29, v33, v19
	v_and_b32_e32 v21, s9, v17
	v_or_b32_e32 v21, 0x80000000, v21
	s_waitcnt lgkmcnt(1)
	v_add_co_u32_e32 v28, vcc, v18, v28
	v_and_b32_e32 v25, s8, v16
	v_ffbl_b32_e32 v21, v21
	v_addc_co_u32_e32 v31, vcc, 0, v19, vcc
	v_add_u32_e32 v21, 32, v21
	v_ffbl_b32_e32 v25, v25
	v_add_co_u32_e32 v35, vcc, 0, v28
	v_cmp_gt_u32_e64 s[8:9], 62, v32
	v_min_u32_e32 v21, v25, v21
	s_waitcnt lgkmcnt(0)
	v_addc_co_u32_e32 v29, vcc, v29, v31, vcc
	v_cndmask_b32_e64 v31, 0, 1, s[8:9]
	v_cmp_lt_u32_e32 vcc, v32, v21
	v_lshlrev_b32_e32 v31, 1, v31
	v_cndmask_b32_e32 v28, v18, v28, vcc
	v_add_lshl_u32 v34, v31, v30, 2
	v_cndmask_b32_e32 v29, v19, v29, vcc
	ds_bpermute_b32 v31, v34, v28
	ds_bpermute_b32 v38, v34, v29
	v_cndmask_b32_e32 v39, v18, v35, vcc
	v_add_u32_e32 v35, 2, v32
	v_cmp_gt_u32_e64 s[10:11], 60, v32
	s_waitcnt lgkmcnt(1)
	v_add_co_u32_e64 v31, s[8:9], v31, v39
	s_waitcnt lgkmcnt(0)
	v_addc_co_u32_e64 v38, s[8:9], v38, v29, s[8:9]
	v_cmp_gt_u32_e64 s[8:9], v35, v21
	v_cndmask_b32_e64 v29, v38, v29, s[8:9]
	v_cndmask_b32_e64 v38, 0, 1, s[10:11]
	v_lshlrev_b32_e32 v38, 2, v38
	v_cndmask_b32_e64 v28, v31, v28, s[8:9]
	v_add_lshl_u32 v38, v38, v30, 2
	ds_bpermute_b32 v40, v38, v28
	ds_bpermute_b32 v41, v38, v29
	v_cndmask_b32_e64 v31, v31, v39, s[8:9]
	v_add_u32_e32 v39, 4, v32
	v_cmp_gt_u32_e64 s[10:11], 56, v32
	s_waitcnt lgkmcnt(1)
	v_add_co_u32_e64 v42, s[8:9], v40, v31
	s_waitcnt lgkmcnt(0)
	v_addc_co_u32_e64 v40, s[8:9], v41, v29, s[8:9]
	v_cmp_gt_u32_e64 s[8:9], v39, v21
	v_cndmask_b32_e64 v29, v40, v29, s[8:9]
	v_cndmask_b32_e64 v40, 0, 1, s[10:11]
	v_lshlrev_b32_e32 v40, 3, v40
	v_cndmask_b32_e64 v28, v42, v28, s[8:9]
	v_add_lshl_u32 v40, v40, v30, 2
	ds_bpermute_b32 v43, v40, v28
	v_cndmask_b32_e64 v31, v42, v31, s[8:9]
	ds_bpermute_b32 v42, v40, v29
	v_add_u32_e32 v41, 8, v32
	v_cmp_gt_u32_e64 s[10:11], 48, v32
	s_waitcnt lgkmcnt(1)
	v_add_co_u32_e64 v43, s[8:9], v43, v31
	s_waitcnt lgkmcnt(0)
	v_addc_co_u32_e64 v42, s[8:9], v42, v29, s[8:9]
	v_cmp_gt_u32_e64 s[8:9], v41, v21
	v_cndmask_b32_e64 v29, v42, v29, s[8:9]
	v_cndmask_b32_e64 v42, 0, 1, s[10:11]
	v_lshlrev_b32_e32 v42, 4, v42
	v_cndmask_b32_e64 v28, v43, v28, s[8:9]
	v_add_lshl_u32 v42, v42, v30, 2
	ds_bpermute_b32 v44, v42, v28
	ds_bpermute_b32 v45, v42, v29
	v_cndmask_b32_e64 v31, v43, v31, s[8:9]
	v_cmp_gt_u32_e64 s[10:11], 32, v32
	v_add_u32_e32 v43, 16, v32
	s_waitcnt lgkmcnt(1)
	v_add_co_u32_e64 v46, s[8:9], v44, v31
	s_waitcnt lgkmcnt(0)
	v_addc_co_u32_e64 v45, s[8:9], v45, v29, s[8:9]
	v_cndmask_b32_e64 v44, 0, 1, s[10:11]
	v_cmp_gt_u32_e64 s[8:9], v43, v21
	v_lshlrev_b32_e32 v44, 5, v44
	v_cndmask_b32_e64 v28, v46, v28, s[8:9]
	v_add_lshl_u32 v44, v44, v30, 2
	v_cndmask_b32_e64 v29, v45, v29, s[8:9]
	ds_bpermute_b32 v28, v44, v28
	ds_bpermute_b32 v30, v44, v29
	v_add_u32_e32 v45, 32, v32
	v_cndmask_b32_e64 v31, v46, v31, s[8:9]
	v_cmp_le_u32_e64 s[8:9], v45, v21
	s_waitcnt lgkmcnt(1)
	v_cndmask_b32_e64 v28, 0, v28, s[8:9]
	s_waitcnt lgkmcnt(0)
	v_cndmask_b32_e64 v21, 0, v30, s[8:9]
	v_add_co_u32_e64 v28, s[8:9], v28, v31
	v_addc_co_u32_e64 v21, s[8:9], v21, v29, s[8:9]
	v_mov_b32_e32 v25, 0
	v_cndmask_b32_e32 v19, v19, v21, vcc
	v_cndmask_b32_e32 v18, v18, v28, vcc
	s_branch .LBB5656_34
.LBB5656_33:                            ;   in Loop: Header=BB5656_34 Depth=1
	s_or_b64 exec, exec, s[8:9]
	v_cmp_eq_u16_sdwa s[8:9], v20, v1 src0_sel:BYTE_0 src1_sel:DWORD
	v_and_b32_e32 v21, s9, v17
	v_or_b32_e32 v21, 0x80000000, v21
	ds_bpermute_b32 v31, v33, v18
	v_and_b32_e32 v30, s8, v16
	v_ffbl_b32_e32 v21, v21
	v_add_u32_e32 v21, 32, v21
	v_ffbl_b32_e32 v30, v30
	v_min_u32_e32 v21, v30, v21
	ds_bpermute_b32 v30, v33, v19
	s_waitcnt lgkmcnt(1)
	v_add_co_u32_e32 v31, vcc, v18, v31
	v_addc_co_u32_e32 v46, vcc, 0, v19, vcc
	v_add_co_u32_e32 v47, vcc, 0, v31
	s_waitcnt lgkmcnt(0)
	v_addc_co_u32_e32 v30, vcc, v30, v46, vcc
	v_cmp_lt_u32_e32 vcc, v32, v21
	v_cndmask_b32_e32 v31, v18, v31, vcc
	ds_bpermute_b32 v46, v34, v31
	v_cndmask_b32_e32 v30, v19, v30, vcc
	ds_bpermute_b32 v48, v34, v30
	v_cndmask_b32_e32 v47, v18, v47, vcc
	v_subrev_u32_e32 v24, 64, v24
	s_waitcnt lgkmcnt(1)
	v_add_co_u32_e64 v46, s[8:9], v46, v47
	s_waitcnt lgkmcnt(0)
	v_addc_co_u32_e64 v48, s[8:9], v48, v30, s[8:9]
	v_cmp_gt_u32_e64 s[8:9], v35, v21
	v_cndmask_b32_e64 v31, v46, v31, s[8:9]
	ds_bpermute_b32 v49, v38, v31
	v_cndmask_b32_e64 v30, v48, v30, s[8:9]
	ds_bpermute_b32 v48, v38, v30
	v_cndmask_b32_e64 v46, v46, v47, s[8:9]
	s_waitcnt lgkmcnt(1)
	v_add_co_u32_e64 v47, s[8:9], v49, v46
	s_waitcnt lgkmcnt(0)
	v_addc_co_u32_e64 v48, s[8:9], v48, v30, s[8:9]
	v_cmp_gt_u32_e64 s[8:9], v39, v21
	v_cndmask_b32_e64 v31, v47, v31, s[8:9]
	ds_bpermute_b32 v49, v40, v31
	v_cndmask_b32_e64 v30, v48, v30, s[8:9]
	ds_bpermute_b32 v48, v40, v30
	v_cndmask_b32_e64 v46, v47, v46, s[8:9]
	s_waitcnt lgkmcnt(1)
	v_add_co_u32_e64 v47, s[8:9], v49, v46
	s_waitcnt lgkmcnt(0)
	v_addc_co_u32_e64 v48, s[8:9], v48, v30, s[8:9]
	v_cmp_gt_u32_e64 s[8:9], v41, v21
	v_cndmask_b32_e64 v31, v47, v31, s[8:9]
	ds_bpermute_b32 v49, v42, v31
	v_cndmask_b32_e64 v30, v48, v30, s[8:9]
	ds_bpermute_b32 v48, v42, v30
	v_cndmask_b32_e64 v46, v47, v46, s[8:9]
	s_waitcnt lgkmcnt(1)
	v_add_co_u32_e64 v47, s[8:9], v49, v46
	s_waitcnt lgkmcnt(0)
	v_addc_co_u32_e64 v48, s[8:9], v48, v30, s[8:9]
	v_cmp_gt_u32_e64 s[8:9], v43, v21
	v_cndmask_b32_e64 v31, v47, v31, s[8:9]
	v_cndmask_b32_e64 v30, v48, v30, s[8:9]
	ds_bpermute_b32 v31, v44, v31
	ds_bpermute_b32 v48, v44, v30
	v_cndmask_b32_e64 v46, v47, v46, s[8:9]
	v_cmp_le_u32_e64 s[8:9], v45, v21
	s_waitcnt lgkmcnt(1)
	v_cndmask_b32_e64 v31, 0, v31, s[8:9]
	s_waitcnt lgkmcnt(0)
	v_cndmask_b32_e64 v21, 0, v48, s[8:9]
	v_add_co_u32_e64 v31, s[8:9], v31, v46
	v_addc_co_u32_e64 v21, s[8:9], v21, v30, s[8:9]
	v_cndmask_b32_e32 v18, v18, v31, vcc
	v_cndmask_b32_e32 v19, v19, v21, vcc
	v_add_co_u32_e32 v18, vcc, v18, v28
	v_addc_co_u32_e32 v19, vcc, v19, v29, vcc
.LBB5656_34:                            ; =>This Loop Header: Depth=1
                                        ;     Child Loop BB5656_37 Depth 2
	v_cmp_ne_u16_sdwa s[8:9], v20, v1 src0_sel:BYTE_0 src1_sel:DWORD
	v_cndmask_b32_e64 v20, 0, 1, s[8:9]
	;;#ASMSTART
	;;#ASMEND
	v_cmp_ne_u32_e32 vcc, 0, v20
	s_cmp_lg_u64 vcc, exec
	v_pk_mov_b32 v[28:29], v[18:19], v[18:19] op_sel:[0,1]
	s_cbranch_scc1 .LBB5656_39
; %bb.35:                               ;   in Loop: Header=BB5656_34 Depth=1
	v_lshlrev_b64 v[18:19], 4, v[24:25]
	v_mov_b32_e32 v20, s17
	v_add_co_u32_e32 v30, vcc, s16, v18
	v_addc_co_u32_e32 v31, vcc, v20, v19, vcc
	;;#ASMSTART
	global_load_dwordx4 v[18:21], v[30:31] off glc	
s_waitcnt vmcnt(0)
	;;#ASMEND
	v_and_b32_e32 v21, 0xff, v19
	v_and_b32_e32 v46, 0xff00, v19
	v_or3_b32 v21, 0, v21, v46
	v_or3_b32 v18, v18, 0, 0
	v_and_b32_e32 v46, 0xff000000, v19
	v_and_b32_e32 v19, 0xff0000, v19
	v_or3_b32 v19, v21, v19, v46
	v_or3_b32 v18, v18, 0, 0
	v_cmp_eq_u16_sdwa s[10:11], v20, v25 src0_sel:BYTE_0 src1_sel:DWORD
	s_and_saveexec_b64 s[8:9], s[10:11]
	s_cbranch_execz .LBB5656_33
; %bb.36:                               ;   in Loop: Header=BB5656_34 Depth=1
	s_mov_b64 s[10:11], 0
.LBB5656_37:                            ;   Parent Loop BB5656_34 Depth=1
                                        ; =>  This Inner Loop Header: Depth=2
	;;#ASMSTART
	global_load_dwordx4 v[18:21], v[30:31] off glc	
s_waitcnt vmcnt(0)
	;;#ASMEND
	v_cmp_ne_u16_sdwa s[24:25], v20, v25 src0_sel:BYTE_0 src1_sel:DWORD
	s_or_b64 s[10:11], s[24:25], s[10:11]
	s_andn2_b64 exec, exec, s[10:11]
	s_cbranch_execnz .LBB5656_37
; %bb.38:                               ;   in Loop: Header=BB5656_34 Depth=1
	s_or_b64 exec, exec, s[10:11]
	s_branch .LBB5656_33
.LBB5656_39:                            ;   in Loop: Header=BB5656_34 Depth=1
                                        ; implicit-def: $vgpr18_vgpr19
                                        ; implicit-def: $vgpr20
	s_cbranch_execz .LBB5656_34
; %bb.40:
	s_and_saveexec_b64 s[8:9], s[2:3]
	s_cbranch_execz .LBB5656_42
; %bb.41:
	s_add_i32 s2, s6, 64
	s_mov_b32 s3, 0
	s_lshl_b64 s[2:3], s[2:3], 4
	s_add_u32 s2, s16, s2
	v_add_co_u32_e32 v14, vcc, v28, v14
	s_addc_u32 s3, s17, s3
	v_addc_co_u32_e32 v15, vcc, v29, v15, vcc
	v_mov_b32_e32 v16, 2
	v_mov_b32_e32 v17, 0
	v_pk_mov_b32 v[18:19], s[2:3], s[2:3] op_sel:[0,1]
	;;#ASMSTART
	global_store_dwordx4 v[18:19], v[14:17] off	
s_waitcnt vmcnt(0)
	;;#ASMEND
.LBB5656_42:
	s_or_b64 exec, exec, s[8:9]
	s_and_b64 exec, exec, s[0:1]
	s_cbranch_execz .LBB5656_44
; %bb.43:
	v_mov_b32_e32 v1, 0
	ds_write_b64 v1, v[28:29]
.LBB5656_44:
	s_or_b64 exec, exec, s[18:19]
	v_mov_b32_e32 v1, 0
	s_waitcnt lgkmcnt(0)
	s_barrier
	ds_read_b64 v[14:15], v1
	s_waitcnt lgkmcnt(0)
	v_add_co_u32_e32 v14, vcc, v14, v22
	v_addc_co_u32_e32 v15, vcc, v15, v23, vcc
	v_add_co_u32_e32 v28, vcc, v14, v10
	v_addc_co_u32_e32 v29, vcc, v15, v11, vcc
	;; [unrolled: 2-line block ×7, first 2 shown]
	s_load_dwordx8 s[0:7], s[4:5], 0x48
	s_branch .LBB5656_57
.LBB5656_45:
                                        ; implicit-def: $vgpr34_vgpr35
                                        ; implicit-def: $vgpr32_vgpr33
                                        ; implicit-def: $vgpr30_vgpr31
                                        ; implicit-def: $vgpr28_vgpr29
                                        ; implicit-def: $vgpr22_vgpr23_vgpr24_vgpr25
                                        ; implicit-def: $vgpr18_vgpr19_vgpr20_vgpr21
                                        ; implicit-def: $vgpr14_vgpr15_vgpr16_vgpr17
	s_load_dwordx8 s[0:7], s[4:5], 0x48
	s_cbranch_execz .LBB5656_57
; %bb.46:
	s_waitcnt lgkmcnt(0)
	s_cmp_eq_u64 s[4:5], 0
	v_pk_mov_b32 v[20:21], s[14:15], s[14:15] op_sel:[0,1]
	s_cbranch_scc1 .LBB5656_48
; %bb.47:
	v_mov_b32_e32 v1, 0
	v_mov_b32_e32 v15, s23
	v_add_co_u32_e64 v14, vcc, -8, s22
	v_addc_co_u32_e32 v15, vcc, -1, v15, vcc
	global_load_dwordx2 v[16:17], v1, s[0:1]
	flat_load_dwordx2 v[18:19], v[14:15]
	s_waitcnt vmcnt(0) lgkmcnt(0)
	v_add_co_u32_e32 v20, vcc, v16, v18
	v_addc_co_u32_e32 v21, vcc, v17, v19, vcc
.LBB5656_48:
	v_add_co_u32_e32 v1, vcc, v12, v10
	v_addc_co_u32_e32 v14, vcc, v13, v11, vcc
	v_add_co_u32_e32 v1, vcc, v1, v6
	v_addc_co_u32_e32 v14, vcc, v14, v7, vcc
	;; [unrolled: 2-line block ×6, first 2 shown]
	v_add_lshl_u32 v1, v37, v0, 3
	v_cmp_gt_u32_e32 vcc, 64, v0
	ds_write_b64 v1, v[18:19]
	s_waitcnt lgkmcnt(0)
	s_barrier
	s_and_saveexec_b64 s[4:5], vcc
	s_cbranch_execz .LBB5656_52
; %bb.49:
	v_lshlrev_b32_e32 v1, 1, v0
	v_lshrrev_b32_e32 v14, 4, v0
	v_add_lshl_u32 v22, v14, v1, 3
	ds_read2_b64 v[14:17], v22 offset1:1
	v_mbcnt_lo_u32_b32 v1, -1, 0
	s_waitcnt lgkmcnt(0)
	v_add_co_u32_e32 v23, vcc, v16, v14
	v_addc_co_u32_e32 v24, vcc, v17, v15, vcc
	s_nop 0
	v_mov_b32_dpp v16, v23 row_shr:1 row_mask:0xf bank_mask:0xf
	v_add_co_u32_e32 v16, vcc, v23, v16
	v_addc_co_u32_e32 v26, vcc, 0, v24, vcc
	v_mbcnt_hi_u32_b32 v17, -1, v1
	v_mov_b32_dpp v25, v24 row_shr:1 row_mask:0xf bank_mask:0xf
	v_add_co_u32_e32 v27, vcc, 0, v16
	v_and_b32_e32 v1, 15, v17
	v_addc_co_u32_e32 v25, vcc, v25, v26, vcc
	v_cmp_eq_u32_e32 vcc, 0, v1
	v_cndmask_b32_e32 v16, v16, v23, vcc
	v_cndmask_b32_e32 v25, v25, v24, vcc
	v_cndmask_b32_e32 v26, v27, v23, vcc
	v_mov_b32_dpp v27, v16 row_shr:2 row_mask:0xf bank_mask:0xf
	v_mov_b32_dpp v28, v25 row_shr:2 row_mask:0xf bank_mask:0xf
	v_add_co_u32_e32 v27, vcc, v27, v26
	v_addc_co_u32_e32 v28, vcc, v28, v25, vcc
	v_cmp_lt_u32_e32 vcc, 1, v1
	v_cndmask_b32_e32 v16, v16, v27, vcc
	v_cndmask_b32_e32 v25, v25, v28, vcc
	v_cndmask_b32_e32 v26, v26, v27, vcc
	v_mov_b32_dpp v27, v16 row_shr:4 row_mask:0xf bank_mask:0xf
	v_mov_b32_dpp v28, v25 row_shr:4 row_mask:0xf bank_mask:0xf
	v_add_co_u32_e32 v27, vcc, v27, v26
	v_addc_co_u32_e32 v28, vcc, v28, v25, vcc
	v_cmp_lt_u32_e32 vcc, 3, v1
	;; [unrolled: 8-line block ×3, first 2 shown]
	v_cndmask_b32_e32 v29, v16, v27, vcc
	v_cndmask_b32_e32 v1, v25, v28, vcc
	;; [unrolled: 1-line block ×3, first 2 shown]
	v_mov_b32_dpp v25, v29 row_bcast:15 row_mask:0xf bank_mask:0xf
	v_mov_b32_dpp v26, v1 row_bcast:15 row_mask:0xf bank_mask:0xf
	v_add_co_u32_e32 v25, vcc, v25, v16
	v_and_b32_e32 v28, 16, v17
	v_addc_co_u32_e32 v27, vcc, v26, v1, vcc
	v_cmp_eq_u32_e32 vcc, 0, v28
	v_cndmask_b32_e32 v28, v27, v1, vcc
	v_cndmask_b32_e32 v26, v25, v29, vcc
	v_cmp_ne_u32_e64 s[0:1], 0, v17
	v_mov_b32_dpp v28, v28 row_bcast:31 row_mask:0xf bank_mask:0xf
	v_mov_b32_dpp v26, v26 row_bcast:31 row_mask:0xf bank_mask:0xf
	s_and_saveexec_b64 s[8:9], s[0:1]
; %bb.50:
	v_cndmask_b32_e32 v1, v27, v1, vcc
	v_cndmask_b32_e32 v16, v25, v16, vcc
	v_cmp_lt_u32_e32 vcc, 31, v17
	v_cndmask_b32_e32 v23, 0, v26, vcc
	v_cndmask_b32_e32 v24, 0, v28, vcc
	v_add_co_u32_e32 v23, vcc, v23, v16
	v_addc_co_u32_e32 v24, vcc, v24, v1, vcc
; %bb.51:
	s_or_b64 exec, exec, s[8:9]
	v_add_u32_e32 v1, -1, v17
	v_and_b32_e32 v16, 64, v17
	v_cmp_lt_i32_e32 vcc, v1, v16
	v_cndmask_b32_e32 v1, v1, v17, vcc
	v_lshlrev_b32_e32 v1, 2, v1
	ds_bpermute_b32 v16, v1, v23
	ds_bpermute_b32 v1, v1, v24
	; wave barrier
	s_waitcnt lgkmcnt(1)
	v_add_co_u32_e32 v14, vcc, v14, v16
	v_addc_co_u32_e32 v15, vcc, 0, v15, vcc
	v_add_co_u32_e32 v14, vcc, 0, v14
	s_waitcnt lgkmcnt(0)
	v_addc_co_u32_e32 v1, vcc, v15, v1, vcc
	v_cmp_eq_u32_e32 vcc, 0, v0
	v_cndmask_b32_e32 v15, v1, v19, vcc
	v_cndmask_b32_e32 v14, v14, v18, vcc
	ds_write_b64 v22, v[14:15]
	; wave barrier
	ds_read_b64 v[16:17], v22 offset:8
	s_waitcnt lgkmcnt(0)
	v_add_co_u32_e32 v14, vcc, v16, v14
	v_addc_co_u32_e32 v15, vcc, v17, v15, vcc
	ds_write_b64 v22, v[14:15] offset:8
.LBB5656_52:
	s_or_b64 exec, exec, s[4:5]
	v_cmp_eq_u32_e32 vcc, 0, v0
	v_cmp_ne_u32_e64 s[0:1], 0, v0
	v_pk_mov_b32 v[14:15], v[20:21], v[20:21] op_sel:[0,1]
	s_waitcnt lgkmcnt(0)
	s_barrier
	s_and_saveexec_b64 s[4:5], s[0:1]
	s_cbranch_execz .LBB5656_54
; %bb.53:
	v_add_u32_e32 v1, -1, v0
	v_lshrrev_b32_e32 v14, 5, v1
	v_add_lshl_u32 v1, v14, v1, 3
	ds_read_b64 v[14:15], v1
	s_waitcnt lgkmcnt(0)
	v_add_co_u32_e64 v14, s[0:1], v14, v20
	v_addc_co_u32_e64 v15, s[0:1], v15, v21, s[0:1]
.LBB5656_54:
	s_or_b64 exec, exec, s[4:5]
	v_add_co_u32_e64 v28, s[0:1], v14, v10
	v_addc_co_u32_e64 v29, s[0:1], v15, v11, s[0:1]
	v_add_co_u32_e64 v18, s[0:1], v28, v12
	v_addc_co_u32_e64 v19, s[0:1], v29, v13, s[0:1]
	;; [unrolled: 2-line block ×6, first 2 shown]
	s_and_saveexec_b64 s[0:1], vcc
	s_cbranch_execz .LBB5656_56
; %bb.55:
	v_mov_b32_e32 v5, 0
	ds_read_b64 v[2:3], v5 offset:1040
	s_add_u32 s4, s16, 0x400
	s_addc_u32 s5, s17, 0
	v_mov_b32_e32 v4, 2
	v_pk_mov_b32 v[6:7], s[4:5], s[4:5] op_sel:[0,1]
	s_waitcnt lgkmcnt(0)
	v_add_co_u32_e32 v2, vcc, v2, v20
	v_addc_co_u32_e32 v3, vcc, v3, v21, vcc
	;;#ASMSTART
	global_store_dwordx4 v[6:7], v[2:5] off	
s_waitcnt vmcnt(0)
	;;#ASMEND
.LBB5656_56:
	s_or_b64 exec, exec, s[0:1]
.LBB5656_57:
	v_mul_u32_u24_e32 v2, 56, v0
	s_waitcnt lgkmcnt(0)
	s_mov_b64 s[0:1], -1
	s_and_b64 vcc, exec, s[12:13]
	s_barrier
	ds_write2_b64 v2, v[14:15], v[28:29] offset1:1
	ds_write2_b64 v2, v[18:19], v[30:31] offset0:2 offset1:3
	ds_write2_b64 v2, v[22:23], v[32:33] offset0:4 offset1:5
	ds_write_b64 v2, v[34:35] offset:48
	s_waitcnt lgkmcnt(0)
	s_cbranch_vccz .LBB5656_59
; %bb.58:
	s_barrier
	s_mov_b64 s[0:1], 0
.LBB5656_59:
	s_andn2_b64 vcc, exec, s[0:1]
	s_cbranch_vccnz .LBB5656_84
; %bb.60:
	v_cmp_lt_u64_e64 s[0:1], s[6:7], 2
	s_and_b64 vcc, exec, s[0:1]
	s_barrier
	s_cbranch_vccnz .LBB5656_84
; %bb.61:
	s_add_u32 s0, s20, -1
	s_addc_u32 s1, s21, -1
	s_add_u32 s4, 0, 0x92481000
	s_addc_u32 s5, 0, 0x64
	s_add_i32 s5, s5, 0x249248c0
	s_mul_hi_u32 s9, s4, -7
	s_sub_i32 s9, s9, s4
	s_mul_i32 s10, s5, -7
	s_mul_i32 s6, s4, -7
	s_add_i32 s9, s9, s10
	s_mul_hi_u32 s7, s5, s6
	s_mul_i32 s8, s5, s6
	s_mul_i32 s11, s4, s9
	s_mul_hi_u32 s6, s4, s6
	s_mul_hi_u32 s10, s4, s9
	s_add_u32 s6, s6, s11
	s_addc_u32 s10, 0, s10
	s_add_u32 s6, s6, s8
	s_mul_hi_u32 s11, s5, s9
	s_addc_u32 s6, s10, s7
	s_addc_u32 s7, s11, 0
	s_mul_i32 s8, s5, s9
	s_add_u32 s6, s6, s8
	v_mov_b32_e32 v3, s6
	s_addc_u32 s7, 0, s7
	v_add_co_u32_e32 v3, vcc, s4, v3
	s_cmp_lg_u64 vcc, 0
	s_addc_u32 s4, s5, s7
	v_readfirstlane_b32 s7, v3
	s_mul_i32 s6, s0, s4
	s_mul_hi_u32 s8, s0, s7
	s_mul_hi_u32 s5, s0, s4
	s_add_u32 s6, s8, s6
	s_addc_u32 s5, 0, s5
	s_mul_hi_u32 s9, s1, s7
	s_mul_i32 s7, s1, s7
	s_add_u32 s6, s6, s7
	s_mul_hi_u32 s8, s1, s4
	s_addc_u32 s5, s5, s9
	s_addc_u32 s6, s8, 0
	s_mul_i32 s4, s1, s4
	s_add_u32 s4, s5, s4
	s_addc_u32 s5, 0, s6
	s_add_u32 s6, s4, 1
	s_addc_u32 s7, s5, 0
	s_add_u32 s8, s4, 2
	s_mul_i32 s10, s5, 7
	s_mul_hi_u32 s11, s4, 7
	s_addc_u32 s9, s5, 0
	s_add_i32 s11, s11, s10
	s_mul_i32 s10, s4, 7
	v_mov_b32_e32 v3, s10
	v_sub_co_u32_e32 v3, vcc, s0, v3
	s_cmp_lg_u64 vcc, 0
	s_subb_u32 s10, s1, s11
	v_subrev_co_u32_e32 v4, vcc, 7, v3
	s_cmp_lg_u64 vcc, 0
	s_subb_u32 s11, s10, 0
	v_readfirstlane_b32 s12, v4
	s_cmp_gt_u32 s12, 6
	s_cselect_b32 s12, -1, 0
	s_cmp_eq_u32 s11, 0
	s_cselect_b32 s11, s12, -1
	s_cmp_lg_u32 s11, 0
	s_cselect_b32 s6, s8, s6
	v_readfirstlane_b32 s8, v3
	s_cselect_b32 s7, s9, s7
	s_cmp_gt_u32 s8, 6
	s_cselect_b32 s8, -1, 0
	s_cmp_eq_u32 s10, 0
	s_cselect_b32 s8, s8, -1
	s_cmp_lg_u32 s8, 0
	v_mov_b32_e32 v1, 0
	s_cselect_b32 s5, s7, s5
	s_cselect_b32 s4, s6, s4
	v_cmp_eq_u64_e32 vcc, s[4:5], v[0:1]
	s_and_saveexec_b64 s[4:5], vcc
	s_cbranch_execz .LBB5656_84
; %bb.62:
	s_movk_i32 s4, 0xffd0
	v_mad_i32_i24 v2, v0, s4, v2
	v_mul_hi_u32_u24_e32 v1, 7, v0
	v_mov_b32_e32 v3, s1
	v_sub_co_u32_e32 v0, vcc, s0, v36
	v_subb_co_u32_e32 v1, vcc, v3, v1, vcc
	v_cmp_lt_i64_e32 vcc, 3, v[0:1]
	s_and_saveexec_b64 s[0:1], vcc
	s_xor_b64 s[0:1], exec, s[0:1]
	s_cbranch_execz .LBB5656_72
; %bb.63:
	v_cmp_lt_i64_e32 vcc, 4, v[0:1]
	s_and_saveexec_b64 s[4:5], vcc
	s_xor_b64 s[4:5], exec, s[4:5]
	s_cbranch_execz .LBB5656_69
; %bb.64:
	;; [unrolled: 5-line block ×3, first 2 shown]
	ds_read_b64 v[0:1], v2 offset:6144
	v_mov_b32_e32 v2, 0
	s_waitcnt lgkmcnt(0)
	global_store_dwordx2 v2, v[0:1], s[2:3]
                                        ; implicit-def: $vgpr2
.LBB5656_66:
	s_andn2_saveexec_b64 s[6:7], s[6:7]
	s_cbranch_execz .LBB5656_68
; %bb.67:
	ds_read_b64 v[0:1], v2 offset:5120
	v_mov_b32_e32 v2, 0
	s_waitcnt lgkmcnt(0)
	global_store_dwordx2 v2, v[0:1], s[2:3]
.LBB5656_68:
	s_or_b64 exec, exec, s[6:7]
                                        ; implicit-def: $vgpr2
.LBB5656_69:
	s_andn2_saveexec_b64 s[4:5], s[4:5]
	s_cbranch_execz .LBB5656_71
; %bb.70:
	ds_read_b64 v[0:1], v2 offset:4096
	v_mov_b32_e32 v2, 0
	s_waitcnt lgkmcnt(0)
	global_store_dwordx2 v2, v[0:1], s[2:3]
.LBB5656_71:
	s_or_b64 exec, exec, s[4:5]
                                        ; implicit-def: $vgpr0_vgpr1
                                        ; implicit-def: $vgpr2
.LBB5656_72:
	s_andn2_saveexec_b64 s[0:1], s[0:1]
	s_cbranch_execz .LBB5656_84
; %bb.73:
	v_cmp_lt_i64_e32 vcc, 1, v[0:1]
	s_and_saveexec_b64 s[0:1], vcc
	s_xor_b64 s[0:1], exec, s[0:1]
	s_cbranch_execz .LBB5656_79
; %bb.74:
	v_cmp_lt_i64_e32 vcc, 2, v[0:1]
	s_and_saveexec_b64 s[4:5], vcc
	s_xor_b64 s[4:5], exec, s[4:5]
	s_cbranch_execz .LBB5656_76
; %bb.75:
	ds_read_b64 v[0:1], v2 offset:3072
	v_mov_b32_e32 v2, 0
	s_waitcnt lgkmcnt(0)
	global_store_dwordx2 v2, v[0:1], s[2:3]
                                        ; implicit-def: $vgpr2
.LBB5656_76:
	s_andn2_saveexec_b64 s[4:5], s[4:5]
	s_cbranch_execz .LBB5656_78
; %bb.77:
	ds_read_b64 v[0:1], v2 offset:2048
	v_mov_b32_e32 v2, 0
	s_waitcnt lgkmcnt(0)
	global_store_dwordx2 v2, v[0:1], s[2:3]
.LBB5656_78:
	s_or_b64 exec, exec, s[4:5]
                                        ; implicit-def: $vgpr2
                                        ; implicit-def: $vgpr0_vgpr1
.LBB5656_79:
	s_andn2_saveexec_b64 s[0:1], s[0:1]
	s_cbranch_execz .LBB5656_84
; %bb.80:
	v_cmp_ne_u64_e32 vcc, 1, v[0:1]
	s_and_saveexec_b64 s[0:1], vcc
	s_xor_b64 s[0:1], exec, s[0:1]
	s_cbranch_execz .LBB5656_82
; %bb.81:
	ds_read_b64 v[0:1], v2
	v_mov_b32_e32 v2, 0
	s_waitcnt lgkmcnt(0)
	global_store_dwordx2 v2, v[0:1], s[2:3]
                                        ; implicit-def: $vgpr2
.LBB5656_82:
	s_andn2_saveexec_b64 s[0:1], s[0:1]
	s_cbranch_execz .LBB5656_84
; %bb.83:
	ds_read_b64 v[0:1], v2 offset:1024
	v_mov_b32_e32 v2, 0
	s_waitcnt lgkmcnt(0)
	global_store_dwordx2 v2, v[0:1], s[2:3]
.LBB5656_84:
	s_endpgm
	.section	.rodata,"a",@progbits
	.p2align	6, 0x0
	.amdhsa_kernel _ZN7rocprim17ROCPRIM_400000_NS6detail17trampoline_kernelINS0_14default_configENS1_20scan_config_selectorIxEEZZNS1_9scan_implILNS1_25lookback_scan_determinismE0ELb1ELb1ES3_N6thrust23THRUST_200600_302600_NS6detail15normal_iteratorINS9_10device_ptrIxEEEENS9_16discard_iteratorINS9_11use_defaultEEExNS9_4plusIvEExEEDaPvRmT3_T4_T5_mT6_P12ihipStream_tbENKUlT_T0_E_clISt17integral_constantIbLb0EESX_EEDaSS_ST_EUlSS_E_NS1_11comp_targetILNS1_3genE4ELNS1_11target_archE910ELNS1_3gpuE8ELNS1_3repE0EEENS1_30default_config_static_selectorELNS0_4arch9wavefront6targetE1EEEvT1_
		.amdhsa_group_segment_fixed_size 7168
		.amdhsa_private_segment_fixed_size 0
		.amdhsa_kernarg_size 112
		.amdhsa_user_sgpr_count 6
		.amdhsa_user_sgpr_private_segment_buffer 1
		.amdhsa_user_sgpr_dispatch_ptr 0
		.amdhsa_user_sgpr_queue_ptr 0
		.amdhsa_user_sgpr_kernarg_segment_ptr 1
		.amdhsa_user_sgpr_dispatch_id 0
		.amdhsa_user_sgpr_flat_scratch_init 0
		.amdhsa_user_sgpr_kernarg_preload_length 0
		.amdhsa_user_sgpr_kernarg_preload_offset 0
		.amdhsa_user_sgpr_private_segment_size 0
		.amdhsa_uses_dynamic_stack 0
		.amdhsa_system_sgpr_private_segment_wavefront_offset 0
		.amdhsa_system_sgpr_workgroup_id_x 1
		.amdhsa_system_sgpr_workgroup_id_y 0
		.amdhsa_system_sgpr_workgroup_id_z 0
		.amdhsa_system_sgpr_workgroup_info 0
		.amdhsa_system_vgpr_workitem_id 0
		.amdhsa_next_free_vgpr 50
		.amdhsa_next_free_sgpr 26
		.amdhsa_accum_offset 52
		.amdhsa_reserve_vcc 1
		.amdhsa_reserve_flat_scratch 0
		.amdhsa_float_round_mode_32 0
		.amdhsa_float_round_mode_16_64 0
		.amdhsa_float_denorm_mode_32 3
		.amdhsa_float_denorm_mode_16_64 3
		.amdhsa_dx10_clamp 1
		.amdhsa_ieee_mode 1
		.amdhsa_fp16_overflow 0
		.amdhsa_tg_split 0
		.amdhsa_exception_fp_ieee_invalid_op 0
		.amdhsa_exception_fp_denorm_src 0
		.amdhsa_exception_fp_ieee_div_zero 0
		.amdhsa_exception_fp_ieee_overflow 0
		.amdhsa_exception_fp_ieee_underflow 0
		.amdhsa_exception_fp_ieee_inexact 0
		.amdhsa_exception_int_div_zero 0
	.end_amdhsa_kernel
	.section	.text._ZN7rocprim17ROCPRIM_400000_NS6detail17trampoline_kernelINS0_14default_configENS1_20scan_config_selectorIxEEZZNS1_9scan_implILNS1_25lookback_scan_determinismE0ELb1ELb1ES3_N6thrust23THRUST_200600_302600_NS6detail15normal_iteratorINS9_10device_ptrIxEEEENS9_16discard_iteratorINS9_11use_defaultEEExNS9_4plusIvEExEEDaPvRmT3_T4_T5_mT6_P12ihipStream_tbENKUlT_T0_E_clISt17integral_constantIbLb0EESX_EEDaSS_ST_EUlSS_E_NS1_11comp_targetILNS1_3genE4ELNS1_11target_archE910ELNS1_3gpuE8ELNS1_3repE0EEENS1_30default_config_static_selectorELNS0_4arch9wavefront6targetE1EEEvT1_,"axG",@progbits,_ZN7rocprim17ROCPRIM_400000_NS6detail17trampoline_kernelINS0_14default_configENS1_20scan_config_selectorIxEEZZNS1_9scan_implILNS1_25lookback_scan_determinismE0ELb1ELb1ES3_N6thrust23THRUST_200600_302600_NS6detail15normal_iteratorINS9_10device_ptrIxEEEENS9_16discard_iteratorINS9_11use_defaultEEExNS9_4plusIvEExEEDaPvRmT3_T4_T5_mT6_P12ihipStream_tbENKUlT_T0_E_clISt17integral_constantIbLb0EESX_EEDaSS_ST_EUlSS_E_NS1_11comp_targetILNS1_3genE4ELNS1_11target_archE910ELNS1_3gpuE8ELNS1_3repE0EEENS1_30default_config_static_selectorELNS0_4arch9wavefront6targetE1EEEvT1_,comdat
.Lfunc_end5656:
	.size	_ZN7rocprim17ROCPRIM_400000_NS6detail17trampoline_kernelINS0_14default_configENS1_20scan_config_selectorIxEEZZNS1_9scan_implILNS1_25lookback_scan_determinismE0ELb1ELb1ES3_N6thrust23THRUST_200600_302600_NS6detail15normal_iteratorINS9_10device_ptrIxEEEENS9_16discard_iteratorINS9_11use_defaultEEExNS9_4plusIvEExEEDaPvRmT3_T4_T5_mT6_P12ihipStream_tbENKUlT_T0_E_clISt17integral_constantIbLb0EESX_EEDaSS_ST_EUlSS_E_NS1_11comp_targetILNS1_3genE4ELNS1_11target_archE910ELNS1_3gpuE8ELNS1_3repE0EEENS1_30default_config_static_selectorELNS0_4arch9wavefront6targetE1EEEvT1_, .Lfunc_end5656-_ZN7rocprim17ROCPRIM_400000_NS6detail17trampoline_kernelINS0_14default_configENS1_20scan_config_selectorIxEEZZNS1_9scan_implILNS1_25lookback_scan_determinismE0ELb1ELb1ES3_N6thrust23THRUST_200600_302600_NS6detail15normal_iteratorINS9_10device_ptrIxEEEENS9_16discard_iteratorINS9_11use_defaultEEExNS9_4plusIvEExEEDaPvRmT3_T4_T5_mT6_P12ihipStream_tbENKUlT_T0_E_clISt17integral_constantIbLb0EESX_EEDaSS_ST_EUlSS_E_NS1_11comp_targetILNS1_3genE4ELNS1_11target_archE910ELNS1_3gpuE8ELNS1_3repE0EEENS1_30default_config_static_selectorELNS0_4arch9wavefront6targetE1EEEvT1_
                                        ; -- End function
	.section	.AMDGPU.csdata,"",@progbits
; Kernel info:
; codeLenInByte = 5196
; NumSgprs: 30
; NumVgprs: 50
; NumAgprs: 0
; TotalNumVgprs: 50
; ScratchSize: 0
; MemoryBound: 0
; FloatMode: 240
; IeeeMode: 1
; LDSByteSize: 7168 bytes/workgroup (compile time only)
; SGPRBlocks: 3
; VGPRBlocks: 6
; NumSGPRsForWavesPerEU: 30
; NumVGPRsForWavesPerEU: 50
; AccumOffset: 52
; Occupancy: 5
; WaveLimiterHint : 1
; COMPUTE_PGM_RSRC2:SCRATCH_EN: 0
; COMPUTE_PGM_RSRC2:USER_SGPR: 6
; COMPUTE_PGM_RSRC2:TRAP_HANDLER: 0
; COMPUTE_PGM_RSRC2:TGID_X_EN: 1
; COMPUTE_PGM_RSRC2:TGID_Y_EN: 0
; COMPUTE_PGM_RSRC2:TGID_Z_EN: 0
; COMPUTE_PGM_RSRC2:TIDIG_COMP_CNT: 0
; COMPUTE_PGM_RSRC3_GFX90A:ACCUM_OFFSET: 12
; COMPUTE_PGM_RSRC3_GFX90A:TG_SPLIT: 0
	.section	.text._ZN7rocprim17ROCPRIM_400000_NS6detail17trampoline_kernelINS0_14default_configENS1_20scan_config_selectorIxEEZZNS1_9scan_implILNS1_25lookback_scan_determinismE0ELb1ELb1ES3_N6thrust23THRUST_200600_302600_NS6detail15normal_iteratorINS9_10device_ptrIxEEEENS9_16discard_iteratorINS9_11use_defaultEEExNS9_4plusIvEExEEDaPvRmT3_T4_T5_mT6_P12ihipStream_tbENKUlT_T0_E_clISt17integral_constantIbLb0EESX_EEDaSS_ST_EUlSS_E_NS1_11comp_targetILNS1_3genE3ELNS1_11target_archE908ELNS1_3gpuE7ELNS1_3repE0EEENS1_30default_config_static_selectorELNS0_4arch9wavefront6targetE1EEEvT1_,"axG",@progbits,_ZN7rocprim17ROCPRIM_400000_NS6detail17trampoline_kernelINS0_14default_configENS1_20scan_config_selectorIxEEZZNS1_9scan_implILNS1_25lookback_scan_determinismE0ELb1ELb1ES3_N6thrust23THRUST_200600_302600_NS6detail15normal_iteratorINS9_10device_ptrIxEEEENS9_16discard_iteratorINS9_11use_defaultEEExNS9_4plusIvEExEEDaPvRmT3_T4_T5_mT6_P12ihipStream_tbENKUlT_T0_E_clISt17integral_constantIbLb0EESX_EEDaSS_ST_EUlSS_E_NS1_11comp_targetILNS1_3genE3ELNS1_11target_archE908ELNS1_3gpuE7ELNS1_3repE0EEENS1_30default_config_static_selectorELNS0_4arch9wavefront6targetE1EEEvT1_,comdat
	.protected	_ZN7rocprim17ROCPRIM_400000_NS6detail17trampoline_kernelINS0_14default_configENS1_20scan_config_selectorIxEEZZNS1_9scan_implILNS1_25lookback_scan_determinismE0ELb1ELb1ES3_N6thrust23THRUST_200600_302600_NS6detail15normal_iteratorINS9_10device_ptrIxEEEENS9_16discard_iteratorINS9_11use_defaultEEExNS9_4plusIvEExEEDaPvRmT3_T4_T5_mT6_P12ihipStream_tbENKUlT_T0_E_clISt17integral_constantIbLb0EESX_EEDaSS_ST_EUlSS_E_NS1_11comp_targetILNS1_3genE3ELNS1_11target_archE908ELNS1_3gpuE7ELNS1_3repE0EEENS1_30default_config_static_selectorELNS0_4arch9wavefront6targetE1EEEvT1_ ; -- Begin function _ZN7rocprim17ROCPRIM_400000_NS6detail17trampoline_kernelINS0_14default_configENS1_20scan_config_selectorIxEEZZNS1_9scan_implILNS1_25lookback_scan_determinismE0ELb1ELb1ES3_N6thrust23THRUST_200600_302600_NS6detail15normal_iteratorINS9_10device_ptrIxEEEENS9_16discard_iteratorINS9_11use_defaultEEExNS9_4plusIvEExEEDaPvRmT3_T4_T5_mT6_P12ihipStream_tbENKUlT_T0_E_clISt17integral_constantIbLb0EESX_EEDaSS_ST_EUlSS_E_NS1_11comp_targetILNS1_3genE3ELNS1_11target_archE908ELNS1_3gpuE7ELNS1_3repE0EEENS1_30default_config_static_selectorELNS0_4arch9wavefront6targetE1EEEvT1_
	.globl	_ZN7rocprim17ROCPRIM_400000_NS6detail17trampoline_kernelINS0_14default_configENS1_20scan_config_selectorIxEEZZNS1_9scan_implILNS1_25lookback_scan_determinismE0ELb1ELb1ES3_N6thrust23THRUST_200600_302600_NS6detail15normal_iteratorINS9_10device_ptrIxEEEENS9_16discard_iteratorINS9_11use_defaultEEExNS9_4plusIvEExEEDaPvRmT3_T4_T5_mT6_P12ihipStream_tbENKUlT_T0_E_clISt17integral_constantIbLb0EESX_EEDaSS_ST_EUlSS_E_NS1_11comp_targetILNS1_3genE3ELNS1_11target_archE908ELNS1_3gpuE7ELNS1_3repE0EEENS1_30default_config_static_selectorELNS0_4arch9wavefront6targetE1EEEvT1_
	.p2align	8
	.type	_ZN7rocprim17ROCPRIM_400000_NS6detail17trampoline_kernelINS0_14default_configENS1_20scan_config_selectorIxEEZZNS1_9scan_implILNS1_25lookback_scan_determinismE0ELb1ELb1ES3_N6thrust23THRUST_200600_302600_NS6detail15normal_iteratorINS9_10device_ptrIxEEEENS9_16discard_iteratorINS9_11use_defaultEEExNS9_4plusIvEExEEDaPvRmT3_T4_T5_mT6_P12ihipStream_tbENKUlT_T0_E_clISt17integral_constantIbLb0EESX_EEDaSS_ST_EUlSS_E_NS1_11comp_targetILNS1_3genE3ELNS1_11target_archE908ELNS1_3gpuE7ELNS1_3repE0EEENS1_30default_config_static_selectorELNS0_4arch9wavefront6targetE1EEEvT1_,@function
_ZN7rocprim17ROCPRIM_400000_NS6detail17trampoline_kernelINS0_14default_configENS1_20scan_config_selectorIxEEZZNS1_9scan_implILNS1_25lookback_scan_determinismE0ELb1ELb1ES3_N6thrust23THRUST_200600_302600_NS6detail15normal_iteratorINS9_10device_ptrIxEEEENS9_16discard_iteratorINS9_11use_defaultEEExNS9_4plusIvEExEEDaPvRmT3_T4_T5_mT6_P12ihipStream_tbENKUlT_T0_E_clISt17integral_constantIbLb0EESX_EEDaSS_ST_EUlSS_E_NS1_11comp_targetILNS1_3genE3ELNS1_11target_archE908ELNS1_3gpuE7ELNS1_3repE0EEENS1_30default_config_static_selectorELNS0_4arch9wavefront6targetE1EEEvT1_: ; @_ZN7rocprim17ROCPRIM_400000_NS6detail17trampoline_kernelINS0_14default_configENS1_20scan_config_selectorIxEEZZNS1_9scan_implILNS1_25lookback_scan_determinismE0ELb1ELb1ES3_N6thrust23THRUST_200600_302600_NS6detail15normal_iteratorINS9_10device_ptrIxEEEENS9_16discard_iteratorINS9_11use_defaultEEExNS9_4plusIvEExEEDaPvRmT3_T4_T5_mT6_P12ihipStream_tbENKUlT_T0_E_clISt17integral_constantIbLb0EESX_EEDaSS_ST_EUlSS_E_NS1_11comp_targetILNS1_3genE3ELNS1_11target_archE908ELNS1_3gpuE7ELNS1_3repE0EEENS1_30default_config_static_selectorELNS0_4arch9wavefront6targetE1EEEvT1_
; %bb.0:
	.section	.rodata,"a",@progbits
	.p2align	6, 0x0
	.amdhsa_kernel _ZN7rocprim17ROCPRIM_400000_NS6detail17trampoline_kernelINS0_14default_configENS1_20scan_config_selectorIxEEZZNS1_9scan_implILNS1_25lookback_scan_determinismE0ELb1ELb1ES3_N6thrust23THRUST_200600_302600_NS6detail15normal_iteratorINS9_10device_ptrIxEEEENS9_16discard_iteratorINS9_11use_defaultEEExNS9_4plusIvEExEEDaPvRmT3_T4_T5_mT6_P12ihipStream_tbENKUlT_T0_E_clISt17integral_constantIbLb0EESX_EEDaSS_ST_EUlSS_E_NS1_11comp_targetILNS1_3genE3ELNS1_11target_archE908ELNS1_3gpuE7ELNS1_3repE0EEENS1_30default_config_static_selectorELNS0_4arch9wavefront6targetE1EEEvT1_
		.amdhsa_group_segment_fixed_size 0
		.amdhsa_private_segment_fixed_size 0
		.amdhsa_kernarg_size 112
		.amdhsa_user_sgpr_count 6
		.amdhsa_user_sgpr_private_segment_buffer 1
		.amdhsa_user_sgpr_dispatch_ptr 0
		.amdhsa_user_sgpr_queue_ptr 0
		.amdhsa_user_sgpr_kernarg_segment_ptr 1
		.amdhsa_user_sgpr_dispatch_id 0
		.amdhsa_user_sgpr_flat_scratch_init 0
		.amdhsa_user_sgpr_kernarg_preload_length 0
		.amdhsa_user_sgpr_kernarg_preload_offset 0
		.amdhsa_user_sgpr_private_segment_size 0
		.amdhsa_uses_dynamic_stack 0
		.amdhsa_system_sgpr_private_segment_wavefront_offset 0
		.amdhsa_system_sgpr_workgroup_id_x 1
		.amdhsa_system_sgpr_workgroup_id_y 0
		.amdhsa_system_sgpr_workgroup_id_z 0
		.amdhsa_system_sgpr_workgroup_info 0
		.amdhsa_system_vgpr_workitem_id 0
		.amdhsa_next_free_vgpr 1
		.amdhsa_next_free_sgpr 0
		.amdhsa_accum_offset 4
		.amdhsa_reserve_vcc 0
		.amdhsa_reserve_flat_scratch 0
		.amdhsa_float_round_mode_32 0
		.amdhsa_float_round_mode_16_64 0
		.amdhsa_float_denorm_mode_32 3
		.amdhsa_float_denorm_mode_16_64 3
		.amdhsa_dx10_clamp 1
		.amdhsa_ieee_mode 1
		.amdhsa_fp16_overflow 0
		.amdhsa_tg_split 0
		.amdhsa_exception_fp_ieee_invalid_op 0
		.amdhsa_exception_fp_denorm_src 0
		.amdhsa_exception_fp_ieee_div_zero 0
		.amdhsa_exception_fp_ieee_overflow 0
		.amdhsa_exception_fp_ieee_underflow 0
		.amdhsa_exception_fp_ieee_inexact 0
		.amdhsa_exception_int_div_zero 0
	.end_amdhsa_kernel
	.section	.text._ZN7rocprim17ROCPRIM_400000_NS6detail17trampoline_kernelINS0_14default_configENS1_20scan_config_selectorIxEEZZNS1_9scan_implILNS1_25lookback_scan_determinismE0ELb1ELb1ES3_N6thrust23THRUST_200600_302600_NS6detail15normal_iteratorINS9_10device_ptrIxEEEENS9_16discard_iteratorINS9_11use_defaultEEExNS9_4plusIvEExEEDaPvRmT3_T4_T5_mT6_P12ihipStream_tbENKUlT_T0_E_clISt17integral_constantIbLb0EESX_EEDaSS_ST_EUlSS_E_NS1_11comp_targetILNS1_3genE3ELNS1_11target_archE908ELNS1_3gpuE7ELNS1_3repE0EEENS1_30default_config_static_selectorELNS0_4arch9wavefront6targetE1EEEvT1_,"axG",@progbits,_ZN7rocprim17ROCPRIM_400000_NS6detail17trampoline_kernelINS0_14default_configENS1_20scan_config_selectorIxEEZZNS1_9scan_implILNS1_25lookback_scan_determinismE0ELb1ELb1ES3_N6thrust23THRUST_200600_302600_NS6detail15normal_iteratorINS9_10device_ptrIxEEEENS9_16discard_iteratorINS9_11use_defaultEEExNS9_4plusIvEExEEDaPvRmT3_T4_T5_mT6_P12ihipStream_tbENKUlT_T0_E_clISt17integral_constantIbLb0EESX_EEDaSS_ST_EUlSS_E_NS1_11comp_targetILNS1_3genE3ELNS1_11target_archE908ELNS1_3gpuE7ELNS1_3repE0EEENS1_30default_config_static_selectorELNS0_4arch9wavefront6targetE1EEEvT1_,comdat
.Lfunc_end5657:
	.size	_ZN7rocprim17ROCPRIM_400000_NS6detail17trampoline_kernelINS0_14default_configENS1_20scan_config_selectorIxEEZZNS1_9scan_implILNS1_25lookback_scan_determinismE0ELb1ELb1ES3_N6thrust23THRUST_200600_302600_NS6detail15normal_iteratorINS9_10device_ptrIxEEEENS9_16discard_iteratorINS9_11use_defaultEEExNS9_4plusIvEExEEDaPvRmT3_T4_T5_mT6_P12ihipStream_tbENKUlT_T0_E_clISt17integral_constantIbLb0EESX_EEDaSS_ST_EUlSS_E_NS1_11comp_targetILNS1_3genE3ELNS1_11target_archE908ELNS1_3gpuE7ELNS1_3repE0EEENS1_30default_config_static_selectorELNS0_4arch9wavefront6targetE1EEEvT1_, .Lfunc_end5657-_ZN7rocprim17ROCPRIM_400000_NS6detail17trampoline_kernelINS0_14default_configENS1_20scan_config_selectorIxEEZZNS1_9scan_implILNS1_25lookback_scan_determinismE0ELb1ELb1ES3_N6thrust23THRUST_200600_302600_NS6detail15normal_iteratorINS9_10device_ptrIxEEEENS9_16discard_iteratorINS9_11use_defaultEEExNS9_4plusIvEExEEDaPvRmT3_T4_T5_mT6_P12ihipStream_tbENKUlT_T0_E_clISt17integral_constantIbLb0EESX_EEDaSS_ST_EUlSS_E_NS1_11comp_targetILNS1_3genE3ELNS1_11target_archE908ELNS1_3gpuE7ELNS1_3repE0EEENS1_30default_config_static_selectorELNS0_4arch9wavefront6targetE1EEEvT1_
                                        ; -- End function
	.section	.AMDGPU.csdata,"",@progbits
; Kernel info:
; codeLenInByte = 0
; NumSgprs: 4
; NumVgprs: 0
; NumAgprs: 0
; TotalNumVgprs: 0
; ScratchSize: 0
; MemoryBound: 0
; FloatMode: 240
; IeeeMode: 1
; LDSByteSize: 0 bytes/workgroup (compile time only)
; SGPRBlocks: 0
; VGPRBlocks: 0
; NumSGPRsForWavesPerEU: 4
; NumVGPRsForWavesPerEU: 1
; AccumOffset: 4
; Occupancy: 8
; WaveLimiterHint : 0
; COMPUTE_PGM_RSRC2:SCRATCH_EN: 0
; COMPUTE_PGM_RSRC2:USER_SGPR: 6
; COMPUTE_PGM_RSRC2:TRAP_HANDLER: 0
; COMPUTE_PGM_RSRC2:TGID_X_EN: 1
; COMPUTE_PGM_RSRC2:TGID_Y_EN: 0
; COMPUTE_PGM_RSRC2:TGID_Z_EN: 0
; COMPUTE_PGM_RSRC2:TIDIG_COMP_CNT: 0
; COMPUTE_PGM_RSRC3_GFX90A:ACCUM_OFFSET: 0
; COMPUTE_PGM_RSRC3_GFX90A:TG_SPLIT: 0
	.section	.text._ZN7rocprim17ROCPRIM_400000_NS6detail17trampoline_kernelINS0_14default_configENS1_20scan_config_selectorIxEEZZNS1_9scan_implILNS1_25lookback_scan_determinismE0ELb1ELb1ES3_N6thrust23THRUST_200600_302600_NS6detail15normal_iteratorINS9_10device_ptrIxEEEENS9_16discard_iteratorINS9_11use_defaultEEExNS9_4plusIvEExEEDaPvRmT3_T4_T5_mT6_P12ihipStream_tbENKUlT_T0_E_clISt17integral_constantIbLb0EESX_EEDaSS_ST_EUlSS_E_NS1_11comp_targetILNS1_3genE2ELNS1_11target_archE906ELNS1_3gpuE6ELNS1_3repE0EEENS1_30default_config_static_selectorELNS0_4arch9wavefront6targetE1EEEvT1_,"axG",@progbits,_ZN7rocprim17ROCPRIM_400000_NS6detail17trampoline_kernelINS0_14default_configENS1_20scan_config_selectorIxEEZZNS1_9scan_implILNS1_25lookback_scan_determinismE0ELb1ELb1ES3_N6thrust23THRUST_200600_302600_NS6detail15normal_iteratorINS9_10device_ptrIxEEEENS9_16discard_iteratorINS9_11use_defaultEEExNS9_4plusIvEExEEDaPvRmT3_T4_T5_mT6_P12ihipStream_tbENKUlT_T0_E_clISt17integral_constantIbLb0EESX_EEDaSS_ST_EUlSS_E_NS1_11comp_targetILNS1_3genE2ELNS1_11target_archE906ELNS1_3gpuE6ELNS1_3repE0EEENS1_30default_config_static_selectorELNS0_4arch9wavefront6targetE1EEEvT1_,comdat
	.protected	_ZN7rocprim17ROCPRIM_400000_NS6detail17trampoline_kernelINS0_14default_configENS1_20scan_config_selectorIxEEZZNS1_9scan_implILNS1_25lookback_scan_determinismE0ELb1ELb1ES3_N6thrust23THRUST_200600_302600_NS6detail15normal_iteratorINS9_10device_ptrIxEEEENS9_16discard_iteratorINS9_11use_defaultEEExNS9_4plusIvEExEEDaPvRmT3_T4_T5_mT6_P12ihipStream_tbENKUlT_T0_E_clISt17integral_constantIbLb0EESX_EEDaSS_ST_EUlSS_E_NS1_11comp_targetILNS1_3genE2ELNS1_11target_archE906ELNS1_3gpuE6ELNS1_3repE0EEENS1_30default_config_static_selectorELNS0_4arch9wavefront6targetE1EEEvT1_ ; -- Begin function _ZN7rocprim17ROCPRIM_400000_NS6detail17trampoline_kernelINS0_14default_configENS1_20scan_config_selectorIxEEZZNS1_9scan_implILNS1_25lookback_scan_determinismE0ELb1ELb1ES3_N6thrust23THRUST_200600_302600_NS6detail15normal_iteratorINS9_10device_ptrIxEEEENS9_16discard_iteratorINS9_11use_defaultEEExNS9_4plusIvEExEEDaPvRmT3_T4_T5_mT6_P12ihipStream_tbENKUlT_T0_E_clISt17integral_constantIbLb0EESX_EEDaSS_ST_EUlSS_E_NS1_11comp_targetILNS1_3genE2ELNS1_11target_archE906ELNS1_3gpuE6ELNS1_3repE0EEENS1_30default_config_static_selectorELNS0_4arch9wavefront6targetE1EEEvT1_
	.globl	_ZN7rocprim17ROCPRIM_400000_NS6detail17trampoline_kernelINS0_14default_configENS1_20scan_config_selectorIxEEZZNS1_9scan_implILNS1_25lookback_scan_determinismE0ELb1ELb1ES3_N6thrust23THRUST_200600_302600_NS6detail15normal_iteratorINS9_10device_ptrIxEEEENS9_16discard_iteratorINS9_11use_defaultEEExNS9_4plusIvEExEEDaPvRmT3_T4_T5_mT6_P12ihipStream_tbENKUlT_T0_E_clISt17integral_constantIbLb0EESX_EEDaSS_ST_EUlSS_E_NS1_11comp_targetILNS1_3genE2ELNS1_11target_archE906ELNS1_3gpuE6ELNS1_3repE0EEENS1_30default_config_static_selectorELNS0_4arch9wavefront6targetE1EEEvT1_
	.p2align	8
	.type	_ZN7rocprim17ROCPRIM_400000_NS6detail17trampoline_kernelINS0_14default_configENS1_20scan_config_selectorIxEEZZNS1_9scan_implILNS1_25lookback_scan_determinismE0ELb1ELb1ES3_N6thrust23THRUST_200600_302600_NS6detail15normal_iteratorINS9_10device_ptrIxEEEENS9_16discard_iteratorINS9_11use_defaultEEExNS9_4plusIvEExEEDaPvRmT3_T4_T5_mT6_P12ihipStream_tbENKUlT_T0_E_clISt17integral_constantIbLb0EESX_EEDaSS_ST_EUlSS_E_NS1_11comp_targetILNS1_3genE2ELNS1_11target_archE906ELNS1_3gpuE6ELNS1_3repE0EEENS1_30default_config_static_selectorELNS0_4arch9wavefront6targetE1EEEvT1_,@function
_ZN7rocprim17ROCPRIM_400000_NS6detail17trampoline_kernelINS0_14default_configENS1_20scan_config_selectorIxEEZZNS1_9scan_implILNS1_25lookback_scan_determinismE0ELb1ELb1ES3_N6thrust23THRUST_200600_302600_NS6detail15normal_iteratorINS9_10device_ptrIxEEEENS9_16discard_iteratorINS9_11use_defaultEEExNS9_4plusIvEExEEDaPvRmT3_T4_T5_mT6_P12ihipStream_tbENKUlT_T0_E_clISt17integral_constantIbLb0EESX_EEDaSS_ST_EUlSS_E_NS1_11comp_targetILNS1_3genE2ELNS1_11target_archE906ELNS1_3gpuE6ELNS1_3repE0EEENS1_30default_config_static_selectorELNS0_4arch9wavefront6targetE1EEEvT1_: ; @_ZN7rocprim17ROCPRIM_400000_NS6detail17trampoline_kernelINS0_14default_configENS1_20scan_config_selectorIxEEZZNS1_9scan_implILNS1_25lookback_scan_determinismE0ELb1ELb1ES3_N6thrust23THRUST_200600_302600_NS6detail15normal_iteratorINS9_10device_ptrIxEEEENS9_16discard_iteratorINS9_11use_defaultEEExNS9_4plusIvEExEEDaPvRmT3_T4_T5_mT6_P12ihipStream_tbENKUlT_T0_E_clISt17integral_constantIbLb0EESX_EEDaSS_ST_EUlSS_E_NS1_11comp_targetILNS1_3genE2ELNS1_11target_archE906ELNS1_3gpuE6ELNS1_3repE0EEENS1_30default_config_static_selectorELNS0_4arch9wavefront6targetE1EEEvT1_
; %bb.0:
	.section	.rodata,"a",@progbits
	.p2align	6, 0x0
	.amdhsa_kernel _ZN7rocprim17ROCPRIM_400000_NS6detail17trampoline_kernelINS0_14default_configENS1_20scan_config_selectorIxEEZZNS1_9scan_implILNS1_25lookback_scan_determinismE0ELb1ELb1ES3_N6thrust23THRUST_200600_302600_NS6detail15normal_iteratorINS9_10device_ptrIxEEEENS9_16discard_iteratorINS9_11use_defaultEEExNS9_4plusIvEExEEDaPvRmT3_T4_T5_mT6_P12ihipStream_tbENKUlT_T0_E_clISt17integral_constantIbLb0EESX_EEDaSS_ST_EUlSS_E_NS1_11comp_targetILNS1_3genE2ELNS1_11target_archE906ELNS1_3gpuE6ELNS1_3repE0EEENS1_30default_config_static_selectorELNS0_4arch9wavefront6targetE1EEEvT1_
		.amdhsa_group_segment_fixed_size 0
		.amdhsa_private_segment_fixed_size 0
		.amdhsa_kernarg_size 112
		.amdhsa_user_sgpr_count 6
		.amdhsa_user_sgpr_private_segment_buffer 1
		.amdhsa_user_sgpr_dispatch_ptr 0
		.amdhsa_user_sgpr_queue_ptr 0
		.amdhsa_user_sgpr_kernarg_segment_ptr 1
		.amdhsa_user_sgpr_dispatch_id 0
		.amdhsa_user_sgpr_flat_scratch_init 0
		.amdhsa_user_sgpr_kernarg_preload_length 0
		.amdhsa_user_sgpr_kernarg_preload_offset 0
		.amdhsa_user_sgpr_private_segment_size 0
		.amdhsa_uses_dynamic_stack 0
		.amdhsa_system_sgpr_private_segment_wavefront_offset 0
		.amdhsa_system_sgpr_workgroup_id_x 1
		.amdhsa_system_sgpr_workgroup_id_y 0
		.amdhsa_system_sgpr_workgroup_id_z 0
		.amdhsa_system_sgpr_workgroup_info 0
		.amdhsa_system_vgpr_workitem_id 0
		.amdhsa_next_free_vgpr 1
		.amdhsa_next_free_sgpr 0
		.amdhsa_accum_offset 4
		.amdhsa_reserve_vcc 0
		.amdhsa_reserve_flat_scratch 0
		.amdhsa_float_round_mode_32 0
		.amdhsa_float_round_mode_16_64 0
		.amdhsa_float_denorm_mode_32 3
		.amdhsa_float_denorm_mode_16_64 3
		.amdhsa_dx10_clamp 1
		.amdhsa_ieee_mode 1
		.amdhsa_fp16_overflow 0
		.amdhsa_tg_split 0
		.amdhsa_exception_fp_ieee_invalid_op 0
		.amdhsa_exception_fp_denorm_src 0
		.amdhsa_exception_fp_ieee_div_zero 0
		.amdhsa_exception_fp_ieee_overflow 0
		.amdhsa_exception_fp_ieee_underflow 0
		.amdhsa_exception_fp_ieee_inexact 0
		.amdhsa_exception_int_div_zero 0
	.end_amdhsa_kernel
	.section	.text._ZN7rocprim17ROCPRIM_400000_NS6detail17trampoline_kernelINS0_14default_configENS1_20scan_config_selectorIxEEZZNS1_9scan_implILNS1_25lookback_scan_determinismE0ELb1ELb1ES3_N6thrust23THRUST_200600_302600_NS6detail15normal_iteratorINS9_10device_ptrIxEEEENS9_16discard_iteratorINS9_11use_defaultEEExNS9_4plusIvEExEEDaPvRmT3_T4_T5_mT6_P12ihipStream_tbENKUlT_T0_E_clISt17integral_constantIbLb0EESX_EEDaSS_ST_EUlSS_E_NS1_11comp_targetILNS1_3genE2ELNS1_11target_archE906ELNS1_3gpuE6ELNS1_3repE0EEENS1_30default_config_static_selectorELNS0_4arch9wavefront6targetE1EEEvT1_,"axG",@progbits,_ZN7rocprim17ROCPRIM_400000_NS6detail17trampoline_kernelINS0_14default_configENS1_20scan_config_selectorIxEEZZNS1_9scan_implILNS1_25lookback_scan_determinismE0ELb1ELb1ES3_N6thrust23THRUST_200600_302600_NS6detail15normal_iteratorINS9_10device_ptrIxEEEENS9_16discard_iteratorINS9_11use_defaultEEExNS9_4plusIvEExEEDaPvRmT3_T4_T5_mT6_P12ihipStream_tbENKUlT_T0_E_clISt17integral_constantIbLb0EESX_EEDaSS_ST_EUlSS_E_NS1_11comp_targetILNS1_3genE2ELNS1_11target_archE906ELNS1_3gpuE6ELNS1_3repE0EEENS1_30default_config_static_selectorELNS0_4arch9wavefront6targetE1EEEvT1_,comdat
.Lfunc_end5658:
	.size	_ZN7rocprim17ROCPRIM_400000_NS6detail17trampoline_kernelINS0_14default_configENS1_20scan_config_selectorIxEEZZNS1_9scan_implILNS1_25lookback_scan_determinismE0ELb1ELb1ES3_N6thrust23THRUST_200600_302600_NS6detail15normal_iteratorINS9_10device_ptrIxEEEENS9_16discard_iteratorINS9_11use_defaultEEExNS9_4plusIvEExEEDaPvRmT3_T4_T5_mT6_P12ihipStream_tbENKUlT_T0_E_clISt17integral_constantIbLb0EESX_EEDaSS_ST_EUlSS_E_NS1_11comp_targetILNS1_3genE2ELNS1_11target_archE906ELNS1_3gpuE6ELNS1_3repE0EEENS1_30default_config_static_selectorELNS0_4arch9wavefront6targetE1EEEvT1_, .Lfunc_end5658-_ZN7rocprim17ROCPRIM_400000_NS6detail17trampoline_kernelINS0_14default_configENS1_20scan_config_selectorIxEEZZNS1_9scan_implILNS1_25lookback_scan_determinismE0ELb1ELb1ES3_N6thrust23THRUST_200600_302600_NS6detail15normal_iteratorINS9_10device_ptrIxEEEENS9_16discard_iteratorINS9_11use_defaultEEExNS9_4plusIvEExEEDaPvRmT3_T4_T5_mT6_P12ihipStream_tbENKUlT_T0_E_clISt17integral_constantIbLb0EESX_EEDaSS_ST_EUlSS_E_NS1_11comp_targetILNS1_3genE2ELNS1_11target_archE906ELNS1_3gpuE6ELNS1_3repE0EEENS1_30default_config_static_selectorELNS0_4arch9wavefront6targetE1EEEvT1_
                                        ; -- End function
	.section	.AMDGPU.csdata,"",@progbits
; Kernel info:
; codeLenInByte = 0
; NumSgprs: 4
; NumVgprs: 0
; NumAgprs: 0
; TotalNumVgprs: 0
; ScratchSize: 0
; MemoryBound: 0
; FloatMode: 240
; IeeeMode: 1
; LDSByteSize: 0 bytes/workgroup (compile time only)
; SGPRBlocks: 0
; VGPRBlocks: 0
; NumSGPRsForWavesPerEU: 4
; NumVGPRsForWavesPerEU: 1
; AccumOffset: 4
; Occupancy: 8
; WaveLimiterHint : 0
; COMPUTE_PGM_RSRC2:SCRATCH_EN: 0
; COMPUTE_PGM_RSRC2:USER_SGPR: 6
; COMPUTE_PGM_RSRC2:TRAP_HANDLER: 0
; COMPUTE_PGM_RSRC2:TGID_X_EN: 1
; COMPUTE_PGM_RSRC2:TGID_Y_EN: 0
; COMPUTE_PGM_RSRC2:TGID_Z_EN: 0
; COMPUTE_PGM_RSRC2:TIDIG_COMP_CNT: 0
; COMPUTE_PGM_RSRC3_GFX90A:ACCUM_OFFSET: 0
; COMPUTE_PGM_RSRC3_GFX90A:TG_SPLIT: 0
	.section	.text._ZN7rocprim17ROCPRIM_400000_NS6detail17trampoline_kernelINS0_14default_configENS1_20scan_config_selectorIxEEZZNS1_9scan_implILNS1_25lookback_scan_determinismE0ELb1ELb1ES3_N6thrust23THRUST_200600_302600_NS6detail15normal_iteratorINS9_10device_ptrIxEEEENS9_16discard_iteratorINS9_11use_defaultEEExNS9_4plusIvEExEEDaPvRmT3_T4_T5_mT6_P12ihipStream_tbENKUlT_T0_E_clISt17integral_constantIbLb0EESX_EEDaSS_ST_EUlSS_E_NS1_11comp_targetILNS1_3genE10ELNS1_11target_archE1201ELNS1_3gpuE5ELNS1_3repE0EEENS1_30default_config_static_selectorELNS0_4arch9wavefront6targetE1EEEvT1_,"axG",@progbits,_ZN7rocprim17ROCPRIM_400000_NS6detail17trampoline_kernelINS0_14default_configENS1_20scan_config_selectorIxEEZZNS1_9scan_implILNS1_25lookback_scan_determinismE0ELb1ELb1ES3_N6thrust23THRUST_200600_302600_NS6detail15normal_iteratorINS9_10device_ptrIxEEEENS9_16discard_iteratorINS9_11use_defaultEEExNS9_4plusIvEExEEDaPvRmT3_T4_T5_mT6_P12ihipStream_tbENKUlT_T0_E_clISt17integral_constantIbLb0EESX_EEDaSS_ST_EUlSS_E_NS1_11comp_targetILNS1_3genE10ELNS1_11target_archE1201ELNS1_3gpuE5ELNS1_3repE0EEENS1_30default_config_static_selectorELNS0_4arch9wavefront6targetE1EEEvT1_,comdat
	.protected	_ZN7rocprim17ROCPRIM_400000_NS6detail17trampoline_kernelINS0_14default_configENS1_20scan_config_selectorIxEEZZNS1_9scan_implILNS1_25lookback_scan_determinismE0ELb1ELb1ES3_N6thrust23THRUST_200600_302600_NS6detail15normal_iteratorINS9_10device_ptrIxEEEENS9_16discard_iteratorINS9_11use_defaultEEExNS9_4plusIvEExEEDaPvRmT3_T4_T5_mT6_P12ihipStream_tbENKUlT_T0_E_clISt17integral_constantIbLb0EESX_EEDaSS_ST_EUlSS_E_NS1_11comp_targetILNS1_3genE10ELNS1_11target_archE1201ELNS1_3gpuE5ELNS1_3repE0EEENS1_30default_config_static_selectorELNS0_4arch9wavefront6targetE1EEEvT1_ ; -- Begin function _ZN7rocprim17ROCPRIM_400000_NS6detail17trampoline_kernelINS0_14default_configENS1_20scan_config_selectorIxEEZZNS1_9scan_implILNS1_25lookback_scan_determinismE0ELb1ELb1ES3_N6thrust23THRUST_200600_302600_NS6detail15normal_iteratorINS9_10device_ptrIxEEEENS9_16discard_iteratorINS9_11use_defaultEEExNS9_4plusIvEExEEDaPvRmT3_T4_T5_mT6_P12ihipStream_tbENKUlT_T0_E_clISt17integral_constantIbLb0EESX_EEDaSS_ST_EUlSS_E_NS1_11comp_targetILNS1_3genE10ELNS1_11target_archE1201ELNS1_3gpuE5ELNS1_3repE0EEENS1_30default_config_static_selectorELNS0_4arch9wavefront6targetE1EEEvT1_
	.globl	_ZN7rocprim17ROCPRIM_400000_NS6detail17trampoline_kernelINS0_14default_configENS1_20scan_config_selectorIxEEZZNS1_9scan_implILNS1_25lookback_scan_determinismE0ELb1ELb1ES3_N6thrust23THRUST_200600_302600_NS6detail15normal_iteratorINS9_10device_ptrIxEEEENS9_16discard_iteratorINS9_11use_defaultEEExNS9_4plusIvEExEEDaPvRmT3_T4_T5_mT6_P12ihipStream_tbENKUlT_T0_E_clISt17integral_constantIbLb0EESX_EEDaSS_ST_EUlSS_E_NS1_11comp_targetILNS1_3genE10ELNS1_11target_archE1201ELNS1_3gpuE5ELNS1_3repE0EEENS1_30default_config_static_selectorELNS0_4arch9wavefront6targetE1EEEvT1_
	.p2align	8
	.type	_ZN7rocprim17ROCPRIM_400000_NS6detail17trampoline_kernelINS0_14default_configENS1_20scan_config_selectorIxEEZZNS1_9scan_implILNS1_25lookback_scan_determinismE0ELb1ELb1ES3_N6thrust23THRUST_200600_302600_NS6detail15normal_iteratorINS9_10device_ptrIxEEEENS9_16discard_iteratorINS9_11use_defaultEEExNS9_4plusIvEExEEDaPvRmT3_T4_T5_mT6_P12ihipStream_tbENKUlT_T0_E_clISt17integral_constantIbLb0EESX_EEDaSS_ST_EUlSS_E_NS1_11comp_targetILNS1_3genE10ELNS1_11target_archE1201ELNS1_3gpuE5ELNS1_3repE0EEENS1_30default_config_static_selectorELNS0_4arch9wavefront6targetE1EEEvT1_,@function
_ZN7rocprim17ROCPRIM_400000_NS6detail17trampoline_kernelINS0_14default_configENS1_20scan_config_selectorIxEEZZNS1_9scan_implILNS1_25lookback_scan_determinismE0ELb1ELb1ES3_N6thrust23THRUST_200600_302600_NS6detail15normal_iteratorINS9_10device_ptrIxEEEENS9_16discard_iteratorINS9_11use_defaultEEExNS9_4plusIvEExEEDaPvRmT3_T4_T5_mT6_P12ihipStream_tbENKUlT_T0_E_clISt17integral_constantIbLb0EESX_EEDaSS_ST_EUlSS_E_NS1_11comp_targetILNS1_3genE10ELNS1_11target_archE1201ELNS1_3gpuE5ELNS1_3repE0EEENS1_30default_config_static_selectorELNS0_4arch9wavefront6targetE1EEEvT1_: ; @_ZN7rocprim17ROCPRIM_400000_NS6detail17trampoline_kernelINS0_14default_configENS1_20scan_config_selectorIxEEZZNS1_9scan_implILNS1_25lookback_scan_determinismE0ELb1ELb1ES3_N6thrust23THRUST_200600_302600_NS6detail15normal_iteratorINS9_10device_ptrIxEEEENS9_16discard_iteratorINS9_11use_defaultEEExNS9_4plusIvEExEEDaPvRmT3_T4_T5_mT6_P12ihipStream_tbENKUlT_T0_E_clISt17integral_constantIbLb0EESX_EEDaSS_ST_EUlSS_E_NS1_11comp_targetILNS1_3genE10ELNS1_11target_archE1201ELNS1_3gpuE5ELNS1_3repE0EEENS1_30default_config_static_selectorELNS0_4arch9wavefront6targetE1EEEvT1_
; %bb.0:
	.section	.rodata,"a",@progbits
	.p2align	6, 0x0
	.amdhsa_kernel _ZN7rocprim17ROCPRIM_400000_NS6detail17trampoline_kernelINS0_14default_configENS1_20scan_config_selectorIxEEZZNS1_9scan_implILNS1_25lookback_scan_determinismE0ELb1ELb1ES3_N6thrust23THRUST_200600_302600_NS6detail15normal_iteratorINS9_10device_ptrIxEEEENS9_16discard_iteratorINS9_11use_defaultEEExNS9_4plusIvEExEEDaPvRmT3_T4_T5_mT6_P12ihipStream_tbENKUlT_T0_E_clISt17integral_constantIbLb0EESX_EEDaSS_ST_EUlSS_E_NS1_11comp_targetILNS1_3genE10ELNS1_11target_archE1201ELNS1_3gpuE5ELNS1_3repE0EEENS1_30default_config_static_selectorELNS0_4arch9wavefront6targetE1EEEvT1_
		.amdhsa_group_segment_fixed_size 0
		.amdhsa_private_segment_fixed_size 0
		.amdhsa_kernarg_size 112
		.amdhsa_user_sgpr_count 6
		.amdhsa_user_sgpr_private_segment_buffer 1
		.amdhsa_user_sgpr_dispatch_ptr 0
		.amdhsa_user_sgpr_queue_ptr 0
		.amdhsa_user_sgpr_kernarg_segment_ptr 1
		.amdhsa_user_sgpr_dispatch_id 0
		.amdhsa_user_sgpr_flat_scratch_init 0
		.amdhsa_user_sgpr_kernarg_preload_length 0
		.amdhsa_user_sgpr_kernarg_preload_offset 0
		.amdhsa_user_sgpr_private_segment_size 0
		.amdhsa_uses_dynamic_stack 0
		.amdhsa_system_sgpr_private_segment_wavefront_offset 0
		.amdhsa_system_sgpr_workgroup_id_x 1
		.amdhsa_system_sgpr_workgroup_id_y 0
		.amdhsa_system_sgpr_workgroup_id_z 0
		.amdhsa_system_sgpr_workgroup_info 0
		.amdhsa_system_vgpr_workitem_id 0
		.amdhsa_next_free_vgpr 1
		.amdhsa_next_free_sgpr 0
		.amdhsa_accum_offset 4
		.amdhsa_reserve_vcc 0
		.amdhsa_reserve_flat_scratch 0
		.amdhsa_float_round_mode_32 0
		.amdhsa_float_round_mode_16_64 0
		.amdhsa_float_denorm_mode_32 3
		.amdhsa_float_denorm_mode_16_64 3
		.amdhsa_dx10_clamp 1
		.amdhsa_ieee_mode 1
		.amdhsa_fp16_overflow 0
		.amdhsa_tg_split 0
		.amdhsa_exception_fp_ieee_invalid_op 0
		.amdhsa_exception_fp_denorm_src 0
		.amdhsa_exception_fp_ieee_div_zero 0
		.amdhsa_exception_fp_ieee_overflow 0
		.amdhsa_exception_fp_ieee_underflow 0
		.amdhsa_exception_fp_ieee_inexact 0
		.amdhsa_exception_int_div_zero 0
	.end_amdhsa_kernel
	.section	.text._ZN7rocprim17ROCPRIM_400000_NS6detail17trampoline_kernelINS0_14default_configENS1_20scan_config_selectorIxEEZZNS1_9scan_implILNS1_25lookback_scan_determinismE0ELb1ELb1ES3_N6thrust23THRUST_200600_302600_NS6detail15normal_iteratorINS9_10device_ptrIxEEEENS9_16discard_iteratorINS9_11use_defaultEEExNS9_4plusIvEExEEDaPvRmT3_T4_T5_mT6_P12ihipStream_tbENKUlT_T0_E_clISt17integral_constantIbLb0EESX_EEDaSS_ST_EUlSS_E_NS1_11comp_targetILNS1_3genE10ELNS1_11target_archE1201ELNS1_3gpuE5ELNS1_3repE0EEENS1_30default_config_static_selectorELNS0_4arch9wavefront6targetE1EEEvT1_,"axG",@progbits,_ZN7rocprim17ROCPRIM_400000_NS6detail17trampoline_kernelINS0_14default_configENS1_20scan_config_selectorIxEEZZNS1_9scan_implILNS1_25lookback_scan_determinismE0ELb1ELb1ES3_N6thrust23THRUST_200600_302600_NS6detail15normal_iteratorINS9_10device_ptrIxEEEENS9_16discard_iteratorINS9_11use_defaultEEExNS9_4plusIvEExEEDaPvRmT3_T4_T5_mT6_P12ihipStream_tbENKUlT_T0_E_clISt17integral_constantIbLb0EESX_EEDaSS_ST_EUlSS_E_NS1_11comp_targetILNS1_3genE10ELNS1_11target_archE1201ELNS1_3gpuE5ELNS1_3repE0EEENS1_30default_config_static_selectorELNS0_4arch9wavefront6targetE1EEEvT1_,comdat
.Lfunc_end5659:
	.size	_ZN7rocprim17ROCPRIM_400000_NS6detail17trampoline_kernelINS0_14default_configENS1_20scan_config_selectorIxEEZZNS1_9scan_implILNS1_25lookback_scan_determinismE0ELb1ELb1ES3_N6thrust23THRUST_200600_302600_NS6detail15normal_iteratorINS9_10device_ptrIxEEEENS9_16discard_iteratorINS9_11use_defaultEEExNS9_4plusIvEExEEDaPvRmT3_T4_T5_mT6_P12ihipStream_tbENKUlT_T0_E_clISt17integral_constantIbLb0EESX_EEDaSS_ST_EUlSS_E_NS1_11comp_targetILNS1_3genE10ELNS1_11target_archE1201ELNS1_3gpuE5ELNS1_3repE0EEENS1_30default_config_static_selectorELNS0_4arch9wavefront6targetE1EEEvT1_, .Lfunc_end5659-_ZN7rocprim17ROCPRIM_400000_NS6detail17trampoline_kernelINS0_14default_configENS1_20scan_config_selectorIxEEZZNS1_9scan_implILNS1_25lookback_scan_determinismE0ELb1ELb1ES3_N6thrust23THRUST_200600_302600_NS6detail15normal_iteratorINS9_10device_ptrIxEEEENS9_16discard_iteratorINS9_11use_defaultEEExNS9_4plusIvEExEEDaPvRmT3_T4_T5_mT6_P12ihipStream_tbENKUlT_T0_E_clISt17integral_constantIbLb0EESX_EEDaSS_ST_EUlSS_E_NS1_11comp_targetILNS1_3genE10ELNS1_11target_archE1201ELNS1_3gpuE5ELNS1_3repE0EEENS1_30default_config_static_selectorELNS0_4arch9wavefront6targetE1EEEvT1_
                                        ; -- End function
	.section	.AMDGPU.csdata,"",@progbits
; Kernel info:
; codeLenInByte = 0
; NumSgprs: 4
; NumVgprs: 0
; NumAgprs: 0
; TotalNumVgprs: 0
; ScratchSize: 0
; MemoryBound: 0
; FloatMode: 240
; IeeeMode: 1
; LDSByteSize: 0 bytes/workgroup (compile time only)
; SGPRBlocks: 0
; VGPRBlocks: 0
; NumSGPRsForWavesPerEU: 4
; NumVGPRsForWavesPerEU: 1
; AccumOffset: 4
; Occupancy: 8
; WaveLimiterHint : 0
; COMPUTE_PGM_RSRC2:SCRATCH_EN: 0
; COMPUTE_PGM_RSRC2:USER_SGPR: 6
; COMPUTE_PGM_RSRC2:TRAP_HANDLER: 0
; COMPUTE_PGM_RSRC2:TGID_X_EN: 1
; COMPUTE_PGM_RSRC2:TGID_Y_EN: 0
; COMPUTE_PGM_RSRC2:TGID_Z_EN: 0
; COMPUTE_PGM_RSRC2:TIDIG_COMP_CNT: 0
; COMPUTE_PGM_RSRC3_GFX90A:ACCUM_OFFSET: 0
; COMPUTE_PGM_RSRC3_GFX90A:TG_SPLIT: 0
	.section	.text._ZN7rocprim17ROCPRIM_400000_NS6detail17trampoline_kernelINS0_14default_configENS1_20scan_config_selectorIxEEZZNS1_9scan_implILNS1_25lookback_scan_determinismE0ELb1ELb1ES3_N6thrust23THRUST_200600_302600_NS6detail15normal_iteratorINS9_10device_ptrIxEEEENS9_16discard_iteratorINS9_11use_defaultEEExNS9_4plusIvEExEEDaPvRmT3_T4_T5_mT6_P12ihipStream_tbENKUlT_T0_E_clISt17integral_constantIbLb0EESX_EEDaSS_ST_EUlSS_E_NS1_11comp_targetILNS1_3genE10ELNS1_11target_archE1200ELNS1_3gpuE4ELNS1_3repE0EEENS1_30default_config_static_selectorELNS0_4arch9wavefront6targetE1EEEvT1_,"axG",@progbits,_ZN7rocprim17ROCPRIM_400000_NS6detail17trampoline_kernelINS0_14default_configENS1_20scan_config_selectorIxEEZZNS1_9scan_implILNS1_25lookback_scan_determinismE0ELb1ELb1ES3_N6thrust23THRUST_200600_302600_NS6detail15normal_iteratorINS9_10device_ptrIxEEEENS9_16discard_iteratorINS9_11use_defaultEEExNS9_4plusIvEExEEDaPvRmT3_T4_T5_mT6_P12ihipStream_tbENKUlT_T0_E_clISt17integral_constantIbLb0EESX_EEDaSS_ST_EUlSS_E_NS1_11comp_targetILNS1_3genE10ELNS1_11target_archE1200ELNS1_3gpuE4ELNS1_3repE0EEENS1_30default_config_static_selectorELNS0_4arch9wavefront6targetE1EEEvT1_,comdat
	.protected	_ZN7rocprim17ROCPRIM_400000_NS6detail17trampoline_kernelINS0_14default_configENS1_20scan_config_selectorIxEEZZNS1_9scan_implILNS1_25lookback_scan_determinismE0ELb1ELb1ES3_N6thrust23THRUST_200600_302600_NS6detail15normal_iteratorINS9_10device_ptrIxEEEENS9_16discard_iteratorINS9_11use_defaultEEExNS9_4plusIvEExEEDaPvRmT3_T4_T5_mT6_P12ihipStream_tbENKUlT_T0_E_clISt17integral_constantIbLb0EESX_EEDaSS_ST_EUlSS_E_NS1_11comp_targetILNS1_3genE10ELNS1_11target_archE1200ELNS1_3gpuE4ELNS1_3repE0EEENS1_30default_config_static_selectorELNS0_4arch9wavefront6targetE1EEEvT1_ ; -- Begin function _ZN7rocprim17ROCPRIM_400000_NS6detail17trampoline_kernelINS0_14default_configENS1_20scan_config_selectorIxEEZZNS1_9scan_implILNS1_25lookback_scan_determinismE0ELb1ELb1ES3_N6thrust23THRUST_200600_302600_NS6detail15normal_iteratorINS9_10device_ptrIxEEEENS9_16discard_iteratorINS9_11use_defaultEEExNS9_4plusIvEExEEDaPvRmT3_T4_T5_mT6_P12ihipStream_tbENKUlT_T0_E_clISt17integral_constantIbLb0EESX_EEDaSS_ST_EUlSS_E_NS1_11comp_targetILNS1_3genE10ELNS1_11target_archE1200ELNS1_3gpuE4ELNS1_3repE0EEENS1_30default_config_static_selectorELNS0_4arch9wavefront6targetE1EEEvT1_
	.globl	_ZN7rocprim17ROCPRIM_400000_NS6detail17trampoline_kernelINS0_14default_configENS1_20scan_config_selectorIxEEZZNS1_9scan_implILNS1_25lookback_scan_determinismE0ELb1ELb1ES3_N6thrust23THRUST_200600_302600_NS6detail15normal_iteratorINS9_10device_ptrIxEEEENS9_16discard_iteratorINS9_11use_defaultEEExNS9_4plusIvEExEEDaPvRmT3_T4_T5_mT6_P12ihipStream_tbENKUlT_T0_E_clISt17integral_constantIbLb0EESX_EEDaSS_ST_EUlSS_E_NS1_11comp_targetILNS1_3genE10ELNS1_11target_archE1200ELNS1_3gpuE4ELNS1_3repE0EEENS1_30default_config_static_selectorELNS0_4arch9wavefront6targetE1EEEvT1_
	.p2align	8
	.type	_ZN7rocprim17ROCPRIM_400000_NS6detail17trampoline_kernelINS0_14default_configENS1_20scan_config_selectorIxEEZZNS1_9scan_implILNS1_25lookback_scan_determinismE0ELb1ELb1ES3_N6thrust23THRUST_200600_302600_NS6detail15normal_iteratorINS9_10device_ptrIxEEEENS9_16discard_iteratorINS9_11use_defaultEEExNS9_4plusIvEExEEDaPvRmT3_T4_T5_mT6_P12ihipStream_tbENKUlT_T0_E_clISt17integral_constantIbLb0EESX_EEDaSS_ST_EUlSS_E_NS1_11comp_targetILNS1_3genE10ELNS1_11target_archE1200ELNS1_3gpuE4ELNS1_3repE0EEENS1_30default_config_static_selectorELNS0_4arch9wavefront6targetE1EEEvT1_,@function
_ZN7rocprim17ROCPRIM_400000_NS6detail17trampoline_kernelINS0_14default_configENS1_20scan_config_selectorIxEEZZNS1_9scan_implILNS1_25lookback_scan_determinismE0ELb1ELb1ES3_N6thrust23THRUST_200600_302600_NS6detail15normal_iteratorINS9_10device_ptrIxEEEENS9_16discard_iteratorINS9_11use_defaultEEExNS9_4plusIvEExEEDaPvRmT3_T4_T5_mT6_P12ihipStream_tbENKUlT_T0_E_clISt17integral_constantIbLb0EESX_EEDaSS_ST_EUlSS_E_NS1_11comp_targetILNS1_3genE10ELNS1_11target_archE1200ELNS1_3gpuE4ELNS1_3repE0EEENS1_30default_config_static_selectorELNS0_4arch9wavefront6targetE1EEEvT1_: ; @_ZN7rocprim17ROCPRIM_400000_NS6detail17trampoline_kernelINS0_14default_configENS1_20scan_config_selectorIxEEZZNS1_9scan_implILNS1_25lookback_scan_determinismE0ELb1ELb1ES3_N6thrust23THRUST_200600_302600_NS6detail15normal_iteratorINS9_10device_ptrIxEEEENS9_16discard_iteratorINS9_11use_defaultEEExNS9_4plusIvEExEEDaPvRmT3_T4_T5_mT6_P12ihipStream_tbENKUlT_T0_E_clISt17integral_constantIbLb0EESX_EEDaSS_ST_EUlSS_E_NS1_11comp_targetILNS1_3genE10ELNS1_11target_archE1200ELNS1_3gpuE4ELNS1_3repE0EEENS1_30default_config_static_selectorELNS0_4arch9wavefront6targetE1EEEvT1_
; %bb.0:
	.section	.rodata,"a",@progbits
	.p2align	6, 0x0
	.amdhsa_kernel _ZN7rocprim17ROCPRIM_400000_NS6detail17trampoline_kernelINS0_14default_configENS1_20scan_config_selectorIxEEZZNS1_9scan_implILNS1_25lookback_scan_determinismE0ELb1ELb1ES3_N6thrust23THRUST_200600_302600_NS6detail15normal_iteratorINS9_10device_ptrIxEEEENS9_16discard_iteratorINS9_11use_defaultEEExNS9_4plusIvEExEEDaPvRmT3_T4_T5_mT6_P12ihipStream_tbENKUlT_T0_E_clISt17integral_constantIbLb0EESX_EEDaSS_ST_EUlSS_E_NS1_11comp_targetILNS1_3genE10ELNS1_11target_archE1200ELNS1_3gpuE4ELNS1_3repE0EEENS1_30default_config_static_selectorELNS0_4arch9wavefront6targetE1EEEvT1_
		.amdhsa_group_segment_fixed_size 0
		.amdhsa_private_segment_fixed_size 0
		.amdhsa_kernarg_size 112
		.amdhsa_user_sgpr_count 6
		.amdhsa_user_sgpr_private_segment_buffer 1
		.amdhsa_user_sgpr_dispatch_ptr 0
		.amdhsa_user_sgpr_queue_ptr 0
		.amdhsa_user_sgpr_kernarg_segment_ptr 1
		.amdhsa_user_sgpr_dispatch_id 0
		.amdhsa_user_sgpr_flat_scratch_init 0
		.amdhsa_user_sgpr_kernarg_preload_length 0
		.amdhsa_user_sgpr_kernarg_preload_offset 0
		.amdhsa_user_sgpr_private_segment_size 0
		.amdhsa_uses_dynamic_stack 0
		.amdhsa_system_sgpr_private_segment_wavefront_offset 0
		.amdhsa_system_sgpr_workgroup_id_x 1
		.amdhsa_system_sgpr_workgroup_id_y 0
		.amdhsa_system_sgpr_workgroup_id_z 0
		.amdhsa_system_sgpr_workgroup_info 0
		.amdhsa_system_vgpr_workitem_id 0
		.amdhsa_next_free_vgpr 1
		.amdhsa_next_free_sgpr 0
		.amdhsa_accum_offset 4
		.amdhsa_reserve_vcc 0
		.amdhsa_reserve_flat_scratch 0
		.amdhsa_float_round_mode_32 0
		.amdhsa_float_round_mode_16_64 0
		.amdhsa_float_denorm_mode_32 3
		.amdhsa_float_denorm_mode_16_64 3
		.amdhsa_dx10_clamp 1
		.amdhsa_ieee_mode 1
		.amdhsa_fp16_overflow 0
		.amdhsa_tg_split 0
		.amdhsa_exception_fp_ieee_invalid_op 0
		.amdhsa_exception_fp_denorm_src 0
		.amdhsa_exception_fp_ieee_div_zero 0
		.amdhsa_exception_fp_ieee_overflow 0
		.amdhsa_exception_fp_ieee_underflow 0
		.amdhsa_exception_fp_ieee_inexact 0
		.amdhsa_exception_int_div_zero 0
	.end_amdhsa_kernel
	.section	.text._ZN7rocprim17ROCPRIM_400000_NS6detail17trampoline_kernelINS0_14default_configENS1_20scan_config_selectorIxEEZZNS1_9scan_implILNS1_25lookback_scan_determinismE0ELb1ELb1ES3_N6thrust23THRUST_200600_302600_NS6detail15normal_iteratorINS9_10device_ptrIxEEEENS9_16discard_iteratorINS9_11use_defaultEEExNS9_4plusIvEExEEDaPvRmT3_T4_T5_mT6_P12ihipStream_tbENKUlT_T0_E_clISt17integral_constantIbLb0EESX_EEDaSS_ST_EUlSS_E_NS1_11comp_targetILNS1_3genE10ELNS1_11target_archE1200ELNS1_3gpuE4ELNS1_3repE0EEENS1_30default_config_static_selectorELNS0_4arch9wavefront6targetE1EEEvT1_,"axG",@progbits,_ZN7rocprim17ROCPRIM_400000_NS6detail17trampoline_kernelINS0_14default_configENS1_20scan_config_selectorIxEEZZNS1_9scan_implILNS1_25lookback_scan_determinismE0ELb1ELb1ES3_N6thrust23THRUST_200600_302600_NS6detail15normal_iteratorINS9_10device_ptrIxEEEENS9_16discard_iteratorINS9_11use_defaultEEExNS9_4plusIvEExEEDaPvRmT3_T4_T5_mT6_P12ihipStream_tbENKUlT_T0_E_clISt17integral_constantIbLb0EESX_EEDaSS_ST_EUlSS_E_NS1_11comp_targetILNS1_3genE10ELNS1_11target_archE1200ELNS1_3gpuE4ELNS1_3repE0EEENS1_30default_config_static_selectorELNS0_4arch9wavefront6targetE1EEEvT1_,comdat
.Lfunc_end5660:
	.size	_ZN7rocprim17ROCPRIM_400000_NS6detail17trampoline_kernelINS0_14default_configENS1_20scan_config_selectorIxEEZZNS1_9scan_implILNS1_25lookback_scan_determinismE0ELb1ELb1ES3_N6thrust23THRUST_200600_302600_NS6detail15normal_iteratorINS9_10device_ptrIxEEEENS9_16discard_iteratorINS9_11use_defaultEEExNS9_4plusIvEExEEDaPvRmT3_T4_T5_mT6_P12ihipStream_tbENKUlT_T0_E_clISt17integral_constantIbLb0EESX_EEDaSS_ST_EUlSS_E_NS1_11comp_targetILNS1_3genE10ELNS1_11target_archE1200ELNS1_3gpuE4ELNS1_3repE0EEENS1_30default_config_static_selectorELNS0_4arch9wavefront6targetE1EEEvT1_, .Lfunc_end5660-_ZN7rocprim17ROCPRIM_400000_NS6detail17trampoline_kernelINS0_14default_configENS1_20scan_config_selectorIxEEZZNS1_9scan_implILNS1_25lookback_scan_determinismE0ELb1ELb1ES3_N6thrust23THRUST_200600_302600_NS6detail15normal_iteratorINS9_10device_ptrIxEEEENS9_16discard_iteratorINS9_11use_defaultEEExNS9_4plusIvEExEEDaPvRmT3_T4_T5_mT6_P12ihipStream_tbENKUlT_T0_E_clISt17integral_constantIbLb0EESX_EEDaSS_ST_EUlSS_E_NS1_11comp_targetILNS1_3genE10ELNS1_11target_archE1200ELNS1_3gpuE4ELNS1_3repE0EEENS1_30default_config_static_selectorELNS0_4arch9wavefront6targetE1EEEvT1_
                                        ; -- End function
	.section	.AMDGPU.csdata,"",@progbits
; Kernel info:
; codeLenInByte = 0
; NumSgprs: 4
; NumVgprs: 0
; NumAgprs: 0
; TotalNumVgprs: 0
; ScratchSize: 0
; MemoryBound: 0
; FloatMode: 240
; IeeeMode: 1
; LDSByteSize: 0 bytes/workgroup (compile time only)
; SGPRBlocks: 0
; VGPRBlocks: 0
; NumSGPRsForWavesPerEU: 4
; NumVGPRsForWavesPerEU: 1
; AccumOffset: 4
; Occupancy: 8
; WaveLimiterHint : 0
; COMPUTE_PGM_RSRC2:SCRATCH_EN: 0
; COMPUTE_PGM_RSRC2:USER_SGPR: 6
; COMPUTE_PGM_RSRC2:TRAP_HANDLER: 0
; COMPUTE_PGM_RSRC2:TGID_X_EN: 1
; COMPUTE_PGM_RSRC2:TGID_Y_EN: 0
; COMPUTE_PGM_RSRC2:TGID_Z_EN: 0
; COMPUTE_PGM_RSRC2:TIDIG_COMP_CNT: 0
; COMPUTE_PGM_RSRC3_GFX90A:ACCUM_OFFSET: 0
; COMPUTE_PGM_RSRC3_GFX90A:TG_SPLIT: 0
	.section	.text._ZN7rocprim17ROCPRIM_400000_NS6detail17trampoline_kernelINS0_14default_configENS1_20scan_config_selectorIxEEZZNS1_9scan_implILNS1_25lookback_scan_determinismE0ELb1ELb1ES3_N6thrust23THRUST_200600_302600_NS6detail15normal_iteratorINS9_10device_ptrIxEEEENS9_16discard_iteratorINS9_11use_defaultEEExNS9_4plusIvEExEEDaPvRmT3_T4_T5_mT6_P12ihipStream_tbENKUlT_T0_E_clISt17integral_constantIbLb0EESX_EEDaSS_ST_EUlSS_E_NS1_11comp_targetILNS1_3genE9ELNS1_11target_archE1100ELNS1_3gpuE3ELNS1_3repE0EEENS1_30default_config_static_selectorELNS0_4arch9wavefront6targetE1EEEvT1_,"axG",@progbits,_ZN7rocprim17ROCPRIM_400000_NS6detail17trampoline_kernelINS0_14default_configENS1_20scan_config_selectorIxEEZZNS1_9scan_implILNS1_25lookback_scan_determinismE0ELb1ELb1ES3_N6thrust23THRUST_200600_302600_NS6detail15normal_iteratorINS9_10device_ptrIxEEEENS9_16discard_iteratorINS9_11use_defaultEEExNS9_4plusIvEExEEDaPvRmT3_T4_T5_mT6_P12ihipStream_tbENKUlT_T0_E_clISt17integral_constantIbLb0EESX_EEDaSS_ST_EUlSS_E_NS1_11comp_targetILNS1_3genE9ELNS1_11target_archE1100ELNS1_3gpuE3ELNS1_3repE0EEENS1_30default_config_static_selectorELNS0_4arch9wavefront6targetE1EEEvT1_,comdat
	.protected	_ZN7rocprim17ROCPRIM_400000_NS6detail17trampoline_kernelINS0_14default_configENS1_20scan_config_selectorIxEEZZNS1_9scan_implILNS1_25lookback_scan_determinismE0ELb1ELb1ES3_N6thrust23THRUST_200600_302600_NS6detail15normal_iteratorINS9_10device_ptrIxEEEENS9_16discard_iteratorINS9_11use_defaultEEExNS9_4plusIvEExEEDaPvRmT3_T4_T5_mT6_P12ihipStream_tbENKUlT_T0_E_clISt17integral_constantIbLb0EESX_EEDaSS_ST_EUlSS_E_NS1_11comp_targetILNS1_3genE9ELNS1_11target_archE1100ELNS1_3gpuE3ELNS1_3repE0EEENS1_30default_config_static_selectorELNS0_4arch9wavefront6targetE1EEEvT1_ ; -- Begin function _ZN7rocprim17ROCPRIM_400000_NS6detail17trampoline_kernelINS0_14default_configENS1_20scan_config_selectorIxEEZZNS1_9scan_implILNS1_25lookback_scan_determinismE0ELb1ELb1ES3_N6thrust23THRUST_200600_302600_NS6detail15normal_iteratorINS9_10device_ptrIxEEEENS9_16discard_iteratorINS9_11use_defaultEEExNS9_4plusIvEExEEDaPvRmT3_T4_T5_mT6_P12ihipStream_tbENKUlT_T0_E_clISt17integral_constantIbLb0EESX_EEDaSS_ST_EUlSS_E_NS1_11comp_targetILNS1_3genE9ELNS1_11target_archE1100ELNS1_3gpuE3ELNS1_3repE0EEENS1_30default_config_static_selectorELNS0_4arch9wavefront6targetE1EEEvT1_
	.globl	_ZN7rocprim17ROCPRIM_400000_NS6detail17trampoline_kernelINS0_14default_configENS1_20scan_config_selectorIxEEZZNS1_9scan_implILNS1_25lookback_scan_determinismE0ELb1ELb1ES3_N6thrust23THRUST_200600_302600_NS6detail15normal_iteratorINS9_10device_ptrIxEEEENS9_16discard_iteratorINS9_11use_defaultEEExNS9_4plusIvEExEEDaPvRmT3_T4_T5_mT6_P12ihipStream_tbENKUlT_T0_E_clISt17integral_constantIbLb0EESX_EEDaSS_ST_EUlSS_E_NS1_11comp_targetILNS1_3genE9ELNS1_11target_archE1100ELNS1_3gpuE3ELNS1_3repE0EEENS1_30default_config_static_selectorELNS0_4arch9wavefront6targetE1EEEvT1_
	.p2align	8
	.type	_ZN7rocprim17ROCPRIM_400000_NS6detail17trampoline_kernelINS0_14default_configENS1_20scan_config_selectorIxEEZZNS1_9scan_implILNS1_25lookback_scan_determinismE0ELb1ELb1ES3_N6thrust23THRUST_200600_302600_NS6detail15normal_iteratorINS9_10device_ptrIxEEEENS9_16discard_iteratorINS9_11use_defaultEEExNS9_4plusIvEExEEDaPvRmT3_T4_T5_mT6_P12ihipStream_tbENKUlT_T0_E_clISt17integral_constantIbLb0EESX_EEDaSS_ST_EUlSS_E_NS1_11comp_targetILNS1_3genE9ELNS1_11target_archE1100ELNS1_3gpuE3ELNS1_3repE0EEENS1_30default_config_static_selectorELNS0_4arch9wavefront6targetE1EEEvT1_,@function
_ZN7rocprim17ROCPRIM_400000_NS6detail17trampoline_kernelINS0_14default_configENS1_20scan_config_selectorIxEEZZNS1_9scan_implILNS1_25lookback_scan_determinismE0ELb1ELb1ES3_N6thrust23THRUST_200600_302600_NS6detail15normal_iteratorINS9_10device_ptrIxEEEENS9_16discard_iteratorINS9_11use_defaultEEExNS9_4plusIvEExEEDaPvRmT3_T4_T5_mT6_P12ihipStream_tbENKUlT_T0_E_clISt17integral_constantIbLb0EESX_EEDaSS_ST_EUlSS_E_NS1_11comp_targetILNS1_3genE9ELNS1_11target_archE1100ELNS1_3gpuE3ELNS1_3repE0EEENS1_30default_config_static_selectorELNS0_4arch9wavefront6targetE1EEEvT1_: ; @_ZN7rocprim17ROCPRIM_400000_NS6detail17trampoline_kernelINS0_14default_configENS1_20scan_config_selectorIxEEZZNS1_9scan_implILNS1_25lookback_scan_determinismE0ELb1ELb1ES3_N6thrust23THRUST_200600_302600_NS6detail15normal_iteratorINS9_10device_ptrIxEEEENS9_16discard_iteratorINS9_11use_defaultEEExNS9_4plusIvEExEEDaPvRmT3_T4_T5_mT6_P12ihipStream_tbENKUlT_T0_E_clISt17integral_constantIbLb0EESX_EEDaSS_ST_EUlSS_E_NS1_11comp_targetILNS1_3genE9ELNS1_11target_archE1100ELNS1_3gpuE3ELNS1_3repE0EEENS1_30default_config_static_selectorELNS0_4arch9wavefront6targetE1EEEvT1_
; %bb.0:
	.section	.rodata,"a",@progbits
	.p2align	6, 0x0
	.amdhsa_kernel _ZN7rocprim17ROCPRIM_400000_NS6detail17trampoline_kernelINS0_14default_configENS1_20scan_config_selectorIxEEZZNS1_9scan_implILNS1_25lookback_scan_determinismE0ELb1ELb1ES3_N6thrust23THRUST_200600_302600_NS6detail15normal_iteratorINS9_10device_ptrIxEEEENS9_16discard_iteratorINS9_11use_defaultEEExNS9_4plusIvEExEEDaPvRmT3_T4_T5_mT6_P12ihipStream_tbENKUlT_T0_E_clISt17integral_constantIbLb0EESX_EEDaSS_ST_EUlSS_E_NS1_11comp_targetILNS1_3genE9ELNS1_11target_archE1100ELNS1_3gpuE3ELNS1_3repE0EEENS1_30default_config_static_selectorELNS0_4arch9wavefront6targetE1EEEvT1_
		.amdhsa_group_segment_fixed_size 0
		.amdhsa_private_segment_fixed_size 0
		.amdhsa_kernarg_size 112
		.amdhsa_user_sgpr_count 6
		.amdhsa_user_sgpr_private_segment_buffer 1
		.amdhsa_user_sgpr_dispatch_ptr 0
		.amdhsa_user_sgpr_queue_ptr 0
		.amdhsa_user_sgpr_kernarg_segment_ptr 1
		.amdhsa_user_sgpr_dispatch_id 0
		.amdhsa_user_sgpr_flat_scratch_init 0
		.amdhsa_user_sgpr_kernarg_preload_length 0
		.amdhsa_user_sgpr_kernarg_preload_offset 0
		.amdhsa_user_sgpr_private_segment_size 0
		.amdhsa_uses_dynamic_stack 0
		.amdhsa_system_sgpr_private_segment_wavefront_offset 0
		.amdhsa_system_sgpr_workgroup_id_x 1
		.amdhsa_system_sgpr_workgroup_id_y 0
		.amdhsa_system_sgpr_workgroup_id_z 0
		.amdhsa_system_sgpr_workgroup_info 0
		.amdhsa_system_vgpr_workitem_id 0
		.amdhsa_next_free_vgpr 1
		.amdhsa_next_free_sgpr 0
		.amdhsa_accum_offset 4
		.amdhsa_reserve_vcc 0
		.amdhsa_reserve_flat_scratch 0
		.amdhsa_float_round_mode_32 0
		.amdhsa_float_round_mode_16_64 0
		.amdhsa_float_denorm_mode_32 3
		.amdhsa_float_denorm_mode_16_64 3
		.amdhsa_dx10_clamp 1
		.amdhsa_ieee_mode 1
		.amdhsa_fp16_overflow 0
		.amdhsa_tg_split 0
		.amdhsa_exception_fp_ieee_invalid_op 0
		.amdhsa_exception_fp_denorm_src 0
		.amdhsa_exception_fp_ieee_div_zero 0
		.amdhsa_exception_fp_ieee_overflow 0
		.amdhsa_exception_fp_ieee_underflow 0
		.amdhsa_exception_fp_ieee_inexact 0
		.amdhsa_exception_int_div_zero 0
	.end_amdhsa_kernel
	.section	.text._ZN7rocprim17ROCPRIM_400000_NS6detail17trampoline_kernelINS0_14default_configENS1_20scan_config_selectorIxEEZZNS1_9scan_implILNS1_25lookback_scan_determinismE0ELb1ELb1ES3_N6thrust23THRUST_200600_302600_NS6detail15normal_iteratorINS9_10device_ptrIxEEEENS9_16discard_iteratorINS9_11use_defaultEEExNS9_4plusIvEExEEDaPvRmT3_T4_T5_mT6_P12ihipStream_tbENKUlT_T0_E_clISt17integral_constantIbLb0EESX_EEDaSS_ST_EUlSS_E_NS1_11comp_targetILNS1_3genE9ELNS1_11target_archE1100ELNS1_3gpuE3ELNS1_3repE0EEENS1_30default_config_static_selectorELNS0_4arch9wavefront6targetE1EEEvT1_,"axG",@progbits,_ZN7rocprim17ROCPRIM_400000_NS6detail17trampoline_kernelINS0_14default_configENS1_20scan_config_selectorIxEEZZNS1_9scan_implILNS1_25lookback_scan_determinismE0ELb1ELb1ES3_N6thrust23THRUST_200600_302600_NS6detail15normal_iteratorINS9_10device_ptrIxEEEENS9_16discard_iteratorINS9_11use_defaultEEExNS9_4plusIvEExEEDaPvRmT3_T4_T5_mT6_P12ihipStream_tbENKUlT_T0_E_clISt17integral_constantIbLb0EESX_EEDaSS_ST_EUlSS_E_NS1_11comp_targetILNS1_3genE9ELNS1_11target_archE1100ELNS1_3gpuE3ELNS1_3repE0EEENS1_30default_config_static_selectorELNS0_4arch9wavefront6targetE1EEEvT1_,comdat
.Lfunc_end5661:
	.size	_ZN7rocprim17ROCPRIM_400000_NS6detail17trampoline_kernelINS0_14default_configENS1_20scan_config_selectorIxEEZZNS1_9scan_implILNS1_25lookback_scan_determinismE0ELb1ELb1ES3_N6thrust23THRUST_200600_302600_NS6detail15normal_iteratorINS9_10device_ptrIxEEEENS9_16discard_iteratorINS9_11use_defaultEEExNS9_4plusIvEExEEDaPvRmT3_T4_T5_mT6_P12ihipStream_tbENKUlT_T0_E_clISt17integral_constantIbLb0EESX_EEDaSS_ST_EUlSS_E_NS1_11comp_targetILNS1_3genE9ELNS1_11target_archE1100ELNS1_3gpuE3ELNS1_3repE0EEENS1_30default_config_static_selectorELNS0_4arch9wavefront6targetE1EEEvT1_, .Lfunc_end5661-_ZN7rocprim17ROCPRIM_400000_NS6detail17trampoline_kernelINS0_14default_configENS1_20scan_config_selectorIxEEZZNS1_9scan_implILNS1_25lookback_scan_determinismE0ELb1ELb1ES3_N6thrust23THRUST_200600_302600_NS6detail15normal_iteratorINS9_10device_ptrIxEEEENS9_16discard_iteratorINS9_11use_defaultEEExNS9_4plusIvEExEEDaPvRmT3_T4_T5_mT6_P12ihipStream_tbENKUlT_T0_E_clISt17integral_constantIbLb0EESX_EEDaSS_ST_EUlSS_E_NS1_11comp_targetILNS1_3genE9ELNS1_11target_archE1100ELNS1_3gpuE3ELNS1_3repE0EEENS1_30default_config_static_selectorELNS0_4arch9wavefront6targetE1EEEvT1_
                                        ; -- End function
	.section	.AMDGPU.csdata,"",@progbits
; Kernel info:
; codeLenInByte = 0
; NumSgprs: 4
; NumVgprs: 0
; NumAgprs: 0
; TotalNumVgprs: 0
; ScratchSize: 0
; MemoryBound: 0
; FloatMode: 240
; IeeeMode: 1
; LDSByteSize: 0 bytes/workgroup (compile time only)
; SGPRBlocks: 0
; VGPRBlocks: 0
; NumSGPRsForWavesPerEU: 4
; NumVGPRsForWavesPerEU: 1
; AccumOffset: 4
; Occupancy: 8
; WaveLimiterHint : 0
; COMPUTE_PGM_RSRC2:SCRATCH_EN: 0
; COMPUTE_PGM_RSRC2:USER_SGPR: 6
; COMPUTE_PGM_RSRC2:TRAP_HANDLER: 0
; COMPUTE_PGM_RSRC2:TGID_X_EN: 1
; COMPUTE_PGM_RSRC2:TGID_Y_EN: 0
; COMPUTE_PGM_RSRC2:TGID_Z_EN: 0
; COMPUTE_PGM_RSRC2:TIDIG_COMP_CNT: 0
; COMPUTE_PGM_RSRC3_GFX90A:ACCUM_OFFSET: 0
; COMPUTE_PGM_RSRC3_GFX90A:TG_SPLIT: 0
	.section	.text._ZN7rocprim17ROCPRIM_400000_NS6detail17trampoline_kernelINS0_14default_configENS1_20scan_config_selectorIxEEZZNS1_9scan_implILNS1_25lookback_scan_determinismE0ELb1ELb1ES3_N6thrust23THRUST_200600_302600_NS6detail15normal_iteratorINS9_10device_ptrIxEEEENS9_16discard_iteratorINS9_11use_defaultEEExNS9_4plusIvEExEEDaPvRmT3_T4_T5_mT6_P12ihipStream_tbENKUlT_T0_E_clISt17integral_constantIbLb0EESX_EEDaSS_ST_EUlSS_E_NS1_11comp_targetILNS1_3genE8ELNS1_11target_archE1030ELNS1_3gpuE2ELNS1_3repE0EEENS1_30default_config_static_selectorELNS0_4arch9wavefront6targetE1EEEvT1_,"axG",@progbits,_ZN7rocprim17ROCPRIM_400000_NS6detail17trampoline_kernelINS0_14default_configENS1_20scan_config_selectorIxEEZZNS1_9scan_implILNS1_25lookback_scan_determinismE0ELb1ELb1ES3_N6thrust23THRUST_200600_302600_NS6detail15normal_iteratorINS9_10device_ptrIxEEEENS9_16discard_iteratorINS9_11use_defaultEEExNS9_4plusIvEExEEDaPvRmT3_T4_T5_mT6_P12ihipStream_tbENKUlT_T0_E_clISt17integral_constantIbLb0EESX_EEDaSS_ST_EUlSS_E_NS1_11comp_targetILNS1_3genE8ELNS1_11target_archE1030ELNS1_3gpuE2ELNS1_3repE0EEENS1_30default_config_static_selectorELNS0_4arch9wavefront6targetE1EEEvT1_,comdat
	.protected	_ZN7rocprim17ROCPRIM_400000_NS6detail17trampoline_kernelINS0_14default_configENS1_20scan_config_selectorIxEEZZNS1_9scan_implILNS1_25lookback_scan_determinismE0ELb1ELb1ES3_N6thrust23THRUST_200600_302600_NS6detail15normal_iteratorINS9_10device_ptrIxEEEENS9_16discard_iteratorINS9_11use_defaultEEExNS9_4plusIvEExEEDaPvRmT3_T4_T5_mT6_P12ihipStream_tbENKUlT_T0_E_clISt17integral_constantIbLb0EESX_EEDaSS_ST_EUlSS_E_NS1_11comp_targetILNS1_3genE8ELNS1_11target_archE1030ELNS1_3gpuE2ELNS1_3repE0EEENS1_30default_config_static_selectorELNS0_4arch9wavefront6targetE1EEEvT1_ ; -- Begin function _ZN7rocprim17ROCPRIM_400000_NS6detail17trampoline_kernelINS0_14default_configENS1_20scan_config_selectorIxEEZZNS1_9scan_implILNS1_25lookback_scan_determinismE0ELb1ELb1ES3_N6thrust23THRUST_200600_302600_NS6detail15normal_iteratorINS9_10device_ptrIxEEEENS9_16discard_iteratorINS9_11use_defaultEEExNS9_4plusIvEExEEDaPvRmT3_T4_T5_mT6_P12ihipStream_tbENKUlT_T0_E_clISt17integral_constantIbLb0EESX_EEDaSS_ST_EUlSS_E_NS1_11comp_targetILNS1_3genE8ELNS1_11target_archE1030ELNS1_3gpuE2ELNS1_3repE0EEENS1_30default_config_static_selectorELNS0_4arch9wavefront6targetE1EEEvT1_
	.globl	_ZN7rocprim17ROCPRIM_400000_NS6detail17trampoline_kernelINS0_14default_configENS1_20scan_config_selectorIxEEZZNS1_9scan_implILNS1_25lookback_scan_determinismE0ELb1ELb1ES3_N6thrust23THRUST_200600_302600_NS6detail15normal_iteratorINS9_10device_ptrIxEEEENS9_16discard_iteratorINS9_11use_defaultEEExNS9_4plusIvEExEEDaPvRmT3_T4_T5_mT6_P12ihipStream_tbENKUlT_T0_E_clISt17integral_constantIbLb0EESX_EEDaSS_ST_EUlSS_E_NS1_11comp_targetILNS1_3genE8ELNS1_11target_archE1030ELNS1_3gpuE2ELNS1_3repE0EEENS1_30default_config_static_selectorELNS0_4arch9wavefront6targetE1EEEvT1_
	.p2align	8
	.type	_ZN7rocprim17ROCPRIM_400000_NS6detail17trampoline_kernelINS0_14default_configENS1_20scan_config_selectorIxEEZZNS1_9scan_implILNS1_25lookback_scan_determinismE0ELb1ELb1ES3_N6thrust23THRUST_200600_302600_NS6detail15normal_iteratorINS9_10device_ptrIxEEEENS9_16discard_iteratorINS9_11use_defaultEEExNS9_4plusIvEExEEDaPvRmT3_T4_T5_mT6_P12ihipStream_tbENKUlT_T0_E_clISt17integral_constantIbLb0EESX_EEDaSS_ST_EUlSS_E_NS1_11comp_targetILNS1_3genE8ELNS1_11target_archE1030ELNS1_3gpuE2ELNS1_3repE0EEENS1_30default_config_static_selectorELNS0_4arch9wavefront6targetE1EEEvT1_,@function
_ZN7rocprim17ROCPRIM_400000_NS6detail17trampoline_kernelINS0_14default_configENS1_20scan_config_selectorIxEEZZNS1_9scan_implILNS1_25lookback_scan_determinismE0ELb1ELb1ES3_N6thrust23THRUST_200600_302600_NS6detail15normal_iteratorINS9_10device_ptrIxEEEENS9_16discard_iteratorINS9_11use_defaultEEExNS9_4plusIvEExEEDaPvRmT3_T4_T5_mT6_P12ihipStream_tbENKUlT_T0_E_clISt17integral_constantIbLb0EESX_EEDaSS_ST_EUlSS_E_NS1_11comp_targetILNS1_3genE8ELNS1_11target_archE1030ELNS1_3gpuE2ELNS1_3repE0EEENS1_30default_config_static_selectorELNS0_4arch9wavefront6targetE1EEEvT1_: ; @_ZN7rocprim17ROCPRIM_400000_NS6detail17trampoline_kernelINS0_14default_configENS1_20scan_config_selectorIxEEZZNS1_9scan_implILNS1_25lookback_scan_determinismE0ELb1ELb1ES3_N6thrust23THRUST_200600_302600_NS6detail15normal_iteratorINS9_10device_ptrIxEEEENS9_16discard_iteratorINS9_11use_defaultEEExNS9_4plusIvEExEEDaPvRmT3_T4_T5_mT6_P12ihipStream_tbENKUlT_T0_E_clISt17integral_constantIbLb0EESX_EEDaSS_ST_EUlSS_E_NS1_11comp_targetILNS1_3genE8ELNS1_11target_archE1030ELNS1_3gpuE2ELNS1_3repE0EEENS1_30default_config_static_selectorELNS0_4arch9wavefront6targetE1EEEvT1_
; %bb.0:
	.section	.rodata,"a",@progbits
	.p2align	6, 0x0
	.amdhsa_kernel _ZN7rocprim17ROCPRIM_400000_NS6detail17trampoline_kernelINS0_14default_configENS1_20scan_config_selectorIxEEZZNS1_9scan_implILNS1_25lookback_scan_determinismE0ELb1ELb1ES3_N6thrust23THRUST_200600_302600_NS6detail15normal_iteratorINS9_10device_ptrIxEEEENS9_16discard_iteratorINS9_11use_defaultEEExNS9_4plusIvEExEEDaPvRmT3_T4_T5_mT6_P12ihipStream_tbENKUlT_T0_E_clISt17integral_constantIbLb0EESX_EEDaSS_ST_EUlSS_E_NS1_11comp_targetILNS1_3genE8ELNS1_11target_archE1030ELNS1_3gpuE2ELNS1_3repE0EEENS1_30default_config_static_selectorELNS0_4arch9wavefront6targetE1EEEvT1_
		.amdhsa_group_segment_fixed_size 0
		.amdhsa_private_segment_fixed_size 0
		.amdhsa_kernarg_size 112
		.amdhsa_user_sgpr_count 6
		.amdhsa_user_sgpr_private_segment_buffer 1
		.amdhsa_user_sgpr_dispatch_ptr 0
		.amdhsa_user_sgpr_queue_ptr 0
		.amdhsa_user_sgpr_kernarg_segment_ptr 1
		.amdhsa_user_sgpr_dispatch_id 0
		.amdhsa_user_sgpr_flat_scratch_init 0
		.amdhsa_user_sgpr_kernarg_preload_length 0
		.amdhsa_user_sgpr_kernarg_preload_offset 0
		.amdhsa_user_sgpr_private_segment_size 0
		.amdhsa_uses_dynamic_stack 0
		.amdhsa_system_sgpr_private_segment_wavefront_offset 0
		.amdhsa_system_sgpr_workgroup_id_x 1
		.amdhsa_system_sgpr_workgroup_id_y 0
		.amdhsa_system_sgpr_workgroup_id_z 0
		.amdhsa_system_sgpr_workgroup_info 0
		.amdhsa_system_vgpr_workitem_id 0
		.amdhsa_next_free_vgpr 1
		.amdhsa_next_free_sgpr 0
		.amdhsa_accum_offset 4
		.amdhsa_reserve_vcc 0
		.amdhsa_reserve_flat_scratch 0
		.amdhsa_float_round_mode_32 0
		.amdhsa_float_round_mode_16_64 0
		.amdhsa_float_denorm_mode_32 3
		.amdhsa_float_denorm_mode_16_64 3
		.amdhsa_dx10_clamp 1
		.amdhsa_ieee_mode 1
		.amdhsa_fp16_overflow 0
		.amdhsa_tg_split 0
		.amdhsa_exception_fp_ieee_invalid_op 0
		.amdhsa_exception_fp_denorm_src 0
		.amdhsa_exception_fp_ieee_div_zero 0
		.amdhsa_exception_fp_ieee_overflow 0
		.amdhsa_exception_fp_ieee_underflow 0
		.amdhsa_exception_fp_ieee_inexact 0
		.amdhsa_exception_int_div_zero 0
	.end_amdhsa_kernel
	.section	.text._ZN7rocprim17ROCPRIM_400000_NS6detail17trampoline_kernelINS0_14default_configENS1_20scan_config_selectorIxEEZZNS1_9scan_implILNS1_25lookback_scan_determinismE0ELb1ELb1ES3_N6thrust23THRUST_200600_302600_NS6detail15normal_iteratorINS9_10device_ptrIxEEEENS9_16discard_iteratorINS9_11use_defaultEEExNS9_4plusIvEExEEDaPvRmT3_T4_T5_mT6_P12ihipStream_tbENKUlT_T0_E_clISt17integral_constantIbLb0EESX_EEDaSS_ST_EUlSS_E_NS1_11comp_targetILNS1_3genE8ELNS1_11target_archE1030ELNS1_3gpuE2ELNS1_3repE0EEENS1_30default_config_static_selectorELNS0_4arch9wavefront6targetE1EEEvT1_,"axG",@progbits,_ZN7rocprim17ROCPRIM_400000_NS6detail17trampoline_kernelINS0_14default_configENS1_20scan_config_selectorIxEEZZNS1_9scan_implILNS1_25lookback_scan_determinismE0ELb1ELb1ES3_N6thrust23THRUST_200600_302600_NS6detail15normal_iteratorINS9_10device_ptrIxEEEENS9_16discard_iteratorINS9_11use_defaultEEExNS9_4plusIvEExEEDaPvRmT3_T4_T5_mT6_P12ihipStream_tbENKUlT_T0_E_clISt17integral_constantIbLb0EESX_EEDaSS_ST_EUlSS_E_NS1_11comp_targetILNS1_3genE8ELNS1_11target_archE1030ELNS1_3gpuE2ELNS1_3repE0EEENS1_30default_config_static_selectorELNS0_4arch9wavefront6targetE1EEEvT1_,comdat
.Lfunc_end5662:
	.size	_ZN7rocprim17ROCPRIM_400000_NS6detail17trampoline_kernelINS0_14default_configENS1_20scan_config_selectorIxEEZZNS1_9scan_implILNS1_25lookback_scan_determinismE0ELb1ELb1ES3_N6thrust23THRUST_200600_302600_NS6detail15normal_iteratorINS9_10device_ptrIxEEEENS9_16discard_iteratorINS9_11use_defaultEEExNS9_4plusIvEExEEDaPvRmT3_T4_T5_mT6_P12ihipStream_tbENKUlT_T0_E_clISt17integral_constantIbLb0EESX_EEDaSS_ST_EUlSS_E_NS1_11comp_targetILNS1_3genE8ELNS1_11target_archE1030ELNS1_3gpuE2ELNS1_3repE0EEENS1_30default_config_static_selectorELNS0_4arch9wavefront6targetE1EEEvT1_, .Lfunc_end5662-_ZN7rocprim17ROCPRIM_400000_NS6detail17trampoline_kernelINS0_14default_configENS1_20scan_config_selectorIxEEZZNS1_9scan_implILNS1_25lookback_scan_determinismE0ELb1ELb1ES3_N6thrust23THRUST_200600_302600_NS6detail15normal_iteratorINS9_10device_ptrIxEEEENS9_16discard_iteratorINS9_11use_defaultEEExNS9_4plusIvEExEEDaPvRmT3_T4_T5_mT6_P12ihipStream_tbENKUlT_T0_E_clISt17integral_constantIbLb0EESX_EEDaSS_ST_EUlSS_E_NS1_11comp_targetILNS1_3genE8ELNS1_11target_archE1030ELNS1_3gpuE2ELNS1_3repE0EEENS1_30default_config_static_selectorELNS0_4arch9wavefront6targetE1EEEvT1_
                                        ; -- End function
	.section	.AMDGPU.csdata,"",@progbits
; Kernel info:
; codeLenInByte = 0
; NumSgprs: 4
; NumVgprs: 0
; NumAgprs: 0
; TotalNumVgprs: 0
; ScratchSize: 0
; MemoryBound: 0
; FloatMode: 240
; IeeeMode: 1
; LDSByteSize: 0 bytes/workgroup (compile time only)
; SGPRBlocks: 0
; VGPRBlocks: 0
; NumSGPRsForWavesPerEU: 4
; NumVGPRsForWavesPerEU: 1
; AccumOffset: 4
; Occupancy: 8
; WaveLimiterHint : 0
; COMPUTE_PGM_RSRC2:SCRATCH_EN: 0
; COMPUTE_PGM_RSRC2:USER_SGPR: 6
; COMPUTE_PGM_RSRC2:TRAP_HANDLER: 0
; COMPUTE_PGM_RSRC2:TGID_X_EN: 1
; COMPUTE_PGM_RSRC2:TGID_Y_EN: 0
; COMPUTE_PGM_RSRC2:TGID_Z_EN: 0
; COMPUTE_PGM_RSRC2:TIDIG_COMP_CNT: 0
; COMPUTE_PGM_RSRC3_GFX90A:ACCUM_OFFSET: 0
; COMPUTE_PGM_RSRC3_GFX90A:TG_SPLIT: 0
	.section	.text._ZN7rocprim17ROCPRIM_400000_NS6detail17trampoline_kernelINS0_14default_configENS1_20scan_config_selectorIxEEZZNS1_9scan_implILNS1_25lookback_scan_determinismE0ELb1ELb1ES3_N6thrust23THRUST_200600_302600_NS6detail15normal_iteratorINS9_10device_ptrIxEEEENS9_16discard_iteratorINS9_11use_defaultEEExNS9_4plusIvEExEEDaPvRmT3_T4_T5_mT6_P12ihipStream_tbENKUlT_T0_E_clISt17integral_constantIbLb0EESX_EEDaSS_ST_EUlSS_E0_NS1_11comp_targetILNS1_3genE0ELNS1_11target_archE4294967295ELNS1_3gpuE0ELNS1_3repE0EEENS1_30default_config_static_selectorELNS0_4arch9wavefront6targetE1EEEvT1_,"axG",@progbits,_ZN7rocprim17ROCPRIM_400000_NS6detail17trampoline_kernelINS0_14default_configENS1_20scan_config_selectorIxEEZZNS1_9scan_implILNS1_25lookback_scan_determinismE0ELb1ELb1ES3_N6thrust23THRUST_200600_302600_NS6detail15normal_iteratorINS9_10device_ptrIxEEEENS9_16discard_iteratorINS9_11use_defaultEEExNS9_4plusIvEExEEDaPvRmT3_T4_T5_mT6_P12ihipStream_tbENKUlT_T0_E_clISt17integral_constantIbLb0EESX_EEDaSS_ST_EUlSS_E0_NS1_11comp_targetILNS1_3genE0ELNS1_11target_archE4294967295ELNS1_3gpuE0ELNS1_3repE0EEENS1_30default_config_static_selectorELNS0_4arch9wavefront6targetE1EEEvT1_,comdat
	.protected	_ZN7rocprim17ROCPRIM_400000_NS6detail17trampoline_kernelINS0_14default_configENS1_20scan_config_selectorIxEEZZNS1_9scan_implILNS1_25lookback_scan_determinismE0ELb1ELb1ES3_N6thrust23THRUST_200600_302600_NS6detail15normal_iteratorINS9_10device_ptrIxEEEENS9_16discard_iteratorINS9_11use_defaultEEExNS9_4plusIvEExEEDaPvRmT3_T4_T5_mT6_P12ihipStream_tbENKUlT_T0_E_clISt17integral_constantIbLb0EESX_EEDaSS_ST_EUlSS_E0_NS1_11comp_targetILNS1_3genE0ELNS1_11target_archE4294967295ELNS1_3gpuE0ELNS1_3repE0EEENS1_30default_config_static_selectorELNS0_4arch9wavefront6targetE1EEEvT1_ ; -- Begin function _ZN7rocprim17ROCPRIM_400000_NS6detail17trampoline_kernelINS0_14default_configENS1_20scan_config_selectorIxEEZZNS1_9scan_implILNS1_25lookback_scan_determinismE0ELb1ELb1ES3_N6thrust23THRUST_200600_302600_NS6detail15normal_iteratorINS9_10device_ptrIxEEEENS9_16discard_iteratorINS9_11use_defaultEEExNS9_4plusIvEExEEDaPvRmT3_T4_T5_mT6_P12ihipStream_tbENKUlT_T0_E_clISt17integral_constantIbLb0EESX_EEDaSS_ST_EUlSS_E0_NS1_11comp_targetILNS1_3genE0ELNS1_11target_archE4294967295ELNS1_3gpuE0ELNS1_3repE0EEENS1_30default_config_static_selectorELNS0_4arch9wavefront6targetE1EEEvT1_
	.globl	_ZN7rocprim17ROCPRIM_400000_NS6detail17trampoline_kernelINS0_14default_configENS1_20scan_config_selectorIxEEZZNS1_9scan_implILNS1_25lookback_scan_determinismE0ELb1ELb1ES3_N6thrust23THRUST_200600_302600_NS6detail15normal_iteratorINS9_10device_ptrIxEEEENS9_16discard_iteratorINS9_11use_defaultEEExNS9_4plusIvEExEEDaPvRmT3_T4_T5_mT6_P12ihipStream_tbENKUlT_T0_E_clISt17integral_constantIbLb0EESX_EEDaSS_ST_EUlSS_E0_NS1_11comp_targetILNS1_3genE0ELNS1_11target_archE4294967295ELNS1_3gpuE0ELNS1_3repE0EEENS1_30default_config_static_selectorELNS0_4arch9wavefront6targetE1EEEvT1_
	.p2align	8
	.type	_ZN7rocprim17ROCPRIM_400000_NS6detail17trampoline_kernelINS0_14default_configENS1_20scan_config_selectorIxEEZZNS1_9scan_implILNS1_25lookback_scan_determinismE0ELb1ELb1ES3_N6thrust23THRUST_200600_302600_NS6detail15normal_iteratorINS9_10device_ptrIxEEEENS9_16discard_iteratorINS9_11use_defaultEEExNS9_4plusIvEExEEDaPvRmT3_T4_T5_mT6_P12ihipStream_tbENKUlT_T0_E_clISt17integral_constantIbLb0EESX_EEDaSS_ST_EUlSS_E0_NS1_11comp_targetILNS1_3genE0ELNS1_11target_archE4294967295ELNS1_3gpuE0ELNS1_3repE0EEENS1_30default_config_static_selectorELNS0_4arch9wavefront6targetE1EEEvT1_,@function
_ZN7rocprim17ROCPRIM_400000_NS6detail17trampoline_kernelINS0_14default_configENS1_20scan_config_selectorIxEEZZNS1_9scan_implILNS1_25lookback_scan_determinismE0ELb1ELb1ES3_N6thrust23THRUST_200600_302600_NS6detail15normal_iteratorINS9_10device_ptrIxEEEENS9_16discard_iteratorINS9_11use_defaultEEExNS9_4plusIvEExEEDaPvRmT3_T4_T5_mT6_P12ihipStream_tbENKUlT_T0_E_clISt17integral_constantIbLb0EESX_EEDaSS_ST_EUlSS_E0_NS1_11comp_targetILNS1_3genE0ELNS1_11target_archE4294967295ELNS1_3gpuE0ELNS1_3repE0EEENS1_30default_config_static_selectorELNS0_4arch9wavefront6targetE1EEEvT1_: ; @_ZN7rocprim17ROCPRIM_400000_NS6detail17trampoline_kernelINS0_14default_configENS1_20scan_config_selectorIxEEZZNS1_9scan_implILNS1_25lookback_scan_determinismE0ELb1ELb1ES3_N6thrust23THRUST_200600_302600_NS6detail15normal_iteratorINS9_10device_ptrIxEEEENS9_16discard_iteratorINS9_11use_defaultEEExNS9_4plusIvEExEEDaPvRmT3_T4_T5_mT6_P12ihipStream_tbENKUlT_T0_E_clISt17integral_constantIbLb0EESX_EEDaSS_ST_EUlSS_E0_NS1_11comp_targetILNS1_3genE0ELNS1_11target_archE4294967295ELNS1_3gpuE0ELNS1_3repE0EEENS1_30default_config_static_selectorELNS0_4arch9wavefront6targetE1EEEvT1_
; %bb.0:
	.section	.rodata,"a",@progbits
	.p2align	6, 0x0
	.amdhsa_kernel _ZN7rocprim17ROCPRIM_400000_NS6detail17trampoline_kernelINS0_14default_configENS1_20scan_config_selectorIxEEZZNS1_9scan_implILNS1_25lookback_scan_determinismE0ELb1ELb1ES3_N6thrust23THRUST_200600_302600_NS6detail15normal_iteratorINS9_10device_ptrIxEEEENS9_16discard_iteratorINS9_11use_defaultEEExNS9_4plusIvEExEEDaPvRmT3_T4_T5_mT6_P12ihipStream_tbENKUlT_T0_E_clISt17integral_constantIbLb0EESX_EEDaSS_ST_EUlSS_E0_NS1_11comp_targetILNS1_3genE0ELNS1_11target_archE4294967295ELNS1_3gpuE0ELNS1_3repE0EEENS1_30default_config_static_selectorELNS0_4arch9wavefront6targetE1EEEvT1_
		.amdhsa_group_segment_fixed_size 0
		.amdhsa_private_segment_fixed_size 0
		.amdhsa_kernarg_size 48
		.amdhsa_user_sgpr_count 6
		.amdhsa_user_sgpr_private_segment_buffer 1
		.amdhsa_user_sgpr_dispatch_ptr 0
		.amdhsa_user_sgpr_queue_ptr 0
		.amdhsa_user_sgpr_kernarg_segment_ptr 1
		.amdhsa_user_sgpr_dispatch_id 0
		.amdhsa_user_sgpr_flat_scratch_init 0
		.amdhsa_user_sgpr_kernarg_preload_length 0
		.amdhsa_user_sgpr_kernarg_preload_offset 0
		.amdhsa_user_sgpr_private_segment_size 0
		.amdhsa_uses_dynamic_stack 0
		.amdhsa_system_sgpr_private_segment_wavefront_offset 0
		.amdhsa_system_sgpr_workgroup_id_x 1
		.amdhsa_system_sgpr_workgroup_id_y 0
		.amdhsa_system_sgpr_workgroup_id_z 0
		.amdhsa_system_sgpr_workgroup_info 0
		.amdhsa_system_vgpr_workitem_id 0
		.amdhsa_next_free_vgpr 1
		.amdhsa_next_free_sgpr 0
		.amdhsa_accum_offset 4
		.amdhsa_reserve_vcc 0
		.amdhsa_reserve_flat_scratch 0
		.amdhsa_float_round_mode_32 0
		.amdhsa_float_round_mode_16_64 0
		.amdhsa_float_denorm_mode_32 3
		.amdhsa_float_denorm_mode_16_64 3
		.amdhsa_dx10_clamp 1
		.amdhsa_ieee_mode 1
		.amdhsa_fp16_overflow 0
		.amdhsa_tg_split 0
		.amdhsa_exception_fp_ieee_invalid_op 0
		.amdhsa_exception_fp_denorm_src 0
		.amdhsa_exception_fp_ieee_div_zero 0
		.amdhsa_exception_fp_ieee_overflow 0
		.amdhsa_exception_fp_ieee_underflow 0
		.amdhsa_exception_fp_ieee_inexact 0
		.amdhsa_exception_int_div_zero 0
	.end_amdhsa_kernel
	.section	.text._ZN7rocprim17ROCPRIM_400000_NS6detail17trampoline_kernelINS0_14default_configENS1_20scan_config_selectorIxEEZZNS1_9scan_implILNS1_25lookback_scan_determinismE0ELb1ELb1ES3_N6thrust23THRUST_200600_302600_NS6detail15normal_iteratorINS9_10device_ptrIxEEEENS9_16discard_iteratorINS9_11use_defaultEEExNS9_4plusIvEExEEDaPvRmT3_T4_T5_mT6_P12ihipStream_tbENKUlT_T0_E_clISt17integral_constantIbLb0EESX_EEDaSS_ST_EUlSS_E0_NS1_11comp_targetILNS1_3genE0ELNS1_11target_archE4294967295ELNS1_3gpuE0ELNS1_3repE0EEENS1_30default_config_static_selectorELNS0_4arch9wavefront6targetE1EEEvT1_,"axG",@progbits,_ZN7rocprim17ROCPRIM_400000_NS6detail17trampoline_kernelINS0_14default_configENS1_20scan_config_selectorIxEEZZNS1_9scan_implILNS1_25lookback_scan_determinismE0ELb1ELb1ES3_N6thrust23THRUST_200600_302600_NS6detail15normal_iteratorINS9_10device_ptrIxEEEENS9_16discard_iteratorINS9_11use_defaultEEExNS9_4plusIvEExEEDaPvRmT3_T4_T5_mT6_P12ihipStream_tbENKUlT_T0_E_clISt17integral_constantIbLb0EESX_EEDaSS_ST_EUlSS_E0_NS1_11comp_targetILNS1_3genE0ELNS1_11target_archE4294967295ELNS1_3gpuE0ELNS1_3repE0EEENS1_30default_config_static_selectorELNS0_4arch9wavefront6targetE1EEEvT1_,comdat
.Lfunc_end5663:
	.size	_ZN7rocprim17ROCPRIM_400000_NS6detail17trampoline_kernelINS0_14default_configENS1_20scan_config_selectorIxEEZZNS1_9scan_implILNS1_25lookback_scan_determinismE0ELb1ELb1ES3_N6thrust23THRUST_200600_302600_NS6detail15normal_iteratorINS9_10device_ptrIxEEEENS9_16discard_iteratorINS9_11use_defaultEEExNS9_4plusIvEExEEDaPvRmT3_T4_T5_mT6_P12ihipStream_tbENKUlT_T0_E_clISt17integral_constantIbLb0EESX_EEDaSS_ST_EUlSS_E0_NS1_11comp_targetILNS1_3genE0ELNS1_11target_archE4294967295ELNS1_3gpuE0ELNS1_3repE0EEENS1_30default_config_static_selectorELNS0_4arch9wavefront6targetE1EEEvT1_, .Lfunc_end5663-_ZN7rocprim17ROCPRIM_400000_NS6detail17trampoline_kernelINS0_14default_configENS1_20scan_config_selectorIxEEZZNS1_9scan_implILNS1_25lookback_scan_determinismE0ELb1ELb1ES3_N6thrust23THRUST_200600_302600_NS6detail15normal_iteratorINS9_10device_ptrIxEEEENS9_16discard_iteratorINS9_11use_defaultEEExNS9_4plusIvEExEEDaPvRmT3_T4_T5_mT6_P12ihipStream_tbENKUlT_T0_E_clISt17integral_constantIbLb0EESX_EEDaSS_ST_EUlSS_E0_NS1_11comp_targetILNS1_3genE0ELNS1_11target_archE4294967295ELNS1_3gpuE0ELNS1_3repE0EEENS1_30default_config_static_selectorELNS0_4arch9wavefront6targetE1EEEvT1_
                                        ; -- End function
	.section	.AMDGPU.csdata,"",@progbits
; Kernel info:
; codeLenInByte = 0
; NumSgprs: 4
; NumVgprs: 0
; NumAgprs: 0
; TotalNumVgprs: 0
; ScratchSize: 0
; MemoryBound: 0
; FloatMode: 240
; IeeeMode: 1
; LDSByteSize: 0 bytes/workgroup (compile time only)
; SGPRBlocks: 0
; VGPRBlocks: 0
; NumSGPRsForWavesPerEU: 4
; NumVGPRsForWavesPerEU: 1
; AccumOffset: 4
; Occupancy: 8
; WaveLimiterHint : 0
; COMPUTE_PGM_RSRC2:SCRATCH_EN: 0
; COMPUTE_PGM_RSRC2:USER_SGPR: 6
; COMPUTE_PGM_RSRC2:TRAP_HANDLER: 0
; COMPUTE_PGM_RSRC2:TGID_X_EN: 1
; COMPUTE_PGM_RSRC2:TGID_Y_EN: 0
; COMPUTE_PGM_RSRC2:TGID_Z_EN: 0
; COMPUTE_PGM_RSRC2:TIDIG_COMP_CNT: 0
; COMPUTE_PGM_RSRC3_GFX90A:ACCUM_OFFSET: 0
; COMPUTE_PGM_RSRC3_GFX90A:TG_SPLIT: 0
	.section	.text._ZN7rocprim17ROCPRIM_400000_NS6detail17trampoline_kernelINS0_14default_configENS1_20scan_config_selectorIxEEZZNS1_9scan_implILNS1_25lookback_scan_determinismE0ELb1ELb1ES3_N6thrust23THRUST_200600_302600_NS6detail15normal_iteratorINS9_10device_ptrIxEEEENS9_16discard_iteratorINS9_11use_defaultEEExNS9_4plusIvEExEEDaPvRmT3_T4_T5_mT6_P12ihipStream_tbENKUlT_T0_E_clISt17integral_constantIbLb0EESX_EEDaSS_ST_EUlSS_E0_NS1_11comp_targetILNS1_3genE5ELNS1_11target_archE942ELNS1_3gpuE9ELNS1_3repE0EEENS1_30default_config_static_selectorELNS0_4arch9wavefront6targetE1EEEvT1_,"axG",@progbits,_ZN7rocprim17ROCPRIM_400000_NS6detail17trampoline_kernelINS0_14default_configENS1_20scan_config_selectorIxEEZZNS1_9scan_implILNS1_25lookback_scan_determinismE0ELb1ELb1ES3_N6thrust23THRUST_200600_302600_NS6detail15normal_iteratorINS9_10device_ptrIxEEEENS9_16discard_iteratorINS9_11use_defaultEEExNS9_4plusIvEExEEDaPvRmT3_T4_T5_mT6_P12ihipStream_tbENKUlT_T0_E_clISt17integral_constantIbLb0EESX_EEDaSS_ST_EUlSS_E0_NS1_11comp_targetILNS1_3genE5ELNS1_11target_archE942ELNS1_3gpuE9ELNS1_3repE0EEENS1_30default_config_static_selectorELNS0_4arch9wavefront6targetE1EEEvT1_,comdat
	.protected	_ZN7rocprim17ROCPRIM_400000_NS6detail17trampoline_kernelINS0_14default_configENS1_20scan_config_selectorIxEEZZNS1_9scan_implILNS1_25lookback_scan_determinismE0ELb1ELb1ES3_N6thrust23THRUST_200600_302600_NS6detail15normal_iteratorINS9_10device_ptrIxEEEENS9_16discard_iteratorINS9_11use_defaultEEExNS9_4plusIvEExEEDaPvRmT3_T4_T5_mT6_P12ihipStream_tbENKUlT_T0_E_clISt17integral_constantIbLb0EESX_EEDaSS_ST_EUlSS_E0_NS1_11comp_targetILNS1_3genE5ELNS1_11target_archE942ELNS1_3gpuE9ELNS1_3repE0EEENS1_30default_config_static_selectorELNS0_4arch9wavefront6targetE1EEEvT1_ ; -- Begin function _ZN7rocprim17ROCPRIM_400000_NS6detail17trampoline_kernelINS0_14default_configENS1_20scan_config_selectorIxEEZZNS1_9scan_implILNS1_25lookback_scan_determinismE0ELb1ELb1ES3_N6thrust23THRUST_200600_302600_NS6detail15normal_iteratorINS9_10device_ptrIxEEEENS9_16discard_iteratorINS9_11use_defaultEEExNS9_4plusIvEExEEDaPvRmT3_T4_T5_mT6_P12ihipStream_tbENKUlT_T0_E_clISt17integral_constantIbLb0EESX_EEDaSS_ST_EUlSS_E0_NS1_11comp_targetILNS1_3genE5ELNS1_11target_archE942ELNS1_3gpuE9ELNS1_3repE0EEENS1_30default_config_static_selectorELNS0_4arch9wavefront6targetE1EEEvT1_
	.globl	_ZN7rocprim17ROCPRIM_400000_NS6detail17trampoline_kernelINS0_14default_configENS1_20scan_config_selectorIxEEZZNS1_9scan_implILNS1_25lookback_scan_determinismE0ELb1ELb1ES3_N6thrust23THRUST_200600_302600_NS6detail15normal_iteratorINS9_10device_ptrIxEEEENS9_16discard_iteratorINS9_11use_defaultEEExNS9_4plusIvEExEEDaPvRmT3_T4_T5_mT6_P12ihipStream_tbENKUlT_T0_E_clISt17integral_constantIbLb0EESX_EEDaSS_ST_EUlSS_E0_NS1_11comp_targetILNS1_3genE5ELNS1_11target_archE942ELNS1_3gpuE9ELNS1_3repE0EEENS1_30default_config_static_selectorELNS0_4arch9wavefront6targetE1EEEvT1_
	.p2align	8
	.type	_ZN7rocprim17ROCPRIM_400000_NS6detail17trampoline_kernelINS0_14default_configENS1_20scan_config_selectorIxEEZZNS1_9scan_implILNS1_25lookback_scan_determinismE0ELb1ELb1ES3_N6thrust23THRUST_200600_302600_NS6detail15normal_iteratorINS9_10device_ptrIxEEEENS9_16discard_iteratorINS9_11use_defaultEEExNS9_4plusIvEExEEDaPvRmT3_T4_T5_mT6_P12ihipStream_tbENKUlT_T0_E_clISt17integral_constantIbLb0EESX_EEDaSS_ST_EUlSS_E0_NS1_11comp_targetILNS1_3genE5ELNS1_11target_archE942ELNS1_3gpuE9ELNS1_3repE0EEENS1_30default_config_static_selectorELNS0_4arch9wavefront6targetE1EEEvT1_,@function
_ZN7rocprim17ROCPRIM_400000_NS6detail17trampoline_kernelINS0_14default_configENS1_20scan_config_selectorIxEEZZNS1_9scan_implILNS1_25lookback_scan_determinismE0ELb1ELb1ES3_N6thrust23THRUST_200600_302600_NS6detail15normal_iteratorINS9_10device_ptrIxEEEENS9_16discard_iteratorINS9_11use_defaultEEExNS9_4plusIvEExEEDaPvRmT3_T4_T5_mT6_P12ihipStream_tbENKUlT_T0_E_clISt17integral_constantIbLb0EESX_EEDaSS_ST_EUlSS_E0_NS1_11comp_targetILNS1_3genE5ELNS1_11target_archE942ELNS1_3gpuE9ELNS1_3repE0EEENS1_30default_config_static_selectorELNS0_4arch9wavefront6targetE1EEEvT1_: ; @_ZN7rocprim17ROCPRIM_400000_NS6detail17trampoline_kernelINS0_14default_configENS1_20scan_config_selectorIxEEZZNS1_9scan_implILNS1_25lookback_scan_determinismE0ELb1ELb1ES3_N6thrust23THRUST_200600_302600_NS6detail15normal_iteratorINS9_10device_ptrIxEEEENS9_16discard_iteratorINS9_11use_defaultEEExNS9_4plusIvEExEEDaPvRmT3_T4_T5_mT6_P12ihipStream_tbENKUlT_T0_E_clISt17integral_constantIbLb0EESX_EEDaSS_ST_EUlSS_E0_NS1_11comp_targetILNS1_3genE5ELNS1_11target_archE942ELNS1_3gpuE9ELNS1_3repE0EEENS1_30default_config_static_selectorELNS0_4arch9wavefront6targetE1EEEvT1_
; %bb.0:
	.section	.rodata,"a",@progbits
	.p2align	6, 0x0
	.amdhsa_kernel _ZN7rocprim17ROCPRIM_400000_NS6detail17trampoline_kernelINS0_14default_configENS1_20scan_config_selectorIxEEZZNS1_9scan_implILNS1_25lookback_scan_determinismE0ELb1ELb1ES3_N6thrust23THRUST_200600_302600_NS6detail15normal_iteratorINS9_10device_ptrIxEEEENS9_16discard_iteratorINS9_11use_defaultEEExNS9_4plusIvEExEEDaPvRmT3_T4_T5_mT6_P12ihipStream_tbENKUlT_T0_E_clISt17integral_constantIbLb0EESX_EEDaSS_ST_EUlSS_E0_NS1_11comp_targetILNS1_3genE5ELNS1_11target_archE942ELNS1_3gpuE9ELNS1_3repE0EEENS1_30default_config_static_selectorELNS0_4arch9wavefront6targetE1EEEvT1_
		.amdhsa_group_segment_fixed_size 0
		.amdhsa_private_segment_fixed_size 0
		.amdhsa_kernarg_size 48
		.amdhsa_user_sgpr_count 6
		.amdhsa_user_sgpr_private_segment_buffer 1
		.amdhsa_user_sgpr_dispatch_ptr 0
		.amdhsa_user_sgpr_queue_ptr 0
		.amdhsa_user_sgpr_kernarg_segment_ptr 1
		.amdhsa_user_sgpr_dispatch_id 0
		.amdhsa_user_sgpr_flat_scratch_init 0
		.amdhsa_user_sgpr_kernarg_preload_length 0
		.amdhsa_user_sgpr_kernarg_preload_offset 0
		.amdhsa_user_sgpr_private_segment_size 0
		.amdhsa_uses_dynamic_stack 0
		.amdhsa_system_sgpr_private_segment_wavefront_offset 0
		.amdhsa_system_sgpr_workgroup_id_x 1
		.amdhsa_system_sgpr_workgroup_id_y 0
		.amdhsa_system_sgpr_workgroup_id_z 0
		.amdhsa_system_sgpr_workgroup_info 0
		.amdhsa_system_vgpr_workitem_id 0
		.amdhsa_next_free_vgpr 1
		.amdhsa_next_free_sgpr 0
		.amdhsa_accum_offset 4
		.amdhsa_reserve_vcc 0
		.amdhsa_reserve_flat_scratch 0
		.amdhsa_float_round_mode_32 0
		.amdhsa_float_round_mode_16_64 0
		.amdhsa_float_denorm_mode_32 3
		.amdhsa_float_denorm_mode_16_64 3
		.amdhsa_dx10_clamp 1
		.amdhsa_ieee_mode 1
		.amdhsa_fp16_overflow 0
		.amdhsa_tg_split 0
		.amdhsa_exception_fp_ieee_invalid_op 0
		.amdhsa_exception_fp_denorm_src 0
		.amdhsa_exception_fp_ieee_div_zero 0
		.amdhsa_exception_fp_ieee_overflow 0
		.amdhsa_exception_fp_ieee_underflow 0
		.amdhsa_exception_fp_ieee_inexact 0
		.amdhsa_exception_int_div_zero 0
	.end_amdhsa_kernel
	.section	.text._ZN7rocprim17ROCPRIM_400000_NS6detail17trampoline_kernelINS0_14default_configENS1_20scan_config_selectorIxEEZZNS1_9scan_implILNS1_25lookback_scan_determinismE0ELb1ELb1ES3_N6thrust23THRUST_200600_302600_NS6detail15normal_iteratorINS9_10device_ptrIxEEEENS9_16discard_iteratorINS9_11use_defaultEEExNS9_4plusIvEExEEDaPvRmT3_T4_T5_mT6_P12ihipStream_tbENKUlT_T0_E_clISt17integral_constantIbLb0EESX_EEDaSS_ST_EUlSS_E0_NS1_11comp_targetILNS1_3genE5ELNS1_11target_archE942ELNS1_3gpuE9ELNS1_3repE0EEENS1_30default_config_static_selectorELNS0_4arch9wavefront6targetE1EEEvT1_,"axG",@progbits,_ZN7rocprim17ROCPRIM_400000_NS6detail17trampoline_kernelINS0_14default_configENS1_20scan_config_selectorIxEEZZNS1_9scan_implILNS1_25lookback_scan_determinismE0ELb1ELb1ES3_N6thrust23THRUST_200600_302600_NS6detail15normal_iteratorINS9_10device_ptrIxEEEENS9_16discard_iteratorINS9_11use_defaultEEExNS9_4plusIvEExEEDaPvRmT3_T4_T5_mT6_P12ihipStream_tbENKUlT_T0_E_clISt17integral_constantIbLb0EESX_EEDaSS_ST_EUlSS_E0_NS1_11comp_targetILNS1_3genE5ELNS1_11target_archE942ELNS1_3gpuE9ELNS1_3repE0EEENS1_30default_config_static_selectorELNS0_4arch9wavefront6targetE1EEEvT1_,comdat
.Lfunc_end5664:
	.size	_ZN7rocprim17ROCPRIM_400000_NS6detail17trampoline_kernelINS0_14default_configENS1_20scan_config_selectorIxEEZZNS1_9scan_implILNS1_25lookback_scan_determinismE0ELb1ELb1ES3_N6thrust23THRUST_200600_302600_NS6detail15normal_iteratorINS9_10device_ptrIxEEEENS9_16discard_iteratorINS9_11use_defaultEEExNS9_4plusIvEExEEDaPvRmT3_T4_T5_mT6_P12ihipStream_tbENKUlT_T0_E_clISt17integral_constantIbLb0EESX_EEDaSS_ST_EUlSS_E0_NS1_11comp_targetILNS1_3genE5ELNS1_11target_archE942ELNS1_3gpuE9ELNS1_3repE0EEENS1_30default_config_static_selectorELNS0_4arch9wavefront6targetE1EEEvT1_, .Lfunc_end5664-_ZN7rocprim17ROCPRIM_400000_NS6detail17trampoline_kernelINS0_14default_configENS1_20scan_config_selectorIxEEZZNS1_9scan_implILNS1_25lookback_scan_determinismE0ELb1ELb1ES3_N6thrust23THRUST_200600_302600_NS6detail15normal_iteratorINS9_10device_ptrIxEEEENS9_16discard_iteratorINS9_11use_defaultEEExNS9_4plusIvEExEEDaPvRmT3_T4_T5_mT6_P12ihipStream_tbENKUlT_T0_E_clISt17integral_constantIbLb0EESX_EEDaSS_ST_EUlSS_E0_NS1_11comp_targetILNS1_3genE5ELNS1_11target_archE942ELNS1_3gpuE9ELNS1_3repE0EEENS1_30default_config_static_selectorELNS0_4arch9wavefront6targetE1EEEvT1_
                                        ; -- End function
	.section	.AMDGPU.csdata,"",@progbits
; Kernel info:
; codeLenInByte = 0
; NumSgprs: 4
; NumVgprs: 0
; NumAgprs: 0
; TotalNumVgprs: 0
; ScratchSize: 0
; MemoryBound: 0
; FloatMode: 240
; IeeeMode: 1
; LDSByteSize: 0 bytes/workgroup (compile time only)
; SGPRBlocks: 0
; VGPRBlocks: 0
; NumSGPRsForWavesPerEU: 4
; NumVGPRsForWavesPerEU: 1
; AccumOffset: 4
; Occupancy: 8
; WaveLimiterHint : 0
; COMPUTE_PGM_RSRC2:SCRATCH_EN: 0
; COMPUTE_PGM_RSRC2:USER_SGPR: 6
; COMPUTE_PGM_RSRC2:TRAP_HANDLER: 0
; COMPUTE_PGM_RSRC2:TGID_X_EN: 1
; COMPUTE_PGM_RSRC2:TGID_Y_EN: 0
; COMPUTE_PGM_RSRC2:TGID_Z_EN: 0
; COMPUTE_PGM_RSRC2:TIDIG_COMP_CNT: 0
; COMPUTE_PGM_RSRC3_GFX90A:ACCUM_OFFSET: 0
; COMPUTE_PGM_RSRC3_GFX90A:TG_SPLIT: 0
	.section	.text._ZN7rocprim17ROCPRIM_400000_NS6detail17trampoline_kernelINS0_14default_configENS1_20scan_config_selectorIxEEZZNS1_9scan_implILNS1_25lookback_scan_determinismE0ELb1ELb1ES3_N6thrust23THRUST_200600_302600_NS6detail15normal_iteratorINS9_10device_ptrIxEEEENS9_16discard_iteratorINS9_11use_defaultEEExNS9_4plusIvEExEEDaPvRmT3_T4_T5_mT6_P12ihipStream_tbENKUlT_T0_E_clISt17integral_constantIbLb0EESX_EEDaSS_ST_EUlSS_E0_NS1_11comp_targetILNS1_3genE4ELNS1_11target_archE910ELNS1_3gpuE8ELNS1_3repE0EEENS1_30default_config_static_selectorELNS0_4arch9wavefront6targetE1EEEvT1_,"axG",@progbits,_ZN7rocprim17ROCPRIM_400000_NS6detail17trampoline_kernelINS0_14default_configENS1_20scan_config_selectorIxEEZZNS1_9scan_implILNS1_25lookback_scan_determinismE0ELb1ELb1ES3_N6thrust23THRUST_200600_302600_NS6detail15normal_iteratorINS9_10device_ptrIxEEEENS9_16discard_iteratorINS9_11use_defaultEEExNS9_4plusIvEExEEDaPvRmT3_T4_T5_mT6_P12ihipStream_tbENKUlT_T0_E_clISt17integral_constantIbLb0EESX_EEDaSS_ST_EUlSS_E0_NS1_11comp_targetILNS1_3genE4ELNS1_11target_archE910ELNS1_3gpuE8ELNS1_3repE0EEENS1_30default_config_static_selectorELNS0_4arch9wavefront6targetE1EEEvT1_,comdat
	.protected	_ZN7rocprim17ROCPRIM_400000_NS6detail17trampoline_kernelINS0_14default_configENS1_20scan_config_selectorIxEEZZNS1_9scan_implILNS1_25lookback_scan_determinismE0ELb1ELb1ES3_N6thrust23THRUST_200600_302600_NS6detail15normal_iteratorINS9_10device_ptrIxEEEENS9_16discard_iteratorINS9_11use_defaultEEExNS9_4plusIvEExEEDaPvRmT3_T4_T5_mT6_P12ihipStream_tbENKUlT_T0_E_clISt17integral_constantIbLb0EESX_EEDaSS_ST_EUlSS_E0_NS1_11comp_targetILNS1_3genE4ELNS1_11target_archE910ELNS1_3gpuE8ELNS1_3repE0EEENS1_30default_config_static_selectorELNS0_4arch9wavefront6targetE1EEEvT1_ ; -- Begin function _ZN7rocprim17ROCPRIM_400000_NS6detail17trampoline_kernelINS0_14default_configENS1_20scan_config_selectorIxEEZZNS1_9scan_implILNS1_25lookback_scan_determinismE0ELb1ELb1ES3_N6thrust23THRUST_200600_302600_NS6detail15normal_iteratorINS9_10device_ptrIxEEEENS9_16discard_iteratorINS9_11use_defaultEEExNS9_4plusIvEExEEDaPvRmT3_T4_T5_mT6_P12ihipStream_tbENKUlT_T0_E_clISt17integral_constantIbLb0EESX_EEDaSS_ST_EUlSS_E0_NS1_11comp_targetILNS1_3genE4ELNS1_11target_archE910ELNS1_3gpuE8ELNS1_3repE0EEENS1_30default_config_static_selectorELNS0_4arch9wavefront6targetE1EEEvT1_
	.globl	_ZN7rocprim17ROCPRIM_400000_NS6detail17trampoline_kernelINS0_14default_configENS1_20scan_config_selectorIxEEZZNS1_9scan_implILNS1_25lookback_scan_determinismE0ELb1ELb1ES3_N6thrust23THRUST_200600_302600_NS6detail15normal_iteratorINS9_10device_ptrIxEEEENS9_16discard_iteratorINS9_11use_defaultEEExNS9_4plusIvEExEEDaPvRmT3_T4_T5_mT6_P12ihipStream_tbENKUlT_T0_E_clISt17integral_constantIbLb0EESX_EEDaSS_ST_EUlSS_E0_NS1_11comp_targetILNS1_3genE4ELNS1_11target_archE910ELNS1_3gpuE8ELNS1_3repE0EEENS1_30default_config_static_selectorELNS0_4arch9wavefront6targetE1EEEvT1_
	.p2align	8
	.type	_ZN7rocprim17ROCPRIM_400000_NS6detail17trampoline_kernelINS0_14default_configENS1_20scan_config_selectorIxEEZZNS1_9scan_implILNS1_25lookback_scan_determinismE0ELb1ELb1ES3_N6thrust23THRUST_200600_302600_NS6detail15normal_iteratorINS9_10device_ptrIxEEEENS9_16discard_iteratorINS9_11use_defaultEEExNS9_4plusIvEExEEDaPvRmT3_T4_T5_mT6_P12ihipStream_tbENKUlT_T0_E_clISt17integral_constantIbLb0EESX_EEDaSS_ST_EUlSS_E0_NS1_11comp_targetILNS1_3genE4ELNS1_11target_archE910ELNS1_3gpuE8ELNS1_3repE0EEENS1_30default_config_static_selectorELNS0_4arch9wavefront6targetE1EEEvT1_,@function
_ZN7rocprim17ROCPRIM_400000_NS6detail17trampoline_kernelINS0_14default_configENS1_20scan_config_selectorIxEEZZNS1_9scan_implILNS1_25lookback_scan_determinismE0ELb1ELb1ES3_N6thrust23THRUST_200600_302600_NS6detail15normal_iteratorINS9_10device_ptrIxEEEENS9_16discard_iteratorINS9_11use_defaultEEExNS9_4plusIvEExEEDaPvRmT3_T4_T5_mT6_P12ihipStream_tbENKUlT_T0_E_clISt17integral_constantIbLb0EESX_EEDaSS_ST_EUlSS_E0_NS1_11comp_targetILNS1_3genE4ELNS1_11target_archE910ELNS1_3gpuE8ELNS1_3repE0EEENS1_30default_config_static_selectorELNS0_4arch9wavefront6targetE1EEEvT1_: ; @_ZN7rocprim17ROCPRIM_400000_NS6detail17trampoline_kernelINS0_14default_configENS1_20scan_config_selectorIxEEZZNS1_9scan_implILNS1_25lookback_scan_determinismE0ELb1ELb1ES3_N6thrust23THRUST_200600_302600_NS6detail15normal_iteratorINS9_10device_ptrIxEEEENS9_16discard_iteratorINS9_11use_defaultEEExNS9_4plusIvEExEEDaPvRmT3_T4_T5_mT6_P12ihipStream_tbENKUlT_T0_E_clISt17integral_constantIbLb0EESX_EEDaSS_ST_EUlSS_E0_NS1_11comp_targetILNS1_3genE4ELNS1_11target_archE910ELNS1_3gpuE8ELNS1_3repE0EEENS1_30default_config_static_selectorELNS0_4arch9wavefront6targetE1EEEvT1_
; %bb.0:
	s_load_dwordx4 s[0:3], s[4:5], 0x0
	v_lshlrev_b32_e32 v20, 3, v0
	s_waitcnt lgkmcnt(0)
	s_load_dwordx2 s[6:7], s[0:1], 0x0
	v_cmp_gt_u32_e32 vcc, s2, v0
	s_waitcnt lgkmcnt(0)
	v_pk_mov_b32 v[2:3], s[6:7], s[6:7] op_sel:[0,1]
	s_and_saveexec_b64 s[8:9], vcc
	s_cbranch_execz .LBB5665_2
; %bb.1:
	global_load_dwordx2 v[2:3], v20, s[0:1]
.LBB5665_2:
	s_or_b64 exec, exec, s[8:9]
	v_or_b32_e32 v1, 0x80, v0
	v_cmp_gt_u32_e32 vcc, s2, v1
	v_pk_mov_b32 v[4:5], s[6:7], s[6:7] op_sel:[0,1]
	s_and_saveexec_b64 s[8:9], vcc
	s_cbranch_execz .LBB5665_4
; %bb.3:
	global_load_dwordx2 v[4:5], v20, s[0:1] offset:1024
.LBB5665_4:
	s_or_b64 exec, exec, s[8:9]
	v_or_b32_e32 v1, 0x100, v0
	v_cmp_gt_u32_e32 vcc, s2, v1
	v_pk_mov_b32 v[6:7], s[6:7], s[6:7] op_sel:[0,1]
	s_and_saveexec_b64 s[8:9], vcc
	s_cbranch_execz .LBB5665_6
; %bb.5:
	global_load_dwordx2 v[6:7], v20, s[0:1] offset:2048
.LBB5665_6:
	;; [unrolled: 9-line block ×3, first 2 shown]
	s_or_b64 exec, exec, s[8:9]
	v_or_b32_e32 v1, 0x200, v0
	v_cmp_gt_u32_e32 vcc, s2, v1
	v_pk_mov_b32 v[10:11], s[6:7], s[6:7] op_sel:[0,1]
	s_and_saveexec_b64 s[8:9], vcc
	s_cbranch_execz .LBB5665_10
; %bb.9:
	v_lshlrev_b32_e32 v1, 3, v1
	global_load_dwordx2 v[10:11], v1, s[0:1]
.LBB5665_10:
	s_or_b64 exec, exec, s[8:9]
	v_or_b32_e32 v1, 0x280, v0
	v_cmp_gt_u32_e32 vcc, s2, v1
	v_pk_mov_b32 v[12:13], s[6:7], s[6:7] op_sel:[0,1]
	s_and_saveexec_b64 s[8:9], vcc
	s_cbranch_execz .LBB5665_12
; %bb.11:
	v_lshlrev_b32_e32 v1, 3, v1
	global_load_dwordx2 v[12:13], v1, s[0:1]
.LBB5665_12:
	s_or_b64 exec, exec, s[8:9]
	s_load_dwordx2 s[4:5], s[4:5], 0x10
	v_or_b32_e32 v1, 0x300, v0
	v_cmp_gt_u32_e32 vcc, s2, v1
	v_pk_mov_b32 v[14:15], s[6:7], s[6:7] op_sel:[0,1]
	s_and_saveexec_b64 s[2:3], vcc
	s_cbranch_execz .LBB5665_14
; %bb.13:
	v_lshlrev_b32_e32 v1, 3, v1
	global_load_dwordx2 v[14:15], v1, s[0:1]
.LBB5665_14:
	s_or_b64 exec, exec, s[2:3]
	v_mad_u32_u24 v1, v0, 48, v20
	s_waitcnt vmcnt(0)
	ds_write2st64_b64 v20, v[2:3], v[4:5] offset1:2
	ds_write2st64_b64 v20, v[6:7], v[8:9] offset0:4 offset1:6
	ds_write2st64_b64 v20, v[10:11], v[12:13] offset0:8 offset1:10
	ds_write_b64 v20, v[14:15] offset:6144
	s_waitcnt lgkmcnt(0)
	s_barrier
	ds_read2_b64 v[2:5], v1 offset1:1
	ds_read2_b64 v[6:9], v1 offset0:2 offset1:3
	ds_read2_b64 v[10:13], v1 offset0:4 offset1:5
	ds_read_b64 v[14:15], v1 offset:48
	s_waitcnt lgkmcnt(0)
	v_add_co_u32_e32 v1, vcc, v4, v2
	v_addc_co_u32_e32 v16, vcc, v5, v3, vcc
	v_add_co_u32_e32 v1, vcc, v1, v6
	v_addc_co_u32_e32 v16, vcc, v16, v7, vcc
	;; [unrolled: 2-line block ×5, first 2 shown]
	v_add_co_u32_e32 v18, vcc, v1, v14
	v_lshrrev_b32_e32 v1, 2, v0
	v_addc_co_u32_e32 v19, vcc, v16, v15, vcc
	v_and_b32_e32 v1, 24, v1
	v_add_u32_e32 v1, v20, v1
	v_cmp_gt_u32_e32 vcc, 64, v0
	s_barrier
	ds_write_b64 v1, v[18:19]
	s_waitcnt lgkmcnt(0)
	s_barrier
	s_and_saveexec_b64 s[2:3], vcc
	s_cbranch_execz .LBB5665_18
; %bb.15:
	v_lshlrev_b32_e32 v1, 1, v0
	v_lshrrev_b32_e32 v14, 4, v0
	v_add_lshl_u32 v21, v14, v1, 3
	ds_read2_b64 v[14:17], v21 offset1:1
	v_mbcnt_lo_u32_b32 v1, -1, 0
	s_waitcnt lgkmcnt(0)
	v_add_co_u32_e32 v22, vcc, v16, v14
	v_addc_co_u32_e32 v23, vcc, v17, v15, vcc
	s_nop 0
	v_mov_b32_dpp v16, v22 row_shr:1 row_mask:0xf bank_mask:0xf
	v_add_co_u32_e32 v16, vcc, v22, v16
	v_addc_co_u32_e32 v25, vcc, 0, v23, vcc
	v_mbcnt_hi_u32_b32 v17, -1, v1
	v_mov_b32_dpp v24, v23 row_shr:1 row_mask:0xf bank_mask:0xf
	v_add_co_u32_e32 v26, vcc, 0, v16
	v_and_b32_e32 v1, 15, v17
	v_addc_co_u32_e32 v24, vcc, v24, v25, vcc
	v_cmp_eq_u32_e32 vcc, 0, v1
	v_cndmask_b32_e32 v16, v16, v22, vcc
	v_cndmask_b32_e32 v24, v24, v23, vcc
	v_cndmask_b32_e32 v25, v26, v22, vcc
	v_mov_b32_dpp v26, v16 row_shr:2 row_mask:0xf bank_mask:0xf
	v_mov_b32_dpp v27, v24 row_shr:2 row_mask:0xf bank_mask:0xf
	v_add_co_u32_e32 v26, vcc, v26, v25
	v_addc_co_u32_e32 v27, vcc, v27, v24, vcc
	v_cmp_lt_u32_e32 vcc, 1, v1
	v_cndmask_b32_e32 v16, v16, v26, vcc
	v_cndmask_b32_e32 v24, v24, v27, vcc
	v_cndmask_b32_e32 v25, v25, v26, vcc
	v_mov_b32_dpp v26, v16 row_shr:4 row_mask:0xf bank_mask:0xf
	v_mov_b32_dpp v27, v24 row_shr:4 row_mask:0xf bank_mask:0xf
	v_add_co_u32_e32 v26, vcc, v26, v25
	v_addc_co_u32_e32 v27, vcc, v27, v24, vcc
	v_cmp_lt_u32_e32 vcc, 3, v1
	;; [unrolled: 8-line block ×3, first 2 shown]
	v_cndmask_b32_e32 v28, v16, v26, vcc
	v_cndmask_b32_e32 v1, v24, v27, vcc
	;; [unrolled: 1-line block ×3, first 2 shown]
	v_mov_b32_dpp v24, v28 row_bcast:15 row_mask:0xf bank_mask:0xf
	v_mov_b32_dpp v25, v1 row_bcast:15 row_mask:0xf bank_mask:0xf
	v_add_co_u32_e32 v24, vcc, v24, v16
	v_and_b32_e32 v27, 16, v17
	v_addc_co_u32_e32 v26, vcc, v25, v1, vcc
	v_cmp_eq_u32_e32 vcc, 0, v27
	v_cndmask_b32_e32 v27, v26, v1, vcc
	v_cndmask_b32_e32 v25, v24, v28, vcc
	v_cmp_ne_u32_e64 s[0:1], 0, v17
	v_mov_b32_dpp v27, v27 row_bcast:31 row_mask:0xf bank_mask:0xf
	v_mov_b32_dpp v25, v25 row_bcast:31 row_mask:0xf bank_mask:0xf
	s_and_saveexec_b64 s[6:7], s[0:1]
; %bb.16:
	v_cndmask_b32_e32 v1, v26, v1, vcc
	v_cndmask_b32_e32 v16, v24, v16, vcc
	v_cmp_lt_u32_e32 vcc, 31, v17
	v_cndmask_b32_e32 v22, 0, v25, vcc
	v_cndmask_b32_e32 v23, 0, v27, vcc
	v_add_co_u32_e32 v22, vcc, v22, v16
	v_addc_co_u32_e32 v23, vcc, v23, v1, vcc
; %bb.17:
	s_or_b64 exec, exec, s[6:7]
	v_add_u32_e32 v1, -1, v17
	v_and_b32_e32 v16, 64, v17
	v_cmp_lt_i32_e32 vcc, v1, v16
	v_cndmask_b32_e32 v1, v1, v17, vcc
	v_lshlrev_b32_e32 v1, 2, v1
	ds_bpermute_b32 v16, v1, v22
	ds_bpermute_b32 v1, v1, v23
	; wave barrier
	s_waitcnt lgkmcnt(1)
	v_add_co_u32_e32 v14, vcc, v14, v16
	v_addc_co_u32_e32 v15, vcc, 0, v15, vcc
	v_add_co_u32_e32 v14, vcc, 0, v14
	s_waitcnt lgkmcnt(0)
	v_addc_co_u32_e32 v1, vcc, v15, v1, vcc
	v_cmp_eq_u32_e32 vcc, 0, v0
	v_cndmask_b32_e32 v15, v1, v19, vcc
	v_cndmask_b32_e32 v14, v14, v18, vcc
	ds_write_b64 v21, v[14:15]
	; wave barrier
	ds_read_b64 v[16:17], v21 offset:8
	s_waitcnt lgkmcnt(0)
	v_add_co_u32_e32 v14, vcc, v16, v14
	v_addc_co_u32_e32 v15, vcc, v17, v15, vcc
	ds_write_b64 v21, v[14:15] offset:8
.LBB5665_18:
	s_or_b64 exec, exec, s[2:3]
	v_mul_u32_u24_e32 v1, 48, v0
	v_cmp_ne_u32_e32 vcc, 0, v0
	v_pk_mov_b32 v[14:15], s[4:5], s[4:5] op_sel:[0,1]
	s_waitcnt lgkmcnt(0)
	s_barrier
	s_and_saveexec_b64 s[0:1], vcc
	s_cbranch_execz .LBB5665_20
; %bb.19:
	v_add_u32_e32 v0, -1, v0
	v_lshrrev_b32_e32 v14, 5, v0
	v_add_lshl_u32 v0, v14, v0, 3
	ds_read_b64 v[14:15], v0
	v_mov_b32_e32 v0, s5
	s_waitcnt lgkmcnt(0)
	v_add_co_u32_e32 v14, vcc, s4, v14
	v_addc_co_u32_e32 v15, vcc, v15, v0, vcc
.LBB5665_20:
	s_or_b64 exec, exec, s[0:1]
	v_add_co_u32_e32 v2, vcc, v14, v2
	v_addc_co_u32_e32 v3, vcc, v15, v3, vcc
	v_add_co_u32_e32 v4, vcc, v2, v4
	v_addc_co_u32_e32 v5, vcc, v3, v5, vcc
	;; [unrolled: 2-line block ×5, first 2 shown]
	v_add_co_u32_e32 v12, vcc, v10, v12
	v_add_u32_e32 v0, v20, v1
	v_addc_co_u32_e32 v13, vcc, v11, v13, vcc
	s_barrier
	ds_write2_b64 v0, v[14:15], v[2:3] offset1:1
	ds_write2_b64 v0, v[4:5], v[6:7] offset0:2 offset1:3
	ds_write2_b64 v0, v[8:9], v[10:11] offset0:4 offset1:5
	ds_write_b64 v0, v[12:13] offset:48
	s_waitcnt lgkmcnt(0)
	s_barrier
	s_endpgm
	.section	.rodata,"a",@progbits
	.p2align	6, 0x0
	.amdhsa_kernel _ZN7rocprim17ROCPRIM_400000_NS6detail17trampoline_kernelINS0_14default_configENS1_20scan_config_selectorIxEEZZNS1_9scan_implILNS1_25lookback_scan_determinismE0ELb1ELb1ES3_N6thrust23THRUST_200600_302600_NS6detail15normal_iteratorINS9_10device_ptrIxEEEENS9_16discard_iteratorINS9_11use_defaultEEExNS9_4plusIvEExEEDaPvRmT3_T4_T5_mT6_P12ihipStream_tbENKUlT_T0_E_clISt17integral_constantIbLb0EESX_EEDaSS_ST_EUlSS_E0_NS1_11comp_targetILNS1_3genE4ELNS1_11target_archE910ELNS1_3gpuE8ELNS1_3repE0EEENS1_30default_config_static_selectorELNS0_4arch9wavefront6targetE1EEEvT1_
		.amdhsa_group_segment_fixed_size 7168
		.amdhsa_private_segment_fixed_size 0
		.amdhsa_kernarg_size 48
		.amdhsa_user_sgpr_count 6
		.amdhsa_user_sgpr_private_segment_buffer 1
		.amdhsa_user_sgpr_dispatch_ptr 0
		.amdhsa_user_sgpr_queue_ptr 0
		.amdhsa_user_sgpr_kernarg_segment_ptr 1
		.amdhsa_user_sgpr_dispatch_id 0
		.amdhsa_user_sgpr_flat_scratch_init 0
		.amdhsa_user_sgpr_kernarg_preload_length 0
		.amdhsa_user_sgpr_kernarg_preload_offset 0
		.amdhsa_user_sgpr_private_segment_size 0
		.amdhsa_uses_dynamic_stack 0
		.amdhsa_system_sgpr_private_segment_wavefront_offset 0
		.amdhsa_system_sgpr_workgroup_id_x 1
		.amdhsa_system_sgpr_workgroup_id_y 0
		.amdhsa_system_sgpr_workgroup_id_z 0
		.amdhsa_system_sgpr_workgroup_info 0
		.amdhsa_system_vgpr_workitem_id 0
		.amdhsa_next_free_vgpr 29
		.amdhsa_next_free_sgpr 10
		.amdhsa_accum_offset 32
		.amdhsa_reserve_vcc 1
		.amdhsa_reserve_flat_scratch 0
		.amdhsa_float_round_mode_32 0
		.amdhsa_float_round_mode_16_64 0
		.amdhsa_float_denorm_mode_32 3
		.amdhsa_float_denorm_mode_16_64 3
		.amdhsa_dx10_clamp 1
		.amdhsa_ieee_mode 1
		.amdhsa_fp16_overflow 0
		.amdhsa_tg_split 0
		.amdhsa_exception_fp_ieee_invalid_op 0
		.amdhsa_exception_fp_denorm_src 0
		.amdhsa_exception_fp_ieee_div_zero 0
		.amdhsa_exception_fp_ieee_overflow 0
		.amdhsa_exception_fp_ieee_underflow 0
		.amdhsa_exception_fp_ieee_inexact 0
		.amdhsa_exception_int_div_zero 0
	.end_amdhsa_kernel
	.section	.text._ZN7rocprim17ROCPRIM_400000_NS6detail17trampoline_kernelINS0_14default_configENS1_20scan_config_selectorIxEEZZNS1_9scan_implILNS1_25lookback_scan_determinismE0ELb1ELb1ES3_N6thrust23THRUST_200600_302600_NS6detail15normal_iteratorINS9_10device_ptrIxEEEENS9_16discard_iteratorINS9_11use_defaultEEExNS9_4plusIvEExEEDaPvRmT3_T4_T5_mT6_P12ihipStream_tbENKUlT_T0_E_clISt17integral_constantIbLb0EESX_EEDaSS_ST_EUlSS_E0_NS1_11comp_targetILNS1_3genE4ELNS1_11target_archE910ELNS1_3gpuE8ELNS1_3repE0EEENS1_30default_config_static_selectorELNS0_4arch9wavefront6targetE1EEEvT1_,"axG",@progbits,_ZN7rocprim17ROCPRIM_400000_NS6detail17trampoline_kernelINS0_14default_configENS1_20scan_config_selectorIxEEZZNS1_9scan_implILNS1_25lookback_scan_determinismE0ELb1ELb1ES3_N6thrust23THRUST_200600_302600_NS6detail15normal_iteratorINS9_10device_ptrIxEEEENS9_16discard_iteratorINS9_11use_defaultEEExNS9_4plusIvEExEEDaPvRmT3_T4_T5_mT6_P12ihipStream_tbENKUlT_T0_E_clISt17integral_constantIbLb0EESX_EEDaSS_ST_EUlSS_E0_NS1_11comp_targetILNS1_3genE4ELNS1_11target_archE910ELNS1_3gpuE8ELNS1_3repE0EEENS1_30default_config_static_selectorELNS0_4arch9wavefront6targetE1EEEvT1_,comdat
.Lfunc_end5665:
	.size	_ZN7rocprim17ROCPRIM_400000_NS6detail17trampoline_kernelINS0_14default_configENS1_20scan_config_selectorIxEEZZNS1_9scan_implILNS1_25lookback_scan_determinismE0ELb1ELb1ES3_N6thrust23THRUST_200600_302600_NS6detail15normal_iteratorINS9_10device_ptrIxEEEENS9_16discard_iteratorINS9_11use_defaultEEExNS9_4plusIvEExEEDaPvRmT3_T4_T5_mT6_P12ihipStream_tbENKUlT_T0_E_clISt17integral_constantIbLb0EESX_EEDaSS_ST_EUlSS_E0_NS1_11comp_targetILNS1_3genE4ELNS1_11target_archE910ELNS1_3gpuE8ELNS1_3repE0EEENS1_30default_config_static_selectorELNS0_4arch9wavefront6targetE1EEEvT1_, .Lfunc_end5665-_ZN7rocprim17ROCPRIM_400000_NS6detail17trampoline_kernelINS0_14default_configENS1_20scan_config_selectorIxEEZZNS1_9scan_implILNS1_25lookback_scan_determinismE0ELb1ELb1ES3_N6thrust23THRUST_200600_302600_NS6detail15normal_iteratorINS9_10device_ptrIxEEEENS9_16discard_iteratorINS9_11use_defaultEEExNS9_4plusIvEExEEDaPvRmT3_T4_T5_mT6_P12ihipStream_tbENKUlT_T0_E_clISt17integral_constantIbLb0EESX_EEDaSS_ST_EUlSS_E0_NS1_11comp_targetILNS1_3genE4ELNS1_11target_archE910ELNS1_3gpuE8ELNS1_3repE0EEENS1_30default_config_static_selectorELNS0_4arch9wavefront6targetE1EEEvT1_
                                        ; -- End function
	.section	.AMDGPU.csdata,"",@progbits
; Kernel info:
; codeLenInByte = 1116
; NumSgprs: 14
; NumVgprs: 29
; NumAgprs: 0
; TotalNumVgprs: 29
; ScratchSize: 0
; MemoryBound: 0
; FloatMode: 240
; IeeeMode: 1
; LDSByteSize: 7168 bytes/workgroup (compile time only)
; SGPRBlocks: 1
; VGPRBlocks: 3
; NumSGPRsForWavesPerEU: 14
; NumVGPRsForWavesPerEU: 29
; AccumOffset: 32
; Occupancy: 5
; WaveLimiterHint : 0
; COMPUTE_PGM_RSRC2:SCRATCH_EN: 0
; COMPUTE_PGM_RSRC2:USER_SGPR: 6
; COMPUTE_PGM_RSRC2:TRAP_HANDLER: 0
; COMPUTE_PGM_RSRC2:TGID_X_EN: 1
; COMPUTE_PGM_RSRC2:TGID_Y_EN: 0
; COMPUTE_PGM_RSRC2:TGID_Z_EN: 0
; COMPUTE_PGM_RSRC2:TIDIG_COMP_CNT: 0
; COMPUTE_PGM_RSRC3_GFX90A:ACCUM_OFFSET: 7
; COMPUTE_PGM_RSRC3_GFX90A:TG_SPLIT: 0
	.section	.text._ZN7rocprim17ROCPRIM_400000_NS6detail17trampoline_kernelINS0_14default_configENS1_20scan_config_selectorIxEEZZNS1_9scan_implILNS1_25lookback_scan_determinismE0ELb1ELb1ES3_N6thrust23THRUST_200600_302600_NS6detail15normal_iteratorINS9_10device_ptrIxEEEENS9_16discard_iteratorINS9_11use_defaultEEExNS9_4plusIvEExEEDaPvRmT3_T4_T5_mT6_P12ihipStream_tbENKUlT_T0_E_clISt17integral_constantIbLb0EESX_EEDaSS_ST_EUlSS_E0_NS1_11comp_targetILNS1_3genE3ELNS1_11target_archE908ELNS1_3gpuE7ELNS1_3repE0EEENS1_30default_config_static_selectorELNS0_4arch9wavefront6targetE1EEEvT1_,"axG",@progbits,_ZN7rocprim17ROCPRIM_400000_NS6detail17trampoline_kernelINS0_14default_configENS1_20scan_config_selectorIxEEZZNS1_9scan_implILNS1_25lookback_scan_determinismE0ELb1ELb1ES3_N6thrust23THRUST_200600_302600_NS6detail15normal_iteratorINS9_10device_ptrIxEEEENS9_16discard_iteratorINS9_11use_defaultEEExNS9_4plusIvEExEEDaPvRmT3_T4_T5_mT6_P12ihipStream_tbENKUlT_T0_E_clISt17integral_constantIbLb0EESX_EEDaSS_ST_EUlSS_E0_NS1_11comp_targetILNS1_3genE3ELNS1_11target_archE908ELNS1_3gpuE7ELNS1_3repE0EEENS1_30default_config_static_selectorELNS0_4arch9wavefront6targetE1EEEvT1_,comdat
	.protected	_ZN7rocprim17ROCPRIM_400000_NS6detail17trampoline_kernelINS0_14default_configENS1_20scan_config_selectorIxEEZZNS1_9scan_implILNS1_25lookback_scan_determinismE0ELb1ELb1ES3_N6thrust23THRUST_200600_302600_NS6detail15normal_iteratorINS9_10device_ptrIxEEEENS9_16discard_iteratorINS9_11use_defaultEEExNS9_4plusIvEExEEDaPvRmT3_T4_T5_mT6_P12ihipStream_tbENKUlT_T0_E_clISt17integral_constantIbLb0EESX_EEDaSS_ST_EUlSS_E0_NS1_11comp_targetILNS1_3genE3ELNS1_11target_archE908ELNS1_3gpuE7ELNS1_3repE0EEENS1_30default_config_static_selectorELNS0_4arch9wavefront6targetE1EEEvT1_ ; -- Begin function _ZN7rocprim17ROCPRIM_400000_NS6detail17trampoline_kernelINS0_14default_configENS1_20scan_config_selectorIxEEZZNS1_9scan_implILNS1_25lookback_scan_determinismE0ELb1ELb1ES3_N6thrust23THRUST_200600_302600_NS6detail15normal_iteratorINS9_10device_ptrIxEEEENS9_16discard_iteratorINS9_11use_defaultEEExNS9_4plusIvEExEEDaPvRmT3_T4_T5_mT6_P12ihipStream_tbENKUlT_T0_E_clISt17integral_constantIbLb0EESX_EEDaSS_ST_EUlSS_E0_NS1_11comp_targetILNS1_3genE3ELNS1_11target_archE908ELNS1_3gpuE7ELNS1_3repE0EEENS1_30default_config_static_selectorELNS0_4arch9wavefront6targetE1EEEvT1_
	.globl	_ZN7rocprim17ROCPRIM_400000_NS6detail17trampoline_kernelINS0_14default_configENS1_20scan_config_selectorIxEEZZNS1_9scan_implILNS1_25lookback_scan_determinismE0ELb1ELb1ES3_N6thrust23THRUST_200600_302600_NS6detail15normal_iteratorINS9_10device_ptrIxEEEENS9_16discard_iteratorINS9_11use_defaultEEExNS9_4plusIvEExEEDaPvRmT3_T4_T5_mT6_P12ihipStream_tbENKUlT_T0_E_clISt17integral_constantIbLb0EESX_EEDaSS_ST_EUlSS_E0_NS1_11comp_targetILNS1_3genE3ELNS1_11target_archE908ELNS1_3gpuE7ELNS1_3repE0EEENS1_30default_config_static_selectorELNS0_4arch9wavefront6targetE1EEEvT1_
	.p2align	8
	.type	_ZN7rocprim17ROCPRIM_400000_NS6detail17trampoline_kernelINS0_14default_configENS1_20scan_config_selectorIxEEZZNS1_9scan_implILNS1_25lookback_scan_determinismE0ELb1ELb1ES3_N6thrust23THRUST_200600_302600_NS6detail15normal_iteratorINS9_10device_ptrIxEEEENS9_16discard_iteratorINS9_11use_defaultEEExNS9_4plusIvEExEEDaPvRmT3_T4_T5_mT6_P12ihipStream_tbENKUlT_T0_E_clISt17integral_constantIbLb0EESX_EEDaSS_ST_EUlSS_E0_NS1_11comp_targetILNS1_3genE3ELNS1_11target_archE908ELNS1_3gpuE7ELNS1_3repE0EEENS1_30default_config_static_selectorELNS0_4arch9wavefront6targetE1EEEvT1_,@function
_ZN7rocprim17ROCPRIM_400000_NS6detail17trampoline_kernelINS0_14default_configENS1_20scan_config_selectorIxEEZZNS1_9scan_implILNS1_25lookback_scan_determinismE0ELb1ELb1ES3_N6thrust23THRUST_200600_302600_NS6detail15normal_iteratorINS9_10device_ptrIxEEEENS9_16discard_iteratorINS9_11use_defaultEEExNS9_4plusIvEExEEDaPvRmT3_T4_T5_mT6_P12ihipStream_tbENKUlT_T0_E_clISt17integral_constantIbLb0EESX_EEDaSS_ST_EUlSS_E0_NS1_11comp_targetILNS1_3genE3ELNS1_11target_archE908ELNS1_3gpuE7ELNS1_3repE0EEENS1_30default_config_static_selectorELNS0_4arch9wavefront6targetE1EEEvT1_: ; @_ZN7rocprim17ROCPRIM_400000_NS6detail17trampoline_kernelINS0_14default_configENS1_20scan_config_selectorIxEEZZNS1_9scan_implILNS1_25lookback_scan_determinismE0ELb1ELb1ES3_N6thrust23THRUST_200600_302600_NS6detail15normal_iteratorINS9_10device_ptrIxEEEENS9_16discard_iteratorINS9_11use_defaultEEExNS9_4plusIvEExEEDaPvRmT3_T4_T5_mT6_P12ihipStream_tbENKUlT_T0_E_clISt17integral_constantIbLb0EESX_EEDaSS_ST_EUlSS_E0_NS1_11comp_targetILNS1_3genE3ELNS1_11target_archE908ELNS1_3gpuE7ELNS1_3repE0EEENS1_30default_config_static_selectorELNS0_4arch9wavefront6targetE1EEEvT1_
; %bb.0:
	.section	.rodata,"a",@progbits
	.p2align	6, 0x0
	.amdhsa_kernel _ZN7rocprim17ROCPRIM_400000_NS6detail17trampoline_kernelINS0_14default_configENS1_20scan_config_selectorIxEEZZNS1_9scan_implILNS1_25lookback_scan_determinismE0ELb1ELb1ES3_N6thrust23THRUST_200600_302600_NS6detail15normal_iteratorINS9_10device_ptrIxEEEENS9_16discard_iteratorINS9_11use_defaultEEExNS9_4plusIvEExEEDaPvRmT3_T4_T5_mT6_P12ihipStream_tbENKUlT_T0_E_clISt17integral_constantIbLb0EESX_EEDaSS_ST_EUlSS_E0_NS1_11comp_targetILNS1_3genE3ELNS1_11target_archE908ELNS1_3gpuE7ELNS1_3repE0EEENS1_30default_config_static_selectorELNS0_4arch9wavefront6targetE1EEEvT1_
		.amdhsa_group_segment_fixed_size 0
		.amdhsa_private_segment_fixed_size 0
		.amdhsa_kernarg_size 48
		.amdhsa_user_sgpr_count 6
		.amdhsa_user_sgpr_private_segment_buffer 1
		.amdhsa_user_sgpr_dispatch_ptr 0
		.amdhsa_user_sgpr_queue_ptr 0
		.amdhsa_user_sgpr_kernarg_segment_ptr 1
		.amdhsa_user_sgpr_dispatch_id 0
		.amdhsa_user_sgpr_flat_scratch_init 0
		.amdhsa_user_sgpr_kernarg_preload_length 0
		.amdhsa_user_sgpr_kernarg_preload_offset 0
		.amdhsa_user_sgpr_private_segment_size 0
		.amdhsa_uses_dynamic_stack 0
		.amdhsa_system_sgpr_private_segment_wavefront_offset 0
		.amdhsa_system_sgpr_workgroup_id_x 1
		.amdhsa_system_sgpr_workgroup_id_y 0
		.amdhsa_system_sgpr_workgroup_id_z 0
		.amdhsa_system_sgpr_workgroup_info 0
		.amdhsa_system_vgpr_workitem_id 0
		.amdhsa_next_free_vgpr 1
		.amdhsa_next_free_sgpr 0
		.amdhsa_accum_offset 4
		.amdhsa_reserve_vcc 0
		.amdhsa_reserve_flat_scratch 0
		.amdhsa_float_round_mode_32 0
		.amdhsa_float_round_mode_16_64 0
		.amdhsa_float_denorm_mode_32 3
		.amdhsa_float_denorm_mode_16_64 3
		.amdhsa_dx10_clamp 1
		.amdhsa_ieee_mode 1
		.amdhsa_fp16_overflow 0
		.amdhsa_tg_split 0
		.amdhsa_exception_fp_ieee_invalid_op 0
		.amdhsa_exception_fp_denorm_src 0
		.amdhsa_exception_fp_ieee_div_zero 0
		.amdhsa_exception_fp_ieee_overflow 0
		.amdhsa_exception_fp_ieee_underflow 0
		.amdhsa_exception_fp_ieee_inexact 0
		.amdhsa_exception_int_div_zero 0
	.end_amdhsa_kernel
	.section	.text._ZN7rocprim17ROCPRIM_400000_NS6detail17trampoline_kernelINS0_14default_configENS1_20scan_config_selectorIxEEZZNS1_9scan_implILNS1_25lookback_scan_determinismE0ELb1ELb1ES3_N6thrust23THRUST_200600_302600_NS6detail15normal_iteratorINS9_10device_ptrIxEEEENS9_16discard_iteratorINS9_11use_defaultEEExNS9_4plusIvEExEEDaPvRmT3_T4_T5_mT6_P12ihipStream_tbENKUlT_T0_E_clISt17integral_constantIbLb0EESX_EEDaSS_ST_EUlSS_E0_NS1_11comp_targetILNS1_3genE3ELNS1_11target_archE908ELNS1_3gpuE7ELNS1_3repE0EEENS1_30default_config_static_selectorELNS0_4arch9wavefront6targetE1EEEvT1_,"axG",@progbits,_ZN7rocprim17ROCPRIM_400000_NS6detail17trampoline_kernelINS0_14default_configENS1_20scan_config_selectorIxEEZZNS1_9scan_implILNS1_25lookback_scan_determinismE0ELb1ELb1ES3_N6thrust23THRUST_200600_302600_NS6detail15normal_iteratorINS9_10device_ptrIxEEEENS9_16discard_iteratorINS9_11use_defaultEEExNS9_4plusIvEExEEDaPvRmT3_T4_T5_mT6_P12ihipStream_tbENKUlT_T0_E_clISt17integral_constantIbLb0EESX_EEDaSS_ST_EUlSS_E0_NS1_11comp_targetILNS1_3genE3ELNS1_11target_archE908ELNS1_3gpuE7ELNS1_3repE0EEENS1_30default_config_static_selectorELNS0_4arch9wavefront6targetE1EEEvT1_,comdat
.Lfunc_end5666:
	.size	_ZN7rocprim17ROCPRIM_400000_NS6detail17trampoline_kernelINS0_14default_configENS1_20scan_config_selectorIxEEZZNS1_9scan_implILNS1_25lookback_scan_determinismE0ELb1ELb1ES3_N6thrust23THRUST_200600_302600_NS6detail15normal_iteratorINS9_10device_ptrIxEEEENS9_16discard_iteratorINS9_11use_defaultEEExNS9_4plusIvEExEEDaPvRmT3_T4_T5_mT6_P12ihipStream_tbENKUlT_T0_E_clISt17integral_constantIbLb0EESX_EEDaSS_ST_EUlSS_E0_NS1_11comp_targetILNS1_3genE3ELNS1_11target_archE908ELNS1_3gpuE7ELNS1_3repE0EEENS1_30default_config_static_selectorELNS0_4arch9wavefront6targetE1EEEvT1_, .Lfunc_end5666-_ZN7rocprim17ROCPRIM_400000_NS6detail17trampoline_kernelINS0_14default_configENS1_20scan_config_selectorIxEEZZNS1_9scan_implILNS1_25lookback_scan_determinismE0ELb1ELb1ES3_N6thrust23THRUST_200600_302600_NS6detail15normal_iteratorINS9_10device_ptrIxEEEENS9_16discard_iteratorINS9_11use_defaultEEExNS9_4plusIvEExEEDaPvRmT3_T4_T5_mT6_P12ihipStream_tbENKUlT_T0_E_clISt17integral_constantIbLb0EESX_EEDaSS_ST_EUlSS_E0_NS1_11comp_targetILNS1_3genE3ELNS1_11target_archE908ELNS1_3gpuE7ELNS1_3repE0EEENS1_30default_config_static_selectorELNS0_4arch9wavefront6targetE1EEEvT1_
                                        ; -- End function
	.section	.AMDGPU.csdata,"",@progbits
; Kernel info:
; codeLenInByte = 0
; NumSgprs: 4
; NumVgprs: 0
; NumAgprs: 0
; TotalNumVgprs: 0
; ScratchSize: 0
; MemoryBound: 0
; FloatMode: 240
; IeeeMode: 1
; LDSByteSize: 0 bytes/workgroup (compile time only)
; SGPRBlocks: 0
; VGPRBlocks: 0
; NumSGPRsForWavesPerEU: 4
; NumVGPRsForWavesPerEU: 1
; AccumOffset: 4
; Occupancy: 8
; WaveLimiterHint : 0
; COMPUTE_PGM_RSRC2:SCRATCH_EN: 0
; COMPUTE_PGM_RSRC2:USER_SGPR: 6
; COMPUTE_PGM_RSRC2:TRAP_HANDLER: 0
; COMPUTE_PGM_RSRC2:TGID_X_EN: 1
; COMPUTE_PGM_RSRC2:TGID_Y_EN: 0
; COMPUTE_PGM_RSRC2:TGID_Z_EN: 0
; COMPUTE_PGM_RSRC2:TIDIG_COMP_CNT: 0
; COMPUTE_PGM_RSRC3_GFX90A:ACCUM_OFFSET: 0
; COMPUTE_PGM_RSRC3_GFX90A:TG_SPLIT: 0
	.section	.text._ZN7rocprim17ROCPRIM_400000_NS6detail17trampoline_kernelINS0_14default_configENS1_20scan_config_selectorIxEEZZNS1_9scan_implILNS1_25lookback_scan_determinismE0ELb1ELb1ES3_N6thrust23THRUST_200600_302600_NS6detail15normal_iteratorINS9_10device_ptrIxEEEENS9_16discard_iteratorINS9_11use_defaultEEExNS9_4plusIvEExEEDaPvRmT3_T4_T5_mT6_P12ihipStream_tbENKUlT_T0_E_clISt17integral_constantIbLb0EESX_EEDaSS_ST_EUlSS_E0_NS1_11comp_targetILNS1_3genE2ELNS1_11target_archE906ELNS1_3gpuE6ELNS1_3repE0EEENS1_30default_config_static_selectorELNS0_4arch9wavefront6targetE1EEEvT1_,"axG",@progbits,_ZN7rocprim17ROCPRIM_400000_NS6detail17trampoline_kernelINS0_14default_configENS1_20scan_config_selectorIxEEZZNS1_9scan_implILNS1_25lookback_scan_determinismE0ELb1ELb1ES3_N6thrust23THRUST_200600_302600_NS6detail15normal_iteratorINS9_10device_ptrIxEEEENS9_16discard_iteratorINS9_11use_defaultEEExNS9_4plusIvEExEEDaPvRmT3_T4_T5_mT6_P12ihipStream_tbENKUlT_T0_E_clISt17integral_constantIbLb0EESX_EEDaSS_ST_EUlSS_E0_NS1_11comp_targetILNS1_3genE2ELNS1_11target_archE906ELNS1_3gpuE6ELNS1_3repE0EEENS1_30default_config_static_selectorELNS0_4arch9wavefront6targetE1EEEvT1_,comdat
	.protected	_ZN7rocprim17ROCPRIM_400000_NS6detail17trampoline_kernelINS0_14default_configENS1_20scan_config_selectorIxEEZZNS1_9scan_implILNS1_25lookback_scan_determinismE0ELb1ELb1ES3_N6thrust23THRUST_200600_302600_NS6detail15normal_iteratorINS9_10device_ptrIxEEEENS9_16discard_iteratorINS9_11use_defaultEEExNS9_4plusIvEExEEDaPvRmT3_T4_T5_mT6_P12ihipStream_tbENKUlT_T0_E_clISt17integral_constantIbLb0EESX_EEDaSS_ST_EUlSS_E0_NS1_11comp_targetILNS1_3genE2ELNS1_11target_archE906ELNS1_3gpuE6ELNS1_3repE0EEENS1_30default_config_static_selectorELNS0_4arch9wavefront6targetE1EEEvT1_ ; -- Begin function _ZN7rocprim17ROCPRIM_400000_NS6detail17trampoline_kernelINS0_14default_configENS1_20scan_config_selectorIxEEZZNS1_9scan_implILNS1_25lookback_scan_determinismE0ELb1ELb1ES3_N6thrust23THRUST_200600_302600_NS6detail15normal_iteratorINS9_10device_ptrIxEEEENS9_16discard_iteratorINS9_11use_defaultEEExNS9_4plusIvEExEEDaPvRmT3_T4_T5_mT6_P12ihipStream_tbENKUlT_T0_E_clISt17integral_constantIbLb0EESX_EEDaSS_ST_EUlSS_E0_NS1_11comp_targetILNS1_3genE2ELNS1_11target_archE906ELNS1_3gpuE6ELNS1_3repE0EEENS1_30default_config_static_selectorELNS0_4arch9wavefront6targetE1EEEvT1_
	.globl	_ZN7rocprim17ROCPRIM_400000_NS6detail17trampoline_kernelINS0_14default_configENS1_20scan_config_selectorIxEEZZNS1_9scan_implILNS1_25lookback_scan_determinismE0ELb1ELb1ES3_N6thrust23THRUST_200600_302600_NS6detail15normal_iteratorINS9_10device_ptrIxEEEENS9_16discard_iteratorINS9_11use_defaultEEExNS9_4plusIvEExEEDaPvRmT3_T4_T5_mT6_P12ihipStream_tbENKUlT_T0_E_clISt17integral_constantIbLb0EESX_EEDaSS_ST_EUlSS_E0_NS1_11comp_targetILNS1_3genE2ELNS1_11target_archE906ELNS1_3gpuE6ELNS1_3repE0EEENS1_30default_config_static_selectorELNS0_4arch9wavefront6targetE1EEEvT1_
	.p2align	8
	.type	_ZN7rocprim17ROCPRIM_400000_NS6detail17trampoline_kernelINS0_14default_configENS1_20scan_config_selectorIxEEZZNS1_9scan_implILNS1_25lookback_scan_determinismE0ELb1ELb1ES3_N6thrust23THRUST_200600_302600_NS6detail15normal_iteratorINS9_10device_ptrIxEEEENS9_16discard_iteratorINS9_11use_defaultEEExNS9_4plusIvEExEEDaPvRmT3_T4_T5_mT6_P12ihipStream_tbENKUlT_T0_E_clISt17integral_constantIbLb0EESX_EEDaSS_ST_EUlSS_E0_NS1_11comp_targetILNS1_3genE2ELNS1_11target_archE906ELNS1_3gpuE6ELNS1_3repE0EEENS1_30default_config_static_selectorELNS0_4arch9wavefront6targetE1EEEvT1_,@function
_ZN7rocprim17ROCPRIM_400000_NS6detail17trampoline_kernelINS0_14default_configENS1_20scan_config_selectorIxEEZZNS1_9scan_implILNS1_25lookback_scan_determinismE0ELb1ELb1ES3_N6thrust23THRUST_200600_302600_NS6detail15normal_iteratorINS9_10device_ptrIxEEEENS9_16discard_iteratorINS9_11use_defaultEEExNS9_4plusIvEExEEDaPvRmT3_T4_T5_mT6_P12ihipStream_tbENKUlT_T0_E_clISt17integral_constantIbLb0EESX_EEDaSS_ST_EUlSS_E0_NS1_11comp_targetILNS1_3genE2ELNS1_11target_archE906ELNS1_3gpuE6ELNS1_3repE0EEENS1_30default_config_static_selectorELNS0_4arch9wavefront6targetE1EEEvT1_: ; @_ZN7rocprim17ROCPRIM_400000_NS6detail17trampoline_kernelINS0_14default_configENS1_20scan_config_selectorIxEEZZNS1_9scan_implILNS1_25lookback_scan_determinismE0ELb1ELb1ES3_N6thrust23THRUST_200600_302600_NS6detail15normal_iteratorINS9_10device_ptrIxEEEENS9_16discard_iteratorINS9_11use_defaultEEExNS9_4plusIvEExEEDaPvRmT3_T4_T5_mT6_P12ihipStream_tbENKUlT_T0_E_clISt17integral_constantIbLb0EESX_EEDaSS_ST_EUlSS_E0_NS1_11comp_targetILNS1_3genE2ELNS1_11target_archE906ELNS1_3gpuE6ELNS1_3repE0EEENS1_30default_config_static_selectorELNS0_4arch9wavefront6targetE1EEEvT1_
; %bb.0:
	.section	.rodata,"a",@progbits
	.p2align	6, 0x0
	.amdhsa_kernel _ZN7rocprim17ROCPRIM_400000_NS6detail17trampoline_kernelINS0_14default_configENS1_20scan_config_selectorIxEEZZNS1_9scan_implILNS1_25lookback_scan_determinismE0ELb1ELb1ES3_N6thrust23THRUST_200600_302600_NS6detail15normal_iteratorINS9_10device_ptrIxEEEENS9_16discard_iteratorINS9_11use_defaultEEExNS9_4plusIvEExEEDaPvRmT3_T4_T5_mT6_P12ihipStream_tbENKUlT_T0_E_clISt17integral_constantIbLb0EESX_EEDaSS_ST_EUlSS_E0_NS1_11comp_targetILNS1_3genE2ELNS1_11target_archE906ELNS1_3gpuE6ELNS1_3repE0EEENS1_30default_config_static_selectorELNS0_4arch9wavefront6targetE1EEEvT1_
		.amdhsa_group_segment_fixed_size 0
		.amdhsa_private_segment_fixed_size 0
		.amdhsa_kernarg_size 48
		.amdhsa_user_sgpr_count 6
		.amdhsa_user_sgpr_private_segment_buffer 1
		.amdhsa_user_sgpr_dispatch_ptr 0
		.amdhsa_user_sgpr_queue_ptr 0
		.amdhsa_user_sgpr_kernarg_segment_ptr 1
		.amdhsa_user_sgpr_dispatch_id 0
		.amdhsa_user_sgpr_flat_scratch_init 0
		.amdhsa_user_sgpr_kernarg_preload_length 0
		.amdhsa_user_sgpr_kernarg_preload_offset 0
		.amdhsa_user_sgpr_private_segment_size 0
		.amdhsa_uses_dynamic_stack 0
		.amdhsa_system_sgpr_private_segment_wavefront_offset 0
		.amdhsa_system_sgpr_workgroup_id_x 1
		.amdhsa_system_sgpr_workgroup_id_y 0
		.amdhsa_system_sgpr_workgroup_id_z 0
		.amdhsa_system_sgpr_workgroup_info 0
		.amdhsa_system_vgpr_workitem_id 0
		.amdhsa_next_free_vgpr 1
		.amdhsa_next_free_sgpr 0
		.amdhsa_accum_offset 4
		.amdhsa_reserve_vcc 0
		.amdhsa_reserve_flat_scratch 0
		.amdhsa_float_round_mode_32 0
		.amdhsa_float_round_mode_16_64 0
		.amdhsa_float_denorm_mode_32 3
		.amdhsa_float_denorm_mode_16_64 3
		.amdhsa_dx10_clamp 1
		.amdhsa_ieee_mode 1
		.amdhsa_fp16_overflow 0
		.amdhsa_tg_split 0
		.amdhsa_exception_fp_ieee_invalid_op 0
		.amdhsa_exception_fp_denorm_src 0
		.amdhsa_exception_fp_ieee_div_zero 0
		.amdhsa_exception_fp_ieee_overflow 0
		.amdhsa_exception_fp_ieee_underflow 0
		.amdhsa_exception_fp_ieee_inexact 0
		.amdhsa_exception_int_div_zero 0
	.end_amdhsa_kernel
	.section	.text._ZN7rocprim17ROCPRIM_400000_NS6detail17trampoline_kernelINS0_14default_configENS1_20scan_config_selectorIxEEZZNS1_9scan_implILNS1_25lookback_scan_determinismE0ELb1ELb1ES3_N6thrust23THRUST_200600_302600_NS6detail15normal_iteratorINS9_10device_ptrIxEEEENS9_16discard_iteratorINS9_11use_defaultEEExNS9_4plusIvEExEEDaPvRmT3_T4_T5_mT6_P12ihipStream_tbENKUlT_T0_E_clISt17integral_constantIbLb0EESX_EEDaSS_ST_EUlSS_E0_NS1_11comp_targetILNS1_3genE2ELNS1_11target_archE906ELNS1_3gpuE6ELNS1_3repE0EEENS1_30default_config_static_selectorELNS0_4arch9wavefront6targetE1EEEvT1_,"axG",@progbits,_ZN7rocprim17ROCPRIM_400000_NS6detail17trampoline_kernelINS0_14default_configENS1_20scan_config_selectorIxEEZZNS1_9scan_implILNS1_25lookback_scan_determinismE0ELb1ELb1ES3_N6thrust23THRUST_200600_302600_NS6detail15normal_iteratorINS9_10device_ptrIxEEEENS9_16discard_iteratorINS9_11use_defaultEEExNS9_4plusIvEExEEDaPvRmT3_T4_T5_mT6_P12ihipStream_tbENKUlT_T0_E_clISt17integral_constantIbLb0EESX_EEDaSS_ST_EUlSS_E0_NS1_11comp_targetILNS1_3genE2ELNS1_11target_archE906ELNS1_3gpuE6ELNS1_3repE0EEENS1_30default_config_static_selectorELNS0_4arch9wavefront6targetE1EEEvT1_,comdat
.Lfunc_end5667:
	.size	_ZN7rocprim17ROCPRIM_400000_NS6detail17trampoline_kernelINS0_14default_configENS1_20scan_config_selectorIxEEZZNS1_9scan_implILNS1_25lookback_scan_determinismE0ELb1ELb1ES3_N6thrust23THRUST_200600_302600_NS6detail15normal_iteratorINS9_10device_ptrIxEEEENS9_16discard_iteratorINS9_11use_defaultEEExNS9_4plusIvEExEEDaPvRmT3_T4_T5_mT6_P12ihipStream_tbENKUlT_T0_E_clISt17integral_constantIbLb0EESX_EEDaSS_ST_EUlSS_E0_NS1_11comp_targetILNS1_3genE2ELNS1_11target_archE906ELNS1_3gpuE6ELNS1_3repE0EEENS1_30default_config_static_selectorELNS0_4arch9wavefront6targetE1EEEvT1_, .Lfunc_end5667-_ZN7rocprim17ROCPRIM_400000_NS6detail17trampoline_kernelINS0_14default_configENS1_20scan_config_selectorIxEEZZNS1_9scan_implILNS1_25lookback_scan_determinismE0ELb1ELb1ES3_N6thrust23THRUST_200600_302600_NS6detail15normal_iteratorINS9_10device_ptrIxEEEENS9_16discard_iteratorINS9_11use_defaultEEExNS9_4plusIvEExEEDaPvRmT3_T4_T5_mT6_P12ihipStream_tbENKUlT_T0_E_clISt17integral_constantIbLb0EESX_EEDaSS_ST_EUlSS_E0_NS1_11comp_targetILNS1_3genE2ELNS1_11target_archE906ELNS1_3gpuE6ELNS1_3repE0EEENS1_30default_config_static_selectorELNS0_4arch9wavefront6targetE1EEEvT1_
                                        ; -- End function
	.section	.AMDGPU.csdata,"",@progbits
; Kernel info:
; codeLenInByte = 0
; NumSgprs: 4
; NumVgprs: 0
; NumAgprs: 0
; TotalNumVgprs: 0
; ScratchSize: 0
; MemoryBound: 0
; FloatMode: 240
; IeeeMode: 1
; LDSByteSize: 0 bytes/workgroup (compile time only)
; SGPRBlocks: 0
; VGPRBlocks: 0
; NumSGPRsForWavesPerEU: 4
; NumVGPRsForWavesPerEU: 1
; AccumOffset: 4
; Occupancy: 8
; WaveLimiterHint : 0
; COMPUTE_PGM_RSRC2:SCRATCH_EN: 0
; COMPUTE_PGM_RSRC2:USER_SGPR: 6
; COMPUTE_PGM_RSRC2:TRAP_HANDLER: 0
; COMPUTE_PGM_RSRC2:TGID_X_EN: 1
; COMPUTE_PGM_RSRC2:TGID_Y_EN: 0
; COMPUTE_PGM_RSRC2:TGID_Z_EN: 0
; COMPUTE_PGM_RSRC2:TIDIG_COMP_CNT: 0
; COMPUTE_PGM_RSRC3_GFX90A:ACCUM_OFFSET: 0
; COMPUTE_PGM_RSRC3_GFX90A:TG_SPLIT: 0
	.section	.text._ZN7rocprim17ROCPRIM_400000_NS6detail17trampoline_kernelINS0_14default_configENS1_20scan_config_selectorIxEEZZNS1_9scan_implILNS1_25lookback_scan_determinismE0ELb1ELb1ES3_N6thrust23THRUST_200600_302600_NS6detail15normal_iteratorINS9_10device_ptrIxEEEENS9_16discard_iteratorINS9_11use_defaultEEExNS9_4plusIvEExEEDaPvRmT3_T4_T5_mT6_P12ihipStream_tbENKUlT_T0_E_clISt17integral_constantIbLb0EESX_EEDaSS_ST_EUlSS_E0_NS1_11comp_targetILNS1_3genE10ELNS1_11target_archE1201ELNS1_3gpuE5ELNS1_3repE0EEENS1_30default_config_static_selectorELNS0_4arch9wavefront6targetE1EEEvT1_,"axG",@progbits,_ZN7rocprim17ROCPRIM_400000_NS6detail17trampoline_kernelINS0_14default_configENS1_20scan_config_selectorIxEEZZNS1_9scan_implILNS1_25lookback_scan_determinismE0ELb1ELb1ES3_N6thrust23THRUST_200600_302600_NS6detail15normal_iteratorINS9_10device_ptrIxEEEENS9_16discard_iteratorINS9_11use_defaultEEExNS9_4plusIvEExEEDaPvRmT3_T4_T5_mT6_P12ihipStream_tbENKUlT_T0_E_clISt17integral_constantIbLb0EESX_EEDaSS_ST_EUlSS_E0_NS1_11comp_targetILNS1_3genE10ELNS1_11target_archE1201ELNS1_3gpuE5ELNS1_3repE0EEENS1_30default_config_static_selectorELNS0_4arch9wavefront6targetE1EEEvT1_,comdat
	.protected	_ZN7rocprim17ROCPRIM_400000_NS6detail17trampoline_kernelINS0_14default_configENS1_20scan_config_selectorIxEEZZNS1_9scan_implILNS1_25lookback_scan_determinismE0ELb1ELb1ES3_N6thrust23THRUST_200600_302600_NS6detail15normal_iteratorINS9_10device_ptrIxEEEENS9_16discard_iteratorINS9_11use_defaultEEExNS9_4plusIvEExEEDaPvRmT3_T4_T5_mT6_P12ihipStream_tbENKUlT_T0_E_clISt17integral_constantIbLb0EESX_EEDaSS_ST_EUlSS_E0_NS1_11comp_targetILNS1_3genE10ELNS1_11target_archE1201ELNS1_3gpuE5ELNS1_3repE0EEENS1_30default_config_static_selectorELNS0_4arch9wavefront6targetE1EEEvT1_ ; -- Begin function _ZN7rocprim17ROCPRIM_400000_NS6detail17trampoline_kernelINS0_14default_configENS1_20scan_config_selectorIxEEZZNS1_9scan_implILNS1_25lookback_scan_determinismE0ELb1ELb1ES3_N6thrust23THRUST_200600_302600_NS6detail15normal_iteratorINS9_10device_ptrIxEEEENS9_16discard_iteratorINS9_11use_defaultEEExNS9_4plusIvEExEEDaPvRmT3_T4_T5_mT6_P12ihipStream_tbENKUlT_T0_E_clISt17integral_constantIbLb0EESX_EEDaSS_ST_EUlSS_E0_NS1_11comp_targetILNS1_3genE10ELNS1_11target_archE1201ELNS1_3gpuE5ELNS1_3repE0EEENS1_30default_config_static_selectorELNS0_4arch9wavefront6targetE1EEEvT1_
	.globl	_ZN7rocprim17ROCPRIM_400000_NS6detail17trampoline_kernelINS0_14default_configENS1_20scan_config_selectorIxEEZZNS1_9scan_implILNS1_25lookback_scan_determinismE0ELb1ELb1ES3_N6thrust23THRUST_200600_302600_NS6detail15normal_iteratorINS9_10device_ptrIxEEEENS9_16discard_iteratorINS9_11use_defaultEEExNS9_4plusIvEExEEDaPvRmT3_T4_T5_mT6_P12ihipStream_tbENKUlT_T0_E_clISt17integral_constantIbLb0EESX_EEDaSS_ST_EUlSS_E0_NS1_11comp_targetILNS1_3genE10ELNS1_11target_archE1201ELNS1_3gpuE5ELNS1_3repE0EEENS1_30default_config_static_selectorELNS0_4arch9wavefront6targetE1EEEvT1_
	.p2align	8
	.type	_ZN7rocprim17ROCPRIM_400000_NS6detail17trampoline_kernelINS0_14default_configENS1_20scan_config_selectorIxEEZZNS1_9scan_implILNS1_25lookback_scan_determinismE0ELb1ELb1ES3_N6thrust23THRUST_200600_302600_NS6detail15normal_iteratorINS9_10device_ptrIxEEEENS9_16discard_iteratorINS9_11use_defaultEEExNS9_4plusIvEExEEDaPvRmT3_T4_T5_mT6_P12ihipStream_tbENKUlT_T0_E_clISt17integral_constantIbLb0EESX_EEDaSS_ST_EUlSS_E0_NS1_11comp_targetILNS1_3genE10ELNS1_11target_archE1201ELNS1_3gpuE5ELNS1_3repE0EEENS1_30default_config_static_selectorELNS0_4arch9wavefront6targetE1EEEvT1_,@function
_ZN7rocprim17ROCPRIM_400000_NS6detail17trampoline_kernelINS0_14default_configENS1_20scan_config_selectorIxEEZZNS1_9scan_implILNS1_25lookback_scan_determinismE0ELb1ELb1ES3_N6thrust23THRUST_200600_302600_NS6detail15normal_iteratorINS9_10device_ptrIxEEEENS9_16discard_iteratorINS9_11use_defaultEEExNS9_4plusIvEExEEDaPvRmT3_T4_T5_mT6_P12ihipStream_tbENKUlT_T0_E_clISt17integral_constantIbLb0EESX_EEDaSS_ST_EUlSS_E0_NS1_11comp_targetILNS1_3genE10ELNS1_11target_archE1201ELNS1_3gpuE5ELNS1_3repE0EEENS1_30default_config_static_selectorELNS0_4arch9wavefront6targetE1EEEvT1_: ; @_ZN7rocprim17ROCPRIM_400000_NS6detail17trampoline_kernelINS0_14default_configENS1_20scan_config_selectorIxEEZZNS1_9scan_implILNS1_25lookback_scan_determinismE0ELb1ELb1ES3_N6thrust23THRUST_200600_302600_NS6detail15normal_iteratorINS9_10device_ptrIxEEEENS9_16discard_iteratorINS9_11use_defaultEEExNS9_4plusIvEExEEDaPvRmT3_T4_T5_mT6_P12ihipStream_tbENKUlT_T0_E_clISt17integral_constantIbLb0EESX_EEDaSS_ST_EUlSS_E0_NS1_11comp_targetILNS1_3genE10ELNS1_11target_archE1201ELNS1_3gpuE5ELNS1_3repE0EEENS1_30default_config_static_selectorELNS0_4arch9wavefront6targetE1EEEvT1_
; %bb.0:
	.section	.rodata,"a",@progbits
	.p2align	6, 0x0
	.amdhsa_kernel _ZN7rocprim17ROCPRIM_400000_NS6detail17trampoline_kernelINS0_14default_configENS1_20scan_config_selectorIxEEZZNS1_9scan_implILNS1_25lookback_scan_determinismE0ELb1ELb1ES3_N6thrust23THRUST_200600_302600_NS6detail15normal_iteratorINS9_10device_ptrIxEEEENS9_16discard_iteratorINS9_11use_defaultEEExNS9_4plusIvEExEEDaPvRmT3_T4_T5_mT6_P12ihipStream_tbENKUlT_T0_E_clISt17integral_constantIbLb0EESX_EEDaSS_ST_EUlSS_E0_NS1_11comp_targetILNS1_3genE10ELNS1_11target_archE1201ELNS1_3gpuE5ELNS1_3repE0EEENS1_30default_config_static_selectorELNS0_4arch9wavefront6targetE1EEEvT1_
		.amdhsa_group_segment_fixed_size 0
		.amdhsa_private_segment_fixed_size 0
		.amdhsa_kernarg_size 48
		.amdhsa_user_sgpr_count 6
		.amdhsa_user_sgpr_private_segment_buffer 1
		.amdhsa_user_sgpr_dispatch_ptr 0
		.amdhsa_user_sgpr_queue_ptr 0
		.amdhsa_user_sgpr_kernarg_segment_ptr 1
		.amdhsa_user_sgpr_dispatch_id 0
		.amdhsa_user_sgpr_flat_scratch_init 0
		.amdhsa_user_sgpr_kernarg_preload_length 0
		.amdhsa_user_sgpr_kernarg_preload_offset 0
		.amdhsa_user_sgpr_private_segment_size 0
		.amdhsa_uses_dynamic_stack 0
		.amdhsa_system_sgpr_private_segment_wavefront_offset 0
		.amdhsa_system_sgpr_workgroup_id_x 1
		.amdhsa_system_sgpr_workgroup_id_y 0
		.amdhsa_system_sgpr_workgroup_id_z 0
		.amdhsa_system_sgpr_workgroup_info 0
		.amdhsa_system_vgpr_workitem_id 0
		.amdhsa_next_free_vgpr 1
		.amdhsa_next_free_sgpr 0
		.amdhsa_accum_offset 4
		.amdhsa_reserve_vcc 0
		.amdhsa_reserve_flat_scratch 0
		.amdhsa_float_round_mode_32 0
		.amdhsa_float_round_mode_16_64 0
		.amdhsa_float_denorm_mode_32 3
		.amdhsa_float_denorm_mode_16_64 3
		.amdhsa_dx10_clamp 1
		.amdhsa_ieee_mode 1
		.amdhsa_fp16_overflow 0
		.amdhsa_tg_split 0
		.amdhsa_exception_fp_ieee_invalid_op 0
		.amdhsa_exception_fp_denorm_src 0
		.amdhsa_exception_fp_ieee_div_zero 0
		.amdhsa_exception_fp_ieee_overflow 0
		.amdhsa_exception_fp_ieee_underflow 0
		.amdhsa_exception_fp_ieee_inexact 0
		.amdhsa_exception_int_div_zero 0
	.end_amdhsa_kernel
	.section	.text._ZN7rocprim17ROCPRIM_400000_NS6detail17trampoline_kernelINS0_14default_configENS1_20scan_config_selectorIxEEZZNS1_9scan_implILNS1_25lookback_scan_determinismE0ELb1ELb1ES3_N6thrust23THRUST_200600_302600_NS6detail15normal_iteratorINS9_10device_ptrIxEEEENS9_16discard_iteratorINS9_11use_defaultEEExNS9_4plusIvEExEEDaPvRmT3_T4_T5_mT6_P12ihipStream_tbENKUlT_T0_E_clISt17integral_constantIbLb0EESX_EEDaSS_ST_EUlSS_E0_NS1_11comp_targetILNS1_3genE10ELNS1_11target_archE1201ELNS1_3gpuE5ELNS1_3repE0EEENS1_30default_config_static_selectorELNS0_4arch9wavefront6targetE1EEEvT1_,"axG",@progbits,_ZN7rocprim17ROCPRIM_400000_NS6detail17trampoline_kernelINS0_14default_configENS1_20scan_config_selectorIxEEZZNS1_9scan_implILNS1_25lookback_scan_determinismE0ELb1ELb1ES3_N6thrust23THRUST_200600_302600_NS6detail15normal_iteratorINS9_10device_ptrIxEEEENS9_16discard_iteratorINS9_11use_defaultEEExNS9_4plusIvEExEEDaPvRmT3_T4_T5_mT6_P12ihipStream_tbENKUlT_T0_E_clISt17integral_constantIbLb0EESX_EEDaSS_ST_EUlSS_E0_NS1_11comp_targetILNS1_3genE10ELNS1_11target_archE1201ELNS1_3gpuE5ELNS1_3repE0EEENS1_30default_config_static_selectorELNS0_4arch9wavefront6targetE1EEEvT1_,comdat
.Lfunc_end5668:
	.size	_ZN7rocprim17ROCPRIM_400000_NS6detail17trampoline_kernelINS0_14default_configENS1_20scan_config_selectorIxEEZZNS1_9scan_implILNS1_25lookback_scan_determinismE0ELb1ELb1ES3_N6thrust23THRUST_200600_302600_NS6detail15normal_iteratorINS9_10device_ptrIxEEEENS9_16discard_iteratorINS9_11use_defaultEEExNS9_4plusIvEExEEDaPvRmT3_T4_T5_mT6_P12ihipStream_tbENKUlT_T0_E_clISt17integral_constantIbLb0EESX_EEDaSS_ST_EUlSS_E0_NS1_11comp_targetILNS1_3genE10ELNS1_11target_archE1201ELNS1_3gpuE5ELNS1_3repE0EEENS1_30default_config_static_selectorELNS0_4arch9wavefront6targetE1EEEvT1_, .Lfunc_end5668-_ZN7rocprim17ROCPRIM_400000_NS6detail17trampoline_kernelINS0_14default_configENS1_20scan_config_selectorIxEEZZNS1_9scan_implILNS1_25lookback_scan_determinismE0ELb1ELb1ES3_N6thrust23THRUST_200600_302600_NS6detail15normal_iteratorINS9_10device_ptrIxEEEENS9_16discard_iteratorINS9_11use_defaultEEExNS9_4plusIvEExEEDaPvRmT3_T4_T5_mT6_P12ihipStream_tbENKUlT_T0_E_clISt17integral_constantIbLb0EESX_EEDaSS_ST_EUlSS_E0_NS1_11comp_targetILNS1_3genE10ELNS1_11target_archE1201ELNS1_3gpuE5ELNS1_3repE0EEENS1_30default_config_static_selectorELNS0_4arch9wavefront6targetE1EEEvT1_
                                        ; -- End function
	.section	.AMDGPU.csdata,"",@progbits
; Kernel info:
; codeLenInByte = 0
; NumSgprs: 4
; NumVgprs: 0
; NumAgprs: 0
; TotalNumVgprs: 0
; ScratchSize: 0
; MemoryBound: 0
; FloatMode: 240
; IeeeMode: 1
; LDSByteSize: 0 bytes/workgroup (compile time only)
; SGPRBlocks: 0
; VGPRBlocks: 0
; NumSGPRsForWavesPerEU: 4
; NumVGPRsForWavesPerEU: 1
; AccumOffset: 4
; Occupancy: 8
; WaveLimiterHint : 0
; COMPUTE_PGM_RSRC2:SCRATCH_EN: 0
; COMPUTE_PGM_RSRC2:USER_SGPR: 6
; COMPUTE_PGM_RSRC2:TRAP_HANDLER: 0
; COMPUTE_PGM_RSRC2:TGID_X_EN: 1
; COMPUTE_PGM_RSRC2:TGID_Y_EN: 0
; COMPUTE_PGM_RSRC2:TGID_Z_EN: 0
; COMPUTE_PGM_RSRC2:TIDIG_COMP_CNT: 0
; COMPUTE_PGM_RSRC3_GFX90A:ACCUM_OFFSET: 0
; COMPUTE_PGM_RSRC3_GFX90A:TG_SPLIT: 0
	.section	.text._ZN7rocprim17ROCPRIM_400000_NS6detail17trampoline_kernelINS0_14default_configENS1_20scan_config_selectorIxEEZZNS1_9scan_implILNS1_25lookback_scan_determinismE0ELb1ELb1ES3_N6thrust23THRUST_200600_302600_NS6detail15normal_iteratorINS9_10device_ptrIxEEEENS9_16discard_iteratorINS9_11use_defaultEEExNS9_4plusIvEExEEDaPvRmT3_T4_T5_mT6_P12ihipStream_tbENKUlT_T0_E_clISt17integral_constantIbLb0EESX_EEDaSS_ST_EUlSS_E0_NS1_11comp_targetILNS1_3genE10ELNS1_11target_archE1200ELNS1_3gpuE4ELNS1_3repE0EEENS1_30default_config_static_selectorELNS0_4arch9wavefront6targetE1EEEvT1_,"axG",@progbits,_ZN7rocprim17ROCPRIM_400000_NS6detail17trampoline_kernelINS0_14default_configENS1_20scan_config_selectorIxEEZZNS1_9scan_implILNS1_25lookback_scan_determinismE0ELb1ELb1ES3_N6thrust23THRUST_200600_302600_NS6detail15normal_iteratorINS9_10device_ptrIxEEEENS9_16discard_iteratorINS9_11use_defaultEEExNS9_4plusIvEExEEDaPvRmT3_T4_T5_mT6_P12ihipStream_tbENKUlT_T0_E_clISt17integral_constantIbLb0EESX_EEDaSS_ST_EUlSS_E0_NS1_11comp_targetILNS1_3genE10ELNS1_11target_archE1200ELNS1_3gpuE4ELNS1_3repE0EEENS1_30default_config_static_selectorELNS0_4arch9wavefront6targetE1EEEvT1_,comdat
	.protected	_ZN7rocprim17ROCPRIM_400000_NS6detail17trampoline_kernelINS0_14default_configENS1_20scan_config_selectorIxEEZZNS1_9scan_implILNS1_25lookback_scan_determinismE0ELb1ELb1ES3_N6thrust23THRUST_200600_302600_NS6detail15normal_iteratorINS9_10device_ptrIxEEEENS9_16discard_iteratorINS9_11use_defaultEEExNS9_4plusIvEExEEDaPvRmT3_T4_T5_mT6_P12ihipStream_tbENKUlT_T0_E_clISt17integral_constantIbLb0EESX_EEDaSS_ST_EUlSS_E0_NS1_11comp_targetILNS1_3genE10ELNS1_11target_archE1200ELNS1_3gpuE4ELNS1_3repE0EEENS1_30default_config_static_selectorELNS0_4arch9wavefront6targetE1EEEvT1_ ; -- Begin function _ZN7rocprim17ROCPRIM_400000_NS6detail17trampoline_kernelINS0_14default_configENS1_20scan_config_selectorIxEEZZNS1_9scan_implILNS1_25lookback_scan_determinismE0ELb1ELb1ES3_N6thrust23THRUST_200600_302600_NS6detail15normal_iteratorINS9_10device_ptrIxEEEENS9_16discard_iteratorINS9_11use_defaultEEExNS9_4plusIvEExEEDaPvRmT3_T4_T5_mT6_P12ihipStream_tbENKUlT_T0_E_clISt17integral_constantIbLb0EESX_EEDaSS_ST_EUlSS_E0_NS1_11comp_targetILNS1_3genE10ELNS1_11target_archE1200ELNS1_3gpuE4ELNS1_3repE0EEENS1_30default_config_static_selectorELNS0_4arch9wavefront6targetE1EEEvT1_
	.globl	_ZN7rocprim17ROCPRIM_400000_NS6detail17trampoline_kernelINS0_14default_configENS1_20scan_config_selectorIxEEZZNS1_9scan_implILNS1_25lookback_scan_determinismE0ELb1ELb1ES3_N6thrust23THRUST_200600_302600_NS6detail15normal_iteratorINS9_10device_ptrIxEEEENS9_16discard_iteratorINS9_11use_defaultEEExNS9_4plusIvEExEEDaPvRmT3_T4_T5_mT6_P12ihipStream_tbENKUlT_T0_E_clISt17integral_constantIbLb0EESX_EEDaSS_ST_EUlSS_E0_NS1_11comp_targetILNS1_3genE10ELNS1_11target_archE1200ELNS1_3gpuE4ELNS1_3repE0EEENS1_30default_config_static_selectorELNS0_4arch9wavefront6targetE1EEEvT1_
	.p2align	8
	.type	_ZN7rocprim17ROCPRIM_400000_NS6detail17trampoline_kernelINS0_14default_configENS1_20scan_config_selectorIxEEZZNS1_9scan_implILNS1_25lookback_scan_determinismE0ELb1ELb1ES3_N6thrust23THRUST_200600_302600_NS6detail15normal_iteratorINS9_10device_ptrIxEEEENS9_16discard_iteratorINS9_11use_defaultEEExNS9_4plusIvEExEEDaPvRmT3_T4_T5_mT6_P12ihipStream_tbENKUlT_T0_E_clISt17integral_constantIbLb0EESX_EEDaSS_ST_EUlSS_E0_NS1_11comp_targetILNS1_3genE10ELNS1_11target_archE1200ELNS1_3gpuE4ELNS1_3repE0EEENS1_30default_config_static_selectorELNS0_4arch9wavefront6targetE1EEEvT1_,@function
_ZN7rocprim17ROCPRIM_400000_NS6detail17trampoline_kernelINS0_14default_configENS1_20scan_config_selectorIxEEZZNS1_9scan_implILNS1_25lookback_scan_determinismE0ELb1ELb1ES3_N6thrust23THRUST_200600_302600_NS6detail15normal_iteratorINS9_10device_ptrIxEEEENS9_16discard_iteratorINS9_11use_defaultEEExNS9_4plusIvEExEEDaPvRmT3_T4_T5_mT6_P12ihipStream_tbENKUlT_T0_E_clISt17integral_constantIbLb0EESX_EEDaSS_ST_EUlSS_E0_NS1_11comp_targetILNS1_3genE10ELNS1_11target_archE1200ELNS1_3gpuE4ELNS1_3repE0EEENS1_30default_config_static_selectorELNS0_4arch9wavefront6targetE1EEEvT1_: ; @_ZN7rocprim17ROCPRIM_400000_NS6detail17trampoline_kernelINS0_14default_configENS1_20scan_config_selectorIxEEZZNS1_9scan_implILNS1_25lookback_scan_determinismE0ELb1ELb1ES3_N6thrust23THRUST_200600_302600_NS6detail15normal_iteratorINS9_10device_ptrIxEEEENS9_16discard_iteratorINS9_11use_defaultEEExNS9_4plusIvEExEEDaPvRmT3_T4_T5_mT6_P12ihipStream_tbENKUlT_T0_E_clISt17integral_constantIbLb0EESX_EEDaSS_ST_EUlSS_E0_NS1_11comp_targetILNS1_3genE10ELNS1_11target_archE1200ELNS1_3gpuE4ELNS1_3repE0EEENS1_30default_config_static_selectorELNS0_4arch9wavefront6targetE1EEEvT1_
; %bb.0:
	.section	.rodata,"a",@progbits
	.p2align	6, 0x0
	.amdhsa_kernel _ZN7rocprim17ROCPRIM_400000_NS6detail17trampoline_kernelINS0_14default_configENS1_20scan_config_selectorIxEEZZNS1_9scan_implILNS1_25lookback_scan_determinismE0ELb1ELb1ES3_N6thrust23THRUST_200600_302600_NS6detail15normal_iteratorINS9_10device_ptrIxEEEENS9_16discard_iteratorINS9_11use_defaultEEExNS9_4plusIvEExEEDaPvRmT3_T4_T5_mT6_P12ihipStream_tbENKUlT_T0_E_clISt17integral_constantIbLb0EESX_EEDaSS_ST_EUlSS_E0_NS1_11comp_targetILNS1_3genE10ELNS1_11target_archE1200ELNS1_3gpuE4ELNS1_3repE0EEENS1_30default_config_static_selectorELNS0_4arch9wavefront6targetE1EEEvT1_
		.amdhsa_group_segment_fixed_size 0
		.amdhsa_private_segment_fixed_size 0
		.amdhsa_kernarg_size 48
		.amdhsa_user_sgpr_count 6
		.amdhsa_user_sgpr_private_segment_buffer 1
		.amdhsa_user_sgpr_dispatch_ptr 0
		.amdhsa_user_sgpr_queue_ptr 0
		.amdhsa_user_sgpr_kernarg_segment_ptr 1
		.amdhsa_user_sgpr_dispatch_id 0
		.amdhsa_user_sgpr_flat_scratch_init 0
		.amdhsa_user_sgpr_kernarg_preload_length 0
		.amdhsa_user_sgpr_kernarg_preload_offset 0
		.amdhsa_user_sgpr_private_segment_size 0
		.amdhsa_uses_dynamic_stack 0
		.amdhsa_system_sgpr_private_segment_wavefront_offset 0
		.amdhsa_system_sgpr_workgroup_id_x 1
		.amdhsa_system_sgpr_workgroup_id_y 0
		.amdhsa_system_sgpr_workgroup_id_z 0
		.amdhsa_system_sgpr_workgroup_info 0
		.amdhsa_system_vgpr_workitem_id 0
		.amdhsa_next_free_vgpr 1
		.amdhsa_next_free_sgpr 0
		.amdhsa_accum_offset 4
		.amdhsa_reserve_vcc 0
		.amdhsa_reserve_flat_scratch 0
		.amdhsa_float_round_mode_32 0
		.amdhsa_float_round_mode_16_64 0
		.amdhsa_float_denorm_mode_32 3
		.amdhsa_float_denorm_mode_16_64 3
		.amdhsa_dx10_clamp 1
		.amdhsa_ieee_mode 1
		.amdhsa_fp16_overflow 0
		.amdhsa_tg_split 0
		.amdhsa_exception_fp_ieee_invalid_op 0
		.amdhsa_exception_fp_denorm_src 0
		.amdhsa_exception_fp_ieee_div_zero 0
		.amdhsa_exception_fp_ieee_overflow 0
		.amdhsa_exception_fp_ieee_underflow 0
		.amdhsa_exception_fp_ieee_inexact 0
		.amdhsa_exception_int_div_zero 0
	.end_amdhsa_kernel
	.section	.text._ZN7rocprim17ROCPRIM_400000_NS6detail17trampoline_kernelINS0_14default_configENS1_20scan_config_selectorIxEEZZNS1_9scan_implILNS1_25lookback_scan_determinismE0ELb1ELb1ES3_N6thrust23THRUST_200600_302600_NS6detail15normal_iteratorINS9_10device_ptrIxEEEENS9_16discard_iteratorINS9_11use_defaultEEExNS9_4plusIvEExEEDaPvRmT3_T4_T5_mT6_P12ihipStream_tbENKUlT_T0_E_clISt17integral_constantIbLb0EESX_EEDaSS_ST_EUlSS_E0_NS1_11comp_targetILNS1_3genE10ELNS1_11target_archE1200ELNS1_3gpuE4ELNS1_3repE0EEENS1_30default_config_static_selectorELNS0_4arch9wavefront6targetE1EEEvT1_,"axG",@progbits,_ZN7rocprim17ROCPRIM_400000_NS6detail17trampoline_kernelINS0_14default_configENS1_20scan_config_selectorIxEEZZNS1_9scan_implILNS1_25lookback_scan_determinismE0ELb1ELb1ES3_N6thrust23THRUST_200600_302600_NS6detail15normal_iteratorINS9_10device_ptrIxEEEENS9_16discard_iteratorINS9_11use_defaultEEExNS9_4plusIvEExEEDaPvRmT3_T4_T5_mT6_P12ihipStream_tbENKUlT_T0_E_clISt17integral_constantIbLb0EESX_EEDaSS_ST_EUlSS_E0_NS1_11comp_targetILNS1_3genE10ELNS1_11target_archE1200ELNS1_3gpuE4ELNS1_3repE0EEENS1_30default_config_static_selectorELNS0_4arch9wavefront6targetE1EEEvT1_,comdat
.Lfunc_end5669:
	.size	_ZN7rocprim17ROCPRIM_400000_NS6detail17trampoline_kernelINS0_14default_configENS1_20scan_config_selectorIxEEZZNS1_9scan_implILNS1_25lookback_scan_determinismE0ELb1ELb1ES3_N6thrust23THRUST_200600_302600_NS6detail15normal_iteratorINS9_10device_ptrIxEEEENS9_16discard_iteratorINS9_11use_defaultEEExNS9_4plusIvEExEEDaPvRmT3_T4_T5_mT6_P12ihipStream_tbENKUlT_T0_E_clISt17integral_constantIbLb0EESX_EEDaSS_ST_EUlSS_E0_NS1_11comp_targetILNS1_3genE10ELNS1_11target_archE1200ELNS1_3gpuE4ELNS1_3repE0EEENS1_30default_config_static_selectorELNS0_4arch9wavefront6targetE1EEEvT1_, .Lfunc_end5669-_ZN7rocprim17ROCPRIM_400000_NS6detail17trampoline_kernelINS0_14default_configENS1_20scan_config_selectorIxEEZZNS1_9scan_implILNS1_25lookback_scan_determinismE0ELb1ELb1ES3_N6thrust23THRUST_200600_302600_NS6detail15normal_iteratorINS9_10device_ptrIxEEEENS9_16discard_iteratorINS9_11use_defaultEEExNS9_4plusIvEExEEDaPvRmT3_T4_T5_mT6_P12ihipStream_tbENKUlT_T0_E_clISt17integral_constantIbLb0EESX_EEDaSS_ST_EUlSS_E0_NS1_11comp_targetILNS1_3genE10ELNS1_11target_archE1200ELNS1_3gpuE4ELNS1_3repE0EEENS1_30default_config_static_selectorELNS0_4arch9wavefront6targetE1EEEvT1_
                                        ; -- End function
	.section	.AMDGPU.csdata,"",@progbits
; Kernel info:
; codeLenInByte = 0
; NumSgprs: 4
; NumVgprs: 0
; NumAgprs: 0
; TotalNumVgprs: 0
; ScratchSize: 0
; MemoryBound: 0
; FloatMode: 240
; IeeeMode: 1
; LDSByteSize: 0 bytes/workgroup (compile time only)
; SGPRBlocks: 0
; VGPRBlocks: 0
; NumSGPRsForWavesPerEU: 4
; NumVGPRsForWavesPerEU: 1
; AccumOffset: 4
; Occupancy: 8
; WaveLimiterHint : 0
; COMPUTE_PGM_RSRC2:SCRATCH_EN: 0
; COMPUTE_PGM_RSRC2:USER_SGPR: 6
; COMPUTE_PGM_RSRC2:TRAP_HANDLER: 0
; COMPUTE_PGM_RSRC2:TGID_X_EN: 1
; COMPUTE_PGM_RSRC2:TGID_Y_EN: 0
; COMPUTE_PGM_RSRC2:TGID_Z_EN: 0
; COMPUTE_PGM_RSRC2:TIDIG_COMP_CNT: 0
; COMPUTE_PGM_RSRC3_GFX90A:ACCUM_OFFSET: 0
; COMPUTE_PGM_RSRC3_GFX90A:TG_SPLIT: 0
	.section	.text._ZN7rocprim17ROCPRIM_400000_NS6detail17trampoline_kernelINS0_14default_configENS1_20scan_config_selectorIxEEZZNS1_9scan_implILNS1_25lookback_scan_determinismE0ELb1ELb1ES3_N6thrust23THRUST_200600_302600_NS6detail15normal_iteratorINS9_10device_ptrIxEEEENS9_16discard_iteratorINS9_11use_defaultEEExNS9_4plusIvEExEEDaPvRmT3_T4_T5_mT6_P12ihipStream_tbENKUlT_T0_E_clISt17integral_constantIbLb0EESX_EEDaSS_ST_EUlSS_E0_NS1_11comp_targetILNS1_3genE9ELNS1_11target_archE1100ELNS1_3gpuE3ELNS1_3repE0EEENS1_30default_config_static_selectorELNS0_4arch9wavefront6targetE1EEEvT1_,"axG",@progbits,_ZN7rocprim17ROCPRIM_400000_NS6detail17trampoline_kernelINS0_14default_configENS1_20scan_config_selectorIxEEZZNS1_9scan_implILNS1_25lookback_scan_determinismE0ELb1ELb1ES3_N6thrust23THRUST_200600_302600_NS6detail15normal_iteratorINS9_10device_ptrIxEEEENS9_16discard_iteratorINS9_11use_defaultEEExNS9_4plusIvEExEEDaPvRmT3_T4_T5_mT6_P12ihipStream_tbENKUlT_T0_E_clISt17integral_constantIbLb0EESX_EEDaSS_ST_EUlSS_E0_NS1_11comp_targetILNS1_3genE9ELNS1_11target_archE1100ELNS1_3gpuE3ELNS1_3repE0EEENS1_30default_config_static_selectorELNS0_4arch9wavefront6targetE1EEEvT1_,comdat
	.protected	_ZN7rocprim17ROCPRIM_400000_NS6detail17trampoline_kernelINS0_14default_configENS1_20scan_config_selectorIxEEZZNS1_9scan_implILNS1_25lookback_scan_determinismE0ELb1ELb1ES3_N6thrust23THRUST_200600_302600_NS6detail15normal_iteratorINS9_10device_ptrIxEEEENS9_16discard_iteratorINS9_11use_defaultEEExNS9_4plusIvEExEEDaPvRmT3_T4_T5_mT6_P12ihipStream_tbENKUlT_T0_E_clISt17integral_constantIbLb0EESX_EEDaSS_ST_EUlSS_E0_NS1_11comp_targetILNS1_3genE9ELNS1_11target_archE1100ELNS1_3gpuE3ELNS1_3repE0EEENS1_30default_config_static_selectorELNS0_4arch9wavefront6targetE1EEEvT1_ ; -- Begin function _ZN7rocprim17ROCPRIM_400000_NS6detail17trampoline_kernelINS0_14default_configENS1_20scan_config_selectorIxEEZZNS1_9scan_implILNS1_25lookback_scan_determinismE0ELb1ELb1ES3_N6thrust23THRUST_200600_302600_NS6detail15normal_iteratorINS9_10device_ptrIxEEEENS9_16discard_iteratorINS9_11use_defaultEEExNS9_4plusIvEExEEDaPvRmT3_T4_T5_mT6_P12ihipStream_tbENKUlT_T0_E_clISt17integral_constantIbLb0EESX_EEDaSS_ST_EUlSS_E0_NS1_11comp_targetILNS1_3genE9ELNS1_11target_archE1100ELNS1_3gpuE3ELNS1_3repE0EEENS1_30default_config_static_selectorELNS0_4arch9wavefront6targetE1EEEvT1_
	.globl	_ZN7rocprim17ROCPRIM_400000_NS6detail17trampoline_kernelINS0_14default_configENS1_20scan_config_selectorIxEEZZNS1_9scan_implILNS1_25lookback_scan_determinismE0ELb1ELb1ES3_N6thrust23THRUST_200600_302600_NS6detail15normal_iteratorINS9_10device_ptrIxEEEENS9_16discard_iteratorINS9_11use_defaultEEExNS9_4plusIvEExEEDaPvRmT3_T4_T5_mT6_P12ihipStream_tbENKUlT_T0_E_clISt17integral_constantIbLb0EESX_EEDaSS_ST_EUlSS_E0_NS1_11comp_targetILNS1_3genE9ELNS1_11target_archE1100ELNS1_3gpuE3ELNS1_3repE0EEENS1_30default_config_static_selectorELNS0_4arch9wavefront6targetE1EEEvT1_
	.p2align	8
	.type	_ZN7rocprim17ROCPRIM_400000_NS6detail17trampoline_kernelINS0_14default_configENS1_20scan_config_selectorIxEEZZNS1_9scan_implILNS1_25lookback_scan_determinismE0ELb1ELb1ES3_N6thrust23THRUST_200600_302600_NS6detail15normal_iteratorINS9_10device_ptrIxEEEENS9_16discard_iteratorINS9_11use_defaultEEExNS9_4plusIvEExEEDaPvRmT3_T4_T5_mT6_P12ihipStream_tbENKUlT_T0_E_clISt17integral_constantIbLb0EESX_EEDaSS_ST_EUlSS_E0_NS1_11comp_targetILNS1_3genE9ELNS1_11target_archE1100ELNS1_3gpuE3ELNS1_3repE0EEENS1_30default_config_static_selectorELNS0_4arch9wavefront6targetE1EEEvT1_,@function
_ZN7rocprim17ROCPRIM_400000_NS6detail17trampoline_kernelINS0_14default_configENS1_20scan_config_selectorIxEEZZNS1_9scan_implILNS1_25lookback_scan_determinismE0ELb1ELb1ES3_N6thrust23THRUST_200600_302600_NS6detail15normal_iteratorINS9_10device_ptrIxEEEENS9_16discard_iteratorINS9_11use_defaultEEExNS9_4plusIvEExEEDaPvRmT3_T4_T5_mT6_P12ihipStream_tbENKUlT_T0_E_clISt17integral_constantIbLb0EESX_EEDaSS_ST_EUlSS_E0_NS1_11comp_targetILNS1_3genE9ELNS1_11target_archE1100ELNS1_3gpuE3ELNS1_3repE0EEENS1_30default_config_static_selectorELNS0_4arch9wavefront6targetE1EEEvT1_: ; @_ZN7rocprim17ROCPRIM_400000_NS6detail17trampoline_kernelINS0_14default_configENS1_20scan_config_selectorIxEEZZNS1_9scan_implILNS1_25lookback_scan_determinismE0ELb1ELb1ES3_N6thrust23THRUST_200600_302600_NS6detail15normal_iteratorINS9_10device_ptrIxEEEENS9_16discard_iteratorINS9_11use_defaultEEExNS9_4plusIvEExEEDaPvRmT3_T4_T5_mT6_P12ihipStream_tbENKUlT_T0_E_clISt17integral_constantIbLb0EESX_EEDaSS_ST_EUlSS_E0_NS1_11comp_targetILNS1_3genE9ELNS1_11target_archE1100ELNS1_3gpuE3ELNS1_3repE0EEENS1_30default_config_static_selectorELNS0_4arch9wavefront6targetE1EEEvT1_
; %bb.0:
	.section	.rodata,"a",@progbits
	.p2align	6, 0x0
	.amdhsa_kernel _ZN7rocprim17ROCPRIM_400000_NS6detail17trampoline_kernelINS0_14default_configENS1_20scan_config_selectorIxEEZZNS1_9scan_implILNS1_25lookback_scan_determinismE0ELb1ELb1ES3_N6thrust23THRUST_200600_302600_NS6detail15normal_iteratorINS9_10device_ptrIxEEEENS9_16discard_iteratorINS9_11use_defaultEEExNS9_4plusIvEExEEDaPvRmT3_T4_T5_mT6_P12ihipStream_tbENKUlT_T0_E_clISt17integral_constantIbLb0EESX_EEDaSS_ST_EUlSS_E0_NS1_11comp_targetILNS1_3genE9ELNS1_11target_archE1100ELNS1_3gpuE3ELNS1_3repE0EEENS1_30default_config_static_selectorELNS0_4arch9wavefront6targetE1EEEvT1_
		.amdhsa_group_segment_fixed_size 0
		.amdhsa_private_segment_fixed_size 0
		.amdhsa_kernarg_size 48
		.amdhsa_user_sgpr_count 6
		.amdhsa_user_sgpr_private_segment_buffer 1
		.amdhsa_user_sgpr_dispatch_ptr 0
		.amdhsa_user_sgpr_queue_ptr 0
		.amdhsa_user_sgpr_kernarg_segment_ptr 1
		.amdhsa_user_sgpr_dispatch_id 0
		.amdhsa_user_sgpr_flat_scratch_init 0
		.amdhsa_user_sgpr_kernarg_preload_length 0
		.amdhsa_user_sgpr_kernarg_preload_offset 0
		.amdhsa_user_sgpr_private_segment_size 0
		.amdhsa_uses_dynamic_stack 0
		.amdhsa_system_sgpr_private_segment_wavefront_offset 0
		.amdhsa_system_sgpr_workgroup_id_x 1
		.amdhsa_system_sgpr_workgroup_id_y 0
		.amdhsa_system_sgpr_workgroup_id_z 0
		.amdhsa_system_sgpr_workgroup_info 0
		.amdhsa_system_vgpr_workitem_id 0
		.amdhsa_next_free_vgpr 1
		.amdhsa_next_free_sgpr 0
		.amdhsa_accum_offset 4
		.amdhsa_reserve_vcc 0
		.amdhsa_reserve_flat_scratch 0
		.amdhsa_float_round_mode_32 0
		.amdhsa_float_round_mode_16_64 0
		.amdhsa_float_denorm_mode_32 3
		.amdhsa_float_denorm_mode_16_64 3
		.amdhsa_dx10_clamp 1
		.amdhsa_ieee_mode 1
		.amdhsa_fp16_overflow 0
		.amdhsa_tg_split 0
		.amdhsa_exception_fp_ieee_invalid_op 0
		.amdhsa_exception_fp_denorm_src 0
		.amdhsa_exception_fp_ieee_div_zero 0
		.amdhsa_exception_fp_ieee_overflow 0
		.amdhsa_exception_fp_ieee_underflow 0
		.amdhsa_exception_fp_ieee_inexact 0
		.amdhsa_exception_int_div_zero 0
	.end_amdhsa_kernel
	.section	.text._ZN7rocprim17ROCPRIM_400000_NS6detail17trampoline_kernelINS0_14default_configENS1_20scan_config_selectorIxEEZZNS1_9scan_implILNS1_25lookback_scan_determinismE0ELb1ELb1ES3_N6thrust23THRUST_200600_302600_NS6detail15normal_iteratorINS9_10device_ptrIxEEEENS9_16discard_iteratorINS9_11use_defaultEEExNS9_4plusIvEExEEDaPvRmT3_T4_T5_mT6_P12ihipStream_tbENKUlT_T0_E_clISt17integral_constantIbLb0EESX_EEDaSS_ST_EUlSS_E0_NS1_11comp_targetILNS1_3genE9ELNS1_11target_archE1100ELNS1_3gpuE3ELNS1_3repE0EEENS1_30default_config_static_selectorELNS0_4arch9wavefront6targetE1EEEvT1_,"axG",@progbits,_ZN7rocprim17ROCPRIM_400000_NS6detail17trampoline_kernelINS0_14default_configENS1_20scan_config_selectorIxEEZZNS1_9scan_implILNS1_25lookback_scan_determinismE0ELb1ELb1ES3_N6thrust23THRUST_200600_302600_NS6detail15normal_iteratorINS9_10device_ptrIxEEEENS9_16discard_iteratorINS9_11use_defaultEEExNS9_4plusIvEExEEDaPvRmT3_T4_T5_mT6_P12ihipStream_tbENKUlT_T0_E_clISt17integral_constantIbLb0EESX_EEDaSS_ST_EUlSS_E0_NS1_11comp_targetILNS1_3genE9ELNS1_11target_archE1100ELNS1_3gpuE3ELNS1_3repE0EEENS1_30default_config_static_selectorELNS0_4arch9wavefront6targetE1EEEvT1_,comdat
.Lfunc_end5670:
	.size	_ZN7rocprim17ROCPRIM_400000_NS6detail17trampoline_kernelINS0_14default_configENS1_20scan_config_selectorIxEEZZNS1_9scan_implILNS1_25lookback_scan_determinismE0ELb1ELb1ES3_N6thrust23THRUST_200600_302600_NS6detail15normal_iteratorINS9_10device_ptrIxEEEENS9_16discard_iteratorINS9_11use_defaultEEExNS9_4plusIvEExEEDaPvRmT3_T4_T5_mT6_P12ihipStream_tbENKUlT_T0_E_clISt17integral_constantIbLb0EESX_EEDaSS_ST_EUlSS_E0_NS1_11comp_targetILNS1_3genE9ELNS1_11target_archE1100ELNS1_3gpuE3ELNS1_3repE0EEENS1_30default_config_static_selectorELNS0_4arch9wavefront6targetE1EEEvT1_, .Lfunc_end5670-_ZN7rocprim17ROCPRIM_400000_NS6detail17trampoline_kernelINS0_14default_configENS1_20scan_config_selectorIxEEZZNS1_9scan_implILNS1_25lookback_scan_determinismE0ELb1ELb1ES3_N6thrust23THRUST_200600_302600_NS6detail15normal_iteratorINS9_10device_ptrIxEEEENS9_16discard_iteratorINS9_11use_defaultEEExNS9_4plusIvEExEEDaPvRmT3_T4_T5_mT6_P12ihipStream_tbENKUlT_T0_E_clISt17integral_constantIbLb0EESX_EEDaSS_ST_EUlSS_E0_NS1_11comp_targetILNS1_3genE9ELNS1_11target_archE1100ELNS1_3gpuE3ELNS1_3repE0EEENS1_30default_config_static_selectorELNS0_4arch9wavefront6targetE1EEEvT1_
                                        ; -- End function
	.section	.AMDGPU.csdata,"",@progbits
; Kernel info:
; codeLenInByte = 0
; NumSgprs: 4
; NumVgprs: 0
; NumAgprs: 0
; TotalNumVgprs: 0
; ScratchSize: 0
; MemoryBound: 0
; FloatMode: 240
; IeeeMode: 1
; LDSByteSize: 0 bytes/workgroup (compile time only)
; SGPRBlocks: 0
; VGPRBlocks: 0
; NumSGPRsForWavesPerEU: 4
; NumVGPRsForWavesPerEU: 1
; AccumOffset: 4
; Occupancy: 8
; WaveLimiterHint : 0
; COMPUTE_PGM_RSRC2:SCRATCH_EN: 0
; COMPUTE_PGM_RSRC2:USER_SGPR: 6
; COMPUTE_PGM_RSRC2:TRAP_HANDLER: 0
; COMPUTE_PGM_RSRC2:TGID_X_EN: 1
; COMPUTE_PGM_RSRC2:TGID_Y_EN: 0
; COMPUTE_PGM_RSRC2:TGID_Z_EN: 0
; COMPUTE_PGM_RSRC2:TIDIG_COMP_CNT: 0
; COMPUTE_PGM_RSRC3_GFX90A:ACCUM_OFFSET: 0
; COMPUTE_PGM_RSRC3_GFX90A:TG_SPLIT: 0
	.section	.text._ZN7rocprim17ROCPRIM_400000_NS6detail17trampoline_kernelINS0_14default_configENS1_20scan_config_selectorIxEEZZNS1_9scan_implILNS1_25lookback_scan_determinismE0ELb1ELb1ES3_N6thrust23THRUST_200600_302600_NS6detail15normal_iteratorINS9_10device_ptrIxEEEENS9_16discard_iteratorINS9_11use_defaultEEExNS9_4plusIvEExEEDaPvRmT3_T4_T5_mT6_P12ihipStream_tbENKUlT_T0_E_clISt17integral_constantIbLb0EESX_EEDaSS_ST_EUlSS_E0_NS1_11comp_targetILNS1_3genE8ELNS1_11target_archE1030ELNS1_3gpuE2ELNS1_3repE0EEENS1_30default_config_static_selectorELNS0_4arch9wavefront6targetE1EEEvT1_,"axG",@progbits,_ZN7rocprim17ROCPRIM_400000_NS6detail17trampoline_kernelINS0_14default_configENS1_20scan_config_selectorIxEEZZNS1_9scan_implILNS1_25lookback_scan_determinismE0ELb1ELb1ES3_N6thrust23THRUST_200600_302600_NS6detail15normal_iteratorINS9_10device_ptrIxEEEENS9_16discard_iteratorINS9_11use_defaultEEExNS9_4plusIvEExEEDaPvRmT3_T4_T5_mT6_P12ihipStream_tbENKUlT_T0_E_clISt17integral_constantIbLb0EESX_EEDaSS_ST_EUlSS_E0_NS1_11comp_targetILNS1_3genE8ELNS1_11target_archE1030ELNS1_3gpuE2ELNS1_3repE0EEENS1_30default_config_static_selectorELNS0_4arch9wavefront6targetE1EEEvT1_,comdat
	.protected	_ZN7rocprim17ROCPRIM_400000_NS6detail17trampoline_kernelINS0_14default_configENS1_20scan_config_selectorIxEEZZNS1_9scan_implILNS1_25lookback_scan_determinismE0ELb1ELb1ES3_N6thrust23THRUST_200600_302600_NS6detail15normal_iteratorINS9_10device_ptrIxEEEENS9_16discard_iteratorINS9_11use_defaultEEExNS9_4plusIvEExEEDaPvRmT3_T4_T5_mT6_P12ihipStream_tbENKUlT_T0_E_clISt17integral_constantIbLb0EESX_EEDaSS_ST_EUlSS_E0_NS1_11comp_targetILNS1_3genE8ELNS1_11target_archE1030ELNS1_3gpuE2ELNS1_3repE0EEENS1_30default_config_static_selectorELNS0_4arch9wavefront6targetE1EEEvT1_ ; -- Begin function _ZN7rocprim17ROCPRIM_400000_NS6detail17trampoline_kernelINS0_14default_configENS1_20scan_config_selectorIxEEZZNS1_9scan_implILNS1_25lookback_scan_determinismE0ELb1ELb1ES3_N6thrust23THRUST_200600_302600_NS6detail15normal_iteratorINS9_10device_ptrIxEEEENS9_16discard_iteratorINS9_11use_defaultEEExNS9_4plusIvEExEEDaPvRmT3_T4_T5_mT6_P12ihipStream_tbENKUlT_T0_E_clISt17integral_constantIbLb0EESX_EEDaSS_ST_EUlSS_E0_NS1_11comp_targetILNS1_3genE8ELNS1_11target_archE1030ELNS1_3gpuE2ELNS1_3repE0EEENS1_30default_config_static_selectorELNS0_4arch9wavefront6targetE1EEEvT1_
	.globl	_ZN7rocprim17ROCPRIM_400000_NS6detail17trampoline_kernelINS0_14default_configENS1_20scan_config_selectorIxEEZZNS1_9scan_implILNS1_25lookback_scan_determinismE0ELb1ELb1ES3_N6thrust23THRUST_200600_302600_NS6detail15normal_iteratorINS9_10device_ptrIxEEEENS9_16discard_iteratorINS9_11use_defaultEEExNS9_4plusIvEExEEDaPvRmT3_T4_T5_mT6_P12ihipStream_tbENKUlT_T0_E_clISt17integral_constantIbLb0EESX_EEDaSS_ST_EUlSS_E0_NS1_11comp_targetILNS1_3genE8ELNS1_11target_archE1030ELNS1_3gpuE2ELNS1_3repE0EEENS1_30default_config_static_selectorELNS0_4arch9wavefront6targetE1EEEvT1_
	.p2align	8
	.type	_ZN7rocprim17ROCPRIM_400000_NS6detail17trampoline_kernelINS0_14default_configENS1_20scan_config_selectorIxEEZZNS1_9scan_implILNS1_25lookback_scan_determinismE0ELb1ELb1ES3_N6thrust23THRUST_200600_302600_NS6detail15normal_iteratorINS9_10device_ptrIxEEEENS9_16discard_iteratorINS9_11use_defaultEEExNS9_4plusIvEExEEDaPvRmT3_T4_T5_mT6_P12ihipStream_tbENKUlT_T0_E_clISt17integral_constantIbLb0EESX_EEDaSS_ST_EUlSS_E0_NS1_11comp_targetILNS1_3genE8ELNS1_11target_archE1030ELNS1_3gpuE2ELNS1_3repE0EEENS1_30default_config_static_selectorELNS0_4arch9wavefront6targetE1EEEvT1_,@function
_ZN7rocprim17ROCPRIM_400000_NS6detail17trampoline_kernelINS0_14default_configENS1_20scan_config_selectorIxEEZZNS1_9scan_implILNS1_25lookback_scan_determinismE0ELb1ELb1ES3_N6thrust23THRUST_200600_302600_NS6detail15normal_iteratorINS9_10device_ptrIxEEEENS9_16discard_iteratorINS9_11use_defaultEEExNS9_4plusIvEExEEDaPvRmT3_T4_T5_mT6_P12ihipStream_tbENKUlT_T0_E_clISt17integral_constantIbLb0EESX_EEDaSS_ST_EUlSS_E0_NS1_11comp_targetILNS1_3genE8ELNS1_11target_archE1030ELNS1_3gpuE2ELNS1_3repE0EEENS1_30default_config_static_selectorELNS0_4arch9wavefront6targetE1EEEvT1_: ; @_ZN7rocprim17ROCPRIM_400000_NS6detail17trampoline_kernelINS0_14default_configENS1_20scan_config_selectorIxEEZZNS1_9scan_implILNS1_25lookback_scan_determinismE0ELb1ELb1ES3_N6thrust23THRUST_200600_302600_NS6detail15normal_iteratorINS9_10device_ptrIxEEEENS9_16discard_iteratorINS9_11use_defaultEEExNS9_4plusIvEExEEDaPvRmT3_T4_T5_mT6_P12ihipStream_tbENKUlT_T0_E_clISt17integral_constantIbLb0EESX_EEDaSS_ST_EUlSS_E0_NS1_11comp_targetILNS1_3genE8ELNS1_11target_archE1030ELNS1_3gpuE2ELNS1_3repE0EEENS1_30default_config_static_selectorELNS0_4arch9wavefront6targetE1EEEvT1_
; %bb.0:
	.section	.rodata,"a",@progbits
	.p2align	6, 0x0
	.amdhsa_kernel _ZN7rocprim17ROCPRIM_400000_NS6detail17trampoline_kernelINS0_14default_configENS1_20scan_config_selectorIxEEZZNS1_9scan_implILNS1_25lookback_scan_determinismE0ELb1ELb1ES3_N6thrust23THRUST_200600_302600_NS6detail15normal_iteratorINS9_10device_ptrIxEEEENS9_16discard_iteratorINS9_11use_defaultEEExNS9_4plusIvEExEEDaPvRmT3_T4_T5_mT6_P12ihipStream_tbENKUlT_T0_E_clISt17integral_constantIbLb0EESX_EEDaSS_ST_EUlSS_E0_NS1_11comp_targetILNS1_3genE8ELNS1_11target_archE1030ELNS1_3gpuE2ELNS1_3repE0EEENS1_30default_config_static_selectorELNS0_4arch9wavefront6targetE1EEEvT1_
		.amdhsa_group_segment_fixed_size 0
		.amdhsa_private_segment_fixed_size 0
		.amdhsa_kernarg_size 48
		.amdhsa_user_sgpr_count 6
		.amdhsa_user_sgpr_private_segment_buffer 1
		.amdhsa_user_sgpr_dispatch_ptr 0
		.amdhsa_user_sgpr_queue_ptr 0
		.amdhsa_user_sgpr_kernarg_segment_ptr 1
		.amdhsa_user_sgpr_dispatch_id 0
		.amdhsa_user_sgpr_flat_scratch_init 0
		.amdhsa_user_sgpr_kernarg_preload_length 0
		.amdhsa_user_sgpr_kernarg_preload_offset 0
		.amdhsa_user_sgpr_private_segment_size 0
		.amdhsa_uses_dynamic_stack 0
		.amdhsa_system_sgpr_private_segment_wavefront_offset 0
		.amdhsa_system_sgpr_workgroup_id_x 1
		.amdhsa_system_sgpr_workgroup_id_y 0
		.amdhsa_system_sgpr_workgroup_id_z 0
		.amdhsa_system_sgpr_workgroup_info 0
		.amdhsa_system_vgpr_workitem_id 0
		.amdhsa_next_free_vgpr 1
		.amdhsa_next_free_sgpr 0
		.amdhsa_accum_offset 4
		.amdhsa_reserve_vcc 0
		.amdhsa_reserve_flat_scratch 0
		.amdhsa_float_round_mode_32 0
		.amdhsa_float_round_mode_16_64 0
		.amdhsa_float_denorm_mode_32 3
		.amdhsa_float_denorm_mode_16_64 3
		.amdhsa_dx10_clamp 1
		.amdhsa_ieee_mode 1
		.amdhsa_fp16_overflow 0
		.amdhsa_tg_split 0
		.amdhsa_exception_fp_ieee_invalid_op 0
		.amdhsa_exception_fp_denorm_src 0
		.amdhsa_exception_fp_ieee_div_zero 0
		.amdhsa_exception_fp_ieee_overflow 0
		.amdhsa_exception_fp_ieee_underflow 0
		.amdhsa_exception_fp_ieee_inexact 0
		.amdhsa_exception_int_div_zero 0
	.end_amdhsa_kernel
	.section	.text._ZN7rocprim17ROCPRIM_400000_NS6detail17trampoline_kernelINS0_14default_configENS1_20scan_config_selectorIxEEZZNS1_9scan_implILNS1_25lookback_scan_determinismE0ELb1ELb1ES3_N6thrust23THRUST_200600_302600_NS6detail15normal_iteratorINS9_10device_ptrIxEEEENS9_16discard_iteratorINS9_11use_defaultEEExNS9_4plusIvEExEEDaPvRmT3_T4_T5_mT6_P12ihipStream_tbENKUlT_T0_E_clISt17integral_constantIbLb0EESX_EEDaSS_ST_EUlSS_E0_NS1_11comp_targetILNS1_3genE8ELNS1_11target_archE1030ELNS1_3gpuE2ELNS1_3repE0EEENS1_30default_config_static_selectorELNS0_4arch9wavefront6targetE1EEEvT1_,"axG",@progbits,_ZN7rocprim17ROCPRIM_400000_NS6detail17trampoline_kernelINS0_14default_configENS1_20scan_config_selectorIxEEZZNS1_9scan_implILNS1_25lookback_scan_determinismE0ELb1ELb1ES3_N6thrust23THRUST_200600_302600_NS6detail15normal_iteratorINS9_10device_ptrIxEEEENS9_16discard_iteratorINS9_11use_defaultEEExNS9_4plusIvEExEEDaPvRmT3_T4_T5_mT6_P12ihipStream_tbENKUlT_T0_E_clISt17integral_constantIbLb0EESX_EEDaSS_ST_EUlSS_E0_NS1_11comp_targetILNS1_3genE8ELNS1_11target_archE1030ELNS1_3gpuE2ELNS1_3repE0EEENS1_30default_config_static_selectorELNS0_4arch9wavefront6targetE1EEEvT1_,comdat
.Lfunc_end5671:
	.size	_ZN7rocprim17ROCPRIM_400000_NS6detail17trampoline_kernelINS0_14default_configENS1_20scan_config_selectorIxEEZZNS1_9scan_implILNS1_25lookback_scan_determinismE0ELb1ELb1ES3_N6thrust23THRUST_200600_302600_NS6detail15normal_iteratorINS9_10device_ptrIxEEEENS9_16discard_iteratorINS9_11use_defaultEEExNS9_4plusIvEExEEDaPvRmT3_T4_T5_mT6_P12ihipStream_tbENKUlT_T0_E_clISt17integral_constantIbLb0EESX_EEDaSS_ST_EUlSS_E0_NS1_11comp_targetILNS1_3genE8ELNS1_11target_archE1030ELNS1_3gpuE2ELNS1_3repE0EEENS1_30default_config_static_selectorELNS0_4arch9wavefront6targetE1EEEvT1_, .Lfunc_end5671-_ZN7rocprim17ROCPRIM_400000_NS6detail17trampoline_kernelINS0_14default_configENS1_20scan_config_selectorIxEEZZNS1_9scan_implILNS1_25lookback_scan_determinismE0ELb1ELb1ES3_N6thrust23THRUST_200600_302600_NS6detail15normal_iteratorINS9_10device_ptrIxEEEENS9_16discard_iteratorINS9_11use_defaultEEExNS9_4plusIvEExEEDaPvRmT3_T4_T5_mT6_P12ihipStream_tbENKUlT_T0_E_clISt17integral_constantIbLb0EESX_EEDaSS_ST_EUlSS_E0_NS1_11comp_targetILNS1_3genE8ELNS1_11target_archE1030ELNS1_3gpuE2ELNS1_3repE0EEENS1_30default_config_static_selectorELNS0_4arch9wavefront6targetE1EEEvT1_
                                        ; -- End function
	.section	.AMDGPU.csdata,"",@progbits
; Kernel info:
; codeLenInByte = 0
; NumSgprs: 4
; NumVgprs: 0
; NumAgprs: 0
; TotalNumVgprs: 0
; ScratchSize: 0
; MemoryBound: 0
; FloatMode: 240
; IeeeMode: 1
; LDSByteSize: 0 bytes/workgroup (compile time only)
; SGPRBlocks: 0
; VGPRBlocks: 0
; NumSGPRsForWavesPerEU: 4
; NumVGPRsForWavesPerEU: 1
; AccumOffset: 4
; Occupancy: 8
; WaveLimiterHint : 0
; COMPUTE_PGM_RSRC2:SCRATCH_EN: 0
; COMPUTE_PGM_RSRC2:USER_SGPR: 6
; COMPUTE_PGM_RSRC2:TRAP_HANDLER: 0
; COMPUTE_PGM_RSRC2:TGID_X_EN: 1
; COMPUTE_PGM_RSRC2:TGID_Y_EN: 0
; COMPUTE_PGM_RSRC2:TGID_Z_EN: 0
; COMPUTE_PGM_RSRC2:TIDIG_COMP_CNT: 0
; COMPUTE_PGM_RSRC3_GFX90A:ACCUM_OFFSET: 0
; COMPUTE_PGM_RSRC3_GFX90A:TG_SPLIT: 0
	.section	.text._ZN7rocprim17ROCPRIM_400000_NS6detail17trampoline_kernelINS0_14default_configENS1_20scan_config_selectorIxEEZZNS1_9scan_implILNS1_25lookback_scan_determinismE0ELb1ELb1ES3_N6thrust23THRUST_200600_302600_NS6detail15normal_iteratorINS9_10device_ptrIxEEEENS9_16discard_iteratorINS9_11use_defaultEEExNS9_4plusIvEExEEDaPvRmT3_T4_T5_mT6_P12ihipStream_tbENKUlT_T0_E_clISt17integral_constantIbLb1EESX_EEDaSS_ST_EUlSS_E_NS1_11comp_targetILNS1_3genE0ELNS1_11target_archE4294967295ELNS1_3gpuE0ELNS1_3repE0EEENS1_30default_config_static_selectorELNS0_4arch9wavefront6targetE1EEEvT1_,"axG",@progbits,_ZN7rocprim17ROCPRIM_400000_NS6detail17trampoline_kernelINS0_14default_configENS1_20scan_config_selectorIxEEZZNS1_9scan_implILNS1_25lookback_scan_determinismE0ELb1ELb1ES3_N6thrust23THRUST_200600_302600_NS6detail15normal_iteratorINS9_10device_ptrIxEEEENS9_16discard_iteratorINS9_11use_defaultEEExNS9_4plusIvEExEEDaPvRmT3_T4_T5_mT6_P12ihipStream_tbENKUlT_T0_E_clISt17integral_constantIbLb1EESX_EEDaSS_ST_EUlSS_E_NS1_11comp_targetILNS1_3genE0ELNS1_11target_archE4294967295ELNS1_3gpuE0ELNS1_3repE0EEENS1_30default_config_static_selectorELNS0_4arch9wavefront6targetE1EEEvT1_,comdat
	.protected	_ZN7rocprim17ROCPRIM_400000_NS6detail17trampoline_kernelINS0_14default_configENS1_20scan_config_selectorIxEEZZNS1_9scan_implILNS1_25lookback_scan_determinismE0ELb1ELb1ES3_N6thrust23THRUST_200600_302600_NS6detail15normal_iteratorINS9_10device_ptrIxEEEENS9_16discard_iteratorINS9_11use_defaultEEExNS9_4plusIvEExEEDaPvRmT3_T4_T5_mT6_P12ihipStream_tbENKUlT_T0_E_clISt17integral_constantIbLb1EESX_EEDaSS_ST_EUlSS_E_NS1_11comp_targetILNS1_3genE0ELNS1_11target_archE4294967295ELNS1_3gpuE0ELNS1_3repE0EEENS1_30default_config_static_selectorELNS0_4arch9wavefront6targetE1EEEvT1_ ; -- Begin function _ZN7rocprim17ROCPRIM_400000_NS6detail17trampoline_kernelINS0_14default_configENS1_20scan_config_selectorIxEEZZNS1_9scan_implILNS1_25lookback_scan_determinismE0ELb1ELb1ES3_N6thrust23THRUST_200600_302600_NS6detail15normal_iteratorINS9_10device_ptrIxEEEENS9_16discard_iteratorINS9_11use_defaultEEExNS9_4plusIvEExEEDaPvRmT3_T4_T5_mT6_P12ihipStream_tbENKUlT_T0_E_clISt17integral_constantIbLb1EESX_EEDaSS_ST_EUlSS_E_NS1_11comp_targetILNS1_3genE0ELNS1_11target_archE4294967295ELNS1_3gpuE0ELNS1_3repE0EEENS1_30default_config_static_selectorELNS0_4arch9wavefront6targetE1EEEvT1_
	.globl	_ZN7rocprim17ROCPRIM_400000_NS6detail17trampoline_kernelINS0_14default_configENS1_20scan_config_selectorIxEEZZNS1_9scan_implILNS1_25lookback_scan_determinismE0ELb1ELb1ES3_N6thrust23THRUST_200600_302600_NS6detail15normal_iteratorINS9_10device_ptrIxEEEENS9_16discard_iteratorINS9_11use_defaultEEExNS9_4plusIvEExEEDaPvRmT3_T4_T5_mT6_P12ihipStream_tbENKUlT_T0_E_clISt17integral_constantIbLb1EESX_EEDaSS_ST_EUlSS_E_NS1_11comp_targetILNS1_3genE0ELNS1_11target_archE4294967295ELNS1_3gpuE0ELNS1_3repE0EEENS1_30default_config_static_selectorELNS0_4arch9wavefront6targetE1EEEvT1_
	.p2align	8
	.type	_ZN7rocprim17ROCPRIM_400000_NS6detail17trampoline_kernelINS0_14default_configENS1_20scan_config_selectorIxEEZZNS1_9scan_implILNS1_25lookback_scan_determinismE0ELb1ELb1ES3_N6thrust23THRUST_200600_302600_NS6detail15normal_iteratorINS9_10device_ptrIxEEEENS9_16discard_iteratorINS9_11use_defaultEEExNS9_4plusIvEExEEDaPvRmT3_T4_T5_mT6_P12ihipStream_tbENKUlT_T0_E_clISt17integral_constantIbLb1EESX_EEDaSS_ST_EUlSS_E_NS1_11comp_targetILNS1_3genE0ELNS1_11target_archE4294967295ELNS1_3gpuE0ELNS1_3repE0EEENS1_30default_config_static_selectorELNS0_4arch9wavefront6targetE1EEEvT1_,@function
_ZN7rocprim17ROCPRIM_400000_NS6detail17trampoline_kernelINS0_14default_configENS1_20scan_config_selectorIxEEZZNS1_9scan_implILNS1_25lookback_scan_determinismE0ELb1ELb1ES3_N6thrust23THRUST_200600_302600_NS6detail15normal_iteratorINS9_10device_ptrIxEEEENS9_16discard_iteratorINS9_11use_defaultEEExNS9_4plusIvEExEEDaPvRmT3_T4_T5_mT6_P12ihipStream_tbENKUlT_T0_E_clISt17integral_constantIbLb1EESX_EEDaSS_ST_EUlSS_E_NS1_11comp_targetILNS1_3genE0ELNS1_11target_archE4294967295ELNS1_3gpuE0ELNS1_3repE0EEENS1_30default_config_static_selectorELNS0_4arch9wavefront6targetE1EEEvT1_: ; @_ZN7rocprim17ROCPRIM_400000_NS6detail17trampoline_kernelINS0_14default_configENS1_20scan_config_selectorIxEEZZNS1_9scan_implILNS1_25lookback_scan_determinismE0ELb1ELb1ES3_N6thrust23THRUST_200600_302600_NS6detail15normal_iteratorINS9_10device_ptrIxEEEENS9_16discard_iteratorINS9_11use_defaultEEExNS9_4plusIvEExEEDaPvRmT3_T4_T5_mT6_P12ihipStream_tbENKUlT_T0_E_clISt17integral_constantIbLb1EESX_EEDaSS_ST_EUlSS_E_NS1_11comp_targetILNS1_3genE0ELNS1_11target_archE4294967295ELNS1_3gpuE0ELNS1_3repE0EEENS1_30default_config_static_selectorELNS0_4arch9wavefront6targetE1EEEvT1_
; %bb.0:
	.section	.rodata,"a",@progbits
	.p2align	6, 0x0
	.amdhsa_kernel _ZN7rocprim17ROCPRIM_400000_NS6detail17trampoline_kernelINS0_14default_configENS1_20scan_config_selectorIxEEZZNS1_9scan_implILNS1_25lookback_scan_determinismE0ELb1ELb1ES3_N6thrust23THRUST_200600_302600_NS6detail15normal_iteratorINS9_10device_ptrIxEEEENS9_16discard_iteratorINS9_11use_defaultEEExNS9_4plusIvEExEEDaPvRmT3_T4_T5_mT6_P12ihipStream_tbENKUlT_T0_E_clISt17integral_constantIbLb1EESX_EEDaSS_ST_EUlSS_E_NS1_11comp_targetILNS1_3genE0ELNS1_11target_archE4294967295ELNS1_3gpuE0ELNS1_3repE0EEENS1_30default_config_static_selectorELNS0_4arch9wavefront6targetE1EEEvT1_
		.amdhsa_group_segment_fixed_size 0
		.amdhsa_private_segment_fixed_size 0
		.amdhsa_kernarg_size 112
		.amdhsa_user_sgpr_count 6
		.amdhsa_user_sgpr_private_segment_buffer 1
		.amdhsa_user_sgpr_dispatch_ptr 0
		.amdhsa_user_sgpr_queue_ptr 0
		.amdhsa_user_sgpr_kernarg_segment_ptr 1
		.amdhsa_user_sgpr_dispatch_id 0
		.amdhsa_user_sgpr_flat_scratch_init 0
		.amdhsa_user_sgpr_kernarg_preload_length 0
		.amdhsa_user_sgpr_kernarg_preload_offset 0
		.amdhsa_user_sgpr_private_segment_size 0
		.amdhsa_uses_dynamic_stack 0
		.amdhsa_system_sgpr_private_segment_wavefront_offset 0
		.amdhsa_system_sgpr_workgroup_id_x 1
		.amdhsa_system_sgpr_workgroup_id_y 0
		.amdhsa_system_sgpr_workgroup_id_z 0
		.amdhsa_system_sgpr_workgroup_info 0
		.amdhsa_system_vgpr_workitem_id 0
		.amdhsa_next_free_vgpr 1
		.amdhsa_next_free_sgpr 0
		.amdhsa_accum_offset 4
		.amdhsa_reserve_vcc 0
		.amdhsa_reserve_flat_scratch 0
		.amdhsa_float_round_mode_32 0
		.amdhsa_float_round_mode_16_64 0
		.amdhsa_float_denorm_mode_32 3
		.amdhsa_float_denorm_mode_16_64 3
		.amdhsa_dx10_clamp 1
		.amdhsa_ieee_mode 1
		.amdhsa_fp16_overflow 0
		.amdhsa_tg_split 0
		.amdhsa_exception_fp_ieee_invalid_op 0
		.amdhsa_exception_fp_denorm_src 0
		.amdhsa_exception_fp_ieee_div_zero 0
		.amdhsa_exception_fp_ieee_overflow 0
		.amdhsa_exception_fp_ieee_underflow 0
		.amdhsa_exception_fp_ieee_inexact 0
		.amdhsa_exception_int_div_zero 0
	.end_amdhsa_kernel
	.section	.text._ZN7rocprim17ROCPRIM_400000_NS6detail17trampoline_kernelINS0_14default_configENS1_20scan_config_selectorIxEEZZNS1_9scan_implILNS1_25lookback_scan_determinismE0ELb1ELb1ES3_N6thrust23THRUST_200600_302600_NS6detail15normal_iteratorINS9_10device_ptrIxEEEENS9_16discard_iteratorINS9_11use_defaultEEExNS9_4plusIvEExEEDaPvRmT3_T4_T5_mT6_P12ihipStream_tbENKUlT_T0_E_clISt17integral_constantIbLb1EESX_EEDaSS_ST_EUlSS_E_NS1_11comp_targetILNS1_3genE0ELNS1_11target_archE4294967295ELNS1_3gpuE0ELNS1_3repE0EEENS1_30default_config_static_selectorELNS0_4arch9wavefront6targetE1EEEvT1_,"axG",@progbits,_ZN7rocprim17ROCPRIM_400000_NS6detail17trampoline_kernelINS0_14default_configENS1_20scan_config_selectorIxEEZZNS1_9scan_implILNS1_25lookback_scan_determinismE0ELb1ELb1ES3_N6thrust23THRUST_200600_302600_NS6detail15normal_iteratorINS9_10device_ptrIxEEEENS9_16discard_iteratorINS9_11use_defaultEEExNS9_4plusIvEExEEDaPvRmT3_T4_T5_mT6_P12ihipStream_tbENKUlT_T0_E_clISt17integral_constantIbLb1EESX_EEDaSS_ST_EUlSS_E_NS1_11comp_targetILNS1_3genE0ELNS1_11target_archE4294967295ELNS1_3gpuE0ELNS1_3repE0EEENS1_30default_config_static_selectorELNS0_4arch9wavefront6targetE1EEEvT1_,comdat
.Lfunc_end5672:
	.size	_ZN7rocprim17ROCPRIM_400000_NS6detail17trampoline_kernelINS0_14default_configENS1_20scan_config_selectorIxEEZZNS1_9scan_implILNS1_25lookback_scan_determinismE0ELb1ELb1ES3_N6thrust23THRUST_200600_302600_NS6detail15normal_iteratorINS9_10device_ptrIxEEEENS9_16discard_iteratorINS9_11use_defaultEEExNS9_4plusIvEExEEDaPvRmT3_T4_T5_mT6_P12ihipStream_tbENKUlT_T0_E_clISt17integral_constantIbLb1EESX_EEDaSS_ST_EUlSS_E_NS1_11comp_targetILNS1_3genE0ELNS1_11target_archE4294967295ELNS1_3gpuE0ELNS1_3repE0EEENS1_30default_config_static_selectorELNS0_4arch9wavefront6targetE1EEEvT1_, .Lfunc_end5672-_ZN7rocprim17ROCPRIM_400000_NS6detail17trampoline_kernelINS0_14default_configENS1_20scan_config_selectorIxEEZZNS1_9scan_implILNS1_25lookback_scan_determinismE0ELb1ELb1ES3_N6thrust23THRUST_200600_302600_NS6detail15normal_iteratorINS9_10device_ptrIxEEEENS9_16discard_iteratorINS9_11use_defaultEEExNS9_4plusIvEExEEDaPvRmT3_T4_T5_mT6_P12ihipStream_tbENKUlT_T0_E_clISt17integral_constantIbLb1EESX_EEDaSS_ST_EUlSS_E_NS1_11comp_targetILNS1_3genE0ELNS1_11target_archE4294967295ELNS1_3gpuE0ELNS1_3repE0EEENS1_30default_config_static_selectorELNS0_4arch9wavefront6targetE1EEEvT1_
                                        ; -- End function
	.section	.AMDGPU.csdata,"",@progbits
; Kernel info:
; codeLenInByte = 0
; NumSgprs: 4
; NumVgprs: 0
; NumAgprs: 0
; TotalNumVgprs: 0
; ScratchSize: 0
; MemoryBound: 0
; FloatMode: 240
; IeeeMode: 1
; LDSByteSize: 0 bytes/workgroup (compile time only)
; SGPRBlocks: 0
; VGPRBlocks: 0
; NumSGPRsForWavesPerEU: 4
; NumVGPRsForWavesPerEU: 1
; AccumOffset: 4
; Occupancy: 8
; WaveLimiterHint : 0
; COMPUTE_PGM_RSRC2:SCRATCH_EN: 0
; COMPUTE_PGM_RSRC2:USER_SGPR: 6
; COMPUTE_PGM_RSRC2:TRAP_HANDLER: 0
; COMPUTE_PGM_RSRC2:TGID_X_EN: 1
; COMPUTE_PGM_RSRC2:TGID_Y_EN: 0
; COMPUTE_PGM_RSRC2:TGID_Z_EN: 0
; COMPUTE_PGM_RSRC2:TIDIG_COMP_CNT: 0
; COMPUTE_PGM_RSRC3_GFX90A:ACCUM_OFFSET: 0
; COMPUTE_PGM_RSRC3_GFX90A:TG_SPLIT: 0
	.section	.text._ZN7rocprim17ROCPRIM_400000_NS6detail17trampoline_kernelINS0_14default_configENS1_20scan_config_selectorIxEEZZNS1_9scan_implILNS1_25lookback_scan_determinismE0ELb1ELb1ES3_N6thrust23THRUST_200600_302600_NS6detail15normal_iteratorINS9_10device_ptrIxEEEENS9_16discard_iteratorINS9_11use_defaultEEExNS9_4plusIvEExEEDaPvRmT3_T4_T5_mT6_P12ihipStream_tbENKUlT_T0_E_clISt17integral_constantIbLb1EESX_EEDaSS_ST_EUlSS_E_NS1_11comp_targetILNS1_3genE5ELNS1_11target_archE942ELNS1_3gpuE9ELNS1_3repE0EEENS1_30default_config_static_selectorELNS0_4arch9wavefront6targetE1EEEvT1_,"axG",@progbits,_ZN7rocprim17ROCPRIM_400000_NS6detail17trampoline_kernelINS0_14default_configENS1_20scan_config_selectorIxEEZZNS1_9scan_implILNS1_25lookback_scan_determinismE0ELb1ELb1ES3_N6thrust23THRUST_200600_302600_NS6detail15normal_iteratorINS9_10device_ptrIxEEEENS9_16discard_iteratorINS9_11use_defaultEEExNS9_4plusIvEExEEDaPvRmT3_T4_T5_mT6_P12ihipStream_tbENKUlT_T0_E_clISt17integral_constantIbLb1EESX_EEDaSS_ST_EUlSS_E_NS1_11comp_targetILNS1_3genE5ELNS1_11target_archE942ELNS1_3gpuE9ELNS1_3repE0EEENS1_30default_config_static_selectorELNS0_4arch9wavefront6targetE1EEEvT1_,comdat
	.protected	_ZN7rocprim17ROCPRIM_400000_NS6detail17trampoline_kernelINS0_14default_configENS1_20scan_config_selectorIxEEZZNS1_9scan_implILNS1_25lookback_scan_determinismE0ELb1ELb1ES3_N6thrust23THRUST_200600_302600_NS6detail15normal_iteratorINS9_10device_ptrIxEEEENS9_16discard_iteratorINS9_11use_defaultEEExNS9_4plusIvEExEEDaPvRmT3_T4_T5_mT6_P12ihipStream_tbENKUlT_T0_E_clISt17integral_constantIbLb1EESX_EEDaSS_ST_EUlSS_E_NS1_11comp_targetILNS1_3genE5ELNS1_11target_archE942ELNS1_3gpuE9ELNS1_3repE0EEENS1_30default_config_static_selectorELNS0_4arch9wavefront6targetE1EEEvT1_ ; -- Begin function _ZN7rocprim17ROCPRIM_400000_NS6detail17trampoline_kernelINS0_14default_configENS1_20scan_config_selectorIxEEZZNS1_9scan_implILNS1_25lookback_scan_determinismE0ELb1ELb1ES3_N6thrust23THRUST_200600_302600_NS6detail15normal_iteratorINS9_10device_ptrIxEEEENS9_16discard_iteratorINS9_11use_defaultEEExNS9_4plusIvEExEEDaPvRmT3_T4_T5_mT6_P12ihipStream_tbENKUlT_T0_E_clISt17integral_constantIbLb1EESX_EEDaSS_ST_EUlSS_E_NS1_11comp_targetILNS1_3genE5ELNS1_11target_archE942ELNS1_3gpuE9ELNS1_3repE0EEENS1_30default_config_static_selectorELNS0_4arch9wavefront6targetE1EEEvT1_
	.globl	_ZN7rocprim17ROCPRIM_400000_NS6detail17trampoline_kernelINS0_14default_configENS1_20scan_config_selectorIxEEZZNS1_9scan_implILNS1_25lookback_scan_determinismE0ELb1ELb1ES3_N6thrust23THRUST_200600_302600_NS6detail15normal_iteratorINS9_10device_ptrIxEEEENS9_16discard_iteratorINS9_11use_defaultEEExNS9_4plusIvEExEEDaPvRmT3_T4_T5_mT6_P12ihipStream_tbENKUlT_T0_E_clISt17integral_constantIbLb1EESX_EEDaSS_ST_EUlSS_E_NS1_11comp_targetILNS1_3genE5ELNS1_11target_archE942ELNS1_3gpuE9ELNS1_3repE0EEENS1_30default_config_static_selectorELNS0_4arch9wavefront6targetE1EEEvT1_
	.p2align	8
	.type	_ZN7rocprim17ROCPRIM_400000_NS6detail17trampoline_kernelINS0_14default_configENS1_20scan_config_selectorIxEEZZNS1_9scan_implILNS1_25lookback_scan_determinismE0ELb1ELb1ES3_N6thrust23THRUST_200600_302600_NS6detail15normal_iteratorINS9_10device_ptrIxEEEENS9_16discard_iteratorINS9_11use_defaultEEExNS9_4plusIvEExEEDaPvRmT3_T4_T5_mT6_P12ihipStream_tbENKUlT_T0_E_clISt17integral_constantIbLb1EESX_EEDaSS_ST_EUlSS_E_NS1_11comp_targetILNS1_3genE5ELNS1_11target_archE942ELNS1_3gpuE9ELNS1_3repE0EEENS1_30default_config_static_selectorELNS0_4arch9wavefront6targetE1EEEvT1_,@function
_ZN7rocprim17ROCPRIM_400000_NS6detail17trampoline_kernelINS0_14default_configENS1_20scan_config_selectorIxEEZZNS1_9scan_implILNS1_25lookback_scan_determinismE0ELb1ELb1ES3_N6thrust23THRUST_200600_302600_NS6detail15normal_iteratorINS9_10device_ptrIxEEEENS9_16discard_iteratorINS9_11use_defaultEEExNS9_4plusIvEExEEDaPvRmT3_T4_T5_mT6_P12ihipStream_tbENKUlT_T0_E_clISt17integral_constantIbLb1EESX_EEDaSS_ST_EUlSS_E_NS1_11comp_targetILNS1_3genE5ELNS1_11target_archE942ELNS1_3gpuE9ELNS1_3repE0EEENS1_30default_config_static_selectorELNS0_4arch9wavefront6targetE1EEEvT1_: ; @_ZN7rocprim17ROCPRIM_400000_NS6detail17trampoline_kernelINS0_14default_configENS1_20scan_config_selectorIxEEZZNS1_9scan_implILNS1_25lookback_scan_determinismE0ELb1ELb1ES3_N6thrust23THRUST_200600_302600_NS6detail15normal_iteratorINS9_10device_ptrIxEEEENS9_16discard_iteratorINS9_11use_defaultEEExNS9_4plusIvEExEEDaPvRmT3_T4_T5_mT6_P12ihipStream_tbENKUlT_T0_E_clISt17integral_constantIbLb1EESX_EEDaSS_ST_EUlSS_E_NS1_11comp_targetILNS1_3genE5ELNS1_11target_archE942ELNS1_3gpuE9ELNS1_3repE0EEENS1_30default_config_static_selectorELNS0_4arch9wavefront6targetE1EEEvT1_
; %bb.0:
	.section	.rodata,"a",@progbits
	.p2align	6, 0x0
	.amdhsa_kernel _ZN7rocprim17ROCPRIM_400000_NS6detail17trampoline_kernelINS0_14default_configENS1_20scan_config_selectorIxEEZZNS1_9scan_implILNS1_25lookback_scan_determinismE0ELb1ELb1ES3_N6thrust23THRUST_200600_302600_NS6detail15normal_iteratorINS9_10device_ptrIxEEEENS9_16discard_iteratorINS9_11use_defaultEEExNS9_4plusIvEExEEDaPvRmT3_T4_T5_mT6_P12ihipStream_tbENKUlT_T0_E_clISt17integral_constantIbLb1EESX_EEDaSS_ST_EUlSS_E_NS1_11comp_targetILNS1_3genE5ELNS1_11target_archE942ELNS1_3gpuE9ELNS1_3repE0EEENS1_30default_config_static_selectorELNS0_4arch9wavefront6targetE1EEEvT1_
		.amdhsa_group_segment_fixed_size 0
		.amdhsa_private_segment_fixed_size 0
		.amdhsa_kernarg_size 112
		.amdhsa_user_sgpr_count 6
		.amdhsa_user_sgpr_private_segment_buffer 1
		.amdhsa_user_sgpr_dispatch_ptr 0
		.amdhsa_user_sgpr_queue_ptr 0
		.amdhsa_user_sgpr_kernarg_segment_ptr 1
		.amdhsa_user_sgpr_dispatch_id 0
		.amdhsa_user_sgpr_flat_scratch_init 0
		.amdhsa_user_sgpr_kernarg_preload_length 0
		.amdhsa_user_sgpr_kernarg_preload_offset 0
		.amdhsa_user_sgpr_private_segment_size 0
		.amdhsa_uses_dynamic_stack 0
		.amdhsa_system_sgpr_private_segment_wavefront_offset 0
		.amdhsa_system_sgpr_workgroup_id_x 1
		.amdhsa_system_sgpr_workgroup_id_y 0
		.amdhsa_system_sgpr_workgroup_id_z 0
		.amdhsa_system_sgpr_workgroup_info 0
		.amdhsa_system_vgpr_workitem_id 0
		.amdhsa_next_free_vgpr 1
		.amdhsa_next_free_sgpr 0
		.amdhsa_accum_offset 4
		.amdhsa_reserve_vcc 0
		.amdhsa_reserve_flat_scratch 0
		.amdhsa_float_round_mode_32 0
		.amdhsa_float_round_mode_16_64 0
		.amdhsa_float_denorm_mode_32 3
		.amdhsa_float_denorm_mode_16_64 3
		.amdhsa_dx10_clamp 1
		.amdhsa_ieee_mode 1
		.amdhsa_fp16_overflow 0
		.amdhsa_tg_split 0
		.amdhsa_exception_fp_ieee_invalid_op 0
		.amdhsa_exception_fp_denorm_src 0
		.amdhsa_exception_fp_ieee_div_zero 0
		.amdhsa_exception_fp_ieee_overflow 0
		.amdhsa_exception_fp_ieee_underflow 0
		.amdhsa_exception_fp_ieee_inexact 0
		.amdhsa_exception_int_div_zero 0
	.end_amdhsa_kernel
	.section	.text._ZN7rocprim17ROCPRIM_400000_NS6detail17trampoline_kernelINS0_14default_configENS1_20scan_config_selectorIxEEZZNS1_9scan_implILNS1_25lookback_scan_determinismE0ELb1ELb1ES3_N6thrust23THRUST_200600_302600_NS6detail15normal_iteratorINS9_10device_ptrIxEEEENS9_16discard_iteratorINS9_11use_defaultEEExNS9_4plusIvEExEEDaPvRmT3_T4_T5_mT6_P12ihipStream_tbENKUlT_T0_E_clISt17integral_constantIbLb1EESX_EEDaSS_ST_EUlSS_E_NS1_11comp_targetILNS1_3genE5ELNS1_11target_archE942ELNS1_3gpuE9ELNS1_3repE0EEENS1_30default_config_static_selectorELNS0_4arch9wavefront6targetE1EEEvT1_,"axG",@progbits,_ZN7rocprim17ROCPRIM_400000_NS6detail17trampoline_kernelINS0_14default_configENS1_20scan_config_selectorIxEEZZNS1_9scan_implILNS1_25lookback_scan_determinismE0ELb1ELb1ES3_N6thrust23THRUST_200600_302600_NS6detail15normal_iteratorINS9_10device_ptrIxEEEENS9_16discard_iteratorINS9_11use_defaultEEExNS9_4plusIvEExEEDaPvRmT3_T4_T5_mT6_P12ihipStream_tbENKUlT_T0_E_clISt17integral_constantIbLb1EESX_EEDaSS_ST_EUlSS_E_NS1_11comp_targetILNS1_3genE5ELNS1_11target_archE942ELNS1_3gpuE9ELNS1_3repE0EEENS1_30default_config_static_selectorELNS0_4arch9wavefront6targetE1EEEvT1_,comdat
.Lfunc_end5673:
	.size	_ZN7rocprim17ROCPRIM_400000_NS6detail17trampoline_kernelINS0_14default_configENS1_20scan_config_selectorIxEEZZNS1_9scan_implILNS1_25lookback_scan_determinismE0ELb1ELb1ES3_N6thrust23THRUST_200600_302600_NS6detail15normal_iteratorINS9_10device_ptrIxEEEENS9_16discard_iteratorINS9_11use_defaultEEExNS9_4plusIvEExEEDaPvRmT3_T4_T5_mT6_P12ihipStream_tbENKUlT_T0_E_clISt17integral_constantIbLb1EESX_EEDaSS_ST_EUlSS_E_NS1_11comp_targetILNS1_3genE5ELNS1_11target_archE942ELNS1_3gpuE9ELNS1_3repE0EEENS1_30default_config_static_selectorELNS0_4arch9wavefront6targetE1EEEvT1_, .Lfunc_end5673-_ZN7rocprim17ROCPRIM_400000_NS6detail17trampoline_kernelINS0_14default_configENS1_20scan_config_selectorIxEEZZNS1_9scan_implILNS1_25lookback_scan_determinismE0ELb1ELb1ES3_N6thrust23THRUST_200600_302600_NS6detail15normal_iteratorINS9_10device_ptrIxEEEENS9_16discard_iteratorINS9_11use_defaultEEExNS9_4plusIvEExEEDaPvRmT3_T4_T5_mT6_P12ihipStream_tbENKUlT_T0_E_clISt17integral_constantIbLb1EESX_EEDaSS_ST_EUlSS_E_NS1_11comp_targetILNS1_3genE5ELNS1_11target_archE942ELNS1_3gpuE9ELNS1_3repE0EEENS1_30default_config_static_selectorELNS0_4arch9wavefront6targetE1EEEvT1_
                                        ; -- End function
	.section	.AMDGPU.csdata,"",@progbits
; Kernel info:
; codeLenInByte = 0
; NumSgprs: 4
; NumVgprs: 0
; NumAgprs: 0
; TotalNumVgprs: 0
; ScratchSize: 0
; MemoryBound: 0
; FloatMode: 240
; IeeeMode: 1
; LDSByteSize: 0 bytes/workgroup (compile time only)
; SGPRBlocks: 0
; VGPRBlocks: 0
; NumSGPRsForWavesPerEU: 4
; NumVGPRsForWavesPerEU: 1
; AccumOffset: 4
; Occupancy: 8
; WaveLimiterHint : 0
; COMPUTE_PGM_RSRC2:SCRATCH_EN: 0
; COMPUTE_PGM_RSRC2:USER_SGPR: 6
; COMPUTE_PGM_RSRC2:TRAP_HANDLER: 0
; COMPUTE_PGM_RSRC2:TGID_X_EN: 1
; COMPUTE_PGM_RSRC2:TGID_Y_EN: 0
; COMPUTE_PGM_RSRC2:TGID_Z_EN: 0
; COMPUTE_PGM_RSRC2:TIDIG_COMP_CNT: 0
; COMPUTE_PGM_RSRC3_GFX90A:ACCUM_OFFSET: 0
; COMPUTE_PGM_RSRC3_GFX90A:TG_SPLIT: 0
	.section	.text._ZN7rocprim17ROCPRIM_400000_NS6detail17trampoline_kernelINS0_14default_configENS1_20scan_config_selectorIxEEZZNS1_9scan_implILNS1_25lookback_scan_determinismE0ELb1ELb1ES3_N6thrust23THRUST_200600_302600_NS6detail15normal_iteratorINS9_10device_ptrIxEEEENS9_16discard_iteratorINS9_11use_defaultEEExNS9_4plusIvEExEEDaPvRmT3_T4_T5_mT6_P12ihipStream_tbENKUlT_T0_E_clISt17integral_constantIbLb1EESX_EEDaSS_ST_EUlSS_E_NS1_11comp_targetILNS1_3genE4ELNS1_11target_archE910ELNS1_3gpuE8ELNS1_3repE0EEENS1_30default_config_static_selectorELNS0_4arch9wavefront6targetE1EEEvT1_,"axG",@progbits,_ZN7rocprim17ROCPRIM_400000_NS6detail17trampoline_kernelINS0_14default_configENS1_20scan_config_selectorIxEEZZNS1_9scan_implILNS1_25lookback_scan_determinismE0ELb1ELb1ES3_N6thrust23THRUST_200600_302600_NS6detail15normal_iteratorINS9_10device_ptrIxEEEENS9_16discard_iteratorINS9_11use_defaultEEExNS9_4plusIvEExEEDaPvRmT3_T4_T5_mT6_P12ihipStream_tbENKUlT_T0_E_clISt17integral_constantIbLb1EESX_EEDaSS_ST_EUlSS_E_NS1_11comp_targetILNS1_3genE4ELNS1_11target_archE910ELNS1_3gpuE8ELNS1_3repE0EEENS1_30default_config_static_selectorELNS0_4arch9wavefront6targetE1EEEvT1_,comdat
	.protected	_ZN7rocprim17ROCPRIM_400000_NS6detail17trampoline_kernelINS0_14default_configENS1_20scan_config_selectorIxEEZZNS1_9scan_implILNS1_25lookback_scan_determinismE0ELb1ELb1ES3_N6thrust23THRUST_200600_302600_NS6detail15normal_iteratorINS9_10device_ptrIxEEEENS9_16discard_iteratorINS9_11use_defaultEEExNS9_4plusIvEExEEDaPvRmT3_T4_T5_mT6_P12ihipStream_tbENKUlT_T0_E_clISt17integral_constantIbLb1EESX_EEDaSS_ST_EUlSS_E_NS1_11comp_targetILNS1_3genE4ELNS1_11target_archE910ELNS1_3gpuE8ELNS1_3repE0EEENS1_30default_config_static_selectorELNS0_4arch9wavefront6targetE1EEEvT1_ ; -- Begin function _ZN7rocprim17ROCPRIM_400000_NS6detail17trampoline_kernelINS0_14default_configENS1_20scan_config_selectorIxEEZZNS1_9scan_implILNS1_25lookback_scan_determinismE0ELb1ELb1ES3_N6thrust23THRUST_200600_302600_NS6detail15normal_iteratorINS9_10device_ptrIxEEEENS9_16discard_iteratorINS9_11use_defaultEEExNS9_4plusIvEExEEDaPvRmT3_T4_T5_mT6_P12ihipStream_tbENKUlT_T0_E_clISt17integral_constantIbLb1EESX_EEDaSS_ST_EUlSS_E_NS1_11comp_targetILNS1_3genE4ELNS1_11target_archE910ELNS1_3gpuE8ELNS1_3repE0EEENS1_30default_config_static_selectorELNS0_4arch9wavefront6targetE1EEEvT1_
	.globl	_ZN7rocprim17ROCPRIM_400000_NS6detail17trampoline_kernelINS0_14default_configENS1_20scan_config_selectorIxEEZZNS1_9scan_implILNS1_25lookback_scan_determinismE0ELb1ELb1ES3_N6thrust23THRUST_200600_302600_NS6detail15normal_iteratorINS9_10device_ptrIxEEEENS9_16discard_iteratorINS9_11use_defaultEEExNS9_4plusIvEExEEDaPvRmT3_T4_T5_mT6_P12ihipStream_tbENKUlT_T0_E_clISt17integral_constantIbLb1EESX_EEDaSS_ST_EUlSS_E_NS1_11comp_targetILNS1_3genE4ELNS1_11target_archE910ELNS1_3gpuE8ELNS1_3repE0EEENS1_30default_config_static_selectorELNS0_4arch9wavefront6targetE1EEEvT1_
	.p2align	8
	.type	_ZN7rocprim17ROCPRIM_400000_NS6detail17trampoline_kernelINS0_14default_configENS1_20scan_config_selectorIxEEZZNS1_9scan_implILNS1_25lookback_scan_determinismE0ELb1ELb1ES3_N6thrust23THRUST_200600_302600_NS6detail15normal_iteratorINS9_10device_ptrIxEEEENS9_16discard_iteratorINS9_11use_defaultEEExNS9_4plusIvEExEEDaPvRmT3_T4_T5_mT6_P12ihipStream_tbENKUlT_T0_E_clISt17integral_constantIbLb1EESX_EEDaSS_ST_EUlSS_E_NS1_11comp_targetILNS1_3genE4ELNS1_11target_archE910ELNS1_3gpuE8ELNS1_3repE0EEENS1_30default_config_static_selectorELNS0_4arch9wavefront6targetE1EEEvT1_,@function
_ZN7rocprim17ROCPRIM_400000_NS6detail17trampoline_kernelINS0_14default_configENS1_20scan_config_selectorIxEEZZNS1_9scan_implILNS1_25lookback_scan_determinismE0ELb1ELb1ES3_N6thrust23THRUST_200600_302600_NS6detail15normal_iteratorINS9_10device_ptrIxEEEENS9_16discard_iteratorINS9_11use_defaultEEExNS9_4plusIvEExEEDaPvRmT3_T4_T5_mT6_P12ihipStream_tbENKUlT_T0_E_clISt17integral_constantIbLb1EESX_EEDaSS_ST_EUlSS_E_NS1_11comp_targetILNS1_3genE4ELNS1_11target_archE910ELNS1_3gpuE8ELNS1_3repE0EEENS1_30default_config_static_selectorELNS0_4arch9wavefront6targetE1EEEvT1_: ; @_ZN7rocprim17ROCPRIM_400000_NS6detail17trampoline_kernelINS0_14default_configENS1_20scan_config_selectorIxEEZZNS1_9scan_implILNS1_25lookback_scan_determinismE0ELb1ELb1ES3_N6thrust23THRUST_200600_302600_NS6detail15normal_iteratorINS9_10device_ptrIxEEEENS9_16discard_iteratorINS9_11use_defaultEEExNS9_4plusIvEExEEDaPvRmT3_T4_T5_mT6_P12ihipStream_tbENKUlT_T0_E_clISt17integral_constantIbLb1EESX_EEDaSS_ST_EUlSS_E_NS1_11comp_targetILNS1_3genE4ELNS1_11target_archE910ELNS1_3gpuE8ELNS1_3repE0EEENS1_30default_config_static_selectorELNS0_4arch9wavefront6targetE1EEEvT1_
; %bb.0:
	s_load_dwordx2 s[24:25], s[4:5], 0x38
	v_cmp_ne_u32_e64 s[2:3], 0, v0
	v_cmp_eq_u32_e64 s[0:1], 0, v0
	s_and_saveexec_b64 s[6:7], s[0:1]
	s_cbranch_execz .LBB5674_4
; %bb.1:
	s_mov_b64 s[10:11], exec
	v_mbcnt_lo_u32_b32 v1, s10, 0
	v_mbcnt_hi_u32_b32 v1, s11, v1
	v_cmp_eq_u32_e32 vcc, 0, v1
                                        ; implicit-def: $vgpr2
	s_and_saveexec_b64 s[8:9], vcc
	s_cbranch_execz .LBB5674_3
; %bb.2:
	s_load_dwordx2 s[12:13], s[4:5], 0x68
	s_bcnt1_i32_b64 s10, s[10:11]
	v_mov_b32_e32 v2, 0
	v_mov_b32_e32 v3, s10
	s_waitcnt lgkmcnt(0)
	global_atomic_add v2, v2, v3, s[12:13] glc
.LBB5674_3:
	s_or_b64 exec, exec, s[8:9]
	s_waitcnt vmcnt(0)
	v_readfirstlane_b32 s8, v2
	v_add_u32_e32 v1, s8, v1
	v_mov_b32_e32 v2, 0
	ds_write_b32 v2, v1
.LBB5674_4:
	s_or_b64 exec, exec, s[6:7]
	v_mov_b32_e32 v3, 0
	s_load_dwordx4 s[20:23], s[4:5], 0x0
	s_load_dwordx4 s[8:11], s[4:5], 0x20
	s_load_dword s6, s[4:5], 0x40
	s_load_dwordx8 s[12:19], s[4:5], 0x48
	s_waitcnt lgkmcnt(0)
	s_barrier
	ds_read_b32 v1, v3
	s_lshl_b64 s[4:5], s[22:23], 3
	s_add_u32 s28, s20, s4
	s_movk_i32 s4, 0x380
	s_addc_u32 s29, s21, s5
	s_waitcnt lgkmcnt(0)
	v_mul_lo_u32 v2, v1, s4
	s_add_i32 s4, s6, -1
	s_mul_i32 s5, s4, 0x380
	s_sub_u32 s26, s8, s5
	v_readfirstlane_b32 s30, v1
	s_subb_u32 s27, s9, 0
	v_lshlrev_b64 v[2:3], 3, v[2:3]
	s_cmp_lg_u32 s30, s4
	v_mov_b32_e32 v1, s29
	v_add_co_u32_e32 v20, vcc, s28, v2
	s_cselect_b64 s[20:21], -1, 0
	v_addc_co_u32_e32 v21, vcc, v1, v3, vcc
	s_mov_b64 s[4:5], -1
	s_and_b64 vcc, exec, s[20:21]
	v_lshlrev_b32_e32 v1, 3, v0
	s_barrier
	s_cbranch_vccz .LBB5674_6
; %bb.5:
	v_add_co_u32_e32 v2, vcc, v20, v1
	v_addc_co_u32_e32 v3, vcc, 0, v21, vcc
	flat_load_dwordx2 v[4:5], v[2:3]
	flat_load_dwordx2 v[6:7], v[2:3] offset:1024
	flat_load_dwordx2 v[8:9], v[2:3] offset:2048
	;; [unrolled: 1-line block ×3, first 2 shown]
	v_add_co_u32_e32 v2, vcc, 0x1000, v2
	v_addc_co_u32_e32 v3, vcc, 0, v3, vcc
	flat_load_dwordx2 v[12:13], v[2:3]
	flat_load_dwordx2 v[14:15], v[2:3] offset:1024
	flat_load_dwordx2 v[16:17], v[2:3] offset:2048
	s_mov_b64 s[4:5], 0
	s_waitcnt vmcnt(0) lgkmcnt(0)
	ds_write2st64_b64 v1, v[4:5], v[6:7] offset1:2
	ds_write2st64_b64 v1, v[8:9], v[10:11] offset0:4 offset1:6
	ds_write2st64_b64 v1, v[12:13], v[14:15] offset0:8 offset1:10
	ds_write_b64 v1, v[16:17] offset:6144
	s_waitcnt lgkmcnt(0)
	s_barrier
.LBB5674_6:
	s_andn2_b64 vcc, exec, s[4:5]
	s_cbranch_vccnz .LBB5674_22
; %bb.7:
	flat_load_dwordx2 v[2:3], v[20:21]
	v_cmp_gt_u32_e32 vcc, s26, v0
	s_waitcnt vmcnt(0) lgkmcnt(0)
	v_mov_b32_e32 v4, v2
	v_mov_b32_e32 v5, v3
	;; [unrolled: 1-line block ×10, first 2 shown]
	v_pk_mov_b32 v[18:19], v[14:15], v[14:15] op_sel:[0,1]
	v_pk_mov_b32 v[16:17], v[12:13], v[12:13] op_sel:[0,1]
	;; [unrolled: 1-line block ×8, first 2 shown]
	s_and_saveexec_b64 s[4:5], vcc
	s_cbranch_execz .LBB5674_9
; %bb.8:
	v_add_co_u32_e32 v4, vcc, v20, v1
	v_addc_co_u32_e32 v5, vcc, 0, v21, vcc
	flat_load_dwordx2 v[22:23], v[4:5]
	v_mov_b32_e32 v4, v2
	v_mov_b32_e32 v5, v3
	;; [unrolled: 1-line block ×10, first 2 shown]
	v_pk_mov_b32 v[18:19], v[14:15], v[14:15] op_sel:[0,1]
	v_pk_mov_b32 v[16:17], v[12:13], v[12:13] op_sel:[0,1]
	;; [unrolled: 1-line block ×8, first 2 shown]
	s_waitcnt vmcnt(0) lgkmcnt(0)
	v_pk_mov_b32 v[2:3], v[22:23], v[22:23] op_sel:[0,1]
.LBB5674_9:
	s_or_b64 exec, exec, s[4:5]
	v_or_b32_e32 v4, 0x80, v0
	v_cmp_gt_u32_e32 vcc, s26, v4
	s_and_saveexec_b64 s[4:5], vcc
	s_cbranch_execz .LBB5674_11
; %bb.10:
	v_add_co_u32_e32 v4, vcc, v20, v1
	v_addc_co_u32_e32 v5, vcc, 0, v21, vcc
	flat_load_dwordx2 v[6:7], v[4:5] offset:1024
.LBB5674_11:
	s_or_b64 exec, exec, s[4:5]
	v_or_b32_e32 v4, 0x100, v0
	v_cmp_gt_u32_e32 vcc, s26, v4
	s_and_saveexec_b64 s[4:5], vcc
	s_cbranch_execz .LBB5674_13
; %bb.12:
	v_add_co_u32_e32 v4, vcc, v20, v1
	v_addc_co_u32_e32 v5, vcc, 0, v21, vcc
	flat_load_dwordx2 v[8:9], v[4:5] offset:2048
.LBB5674_13:
	;; [unrolled: 10-line block ×3, first 2 shown]
	s_or_b64 exec, exec, s[4:5]
	v_or_b32_e32 v4, 0x200, v0
	v_cmp_gt_u32_e32 vcc, s26, v4
	s_and_saveexec_b64 s[4:5], vcc
	s_cbranch_execz .LBB5674_17
; %bb.16:
	v_lshlrev_b32_e32 v4, 3, v4
	v_add_co_u32_e32 v4, vcc, v20, v4
	v_addc_co_u32_e32 v5, vcc, 0, v21, vcc
	flat_load_dwordx2 v[12:13], v[4:5]
.LBB5674_17:
	s_or_b64 exec, exec, s[4:5]
	v_or_b32_e32 v4, 0x280, v0
	v_cmp_gt_u32_e32 vcc, s26, v4
	s_and_saveexec_b64 s[4:5], vcc
	s_cbranch_execz .LBB5674_19
; %bb.18:
	v_lshlrev_b32_e32 v4, 3, v4
	v_add_co_u32_e32 v4, vcc, v20, v4
	v_addc_co_u32_e32 v5, vcc, 0, v21, vcc
	flat_load_dwordx2 v[14:15], v[4:5]
.LBB5674_19:
	;; [unrolled: 11-line block ×3, first 2 shown]
	s_or_b64 exec, exec, s[4:5]
	s_waitcnt vmcnt(0) lgkmcnt(0)
	ds_write2st64_b64 v1, v[2:3], v[6:7] offset1:2
	ds_write2st64_b64 v1, v[8:9], v[10:11] offset0:4 offset1:6
	ds_write2st64_b64 v1, v[12:13], v[14:15] offset0:8 offset1:10
	ds_write_b64 v1, v[16:17] offset:6144
	s_waitcnt lgkmcnt(0)
	s_barrier
.LBB5674_22:
	v_mul_u32_u24_e32 v36, 7, v0
	v_lshlrev_b32_e32 v1, 3, v36
	ds_read2_b64 v[10:13], v1 offset1:1
	ds_read2_b64 v[6:9], v1 offset0:2 offset1:3
	ds_read2_b64 v[2:5], v1 offset0:4 offset1:5
	ds_read_b64 v[26:27], v1 offset:48
	s_cmp_lg_u32 s30, 0
	v_lshrrev_b32_e32 v37, 5, v0
	v_cmp_gt_u32_e32 vcc, 64, v0
	s_waitcnt lgkmcnt(0)
	s_barrier
	s_cbranch_scc0 .LBB5674_53
; %bb.23:
	v_add_co_u32_e64 v1, s[4:5], v12, v10
	v_addc_co_u32_e64 v14, s[4:5], v13, v11, s[4:5]
	v_add_co_u32_e64 v1, s[4:5], v1, v6
	v_addc_co_u32_e64 v14, s[4:5], v14, v7, s[4:5]
	;; [unrolled: 2-line block ×6, first 2 shown]
	v_add_lshl_u32 v1, v37, v0, 3
	ds_write_b64 v1, v[18:19]
	s_waitcnt lgkmcnt(0)
	s_barrier
	s_and_saveexec_b64 s[8:9], vcc
	s_cbranch_execz .LBB5674_27
; %bb.24:
	v_lshlrev_b32_e32 v1, 1, v0
	v_lshrrev_b32_e32 v14, 4, v0
	v_add_lshl_u32 v20, v14, v1, 3
	ds_read2_b64 v[14:17], v20 offset1:1
	v_mbcnt_lo_u32_b32 v1, -1, 0
	s_waitcnt lgkmcnt(0)
	v_add_co_u32_e64 v21, s[4:5], v16, v14
	v_addc_co_u32_e64 v22, s[4:5], v17, v15, s[4:5]
	s_nop 0
	v_mov_b32_dpp v16, v21 row_shr:1 row_mask:0xf bank_mask:0xf
	v_add_co_u32_e64 v16, s[4:5], v21, v16
	v_addc_co_u32_e64 v24, s[4:5], 0, v22, s[4:5]
	v_mbcnt_hi_u32_b32 v17, -1, v1
	v_mov_b32_dpp v23, v22 row_shr:1 row_mask:0xf bank_mask:0xf
	v_add_co_u32_e64 v25, s[4:5], 0, v16
	v_and_b32_e32 v1, 15, v17
	v_addc_co_u32_e64 v23, s[4:5], v23, v24, s[4:5]
	v_cmp_eq_u32_e64 s[4:5], 0, v1
	v_cndmask_b32_e64 v16, v16, v21, s[4:5]
	v_cndmask_b32_e64 v23, v23, v22, s[4:5]
	v_cndmask_b32_e64 v24, v25, v21, s[4:5]
	v_mov_b32_dpp v25, v16 row_shr:2 row_mask:0xf bank_mask:0xf
	v_mov_b32_dpp v28, v23 row_shr:2 row_mask:0xf bank_mask:0xf
	v_add_co_u32_e64 v25, s[4:5], v25, v24
	v_addc_co_u32_e64 v28, s[4:5], v28, v23, s[4:5]
	v_cmp_lt_u32_e64 s[4:5], 1, v1
	v_cndmask_b32_e64 v16, v16, v25, s[4:5]
	v_cndmask_b32_e64 v23, v23, v28, s[4:5]
	v_cndmask_b32_e64 v24, v24, v25, s[4:5]
	v_mov_b32_dpp v25, v16 row_shr:4 row_mask:0xf bank_mask:0xf
	v_mov_b32_dpp v28, v23 row_shr:4 row_mask:0xf bank_mask:0xf
	v_add_co_u32_e64 v25, s[4:5], v25, v24
	v_addc_co_u32_e64 v28, s[4:5], v28, v23, s[4:5]
	v_cmp_lt_u32_e64 s[4:5], 3, v1
	;; [unrolled: 8-line block ×3, first 2 shown]
	v_cndmask_b32_e64 v29, v16, v25, s[4:5]
	v_cndmask_b32_e64 v1, v23, v28, s[4:5]
	;; [unrolled: 1-line block ×3, first 2 shown]
	v_mov_b32_dpp v23, v29 row_bcast:15 row_mask:0xf bank_mask:0xf
	v_mov_b32_dpp v24, v1 row_bcast:15 row_mask:0xf bank_mask:0xf
	v_add_co_u32_e64 v23, s[4:5], v23, v16
	v_and_b32_e32 v28, 16, v17
	v_addc_co_u32_e64 v25, s[4:5], v24, v1, s[4:5]
	v_cmp_eq_u32_e64 s[4:5], 0, v28
	v_cndmask_b32_e64 v28, v25, v1, s[4:5]
	v_cndmask_b32_e64 v24, v23, v29, s[4:5]
	v_cmp_ne_u32_e64 s[6:7], 0, v17
	v_mov_b32_dpp v28, v28 row_bcast:31 row_mask:0xf bank_mask:0xf
	v_mov_b32_dpp v24, v24 row_bcast:31 row_mask:0xf bank_mask:0xf
	s_and_saveexec_b64 s[22:23], s[6:7]
; %bb.25:
	v_cndmask_b32_e64 v1, v25, v1, s[4:5]
	v_cndmask_b32_e64 v16, v23, v16, s[4:5]
	v_cmp_lt_u32_e64 s[4:5], 31, v17
	v_cndmask_b32_e64 v21, 0, v24, s[4:5]
	v_cndmask_b32_e64 v22, 0, v28, s[4:5]
	v_add_co_u32_e64 v21, s[4:5], v21, v16
	v_addc_co_u32_e64 v22, s[4:5], v22, v1, s[4:5]
; %bb.26:
	s_or_b64 exec, exec, s[22:23]
	v_add_u32_e32 v1, -1, v17
	v_and_b32_e32 v16, 64, v17
	v_cmp_lt_i32_e64 s[4:5], v1, v16
	v_cndmask_b32_e64 v1, v1, v17, s[4:5]
	v_lshlrev_b32_e32 v1, 2, v1
	ds_bpermute_b32 v16, v1, v21
	ds_bpermute_b32 v1, v1, v22
	; wave barrier
	s_waitcnt lgkmcnt(1)
	v_add_co_u32_e64 v14, s[4:5], v14, v16
	v_addc_co_u32_e64 v15, s[4:5], 0, v15, s[4:5]
	v_add_co_u32_e64 v14, s[4:5], 0, v14
	s_waitcnt lgkmcnt(0)
	v_addc_co_u32_e64 v1, s[4:5], v15, v1, s[4:5]
	v_cndmask_b32_e64 v15, v1, v19, s[0:1]
	v_cndmask_b32_e64 v14, v14, v18, s[0:1]
	ds_write_b64 v20, v[14:15]
	; wave barrier
	ds_read_b64 v[16:17], v20 offset:8
	s_waitcnt lgkmcnt(0)
	v_add_co_u32_e64 v14, s[4:5], v16, v14
	v_addc_co_u32_e64 v15, s[4:5], v17, v15, s[4:5]
	ds_write_b64 v20, v[14:15] offset:8
.LBB5674_27:
	s_or_b64 exec, exec, s[8:9]
	v_pk_mov_b32 v[22:23], 0, 0
	s_waitcnt lgkmcnt(0)
	s_barrier
	s_and_saveexec_b64 s[4:5], s[2:3]
	s_cbranch_execz .LBB5674_29
; %bb.28:
	v_add_u32_e32 v1, -1, v0
	v_lshrrev_b32_e32 v14, 5, v1
	v_add_lshl_u32 v1, v14, v1, 3
	ds_read_b64 v[22:23], v1
.LBB5674_29:
	s_or_b64 exec, exec, s[4:5]
	s_and_saveexec_b64 s[22:23], vcc
	s_cbranch_execz .LBB5674_52
; %bb.30:
	v_mov_b32_e32 v17, 0
	ds_read_b64 v[14:15], v17 offset:1040
	v_mbcnt_lo_u32_b32 v1, -1, 0
	v_mbcnt_hi_u32_b32 v30, -1, v1
	s_mov_b32 s9, 0
	v_cmp_eq_u32_e64 s[4:5], 0, v30
	s_and_saveexec_b64 s[6:7], s[4:5]
	s_cbranch_execz .LBB5674_32
; %bb.31:
	s_add_i32 s8, s30, 64
	s_lshl_b64 s[8:9], s[8:9], 4
	s_add_u32 s8, s24, s8
	s_addc_u32 s9, s25, s9
	v_mov_b32_e32 v16, 1
	v_pk_mov_b32 v[18:19], s[8:9], s[8:9] op_sel:[0,1]
	s_waitcnt lgkmcnt(0)
	;;#ASMSTART
	global_store_dwordx4 v[18:19], v[14:17] off	
s_waitcnt vmcnt(0)
	;;#ASMEND
.LBB5674_32:
	s_or_b64 exec, exec, s[6:7]
	v_xad_u32 v24, v30, -1, s30
	v_add_u32_e32 v16, 64, v24
	v_lshlrev_b64 v[18:19], 4, v[16:17]
	v_mov_b32_e32 v1, s25
	v_add_co_u32_e32 v28, vcc, s24, v18
	v_addc_co_u32_e32 v29, vcc, v1, v19, vcc
	;;#ASMSTART
	global_load_dwordx4 v[18:21], v[28:29] off glc	
s_waitcnt vmcnt(0)
	;;#ASMEND
	v_and_b32_e32 v1, 0xff, v19
	v_and_b32_e32 v16, 0xff00, v19
	v_or3_b32 v1, 0, v1, v16
	v_or3_b32 v16, v18, 0, 0
	v_and_b32_e32 v18, 0xff000000, v19
	v_and_b32_e32 v19, 0xff0000, v19
	v_or3_b32 v19, v1, v19, v18
	v_or3_b32 v18, v16, 0, 0
	v_cmp_eq_u16_sdwa s[8:9], v20, v17 src0_sel:BYTE_0 src1_sel:DWORD
	s_and_saveexec_b64 s[6:7], s[8:9]
	s_cbranch_execz .LBB5674_38
; %bb.33:
	s_mov_b32 s31, 1
	s_mov_b64 s[8:9], 0
	v_mov_b32_e32 v1, 0
.LBB5674_34:                            ; =>This Loop Header: Depth=1
                                        ;     Child Loop BB5674_35 Depth 2
	s_max_u32 s33, s31, 1
.LBB5674_35:                            ;   Parent Loop BB5674_34 Depth=1
                                        ; =>  This Inner Loop Header: Depth=2
	s_add_i32 s33, s33, -1
	s_cmp_eq_u32 s33, 0
	s_sleep 1
	s_cbranch_scc0 .LBB5674_35
; %bb.36:                               ;   in Loop: Header=BB5674_34 Depth=1
	s_cmp_lt_u32 s31, 32
	s_cselect_b64 s[34:35], -1, 0
	s_cmp_lg_u64 s[34:35], 0
	s_addc_u32 s31, s31, 0
	;;#ASMSTART
	global_load_dwordx4 v[18:21], v[28:29] off glc	
s_waitcnt vmcnt(0)
	;;#ASMEND
	v_cmp_ne_u16_sdwa s[34:35], v20, v1 src0_sel:BYTE_0 src1_sel:DWORD
	s_or_b64 s[8:9], s[34:35], s[8:9]
	s_andn2_b64 exec, exec, s[8:9]
	s_cbranch_execnz .LBB5674_34
; %bb.37:
	s_or_b64 exec, exec, s[8:9]
.LBB5674_38:
	s_or_b64 exec, exec, s[6:7]
	v_and_b32_e32 v32, 63, v30
	v_cmp_ne_u32_e32 vcc, 63, v32
	v_addc_co_u32_e32 v28, vcc, 0, v30, vcc
	v_lshlrev_b32_e32 v33, 2, v28
	ds_bpermute_b32 v28, v33, v18
	v_mov_b32_e32 v1, 2
	v_cmp_eq_u16_sdwa s[6:7], v20, v1 src0_sel:BYTE_0 src1_sel:DWORD
	v_lshlrev_b64 v[16:17], v30, -1
	ds_bpermute_b32 v29, v33, v19
	v_and_b32_e32 v21, s7, v17
	v_or_b32_e32 v21, 0x80000000, v21
	s_waitcnt lgkmcnt(1)
	v_add_co_u32_e32 v28, vcc, v18, v28
	v_and_b32_e32 v25, s6, v16
	v_ffbl_b32_e32 v21, v21
	v_addc_co_u32_e32 v31, vcc, 0, v19, vcc
	v_add_u32_e32 v21, 32, v21
	v_ffbl_b32_e32 v25, v25
	v_add_co_u32_e32 v35, vcc, 0, v28
	v_cmp_gt_u32_e64 s[6:7], 62, v32
	v_min_u32_e32 v21, v25, v21
	s_waitcnt lgkmcnt(0)
	v_addc_co_u32_e32 v29, vcc, v29, v31, vcc
	v_cndmask_b32_e64 v31, 0, 1, s[6:7]
	v_cmp_lt_u32_e32 vcc, v32, v21
	v_lshlrev_b32_e32 v31, 1, v31
	v_cndmask_b32_e32 v28, v18, v28, vcc
	v_add_lshl_u32 v34, v31, v30, 2
	v_cndmask_b32_e32 v29, v19, v29, vcc
	ds_bpermute_b32 v31, v34, v28
	ds_bpermute_b32 v38, v34, v29
	v_cndmask_b32_e32 v39, v18, v35, vcc
	v_add_u32_e32 v35, 2, v32
	v_cmp_gt_u32_e64 s[8:9], 60, v32
	s_waitcnt lgkmcnt(1)
	v_add_co_u32_e64 v31, s[6:7], v31, v39
	s_waitcnt lgkmcnt(0)
	v_addc_co_u32_e64 v38, s[6:7], v38, v29, s[6:7]
	v_cmp_gt_u32_e64 s[6:7], v35, v21
	v_cndmask_b32_e64 v29, v38, v29, s[6:7]
	v_cndmask_b32_e64 v38, 0, 1, s[8:9]
	v_lshlrev_b32_e32 v38, 2, v38
	v_cndmask_b32_e64 v28, v31, v28, s[6:7]
	v_add_lshl_u32 v38, v38, v30, 2
	ds_bpermute_b32 v40, v38, v28
	ds_bpermute_b32 v41, v38, v29
	v_cndmask_b32_e64 v31, v31, v39, s[6:7]
	v_add_u32_e32 v39, 4, v32
	v_cmp_gt_u32_e64 s[8:9], 56, v32
	s_waitcnt lgkmcnt(1)
	v_add_co_u32_e64 v42, s[6:7], v40, v31
	s_waitcnt lgkmcnt(0)
	v_addc_co_u32_e64 v40, s[6:7], v41, v29, s[6:7]
	v_cmp_gt_u32_e64 s[6:7], v39, v21
	v_cndmask_b32_e64 v29, v40, v29, s[6:7]
	v_cndmask_b32_e64 v40, 0, 1, s[8:9]
	v_lshlrev_b32_e32 v40, 3, v40
	v_cndmask_b32_e64 v28, v42, v28, s[6:7]
	v_add_lshl_u32 v40, v40, v30, 2
	ds_bpermute_b32 v43, v40, v28
	v_cndmask_b32_e64 v31, v42, v31, s[6:7]
	ds_bpermute_b32 v42, v40, v29
	v_add_u32_e32 v41, 8, v32
	v_cmp_gt_u32_e64 s[8:9], 48, v32
	s_waitcnt lgkmcnt(1)
	v_add_co_u32_e64 v43, s[6:7], v43, v31
	s_waitcnt lgkmcnt(0)
	v_addc_co_u32_e64 v42, s[6:7], v42, v29, s[6:7]
	v_cmp_gt_u32_e64 s[6:7], v41, v21
	v_cndmask_b32_e64 v29, v42, v29, s[6:7]
	v_cndmask_b32_e64 v42, 0, 1, s[8:9]
	v_lshlrev_b32_e32 v42, 4, v42
	v_cndmask_b32_e64 v28, v43, v28, s[6:7]
	v_add_lshl_u32 v42, v42, v30, 2
	ds_bpermute_b32 v44, v42, v28
	ds_bpermute_b32 v45, v42, v29
	v_cndmask_b32_e64 v31, v43, v31, s[6:7]
	v_cmp_gt_u32_e64 s[8:9], 32, v32
	v_add_u32_e32 v43, 16, v32
	s_waitcnt lgkmcnt(1)
	v_add_co_u32_e64 v46, s[6:7], v44, v31
	s_waitcnt lgkmcnt(0)
	v_addc_co_u32_e64 v45, s[6:7], v45, v29, s[6:7]
	v_cndmask_b32_e64 v44, 0, 1, s[8:9]
	v_cmp_gt_u32_e64 s[6:7], v43, v21
	v_lshlrev_b32_e32 v44, 5, v44
	v_cndmask_b32_e64 v28, v46, v28, s[6:7]
	v_add_lshl_u32 v44, v44, v30, 2
	v_cndmask_b32_e64 v29, v45, v29, s[6:7]
	ds_bpermute_b32 v28, v44, v28
	ds_bpermute_b32 v30, v44, v29
	v_add_u32_e32 v45, 32, v32
	v_cndmask_b32_e64 v31, v46, v31, s[6:7]
	v_cmp_le_u32_e64 s[6:7], v45, v21
	s_waitcnt lgkmcnt(1)
	v_cndmask_b32_e64 v28, 0, v28, s[6:7]
	s_waitcnt lgkmcnt(0)
	v_cndmask_b32_e64 v21, 0, v30, s[6:7]
	v_add_co_u32_e64 v28, s[6:7], v28, v31
	v_addc_co_u32_e64 v21, s[6:7], v21, v29, s[6:7]
	v_mov_b32_e32 v25, 0
	v_cndmask_b32_e32 v19, v19, v21, vcc
	v_cndmask_b32_e32 v18, v18, v28, vcc
	s_branch .LBB5674_40
.LBB5674_39:                            ;   in Loop: Header=BB5674_40 Depth=1
	s_or_b64 exec, exec, s[6:7]
	v_cmp_eq_u16_sdwa s[6:7], v20, v1 src0_sel:BYTE_0 src1_sel:DWORD
	v_and_b32_e32 v21, s7, v17
	v_or_b32_e32 v21, 0x80000000, v21
	ds_bpermute_b32 v31, v33, v18
	v_and_b32_e32 v30, s6, v16
	v_ffbl_b32_e32 v21, v21
	v_add_u32_e32 v21, 32, v21
	v_ffbl_b32_e32 v30, v30
	v_min_u32_e32 v21, v30, v21
	ds_bpermute_b32 v30, v33, v19
	s_waitcnt lgkmcnt(1)
	v_add_co_u32_e32 v31, vcc, v18, v31
	v_addc_co_u32_e32 v46, vcc, 0, v19, vcc
	v_add_co_u32_e32 v47, vcc, 0, v31
	s_waitcnt lgkmcnt(0)
	v_addc_co_u32_e32 v30, vcc, v30, v46, vcc
	v_cmp_lt_u32_e32 vcc, v32, v21
	v_cndmask_b32_e32 v31, v18, v31, vcc
	ds_bpermute_b32 v46, v34, v31
	v_cndmask_b32_e32 v30, v19, v30, vcc
	ds_bpermute_b32 v48, v34, v30
	v_cndmask_b32_e32 v47, v18, v47, vcc
	v_subrev_u32_e32 v24, 64, v24
	s_waitcnt lgkmcnt(1)
	v_add_co_u32_e64 v46, s[6:7], v46, v47
	s_waitcnt lgkmcnt(0)
	v_addc_co_u32_e64 v48, s[6:7], v48, v30, s[6:7]
	v_cmp_gt_u32_e64 s[6:7], v35, v21
	v_cndmask_b32_e64 v31, v46, v31, s[6:7]
	ds_bpermute_b32 v49, v38, v31
	v_cndmask_b32_e64 v30, v48, v30, s[6:7]
	ds_bpermute_b32 v48, v38, v30
	v_cndmask_b32_e64 v46, v46, v47, s[6:7]
	s_waitcnt lgkmcnt(1)
	v_add_co_u32_e64 v47, s[6:7], v49, v46
	s_waitcnt lgkmcnt(0)
	v_addc_co_u32_e64 v48, s[6:7], v48, v30, s[6:7]
	v_cmp_gt_u32_e64 s[6:7], v39, v21
	v_cndmask_b32_e64 v31, v47, v31, s[6:7]
	ds_bpermute_b32 v49, v40, v31
	v_cndmask_b32_e64 v30, v48, v30, s[6:7]
	ds_bpermute_b32 v48, v40, v30
	v_cndmask_b32_e64 v46, v47, v46, s[6:7]
	;; [unrolled: 10-line block ×3, first 2 shown]
	s_waitcnt lgkmcnt(1)
	v_add_co_u32_e64 v47, s[6:7], v49, v46
	s_waitcnt lgkmcnt(0)
	v_addc_co_u32_e64 v48, s[6:7], v48, v30, s[6:7]
	v_cmp_gt_u32_e64 s[6:7], v43, v21
	v_cndmask_b32_e64 v31, v47, v31, s[6:7]
	v_cndmask_b32_e64 v30, v48, v30, s[6:7]
	ds_bpermute_b32 v31, v44, v31
	ds_bpermute_b32 v48, v44, v30
	v_cndmask_b32_e64 v46, v47, v46, s[6:7]
	v_cmp_le_u32_e64 s[6:7], v45, v21
	s_waitcnt lgkmcnt(1)
	v_cndmask_b32_e64 v31, 0, v31, s[6:7]
	s_waitcnt lgkmcnt(0)
	v_cndmask_b32_e64 v21, 0, v48, s[6:7]
	v_add_co_u32_e64 v31, s[6:7], v31, v46
	v_addc_co_u32_e64 v21, s[6:7], v21, v30, s[6:7]
	v_cndmask_b32_e32 v18, v18, v31, vcc
	v_cndmask_b32_e32 v19, v19, v21, vcc
	v_add_co_u32_e32 v18, vcc, v18, v28
	v_addc_co_u32_e32 v19, vcc, v19, v29, vcc
.LBB5674_40:                            ; =>This Loop Header: Depth=1
                                        ;     Child Loop BB5674_43 Depth 2
                                        ;       Child Loop BB5674_44 Depth 3
	v_cmp_ne_u16_sdwa s[6:7], v20, v1 src0_sel:BYTE_0 src1_sel:DWORD
	v_cndmask_b32_e64 v20, 0, 1, s[6:7]
	;;#ASMSTART
	;;#ASMEND
	v_cmp_ne_u32_e32 vcc, 0, v20
	s_cmp_lg_u64 vcc, exec
	v_pk_mov_b32 v[28:29], v[18:19], v[18:19] op_sel:[0,1]
	s_cbranch_scc1 .LBB5674_47
; %bb.41:                               ;   in Loop: Header=BB5674_40 Depth=1
	v_lshlrev_b64 v[18:19], 4, v[24:25]
	v_mov_b32_e32 v20, s25
	v_add_co_u32_e32 v30, vcc, s24, v18
	v_addc_co_u32_e32 v31, vcc, v20, v19, vcc
	;;#ASMSTART
	global_load_dwordx4 v[18:21], v[30:31] off glc	
s_waitcnt vmcnt(0)
	;;#ASMEND
	v_and_b32_e32 v21, 0xff, v19
	v_and_b32_e32 v46, 0xff00, v19
	v_or3_b32 v21, 0, v21, v46
	v_or3_b32 v18, v18, 0, 0
	v_and_b32_e32 v46, 0xff000000, v19
	v_and_b32_e32 v19, 0xff0000, v19
	v_or3_b32 v19, v21, v19, v46
	v_or3_b32 v18, v18, 0, 0
	v_cmp_eq_u16_sdwa s[8:9], v20, v25 src0_sel:BYTE_0 src1_sel:DWORD
	s_and_saveexec_b64 s[6:7], s[8:9]
	s_cbranch_execz .LBB5674_39
; %bb.42:                               ;   in Loop: Header=BB5674_40 Depth=1
	s_mov_b32 s31, 1
	s_mov_b64 s[8:9], 0
.LBB5674_43:                            ;   Parent Loop BB5674_40 Depth=1
                                        ; =>  This Loop Header: Depth=2
                                        ;       Child Loop BB5674_44 Depth 3
	s_max_u32 s33, s31, 1
.LBB5674_44:                            ;   Parent Loop BB5674_40 Depth=1
                                        ;     Parent Loop BB5674_43 Depth=2
                                        ; =>    This Inner Loop Header: Depth=3
	s_add_i32 s33, s33, -1
	s_cmp_eq_u32 s33, 0
	s_sleep 1
	s_cbranch_scc0 .LBB5674_44
; %bb.45:                               ;   in Loop: Header=BB5674_43 Depth=2
	s_cmp_lt_u32 s31, 32
	s_cselect_b64 s[34:35], -1, 0
	s_cmp_lg_u64 s[34:35], 0
	s_addc_u32 s31, s31, 0
	;;#ASMSTART
	global_load_dwordx4 v[18:21], v[30:31] off glc	
s_waitcnt vmcnt(0)
	;;#ASMEND
	v_cmp_ne_u16_sdwa s[34:35], v20, v25 src0_sel:BYTE_0 src1_sel:DWORD
	s_or_b64 s[8:9], s[34:35], s[8:9]
	s_andn2_b64 exec, exec, s[8:9]
	s_cbranch_execnz .LBB5674_43
; %bb.46:                               ;   in Loop: Header=BB5674_40 Depth=1
	s_or_b64 exec, exec, s[8:9]
	s_branch .LBB5674_39
.LBB5674_47:                            ;   in Loop: Header=BB5674_40 Depth=1
                                        ; implicit-def: $vgpr18_vgpr19
                                        ; implicit-def: $vgpr20
	s_cbranch_execz .LBB5674_40
; %bb.48:
	s_and_saveexec_b64 s[6:7], s[4:5]
	s_cbranch_execz .LBB5674_50
; %bb.49:
	s_add_i32 s4, s30, 64
	s_mov_b32 s5, 0
	s_lshl_b64 s[4:5], s[4:5], 4
	s_add_u32 s4, s24, s4
	v_add_co_u32_e32 v14, vcc, v28, v14
	s_addc_u32 s5, s25, s5
	v_addc_co_u32_e32 v15, vcc, v29, v15, vcc
	v_mov_b32_e32 v16, 2
	v_mov_b32_e32 v17, 0
	v_pk_mov_b32 v[18:19], s[4:5], s[4:5] op_sel:[0,1]
	;;#ASMSTART
	global_store_dwordx4 v[18:19], v[14:17] off	
s_waitcnt vmcnt(0)
	;;#ASMEND
.LBB5674_50:
	s_or_b64 exec, exec, s[6:7]
	s_and_b64 exec, exec, s[0:1]
	s_cbranch_execz .LBB5674_52
; %bb.51:
	v_mov_b32_e32 v1, 0
	ds_write_b64 v1, v[28:29]
.LBB5674_52:
	s_or_b64 exec, exec, s[22:23]
	v_mov_b32_e32 v1, 0
	s_waitcnt lgkmcnt(0)
	s_barrier
	ds_read_b64 v[14:15], v1
	s_waitcnt lgkmcnt(0)
	v_add_co_u32_e32 v14, vcc, v14, v22
	v_addc_co_u32_e32 v15, vcc, v15, v23, vcc
	v_add_co_u32_e32 v28, vcc, v14, v10
	v_addc_co_u32_e32 v29, vcc, v15, v11, vcc
	;; [unrolled: 2-line block ×7, first 2 shown]
	s_branch .LBB5674_65
.LBB5674_53:
                                        ; implicit-def: $vgpr34_vgpr35
                                        ; implicit-def: $vgpr32_vgpr33
                                        ; implicit-def: $vgpr30_vgpr31
                                        ; implicit-def: $vgpr28_vgpr29
                                        ; implicit-def: $vgpr22_vgpr23_vgpr24_vgpr25
                                        ; implicit-def: $vgpr18_vgpr19_vgpr20_vgpr21
                                        ; implicit-def: $vgpr14_vgpr15_vgpr16_vgpr17
	s_cbranch_execz .LBB5674_65
; %bb.54:
	s_cmp_eq_u64 s[16:17], 0
	v_pk_mov_b32 v[20:21], s[10:11], s[10:11] op_sel:[0,1]
	s_cbranch_scc1 .LBB5674_56
; %bb.55:
	v_mov_b32_e32 v1, 0
	v_mov_b32_e32 v15, s29
	v_add_co_u32_e64 v14, vcc, -8, s28
	v_addc_co_u32_e32 v15, vcc, -1, v15, vcc
	global_load_dwordx2 v[16:17], v1, s[12:13]
	flat_load_dwordx2 v[18:19], v[14:15]
	s_waitcnt vmcnt(0) lgkmcnt(0)
	v_add_co_u32_e32 v20, vcc, v16, v18
	v_addc_co_u32_e32 v21, vcc, v17, v19, vcc
.LBB5674_56:
	v_add_co_u32_e32 v1, vcc, v12, v10
	v_addc_co_u32_e32 v14, vcc, v13, v11, vcc
	v_add_co_u32_e32 v1, vcc, v1, v6
	v_addc_co_u32_e32 v14, vcc, v14, v7, vcc
	;; [unrolled: 2-line block ×6, first 2 shown]
	v_add_lshl_u32 v1, v37, v0, 3
	v_cmp_gt_u32_e32 vcc, 64, v0
	ds_write_b64 v1, v[18:19]
	s_waitcnt lgkmcnt(0)
	s_barrier
	s_and_saveexec_b64 s[6:7], vcc
	s_cbranch_execz .LBB5674_60
; %bb.57:
	v_lshlrev_b32_e32 v1, 1, v0
	v_lshrrev_b32_e32 v14, 4, v0
	v_add_lshl_u32 v22, v14, v1, 3
	ds_read2_b64 v[14:17], v22 offset1:1
	v_mbcnt_lo_u32_b32 v1, -1, 0
	s_waitcnt lgkmcnt(0)
	v_add_co_u32_e32 v23, vcc, v16, v14
	v_addc_co_u32_e32 v24, vcc, v17, v15, vcc
	s_nop 0
	v_mov_b32_dpp v16, v23 row_shr:1 row_mask:0xf bank_mask:0xf
	v_add_co_u32_e32 v16, vcc, v23, v16
	v_addc_co_u32_e32 v26, vcc, 0, v24, vcc
	v_mbcnt_hi_u32_b32 v17, -1, v1
	v_mov_b32_dpp v25, v24 row_shr:1 row_mask:0xf bank_mask:0xf
	v_add_co_u32_e32 v27, vcc, 0, v16
	v_and_b32_e32 v1, 15, v17
	v_addc_co_u32_e32 v25, vcc, v25, v26, vcc
	v_cmp_eq_u32_e32 vcc, 0, v1
	v_cndmask_b32_e32 v16, v16, v23, vcc
	v_cndmask_b32_e32 v25, v25, v24, vcc
	v_cndmask_b32_e32 v26, v27, v23, vcc
	v_mov_b32_dpp v27, v16 row_shr:2 row_mask:0xf bank_mask:0xf
	v_mov_b32_dpp v28, v25 row_shr:2 row_mask:0xf bank_mask:0xf
	v_add_co_u32_e32 v27, vcc, v27, v26
	v_addc_co_u32_e32 v28, vcc, v28, v25, vcc
	v_cmp_lt_u32_e32 vcc, 1, v1
	v_cndmask_b32_e32 v16, v16, v27, vcc
	v_cndmask_b32_e32 v25, v25, v28, vcc
	v_cndmask_b32_e32 v26, v26, v27, vcc
	v_mov_b32_dpp v27, v16 row_shr:4 row_mask:0xf bank_mask:0xf
	v_mov_b32_dpp v28, v25 row_shr:4 row_mask:0xf bank_mask:0xf
	v_add_co_u32_e32 v27, vcc, v27, v26
	v_addc_co_u32_e32 v28, vcc, v28, v25, vcc
	v_cmp_lt_u32_e32 vcc, 3, v1
	;; [unrolled: 8-line block ×3, first 2 shown]
	v_cndmask_b32_e32 v29, v16, v27, vcc
	v_cndmask_b32_e32 v1, v25, v28, vcc
	;; [unrolled: 1-line block ×3, first 2 shown]
	v_mov_b32_dpp v25, v29 row_bcast:15 row_mask:0xf bank_mask:0xf
	v_mov_b32_dpp v26, v1 row_bcast:15 row_mask:0xf bank_mask:0xf
	v_add_co_u32_e32 v25, vcc, v25, v16
	v_and_b32_e32 v28, 16, v17
	v_addc_co_u32_e32 v27, vcc, v26, v1, vcc
	v_cmp_eq_u32_e32 vcc, 0, v28
	v_cndmask_b32_e32 v28, v27, v1, vcc
	v_cndmask_b32_e32 v26, v25, v29, vcc
	v_cmp_ne_u32_e64 s[4:5], 0, v17
	v_mov_b32_dpp v28, v28 row_bcast:31 row_mask:0xf bank_mask:0xf
	v_mov_b32_dpp v26, v26 row_bcast:31 row_mask:0xf bank_mask:0xf
	s_and_saveexec_b64 s[8:9], s[4:5]
; %bb.58:
	v_cndmask_b32_e32 v1, v27, v1, vcc
	v_cndmask_b32_e32 v16, v25, v16, vcc
	v_cmp_lt_u32_e32 vcc, 31, v17
	v_cndmask_b32_e32 v23, 0, v26, vcc
	v_cndmask_b32_e32 v24, 0, v28, vcc
	v_add_co_u32_e32 v23, vcc, v23, v16
	v_addc_co_u32_e32 v24, vcc, v24, v1, vcc
; %bb.59:
	s_or_b64 exec, exec, s[8:9]
	v_add_u32_e32 v1, -1, v17
	v_and_b32_e32 v16, 64, v17
	v_cmp_lt_i32_e32 vcc, v1, v16
	v_cndmask_b32_e32 v1, v1, v17, vcc
	v_lshlrev_b32_e32 v1, 2, v1
	ds_bpermute_b32 v16, v1, v23
	ds_bpermute_b32 v1, v1, v24
	; wave barrier
	s_waitcnt lgkmcnt(1)
	v_add_co_u32_e32 v14, vcc, v14, v16
	v_addc_co_u32_e32 v15, vcc, 0, v15, vcc
	v_add_co_u32_e32 v14, vcc, 0, v14
	s_waitcnt lgkmcnt(0)
	v_addc_co_u32_e32 v1, vcc, v15, v1, vcc
	v_cndmask_b32_e64 v15, v1, v19, s[0:1]
	v_cndmask_b32_e64 v14, v14, v18, s[0:1]
	ds_write_b64 v22, v[14:15]
	; wave barrier
	ds_read_b64 v[16:17], v22 offset:8
	s_waitcnt lgkmcnt(0)
	v_add_co_u32_e32 v14, vcc, v16, v14
	v_addc_co_u32_e32 v15, vcc, v17, v15, vcc
	ds_write_b64 v22, v[14:15] offset:8
.LBB5674_60:
	s_or_b64 exec, exec, s[6:7]
	v_pk_mov_b32 v[14:15], v[20:21], v[20:21] op_sel:[0,1]
	s_waitcnt lgkmcnt(0)
	s_barrier
	s_and_saveexec_b64 s[4:5], s[2:3]
	s_cbranch_execz .LBB5674_62
; %bb.61:
	v_add_u32_e32 v1, -1, v0
	v_lshrrev_b32_e32 v14, 5, v1
	v_add_lshl_u32 v1, v14, v1, 3
	ds_read_b64 v[14:15], v1
	s_waitcnt lgkmcnt(0)
	v_add_co_u32_e32 v14, vcc, v14, v20
	v_addc_co_u32_e32 v15, vcc, v15, v21, vcc
.LBB5674_62:
	s_or_b64 exec, exec, s[4:5]
	v_add_co_u32_e32 v28, vcc, v14, v10
	v_addc_co_u32_e32 v29, vcc, v15, v11, vcc
	v_add_co_u32_e32 v18, vcc, v28, v12
	v_addc_co_u32_e32 v19, vcc, v29, v13, vcc
	;; [unrolled: 2-line block ×6, first 2 shown]
	s_and_saveexec_b64 s[2:3], s[0:1]
	s_cbranch_execz .LBB5674_64
; %bb.63:
	v_mov_b32_e32 v5, 0
	ds_read_b64 v[2:3], v5 offset:1040
	s_add_u32 s0, s24, 0x400
	s_addc_u32 s1, s25, 0
	v_mov_b32_e32 v4, 2
	v_pk_mov_b32 v[6:7], s[0:1], s[0:1] op_sel:[0,1]
	s_waitcnt lgkmcnt(0)
	v_add_co_u32_e32 v2, vcc, v2, v20
	v_addc_co_u32_e32 v3, vcc, v3, v21, vcc
	;;#ASMSTART
	global_store_dwordx4 v[6:7], v[2:5] off	
s_waitcnt vmcnt(0)
	;;#ASMEND
.LBB5674_64:
	s_or_b64 exec, exec, s[2:3]
.LBB5674_65:
	v_mul_u32_u24_e32 v2, 56, v0
	s_mov_b64 s[0:1], -1
	s_and_b64 vcc, exec, s[20:21]
	s_barrier
	ds_write2_b64 v2, v[14:15], v[28:29] offset1:1
	ds_write2_b64 v2, v[18:19], v[30:31] offset0:2 offset1:3
	ds_write2_b64 v2, v[22:23], v[32:33] offset0:4 offset1:5
	ds_write_b64 v2, v[34:35] offset:48
	s_waitcnt lgkmcnt(0)
	s_cbranch_vccz .LBB5674_67
; %bb.66:
	s_barrier
	s_mov_b64 s[0:1], 0
.LBB5674_67:
	s_andn2_b64 vcc, exec, s[0:1]
	s_cbranch_vccnz .LBB5674_92
; %bb.68:
	v_cmp_lt_u64_e64 s[0:1], s[18:19], 2
	s_and_b64 vcc, exec, s[0:1]
	s_barrier
	s_cbranch_vccnz .LBB5674_92
; %bb.69:
	s_add_u32 s0, s26, -1
	s_addc_u32 s1, s27, -1
	s_add_u32 s2, 0, 0x92481000
	s_addc_u32 s3, 0, 0x64
	s_add_i32 s3, s3, 0x249248c0
	s_mul_hi_u32 s7, s2, -7
	s_sub_i32 s7, s7, s2
	s_mul_i32 s8, s3, -7
	s_mul_i32 s4, s2, -7
	s_add_i32 s7, s7, s8
	s_mul_hi_u32 s5, s3, s4
	s_mul_i32 s6, s3, s4
	s_mul_i32 s9, s2, s7
	s_mul_hi_u32 s4, s2, s4
	s_mul_hi_u32 s8, s2, s7
	s_add_u32 s4, s4, s9
	s_addc_u32 s8, 0, s8
	s_add_u32 s4, s4, s6
	s_mul_hi_u32 s9, s3, s7
	s_addc_u32 s4, s8, s5
	s_addc_u32 s5, s9, 0
	s_mul_i32 s6, s3, s7
	s_add_u32 s4, s4, s6
	v_mov_b32_e32 v3, s4
	s_addc_u32 s5, 0, s5
	v_add_co_u32_e32 v3, vcc, s2, v3
	s_cmp_lg_u64 vcc, 0
	s_addc_u32 s2, s3, s5
	v_readfirstlane_b32 s5, v3
	s_mul_i32 s4, s0, s2
	s_mul_hi_u32 s6, s0, s5
	s_mul_hi_u32 s3, s0, s2
	s_add_u32 s4, s6, s4
	s_addc_u32 s3, 0, s3
	s_mul_hi_u32 s7, s1, s5
	s_mul_i32 s5, s1, s5
	s_add_u32 s4, s4, s5
	s_mul_hi_u32 s6, s1, s2
	s_addc_u32 s3, s3, s7
	s_addc_u32 s4, s6, 0
	s_mul_i32 s2, s1, s2
	s_add_u32 s2, s3, s2
	s_addc_u32 s3, 0, s4
	s_add_u32 s4, s2, 1
	s_addc_u32 s5, s3, 0
	s_add_u32 s6, s2, 2
	s_mul_i32 s8, s3, 7
	s_mul_hi_u32 s9, s2, 7
	s_addc_u32 s7, s3, 0
	s_add_i32 s9, s9, s8
	s_mul_i32 s8, s2, 7
	v_mov_b32_e32 v3, s8
	v_sub_co_u32_e32 v3, vcc, s0, v3
	s_cmp_lg_u64 vcc, 0
	s_subb_u32 s8, s1, s9
	v_subrev_co_u32_e32 v4, vcc, 7, v3
	s_cmp_lg_u64 vcc, 0
	s_subb_u32 s9, s8, 0
	v_readfirstlane_b32 s10, v4
	s_cmp_gt_u32 s10, 6
	s_cselect_b32 s10, -1, 0
	s_cmp_eq_u32 s9, 0
	s_cselect_b32 s9, s10, -1
	s_cmp_lg_u32 s9, 0
	s_cselect_b32 s4, s6, s4
	v_readfirstlane_b32 s6, v3
	s_cselect_b32 s5, s7, s5
	s_cmp_gt_u32 s6, 6
	s_cselect_b32 s6, -1, 0
	s_cmp_eq_u32 s8, 0
	s_cselect_b32 s6, s6, -1
	s_cmp_lg_u32 s6, 0
	v_mov_b32_e32 v1, 0
	s_cselect_b32 s3, s5, s3
	s_cselect_b32 s2, s4, s2
	v_cmp_eq_u64_e32 vcc, s[2:3], v[0:1]
	s_and_saveexec_b64 s[2:3], vcc
	s_cbranch_execz .LBB5674_92
; %bb.70:
	s_movk_i32 s2, 0xffd0
	v_mad_i32_i24 v2, v0, s2, v2
	v_mul_hi_u32_u24_e32 v1, 7, v0
	v_mov_b32_e32 v3, s1
	v_sub_co_u32_e32 v0, vcc, s0, v36
	v_subb_co_u32_e32 v1, vcc, v3, v1, vcc
	v_cmp_lt_i64_e32 vcc, 3, v[0:1]
	s_and_saveexec_b64 s[0:1], vcc
	s_xor_b64 s[0:1], exec, s[0:1]
	s_cbranch_execz .LBB5674_80
; %bb.71:
	v_cmp_lt_i64_e32 vcc, 4, v[0:1]
	s_and_saveexec_b64 s[2:3], vcc
	s_xor_b64 s[2:3], exec, s[2:3]
	s_cbranch_execz .LBB5674_77
; %bb.72:
	;; [unrolled: 5-line block ×3, first 2 shown]
	ds_read_b64 v[0:1], v2 offset:6144
	v_mov_b32_e32 v2, 0
	s_waitcnt lgkmcnt(0)
	global_store_dwordx2 v2, v[0:1], s[14:15]
                                        ; implicit-def: $vgpr2
.LBB5674_74:
	s_andn2_saveexec_b64 s[4:5], s[4:5]
	s_cbranch_execz .LBB5674_76
; %bb.75:
	ds_read_b64 v[0:1], v2 offset:5120
	v_mov_b32_e32 v2, 0
	s_waitcnt lgkmcnt(0)
	global_store_dwordx2 v2, v[0:1], s[14:15]
.LBB5674_76:
	s_or_b64 exec, exec, s[4:5]
                                        ; implicit-def: $vgpr2
.LBB5674_77:
	s_andn2_saveexec_b64 s[2:3], s[2:3]
	s_cbranch_execz .LBB5674_79
; %bb.78:
	ds_read_b64 v[0:1], v2 offset:4096
	v_mov_b32_e32 v2, 0
	s_waitcnt lgkmcnt(0)
	global_store_dwordx2 v2, v[0:1], s[14:15]
.LBB5674_79:
	s_or_b64 exec, exec, s[2:3]
                                        ; implicit-def: $vgpr0_vgpr1
                                        ; implicit-def: $vgpr2
.LBB5674_80:
	s_andn2_saveexec_b64 s[0:1], s[0:1]
	s_cbranch_execz .LBB5674_92
; %bb.81:
	v_cmp_lt_i64_e32 vcc, 1, v[0:1]
	s_and_saveexec_b64 s[0:1], vcc
	s_xor_b64 s[0:1], exec, s[0:1]
	s_cbranch_execz .LBB5674_87
; %bb.82:
	v_cmp_lt_i64_e32 vcc, 2, v[0:1]
	s_and_saveexec_b64 s[2:3], vcc
	s_xor_b64 s[2:3], exec, s[2:3]
	s_cbranch_execz .LBB5674_84
; %bb.83:
	ds_read_b64 v[0:1], v2 offset:3072
	v_mov_b32_e32 v2, 0
	s_waitcnt lgkmcnt(0)
	global_store_dwordx2 v2, v[0:1], s[14:15]
                                        ; implicit-def: $vgpr2
.LBB5674_84:
	s_andn2_saveexec_b64 s[2:3], s[2:3]
	s_cbranch_execz .LBB5674_86
; %bb.85:
	ds_read_b64 v[0:1], v2 offset:2048
	v_mov_b32_e32 v2, 0
	s_waitcnt lgkmcnt(0)
	global_store_dwordx2 v2, v[0:1], s[14:15]
.LBB5674_86:
	s_or_b64 exec, exec, s[2:3]
                                        ; implicit-def: $vgpr2
                                        ; implicit-def: $vgpr0_vgpr1
.LBB5674_87:
	s_andn2_saveexec_b64 s[0:1], s[0:1]
	s_cbranch_execz .LBB5674_92
; %bb.88:
	v_cmp_ne_u64_e32 vcc, 1, v[0:1]
	s_and_saveexec_b64 s[0:1], vcc
	s_xor_b64 s[0:1], exec, s[0:1]
	s_cbranch_execz .LBB5674_90
; %bb.89:
	ds_read_b64 v[0:1], v2
	v_mov_b32_e32 v2, 0
	s_waitcnt lgkmcnt(0)
	global_store_dwordx2 v2, v[0:1], s[14:15]
                                        ; implicit-def: $vgpr2
.LBB5674_90:
	s_andn2_saveexec_b64 s[0:1], s[0:1]
	s_cbranch_execz .LBB5674_92
; %bb.91:
	ds_read_b64 v[0:1], v2 offset:1024
	v_mov_b32_e32 v2, 0
	s_waitcnt lgkmcnt(0)
	global_store_dwordx2 v2, v[0:1], s[14:15]
.LBB5674_92:
	s_endpgm
	.section	.rodata,"a",@progbits
	.p2align	6, 0x0
	.amdhsa_kernel _ZN7rocprim17ROCPRIM_400000_NS6detail17trampoline_kernelINS0_14default_configENS1_20scan_config_selectorIxEEZZNS1_9scan_implILNS1_25lookback_scan_determinismE0ELb1ELb1ES3_N6thrust23THRUST_200600_302600_NS6detail15normal_iteratorINS9_10device_ptrIxEEEENS9_16discard_iteratorINS9_11use_defaultEEExNS9_4plusIvEExEEDaPvRmT3_T4_T5_mT6_P12ihipStream_tbENKUlT_T0_E_clISt17integral_constantIbLb1EESX_EEDaSS_ST_EUlSS_E_NS1_11comp_targetILNS1_3genE4ELNS1_11target_archE910ELNS1_3gpuE8ELNS1_3repE0EEENS1_30default_config_static_selectorELNS0_4arch9wavefront6targetE1EEEvT1_
		.amdhsa_group_segment_fixed_size 7168
		.amdhsa_private_segment_fixed_size 0
		.amdhsa_kernarg_size 112
		.amdhsa_user_sgpr_count 6
		.amdhsa_user_sgpr_private_segment_buffer 1
		.amdhsa_user_sgpr_dispatch_ptr 0
		.amdhsa_user_sgpr_queue_ptr 0
		.amdhsa_user_sgpr_kernarg_segment_ptr 1
		.amdhsa_user_sgpr_dispatch_id 0
		.amdhsa_user_sgpr_flat_scratch_init 0
		.amdhsa_user_sgpr_kernarg_preload_length 0
		.amdhsa_user_sgpr_kernarg_preload_offset 0
		.amdhsa_user_sgpr_private_segment_size 0
		.amdhsa_uses_dynamic_stack 0
		.amdhsa_system_sgpr_private_segment_wavefront_offset 0
		.amdhsa_system_sgpr_workgroup_id_x 1
		.amdhsa_system_sgpr_workgroup_id_y 0
		.amdhsa_system_sgpr_workgroup_id_z 0
		.amdhsa_system_sgpr_workgroup_info 0
		.amdhsa_system_vgpr_workitem_id 0
		.amdhsa_next_free_vgpr 50
		.amdhsa_next_free_sgpr 36
		.amdhsa_accum_offset 52
		.amdhsa_reserve_vcc 1
		.amdhsa_reserve_flat_scratch 0
		.amdhsa_float_round_mode_32 0
		.amdhsa_float_round_mode_16_64 0
		.amdhsa_float_denorm_mode_32 3
		.amdhsa_float_denorm_mode_16_64 3
		.amdhsa_dx10_clamp 1
		.amdhsa_ieee_mode 1
		.amdhsa_fp16_overflow 0
		.amdhsa_tg_split 0
		.amdhsa_exception_fp_ieee_invalid_op 0
		.amdhsa_exception_fp_denorm_src 0
		.amdhsa_exception_fp_ieee_div_zero 0
		.amdhsa_exception_fp_ieee_overflow 0
		.amdhsa_exception_fp_ieee_underflow 0
		.amdhsa_exception_fp_ieee_inexact 0
		.amdhsa_exception_int_div_zero 0
	.end_amdhsa_kernel
	.section	.text._ZN7rocprim17ROCPRIM_400000_NS6detail17trampoline_kernelINS0_14default_configENS1_20scan_config_selectorIxEEZZNS1_9scan_implILNS1_25lookback_scan_determinismE0ELb1ELb1ES3_N6thrust23THRUST_200600_302600_NS6detail15normal_iteratorINS9_10device_ptrIxEEEENS9_16discard_iteratorINS9_11use_defaultEEExNS9_4plusIvEExEEDaPvRmT3_T4_T5_mT6_P12ihipStream_tbENKUlT_T0_E_clISt17integral_constantIbLb1EESX_EEDaSS_ST_EUlSS_E_NS1_11comp_targetILNS1_3genE4ELNS1_11target_archE910ELNS1_3gpuE8ELNS1_3repE0EEENS1_30default_config_static_selectorELNS0_4arch9wavefront6targetE1EEEvT1_,"axG",@progbits,_ZN7rocprim17ROCPRIM_400000_NS6detail17trampoline_kernelINS0_14default_configENS1_20scan_config_selectorIxEEZZNS1_9scan_implILNS1_25lookback_scan_determinismE0ELb1ELb1ES3_N6thrust23THRUST_200600_302600_NS6detail15normal_iteratorINS9_10device_ptrIxEEEENS9_16discard_iteratorINS9_11use_defaultEEExNS9_4plusIvEExEEDaPvRmT3_T4_T5_mT6_P12ihipStream_tbENKUlT_T0_E_clISt17integral_constantIbLb1EESX_EEDaSS_ST_EUlSS_E_NS1_11comp_targetILNS1_3genE4ELNS1_11target_archE910ELNS1_3gpuE8ELNS1_3repE0EEENS1_30default_config_static_selectorELNS0_4arch9wavefront6targetE1EEEvT1_,comdat
.Lfunc_end5674:
	.size	_ZN7rocprim17ROCPRIM_400000_NS6detail17trampoline_kernelINS0_14default_configENS1_20scan_config_selectorIxEEZZNS1_9scan_implILNS1_25lookback_scan_determinismE0ELb1ELb1ES3_N6thrust23THRUST_200600_302600_NS6detail15normal_iteratorINS9_10device_ptrIxEEEENS9_16discard_iteratorINS9_11use_defaultEEExNS9_4plusIvEExEEDaPvRmT3_T4_T5_mT6_P12ihipStream_tbENKUlT_T0_E_clISt17integral_constantIbLb1EESX_EEDaSS_ST_EUlSS_E_NS1_11comp_targetILNS1_3genE4ELNS1_11target_archE910ELNS1_3gpuE8ELNS1_3repE0EEENS1_30default_config_static_selectorELNS0_4arch9wavefront6targetE1EEEvT1_, .Lfunc_end5674-_ZN7rocprim17ROCPRIM_400000_NS6detail17trampoline_kernelINS0_14default_configENS1_20scan_config_selectorIxEEZZNS1_9scan_implILNS1_25lookback_scan_determinismE0ELb1ELb1ES3_N6thrust23THRUST_200600_302600_NS6detail15normal_iteratorINS9_10device_ptrIxEEEENS9_16discard_iteratorINS9_11use_defaultEEExNS9_4plusIvEExEEDaPvRmT3_T4_T5_mT6_P12ihipStream_tbENKUlT_T0_E_clISt17integral_constantIbLb1EESX_EEDaSS_ST_EUlSS_E_NS1_11comp_targetILNS1_3genE4ELNS1_11target_archE910ELNS1_3gpuE8ELNS1_3repE0EEENS1_30default_config_static_selectorELNS0_4arch9wavefront6targetE1EEEvT1_
                                        ; -- End function
	.section	.AMDGPU.csdata,"",@progbits
; Kernel info:
; codeLenInByte = 5284
; NumSgprs: 40
; NumVgprs: 50
; NumAgprs: 0
; TotalNumVgprs: 50
; ScratchSize: 0
; MemoryBound: 0
; FloatMode: 240
; IeeeMode: 1
; LDSByteSize: 7168 bytes/workgroup (compile time only)
; SGPRBlocks: 4
; VGPRBlocks: 6
; NumSGPRsForWavesPerEU: 40
; NumVGPRsForWavesPerEU: 50
; AccumOffset: 52
; Occupancy: 5
; WaveLimiterHint : 1
; COMPUTE_PGM_RSRC2:SCRATCH_EN: 0
; COMPUTE_PGM_RSRC2:USER_SGPR: 6
; COMPUTE_PGM_RSRC2:TRAP_HANDLER: 0
; COMPUTE_PGM_RSRC2:TGID_X_EN: 1
; COMPUTE_PGM_RSRC2:TGID_Y_EN: 0
; COMPUTE_PGM_RSRC2:TGID_Z_EN: 0
; COMPUTE_PGM_RSRC2:TIDIG_COMP_CNT: 0
; COMPUTE_PGM_RSRC3_GFX90A:ACCUM_OFFSET: 12
; COMPUTE_PGM_RSRC3_GFX90A:TG_SPLIT: 0
	.section	.text._ZN7rocprim17ROCPRIM_400000_NS6detail17trampoline_kernelINS0_14default_configENS1_20scan_config_selectorIxEEZZNS1_9scan_implILNS1_25lookback_scan_determinismE0ELb1ELb1ES3_N6thrust23THRUST_200600_302600_NS6detail15normal_iteratorINS9_10device_ptrIxEEEENS9_16discard_iteratorINS9_11use_defaultEEExNS9_4plusIvEExEEDaPvRmT3_T4_T5_mT6_P12ihipStream_tbENKUlT_T0_E_clISt17integral_constantIbLb1EESX_EEDaSS_ST_EUlSS_E_NS1_11comp_targetILNS1_3genE3ELNS1_11target_archE908ELNS1_3gpuE7ELNS1_3repE0EEENS1_30default_config_static_selectorELNS0_4arch9wavefront6targetE1EEEvT1_,"axG",@progbits,_ZN7rocprim17ROCPRIM_400000_NS6detail17trampoline_kernelINS0_14default_configENS1_20scan_config_selectorIxEEZZNS1_9scan_implILNS1_25lookback_scan_determinismE0ELb1ELb1ES3_N6thrust23THRUST_200600_302600_NS6detail15normal_iteratorINS9_10device_ptrIxEEEENS9_16discard_iteratorINS9_11use_defaultEEExNS9_4plusIvEExEEDaPvRmT3_T4_T5_mT6_P12ihipStream_tbENKUlT_T0_E_clISt17integral_constantIbLb1EESX_EEDaSS_ST_EUlSS_E_NS1_11comp_targetILNS1_3genE3ELNS1_11target_archE908ELNS1_3gpuE7ELNS1_3repE0EEENS1_30default_config_static_selectorELNS0_4arch9wavefront6targetE1EEEvT1_,comdat
	.protected	_ZN7rocprim17ROCPRIM_400000_NS6detail17trampoline_kernelINS0_14default_configENS1_20scan_config_selectorIxEEZZNS1_9scan_implILNS1_25lookback_scan_determinismE0ELb1ELb1ES3_N6thrust23THRUST_200600_302600_NS6detail15normal_iteratorINS9_10device_ptrIxEEEENS9_16discard_iteratorINS9_11use_defaultEEExNS9_4plusIvEExEEDaPvRmT3_T4_T5_mT6_P12ihipStream_tbENKUlT_T0_E_clISt17integral_constantIbLb1EESX_EEDaSS_ST_EUlSS_E_NS1_11comp_targetILNS1_3genE3ELNS1_11target_archE908ELNS1_3gpuE7ELNS1_3repE0EEENS1_30default_config_static_selectorELNS0_4arch9wavefront6targetE1EEEvT1_ ; -- Begin function _ZN7rocprim17ROCPRIM_400000_NS6detail17trampoline_kernelINS0_14default_configENS1_20scan_config_selectorIxEEZZNS1_9scan_implILNS1_25lookback_scan_determinismE0ELb1ELb1ES3_N6thrust23THRUST_200600_302600_NS6detail15normal_iteratorINS9_10device_ptrIxEEEENS9_16discard_iteratorINS9_11use_defaultEEExNS9_4plusIvEExEEDaPvRmT3_T4_T5_mT6_P12ihipStream_tbENKUlT_T0_E_clISt17integral_constantIbLb1EESX_EEDaSS_ST_EUlSS_E_NS1_11comp_targetILNS1_3genE3ELNS1_11target_archE908ELNS1_3gpuE7ELNS1_3repE0EEENS1_30default_config_static_selectorELNS0_4arch9wavefront6targetE1EEEvT1_
	.globl	_ZN7rocprim17ROCPRIM_400000_NS6detail17trampoline_kernelINS0_14default_configENS1_20scan_config_selectorIxEEZZNS1_9scan_implILNS1_25lookback_scan_determinismE0ELb1ELb1ES3_N6thrust23THRUST_200600_302600_NS6detail15normal_iteratorINS9_10device_ptrIxEEEENS9_16discard_iteratorINS9_11use_defaultEEExNS9_4plusIvEExEEDaPvRmT3_T4_T5_mT6_P12ihipStream_tbENKUlT_T0_E_clISt17integral_constantIbLb1EESX_EEDaSS_ST_EUlSS_E_NS1_11comp_targetILNS1_3genE3ELNS1_11target_archE908ELNS1_3gpuE7ELNS1_3repE0EEENS1_30default_config_static_selectorELNS0_4arch9wavefront6targetE1EEEvT1_
	.p2align	8
	.type	_ZN7rocprim17ROCPRIM_400000_NS6detail17trampoline_kernelINS0_14default_configENS1_20scan_config_selectorIxEEZZNS1_9scan_implILNS1_25lookback_scan_determinismE0ELb1ELb1ES3_N6thrust23THRUST_200600_302600_NS6detail15normal_iteratorINS9_10device_ptrIxEEEENS9_16discard_iteratorINS9_11use_defaultEEExNS9_4plusIvEExEEDaPvRmT3_T4_T5_mT6_P12ihipStream_tbENKUlT_T0_E_clISt17integral_constantIbLb1EESX_EEDaSS_ST_EUlSS_E_NS1_11comp_targetILNS1_3genE3ELNS1_11target_archE908ELNS1_3gpuE7ELNS1_3repE0EEENS1_30default_config_static_selectorELNS0_4arch9wavefront6targetE1EEEvT1_,@function
_ZN7rocprim17ROCPRIM_400000_NS6detail17trampoline_kernelINS0_14default_configENS1_20scan_config_selectorIxEEZZNS1_9scan_implILNS1_25lookback_scan_determinismE0ELb1ELb1ES3_N6thrust23THRUST_200600_302600_NS6detail15normal_iteratorINS9_10device_ptrIxEEEENS9_16discard_iteratorINS9_11use_defaultEEExNS9_4plusIvEExEEDaPvRmT3_T4_T5_mT6_P12ihipStream_tbENKUlT_T0_E_clISt17integral_constantIbLb1EESX_EEDaSS_ST_EUlSS_E_NS1_11comp_targetILNS1_3genE3ELNS1_11target_archE908ELNS1_3gpuE7ELNS1_3repE0EEENS1_30default_config_static_selectorELNS0_4arch9wavefront6targetE1EEEvT1_: ; @_ZN7rocprim17ROCPRIM_400000_NS6detail17trampoline_kernelINS0_14default_configENS1_20scan_config_selectorIxEEZZNS1_9scan_implILNS1_25lookback_scan_determinismE0ELb1ELb1ES3_N6thrust23THRUST_200600_302600_NS6detail15normal_iteratorINS9_10device_ptrIxEEEENS9_16discard_iteratorINS9_11use_defaultEEExNS9_4plusIvEExEEDaPvRmT3_T4_T5_mT6_P12ihipStream_tbENKUlT_T0_E_clISt17integral_constantIbLb1EESX_EEDaSS_ST_EUlSS_E_NS1_11comp_targetILNS1_3genE3ELNS1_11target_archE908ELNS1_3gpuE7ELNS1_3repE0EEENS1_30default_config_static_selectorELNS0_4arch9wavefront6targetE1EEEvT1_
; %bb.0:
	.section	.rodata,"a",@progbits
	.p2align	6, 0x0
	.amdhsa_kernel _ZN7rocprim17ROCPRIM_400000_NS6detail17trampoline_kernelINS0_14default_configENS1_20scan_config_selectorIxEEZZNS1_9scan_implILNS1_25lookback_scan_determinismE0ELb1ELb1ES3_N6thrust23THRUST_200600_302600_NS6detail15normal_iteratorINS9_10device_ptrIxEEEENS9_16discard_iteratorINS9_11use_defaultEEExNS9_4plusIvEExEEDaPvRmT3_T4_T5_mT6_P12ihipStream_tbENKUlT_T0_E_clISt17integral_constantIbLb1EESX_EEDaSS_ST_EUlSS_E_NS1_11comp_targetILNS1_3genE3ELNS1_11target_archE908ELNS1_3gpuE7ELNS1_3repE0EEENS1_30default_config_static_selectorELNS0_4arch9wavefront6targetE1EEEvT1_
		.amdhsa_group_segment_fixed_size 0
		.amdhsa_private_segment_fixed_size 0
		.amdhsa_kernarg_size 112
		.amdhsa_user_sgpr_count 6
		.amdhsa_user_sgpr_private_segment_buffer 1
		.amdhsa_user_sgpr_dispatch_ptr 0
		.amdhsa_user_sgpr_queue_ptr 0
		.amdhsa_user_sgpr_kernarg_segment_ptr 1
		.amdhsa_user_sgpr_dispatch_id 0
		.amdhsa_user_sgpr_flat_scratch_init 0
		.amdhsa_user_sgpr_kernarg_preload_length 0
		.amdhsa_user_sgpr_kernarg_preload_offset 0
		.amdhsa_user_sgpr_private_segment_size 0
		.amdhsa_uses_dynamic_stack 0
		.amdhsa_system_sgpr_private_segment_wavefront_offset 0
		.amdhsa_system_sgpr_workgroup_id_x 1
		.amdhsa_system_sgpr_workgroup_id_y 0
		.amdhsa_system_sgpr_workgroup_id_z 0
		.amdhsa_system_sgpr_workgroup_info 0
		.amdhsa_system_vgpr_workitem_id 0
		.amdhsa_next_free_vgpr 1
		.amdhsa_next_free_sgpr 0
		.amdhsa_accum_offset 4
		.amdhsa_reserve_vcc 0
		.amdhsa_reserve_flat_scratch 0
		.amdhsa_float_round_mode_32 0
		.amdhsa_float_round_mode_16_64 0
		.amdhsa_float_denorm_mode_32 3
		.amdhsa_float_denorm_mode_16_64 3
		.amdhsa_dx10_clamp 1
		.amdhsa_ieee_mode 1
		.amdhsa_fp16_overflow 0
		.amdhsa_tg_split 0
		.amdhsa_exception_fp_ieee_invalid_op 0
		.amdhsa_exception_fp_denorm_src 0
		.amdhsa_exception_fp_ieee_div_zero 0
		.amdhsa_exception_fp_ieee_overflow 0
		.amdhsa_exception_fp_ieee_underflow 0
		.amdhsa_exception_fp_ieee_inexact 0
		.amdhsa_exception_int_div_zero 0
	.end_amdhsa_kernel
	.section	.text._ZN7rocprim17ROCPRIM_400000_NS6detail17trampoline_kernelINS0_14default_configENS1_20scan_config_selectorIxEEZZNS1_9scan_implILNS1_25lookback_scan_determinismE0ELb1ELb1ES3_N6thrust23THRUST_200600_302600_NS6detail15normal_iteratorINS9_10device_ptrIxEEEENS9_16discard_iteratorINS9_11use_defaultEEExNS9_4plusIvEExEEDaPvRmT3_T4_T5_mT6_P12ihipStream_tbENKUlT_T0_E_clISt17integral_constantIbLb1EESX_EEDaSS_ST_EUlSS_E_NS1_11comp_targetILNS1_3genE3ELNS1_11target_archE908ELNS1_3gpuE7ELNS1_3repE0EEENS1_30default_config_static_selectorELNS0_4arch9wavefront6targetE1EEEvT1_,"axG",@progbits,_ZN7rocprim17ROCPRIM_400000_NS6detail17trampoline_kernelINS0_14default_configENS1_20scan_config_selectorIxEEZZNS1_9scan_implILNS1_25lookback_scan_determinismE0ELb1ELb1ES3_N6thrust23THRUST_200600_302600_NS6detail15normal_iteratorINS9_10device_ptrIxEEEENS9_16discard_iteratorINS9_11use_defaultEEExNS9_4plusIvEExEEDaPvRmT3_T4_T5_mT6_P12ihipStream_tbENKUlT_T0_E_clISt17integral_constantIbLb1EESX_EEDaSS_ST_EUlSS_E_NS1_11comp_targetILNS1_3genE3ELNS1_11target_archE908ELNS1_3gpuE7ELNS1_3repE0EEENS1_30default_config_static_selectorELNS0_4arch9wavefront6targetE1EEEvT1_,comdat
.Lfunc_end5675:
	.size	_ZN7rocprim17ROCPRIM_400000_NS6detail17trampoline_kernelINS0_14default_configENS1_20scan_config_selectorIxEEZZNS1_9scan_implILNS1_25lookback_scan_determinismE0ELb1ELb1ES3_N6thrust23THRUST_200600_302600_NS6detail15normal_iteratorINS9_10device_ptrIxEEEENS9_16discard_iteratorINS9_11use_defaultEEExNS9_4plusIvEExEEDaPvRmT3_T4_T5_mT6_P12ihipStream_tbENKUlT_T0_E_clISt17integral_constantIbLb1EESX_EEDaSS_ST_EUlSS_E_NS1_11comp_targetILNS1_3genE3ELNS1_11target_archE908ELNS1_3gpuE7ELNS1_3repE0EEENS1_30default_config_static_selectorELNS0_4arch9wavefront6targetE1EEEvT1_, .Lfunc_end5675-_ZN7rocprim17ROCPRIM_400000_NS6detail17trampoline_kernelINS0_14default_configENS1_20scan_config_selectorIxEEZZNS1_9scan_implILNS1_25lookback_scan_determinismE0ELb1ELb1ES3_N6thrust23THRUST_200600_302600_NS6detail15normal_iteratorINS9_10device_ptrIxEEEENS9_16discard_iteratorINS9_11use_defaultEEExNS9_4plusIvEExEEDaPvRmT3_T4_T5_mT6_P12ihipStream_tbENKUlT_T0_E_clISt17integral_constantIbLb1EESX_EEDaSS_ST_EUlSS_E_NS1_11comp_targetILNS1_3genE3ELNS1_11target_archE908ELNS1_3gpuE7ELNS1_3repE0EEENS1_30default_config_static_selectorELNS0_4arch9wavefront6targetE1EEEvT1_
                                        ; -- End function
	.section	.AMDGPU.csdata,"",@progbits
; Kernel info:
; codeLenInByte = 0
; NumSgprs: 4
; NumVgprs: 0
; NumAgprs: 0
; TotalNumVgprs: 0
; ScratchSize: 0
; MemoryBound: 0
; FloatMode: 240
; IeeeMode: 1
; LDSByteSize: 0 bytes/workgroup (compile time only)
; SGPRBlocks: 0
; VGPRBlocks: 0
; NumSGPRsForWavesPerEU: 4
; NumVGPRsForWavesPerEU: 1
; AccumOffset: 4
; Occupancy: 8
; WaveLimiterHint : 0
; COMPUTE_PGM_RSRC2:SCRATCH_EN: 0
; COMPUTE_PGM_RSRC2:USER_SGPR: 6
; COMPUTE_PGM_RSRC2:TRAP_HANDLER: 0
; COMPUTE_PGM_RSRC2:TGID_X_EN: 1
; COMPUTE_PGM_RSRC2:TGID_Y_EN: 0
; COMPUTE_PGM_RSRC2:TGID_Z_EN: 0
; COMPUTE_PGM_RSRC2:TIDIG_COMP_CNT: 0
; COMPUTE_PGM_RSRC3_GFX90A:ACCUM_OFFSET: 0
; COMPUTE_PGM_RSRC3_GFX90A:TG_SPLIT: 0
	.section	.text._ZN7rocprim17ROCPRIM_400000_NS6detail17trampoline_kernelINS0_14default_configENS1_20scan_config_selectorIxEEZZNS1_9scan_implILNS1_25lookback_scan_determinismE0ELb1ELb1ES3_N6thrust23THRUST_200600_302600_NS6detail15normal_iteratorINS9_10device_ptrIxEEEENS9_16discard_iteratorINS9_11use_defaultEEExNS9_4plusIvEExEEDaPvRmT3_T4_T5_mT6_P12ihipStream_tbENKUlT_T0_E_clISt17integral_constantIbLb1EESX_EEDaSS_ST_EUlSS_E_NS1_11comp_targetILNS1_3genE2ELNS1_11target_archE906ELNS1_3gpuE6ELNS1_3repE0EEENS1_30default_config_static_selectorELNS0_4arch9wavefront6targetE1EEEvT1_,"axG",@progbits,_ZN7rocprim17ROCPRIM_400000_NS6detail17trampoline_kernelINS0_14default_configENS1_20scan_config_selectorIxEEZZNS1_9scan_implILNS1_25lookback_scan_determinismE0ELb1ELb1ES3_N6thrust23THRUST_200600_302600_NS6detail15normal_iteratorINS9_10device_ptrIxEEEENS9_16discard_iteratorINS9_11use_defaultEEExNS9_4plusIvEExEEDaPvRmT3_T4_T5_mT6_P12ihipStream_tbENKUlT_T0_E_clISt17integral_constantIbLb1EESX_EEDaSS_ST_EUlSS_E_NS1_11comp_targetILNS1_3genE2ELNS1_11target_archE906ELNS1_3gpuE6ELNS1_3repE0EEENS1_30default_config_static_selectorELNS0_4arch9wavefront6targetE1EEEvT1_,comdat
	.protected	_ZN7rocprim17ROCPRIM_400000_NS6detail17trampoline_kernelINS0_14default_configENS1_20scan_config_selectorIxEEZZNS1_9scan_implILNS1_25lookback_scan_determinismE0ELb1ELb1ES3_N6thrust23THRUST_200600_302600_NS6detail15normal_iteratorINS9_10device_ptrIxEEEENS9_16discard_iteratorINS9_11use_defaultEEExNS9_4plusIvEExEEDaPvRmT3_T4_T5_mT6_P12ihipStream_tbENKUlT_T0_E_clISt17integral_constantIbLb1EESX_EEDaSS_ST_EUlSS_E_NS1_11comp_targetILNS1_3genE2ELNS1_11target_archE906ELNS1_3gpuE6ELNS1_3repE0EEENS1_30default_config_static_selectorELNS0_4arch9wavefront6targetE1EEEvT1_ ; -- Begin function _ZN7rocprim17ROCPRIM_400000_NS6detail17trampoline_kernelINS0_14default_configENS1_20scan_config_selectorIxEEZZNS1_9scan_implILNS1_25lookback_scan_determinismE0ELb1ELb1ES3_N6thrust23THRUST_200600_302600_NS6detail15normal_iteratorINS9_10device_ptrIxEEEENS9_16discard_iteratorINS9_11use_defaultEEExNS9_4plusIvEExEEDaPvRmT3_T4_T5_mT6_P12ihipStream_tbENKUlT_T0_E_clISt17integral_constantIbLb1EESX_EEDaSS_ST_EUlSS_E_NS1_11comp_targetILNS1_3genE2ELNS1_11target_archE906ELNS1_3gpuE6ELNS1_3repE0EEENS1_30default_config_static_selectorELNS0_4arch9wavefront6targetE1EEEvT1_
	.globl	_ZN7rocprim17ROCPRIM_400000_NS6detail17trampoline_kernelINS0_14default_configENS1_20scan_config_selectorIxEEZZNS1_9scan_implILNS1_25lookback_scan_determinismE0ELb1ELb1ES3_N6thrust23THRUST_200600_302600_NS6detail15normal_iteratorINS9_10device_ptrIxEEEENS9_16discard_iteratorINS9_11use_defaultEEExNS9_4plusIvEExEEDaPvRmT3_T4_T5_mT6_P12ihipStream_tbENKUlT_T0_E_clISt17integral_constantIbLb1EESX_EEDaSS_ST_EUlSS_E_NS1_11comp_targetILNS1_3genE2ELNS1_11target_archE906ELNS1_3gpuE6ELNS1_3repE0EEENS1_30default_config_static_selectorELNS0_4arch9wavefront6targetE1EEEvT1_
	.p2align	8
	.type	_ZN7rocprim17ROCPRIM_400000_NS6detail17trampoline_kernelINS0_14default_configENS1_20scan_config_selectorIxEEZZNS1_9scan_implILNS1_25lookback_scan_determinismE0ELb1ELb1ES3_N6thrust23THRUST_200600_302600_NS6detail15normal_iteratorINS9_10device_ptrIxEEEENS9_16discard_iteratorINS9_11use_defaultEEExNS9_4plusIvEExEEDaPvRmT3_T4_T5_mT6_P12ihipStream_tbENKUlT_T0_E_clISt17integral_constantIbLb1EESX_EEDaSS_ST_EUlSS_E_NS1_11comp_targetILNS1_3genE2ELNS1_11target_archE906ELNS1_3gpuE6ELNS1_3repE0EEENS1_30default_config_static_selectorELNS0_4arch9wavefront6targetE1EEEvT1_,@function
_ZN7rocprim17ROCPRIM_400000_NS6detail17trampoline_kernelINS0_14default_configENS1_20scan_config_selectorIxEEZZNS1_9scan_implILNS1_25lookback_scan_determinismE0ELb1ELb1ES3_N6thrust23THRUST_200600_302600_NS6detail15normal_iteratorINS9_10device_ptrIxEEEENS9_16discard_iteratorINS9_11use_defaultEEExNS9_4plusIvEExEEDaPvRmT3_T4_T5_mT6_P12ihipStream_tbENKUlT_T0_E_clISt17integral_constantIbLb1EESX_EEDaSS_ST_EUlSS_E_NS1_11comp_targetILNS1_3genE2ELNS1_11target_archE906ELNS1_3gpuE6ELNS1_3repE0EEENS1_30default_config_static_selectorELNS0_4arch9wavefront6targetE1EEEvT1_: ; @_ZN7rocprim17ROCPRIM_400000_NS6detail17trampoline_kernelINS0_14default_configENS1_20scan_config_selectorIxEEZZNS1_9scan_implILNS1_25lookback_scan_determinismE0ELb1ELb1ES3_N6thrust23THRUST_200600_302600_NS6detail15normal_iteratorINS9_10device_ptrIxEEEENS9_16discard_iteratorINS9_11use_defaultEEExNS9_4plusIvEExEEDaPvRmT3_T4_T5_mT6_P12ihipStream_tbENKUlT_T0_E_clISt17integral_constantIbLb1EESX_EEDaSS_ST_EUlSS_E_NS1_11comp_targetILNS1_3genE2ELNS1_11target_archE906ELNS1_3gpuE6ELNS1_3repE0EEENS1_30default_config_static_selectorELNS0_4arch9wavefront6targetE1EEEvT1_
; %bb.0:
	.section	.rodata,"a",@progbits
	.p2align	6, 0x0
	.amdhsa_kernel _ZN7rocprim17ROCPRIM_400000_NS6detail17trampoline_kernelINS0_14default_configENS1_20scan_config_selectorIxEEZZNS1_9scan_implILNS1_25lookback_scan_determinismE0ELb1ELb1ES3_N6thrust23THRUST_200600_302600_NS6detail15normal_iteratorINS9_10device_ptrIxEEEENS9_16discard_iteratorINS9_11use_defaultEEExNS9_4plusIvEExEEDaPvRmT3_T4_T5_mT6_P12ihipStream_tbENKUlT_T0_E_clISt17integral_constantIbLb1EESX_EEDaSS_ST_EUlSS_E_NS1_11comp_targetILNS1_3genE2ELNS1_11target_archE906ELNS1_3gpuE6ELNS1_3repE0EEENS1_30default_config_static_selectorELNS0_4arch9wavefront6targetE1EEEvT1_
		.amdhsa_group_segment_fixed_size 0
		.amdhsa_private_segment_fixed_size 0
		.amdhsa_kernarg_size 112
		.amdhsa_user_sgpr_count 6
		.amdhsa_user_sgpr_private_segment_buffer 1
		.amdhsa_user_sgpr_dispatch_ptr 0
		.amdhsa_user_sgpr_queue_ptr 0
		.amdhsa_user_sgpr_kernarg_segment_ptr 1
		.amdhsa_user_sgpr_dispatch_id 0
		.amdhsa_user_sgpr_flat_scratch_init 0
		.amdhsa_user_sgpr_kernarg_preload_length 0
		.amdhsa_user_sgpr_kernarg_preload_offset 0
		.amdhsa_user_sgpr_private_segment_size 0
		.amdhsa_uses_dynamic_stack 0
		.amdhsa_system_sgpr_private_segment_wavefront_offset 0
		.amdhsa_system_sgpr_workgroup_id_x 1
		.amdhsa_system_sgpr_workgroup_id_y 0
		.amdhsa_system_sgpr_workgroup_id_z 0
		.amdhsa_system_sgpr_workgroup_info 0
		.amdhsa_system_vgpr_workitem_id 0
		.amdhsa_next_free_vgpr 1
		.amdhsa_next_free_sgpr 0
		.amdhsa_accum_offset 4
		.amdhsa_reserve_vcc 0
		.amdhsa_reserve_flat_scratch 0
		.amdhsa_float_round_mode_32 0
		.amdhsa_float_round_mode_16_64 0
		.amdhsa_float_denorm_mode_32 3
		.amdhsa_float_denorm_mode_16_64 3
		.amdhsa_dx10_clamp 1
		.amdhsa_ieee_mode 1
		.amdhsa_fp16_overflow 0
		.amdhsa_tg_split 0
		.amdhsa_exception_fp_ieee_invalid_op 0
		.amdhsa_exception_fp_denorm_src 0
		.amdhsa_exception_fp_ieee_div_zero 0
		.amdhsa_exception_fp_ieee_overflow 0
		.amdhsa_exception_fp_ieee_underflow 0
		.amdhsa_exception_fp_ieee_inexact 0
		.amdhsa_exception_int_div_zero 0
	.end_amdhsa_kernel
	.section	.text._ZN7rocprim17ROCPRIM_400000_NS6detail17trampoline_kernelINS0_14default_configENS1_20scan_config_selectorIxEEZZNS1_9scan_implILNS1_25lookback_scan_determinismE0ELb1ELb1ES3_N6thrust23THRUST_200600_302600_NS6detail15normal_iteratorINS9_10device_ptrIxEEEENS9_16discard_iteratorINS9_11use_defaultEEExNS9_4plusIvEExEEDaPvRmT3_T4_T5_mT6_P12ihipStream_tbENKUlT_T0_E_clISt17integral_constantIbLb1EESX_EEDaSS_ST_EUlSS_E_NS1_11comp_targetILNS1_3genE2ELNS1_11target_archE906ELNS1_3gpuE6ELNS1_3repE0EEENS1_30default_config_static_selectorELNS0_4arch9wavefront6targetE1EEEvT1_,"axG",@progbits,_ZN7rocprim17ROCPRIM_400000_NS6detail17trampoline_kernelINS0_14default_configENS1_20scan_config_selectorIxEEZZNS1_9scan_implILNS1_25lookback_scan_determinismE0ELb1ELb1ES3_N6thrust23THRUST_200600_302600_NS6detail15normal_iteratorINS9_10device_ptrIxEEEENS9_16discard_iteratorINS9_11use_defaultEEExNS9_4plusIvEExEEDaPvRmT3_T4_T5_mT6_P12ihipStream_tbENKUlT_T0_E_clISt17integral_constantIbLb1EESX_EEDaSS_ST_EUlSS_E_NS1_11comp_targetILNS1_3genE2ELNS1_11target_archE906ELNS1_3gpuE6ELNS1_3repE0EEENS1_30default_config_static_selectorELNS0_4arch9wavefront6targetE1EEEvT1_,comdat
.Lfunc_end5676:
	.size	_ZN7rocprim17ROCPRIM_400000_NS6detail17trampoline_kernelINS0_14default_configENS1_20scan_config_selectorIxEEZZNS1_9scan_implILNS1_25lookback_scan_determinismE0ELb1ELb1ES3_N6thrust23THRUST_200600_302600_NS6detail15normal_iteratorINS9_10device_ptrIxEEEENS9_16discard_iteratorINS9_11use_defaultEEExNS9_4plusIvEExEEDaPvRmT3_T4_T5_mT6_P12ihipStream_tbENKUlT_T0_E_clISt17integral_constantIbLb1EESX_EEDaSS_ST_EUlSS_E_NS1_11comp_targetILNS1_3genE2ELNS1_11target_archE906ELNS1_3gpuE6ELNS1_3repE0EEENS1_30default_config_static_selectorELNS0_4arch9wavefront6targetE1EEEvT1_, .Lfunc_end5676-_ZN7rocprim17ROCPRIM_400000_NS6detail17trampoline_kernelINS0_14default_configENS1_20scan_config_selectorIxEEZZNS1_9scan_implILNS1_25lookback_scan_determinismE0ELb1ELb1ES3_N6thrust23THRUST_200600_302600_NS6detail15normal_iteratorINS9_10device_ptrIxEEEENS9_16discard_iteratorINS9_11use_defaultEEExNS9_4plusIvEExEEDaPvRmT3_T4_T5_mT6_P12ihipStream_tbENKUlT_T0_E_clISt17integral_constantIbLb1EESX_EEDaSS_ST_EUlSS_E_NS1_11comp_targetILNS1_3genE2ELNS1_11target_archE906ELNS1_3gpuE6ELNS1_3repE0EEENS1_30default_config_static_selectorELNS0_4arch9wavefront6targetE1EEEvT1_
                                        ; -- End function
	.section	.AMDGPU.csdata,"",@progbits
; Kernel info:
; codeLenInByte = 0
; NumSgprs: 4
; NumVgprs: 0
; NumAgprs: 0
; TotalNumVgprs: 0
; ScratchSize: 0
; MemoryBound: 0
; FloatMode: 240
; IeeeMode: 1
; LDSByteSize: 0 bytes/workgroup (compile time only)
; SGPRBlocks: 0
; VGPRBlocks: 0
; NumSGPRsForWavesPerEU: 4
; NumVGPRsForWavesPerEU: 1
; AccumOffset: 4
; Occupancy: 8
; WaveLimiterHint : 0
; COMPUTE_PGM_RSRC2:SCRATCH_EN: 0
; COMPUTE_PGM_RSRC2:USER_SGPR: 6
; COMPUTE_PGM_RSRC2:TRAP_HANDLER: 0
; COMPUTE_PGM_RSRC2:TGID_X_EN: 1
; COMPUTE_PGM_RSRC2:TGID_Y_EN: 0
; COMPUTE_PGM_RSRC2:TGID_Z_EN: 0
; COMPUTE_PGM_RSRC2:TIDIG_COMP_CNT: 0
; COMPUTE_PGM_RSRC3_GFX90A:ACCUM_OFFSET: 0
; COMPUTE_PGM_RSRC3_GFX90A:TG_SPLIT: 0
	.section	.text._ZN7rocprim17ROCPRIM_400000_NS6detail17trampoline_kernelINS0_14default_configENS1_20scan_config_selectorIxEEZZNS1_9scan_implILNS1_25lookback_scan_determinismE0ELb1ELb1ES3_N6thrust23THRUST_200600_302600_NS6detail15normal_iteratorINS9_10device_ptrIxEEEENS9_16discard_iteratorINS9_11use_defaultEEExNS9_4plusIvEExEEDaPvRmT3_T4_T5_mT6_P12ihipStream_tbENKUlT_T0_E_clISt17integral_constantIbLb1EESX_EEDaSS_ST_EUlSS_E_NS1_11comp_targetILNS1_3genE10ELNS1_11target_archE1201ELNS1_3gpuE5ELNS1_3repE0EEENS1_30default_config_static_selectorELNS0_4arch9wavefront6targetE1EEEvT1_,"axG",@progbits,_ZN7rocprim17ROCPRIM_400000_NS6detail17trampoline_kernelINS0_14default_configENS1_20scan_config_selectorIxEEZZNS1_9scan_implILNS1_25lookback_scan_determinismE0ELb1ELb1ES3_N6thrust23THRUST_200600_302600_NS6detail15normal_iteratorINS9_10device_ptrIxEEEENS9_16discard_iteratorINS9_11use_defaultEEExNS9_4plusIvEExEEDaPvRmT3_T4_T5_mT6_P12ihipStream_tbENKUlT_T0_E_clISt17integral_constantIbLb1EESX_EEDaSS_ST_EUlSS_E_NS1_11comp_targetILNS1_3genE10ELNS1_11target_archE1201ELNS1_3gpuE5ELNS1_3repE0EEENS1_30default_config_static_selectorELNS0_4arch9wavefront6targetE1EEEvT1_,comdat
	.protected	_ZN7rocprim17ROCPRIM_400000_NS6detail17trampoline_kernelINS0_14default_configENS1_20scan_config_selectorIxEEZZNS1_9scan_implILNS1_25lookback_scan_determinismE0ELb1ELb1ES3_N6thrust23THRUST_200600_302600_NS6detail15normal_iteratorINS9_10device_ptrIxEEEENS9_16discard_iteratorINS9_11use_defaultEEExNS9_4plusIvEExEEDaPvRmT3_T4_T5_mT6_P12ihipStream_tbENKUlT_T0_E_clISt17integral_constantIbLb1EESX_EEDaSS_ST_EUlSS_E_NS1_11comp_targetILNS1_3genE10ELNS1_11target_archE1201ELNS1_3gpuE5ELNS1_3repE0EEENS1_30default_config_static_selectorELNS0_4arch9wavefront6targetE1EEEvT1_ ; -- Begin function _ZN7rocprim17ROCPRIM_400000_NS6detail17trampoline_kernelINS0_14default_configENS1_20scan_config_selectorIxEEZZNS1_9scan_implILNS1_25lookback_scan_determinismE0ELb1ELb1ES3_N6thrust23THRUST_200600_302600_NS6detail15normal_iteratorINS9_10device_ptrIxEEEENS9_16discard_iteratorINS9_11use_defaultEEExNS9_4plusIvEExEEDaPvRmT3_T4_T5_mT6_P12ihipStream_tbENKUlT_T0_E_clISt17integral_constantIbLb1EESX_EEDaSS_ST_EUlSS_E_NS1_11comp_targetILNS1_3genE10ELNS1_11target_archE1201ELNS1_3gpuE5ELNS1_3repE0EEENS1_30default_config_static_selectorELNS0_4arch9wavefront6targetE1EEEvT1_
	.globl	_ZN7rocprim17ROCPRIM_400000_NS6detail17trampoline_kernelINS0_14default_configENS1_20scan_config_selectorIxEEZZNS1_9scan_implILNS1_25lookback_scan_determinismE0ELb1ELb1ES3_N6thrust23THRUST_200600_302600_NS6detail15normal_iteratorINS9_10device_ptrIxEEEENS9_16discard_iteratorINS9_11use_defaultEEExNS9_4plusIvEExEEDaPvRmT3_T4_T5_mT6_P12ihipStream_tbENKUlT_T0_E_clISt17integral_constantIbLb1EESX_EEDaSS_ST_EUlSS_E_NS1_11comp_targetILNS1_3genE10ELNS1_11target_archE1201ELNS1_3gpuE5ELNS1_3repE0EEENS1_30default_config_static_selectorELNS0_4arch9wavefront6targetE1EEEvT1_
	.p2align	8
	.type	_ZN7rocprim17ROCPRIM_400000_NS6detail17trampoline_kernelINS0_14default_configENS1_20scan_config_selectorIxEEZZNS1_9scan_implILNS1_25lookback_scan_determinismE0ELb1ELb1ES3_N6thrust23THRUST_200600_302600_NS6detail15normal_iteratorINS9_10device_ptrIxEEEENS9_16discard_iteratorINS9_11use_defaultEEExNS9_4plusIvEExEEDaPvRmT3_T4_T5_mT6_P12ihipStream_tbENKUlT_T0_E_clISt17integral_constantIbLb1EESX_EEDaSS_ST_EUlSS_E_NS1_11comp_targetILNS1_3genE10ELNS1_11target_archE1201ELNS1_3gpuE5ELNS1_3repE0EEENS1_30default_config_static_selectorELNS0_4arch9wavefront6targetE1EEEvT1_,@function
_ZN7rocprim17ROCPRIM_400000_NS6detail17trampoline_kernelINS0_14default_configENS1_20scan_config_selectorIxEEZZNS1_9scan_implILNS1_25lookback_scan_determinismE0ELb1ELb1ES3_N6thrust23THRUST_200600_302600_NS6detail15normal_iteratorINS9_10device_ptrIxEEEENS9_16discard_iteratorINS9_11use_defaultEEExNS9_4plusIvEExEEDaPvRmT3_T4_T5_mT6_P12ihipStream_tbENKUlT_T0_E_clISt17integral_constantIbLb1EESX_EEDaSS_ST_EUlSS_E_NS1_11comp_targetILNS1_3genE10ELNS1_11target_archE1201ELNS1_3gpuE5ELNS1_3repE0EEENS1_30default_config_static_selectorELNS0_4arch9wavefront6targetE1EEEvT1_: ; @_ZN7rocprim17ROCPRIM_400000_NS6detail17trampoline_kernelINS0_14default_configENS1_20scan_config_selectorIxEEZZNS1_9scan_implILNS1_25lookback_scan_determinismE0ELb1ELb1ES3_N6thrust23THRUST_200600_302600_NS6detail15normal_iteratorINS9_10device_ptrIxEEEENS9_16discard_iteratorINS9_11use_defaultEEExNS9_4plusIvEExEEDaPvRmT3_T4_T5_mT6_P12ihipStream_tbENKUlT_T0_E_clISt17integral_constantIbLb1EESX_EEDaSS_ST_EUlSS_E_NS1_11comp_targetILNS1_3genE10ELNS1_11target_archE1201ELNS1_3gpuE5ELNS1_3repE0EEENS1_30default_config_static_selectorELNS0_4arch9wavefront6targetE1EEEvT1_
; %bb.0:
	.section	.rodata,"a",@progbits
	.p2align	6, 0x0
	.amdhsa_kernel _ZN7rocprim17ROCPRIM_400000_NS6detail17trampoline_kernelINS0_14default_configENS1_20scan_config_selectorIxEEZZNS1_9scan_implILNS1_25lookback_scan_determinismE0ELb1ELb1ES3_N6thrust23THRUST_200600_302600_NS6detail15normal_iteratorINS9_10device_ptrIxEEEENS9_16discard_iteratorINS9_11use_defaultEEExNS9_4plusIvEExEEDaPvRmT3_T4_T5_mT6_P12ihipStream_tbENKUlT_T0_E_clISt17integral_constantIbLb1EESX_EEDaSS_ST_EUlSS_E_NS1_11comp_targetILNS1_3genE10ELNS1_11target_archE1201ELNS1_3gpuE5ELNS1_3repE0EEENS1_30default_config_static_selectorELNS0_4arch9wavefront6targetE1EEEvT1_
		.amdhsa_group_segment_fixed_size 0
		.amdhsa_private_segment_fixed_size 0
		.amdhsa_kernarg_size 112
		.amdhsa_user_sgpr_count 6
		.amdhsa_user_sgpr_private_segment_buffer 1
		.amdhsa_user_sgpr_dispatch_ptr 0
		.amdhsa_user_sgpr_queue_ptr 0
		.amdhsa_user_sgpr_kernarg_segment_ptr 1
		.amdhsa_user_sgpr_dispatch_id 0
		.amdhsa_user_sgpr_flat_scratch_init 0
		.amdhsa_user_sgpr_kernarg_preload_length 0
		.amdhsa_user_sgpr_kernarg_preload_offset 0
		.amdhsa_user_sgpr_private_segment_size 0
		.amdhsa_uses_dynamic_stack 0
		.amdhsa_system_sgpr_private_segment_wavefront_offset 0
		.amdhsa_system_sgpr_workgroup_id_x 1
		.amdhsa_system_sgpr_workgroup_id_y 0
		.amdhsa_system_sgpr_workgroup_id_z 0
		.amdhsa_system_sgpr_workgroup_info 0
		.amdhsa_system_vgpr_workitem_id 0
		.amdhsa_next_free_vgpr 1
		.amdhsa_next_free_sgpr 0
		.amdhsa_accum_offset 4
		.amdhsa_reserve_vcc 0
		.amdhsa_reserve_flat_scratch 0
		.amdhsa_float_round_mode_32 0
		.amdhsa_float_round_mode_16_64 0
		.amdhsa_float_denorm_mode_32 3
		.amdhsa_float_denorm_mode_16_64 3
		.amdhsa_dx10_clamp 1
		.amdhsa_ieee_mode 1
		.amdhsa_fp16_overflow 0
		.amdhsa_tg_split 0
		.amdhsa_exception_fp_ieee_invalid_op 0
		.amdhsa_exception_fp_denorm_src 0
		.amdhsa_exception_fp_ieee_div_zero 0
		.amdhsa_exception_fp_ieee_overflow 0
		.amdhsa_exception_fp_ieee_underflow 0
		.amdhsa_exception_fp_ieee_inexact 0
		.amdhsa_exception_int_div_zero 0
	.end_amdhsa_kernel
	.section	.text._ZN7rocprim17ROCPRIM_400000_NS6detail17trampoline_kernelINS0_14default_configENS1_20scan_config_selectorIxEEZZNS1_9scan_implILNS1_25lookback_scan_determinismE0ELb1ELb1ES3_N6thrust23THRUST_200600_302600_NS6detail15normal_iteratorINS9_10device_ptrIxEEEENS9_16discard_iteratorINS9_11use_defaultEEExNS9_4plusIvEExEEDaPvRmT3_T4_T5_mT6_P12ihipStream_tbENKUlT_T0_E_clISt17integral_constantIbLb1EESX_EEDaSS_ST_EUlSS_E_NS1_11comp_targetILNS1_3genE10ELNS1_11target_archE1201ELNS1_3gpuE5ELNS1_3repE0EEENS1_30default_config_static_selectorELNS0_4arch9wavefront6targetE1EEEvT1_,"axG",@progbits,_ZN7rocprim17ROCPRIM_400000_NS6detail17trampoline_kernelINS0_14default_configENS1_20scan_config_selectorIxEEZZNS1_9scan_implILNS1_25lookback_scan_determinismE0ELb1ELb1ES3_N6thrust23THRUST_200600_302600_NS6detail15normal_iteratorINS9_10device_ptrIxEEEENS9_16discard_iteratorINS9_11use_defaultEEExNS9_4plusIvEExEEDaPvRmT3_T4_T5_mT6_P12ihipStream_tbENKUlT_T0_E_clISt17integral_constantIbLb1EESX_EEDaSS_ST_EUlSS_E_NS1_11comp_targetILNS1_3genE10ELNS1_11target_archE1201ELNS1_3gpuE5ELNS1_3repE0EEENS1_30default_config_static_selectorELNS0_4arch9wavefront6targetE1EEEvT1_,comdat
.Lfunc_end5677:
	.size	_ZN7rocprim17ROCPRIM_400000_NS6detail17trampoline_kernelINS0_14default_configENS1_20scan_config_selectorIxEEZZNS1_9scan_implILNS1_25lookback_scan_determinismE0ELb1ELb1ES3_N6thrust23THRUST_200600_302600_NS6detail15normal_iteratorINS9_10device_ptrIxEEEENS9_16discard_iteratorINS9_11use_defaultEEExNS9_4plusIvEExEEDaPvRmT3_T4_T5_mT6_P12ihipStream_tbENKUlT_T0_E_clISt17integral_constantIbLb1EESX_EEDaSS_ST_EUlSS_E_NS1_11comp_targetILNS1_3genE10ELNS1_11target_archE1201ELNS1_3gpuE5ELNS1_3repE0EEENS1_30default_config_static_selectorELNS0_4arch9wavefront6targetE1EEEvT1_, .Lfunc_end5677-_ZN7rocprim17ROCPRIM_400000_NS6detail17trampoline_kernelINS0_14default_configENS1_20scan_config_selectorIxEEZZNS1_9scan_implILNS1_25lookback_scan_determinismE0ELb1ELb1ES3_N6thrust23THRUST_200600_302600_NS6detail15normal_iteratorINS9_10device_ptrIxEEEENS9_16discard_iteratorINS9_11use_defaultEEExNS9_4plusIvEExEEDaPvRmT3_T4_T5_mT6_P12ihipStream_tbENKUlT_T0_E_clISt17integral_constantIbLb1EESX_EEDaSS_ST_EUlSS_E_NS1_11comp_targetILNS1_3genE10ELNS1_11target_archE1201ELNS1_3gpuE5ELNS1_3repE0EEENS1_30default_config_static_selectorELNS0_4arch9wavefront6targetE1EEEvT1_
                                        ; -- End function
	.section	.AMDGPU.csdata,"",@progbits
; Kernel info:
; codeLenInByte = 0
; NumSgprs: 4
; NumVgprs: 0
; NumAgprs: 0
; TotalNumVgprs: 0
; ScratchSize: 0
; MemoryBound: 0
; FloatMode: 240
; IeeeMode: 1
; LDSByteSize: 0 bytes/workgroup (compile time only)
; SGPRBlocks: 0
; VGPRBlocks: 0
; NumSGPRsForWavesPerEU: 4
; NumVGPRsForWavesPerEU: 1
; AccumOffset: 4
; Occupancy: 8
; WaveLimiterHint : 0
; COMPUTE_PGM_RSRC2:SCRATCH_EN: 0
; COMPUTE_PGM_RSRC2:USER_SGPR: 6
; COMPUTE_PGM_RSRC2:TRAP_HANDLER: 0
; COMPUTE_PGM_RSRC2:TGID_X_EN: 1
; COMPUTE_PGM_RSRC2:TGID_Y_EN: 0
; COMPUTE_PGM_RSRC2:TGID_Z_EN: 0
; COMPUTE_PGM_RSRC2:TIDIG_COMP_CNT: 0
; COMPUTE_PGM_RSRC3_GFX90A:ACCUM_OFFSET: 0
; COMPUTE_PGM_RSRC3_GFX90A:TG_SPLIT: 0
	.section	.text._ZN7rocprim17ROCPRIM_400000_NS6detail17trampoline_kernelINS0_14default_configENS1_20scan_config_selectorIxEEZZNS1_9scan_implILNS1_25lookback_scan_determinismE0ELb1ELb1ES3_N6thrust23THRUST_200600_302600_NS6detail15normal_iteratorINS9_10device_ptrIxEEEENS9_16discard_iteratorINS9_11use_defaultEEExNS9_4plusIvEExEEDaPvRmT3_T4_T5_mT6_P12ihipStream_tbENKUlT_T0_E_clISt17integral_constantIbLb1EESX_EEDaSS_ST_EUlSS_E_NS1_11comp_targetILNS1_3genE10ELNS1_11target_archE1200ELNS1_3gpuE4ELNS1_3repE0EEENS1_30default_config_static_selectorELNS0_4arch9wavefront6targetE1EEEvT1_,"axG",@progbits,_ZN7rocprim17ROCPRIM_400000_NS6detail17trampoline_kernelINS0_14default_configENS1_20scan_config_selectorIxEEZZNS1_9scan_implILNS1_25lookback_scan_determinismE0ELb1ELb1ES3_N6thrust23THRUST_200600_302600_NS6detail15normal_iteratorINS9_10device_ptrIxEEEENS9_16discard_iteratorINS9_11use_defaultEEExNS9_4plusIvEExEEDaPvRmT3_T4_T5_mT6_P12ihipStream_tbENKUlT_T0_E_clISt17integral_constantIbLb1EESX_EEDaSS_ST_EUlSS_E_NS1_11comp_targetILNS1_3genE10ELNS1_11target_archE1200ELNS1_3gpuE4ELNS1_3repE0EEENS1_30default_config_static_selectorELNS0_4arch9wavefront6targetE1EEEvT1_,comdat
	.protected	_ZN7rocprim17ROCPRIM_400000_NS6detail17trampoline_kernelINS0_14default_configENS1_20scan_config_selectorIxEEZZNS1_9scan_implILNS1_25lookback_scan_determinismE0ELb1ELb1ES3_N6thrust23THRUST_200600_302600_NS6detail15normal_iteratorINS9_10device_ptrIxEEEENS9_16discard_iteratorINS9_11use_defaultEEExNS9_4plusIvEExEEDaPvRmT3_T4_T5_mT6_P12ihipStream_tbENKUlT_T0_E_clISt17integral_constantIbLb1EESX_EEDaSS_ST_EUlSS_E_NS1_11comp_targetILNS1_3genE10ELNS1_11target_archE1200ELNS1_3gpuE4ELNS1_3repE0EEENS1_30default_config_static_selectorELNS0_4arch9wavefront6targetE1EEEvT1_ ; -- Begin function _ZN7rocprim17ROCPRIM_400000_NS6detail17trampoline_kernelINS0_14default_configENS1_20scan_config_selectorIxEEZZNS1_9scan_implILNS1_25lookback_scan_determinismE0ELb1ELb1ES3_N6thrust23THRUST_200600_302600_NS6detail15normal_iteratorINS9_10device_ptrIxEEEENS9_16discard_iteratorINS9_11use_defaultEEExNS9_4plusIvEExEEDaPvRmT3_T4_T5_mT6_P12ihipStream_tbENKUlT_T0_E_clISt17integral_constantIbLb1EESX_EEDaSS_ST_EUlSS_E_NS1_11comp_targetILNS1_3genE10ELNS1_11target_archE1200ELNS1_3gpuE4ELNS1_3repE0EEENS1_30default_config_static_selectorELNS0_4arch9wavefront6targetE1EEEvT1_
	.globl	_ZN7rocprim17ROCPRIM_400000_NS6detail17trampoline_kernelINS0_14default_configENS1_20scan_config_selectorIxEEZZNS1_9scan_implILNS1_25lookback_scan_determinismE0ELb1ELb1ES3_N6thrust23THRUST_200600_302600_NS6detail15normal_iteratorINS9_10device_ptrIxEEEENS9_16discard_iteratorINS9_11use_defaultEEExNS9_4plusIvEExEEDaPvRmT3_T4_T5_mT6_P12ihipStream_tbENKUlT_T0_E_clISt17integral_constantIbLb1EESX_EEDaSS_ST_EUlSS_E_NS1_11comp_targetILNS1_3genE10ELNS1_11target_archE1200ELNS1_3gpuE4ELNS1_3repE0EEENS1_30default_config_static_selectorELNS0_4arch9wavefront6targetE1EEEvT1_
	.p2align	8
	.type	_ZN7rocprim17ROCPRIM_400000_NS6detail17trampoline_kernelINS0_14default_configENS1_20scan_config_selectorIxEEZZNS1_9scan_implILNS1_25lookback_scan_determinismE0ELb1ELb1ES3_N6thrust23THRUST_200600_302600_NS6detail15normal_iteratorINS9_10device_ptrIxEEEENS9_16discard_iteratorINS9_11use_defaultEEExNS9_4plusIvEExEEDaPvRmT3_T4_T5_mT6_P12ihipStream_tbENKUlT_T0_E_clISt17integral_constantIbLb1EESX_EEDaSS_ST_EUlSS_E_NS1_11comp_targetILNS1_3genE10ELNS1_11target_archE1200ELNS1_3gpuE4ELNS1_3repE0EEENS1_30default_config_static_selectorELNS0_4arch9wavefront6targetE1EEEvT1_,@function
_ZN7rocprim17ROCPRIM_400000_NS6detail17trampoline_kernelINS0_14default_configENS1_20scan_config_selectorIxEEZZNS1_9scan_implILNS1_25lookback_scan_determinismE0ELb1ELb1ES3_N6thrust23THRUST_200600_302600_NS6detail15normal_iteratorINS9_10device_ptrIxEEEENS9_16discard_iteratorINS9_11use_defaultEEExNS9_4plusIvEExEEDaPvRmT3_T4_T5_mT6_P12ihipStream_tbENKUlT_T0_E_clISt17integral_constantIbLb1EESX_EEDaSS_ST_EUlSS_E_NS1_11comp_targetILNS1_3genE10ELNS1_11target_archE1200ELNS1_3gpuE4ELNS1_3repE0EEENS1_30default_config_static_selectorELNS0_4arch9wavefront6targetE1EEEvT1_: ; @_ZN7rocprim17ROCPRIM_400000_NS6detail17trampoline_kernelINS0_14default_configENS1_20scan_config_selectorIxEEZZNS1_9scan_implILNS1_25lookback_scan_determinismE0ELb1ELb1ES3_N6thrust23THRUST_200600_302600_NS6detail15normal_iteratorINS9_10device_ptrIxEEEENS9_16discard_iteratorINS9_11use_defaultEEExNS9_4plusIvEExEEDaPvRmT3_T4_T5_mT6_P12ihipStream_tbENKUlT_T0_E_clISt17integral_constantIbLb1EESX_EEDaSS_ST_EUlSS_E_NS1_11comp_targetILNS1_3genE10ELNS1_11target_archE1200ELNS1_3gpuE4ELNS1_3repE0EEENS1_30default_config_static_selectorELNS0_4arch9wavefront6targetE1EEEvT1_
; %bb.0:
	.section	.rodata,"a",@progbits
	.p2align	6, 0x0
	.amdhsa_kernel _ZN7rocprim17ROCPRIM_400000_NS6detail17trampoline_kernelINS0_14default_configENS1_20scan_config_selectorIxEEZZNS1_9scan_implILNS1_25lookback_scan_determinismE0ELb1ELb1ES3_N6thrust23THRUST_200600_302600_NS6detail15normal_iteratorINS9_10device_ptrIxEEEENS9_16discard_iteratorINS9_11use_defaultEEExNS9_4plusIvEExEEDaPvRmT3_T4_T5_mT6_P12ihipStream_tbENKUlT_T0_E_clISt17integral_constantIbLb1EESX_EEDaSS_ST_EUlSS_E_NS1_11comp_targetILNS1_3genE10ELNS1_11target_archE1200ELNS1_3gpuE4ELNS1_3repE0EEENS1_30default_config_static_selectorELNS0_4arch9wavefront6targetE1EEEvT1_
		.amdhsa_group_segment_fixed_size 0
		.amdhsa_private_segment_fixed_size 0
		.amdhsa_kernarg_size 112
		.amdhsa_user_sgpr_count 6
		.amdhsa_user_sgpr_private_segment_buffer 1
		.amdhsa_user_sgpr_dispatch_ptr 0
		.amdhsa_user_sgpr_queue_ptr 0
		.amdhsa_user_sgpr_kernarg_segment_ptr 1
		.amdhsa_user_sgpr_dispatch_id 0
		.amdhsa_user_sgpr_flat_scratch_init 0
		.amdhsa_user_sgpr_kernarg_preload_length 0
		.amdhsa_user_sgpr_kernarg_preload_offset 0
		.amdhsa_user_sgpr_private_segment_size 0
		.amdhsa_uses_dynamic_stack 0
		.amdhsa_system_sgpr_private_segment_wavefront_offset 0
		.amdhsa_system_sgpr_workgroup_id_x 1
		.amdhsa_system_sgpr_workgroup_id_y 0
		.amdhsa_system_sgpr_workgroup_id_z 0
		.amdhsa_system_sgpr_workgroup_info 0
		.amdhsa_system_vgpr_workitem_id 0
		.amdhsa_next_free_vgpr 1
		.amdhsa_next_free_sgpr 0
		.amdhsa_accum_offset 4
		.amdhsa_reserve_vcc 0
		.amdhsa_reserve_flat_scratch 0
		.amdhsa_float_round_mode_32 0
		.amdhsa_float_round_mode_16_64 0
		.amdhsa_float_denorm_mode_32 3
		.amdhsa_float_denorm_mode_16_64 3
		.amdhsa_dx10_clamp 1
		.amdhsa_ieee_mode 1
		.amdhsa_fp16_overflow 0
		.amdhsa_tg_split 0
		.amdhsa_exception_fp_ieee_invalid_op 0
		.amdhsa_exception_fp_denorm_src 0
		.amdhsa_exception_fp_ieee_div_zero 0
		.amdhsa_exception_fp_ieee_overflow 0
		.amdhsa_exception_fp_ieee_underflow 0
		.amdhsa_exception_fp_ieee_inexact 0
		.amdhsa_exception_int_div_zero 0
	.end_amdhsa_kernel
	.section	.text._ZN7rocprim17ROCPRIM_400000_NS6detail17trampoline_kernelINS0_14default_configENS1_20scan_config_selectorIxEEZZNS1_9scan_implILNS1_25lookback_scan_determinismE0ELb1ELb1ES3_N6thrust23THRUST_200600_302600_NS6detail15normal_iteratorINS9_10device_ptrIxEEEENS9_16discard_iteratorINS9_11use_defaultEEExNS9_4plusIvEExEEDaPvRmT3_T4_T5_mT6_P12ihipStream_tbENKUlT_T0_E_clISt17integral_constantIbLb1EESX_EEDaSS_ST_EUlSS_E_NS1_11comp_targetILNS1_3genE10ELNS1_11target_archE1200ELNS1_3gpuE4ELNS1_3repE0EEENS1_30default_config_static_selectorELNS0_4arch9wavefront6targetE1EEEvT1_,"axG",@progbits,_ZN7rocprim17ROCPRIM_400000_NS6detail17trampoline_kernelINS0_14default_configENS1_20scan_config_selectorIxEEZZNS1_9scan_implILNS1_25lookback_scan_determinismE0ELb1ELb1ES3_N6thrust23THRUST_200600_302600_NS6detail15normal_iteratorINS9_10device_ptrIxEEEENS9_16discard_iteratorINS9_11use_defaultEEExNS9_4plusIvEExEEDaPvRmT3_T4_T5_mT6_P12ihipStream_tbENKUlT_T0_E_clISt17integral_constantIbLb1EESX_EEDaSS_ST_EUlSS_E_NS1_11comp_targetILNS1_3genE10ELNS1_11target_archE1200ELNS1_3gpuE4ELNS1_3repE0EEENS1_30default_config_static_selectorELNS0_4arch9wavefront6targetE1EEEvT1_,comdat
.Lfunc_end5678:
	.size	_ZN7rocprim17ROCPRIM_400000_NS6detail17trampoline_kernelINS0_14default_configENS1_20scan_config_selectorIxEEZZNS1_9scan_implILNS1_25lookback_scan_determinismE0ELb1ELb1ES3_N6thrust23THRUST_200600_302600_NS6detail15normal_iteratorINS9_10device_ptrIxEEEENS9_16discard_iteratorINS9_11use_defaultEEExNS9_4plusIvEExEEDaPvRmT3_T4_T5_mT6_P12ihipStream_tbENKUlT_T0_E_clISt17integral_constantIbLb1EESX_EEDaSS_ST_EUlSS_E_NS1_11comp_targetILNS1_3genE10ELNS1_11target_archE1200ELNS1_3gpuE4ELNS1_3repE0EEENS1_30default_config_static_selectorELNS0_4arch9wavefront6targetE1EEEvT1_, .Lfunc_end5678-_ZN7rocprim17ROCPRIM_400000_NS6detail17trampoline_kernelINS0_14default_configENS1_20scan_config_selectorIxEEZZNS1_9scan_implILNS1_25lookback_scan_determinismE0ELb1ELb1ES3_N6thrust23THRUST_200600_302600_NS6detail15normal_iteratorINS9_10device_ptrIxEEEENS9_16discard_iteratorINS9_11use_defaultEEExNS9_4plusIvEExEEDaPvRmT3_T4_T5_mT6_P12ihipStream_tbENKUlT_T0_E_clISt17integral_constantIbLb1EESX_EEDaSS_ST_EUlSS_E_NS1_11comp_targetILNS1_3genE10ELNS1_11target_archE1200ELNS1_3gpuE4ELNS1_3repE0EEENS1_30default_config_static_selectorELNS0_4arch9wavefront6targetE1EEEvT1_
                                        ; -- End function
	.section	.AMDGPU.csdata,"",@progbits
; Kernel info:
; codeLenInByte = 0
; NumSgprs: 4
; NumVgprs: 0
; NumAgprs: 0
; TotalNumVgprs: 0
; ScratchSize: 0
; MemoryBound: 0
; FloatMode: 240
; IeeeMode: 1
; LDSByteSize: 0 bytes/workgroup (compile time only)
; SGPRBlocks: 0
; VGPRBlocks: 0
; NumSGPRsForWavesPerEU: 4
; NumVGPRsForWavesPerEU: 1
; AccumOffset: 4
; Occupancy: 8
; WaveLimiterHint : 0
; COMPUTE_PGM_RSRC2:SCRATCH_EN: 0
; COMPUTE_PGM_RSRC2:USER_SGPR: 6
; COMPUTE_PGM_RSRC2:TRAP_HANDLER: 0
; COMPUTE_PGM_RSRC2:TGID_X_EN: 1
; COMPUTE_PGM_RSRC2:TGID_Y_EN: 0
; COMPUTE_PGM_RSRC2:TGID_Z_EN: 0
; COMPUTE_PGM_RSRC2:TIDIG_COMP_CNT: 0
; COMPUTE_PGM_RSRC3_GFX90A:ACCUM_OFFSET: 0
; COMPUTE_PGM_RSRC3_GFX90A:TG_SPLIT: 0
	.section	.text._ZN7rocprim17ROCPRIM_400000_NS6detail17trampoline_kernelINS0_14default_configENS1_20scan_config_selectorIxEEZZNS1_9scan_implILNS1_25lookback_scan_determinismE0ELb1ELb1ES3_N6thrust23THRUST_200600_302600_NS6detail15normal_iteratorINS9_10device_ptrIxEEEENS9_16discard_iteratorINS9_11use_defaultEEExNS9_4plusIvEExEEDaPvRmT3_T4_T5_mT6_P12ihipStream_tbENKUlT_T0_E_clISt17integral_constantIbLb1EESX_EEDaSS_ST_EUlSS_E_NS1_11comp_targetILNS1_3genE9ELNS1_11target_archE1100ELNS1_3gpuE3ELNS1_3repE0EEENS1_30default_config_static_selectorELNS0_4arch9wavefront6targetE1EEEvT1_,"axG",@progbits,_ZN7rocprim17ROCPRIM_400000_NS6detail17trampoline_kernelINS0_14default_configENS1_20scan_config_selectorIxEEZZNS1_9scan_implILNS1_25lookback_scan_determinismE0ELb1ELb1ES3_N6thrust23THRUST_200600_302600_NS6detail15normal_iteratorINS9_10device_ptrIxEEEENS9_16discard_iteratorINS9_11use_defaultEEExNS9_4plusIvEExEEDaPvRmT3_T4_T5_mT6_P12ihipStream_tbENKUlT_T0_E_clISt17integral_constantIbLb1EESX_EEDaSS_ST_EUlSS_E_NS1_11comp_targetILNS1_3genE9ELNS1_11target_archE1100ELNS1_3gpuE3ELNS1_3repE0EEENS1_30default_config_static_selectorELNS0_4arch9wavefront6targetE1EEEvT1_,comdat
	.protected	_ZN7rocprim17ROCPRIM_400000_NS6detail17trampoline_kernelINS0_14default_configENS1_20scan_config_selectorIxEEZZNS1_9scan_implILNS1_25lookback_scan_determinismE0ELb1ELb1ES3_N6thrust23THRUST_200600_302600_NS6detail15normal_iteratorINS9_10device_ptrIxEEEENS9_16discard_iteratorINS9_11use_defaultEEExNS9_4plusIvEExEEDaPvRmT3_T4_T5_mT6_P12ihipStream_tbENKUlT_T0_E_clISt17integral_constantIbLb1EESX_EEDaSS_ST_EUlSS_E_NS1_11comp_targetILNS1_3genE9ELNS1_11target_archE1100ELNS1_3gpuE3ELNS1_3repE0EEENS1_30default_config_static_selectorELNS0_4arch9wavefront6targetE1EEEvT1_ ; -- Begin function _ZN7rocprim17ROCPRIM_400000_NS6detail17trampoline_kernelINS0_14default_configENS1_20scan_config_selectorIxEEZZNS1_9scan_implILNS1_25lookback_scan_determinismE0ELb1ELb1ES3_N6thrust23THRUST_200600_302600_NS6detail15normal_iteratorINS9_10device_ptrIxEEEENS9_16discard_iteratorINS9_11use_defaultEEExNS9_4plusIvEExEEDaPvRmT3_T4_T5_mT6_P12ihipStream_tbENKUlT_T0_E_clISt17integral_constantIbLb1EESX_EEDaSS_ST_EUlSS_E_NS1_11comp_targetILNS1_3genE9ELNS1_11target_archE1100ELNS1_3gpuE3ELNS1_3repE0EEENS1_30default_config_static_selectorELNS0_4arch9wavefront6targetE1EEEvT1_
	.globl	_ZN7rocprim17ROCPRIM_400000_NS6detail17trampoline_kernelINS0_14default_configENS1_20scan_config_selectorIxEEZZNS1_9scan_implILNS1_25lookback_scan_determinismE0ELb1ELb1ES3_N6thrust23THRUST_200600_302600_NS6detail15normal_iteratorINS9_10device_ptrIxEEEENS9_16discard_iteratorINS9_11use_defaultEEExNS9_4plusIvEExEEDaPvRmT3_T4_T5_mT6_P12ihipStream_tbENKUlT_T0_E_clISt17integral_constantIbLb1EESX_EEDaSS_ST_EUlSS_E_NS1_11comp_targetILNS1_3genE9ELNS1_11target_archE1100ELNS1_3gpuE3ELNS1_3repE0EEENS1_30default_config_static_selectorELNS0_4arch9wavefront6targetE1EEEvT1_
	.p2align	8
	.type	_ZN7rocprim17ROCPRIM_400000_NS6detail17trampoline_kernelINS0_14default_configENS1_20scan_config_selectorIxEEZZNS1_9scan_implILNS1_25lookback_scan_determinismE0ELb1ELb1ES3_N6thrust23THRUST_200600_302600_NS6detail15normal_iteratorINS9_10device_ptrIxEEEENS9_16discard_iteratorINS9_11use_defaultEEExNS9_4plusIvEExEEDaPvRmT3_T4_T5_mT6_P12ihipStream_tbENKUlT_T0_E_clISt17integral_constantIbLb1EESX_EEDaSS_ST_EUlSS_E_NS1_11comp_targetILNS1_3genE9ELNS1_11target_archE1100ELNS1_3gpuE3ELNS1_3repE0EEENS1_30default_config_static_selectorELNS0_4arch9wavefront6targetE1EEEvT1_,@function
_ZN7rocprim17ROCPRIM_400000_NS6detail17trampoline_kernelINS0_14default_configENS1_20scan_config_selectorIxEEZZNS1_9scan_implILNS1_25lookback_scan_determinismE0ELb1ELb1ES3_N6thrust23THRUST_200600_302600_NS6detail15normal_iteratorINS9_10device_ptrIxEEEENS9_16discard_iteratorINS9_11use_defaultEEExNS9_4plusIvEExEEDaPvRmT3_T4_T5_mT6_P12ihipStream_tbENKUlT_T0_E_clISt17integral_constantIbLb1EESX_EEDaSS_ST_EUlSS_E_NS1_11comp_targetILNS1_3genE9ELNS1_11target_archE1100ELNS1_3gpuE3ELNS1_3repE0EEENS1_30default_config_static_selectorELNS0_4arch9wavefront6targetE1EEEvT1_: ; @_ZN7rocprim17ROCPRIM_400000_NS6detail17trampoline_kernelINS0_14default_configENS1_20scan_config_selectorIxEEZZNS1_9scan_implILNS1_25lookback_scan_determinismE0ELb1ELb1ES3_N6thrust23THRUST_200600_302600_NS6detail15normal_iteratorINS9_10device_ptrIxEEEENS9_16discard_iteratorINS9_11use_defaultEEExNS9_4plusIvEExEEDaPvRmT3_T4_T5_mT6_P12ihipStream_tbENKUlT_T0_E_clISt17integral_constantIbLb1EESX_EEDaSS_ST_EUlSS_E_NS1_11comp_targetILNS1_3genE9ELNS1_11target_archE1100ELNS1_3gpuE3ELNS1_3repE0EEENS1_30default_config_static_selectorELNS0_4arch9wavefront6targetE1EEEvT1_
; %bb.0:
	.section	.rodata,"a",@progbits
	.p2align	6, 0x0
	.amdhsa_kernel _ZN7rocprim17ROCPRIM_400000_NS6detail17trampoline_kernelINS0_14default_configENS1_20scan_config_selectorIxEEZZNS1_9scan_implILNS1_25lookback_scan_determinismE0ELb1ELb1ES3_N6thrust23THRUST_200600_302600_NS6detail15normal_iteratorINS9_10device_ptrIxEEEENS9_16discard_iteratorINS9_11use_defaultEEExNS9_4plusIvEExEEDaPvRmT3_T4_T5_mT6_P12ihipStream_tbENKUlT_T0_E_clISt17integral_constantIbLb1EESX_EEDaSS_ST_EUlSS_E_NS1_11comp_targetILNS1_3genE9ELNS1_11target_archE1100ELNS1_3gpuE3ELNS1_3repE0EEENS1_30default_config_static_selectorELNS0_4arch9wavefront6targetE1EEEvT1_
		.amdhsa_group_segment_fixed_size 0
		.amdhsa_private_segment_fixed_size 0
		.amdhsa_kernarg_size 112
		.amdhsa_user_sgpr_count 6
		.amdhsa_user_sgpr_private_segment_buffer 1
		.amdhsa_user_sgpr_dispatch_ptr 0
		.amdhsa_user_sgpr_queue_ptr 0
		.amdhsa_user_sgpr_kernarg_segment_ptr 1
		.amdhsa_user_sgpr_dispatch_id 0
		.amdhsa_user_sgpr_flat_scratch_init 0
		.amdhsa_user_sgpr_kernarg_preload_length 0
		.amdhsa_user_sgpr_kernarg_preload_offset 0
		.amdhsa_user_sgpr_private_segment_size 0
		.amdhsa_uses_dynamic_stack 0
		.amdhsa_system_sgpr_private_segment_wavefront_offset 0
		.amdhsa_system_sgpr_workgroup_id_x 1
		.amdhsa_system_sgpr_workgroup_id_y 0
		.amdhsa_system_sgpr_workgroup_id_z 0
		.amdhsa_system_sgpr_workgroup_info 0
		.amdhsa_system_vgpr_workitem_id 0
		.amdhsa_next_free_vgpr 1
		.amdhsa_next_free_sgpr 0
		.amdhsa_accum_offset 4
		.amdhsa_reserve_vcc 0
		.amdhsa_reserve_flat_scratch 0
		.amdhsa_float_round_mode_32 0
		.amdhsa_float_round_mode_16_64 0
		.amdhsa_float_denorm_mode_32 3
		.amdhsa_float_denorm_mode_16_64 3
		.amdhsa_dx10_clamp 1
		.amdhsa_ieee_mode 1
		.amdhsa_fp16_overflow 0
		.amdhsa_tg_split 0
		.amdhsa_exception_fp_ieee_invalid_op 0
		.amdhsa_exception_fp_denorm_src 0
		.amdhsa_exception_fp_ieee_div_zero 0
		.amdhsa_exception_fp_ieee_overflow 0
		.amdhsa_exception_fp_ieee_underflow 0
		.amdhsa_exception_fp_ieee_inexact 0
		.amdhsa_exception_int_div_zero 0
	.end_amdhsa_kernel
	.section	.text._ZN7rocprim17ROCPRIM_400000_NS6detail17trampoline_kernelINS0_14default_configENS1_20scan_config_selectorIxEEZZNS1_9scan_implILNS1_25lookback_scan_determinismE0ELb1ELb1ES3_N6thrust23THRUST_200600_302600_NS6detail15normal_iteratorINS9_10device_ptrIxEEEENS9_16discard_iteratorINS9_11use_defaultEEExNS9_4plusIvEExEEDaPvRmT3_T4_T5_mT6_P12ihipStream_tbENKUlT_T0_E_clISt17integral_constantIbLb1EESX_EEDaSS_ST_EUlSS_E_NS1_11comp_targetILNS1_3genE9ELNS1_11target_archE1100ELNS1_3gpuE3ELNS1_3repE0EEENS1_30default_config_static_selectorELNS0_4arch9wavefront6targetE1EEEvT1_,"axG",@progbits,_ZN7rocprim17ROCPRIM_400000_NS6detail17trampoline_kernelINS0_14default_configENS1_20scan_config_selectorIxEEZZNS1_9scan_implILNS1_25lookback_scan_determinismE0ELb1ELb1ES3_N6thrust23THRUST_200600_302600_NS6detail15normal_iteratorINS9_10device_ptrIxEEEENS9_16discard_iteratorINS9_11use_defaultEEExNS9_4plusIvEExEEDaPvRmT3_T4_T5_mT6_P12ihipStream_tbENKUlT_T0_E_clISt17integral_constantIbLb1EESX_EEDaSS_ST_EUlSS_E_NS1_11comp_targetILNS1_3genE9ELNS1_11target_archE1100ELNS1_3gpuE3ELNS1_3repE0EEENS1_30default_config_static_selectorELNS0_4arch9wavefront6targetE1EEEvT1_,comdat
.Lfunc_end5679:
	.size	_ZN7rocprim17ROCPRIM_400000_NS6detail17trampoline_kernelINS0_14default_configENS1_20scan_config_selectorIxEEZZNS1_9scan_implILNS1_25lookback_scan_determinismE0ELb1ELb1ES3_N6thrust23THRUST_200600_302600_NS6detail15normal_iteratorINS9_10device_ptrIxEEEENS9_16discard_iteratorINS9_11use_defaultEEExNS9_4plusIvEExEEDaPvRmT3_T4_T5_mT6_P12ihipStream_tbENKUlT_T0_E_clISt17integral_constantIbLb1EESX_EEDaSS_ST_EUlSS_E_NS1_11comp_targetILNS1_3genE9ELNS1_11target_archE1100ELNS1_3gpuE3ELNS1_3repE0EEENS1_30default_config_static_selectorELNS0_4arch9wavefront6targetE1EEEvT1_, .Lfunc_end5679-_ZN7rocprim17ROCPRIM_400000_NS6detail17trampoline_kernelINS0_14default_configENS1_20scan_config_selectorIxEEZZNS1_9scan_implILNS1_25lookback_scan_determinismE0ELb1ELb1ES3_N6thrust23THRUST_200600_302600_NS6detail15normal_iteratorINS9_10device_ptrIxEEEENS9_16discard_iteratorINS9_11use_defaultEEExNS9_4plusIvEExEEDaPvRmT3_T4_T5_mT6_P12ihipStream_tbENKUlT_T0_E_clISt17integral_constantIbLb1EESX_EEDaSS_ST_EUlSS_E_NS1_11comp_targetILNS1_3genE9ELNS1_11target_archE1100ELNS1_3gpuE3ELNS1_3repE0EEENS1_30default_config_static_selectorELNS0_4arch9wavefront6targetE1EEEvT1_
                                        ; -- End function
	.section	.AMDGPU.csdata,"",@progbits
; Kernel info:
; codeLenInByte = 0
; NumSgprs: 4
; NumVgprs: 0
; NumAgprs: 0
; TotalNumVgprs: 0
; ScratchSize: 0
; MemoryBound: 0
; FloatMode: 240
; IeeeMode: 1
; LDSByteSize: 0 bytes/workgroup (compile time only)
; SGPRBlocks: 0
; VGPRBlocks: 0
; NumSGPRsForWavesPerEU: 4
; NumVGPRsForWavesPerEU: 1
; AccumOffset: 4
; Occupancy: 8
; WaveLimiterHint : 0
; COMPUTE_PGM_RSRC2:SCRATCH_EN: 0
; COMPUTE_PGM_RSRC2:USER_SGPR: 6
; COMPUTE_PGM_RSRC2:TRAP_HANDLER: 0
; COMPUTE_PGM_RSRC2:TGID_X_EN: 1
; COMPUTE_PGM_RSRC2:TGID_Y_EN: 0
; COMPUTE_PGM_RSRC2:TGID_Z_EN: 0
; COMPUTE_PGM_RSRC2:TIDIG_COMP_CNT: 0
; COMPUTE_PGM_RSRC3_GFX90A:ACCUM_OFFSET: 0
; COMPUTE_PGM_RSRC3_GFX90A:TG_SPLIT: 0
	.section	.text._ZN7rocprim17ROCPRIM_400000_NS6detail17trampoline_kernelINS0_14default_configENS1_20scan_config_selectorIxEEZZNS1_9scan_implILNS1_25lookback_scan_determinismE0ELb1ELb1ES3_N6thrust23THRUST_200600_302600_NS6detail15normal_iteratorINS9_10device_ptrIxEEEENS9_16discard_iteratorINS9_11use_defaultEEExNS9_4plusIvEExEEDaPvRmT3_T4_T5_mT6_P12ihipStream_tbENKUlT_T0_E_clISt17integral_constantIbLb1EESX_EEDaSS_ST_EUlSS_E_NS1_11comp_targetILNS1_3genE8ELNS1_11target_archE1030ELNS1_3gpuE2ELNS1_3repE0EEENS1_30default_config_static_selectorELNS0_4arch9wavefront6targetE1EEEvT1_,"axG",@progbits,_ZN7rocprim17ROCPRIM_400000_NS6detail17trampoline_kernelINS0_14default_configENS1_20scan_config_selectorIxEEZZNS1_9scan_implILNS1_25lookback_scan_determinismE0ELb1ELb1ES3_N6thrust23THRUST_200600_302600_NS6detail15normal_iteratorINS9_10device_ptrIxEEEENS9_16discard_iteratorINS9_11use_defaultEEExNS9_4plusIvEExEEDaPvRmT3_T4_T5_mT6_P12ihipStream_tbENKUlT_T0_E_clISt17integral_constantIbLb1EESX_EEDaSS_ST_EUlSS_E_NS1_11comp_targetILNS1_3genE8ELNS1_11target_archE1030ELNS1_3gpuE2ELNS1_3repE0EEENS1_30default_config_static_selectorELNS0_4arch9wavefront6targetE1EEEvT1_,comdat
	.protected	_ZN7rocprim17ROCPRIM_400000_NS6detail17trampoline_kernelINS0_14default_configENS1_20scan_config_selectorIxEEZZNS1_9scan_implILNS1_25lookback_scan_determinismE0ELb1ELb1ES3_N6thrust23THRUST_200600_302600_NS6detail15normal_iteratorINS9_10device_ptrIxEEEENS9_16discard_iteratorINS9_11use_defaultEEExNS9_4plusIvEExEEDaPvRmT3_T4_T5_mT6_P12ihipStream_tbENKUlT_T0_E_clISt17integral_constantIbLb1EESX_EEDaSS_ST_EUlSS_E_NS1_11comp_targetILNS1_3genE8ELNS1_11target_archE1030ELNS1_3gpuE2ELNS1_3repE0EEENS1_30default_config_static_selectorELNS0_4arch9wavefront6targetE1EEEvT1_ ; -- Begin function _ZN7rocprim17ROCPRIM_400000_NS6detail17trampoline_kernelINS0_14default_configENS1_20scan_config_selectorIxEEZZNS1_9scan_implILNS1_25lookback_scan_determinismE0ELb1ELb1ES3_N6thrust23THRUST_200600_302600_NS6detail15normal_iteratorINS9_10device_ptrIxEEEENS9_16discard_iteratorINS9_11use_defaultEEExNS9_4plusIvEExEEDaPvRmT3_T4_T5_mT6_P12ihipStream_tbENKUlT_T0_E_clISt17integral_constantIbLb1EESX_EEDaSS_ST_EUlSS_E_NS1_11comp_targetILNS1_3genE8ELNS1_11target_archE1030ELNS1_3gpuE2ELNS1_3repE0EEENS1_30default_config_static_selectorELNS0_4arch9wavefront6targetE1EEEvT1_
	.globl	_ZN7rocprim17ROCPRIM_400000_NS6detail17trampoline_kernelINS0_14default_configENS1_20scan_config_selectorIxEEZZNS1_9scan_implILNS1_25lookback_scan_determinismE0ELb1ELb1ES3_N6thrust23THRUST_200600_302600_NS6detail15normal_iteratorINS9_10device_ptrIxEEEENS9_16discard_iteratorINS9_11use_defaultEEExNS9_4plusIvEExEEDaPvRmT3_T4_T5_mT6_P12ihipStream_tbENKUlT_T0_E_clISt17integral_constantIbLb1EESX_EEDaSS_ST_EUlSS_E_NS1_11comp_targetILNS1_3genE8ELNS1_11target_archE1030ELNS1_3gpuE2ELNS1_3repE0EEENS1_30default_config_static_selectorELNS0_4arch9wavefront6targetE1EEEvT1_
	.p2align	8
	.type	_ZN7rocprim17ROCPRIM_400000_NS6detail17trampoline_kernelINS0_14default_configENS1_20scan_config_selectorIxEEZZNS1_9scan_implILNS1_25lookback_scan_determinismE0ELb1ELb1ES3_N6thrust23THRUST_200600_302600_NS6detail15normal_iteratorINS9_10device_ptrIxEEEENS9_16discard_iteratorINS9_11use_defaultEEExNS9_4plusIvEExEEDaPvRmT3_T4_T5_mT6_P12ihipStream_tbENKUlT_T0_E_clISt17integral_constantIbLb1EESX_EEDaSS_ST_EUlSS_E_NS1_11comp_targetILNS1_3genE8ELNS1_11target_archE1030ELNS1_3gpuE2ELNS1_3repE0EEENS1_30default_config_static_selectorELNS0_4arch9wavefront6targetE1EEEvT1_,@function
_ZN7rocprim17ROCPRIM_400000_NS6detail17trampoline_kernelINS0_14default_configENS1_20scan_config_selectorIxEEZZNS1_9scan_implILNS1_25lookback_scan_determinismE0ELb1ELb1ES3_N6thrust23THRUST_200600_302600_NS6detail15normal_iteratorINS9_10device_ptrIxEEEENS9_16discard_iteratorINS9_11use_defaultEEExNS9_4plusIvEExEEDaPvRmT3_T4_T5_mT6_P12ihipStream_tbENKUlT_T0_E_clISt17integral_constantIbLb1EESX_EEDaSS_ST_EUlSS_E_NS1_11comp_targetILNS1_3genE8ELNS1_11target_archE1030ELNS1_3gpuE2ELNS1_3repE0EEENS1_30default_config_static_selectorELNS0_4arch9wavefront6targetE1EEEvT1_: ; @_ZN7rocprim17ROCPRIM_400000_NS6detail17trampoline_kernelINS0_14default_configENS1_20scan_config_selectorIxEEZZNS1_9scan_implILNS1_25lookback_scan_determinismE0ELb1ELb1ES3_N6thrust23THRUST_200600_302600_NS6detail15normal_iteratorINS9_10device_ptrIxEEEENS9_16discard_iteratorINS9_11use_defaultEEExNS9_4plusIvEExEEDaPvRmT3_T4_T5_mT6_P12ihipStream_tbENKUlT_T0_E_clISt17integral_constantIbLb1EESX_EEDaSS_ST_EUlSS_E_NS1_11comp_targetILNS1_3genE8ELNS1_11target_archE1030ELNS1_3gpuE2ELNS1_3repE0EEENS1_30default_config_static_selectorELNS0_4arch9wavefront6targetE1EEEvT1_
; %bb.0:
	.section	.rodata,"a",@progbits
	.p2align	6, 0x0
	.amdhsa_kernel _ZN7rocprim17ROCPRIM_400000_NS6detail17trampoline_kernelINS0_14default_configENS1_20scan_config_selectorIxEEZZNS1_9scan_implILNS1_25lookback_scan_determinismE0ELb1ELb1ES3_N6thrust23THRUST_200600_302600_NS6detail15normal_iteratorINS9_10device_ptrIxEEEENS9_16discard_iteratorINS9_11use_defaultEEExNS9_4plusIvEExEEDaPvRmT3_T4_T5_mT6_P12ihipStream_tbENKUlT_T0_E_clISt17integral_constantIbLb1EESX_EEDaSS_ST_EUlSS_E_NS1_11comp_targetILNS1_3genE8ELNS1_11target_archE1030ELNS1_3gpuE2ELNS1_3repE0EEENS1_30default_config_static_selectorELNS0_4arch9wavefront6targetE1EEEvT1_
		.amdhsa_group_segment_fixed_size 0
		.amdhsa_private_segment_fixed_size 0
		.amdhsa_kernarg_size 112
		.amdhsa_user_sgpr_count 6
		.amdhsa_user_sgpr_private_segment_buffer 1
		.amdhsa_user_sgpr_dispatch_ptr 0
		.amdhsa_user_sgpr_queue_ptr 0
		.amdhsa_user_sgpr_kernarg_segment_ptr 1
		.amdhsa_user_sgpr_dispatch_id 0
		.amdhsa_user_sgpr_flat_scratch_init 0
		.amdhsa_user_sgpr_kernarg_preload_length 0
		.amdhsa_user_sgpr_kernarg_preload_offset 0
		.amdhsa_user_sgpr_private_segment_size 0
		.amdhsa_uses_dynamic_stack 0
		.amdhsa_system_sgpr_private_segment_wavefront_offset 0
		.amdhsa_system_sgpr_workgroup_id_x 1
		.amdhsa_system_sgpr_workgroup_id_y 0
		.amdhsa_system_sgpr_workgroup_id_z 0
		.amdhsa_system_sgpr_workgroup_info 0
		.amdhsa_system_vgpr_workitem_id 0
		.amdhsa_next_free_vgpr 1
		.amdhsa_next_free_sgpr 0
		.amdhsa_accum_offset 4
		.amdhsa_reserve_vcc 0
		.amdhsa_reserve_flat_scratch 0
		.amdhsa_float_round_mode_32 0
		.amdhsa_float_round_mode_16_64 0
		.amdhsa_float_denorm_mode_32 3
		.amdhsa_float_denorm_mode_16_64 3
		.amdhsa_dx10_clamp 1
		.amdhsa_ieee_mode 1
		.amdhsa_fp16_overflow 0
		.amdhsa_tg_split 0
		.amdhsa_exception_fp_ieee_invalid_op 0
		.amdhsa_exception_fp_denorm_src 0
		.amdhsa_exception_fp_ieee_div_zero 0
		.amdhsa_exception_fp_ieee_overflow 0
		.amdhsa_exception_fp_ieee_underflow 0
		.amdhsa_exception_fp_ieee_inexact 0
		.amdhsa_exception_int_div_zero 0
	.end_amdhsa_kernel
	.section	.text._ZN7rocprim17ROCPRIM_400000_NS6detail17trampoline_kernelINS0_14default_configENS1_20scan_config_selectorIxEEZZNS1_9scan_implILNS1_25lookback_scan_determinismE0ELb1ELb1ES3_N6thrust23THRUST_200600_302600_NS6detail15normal_iteratorINS9_10device_ptrIxEEEENS9_16discard_iteratorINS9_11use_defaultEEExNS9_4plusIvEExEEDaPvRmT3_T4_T5_mT6_P12ihipStream_tbENKUlT_T0_E_clISt17integral_constantIbLb1EESX_EEDaSS_ST_EUlSS_E_NS1_11comp_targetILNS1_3genE8ELNS1_11target_archE1030ELNS1_3gpuE2ELNS1_3repE0EEENS1_30default_config_static_selectorELNS0_4arch9wavefront6targetE1EEEvT1_,"axG",@progbits,_ZN7rocprim17ROCPRIM_400000_NS6detail17trampoline_kernelINS0_14default_configENS1_20scan_config_selectorIxEEZZNS1_9scan_implILNS1_25lookback_scan_determinismE0ELb1ELb1ES3_N6thrust23THRUST_200600_302600_NS6detail15normal_iteratorINS9_10device_ptrIxEEEENS9_16discard_iteratorINS9_11use_defaultEEExNS9_4plusIvEExEEDaPvRmT3_T4_T5_mT6_P12ihipStream_tbENKUlT_T0_E_clISt17integral_constantIbLb1EESX_EEDaSS_ST_EUlSS_E_NS1_11comp_targetILNS1_3genE8ELNS1_11target_archE1030ELNS1_3gpuE2ELNS1_3repE0EEENS1_30default_config_static_selectorELNS0_4arch9wavefront6targetE1EEEvT1_,comdat
.Lfunc_end5680:
	.size	_ZN7rocprim17ROCPRIM_400000_NS6detail17trampoline_kernelINS0_14default_configENS1_20scan_config_selectorIxEEZZNS1_9scan_implILNS1_25lookback_scan_determinismE0ELb1ELb1ES3_N6thrust23THRUST_200600_302600_NS6detail15normal_iteratorINS9_10device_ptrIxEEEENS9_16discard_iteratorINS9_11use_defaultEEExNS9_4plusIvEExEEDaPvRmT3_T4_T5_mT6_P12ihipStream_tbENKUlT_T0_E_clISt17integral_constantIbLb1EESX_EEDaSS_ST_EUlSS_E_NS1_11comp_targetILNS1_3genE8ELNS1_11target_archE1030ELNS1_3gpuE2ELNS1_3repE0EEENS1_30default_config_static_selectorELNS0_4arch9wavefront6targetE1EEEvT1_, .Lfunc_end5680-_ZN7rocprim17ROCPRIM_400000_NS6detail17trampoline_kernelINS0_14default_configENS1_20scan_config_selectorIxEEZZNS1_9scan_implILNS1_25lookback_scan_determinismE0ELb1ELb1ES3_N6thrust23THRUST_200600_302600_NS6detail15normal_iteratorINS9_10device_ptrIxEEEENS9_16discard_iteratorINS9_11use_defaultEEExNS9_4plusIvEExEEDaPvRmT3_T4_T5_mT6_P12ihipStream_tbENKUlT_T0_E_clISt17integral_constantIbLb1EESX_EEDaSS_ST_EUlSS_E_NS1_11comp_targetILNS1_3genE8ELNS1_11target_archE1030ELNS1_3gpuE2ELNS1_3repE0EEENS1_30default_config_static_selectorELNS0_4arch9wavefront6targetE1EEEvT1_
                                        ; -- End function
	.section	.AMDGPU.csdata,"",@progbits
; Kernel info:
; codeLenInByte = 0
; NumSgprs: 4
; NumVgprs: 0
; NumAgprs: 0
; TotalNumVgprs: 0
; ScratchSize: 0
; MemoryBound: 0
; FloatMode: 240
; IeeeMode: 1
; LDSByteSize: 0 bytes/workgroup (compile time only)
; SGPRBlocks: 0
; VGPRBlocks: 0
; NumSGPRsForWavesPerEU: 4
; NumVGPRsForWavesPerEU: 1
; AccumOffset: 4
; Occupancy: 8
; WaveLimiterHint : 0
; COMPUTE_PGM_RSRC2:SCRATCH_EN: 0
; COMPUTE_PGM_RSRC2:USER_SGPR: 6
; COMPUTE_PGM_RSRC2:TRAP_HANDLER: 0
; COMPUTE_PGM_RSRC2:TGID_X_EN: 1
; COMPUTE_PGM_RSRC2:TGID_Y_EN: 0
; COMPUTE_PGM_RSRC2:TGID_Z_EN: 0
; COMPUTE_PGM_RSRC2:TIDIG_COMP_CNT: 0
; COMPUTE_PGM_RSRC3_GFX90A:ACCUM_OFFSET: 0
; COMPUTE_PGM_RSRC3_GFX90A:TG_SPLIT: 0
	.section	.text._ZN7rocprim17ROCPRIM_400000_NS6detail17trampoline_kernelINS0_14default_configENS1_20scan_config_selectorIxEEZZNS1_9scan_implILNS1_25lookback_scan_determinismE0ELb1ELb1ES3_N6thrust23THRUST_200600_302600_NS6detail15normal_iteratorINS9_10device_ptrIxEEEENS9_16discard_iteratorINS9_11use_defaultEEExNS9_4plusIvEExEEDaPvRmT3_T4_T5_mT6_P12ihipStream_tbENKUlT_T0_E_clISt17integral_constantIbLb1EESX_EEDaSS_ST_EUlSS_E0_NS1_11comp_targetILNS1_3genE0ELNS1_11target_archE4294967295ELNS1_3gpuE0ELNS1_3repE0EEENS1_30default_config_static_selectorELNS0_4arch9wavefront6targetE1EEEvT1_,"axG",@progbits,_ZN7rocprim17ROCPRIM_400000_NS6detail17trampoline_kernelINS0_14default_configENS1_20scan_config_selectorIxEEZZNS1_9scan_implILNS1_25lookback_scan_determinismE0ELb1ELb1ES3_N6thrust23THRUST_200600_302600_NS6detail15normal_iteratorINS9_10device_ptrIxEEEENS9_16discard_iteratorINS9_11use_defaultEEExNS9_4plusIvEExEEDaPvRmT3_T4_T5_mT6_P12ihipStream_tbENKUlT_T0_E_clISt17integral_constantIbLb1EESX_EEDaSS_ST_EUlSS_E0_NS1_11comp_targetILNS1_3genE0ELNS1_11target_archE4294967295ELNS1_3gpuE0ELNS1_3repE0EEENS1_30default_config_static_selectorELNS0_4arch9wavefront6targetE1EEEvT1_,comdat
	.protected	_ZN7rocprim17ROCPRIM_400000_NS6detail17trampoline_kernelINS0_14default_configENS1_20scan_config_selectorIxEEZZNS1_9scan_implILNS1_25lookback_scan_determinismE0ELb1ELb1ES3_N6thrust23THRUST_200600_302600_NS6detail15normal_iteratorINS9_10device_ptrIxEEEENS9_16discard_iteratorINS9_11use_defaultEEExNS9_4plusIvEExEEDaPvRmT3_T4_T5_mT6_P12ihipStream_tbENKUlT_T0_E_clISt17integral_constantIbLb1EESX_EEDaSS_ST_EUlSS_E0_NS1_11comp_targetILNS1_3genE0ELNS1_11target_archE4294967295ELNS1_3gpuE0ELNS1_3repE0EEENS1_30default_config_static_selectorELNS0_4arch9wavefront6targetE1EEEvT1_ ; -- Begin function _ZN7rocprim17ROCPRIM_400000_NS6detail17trampoline_kernelINS0_14default_configENS1_20scan_config_selectorIxEEZZNS1_9scan_implILNS1_25lookback_scan_determinismE0ELb1ELb1ES3_N6thrust23THRUST_200600_302600_NS6detail15normal_iteratorINS9_10device_ptrIxEEEENS9_16discard_iteratorINS9_11use_defaultEEExNS9_4plusIvEExEEDaPvRmT3_T4_T5_mT6_P12ihipStream_tbENKUlT_T0_E_clISt17integral_constantIbLb1EESX_EEDaSS_ST_EUlSS_E0_NS1_11comp_targetILNS1_3genE0ELNS1_11target_archE4294967295ELNS1_3gpuE0ELNS1_3repE0EEENS1_30default_config_static_selectorELNS0_4arch9wavefront6targetE1EEEvT1_
	.globl	_ZN7rocprim17ROCPRIM_400000_NS6detail17trampoline_kernelINS0_14default_configENS1_20scan_config_selectorIxEEZZNS1_9scan_implILNS1_25lookback_scan_determinismE0ELb1ELb1ES3_N6thrust23THRUST_200600_302600_NS6detail15normal_iteratorINS9_10device_ptrIxEEEENS9_16discard_iteratorINS9_11use_defaultEEExNS9_4plusIvEExEEDaPvRmT3_T4_T5_mT6_P12ihipStream_tbENKUlT_T0_E_clISt17integral_constantIbLb1EESX_EEDaSS_ST_EUlSS_E0_NS1_11comp_targetILNS1_3genE0ELNS1_11target_archE4294967295ELNS1_3gpuE0ELNS1_3repE0EEENS1_30default_config_static_selectorELNS0_4arch9wavefront6targetE1EEEvT1_
	.p2align	8
	.type	_ZN7rocprim17ROCPRIM_400000_NS6detail17trampoline_kernelINS0_14default_configENS1_20scan_config_selectorIxEEZZNS1_9scan_implILNS1_25lookback_scan_determinismE0ELb1ELb1ES3_N6thrust23THRUST_200600_302600_NS6detail15normal_iteratorINS9_10device_ptrIxEEEENS9_16discard_iteratorINS9_11use_defaultEEExNS9_4plusIvEExEEDaPvRmT3_T4_T5_mT6_P12ihipStream_tbENKUlT_T0_E_clISt17integral_constantIbLb1EESX_EEDaSS_ST_EUlSS_E0_NS1_11comp_targetILNS1_3genE0ELNS1_11target_archE4294967295ELNS1_3gpuE0ELNS1_3repE0EEENS1_30default_config_static_selectorELNS0_4arch9wavefront6targetE1EEEvT1_,@function
_ZN7rocprim17ROCPRIM_400000_NS6detail17trampoline_kernelINS0_14default_configENS1_20scan_config_selectorIxEEZZNS1_9scan_implILNS1_25lookback_scan_determinismE0ELb1ELb1ES3_N6thrust23THRUST_200600_302600_NS6detail15normal_iteratorINS9_10device_ptrIxEEEENS9_16discard_iteratorINS9_11use_defaultEEExNS9_4plusIvEExEEDaPvRmT3_T4_T5_mT6_P12ihipStream_tbENKUlT_T0_E_clISt17integral_constantIbLb1EESX_EEDaSS_ST_EUlSS_E0_NS1_11comp_targetILNS1_3genE0ELNS1_11target_archE4294967295ELNS1_3gpuE0ELNS1_3repE0EEENS1_30default_config_static_selectorELNS0_4arch9wavefront6targetE1EEEvT1_: ; @_ZN7rocprim17ROCPRIM_400000_NS6detail17trampoline_kernelINS0_14default_configENS1_20scan_config_selectorIxEEZZNS1_9scan_implILNS1_25lookback_scan_determinismE0ELb1ELb1ES3_N6thrust23THRUST_200600_302600_NS6detail15normal_iteratorINS9_10device_ptrIxEEEENS9_16discard_iteratorINS9_11use_defaultEEExNS9_4plusIvEExEEDaPvRmT3_T4_T5_mT6_P12ihipStream_tbENKUlT_T0_E_clISt17integral_constantIbLb1EESX_EEDaSS_ST_EUlSS_E0_NS1_11comp_targetILNS1_3genE0ELNS1_11target_archE4294967295ELNS1_3gpuE0ELNS1_3repE0EEENS1_30default_config_static_selectorELNS0_4arch9wavefront6targetE1EEEvT1_
; %bb.0:
	.section	.rodata,"a",@progbits
	.p2align	6, 0x0
	.amdhsa_kernel _ZN7rocprim17ROCPRIM_400000_NS6detail17trampoline_kernelINS0_14default_configENS1_20scan_config_selectorIxEEZZNS1_9scan_implILNS1_25lookback_scan_determinismE0ELb1ELb1ES3_N6thrust23THRUST_200600_302600_NS6detail15normal_iteratorINS9_10device_ptrIxEEEENS9_16discard_iteratorINS9_11use_defaultEEExNS9_4plusIvEExEEDaPvRmT3_T4_T5_mT6_P12ihipStream_tbENKUlT_T0_E_clISt17integral_constantIbLb1EESX_EEDaSS_ST_EUlSS_E0_NS1_11comp_targetILNS1_3genE0ELNS1_11target_archE4294967295ELNS1_3gpuE0ELNS1_3repE0EEENS1_30default_config_static_selectorELNS0_4arch9wavefront6targetE1EEEvT1_
		.amdhsa_group_segment_fixed_size 0
		.amdhsa_private_segment_fixed_size 0
		.amdhsa_kernarg_size 48
		.amdhsa_user_sgpr_count 6
		.amdhsa_user_sgpr_private_segment_buffer 1
		.amdhsa_user_sgpr_dispatch_ptr 0
		.amdhsa_user_sgpr_queue_ptr 0
		.amdhsa_user_sgpr_kernarg_segment_ptr 1
		.amdhsa_user_sgpr_dispatch_id 0
		.amdhsa_user_sgpr_flat_scratch_init 0
		.amdhsa_user_sgpr_kernarg_preload_length 0
		.amdhsa_user_sgpr_kernarg_preload_offset 0
		.amdhsa_user_sgpr_private_segment_size 0
		.amdhsa_uses_dynamic_stack 0
		.amdhsa_system_sgpr_private_segment_wavefront_offset 0
		.amdhsa_system_sgpr_workgroup_id_x 1
		.amdhsa_system_sgpr_workgroup_id_y 0
		.amdhsa_system_sgpr_workgroup_id_z 0
		.amdhsa_system_sgpr_workgroup_info 0
		.amdhsa_system_vgpr_workitem_id 0
		.amdhsa_next_free_vgpr 1
		.amdhsa_next_free_sgpr 0
		.amdhsa_accum_offset 4
		.amdhsa_reserve_vcc 0
		.amdhsa_reserve_flat_scratch 0
		.amdhsa_float_round_mode_32 0
		.amdhsa_float_round_mode_16_64 0
		.amdhsa_float_denorm_mode_32 3
		.amdhsa_float_denorm_mode_16_64 3
		.amdhsa_dx10_clamp 1
		.amdhsa_ieee_mode 1
		.amdhsa_fp16_overflow 0
		.amdhsa_tg_split 0
		.amdhsa_exception_fp_ieee_invalid_op 0
		.amdhsa_exception_fp_denorm_src 0
		.amdhsa_exception_fp_ieee_div_zero 0
		.amdhsa_exception_fp_ieee_overflow 0
		.amdhsa_exception_fp_ieee_underflow 0
		.amdhsa_exception_fp_ieee_inexact 0
		.amdhsa_exception_int_div_zero 0
	.end_amdhsa_kernel
	.section	.text._ZN7rocprim17ROCPRIM_400000_NS6detail17trampoline_kernelINS0_14default_configENS1_20scan_config_selectorIxEEZZNS1_9scan_implILNS1_25lookback_scan_determinismE0ELb1ELb1ES3_N6thrust23THRUST_200600_302600_NS6detail15normal_iteratorINS9_10device_ptrIxEEEENS9_16discard_iteratorINS9_11use_defaultEEExNS9_4plusIvEExEEDaPvRmT3_T4_T5_mT6_P12ihipStream_tbENKUlT_T0_E_clISt17integral_constantIbLb1EESX_EEDaSS_ST_EUlSS_E0_NS1_11comp_targetILNS1_3genE0ELNS1_11target_archE4294967295ELNS1_3gpuE0ELNS1_3repE0EEENS1_30default_config_static_selectorELNS0_4arch9wavefront6targetE1EEEvT1_,"axG",@progbits,_ZN7rocprim17ROCPRIM_400000_NS6detail17trampoline_kernelINS0_14default_configENS1_20scan_config_selectorIxEEZZNS1_9scan_implILNS1_25lookback_scan_determinismE0ELb1ELb1ES3_N6thrust23THRUST_200600_302600_NS6detail15normal_iteratorINS9_10device_ptrIxEEEENS9_16discard_iteratorINS9_11use_defaultEEExNS9_4plusIvEExEEDaPvRmT3_T4_T5_mT6_P12ihipStream_tbENKUlT_T0_E_clISt17integral_constantIbLb1EESX_EEDaSS_ST_EUlSS_E0_NS1_11comp_targetILNS1_3genE0ELNS1_11target_archE4294967295ELNS1_3gpuE0ELNS1_3repE0EEENS1_30default_config_static_selectorELNS0_4arch9wavefront6targetE1EEEvT1_,comdat
.Lfunc_end5681:
	.size	_ZN7rocprim17ROCPRIM_400000_NS6detail17trampoline_kernelINS0_14default_configENS1_20scan_config_selectorIxEEZZNS1_9scan_implILNS1_25lookback_scan_determinismE0ELb1ELb1ES3_N6thrust23THRUST_200600_302600_NS6detail15normal_iteratorINS9_10device_ptrIxEEEENS9_16discard_iteratorINS9_11use_defaultEEExNS9_4plusIvEExEEDaPvRmT3_T4_T5_mT6_P12ihipStream_tbENKUlT_T0_E_clISt17integral_constantIbLb1EESX_EEDaSS_ST_EUlSS_E0_NS1_11comp_targetILNS1_3genE0ELNS1_11target_archE4294967295ELNS1_3gpuE0ELNS1_3repE0EEENS1_30default_config_static_selectorELNS0_4arch9wavefront6targetE1EEEvT1_, .Lfunc_end5681-_ZN7rocprim17ROCPRIM_400000_NS6detail17trampoline_kernelINS0_14default_configENS1_20scan_config_selectorIxEEZZNS1_9scan_implILNS1_25lookback_scan_determinismE0ELb1ELb1ES3_N6thrust23THRUST_200600_302600_NS6detail15normal_iteratorINS9_10device_ptrIxEEEENS9_16discard_iteratorINS9_11use_defaultEEExNS9_4plusIvEExEEDaPvRmT3_T4_T5_mT6_P12ihipStream_tbENKUlT_T0_E_clISt17integral_constantIbLb1EESX_EEDaSS_ST_EUlSS_E0_NS1_11comp_targetILNS1_3genE0ELNS1_11target_archE4294967295ELNS1_3gpuE0ELNS1_3repE0EEENS1_30default_config_static_selectorELNS0_4arch9wavefront6targetE1EEEvT1_
                                        ; -- End function
	.section	.AMDGPU.csdata,"",@progbits
; Kernel info:
; codeLenInByte = 0
; NumSgprs: 4
; NumVgprs: 0
; NumAgprs: 0
; TotalNumVgprs: 0
; ScratchSize: 0
; MemoryBound: 0
; FloatMode: 240
; IeeeMode: 1
; LDSByteSize: 0 bytes/workgroup (compile time only)
; SGPRBlocks: 0
; VGPRBlocks: 0
; NumSGPRsForWavesPerEU: 4
; NumVGPRsForWavesPerEU: 1
; AccumOffset: 4
; Occupancy: 8
; WaveLimiterHint : 0
; COMPUTE_PGM_RSRC2:SCRATCH_EN: 0
; COMPUTE_PGM_RSRC2:USER_SGPR: 6
; COMPUTE_PGM_RSRC2:TRAP_HANDLER: 0
; COMPUTE_PGM_RSRC2:TGID_X_EN: 1
; COMPUTE_PGM_RSRC2:TGID_Y_EN: 0
; COMPUTE_PGM_RSRC2:TGID_Z_EN: 0
; COMPUTE_PGM_RSRC2:TIDIG_COMP_CNT: 0
; COMPUTE_PGM_RSRC3_GFX90A:ACCUM_OFFSET: 0
; COMPUTE_PGM_RSRC3_GFX90A:TG_SPLIT: 0
	.section	.text._ZN7rocprim17ROCPRIM_400000_NS6detail17trampoline_kernelINS0_14default_configENS1_20scan_config_selectorIxEEZZNS1_9scan_implILNS1_25lookback_scan_determinismE0ELb1ELb1ES3_N6thrust23THRUST_200600_302600_NS6detail15normal_iteratorINS9_10device_ptrIxEEEENS9_16discard_iteratorINS9_11use_defaultEEExNS9_4plusIvEExEEDaPvRmT3_T4_T5_mT6_P12ihipStream_tbENKUlT_T0_E_clISt17integral_constantIbLb1EESX_EEDaSS_ST_EUlSS_E0_NS1_11comp_targetILNS1_3genE5ELNS1_11target_archE942ELNS1_3gpuE9ELNS1_3repE0EEENS1_30default_config_static_selectorELNS0_4arch9wavefront6targetE1EEEvT1_,"axG",@progbits,_ZN7rocprim17ROCPRIM_400000_NS6detail17trampoline_kernelINS0_14default_configENS1_20scan_config_selectorIxEEZZNS1_9scan_implILNS1_25lookback_scan_determinismE0ELb1ELb1ES3_N6thrust23THRUST_200600_302600_NS6detail15normal_iteratorINS9_10device_ptrIxEEEENS9_16discard_iteratorINS9_11use_defaultEEExNS9_4plusIvEExEEDaPvRmT3_T4_T5_mT6_P12ihipStream_tbENKUlT_T0_E_clISt17integral_constantIbLb1EESX_EEDaSS_ST_EUlSS_E0_NS1_11comp_targetILNS1_3genE5ELNS1_11target_archE942ELNS1_3gpuE9ELNS1_3repE0EEENS1_30default_config_static_selectorELNS0_4arch9wavefront6targetE1EEEvT1_,comdat
	.protected	_ZN7rocprim17ROCPRIM_400000_NS6detail17trampoline_kernelINS0_14default_configENS1_20scan_config_selectorIxEEZZNS1_9scan_implILNS1_25lookback_scan_determinismE0ELb1ELb1ES3_N6thrust23THRUST_200600_302600_NS6detail15normal_iteratorINS9_10device_ptrIxEEEENS9_16discard_iteratorINS9_11use_defaultEEExNS9_4plusIvEExEEDaPvRmT3_T4_T5_mT6_P12ihipStream_tbENKUlT_T0_E_clISt17integral_constantIbLb1EESX_EEDaSS_ST_EUlSS_E0_NS1_11comp_targetILNS1_3genE5ELNS1_11target_archE942ELNS1_3gpuE9ELNS1_3repE0EEENS1_30default_config_static_selectorELNS0_4arch9wavefront6targetE1EEEvT1_ ; -- Begin function _ZN7rocprim17ROCPRIM_400000_NS6detail17trampoline_kernelINS0_14default_configENS1_20scan_config_selectorIxEEZZNS1_9scan_implILNS1_25lookback_scan_determinismE0ELb1ELb1ES3_N6thrust23THRUST_200600_302600_NS6detail15normal_iteratorINS9_10device_ptrIxEEEENS9_16discard_iteratorINS9_11use_defaultEEExNS9_4plusIvEExEEDaPvRmT3_T4_T5_mT6_P12ihipStream_tbENKUlT_T0_E_clISt17integral_constantIbLb1EESX_EEDaSS_ST_EUlSS_E0_NS1_11comp_targetILNS1_3genE5ELNS1_11target_archE942ELNS1_3gpuE9ELNS1_3repE0EEENS1_30default_config_static_selectorELNS0_4arch9wavefront6targetE1EEEvT1_
	.globl	_ZN7rocprim17ROCPRIM_400000_NS6detail17trampoline_kernelINS0_14default_configENS1_20scan_config_selectorIxEEZZNS1_9scan_implILNS1_25lookback_scan_determinismE0ELb1ELb1ES3_N6thrust23THRUST_200600_302600_NS6detail15normal_iteratorINS9_10device_ptrIxEEEENS9_16discard_iteratorINS9_11use_defaultEEExNS9_4plusIvEExEEDaPvRmT3_T4_T5_mT6_P12ihipStream_tbENKUlT_T0_E_clISt17integral_constantIbLb1EESX_EEDaSS_ST_EUlSS_E0_NS1_11comp_targetILNS1_3genE5ELNS1_11target_archE942ELNS1_3gpuE9ELNS1_3repE0EEENS1_30default_config_static_selectorELNS0_4arch9wavefront6targetE1EEEvT1_
	.p2align	8
	.type	_ZN7rocprim17ROCPRIM_400000_NS6detail17trampoline_kernelINS0_14default_configENS1_20scan_config_selectorIxEEZZNS1_9scan_implILNS1_25lookback_scan_determinismE0ELb1ELb1ES3_N6thrust23THRUST_200600_302600_NS6detail15normal_iteratorINS9_10device_ptrIxEEEENS9_16discard_iteratorINS9_11use_defaultEEExNS9_4plusIvEExEEDaPvRmT3_T4_T5_mT6_P12ihipStream_tbENKUlT_T0_E_clISt17integral_constantIbLb1EESX_EEDaSS_ST_EUlSS_E0_NS1_11comp_targetILNS1_3genE5ELNS1_11target_archE942ELNS1_3gpuE9ELNS1_3repE0EEENS1_30default_config_static_selectorELNS0_4arch9wavefront6targetE1EEEvT1_,@function
_ZN7rocprim17ROCPRIM_400000_NS6detail17trampoline_kernelINS0_14default_configENS1_20scan_config_selectorIxEEZZNS1_9scan_implILNS1_25lookback_scan_determinismE0ELb1ELb1ES3_N6thrust23THRUST_200600_302600_NS6detail15normal_iteratorINS9_10device_ptrIxEEEENS9_16discard_iteratorINS9_11use_defaultEEExNS9_4plusIvEExEEDaPvRmT3_T4_T5_mT6_P12ihipStream_tbENKUlT_T0_E_clISt17integral_constantIbLb1EESX_EEDaSS_ST_EUlSS_E0_NS1_11comp_targetILNS1_3genE5ELNS1_11target_archE942ELNS1_3gpuE9ELNS1_3repE0EEENS1_30default_config_static_selectorELNS0_4arch9wavefront6targetE1EEEvT1_: ; @_ZN7rocprim17ROCPRIM_400000_NS6detail17trampoline_kernelINS0_14default_configENS1_20scan_config_selectorIxEEZZNS1_9scan_implILNS1_25lookback_scan_determinismE0ELb1ELb1ES3_N6thrust23THRUST_200600_302600_NS6detail15normal_iteratorINS9_10device_ptrIxEEEENS9_16discard_iteratorINS9_11use_defaultEEExNS9_4plusIvEExEEDaPvRmT3_T4_T5_mT6_P12ihipStream_tbENKUlT_T0_E_clISt17integral_constantIbLb1EESX_EEDaSS_ST_EUlSS_E0_NS1_11comp_targetILNS1_3genE5ELNS1_11target_archE942ELNS1_3gpuE9ELNS1_3repE0EEENS1_30default_config_static_selectorELNS0_4arch9wavefront6targetE1EEEvT1_
; %bb.0:
	.section	.rodata,"a",@progbits
	.p2align	6, 0x0
	.amdhsa_kernel _ZN7rocprim17ROCPRIM_400000_NS6detail17trampoline_kernelINS0_14default_configENS1_20scan_config_selectorIxEEZZNS1_9scan_implILNS1_25lookback_scan_determinismE0ELb1ELb1ES3_N6thrust23THRUST_200600_302600_NS6detail15normal_iteratorINS9_10device_ptrIxEEEENS9_16discard_iteratorINS9_11use_defaultEEExNS9_4plusIvEExEEDaPvRmT3_T4_T5_mT6_P12ihipStream_tbENKUlT_T0_E_clISt17integral_constantIbLb1EESX_EEDaSS_ST_EUlSS_E0_NS1_11comp_targetILNS1_3genE5ELNS1_11target_archE942ELNS1_3gpuE9ELNS1_3repE0EEENS1_30default_config_static_selectorELNS0_4arch9wavefront6targetE1EEEvT1_
		.amdhsa_group_segment_fixed_size 0
		.amdhsa_private_segment_fixed_size 0
		.amdhsa_kernarg_size 48
		.amdhsa_user_sgpr_count 6
		.amdhsa_user_sgpr_private_segment_buffer 1
		.amdhsa_user_sgpr_dispatch_ptr 0
		.amdhsa_user_sgpr_queue_ptr 0
		.amdhsa_user_sgpr_kernarg_segment_ptr 1
		.amdhsa_user_sgpr_dispatch_id 0
		.amdhsa_user_sgpr_flat_scratch_init 0
		.amdhsa_user_sgpr_kernarg_preload_length 0
		.amdhsa_user_sgpr_kernarg_preload_offset 0
		.amdhsa_user_sgpr_private_segment_size 0
		.amdhsa_uses_dynamic_stack 0
		.amdhsa_system_sgpr_private_segment_wavefront_offset 0
		.amdhsa_system_sgpr_workgroup_id_x 1
		.amdhsa_system_sgpr_workgroup_id_y 0
		.amdhsa_system_sgpr_workgroup_id_z 0
		.amdhsa_system_sgpr_workgroup_info 0
		.amdhsa_system_vgpr_workitem_id 0
		.amdhsa_next_free_vgpr 1
		.amdhsa_next_free_sgpr 0
		.amdhsa_accum_offset 4
		.amdhsa_reserve_vcc 0
		.amdhsa_reserve_flat_scratch 0
		.amdhsa_float_round_mode_32 0
		.amdhsa_float_round_mode_16_64 0
		.amdhsa_float_denorm_mode_32 3
		.amdhsa_float_denorm_mode_16_64 3
		.amdhsa_dx10_clamp 1
		.amdhsa_ieee_mode 1
		.amdhsa_fp16_overflow 0
		.amdhsa_tg_split 0
		.amdhsa_exception_fp_ieee_invalid_op 0
		.amdhsa_exception_fp_denorm_src 0
		.amdhsa_exception_fp_ieee_div_zero 0
		.amdhsa_exception_fp_ieee_overflow 0
		.amdhsa_exception_fp_ieee_underflow 0
		.amdhsa_exception_fp_ieee_inexact 0
		.amdhsa_exception_int_div_zero 0
	.end_amdhsa_kernel
	.section	.text._ZN7rocprim17ROCPRIM_400000_NS6detail17trampoline_kernelINS0_14default_configENS1_20scan_config_selectorIxEEZZNS1_9scan_implILNS1_25lookback_scan_determinismE0ELb1ELb1ES3_N6thrust23THRUST_200600_302600_NS6detail15normal_iteratorINS9_10device_ptrIxEEEENS9_16discard_iteratorINS9_11use_defaultEEExNS9_4plusIvEExEEDaPvRmT3_T4_T5_mT6_P12ihipStream_tbENKUlT_T0_E_clISt17integral_constantIbLb1EESX_EEDaSS_ST_EUlSS_E0_NS1_11comp_targetILNS1_3genE5ELNS1_11target_archE942ELNS1_3gpuE9ELNS1_3repE0EEENS1_30default_config_static_selectorELNS0_4arch9wavefront6targetE1EEEvT1_,"axG",@progbits,_ZN7rocprim17ROCPRIM_400000_NS6detail17trampoline_kernelINS0_14default_configENS1_20scan_config_selectorIxEEZZNS1_9scan_implILNS1_25lookback_scan_determinismE0ELb1ELb1ES3_N6thrust23THRUST_200600_302600_NS6detail15normal_iteratorINS9_10device_ptrIxEEEENS9_16discard_iteratorINS9_11use_defaultEEExNS9_4plusIvEExEEDaPvRmT3_T4_T5_mT6_P12ihipStream_tbENKUlT_T0_E_clISt17integral_constantIbLb1EESX_EEDaSS_ST_EUlSS_E0_NS1_11comp_targetILNS1_3genE5ELNS1_11target_archE942ELNS1_3gpuE9ELNS1_3repE0EEENS1_30default_config_static_selectorELNS0_4arch9wavefront6targetE1EEEvT1_,comdat
.Lfunc_end5682:
	.size	_ZN7rocprim17ROCPRIM_400000_NS6detail17trampoline_kernelINS0_14default_configENS1_20scan_config_selectorIxEEZZNS1_9scan_implILNS1_25lookback_scan_determinismE0ELb1ELb1ES3_N6thrust23THRUST_200600_302600_NS6detail15normal_iteratorINS9_10device_ptrIxEEEENS9_16discard_iteratorINS9_11use_defaultEEExNS9_4plusIvEExEEDaPvRmT3_T4_T5_mT6_P12ihipStream_tbENKUlT_T0_E_clISt17integral_constantIbLb1EESX_EEDaSS_ST_EUlSS_E0_NS1_11comp_targetILNS1_3genE5ELNS1_11target_archE942ELNS1_3gpuE9ELNS1_3repE0EEENS1_30default_config_static_selectorELNS0_4arch9wavefront6targetE1EEEvT1_, .Lfunc_end5682-_ZN7rocprim17ROCPRIM_400000_NS6detail17trampoline_kernelINS0_14default_configENS1_20scan_config_selectorIxEEZZNS1_9scan_implILNS1_25lookback_scan_determinismE0ELb1ELb1ES3_N6thrust23THRUST_200600_302600_NS6detail15normal_iteratorINS9_10device_ptrIxEEEENS9_16discard_iteratorINS9_11use_defaultEEExNS9_4plusIvEExEEDaPvRmT3_T4_T5_mT6_P12ihipStream_tbENKUlT_T0_E_clISt17integral_constantIbLb1EESX_EEDaSS_ST_EUlSS_E0_NS1_11comp_targetILNS1_3genE5ELNS1_11target_archE942ELNS1_3gpuE9ELNS1_3repE0EEENS1_30default_config_static_selectorELNS0_4arch9wavefront6targetE1EEEvT1_
                                        ; -- End function
	.section	.AMDGPU.csdata,"",@progbits
; Kernel info:
; codeLenInByte = 0
; NumSgprs: 4
; NumVgprs: 0
; NumAgprs: 0
; TotalNumVgprs: 0
; ScratchSize: 0
; MemoryBound: 0
; FloatMode: 240
; IeeeMode: 1
; LDSByteSize: 0 bytes/workgroup (compile time only)
; SGPRBlocks: 0
; VGPRBlocks: 0
; NumSGPRsForWavesPerEU: 4
; NumVGPRsForWavesPerEU: 1
; AccumOffset: 4
; Occupancy: 8
; WaveLimiterHint : 0
; COMPUTE_PGM_RSRC2:SCRATCH_EN: 0
; COMPUTE_PGM_RSRC2:USER_SGPR: 6
; COMPUTE_PGM_RSRC2:TRAP_HANDLER: 0
; COMPUTE_PGM_RSRC2:TGID_X_EN: 1
; COMPUTE_PGM_RSRC2:TGID_Y_EN: 0
; COMPUTE_PGM_RSRC2:TGID_Z_EN: 0
; COMPUTE_PGM_RSRC2:TIDIG_COMP_CNT: 0
; COMPUTE_PGM_RSRC3_GFX90A:ACCUM_OFFSET: 0
; COMPUTE_PGM_RSRC3_GFX90A:TG_SPLIT: 0
	.section	.text._ZN7rocprim17ROCPRIM_400000_NS6detail17trampoline_kernelINS0_14default_configENS1_20scan_config_selectorIxEEZZNS1_9scan_implILNS1_25lookback_scan_determinismE0ELb1ELb1ES3_N6thrust23THRUST_200600_302600_NS6detail15normal_iteratorINS9_10device_ptrIxEEEENS9_16discard_iteratorINS9_11use_defaultEEExNS9_4plusIvEExEEDaPvRmT3_T4_T5_mT6_P12ihipStream_tbENKUlT_T0_E_clISt17integral_constantIbLb1EESX_EEDaSS_ST_EUlSS_E0_NS1_11comp_targetILNS1_3genE4ELNS1_11target_archE910ELNS1_3gpuE8ELNS1_3repE0EEENS1_30default_config_static_selectorELNS0_4arch9wavefront6targetE1EEEvT1_,"axG",@progbits,_ZN7rocprim17ROCPRIM_400000_NS6detail17trampoline_kernelINS0_14default_configENS1_20scan_config_selectorIxEEZZNS1_9scan_implILNS1_25lookback_scan_determinismE0ELb1ELb1ES3_N6thrust23THRUST_200600_302600_NS6detail15normal_iteratorINS9_10device_ptrIxEEEENS9_16discard_iteratorINS9_11use_defaultEEExNS9_4plusIvEExEEDaPvRmT3_T4_T5_mT6_P12ihipStream_tbENKUlT_T0_E_clISt17integral_constantIbLb1EESX_EEDaSS_ST_EUlSS_E0_NS1_11comp_targetILNS1_3genE4ELNS1_11target_archE910ELNS1_3gpuE8ELNS1_3repE0EEENS1_30default_config_static_selectorELNS0_4arch9wavefront6targetE1EEEvT1_,comdat
	.protected	_ZN7rocprim17ROCPRIM_400000_NS6detail17trampoline_kernelINS0_14default_configENS1_20scan_config_selectorIxEEZZNS1_9scan_implILNS1_25lookback_scan_determinismE0ELb1ELb1ES3_N6thrust23THRUST_200600_302600_NS6detail15normal_iteratorINS9_10device_ptrIxEEEENS9_16discard_iteratorINS9_11use_defaultEEExNS9_4plusIvEExEEDaPvRmT3_T4_T5_mT6_P12ihipStream_tbENKUlT_T0_E_clISt17integral_constantIbLb1EESX_EEDaSS_ST_EUlSS_E0_NS1_11comp_targetILNS1_3genE4ELNS1_11target_archE910ELNS1_3gpuE8ELNS1_3repE0EEENS1_30default_config_static_selectorELNS0_4arch9wavefront6targetE1EEEvT1_ ; -- Begin function _ZN7rocprim17ROCPRIM_400000_NS6detail17trampoline_kernelINS0_14default_configENS1_20scan_config_selectorIxEEZZNS1_9scan_implILNS1_25lookback_scan_determinismE0ELb1ELb1ES3_N6thrust23THRUST_200600_302600_NS6detail15normal_iteratorINS9_10device_ptrIxEEEENS9_16discard_iteratorINS9_11use_defaultEEExNS9_4plusIvEExEEDaPvRmT3_T4_T5_mT6_P12ihipStream_tbENKUlT_T0_E_clISt17integral_constantIbLb1EESX_EEDaSS_ST_EUlSS_E0_NS1_11comp_targetILNS1_3genE4ELNS1_11target_archE910ELNS1_3gpuE8ELNS1_3repE0EEENS1_30default_config_static_selectorELNS0_4arch9wavefront6targetE1EEEvT1_
	.globl	_ZN7rocprim17ROCPRIM_400000_NS6detail17trampoline_kernelINS0_14default_configENS1_20scan_config_selectorIxEEZZNS1_9scan_implILNS1_25lookback_scan_determinismE0ELb1ELb1ES3_N6thrust23THRUST_200600_302600_NS6detail15normal_iteratorINS9_10device_ptrIxEEEENS9_16discard_iteratorINS9_11use_defaultEEExNS9_4plusIvEExEEDaPvRmT3_T4_T5_mT6_P12ihipStream_tbENKUlT_T0_E_clISt17integral_constantIbLb1EESX_EEDaSS_ST_EUlSS_E0_NS1_11comp_targetILNS1_3genE4ELNS1_11target_archE910ELNS1_3gpuE8ELNS1_3repE0EEENS1_30default_config_static_selectorELNS0_4arch9wavefront6targetE1EEEvT1_
	.p2align	8
	.type	_ZN7rocprim17ROCPRIM_400000_NS6detail17trampoline_kernelINS0_14default_configENS1_20scan_config_selectorIxEEZZNS1_9scan_implILNS1_25lookback_scan_determinismE0ELb1ELb1ES3_N6thrust23THRUST_200600_302600_NS6detail15normal_iteratorINS9_10device_ptrIxEEEENS9_16discard_iteratorINS9_11use_defaultEEExNS9_4plusIvEExEEDaPvRmT3_T4_T5_mT6_P12ihipStream_tbENKUlT_T0_E_clISt17integral_constantIbLb1EESX_EEDaSS_ST_EUlSS_E0_NS1_11comp_targetILNS1_3genE4ELNS1_11target_archE910ELNS1_3gpuE8ELNS1_3repE0EEENS1_30default_config_static_selectorELNS0_4arch9wavefront6targetE1EEEvT1_,@function
_ZN7rocprim17ROCPRIM_400000_NS6detail17trampoline_kernelINS0_14default_configENS1_20scan_config_selectorIxEEZZNS1_9scan_implILNS1_25lookback_scan_determinismE0ELb1ELb1ES3_N6thrust23THRUST_200600_302600_NS6detail15normal_iteratorINS9_10device_ptrIxEEEENS9_16discard_iteratorINS9_11use_defaultEEExNS9_4plusIvEExEEDaPvRmT3_T4_T5_mT6_P12ihipStream_tbENKUlT_T0_E_clISt17integral_constantIbLb1EESX_EEDaSS_ST_EUlSS_E0_NS1_11comp_targetILNS1_3genE4ELNS1_11target_archE910ELNS1_3gpuE8ELNS1_3repE0EEENS1_30default_config_static_selectorELNS0_4arch9wavefront6targetE1EEEvT1_: ; @_ZN7rocprim17ROCPRIM_400000_NS6detail17trampoline_kernelINS0_14default_configENS1_20scan_config_selectorIxEEZZNS1_9scan_implILNS1_25lookback_scan_determinismE0ELb1ELb1ES3_N6thrust23THRUST_200600_302600_NS6detail15normal_iteratorINS9_10device_ptrIxEEEENS9_16discard_iteratorINS9_11use_defaultEEExNS9_4plusIvEExEEDaPvRmT3_T4_T5_mT6_P12ihipStream_tbENKUlT_T0_E_clISt17integral_constantIbLb1EESX_EEDaSS_ST_EUlSS_E0_NS1_11comp_targetILNS1_3genE4ELNS1_11target_archE910ELNS1_3gpuE8ELNS1_3repE0EEENS1_30default_config_static_selectorELNS0_4arch9wavefront6targetE1EEEvT1_
; %bb.0:
	s_load_dwordx4 s[0:3], s[4:5], 0x0
	v_lshlrev_b32_e32 v20, 3, v0
	s_waitcnt lgkmcnt(0)
	s_load_dwordx2 s[6:7], s[0:1], 0x0
	v_cmp_gt_u32_e32 vcc, s2, v0
	s_waitcnt lgkmcnt(0)
	v_pk_mov_b32 v[2:3], s[6:7], s[6:7] op_sel:[0,1]
	s_and_saveexec_b64 s[8:9], vcc
	s_cbranch_execz .LBB5683_2
; %bb.1:
	global_load_dwordx2 v[2:3], v20, s[0:1]
.LBB5683_2:
	s_or_b64 exec, exec, s[8:9]
	v_or_b32_e32 v1, 0x80, v0
	v_cmp_gt_u32_e32 vcc, s2, v1
	v_pk_mov_b32 v[4:5], s[6:7], s[6:7] op_sel:[0,1]
	s_and_saveexec_b64 s[8:9], vcc
	s_cbranch_execz .LBB5683_4
; %bb.3:
	global_load_dwordx2 v[4:5], v20, s[0:1] offset:1024
.LBB5683_4:
	s_or_b64 exec, exec, s[8:9]
	v_or_b32_e32 v1, 0x100, v0
	v_cmp_gt_u32_e32 vcc, s2, v1
	v_pk_mov_b32 v[6:7], s[6:7], s[6:7] op_sel:[0,1]
	s_and_saveexec_b64 s[8:9], vcc
	s_cbranch_execz .LBB5683_6
; %bb.5:
	global_load_dwordx2 v[6:7], v20, s[0:1] offset:2048
.LBB5683_6:
	;; [unrolled: 9-line block ×3, first 2 shown]
	s_or_b64 exec, exec, s[8:9]
	v_or_b32_e32 v1, 0x200, v0
	v_cmp_gt_u32_e32 vcc, s2, v1
	v_pk_mov_b32 v[10:11], s[6:7], s[6:7] op_sel:[0,1]
	s_and_saveexec_b64 s[8:9], vcc
	s_cbranch_execz .LBB5683_10
; %bb.9:
	v_lshlrev_b32_e32 v1, 3, v1
	global_load_dwordx2 v[10:11], v1, s[0:1]
.LBB5683_10:
	s_or_b64 exec, exec, s[8:9]
	v_or_b32_e32 v1, 0x280, v0
	v_cmp_gt_u32_e32 vcc, s2, v1
	v_pk_mov_b32 v[12:13], s[6:7], s[6:7] op_sel:[0,1]
	s_and_saveexec_b64 s[8:9], vcc
	s_cbranch_execz .LBB5683_12
; %bb.11:
	v_lshlrev_b32_e32 v1, 3, v1
	global_load_dwordx2 v[12:13], v1, s[0:1]
.LBB5683_12:
	s_or_b64 exec, exec, s[8:9]
	s_load_dwordx2 s[4:5], s[4:5], 0x10
	v_or_b32_e32 v1, 0x300, v0
	v_cmp_gt_u32_e32 vcc, s2, v1
	v_pk_mov_b32 v[14:15], s[6:7], s[6:7] op_sel:[0,1]
	s_and_saveexec_b64 s[2:3], vcc
	s_cbranch_execz .LBB5683_14
; %bb.13:
	v_lshlrev_b32_e32 v1, 3, v1
	global_load_dwordx2 v[14:15], v1, s[0:1]
.LBB5683_14:
	s_or_b64 exec, exec, s[2:3]
	v_mad_u32_u24 v1, v0, 48, v20
	s_waitcnt vmcnt(0)
	ds_write2st64_b64 v20, v[2:3], v[4:5] offset1:2
	ds_write2st64_b64 v20, v[6:7], v[8:9] offset0:4 offset1:6
	ds_write2st64_b64 v20, v[10:11], v[12:13] offset0:8 offset1:10
	ds_write_b64 v20, v[14:15] offset:6144
	s_waitcnt lgkmcnt(0)
	s_barrier
	ds_read2_b64 v[2:5], v1 offset1:1
	ds_read2_b64 v[6:9], v1 offset0:2 offset1:3
	ds_read2_b64 v[10:13], v1 offset0:4 offset1:5
	ds_read_b64 v[14:15], v1 offset:48
	s_waitcnt lgkmcnt(0)
	v_add_co_u32_e32 v1, vcc, v4, v2
	v_addc_co_u32_e32 v16, vcc, v5, v3, vcc
	v_add_co_u32_e32 v1, vcc, v1, v6
	v_addc_co_u32_e32 v16, vcc, v16, v7, vcc
	;; [unrolled: 2-line block ×5, first 2 shown]
	v_add_co_u32_e32 v18, vcc, v1, v14
	v_lshrrev_b32_e32 v1, 2, v0
	v_addc_co_u32_e32 v19, vcc, v16, v15, vcc
	v_and_b32_e32 v1, 24, v1
	v_add_u32_e32 v1, v20, v1
	v_cmp_gt_u32_e32 vcc, 64, v0
	s_barrier
	ds_write_b64 v1, v[18:19]
	s_waitcnt lgkmcnt(0)
	s_barrier
	s_and_saveexec_b64 s[2:3], vcc
	s_cbranch_execz .LBB5683_18
; %bb.15:
	v_lshlrev_b32_e32 v1, 1, v0
	v_lshrrev_b32_e32 v14, 4, v0
	v_add_lshl_u32 v21, v14, v1, 3
	ds_read2_b64 v[14:17], v21 offset1:1
	v_mbcnt_lo_u32_b32 v1, -1, 0
	s_waitcnt lgkmcnt(0)
	v_add_co_u32_e32 v22, vcc, v16, v14
	v_addc_co_u32_e32 v23, vcc, v17, v15, vcc
	s_nop 0
	v_mov_b32_dpp v16, v22 row_shr:1 row_mask:0xf bank_mask:0xf
	v_add_co_u32_e32 v16, vcc, v22, v16
	v_addc_co_u32_e32 v25, vcc, 0, v23, vcc
	v_mbcnt_hi_u32_b32 v17, -1, v1
	v_mov_b32_dpp v24, v23 row_shr:1 row_mask:0xf bank_mask:0xf
	v_add_co_u32_e32 v26, vcc, 0, v16
	v_and_b32_e32 v1, 15, v17
	v_addc_co_u32_e32 v24, vcc, v24, v25, vcc
	v_cmp_eq_u32_e32 vcc, 0, v1
	v_cndmask_b32_e32 v16, v16, v22, vcc
	v_cndmask_b32_e32 v24, v24, v23, vcc
	v_cndmask_b32_e32 v25, v26, v22, vcc
	v_mov_b32_dpp v26, v16 row_shr:2 row_mask:0xf bank_mask:0xf
	v_mov_b32_dpp v27, v24 row_shr:2 row_mask:0xf bank_mask:0xf
	v_add_co_u32_e32 v26, vcc, v26, v25
	v_addc_co_u32_e32 v27, vcc, v27, v24, vcc
	v_cmp_lt_u32_e32 vcc, 1, v1
	v_cndmask_b32_e32 v16, v16, v26, vcc
	v_cndmask_b32_e32 v24, v24, v27, vcc
	v_cndmask_b32_e32 v25, v25, v26, vcc
	v_mov_b32_dpp v26, v16 row_shr:4 row_mask:0xf bank_mask:0xf
	v_mov_b32_dpp v27, v24 row_shr:4 row_mask:0xf bank_mask:0xf
	v_add_co_u32_e32 v26, vcc, v26, v25
	v_addc_co_u32_e32 v27, vcc, v27, v24, vcc
	v_cmp_lt_u32_e32 vcc, 3, v1
	;; [unrolled: 8-line block ×3, first 2 shown]
	v_cndmask_b32_e32 v28, v16, v26, vcc
	v_cndmask_b32_e32 v1, v24, v27, vcc
	v_cndmask_b32_e32 v16, v25, v26, vcc
	v_mov_b32_dpp v24, v28 row_bcast:15 row_mask:0xf bank_mask:0xf
	v_mov_b32_dpp v25, v1 row_bcast:15 row_mask:0xf bank_mask:0xf
	v_add_co_u32_e32 v24, vcc, v24, v16
	v_and_b32_e32 v27, 16, v17
	v_addc_co_u32_e32 v26, vcc, v25, v1, vcc
	v_cmp_eq_u32_e32 vcc, 0, v27
	v_cndmask_b32_e32 v27, v26, v1, vcc
	v_cndmask_b32_e32 v25, v24, v28, vcc
	v_cmp_ne_u32_e64 s[0:1], 0, v17
	v_mov_b32_dpp v27, v27 row_bcast:31 row_mask:0xf bank_mask:0xf
	v_mov_b32_dpp v25, v25 row_bcast:31 row_mask:0xf bank_mask:0xf
	s_and_saveexec_b64 s[6:7], s[0:1]
; %bb.16:
	v_cndmask_b32_e32 v1, v26, v1, vcc
	v_cndmask_b32_e32 v16, v24, v16, vcc
	v_cmp_lt_u32_e32 vcc, 31, v17
	v_cndmask_b32_e32 v22, 0, v25, vcc
	v_cndmask_b32_e32 v23, 0, v27, vcc
	v_add_co_u32_e32 v22, vcc, v22, v16
	v_addc_co_u32_e32 v23, vcc, v23, v1, vcc
; %bb.17:
	s_or_b64 exec, exec, s[6:7]
	v_add_u32_e32 v1, -1, v17
	v_and_b32_e32 v16, 64, v17
	v_cmp_lt_i32_e32 vcc, v1, v16
	v_cndmask_b32_e32 v1, v1, v17, vcc
	v_lshlrev_b32_e32 v1, 2, v1
	ds_bpermute_b32 v16, v1, v22
	ds_bpermute_b32 v1, v1, v23
	; wave barrier
	s_waitcnt lgkmcnt(1)
	v_add_co_u32_e32 v14, vcc, v14, v16
	v_addc_co_u32_e32 v15, vcc, 0, v15, vcc
	v_add_co_u32_e32 v14, vcc, 0, v14
	s_waitcnt lgkmcnt(0)
	v_addc_co_u32_e32 v1, vcc, v15, v1, vcc
	v_cmp_eq_u32_e32 vcc, 0, v0
	v_cndmask_b32_e32 v15, v1, v19, vcc
	v_cndmask_b32_e32 v14, v14, v18, vcc
	ds_write_b64 v21, v[14:15]
	; wave barrier
	ds_read_b64 v[16:17], v21 offset:8
	s_waitcnt lgkmcnt(0)
	v_add_co_u32_e32 v14, vcc, v16, v14
	v_addc_co_u32_e32 v15, vcc, v17, v15, vcc
	ds_write_b64 v21, v[14:15] offset:8
.LBB5683_18:
	s_or_b64 exec, exec, s[2:3]
	v_mul_u32_u24_e32 v1, 48, v0
	v_cmp_ne_u32_e32 vcc, 0, v0
	v_pk_mov_b32 v[14:15], s[4:5], s[4:5] op_sel:[0,1]
	s_waitcnt lgkmcnt(0)
	s_barrier
	s_and_saveexec_b64 s[0:1], vcc
	s_cbranch_execz .LBB5683_20
; %bb.19:
	v_add_u32_e32 v0, -1, v0
	v_lshrrev_b32_e32 v14, 5, v0
	v_add_lshl_u32 v0, v14, v0, 3
	ds_read_b64 v[14:15], v0
	v_mov_b32_e32 v0, s5
	s_waitcnt lgkmcnt(0)
	v_add_co_u32_e32 v14, vcc, s4, v14
	v_addc_co_u32_e32 v15, vcc, v15, v0, vcc
.LBB5683_20:
	s_or_b64 exec, exec, s[0:1]
	v_add_co_u32_e32 v2, vcc, v14, v2
	v_addc_co_u32_e32 v3, vcc, v15, v3, vcc
	v_add_co_u32_e32 v4, vcc, v2, v4
	v_addc_co_u32_e32 v5, vcc, v3, v5, vcc
	;; [unrolled: 2-line block ×5, first 2 shown]
	v_add_co_u32_e32 v12, vcc, v10, v12
	v_add_u32_e32 v0, v20, v1
	v_addc_co_u32_e32 v13, vcc, v11, v13, vcc
	s_barrier
	ds_write2_b64 v0, v[14:15], v[2:3] offset1:1
	ds_write2_b64 v0, v[4:5], v[6:7] offset0:2 offset1:3
	ds_write2_b64 v0, v[8:9], v[10:11] offset0:4 offset1:5
	ds_write_b64 v0, v[12:13] offset:48
	s_waitcnt lgkmcnt(0)
	s_barrier
	s_endpgm
	.section	.rodata,"a",@progbits
	.p2align	6, 0x0
	.amdhsa_kernel _ZN7rocprim17ROCPRIM_400000_NS6detail17trampoline_kernelINS0_14default_configENS1_20scan_config_selectorIxEEZZNS1_9scan_implILNS1_25lookback_scan_determinismE0ELb1ELb1ES3_N6thrust23THRUST_200600_302600_NS6detail15normal_iteratorINS9_10device_ptrIxEEEENS9_16discard_iteratorINS9_11use_defaultEEExNS9_4plusIvEExEEDaPvRmT3_T4_T5_mT6_P12ihipStream_tbENKUlT_T0_E_clISt17integral_constantIbLb1EESX_EEDaSS_ST_EUlSS_E0_NS1_11comp_targetILNS1_3genE4ELNS1_11target_archE910ELNS1_3gpuE8ELNS1_3repE0EEENS1_30default_config_static_selectorELNS0_4arch9wavefront6targetE1EEEvT1_
		.amdhsa_group_segment_fixed_size 7168
		.amdhsa_private_segment_fixed_size 0
		.amdhsa_kernarg_size 48
		.amdhsa_user_sgpr_count 6
		.amdhsa_user_sgpr_private_segment_buffer 1
		.amdhsa_user_sgpr_dispatch_ptr 0
		.amdhsa_user_sgpr_queue_ptr 0
		.amdhsa_user_sgpr_kernarg_segment_ptr 1
		.amdhsa_user_sgpr_dispatch_id 0
		.amdhsa_user_sgpr_flat_scratch_init 0
		.amdhsa_user_sgpr_kernarg_preload_length 0
		.amdhsa_user_sgpr_kernarg_preload_offset 0
		.amdhsa_user_sgpr_private_segment_size 0
		.amdhsa_uses_dynamic_stack 0
		.amdhsa_system_sgpr_private_segment_wavefront_offset 0
		.amdhsa_system_sgpr_workgroup_id_x 1
		.amdhsa_system_sgpr_workgroup_id_y 0
		.amdhsa_system_sgpr_workgroup_id_z 0
		.amdhsa_system_sgpr_workgroup_info 0
		.amdhsa_system_vgpr_workitem_id 0
		.amdhsa_next_free_vgpr 29
		.amdhsa_next_free_sgpr 10
		.amdhsa_accum_offset 32
		.amdhsa_reserve_vcc 1
		.amdhsa_reserve_flat_scratch 0
		.amdhsa_float_round_mode_32 0
		.amdhsa_float_round_mode_16_64 0
		.amdhsa_float_denorm_mode_32 3
		.amdhsa_float_denorm_mode_16_64 3
		.amdhsa_dx10_clamp 1
		.amdhsa_ieee_mode 1
		.amdhsa_fp16_overflow 0
		.amdhsa_tg_split 0
		.amdhsa_exception_fp_ieee_invalid_op 0
		.amdhsa_exception_fp_denorm_src 0
		.amdhsa_exception_fp_ieee_div_zero 0
		.amdhsa_exception_fp_ieee_overflow 0
		.amdhsa_exception_fp_ieee_underflow 0
		.amdhsa_exception_fp_ieee_inexact 0
		.amdhsa_exception_int_div_zero 0
	.end_amdhsa_kernel
	.section	.text._ZN7rocprim17ROCPRIM_400000_NS6detail17trampoline_kernelINS0_14default_configENS1_20scan_config_selectorIxEEZZNS1_9scan_implILNS1_25lookback_scan_determinismE0ELb1ELb1ES3_N6thrust23THRUST_200600_302600_NS6detail15normal_iteratorINS9_10device_ptrIxEEEENS9_16discard_iteratorINS9_11use_defaultEEExNS9_4plusIvEExEEDaPvRmT3_T4_T5_mT6_P12ihipStream_tbENKUlT_T0_E_clISt17integral_constantIbLb1EESX_EEDaSS_ST_EUlSS_E0_NS1_11comp_targetILNS1_3genE4ELNS1_11target_archE910ELNS1_3gpuE8ELNS1_3repE0EEENS1_30default_config_static_selectorELNS0_4arch9wavefront6targetE1EEEvT1_,"axG",@progbits,_ZN7rocprim17ROCPRIM_400000_NS6detail17trampoline_kernelINS0_14default_configENS1_20scan_config_selectorIxEEZZNS1_9scan_implILNS1_25lookback_scan_determinismE0ELb1ELb1ES3_N6thrust23THRUST_200600_302600_NS6detail15normal_iteratorINS9_10device_ptrIxEEEENS9_16discard_iteratorINS9_11use_defaultEEExNS9_4plusIvEExEEDaPvRmT3_T4_T5_mT6_P12ihipStream_tbENKUlT_T0_E_clISt17integral_constantIbLb1EESX_EEDaSS_ST_EUlSS_E0_NS1_11comp_targetILNS1_3genE4ELNS1_11target_archE910ELNS1_3gpuE8ELNS1_3repE0EEENS1_30default_config_static_selectorELNS0_4arch9wavefront6targetE1EEEvT1_,comdat
.Lfunc_end5683:
	.size	_ZN7rocprim17ROCPRIM_400000_NS6detail17trampoline_kernelINS0_14default_configENS1_20scan_config_selectorIxEEZZNS1_9scan_implILNS1_25lookback_scan_determinismE0ELb1ELb1ES3_N6thrust23THRUST_200600_302600_NS6detail15normal_iteratorINS9_10device_ptrIxEEEENS9_16discard_iteratorINS9_11use_defaultEEExNS9_4plusIvEExEEDaPvRmT3_T4_T5_mT6_P12ihipStream_tbENKUlT_T0_E_clISt17integral_constantIbLb1EESX_EEDaSS_ST_EUlSS_E0_NS1_11comp_targetILNS1_3genE4ELNS1_11target_archE910ELNS1_3gpuE8ELNS1_3repE0EEENS1_30default_config_static_selectorELNS0_4arch9wavefront6targetE1EEEvT1_, .Lfunc_end5683-_ZN7rocprim17ROCPRIM_400000_NS6detail17trampoline_kernelINS0_14default_configENS1_20scan_config_selectorIxEEZZNS1_9scan_implILNS1_25lookback_scan_determinismE0ELb1ELb1ES3_N6thrust23THRUST_200600_302600_NS6detail15normal_iteratorINS9_10device_ptrIxEEEENS9_16discard_iteratorINS9_11use_defaultEEExNS9_4plusIvEExEEDaPvRmT3_T4_T5_mT6_P12ihipStream_tbENKUlT_T0_E_clISt17integral_constantIbLb1EESX_EEDaSS_ST_EUlSS_E0_NS1_11comp_targetILNS1_3genE4ELNS1_11target_archE910ELNS1_3gpuE8ELNS1_3repE0EEENS1_30default_config_static_selectorELNS0_4arch9wavefront6targetE1EEEvT1_
                                        ; -- End function
	.section	.AMDGPU.csdata,"",@progbits
; Kernel info:
; codeLenInByte = 1116
; NumSgprs: 14
; NumVgprs: 29
; NumAgprs: 0
; TotalNumVgprs: 29
; ScratchSize: 0
; MemoryBound: 0
; FloatMode: 240
; IeeeMode: 1
; LDSByteSize: 7168 bytes/workgroup (compile time only)
; SGPRBlocks: 1
; VGPRBlocks: 3
; NumSGPRsForWavesPerEU: 14
; NumVGPRsForWavesPerEU: 29
; AccumOffset: 32
; Occupancy: 5
; WaveLimiterHint : 0
; COMPUTE_PGM_RSRC2:SCRATCH_EN: 0
; COMPUTE_PGM_RSRC2:USER_SGPR: 6
; COMPUTE_PGM_RSRC2:TRAP_HANDLER: 0
; COMPUTE_PGM_RSRC2:TGID_X_EN: 1
; COMPUTE_PGM_RSRC2:TGID_Y_EN: 0
; COMPUTE_PGM_RSRC2:TGID_Z_EN: 0
; COMPUTE_PGM_RSRC2:TIDIG_COMP_CNT: 0
; COMPUTE_PGM_RSRC3_GFX90A:ACCUM_OFFSET: 7
; COMPUTE_PGM_RSRC3_GFX90A:TG_SPLIT: 0
	.section	.text._ZN7rocprim17ROCPRIM_400000_NS6detail17trampoline_kernelINS0_14default_configENS1_20scan_config_selectorIxEEZZNS1_9scan_implILNS1_25lookback_scan_determinismE0ELb1ELb1ES3_N6thrust23THRUST_200600_302600_NS6detail15normal_iteratorINS9_10device_ptrIxEEEENS9_16discard_iteratorINS9_11use_defaultEEExNS9_4plusIvEExEEDaPvRmT3_T4_T5_mT6_P12ihipStream_tbENKUlT_T0_E_clISt17integral_constantIbLb1EESX_EEDaSS_ST_EUlSS_E0_NS1_11comp_targetILNS1_3genE3ELNS1_11target_archE908ELNS1_3gpuE7ELNS1_3repE0EEENS1_30default_config_static_selectorELNS0_4arch9wavefront6targetE1EEEvT1_,"axG",@progbits,_ZN7rocprim17ROCPRIM_400000_NS6detail17trampoline_kernelINS0_14default_configENS1_20scan_config_selectorIxEEZZNS1_9scan_implILNS1_25lookback_scan_determinismE0ELb1ELb1ES3_N6thrust23THRUST_200600_302600_NS6detail15normal_iteratorINS9_10device_ptrIxEEEENS9_16discard_iteratorINS9_11use_defaultEEExNS9_4plusIvEExEEDaPvRmT3_T4_T5_mT6_P12ihipStream_tbENKUlT_T0_E_clISt17integral_constantIbLb1EESX_EEDaSS_ST_EUlSS_E0_NS1_11comp_targetILNS1_3genE3ELNS1_11target_archE908ELNS1_3gpuE7ELNS1_3repE0EEENS1_30default_config_static_selectorELNS0_4arch9wavefront6targetE1EEEvT1_,comdat
	.protected	_ZN7rocprim17ROCPRIM_400000_NS6detail17trampoline_kernelINS0_14default_configENS1_20scan_config_selectorIxEEZZNS1_9scan_implILNS1_25lookback_scan_determinismE0ELb1ELb1ES3_N6thrust23THRUST_200600_302600_NS6detail15normal_iteratorINS9_10device_ptrIxEEEENS9_16discard_iteratorINS9_11use_defaultEEExNS9_4plusIvEExEEDaPvRmT3_T4_T5_mT6_P12ihipStream_tbENKUlT_T0_E_clISt17integral_constantIbLb1EESX_EEDaSS_ST_EUlSS_E0_NS1_11comp_targetILNS1_3genE3ELNS1_11target_archE908ELNS1_3gpuE7ELNS1_3repE0EEENS1_30default_config_static_selectorELNS0_4arch9wavefront6targetE1EEEvT1_ ; -- Begin function _ZN7rocprim17ROCPRIM_400000_NS6detail17trampoline_kernelINS0_14default_configENS1_20scan_config_selectorIxEEZZNS1_9scan_implILNS1_25lookback_scan_determinismE0ELb1ELb1ES3_N6thrust23THRUST_200600_302600_NS6detail15normal_iteratorINS9_10device_ptrIxEEEENS9_16discard_iteratorINS9_11use_defaultEEExNS9_4plusIvEExEEDaPvRmT3_T4_T5_mT6_P12ihipStream_tbENKUlT_T0_E_clISt17integral_constantIbLb1EESX_EEDaSS_ST_EUlSS_E0_NS1_11comp_targetILNS1_3genE3ELNS1_11target_archE908ELNS1_3gpuE7ELNS1_3repE0EEENS1_30default_config_static_selectorELNS0_4arch9wavefront6targetE1EEEvT1_
	.globl	_ZN7rocprim17ROCPRIM_400000_NS6detail17trampoline_kernelINS0_14default_configENS1_20scan_config_selectorIxEEZZNS1_9scan_implILNS1_25lookback_scan_determinismE0ELb1ELb1ES3_N6thrust23THRUST_200600_302600_NS6detail15normal_iteratorINS9_10device_ptrIxEEEENS9_16discard_iteratorINS9_11use_defaultEEExNS9_4plusIvEExEEDaPvRmT3_T4_T5_mT6_P12ihipStream_tbENKUlT_T0_E_clISt17integral_constantIbLb1EESX_EEDaSS_ST_EUlSS_E0_NS1_11comp_targetILNS1_3genE3ELNS1_11target_archE908ELNS1_3gpuE7ELNS1_3repE0EEENS1_30default_config_static_selectorELNS0_4arch9wavefront6targetE1EEEvT1_
	.p2align	8
	.type	_ZN7rocprim17ROCPRIM_400000_NS6detail17trampoline_kernelINS0_14default_configENS1_20scan_config_selectorIxEEZZNS1_9scan_implILNS1_25lookback_scan_determinismE0ELb1ELb1ES3_N6thrust23THRUST_200600_302600_NS6detail15normal_iteratorINS9_10device_ptrIxEEEENS9_16discard_iteratorINS9_11use_defaultEEExNS9_4plusIvEExEEDaPvRmT3_T4_T5_mT6_P12ihipStream_tbENKUlT_T0_E_clISt17integral_constantIbLb1EESX_EEDaSS_ST_EUlSS_E0_NS1_11comp_targetILNS1_3genE3ELNS1_11target_archE908ELNS1_3gpuE7ELNS1_3repE0EEENS1_30default_config_static_selectorELNS0_4arch9wavefront6targetE1EEEvT1_,@function
_ZN7rocprim17ROCPRIM_400000_NS6detail17trampoline_kernelINS0_14default_configENS1_20scan_config_selectorIxEEZZNS1_9scan_implILNS1_25lookback_scan_determinismE0ELb1ELb1ES3_N6thrust23THRUST_200600_302600_NS6detail15normal_iteratorINS9_10device_ptrIxEEEENS9_16discard_iteratorINS9_11use_defaultEEExNS9_4plusIvEExEEDaPvRmT3_T4_T5_mT6_P12ihipStream_tbENKUlT_T0_E_clISt17integral_constantIbLb1EESX_EEDaSS_ST_EUlSS_E0_NS1_11comp_targetILNS1_3genE3ELNS1_11target_archE908ELNS1_3gpuE7ELNS1_3repE0EEENS1_30default_config_static_selectorELNS0_4arch9wavefront6targetE1EEEvT1_: ; @_ZN7rocprim17ROCPRIM_400000_NS6detail17trampoline_kernelINS0_14default_configENS1_20scan_config_selectorIxEEZZNS1_9scan_implILNS1_25lookback_scan_determinismE0ELb1ELb1ES3_N6thrust23THRUST_200600_302600_NS6detail15normal_iteratorINS9_10device_ptrIxEEEENS9_16discard_iteratorINS9_11use_defaultEEExNS9_4plusIvEExEEDaPvRmT3_T4_T5_mT6_P12ihipStream_tbENKUlT_T0_E_clISt17integral_constantIbLb1EESX_EEDaSS_ST_EUlSS_E0_NS1_11comp_targetILNS1_3genE3ELNS1_11target_archE908ELNS1_3gpuE7ELNS1_3repE0EEENS1_30default_config_static_selectorELNS0_4arch9wavefront6targetE1EEEvT1_
; %bb.0:
	.section	.rodata,"a",@progbits
	.p2align	6, 0x0
	.amdhsa_kernel _ZN7rocprim17ROCPRIM_400000_NS6detail17trampoline_kernelINS0_14default_configENS1_20scan_config_selectorIxEEZZNS1_9scan_implILNS1_25lookback_scan_determinismE0ELb1ELb1ES3_N6thrust23THRUST_200600_302600_NS6detail15normal_iteratorINS9_10device_ptrIxEEEENS9_16discard_iteratorINS9_11use_defaultEEExNS9_4plusIvEExEEDaPvRmT3_T4_T5_mT6_P12ihipStream_tbENKUlT_T0_E_clISt17integral_constantIbLb1EESX_EEDaSS_ST_EUlSS_E0_NS1_11comp_targetILNS1_3genE3ELNS1_11target_archE908ELNS1_3gpuE7ELNS1_3repE0EEENS1_30default_config_static_selectorELNS0_4arch9wavefront6targetE1EEEvT1_
		.amdhsa_group_segment_fixed_size 0
		.amdhsa_private_segment_fixed_size 0
		.amdhsa_kernarg_size 48
		.amdhsa_user_sgpr_count 6
		.amdhsa_user_sgpr_private_segment_buffer 1
		.amdhsa_user_sgpr_dispatch_ptr 0
		.amdhsa_user_sgpr_queue_ptr 0
		.amdhsa_user_sgpr_kernarg_segment_ptr 1
		.amdhsa_user_sgpr_dispatch_id 0
		.amdhsa_user_sgpr_flat_scratch_init 0
		.amdhsa_user_sgpr_kernarg_preload_length 0
		.amdhsa_user_sgpr_kernarg_preload_offset 0
		.amdhsa_user_sgpr_private_segment_size 0
		.amdhsa_uses_dynamic_stack 0
		.amdhsa_system_sgpr_private_segment_wavefront_offset 0
		.amdhsa_system_sgpr_workgroup_id_x 1
		.amdhsa_system_sgpr_workgroup_id_y 0
		.amdhsa_system_sgpr_workgroup_id_z 0
		.amdhsa_system_sgpr_workgroup_info 0
		.amdhsa_system_vgpr_workitem_id 0
		.amdhsa_next_free_vgpr 1
		.amdhsa_next_free_sgpr 0
		.amdhsa_accum_offset 4
		.amdhsa_reserve_vcc 0
		.amdhsa_reserve_flat_scratch 0
		.amdhsa_float_round_mode_32 0
		.amdhsa_float_round_mode_16_64 0
		.amdhsa_float_denorm_mode_32 3
		.amdhsa_float_denorm_mode_16_64 3
		.amdhsa_dx10_clamp 1
		.amdhsa_ieee_mode 1
		.amdhsa_fp16_overflow 0
		.amdhsa_tg_split 0
		.amdhsa_exception_fp_ieee_invalid_op 0
		.amdhsa_exception_fp_denorm_src 0
		.amdhsa_exception_fp_ieee_div_zero 0
		.amdhsa_exception_fp_ieee_overflow 0
		.amdhsa_exception_fp_ieee_underflow 0
		.amdhsa_exception_fp_ieee_inexact 0
		.amdhsa_exception_int_div_zero 0
	.end_amdhsa_kernel
	.section	.text._ZN7rocprim17ROCPRIM_400000_NS6detail17trampoline_kernelINS0_14default_configENS1_20scan_config_selectorIxEEZZNS1_9scan_implILNS1_25lookback_scan_determinismE0ELb1ELb1ES3_N6thrust23THRUST_200600_302600_NS6detail15normal_iteratorINS9_10device_ptrIxEEEENS9_16discard_iteratorINS9_11use_defaultEEExNS9_4plusIvEExEEDaPvRmT3_T4_T5_mT6_P12ihipStream_tbENKUlT_T0_E_clISt17integral_constantIbLb1EESX_EEDaSS_ST_EUlSS_E0_NS1_11comp_targetILNS1_3genE3ELNS1_11target_archE908ELNS1_3gpuE7ELNS1_3repE0EEENS1_30default_config_static_selectorELNS0_4arch9wavefront6targetE1EEEvT1_,"axG",@progbits,_ZN7rocprim17ROCPRIM_400000_NS6detail17trampoline_kernelINS0_14default_configENS1_20scan_config_selectorIxEEZZNS1_9scan_implILNS1_25lookback_scan_determinismE0ELb1ELb1ES3_N6thrust23THRUST_200600_302600_NS6detail15normal_iteratorINS9_10device_ptrIxEEEENS9_16discard_iteratorINS9_11use_defaultEEExNS9_4plusIvEExEEDaPvRmT3_T4_T5_mT6_P12ihipStream_tbENKUlT_T0_E_clISt17integral_constantIbLb1EESX_EEDaSS_ST_EUlSS_E0_NS1_11comp_targetILNS1_3genE3ELNS1_11target_archE908ELNS1_3gpuE7ELNS1_3repE0EEENS1_30default_config_static_selectorELNS0_4arch9wavefront6targetE1EEEvT1_,comdat
.Lfunc_end5684:
	.size	_ZN7rocprim17ROCPRIM_400000_NS6detail17trampoline_kernelINS0_14default_configENS1_20scan_config_selectorIxEEZZNS1_9scan_implILNS1_25lookback_scan_determinismE0ELb1ELb1ES3_N6thrust23THRUST_200600_302600_NS6detail15normal_iteratorINS9_10device_ptrIxEEEENS9_16discard_iteratorINS9_11use_defaultEEExNS9_4plusIvEExEEDaPvRmT3_T4_T5_mT6_P12ihipStream_tbENKUlT_T0_E_clISt17integral_constantIbLb1EESX_EEDaSS_ST_EUlSS_E0_NS1_11comp_targetILNS1_3genE3ELNS1_11target_archE908ELNS1_3gpuE7ELNS1_3repE0EEENS1_30default_config_static_selectorELNS0_4arch9wavefront6targetE1EEEvT1_, .Lfunc_end5684-_ZN7rocprim17ROCPRIM_400000_NS6detail17trampoline_kernelINS0_14default_configENS1_20scan_config_selectorIxEEZZNS1_9scan_implILNS1_25lookback_scan_determinismE0ELb1ELb1ES3_N6thrust23THRUST_200600_302600_NS6detail15normal_iteratorINS9_10device_ptrIxEEEENS9_16discard_iteratorINS9_11use_defaultEEExNS9_4plusIvEExEEDaPvRmT3_T4_T5_mT6_P12ihipStream_tbENKUlT_T0_E_clISt17integral_constantIbLb1EESX_EEDaSS_ST_EUlSS_E0_NS1_11comp_targetILNS1_3genE3ELNS1_11target_archE908ELNS1_3gpuE7ELNS1_3repE0EEENS1_30default_config_static_selectorELNS0_4arch9wavefront6targetE1EEEvT1_
                                        ; -- End function
	.section	.AMDGPU.csdata,"",@progbits
; Kernel info:
; codeLenInByte = 0
; NumSgprs: 4
; NumVgprs: 0
; NumAgprs: 0
; TotalNumVgprs: 0
; ScratchSize: 0
; MemoryBound: 0
; FloatMode: 240
; IeeeMode: 1
; LDSByteSize: 0 bytes/workgroup (compile time only)
; SGPRBlocks: 0
; VGPRBlocks: 0
; NumSGPRsForWavesPerEU: 4
; NumVGPRsForWavesPerEU: 1
; AccumOffset: 4
; Occupancy: 8
; WaveLimiterHint : 0
; COMPUTE_PGM_RSRC2:SCRATCH_EN: 0
; COMPUTE_PGM_RSRC2:USER_SGPR: 6
; COMPUTE_PGM_RSRC2:TRAP_HANDLER: 0
; COMPUTE_PGM_RSRC2:TGID_X_EN: 1
; COMPUTE_PGM_RSRC2:TGID_Y_EN: 0
; COMPUTE_PGM_RSRC2:TGID_Z_EN: 0
; COMPUTE_PGM_RSRC2:TIDIG_COMP_CNT: 0
; COMPUTE_PGM_RSRC3_GFX90A:ACCUM_OFFSET: 0
; COMPUTE_PGM_RSRC3_GFX90A:TG_SPLIT: 0
	.section	.text._ZN7rocprim17ROCPRIM_400000_NS6detail17trampoline_kernelINS0_14default_configENS1_20scan_config_selectorIxEEZZNS1_9scan_implILNS1_25lookback_scan_determinismE0ELb1ELb1ES3_N6thrust23THRUST_200600_302600_NS6detail15normal_iteratorINS9_10device_ptrIxEEEENS9_16discard_iteratorINS9_11use_defaultEEExNS9_4plusIvEExEEDaPvRmT3_T4_T5_mT6_P12ihipStream_tbENKUlT_T0_E_clISt17integral_constantIbLb1EESX_EEDaSS_ST_EUlSS_E0_NS1_11comp_targetILNS1_3genE2ELNS1_11target_archE906ELNS1_3gpuE6ELNS1_3repE0EEENS1_30default_config_static_selectorELNS0_4arch9wavefront6targetE1EEEvT1_,"axG",@progbits,_ZN7rocprim17ROCPRIM_400000_NS6detail17trampoline_kernelINS0_14default_configENS1_20scan_config_selectorIxEEZZNS1_9scan_implILNS1_25lookback_scan_determinismE0ELb1ELb1ES3_N6thrust23THRUST_200600_302600_NS6detail15normal_iteratorINS9_10device_ptrIxEEEENS9_16discard_iteratorINS9_11use_defaultEEExNS9_4plusIvEExEEDaPvRmT3_T4_T5_mT6_P12ihipStream_tbENKUlT_T0_E_clISt17integral_constantIbLb1EESX_EEDaSS_ST_EUlSS_E0_NS1_11comp_targetILNS1_3genE2ELNS1_11target_archE906ELNS1_3gpuE6ELNS1_3repE0EEENS1_30default_config_static_selectorELNS0_4arch9wavefront6targetE1EEEvT1_,comdat
	.protected	_ZN7rocprim17ROCPRIM_400000_NS6detail17trampoline_kernelINS0_14default_configENS1_20scan_config_selectorIxEEZZNS1_9scan_implILNS1_25lookback_scan_determinismE0ELb1ELb1ES3_N6thrust23THRUST_200600_302600_NS6detail15normal_iteratorINS9_10device_ptrIxEEEENS9_16discard_iteratorINS9_11use_defaultEEExNS9_4plusIvEExEEDaPvRmT3_T4_T5_mT6_P12ihipStream_tbENKUlT_T0_E_clISt17integral_constantIbLb1EESX_EEDaSS_ST_EUlSS_E0_NS1_11comp_targetILNS1_3genE2ELNS1_11target_archE906ELNS1_3gpuE6ELNS1_3repE0EEENS1_30default_config_static_selectorELNS0_4arch9wavefront6targetE1EEEvT1_ ; -- Begin function _ZN7rocprim17ROCPRIM_400000_NS6detail17trampoline_kernelINS0_14default_configENS1_20scan_config_selectorIxEEZZNS1_9scan_implILNS1_25lookback_scan_determinismE0ELb1ELb1ES3_N6thrust23THRUST_200600_302600_NS6detail15normal_iteratorINS9_10device_ptrIxEEEENS9_16discard_iteratorINS9_11use_defaultEEExNS9_4plusIvEExEEDaPvRmT3_T4_T5_mT6_P12ihipStream_tbENKUlT_T0_E_clISt17integral_constantIbLb1EESX_EEDaSS_ST_EUlSS_E0_NS1_11comp_targetILNS1_3genE2ELNS1_11target_archE906ELNS1_3gpuE6ELNS1_3repE0EEENS1_30default_config_static_selectorELNS0_4arch9wavefront6targetE1EEEvT1_
	.globl	_ZN7rocprim17ROCPRIM_400000_NS6detail17trampoline_kernelINS0_14default_configENS1_20scan_config_selectorIxEEZZNS1_9scan_implILNS1_25lookback_scan_determinismE0ELb1ELb1ES3_N6thrust23THRUST_200600_302600_NS6detail15normal_iteratorINS9_10device_ptrIxEEEENS9_16discard_iteratorINS9_11use_defaultEEExNS9_4plusIvEExEEDaPvRmT3_T4_T5_mT6_P12ihipStream_tbENKUlT_T0_E_clISt17integral_constantIbLb1EESX_EEDaSS_ST_EUlSS_E0_NS1_11comp_targetILNS1_3genE2ELNS1_11target_archE906ELNS1_3gpuE6ELNS1_3repE0EEENS1_30default_config_static_selectorELNS0_4arch9wavefront6targetE1EEEvT1_
	.p2align	8
	.type	_ZN7rocprim17ROCPRIM_400000_NS6detail17trampoline_kernelINS0_14default_configENS1_20scan_config_selectorIxEEZZNS1_9scan_implILNS1_25lookback_scan_determinismE0ELb1ELb1ES3_N6thrust23THRUST_200600_302600_NS6detail15normal_iteratorINS9_10device_ptrIxEEEENS9_16discard_iteratorINS9_11use_defaultEEExNS9_4plusIvEExEEDaPvRmT3_T4_T5_mT6_P12ihipStream_tbENKUlT_T0_E_clISt17integral_constantIbLb1EESX_EEDaSS_ST_EUlSS_E0_NS1_11comp_targetILNS1_3genE2ELNS1_11target_archE906ELNS1_3gpuE6ELNS1_3repE0EEENS1_30default_config_static_selectorELNS0_4arch9wavefront6targetE1EEEvT1_,@function
_ZN7rocprim17ROCPRIM_400000_NS6detail17trampoline_kernelINS0_14default_configENS1_20scan_config_selectorIxEEZZNS1_9scan_implILNS1_25lookback_scan_determinismE0ELb1ELb1ES3_N6thrust23THRUST_200600_302600_NS6detail15normal_iteratorINS9_10device_ptrIxEEEENS9_16discard_iteratorINS9_11use_defaultEEExNS9_4plusIvEExEEDaPvRmT3_T4_T5_mT6_P12ihipStream_tbENKUlT_T0_E_clISt17integral_constantIbLb1EESX_EEDaSS_ST_EUlSS_E0_NS1_11comp_targetILNS1_3genE2ELNS1_11target_archE906ELNS1_3gpuE6ELNS1_3repE0EEENS1_30default_config_static_selectorELNS0_4arch9wavefront6targetE1EEEvT1_: ; @_ZN7rocprim17ROCPRIM_400000_NS6detail17trampoline_kernelINS0_14default_configENS1_20scan_config_selectorIxEEZZNS1_9scan_implILNS1_25lookback_scan_determinismE0ELb1ELb1ES3_N6thrust23THRUST_200600_302600_NS6detail15normal_iteratorINS9_10device_ptrIxEEEENS9_16discard_iteratorINS9_11use_defaultEEExNS9_4plusIvEExEEDaPvRmT3_T4_T5_mT6_P12ihipStream_tbENKUlT_T0_E_clISt17integral_constantIbLb1EESX_EEDaSS_ST_EUlSS_E0_NS1_11comp_targetILNS1_3genE2ELNS1_11target_archE906ELNS1_3gpuE6ELNS1_3repE0EEENS1_30default_config_static_selectorELNS0_4arch9wavefront6targetE1EEEvT1_
; %bb.0:
	.section	.rodata,"a",@progbits
	.p2align	6, 0x0
	.amdhsa_kernel _ZN7rocprim17ROCPRIM_400000_NS6detail17trampoline_kernelINS0_14default_configENS1_20scan_config_selectorIxEEZZNS1_9scan_implILNS1_25lookback_scan_determinismE0ELb1ELb1ES3_N6thrust23THRUST_200600_302600_NS6detail15normal_iteratorINS9_10device_ptrIxEEEENS9_16discard_iteratorINS9_11use_defaultEEExNS9_4plusIvEExEEDaPvRmT3_T4_T5_mT6_P12ihipStream_tbENKUlT_T0_E_clISt17integral_constantIbLb1EESX_EEDaSS_ST_EUlSS_E0_NS1_11comp_targetILNS1_3genE2ELNS1_11target_archE906ELNS1_3gpuE6ELNS1_3repE0EEENS1_30default_config_static_selectorELNS0_4arch9wavefront6targetE1EEEvT1_
		.amdhsa_group_segment_fixed_size 0
		.amdhsa_private_segment_fixed_size 0
		.amdhsa_kernarg_size 48
		.amdhsa_user_sgpr_count 6
		.amdhsa_user_sgpr_private_segment_buffer 1
		.amdhsa_user_sgpr_dispatch_ptr 0
		.amdhsa_user_sgpr_queue_ptr 0
		.amdhsa_user_sgpr_kernarg_segment_ptr 1
		.amdhsa_user_sgpr_dispatch_id 0
		.amdhsa_user_sgpr_flat_scratch_init 0
		.amdhsa_user_sgpr_kernarg_preload_length 0
		.amdhsa_user_sgpr_kernarg_preload_offset 0
		.amdhsa_user_sgpr_private_segment_size 0
		.amdhsa_uses_dynamic_stack 0
		.amdhsa_system_sgpr_private_segment_wavefront_offset 0
		.amdhsa_system_sgpr_workgroup_id_x 1
		.amdhsa_system_sgpr_workgroup_id_y 0
		.amdhsa_system_sgpr_workgroup_id_z 0
		.amdhsa_system_sgpr_workgroup_info 0
		.amdhsa_system_vgpr_workitem_id 0
		.amdhsa_next_free_vgpr 1
		.amdhsa_next_free_sgpr 0
		.amdhsa_accum_offset 4
		.amdhsa_reserve_vcc 0
		.amdhsa_reserve_flat_scratch 0
		.amdhsa_float_round_mode_32 0
		.amdhsa_float_round_mode_16_64 0
		.amdhsa_float_denorm_mode_32 3
		.amdhsa_float_denorm_mode_16_64 3
		.amdhsa_dx10_clamp 1
		.amdhsa_ieee_mode 1
		.amdhsa_fp16_overflow 0
		.amdhsa_tg_split 0
		.amdhsa_exception_fp_ieee_invalid_op 0
		.amdhsa_exception_fp_denorm_src 0
		.amdhsa_exception_fp_ieee_div_zero 0
		.amdhsa_exception_fp_ieee_overflow 0
		.amdhsa_exception_fp_ieee_underflow 0
		.amdhsa_exception_fp_ieee_inexact 0
		.amdhsa_exception_int_div_zero 0
	.end_amdhsa_kernel
	.section	.text._ZN7rocprim17ROCPRIM_400000_NS6detail17trampoline_kernelINS0_14default_configENS1_20scan_config_selectorIxEEZZNS1_9scan_implILNS1_25lookback_scan_determinismE0ELb1ELb1ES3_N6thrust23THRUST_200600_302600_NS6detail15normal_iteratorINS9_10device_ptrIxEEEENS9_16discard_iteratorINS9_11use_defaultEEExNS9_4plusIvEExEEDaPvRmT3_T4_T5_mT6_P12ihipStream_tbENKUlT_T0_E_clISt17integral_constantIbLb1EESX_EEDaSS_ST_EUlSS_E0_NS1_11comp_targetILNS1_3genE2ELNS1_11target_archE906ELNS1_3gpuE6ELNS1_3repE0EEENS1_30default_config_static_selectorELNS0_4arch9wavefront6targetE1EEEvT1_,"axG",@progbits,_ZN7rocprim17ROCPRIM_400000_NS6detail17trampoline_kernelINS0_14default_configENS1_20scan_config_selectorIxEEZZNS1_9scan_implILNS1_25lookback_scan_determinismE0ELb1ELb1ES3_N6thrust23THRUST_200600_302600_NS6detail15normal_iteratorINS9_10device_ptrIxEEEENS9_16discard_iteratorINS9_11use_defaultEEExNS9_4plusIvEExEEDaPvRmT3_T4_T5_mT6_P12ihipStream_tbENKUlT_T0_E_clISt17integral_constantIbLb1EESX_EEDaSS_ST_EUlSS_E0_NS1_11comp_targetILNS1_3genE2ELNS1_11target_archE906ELNS1_3gpuE6ELNS1_3repE0EEENS1_30default_config_static_selectorELNS0_4arch9wavefront6targetE1EEEvT1_,comdat
.Lfunc_end5685:
	.size	_ZN7rocprim17ROCPRIM_400000_NS6detail17trampoline_kernelINS0_14default_configENS1_20scan_config_selectorIxEEZZNS1_9scan_implILNS1_25lookback_scan_determinismE0ELb1ELb1ES3_N6thrust23THRUST_200600_302600_NS6detail15normal_iteratorINS9_10device_ptrIxEEEENS9_16discard_iteratorINS9_11use_defaultEEExNS9_4plusIvEExEEDaPvRmT3_T4_T5_mT6_P12ihipStream_tbENKUlT_T0_E_clISt17integral_constantIbLb1EESX_EEDaSS_ST_EUlSS_E0_NS1_11comp_targetILNS1_3genE2ELNS1_11target_archE906ELNS1_3gpuE6ELNS1_3repE0EEENS1_30default_config_static_selectorELNS0_4arch9wavefront6targetE1EEEvT1_, .Lfunc_end5685-_ZN7rocprim17ROCPRIM_400000_NS6detail17trampoline_kernelINS0_14default_configENS1_20scan_config_selectorIxEEZZNS1_9scan_implILNS1_25lookback_scan_determinismE0ELb1ELb1ES3_N6thrust23THRUST_200600_302600_NS6detail15normal_iteratorINS9_10device_ptrIxEEEENS9_16discard_iteratorINS9_11use_defaultEEExNS9_4plusIvEExEEDaPvRmT3_T4_T5_mT6_P12ihipStream_tbENKUlT_T0_E_clISt17integral_constantIbLb1EESX_EEDaSS_ST_EUlSS_E0_NS1_11comp_targetILNS1_3genE2ELNS1_11target_archE906ELNS1_3gpuE6ELNS1_3repE0EEENS1_30default_config_static_selectorELNS0_4arch9wavefront6targetE1EEEvT1_
                                        ; -- End function
	.section	.AMDGPU.csdata,"",@progbits
; Kernel info:
; codeLenInByte = 0
; NumSgprs: 4
; NumVgprs: 0
; NumAgprs: 0
; TotalNumVgprs: 0
; ScratchSize: 0
; MemoryBound: 0
; FloatMode: 240
; IeeeMode: 1
; LDSByteSize: 0 bytes/workgroup (compile time only)
; SGPRBlocks: 0
; VGPRBlocks: 0
; NumSGPRsForWavesPerEU: 4
; NumVGPRsForWavesPerEU: 1
; AccumOffset: 4
; Occupancy: 8
; WaveLimiterHint : 0
; COMPUTE_PGM_RSRC2:SCRATCH_EN: 0
; COMPUTE_PGM_RSRC2:USER_SGPR: 6
; COMPUTE_PGM_RSRC2:TRAP_HANDLER: 0
; COMPUTE_PGM_RSRC2:TGID_X_EN: 1
; COMPUTE_PGM_RSRC2:TGID_Y_EN: 0
; COMPUTE_PGM_RSRC2:TGID_Z_EN: 0
; COMPUTE_PGM_RSRC2:TIDIG_COMP_CNT: 0
; COMPUTE_PGM_RSRC3_GFX90A:ACCUM_OFFSET: 0
; COMPUTE_PGM_RSRC3_GFX90A:TG_SPLIT: 0
	.section	.text._ZN7rocprim17ROCPRIM_400000_NS6detail17trampoline_kernelINS0_14default_configENS1_20scan_config_selectorIxEEZZNS1_9scan_implILNS1_25lookback_scan_determinismE0ELb1ELb1ES3_N6thrust23THRUST_200600_302600_NS6detail15normal_iteratorINS9_10device_ptrIxEEEENS9_16discard_iteratorINS9_11use_defaultEEExNS9_4plusIvEExEEDaPvRmT3_T4_T5_mT6_P12ihipStream_tbENKUlT_T0_E_clISt17integral_constantIbLb1EESX_EEDaSS_ST_EUlSS_E0_NS1_11comp_targetILNS1_3genE10ELNS1_11target_archE1201ELNS1_3gpuE5ELNS1_3repE0EEENS1_30default_config_static_selectorELNS0_4arch9wavefront6targetE1EEEvT1_,"axG",@progbits,_ZN7rocprim17ROCPRIM_400000_NS6detail17trampoline_kernelINS0_14default_configENS1_20scan_config_selectorIxEEZZNS1_9scan_implILNS1_25lookback_scan_determinismE0ELb1ELb1ES3_N6thrust23THRUST_200600_302600_NS6detail15normal_iteratorINS9_10device_ptrIxEEEENS9_16discard_iteratorINS9_11use_defaultEEExNS9_4plusIvEExEEDaPvRmT3_T4_T5_mT6_P12ihipStream_tbENKUlT_T0_E_clISt17integral_constantIbLb1EESX_EEDaSS_ST_EUlSS_E0_NS1_11comp_targetILNS1_3genE10ELNS1_11target_archE1201ELNS1_3gpuE5ELNS1_3repE0EEENS1_30default_config_static_selectorELNS0_4arch9wavefront6targetE1EEEvT1_,comdat
	.protected	_ZN7rocprim17ROCPRIM_400000_NS6detail17trampoline_kernelINS0_14default_configENS1_20scan_config_selectorIxEEZZNS1_9scan_implILNS1_25lookback_scan_determinismE0ELb1ELb1ES3_N6thrust23THRUST_200600_302600_NS6detail15normal_iteratorINS9_10device_ptrIxEEEENS9_16discard_iteratorINS9_11use_defaultEEExNS9_4plusIvEExEEDaPvRmT3_T4_T5_mT6_P12ihipStream_tbENKUlT_T0_E_clISt17integral_constantIbLb1EESX_EEDaSS_ST_EUlSS_E0_NS1_11comp_targetILNS1_3genE10ELNS1_11target_archE1201ELNS1_3gpuE5ELNS1_3repE0EEENS1_30default_config_static_selectorELNS0_4arch9wavefront6targetE1EEEvT1_ ; -- Begin function _ZN7rocprim17ROCPRIM_400000_NS6detail17trampoline_kernelINS0_14default_configENS1_20scan_config_selectorIxEEZZNS1_9scan_implILNS1_25lookback_scan_determinismE0ELb1ELb1ES3_N6thrust23THRUST_200600_302600_NS6detail15normal_iteratorINS9_10device_ptrIxEEEENS9_16discard_iteratorINS9_11use_defaultEEExNS9_4plusIvEExEEDaPvRmT3_T4_T5_mT6_P12ihipStream_tbENKUlT_T0_E_clISt17integral_constantIbLb1EESX_EEDaSS_ST_EUlSS_E0_NS1_11comp_targetILNS1_3genE10ELNS1_11target_archE1201ELNS1_3gpuE5ELNS1_3repE0EEENS1_30default_config_static_selectorELNS0_4arch9wavefront6targetE1EEEvT1_
	.globl	_ZN7rocprim17ROCPRIM_400000_NS6detail17trampoline_kernelINS0_14default_configENS1_20scan_config_selectorIxEEZZNS1_9scan_implILNS1_25lookback_scan_determinismE0ELb1ELb1ES3_N6thrust23THRUST_200600_302600_NS6detail15normal_iteratorINS9_10device_ptrIxEEEENS9_16discard_iteratorINS9_11use_defaultEEExNS9_4plusIvEExEEDaPvRmT3_T4_T5_mT6_P12ihipStream_tbENKUlT_T0_E_clISt17integral_constantIbLb1EESX_EEDaSS_ST_EUlSS_E0_NS1_11comp_targetILNS1_3genE10ELNS1_11target_archE1201ELNS1_3gpuE5ELNS1_3repE0EEENS1_30default_config_static_selectorELNS0_4arch9wavefront6targetE1EEEvT1_
	.p2align	8
	.type	_ZN7rocprim17ROCPRIM_400000_NS6detail17trampoline_kernelINS0_14default_configENS1_20scan_config_selectorIxEEZZNS1_9scan_implILNS1_25lookback_scan_determinismE0ELb1ELb1ES3_N6thrust23THRUST_200600_302600_NS6detail15normal_iteratorINS9_10device_ptrIxEEEENS9_16discard_iteratorINS9_11use_defaultEEExNS9_4plusIvEExEEDaPvRmT3_T4_T5_mT6_P12ihipStream_tbENKUlT_T0_E_clISt17integral_constantIbLb1EESX_EEDaSS_ST_EUlSS_E0_NS1_11comp_targetILNS1_3genE10ELNS1_11target_archE1201ELNS1_3gpuE5ELNS1_3repE0EEENS1_30default_config_static_selectorELNS0_4arch9wavefront6targetE1EEEvT1_,@function
_ZN7rocprim17ROCPRIM_400000_NS6detail17trampoline_kernelINS0_14default_configENS1_20scan_config_selectorIxEEZZNS1_9scan_implILNS1_25lookback_scan_determinismE0ELb1ELb1ES3_N6thrust23THRUST_200600_302600_NS6detail15normal_iteratorINS9_10device_ptrIxEEEENS9_16discard_iteratorINS9_11use_defaultEEExNS9_4plusIvEExEEDaPvRmT3_T4_T5_mT6_P12ihipStream_tbENKUlT_T0_E_clISt17integral_constantIbLb1EESX_EEDaSS_ST_EUlSS_E0_NS1_11comp_targetILNS1_3genE10ELNS1_11target_archE1201ELNS1_3gpuE5ELNS1_3repE0EEENS1_30default_config_static_selectorELNS0_4arch9wavefront6targetE1EEEvT1_: ; @_ZN7rocprim17ROCPRIM_400000_NS6detail17trampoline_kernelINS0_14default_configENS1_20scan_config_selectorIxEEZZNS1_9scan_implILNS1_25lookback_scan_determinismE0ELb1ELb1ES3_N6thrust23THRUST_200600_302600_NS6detail15normal_iteratorINS9_10device_ptrIxEEEENS9_16discard_iteratorINS9_11use_defaultEEExNS9_4plusIvEExEEDaPvRmT3_T4_T5_mT6_P12ihipStream_tbENKUlT_T0_E_clISt17integral_constantIbLb1EESX_EEDaSS_ST_EUlSS_E0_NS1_11comp_targetILNS1_3genE10ELNS1_11target_archE1201ELNS1_3gpuE5ELNS1_3repE0EEENS1_30default_config_static_selectorELNS0_4arch9wavefront6targetE1EEEvT1_
; %bb.0:
	.section	.rodata,"a",@progbits
	.p2align	6, 0x0
	.amdhsa_kernel _ZN7rocprim17ROCPRIM_400000_NS6detail17trampoline_kernelINS0_14default_configENS1_20scan_config_selectorIxEEZZNS1_9scan_implILNS1_25lookback_scan_determinismE0ELb1ELb1ES3_N6thrust23THRUST_200600_302600_NS6detail15normal_iteratorINS9_10device_ptrIxEEEENS9_16discard_iteratorINS9_11use_defaultEEExNS9_4plusIvEExEEDaPvRmT3_T4_T5_mT6_P12ihipStream_tbENKUlT_T0_E_clISt17integral_constantIbLb1EESX_EEDaSS_ST_EUlSS_E0_NS1_11comp_targetILNS1_3genE10ELNS1_11target_archE1201ELNS1_3gpuE5ELNS1_3repE0EEENS1_30default_config_static_selectorELNS0_4arch9wavefront6targetE1EEEvT1_
		.amdhsa_group_segment_fixed_size 0
		.amdhsa_private_segment_fixed_size 0
		.amdhsa_kernarg_size 48
		.amdhsa_user_sgpr_count 6
		.amdhsa_user_sgpr_private_segment_buffer 1
		.amdhsa_user_sgpr_dispatch_ptr 0
		.amdhsa_user_sgpr_queue_ptr 0
		.amdhsa_user_sgpr_kernarg_segment_ptr 1
		.amdhsa_user_sgpr_dispatch_id 0
		.amdhsa_user_sgpr_flat_scratch_init 0
		.amdhsa_user_sgpr_kernarg_preload_length 0
		.amdhsa_user_sgpr_kernarg_preload_offset 0
		.amdhsa_user_sgpr_private_segment_size 0
		.amdhsa_uses_dynamic_stack 0
		.amdhsa_system_sgpr_private_segment_wavefront_offset 0
		.amdhsa_system_sgpr_workgroup_id_x 1
		.amdhsa_system_sgpr_workgroup_id_y 0
		.amdhsa_system_sgpr_workgroup_id_z 0
		.amdhsa_system_sgpr_workgroup_info 0
		.amdhsa_system_vgpr_workitem_id 0
		.amdhsa_next_free_vgpr 1
		.amdhsa_next_free_sgpr 0
		.amdhsa_accum_offset 4
		.amdhsa_reserve_vcc 0
		.amdhsa_reserve_flat_scratch 0
		.amdhsa_float_round_mode_32 0
		.amdhsa_float_round_mode_16_64 0
		.amdhsa_float_denorm_mode_32 3
		.amdhsa_float_denorm_mode_16_64 3
		.amdhsa_dx10_clamp 1
		.amdhsa_ieee_mode 1
		.amdhsa_fp16_overflow 0
		.amdhsa_tg_split 0
		.amdhsa_exception_fp_ieee_invalid_op 0
		.amdhsa_exception_fp_denorm_src 0
		.amdhsa_exception_fp_ieee_div_zero 0
		.amdhsa_exception_fp_ieee_overflow 0
		.amdhsa_exception_fp_ieee_underflow 0
		.amdhsa_exception_fp_ieee_inexact 0
		.amdhsa_exception_int_div_zero 0
	.end_amdhsa_kernel
	.section	.text._ZN7rocprim17ROCPRIM_400000_NS6detail17trampoline_kernelINS0_14default_configENS1_20scan_config_selectorIxEEZZNS1_9scan_implILNS1_25lookback_scan_determinismE0ELb1ELb1ES3_N6thrust23THRUST_200600_302600_NS6detail15normal_iteratorINS9_10device_ptrIxEEEENS9_16discard_iteratorINS9_11use_defaultEEExNS9_4plusIvEExEEDaPvRmT3_T4_T5_mT6_P12ihipStream_tbENKUlT_T0_E_clISt17integral_constantIbLb1EESX_EEDaSS_ST_EUlSS_E0_NS1_11comp_targetILNS1_3genE10ELNS1_11target_archE1201ELNS1_3gpuE5ELNS1_3repE0EEENS1_30default_config_static_selectorELNS0_4arch9wavefront6targetE1EEEvT1_,"axG",@progbits,_ZN7rocprim17ROCPRIM_400000_NS6detail17trampoline_kernelINS0_14default_configENS1_20scan_config_selectorIxEEZZNS1_9scan_implILNS1_25lookback_scan_determinismE0ELb1ELb1ES3_N6thrust23THRUST_200600_302600_NS6detail15normal_iteratorINS9_10device_ptrIxEEEENS9_16discard_iteratorINS9_11use_defaultEEExNS9_4plusIvEExEEDaPvRmT3_T4_T5_mT6_P12ihipStream_tbENKUlT_T0_E_clISt17integral_constantIbLb1EESX_EEDaSS_ST_EUlSS_E0_NS1_11comp_targetILNS1_3genE10ELNS1_11target_archE1201ELNS1_3gpuE5ELNS1_3repE0EEENS1_30default_config_static_selectorELNS0_4arch9wavefront6targetE1EEEvT1_,comdat
.Lfunc_end5686:
	.size	_ZN7rocprim17ROCPRIM_400000_NS6detail17trampoline_kernelINS0_14default_configENS1_20scan_config_selectorIxEEZZNS1_9scan_implILNS1_25lookback_scan_determinismE0ELb1ELb1ES3_N6thrust23THRUST_200600_302600_NS6detail15normal_iteratorINS9_10device_ptrIxEEEENS9_16discard_iteratorINS9_11use_defaultEEExNS9_4plusIvEExEEDaPvRmT3_T4_T5_mT6_P12ihipStream_tbENKUlT_T0_E_clISt17integral_constantIbLb1EESX_EEDaSS_ST_EUlSS_E0_NS1_11comp_targetILNS1_3genE10ELNS1_11target_archE1201ELNS1_3gpuE5ELNS1_3repE0EEENS1_30default_config_static_selectorELNS0_4arch9wavefront6targetE1EEEvT1_, .Lfunc_end5686-_ZN7rocprim17ROCPRIM_400000_NS6detail17trampoline_kernelINS0_14default_configENS1_20scan_config_selectorIxEEZZNS1_9scan_implILNS1_25lookback_scan_determinismE0ELb1ELb1ES3_N6thrust23THRUST_200600_302600_NS6detail15normal_iteratorINS9_10device_ptrIxEEEENS9_16discard_iteratorINS9_11use_defaultEEExNS9_4plusIvEExEEDaPvRmT3_T4_T5_mT6_P12ihipStream_tbENKUlT_T0_E_clISt17integral_constantIbLb1EESX_EEDaSS_ST_EUlSS_E0_NS1_11comp_targetILNS1_3genE10ELNS1_11target_archE1201ELNS1_3gpuE5ELNS1_3repE0EEENS1_30default_config_static_selectorELNS0_4arch9wavefront6targetE1EEEvT1_
                                        ; -- End function
	.section	.AMDGPU.csdata,"",@progbits
; Kernel info:
; codeLenInByte = 0
; NumSgprs: 4
; NumVgprs: 0
; NumAgprs: 0
; TotalNumVgprs: 0
; ScratchSize: 0
; MemoryBound: 0
; FloatMode: 240
; IeeeMode: 1
; LDSByteSize: 0 bytes/workgroup (compile time only)
; SGPRBlocks: 0
; VGPRBlocks: 0
; NumSGPRsForWavesPerEU: 4
; NumVGPRsForWavesPerEU: 1
; AccumOffset: 4
; Occupancy: 8
; WaveLimiterHint : 0
; COMPUTE_PGM_RSRC2:SCRATCH_EN: 0
; COMPUTE_PGM_RSRC2:USER_SGPR: 6
; COMPUTE_PGM_RSRC2:TRAP_HANDLER: 0
; COMPUTE_PGM_RSRC2:TGID_X_EN: 1
; COMPUTE_PGM_RSRC2:TGID_Y_EN: 0
; COMPUTE_PGM_RSRC2:TGID_Z_EN: 0
; COMPUTE_PGM_RSRC2:TIDIG_COMP_CNT: 0
; COMPUTE_PGM_RSRC3_GFX90A:ACCUM_OFFSET: 0
; COMPUTE_PGM_RSRC3_GFX90A:TG_SPLIT: 0
	.section	.text._ZN7rocprim17ROCPRIM_400000_NS6detail17trampoline_kernelINS0_14default_configENS1_20scan_config_selectorIxEEZZNS1_9scan_implILNS1_25lookback_scan_determinismE0ELb1ELb1ES3_N6thrust23THRUST_200600_302600_NS6detail15normal_iteratorINS9_10device_ptrIxEEEENS9_16discard_iteratorINS9_11use_defaultEEExNS9_4plusIvEExEEDaPvRmT3_T4_T5_mT6_P12ihipStream_tbENKUlT_T0_E_clISt17integral_constantIbLb1EESX_EEDaSS_ST_EUlSS_E0_NS1_11comp_targetILNS1_3genE10ELNS1_11target_archE1200ELNS1_3gpuE4ELNS1_3repE0EEENS1_30default_config_static_selectorELNS0_4arch9wavefront6targetE1EEEvT1_,"axG",@progbits,_ZN7rocprim17ROCPRIM_400000_NS6detail17trampoline_kernelINS0_14default_configENS1_20scan_config_selectorIxEEZZNS1_9scan_implILNS1_25lookback_scan_determinismE0ELb1ELb1ES3_N6thrust23THRUST_200600_302600_NS6detail15normal_iteratorINS9_10device_ptrIxEEEENS9_16discard_iteratorINS9_11use_defaultEEExNS9_4plusIvEExEEDaPvRmT3_T4_T5_mT6_P12ihipStream_tbENKUlT_T0_E_clISt17integral_constantIbLb1EESX_EEDaSS_ST_EUlSS_E0_NS1_11comp_targetILNS1_3genE10ELNS1_11target_archE1200ELNS1_3gpuE4ELNS1_3repE0EEENS1_30default_config_static_selectorELNS0_4arch9wavefront6targetE1EEEvT1_,comdat
	.protected	_ZN7rocprim17ROCPRIM_400000_NS6detail17trampoline_kernelINS0_14default_configENS1_20scan_config_selectorIxEEZZNS1_9scan_implILNS1_25lookback_scan_determinismE0ELb1ELb1ES3_N6thrust23THRUST_200600_302600_NS6detail15normal_iteratorINS9_10device_ptrIxEEEENS9_16discard_iteratorINS9_11use_defaultEEExNS9_4plusIvEExEEDaPvRmT3_T4_T5_mT6_P12ihipStream_tbENKUlT_T0_E_clISt17integral_constantIbLb1EESX_EEDaSS_ST_EUlSS_E0_NS1_11comp_targetILNS1_3genE10ELNS1_11target_archE1200ELNS1_3gpuE4ELNS1_3repE0EEENS1_30default_config_static_selectorELNS0_4arch9wavefront6targetE1EEEvT1_ ; -- Begin function _ZN7rocprim17ROCPRIM_400000_NS6detail17trampoline_kernelINS0_14default_configENS1_20scan_config_selectorIxEEZZNS1_9scan_implILNS1_25lookback_scan_determinismE0ELb1ELb1ES3_N6thrust23THRUST_200600_302600_NS6detail15normal_iteratorINS9_10device_ptrIxEEEENS9_16discard_iteratorINS9_11use_defaultEEExNS9_4plusIvEExEEDaPvRmT3_T4_T5_mT6_P12ihipStream_tbENKUlT_T0_E_clISt17integral_constantIbLb1EESX_EEDaSS_ST_EUlSS_E0_NS1_11comp_targetILNS1_3genE10ELNS1_11target_archE1200ELNS1_3gpuE4ELNS1_3repE0EEENS1_30default_config_static_selectorELNS0_4arch9wavefront6targetE1EEEvT1_
	.globl	_ZN7rocprim17ROCPRIM_400000_NS6detail17trampoline_kernelINS0_14default_configENS1_20scan_config_selectorIxEEZZNS1_9scan_implILNS1_25lookback_scan_determinismE0ELb1ELb1ES3_N6thrust23THRUST_200600_302600_NS6detail15normal_iteratorINS9_10device_ptrIxEEEENS9_16discard_iteratorINS9_11use_defaultEEExNS9_4plusIvEExEEDaPvRmT3_T4_T5_mT6_P12ihipStream_tbENKUlT_T0_E_clISt17integral_constantIbLb1EESX_EEDaSS_ST_EUlSS_E0_NS1_11comp_targetILNS1_3genE10ELNS1_11target_archE1200ELNS1_3gpuE4ELNS1_3repE0EEENS1_30default_config_static_selectorELNS0_4arch9wavefront6targetE1EEEvT1_
	.p2align	8
	.type	_ZN7rocprim17ROCPRIM_400000_NS6detail17trampoline_kernelINS0_14default_configENS1_20scan_config_selectorIxEEZZNS1_9scan_implILNS1_25lookback_scan_determinismE0ELb1ELb1ES3_N6thrust23THRUST_200600_302600_NS6detail15normal_iteratorINS9_10device_ptrIxEEEENS9_16discard_iteratorINS9_11use_defaultEEExNS9_4plusIvEExEEDaPvRmT3_T4_T5_mT6_P12ihipStream_tbENKUlT_T0_E_clISt17integral_constantIbLb1EESX_EEDaSS_ST_EUlSS_E0_NS1_11comp_targetILNS1_3genE10ELNS1_11target_archE1200ELNS1_3gpuE4ELNS1_3repE0EEENS1_30default_config_static_selectorELNS0_4arch9wavefront6targetE1EEEvT1_,@function
_ZN7rocprim17ROCPRIM_400000_NS6detail17trampoline_kernelINS0_14default_configENS1_20scan_config_selectorIxEEZZNS1_9scan_implILNS1_25lookback_scan_determinismE0ELb1ELb1ES3_N6thrust23THRUST_200600_302600_NS6detail15normal_iteratorINS9_10device_ptrIxEEEENS9_16discard_iteratorINS9_11use_defaultEEExNS9_4plusIvEExEEDaPvRmT3_T4_T5_mT6_P12ihipStream_tbENKUlT_T0_E_clISt17integral_constantIbLb1EESX_EEDaSS_ST_EUlSS_E0_NS1_11comp_targetILNS1_3genE10ELNS1_11target_archE1200ELNS1_3gpuE4ELNS1_3repE0EEENS1_30default_config_static_selectorELNS0_4arch9wavefront6targetE1EEEvT1_: ; @_ZN7rocprim17ROCPRIM_400000_NS6detail17trampoline_kernelINS0_14default_configENS1_20scan_config_selectorIxEEZZNS1_9scan_implILNS1_25lookback_scan_determinismE0ELb1ELb1ES3_N6thrust23THRUST_200600_302600_NS6detail15normal_iteratorINS9_10device_ptrIxEEEENS9_16discard_iteratorINS9_11use_defaultEEExNS9_4plusIvEExEEDaPvRmT3_T4_T5_mT6_P12ihipStream_tbENKUlT_T0_E_clISt17integral_constantIbLb1EESX_EEDaSS_ST_EUlSS_E0_NS1_11comp_targetILNS1_3genE10ELNS1_11target_archE1200ELNS1_3gpuE4ELNS1_3repE0EEENS1_30default_config_static_selectorELNS0_4arch9wavefront6targetE1EEEvT1_
; %bb.0:
	.section	.rodata,"a",@progbits
	.p2align	6, 0x0
	.amdhsa_kernel _ZN7rocprim17ROCPRIM_400000_NS6detail17trampoline_kernelINS0_14default_configENS1_20scan_config_selectorIxEEZZNS1_9scan_implILNS1_25lookback_scan_determinismE0ELb1ELb1ES3_N6thrust23THRUST_200600_302600_NS6detail15normal_iteratorINS9_10device_ptrIxEEEENS9_16discard_iteratorINS9_11use_defaultEEExNS9_4plusIvEExEEDaPvRmT3_T4_T5_mT6_P12ihipStream_tbENKUlT_T0_E_clISt17integral_constantIbLb1EESX_EEDaSS_ST_EUlSS_E0_NS1_11comp_targetILNS1_3genE10ELNS1_11target_archE1200ELNS1_3gpuE4ELNS1_3repE0EEENS1_30default_config_static_selectorELNS0_4arch9wavefront6targetE1EEEvT1_
		.amdhsa_group_segment_fixed_size 0
		.amdhsa_private_segment_fixed_size 0
		.amdhsa_kernarg_size 48
		.amdhsa_user_sgpr_count 6
		.amdhsa_user_sgpr_private_segment_buffer 1
		.amdhsa_user_sgpr_dispatch_ptr 0
		.amdhsa_user_sgpr_queue_ptr 0
		.amdhsa_user_sgpr_kernarg_segment_ptr 1
		.amdhsa_user_sgpr_dispatch_id 0
		.amdhsa_user_sgpr_flat_scratch_init 0
		.amdhsa_user_sgpr_kernarg_preload_length 0
		.amdhsa_user_sgpr_kernarg_preload_offset 0
		.amdhsa_user_sgpr_private_segment_size 0
		.amdhsa_uses_dynamic_stack 0
		.amdhsa_system_sgpr_private_segment_wavefront_offset 0
		.amdhsa_system_sgpr_workgroup_id_x 1
		.amdhsa_system_sgpr_workgroup_id_y 0
		.amdhsa_system_sgpr_workgroup_id_z 0
		.amdhsa_system_sgpr_workgroup_info 0
		.amdhsa_system_vgpr_workitem_id 0
		.amdhsa_next_free_vgpr 1
		.amdhsa_next_free_sgpr 0
		.amdhsa_accum_offset 4
		.amdhsa_reserve_vcc 0
		.amdhsa_reserve_flat_scratch 0
		.amdhsa_float_round_mode_32 0
		.amdhsa_float_round_mode_16_64 0
		.amdhsa_float_denorm_mode_32 3
		.amdhsa_float_denorm_mode_16_64 3
		.amdhsa_dx10_clamp 1
		.amdhsa_ieee_mode 1
		.amdhsa_fp16_overflow 0
		.amdhsa_tg_split 0
		.amdhsa_exception_fp_ieee_invalid_op 0
		.amdhsa_exception_fp_denorm_src 0
		.amdhsa_exception_fp_ieee_div_zero 0
		.amdhsa_exception_fp_ieee_overflow 0
		.amdhsa_exception_fp_ieee_underflow 0
		.amdhsa_exception_fp_ieee_inexact 0
		.amdhsa_exception_int_div_zero 0
	.end_amdhsa_kernel
	.section	.text._ZN7rocprim17ROCPRIM_400000_NS6detail17trampoline_kernelINS0_14default_configENS1_20scan_config_selectorIxEEZZNS1_9scan_implILNS1_25lookback_scan_determinismE0ELb1ELb1ES3_N6thrust23THRUST_200600_302600_NS6detail15normal_iteratorINS9_10device_ptrIxEEEENS9_16discard_iteratorINS9_11use_defaultEEExNS9_4plusIvEExEEDaPvRmT3_T4_T5_mT6_P12ihipStream_tbENKUlT_T0_E_clISt17integral_constantIbLb1EESX_EEDaSS_ST_EUlSS_E0_NS1_11comp_targetILNS1_3genE10ELNS1_11target_archE1200ELNS1_3gpuE4ELNS1_3repE0EEENS1_30default_config_static_selectorELNS0_4arch9wavefront6targetE1EEEvT1_,"axG",@progbits,_ZN7rocprim17ROCPRIM_400000_NS6detail17trampoline_kernelINS0_14default_configENS1_20scan_config_selectorIxEEZZNS1_9scan_implILNS1_25lookback_scan_determinismE0ELb1ELb1ES3_N6thrust23THRUST_200600_302600_NS6detail15normal_iteratorINS9_10device_ptrIxEEEENS9_16discard_iteratorINS9_11use_defaultEEExNS9_4plusIvEExEEDaPvRmT3_T4_T5_mT6_P12ihipStream_tbENKUlT_T0_E_clISt17integral_constantIbLb1EESX_EEDaSS_ST_EUlSS_E0_NS1_11comp_targetILNS1_3genE10ELNS1_11target_archE1200ELNS1_3gpuE4ELNS1_3repE0EEENS1_30default_config_static_selectorELNS0_4arch9wavefront6targetE1EEEvT1_,comdat
.Lfunc_end5687:
	.size	_ZN7rocprim17ROCPRIM_400000_NS6detail17trampoline_kernelINS0_14default_configENS1_20scan_config_selectorIxEEZZNS1_9scan_implILNS1_25lookback_scan_determinismE0ELb1ELb1ES3_N6thrust23THRUST_200600_302600_NS6detail15normal_iteratorINS9_10device_ptrIxEEEENS9_16discard_iteratorINS9_11use_defaultEEExNS9_4plusIvEExEEDaPvRmT3_T4_T5_mT6_P12ihipStream_tbENKUlT_T0_E_clISt17integral_constantIbLb1EESX_EEDaSS_ST_EUlSS_E0_NS1_11comp_targetILNS1_3genE10ELNS1_11target_archE1200ELNS1_3gpuE4ELNS1_3repE0EEENS1_30default_config_static_selectorELNS0_4arch9wavefront6targetE1EEEvT1_, .Lfunc_end5687-_ZN7rocprim17ROCPRIM_400000_NS6detail17trampoline_kernelINS0_14default_configENS1_20scan_config_selectorIxEEZZNS1_9scan_implILNS1_25lookback_scan_determinismE0ELb1ELb1ES3_N6thrust23THRUST_200600_302600_NS6detail15normal_iteratorINS9_10device_ptrIxEEEENS9_16discard_iteratorINS9_11use_defaultEEExNS9_4plusIvEExEEDaPvRmT3_T4_T5_mT6_P12ihipStream_tbENKUlT_T0_E_clISt17integral_constantIbLb1EESX_EEDaSS_ST_EUlSS_E0_NS1_11comp_targetILNS1_3genE10ELNS1_11target_archE1200ELNS1_3gpuE4ELNS1_3repE0EEENS1_30default_config_static_selectorELNS0_4arch9wavefront6targetE1EEEvT1_
                                        ; -- End function
	.section	.AMDGPU.csdata,"",@progbits
; Kernel info:
; codeLenInByte = 0
; NumSgprs: 4
; NumVgprs: 0
; NumAgprs: 0
; TotalNumVgprs: 0
; ScratchSize: 0
; MemoryBound: 0
; FloatMode: 240
; IeeeMode: 1
; LDSByteSize: 0 bytes/workgroup (compile time only)
; SGPRBlocks: 0
; VGPRBlocks: 0
; NumSGPRsForWavesPerEU: 4
; NumVGPRsForWavesPerEU: 1
; AccumOffset: 4
; Occupancy: 8
; WaveLimiterHint : 0
; COMPUTE_PGM_RSRC2:SCRATCH_EN: 0
; COMPUTE_PGM_RSRC2:USER_SGPR: 6
; COMPUTE_PGM_RSRC2:TRAP_HANDLER: 0
; COMPUTE_PGM_RSRC2:TGID_X_EN: 1
; COMPUTE_PGM_RSRC2:TGID_Y_EN: 0
; COMPUTE_PGM_RSRC2:TGID_Z_EN: 0
; COMPUTE_PGM_RSRC2:TIDIG_COMP_CNT: 0
; COMPUTE_PGM_RSRC3_GFX90A:ACCUM_OFFSET: 0
; COMPUTE_PGM_RSRC3_GFX90A:TG_SPLIT: 0
	.section	.text._ZN7rocprim17ROCPRIM_400000_NS6detail17trampoline_kernelINS0_14default_configENS1_20scan_config_selectorIxEEZZNS1_9scan_implILNS1_25lookback_scan_determinismE0ELb1ELb1ES3_N6thrust23THRUST_200600_302600_NS6detail15normal_iteratorINS9_10device_ptrIxEEEENS9_16discard_iteratorINS9_11use_defaultEEExNS9_4plusIvEExEEDaPvRmT3_T4_T5_mT6_P12ihipStream_tbENKUlT_T0_E_clISt17integral_constantIbLb1EESX_EEDaSS_ST_EUlSS_E0_NS1_11comp_targetILNS1_3genE9ELNS1_11target_archE1100ELNS1_3gpuE3ELNS1_3repE0EEENS1_30default_config_static_selectorELNS0_4arch9wavefront6targetE1EEEvT1_,"axG",@progbits,_ZN7rocprim17ROCPRIM_400000_NS6detail17trampoline_kernelINS0_14default_configENS1_20scan_config_selectorIxEEZZNS1_9scan_implILNS1_25lookback_scan_determinismE0ELb1ELb1ES3_N6thrust23THRUST_200600_302600_NS6detail15normal_iteratorINS9_10device_ptrIxEEEENS9_16discard_iteratorINS9_11use_defaultEEExNS9_4plusIvEExEEDaPvRmT3_T4_T5_mT6_P12ihipStream_tbENKUlT_T0_E_clISt17integral_constantIbLb1EESX_EEDaSS_ST_EUlSS_E0_NS1_11comp_targetILNS1_3genE9ELNS1_11target_archE1100ELNS1_3gpuE3ELNS1_3repE0EEENS1_30default_config_static_selectorELNS0_4arch9wavefront6targetE1EEEvT1_,comdat
	.protected	_ZN7rocprim17ROCPRIM_400000_NS6detail17trampoline_kernelINS0_14default_configENS1_20scan_config_selectorIxEEZZNS1_9scan_implILNS1_25lookback_scan_determinismE0ELb1ELb1ES3_N6thrust23THRUST_200600_302600_NS6detail15normal_iteratorINS9_10device_ptrIxEEEENS9_16discard_iteratorINS9_11use_defaultEEExNS9_4plusIvEExEEDaPvRmT3_T4_T5_mT6_P12ihipStream_tbENKUlT_T0_E_clISt17integral_constantIbLb1EESX_EEDaSS_ST_EUlSS_E0_NS1_11comp_targetILNS1_3genE9ELNS1_11target_archE1100ELNS1_3gpuE3ELNS1_3repE0EEENS1_30default_config_static_selectorELNS0_4arch9wavefront6targetE1EEEvT1_ ; -- Begin function _ZN7rocprim17ROCPRIM_400000_NS6detail17trampoline_kernelINS0_14default_configENS1_20scan_config_selectorIxEEZZNS1_9scan_implILNS1_25lookback_scan_determinismE0ELb1ELb1ES3_N6thrust23THRUST_200600_302600_NS6detail15normal_iteratorINS9_10device_ptrIxEEEENS9_16discard_iteratorINS9_11use_defaultEEExNS9_4plusIvEExEEDaPvRmT3_T4_T5_mT6_P12ihipStream_tbENKUlT_T0_E_clISt17integral_constantIbLb1EESX_EEDaSS_ST_EUlSS_E0_NS1_11comp_targetILNS1_3genE9ELNS1_11target_archE1100ELNS1_3gpuE3ELNS1_3repE0EEENS1_30default_config_static_selectorELNS0_4arch9wavefront6targetE1EEEvT1_
	.globl	_ZN7rocprim17ROCPRIM_400000_NS6detail17trampoline_kernelINS0_14default_configENS1_20scan_config_selectorIxEEZZNS1_9scan_implILNS1_25lookback_scan_determinismE0ELb1ELb1ES3_N6thrust23THRUST_200600_302600_NS6detail15normal_iteratorINS9_10device_ptrIxEEEENS9_16discard_iteratorINS9_11use_defaultEEExNS9_4plusIvEExEEDaPvRmT3_T4_T5_mT6_P12ihipStream_tbENKUlT_T0_E_clISt17integral_constantIbLb1EESX_EEDaSS_ST_EUlSS_E0_NS1_11comp_targetILNS1_3genE9ELNS1_11target_archE1100ELNS1_3gpuE3ELNS1_3repE0EEENS1_30default_config_static_selectorELNS0_4arch9wavefront6targetE1EEEvT1_
	.p2align	8
	.type	_ZN7rocprim17ROCPRIM_400000_NS6detail17trampoline_kernelINS0_14default_configENS1_20scan_config_selectorIxEEZZNS1_9scan_implILNS1_25lookback_scan_determinismE0ELb1ELb1ES3_N6thrust23THRUST_200600_302600_NS6detail15normal_iteratorINS9_10device_ptrIxEEEENS9_16discard_iteratorINS9_11use_defaultEEExNS9_4plusIvEExEEDaPvRmT3_T4_T5_mT6_P12ihipStream_tbENKUlT_T0_E_clISt17integral_constantIbLb1EESX_EEDaSS_ST_EUlSS_E0_NS1_11comp_targetILNS1_3genE9ELNS1_11target_archE1100ELNS1_3gpuE3ELNS1_3repE0EEENS1_30default_config_static_selectorELNS0_4arch9wavefront6targetE1EEEvT1_,@function
_ZN7rocprim17ROCPRIM_400000_NS6detail17trampoline_kernelINS0_14default_configENS1_20scan_config_selectorIxEEZZNS1_9scan_implILNS1_25lookback_scan_determinismE0ELb1ELb1ES3_N6thrust23THRUST_200600_302600_NS6detail15normal_iteratorINS9_10device_ptrIxEEEENS9_16discard_iteratorINS9_11use_defaultEEExNS9_4plusIvEExEEDaPvRmT3_T4_T5_mT6_P12ihipStream_tbENKUlT_T0_E_clISt17integral_constantIbLb1EESX_EEDaSS_ST_EUlSS_E0_NS1_11comp_targetILNS1_3genE9ELNS1_11target_archE1100ELNS1_3gpuE3ELNS1_3repE0EEENS1_30default_config_static_selectorELNS0_4arch9wavefront6targetE1EEEvT1_: ; @_ZN7rocprim17ROCPRIM_400000_NS6detail17trampoline_kernelINS0_14default_configENS1_20scan_config_selectorIxEEZZNS1_9scan_implILNS1_25lookback_scan_determinismE0ELb1ELb1ES3_N6thrust23THRUST_200600_302600_NS6detail15normal_iteratorINS9_10device_ptrIxEEEENS9_16discard_iteratorINS9_11use_defaultEEExNS9_4plusIvEExEEDaPvRmT3_T4_T5_mT6_P12ihipStream_tbENKUlT_T0_E_clISt17integral_constantIbLb1EESX_EEDaSS_ST_EUlSS_E0_NS1_11comp_targetILNS1_3genE9ELNS1_11target_archE1100ELNS1_3gpuE3ELNS1_3repE0EEENS1_30default_config_static_selectorELNS0_4arch9wavefront6targetE1EEEvT1_
; %bb.0:
	.section	.rodata,"a",@progbits
	.p2align	6, 0x0
	.amdhsa_kernel _ZN7rocprim17ROCPRIM_400000_NS6detail17trampoline_kernelINS0_14default_configENS1_20scan_config_selectorIxEEZZNS1_9scan_implILNS1_25lookback_scan_determinismE0ELb1ELb1ES3_N6thrust23THRUST_200600_302600_NS6detail15normal_iteratorINS9_10device_ptrIxEEEENS9_16discard_iteratorINS9_11use_defaultEEExNS9_4plusIvEExEEDaPvRmT3_T4_T5_mT6_P12ihipStream_tbENKUlT_T0_E_clISt17integral_constantIbLb1EESX_EEDaSS_ST_EUlSS_E0_NS1_11comp_targetILNS1_3genE9ELNS1_11target_archE1100ELNS1_3gpuE3ELNS1_3repE0EEENS1_30default_config_static_selectorELNS0_4arch9wavefront6targetE1EEEvT1_
		.amdhsa_group_segment_fixed_size 0
		.amdhsa_private_segment_fixed_size 0
		.amdhsa_kernarg_size 48
		.amdhsa_user_sgpr_count 6
		.amdhsa_user_sgpr_private_segment_buffer 1
		.amdhsa_user_sgpr_dispatch_ptr 0
		.amdhsa_user_sgpr_queue_ptr 0
		.amdhsa_user_sgpr_kernarg_segment_ptr 1
		.amdhsa_user_sgpr_dispatch_id 0
		.amdhsa_user_sgpr_flat_scratch_init 0
		.amdhsa_user_sgpr_kernarg_preload_length 0
		.amdhsa_user_sgpr_kernarg_preload_offset 0
		.amdhsa_user_sgpr_private_segment_size 0
		.amdhsa_uses_dynamic_stack 0
		.amdhsa_system_sgpr_private_segment_wavefront_offset 0
		.amdhsa_system_sgpr_workgroup_id_x 1
		.amdhsa_system_sgpr_workgroup_id_y 0
		.amdhsa_system_sgpr_workgroup_id_z 0
		.amdhsa_system_sgpr_workgroup_info 0
		.amdhsa_system_vgpr_workitem_id 0
		.amdhsa_next_free_vgpr 1
		.amdhsa_next_free_sgpr 0
		.amdhsa_accum_offset 4
		.amdhsa_reserve_vcc 0
		.amdhsa_reserve_flat_scratch 0
		.amdhsa_float_round_mode_32 0
		.amdhsa_float_round_mode_16_64 0
		.amdhsa_float_denorm_mode_32 3
		.amdhsa_float_denorm_mode_16_64 3
		.amdhsa_dx10_clamp 1
		.amdhsa_ieee_mode 1
		.amdhsa_fp16_overflow 0
		.amdhsa_tg_split 0
		.amdhsa_exception_fp_ieee_invalid_op 0
		.amdhsa_exception_fp_denorm_src 0
		.amdhsa_exception_fp_ieee_div_zero 0
		.amdhsa_exception_fp_ieee_overflow 0
		.amdhsa_exception_fp_ieee_underflow 0
		.amdhsa_exception_fp_ieee_inexact 0
		.amdhsa_exception_int_div_zero 0
	.end_amdhsa_kernel
	.section	.text._ZN7rocprim17ROCPRIM_400000_NS6detail17trampoline_kernelINS0_14default_configENS1_20scan_config_selectorIxEEZZNS1_9scan_implILNS1_25lookback_scan_determinismE0ELb1ELb1ES3_N6thrust23THRUST_200600_302600_NS6detail15normal_iteratorINS9_10device_ptrIxEEEENS9_16discard_iteratorINS9_11use_defaultEEExNS9_4plusIvEExEEDaPvRmT3_T4_T5_mT6_P12ihipStream_tbENKUlT_T0_E_clISt17integral_constantIbLb1EESX_EEDaSS_ST_EUlSS_E0_NS1_11comp_targetILNS1_3genE9ELNS1_11target_archE1100ELNS1_3gpuE3ELNS1_3repE0EEENS1_30default_config_static_selectorELNS0_4arch9wavefront6targetE1EEEvT1_,"axG",@progbits,_ZN7rocprim17ROCPRIM_400000_NS6detail17trampoline_kernelINS0_14default_configENS1_20scan_config_selectorIxEEZZNS1_9scan_implILNS1_25lookback_scan_determinismE0ELb1ELb1ES3_N6thrust23THRUST_200600_302600_NS6detail15normal_iteratorINS9_10device_ptrIxEEEENS9_16discard_iteratorINS9_11use_defaultEEExNS9_4plusIvEExEEDaPvRmT3_T4_T5_mT6_P12ihipStream_tbENKUlT_T0_E_clISt17integral_constantIbLb1EESX_EEDaSS_ST_EUlSS_E0_NS1_11comp_targetILNS1_3genE9ELNS1_11target_archE1100ELNS1_3gpuE3ELNS1_3repE0EEENS1_30default_config_static_selectorELNS0_4arch9wavefront6targetE1EEEvT1_,comdat
.Lfunc_end5688:
	.size	_ZN7rocprim17ROCPRIM_400000_NS6detail17trampoline_kernelINS0_14default_configENS1_20scan_config_selectorIxEEZZNS1_9scan_implILNS1_25lookback_scan_determinismE0ELb1ELb1ES3_N6thrust23THRUST_200600_302600_NS6detail15normal_iteratorINS9_10device_ptrIxEEEENS9_16discard_iteratorINS9_11use_defaultEEExNS9_4plusIvEExEEDaPvRmT3_T4_T5_mT6_P12ihipStream_tbENKUlT_T0_E_clISt17integral_constantIbLb1EESX_EEDaSS_ST_EUlSS_E0_NS1_11comp_targetILNS1_3genE9ELNS1_11target_archE1100ELNS1_3gpuE3ELNS1_3repE0EEENS1_30default_config_static_selectorELNS0_4arch9wavefront6targetE1EEEvT1_, .Lfunc_end5688-_ZN7rocprim17ROCPRIM_400000_NS6detail17trampoline_kernelINS0_14default_configENS1_20scan_config_selectorIxEEZZNS1_9scan_implILNS1_25lookback_scan_determinismE0ELb1ELb1ES3_N6thrust23THRUST_200600_302600_NS6detail15normal_iteratorINS9_10device_ptrIxEEEENS9_16discard_iteratorINS9_11use_defaultEEExNS9_4plusIvEExEEDaPvRmT3_T4_T5_mT6_P12ihipStream_tbENKUlT_T0_E_clISt17integral_constantIbLb1EESX_EEDaSS_ST_EUlSS_E0_NS1_11comp_targetILNS1_3genE9ELNS1_11target_archE1100ELNS1_3gpuE3ELNS1_3repE0EEENS1_30default_config_static_selectorELNS0_4arch9wavefront6targetE1EEEvT1_
                                        ; -- End function
	.section	.AMDGPU.csdata,"",@progbits
; Kernel info:
; codeLenInByte = 0
; NumSgprs: 4
; NumVgprs: 0
; NumAgprs: 0
; TotalNumVgprs: 0
; ScratchSize: 0
; MemoryBound: 0
; FloatMode: 240
; IeeeMode: 1
; LDSByteSize: 0 bytes/workgroup (compile time only)
; SGPRBlocks: 0
; VGPRBlocks: 0
; NumSGPRsForWavesPerEU: 4
; NumVGPRsForWavesPerEU: 1
; AccumOffset: 4
; Occupancy: 8
; WaveLimiterHint : 0
; COMPUTE_PGM_RSRC2:SCRATCH_EN: 0
; COMPUTE_PGM_RSRC2:USER_SGPR: 6
; COMPUTE_PGM_RSRC2:TRAP_HANDLER: 0
; COMPUTE_PGM_RSRC2:TGID_X_EN: 1
; COMPUTE_PGM_RSRC2:TGID_Y_EN: 0
; COMPUTE_PGM_RSRC2:TGID_Z_EN: 0
; COMPUTE_PGM_RSRC2:TIDIG_COMP_CNT: 0
; COMPUTE_PGM_RSRC3_GFX90A:ACCUM_OFFSET: 0
; COMPUTE_PGM_RSRC3_GFX90A:TG_SPLIT: 0
	.section	.text._ZN7rocprim17ROCPRIM_400000_NS6detail17trampoline_kernelINS0_14default_configENS1_20scan_config_selectorIxEEZZNS1_9scan_implILNS1_25lookback_scan_determinismE0ELb1ELb1ES3_N6thrust23THRUST_200600_302600_NS6detail15normal_iteratorINS9_10device_ptrIxEEEENS9_16discard_iteratorINS9_11use_defaultEEExNS9_4plusIvEExEEDaPvRmT3_T4_T5_mT6_P12ihipStream_tbENKUlT_T0_E_clISt17integral_constantIbLb1EESX_EEDaSS_ST_EUlSS_E0_NS1_11comp_targetILNS1_3genE8ELNS1_11target_archE1030ELNS1_3gpuE2ELNS1_3repE0EEENS1_30default_config_static_selectorELNS0_4arch9wavefront6targetE1EEEvT1_,"axG",@progbits,_ZN7rocprim17ROCPRIM_400000_NS6detail17trampoline_kernelINS0_14default_configENS1_20scan_config_selectorIxEEZZNS1_9scan_implILNS1_25lookback_scan_determinismE0ELb1ELb1ES3_N6thrust23THRUST_200600_302600_NS6detail15normal_iteratorINS9_10device_ptrIxEEEENS9_16discard_iteratorINS9_11use_defaultEEExNS9_4plusIvEExEEDaPvRmT3_T4_T5_mT6_P12ihipStream_tbENKUlT_T0_E_clISt17integral_constantIbLb1EESX_EEDaSS_ST_EUlSS_E0_NS1_11comp_targetILNS1_3genE8ELNS1_11target_archE1030ELNS1_3gpuE2ELNS1_3repE0EEENS1_30default_config_static_selectorELNS0_4arch9wavefront6targetE1EEEvT1_,comdat
	.protected	_ZN7rocprim17ROCPRIM_400000_NS6detail17trampoline_kernelINS0_14default_configENS1_20scan_config_selectorIxEEZZNS1_9scan_implILNS1_25lookback_scan_determinismE0ELb1ELb1ES3_N6thrust23THRUST_200600_302600_NS6detail15normal_iteratorINS9_10device_ptrIxEEEENS9_16discard_iteratorINS9_11use_defaultEEExNS9_4plusIvEExEEDaPvRmT3_T4_T5_mT6_P12ihipStream_tbENKUlT_T0_E_clISt17integral_constantIbLb1EESX_EEDaSS_ST_EUlSS_E0_NS1_11comp_targetILNS1_3genE8ELNS1_11target_archE1030ELNS1_3gpuE2ELNS1_3repE0EEENS1_30default_config_static_selectorELNS0_4arch9wavefront6targetE1EEEvT1_ ; -- Begin function _ZN7rocprim17ROCPRIM_400000_NS6detail17trampoline_kernelINS0_14default_configENS1_20scan_config_selectorIxEEZZNS1_9scan_implILNS1_25lookback_scan_determinismE0ELb1ELb1ES3_N6thrust23THRUST_200600_302600_NS6detail15normal_iteratorINS9_10device_ptrIxEEEENS9_16discard_iteratorINS9_11use_defaultEEExNS9_4plusIvEExEEDaPvRmT3_T4_T5_mT6_P12ihipStream_tbENKUlT_T0_E_clISt17integral_constantIbLb1EESX_EEDaSS_ST_EUlSS_E0_NS1_11comp_targetILNS1_3genE8ELNS1_11target_archE1030ELNS1_3gpuE2ELNS1_3repE0EEENS1_30default_config_static_selectorELNS0_4arch9wavefront6targetE1EEEvT1_
	.globl	_ZN7rocprim17ROCPRIM_400000_NS6detail17trampoline_kernelINS0_14default_configENS1_20scan_config_selectorIxEEZZNS1_9scan_implILNS1_25lookback_scan_determinismE0ELb1ELb1ES3_N6thrust23THRUST_200600_302600_NS6detail15normal_iteratorINS9_10device_ptrIxEEEENS9_16discard_iteratorINS9_11use_defaultEEExNS9_4plusIvEExEEDaPvRmT3_T4_T5_mT6_P12ihipStream_tbENKUlT_T0_E_clISt17integral_constantIbLb1EESX_EEDaSS_ST_EUlSS_E0_NS1_11comp_targetILNS1_3genE8ELNS1_11target_archE1030ELNS1_3gpuE2ELNS1_3repE0EEENS1_30default_config_static_selectorELNS0_4arch9wavefront6targetE1EEEvT1_
	.p2align	8
	.type	_ZN7rocprim17ROCPRIM_400000_NS6detail17trampoline_kernelINS0_14default_configENS1_20scan_config_selectorIxEEZZNS1_9scan_implILNS1_25lookback_scan_determinismE0ELb1ELb1ES3_N6thrust23THRUST_200600_302600_NS6detail15normal_iteratorINS9_10device_ptrIxEEEENS9_16discard_iteratorINS9_11use_defaultEEExNS9_4plusIvEExEEDaPvRmT3_T4_T5_mT6_P12ihipStream_tbENKUlT_T0_E_clISt17integral_constantIbLb1EESX_EEDaSS_ST_EUlSS_E0_NS1_11comp_targetILNS1_3genE8ELNS1_11target_archE1030ELNS1_3gpuE2ELNS1_3repE0EEENS1_30default_config_static_selectorELNS0_4arch9wavefront6targetE1EEEvT1_,@function
_ZN7rocprim17ROCPRIM_400000_NS6detail17trampoline_kernelINS0_14default_configENS1_20scan_config_selectorIxEEZZNS1_9scan_implILNS1_25lookback_scan_determinismE0ELb1ELb1ES3_N6thrust23THRUST_200600_302600_NS6detail15normal_iteratorINS9_10device_ptrIxEEEENS9_16discard_iteratorINS9_11use_defaultEEExNS9_4plusIvEExEEDaPvRmT3_T4_T5_mT6_P12ihipStream_tbENKUlT_T0_E_clISt17integral_constantIbLb1EESX_EEDaSS_ST_EUlSS_E0_NS1_11comp_targetILNS1_3genE8ELNS1_11target_archE1030ELNS1_3gpuE2ELNS1_3repE0EEENS1_30default_config_static_selectorELNS0_4arch9wavefront6targetE1EEEvT1_: ; @_ZN7rocprim17ROCPRIM_400000_NS6detail17trampoline_kernelINS0_14default_configENS1_20scan_config_selectorIxEEZZNS1_9scan_implILNS1_25lookback_scan_determinismE0ELb1ELb1ES3_N6thrust23THRUST_200600_302600_NS6detail15normal_iteratorINS9_10device_ptrIxEEEENS9_16discard_iteratorINS9_11use_defaultEEExNS9_4plusIvEExEEDaPvRmT3_T4_T5_mT6_P12ihipStream_tbENKUlT_T0_E_clISt17integral_constantIbLb1EESX_EEDaSS_ST_EUlSS_E0_NS1_11comp_targetILNS1_3genE8ELNS1_11target_archE1030ELNS1_3gpuE2ELNS1_3repE0EEENS1_30default_config_static_selectorELNS0_4arch9wavefront6targetE1EEEvT1_
; %bb.0:
	.section	.rodata,"a",@progbits
	.p2align	6, 0x0
	.amdhsa_kernel _ZN7rocprim17ROCPRIM_400000_NS6detail17trampoline_kernelINS0_14default_configENS1_20scan_config_selectorIxEEZZNS1_9scan_implILNS1_25lookback_scan_determinismE0ELb1ELb1ES3_N6thrust23THRUST_200600_302600_NS6detail15normal_iteratorINS9_10device_ptrIxEEEENS9_16discard_iteratorINS9_11use_defaultEEExNS9_4plusIvEExEEDaPvRmT3_T4_T5_mT6_P12ihipStream_tbENKUlT_T0_E_clISt17integral_constantIbLb1EESX_EEDaSS_ST_EUlSS_E0_NS1_11comp_targetILNS1_3genE8ELNS1_11target_archE1030ELNS1_3gpuE2ELNS1_3repE0EEENS1_30default_config_static_selectorELNS0_4arch9wavefront6targetE1EEEvT1_
		.amdhsa_group_segment_fixed_size 0
		.amdhsa_private_segment_fixed_size 0
		.amdhsa_kernarg_size 48
		.amdhsa_user_sgpr_count 6
		.amdhsa_user_sgpr_private_segment_buffer 1
		.amdhsa_user_sgpr_dispatch_ptr 0
		.amdhsa_user_sgpr_queue_ptr 0
		.amdhsa_user_sgpr_kernarg_segment_ptr 1
		.amdhsa_user_sgpr_dispatch_id 0
		.amdhsa_user_sgpr_flat_scratch_init 0
		.amdhsa_user_sgpr_kernarg_preload_length 0
		.amdhsa_user_sgpr_kernarg_preload_offset 0
		.amdhsa_user_sgpr_private_segment_size 0
		.amdhsa_uses_dynamic_stack 0
		.amdhsa_system_sgpr_private_segment_wavefront_offset 0
		.amdhsa_system_sgpr_workgroup_id_x 1
		.amdhsa_system_sgpr_workgroup_id_y 0
		.amdhsa_system_sgpr_workgroup_id_z 0
		.amdhsa_system_sgpr_workgroup_info 0
		.amdhsa_system_vgpr_workitem_id 0
		.amdhsa_next_free_vgpr 1
		.amdhsa_next_free_sgpr 0
		.amdhsa_accum_offset 4
		.amdhsa_reserve_vcc 0
		.amdhsa_reserve_flat_scratch 0
		.amdhsa_float_round_mode_32 0
		.amdhsa_float_round_mode_16_64 0
		.amdhsa_float_denorm_mode_32 3
		.amdhsa_float_denorm_mode_16_64 3
		.amdhsa_dx10_clamp 1
		.amdhsa_ieee_mode 1
		.amdhsa_fp16_overflow 0
		.amdhsa_tg_split 0
		.amdhsa_exception_fp_ieee_invalid_op 0
		.amdhsa_exception_fp_denorm_src 0
		.amdhsa_exception_fp_ieee_div_zero 0
		.amdhsa_exception_fp_ieee_overflow 0
		.amdhsa_exception_fp_ieee_underflow 0
		.amdhsa_exception_fp_ieee_inexact 0
		.amdhsa_exception_int_div_zero 0
	.end_amdhsa_kernel
	.section	.text._ZN7rocprim17ROCPRIM_400000_NS6detail17trampoline_kernelINS0_14default_configENS1_20scan_config_selectorIxEEZZNS1_9scan_implILNS1_25lookback_scan_determinismE0ELb1ELb1ES3_N6thrust23THRUST_200600_302600_NS6detail15normal_iteratorINS9_10device_ptrIxEEEENS9_16discard_iteratorINS9_11use_defaultEEExNS9_4plusIvEExEEDaPvRmT3_T4_T5_mT6_P12ihipStream_tbENKUlT_T0_E_clISt17integral_constantIbLb1EESX_EEDaSS_ST_EUlSS_E0_NS1_11comp_targetILNS1_3genE8ELNS1_11target_archE1030ELNS1_3gpuE2ELNS1_3repE0EEENS1_30default_config_static_selectorELNS0_4arch9wavefront6targetE1EEEvT1_,"axG",@progbits,_ZN7rocprim17ROCPRIM_400000_NS6detail17trampoline_kernelINS0_14default_configENS1_20scan_config_selectorIxEEZZNS1_9scan_implILNS1_25lookback_scan_determinismE0ELb1ELb1ES3_N6thrust23THRUST_200600_302600_NS6detail15normal_iteratorINS9_10device_ptrIxEEEENS9_16discard_iteratorINS9_11use_defaultEEExNS9_4plusIvEExEEDaPvRmT3_T4_T5_mT6_P12ihipStream_tbENKUlT_T0_E_clISt17integral_constantIbLb1EESX_EEDaSS_ST_EUlSS_E0_NS1_11comp_targetILNS1_3genE8ELNS1_11target_archE1030ELNS1_3gpuE2ELNS1_3repE0EEENS1_30default_config_static_selectorELNS0_4arch9wavefront6targetE1EEEvT1_,comdat
.Lfunc_end5689:
	.size	_ZN7rocprim17ROCPRIM_400000_NS6detail17trampoline_kernelINS0_14default_configENS1_20scan_config_selectorIxEEZZNS1_9scan_implILNS1_25lookback_scan_determinismE0ELb1ELb1ES3_N6thrust23THRUST_200600_302600_NS6detail15normal_iteratorINS9_10device_ptrIxEEEENS9_16discard_iteratorINS9_11use_defaultEEExNS9_4plusIvEExEEDaPvRmT3_T4_T5_mT6_P12ihipStream_tbENKUlT_T0_E_clISt17integral_constantIbLb1EESX_EEDaSS_ST_EUlSS_E0_NS1_11comp_targetILNS1_3genE8ELNS1_11target_archE1030ELNS1_3gpuE2ELNS1_3repE0EEENS1_30default_config_static_selectorELNS0_4arch9wavefront6targetE1EEEvT1_, .Lfunc_end5689-_ZN7rocprim17ROCPRIM_400000_NS6detail17trampoline_kernelINS0_14default_configENS1_20scan_config_selectorIxEEZZNS1_9scan_implILNS1_25lookback_scan_determinismE0ELb1ELb1ES3_N6thrust23THRUST_200600_302600_NS6detail15normal_iteratorINS9_10device_ptrIxEEEENS9_16discard_iteratorINS9_11use_defaultEEExNS9_4plusIvEExEEDaPvRmT3_T4_T5_mT6_P12ihipStream_tbENKUlT_T0_E_clISt17integral_constantIbLb1EESX_EEDaSS_ST_EUlSS_E0_NS1_11comp_targetILNS1_3genE8ELNS1_11target_archE1030ELNS1_3gpuE2ELNS1_3repE0EEENS1_30default_config_static_selectorELNS0_4arch9wavefront6targetE1EEEvT1_
                                        ; -- End function
	.section	.AMDGPU.csdata,"",@progbits
; Kernel info:
; codeLenInByte = 0
; NumSgprs: 4
; NumVgprs: 0
; NumAgprs: 0
; TotalNumVgprs: 0
; ScratchSize: 0
; MemoryBound: 0
; FloatMode: 240
; IeeeMode: 1
; LDSByteSize: 0 bytes/workgroup (compile time only)
; SGPRBlocks: 0
; VGPRBlocks: 0
; NumSGPRsForWavesPerEU: 4
; NumVGPRsForWavesPerEU: 1
; AccumOffset: 4
; Occupancy: 8
; WaveLimiterHint : 0
; COMPUTE_PGM_RSRC2:SCRATCH_EN: 0
; COMPUTE_PGM_RSRC2:USER_SGPR: 6
; COMPUTE_PGM_RSRC2:TRAP_HANDLER: 0
; COMPUTE_PGM_RSRC2:TGID_X_EN: 1
; COMPUTE_PGM_RSRC2:TGID_Y_EN: 0
; COMPUTE_PGM_RSRC2:TGID_Z_EN: 0
; COMPUTE_PGM_RSRC2:TIDIG_COMP_CNT: 0
; COMPUTE_PGM_RSRC3_GFX90A:ACCUM_OFFSET: 0
; COMPUTE_PGM_RSRC3_GFX90A:TG_SPLIT: 0
	.section	.text._ZN7rocprim17ROCPRIM_400000_NS6detail17trampoline_kernelINS0_14default_configENS1_20scan_config_selectorIxEEZZNS1_9scan_implILNS1_25lookback_scan_determinismE0ELb1ELb1ES3_N6thrust23THRUST_200600_302600_NS6detail15normal_iteratorINS9_10device_ptrIxEEEENS9_16discard_iteratorINS9_11use_defaultEEExNS9_4plusIvEExEEDaPvRmT3_T4_T5_mT6_P12ihipStream_tbENKUlT_T0_E_clISt17integral_constantIbLb1EESW_IbLb0EEEEDaSS_ST_EUlSS_E_NS1_11comp_targetILNS1_3genE0ELNS1_11target_archE4294967295ELNS1_3gpuE0ELNS1_3repE0EEENS1_30default_config_static_selectorELNS0_4arch9wavefront6targetE1EEEvT1_,"axG",@progbits,_ZN7rocprim17ROCPRIM_400000_NS6detail17trampoline_kernelINS0_14default_configENS1_20scan_config_selectorIxEEZZNS1_9scan_implILNS1_25lookback_scan_determinismE0ELb1ELb1ES3_N6thrust23THRUST_200600_302600_NS6detail15normal_iteratorINS9_10device_ptrIxEEEENS9_16discard_iteratorINS9_11use_defaultEEExNS9_4plusIvEExEEDaPvRmT3_T4_T5_mT6_P12ihipStream_tbENKUlT_T0_E_clISt17integral_constantIbLb1EESW_IbLb0EEEEDaSS_ST_EUlSS_E_NS1_11comp_targetILNS1_3genE0ELNS1_11target_archE4294967295ELNS1_3gpuE0ELNS1_3repE0EEENS1_30default_config_static_selectorELNS0_4arch9wavefront6targetE1EEEvT1_,comdat
	.protected	_ZN7rocprim17ROCPRIM_400000_NS6detail17trampoline_kernelINS0_14default_configENS1_20scan_config_selectorIxEEZZNS1_9scan_implILNS1_25lookback_scan_determinismE0ELb1ELb1ES3_N6thrust23THRUST_200600_302600_NS6detail15normal_iteratorINS9_10device_ptrIxEEEENS9_16discard_iteratorINS9_11use_defaultEEExNS9_4plusIvEExEEDaPvRmT3_T4_T5_mT6_P12ihipStream_tbENKUlT_T0_E_clISt17integral_constantIbLb1EESW_IbLb0EEEEDaSS_ST_EUlSS_E_NS1_11comp_targetILNS1_3genE0ELNS1_11target_archE4294967295ELNS1_3gpuE0ELNS1_3repE0EEENS1_30default_config_static_selectorELNS0_4arch9wavefront6targetE1EEEvT1_ ; -- Begin function _ZN7rocprim17ROCPRIM_400000_NS6detail17trampoline_kernelINS0_14default_configENS1_20scan_config_selectorIxEEZZNS1_9scan_implILNS1_25lookback_scan_determinismE0ELb1ELb1ES3_N6thrust23THRUST_200600_302600_NS6detail15normal_iteratorINS9_10device_ptrIxEEEENS9_16discard_iteratorINS9_11use_defaultEEExNS9_4plusIvEExEEDaPvRmT3_T4_T5_mT6_P12ihipStream_tbENKUlT_T0_E_clISt17integral_constantIbLb1EESW_IbLb0EEEEDaSS_ST_EUlSS_E_NS1_11comp_targetILNS1_3genE0ELNS1_11target_archE4294967295ELNS1_3gpuE0ELNS1_3repE0EEENS1_30default_config_static_selectorELNS0_4arch9wavefront6targetE1EEEvT1_
	.globl	_ZN7rocprim17ROCPRIM_400000_NS6detail17trampoline_kernelINS0_14default_configENS1_20scan_config_selectorIxEEZZNS1_9scan_implILNS1_25lookback_scan_determinismE0ELb1ELb1ES3_N6thrust23THRUST_200600_302600_NS6detail15normal_iteratorINS9_10device_ptrIxEEEENS9_16discard_iteratorINS9_11use_defaultEEExNS9_4plusIvEExEEDaPvRmT3_T4_T5_mT6_P12ihipStream_tbENKUlT_T0_E_clISt17integral_constantIbLb1EESW_IbLb0EEEEDaSS_ST_EUlSS_E_NS1_11comp_targetILNS1_3genE0ELNS1_11target_archE4294967295ELNS1_3gpuE0ELNS1_3repE0EEENS1_30default_config_static_selectorELNS0_4arch9wavefront6targetE1EEEvT1_
	.p2align	8
	.type	_ZN7rocprim17ROCPRIM_400000_NS6detail17trampoline_kernelINS0_14default_configENS1_20scan_config_selectorIxEEZZNS1_9scan_implILNS1_25lookback_scan_determinismE0ELb1ELb1ES3_N6thrust23THRUST_200600_302600_NS6detail15normal_iteratorINS9_10device_ptrIxEEEENS9_16discard_iteratorINS9_11use_defaultEEExNS9_4plusIvEExEEDaPvRmT3_T4_T5_mT6_P12ihipStream_tbENKUlT_T0_E_clISt17integral_constantIbLb1EESW_IbLb0EEEEDaSS_ST_EUlSS_E_NS1_11comp_targetILNS1_3genE0ELNS1_11target_archE4294967295ELNS1_3gpuE0ELNS1_3repE0EEENS1_30default_config_static_selectorELNS0_4arch9wavefront6targetE1EEEvT1_,@function
_ZN7rocprim17ROCPRIM_400000_NS6detail17trampoline_kernelINS0_14default_configENS1_20scan_config_selectorIxEEZZNS1_9scan_implILNS1_25lookback_scan_determinismE0ELb1ELb1ES3_N6thrust23THRUST_200600_302600_NS6detail15normal_iteratorINS9_10device_ptrIxEEEENS9_16discard_iteratorINS9_11use_defaultEEExNS9_4plusIvEExEEDaPvRmT3_T4_T5_mT6_P12ihipStream_tbENKUlT_T0_E_clISt17integral_constantIbLb1EESW_IbLb0EEEEDaSS_ST_EUlSS_E_NS1_11comp_targetILNS1_3genE0ELNS1_11target_archE4294967295ELNS1_3gpuE0ELNS1_3repE0EEENS1_30default_config_static_selectorELNS0_4arch9wavefront6targetE1EEEvT1_: ; @_ZN7rocprim17ROCPRIM_400000_NS6detail17trampoline_kernelINS0_14default_configENS1_20scan_config_selectorIxEEZZNS1_9scan_implILNS1_25lookback_scan_determinismE0ELb1ELb1ES3_N6thrust23THRUST_200600_302600_NS6detail15normal_iteratorINS9_10device_ptrIxEEEENS9_16discard_iteratorINS9_11use_defaultEEExNS9_4plusIvEExEEDaPvRmT3_T4_T5_mT6_P12ihipStream_tbENKUlT_T0_E_clISt17integral_constantIbLb1EESW_IbLb0EEEEDaSS_ST_EUlSS_E_NS1_11comp_targetILNS1_3genE0ELNS1_11target_archE4294967295ELNS1_3gpuE0ELNS1_3repE0EEENS1_30default_config_static_selectorELNS0_4arch9wavefront6targetE1EEEvT1_
; %bb.0:
	.section	.rodata,"a",@progbits
	.p2align	6, 0x0
	.amdhsa_kernel _ZN7rocprim17ROCPRIM_400000_NS6detail17trampoline_kernelINS0_14default_configENS1_20scan_config_selectorIxEEZZNS1_9scan_implILNS1_25lookback_scan_determinismE0ELb1ELb1ES3_N6thrust23THRUST_200600_302600_NS6detail15normal_iteratorINS9_10device_ptrIxEEEENS9_16discard_iteratorINS9_11use_defaultEEExNS9_4plusIvEExEEDaPvRmT3_T4_T5_mT6_P12ihipStream_tbENKUlT_T0_E_clISt17integral_constantIbLb1EESW_IbLb0EEEEDaSS_ST_EUlSS_E_NS1_11comp_targetILNS1_3genE0ELNS1_11target_archE4294967295ELNS1_3gpuE0ELNS1_3repE0EEENS1_30default_config_static_selectorELNS0_4arch9wavefront6targetE1EEEvT1_
		.amdhsa_group_segment_fixed_size 0
		.amdhsa_private_segment_fixed_size 0
		.amdhsa_kernarg_size 112
		.amdhsa_user_sgpr_count 6
		.amdhsa_user_sgpr_private_segment_buffer 1
		.amdhsa_user_sgpr_dispatch_ptr 0
		.amdhsa_user_sgpr_queue_ptr 0
		.amdhsa_user_sgpr_kernarg_segment_ptr 1
		.amdhsa_user_sgpr_dispatch_id 0
		.amdhsa_user_sgpr_flat_scratch_init 0
		.amdhsa_user_sgpr_kernarg_preload_length 0
		.amdhsa_user_sgpr_kernarg_preload_offset 0
		.amdhsa_user_sgpr_private_segment_size 0
		.amdhsa_uses_dynamic_stack 0
		.amdhsa_system_sgpr_private_segment_wavefront_offset 0
		.amdhsa_system_sgpr_workgroup_id_x 1
		.amdhsa_system_sgpr_workgroup_id_y 0
		.amdhsa_system_sgpr_workgroup_id_z 0
		.amdhsa_system_sgpr_workgroup_info 0
		.amdhsa_system_vgpr_workitem_id 0
		.amdhsa_next_free_vgpr 1
		.amdhsa_next_free_sgpr 0
		.amdhsa_accum_offset 4
		.amdhsa_reserve_vcc 0
		.amdhsa_reserve_flat_scratch 0
		.amdhsa_float_round_mode_32 0
		.amdhsa_float_round_mode_16_64 0
		.amdhsa_float_denorm_mode_32 3
		.amdhsa_float_denorm_mode_16_64 3
		.amdhsa_dx10_clamp 1
		.amdhsa_ieee_mode 1
		.amdhsa_fp16_overflow 0
		.amdhsa_tg_split 0
		.amdhsa_exception_fp_ieee_invalid_op 0
		.amdhsa_exception_fp_denorm_src 0
		.amdhsa_exception_fp_ieee_div_zero 0
		.amdhsa_exception_fp_ieee_overflow 0
		.amdhsa_exception_fp_ieee_underflow 0
		.amdhsa_exception_fp_ieee_inexact 0
		.amdhsa_exception_int_div_zero 0
	.end_amdhsa_kernel
	.section	.text._ZN7rocprim17ROCPRIM_400000_NS6detail17trampoline_kernelINS0_14default_configENS1_20scan_config_selectorIxEEZZNS1_9scan_implILNS1_25lookback_scan_determinismE0ELb1ELb1ES3_N6thrust23THRUST_200600_302600_NS6detail15normal_iteratorINS9_10device_ptrIxEEEENS9_16discard_iteratorINS9_11use_defaultEEExNS9_4plusIvEExEEDaPvRmT3_T4_T5_mT6_P12ihipStream_tbENKUlT_T0_E_clISt17integral_constantIbLb1EESW_IbLb0EEEEDaSS_ST_EUlSS_E_NS1_11comp_targetILNS1_3genE0ELNS1_11target_archE4294967295ELNS1_3gpuE0ELNS1_3repE0EEENS1_30default_config_static_selectorELNS0_4arch9wavefront6targetE1EEEvT1_,"axG",@progbits,_ZN7rocprim17ROCPRIM_400000_NS6detail17trampoline_kernelINS0_14default_configENS1_20scan_config_selectorIxEEZZNS1_9scan_implILNS1_25lookback_scan_determinismE0ELb1ELb1ES3_N6thrust23THRUST_200600_302600_NS6detail15normal_iteratorINS9_10device_ptrIxEEEENS9_16discard_iteratorINS9_11use_defaultEEExNS9_4plusIvEExEEDaPvRmT3_T4_T5_mT6_P12ihipStream_tbENKUlT_T0_E_clISt17integral_constantIbLb1EESW_IbLb0EEEEDaSS_ST_EUlSS_E_NS1_11comp_targetILNS1_3genE0ELNS1_11target_archE4294967295ELNS1_3gpuE0ELNS1_3repE0EEENS1_30default_config_static_selectorELNS0_4arch9wavefront6targetE1EEEvT1_,comdat
.Lfunc_end5690:
	.size	_ZN7rocprim17ROCPRIM_400000_NS6detail17trampoline_kernelINS0_14default_configENS1_20scan_config_selectorIxEEZZNS1_9scan_implILNS1_25lookback_scan_determinismE0ELb1ELb1ES3_N6thrust23THRUST_200600_302600_NS6detail15normal_iteratorINS9_10device_ptrIxEEEENS9_16discard_iteratorINS9_11use_defaultEEExNS9_4plusIvEExEEDaPvRmT3_T4_T5_mT6_P12ihipStream_tbENKUlT_T0_E_clISt17integral_constantIbLb1EESW_IbLb0EEEEDaSS_ST_EUlSS_E_NS1_11comp_targetILNS1_3genE0ELNS1_11target_archE4294967295ELNS1_3gpuE0ELNS1_3repE0EEENS1_30default_config_static_selectorELNS0_4arch9wavefront6targetE1EEEvT1_, .Lfunc_end5690-_ZN7rocprim17ROCPRIM_400000_NS6detail17trampoline_kernelINS0_14default_configENS1_20scan_config_selectorIxEEZZNS1_9scan_implILNS1_25lookback_scan_determinismE0ELb1ELb1ES3_N6thrust23THRUST_200600_302600_NS6detail15normal_iteratorINS9_10device_ptrIxEEEENS9_16discard_iteratorINS9_11use_defaultEEExNS9_4plusIvEExEEDaPvRmT3_T4_T5_mT6_P12ihipStream_tbENKUlT_T0_E_clISt17integral_constantIbLb1EESW_IbLb0EEEEDaSS_ST_EUlSS_E_NS1_11comp_targetILNS1_3genE0ELNS1_11target_archE4294967295ELNS1_3gpuE0ELNS1_3repE0EEENS1_30default_config_static_selectorELNS0_4arch9wavefront6targetE1EEEvT1_
                                        ; -- End function
	.section	.AMDGPU.csdata,"",@progbits
; Kernel info:
; codeLenInByte = 0
; NumSgprs: 4
; NumVgprs: 0
; NumAgprs: 0
; TotalNumVgprs: 0
; ScratchSize: 0
; MemoryBound: 0
; FloatMode: 240
; IeeeMode: 1
; LDSByteSize: 0 bytes/workgroup (compile time only)
; SGPRBlocks: 0
; VGPRBlocks: 0
; NumSGPRsForWavesPerEU: 4
; NumVGPRsForWavesPerEU: 1
; AccumOffset: 4
; Occupancy: 8
; WaveLimiterHint : 0
; COMPUTE_PGM_RSRC2:SCRATCH_EN: 0
; COMPUTE_PGM_RSRC2:USER_SGPR: 6
; COMPUTE_PGM_RSRC2:TRAP_HANDLER: 0
; COMPUTE_PGM_RSRC2:TGID_X_EN: 1
; COMPUTE_PGM_RSRC2:TGID_Y_EN: 0
; COMPUTE_PGM_RSRC2:TGID_Z_EN: 0
; COMPUTE_PGM_RSRC2:TIDIG_COMP_CNT: 0
; COMPUTE_PGM_RSRC3_GFX90A:ACCUM_OFFSET: 0
; COMPUTE_PGM_RSRC3_GFX90A:TG_SPLIT: 0
	.section	.text._ZN7rocprim17ROCPRIM_400000_NS6detail17trampoline_kernelINS0_14default_configENS1_20scan_config_selectorIxEEZZNS1_9scan_implILNS1_25lookback_scan_determinismE0ELb1ELb1ES3_N6thrust23THRUST_200600_302600_NS6detail15normal_iteratorINS9_10device_ptrIxEEEENS9_16discard_iteratorINS9_11use_defaultEEExNS9_4plusIvEExEEDaPvRmT3_T4_T5_mT6_P12ihipStream_tbENKUlT_T0_E_clISt17integral_constantIbLb1EESW_IbLb0EEEEDaSS_ST_EUlSS_E_NS1_11comp_targetILNS1_3genE5ELNS1_11target_archE942ELNS1_3gpuE9ELNS1_3repE0EEENS1_30default_config_static_selectorELNS0_4arch9wavefront6targetE1EEEvT1_,"axG",@progbits,_ZN7rocprim17ROCPRIM_400000_NS6detail17trampoline_kernelINS0_14default_configENS1_20scan_config_selectorIxEEZZNS1_9scan_implILNS1_25lookback_scan_determinismE0ELb1ELb1ES3_N6thrust23THRUST_200600_302600_NS6detail15normal_iteratorINS9_10device_ptrIxEEEENS9_16discard_iteratorINS9_11use_defaultEEExNS9_4plusIvEExEEDaPvRmT3_T4_T5_mT6_P12ihipStream_tbENKUlT_T0_E_clISt17integral_constantIbLb1EESW_IbLb0EEEEDaSS_ST_EUlSS_E_NS1_11comp_targetILNS1_3genE5ELNS1_11target_archE942ELNS1_3gpuE9ELNS1_3repE0EEENS1_30default_config_static_selectorELNS0_4arch9wavefront6targetE1EEEvT1_,comdat
	.protected	_ZN7rocprim17ROCPRIM_400000_NS6detail17trampoline_kernelINS0_14default_configENS1_20scan_config_selectorIxEEZZNS1_9scan_implILNS1_25lookback_scan_determinismE0ELb1ELb1ES3_N6thrust23THRUST_200600_302600_NS6detail15normal_iteratorINS9_10device_ptrIxEEEENS9_16discard_iteratorINS9_11use_defaultEEExNS9_4plusIvEExEEDaPvRmT3_T4_T5_mT6_P12ihipStream_tbENKUlT_T0_E_clISt17integral_constantIbLb1EESW_IbLb0EEEEDaSS_ST_EUlSS_E_NS1_11comp_targetILNS1_3genE5ELNS1_11target_archE942ELNS1_3gpuE9ELNS1_3repE0EEENS1_30default_config_static_selectorELNS0_4arch9wavefront6targetE1EEEvT1_ ; -- Begin function _ZN7rocprim17ROCPRIM_400000_NS6detail17trampoline_kernelINS0_14default_configENS1_20scan_config_selectorIxEEZZNS1_9scan_implILNS1_25lookback_scan_determinismE0ELb1ELb1ES3_N6thrust23THRUST_200600_302600_NS6detail15normal_iteratorINS9_10device_ptrIxEEEENS9_16discard_iteratorINS9_11use_defaultEEExNS9_4plusIvEExEEDaPvRmT3_T4_T5_mT6_P12ihipStream_tbENKUlT_T0_E_clISt17integral_constantIbLb1EESW_IbLb0EEEEDaSS_ST_EUlSS_E_NS1_11comp_targetILNS1_3genE5ELNS1_11target_archE942ELNS1_3gpuE9ELNS1_3repE0EEENS1_30default_config_static_selectorELNS0_4arch9wavefront6targetE1EEEvT1_
	.globl	_ZN7rocprim17ROCPRIM_400000_NS6detail17trampoline_kernelINS0_14default_configENS1_20scan_config_selectorIxEEZZNS1_9scan_implILNS1_25lookback_scan_determinismE0ELb1ELb1ES3_N6thrust23THRUST_200600_302600_NS6detail15normal_iteratorINS9_10device_ptrIxEEEENS9_16discard_iteratorINS9_11use_defaultEEExNS9_4plusIvEExEEDaPvRmT3_T4_T5_mT6_P12ihipStream_tbENKUlT_T0_E_clISt17integral_constantIbLb1EESW_IbLb0EEEEDaSS_ST_EUlSS_E_NS1_11comp_targetILNS1_3genE5ELNS1_11target_archE942ELNS1_3gpuE9ELNS1_3repE0EEENS1_30default_config_static_selectorELNS0_4arch9wavefront6targetE1EEEvT1_
	.p2align	8
	.type	_ZN7rocprim17ROCPRIM_400000_NS6detail17trampoline_kernelINS0_14default_configENS1_20scan_config_selectorIxEEZZNS1_9scan_implILNS1_25lookback_scan_determinismE0ELb1ELb1ES3_N6thrust23THRUST_200600_302600_NS6detail15normal_iteratorINS9_10device_ptrIxEEEENS9_16discard_iteratorINS9_11use_defaultEEExNS9_4plusIvEExEEDaPvRmT3_T4_T5_mT6_P12ihipStream_tbENKUlT_T0_E_clISt17integral_constantIbLb1EESW_IbLb0EEEEDaSS_ST_EUlSS_E_NS1_11comp_targetILNS1_3genE5ELNS1_11target_archE942ELNS1_3gpuE9ELNS1_3repE0EEENS1_30default_config_static_selectorELNS0_4arch9wavefront6targetE1EEEvT1_,@function
_ZN7rocprim17ROCPRIM_400000_NS6detail17trampoline_kernelINS0_14default_configENS1_20scan_config_selectorIxEEZZNS1_9scan_implILNS1_25lookback_scan_determinismE0ELb1ELb1ES3_N6thrust23THRUST_200600_302600_NS6detail15normal_iteratorINS9_10device_ptrIxEEEENS9_16discard_iteratorINS9_11use_defaultEEExNS9_4plusIvEExEEDaPvRmT3_T4_T5_mT6_P12ihipStream_tbENKUlT_T0_E_clISt17integral_constantIbLb1EESW_IbLb0EEEEDaSS_ST_EUlSS_E_NS1_11comp_targetILNS1_3genE5ELNS1_11target_archE942ELNS1_3gpuE9ELNS1_3repE0EEENS1_30default_config_static_selectorELNS0_4arch9wavefront6targetE1EEEvT1_: ; @_ZN7rocprim17ROCPRIM_400000_NS6detail17trampoline_kernelINS0_14default_configENS1_20scan_config_selectorIxEEZZNS1_9scan_implILNS1_25lookback_scan_determinismE0ELb1ELb1ES3_N6thrust23THRUST_200600_302600_NS6detail15normal_iteratorINS9_10device_ptrIxEEEENS9_16discard_iteratorINS9_11use_defaultEEExNS9_4plusIvEExEEDaPvRmT3_T4_T5_mT6_P12ihipStream_tbENKUlT_T0_E_clISt17integral_constantIbLb1EESW_IbLb0EEEEDaSS_ST_EUlSS_E_NS1_11comp_targetILNS1_3genE5ELNS1_11target_archE942ELNS1_3gpuE9ELNS1_3repE0EEENS1_30default_config_static_selectorELNS0_4arch9wavefront6targetE1EEEvT1_
; %bb.0:
	.section	.rodata,"a",@progbits
	.p2align	6, 0x0
	.amdhsa_kernel _ZN7rocprim17ROCPRIM_400000_NS6detail17trampoline_kernelINS0_14default_configENS1_20scan_config_selectorIxEEZZNS1_9scan_implILNS1_25lookback_scan_determinismE0ELb1ELb1ES3_N6thrust23THRUST_200600_302600_NS6detail15normal_iteratorINS9_10device_ptrIxEEEENS9_16discard_iteratorINS9_11use_defaultEEExNS9_4plusIvEExEEDaPvRmT3_T4_T5_mT6_P12ihipStream_tbENKUlT_T0_E_clISt17integral_constantIbLb1EESW_IbLb0EEEEDaSS_ST_EUlSS_E_NS1_11comp_targetILNS1_3genE5ELNS1_11target_archE942ELNS1_3gpuE9ELNS1_3repE0EEENS1_30default_config_static_selectorELNS0_4arch9wavefront6targetE1EEEvT1_
		.amdhsa_group_segment_fixed_size 0
		.amdhsa_private_segment_fixed_size 0
		.amdhsa_kernarg_size 112
		.amdhsa_user_sgpr_count 6
		.amdhsa_user_sgpr_private_segment_buffer 1
		.amdhsa_user_sgpr_dispatch_ptr 0
		.amdhsa_user_sgpr_queue_ptr 0
		.amdhsa_user_sgpr_kernarg_segment_ptr 1
		.amdhsa_user_sgpr_dispatch_id 0
		.amdhsa_user_sgpr_flat_scratch_init 0
		.amdhsa_user_sgpr_kernarg_preload_length 0
		.amdhsa_user_sgpr_kernarg_preload_offset 0
		.amdhsa_user_sgpr_private_segment_size 0
		.amdhsa_uses_dynamic_stack 0
		.amdhsa_system_sgpr_private_segment_wavefront_offset 0
		.amdhsa_system_sgpr_workgroup_id_x 1
		.amdhsa_system_sgpr_workgroup_id_y 0
		.amdhsa_system_sgpr_workgroup_id_z 0
		.amdhsa_system_sgpr_workgroup_info 0
		.amdhsa_system_vgpr_workitem_id 0
		.amdhsa_next_free_vgpr 1
		.amdhsa_next_free_sgpr 0
		.amdhsa_accum_offset 4
		.amdhsa_reserve_vcc 0
		.amdhsa_reserve_flat_scratch 0
		.amdhsa_float_round_mode_32 0
		.amdhsa_float_round_mode_16_64 0
		.amdhsa_float_denorm_mode_32 3
		.amdhsa_float_denorm_mode_16_64 3
		.amdhsa_dx10_clamp 1
		.amdhsa_ieee_mode 1
		.amdhsa_fp16_overflow 0
		.amdhsa_tg_split 0
		.amdhsa_exception_fp_ieee_invalid_op 0
		.amdhsa_exception_fp_denorm_src 0
		.amdhsa_exception_fp_ieee_div_zero 0
		.amdhsa_exception_fp_ieee_overflow 0
		.amdhsa_exception_fp_ieee_underflow 0
		.amdhsa_exception_fp_ieee_inexact 0
		.amdhsa_exception_int_div_zero 0
	.end_amdhsa_kernel
	.section	.text._ZN7rocprim17ROCPRIM_400000_NS6detail17trampoline_kernelINS0_14default_configENS1_20scan_config_selectorIxEEZZNS1_9scan_implILNS1_25lookback_scan_determinismE0ELb1ELb1ES3_N6thrust23THRUST_200600_302600_NS6detail15normal_iteratorINS9_10device_ptrIxEEEENS9_16discard_iteratorINS9_11use_defaultEEExNS9_4plusIvEExEEDaPvRmT3_T4_T5_mT6_P12ihipStream_tbENKUlT_T0_E_clISt17integral_constantIbLb1EESW_IbLb0EEEEDaSS_ST_EUlSS_E_NS1_11comp_targetILNS1_3genE5ELNS1_11target_archE942ELNS1_3gpuE9ELNS1_3repE0EEENS1_30default_config_static_selectorELNS0_4arch9wavefront6targetE1EEEvT1_,"axG",@progbits,_ZN7rocprim17ROCPRIM_400000_NS6detail17trampoline_kernelINS0_14default_configENS1_20scan_config_selectorIxEEZZNS1_9scan_implILNS1_25lookback_scan_determinismE0ELb1ELb1ES3_N6thrust23THRUST_200600_302600_NS6detail15normal_iteratorINS9_10device_ptrIxEEEENS9_16discard_iteratorINS9_11use_defaultEEExNS9_4plusIvEExEEDaPvRmT3_T4_T5_mT6_P12ihipStream_tbENKUlT_T0_E_clISt17integral_constantIbLb1EESW_IbLb0EEEEDaSS_ST_EUlSS_E_NS1_11comp_targetILNS1_3genE5ELNS1_11target_archE942ELNS1_3gpuE9ELNS1_3repE0EEENS1_30default_config_static_selectorELNS0_4arch9wavefront6targetE1EEEvT1_,comdat
.Lfunc_end5691:
	.size	_ZN7rocprim17ROCPRIM_400000_NS6detail17trampoline_kernelINS0_14default_configENS1_20scan_config_selectorIxEEZZNS1_9scan_implILNS1_25lookback_scan_determinismE0ELb1ELb1ES3_N6thrust23THRUST_200600_302600_NS6detail15normal_iteratorINS9_10device_ptrIxEEEENS9_16discard_iteratorINS9_11use_defaultEEExNS9_4plusIvEExEEDaPvRmT3_T4_T5_mT6_P12ihipStream_tbENKUlT_T0_E_clISt17integral_constantIbLb1EESW_IbLb0EEEEDaSS_ST_EUlSS_E_NS1_11comp_targetILNS1_3genE5ELNS1_11target_archE942ELNS1_3gpuE9ELNS1_3repE0EEENS1_30default_config_static_selectorELNS0_4arch9wavefront6targetE1EEEvT1_, .Lfunc_end5691-_ZN7rocprim17ROCPRIM_400000_NS6detail17trampoline_kernelINS0_14default_configENS1_20scan_config_selectorIxEEZZNS1_9scan_implILNS1_25lookback_scan_determinismE0ELb1ELb1ES3_N6thrust23THRUST_200600_302600_NS6detail15normal_iteratorINS9_10device_ptrIxEEEENS9_16discard_iteratorINS9_11use_defaultEEExNS9_4plusIvEExEEDaPvRmT3_T4_T5_mT6_P12ihipStream_tbENKUlT_T0_E_clISt17integral_constantIbLb1EESW_IbLb0EEEEDaSS_ST_EUlSS_E_NS1_11comp_targetILNS1_3genE5ELNS1_11target_archE942ELNS1_3gpuE9ELNS1_3repE0EEENS1_30default_config_static_selectorELNS0_4arch9wavefront6targetE1EEEvT1_
                                        ; -- End function
	.section	.AMDGPU.csdata,"",@progbits
; Kernel info:
; codeLenInByte = 0
; NumSgprs: 4
; NumVgprs: 0
; NumAgprs: 0
; TotalNumVgprs: 0
; ScratchSize: 0
; MemoryBound: 0
; FloatMode: 240
; IeeeMode: 1
; LDSByteSize: 0 bytes/workgroup (compile time only)
; SGPRBlocks: 0
; VGPRBlocks: 0
; NumSGPRsForWavesPerEU: 4
; NumVGPRsForWavesPerEU: 1
; AccumOffset: 4
; Occupancy: 8
; WaveLimiterHint : 0
; COMPUTE_PGM_RSRC2:SCRATCH_EN: 0
; COMPUTE_PGM_RSRC2:USER_SGPR: 6
; COMPUTE_PGM_RSRC2:TRAP_HANDLER: 0
; COMPUTE_PGM_RSRC2:TGID_X_EN: 1
; COMPUTE_PGM_RSRC2:TGID_Y_EN: 0
; COMPUTE_PGM_RSRC2:TGID_Z_EN: 0
; COMPUTE_PGM_RSRC2:TIDIG_COMP_CNT: 0
; COMPUTE_PGM_RSRC3_GFX90A:ACCUM_OFFSET: 0
; COMPUTE_PGM_RSRC3_GFX90A:TG_SPLIT: 0
	.section	.text._ZN7rocprim17ROCPRIM_400000_NS6detail17trampoline_kernelINS0_14default_configENS1_20scan_config_selectorIxEEZZNS1_9scan_implILNS1_25lookback_scan_determinismE0ELb1ELb1ES3_N6thrust23THRUST_200600_302600_NS6detail15normal_iteratorINS9_10device_ptrIxEEEENS9_16discard_iteratorINS9_11use_defaultEEExNS9_4plusIvEExEEDaPvRmT3_T4_T5_mT6_P12ihipStream_tbENKUlT_T0_E_clISt17integral_constantIbLb1EESW_IbLb0EEEEDaSS_ST_EUlSS_E_NS1_11comp_targetILNS1_3genE4ELNS1_11target_archE910ELNS1_3gpuE8ELNS1_3repE0EEENS1_30default_config_static_selectorELNS0_4arch9wavefront6targetE1EEEvT1_,"axG",@progbits,_ZN7rocprim17ROCPRIM_400000_NS6detail17trampoline_kernelINS0_14default_configENS1_20scan_config_selectorIxEEZZNS1_9scan_implILNS1_25lookback_scan_determinismE0ELb1ELb1ES3_N6thrust23THRUST_200600_302600_NS6detail15normal_iteratorINS9_10device_ptrIxEEEENS9_16discard_iteratorINS9_11use_defaultEEExNS9_4plusIvEExEEDaPvRmT3_T4_T5_mT6_P12ihipStream_tbENKUlT_T0_E_clISt17integral_constantIbLb1EESW_IbLb0EEEEDaSS_ST_EUlSS_E_NS1_11comp_targetILNS1_3genE4ELNS1_11target_archE910ELNS1_3gpuE8ELNS1_3repE0EEENS1_30default_config_static_selectorELNS0_4arch9wavefront6targetE1EEEvT1_,comdat
	.protected	_ZN7rocprim17ROCPRIM_400000_NS6detail17trampoline_kernelINS0_14default_configENS1_20scan_config_selectorIxEEZZNS1_9scan_implILNS1_25lookback_scan_determinismE0ELb1ELb1ES3_N6thrust23THRUST_200600_302600_NS6detail15normal_iteratorINS9_10device_ptrIxEEEENS9_16discard_iteratorINS9_11use_defaultEEExNS9_4plusIvEExEEDaPvRmT3_T4_T5_mT6_P12ihipStream_tbENKUlT_T0_E_clISt17integral_constantIbLb1EESW_IbLb0EEEEDaSS_ST_EUlSS_E_NS1_11comp_targetILNS1_3genE4ELNS1_11target_archE910ELNS1_3gpuE8ELNS1_3repE0EEENS1_30default_config_static_selectorELNS0_4arch9wavefront6targetE1EEEvT1_ ; -- Begin function _ZN7rocprim17ROCPRIM_400000_NS6detail17trampoline_kernelINS0_14default_configENS1_20scan_config_selectorIxEEZZNS1_9scan_implILNS1_25lookback_scan_determinismE0ELb1ELb1ES3_N6thrust23THRUST_200600_302600_NS6detail15normal_iteratorINS9_10device_ptrIxEEEENS9_16discard_iteratorINS9_11use_defaultEEExNS9_4plusIvEExEEDaPvRmT3_T4_T5_mT6_P12ihipStream_tbENKUlT_T0_E_clISt17integral_constantIbLb1EESW_IbLb0EEEEDaSS_ST_EUlSS_E_NS1_11comp_targetILNS1_3genE4ELNS1_11target_archE910ELNS1_3gpuE8ELNS1_3repE0EEENS1_30default_config_static_selectorELNS0_4arch9wavefront6targetE1EEEvT1_
	.globl	_ZN7rocprim17ROCPRIM_400000_NS6detail17trampoline_kernelINS0_14default_configENS1_20scan_config_selectorIxEEZZNS1_9scan_implILNS1_25lookback_scan_determinismE0ELb1ELb1ES3_N6thrust23THRUST_200600_302600_NS6detail15normal_iteratorINS9_10device_ptrIxEEEENS9_16discard_iteratorINS9_11use_defaultEEExNS9_4plusIvEExEEDaPvRmT3_T4_T5_mT6_P12ihipStream_tbENKUlT_T0_E_clISt17integral_constantIbLb1EESW_IbLb0EEEEDaSS_ST_EUlSS_E_NS1_11comp_targetILNS1_3genE4ELNS1_11target_archE910ELNS1_3gpuE8ELNS1_3repE0EEENS1_30default_config_static_selectorELNS0_4arch9wavefront6targetE1EEEvT1_
	.p2align	8
	.type	_ZN7rocprim17ROCPRIM_400000_NS6detail17trampoline_kernelINS0_14default_configENS1_20scan_config_selectorIxEEZZNS1_9scan_implILNS1_25lookback_scan_determinismE0ELb1ELb1ES3_N6thrust23THRUST_200600_302600_NS6detail15normal_iteratorINS9_10device_ptrIxEEEENS9_16discard_iteratorINS9_11use_defaultEEExNS9_4plusIvEExEEDaPvRmT3_T4_T5_mT6_P12ihipStream_tbENKUlT_T0_E_clISt17integral_constantIbLb1EESW_IbLb0EEEEDaSS_ST_EUlSS_E_NS1_11comp_targetILNS1_3genE4ELNS1_11target_archE910ELNS1_3gpuE8ELNS1_3repE0EEENS1_30default_config_static_selectorELNS0_4arch9wavefront6targetE1EEEvT1_,@function
_ZN7rocprim17ROCPRIM_400000_NS6detail17trampoline_kernelINS0_14default_configENS1_20scan_config_selectorIxEEZZNS1_9scan_implILNS1_25lookback_scan_determinismE0ELb1ELb1ES3_N6thrust23THRUST_200600_302600_NS6detail15normal_iteratorINS9_10device_ptrIxEEEENS9_16discard_iteratorINS9_11use_defaultEEExNS9_4plusIvEExEEDaPvRmT3_T4_T5_mT6_P12ihipStream_tbENKUlT_T0_E_clISt17integral_constantIbLb1EESW_IbLb0EEEEDaSS_ST_EUlSS_E_NS1_11comp_targetILNS1_3genE4ELNS1_11target_archE910ELNS1_3gpuE8ELNS1_3repE0EEENS1_30default_config_static_selectorELNS0_4arch9wavefront6targetE1EEEvT1_: ; @_ZN7rocprim17ROCPRIM_400000_NS6detail17trampoline_kernelINS0_14default_configENS1_20scan_config_selectorIxEEZZNS1_9scan_implILNS1_25lookback_scan_determinismE0ELb1ELb1ES3_N6thrust23THRUST_200600_302600_NS6detail15normal_iteratorINS9_10device_ptrIxEEEENS9_16discard_iteratorINS9_11use_defaultEEExNS9_4plusIvEExEEDaPvRmT3_T4_T5_mT6_P12ihipStream_tbENKUlT_T0_E_clISt17integral_constantIbLb1EESW_IbLb0EEEEDaSS_ST_EUlSS_E_NS1_11comp_targetILNS1_3genE4ELNS1_11target_archE910ELNS1_3gpuE8ELNS1_3repE0EEENS1_30default_config_static_selectorELNS0_4arch9wavefront6targetE1EEEvT1_
; %bb.0:
	s_load_dwordx4 s[0:3], s[4:5], 0x0
	s_load_dwordx4 s[12:15], s[4:5], 0x20
	s_load_dword s7, s[4:5], 0x40
	v_lshlrev_b32_e32 v1, 3, v0
	s_waitcnt lgkmcnt(0)
	s_lshl_b64 s[2:3], s[2:3], 3
	s_add_u32 s22, s0, s2
	s_addc_u32 s23, s1, s3
	s_add_i32 s2, s7, -1
	s_mul_i32 s3, s2, 0x380
	s_sub_u32 s20, s12, s3
	s_subb_u32 s21, s13, 0
	s_mul_i32 s0, s6, 0x380
	s_mov_b32 s1, 0
	s_cmp_lg_u32 s6, s2
	s_cselect_b64 s[12:13], -1, 0
	s_lshl_b64 s[0:1], s[0:1], 3
	s_add_u32 s0, s22, s0
	s_addc_u32 s1, s23, s1
	s_mov_b64 s[2:3], -1
	s_and_b64 vcc, exec, s[12:13]
	s_cbranch_vccz .LBB5692_2
; %bb.1:
	v_mov_b32_e32 v3, s1
	v_add_co_u32_e32 v2, vcc, s0, v1
	v_addc_co_u32_e32 v3, vcc, 0, v3, vcc
	flat_load_dwordx2 v[4:5], v[2:3]
	flat_load_dwordx2 v[6:7], v[2:3] offset:1024
	flat_load_dwordx2 v[8:9], v[2:3] offset:2048
	;; [unrolled: 1-line block ×3, first 2 shown]
	v_add_co_u32_e32 v2, vcc, 0x1000, v2
	v_addc_co_u32_e32 v3, vcc, 0, v3, vcc
	flat_load_dwordx2 v[12:13], v[2:3]
	flat_load_dwordx2 v[14:15], v[2:3] offset:1024
	flat_load_dwordx2 v[16:17], v[2:3] offset:2048
	s_mov_b64 s[2:3], 0
	s_waitcnt vmcnt(0) lgkmcnt(0)
	ds_write2st64_b64 v1, v[4:5], v[6:7] offset1:2
	ds_write2st64_b64 v1, v[8:9], v[10:11] offset0:4 offset1:6
	ds_write2st64_b64 v1, v[12:13], v[14:15] offset0:8 offset1:10
	ds_write_b64 v1, v[16:17] offset:6144
	s_waitcnt lgkmcnt(0)
	s_barrier
.LBB5692_2:
	s_load_dwordx2 s[16:17], s[4:5], 0x38
	s_andn2_b64 vcc, exec, s[2:3]
	s_cbranch_vccnz .LBB5692_18
; %bb.3:
	v_pk_mov_b32 v[2:3], s[0:1], s[0:1] op_sel:[0,1]
	flat_load_dwordx2 v[2:3], v[2:3]
	v_cmp_gt_u32_e32 vcc, s20, v0
	s_waitcnt vmcnt(0) lgkmcnt(0)
	v_mov_b32_e32 v4, v2
	v_mov_b32_e32 v5, v3
	;; [unrolled: 1-line block ×10, first 2 shown]
	v_pk_mov_b32 v[18:19], v[14:15], v[14:15] op_sel:[0,1]
	v_pk_mov_b32 v[16:17], v[12:13], v[12:13] op_sel:[0,1]
	;; [unrolled: 1-line block ×8, first 2 shown]
	s_and_saveexec_b64 s[2:3], vcc
	s_cbranch_execz .LBB5692_5
; %bb.4:
	v_mov_b32_e32 v5, s1
	v_add_co_u32_e32 v4, vcc, s0, v1
	v_addc_co_u32_e32 v5, vcc, 0, v5, vcc
	flat_load_dwordx2 v[20:21], v[4:5]
	v_mov_b32_e32 v4, v2
	v_mov_b32_e32 v5, v3
	;; [unrolled: 1-line block ×10, first 2 shown]
	v_pk_mov_b32 v[18:19], v[14:15], v[14:15] op_sel:[0,1]
	v_pk_mov_b32 v[16:17], v[12:13], v[12:13] op_sel:[0,1]
	v_pk_mov_b32 v[14:15], v[10:11], v[10:11] op_sel:[0,1]
	v_pk_mov_b32 v[12:13], v[8:9], v[8:9] op_sel:[0,1]
	v_pk_mov_b32 v[10:11], v[6:7], v[6:7] op_sel:[0,1]
	v_pk_mov_b32 v[8:9], v[4:5], v[4:5] op_sel:[0,1]
	v_pk_mov_b32 v[6:7], v[2:3], v[2:3] op_sel:[0,1]
	v_pk_mov_b32 v[4:5], v[0:1], v[0:1] op_sel:[0,1]
	s_waitcnt vmcnt(0) lgkmcnt(0)
	v_pk_mov_b32 v[2:3], v[20:21], v[20:21] op_sel:[0,1]
.LBB5692_5:
	s_or_b64 exec, exec, s[2:3]
	v_or_b32_e32 v4, 0x80, v0
	v_cmp_gt_u32_e32 vcc, s20, v4
	s_and_saveexec_b64 s[2:3], vcc
	s_cbranch_execz .LBB5692_7
; %bb.6:
	v_mov_b32_e32 v5, s1
	v_add_co_u32_e32 v4, vcc, s0, v1
	v_addc_co_u32_e32 v5, vcc, 0, v5, vcc
	flat_load_dwordx2 v[6:7], v[4:5] offset:1024
.LBB5692_7:
	s_or_b64 exec, exec, s[2:3]
	v_or_b32_e32 v4, 0x100, v0
	v_cmp_gt_u32_e32 vcc, s20, v4
	s_and_saveexec_b64 s[2:3], vcc
	s_cbranch_execz .LBB5692_9
; %bb.8:
	v_mov_b32_e32 v5, s1
	v_add_co_u32_e32 v4, vcc, s0, v1
	v_addc_co_u32_e32 v5, vcc, 0, v5, vcc
	flat_load_dwordx2 v[8:9], v[4:5] offset:2048
.LBB5692_9:
	;; [unrolled: 11-line block ×3, first 2 shown]
	s_or_b64 exec, exec, s[2:3]
	v_or_b32_e32 v4, 0x200, v0
	v_cmp_gt_u32_e32 vcc, s20, v4
	s_and_saveexec_b64 s[2:3], vcc
	s_cbranch_execz .LBB5692_13
; %bb.12:
	v_lshlrev_b32_e32 v4, 3, v4
	v_mov_b32_e32 v5, s1
	v_add_co_u32_e32 v4, vcc, s0, v4
	v_addc_co_u32_e32 v5, vcc, 0, v5, vcc
	flat_load_dwordx2 v[12:13], v[4:5]
.LBB5692_13:
	s_or_b64 exec, exec, s[2:3]
	v_or_b32_e32 v4, 0x280, v0
	v_cmp_gt_u32_e32 vcc, s20, v4
	s_and_saveexec_b64 s[2:3], vcc
	s_cbranch_execz .LBB5692_15
; %bb.14:
	v_lshlrev_b32_e32 v4, 3, v4
	v_mov_b32_e32 v5, s1
	v_add_co_u32_e32 v4, vcc, s0, v4
	v_addc_co_u32_e32 v5, vcc, 0, v5, vcc
	flat_load_dwordx2 v[14:15], v[4:5]
.LBB5692_15:
	;; [unrolled: 12-line block ×3, first 2 shown]
	s_or_b64 exec, exec, s[2:3]
	s_waitcnt vmcnt(0) lgkmcnt(0)
	ds_write2st64_b64 v1, v[2:3], v[6:7] offset1:2
	ds_write2st64_b64 v1, v[8:9], v[10:11] offset0:4 offset1:6
	ds_write2st64_b64 v1, v[12:13], v[14:15] offset0:8 offset1:10
	ds_write_b64 v1, v[16:17] offset:6144
	s_waitcnt lgkmcnt(0)
	s_barrier
.LBB5692_18:
	v_mul_u32_u24_e32 v36, 7, v0
	v_lshlrev_b32_e32 v1, 3, v36
	s_waitcnt lgkmcnt(0)
	ds_read2_b64 v[10:13], v1 offset1:1
	ds_read2_b64 v[6:9], v1 offset0:2 offset1:3
	ds_read2_b64 v[2:5], v1 offset0:4 offset1:5
	ds_read_b64 v[26:27], v1 offset:48
	s_cmp_lg_u32 s6, 0
	v_lshrrev_b32_e32 v37, 5, v0
	v_cmp_gt_u32_e32 vcc, 64, v0
	s_waitcnt lgkmcnt(0)
	s_barrier
	s_cbranch_scc0 .LBB5692_49
; %bb.19:
	v_add_co_u32_e64 v1, s[0:1], v12, v10
	v_addc_co_u32_e64 v14, s[0:1], v13, v11, s[0:1]
	v_add_co_u32_e64 v1, s[0:1], v1, v6
	v_addc_co_u32_e64 v14, s[0:1], v14, v7, s[0:1]
	;; [unrolled: 2-line block ×6, first 2 shown]
	v_add_lshl_u32 v1, v37, v0, 3
	ds_write_b64 v1, v[18:19]
	s_waitcnt lgkmcnt(0)
	s_barrier
	s_and_saveexec_b64 s[8:9], vcc
	s_cbranch_execz .LBB5692_23
; %bb.20:
	v_lshlrev_b32_e32 v1, 1, v0
	v_lshrrev_b32_e32 v14, 4, v0
	v_add_lshl_u32 v20, v14, v1, 3
	ds_read2_b64 v[14:17], v20 offset1:1
	v_mbcnt_lo_u32_b32 v1, -1, 0
	s_waitcnt lgkmcnt(0)
	v_add_co_u32_e64 v21, s[0:1], v16, v14
	v_addc_co_u32_e64 v22, s[0:1], v17, v15, s[0:1]
	s_nop 0
	v_mov_b32_dpp v16, v21 row_shr:1 row_mask:0xf bank_mask:0xf
	v_add_co_u32_e64 v16, s[0:1], v21, v16
	v_addc_co_u32_e64 v24, s[0:1], 0, v22, s[0:1]
	v_mbcnt_hi_u32_b32 v17, -1, v1
	v_mov_b32_dpp v23, v22 row_shr:1 row_mask:0xf bank_mask:0xf
	v_add_co_u32_e64 v25, s[0:1], 0, v16
	v_and_b32_e32 v1, 15, v17
	v_addc_co_u32_e64 v23, s[0:1], v23, v24, s[0:1]
	v_cmp_eq_u32_e64 s[0:1], 0, v1
	v_cndmask_b32_e64 v16, v16, v21, s[0:1]
	v_cndmask_b32_e64 v23, v23, v22, s[0:1]
	v_cndmask_b32_e64 v24, v25, v21, s[0:1]
	v_mov_b32_dpp v25, v16 row_shr:2 row_mask:0xf bank_mask:0xf
	v_mov_b32_dpp v28, v23 row_shr:2 row_mask:0xf bank_mask:0xf
	v_add_co_u32_e64 v25, s[0:1], v25, v24
	v_addc_co_u32_e64 v28, s[0:1], v28, v23, s[0:1]
	v_cmp_lt_u32_e64 s[0:1], 1, v1
	v_cndmask_b32_e64 v16, v16, v25, s[0:1]
	v_cndmask_b32_e64 v23, v23, v28, s[0:1]
	v_cndmask_b32_e64 v24, v24, v25, s[0:1]
	v_mov_b32_dpp v25, v16 row_shr:4 row_mask:0xf bank_mask:0xf
	v_mov_b32_dpp v28, v23 row_shr:4 row_mask:0xf bank_mask:0xf
	v_add_co_u32_e64 v25, s[0:1], v25, v24
	v_addc_co_u32_e64 v28, s[0:1], v28, v23, s[0:1]
	v_cmp_lt_u32_e64 s[0:1], 3, v1
	;; [unrolled: 8-line block ×3, first 2 shown]
	v_cndmask_b32_e64 v29, v16, v25, s[0:1]
	v_cndmask_b32_e64 v1, v23, v28, s[0:1]
	;; [unrolled: 1-line block ×3, first 2 shown]
	v_mov_b32_dpp v23, v29 row_bcast:15 row_mask:0xf bank_mask:0xf
	v_mov_b32_dpp v24, v1 row_bcast:15 row_mask:0xf bank_mask:0xf
	v_add_co_u32_e64 v23, s[0:1], v23, v16
	v_and_b32_e32 v28, 16, v17
	v_addc_co_u32_e64 v25, s[0:1], v24, v1, s[0:1]
	v_cmp_eq_u32_e64 s[0:1], 0, v28
	v_cndmask_b32_e64 v28, v25, v1, s[0:1]
	v_cndmask_b32_e64 v24, v23, v29, s[0:1]
	v_cmp_ne_u32_e64 s[2:3], 0, v17
	v_mov_b32_dpp v28, v28 row_bcast:31 row_mask:0xf bank_mask:0xf
	v_mov_b32_dpp v24, v24 row_bcast:31 row_mask:0xf bank_mask:0xf
	s_and_saveexec_b64 s[10:11], s[2:3]
; %bb.21:
	v_cndmask_b32_e64 v1, v25, v1, s[0:1]
	v_cndmask_b32_e64 v16, v23, v16, s[0:1]
	v_cmp_lt_u32_e64 s[0:1], 31, v17
	v_cndmask_b32_e64 v21, 0, v24, s[0:1]
	v_cndmask_b32_e64 v22, 0, v28, s[0:1]
	v_add_co_u32_e64 v21, s[0:1], v21, v16
	v_addc_co_u32_e64 v22, s[0:1], v22, v1, s[0:1]
; %bb.22:
	s_or_b64 exec, exec, s[10:11]
	v_add_u32_e32 v1, -1, v17
	v_and_b32_e32 v16, 64, v17
	v_cmp_lt_i32_e64 s[0:1], v1, v16
	v_cndmask_b32_e64 v1, v1, v17, s[0:1]
	v_lshlrev_b32_e32 v1, 2, v1
	ds_bpermute_b32 v16, v1, v21
	ds_bpermute_b32 v1, v1, v22
	; wave barrier
	s_waitcnt lgkmcnt(1)
	v_add_co_u32_e64 v14, s[0:1], v14, v16
	v_addc_co_u32_e64 v15, s[0:1], 0, v15, s[0:1]
	v_add_co_u32_e64 v14, s[0:1], 0, v14
	s_waitcnt lgkmcnt(0)
	v_addc_co_u32_e64 v1, s[0:1], v15, v1, s[0:1]
	v_cmp_eq_u32_e64 s[0:1], 0, v0
	v_cndmask_b32_e64 v15, v1, v19, s[0:1]
	v_cndmask_b32_e64 v14, v14, v18, s[0:1]
	ds_write_b64 v20, v[14:15]
	; wave barrier
	ds_read_b64 v[16:17], v20 offset:8
	s_waitcnt lgkmcnt(0)
	v_add_co_u32_e64 v14, s[0:1], v16, v14
	v_addc_co_u32_e64 v15, s[0:1], v17, v15, s[0:1]
	ds_write_b64 v20, v[14:15] offset:8
.LBB5692_23:
	s_or_b64 exec, exec, s[8:9]
	v_cmp_eq_u32_e64 s[0:1], 0, v0
	v_cmp_ne_u32_e64 s[2:3], 0, v0
	v_pk_mov_b32 v[22:23], 0, 0
	s_waitcnt lgkmcnt(0)
	s_barrier
	s_and_saveexec_b64 s[8:9], s[2:3]
	s_cbranch_execz .LBB5692_25
; %bb.24:
	v_add_u32_e32 v1, -1, v0
	v_lshrrev_b32_e32 v14, 5, v1
	v_add_lshl_u32 v1, v14, v1, 3
	ds_read_b64 v[22:23], v1
.LBB5692_25:
	s_or_b64 exec, exec, s[8:9]
	s_and_saveexec_b64 s[18:19], vcc
	s_cbranch_execz .LBB5692_48
; %bb.26:
	v_mov_b32_e32 v17, 0
	ds_read_b64 v[14:15], v17 offset:1040
	v_mbcnt_lo_u32_b32 v1, -1, 0
	v_mbcnt_hi_u32_b32 v30, -1, v1
	s_mov_b32 s11, 0
	v_cmp_eq_u32_e64 s[2:3], 0, v30
	s_and_saveexec_b64 s[8:9], s[2:3]
	s_cbranch_execz .LBB5692_28
; %bb.27:
	s_add_i32 s10, s6, 64
	s_lshl_b64 s[10:11], s[10:11], 4
	s_add_u32 s10, s16, s10
	s_addc_u32 s11, s17, s11
	v_mov_b32_e32 v16, 1
	v_pk_mov_b32 v[18:19], s[10:11], s[10:11] op_sel:[0,1]
	s_waitcnt lgkmcnt(0)
	;;#ASMSTART
	global_store_dwordx4 v[18:19], v[14:17] off	
s_waitcnt vmcnt(0)
	;;#ASMEND
.LBB5692_28:
	s_or_b64 exec, exec, s[8:9]
	v_xad_u32 v24, v30, -1, s6
	v_add_u32_e32 v16, 64, v24
	v_lshlrev_b64 v[18:19], 4, v[16:17]
	v_mov_b32_e32 v1, s17
	v_add_co_u32_e32 v28, vcc, s16, v18
	v_addc_co_u32_e32 v29, vcc, v1, v19, vcc
	;;#ASMSTART
	global_load_dwordx4 v[18:21], v[28:29] off glc	
s_waitcnt vmcnt(0)
	;;#ASMEND
	v_and_b32_e32 v1, 0xff, v19
	v_and_b32_e32 v16, 0xff00, v19
	v_or3_b32 v1, 0, v1, v16
	v_or3_b32 v16, v18, 0, 0
	v_and_b32_e32 v18, 0xff000000, v19
	v_and_b32_e32 v19, 0xff0000, v19
	v_or3_b32 v19, v1, v19, v18
	v_or3_b32 v18, v16, 0, 0
	v_cmp_eq_u16_sdwa s[10:11], v20, v17 src0_sel:BYTE_0 src1_sel:DWORD
	s_and_saveexec_b64 s[8:9], s[10:11]
	s_cbranch_execz .LBB5692_34
; %bb.29:
	s_mov_b32 s7, 1
	s_mov_b64 s[10:11], 0
	v_mov_b32_e32 v1, 0
.LBB5692_30:                            ; =>This Loop Header: Depth=1
                                        ;     Child Loop BB5692_31 Depth 2
	s_max_u32 s24, s7, 1
.LBB5692_31:                            ;   Parent Loop BB5692_30 Depth=1
                                        ; =>  This Inner Loop Header: Depth=2
	s_add_i32 s24, s24, -1
	s_cmp_eq_u32 s24, 0
	s_sleep 1
	s_cbranch_scc0 .LBB5692_31
; %bb.32:                               ;   in Loop: Header=BB5692_30 Depth=1
	s_cmp_lt_u32 s7, 32
	s_cselect_b64 s[24:25], -1, 0
	s_cmp_lg_u64 s[24:25], 0
	s_addc_u32 s7, s7, 0
	;;#ASMSTART
	global_load_dwordx4 v[18:21], v[28:29] off glc	
s_waitcnt vmcnt(0)
	;;#ASMEND
	v_cmp_ne_u16_sdwa s[24:25], v20, v1 src0_sel:BYTE_0 src1_sel:DWORD
	s_or_b64 s[10:11], s[24:25], s[10:11]
	s_andn2_b64 exec, exec, s[10:11]
	s_cbranch_execnz .LBB5692_30
; %bb.33:
	s_or_b64 exec, exec, s[10:11]
.LBB5692_34:
	s_or_b64 exec, exec, s[8:9]
	v_and_b32_e32 v32, 63, v30
	v_cmp_ne_u32_e32 vcc, 63, v32
	v_addc_co_u32_e32 v28, vcc, 0, v30, vcc
	v_lshlrev_b32_e32 v33, 2, v28
	ds_bpermute_b32 v28, v33, v18
	v_mov_b32_e32 v1, 2
	v_cmp_eq_u16_sdwa s[8:9], v20, v1 src0_sel:BYTE_0 src1_sel:DWORD
	v_lshlrev_b64 v[16:17], v30, -1
	ds_bpermute_b32 v29, v33, v19
	v_and_b32_e32 v21, s9, v17
	v_or_b32_e32 v21, 0x80000000, v21
	s_waitcnt lgkmcnt(1)
	v_add_co_u32_e32 v28, vcc, v18, v28
	v_and_b32_e32 v25, s8, v16
	v_ffbl_b32_e32 v21, v21
	v_addc_co_u32_e32 v31, vcc, 0, v19, vcc
	v_add_u32_e32 v21, 32, v21
	v_ffbl_b32_e32 v25, v25
	v_add_co_u32_e32 v35, vcc, 0, v28
	v_cmp_gt_u32_e64 s[8:9], 62, v32
	v_min_u32_e32 v21, v25, v21
	s_waitcnt lgkmcnt(0)
	v_addc_co_u32_e32 v29, vcc, v29, v31, vcc
	v_cndmask_b32_e64 v31, 0, 1, s[8:9]
	v_cmp_lt_u32_e32 vcc, v32, v21
	v_lshlrev_b32_e32 v31, 1, v31
	v_cndmask_b32_e32 v28, v18, v28, vcc
	v_add_lshl_u32 v34, v31, v30, 2
	v_cndmask_b32_e32 v29, v19, v29, vcc
	ds_bpermute_b32 v31, v34, v28
	ds_bpermute_b32 v38, v34, v29
	v_cndmask_b32_e32 v39, v18, v35, vcc
	v_add_u32_e32 v35, 2, v32
	v_cmp_gt_u32_e64 s[10:11], 60, v32
	s_waitcnt lgkmcnt(1)
	v_add_co_u32_e64 v31, s[8:9], v31, v39
	s_waitcnt lgkmcnt(0)
	v_addc_co_u32_e64 v38, s[8:9], v38, v29, s[8:9]
	v_cmp_gt_u32_e64 s[8:9], v35, v21
	v_cndmask_b32_e64 v29, v38, v29, s[8:9]
	v_cndmask_b32_e64 v38, 0, 1, s[10:11]
	v_lshlrev_b32_e32 v38, 2, v38
	v_cndmask_b32_e64 v28, v31, v28, s[8:9]
	v_add_lshl_u32 v38, v38, v30, 2
	ds_bpermute_b32 v40, v38, v28
	ds_bpermute_b32 v41, v38, v29
	v_cndmask_b32_e64 v31, v31, v39, s[8:9]
	v_add_u32_e32 v39, 4, v32
	v_cmp_gt_u32_e64 s[10:11], 56, v32
	s_waitcnt lgkmcnt(1)
	v_add_co_u32_e64 v42, s[8:9], v40, v31
	s_waitcnt lgkmcnt(0)
	v_addc_co_u32_e64 v40, s[8:9], v41, v29, s[8:9]
	v_cmp_gt_u32_e64 s[8:9], v39, v21
	v_cndmask_b32_e64 v29, v40, v29, s[8:9]
	v_cndmask_b32_e64 v40, 0, 1, s[10:11]
	v_lshlrev_b32_e32 v40, 3, v40
	v_cndmask_b32_e64 v28, v42, v28, s[8:9]
	v_add_lshl_u32 v40, v40, v30, 2
	ds_bpermute_b32 v43, v40, v28
	v_cndmask_b32_e64 v31, v42, v31, s[8:9]
	ds_bpermute_b32 v42, v40, v29
	v_add_u32_e32 v41, 8, v32
	v_cmp_gt_u32_e64 s[10:11], 48, v32
	s_waitcnt lgkmcnt(1)
	v_add_co_u32_e64 v43, s[8:9], v43, v31
	s_waitcnt lgkmcnt(0)
	v_addc_co_u32_e64 v42, s[8:9], v42, v29, s[8:9]
	v_cmp_gt_u32_e64 s[8:9], v41, v21
	v_cndmask_b32_e64 v29, v42, v29, s[8:9]
	v_cndmask_b32_e64 v42, 0, 1, s[10:11]
	v_lshlrev_b32_e32 v42, 4, v42
	v_cndmask_b32_e64 v28, v43, v28, s[8:9]
	v_add_lshl_u32 v42, v42, v30, 2
	ds_bpermute_b32 v44, v42, v28
	ds_bpermute_b32 v45, v42, v29
	v_cndmask_b32_e64 v31, v43, v31, s[8:9]
	v_cmp_gt_u32_e64 s[10:11], 32, v32
	v_add_u32_e32 v43, 16, v32
	s_waitcnt lgkmcnt(1)
	v_add_co_u32_e64 v46, s[8:9], v44, v31
	s_waitcnt lgkmcnt(0)
	v_addc_co_u32_e64 v45, s[8:9], v45, v29, s[8:9]
	v_cndmask_b32_e64 v44, 0, 1, s[10:11]
	v_cmp_gt_u32_e64 s[8:9], v43, v21
	v_lshlrev_b32_e32 v44, 5, v44
	v_cndmask_b32_e64 v28, v46, v28, s[8:9]
	v_add_lshl_u32 v44, v44, v30, 2
	v_cndmask_b32_e64 v29, v45, v29, s[8:9]
	ds_bpermute_b32 v28, v44, v28
	ds_bpermute_b32 v30, v44, v29
	v_add_u32_e32 v45, 32, v32
	v_cndmask_b32_e64 v31, v46, v31, s[8:9]
	v_cmp_le_u32_e64 s[8:9], v45, v21
	s_waitcnt lgkmcnt(1)
	v_cndmask_b32_e64 v28, 0, v28, s[8:9]
	s_waitcnt lgkmcnt(0)
	v_cndmask_b32_e64 v21, 0, v30, s[8:9]
	v_add_co_u32_e64 v28, s[8:9], v28, v31
	v_addc_co_u32_e64 v21, s[8:9], v21, v29, s[8:9]
	v_mov_b32_e32 v25, 0
	v_cndmask_b32_e32 v19, v19, v21, vcc
	v_cndmask_b32_e32 v18, v18, v28, vcc
	s_branch .LBB5692_36
.LBB5692_35:                            ;   in Loop: Header=BB5692_36 Depth=1
	s_or_b64 exec, exec, s[8:9]
	v_cmp_eq_u16_sdwa s[8:9], v20, v1 src0_sel:BYTE_0 src1_sel:DWORD
	v_and_b32_e32 v21, s9, v17
	v_or_b32_e32 v21, 0x80000000, v21
	ds_bpermute_b32 v31, v33, v18
	v_and_b32_e32 v30, s8, v16
	v_ffbl_b32_e32 v21, v21
	v_add_u32_e32 v21, 32, v21
	v_ffbl_b32_e32 v30, v30
	v_min_u32_e32 v21, v30, v21
	ds_bpermute_b32 v30, v33, v19
	s_waitcnt lgkmcnt(1)
	v_add_co_u32_e32 v31, vcc, v18, v31
	v_addc_co_u32_e32 v46, vcc, 0, v19, vcc
	v_add_co_u32_e32 v47, vcc, 0, v31
	s_waitcnt lgkmcnt(0)
	v_addc_co_u32_e32 v30, vcc, v30, v46, vcc
	v_cmp_lt_u32_e32 vcc, v32, v21
	v_cndmask_b32_e32 v31, v18, v31, vcc
	ds_bpermute_b32 v46, v34, v31
	v_cndmask_b32_e32 v30, v19, v30, vcc
	ds_bpermute_b32 v48, v34, v30
	v_cndmask_b32_e32 v47, v18, v47, vcc
	v_subrev_u32_e32 v24, 64, v24
	s_waitcnt lgkmcnt(1)
	v_add_co_u32_e64 v46, s[8:9], v46, v47
	s_waitcnt lgkmcnt(0)
	v_addc_co_u32_e64 v48, s[8:9], v48, v30, s[8:9]
	v_cmp_gt_u32_e64 s[8:9], v35, v21
	v_cndmask_b32_e64 v31, v46, v31, s[8:9]
	ds_bpermute_b32 v49, v38, v31
	v_cndmask_b32_e64 v30, v48, v30, s[8:9]
	ds_bpermute_b32 v48, v38, v30
	v_cndmask_b32_e64 v46, v46, v47, s[8:9]
	s_waitcnt lgkmcnt(1)
	v_add_co_u32_e64 v47, s[8:9], v49, v46
	s_waitcnt lgkmcnt(0)
	v_addc_co_u32_e64 v48, s[8:9], v48, v30, s[8:9]
	v_cmp_gt_u32_e64 s[8:9], v39, v21
	v_cndmask_b32_e64 v31, v47, v31, s[8:9]
	ds_bpermute_b32 v49, v40, v31
	v_cndmask_b32_e64 v30, v48, v30, s[8:9]
	ds_bpermute_b32 v48, v40, v30
	v_cndmask_b32_e64 v46, v47, v46, s[8:9]
	;; [unrolled: 10-line block ×3, first 2 shown]
	s_waitcnt lgkmcnt(1)
	v_add_co_u32_e64 v47, s[8:9], v49, v46
	s_waitcnt lgkmcnt(0)
	v_addc_co_u32_e64 v48, s[8:9], v48, v30, s[8:9]
	v_cmp_gt_u32_e64 s[8:9], v43, v21
	v_cndmask_b32_e64 v31, v47, v31, s[8:9]
	v_cndmask_b32_e64 v30, v48, v30, s[8:9]
	ds_bpermute_b32 v31, v44, v31
	ds_bpermute_b32 v48, v44, v30
	v_cndmask_b32_e64 v46, v47, v46, s[8:9]
	v_cmp_le_u32_e64 s[8:9], v45, v21
	s_waitcnt lgkmcnt(1)
	v_cndmask_b32_e64 v31, 0, v31, s[8:9]
	s_waitcnt lgkmcnt(0)
	v_cndmask_b32_e64 v21, 0, v48, s[8:9]
	v_add_co_u32_e64 v31, s[8:9], v31, v46
	v_addc_co_u32_e64 v21, s[8:9], v21, v30, s[8:9]
	v_cndmask_b32_e32 v18, v18, v31, vcc
	v_cndmask_b32_e32 v19, v19, v21, vcc
	v_add_co_u32_e32 v18, vcc, v18, v28
	v_addc_co_u32_e32 v19, vcc, v19, v29, vcc
.LBB5692_36:                            ; =>This Loop Header: Depth=1
                                        ;     Child Loop BB5692_39 Depth 2
                                        ;       Child Loop BB5692_40 Depth 3
	v_cmp_ne_u16_sdwa s[8:9], v20, v1 src0_sel:BYTE_0 src1_sel:DWORD
	v_cndmask_b32_e64 v20, 0, 1, s[8:9]
	;;#ASMSTART
	;;#ASMEND
	v_cmp_ne_u32_e32 vcc, 0, v20
	s_cmp_lg_u64 vcc, exec
	v_pk_mov_b32 v[28:29], v[18:19], v[18:19] op_sel:[0,1]
	s_cbranch_scc1 .LBB5692_43
; %bb.37:                               ;   in Loop: Header=BB5692_36 Depth=1
	v_lshlrev_b64 v[18:19], 4, v[24:25]
	v_mov_b32_e32 v20, s17
	v_add_co_u32_e32 v30, vcc, s16, v18
	v_addc_co_u32_e32 v31, vcc, v20, v19, vcc
	;;#ASMSTART
	global_load_dwordx4 v[18:21], v[30:31] off glc	
s_waitcnt vmcnt(0)
	;;#ASMEND
	v_and_b32_e32 v21, 0xff, v19
	v_and_b32_e32 v46, 0xff00, v19
	v_or3_b32 v21, 0, v21, v46
	v_or3_b32 v18, v18, 0, 0
	v_and_b32_e32 v46, 0xff000000, v19
	v_and_b32_e32 v19, 0xff0000, v19
	v_or3_b32 v19, v21, v19, v46
	v_or3_b32 v18, v18, 0, 0
	v_cmp_eq_u16_sdwa s[10:11], v20, v25 src0_sel:BYTE_0 src1_sel:DWORD
	s_and_saveexec_b64 s[8:9], s[10:11]
	s_cbranch_execz .LBB5692_35
; %bb.38:                               ;   in Loop: Header=BB5692_36 Depth=1
	s_mov_b32 s7, 1
	s_mov_b64 s[10:11], 0
.LBB5692_39:                            ;   Parent Loop BB5692_36 Depth=1
                                        ; =>  This Loop Header: Depth=2
                                        ;       Child Loop BB5692_40 Depth 3
	s_max_u32 s24, s7, 1
.LBB5692_40:                            ;   Parent Loop BB5692_36 Depth=1
                                        ;     Parent Loop BB5692_39 Depth=2
                                        ; =>    This Inner Loop Header: Depth=3
	s_add_i32 s24, s24, -1
	s_cmp_eq_u32 s24, 0
	s_sleep 1
	s_cbranch_scc0 .LBB5692_40
; %bb.41:                               ;   in Loop: Header=BB5692_39 Depth=2
	s_cmp_lt_u32 s7, 32
	s_cselect_b64 s[24:25], -1, 0
	s_cmp_lg_u64 s[24:25], 0
	s_addc_u32 s7, s7, 0
	;;#ASMSTART
	global_load_dwordx4 v[18:21], v[30:31] off glc	
s_waitcnt vmcnt(0)
	;;#ASMEND
	v_cmp_ne_u16_sdwa s[24:25], v20, v25 src0_sel:BYTE_0 src1_sel:DWORD
	s_or_b64 s[10:11], s[24:25], s[10:11]
	s_andn2_b64 exec, exec, s[10:11]
	s_cbranch_execnz .LBB5692_39
; %bb.42:                               ;   in Loop: Header=BB5692_36 Depth=1
	s_or_b64 exec, exec, s[10:11]
	s_branch .LBB5692_35
.LBB5692_43:                            ;   in Loop: Header=BB5692_36 Depth=1
                                        ; implicit-def: $vgpr18_vgpr19
                                        ; implicit-def: $vgpr20
	s_cbranch_execz .LBB5692_36
; %bb.44:
	s_and_saveexec_b64 s[8:9], s[2:3]
	s_cbranch_execz .LBB5692_46
; %bb.45:
	s_add_i32 s2, s6, 64
	s_mov_b32 s3, 0
	s_lshl_b64 s[2:3], s[2:3], 4
	s_add_u32 s2, s16, s2
	v_add_co_u32_e32 v14, vcc, v28, v14
	s_addc_u32 s3, s17, s3
	v_addc_co_u32_e32 v15, vcc, v29, v15, vcc
	v_mov_b32_e32 v16, 2
	v_mov_b32_e32 v17, 0
	v_pk_mov_b32 v[18:19], s[2:3], s[2:3] op_sel:[0,1]
	;;#ASMSTART
	global_store_dwordx4 v[18:19], v[14:17] off	
s_waitcnt vmcnt(0)
	;;#ASMEND
.LBB5692_46:
	s_or_b64 exec, exec, s[8:9]
	s_and_b64 exec, exec, s[0:1]
	s_cbranch_execz .LBB5692_48
; %bb.47:
	v_mov_b32_e32 v1, 0
	ds_write_b64 v1, v[28:29]
.LBB5692_48:
	s_or_b64 exec, exec, s[18:19]
	v_mov_b32_e32 v1, 0
	s_waitcnt lgkmcnt(0)
	s_barrier
	ds_read_b64 v[14:15], v1
	s_waitcnt lgkmcnt(0)
	v_add_co_u32_e32 v14, vcc, v14, v22
	v_addc_co_u32_e32 v15, vcc, v15, v23, vcc
	v_add_co_u32_e32 v28, vcc, v14, v10
	v_addc_co_u32_e32 v29, vcc, v15, v11, vcc
	;; [unrolled: 2-line block ×7, first 2 shown]
	s_load_dwordx8 s[0:7], s[4:5], 0x48
	s_branch .LBB5692_61
.LBB5692_49:
                                        ; implicit-def: $vgpr34_vgpr35
                                        ; implicit-def: $vgpr32_vgpr33
                                        ; implicit-def: $vgpr30_vgpr31
                                        ; implicit-def: $vgpr28_vgpr29
                                        ; implicit-def: $vgpr22_vgpr23_vgpr24_vgpr25
                                        ; implicit-def: $vgpr18_vgpr19_vgpr20_vgpr21
                                        ; implicit-def: $vgpr14_vgpr15_vgpr16_vgpr17
	s_load_dwordx8 s[0:7], s[4:5], 0x48
	s_cbranch_execz .LBB5692_61
; %bb.50:
	s_waitcnt lgkmcnt(0)
	s_cmp_eq_u64 s[4:5], 0
	v_pk_mov_b32 v[20:21], s[14:15], s[14:15] op_sel:[0,1]
	s_cbranch_scc1 .LBB5692_52
; %bb.51:
	v_mov_b32_e32 v1, 0
	v_mov_b32_e32 v15, s23
	v_add_co_u32_e64 v14, vcc, -8, s22
	v_addc_co_u32_e32 v15, vcc, -1, v15, vcc
	global_load_dwordx2 v[16:17], v1, s[0:1]
	flat_load_dwordx2 v[18:19], v[14:15]
	s_waitcnt vmcnt(0) lgkmcnt(0)
	v_add_co_u32_e32 v20, vcc, v16, v18
	v_addc_co_u32_e32 v21, vcc, v17, v19, vcc
.LBB5692_52:
	v_add_co_u32_e32 v1, vcc, v12, v10
	v_addc_co_u32_e32 v14, vcc, v13, v11, vcc
	v_add_co_u32_e32 v1, vcc, v1, v6
	v_addc_co_u32_e32 v14, vcc, v14, v7, vcc
	;; [unrolled: 2-line block ×6, first 2 shown]
	v_add_lshl_u32 v1, v37, v0, 3
	v_cmp_gt_u32_e32 vcc, 64, v0
	ds_write_b64 v1, v[18:19]
	s_waitcnt lgkmcnt(0)
	s_barrier
	s_and_saveexec_b64 s[4:5], vcc
	s_cbranch_execz .LBB5692_56
; %bb.53:
	v_lshlrev_b32_e32 v1, 1, v0
	v_lshrrev_b32_e32 v14, 4, v0
	v_add_lshl_u32 v22, v14, v1, 3
	ds_read2_b64 v[14:17], v22 offset1:1
	v_mbcnt_lo_u32_b32 v1, -1, 0
	s_waitcnt lgkmcnt(0)
	v_add_co_u32_e32 v23, vcc, v16, v14
	v_addc_co_u32_e32 v24, vcc, v17, v15, vcc
	s_nop 0
	v_mov_b32_dpp v16, v23 row_shr:1 row_mask:0xf bank_mask:0xf
	v_add_co_u32_e32 v16, vcc, v23, v16
	v_addc_co_u32_e32 v26, vcc, 0, v24, vcc
	v_mbcnt_hi_u32_b32 v17, -1, v1
	v_mov_b32_dpp v25, v24 row_shr:1 row_mask:0xf bank_mask:0xf
	v_add_co_u32_e32 v27, vcc, 0, v16
	v_and_b32_e32 v1, 15, v17
	v_addc_co_u32_e32 v25, vcc, v25, v26, vcc
	v_cmp_eq_u32_e32 vcc, 0, v1
	v_cndmask_b32_e32 v16, v16, v23, vcc
	v_cndmask_b32_e32 v25, v25, v24, vcc
	v_cndmask_b32_e32 v26, v27, v23, vcc
	v_mov_b32_dpp v27, v16 row_shr:2 row_mask:0xf bank_mask:0xf
	v_mov_b32_dpp v28, v25 row_shr:2 row_mask:0xf bank_mask:0xf
	v_add_co_u32_e32 v27, vcc, v27, v26
	v_addc_co_u32_e32 v28, vcc, v28, v25, vcc
	v_cmp_lt_u32_e32 vcc, 1, v1
	v_cndmask_b32_e32 v16, v16, v27, vcc
	v_cndmask_b32_e32 v25, v25, v28, vcc
	v_cndmask_b32_e32 v26, v26, v27, vcc
	v_mov_b32_dpp v27, v16 row_shr:4 row_mask:0xf bank_mask:0xf
	v_mov_b32_dpp v28, v25 row_shr:4 row_mask:0xf bank_mask:0xf
	v_add_co_u32_e32 v27, vcc, v27, v26
	v_addc_co_u32_e32 v28, vcc, v28, v25, vcc
	v_cmp_lt_u32_e32 vcc, 3, v1
	;; [unrolled: 8-line block ×3, first 2 shown]
	v_cndmask_b32_e32 v29, v16, v27, vcc
	v_cndmask_b32_e32 v1, v25, v28, vcc
	;; [unrolled: 1-line block ×3, first 2 shown]
	v_mov_b32_dpp v25, v29 row_bcast:15 row_mask:0xf bank_mask:0xf
	v_mov_b32_dpp v26, v1 row_bcast:15 row_mask:0xf bank_mask:0xf
	v_add_co_u32_e32 v25, vcc, v25, v16
	v_and_b32_e32 v28, 16, v17
	v_addc_co_u32_e32 v27, vcc, v26, v1, vcc
	v_cmp_eq_u32_e32 vcc, 0, v28
	v_cndmask_b32_e32 v28, v27, v1, vcc
	v_cndmask_b32_e32 v26, v25, v29, vcc
	v_cmp_ne_u32_e64 s[0:1], 0, v17
	v_mov_b32_dpp v28, v28 row_bcast:31 row_mask:0xf bank_mask:0xf
	v_mov_b32_dpp v26, v26 row_bcast:31 row_mask:0xf bank_mask:0xf
	s_and_saveexec_b64 s[8:9], s[0:1]
; %bb.54:
	v_cndmask_b32_e32 v1, v27, v1, vcc
	v_cndmask_b32_e32 v16, v25, v16, vcc
	v_cmp_lt_u32_e32 vcc, 31, v17
	v_cndmask_b32_e32 v23, 0, v26, vcc
	v_cndmask_b32_e32 v24, 0, v28, vcc
	v_add_co_u32_e32 v23, vcc, v23, v16
	v_addc_co_u32_e32 v24, vcc, v24, v1, vcc
; %bb.55:
	s_or_b64 exec, exec, s[8:9]
	v_add_u32_e32 v1, -1, v17
	v_and_b32_e32 v16, 64, v17
	v_cmp_lt_i32_e32 vcc, v1, v16
	v_cndmask_b32_e32 v1, v1, v17, vcc
	v_lshlrev_b32_e32 v1, 2, v1
	ds_bpermute_b32 v16, v1, v23
	ds_bpermute_b32 v1, v1, v24
	; wave barrier
	s_waitcnt lgkmcnt(1)
	v_add_co_u32_e32 v14, vcc, v14, v16
	v_addc_co_u32_e32 v15, vcc, 0, v15, vcc
	v_add_co_u32_e32 v14, vcc, 0, v14
	s_waitcnt lgkmcnt(0)
	v_addc_co_u32_e32 v1, vcc, v15, v1, vcc
	v_cmp_eq_u32_e32 vcc, 0, v0
	v_cndmask_b32_e32 v15, v1, v19, vcc
	v_cndmask_b32_e32 v14, v14, v18, vcc
	ds_write_b64 v22, v[14:15]
	; wave barrier
	ds_read_b64 v[16:17], v22 offset:8
	s_waitcnt lgkmcnt(0)
	v_add_co_u32_e32 v14, vcc, v16, v14
	v_addc_co_u32_e32 v15, vcc, v17, v15, vcc
	ds_write_b64 v22, v[14:15] offset:8
.LBB5692_56:
	s_or_b64 exec, exec, s[4:5]
	v_cmp_eq_u32_e32 vcc, 0, v0
	v_cmp_ne_u32_e64 s[0:1], 0, v0
	v_pk_mov_b32 v[14:15], v[20:21], v[20:21] op_sel:[0,1]
	s_waitcnt lgkmcnt(0)
	s_barrier
	s_and_saveexec_b64 s[4:5], s[0:1]
	s_cbranch_execz .LBB5692_58
; %bb.57:
	v_add_u32_e32 v1, -1, v0
	v_lshrrev_b32_e32 v14, 5, v1
	v_add_lshl_u32 v1, v14, v1, 3
	ds_read_b64 v[14:15], v1
	s_waitcnt lgkmcnt(0)
	v_add_co_u32_e64 v14, s[0:1], v14, v20
	v_addc_co_u32_e64 v15, s[0:1], v15, v21, s[0:1]
.LBB5692_58:
	s_or_b64 exec, exec, s[4:5]
	v_add_co_u32_e64 v28, s[0:1], v14, v10
	v_addc_co_u32_e64 v29, s[0:1], v15, v11, s[0:1]
	v_add_co_u32_e64 v18, s[0:1], v28, v12
	v_addc_co_u32_e64 v19, s[0:1], v29, v13, s[0:1]
	;; [unrolled: 2-line block ×6, first 2 shown]
	s_and_saveexec_b64 s[0:1], vcc
	s_cbranch_execz .LBB5692_60
; %bb.59:
	v_mov_b32_e32 v5, 0
	ds_read_b64 v[2:3], v5 offset:1040
	s_add_u32 s4, s16, 0x400
	s_addc_u32 s5, s17, 0
	v_mov_b32_e32 v4, 2
	v_pk_mov_b32 v[6:7], s[4:5], s[4:5] op_sel:[0,1]
	s_waitcnt lgkmcnt(0)
	v_add_co_u32_e32 v2, vcc, v2, v20
	v_addc_co_u32_e32 v3, vcc, v3, v21, vcc
	;;#ASMSTART
	global_store_dwordx4 v[6:7], v[2:5] off	
s_waitcnt vmcnt(0)
	;;#ASMEND
.LBB5692_60:
	s_or_b64 exec, exec, s[0:1]
.LBB5692_61:
	v_mul_u32_u24_e32 v2, 56, v0
	s_waitcnt lgkmcnt(0)
	s_mov_b64 s[0:1], -1
	s_and_b64 vcc, exec, s[12:13]
	s_barrier
	ds_write2_b64 v2, v[14:15], v[28:29] offset1:1
	ds_write2_b64 v2, v[18:19], v[30:31] offset0:2 offset1:3
	ds_write2_b64 v2, v[22:23], v[32:33] offset0:4 offset1:5
	ds_write_b64 v2, v[34:35] offset:48
	s_waitcnt lgkmcnt(0)
	s_cbranch_vccz .LBB5692_63
; %bb.62:
	s_barrier
	s_mov_b64 s[0:1], 0
.LBB5692_63:
	s_andn2_b64 vcc, exec, s[0:1]
	s_cbranch_vccnz .LBB5692_88
; %bb.64:
	v_cmp_lt_u64_e64 s[0:1], s[6:7], 2
	s_and_b64 vcc, exec, s[0:1]
	s_barrier
	s_cbranch_vccnz .LBB5692_88
; %bb.65:
	s_add_u32 s0, s20, -1
	s_addc_u32 s1, s21, -1
	s_add_u32 s4, 0, 0x92481000
	s_addc_u32 s5, 0, 0x64
	s_add_i32 s5, s5, 0x249248c0
	s_mul_hi_u32 s9, s4, -7
	s_sub_i32 s9, s9, s4
	s_mul_i32 s10, s5, -7
	s_mul_i32 s6, s4, -7
	s_add_i32 s9, s9, s10
	s_mul_hi_u32 s7, s5, s6
	s_mul_i32 s8, s5, s6
	s_mul_i32 s11, s4, s9
	s_mul_hi_u32 s6, s4, s6
	s_mul_hi_u32 s10, s4, s9
	s_add_u32 s6, s6, s11
	s_addc_u32 s10, 0, s10
	s_add_u32 s6, s6, s8
	s_mul_hi_u32 s11, s5, s9
	s_addc_u32 s6, s10, s7
	s_addc_u32 s7, s11, 0
	s_mul_i32 s8, s5, s9
	s_add_u32 s6, s6, s8
	v_mov_b32_e32 v3, s6
	s_addc_u32 s7, 0, s7
	v_add_co_u32_e32 v3, vcc, s4, v3
	s_cmp_lg_u64 vcc, 0
	s_addc_u32 s4, s5, s7
	v_readfirstlane_b32 s7, v3
	s_mul_i32 s6, s0, s4
	s_mul_hi_u32 s8, s0, s7
	s_mul_hi_u32 s5, s0, s4
	s_add_u32 s6, s8, s6
	s_addc_u32 s5, 0, s5
	s_mul_hi_u32 s9, s1, s7
	s_mul_i32 s7, s1, s7
	s_add_u32 s6, s6, s7
	s_mul_hi_u32 s8, s1, s4
	s_addc_u32 s5, s5, s9
	s_addc_u32 s6, s8, 0
	s_mul_i32 s4, s1, s4
	s_add_u32 s4, s5, s4
	s_addc_u32 s5, 0, s6
	s_add_u32 s6, s4, 1
	s_addc_u32 s7, s5, 0
	s_add_u32 s8, s4, 2
	s_mul_i32 s10, s5, 7
	s_mul_hi_u32 s11, s4, 7
	s_addc_u32 s9, s5, 0
	s_add_i32 s11, s11, s10
	s_mul_i32 s10, s4, 7
	v_mov_b32_e32 v3, s10
	v_sub_co_u32_e32 v3, vcc, s0, v3
	s_cmp_lg_u64 vcc, 0
	s_subb_u32 s10, s1, s11
	v_subrev_co_u32_e32 v4, vcc, 7, v3
	s_cmp_lg_u64 vcc, 0
	s_subb_u32 s11, s10, 0
	v_readfirstlane_b32 s12, v4
	s_cmp_gt_u32 s12, 6
	s_cselect_b32 s12, -1, 0
	s_cmp_eq_u32 s11, 0
	s_cselect_b32 s11, s12, -1
	s_cmp_lg_u32 s11, 0
	s_cselect_b32 s6, s8, s6
	v_readfirstlane_b32 s8, v3
	s_cselect_b32 s7, s9, s7
	s_cmp_gt_u32 s8, 6
	s_cselect_b32 s8, -1, 0
	s_cmp_eq_u32 s10, 0
	s_cselect_b32 s8, s8, -1
	s_cmp_lg_u32 s8, 0
	v_mov_b32_e32 v1, 0
	s_cselect_b32 s5, s7, s5
	s_cselect_b32 s4, s6, s4
	v_cmp_eq_u64_e32 vcc, s[4:5], v[0:1]
	s_and_saveexec_b64 s[4:5], vcc
	s_cbranch_execz .LBB5692_88
; %bb.66:
	s_movk_i32 s4, 0xffd0
	v_mad_i32_i24 v2, v0, s4, v2
	v_mul_hi_u32_u24_e32 v1, 7, v0
	v_mov_b32_e32 v3, s1
	v_sub_co_u32_e32 v0, vcc, s0, v36
	v_subb_co_u32_e32 v1, vcc, v3, v1, vcc
	v_cmp_lt_i64_e32 vcc, 3, v[0:1]
	s_and_saveexec_b64 s[0:1], vcc
	s_xor_b64 s[0:1], exec, s[0:1]
	s_cbranch_execz .LBB5692_76
; %bb.67:
	v_cmp_lt_i64_e32 vcc, 4, v[0:1]
	s_and_saveexec_b64 s[4:5], vcc
	s_xor_b64 s[4:5], exec, s[4:5]
	s_cbranch_execz .LBB5692_73
; %bb.68:
	;; [unrolled: 5-line block ×3, first 2 shown]
	ds_read_b64 v[0:1], v2 offset:6144
	v_mov_b32_e32 v2, 0
	s_waitcnt lgkmcnt(0)
	global_store_dwordx2 v2, v[0:1], s[2:3]
                                        ; implicit-def: $vgpr2
.LBB5692_70:
	s_andn2_saveexec_b64 s[6:7], s[6:7]
	s_cbranch_execz .LBB5692_72
; %bb.71:
	ds_read_b64 v[0:1], v2 offset:5120
	v_mov_b32_e32 v2, 0
	s_waitcnt lgkmcnt(0)
	global_store_dwordx2 v2, v[0:1], s[2:3]
.LBB5692_72:
	s_or_b64 exec, exec, s[6:7]
                                        ; implicit-def: $vgpr2
.LBB5692_73:
	s_andn2_saveexec_b64 s[4:5], s[4:5]
	s_cbranch_execz .LBB5692_75
; %bb.74:
	ds_read_b64 v[0:1], v2 offset:4096
	v_mov_b32_e32 v2, 0
	s_waitcnt lgkmcnt(0)
	global_store_dwordx2 v2, v[0:1], s[2:3]
.LBB5692_75:
	s_or_b64 exec, exec, s[4:5]
                                        ; implicit-def: $vgpr0_vgpr1
                                        ; implicit-def: $vgpr2
.LBB5692_76:
	s_andn2_saveexec_b64 s[0:1], s[0:1]
	s_cbranch_execz .LBB5692_88
; %bb.77:
	v_cmp_lt_i64_e32 vcc, 1, v[0:1]
	s_and_saveexec_b64 s[0:1], vcc
	s_xor_b64 s[0:1], exec, s[0:1]
	s_cbranch_execz .LBB5692_83
; %bb.78:
	v_cmp_lt_i64_e32 vcc, 2, v[0:1]
	s_and_saveexec_b64 s[4:5], vcc
	s_xor_b64 s[4:5], exec, s[4:5]
	s_cbranch_execz .LBB5692_80
; %bb.79:
	ds_read_b64 v[0:1], v2 offset:3072
	v_mov_b32_e32 v2, 0
	s_waitcnt lgkmcnt(0)
	global_store_dwordx2 v2, v[0:1], s[2:3]
                                        ; implicit-def: $vgpr2
.LBB5692_80:
	s_andn2_saveexec_b64 s[4:5], s[4:5]
	s_cbranch_execz .LBB5692_82
; %bb.81:
	ds_read_b64 v[0:1], v2 offset:2048
	v_mov_b32_e32 v2, 0
	s_waitcnt lgkmcnt(0)
	global_store_dwordx2 v2, v[0:1], s[2:3]
.LBB5692_82:
	s_or_b64 exec, exec, s[4:5]
                                        ; implicit-def: $vgpr2
                                        ; implicit-def: $vgpr0_vgpr1
.LBB5692_83:
	s_andn2_saveexec_b64 s[0:1], s[0:1]
	s_cbranch_execz .LBB5692_88
; %bb.84:
	v_cmp_ne_u64_e32 vcc, 1, v[0:1]
	s_and_saveexec_b64 s[0:1], vcc
	s_xor_b64 s[0:1], exec, s[0:1]
	s_cbranch_execz .LBB5692_86
; %bb.85:
	ds_read_b64 v[0:1], v2
	v_mov_b32_e32 v2, 0
	s_waitcnt lgkmcnt(0)
	global_store_dwordx2 v2, v[0:1], s[2:3]
                                        ; implicit-def: $vgpr2
.LBB5692_86:
	s_andn2_saveexec_b64 s[0:1], s[0:1]
	s_cbranch_execz .LBB5692_88
; %bb.87:
	ds_read_b64 v[0:1], v2 offset:1024
	v_mov_b32_e32 v2, 0
	s_waitcnt lgkmcnt(0)
	global_store_dwordx2 v2, v[0:1], s[2:3]
.LBB5692_88:
	s_endpgm
	.section	.rodata,"a",@progbits
	.p2align	6, 0x0
	.amdhsa_kernel _ZN7rocprim17ROCPRIM_400000_NS6detail17trampoline_kernelINS0_14default_configENS1_20scan_config_selectorIxEEZZNS1_9scan_implILNS1_25lookback_scan_determinismE0ELb1ELb1ES3_N6thrust23THRUST_200600_302600_NS6detail15normal_iteratorINS9_10device_ptrIxEEEENS9_16discard_iteratorINS9_11use_defaultEEExNS9_4plusIvEExEEDaPvRmT3_T4_T5_mT6_P12ihipStream_tbENKUlT_T0_E_clISt17integral_constantIbLb1EESW_IbLb0EEEEDaSS_ST_EUlSS_E_NS1_11comp_targetILNS1_3genE4ELNS1_11target_archE910ELNS1_3gpuE8ELNS1_3repE0EEENS1_30default_config_static_selectorELNS0_4arch9wavefront6targetE1EEEvT1_
		.amdhsa_group_segment_fixed_size 7168
		.amdhsa_private_segment_fixed_size 0
		.amdhsa_kernarg_size 112
		.amdhsa_user_sgpr_count 6
		.amdhsa_user_sgpr_private_segment_buffer 1
		.amdhsa_user_sgpr_dispatch_ptr 0
		.amdhsa_user_sgpr_queue_ptr 0
		.amdhsa_user_sgpr_kernarg_segment_ptr 1
		.amdhsa_user_sgpr_dispatch_id 0
		.amdhsa_user_sgpr_flat_scratch_init 0
		.amdhsa_user_sgpr_kernarg_preload_length 0
		.amdhsa_user_sgpr_kernarg_preload_offset 0
		.amdhsa_user_sgpr_private_segment_size 0
		.amdhsa_uses_dynamic_stack 0
		.amdhsa_system_sgpr_private_segment_wavefront_offset 0
		.amdhsa_system_sgpr_workgroup_id_x 1
		.amdhsa_system_sgpr_workgroup_id_y 0
		.amdhsa_system_sgpr_workgroup_id_z 0
		.amdhsa_system_sgpr_workgroup_info 0
		.amdhsa_system_vgpr_workitem_id 0
		.amdhsa_next_free_vgpr 50
		.amdhsa_next_free_sgpr 26
		.amdhsa_accum_offset 52
		.amdhsa_reserve_vcc 1
		.amdhsa_reserve_flat_scratch 0
		.amdhsa_float_round_mode_32 0
		.amdhsa_float_round_mode_16_64 0
		.amdhsa_float_denorm_mode_32 3
		.amdhsa_float_denorm_mode_16_64 3
		.amdhsa_dx10_clamp 1
		.amdhsa_ieee_mode 1
		.amdhsa_fp16_overflow 0
		.amdhsa_tg_split 0
		.amdhsa_exception_fp_ieee_invalid_op 0
		.amdhsa_exception_fp_denorm_src 0
		.amdhsa_exception_fp_ieee_div_zero 0
		.amdhsa_exception_fp_ieee_overflow 0
		.amdhsa_exception_fp_ieee_underflow 0
		.amdhsa_exception_fp_ieee_inexact 0
		.amdhsa_exception_int_div_zero 0
	.end_amdhsa_kernel
	.section	.text._ZN7rocprim17ROCPRIM_400000_NS6detail17trampoline_kernelINS0_14default_configENS1_20scan_config_selectorIxEEZZNS1_9scan_implILNS1_25lookback_scan_determinismE0ELb1ELb1ES3_N6thrust23THRUST_200600_302600_NS6detail15normal_iteratorINS9_10device_ptrIxEEEENS9_16discard_iteratorINS9_11use_defaultEEExNS9_4plusIvEExEEDaPvRmT3_T4_T5_mT6_P12ihipStream_tbENKUlT_T0_E_clISt17integral_constantIbLb1EESW_IbLb0EEEEDaSS_ST_EUlSS_E_NS1_11comp_targetILNS1_3genE4ELNS1_11target_archE910ELNS1_3gpuE8ELNS1_3repE0EEENS1_30default_config_static_selectorELNS0_4arch9wavefront6targetE1EEEvT1_,"axG",@progbits,_ZN7rocprim17ROCPRIM_400000_NS6detail17trampoline_kernelINS0_14default_configENS1_20scan_config_selectorIxEEZZNS1_9scan_implILNS1_25lookback_scan_determinismE0ELb1ELb1ES3_N6thrust23THRUST_200600_302600_NS6detail15normal_iteratorINS9_10device_ptrIxEEEENS9_16discard_iteratorINS9_11use_defaultEEExNS9_4plusIvEExEEDaPvRmT3_T4_T5_mT6_P12ihipStream_tbENKUlT_T0_E_clISt17integral_constantIbLb1EESW_IbLb0EEEEDaSS_ST_EUlSS_E_NS1_11comp_targetILNS1_3genE4ELNS1_11target_archE910ELNS1_3gpuE8ELNS1_3repE0EEENS1_30default_config_static_selectorELNS0_4arch9wavefront6targetE1EEEvT1_,comdat
.Lfunc_end5692:
	.size	_ZN7rocprim17ROCPRIM_400000_NS6detail17trampoline_kernelINS0_14default_configENS1_20scan_config_selectorIxEEZZNS1_9scan_implILNS1_25lookback_scan_determinismE0ELb1ELb1ES3_N6thrust23THRUST_200600_302600_NS6detail15normal_iteratorINS9_10device_ptrIxEEEENS9_16discard_iteratorINS9_11use_defaultEEExNS9_4plusIvEExEEDaPvRmT3_T4_T5_mT6_P12ihipStream_tbENKUlT_T0_E_clISt17integral_constantIbLb1EESW_IbLb0EEEEDaSS_ST_EUlSS_E_NS1_11comp_targetILNS1_3genE4ELNS1_11target_archE910ELNS1_3gpuE8ELNS1_3repE0EEENS1_30default_config_static_selectorELNS0_4arch9wavefront6targetE1EEEvT1_, .Lfunc_end5692-_ZN7rocprim17ROCPRIM_400000_NS6detail17trampoline_kernelINS0_14default_configENS1_20scan_config_selectorIxEEZZNS1_9scan_implILNS1_25lookback_scan_determinismE0ELb1ELb1ES3_N6thrust23THRUST_200600_302600_NS6detail15normal_iteratorINS9_10device_ptrIxEEEENS9_16discard_iteratorINS9_11use_defaultEEExNS9_4plusIvEExEEDaPvRmT3_T4_T5_mT6_P12ihipStream_tbENKUlT_T0_E_clISt17integral_constantIbLb1EESW_IbLb0EEEEDaSS_ST_EUlSS_E_NS1_11comp_targetILNS1_3genE4ELNS1_11target_archE910ELNS1_3gpuE8ELNS1_3repE0EEENS1_30default_config_static_selectorELNS0_4arch9wavefront6targetE1EEEvT1_
                                        ; -- End function
	.section	.AMDGPU.csdata,"",@progbits
; Kernel info:
; codeLenInByte = 5276
; NumSgprs: 30
; NumVgprs: 50
; NumAgprs: 0
; TotalNumVgprs: 50
; ScratchSize: 0
; MemoryBound: 0
; FloatMode: 240
; IeeeMode: 1
; LDSByteSize: 7168 bytes/workgroup (compile time only)
; SGPRBlocks: 3
; VGPRBlocks: 6
; NumSGPRsForWavesPerEU: 30
; NumVGPRsForWavesPerEU: 50
; AccumOffset: 52
; Occupancy: 5
; WaveLimiterHint : 1
; COMPUTE_PGM_RSRC2:SCRATCH_EN: 0
; COMPUTE_PGM_RSRC2:USER_SGPR: 6
; COMPUTE_PGM_RSRC2:TRAP_HANDLER: 0
; COMPUTE_PGM_RSRC2:TGID_X_EN: 1
; COMPUTE_PGM_RSRC2:TGID_Y_EN: 0
; COMPUTE_PGM_RSRC2:TGID_Z_EN: 0
; COMPUTE_PGM_RSRC2:TIDIG_COMP_CNT: 0
; COMPUTE_PGM_RSRC3_GFX90A:ACCUM_OFFSET: 12
; COMPUTE_PGM_RSRC3_GFX90A:TG_SPLIT: 0
	.section	.text._ZN7rocprim17ROCPRIM_400000_NS6detail17trampoline_kernelINS0_14default_configENS1_20scan_config_selectorIxEEZZNS1_9scan_implILNS1_25lookback_scan_determinismE0ELb1ELb1ES3_N6thrust23THRUST_200600_302600_NS6detail15normal_iteratorINS9_10device_ptrIxEEEENS9_16discard_iteratorINS9_11use_defaultEEExNS9_4plusIvEExEEDaPvRmT3_T4_T5_mT6_P12ihipStream_tbENKUlT_T0_E_clISt17integral_constantIbLb1EESW_IbLb0EEEEDaSS_ST_EUlSS_E_NS1_11comp_targetILNS1_3genE3ELNS1_11target_archE908ELNS1_3gpuE7ELNS1_3repE0EEENS1_30default_config_static_selectorELNS0_4arch9wavefront6targetE1EEEvT1_,"axG",@progbits,_ZN7rocprim17ROCPRIM_400000_NS6detail17trampoline_kernelINS0_14default_configENS1_20scan_config_selectorIxEEZZNS1_9scan_implILNS1_25lookback_scan_determinismE0ELb1ELb1ES3_N6thrust23THRUST_200600_302600_NS6detail15normal_iteratorINS9_10device_ptrIxEEEENS9_16discard_iteratorINS9_11use_defaultEEExNS9_4plusIvEExEEDaPvRmT3_T4_T5_mT6_P12ihipStream_tbENKUlT_T0_E_clISt17integral_constantIbLb1EESW_IbLb0EEEEDaSS_ST_EUlSS_E_NS1_11comp_targetILNS1_3genE3ELNS1_11target_archE908ELNS1_3gpuE7ELNS1_3repE0EEENS1_30default_config_static_selectorELNS0_4arch9wavefront6targetE1EEEvT1_,comdat
	.protected	_ZN7rocprim17ROCPRIM_400000_NS6detail17trampoline_kernelINS0_14default_configENS1_20scan_config_selectorIxEEZZNS1_9scan_implILNS1_25lookback_scan_determinismE0ELb1ELb1ES3_N6thrust23THRUST_200600_302600_NS6detail15normal_iteratorINS9_10device_ptrIxEEEENS9_16discard_iteratorINS9_11use_defaultEEExNS9_4plusIvEExEEDaPvRmT3_T4_T5_mT6_P12ihipStream_tbENKUlT_T0_E_clISt17integral_constantIbLb1EESW_IbLb0EEEEDaSS_ST_EUlSS_E_NS1_11comp_targetILNS1_3genE3ELNS1_11target_archE908ELNS1_3gpuE7ELNS1_3repE0EEENS1_30default_config_static_selectorELNS0_4arch9wavefront6targetE1EEEvT1_ ; -- Begin function _ZN7rocprim17ROCPRIM_400000_NS6detail17trampoline_kernelINS0_14default_configENS1_20scan_config_selectorIxEEZZNS1_9scan_implILNS1_25lookback_scan_determinismE0ELb1ELb1ES3_N6thrust23THRUST_200600_302600_NS6detail15normal_iteratorINS9_10device_ptrIxEEEENS9_16discard_iteratorINS9_11use_defaultEEExNS9_4plusIvEExEEDaPvRmT3_T4_T5_mT6_P12ihipStream_tbENKUlT_T0_E_clISt17integral_constantIbLb1EESW_IbLb0EEEEDaSS_ST_EUlSS_E_NS1_11comp_targetILNS1_3genE3ELNS1_11target_archE908ELNS1_3gpuE7ELNS1_3repE0EEENS1_30default_config_static_selectorELNS0_4arch9wavefront6targetE1EEEvT1_
	.globl	_ZN7rocprim17ROCPRIM_400000_NS6detail17trampoline_kernelINS0_14default_configENS1_20scan_config_selectorIxEEZZNS1_9scan_implILNS1_25lookback_scan_determinismE0ELb1ELb1ES3_N6thrust23THRUST_200600_302600_NS6detail15normal_iteratorINS9_10device_ptrIxEEEENS9_16discard_iteratorINS9_11use_defaultEEExNS9_4plusIvEExEEDaPvRmT3_T4_T5_mT6_P12ihipStream_tbENKUlT_T0_E_clISt17integral_constantIbLb1EESW_IbLb0EEEEDaSS_ST_EUlSS_E_NS1_11comp_targetILNS1_3genE3ELNS1_11target_archE908ELNS1_3gpuE7ELNS1_3repE0EEENS1_30default_config_static_selectorELNS0_4arch9wavefront6targetE1EEEvT1_
	.p2align	8
	.type	_ZN7rocprim17ROCPRIM_400000_NS6detail17trampoline_kernelINS0_14default_configENS1_20scan_config_selectorIxEEZZNS1_9scan_implILNS1_25lookback_scan_determinismE0ELb1ELb1ES3_N6thrust23THRUST_200600_302600_NS6detail15normal_iteratorINS9_10device_ptrIxEEEENS9_16discard_iteratorINS9_11use_defaultEEExNS9_4plusIvEExEEDaPvRmT3_T4_T5_mT6_P12ihipStream_tbENKUlT_T0_E_clISt17integral_constantIbLb1EESW_IbLb0EEEEDaSS_ST_EUlSS_E_NS1_11comp_targetILNS1_3genE3ELNS1_11target_archE908ELNS1_3gpuE7ELNS1_3repE0EEENS1_30default_config_static_selectorELNS0_4arch9wavefront6targetE1EEEvT1_,@function
_ZN7rocprim17ROCPRIM_400000_NS6detail17trampoline_kernelINS0_14default_configENS1_20scan_config_selectorIxEEZZNS1_9scan_implILNS1_25lookback_scan_determinismE0ELb1ELb1ES3_N6thrust23THRUST_200600_302600_NS6detail15normal_iteratorINS9_10device_ptrIxEEEENS9_16discard_iteratorINS9_11use_defaultEEExNS9_4plusIvEExEEDaPvRmT3_T4_T5_mT6_P12ihipStream_tbENKUlT_T0_E_clISt17integral_constantIbLb1EESW_IbLb0EEEEDaSS_ST_EUlSS_E_NS1_11comp_targetILNS1_3genE3ELNS1_11target_archE908ELNS1_3gpuE7ELNS1_3repE0EEENS1_30default_config_static_selectorELNS0_4arch9wavefront6targetE1EEEvT1_: ; @_ZN7rocprim17ROCPRIM_400000_NS6detail17trampoline_kernelINS0_14default_configENS1_20scan_config_selectorIxEEZZNS1_9scan_implILNS1_25lookback_scan_determinismE0ELb1ELb1ES3_N6thrust23THRUST_200600_302600_NS6detail15normal_iteratorINS9_10device_ptrIxEEEENS9_16discard_iteratorINS9_11use_defaultEEExNS9_4plusIvEExEEDaPvRmT3_T4_T5_mT6_P12ihipStream_tbENKUlT_T0_E_clISt17integral_constantIbLb1EESW_IbLb0EEEEDaSS_ST_EUlSS_E_NS1_11comp_targetILNS1_3genE3ELNS1_11target_archE908ELNS1_3gpuE7ELNS1_3repE0EEENS1_30default_config_static_selectorELNS0_4arch9wavefront6targetE1EEEvT1_
; %bb.0:
	.section	.rodata,"a",@progbits
	.p2align	6, 0x0
	.amdhsa_kernel _ZN7rocprim17ROCPRIM_400000_NS6detail17trampoline_kernelINS0_14default_configENS1_20scan_config_selectorIxEEZZNS1_9scan_implILNS1_25lookback_scan_determinismE0ELb1ELb1ES3_N6thrust23THRUST_200600_302600_NS6detail15normal_iteratorINS9_10device_ptrIxEEEENS9_16discard_iteratorINS9_11use_defaultEEExNS9_4plusIvEExEEDaPvRmT3_T4_T5_mT6_P12ihipStream_tbENKUlT_T0_E_clISt17integral_constantIbLb1EESW_IbLb0EEEEDaSS_ST_EUlSS_E_NS1_11comp_targetILNS1_3genE3ELNS1_11target_archE908ELNS1_3gpuE7ELNS1_3repE0EEENS1_30default_config_static_selectorELNS0_4arch9wavefront6targetE1EEEvT1_
		.amdhsa_group_segment_fixed_size 0
		.amdhsa_private_segment_fixed_size 0
		.amdhsa_kernarg_size 112
		.amdhsa_user_sgpr_count 6
		.amdhsa_user_sgpr_private_segment_buffer 1
		.amdhsa_user_sgpr_dispatch_ptr 0
		.amdhsa_user_sgpr_queue_ptr 0
		.amdhsa_user_sgpr_kernarg_segment_ptr 1
		.amdhsa_user_sgpr_dispatch_id 0
		.amdhsa_user_sgpr_flat_scratch_init 0
		.amdhsa_user_sgpr_kernarg_preload_length 0
		.amdhsa_user_sgpr_kernarg_preload_offset 0
		.amdhsa_user_sgpr_private_segment_size 0
		.amdhsa_uses_dynamic_stack 0
		.amdhsa_system_sgpr_private_segment_wavefront_offset 0
		.amdhsa_system_sgpr_workgroup_id_x 1
		.amdhsa_system_sgpr_workgroup_id_y 0
		.amdhsa_system_sgpr_workgroup_id_z 0
		.amdhsa_system_sgpr_workgroup_info 0
		.amdhsa_system_vgpr_workitem_id 0
		.amdhsa_next_free_vgpr 1
		.amdhsa_next_free_sgpr 0
		.amdhsa_accum_offset 4
		.amdhsa_reserve_vcc 0
		.amdhsa_reserve_flat_scratch 0
		.amdhsa_float_round_mode_32 0
		.amdhsa_float_round_mode_16_64 0
		.amdhsa_float_denorm_mode_32 3
		.amdhsa_float_denorm_mode_16_64 3
		.amdhsa_dx10_clamp 1
		.amdhsa_ieee_mode 1
		.amdhsa_fp16_overflow 0
		.amdhsa_tg_split 0
		.amdhsa_exception_fp_ieee_invalid_op 0
		.amdhsa_exception_fp_denorm_src 0
		.amdhsa_exception_fp_ieee_div_zero 0
		.amdhsa_exception_fp_ieee_overflow 0
		.amdhsa_exception_fp_ieee_underflow 0
		.amdhsa_exception_fp_ieee_inexact 0
		.amdhsa_exception_int_div_zero 0
	.end_amdhsa_kernel
	.section	.text._ZN7rocprim17ROCPRIM_400000_NS6detail17trampoline_kernelINS0_14default_configENS1_20scan_config_selectorIxEEZZNS1_9scan_implILNS1_25lookback_scan_determinismE0ELb1ELb1ES3_N6thrust23THRUST_200600_302600_NS6detail15normal_iteratorINS9_10device_ptrIxEEEENS9_16discard_iteratorINS9_11use_defaultEEExNS9_4plusIvEExEEDaPvRmT3_T4_T5_mT6_P12ihipStream_tbENKUlT_T0_E_clISt17integral_constantIbLb1EESW_IbLb0EEEEDaSS_ST_EUlSS_E_NS1_11comp_targetILNS1_3genE3ELNS1_11target_archE908ELNS1_3gpuE7ELNS1_3repE0EEENS1_30default_config_static_selectorELNS0_4arch9wavefront6targetE1EEEvT1_,"axG",@progbits,_ZN7rocprim17ROCPRIM_400000_NS6detail17trampoline_kernelINS0_14default_configENS1_20scan_config_selectorIxEEZZNS1_9scan_implILNS1_25lookback_scan_determinismE0ELb1ELb1ES3_N6thrust23THRUST_200600_302600_NS6detail15normal_iteratorINS9_10device_ptrIxEEEENS9_16discard_iteratorINS9_11use_defaultEEExNS9_4plusIvEExEEDaPvRmT3_T4_T5_mT6_P12ihipStream_tbENKUlT_T0_E_clISt17integral_constantIbLb1EESW_IbLb0EEEEDaSS_ST_EUlSS_E_NS1_11comp_targetILNS1_3genE3ELNS1_11target_archE908ELNS1_3gpuE7ELNS1_3repE0EEENS1_30default_config_static_selectorELNS0_4arch9wavefront6targetE1EEEvT1_,comdat
.Lfunc_end5693:
	.size	_ZN7rocprim17ROCPRIM_400000_NS6detail17trampoline_kernelINS0_14default_configENS1_20scan_config_selectorIxEEZZNS1_9scan_implILNS1_25lookback_scan_determinismE0ELb1ELb1ES3_N6thrust23THRUST_200600_302600_NS6detail15normal_iteratorINS9_10device_ptrIxEEEENS9_16discard_iteratorINS9_11use_defaultEEExNS9_4plusIvEExEEDaPvRmT3_T4_T5_mT6_P12ihipStream_tbENKUlT_T0_E_clISt17integral_constantIbLb1EESW_IbLb0EEEEDaSS_ST_EUlSS_E_NS1_11comp_targetILNS1_3genE3ELNS1_11target_archE908ELNS1_3gpuE7ELNS1_3repE0EEENS1_30default_config_static_selectorELNS0_4arch9wavefront6targetE1EEEvT1_, .Lfunc_end5693-_ZN7rocprim17ROCPRIM_400000_NS6detail17trampoline_kernelINS0_14default_configENS1_20scan_config_selectorIxEEZZNS1_9scan_implILNS1_25lookback_scan_determinismE0ELb1ELb1ES3_N6thrust23THRUST_200600_302600_NS6detail15normal_iteratorINS9_10device_ptrIxEEEENS9_16discard_iteratorINS9_11use_defaultEEExNS9_4plusIvEExEEDaPvRmT3_T4_T5_mT6_P12ihipStream_tbENKUlT_T0_E_clISt17integral_constantIbLb1EESW_IbLb0EEEEDaSS_ST_EUlSS_E_NS1_11comp_targetILNS1_3genE3ELNS1_11target_archE908ELNS1_3gpuE7ELNS1_3repE0EEENS1_30default_config_static_selectorELNS0_4arch9wavefront6targetE1EEEvT1_
                                        ; -- End function
	.section	.AMDGPU.csdata,"",@progbits
; Kernel info:
; codeLenInByte = 0
; NumSgprs: 4
; NumVgprs: 0
; NumAgprs: 0
; TotalNumVgprs: 0
; ScratchSize: 0
; MemoryBound: 0
; FloatMode: 240
; IeeeMode: 1
; LDSByteSize: 0 bytes/workgroup (compile time only)
; SGPRBlocks: 0
; VGPRBlocks: 0
; NumSGPRsForWavesPerEU: 4
; NumVGPRsForWavesPerEU: 1
; AccumOffset: 4
; Occupancy: 8
; WaveLimiterHint : 0
; COMPUTE_PGM_RSRC2:SCRATCH_EN: 0
; COMPUTE_PGM_RSRC2:USER_SGPR: 6
; COMPUTE_PGM_RSRC2:TRAP_HANDLER: 0
; COMPUTE_PGM_RSRC2:TGID_X_EN: 1
; COMPUTE_PGM_RSRC2:TGID_Y_EN: 0
; COMPUTE_PGM_RSRC2:TGID_Z_EN: 0
; COMPUTE_PGM_RSRC2:TIDIG_COMP_CNT: 0
; COMPUTE_PGM_RSRC3_GFX90A:ACCUM_OFFSET: 0
; COMPUTE_PGM_RSRC3_GFX90A:TG_SPLIT: 0
	.section	.text._ZN7rocprim17ROCPRIM_400000_NS6detail17trampoline_kernelINS0_14default_configENS1_20scan_config_selectorIxEEZZNS1_9scan_implILNS1_25lookback_scan_determinismE0ELb1ELb1ES3_N6thrust23THRUST_200600_302600_NS6detail15normal_iteratorINS9_10device_ptrIxEEEENS9_16discard_iteratorINS9_11use_defaultEEExNS9_4plusIvEExEEDaPvRmT3_T4_T5_mT6_P12ihipStream_tbENKUlT_T0_E_clISt17integral_constantIbLb1EESW_IbLb0EEEEDaSS_ST_EUlSS_E_NS1_11comp_targetILNS1_3genE2ELNS1_11target_archE906ELNS1_3gpuE6ELNS1_3repE0EEENS1_30default_config_static_selectorELNS0_4arch9wavefront6targetE1EEEvT1_,"axG",@progbits,_ZN7rocprim17ROCPRIM_400000_NS6detail17trampoline_kernelINS0_14default_configENS1_20scan_config_selectorIxEEZZNS1_9scan_implILNS1_25lookback_scan_determinismE0ELb1ELb1ES3_N6thrust23THRUST_200600_302600_NS6detail15normal_iteratorINS9_10device_ptrIxEEEENS9_16discard_iteratorINS9_11use_defaultEEExNS9_4plusIvEExEEDaPvRmT3_T4_T5_mT6_P12ihipStream_tbENKUlT_T0_E_clISt17integral_constantIbLb1EESW_IbLb0EEEEDaSS_ST_EUlSS_E_NS1_11comp_targetILNS1_3genE2ELNS1_11target_archE906ELNS1_3gpuE6ELNS1_3repE0EEENS1_30default_config_static_selectorELNS0_4arch9wavefront6targetE1EEEvT1_,comdat
	.protected	_ZN7rocprim17ROCPRIM_400000_NS6detail17trampoline_kernelINS0_14default_configENS1_20scan_config_selectorIxEEZZNS1_9scan_implILNS1_25lookback_scan_determinismE0ELb1ELb1ES3_N6thrust23THRUST_200600_302600_NS6detail15normal_iteratorINS9_10device_ptrIxEEEENS9_16discard_iteratorINS9_11use_defaultEEExNS9_4plusIvEExEEDaPvRmT3_T4_T5_mT6_P12ihipStream_tbENKUlT_T0_E_clISt17integral_constantIbLb1EESW_IbLb0EEEEDaSS_ST_EUlSS_E_NS1_11comp_targetILNS1_3genE2ELNS1_11target_archE906ELNS1_3gpuE6ELNS1_3repE0EEENS1_30default_config_static_selectorELNS0_4arch9wavefront6targetE1EEEvT1_ ; -- Begin function _ZN7rocprim17ROCPRIM_400000_NS6detail17trampoline_kernelINS0_14default_configENS1_20scan_config_selectorIxEEZZNS1_9scan_implILNS1_25lookback_scan_determinismE0ELb1ELb1ES3_N6thrust23THRUST_200600_302600_NS6detail15normal_iteratorINS9_10device_ptrIxEEEENS9_16discard_iteratorINS9_11use_defaultEEExNS9_4plusIvEExEEDaPvRmT3_T4_T5_mT6_P12ihipStream_tbENKUlT_T0_E_clISt17integral_constantIbLb1EESW_IbLb0EEEEDaSS_ST_EUlSS_E_NS1_11comp_targetILNS1_3genE2ELNS1_11target_archE906ELNS1_3gpuE6ELNS1_3repE0EEENS1_30default_config_static_selectorELNS0_4arch9wavefront6targetE1EEEvT1_
	.globl	_ZN7rocprim17ROCPRIM_400000_NS6detail17trampoline_kernelINS0_14default_configENS1_20scan_config_selectorIxEEZZNS1_9scan_implILNS1_25lookback_scan_determinismE0ELb1ELb1ES3_N6thrust23THRUST_200600_302600_NS6detail15normal_iteratorINS9_10device_ptrIxEEEENS9_16discard_iteratorINS9_11use_defaultEEExNS9_4plusIvEExEEDaPvRmT3_T4_T5_mT6_P12ihipStream_tbENKUlT_T0_E_clISt17integral_constantIbLb1EESW_IbLb0EEEEDaSS_ST_EUlSS_E_NS1_11comp_targetILNS1_3genE2ELNS1_11target_archE906ELNS1_3gpuE6ELNS1_3repE0EEENS1_30default_config_static_selectorELNS0_4arch9wavefront6targetE1EEEvT1_
	.p2align	8
	.type	_ZN7rocprim17ROCPRIM_400000_NS6detail17trampoline_kernelINS0_14default_configENS1_20scan_config_selectorIxEEZZNS1_9scan_implILNS1_25lookback_scan_determinismE0ELb1ELb1ES3_N6thrust23THRUST_200600_302600_NS6detail15normal_iteratorINS9_10device_ptrIxEEEENS9_16discard_iteratorINS9_11use_defaultEEExNS9_4plusIvEExEEDaPvRmT3_T4_T5_mT6_P12ihipStream_tbENKUlT_T0_E_clISt17integral_constantIbLb1EESW_IbLb0EEEEDaSS_ST_EUlSS_E_NS1_11comp_targetILNS1_3genE2ELNS1_11target_archE906ELNS1_3gpuE6ELNS1_3repE0EEENS1_30default_config_static_selectorELNS0_4arch9wavefront6targetE1EEEvT1_,@function
_ZN7rocprim17ROCPRIM_400000_NS6detail17trampoline_kernelINS0_14default_configENS1_20scan_config_selectorIxEEZZNS1_9scan_implILNS1_25lookback_scan_determinismE0ELb1ELb1ES3_N6thrust23THRUST_200600_302600_NS6detail15normal_iteratorINS9_10device_ptrIxEEEENS9_16discard_iteratorINS9_11use_defaultEEExNS9_4plusIvEExEEDaPvRmT3_T4_T5_mT6_P12ihipStream_tbENKUlT_T0_E_clISt17integral_constantIbLb1EESW_IbLb0EEEEDaSS_ST_EUlSS_E_NS1_11comp_targetILNS1_3genE2ELNS1_11target_archE906ELNS1_3gpuE6ELNS1_3repE0EEENS1_30default_config_static_selectorELNS0_4arch9wavefront6targetE1EEEvT1_: ; @_ZN7rocprim17ROCPRIM_400000_NS6detail17trampoline_kernelINS0_14default_configENS1_20scan_config_selectorIxEEZZNS1_9scan_implILNS1_25lookback_scan_determinismE0ELb1ELb1ES3_N6thrust23THRUST_200600_302600_NS6detail15normal_iteratorINS9_10device_ptrIxEEEENS9_16discard_iteratorINS9_11use_defaultEEExNS9_4plusIvEExEEDaPvRmT3_T4_T5_mT6_P12ihipStream_tbENKUlT_T0_E_clISt17integral_constantIbLb1EESW_IbLb0EEEEDaSS_ST_EUlSS_E_NS1_11comp_targetILNS1_3genE2ELNS1_11target_archE906ELNS1_3gpuE6ELNS1_3repE0EEENS1_30default_config_static_selectorELNS0_4arch9wavefront6targetE1EEEvT1_
; %bb.0:
	.section	.rodata,"a",@progbits
	.p2align	6, 0x0
	.amdhsa_kernel _ZN7rocprim17ROCPRIM_400000_NS6detail17trampoline_kernelINS0_14default_configENS1_20scan_config_selectorIxEEZZNS1_9scan_implILNS1_25lookback_scan_determinismE0ELb1ELb1ES3_N6thrust23THRUST_200600_302600_NS6detail15normal_iteratorINS9_10device_ptrIxEEEENS9_16discard_iteratorINS9_11use_defaultEEExNS9_4plusIvEExEEDaPvRmT3_T4_T5_mT6_P12ihipStream_tbENKUlT_T0_E_clISt17integral_constantIbLb1EESW_IbLb0EEEEDaSS_ST_EUlSS_E_NS1_11comp_targetILNS1_3genE2ELNS1_11target_archE906ELNS1_3gpuE6ELNS1_3repE0EEENS1_30default_config_static_selectorELNS0_4arch9wavefront6targetE1EEEvT1_
		.amdhsa_group_segment_fixed_size 0
		.amdhsa_private_segment_fixed_size 0
		.amdhsa_kernarg_size 112
		.amdhsa_user_sgpr_count 6
		.amdhsa_user_sgpr_private_segment_buffer 1
		.amdhsa_user_sgpr_dispatch_ptr 0
		.amdhsa_user_sgpr_queue_ptr 0
		.amdhsa_user_sgpr_kernarg_segment_ptr 1
		.amdhsa_user_sgpr_dispatch_id 0
		.amdhsa_user_sgpr_flat_scratch_init 0
		.amdhsa_user_sgpr_kernarg_preload_length 0
		.amdhsa_user_sgpr_kernarg_preload_offset 0
		.amdhsa_user_sgpr_private_segment_size 0
		.amdhsa_uses_dynamic_stack 0
		.amdhsa_system_sgpr_private_segment_wavefront_offset 0
		.amdhsa_system_sgpr_workgroup_id_x 1
		.amdhsa_system_sgpr_workgroup_id_y 0
		.amdhsa_system_sgpr_workgroup_id_z 0
		.amdhsa_system_sgpr_workgroup_info 0
		.amdhsa_system_vgpr_workitem_id 0
		.amdhsa_next_free_vgpr 1
		.amdhsa_next_free_sgpr 0
		.amdhsa_accum_offset 4
		.amdhsa_reserve_vcc 0
		.amdhsa_reserve_flat_scratch 0
		.amdhsa_float_round_mode_32 0
		.amdhsa_float_round_mode_16_64 0
		.amdhsa_float_denorm_mode_32 3
		.amdhsa_float_denorm_mode_16_64 3
		.amdhsa_dx10_clamp 1
		.amdhsa_ieee_mode 1
		.amdhsa_fp16_overflow 0
		.amdhsa_tg_split 0
		.amdhsa_exception_fp_ieee_invalid_op 0
		.amdhsa_exception_fp_denorm_src 0
		.amdhsa_exception_fp_ieee_div_zero 0
		.amdhsa_exception_fp_ieee_overflow 0
		.amdhsa_exception_fp_ieee_underflow 0
		.amdhsa_exception_fp_ieee_inexact 0
		.amdhsa_exception_int_div_zero 0
	.end_amdhsa_kernel
	.section	.text._ZN7rocprim17ROCPRIM_400000_NS6detail17trampoline_kernelINS0_14default_configENS1_20scan_config_selectorIxEEZZNS1_9scan_implILNS1_25lookback_scan_determinismE0ELb1ELb1ES3_N6thrust23THRUST_200600_302600_NS6detail15normal_iteratorINS9_10device_ptrIxEEEENS9_16discard_iteratorINS9_11use_defaultEEExNS9_4plusIvEExEEDaPvRmT3_T4_T5_mT6_P12ihipStream_tbENKUlT_T0_E_clISt17integral_constantIbLb1EESW_IbLb0EEEEDaSS_ST_EUlSS_E_NS1_11comp_targetILNS1_3genE2ELNS1_11target_archE906ELNS1_3gpuE6ELNS1_3repE0EEENS1_30default_config_static_selectorELNS0_4arch9wavefront6targetE1EEEvT1_,"axG",@progbits,_ZN7rocprim17ROCPRIM_400000_NS6detail17trampoline_kernelINS0_14default_configENS1_20scan_config_selectorIxEEZZNS1_9scan_implILNS1_25lookback_scan_determinismE0ELb1ELb1ES3_N6thrust23THRUST_200600_302600_NS6detail15normal_iteratorINS9_10device_ptrIxEEEENS9_16discard_iteratorINS9_11use_defaultEEExNS9_4plusIvEExEEDaPvRmT3_T4_T5_mT6_P12ihipStream_tbENKUlT_T0_E_clISt17integral_constantIbLb1EESW_IbLb0EEEEDaSS_ST_EUlSS_E_NS1_11comp_targetILNS1_3genE2ELNS1_11target_archE906ELNS1_3gpuE6ELNS1_3repE0EEENS1_30default_config_static_selectorELNS0_4arch9wavefront6targetE1EEEvT1_,comdat
.Lfunc_end5694:
	.size	_ZN7rocprim17ROCPRIM_400000_NS6detail17trampoline_kernelINS0_14default_configENS1_20scan_config_selectorIxEEZZNS1_9scan_implILNS1_25lookback_scan_determinismE0ELb1ELb1ES3_N6thrust23THRUST_200600_302600_NS6detail15normal_iteratorINS9_10device_ptrIxEEEENS9_16discard_iteratorINS9_11use_defaultEEExNS9_4plusIvEExEEDaPvRmT3_T4_T5_mT6_P12ihipStream_tbENKUlT_T0_E_clISt17integral_constantIbLb1EESW_IbLb0EEEEDaSS_ST_EUlSS_E_NS1_11comp_targetILNS1_3genE2ELNS1_11target_archE906ELNS1_3gpuE6ELNS1_3repE0EEENS1_30default_config_static_selectorELNS0_4arch9wavefront6targetE1EEEvT1_, .Lfunc_end5694-_ZN7rocprim17ROCPRIM_400000_NS6detail17trampoline_kernelINS0_14default_configENS1_20scan_config_selectorIxEEZZNS1_9scan_implILNS1_25lookback_scan_determinismE0ELb1ELb1ES3_N6thrust23THRUST_200600_302600_NS6detail15normal_iteratorINS9_10device_ptrIxEEEENS9_16discard_iteratorINS9_11use_defaultEEExNS9_4plusIvEExEEDaPvRmT3_T4_T5_mT6_P12ihipStream_tbENKUlT_T0_E_clISt17integral_constantIbLb1EESW_IbLb0EEEEDaSS_ST_EUlSS_E_NS1_11comp_targetILNS1_3genE2ELNS1_11target_archE906ELNS1_3gpuE6ELNS1_3repE0EEENS1_30default_config_static_selectorELNS0_4arch9wavefront6targetE1EEEvT1_
                                        ; -- End function
	.section	.AMDGPU.csdata,"",@progbits
; Kernel info:
; codeLenInByte = 0
; NumSgprs: 4
; NumVgprs: 0
; NumAgprs: 0
; TotalNumVgprs: 0
; ScratchSize: 0
; MemoryBound: 0
; FloatMode: 240
; IeeeMode: 1
; LDSByteSize: 0 bytes/workgroup (compile time only)
; SGPRBlocks: 0
; VGPRBlocks: 0
; NumSGPRsForWavesPerEU: 4
; NumVGPRsForWavesPerEU: 1
; AccumOffset: 4
; Occupancy: 8
; WaveLimiterHint : 0
; COMPUTE_PGM_RSRC2:SCRATCH_EN: 0
; COMPUTE_PGM_RSRC2:USER_SGPR: 6
; COMPUTE_PGM_RSRC2:TRAP_HANDLER: 0
; COMPUTE_PGM_RSRC2:TGID_X_EN: 1
; COMPUTE_PGM_RSRC2:TGID_Y_EN: 0
; COMPUTE_PGM_RSRC2:TGID_Z_EN: 0
; COMPUTE_PGM_RSRC2:TIDIG_COMP_CNT: 0
; COMPUTE_PGM_RSRC3_GFX90A:ACCUM_OFFSET: 0
; COMPUTE_PGM_RSRC3_GFX90A:TG_SPLIT: 0
	.section	.text._ZN7rocprim17ROCPRIM_400000_NS6detail17trampoline_kernelINS0_14default_configENS1_20scan_config_selectorIxEEZZNS1_9scan_implILNS1_25lookback_scan_determinismE0ELb1ELb1ES3_N6thrust23THRUST_200600_302600_NS6detail15normal_iteratorINS9_10device_ptrIxEEEENS9_16discard_iteratorINS9_11use_defaultEEExNS9_4plusIvEExEEDaPvRmT3_T4_T5_mT6_P12ihipStream_tbENKUlT_T0_E_clISt17integral_constantIbLb1EESW_IbLb0EEEEDaSS_ST_EUlSS_E_NS1_11comp_targetILNS1_3genE10ELNS1_11target_archE1201ELNS1_3gpuE5ELNS1_3repE0EEENS1_30default_config_static_selectorELNS0_4arch9wavefront6targetE1EEEvT1_,"axG",@progbits,_ZN7rocprim17ROCPRIM_400000_NS6detail17trampoline_kernelINS0_14default_configENS1_20scan_config_selectorIxEEZZNS1_9scan_implILNS1_25lookback_scan_determinismE0ELb1ELb1ES3_N6thrust23THRUST_200600_302600_NS6detail15normal_iteratorINS9_10device_ptrIxEEEENS9_16discard_iteratorINS9_11use_defaultEEExNS9_4plusIvEExEEDaPvRmT3_T4_T5_mT6_P12ihipStream_tbENKUlT_T0_E_clISt17integral_constantIbLb1EESW_IbLb0EEEEDaSS_ST_EUlSS_E_NS1_11comp_targetILNS1_3genE10ELNS1_11target_archE1201ELNS1_3gpuE5ELNS1_3repE0EEENS1_30default_config_static_selectorELNS0_4arch9wavefront6targetE1EEEvT1_,comdat
	.protected	_ZN7rocprim17ROCPRIM_400000_NS6detail17trampoline_kernelINS0_14default_configENS1_20scan_config_selectorIxEEZZNS1_9scan_implILNS1_25lookback_scan_determinismE0ELb1ELb1ES3_N6thrust23THRUST_200600_302600_NS6detail15normal_iteratorINS9_10device_ptrIxEEEENS9_16discard_iteratorINS9_11use_defaultEEExNS9_4plusIvEExEEDaPvRmT3_T4_T5_mT6_P12ihipStream_tbENKUlT_T0_E_clISt17integral_constantIbLb1EESW_IbLb0EEEEDaSS_ST_EUlSS_E_NS1_11comp_targetILNS1_3genE10ELNS1_11target_archE1201ELNS1_3gpuE5ELNS1_3repE0EEENS1_30default_config_static_selectorELNS0_4arch9wavefront6targetE1EEEvT1_ ; -- Begin function _ZN7rocprim17ROCPRIM_400000_NS6detail17trampoline_kernelINS0_14default_configENS1_20scan_config_selectorIxEEZZNS1_9scan_implILNS1_25lookback_scan_determinismE0ELb1ELb1ES3_N6thrust23THRUST_200600_302600_NS6detail15normal_iteratorINS9_10device_ptrIxEEEENS9_16discard_iteratorINS9_11use_defaultEEExNS9_4plusIvEExEEDaPvRmT3_T4_T5_mT6_P12ihipStream_tbENKUlT_T0_E_clISt17integral_constantIbLb1EESW_IbLb0EEEEDaSS_ST_EUlSS_E_NS1_11comp_targetILNS1_3genE10ELNS1_11target_archE1201ELNS1_3gpuE5ELNS1_3repE0EEENS1_30default_config_static_selectorELNS0_4arch9wavefront6targetE1EEEvT1_
	.globl	_ZN7rocprim17ROCPRIM_400000_NS6detail17trampoline_kernelINS0_14default_configENS1_20scan_config_selectorIxEEZZNS1_9scan_implILNS1_25lookback_scan_determinismE0ELb1ELb1ES3_N6thrust23THRUST_200600_302600_NS6detail15normal_iteratorINS9_10device_ptrIxEEEENS9_16discard_iteratorINS9_11use_defaultEEExNS9_4plusIvEExEEDaPvRmT3_T4_T5_mT6_P12ihipStream_tbENKUlT_T0_E_clISt17integral_constantIbLb1EESW_IbLb0EEEEDaSS_ST_EUlSS_E_NS1_11comp_targetILNS1_3genE10ELNS1_11target_archE1201ELNS1_3gpuE5ELNS1_3repE0EEENS1_30default_config_static_selectorELNS0_4arch9wavefront6targetE1EEEvT1_
	.p2align	8
	.type	_ZN7rocprim17ROCPRIM_400000_NS6detail17trampoline_kernelINS0_14default_configENS1_20scan_config_selectorIxEEZZNS1_9scan_implILNS1_25lookback_scan_determinismE0ELb1ELb1ES3_N6thrust23THRUST_200600_302600_NS6detail15normal_iteratorINS9_10device_ptrIxEEEENS9_16discard_iteratorINS9_11use_defaultEEExNS9_4plusIvEExEEDaPvRmT3_T4_T5_mT6_P12ihipStream_tbENKUlT_T0_E_clISt17integral_constantIbLb1EESW_IbLb0EEEEDaSS_ST_EUlSS_E_NS1_11comp_targetILNS1_3genE10ELNS1_11target_archE1201ELNS1_3gpuE5ELNS1_3repE0EEENS1_30default_config_static_selectorELNS0_4arch9wavefront6targetE1EEEvT1_,@function
_ZN7rocprim17ROCPRIM_400000_NS6detail17trampoline_kernelINS0_14default_configENS1_20scan_config_selectorIxEEZZNS1_9scan_implILNS1_25lookback_scan_determinismE0ELb1ELb1ES3_N6thrust23THRUST_200600_302600_NS6detail15normal_iteratorINS9_10device_ptrIxEEEENS9_16discard_iteratorINS9_11use_defaultEEExNS9_4plusIvEExEEDaPvRmT3_T4_T5_mT6_P12ihipStream_tbENKUlT_T0_E_clISt17integral_constantIbLb1EESW_IbLb0EEEEDaSS_ST_EUlSS_E_NS1_11comp_targetILNS1_3genE10ELNS1_11target_archE1201ELNS1_3gpuE5ELNS1_3repE0EEENS1_30default_config_static_selectorELNS0_4arch9wavefront6targetE1EEEvT1_: ; @_ZN7rocprim17ROCPRIM_400000_NS6detail17trampoline_kernelINS0_14default_configENS1_20scan_config_selectorIxEEZZNS1_9scan_implILNS1_25lookback_scan_determinismE0ELb1ELb1ES3_N6thrust23THRUST_200600_302600_NS6detail15normal_iteratorINS9_10device_ptrIxEEEENS9_16discard_iteratorINS9_11use_defaultEEExNS9_4plusIvEExEEDaPvRmT3_T4_T5_mT6_P12ihipStream_tbENKUlT_T0_E_clISt17integral_constantIbLb1EESW_IbLb0EEEEDaSS_ST_EUlSS_E_NS1_11comp_targetILNS1_3genE10ELNS1_11target_archE1201ELNS1_3gpuE5ELNS1_3repE0EEENS1_30default_config_static_selectorELNS0_4arch9wavefront6targetE1EEEvT1_
; %bb.0:
	.section	.rodata,"a",@progbits
	.p2align	6, 0x0
	.amdhsa_kernel _ZN7rocprim17ROCPRIM_400000_NS6detail17trampoline_kernelINS0_14default_configENS1_20scan_config_selectorIxEEZZNS1_9scan_implILNS1_25lookback_scan_determinismE0ELb1ELb1ES3_N6thrust23THRUST_200600_302600_NS6detail15normal_iteratorINS9_10device_ptrIxEEEENS9_16discard_iteratorINS9_11use_defaultEEExNS9_4plusIvEExEEDaPvRmT3_T4_T5_mT6_P12ihipStream_tbENKUlT_T0_E_clISt17integral_constantIbLb1EESW_IbLb0EEEEDaSS_ST_EUlSS_E_NS1_11comp_targetILNS1_3genE10ELNS1_11target_archE1201ELNS1_3gpuE5ELNS1_3repE0EEENS1_30default_config_static_selectorELNS0_4arch9wavefront6targetE1EEEvT1_
		.amdhsa_group_segment_fixed_size 0
		.amdhsa_private_segment_fixed_size 0
		.amdhsa_kernarg_size 112
		.amdhsa_user_sgpr_count 6
		.amdhsa_user_sgpr_private_segment_buffer 1
		.amdhsa_user_sgpr_dispatch_ptr 0
		.amdhsa_user_sgpr_queue_ptr 0
		.amdhsa_user_sgpr_kernarg_segment_ptr 1
		.amdhsa_user_sgpr_dispatch_id 0
		.amdhsa_user_sgpr_flat_scratch_init 0
		.amdhsa_user_sgpr_kernarg_preload_length 0
		.amdhsa_user_sgpr_kernarg_preload_offset 0
		.amdhsa_user_sgpr_private_segment_size 0
		.amdhsa_uses_dynamic_stack 0
		.amdhsa_system_sgpr_private_segment_wavefront_offset 0
		.amdhsa_system_sgpr_workgroup_id_x 1
		.amdhsa_system_sgpr_workgroup_id_y 0
		.amdhsa_system_sgpr_workgroup_id_z 0
		.amdhsa_system_sgpr_workgroup_info 0
		.amdhsa_system_vgpr_workitem_id 0
		.amdhsa_next_free_vgpr 1
		.amdhsa_next_free_sgpr 0
		.amdhsa_accum_offset 4
		.amdhsa_reserve_vcc 0
		.amdhsa_reserve_flat_scratch 0
		.amdhsa_float_round_mode_32 0
		.amdhsa_float_round_mode_16_64 0
		.amdhsa_float_denorm_mode_32 3
		.amdhsa_float_denorm_mode_16_64 3
		.amdhsa_dx10_clamp 1
		.amdhsa_ieee_mode 1
		.amdhsa_fp16_overflow 0
		.amdhsa_tg_split 0
		.amdhsa_exception_fp_ieee_invalid_op 0
		.amdhsa_exception_fp_denorm_src 0
		.amdhsa_exception_fp_ieee_div_zero 0
		.amdhsa_exception_fp_ieee_overflow 0
		.amdhsa_exception_fp_ieee_underflow 0
		.amdhsa_exception_fp_ieee_inexact 0
		.amdhsa_exception_int_div_zero 0
	.end_amdhsa_kernel
	.section	.text._ZN7rocprim17ROCPRIM_400000_NS6detail17trampoline_kernelINS0_14default_configENS1_20scan_config_selectorIxEEZZNS1_9scan_implILNS1_25lookback_scan_determinismE0ELb1ELb1ES3_N6thrust23THRUST_200600_302600_NS6detail15normal_iteratorINS9_10device_ptrIxEEEENS9_16discard_iteratorINS9_11use_defaultEEExNS9_4plusIvEExEEDaPvRmT3_T4_T5_mT6_P12ihipStream_tbENKUlT_T0_E_clISt17integral_constantIbLb1EESW_IbLb0EEEEDaSS_ST_EUlSS_E_NS1_11comp_targetILNS1_3genE10ELNS1_11target_archE1201ELNS1_3gpuE5ELNS1_3repE0EEENS1_30default_config_static_selectorELNS0_4arch9wavefront6targetE1EEEvT1_,"axG",@progbits,_ZN7rocprim17ROCPRIM_400000_NS6detail17trampoline_kernelINS0_14default_configENS1_20scan_config_selectorIxEEZZNS1_9scan_implILNS1_25lookback_scan_determinismE0ELb1ELb1ES3_N6thrust23THRUST_200600_302600_NS6detail15normal_iteratorINS9_10device_ptrIxEEEENS9_16discard_iteratorINS9_11use_defaultEEExNS9_4plusIvEExEEDaPvRmT3_T4_T5_mT6_P12ihipStream_tbENKUlT_T0_E_clISt17integral_constantIbLb1EESW_IbLb0EEEEDaSS_ST_EUlSS_E_NS1_11comp_targetILNS1_3genE10ELNS1_11target_archE1201ELNS1_3gpuE5ELNS1_3repE0EEENS1_30default_config_static_selectorELNS0_4arch9wavefront6targetE1EEEvT1_,comdat
.Lfunc_end5695:
	.size	_ZN7rocprim17ROCPRIM_400000_NS6detail17trampoline_kernelINS0_14default_configENS1_20scan_config_selectorIxEEZZNS1_9scan_implILNS1_25lookback_scan_determinismE0ELb1ELb1ES3_N6thrust23THRUST_200600_302600_NS6detail15normal_iteratorINS9_10device_ptrIxEEEENS9_16discard_iteratorINS9_11use_defaultEEExNS9_4plusIvEExEEDaPvRmT3_T4_T5_mT6_P12ihipStream_tbENKUlT_T0_E_clISt17integral_constantIbLb1EESW_IbLb0EEEEDaSS_ST_EUlSS_E_NS1_11comp_targetILNS1_3genE10ELNS1_11target_archE1201ELNS1_3gpuE5ELNS1_3repE0EEENS1_30default_config_static_selectorELNS0_4arch9wavefront6targetE1EEEvT1_, .Lfunc_end5695-_ZN7rocprim17ROCPRIM_400000_NS6detail17trampoline_kernelINS0_14default_configENS1_20scan_config_selectorIxEEZZNS1_9scan_implILNS1_25lookback_scan_determinismE0ELb1ELb1ES3_N6thrust23THRUST_200600_302600_NS6detail15normal_iteratorINS9_10device_ptrIxEEEENS9_16discard_iteratorINS9_11use_defaultEEExNS9_4plusIvEExEEDaPvRmT3_T4_T5_mT6_P12ihipStream_tbENKUlT_T0_E_clISt17integral_constantIbLb1EESW_IbLb0EEEEDaSS_ST_EUlSS_E_NS1_11comp_targetILNS1_3genE10ELNS1_11target_archE1201ELNS1_3gpuE5ELNS1_3repE0EEENS1_30default_config_static_selectorELNS0_4arch9wavefront6targetE1EEEvT1_
                                        ; -- End function
	.section	.AMDGPU.csdata,"",@progbits
; Kernel info:
; codeLenInByte = 0
; NumSgprs: 4
; NumVgprs: 0
; NumAgprs: 0
; TotalNumVgprs: 0
; ScratchSize: 0
; MemoryBound: 0
; FloatMode: 240
; IeeeMode: 1
; LDSByteSize: 0 bytes/workgroup (compile time only)
; SGPRBlocks: 0
; VGPRBlocks: 0
; NumSGPRsForWavesPerEU: 4
; NumVGPRsForWavesPerEU: 1
; AccumOffset: 4
; Occupancy: 8
; WaveLimiterHint : 0
; COMPUTE_PGM_RSRC2:SCRATCH_EN: 0
; COMPUTE_PGM_RSRC2:USER_SGPR: 6
; COMPUTE_PGM_RSRC2:TRAP_HANDLER: 0
; COMPUTE_PGM_RSRC2:TGID_X_EN: 1
; COMPUTE_PGM_RSRC2:TGID_Y_EN: 0
; COMPUTE_PGM_RSRC2:TGID_Z_EN: 0
; COMPUTE_PGM_RSRC2:TIDIG_COMP_CNT: 0
; COMPUTE_PGM_RSRC3_GFX90A:ACCUM_OFFSET: 0
; COMPUTE_PGM_RSRC3_GFX90A:TG_SPLIT: 0
	.section	.text._ZN7rocprim17ROCPRIM_400000_NS6detail17trampoline_kernelINS0_14default_configENS1_20scan_config_selectorIxEEZZNS1_9scan_implILNS1_25lookback_scan_determinismE0ELb1ELb1ES3_N6thrust23THRUST_200600_302600_NS6detail15normal_iteratorINS9_10device_ptrIxEEEENS9_16discard_iteratorINS9_11use_defaultEEExNS9_4plusIvEExEEDaPvRmT3_T4_T5_mT6_P12ihipStream_tbENKUlT_T0_E_clISt17integral_constantIbLb1EESW_IbLb0EEEEDaSS_ST_EUlSS_E_NS1_11comp_targetILNS1_3genE10ELNS1_11target_archE1200ELNS1_3gpuE4ELNS1_3repE0EEENS1_30default_config_static_selectorELNS0_4arch9wavefront6targetE1EEEvT1_,"axG",@progbits,_ZN7rocprim17ROCPRIM_400000_NS6detail17trampoline_kernelINS0_14default_configENS1_20scan_config_selectorIxEEZZNS1_9scan_implILNS1_25lookback_scan_determinismE0ELb1ELb1ES3_N6thrust23THRUST_200600_302600_NS6detail15normal_iteratorINS9_10device_ptrIxEEEENS9_16discard_iteratorINS9_11use_defaultEEExNS9_4plusIvEExEEDaPvRmT3_T4_T5_mT6_P12ihipStream_tbENKUlT_T0_E_clISt17integral_constantIbLb1EESW_IbLb0EEEEDaSS_ST_EUlSS_E_NS1_11comp_targetILNS1_3genE10ELNS1_11target_archE1200ELNS1_3gpuE4ELNS1_3repE0EEENS1_30default_config_static_selectorELNS0_4arch9wavefront6targetE1EEEvT1_,comdat
	.protected	_ZN7rocprim17ROCPRIM_400000_NS6detail17trampoline_kernelINS0_14default_configENS1_20scan_config_selectorIxEEZZNS1_9scan_implILNS1_25lookback_scan_determinismE0ELb1ELb1ES3_N6thrust23THRUST_200600_302600_NS6detail15normal_iteratorINS9_10device_ptrIxEEEENS9_16discard_iteratorINS9_11use_defaultEEExNS9_4plusIvEExEEDaPvRmT3_T4_T5_mT6_P12ihipStream_tbENKUlT_T0_E_clISt17integral_constantIbLb1EESW_IbLb0EEEEDaSS_ST_EUlSS_E_NS1_11comp_targetILNS1_3genE10ELNS1_11target_archE1200ELNS1_3gpuE4ELNS1_3repE0EEENS1_30default_config_static_selectorELNS0_4arch9wavefront6targetE1EEEvT1_ ; -- Begin function _ZN7rocprim17ROCPRIM_400000_NS6detail17trampoline_kernelINS0_14default_configENS1_20scan_config_selectorIxEEZZNS1_9scan_implILNS1_25lookback_scan_determinismE0ELb1ELb1ES3_N6thrust23THRUST_200600_302600_NS6detail15normal_iteratorINS9_10device_ptrIxEEEENS9_16discard_iteratorINS9_11use_defaultEEExNS9_4plusIvEExEEDaPvRmT3_T4_T5_mT6_P12ihipStream_tbENKUlT_T0_E_clISt17integral_constantIbLb1EESW_IbLb0EEEEDaSS_ST_EUlSS_E_NS1_11comp_targetILNS1_3genE10ELNS1_11target_archE1200ELNS1_3gpuE4ELNS1_3repE0EEENS1_30default_config_static_selectorELNS0_4arch9wavefront6targetE1EEEvT1_
	.globl	_ZN7rocprim17ROCPRIM_400000_NS6detail17trampoline_kernelINS0_14default_configENS1_20scan_config_selectorIxEEZZNS1_9scan_implILNS1_25lookback_scan_determinismE0ELb1ELb1ES3_N6thrust23THRUST_200600_302600_NS6detail15normal_iteratorINS9_10device_ptrIxEEEENS9_16discard_iteratorINS9_11use_defaultEEExNS9_4plusIvEExEEDaPvRmT3_T4_T5_mT6_P12ihipStream_tbENKUlT_T0_E_clISt17integral_constantIbLb1EESW_IbLb0EEEEDaSS_ST_EUlSS_E_NS1_11comp_targetILNS1_3genE10ELNS1_11target_archE1200ELNS1_3gpuE4ELNS1_3repE0EEENS1_30default_config_static_selectorELNS0_4arch9wavefront6targetE1EEEvT1_
	.p2align	8
	.type	_ZN7rocprim17ROCPRIM_400000_NS6detail17trampoline_kernelINS0_14default_configENS1_20scan_config_selectorIxEEZZNS1_9scan_implILNS1_25lookback_scan_determinismE0ELb1ELb1ES3_N6thrust23THRUST_200600_302600_NS6detail15normal_iteratorINS9_10device_ptrIxEEEENS9_16discard_iteratorINS9_11use_defaultEEExNS9_4plusIvEExEEDaPvRmT3_T4_T5_mT6_P12ihipStream_tbENKUlT_T0_E_clISt17integral_constantIbLb1EESW_IbLb0EEEEDaSS_ST_EUlSS_E_NS1_11comp_targetILNS1_3genE10ELNS1_11target_archE1200ELNS1_3gpuE4ELNS1_3repE0EEENS1_30default_config_static_selectorELNS0_4arch9wavefront6targetE1EEEvT1_,@function
_ZN7rocprim17ROCPRIM_400000_NS6detail17trampoline_kernelINS0_14default_configENS1_20scan_config_selectorIxEEZZNS1_9scan_implILNS1_25lookback_scan_determinismE0ELb1ELb1ES3_N6thrust23THRUST_200600_302600_NS6detail15normal_iteratorINS9_10device_ptrIxEEEENS9_16discard_iteratorINS9_11use_defaultEEExNS9_4plusIvEExEEDaPvRmT3_T4_T5_mT6_P12ihipStream_tbENKUlT_T0_E_clISt17integral_constantIbLb1EESW_IbLb0EEEEDaSS_ST_EUlSS_E_NS1_11comp_targetILNS1_3genE10ELNS1_11target_archE1200ELNS1_3gpuE4ELNS1_3repE0EEENS1_30default_config_static_selectorELNS0_4arch9wavefront6targetE1EEEvT1_: ; @_ZN7rocprim17ROCPRIM_400000_NS6detail17trampoline_kernelINS0_14default_configENS1_20scan_config_selectorIxEEZZNS1_9scan_implILNS1_25lookback_scan_determinismE0ELb1ELb1ES3_N6thrust23THRUST_200600_302600_NS6detail15normal_iteratorINS9_10device_ptrIxEEEENS9_16discard_iteratorINS9_11use_defaultEEExNS9_4plusIvEExEEDaPvRmT3_T4_T5_mT6_P12ihipStream_tbENKUlT_T0_E_clISt17integral_constantIbLb1EESW_IbLb0EEEEDaSS_ST_EUlSS_E_NS1_11comp_targetILNS1_3genE10ELNS1_11target_archE1200ELNS1_3gpuE4ELNS1_3repE0EEENS1_30default_config_static_selectorELNS0_4arch9wavefront6targetE1EEEvT1_
; %bb.0:
	.section	.rodata,"a",@progbits
	.p2align	6, 0x0
	.amdhsa_kernel _ZN7rocprim17ROCPRIM_400000_NS6detail17trampoline_kernelINS0_14default_configENS1_20scan_config_selectorIxEEZZNS1_9scan_implILNS1_25lookback_scan_determinismE0ELb1ELb1ES3_N6thrust23THRUST_200600_302600_NS6detail15normal_iteratorINS9_10device_ptrIxEEEENS9_16discard_iteratorINS9_11use_defaultEEExNS9_4plusIvEExEEDaPvRmT3_T4_T5_mT6_P12ihipStream_tbENKUlT_T0_E_clISt17integral_constantIbLb1EESW_IbLb0EEEEDaSS_ST_EUlSS_E_NS1_11comp_targetILNS1_3genE10ELNS1_11target_archE1200ELNS1_3gpuE4ELNS1_3repE0EEENS1_30default_config_static_selectorELNS0_4arch9wavefront6targetE1EEEvT1_
		.amdhsa_group_segment_fixed_size 0
		.amdhsa_private_segment_fixed_size 0
		.amdhsa_kernarg_size 112
		.amdhsa_user_sgpr_count 6
		.amdhsa_user_sgpr_private_segment_buffer 1
		.amdhsa_user_sgpr_dispatch_ptr 0
		.amdhsa_user_sgpr_queue_ptr 0
		.amdhsa_user_sgpr_kernarg_segment_ptr 1
		.amdhsa_user_sgpr_dispatch_id 0
		.amdhsa_user_sgpr_flat_scratch_init 0
		.amdhsa_user_sgpr_kernarg_preload_length 0
		.amdhsa_user_sgpr_kernarg_preload_offset 0
		.amdhsa_user_sgpr_private_segment_size 0
		.amdhsa_uses_dynamic_stack 0
		.amdhsa_system_sgpr_private_segment_wavefront_offset 0
		.amdhsa_system_sgpr_workgroup_id_x 1
		.amdhsa_system_sgpr_workgroup_id_y 0
		.amdhsa_system_sgpr_workgroup_id_z 0
		.amdhsa_system_sgpr_workgroup_info 0
		.amdhsa_system_vgpr_workitem_id 0
		.amdhsa_next_free_vgpr 1
		.amdhsa_next_free_sgpr 0
		.amdhsa_accum_offset 4
		.amdhsa_reserve_vcc 0
		.amdhsa_reserve_flat_scratch 0
		.amdhsa_float_round_mode_32 0
		.amdhsa_float_round_mode_16_64 0
		.amdhsa_float_denorm_mode_32 3
		.amdhsa_float_denorm_mode_16_64 3
		.amdhsa_dx10_clamp 1
		.amdhsa_ieee_mode 1
		.amdhsa_fp16_overflow 0
		.amdhsa_tg_split 0
		.amdhsa_exception_fp_ieee_invalid_op 0
		.amdhsa_exception_fp_denorm_src 0
		.amdhsa_exception_fp_ieee_div_zero 0
		.amdhsa_exception_fp_ieee_overflow 0
		.amdhsa_exception_fp_ieee_underflow 0
		.amdhsa_exception_fp_ieee_inexact 0
		.amdhsa_exception_int_div_zero 0
	.end_amdhsa_kernel
	.section	.text._ZN7rocprim17ROCPRIM_400000_NS6detail17trampoline_kernelINS0_14default_configENS1_20scan_config_selectorIxEEZZNS1_9scan_implILNS1_25lookback_scan_determinismE0ELb1ELb1ES3_N6thrust23THRUST_200600_302600_NS6detail15normal_iteratorINS9_10device_ptrIxEEEENS9_16discard_iteratorINS9_11use_defaultEEExNS9_4plusIvEExEEDaPvRmT3_T4_T5_mT6_P12ihipStream_tbENKUlT_T0_E_clISt17integral_constantIbLb1EESW_IbLb0EEEEDaSS_ST_EUlSS_E_NS1_11comp_targetILNS1_3genE10ELNS1_11target_archE1200ELNS1_3gpuE4ELNS1_3repE0EEENS1_30default_config_static_selectorELNS0_4arch9wavefront6targetE1EEEvT1_,"axG",@progbits,_ZN7rocprim17ROCPRIM_400000_NS6detail17trampoline_kernelINS0_14default_configENS1_20scan_config_selectorIxEEZZNS1_9scan_implILNS1_25lookback_scan_determinismE0ELb1ELb1ES3_N6thrust23THRUST_200600_302600_NS6detail15normal_iteratorINS9_10device_ptrIxEEEENS9_16discard_iteratorINS9_11use_defaultEEExNS9_4plusIvEExEEDaPvRmT3_T4_T5_mT6_P12ihipStream_tbENKUlT_T0_E_clISt17integral_constantIbLb1EESW_IbLb0EEEEDaSS_ST_EUlSS_E_NS1_11comp_targetILNS1_3genE10ELNS1_11target_archE1200ELNS1_3gpuE4ELNS1_3repE0EEENS1_30default_config_static_selectorELNS0_4arch9wavefront6targetE1EEEvT1_,comdat
.Lfunc_end5696:
	.size	_ZN7rocprim17ROCPRIM_400000_NS6detail17trampoline_kernelINS0_14default_configENS1_20scan_config_selectorIxEEZZNS1_9scan_implILNS1_25lookback_scan_determinismE0ELb1ELb1ES3_N6thrust23THRUST_200600_302600_NS6detail15normal_iteratorINS9_10device_ptrIxEEEENS9_16discard_iteratorINS9_11use_defaultEEExNS9_4plusIvEExEEDaPvRmT3_T4_T5_mT6_P12ihipStream_tbENKUlT_T0_E_clISt17integral_constantIbLb1EESW_IbLb0EEEEDaSS_ST_EUlSS_E_NS1_11comp_targetILNS1_3genE10ELNS1_11target_archE1200ELNS1_3gpuE4ELNS1_3repE0EEENS1_30default_config_static_selectorELNS0_4arch9wavefront6targetE1EEEvT1_, .Lfunc_end5696-_ZN7rocprim17ROCPRIM_400000_NS6detail17trampoline_kernelINS0_14default_configENS1_20scan_config_selectorIxEEZZNS1_9scan_implILNS1_25lookback_scan_determinismE0ELb1ELb1ES3_N6thrust23THRUST_200600_302600_NS6detail15normal_iteratorINS9_10device_ptrIxEEEENS9_16discard_iteratorINS9_11use_defaultEEExNS9_4plusIvEExEEDaPvRmT3_T4_T5_mT6_P12ihipStream_tbENKUlT_T0_E_clISt17integral_constantIbLb1EESW_IbLb0EEEEDaSS_ST_EUlSS_E_NS1_11comp_targetILNS1_3genE10ELNS1_11target_archE1200ELNS1_3gpuE4ELNS1_3repE0EEENS1_30default_config_static_selectorELNS0_4arch9wavefront6targetE1EEEvT1_
                                        ; -- End function
	.section	.AMDGPU.csdata,"",@progbits
; Kernel info:
; codeLenInByte = 0
; NumSgprs: 4
; NumVgprs: 0
; NumAgprs: 0
; TotalNumVgprs: 0
; ScratchSize: 0
; MemoryBound: 0
; FloatMode: 240
; IeeeMode: 1
; LDSByteSize: 0 bytes/workgroup (compile time only)
; SGPRBlocks: 0
; VGPRBlocks: 0
; NumSGPRsForWavesPerEU: 4
; NumVGPRsForWavesPerEU: 1
; AccumOffset: 4
; Occupancy: 8
; WaveLimiterHint : 0
; COMPUTE_PGM_RSRC2:SCRATCH_EN: 0
; COMPUTE_PGM_RSRC2:USER_SGPR: 6
; COMPUTE_PGM_RSRC2:TRAP_HANDLER: 0
; COMPUTE_PGM_RSRC2:TGID_X_EN: 1
; COMPUTE_PGM_RSRC2:TGID_Y_EN: 0
; COMPUTE_PGM_RSRC2:TGID_Z_EN: 0
; COMPUTE_PGM_RSRC2:TIDIG_COMP_CNT: 0
; COMPUTE_PGM_RSRC3_GFX90A:ACCUM_OFFSET: 0
; COMPUTE_PGM_RSRC3_GFX90A:TG_SPLIT: 0
	.section	.text._ZN7rocprim17ROCPRIM_400000_NS6detail17trampoline_kernelINS0_14default_configENS1_20scan_config_selectorIxEEZZNS1_9scan_implILNS1_25lookback_scan_determinismE0ELb1ELb1ES3_N6thrust23THRUST_200600_302600_NS6detail15normal_iteratorINS9_10device_ptrIxEEEENS9_16discard_iteratorINS9_11use_defaultEEExNS9_4plusIvEExEEDaPvRmT3_T4_T5_mT6_P12ihipStream_tbENKUlT_T0_E_clISt17integral_constantIbLb1EESW_IbLb0EEEEDaSS_ST_EUlSS_E_NS1_11comp_targetILNS1_3genE9ELNS1_11target_archE1100ELNS1_3gpuE3ELNS1_3repE0EEENS1_30default_config_static_selectorELNS0_4arch9wavefront6targetE1EEEvT1_,"axG",@progbits,_ZN7rocprim17ROCPRIM_400000_NS6detail17trampoline_kernelINS0_14default_configENS1_20scan_config_selectorIxEEZZNS1_9scan_implILNS1_25lookback_scan_determinismE0ELb1ELb1ES3_N6thrust23THRUST_200600_302600_NS6detail15normal_iteratorINS9_10device_ptrIxEEEENS9_16discard_iteratorINS9_11use_defaultEEExNS9_4plusIvEExEEDaPvRmT3_T4_T5_mT6_P12ihipStream_tbENKUlT_T0_E_clISt17integral_constantIbLb1EESW_IbLb0EEEEDaSS_ST_EUlSS_E_NS1_11comp_targetILNS1_3genE9ELNS1_11target_archE1100ELNS1_3gpuE3ELNS1_3repE0EEENS1_30default_config_static_selectorELNS0_4arch9wavefront6targetE1EEEvT1_,comdat
	.protected	_ZN7rocprim17ROCPRIM_400000_NS6detail17trampoline_kernelINS0_14default_configENS1_20scan_config_selectorIxEEZZNS1_9scan_implILNS1_25lookback_scan_determinismE0ELb1ELb1ES3_N6thrust23THRUST_200600_302600_NS6detail15normal_iteratorINS9_10device_ptrIxEEEENS9_16discard_iteratorINS9_11use_defaultEEExNS9_4plusIvEExEEDaPvRmT3_T4_T5_mT6_P12ihipStream_tbENKUlT_T0_E_clISt17integral_constantIbLb1EESW_IbLb0EEEEDaSS_ST_EUlSS_E_NS1_11comp_targetILNS1_3genE9ELNS1_11target_archE1100ELNS1_3gpuE3ELNS1_3repE0EEENS1_30default_config_static_selectorELNS0_4arch9wavefront6targetE1EEEvT1_ ; -- Begin function _ZN7rocprim17ROCPRIM_400000_NS6detail17trampoline_kernelINS0_14default_configENS1_20scan_config_selectorIxEEZZNS1_9scan_implILNS1_25lookback_scan_determinismE0ELb1ELb1ES3_N6thrust23THRUST_200600_302600_NS6detail15normal_iteratorINS9_10device_ptrIxEEEENS9_16discard_iteratorINS9_11use_defaultEEExNS9_4plusIvEExEEDaPvRmT3_T4_T5_mT6_P12ihipStream_tbENKUlT_T0_E_clISt17integral_constantIbLb1EESW_IbLb0EEEEDaSS_ST_EUlSS_E_NS1_11comp_targetILNS1_3genE9ELNS1_11target_archE1100ELNS1_3gpuE3ELNS1_3repE0EEENS1_30default_config_static_selectorELNS0_4arch9wavefront6targetE1EEEvT1_
	.globl	_ZN7rocprim17ROCPRIM_400000_NS6detail17trampoline_kernelINS0_14default_configENS1_20scan_config_selectorIxEEZZNS1_9scan_implILNS1_25lookback_scan_determinismE0ELb1ELb1ES3_N6thrust23THRUST_200600_302600_NS6detail15normal_iteratorINS9_10device_ptrIxEEEENS9_16discard_iteratorINS9_11use_defaultEEExNS9_4plusIvEExEEDaPvRmT3_T4_T5_mT6_P12ihipStream_tbENKUlT_T0_E_clISt17integral_constantIbLb1EESW_IbLb0EEEEDaSS_ST_EUlSS_E_NS1_11comp_targetILNS1_3genE9ELNS1_11target_archE1100ELNS1_3gpuE3ELNS1_3repE0EEENS1_30default_config_static_selectorELNS0_4arch9wavefront6targetE1EEEvT1_
	.p2align	8
	.type	_ZN7rocprim17ROCPRIM_400000_NS6detail17trampoline_kernelINS0_14default_configENS1_20scan_config_selectorIxEEZZNS1_9scan_implILNS1_25lookback_scan_determinismE0ELb1ELb1ES3_N6thrust23THRUST_200600_302600_NS6detail15normal_iteratorINS9_10device_ptrIxEEEENS9_16discard_iteratorINS9_11use_defaultEEExNS9_4plusIvEExEEDaPvRmT3_T4_T5_mT6_P12ihipStream_tbENKUlT_T0_E_clISt17integral_constantIbLb1EESW_IbLb0EEEEDaSS_ST_EUlSS_E_NS1_11comp_targetILNS1_3genE9ELNS1_11target_archE1100ELNS1_3gpuE3ELNS1_3repE0EEENS1_30default_config_static_selectorELNS0_4arch9wavefront6targetE1EEEvT1_,@function
_ZN7rocprim17ROCPRIM_400000_NS6detail17trampoline_kernelINS0_14default_configENS1_20scan_config_selectorIxEEZZNS1_9scan_implILNS1_25lookback_scan_determinismE0ELb1ELb1ES3_N6thrust23THRUST_200600_302600_NS6detail15normal_iteratorINS9_10device_ptrIxEEEENS9_16discard_iteratorINS9_11use_defaultEEExNS9_4plusIvEExEEDaPvRmT3_T4_T5_mT6_P12ihipStream_tbENKUlT_T0_E_clISt17integral_constantIbLb1EESW_IbLb0EEEEDaSS_ST_EUlSS_E_NS1_11comp_targetILNS1_3genE9ELNS1_11target_archE1100ELNS1_3gpuE3ELNS1_3repE0EEENS1_30default_config_static_selectorELNS0_4arch9wavefront6targetE1EEEvT1_: ; @_ZN7rocprim17ROCPRIM_400000_NS6detail17trampoline_kernelINS0_14default_configENS1_20scan_config_selectorIxEEZZNS1_9scan_implILNS1_25lookback_scan_determinismE0ELb1ELb1ES3_N6thrust23THRUST_200600_302600_NS6detail15normal_iteratorINS9_10device_ptrIxEEEENS9_16discard_iteratorINS9_11use_defaultEEExNS9_4plusIvEExEEDaPvRmT3_T4_T5_mT6_P12ihipStream_tbENKUlT_T0_E_clISt17integral_constantIbLb1EESW_IbLb0EEEEDaSS_ST_EUlSS_E_NS1_11comp_targetILNS1_3genE9ELNS1_11target_archE1100ELNS1_3gpuE3ELNS1_3repE0EEENS1_30default_config_static_selectorELNS0_4arch9wavefront6targetE1EEEvT1_
; %bb.0:
	.section	.rodata,"a",@progbits
	.p2align	6, 0x0
	.amdhsa_kernel _ZN7rocprim17ROCPRIM_400000_NS6detail17trampoline_kernelINS0_14default_configENS1_20scan_config_selectorIxEEZZNS1_9scan_implILNS1_25lookback_scan_determinismE0ELb1ELb1ES3_N6thrust23THRUST_200600_302600_NS6detail15normal_iteratorINS9_10device_ptrIxEEEENS9_16discard_iteratorINS9_11use_defaultEEExNS9_4plusIvEExEEDaPvRmT3_T4_T5_mT6_P12ihipStream_tbENKUlT_T0_E_clISt17integral_constantIbLb1EESW_IbLb0EEEEDaSS_ST_EUlSS_E_NS1_11comp_targetILNS1_3genE9ELNS1_11target_archE1100ELNS1_3gpuE3ELNS1_3repE0EEENS1_30default_config_static_selectorELNS0_4arch9wavefront6targetE1EEEvT1_
		.amdhsa_group_segment_fixed_size 0
		.amdhsa_private_segment_fixed_size 0
		.amdhsa_kernarg_size 112
		.amdhsa_user_sgpr_count 6
		.amdhsa_user_sgpr_private_segment_buffer 1
		.amdhsa_user_sgpr_dispatch_ptr 0
		.amdhsa_user_sgpr_queue_ptr 0
		.amdhsa_user_sgpr_kernarg_segment_ptr 1
		.amdhsa_user_sgpr_dispatch_id 0
		.amdhsa_user_sgpr_flat_scratch_init 0
		.amdhsa_user_sgpr_kernarg_preload_length 0
		.amdhsa_user_sgpr_kernarg_preload_offset 0
		.amdhsa_user_sgpr_private_segment_size 0
		.amdhsa_uses_dynamic_stack 0
		.amdhsa_system_sgpr_private_segment_wavefront_offset 0
		.amdhsa_system_sgpr_workgroup_id_x 1
		.amdhsa_system_sgpr_workgroup_id_y 0
		.amdhsa_system_sgpr_workgroup_id_z 0
		.amdhsa_system_sgpr_workgroup_info 0
		.amdhsa_system_vgpr_workitem_id 0
		.amdhsa_next_free_vgpr 1
		.amdhsa_next_free_sgpr 0
		.amdhsa_accum_offset 4
		.amdhsa_reserve_vcc 0
		.amdhsa_reserve_flat_scratch 0
		.amdhsa_float_round_mode_32 0
		.amdhsa_float_round_mode_16_64 0
		.amdhsa_float_denorm_mode_32 3
		.amdhsa_float_denorm_mode_16_64 3
		.amdhsa_dx10_clamp 1
		.amdhsa_ieee_mode 1
		.amdhsa_fp16_overflow 0
		.amdhsa_tg_split 0
		.amdhsa_exception_fp_ieee_invalid_op 0
		.amdhsa_exception_fp_denorm_src 0
		.amdhsa_exception_fp_ieee_div_zero 0
		.amdhsa_exception_fp_ieee_overflow 0
		.amdhsa_exception_fp_ieee_underflow 0
		.amdhsa_exception_fp_ieee_inexact 0
		.amdhsa_exception_int_div_zero 0
	.end_amdhsa_kernel
	.section	.text._ZN7rocprim17ROCPRIM_400000_NS6detail17trampoline_kernelINS0_14default_configENS1_20scan_config_selectorIxEEZZNS1_9scan_implILNS1_25lookback_scan_determinismE0ELb1ELb1ES3_N6thrust23THRUST_200600_302600_NS6detail15normal_iteratorINS9_10device_ptrIxEEEENS9_16discard_iteratorINS9_11use_defaultEEExNS9_4plusIvEExEEDaPvRmT3_T4_T5_mT6_P12ihipStream_tbENKUlT_T0_E_clISt17integral_constantIbLb1EESW_IbLb0EEEEDaSS_ST_EUlSS_E_NS1_11comp_targetILNS1_3genE9ELNS1_11target_archE1100ELNS1_3gpuE3ELNS1_3repE0EEENS1_30default_config_static_selectorELNS0_4arch9wavefront6targetE1EEEvT1_,"axG",@progbits,_ZN7rocprim17ROCPRIM_400000_NS6detail17trampoline_kernelINS0_14default_configENS1_20scan_config_selectorIxEEZZNS1_9scan_implILNS1_25lookback_scan_determinismE0ELb1ELb1ES3_N6thrust23THRUST_200600_302600_NS6detail15normal_iteratorINS9_10device_ptrIxEEEENS9_16discard_iteratorINS9_11use_defaultEEExNS9_4plusIvEExEEDaPvRmT3_T4_T5_mT6_P12ihipStream_tbENKUlT_T0_E_clISt17integral_constantIbLb1EESW_IbLb0EEEEDaSS_ST_EUlSS_E_NS1_11comp_targetILNS1_3genE9ELNS1_11target_archE1100ELNS1_3gpuE3ELNS1_3repE0EEENS1_30default_config_static_selectorELNS0_4arch9wavefront6targetE1EEEvT1_,comdat
.Lfunc_end5697:
	.size	_ZN7rocprim17ROCPRIM_400000_NS6detail17trampoline_kernelINS0_14default_configENS1_20scan_config_selectorIxEEZZNS1_9scan_implILNS1_25lookback_scan_determinismE0ELb1ELb1ES3_N6thrust23THRUST_200600_302600_NS6detail15normal_iteratorINS9_10device_ptrIxEEEENS9_16discard_iteratorINS9_11use_defaultEEExNS9_4plusIvEExEEDaPvRmT3_T4_T5_mT6_P12ihipStream_tbENKUlT_T0_E_clISt17integral_constantIbLb1EESW_IbLb0EEEEDaSS_ST_EUlSS_E_NS1_11comp_targetILNS1_3genE9ELNS1_11target_archE1100ELNS1_3gpuE3ELNS1_3repE0EEENS1_30default_config_static_selectorELNS0_4arch9wavefront6targetE1EEEvT1_, .Lfunc_end5697-_ZN7rocprim17ROCPRIM_400000_NS6detail17trampoline_kernelINS0_14default_configENS1_20scan_config_selectorIxEEZZNS1_9scan_implILNS1_25lookback_scan_determinismE0ELb1ELb1ES3_N6thrust23THRUST_200600_302600_NS6detail15normal_iteratorINS9_10device_ptrIxEEEENS9_16discard_iteratorINS9_11use_defaultEEExNS9_4plusIvEExEEDaPvRmT3_T4_T5_mT6_P12ihipStream_tbENKUlT_T0_E_clISt17integral_constantIbLb1EESW_IbLb0EEEEDaSS_ST_EUlSS_E_NS1_11comp_targetILNS1_3genE9ELNS1_11target_archE1100ELNS1_3gpuE3ELNS1_3repE0EEENS1_30default_config_static_selectorELNS0_4arch9wavefront6targetE1EEEvT1_
                                        ; -- End function
	.section	.AMDGPU.csdata,"",@progbits
; Kernel info:
; codeLenInByte = 0
; NumSgprs: 4
; NumVgprs: 0
; NumAgprs: 0
; TotalNumVgprs: 0
; ScratchSize: 0
; MemoryBound: 0
; FloatMode: 240
; IeeeMode: 1
; LDSByteSize: 0 bytes/workgroup (compile time only)
; SGPRBlocks: 0
; VGPRBlocks: 0
; NumSGPRsForWavesPerEU: 4
; NumVGPRsForWavesPerEU: 1
; AccumOffset: 4
; Occupancy: 8
; WaveLimiterHint : 0
; COMPUTE_PGM_RSRC2:SCRATCH_EN: 0
; COMPUTE_PGM_RSRC2:USER_SGPR: 6
; COMPUTE_PGM_RSRC2:TRAP_HANDLER: 0
; COMPUTE_PGM_RSRC2:TGID_X_EN: 1
; COMPUTE_PGM_RSRC2:TGID_Y_EN: 0
; COMPUTE_PGM_RSRC2:TGID_Z_EN: 0
; COMPUTE_PGM_RSRC2:TIDIG_COMP_CNT: 0
; COMPUTE_PGM_RSRC3_GFX90A:ACCUM_OFFSET: 0
; COMPUTE_PGM_RSRC3_GFX90A:TG_SPLIT: 0
	.section	.text._ZN7rocprim17ROCPRIM_400000_NS6detail17trampoline_kernelINS0_14default_configENS1_20scan_config_selectorIxEEZZNS1_9scan_implILNS1_25lookback_scan_determinismE0ELb1ELb1ES3_N6thrust23THRUST_200600_302600_NS6detail15normal_iteratorINS9_10device_ptrIxEEEENS9_16discard_iteratorINS9_11use_defaultEEExNS9_4plusIvEExEEDaPvRmT3_T4_T5_mT6_P12ihipStream_tbENKUlT_T0_E_clISt17integral_constantIbLb1EESW_IbLb0EEEEDaSS_ST_EUlSS_E_NS1_11comp_targetILNS1_3genE8ELNS1_11target_archE1030ELNS1_3gpuE2ELNS1_3repE0EEENS1_30default_config_static_selectorELNS0_4arch9wavefront6targetE1EEEvT1_,"axG",@progbits,_ZN7rocprim17ROCPRIM_400000_NS6detail17trampoline_kernelINS0_14default_configENS1_20scan_config_selectorIxEEZZNS1_9scan_implILNS1_25lookback_scan_determinismE0ELb1ELb1ES3_N6thrust23THRUST_200600_302600_NS6detail15normal_iteratorINS9_10device_ptrIxEEEENS9_16discard_iteratorINS9_11use_defaultEEExNS9_4plusIvEExEEDaPvRmT3_T4_T5_mT6_P12ihipStream_tbENKUlT_T0_E_clISt17integral_constantIbLb1EESW_IbLb0EEEEDaSS_ST_EUlSS_E_NS1_11comp_targetILNS1_3genE8ELNS1_11target_archE1030ELNS1_3gpuE2ELNS1_3repE0EEENS1_30default_config_static_selectorELNS0_4arch9wavefront6targetE1EEEvT1_,comdat
	.protected	_ZN7rocprim17ROCPRIM_400000_NS6detail17trampoline_kernelINS0_14default_configENS1_20scan_config_selectorIxEEZZNS1_9scan_implILNS1_25lookback_scan_determinismE0ELb1ELb1ES3_N6thrust23THRUST_200600_302600_NS6detail15normal_iteratorINS9_10device_ptrIxEEEENS9_16discard_iteratorINS9_11use_defaultEEExNS9_4plusIvEExEEDaPvRmT3_T4_T5_mT6_P12ihipStream_tbENKUlT_T0_E_clISt17integral_constantIbLb1EESW_IbLb0EEEEDaSS_ST_EUlSS_E_NS1_11comp_targetILNS1_3genE8ELNS1_11target_archE1030ELNS1_3gpuE2ELNS1_3repE0EEENS1_30default_config_static_selectorELNS0_4arch9wavefront6targetE1EEEvT1_ ; -- Begin function _ZN7rocprim17ROCPRIM_400000_NS6detail17trampoline_kernelINS0_14default_configENS1_20scan_config_selectorIxEEZZNS1_9scan_implILNS1_25lookback_scan_determinismE0ELb1ELb1ES3_N6thrust23THRUST_200600_302600_NS6detail15normal_iteratorINS9_10device_ptrIxEEEENS9_16discard_iteratorINS9_11use_defaultEEExNS9_4plusIvEExEEDaPvRmT3_T4_T5_mT6_P12ihipStream_tbENKUlT_T0_E_clISt17integral_constantIbLb1EESW_IbLb0EEEEDaSS_ST_EUlSS_E_NS1_11comp_targetILNS1_3genE8ELNS1_11target_archE1030ELNS1_3gpuE2ELNS1_3repE0EEENS1_30default_config_static_selectorELNS0_4arch9wavefront6targetE1EEEvT1_
	.globl	_ZN7rocprim17ROCPRIM_400000_NS6detail17trampoline_kernelINS0_14default_configENS1_20scan_config_selectorIxEEZZNS1_9scan_implILNS1_25lookback_scan_determinismE0ELb1ELb1ES3_N6thrust23THRUST_200600_302600_NS6detail15normal_iteratorINS9_10device_ptrIxEEEENS9_16discard_iteratorINS9_11use_defaultEEExNS9_4plusIvEExEEDaPvRmT3_T4_T5_mT6_P12ihipStream_tbENKUlT_T0_E_clISt17integral_constantIbLb1EESW_IbLb0EEEEDaSS_ST_EUlSS_E_NS1_11comp_targetILNS1_3genE8ELNS1_11target_archE1030ELNS1_3gpuE2ELNS1_3repE0EEENS1_30default_config_static_selectorELNS0_4arch9wavefront6targetE1EEEvT1_
	.p2align	8
	.type	_ZN7rocprim17ROCPRIM_400000_NS6detail17trampoline_kernelINS0_14default_configENS1_20scan_config_selectorIxEEZZNS1_9scan_implILNS1_25lookback_scan_determinismE0ELb1ELb1ES3_N6thrust23THRUST_200600_302600_NS6detail15normal_iteratorINS9_10device_ptrIxEEEENS9_16discard_iteratorINS9_11use_defaultEEExNS9_4plusIvEExEEDaPvRmT3_T4_T5_mT6_P12ihipStream_tbENKUlT_T0_E_clISt17integral_constantIbLb1EESW_IbLb0EEEEDaSS_ST_EUlSS_E_NS1_11comp_targetILNS1_3genE8ELNS1_11target_archE1030ELNS1_3gpuE2ELNS1_3repE0EEENS1_30default_config_static_selectorELNS0_4arch9wavefront6targetE1EEEvT1_,@function
_ZN7rocprim17ROCPRIM_400000_NS6detail17trampoline_kernelINS0_14default_configENS1_20scan_config_selectorIxEEZZNS1_9scan_implILNS1_25lookback_scan_determinismE0ELb1ELb1ES3_N6thrust23THRUST_200600_302600_NS6detail15normal_iteratorINS9_10device_ptrIxEEEENS9_16discard_iteratorINS9_11use_defaultEEExNS9_4plusIvEExEEDaPvRmT3_T4_T5_mT6_P12ihipStream_tbENKUlT_T0_E_clISt17integral_constantIbLb1EESW_IbLb0EEEEDaSS_ST_EUlSS_E_NS1_11comp_targetILNS1_3genE8ELNS1_11target_archE1030ELNS1_3gpuE2ELNS1_3repE0EEENS1_30default_config_static_selectorELNS0_4arch9wavefront6targetE1EEEvT1_: ; @_ZN7rocprim17ROCPRIM_400000_NS6detail17trampoline_kernelINS0_14default_configENS1_20scan_config_selectorIxEEZZNS1_9scan_implILNS1_25lookback_scan_determinismE0ELb1ELb1ES3_N6thrust23THRUST_200600_302600_NS6detail15normal_iteratorINS9_10device_ptrIxEEEENS9_16discard_iteratorINS9_11use_defaultEEExNS9_4plusIvEExEEDaPvRmT3_T4_T5_mT6_P12ihipStream_tbENKUlT_T0_E_clISt17integral_constantIbLb1EESW_IbLb0EEEEDaSS_ST_EUlSS_E_NS1_11comp_targetILNS1_3genE8ELNS1_11target_archE1030ELNS1_3gpuE2ELNS1_3repE0EEENS1_30default_config_static_selectorELNS0_4arch9wavefront6targetE1EEEvT1_
; %bb.0:
	.section	.rodata,"a",@progbits
	.p2align	6, 0x0
	.amdhsa_kernel _ZN7rocprim17ROCPRIM_400000_NS6detail17trampoline_kernelINS0_14default_configENS1_20scan_config_selectorIxEEZZNS1_9scan_implILNS1_25lookback_scan_determinismE0ELb1ELb1ES3_N6thrust23THRUST_200600_302600_NS6detail15normal_iteratorINS9_10device_ptrIxEEEENS9_16discard_iteratorINS9_11use_defaultEEExNS9_4plusIvEExEEDaPvRmT3_T4_T5_mT6_P12ihipStream_tbENKUlT_T0_E_clISt17integral_constantIbLb1EESW_IbLb0EEEEDaSS_ST_EUlSS_E_NS1_11comp_targetILNS1_3genE8ELNS1_11target_archE1030ELNS1_3gpuE2ELNS1_3repE0EEENS1_30default_config_static_selectorELNS0_4arch9wavefront6targetE1EEEvT1_
		.amdhsa_group_segment_fixed_size 0
		.amdhsa_private_segment_fixed_size 0
		.amdhsa_kernarg_size 112
		.amdhsa_user_sgpr_count 6
		.amdhsa_user_sgpr_private_segment_buffer 1
		.amdhsa_user_sgpr_dispatch_ptr 0
		.amdhsa_user_sgpr_queue_ptr 0
		.amdhsa_user_sgpr_kernarg_segment_ptr 1
		.amdhsa_user_sgpr_dispatch_id 0
		.amdhsa_user_sgpr_flat_scratch_init 0
		.amdhsa_user_sgpr_kernarg_preload_length 0
		.amdhsa_user_sgpr_kernarg_preload_offset 0
		.amdhsa_user_sgpr_private_segment_size 0
		.amdhsa_uses_dynamic_stack 0
		.amdhsa_system_sgpr_private_segment_wavefront_offset 0
		.amdhsa_system_sgpr_workgroup_id_x 1
		.amdhsa_system_sgpr_workgroup_id_y 0
		.amdhsa_system_sgpr_workgroup_id_z 0
		.amdhsa_system_sgpr_workgroup_info 0
		.amdhsa_system_vgpr_workitem_id 0
		.amdhsa_next_free_vgpr 1
		.amdhsa_next_free_sgpr 0
		.amdhsa_accum_offset 4
		.amdhsa_reserve_vcc 0
		.amdhsa_reserve_flat_scratch 0
		.amdhsa_float_round_mode_32 0
		.amdhsa_float_round_mode_16_64 0
		.amdhsa_float_denorm_mode_32 3
		.amdhsa_float_denorm_mode_16_64 3
		.amdhsa_dx10_clamp 1
		.amdhsa_ieee_mode 1
		.amdhsa_fp16_overflow 0
		.amdhsa_tg_split 0
		.amdhsa_exception_fp_ieee_invalid_op 0
		.amdhsa_exception_fp_denorm_src 0
		.amdhsa_exception_fp_ieee_div_zero 0
		.amdhsa_exception_fp_ieee_overflow 0
		.amdhsa_exception_fp_ieee_underflow 0
		.amdhsa_exception_fp_ieee_inexact 0
		.amdhsa_exception_int_div_zero 0
	.end_amdhsa_kernel
	.section	.text._ZN7rocprim17ROCPRIM_400000_NS6detail17trampoline_kernelINS0_14default_configENS1_20scan_config_selectorIxEEZZNS1_9scan_implILNS1_25lookback_scan_determinismE0ELb1ELb1ES3_N6thrust23THRUST_200600_302600_NS6detail15normal_iteratorINS9_10device_ptrIxEEEENS9_16discard_iteratorINS9_11use_defaultEEExNS9_4plusIvEExEEDaPvRmT3_T4_T5_mT6_P12ihipStream_tbENKUlT_T0_E_clISt17integral_constantIbLb1EESW_IbLb0EEEEDaSS_ST_EUlSS_E_NS1_11comp_targetILNS1_3genE8ELNS1_11target_archE1030ELNS1_3gpuE2ELNS1_3repE0EEENS1_30default_config_static_selectorELNS0_4arch9wavefront6targetE1EEEvT1_,"axG",@progbits,_ZN7rocprim17ROCPRIM_400000_NS6detail17trampoline_kernelINS0_14default_configENS1_20scan_config_selectorIxEEZZNS1_9scan_implILNS1_25lookback_scan_determinismE0ELb1ELb1ES3_N6thrust23THRUST_200600_302600_NS6detail15normal_iteratorINS9_10device_ptrIxEEEENS9_16discard_iteratorINS9_11use_defaultEEExNS9_4plusIvEExEEDaPvRmT3_T4_T5_mT6_P12ihipStream_tbENKUlT_T0_E_clISt17integral_constantIbLb1EESW_IbLb0EEEEDaSS_ST_EUlSS_E_NS1_11comp_targetILNS1_3genE8ELNS1_11target_archE1030ELNS1_3gpuE2ELNS1_3repE0EEENS1_30default_config_static_selectorELNS0_4arch9wavefront6targetE1EEEvT1_,comdat
.Lfunc_end5698:
	.size	_ZN7rocprim17ROCPRIM_400000_NS6detail17trampoline_kernelINS0_14default_configENS1_20scan_config_selectorIxEEZZNS1_9scan_implILNS1_25lookback_scan_determinismE0ELb1ELb1ES3_N6thrust23THRUST_200600_302600_NS6detail15normal_iteratorINS9_10device_ptrIxEEEENS9_16discard_iteratorINS9_11use_defaultEEExNS9_4plusIvEExEEDaPvRmT3_T4_T5_mT6_P12ihipStream_tbENKUlT_T0_E_clISt17integral_constantIbLb1EESW_IbLb0EEEEDaSS_ST_EUlSS_E_NS1_11comp_targetILNS1_3genE8ELNS1_11target_archE1030ELNS1_3gpuE2ELNS1_3repE0EEENS1_30default_config_static_selectorELNS0_4arch9wavefront6targetE1EEEvT1_, .Lfunc_end5698-_ZN7rocprim17ROCPRIM_400000_NS6detail17trampoline_kernelINS0_14default_configENS1_20scan_config_selectorIxEEZZNS1_9scan_implILNS1_25lookback_scan_determinismE0ELb1ELb1ES3_N6thrust23THRUST_200600_302600_NS6detail15normal_iteratorINS9_10device_ptrIxEEEENS9_16discard_iteratorINS9_11use_defaultEEExNS9_4plusIvEExEEDaPvRmT3_T4_T5_mT6_P12ihipStream_tbENKUlT_T0_E_clISt17integral_constantIbLb1EESW_IbLb0EEEEDaSS_ST_EUlSS_E_NS1_11comp_targetILNS1_3genE8ELNS1_11target_archE1030ELNS1_3gpuE2ELNS1_3repE0EEENS1_30default_config_static_selectorELNS0_4arch9wavefront6targetE1EEEvT1_
                                        ; -- End function
	.section	.AMDGPU.csdata,"",@progbits
; Kernel info:
; codeLenInByte = 0
; NumSgprs: 4
; NumVgprs: 0
; NumAgprs: 0
; TotalNumVgprs: 0
; ScratchSize: 0
; MemoryBound: 0
; FloatMode: 240
; IeeeMode: 1
; LDSByteSize: 0 bytes/workgroup (compile time only)
; SGPRBlocks: 0
; VGPRBlocks: 0
; NumSGPRsForWavesPerEU: 4
; NumVGPRsForWavesPerEU: 1
; AccumOffset: 4
; Occupancy: 8
; WaveLimiterHint : 0
; COMPUTE_PGM_RSRC2:SCRATCH_EN: 0
; COMPUTE_PGM_RSRC2:USER_SGPR: 6
; COMPUTE_PGM_RSRC2:TRAP_HANDLER: 0
; COMPUTE_PGM_RSRC2:TGID_X_EN: 1
; COMPUTE_PGM_RSRC2:TGID_Y_EN: 0
; COMPUTE_PGM_RSRC2:TGID_Z_EN: 0
; COMPUTE_PGM_RSRC2:TIDIG_COMP_CNT: 0
; COMPUTE_PGM_RSRC3_GFX90A:ACCUM_OFFSET: 0
; COMPUTE_PGM_RSRC3_GFX90A:TG_SPLIT: 0
	.section	.text._ZN7rocprim17ROCPRIM_400000_NS6detail17trampoline_kernelINS0_14default_configENS1_20scan_config_selectorIxEEZZNS1_9scan_implILNS1_25lookback_scan_determinismE0ELb1ELb1ES3_N6thrust23THRUST_200600_302600_NS6detail15normal_iteratorINS9_10device_ptrIxEEEENS9_16discard_iteratorINS9_11use_defaultEEExNS9_4plusIvEExEEDaPvRmT3_T4_T5_mT6_P12ihipStream_tbENKUlT_T0_E_clISt17integral_constantIbLb1EESW_IbLb0EEEEDaSS_ST_EUlSS_E0_NS1_11comp_targetILNS1_3genE0ELNS1_11target_archE4294967295ELNS1_3gpuE0ELNS1_3repE0EEENS1_30default_config_static_selectorELNS0_4arch9wavefront6targetE1EEEvT1_,"axG",@progbits,_ZN7rocprim17ROCPRIM_400000_NS6detail17trampoline_kernelINS0_14default_configENS1_20scan_config_selectorIxEEZZNS1_9scan_implILNS1_25lookback_scan_determinismE0ELb1ELb1ES3_N6thrust23THRUST_200600_302600_NS6detail15normal_iteratorINS9_10device_ptrIxEEEENS9_16discard_iteratorINS9_11use_defaultEEExNS9_4plusIvEExEEDaPvRmT3_T4_T5_mT6_P12ihipStream_tbENKUlT_T0_E_clISt17integral_constantIbLb1EESW_IbLb0EEEEDaSS_ST_EUlSS_E0_NS1_11comp_targetILNS1_3genE0ELNS1_11target_archE4294967295ELNS1_3gpuE0ELNS1_3repE0EEENS1_30default_config_static_selectorELNS0_4arch9wavefront6targetE1EEEvT1_,comdat
	.protected	_ZN7rocprim17ROCPRIM_400000_NS6detail17trampoline_kernelINS0_14default_configENS1_20scan_config_selectorIxEEZZNS1_9scan_implILNS1_25lookback_scan_determinismE0ELb1ELb1ES3_N6thrust23THRUST_200600_302600_NS6detail15normal_iteratorINS9_10device_ptrIxEEEENS9_16discard_iteratorINS9_11use_defaultEEExNS9_4plusIvEExEEDaPvRmT3_T4_T5_mT6_P12ihipStream_tbENKUlT_T0_E_clISt17integral_constantIbLb1EESW_IbLb0EEEEDaSS_ST_EUlSS_E0_NS1_11comp_targetILNS1_3genE0ELNS1_11target_archE4294967295ELNS1_3gpuE0ELNS1_3repE0EEENS1_30default_config_static_selectorELNS0_4arch9wavefront6targetE1EEEvT1_ ; -- Begin function _ZN7rocprim17ROCPRIM_400000_NS6detail17trampoline_kernelINS0_14default_configENS1_20scan_config_selectorIxEEZZNS1_9scan_implILNS1_25lookback_scan_determinismE0ELb1ELb1ES3_N6thrust23THRUST_200600_302600_NS6detail15normal_iteratorINS9_10device_ptrIxEEEENS9_16discard_iteratorINS9_11use_defaultEEExNS9_4plusIvEExEEDaPvRmT3_T4_T5_mT6_P12ihipStream_tbENKUlT_T0_E_clISt17integral_constantIbLb1EESW_IbLb0EEEEDaSS_ST_EUlSS_E0_NS1_11comp_targetILNS1_3genE0ELNS1_11target_archE4294967295ELNS1_3gpuE0ELNS1_3repE0EEENS1_30default_config_static_selectorELNS0_4arch9wavefront6targetE1EEEvT1_
	.globl	_ZN7rocprim17ROCPRIM_400000_NS6detail17trampoline_kernelINS0_14default_configENS1_20scan_config_selectorIxEEZZNS1_9scan_implILNS1_25lookback_scan_determinismE0ELb1ELb1ES3_N6thrust23THRUST_200600_302600_NS6detail15normal_iteratorINS9_10device_ptrIxEEEENS9_16discard_iteratorINS9_11use_defaultEEExNS9_4plusIvEExEEDaPvRmT3_T4_T5_mT6_P12ihipStream_tbENKUlT_T0_E_clISt17integral_constantIbLb1EESW_IbLb0EEEEDaSS_ST_EUlSS_E0_NS1_11comp_targetILNS1_3genE0ELNS1_11target_archE4294967295ELNS1_3gpuE0ELNS1_3repE0EEENS1_30default_config_static_selectorELNS0_4arch9wavefront6targetE1EEEvT1_
	.p2align	8
	.type	_ZN7rocprim17ROCPRIM_400000_NS6detail17trampoline_kernelINS0_14default_configENS1_20scan_config_selectorIxEEZZNS1_9scan_implILNS1_25lookback_scan_determinismE0ELb1ELb1ES3_N6thrust23THRUST_200600_302600_NS6detail15normal_iteratorINS9_10device_ptrIxEEEENS9_16discard_iteratorINS9_11use_defaultEEExNS9_4plusIvEExEEDaPvRmT3_T4_T5_mT6_P12ihipStream_tbENKUlT_T0_E_clISt17integral_constantIbLb1EESW_IbLb0EEEEDaSS_ST_EUlSS_E0_NS1_11comp_targetILNS1_3genE0ELNS1_11target_archE4294967295ELNS1_3gpuE0ELNS1_3repE0EEENS1_30default_config_static_selectorELNS0_4arch9wavefront6targetE1EEEvT1_,@function
_ZN7rocprim17ROCPRIM_400000_NS6detail17trampoline_kernelINS0_14default_configENS1_20scan_config_selectorIxEEZZNS1_9scan_implILNS1_25lookback_scan_determinismE0ELb1ELb1ES3_N6thrust23THRUST_200600_302600_NS6detail15normal_iteratorINS9_10device_ptrIxEEEENS9_16discard_iteratorINS9_11use_defaultEEExNS9_4plusIvEExEEDaPvRmT3_T4_T5_mT6_P12ihipStream_tbENKUlT_T0_E_clISt17integral_constantIbLb1EESW_IbLb0EEEEDaSS_ST_EUlSS_E0_NS1_11comp_targetILNS1_3genE0ELNS1_11target_archE4294967295ELNS1_3gpuE0ELNS1_3repE0EEENS1_30default_config_static_selectorELNS0_4arch9wavefront6targetE1EEEvT1_: ; @_ZN7rocprim17ROCPRIM_400000_NS6detail17trampoline_kernelINS0_14default_configENS1_20scan_config_selectorIxEEZZNS1_9scan_implILNS1_25lookback_scan_determinismE0ELb1ELb1ES3_N6thrust23THRUST_200600_302600_NS6detail15normal_iteratorINS9_10device_ptrIxEEEENS9_16discard_iteratorINS9_11use_defaultEEExNS9_4plusIvEExEEDaPvRmT3_T4_T5_mT6_P12ihipStream_tbENKUlT_T0_E_clISt17integral_constantIbLb1EESW_IbLb0EEEEDaSS_ST_EUlSS_E0_NS1_11comp_targetILNS1_3genE0ELNS1_11target_archE4294967295ELNS1_3gpuE0ELNS1_3repE0EEENS1_30default_config_static_selectorELNS0_4arch9wavefront6targetE1EEEvT1_
; %bb.0:
	.section	.rodata,"a",@progbits
	.p2align	6, 0x0
	.amdhsa_kernel _ZN7rocprim17ROCPRIM_400000_NS6detail17trampoline_kernelINS0_14default_configENS1_20scan_config_selectorIxEEZZNS1_9scan_implILNS1_25lookback_scan_determinismE0ELb1ELb1ES3_N6thrust23THRUST_200600_302600_NS6detail15normal_iteratorINS9_10device_ptrIxEEEENS9_16discard_iteratorINS9_11use_defaultEEExNS9_4plusIvEExEEDaPvRmT3_T4_T5_mT6_P12ihipStream_tbENKUlT_T0_E_clISt17integral_constantIbLb1EESW_IbLb0EEEEDaSS_ST_EUlSS_E0_NS1_11comp_targetILNS1_3genE0ELNS1_11target_archE4294967295ELNS1_3gpuE0ELNS1_3repE0EEENS1_30default_config_static_selectorELNS0_4arch9wavefront6targetE1EEEvT1_
		.amdhsa_group_segment_fixed_size 0
		.amdhsa_private_segment_fixed_size 0
		.amdhsa_kernarg_size 48
		.amdhsa_user_sgpr_count 6
		.amdhsa_user_sgpr_private_segment_buffer 1
		.amdhsa_user_sgpr_dispatch_ptr 0
		.amdhsa_user_sgpr_queue_ptr 0
		.amdhsa_user_sgpr_kernarg_segment_ptr 1
		.amdhsa_user_sgpr_dispatch_id 0
		.amdhsa_user_sgpr_flat_scratch_init 0
		.amdhsa_user_sgpr_kernarg_preload_length 0
		.amdhsa_user_sgpr_kernarg_preload_offset 0
		.amdhsa_user_sgpr_private_segment_size 0
		.amdhsa_uses_dynamic_stack 0
		.amdhsa_system_sgpr_private_segment_wavefront_offset 0
		.amdhsa_system_sgpr_workgroup_id_x 1
		.amdhsa_system_sgpr_workgroup_id_y 0
		.amdhsa_system_sgpr_workgroup_id_z 0
		.amdhsa_system_sgpr_workgroup_info 0
		.amdhsa_system_vgpr_workitem_id 0
		.amdhsa_next_free_vgpr 1
		.amdhsa_next_free_sgpr 0
		.amdhsa_accum_offset 4
		.amdhsa_reserve_vcc 0
		.amdhsa_reserve_flat_scratch 0
		.amdhsa_float_round_mode_32 0
		.amdhsa_float_round_mode_16_64 0
		.amdhsa_float_denorm_mode_32 3
		.amdhsa_float_denorm_mode_16_64 3
		.amdhsa_dx10_clamp 1
		.amdhsa_ieee_mode 1
		.amdhsa_fp16_overflow 0
		.amdhsa_tg_split 0
		.amdhsa_exception_fp_ieee_invalid_op 0
		.amdhsa_exception_fp_denorm_src 0
		.amdhsa_exception_fp_ieee_div_zero 0
		.amdhsa_exception_fp_ieee_overflow 0
		.amdhsa_exception_fp_ieee_underflow 0
		.amdhsa_exception_fp_ieee_inexact 0
		.amdhsa_exception_int_div_zero 0
	.end_amdhsa_kernel
	.section	.text._ZN7rocprim17ROCPRIM_400000_NS6detail17trampoline_kernelINS0_14default_configENS1_20scan_config_selectorIxEEZZNS1_9scan_implILNS1_25lookback_scan_determinismE0ELb1ELb1ES3_N6thrust23THRUST_200600_302600_NS6detail15normal_iteratorINS9_10device_ptrIxEEEENS9_16discard_iteratorINS9_11use_defaultEEExNS9_4plusIvEExEEDaPvRmT3_T4_T5_mT6_P12ihipStream_tbENKUlT_T0_E_clISt17integral_constantIbLb1EESW_IbLb0EEEEDaSS_ST_EUlSS_E0_NS1_11comp_targetILNS1_3genE0ELNS1_11target_archE4294967295ELNS1_3gpuE0ELNS1_3repE0EEENS1_30default_config_static_selectorELNS0_4arch9wavefront6targetE1EEEvT1_,"axG",@progbits,_ZN7rocprim17ROCPRIM_400000_NS6detail17trampoline_kernelINS0_14default_configENS1_20scan_config_selectorIxEEZZNS1_9scan_implILNS1_25lookback_scan_determinismE0ELb1ELb1ES3_N6thrust23THRUST_200600_302600_NS6detail15normal_iteratorINS9_10device_ptrIxEEEENS9_16discard_iteratorINS9_11use_defaultEEExNS9_4plusIvEExEEDaPvRmT3_T4_T5_mT6_P12ihipStream_tbENKUlT_T0_E_clISt17integral_constantIbLb1EESW_IbLb0EEEEDaSS_ST_EUlSS_E0_NS1_11comp_targetILNS1_3genE0ELNS1_11target_archE4294967295ELNS1_3gpuE0ELNS1_3repE0EEENS1_30default_config_static_selectorELNS0_4arch9wavefront6targetE1EEEvT1_,comdat
.Lfunc_end5699:
	.size	_ZN7rocprim17ROCPRIM_400000_NS6detail17trampoline_kernelINS0_14default_configENS1_20scan_config_selectorIxEEZZNS1_9scan_implILNS1_25lookback_scan_determinismE0ELb1ELb1ES3_N6thrust23THRUST_200600_302600_NS6detail15normal_iteratorINS9_10device_ptrIxEEEENS9_16discard_iteratorINS9_11use_defaultEEExNS9_4plusIvEExEEDaPvRmT3_T4_T5_mT6_P12ihipStream_tbENKUlT_T0_E_clISt17integral_constantIbLb1EESW_IbLb0EEEEDaSS_ST_EUlSS_E0_NS1_11comp_targetILNS1_3genE0ELNS1_11target_archE4294967295ELNS1_3gpuE0ELNS1_3repE0EEENS1_30default_config_static_selectorELNS0_4arch9wavefront6targetE1EEEvT1_, .Lfunc_end5699-_ZN7rocprim17ROCPRIM_400000_NS6detail17trampoline_kernelINS0_14default_configENS1_20scan_config_selectorIxEEZZNS1_9scan_implILNS1_25lookback_scan_determinismE0ELb1ELb1ES3_N6thrust23THRUST_200600_302600_NS6detail15normal_iteratorINS9_10device_ptrIxEEEENS9_16discard_iteratorINS9_11use_defaultEEExNS9_4plusIvEExEEDaPvRmT3_T4_T5_mT6_P12ihipStream_tbENKUlT_T0_E_clISt17integral_constantIbLb1EESW_IbLb0EEEEDaSS_ST_EUlSS_E0_NS1_11comp_targetILNS1_3genE0ELNS1_11target_archE4294967295ELNS1_3gpuE0ELNS1_3repE0EEENS1_30default_config_static_selectorELNS0_4arch9wavefront6targetE1EEEvT1_
                                        ; -- End function
	.section	.AMDGPU.csdata,"",@progbits
; Kernel info:
; codeLenInByte = 0
; NumSgprs: 4
; NumVgprs: 0
; NumAgprs: 0
; TotalNumVgprs: 0
; ScratchSize: 0
; MemoryBound: 0
; FloatMode: 240
; IeeeMode: 1
; LDSByteSize: 0 bytes/workgroup (compile time only)
; SGPRBlocks: 0
; VGPRBlocks: 0
; NumSGPRsForWavesPerEU: 4
; NumVGPRsForWavesPerEU: 1
; AccumOffset: 4
; Occupancy: 8
; WaveLimiterHint : 0
; COMPUTE_PGM_RSRC2:SCRATCH_EN: 0
; COMPUTE_PGM_RSRC2:USER_SGPR: 6
; COMPUTE_PGM_RSRC2:TRAP_HANDLER: 0
; COMPUTE_PGM_RSRC2:TGID_X_EN: 1
; COMPUTE_PGM_RSRC2:TGID_Y_EN: 0
; COMPUTE_PGM_RSRC2:TGID_Z_EN: 0
; COMPUTE_PGM_RSRC2:TIDIG_COMP_CNT: 0
; COMPUTE_PGM_RSRC3_GFX90A:ACCUM_OFFSET: 0
; COMPUTE_PGM_RSRC3_GFX90A:TG_SPLIT: 0
	.section	.text._ZN7rocprim17ROCPRIM_400000_NS6detail17trampoline_kernelINS0_14default_configENS1_20scan_config_selectorIxEEZZNS1_9scan_implILNS1_25lookback_scan_determinismE0ELb1ELb1ES3_N6thrust23THRUST_200600_302600_NS6detail15normal_iteratorINS9_10device_ptrIxEEEENS9_16discard_iteratorINS9_11use_defaultEEExNS9_4plusIvEExEEDaPvRmT3_T4_T5_mT6_P12ihipStream_tbENKUlT_T0_E_clISt17integral_constantIbLb1EESW_IbLb0EEEEDaSS_ST_EUlSS_E0_NS1_11comp_targetILNS1_3genE5ELNS1_11target_archE942ELNS1_3gpuE9ELNS1_3repE0EEENS1_30default_config_static_selectorELNS0_4arch9wavefront6targetE1EEEvT1_,"axG",@progbits,_ZN7rocprim17ROCPRIM_400000_NS6detail17trampoline_kernelINS0_14default_configENS1_20scan_config_selectorIxEEZZNS1_9scan_implILNS1_25lookback_scan_determinismE0ELb1ELb1ES3_N6thrust23THRUST_200600_302600_NS6detail15normal_iteratorINS9_10device_ptrIxEEEENS9_16discard_iteratorINS9_11use_defaultEEExNS9_4plusIvEExEEDaPvRmT3_T4_T5_mT6_P12ihipStream_tbENKUlT_T0_E_clISt17integral_constantIbLb1EESW_IbLb0EEEEDaSS_ST_EUlSS_E0_NS1_11comp_targetILNS1_3genE5ELNS1_11target_archE942ELNS1_3gpuE9ELNS1_3repE0EEENS1_30default_config_static_selectorELNS0_4arch9wavefront6targetE1EEEvT1_,comdat
	.protected	_ZN7rocprim17ROCPRIM_400000_NS6detail17trampoline_kernelINS0_14default_configENS1_20scan_config_selectorIxEEZZNS1_9scan_implILNS1_25lookback_scan_determinismE0ELb1ELb1ES3_N6thrust23THRUST_200600_302600_NS6detail15normal_iteratorINS9_10device_ptrIxEEEENS9_16discard_iteratorINS9_11use_defaultEEExNS9_4plusIvEExEEDaPvRmT3_T4_T5_mT6_P12ihipStream_tbENKUlT_T0_E_clISt17integral_constantIbLb1EESW_IbLb0EEEEDaSS_ST_EUlSS_E0_NS1_11comp_targetILNS1_3genE5ELNS1_11target_archE942ELNS1_3gpuE9ELNS1_3repE0EEENS1_30default_config_static_selectorELNS0_4arch9wavefront6targetE1EEEvT1_ ; -- Begin function _ZN7rocprim17ROCPRIM_400000_NS6detail17trampoline_kernelINS0_14default_configENS1_20scan_config_selectorIxEEZZNS1_9scan_implILNS1_25lookback_scan_determinismE0ELb1ELb1ES3_N6thrust23THRUST_200600_302600_NS6detail15normal_iteratorINS9_10device_ptrIxEEEENS9_16discard_iteratorINS9_11use_defaultEEExNS9_4plusIvEExEEDaPvRmT3_T4_T5_mT6_P12ihipStream_tbENKUlT_T0_E_clISt17integral_constantIbLb1EESW_IbLb0EEEEDaSS_ST_EUlSS_E0_NS1_11comp_targetILNS1_3genE5ELNS1_11target_archE942ELNS1_3gpuE9ELNS1_3repE0EEENS1_30default_config_static_selectorELNS0_4arch9wavefront6targetE1EEEvT1_
	.globl	_ZN7rocprim17ROCPRIM_400000_NS6detail17trampoline_kernelINS0_14default_configENS1_20scan_config_selectorIxEEZZNS1_9scan_implILNS1_25lookback_scan_determinismE0ELb1ELb1ES3_N6thrust23THRUST_200600_302600_NS6detail15normal_iteratorINS9_10device_ptrIxEEEENS9_16discard_iteratorINS9_11use_defaultEEExNS9_4plusIvEExEEDaPvRmT3_T4_T5_mT6_P12ihipStream_tbENKUlT_T0_E_clISt17integral_constantIbLb1EESW_IbLb0EEEEDaSS_ST_EUlSS_E0_NS1_11comp_targetILNS1_3genE5ELNS1_11target_archE942ELNS1_3gpuE9ELNS1_3repE0EEENS1_30default_config_static_selectorELNS0_4arch9wavefront6targetE1EEEvT1_
	.p2align	8
	.type	_ZN7rocprim17ROCPRIM_400000_NS6detail17trampoline_kernelINS0_14default_configENS1_20scan_config_selectorIxEEZZNS1_9scan_implILNS1_25lookback_scan_determinismE0ELb1ELb1ES3_N6thrust23THRUST_200600_302600_NS6detail15normal_iteratorINS9_10device_ptrIxEEEENS9_16discard_iteratorINS9_11use_defaultEEExNS9_4plusIvEExEEDaPvRmT3_T4_T5_mT6_P12ihipStream_tbENKUlT_T0_E_clISt17integral_constantIbLb1EESW_IbLb0EEEEDaSS_ST_EUlSS_E0_NS1_11comp_targetILNS1_3genE5ELNS1_11target_archE942ELNS1_3gpuE9ELNS1_3repE0EEENS1_30default_config_static_selectorELNS0_4arch9wavefront6targetE1EEEvT1_,@function
_ZN7rocprim17ROCPRIM_400000_NS6detail17trampoline_kernelINS0_14default_configENS1_20scan_config_selectorIxEEZZNS1_9scan_implILNS1_25lookback_scan_determinismE0ELb1ELb1ES3_N6thrust23THRUST_200600_302600_NS6detail15normal_iteratorINS9_10device_ptrIxEEEENS9_16discard_iteratorINS9_11use_defaultEEExNS9_4plusIvEExEEDaPvRmT3_T4_T5_mT6_P12ihipStream_tbENKUlT_T0_E_clISt17integral_constantIbLb1EESW_IbLb0EEEEDaSS_ST_EUlSS_E0_NS1_11comp_targetILNS1_3genE5ELNS1_11target_archE942ELNS1_3gpuE9ELNS1_3repE0EEENS1_30default_config_static_selectorELNS0_4arch9wavefront6targetE1EEEvT1_: ; @_ZN7rocprim17ROCPRIM_400000_NS6detail17trampoline_kernelINS0_14default_configENS1_20scan_config_selectorIxEEZZNS1_9scan_implILNS1_25lookback_scan_determinismE0ELb1ELb1ES3_N6thrust23THRUST_200600_302600_NS6detail15normal_iteratorINS9_10device_ptrIxEEEENS9_16discard_iteratorINS9_11use_defaultEEExNS9_4plusIvEExEEDaPvRmT3_T4_T5_mT6_P12ihipStream_tbENKUlT_T0_E_clISt17integral_constantIbLb1EESW_IbLb0EEEEDaSS_ST_EUlSS_E0_NS1_11comp_targetILNS1_3genE5ELNS1_11target_archE942ELNS1_3gpuE9ELNS1_3repE0EEENS1_30default_config_static_selectorELNS0_4arch9wavefront6targetE1EEEvT1_
; %bb.0:
	.section	.rodata,"a",@progbits
	.p2align	6, 0x0
	.amdhsa_kernel _ZN7rocprim17ROCPRIM_400000_NS6detail17trampoline_kernelINS0_14default_configENS1_20scan_config_selectorIxEEZZNS1_9scan_implILNS1_25lookback_scan_determinismE0ELb1ELb1ES3_N6thrust23THRUST_200600_302600_NS6detail15normal_iteratorINS9_10device_ptrIxEEEENS9_16discard_iteratorINS9_11use_defaultEEExNS9_4plusIvEExEEDaPvRmT3_T4_T5_mT6_P12ihipStream_tbENKUlT_T0_E_clISt17integral_constantIbLb1EESW_IbLb0EEEEDaSS_ST_EUlSS_E0_NS1_11comp_targetILNS1_3genE5ELNS1_11target_archE942ELNS1_3gpuE9ELNS1_3repE0EEENS1_30default_config_static_selectorELNS0_4arch9wavefront6targetE1EEEvT1_
		.amdhsa_group_segment_fixed_size 0
		.amdhsa_private_segment_fixed_size 0
		.amdhsa_kernarg_size 48
		.amdhsa_user_sgpr_count 6
		.amdhsa_user_sgpr_private_segment_buffer 1
		.amdhsa_user_sgpr_dispatch_ptr 0
		.amdhsa_user_sgpr_queue_ptr 0
		.amdhsa_user_sgpr_kernarg_segment_ptr 1
		.amdhsa_user_sgpr_dispatch_id 0
		.amdhsa_user_sgpr_flat_scratch_init 0
		.amdhsa_user_sgpr_kernarg_preload_length 0
		.amdhsa_user_sgpr_kernarg_preload_offset 0
		.amdhsa_user_sgpr_private_segment_size 0
		.amdhsa_uses_dynamic_stack 0
		.amdhsa_system_sgpr_private_segment_wavefront_offset 0
		.amdhsa_system_sgpr_workgroup_id_x 1
		.amdhsa_system_sgpr_workgroup_id_y 0
		.amdhsa_system_sgpr_workgroup_id_z 0
		.amdhsa_system_sgpr_workgroup_info 0
		.amdhsa_system_vgpr_workitem_id 0
		.amdhsa_next_free_vgpr 1
		.amdhsa_next_free_sgpr 0
		.amdhsa_accum_offset 4
		.amdhsa_reserve_vcc 0
		.amdhsa_reserve_flat_scratch 0
		.amdhsa_float_round_mode_32 0
		.amdhsa_float_round_mode_16_64 0
		.amdhsa_float_denorm_mode_32 3
		.amdhsa_float_denorm_mode_16_64 3
		.amdhsa_dx10_clamp 1
		.amdhsa_ieee_mode 1
		.amdhsa_fp16_overflow 0
		.amdhsa_tg_split 0
		.amdhsa_exception_fp_ieee_invalid_op 0
		.amdhsa_exception_fp_denorm_src 0
		.amdhsa_exception_fp_ieee_div_zero 0
		.amdhsa_exception_fp_ieee_overflow 0
		.amdhsa_exception_fp_ieee_underflow 0
		.amdhsa_exception_fp_ieee_inexact 0
		.amdhsa_exception_int_div_zero 0
	.end_amdhsa_kernel
	.section	.text._ZN7rocprim17ROCPRIM_400000_NS6detail17trampoline_kernelINS0_14default_configENS1_20scan_config_selectorIxEEZZNS1_9scan_implILNS1_25lookback_scan_determinismE0ELb1ELb1ES3_N6thrust23THRUST_200600_302600_NS6detail15normal_iteratorINS9_10device_ptrIxEEEENS9_16discard_iteratorINS9_11use_defaultEEExNS9_4plusIvEExEEDaPvRmT3_T4_T5_mT6_P12ihipStream_tbENKUlT_T0_E_clISt17integral_constantIbLb1EESW_IbLb0EEEEDaSS_ST_EUlSS_E0_NS1_11comp_targetILNS1_3genE5ELNS1_11target_archE942ELNS1_3gpuE9ELNS1_3repE0EEENS1_30default_config_static_selectorELNS0_4arch9wavefront6targetE1EEEvT1_,"axG",@progbits,_ZN7rocprim17ROCPRIM_400000_NS6detail17trampoline_kernelINS0_14default_configENS1_20scan_config_selectorIxEEZZNS1_9scan_implILNS1_25lookback_scan_determinismE0ELb1ELb1ES3_N6thrust23THRUST_200600_302600_NS6detail15normal_iteratorINS9_10device_ptrIxEEEENS9_16discard_iteratorINS9_11use_defaultEEExNS9_4plusIvEExEEDaPvRmT3_T4_T5_mT6_P12ihipStream_tbENKUlT_T0_E_clISt17integral_constantIbLb1EESW_IbLb0EEEEDaSS_ST_EUlSS_E0_NS1_11comp_targetILNS1_3genE5ELNS1_11target_archE942ELNS1_3gpuE9ELNS1_3repE0EEENS1_30default_config_static_selectorELNS0_4arch9wavefront6targetE1EEEvT1_,comdat
.Lfunc_end5700:
	.size	_ZN7rocprim17ROCPRIM_400000_NS6detail17trampoline_kernelINS0_14default_configENS1_20scan_config_selectorIxEEZZNS1_9scan_implILNS1_25lookback_scan_determinismE0ELb1ELb1ES3_N6thrust23THRUST_200600_302600_NS6detail15normal_iteratorINS9_10device_ptrIxEEEENS9_16discard_iteratorINS9_11use_defaultEEExNS9_4plusIvEExEEDaPvRmT3_T4_T5_mT6_P12ihipStream_tbENKUlT_T0_E_clISt17integral_constantIbLb1EESW_IbLb0EEEEDaSS_ST_EUlSS_E0_NS1_11comp_targetILNS1_3genE5ELNS1_11target_archE942ELNS1_3gpuE9ELNS1_3repE0EEENS1_30default_config_static_selectorELNS0_4arch9wavefront6targetE1EEEvT1_, .Lfunc_end5700-_ZN7rocprim17ROCPRIM_400000_NS6detail17trampoline_kernelINS0_14default_configENS1_20scan_config_selectorIxEEZZNS1_9scan_implILNS1_25lookback_scan_determinismE0ELb1ELb1ES3_N6thrust23THRUST_200600_302600_NS6detail15normal_iteratorINS9_10device_ptrIxEEEENS9_16discard_iteratorINS9_11use_defaultEEExNS9_4plusIvEExEEDaPvRmT3_T4_T5_mT6_P12ihipStream_tbENKUlT_T0_E_clISt17integral_constantIbLb1EESW_IbLb0EEEEDaSS_ST_EUlSS_E0_NS1_11comp_targetILNS1_3genE5ELNS1_11target_archE942ELNS1_3gpuE9ELNS1_3repE0EEENS1_30default_config_static_selectorELNS0_4arch9wavefront6targetE1EEEvT1_
                                        ; -- End function
	.section	.AMDGPU.csdata,"",@progbits
; Kernel info:
; codeLenInByte = 0
; NumSgprs: 4
; NumVgprs: 0
; NumAgprs: 0
; TotalNumVgprs: 0
; ScratchSize: 0
; MemoryBound: 0
; FloatMode: 240
; IeeeMode: 1
; LDSByteSize: 0 bytes/workgroup (compile time only)
; SGPRBlocks: 0
; VGPRBlocks: 0
; NumSGPRsForWavesPerEU: 4
; NumVGPRsForWavesPerEU: 1
; AccumOffset: 4
; Occupancy: 8
; WaveLimiterHint : 0
; COMPUTE_PGM_RSRC2:SCRATCH_EN: 0
; COMPUTE_PGM_RSRC2:USER_SGPR: 6
; COMPUTE_PGM_RSRC2:TRAP_HANDLER: 0
; COMPUTE_PGM_RSRC2:TGID_X_EN: 1
; COMPUTE_PGM_RSRC2:TGID_Y_EN: 0
; COMPUTE_PGM_RSRC2:TGID_Z_EN: 0
; COMPUTE_PGM_RSRC2:TIDIG_COMP_CNT: 0
; COMPUTE_PGM_RSRC3_GFX90A:ACCUM_OFFSET: 0
; COMPUTE_PGM_RSRC3_GFX90A:TG_SPLIT: 0
	.section	.text._ZN7rocprim17ROCPRIM_400000_NS6detail17trampoline_kernelINS0_14default_configENS1_20scan_config_selectorIxEEZZNS1_9scan_implILNS1_25lookback_scan_determinismE0ELb1ELb1ES3_N6thrust23THRUST_200600_302600_NS6detail15normal_iteratorINS9_10device_ptrIxEEEENS9_16discard_iteratorINS9_11use_defaultEEExNS9_4plusIvEExEEDaPvRmT3_T4_T5_mT6_P12ihipStream_tbENKUlT_T0_E_clISt17integral_constantIbLb1EESW_IbLb0EEEEDaSS_ST_EUlSS_E0_NS1_11comp_targetILNS1_3genE4ELNS1_11target_archE910ELNS1_3gpuE8ELNS1_3repE0EEENS1_30default_config_static_selectorELNS0_4arch9wavefront6targetE1EEEvT1_,"axG",@progbits,_ZN7rocprim17ROCPRIM_400000_NS6detail17trampoline_kernelINS0_14default_configENS1_20scan_config_selectorIxEEZZNS1_9scan_implILNS1_25lookback_scan_determinismE0ELb1ELb1ES3_N6thrust23THRUST_200600_302600_NS6detail15normal_iteratorINS9_10device_ptrIxEEEENS9_16discard_iteratorINS9_11use_defaultEEExNS9_4plusIvEExEEDaPvRmT3_T4_T5_mT6_P12ihipStream_tbENKUlT_T0_E_clISt17integral_constantIbLb1EESW_IbLb0EEEEDaSS_ST_EUlSS_E0_NS1_11comp_targetILNS1_3genE4ELNS1_11target_archE910ELNS1_3gpuE8ELNS1_3repE0EEENS1_30default_config_static_selectorELNS0_4arch9wavefront6targetE1EEEvT1_,comdat
	.protected	_ZN7rocprim17ROCPRIM_400000_NS6detail17trampoline_kernelINS0_14default_configENS1_20scan_config_selectorIxEEZZNS1_9scan_implILNS1_25lookback_scan_determinismE0ELb1ELb1ES3_N6thrust23THRUST_200600_302600_NS6detail15normal_iteratorINS9_10device_ptrIxEEEENS9_16discard_iteratorINS9_11use_defaultEEExNS9_4plusIvEExEEDaPvRmT3_T4_T5_mT6_P12ihipStream_tbENKUlT_T0_E_clISt17integral_constantIbLb1EESW_IbLb0EEEEDaSS_ST_EUlSS_E0_NS1_11comp_targetILNS1_3genE4ELNS1_11target_archE910ELNS1_3gpuE8ELNS1_3repE0EEENS1_30default_config_static_selectorELNS0_4arch9wavefront6targetE1EEEvT1_ ; -- Begin function _ZN7rocprim17ROCPRIM_400000_NS6detail17trampoline_kernelINS0_14default_configENS1_20scan_config_selectorIxEEZZNS1_9scan_implILNS1_25lookback_scan_determinismE0ELb1ELb1ES3_N6thrust23THRUST_200600_302600_NS6detail15normal_iteratorINS9_10device_ptrIxEEEENS9_16discard_iteratorINS9_11use_defaultEEExNS9_4plusIvEExEEDaPvRmT3_T4_T5_mT6_P12ihipStream_tbENKUlT_T0_E_clISt17integral_constantIbLb1EESW_IbLb0EEEEDaSS_ST_EUlSS_E0_NS1_11comp_targetILNS1_3genE4ELNS1_11target_archE910ELNS1_3gpuE8ELNS1_3repE0EEENS1_30default_config_static_selectorELNS0_4arch9wavefront6targetE1EEEvT1_
	.globl	_ZN7rocprim17ROCPRIM_400000_NS6detail17trampoline_kernelINS0_14default_configENS1_20scan_config_selectorIxEEZZNS1_9scan_implILNS1_25lookback_scan_determinismE0ELb1ELb1ES3_N6thrust23THRUST_200600_302600_NS6detail15normal_iteratorINS9_10device_ptrIxEEEENS9_16discard_iteratorINS9_11use_defaultEEExNS9_4plusIvEExEEDaPvRmT3_T4_T5_mT6_P12ihipStream_tbENKUlT_T0_E_clISt17integral_constantIbLb1EESW_IbLb0EEEEDaSS_ST_EUlSS_E0_NS1_11comp_targetILNS1_3genE4ELNS1_11target_archE910ELNS1_3gpuE8ELNS1_3repE0EEENS1_30default_config_static_selectorELNS0_4arch9wavefront6targetE1EEEvT1_
	.p2align	8
	.type	_ZN7rocprim17ROCPRIM_400000_NS6detail17trampoline_kernelINS0_14default_configENS1_20scan_config_selectorIxEEZZNS1_9scan_implILNS1_25lookback_scan_determinismE0ELb1ELb1ES3_N6thrust23THRUST_200600_302600_NS6detail15normal_iteratorINS9_10device_ptrIxEEEENS9_16discard_iteratorINS9_11use_defaultEEExNS9_4plusIvEExEEDaPvRmT3_T4_T5_mT6_P12ihipStream_tbENKUlT_T0_E_clISt17integral_constantIbLb1EESW_IbLb0EEEEDaSS_ST_EUlSS_E0_NS1_11comp_targetILNS1_3genE4ELNS1_11target_archE910ELNS1_3gpuE8ELNS1_3repE0EEENS1_30default_config_static_selectorELNS0_4arch9wavefront6targetE1EEEvT1_,@function
_ZN7rocprim17ROCPRIM_400000_NS6detail17trampoline_kernelINS0_14default_configENS1_20scan_config_selectorIxEEZZNS1_9scan_implILNS1_25lookback_scan_determinismE0ELb1ELb1ES3_N6thrust23THRUST_200600_302600_NS6detail15normal_iteratorINS9_10device_ptrIxEEEENS9_16discard_iteratorINS9_11use_defaultEEExNS9_4plusIvEExEEDaPvRmT3_T4_T5_mT6_P12ihipStream_tbENKUlT_T0_E_clISt17integral_constantIbLb1EESW_IbLb0EEEEDaSS_ST_EUlSS_E0_NS1_11comp_targetILNS1_3genE4ELNS1_11target_archE910ELNS1_3gpuE8ELNS1_3repE0EEENS1_30default_config_static_selectorELNS0_4arch9wavefront6targetE1EEEvT1_: ; @_ZN7rocprim17ROCPRIM_400000_NS6detail17trampoline_kernelINS0_14default_configENS1_20scan_config_selectorIxEEZZNS1_9scan_implILNS1_25lookback_scan_determinismE0ELb1ELb1ES3_N6thrust23THRUST_200600_302600_NS6detail15normal_iteratorINS9_10device_ptrIxEEEENS9_16discard_iteratorINS9_11use_defaultEEExNS9_4plusIvEExEEDaPvRmT3_T4_T5_mT6_P12ihipStream_tbENKUlT_T0_E_clISt17integral_constantIbLb1EESW_IbLb0EEEEDaSS_ST_EUlSS_E0_NS1_11comp_targetILNS1_3genE4ELNS1_11target_archE910ELNS1_3gpuE8ELNS1_3repE0EEENS1_30default_config_static_selectorELNS0_4arch9wavefront6targetE1EEEvT1_
; %bb.0:
	s_load_dwordx4 s[0:3], s[4:5], 0x0
	v_lshlrev_b32_e32 v20, 3, v0
	s_waitcnt lgkmcnt(0)
	s_load_dwordx2 s[6:7], s[0:1], 0x0
	v_cmp_gt_u32_e32 vcc, s2, v0
	s_waitcnt lgkmcnt(0)
	v_pk_mov_b32 v[2:3], s[6:7], s[6:7] op_sel:[0,1]
	s_and_saveexec_b64 s[8:9], vcc
	s_cbranch_execz .LBB5701_2
; %bb.1:
	global_load_dwordx2 v[2:3], v20, s[0:1]
.LBB5701_2:
	s_or_b64 exec, exec, s[8:9]
	v_or_b32_e32 v1, 0x80, v0
	v_cmp_gt_u32_e32 vcc, s2, v1
	v_pk_mov_b32 v[4:5], s[6:7], s[6:7] op_sel:[0,1]
	s_and_saveexec_b64 s[8:9], vcc
	s_cbranch_execz .LBB5701_4
; %bb.3:
	global_load_dwordx2 v[4:5], v20, s[0:1] offset:1024
.LBB5701_4:
	s_or_b64 exec, exec, s[8:9]
	v_or_b32_e32 v1, 0x100, v0
	v_cmp_gt_u32_e32 vcc, s2, v1
	v_pk_mov_b32 v[6:7], s[6:7], s[6:7] op_sel:[0,1]
	s_and_saveexec_b64 s[8:9], vcc
	s_cbranch_execz .LBB5701_6
; %bb.5:
	global_load_dwordx2 v[6:7], v20, s[0:1] offset:2048
.LBB5701_6:
	;; [unrolled: 9-line block ×3, first 2 shown]
	s_or_b64 exec, exec, s[8:9]
	v_or_b32_e32 v1, 0x200, v0
	v_cmp_gt_u32_e32 vcc, s2, v1
	v_pk_mov_b32 v[10:11], s[6:7], s[6:7] op_sel:[0,1]
	s_and_saveexec_b64 s[8:9], vcc
	s_cbranch_execz .LBB5701_10
; %bb.9:
	v_lshlrev_b32_e32 v1, 3, v1
	global_load_dwordx2 v[10:11], v1, s[0:1]
.LBB5701_10:
	s_or_b64 exec, exec, s[8:9]
	v_or_b32_e32 v1, 0x280, v0
	v_cmp_gt_u32_e32 vcc, s2, v1
	v_pk_mov_b32 v[12:13], s[6:7], s[6:7] op_sel:[0,1]
	s_and_saveexec_b64 s[8:9], vcc
	s_cbranch_execz .LBB5701_12
; %bb.11:
	v_lshlrev_b32_e32 v1, 3, v1
	global_load_dwordx2 v[12:13], v1, s[0:1]
.LBB5701_12:
	s_or_b64 exec, exec, s[8:9]
	s_load_dwordx2 s[4:5], s[4:5], 0x10
	v_or_b32_e32 v1, 0x300, v0
	v_cmp_gt_u32_e32 vcc, s2, v1
	v_pk_mov_b32 v[14:15], s[6:7], s[6:7] op_sel:[0,1]
	s_and_saveexec_b64 s[2:3], vcc
	s_cbranch_execz .LBB5701_14
; %bb.13:
	v_lshlrev_b32_e32 v1, 3, v1
	global_load_dwordx2 v[14:15], v1, s[0:1]
.LBB5701_14:
	s_or_b64 exec, exec, s[2:3]
	v_mad_u32_u24 v1, v0, 48, v20
	s_waitcnt vmcnt(0)
	ds_write2st64_b64 v20, v[2:3], v[4:5] offset1:2
	ds_write2st64_b64 v20, v[6:7], v[8:9] offset0:4 offset1:6
	ds_write2st64_b64 v20, v[10:11], v[12:13] offset0:8 offset1:10
	ds_write_b64 v20, v[14:15] offset:6144
	s_waitcnt lgkmcnt(0)
	s_barrier
	ds_read2_b64 v[2:5], v1 offset1:1
	ds_read2_b64 v[6:9], v1 offset0:2 offset1:3
	ds_read2_b64 v[10:13], v1 offset0:4 offset1:5
	ds_read_b64 v[14:15], v1 offset:48
	s_waitcnt lgkmcnt(0)
	v_add_co_u32_e32 v1, vcc, v4, v2
	v_addc_co_u32_e32 v16, vcc, v5, v3, vcc
	v_add_co_u32_e32 v1, vcc, v1, v6
	v_addc_co_u32_e32 v16, vcc, v16, v7, vcc
	;; [unrolled: 2-line block ×5, first 2 shown]
	v_add_co_u32_e32 v18, vcc, v1, v14
	v_lshrrev_b32_e32 v1, 2, v0
	v_addc_co_u32_e32 v19, vcc, v16, v15, vcc
	v_and_b32_e32 v1, 24, v1
	v_add_u32_e32 v1, v20, v1
	v_cmp_gt_u32_e32 vcc, 64, v0
	s_barrier
	ds_write_b64 v1, v[18:19]
	s_waitcnt lgkmcnt(0)
	s_barrier
	s_and_saveexec_b64 s[2:3], vcc
	s_cbranch_execz .LBB5701_18
; %bb.15:
	v_lshlrev_b32_e32 v1, 1, v0
	v_lshrrev_b32_e32 v14, 4, v0
	v_add_lshl_u32 v21, v14, v1, 3
	ds_read2_b64 v[14:17], v21 offset1:1
	v_mbcnt_lo_u32_b32 v1, -1, 0
	s_waitcnt lgkmcnt(0)
	v_add_co_u32_e32 v22, vcc, v16, v14
	v_addc_co_u32_e32 v23, vcc, v17, v15, vcc
	s_nop 0
	v_mov_b32_dpp v16, v22 row_shr:1 row_mask:0xf bank_mask:0xf
	v_add_co_u32_e32 v16, vcc, v22, v16
	v_addc_co_u32_e32 v25, vcc, 0, v23, vcc
	v_mbcnt_hi_u32_b32 v17, -1, v1
	v_mov_b32_dpp v24, v23 row_shr:1 row_mask:0xf bank_mask:0xf
	v_add_co_u32_e32 v26, vcc, 0, v16
	v_and_b32_e32 v1, 15, v17
	v_addc_co_u32_e32 v24, vcc, v24, v25, vcc
	v_cmp_eq_u32_e32 vcc, 0, v1
	v_cndmask_b32_e32 v16, v16, v22, vcc
	v_cndmask_b32_e32 v24, v24, v23, vcc
	v_cndmask_b32_e32 v25, v26, v22, vcc
	v_mov_b32_dpp v26, v16 row_shr:2 row_mask:0xf bank_mask:0xf
	v_mov_b32_dpp v27, v24 row_shr:2 row_mask:0xf bank_mask:0xf
	v_add_co_u32_e32 v26, vcc, v26, v25
	v_addc_co_u32_e32 v27, vcc, v27, v24, vcc
	v_cmp_lt_u32_e32 vcc, 1, v1
	v_cndmask_b32_e32 v16, v16, v26, vcc
	v_cndmask_b32_e32 v24, v24, v27, vcc
	v_cndmask_b32_e32 v25, v25, v26, vcc
	v_mov_b32_dpp v26, v16 row_shr:4 row_mask:0xf bank_mask:0xf
	v_mov_b32_dpp v27, v24 row_shr:4 row_mask:0xf bank_mask:0xf
	v_add_co_u32_e32 v26, vcc, v26, v25
	v_addc_co_u32_e32 v27, vcc, v27, v24, vcc
	v_cmp_lt_u32_e32 vcc, 3, v1
	;; [unrolled: 8-line block ×3, first 2 shown]
	v_cndmask_b32_e32 v28, v16, v26, vcc
	v_cndmask_b32_e32 v1, v24, v27, vcc
	;; [unrolled: 1-line block ×3, first 2 shown]
	v_mov_b32_dpp v24, v28 row_bcast:15 row_mask:0xf bank_mask:0xf
	v_mov_b32_dpp v25, v1 row_bcast:15 row_mask:0xf bank_mask:0xf
	v_add_co_u32_e32 v24, vcc, v24, v16
	v_and_b32_e32 v27, 16, v17
	v_addc_co_u32_e32 v26, vcc, v25, v1, vcc
	v_cmp_eq_u32_e32 vcc, 0, v27
	v_cndmask_b32_e32 v27, v26, v1, vcc
	v_cndmask_b32_e32 v25, v24, v28, vcc
	v_cmp_ne_u32_e64 s[0:1], 0, v17
	v_mov_b32_dpp v27, v27 row_bcast:31 row_mask:0xf bank_mask:0xf
	v_mov_b32_dpp v25, v25 row_bcast:31 row_mask:0xf bank_mask:0xf
	s_and_saveexec_b64 s[6:7], s[0:1]
; %bb.16:
	v_cndmask_b32_e32 v1, v26, v1, vcc
	v_cndmask_b32_e32 v16, v24, v16, vcc
	v_cmp_lt_u32_e32 vcc, 31, v17
	v_cndmask_b32_e32 v22, 0, v25, vcc
	v_cndmask_b32_e32 v23, 0, v27, vcc
	v_add_co_u32_e32 v22, vcc, v22, v16
	v_addc_co_u32_e32 v23, vcc, v23, v1, vcc
; %bb.17:
	s_or_b64 exec, exec, s[6:7]
	v_add_u32_e32 v1, -1, v17
	v_and_b32_e32 v16, 64, v17
	v_cmp_lt_i32_e32 vcc, v1, v16
	v_cndmask_b32_e32 v1, v1, v17, vcc
	v_lshlrev_b32_e32 v1, 2, v1
	ds_bpermute_b32 v16, v1, v22
	ds_bpermute_b32 v1, v1, v23
	; wave barrier
	s_waitcnt lgkmcnt(1)
	v_add_co_u32_e32 v14, vcc, v14, v16
	v_addc_co_u32_e32 v15, vcc, 0, v15, vcc
	v_add_co_u32_e32 v14, vcc, 0, v14
	s_waitcnt lgkmcnt(0)
	v_addc_co_u32_e32 v1, vcc, v15, v1, vcc
	v_cmp_eq_u32_e32 vcc, 0, v0
	v_cndmask_b32_e32 v15, v1, v19, vcc
	v_cndmask_b32_e32 v14, v14, v18, vcc
	ds_write_b64 v21, v[14:15]
	; wave barrier
	ds_read_b64 v[16:17], v21 offset:8
	s_waitcnt lgkmcnt(0)
	v_add_co_u32_e32 v14, vcc, v16, v14
	v_addc_co_u32_e32 v15, vcc, v17, v15, vcc
	ds_write_b64 v21, v[14:15] offset:8
.LBB5701_18:
	s_or_b64 exec, exec, s[2:3]
	v_mul_u32_u24_e32 v1, 48, v0
	v_cmp_ne_u32_e32 vcc, 0, v0
	v_pk_mov_b32 v[14:15], s[4:5], s[4:5] op_sel:[0,1]
	s_waitcnt lgkmcnt(0)
	s_barrier
	s_and_saveexec_b64 s[0:1], vcc
	s_cbranch_execz .LBB5701_20
; %bb.19:
	v_add_u32_e32 v0, -1, v0
	v_lshrrev_b32_e32 v14, 5, v0
	v_add_lshl_u32 v0, v14, v0, 3
	ds_read_b64 v[14:15], v0
	v_mov_b32_e32 v0, s5
	s_waitcnt lgkmcnt(0)
	v_add_co_u32_e32 v14, vcc, s4, v14
	v_addc_co_u32_e32 v15, vcc, v15, v0, vcc
.LBB5701_20:
	s_or_b64 exec, exec, s[0:1]
	v_add_co_u32_e32 v2, vcc, v14, v2
	v_addc_co_u32_e32 v3, vcc, v15, v3, vcc
	v_add_co_u32_e32 v4, vcc, v2, v4
	v_addc_co_u32_e32 v5, vcc, v3, v5, vcc
	;; [unrolled: 2-line block ×5, first 2 shown]
	v_add_co_u32_e32 v12, vcc, v10, v12
	v_add_u32_e32 v0, v20, v1
	v_addc_co_u32_e32 v13, vcc, v11, v13, vcc
	s_barrier
	ds_write2_b64 v0, v[14:15], v[2:3] offset1:1
	ds_write2_b64 v0, v[4:5], v[6:7] offset0:2 offset1:3
	ds_write2_b64 v0, v[8:9], v[10:11] offset0:4 offset1:5
	ds_write_b64 v0, v[12:13] offset:48
	s_waitcnt lgkmcnt(0)
	s_barrier
	s_endpgm
	.section	.rodata,"a",@progbits
	.p2align	6, 0x0
	.amdhsa_kernel _ZN7rocprim17ROCPRIM_400000_NS6detail17trampoline_kernelINS0_14default_configENS1_20scan_config_selectorIxEEZZNS1_9scan_implILNS1_25lookback_scan_determinismE0ELb1ELb1ES3_N6thrust23THRUST_200600_302600_NS6detail15normal_iteratorINS9_10device_ptrIxEEEENS9_16discard_iteratorINS9_11use_defaultEEExNS9_4plusIvEExEEDaPvRmT3_T4_T5_mT6_P12ihipStream_tbENKUlT_T0_E_clISt17integral_constantIbLb1EESW_IbLb0EEEEDaSS_ST_EUlSS_E0_NS1_11comp_targetILNS1_3genE4ELNS1_11target_archE910ELNS1_3gpuE8ELNS1_3repE0EEENS1_30default_config_static_selectorELNS0_4arch9wavefront6targetE1EEEvT1_
		.amdhsa_group_segment_fixed_size 7168
		.amdhsa_private_segment_fixed_size 0
		.amdhsa_kernarg_size 48
		.amdhsa_user_sgpr_count 6
		.amdhsa_user_sgpr_private_segment_buffer 1
		.amdhsa_user_sgpr_dispatch_ptr 0
		.amdhsa_user_sgpr_queue_ptr 0
		.amdhsa_user_sgpr_kernarg_segment_ptr 1
		.amdhsa_user_sgpr_dispatch_id 0
		.amdhsa_user_sgpr_flat_scratch_init 0
		.amdhsa_user_sgpr_kernarg_preload_length 0
		.amdhsa_user_sgpr_kernarg_preload_offset 0
		.amdhsa_user_sgpr_private_segment_size 0
		.amdhsa_uses_dynamic_stack 0
		.amdhsa_system_sgpr_private_segment_wavefront_offset 0
		.amdhsa_system_sgpr_workgroup_id_x 1
		.amdhsa_system_sgpr_workgroup_id_y 0
		.amdhsa_system_sgpr_workgroup_id_z 0
		.amdhsa_system_sgpr_workgroup_info 0
		.amdhsa_system_vgpr_workitem_id 0
		.amdhsa_next_free_vgpr 29
		.amdhsa_next_free_sgpr 10
		.amdhsa_accum_offset 32
		.amdhsa_reserve_vcc 1
		.amdhsa_reserve_flat_scratch 0
		.amdhsa_float_round_mode_32 0
		.amdhsa_float_round_mode_16_64 0
		.amdhsa_float_denorm_mode_32 3
		.amdhsa_float_denorm_mode_16_64 3
		.amdhsa_dx10_clamp 1
		.amdhsa_ieee_mode 1
		.amdhsa_fp16_overflow 0
		.amdhsa_tg_split 0
		.amdhsa_exception_fp_ieee_invalid_op 0
		.amdhsa_exception_fp_denorm_src 0
		.amdhsa_exception_fp_ieee_div_zero 0
		.amdhsa_exception_fp_ieee_overflow 0
		.amdhsa_exception_fp_ieee_underflow 0
		.amdhsa_exception_fp_ieee_inexact 0
		.amdhsa_exception_int_div_zero 0
	.end_amdhsa_kernel
	.section	.text._ZN7rocprim17ROCPRIM_400000_NS6detail17trampoline_kernelINS0_14default_configENS1_20scan_config_selectorIxEEZZNS1_9scan_implILNS1_25lookback_scan_determinismE0ELb1ELb1ES3_N6thrust23THRUST_200600_302600_NS6detail15normal_iteratorINS9_10device_ptrIxEEEENS9_16discard_iteratorINS9_11use_defaultEEExNS9_4plusIvEExEEDaPvRmT3_T4_T5_mT6_P12ihipStream_tbENKUlT_T0_E_clISt17integral_constantIbLb1EESW_IbLb0EEEEDaSS_ST_EUlSS_E0_NS1_11comp_targetILNS1_3genE4ELNS1_11target_archE910ELNS1_3gpuE8ELNS1_3repE0EEENS1_30default_config_static_selectorELNS0_4arch9wavefront6targetE1EEEvT1_,"axG",@progbits,_ZN7rocprim17ROCPRIM_400000_NS6detail17trampoline_kernelINS0_14default_configENS1_20scan_config_selectorIxEEZZNS1_9scan_implILNS1_25lookback_scan_determinismE0ELb1ELb1ES3_N6thrust23THRUST_200600_302600_NS6detail15normal_iteratorINS9_10device_ptrIxEEEENS9_16discard_iteratorINS9_11use_defaultEEExNS9_4plusIvEExEEDaPvRmT3_T4_T5_mT6_P12ihipStream_tbENKUlT_T0_E_clISt17integral_constantIbLb1EESW_IbLb0EEEEDaSS_ST_EUlSS_E0_NS1_11comp_targetILNS1_3genE4ELNS1_11target_archE910ELNS1_3gpuE8ELNS1_3repE0EEENS1_30default_config_static_selectorELNS0_4arch9wavefront6targetE1EEEvT1_,comdat
.Lfunc_end5701:
	.size	_ZN7rocprim17ROCPRIM_400000_NS6detail17trampoline_kernelINS0_14default_configENS1_20scan_config_selectorIxEEZZNS1_9scan_implILNS1_25lookback_scan_determinismE0ELb1ELb1ES3_N6thrust23THRUST_200600_302600_NS6detail15normal_iteratorINS9_10device_ptrIxEEEENS9_16discard_iteratorINS9_11use_defaultEEExNS9_4plusIvEExEEDaPvRmT3_T4_T5_mT6_P12ihipStream_tbENKUlT_T0_E_clISt17integral_constantIbLb1EESW_IbLb0EEEEDaSS_ST_EUlSS_E0_NS1_11comp_targetILNS1_3genE4ELNS1_11target_archE910ELNS1_3gpuE8ELNS1_3repE0EEENS1_30default_config_static_selectorELNS0_4arch9wavefront6targetE1EEEvT1_, .Lfunc_end5701-_ZN7rocprim17ROCPRIM_400000_NS6detail17trampoline_kernelINS0_14default_configENS1_20scan_config_selectorIxEEZZNS1_9scan_implILNS1_25lookback_scan_determinismE0ELb1ELb1ES3_N6thrust23THRUST_200600_302600_NS6detail15normal_iteratorINS9_10device_ptrIxEEEENS9_16discard_iteratorINS9_11use_defaultEEExNS9_4plusIvEExEEDaPvRmT3_T4_T5_mT6_P12ihipStream_tbENKUlT_T0_E_clISt17integral_constantIbLb1EESW_IbLb0EEEEDaSS_ST_EUlSS_E0_NS1_11comp_targetILNS1_3genE4ELNS1_11target_archE910ELNS1_3gpuE8ELNS1_3repE0EEENS1_30default_config_static_selectorELNS0_4arch9wavefront6targetE1EEEvT1_
                                        ; -- End function
	.section	.AMDGPU.csdata,"",@progbits
; Kernel info:
; codeLenInByte = 1116
; NumSgprs: 14
; NumVgprs: 29
; NumAgprs: 0
; TotalNumVgprs: 29
; ScratchSize: 0
; MemoryBound: 0
; FloatMode: 240
; IeeeMode: 1
; LDSByteSize: 7168 bytes/workgroup (compile time only)
; SGPRBlocks: 1
; VGPRBlocks: 3
; NumSGPRsForWavesPerEU: 14
; NumVGPRsForWavesPerEU: 29
; AccumOffset: 32
; Occupancy: 5
; WaveLimiterHint : 0
; COMPUTE_PGM_RSRC2:SCRATCH_EN: 0
; COMPUTE_PGM_RSRC2:USER_SGPR: 6
; COMPUTE_PGM_RSRC2:TRAP_HANDLER: 0
; COMPUTE_PGM_RSRC2:TGID_X_EN: 1
; COMPUTE_PGM_RSRC2:TGID_Y_EN: 0
; COMPUTE_PGM_RSRC2:TGID_Z_EN: 0
; COMPUTE_PGM_RSRC2:TIDIG_COMP_CNT: 0
; COMPUTE_PGM_RSRC3_GFX90A:ACCUM_OFFSET: 7
; COMPUTE_PGM_RSRC3_GFX90A:TG_SPLIT: 0
	.section	.text._ZN7rocprim17ROCPRIM_400000_NS6detail17trampoline_kernelINS0_14default_configENS1_20scan_config_selectorIxEEZZNS1_9scan_implILNS1_25lookback_scan_determinismE0ELb1ELb1ES3_N6thrust23THRUST_200600_302600_NS6detail15normal_iteratorINS9_10device_ptrIxEEEENS9_16discard_iteratorINS9_11use_defaultEEExNS9_4plusIvEExEEDaPvRmT3_T4_T5_mT6_P12ihipStream_tbENKUlT_T0_E_clISt17integral_constantIbLb1EESW_IbLb0EEEEDaSS_ST_EUlSS_E0_NS1_11comp_targetILNS1_3genE3ELNS1_11target_archE908ELNS1_3gpuE7ELNS1_3repE0EEENS1_30default_config_static_selectorELNS0_4arch9wavefront6targetE1EEEvT1_,"axG",@progbits,_ZN7rocprim17ROCPRIM_400000_NS6detail17trampoline_kernelINS0_14default_configENS1_20scan_config_selectorIxEEZZNS1_9scan_implILNS1_25lookback_scan_determinismE0ELb1ELb1ES3_N6thrust23THRUST_200600_302600_NS6detail15normal_iteratorINS9_10device_ptrIxEEEENS9_16discard_iteratorINS9_11use_defaultEEExNS9_4plusIvEExEEDaPvRmT3_T4_T5_mT6_P12ihipStream_tbENKUlT_T0_E_clISt17integral_constantIbLb1EESW_IbLb0EEEEDaSS_ST_EUlSS_E0_NS1_11comp_targetILNS1_3genE3ELNS1_11target_archE908ELNS1_3gpuE7ELNS1_3repE0EEENS1_30default_config_static_selectorELNS0_4arch9wavefront6targetE1EEEvT1_,comdat
	.protected	_ZN7rocprim17ROCPRIM_400000_NS6detail17trampoline_kernelINS0_14default_configENS1_20scan_config_selectorIxEEZZNS1_9scan_implILNS1_25lookback_scan_determinismE0ELb1ELb1ES3_N6thrust23THRUST_200600_302600_NS6detail15normal_iteratorINS9_10device_ptrIxEEEENS9_16discard_iteratorINS9_11use_defaultEEExNS9_4plusIvEExEEDaPvRmT3_T4_T5_mT6_P12ihipStream_tbENKUlT_T0_E_clISt17integral_constantIbLb1EESW_IbLb0EEEEDaSS_ST_EUlSS_E0_NS1_11comp_targetILNS1_3genE3ELNS1_11target_archE908ELNS1_3gpuE7ELNS1_3repE0EEENS1_30default_config_static_selectorELNS0_4arch9wavefront6targetE1EEEvT1_ ; -- Begin function _ZN7rocprim17ROCPRIM_400000_NS6detail17trampoline_kernelINS0_14default_configENS1_20scan_config_selectorIxEEZZNS1_9scan_implILNS1_25lookback_scan_determinismE0ELb1ELb1ES3_N6thrust23THRUST_200600_302600_NS6detail15normal_iteratorINS9_10device_ptrIxEEEENS9_16discard_iteratorINS9_11use_defaultEEExNS9_4plusIvEExEEDaPvRmT3_T4_T5_mT6_P12ihipStream_tbENKUlT_T0_E_clISt17integral_constantIbLb1EESW_IbLb0EEEEDaSS_ST_EUlSS_E0_NS1_11comp_targetILNS1_3genE3ELNS1_11target_archE908ELNS1_3gpuE7ELNS1_3repE0EEENS1_30default_config_static_selectorELNS0_4arch9wavefront6targetE1EEEvT1_
	.globl	_ZN7rocprim17ROCPRIM_400000_NS6detail17trampoline_kernelINS0_14default_configENS1_20scan_config_selectorIxEEZZNS1_9scan_implILNS1_25lookback_scan_determinismE0ELb1ELb1ES3_N6thrust23THRUST_200600_302600_NS6detail15normal_iteratorINS9_10device_ptrIxEEEENS9_16discard_iteratorINS9_11use_defaultEEExNS9_4plusIvEExEEDaPvRmT3_T4_T5_mT6_P12ihipStream_tbENKUlT_T0_E_clISt17integral_constantIbLb1EESW_IbLb0EEEEDaSS_ST_EUlSS_E0_NS1_11comp_targetILNS1_3genE3ELNS1_11target_archE908ELNS1_3gpuE7ELNS1_3repE0EEENS1_30default_config_static_selectorELNS0_4arch9wavefront6targetE1EEEvT1_
	.p2align	8
	.type	_ZN7rocprim17ROCPRIM_400000_NS6detail17trampoline_kernelINS0_14default_configENS1_20scan_config_selectorIxEEZZNS1_9scan_implILNS1_25lookback_scan_determinismE0ELb1ELb1ES3_N6thrust23THRUST_200600_302600_NS6detail15normal_iteratorINS9_10device_ptrIxEEEENS9_16discard_iteratorINS9_11use_defaultEEExNS9_4plusIvEExEEDaPvRmT3_T4_T5_mT6_P12ihipStream_tbENKUlT_T0_E_clISt17integral_constantIbLb1EESW_IbLb0EEEEDaSS_ST_EUlSS_E0_NS1_11comp_targetILNS1_3genE3ELNS1_11target_archE908ELNS1_3gpuE7ELNS1_3repE0EEENS1_30default_config_static_selectorELNS0_4arch9wavefront6targetE1EEEvT1_,@function
_ZN7rocprim17ROCPRIM_400000_NS6detail17trampoline_kernelINS0_14default_configENS1_20scan_config_selectorIxEEZZNS1_9scan_implILNS1_25lookback_scan_determinismE0ELb1ELb1ES3_N6thrust23THRUST_200600_302600_NS6detail15normal_iteratorINS9_10device_ptrIxEEEENS9_16discard_iteratorINS9_11use_defaultEEExNS9_4plusIvEExEEDaPvRmT3_T4_T5_mT6_P12ihipStream_tbENKUlT_T0_E_clISt17integral_constantIbLb1EESW_IbLb0EEEEDaSS_ST_EUlSS_E0_NS1_11comp_targetILNS1_3genE3ELNS1_11target_archE908ELNS1_3gpuE7ELNS1_3repE0EEENS1_30default_config_static_selectorELNS0_4arch9wavefront6targetE1EEEvT1_: ; @_ZN7rocprim17ROCPRIM_400000_NS6detail17trampoline_kernelINS0_14default_configENS1_20scan_config_selectorIxEEZZNS1_9scan_implILNS1_25lookback_scan_determinismE0ELb1ELb1ES3_N6thrust23THRUST_200600_302600_NS6detail15normal_iteratorINS9_10device_ptrIxEEEENS9_16discard_iteratorINS9_11use_defaultEEExNS9_4plusIvEExEEDaPvRmT3_T4_T5_mT6_P12ihipStream_tbENKUlT_T0_E_clISt17integral_constantIbLb1EESW_IbLb0EEEEDaSS_ST_EUlSS_E0_NS1_11comp_targetILNS1_3genE3ELNS1_11target_archE908ELNS1_3gpuE7ELNS1_3repE0EEENS1_30default_config_static_selectorELNS0_4arch9wavefront6targetE1EEEvT1_
; %bb.0:
	.section	.rodata,"a",@progbits
	.p2align	6, 0x0
	.amdhsa_kernel _ZN7rocprim17ROCPRIM_400000_NS6detail17trampoline_kernelINS0_14default_configENS1_20scan_config_selectorIxEEZZNS1_9scan_implILNS1_25lookback_scan_determinismE0ELb1ELb1ES3_N6thrust23THRUST_200600_302600_NS6detail15normal_iteratorINS9_10device_ptrIxEEEENS9_16discard_iteratorINS9_11use_defaultEEExNS9_4plusIvEExEEDaPvRmT3_T4_T5_mT6_P12ihipStream_tbENKUlT_T0_E_clISt17integral_constantIbLb1EESW_IbLb0EEEEDaSS_ST_EUlSS_E0_NS1_11comp_targetILNS1_3genE3ELNS1_11target_archE908ELNS1_3gpuE7ELNS1_3repE0EEENS1_30default_config_static_selectorELNS0_4arch9wavefront6targetE1EEEvT1_
		.amdhsa_group_segment_fixed_size 0
		.amdhsa_private_segment_fixed_size 0
		.amdhsa_kernarg_size 48
		.amdhsa_user_sgpr_count 6
		.amdhsa_user_sgpr_private_segment_buffer 1
		.amdhsa_user_sgpr_dispatch_ptr 0
		.amdhsa_user_sgpr_queue_ptr 0
		.amdhsa_user_sgpr_kernarg_segment_ptr 1
		.amdhsa_user_sgpr_dispatch_id 0
		.amdhsa_user_sgpr_flat_scratch_init 0
		.amdhsa_user_sgpr_kernarg_preload_length 0
		.amdhsa_user_sgpr_kernarg_preload_offset 0
		.amdhsa_user_sgpr_private_segment_size 0
		.amdhsa_uses_dynamic_stack 0
		.amdhsa_system_sgpr_private_segment_wavefront_offset 0
		.amdhsa_system_sgpr_workgroup_id_x 1
		.amdhsa_system_sgpr_workgroup_id_y 0
		.amdhsa_system_sgpr_workgroup_id_z 0
		.amdhsa_system_sgpr_workgroup_info 0
		.amdhsa_system_vgpr_workitem_id 0
		.amdhsa_next_free_vgpr 1
		.amdhsa_next_free_sgpr 0
		.amdhsa_accum_offset 4
		.amdhsa_reserve_vcc 0
		.amdhsa_reserve_flat_scratch 0
		.amdhsa_float_round_mode_32 0
		.amdhsa_float_round_mode_16_64 0
		.amdhsa_float_denorm_mode_32 3
		.amdhsa_float_denorm_mode_16_64 3
		.amdhsa_dx10_clamp 1
		.amdhsa_ieee_mode 1
		.amdhsa_fp16_overflow 0
		.amdhsa_tg_split 0
		.amdhsa_exception_fp_ieee_invalid_op 0
		.amdhsa_exception_fp_denorm_src 0
		.amdhsa_exception_fp_ieee_div_zero 0
		.amdhsa_exception_fp_ieee_overflow 0
		.amdhsa_exception_fp_ieee_underflow 0
		.amdhsa_exception_fp_ieee_inexact 0
		.amdhsa_exception_int_div_zero 0
	.end_amdhsa_kernel
	.section	.text._ZN7rocprim17ROCPRIM_400000_NS6detail17trampoline_kernelINS0_14default_configENS1_20scan_config_selectorIxEEZZNS1_9scan_implILNS1_25lookback_scan_determinismE0ELb1ELb1ES3_N6thrust23THRUST_200600_302600_NS6detail15normal_iteratorINS9_10device_ptrIxEEEENS9_16discard_iteratorINS9_11use_defaultEEExNS9_4plusIvEExEEDaPvRmT3_T4_T5_mT6_P12ihipStream_tbENKUlT_T0_E_clISt17integral_constantIbLb1EESW_IbLb0EEEEDaSS_ST_EUlSS_E0_NS1_11comp_targetILNS1_3genE3ELNS1_11target_archE908ELNS1_3gpuE7ELNS1_3repE0EEENS1_30default_config_static_selectorELNS0_4arch9wavefront6targetE1EEEvT1_,"axG",@progbits,_ZN7rocprim17ROCPRIM_400000_NS6detail17trampoline_kernelINS0_14default_configENS1_20scan_config_selectorIxEEZZNS1_9scan_implILNS1_25lookback_scan_determinismE0ELb1ELb1ES3_N6thrust23THRUST_200600_302600_NS6detail15normal_iteratorINS9_10device_ptrIxEEEENS9_16discard_iteratorINS9_11use_defaultEEExNS9_4plusIvEExEEDaPvRmT3_T4_T5_mT6_P12ihipStream_tbENKUlT_T0_E_clISt17integral_constantIbLb1EESW_IbLb0EEEEDaSS_ST_EUlSS_E0_NS1_11comp_targetILNS1_3genE3ELNS1_11target_archE908ELNS1_3gpuE7ELNS1_3repE0EEENS1_30default_config_static_selectorELNS0_4arch9wavefront6targetE1EEEvT1_,comdat
.Lfunc_end5702:
	.size	_ZN7rocprim17ROCPRIM_400000_NS6detail17trampoline_kernelINS0_14default_configENS1_20scan_config_selectorIxEEZZNS1_9scan_implILNS1_25lookback_scan_determinismE0ELb1ELb1ES3_N6thrust23THRUST_200600_302600_NS6detail15normal_iteratorINS9_10device_ptrIxEEEENS9_16discard_iteratorINS9_11use_defaultEEExNS9_4plusIvEExEEDaPvRmT3_T4_T5_mT6_P12ihipStream_tbENKUlT_T0_E_clISt17integral_constantIbLb1EESW_IbLb0EEEEDaSS_ST_EUlSS_E0_NS1_11comp_targetILNS1_3genE3ELNS1_11target_archE908ELNS1_3gpuE7ELNS1_3repE0EEENS1_30default_config_static_selectorELNS0_4arch9wavefront6targetE1EEEvT1_, .Lfunc_end5702-_ZN7rocprim17ROCPRIM_400000_NS6detail17trampoline_kernelINS0_14default_configENS1_20scan_config_selectorIxEEZZNS1_9scan_implILNS1_25lookback_scan_determinismE0ELb1ELb1ES3_N6thrust23THRUST_200600_302600_NS6detail15normal_iteratorINS9_10device_ptrIxEEEENS9_16discard_iteratorINS9_11use_defaultEEExNS9_4plusIvEExEEDaPvRmT3_T4_T5_mT6_P12ihipStream_tbENKUlT_T0_E_clISt17integral_constantIbLb1EESW_IbLb0EEEEDaSS_ST_EUlSS_E0_NS1_11comp_targetILNS1_3genE3ELNS1_11target_archE908ELNS1_3gpuE7ELNS1_3repE0EEENS1_30default_config_static_selectorELNS0_4arch9wavefront6targetE1EEEvT1_
                                        ; -- End function
	.section	.AMDGPU.csdata,"",@progbits
; Kernel info:
; codeLenInByte = 0
; NumSgprs: 4
; NumVgprs: 0
; NumAgprs: 0
; TotalNumVgprs: 0
; ScratchSize: 0
; MemoryBound: 0
; FloatMode: 240
; IeeeMode: 1
; LDSByteSize: 0 bytes/workgroup (compile time only)
; SGPRBlocks: 0
; VGPRBlocks: 0
; NumSGPRsForWavesPerEU: 4
; NumVGPRsForWavesPerEU: 1
; AccumOffset: 4
; Occupancy: 8
; WaveLimiterHint : 0
; COMPUTE_PGM_RSRC2:SCRATCH_EN: 0
; COMPUTE_PGM_RSRC2:USER_SGPR: 6
; COMPUTE_PGM_RSRC2:TRAP_HANDLER: 0
; COMPUTE_PGM_RSRC2:TGID_X_EN: 1
; COMPUTE_PGM_RSRC2:TGID_Y_EN: 0
; COMPUTE_PGM_RSRC2:TGID_Z_EN: 0
; COMPUTE_PGM_RSRC2:TIDIG_COMP_CNT: 0
; COMPUTE_PGM_RSRC3_GFX90A:ACCUM_OFFSET: 0
; COMPUTE_PGM_RSRC3_GFX90A:TG_SPLIT: 0
	.section	.text._ZN7rocprim17ROCPRIM_400000_NS6detail17trampoline_kernelINS0_14default_configENS1_20scan_config_selectorIxEEZZNS1_9scan_implILNS1_25lookback_scan_determinismE0ELb1ELb1ES3_N6thrust23THRUST_200600_302600_NS6detail15normal_iteratorINS9_10device_ptrIxEEEENS9_16discard_iteratorINS9_11use_defaultEEExNS9_4plusIvEExEEDaPvRmT3_T4_T5_mT6_P12ihipStream_tbENKUlT_T0_E_clISt17integral_constantIbLb1EESW_IbLb0EEEEDaSS_ST_EUlSS_E0_NS1_11comp_targetILNS1_3genE2ELNS1_11target_archE906ELNS1_3gpuE6ELNS1_3repE0EEENS1_30default_config_static_selectorELNS0_4arch9wavefront6targetE1EEEvT1_,"axG",@progbits,_ZN7rocprim17ROCPRIM_400000_NS6detail17trampoline_kernelINS0_14default_configENS1_20scan_config_selectorIxEEZZNS1_9scan_implILNS1_25lookback_scan_determinismE0ELb1ELb1ES3_N6thrust23THRUST_200600_302600_NS6detail15normal_iteratorINS9_10device_ptrIxEEEENS9_16discard_iteratorINS9_11use_defaultEEExNS9_4plusIvEExEEDaPvRmT3_T4_T5_mT6_P12ihipStream_tbENKUlT_T0_E_clISt17integral_constantIbLb1EESW_IbLb0EEEEDaSS_ST_EUlSS_E0_NS1_11comp_targetILNS1_3genE2ELNS1_11target_archE906ELNS1_3gpuE6ELNS1_3repE0EEENS1_30default_config_static_selectorELNS0_4arch9wavefront6targetE1EEEvT1_,comdat
	.protected	_ZN7rocprim17ROCPRIM_400000_NS6detail17trampoline_kernelINS0_14default_configENS1_20scan_config_selectorIxEEZZNS1_9scan_implILNS1_25lookback_scan_determinismE0ELb1ELb1ES3_N6thrust23THRUST_200600_302600_NS6detail15normal_iteratorINS9_10device_ptrIxEEEENS9_16discard_iteratorINS9_11use_defaultEEExNS9_4plusIvEExEEDaPvRmT3_T4_T5_mT6_P12ihipStream_tbENKUlT_T0_E_clISt17integral_constantIbLb1EESW_IbLb0EEEEDaSS_ST_EUlSS_E0_NS1_11comp_targetILNS1_3genE2ELNS1_11target_archE906ELNS1_3gpuE6ELNS1_3repE0EEENS1_30default_config_static_selectorELNS0_4arch9wavefront6targetE1EEEvT1_ ; -- Begin function _ZN7rocprim17ROCPRIM_400000_NS6detail17trampoline_kernelINS0_14default_configENS1_20scan_config_selectorIxEEZZNS1_9scan_implILNS1_25lookback_scan_determinismE0ELb1ELb1ES3_N6thrust23THRUST_200600_302600_NS6detail15normal_iteratorINS9_10device_ptrIxEEEENS9_16discard_iteratorINS9_11use_defaultEEExNS9_4plusIvEExEEDaPvRmT3_T4_T5_mT6_P12ihipStream_tbENKUlT_T0_E_clISt17integral_constantIbLb1EESW_IbLb0EEEEDaSS_ST_EUlSS_E0_NS1_11comp_targetILNS1_3genE2ELNS1_11target_archE906ELNS1_3gpuE6ELNS1_3repE0EEENS1_30default_config_static_selectorELNS0_4arch9wavefront6targetE1EEEvT1_
	.globl	_ZN7rocprim17ROCPRIM_400000_NS6detail17trampoline_kernelINS0_14default_configENS1_20scan_config_selectorIxEEZZNS1_9scan_implILNS1_25lookback_scan_determinismE0ELb1ELb1ES3_N6thrust23THRUST_200600_302600_NS6detail15normal_iteratorINS9_10device_ptrIxEEEENS9_16discard_iteratorINS9_11use_defaultEEExNS9_4plusIvEExEEDaPvRmT3_T4_T5_mT6_P12ihipStream_tbENKUlT_T0_E_clISt17integral_constantIbLb1EESW_IbLb0EEEEDaSS_ST_EUlSS_E0_NS1_11comp_targetILNS1_3genE2ELNS1_11target_archE906ELNS1_3gpuE6ELNS1_3repE0EEENS1_30default_config_static_selectorELNS0_4arch9wavefront6targetE1EEEvT1_
	.p2align	8
	.type	_ZN7rocprim17ROCPRIM_400000_NS6detail17trampoline_kernelINS0_14default_configENS1_20scan_config_selectorIxEEZZNS1_9scan_implILNS1_25lookback_scan_determinismE0ELb1ELb1ES3_N6thrust23THRUST_200600_302600_NS6detail15normal_iteratorINS9_10device_ptrIxEEEENS9_16discard_iteratorINS9_11use_defaultEEExNS9_4plusIvEExEEDaPvRmT3_T4_T5_mT6_P12ihipStream_tbENKUlT_T0_E_clISt17integral_constantIbLb1EESW_IbLb0EEEEDaSS_ST_EUlSS_E0_NS1_11comp_targetILNS1_3genE2ELNS1_11target_archE906ELNS1_3gpuE6ELNS1_3repE0EEENS1_30default_config_static_selectorELNS0_4arch9wavefront6targetE1EEEvT1_,@function
_ZN7rocprim17ROCPRIM_400000_NS6detail17trampoline_kernelINS0_14default_configENS1_20scan_config_selectorIxEEZZNS1_9scan_implILNS1_25lookback_scan_determinismE0ELb1ELb1ES3_N6thrust23THRUST_200600_302600_NS6detail15normal_iteratorINS9_10device_ptrIxEEEENS9_16discard_iteratorINS9_11use_defaultEEExNS9_4plusIvEExEEDaPvRmT3_T4_T5_mT6_P12ihipStream_tbENKUlT_T0_E_clISt17integral_constantIbLb1EESW_IbLb0EEEEDaSS_ST_EUlSS_E0_NS1_11comp_targetILNS1_3genE2ELNS1_11target_archE906ELNS1_3gpuE6ELNS1_3repE0EEENS1_30default_config_static_selectorELNS0_4arch9wavefront6targetE1EEEvT1_: ; @_ZN7rocprim17ROCPRIM_400000_NS6detail17trampoline_kernelINS0_14default_configENS1_20scan_config_selectorIxEEZZNS1_9scan_implILNS1_25lookback_scan_determinismE0ELb1ELb1ES3_N6thrust23THRUST_200600_302600_NS6detail15normal_iteratorINS9_10device_ptrIxEEEENS9_16discard_iteratorINS9_11use_defaultEEExNS9_4plusIvEExEEDaPvRmT3_T4_T5_mT6_P12ihipStream_tbENKUlT_T0_E_clISt17integral_constantIbLb1EESW_IbLb0EEEEDaSS_ST_EUlSS_E0_NS1_11comp_targetILNS1_3genE2ELNS1_11target_archE906ELNS1_3gpuE6ELNS1_3repE0EEENS1_30default_config_static_selectorELNS0_4arch9wavefront6targetE1EEEvT1_
; %bb.0:
	.section	.rodata,"a",@progbits
	.p2align	6, 0x0
	.amdhsa_kernel _ZN7rocprim17ROCPRIM_400000_NS6detail17trampoline_kernelINS0_14default_configENS1_20scan_config_selectorIxEEZZNS1_9scan_implILNS1_25lookback_scan_determinismE0ELb1ELb1ES3_N6thrust23THRUST_200600_302600_NS6detail15normal_iteratorINS9_10device_ptrIxEEEENS9_16discard_iteratorINS9_11use_defaultEEExNS9_4plusIvEExEEDaPvRmT3_T4_T5_mT6_P12ihipStream_tbENKUlT_T0_E_clISt17integral_constantIbLb1EESW_IbLb0EEEEDaSS_ST_EUlSS_E0_NS1_11comp_targetILNS1_3genE2ELNS1_11target_archE906ELNS1_3gpuE6ELNS1_3repE0EEENS1_30default_config_static_selectorELNS0_4arch9wavefront6targetE1EEEvT1_
		.amdhsa_group_segment_fixed_size 0
		.amdhsa_private_segment_fixed_size 0
		.amdhsa_kernarg_size 48
		.amdhsa_user_sgpr_count 6
		.amdhsa_user_sgpr_private_segment_buffer 1
		.amdhsa_user_sgpr_dispatch_ptr 0
		.amdhsa_user_sgpr_queue_ptr 0
		.amdhsa_user_sgpr_kernarg_segment_ptr 1
		.amdhsa_user_sgpr_dispatch_id 0
		.amdhsa_user_sgpr_flat_scratch_init 0
		.amdhsa_user_sgpr_kernarg_preload_length 0
		.amdhsa_user_sgpr_kernarg_preload_offset 0
		.amdhsa_user_sgpr_private_segment_size 0
		.amdhsa_uses_dynamic_stack 0
		.amdhsa_system_sgpr_private_segment_wavefront_offset 0
		.amdhsa_system_sgpr_workgroup_id_x 1
		.amdhsa_system_sgpr_workgroup_id_y 0
		.amdhsa_system_sgpr_workgroup_id_z 0
		.amdhsa_system_sgpr_workgroup_info 0
		.amdhsa_system_vgpr_workitem_id 0
		.amdhsa_next_free_vgpr 1
		.amdhsa_next_free_sgpr 0
		.amdhsa_accum_offset 4
		.amdhsa_reserve_vcc 0
		.amdhsa_reserve_flat_scratch 0
		.amdhsa_float_round_mode_32 0
		.amdhsa_float_round_mode_16_64 0
		.amdhsa_float_denorm_mode_32 3
		.amdhsa_float_denorm_mode_16_64 3
		.amdhsa_dx10_clamp 1
		.amdhsa_ieee_mode 1
		.amdhsa_fp16_overflow 0
		.amdhsa_tg_split 0
		.amdhsa_exception_fp_ieee_invalid_op 0
		.amdhsa_exception_fp_denorm_src 0
		.amdhsa_exception_fp_ieee_div_zero 0
		.amdhsa_exception_fp_ieee_overflow 0
		.amdhsa_exception_fp_ieee_underflow 0
		.amdhsa_exception_fp_ieee_inexact 0
		.amdhsa_exception_int_div_zero 0
	.end_amdhsa_kernel
	.section	.text._ZN7rocprim17ROCPRIM_400000_NS6detail17trampoline_kernelINS0_14default_configENS1_20scan_config_selectorIxEEZZNS1_9scan_implILNS1_25lookback_scan_determinismE0ELb1ELb1ES3_N6thrust23THRUST_200600_302600_NS6detail15normal_iteratorINS9_10device_ptrIxEEEENS9_16discard_iteratorINS9_11use_defaultEEExNS9_4plusIvEExEEDaPvRmT3_T4_T5_mT6_P12ihipStream_tbENKUlT_T0_E_clISt17integral_constantIbLb1EESW_IbLb0EEEEDaSS_ST_EUlSS_E0_NS1_11comp_targetILNS1_3genE2ELNS1_11target_archE906ELNS1_3gpuE6ELNS1_3repE0EEENS1_30default_config_static_selectorELNS0_4arch9wavefront6targetE1EEEvT1_,"axG",@progbits,_ZN7rocprim17ROCPRIM_400000_NS6detail17trampoline_kernelINS0_14default_configENS1_20scan_config_selectorIxEEZZNS1_9scan_implILNS1_25lookback_scan_determinismE0ELb1ELb1ES3_N6thrust23THRUST_200600_302600_NS6detail15normal_iteratorINS9_10device_ptrIxEEEENS9_16discard_iteratorINS9_11use_defaultEEExNS9_4plusIvEExEEDaPvRmT3_T4_T5_mT6_P12ihipStream_tbENKUlT_T0_E_clISt17integral_constantIbLb1EESW_IbLb0EEEEDaSS_ST_EUlSS_E0_NS1_11comp_targetILNS1_3genE2ELNS1_11target_archE906ELNS1_3gpuE6ELNS1_3repE0EEENS1_30default_config_static_selectorELNS0_4arch9wavefront6targetE1EEEvT1_,comdat
.Lfunc_end5703:
	.size	_ZN7rocprim17ROCPRIM_400000_NS6detail17trampoline_kernelINS0_14default_configENS1_20scan_config_selectorIxEEZZNS1_9scan_implILNS1_25lookback_scan_determinismE0ELb1ELb1ES3_N6thrust23THRUST_200600_302600_NS6detail15normal_iteratorINS9_10device_ptrIxEEEENS9_16discard_iteratorINS9_11use_defaultEEExNS9_4plusIvEExEEDaPvRmT3_T4_T5_mT6_P12ihipStream_tbENKUlT_T0_E_clISt17integral_constantIbLb1EESW_IbLb0EEEEDaSS_ST_EUlSS_E0_NS1_11comp_targetILNS1_3genE2ELNS1_11target_archE906ELNS1_3gpuE6ELNS1_3repE0EEENS1_30default_config_static_selectorELNS0_4arch9wavefront6targetE1EEEvT1_, .Lfunc_end5703-_ZN7rocprim17ROCPRIM_400000_NS6detail17trampoline_kernelINS0_14default_configENS1_20scan_config_selectorIxEEZZNS1_9scan_implILNS1_25lookback_scan_determinismE0ELb1ELb1ES3_N6thrust23THRUST_200600_302600_NS6detail15normal_iteratorINS9_10device_ptrIxEEEENS9_16discard_iteratorINS9_11use_defaultEEExNS9_4plusIvEExEEDaPvRmT3_T4_T5_mT6_P12ihipStream_tbENKUlT_T0_E_clISt17integral_constantIbLb1EESW_IbLb0EEEEDaSS_ST_EUlSS_E0_NS1_11comp_targetILNS1_3genE2ELNS1_11target_archE906ELNS1_3gpuE6ELNS1_3repE0EEENS1_30default_config_static_selectorELNS0_4arch9wavefront6targetE1EEEvT1_
                                        ; -- End function
	.section	.AMDGPU.csdata,"",@progbits
; Kernel info:
; codeLenInByte = 0
; NumSgprs: 4
; NumVgprs: 0
; NumAgprs: 0
; TotalNumVgprs: 0
; ScratchSize: 0
; MemoryBound: 0
; FloatMode: 240
; IeeeMode: 1
; LDSByteSize: 0 bytes/workgroup (compile time only)
; SGPRBlocks: 0
; VGPRBlocks: 0
; NumSGPRsForWavesPerEU: 4
; NumVGPRsForWavesPerEU: 1
; AccumOffset: 4
; Occupancy: 8
; WaveLimiterHint : 0
; COMPUTE_PGM_RSRC2:SCRATCH_EN: 0
; COMPUTE_PGM_RSRC2:USER_SGPR: 6
; COMPUTE_PGM_RSRC2:TRAP_HANDLER: 0
; COMPUTE_PGM_RSRC2:TGID_X_EN: 1
; COMPUTE_PGM_RSRC2:TGID_Y_EN: 0
; COMPUTE_PGM_RSRC2:TGID_Z_EN: 0
; COMPUTE_PGM_RSRC2:TIDIG_COMP_CNT: 0
; COMPUTE_PGM_RSRC3_GFX90A:ACCUM_OFFSET: 0
; COMPUTE_PGM_RSRC3_GFX90A:TG_SPLIT: 0
	.section	.text._ZN7rocprim17ROCPRIM_400000_NS6detail17trampoline_kernelINS0_14default_configENS1_20scan_config_selectorIxEEZZNS1_9scan_implILNS1_25lookback_scan_determinismE0ELb1ELb1ES3_N6thrust23THRUST_200600_302600_NS6detail15normal_iteratorINS9_10device_ptrIxEEEENS9_16discard_iteratorINS9_11use_defaultEEExNS9_4plusIvEExEEDaPvRmT3_T4_T5_mT6_P12ihipStream_tbENKUlT_T0_E_clISt17integral_constantIbLb1EESW_IbLb0EEEEDaSS_ST_EUlSS_E0_NS1_11comp_targetILNS1_3genE10ELNS1_11target_archE1201ELNS1_3gpuE5ELNS1_3repE0EEENS1_30default_config_static_selectorELNS0_4arch9wavefront6targetE1EEEvT1_,"axG",@progbits,_ZN7rocprim17ROCPRIM_400000_NS6detail17trampoline_kernelINS0_14default_configENS1_20scan_config_selectorIxEEZZNS1_9scan_implILNS1_25lookback_scan_determinismE0ELb1ELb1ES3_N6thrust23THRUST_200600_302600_NS6detail15normal_iteratorINS9_10device_ptrIxEEEENS9_16discard_iteratorINS9_11use_defaultEEExNS9_4plusIvEExEEDaPvRmT3_T4_T5_mT6_P12ihipStream_tbENKUlT_T0_E_clISt17integral_constantIbLb1EESW_IbLb0EEEEDaSS_ST_EUlSS_E0_NS1_11comp_targetILNS1_3genE10ELNS1_11target_archE1201ELNS1_3gpuE5ELNS1_3repE0EEENS1_30default_config_static_selectorELNS0_4arch9wavefront6targetE1EEEvT1_,comdat
	.protected	_ZN7rocprim17ROCPRIM_400000_NS6detail17trampoline_kernelINS0_14default_configENS1_20scan_config_selectorIxEEZZNS1_9scan_implILNS1_25lookback_scan_determinismE0ELb1ELb1ES3_N6thrust23THRUST_200600_302600_NS6detail15normal_iteratorINS9_10device_ptrIxEEEENS9_16discard_iteratorINS9_11use_defaultEEExNS9_4plusIvEExEEDaPvRmT3_T4_T5_mT6_P12ihipStream_tbENKUlT_T0_E_clISt17integral_constantIbLb1EESW_IbLb0EEEEDaSS_ST_EUlSS_E0_NS1_11comp_targetILNS1_3genE10ELNS1_11target_archE1201ELNS1_3gpuE5ELNS1_3repE0EEENS1_30default_config_static_selectorELNS0_4arch9wavefront6targetE1EEEvT1_ ; -- Begin function _ZN7rocprim17ROCPRIM_400000_NS6detail17trampoline_kernelINS0_14default_configENS1_20scan_config_selectorIxEEZZNS1_9scan_implILNS1_25lookback_scan_determinismE0ELb1ELb1ES3_N6thrust23THRUST_200600_302600_NS6detail15normal_iteratorINS9_10device_ptrIxEEEENS9_16discard_iteratorINS9_11use_defaultEEExNS9_4plusIvEExEEDaPvRmT3_T4_T5_mT6_P12ihipStream_tbENKUlT_T0_E_clISt17integral_constantIbLb1EESW_IbLb0EEEEDaSS_ST_EUlSS_E0_NS1_11comp_targetILNS1_3genE10ELNS1_11target_archE1201ELNS1_3gpuE5ELNS1_3repE0EEENS1_30default_config_static_selectorELNS0_4arch9wavefront6targetE1EEEvT1_
	.globl	_ZN7rocprim17ROCPRIM_400000_NS6detail17trampoline_kernelINS0_14default_configENS1_20scan_config_selectorIxEEZZNS1_9scan_implILNS1_25lookback_scan_determinismE0ELb1ELb1ES3_N6thrust23THRUST_200600_302600_NS6detail15normal_iteratorINS9_10device_ptrIxEEEENS9_16discard_iteratorINS9_11use_defaultEEExNS9_4plusIvEExEEDaPvRmT3_T4_T5_mT6_P12ihipStream_tbENKUlT_T0_E_clISt17integral_constantIbLb1EESW_IbLb0EEEEDaSS_ST_EUlSS_E0_NS1_11comp_targetILNS1_3genE10ELNS1_11target_archE1201ELNS1_3gpuE5ELNS1_3repE0EEENS1_30default_config_static_selectorELNS0_4arch9wavefront6targetE1EEEvT1_
	.p2align	8
	.type	_ZN7rocprim17ROCPRIM_400000_NS6detail17trampoline_kernelINS0_14default_configENS1_20scan_config_selectorIxEEZZNS1_9scan_implILNS1_25lookback_scan_determinismE0ELb1ELb1ES3_N6thrust23THRUST_200600_302600_NS6detail15normal_iteratorINS9_10device_ptrIxEEEENS9_16discard_iteratorINS9_11use_defaultEEExNS9_4plusIvEExEEDaPvRmT3_T4_T5_mT6_P12ihipStream_tbENKUlT_T0_E_clISt17integral_constantIbLb1EESW_IbLb0EEEEDaSS_ST_EUlSS_E0_NS1_11comp_targetILNS1_3genE10ELNS1_11target_archE1201ELNS1_3gpuE5ELNS1_3repE0EEENS1_30default_config_static_selectorELNS0_4arch9wavefront6targetE1EEEvT1_,@function
_ZN7rocprim17ROCPRIM_400000_NS6detail17trampoline_kernelINS0_14default_configENS1_20scan_config_selectorIxEEZZNS1_9scan_implILNS1_25lookback_scan_determinismE0ELb1ELb1ES3_N6thrust23THRUST_200600_302600_NS6detail15normal_iteratorINS9_10device_ptrIxEEEENS9_16discard_iteratorINS9_11use_defaultEEExNS9_4plusIvEExEEDaPvRmT3_T4_T5_mT6_P12ihipStream_tbENKUlT_T0_E_clISt17integral_constantIbLb1EESW_IbLb0EEEEDaSS_ST_EUlSS_E0_NS1_11comp_targetILNS1_3genE10ELNS1_11target_archE1201ELNS1_3gpuE5ELNS1_3repE0EEENS1_30default_config_static_selectorELNS0_4arch9wavefront6targetE1EEEvT1_: ; @_ZN7rocprim17ROCPRIM_400000_NS6detail17trampoline_kernelINS0_14default_configENS1_20scan_config_selectorIxEEZZNS1_9scan_implILNS1_25lookback_scan_determinismE0ELb1ELb1ES3_N6thrust23THRUST_200600_302600_NS6detail15normal_iteratorINS9_10device_ptrIxEEEENS9_16discard_iteratorINS9_11use_defaultEEExNS9_4plusIvEExEEDaPvRmT3_T4_T5_mT6_P12ihipStream_tbENKUlT_T0_E_clISt17integral_constantIbLb1EESW_IbLb0EEEEDaSS_ST_EUlSS_E0_NS1_11comp_targetILNS1_3genE10ELNS1_11target_archE1201ELNS1_3gpuE5ELNS1_3repE0EEENS1_30default_config_static_selectorELNS0_4arch9wavefront6targetE1EEEvT1_
; %bb.0:
	.section	.rodata,"a",@progbits
	.p2align	6, 0x0
	.amdhsa_kernel _ZN7rocprim17ROCPRIM_400000_NS6detail17trampoline_kernelINS0_14default_configENS1_20scan_config_selectorIxEEZZNS1_9scan_implILNS1_25lookback_scan_determinismE0ELb1ELb1ES3_N6thrust23THRUST_200600_302600_NS6detail15normal_iteratorINS9_10device_ptrIxEEEENS9_16discard_iteratorINS9_11use_defaultEEExNS9_4plusIvEExEEDaPvRmT3_T4_T5_mT6_P12ihipStream_tbENKUlT_T0_E_clISt17integral_constantIbLb1EESW_IbLb0EEEEDaSS_ST_EUlSS_E0_NS1_11comp_targetILNS1_3genE10ELNS1_11target_archE1201ELNS1_3gpuE5ELNS1_3repE0EEENS1_30default_config_static_selectorELNS0_4arch9wavefront6targetE1EEEvT1_
		.amdhsa_group_segment_fixed_size 0
		.amdhsa_private_segment_fixed_size 0
		.amdhsa_kernarg_size 48
		.amdhsa_user_sgpr_count 6
		.amdhsa_user_sgpr_private_segment_buffer 1
		.amdhsa_user_sgpr_dispatch_ptr 0
		.amdhsa_user_sgpr_queue_ptr 0
		.amdhsa_user_sgpr_kernarg_segment_ptr 1
		.amdhsa_user_sgpr_dispatch_id 0
		.amdhsa_user_sgpr_flat_scratch_init 0
		.amdhsa_user_sgpr_kernarg_preload_length 0
		.amdhsa_user_sgpr_kernarg_preload_offset 0
		.amdhsa_user_sgpr_private_segment_size 0
		.amdhsa_uses_dynamic_stack 0
		.amdhsa_system_sgpr_private_segment_wavefront_offset 0
		.amdhsa_system_sgpr_workgroup_id_x 1
		.amdhsa_system_sgpr_workgroup_id_y 0
		.amdhsa_system_sgpr_workgroup_id_z 0
		.amdhsa_system_sgpr_workgroup_info 0
		.amdhsa_system_vgpr_workitem_id 0
		.amdhsa_next_free_vgpr 1
		.amdhsa_next_free_sgpr 0
		.amdhsa_accum_offset 4
		.amdhsa_reserve_vcc 0
		.amdhsa_reserve_flat_scratch 0
		.amdhsa_float_round_mode_32 0
		.amdhsa_float_round_mode_16_64 0
		.amdhsa_float_denorm_mode_32 3
		.amdhsa_float_denorm_mode_16_64 3
		.amdhsa_dx10_clamp 1
		.amdhsa_ieee_mode 1
		.amdhsa_fp16_overflow 0
		.amdhsa_tg_split 0
		.amdhsa_exception_fp_ieee_invalid_op 0
		.amdhsa_exception_fp_denorm_src 0
		.amdhsa_exception_fp_ieee_div_zero 0
		.amdhsa_exception_fp_ieee_overflow 0
		.amdhsa_exception_fp_ieee_underflow 0
		.amdhsa_exception_fp_ieee_inexact 0
		.amdhsa_exception_int_div_zero 0
	.end_amdhsa_kernel
	.section	.text._ZN7rocprim17ROCPRIM_400000_NS6detail17trampoline_kernelINS0_14default_configENS1_20scan_config_selectorIxEEZZNS1_9scan_implILNS1_25lookback_scan_determinismE0ELb1ELb1ES3_N6thrust23THRUST_200600_302600_NS6detail15normal_iteratorINS9_10device_ptrIxEEEENS9_16discard_iteratorINS9_11use_defaultEEExNS9_4plusIvEExEEDaPvRmT3_T4_T5_mT6_P12ihipStream_tbENKUlT_T0_E_clISt17integral_constantIbLb1EESW_IbLb0EEEEDaSS_ST_EUlSS_E0_NS1_11comp_targetILNS1_3genE10ELNS1_11target_archE1201ELNS1_3gpuE5ELNS1_3repE0EEENS1_30default_config_static_selectorELNS0_4arch9wavefront6targetE1EEEvT1_,"axG",@progbits,_ZN7rocprim17ROCPRIM_400000_NS6detail17trampoline_kernelINS0_14default_configENS1_20scan_config_selectorIxEEZZNS1_9scan_implILNS1_25lookback_scan_determinismE0ELb1ELb1ES3_N6thrust23THRUST_200600_302600_NS6detail15normal_iteratorINS9_10device_ptrIxEEEENS9_16discard_iteratorINS9_11use_defaultEEExNS9_4plusIvEExEEDaPvRmT3_T4_T5_mT6_P12ihipStream_tbENKUlT_T0_E_clISt17integral_constantIbLb1EESW_IbLb0EEEEDaSS_ST_EUlSS_E0_NS1_11comp_targetILNS1_3genE10ELNS1_11target_archE1201ELNS1_3gpuE5ELNS1_3repE0EEENS1_30default_config_static_selectorELNS0_4arch9wavefront6targetE1EEEvT1_,comdat
.Lfunc_end5704:
	.size	_ZN7rocprim17ROCPRIM_400000_NS6detail17trampoline_kernelINS0_14default_configENS1_20scan_config_selectorIxEEZZNS1_9scan_implILNS1_25lookback_scan_determinismE0ELb1ELb1ES3_N6thrust23THRUST_200600_302600_NS6detail15normal_iteratorINS9_10device_ptrIxEEEENS9_16discard_iteratorINS9_11use_defaultEEExNS9_4plusIvEExEEDaPvRmT3_T4_T5_mT6_P12ihipStream_tbENKUlT_T0_E_clISt17integral_constantIbLb1EESW_IbLb0EEEEDaSS_ST_EUlSS_E0_NS1_11comp_targetILNS1_3genE10ELNS1_11target_archE1201ELNS1_3gpuE5ELNS1_3repE0EEENS1_30default_config_static_selectorELNS0_4arch9wavefront6targetE1EEEvT1_, .Lfunc_end5704-_ZN7rocprim17ROCPRIM_400000_NS6detail17trampoline_kernelINS0_14default_configENS1_20scan_config_selectorIxEEZZNS1_9scan_implILNS1_25lookback_scan_determinismE0ELb1ELb1ES3_N6thrust23THRUST_200600_302600_NS6detail15normal_iteratorINS9_10device_ptrIxEEEENS9_16discard_iteratorINS9_11use_defaultEEExNS9_4plusIvEExEEDaPvRmT3_T4_T5_mT6_P12ihipStream_tbENKUlT_T0_E_clISt17integral_constantIbLb1EESW_IbLb0EEEEDaSS_ST_EUlSS_E0_NS1_11comp_targetILNS1_3genE10ELNS1_11target_archE1201ELNS1_3gpuE5ELNS1_3repE0EEENS1_30default_config_static_selectorELNS0_4arch9wavefront6targetE1EEEvT1_
                                        ; -- End function
	.section	.AMDGPU.csdata,"",@progbits
; Kernel info:
; codeLenInByte = 0
; NumSgprs: 4
; NumVgprs: 0
; NumAgprs: 0
; TotalNumVgprs: 0
; ScratchSize: 0
; MemoryBound: 0
; FloatMode: 240
; IeeeMode: 1
; LDSByteSize: 0 bytes/workgroup (compile time only)
; SGPRBlocks: 0
; VGPRBlocks: 0
; NumSGPRsForWavesPerEU: 4
; NumVGPRsForWavesPerEU: 1
; AccumOffset: 4
; Occupancy: 8
; WaveLimiterHint : 0
; COMPUTE_PGM_RSRC2:SCRATCH_EN: 0
; COMPUTE_PGM_RSRC2:USER_SGPR: 6
; COMPUTE_PGM_RSRC2:TRAP_HANDLER: 0
; COMPUTE_PGM_RSRC2:TGID_X_EN: 1
; COMPUTE_PGM_RSRC2:TGID_Y_EN: 0
; COMPUTE_PGM_RSRC2:TGID_Z_EN: 0
; COMPUTE_PGM_RSRC2:TIDIG_COMP_CNT: 0
; COMPUTE_PGM_RSRC3_GFX90A:ACCUM_OFFSET: 0
; COMPUTE_PGM_RSRC3_GFX90A:TG_SPLIT: 0
	.section	.text._ZN7rocprim17ROCPRIM_400000_NS6detail17trampoline_kernelINS0_14default_configENS1_20scan_config_selectorIxEEZZNS1_9scan_implILNS1_25lookback_scan_determinismE0ELb1ELb1ES3_N6thrust23THRUST_200600_302600_NS6detail15normal_iteratorINS9_10device_ptrIxEEEENS9_16discard_iteratorINS9_11use_defaultEEExNS9_4plusIvEExEEDaPvRmT3_T4_T5_mT6_P12ihipStream_tbENKUlT_T0_E_clISt17integral_constantIbLb1EESW_IbLb0EEEEDaSS_ST_EUlSS_E0_NS1_11comp_targetILNS1_3genE10ELNS1_11target_archE1200ELNS1_3gpuE4ELNS1_3repE0EEENS1_30default_config_static_selectorELNS0_4arch9wavefront6targetE1EEEvT1_,"axG",@progbits,_ZN7rocprim17ROCPRIM_400000_NS6detail17trampoline_kernelINS0_14default_configENS1_20scan_config_selectorIxEEZZNS1_9scan_implILNS1_25lookback_scan_determinismE0ELb1ELb1ES3_N6thrust23THRUST_200600_302600_NS6detail15normal_iteratorINS9_10device_ptrIxEEEENS9_16discard_iteratorINS9_11use_defaultEEExNS9_4plusIvEExEEDaPvRmT3_T4_T5_mT6_P12ihipStream_tbENKUlT_T0_E_clISt17integral_constantIbLb1EESW_IbLb0EEEEDaSS_ST_EUlSS_E0_NS1_11comp_targetILNS1_3genE10ELNS1_11target_archE1200ELNS1_3gpuE4ELNS1_3repE0EEENS1_30default_config_static_selectorELNS0_4arch9wavefront6targetE1EEEvT1_,comdat
	.protected	_ZN7rocprim17ROCPRIM_400000_NS6detail17trampoline_kernelINS0_14default_configENS1_20scan_config_selectorIxEEZZNS1_9scan_implILNS1_25lookback_scan_determinismE0ELb1ELb1ES3_N6thrust23THRUST_200600_302600_NS6detail15normal_iteratorINS9_10device_ptrIxEEEENS9_16discard_iteratorINS9_11use_defaultEEExNS9_4plusIvEExEEDaPvRmT3_T4_T5_mT6_P12ihipStream_tbENKUlT_T0_E_clISt17integral_constantIbLb1EESW_IbLb0EEEEDaSS_ST_EUlSS_E0_NS1_11comp_targetILNS1_3genE10ELNS1_11target_archE1200ELNS1_3gpuE4ELNS1_3repE0EEENS1_30default_config_static_selectorELNS0_4arch9wavefront6targetE1EEEvT1_ ; -- Begin function _ZN7rocprim17ROCPRIM_400000_NS6detail17trampoline_kernelINS0_14default_configENS1_20scan_config_selectorIxEEZZNS1_9scan_implILNS1_25lookback_scan_determinismE0ELb1ELb1ES3_N6thrust23THRUST_200600_302600_NS6detail15normal_iteratorINS9_10device_ptrIxEEEENS9_16discard_iteratorINS9_11use_defaultEEExNS9_4plusIvEExEEDaPvRmT3_T4_T5_mT6_P12ihipStream_tbENKUlT_T0_E_clISt17integral_constantIbLb1EESW_IbLb0EEEEDaSS_ST_EUlSS_E0_NS1_11comp_targetILNS1_3genE10ELNS1_11target_archE1200ELNS1_3gpuE4ELNS1_3repE0EEENS1_30default_config_static_selectorELNS0_4arch9wavefront6targetE1EEEvT1_
	.globl	_ZN7rocprim17ROCPRIM_400000_NS6detail17trampoline_kernelINS0_14default_configENS1_20scan_config_selectorIxEEZZNS1_9scan_implILNS1_25lookback_scan_determinismE0ELb1ELb1ES3_N6thrust23THRUST_200600_302600_NS6detail15normal_iteratorINS9_10device_ptrIxEEEENS9_16discard_iteratorINS9_11use_defaultEEExNS9_4plusIvEExEEDaPvRmT3_T4_T5_mT6_P12ihipStream_tbENKUlT_T0_E_clISt17integral_constantIbLb1EESW_IbLb0EEEEDaSS_ST_EUlSS_E0_NS1_11comp_targetILNS1_3genE10ELNS1_11target_archE1200ELNS1_3gpuE4ELNS1_3repE0EEENS1_30default_config_static_selectorELNS0_4arch9wavefront6targetE1EEEvT1_
	.p2align	8
	.type	_ZN7rocprim17ROCPRIM_400000_NS6detail17trampoline_kernelINS0_14default_configENS1_20scan_config_selectorIxEEZZNS1_9scan_implILNS1_25lookback_scan_determinismE0ELb1ELb1ES3_N6thrust23THRUST_200600_302600_NS6detail15normal_iteratorINS9_10device_ptrIxEEEENS9_16discard_iteratorINS9_11use_defaultEEExNS9_4plusIvEExEEDaPvRmT3_T4_T5_mT6_P12ihipStream_tbENKUlT_T0_E_clISt17integral_constantIbLb1EESW_IbLb0EEEEDaSS_ST_EUlSS_E0_NS1_11comp_targetILNS1_3genE10ELNS1_11target_archE1200ELNS1_3gpuE4ELNS1_3repE0EEENS1_30default_config_static_selectorELNS0_4arch9wavefront6targetE1EEEvT1_,@function
_ZN7rocprim17ROCPRIM_400000_NS6detail17trampoline_kernelINS0_14default_configENS1_20scan_config_selectorIxEEZZNS1_9scan_implILNS1_25lookback_scan_determinismE0ELb1ELb1ES3_N6thrust23THRUST_200600_302600_NS6detail15normal_iteratorINS9_10device_ptrIxEEEENS9_16discard_iteratorINS9_11use_defaultEEExNS9_4plusIvEExEEDaPvRmT3_T4_T5_mT6_P12ihipStream_tbENKUlT_T0_E_clISt17integral_constantIbLb1EESW_IbLb0EEEEDaSS_ST_EUlSS_E0_NS1_11comp_targetILNS1_3genE10ELNS1_11target_archE1200ELNS1_3gpuE4ELNS1_3repE0EEENS1_30default_config_static_selectorELNS0_4arch9wavefront6targetE1EEEvT1_: ; @_ZN7rocprim17ROCPRIM_400000_NS6detail17trampoline_kernelINS0_14default_configENS1_20scan_config_selectorIxEEZZNS1_9scan_implILNS1_25lookback_scan_determinismE0ELb1ELb1ES3_N6thrust23THRUST_200600_302600_NS6detail15normal_iteratorINS9_10device_ptrIxEEEENS9_16discard_iteratorINS9_11use_defaultEEExNS9_4plusIvEExEEDaPvRmT3_T4_T5_mT6_P12ihipStream_tbENKUlT_T0_E_clISt17integral_constantIbLb1EESW_IbLb0EEEEDaSS_ST_EUlSS_E0_NS1_11comp_targetILNS1_3genE10ELNS1_11target_archE1200ELNS1_3gpuE4ELNS1_3repE0EEENS1_30default_config_static_selectorELNS0_4arch9wavefront6targetE1EEEvT1_
; %bb.0:
	.section	.rodata,"a",@progbits
	.p2align	6, 0x0
	.amdhsa_kernel _ZN7rocprim17ROCPRIM_400000_NS6detail17trampoline_kernelINS0_14default_configENS1_20scan_config_selectorIxEEZZNS1_9scan_implILNS1_25lookback_scan_determinismE0ELb1ELb1ES3_N6thrust23THRUST_200600_302600_NS6detail15normal_iteratorINS9_10device_ptrIxEEEENS9_16discard_iteratorINS9_11use_defaultEEExNS9_4plusIvEExEEDaPvRmT3_T4_T5_mT6_P12ihipStream_tbENKUlT_T0_E_clISt17integral_constantIbLb1EESW_IbLb0EEEEDaSS_ST_EUlSS_E0_NS1_11comp_targetILNS1_3genE10ELNS1_11target_archE1200ELNS1_3gpuE4ELNS1_3repE0EEENS1_30default_config_static_selectorELNS0_4arch9wavefront6targetE1EEEvT1_
		.amdhsa_group_segment_fixed_size 0
		.amdhsa_private_segment_fixed_size 0
		.amdhsa_kernarg_size 48
		.amdhsa_user_sgpr_count 6
		.amdhsa_user_sgpr_private_segment_buffer 1
		.amdhsa_user_sgpr_dispatch_ptr 0
		.amdhsa_user_sgpr_queue_ptr 0
		.amdhsa_user_sgpr_kernarg_segment_ptr 1
		.amdhsa_user_sgpr_dispatch_id 0
		.amdhsa_user_sgpr_flat_scratch_init 0
		.amdhsa_user_sgpr_kernarg_preload_length 0
		.amdhsa_user_sgpr_kernarg_preload_offset 0
		.amdhsa_user_sgpr_private_segment_size 0
		.amdhsa_uses_dynamic_stack 0
		.amdhsa_system_sgpr_private_segment_wavefront_offset 0
		.amdhsa_system_sgpr_workgroup_id_x 1
		.amdhsa_system_sgpr_workgroup_id_y 0
		.amdhsa_system_sgpr_workgroup_id_z 0
		.amdhsa_system_sgpr_workgroup_info 0
		.amdhsa_system_vgpr_workitem_id 0
		.amdhsa_next_free_vgpr 1
		.amdhsa_next_free_sgpr 0
		.amdhsa_accum_offset 4
		.amdhsa_reserve_vcc 0
		.amdhsa_reserve_flat_scratch 0
		.amdhsa_float_round_mode_32 0
		.amdhsa_float_round_mode_16_64 0
		.amdhsa_float_denorm_mode_32 3
		.amdhsa_float_denorm_mode_16_64 3
		.amdhsa_dx10_clamp 1
		.amdhsa_ieee_mode 1
		.amdhsa_fp16_overflow 0
		.amdhsa_tg_split 0
		.amdhsa_exception_fp_ieee_invalid_op 0
		.amdhsa_exception_fp_denorm_src 0
		.amdhsa_exception_fp_ieee_div_zero 0
		.amdhsa_exception_fp_ieee_overflow 0
		.amdhsa_exception_fp_ieee_underflow 0
		.amdhsa_exception_fp_ieee_inexact 0
		.amdhsa_exception_int_div_zero 0
	.end_amdhsa_kernel
	.section	.text._ZN7rocprim17ROCPRIM_400000_NS6detail17trampoline_kernelINS0_14default_configENS1_20scan_config_selectorIxEEZZNS1_9scan_implILNS1_25lookback_scan_determinismE0ELb1ELb1ES3_N6thrust23THRUST_200600_302600_NS6detail15normal_iteratorINS9_10device_ptrIxEEEENS9_16discard_iteratorINS9_11use_defaultEEExNS9_4plusIvEExEEDaPvRmT3_T4_T5_mT6_P12ihipStream_tbENKUlT_T0_E_clISt17integral_constantIbLb1EESW_IbLb0EEEEDaSS_ST_EUlSS_E0_NS1_11comp_targetILNS1_3genE10ELNS1_11target_archE1200ELNS1_3gpuE4ELNS1_3repE0EEENS1_30default_config_static_selectorELNS0_4arch9wavefront6targetE1EEEvT1_,"axG",@progbits,_ZN7rocprim17ROCPRIM_400000_NS6detail17trampoline_kernelINS0_14default_configENS1_20scan_config_selectorIxEEZZNS1_9scan_implILNS1_25lookback_scan_determinismE0ELb1ELb1ES3_N6thrust23THRUST_200600_302600_NS6detail15normal_iteratorINS9_10device_ptrIxEEEENS9_16discard_iteratorINS9_11use_defaultEEExNS9_4plusIvEExEEDaPvRmT3_T4_T5_mT6_P12ihipStream_tbENKUlT_T0_E_clISt17integral_constantIbLb1EESW_IbLb0EEEEDaSS_ST_EUlSS_E0_NS1_11comp_targetILNS1_3genE10ELNS1_11target_archE1200ELNS1_3gpuE4ELNS1_3repE0EEENS1_30default_config_static_selectorELNS0_4arch9wavefront6targetE1EEEvT1_,comdat
.Lfunc_end5705:
	.size	_ZN7rocprim17ROCPRIM_400000_NS6detail17trampoline_kernelINS0_14default_configENS1_20scan_config_selectorIxEEZZNS1_9scan_implILNS1_25lookback_scan_determinismE0ELb1ELb1ES3_N6thrust23THRUST_200600_302600_NS6detail15normal_iteratorINS9_10device_ptrIxEEEENS9_16discard_iteratorINS9_11use_defaultEEExNS9_4plusIvEExEEDaPvRmT3_T4_T5_mT6_P12ihipStream_tbENKUlT_T0_E_clISt17integral_constantIbLb1EESW_IbLb0EEEEDaSS_ST_EUlSS_E0_NS1_11comp_targetILNS1_3genE10ELNS1_11target_archE1200ELNS1_3gpuE4ELNS1_3repE0EEENS1_30default_config_static_selectorELNS0_4arch9wavefront6targetE1EEEvT1_, .Lfunc_end5705-_ZN7rocprim17ROCPRIM_400000_NS6detail17trampoline_kernelINS0_14default_configENS1_20scan_config_selectorIxEEZZNS1_9scan_implILNS1_25lookback_scan_determinismE0ELb1ELb1ES3_N6thrust23THRUST_200600_302600_NS6detail15normal_iteratorINS9_10device_ptrIxEEEENS9_16discard_iteratorINS9_11use_defaultEEExNS9_4plusIvEExEEDaPvRmT3_T4_T5_mT6_P12ihipStream_tbENKUlT_T0_E_clISt17integral_constantIbLb1EESW_IbLb0EEEEDaSS_ST_EUlSS_E0_NS1_11comp_targetILNS1_3genE10ELNS1_11target_archE1200ELNS1_3gpuE4ELNS1_3repE0EEENS1_30default_config_static_selectorELNS0_4arch9wavefront6targetE1EEEvT1_
                                        ; -- End function
	.section	.AMDGPU.csdata,"",@progbits
; Kernel info:
; codeLenInByte = 0
; NumSgprs: 4
; NumVgprs: 0
; NumAgprs: 0
; TotalNumVgprs: 0
; ScratchSize: 0
; MemoryBound: 0
; FloatMode: 240
; IeeeMode: 1
; LDSByteSize: 0 bytes/workgroup (compile time only)
; SGPRBlocks: 0
; VGPRBlocks: 0
; NumSGPRsForWavesPerEU: 4
; NumVGPRsForWavesPerEU: 1
; AccumOffset: 4
; Occupancy: 8
; WaveLimiterHint : 0
; COMPUTE_PGM_RSRC2:SCRATCH_EN: 0
; COMPUTE_PGM_RSRC2:USER_SGPR: 6
; COMPUTE_PGM_RSRC2:TRAP_HANDLER: 0
; COMPUTE_PGM_RSRC2:TGID_X_EN: 1
; COMPUTE_PGM_RSRC2:TGID_Y_EN: 0
; COMPUTE_PGM_RSRC2:TGID_Z_EN: 0
; COMPUTE_PGM_RSRC2:TIDIG_COMP_CNT: 0
; COMPUTE_PGM_RSRC3_GFX90A:ACCUM_OFFSET: 0
; COMPUTE_PGM_RSRC3_GFX90A:TG_SPLIT: 0
	.section	.text._ZN7rocprim17ROCPRIM_400000_NS6detail17trampoline_kernelINS0_14default_configENS1_20scan_config_selectorIxEEZZNS1_9scan_implILNS1_25lookback_scan_determinismE0ELb1ELb1ES3_N6thrust23THRUST_200600_302600_NS6detail15normal_iteratorINS9_10device_ptrIxEEEENS9_16discard_iteratorINS9_11use_defaultEEExNS9_4plusIvEExEEDaPvRmT3_T4_T5_mT6_P12ihipStream_tbENKUlT_T0_E_clISt17integral_constantIbLb1EESW_IbLb0EEEEDaSS_ST_EUlSS_E0_NS1_11comp_targetILNS1_3genE9ELNS1_11target_archE1100ELNS1_3gpuE3ELNS1_3repE0EEENS1_30default_config_static_selectorELNS0_4arch9wavefront6targetE1EEEvT1_,"axG",@progbits,_ZN7rocprim17ROCPRIM_400000_NS6detail17trampoline_kernelINS0_14default_configENS1_20scan_config_selectorIxEEZZNS1_9scan_implILNS1_25lookback_scan_determinismE0ELb1ELb1ES3_N6thrust23THRUST_200600_302600_NS6detail15normal_iteratorINS9_10device_ptrIxEEEENS9_16discard_iteratorINS9_11use_defaultEEExNS9_4plusIvEExEEDaPvRmT3_T4_T5_mT6_P12ihipStream_tbENKUlT_T0_E_clISt17integral_constantIbLb1EESW_IbLb0EEEEDaSS_ST_EUlSS_E0_NS1_11comp_targetILNS1_3genE9ELNS1_11target_archE1100ELNS1_3gpuE3ELNS1_3repE0EEENS1_30default_config_static_selectorELNS0_4arch9wavefront6targetE1EEEvT1_,comdat
	.protected	_ZN7rocprim17ROCPRIM_400000_NS6detail17trampoline_kernelINS0_14default_configENS1_20scan_config_selectorIxEEZZNS1_9scan_implILNS1_25lookback_scan_determinismE0ELb1ELb1ES3_N6thrust23THRUST_200600_302600_NS6detail15normal_iteratorINS9_10device_ptrIxEEEENS9_16discard_iteratorINS9_11use_defaultEEExNS9_4plusIvEExEEDaPvRmT3_T4_T5_mT6_P12ihipStream_tbENKUlT_T0_E_clISt17integral_constantIbLb1EESW_IbLb0EEEEDaSS_ST_EUlSS_E0_NS1_11comp_targetILNS1_3genE9ELNS1_11target_archE1100ELNS1_3gpuE3ELNS1_3repE0EEENS1_30default_config_static_selectorELNS0_4arch9wavefront6targetE1EEEvT1_ ; -- Begin function _ZN7rocprim17ROCPRIM_400000_NS6detail17trampoline_kernelINS0_14default_configENS1_20scan_config_selectorIxEEZZNS1_9scan_implILNS1_25lookback_scan_determinismE0ELb1ELb1ES3_N6thrust23THRUST_200600_302600_NS6detail15normal_iteratorINS9_10device_ptrIxEEEENS9_16discard_iteratorINS9_11use_defaultEEExNS9_4plusIvEExEEDaPvRmT3_T4_T5_mT6_P12ihipStream_tbENKUlT_T0_E_clISt17integral_constantIbLb1EESW_IbLb0EEEEDaSS_ST_EUlSS_E0_NS1_11comp_targetILNS1_3genE9ELNS1_11target_archE1100ELNS1_3gpuE3ELNS1_3repE0EEENS1_30default_config_static_selectorELNS0_4arch9wavefront6targetE1EEEvT1_
	.globl	_ZN7rocprim17ROCPRIM_400000_NS6detail17trampoline_kernelINS0_14default_configENS1_20scan_config_selectorIxEEZZNS1_9scan_implILNS1_25lookback_scan_determinismE0ELb1ELb1ES3_N6thrust23THRUST_200600_302600_NS6detail15normal_iteratorINS9_10device_ptrIxEEEENS9_16discard_iteratorINS9_11use_defaultEEExNS9_4plusIvEExEEDaPvRmT3_T4_T5_mT6_P12ihipStream_tbENKUlT_T0_E_clISt17integral_constantIbLb1EESW_IbLb0EEEEDaSS_ST_EUlSS_E0_NS1_11comp_targetILNS1_3genE9ELNS1_11target_archE1100ELNS1_3gpuE3ELNS1_3repE0EEENS1_30default_config_static_selectorELNS0_4arch9wavefront6targetE1EEEvT1_
	.p2align	8
	.type	_ZN7rocprim17ROCPRIM_400000_NS6detail17trampoline_kernelINS0_14default_configENS1_20scan_config_selectorIxEEZZNS1_9scan_implILNS1_25lookback_scan_determinismE0ELb1ELb1ES3_N6thrust23THRUST_200600_302600_NS6detail15normal_iteratorINS9_10device_ptrIxEEEENS9_16discard_iteratorINS9_11use_defaultEEExNS9_4plusIvEExEEDaPvRmT3_T4_T5_mT6_P12ihipStream_tbENKUlT_T0_E_clISt17integral_constantIbLb1EESW_IbLb0EEEEDaSS_ST_EUlSS_E0_NS1_11comp_targetILNS1_3genE9ELNS1_11target_archE1100ELNS1_3gpuE3ELNS1_3repE0EEENS1_30default_config_static_selectorELNS0_4arch9wavefront6targetE1EEEvT1_,@function
_ZN7rocprim17ROCPRIM_400000_NS6detail17trampoline_kernelINS0_14default_configENS1_20scan_config_selectorIxEEZZNS1_9scan_implILNS1_25lookback_scan_determinismE0ELb1ELb1ES3_N6thrust23THRUST_200600_302600_NS6detail15normal_iteratorINS9_10device_ptrIxEEEENS9_16discard_iteratorINS9_11use_defaultEEExNS9_4plusIvEExEEDaPvRmT3_T4_T5_mT6_P12ihipStream_tbENKUlT_T0_E_clISt17integral_constantIbLb1EESW_IbLb0EEEEDaSS_ST_EUlSS_E0_NS1_11comp_targetILNS1_3genE9ELNS1_11target_archE1100ELNS1_3gpuE3ELNS1_3repE0EEENS1_30default_config_static_selectorELNS0_4arch9wavefront6targetE1EEEvT1_: ; @_ZN7rocprim17ROCPRIM_400000_NS6detail17trampoline_kernelINS0_14default_configENS1_20scan_config_selectorIxEEZZNS1_9scan_implILNS1_25lookback_scan_determinismE0ELb1ELb1ES3_N6thrust23THRUST_200600_302600_NS6detail15normal_iteratorINS9_10device_ptrIxEEEENS9_16discard_iteratorINS9_11use_defaultEEExNS9_4plusIvEExEEDaPvRmT3_T4_T5_mT6_P12ihipStream_tbENKUlT_T0_E_clISt17integral_constantIbLb1EESW_IbLb0EEEEDaSS_ST_EUlSS_E0_NS1_11comp_targetILNS1_3genE9ELNS1_11target_archE1100ELNS1_3gpuE3ELNS1_3repE0EEENS1_30default_config_static_selectorELNS0_4arch9wavefront6targetE1EEEvT1_
; %bb.0:
	.section	.rodata,"a",@progbits
	.p2align	6, 0x0
	.amdhsa_kernel _ZN7rocprim17ROCPRIM_400000_NS6detail17trampoline_kernelINS0_14default_configENS1_20scan_config_selectorIxEEZZNS1_9scan_implILNS1_25lookback_scan_determinismE0ELb1ELb1ES3_N6thrust23THRUST_200600_302600_NS6detail15normal_iteratorINS9_10device_ptrIxEEEENS9_16discard_iteratorINS9_11use_defaultEEExNS9_4plusIvEExEEDaPvRmT3_T4_T5_mT6_P12ihipStream_tbENKUlT_T0_E_clISt17integral_constantIbLb1EESW_IbLb0EEEEDaSS_ST_EUlSS_E0_NS1_11comp_targetILNS1_3genE9ELNS1_11target_archE1100ELNS1_3gpuE3ELNS1_3repE0EEENS1_30default_config_static_selectorELNS0_4arch9wavefront6targetE1EEEvT1_
		.amdhsa_group_segment_fixed_size 0
		.amdhsa_private_segment_fixed_size 0
		.amdhsa_kernarg_size 48
		.amdhsa_user_sgpr_count 6
		.amdhsa_user_sgpr_private_segment_buffer 1
		.amdhsa_user_sgpr_dispatch_ptr 0
		.amdhsa_user_sgpr_queue_ptr 0
		.amdhsa_user_sgpr_kernarg_segment_ptr 1
		.amdhsa_user_sgpr_dispatch_id 0
		.amdhsa_user_sgpr_flat_scratch_init 0
		.amdhsa_user_sgpr_kernarg_preload_length 0
		.amdhsa_user_sgpr_kernarg_preload_offset 0
		.amdhsa_user_sgpr_private_segment_size 0
		.amdhsa_uses_dynamic_stack 0
		.amdhsa_system_sgpr_private_segment_wavefront_offset 0
		.amdhsa_system_sgpr_workgroup_id_x 1
		.amdhsa_system_sgpr_workgroup_id_y 0
		.amdhsa_system_sgpr_workgroup_id_z 0
		.amdhsa_system_sgpr_workgroup_info 0
		.amdhsa_system_vgpr_workitem_id 0
		.amdhsa_next_free_vgpr 1
		.amdhsa_next_free_sgpr 0
		.amdhsa_accum_offset 4
		.amdhsa_reserve_vcc 0
		.amdhsa_reserve_flat_scratch 0
		.amdhsa_float_round_mode_32 0
		.amdhsa_float_round_mode_16_64 0
		.amdhsa_float_denorm_mode_32 3
		.amdhsa_float_denorm_mode_16_64 3
		.amdhsa_dx10_clamp 1
		.amdhsa_ieee_mode 1
		.amdhsa_fp16_overflow 0
		.amdhsa_tg_split 0
		.amdhsa_exception_fp_ieee_invalid_op 0
		.amdhsa_exception_fp_denorm_src 0
		.amdhsa_exception_fp_ieee_div_zero 0
		.amdhsa_exception_fp_ieee_overflow 0
		.amdhsa_exception_fp_ieee_underflow 0
		.amdhsa_exception_fp_ieee_inexact 0
		.amdhsa_exception_int_div_zero 0
	.end_amdhsa_kernel
	.section	.text._ZN7rocprim17ROCPRIM_400000_NS6detail17trampoline_kernelINS0_14default_configENS1_20scan_config_selectorIxEEZZNS1_9scan_implILNS1_25lookback_scan_determinismE0ELb1ELb1ES3_N6thrust23THRUST_200600_302600_NS6detail15normal_iteratorINS9_10device_ptrIxEEEENS9_16discard_iteratorINS9_11use_defaultEEExNS9_4plusIvEExEEDaPvRmT3_T4_T5_mT6_P12ihipStream_tbENKUlT_T0_E_clISt17integral_constantIbLb1EESW_IbLb0EEEEDaSS_ST_EUlSS_E0_NS1_11comp_targetILNS1_3genE9ELNS1_11target_archE1100ELNS1_3gpuE3ELNS1_3repE0EEENS1_30default_config_static_selectorELNS0_4arch9wavefront6targetE1EEEvT1_,"axG",@progbits,_ZN7rocprim17ROCPRIM_400000_NS6detail17trampoline_kernelINS0_14default_configENS1_20scan_config_selectorIxEEZZNS1_9scan_implILNS1_25lookback_scan_determinismE0ELb1ELb1ES3_N6thrust23THRUST_200600_302600_NS6detail15normal_iteratorINS9_10device_ptrIxEEEENS9_16discard_iteratorINS9_11use_defaultEEExNS9_4plusIvEExEEDaPvRmT3_T4_T5_mT6_P12ihipStream_tbENKUlT_T0_E_clISt17integral_constantIbLb1EESW_IbLb0EEEEDaSS_ST_EUlSS_E0_NS1_11comp_targetILNS1_3genE9ELNS1_11target_archE1100ELNS1_3gpuE3ELNS1_3repE0EEENS1_30default_config_static_selectorELNS0_4arch9wavefront6targetE1EEEvT1_,comdat
.Lfunc_end5706:
	.size	_ZN7rocprim17ROCPRIM_400000_NS6detail17trampoline_kernelINS0_14default_configENS1_20scan_config_selectorIxEEZZNS1_9scan_implILNS1_25lookback_scan_determinismE0ELb1ELb1ES3_N6thrust23THRUST_200600_302600_NS6detail15normal_iteratorINS9_10device_ptrIxEEEENS9_16discard_iteratorINS9_11use_defaultEEExNS9_4plusIvEExEEDaPvRmT3_T4_T5_mT6_P12ihipStream_tbENKUlT_T0_E_clISt17integral_constantIbLb1EESW_IbLb0EEEEDaSS_ST_EUlSS_E0_NS1_11comp_targetILNS1_3genE9ELNS1_11target_archE1100ELNS1_3gpuE3ELNS1_3repE0EEENS1_30default_config_static_selectorELNS0_4arch9wavefront6targetE1EEEvT1_, .Lfunc_end5706-_ZN7rocprim17ROCPRIM_400000_NS6detail17trampoline_kernelINS0_14default_configENS1_20scan_config_selectorIxEEZZNS1_9scan_implILNS1_25lookback_scan_determinismE0ELb1ELb1ES3_N6thrust23THRUST_200600_302600_NS6detail15normal_iteratorINS9_10device_ptrIxEEEENS9_16discard_iteratorINS9_11use_defaultEEExNS9_4plusIvEExEEDaPvRmT3_T4_T5_mT6_P12ihipStream_tbENKUlT_T0_E_clISt17integral_constantIbLb1EESW_IbLb0EEEEDaSS_ST_EUlSS_E0_NS1_11comp_targetILNS1_3genE9ELNS1_11target_archE1100ELNS1_3gpuE3ELNS1_3repE0EEENS1_30default_config_static_selectorELNS0_4arch9wavefront6targetE1EEEvT1_
                                        ; -- End function
	.section	.AMDGPU.csdata,"",@progbits
; Kernel info:
; codeLenInByte = 0
; NumSgprs: 4
; NumVgprs: 0
; NumAgprs: 0
; TotalNumVgprs: 0
; ScratchSize: 0
; MemoryBound: 0
; FloatMode: 240
; IeeeMode: 1
; LDSByteSize: 0 bytes/workgroup (compile time only)
; SGPRBlocks: 0
; VGPRBlocks: 0
; NumSGPRsForWavesPerEU: 4
; NumVGPRsForWavesPerEU: 1
; AccumOffset: 4
; Occupancy: 8
; WaveLimiterHint : 0
; COMPUTE_PGM_RSRC2:SCRATCH_EN: 0
; COMPUTE_PGM_RSRC2:USER_SGPR: 6
; COMPUTE_PGM_RSRC2:TRAP_HANDLER: 0
; COMPUTE_PGM_RSRC2:TGID_X_EN: 1
; COMPUTE_PGM_RSRC2:TGID_Y_EN: 0
; COMPUTE_PGM_RSRC2:TGID_Z_EN: 0
; COMPUTE_PGM_RSRC2:TIDIG_COMP_CNT: 0
; COMPUTE_PGM_RSRC3_GFX90A:ACCUM_OFFSET: 0
; COMPUTE_PGM_RSRC3_GFX90A:TG_SPLIT: 0
	.section	.text._ZN7rocprim17ROCPRIM_400000_NS6detail17trampoline_kernelINS0_14default_configENS1_20scan_config_selectorIxEEZZNS1_9scan_implILNS1_25lookback_scan_determinismE0ELb1ELb1ES3_N6thrust23THRUST_200600_302600_NS6detail15normal_iteratorINS9_10device_ptrIxEEEENS9_16discard_iteratorINS9_11use_defaultEEExNS9_4plusIvEExEEDaPvRmT3_T4_T5_mT6_P12ihipStream_tbENKUlT_T0_E_clISt17integral_constantIbLb1EESW_IbLb0EEEEDaSS_ST_EUlSS_E0_NS1_11comp_targetILNS1_3genE8ELNS1_11target_archE1030ELNS1_3gpuE2ELNS1_3repE0EEENS1_30default_config_static_selectorELNS0_4arch9wavefront6targetE1EEEvT1_,"axG",@progbits,_ZN7rocprim17ROCPRIM_400000_NS6detail17trampoline_kernelINS0_14default_configENS1_20scan_config_selectorIxEEZZNS1_9scan_implILNS1_25lookback_scan_determinismE0ELb1ELb1ES3_N6thrust23THRUST_200600_302600_NS6detail15normal_iteratorINS9_10device_ptrIxEEEENS9_16discard_iteratorINS9_11use_defaultEEExNS9_4plusIvEExEEDaPvRmT3_T4_T5_mT6_P12ihipStream_tbENKUlT_T0_E_clISt17integral_constantIbLb1EESW_IbLb0EEEEDaSS_ST_EUlSS_E0_NS1_11comp_targetILNS1_3genE8ELNS1_11target_archE1030ELNS1_3gpuE2ELNS1_3repE0EEENS1_30default_config_static_selectorELNS0_4arch9wavefront6targetE1EEEvT1_,comdat
	.protected	_ZN7rocprim17ROCPRIM_400000_NS6detail17trampoline_kernelINS0_14default_configENS1_20scan_config_selectorIxEEZZNS1_9scan_implILNS1_25lookback_scan_determinismE0ELb1ELb1ES3_N6thrust23THRUST_200600_302600_NS6detail15normal_iteratorINS9_10device_ptrIxEEEENS9_16discard_iteratorINS9_11use_defaultEEExNS9_4plusIvEExEEDaPvRmT3_T4_T5_mT6_P12ihipStream_tbENKUlT_T0_E_clISt17integral_constantIbLb1EESW_IbLb0EEEEDaSS_ST_EUlSS_E0_NS1_11comp_targetILNS1_3genE8ELNS1_11target_archE1030ELNS1_3gpuE2ELNS1_3repE0EEENS1_30default_config_static_selectorELNS0_4arch9wavefront6targetE1EEEvT1_ ; -- Begin function _ZN7rocprim17ROCPRIM_400000_NS6detail17trampoline_kernelINS0_14default_configENS1_20scan_config_selectorIxEEZZNS1_9scan_implILNS1_25lookback_scan_determinismE0ELb1ELb1ES3_N6thrust23THRUST_200600_302600_NS6detail15normal_iteratorINS9_10device_ptrIxEEEENS9_16discard_iteratorINS9_11use_defaultEEExNS9_4plusIvEExEEDaPvRmT3_T4_T5_mT6_P12ihipStream_tbENKUlT_T0_E_clISt17integral_constantIbLb1EESW_IbLb0EEEEDaSS_ST_EUlSS_E0_NS1_11comp_targetILNS1_3genE8ELNS1_11target_archE1030ELNS1_3gpuE2ELNS1_3repE0EEENS1_30default_config_static_selectorELNS0_4arch9wavefront6targetE1EEEvT1_
	.globl	_ZN7rocprim17ROCPRIM_400000_NS6detail17trampoline_kernelINS0_14default_configENS1_20scan_config_selectorIxEEZZNS1_9scan_implILNS1_25lookback_scan_determinismE0ELb1ELb1ES3_N6thrust23THRUST_200600_302600_NS6detail15normal_iteratorINS9_10device_ptrIxEEEENS9_16discard_iteratorINS9_11use_defaultEEExNS9_4plusIvEExEEDaPvRmT3_T4_T5_mT6_P12ihipStream_tbENKUlT_T0_E_clISt17integral_constantIbLb1EESW_IbLb0EEEEDaSS_ST_EUlSS_E0_NS1_11comp_targetILNS1_3genE8ELNS1_11target_archE1030ELNS1_3gpuE2ELNS1_3repE0EEENS1_30default_config_static_selectorELNS0_4arch9wavefront6targetE1EEEvT1_
	.p2align	8
	.type	_ZN7rocprim17ROCPRIM_400000_NS6detail17trampoline_kernelINS0_14default_configENS1_20scan_config_selectorIxEEZZNS1_9scan_implILNS1_25lookback_scan_determinismE0ELb1ELb1ES3_N6thrust23THRUST_200600_302600_NS6detail15normal_iteratorINS9_10device_ptrIxEEEENS9_16discard_iteratorINS9_11use_defaultEEExNS9_4plusIvEExEEDaPvRmT3_T4_T5_mT6_P12ihipStream_tbENKUlT_T0_E_clISt17integral_constantIbLb1EESW_IbLb0EEEEDaSS_ST_EUlSS_E0_NS1_11comp_targetILNS1_3genE8ELNS1_11target_archE1030ELNS1_3gpuE2ELNS1_3repE0EEENS1_30default_config_static_selectorELNS0_4arch9wavefront6targetE1EEEvT1_,@function
_ZN7rocprim17ROCPRIM_400000_NS6detail17trampoline_kernelINS0_14default_configENS1_20scan_config_selectorIxEEZZNS1_9scan_implILNS1_25lookback_scan_determinismE0ELb1ELb1ES3_N6thrust23THRUST_200600_302600_NS6detail15normal_iteratorINS9_10device_ptrIxEEEENS9_16discard_iteratorINS9_11use_defaultEEExNS9_4plusIvEExEEDaPvRmT3_T4_T5_mT6_P12ihipStream_tbENKUlT_T0_E_clISt17integral_constantIbLb1EESW_IbLb0EEEEDaSS_ST_EUlSS_E0_NS1_11comp_targetILNS1_3genE8ELNS1_11target_archE1030ELNS1_3gpuE2ELNS1_3repE0EEENS1_30default_config_static_selectorELNS0_4arch9wavefront6targetE1EEEvT1_: ; @_ZN7rocprim17ROCPRIM_400000_NS6detail17trampoline_kernelINS0_14default_configENS1_20scan_config_selectorIxEEZZNS1_9scan_implILNS1_25lookback_scan_determinismE0ELb1ELb1ES3_N6thrust23THRUST_200600_302600_NS6detail15normal_iteratorINS9_10device_ptrIxEEEENS9_16discard_iteratorINS9_11use_defaultEEExNS9_4plusIvEExEEDaPvRmT3_T4_T5_mT6_P12ihipStream_tbENKUlT_T0_E_clISt17integral_constantIbLb1EESW_IbLb0EEEEDaSS_ST_EUlSS_E0_NS1_11comp_targetILNS1_3genE8ELNS1_11target_archE1030ELNS1_3gpuE2ELNS1_3repE0EEENS1_30default_config_static_selectorELNS0_4arch9wavefront6targetE1EEEvT1_
; %bb.0:
	.section	.rodata,"a",@progbits
	.p2align	6, 0x0
	.amdhsa_kernel _ZN7rocprim17ROCPRIM_400000_NS6detail17trampoline_kernelINS0_14default_configENS1_20scan_config_selectorIxEEZZNS1_9scan_implILNS1_25lookback_scan_determinismE0ELb1ELb1ES3_N6thrust23THRUST_200600_302600_NS6detail15normal_iteratorINS9_10device_ptrIxEEEENS9_16discard_iteratorINS9_11use_defaultEEExNS9_4plusIvEExEEDaPvRmT3_T4_T5_mT6_P12ihipStream_tbENKUlT_T0_E_clISt17integral_constantIbLb1EESW_IbLb0EEEEDaSS_ST_EUlSS_E0_NS1_11comp_targetILNS1_3genE8ELNS1_11target_archE1030ELNS1_3gpuE2ELNS1_3repE0EEENS1_30default_config_static_selectorELNS0_4arch9wavefront6targetE1EEEvT1_
		.amdhsa_group_segment_fixed_size 0
		.amdhsa_private_segment_fixed_size 0
		.amdhsa_kernarg_size 48
		.amdhsa_user_sgpr_count 6
		.amdhsa_user_sgpr_private_segment_buffer 1
		.amdhsa_user_sgpr_dispatch_ptr 0
		.amdhsa_user_sgpr_queue_ptr 0
		.amdhsa_user_sgpr_kernarg_segment_ptr 1
		.amdhsa_user_sgpr_dispatch_id 0
		.amdhsa_user_sgpr_flat_scratch_init 0
		.amdhsa_user_sgpr_kernarg_preload_length 0
		.amdhsa_user_sgpr_kernarg_preload_offset 0
		.amdhsa_user_sgpr_private_segment_size 0
		.amdhsa_uses_dynamic_stack 0
		.amdhsa_system_sgpr_private_segment_wavefront_offset 0
		.amdhsa_system_sgpr_workgroup_id_x 1
		.amdhsa_system_sgpr_workgroup_id_y 0
		.amdhsa_system_sgpr_workgroup_id_z 0
		.amdhsa_system_sgpr_workgroup_info 0
		.amdhsa_system_vgpr_workitem_id 0
		.amdhsa_next_free_vgpr 1
		.amdhsa_next_free_sgpr 0
		.amdhsa_accum_offset 4
		.amdhsa_reserve_vcc 0
		.amdhsa_reserve_flat_scratch 0
		.amdhsa_float_round_mode_32 0
		.amdhsa_float_round_mode_16_64 0
		.amdhsa_float_denorm_mode_32 3
		.amdhsa_float_denorm_mode_16_64 3
		.amdhsa_dx10_clamp 1
		.amdhsa_ieee_mode 1
		.amdhsa_fp16_overflow 0
		.amdhsa_tg_split 0
		.amdhsa_exception_fp_ieee_invalid_op 0
		.amdhsa_exception_fp_denorm_src 0
		.amdhsa_exception_fp_ieee_div_zero 0
		.amdhsa_exception_fp_ieee_overflow 0
		.amdhsa_exception_fp_ieee_underflow 0
		.amdhsa_exception_fp_ieee_inexact 0
		.amdhsa_exception_int_div_zero 0
	.end_amdhsa_kernel
	.section	.text._ZN7rocprim17ROCPRIM_400000_NS6detail17trampoline_kernelINS0_14default_configENS1_20scan_config_selectorIxEEZZNS1_9scan_implILNS1_25lookback_scan_determinismE0ELb1ELb1ES3_N6thrust23THRUST_200600_302600_NS6detail15normal_iteratorINS9_10device_ptrIxEEEENS9_16discard_iteratorINS9_11use_defaultEEExNS9_4plusIvEExEEDaPvRmT3_T4_T5_mT6_P12ihipStream_tbENKUlT_T0_E_clISt17integral_constantIbLb1EESW_IbLb0EEEEDaSS_ST_EUlSS_E0_NS1_11comp_targetILNS1_3genE8ELNS1_11target_archE1030ELNS1_3gpuE2ELNS1_3repE0EEENS1_30default_config_static_selectorELNS0_4arch9wavefront6targetE1EEEvT1_,"axG",@progbits,_ZN7rocprim17ROCPRIM_400000_NS6detail17trampoline_kernelINS0_14default_configENS1_20scan_config_selectorIxEEZZNS1_9scan_implILNS1_25lookback_scan_determinismE0ELb1ELb1ES3_N6thrust23THRUST_200600_302600_NS6detail15normal_iteratorINS9_10device_ptrIxEEEENS9_16discard_iteratorINS9_11use_defaultEEExNS9_4plusIvEExEEDaPvRmT3_T4_T5_mT6_P12ihipStream_tbENKUlT_T0_E_clISt17integral_constantIbLb1EESW_IbLb0EEEEDaSS_ST_EUlSS_E0_NS1_11comp_targetILNS1_3genE8ELNS1_11target_archE1030ELNS1_3gpuE2ELNS1_3repE0EEENS1_30default_config_static_selectorELNS0_4arch9wavefront6targetE1EEEvT1_,comdat
.Lfunc_end5707:
	.size	_ZN7rocprim17ROCPRIM_400000_NS6detail17trampoline_kernelINS0_14default_configENS1_20scan_config_selectorIxEEZZNS1_9scan_implILNS1_25lookback_scan_determinismE0ELb1ELb1ES3_N6thrust23THRUST_200600_302600_NS6detail15normal_iteratorINS9_10device_ptrIxEEEENS9_16discard_iteratorINS9_11use_defaultEEExNS9_4plusIvEExEEDaPvRmT3_T4_T5_mT6_P12ihipStream_tbENKUlT_T0_E_clISt17integral_constantIbLb1EESW_IbLb0EEEEDaSS_ST_EUlSS_E0_NS1_11comp_targetILNS1_3genE8ELNS1_11target_archE1030ELNS1_3gpuE2ELNS1_3repE0EEENS1_30default_config_static_selectorELNS0_4arch9wavefront6targetE1EEEvT1_, .Lfunc_end5707-_ZN7rocprim17ROCPRIM_400000_NS6detail17trampoline_kernelINS0_14default_configENS1_20scan_config_selectorIxEEZZNS1_9scan_implILNS1_25lookback_scan_determinismE0ELb1ELb1ES3_N6thrust23THRUST_200600_302600_NS6detail15normal_iteratorINS9_10device_ptrIxEEEENS9_16discard_iteratorINS9_11use_defaultEEExNS9_4plusIvEExEEDaPvRmT3_T4_T5_mT6_P12ihipStream_tbENKUlT_T0_E_clISt17integral_constantIbLb1EESW_IbLb0EEEEDaSS_ST_EUlSS_E0_NS1_11comp_targetILNS1_3genE8ELNS1_11target_archE1030ELNS1_3gpuE2ELNS1_3repE0EEENS1_30default_config_static_selectorELNS0_4arch9wavefront6targetE1EEEvT1_
                                        ; -- End function
	.section	.AMDGPU.csdata,"",@progbits
; Kernel info:
; codeLenInByte = 0
; NumSgprs: 4
; NumVgprs: 0
; NumAgprs: 0
; TotalNumVgprs: 0
; ScratchSize: 0
; MemoryBound: 0
; FloatMode: 240
; IeeeMode: 1
; LDSByteSize: 0 bytes/workgroup (compile time only)
; SGPRBlocks: 0
; VGPRBlocks: 0
; NumSGPRsForWavesPerEU: 4
; NumVGPRsForWavesPerEU: 1
; AccumOffset: 4
; Occupancy: 8
; WaveLimiterHint : 0
; COMPUTE_PGM_RSRC2:SCRATCH_EN: 0
; COMPUTE_PGM_RSRC2:USER_SGPR: 6
; COMPUTE_PGM_RSRC2:TRAP_HANDLER: 0
; COMPUTE_PGM_RSRC2:TGID_X_EN: 1
; COMPUTE_PGM_RSRC2:TGID_Y_EN: 0
; COMPUTE_PGM_RSRC2:TGID_Z_EN: 0
; COMPUTE_PGM_RSRC2:TIDIG_COMP_CNT: 0
; COMPUTE_PGM_RSRC3_GFX90A:ACCUM_OFFSET: 0
; COMPUTE_PGM_RSRC3_GFX90A:TG_SPLIT: 0
	.section	.text._ZN7rocprim17ROCPRIM_400000_NS6detail17trampoline_kernelINS0_14default_configENS1_20scan_config_selectorIxEEZZNS1_9scan_implILNS1_25lookback_scan_determinismE0ELb1ELb1ES3_N6thrust23THRUST_200600_302600_NS6detail15normal_iteratorINS9_10device_ptrIxEEEENS9_16discard_iteratorINS9_11use_defaultEEExNS9_4plusIvEExEEDaPvRmT3_T4_T5_mT6_P12ihipStream_tbENKUlT_T0_E_clISt17integral_constantIbLb0EESW_IbLb1EEEEDaSS_ST_EUlSS_E_NS1_11comp_targetILNS1_3genE0ELNS1_11target_archE4294967295ELNS1_3gpuE0ELNS1_3repE0EEENS1_30default_config_static_selectorELNS0_4arch9wavefront6targetE1EEEvT1_,"axG",@progbits,_ZN7rocprim17ROCPRIM_400000_NS6detail17trampoline_kernelINS0_14default_configENS1_20scan_config_selectorIxEEZZNS1_9scan_implILNS1_25lookback_scan_determinismE0ELb1ELb1ES3_N6thrust23THRUST_200600_302600_NS6detail15normal_iteratorINS9_10device_ptrIxEEEENS9_16discard_iteratorINS9_11use_defaultEEExNS9_4plusIvEExEEDaPvRmT3_T4_T5_mT6_P12ihipStream_tbENKUlT_T0_E_clISt17integral_constantIbLb0EESW_IbLb1EEEEDaSS_ST_EUlSS_E_NS1_11comp_targetILNS1_3genE0ELNS1_11target_archE4294967295ELNS1_3gpuE0ELNS1_3repE0EEENS1_30default_config_static_selectorELNS0_4arch9wavefront6targetE1EEEvT1_,comdat
	.protected	_ZN7rocprim17ROCPRIM_400000_NS6detail17trampoline_kernelINS0_14default_configENS1_20scan_config_selectorIxEEZZNS1_9scan_implILNS1_25lookback_scan_determinismE0ELb1ELb1ES3_N6thrust23THRUST_200600_302600_NS6detail15normal_iteratorINS9_10device_ptrIxEEEENS9_16discard_iteratorINS9_11use_defaultEEExNS9_4plusIvEExEEDaPvRmT3_T4_T5_mT6_P12ihipStream_tbENKUlT_T0_E_clISt17integral_constantIbLb0EESW_IbLb1EEEEDaSS_ST_EUlSS_E_NS1_11comp_targetILNS1_3genE0ELNS1_11target_archE4294967295ELNS1_3gpuE0ELNS1_3repE0EEENS1_30default_config_static_selectorELNS0_4arch9wavefront6targetE1EEEvT1_ ; -- Begin function _ZN7rocprim17ROCPRIM_400000_NS6detail17trampoline_kernelINS0_14default_configENS1_20scan_config_selectorIxEEZZNS1_9scan_implILNS1_25lookback_scan_determinismE0ELb1ELb1ES3_N6thrust23THRUST_200600_302600_NS6detail15normal_iteratorINS9_10device_ptrIxEEEENS9_16discard_iteratorINS9_11use_defaultEEExNS9_4plusIvEExEEDaPvRmT3_T4_T5_mT6_P12ihipStream_tbENKUlT_T0_E_clISt17integral_constantIbLb0EESW_IbLb1EEEEDaSS_ST_EUlSS_E_NS1_11comp_targetILNS1_3genE0ELNS1_11target_archE4294967295ELNS1_3gpuE0ELNS1_3repE0EEENS1_30default_config_static_selectorELNS0_4arch9wavefront6targetE1EEEvT1_
	.globl	_ZN7rocprim17ROCPRIM_400000_NS6detail17trampoline_kernelINS0_14default_configENS1_20scan_config_selectorIxEEZZNS1_9scan_implILNS1_25lookback_scan_determinismE0ELb1ELb1ES3_N6thrust23THRUST_200600_302600_NS6detail15normal_iteratorINS9_10device_ptrIxEEEENS9_16discard_iteratorINS9_11use_defaultEEExNS9_4plusIvEExEEDaPvRmT3_T4_T5_mT6_P12ihipStream_tbENKUlT_T0_E_clISt17integral_constantIbLb0EESW_IbLb1EEEEDaSS_ST_EUlSS_E_NS1_11comp_targetILNS1_3genE0ELNS1_11target_archE4294967295ELNS1_3gpuE0ELNS1_3repE0EEENS1_30default_config_static_selectorELNS0_4arch9wavefront6targetE1EEEvT1_
	.p2align	8
	.type	_ZN7rocprim17ROCPRIM_400000_NS6detail17trampoline_kernelINS0_14default_configENS1_20scan_config_selectorIxEEZZNS1_9scan_implILNS1_25lookback_scan_determinismE0ELb1ELb1ES3_N6thrust23THRUST_200600_302600_NS6detail15normal_iteratorINS9_10device_ptrIxEEEENS9_16discard_iteratorINS9_11use_defaultEEExNS9_4plusIvEExEEDaPvRmT3_T4_T5_mT6_P12ihipStream_tbENKUlT_T0_E_clISt17integral_constantIbLb0EESW_IbLb1EEEEDaSS_ST_EUlSS_E_NS1_11comp_targetILNS1_3genE0ELNS1_11target_archE4294967295ELNS1_3gpuE0ELNS1_3repE0EEENS1_30default_config_static_selectorELNS0_4arch9wavefront6targetE1EEEvT1_,@function
_ZN7rocprim17ROCPRIM_400000_NS6detail17trampoline_kernelINS0_14default_configENS1_20scan_config_selectorIxEEZZNS1_9scan_implILNS1_25lookback_scan_determinismE0ELb1ELb1ES3_N6thrust23THRUST_200600_302600_NS6detail15normal_iteratorINS9_10device_ptrIxEEEENS9_16discard_iteratorINS9_11use_defaultEEExNS9_4plusIvEExEEDaPvRmT3_T4_T5_mT6_P12ihipStream_tbENKUlT_T0_E_clISt17integral_constantIbLb0EESW_IbLb1EEEEDaSS_ST_EUlSS_E_NS1_11comp_targetILNS1_3genE0ELNS1_11target_archE4294967295ELNS1_3gpuE0ELNS1_3repE0EEENS1_30default_config_static_selectorELNS0_4arch9wavefront6targetE1EEEvT1_: ; @_ZN7rocprim17ROCPRIM_400000_NS6detail17trampoline_kernelINS0_14default_configENS1_20scan_config_selectorIxEEZZNS1_9scan_implILNS1_25lookback_scan_determinismE0ELb1ELb1ES3_N6thrust23THRUST_200600_302600_NS6detail15normal_iteratorINS9_10device_ptrIxEEEENS9_16discard_iteratorINS9_11use_defaultEEExNS9_4plusIvEExEEDaPvRmT3_T4_T5_mT6_P12ihipStream_tbENKUlT_T0_E_clISt17integral_constantIbLb0EESW_IbLb1EEEEDaSS_ST_EUlSS_E_NS1_11comp_targetILNS1_3genE0ELNS1_11target_archE4294967295ELNS1_3gpuE0ELNS1_3repE0EEENS1_30default_config_static_selectorELNS0_4arch9wavefront6targetE1EEEvT1_
; %bb.0:
	.section	.rodata,"a",@progbits
	.p2align	6, 0x0
	.amdhsa_kernel _ZN7rocprim17ROCPRIM_400000_NS6detail17trampoline_kernelINS0_14default_configENS1_20scan_config_selectorIxEEZZNS1_9scan_implILNS1_25lookback_scan_determinismE0ELb1ELb1ES3_N6thrust23THRUST_200600_302600_NS6detail15normal_iteratorINS9_10device_ptrIxEEEENS9_16discard_iteratorINS9_11use_defaultEEExNS9_4plusIvEExEEDaPvRmT3_T4_T5_mT6_P12ihipStream_tbENKUlT_T0_E_clISt17integral_constantIbLb0EESW_IbLb1EEEEDaSS_ST_EUlSS_E_NS1_11comp_targetILNS1_3genE0ELNS1_11target_archE4294967295ELNS1_3gpuE0ELNS1_3repE0EEENS1_30default_config_static_selectorELNS0_4arch9wavefront6targetE1EEEvT1_
		.amdhsa_group_segment_fixed_size 0
		.amdhsa_private_segment_fixed_size 0
		.amdhsa_kernarg_size 112
		.amdhsa_user_sgpr_count 6
		.amdhsa_user_sgpr_private_segment_buffer 1
		.amdhsa_user_sgpr_dispatch_ptr 0
		.amdhsa_user_sgpr_queue_ptr 0
		.amdhsa_user_sgpr_kernarg_segment_ptr 1
		.amdhsa_user_sgpr_dispatch_id 0
		.amdhsa_user_sgpr_flat_scratch_init 0
		.amdhsa_user_sgpr_kernarg_preload_length 0
		.amdhsa_user_sgpr_kernarg_preload_offset 0
		.amdhsa_user_sgpr_private_segment_size 0
		.amdhsa_uses_dynamic_stack 0
		.amdhsa_system_sgpr_private_segment_wavefront_offset 0
		.amdhsa_system_sgpr_workgroup_id_x 1
		.amdhsa_system_sgpr_workgroup_id_y 0
		.amdhsa_system_sgpr_workgroup_id_z 0
		.amdhsa_system_sgpr_workgroup_info 0
		.amdhsa_system_vgpr_workitem_id 0
		.amdhsa_next_free_vgpr 1
		.amdhsa_next_free_sgpr 0
		.amdhsa_accum_offset 4
		.amdhsa_reserve_vcc 0
		.amdhsa_reserve_flat_scratch 0
		.amdhsa_float_round_mode_32 0
		.amdhsa_float_round_mode_16_64 0
		.amdhsa_float_denorm_mode_32 3
		.amdhsa_float_denorm_mode_16_64 3
		.amdhsa_dx10_clamp 1
		.amdhsa_ieee_mode 1
		.amdhsa_fp16_overflow 0
		.amdhsa_tg_split 0
		.amdhsa_exception_fp_ieee_invalid_op 0
		.amdhsa_exception_fp_denorm_src 0
		.amdhsa_exception_fp_ieee_div_zero 0
		.amdhsa_exception_fp_ieee_overflow 0
		.amdhsa_exception_fp_ieee_underflow 0
		.amdhsa_exception_fp_ieee_inexact 0
		.amdhsa_exception_int_div_zero 0
	.end_amdhsa_kernel
	.section	.text._ZN7rocprim17ROCPRIM_400000_NS6detail17trampoline_kernelINS0_14default_configENS1_20scan_config_selectorIxEEZZNS1_9scan_implILNS1_25lookback_scan_determinismE0ELb1ELb1ES3_N6thrust23THRUST_200600_302600_NS6detail15normal_iteratorINS9_10device_ptrIxEEEENS9_16discard_iteratorINS9_11use_defaultEEExNS9_4plusIvEExEEDaPvRmT3_T4_T5_mT6_P12ihipStream_tbENKUlT_T0_E_clISt17integral_constantIbLb0EESW_IbLb1EEEEDaSS_ST_EUlSS_E_NS1_11comp_targetILNS1_3genE0ELNS1_11target_archE4294967295ELNS1_3gpuE0ELNS1_3repE0EEENS1_30default_config_static_selectorELNS0_4arch9wavefront6targetE1EEEvT1_,"axG",@progbits,_ZN7rocprim17ROCPRIM_400000_NS6detail17trampoline_kernelINS0_14default_configENS1_20scan_config_selectorIxEEZZNS1_9scan_implILNS1_25lookback_scan_determinismE0ELb1ELb1ES3_N6thrust23THRUST_200600_302600_NS6detail15normal_iteratorINS9_10device_ptrIxEEEENS9_16discard_iteratorINS9_11use_defaultEEExNS9_4plusIvEExEEDaPvRmT3_T4_T5_mT6_P12ihipStream_tbENKUlT_T0_E_clISt17integral_constantIbLb0EESW_IbLb1EEEEDaSS_ST_EUlSS_E_NS1_11comp_targetILNS1_3genE0ELNS1_11target_archE4294967295ELNS1_3gpuE0ELNS1_3repE0EEENS1_30default_config_static_selectorELNS0_4arch9wavefront6targetE1EEEvT1_,comdat
.Lfunc_end5708:
	.size	_ZN7rocprim17ROCPRIM_400000_NS6detail17trampoline_kernelINS0_14default_configENS1_20scan_config_selectorIxEEZZNS1_9scan_implILNS1_25lookback_scan_determinismE0ELb1ELb1ES3_N6thrust23THRUST_200600_302600_NS6detail15normal_iteratorINS9_10device_ptrIxEEEENS9_16discard_iteratorINS9_11use_defaultEEExNS9_4plusIvEExEEDaPvRmT3_T4_T5_mT6_P12ihipStream_tbENKUlT_T0_E_clISt17integral_constantIbLb0EESW_IbLb1EEEEDaSS_ST_EUlSS_E_NS1_11comp_targetILNS1_3genE0ELNS1_11target_archE4294967295ELNS1_3gpuE0ELNS1_3repE0EEENS1_30default_config_static_selectorELNS0_4arch9wavefront6targetE1EEEvT1_, .Lfunc_end5708-_ZN7rocprim17ROCPRIM_400000_NS6detail17trampoline_kernelINS0_14default_configENS1_20scan_config_selectorIxEEZZNS1_9scan_implILNS1_25lookback_scan_determinismE0ELb1ELb1ES3_N6thrust23THRUST_200600_302600_NS6detail15normal_iteratorINS9_10device_ptrIxEEEENS9_16discard_iteratorINS9_11use_defaultEEExNS9_4plusIvEExEEDaPvRmT3_T4_T5_mT6_P12ihipStream_tbENKUlT_T0_E_clISt17integral_constantIbLb0EESW_IbLb1EEEEDaSS_ST_EUlSS_E_NS1_11comp_targetILNS1_3genE0ELNS1_11target_archE4294967295ELNS1_3gpuE0ELNS1_3repE0EEENS1_30default_config_static_selectorELNS0_4arch9wavefront6targetE1EEEvT1_
                                        ; -- End function
	.section	.AMDGPU.csdata,"",@progbits
; Kernel info:
; codeLenInByte = 0
; NumSgprs: 4
; NumVgprs: 0
; NumAgprs: 0
; TotalNumVgprs: 0
; ScratchSize: 0
; MemoryBound: 0
; FloatMode: 240
; IeeeMode: 1
; LDSByteSize: 0 bytes/workgroup (compile time only)
; SGPRBlocks: 0
; VGPRBlocks: 0
; NumSGPRsForWavesPerEU: 4
; NumVGPRsForWavesPerEU: 1
; AccumOffset: 4
; Occupancy: 8
; WaveLimiterHint : 0
; COMPUTE_PGM_RSRC2:SCRATCH_EN: 0
; COMPUTE_PGM_RSRC2:USER_SGPR: 6
; COMPUTE_PGM_RSRC2:TRAP_HANDLER: 0
; COMPUTE_PGM_RSRC2:TGID_X_EN: 1
; COMPUTE_PGM_RSRC2:TGID_Y_EN: 0
; COMPUTE_PGM_RSRC2:TGID_Z_EN: 0
; COMPUTE_PGM_RSRC2:TIDIG_COMP_CNT: 0
; COMPUTE_PGM_RSRC3_GFX90A:ACCUM_OFFSET: 0
; COMPUTE_PGM_RSRC3_GFX90A:TG_SPLIT: 0
	.section	.text._ZN7rocprim17ROCPRIM_400000_NS6detail17trampoline_kernelINS0_14default_configENS1_20scan_config_selectorIxEEZZNS1_9scan_implILNS1_25lookback_scan_determinismE0ELb1ELb1ES3_N6thrust23THRUST_200600_302600_NS6detail15normal_iteratorINS9_10device_ptrIxEEEENS9_16discard_iteratorINS9_11use_defaultEEExNS9_4plusIvEExEEDaPvRmT3_T4_T5_mT6_P12ihipStream_tbENKUlT_T0_E_clISt17integral_constantIbLb0EESW_IbLb1EEEEDaSS_ST_EUlSS_E_NS1_11comp_targetILNS1_3genE5ELNS1_11target_archE942ELNS1_3gpuE9ELNS1_3repE0EEENS1_30default_config_static_selectorELNS0_4arch9wavefront6targetE1EEEvT1_,"axG",@progbits,_ZN7rocprim17ROCPRIM_400000_NS6detail17trampoline_kernelINS0_14default_configENS1_20scan_config_selectorIxEEZZNS1_9scan_implILNS1_25lookback_scan_determinismE0ELb1ELb1ES3_N6thrust23THRUST_200600_302600_NS6detail15normal_iteratorINS9_10device_ptrIxEEEENS9_16discard_iteratorINS9_11use_defaultEEExNS9_4plusIvEExEEDaPvRmT3_T4_T5_mT6_P12ihipStream_tbENKUlT_T0_E_clISt17integral_constantIbLb0EESW_IbLb1EEEEDaSS_ST_EUlSS_E_NS1_11comp_targetILNS1_3genE5ELNS1_11target_archE942ELNS1_3gpuE9ELNS1_3repE0EEENS1_30default_config_static_selectorELNS0_4arch9wavefront6targetE1EEEvT1_,comdat
	.protected	_ZN7rocprim17ROCPRIM_400000_NS6detail17trampoline_kernelINS0_14default_configENS1_20scan_config_selectorIxEEZZNS1_9scan_implILNS1_25lookback_scan_determinismE0ELb1ELb1ES3_N6thrust23THRUST_200600_302600_NS6detail15normal_iteratorINS9_10device_ptrIxEEEENS9_16discard_iteratorINS9_11use_defaultEEExNS9_4plusIvEExEEDaPvRmT3_T4_T5_mT6_P12ihipStream_tbENKUlT_T0_E_clISt17integral_constantIbLb0EESW_IbLb1EEEEDaSS_ST_EUlSS_E_NS1_11comp_targetILNS1_3genE5ELNS1_11target_archE942ELNS1_3gpuE9ELNS1_3repE0EEENS1_30default_config_static_selectorELNS0_4arch9wavefront6targetE1EEEvT1_ ; -- Begin function _ZN7rocprim17ROCPRIM_400000_NS6detail17trampoline_kernelINS0_14default_configENS1_20scan_config_selectorIxEEZZNS1_9scan_implILNS1_25lookback_scan_determinismE0ELb1ELb1ES3_N6thrust23THRUST_200600_302600_NS6detail15normal_iteratorINS9_10device_ptrIxEEEENS9_16discard_iteratorINS9_11use_defaultEEExNS9_4plusIvEExEEDaPvRmT3_T4_T5_mT6_P12ihipStream_tbENKUlT_T0_E_clISt17integral_constantIbLb0EESW_IbLb1EEEEDaSS_ST_EUlSS_E_NS1_11comp_targetILNS1_3genE5ELNS1_11target_archE942ELNS1_3gpuE9ELNS1_3repE0EEENS1_30default_config_static_selectorELNS0_4arch9wavefront6targetE1EEEvT1_
	.globl	_ZN7rocprim17ROCPRIM_400000_NS6detail17trampoline_kernelINS0_14default_configENS1_20scan_config_selectorIxEEZZNS1_9scan_implILNS1_25lookback_scan_determinismE0ELb1ELb1ES3_N6thrust23THRUST_200600_302600_NS6detail15normal_iteratorINS9_10device_ptrIxEEEENS9_16discard_iteratorINS9_11use_defaultEEExNS9_4plusIvEExEEDaPvRmT3_T4_T5_mT6_P12ihipStream_tbENKUlT_T0_E_clISt17integral_constantIbLb0EESW_IbLb1EEEEDaSS_ST_EUlSS_E_NS1_11comp_targetILNS1_3genE5ELNS1_11target_archE942ELNS1_3gpuE9ELNS1_3repE0EEENS1_30default_config_static_selectorELNS0_4arch9wavefront6targetE1EEEvT1_
	.p2align	8
	.type	_ZN7rocprim17ROCPRIM_400000_NS6detail17trampoline_kernelINS0_14default_configENS1_20scan_config_selectorIxEEZZNS1_9scan_implILNS1_25lookback_scan_determinismE0ELb1ELb1ES3_N6thrust23THRUST_200600_302600_NS6detail15normal_iteratorINS9_10device_ptrIxEEEENS9_16discard_iteratorINS9_11use_defaultEEExNS9_4plusIvEExEEDaPvRmT3_T4_T5_mT6_P12ihipStream_tbENKUlT_T0_E_clISt17integral_constantIbLb0EESW_IbLb1EEEEDaSS_ST_EUlSS_E_NS1_11comp_targetILNS1_3genE5ELNS1_11target_archE942ELNS1_3gpuE9ELNS1_3repE0EEENS1_30default_config_static_selectorELNS0_4arch9wavefront6targetE1EEEvT1_,@function
_ZN7rocprim17ROCPRIM_400000_NS6detail17trampoline_kernelINS0_14default_configENS1_20scan_config_selectorIxEEZZNS1_9scan_implILNS1_25lookback_scan_determinismE0ELb1ELb1ES3_N6thrust23THRUST_200600_302600_NS6detail15normal_iteratorINS9_10device_ptrIxEEEENS9_16discard_iteratorINS9_11use_defaultEEExNS9_4plusIvEExEEDaPvRmT3_T4_T5_mT6_P12ihipStream_tbENKUlT_T0_E_clISt17integral_constantIbLb0EESW_IbLb1EEEEDaSS_ST_EUlSS_E_NS1_11comp_targetILNS1_3genE5ELNS1_11target_archE942ELNS1_3gpuE9ELNS1_3repE0EEENS1_30default_config_static_selectorELNS0_4arch9wavefront6targetE1EEEvT1_: ; @_ZN7rocprim17ROCPRIM_400000_NS6detail17trampoline_kernelINS0_14default_configENS1_20scan_config_selectorIxEEZZNS1_9scan_implILNS1_25lookback_scan_determinismE0ELb1ELb1ES3_N6thrust23THRUST_200600_302600_NS6detail15normal_iteratorINS9_10device_ptrIxEEEENS9_16discard_iteratorINS9_11use_defaultEEExNS9_4plusIvEExEEDaPvRmT3_T4_T5_mT6_P12ihipStream_tbENKUlT_T0_E_clISt17integral_constantIbLb0EESW_IbLb1EEEEDaSS_ST_EUlSS_E_NS1_11comp_targetILNS1_3genE5ELNS1_11target_archE942ELNS1_3gpuE9ELNS1_3repE0EEENS1_30default_config_static_selectorELNS0_4arch9wavefront6targetE1EEEvT1_
; %bb.0:
	.section	.rodata,"a",@progbits
	.p2align	6, 0x0
	.amdhsa_kernel _ZN7rocprim17ROCPRIM_400000_NS6detail17trampoline_kernelINS0_14default_configENS1_20scan_config_selectorIxEEZZNS1_9scan_implILNS1_25lookback_scan_determinismE0ELb1ELb1ES3_N6thrust23THRUST_200600_302600_NS6detail15normal_iteratorINS9_10device_ptrIxEEEENS9_16discard_iteratorINS9_11use_defaultEEExNS9_4plusIvEExEEDaPvRmT3_T4_T5_mT6_P12ihipStream_tbENKUlT_T0_E_clISt17integral_constantIbLb0EESW_IbLb1EEEEDaSS_ST_EUlSS_E_NS1_11comp_targetILNS1_3genE5ELNS1_11target_archE942ELNS1_3gpuE9ELNS1_3repE0EEENS1_30default_config_static_selectorELNS0_4arch9wavefront6targetE1EEEvT1_
		.amdhsa_group_segment_fixed_size 0
		.amdhsa_private_segment_fixed_size 0
		.amdhsa_kernarg_size 112
		.amdhsa_user_sgpr_count 6
		.amdhsa_user_sgpr_private_segment_buffer 1
		.amdhsa_user_sgpr_dispatch_ptr 0
		.amdhsa_user_sgpr_queue_ptr 0
		.amdhsa_user_sgpr_kernarg_segment_ptr 1
		.amdhsa_user_sgpr_dispatch_id 0
		.amdhsa_user_sgpr_flat_scratch_init 0
		.amdhsa_user_sgpr_kernarg_preload_length 0
		.amdhsa_user_sgpr_kernarg_preload_offset 0
		.amdhsa_user_sgpr_private_segment_size 0
		.amdhsa_uses_dynamic_stack 0
		.amdhsa_system_sgpr_private_segment_wavefront_offset 0
		.amdhsa_system_sgpr_workgroup_id_x 1
		.amdhsa_system_sgpr_workgroup_id_y 0
		.amdhsa_system_sgpr_workgroup_id_z 0
		.amdhsa_system_sgpr_workgroup_info 0
		.amdhsa_system_vgpr_workitem_id 0
		.amdhsa_next_free_vgpr 1
		.amdhsa_next_free_sgpr 0
		.amdhsa_accum_offset 4
		.amdhsa_reserve_vcc 0
		.amdhsa_reserve_flat_scratch 0
		.amdhsa_float_round_mode_32 0
		.amdhsa_float_round_mode_16_64 0
		.amdhsa_float_denorm_mode_32 3
		.amdhsa_float_denorm_mode_16_64 3
		.amdhsa_dx10_clamp 1
		.amdhsa_ieee_mode 1
		.amdhsa_fp16_overflow 0
		.amdhsa_tg_split 0
		.amdhsa_exception_fp_ieee_invalid_op 0
		.amdhsa_exception_fp_denorm_src 0
		.amdhsa_exception_fp_ieee_div_zero 0
		.amdhsa_exception_fp_ieee_overflow 0
		.amdhsa_exception_fp_ieee_underflow 0
		.amdhsa_exception_fp_ieee_inexact 0
		.amdhsa_exception_int_div_zero 0
	.end_amdhsa_kernel
	.section	.text._ZN7rocprim17ROCPRIM_400000_NS6detail17trampoline_kernelINS0_14default_configENS1_20scan_config_selectorIxEEZZNS1_9scan_implILNS1_25lookback_scan_determinismE0ELb1ELb1ES3_N6thrust23THRUST_200600_302600_NS6detail15normal_iteratorINS9_10device_ptrIxEEEENS9_16discard_iteratorINS9_11use_defaultEEExNS9_4plusIvEExEEDaPvRmT3_T4_T5_mT6_P12ihipStream_tbENKUlT_T0_E_clISt17integral_constantIbLb0EESW_IbLb1EEEEDaSS_ST_EUlSS_E_NS1_11comp_targetILNS1_3genE5ELNS1_11target_archE942ELNS1_3gpuE9ELNS1_3repE0EEENS1_30default_config_static_selectorELNS0_4arch9wavefront6targetE1EEEvT1_,"axG",@progbits,_ZN7rocprim17ROCPRIM_400000_NS6detail17trampoline_kernelINS0_14default_configENS1_20scan_config_selectorIxEEZZNS1_9scan_implILNS1_25lookback_scan_determinismE0ELb1ELb1ES3_N6thrust23THRUST_200600_302600_NS6detail15normal_iteratorINS9_10device_ptrIxEEEENS9_16discard_iteratorINS9_11use_defaultEEExNS9_4plusIvEExEEDaPvRmT3_T4_T5_mT6_P12ihipStream_tbENKUlT_T0_E_clISt17integral_constantIbLb0EESW_IbLb1EEEEDaSS_ST_EUlSS_E_NS1_11comp_targetILNS1_3genE5ELNS1_11target_archE942ELNS1_3gpuE9ELNS1_3repE0EEENS1_30default_config_static_selectorELNS0_4arch9wavefront6targetE1EEEvT1_,comdat
.Lfunc_end5709:
	.size	_ZN7rocprim17ROCPRIM_400000_NS6detail17trampoline_kernelINS0_14default_configENS1_20scan_config_selectorIxEEZZNS1_9scan_implILNS1_25lookback_scan_determinismE0ELb1ELb1ES3_N6thrust23THRUST_200600_302600_NS6detail15normal_iteratorINS9_10device_ptrIxEEEENS9_16discard_iteratorINS9_11use_defaultEEExNS9_4plusIvEExEEDaPvRmT3_T4_T5_mT6_P12ihipStream_tbENKUlT_T0_E_clISt17integral_constantIbLb0EESW_IbLb1EEEEDaSS_ST_EUlSS_E_NS1_11comp_targetILNS1_3genE5ELNS1_11target_archE942ELNS1_3gpuE9ELNS1_3repE0EEENS1_30default_config_static_selectorELNS0_4arch9wavefront6targetE1EEEvT1_, .Lfunc_end5709-_ZN7rocprim17ROCPRIM_400000_NS6detail17trampoline_kernelINS0_14default_configENS1_20scan_config_selectorIxEEZZNS1_9scan_implILNS1_25lookback_scan_determinismE0ELb1ELb1ES3_N6thrust23THRUST_200600_302600_NS6detail15normal_iteratorINS9_10device_ptrIxEEEENS9_16discard_iteratorINS9_11use_defaultEEExNS9_4plusIvEExEEDaPvRmT3_T4_T5_mT6_P12ihipStream_tbENKUlT_T0_E_clISt17integral_constantIbLb0EESW_IbLb1EEEEDaSS_ST_EUlSS_E_NS1_11comp_targetILNS1_3genE5ELNS1_11target_archE942ELNS1_3gpuE9ELNS1_3repE0EEENS1_30default_config_static_selectorELNS0_4arch9wavefront6targetE1EEEvT1_
                                        ; -- End function
	.section	.AMDGPU.csdata,"",@progbits
; Kernel info:
; codeLenInByte = 0
; NumSgprs: 4
; NumVgprs: 0
; NumAgprs: 0
; TotalNumVgprs: 0
; ScratchSize: 0
; MemoryBound: 0
; FloatMode: 240
; IeeeMode: 1
; LDSByteSize: 0 bytes/workgroup (compile time only)
; SGPRBlocks: 0
; VGPRBlocks: 0
; NumSGPRsForWavesPerEU: 4
; NumVGPRsForWavesPerEU: 1
; AccumOffset: 4
; Occupancy: 8
; WaveLimiterHint : 0
; COMPUTE_PGM_RSRC2:SCRATCH_EN: 0
; COMPUTE_PGM_RSRC2:USER_SGPR: 6
; COMPUTE_PGM_RSRC2:TRAP_HANDLER: 0
; COMPUTE_PGM_RSRC2:TGID_X_EN: 1
; COMPUTE_PGM_RSRC2:TGID_Y_EN: 0
; COMPUTE_PGM_RSRC2:TGID_Z_EN: 0
; COMPUTE_PGM_RSRC2:TIDIG_COMP_CNT: 0
; COMPUTE_PGM_RSRC3_GFX90A:ACCUM_OFFSET: 0
; COMPUTE_PGM_RSRC3_GFX90A:TG_SPLIT: 0
	.section	.text._ZN7rocprim17ROCPRIM_400000_NS6detail17trampoline_kernelINS0_14default_configENS1_20scan_config_selectorIxEEZZNS1_9scan_implILNS1_25lookback_scan_determinismE0ELb1ELb1ES3_N6thrust23THRUST_200600_302600_NS6detail15normal_iteratorINS9_10device_ptrIxEEEENS9_16discard_iteratorINS9_11use_defaultEEExNS9_4plusIvEExEEDaPvRmT3_T4_T5_mT6_P12ihipStream_tbENKUlT_T0_E_clISt17integral_constantIbLb0EESW_IbLb1EEEEDaSS_ST_EUlSS_E_NS1_11comp_targetILNS1_3genE4ELNS1_11target_archE910ELNS1_3gpuE8ELNS1_3repE0EEENS1_30default_config_static_selectorELNS0_4arch9wavefront6targetE1EEEvT1_,"axG",@progbits,_ZN7rocprim17ROCPRIM_400000_NS6detail17trampoline_kernelINS0_14default_configENS1_20scan_config_selectorIxEEZZNS1_9scan_implILNS1_25lookback_scan_determinismE0ELb1ELb1ES3_N6thrust23THRUST_200600_302600_NS6detail15normal_iteratorINS9_10device_ptrIxEEEENS9_16discard_iteratorINS9_11use_defaultEEExNS9_4plusIvEExEEDaPvRmT3_T4_T5_mT6_P12ihipStream_tbENKUlT_T0_E_clISt17integral_constantIbLb0EESW_IbLb1EEEEDaSS_ST_EUlSS_E_NS1_11comp_targetILNS1_3genE4ELNS1_11target_archE910ELNS1_3gpuE8ELNS1_3repE0EEENS1_30default_config_static_selectorELNS0_4arch9wavefront6targetE1EEEvT1_,comdat
	.protected	_ZN7rocprim17ROCPRIM_400000_NS6detail17trampoline_kernelINS0_14default_configENS1_20scan_config_selectorIxEEZZNS1_9scan_implILNS1_25lookback_scan_determinismE0ELb1ELb1ES3_N6thrust23THRUST_200600_302600_NS6detail15normal_iteratorINS9_10device_ptrIxEEEENS9_16discard_iteratorINS9_11use_defaultEEExNS9_4plusIvEExEEDaPvRmT3_T4_T5_mT6_P12ihipStream_tbENKUlT_T0_E_clISt17integral_constantIbLb0EESW_IbLb1EEEEDaSS_ST_EUlSS_E_NS1_11comp_targetILNS1_3genE4ELNS1_11target_archE910ELNS1_3gpuE8ELNS1_3repE0EEENS1_30default_config_static_selectorELNS0_4arch9wavefront6targetE1EEEvT1_ ; -- Begin function _ZN7rocprim17ROCPRIM_400000_NS6detail17trampoline_kernelINS0_14default_configENS1_20scan_config_selectorIxEEZZNS1_9scan_implILNS1_25lookback_scan_determinismE0ELb1ELb1ES3_N6thrust23THRUST_200600_302600_NS6detail15normal_iteratorINS9_10device_ptrIxEEEENS9_16discard_iteratorINS9_11use_defaultEEExNS9_4plusIvEExEEDaPvRmT3_T4_T5_mT6_P12ihipStream_tbENKUlT_T0_E_clISt17integral_constantIbLb0EESW_IbLb1EEEEDaSS_ST_EUlSS_E_NS1_11comp_targetILNS1_3genE4ELNS1_11target_archE910ELNS1_3gpuE8ELNS1_3repE0EEENS1_30default_config_static_selectorELNS0_4arch9wavefront6targetE1EEEvT1_
	.globl	_ZN7rocprim17ROCPRIM_400000_NS6detail17trampoline_kernelINS0_14default_configENS1_20scan_config_selectorIxEEZZNS1_9scan_implILNS1_25lookback_scan_determinismE0ELb1ELb1ES3_N6thrust23THRUST_200600_302600_NS6detail15normal_iteratorINS9_10device_ptrIxEEEENS9_16discard_iteratorINS9_11use_defaultEEExNS9_4plusIvEExEEDaPvRmT3_T4_T5_mT6_P12ihipStream_tbENKUlT_T0_E_clISt17integral_constantIbLb0EESW_IbLb1EEEEDaSS_ST_EUlSS_E_NS1_11comp_targetILNS1_3genE4ELNS1_11target_archE910ELNS1_3gpuE8ELNS1_3repE0EEENS1_30default_config_static_selectorELNS0_4arch9wavefront6targetE1EEEvT1_
	.p2align	8
	.type	_ZN7rocprim17ROCPRIM_400000_NS6detail17trampoline_kernelINS0_14default_configENS1_20scan_config_selectorIxEEZZNS1_9scan_implILNS1_25lookback_scan_determinismE0ELb1ELb1ES3_N6thrust23THRUST_200600_302600_NS6detail15normal_iteratorINS9_10device_ptrIxEEEENS9_16discard_iteratorINS9_11use_defaultEEExNS9_4plusIvEExEEDaPvRmT3_T4_T5_mT6_P12ihipStream_tbENKUlT_T0_E_clISt17integral_constantIbLb0EESW_IbLb1EEEEDaSS_ST_EUlSS_E_NS1_11comp_targetILNS1_3genE4ELNS1_11target_archE910ELNS1_3gpuE8ELNS1_3repE0EEENS1_30default_config_static_selectorELNS0_4arch9wavefront6targetE1EEEvT1_,@function
_ZN7rocprim17ROCPRIM_400000_NS6detail17trampoline_kernelINS0_14default_configENS1_20scan_config_selectorIxEEZZNS1_9scan_implILNS1_25lookback_scan_determinismE0ELb1ELb1ES3_N6thrust23THRUST_200600_302600_NS6detail15normal_iteratorINS9_10device_ptrIxEEEENS9_16discard_iteratorINS9_11use_defaultEEExNS9_4plusIvEExEEDaPvRmT3_T4_T5_mT6_P12ihipStream_tbENKUlT_T0_E_clISt17integral_constantIbLb0EESW_IbLb1EEEEDaSS_ST_EUlSS_E_NS1_11comp_targetILNS1_3genE4ELNS1_11target_archE910ELNS1_3gpuE8ELNS1_3repE0EEENS1_30default_config_static_selectorELNS0_4arch9wavefront6targetE1EEEvT1_: ; @_ZN7rocprim17ROCPRIM_400000_NS6detail17trampoline_kernelINS0_14default_configENS1_20scan_config_selectorIxEEZZNS1_9scan_implILNS1_25lookback_scan_determinismE0ELb1ELb1ES3_N6thrust23THRUST_200600_302600_NS6detail15normal_iteratorINS9_10device_ptrIxEEEENS9_16discard_iteratorINS9_11use_defaultEEExNS9_4plusIvEExEEDaPvRmT3_T4_T5_mT6_P12ihipStream_tbENKUlT_T0_E_clISt17integral_constantIbLb0EESW_IbLb1EEEEDaSS_ST_EUlSS_E_NS1_11comp_targetILNS1_3genE4ELNS1_11target_archE910ELNS1_3gpuE8ELNS1_3repE0EEENS1_30default_config_static_selectorELNS0_4arch9wavefront6targetE1EEEvT1_
; %bb.0:
	s_load_dwordx2 s[24:25], s[4:5], 0x38
	v_cmp_ne_u32_e64 s[2:3], 0, v0
	v_cmp_eq_u32_e64 s[0:1], 0, v0
	s_and_saveexec_b64 s[6:7], s[0:1]
	s_cbranch_execz .LBB5710_4
; %bb.1:
	s_mov_b64 s[10:11], exec
	v_mbcnt_lo_u32_b32 v1, s10, 0
	v_mbcnt_hi_u32_b32 v1, s11, v1
	v_cmp_eq_u32_e32 vcc, 0, v1
                                        ; implicit-def: $vgpr2
	s_and_saveexec_b64 s[8:9], vcc
	s_cbranch_execz .LBB5710_3
; %bb.2:
	s_load_dwordx2 s[12:13], s[4:5], 0x68
	s_bcnt1_i32_b64 s10, s[10:11]
	v_mov_b32_e32 v2, 0
	v_mov_b32_e32 v3, s10
	s_waitcnt lgkmcnt(0)
	global_atomic_add v2, v2, v3, s[12:13] glc
.LBB5710_3:
	s_or_b64 exec, exec, s[8:9]
	s_waitcnt vmcnt(0)
	v_readfirstlane_b32 s8, v2
	v_add_u32_e32 v1, s8, v1
	v_mov_b32_e32 v2, 0
	ds_write_b32 v2, v1
.LBB5710_4:
	s_or_b64 exec, exec, s[6:7]
	v_mov_b32_e32 v3, 0
	s_load_dwordx4 s[20:23], s[4:5], 0x0
	s_load_dwordx4 s[8:11], s[4:5], 0x20
	s_load_dword s6, s[4:5], 0x40
	s_load_dwordx8 s[12:19], s[4:5], 0x48
	s_waitcnt lgkmcnt(0)
	s_barrier
	ds_read_b32 v1, v3
	s_lshl_b64 s[4:5], s[22:23], 3
	s_add_u32 s28, s20, s4
	s_movk_i32 s4, 0x380
	s_addc_u32 s29, s21, s5
	s_waitcnt lgkmcnt(0)
	v_mul_lo_u32 v2, v1, s4
	s_add_i32 s4, s6, -1
	s_mul_i32 s5, s4, 0x380
	s_sub_u32 s26, s8, s5
	v_readfirstlane_b32 s30, v1
	s_subb_u32 s27, s9, 0
	v_lshlrev_b64 v[2:3], 3, v[2:3]
	s_cmp_lg_u32 s30, s4
	v_mov_b32_e32 v1, s29
	v_add_co_u32_e32 v20, vcc, s28, v2
	s_cselect_b64 s[20:21], -1, 0
	v_addc_co_u32_e32 v21, vcc, v1, v3, vcc
	s_mov_b64 s[4:5], -1
	s_and_b64 vcc, exec, s[20:21]
	v_lshlrev_b32_e32 v1, 3, v0
	s_barrier
	s_cbranch_vccz .LBB5710_6
; %bb.5:
	v_add_co_u32_e32 v2, vcc, v20, v1
	v_addc_co_u32_e32 v3, vcc, 0, v21, vcc
	flat_load_dwordx2 v[4:5], v[2:3]
	flat_load_dwordx2 v[6:7], v[2:3] offset:1024
	flat_load_dwordx2 v[8:9], v[2:3] offset:2048
	;; [unrolled: 1-line block ×3, first 2 shown]
	v_add_co_u32_e32 v2, vcc, 0x1000, v2
	v_addc_co_u32_e32 v3, vcc, 0, v3, vcc
	flat_load_dwordx2 v[12:13], v[2:3]
	flat_load_dwordx2 v[14:15], v[2:3] offset:1024
	flat_load_dwordx2 v[16:17], v[2:3] offset:2048
	s_mov_b64 s[4:5], 0
	s_waitcnt vmcnt(0) lgkmcnt(0)
	ds_write2st64_b64 v1, v[4:5], v[6:7] offset1:2
	ds_write2st64_b64 v1, v[8:9], v[10:11] offset0:4 offset1:6
	ds_write2st64_b64 v1, v[12:13], v[14:15] offset0:8 offset1:10
	ds_write_b64 v1, v[16:17] offset:6144
	s_waitcnt lgkmcnt(0)
	s_barrier
.LBB5710_6:
	s_andn2_b64 vcc, exec, s[4:5]
	s_cbranch_vccnz .LBB5710_22
; %bb.7:
	flat_load_dwordx2 v[2:3], v[20:21]
	v_cmp_gt_u32_e32 vcc, s26, v0
	s_waitcnt vmcnt(0) lgkmcnt(0)
	v_mov_b32_e32 v4, v2
	v_mov_b32_e32 v5, v3
	;; [unrolled: 1-line block ×10, first 2 shown]
	v_pk_mov_b32 v[18:19], v[14:15], v[14:15] op_sel:[0,1]
	v_pk_mov_b32 v[16:17], v[12:13], v[12:13] op_sel:[0,1]
	;; [unrolled: 1-line block ×8, first 2 shown]
	s_and_saveexec_b64 s[4:5], vcc
	s_cbranch_execz .LBB5710_9
; %bb.8:
	v_add_co_u32_e32 v4, vcc, v20, v1
	v_addc_co_u32_e32 v5, vcc, 0, v21, vcc
	flat_load_dwordx2 v[22:23], v[4:5]
	v_mov_b32_e32 v4, v2
	v_mov_b32_e32 v5, v3
	;; [unrolled: 1-line block ×10, first 2 shown]
	v_pk_mov_b32 v[18:19], v[14:15], v[14:15] op_sel:[0,1]
	v_pk_mov_b32 v[16:17], v[12:13], v[12:13] op_sel:[0,1]
	;; [unrolled: 1-line block ×8, first 2 shown]
	s_waitcnt vmcnt(0) lgkmcnt(0)
	v_pk_mov_b32 v[2:3], v[22:23], v[22:23] op_sel:[0,1]
.LBB5710_9:
	s_or_b64 exec, exec, s[4:5]
	v_or_b32_e32 v4, 0x80, v0
	v_cmp_gt_u32_e32 vcc, s26, v4
	s_and_saveexec_b64 s[4:5], vcc
	s_cbranch_execz .LBB5710_11
; %bb.10:
	v_add_co_u32_e32 v4, vcc, v20, v1
	v_addc_co_u32_e32 v5, vcc, 0, v21, vcc
	flat_load_dwordx2 v[6:7], v[4:5] offset:1024
.LBB5710_11:
	s_or_b64 exec, exec, s[4:5]
	v_or_b32_e32 v4, 0x100, v0
	v_cmp_gt_u32_e32 vcc, s26, v4
	s_and_saveexec_b64 s[4:5], vcc
	s_cbranch_execz .LBB5710_13
; %bb.12:
	v_add_co_u32_e32 v4, vcc, v20, v1
	v_addc_co_u32_e32 v5, vcc, 0, v21, vcc
	flat_load_dwordx2 v[8:9], v[4:5] offset:2048
.LBB5710_13:
	;; [unrolled: 10-line block ×3, first 2 shown]
	s_or_b64 exec, exec, s[4:5]
	v_or_b32_e32 v4, 0x200, v0
	v_cmp_gt_u32_e32 vcc, s26, v4
	s_and_saveexec_b64 s[4:5], vcc
	s_cbranch_execz .LBB5710_17
; %bb.16:
	v_lshlrev_b32_e32 v4, 3, v4
	v_add_co_u32_e32 v4, vcc, v20, v4
	v_addc_co_u32_e32 v5, vcc, 0, v21, vcc
	flat_load_dwordx2 v[12:13], v[4:5]
.LBB5710_17:
	s_or_b64 exec, exec, s[4:5]
	v_or_b32_e32 v4, 0x280, v0
	v_cmp_gt_u32_e32 vcc, s26, v4
	s_and_saveexec_b64 s[4:5], vcc
	s_cbranch_execz .LBB5710_19
; %bb.18:
	v_lshlrev_b32_e32 v4, 3, v4
	v_add_co_u32_e32 v4, vcc, v20, v4
	v_addc_co_u32_e32 v5, vcc, 0, v21, vcc
	flat_load_dwordx2 v[14:15], v[4:5]
.LBB5710_19:
	;; [unrolled: 11-line block ×3, first 2 shown]
	s_or_b64 exec, exec, s[4:5]
	s_waitcnt vmcnt(0) lgkmcnt(0)
	ds_write2st64_b64 v1, v[2:3], v[6:7] offset1:2
	ds_write2st64_b64 v1, v[8:9], v[10:11] offset0:4 offset1:6
	ds_write2st64_b64 v1, v[12:13], v[14:15] offset0:8 offset1:10
	ds_write_b64 v1, v[16:17] offset:6144
	s_waitcnt lgkmcnt(0)
	s_barrier
.LBB5710_22:
	v_mul_u32_u24_e32 v36, 7, v0
	v_lshlrev_b32_e32 v1, 3, v36
	ds_read2_b64 v[10:13], v1 offset1:1
	ds_read2_b64 v[6:9], v1 offset0:2 offset1:3
	ds_read2_b64 v[2:5], v1 offset0:4 offset1:5
	ds_read_b64 v[26:27], v1 offset:48
	s_cmp_lg_u32 s30, 0
	v_lshrrev_b32_e32 v37, 5, v0
	v_cmp_gt_u32_e32 vcc, 64, v0
	s_waitcnt lgkmcnt(0)
	s_barrier
	s_cbranch_scc0 .LBB5710_49
; %bb.23:
	v_add_co_u32_e64 v1, s[4:5], v12, v10
	v_addc_co_u32_e64 v14, s[4:5], v13, v11, s[4:5]
	v_add_co_u32_e64 v1, s[4:5], v1, v6
	v_addc_co_u32_e64 v14, s[4:5], v14, v7, s[4:5]
	;; [unrolled: 2-line block ×6, first 2 shown]
	v_add_lshl_u32 v1, v37, v0, 3
	ds_write_b64 v1, v[18:19]
	s_waitcnt lgkmcnt(0)
	s_barrier
	s_and_saveexec_b64 s[8:9], vcc
	s_cbranch_execz .LBB5710_27
; %bb.24:
	v_lshlrev_b32_e32 v1, 1, v0
	v_lshrrev_b32_e32 v14, 4, v0
	v_add_lshl_u32 v20, v14, v1, 3
	ds_read2_b64 v[14:17], v20 offset1:1
	v_mbcnt_lo_u32_b32 v1, -1, 0
	s_waitcnt lgkmcnt(0)
	v_add_co_u32_e64 v21, s[4:5], v16, v14
	v_addc_co_u32_e64 v22, s[4:5], v17, v15, s[4:5]
	s_nop 0
	v_mov_b32_dpp v16, v21 row_shr:1 row_mask:0xf bank_mask:0xf
	v_add_co_u32_e64 v16, s[4:5], v21, v16
	v_addc_co_u32_e64 v24, s[4:5], 0, v22, s[4:5]
	v_mbcnt_hi_u32_b32 v17, -1, v1
	v_mov_b32_dpp v23, v22 row_shr:1 row_mask:0xf bank_mask:0xf
	v_add_co_u32_e64 v25, s[4:5], 0, v16
	v_and_b32_e32 v1, 15, v17
	v_addc_co_u32_e64 v23, s[4:5], v23, v24, s[4:5]
	v_cmp_eq_u32_e64 s[4:5], 0, v1
	v_cndmask_b32_e64 v16, v16, v21, s[4:5]
	v_cndmask_b32_e64 v23, v23, v22, s[4:5]
	v_cndmask_b32_e64 v24, v25, v21, s[4:5]
	v_mov_b32_dpp v25, v16 row_shr:2 row_mask:0xf bank_mask:0xf
	v_mov_b32_dpp v28, v23 row_shr:2 row_mask:0xf bank_mask:0xf
	v_add_co_u32_e64 v25, s[4:5], v25, v24
	v_addc_co_u32_e64 v28, s[4:5], v28, v23, s[4:5]
	v_cmp_lt_u32_e64 s[4:5], 1, v1
	v_cndmask_b32_e64 v16, v16, v25, s[4:5]
	v_cndmask_b32_e64 v23, v23, v28, s[4:5]
	v_cndmask_b32_e64 v24, v24, v25, s[4:5]
	v_mov_b32_dpp v25, v16 row_shr:4 row_mask:0xf bank_mask:0xf
	v_mov_b32_dpp v28, v23 row_shr:4 row_mask:0xf bank_mask:0xf
	v_add_co_u32_e64 v25, s[4:5], v25, v24
	v_addc_co_u32_e64 v28, s[4:5], v28, v23, s[4:5]
	v_cmp_lt_u32_e64 s[4:5], 3, v1
	;; [unrolled: 8-line block ×3, first 2 shown]
	v_cndmask_b32_e64 v29, v16, v25, s[4:5]
	v_cndmask_b32_e64 v1, v23, v28, s[4:5]
	;; [unrolled: 1-line block ×3, first 2 shown]
	v_mov_b32_dpp v23, v29 row_bcast:15 row_mask:0xf bank_mask:0xf
	v_mov_b32_dpp v24, v1 row_bcast:15 row_mask:0xf bank_mask:0xf
	v_add_co_u32_e64 v23, s[4:5], v23, v16
	v_and_b32_e32 v28, 16, v17
	v_addc_co_u32_e64 v25, s[4:5], v24, v1, s[4:5]
	v_cmp_eq_u32_e64 s[4:5], 0, v28
	v_cndmask_b32_e64 v28, v25, v1, s[4:5]
	v_cndmask_b32_e64 v24, v23, v29, s[4:5]
	v_cmp_ne_u32_e64 s[6:7], 0, v17
	v_mov_b32_dpp v28, v28 row_bcast:31 row_mask:0xf bank_mask:0xf
	v_mov_b32_dpp v24, v24 row_bcast:31 row_mask:0xf bank_mask:0xf
	s_and_saveexec_b64 s[22:23], s[6:7]
; %bb.25:
	v_cndmask_b32_e64 v1, v25, v1, s[4:5]
	v_cndmask_b32_e64 v16, v23, v16, s[4:5]
	v_cmp_lt_u32_e64 s[4:5], 31, v17
	v_cndmask_b32_e64 v21, 0, v24, s[4:5]
	v_cndmask_b32_e64 v22, 0, v28, s[4:5]
	v_add_co_u32_e64 v21, s[4:5], v21, v16
	v_addc_co_u32_e64 v22, s[4:5], v22, v1, s[4:5]
; %bb.26:
	s_or_b64 exec, exec, s[22:23]
	v_add_u32_e32 v1, -1, v17
	v_and_b32_e32 v16, 64, v17
	v_cmp_lt_i32_e64 s[4:5], v1, v16
	v_cndmask_b32_e64 v1, v1, v17, s[4:5]
	v_lshlrev_b32_e32 v1, 2, v1
	ds_bpermute_b32 v16, v1, v21
	ds_bpermute_b32 v1, v1, v22
	; wave barrier
	s_waitcnt lgkmcnt(1)
	v_add_co_u32_e64 v14, s[4:5], v14, v16
	v_addc_co_u32_e64 v15, s[4:5], 0, v15, s[4:5]
	v_add_co_u32_e64 v14, s[4:5], 0, v14
	s_waitcnt lgkmcnt(0)
	v_addc_co_u32_e64 v1, s[4:5], v15, v1, s[4:5]
	v_cndmask_b32_e64 v15, v1, v19, s[0:1]
	v_cndmask_b32_e64 v14, v14, v18, s[0:1]
	ds_write_b64 v20, v[14:15]
	; wave barrier
	ds_read_b64 v[16:17], v20 offset:8
	s_waitcnt lgkmcnt(0)
	v_add_co_u32_e64 v14, s[4:5], v16, v14
	v_addc_co_u32_e64 v15, s[4:5], v17, v15, s[4:5]
	ds_write_b64 v20, v[14:15] offset:8
.LBB5710_27:
	s_or_b64 exec, exec, s[8:9]
	v_pk_mov_b32 v[22:23], 0, 0
	s_waitcnt lgkmcnt(0)
	s_barrier
	s_and_saveexec_b64 s[4:5], s[2:3]
	s_cbranch_execz .LBB5710_29
; %bb.28:
	v_add_u32_e32 v1, -1, v0
	v_lshrrev_b32_e32 v14, 5, v1
	v_add_lshl_u32 v1, v14, v1, 3
	ds_read_b64 v[22:23], v1
.LBB5710_29:
	s_or_b64 exec, exec, s[4:5]
	s_and_saveexec_b64 s[22:23], vcc
	s_cbranch_execz .LBB5710_48
; %bb.30:
	v_mov_b32_e32 v17, 0
	ds_read_b64 v[14:15], v17 offset:1040
	v_mbcnt_lo_u32_b32 v1, -1, 0
	v_mbcnt_hi_u32_b32 v30, -1, v1
	s_mov_b32 s9, 0
	v_cmp_eq_u32_e64 s[4:5], 0, v30
	s_and_saveexec_b64 s[6:7], s[4:5]
	s_cbranch_execz .LBB5710_32
; %bb.31:
	s_add_i32 s8, s30, 64
	s_lshl_b64 s[8:9], s[8:9], 4
	s_add_u32 s8, s24, s8
	s_addc_u32 s9, s25, s9
	v_mov_b32_e32 v16, 1
	v_pk_mov_b32 v[18:19], s[8:9], s[8:9] op_sel:[0,1]
	s_waitcnt lgkmcnt(0)
	;;#ASMSTART
	global_store_dwordx4 v[18:19], v[14:17] off	
s_waitcnt vmcnt(0)
	;;#ASMEND
.LBB5710_32:
	s_or_b64 exec, exec, s[6:7]
	v_xad_u32 v24, v30, -1, s30
	v_add_u32_e32 v16, 64, v24
	v_lshlrev_b64 v[18:19], 4, v[16:17]
	v_mov_b32_e32 v1, s25
	v_add_co_u32_e32 v28, vcc, s24, v18
	v_addc_co_u32_e32 v29, vcc, v1, v19, vcc
	;;#ASMSTART
	global_load_dwordx4 v[18:21], v[28:29] off glc	
s_waitcnt vmcnt(0)
	;;#ASMEND
	v_and_b32_e32 v1, 0xff, v19
	v_and_b32_e32 v16, 0xff00, v19
	v_or3_b32 v1, 0, v1, v16
	v_or3_b32 v16, v18, 0, 0
	v_and_b32_e32 v18, 0xff000000, v19
	v_and_b32_e32 v19, 0xff0000, v19
	v_or3_b32 v19, v1, v19, v18
	v_or3_b32 v18, v16, 0, 0
	v_cmp_eq_u16_sdwa s[8:9], v20, v17 src0_sel:BYTE_0 src1_sel:DWORD
	s_and_saveexec_b64 s[6:7], s[8:9]
	s_cbranch_execz .LBB5710_36
; %bb.33:
	s_mov_b64 s[8:9], 0
	v_mov_b32_e32 v1, 0
.LBB5710_34:                            ; =>This Inner Loop Header: Depth=1
	;;#ASMSTART
	global_load_dwordx4 v[18:21], v[28:29] off glc	
s_waitcnt vmcnt(0)
	;;#ASMEND
	v_cmp_ne_u16_sdwa s[34:35], v20, v1 src0_sel:BYTE_0 src1_sel:DWORD
	s_or_b64 s[8:9], s[34:35], s[8:9]
	s_andn2_b64 exec, exec, s[8:9]
	s_cbranch_execnz .LBB5710_34
; %bb.35:
	s_or_b64 exec, exec, s[8:9]
.LBB5710_36:
	s_or_b64 exec, exec, s[6:7]
	v_and_b32_e32 v32, 63, v30
	v_cmp_ne_u32_e32 vcc, 63, v32
	v_addc_co_u32_e32 v28, vcc, 0, v30, vcc
	v_lshlrev_b32_e32 v33, 2, v28
	ds_bpermute_b32 v28, v33, v18
	v_mov_b32_e32 v1, 2
	v_cmp_eq_u16_sdwa s[6:7], v20, v1 src0_sel:BYTE_0 src1_sel:DWORD
	v_lshlrev_b64 v[16:17], v30, -1
	ds_bpermute_b32 v29, v33, v19
	v_and_b32_e32 v21, s7, v17
	v_or_b32_e32 v21, 0x80000000, v21
	s_waitcnt lgkmcnt(1)
	v_add_co_u32_e32 v28, vcc, v18, v28
	v_and_b32_e32 v25, s6, v16
	v_ffbl_b32_e32 v21, v21
	v_addc_co_u32_e32 v31, vcc, 0, v19, vcc
	v_add_u32_e32 v21, 32, v21
	v_ffbl_b32_e32 v25, v25
	v_add_co_u32_e32 v35, vcc, 0, v28
	v_cmp_gt_u32_e64 s[6:7], 62, v32
	v_min_u32_e32 v21, v25, v21
	s_waitcnt lgkmcnt(0)
	v_addc_co_u32_e32 v29, vcc, v29, v31, vcc
	v_cndmask_b32_e64 v31, 0, 1, s[6:7]
	v_cmp_lt_u32_e32 vcc, v32, v21
	v_lshlrev_b32_e32 v31, 1, v31
	v_cndmask_b32_e32 v28, v18, v28, vcc
	v_add_lshl_u32 v34, v31, v30, 2
	v_cndmask_b32_e32 v29, v19, v29, vcc
	ds_bpermute_b32 v31, v34, v28
	ds_bpermute_b32 v38, v34, v29
	v_cndmask_b32_e32 v39, v18, v35, vcc
	v_add_u32_e32 v35, 2, v32
	v_cmp_gt_u32_e64 s[8:9], 60, v32
	s_waitcnt lgkmcnt(1)
	v_add_co_u32_e64 v31, s[6:7], v31, v39
	s_waitcnt lgkmcnt(0)
	v_addc_co_u32_e64 v38, s[6:7], v38, v29, s[6:7]
	v_cmp_gt_u32_e64 s[6:7], v35, v21
	v_cndmask_b32_e64 v29, v38, v29, s[6:7]
	v_cndmask_b32_e64 v38, 0, 1, s[8:9]
	v_lshlrev_b32_e32 v38, 2, v38
	v_cndmask_b32_e64 v28, v31, v28, s[6:7]
	v_add_lshl_u32 v38, v38, v30, 2
	ds_bpermute_b32 v40, v38, v28
	ds_bpermute_b32 v41, v38, v29
	v_cndmask_b32_e64 v31, v31, v39, s[6:7]
	v_add_u32_e32 v39, 4, v32
	v_cmp_gt_u32_e64 s[8:9], 56, v32
	s_waitcnt lgkmcnt(1)
	v_add_co_u32_e64 v42, s[6:7], v40, v31
	s_waitcnt lgkmcnt(0)
	v_addc_co_u32_e64 v40, s[6:7], v41, v29, s[6:7]
	v_cmp_gt_u32_e64 s[6:7], v39, v21
	v_cndmask_b32_e64 v29, v40, v29, s[6:7]
	v_cndmask_b32_e64 v40, 0, 1, s[8:9]
	v_lshlrev_b32_e32 v40, 3, v40
	v_cndmask_b32_e64 v28, v42, v28, s[6:7]
	v_add_lshl_u32 v40, v40, v30, 2
	ds_bpermute_b32 v43, v40, v28
	v_cndmask_b32_e64 v31, v42, v31, s[6:7]
	ds_bpermute_b32 v42, v40, v29
	v_add_u32_e32 v41, 8, v32
	v_cmp_gt_u32_e64 s[8:9], 48, v32
	s_waitcnt lgkmcnt(1)
	v_add_co_u32_e64 v43, s[6:7], v43, v31
	s_waitcnt lgkmcnt(0)
	v_addc_co_u32_e64 v42, s[6:7], v42, v29, s[6:7]
	v_cmp_gt_u32_e64 s[6:7], v41, v21
	v_cndmask_b32_e64 v29, v42, v29, s[6:7]
	v_cndmask_b32_e64 v42, 0, 1, s[8:9]
	v_lshlrev_b32_e32 v42, 4, v42
	v_cndmask_b32_e64 v28, v43, v28, s[6:7]
	v_add_lshl_u32 v42, v42, v30, 2
	ds_bpermute_b32 v44, v42, v28
	ds_bpermute_b32 v45, v42, v29
	v_cndmask_b32_e64 v31, v43, v31, s[6:7]
	v_cmp_gt_u32_e64 s[8:9], 32, v32
	v_add_u32_e32 v43, 16, v32
	s_waitcnt lgkmcnt(1)
	v_add_co_u32_e64 v46, s[6:7], v44, v31
	s_waitcnt lgkmcnt(0)
	v_addc_co_u32_e64 v45, s[6:7], v45, v29, s[6:7]
	v_cndmask_b32_e64 v44, 0, 1, s[8:9]
	v_cmp_gt_u32_e64 s[6:7], v43, v21
	v_lshlrev_b32_e32 v44, 5, v44
	v_cndmask_b32_e64 v28, v46, v28, s[6:7]
	v_add_lshl_u32 v44, v44, v30, 2
	v_cndmask_b32_e64 v29, v45, v29, s[6:7]
	ds_bpermute_b32 v28, v44, v28
	ds_bpermute_b32 v30, v44, v29
	v_add_u32_e32 v45, 32, v32
	v_cndmask_b32_e64 v31, v46, v31, s[6:7]
	v_cmp_le_u32_e64 s[6:7], v45, v21
	s_waitcnt lgkmcnt(1)
	v_cndmask_b32_e64 v28, 0, v28, s[6:7]
	s_waitcnt lgkmcnt(0)
	v_cndmask_b32_e64 v21, 0, v30, s[6:7]
	v_add_co_u32_e64 v28, s[6:7], v28, v31
	v_addc_co_u32_e64 v21, s[6:7], v21, v29, s[6:7]
	v_mov_b32_e32 v25, 0
	v_cndmask_b32_e32 v19, v19, v21, vcc
	v_cndmask_b32_e32 v18, v18, v28, vcc
	s_branch .LBB5710_38
.LBB5710_37:                            ;   in Loop: Header=BB5710_38 Depth=1
	s_or_b64 exec, exec, s[6:7]
	v_cmp_eq_u16_sdwa s[6:7], v20, v1 src0_sel:BYTE_0 src1_sel:DWORD
	v_and_b32_e32 v21, s7, v17
	v_or_b32_e32 v21, 0x80000000, v21
	ds_bpermute_b32 v31, v33, v18
	v_and_b32_e32 v30, s6, v16
	v_ffbl_b32_e32 v21, v21
	v_add_u32_e32 v21, 32, v21
	v_ffbl_b32_e32 v30, v30
	v_min_u32_e32 v21, v30, v21
	ds_bpermute_b32 v30, v33, v19
	s_waitcnt lgkmcnt(1)
	v_add_co_u32_e32 v31, vcc, v18, v31
	v_addc_co_u32_e32 v46, vcc, 0, v19, vcc
	v_add_co_u32_e32 v47, vcc, 0, v31
	s_waitcnt lgkmcnt(0)
	v_addc_co_u32_e32 v30, vcc, v30, v46, vcc
	v_cmp_lt_u32_e32 vcc, v32, v21
	v_cndmask_b32_e32 v31, v18, v31, vcc
	ds_bpermute_b32 v46, v34, v31
	v_cndmask_b32_e32 v30, v19, v30, vcc
	ds_bpermute_b32 v48, v34, v30
	v_cndmask_b32_e32 v47, v18, v47, vcc
	v_subrev_u32_e32 v24, 64, v24
	s_waitcnt lgkmcnt(1)
	v_add_co_u32_e64 v46, s[6:7], v46, v47
	s_waitcnt lgkmcnt(0)
	v_addc_co_u32_e64 v48, s[6:7], v48, v30, s[6:7]
	v_cmp_gt_u32_e64 s[6:7], v35, v21
	v_cndmask_b32_e64 v31, v46, v31, s[6:7]
	ds_bpermute_b32 v49, v38, v31
	v_cndmask_b32_e64 v30, v48, v30, s[6:7]
	ds_bpermute_b32 v48, v38, v30
	v_cndmask_b32_e64 v46, v46, v47, s[6:7]
	s_waitcnt lgkmcnt(1)
	v_add_co_u32_e64 v47, s[6:7], v49, v46
	s_waitcnt lgkmcnt(0)
	v_addc_co_u32_e64 v48, s[6:7], v48, v30, s[6:7]
	v_cmp_gt_u32_e64 s[6:7], v39, v21
	v_cndmask_b32_e64 v31, v47, v31, s[6:7]
	ds_bpermute_b32 v49, v40, v31
	v_cndmask_b32_e64 v30, v48, v30, s[6:7]
	ds_bpermute_b32 v48, v40, v30
	v_cndmask_b32_e64 v46, v47, v46, s[6:7]
	;; [unrolled: 10-line block ×3, first 2 shown]
	s_waitcnt lgkmcnt(1)
	v_add_co_u32_e64 v47, s[6:7], v49, v46
	s_waitcnt lgkmcnt(0)
	v_addc_co_u32_e64 v48, s[6:7], v48, v30, s[6:7]
	v_cmp_gt_u32_e64 s[6:7], v43, v21
	v_cndmask_b32_e64 v31, v47, v31, s[6:7]
	v_cndmask_b32_e64 v30, v48, v30, s[6:7]
	ds_bpermute_b32 v31, v44, v31
	ds_bpermute_b32 v48, v44, v30
	v_cndmask_b32_e64 v46, v47, v46, s[6:7]
	v_cmp_le_u32_e64 s[6:7], v45, v21
	s_waitcnt lgkmcnt(1)
	v_cndmask_b32_e64 v31, 0, v31, s[6:7]
	s_waitcnt lgkmcnt(0)
	v_cndmask_b32_e64 v21, 0, v48, s[6:7]
	v_add_co_u32_e64 v31, s[6:7], v31, v46
	v_addc_co_u32_e64 v21, s[6:7], v21, v30, s[6:7]
	v_cndmask_b32_e32 v18, v18, v31, vcc
	v_cndmask_b32_e32 v19, v19, v21, vcc
	v_add_co_u32_e32 v18, vcc, v18, v28
	v_addc_co_u32_e32 v19, vcc, v19, v29, vcc
.LBB5710_38:                            ; =>This Loop Header: Depth=1
                                        ;     Child Loop BB5710_41 Depth 2
	v_cmp_ne_u16_sdwa s[6:7], v20, v1 src0_sel:BYTE_0 src1_sel:DWORD
	v_cndmask_b32_e64 v20, 0, 1, s[6:7]
	;;#ASMSTART
	;;#ASMEND
	v_cmp_ne_u32_e32 vcc, 0, v20
	s_cmp_lg_u64 vcc, exec
	v_pk_mov_b32 v[28:29], v[18:19], v[18:19] op_sel:[0,1]
	s_cbranch_scc1 .LBB5710_43
; %bb.39:                               ;   in Loop: Header=BB5710_38 Depth=1
	v_lshlrev_b64 v[18:19], 4, v[24:25]
	v_mov_b32_e32 v20, s25
	v_add_co_u32_e32 v30, vcc, s24, v18
	v_addc_co_u32_e32 v31, vcc, v20, v19, vcc
	;;#ASMSTART
	global_load_dwordx4 v[18:21], v[30:31] off glc	
s_waitcnt vmcnt(0)
	;;#ASMEND
	v_and_b32_e32 v21, 0xff, v19
	v_and_b32_e32 v46, 0xff00, v19
	v_or3_b32 v21, 0, v21, v46
	v_or3_b32 v18, v18, 0, 0
	v_and_b32_e32 v46, 0xff000000, v19
	v_and_b32_e32 v19, 0xff0000, v19
	v_or3_b32 v19, v21, v19, v46
	v_or3_b32 v18, v18, 0, 0
	v_cmp_eq_u16_sdwa s[8:9], v20, v25 src0_sel:BYTE_0 src1_sel:DWORD
	s_and_saveexec_b64 s[6:7], s[8:9]
	s_cbranch_execz .LBB5710_37
; %bb.40:                               ;   in Loop: Header=BB5710_38 Depth=1
	s_mov_b64 s[8:9], 0
.LBB5710_41:                            ;   Parent Loop BB5710_38 Depth=1
                                        ; =>  This Inner Loop Header: Depth=2
	;;#ASMSTART
	global_load_dwordx4 v[18:21], v[30:31] off glc	
s_waitcnt vmcnt(0)
	;;#ASMEND
	v_cmp_ne_u16_sdwa s[34:35], v20, v25 src0_sel:BYTE_0 src1_sel:DWORD
	s_or_b64 s[8:9], s[34:35], s[8:9]
	s_andn2_b64 exec, exec, s[8:9]
	s_cbranch_execnz .LBB5710_41
; %bb.42:                               ;   in Loop: Header=BB5710_38 Depth=1
	s_or_b64 exec, exec, s[8:9]
	s_branch .LBB5710_37
.LBB5710_43:                            ;   in Loop: Header=BB5710_38 Depth=1
                                        ; implicit-def: $vgpr18_vgpr19
                                        ; implicit-def: $vgpr20
	s_cbranch_execz .LBB5710_38
; %bb.44:
	s_and_saveexec_b64 s[6:7], s[4:5]
	s_cbranch_execz .LBB5710_46
; %bb.45:
	s_add_i32 s4, s30, 64
	s_mov_b32 s5, 0
	s_lshl_b64 s[4:5], s[4:5], 4
	s_add_u32 s4, s24, s4
	v_add_co_u32_e32 v14, vcc, v28, v14
	s_addc_u32 s5, s25, s5
	v_addc_co_u32_e32 v15, vcc, v29, v15, vcc
	v_mov_b32_e32 v16, 2
	v_mov_b32_e32 v17, 0
	v_pk_mov_b32 v[18:19], s[4:5], s[4:5] op_sel:[0,1]
	;;#ASMSTART
	global_store_dwordx4 v[18:19], v[14:17] off	
s_waitcnt vmcnt(0)
	;;#ASMEND
.LBB5710_46:
	s_or_b64 exec, exec, s[6:7]
	s_and_b64 exec, exec, s[0:1]
	s_cbranch_execz .LBB5710_48
; %bb.47:
	v_mov_b32_e32 v1, 0
	ds_write_b64 v1, v[28:29]
.LBB5710_48:
	s_or_b64 exec, exec, s[22:23]
	v_mov_b32_e32 v1, 0
	s_waitcnt lgkmcnt(0)
	s_barrier
	ds_read_b64 v[14:15], v1
	s_waitcnt lgkmcnt(0)
	v_add_co_u32_e32 v14, vcc, v14, v22
	v_addc_co_u32_e32 v15, vcc, v15, v23, vcc
	v_add_co_u32_e32 v28, vcc, v14, v10
	v_addc_co_u32_e32 v29, vcc, v15, v11, vcc
	;; [unrolled: 2-line block ×7, first 2 shown]
	s_branch .LBB5710_61
.LBB5710_49:
                                        ; implicit-def: $vgpr34_vgpr35
                                        ; implicit-def: $vgpr32_vgpr33
                                        ; implicit-def: $vgpr30_vgpr31
                                        ; implicit-def: $vgpr28_vgpr29
                                        ; implicit-def: $vgpr22_vgpr23_vgpr24_vgpr25
                                        ; implicit-def: $vgpr18_vgpr19_vgpr20_vgpr21
                                        ; implicit-def: $vgpr14_vgpr15_vgpr16_vgpr17
	s_cbranch_execz .LBB5710_61
; %bb.50:
	s_cmp_eq_u64 s[16:17], 0
	v_pk_mov_b32 v[20:21], s[10:11], s[10:11] op_sel:[0,1]
	s_cbranch_scc1 .LBB5710_52
; %bb.51:
	v_mov_b32_e32 v1, 0
	v_mov_b32_e32 v15, s29
	v_add_co_u32_e64 v14, vcc, -8, s28
	v_addc_co_u32_e32 v15, vcc, -1, v15, vcc
	global_load_dwordx2 v[16:17], v1, s[12:13]
	flat_load_dwordx2 v[18:19], v[14:15]
	s_waitcnt vmcnt(0) lgkmcnt(0)
	v_add_co_u32_e32 v20, vcc, v16, v18
	v_addc_co_u32_e32 v21, vcc, v17, v19, vcc
.LBB5710_52:
	v_add_co_u32_e32 v1, vcc, v12, v10
	v_addc_co_u32_e32 v14, vcc, v13, v11, vcc
	v_add_co_u32_e32 v1, vcc, v1, v6
	v_addc_co_u32_e32 v14, vcc, v14, v7, vcc
	;; [unrolled: 2-line block ×6, first 2 shown]
	v_add_lshl_u32 v1, v37, v0, 3
	v_cmp_gt_u32_e32 vcc, 64, v0
	ds_write_b64 v1, v[18:19]
	s_waitcnt lgkmcnt(0)
	s_barrier
	s_and_saveexec_b64 s[6:7], vcc
	s_cbranch_execz .LBB5710_56
; %bb.53:
	v_lshlrev_b32_e32 v1, 1, v0
	v_lshrrev_b32_e32 v14, 4, v0
	v_add_lshl_u32 v22, v14, v1, 3
	ds_read2_b64 v[14:17], v22 offset1:1
	v_mbcnt_lo_u32_b32 v1, -1, 0
	s_waitcnt lgkmcnt(0)
	v_add_co_u32_e32 v23, vcc, v16, v14
	v_addc_co_u32_e32 v24, vcc, v17, v15, vcc
	s_nop 0
	v_mov_b32_dpp v16, v23 row_shr:1 row_mask:0xf bank_mask:0xf
	v_add_co_u32_e32 v16, vcc, v23, v16
	v_addc_co_u32_e32 v26, vcc, 0, v24, vcc
	v_mbcnt_hi_u32_b32 v17, -1, v1
	v_mov_b32_dpp v25, v24 row_shr:1 row_mask:0xf bank_mask:0xf
	v_add_co_u32_e32 v27, vcc, 0, v16
	v_and_b32_e32 v1, 15, v17
	v_addc_co_u32_e32 v25, vcc, v25, v26, vcc
	v_cmp_eq_u32_e32 vcc, 0, v1
	v_cndmask_b32_e32 v16, v16, v23, vcc
	v_cndmask_b32_e32 v25, v25, v24, vcc
	v_cndmask_b32_e32 v26, v27, v23, vcc
	v_mov_b32_dpp v27, v16 row_shr:2 row_mask:0xf bank_mask:0xf
	v_mov_b32_dpp v28, v25 row_shr:2 row_mask:0xf bank_mask:0xf
	v_add_co_u32_e32 v27, vcc, v27, v26
	v_addc_co_u32_e32 v28, vcc, v28, v25, vcc
	v_cmp_lt_u32_e32 vcc, 1, v1
	v_cndmask_b32_e32 v16, v16, v27, vcc
	v_cndmask_b32_e32 v25, v25, v28, vcc
	v_cndmask_b32_e32 v26, v26, v27, vcc
	v_mov_b32_dpp v27, v16 row_shr:4 row_mask:0xf bank_mask:0xf
	v_mov_b32_dpp v28, v25 row_shr:4 row_mask:0xf bank_mask:0xf
	v_add_co_u32_e32 v27, vcc, v27, v26
	v_addc_co_u32_e32 v28, vcc, v28, v25, vcc
	v_cmp_lt_u32_e32 vcc, 3, v1
	;; [unrolled: 8-line block ×3, first 2 shown]
	v_cndmask_b32_e32 v29, v16, v27, vcc
	v_cndmask_b32_e32 v1, v25, v28, vcc
	;; [unrolled: 1-line block ×3, first 2 shown]
	v_mov_b32_dpp v25, v29 row_bcast:15 row_mask:0xf bank_mask:0xf
	v_mov_b32_dpp v26, v1 row_bcast:15 row_mask:0xf bank_mask:0xf
	v_add_co_u32_e32 v25, vcc, v25, v16
	v_and_b32_e32 v28, 16, v17
	v_addc_co_u32_e32 v27, vcc, v26, v1, vcc
	v_cmp_eq_u32_e32 vcc, 0, v28
	v_cndmask_b32_e32 v28, v27, v1, vcc
	v_cndmask_b32_e32 v26, v25, v29, vcc
	v_cmp_ne_u32_e64 s[4:5], 0, v17
	v_mov_b32_dpp v28, v28 row_bcast:31 row_mask:0xf bank_mask:0xf
	v_mov_b32_dpp v26, v26 row_bcast:31 row_mask:0xf bank_mask:0xf
	s_and_saveexec_b64 s[8:9], s[4:5]
; %bb.54:
	v_cndmask_b32_e32 v1, v27, v1, vcc
	v_cndmask_b32_e32 v16, v25, v16, vcc
	v_cmp_lt_u32_e32 vcc, 31, v17
	v_cndmask_b32_e32 v23, 0, v26, vcc
	v_cndmask_b32_e32 v24, 0, v28, vcc
	v_add_co_u32_e32 v23, vcc, v23, v16
	v_addc_co_u32_e32 v24, vcc, v24, v1, vcc
; %bb.55:
	s_or_b64 exec, exec, s[8:9]
	v_add_u32_e32 v1, -1, v17
	v_and_b32_e32 v16, 64, v17
	v_cmp_lt_i32_e32 vcc, v1, v16
	v_cndmask_b32_e32 v1, v1, v17, vcc
	v_lshlrev_b32_e32 v1, 2, v1
	ds_bpermute_b32 v16, v1, v23
	ds_bpermute_b32 v1, v1, v24
	; wave barrier
	s_waitcnt lgkmcnt(1)
	v_add_co_u32_e32 v14, vcc, v14, v16
	v_addc_co_u32_e32 v15, vcc, 0, v15, vcc
	v_add_co_u32_e32 v14, vcc, 0, v14
	s_waitcnt lgkmcnt(0)
	v_addc_co_u32_e32 v1, vcc, v15, v1, vcc
	v_cndmask_b32_e64 v15, v1, v19, s[0:1]
	v_cndmask_b32_e64 v14, v14, v18, s[0:1]
	ds_write_b64 v22, v[14:15]
	; wave barrier
	ds_read_b64 v[16:17], v22 offset:8
	s_waitcnt lgkmcnt(0)
	v_add_co_u32_e32 v14, vcc, v16, v14
	v_addc_co_u32_e32 v15, vcc, v17, v15, vcc
	ds_write_b64 v22, v[14:15] offset:8
.LBB5710_56:
	s_or_b64 exec, exec, s[6:7]
	v_pk_mov_b32 v[14:15], v[20:21], v[20:21] op_sel:[0,1]
	s_waitcnt lgkmcnt(0)
	s_barrier
	s_and_saveexec_b64 s[4:5], s[2:3]
	s_cbranch_execz .LBB5710_58
; %bb.57:
	v_add_u32_e32 v1, -1, v0
	v_lshrrev_b32_e32 v14, 5, v1
	v_add_lshl_u32 v1, v14, v1, 3
	ds_read_b64 v[14:15], v1
	s_waitcnt lgkmcnt(0)
	v_add_co_u32_e32 v14, vcc, v14, v20
	v_addc_co_u32_e32 v15, vcc, v15, v21, vcc
.LBB5710_58:
	s_or_b64 exec, exec, s[4:5]
	v_add_co_u32_e32 v28, vcc, v14, v10
	v_addc_co_u32_e32 v29, vcc, v15, v11, vcc
	v_add_co_u32_e32 v18, vcc, v28, v12
	v_addc_co_u32_e32 v19, vcc, v29, v13, vcc
	;; [unrolled: 2-line block ×6, first 2 shown]
	s_and_saveexec_b64 s[2:3], s[0:1]
	s_cbranch_execz .LBB5710_60
; %bb.59:
	v_mov_b32_e32 v5, 0
	ds_read_b64 v[2:3], v5 offset:1040
	s_add_u32 s0, s24, 0x400
	s_addc_u32 s1, s25, 0
	v_mov_b32_e32 v4, 2
	v_pk_mov_b32 v[6:7], s[0:1], s[0:1] op_sel:[0,1]
	s_waitcnt lgkmcnt(0)
	v_add_co_u32_e32 v2, vcc, v2, v20
	v_addc_co_u32_e32 v3, vcc, v3, v21, vcc
	;;#ASMSTART
	global_store_dwordx4 v[6:7], v[2:5] off	
s_waitcnt vmcnt(0)
	;;#ASMEND
.LBB5710_60:
	s_or_b64 exec, exec, s[2:3]
.LBB5710_61:
	v_mul_u32_u24_e32 v2, 56, v0
	s_mov_b64 s[0:1], -1
	s_and_b64 vcc, exec, s[20:21]
	s_barrier
	ds_write2_b64 v2, v[14:15], v[28:29] offset1:1
	ds_write2_b64 v2, v[18:19], v[30:31] offset0:2 offset1:3
	ds_write2_b64 v2, v[22:23], v[32:33] offset0:4 offset1:5
	ds_write_b64 v2, v[34:35] offset:48
	s_waitcnt lgkmcnt(0)
	s_cbranch_vccz .LBB5710_63
; %bb.62:
	s_barrier
	s_mov_b64 s[0:1], 0
.LBB5710_63:
	s_andn2_b64 vcc, exec, s[0:1]
	s_cbranch_vccnz .LBB5710_88
; %bb.64:
	v_cmp_lt_u64_e64 s[0:1], s[18:19], 2
	s_and_b64 vcc, exec, s[0:1]
	s_barrier
	s_cbranch_vccnz .LBB5710_88
; %bb.65:
	s_add_u32 s0, s26, -1
	s_addc_u32 s1, s27, -1
	s_add_u32 s2, 0, 0x92481000
	s_addc_u32 s3, 0, 0x64
	s_add_i32 s3, s3, 0x249248c0
	s_mul_hi_u32 s7, s2, -7
	s_sub_i32 s7, s7, s2
	s_mul_i32 s8, s3, -7
	s_mul_i32 s4, s2, -7
	s_add_i32 s7, s7, s8
	s_mul_hi_u32 s5, s3, s4
	s_mul_i32 s6, s3, s4
	s_mul_i32 s9, s2, s7
	s_mul_hi_u32 s4, s2, s4
	s_mul_hi_u32 s8, s2, s7
	s_add_u32 s4, s4, s9
	s_addc_u32 s8, 0, s8
	s_add_u32 s4, s4, s6
	s_mul_hi_u32 s9, s3, s7
	s_addc_u32 s4, s8, s5
	s_addc_u32 s5, s9, 0
	s_mul_i32 s6, s3, s7
	s_add_u32 s4, s4, s6
	v_mov_b32_e32 v3, s4
	s_addc_u32 s5, 0, s5
	v_add_co_u32_e32 v3, vcc, s2, v3
	s_cmp_lg_u64 vcc, 0
	s_addc_u32 s2, s3, s5
	v_readfirstlane_b32 s5, v3
	s_mul_i32 s4, s0, s2
	s_mul_hi_u32 s6, s0, s5
	s_mul_hi_u32 s3, s0, s2
	s_add_u32 s4, s6, s4
	s_addc_u32 s3, 0, s3
	s_mul_hi_u32 s7, s1, s5
	s_mul_i32 s5, s1, s5
	s_add_u32 s4, s4, s5
	s_mul_hi_u32 s6, s1, s2
	s_addc_u32 s3, s3, s7
	s_addc_u32 s4, s6, 0
	s_mul_i32 s2, s1, s2
	s_add_u32 s2, s3, s2
	s_addc_u32 s3, 0, s4
	s_add_u32 s4, s2, 1
	s_addc_u32 s5, s3, 0
	s_add_u32 s6, s2, 2
	s_mul_i32 s8, s3, 7
	s_mul_hi_u32 s9, s2, 7
	s_addc_u32 s7, s3, 0
	s_add_i32 s9, s9, s8
	s_mul_i32 s8, s2, 7
	v_mov_b32_e32 v3, s8
	v_sub_co_u32_e32 v3, vcc, s0, v3
	s_cmp_lg_u64 vcc, 0
	s_subb_u32 s8, s1, s9
	v_subrev_co_u32_e32 v4, vcc, 7, v3
	s_cmp_lg_u64 vcc, 0
	s_subb_u32 s9, s8, 0
	v_readfirstlane_b32 s10, v4
	s_cmp_gt_u32 s10, 6
	s_cselect_b32 s10, -1, 0
	s_cmp_eq_u32 s9, 0
	s_cselect_b32 s9, s10, -1
	s_cmp_lg_u32 s9, 0
	s_cselect_b32 s4, s6, s4
	v_readfirstlane_b32 s6, v3
	s_cselect_b32 s5, s7, s5
	s_cmp_gt_u32 s6, 6
	s_cselect_b32 s6, -1, 0
	s_cmp_eq_u32 s8, 0
	s_cselect_b32 s6, s6, -1
	s_cmp_lg_u32 s6, 0
	v_mov_b32_e32 v1, 0
	s_cselect_b32 s3, s5, s3
	s_cselect_b32 s2, s4, s2
	v_cmp_eq_u64_e32 vcc, s[2:3], v[0:1]
	s_and_saveexec_b64 s[2:3], vcc
	s_cbranch_execz .LBB5710_88
; %bb.66:
	s_movk_i32 s2, 0xffd0
	v_mad_i32_i24 v2, v0, s2, v2
	v_mul_hi_u32_u24_e32 v1, 7, v0
	v_mov_b32_e32 v3, s1
	v_sub_co_u32_e32 v0, vcc, s0, v36
	v_subb_co_u32_e32 v1, vcc, v3, v1, vcc
	v_cmp_lt_i64_e32 vcc, 3, v[0:1]
	s_and_saveexec_b64 s[0:1], vcc
	s_xor_b64 s[0:1], exec, s[0:1]
	s_cbranch_execz .LBB5710_76
; %bb.67:
	v_cmp_lt_i64_e32 vcc, 4, v[0:1]
	s_and_saveexec_b64 s[2:3], vcc
	s_xor_b64 s[2:3], exec, s[2:3]
	s_cbranch_execz .LBB5710_73
; %bb.68:
	;; [unrolled: 5-line block ×3, first 2 shown]
	ds_read_b64 v[0:1], v2 offset:6144
	v_mov_b32_e32 v2, 0
	s_waitcnt lgkmcnt(0)
	global_store_dwordx2 v2, v[0:1], s[14:15]
                                        ; implicit-def: $vgpr2
.LBB5710_70:
	s_andn2_saveexec_b64 s[4:5], s[4:5]
	s_cbranch_execz .LBB5710_72
; %bb.71:
	ds_read_b64 v[0:1], v2 offset:5120
	v_mov_b32_e32 v2, 0
	s_waitcnt lgkmcnt(0)
	global_store_dwordx2 v2, v[0:1], s[14:15]
.LBB5710_72:
	s_or_b64 exec, exec, s[4:5]
                                        ; implicit-def: $vgpr2
.LBB5710_73:
	s_andn2_saveexec_b64 s[2:3], s[2:3]
	s_cbranch_execz .LBB5710_75
; %bb.74:
	ds_read_b64 v[0:1], v2 offset:4096
	v_mov_b32_e32 v2, 0
	s_waitcnt lgkmcnt(0)
	global_store_dwordx2 v2, v[0:1], s[14:15]
.LBB5710_75:
	s_or_b64 exec, exec, s[2:3]
                                        ; implicit-def: $vgpr0_vgpr1
                                        ; implicit-def: $vgpr2
.LBB5710_76:
	s_andn2_saveexec_b64 s[0:1], s[0:1]
	s_cbranch_execz .LBB5710_88
; %bb.77:
	v_cmp_lt_i64_e32 vcc, 1, v[0:1]
	s_and_saveexec_b64 s[0:1], vcc
	s_xor_b64 s[0:1], exec, s[0:1]
	s_cbranch_execz .LBB5710_83
; %bb.78:
	v_cmp_lt_i64_e32 vcc, 2, v[0:1]
	s_and_saveexec_b64 s[2:3], vcc
	s_xor_b64 s[2:3], exec, s[2:3]
	s_cbranch_execz .LBB5710_80
; %bb.79:
	ds_read_b64 v[0:1], v2 offset:3072
	v_mov_b32_e32 v2, 0
	s_waitcnt lgkmcnt(0)
	global_store_dwordx2 v2, v[0:1], s[14:15]
                                        ; implicit-def: $vgpr2
.LBB5710_80:
	s_andn2_saveexec_b64 s[2:3], s[2:3]
	s_cbranch_execz .LBB5710_82
; %bb.81:
	ds_read_b64 v[0:1], v2 offset:2048
	v_mov_b32_e32 v2, 0
	s_waitcnt lgkmcnt(0)
	global_store_dwordx2 v2, v[0:1], s[14:15]
.LBB5710_82:
	s_or_b64 exec, exec, s[2:3]
                                        ; implicit-def: $vgpr2
                                        ; implicit-def: $vgpr0_vgpr1
.LBB5710_83:
	s_andn2_saveexec_b64 s[0:1], s[0:1]
	s_cbranch_execz .LBB5710_88
; %bb.84:
	v_cmp_ne_u64_e32 vcc, 1, v[0:1]
	s_and_saveexec_b64 s[0:1], vcc
	s_xor_b64 s[0:1], exec, s[0:1]
	s_cbranch_execz .LBB5710_86
; %bb.85:
	ds_read_b64 v[0:1], v2
	v_mov_b32_e32 v2, 0
	s_waitcnt lgkmcnt(0)
	global_store_dwordx2 v2, v[0:1], s[14:15]
                                        ; implicit-def: $vgpr2
.LBB5710_86:
	s_andn2_saveexec_b64 s[0:1], s[0:1]
	s_cbranch_execz .LBB5710_88
; %bb.87:
	ds_read_b64 v[0:1], v2 offset:1024
	v_mov_b32_e32 v2, 0
	s_waitcnt lgkmcnt(0)
	global_store_dwordx2 v2, v[0:1], s[14:15]
.LBB5710_88:
	s_endpgm
	.section	.rodata,"a",@progbits
	.p2align	6, 0x0
	.amdhsa_kernel _ZN7rocprim17ROCPRIM_400000_NS6detail17trampoline_kernelINS0_14default_configENS1_20scan_config_selectorIxEEZZNS1_9scan_implILNS1_25lookback_scan_determinismE0ELb1ELb1ES3_N6thrust23THRUST_200600_302600_NS6detail15normal_iteratorINS9_10device_ptrIxEEEENS9_16discard_iteratorINS9_11use_defaultEEExNS9_4plusIvEExEEDaPvRmT3_T4_T5_mT6_P12ihipStream_tbENKUlT_T0_E_clISt17integral_constantIbLb0EESW_IbLb1EEEEDaSS_ST_EUlSS_E_NS1_11comp_targetILNS1_3genE4ELNS1_11target_archE910ELNS1_3gpuE8ELNS1_3repE0EEENS1_30default_config_static_selectorELNS0_4arch9wavefront6targetE1EEEvT1_
		.amdhsa_group_segment_fixed_size 7168
		.amdhsa_private_segment_fixed_size 0
		.amdhsa_kernarg_size 112
		.amdhsa_user_sgpr_count 6
		.amdhsa_user_sgpr_private_segment_buffer 1
		.amdhsa_user_sgpr_dispatch_ptr 0
		.amdhsa_user_sgpr_queue_ptr 0
		.amdhsa_user_sgpr_kernarg_segment_ptr 1
		.amdhsa_user_sgpr_dispatch_id 0
		.amdhsa_user_sgpr_flat_scratch_init 0
		.amdhsa_user_sgpr_kernarg_preload_length 0
		.amdhsa_user_sgpr_kernarg_preload_offset 0
		.amdhsa_user_sgpr_private_segment_size 0
		.amdhsa_uses_dynamic_stack 0
		.amdhsa_system_sgpr_private_segment_wavefront_offset 0
		.amdhsa_system_sgpr_workgroup_id_x 1
		.amdhsa_system_sgpr_workgroup_id_y 0
		.amdhsa_system_sgpr_workgroup_id_z 0
		.amdhsa_system_sgpr_workgroup_info 0
		.amdhsa_system_vgpr_workitem_id 0
		.amdhsa_next_free_vgpr 50
		.amdhsa_next_free_sgpr 36
		.amdhsa_accum_offset 52
		.amdhsa_reserve_vcc 1
		.amdhsa_reserve_flat_scratch 0
		.amdhsa_float_round_mode_32 0
		.amdhsa_float_round_mode_16_64 0
		.amdhsa_float_denorm_mode_32 3
		.amdhsa_float_denorm_mode_16_64 3
		.amdhsa_dx10_clamp 1
		.amdhsa_ieee_mode 1
		.amdhsa_fp16_overflow 0
		.amdhsa_tg_split 0
		.amdhsa_exception_fp_ieee_invalid_op 0
		.amdhsa_exception_fp_denorm_src 0
		.amdhsa_exception_fp_ieee_div_zero 0
		.amdhsa_exception_fp_ieee_overflow 0
		.amdhsa_exception_fp_ieee_underflow 0
		.amdhsa_exception_fp_ieee_inexact 0
		.amdhsa_exception_int_div_zero 0
	.end_amdhsa_kernel
	.section	.text._ZN7rocprim17ROCPRIM_400000_NS6detail17trampoline_kernelINS0_14default_configENS1_20scan_config_selectorIxEEZZNS1_9scan_implILNS1_25lookback_scan_determinismE0ELb1ELb1ES3_N6thrust23THRUST_200600_302600_NS6detail15normal_iteratorINS9_10device_ptrIxEEEENS9_16discard_iteratorINS9_11use_defaultEEExNS9_4plusIvEExEEDaPvRmT3_T4_T5_mT6_P12ihipStream_tbENKUlT_T0_E_clISt17integral_constantIbLb0EESW_IbLb1EEEEDaSS_ST_EUlSS_E_NS1_11comp_targetILNS1_3genE4ELNS1_11target_archE910ELNS1_3gpuE8ELNS1_3repE0EEENS1_30default_config_static_selectorELNS0_4arch9wavefront6targetE1EEEvT1_,"axG",@progbits,_ZN7rocprim17ROCPRIM_400000_NS6detail17trampoline_kernelINS0_14default_configENS1_20scan_config_selectorIxEEZZNS1_9scan_implILNS1_25lookback_scan_determinismE0ELb1ELb1ES3_N6thrust23THRUST_200600_302600_NS6detail15normal_iteratorINS9_10device_ptrIxEEEENS9_16discard_iteratorINS9_11use_defaultEEExNS9_4plusIvEExEEDaPvRmT3_T4_T5_mT6_P12ihipStream_tbENKUlT_T0_E_clISt17integral_constantIbLb0EESW_IbLb1EEEEDaSS_ST_EUlSS_E_NS1_11comp_targetILNS1_3genE4ELNS1_11target_archE910ELNS1_3gpuE8ELNS1_3repE0EEENS1_30default_config_static_selectorELNS0_4arch9wavefront6targetE1EEEvT1_,comdat
.Lfunc_end5710:
	.size	_ZN7rocprim17ROCPRIM_400000_NS6detail17trampoline_kernelINS0_14default_configENS1_20scan_config_selectorIxEEZZNS1_9scan_implILNS1_25lookback_scan_determinismE0ELb1ELb1ES3_N6thrust23THRUST_200600_302600_NS6detail15normal_iteratorINS9_10device_ptrIxEEEENS9_16discard_iteratorINS9_11use_defaultEEExNS9_4plusIvEExEEDaPvRmT3_T4_T5_mT6_P12ihipStream_tbENKUlT_T0_E_clISt17integral_constantIbLb0EESW_IbLb1EEEEDaSS_ST_EUlSS_E_NS1_11comp_targetILNS1_3genE4ELNS1_11target_archE910ELNS1_3gpuE8ELNS1_3repE0EEENS1_30default_config_static_selectorELNS0_4arch9wavefront6targetE1EEEvT1_, .Lfunc_end5710-_ZN7rocprim17ROCPRIM_400000_NS6detail17trampoline_kernelINS0_14default_configENS1_20scan_config_selectorIxEEZZNS1_9scan_implILNS1_25lookback_scan_determinismE0ELb1ELb1ES3_N6thrust23THRUST_200600_302600_NS6detail15normal_iteratorINS9_10device_ptrIxEEEENS9_16discard_iteratorINS9_11use_defaultEEExNS9_4plusIvEExEEDaPvRmT3_T4_T5_mT6_P12ihipStream_tbENKUlT_T0_E_clISt17integral_constantIbLb0EESW_IbLb1EEEEDaSS_ST_EUlSS_E_NS1_11comp_targetILNS1_3genE4ELNS1_11target_archE910ELNS1_3gpuE8ELNS1_3repE0EEENS1_30default_config_static_selectorELNS0_4arch9wavefront6targetE1EEEvT1_
                                        ; -- End function
	.section	.AMDGPU.csdata,"",@progbits
; Kernel info:
; codeLenInByte = 5204
; NumSgprs: 40
; NumVgprs: 50
; NumAgprs: 0
; TotalNumVgprs: 50
; ScratchSize: 0
; MemoryBound: 0
; FloatMode: 240
; IeeeMode: 1
; LDSByteSize: 7168 bytes/workgroup (compile time only)
; SGPRBlocks: 4
; VGPRBlocks: 6
; NumSGPRsForWavesPerEU: 40
; NumVGPRsForWavesPerEU: 50
; AccumOffset: 52
; Occupancy: 5
; WaveLimiterHint : 1
; COMPUTE_PGM_RSRC2:SCRATCH_EN: 0
; COMPUTE_PGM_RSRC2:USER_SGPR: 6
; COMPUTE_PGM_RSRC2:TRAP_HANDLER: 0
; COMPUTE_PGM_RSRC2:TGID_X_EN: 1
; COMPUTE_PGM_RSRC2:TGID_Y_EN: 0
; COMPUTE_PGM_RSRC2:TGID_Z_EN: 0
; COMPUTE_PGM_RSRC2:TIDIG_COMP_CNT: 0
; COMPUTE_PGM_RSRC3_GFX90A:ACCUM_OFFSET: 12
; COMPUTE_PGM_RSRC3_GFX90A:TG_SPLIT: 0
	.section	.text._ZN7rocprim17ROCPRIM_400000_NS6detail17trampoline_kernelINS0_14default_configENS1_20scan_config_selectorIxEEZZNS1_9scan_implILNS1_25lookback_scan_determinismE0ELb1ELb1ES3_N6thrust23THRUST_200600_302600_NS6detail15normal_iteratorINS9_10device_ptrIxEEEENS9_16discard_iteratorINS9_11use_defaultEEExNS9_4plusIvEExEEDaPvRmT3_T4_T5_mT6_P12ihipStream_tbENKUlT_T0_E_clISt17integral_constantIbLb0EESW_IbLb1EEEEDaSS_ST_EUlSS_E_NS1_11comp_targetILNS1_3genE3ELNS1_11target_archE908ELNS1_3gpuE7ELNS1_3repE0EEENS1_30default_config_static_selectorELNS0_4arch9wavefront6targetE1EEEvT1_,"axG",@progbits,_ZN7rocprim17ROCPRIM_400000_NS6detail17trampoline_kernelINS0_14default_configENS1_20scan_config_selectorIxEEZZNS1_9scan_implILNS1_25lookback_scan_determinismE0ELb1ELb1ES3_N6thrust23THRUST_200600_302600_NS6detail15normal_iteratorINS9_10device_ptrIxEEEENS9_16discard_iteratorINS9_11use_defaultEEExNS9_4plusIvEExEEDaPvRmT3_T4_T5_mT6_P12ihipStream_tbENKUlT_T0_E_clISt17integral_constantIbLb0EESW_IbLb1EEEEDaSS_ST_EUlSS_E_NS1_11comp_targetILNS1_3genE3ELNS1_11target_archE908ELNS1_3gpuE7ELNS1_3repE0EEENS1_30default_config_static_selectorELNS0_4arch9wavefront6targetE1EEEvT1_,comdat
	.protected	_ZN7rocprim17ROCPRIM_400000_NS6detail17trampoline_kernelINS0_14default_configENS1_20scan_config_selectorIxEEZZNS1_9scan_implILNS1_25lookback_scan_determinismE0ELb1ELb1ES3_N6thrust23THRUST_200600_302600_NS6detail15normal_iteratorINS9_10device_ptrIxEEEENS9_16discard_iteratorINS9_11use_defaultEEExNS9_4plusIvEExEEDaPvRmT3_T4_T5_mT6_P12ihipStream_tbENKUlT_T0_E_clISt17integral_constantIbLb0EESW_IbLb1EEEEDaSS_ST_EUlSS_E_NS1_11comp_targetILNS1_3genE3ELNS1_11target_archE908ELNS1_3gpuE7ELNS1_3repE0EEENS1_30default_config_static_selectorELNS0_4arch9wavefront6targetE1EEEvT1_ ; -- Begin function _ZN7rocprim17ROCPRIM_400000_NS6detail17trampoline_kernelINS0_14default_configENS1_20scan_config_selectorIxEEZZNS1_9scan_implILNS1_25lookback_scan_determinismE0ELb1ELb1ES3_N6thrust23THRUST_200600_302600_NS6detail15normal_iteratorINS9_10device_ptrIxEEEENS9_16discard_iteratorINS9_11use_defaultEEExNS9_4plusIvEExEEDaPvRmT3_T4_T5_mT6_P12ihipStream_tbENKUlT_T0_E_clISt17integral_constantIbLb0EESW_IbLb1EEEEDaSS_ST_EUlSS_E_NS1_11comp_targetILNS1_3genE3ELNS1_11target_archE908ELNS1_3gpuE7ELNS1_3repE0EEENS1_30default_config_static_selectorELNS0_4arch9wavefront6targetE1EEEvT1_
	.globl	_ZN7rocprim17ROCPRIM_400000_NS6detail17trampoline_kernelINS0_14default_configENS1_20scan_config_selectorIxEEZZNS1_9scan_implILNS1_25lookback_scan_determinismE0ELb1ELb1ES3_N6thrust23THRUST_200600_302600_NS6detail15normal_iteratorINS9_10device_ptrIxEEEENS9_16discard_iteratorINS9_11use_defaultEEExNS9_4plusIvEExEEDaPvRmT3_T4_T5_mT6_P12ihipStream_tbENKUlT_T0_E_clISt17integral_constantIbLb0EESW_IbLb1EEEEDaSS_ST_EUlSS_E_NS1_11comp_targetILNS1_3genE3ELNS1_11target_archE908ELNS1_3gpuE7ELNS1_3repE0EEENS1_30default_config_static_selectorELNS0_4arch9wavefront6targetE1EEEvT1_
	.p2align	8
	.type	_ZN7rocprim17ROCPRIM_400000_NS6detail17trampoline_kernelINS0_14default_configENS1_20scan_config_selectorIxEEZZNS1_9scan_implILNS1_25lookback_scan_determinismE0ELb1ELb1ES3_N6thrust23THRUST_200600_302600_NS6detail15normal_iteratorINS9_10device_ptrIxEEEENS9_16discard_iteratorINS9_11use_defaultEEExNS9_4plusIvEExEEDaPvRmT3_T4_T5_mT6_P12ihipStream_tbENKUlT_T0_E_clISt17integral_constantIbLb0EESW_IbLb1EEEEDaSS_ST_EUlSS_E_NS1_11comp_targetILNS1_3genE3ELNS1_11target_archE908ELNS1_3gpuE7ELNS1_3repE0EEENS1_30default_config_static_selectorELNS0_4arch9wavefront6targetE1EEEvT1_,@function
_ZN7rocprim17ROCPRIM_400000_NS6detail17trampoline_kernelINS0_14default_configENS1_20scan_config_selectorIxEEZZNS1_9scan_implILNS1_25lookback_scan_determinismE0ELb1ELb1ES3_N6thrust23THRUST_200600_302600_NS6detail15normal_iteratorINS9_10device_ptrIxEEEENS9_16discard_iteratorINS9_11use_defaultEEExNS9_4plusIvEExEEDaPvRmT3_T4_T5_mT6_P12ihipStream_tbENKUlT_T0_E_clISt17integral_constantIbLb0EESW_IbLb1EEEEDaSS_ST_EUlSS_E_NS1_11comp_targetILNS1_3genE3ELNS1_11target_archE908ELNS1_3gpuE7ELNS1_3repE0EEENS1_30default_config_static_selectorELNS0_4arch9wavefront6targetE1EEEvT1_: ; @_ZN7rocprim17ROCPRIM_400000_NS6detail17trampoline_kernelINS0_14default_configENS1_20scan_config_selectorIxEEZZNS1_9scan_implILNS1_25lookback_scan_determinismE0ELb1ELb1ES3_N6thrust23THRUST_200600_302600_NS6detail15normal_iteratorINS9_10device_ptrIxEEEENS9_16discard_iteratorINS9_11use_defaultEEExNS9_4plusIvEExEEDaPvRmT3_T4_T5_mT6_P12ihipStream_tbENKUlT_T0_E_clISt17integral_constantIbLb0EESW_IbLb1EEEEDaSS_ST_EUlSS_E_NS1_11comp_targetILNS1_3genE3ELNS1_11target_archE908ELNS1_3gpuE7ELNS1_3repE0EEENS1_30default_config_static_selectorELNS0_4arch9wavefront6targetE1EEEvT1_
; %bb.0:
	.section	.rodata,"a",@progbits
	.p2align	6, 0x0
	.amdhsa_kernel _ZN7rocprim17ROCPRIM_400000_NS6detail17trampoline_kernelINS0_14default_configENS1_20scan_config_selectorIxEEZZNS1_9scan_implILNS1_25lookback_scan_determinismE0ELb1ELb1ES3_N6thrust23THRUST_200600_302600_NS6detail15normal_iteratorINS9_10device_ptrIxEEEENS9_16discard_iteratorINS9_11use_defaultEEExNS9_4plusIvEExEEDaPvRmT3_T4_T5_mT6_P12ihipStream_tbENKUlT_T0_E_clISt17integral_constantIbLb0EESW_IbLb1EEEEDaSS_ST_EUlSS_E_NS1_11comp_targetILNS1_3genE3ELNS1_11target_archE908ELNS1_3gpuE7ELNS1_3repE0EEENS1_30default_config_static_selectorELNS0_4arch9wavefront6targetE1EEEvT1_
		.amdhsa_group_segment_fixed_size 0
		.amdhsa_private_segment_fixed_size 0
		.amdhsa_kernarg_size 112
		.amdhsa_user_sgpr_count 6
		.amdhsa_user_sgpr_private_segment_buffer 1
		.amdhsa_user_sgpr_dispatch_ptr 0
		.amdhsa_user_sgpr_queue_ptr 0
		.amdhsa_user_sgpr_kernarg_segment_ptr 1
		.amdhsa_user_sgpr_dispatch_id 0
		.amdhsa_user_sgpr_flat_scratch_init 0
		.amdhsa_user_sgpr_kernarg_preload_length 0
		.amdhsa_user_sgpr_kernarg_preload_offset 0
		.amdhsa_user_sgpr_private_segment_size 0
		.amdhsa_uses_dynamic_stack 0
		.amdhsa_system_sgpr_private_segment_wavefront_offset 0
		.amdhsa_system_sgpr_workgroup_id_x 1
		.amdhsa_system_sgpr_workgroup_id_y 0
		.amdhsa_system_sgpr_workgroup_id_z 0
		.amdhsa_system_sgpr_workgroup_info 0
		.amdhsa_system_vgpr_workitem_id 0
		.amdhsa_next_free_vgpr 1
		.amdhsa_next_free_sgpr 0
		.amdhsa_accum_offset 4
		.amdhsa_reserve_vcc 0
		.amdhsa_reserve_flat_scratch 0
		.amdhsa_float_round_mode_32 0
		.amdhsa_float_round_mode_16_64 0
		.amdhsa_float_denorm_mode_32 3
		.amdhsa_float_denorm_mode_16_64 3
		.amdhsa_dx10_clamp 1
		.amdhsa_ieee_mode 1
		.amdhsa_fp16_overflow 0
		.amdhsa_tg_split 0
		.amdhsa_exception_fp_ieee_invalid_op 0
		.amdhsa_exception_fp_denorm_src 0
		.amdhsa_exception_fp_ieee_div_zero 0
		.amdhsa_exception_fp_ieee_overflow 0
		.amdhsa_exception_fp_ieee_underflow 0
		.amdhsa_exception_fp_ieee_inexact 0
		.amdhsa_exception_int_div_zero 0
	.end_amdhsa_kernel
	.section	.text._ZN7rocprim17ROCPRIM_400000_NS6detail17trampoline_kernelINS0_14default_configENS1_20scan_config_selectorIxEEZZNS1_9scan_implILNS1_25lookback_scan_determinismE0ELb1ELb1ES3_N6thrust23THRUST_200600_302600_NS6detail15normal_iteratorINS9_10device_ptrIxEEEENS9_16discard_iteratorINS9_11use_defaultEEExNS9_4plusIvEExEEDaPvRmT3_T4_T5_mT6_P12ihipStream_tbENKUlT_T0_E_clISt17integral_constantIbLb0EESW_IbLb1EEEEDaSS_ST_EUlSS_E_NS1_11comp_targetILNS1_3genE3ELNS1_11target_archE908ELNS1_3gpuE7ELNS1_3repE0EEENS1_30default_config_static_selectorELNS0_4arch9wavefront6targetE1EEEvT1_,"axG",@progbits,_ZN7rocprim17ROCPRIM_400000_NS6detail17trampoline_kernelINS0_14default_configENS1_20scan_config_selectorIxEEZZNS1_9scan_implILNS1_25lookback_scan_determinismE0ELb1ELb1ES3_N6thrust23THRUST_200600_302600_NS6detail15normal_iteratorINS9_10device_ptrIxEEEENS9_16discard_iteratorINS9_11use_defaultEEExNS9_4plusIvEExEEDaPvRmT3_T4_T5_mT6_P12ihipStream_tbENKUlT_T0_E_clISt17integral_constantIbLb0EESW_IbLb1EEEEDaSS_ST_EUlSS_E_NS1_11comp_targetILNS1_3genE3ELNS1_11target_archE908ELNS1_3gpuE7ELNS1_3repE0EEENS1_30default_config_static_selectorELNS0_4arch9wavefront6targetE1EEEvT1_,comdat
.Lfunc_end5711:
	.size	_ZN7rocprim17ROCPRIM_400000_NS6detail17trampoline_kernelINS0_14default_configENS1_20scan_config_selectorIxEEZZNS1_9scan_implILNS1_25lookback_scan_determinismE0ELb1ELb1ES3_N6thrust23THRUST_200600_302600_NS6detail15normal_iteratorINS9_10device_ptrIxEEEENS9_16discard_iteratorINS9_11use_defaultEEExNS9_4plusIvEExEEDaPvRmT3_T4_T5_mT6_P12ihipStream_tbENKUlT_T0_E_clISt17integral_constantIbLb0EESW_IbLb1EEEEDaSS_ST_EUlSS_E_NS1_11comp_targetILNS1_3genE3ELNS1_11target_archE908ELNS1_3gpuE7ELNS1_3repE0EEENS1_30default_config_static_selectorELNS0_4arch9wavefront6targetE1EEEvT1_, .Lfunc_end5711-_ZN7rocprim17ROCPRIM_400000_NS6detail17trampoline_kernelINS0_14default_configENS1_20scan_config_selectorIxEEZZNS1_9scan_implILNS1_25lookback_scan_determinismE0ELb1ELb1ES3_N6thrust23THRUST_200600_302600_NS6detail15normal_iteratorINS9_10device_ptrIxEEEENS9_16discard_iteratorINS9_11use_defaultEEExNS9_4plusIvEExEEDaPvRmT3_T4_T5_mT6_P12ihipStream_tbENKUlT_T0_E_clISt17integral_constantIbLb0EESW_IbLb1EEEEDaSS_ST_EUlSS_E_NS1_11comp_targetILNS1_3genE3ELNS1_11target_archE908ELNS1_3gpuE7ELNS1_3repE0EEENS1_30default_config_static_selectorELNS0_4arch9wavefront6targetE1EEEvT1_
                                        ; -- End function
	.section	.AMDGPU.csdata,"",@progbits
; Kernel info:
; codeLenInByte = 0
; NumSgprs: 4
; NumVgprs: 0
; NumAgprs: 0
; TotalNumVgprs: 0
; ScratchSize: 0
; MemoryBound: 0
; FloatMode: 240
; IeeeMode: 1
; LDSByteSize: 0 bytes/workgroup (compile time only)
; SGPRBlocks: 0
; VGPRBlocks: 0
; NumSGPRsForWavesPerEU: 4
; NumVGPRsForWavesPerEU: 1
; AccumOffset: 4
; Occupancy: 8
; WaveLimiterHint : 0
; COMPUTE_PGM_RSRC2:SCRATCH_EN: 0
; COMPUTE_PGM_RSRC2:USER_SGPR: 6
; COMPUTE_PGM_RSRC2:TRAP_HANDLER: 0
; COMPUTE_PGM_RSRC2:TGID_X_EN: 1
; COMPUTE_PGM_RSRC2:TGID_Y_EN: 0
; COMPUTE_PGM_RSRC2:TGID_Z_EN: 0
; COMPUTE_PGM_RSRC2:TIDIG_COMP_CNT: 0
; COMPUTE_PGM_RSRC3_GFX90A:ACCUM_OFFSET: 0
; COMPUTE_PGM_RSRC3_GFX90A:TG_SPLIT: 0
	.section	.text._ZN7rocprim17ROCPRIM_400000_NS6detail17trampoline_kernelINS0_14default_configENS1_20scan_config_selectorIxEEZZNS1_9scan_implILNS1_25lookback_scan_determinismE0ELb1ELb1ES3_N6thrust23THRUST_200600_302600_NS6detail15normal_iteratorINS9_10device_ptrIxEEEENS9_16discard_iteratorINS9_11use_defaultEEExNS9_4plusIvEExEEDaPvRmT3_T4_T5_mT6_P12ihipStream_tbENKUlT_T0_E_clISt17integral_constantIbLb0EESW_IbLb1EEEEDaSS_ST_EUlSS_E_NS1_11comp_targetILNS1_3genE2ELNS1_11target_archE906ELNS1_3gpuE6ELNS1_3repE0EEENS1_30default_config_static_selectorELNS0_4arch9wavefront6targetE1EEEvT1_,"axG",@progbits,_ZN7rocprim17ROCPRIM_400000_NS6detail17trampoline_kernelINS0_14default_configENS1_20scan_config_selectorIxEEZZNS1_9scan_implILNS1_25lookback_scan_determinismE0ELb1ELb1ES3_N6thrust23THRUST_200600_302600_NS6detail15normal_iteratorINS9_10device_ptrIxEEEENS9_16discard_iteratorINS9_11use_defaultEEExNS9_4plusIvEExEEDaPvRmT3_T4_T5_mT6_P12ihipStream_tbENKUlT_T0_E_clISt17integral_constantIbLb0EESW_IbLb1EEEEDaSS_ST_EUlSS_E_NS1_11comp_targetILNS1_3genE2ELNS1_11target_archE906ELNS1_3gpuE6ELNS1_3repE0EEENS1_30default_config_static_selectorELNS0_4arch9wavefront6targetE1EEEvT1_,comdat
	.protected	_ZN7rocprim17ROCPRIM_400000_NS6detail17trampoline_kernelINS0_14default_configENS1_20scan_config_selectorIxEEZZNS1_9scan_implILNS1_25lookback_scan_determinismE0ELb1ELb1ES3_N6thrust23THRUST_200600_302600_NS6detail15normal_iteratorINS9_10device_ptrIxEEEENS9_16discard_iteratorINS9_11use_defaultEEExNS9_4plusIvEExEEDaPvRmT3_T4_T5_mT6_P12ihipStream_tbENKUlT_T0_E_clISt17integral_constantIbLb0EESW_IbLb1EEEEDaSS_ST_EUlSS_E_NS1_11comp_targetILNS1_3genE2ELNS1_11target_archE906ELNS1_3gpuE6ELNS1_3repE0EEENS1_30default_config_static_selectorELNS0_4arch9wavefront6targetE1EEEvT1_ ; -- Begin function _ZN7rocprim17ROCPRIM_400000_NS6detail17trampoline_kernelINS0_14default_configENS1_20scan_config_selectorIxEEZZNS1_9scan_implILNS1_25lookback_scan_determinismE0ELb1ELb1ES3_N6thrust23THRUST_200600_302600_NS6detail15normal_iteratorINS9_10device_ptrIxEEEENS9_16discard_iteratorINS9_11use_defaultEEExNS9_4plusIvEExEEDaPvRmT3_T4_T5_mT6_P12ihipStream_tbENKUlT_T0_E_clISt17integral_constantIbLb0EESW_IbLb1EEEEDaSS_ST_EUlSS_E_NS1_11comp_targetILNS1_3genE2ELNS1_11target_archE906ELNS1_3gpuE6ELNS1_3repE0EEENS1_30default_config_static_selectorELNS0_4arch9wavefront6targetE1EEEvT1_
	.globl	_ZN7rocprim17ROCPRIM_400000_NS6detail17trampoline_kernelINS0_14default_configENS1_20scan_config_selectorIxEEZZNS1_9scan_implILNS1_25lookback_scan_determinismE0ELb1ELb1ES3_N6thrust23THRUST_200600_302600_NS6detail15normal_iteratorINS9_10device_ptrIxEEEENS9_16discard_iteratorINS9_11use_defaultEEExNS9_4plusIvEExEEDaPvRmT3_T4_T5_mT6_P12ihipStream_tbENKUlT_T0_E_clISt17integral_constantIbLb0EESW_IbLb1EEEEDaSS_ST_EUlSS_E_NS1_11comp_targetILNS1_3genE2ELNS1_11target_archE906ELNS1_3gpuE6ELNS1_3repE0EEENS1_30default_config_static_selectorELNS0_4arch9wavefront6targetE1EEEvT1_
	.p2align	8
	.type	_ZN7rocprim17ROCPRIM_400000_NS6detail17trampoline_kernelINS0_14default_configENS1_20scan_config_selectorIxEEZZNS1_9scan_implILNS1_25lookback_scan_determinismE0ELb1ELb1ES3_N6thrust23THRUST_200600_302600_NS6detail15normal_iteratorINS9_10device_ptrIxEEEENS9_16discard_iteratorINS9_11use_defaultEEExNS9_4plusIvEExEEDaPvRmT3_T4_T5_mT6_P12ihipStream_tbENKUlT_T0_E_clISt17integral_constantIbLb0EESW_IbLb1EEEEDaSS_ST_EUlSS_E_NS1_11comp_targetILNS1_3genE2ELNS1_11target_archE906ELNS1_3gpuE6ELNS1_3repE0EEENS1_30default_config_static_selectorELNS0_4arch9wavefront6targetE1EEEvT1_,@function
_ZN7rocprim17ROCPRIM_400000_NS6detail17trampoline_kernelINS0_14default_configENS1_20scan_config_selectorIxEEZZNS1_9scan_implILNS1_25lookback_scan_determinismE0ELb1ELb1ES3_N6thrust23THRUST_200600_302600_NS6detail15normal_iteratorINS9_10device_ptrIxEEEENS9_16discard_iteratorINS9_11use_defaultEEExNS9_4plusIvEExEEDaPvRmT3_T4_T5_mT6_P12ihipStream_tbENKUlT_T0_E_clISt17integral_constantIbLb0EESW_IbLb1EEEEDaSS_ST_EUlSS_E_NS1_11comp_targetILNS1_3genE2ELNS1_11target_archE906ELNS1_3gpuE6ELNS1_3repE0EEENS1_30default_config_static_selectorELNS0_4arch9wavefront6targetE1EEEvT1_: ; @_ZN7rocprim17ROCPRIM_400000_NS6detail17trampoline_kernelINS0_14default_configENS1_20scan_config_selectorIxEEZZNS1_9scan_implILNS1_25lookback_scan_determinismE0ELb1ELb1ES3_N6thrust23THRUST_200600_302600_NS6detail15normal_iteratorINS9_10device_ptrIxEEEENS9_16discard_iteratorINS9_11use_defaultEEExNS9_4plusIvEExEEDaPvRmT3_T4_T5_mT6_P12ihipStream_tbENKUlT_T0_E_clISt17integral_constantIbLb0EESW_IbLb1EEEEDaSS_ST_EUlSS_E_NS1_11comp_targetILNS1_3genE2ELNS1_11target_archE906ELNS1_3gpuE6ELNS1_3repE0EEENS1_30default_config_static_selectorELNS0_4arch9wavefront6targetE1EEEvT1_
; %bb.0:
	.section	.rodata,"a",@progbits
	.p2align	6, 0x0
	.amdhsa_kernel _ZN7rocprim17ROCPRIM_400000_NS6detail17trampoline_kernelINS0_14default_configENS1_20scan_config_selectorIxEEZZNS1_9scan_implILNS1_25lookback_scan_determinismE0ELb1ELb1ES3_N6thrust23THRUST_200600_302600_NS6detail15normal_iteratorINS9_10device_ptrIxEEEENS9_16discard_iteratorINS9_11use_defaultEEExNS9_4plusIvEExEEDaPvRmT3_T4_T5_mT6_P12ihipStream_tbENKUlT_T0_E_clISt17integral_constantIbLb0EESW_IbLb1EEEEDaSS_ST_EUlSS_E_NS1_11comp_targetILNS1_3genE2ELNS1_11target_archE906ELNS1_3gpuE6ELNS1_3repE0EEENS1_30default_config_static_selectorELNS0_4arch9wavefront6targetE1EEEvT1_
		.amdhsa_group_segment_fixed_size 0
		.amdhsa_private_segment_fixed_size 0
		.amdhsa_kernarg_size 112
		.amdhsa_user_sgpr_count 6
		.amdhsa_user_sgpr_private_segment_buffer 1
		.amdhsa_user_sgpr_dispatch_ptr 0
		.amdhsa_user_sgpr_queue_ptr 0
		.amdhsa_user_sgpr_kernarg_segment_ptr 1
		.amdhsa_user_sgpr_dispatch_id 0
		.amdhsa_user_sgpr_flat_scratch_init 0
		.amdhsa_user_sgpr_kernarg_preload_length 0
		.amdhsa_user_sgpr_kernarg_preload_offset 0
		.amdhsa_user_sgpr_private_segment_size 0
		.amdhsa_uses_dynamic_stack 0
		.amdhsa_system_sgpr_private_segment_wavefront_offset 0
		.amdhsa_system_sgpr_workgroup_id_x 1
		.amdhsa_system_sgpr_workgroup_id_y 0
		.amdhsa_system_sgpr_workgroup_id_z 0
		.amdhsa_system_sgpr_workgroup_info 0
		.amdhsa_system_vgpr_workitem_id 0
		.amdhsa_next_free_vgpr 1
		.amdhsa_next_free_sgpr 0
		.amdhsa_accum_offset 4
		.amdhsa_reserve_vcc 0
		.amdhsa_reserve_flat_scratch 0
		.amdhsa_float_round_mode_32 0
		.amdhsa_float_round_mode_16_64 0
		.amdhsa_float_denorm_mode_32 3
		.amdhsa_float_denorm_mode_16_64 3
		.amdhsa_dx10_clamp 1
		.amdhsa_ieee_mode 1
		.amdhsa_fp16_overflow 0
		.amdhsa_tg_split 0
		.amdhsa_exception_fp_ieee_invalid_op 0
		.amdhsa_exception_fp_denorm_src 0
		.amdhsa_exception_fp_ieee_div_zero 0
		.amdhsa_exception_fp_ieee_overflow 0
		.amdhsa_exception_fp_ieee_underflow 0
		.amdhsa_exception_fp_ieee_inexact 0
		.amdhsa_exception_int_div_zero 0
	.end_amdhsa_kernel
	.section	.text._ZN7rocprim17ROCPRIM_400000_NS6detail17trampoline_kernelINS0_14default_configENS1_20scan_config_selectorIxEEZZNS1_9scan_implILNS1_25lookback_scan_determinismE0ELb1ELb1ES3_N6thrust23THRUST_200600_302600_NS6detail15normal_iteratorINS9_10device_ptrIxEEEENS9_16discard_iteratorINS9_11use_defaultEEExNS9_4plusIvEExEEDaPvRmT3_T4_T5_mT6_P12ihipStream_tbENKUlT_T0_E_clISt17integral_constantIbLb0EESW_IbLb1EEEEDaSS_ST_EUlSS_E_NS1_11comp_targetILNS1_3genE2ELNS1_11target_archE906ELNS1_3gpuE6ELNS1_3repE0EEENS1_30default_config_static_selectorELNS0_4arch9wavefront6targetE1EEEvT1_,"axG",@progbits,_ZN7rocprim17ROCPRIM_400000_NS6detail17trampoline_kernelINS0_14default_configENS1_20scan_config_selectorIxEEZZNS1_9scan_implILNS1_25lookback_scan_determinismE0ELb1ELb1ES3_N6thrust23THRUST_200600_302600_NS6detail15normal_iteratorINS9_10device_ptrIxEEEENS9_16discard_iteratorINS9_11use_defaultEEExNS9_4plusIvEExEEDaPvRmT3_T4_T5_mT6_P12ihipStream_tbENKUlT_T0_E_clISt17integral_constantIbLb0EESW_IbLb1EEEEDaSS_ST_EUlSS_E_NS1_11comp_targetILNS1_3genE2ELNS1_11target_archE906ELNS1_3gpuE6ELNS1_3repE0EEENS1_30default_config_static_selectorELNS0_4arch9wavefront6targetE1EEEvT1_,comdat
.Lfunc_end5712:
	.size	_ZN7rocprim17ROCPRIM_400000_NS6detail17trampoline_kernelINS0_14default_configENS1_20scan_config_selectorIxEEZZNS1_9scan_implILNS1_25lookback_scan_determinismE0ELb1ELb1ES3_N6thrust23THRUST_200600_302600_NS6detail15normal_iteratorINS9_10device_ptrIxEEEENS9_16discard_iteratorINS9_11use_defaultEEExNS9_4plusIvEExEEDaPvRmT3_T4_T5_mT6_P12ihipStream_tbENKUlT_T0_E_clISt17integral_constantIbLb0EESW_IbLb1EEEEDaSS_ST_EUlSS_E_NS1_11comp_targetILNS1_3genE2ELNS1_11target_archE906ELNS1_3gpuE6ELNS1_3repE0EEENS1_30default_config_static_selectorELNS0_4arch9wavefront6targetE1EEEvT1_, .Lfunc_end5712-_ZN7rocprim17ROCPRIM_400000_NS6detail17trampoline_kernelINS0_14default_configENS1_20scan_config_selectorIxEEZZNS1_9scan_implILNS1_25lookback_scan_determinismE0ELb1ELb1ES3_N6thrust23THRUST_200600_302600_NS6detail15normal_iteratorINS9_10device_ptrIxEEEENS9_16discard_iteratorINS9_11use_defaultEEExNS9_4plusIvEExEEDaPvRmT3_T4_T5_mT6_P12ihipStream_tbENKUlT_T0_E_clISt17integral_constantIbLb0EESW_IbLb1EEEEDaSS_ST_EUlSS_E_NS1_11comp_targetILNS1_3genE2ELNS1_11target_archE906ELNS1_3gpuE6ELNS1_3repE0EEENS1_30default_config_static_selectorELNS0_4arch9wavefront6targetE1EEEvT1_
                                        ; -- End function
	.section	.AMDGPU.csdata,"",@progbits
; Kernel info:
; codeLenInByte = 0
; NumSgprs: 4
; NumVgprs: 0
; NumAgprs: 0
; TotalNumVgprs: 0
; ScratchSize: 0
; MemoryBound: 0
; FloatMode: 240
; IeeeMode: 1
; LDSByteSize: 0 bytes/workgroup (compile time only)
; SGPRBlocks: 0
; VGPRBlocks: 0
; NumSGPRsForWavesPerEU: 4
; NumVGPRsForWavesPerEU: 1
; AccumOffset: 4
; Occupancy: 8
; WaveLimiterHint : 0
; COMPUTE_PGM_RSRC2:SCRATCH_EN: 0
; COMPUTE_PGM_RSRC2:USER_SGPR: 6
; COMPUTE_PGM_RSRC2:TRAP_HANDLER: 0
; COMPUTE_PGM_RSRC2:TGID_X_EN: 1
; COMPUTE_PGM_RSRC2:TGID_Y_EN: 0
; COMPUTE_PGM_RSRC2:TGID_Z_EN: 0
; COMPUTE_PGM_RSRC2:TIDIG_COMP_CNT: 0
; COMPUTE_PGM_RSRC3_GFX90A:ACCUM_OFFSET: 0
; COMPUTE_PGM_RSRC3_GFX90A:TG_SPLIT: 0
	.section	.text._ZN7rocprim17ROCPRIM_400000_NS6detail17trampoline_kernelINS0_14default_configENS1_20scan_config_selectorIxEEZZNS1_9scan_implILNS1_25lookback_scan_determinismE0ELb1ELb1ES3_N6thrust23THRUST_200600_302600_NS6detail15normal_iteratorINS9_10device_ptrIxEEEENS9_16discard_iteratorINS9_11use_defaultEEExNS9_4plusIvEExEEDaPvRmT3_T4_T5_mT6_P12ihipStream_tbENKUlT_T0_E_clISt17integral_constantIbLb0EESW_IbLb1EEEEDaSS_ST_EUlSS_E_NS1_11comp_targetILNS1_3genE10ELNS1_11target_archE1201ELNS1_3gpuE5ELNS1_3repE0EEENS1_30default_config_static_selectorELNS0_4arch9wavefront6targetE1EEEvT1_,"axG",@progbits,_ZN7rocprim17ROCPRIM_400000_NS6detail17trampoline_kernelINS0_14default_configENS1_20scan_config_selectorIxEEZZNS1_9scan_implILNS1_25lookback_scan_determinismE0ELb1ELb1ES3_N6thrust23THRUST_200600_302600_NS6detail15normal_iteratorINS9_10device_ptrIxEEEENS9_16discard_iteratorINS9_11use_defaultEEExNS9_4plusIvEExEEDaPvRmT3_T4_T5_mT6_P12ihipStream_tbENKUlT_T0_E_clISt17integral_constantIbLb0EESW_IbLb1EEEEDaSS_ST_EUlSS_E_NS1_11comp_targetILNS1_3genE10ELNS1_11target_archE1201ELNS1_3gpuE5ELNS1_3repE0EEENS1_30default_config_static_selectorELNS0_4arch9wavefront6targetE1EEEvT1_,comdat
	.protected	_ZN7rocprim17ROCPRIM_400000_NS6detail17trampoline_kernelINS0_14default_configENS1_20scan_config_selectorIxEEZZNS1_9scan_implILNS1_25lookback_scan_determinismE0ELb1ELb1ES3_N6thrust23THRUST_200600_302600_NS6detail15normal_iteratorINS9_10device_ptrIxEEEENS9_16discard_iteratorINS9_11use_defaultEEExNS9_4plusIvEExEEDaPvRmT3_T4_T5_mT6_P12ihipStream_tbENKUlT_T0_E_clISt17integral_constantIbLb0EESW_IbLb1EEEEDaSS_ST_EUlSS_E_NS1_11comp_targetILNS1_3genE10ELNS1_11target_archE1201ELNS1_3gpuE5ELNS1_3repE0EEENS1_30default_config_static_selectorELNS0_4arch9wavefront6targetE1EEEvT1_ ; -- Begin function _ZN7rocprim17ROCPRIM_400000_NS6detail17trampoline_kernelINS0_14default_configENS1_20scan_config_selectorIxEEZZNS1_9scan_implILNS1_25lookback_scan_determinismE0ELb1ELb1ES3_N6thrust23THRUST_200600_302600_NS6detail15normal_iteratorINS9_10device_ptrIxEEEENS9_16discard_iteratorINS9_11use_defaultEEExNS9_4plusIvEExEEDaPvRmT3_T4_T5_mT6_P12ihipStream_tbENKUlT_T0_E_clISt17integral_constantIbLb0EESW_IbLb1EEEEDaSS_ST_EUlSS_E_NS1_11comp_targetILNS1_3genE10ELNS1_11target_archE1201ELNS1_3gpuE5ELNS1_3repE0EEENS1_30default_config_static_selectorELNS0_4arch9wavefront6targetE1EEEvT1_
	.globl	_ZN7rocprim17ROCPRIM_400000_NS6detail17trampoline_kernelINS0_14default_configENS1_20scan_config_selectorIxEEZZNS1_9scan_implILNS1_25lookback_scan_determinismE0ELb1ELb1ES3_N6thrust23THRUST_200600_302600_NS6detail15normal_iteratorINS9_10device_ptrIxEEEENS9_16discard_iteratorINS9_11use_defaultEEExNS9_4plusIvEExEEDaPvRmT3_T4_T5_mT6_P12ihipStream_tbENKUlT_T0_E_clISt17integral_constantIbLb0EESW_IbLb1EEEEDaSS_ST_EUlSS_E_NS1_11comp_targetILNS1_3genE10ELNS1_11target_archE1201ELNS1_3gpuE5ELNS1_3repE0EEENS1_30default_config_static_selectorELNS0_4arch9wavefront6targetE1EEEvT1_
	.p2align	8
	.type	_ZN7rocprim17ROCPRIM_400000_NS6detail17trampoline_kernelINS0_14default_configENS1_20scan_config_selectorIxEEZZNS1_9scan_implILNS1_25lookback_scan_determinismE0ELb1ELb1ES3_N6thrust23THRUST_200600_302600_NS6detail15normal_iteratorINS9_10device_ptrIxEEEENS9_16discard_iteratorINS9_11use_defaultEEExNS9_4plusIvEExEEDaPvRmT3_T4_T5_mT6_P12ihipStream_tbENKUlT_T0_E_clISt17integral_constantIbLb0EESW_IbLb1EEEEDaSS_ST_EUlSS_E_NS1_11comp_targetILNS1_3genE10ELNS1_11target_archE1201ELNS1_3gpuE5ELNS1_3repE0EEENS1_30default_config_static_selectorELNS0_4arch9wavefront6targetE1EEEvT1_,@function
_ZN7rocprim17ROCPRIM_400000_NS6detail17trampoline_kernelINS0_14default_configENS1_20scan_config_selectorIxEEZZNS1_9scan_implILNS1_25lookback_scan_determinismE0ELb1ELb1ES3_N6thrust23THRUST_200600_302600_NS6detail15normal_iteratorINS9_10device_ptrIxEEEENS9_16discard_iteratorINS9_11use_defaultEEExNS9_4plusIvEExEEDaPvRmT3_T4_T5_mT6_P12ihipStream_tbENKUlT_T0_E_clISt17integral_constantIbLb0EESW_IbLb1EEEEDaSS_ST_EUlSS_E_NS1_11comp_targetILNS1_3genE10ELNS1_11target_archE1201ELNS1_3gpuE5ELNS1_3repE0EEENS1_30default_config_static_selectorELNS0_4arch9wavefront6targetE1EEEvT1_: ; @_ZN7rocprim17ROCPRIM_400000_NS6detail17trampoline_kernelINS0_14default_configENS1_20scan_config_selectorIxEEZZNS1_9scan_implILNS1_25lookback_scan_determinismE0ELb1ELb1ES3_N6thrust23THRUST_200600_302600_NS6detail15normal_iteratorINS9_10device_ptrIxEEEENS9_16discard_iteratorINS9_11use_defaultEEExNS9_4plusIvEExEEDaPvRmT3_T4_T5_mT6_P12ihipStream_tbENKUlT_T0_E_clISt17integral_constantIbLb0EESW_IbLb1EEEEDaSS_ST_EUlSS_E_NS1_11comp_targetILNS1_3genE10ELNS1_11target_archE1201ELNS1_3gpuE5ELNS1_3repE0EEENS1_30default_config_static_selectorELNS0_4arch9wavefront6targetE1EEEvT1_
; %bb.0:
	.section	.rodata,"a",@progbits
	.p2align	6, 0x0
	.amdhsa_kernel _ZN7rocprim17ROCPRIM_400000_NS6detail17trampoline_kernelINS0_14default_configENS1_20scan_config_selectorIxEEZZNS1_9scan_implILNS1_25lookback_scan_determinismE0ELb1ELb1ES3_N6thrust23THRUST_200600_302600_NS6detail15normal_iteratorINS9_10device_ptrIxEEEENS9_16discard_iteratorINS9_11use_defaultEEExNS9_4plusIvEExEEDaPvRmT3_T4_T5_mT6_P12ihipStream_tbENKUlT_T0_E_clISt17integral_constantIbLb0EESW_IbLb1EEEEDaSS_ST_EUlSS_E_NS1_11comp_targetILNS1_3genE10ELNS1_11target_archE1201ELNS1_3gpuE5ELNS1_3repE0EEENS1_30default_config_static_selectorELNS0_4arch9wavefront6targetE1EEEvT1_
		.amdhsa_group_segment_fixed_size 0
		.amdhsa_private_segment_fixed_size 0
		.amdhsa_kernarg_size 112
		.amdhsa_user_sgpr_count 6
		.amdhsa_user_sgpr_private_segment_buffer 1
		.amdhsa_user_sgpr_dispatch_ptr 0
		.amdhsa_user_sgpr_queue_ptr 0
		.amdhsa_user_sgpr_kernarg_segment_ptr 1
		.amdhsa_user_sgpr_dispatch_id 0
		.amdhsa_user_sgpr_flat_scratch_init 0
		.amdhsa_user_sgpr_kernarg_preload_length 0
		.amdhsa_user_sgpr_kernarg_preload_offset 0
		.amdhsa_user_sgpr_private_segment_size 0
		.amdhsa_uses_dynamic_stack 0
		.amdhsa_system_sgpr_private_segment_wavefront_offset 0
		.amdhsa_system_sgpr_workgroup_id_x 1
		.amdhsa_system_sgpr_workgroup_id_y 0
		.amdhsa_system_sgpr_workgroup_id_z 0
		.amdhsa_system_sgpr_workgroup_info 0
		.amdhsa_system_vgpr_workitem_id 0
		.amdhsa_next_free_vgpr 1
		.amdhsa_next_free_sgpr 0
		.amdhsa_accum_offset 4
		.amdhsa_reserve_vcc 0
		.amdhsa_reserve_flat_scratch 0
		.amdhsa_float_round_mode_32 0
		.amdhsa_float_round_mode_16_64 0
		.amdhsa_float_denorm_mode_32 3
		.amdhsa_float_denorm_mode_16_64 3
		.amdhsa_dx10_clamp 1
		.amdhsa_ieee_mode 1
		.amdhsa_fp16_overflow 0
		.amdhsa_tg_split 0
		.amdhsa_exception_fp_ieee_invalid_op 0
		.amdhsa_exception_fp_denorm_src 0
		.amdhsa_exception_fp_ieee_div_zero 0
		.amdhsa_exception_fp_ieee_overflow 0
		.amdhsa_exception_fp_ieee_underflow 0
		.amdhsa_exception_fp_ieee_inexact 0
		.amdhsa_exception_int_div_zero 0
	.end_amdhsa_kernel
	.section	.text._ZN7rocprim17ROCPRIM_400000_NS6detail17trampoline_kernelINS0_14default_configENS1_20scan_config_selectorIxEEZZNS1_9scan_implILNS1_25lookback_scan_determinismE0ELb1ELb1ES3_N6thrust23THRUST_200600_302600_NS6detail15normal_iteratorINS9_10device_ptrIxEEEENS9_16discard_iteratorINS9_11use_defaultEEExNS9_4plusIvEExEEDaPvRmT3_T4_T5_mT6_P12ihipStream_tbENKUlT_T0_E_clISt17integral_constantIbLb0EESW_IbLb1EEEEDaSS_ST_EUlSS_E_NS1_11comp_targetILNS1_3genE10ELNS1_11target_archE1201ELNS1_3gpuE5ELNS1_3repE0EEENS1_30default_config_static_selectorELNS0_4arch9wavefront6targetE1EEEvT1_,"axG",@progbits,_ZN7rocprim17ROCPRIM_400000_NS6detail17trampoline_kernelINS0_14default_configENS1_20scan_config_selectorIxEEZZNS1_9scan_implILNS1_25lookback_scan_determinismE0ELb1ELb1ES3_N6thrust23THRUST_200600_302600_NS6detail15normal_iteratorINS9_10device_ptrIxEEEENS9_16discard_iteratorINS9_11use_defaultEEExNS9_4plusIvEExEEDaPvRmT3_T4_T5_mT6_P12ihipStream_tbENKUlT_T0_E_clISt17integral_constantIbLb0EESW_IbLb1EEEEDaSS_ST_EUlSS_E_NS1_11comp_targetILNS1_3genE10ELNS1_11target_archE1201ELNS1_3gpuE5ELNS1_3repE0EEENS1_30default_config_static_selectorELNS0_4arch9wavefront6targetE1EEEvT1_,comdat
.Lfunc_end5713:
	.size	_ZN7rocprim17ROCPRIM_400000_NS6detail17trampoline_kernelINS0_14default_configENS1_20scan_config_selectorIxEEZZNS1_9scan_implILNS1_25lookback_scan_determinismE0ELb1ELb1ES3_N6thrust23THRUST_200600_302600_NS6detail15normal_iteratorINS9_10device_ptrIxEEEENS9_16discard_iteratorINS9_11use_defaultEEExNS9_4plusIvEExEEDaPvRmT3_T4_T5_mT6_P12ihipStream_tbENKUlT_T0_E_clISt17integral_constantIbLb0EESW_IbLb1EEEEDaSS_ST_EUlSS_E_NS1_11comp_targetILNS1_3genE10ELNS1_11target_archE1201ELNS1_3gpuE5ELNS1_3repE0EEENS1_30default_config_static_selectorELNS0_4arch9wavefront6targetE1EEEvT1_, .Lfunc_end5713-_ZN7rocprim17ROCPRIM_400000_NS6detail17trampoline_kernelINS0_14default_configENS1_20scan_config_selectorIxEEZZNS1_9scan_implILNS1_25lookback_scan_determinismE0ELb1ELb1ES3_N6thrust23THRUST_200600_302600_NS6detail15normal_iteratorINS9_10device_ptrIxEEEENS9_16discard_iteratorINS9_11use_defaultEEExNS9_4plusIvEExEEDaPvRmT3_T4_T5_mT6_P12ihipStream_tbENKUlT_T0_E_clISt17integral_constantIbLb0EESW_IbLb1EEEEDaSS_ST_EUlSS_E_NS1_11comp_targetILNS1_3genE10ELNS1_11target_archE1201ELNS1_3gpuE5ELNS1_3repE0EEENS1_30default_config_static_selectorELNS0_4arch9wavefront6targetE1EEEvT1_
                                        ; -- End function
	.section	.AMDGPU.csdata,"",@progbits
; Kernel info:
; codeLenInByte = 0
; NumSgprs: 4
; NumVgprs: 0
; NumAgprs: 0
; TotalNumVgprs: 0
; ScratchSize: 0
; MemoryBound: 0
; FloatMode: 240
; IeeeMode: 1
; LDSByteSize: 0 bytes/workgroup (compile time only)
; SGPRBlocks: 0
; VGPRBlocks: 0
; NumSGPRsForWavesPerEU: 4
; NumVGPRsForWavesPerEU: 1
; AccumOffset: 4
; Occupancy: 8
; WaveLimiterHint : 0
; COMPUTE_PGM_RSRC2:SCRATCH_EN: 0
; COMPUTE_PGM_RSRC2:USER_SGPR: 6
; COMPUTE_PGM_RSRC2:TRAP_HANDLER: 0
; COMPUTE_PGM_RSRC2:TGID_X_EN: 1
; COMPUTE_PGM_RSRC2:TGID_Y_EN: 0
; COMPUTE_PGM_RSRC2:TGID_Z_EN: 0
; COMPUTE_PGM_RSRC2:TIDIG_COMP_CNT: 0
; COMPUTE_PGM_RSRC3_GFX90A:ACCUM_OFFSET: 0
; COMPUTE_PGM_RSRC3_GFX90A:TG_SPLIT: 0
	.section	.text._ZN7rocprim17ROCPRIM_400000_NS6detail17trampoline_kernelINS0_14default_configENS1_20scan_config_selectorIxEEZZNS1_9scan_implILNS1_25lookback_scan_determinismE0ELb1ELb1ES3_N6thrust23THRUST_200600_302600_NS6detail15normal_iteratorINS9_10device_ptrIxEEEENS9_16discard_iteratorINS9_11use_defaultEEExNS9_4plusIvEExEEDaPvRmT3_T4_T5_mT6_P12ihipStream_tbENKUlT_T0_E_clISt17integral_constantIbLb0EESW_IbLb1EEEEDaSS_ST_EUlSS_E_NS1_11comp_targetILNS1_3genE10ELNS1_11target_archE1200ELNS1_3gpuE4ELNS1_3repE0EEENS1_30default_config_static_selectorELNS0_4arch9wavefront6targetE1EEEvT1_,"axG",@progbits,_ZN7rocprim17ROCPRIM_400000_NS6detail17trampoline_kernelINS0_14default_configENS1_20scan_config_selectorIxEEZZNS1_9scan_implILNS1_25lookback_scan_determinismE0ELb1ELb1ES3_N6thrust23THRUST_200600_302600_NS6detail15normal_iteratorINS9_10device_ptrIxEEEENS9_16discard_iteratorINS9_11use_defaultEEExNS9_4plusIvEExEEDaPvRmT3_T4_T5_mT6_P12ihipStream_tbENKUlT_T0_E_clISt17integral_constantIbLb0EESW_IbLb1EEEEDaSS_ST_EUlSS_E_NS1_11comp_targetILNS1_3genE10ELNS1_11target_archE1200ELNS1_3gpuE4ELNS1_3repE0EEENS1_30default_config_static_selectorELNS0_4arch9wavefront6targetE1EEEvT1_,comdat
	.protected	_ZN7rocprim17ROCPRIM_400000_NS6detail17trampoline_kernelINS0_14default_configENS1_20scan_config_selectorIxEEZZNS1_9scan_implILNS1_25lookback_scan_determinismE0ELb1ELb1ES3_N6thrust23THRUST_200600_302600_NS6detail15normal_iteratorINS9_10device_ptrIxEEEENS9_16discard_iteratorINS9_11use_defaultEEExNS9_4plusIvEExEEDaPvRmT3_T4_T5_mT6_P12ihipStream_tbENKUlT_T0_E_clISt17integral_constantIbLb0EESW_IbLb1EEEEDaSS_ST_EUlSS_E_NS1_11comp_targetILNS1_3genE10ELNS1_11target_archE1200ELNS1_3gpuE4ELNS1_3repE0EEENS1_30default_config_static_selectorELNS0_4arch9wavefront6targetE1EEEvT1_ ; -- Begin function _ZN7rocprim17ROCPRIM_400000_NS6detail17trampoline_kernelINS0_14default_configENS1_20scan_config_selectorIxEEZZNS1_9scan_implILNS1_25lookback_scan_determinismE0ELb1ELb1ES3_N6thrust23THRUST_200600_302600_NS6detail15normal_iteratorINS9_10device_ptrIxEEEENS9_16discard_iteratorINS9_11use_defaultEEExNS9_4plusIvEExEEDaPvRmT3_T4_T5_mT6_P12ihipStream_tbENKUlT_T0_E_clISt17integral_constantIbLb0EESW_IbLb1EEEEDaSS_ST_EUlSS_E_NS1_11comp_targetILNS1_3genE10ELNS1_11target_archE1200ELNS1_3gpuE4ELNS1_3repE0EEENS1_30default_config_static_selectorELNS0_4arch9wavefront6targetE1EEEvT1_
	.globl	_ZN7rocprim17ROCPRIM_400000_NS6detail17trampoline_kernelINS0_14default_configENS1_20scan_config_selectorIxEEZZNS1_9scan_implILNS1_25lookback_scan_determinismE0ELb1ELb1ES3_N6thrust23THRUST_200600_302600_NS6detail15normal_iteratorINS9_10device_ptrIxEEEENS9_16discard_iteratorINS9_11use_defaultEEExNS9_4plusIvEExEEDaPvRmT3_T4_T5_mT6_P12ihipStream_tbENKUlT_T0_E_clISt17integral_constantIbLb0EESW_IbLb1EEEEDaSS_ST_EUlSS_E_NS1_11comp_targetILNS1_3genE10ELNS1_11target_archE1200ELNS1_3gpuE4ELNS1_3repE0EEENS1_30default_config_static_selectorELNS0_4arch9wavefront6targetE1EEEvT1_
	.p2align	8
	.type	_ZN7rocprim17ROCPRIM_400000_NS6detail17trampoline_kernelINS0_14default_configENS1_20scan_config_selectorIxEEZZNS1_9scan_implILNS1_25lookback_scan_determinismE0ELb1ELb1ES3_N6thrust23THRUST_200600_302600_NS6detail15normal_iteratorINS9_10device_ptrIxEEEENS9_16discard_iteratorINS9_11use_defaultEEExNS9_4plusIvEExEEDaPvRmT3_T4_T5_mT6_P12ihipStream_tbENKUlT_T0_E_clISt17integral_constantIbLb0EESW_IbLb1EEEEDaSS_ST_EUlSS_E_NS1_11comp_targetILNS1_3genE10ELNS1_11target_archE1200ELNS1_3gpuE4ELNS1_3repE0EEENS1_30default_config_static_selectorELNS0_4arch9wavefront6targetE1EEEvT1_,@function
_ZN7rocprim17ROCPRIM_400000_NS6detail17trampoline_kernelINS0_14default_configENS1_20scan_config_selectorIxEEZZNS1_9scan_implILNS1_25lookback_scan_determinismE0ELb1ELb1ES3_N6thrust23THRUST_200600_302600_NS6detail15normal_iteratorINS9_10device_ptrIxEEEENS9_16discard_iteratorINS9_11use_defaultEEExNS9_4plusIvEExEEDaPvRmT3_T4_T5_mT6_P12ihipStream_tbENKUlT_T0_E_clISt17integral_constantIbLb0EESW_IbLb1EEEEDaSS_ST_EUlSS_E_NS1_11comp_targetILNS1_3genE10ELNS1_11target_archE1200ELNS1_3gpuE4ELNS1_3repE0EEENS1_30default_config_static_selectorELNS0_4arch9wavefront6targetE1EEEvT1_: ; @_ZN7rocprim17ROCPRIM_400000_NS6detail17trampoline_kernelINS0_14default_configENS1_20scan_config_selectorIxEEZZNS1_9scan_implILNS1_25lookback_scan_determinismE0ELb1ELb1ES3_N6thrust23THRUST_200600_302600_NS6detail15normal_iteratorINS9_10device_ptrIxEEEENS9_16discard_iteratorINS9_11use_defaultEEExNS9_4plusIvEExEEDaPvRmT3_T4_T5_mT6_P12ihipStream_tbENKUlT_T0_E_clISt17integral_constantIbLb0EESW_IbLb1EEEEDaSS_ST_EUlSS_E_NS1_11comp_targetILNS1_3genE10ELNS1_11target_archE1200ELNS1_3gpuE4ELNS1_3repE0EEENS1_30default_config_static_selectorELNS0_4arch9wavefront6targetE1EEEvT1_
; %bb.0:
	.section	.rodata,"a",@progbits
	.p2align	6, 0x0
	.amdhsa_kernel _ZN7rocprim17ROCPRIM_400000_NS6detail17trampoline_kernelINS0_14default_configENS1_20scan_config_selectorIxEEZZNS1_9scan_implILNS1_25lookback_scan_determinismE0ELb1ELb1ES3_N6thrust23THRUST_200600_302600_NS6detail15normal_iteratorINS9_10device_ptrIxEEEENS9_16discard_iteratorINS9_11use_defaultEEExNS9_4plusIvEExEEDaPvRmT3_T4_T5_mT6_P12ihipStream_tbENKUlT_T0_E_clISt17integral_constantIbLb0EESW_IbLb1EEEEDaSS_ST_EUlSS_E_NS1_11comp_targetILNS1_3genE10ELNS1_11target_archE1200ELNS1_3gpuE4ELNS1_3repE0EEENS1_30default_config_static_selectorELNS0_4arch9wavefront6targetE1EEEvT1_
		.amdhsa_group_segment_fixed_size 0
		.amdhsa_private_segment_fixed_size 0
		.amdhsa_kernarg_size 112
		.amdhsa_user_sgpr_count 6
		.amdhsa_user_sgpr_private_segment_buffer 1
		.amdhsa_user_sgpr_dispatch_ptr 0
		.amdhsa_user_sgpr_queue_ptr 0
		.amdhsa_user_sgpr_kernarg_segment_ptr 1
		.amdhsa_user_sgpr_dispatch_id 0
		.amdhsa_user_sgpr_flat_scratch_init 0
		.amdhsa_user_sgpr_kernarg_preload_length 0
		.amdhsa_user_sgpr_kernarg_preload_offset 0
		.amdhsa_user_sgpr_private_segment_size 0
		.amdhsa_uses_dynamic_stack 0
		.amdhsa_system_sgpr_private_segment_wavefront_offset 0
		.amdhsa_system_sgpr_workgroup_id_x 1
		.amdhsa_system_sgpr_workgroup_id_y 0
		.amdhsa_system_sgpr_workgroup_id_z 0
		.amdhsa_system_sgpr_workgroup_info 0
		.amdhsa_system_vgpr_workitem_id 0
		.amdhsa_next_free_vgpr 1
		.amdhsa_next_free_sgpr 0
		.amdhsa_accum_offset 4
		.amdhsa_reserve_vcc 0
		.amdhsa_reserve_flat_scratch 0
		.amdhsa_float_round_mode_32 0
		.amdhsa_float_round_mode_16_64 0
		.amdhsa_float_denorm_mode_32 3
		.amdhsa_float_denorm_mode_16_64 3
		.amdhsa_dx10_clamp 1
		.amdhsa_ieee_mode 1
		.amdhsa_fp16_overflow 0
		.amdhsa_tg_split 0
		.amdhsa_exception_fp_ieee_invalid_op 0
		.amdhsa_exception_fp_denorm_src 0
		.amdhsa_exception_fp_ieee_div_zero 0
		.amdhsa_exception_fp_ieee_overflow 0
		.amdhsa_exception_fp_ieee_underflow 0
		.amdhsa_exception_fp_ieee_inexact 0
		.amdhsa_exception_int_div_zero 0
	.end_amdhsa_kernel
	.section	.text._ZN7rocprim17ROCPRIM_400000_NS6detail17trampoline_kernelINS0_14default_configENS1_20scan_config_selectorIxEEZZNS1_9scan_implILNS1_25lookback_scan_determinismE0ELb1ELb1ES3_N6thrust23THRUST_200600_302600_NS6detail15normal_iteratorINS9_10device_ptrIxEEEENS9_16discard_iteratorINS9_11use_defaultEEExNS9_4plusIvEExEEDaPvRmT3_T4_T5_mT6_P12ihipStream_tbENKUlT_T0_E_clISt17integral_constantIbLb0EESW_IbLb1EEEEDaSS_ST_EUlSS_E_NS1_11comp_targetILNS1_3genE10ELNS1_11target_archE1200ELNS1_3gpuE4ELNS1_3repE0EEENS1_30default_config_static_selectorELNS0_4arch9wavefront6targetE1EEEvT1_,"axG",@progbits,_ZN7rocprim17ROCPRIM_400000_NS6detail17trampoline_kernelINS0_14default_configENS1_20scan_config_selectorIxEEZZNS1_9scan_implILNS1_25lookback_scan_determinismE0ELb1ELb1ES3_N6thrust23THRUST_200600_302600_NS6detail15normal_iteratorINS9_10device_ptrIxEEEENS9_16discard_iteratorINS9_11use_defaultEEExNS9_4plusIvEExEEDaPvRmT3_T4_T5_mT6_P12ihipStream_tbENKUlT_T0_E_clISt17integral_constantIbLb0EESW_IbLb1EEEEDaSS_ST_EUlSS_E_NS1_11comp_targetILNS1_3genE10ELNS1_11target_archE1200ELNS1_3gpuE4ELNS1_3repE0EEENS1_30default_config_static_selectorELNS0_4arch9wavefront6targetE1EEEvT1_,comdat
.Lfunc_end5714:
	.size	_ZN7rocprim17ROCPRIM_400000_NS6detail17trampoline_kernelINS0_14default_configENS1_20scan_config_selectorIxEEZZNS1_9scan_implILNS1_25lookback_scan_determinismE0ELb1ELb1ES3_N6thrust23THRUST_200600_302600_NS6detail15normal_iteratorINS9_10device_ptrIxEEEENS9_16discard_iteratorINS9_11use_defaultEEExNS9_4plusIvEExEEDaPvRmT3_T4_T5_mT6_P12ihipStream_tbENKUlT_T0_E_clISt17integral_constantIbLb0EESW_IbLb1EEEEDaSS_ST_EUlSS_E_NS1_11comp_targetILNS1_3genE10ELNS1_11target_archE1200ELNS1_3gpuE4ELNS1_3repE0EEENS1_30default_config_static_selectorELNS0_4arch9wavefront6targetE1EEEvT1_, .Lfunc_end5714-_ZN7rocprim17ROCPRIM_400000_NS6detail17trampoline_kernelINS0_14default_configENS1_20scan_config_selectorIxEEZZNS1_9scan_implILNS1_25lookback_scan_determinismE0ELb1ELb1ES3_N6thrust23THRUST_200600_302600_NS6detail15normal_iteratorINS9_10device_ptrIxEEEENS9_16discard_iteratorINS9_11use_defaultEEExNS9_4plusIvEExEEDaPvRmT3_T4_T5_mT6_P12ihipStream_tbENKUlT_T0_E_clISt17integral_constantIbLb0EESW_IbLb1EEEEDaSS_ST_EUlSS_E_NS1_11comp_targetILNS1_3genE10ELNS1_11target_archE1200ELNS1_3gpuE4ELNS1_3repE0EEENS1_30default_config_static_selectorELNS0_4arch9wavefront6targetE1EEEvT1_
                                        ; -- End function
	.section	.AMDGPU.csdata,"",@progbits
; Kernel info:
; codeLenInByte = 0
; NumSgprs: 4
; NumVgprs: 0
; NumAgprs: 0
; TotalNumVgprs: 0
; ScratchSize: 0
; MemoryBound: 0
; FloatMode: 240
; IeeeMode: 1
; LDSByteSize: 0 bytes/workgroup (compile time only)
; SGPRBlocks: 0
; VGPRBlocks: 0
; NumSGPRsForWavesPerEU: 4
; NumVGPRsForWavesPerEU: 1
; AccumOffset: 4
; Occupancy: 8
; WaveLimiterHint : 0
; COMPUTE_PGM_RSRC2:SCRATCH_EN: 0
; COMPUTE_PGM_RSRC2:USER_SGPR: 6
; COMPUTE_PGM_RSRC2:TRAP_HANDLER: 0
; COMPUTE_PGM_RSRC2:TGID_X_EN: 1
; COMPUTE_PGM_RSRC2:TGID_Y_EN: 0
; COMPUTE_PGM_RSRC2:TGID_Z_EN: 0
; COMPUTE_PGM_RSRC2:TIDIG_COMP_CNT: 0
; COMPUTE_PGM_RSRC3_GFX90A:ACCUM_OFFSET: 0
; COMPUTE_PGM_RSRC3_GFX90A:TG_SPLIT: 0
	.section	.text._ZN7rocprim17ROCPRIM_400000_NS6detail17trampoline_kernelINS0_14default_configENS1_20scan_config_selectorIxEEZZNS1_9scan_implILNS1_25lookback_scan_determinismE0ELb1ELb1ES3_N6thrust23THRUST_200600_302600_NS6detail15normal_iteratorINS9_10device_ptrIxEEEENS9_16discard_iteratorINS9_11use_defaultEEExNS9_4plusIvEExEEDaPvRmT3_T4_T5_mT6_P12ihipStream_tbENKUlT_T0_E_clISt17integral_constantIbLb0EESW_IbLb1EEEEDaSS_ST_EUlSS_E_NS1_11comp_targetILNS1_3genE9ELNS1_11target_archE1100ELNS1_3gpuE3ELNS1_3repE0EEENS1_30default_config_static_selectorELNS0_4arch9wavefront6targetE1EEEvT1_,"axG",@progbits,_ZN7rocprim17ROCPRIM_400000_NS6detail17trampoline_kernelINS0_14default_configENS1_20scan_config_selectorIxEEZZNS1_9scan_implILNS1_25lookback_scan_determinismE0ELb1ELb1ES3_N6thrust23THRUST_200600_302600_NS6detail15normal_iteratorINS9_10device_ptrIxEEEENS9_16discard_iteratorINS9_11use_defaultEEExNS9_4plusIvEExEEDaPvRmT3_T4_T5_mT6_P12ihipStream_tbENKUlT_T0_E_clISt17integral_constantIbLb0EESW_IbLb1EEEEDaSS_ST_EUlSS_E_NS1_11comp_targetILNS1_3genE9ELNS1_11target_archE1100ELNS1_3gpuE3ELNS1_3repE0EEENS1_30default_config_static_selectorELNS0_4arch9wavefront6targetE1EEEvT1_,comdat
	.protected	_ZN7rocprim17ROCPRIM_400000_NS6detail17trampoline_kernelINS0_14default_configENS1_20scan_config_selectorIxEEZZNS1_9scan_implILNS1_25lookback_scan_determinismE0ELb1ELb1ES3_N6thrust23THRUST_200600_302600_NS6detail15normal_iteratorINS9_10device_ptrIxEEEENS9_16discard_iteratorINS9_11use_defaultEEExNS9_4plusIvEExEEDaPvRmT3_T4_T5_mT6_P12ihipStream_tbENKUlT_T0_E_clISt17integral_constantIbLb0EESW_IbLb1EEEEDaSS_ST_EUlSS_E_NS1_11comp_targetILNS1_3genE9ELNS1_11target_archE1100ELNS1_3gpuE3ELNS1_3repE0EEENS1_30default_config_static_selectorELNS0_4arch9wavefront6targetE1EEEvT1_ ; -- Begin function _ZN7rocprim17ROCPRIM_400000_NS6detail17trampoline_kernelINS0_14default_configENS1_20scan_config_selectorIxEEZZNS1_9scan_implILNS1_25lookback_scan_determinismE0ELb1ELb1ES3_N6thrust23THRUST_200600_302600_NS6detail15normal_iteratorINS9_10device_ptrIxEEEENS9_16discard_iteratorINS9_11use_defaultEEExNS9_4plusIvEExEEDaPvRmT3_T4_T5_mT6_P12ihipStream_tbENKUlT_T0_E_clISt17integral_constantIbLb0EESW_IbLb1EEEEDaSS_ST_EUlSS_E_NS1_11comp_targetILNS1_3genE9ELNS1_11target_archE1100ELNS1_3gpuE3ELNS1_3repE0EEENS1_30default_config_static_selectorELNS0_4arch9wavefront6targetE1EEEvT1_
	.globl	_ZN7rocprim17ROCPRIM_400000_NS6detail17trampoline_kernelINS0_14default_configENS1_20scan_config_selectorIxEEZZNS1_9scan_implILNS1_25lookback_scan_determinismE0ELb1ELb1ES3_N6thrust23THRUST_200600_302600_NS6detail15normal_iteratorINS9_10device_ptrIxEEEENS9_16discard_iteratorINS9_11use_defaultEEExNS9_4plusIvEExEEDaPvRmT3_T4_T5_mT6_P12ihipStream_tbENKUlT_T0_E_clISt17integral_constantIbLb0EESW_IbLb1EEEEDaSS_ST_EUlSS_E_NS1_11comp_targetILNS1_3genE9ELNS1_11target_archE1100ELNS1_3gpuE3ELNS1_3repE0EEENS1_30default_config_static_selectorELNS0_4arch9wavefront6targetE1EEEvT1_
	.p2align	8
	.type	_ZN7rocprim17ROCPRIM_400000_NS6detail17trampoline_kernelINS0_14default_configENS1_20scan_config_selectorIxEEZZNS1_9scan_implILNS1_25lookback_scan_determinismE0ELb1ELb1ES3_N6thrust23THRUST_200600_302600_NS6detail15normal_iteratorINS9_10device_ptrIxEEEENS9_16discard_iteratorINS9_11use_defaultEEExNS9_4plusIvEExEEDaPvRmT3_T4_T5_mT6_P12ihipStream_tbENKUlT_T0_E_clISt17integral_constantIbLb0EESW_IbLb1EEEEDaSS_ST_EUlSS_E_NS1_11comp_targetILNS1_3genE9ELNS1_11target_archE1100ELNS1_3gpuE3ELNS1_3repE0EEENS1_30default_config_static_selectorELNS0_4arch9wavefront6targetE1EEEvT1_,@function
_ZN7rocprim17ROCPRIM_400000_NS6detail17trampoline_kernelINS0_14default_configENS1_20scan_config_selectorIxEEZZNS1_9scan_implILNS1_25lookback_scan_determinismE0ELb1ELb1ES3_N6thrust23THRUST_200600_302600_NS6detail15normal_iteratorINS9_10device_ptrIxEEEENS9_16discard_iteratorINS9_11use_defaultEEExNS9_4plusIvEExEEDaPvRmT3_T4_T5_mT6_P12ihipStream_tbENKUlT_T0_E_clISt17integral_constantIbLb0EESW_IbLb1EEEEDaSS_ST_EUlSS_E_NS1_11comp_targetILNS1_3genE9ELNS1_11target_archE1100ELNS1_3gpuE3ELNS1_3repE0EEENS1_30default_config_static_selectorELNS0_4arch9wavefront6targetE1EEEvT1_: ; @_ZN7rocprim17ROCPRIM_400000_NS6detail17trampoline_kernelINS0_14default_configENS1_20scan_config_selectorIxEEZZNS1_9scan_implILNS1_25lookback_scan_determinismE0ELb1ELb1ES3_N6thrust23THRUST_200600_302600_NS6detail15normal_iteratorINS9_10device_ptrIxEEEENS9_16discard_iteratorINS9_11use_defaultEEExNS9_4plusIvEExEEDaPvRmT3_T4_T5_mT6_P12ihipStream_tbENKUlT_T0_E_clISt17integral_constantIbLb0EESW_IbLb1EEEEDaSS_ST_EUlSS_E_NS1_11comp_targetILNS1_3genE9ELNS1_11target_archE1100ELNS1_3gpuE3ELNS1_3repE0EEENS1_30default_config_static_selectorELNS0_4arch9wavefront6targetE1EEEvT1_
; %bb.0:
	.section	.rodata,"a",@progbits
	.p2align	6, 0x0
	.amdhsa_kernel _ZN7rocprim17ROCPRIM_400000_NS6detail17trampoline_kernelINS0_14default_configENS1_20scan_config_selectorIxEEZZNS1_9scan_implILNS1_25lookback_scan_determinismE0ELb1ELb1ES3_N6thrust23THRUST_200600_302600_NS6detail15normal_iteratorINS9_10device_ptrIxEEEENS9_16discard_iteratorINS9_11use_defaultEEExNS9_4plusIvEExEEDaPvRmT3_T4_T5_mT6_P12ihipStream_tbENKUlT_T0_E_clISt17integral_constantIbLb0EESW_IbLb1EEEEDaSS_ST_EUlSS_E_NS1_11comp_targetILNS1_3genE9ELNS1_11target_archE1100ELNS1_3gpuE3ELNS1_3repE0EEENS1_30default_config_static_selectorELNS0_4arch9wavefront6targetE1EEEvT1_
		.amdhsa_group_segment_fixed_size 0
		.amdhsa_private_segment_fixed_size 0
		.amdhsa_kernarg_size 112
		.amdhsa_user_sgpr_count 6
		.amdhsa_user_sgpr_private_segment_buffer 1
		.amdhsa_user_sgpr_dispatch_ptr 0
		.amdhsa_user_sgpr_queue_ptr 0
		.amdhsa_user_sgpr_kernarg_segment_ptr 1
		.amdhsa_user_sgpr_dispatch_id 0
		.amdhsa_user_sgpr_flat_scratch_init 0
		.amdhsa_user_sgpr_kernarg_preload_length 0
		.amdhsa_user_sgpr_kernarg_preload_offset 0
		.amdhsa_user_sgpr_private_segment_size 0
		.amdhsa_uses_dynamic_stack 0
		.amdhsa_system_sgpr_private_segment_wavefront_offset 0
		.amdhsa_system_sgpr_workgroup_id_x 1
		.amdhsa_system_sgpr_workgroup_id_y 0
		.amdhsa_system_sgpr_workgroup_id_z 0
		.amdhsa_system_sgpr_workgroup_info 0
		.amdhsa_system_vgpr_workitem_id 0
		.amdhsa_next_free_vgpr 1
		.amdhsa_next_free_sgpr 0
		.amdhsa_accum_offset 4
		.amdhsa_reserve_vcc 0
		.amdhsa_reserve_flat_scratch 0
		.amdhsa_float_round_mode_32 0
		.amdhsa_float_round_mode_16_64 0
		.amdhsa_float_denorm_mode_32 3
		.amdhsa_float_denorm_mode_16_64 3
		.amdhsa_dx10_clamp 1
		.amdhsa_ieee_mode 1
		.amdhsa_fp16_overflow 0
		.amdhsa_tg_split 0
		.amdhsa_exception_fp_ieee_invalid_op 0
		.amdhsa_exception_fp_denorm_src 0
		.amdhsa_exception_fp_ieee_div_zero 0
		.amdhsa_exception_fp_ieee_overflow 0
		.amdhsa_exception_fp_ieee_underflow 0
		.amdhsa_exception_fp_ieee_inexact 0
		.amdhsa_exception_int_div_zero 0
	.end_amdhsa_kernel
	.section	.text._ZN7rocprim17ROCPRIM_400000_NS6detail17trampoline_kernelINS0_14default_configENS1_20scan_config_selectorIxEEZZNS1_9scan_implILNS1_25lookback_scan_determinismE0ELb1ELb1ES3_N6thrust23THRUST_200600_302600_NS6detail15normal_iteratorINS9_10device_ptrIxEEEENS9_16discard_iteratorINS9_11use_defaultEEExNS9_4plusIvEExEEDaPvRmT3_T4_T5_mT6_P12ihipStream_tbENKUlT_T0_E_clISt17integral_constantIbLb0EESW_IbLb1EEEEDaSS_ST_EUlSS_E_NS1_11comp_targetILNS1_3genE9ELNS1_11target_archE1100ELNS1_3gpuE3ELNS1_3repE0EEENS1_30default_config_static_selectorELNS0_4arch9wavefront6targetE1EEEvT1_,"axG",@progbits,_ZN7rocprim17ROCPRIM_400000_NS6detail17trampoline_kernelINS0_14default_configENS1_20scan_config_selectorIxEEZZNS1_9scan_implILNS1_25lookback_scan_determinismE0ELb1ELb1ES3_N6thrust23THRUST_200600_302600_NS6detail15normal_iteratorINS9_10device_ptrIxEEEENS9_16discard_iteratorINS9_11use_defaultEEExNS9_4plusIvEExEEDaPvRmT3_T4_T5_mT6_P12ihipStream_tbENKUlT_T0_E_clISt17integral_constantIbLb0EESW_IbLb1EEEEDaSS_ST_EUlSS_E_NS1_11comp_targetILNS1_3genE9ELNS1_11target_archE1100ELNS1_3gpuE3ELNS1_3repE0EEENS1_30default_config_static_selectorELNS0_4arch9wavefront6targetE1EEEvT1_,comdat
.Lfunc_end5715:
	.size	_ZN7rocprim17ROCPRIM_400000_NS6detail17trampoline_kernelINS0_14default_configENS1_20scan_config_selectorIxEEZZNS1_9scan_implILNS1_25lookback_scan_determinismE0ELb1ELb1ES3_N6thrust23THRUST_200600_302600_NS6detail15normal_iteratorINS9_10device_ptrIxEEEENS9_16discard_iteratorINS9_11use_defaultEEExNS9_4plusIvEExEEDaPvRmT3_T4_T5_mT6_P12ihipStream_tbENKUlT_T0_E_clISt17integral_constantIbLb0EESW_IbLb1EEEEDaSS_ST_EUlSS_E_NS1_11comp_targetILNS1_3genE9ELNS1_11target_archE1100ELNS1_3gpuE3ELNS1_3repE0EEENS1_30default_config_static_selectorELNS0_4arch9wavefront6targetE1EEEvT1_, .Lfunc_end5715-_ZN7rocprim17ROCPRIM_400000_NS6detail17trampoline_kernelINS0_14default_configENS1_20scan_config_selectorIxEEZZNS1_9scan_implILNS1_25lookback_scan_determinismE0ELb1ELb1ES3_N6thrust23THRUST_200600_302600_NS6detail15normal_iteratorINS9_10device_ptrIxEEEENS9_16discard_iteratorINS9_11use_defaultEEExNS9_4plusIvEExEEDaPvRmT3_T4_T5_mT6_P12ihipStream_tbENKUlT_T0_E_clISt17integral_constantIbLb0EESW_IbLb1EEEEDaSS_ST_EUlSS_E_NS1_11comp_targetILNS1_3genE9ELNS1_11target_archE1100ELNS1_3gpuE3ELNS1_3repE0EEENS1_30default_config_static_selectorELNS0_4arch9wavefront6targetE1EEEvT1_
                                        ; -- End function
	.section	.AMDGPU.csdata,"",@progbits
; Kernel info:
; codeLenInByte = 0
; NumSgprs: 4
; NumVgprs: 0
; NumAgprs: 0
; TotalNumVgprs: 0
; ScratchSize: 0
; MemoryBound: 0
; FloatMode: 240
; IeeeMode: 1
; LDSByteSize: 0 bytes/workgroup (compile time only)
; SGPRBlocks: 0
; VGPRBlocks: 0
; NumSGPRsForWavesPerEU: 4
; NumVGPRsForWavesPerEU: 1
; AccumOffset: 4
; Occupancy: 8
; WaveLimiterHint : 0
; COMPUTE_PGM_RSRC2:SCRATCH_EN: 0
; COMPUTE_PGM_RSRC2:USER_SGPR: 6
; COMPUTE_PGM_RSRC2:TRAP_HANDLER: 0
; COMPUTE_PGM_RSRC2:TGID_X_EN: 1
; COMPUTE_PGM_RSRC2:TGID_Y_EN: 0
; COMPUTE_PGM_RSRC2:TGID_Z_EN: 0
; COMPUTE_PGM_RSRC2:TIDIG_COMP_CNT: 0
; COMPUTE_PGM_RSRC3_GFX90A:ACCUM_OFFSET: 0
; COMPUTE_PGM_RSRC3_GFX90A:TG_SPLIT: 0
	.section	.text._ZN7rocprim17ROCPRIM_400000_NS6detail17trampoline_kernelINS0_14default_configENS1_20scan_config_selectorIxEEZZNS1_9scan_implILNS1_25lookback_scan_determinismE0ELb1ELb1ES3_N6thrust23THRUST_200600_302600_NS6detail15normal_iteratorINS9_10device_ptrIxEEEENS9_16discard_iteratorINS9_11use_defaultEEExNS9_4plusIvEExEEDaPvRmT3_T4_T5_mT6_P12ihipStream_tbENKUlT_T0_E_clISt17integral_constantIbLb0EESW_IbLb1EEEEDaSS_ST_EUlSS_E_NS1_11comp_targetILNS1_3genE8ELNS1_11target_archE1030ELNS1_3gpuE2ELNS1_3repE0EEENS1_30default_config_static_selectorELNS0_4arch9wavefront6targetE1EEEvT1_,"axG",@progbits,_ZN7rocprim17ROCPRIM_400000_NS6detail17trampoline_kernelINS0_14default_configENS1_20scan_config_selectorIxEEZZNS1_9scan_implILNS1_25lookback_scan_determinismE0ELb1ELb1ES3_N6thrust23THRUST_200600_302600_NS6detail15normal_iteratorINS9_10device_ptrIxEEEENS9_16discard_iteratorINS9_11use_defaultEEExNS9_4plusIvEExEEDaPvRmT3_T4_T5_mT6_P12ihipStream_tbENKUlT_T0_E_clISt17integral_constantIbLb0EESW_IbLb1EEEEDaSS_ST_EUlSS_E_NS1_11comp_targetILNS1_3genE8ELNS1_11target_archE1030ELNS1_3gpuE2ELNS1_3repE0EEENS1_30default_config_static_selectorELNS0_4arch9wavefront6targetE1EEEvT1_,comdat
	.protected	_ZN7rocprim17ROCPRIM_400000_NS6detail17trampoline_kernelINS0_14default_configENS1_20scan_config_selectorIxEEZZNS1_9scan_implILNS1_25lookback_scan_determinismE0ELb1ELb1ES3_N6thrust23THRUST_200600_302600_NS6detail15normal_iteratorINS9_10device_ptrIxEEEENS9_16discard_iteratorINS9_11use_defaultEEExNS9_4plusIvEExEEDaPvRmT3_T4_T5_mT6_P12ihipStream_tbENKUlT_T0_E_clISt17integral_constantIbLb0EESW_IbLb1EEEEDaSS_ST_EUlSS_E_NS1_11comp_targetILNS1_3genE8ELNS1_11target_archE1030ELNS1_3gpuE2ELNS1_3repE0EEENS1_30default_config_static_selectorELNS0_4arch9wavefront6targetE1EEEvT1_ ; -- Begin function _ZN7rocprim17ROCPRIM_400000_NS6detail17trampoline_kernelINS0_14default_configENS1_20scan_config_selectorIxEEZZNS1_9scan_implILNS1_25lookback_scan_determinismE0ELb1ELb1ES3_N6thrust23THRUST_200600_302600_NS6detail15normal_iteratorINS9_10device_ptrIxEEEENS9_16discard_iteratorINS9_11use_defaultEEExNS9_4plusIvEExEEDaPvRmT3_T4_T5_mT6_P12ihipStream_tbENKUlT_T0_E_clISt17integral_constantIbLb0EESW_IbLb1EEEEDaSS_ST_EUlSS_E_NS1_11comp_targetILNS1_3genE8ELNS1_11target_archE1030ELNS1_3gpuE2ELNS1_3repE0EEENS1_30default_config_static_selectorELNS0_4arch9wavefront6targetE1EEEvT1_
	.globl	_ZN7rocprim17ROCPRIM_400000_NS6detail17trampoline_kernelINS0_14default_configENS1_20scan_config_selectorIxEEZZNS1_9scan_implILNS1_25lookback_scan_determinismE0ELb1ELb1ES3_N6thrust23THRUST_200600_302600_NS6detail15normal_iteratorINS9_10device_ptrIxEEEENS9_16discard_iteratorINS9_11use_defaultEEExNS9_4plusIvEExEEDaPvRmT3_T4_T5_mT6_P12ihipStream_tbENKUlT_T0_E_clISt17integral_constantIbLb0EESW_IbLb1EEEEDaSS_ST_EUlSS_E_NS1_11comp_targetILNS1_3genE8ELNS1_11target_archE1030ELNS1_3gpuE2ELNS1_3repE0EEENS1_30default_config_static_selectorELNS0_4arch9wavefront6targetE1EEEvT1_
	.p2align	8
	.type	_ZN7rocprim17ROCPRIM_400000_NS6detail17trampoline_kernelINS0_14default_configENS1_20scan_config_selectorIxEEZZNS1_9scan_implILNS1_25lookback_scan_determinismE0ELb1ELb1ES3_N6thrust23THRUST_200600_302600_NS6detail15normal_iteratorINS9_10device_ptrIxEEEENS9_16discard_iteratorINS9_11use_defaultEEExNS9_4plusIvEExEEDaPvRmT3_T4_T5_mT6_P12ihipStream_tbENKUlT_T0_E_clISt17integral_constantIbLb0EESW_IbLb1EEEEDaSS_ST_EUlSS_E_NS1_11comp_targetILNS1_3genE8ELNS1_11target_archE1030ELNS1_3gpuE2ELNS1_3repE0EEENS1_30default_config_static_selectorELNS0_4arch9wavefront6targetE1EEEvT1_,@function
_ZN7rocprim17ROCPRIM_400000_NS6detail17trampoline_kernelINS0_14default_configENS1_20scan_config_selectorIxEEZZNS1_9scan_implILNS1_25lookback_scan_determinismE0ELb1ELb1ES3_N6thrust23THRUST_200600_302600_NS6detail15normal_iteratorINS9_10device_ptrIxEEEENS9_16discard_iteratorINS9_11use_defaultEEExNS9_4plusIvEExEEDaPvRmT3_T4_T5_mT6_P12ihipStream_tbENKUlT_T0_E_clISt17integral_constantIbLb0EESW_IbLb1EEEEDaSS_ST_EUlSS_E_NS1_11comp_targetILNS1_3genE8ELNS1_11target_archE1030ELNS1_3gpuE2ELNS1_3repE0EEENS1_30default_config_static_selectorELNS0_4arch9wavefront6targetE1EEEvT1_: ; @_ZN7rocprim17ROCPRIM_400000_NS6detail17trampoline_kernelINS0_14default_configENS1_20scan_config_selectorIxEEZZNS1_9scan_implILNS1_25lookback_scan_determinismE0ELb1ELb1ES3_N6thrust23THRUST_200600_302600_NS6detail15normal_iteratorINS9_10device_ptrIxEEEENS9_16discard_iteratorINS9_11use_defaultEEExNS9_4plusIvEExEEDaPvRmT3_T4_T5_mT6_P12ihipStream_tbENKUlT_T0_E_clISt17integral_constantIbLb0EESW_IbLb1EEEEDaSS_ST_EUlSS_E_NS1_11comp_targetILNS1_3genE8ELNS1_11target_archE1030ELNS1_3gpuE2ELNS1_3repE0EEENS1_30default_config_static_selectorELNS0_4arch9wavefront6targetE1EEEvT1_
; %bb.0:
	.section	.rodata,"a",@progbits
	.p2align	6, 0x0
	.amdhsa_kernel _ZN7rocprim17ROCPRIM_400000_NS6detail17trampoline_kernelINS0_14default_configENS1_20scan_config_selectorIxEEZZNS1_9scan_implILNS1_25lookback_scan_determinismE0ELb1ELb1ES3_N6thrust23THRUST_200600_302600_NS6detail15normal_iteratorINS9_10device_ptrIxEEEENS9_16discard_iteratorINS9_11use_defaultEEExNS9_4plusIvEExEEDaPvRmT3_T4_T5_mT6_P12ihipStream_tbENKUlT_T0_E_clISt17integral_constantIbLb0EESW_IbLb1EEEEDaSS_ST_EUlSS_E_NS1_11comp_targetILNS1_3genE8ELNS1_11target_archE1030ELNS1_3gpuE2ELNS1_3repE0EEENS1_30default_config_static_selectorELNS0_4arch9wavefront6targetE1EEEvT1_
		.amdhsa_group_segment_fixed_size 0
		.amdhsa_private_segment_fixed_size 0
		.amdhsa_kernarg_size 112
		.amdhsa_user_sgpr_count 6
		.amdhsa_user_sgpr_private_segment_buffer 1
		.amdhsa_user_sgpr_dispatch_ptr 0
		.amdhsa_user_sgpr_queue_ptr 0
		.amdhsa_user_sgpr_kernarg_segment_ptr 1
		.amdhsa_user_sgpr_dispatch_id 0
		.amdhsa_user_sgpr_flat_scratch_init 0
		.amdhsa_user_sgpr_kernarg_preload_length 0
		.amdhsa_user_sgpr_kernarg_preload_offset 0
		.amdhsa_user_sgpr_private_segment_size 0
		.amdhsa_uses_dynamic_stack 0
		.amdhsa_system_sgpr_private_segment_wavefront_offset 0
		.amdhsa_system_sgpr_workgroup_id_x 1
		.amdhsa_system_sgpr_workgroup_id_y 0
		.amdhsa_system_sgpr_workgroup_id_z 0
		.amdhsa_system_sgpr_workgroup_info 0
		.amdhsa_system_vgpr_workitem_id 0
		.amdhsa_next_free_vgpr 1
		.amdhsa_next_free_sgpr 0
		.amdhsa_accum_offset 4
		.amdhsa_reserve_vcc 0
		.amdhsa_reserve_flat_scratch 0
		.amdhsa_float_round_mode_32 0
		.amdhsa_float_round_mode_16_64 0
		.amdhsa_float_denorm_mode_32 3
		.amdhsa_float_denorm_mode_16_64 3
		.amdhsa_dx10_clamp 1
		.amdhsa_ieee_mode 1
		.amdhsa_fp16_overflow 0
		.amdhsa_tg_split 0
		.amdhsa_exception_fp_ieee_invalid_op 0
		.amdhsa_exception_fp_denorm_src 0
		.amdhsa_exception_fp_ieee_div_zero 0
		.amdhsa_exception_fp_ieee_overflow 0
		.amdhsa_exception_fp_ieee_underflow 0
		.amdhsa_exception_fp_ieee_inexact 0
		.amdhsa_exception_int_div_zero 0
	.end_amdhsa_kernel
	.section	.text._ZN7rocprim17ROCPRIM_400000_NS6detail17trampoline_kernelINS0_14default_configENS1_20scan_config_selectorIxEEZZNS1_9scan_implILNS1_25lookback_scan_determinismE0ELb1ELb1ES3_N6thrust23THRUST_200600_302600_NS6detail15normal_iteratorINS9_10device_ptrIxEEEENS9_16discard_iteratorINS9_11use_defaultEEExNS9_4plusIvEExEEDaPvRmT3_T4_T5_mT6_P12ihipStream_tbENKUlT_T0_E_clISt17integral_constantIbLb0EESW_IbLb1EEEEDaSS_ST_EUlSS_E_NS1_11comp_targetILNS1_3genE8ELNS1_11target_archE1030ELNS1_3gpuE2ELNS1_3repE0EEENS1_30default_config_static_selectorELNS0_4arch9wavefront6targetE1EEEvT1_,"axG",@progbits,_ZN7rocprim17ROCPRIM_400000_NS6detail17trampoline_kernelINS0_14default_configENS1_20scan_config_selectorIxEEZZNS1_9scan_implILNS1_25lookback_scan_determinismE0ELb1ELb1ES3_N6thrust23THRUST_200600_302600_NS6detail15normal_iteratorINS9_10device_ptrIxEEEENS9_16discard_iteratorINS9_11use_defaultEEExNS9_4plusIvEExEEDaPvRmT3_T4_T5_mT6_P12ihipStream_tbENKUlT_T0_E_clISt17integral_constantIbLb0EESW_IbLb1EEEEDaSS_ST_EUlSS_E_NS1_11comp_targetILNS1_3genE8ELNS1_11target_archE1030ELNS1_3gpuE2ELNS1_3repE0EEENS1_30default_config_static_selectorELNS0_4arch9wavefront6targetE1EEEvT1_,comdat
.Lfunc_end5716:
	.size	_ZN7rocprim17ROCPRIM_400000_NS6detail17trampoline_kernelINS0_14default_configENS1_20scan_config_selectorIxEEZZNS1_9scan_implILNS1_25lookback_scan_determinismE0ELb1ELb1ES3_N6thrust23THRUST_200600_302600_NS6detail15normal_iteratorINS9_10device_ptrIxEEEENS9_16discard_iteratorINS9_11use_defaultEEExNS9_4plusIvEExEEDaPvRmT3_T4_T5_mT6_P12ihipStream_tbENKUlT_T0_E_clISt17integral_constantIbLb0EESW_IbLb1EEEEDaSS_ST_EUlSS_E_NS1_11comp_targetILNS1_3genE8ELNS1_11target_archE1030ELNS1_3gpuE2ELNS1_3repE0EEENS1_30default_config_static_selectorELNS0_4arch9wavefront6targetE1EEEvT1_, .Lfunc_end5716-_ZN7rocprim17ROCPRIM_400000_NS6detail17trampoline_kernelINS0_14default_configENS1_20scan_config_selectorIxEEZZNS1_9scan_implILNS1_25lookback_scan_determinismE0ELb1ELb1ES3_N6thrust23THRUST_200600_302600_NS6detail15normal_iteratorINS9_10device_ptrIxEEEENS9_16discard_iteratorINS9_11use_defaultEEExNS9_4plusIvEExEEDaPvRmT3_T4_T5_mT6_P12ihipStream_tbENKUlT_T0_E_clISt17integral_constantIbLb0EESW_IbLb1EEEEDaSS_ST_EUlSS_E_NS1_11comp_targetILNS1_3genE8ELNS1_11target_archE1030ELNS1_3gpuE2ELNS1_3repE0EEENS1_30default_config_static_selectorELNS0_4arch9wavefront6targetE1EEEvT1_
                                        ; -- End function
	.section	.AMDGPU.csdata,"",@progbits
; Kernel info:
; codeLenInByte = 0
; NumSgprs: 4
; NumVgprs: 0
; NumAgprs: 0
; TotalNumVgprs: 0
; ScratchSize: 0
; MemoryBound: 0
; FloatMode: 240
; IeeeMode: 1
; LDSByteSize: 0 bytes/workgroup (compile time only)
; SGPRBlocks: 0
; VGPRBlocks: 0
; NumSGPRsForWavesPerEU: 4
; NumVGPRsForWavesPerEU: 1
; AccumOffset: 4
; Occupancy: 8
; WaveLimiterHint : 0
; COMPUTE_PGM_RSRC2:SCRATCH_EN: 0
; COMPUTE_PGM_RSRC2:USER_SGPR: 6
; COMPUTE_PGM_RSRC2:TRAP_HANDLER: 0
; COMPUTE_PGM_RSRC2:TGID_X_EN: 1
; COMPUTE_PGM_RSRC2:TGID_Y_EN: 0
; COMPUTE_PGM_RSRC2:TGID_Z_EN: 0
; COMPUTE_PGM_RSRC2:TIDIG_COMP_CNT: 0
; COMPUTE_PGM_RSRC3_GFX90A:ACCUM_OFFSET: 0
; COMPUTE_PGM_RSRC3_GFX90A:TG_SPLIT: 0
	.section	.text._ZN7rocprim17ROCPRIM_400000_NS6detail17trampoline_kernelINS0_14default_configENS1_20scan_config_selectorIxEEZZNS1_9scan_implILNS1_25lookback_scan_determinismE0ELb1ELb1ES3_N6thrust23THRUST_200600_302600_NS6detail15normal_iteratorINS9_10device_ptrIxEEEENS9_16discard_iteratorINS9_11use_defaultEEExNS9_4plusIvEExEEDaPvRmT3_T4_T5_mT6_P12ihipStream_tbENKUlT_T0_E_clISt17integral_constantIbLb0EESW_IbLb1EEEEDaSS_ST_EUlSS_E0_NS1_11comp_targetILNS1_3genE0ELNS1_11target_archE4294967295ELNS1_3gpuE0ELNS1_3repE0EEENS1_30default_config_static_selectorELNS0_4arch9wavefront6targetE1EEEvT1_,"axG",@progbits,_ZN7rocprim17ROCPRIM_400000_NS6detail17trampoline_kernelINS0_14default_configENS1_20scan_config_selectorIxEEZZNS1_9scan_implILNS1_25lookback_scan_determinismE0ELb1ELb1ES3_N6thrust23THRUST_200600_302600_NS6detail15normal_iteratorINS9_10device_ptrIxEEEENS9_16discard_iteratorINS9_11use_defaultEEExNS9_4plusIvEExEEDaPvRmT3_T4_T5_mT6_P12ihipStream_tbENKUlT_T0_E_clISt17integral_constantIbLb0EESW_IbLb1EEEEDaSS_ST_EUlSS_E0_NS1_11comp_targetILNS1_3genE0ELNS1_11target_archE4294967295ELNS1_3gpuE0ELNS1_3repE0EEENS1_30default_config_static_selectorELNS0_4arch9wavefront6targetE1EEEvT1_,comdat
	.protected	_ZN7rocprim17ROCPRIM_400000_NS6detail17trampoline_kernelINS0_14default_configENS1_20scan_config_selectorIxEEZZNS1_9scan_implILNS1_25lookback_scan_determinismE0ELb1ELb1ES3_N6thrust23THRUST_200600_302600_NS6detail15normal_iteratorINS9_10device_ptrIxEEEENS9_16discard_iteratorINS9_11use_defaultEEExNS9_4plusIvEExEEDaPvRmT3_T4_T5_mT6_P12ihipStream_tbENKUlT_T0_E_clISt17integral_constantIbLb0EESW_IbLb1EEEEDaSS_ST_EUlSS_E0_NS1_11comp_targetILNS1_3genE0ELNS1_11target_archE4294967295ELNS1_3gpuE0ELNS1_3repE0EEENS1_30default_config_static_selectorELNS0_4arch9wavefront6targetE1EEEvT1_ ; -- Begin function _ZN7rocprim17ROCPRIM_400000_NS6detail17trampoline_kernelINS0_14default_configENS1_20scan_config_selectorIxEEZZNS1_9scan_implILNS1_25lookback_scan_determinismE0ELb1ELb1ES3_N6thrust23THRUST_200600_302600_NS6detail15normal_iteratorINS9_10device_ptrIxEEEENS9_16discard_iteratorINS9_11use_defaultEEExNS9_4plusIvEExEEDaPvRmT3_T4_T5_mT6_P12ihipStream_tbENKUlT_T0_E_clISt17integral_constantIbLb0EESW_IbLb1EEEEDaSS_ST_EUlSS_E0_NS1_11comp_targetILNS1_3genE0ELNS1_11target_archE4294967295ELNS1_3gpuE0ELNS1_3repE0EEENS1_30default_config_static_selectorELNS0_4arch9wavefront6targetE1EEEvT1_
	.globl	_ZN7rocprim17ROCPRIM_400000_NS6detail17trampoline_kernelINS0_14default_configENS1_20scan_config_selectorIxEEZZNS1_9scan_implILNS1_25lookback_scan_determinismE0ELb1ELb1ES3_N6thrust23THRUST_200600_302600_NS6detail15normal_iteratorINS9_10device_ptrIxEEEENS9_16discard_iteratorINS9_11use_defaultEEExNS9_4plusIvEExEEDaPvRmT3_T4_T5_mT6_P12ihipStream_tbENKUlT_T0_E_clISt17integral_constantIbLb0EESW_IbLb1EEEEDaSS_ST_EUlSS_E0_NS1_11comp_targetILNS1_3genE0ELNS1_11target_archE4294967295ELNS1_3gpuE0ELNS1_3repE0EEENS1_30default_config_static_selectorELNS0_4arch9wavefront6targetE1EEEvT1_
	.p2align	8
	.type	_ZN7rocprim17ROCPRIM_400000_NS6detail17trampoline_kernelINS0_14default_configENS1_20scan_config_selectorIxEEZZNS1_9scan_implILNS1_25lookback_scan_determinismE0ELb1ELb1ES3_N6thrust23THRUST_200600_302600_NS6detail15normal_iteratorINS9_10device_ptrIxEEEENS9_16discard_iteratorINS9_11use_defaultEEExNS9_4plusIvEExEEDaPvRmT3_T4_T5_mT6_P12ihipStream_tbENKUlT_T0_E_clISt17integral_constantIbLb0EESW_IbLb1EEEEDaSS_ST_EUlSS_E0_NS1_11comp_targetILNS1_3genE0ELNS1_11target_archE4294967295ELNS1_3gpuE0ELNS1_3repE0EEENS1_30default_config_static_selectorELNS0_4arch9wavefront6targetE1EEEvT1_,@function
_ZN7rocprim17ROCPRIM_400000_NS6detail17trampoline_kernelINS0_14default_configENS1_20scan_config_selectorIxEEZZNS1_9scan_implILNS1_25lookback_scan_determinismE0ELb1ELb1ES3_N6thrust23THRUST_200600_302600_NS6detail15normal_iteratorINS9_10device_ptrIxEEEENS9_16discard_iteratorINS9_11use_defaultEEExNS9_4plusIvEExEEDaPvRmT3_T4_T5_mT6_P12ihipStream_tbENKUlT_T0_E_clISt17integral_constantIbLb0EESW_IbLb1EEEEDaSS_ST_EUlSS_E0_NS1_11comp_targetILNS1_3genE0ELNS1_11target_archE4294967295ELNS1_3gpuE0ELNS1_3repE0EEENS1_30default_config_static_selectorELNS0_4arch9wavefront6targetE1EEEvT1_: ; @_ZN7rocprim17ROCPRIM_400000_NS6detail17trampoline_kernelINS0_14default_configENS1_20scan_config_selectorIxEEZZNS1_9scan_implILNS1_25lookback_scan_determinismE0ELb1ELb1ES3_N6thrust23THRUST_200600_302600_NS6detail15normal_iteratorINS9_10device_ptrIxEEEENS9_16discard_iteratorINS9_11use_defaultEEExNS9_4plusIvEExEEDaPvRmT3_T4_T5_mT6_P12ihipStream_tbENKUlT_T0_E_clISt17integral_constantIbLb0EESW_IbLb1EEEEDaSS_ST_EUlSS_E0_NS1_11comp_targetILNS1_3genE0ELNS1_11target_archE4294967295ELNS1_3gpuE0ELNS1_3repE0EEENS1_30default_config_static_selectorELNS0_4arch9wavefront6targetE1EEEvT1_
; %bb.0:
	.section	.rodata,"a",@progbits
	.p2align	6, 0x0
	.amdhsa_kernel _ZN7rocprim17ROCPRIM_400000_NS6detail17trampoline_kernelINS0_14default_configENS1_20scan_config_selectorIxEEZZNS1_9scan_implILNS1_25lookback_scan_determinismE0ELb1ELb1ES3_N6thrust23THRUST_200600_302600_NS6detail15normal_iteratorINS9_10device_ptrIxEEEENS9_16discard_iteratorINS9_11use_defaultEEExNS9_4plusIvEExEEDaPvRmT3_T4_T5_mT6_P12ihipStream_tbENKUlT_T0_E_clISt17integral_constantIbLb0EESW_IbLb1EEEEDaSS_ST_EUlSS_E0_NS1_11comp_targetILNS1_3genE0ELNS1_11target_archE4294967295ELNS1_3gpuE0ELNS1_3repE0EEENS1_30default_config_static_selectorELNS0_4arch9wavefront6targetE1EEEvT1_
		.amdhsa_group_segment_fixed_size 0
		.amdhsa_private_segment_fixed_size 0
		.amdhsa_kernarg_size 48
		.amdhsa_user_sgpr_count 6
		.amdhsa_user_sgpr_private_segment_buffer 1
		.amdhsa_user_sgpr_dispatch_ptr 0
		.amdhsa_user_sgpr_queue_ptr 0
		.amdhsa_user_sgpr_kernarg_segment_ptr 1
		.amdhsa_user_sgpr_dispatch_id 0
		.amdhsa_user_sgpr_flat_scratch_init 0
		.amdhsa_user_sgpr_kernarg_preload_length 0
		.amdhsa_user_sgpr_kernarg_preload_offset 0
		.amdhsa_user_sgpr_private_segment_size 0
		.amdhsa_uses_dynamic_stack 0
		.amdhsa_system_sgpr_private_segment_wavefront_offset 0
		.amdhsa_system_sgpr_workgroup_id_x 1
		.amdhsa_system_sgpr_workgroup_id_y 0
		.amdhsa_system_sgpr_workgroup_id_z 0
		.amdhsa_system_sgpr_workgroup_info 0
		.amdhsa_system_vgpr_workitem_id 0
		.amdhsa_next_free_vgpr 1
		.amdhsa_next_free_sgpr 0
		.amdhsa_accum_offset 4
		.amdhsa_reserve_vcc 0
		.amdhsa_reserve_flat_scratch 0
		.amdhsa_float_round_mode_32 0
		.amdhsa_float_round_mode_16_64 0
		.amdhsa_float_denorm_mode_32 3
		.amdhsa_float_denorm_mode_16_64 3
		.amdhsa_dx10_clamp 1
		.amdhsa_ieee_mode 1
		.amdhsa_fp16_overflow 0
		.amdhsa_tg_split 0
		.amdhsa_exception_fp_ieee_invalid_op 0
		.amdhsa_exception_fp_denorm_src 0
		.amdhsa_exception_fp_ieee_div_zero 0
		.amdhsa_exception_fp_ieee_overflow 0
		.amdhsa_exception_fp_ieee_underflow 0
		.amdhsa_exception_fp_ieee_inexact 0
		.amdhsa_exception_int_div_zero 0
	.end_amdhsa_kernel
	.section	.text._ZN7rocprim17ROCPRIM_400000_NS6detail17trampoline_kernelINS0_14default_configENS1_20scan_config_selectorIxEEZZNS1_9scan_implILNS1_25lookback_scan_determinismE0ELb1ELb1ES3_N6thrust23THRUST_200600_302600_NS6detail15normal_iteratorINS9_10device_ptrIxEEEENS9_16discard_iteratorINS9_11use_defaultEEExNS9_4plusIvEExEEDaPvRmT3_T4_T5_mT6_P12ihipStream_tbENKUlT_T0_E_clISt17integral_constantIbLb0EESW_IbLb1EEEEDaSS_ST_EUlSS_E0_NS1_11comp_targetILNS1_3genE0ELNS1_11target_archE4294967295ELNS1_3gpuE0ELNS1_3repE0EEENS1_30default_config_static_selectorELNS0_4arch9wavefront6targetE1EEEvT1_,"axG",@progbits,_ZN7rocprim17ROCPRIM_400000_NS6detail17trampoline_kernelINS0_14default_configENS1_20scan_config_selectorIxEEZZNS1_9scan_implILNS1_25lookback_scan_determinismE0ELb1ELb1ES3_N6thrust23THRUST_200600_302600_NS6detail15normal_iteratorINS9_10device_ptrIxEEEENS9_16discard_iteratorINS9_11use_defaultEEExNS9_4plusIvEExEEDaPvRmT3_T4_T5_mT6_P12ihipStream_tbENKUlT_T0_E_clISt17integral_constantIbLb0EESW_IbLb1EEEEDaSS_ST_EUlSS_E0_NS1_11comp_targetILNS1_3genE0ELNS1_11target_archE4294967295ELNS1_3gpuE0ELNS1_3repE0EEENS1_30default_config_static_selectorELNS0_4arch9wavefront6targetE1EEEvT1_,comdat
.Lfunc_end5717:
	.size	_ZN7rocprim17ROCPRIM_400000_NS6detail17trampoline_kernelINS0_14default_configENS1_20scan_config_selectorIxEEZZNS1_9scan_implILNS1_25lookback_scan_determinismE0ELb1ELb1ES3_N6thrust23THRUST_200600_302600_NS6detail15normal_iteratorINS9_10device_ptrIxEEEENS9_16discard_iteratorINS9_11use_defaultEEExNS9_4plusIvEExEEDaPvRmT3_T4_T5_mT6_P12ihipStream_tbENKUlT_T0_E_clISt17integral_constantIbLb0EESW_IbLb1EEEEDaSS_ST_EUlSS_E0_NS1_11comp_targetILNS1_3genE0ELNS1_11target_archE4294967295ELNS1_3gpuE0ELNS1_3repE0EEENS1_30default_config_static_selectorELNS0_4arch9wavefront6targetE1EEEvT1_, .Lfunc_end5717-_ZN7rocprim17ROCPRIM_400000_NS6detail17trampoline_kernelINS0_14default_configENS1_20scan_config_selectorIxEEZZNS1_9scan_implILNS1_25lookback_scan_determinismE0ELb1ELb1ES3_N6thrust23THRUST_200600_302600_NS6detail15normal_iteratorINS9_10device_ptrIxEEEENS9_16discard_iteratorINS9_11use_defaultEEExNS9_4plusIvEExEEDaPvRmT3_T4_T5_mT6_P12ihipStream_tbENKUlT_T0_E_clISt17integral_constantIbLb0EESW_IbLb1EEEEDaSS_ST_EUlSS_E0_NS1_11comp_targetILNS1_3genE0ELNS1_11target_archE4294967295ELNS1_3gpuE0ELNS1_3repE0EEENS1_30default_config_static_selectorELNS0_4arch9wavefront6targetE1EEEvT1_
                                        ; -- End function
	.section	.AMDGPU.csdata,"",@progbits
; Kernel info:
; codeLenInByte = 0
; NumSgprs: 4
; NumVgprs: 0
; NumAgprs: 0
; TotalNumVgprs: 0
; ScratchSize: 0
; MemoryBound: 0
; FloatMode: 240
; IeeeMode: 1
; LDSByteSize: 0 bytes/workgroup (compile time only)
; SGPRBlocks: 0
; VGPRBlocks: 0
; NumSGPRsForWavesPerEU: 4
; NumVGPRsForWavesPerEU: 1
; AccumOffset: 4
; Occupancy: 8
; WaveLimiterHint : 0
; COMPUTE_PGM_RSRC2:SCRATCH_EN: 0
; COMPUTE_PGM_RSRC2:USER_SGPR: 6
; COMPUTE_PGM_RSRC2:TRAP_HANDLER: 0
; COMPUTE_PGM_RSRC2:TGID_X_EN: 1
; COMPUTE_PGM_RSRC2:TGID_Y_EN: 0
; COMPUTE_PGM_RSRC2:TGID_Z_EN: 0
; COMPUTE_PGM_RSRC2:TIDIG_COMP_CNT: 0
; COMPUTE_PGM_RSRC3_GFX90A:ACCUM_OFFSET: 0
; COMPUTE_PGM_RSRC3_GFX90A:TG_SPLIT: 0
	.section	.text._ZN7rocprim17ROCPRIM_400000_NS6detail17trampoline_kernelINS0_14default_configENS1_20scan_config_selectorIxEEZZNS1_9scan_implILNS1_25lookback_scan_determinismE0ELb1ELb1ES3_N6thrust23THRUST_200600_302600_NS6detail15normal_iteratorINS9_10device_ptrIxEEEENS9_16discard_iteratorINS9_11use_defaultEEExNS9_4plusIvEExEEDaPvRmT3_T4_T5_mT6_P12ihipStream_tbENKUlT_T0_E_clISt17integral_constantIbLb0EESW_IbLb1EEEEDaSS_ST_EUlSS_E0_NS1_11comp_targetILNS1_3genE5ELNS1_11target_archE942ELNS1_3gpuE9ELNS1_3repE0EEENS1_30default_config_static_selectorELNS0_4arch9wavefront6targetE1EEEvT1_,"axG",@progbits,_ZN7rocprim17ROCPRIM_400000_NS6detail17trampoline_kernelINS0_14default_configENS1_20scan_config_selectorIxEEZZNS1_9scan_implILNS1_25lookback_scan_determinismE0ELb1ELb1ES3_N6thrust23THRUST_200600_302600_NS6detail15normal_iteratorINS9_10device_ptrIxEEEENS9_16discard_iteratorINS9_11use_defaultEEExNS9_4plusIvEExEEDaPvRmT3_T4_T5_mT6_P12ihipStream_tbENKUlT_T0_E_clISt17integral_constantIbLb0EESW_IbLb1EEEEDaSS_ST_EUlSS_E0_NS1_11comp_targetILNS1_3genE5ELNS1_11target_archE942ELNS1_3gpuE9ELNS1_3repE0EEENS1_30default_config_static_selectorELNS0_4arch9wavefront6targetE1EEEvT1_,comdat
	.protected	_ZN7rocprim17ROCPRIM_400000_NS6detail17trampoline_kernelINS0_14default_configENS1_20scan_config_selectorIxEEZZNS1_9scan_implILNS1_25lookback_scan_determinismE0ELb1ELb1ES3_N6thrust23THRUST_200600_302600_NS6detail15normal_iteratorINS9_10device_ptrIxEEEENS9_16discard_iteratorINS9_11use_defaultEEExNS9_4plusIvEExEEDaPvRmT3_T4_T5_mT6_P12ihipStream_tbENKUlT_T0_E_clISt17integral_constantIbLb0EESW_IbLb1EEEEDaSS_ST_EUlSS_E0_NS1_11comp_targetILNS1_3genE5ELNS1_11target_archE942ELNS1_3gpuE9ELNS1_3repE0EEENS1_30default_config_static_selectorELNS0_4arch9wavefront6targetE1EEEvT1_ ; -- Begin function _ZN7rocprim17ROCPRIM_400000_NS6detail17trampoline_kernelINS0_14default_configENS1_20scan_config_selectorIxEEZZNS1_9scan_implILNS1_25lookback_scan_determinismE0ELb1ELb1ES3_N6thrust23THRUST_200600_302600_NS6detail15normal_iteratorINS9_10device_ptrIxEEEENS9_16discard_iteratorINS9_11use_defaultEEExNS9_4plusIvEExEEDaPvRmT3_T4_T5_mT6_P12ihipStream_tbENKUlT_T0_E_clISt17integral_constantIbLb0EESW_IbLb1EEEEDaSS_ST_EUlSS_E0_NS1_11comp_targetILNS1_3genE5ELNS1_11target_archE942ELNS1_3gpuE9ELNS1_3repE0EEENS1_30default_config_static_selectorELNS0_4arch9wavefront6targetE1EEEvT1_
	.globl	_ZN7rocprim17ROCPRIM_400000_NS6detail17trampoline_kernelINS0_14default_configENS1_20scan_config_selectorIxEEZZNS1_9scan_implILNS1_25lookback_scan_determinismE0ELb1ELb1ES3_N6thrust23THRUST_200600_302600_NS6detail15normal_iteratorINS9_10device_ptrIxEEEENS9_16discard_iteratorINS9_11use_defaultEEExNS9_4plusIvEExEEDaPvRmT3_T4_T5_mT6_P12ihipStream_tbENKUlT_T0_E_clISt17integral_constantIbLb0EESW_IbLb1EEEEDaSS_ST_EUlSS_E0_NS1_11comp_targetILNS1_3genE5ELNS1_11target_archE942ELNS1_3gpuE9ELNS1_3repE0EEENS1_30default_config_static_selectorELNS0_4arch9wavefront6targetE1EEEvT1_
	.p2align	8
	.type	_ZN7rocprim17ROCPRIM_400000_NS6detail17trampoline_kernelINS0_14default_configENS1_20scan_config_selectorIxEEZZNS1_9scan_implILNS1_25lookback_scan_determinismE0ELb1ELb1ES3_N6thrust23THRUST_200600_302600_NS6detail15normal_iteratorINS9_10device_ptrIxEEEENS9_16discard_iteratorINS9_11use_defaultEEExNS9_4plusIvEExEEDaPvRmT3_T4_T5_mT6_P12ihipStream_tbENKUlT_T0_E_clISt17integral_constantIbLb0EESW_IbLb1EEEEDaSS_ST_EUlSS_E0_NS1_11comp_targetILNS1_3genE5ELNS1_11target_archE942ELNS1_3gpuE9ELNS1_3repE0EEENS1_30default_config_static_selectorELNS0_4arch9wavefront6targetE1EEEvT1_,@function
_ZN7rocprim17ROCPRIM_400000_NS6detail17trampoline_kernelINS0_14default_configENS1_20scan_config_selectorIxEEZZNS1_9scan_implILNS1_25lookback_scan_determinismE0ELb1ELb1ES3_N6thrust23THRUST_200600_302600_NS6detail15normal_iteratorINS9_10device_ptrIxEEEENS9_16discard_iteratorINS9_11use_defaultEEExNS9_4plusIvEExEEDaPvRmT3_T4_T5_mT6_P12ihipStream_tbENKUlT_T0_E_clISt17integral_constantIbLb0EESW_IbLb1EEEEDaSS_ST_EUlSS_E0_NS1_11comp_targetILNS1_3genE5ELNS1_11target_archE942ELNS1_3gpuE9ELNS1_3repE0EEENS1_30default_config_static_selectorELNS0_4arch9wavefront6targetE1EEEvT1_: ; @_ZN7rocprim17ROCPRIM_400000_NS6detail17trampoline_kernelINS0_14default_configENS1_20scan_config_selectorIxEEZZNS1_9scan_implILNS1_25lookback_scan_determinismE0ELb1ELb1ES3_N6thrust23THRUST_200600_302600_NS6detail15normal_iteratorINS9_10device_ptrIxEEEENS9_16discard_iteratorINS9_11use_defaultEEExNS9_4plusIvEExEEDaPvRmT3_T4_T5_mT6_P12ihipStream_tbENKUlT_T0_E_clISt17integral_constantIbLb0EESW_IbLb1EEEEDaSS_ST_EUlSS_E0_NS1_11comp_targetILNS1_3genE5ELNS1_11target_archE942ELNS1_3gpuE9ELNS1_3repE0EEENS1_30default_config_static_selectorELNS0_4arch9wavefront6targetE1EEEvT1_
; %bb.0:
	.section	.rodata,"a",@progbits
	.p2align	6, 0x0
	.amdhsa_kernel _ZN7rocprim17ROCPRIM_400000_NS6detail17trampoline_kernelINS0_14default_configENS1_20scan_config_selectorIxEEZZNS1_9scan_implILNS1_25lookback_scan_determinismE0ELb1ELb1ES3_N6thrust23THRUST_200600_302600_NS6detail15normal_iteratorINS9_10device_ptrIxEEEENS9_16discard_iteratorINS9_11use_defaultEEExNS9_4plusIvEExEEDaPvRmT3_T4_T5_mT6_P12ihipStream_tbENKUlT_T0_E_clISt17integral_constantIbLb0EESW_IbLb1EEEEDaSS_ST_EUlSS_E0_NS1_11comp_targetILNS1_3genE5ELNS1_11target_archE942ELNS1_3gpuE9ELNS1_3repE0EEENS1_30default_config_static_selectorELNS0_4arch9wavefront6targetE1EEEvT1_
		.amdhsa_group_segment_fixed_size 0
		.amdhsa_private_segment_fixed_size 0
		.amdhsa_kernarg_size 48
		.amdhsa_user_sgpr_count 6
		.amdhsa_user_sgpr_private_segment_buffer 1
		.amdhsa_user_sgpr_dispatch_ptr 0
		.amdhsa_user_sgpr_queue_ptr 0
		.amdhsa_user_sgpr_kernarg_segment_ptr 1
		.amdhsa_user_sgpr_dispatch_id 0
		.amdhsa_user_sgpr_flat_scratch_init 0
		.amdhsa_user_sgpr_kernarg_preload_length 0
		.amdhsa_user_sgpr_kernarg_preload_offset 0
		.amdhsa_user_sgpr_private_segment_size 0
		.amdhsa_uses_dynamic_stack 0
		.amdhsa_system_sgpr_private_segment_wavefront_offset 0
		.amdhsa_system_sgpr_workgroup_id_x 1
		.amdhsa_system_sgpr_workgroup_id_y 0
		.amdhsa_system_sgpr_workgroup_id_z 0
		.amdhsa_system_sgpr_workgroup_info 0
		.amdhsa_system_vgpr_workitem_id 0
		.amdhsa_next_free_vgpr 1
		.amdhsa_next_free_sgpr 0
		.amdhsa_accum_offset 4
		.amdhsa_reserve_vcc 0
		.amdhsa_reserve_flat_scratch 0
		.amdhsa_float_round_mode_32 0
		.amdhsa_float_round_mode_16_64 0
		.amdhsa_float_denorm_mode_32 3
		.amdhsa_float_denorm_mode_16_64 3
		.amdhsa_dx10_clamp 1
		.amdhsa_ieee_mode 1
		.amdhsa_fp16_overflow 0
		.amdhsa_tg_split 0
		.amdhsa_exception_fp_ieee_invalid_op 0
		.amdhsa_exception_fp_denorm_src 0
		.amdhsa_exception_fp_ieee_div_zero 0
		.amdhsa_exception_fp_ieee_overflow 0
		.amdhsa_exception_fp_ieee_underflow 0
		.amdhsa_exception_fp_ieee_inexact 0
		.amdhsa_exception_int_div_zero 0
	.end_amdhsa_kernel
	.section	.text._ZN7rocprim17ROCPRIM_400000_NS6detail17trampoline_kernelINS0_14default_configENS1_20scan_config_selectorIxEEZZNS1_9scan_implILNS1_25lookback_scan_determinismE0ELb1ELb1ES3_N6thrust23THRUST_200600_302600_NS6detail15normal_iteratorINS9_10device_ptrIxEEEENS9_16discard_iteratorINS9_11use_defaultEEExNS9_4plusIvEExEEDaPvRmT3_T4_T5_mT6_P12ihipStream_tbENKUlT_T0_E_clISt17integral_constantIbLb0EESW_IbLb1EEEEDaSS_ST_EUlSS_E0_NS1_11comp_targetILNS1_3genE5ELNS1_11target_archE942ELNS1_3gpuE9ELNS1_3repE0EEENS1_30default_config_static_selectorELNS0_4arch9wavefront6targetE1EEEvT1_,"axG",@progbits,_ZN7rocprim17ROCPRIM_400000_NS6detail17trampoline_kernelINS0_14default_configENS1_20scan_config_selectorIxEEZZNS1_9scan_implILNS1_25lookback_scan_determinismE0ELb1ELb1ES3_N6thrust23THRUST_200600_302600_NS6detail15normal_iteratorINS9_10device_ptrIxEEEENS9_16discard_iteratorINS9_11use_defaultEEExNS9_4plusIvEExEEDaPvRmT3_T4_T5_mT6_P12ihipStream_tbENKUlT_T0_E_clISt17integral_constantIbLb0EESW_IbLb1EEEEDaSS_ST_EUlSS_E0_NS1_11comp_targetILNS1_3genE5ELNS1_11target_archE942ELNS1_3gpuE9ELNS1_3repE0EEENS1_30default_config_static_selectorELNS0_4arch9wavefront6targetE1EEEvT1_,comdat
.Lfunc_end5718:
	.size	_ZN7rocprim17ROCPRIM_400000_NS6detail17trampoline_kernelINS0_14default_configENS1_20scan_config_selectorIxEEZZNS1_9scan_implILNS1_25lookback_scan_determinismE0ELb1ELb1ES3_N6thrust23THRUST_200600_302600_NS6detail15normal_iteratorINS9_10device_ptrIxEEEENS9_16discard_iteratorINS9_11use_defaultEEExNS9_4plusIvEExEEDaPvRmT3_T4_T5_mT6_P12ihipStream_tbENKUlT_T0_E_clISt17integral_constantIbLb0EESW_IbLb1EEEEDaSS_ST_EUlSS_E0_NS1_11comp_targetILNS1_3genE5ELNS1_11target_archE942ELNS1_3gpuE9ELNS1_3repE0EEENS1_30default_config_static_selectorELNS0_4arch9wavefront6targetE1EEEvT1_, .Lfunc_end5718-_ZN7rocprim17ROCPRIM_400000_NS6detail17trampoline_kernelINS0_14default_configENS1_20scan_config_selectorIxEEZZNS1_9scan_implILNS1_25lookback_scan_determinismE0ELb1ELb1ES3_N6thrust23THRUST_200600_302600_NS6detail15normal_iteratorINS9_10device_ptrIxEEEENS9_16discard_iteratorINS9_11use_defaultEEExNS9_4plusIvEExEEDaPvRmT3_T4_T5_mT6_P12ihipStream_tbENKUlT_T0_E_clISt17integral_constantIbLb0EESW_IbLb1EEEEDaSS_ST_EUlSS_E0_NS1_11comp_targetILNS1_3genE5ELNS1_11target_archE942ELNS1_3gpuE9ELNS1_3repE0EEENS1_30default_config_static_selectorELNS0_4arch9wavefront6targetE1EEEvT1_
                                        ; -- End function
	.section	.AMDGPU.csdata,"",@progbits
; Kernel info:
; codeLenInByte = 0
; NumSgprs: 4
; NumVgprs: 0
; NumAgprs: 0
; TotalNumVgprs: 0
; ScratchSize: 0
; MemoryBound: 0
; FloatMode: 240
; IeeeMode: 1
; LDSByteSize: 0 bytes/workgroup (compile time only)
; SGPRBlocks: 0
; VGPRBlocks: 0
; NumSGPRsForWavesPerEU: 4
; NumVGPRsForWavesPerEU: 1
; AccumOffset: 4
; Occupancy: 8
; WaveLimiterHint : 0
; COMPUTE_PGM_RSRC2:SCRATCH_EN: 0
; COMPUTE_PGM_RSRC2:USER_SGPR: 6
; COMPUTE_PGM_RSRC2:TRAP_HANDLER: 0
; COMPUTE_PGM_RSRC2:TGID_X_EN: 1
; COMPUTE_PGM_RSRC2:TGID_Y_EN: 0
; COMPUTE_PGM_RSRC2:TGID_Z_EN: 0
; COMPUTE_PGM_RSRC2:TIDIG_COMP_CNT: 0
; COMPUTE_PGM_RSRC3_GFX90A:ACCUM_OFFSET: 0
; COMPUTE_PGM_RSRC3_GFX90A:TG_SPLIT: 0
	.section	.text._ZN7rocprim17ROCPRIM_400000_NS6detail17trampoline_kernelINS0_14default_configENS1_20scan_config_selectorIxEEZZNS1_9scan_implILNS1_25lookback_scan_determinismE0ELb1ELb1ES3_N6thrust23THRUST_200600_302600_NS6detail15normal_iteratorINS9_10device_ptrIxEEEENS9_16discard_iteratorINS9_11use_defaultEEExNS9_4plusIvEExEEDaPvRmT3_T4_T5_mT6_P12ihipStream_tbENKUlT_T0_E_clISt17integral_constantIbLb0EESW_IbLb1EEEEDaSS_ST_EUlSS_E0_NS1_11comp_targetILNS1_3genE4ELNS1_11target_archE910ELNS1_3gpuE8ELNS1_3repE0EEENS1_30default_config_static_selectorELNS0_4arch9wavefront6targetE1EEEvT1_,"axG",@progbits,_ZN7rocprim17ROCPRIM_400000_NS6detail17trampoline_kernelINS0_14default_configENS1_20scan_config_selectorIxEEZZNS1_9scan_implILNS1_25lookback_scan_determinismE0ELb1ELb1ES3_N6thrust23THRUST_200600_302600_NS6detail15normal_iteratorINS9_10device_ptrIxEEEENS9_16discard_iteratorINS9_11use_defaultEEExNS9_4plusIvEExEEDaPvRmT3_T4_T5_mT6_P12ihipStream_tbENKUlT_T0_E_clISt17integral_constantIbLb0EESW_IbLb1EEEEDaSS_ST_EUlSS_E0_NS1_11comp_targetILNS1_3genE4ELNS1_11target_archE910ELNS1_3gpuE8ELNS1_3repE0EEENS1_30default_config_static_selectorELNS0_4arch9wavefront6targetE1EEEvT1_,comdat
	.protected	_ZN7rocprim17ROCPRIM_400000_NS6detail17trampoline_kernelINS0_14default_configENS1_20scan_config_selectorIxEEZZNS1_9scan_implILNS1_25lookback_scan_determinismE0ELb1ELb1ES3_N6thrust23THRUST_200600_302600_NS6detail15normal_iteratorINS9_10device_ptrIxEEEENS9_16discard_iteratorINS9_11use_defaultEEExNS9_4plusIvEExEEDaPvRmT3_T4_T5_mT6_P12ihipStream_tbENKUlT_T0_E_clISt17integral_constantIbLb0EESW_IbLb1EEEEDaSS_ST_EUlSS_E0_NS1_11comp_targetILNS1_3genE4ELNS1_11target_archE910ELNS1_3gpuE8ELNS1_3repE0EEENS1_30default_config_static_selectorELNS0_4arch9wavefront6targetE1EEEvT1_ ; -- Begin function _ZN7rocprim17ROCPRIM_400000_NS6detail17trampoline_kernelINS0_14default_configENS1_20scan_config_selectorIxEEZZNS1_9scan_implILNS1_25lookback_scan_determinismE0ELb1ELb1ES3_N6thrust23THRUST_200600_302600_NS6detail15normal_iteratorINS9_10device_ptrIxEEEENS9_16discard_iteratorINS9_11use_defaultEEExNS9_4plusIvEExEEDaPvRmT3_T4_T5_mT6_P12ihipStream_tbENKUlT_T0_E_clISt17integral_constantIbLb0EESW_IbLb1EEEEDaSS_ST_EUlSS_E0_NS1_11comp_targetILNS1_3genE4ELNS1_11target_archE910ELNS1_3gpuE8ELNS1_3repE0EEENS1_30default_config_static_selectorELNS0_4arch9wavefront6targetE1EEEvT1_
	.globl	_ZN7rocprim17ROCPRIM_400000_NS6detail17trampoline_kernelINS0_14default_configENS1_20scan_config_selectorIxEEZZNS1_9scan_implILNS1_25lookback_scan_determinismE0ELb1ELb1ES3_N6thrust23THRUST_200600_302600_NS6detail15normal_iteratorINS9_10device_ptrIxEEEENS9_16discard_iteratorINS9_11use_defaultEEExNS9_4plusIvEExEEDaPvRmT3_T4_T5_mT6_P12ihipStream_tbENKUlT_T0_E_clISt17integral_constantIbLb0EESW_IbLb1EEEEDaSS_ST_EUlSS_E0_NS1_11comp_targetILNS1_3genE4ELNS1_11target_archE910ELNS1_3gpuE8ELNS1_3repE0EEENS1_30default_config_static_selectorELNS0_4arch9wavefront6targetE1EEEvT1_
	.p2align	8
	.type	_ZN7rocprim17ROCPRIM_400000_NS6detail17trampoline_kernelINS0_14default_configENS1_20scan_config_selectorIxEEZZNS1_9scan_implILNS1_25lookback_scan_determinismE0ELb1ELb1ES3_N6thrust23THRUST_200600_302600_NS6detail15normal_iteratorINS9_10device_ptrIxEEEENS9_16discard_iteratorINS9_11use_defaultEEExNS9_4plusIvEExEEDaPvRmT3_T4_T5_mT6_P12ihipStream_tbENKUlT_T0_E_clISt17integral_constantIbLb0EESW_IbLb1EEEEDaSS_ST_EUlSS_E0_NS1_11comp_targetILNS1_3genE4ELNS1_11target_archE910ELNS1_3gpuE8ELNS1_3repE0EEENS1_30default_config_static_selectorELNS0_4arch9wavefront6targetE1EEEvT1_,@function
_ZN7rocprim17ROCPRIM_400000_NS6detail17trampoline_kernelINS0_14default_configENS1_20scan_config_selectorIxEEZZNS1_9scan_implILNS1_25lookback_scan_determinismE0ELb1ELb1ES3_N6thrust23THRUST_200600_302600_NS6detail15normal_iteratorINS9_10device_ptrIxEEEENS9_16discard_iteratorINS9_11use_defaultEEExNS9_4plusIvEExEEDaPvRmT3_T4_T5_mT6_P12ihipStream_tbENKUlT_T0_E_clISt17integral_constantIbLb0EESW_IbLb1EEEEDaSS_ST_EUlSS_E0_NS1_11comp_targetILNS1_3genE4ELNS1_11target_archE910ELNS1_3gpuE8ELNS1_3repE0EEENS1_30default_config_static_selectorELNS0_4arch9wavefront6targetE1EEEvT1_: ; @_ZN7rocprim17ROCPRIM_400000_NS6detail17trampoline_kernelINS0_14default_configENS1_20scan_config_selectorIxEEZZNS1_9scan_implILNS1_25lookback_scan_determinismE0ELb1ELb1ES3_N6thrust23THRUST_200600_302600_NS6detail15normal_iteratorINS9_10device_ptrIxEEEENS9_16discard_iteratorINS9_11use_defaultEEExNS9_4plusIvEExEEDaPvRmT3_T4_T5_mT6_P12ihipStream_tbENKUlT_T0_E_clISt17integral_constantIbLb0EESW_IbLb1EEEEDaSS_ST_EUlSS_E0_NS1_11comp_targetILNS1_3genE4ELNS1_11target_archE910ELNS1_3gpuE8ELNS1_3repE0EEENS1_30default_config_static_selectorELNS0_4arch9wavefront6targetE1EEEvT1_
; %bb.0:
	s_load_dwordx4 s[0:3], s[4:5], 0x0
	v_lshlrev_b32_e32 v20, 3, v0
	s_waitcnt lgkmcnt(0)
	s_load_dwordx2 s[6:7], s[0:1], 0x0
	v_cmp_gt_u32_e32 vcc, s2, v0
	s_waitcnt lgkmcnt(0)
	v_pk_mov_b32 v[2:3], s[6:7], s[6:7] op_sel:[0,1]
	s_and_saveexec_b64 s[8:9], vcc
	s_cbranch_execz .LBB5719_2
; %bb.1:
	global_load_dwordx2 v[2:3], v20, s[0:1]
.LBB5719_2:
	s_or_b64 exec, exec, s[8:9]
	v_or_b32_e32 v1, 0x80, v0
	v_cmp_gt_u32_e32 vcc, s2, v1
	v_pk_mov_b32 v[4:5], s[6:7], s[6:7] op_sel:[0,1]
	s_and_saveexec_b64 s[8:9], vcc
	s_cbranch_execz .LBB5719_4
; %bb.3:
	global_load_dwordx2 v[4:5], v20, s[0:1] offset:1024
.LBB5719_4:
	s_or_b64 exec, exec, s[8:9]
	v_or_b32_e32 v1, 0x100, v0
	v_cmp_gt_u32_e32 vcc, s2, v1
	v_pk_mov_b32 v[6:7], s[6:7], s[6:7] op_sel:[0,1]
	s_and_saveexec_b64 s[8:9], vcc
	s_cbranch_execz .LBB5719_6
; %bb.5:
	global_load_dwordx2 v[6:7], v20, s[0:1] offset:2048
.LBB5719_6:
	;; [unrolled: 9-line block ×3, first 2 shown]
	s_or_b64 exec, exec, s[8:9]
	v_or_b32_e32 v1, 0x200, v0
	v_cmp_gt_u32_e32 vcc, s2, v1
	v_pk_mov_b32 v[10:11], s[6:7], s[6:7] op_sel:[0,1]
	s_and_saveexec_b64 s[8:9], vcc
	s_cbranch_execz .LBB5719_10
; %bb.9:
	v_lshlrev_b32_e32 v1, 3, v1
	global_load_dwordx2 v[10:11], v1, s[0:1]
.LBB5719_10:
	s_or_b64 exec, exec, s[8:9]
	v_or_b32_e32 v1, 0x280, v0
	v_cmp_gt_u32_e32 vcc, s2, v1
	v_pk_mov_b32 v[12:13], s[6:7], s[6:7] op_sel:[0,1]
	s_and_saveexec_b64 s[8:9], vcc
	s_cbranch_execz .LBB5719_12
; %bb.11:
	v_lshlrev_b32_e32 v1, 3, v1
	global_load_dwordx2 v[12:13], v1, s[0:1]
.LBB5719_12:
	s_or_b64 exec, exec, s[8:9]
	s_load_dwordx2 s[4:5], s[4:5], 0x10
	v_or_b32_e32 v1, 0x300, v0
	v_cmp_gt_u32_e32 vcc, s2, v1
	v_pk_mov_b32 v[14:15], s[6:7], s[6:7] op_sel:[0,1]
	s_and_saveexec_b64 s[2:3], vcc
	s_cbranch_execz .LBB5719_14
; %bb.13:
	v_lshlrev_b32_e32 v1, 3, v1
	global_load_dwordx2 v[14:15], v1, s[0:1]
.LBB5719_14:
	s_or_b64 exec, exec, s[2:3]
	v_mad_u32_u24 v1, v0, 48, v20
	s_waitcnt vmcnt(0)
	ds_write2st64_b64 v20, v[2:3], v[4:5] offset1:2
	ds_write2st64_b64 v20, v[6:7], v[8:9] offset0:4 offset1:6
	ds_write2st64_b64 v20, v[10:11], v[12:13] offset0:8 offset1:10
	ds_write_b64 v20, v[14:15] offset:6144
	s_waitcnt lgkmcnt(0)
	s_barrier
	ds_read2_b64 v[2:5], v1 offset1:1
	ds_read2_b64 v[6:9], v1 offset0:2 offset1:3
	ds_read2_b64 v[10:13], v1 offset0:4 offset1:5
	ds_read_b64 v[14:15], v1 offset:48
	s_waitcnt lgkmcnt(0)
	v_add_co_u32_e32 v1, vcc, v4, v2
	v_addc_co_u32_e32 v16, vcc, v5, v3, vcc
	v_add_co_u32_e32 v1, vcc, v1, v6
	v_addc_co_u32_e32 v16, vcc, v16, v7, vcc
	;; [unrolled: 2-line block ×5, first 2 shown]
	v_add_co_u32_e32 v18, vcc, v1, v14
	v_lshrrev_b32_e32 v1, 2, v0
	v_addc_co_u32_e32 v19, vcc, v16, v15, vcc
	v_and_b32_e32 v1, 24, v1
	v_add_u32_e32 v1, v20, v1
	v_cmp_gt_u32_e32 vcc, 64, v0
	s_barrier
	ds_write_b64 v1, v[18:19]
	s_waitcnt lgkmcnt(0)
	s_barrier
	s_and_saveexec_b64 s[2:3], vcc
	s_cbranch_execz .LBB5719_18
; %bb.15:
	v_lshlrev_b32_e32 v1, 1, v0
	v_lshrrev_b32_e32 v14, 4, v0
	v_add_lshl_u32 v21, v14, v1, 3
	ds_read2_b64 v[14:17], v21 offset1:1
	v_mbcnt_lo_u32_b32 v1, -1, 0
	s_waitcnt lgkmcnt(0)
	v_add_co_u32_e32 v22, vcc, v16, v14
	v_addc_co_u32_e32 v23, vcc, v17, v15, vcc
	s_nop 0
	v_mov_b32_dpp v16, v22 row_shr:1 row_mask:0xf bank_mask:0xf
	v_add_co_u32_e32 v16, vcc, v22, v16
	v_addc_co_u32_e32 v25, vcc, 0, v23, vcc
	v_mbcnt_hi_u32_b32 v17, -1, v1
	v_mov_b32_dpp v24, v23 row_shr:1 row_mask:0xf bank_mask:0xf
	v_add_co_u32_e32 v26, vcc, 0, v16
	v_and_b32_e32 v1, 15, v17
	v_addc_co_u32_e32 v24, vcc, v24, v25, vcc
	v_cmp_eq_u32_e32 vcc, 0, v1
	v_cndmask_b32_e32 v16, v16, v22, vcc
	v_cndmask_b32_e32 v24, v24, v23, vcc
	v_cndmask_b32_e32 v25, v26, v22, vcc
	v_mov_b32_dpp v26, v16 row_shr:2 row_mask:0xf bank_mask:0xf
	v_mov_b32_dpp v27, v24 row_shr:2 row_mask:0xf bank_mask:0xf
	v_add_co_u32_e32 v26, vcc, v26, v25
	v_addc_co_u32_e32 v27, vcc, v27, v24, vcc
	v_cmp_lt_u32_e32 vcc, 1, v1
	v_cndmask_b32_e32 v16, v16, v26, vcc
	v_cndmask_b32_e32 v24, v24, v27, vcc
	v_cndmask_b32_e32 v25, v25, v26, vcc
	v_mov_b32_dpp v26, v16 row_shr:4 row_mask:0xf bank_mask:0xf
	v_mov_b32_dpp v27, v24 row_shr:4 row_mask:0xf bank_mask:0xf
	v_add_co_u32_e32 v26, vcc, v26, v25
	v_addc_co_u32_e32 v27, vcc, v27, v24, vcc
	v_cmp_lt_u32_e32 vcc, 3, v1
	;; [unrolled: 8-line block ×3, first 2 shown]
	v_cndmask_b32_e32 v28, v16, v26, vcc
	v_cndmask_b32_e32 v1, v24, v27, vcc
	;; [unrolled: 1-line block ×3, first 2 shown]
	v_mov_b32_dpp v24, v28 row_bcast:15 row_mask:0xf bank_mask:0xf
	v_mov_b32_dpp v25, v1 row_bcast:15 row_mask:0xf bank_mask:0xf
	v_add_co_u32_e32 v24, vcc, v24, v16
	v_and_b32_e32 v27, 16, v17
	v_addc_co_u32_e32 v26, vcc, v25, v1, vcc
	v_cmp_eq_u32_e32 vcc, 0, v27
	v_cndmask_b32_e32 v27, v26, v1, vcc
	v_cndmask_b32_e32 v25, v24, v28, vcc
	v_cmp_ne_u32_e64 s[0:1], 0, v17
	v_mov_b32_dpp v27, v27 row_bcast:31 row_mask:0xf bank_mask:0xf
	v_mov_b32_dpp v25, v25 row_bcast:31 row_mask:0xf bank_mask:0xf
	s_and_saveexec_b64 s[6:7], s[0:1]
; %bb.16:
	v_cndmask_b32_e32 v1, v26, v1, vcc
	v_cndmask_b32_e32 v16, v24, v16, vcc
	v_cmp_lt_u32_e32 vcc, 31, v17
	v_cndmask_b32_e32 v22, 0, v25, vcc
	v_cndmask_b32_e32 v23, 0, v27, vcc
	v_add_co_u32_e32 v22, vcc, v22, v16
	v_addc_co_u32_e32 v23, vcc, v23, v1, vcc
; %bb.17:
	s_or_b64 exec, exec, s[6:7]
	v_add_u32_e32 v1, -1, v17
	v_and_b32_e32 v16, 64, v17
	v_cmp_lt_i32_e32 vcc, v1, v16
	v_cndmask_b32_e32 v1, v1, v17, vcc
	v_lshlrev_b32_e32 v1, 2, v1
	ds_bpermute_b32 v16, v1, v22
	ds_bpermute_b32 v1, v1, v23
	; wave barrier
	s_waitcnt lgkmcnt(1)
	v_add_co_u32_e32 v14, vcc, v14, v16
	v_addc_co_u32_e32 v15, vcc, 0, v15, vcc
	v_add_co_u32_e32 v14, vcc, 0, v14
	s_waitcnt lgkmcnt(0)
	v_addc_co_u32_e32 v1, vcc, v15, v1, vcc
	v_cmp_eq_u32_e32 vcc, 0, v0
	v_cndmask_b32_e32 v15, v1, v19, vcc
	v_cndmask_b32_e32 v14, v14, v18, vcc
	ds_write_b64 v21, v[14:15]
	; wave barrier
	ds_read_b64 v[16:17], v21 offset:8
	s_waitcnt lgkmcnt(0)
	v_add_co_u32_e32 v14, vcc, v16, v14
	v_addc_co_u32_e32 v15, vcc, v17, v15, vcc
	ds_write_b64 v21, v[14:15] offset:8
.LBB5719_18:
	s_or_b64 exec, exec, s[2:3]
	v_mul_u32_u24_e32 v1, 48, v0
	v_cmp_ne_u32_e32 vcc, 0, v0
	v_pk_mov_b32 v[14:15], s[4:5], s[4:5] op_sel:[0,1]
	s_waitcnt lgkmcnt(0)
	s_barrier
	s_and_saveexec_b64 s[0:1], vcc
	s_cbranch_execz .LBB5719_20
; %bb.19:
	v_add_u32_e32 v0, -1, v0
	v_lshrrev_b32_e32 v14, 5, v0
	v_add_lshl_u32 v0, v14, v0, 3
	ds_read_b64 v[14:15], v0
	v_mov_b32_e32 v0, s5
	s_waitcnt lgkmcnt(0)
	v_add_co_u32_e32 v14, vcc, s4, v14
	v_addc_co_u32_e32 v15, vcc, v15, v0, vcc
.LBB5719_20:
	s_or_b64 exec, exec, s[0:1]
	v_add_co_u32_e32 v2, vcc, v14, v2
	v_addc_co_u32_e32 v3, vcc, v15, v3, vcc
	v_add_co_u32_e32 v4, vcc, v2, v4
	v_addc_co_u32_e32 v5, vcc, v3, v5, vcc
	;; [unrolled: 2-line block ×5, first 2 shown]
	v_add_co_u32_e32 v12, vcc, v10, v12
	v_add_u32_e32 v0, v20, v1
	v_addc_co_u32_e32 v13, vcc, v11, v13, vcc
	s_barrier
	ds_write2_b64 v0, v[14:15], v[2:3] offset1:1
	ds_write2_b64 v0, v[4:5], v[6:7] offset0:2 offset1:3
	ds_write2_b64 v0, v[8:9], v[10:11] offset0:4 offset1:5
	ds_write_b64 v0, v[12:13] offset:48
	s_waitcnt lgkmcnt(0)
	s_barrier
	s_endpgm
	.section	.rodata,"a",@progbits
	.p2align	6, 0x0
	.amdhsa_kernel _ZN7rocprim17ROCPRIM_400000_NS6detail17trampoline_kernelINS0_14default_configENS1_20scan_config_selectorIxEEZZNS1_9scan_implILNS1_25lookback_scan_determinismE0ELb1ELb1ES3_N6thrust23THRUST_200600_302600_NS6detail15normal_iteratorINS9_10device_ptrIxEEEENS9_16discard_iteratorINS9_11use_defaultEEExNS9_4plusIvEExEEDaPvRmT3_T4_T5_mT6_P12ihipStream_tbENKUlT_T0_E_clISt17integral_constantIbLb0EESW_IbLb1EEEEDaSS_ST_EUlSS_E0_NS1_11comp_targetILNS1_3genE4ELNS1_11target_archE910ELNS1_3gpuE8ELNS1_3repE0EEENS1_30default_config_static_selectorELNS0_4arch9wavefront6targetE1EEEvT1_
		.amdhsa_group_segment_fixed_size 7168
		.amdhsa_private_segment_fixed_size 0
		.amdhsa_kernarg_size 48
		.amdhsa_user_sgpr_count 6
		.amdhsa_user_sgpr_private_segment_buffer 1
		.amdhsa_user_sgpr_dispatch_ptr 0
		.amdhsa_user_sgpr_queue_ptr 0
		.amdhsa_user_sgpr_kernarg_segment_ptr 1
		.amdhsa_user_sgpr_dispatch_id 0
		.amdhsa_user_sgpr_flat_scratch_init 0
		.amdhsa_user_sgpr_kernarg_preload_length 0
		.amdhsa_user_sgpr_kernarg_preload_offset 0
		.amdhsa_user_sgpr_private_segment_size 0
		.amdhsa_uses_dynamic_stack 0
		.amdhsa_system_sgpr_private_segment_wavefront_offset 0
		.amdhsa_system_sgpr_workgroup_id_x 1
		.amdhsa_system_sgpr_workgroup_id_y 0
		.amdhsa_system_sgpr_workgroup_id_z 0
		.amdhsa_system_sgpr_workgroup_info 0
		.amdhsa_system_vgpr_workitem_id 0
		.amdhsa_next_free_vgpr 29
		.amdhsa_next_free_sgpr 10
		.amdhsa_accum_offset 32
		.amdhsa_reserve_vcc 1
		.amdhsa_reserve_flat_scratch 0
		.amdhsa_float_round_mode_32 0
		.amdhsa_float_round_mode_16_64 0
		.amdhsa_float_denorm_mode_32 3
		.amdhsa_float_denorm_mode_16_64 3
		.amdhsa_dx10_clamp 1
		.amdhsa_ieee_mode 1
		.amdhsa_fp16_overflow 0
		.amdhsa_tg_split 0
		.amdhsa_exception_fp_ieee_invalid_op 0
		.amdhsa_exception_fp_denorm_src 0
		.amdhsa_exception_fp_ieee_div_zero 0
		.amdhsa_exception_fp_ieee_overflow 0
		.amdhsa_exception_fp_ieee_underflow 0
		.amdhsa_exception_fp_ieee_inexact 0
		.amdhsa_exception_int_div_zero 0
	.end_amdhsa_kernel
	.section	.text._ZN7rocprim17ROCPRIM_400000_NS6detail17trampoline_kernelINS0_14default_configENS1_20scan_config_selectorIxEEZZNS1_9scan_implILNS1_25lookback_scan_determinismE0ELb1ELb1ES3_N6thrust23THRUST_200600_302600_NS6detail15normal_iteratorINS9_10device_ptrIxEEEENS9_16discard_iteratorINS9_11use_defaultEEExNS9_4plusIvEExEEDaPvRmT3_T4_T5_mT6_P12ihipStream_tbENKUlT_T0_E_clISt17integral_constantIbLb0EESW_IbLb1EEEEDaSS_ST_EUlSS_E0_NS1_11comp_targetILNS1_3genE4ELNS1_11target_archE910ELNS1_3gpuE8ELNS1_3repE0EEENS1_30default_config_static_selectorELNS0_4arch9wavefront6targetE1EEEvT1_,"axG",@progbits,_ZN7rocprim17ROCPRIM_400000_NS6detail17trampoline_kernelINS0_14default_configENS1_20scan_config_selectorIxEEZZNS1_9scan_implILNS1_25lookback_scan_determinismE0ELb1ELb1ES3_N6thrust23THRUST_200600_302600_NS6detail15normal_iteratorINS9_10device_ptrIxEEEENS9_16discard_iteratorINS9_11use_defaultEEExNS9_4plusIvEExEEDaPvRmT3_T4_T5_mT6_P12ihipStream_tbENKUlT_T0_E_clISt17integral_constantIbLb0EESW_IbLb1EEEEDaSS_ST_EUlSS_E0_NS1_11comp_targetILNS1_3genE4ELNS1_11target_archE910ELNS1_3gpuE8ELNS1_3repE0EEENS1_30default_config_static_selectorELNS0_4arch9wavefront6targetE1EEEvT1_,comdat
.Lfunc_end5719:
	.size	_ZN7rocprim17ROCPRIM_400000_NS6detail17trampoline_kernelINS0_14default_configENS1_20scan_config_selectorIxEEZZNS1_9scan_implILNS1_25lookback_scan_determinismE0ELb1ELb1ES3_N6thrust23THRUST_200600_302600_NS6detail15normal_iteratorINS9_10device_ptrIxEEEENS9_16discard_iteratorINS9_11use_defaultEEExNS9_4plusIvEExEEDaPvRmT3_T4_T5_mT6_P12ihipStream_tbENKUlT_T0_E_clISt17integral_constantIbLb0EESW_IbLb1EEEEDaSS_ST_EUlSS_E0_NS1_11comp_targetILNS1_3genE4ELNS1_11target_archE910ELNS1_3gpuE8ELNS1_3repE0EEENS1_30default_config_static_selectorELNS0_4arch9wavefront6targetE1EEEvT1_, .Lfunc_end5719-_ZN7rocprim17ROCPRIM_400000_NS6detail17trampoline_kernelINS0_14default_configENS1_20scan_config_selectorIxEEZZNS1_9scan_implILNS1_25lookback_scan_determinismE0ELb1ELb1ES3_N6thrust23THRUST_200600_302600_NS6detail15normal_iteratorINS9_10device_ptrIxEEEENS9_16discard_iteratorINS9_11use_defaultEEExNS9_4plusIvEExEEDaPvRmT3_T4_T5_mT6_P12ihipStream_tbENKUlT_T0_E_clISt17integral_constantIbLb0EESW_IbLb1EEEEDaSS_ST_EUlSS_E0_NS1_11comp_targetILNS1_3genE4ELNS1_11target_archE910ELNS1_3gpuE8ELNS1_3repE0EEENS1_30default_config_static_selectorELNS0_4arch9wavefront6targetE1EEEvT1_
                                        ; -- End function
	.section	.AMDGPU.csdata,"",@progbits
; Kernel info:
; codeLenInByte = 1116
; NumSgprs: 14
; NumVgprs: 29
; NumAgprs: 0
; TotalNumVgprs: 29
; ScratchSize: 0
; MemoryBound: 0
; FloatMode: 240
; IeeeMode: 1
; LDSByteSize: 7168 bytes/workgroup (compile time only)
; SGPRBlocks: 1
; VGPRBlocks: 3
; NumSGPRsForWavesPerEU: 14
; NumVGPRsForWavesPerEU: 29
; AccumOffset: 32
; Occupancy: 5
; WaveLimiterHint : 0
; COMPUTE_PGM_RSRC2:SCRATCH_EN: 0
; COMPUTE_PGM_RSRC2:USER_SGPR: 6
; COMPUTE_PGM_RSRC2:TRAP_HANDLER: 0
; COMPUTE_PGM_RSRC2:TGID_X_EN: 1
; COMPUTE_PGM_RSRC2:TGID_Y_EN: 0
; COMPUTE_PGM_RSRC2:TGID_Z_EN: 0
; COMPUTE_PGM_RSRC2:TIDIG_COMP_CNT: 0
; COMPUTE_PGM_RSRC3_GFX90A:ACCUM_OFFSET: 7
; COMPUTE_PGM_RSRC3_GFX90A:TG_SPLIT: 0
	.section	.text._ZN7rocprim17ROCPRIM_400000_NS6detail17trampoline_kernelINS0_14default_configENS1_20scan_config_selectorIxEEZZNS1_9scan_implILNS1_25lookback_scan_determinismE0ELb1ELb1ES3_N6thrust23THRUST_200600_302600_NS6detail15normal_iteratorINS9_10device_ptrIxEEEENS9_16discard_iteratorINS9_11use_defaultEEExNS9_4plusIvEExEEDaPvRmT3_T4_T5_mT6_P12ihipStream_tbENKUlT_T0_E_clISt17integral_constantIbLb0EESW_IbLb1EEEEDaSS_ST_EUlSS_E0_NS1_11comp_targetILNS1_3genE3ELNS1_11target_archE908ELNS1_3gpuE7ELNS1_3repE0EEENS1_30default_config_static_selectorELNS0_4arch9wavefront6targetE1EEEvT1_,"axG",@progbits,_ZN7rocprim17ROCPRIM_400000_NS6detail17trampoline_kernelINS0_14default_configENS1_20scan_config_selectorIxEEZZNS1_9scan_implILNS1_25lookback_scan_determinismE0ELb1ELb1ES3_N6thrust23THRUST_200600_302600_NS6detail15normal_iteratorINS9_10device_ptrIxEEEENS9_16discard_iteratorINS9_11use_defaultEEExNS9_4plusIvEExEEDaPvRmT3_T4_T5_mT6_P12ihipStream_tbENKUlT_T0_E_clISt17integral_constantIbLb0EESW_IbLb1EEEEDaSS_ST_EUlSS_E0_NS1_11comp_targetILNS1_3genE3ELNS1_11target_archE908ELNS1_3gpuE7ELNS1_3repE0EEENS1_30default_config_static_selectorELNS0_4arch9wavefront6targetE1EEEvT1_,comdat
	.protected	_ZN7rocprim17ROCPRIM_400000_NS6detail17trampoline_kernelINS0_14default_configENS1_20scan_config_selectorIxEEZZNS1_9scan_implILNS1_25lookback_scan_determinismE0ELb1ELb1ES3_N6thrust23THRUST_200600_302600_NS6detail15normal_iteratorINS9_10device_ptrIxEEEENS9_16discard_iteratorINS9_11use_defaultEEExNS9_4plusIvEExEEDaPvRmT3_T4_T5_mT6_P12ihipStream_tbENKUlT_T0_E_clISt17integral_constantIbLb0EESW_IbLb1EEEEDaSS_ST_EUlSS_E0_NS1_11comp_targetILNS1_3genE3ELNS1_11target_archE908ELNS1_3gpuE7ELNS1_3repE0EEENS1_30default_config_static_selectorELNS0_4arch9wavefront6targetE1EEEvT1_ ; -- Begin function _ZN7rocprim17ROCPRIM_400000_NS6detail17trampoline_kernelINS0_14default_configENS1_20scan_config_selectorIxEEZZNS1_9scan_implILNS1_25lookback_scan_determinismE0ELb1ELb1ES3_N6thrust23THRUST_200600_302600_NS6detail15normal_iteratorINS9_10device_ptrIxEEEENS9_16discard_iteratorINS9_11use_defaultEEExNS9_4plusIvEExEEDaPvRmT3_T4_T5_mT6_P12ihipStream_tbENKUlT_T0_E_clISt17integral_constantIbLb0EESW_IbLb1EEEEDaSS_ST_EUlSS_E0_NS1_11comp_targetILNS1_3genE3ELNS1_11target_archE908ELNS1_3gpuE7ELNS1_3repE0EEENS1_30default_config_static_selectorELNS0_4arch9wavefront6targetE1EEEvT1_
	.globl	_ZN7rocprim17ROCPRIM_400000_NS6detail17trampoline_kernelINS0_14default_configENS1_20scan_config_selectorIxEEZZNS1_9scan_implILNS1_25lookback_scan_determinismE0ELb1ELb1ES3_N6thrust23THRUST_200600_302600_NS6detail15normal_iteratorINS9_10device_ptrIxEEEENS9_16discard_iteratorINS9_11use_defaultEEExNS9_4plusIvEExEEDaPvRmT3_T4_T5_mT6_P12ihipStream_tbENKUlT_T0_E_clISt17integral_constantIbLb0EESW_IbLb1EEEEDaSS_ST_EUlSS_E0_NS1_11comp_targetILNS1_3genE3ELNS1_11target_archE908ELNS1_3gpuE7ELNS1_3repE0EEENS1_30default_config_static_selectorELNS0_4arch9wavefront6targetE1EEEvT1_
	.p2align	8
	.type	_ZN7rocprim17ROCPRIM_400000_NS6detail17trampoline_kernelINS0_14default_configENS1_20scan_config_selectorIxEEZZNS1_9scan_implILNS1_25lookback_scan_determinismE0ELb1ELb1ES3_N6thrust23THRUST_200600_302600_NS6detail15normal_iteratorINS9_10device_ptrIxEEEENS9_16discard_iteratorINS9_11use_defaultEEExNS9_4plusIvEExEEDaPvRmT3_T4_T5_mT6_P12ihipStream_tbENKUlT_T0_E_clISt17integral_constantIbLb0EESW_IbLb1EEEEDaSS_ST_EUlSS_E0_NS1_11comp_targetILNS1_3genE3ELNS1_11target_archE908ELNS1_3gpuE7ELNS1_3repE0EEENS1_30default_config_static_selectorELNS0_4arch9wavefront6targetE1EEEvT1_,@function
_ZN7rocprim17ROCPRIM_400000_NS6detail17trampoline_kernelINS0_14default_configENS1_20scan_config_selectorIxEEZZNS1_9scan_implILNS1_25lookback_scan_determinismE0ELb1ELb1ES3_N6thrust23THRUST_200600_302600_NS6detail15normal_iteratorINS9_10device_ptrIxEEEENS9_16discard_iteratorINS9_11use_defaultEEExNS9_4plusIvEExEEDaPvRmT3_T4_T5_mT6_P12ihipStream_tbENKUlT_T0_E_clISt17integral_constantIbLb0EESW_IbLb1EEEEDaSS_ST_EUlSS_E0_NS1_11comp_targetILNS1_3genE3ELNS1_11target_archE908ELNS1_3gpuE7ELNS1_3repE0EEENS1_30default_config_static_selectorELNS0_4arch9wavefront6targetE1EEEvT1_: ; @_ZN7rocprim17ROCPRIM_400000_NS6detail17trampoline_kernelINS0_14default_configENS1_20scan_config_selectorIxEEZZNS1_9scan_implILNS1_25lookback_scan_determinismE0ELb1ELb1ES3_N6thrust23THRUST_200600_302600_NS6detail15normal_iteratorINS9_10device_ptrIxEEEENS9_16discard_iteratorINS9_11use_defaultEEExNS9_4plusIvEExEEDaPvRmT3_T4_T5_mT6_P12ihipStream_tbENKUlT_T0_E_clISt17integral_constantIbLb0EESW_IbLb1EEEEDaSS_ST_EUlSS_E0_NS1_11comp_targetILNS1_3genE3ELNS1_11target_archE908ELNS1_3gpuE7ELNS1_3repE0EEENS1_30default_config_static_selectorELNS0_4arch9wavefront6targetE1EEEvT1_
; %bb.0:
	.section	.rodata,"a",@progbits
	.p2align	6, 0x0
	.amdhsa_kernel _ZN7rocprim17ROCPRIM_400000_NS6detail17trampoline_kernelINS0_14default_configENS1_20scan_config_selectorIxEEZZNS1_9scan_implILNS1_25lookback_scan_determinismE0ELb1ELb1ES3_N6thrust23THRUST_200600_302600_NS6detail15normal_iteratorINS9_10device_ptrIxEEEENS9_16discard_iteratorINS9_11use_defaultEEExNS9_4plusIvEExEEDaPvRmT3_T4_T5_mT6_P12ihipStream_tbENKUlT_T0_E_clISt17integral_constantIbLb0EESW_IbLb1EEEEDaSS_ST_EUlSS_E0_NS1_11comp_targetILNS1_3genE3ELNS1_11target_archE908ELNS1_3gpuE7ELNS1_3repE0EEENS1_30default_config_static_selectorELNS0_4arch9wavefront6targetE1EEEvT1_
		.amdhsa_group_segment_fixed_size 0
		.amdhsa_private_segment_fixed_size 0
		.amdhsa_kernarg_size 48
		.amdhsa_user_sgpr_count 6
		.amdhsa_user_sgpr_private_segment_buffer 1
		.amdhsa_user_sgpr_dispatch_ptr 0
		.amdhsa_user_sgpr_queue_ptr 0
		.amdhsa_user_sgpr_kernarg_segment_ptr 1
		.amdhsa_user_sgpr_dispatch_id 0
		.amdhsa_user_sgpr_flat_scratch_init 0
		.amdhsa_user_sgpr_kernarg_preload_length 0
		.amdhsa_user_sgpr_kernarg_preload_offset 0
		.amdhsa_user_sgpr_private_segment_size 0
		.amdhsa_uses_dynamic_stack 0
		.amdhsa_system_sgpr_private_segment_wavefront_offset 0
		.amdhsa_system_sgpr_workgroup_id_x 1
		.amdhsa_system_sgpr_workgroup_id_y 0
		.amdhsa_system_sgpr_workgroup_id_z 0
		.amdhsa_system_sgpr_workgroup_info 0
		.amdhsa_system_vgpr_workitem_id 0
		.amdhsa_next_free_vgpr 1
		.amdhsa_next_free_sgpr 0
		.amdhsa_accum_offset 4
		.amdhsa_reserve_vcc 0
		.amdhsa_reserve_flat_scratch 0
		.amdhsa_float_round_mode_32 0
		.amdhsa_float_round_mode_16_64 0
		.amdhsa_float_denorm_mode_32 3
		.amdhsa_float_denorm_mode_16_64 3
		.amdhsa_dx10_clamp 1
		.amdhsa_ieee_mode 1
		.amdhsa_fp16_overflow 0
		.amdhsa_tg_split 0
		.amdhsa_exception_fp_ieee_invalid_op 0
		.amdhsa_exception_fp_denorm_src 0
		.amdhsa_exception_fp_ieee_div_zero 0
		.amdhsa_exception_fp_ieee_overflow 0
		.amdhsa_exception_fp_ieee_underflow 0
		.amdhsa_exception_fp_ieee_inexact 0
		.amdhsa_exception_int_div_zero 0
	.end_amdhsa_kernel
	.section	.text._ZN7rocprim17ROCPRIM_400000_NS6detail17trampoline_kernelINS0_14default_configENS1_20scan_config_selectorIxEEZZNS1_9scan_implILNS1_25lookback_scan_determinismE0ELb1ELb1ES3_N6thrust23THRUST_200600_302600_NS6detail15normal_iteratorINS9_10device_ptrIxEEEENS9_16discard_iteratorINS9_11use_defaultEEExNS9_4plusIvEExEEDaPvRmT3_T4_T5_mT6_P12ihipStream_tbENKUlT_T0_E_clISt17integral_constantIbLb0EESW_IbLb1EEEEDaSS_ST_EUlSS_E0_NS1_11comp_targetILNS1_3genE3ELNS1_11target_archE908ELNS1_3gpuE7ELNS1_3repE0EEENS1_30default_config_static_selectorELNS0_4arch9wavefront6targetE1EEEvT1_,"axG",@progbits,_ZN7rocprim17ROCPRIM_400000_NS6detail17trampoline_kernelINS0_14default_configENS1_20scan_config_selectorIxEEZZNS1_9scan_implILNS1_25lookback_scan_determinismE0ELb1ELb1ES3_N6thrust23THRUST_200600_302600_NS6detail15normal_iteratorINS9_10device_ptrIxEEEENS9_16discard_iteratorINS9_11use_defaultEEExNS9_4plusIvEExEEDaPvRmT3_T4_T5_mT6_P12ihipStream_tbENKUlT_T0_E_clISt17integral_constantIbLb0EESW_IbLb1EEEEDaSS_ST_EUlSS_E0_NS1_11comp_targetILNS1_3genE3ELNS1_11target_archE908ELNS1_3gpuE7ELNS1_3repE0EEENS1_30default_config_static_selectorELNS0_4arch9wavefront6targetE1EEEvT1_,comdat
.Lfunc_end5720:
	.size	_ZN7rocprim17ROCPRIM_400000_NS6detail17trampoline_kernelINS0_14default_configENS1_20scan_config_selectorIxEEZZNS1_9scan_implILNS1_25lookback_scan_determinismE0ELb1ELb1ES3_N6thrust23THRUST_200600_302600_NS6detail15normal_iteratorINS9_10device_ptrIxEEEENS9_16discard_iteratorINS9_11use_defaultEEExNS9_4plusIvEExEEDaPvRmT3_T4_T5_mT6_P12ihipStream_tbENKUlT_T0_E_clISt17integral_constantIbLb0EESW_IbLb1EEEEDaSS_ST_EUlSS_E0_NS1_11comp_targetILNS1_3genE3ELNS1_11target_archE908ELNS1_3gpuE7ELNS1_3repE0EEENS1_30default_config_static_selectorELNS0_4arch9wavefront6targetE1EEEvT1_, .Lfunc_end5720-_ZN7rocprim17ROCPRIM_400000_NS6detail17trampoline_kernelINS0_14default_configENS1_20scan_config_selectorIxEEZZNS1_9scan_implILNS1_25lookback_scan_determinismE0ELb1ELb1ES3_N6thrust23THRUST_200600_302600_NS6detail15normal_iteratorINS9_10device_ptrIxEEEENS9_16discard_iteratorINS9_11use_defaultEEExNS9_4plusIvEExEEDaPvRmT3_T4_T5_mT6_P12ihipStream_tbENKUlT_T0_E_clISt17integral_constantIbLb0EESW_IbLb1EEEEDaSS_ST_EUlSS_E0_NS1_11comp_targetILNS1_3genE3ELNS1_11target_archE908ELNS1_3gpuE7ELNS1_3repE0EEENS1_30default_config_static_selectorELNS0_4arch9wavefront6targetE1EEEvT1_
                                        ; -- End function
	.section	.AMDGPU.csdata,"",@progbits
; Kernel info:
; codeLenInByte = 0
; NumSgprs: 4
; NumVgprs: 0
; NumAgprs: 0
; TotalNumVgprs: 0
; ScratchSize: 0
; MemoryBound: 0
; FloatMode: 240
; IeeeMode: 1
; LDSByteSize: 0 bytes/workgroup (compile time only)
; SGPRBlocks: 0
; VGPRBlocks: 0
; NumSGPRsForWavesPerEU: 4
; NumVGPRsForWavesPerEU: 1
; AccumOffset: 4
; Occupancy: 8
; WaveLimiterHint : 0
; COMPUTE_PGM_RSRC2:SCRATCH_EN: 0
; COMPUTE_PGM_RSRC2:USER_SGPR: 6
; COMPUTE_PGM_RSRC2:TRAP_HANDLER: 0
; COMPUTE_PGM_RSRC2:TGID_X_EN: 1
; COMPUTE_PGM_RSRC2:TGID_Y_EN: 0
; COMPUTE_PGM_RSRC2:TGID_Z_EN: 0
; COMPUTE_PGM_RSRC2:TIDIG_COMP_CNT: 0
; COMPUTE_PGM_RSRC3_GFX90A:ACCUM_OFFSET: 0
; COMPUTE_PGM_RSRC3_GFX90A:TG_SPLIT: 0
	.section	.text._ZN7rocprim17ROCPRIM_400000_NS6detail17trampoline_kernelINS0_14default_configENS1_20scan_config_selectorIxEEZZNS1_9scan_implILNS1_25lookback_scan_determinismE0ELb1ELb1ES3_N6thrust23THRUST_200600_302600_NS6detail15normal_iteratorINS9_10device_ptrIxEEEENS9_16discard_iteratorINS9_11use_defaultEEExNS9_4plusIvEExEEDaPvRmT3_T4_T5_mT6_P12ihipStream_tbENKUlT_T0_E_clISt17integral_constantIbLb0EESW_IbLb1EEEEDaSS_ST_EUlSS_E0_NS1_11comp_targetILNS1_3genE2ELNS1_11target_archE906ELNS1_3gpuE6ELNS1_3repE0EEENS1_30default_config_static_selectorELNS0_4arch9wavefront6targetE1EEEvT1_,"axG",@progbits,_ZN7rocprim17ROCPRIM_400000_NS6detail17trampoline_kernelINS0_14default_configENS1_20scan_config_selectorIxEEZZNS1_9scan_implILNS1_25lookback_scan_determinismE0ELb1ELb1ES3_N6thrust23THRUST_200600_302600_NS6detail15normal_iteratorINS9_10device_ptrIxEEEENS9_16discard_iteratorINS9_11use_defaultEEExNS9_4plusIvEExEEDaPvRmT3_T4_T5_mT6_P12ihipStream_tbENKUlT_T0_E_clISt17integral_constantIbLb0EESW_IbLb1EEEEDaSS_ST_EUlSS_E0_NS1_11comp_targetILNS1_3genE2ELNS1_11target_archE906ELNS1_3gpuE6ELNS1_3repE0EEENS1_30default_config_static_selectorELNS0_4arch9wavefront6targetE1EEEvT1_,comdat
	.protected	_ZN7rocprim17ROCPRIM_400000_NS6detail17trampoline_kernelINS0_14default_configENS1_20scan_config_selectorIxEEZZNS1_9scan_implILNS1_25lookback_scan_determinismE0ELb1ELb1ES3_N6thrust23THRUST_200600_302600_NS6detail15normal_iteratorINS9_10device_ptrIxEEEENS9_16discard_iteratorINS9_11use_defaultEEExNS9_4plusIvEExEEDaPvRmT3_T4_T5_mT6_P12ihipStream_tbENKUlT_T0_E_clISt17integral_constantIbLb0EESW_IbLb1EEEEDaSS_ST_EUlSS_E0_NS1_11comp_targetILNS1_3genE2ELNS1_11target_archE906ELNS1_3gpuE6ELNS1_3repE0EEENS1_30default_config_static_selectorELNS0_4arch9wavefront6targetE1EEEvT1_ ; -- Begin function _ZN7rocprim17ROCPRIM_400000_NS6detail17trampoline_kernelINS0_14default_configENS1_20scan_config_selectorIxEEZZNS1_9scan_implILNS1_25lookback_scan_determinismE0ELb1ELb1ES3_N6thrust23THRUST_200600_302600_NS6detail15normal_iteratorINS9_10device_ptrIxEEEENS9_16discard_iteratorINS9_11use_defaultEEExNS9_4plusIvEExEEDaPvRmT3_T4_T5_mT6_P12ihipStream_tbENKUlT_T0_E_clISt17integral_constantIbLb0EESW_IbLb1EEEEDaSS_ST_EUlSS_E0_NS1_11comp_targetILNS1_3genE2ELNS1_11target_archE906ELNS1_3gpuE6ELNS1_3repE0EEENS1_30default_config_static_selectorELNS0_4arch9wavefront6targetE1EEEvT1_
	.globl	_ZN7rocprim17ROCPRIM_400000_NS6detail17trampoline_kernelINS0_14default_configENS1_20scan_config_selectorIxEEZZNS1_9scan_implILNS1_25lookback_scan_determinismE0ELb1ELb1ES3_N6thrust23THRUST_200600_302600_NS6detail15normal_iteratorINS9_10device_ptrIxEEEENS9_16discard_iteratorINS9_11use_defaultEEExNS9_4plusIvEExEEDaPvRmT3_T4_T5_mT6_P12ihipStream_tbENKUlT_T0_E_clISt17integral_constantIbLb0EESW_IbLb1EEEEDaSS_ST_EUlSS_E0_NS1_11comp_targetILNS1_3genE2ELNS1_11target_archE906ELNS1_3gpuE6ELNS1_3repE0EEENS1_30default_config_static_selectorELNS0_4arch9wavefront6targetE1EEEvT1_
	.p2align	8
	.type	_ZN7rocprim17ROCPRIM_400000_NS6detail17trampoline_kernelINS0_14default_configENS1_20scan_config_selectorIxEEZZNS1_9scan_implILNS1_25lookback_scan_determinismE0ELb1ELb1ES3_N6thrust23THRUST_200600_302600_NS6detail15normal_iteratorINS9_10device_ptrIxEEEENS9_16discard_iteratorINS9_11use_defaultEEExNS9_4plusIvEExEEDaPvRmT3_T4_T5_mT6_P12ihipStream_tbENKUlT_T0_E_clISt17integral_constantIbLb0EESW_IbLb1EEEEDaSS_ST_EUlSS_E0_NS1_11comp_targetILNS1_3genE2ELNS1_11target_archE906ELNS1_3gpuE6ELNS1_3repE0EEENS1_30default_config_static_selectorELNS0_4arch9wavefront6targetE1EEEvT1_,@function
_ZN7rocprim17ROCPRIM_400000_NS6detail17trampoline_kernelINS0_14default_configENS1_20scan_config_selectorIxEEZZNS1_9scan_implILNS1_25lookback_scan_determinismE0ELb1ELb1ES3_N6thrust23THRUST_200600_302600_NS6detail15normal_iteratorINS9_10device_ptrIxEEEENS9_16discard_iteratorINS9_11use_defaultEEExNS9_4plusIvEExEEDaPvRmT3_T4_T5_mT6_P12ihipStream_tbENKUlT_T0_E_clISt17integral_constantIbLb0EESW_IbLb1EEEEDaSS_ST_EUlSS_E0_NS1_11comp_targetILNS1_3genE2ELNS1_11target_archE906ELNS1_3gpuE6ELNS1_3repE0EEENS1_30default_config_static_selectorELNS0_4arch9wavefront6targetE1EEEvT1_: ; @_ZN7rocprim17ROCPRIM_400000_NS6detail17trampoline_kernelINS0_14default_configENS1_20scan_config_selectorIxEEZZNS1_9scan_implILNS1_25lookback_scan_determinismE0ELb1ELb1ES3_N6thrust23THRUST_200600_302600_NS6detail15normal_iteratorINS9_10device_ptrIxEEEENS9_16discard_iteratorINS9_11use_defaultEEExNS9_4plusIvEExEEDaPvRmT3_T4_T5_mT6_P12ihipStream_tbENKUlT_T0_E_clISt17integral_constantIbLb0EESW_IbLb1EEEEDaSS_ST_EUlSS_E0_NS1_11comp_targetILNS1_3genE2ELNS1_11target_archE906ELNS1_3gpuE6ELNS1_3repE0EEENS1_30default_config_static_selectorELNS0_4arch9wavefront6targetE1EEEvT1_
; %bb.0:
	.section	.rodata,"a",@progbits
	.p2align	6, 0x0
	.amdhsa_kernel _ZN7rocprim17ROCPRIM_400000_NS6detail17trampoline_kernelINS0_14default_configENS1_20scan_config_selectorIxEEZZNS1_9scan_implILNS1_25lookback_scan_determinismE0ELb1ELb1ES3_N6thrust23THRUST_200600_302600_NS6detail15normal_iteratorINS9_10device_ptrIxEEEENS9_16discard_iteratorINS9_11use_defaultEEExNS9_4plusIvEExEEDaPvRmT3_T4_T5_mT6_P12ihipStream_tbENKUlT_T0_E_clISt17integral_constantIbLb0EESW_IbLb1EEEEDaSS_ST_EUlSS_E0_NS1_11comp_targetILNS1_3genE2ELNS1_11target_archE906ELNS1_3gpuE6ELNS1_3repE0EEENS1_30default_config_static_selectorELNS0_4arch9wavefront6targetE1EEEvT1_
		.amdhsa_group_segment_fixed_size 0
		.amdhsa_private_segment_fixed_size 0
		.amdhsa_kernarg_size 48
		.amdhsa_user_sgpr_count 6
		.amdhsa_user_sgpr_private_segment_buffer 1
		.amdhsa_user_sgpr_dispatch_ptr 0
		.amdhsa_user_sgpr_queue_ptr 0
		.amdhsa_user_sgpr_kernarg_segment_ptr 1
		.amdhsa_user_sgpr_dispatch_id 0
		.amdhsa_user_sgpr_flat_scratch_init 0
		.amdhsa_user_sgpr_kernarg_preload_length 0
		.amdhsa_user_sgpr_kernarg_preload_offset 0
		.amdhsa_user_sgpr_private_segment_size 0
		.amdhsa_uses_dynamic_stack 0
		.amdhsa_system_sgpr_private_segment_wavefront_offset 0
		.amdhsa_system_sgpr_workgroup_id_x 1
		.amdhsa_system_sgpr_workgroup_id_y 0
		.amdhsa_system_sgpr_workgroup_id_z 0
		.amdhsa_system_sgpr_workgroup_info 0
		.amdhsa_system_vgpr_workitem_id 0
		.amdhsa_next_free_vgpr 1
		.amdhsa_next_free_sgpr 0
		.amdhsa_accum_offset 4
		.amdhsa_reserve_vcc 0
		.amdhsa_reserve_flat_scratch 0
		.amdhsa_float_round_mode_32 0
		.amdhsa_float_round_mode_16_64 0
		.amdhsa_float_denorm_mode_32 3
		.amdhsa_float_denorm_mode_16_64 3
		.amdhsa_dx10_clamp 1
		.amdhsa_ieee_mode 1
		.amdhsa_fp16_overflow 0
		.amdhsa_tg_split 0
		.amdhsa_exception_fp_ieee_invalid_op 0
		.amdhsa_exception_fp_denorm_src 0
		.amdhsa_exception_fp_ieee_div_zero 0
		.amdhsa_exception_fp_ieee_overflow 0
		.amdhsa_exception_fp_ieee_underflow 0
		.amdhsa_exception_fp_ieee_inexact 0
		.amdhsa_exception_int_div_zero 0
	.end_amdhsa_kernel
	.section	.text._ZN7rocprim17ROCPRIM_400000_NS6detail17trampoline_kernelINS0_14default_configENS1_20scan_config_selectorIxEEZZNS1_9scan_implILNS1_25lookback_scan_determinismE0ELb1ELb1ES3_N6thrust23THRUST_200600_302600_NS6detail15normal_iteratorINS9_10device_ptrIxEEEENS9_16discard_iteratorINS9_11use_defaultEEExNS9_4plusIvEExEEDaPvRmT3_T4_T5_mT6_P12ihipStream_tbENKUlT_T0_E_clISt17integral_constantIbLb0EESW_IbLb1EEEEDaSS_ST_EUlSS_E0_NS1_11comp_targetILNS1_3genE2ELNS1_11target_archE906ELNS1_3gpuE6ELNS1_3repE0EEENS1_30default_config_static_selectorELNS0_4arch9wavefront6targetE1EEEvT1_,"axG",@progbits,_ZN7rocprim17ROCPRIM_400000_NS6detail17trampoline_kernelINS0_14default_configENS1_20scan_config_selectorIxEEZZNS1_9scan_implILNS1_25lookback_scan_determinismE0ELb1ELb1ES3_N6thrust23THRUST_200600_302600_NS6detail15normal_iteratorINS9_10device_ptrIxEEEENS9_16discard_iteratorINS9_11use_defaultEEExNS9_4plusIvEExEEDaPvRmT3_T4_T5_mT6_P12ihipStream_tbENKUlT_T0_E_clISt17integral_constantIbLb0EESW_IbLb1EEEEDaSS_ST_EUlSS_E0_NS1_11comp_targetILNS1_3genE2ELNS1_11target_archE906ELNS1_3gpuE6ELNS1_3repE0EEENS1_30default_config_static_selectorELNS0_4arch9wavefront6targetE1EEEvT1_,comdat
.Lfunc_end5721:
	.size	_ZN7rocprim17ROCPRIM_400000_NS6detail17trampoline_kernelINS0_14default_configENS1_20scan_config_selectorIxEEZZNS1_9scan_implILNS1_25lookback_scan_determinismE0ELb1ELb1ES3_N6thrust23THRUST_200600_302600_NS6detail15normal_iteratorINS9_10device_ptrIxEEEENS9_16discard_iteratorINS9_11use_defaultEEExNS9_4plusIvEExEEDaPvRmT3_T4_T5_mT6_P12ihipStream_tbENKUlT_T0_E_clISt17integral_constantIbLb0EESW_IbLb1EEEEDaSS_ST_EUlSS_E0_NS1_11comp_targetILNS1_3genE2ELNS1_11target_archE906ELNS1_3gpuE6ELNS1_3repE0EEENS1_30default_config_static_selectorELNS0_4arch9wavefront6targetE1EEEvT1_, .Lfunc_end5721-_ZN7rocprim17ROCPRIM_400000_NS6detail17trampoline_kernelINS0_14default_configENS1_20scan_config_selectorIxEEZZNS1_9scan_implILNS1_25lookback_scan_determinismE0ELb1ELb1ES3_N6thrust23THRUST_200600_302600_NS6detail15normal_iteratorINS9_10device_ptrIxEEEENS9_16discard_iteratorINS9_11use_defaultEEExNS9_4plusIvEExEEDaPvRmT3_T4_T5_mT6_P12ihipStream_tbENKUlT_T0_E_clISt17integral_constantIbLb0EESW_IbLb1EEEEDaSS_ST_EUlSS_E0_NS1_11comp_targetILNS1_3genE2ELNS1_11target_archE906ELNS1_3gpuE6ELNS1_3repE0EEENS1_30default_config_static_selectorELNS0_4arch9wavefront6targetE1EEEvT1_
                                        ; -- End function
	.section	.AMDGPU.csdata,"",@progbits
; Kernel info:
; codeLenInByte = 0
; NumSgprs: 4
; NumVgprs: 0
; NumAgprs: 0
; TotalNumVgprs: 0
; ScratchSize: 0
; MemoryBound: 0
; FloatMode: 240
; IeeeMode: 1
; LDSByteSize: 0 bytes/workgroup (compile time only)
; SGPRBlocks: 0
; VGPRBlocks: 0
; NumSGPRsForWavesPerEU: 4
; NumVGPRsForWavesPerEU: 1
; AccumOffset: 4
; Occupancy: 8
; WaveLimiterHint : 0
; COMPUTE_PGM_RSRC2:SCRATCH_EN: 0
; COMPUTE_PGM_RSRC2:USER_SGPR: 6
; COMPUTE_PGM_RSRC2:TRAP_HANDLER: 0
; COMPUTE_PGM_RSRC2:TGID_X_EN: 1
; COMPUTE_PGM_RSRC2:TGID_Y_EN: 0
; COMPUTE_PGM_RSRC2:TGID_Z_EN: 0
; COMPUTE_PGM_RSRC2:TIDIG_COMP_CNT: 0
; COMPUTE_PGM_RSRC3_GFX90A:ACCUM_OFFSET: 0
; COMPUTE_PGM_RSRC3_GFX90A:TG_SPLIT: 0
	.section	.text._ZN7rocprim17ROCPRIM_400000_NS6detail17trampoline_kernelINS0_14default_configENS1_20scan_config_selectorIxEEZZNS1_9scan_implILNS1_25lookback_scan_determinismE0ELb1ELb1ES3_N6thrust23THRUST_200600_302600_NS6detail15normal_iteratorINS9_10device_ptrIxEEEENS9_16discard_iteratorINS9_11use_defaultEEExNS9_4plusIvEExEEDaPvRmT3_T4_T5_mT6_P12ihipStream_tbENKUlT_T0_E_clISt17integral_constantIbLb0EESW_IbLb1EEEEDaSS_ST_EUlSS_E0_NS1_11comp_targetILNS1_3genE10ELNS1_11target_archE1201ELNS1_3gpuE5ELNS1_3repE0EEENS1_30default_config_static_selectorELNS0_4arch9wavefront6targetE1EEEvT1_,"axG",@progbits,_ZN7rocprim17ROCPRIM_400000_NS6detail17trampoline_kernelINS0_14default_configENS1_20scan_config_selectorIxEEZZNS1_9scan_implILNS1_25lookback_scan_determinismE0ELb1ELb1ES3_N6thrust23THRUST_200600_302600_NS6detail15normal_iteratorINS9_10device_ptrIxEEEENS9_16discard_iteratorINS9_11use_defaultEEExNS9_4plusIvEExEEDaPvRmT3_T4_T5_mT6_P12ihipStream_tbENKUlT_T0_E_clISt17integral_constantIbLb0EESW_IbLb1EEEEDaSS_ST_EUlSS_E0_NS1_11comp_targetILNS1_3genE10ELNS1_11target_archE1201ELNS1_3gpuE5ELNS1_3repE0EEENS1_30default_config_static_selectorELNS0_4arch9wavefront6targetE1EEEvT1_,comdat
	.protected	_ZN7rocprim17ROCPRIM_400000_NS6detail17trampoline_kernelINS0_14default_configENS1_20scan_config_selectorIxEEZZNS1_9scan_implILNS1_25lookback_scan_determinismE0ELb1ELb1ES3_N6thrust23THRUST_200600_302600_NS6detail15normal_iteratorINS9_10device_ptrIxEEEENS9_16discard_iteratorINS9_11use_defaultEEExNS9_4plusIvEExEEDaPvRmT3_T4_T5_mT6_P12ihipStream_tbENKUlT_T0_E_clISt17integral_constantIbLb0EESW_IbLb1EEEEDaSS_ST_EUlSS_E0_NS1_11comp_targetILNS1_3genE10ELNS1_11target_archE1201ELNS1_3gpuE5ELNS1_3repE0EEENS1_30default_config_static_selectorELNS0_4arch9wavefront6targetE1EEEvT1_ ; -- Begin function _ZN7rocprim17ROCPRIM_400000_NS6detail17trampoline_kernelINS0_14default_configENS1_20scan_config_selectorIxEEZZNS1_9scan_implILNS1_25lookback_scan_determinismE0ELb1ELb1ES3_N6thrust23THRUST_200600_302600_NS6detail15normal_iteratorINS9_10device_ptrIxEEEENS9_16discard_iteratorINS9_11use_defaultEEExNS9_4plusIvEExEEDaPvRmT3_T4_T5_mT6_P12ihipStream_tbENKUlT_T0_E_clISt17integral_constantIbLb0EESW_IbLb1EEEEDaSS_ST_EUlSS_E0_NS1_11comp_targetILNS1_3genE10ELNS1_11target_archE1201ELNS1_3gpuE5ELNS1_3repE0EEENS1_30default_config_static_selectorELNS0_4arch9wavefront6targetE1EEEvT1_
	.globl	_ZN7rocprim17ROCPRIM_400000_NS6detail17trampoline_kernelINS0_14default_configENS1_20scan_config_selectorIxEEZZNS1_9scan_implILNS1_25lookback_scan_determinismE0ELb1ELb1ES3_N6thrust23THRUST_200600_302600_NS6detail15normal_iteratorINS9_10device_ptrIxEEEENS9_16discard_iteratorINS9_11use_defaultEEExNS9_4plusIvEExEEDaPvRmT3_T4_T5_mT6_P12ihipStream_tbENKUlT_T0_E_clISt17integral_constantIbLb0EESW_IbLb1EEEEDaSS_ST_EUlSS_E0_NS1_11comp_targetILNS1_3genE10ELNS1_11target_archE1201ELNS1_3gpuE5ELNS1_3repE0EEENS1_30default_config_static_selectorELNS0_4arch9wavefront6targetE1EEEvT1_
	.p2align	8
	.type	_ZN7rocprim17ROCPRIM_400000_NS6detail17trampoline_kernelINS0_14default_configENS1_20scan_config_selectorIxEEZZNS1_9scan_implILNS1_25lookback_scan_determinismE0ELb1ELb1ES3_N6thrust23THRUST_200600_302600_NS6detail15normal_iteratorINS9_10device_ptrIxEEEENS9_16discard_iteratorINS9_11use_defaultEEExNS9_4plusIvEExEEDaPvRmT3_T4_T5_mT6_P12ihipStream_tbENKUlT_T0_E_clISt17integral_constantIbLb0EESW_IbLb1EEEEDaSS_ST_EUlSS_E0_NS1_11comp_targetILNS1_3genE10ELNS1_11target_archE1201ELNS1_3gpuE5ELNS1_3repE0EEENS1_30default_config_static_selectorELNS0_4arch9wavefront6targetE1EEEvT1_,@function
_ZN7rocprim17ROCPRIM_400000_NS6detail17trampoline_kernelINS0_14default_configENS1_20scan_config_selectorIxEEZZNS1_9scan_implILNS1_25lookback_scan_determinismE0ELb1ELb1ES3_N6thrust23THRUST_200600_302600_NS6detail15normal_iteratorINS9_10device_ptrIxEEEENS9_16discard_iteratorINS9_11use_defaultEEExNS9_4plusIvEExEEDaPvRmT3_T4_T5_mT6_P12ihipStream_tbENKUlT_T0_E_clISt17integral_constantIbLb0EESW_IbLb1EEEEDaSS_ST_EUlSS_E0_NS1_11comp_targetILNS1_3genE10ELNS1_11target_archE1201ELNS1_3gpuE5ELNS1_3repE0EEENS1_30default_config_static_selectorELNS0_4arch9wavefront6targetE1EEEvT1_: ; @_ZN7rocprim17ROCPRIM_400000_NS6detail17trampoline_kernelINS0_14default_configENS1_20scan_config_selectorIxEEZZNS1_9scan_implILNS1_25lookback_scan_determinismE0ELb1ELb1ES3_N6thrust23THRUST_200600_302600_NS6detail15normal_iteratorINS9_10device_ptrIxEEEENS9_16discard_iteratorINS9_11use_defaultEEExNS9_4plusIvEExEEDaPvRmT3_T4_T5_mT6_P12ihipStream_tbENKUlT_T0_E_clISt17integral_constantIbLb0EESW_IbLb1EEEEDaSS_ST_EUlSS_E0_NS1_11comp_targetILNS1_3genE10ELNS1_11target_archE1201ELNS1_3gpuE5ELNS1_3repE0EEENS1_30default_config_static_selectorELNS0_4arch9wavefront6targetE1EEEvT1_
; %bb.0:
	.section	.rodata,"a",@progbits
	.p2align	6, 0x0
	.amdhsa_kernel _ZN7rocprim17ROCPRIM_400000_NS6detail17trampoline_kernelINS0_14default_configENS1_20scan_config_selectorIxEEZZNS1_9scan_implILNS1_25lookback_scan_determinismE0ELb1ELb1ES3_N6thrust23THRUST_200600_302600_NS6detail15normal_iteratorINS9_10device_ptrIxEEEENS9_16discard_iteratorINS9_11use_defaultEEExNS9_4plusIvEExEEDaPvRmT3_T4_T5_mT6_P12ihipStream_tbENKUlT_T0_E_clISt17integral_constantIbLb0EESW_IbLb1EEEEDaSS_ST_EUlSS_E0_NS1_11comp_targetILNS1_3genE10ELNS1_11target_archE1201ELNS1_3gpuE5ELNS1_3repE0EEENS1_30default_config_static_selectorELNS0_4arch9wavefront6targetE1EEEvT1_
		.amdhsa_group_segment_fixed_size 0
		.amdhsa_private_segment_fixed_size 0
		.amdhsa_kernarg_size 48
		.amdhsa_user_sgpr_count 6
		.amdhsa_user_sgpr_private_segment_buffer 1
		.amdhsa_user_sgpr_dispatch_ptr 0
		.amdhsa_user_sgpr_queue_ptr 0
		.amdhsa_user_sgpr_kernarg_segment_ptr 1
		.amdhsa_user_sgpr_dispatch_id 0
		.amdhsa_user_sgpr_flat_scratch_init 0
		.amdhsa_user_sgpr_kernarg_preload_length 0
		.amdhsa_user_sgpr_kernarg_preload_offset 0
		.amdhsa_user_sgpr_private_segment_size 0
		.amdhsa_uses_dynamic_stack 0
		.amdhsa_system_sgpr_private_segment_wavefront_offset 0
		.amdhsa_system_sgpr_workgroup_id_x 1
		.amdhsa_system_sgpr_workgroup_id_y 0
		.amdhsa_system_sgpr_workgroup_id_z 0
		.amdhsa_system_sgpr_workgroup_info 0
		.amdhsa_system_vgpr_workitem_id 0
		.amdhsa_next_free_vgpr 1
		.amdhsa_next_free_sgpr 0
		.amdhsa_accum_offset 4
		.amdhsa_reserve_vcc 0
		.amdhsa_reserve_flat_scratch 0
		.amdhsa_float_round_mode_32 0
		.amdhsa_float_round_mode_16_64 0
		.amdhsa_float_denorm_mode_32 3
		.amdhsa_float_denorm_mode_16_64 3
		.amdhsa_dx10_clamp 1
		.amdhsa_ieee_mode 1
		.amdhsa_fp16_overflow 0
		.amdhsa_tg_split 0
		.amdhsa_exception_fp_ieee_invalid_op 0
		.amdhsa_exception_fp_denorm_src 0
		.amdhsa_exception_fp_ieee_div_zero 0
		.amdhsa_exception_fp_ieee_overflow 0
		.amdhsa_exception_fp_ieee_underflow 0
		.amdhsa_exception_fp_ieee_inexact 0
		.amdhsa_exception_int_div_zero 0
	.end_amdhsa_kernel
	.section	.text._ZN7rocprim17ROCPRIM_400000_NS6detail17trampoline_kernelINS0_14default_configENS1_20scan_config_selectorIxEEZZNS1_9scan_implILNS1_25lookback_scan_determinismE0ELb1ELb1ES3_N6thrust23THRUST_200600_302600_NS6detail15normal_iteratorINS9_10device_ptrIxEEEENS9_16discard_iteratorINS9_11use_defaultEEExNS9_4plusIvEExEEDaPvRmT3_T4_T5_mT6_P12ihipStream_tbENKUlT_T0_E_clISt17integral_constantIbLb0EESW_IbLb1EEEEDaSS_ST_EUlSS_E0_NS1_11comp_targetILNS1_3genE10ELNS1_11target_archE1201ELNS1_3gpuE5ELNS1_3repE0EEENS1_30default_config_static_selectorELNS0_4arch9wavefront6targetE1EEEvT1_,"axG",@progbits,_ZN7rocprim17ROCPRIM_400000_NS6detail17trampoline_kernelINS0_14default_configENS1_20scan_config_selectorIxEEZZNS1_9scan_implILNS1_25lookback_scan_determinismE0ELb1ELb1ES3_N6thrust23THRUST_200600_302600_NS6detail15normal_iteratorINS9_10device_ptrIxEEEENS9_16discard_iteratorINS9_11use_defaultEEExNS9_4plusIvEExEEDaPvRmT3_T4_T5_mT6_P12ihipStream_tbENKUlT_T0_E_clISt17integral_constantIbLb0EESW_IbLb1EEEEDaSS_ST_EUlSS_E0_NS1_11comp_targetILNS1_3genE10ELNS1_11target_archE1201ELNS1_3gpuE5ELNS1_3repE0EEENS1_30default_config_static_selectorELNS0_4arch9wavefront6targetE1EEEvT1_,comdat
.Lfunc_end5722:
	.size	_ZN7rocprim17ROCPRIM_400000_NS6detail17trampoline_kernelINS0_14default_configENS1_20scan_config_selectorIxEEZZNS1_9scan_implILNS1_25lookback_scan_determinismE0ELb1ELb1ES3_N6thrust23THRUST_200600_302600_NS6detail15normal_iteratorINS9_10device_ptrIxEEEENS9_16discard_iteratorINS9_11use_defaultEEExNS9_4plusIvEExEEDaPvRmT3_T4_T5_mT6_P12ihipStream_tbENKUlT_T0_E_clISt17integral_constantIbLb0EESW_IbLb1EEEEDaSS_ST_EUlSS_E0_NS1_11comp_targetILNS1_3genE10ELNS1_11target_archE1201ELNS1_3gpuE5ELNS1_3repE0EEENS1_30default_config_static_selectorELNS0_4arch9wavefront6targetE1EEEvT1_, .Lfunc_end5722-_ZN7rocprim17ROCPRIM_400000_NS6detail17trampoline_kernelINS0_14default_configENS1_20scan_config_selectorIxEEZZNS1_9scan_implILNS1_25lookback_scan_determinismE0ELb1ELb1ES3_N6thrust23THRUST_200600_302600_NS6detail15normal_iteratorINS9_10device_ptrIxEEEENS9_16discard_iteratorINS9_11use_defaultEEExNS9_4plusIvEExEEDaPvRmT3_T4_T5_mT6_P12ihipStream_tbENKUlT_T0_E_clISt17integral_constantIbLb0EESW_IbLb1EEEEDaSS_ST_EUlSS_E0_NS1_11comp_targetILNS1_3genE10ELNS1_11target_archE1201ELNS1_3gpuE5ELNS1_3repE0EEENS1_30default_config_static_selectorELNS0_4arch9wavefront6targetE1EEEvT1_
                                        ; -- End function
	.section	.AMDGPU.csdata,"",@progbits
; Kernel info:
; codeLenInByte = 0
; NumSgprs: 4
; NumVgprs: 0
; NumAgprs: 0
; TotalNumVgprs: 0
; ScratchSize: 0
; MemoryBound: 0
; FloatMode: 240
; IeeeMode: 1
; LDSByteSize: 0 bytes/workgroup (compile time only)
; SGPRBlocks: 0
; VGPRBlocks: 0
; NumSGPRsForWavesPerEU: 4
; NumVGPRsForWavesPerEU: 1
; AccumOffset: 4
; Occupancy: 8
; WaveLimiterHint : 0
; COMPUTE_PGM_RSRC2:SCRATCH_EN: 0
; COMPUTE_PGM_RSRC2:USER_SGPR: 6
; COMPUTE_PGM_RSRC2:TRAP_HANDLER: 0
; COMPUTE_PGM_RSRC2:TGID_X_EN: 1
; COMPUTE_PGM_RSRC2:TGID_Y_EN: 0
; COMPUTE_PGM_RSRC2:TGID_Z_EN: 0
; COMPUTE_PGM_RSRC2:TIDIG_COMP_CNT: 0
; COMPUTE_PGM_RSRC3_GFX90A:ACCUM_OFFSET: 0
; COMPUTE_PGM_RSRC3_GFX90A:TG_SPLIT: 0
	.section	.text._ZN7rocprim17ROCPRIM_400000_NS6detail17trampoline_kernelINS0_14default_configENS1_20scan_config_selectorIxEEZZNS1_9scan_implILNS1_25lookback_scan_determinismE0ELb1ELb1ES3_N6thrust23THRUST_200600_302600_NS6detail15normal_iteratorINS9_10device_ptrIxEEEENS9_16discard_iteratorINS9_11use_defaultEEExNS9_4plusIvEExEEDaPvRmT3_T4_T5_mT6_P12ihipStream_tbENKUlT_T0_E_clISt17integral_constantIbLb0EESW_IbLb1EEEEDaSS_ST_EUlSS_E0_NS1_11comp_targetILNS1_3genE10ELNS1_11target_archE1200ELNS1_3gpuE4ELNS1_3repE0EEENS1_30default_config_static_selectorELNS0_4arch9wavefront6targetE1EEEvT1_,"axG",@progbits,_ZN7rocprim17ROCPRIM_400000_NS6detail17trampoline_kernelINS0_14default_configENS1_20scan_config_selectorIxEEZZNS1_9scan_implILNS1_25lookback_scan_determinismE0ELb1ELb1ES3_N6thrust23THRUST_200600_302600_NS6detail15normal_iteratorINS9_10device_ptrIxEEEENS9_16discard_iteratorINS9_11use_defaultEEExNS9_4plusIvEExEEDaPvRmT3_T4_T5_mT6_P12ihipStream_tbENKUlT_T0_E_clISt17integral_constantIbLb0EESW_IbLb1EEEEDaSS_ST_EUlSS_E0_NS1_11comp_targetILNS1_3genE10ELNS1_11target_archE1200ELNS1_3gpuE4ELNS1_3repE0EEENS1_30default_config_static_selectorELNS0_4arch9wavefront6targetE1EEEvT1_,comdat
	.protected	_ZN7rocprim17ROCPRIM_400000_NS6detail17trampoline_kernelINS0_14default_configENS1_20scan_config_selectorIxEEZZNS1_9scan_implILNS1_25lookback_scan_determinismE0ELb1ELb1ES3_N6thrust23THRUST_200600_302600_NS6detail15normal_iteratorINS9_10device_ptrIxEEEENS9_16discard_iteratorINS9_11use_defaultEEExNS9_4plusIvEExEEDaPvRmT3_T4_T5_mT6_P12ihipStream_tbENKUlT_T0_E_clISt17integral_constantIbLb0EESW_IbLb1EEEEDaSS_ST_EUlSS_E0_NS1_11comp_targetILNS1_3genE10ELNS1_11target_archE1200ELNS1_3gpuE4ELNS1_3repE0EEENS1_30default_config_static_selectorELNS0_4arch9wavefront6targetE1EEEvT1_ ; -- Begin function _ZN7rocprim17ROCPRIM_400000_NS6detail17trampoline_kernelINS0_14default_configENS1_20scan_config_selectorIxEEZZNS1_9scan_implILNS1_25lookback_scan_determinismE0ELb1ELb1ES3_N6thrust23THRUST_200600_302600_NS6detail15normal_iteratorINS9_10device_ptrIxEEEENS9_16discard_iteratorINS9_11use_defaultEEExNS9_4plusIvEExEEDaPvRmT3_T4_T5_mT6_P12ihipStream_tbENKUlT_T0_E_clISt17integral_constantIbLb0EESW_IbLb1EEEEDaSS_ST_EUlSS_E0_NS1_11comp_targetILNS1_3genE10ELNS1_11target_archE1200ELNS1_3gpuE4ELNS1_3repE0EEENS1_30default_config_static_selectorELNS0_4arch9wavefront6targetE1EEEvT1_
	.globl	_ZN7rocprim17ROCPRIM_400000_NS6detail17trampoline_kernelINS0_14default_configENS1_20scan_config_selectorIxEEZZNS1_9scan_implILNS1_25lookback_scan_determinismE0ELb1ELb1ES3_N6thrust23THRUST_200600_302600_NS6detail15normal_iteratorINS9_10device_ptrIxEEEENS9_16discard_iteratorINS9_11use_defaultEEExNS9_4plusIvEExEEDaPvRmT3_T4_T5_mT6_P12ihipStream_tbENKUlT_T0_E_clISt17integral_constantIbLb0EESW_IbLb1EEEEDaSS_ST_EUlSS_E0_NS1_11comp_targetILNS1_3genE10ELNS1_11target_archE1200ELNS1_3gpuE4ELNS1_3repE0EEENS1_30default_config_static_selectorELNS0_4arch9wavefront6targetE1EEEvT1_
	.p2align	8
	.type	_ZN7rocprim17ROCPRIM_400000_NS6detail17trampoline_kernelINS0_14default_configENS1_20scan_config_selectorIxEEZZNS1_9scan_implILNS1_25lookback_scan_determinismE0ELb1ELb1ES3_N6thrust23THRUST_200600_302600_NS6detail15normal_iteratorINS9_10device_ptrIxEEEENS9_16discard_iteratorINS9_11use_defaultEEExNS9_4plusIvEExEEDaPvRmT3_T4_T5_mT6_P12ihipStream_tbENKUlT_T0_E_clISt17integral_constantIbLb0EESW_IbLb1EEEEDaSS_ST_EUlSS_E0_NS1_11comp_targetILNS1_3genE10ELNS1_11target_archE1200ELNS1_3gpuE4ELNS1_3repE0EEENS1_30default_config_static_selectorELNS0_4arch9wavefront6targetE1EEEvT1_,@function
_ZN7rocprim17ROCPRIM_400000_NS6detail17trampoline_kernelINS0_14default_configENS1_20scan_config_selectorIxEEZZNS1_9scan_implILNS1_25lookback_scan_determinismE0ELb1ELb1ES3_N6thrust23THRUST_200600_302600_NS6detail15normal_iteratorINS9_10device_ptrIxEEEENS9_16discard_iteratorINS9_11use_defaultEEExNS9_4plusIvEExEEDaPvRmT3_T4_T5_mT6_P12ihipStream_tbENKUlT_T0_E_clISt17integral_constantIbLb0EESW_IbLb1EEEEDaSS_ST_EUlSS_E0_NS1_11comp_targetILNS1_3genE10ELNS1_11target_archE1200ELNS1_3gpuE4ELNS1_3repE0EEENS1_30default_config_static_selectorELNS0_4arch9wavefront6targetE1EEEvT1_: ; @_ZN7rocprim17ROCPRIM_400000_NS6detail17trampoline_kernelINS0_14default_configENS1_20scan_config_selectorIxEEZZNS1_9scan_implILNS1_25lookback_scan_determinismE0ELb1ELb1ES3_N6thrust23THRUST_200600_302600_NS6detail15normal_iteratorINS9_10device_ptrIxEEEENS9_16discard_iteratorINS9_11use_defaultEEExNS9_4plusIvEExEEDaPvRmT3_T4_T5_mT6_P12ihipStream_tbENKUlT_T0_E_clISt17integral_constantIbLb0EESW_IbLb1EEEEDaSS_ST_EUlSS_E0_NS1_11comp_targetILNS1_3genE10ELNS1_11target_archE1200ELNS1_3gpuE4ELNS1_3repE0EEENS1_30default_config_static_selectorELNS0_4arch9wavefront6targetE1EEEvT1_
; %bb.0:
	.section	.rodata,"a",@progbits
	.p2align	6, 0x0
	.amdhsa_kernel _ZN7rocprim17ROCPRIM_400000_NS6detail17trampoline_kernelINS0_14default_configENS1_20scan_config_selectorIxEEZZNS1_9scan_implILNS1_25lookback_scan_determinismE0ELb1ELb1ES3_N6thrust23THRUST_200600_302600_NS6detail15normal_iteratorINS9_10device_ptrIxEEEENS9_16discard_iteratorINS9_11use_defaultEEExNS9_4plusIvEExEEDaPvRmT3_T4_T5_mT6_P12ihipStream_tbENKUlT_T0_E_clISt17integral_constantIbLb0EESW_IbLb1EEEEDaSS_ST_EUlSS_E0_NS1_11comp_targetILNS1_3genE10ELNS1_11target_archE1200ELNS1_3gpuE4ELNS1_3repE0EEENS1_30default_config_static_selectorELNS0_4arch9wavefront6targetE1EEEvT1_
		.amdhsa_group_segment_fixed_size 0
		.amdhsa_private_segment_fixed_size 0
		.amdhsa_kernarg_size 48
		.amdhsa_user_sgpr_count 6
		.amdhsa_user_sgpr_private_segment_buffer 1
		.amdhsa_user_sgpr_dispatch_ptr 0
		.amdhsa_user_sgpr_queue_ptr 0
		.amdhsa_user_sgpr_kernarg_segment_ptr 1
		.amdhsa_user_sgpr_dispatch_id 0
		.amdhsa_user_sgpr_flat_scratch_init 0
		.amdhsa_user_sgpr_kernarg_preload_length 0
		.amdhsa_user_sgpr_kernarg_preload_offset 0
		.amdhsa_user_sgpr_private_segment_size 0
		.amdhsa_uses_dynamic_stack 0
		.amdhsa_system_sgpr_private_segment_wavefront_offset 0
		.amdhsa_system_sgpr_workgroup_id_x 1
		.amdhsa_system_sgpr_workgroup_id_y 0
		.amdhsa_system_sgpr_workgroup_id_z 0
		.amdhsa_system_sgpr_workgroup_info 0
		.amdhsa_system_vgpr_workitem_id 0
		.amdhsa_next_free_vgpr 1
		.amdhsa_next_free_sgpr 0
		.amdhsa_accum_offset 4
		.amdhsa_reserve_vcc 0
		.amdhsa_reserve_flat_scratch 0
		.amdhsa_float_round_mode_32 0
		.amdhsa_float_round_mode_16_64 0
		.amdhsa_float_denorm_mode_32 3
		.amdhsa_float_denorm_mode_16_64 3
		.amdhsa_dx10_clamp 1
		.amdhsa_ieee_mode 1
		.amdhsa_fp16_overflow 0
		.amdhsa_tg_split 0
		.amdhsa_exception_fp_ieee_invalid_op 0
		.amdhsa_exception_fp_denorm_src 0
		.amdhsa_exception_fp_ieee_div_zero 0
		.amdhsa_exception_fp_ieee_overflow 0
		.amdhsa_exception_fp_ieee_underflow 0
		.amdhsa_exception_fp_ieee_inexact 0
		.amdhsa_exception_int_div_zero 0
	.end_amdhsa_kernel
	.section	.text._ZN7rocprim17ROCPRIM_400000_NS6detail17trampoline_kernelINS0_14default_configENS1_20scan_config_selectorIxEEZZNS1_9scan_implILNS1_25lookback_scan_determinismE0ELb1ELb1ES3_N6thrust23THRUST_200600_302600_NS6detail15normal_iteratorINS9_10device_ptrIxEEEENS9_16discard_iteratorINS9_11use_defaultEEExNS9_4plusIvEExEEDaPvRmT3_T4_T5_mT6_P12ihipStream_tbENKUlT_T0_E_clISt17integral_constantIbLb0EESW_IbLb1EEEEDaSS_ST_EUlSS_E0_NS1_11comp_targetILNS1_3genE10ELNS1_11target_archE1200ELNS1_3gpuE4ELNS1_3repE0EEENS1_30default_config_static_selectorELNS0_4arch9wavefront6targetE1EEEvT1_,"axG",@progbits,_ZN7rocprim17ROCPRIM_400000_NS6detail17trampoline_kernelINS0_14default_configENS1_20scan_config_selectorIxEEZZNS1_9scan_implILNS1_25lookback_scan_determinismE0ELb1ELb1ES3_N6thrust23THRUST_200600_302600_NS6detail15normal_iteratorINS9_10device_ptrIxEEEENS9_16discard_iteratorINS9_11use_defaultEEExNS9_4plusIvEExEEDaPvRmT3_T4_T5_mT6_P12ihipStream_tbENKUlT_T0_E_clISt17integral_constantIbLb0EESW_IbLb1EEEEDaSS_ST_EUlSS_E0_NS1_11comp_targetILNS1_3genE10ELNS1_11target_archE1200ELNS1_3gpuE4ELNS1_3repE0EEENS1_30default_config_static_selectorELNS0_4arch9wavefront6targetE1EEEvT1_,comdat
.Lfunc_end5723:
	.size	_ZN7rocprim17ROCPRIM_400000_NS6detail17trampoline_kernelINS0_14default_configENS1_20scan_config_selectorIxEEZZNS1_9scan_implILNS1_25lookback_scan_determinismE0ELb1ELb1ES3_N6thrust23THRUST_200600_302600_NS6detail15normal_iteratorINS9_10device_ptrIxEEEENS9_16discard_iteratorINS9_11use_defaultEEExNS9_4plusIvEExEEDaPvRmT3_T4_T5_mT6_P12ihipStream_tbENKUlT_T0_E_clISt17integral_constantIbLb0EESW_IbLb1EEEEDaSS_ST_EUlSS_E0_NS1_11comp_targetILNS1_3genE10ELNS1_11target_archE1200ELNS1_3gpuE4ELNS1_3repE0EEENS1_30default_config_static_selectorELNS0_4arch9wavefront6targetE1EEEvT1_, .Lfunc_end5723-_ZN7rocprim17ROCPRIM_400000_NS6detail17trampoline_kernelINS0_14default_configENS1_20scan_config_selectorIxEEZZNS1_9scan_implILNS1_25lookback_scan_determinismE0ELb1ELb1ES3_N6thrust23THRUST_200600_302600_NS6detail15normal_iteratorINS9_10device_ptrIxEEEENS9_16discard_iteratorINS9_11use_defaultEEExNS9_4plusIvEExEEDaPvRmT3_T4_T5_mT6_P12ihipStream_tbENKUlT_T0_E_clISt17integral_constantIbLb0EESW_IbLb1EEEEDaSS_ST_EUlSS_E0_NS1_11comp_targetILNS1_3genE10ELNS1_11target_archE1200ELNS1_3gpuE4ELNS1_3repE0EEENS1_30default_config_static_selectorELNS0_4arch9wavefront6targetE1EEEvT1_
                                        ; -- End function
	.section	.AMDGPU.csdata,"",@progbits
; Kernel info:
; codeLenInByte = 0
; NumSgprs: 4
; NumVgprs: 0
; NumAgprs: 0
; TotalNumVgprs: 0
; ScratchSize: 0
; MemoryBound: 0
; FloatMode: 240
; IeeeMode: 1
; LDSByteSize: 0 bytes/workgroup (compile time only)
; SGPRBlocks: 0
; VGPRBlocks: 0
; NumSGPRsForWavesPerEU: 4
; NumVGPRsForWavesPerEU: 1
; AccumOffset: 4
; Occupancy: 8
; WaveLimiterHint : 0
; COMPUTE_PGM_RSRC2:SCRATCH_EN: 0
; COMPUTE_PGM_RSRC2:USER_SGPR: 6
; COMPUTE_PGM_RSRC2:TRAP_HANDLER: 0
; COMPUTE_PGM_RSRC2:TGID_X_EN: 1
; COMPUTE_PGM_RSRC2:TGID_Y_EN: 0
; COMPUTE_PGM_RSRC2:TGID_Z_EN: 0
; COMPUTE_PGM_RSRC2:TIDIG_COMP_CNT: 0
; COMPUTE_PGM_RSRC3_GFX90A:ACCUM_OFFSET: 0
; COMPUTE_PGM_RSRC3_GFX90A:TG_SPLIT: 0
	.section	.text._ZN7rocprim17ROCPRIM_400000_NS6detail17trampoline_kernelINS0_14default_configENS1_20scan_config_selectorIxEEZZNS1_9scan_implILNS1_25lookback_scan_determinismE0ELb1ELb1ES3_N6thrust23THRUST_200600_302600_NS6detail15normal_iteratorINS9_10device_ptrIxEEEENS9_16discard_iteratorINS9_11use_defaultEEExNS9_4plusIvEExEEDaPvRmT3_T4_T5_mT6_P12ihipStream_tbENKUlT_T0_E_clISt17integral_constantIbLb0EESW_IbLb1EEEEDaSS_ST_EUlSS_E0_NS1_11comp_targetILNS1_3genE9ELNS1_11target_archE1100ELNS1_3gpuE3ELNS1_3repE0EEENS1_30default_config_static_selectorELNS0_4arch9wavefront6targetE1EEEvT1_,"axG",@progbits,_ZN7rocprim17ROCPRIM_400000_NS6detail17trampoline_kernelINS0_14default_configENS1_20scan_config_selectorIxEEZZNS1_9scan_implILNS1_25lookback_scan_determinismE0ELb1ELb1ES3_N6thrust23THRUST_200600_302600_NS6detail15normal_iteratorINS9_10device_ptrIxEEEENS9_16discard_iteratorINS9_11use_defaultEEExNS9_4plusIvEExEEDaPvRmT3_T4_T5_mT6_P12ihipStream_tbENKUlT_T0_E_clISt17integral_constantIbLb0EESW_IbLb1EEEEDaSS_ST_EUlSS_E0_NS1_11comp_targetILNS1_3genE9ELNS1_11target_archE1100ELNS1_3gpuE3ELNS1_3repE0EEENS1_30default_config_static_selectorELNS0_4arch9wavefront6targetE1EEEvT1_,comdat
	.protected	_ZN7rocprim17ROCPRIM_400000_NS6detail17trampoline_kernelINS0_14default_configENS1_20scan_config_selectorIxEEZZNS1_9scan_implILNS1_25lookback_scan_determinismE0ELb1ELb1ES3_N6thrust23THRUST_200600_302600_NS6detail15normal_iteratorINS9_10device_ptrIxEEEENS9_16discard_iteratorINS9_11use_defaultEEExNS9_4plusIvEExEEDaPvRmT3_T4_T5_mT6_P12ihipStream_tbENKUlT_T0_E_clISt17integral_constantIbLb0EESW_IbLb1EEEEDaSS_ST_EUlSS_E0_NS1_11comp_targetILNS1_3genE9ELNS1_11target_archE1100ELNS1_3gpuE3ELNS1_3repE0EEENS1_30default_config_static_selectorELNS0_4arch9wavefront6targetE1EEEvT1_ ; -- Begin function _ZN7rocprim17ROCPRIM_400000_NS6detail17trampoline_kernelINS0_14default_configENS1_20scan_config_selectorIxEEZZNS1_9scan_implILNS1_25lookback_scan_determinismE0ELb1ELb1ES3_N6thrust23THRUST_200600_302600_NS6detail15normal_iteratorINS9_10device_ptrIxEEEENS9_16discard_iteratorINS9_11use_defaultEEExNS9_4plusIvEExEEDaPvRmT3_T4_T5_mT6_P12ihipStream_tbENKUlT_T0_E_clISt17integral_constantIbLb0EESW_IbLb1EEEEDaSS_ST_EUlSS_E0_NS1_11comp_targetILNS1_3genE9ELNS1_11target_archE1100ELNS1_3gpuE3ELNS1_3repE0EEENS1_30default_config_static_selectorELNS0_4arch9wavefront6targetE1EEEvT1_
	.globl	_ZN7rocprim17ROCPRIM_400000_NS6detail17trampoline_kernelINS0_14default_configENS1_20scan_config_selectorIxEEZZNS1_9scan_implILNS1_25lookback_scan_determinismE0ELb1ELb1ES3_N6thrust23THRUST_200600_302600_NS6detail15normal_iteratorINS9_10device_ptrIxEEEENS9_16discard_iteratorINS9_11use_defaultEEExNS9_4plusIvEExEEDaPvRmT3_T4_T5_mT6_P12ihipStream_tbENKUlT_T0_E_clISt17integral_constantIbLb0EESW_IbLb1EEEEDaSS_ST_EUlSS_E0_NS1_11comp_targetILNS1_3genE9ELNS1_11target_archE1100ELNS1_3gpuE3ELNS1_3repE0EEENS1_30default_config_static_selectorELNS0_4arch9wavefront6targetE1EEEvT1_
	.p2align	8
	.type	_ZN7rocprim17ROCPRIM_400000_NS6detail17trampoline_kernelINS0_14default_configENS1_20scan_config_selectorIxEEZZNS1_9scan_implILNS1_25lookback_scan_determinismE0ELb1ELb1ES3_N6thrust23THRUST_200600_302600_NS6detail15normal_iteratorINS9_10device_ptrIxEEEENS9_16discard_iteratorINS9_11use_defaultEEExNS9_4plusIvEExEEDaPvRmT3_T4_T5_mT6_P12ihipStream_tbENKUlT_T0_E_clISt17integral_constantIbLb0EESW_IbLb1EEEEDaSS_ST_EUlSS_E0_NS1_11comp_targetILNS1_3genE9ELNS1_11target_archE1100ELNS1_3gpuE3ELNS1_3repE0EEENS1_30default_config_static_selectorELNS0_4arch9wavefront6targetE1EEEvT1_,@function
_ZN7rocprim17ROCPRIM_400000_NS6detail17trampoline_kernelINS0_14default_configENS1_20scan_config_selectorIxEEZZNS1_9scan_implILNS1_25lookback_scan_determinismE0ELb1ELb1ES3_N6thrust23THRUST_200600_302600_NS6detail15normal_iteratorINS9_10device_ptrIxEEEENS9_16discard_iteratorINS9_11use_defaultEEExNS9_4plusIvEExEEDaPvRmT3_T4_T5_mT6_P12ihipStream_tbENKUlT_T0_E_clISt17integral_constantIbLb0EESW_IbLb1EEEEDaSS_ST_EUlSS_E0_NS1_11comp_targetILNS1_3genE9ELNS1_11target_archE1100ELNS1_3gpuE3ELNS1_3repE0EEENS1_30default_config_static_selectorELNS0_4arch9wavefront6targetE1EEEvT1_: ; @_ZN7rocprim17ROCPRIM_400000_NS6detail17trampoline_kernelINS0_14default_configENS1_20scan_config_selectorIxEEZZNS1_9scan_implILNS1_25lookback_scan_determinismE0ELb1ELb1ES3_N6thrust23THRUST_200600_302600_NS6detail15normal_iteratorINS9_10device_ptrIxEEEENS9_16discard_iteratorINS9_11use_defaultEEExNS9_4plusIvEExEEDaPvRmT3_T4_T5_mT6_P12ihipStream_tbENKUlT_T0_E_clISt17integral_constantIbLb0EESW_IbLb1EEEEDaSS_ST_EUlSS_E0_NS1_11comp_targetILNS1_3genE9ELNS1_11target_archE1100ELNS1_3gpuE3ELNS1_3repE0EEENS1_30default_config_static_selectorELNS0_4arch9wavefront6targetE1EEEvT1_
; %bb.0:
	.section	.rodata,"a",@progbits
	.p2align	6, 0x0
	.amdhsa_kernel _ZN7rocprim17ROCPRIM_400000_NS6detail17trampoline_kernelINS0_14default_configENS1_20scan_config_selectorIxEEZZNS1_9scan_implILNS1_25lookback_scan_determinismE0ELb1ELb1ES3_N6thrust23THRUST_200600_302600_NS6detail15normal_iteratorINS9_10device_ptrIxEEEENS9_16discard_iteratorINS9_11use_defaultEEExNS9_4plusIvEExEEDaPvRmT3_T4_T5_mT6_P12ihipStream_tbENKUlT_T0_E_clISt17integral_constantIbLb0EESW_IbLb1EEEEDaSS_ST_EUlSS_E0_NS1_11comp_targetILNS1_3genE9ELNS1_11target_archE1100ELNS1_3gpuE3ELNS1_3repE0EEENS1_30default_config_static_selectorELNS0_4arch9wavefront6targetE1EEEvT1_
		.amdhsa_group_segment_fixed_size 0
		.amdhsa_private_segment_fixed_size 0
		.amdhsa_kernarg_size 48
		.amdhsa_user_sgpr_count 6
		.amdhsa_user_sgpr_private_segment_buffer 1
		.amdhsa_user_sgpr_dispatch_ptr 0
		.amdhsa_user_sgpr_queue_ptr 0
		.amdhsa_user_sgpr_kernarg_segment_ptr 1
		.amdhsa_user_sgpr_dispatch_id 0
		.amdhsa_user_sgpr_flat_scratch_init 0
		.amdhsa_user_sgpr_kernarg_preload_length 0
		.amdhsa_user_sgpr_kernarg_preload_offset 0
		.amdhsa_user_sgpr_private_segment_size 0
		.amdhsa_uses_dynamic_stack 0
		.amdhsa_system_sgpr_private_segment_wavefront_offset 0
		.amdhsa_system_sgpr_workgroup_id_x 1
		.amdhsa_system_sgpr_workgroup_id_y 0
		.amdhsa_system_sgpr_workgroup_id_z 0
		.amdhsa_system_sgpr_workgroup_info 0
		.amdhsa_system_vgpr_workitem_id 0
		.amdhsa_next_free_vgpr 1
		.amdhsa_next_free_sgpr 0
		.amdhsa_accum_offset 4
		.amdhsa_reserve_vcc 0
		.amdhsa_reserve_flat_scratch 0
		.amdhsa_float_round_mode_32 0
		.amdhsa_float_round_mode_16_64 0
		.amdhsa_float_denorm_mode_32 3
		.amdhsa_float_denorm_mode_16_64 3
		.amdhsa_dx10_clamp 1
		.amdhsa_ieee_mode 1
		.amdhsa_fp16_overflow 0
		.amdhsa_tg_split 0
		.amdhsa_exception_fp_ieee_invalid_op 0
		.amdhsa_exception_fp_denorm_src 0
		.amdhsa_exception_fp_ieee_div_zero 0
		.amdhsa_exception_fp_ieee_overflow 0
		.amdhsa_exception_fp_ieee_underflow 0
		.amdhsa_exception_fp_ieee_inexact 0
		.amdhsa_exception_int_div_zero 0
	.end_amdhsa_kernel
	.section	.text._ZN7rocprim17ROCPRIM_400000_NS6detail17trampoline_kernelINS0_14default_configENS1_20scan_config_selectorIxEEZZNS1_9scan_implILNS1_25lookback_scan_determinismE0ELb1ELb1ES3_N6thrust23THRUST_200600_302600_NS6detail15normal_iteratorINS9_10device_ptrIxEEEENS9_16discard_iteratorINS9_11use_defaultEEExNS9_4plusIvEExEEDaPvRmT3_T4_T5_mT6_P12ihipStream_tbENKUlT_T0_E_clISt17integral_constantIbLb0EESW_IbLb1EEEEDaSS_ST_EUlSS_E0_NS1_11comp_targetILNS1_3genE9ELNS1_11target_archE1100ELNS1_3gpuE3ELNS1_3repE0EEENS1_30default_config_static_selectorELNS0_4arch9wavefront6targetE1EEEvT1_,"axG",@progbits,_ZN7rocprim17ROCPRIM_400000_NS6detail17trampoline_kernelINS0_14default_configENS1_20scan_config_selectorIxEEZZNS1_9scan_implILNS1_25lookback_scan_determinismE0ELb1ELb1ES3_N6thrust23THRUST_200600_302600_NS6detail15normal_iteratorINS9_10device_ptrIxEEEENS9_16discard_iteratorINS9_11use_defaultEEExNS9_4plusIvEExEEDaPvRmT3_T4_T5_mT6_P12ihipStream_tbENKUlT_T0_E_clISt17integral_constantIbLb0EESW_IbLb1EEEEDaSS_ST_EUlSS_E0_NS1_11comp_targetILNS1_3genE9ELNS1_11target_archE1100ELNS1_3gpuE3ELNS1_3repE0EEENS1_30default_config_static_selectorELNS0_4arch9wavefront6targetE1EEEvT1_,comdat
.Lfunc_end5724:
	.size	_ZN7rocprim17ROCPRIM_400000_NS6detail17trampoline_kernelINS0_14default_configENS1_20scan_config_selectorIxEEZZNS1_9scan_implILNS1_25lookback_scan_determinismE0ELb1ELb1ES3_N6thrust23THRUST_200600_302600_NS6detail15normal_iteratorINS9_10device_ptrIxEEEENS9_16discard_iteratorINS9_11use_defaultEEExNS9_4plusIvEExEEDaPvRmT3_T4_T5_mT6_P12ihipStream_tbENKUlT_T0_E_clISt17integral_constantIbLb0EESW_IbLb1EEEEDaSS_ST_EUlSS_E0_NS1_11comp_targetILNS1_3genE9ELNS1_11target_archE1100ELNS1_3gpuE3ELNS1_3repE0EEENS1_30default_config_static_selectorELNS0_4arch9wavefront6targetE1EEEvT1_, .Lfunc_end5724-_ZN7rocprim17ROCPRIM_400000_NS6detail17trampoline_kernelINS0_14default_configENS1_20scan_config_selectorIxEEZZNS1_9scan_implILNS1_25lookback_scan_determinismE0ELb1ELb1ES3_N6thrust23THRUST_200600_302600_NS6detail15normal_iteratorINS9_10device_ptrIxEEEENS9_16discard_iteratorINS9_11use_defaultEEExNS9_4plusIvEExEEDaPvRmT3_T4_T5_mT6_P12ihipStream_tbENKUlT_T0_E_clISt17integral_constantIbLb0EESW_IbLb1EEEEDaSS_ST_EUlSS_E0_NS1_11comp_targetILNS1_3genE9ELNS1_11target_archE1100ELNS1_3gpuE3ELNS1_3repE0EEENS1_30default_config_static_selectorELNS0_4arch9wavefront6targetE1EEEvT1_
                                        ; -- End function
	.section	.AMDGPU.csdata,"",@progbits
; Kernel info:
; codeLenInByte = 0
; NumSgprs: 4
; NumVgprs: 0
; NumAgprs: 0
; TotalNumVgprs: 0
; ScratchSize: 0
; MemoryBound: 0
; FloatMode: 240
; IeeeMode: 1
; LDSByteSize: 0 bytes/workgroup (compile time only)
; SGPRBlocks: 0
; VGPRBlocks: 0
; NumSGPRsForWavesPerEU: 4
; NumVGPRsForWavesPerEU: 1
; AccumOffset: 4
; Occupancy: 8
; WaveLimiterHint : 0
; COMPUTE_PGM_RSRC2:SCRATCH_EN: 0
; COMPUTE_PGM_RSRC2:USER_SGPR: 6
; COMPUTE_PGM_RSRC2:TRAP_HANDLER: 0
; COMPUTE_PGM_RSRC2:TGID_X_EN: 1
; COMPUTE_PGM_RSRC2:TGID_Y_EN: 0
; COMPUTE_PGM_RSRC2:TGID_Z_EN: 0
; COMPUTE_PGM_RSRC2:TIDIG_COMP_CNT: 0
; COMPUTE_PGM_RSRC3_GFX90A:ACCUM_OFFSET: 0
; COMPUTE_PGM_RSRC3_GFX90A:TG_SPLIT: 0
	.section	.text._ZN7rocprim17ROCPRIM_400000_NS6detail17trampoline_kernelINS0_14default_configENS1_20scan_config_selectorIxEEZZNS1_9scan_implILNS1_25lookback_scan_determinismE0ELb1ELb1ES3_N6thrust23THRUST_200600_302600_NS6detail15normal_iteratorINS9_10device_ptrIxEEEENS9_16discard_iteratorINS9_11use_defaultEEExNS9_4plusIvEExEEDaPvRmT3_T4_T5_mT6_P12ihipStream_tbENKUlT_T0_E_clISt17integral_constantIbLb0EESW_IbLb1EEEEDaSS_ST_EUlSS_E0_NS1_11comp_targetILNS1_3genE8ELNS1_11target_archE1030ELNS1_3gpuE2ELNS1_3repE0EEENS1_30default_config_static_selectorELNS0_4arch9wavefront6targetE1EEEvT1_,"axG",@progbits,_ZN7rocprim17ROCPRIM_400000_NS6detail17trampoline_kernelINS0_14default_configENS1_20scan_config_selectorIxEEZZNS1_9scan_implILNS1_25lookback_scan_determinismE0ELb1ELb1ES3_N6thrust23THRUST_200600_302600_NS6detail15normal_iteratorINS9_10device_ptrIxEEEENS9_16discard_iteratorINS9_11use_defaultEEExNS9_4plusIvEExEEDaPvRmT3_T4_T5_mT6_P12ihipStream_tbENKUlT_T0_E_clISt17integral_constantIbLb0EESW_IbLb1EEEEDaSS_ST_EUlSS_E0_NS1_11comp_targetILNS1_3genE8ELNS1_11target_archE1030ELNS1_3gpuE2ELNS1_3repE0EEENS1_30default_config_static_selectorELNS0_4arch9wavefront6targetE1EEEvT1_,comdat
	.protected	_ZN7rocprim17ROCPRIM_400000_NS6detail17trampoline_kernelINS0_14default_configENS1_20scan_config_selectorIxEEZZNS1_9scan_implILNS1_25lookback_scan_determinismE0ELb1ELb1ES3_N6thrust23THRUST_200600_302600_NS6detail15normal_iteratorINS9_10device_ptrIxEEEENS9_16discard_iteratorINS9_11use_defaultEEExNS9_4plusIvEExEEDaPvRmT3_T4_T5_mT6_P12ihipStream_tbENKUlT_T0_E_clISt17integral_constantIbLb0EESW_IbLb1EEEEDaSS_ST_EUlSS_E0_NS1_11comp_targetILNS1_3genE8ELNS1_11target_archE1030ELNS1_3gpuE2ELNS1_3repE0EEENS1_30default_config_static_selectorELNS0_4arch9wavefront6targetE1EEEvT1_ ; -- Begin function _ZN7rocprim17ROCPRIM_400000_NS6detail17trampoline_kernelINS0_14default_configENS1_20scan_config_selectorIxEEZZNS1_9scan_implILNS1_25lookback_scan_determinismE0ELb1ELb1ES3_N6thrust23THRUST_200600_302600_NS6detail15normal_iteratorINS9_10device_ptrIxEEEENS9_16discard_iteratorINS9_11use_defaultEEExNS9_4plusIvEExEEDaPvRmT3_T4_T5_mT6_P12ihipStream_tbENKUlT_T0_E_clISt17integral_constantIbLb0EESW_IbLb1EEEEDaSS_ST_EUlSS_E0_NS1_11comp_targetILNS1_3genE8ELNS1_11target_archE1030ELNS1_3gpuE2ELNS1_3repE0EEENS1_30default_config_static_selectorELNS0_4arch9wavefront6targetE1EEEvT1_
	.globl	_ZN7rocprim17ROCPRIM_400000_NS6detail17trampoline_kernelINS0_14default_configENS1_20scan_config_selectorIxEEZZNS1_9scan_implILNS1_25lookback_scan_determinismE0ELb1ELb1ES3_N6thrust23THRUST_200600_302600_NS6detail15normal_iteratorINS9_10device_ptrIxEEEENS9_16discard_iteratorINS9_11use_defaultEEExNS9_4plusIvEExEEDaPvRmT3_T4_T5_mT6_P12ihipStream_tbENKUlT_T0_E_clISt17integral_constantIbLb0EESW_IbLb1EEEEDaSS_ST_EUlSS_E0_NS1_11comp_targetILNS1_3genE8ELNS1_11target_archE1030ELNS1_3gpuE2ELNS1_3repE0EEENS1_30default_config_static_selectorELNS0_4arch9wavefront6targetE1EEEvT1_
	.p2align	8
	.type	_ZN7rocprim17ROCPRIM_400000_NS6detail17trampoline_kernelINS0_14default_configENS1_20scan_config_selectorIxEEZZNS1_9scan_implILNS1_25lookback_scan_determinismE0ELb1ELb1ES3_N6thrust23THRUST_200600_302600_NS6detail15normal_iteratorINS9_10device_ptrIxEEEENS9_16discard_iteratorINS9_11use_defaultEEExNS9_4plusIvEExEEDaPvRmT3_T4_T5_mT6_P12ihipStream_tbENKUlT_T0_E_clISt17integral_constantIbLb0EESW_IbLb1EEEEDaSS_ST_EUlSS_E0_NS1_11comp_targetILNS1_3genE8ELNS1_11target_archE1030ELNS1_3gpuE2ELNS1_3repE0EEENS1_30default_config_static_selectorELNS0_4arch9wavefront6targetE1EEEvT1_,@function
_ZN7rocprim17ROCPRIM_400000_NS6detail17trampoline_kernelINS0_14default_configENS1_20scan_config_selectorIxEEZZNS1_9scan_implILNS1_25lookback_scan_determinismE0ELb1ELb1ES3_N6thrust23THRUST_200600_302600_NS6detail15normal_iteratorINS9_10device_ptrIxEEEENS9_16discard_iteratorINS9_11use_defaultEEExNS9_4plusIvEExEEDaPvRmT3_T4_T5_mT6_P12ihipStream_tbENKUlT_T0_E_clISt17integral_constantIbLb0EESW_IbLb1EEEEDaSS_ST_EUlSS_E0_NS1_11comp_targetILNS1_3genE8ELNS1_11target_archE1030ELNS1_3gpuE2ELNS1_3repE0EEENS1_30default_config_static_selectorELNS0_4arch9wavefront6targetE1EEEvT1_: ; @_ZN7rocprim17ROCPRIM_400000_NS6detail17trampoline_kernelINS0_14default_configENS1_20scan_config_selectorIxEEZZNS1_9scan_implILNS1_25lookback_scan_determinismE0ELb1ELb1ES3_N6thrust23THRUST_200600_302600_NS6detail15normal_iteratorINS9_10device_ptrIxEEEENS9_16discard_iteratorINS9_11use_defaultEEExNS9_4plusIvEExEEDaPvRmT3_T4_T5_mT6_P12ihipStream_tbENKUlT_T0_E_clISt17integral_constantIbLb0EESW_IbLb1EEEEDaSS_ST_EUlSS_E0_NS1_11comp_targetILNS1_3genE8ELNS1_11target_archE1030ELNS1_3gpuE2ELNS1_3repE0EEENS1_30default_config_static_selectorELNS0_4arch9wavefront6targetE1EEEvT1_
; %bb.0:
	.section	.rodata,"a",@progbits
	.p2align	6, 0x0
	.amdhsa_kernel _ZN7rocprim17ROCPRIM_400000_NS6detail17trampoline_kernelINS0_14default_configENS1_20scan_config_selectorIxEEZZNS1_9scan_implILNS1_25lookback_scan_determinismE0ELb1ELb1ES3_N6thrust23THRUST_200600_302600_NS6detail15normal_iteratorINS9_10device_ptrIxEEEENS9_16discard_iteratorINS9_11use_defaultEEExNS9_4plusIvEExEEDaPvRmT3_T4_T5_mT6_P12ihipStream_tbENKUlT_T0_E_clISt17integral_constantIbLb0EESW_IbLb1EEEEDaSS_ST_EUlSS_E0_NS1_11comp_targetILNS1_3genE8ELNS1_11target_archE1030ELNS1_3gpuE2ELNS1_3repE0EEENS1_30default_config_static_selectorELNS0_4arch9wavefront6targetE1EEEvT1_
		.amdhsa_group_segment_fixed_size 0
		.amdhsa_private_segment_fixed_size 0
		.amdhsa_kernarg_size 48
		.amdhsa_user_sgpr_count 6
		.amdhsa_user_sgpr_private_segment_buffer 1
		.amdhsa_user_sgpr_dispatch_ptr 0
		.amdhsa_user_sgpr_queue_ptr 0
		.amdhsa_user_sgpr_kernarg_segment_ptr 1
		.amdhsa_user_sgpr_dispatch_id 0
		.amdhsa_user_sgpr_flat_scratch_init 0
		.amdhsa_user_sgpr_kernarg_preload_length 0
		.amdhsa_user_sgpr_kernarg_preload_offset 0
		.amdhsa_user_sgpr_private_segment_size 0
		.amdhsa_uses_dynamic_stack 0
		.amdhsa_system_sgpr_private_segment_wavefront_offset 0
		.amdhsa_system_sgpr_workgroup_id_x 1
		.amdhsa_system_sgpr_workgroup_id_y 0
		.amdhsa_system_sgpr_workgroup_id_z 0
		.amdhsa_system_sgpr_workgroup_info 0
		.amdhsa_system_vgpr_workitem_id 0
		.amdhsa_next_free_vgpr 1
		.amdhsa_next_free_sgpr 0
		.amdhsa_accum_offset 4
		.amdhsa_reserve_vcc 0
		.amdhsa_reserve_flat_scratch 0
		.amdhsa_float_round_mode_32 0
		.amdhsa_float_round_mode_16_64 0
		.amdhsa_float_denorm_mode_32 3
		.amdhsa_float_denorm_mode_16_64 3
		.amdhsa_dx10_clamp 1
		.amdhsa_ieee_mode 1
		.amdhsa_fp16_overflow 0
		.amdhsa_tg_split 0
		.amdhsa_exception_fp_ieee_invalid_op 0
		.amdhsa_exception_fp_denorm_src 0
		.amdhsa_exception_fp_ieee_div_zero 0
		.amdhsa_exception_fp_ieee_overflow 0
		.amdhsa_exception_fp_ieee_underflow 0
		.amdhsa_exception_fp_ieee_inexact 0
		.amdhsa_exception_int_div_zero 0
	.end_amdhsa_kernel
	.section	.text._ZN7rocprim17ROCPRIM_400000_NS6detail17trampoline_kernelINS0_14default_configENS1_20scan_config_selectorIxEEZZNS1_9scan_implILNS1_25lookback_scan_determinismE0ELb1ELb1ES3_N6thrust23THRUST_200600_302600_NS6detail15normal_iteratorINS9_10device_ptrIxEEEENS9_16discard_iteratorINS9_11use_defaultEEExNS9_4plusIvEExEEDaPvRmT3_T4_T5_mT6_P12ihipStream_tbENKUlT_T0_E_clISt17integral_constantIbLb0EESW_IbLb1EEEEDaSS_ST_EUlSS_E0_NS1_11comp_targetILNS1_3genE8ELNS1_11target_archE1030ELNS1_3gpuE2ELNS1_3repE0EEENS1_30default_config_static_selectorELNS0_4arch9wavefront6targetE1EEEvT1_,"axG",@progbits,_ZN7rocprim17ROCPRIM_400000_NS6detail17trampoline_kernelINS0_14default_configENS1_20scan_config_selectorIxEEZZNS1_9scan_implILNS1_25lookback_scan_determinismE0ELb1ELb1ES3_N6thrust23THRUST_200600_302600_NS6detail15normal_iteratorINS9_10device_ptrIxEEEENS9_16discard_iteratorINS9_11use_defaultEEExNS9_4plusIvEExEEDaPvRmT3_T4_T5_mT6_P12ihipStream_tbENKUlT_T0_E_clISt17integral_constantIbLb0EESW_IbLb1EEEEDaSS_ST_EUlSS_E0_NS1_11comp_targetILNS1_3genE8ELNS1_11target_archE1030ELNS1_3gpuE2ELNS1_3repE0EEENS1_30default_config_static_selectorELNS0_4arch9wavefront6targetE1EEEvT1_,comdat
.Lfunc_end5725:
	.size	_ZN7rocprim17ROCPRIM_400000_NS6detail17trampoline_kernelINS0_14default_configENS1_20scan_config_selectorIxEEZZNS1_9scan_implILNS1_25lookback_scan_determinismE0ELb1ELb1ES3_N6thrust23THRUST_200600_302600_NS6detail15normal_iteratorINS9_10device_ptrIxEEEENS9_16discard_iteratorINS9_11use_defaultEEExNS9_4plusIvEExEEDaPvRmT3_T4_T5_mT6_P12ihipStream_tbENKUlT_T0_E_clISt17integral_constantIbLb0EESW_IbLb1EEEEDaSS_ST_EUlSS_E0_NS1_11comp_targetILNS1_3genE8ELNS1_11target_archE1030ELNS1_3gpuE2ELNS1_3repE0EEENS1_30default_config_static_selectorELNS0_4arch9wavefront6targetE1EEEvT1_, .Lfunc_end5725-_ZN7rocprim17ROCPRIM_400000_NS6detail17trampoline_kernelINS0_14default_configENS1_20scan_config_selectorIxEEZZNS1_9scan_implILNS1_25lookback_scan_determinismE0ELb1ELb1ES3_N6thrust23THRUST_200600_302600_NS6detail15normal_iteratorINS9_10device_ptrIxEEEENS9_16discard_iteratorINS9_11use_defaultEEExNS9_4plusIvEExEEDaPvRmT3_T4_T5_mT6_P12ihipStream_tbENKUlT_T0_E_clISt17integral_constantIbLb0EESW_IbLb1EEEEDaSS_ST_EUlSS_E0_NS1_11comp_targetILNS1_3genE8ELNS1_11target_archE1030ELNS1_3gpuE2ELNS1_3repE0EEENS1_30default_config_static_selectorELNS0_4arch9wavefront6targetE1EEEvT1_
                                        ; -- End function
	.section	.AMDGPU.csdata,"",@progbits
; Kernel info:
; codeLenInByte = 0
; NumSgprs: 4
; NumVgprs: 0
; NumAgprs: 0
; TotalNumVgprs: 0
; ScratchSize: 0
; MemoryBound: 0
; FloatMode: 240
; IeeeMode: 1
; LDSByteSize: 0 bytes/workgroup (compile time only)
; SGPRBlocks: 0
; VGPRBlocks: 0
; NumSGPRsForWavesPerEU: 4
; NumVGPRsForWavesPerEU: 1
; AccumOffset: 4
; Occupancy: 8
; WaveLimiterHint : 0
; COMPUTE_PGM_RSRC2:SCRATCH_EN: 0
; COMPUTE_PGM_RSRC2:USER_SGPR: 6
; COMPUTE_PGM_RSRC2:TRAP_HANDLER: 0
; COMPUTE_PGM_RSRC2:TGID_X_EN: 1
; COMPUTE_PGM_RSRC2:TGID_Y_EN: 0
; COMPUTE_PGM_RSRC2:TGID_Z_EN: 0
; COMPUTE_PGM_RSRC2:TIDIG_COMP_CNT: 0
; COMPUTE_PGM_RSRC3_GFX90A:ACCUM_OFFSET: 0
; COMPUTE_PGM_RSRC3_GFX90A:TG_SPLIT: 0
	.section	.text._ZN7rocprim17ROCPRIM_400000_NS6detail17trampoline_kernelINS0_14default_configENS1_20scan_config_selectorIiEEZZNS1_9scan_implILNS1_25lookback_scan_determinismE0ELb0ELb0ES3_N6thrust23THRUST_200600_302600_NS6detail15normal_iteratorINS9_10device_ptrIiEEEENS9_16discard_iteratorINS9_11use_defaultEEEiNS9_4plusIvEEiEEDaPvRmT3_T4_T5_mT6_P12ihipStream_tbENKUlT_T0_E_clISt17integral_constantIbLb0EESX_EEDaSS_ST_EUlSS_E_NS1_11comp_targetILNS1_3genE0ELNS1_11target_archE4294967295ELNS1_3gpuE0ELNS1_3repE0EEENS1_30default_config_static_selectorELNS0_4arch9wavefront6targetE1EEEvT1_,"axG",@progbits,_ZN7rocprim17ROCPRIM_400000_NS6detail17trampoline_kernelINS0_14default_configENS1_20scan_config_selectorIiEEZZNS1_9scan_implILNS1_25lookback_scan_determinismE0ELb0ELb0ES3_N6thrust23THRUST_200600_302600_NS6detail15normal_iteratorINS9_10device_ptrIiEEEENS9_16discard_iteratorINS9_11use_defaultEEEiNS9_4plusIvEEiEEDaPvRmT3_T4_T5_mT6_P12ihipStream_tbENKUlT_T0_E_clISt17integral_constantIbLb0EESX_EEDaSS_ST_EUlSS_E_NS1_11comp_targetILNS1_3genE0ELNS1_11target_archE4294967295ELNS1_3gpuE0ELNS1_3repE0EEENS1_30default_config_static_selectorELNS0_4arch9wavefront6targetE1EEEvT1_,comdat
	.protected	_ZN7rocprim17ROCPRIM_400000_NS6detail17trampoline_kernelINS0_14default_configENS1_20scan_config_selectorIiEEZZNS1_9scan_implILNS1_25lookback_scan_determinismE0ELb0ELb0ES3_N6thrust23THRUST_200600_302600_NS6detail15normal_iteratorINS9_10device_ptrIiEEEENS9_16discard_iteratorINS9_11use_defaultEEEiNS9_4plusIvEEiEEDaPvRmT3_T4_T5_mT6_P12ihipStream_tbENKUlT_T0_E_clISt17integral_constantIbLb0EESX_EEDaSS_ST_EUlSS_E_NS1_11comp_targetILNS1_3genE0ELNS1_11target_archE4294967295ELNS1_3gpuE0ELNS1_3repE0EEENS1_30default_config_static_selectorELNS0_4arch9wavefront6targetE1EEEvT1_ ; -- Begin function _ZN7rocprim17ROCPRIM_400000_NS6detail17trampoline_kernelINS0_14default_configENS1_20scan_config_selectorIiEEZZNS1_9scan_implILNS1_25lookback_scan_determinismE0ELb0ELb0ES3_N6thrust23THRUST_200600_302600_NS6detail15normal_iteratorINS9_10device_ptrIiEEEENS9_16discard_iteratorINS9_11use_defaultEEEiNS9_4plusIvEEiEEDaPvRmT3_T4_T5_mT6_P12ihipStream_tbENKUlT_T0_E_clISt17integral_constantIbLb0EESX_EEDaSS_ST_EUlSS_E_NS1_11comp_targetILNS1_3genE0ELNS1_11target_archE4294967295ELNS1_3gpuE0ELNS1_3repE0EEENS1_30default_config_static_selectorELNS0_4arch9wavefront6targetE1EEEvT1_
	.globl	_ZN7rocprim17ROCPRIM_400000_NS6detail17trampoline_kernelINS0_14default_configENS1_20scan_config_selectorIiEEZZNS1_9scan_implILNS1_25lookback_scan_determinismE0ELb0ELb0ES3_N6thrust23THRUST_200600_302600_NS6detail15normal_iteratorINS9_10device_ptrIiEEEENS9_16discard_iteratorINS9_11use_defaultEEEiNS9_4plusIvEEiEEDaPvRmT3_T4_T5_mT6_P12ihipStream_tbENKUlT_T0_E_clISt17integral_constantIbLb0EESX_EEDaSS_ST_EUlSS_E_NS1_11comp_targetILNS1_3genE0ELNS1_11target_archE4294967295ELNS1_3gpuE0ELNS1_3repE0EEENS1_30default_config_static_selectorELNS0_4arch9wavefront6targetE1EEEvT1_
	.p2align	8
	.type	_ZN7rocprim17ROCPRIM_400000_NS6detail17trampoline_kernelINS0_14default_configENS1_20scan_config_selectorIiEEZZNS1_9scan_implILNS1_25lookback_scan_determinismE0ELb0ELb0ES3_N6thrust23THRUST_200600_302600_NS6detail15normal_iteratorINS9_10device_ptrIiEEEENS9_16discard_iteratorINS9_11use_defaultEEEiNS9_4plusIvEEiEEDaPvRmT3_T4_T5_mT6_P12ihipStream_tbENKUlT_T0_E_clISt17integral_constantIbLb0EESX_EEDaSS_ST_EUlSS_E_NS1_11comp_targetILNS1_3genE0ELNS1_11target_archE4294967295ELNS1_3gpuE0ELNS1_3repE0EEENS1_30default_config_static_selectorELNS0_4arch9wavefront6targetE1EEEvT1_,@function
_ZN7rocprim17ROCPRIM_400000_NS6detail17trampoline_kernelINS0_14default_configENS1_20scan_config_selectorIiEEZZNS1_9scan_implILNS1_25lookback_scan_determinismE0ELb0ELb0ES3_N6thrust23THRUST_200600_302600_NS6detail15normal_iteratorINS9_10device_ptrIiEEEENS9_16discard_iteratorINS9_11use_defaultEEEiNS9_4plusIvEEiEEDaPvRmT3_T4_T5_mT6_P12ihipStream_tbENKUlT_T0_E_clISt17integral_constantIbLb0EESX_EEDaSS_ST_EUlSS_E_NS1_11comp_targetILNS1_3genE0ELNS1_11target_archE4294967295ELNS1_3gpuE0ELNS1_3repE0EEENS1_30default_config_static_selectorELNS0_4arch9wavefront6targetE1EEEvT1_: ; @_ZN7rocprim17ROCPRIM_400000_NS6detail17trampoline_kernelINS0_14default_configENS1_20scan_config_selectorIiEEZZNS1_9scan_implILNS1_25lookback_scan_determinismE0ELb0ELb0ES3_N6thrust23THRUST_200600_302600_NS6detail15normal_iteratorINS9_10device_ptrIiEEEENS9_16discard_iteratorINS9_11use_defaultEEEiNS9_4plusIvEEiEEDaPvRmT3_T4_T5_mT6_P12ihipStream_tbENKUlT_T0_E_clISt17integral_constantIbLb0EESX_EEDaSS_ST_EUlSS_E_NS1_11comp_targetILNS1_3genE0ELNS1_11target_archE4294967295ELNS1_3gpuE0ELNS1_3repE0EEENS1_30default_config_static_selectorELNS0_4arch9wavefront6targetE1EEEvT1_
; %bb.0:
	.section	.rodata,"a",@progbits
	.p2align	6, 0x0
	.amdhsa_kernel _ZN7rocprim17ROCPRIM_400000_NS6detail17trampoline_kernelINS0_14default_configENS1_20scan_config_selectorIiEEZZNS1_9scan_implILNS1_25lookback_scan_determinismE0ELb0ELb0ES3_N6thrust23THRUST_200600_302600_NS6detail15normal_iteratorINS9_10device_ptrIiEEEENS9_16discard_iteratorINS9_11use_defaultEEEiNS9_4plusIvEEiEEDaPvRmT3_T4_T5_mT6_P12ihipStream_tbENKUlT_T0_E_clISt17integral_constantIbLb0EESX_EEDaSS_ST_EUlSS_E_NS1_11comp_targetILNS1_3genE0ELNS1_11target_archE4294967295ELNS1_3gpuE0ELNS1_3repE0EEENS1_30default_config_static_selectorELNS0_4arch9wavefront6targetE1EEEvT1_
		.amdhsa_group_segment_fixed_size 0
		.amdhsa_private_segment_fixed_size 0
		.amdhsa_kernarg_size 104
		.amdhsa_user_sgpr_count 6
		.amdhsa_user_sgpr_private_segment_buffer 1
		.amdhsa_user_sgpr_dispatch_ptr 0
		.amdhsa_user_sgpr_queue_ptr 0
		.amdhsa_user_sgpr_kernarg_segment_ptr 1
		.amdhsa_user_sgpr_dispatch_id 0
		.amdhsa_user_sgpr_flat_scratch_init 0
		.amdhsa_user_sgpr_kernarg_preload_length 0
		.amdhsa_user_sgpr_kernarg_preload_offset 0
		.amdhsa_user_sgpr_private_segment_size 0
		.amdhsa_uses_dynamic_stack 0
		.amdhsa_system_sgpr_private_segment_wavefront_offset 0
		.amdhsa_system_sgpr_workgroup_id_x 1
		.amdhsa_system_sgpr_workgroup_id_y 0
		.amdhsa_system_sgpr_workgroup_id_z 0
		.amdhsa_system_sgpr_workgroup_info 0
		.amdhsa_system_vgpr_workitem_id 0
		.amdhsa_next_free_vgpr 1
		.amdhsa_next_free_sgpr 0
		.amdhsa_accum_offset 4
		.amdhsa_reserve_vcc 0
		.amdhsa_reserve_flat_scratch 0
		.amdhsa_float_round_mode_32 0
		.amdhsa_float_round_mode_16_64 0
		.amdhsa_float_denorm_mode_32 3
		.amdhsa_float_denorm_mode_16_64 3
		.amdhsa_dx10_clamp 1
		.amdhsa_ieee_mode 1
		.amdhsa_fp16_overflow 0
		.amdhsa_tg_split 0
		.amdhsa_exception_fp_ieee_invalid_op 0
		.amdhsa_exception_fp_denorm_src 0
		.amdhsa_exception_fp_ieee_div_zero 0
		.amdhsa_exception_fp_ieee_overflow 0
		.amdhsa_exception_fp_ieee_underflow 0
		.amdhsa_exception_fp_ieee_inexact 0
		.amdhsa_exception_int_div_zero 0
	.end_amdhsa_kernel
	.section	.text._ZN7rocprim17ROCPRIM_400000_NS6detail17trampoline_kernelINS0_14default_configENS1_20scan_config_selectorIiEEZZNS1_9scan_implILNS1_25lookback_scan_determinismE0ELb0ELb0ES3_N6thrust23THRUST_200600_302600_NS6detail15normal_iteratorINS9_10device_ptrIiEEEENS9_16discard_iteratorINS9_11use_defaultEEEiNS9_4plusIvEEiEEDaPvRmT3_T4_T5_mT6_P12ihipStream_tbENKUlT_T0_E_clISt17integral_constantIbLb0EESX_EEDaSS_ST_EUlSS_E_NS1_11comp_targetILNS1_3genE0ELNS1_11target_archE4294967295ELNS1_3gpuE0ELNS1_3repE0EEENS1_30default_config_static_selectorELNS0_4arch9wavefront6targetE1EEEvT1_,"axG",@progbits,_ZN7rocprim17ROCPRIM_400000_NS6detail17trampoline_kernelINS0_14default_configENS1_20scan_config_selectorIiEEZZNS1_9scan_implILNS1_25lookback_scan_determinismE0ELb0ELb0ES3_N6thrust23THRUST_200600_302600_NS6detail15normal_iteratorINS9_10device_ptrIiEEEENS9_16discard_iteratorINS9_11use_defaultEEEiNS9_4plusIvEEiEEDaPvRmT3_T4_T5_mT6_P12ihipStream_tbENKUlT_T0_E_clISt17integral_constantIbLb0EESX_EEDaSS_ST_EUlSS_E_NS1_11comp_targetILNS1_3genE0ELNS1_11target_archE4294967295ELNS1_3gpuE0ELNS1_3repE0EEENS1_30default_config_static_selectorELNS0_4arch9wavefront6targetE1EEEvT1_,comdat
.Lfunc_end5726:
	.size	_ZN7rocprim17ROCPRIM_400000_NS6detail17trampoline_kernelINS0_14default_configENS1_20scan_config_selectorIiEEZZNS1_9scan_implILNS1_25lookback_scan_determinismE0ELb0ELb0ES3_N6thrust23THRUST_200600_302600_NS6detail15normal_iteratorINS9_10device_ptrIiEEEENS9_16discard_iteratorINS9_11use_defaultEEEiNS9_4plusIvEEiEEDaPvRmT3_T4_T5_mT6_P12ihipStream_tbENKUlT_T0_E_clISt17integral_constantIbLb0EESX_EEDaSS_ST_EUlSS_E_NS1_11comp_targetILNS1_3genE0ELNS1_11target_archE4294967295ELNS1_3gpuE0ELNS1_3repE0EEENS1_30default_config_static_selectorELNS0_4arch9wavefront6targetE1EEEvT1_, .Lfunc_end5726-_ZN7rocprim17ROCPRIM_400000_NS6detail17trampoline_kernelINS0_14default_configENS1_20scan_config_selectorIiEEZZNS1_9scan_implILNS1_25lookback_scan_determinismE0ELb0ELb0ES3_N6thrust23THRUST_200600_302600_NS6detail15normal_iteratorINS9_10device_ptrIiEEEENS9_16discard_iteratorINS9_11use_defaultEEEiNS9_4plusIvEEiEEDaPvRmT3_T4_T5_mT6_P12ihipStream_tbENKUlT_T0_E_clISt17integral_constantIbLb0EESX_EEDaSS_ST_EUlSS_E_NS1_11comp_targetILNS1_3genE0ELNS1_11target_archE4294967295ELNS1_3gpuE0ELNS1_3repE0EEENS1_30default_config_static_selectorELNS0_4arch9wavefront6targetE1EEEvT1_
                                        ; -- End function
	.section	.AMDGPU.csdata,"",@progbits
; Kernel info:
; codeLenInByte = 0
; NumSgprs: 4
; NumVgprs: 0
; NumAgprs: 0
; TotalNumVgprs: 0
; ScratchSize: 0
; MemoryBound: 0
; FloatMode: 240
; IeeeMode: 1
; LDSByteSize: 0 bytes/workgroup (compile time only)
; SGPRBlocks: 0
; VGPRBlocks: 0
; NumSGPRsForWavesPerEU: 4
; NumVGPRsForWavesPerEU: 1
; AccumOffset: 4
; Occupancy: 8
; WaveLimiterHint : 0
; COMPUTE_PGM_RSRC2:SCRATCH_EN: 0
; COMPUTE_PGM_RSRC2:USER_SGPR: 6
; COMPUTE_PGM_RSRC2:TRAP_HANDLER: 0
; COMPUTE_PGM_RSRC2:TGID_X_EN: 1
; COMPUTE_PGM_RSRC2:TGID_Y_EN: 0
; COMPUTE_PGM_RSRC2:TGID_Z_EN: 0
; COMPUTE_PGM_RSRC2:TIDIG_COMP_CNT: 0
; COMPUTE_PGM_RSRC3_GFX90A:ACCUM_OFFSET: 0
; COMPUTE_PGM_RSRC3_GFX90A:TG_SPLIT: 0
	.section	.text._ZN7rocprim17ROCPRIM_400000_NS6detail17trampoline_kernelINS0_14default_configENS1_20scan_config_selectorIiEEZZNS1_9scan_implILNS1_25lookback_scan_determinismE0ELb0ELb0ES3_N6thrust23THRUST_200600_302600_NS6detail15normal_iteratorINS9_10device_ptrIiEEEENS9_16discard_iteratorINS9_11use_defaultEEEiNS9_4plusIvEEiEEDaPvRmT3_T4_T5_mT6_P12ihipStream_tbENKUlT_T0_E_clISt17integral_constantIbLb0EESX_EEDaSS_ST_EUlSS_E_NS1_11comp_targetILNS1_3genE5ELNS1_11target_archE942ELNS1_3gpuE9ELNS1_3repE0EEENS1_30default_config_static_selectorELNS0_4arch9wavefront6targetE1EEEvT1_,"axG",@progbits,_ZN7rocprim17ROCPRIM_400000_NS6detail17trampoline_kernelINS0_14default_configENS1_20scan_config_selectorIiEEZZNS1_9scan_implILNS1_25lookback_scan_determinismE0ELb0ELb0ES3_N6thrust23THRUST_200600_302600_NS6detail15normal_iteratorINS9_10device_ptrIiEEEENS9_16discard_iteratorINS9_11use_defaultEEEiNS9_4plusIvEEiEEDaPvRmT3_T4_T5_mT6_P12ihipStream_tbENKUlT_T0_E_clISt17integral_constantIbLb0EESX_EEDaSS_ST_EUlSS_E_NS1_11comp_targetILNS1_3genE5ELNS1_11target_archE942ELNS1_3gpuE9ELNS1_3repE0EEENS1_30default_config_static_selectorELNS0_4arch9wavefront6targetE1EEEvT1_,comdat
	.protected	_ZN7rocprim17ROCPRIM_400000_NS6detail17trampoline_kernelINS0_14default_configENS1_20scan_config_selectorIiEEZZNS1_9scan_implILNS1_25lookback_scan_determinismE0ELb0ELb0ES3_N6thrust23THRUST_200600_302600_NS6detail15normal_iteratorINS9_10device_ptrIiEEEENS9_16discard_iteratorINS9_11use_defaultEEEiNS9_4plusIvEEiEEDaPvRmT3_T4_T5_mT6_P12ihipStream_tbENKUlT_T0_E_clISt17integral_constantIbLb0EESX_EEDaSS_ST_EUlSS_E_NS1_11comp_targetILNS1_3genE5ELNS1_11target_archE942ELNS1_3gpuE9ELNS1_3repE0EEENS1_30default_config_static_selectorELNS0_4arch9wavefront6targetE1EEEvT1_ ; -- Begin function _ZN7rocprim17ROCPRIM_400000_NS6detail17trampoline_kernelINS0_14default_configENS1_20scan_config_selectorIiEEZZNS1_9scan_implILNS1_25lookback_scan_determinismE0ELb0ELb0ES3_N6thrust23THRUST_200600_302600_NS6detail15normal_iteratorINS9_10device_ptrIiEEEENS9_16discard_iteratorINS9_11use_defaultEEEiNS9_4plusIvEEiEEDaPvRmT3_T4_T5_mT6_P12ihipStream_tbENKUlT_T0_E_clISt17integral_constantIbLb0EESX_EEDaSS_ST_EUlSS_E_NS1_11comp_targetILNS1_3genE5ELNS1_11target_archE942ELNS1_3gpuE9ELNS1_3repE0EEENS1_30default_config_static_selectorELNS0_4arch9wavefront6targetE1EEEvT1_
	.globl	_ZN7rocprim17ROCPRIM_400000_NS6detail17trampoline_kernelINS0_14default_configENS1_20scan_config_selectorIiEEZZNS1_9scan_implILNS1_25lookback_scan_determinismE0ELb0ELb0ES3_N6thrust23THRUST_200600_302600_NS6detail15normal_iteratorINS9_10device_ptrIiEEEENS9_16discard_iteratorINS9_11use_defaultEEEiNS9_4plusIvEEiEEDaPvRmT3_T4_T5_mT6_P12ihipStream_tbENKUlT_T0_E_clISt17integral_constantIbLb0EESX_EEDaSS_ST_EUlSS_E_NS1_11comp_targetILNS1_3genE5ELNS1_11target_archE942ELNS1_3gpuE9ELNS1_3repE0EEENS1_30default_config_static_selectorELNS0_4arch9wavefront6targetE1EEEvT1_
	.p2align	8
	.type	_ZN7rocprim17ROCPRIM_400000_NS6detail17trampoline_kernelINS0_14default_configENS1_20scan_config_selectorIiEEZZNS1_9scan_implILNS1_25lookback_scan_determinismE0ELb0ELb0ES3_N6thrust23THRUST_200600_302600_NS6detail15normal_iteratorINS9_10device_ptrIiEEEENS9_16discard_iteratorINS9_11use_defaultEEEiNS9_4plusIvEEiEEDaPvRmT3_T4_T5_mT6_P12ihipStream_tbENKUlT_T0_E_clISt17integral_constantIbLb0EESX_EEDaSS_ST_EUlSS_E_NS1_11comp_targetILNS1_3genE5ELNS1_11target_archE942ELNS1_3gpuE9ELNS1_3repE0EEENS1_30default_config_static_selectorELNS0_4arch9wavefront6targetE1EEEvT1_,@function
_ZN7rocprim17ROCPRIM_400000_NS6detail17trampoline_kernelINS0_14default_configENS1_20scan_config_selectorIiEEZZNS1_9scan_implILNS1_25lookback_scan_determinismE0ELb0ELb0ES3_N6thrust23THRUST_200600_302600_NS6detail15normal_iteratorINS9_10device_ptrIiEEEENS9_16discard_iteratorINS9_11use_defaultEEEiNS9_4plusIvEEiEEDaPvRmT3_T4_T5_mT6_P12ihipStream_tbENKUlT_T0_E_clISt17integral_constantIbLb0EESX_EEDaSS_ST_EUlSS_E_NS1_11comp_targetILNS1_3genE5ELNS1_11target_archE942ELNS1_3gpuE9ELNS1_3repE0EEENS1_30default_config_static_selectorELNS0_4arch9wavefront6targetE1EEEvT1_: ; @_ZN7rocprim17ROCPRIM_400000_NS6detail17trampoline_kernelINS0_14default_configENS1_20scan_config_selectorIiEEZZNS1_9scan_implILNS1_25lookback_scan_determinismE0ELb0ELb0ES3_N6thrust23THRUST_200600_302600_NS6detail15normal_iteratorINS9_10device_ptrIiEEEENS9_16discard_iteratorINS9_11use_defaultEEEiNS9_4plusIvEEiEEDaPvRmT3_T4_T5_mT6_P12ihipStream_tbENKUlT_T0_E_clISt17integral_constantIbLb0EESX_EEDaSS_ST_EUlSS_E_NS1_11comp_targetILNS1_3genE5ELNS1_11target_archE942ELNS1_3gpuE9ELNS1_3repE0EEENS1_30default_config_static_selectorELNS0_4arch9wavefront6targetE1EEEvT1_
; %bb.0:
	.section	.rodata,"a",@progbits
	.p2align	6, 0x0
	.amdhsa_kernel _ZN7rocprim17ROCPRIM_400000_NS6detail17trampoline_kernelINS0_14default_configENS1_20scan_config_selectorIiEEZZNS1_9scan_implILNS1_25lookback_scan_determinismE0ELb0ELb0ES3_N6thrust23THRUST_200600_302600_NS6detail15normal_iteratorINS9_10device_ptrIiEEEENS9_16discard_iteratorINS9_11use_defaultEEEiNS9_4plusIvEEiEEDaPvRmT3_T4_T5_mT6_P12ihipStream_tbENKUlT_T0_E_clISt17integral_constantIbLb0EESX_EEDaSS_ST_EUlSS_E_NS1_11comp_targetILNS1_3genE5ELNS1_11target_archE942ELNS1_3gpuE9ELNS1_3repE0EEENS1_30default_config_static_selectorELNS0_4arch9wavefront6targetE1EEEvT1_
		.amdhsa_group_segment_fixed_size 0
		.amdhsa_private_segment_fixed_size 0
		.amdhsa_kernarg_size 104
		.amdhsa_user_sgpr_count 6
		.amdhsa_user_sgpr_private_segment_buffer 1
		.amdhsa_user_sgpr_dispatch_ptr 0
		.amdhsa_user_sgpr_queue_ptr 0
		.amdhsa_user_sgpr_kernarg_segment_ptr 1
		.amdhsa_user_sgpr_dispatch_id 0
		.amdhsa_user_sgpr_flat_scratch_init 0
		.amdhsa_user_sgpr_kernarg_preload_length 0
		.amdhsa_user_sgpr_kernarg_preload_offset 0
		.amdhsa_user_sgpr_private_segment_size 0
		.amdhsa_uses_dynamic_stack 0
		.amdhsa_system_sgpr_private_segment_wavefront_offset 0
		.amdhsa_system_sgpr_workgroup_id_x 1
		.amdhsa_system_sgpr_workgroup_id_y 0
		.amdhsa_system_sgpr_workgroup_id_z 0
		.amdhsa_system_sgpr_workgroup_info 0
		.amdhsa_system_vgpr_workitem_id 0
		.amdhsa_next_free_vgpr 1
		.amdhsa_next_free_sgpr 0
		.amdhsa_accum_offset 4
		.amdhsa_reserve_vcc 0
		.amdhsa_reserve_flat_scratch 0
		.amdhsa_float_round_mode_32 0
		.amdhsa_float_round_mode_16_64 0
		.amdhsa_float_denorm_mode_32 3
		.amdhsa_float_denorm_mode_16_64 3
		.amdhsa_dx10_clamp 1
		.amdhsa_ieee_mode 1
		.amdhsa_fp16_overflow 0
		.amdhsa_tg_split 0
		.amdhsa_exception_fp_ieee_invalid_op 0
		.amdhsa_exception_fp_denorm_src 0
		.amdhsa_exception_fp_ieee_div_zero 0
		.amdhsa_exception_fp_ieee_overflow 0
		.amdhsa_exception_fp_ieee_underflow 0
		.amdhsa_exception_fp_ieee_inexact 0
		.amdhsa_exception_int_div_zero 0
	.end_amdhsa_kernel
	.section	.text._ZN7rocprim17ROCPRIM_400000_NS6detail17trampoline_kernelINS0_14default_configENS1_20scan_config_selectorIiEEZZNS1_9scan_implILNS1_25lookback_scan_determinismE0ELb0ELb0ES3_N6thrust23THRUST_200600_302600_NS6detail15normal_iteratorINS9_10device_ptrIiEEEENS9_16discard_iteratorINS9_11use_defaultEEEiNS9_4plusIvEEiEEDaPvRmT3_T4_T5_mT6_P12ihipStream_tbENKUlT_T0_E_clISt17integral_constantIbLb0EESX_EEDaSS_ST_EUlSS_E_NS1_11comp_targetILNS1_3genE5ELNS1_11target_archE942ELNS1_3gpuE9ELNS1_3repE0EEENS1_30default_config_static_selectorELNS0_4arch9wavefront6targetE1EEEvT1_,"axG",@progbits,_ZN7rocprim17ROCPRIM_400000_NS6detail17trampoline_kernelINS0_14default_configENS1_20scan_config_selectorIiEEZZNS1_9scan_implILNS1_25lookback_scan_determinismE0ELb0ELb0ES3_N6thrust23THRUST_200600_302600_NS6detail15normal_iteratorINS9_10device_ptrIiEEEENS9_16discard_iteratorINS9_11use_defaultEEEiNS9_4plusIvEEiEEDaPvRmT3_T4_T5_mT6_P12ihipStream_tbENKUlT_T0_E_clISt17integral_constantIbLb0EESX_EEDaSS_ST_EUlSS_E_NS1_11comp_targetILNS1_3genE5ELNS1_11target_archE942ELNS1_3gpuE9ELNS1_3repE0EEENS1_30default_config_static_selectorELNS0_4arch9wavefront6targetE1EEEvT1_,comdat
.Lfunc_end5727:
	.size	_ZN7rocprim17ROCPRIM_400000_NS6detail17trampoline_kernelINS0_14default_configENS1_20scan_config_selectorIiEEZZNS1_9scan_implILNS1_25lookback_scan_determinismE0ELb0ELb0ES3_N6thrust23THRUST_200600_302600_NS6detail15normal_iteratorINS9_10device_ptrIiEEEENS9_16discard_iteratorINS9_11use_defaultEEEiNS9_4plusIvEEiEEDaPvRmT3_T4_T5_mT6_P12ihipStream_tbENKUlT_T0_E_clISt17integral_constantIbLb0EESX_EEDaSS_ST_EUlSS_E_NS1_11comp_targetILNS1_3genE5ELNS1_11target_archE942ELNS1_3gpuE9ELNS1_3repE0EEENS1_30default_config_static_selectorELNS0_4arch9wavefront6targetE1EEEvT1_, .Lfunc_end5727-_ZN7rocprim17ROCPRIM_400000_NS6detail17trampoline_kernelINS0_14default_configENS1_20scan_config_selectorIiEEZZNS1_9scan_implILNS1_25lookback_scan_determinismE0ELb0ELb0ES3_N6thrust23THRUST_200600_302600_NS6detail15normal_iteratorINS9_10device_ptrIiEEEENS9_16discard_iteratorINS9_11use_defaultEEEiNS9_4plusIvEEiEEDaPvRmT3_T4_T5_mT6_P12ihipStream_tbENKUlT_T0_E_clISt17integral_constantIbLb0EESX_EEDaSS_ST_EUlSS_E_NS1_11comp_targetILNS1_3genE5ELNS1_11target_archE942ELNS1_3gpuE9ELNS1_3repE0EEENS1_30default_config_static_selectorELNS0_4arch9wavefront6targetE1EEEvT1_
                                        ; -- End function
	.section	.AMDGPU.csdata,"",@progbits
; Kernel info:
; codeLenInByte = 0
; NumSgprs: 4
; NumVgprs: 0
; NumAgprs: 0
; TotalNumVgprs: 0
; ScratchSize: 0
; MemoryBound: 0
; FloatMode: 240
; IeeeMode: 1
; LDSByteSize: 0 bytes/workgroup (compile time only)
; SGPRBlocks: 0
; VGPRBlocks: 0
; NumSGPRsForWavesPerEU: 4
; NumVGPRsForWavesPerEU: 1
; AccumOffset: 4
; Occupancy: 8
; WaveLimiterHint : 0
; COMPUTE_PGM_RSRC2:SCRATCH_EN: 0
; COMPUTE_PGM_RSRC2:USER_SGPR: 6
; COMPUTE_PGM_RSRC2:TRAP_HANDLER: 0
; COMPUTE_PGM_RSRC2:TGID_X_EN: 1
; COMPUTE_PGM_RSRC2:TGID_Y_EN: 0
; COMPUTE_PGM_RSRC2:TGID_Z_EN: 0
; COMPUTE_PGM_RSRC2:TIDIG_COMP_CNT: 0
; COMPUTE_PGM_RSRC3_GFX90A:ACCUM_OFFSET: 0
; COMPUTE_PGM_RSRC3_GFX90A:TG_SPLIT: 0
	.section	.text._ZN7rocprim17ROCPRIM_400000_NS6detail17trampoline_kernelINS0_14default_configENS1_20scan_config_selectorIiEEZZNS1_9scan_implILNS1_25lookback_scan_determinismE0ELb0ELb0ES3_N6thrust23THRUST_200600_302600_NS6detail15normal_iteratorINS9_10device_ptrIiEEEENS9_16discard_iteratorINS9_11use_defaultEEEiNS9_4plusIvEEiEEDaPvRmT3_T4_T5_mT6_P12ihipStream_tbENKUlT_T0_E_clISt17integral_constantIbLb0EESX_EEDaSS_ST_EUlSS_E_NS1_11comp_targetILNS1_3genE4ELNS1_11target_archE910ELNS1_3gpuE8ELNS1_3repE0EEENS1_30default_config_static_selectorELNS0_4arch9wavefront6targetE1EEEvT1_,"axG",@progbits,_ZN7rocprim17ROCPRIM_400000_NS6detail17trampoline_kernelINS0_14default_configENS1_20scan_config_selectorIiEEZZNS1_9scan_implILNS1_25lookback_scan_determinismE0ELb0ELb0ES3_N6thrust23THRUST_200600_302600_NS6detail15normal_iteratorINS9_10device_ptrIiEEEENS9_16discard_iteratorINS9_11use_defaultEEEiNS9_4plusIvEEiEEDaPvRmT3_T4_T5_mT6_P12ihipStream_tbENKUlT_T0_E_clISt17integral_constantIbLb0EESX_EEDaSS_ST_EUlSS_E_NS1_11comp_targetILNS1_3genE4ELNS1_11target_archE910ELNS1_3gpuE8ELNS1_3repE0EEENS1_30default_config_static_selectorELNS0_4arch9wavefront6targetE1EEEvT1_,comdat
	.protected	_ZN7rocprim17ROCPRIM_400000_NS6detail17trampoline_kernelINS0_14default_configENS1_20scan_config_selectorIiEEZZNS1_9scan_implILNS1_25lookback_scan_determinismE0ELb0ELb0ES3_N6thrust23THRUST_200600_302600_NS6detail15normal_iteratorINS9_10device_ptrIiEEEENS9_16discard_iteratorINS9_11use_defaultEEEiNS9_4plusIvEEiEEDaPvRmT3_T4_T5_mT6_P12ihipStream_tbENKUlT_T0_E_clISt17integral_constantIbLb0EESX_EEDaSS_ST_EUlSS_E_NS1_11comp_targetILNS1_3genE4ELNS1_11target_archE910ELNS1_3gpuE8ELNS1_3repE0EEENS1_30default_config_static_selectorELNS0_4arch9wavefront6targetE1EEEvT1_ ; -- Begin function _ZN7rocprim17ROCPRIM_400000_NS6detail17trampoline_kernelINS0_14default_configENS1_20scan_config_selectorIiEEZZNS1_9scan_implILNS1_25lookback_scan_determinismE0ELb0ELb0ES3_N6thrust23THRUST_200600_302600_NS6detail15normal_iteratorINS9_10device_ptrIiEEEENS9_16discard_iteratorINS9_11use_defaultEEEiNS9_4plusIvEEiEEDaPvRmT3_T4_T5_mT6_P12ihipStream_tbENKUlT_T0_E_clISt17integral_constantIbLb0EESX_EEDaSS_ST_EUlSS_E_NS1_11comp_targetILNS1_3genE4ELNS1_11target_archE910ELNS1_3gpuE8ELNS1_3repE0EEENS1_30default_config_static_selectorELNS0_4arch9wavefront6targetE1EEEvT1_
	.globl	_ZN7rocprim17ROCPRIM_400000_NS6detail17trampoline_kernelINS0_14default_configENS1_20scan_config_selectorIiEEZZNS1_9scan_implILNS1_25lookback_scan_determinismE0ELb0ELb0ES3_N6thrust23THRUST_200600_302600_NS6detail15normal_iteratorINS9_10device_ptrIiEEEENS9_16discard_iteratorINS9_11use_defaultEEEiNS9_4plusIvEEiEEDaPvRmT3_T4_T5_mT6_P12ihipStream_tbENKUlT_T0_E_clISt17integral_constantIbLb0EESX_EEDaSS_ST_EUlSS_E_NS1_11comp_targetILNS1_3genE4ELNS1_11target_archE910ELNS1_3gpuE8ELNS1_3repE0EEENS1_30default_config_static_selectorELNS0_4arch9wavefront6targetE1EEEvT1_
	.p2align	8
	.type	_ZN7rocprim17ROCPRIM_400000_NS6detail17trampoline_kernelINS0_14default_configENS1_20scan_config_selectorIiEEZZNS1_9scan_implILNS1_25lookback_scan_determinismE0ELb0ELb0ES3_N6thrust23THRUST_200600_302600_NS6detail15normal_iteratorINS9_10device_ptrIiEEEENS9_16discard_iteratorINS9_11use_defaultEEEiNS9_4plusIvEEiEEDaPvRmT3_T4_T5_mT6_P12ihipStream_tbENKUlT_T0_E_clISt17integral_constantIbLb0EESX_EEDaSS_ST_EUlSS_E_NS1_11comp_targetILNS1_3genE4ELNS1_11target_archE910ELNS1_3gpuE8ELNS1_3repE0EEENS1_30default_config_static_selectorELNS0_4arch9wavefront6targetE1EEEvT1_,@function
_ZN7rocprim17ROCPRIM_400000_NS6detail17trampoline_kernelINS0_14default_configENS1_20scan_config_selectorIiEEZZNS1_9scan_implILNS1_25lookback_scan_determinismE0ELb0ELb0ES3_N6thrust23THRUST_200600_302600_NS6detail15normal_iteratorINS9_10device_ptrIiEEEENS9_16discard_iteratorINS9_11use_defaultEEEiNS9_4plusIvEEiEEDaPvRmT3_T4_T5_mT6_P12ihipStream_tbENKUlT_T0_E_clISt17integral_constantIbLb0EESX_EEDaSS_ST_EUlSS_E_NS1_11comp_targetILNS1_3genE4ELNS1_11target_archE910ELNS1_3gpuE8ELNS1_3repE0EEENS1_30default_config_static_selectorELNS0_4arch9wavefront6targetE1EEEvT1_: ; @_ZN7rocprim17ROCPRIM_400000_NS6detail17trampoline_kernelINS0_14default_configENS1_20scan_config_selectorIiEEZZNS1_9scan_implILNS1_25lookback_scan_determinismE0ELb0ELb0ES3_N6thrust23THRUST_200600_302600_NS6detail15normal_iteratorINS9_10device_ptrIiEEEENS9_16discard_iteratorINS9_11use_defaultEEEiNS9_4plusIvEEiEEDaPvRmT3_T4_T5_mT6_P12ihipStream_tbENKUlT_T0_E_clISt17integral_constantIbLb0EESX_EEDaSS_ST_EUlSS_E_NS1_11comp_targetILNS1_3genE4ELNS1_11target_archE910ELNS1_3gpuE8ELNS1_3repE0EEENS1_30default_config_static_selectorELNS0_4arch9wavefront6targetE1EEEvT1_
; %bb.0:
	s_load_dwordx4 s[0:3], s[4:5], 0x0
	s_load_dwordx2 s[8:9], s[4:5], 0x20
	s_load_dword s7, s[4:5], 0x38
	s_waitcnt lgkmcnt(0)
	s_lshl_b64 s[2:3], s[2:3], 2
	s_add_u32 s2, s0, s2
	s_addc_u32 s3, s1, s3
	s_add_i32 s7, s7, -1
	s_mul_i32 s10, s7, 0x500
	s_sub_u32 s18, s8, s10
	s_subb_u32 s19, s9, 0
	s_mul_i32 s0, s6, 0x500
	s_mov_b32 s1, 0
	s_cmp_lg_u32 s6, s7
	s_cselect_b64 s[12:13], -1, 0
	s_lshl_b64 s[0:1], s[0:1], 2
	s_add_u32 s0, s2, s0
	s_addc_u32 s1, s3, s1
	s_mov_b64 s[2:3], -1
	s_and_b64 vcc, exec, s[12:13]
	s_cbranch_vccz .LBB5728_2
; %bb.1:
	v_lshlrev_b32_e32 v1, 2, v0
	v_mov_b32_e32 v3, s1
	v_add_co_u32_e32 v2, vcc, s0, v1
	v_addc_co_u32_e32 v3, vcc, 0, v3, vcc
	flat_load_dword v4, v[2:3]
	flat_load_dword v5, v[2:3] offset:512
	flat_load_dword v6, v[2:3] offset:1024
	;; [unrolled: 1-line block ×7, first 2 shown]
	v_add_co_u32_e32 v2, vcc, 0x1000, v2
	v_addc_co_u32_e32 v3, vcc, 0, v3, vcc
	flat_load_dword v12, v[2:3]
	flat_load_dword v13, v[2:3] offset:512
	s_mov_b64 s[2:3], 0
	s_waitcnt vmcnt(0) lgkmcnt(0)
	ds_write2st64_b32 v1, v4, v5 offset1:2
	ds_write2st64_b32 v1, v6, v7 offset0:4 offset1:6
	ds_write2st64_b32 v1, v8, v9 offset0:8 offset1:10
	;; [unrolled: 1-line block ×4, first 2 shown]
	s_waitcnt lgkmcnt(0)
	s_barrier
.LBB5728_2:
	s_load_dwordx2 s[14:15], s[4:5], 0x30
	s_andn2_b64 vcc, exec, s[2:3]
	s_cbranch_vccnz .LBB5728_24
; %bb.3:
	v_pk_mov_b32 v[2:3], s[0:1], s[0:1] op_sel:[0,1]
	flat_load_dword v1, v[2:3]
	v_cmp_gt_u32_e32 vcc, s18, v0
	s_waitcnt vmcnt(0) lgkmcnt(0)
	v_mov_b32_e32 v2, v1
	v_mov_b32_e32 v3, v1
	;; [unrolled: 1-line block ×9, first 2 shown]
	s_and_saveexec_b64 s[2:3], vcc
	s_cbranch_execz .LBB5728_5
; %bb.4:
	v_lshlrev_b32_e32 v10, 2, v0
	v_mov_b32_e32 v11, s1
	v_add_co_u32_e32 v10, vcc, s0, v10
	v_addc_co_u32_e32 v11, vcc, 0, v11, vcc
	flat_load_dword v10, v[10:11]
.LBB5728_5:
	s_or_b64 exec, exec, s[2:3]
	v_or_b32_e32 v11, 0x80, v0
	v_cmp_gt_u32_e32 vcc, s18, v11
	s_and_saveexec_b64 s[2:3], vcc
	s_cbranch_execz .LBB5728_7
; %bb.6:
	v_lshlrev_b32_e32 v1, 2, v0
	v_mov_b32_e32 v11, s1
	v_add_co_u32_e32 v12, vcc, s0, v1
	v_addc_co_u32_e32 v13, vcc, 0, v11, vcc
	flat_load_dword v1, v[12:13] offset:512
.LBB5728_7:
	s_or_b64 exec, exec, s[2:3]
	v_or_b32_e32 v11, 0x100, v0
	v_cmp_gt_u32_e32 vcc, s18, v11
	s_and_saveexec_b64 s[2:3], vcc
	s_cbranch_execz .LBB5728_9
; %bb.8:
	v_lshlrev_b32_e32 v2, 2, v0
	v_mov_b32_e32 v11, s1
	v_add_co_u32_e32 v12, vcc, s0, v2
	v_addc_co_u32_e32 v13, vcc, 0, v11, vcc
	flat_load_dword v2, v[12:13] offset:1024
.LBB5728_9:
	;; [unrolled: 12-line block ×7, first 2 shown]
	s_or_b64 exec, exec, s[2:3]
	v_or_b32_e32 v11, 0x400, v0
	v_cmp_gt_u32_e32 vcc, s18, v11
	s_and_saveexec_b64 s[2:3], vcc
	s_cbranch_execz .LBB5728_21
; %bb.20:
	v_lshlrev_b32_e32 v8, 2, v11
	v_mov_b32_e32 v11, s1
	v_add_co_u32_e32 v12, vcc, s0, v8
	v_addc_co_u32_e32 v13, vcc, 0, v11, vcc
	flat_load_dword v8, v[12:13]
.LBB5728_21:
	s_or_b64 exec, exec, s[2:3]
	v_or_b32_e32 v11, 0x480, v0
	v_cmp_gt_u32_e32 vcc, s18, v11
	s_and_saveexec_b64 s[2:3], vcc
	s_cbranch_execz .LBB5728_23
; %bb.22:
	v_lshlrev_b32_e32 v9, 2, v11
	v_mov_b32_e32 v11, s1
	v_add_co_u32_e32 v12, vcc, s0, v9
	v_addc_co_u32_e32 v13, vcc, 0, v11, vcc
	flat_load_dword v9, v[12:13]
.LBB5728_23:
	s_or_b64 exec, exec, s[2:3]
	v_lshlrev_b32_e32 v11, 2, v0
	s_waitcnt vmcnt(0) lgkmcnt(0)
	ds_write2st64_b32 v11, v10, v1 offset1:2
	ds_write2st64_b32 v11, v2, v3 offset0:4 offset1:6
	ds_write2st64_b32 v11, v4, v5 offset0:8 offset1:10
	ds_write2st64_b32 v11, v6, v7 offset0:12 offset1:14
	ds_write2st64_b32 v11, v8, v9 offset0:16 offset1:18
	s_waitcnt lgkmcnt(0)
	s_barrier
.LBB5728_24:
	v_mul_u32_u24_e32 v22, 10, v0
	v_lshlrev_b32_e32 v1, 2, v22
	s_waitcnt lgkmcnt(0)
	ds_read2_b64 v[2:5], v1 offset1:1
	ds_read2_b64 v[16:19], v1 offset0:2 offset1:3
	ds_read_b64 v[20:21], v1 offset:32
	s_cmp_lg_u32 s6, 0
	v_lshrrev_b32_e32 v23, 5, v0
	v_cmp_gt_u32_e32 vcc, 64, v0
	s_waitcnt lgkmcnt(0)
	s_barrier
	s_cbranch_scc0 .LBB5728_49
; %bb.25:
	v_add_u32_e32 v6, v3, v2
	v_add3_u32 v6, v6, v4, v5
	v_add3_u32 v6, v6, v16, v17
	v_add3_u32 v6, v6, v18, v19
	v_add3_u32 v6, v6, v20, v21
	v_add_lshl_u32 v7, v23, v0, 2
	ds_write_b32 v7, v6
	s_waitcnt lgkmcnt(0)
	s_barrier
	s_and_saveexec_b64 s[2:3], vcc
	s_cbranch_execz .LBB5728_27
; %bb.26:
	v_lshlrev_b32_e32 v7, 1, v0
	v_lshrrev_b32_e32 v8, 4, v0
	v_add_lshl_u32 v7, v8, v7, 2
	ds_read2_b32 v[8:9], v7 offset1:1
	v_mbcnt_lo_u32_b32 v10, -1, 0
	v_mbcnt_hi_u32_b32 v10, -1, v10
	v_and_b32_e32 v11, 15, v10
	v_cmp_ne_u32_e64 s[0:1], 0, v11
	s_waitcnt lgkmcnt(0)
	v_add_u32_e32 v9, v9, v8
	; wave barrier
	s_nop 1
	v_mov_b32_dpp v12, v9 row_shr:1 row_mask:0xf bank_mask:0xf
	v_cndmask_b32_e64 v12, 0, v12, s[0:1]
	v_add_u32_e32 v9, v12, v9
	v_cmp_lt_u32_e64 s[0:1], 1, v11
	s_nop 0
	v_mov_b32_dpp v12, v9 row_shr:2 row_mask:0xf bank_mask:0xf
	v_cndmask_b32_e64 v12, 0, v12, s[0:1]
	v_add_u32_e32 v9, v9, v12
	v_cmp_lt_u32_e64 s[0:1], 3, v11
	;; [unrolled: 5-line block ×3, first 2 shown]
	s_nop 0
	v_mov_b32_dpp v12, v9 row_shr:8 row_mask:0xf bank_mask:0xf
	v_cndmask_b32_e64 v11, 0, v12, s[0:1]
	v_add_u32_e32 v9, v9, v11
	v_bfe_i32 v12, v10, 4, 1
	v_cmp_lt_u32_e64 s[0:1], 31, v10
	v_mov_b32_dpp v11, v9 row_bcast:15 row_mask:0xf bank_mask:0xf
	v_and_b32_e32 v11, v12, v11
	v_add_u32_e32 v9, v9, v11
	v_and_b32_e32 v12, 64, v10
	s_nop 0
	v_mov_b32_dpp v11, v9 row_bcast:31 row_mask:0xf bank_mask:0xf
	v_cndmask_b32_e64 v11, 0, v11, s[0:1]
	v_add_u32_e32 v9, v9, v11
	v_add_u32_e32 v11, -1, v10
	v_cmp_lt_i32_e64 s[0:1], v11, v12
	v_cndmask_b32_e64 v10, v11, v10, s[0:1]
	v_lshlrev_b32_e32 v10, 2, v10
	ds_bpermute_b32 v9, v10, v9
	v_cmp_eq_u32_e64 s[0:1], 0, v0
	s_waitcnt lgkmcnt(0)
	v_add_u32_e32 v8, v9, v8
	v_cndmask_b32_e64 v6, v8, v6, s[0:1]
	ds_write_b32 v7, v6
	; wave barrier
	ds_read_b32 v8, v7 offset:4
	s_waitcnt lgkmcnt(0)
	v_add_u32_e32 v6, v8, v6
	ds_write_b32 v7, v6 offset:4
.LBB5728_27:
	s_or_b64 exec, exec, s[2:3]
	v_cmp_eq_u32_e64 s[0:1], 0, v0
	v_cmp_ne_u32_e64 s[2:3], 0, v0
	v_mov_b32_e32 v24, 0
	s_waitcnt lgkmcnt(0)
	s_barrier
	s_and_saveexec_b64 s[8:9], s[2:3]
	s_cbranch_execz .LBB5728_29
; %bb.28:
	v_add_u32_e32 v6, -1, v0
	v_lshrrev_b32_e32 v7, 5, v6
	v_add_lshl_u32 v6, v7, v6, 2
	ds_read_b32 v24, v6
.LBB5728_29:
	s_or_b64 exec, exec, s[8:9]
	s_and_saveexec_b64 s[8:9], vcc
	s_cbranch_execz .LBB5728_48
; %bb.30:
	v_mov_b32_e32 v13, 0
	ds_read_b32 v6, v13 offset:520
	v_mbcnt_lo_u32_b32 v7, -1, 0
	v_mbcnt_hi_u32_b32 v9, -1, v7
	s_mov_b32 s17, 0
	v_cmp_eq_u32_e64 s[2:3], 0, v9
	s_and_saveexec_b64 s[10:11], s[2:3]
	s_cbranch_execz .LBB5728_32
; %bb.31:
	s_add_i32 s16, s6, 64
	s_lshl_b64 s[16:17], s[16:17], 3
	s_add_u32 s16, s14, s16
	v_mov_b32_e32 v7, 1
	s_addc_u32 s17, s15, s17
	s_waitcnt lgkmcnt(0)
	global_store_dwordx2 v13, v[6:7], s[16:17]
.LBB5728_32:
	s_or_b64 exec, exec, s[10:11]
	v_xad_u32 v8, v9, -1, s6
	v_add_u32_e32 v12, 64, v8
	v_lshlrev_b64 v[10:11], 3, v[12:13]
	v_mov_b32_e32 v7, s15
	v_add_co_u32_e32 v14, vcc, s14, v10
	v_addc_co_u32_e32 v15, vcc, v7, v11, vcc
	global_load_dwordx2 v[10:11], v[14:15], off glc
	s_waitcnt vmcnt(0)
	v_cmp_eq_u16_sdwa s[16:17], v11, v13 src0_sel:BYTE_0 src1_sel:DWORD
	s_and_saveexec_b64 s[10:11], s[16:17]
	s_cbranch_execz .LBB5728_36
; %bb.33:
	s_mov_b64 s[16:17], 0
	v_mov_b32_e32 v7, 0
.LBB5728_34:                            ; =>This Inner Loop Header: Depth=1
	global_load_dwordx2 v[10:11], v[14:15], off glc
	s_waitcnt vmcnt(0)
	v_cmp_ne_u16_sdwa s[20:21], v11, v7 src0_sel:BYTE_0 src1_sel:DWORD
	s_or_b64 s[16:17], s[20:21], s[16:17]
	s_andn2_b64 exec, exec, s[16:17]
	s_cbranch_execnz .LBB5728_34
; %bb.35:
	s_or_b64 exec, exec, s[16:17]
.LBB5728_36:
	s_or_b64 exec, exec, s[10:11]
	v_and_b32_e32 v25, 63, v9
	v_mov_b32_e32 v7, 2
	v_cmp_ne_u32_e32 vcc, 63, v25
	v_cmp_eq_u16_sdwa s[10:11], v11, v7 src0_sel:BYTE_0 src1_sel:DWORD
	v_lshlrev_b64 v[12:13], v9, -1
	v_addc_co_u32_e32 v26, vcc, 0, v9, vcc
	v_and_b32_e32 v14, s11, v13
	v_lshlrev_b32_e32 v26, 2, v26
	v_or_b32_e32 v14, 0x80000000, v14
	ds_bpermute_b32 v27, v26, v10
	v_and_b32_e32 v15, s10, v12
	v_ffbl_b32_e32 v14, v14
	v_add_u32_e32 v14, 32, v14
	v_ffbl_b32_e32 v15, v15
	v_min_u32_e32 v14, v15, v14
	v_cmp_lt_u32_e32 vcc, v25, v14
	s_waitcnt lgkmcnt(0)
	v_cndmask_b32_e32 v15, 0, v27, vcc
	v_cmp_gt_u32_e32 vcc, 62, v25
	v_add_u32_e32 v10, v15, v10
	v_cndmask_b32_e64 v15, 0, 1, vcc
	v_lshlrev_b32_e32 v15, 1, v15
	v_add_lshl_u32 v27, v15, v9, 2
	ds_bpermute_b32 v15, v27, v10
	v_add_u32_e32 v28, 2, v25
	v_cmp_le_u32_e32 vcc, v28, v14
	v_add_u32_e32 v30, 4, v25
	v_add_u32_e32 v32, 8, v25
	s_waitcnt lgkmcnt(0)
	v_cndmask_b32_e32 v15, 0, v15, vcc
	v_cmp_gt_u32_e32 vcc, 60, v25
	v_add_u32_e32 v10, v10, v15
	v_cndmask_b32_e64 v15, 0, 1, vcc
	v_lshlrev_b32_e32 v15, 2, v15
	v_add_lshl_u32 v29, v15, v9, 2
	ds_bpermute_b32 v15, v29, v10
	v_cmp_le_u32_e32 vcc, v30, v14
	v_add_u32_e32 v35, 16, v25
	v_add_u32_e32 v37, 32, v25
	s_waitcnt lgkmcnt(0)
	v_cndmask_b32_e32 v15, 0, v15, vcc
	v_cmp_gt_u32_e32 vcc, 56, v25
	v_add_u32_e32 v10, v10, v15
	v_cndmask_b32_e64 v15, 0, 1, vcc
	v_lshlrev_b32_e32 v15, 3, v15
	v_add_lshl_u32 v31, v15, v9, 2
	ds_bpermute_b32 v15, v31, v10
	v_cmp_le_u32_e32 vcc, v32, v14
	s_waitcnt lgkmcnt(0)
	v_cndmask_b32_e32 v15, 0, v15, vcc
	v_cmp_gt_u32_e32 vcc, 48, v25
	v_add_u32_e32 v10, v10, v15
	v_cndmask_b32_e64 v15, 0, 1, vcc
	v_lshlrev_b32_e32 v15, 4, v15
	v_add_lshl_u32 v34, v15, v9, 2
	ds_bpermute_b32 v15, v34, v10
	v_cmp_le_u32_e32 vcc, v35, v14
	;; [unrolled: 9-line block ×3, first 2 shown]
	s_waitcnt lgkmcnt(0)
	v_cndmask_b32_e32 v9, 0, v9, vcc
	v_add_u32_e32 v10, v10, v9
	v_mov_b32_e32 v9, 0
	s_branch .LBB5728_38
.LBB5728_37:                            ;   in Loop: Header=BB5728_38 Depth=1
	s_or_b64 exec, exec, s[10:11]
	v_cmp_eq_u16_sdwa s[10:11], v11, v7 src0_sel:BYTE_0 src1_sel:DWORD
	v_and_b32_e32 v14, s11, v13
	v_or_b32_e32 v14, 0x80000000, v14
	ds_bpermute_b32 v38, v26, v10
	v_and_b32_e32 v15, s10, v12
	v_ffbl_b32_e32 v14, v14
	v_add_u32_e32 v14, 32, v14
	v_ffbl_b32_e32 v15, v15
	v_min_u32_e32 v14, v15, v14
	v_cmp_lt_u32_e32 vcc, v25, v14
	s_waitcnt lgkmcnt(0)
	v_cndmask_b32_e32 v15, 0, v38, vcc
	v_add_u32_e32 v10, v15, v10
	ds_bpermute_b32 v15, v27, v10
	v_cmp_le_u32_e32 vcc, v28, v14
	v_subrev_u32_e32 v8, 64, v8
	s_waitcnt lgkmcnt(0)
	v_cndmask_b32_e32 v15, 0, v15, vcc
	v_add_u32_e32 v10, v10, v15
	ds_bpermute_b32 v15, v29, v10
	v_cmp_le_u32_e32 vcc, v30, v14
	s_waitcnt lgkmcnt(0)
	v_cndmask_b32_e32 v15, 0, v15, vcc
	v_add_u32_e32 v10, v10, v15
	ds_bpermute_b32 v15, v31, v10
	v_cmp_le_u32_e32 vcc, v32, v14
	;; [unrolled: 5-line block ×4, first 2 shown]
	s_waitcnt lgkmcnt(0)
	v_cndmask_b32_e32 v14, 0, v15, vcc
	v_add3_u32 v10, v14, v33, v10
.LBB5728_38:                            ; =>This Loop Header: Depth=1
                                        ;     Child Loop BB5728_41 Depth 2
	v_cmp_ne_u16_sdwa s[10:11], v11, v7 src0_sel:BYTE_0 src1_sel:DWORD
	v_cndmask_b32_e64 v11, 0, 1, s[10:11]
	;;#ASMSTART
	;;#ASMEND
	v_cmp_ne_u32_e32 vcc, 0, v11
	s_cmp_lg_u64 vcc, exec
	v_mov_b32_e32 v33, v10
	s_cbranch_scc1 .LBB5728_43
; %bb.39:                               ;   in Loop: Header=BB5728_38 Depth=1
	v_lshlrev_b64 v[10:11], 3, v[8:9]
	v_mov_b32_e32 v15, s15
	v_add_co_u32_e32 v14, vcc, s14, v10
	v_addc_co_u32_e32 v15, vcc, v15, v11, vcc
	global_load_dwordx2 v[10:11], v[14:15], off glc
	s_waitcnt vmcnt(0)
	v_cmp_eq_u16_sdwa s[16:17], v11, v9 src0_sel:BYTE_0 src1_sel:DWORD
	s_and_saveexec_b64 s[10:11], s[16:17]
	s_cbranch_execz .LBB5728_37
; %bb.40:                               ;   in Loop: Header=BB5728_38 Depth=1
	s_mov_b64 s[16:17], 0
.LBB5728_41:                            ;   Parent Loop BB5728_38 Depth=1
                                        ; =>  This Inner Loop Header: Depth=2
	global_load_dwordx2 v[10:11], v[14:15], off glc
	s_waitcnt vmcnt(0)
	v_cmp_ne_u16_sdwa s[20:21], v11, v9 src0_sel:BYTE_0 src1_sel:DWORD
	s_or_b64 s[16:17], s[20:21], s[16:17]
	s_andn2_b64 exec, exec, s[16:17]
	s_cbranch_execnz .LBB5728_41
; %bb.42:                               ;   in Loop: Header=BB5728_38 Depth=1
	s_or_b64 exec, exec, s[16:17]
	s_branch .LBB5728_37
.LBB5728_43:                            ;   in Loop: Header=BB5728_38 Depth=1
                                        ; implicit-def: $vgpr10
                                        ; implicit-def: $vgpr11
	s_cbranch_execz .LBB5728_38
; %bb.44:
	s_and_saveexec_b64 s[10:11], s[2:3]
	s_cbranch_execz .LBB5728_46
; %bb.45:
	s_add_i32 s2, s6, 64
	s_mov_b32 s3, 0
	s_lshl_b64 s[2:3], s[2:3], 3
	s_add_u32 s2, s14, s2
	v_add_u32_e32 v6, v33, v6
	v_mov_b32_e32 v7, 2
	s_addc_u32 s3, s15, s3
	v_mov_b32_e32 v8, 0
	global_store_dwordx2 v8, v[6:7], s[2:3]
.LBB5728_46:
	s_or_b64 exec, exec, s[10:11]
	s_and_b64 exec, exec, s[0:1]
	s_cbranch_execz .LBB5728_48
; %bb.47:
	v_mov_b32_e32 v6, 0
	ds_write_b32 v6, v33
.LBB5728_48:
	s_or_b64 exec, exec, s[8:9]
	v_mov_b32_e32 v6, 0
	s_waitcnt lgkmcnt(0)
	s_barrier
	ds_read_b32 v6, v6
	s_waitcnt lgkmcnt(0)
	v_add3_u32 v6, v24, v2, v6
	v_add_u32_e32 v7, v6, v3
	v_add_u32_e32 v8, v7, v4
	;; [unrolled: 1-line block ×9, first 2 shown]
	s_load_dwordx8 s[4:11], s[4:5], 0x40
	s_branch .LBB5728_61
.LBB5728_49:
                                        ; implicit-def: $vgpr6_vgpr7_vgpr8_vgpr9_vgpr10_vgpr11_vgpr12_vgpr13_vgpr14_vgpr15
	s_load_dwordx8 s[4:11], s[4:5], 0x40
	s_cbranch_execz .LBB5728_61
; %bb.50:
	s_waitcnt lgkmcnt(0)
	s_cmp_lg_u64 s[8:9], 0
	s_cselect_b64 s[2:3], -1, 0
	v_cmp_eq_u32_e64 s[0:1], 0, v0
	v_cmp_ne_u32_e32 vcc, 0, v0
	s_and_b64 s[8:9], s[0:1], s[2:3]
	v_mov_b32_e32 v12, v3
	v_mov_b32_e32 v13, v4
	;; [unrolled: 1-line block ×3, first 2 shown]
	s_and_saveexec_b64 s[2:3], s[8:9]
	s_cbranch_execz .LBB5728_52
; %bb.51:
	v_mov_b32_e32 v6, 0
	global_load_dword v6, v6, s[4:5]
	v_mov_b32_e32 v12, v3
	v_mov_b32_e32 v13, v4
	;; [unrolled: 1-line block ×3, first 2 shown]
	s_waitcnt vmcnt(0)
	v_add_u32_e32 v2, v6, v2
.LBB5728_52:
	s_or_b64 exec, exec, s[2:3]
	v_add_u32_e32 v3, v12, v2
	v_add_u32_e32 v4, v3, v13
	;; [unrolled: 1-line block ×9, first 2 shown]
	v_add_lshl_u32 v15, v23, v0, 2
	v_cmp_gt_u32_e64 s[2:3], 64, v0
	ds_write_b32 v15, v11
	s_waitcnt lgkmcnt(0)
	s_barrier
	s_and_saveexec_b64 s[4:5], s[2:3]
	s_cbranch_execz .LBB5728_54
; %bb.53:
	v_lshlrev_b32_e32 v15, 1, v0
	v_lshrrev_b32_e32 v23, 4, v0
	v_add_lshl_u32 v15, v23, v15, 2
	ds_read2_b32 v[24:25], v15 offset1:1
	v_mbcnt_lo_u32_b32 v23, -1, 0
	v_mbcnt_hi_u32_b32 v23, -1, v23
	v_and_b32_e32 v26, 15, v23
	v_cmp_ne_u32_e64 s[2:3], 0, v26
	s_waitcnt lgkmcnt(0)
	v_add_u32_e32 v25, v25, v24
	; wave barrier
	s_nop 1
	v_mov_b32_dpp v27, v25 row_shr:1 row_mask:0xf bank_mask:0xf
	v_cndmask_b32_e64 v27, 0, v27, s[2:3]
	v_add_u32_e32 v25, v27, v25
	v_cmp_lt_u32_e64 s[2:3], 1, v26
	s_nop 0
	v_mov_b32_dpp v27, v25 row_shr:2 row_mask:0xf bank_mask:0xf
	v_cndmask_b32_e64 v27, 0, v27, s[2:3]
	v_add_u32_e32 v25, v25, v27
	v_cmp_lt_u32_e64 s[2:3], 3, v26
	;; [unrolled: 5-line block ×3, first 2 shown]
	s_nop 0
	v_mov_b32_dpp v27, v25 row_shr:8 row_mask:0xf bank_mask:0xf
	v_cndmask_b32_e64 v26, 0, v27, s[2:3]
	v_add_u32_e32 v25, v25, v26
	v_bfe_i32 v27, v23, 4, 1
	v_cmp_lt_u32_e64 s[2:3], 31, v23
	v_mov_b32_dpp v26, v25 row_bcast:15 row_mask:0xf bank_mask:0xf
	v_and_b32_e32 v26, v27, v26
	v_add_u32_e32 v25, v25, v26
	v_and_b32_e32 v27, 64, v23
	s_nop 0
	v_mov_b32_dpp v26, v25 row_bcast:31 row_mask:0xf bank_mask:0xf
	v_cndmask_b32_e64 v26, 0, v26, s[2:3]
	v_add_u32_e32 v25, v25, v26
	v_add_u32_e32 v26, -1, v23
	v_cmp_lt_i32_e64 s[2:3], v26, v27
	v_cndmask_b32_e64 v23, v26, v23, s[2:3]
	v_lshlrev_b32_e32 v23, 2, v23
	ds_bpermute_b32 v23, v23, v25
	s_waitcnt lgkmcnt(0)
	v_add_u32_e32 v23, v23, v24
	v_cndmask_b32_e64 v23, v23, v11, s[0:1]
	ds_write_b32 v15, v23
	; wave barrier
	ds_read_b32 v24, v15 offset:4
	s_waitcnt lgkmcnt(0)
	v_add_u32_e32 v23, v24, v23
	ds_write_b32 v15, v23 offset:4
.LBB5728_54:
	s_or_b64 exec, exec, s[4:5]
	v_mov_b32_e32 v15, v11
	s_waitcnt lgkmcnt(0)
	s_barrier
	s_and_saveexec_b64 s[0:1], vcc
	s_cbranch_execz .LBB5728_56
; %bb.55:
	v_add_u32_e32 v15, -1, v0
	v_lshrrev_b32_e32 v23, 5, v15
	v_add_lshl_u32 v15, v23, v15, 2
	ds_read_b32 v15, v15
.LBB5728_56:
	s_or_b64 exec, exec, s[0:1]
	s_and_saveexec_b64 s[0:1], vcc
	s_cbranch_execz .LBB5728_58
; %bb.57:
	s_waitcnt lgkmcnt(0)
	v_add_u32_e32 v2, v15, v2
	v_add_u32_e32 v3, v2, v12
	;; [unrolled: 1-line block ×10, first 2 shown]
	;;#ASMSTART
	;;#ASMEND
.LBB5728_58:
	s_or_b64 exec, exec, s[0:1]
	s_movk_i32 s0, 0x7f
	v_cmp_eq_u32_e32 vcc, s0, v0
	s_and_saveexec_b64 s[0:1], vcc
	s_cbranch_execz .LBB5728_60
; %bb.59:
	v_mov_b32_e32 v14, 0
	v_mov_b32_e32 v13, 2
	;; [unrolled: 1-line block ×3, first 2 shown]
	global_store_dwordx2 v14, v[12:13], s[14:15] offset:512
.LBB5728_60:
	s_or_b64 exec, exec, s[0:1]
	s_waitcnt lgkmcnt(0)
	v_pk_mov_b32 v[14:15], v[10:11], v[10:11] op_sel:[0,1]
	v_pk_mov_b32 v[12:13], v[8:9], v[8:9] op_sel:[0,1]
	;; [unrolled: 1-line block ×5, first 2 shown]
.LBB5728_61:
	s_mov_b64 s[0:1], -1
	s_and_b64 vcc, exec, s[12:13]
	s_waitcnt lgkmcnt(0)
	s_barrier
	ds_write2_b64 v1, v[6:7], v[8:9] offset1:1
	ds_write2_b64 v1, v[10:11], v[12:13] offset0:2 offset1:3
	ds_write_b64 v1, v[14:15] offset:32
	s_waitcnt lgkmcnt(0)
	s_cbranch_vccz .LBB5728_63
; %bb.62:
	s_barrier
	s_mov_b64 s[0:1], 0
.LBB5728_63:
	s_andn2_b64 vcc, exec, s[0:1]
	s_cbranch_vccnz .LBB5728_99
; %bb.64:
	v_cmp_lt_u64_e64 s[0:1], s[10:11], 2
	s_and_b64 vcc, exec, s[0:1]
	s_barrier
	s_cbranch_vccnz .LBB5728_99
; %bb.65:
	s_add_u32 s0, s18, -1
	s_addc_u32 s1, s19, -1
	s_add_u32 s2, 0, 0x99986000
	s_addc_u32 s3, 0, 0x59
	s_add_i32 s3, s3, 0x19999940
	s_mul_hi_u32 s9, s2, -10
	s_sub_i32 s9, s9, s2
	s_mul_i32 s10, s3, -10
	s_mul_i32 s4, s2, -10
	s_add_i32 s9, s9, s10
	s_mul_hi_u32 s5, s3, s4
	s_mul_i32 s8, s3, s4
	s_mul_i32 s11, s2, s9
	s_mul_hi_u32 s4, s2, s4
	s_mul_hi_u32 s10, s2, s9
	s_add_u32 s4, s4, s11
	s_addc_u32 s10, 0, s10
	s_add_u32 s4, s4, s8
	s_mul_hi_u32 s11, s3, s9
	s_addc_u32 s4, s10, s5
	s_addc_u32 s5, s11, 0
	s_mul_i32 s8, s3, s9
	s_add_u32 s4, s4, s8
	v_mov_b32_e32 v2, s4
	s_addc_u32 s5, 0, s5
	v_add_co_u32_e32 v2, vcc, s2, v2
	s_cmp_lg_u64 vcc, 0
	s_addc_u32 s2, s3, s5
	v_readfirstlane_b32 s5, v2
	s_mul_i32 s4, s0, s2
	s_mul_hi_u32 s8, s0, s5
	s_mul_hi_u32 s3, s0, s2
	s_add_u32 s4, s8, s4
	s_addc_u32 s3, 0, s3
	s_mul_hi_u32 s9, s1, s5
	s_mul_i32 s5, s1, s5
	s_add_u32 s4, s4, s5
	s_mul_hi_u32 s8, s1, s2
	s_addc_u32 s3, s3, s9
	s_addc_u32 s4, s8, 0
	s_mul_i32 s2, s1, s2
	s_add_u32 s2, s3, s2
	s_addc_u32 s3, 0, s4
	s_add_u32 s4, s2, 1
	s_addc_u32 s5, s3, 0
	s_add_u32 s8, s2, 2
	s_mul_i32 s10, s3, 10
	s_mul_hi_u32 s11, s2, 10
	s_addc_u32 s9, s3, 0
	s_add_i32 s11, s11, s10
	s_mul_i32 s10, s2, 10
	v_mov_b32_e32 v2, s10
	v_sub_co_u32_e32 v2, vcc, s0, v2
	s_cmp_lg_u64 vcc, 0
	s_subb_u32 s10, s1, s11
	v_subrev_co_u32_e32 v3, vcc, 10, v2
	s_cmp_lg_u64 vcc, 0
	s_subb_u32 s11, s10, 0
	v_readfirstlane_b32 s12, v3
	s_cmp_gt_u32 s12, 9
	s_cselect_b32 s12, -1, 0
	s_cmp_eq_u32 s11, 0
	s_cselect_b32 s11, s12, -1
	s_cmp_lg_u32 s11, 0
	s_cselect_b32 s4, s8, s4
	v_readfirstlane_b32 s8, v2
	s_cselect_b32 s5, s9, s5
	s_cmp_gt_u32 s8, 9
	s_cselect_b32 s8, -1, 0
	s_cmp_eq_u32 s10, 0
	s_cselect_b32 s8, s8, -1
	s_cmp_lg_u32 s8, 0
	v_mov_b32_e32 v1, 0
	s_cselect_b32 s3, s5, s3
	s_cselect_b32 s2, s4, s2
	v_cmp_eq_u64_e32 vcc, s[2:3], v[0:1]
	s_and_saveexec_b64 s[2:3], vcc
	s_cbranch_execz .LBB5728_99
; %bb.66:
	v_lshlrev_b32_e32 v2, 2, v0
	v_mul_hi_u32_u24_e32 v1, 10, v0
	v_mov_b32_e32 v3, s1
	v_sub_co_u32_e32 v0, vcc, s0, v22
	v_subb_co_u32_e32 v1, vcc, v3, v1, vcc
	v_cmp_lt_i64_e32 vcc, 4, v[0:1]
	s_and_saveexec_b64 s[0:1], vcc
	s_xor_b64 s[0:1], exec, s[0:1]
	s_cbranch_execz .LBB5728_84
; %bb.67:
	v_cmp_lt_i64_e32 vcc, 6, v[0:1]
	s_and_saveexec_b64 s[2:3], vcc
	s_xor_b64 s[2:3], exec, s[2:3]
	s_cbranch_execz .LBB5728_77
; %bb.68:
	;; [unrolled: 5-line block ×4, first 2 shown]
	ds_read_b32 v0, v2 offset:4608
	v_mov_b32_e32 v1, 0
                                        ; implicit-def: $vgpr2
	s_waitcnt lgkmcnt(0)
	global_store_dword v1, v0, s[6:7]
.LBB5728_71:
	s_andn2_saveexec_b64 s[8:9], s[8:9]
	s_cbranch_execz .LBB5728_73
; %bb.72:
	ds_read_b32 v0, v2 offset:4096
	v_mov_b32_e32 v1, 0
	s_waitcnt lgkmcnt(0)
	global_store_dword v1, v0, s[6:7]
.LBB5728_73:
	s_or_b64 exec, exec, s[8:9]
                                        ; implicit-def: $vgpr2
.LBB5728_74:
	s_andn2_saveexec_b64 s[4:5], s[4:5]
	s_cbranch_execz .LBB5728_76
; %bb.75:
	ds_read_b32 v0, v2 offset:3584
	v_mov_b32_e32 v1, 0
	s_waitcnt lgkmcnt(0)
	global_store_dword v1, v0, s[6:7]
.LBB5728_76:
	s_or_b64 exec, exec, s[4:5]
                                        ; implicit-def: $vgpr2
                                        ; implicit-def: $vgpr0_vgpr1
.LBB5728_77:
	s_andn2_saveexec_b64 s[2:3], s[2:3]
	s_cbranch_execz .LBB5728_83
; %bb.78:
	v_cmp_lt_i64_e32 vcc, 5, v[0:1]
	s_and_saveexec_b64 s[4:5], vcc
	s_xor_b64 s[4:5], exec, s[4:5]
	s_cbranch_execz .LBB5728_80
; %bb.79:
	ds_read_b32 v0, v2 offset:3072
	v_mov_b32_e32 v1, 0
                                        ; implicit-def: $vgpr2
	s_waitcnt lgkmcnt(0)
	global_store_dword v1, v0, s[6:7]
.LBB5728_80:
	s_andn2_saveexec_b64 s[4:5], s[4:5]
	s_cbranch_execz .LBB5728_82
; %bb.81:
	ds_read_b32 v0, v2 offset:2560
	v_mov_b32_e32 v1, 0
	s_waitcnt lgkmcnt(0)
	global_store_dword v1, v0, s[6:7]
.LBB5728_82:
	s_or_b64 exec, exec, s[4:5]
.LBB5728_83:
	s_or_b64 exec, exec, s[2:3]
                                        ; implicit-def: $vgpr0_vgpr1
                                        ; implicit-def: $vgpr2
.LBB5728_84:
	s_andn2_saveexec_b64 s[0:1], s[0:1]
	s_cbranch_execz .LBB5728_99
; %bb.85:
	v_cmp_lt_i64_e32 vcc, 2, v[0:1]
	s_and_saveexec_b64 s[0:1], vcc
	s_xor_b64 s[0:1], exec, s[0:1]
	s_cbranch_execz .LBB5728_91
; %bb.86:
	v_cmp_lt_i64_e32 vcc, 3, v[0:1]
	s_and_saveexec_b64 s[2:3], vcc
	s_xor_b64 s[2:3], exec, s[2:3]
	s_cbranch_execz .LBB5728_88
; %bb.87:
	ds_read_b32 v0, v2 offset:2048
	v_mov_b32_e32 v1, 0
                                        ; implicit-def: $vgpr2
	s_waitcnt lgkmcnt(0)
	global_store_dword v1, v0, s[6:7]
.LBB5728_88:
	s_andn2_saveexec_b64 s[2:3], s[2:3]
	s_cbranch_execz .LBB5728_90
; %bb.89:
	ds_read_b32 v0, v2 offset:1536
	v_mov_b32_e32 v1, 0
	s_waitcnt lgkmcnt(0)
	global_store_dword v1, v0, s[6:7]
.LBB5728_90:
	s_or_b64 exec, exec, s[2:3]
                                        ; implicit-def: $vgpr0_vgpr1
                                        ; implicit-def: $vgpr2
.LBB5728_91:
	s_andn2_saveexec_b64 s[0:1], s[0:1]
	s_cbranch_execz .LBB5728_99
; %bb.92:
	v_cmp_lt_i64_e32 vcc, 1, v[0:1]
	s_and_saveexec_b64 s[0:1], vcc
	s_xor_b64 s[0:1], exec, s[0:1]
	s_cbranch_execz .LBB5728_94
; %bb.93:
	ds_read_b32 v0, v2 offset:1024
	v_mov_b32_e32 v1, 0
                                        ; implicit-def: $vgpr2
	s_waitcnt lgkmcnt(0)
	global_store_dword v1, v0, s[6:7]
                                        ; implicit-def: $vgpr0_vgpr1
.LBB5728_94:
	s_andn2_saveexec_b64 s[0:1], s[0:1]
	s_cbranch_execz .LBB5728_99
; %bb.95:
	v_cmp_ne_u64_e32 vcc, 1, v[0:1]
	s_and_saveexec_b64 s[0:1], vcc
	s_xor_b64 s[0:1], exec, s[0:1]
	s_cbranch_execz .LBB5728_97
; %bb.96:
	ds_read_b32 v0, v2
	v_mov_b32_e32 v1, 0
                                        ; implicit-def: $vgpr2
	s_waitcnt lgkmcnt(0)
	global_store_dword v1, v0, s[6:7]
.LBB5728_97:
	s_andn2_saveexec_b64 s[0:1], s[0:1]
	s_cbranch_execz .LBB5728_99
; %bb.98:
	ds_read_b32 v0, v2 offset:512
	v_mov_b32_e32 v1, 0
	s_waitcnt lgkmcnt(0)
	global_store_dword v1, v0, s[6:7]
.LBB5728_99:
	s_endpgm
	.section	.rodata,"a",@progbits
	.p2align	6, 0x0
	.amdhsa_kernel _ZN7rocprim17ROCPRIM_400000_NS6detail17trampoline_kernelINS0_14default_configENS1_20scan_config_selectorIiEEZZNS1_9scan_implILNS1_25lookback_scan_determinismE0ELb0ELb0ES3_N6thrust23THRUST_200600_302600_NS6detail15normal_iteratorINS9_10device_ptrIiEEEENS9_16discard_iteratorINS9_11use_defaultEEEiNS9_4plusIvEEiEEDaPvRmT3_T4_T5_mT6_P12ihipStream_tbENKUlT_T0_E_clISt17integral_constantIbLb0EESX_EEDaSS_ST_EUlSS_E_NS1_11comp_targetILNS1_3genE4ELNS1_11target_archE910ELNS1_3gpuE8ELNS1_3repE0EEENS1_30default_config_static_selectorELNS0_4arch9wavefront6targetE1EEEvT1_
		.amdhsa_group_segment_fixed_size 5120
		.amdhsa_private_segment_fixed_size 0
		.amdhsa_kernarg_size 104
		.amdhsa_user_sgpr_count 6
		.amdhsa_user_sgpr_private_segment_buffer 1
		.amdhsa_user_sgpr_dispatch_ptr 0
		.amdhsa_user_sgpr_queue_ptr 0
		.amdhsa_user_sgpr_kernarg_segment_ptr 1
		.amdhsa_user_sgpr_dispatch_id 0
		.amdhsa_user_sgpr_flat_scratch_init 0
		.amdhsa_user_sgpr_kernarg_preload_length 0
		.amdhsa_user_sgpr_kernarg_preload_offset 0
		.amdhsa_user_sgpr_private_segment_size 0
		.amdhsa_uses_dynamic_stack 0
		.amdhsa_system_sgpr_private_segment_wavefront_offset 0
		.amdhsa_system_sgpr_workgroup_id_x 1
		.amdhsa_system_sgpr_workgroup_id_y 0
		.amdhsa_system_sgpr_workgroup_id_z 0
		.amdhsa_system_sgpr_workgroup_info 0
		.amdhsa_system_vgpr_workitem_id 0
		.amdhsa_next_free_vgpr 39
		.amdhsa_next_free_sgpr 22
		.amdhsa_accum_offset 40
		.amdhsa_reserve_vcc 1
		.amdhsa_reserve_flat_scratch 0
		.amdhsa_float_round_mode_32 0
		.amdhsa_float_round_mode_16_64 0
		.amdhsa_float_denorm_mode_32 3
		.amdhsa_float_denorm_mode_16_64 3
		.amdhsa_dx10_clamp 1
		.amdhsa_ieee_mode 1
		.amdhsa_fp16_overflow 0
		.amdhsa_tg_split 0
		.amdhsa_exception_fp_ieee_invalid_op 0
		.amdhsa_exception_fp_denorm_src 0
		.amdhsa_exception_fp_ieee_div_zero 0
		.amdhsa_exception_fp_ieee_overflow 0
		.amdhsa_exception_fp_ieee_underflow 0
		.amdhsa_exception_fp_ieee_inexact 0
		.amdhsa_exception_int_div_zero 0
	.end_amdhsa_kernel
	.section	.text._ZN7rocprim17ROCPRIM_400000_NS6detail17trampoline_kernelINS0_14default_configENS1_20scan_config_selectorIiEEZZNS1_9scan_implILNS1_25lookback_scan_determinismE0ELb0ELb0ES3_N6thrust23THRUST_200600_302600_NS6detail15normal_iteratorINS9_10device_ptrIiEEEENS9_16discard_iteratorINS9_11use_defaultEEEiNS9_4plusIvEEiEEDaPvRmT3_T4_T5_mT6_P12ihipStream_tbENKUlT_T0_E_clISt17integral_constantIbLb0EESX_EEDaSS_ST_EUlSS_E_NS1_11comp_targetILNS1_3genE4ELNS1_11target_archE910ELNS1_3gpuE8ELNS1_3repE0EEENS1_30default_config_static_selectorELNS0_4arch9wavefront6targetE1EEEvT1_,"axG",@progbits,_ZN7rocprim17ROCPRIM_400000_NS6detail17trampoline_kernelINS0_14default_configENS1_20scan_config_selectorIiEEZZNS1_9scan_implILNS1_25lookback_scan_determinismE0ELb0ELb0ES3_N6thrust23THRUST_200600_302600_NS6detail15normal_iteratorINS9_10device_ptrIiEEEENS9_16discard_iteratorINS9_11use_defaultEEEiNS9_4plusIvEEiEEDaPvRmT3_T4_T5_mT6_P12ihipStream_tbENKUlT_T0_E_clISt17integral_constantIbLb0EESX_EEDaSS_ST_EUlSS_E_NS1_11comp_targetILNS1_3genE4ELNS1_11target_archE910ELNS1_3gpuE8ELNS1_3repE0EEENS1_30default_config_static_selectorELNS0_4arch9wavefront6targetE1EEEvT1_,comdat
.Lfunc_end5728:
	.size	_ZN7rocprim17ROCPRIM_400000_NS6detail17trampoline_kernelINS0_14default_configENS1_20scan_config_selectorIiEEZZNS1_9scan_implILNS1_25lookback_scan_determinismE0ELb0ELb0ES3_N6thrust23THRUST_200600_302600_NS6detail15normal_iteratorINS9_10device_ptrIiEEEENS9_16discard_iteratorINS9_11use_defaultEEEiNS9_4plusIvEEiEEDaPvRmT3_T4_T5_mT6_P12ihipStream_tbENKUlT_T0_E_clISt17integral_constantIbLb0EESX_EEDaSS_ST_EUlSS_E_NS1_11comp_targetILNS1_3genE4ELNS1_11target_archE910ELNS1_3gpuE8ELNS1_3repE0EEENS1_30default_config_static_selectorELNS0_4arch9wavefront6targetE1EEEvT1_, .Lfunc_end5728-_ZN7rocprim17ROCPRIM_400000_NS6detail17trampoline_kernelINS0_14default_configENS1_20scan_config_selectorIiEEZZNS1_9scan_implILNS1_25lookback_scan_determinismE0ELb0ELb0ES3_N6thrust23THRUST_200600_302600_NS6detail15normal_iteratorINS9_10device_ptrIiEEEENS9_16discard_iteratorINS9_11use_defaultEEEiNS9_4plusIvEEiEEDaPvRmT3_T4_T5_mT6_P12ihipStream_tbENKUlT_T0_E_clISt17integral_constantIbLb0EESX_EEDaSS_ST_EUlSS_E_NS1_11comp_targetILNS1_3genE4ELNS1_11target_archE910ELNS1_3gpuE8ELNS1_3repE0EEENS1_30default_config_static_selectorELNS0_4arch9wavefront6targetE1EEEvT1_
                                        ; -- End function
	.section	.AMDGPU.csdata,"",@progbits
; Kernel info:
; codeLenInByte = 4024
; NumSgprs: 26
; NumVgprs: 39
; NumAgprs: 0
; TotalNumVgprs: 39
; ScratchSize: 0
; MemoryBound: 0
; FloatMode: 240
; IeeeMode: 1
; LDSByteSize: 5120 bytes/workgroup (compile time only)
; SGPRBlocks: 3
; VGPRBlocks: 4
; NumSGPRsForWavesPerEU: 26
; NumVGPRsForWavesPerEU: 39
; AccumOffset: 40
; Occupancy: 6
; WaveLimiterHint : 1
; COMPUTE_PGM_RSRC2:SCRATCH_EN: 0
; COMPUTE_PGM_RSRC2:USER_SGPR: 6
; COMPUTE_PGM_RSRC2:TRAP_HANDLER: 0
; COMPUTE_PGM_RSRC2:TGID_X_EN: 1
; COMPUTE_PGM_RSRC2:TGID_Y_EN: 0
; COMPUTE_PGM_RSRC2:TGID_Z_EN: 0
; COMPUTE_PGM_RSRC2:TIDIG_COMP_CNT: 0
; COMPUTE_PGM_RSRC3_GFX90A:ACCUM_OFFSET: 9
; COMPUTE_PGM_RSRC3_GFX90A:TG_SPLIT: 0
	.section	.text._ZN7rocprim17ROCPRIM_400000_NS6detail17trampoline_kernelINS0_14default_configENS1_20scan_config_selectorIiEEZZNS1_9scan_implILNS1_25lookback_scan_determinismE0ELb0ELb0ES3_N6thrust23THRUST_200600_302600_NS6detail15normal_iteratorINS9_10device_ptrIiEEEENS9_16discard_iteratorINS9_11use_defaultEEEiNS9_4plusIvEEiEEDaPvRmT3_T4_T5_mT6_P12ihipStream_tbENKUlT_T0_E_clISt17integral_constantIbLb0EESX_EEDaSS_ST_EUlSS_E_NS1_11comp_targetILNS1_3genE3ELNS1_11target_archE908ELNS1_3gpuE7ELNS1_3repE0EEENS1_30default_config_static_selectorELNS0_4arch9wavefront6targetE1EEEvT1_,"axG",@progbits,_ZN7rocprim17ROCPRIM_400000_NS6detail17trampoline_kernelINS0_14default_configENS1_20scan_config_selectorIiEEZZNS1_9scan_implILNS1_25lookback_scan_determinismE0ELb0ELb0ES3_N6thrust23THRUST_200600_302600_NS6detail15normal_iteratorINS9_10device_ptrIiEEEENS9_16discard_iteratorINS9_11use_defaultEEEiNS9_4plusIvEEiEEDaPvRmT3_T4_T5_mT6_P12ihipStream_tbENKUlT_T0_E_clISt17integral_constantIbLb0EESX_EEDaSS_ST_EUlSS_E_NS1_11comp_targetILNS1_3genE3ELNS1_11target_archE908ELNS1_3gpuE7ELNS1_3repE0EEENS1_30default_config_static_selectorELNS0_4arch9wavefront6targetE1EEEvT1_,comdat
	.protected	_ZN7rocprim17ROCPRIM_400000_NS6detail17trampoline_kernelINS0_14default_configENS1_20scan_config_selectorIiEEZZNS1_9scan_implILNS1_25lookback_scan_determinismE0ELb0ELb0ES3_N6thrust23THRUST_200600_302600_NS6detail15normal_iteratorINS9_10device_ptrIiEEEENS9_16discard_iteratorINS9_11use_defaultEEEiNS9_4plusIvEEiEEDaPvRmT3_T4_T5_mT6_P12ihipStream_tbENKUlT_T0_E_clISt17integral_constantIbLb0EESX_EEDaSS_ST_EUlSS_E_NS1_11comp_targetILNS1_3genE3ELNS1_11target_archE908ELNS1_3gpuE7ELNS1_3repE0EEENS1_30default_config_static_selectorELNS0_4arch9wavefront6targetE1EEEvT1_ ; -- Begin function _ZN7rocprim17ROCPRIM_400000_NS6detail17trampoline_kernelINS0_14default_configENS1_20scan_config_selectorIiEEZZNS1_9scan_implILNS1_25lookback_scan_determinismE0ELb0ELb0ES3_N6thrust23THRUST_200600_302600_NS6detail15normal_iteratorINS9_10device_ptrIiEEEENS9_16discard_iteratorINS9_11use_defaultEEEiNS9_4plusIvEEiEEDaPvRmT3_T4_T5_mT6_P12ihipStream_tbENKUlT_T0_E_clISt17integral_constantIbLb0EESX_EEDaSS_ST_EUlSS_E_NS1_11comp_targetILNS1_3genE3ELNS1_11target_archE908ELNS1_3gpuE7ELNS1_3repE0EEENS1_30default_config_static_selectorELNS0_4arch9wavefront6targetE1EEEvT1_
	.globl	_ZN7rocprim17ROCPRIM_400000_NS6detail17trampoline_kernelINS0_14default_configENS1_20scan_config_selectorIiEEZZNS1_9scan_implILNS1_25lookback_scan_determinismE0ELb0ELb0ES3_N6thrust23THRUST_200600_302600_NS6detail15normal_iteratorINS9_10device_ptrIiEEEENS9_16discard_iteratorINS9_11use_defaultEEEiNS9_4plusIvEEiEEDaPvRmT3_T4_T5_mT6_P12ihipStream_tbENKUlT_T0_E_clISt17integral_constantIbLb0EESX_EEDaSS_ST_EUlSS_E_NS1_11comp_targetILNS1_3genE3ELNS1_11target_archE908ELNS1_3gpuE7ELNS1_3repE0EEENS1_30default_config_static_selectorELNS0_4arch9wavefront6targetE1EEEvT1_
	.p2align	8
	.type	_ZN7rocprim17ROCPRIM_400000_NS6detail17trampoline_kernelINS0_14default_configENS1_20scan_config_selectorIiEEZZNS1_9scan_implILNS1_25lookback_scan_determinismE0ELb0ELb0ES3_N6thrust23THRUST_200600_302600_NS6detail15normal_iteratorINS9_10device_ptrIiEEEENS9_16discard_iteratorINS9_11use_defaultEEEiNS9_4plusIvEEiEEDaPvRmT3_T4_T5_mT6_P12ihipStream_tbENKUlT_T0_E_clISt17integral_constantIbLb0EESX_EEDaSS_ST_EUlSS_E_NS1_11comp_targetILNS1_3genE3ELNS1_11target_archE908ELNS1_3gpuE7ELNS1_3repE0EEENS1_30default_config_static_selectorELNS0_4arch9wavefront6targetE1EEEvT1_,@function
_ZN7rocprim17ROCPRIM_400000_NS6detail17trampoline_kernelINS0_14default_configENS1_20scan_config_selectorIiEEZZNS1_9scan_implILNS1_25lookback_scan_determinismE0ELb0ELb0ES3_N6thrust23THRUST_200600_302600_NS6detail15normal_iteratorINS9_10device_ptrIiEEEENS9_16discard_iteratorINS9_11use_defaultEEEiNS9_4plusIvEEiEEDaPvRmT3_T4_T5_mT6_P12ihipStream_tbENKUlT_T0_E_clISt17integral_constantIbLb0EESX_EEDaSS_ST_EUlSS_E_NS1_11comp_targetILNS1_3genE3ELNS1_11target_archE908ELNS1_3gpuE7ELNS1_3repE0EEENS1_30default_config_static_selectorELNS0_4arch9wavefront6targetE1EEEvT1_: ; @_ZN7rocprim17ROCPRIM_400000_NS6detail17trampoline_kernelINS0_14default_configENS1_20scan_config_selectorIiEEZZNS1_9scan_implILNS1_25lookback_scan_determinismE0ELb0ELb0ES3_N6thrust23THRUST_200600_302600_NS6detail15normal_iteratorINS9_10device_ptrIiEEEENS9_16discard_iteratorINS9_11use_defaultEEEiNS9_4plusIvEEiEEDaPvRmT3_T4_T5_mT6_P12ihipStream_tbENKUlT_T0_E_clISt17integral_constantIbLb0EESX_EEDaSS_ST_EUlSS_E_NS1_11comp_targetILNS1_3genE3ELNS1_11target_archE908ELNS1_3gpuE7ELNS1_3repE0EEENS1_30default_config_static_selectorELNS0_4arch9wavefront6targetE1EEEvT1_
; %bb.0:
	.section	.rodata,"a",@progbits
	.p2align	6, 0x0
	.amdhsa_kernel _ZN7rocprim17ROCPRIM_400000_NS6detail17trampoline_kernelINS0_14default_configENS1_20scan_config_selectorIiEEZZNS1_9scan_implILNS1_25lookback_scan_determinismE0ELb0ELb0ES3_N6thrust23THRUST_200600_302600_NS6detail15normal_iteratorINS9_10device_ptrIiEEEENS9_16discard_iteratorINS9_11use_defaultEEEiNS9_4plusIvEEiEEDaPvRmT3_T4_T5_mT6_P12ihipStream_tbENKUlT_T0_E_clISt17integral_constantIbLb0EESX_EEDaSS_ST_EUlSS_E_NS1_11comp_targetILNS1_3genE3ELNS1_11target_archE908ELNS1_3gpuE7ELNS1_3repE0EEENS1_30default_config_static_selectorELNS0_4arch9wavefront6targetE1EEEvT1_
		.amdhsa_group_segment_fixed_size 0
		.amdhsa_private_segment_fixed_size 0
		.amdhsa_kernarg_size 104
		.amdhsa_user_sgpr_count 6
		.amdhsa_user_sgpr_private_segment_buffer 1
		.amdhsa_user_sgpr_dispatch_ptr 0
		.amdhsa_user_sgpr_queue_ptr 0
		.amdhsa_user_sgpr_kernarg_segment_ptr 1
		.amdhsa_user_sgpr_dispatch_id 0
		.amdhsa_user_sgpr_flat_scratch_init 0
		.amdhsa_user_sgpr_kernarg_preload_length 0
		.amdhsa_user_sgpr_kernarg_preload_offset 0
		.amdhsa_user_sgpr_private_segment_size 0
		.amdhsa_uses_dynamic_stack 0
		.amdhsa_system_sgpr_private_segment_wavefront_offset 0
		.amdhsa_system_sgpr_workgroup_id_x 1
		.amdhsa_system_sgpr_workgroup_id_y 0
		.amdhsa_system_sgpr_workgroup_id_z 0
		.amdhsa_system_sgpr_workgroup_info 0
		.amdhsa_system_vgpr_workitem_id 0
		.amdhsa_next_free_vgpr 1
		.amdhsa_next_free_sgpr 0
		.amdhsa_accum_offset 4
		.amdhsa_reserve_vcc 0
		.amdhsa_reserve_flat_scratch 0
		.amdhsa_float_round_mode_32 0
		.amdhsa_float_round_mode_16_64 0
		.amdhsa_float_denorm_mode_32 3
		.amdhsa_float_denorm_mode_16_64 3
		.amdhsa_dx10_clamp 1
		.amdhsa_ieee_mode 1
		.amdhsa_fp16_overflow 0
		.amdhsa_tg_split 0
		.amdhsa_exception_fp_ieee_invalid_op 0
		.amdhsa_exception_fp_denorm_src 0
		.amdhsa_exception_fp_ieee_div_zero 0
		.amdhsa_exception_fp_ieee_overflow 0
		.amdhsa_exception_fp_ieee_underflow 0
		.amdhsa_exception_fp_ieee_inexact 0
		.amdhsa_exception_int_div_zero 0
	.end_amdhsa_kernel
	.section	.text._ZN7rocprim17ROCPRIM_400000_NS6detail17trampoline_kernelINS0_14default_configENS1_20scan_config_selectorIiEEZZNS1_9scan_implILNS1_25lookback_scan_determinismE0ELb0ELb0ES3_N6thrust23THRUST_200600_302600_NS6detail15normal_iteratorINS9_10device_ptrIiEEEENS9_16discard_iteratorINS9_11use_defaultEEEiNS9_4plusIvEEiEEDaPvRmT3_T4_T5_mT6_P12ihipStream_tbENKUlT_T0_E_clISt17integral_constantIbLb0EESX_EEDaSS_ST_EUlSS_E_NS1_11comp_targetILNS1_3genE3ELNS1_11target_archE908ELNS1_3gpuE7ELNS1_3repE0EEENS1_30default_config_static_selectorELNS0_4arch9wavefront6targetE1EEEvT1_,"axG",@progbits,_ZN7rocprim17ROCPRIM_400000_NS6detail17trampoline_kernelINS0_14default_configENS1_20scan_config_selectorIiEEZZNS1_9scan_implILNS1_25lookback_scan_determinismE0ELb0ELb0ES3_N6thrust23THRUST_200600_302600_NS6detail15normal_iteratorINS9_10device_ptrIiEEEENS9_16discard_iteratorINS9_11use_defaultEEEiNS9_4plusIvEEiEEDaPvRmT3_T4_T5_mT6_P12ihipStream_tbENKUlT_T0_E_clISt17integral_constantIbLb0EESX_EEDaSS_ST_EUlSS_E_NS1_11comp_targetILNS1_3genE3ELNS1_11target_archE908ELNS1_3gpuE7ELNS1_3repE0EEENS1_30default_config_static_selectorELNS0_4arch9wavefront6targetE1EEEvT1_,comdat
.Lfunc_end5729:
	.size	_ZN7rocprim17ROCPRIM_400000_NS6detail17trampoline_kernelINS0_14default_configENS1_20scan_config_selectorIiEEZZNS1_9scan_implILNS1_25lookback_scan_determinismE0ELb0ELb0ES3_N6thrust23THRUST_200600_302600_NS6detail15normal_iteratorINS9_10device_ptrIiEEEENS9_16discard_iteratorINS9_11use_defaultEEEiNS9_4plusIvEEiEEDaPvRmT3_T4_T5_mT6_P12ihipStream_tbENKUlT_T0_E_clISt17integral_constantIbLb0EESX_EEDaSS_ST_EUlSS_E_NS1_11comp_targetILNS1_3genE3ELNS1_11target_archE908ELNS1_3gpuE7ELNS1_3repE0EEENS1_30default_config_static_selectorELNS0_4arch9wavefront6targetE1EEEvT1_, .Lfunc_end5729-_ZN7rocprim17ROCPRIM_400000_NS6detail17trampoline_kernelINS0_14default_configENS1_20scan_config_selectorIiEEZZNS1_9scan_implILNS1_25lookback_scan_determinismE0ELb0ELb0ES3_N6thrust23THRUST_200600_302600_NS6detail15normal_iteratorINS9_10device_ptrIiEEEENS9_16discard_iteratorINS9_11use_defaultEEEiNS9_4plusIvEEiEEDaPvRmT3_T4_T5_mT6_P12ihipStream_tbENKUlT_T0_E_clISt17integral_constantIbLb0EESX_EEDaSS_ST_EUlSS_E_NS1_11comp_targetILNS1_3genE3ELNS1_11target_archE908ELNS1_3gpuE7ELNS1_3repE0EEENS1_30default_config_static_selectorELNS0_4arch9wavefront6targetE1EEEvT1_
                                        ; -- End function
	.section	.AMDGPU.csdata,"",@progbits
; Kernel info:
; codeLenInByte = 0
; NumSgprs: 4
; NumVgprs: 0
; NumAgprs: 0
; TotalNumVgprs: 0
; ScratchSize: 0
; MemoryBound: 0
; FloatMode: 240
; IeeeMode: 1
; LDSByteSize: 0 bytes/workgroup (compile time only)
; SGPRBlocks: 0
; VGPRBlocks: 0
; NumSGPRsForWavesPerEU: 4
; NumVGPRsForWavesPerEU: 1
; AccumOffset: 4
; Occupancy: 8
; WaveLimiterHint : 0
; COMPUTE_PGM_RSRC2:SCRATCH_EN: 0
; COMPUTE_PGM_RSRC2:USER_SGPR: 6
; COMPUTE_PGM_RSRC2:TRAP_HANDLER: 0
; COMPUTE_PGM_RSRC2:TGID_X_EN: 1
; COMPUTE_PGM_RSRC2:TGID_Y_EN: 0
; COMPUTE_PGM_RSRC2:TGID_Z_EN: 0
; COMPUTE_PGM_RSRC2:TIDIG_COMP_CNT: 0
; COMPUTE_PGM_RSRC3_GFX90A:ACCUM_OFFSET: 0
; COMPUTE_PGM_RSRC3_GFX90A:TG_SPLIT: 0
	.section	.text._ZN7rocprim17ROCPRIM_400000_NS6detail17trampoline_kernelINS0_14default_configENS1_20scan_config_selectorIiEEZZNS1_9scan_implILNS1_25lookback_scan_determinismE0ELb0ELb0ES3_N6thrust23THRUST_200600_302600_NS6detail15normal_iteratorINS9_10device_ptrIiEEEENS9_16discard_iteratorINS9_11use_defaultEEEiNS9_4plusIvEEiEEDaPvRmT3_T4_T5_mT6_P12ihipStream_tbENKUlT_T0_E_clISt17integral_constantIbLb0EESX_EEDaSS_ST_EUlSS_E_NS1_11comp_targetILNS1_3genE2ELNS1_11target_archE906ELNS1_3gpuE6ELNS1_3repE0EEENS1_30default_config_static_selectorELNS0_4arch9wavefront6targetE1EEEvT1_,"axG",@progbits,_ZN7rocprim17ROCPRIM_400000_NS6detail17trampoline_kernelINS0_14default_configENS1_20scan_config_selectorIiEEZZNS1_9scan_implILNS1_25lookback_scan_determinismE0ELb0ELb0ES3_N6thrust23THRUST_200600_302600_NS6detail15normal_iteratorINS9_10device_ptrIiEEEENS9_16discard_iteratorINS9_11use_defaultEEEiNS9_4plusIvEEiEEDaPvRmT3_T4_T5_mT6_P12ihipStream_tbENKUlT_T0_E_clISt17integral_constantIbLb0EESX_EEDaSS_ST_EUlSS_E_NS1_11comp_targetILNS1_3genE2ELNS1_11target_archE906ELNS1_3gpuE6ELNS1_3repE0EEENS1_30default_config_static_selectorELNS0_4arch9wavefront6targetE1EEEvT1_,comdat
	.protected	_ZN7rocprim17ROCPRIM_400000_NS6detail17trampoline_kernelINS0_14default_configENS1_20scan_config_selectorIiEEZZNS1_9scan_implILNS1_25lookback_scan_determinismE0ELb0ELb0ES3_N6thrust23THRUST_200600_302600_NS6detail15normal_iteratorINS9_10device_ptrIiEEEENS9_16discard_iteratorINS9_11use_defaultEEEiNS9_4plusIvEEiEEDaPvRmT3_T4_T5_mT6_P12ihipStream_tbENKUlT_T0_E_clISt17integral_constantIbLb0EESX_EEDaSS_ST_EUlSS_E_NS1_11comp_targetILNS1_3genE2ELNS1_11target_archE906ELNS1_3gpuE6ELNS1_3repE0EEENS1_30default_config_static_selectorELNS0_4arch9wavefront6targetE1EEEvT1_ ; -- Begin function _ZN7rocprim17ROCPRIM_400000_NS6detail17trampoline_kernelINS0_14default_configENS1_20scan_config_selectorIiEEZZNS1_9scan_implILNS1_25lookback_scan_determinismE0ELb0ELb0ES3_N6thrust23THRUST_200600_302600_NS6detail15normal_iteratorINS9_10device_ptrIiEEEENS9_16discard_iteratorINS9_11use_defaultEEEiNS9_4plusIvEEiEEDaPvRmT3_T4_T5_mT6_P12ihipStream_tbENKUlT_T0_E_clISt17integral_constantIbLb0EESX_EEDaSS_ST_EUlSS_E_NS1_11comp_targetILNS1_3genE2ELNS1_11target_archE906ELNS1_3gpuE6ELNS1_3repE0EEENS1_30default_config_static_selectorELNS0_4arch9wavefront6targetE1EEEvT1_
	.globl	_ZN7rocprim17ROCPRIM_400000_NS6detail17trampoline_kernelINS0_14default_configENS1_20scan_config_selectorIiEEZZNS1_9scan_implILNS1_25lookback_scan_determinismE0ELb0ELb0ES3_N6thrust23THRUST_200600_302600_NS6detail15normal_iteratorINS9_10device_ptrIiEEEENS9_16discard_iteratorINS9_11use_defaultEEEiNS9_4plusIvEEiEEDaPvRmT3_T4_T5_mT6_P12ihipStream_tbENKUlT_T0_E_clISt17integral_constantIbLb0EESX_EEDaSS_ST_EUlSS_E_NS1_11comp_targetILNS1_3genE2ELNS1_11target_archE906ELNS1_3gpuE6ELNS1_3repE0EEENS1_30default_config_static_selectorELNS0_4arch9wavefront6targetE1EEEvT1_
	.p2align	8
	.type	_ZN7rocprim17ROCPRIM_400000_NS6detail17trampoline_kernelINS0_14default_configENS1_20scan_config_selectorIiEEZZNS1_9scan_implILNS1_25lookback_scan_determinismE0ELb0ELb0ES3_N6thrust23THRUST_200600_302600_NS6detail15normal_iteratorINS9_10device_ptrIiEEEENS9_16discard_iteratorINS9_11use_defaultEEEiNS9_4plusIvEEiEEDaPvRmT3_T4_T5_mT6_P12ihipStream_tbENKUlT_T0_E_clISt17integral_constantIbLb0EESX_EEDaSS_ST_EUlSS_E_NS1_11comp_targetILNS1_3genE2ELNS1_11target_archE906ELNS1_3gpuE6ELNS1_3repE0EEENS1_30default_config_static_selectorELNS0_4arch9wavefront6targetE1EEEvT1_,@function
_ZN7rocprim17ROCPRIM_400000_NS6detail17trampoline_kernelINS0_14default_configENS1_20scan_config_selectorIiEEZZNS1_9scan_implILNS1_25lookback_scan_determinismE0ELb0ELb0ES3_N6thrust23THRUST_200600_302600_NS6detail15normal_iteratorINS9_10device_ptrIiEEEENS9_16discard_iteratorINS9_11use_defaultEEEiNS9_4plusIvEEiEEDaPvRmT3_T4_T5_mT6_P12ihipStream_tbENKUlT_T0_E_clISt17integral_constantIbLb0EESX_EEDaSS_ST_EUlSS_E_NS1_11comp_targetILNS1_3genE2ELNS1_11target_archE906ELNS1_3gpuE6ELNS1_3repE0EEENS1_30default_config_static_selectorELNS0_4arch9wavefront6targetE1EEEvT1_: ; @_ZN7rocprim17ROCPRIM_400000_NS6detail17trampoline_kernelINS0_14default_configENS1_20scan_config_selectorIiEEZZNS1_9scan_implILNS1_25lookback_scan_determinismE0ELb0ELb0ES3_N6thrust23THRUST_200600_302600_NS6detail15normal_iteratorINS9_10device_ptrIiEEEENS9_16discard_iteratorINS9_11use_defaultEEEiNS9_4plusIvEEiEEDaPvRmT3_T4_T5_mT6_P12ihipStream_tbENKUlT_T0_E_clISt17integral_constantIbLb0EESX_EEDaSS_ST_EUlSS_E_NS1_11comp_targetILNS1_3genE2ELNS1_11target_archE906ELNS1_3gpuE6ELNS1_3repE0EEENS1_30default_config_static_selectorELNS0_4arch9wavefront6targetE1EEEvT1_
; %bb.0:
	.section	.rodata,"a",@progbits
	.p2align	6, 0x0
	.amdhsa_kernel _ZN7rocprim17ROCPRIM_400000_NS6detail17trampoline_kernelINS0_14default_configENS1_20scan_config_selectorIiEEZZNS1_9scan_implILNS1_25lookback_scan_determinismE0ELb0ELb0ES3_N6thrust23THRUST_200600_302600_NS6detail15normal_iteratorINS9_10device_ptrIiEEEENS9_16discard_iteratorINS9_11use_defaultEEEiNS9_4plusIvEEiEEDaPvRmT3_T4_T5_mT6_P12ihipStream_tbENKUlT_T0_E_clISt17integral_constantIbLb0EESX_EEDaSS_ST_EUlSS_E_NS1_11comp_targetILNS1_3genE2ELNS1_11target_archE906ELNS1_3gpuE6ELNS1_3repE0EEENS1_30default_config_static_selectorELNS0_4arch9wavefront6targetE1EEEvT1_
		.amdhsa_group_segment_fixed_size 0
		.amdhsa_private_segment_fixed_size 0
		.amdhsa_kernarg_size 104
		.amdhsa_user_sgpr_count 6
		.amdhsa_user_sgpr_private_segment_buffer 1
		.amdhsa_user_sgpr_dispatch_ptr 0
		.amdhsa_user_sgpr_queue_ptr 0
		.amdhsa_user_sgpr_kernarg_segment_ptr 1
		.amdhsa_user_sgpr_dispatch_id 0
		.amdhsa_user_sgpr_flat_scratch_init 0
		.amdhsa_user_sgpr_kernarg_preload_length 0
		.amdhsa_user_sgpr_kernarg_preload_offset 0
		.amdhsa_user_sgpr_private_segment_size 0
		.amdhsa_uses_dynamic_stack 0
		.amdhsa_system_sgpr_private_segment_wavefront_offset 0
		.amdhsa_system_sgpr_workgroup_id_x 1
		.amdhsa_system_sgpr_workgroup_id_y 0
		.amdhsa_system_sgpr_workgroup_id_z 0
		.amdhsa_system_sgpr_workgroup_info 0
		.amdhsa_system_vgpr_workitem_id 0
		.amdhsa_next_free_vgpr 1
		.amdhsa_next_free_sgpr 0
		.amdhsa_accum_offset 4
		.amdhsa_reserve_vcc 0
		.amdhsa_reserve_flat_scratch 0
		.amdhsa_float_round_mode_32 0
		.amdhsa_float_round_mode_16_64 0
		.amdhsa_float_denorm_mode_32 3
		.amdhsa_float_denorm_mode_16_64 3
		.amdhsa_dx10_clamp 1
		.amdhsa_ieee_mode 1
		.amdhsa_fp16_overflow 0
		.amdhsa_tg_split 0
		.amdhsa_exception_fp_ieee_invalid_op 0
		.amdhsa_exception_fp_denorm_src 0
		.amdhsa_exception_fp_ieee_div_zero 0
		.amdhsa_exception_fp_ieee_overflow 0
		.amdhsa_exception_fp_ieee_underflow 0
		.amdhsa_exception_fp_ieee_inexact 0
		.amdhsa_exception_int_div_zero 0
	.end_amdhsa_kernel
	.section	.text._ZN7rocprim17ROCPRIM_400000_NS6detail17trampoline_kernelINS0_14default_configENS1_20scan_config_selectorIiEEZZNS1_9scan_implILNS1_25lookback_scan_determinismE0ELb0ELb0ES3_N6thrust23THRUST_200600_302600_NS6detail15normal_iteratorINS9_10device_ptrIiEEEENS9_16discard_iteratorINS9_11use_defaultEEEiNS9_4plusIvEEiEEDaPvRmT3_T4_T5_mT6_P12ihipStream_tbENKUlT_T0_E_clISt17integral_constantIbLb0EESX_EEDaSS_ST_EUlSS_E_NS1_11comp_targetILNS1_3genE2ELNS1_11target_archE906ELNS1_3gpuE6ELNS1_3repE0EEENS1_30default_config_static_selectorELNS0_4arch9wavefront6targetE1EEEvT1_,"axG",@progbits,_ZN7rocprim17ROCPRIM_400000_NS6detail17trampoline_kernelINS0_14default_configENS1_20scan_config_selectorIiEEZZNS1_9scan_implILNS1_25lookback_scan_determinismE0ELb0ELb0ES3_N6thrust23THRUST_200600_302600_NS6detail15normal_iteratorINS9_10device_ptrIiEEEENS9_16discard_iteratorINS9_11use_defaultEEEiNS9_4plusIvEEiEEDaPvRmT3_T4_T5_mT6_P12ihipStream_tbENKUlT_T0_E_clISt17integral_constantIbLb0EESX_EEDaSS_ST_EUlSS_E_NS1_11comp_targetILNS1_3genE2ELNS1_11target_archE906ELNS1_3gpuE6ELNS1_3repE0EEENS1_30default_config_static_selectorELNS0_4arch9wavefront6targetE1EEEvT1_,comdat
.Lfunc_end5730:
	.size	_ZN7rocprim17ROCPRIM_400000_NS6detail17trampoline_kernelINS0_14default_configENS1_20scan_config_selectorIiEEZZNS1_9scan_implILNS1_25lookback_scan_determinismE0ELb0ELb0ES3_N6thrust23THRUST_200600_302600_NS6detail15normal_iteratorINS9_10device_ptrIiEEEENS9_16discard_iteratorINS9_11use_defaultEEEiNS9_4plusIvEEiEEDaPvRmT3_T4_T5_mT6_P12ihipStream_tbENKUlT_T0_E_clISt17integral_constantIbLb0EESX_EEDaSS_ST_EUlSS_E_NS1_11comp_targetILNS1_3genE2ELNS1_11target_archE906ELNS1_3gpuE6ELNS1_3repE0EEENS1_30default_config_static_selectorELNS0_4arch9wavefront6targetE1EEEvT1_, .Lfunc_end5730-_ZN7rocprim17ROCPRIM_400000_NS6detail17trampoline_kernelINS0_14default_configENS1_20scan_config_selectorIiEEZZNS1_9scan_implILNS1_25lookback_scan_determinismE0ELb0ELb0ES3_N6thrust23THRUST_200600_302600_NS6detail15normal_iteratorINS9_10device_ptrIiEEEENS9_16discard_iteratorINS9_11use_defaultEEEiNS9_4plusIvEEiEEDaPvRmT3_T4_T5_mT6_P12ihipStream_tbENKUlT_T0_E_clISt17integral_constantIbLb0EESX_EEDaSS_ST_EUlSS_E_NS1_11comp_targetILNS1_3genE2ELNS1_11target_archE906ELNS1_3gpuE6ELNS1_3repE0EEENS1_30default_config_static_selectorELNS0_4arch9wavefront6targetE1EEEvT1_
                                        ; -- End function
	.section	.AMDGPU.csdata,"",@progbits
; Kernel info:
; codeLenInByte = 0
; NumSgprs: 4
; NumVgprs: 0
; NumAgprs: 0
; TotalNumVgprs: 0
; ScratchSize: 0
; MemoryBound: 0
; FloatMode: 240
; IeeeMode: 1
; LDSByteSize: 0 bytes/workgroup (compile time only)
; SGPRBlocks: 0
; VGPRBlocks: 0
; NumSGPRsForWavesPerEU: 4
; NumVGPRsForWavesPerEU: 1
; AccumOffset: 4
; Occupancy: 8
; WaveLimiterHint : 0
; COMPUTE_PGM_RSRC2:SCRATCH_EN: 0
; COMPUTE_PGM_RSRC2:USER_SGPR: 6
; COMPUTE_PGM_RSRC2:TRAP_HANDLER: 0
; COMPUTE_PGM_RSRC2:TGID_X_EN: 1
; COMPUTE_PGM_RSRC2:TGID_Y_EN: 0
; COMPUTE_PGM_RSRC2:TGID_Z_EN: 0
; COMPUTE_PGM_RSRC2:TIDIG_COMP_CNT: 0
; COMPUTE_PGM_RSRC3_GFX90A:ACCUM_OFFSET: 0
; COMPUTE_PGM_RSRC3_GFX90A:TG_SPLIT: 0
	.section	.text._ZN7rocprim17ROCPRIM_400000_NS6detail17trampoline_kernelINS0_14default_configENS1_20scan_config_selectorIiEEZZNS1_9scan_implILNS1_25lookback_scan_determinismE0ELb0ELb0ES3_N6thrust23THRUST_200600_302600_NS6detail15normal_iteratorINS9_10device_ptrIiEEEENS9_16discard_iteratorINS9_11use_defaultEEEiNS9_4plusIvEEiEEDaPvRmT3_T4_T5_mT6_P12ihipStream_tbENKUlT_T0_E_clISt17integral_constantIbLb0EESX_EEDaSS_ST_EUlSS_E_NS1_11comp_targetILNS1_3genE10ELNS1_11target_archE1201ELNS1_3gpuE5ELNS1_3repE0EEENS1_30default_config_static_selectorELNS0_4arch9wavefront6targetE1EEEvT1_,"axG",@progbits,_ZN7rocprim17ROCPRIM_400000_NS6detail17trampoline_kernelINS0_14default_configENS1_20scan_config_selectorIiEEZZNS1_9scan_implILNS1_25lookback_scan_determinismE0ELb0ELb0ES3_N6thrust23THRUST_200600_302600_NS6detail15normal_iteratorINS9_10device_ptrIiEEEENS9_16discard_iteratorINS9_11use_defaultEEEiNS9_4plusIvEEiEEDaPvRmT3_T4_T5_mT6_P12ihipStream_tbENKUlT_T0_E_clISt17integral_constantIbLb0EESX_EEDaSS_ST_EUlSS_E_NS1_11comp_targetILNS1_3genE10ELNS1_11target_archE1201ELNS1_3gpuE5ELNS1_3repE0EEENS1_30default_config_static_selectorELNS0_4arch9wavefront6targetE1EEEvT1_,comdat
	.protected	_ZN7rocprim17ROCPRIM_400000_NS6detail17trampoline_kernelINS0_14default_configENS1_20scan_config_selectorIiEEZZNS1_9scan_implILNS1_25lookback_scan_determinismE0ELb0ELb0ES3_N6thrust23THRUST_200600_302600_NS6detail15normal_iteratorINS9_10device_ptrIiEEEENS9_16discard_iteratorINS9_11use_defaultEEEiNS9_4plusIvEEiEEDaPvRmT3_T4_T5_mT6_P12ihipStream_tbENKUlT_T0_E_clISt17integral_constantIbLb0EESX_EEDaSS_ST_EUlSS_E_NS1_11comp_targetILNS1_3genE10ELNS1_11target_archE1201ELNS1_3gpuE5ELNS1_3repE0EEENS1_30default_config_static_selectorELNS0_4arch9wavefront6targetE1EEEvT1_ ; -- Begin function _ZN7rocprim17ROCPRIM_400000_NS6detail17trampoline_kernelINS0_14default_configENS1_20scan_config_selectorIiEEZZNS1_9scan_implILNS1_25lookback_scan_determinismE0ELb0ELb0ES3_N6thrust23THRUST_200600_302600_NS6detail15normal_iteratorINS9_10device_ptrIiEEEENS9_16discard_iteratorINS9_11use_defaultEEEiNS9_4plusIvEEiEEDaPvRmT3_T4_T5_mT6_P12ihipStream_tbENKUlT_T0_E_clISt17integral_constantIbLb0EESX_EEDaSS_ST_EUlSS_E_NS1_11comp_targetILNS1_3genE10ELNS1_11target_archE1201ELNS1_3gpuE5ELNS1_3repE0EEENS1_30default_config_static_selectorELNS0_4arch9wavefront6targetE1EEEvT1_
	.globl	_ZN7rocprim17ROCPRIM_400000_NS6detail17trampoline_kernelINS0_14default_configENS1_20scan_config_selectorIiEEZZNS1_9scan_implILNS1_25lookback_scan_determinismE0ELb0ELb0ES3_N6thrust23THRUST_200600_302600_NS6detail15normal_iteratorINS9_10device_ptrIiEEEENS9_16discard_iteratorINS9_11use_defaultEEEiNS9_4plusIvEEiEEDaPvRmT3_T4_T5_mT6_P12ihipStream_tbENKUlT_T0_E_clISt17integral_constantIbLb0EESX_EEDaSS_ST_EUlSS_E_NS1_11comp_targetILNS1_3genE10ELNS1_11target_archE1201ELNS1_3gpuE5ELNS1_3repE0EEENS1_30default_config_static_selectorELNS0_4arch9wavefront6targetE1EEEvT1_
	.p2align	8
	.type	_ZN7rocprim17ROCPRIM_400000_NS6detail17trampoline_kernelINS0_14default_configENS1_20scan_config_selectorIiEEZZNS1_9scan_implILNS1_25lookback_scan_determinismE0ELb0ELb0ES3_N6thrust23THRUST_200600_302600_NS6detail15normal_iteratorINS9_10device_ptrIiEEEENS9_16discard_iteratorINS9_11use_defaultEEEiNS9_4plusIvEEiEEDaPvRmT3_T4_T5_mT6_P12ihipStream_tbENKUlT_T0_E_clISt17integral_constantIbLb0EESX_EEDaSS_ST_EUlSS_E_NS1_11comp_targetILNS1_3genE10ELNS1_11target_archE1201ELNS1_3gpuE5ELNS1_3repE0EEENS1_30default_config_static_selectorELNS0_4arch9wavefront6targetE1EEEvT1_,@function
_ZN7rocprim17ROCPRIM_400000_NS6detail17trampoline_kernelINS0_14default_configENS1_20scan_config_selectorIiEEZZNS1_9scan_implILNS1_25lookback_scan_determinismE0ELb0ELb0ES3_N6thrust23THRUST_200600_302600_NS6detail15normal_iteratorINS9_10device_ptrIiEEEENS9_16discard_iteratorINS9_11use_defaultEEEiNS9_4plusIvEEiEEDaPvRmT3_T4_T5_mT6_P12ihipStream_tbENKUlT_T0_E_clISt17integral_constantIbLb0EESX_EEDaSS_ST_EUlSS_E_NS1_11comp_targetILNS1_3genE10ELNS1_11target_archE1201ELNS1_3gpuE5ELNS1_3repE0EEENS1_30default_config_static_selectorELNS0_4arch9wavefront6targetE1EEEvT1_: ; @_ZN7rocprim17ROCPRIM_400000_NS6detail17trampoline_kernelINS0_14default_configENS1_20scan_config_selectorIiEEZZNS1_9scan_implILNS1_25lookback_scan_determinismE0ELb0ELb0ES3_N6thrust23THRUST_200600_302600_NS6detail15normal_iteratorINS9_10device_ptrIiEEEENS9_16discard_iteratorINS9_11use_defaultEEEiNS9_4plusIvEEiEEDaPvRmT3_T4_T5_mT6_P12ihipStream_tbENKUlT_T0_E_clISt17integral_constantIbLb0EESX_EEDaSS_ST_EUlSS_E_NS1_11comp_targetILNS1_3genE10ELNS1_11target_archE1201ELNS1_3gpuE5ELNS1_3repE0EEENS1_30default_config_static_selectorELNS0_4arch9wavefront6targetE1EEEvT1_
; %bb.0:
	.section	.rodata,"a",@progbits
	.p2align	6, 0x0
	.amdhsa_kernel _ZN7rocprim17ROCPRIM_400000_NS6detail17trampoline_kernelINS0_14default_configENS1_20scan_config_selectorIiEEZZNS1_9scan_implILNS1_25lookback_scan_determinismE0ELb0ELb0ES3_N6thrust23THRUST_200600_302600_NS6detail15normal_iteratorINS9_10device_ptrIiEEEENS9_16discard_iteratorINS9_11use_defaultEEEiNS9_4plusIvEEiEEDaPvRmT3_T4_T5_mT6_P12ihipStream_tbENKUlT_T0_E_clISt17integral_constantIbLb0EESX_EEDaSS_ST_EUlSS_E_NS1_11comp_targetILNS1_3genE10ELNS1_11target_archE1201ELNS1_3gpuE5ELNS1_3repE0EEENS1_30default_config_static_selectorELNS0_4arch9wavefront6targetE1EEEvT1_
		.amdhsa_group_segment_fixed_size 0
		.amdhsa_private_segment_fixed_size 0
		.amdhsa_kernarg_size 104
		.amdhsa_user_sgpr_count 6
		.amdhsa_user_sgpr_private_segment_buffer 1
		.amdhsa_user_sgpr_dispatch_ptr 0
		.amdhsa_user_sgpr_queue_ptr 0
		.amdhsa_user_sgpr_kernarg_segment_ptr 1
		.amdhsa_user_sgpr_dispatch_id 0
		.amdhsa_user_sgpr_flat_scratch_init 0
		.amdhsa_user_sgpr_kernarg_preload_length 0
		.amdhsa_user_sgpr_kernarg_preload_offset 0
		.amdhsa_user_sgpr_private_segment_size 0
		.amdhsa_uses_dynamic_stack 0
		.amdhsa_system_sgpr_private_segment_wavefront_offset 0
		.amdhsa_system_sgpr_workgroup_id_x 1
		.amdhsa_system_sgpr_workgroup_id_y 0
		.amdhsa_system_sgpr_workgroup_id_z 0
		.amdhsa_system_sgpr_workgroup_info 0
		.amdhsa_system_vgpr_workitem_id 0
		.amdhsa_next_free_vgpr 1
		.amdhsa_next_free_sgpr 0
		.amdhsa_accum_offset 4
		.amdhsa_reserve_vcc 0
		.amdhsa_reserve_flat_scratch 0
		.amdhsa_float_round_mode_32 0
		.amdhsa_float_round_mode_16_64 0
		.amdhsa_float_denorm_mode_32 3
		.amdhsa_float_denorm_mode_16_64 3
		.amdhsa_dx10_clamp 1
		.amdhsa_ieee_mode 1
		.amdhsa_fp16_overflow 0
		.amdhsa_tg_split 0
		.amdhsa_exception_fp_ieee_invalid_op 0
		.amdhsa_exception_fp_denorm_src 0
		.amdhsa_exception_fp_ieee_div_zero 0
		.amdhsa_exception_fp_ieee_overflow 0
		.amdhsa_exception_fp_ieee_underflow 0
		.amdhsa_exception_fp_ieee_inexact 0
		.amdhsa_exception_int_div_zero 0
	.end_amdhsa_kernel
	.section	.text._ZN7rocprim17ROCPRIM_400000_NS6detail17trampoline_kernelINS0_14default_configENS1_20scan_config_selectorIiEEZZNS1_9scan_implILNS1_25lookback_scan_determinismE0ELb0ELb0ES3_N6thrust23THRUST_200600_302600_NS6detail15normal_iteratorINS9_10device_ptrIiEEEENS9_16discard_iteratorINS9_11use_defaultEEEiNS9_4plusIvEEiEEDaPvRmT3_T4_T5_mT6_P12ihipStream_tbENKUlT_T0_E_clISt17integral_constantIbLb0EESX_EEDaSS_ST_EUlSS_E_NS1_11comp_targetILNS1_3genE10ELNS1_11target_archE1201ELNS1_3gpuE5ELNS1_3repE0EEENS1_30default_config_static_selectorELNS0_4arch9wavefront6targetE1EEEvT1_,"axG",@progbits,_ZN7rocprim17ROCPRIM_400000_NS6detail17trampoline_kernelINS0_14default_configENS1_20scan_config_selectorIiEEZZNS1_9scan_implILNS1_25lookback_scan_determinismE0ELb0ELb0ES3_N6thrust23THRUST_200600_302600_NS6detail15normal_iteratorINS9_10device_ptrIiEEEENS9_16discard_iteratorINS9_11use_defaultEEEiNS9_4plusIvEEiEEDaPvRmT3_T4_T5_mT6_P12ihipStream_tbENKUlT_T0_E_clISt17integral_constantIbLb0EESX_EEDaSS_ST_EUlSS_E_NS1_11comp_targetILNS1_3genE10ELNS1_11target_archE1201ELNS1_3gpuE5ELNS1_3repE0EEENS1_30default_config_static_selectorELNS0_4arch9wavefront6targetE1EEEvT1_,comdat
.Lfunc_end5731:
	.size	_ZN7rocprim17ROCPRIM_400000_NS6detail17trampoline_kernelINS0_14default_configENS1_20scan_config_selectorIiEEZZNS1_9scan_implILNS1_25lookback_scan_determinismE0ELb0ELb0ES3_N6thrust23THRUST_200600_302600_NS6detail15normal_iteratorINS9_10device_ptrIiEEEENS9_16discard_iteratorINS9_11use_defaultEEEiNS9_4plusIvEEiEEDaPvRmT3_T4_T5_mT6_P12ihipStream_tbENKUlT_T0_E_clISt17integral_constantIbLb0EESX_EEDaSS_ST_EUlSS_E_NS1_11comp_targetILNS1_3genE10ELNS1_11target_archE1201ELNS1_3gpuE5ELNS1_3repE0EEENS1_30default_config_static_selectorELNS0_4arch9wavefront6targetE1EEEvT1_, .Lfunc_end5731-_ZN7rocprim17ROCPRIM_400000_NS6detail17trampoline_kernelINS0_14default_configENS1_20scan_config_selectorIiEEZZNS1_9scan_implILNS1_25lookback_scan_determinismE0ELb0ELb0ES3_N6thrust23THRUST_200600_302600_NS6detail15normal_iteratorINS9_10device_ptrIiEEEENS9_16discard_iteratorINS9_11use_defaultEEEiNS9_4plusIvEEiEEDaPvRmT3_T4_T5_mT6_P12ihipStream_tbENKUlT_T0_E_clISt17integral_constantIbLb0EESX_EEDaSS_ST_EUlSS_E_NS1_11comp_targetILNS1_3genE10ELNS1_11target_archE1201ELNS1_3gpuE5ELNS1_3repE0EEENS1_30default_config_static_selectorELNS0_4arch9wavefront6targetE1EEEvT1_
                                        ; -- End function
	.section	.AMDGPU.csdata,"",@progbits
; Kernel info:
; codeLenInByte = 0
; NumSgprs: 4
; NumVgprs: 0
; NumAgprs: 0
; TotalNumVgprs: 0
; ScratchSize: 0
; MemoryBound: 0
; FloatMode: 240
; IeeeMode: 1
; LDSByteSize: 0 bytes/workgroup (compile time only)
; SGPRBlocks: 0
; VGPRBlocks: 0
; NumSGPRsForWavesPerEU: 4
; NumVGPRsForWavesPerEU: 1
; AccumOffset: 4
; Occupancy: 8
; WaveLimiterHint : 0
; COMPUTE_PGM_RSRC2:SCRATCH_EN: 0
; COMPUTE_PGM_RSRC2:USER_SGPR: 6
; COMPUTE_PGM_RSRC2:TRAP_HANDLER: 0
; COMPUTE_PGM_RSRC2:TGID_X_EN: 1
; COMPUTE_PGM_RSRC2:TGID_Y_EN: 0
; COMPUTE_PGM_RSRC2:TGID_Z_EN: 0
; COMPUTE_PGM_RSRC2:TIDIG_COMP_CNT: 0
; COMPUTE_PGM_RSRC3_GFX90A:ACCUM_OFFSET: 0
; COMPUTE_PGM_RSRC3_GFX90A:TG_SPLIT: 0
	.section	.text._ZN7rocprim17ROCPRIM_400000_NS6detail17trampoline_kernelINS0_14default_configENS1_20scan_config_selectorIiEEZZNS1_9scan_implILNS1_25lookback_scan_determinismE0ELb0ELb0ES3_N6thrust23THRUST_200600_302600_NS6detail15normal_iteratorINS9_10device_ptrIiEEEENS9_16discard_iteratorINS9_11use_defaultEEEiNS9_4plusIvEEiEEDaPvRmT3_T4_T5_mT6_P12ihipStream_tbENKUlT_T0_E_clISt17integral_constantIbLb0EESX_EEDaSS_ST_EUlSS_E_NS1_11comp_targetILNS1_3genE10ELNS1_11target_archE1200ELNS1_3gpuE4ELNS1_3repE0EEENS1_30default_config_static_selectorELNS0_4arch9wavefront6targetE1EEEvT1_,"axG",@progbits,_ZN7rocprim17ROCPRIM_400000_NS6detail17trampoline_kernelINS0_14default_configENS1_20scan_config_selectorIiEEZZNS1_9scan_implILNS1_25lookback_scan_determinismE0ELb0ELb0ES3_N6thrust23THRUST_200600_302600_NS6detail15normal_iteratorINS9_10device_ptrIiEEEENS9_16discard_iteratorINS9_11use_defaultEEEiNS9_4plusIvEEiEEDaPvRmT3_T4_T5_mT6_P12ihipStream_tbENKUlT_T0_E_clISt17integral_constantIbLb0EESX_EEDaSS_ST_EUlSS_E_NS1_11comp_targetILNS1_3genE10ELNS1_11target_archE1200ELNS1_3gpuE4ELNS1_3repE0EEENS1_30default_config_static_selectorELNS0_4arch9wavefront6targetE1EEEvT1_,comdat
	.protected	_ZN7rocprim17ROCPRIM_400000_NS6detail17trampoline_kernelINS0_14default_configENS1_20scan_config_selectorIiEEZZNS1_9scan_implILNS1_25lookback_scan_determinismE0ELb0ELb0ES3_N6thrust23THRUST_200600_302600_NS6detail15normal_iteratorINS9_10device_ptrIiEEEENS9_16discard_iteratorINS9_11use_defaultEEEiNS9_4plusIvEEiEEDaPvRmT3_T4_T5_mT6_P12ihipStream_tbENKUlT_T0_E_clISt17integral_constantIbLb0EESX_EEDaSS_ST_EUlSS_E_NS1_11comp_targetILNS1_3genE10ELNS1_11target_archE1200ELNS1_3gpuE4ELNS1_3repE0EEENS1_30default_config_static_selectorELNS0_4arch9wavefront6targetE1EEEvT1_ ; -- Begin function _ZN7rocprim17ROCPRIM_400000_NS6detail17trampoline_kernelINS0_14default_configENS1_20scan_config_selectorIiEEZZNS1_9scan_implILNS1_25lookback_scan_determinismE0ELb0ELb0ES3_N6thrust23THRUST_200600_302600_NS6detail15normal_iteratorINS9_10device_ptrIiEEEENS9_16discard_iteratorINS9_11use_defaultEEEiNS9_4plusIvEEiEEDaPvRmT3_T4_T5_mT6_P12ihipStream_tbENKUlT_T0_E_clISt17integral_constantIbLb0EESX_EEDaSS_ST_EUlSS_E_NS1_11comp_targetILNS1_3genE10ELNS1_11target_archE1200ELNS1_3gpuE4ELNS1_3repE0EEENS1_30default_config_static_selectorELNS0_4arch9wavefront6targetE1EEEvT1_
	.globl	_ZN7rocprim17ROCPRIM_400000_NS6detail17trampoline_kernelINS0_14default_configENS1_20scan_config_selectorIiEEZZNS1_9scan_implILNS1_25lookback_scan_determinismE0ELb0ELb0ES3_N6thrust23THRUST_200600_302600_NS6detail15normal_iteratorINS9_10device_ptrIiEEEENS9_16discard_iteratorINS9_11use_defaultEEEiNS9_4plusIvEEiEEDaPvRmT3_T4_T5_mT6_P12ihipStream_tbENKUlT_T0_E_clISt17integral_constantIbLb0EESX_EEDaSS_ST_EUlSS_E_NS1_11comp_targetILNS1_3genE10ELNS1_11target_archE1200ELNS1_3gpuE4ELNS1_3repE0EEENS1_30default_config_static_selectorELNS0_4arch9wavefront6targetE1EEEvT1_
	.p2align	8
	.type	_ZN7rocprim17ROCPRIM_400000_NS6detail17trampoline_kernelINS0_14default_configENS1_20scan_config_selectorIiEEZZNS1_9scan_implILNS1_25lookback_scan_determinismE0ELb0ELb0ES3_N6thrust23THRUST_200600_302600_NS6detail15normal_iteratorINS9_10device_ptrIiEEEENS9_16discard_iteratorINS9_11use_defaultEEEiNS9_4plusIvEEiEEDaPvRmT3_T4_T5_mT6_P12ihipStream_tbENKUlT_T0_E_clISt17integral_constantIbLb0EESX_EEDaSS_ST_EUlSS_E_NS1_11comp_targetILNS1_3genE10ELNS1_11target_archE1200ELNS1_3gpuE4ELNS1_3repE0EEENS1_30default_config_static_selectorELNS0_4arch9wavefront6targetE1EEEvT1_,@function
_ZN7rocprim17ROCPRIM_400000_NS6detail17trampoline_kernelINS0_14default_configENS1_20scan_config_selectorIiEEZZNS1_9scan_implILNS1_25lookback_scan_determinismE0ELb0ELb0ES3_N6thrust23THRUST_200600_302600_NS6detail15normal_iteratorINS9_10device_ptrIiEEEENS9_16discard_iteratorINS9_11use_defaultEEEiNS9_4plusIvEEiEEDaPvRmT3_T4_T5_mT6_P12ihipStream_tbENKUlT_T0_E_clISt17integral_constantIbLb0EESX_EEDaSS_ST_EUlSS_E_NS1_11comp_targetILNS1_3genE10ELNS1_11target_archE1200ELNS1_3gpuE4ELNS1_3repE0EEENS1_30default_config_static_selectorELNS0_4arch9wavefront6targetE1EEEvT1_: ; @_ZN7rocprim17ROCPRIM_400000_NS6detail17trampoline_kernelINS0_14default_configENS1_20scan_config_selectorIiEEZZNS1_9scan_implILNS1_25lookback_scan_determinismE0ELb0ELb0ES3_N6thrust23THRUST_200600_302600_NS6detail15normal_iteratorINS9_10device_ptrIiEEEENS9_16discard_iteratorINS9_11use_defaultEEEiNS9_4plusIvEEiEEDaPvRmT3_T4_T5_mT6_P12ihipStream_tbENKUlT_T0_E_clISt17integral_constantIbLb0EESX_EEDaSS_ST_EUlSS_E_NS1_11comp_targetILNS1_3genE10ELNS1_11target_archE1200ELNS1_3gpuE4ELNS1_3repE0EEENS1_30default_config_static_selectorELNS0_4arch9wavefront6targetE1EEEvT1_
; %bb.0:
	.section	.rodata,"a",@progbits
	.p2align	6, 0x0
	.amdhsa_kernel _ZN7rocprim17ROCPRIM_400000_NS6detail17trampoline_kernelINS0_14default_configENS1_20scan_config_selectorIiEEZZNS1_9scan_implILNS1_25lookback_scan_determinismE0ELb0ELb0ES3_N6thrust23THRUST_200600_302600_NS6detail15normal_iteratorINS9_10device_ptrIiEEEENS9_16discard_iteratorINS9_11use_defaultEEEiNS9_4plusIvEEiEEDaPvRmT3_T4_T5_mT6_P12ihipStream_tbENKUlT_T0_E_clISt17integral_constantIbLb0EESX_EEDaSS_ST_EUlSS_E_NS1_11comp_targetILNS1_3genE10ELNS1_11target_archE1200ELNS1_3gpuE4ELNS1_3repE0EEENS1_30default_config_static_selectorELNS0_4arch9wavefront6targetE1EEEvT1_
		.amdhsa_group_segment_fixed_size 0
		.amdhsa_private_segment_fixed_size 0
		.amdhsa_kernarg_size 104
		.amdhsa_user_sgpr_count 6
		.amdhsa_user_sgpr_private_segment_buffer 1
		.amdhsa_user_sgpr_dispatch_ptr 0
		.amdhsa_user_sgpr_queue_ptr 0
		.amdhsa_user_sgpr_kernarg_segment_ptr 1
		.amdhsa_user_sgpr_dispatch_id 0
		.amdhsa_user_sgpr_flat_scratch_init 0
		.amdhsa_user_sgpr_kernarg_preload_length 0
		.amdhsa_user_sgpr_kernarg_preload_offset 0
		.amdhsa_user_sgpr_private_segment_size 0
		.amdhsa_uses_dynamic_stack 0
		.amdhsa_system_sgpr_private_segment_wavefront_offset 0
		.amdhsa_system_sgpr_workgroup_id_x 1
		.amdhsa_system_sgpr_workgroup_id_y 0
		.amdhsa_system_sgpr_workgroup_id_z 0
		.amdhsa_system_sgpr_workgroup_info 0
		.amdhsa_system_vgpr_workitem_id 0
		.amdhsa_next_free_vgpr 1
		.amdhsa_next_free_sgpr 0
		.amdhsa_accum_offset 4
		.amdhsa_reserve_vcc 0
		.amdhsa_reserve_flat_scratch 0
		.amdhsa_float_round_mode_32 0
		.amdhsa_float_round_mode_16_64 0
		.amdhsa_float_denorm_mode_32 3
		.amdhsa_float_denorm_mode_16_64 3
		.amdhsa_dx10_clamp 1
		.amdhsa_ieee_mode 1
		.amdhsa_fp16_overflow 0
		.amdhsa_tg_split 0
		.amdhsa_exception_fp_ieee_invalid_op 0
		.amdhsa_exception_fp_denorm_src 0
		.amdhsa_exception_fp_ieee_div_zero 0
		.amdhsa_exception_fp_ieee_overflow 0
		.amdhsa_exception_fp_ieee_underflow 0
		.amdhsa_exception_fp_ieee_inexact 0
		.amdhsa_exception_int_div_zero 0
	.end_amdhsa_kernel
	.section	.text._ZN7rocprim17ROCPRIM_400000_NS6detail17trampoline_kernelINS0_14default_configENS1_20scan_config_selectorIiEEZZNS1_9scan_implILNS1_25lookback_scan_determinismE0ELb0ELb0ES3_N6thrust23THRUST_200600_302600_NS6detail15normal_iteratorINS9_10device_ptrIiEEEENS9_16discard_iteratorINS9_11use_defaultEEEiNS9_4plusIvEEiEEDaPvRmT3_T4_T5_mT6_P12ihipStream_tbENKUlT_T0_E_clISt17integral_constantIbLb0EESX_EEDaSS_ST_EUlSS_E_NS1_11comp_targetILNS1_3genE10ELNS1_11target_archE1200ELNS1_3gpuE4ELNS1_3repE0EEENS1_30default_config_static_selectorELNS0_4arch9wavefront6targetE1EEEvT1_,"axG",@progbits,_ZN7rocprim17ROCPRIM_400000_NS6detail17trampoline_kernelINS0_14default_configENS1_20scan_config_selectorIiEEZZNS1_9scan_implILNS1_25lookback_scan_determinismE0ELb0ELb0ES3_N6thrust23THRUST_200600_302600_NS6detail15normal_iteratorINS9_10device_ptrIiEEEENS9_16discard_iteratorINS9_11use_defaultEEEiNS9_4plusIvEEiEEDaPvRmT3_T4_T5_mT6_P12ihipStream_tbENKUlT_T0_E_clISt17integral_constantIbLb0EESX_EEDaSS_ST_EUlSS_E_NS1_11comp_targetILNS1_3genE10ELNS1_11target_archE1200ELNS1_3gpuE4ELNS1_3repE0EEENS1_30default_config_static_selectorELNS0_4arch9wavefront6targetE1EEEvT1_,comdat
.Lfunc_end5732:
	.size	_ZN7rocprim17ROCPRIM_400000_NS6detail17trampoline_kernelINS0_14default_configENS1_20scan_config_selectorIiEEZZNS1_9scan_implILNS1_25lookback_scan_determinismE0ELb0ELb0ES3_N6thrust23THRUST_200600_302600_NS6detail15normal_iteratorINS9_10device_ptrIiEEEENS9_16discard_iteratorINS9_11use_defaultEEEiNS9_4plusIvEEiEEDaPvRmT3_T4_T5_mT6_P12ihipStream_tbENKUlT_T0_E_clISt17integral_constantIbLb0EESX_EEDaSS_ST_EUlSS_E_NS1_11comp_targetILNS1_3genE10ELNS1_11target_archE1200ELNS1_3gpuE4ELNS1_3repE0EEENS1_30default_config_static_selectorELNS0_4arch9wavefront6targetE1EEEvT1_, .Lfunc_end5732-_ZN7rocprim17ROCPRIM_400000_NS6detail17trampoline_kernelINS0_14default_configENS1_20scan_config_selectorIiEEZZNS1_9scan_implILNS1_25lookback_scan_determinismE0ELb0ELb0ES3_N6thrust23THRUST_200600_302600_NS6detail15normal_iteratorINS9_10device_ptrIiEEEENS9_16discard_iteratorINS9_11use_defaultEEEiNS9_4plusIvEEiEEDaPvRmT3_T4_T5_mT6_P12ihipStream_tbENKUlT_T0_E_clISt17integral_constantIbLb0EESX_EEDaSS_ST_EUlSS_E_NS1_11comp_targetILNS1_3genE10ELNS1_11target_archE1200ELNS1_3gpuE4ELNS1_3repE0EEENS1_30default_config_static_selectorELNS0_4arch9wavefront6targetE1EEEvT1_
                                        ; -- End function
	.section	.AMDGPU.csdata,"",@progbits
; Kernel info:
; codeLenInByte = 0
; NumSgprs: 4
; NumVgprs: 0
; NumAgprs: 0
; TotalNumVgprs: 0
; ScratchSize: 0
; MemoryBound: 0
; FloatMode: 240
; IeeeMode: 1
; LDSByteSize: 0 bytes/workgroup (compile time only)
; SGPRBlocks: 0
; VGPRBlocks: 0
; NumSGPRsForWavesPerEU: 4
; NumVGPRsForWavesPerEU: 1
; AccumOffset: 4
; Occupancy: 8
; WaveLimiterHint : 0
; COMPUTE_PGM_RSRC2:SCRATCH_EN: 0
; COMPUTE_PGM_RSRC2:USER_SGPR: 6
; COMPUTE_PGM_RSRC2:TRAP_HANDLER: 0
; COMPUTE_PGM_RSRC2:TGID_X_EN: 1
; COMPUTE_PGM_RSRC2:TGID_Y_EN: 0
; COMPUTE_PGM_RSRC2:TGID_Z_EN: 0
; COMPUTE_PGM_RSRC2:TIDIG_COMP_CNT: 0
; COMPUTE_PGM_RSRC3_GFX90A:ACCUM_OFFSET: 0
; COMPUTE_PGM_RSRC3_GFX90A:TG_SPLIT: 0
	.section	.text._ZN7rocprim17ROCPRIM_400000_NS6detail17trampoline_kernelINS0_14default_configENS1_20scan_config_selectorIiEEZZNS1_9scan_implILNS1_25lookback_scan_determinismE0ELb0ELb0ES3_N6thrust23THRUST_200600_302600_NS6detail15normal_iteratorINS9_10device_ptrIiEEEENS9_16discard_iteratorINS9_11use_defaultEEEiNS9_4plusIvEEiEEDaPvRmT3_T4_T5_mT6_P12ihipStream_tbENKUlT_T0_E_clISt17integral_constantIbLb0EESX_EEDaSS_ST_EUlSS_E_NS1_11comp_targetILNS1_3genE9ELNS1_11target_archE1100ELNS1_3gpuE3ELNS1_3repE0EEENS1_30default_config_static_selectorELNS0_4arch9wavefront6targetE1EEEvT1_,"axG",@progbits,_ZN7rocprim17ROCPRIM_400000_NS6detail17trampoline_kernelINS0_14default_configENS1_20scan_config_selectorIiEEZZNS1_9scan_implILNS1_25lookback_scan_determinismE0ELb0ELb0ES3_N6thrust23THRUST_200600_302600_NS6detail15normal_iteratorINS9_10device_ptrIiEEEENS9_16discard_iteratorINS9_11use_defaultEEEiNS9_4plusIvEEiEEDaPvRmT3_T4_T5_mT6_P12ihipStream_tbENKUlT_T0_E_clISt17integral_constantIbLb0EESX_EEDaSS_ST_EUlSS_E_NS1_11comp_targetILNS1_3genE9ELNS1_11target_archE1100ELNS1_3gpuE3ELNS1_3repE0EEENS1_30default_config_static_selectorELNS0_4arch9wavefront6targetE1EEEvT1_,comdat
	.protected	_ZN7rocprim17ROCPRIM_400000_NS6detail17trampoline_kernelINS0_14default_configENS1_20scan_config_selectorIiEEZZNS1_9scan_implILNS1_25lookback_scan_determinismE0ELb0ELb0ES3_N6thrust23THRUST_200600_302600_NS6detail15normal_iteratorINS9_10device_ptrIiEEEENS9_16discard_iteratorINS9_11use_defaultEEEiNS9_4plusIvEEiEEDaPvRmT3_T4_T5_mT6_P12ihipStream_tbENKUlT_T0_E_clISt17integral_constantIbLb0EESX_EEDaSS_ST_EUlSS_E_NS1_11comp_targetILNS1_3genE9ELNS1_11target_archE1100ELNS1_3gpuE3ELNS1_3repE0EEENS1_30default_config_static_selectorELNS0_4arch9wavefront6targetE1EEEvT1_ ; -- Begin function _ZN7rocprim17ROCPRIM_400000_NS6detail17trampoline_kernelINS0_14default_configENS1_20scan_config_selectorIiEEZZNS1_9scan_implILNS1_25lookback_scan_determinismE0ELb0ELb0ES3_N6thrust23THRUST_200600_302600_NS6detail15normal_iteratorINS9_10device_ptrIiEEEENS9_16discard_iteratorINS9_11use_defaultEEEiNS9_4plusIvEEiEEDaPvRmT3_T4_T5_mT6_P12ihipStream_tbENKUlT_T0_E_clISt17integral_constantIbLb0EESX_EEDaSS_ST_EUlSS_E_NS1_11comp_targetILNS1_3genE9ELNS1_11target_archE1100ELNS1_3gpuE3ELNS1_3repE0EEENS1_30default_config_static_selectorELNS0_4arch9wavefront6targetE1EEEvT1_
	.globl	_ZN7rocprim17ROCPRIM_400000_NS6detail17trampoline_kernelINS0_14default_configENS1_20scan_config_selectorIiEEZZNS1_9scan_implILNS1_25lookback_scan_determinismE0ELb0ELb0ES3_N6thrust23THRUST_200600_302600_NS6detail15normal_iteratorINS9_10device_ptrIiEEEENS9_16discard_iteratorINS9_11use_defaultEEEiNS9_4plusIvEEiEEDaPvRmT3_T4_T5_mT6_P12ihipStream_tbENKUlT_T0_E_clISt17integral_constantIbLb0EESX_EEDaSS_ST_EUlSS_E_NS1_11comp_targetILNS1_3genE9ELNS1_11target_archE1100ELNS1_3gpuE3ELNS1_3repE0EEENS1_30default_config_static_selectorELNS0_4arch9wavefront6targetE1EEEvT1_
	.p2align	8
	.type	_ZN7rocprim17ROCPRIM_400000_NS6detail17trampoline_kernelINS0_14default_configENS1_20scan_config_selectorIiEEZZNS1_9scan_implILNS1_25lookback_scan_determinismE0ELb0ELb0ES3_N6thrust23THRUST_200600_302600_NS6detail15normal_iteratorINS9_10device_ptrIiEEEENS9_16discard_iteratorINS9_11use_defaultEEEiNS9_4plusIvEEiEEDaPvRmT3_T4_T5_mT6_P12ihipStream_tbENKUlT_T0_E_clISt17integral_constantIbLb0EESX_EEDaSS_ST_EUlSS_E_NS1_11comp_targetILNS1_3genE9ELNS1_11target_archE1100ELNS1_3gpuE3ELNS1_3repE0EEENS1_30default_config_static_selectorELNS0_4arch9wavefront6targetE1EEEvT1_,@function
_ZN7rocprim17ROCPRIM_400000_NS6detail17trampoline_kernelINS0_14default_configENS1_20scan_config_selectorIiEEZZNS1_9scan_implILNS1_25lookback_scan_determinismE0ELb0ELb0ES3_N6thrust23THRUST_200600_302600_NS6detail15normal_iteratorINS9_10device_ptrIiEEEENS9_16discard_iteratorINS9_11use_defaultEEEiNS9_4plusIvEEiEEDaPvRmT3_T4_T5_mT6_P12ihipStream_tbENKUlT_T0_E_clISt17integral_constantIbLb0EESX_EEDaSS_ST_EUlSS_E_NS1_11comp_targetILNS1_3genE9ELNS1_11target_archE1100ELNS1_3gpuE3ELNS1_3repE0EEENS1_30default_config_static_selectorELNS0_4arch9wavefront6targetE1EEEvT1_: ; @_ZN7rocprim17ROCPRIM_400000_NS6detail17trampoline_kernelINS0_14default_configENS1_20scan_config_selectorIiEEZZNS1_9scan_implILNS1_25lookback_scan_determinismE0ELb0ELb0ES3_N6thrust23THRUST_200600_302600_NS6detail15normal_iteratorINS9_10device_ptrIiEEEENS9_16discard_iteratorINS9_11use_defaultEEEiNS9_4plusIvEEiEEDaPvRmT3_T4_T5_mT6_P12ihipStream_tbENKUlT_T0_E_clISt17integral_constantIbLb0EESX_EEDaSS_ST_EUlSS_E_NS1_11comp_targetILNS1_3genE9ELNS1_11target_archE1100ELNS1_3gpuE3ELNS1_3repE0EEENS1_30default_config_static_selectorELNS0_4arch9wavefront6targetE1EEEvT1_
; %bb.0:
	.section	.rodata,"a",@progbits
	.p2align	6, 0x0
	.amdhsa_kernel _ZN7rocprim17ROCPRIM_400000_NS6detail17trampoline_kernelINS0_14default_configENS1_20scan_config_selectorIiEEZZNS1_9scan_implILNS1_25lookback_scan_determinismE0ELb0ELb0ES3_N6thrust23THRUST_200600_302600_NS6detail15normal_iteratorINS9_10device_ptrIiEEEENS9_16discard_iteratorINS9_11use_defaultEEEiNS9_4plusIvEEiEEDaPvRmT3_T4_T5_mT6_P12ihipStream_tbENKUlT_T0_E_clISt17integral_constantIbLb0EESX_EEDaSS_ST_EUlSS_E_NS1_11comp_targetILNS1_3genE9ELNS1_11target_archE1100ELNS1_3gpuE3ELNS1_3repE0EEENS1_30default_config_static_selectorELNS0_4arch9wavefront6targetE1EEEvT1_
		.amdhsa_group_segment_fixed_size 0
		.amdhsa_private_segment_fixed_size 0
		.amdhsa_kernarg_size 104
		.amdhsa_user_sgpr_count 6
		.amdhsa_user_sgpr_private_segment_buffer 1
		.amdhsa_user_sgpr_dispatch_ptr 0
		.amdhsa_user_sgpr_queue_ptr 0
		.amdhsa_user_sgpr_kernarg_segment_ptr 1
		.amdhsa_user_sgpr_dispatch_id 0
		.amdhsa_user_sgpr_flat_scratch_init 0
		.amdhsa_user_sgpr_kernarg_preload_length 0
		.amdhsa_user_sgpr_kernarg_preload_offset 0
		.amdhsa_user_sgpr_private_segment_size 0
		.amdhsa_uses_dynamic_stack 0
		.amdhsa_system_sgpr_private_segment_wavefront_offset 0
		.amdhsa_system_sgpr_workgroup_id_x 1
		.amdhsa_system_sgpr_workgroup_id_y 0
		.amdhsa_system_sgpr_workgroup_id_z 0
		.amdhsa_system_sgpr_workgroup_info 0
		.amdhsa_system_vgpr_workitem_id 0
		.amdhsa_next_free_vgpr 1
		.amdhsa_next_free_sgpr 0
		.amdhsa_accum_offset 4
		.amdhsa_reserve_vcc 0
		.amdhsa_reserve_flat_scratch 0
		.amdhsa_float_round_mode_32 0
		.amdhsa_float_round_mode_16_64 0
		.amdhsa_float_denorm_mode_32 3
		.amdhsa_float_denorm_mode_16_64 3
		.amdhsa_dx10_clamp 1
		.amdhsa_ieee_mode 1
		.amdhsa_fp16_overflow 0
		.amdhsa_tg_split 0
		.amdhsa_exception_fp_ieee_invalid_op 0
		.amdhsa_exception_fp_denorm_src 0
		.amdhsa_exception_fp_ieee_div_zero 0
		.amdhsa_exception_fp_ieee_overflow 0
		.amdhsa_exception_fp_ieee_underflow 0
		.amdhsa_exception_fp_ieee_inexact 0
		.amdhsa_exception_int_div_zero 0
	.end_amdhsa_kernel
	.section	.text._ZN7rocprim17ROCPRIM_400000_NS6detail17trampoline_kernelINS0_14default_configENS1_20scan_config_selectorIiEEZZNS1_9scan_implILNS1_25lookback_scan_determinismE0ELb0ELb0ES3_N6thrust23THRUST_200600_302600_NS6detail15normal_iteratorINS9_10device_ptrIiEEEENS9_16discard_iteratorINS9_11use_defaultEEEiNS9_4plusIvEEiEEDaPvRmT3_T4_T5_mT6_P12ihipStream_tbENKUlT_T0_E_clISt17integral_constantIbLb0EESX_EEDaSS_ST_EUlSS_E_NS1_11comp_targetILNS1_3genE9ELNS1_11target_archE1100ELNS1_3gpuE3ELNS1_3repE0EEENS1_30default_config_static_selectorELNS0_4arch9wavefront6targetE1EEEvT1_,"axG",@progbits,_ZN7rocprim17ROCPRIM_400000_NS6detail17trampoline_kernelINS0_14default_configENS1_20scan_config_selectorIiEEZZNS1_9scan_implILNS1_25lookback_scan_determinismE0ELb0ELb0ES3_N6thrust23THRUST_200600_302600_NS6detail15normal_iteratorINS9_10device_ptrIiEEEENS9_16discard_iteratorINS9_11use_defaultEEEiNS9_4plusIvEEiEEDaPvRmT3_T4_T5_mT6_P12ihipStream_tbENKUlT_T0_E_clISt17integral_constantIbLb0EESX_EEDaSS_ST_EUlSS_E_NS1_11comp_targetILNS1_3genE9ELNS1_11target_archE1100ELNS1_3gpuE3ELNS1_3repE0EEENS1_30default_config_static_selectorELNS0_4arch9wavefront6targetE1EEEvT1_,comdat
.Lfunc_end5733:
	.size	_ZN7rocprim17ROCPRIM_400000_NS6detail17trampoline_kernelINS0_14default_configENS1_20scan_config_selectorIiEEZZNS1_9scan_implILNS1_25lookback_scan_determinismE0ELb0ELb0ES3_N6thrust23THRUST_200600_302600_NS6detail15normal_iteratorINS9_10device_ptrIiEEEENS9_16discard_iteratorINS9_11use_defaultEEEiNS9_4plusIvEEiEEDaPvRmT3_T4_T5_mT6_P12ihipStream_tbENKUlT_T0_E_clISt17integral_constantIbLb0EESX_EEDaSS_ST_EUlSS_E_NS1_11comp_targetILNS1_3genE9ELNS1_11target_archE1100ELNS1_3gpuE3ELNS1_3repE0EEENS1_30default_config_static_selectorELNS0_4arch9wavefront6targetE1EEEvT1_, .Lfunc_end5733-_ZN7rocprim17ROCPRIM_400000_NS6detail17trampoline_kernelINS0_14default_configENS1_20scan_config_selectorIiEEZZNS1_9scan_implILNS1_25lookback_scan_determinismE0ELb0ELb0ES3_N6thrust23THRUST_200600_302600_NS6detail15normal_iteratorINS9_10device_ptrIiEEEENS9_16discard_iteratorINS9_11use_defaultEEEiNS9_4plusIvEEiEEDaPvRmT3_T4_T5_mT6_P12ihipStream_tbENKUlT_T0_E_clISt17integral_constantIbLb0EESX_EEDaSS_ST_EUlSS_E_NS1_11comp_targetILNS1_3genE9ELNS1_11target_archE1100ELNS1_3gpuE3ELNS1_3repE0EEENS1_30default_config_static_selectorELNS0_4arch9wavefront6targetE1EEEvT1_
                                        ; -- End function
	.section	.AMDGPU.csdata,"",@progbits
; Kernel info:
; codeLenInByte = 0
; NumSgprs: 4
; NumVgprs: 0
; NumAgprs: 0
; TotalNumVgprs: 0
; ScratchSize: 0
; MemoryBound: 0
; FloatMode: 240
; IeeeMode: 1
; LDSByteSize: 0 bytes/workgroup (compile time only)
; SGPRBlocks: 0
; VGPRBlocks: 0
; NumSGPRsForWavesPerEU: 4
; NumVGPRsForWavesPerEU: 1
; AccumOffset: 4
; Occupancy: 8
; WaveLimiterHint : 0
; COMPUTE_PGM_RSRC2:SCRATCH_EN: 0
; COMPUTE_PGM_RSRC2:USER_SGPR: 6
; COMPUTE_PGM_RSRC2:TRAP_HANDLER: 0
; COMPUTE_PGM_RSRC2:TGID_X_EN: 1
; COMPUTE_PGM_RSRC2:TGID_Y_EN: 0
; COMPUTE_PGM_RSRC2:TGID_Z_EN: 0
; COMPUTE_PGM_RSRC2:TIDIG_COMP_CNT: 0
; COMPUTE_PGM_RSRC3_GFX90A:ACCUM_OFFSET: 0
; COMPUTE_PGM_RSRC3_GFX90A:TG_SPLIT: 0
	.section	.text._ZN7rocprim17ROCPRIM_400000_NS6detail17trampoline_kernelINS0_14default_configENS1_20scan_config_selectorIiEEZZNS1_9scan_implILNS1_25lookback_scan_determinismE0ELb0ELb0ES3_N6thrust23THRUST_200600_302600_NS6detail15normal_iteratorINS9_10device_ptrIiEEEENS9_16discard_iteratorINS9_11use_defaultEEEiNS9_4plusIvEEiEEDaPvRmT3_T4_T5_mT6_P12ihipStream_tbENKUlT_T0_E_clISt17integral_constantIbLb0EESX_EEDaSS_ST_EUlSS_E_NS1_11comp_targetILNS1_3genE8ELNS1_11target_archE1030ELNS1_3gpuE2ELNS1_3repE0EEENS1_30default_config_static_selectorELNS0_4arch9wavefront6targetE1EEEvT1_,"axG",@progbits,_ZN7rocprim17ROCPRIM_400000_NS6detail17trampoline_kernelINS0_14default_configENS1_20scan_config_selectorIiEEZZNS1_9scan_implILNS1_25lookback_scan_determinismE0ELb0ELb0ES3_N6thrust23THRUST_200600_302600_NS6detail15normal_iteratorINS9_10device_ptrIiEEEENS9_16discard_iteratorINS9_11use_defaultEEEiNS9_4plusIvEEiEEDaPvRmT3_T4_T5_mT6_P12ihipStream_tbENKUlT_T0_E_clISt17integral_constantIbLb0EESX_EEDaSS_ST_EUlSS_E_NS1_11comp_targetILNS1_3genE8ELNS1_11target_archE1030ELNS1_3gpuE2ELNS1_3repE0EEENS1_30default_config_static_selectorELNS0_4arch9wavefront6targetE1EEEvT1_,comdat
	.protected	_ZN7rocprim17ROCPRIM_400000_NS6detail17trampoline_kernelINS0_14default_configENS1_20scan_config_selectorIiEEZZNS1_9scan_implILNS1_25lookback_scan_determinismE0ELb0ELb0ES3_N6thrust23THRUST_200600_302600_NS6detail15normal_iteratorINS9_10device_ptrIiEEEENS9_16discard_iteratorINS9_11use_defaultEEEiNS9_4plusIvEEiEEDaPvRmT3_T4_T5_mT6_P12ihipStream_tbENKUlT_T0_E_clISt17integral_constantIbLb0EESX_EEDaSS_ST_EUlSS_E_NS1_11comp_targetILNS1_3genE8ELNS1_11target_archE1030ELNS1_3gpuE2ELNS1_3repE0EEENS1_30default_config_static_selectorELNS0_4arch9wavefront6targetE1EEEvT1_ ; -- Begin function _ZN7rocprim17ROCPRIM_400000_NS6detail17trampoline_kernelINS0_14default_configENS1_20scan_config_selectorIiEEZZNS1_9scan_implILNS1_25lookback_scan_determinismE0ELb0ELb0ES3_N6thrust23THRUST_200600_302600_NS6detail15normal_iteratorINS9_10device_ptrIiEEEENS9_16discard_iteratorINS9_11use_defaultEEEiNS9_4plusIvEEiEEDaPvRmT3_T4_T5_mT6_P12ihipStream_tbENKUlT_T0_E_clISt17integral_constantIbLb0EESX_EEDaSS_ST_EUlSS_E_NS1_11comp_targetILNS1_3genE8ELNS1_11target_archE1030ELNS1_3gpuE2ELNS1_3repE0EEENS1_30default_config_static_selectorELNS0_4arch9wavefront6targetE1EEEvT1_
	.globl	_ZN7rocprim17ROCPRIM_400000_NS6detail17trampoline_kernelINS0_14default_configENS1_20scan_config_selectorIiEEZZNS1_9scan_implILNS1_25lookback_scan_determinismE0ELb0ELb0ES3_N6thrust23THRUST_200600_302600_NS6detail15normal_iteratorINS9_10device_ptrIiEEEENS9_16discard_iteratorINS9_11use_defaultEEEiNS9_4plusIvEEiEEDaPvRmT3_T4_T5_mT6_P12ihipStream_tbENKUlT_T0_E_clISt17integral_constantIbLb0EESX_EEDaSS_ST_EUlSS_E_NS1_11comp_targetILNS1_3genE8ELNS1_11target_archE1030ELNS1_3gpuE2ELNS1_3repE0EEENS1_30default_config_static_selectorELNS0_4arch9wavefront6targetE1EEEvT1_
	.p2align	8
	.type	_ZN7rocprim17ROCPRIM_400000_NS6detail17trampoline_kernelINS0_14default_configENS1_20scan_config_selectorIiEEZZNS1_9scan_implILNS1_25lookback_scan_determinismE0ELb0ELb0ES3_N6thrust23THRUST_200600_302600_NS6detail15normal_iteratorINS9_10device_ptrIiEEEENS9_16discard_iteratorINS9_11use_defaultEEEiNS9_4plusIvEEiEEDaPvRmT3_T4_T5_mT6_P12ihipStream_tbENKUlT_T0_E_clISt17integral_constantIbLb0EESX_EEDaSS_ST_EUlSS_E_NS1_11comp_targetILNS1_3genE8ELNS1_11target_archE1030ELNS1_3gpuE2ELNS1_3repE0EEENS1_30default_config_static_selectorELNS0_4arch9wavefront6targetE1EEEvT1_,@function
_ZN7rocprim17ROCPRIM_400000_NS6detail17trampoline_kernelINS0_14default_configENS1_20scan_config_selectorIiEEZZNS1_9scan_implILNS1_25lookback_scan_determinismE0ELb0ELb0ES3_N6thrust23THRUST_200600_302600_NS6detail15normal_iteratorINS9_10device_ptrIiEEEENS9_16discard_iteratorINS9_11use_defaultEEEiNS9_4plusIvEEiEEDaPvRmT3_T4_T5_mT6_P12ihipStream_tbENKUlT_T0_E_clISt17integral_constantIbLb0EESX_EEDaSS_ST_EUlSS_E_NS1_11comp_targetILNS1_3genE8ELNS1_11target_archE1030ELNS1_3gpuE2ELNS1_3repE0EEENS1_30default_config_static_selectorELNS0_4arch9wavefront6targetE1EEEvT1_: ; @_ZN7rocprim17ROCPRIM_400000_NS6detail17trampoline_kernelINS0_14default_configENS1_20scan_config_selectorIiEEZZNS1_9scan_implILNS1_25lookback_scan_determinismE0ELb0ELb0ES3_N6thrust23THRUST_200600_302600_NS6detail15normal_iteratorINS9_10device_ptrIiEEEENS9_16discard_iteratorINS9_11use_defaultEEEiNS9_4plusIvEEiEEDaPvRmT3_T4_T5_mT6_P12ihipStream_tbENKUlT_T0_E_clISt17integral_constantIbLb0EESX_EEDaSS_ST_EUlSS_E_NS1_11comp_targetILNS1_3genE8ELNS1_11target_archE1030ELNS1_3gpuE2ELNS1_3repE0EEENS1_30default_config_static_selectorELNS0_4arch9wavefront6targetE1EEEvT1_
; %bb.0:
	.section	.rodata,"a",@progbits
	.p2align	6, 0x0
	.amdhsa_kernel _ZN7rocprim17ROCPRIM_400000_NS6detail17trampoline_kernelINS0_14default_configENS1_20scan_config_selectorIiEEZZNS1_9scan_implILNS1_25lookback_scan_determinismE0ELb0ELb0ES3_N6thrust23THRUST_200600_302600_NS6detail15normal_iteratorINS9_10device_ptrIiEEEENS9_16discard_iteratorINS9_11use_defaultEEEiNS9_4plusIvEEiEEDaPvRmT3_T4_T5_mT6_P12ihipStream_tbENKUlT_T0_E_clISt17integral_constantIbLb0EESX_EEDaSS_ST_EUlSS_E_NS1_11comp_targetILNS1_3genE8ELNS1_11target_archE1030ELNS1_3gpuE2ELNS1_3repE0EEENS1_30default_config_static_selectorELNS0_4arch9wavefront6targetE1EEEvT1_
		.amdhsa_group_segment_fixed_size 0
		.amdhsa_private_segment_fixed_size 0
		.amdhsa_kernarg_size 104
		.amdhsa_user_sgpr_count 6
		.amdhsa_user_sgpr_private_segment_buffer 1
		.amdhsa_user_sgpr_dispatch_ptr 0
		.amdhsa_user_sgpr_queue_ptr 0
		.amdhsa_user_sgpr_kernarg_segment_ptr 1
		.amdhsa_user_sgpr_dispatch_id 0
		.amdhsa_user_sgpr_flat_scratch_init 0
		.amdhsa_user_sgpr_kernarg_preload_length 0
		.amdhsa_user_sgpr_kernarg_preload_offset 0
		.amdhsa_user_sgpr_private_segment_size 0
		.amdhsa_uses_dynamic_stack 0
		.amdhsa_system_sgpr_private_segment_wavefront_offset 0
		.amdhsa_system_sgpr_workgroup_id_x 1
		.amdhsa_system_sgpr_workgroup_id_y 0
		.amdhsa_system_sgpr_workgroup_id_z 0
		.amdhsa_system_sgpr_workgroup_info 0
		.amdhsa_system_vgpr_workitem_id 0
		.amdhsa_next_free_vgpr 1
		.amdhsa_next_free_sgpr 0
		.amdhsa_accum_offset 4
		.amdhsa_reserve_vcc 0
		.amdhsa_reserve_flat_scratch 0
		.amdhsa_float_round_mode_32 0
		.amdhsa_float_round_mode_16_64 0
		.amdhsa_float_denorm_mode_32 3
		.amdhsa_float_denorm_mode_16_64 3
		.amdhsa_dx10_clamp 1
		.amdhsa_ieee_mode 1
		.amdhsa_fp16_overflow 0
		.amdhsa_tg_split 0
		.amdhsa_exception_fp_ieee_invalid_op 0
		.amdhsa_exception_fp_denorm_src 0
		.amdhsa_exception_fp_ieee_div_zero 0
		.amdhsa_exception_fp_ieee_overflow 0
		.amdhsa_exception_fp_ieee_underflow 0
		.amdhsa_exception_fp_ieee_inexact 0
		.amdhsa_exception_int_div_zero 0
	.end_amdhsa_kernel
	.section	.text._ZN7rocprim17ROCPRIM_400000_NS6detail17trampoline_kernelINS0_14default_configENS1_20scan_config_selectorIiEEZZNS1_9scan_implILNS1_25lookback_scan_determinismE0ELb0ELb0ES3_N6thrust23THRUST_200600_302600_NS6detail15normal_iteratorINS9_10device_ptrIiEEEENS9_16discard_iteratorINS9_11use_defaultEEEiNS9_4plusIvEEiEEDaPvRmT3_T4_T5_mT6_P12ihipStream_tbENKUlT_T0_E_clISt17integral_constantIbLb0EESX_EEDaSS_ST_EUlSS_E_NS1_11comp_targetILNS1_3genE8ELNS1_11target_archE1030ELNS1_3gpuE2ELNS1_3repE0EEENS1_30default_config_static_selectorELNS0_4arch9wavefront6targetE1EEEvT1_,"axG",@progbits,_ZN7rocprim17ROCPRIM_400000_NS6detail17trampoline_kernelINS0_14default_configENS1_20scan_config_selectorIiEEZZNS1_9scan_implILNS1_25lookback_scan_determinismE0ELb0ELb0ES3_N6thrust23THRUST_200600_302600_NS6detail15normal_iteratorINS9_10device_ptrIiEEEENS9_16discard_iteratorINS9_11use_defaultEEEiNS9_4plusIvEEiEEDaPvRmT3_T4_T5_mT6_P12ihipStream_tbENKUlT_T0_E_clISt17integral_constantIbLb0EESX_EEDaSS_ST_EUlSS_E_NS1_11comp_targetILNS1_3genE8ELNS1_11target_archE1030ELNS1_3gpuE2ELNS1_3repE0EEENS1_30default_config_static_selectorELNS0_4arch9wavefront6targetE1EEEvT1_,comdat
.Lfunc_end5734:
	.size	_ZN7rocprim17ROCPRIM_400000_NS6detail17trampoline_kernelINS0_14default_configENS1_20scan_config_selectorIiEEZZNS1_9scan_implILNS1_25lookback_scan_determinismE0ELb0ELb0ES3_N6thrust23THRUST_200600_302600_NS6detail15normal_iteratorINS9_10device_ptrIiEEEENS9_16discard_iteratorINS9_11use_defaultEEEiNS9_4plusIvEEiEEDaPvRmT3_T4_T5_mT6_P12ihipStream_tbENKUlT_T0_E_clISt17integral_constantIbLb0EESX_EEDaSS_ST_EUlSS_E_NS1_11comp_targetILNS1_3genE8ELNS1_11target_archE1030ELNS1_3gpuE2ELNS1_3repE0EEENS1_30default_config_static_selectorELNS0_4arch9wavefront6targetE1EEEvT1_, .Lfunc_end5734-_ZN7rocprim17ROCPRIM_400000_NS6detail17trampoline_kernelINS0_14default_configENS1_20scan_config_selectorIiEEZZNS1_9scan_implILNS1_25lookback_scan_determinismE0ELb0ELb0ES3_N6thrust23THRUST_200600_302600_NS6detail15normal_iteratorINS9_10device_ptrIiEEEENS9_16discard_iteratorINS9_11use_defaultEEEiNS9_4plusIvEEiEEDaPvRmT3_T4_T5_mT6_P12ihipStream_tbENKUlT_T0_E_clISt17integral_constantIbLb0EESX_EEDaSS_ST_EUlSS_E_NS1_11comp_targetILNS1_3genE8ELNS1_11target_archE1030ELNS1_3gpuE2ELNS1_3repE0EEENS1_30default_config_static_selectorELNS0_4arch9wavefront6targetE1EEEvT1_
                                        ; -- End function
	.section	.AMDGPU.csdata,"",@progbits
; Kernel info:
; codeLenInByte = 0
; NumSgprs: 4
; NumVgprs: 0
; NumAgprs: 0
; TotalNumVgprs: 0
; ScratchSize: 0
; MemoryBound: 0
; FloatMode: 240
; IeeeMode: 1
; LDSByteSize: 0 bytes/workgroup (compile time only)
; SGPRBlocks: 0
; VGPRBlocks: 0
; NumSGPRsForWavesPerEU: 4
; NumVGPRsForWavesPerEU: 1
; AccumOffset: 4
; Occupancy: 8
; WaveLimiterHint : 0
; COMPUTE_PGM_RSRC2:SCRATCH_EN: 0
; COMPUTE_PGM_RSRC2:USER_SGPR: 6
; COMPUTE_PGM_RSRC2:TRAP_HANDLER: 0
; COMPUTE_PGM_RSRC2:TGID_X_EN: 1
; COMPUTE_PGM_RSRC2:TGID_Y_EN: 0
; COMPUTE_PGM_RSRC2:TGID_Z_EN: 0
; COMPUTE_PGM_RSRC2:TIDIG_COMP_CNT: 0
; COMPUTE_PGM_RSRC3_GFX90A:ACCUM_OFFSET: 0
; COMPUTE_PGM_RSRC3_GFX90A:TG_SPLIT: 0
	.section	.text._ZN7rocprim17ROCPRIM_400000_NS6detail17trampoline_kernelINS0_14default_configENS1_20scan_config_selectorIiEEZZNS1_9scan_implILNS1_25lookback_scan_determinismE0ELb0ELb0ES3_N6thrust23THRUST_200600_302600_NS6detail15normal_iteratorINS9_10device_ptrIiEEEENS9_16discard_iteratorINS9_11use_defaultEEEiNS9_4plusIvEEiEEDaPvRmT3_T4_T5_mT6_P12ihipStream_tbENKUlT_T0_E_clISt17integral_constantIbLb0EESX_EEDaSS_ST_EUlSS_E0_NS1_11comp_targetILNS1_3genE0ELNS1_11target_archE4294967295ELNS1_3gpuE0ELNS1_3repE0EEENS1_30default_config_static_selectorELNS0_4arch9wavefront6targetE1EEEvT1_,"axG",@progbits,_ZN7rocprim17ROCPRIM_400000_NS6detail17trampoline_kernelINS0_14default_configENS1_20scan_config_selectorIiEEZZNS1_9scan_implILNS1_25lookback_scan_determinismE0ELb0ELb0ES3_N6thrust23THRUST_200600_302600_NS6detail15normal_iteratorINS9_10device_ptrIiEEEENS9_16discard_iteratorINS9_11use_defaultEEEiNS9_4plusIvEEiEEDaPvRmT3_T4_T5_mT6_P12ihipStream_tbENKUlT_T0_E_clISt17integral_constantIbLb0EESX_EEDaSS_ST_EUlSS_E0_NS1_11comp_targetILNS1_3genE0ELNS1_11target_archE4294967295ELNS1_3gpuE0ELNS1_3repE0EEENS1_30default_config_static_selectorELNS0_4arch9wavefront6targetE1EEEvT1_,comdat
	.protected	_ZN7rocprim17ROCPRIM_400000_NS6detail17trampoline_kernelINS0_14default_configENS1_20scan_config_selectorIiEEZZNS1_9scan_implILNS1_25lookback_scan_determinismE0ELb0ELb0ES3_N6thrust23THRUST_200600_302600_NS6detail15normal_iteratorINS9_10device_ptrIiEEEENS9_16discard_iteratorINS9_11use_defaultEEEiNS9_4plusIvEEiEEDaPvRmT3_T4_T5_mT6_P12ihipStream_tbENKUlT_T0_E_clISt17integral_constantIbLb0EESX_EEDaSS_ST_EUlSS_E0_NS1_11comp_targetILNS1_3genE0ELNS1_11target_archE4294967295ELNS1_3gpuE0ELNS1_3repE0EEENS1_30default_config_static_selectorELNS0_4arch9wavefront6targetE1EEEvT1_ ; -- Begin function _ZN7rocprim17ROCPRIM_400000_NS6detail17trampoline_kernelINS0_14default_configENS1_20scan_config_selectorIiEEZZNS1_9scan_implILNS1_25lookback_scan_determinismE0ELb0ELb0ES3_N6thrust23THRUST_200600_302600_NS6detail15normal_iteratorINS9_10device_ptrIiEEEENS9_16discard_iteratorINS9_11use_defaultEEEiNS9_4plusIvEEiEEDaPvRmT3_T4_T5_mT6_P12ihipStream_tbENKUlT_T0_E_clISt17integral_constantIbLb0EESX_EEDaSS_ST_EUlSS_E0_NS1_11comp_targetILNS1_3genE0ELNS1_11target_archE4294967295ELNS1_3gpuE0ELNS1_3repE0EEENS1_30default_config_static_selectorELNS0_4arch9wavefront6targetE1EEEvT1_
	.globl	_ZN7rocprim17ROCPRIM_400000_NS6detail17trampoline_kernelINS0_14default_configENS1_20scan_config_selectorIiEEZZNS1_9scan_implILNS1_25lookback_scan_determinismE0ELb0ELb0ES3_N6thrust23THRUST_200600_302600_NS6detail15normal_iteratorINS9_10device_ptrIiEEEENS9_16discard_iteratorINS9_11use_defaultEEEiNS9_4plusIvEEiEEDaPvRmT3_T4_T5_mT6_P12ihipStream_tbENKUlT_T0_E_clISt17integral_constantIbLb0EESX_EEDaSS_ST_EUlSS_E0_NS1_11comp_targetILNS1_3genE0ELNS1_11target_archE4294967295ELNS1_3gpuE0ELNS1_3repE0EEENS1_30default_config_static_selectorELNS0_4arch9wavefront6targetE1EEEvT1_
	.p2align	8
	.type	_ZN7rocprim17ROCPRIM_400000_NS6detail17trampoline_kernelINS0_14default_configENS1_20scan_config_selectorIiEEZZNS1_9scan_implILNS1_25lookback_scan_determinismE0ELb0ELb0ES3_N6thrust23THRUST_200600_302600_NS6detail15normal_iteratorINS9_10device_ptrIiEEEENS9_16discard_iteratorINS9_11use_defaultEEEiNS9_4plusIvEEiEEDaPvRmT3_T4_T5_mT6_P12ihipStream_tbENKUlT_T0_E_clISt17integral_constantIbLb0EESX_EEDaSS_ST_EUlSS_E0_NS1_11comp_targetILNS1_3genE0ELNS1_11target_archE4294967295ELNS1_3gpuE0ELNS1_3repE0EEENS1_30default_config_static_selectorELNS0_4arch9wavefront6targetE1EEEvT1_,@function
_ZN7rocprim17ROCPRIM_400000_NS6detail17trampoline_kernelINS0_14default_configENS1_20scan_config_selectorIiEEZZNS1_9scan_implILNS1_25lookback_scan_determinismE0ELb0ELb0ES3_N6thrust23THRUST_200600_302600_NS6detail15normal_iteratorINS9_10device_ptrIiEEEENS9_16discard_iteratorINS9_11use_defaultEEEiNS9_4plusIvEEiEEDaPvRmT3_T4_T5_mT6_P12ihipStream_tbENKUlT_T0_E_clISt17integral_constantIbLb0EESX_EEDaSS_ST_EUlSS_E0_NS1_11comp_targetILNS1_3genE0ELNS1_11target_archE4294967295ELNS1_3gpuE0ELNS1_3repE0EEENS1_30default_config_static_selectorELNS0_4arch9wavefront6targetE1EEEvT1_: ; @_ZN7rocprim17ROCPRIM_400000_NS6detail17trampoline_kernelINS0_14default_configENS1_20scan_config_selectorIiEEZZNS1_9scan_implILNS1_25lookback_scan_determinismE0ELb0ELb0ES3_N6thrust23THRUST_200600_302600_NS6detail15normal_iteratorINS9_10device_ptrIiEEEENS9_16discard_iteratorINS9_11use_defaultEEEiNS9_4plusIvEEiEEDaPvRmT3_T4_T5_mT6_P12ihipStream_tbENKUlT_T0_E_clISt17integral_constantIbLb0EESX_EEDaSS_ST_EUlSS_E0_NS1_11comp_targetILNS1_3genE0ELNS1_11target_archE4294967295ELNS1_3gpuE0ELNS1_3repE0EEENS1_30default_config_static_selectorELNS0_4arch9wavefront6targetE1EEEvT1_
; %bb.0:
	.section	.rodata,"a",@progbits
	.p2align	6, 0x0
	.amdhsa_kernel _ZN7rocprim17ROCPRIM_400000_NS6detail17trampoline_kernelINS0_14default_configENS1_20scan_config_selectorIiEEZZNS1_9scan_implILNS1_25lookback_scan_determinismE0ELb0ELb0ES3_N6thrust23THRUST_200600_302600_NS6detail15normal_iteratorINS9_10device_ptrIiEEEENS9_16discard_iteratorINS9_11use_defaultEEEiNS9_4plusIvEEiEEDaPvRmT3_T4_T5_mT6_P12ihipStream_tbENKUlT_T0_E_clISt17integral_constantIbLb0EESX_EEDaSS_ST_EUlSS_E0_NS1_11comp_targetILNS1_3genE0ELNS1_11target_archE4294967295ELNS1_3gpuE0ELNS1_3repE0EEENS1_30default_config_static_selectorELNS0_4arch9wavefront6targetE1EEEvT1_
		.amdhsa_group_segment_fixed_size 0
		.amdhsa_private_segment_fixed_size 0
		.amdhsa_kernarg_size 40
		.amdhsa_user_sgpr_count 6
		.amdhsa_user_sgpr_private_segment_buffer 1
		.amdhsa_user_sgpr_dispatch_ptr 0
		.amdhsa_user_sgpr_queue_ptr 0
		.amdhsa_user_sgpr_kernarg_segment_ptr 1
		.amdhsa_user_sgpr_dispatch_id 0
		.amdhsa_user_sgpr_flat_scratch_init 0
		.amdhsa_user_sgpr_kernarg_preload_length 0
		.amdhsa_user_sgpr_kernarg_preload_offset 0
		.amdhsa_user_sgpr_private_segment_size 0
		.amdhsa_uses_dynamic_stack 0
		.amdhsa_system_sgpr_private_segment_wavefront_offset 0
		.amdhsa_system_sgpr_workgroup_id_x 1
		.amdhsa_system_sgpr_workgroup_id_y 0
		.amdhsa_system_sgpr_workgroup_id_z 0
		.amdhsa_system_sgpr_workgroup_info 0
		.amdhsa_system_vgpr_workitem_id 0
		.amdhsa_next_free_vgpr 1
		.amdhsa_next_free_sgpr 0
		.amdhsa_accum_offset 4
		.amdhsa_reserve_vcc 0
		.amdhsa_reserve_flat_scratch 0
		.amdhsa_float_round_mode_32 0
		.amdhsa_float_round_mode_16_64 0
		.amdhsa_float_denorm_mode_32 3
		.amdhsa_float_denorm_mode_16_64 3
		.amdhsa_dx10_clamp 1
		.amdhsa_ieee_mode 1
		.amdhsa_fp16_overflow 0
		.amdhsa_tg_split 0
		.amdhsa_exception_fp_ieee_invalid_op 0
		.amdhsa_exception_fp_denorm_src 0
		.amdhsa_exception_fp_ieee_div_zero 0
		.amdhsa_exception_fp_ieee_overflow 0
		.amdhsa_exception_fp_ieee_underflow 0
		.amdhsa_exception_fp_ieee_inexact 0
		.amdhsa_exception_int_div_zero 0
	.end_amdhsa_kernel
	.section	.text._ZN7rocprim17ROCPRIM_400000_NS6detail17trampoline_kernelINS0_14default_configENS1_20scan_config_selectorIiEEZZNS1_9scan_implILNS1_25lookback_scan_determinismE0ELb0ELb0ES3_N6thrust23THRUST_200600_302600_NS6detail15normal_iteratorINS9_10device_ptrIiEEEENS9_16discard_iteratorINS9_11use_defaultEEEiNS9_4plusIvEEiEEDaPvRmT3_T4_T5_mT6_P12ihipStream_tbENKUlT_T0_E_clISt17integral_constantIbLb0EESX_EEDaSS_ST_EUlSS_E0_NS1_11comp_targetILNS1_3genE0ELNS1_11target_archE4294967295ELNS1_3gpuE0ELNS1_3repE0EEENS1_30default_config_static_selectorELNS0_4arch9wavefront6targetE1EEEvT1_,"axG",@progbits,_ZN7rocprim17ROCPRIM_400000_NS6detail17trampoline_kernelINS0_14default_configENS1_20scan_config_selectorIiEEZZNS1_9scan_implILNS1_25lookback_scan_determinismE0ELb0ELb0ES3_N6thrust23THRUST_200600_302600_NS6detail15normal_iteratorINS9_10device_ptrIiEEEENS9_16discard_iteratorINS9_11use_defaultEEEiNS9_4plusIvEEiEEDaPvRmT3_T4_T5_mT6_P12ihipStream_tbENKUlT_T0_E_clISt17integral_constantIbLb0EESX_EEDaSS_ST_EUlSS_E0_NS1_11comp_targetILNS1_3genE0ELNS1_11target_archE4294967295ELNS1_3gpuE0ELNS1_3repE0EEENS1_30default_config_static_selectorELNS0_4arch9wavefront6targetE1EEEvT1_,comdat
.Lfunc_end5735:
	.size	_ZN7rocprim17ROCPRIM_400000_NS6detail17trampoline_kernelINS0_14default_configENS1_20scan_config_selectorIiEEZZNS1_9scan_implILNS1_25lookback_scan_determinismE0ELb0ELb0ES3_N6thrust23THRUST_200600_302600_NS6detail15normal_iteratorINS9_10device_ptrIiEEEENS9_16discard_iteratorINS9_11use_defaultEEEiNS9_4plusIvEEiEEDaPvRmT3_T4_T5_mT6_P12ihipStream_tbENKUlT_T0_E_clISt17integral_constantIbLb0EESX_EEDaSS_ST_EUlSS_E0_NS1_11comp_targetILNS1_3genE0ELNS1_11target_archE4294967295ELNS1_3gpuE0ELNS1_3repE0EEENS1_30default_config_static_selectorELNS0_4arch9wavefront6targetE1EEEvT1_, .Lfunc_end5735-_ZN7rocprim17ROCPRIM_400000_NS6detail17trampoline_kernelINS0_14default_configENS1_20scan_config_selectorIiEEZZNS1_9scan_implILNS1_25lookback_scan_determinismE0ELb0ELb0ES3_N6thrust23THRUST_200600_302600_NS6detail15normal_iteratorINS9_10device_ptrIiEEEENS9_16discard_iteratorINS9_11use_defaultEEEiNS9_4plusIvEEiEEDaPvRmT3_T4_T5_mT6_P12ihipStream_tbENKUlT_T0_E_clISt17integral_constantIbLb0EESX_EEDaSS_ST_EUlSS_E0_NS1_11comp_targetILNS1_3genE0ELNS1_11target_archE4294967295ELNS1_3gpuE0ELNS1_3repE0EEENS1_30default_config_static_selectorELNS0_4arch9wavefront6targetE1EEEvT1_
                                        ; -- End function
	.section	.AMDGPU.csdata,"",@progbits
; Kernel info:
; codeLenInByte = 0
; NumSgprs: 4
; NumVgprs: 0
; NumAgprs: 0
; TotalNumVgprs: 0
; ScratchSize: 0
; MemoryBound: 0
; FloatMode: 240
; IeeeMode: 1
; LDSByteSize: 0 bytes/workgroup (compile time only)
; SGPRBlocks: 0
; VGPRBlocks: 0
; NumSGPRsForWavesPerEU: 4
; NumVGPRsForWavesPerEU: 1
; AccumOffset: 4
; Occupancy: 8
; WaveLimiterHint : 0
; COMPUTE_PGM_RSRC2:SCRATCH_EN: 0
; COMPUTE_PGM_RSRC2:USER_SGPR: 6
; COMPUTE_PGM_RSRC2:TRAP_HANDLER: 0
; COMPUTE_PGM_RSRC2:TGID_X_EN: 1
; COMPUTE_PGM_RSRC2:TGID_Y_EN: 0
; COMPUTE_PGM_RSRC2:TGID_Z_EN: 0
; COMPUTE_PGM_RSRC2:TIDIG_COMP_CNT: 0
; COMPUTE_PGM_RSRC3_GFX90A:ACCUM_OFFSET: 0
; COMPUTE_PGM_RSRC3_GFX90A:TG_SPLIT: 0
	.section	.text._ZN7rocprim17ROCPRIM_400000_NS6detail17trampoline_kernelINS0_14default_configENS1_20scan_config_selectorIiEEZZNS1_9scan_implILNS1_25lookback_scan_determinismE0ELb0ELb0ES3_N6thrust23THRUST_200600_302600_NS6detail15normal_iteratorINS9_10device_ptrIiEEEENS9_16discard_iteratorINS9_11use_defaultEEEiNS9_4plusIvEEiEEDaPvRmT3_T4_T5_mT6_P12ihipStream_tbENKUlT_T0_E_clISt17integral_constantIbLb0EESX_EEDaSS_ST_EUlSS_E0_NS1_11comp_targetILNS1_3genE5ELNS1_11target_archE942ELNS1_3gpuE9ELNS1_3repE0EEENS1_30default_config_static_selectorELNS0_4arch9wavefront6targetE1EEEvT1_,"axG",@progbits,_ZN7rocprim17ROCPRIM_400000_NS6detail17trampoline_kernelINS0_14default_configENS1_20scan_config_selectorIiEEZZNS1_9scan_implILNS1_25lookback_scan_determinismE0ELb0ELb0ES3_N6thrust23THRUST_200600_302600_NS6detail15normal_iteratorINS9_10device_ptrIiEEEENS9_16discard_iteratorINS9_11use_defaultEEEiNS9_4plusIvEEiEEDaPvRmT3_T4_T5_mT6_P12ihipStream_tbENKUlT_T0_E_clISt17integral_constantIbLb0EESX_EEDaSS_ST_EUlSS_E0_NS1_11comp_targetILNS1_3genE5ELNS1_11target_archE942ELNS1_3gpuE9ELNS1_3repE0EEENS1_30default_config_static_selectorELNS0_4arch9wavefront6targetE1EEEvT1_,comdat
	.protected	_ZN7rocprim17ROCPRIM_400000_NS6detail17trampoline_kernelINS0_14default_configENS1_20scan_config_selectorIiEEZZNS1_9scan_implILNS1_25lookback_scan_determinismE0ELb0ELb0ES3_N6thrust23THRUST_200600_302600_NS6detail15normal_iteratorINS9_10device_ptrIiEEEENS9_16discard_iteratorINS9_11use_defaultEEEiNS9_4plusIvEEiEEDaPvRmT3_T4_T5_mT6_P12ihipStream_tbENKUlT_T0_E_clISt17integral_constantIbLb0EESX_EEDaSS_ST_EUlSS_E0_NS1_11comp_targetILNS1_3genE5ELNS1_11target_archE942ELNS1_3gpuE9ELNS1_3repE0EEENS1_30default_config_static_selectorELNS0_4arch9wavefront6targetE1EEEvT1_ ; -- Begin function _ZN7rocprim17ROCPRIM_400000_NS6detail17trampoline_kernelINS0_14default_configENS1_20scan_config_selectorIiEEZZNS1_9scan_implILNS1_25lookback_scan_determinismE0ELb0ELb0ES3_N6thrust23THRUST_200600_302600_NS6detail15normal_iteratorINS9_10device_ptrIiEEEENS9_16discard_iteratorINS9_11use_defaultEEEiNS9_4plusIvEEiEEDaPvRmT3_T4_T5_mT6_P12ihipStream_tbENKUlT_T0_E_clISt17integral_constantIbLb0EESX_EEDaSS_ST_EUlSS_E0_NS1_11comp_targetILNS1_3genE5ELNS1_11target_archE942ELNS1_3gpuE9ELNS1_3repE0EEENS1_30default_config_static_selectorELNS0_4arch9wavefront6targetE1EEEvT1_
	.globl	_ZN7rocprim17ROCPRIM_400000_NS6detail17trampoline_kernelINS0_14default_configENS1_20scan_config_selectorIiEEZZNS1_9scan_implILNS1_25lookback_scan_determinismE0ELb0ELb0ES3_N6thrust23THRUST_200600_302600_NS6detail15normal_iteratorINS9_10device_ptrIiEEEENS9_16discard_iteratorINS9_11use_defaultEEEiNS9_4plusIvEEiEEDaPvRmT3_T4_T5_mT6_P12ihipStream_tbENKUlT_T0_E_clISt17integral_constantIbLb0EESX_EEDaSS_ST_EUlSS_E0_NS1_11comp_targetILNS1_3genE5ELNS1_11target_archE942ELNS1_3gpuE9ELNS1_3repE0EEENS1_30default_config_static_selectorELNS0_4arch9wavefront6targetE1EEEvT1_
	.p2align	8
	.type	_ZN7rocprim17ROCPRIM_400000_NS6detail17trampoline_kernelINS0_14default_configENS1_20scan_config_selectorIiEEZZNS1_9scan_implILNS1_25lookback_scan_determinismE0ELb0ELb0ES3_N6thrust23THRUST_200600_302600_NS6detail15normal_iteratorINS9_10device_ptrIiEEEENS9_16discard_iteratorINS9_11use_defaultEEEiNS9_4plusIvEEiEEDaPvRmT3_T4_T5_mT6_P12ihipStream_tbENKUlT_T0_E_clISt17integral_constantIbLb0EESX_EEDaSS_ST_EUlSS_E0_NS1_11comp_targetILNS1_3genE5ELNS1_11target_archE942ELNS1_3gpuE9ELNS1_3repE0EEENS1_30default_config_static_selectorELNS0_4arch9wavefront6targetE1EEEvT1_,@function
_ZN7rocprim17ROCPRIM_400000_NS6detail17trampoline_kernelINS0_14default_configENS1_20scan_config_selectorIiEEZZNS1_9scan_implILNS1_25lookback_scan_determinismE0ELb0ELb0ES3_N6thrust23THRUST_200600_302600_NS6detail15normal_iteratorINS9_10device_ptrIiEEEENS9_16discard_iteratorINS9_11use_defaultEEEiNS9_4plusIvEEiEEDaPvRmT3_T4_T5_mT6_P12ihipStream_tbENKUlT_T0_E_clISt17integral_constantIbLb0EESX_EEDaSS_ST_EUlSS_E0_NS1_11comp_targetILNS1_3genE5ELNS1_11target_archE942ELNS1_3gpuE9ELNS1_3repE0EEENS1_30default_config_static_selectorELNS0_4arch9wavefront6targetE1EEEvT1_: ; @_ZN7rocprim17ROCPRIM_400000_NS6detail17trampoline_kernelINS0_14default_configENS1_20scan_config_selectorIiEEZZNS1_9scan_implILNS1_25lookback_scan_determinismE0ELb0ELb0ES3_N6thrust23THRUST_200600_302600_NS6detail15normal_iteratorINS9_10device_ptrIiEEEENS9_16discard_iteratorINS9_11use_defaultEEEiNS9_4plusIvEEiEEDaPvRmT3_T4_T5_mT6_P12ihipStream_tbENKUlT_T0_E_clISt17integral_constantIbLb0EESX_EEDaSS_ST_EUlSS_E0_NS1_11comp_targetILNS1_3genE5ELNS1_11target_archE942ELNS1_3gpuE9ELNS1_3repE0EEENS1_30default_config_static_selectorELNS0_4arch9wavefront6targetE1EEEvT1_
; %bb.0:
	.section	.rodata,"a",@progbits
	.p2align	6, 0x0
	.amdhsa_kernel _ZN7rocprim17ROCPRIM_400000_NS6detail17trampoline_kernelINS0_14default_configENS1_20scan_config_selectorIiEEZZNS1_9scan_implILNS1_25lookback_scan_determinismE0ELb0ELb0ES3_N6thrust23THRUST_200600_302600_NS6detail15normal_iteratorINS9_10device_ptrIiEEEENS9_16discard_iteratorINS9_11use_defaultEEEiNS9_4plusIvEEiEEDaPvRmT3_T4_T5_mT6_P12ihipStream_tbENKUlT_T0_E_clISt17integral_constantIbLb0EESX_EEDaSS_ST_EUlSS_E0_NS1_11comp_targetILNS1_3genE5ELNS1_11target_archE942ELNS1_3gpuE9ELNS1_3repE0EEENS1_30default_config_static_selectorELNS0_4arch9wavefront6targetE1EEEvT1_
		.amdhsa_group_segment_fixed_size 0
		.amdhsa_private_segment_fixed_size 0
		.amdhsa_kernarg_size 40
		.amdhsa_user_sgpr_count 6
		.amdhsa_user_sgpr_private_segment_buffer 1
		.amdhsa_user_sgpr_dispatch_ptr 0
		.amdhsa_user_sgpr_queue_ptr 0
		.amdhsa_user_sgpr_kernarg_segment_ptr 1
		.amdhsa_user_sgpr_dispatch_id 0
		.amdhsa_user_sgpr_flat_scratch_init 0
		.amdhsa_user_sgpr_kernarg_preload_length 0
		.amdhsa_user_sgpr_kernarg_preload_offset 0
		.amdhsa_user_sgpr_private_segment_size 0
		.amdhsa_uses_dynamic_stack 0
		.amdhsa_system_sgpr_private_segment_wavefront_offset 0
		.amdhsa_system_sgpr_workgroup_id_x 1
		.amdhsa_system_sgpr_workgroup_id_y 0
		.amdhsa_system_sgpr_workgroup_id_z 0
		.amdhsa_system_sgpr_workgroup_info 0
		.amdhsa_system_vgpr_workitem_id 0
		.amdhsa_next_free_vgpr 1
		.amdhsa_next_free_sgpr 0
		.amdhsa_accum_offset 4
		.amdhsa_reserve_vcc 0
		.amdhsa_reserve_flat_scratch 0
		.amdhsa_float_round_mode_32 0
		.amdhsa_float_round_mode_16_64 0
		.amdhsa_float_denorm_mode_32 3
		.amdhsa_float_denorm_mode_16_64 3
		.amdhsa_dx10_clamp 1
		.amdhsa_ieee_mode 1
		.amdhsa_fp16_overflow 0
		.amdhsa_tg_split 0
		.amdhsa_exception_fp_ieee_invalid_op 0
		.amdhsa_exception_fp_denorm_src 0
		.amdhsa_exception_fp_ieee_div_zero 0
		.amdhsa_exception_fp_ieee_overflow 0
		.amdhsa_exception_fp_ieee_underflow 0
		.amdhsa_exception_fp_ieee_inexact 0
		.amdhsa_exception_int_div_zero 0
	.end_amdhsa_kernel
	.section	.text._ZN7rocprim17ROCPRIM_400000_NS6detail17trampoline_kernelINS0_14default_configENS1_20scan_config_selectorIiEEZZNS1_9scan_implILNS1_25lookback_scan_determinismE0ELb0ELb0ES3_N6thrust23THRUST_200600_302600_NS6detail15normal_iteratorINS9_10device_ptrIiEEEENS9_16discard_iteratorINS9_11use_defaultEEEiNS9_4plusIvEEiEEDaPvRmT3_T4_T5_mT6_P12ihipStream_tbENKUlT_T0_E_clISt17integral_constantIbLb0EESX_EEDaSS_ST_EUlSS_E0_NS1_11comp_targetILNS1_3genE5ELNS1_11target_archE942ELNS1_3gpuE9ELNS1_3repE0EEENS1_30default_config_static_selectorELNS0_4arch9wavefront6targetE1EEEvT1_,"axG",@progbits,_ZN7rocprim17ROCPRIM_400000_NS6detail17trampoline_kernelINS0_14default_configENS1_20scan_config_selectorIiEEZZNS1_9scan_implILNS1_25lookback_scan_determinismE0ELb0ELb0ES3_N6thrust23THRUST_200600_302600_NS6detail15normal_iteratorINS9_10device_ptrIiEEEENS9_16discard_iteratorINS9_11use_defaultEEEiNS9_4plusIvEEiEEDaPvRmT3_T4_T5_mT6_P12ihipStream_tbENKUlT_T0_E_clISt17integral_constantIbLb0EESX_EEDaSS_ST_EUlSS_E0_NS1_11comp_targetILNS1_3genE5ELNS1_11target_archE942ELNS1_3gpuE9ELNS1_3repE0EEENS1_30default_config_static_selectorELNS0_4arch9wavefront6targetE1EEEvT1_,comdat
.Lfunc_end5736:
	.size	_ZN7rocprim17ROCPRIM_400000_NS6detail17trampoline_kernelINS0_14default_configENS1_20scan_config_selectorIiEEZZNS1_9scan_implILNS1_25lookback_scan_determinismE0ELb0ELb0ES3_N6thrust23THRUST_200600_302600_NS6detail15normal_iteratorINS9_10device_ptrIiEEEENS9_16discard_iteratorINS9_11use_defaultEEEiNS9_4plusIvEEiEEDaPvRmT3_T4_T5_mT6_P12ihipStream_tbENKUlT_T0_E_clISt17integral_constantIbLb0EESX_EEDaSS_ST_EUlSS_E0_NS1_11comp_targetILNS1_3genE5ELNS1_11target_archE942ELNS1_3gpuE9ELNS1_3repE0EEENS1_30default_config_static_selectorELNS0_4arch9wavefront6targetE1EEEvT1_, .Lfunc_end5736-_ZN7rocprim17ROCPRIM_400000_NS6detail17trampoline_kernelINS0_14default_configENS1_20scan_config_selectorIiEEZZNS1_9scan_implILNS1_25lookback_scan_determinismE0ELb0ELb0ES3_N6thrust23THRUST_200600_302600_NS6detail15normal_iteratorINS9_10device_ptrIiEEEENS9_16discard_iteratorINS9_11use_defaultEEEiNS9_4plusIvEEiEEDaPvRmT3_T4_T5_mT6_P12ihipStream_tbENKUlT_T0_E_clISt17integral_constantIbLb0EESX_EEDaSS_ST_EUlSS_E0_NS1_11comp_targetILNS1_3genE5ELNS1_11target_archE942ELNS1_3gpuE9ELNS1_3repE0EEENS1_30default_config_static_selectorELNS0_4arch9wavefront6targetE1EEEvT1_
                                        ; -- End function
	.section	.AMDGPU.csdata,"",@progbits
; Kernel info:
; codeLenInByte = 0
; NumSgprs: 4
; NumVgprs: 0
; NumAgprs: 0
; TotalNumVgprs: 0
; ScratchSize: 0
; MemoryBound: 0
; FloatMode: 240
; IeeeMode: 1
; LDSByteSize: 0 bytes/workgroup (compile time only)
; SGPRBlocks: 0
; VGPRBlocks: 0
; NumSGPRsForWavesPerEU: 4
; NumVGPRsForWavesPerEU: 1
; AccumOffset: 4
; Occupancy: 8
; WaveLimiterHint : 0
; COMPUTE_PGM_RSRC2:SCRATCH_EN: 0
; COMPUTE_PGM_RSRC2:USER_SGPR: 6
; COMPUTE_PGM_RSRC2:TRAP_HANDLER: 0
; COMPUTE_PGM_RSRC2:TGID_X_EN: 1
; COMPUTE_PGM_RSRC2:TGID_Y_EN: 0
; COMPUTE_PGM_RSRC2:TGID_Z_EN: 0
; COMPUTE_PGM_RSRC2:TIDIG_COMP_CNT: 0
; COMPUTE_PGM_RSRC3_GFX90A:ACCUM_OFFSET: 0
; COMPUTE_PGM_RSRC3_GFX90A:TG_SPLIT: 0
	.section	.text._ZN7rocprim17ROCPRIM_400000_NS6detail17trampoline_kernelINS0_14default_configENS1_20scan_config_selectorIiEEZZNS1_9scan_implILNS1_25lookback_scan_determinismE0ELb0ELb0ES3_N6thrust23THRUST_200600_302600_NS6detail15normal_iteratorINS9_10device_ptrIiEEEENS9_16discard_iteratorINS9_11use_defaultEEEiNS9_4plusIvEEiEEDaPvRmT3_T4_T5_mT6_P12ihipStream_tbENKUlT_T0_E_clISt17integral_constantIbLb0EESX_EEDaSS_ST_EUlSS_E0_NS1_11comp_targetILNS1_3genE4ELNS1_11target_archE910ELNS1_3gpuE8ELNS1_3repE0EEENS1_30default_config_static_selectorELNS0_4arch9wavefront6targetE1EEEvT1_,"axG",@progbits,_ZN7rocprim17ROCPRIM_400000_NS6detail17trampoline_kernelINS0_14default_configENS1_20scan_config_selectorIiEEZZNS1_9scan_implILNS1_25lookback_scan_determinismE0ELb0ELb0ES3_N6thrust23THRUST_200600_302600_NS6detail15normal_iteratorINS9_10device_ptrIiEEEENS9_16discard_iteratorINS9_11use_defaultEEEiNS9_4plusIvEEiEEDaPvRmT3_T4_T5_mT6_P12ihipStream_tbENKUlT_T0_E_clISt17integral_constantIbLb0EESX_EEDaSS_ST_EUlSS_E0_NS1_11comp_targetILNS1_3genE4ELNS1_11target_archE910ELNS1_3gpuE8ELNS1_3repE0EEENS1_30default_config_static_selectorELNS0_4arch9wavefront6targetE1EEEvT1_,comdat
	.protected	_ZN7rocprim17ROCPRIM_400000_NS6detail17trampoline_kernelINS0_14default_configENS1_20scan_config_selectorIiEEZZNS1_9scan_implILNS1_25lookback_scan_determinismE0ELb0ELb0ES3_N6thrust23THRUST_200600_302600_NS6detail15normal_iteratorINS9_10device_ptrIiEEEENS9_16discard_iteratorINS9_11use_defaultEEEiNS9_4plusIvEEiEEDaPvRmT3_T4_T5_mT6_P12ihipStream_tbENKUlT_T0_E_clISt17integral_constantIbLb0EESX_EEDaSS_ST_EUlSS_E0_NS1_11comp_targetILNS1_3genE4ELNS1_11target_archE910ELNS1_3gpuE8ELNS1_3repE0EEENS1_30default_config_static_selectorELNS0_4arch9wavefront6targetE1EEEvT1_ ; -- Begin function _ZN7rocprim17ROCPRIM_400000_NS6detail17trampoline_kernelINS0_14default_configENS1_20scan_config_selectorIiEEZZNS1_9scan_implILNS1_25lookback_scan_determinismE0ELb0ELb0ES3_N6thrust23THRUST_200600_302600_NS6detail15normal_iteratorINS9_10device_ptrIiEEEENS9_16discard_iteratorINS9_11use_defaultEEEiNS9_4plusIvEEiEEDaPvRmT3_T4_T5_mT6_P12ihipStream_tbENKUlT_T0_E_clISt17integral_constantIbLb0EESX_EEDaSS_ST_EUlSS_E0_NS1_11comp_targetILNS1_3genE4ELNS1_11target_archE910ELNS1_3gpuE8ELNS1_3repE0EEENS1_30default_config_static_selectorELNS0_4arch9wavefront6targetE1EEEvT1_
	.globl	_ZN7rocprim17ROCPRIM_400000_NS6detail17trampoline_kernelINS0_14default_configENS1_20scan_config_selectorIiEEZZNS1_9scan_implILNS1_25lookback_scan_determinismE0ELb0ELb0ES3_N6thrust23THRUST_200600_302600_NS6detail15normal_iteratorINS9_10device_ptrIiEEEENS9_16discard_iteratorINS9_11use_defaultEEEiNS9_4plusIvEEiEEDaPvRmT3_T4_T5_mT6_P12ihipStream_tbENKUlT_T0_E_clISt17integral_constantIbLb0EESX_EEDaSS_ST_EUlSS_E0_NS1_11comp_targetILNS1_3genE4ELNS1_11target_archE910ELNS1_3gpuE8ELNS1_3repE0EEENS1_30default_config_static_selectorELNS0_4arch9wavefront6targetE1EEEvT1_
	.p2align	8
	.type	_ZN7rocprim17ROCPRIM_400000_NS6detail17trampoline_kernelINS0_14default_configENS1_20scan_config_selectorIiEEZZNS1_9scan_implILNS1_25lookback_scan_determinismE0ELb0ELb0ES3_N6thrust23THRUST_200600_302600_NS6detail15normal_iteratorINS9_10device_ptrIiEEEENS9_16discard_iteratorINS9_11use_defaultEEEiNS9_4plusIvEEiEEDaPvRmT3_T4_T5_mT6_P12ihipStream_tbENKUlT_T0_E_clISt17integral_constantIbLb0EESX_EEDaSS_ST_EUlSS_E0_NS1_11comp_targetILNS1_3genE4ELNS1_11target_archE910ELNS1_3gpuE8ELNS1_3repE0EEENS1_30default_config_static_selectorELNS0_4arch9wavefront6targetE1EEEvT1_,@function
_ZN7rocprim17ROCPRIM_400000_NS6detail17trampoline_kernelINS0_14default_configENS1_20scan_config_selectorIiEEZZNS1_9scan_implILNS1_25lookback_scan_determinismE0ELb0ELb0ES3_N6thrust23THRUST_200600_302600_NS6detail15normal_iteratorINS9_10device_ptrIiEEEENS9_16discard_iteratorINS9_11use_defaultEEEiNS9_4plusIvEEiEEDaPvRmT3_T4_T5_mT6_P12ihipStream_tbENKUlT_T0_E_clISt17integral_constantIbLb0EESX_EEDaSS_ST_EUlSS_E0_NS1_11comp_targetILNS1_3genE4ELNS1_11target_archE910ELNS1_3gpuE8ELNS1_3repE0EEENS1_30default_config_static_selectorELNS0_4arch9wavefront6targetE1EEEvT1_: ; @_ZN7rocprim17ROCPRIM_400000_NS6detail17trampoline_kernelINS0_14default_configENS1_20scan_config_selectorIiEEZZNS1_9scan_implILNS1_25lookback_scan_determinismE0ELb0ELb0ES3_N6thrust23THRUST_200600_302600_NS6detail15normal_iteratorINS9_10device_ptrIiEEEENS9_16discard_iteratorINS9_11use_defaultEEEiNS9_4plusIvEEiEEDaPvRmT3_T4_T5_mT6_P12ihipStream_tbENKUlT_T0_E_clISt17integral_constantIbLb0EESX_EEDaSS_ST_EUlSS_E0_NS1_11comp_targetILNS1_3genE4ELNS1_11target_archE910ELNS1_3gpuE8ELNS1_3repE0EEENS1_30default_config_static_selectorELNS0_4arch9wavefront6targetE1EEEvT1_
; %bb.0:
	s_load_dwordx4 s[0:3], s[4:5], 0x0
	v_lshlrev_b32_e32 v20, 2, v0
	s_waitcnt lgkmcnt(0)
	s_load_dword s3, s[0:1], 0x0
	v_cmp_gt_u32_e32 vcc, s2, v0
	s_waitcnt lgkmcnt(0)
	v_mov_b32_e32 v1, s3
	s_and_saveexec_b64 s[4:5], vcc
	s_cbranch_execz .LBB5737_2
; %bb.1:
	global_load_dword v1, v20, s[0:1]
.LBB5737_2:
	s_or_b64 exec, exec, s[4:5]
	v_or_b32_e32 v2, 0x80, v0
	v_cmp_gt_u32_e32 vcc, s2, v2
	v_mov_b32_e32 v2, s3
	s_and_saveexec_b64 s[4:5], vcc
	s_cbranch_execz .LBB5737_4
; %bb.3:
	global_load_dword v2, v20, s[0:1] offset:512
.LBB5737_4:
	s_or_b64 exec, exec, s[4:5]
	v_or_b32_e32 v3, 0x100, v0
	v_cmp_gt_u32_e32 vcc, s2, v3
	v_mov_b32_e32 v3, s3
	s_and_saveexec_b64 s[4:5], vcc
	s_cbranch_execz .LBB5737_6
; %bb.5:
	global_load_dword v3, v20, s[0:1] offset:1024
.LBB5737_6:
	;; [unrolled: 9-line block ×7, first 2 shown]
	s_or_b64 exec, exec, s[4:5]
	v_or_b32_e32 v10, 0x400, v0
	v_cmp_gt_u32_e32 vcc, s2, v10
	v_mov_b32_e32 v9, s3
	s_and_saveexec_b64 s[4:5], vcc
	s_cbranch_execz .LBB5737_18
; %bb.17:
	v_lshlrev_b32_e32 v9, 2, v10
	global_load_dword v9, v9, s[0:1]
.LBB5737_18:
	s_or_b64 exec, exec, s[4:5]
	v_or_b32_e32 v11, 0x480, v0
	v_cmp_gt_u32_e32 vcc, s2, v11
	v_mov_b32_e32 v10, s3
	s_and_saveexec_b64 s[2:3], vcc
	s_cbranch_execz .LBB5737_20
; %bb.19:
	v_lshlrev_b32_e32 v10, 2, v11
	global_load_dword v10, v10, s[0:1]
.LBB5737_20:
	s_or_b64 exec, exec, s[2:3]
	s_waitcnt vmcnt(0)
	ds_write2st64_b32 v20, v1, v2 offset1:2
	ds_write2st64_b32 v20, v3, v4 offset0:4 offset1:6
	ds_write2st64_b32 v20, v5, v6 offset0:8 offset1:10
	;; [unrolled: 1-line block ×4, first 2 shown]
	v_mad_u32_u24 v1, v0, 36, v20
	s_waitcnt lgkmcnt(0)
	s_barrier
	ds_read2_b64 v[6:9], v1 offset1:1
	ds_read2_b64 v[2:5], v1 offset0:2 offset1:3
	ds_read_b64 v[18:19], v1 offset:32
	v_lshrrev_b32_e32 v21, 3, v0
	v_and_b32_e32 v21, 12, v21
	s_waitcnt lgkmcnt(2)
	v_add_u32_e32 v1, v7, v6
	v_add_u32_e32 v14, v1, v8
	;; [unrolled: 1-line block ×3, first 2 shown]
	s_waitcnt lgkmcnt(1)
	v_add_u32_e32 v10, v15, v2
	v_add_u32_e32 v11, v10, v3
	;; [unrolled: 1-line block ×4, first 2 shown]
	s_waitcnt lgkmcnt(0)
	v_add_u32_e32 v16, v13, v18
	v_add_u32_e32 v17, v16, v19
	;; [unrolled: 1-line block ×3, first 2 shown]
	v_cmp_gt_u32_e32 vcc, 64, v0
	s_barrier
	ds_write_b32 v21, v17
	s_waitcnt lgkmcnt(0)
	s_barrier
	s_and_saveexec_b64 s[0:1], vcc
	s_cbranch_execz .LBB5737_22
; %bb.21:
	v_lshlrev_b32_e32 v21, 1, v0
	v_lshrrev_b32_e32 v22, 4, v0
	v_add_lshl_u32 v21, v22, v21, 2
	ds_read2_b32 v[22:23], v21 offset1:1
	v_mbcnt_lo_u32_b32 v24, -1, 0
	v_mbcnt_hi_u32_b32 v24, -1, v24
	v_and_b32_e32 v25, 15, v24
	v_cmp_ne_u32_e32 vcc, 0, v25
	s_waitcnt lgkmcnt(0)
	v_add_u32_e32 v23, v23, v22
	; wave barrier
	s_nop 1
	v_mov_b32_dpp v26, v23 row_shr:1 row_mask:0xf bank_mask:0xf
	v_cndmask_b32_e32 v26, 0, v26, vcc
	v_add_u32_e32 v23, v26, v23
	v_cmp_lt_u32_e32 vcc, 1, v25
	s_nop 0
	v_mov_b32_dpp v26, v23 row_shr:2 row_mask:0xf bank_mask:0xf
	v_cndmask_b32_e32 v26, 0, v26, vcc
	v_add_u32_e32 v23, v23, v26
	v_cmp_lt_u32_e32 vcc, 3, v25
	s_nop 0
	v_mov_b32_dpp v26, v23 row_shr:4 row_mask:0xf bank_mask:0xf
	v_cndmask_b32_e32 v26, 0, v26, vcc
	v_add_u32_e32 v23, v23, v26
	v_cmp_lt_u32_e32 vcc, 7, v25
	s_nop 0
	v_mov_b32_dpp v26, v23 row_shr:8 row_mask:0xf bank_mask:0xf
	v_cndmask_b32_e32 v25, 0, v26, vcc
	v_add_u32_e32 v23, v23, v25
	v_bfe_i32 v26, v24, 4, 1
	v_cmp_lt_u32_e32 vcc, 31, v24
	v_mov_b32_dpp v25, v23 row_bcast:15 row_mask:0xf bank_mask:0xf
	v_and_b32_e32 v25, v26, v25
	v_add_u32_e32 v23, v23, v25
	v_and_b32_e32 v26, 64, v24
	s_nop 0
	v_mov_b32_dpp v25, v23 row_bcast:31 row_mask:0xf bank_mask:0xf
	v_cndmask_b32_e32 v25, 0, v25, vcc
	v_add_u32_e32 v23, v23, v25
	v_add_u32_e32 v25, -1, v24
	v_cmp_lt_i32_e32 vcc, v25, v26
	v_cndmask_b32_e32 v24, v25, v24, vcc
	v_lshlrev_b32_e32 v24, 2, v24
	ds_bpermute_b32 v23, v24, v23
	v_cmp_eq_u32_e32 vcc, 0, v0
	s_waitcnt lgkmcnt(0)
	v_add_u32_e32 v22, v23, v22
	v_cndmask_b32_e32 v22, v22, v17, vcc
	ds_write_b32 v21, v22
	; wave barrier
	ds_read_b32 v23, v21 offset:4
	s_waitcnt lgkmcnt(0)
	v_add_u32_e32 v22, v23, v22
	ds_write_b32 v21, v22 offset:4
.LBB5737_22:
	s_or_b64 exec, exec, s[0:1]
	v_cmp_ne_u32_e32 vcc, 0, v0
	v_mov_b32_e32 v22, v17
	s_waitcnt lgkmcnt(0)
	s_barrier
	s_and_saveexec_b64 s[0:1], vcc
	s_cbranch_execz .LBB5737_24
; %bb.23:
	v_add_u32_e32 v21, -1, v0
	v_lshrrev_b32_e32 v22, 5, v21
	v_add_lshl_u32 v21, v22, v21, 2
	ds_read_b32 v22, v21
.LBB5737_24:
	s_or_b64 exec, exec, s[0:1]
	v_mul_u32_u24_e32 v21, 36, v0
	v_mov_b32_e32 v0, v6
	s_and_saveexec_b64 s[0:1], vcc
	s_cbranch_execz .LBB5737_26
; %bb.25:
	s_waitcnt lgkmcnt(0)
	v_add_u32_e32 v0, v22, v6
	v_add_u32_e32 v1, v0, v7
	;; [unrolled: 1-line block ×10, first 2 shown]
	;;#ASMSTART
	;;#ASMEND
.LBB5737_26:
	s_or_b64 exec, exec, s[0:1]
	v_add_u32_e32 v2, v20, v21
	s_waitcnt lgkmcnt(0)
	s_barrier
	ds_write2_b64 v2, v[0:1], v[14:15] offset1:1
	ds_write2_b64 v2, v[10:11], v[12:13] offset0:2 offset1:3
	ds_write_b64 v2, v[16:17] offset:32
	s_waitcnt lgkmcnt(0)
	s_barrier
	s_endpgm
	.section	.rodata,"a",@progbits
	.p2align	6, 0x0
	.amdhsa_kernel _ZN7rocprim17ROCPRIM_400000_NS6detail17trampoline_kernelINS0_14default_configENS1_20scan_config_selectorIiEEZZNS1_9scan_implILNS1_25lookback_scan_determinismE0ELb0ELb0ES3_N6thrust23THRUST_200600_302600_NS6detail15normal_iteratorINS9_10device_ptrIiEEEENS9_16discard_iteratorINS9_11use_defaultEEEiNS9_4plusIvEEiEEDaPvRmT3_T4_T5_mT6_P12ihipStream_tbENKUlT_T0_E_clISt17integral_constantIbLb0EESX_EEDaSS_ST_EUlSS_E0_NS1_11comp_targetILNS1_3genE4ELNS1_11target_archE910ELNS1_3gpuE8ELNS1_3repE0EEENS1_30default_config_static_selectorELNS0_4arch9wavefront6targetE1EEEvT1_
		.amdhsa_group_segment_fixed_size 5120
		.amdhsa_private_segment_fixed_size 0
		.amdhsa_kernarg_size 40
		.amdhsa_user_sgpr_count 6
		.amdhsa_user_sgpr_private_segment_buffer 1
		.amdhsa_user_sgpr_dispatch_ptr 0
		.amdhsa_user_sgpr_queue_ptr 0
		.amdhsa_user_sgpr_kernarg_segment_ptr 1
		.amdhsa_user_sgpr_dispatch_id 0
		.amdhsa_user_sgpr_flat_scratch_init 0
		.amdhsa_user_sgpr_kernarg_preload_length 0
		.amdhsa_user_sgpr_kernarg_preload_offset 0
		.amdhsa_user_sgpr_private_segment_size 0
		.amdhsa_uses_dynamic_stack 0
		.amdhsa_system_sgpr_private_segment_wavefront_offset 0
		.amdhsa_system_sgpr_workgroup_id_x 1
		.amdhsa_system_sgpr_workgroup_id_y 0
		.amdhsa_system_sgpr_workgroup_id_z 0
		.amdhsa_system_sgpr_workgroup_info 0
		.amdhsa_system_vgpr_workitem_id 0
		.amdhsa_next_free_vgpr 27
		.amdhsa_next_free_sgpr 6
		.amdhsa_accum_offset 28
		.amdhsa_reserve_vcc 1
		.amdhsa_reserve_flat_scratch 0
		.amdhsa_float_round_mode_32 0
		.amdhsa_float_round_mode_16_64 0
		.amdhsa_float_denorm_mode_32 3
		.amdhsa_float_denorm_mode_16_64 3
		.amdhsa_dx10_clamp 1
		.amdhsa_ieee_mode 1
		.amdhsa_fp16_overflow 0
		.amdhsa_tg_split 0
		.amdhsa_exception_fp_ieee_invalid_op 0
		.amdhsa_exception_fp_denorm_src 0
		.amdhsa_exception_fp_ieee_div_zero 0
		.amdhsa_exception_fp_ieee_overflow 0
		.amdhsa_exception_fp_ieee_underflow 0
		.amdhsa_exception_fp_ieee_inexact 0
		.amdhsa_exception_int_div_zero 0
	.end_amdhsa_kernel
	.section	.text._ZN7rocprim17ROCPRIM_400000_NS6detail17trampoline_kernelINS0_14default_configENS1_20scan_config_selectorIiEEZZNS1_9scan_implILNS1_25lookback_scan_determinismE0ELb0ELb0ES3_N6thrust23THRUST_200600_302600_NS6detail15normal_iteratorINS9_10device_ptrIiEEEENS9_16discard_iteratorINS9_11use_defaultEEEiNS9_4plusIvEEiEEDaPvRmT3_T4_T5_mT6_P12ihipStream_tbENKUlT_T0_E_clISt17integral_constantIbLb0EESX_EEDaSS_ST_EUlSS_E0_NS1_11comp_targetILNS1_3genE4ELNS1_11target_archE910ELNS1_3gpuE8ELNS1_3repE0EEENS1_30default_config_static_selectorELNS0_4arch9wavefront6targetE1EEEvT1_,"axG",@progbits,_ZN7rocprim17ROCPRIM_400000_NS6detail17trampoline_kernelINS0_14default_configENS1_20scan_config_selectorIiEEZZNS1_9scan_implILNS1_25lookback_scan_determinismE0ELb0ELb0ES3_N6thrust23THRUST_200600_302600_NS6detail15normal_iteratorINS9_10device_ptrIiEEEENS9_16discard_iteratorINS9_11use_defaultEEEiNS9_4plusIvEEiEEDaPvRmT3_T4_T5_mT6_P12ihipStream_tbENKUlT_T0_E_clISt17integral_constantIbLb0EESX_EEDaSS_ST_EUlSS_E0_NS1_11comp_targetILNS1_3genE4ELNS1_11target_archE910ELNS1_3gpuE8ELNS1_3repE0EEENS1_30default_config_static_selectorELNS0_4arch9wavefront6targetE1EEEvT1_,comdat
.Lfunc_end5737:
	.size	_ZN7rocprim17ROCPRIM_400000_NS6detail17trampoline_kernelINS0_14default_configENS1_20scan_config_selectorIiEEZZNS1_9scan_implILNS1_25lookback_scan_determinismE0ELb0ELb0ES3_N6thrust23THRUST_200600_302600_NS6detail15normal_iteratorINS9_10device_ptrIiEEEENS9_16discard_iteratorINS9_11use_defaultEEEiNS9_4plusIvEEiEEDaPvRmT3_T4_T5_mT6_P12ihipStream_tbENKUlT_T0_E_clISt17integral_constantIbLb0EESX_EEDaSS_ST_EUlSS_E0_NS1_11comp_targetILNS1_3genE4ELNS1_11target_archE910ELNS1_3gpuE8ELNS1_3repE0EEENS1_30default_config_static_selectorELNS0_4arch9wavefront6targetE1EEEvT1_, .Lfunc_end5737-_ZN7rocprim17ROCPRIM_400000_NS6detail17trampoline_kernelINS0_14default_configENS1_20scan_config_selectorIiEEZZNS1_9scan_implILNS1_25lookback_scan_determinismE0ELb0ELb0ES3_N6thrust23THRUST_200600_302600_NS6detail15normal_iteratorINS9_10device_ptrIiEEEENS9_16discard_iteratorINS9_11use_defaultEEEiNS9_4plusIvEEiEEDaPvRmT3_T4_T5_mT6_P12ihipStream_tbENKUlT_T0_E_clISt17integral_constantIbLb0EESX_EEDaSS_ST_EUlSS_E0_NS1_11comp_targetILNS1_3genE4ELNS1_11target_archE910ELNS1_3gpuE8ELNS1_3repE0EEENS1_30default_config_static_selectorELNS0_4arch9wavefront6targetE1EEEvT1_
                                        ; -- End function
	.section	.AMDGPU.csdata,"",@progbits
; Kernel info:
; codeLenInByte = 1004
; NumSgprs: 10
; NumVgprs: 27
; NumAgprs: 0
; TotalNumVgprs: 27
; ScratchSize: 0
; MemoryBound: 0
; FloatMode: 240
; IeeeMode: 1
; LDSByteSize: 5120 bytes/workgroup (compile time only)
; SGPRBlocks: 1
; VGPRBlocks: 3
; NumSGPRsForWavesPerEU: 10
; NumVGPRsForWavesPerEU: 27
; AccumOffset: 28
; Occupancy: 6
; WaveLimiterHint : 0
; COMPUTE_PGM_RSRC2:SCRATCH_EN: 0
; COMPUTE_PGM_RSRC2:USER_SGPR: 6
; COMPUTE_PGM_RSRC2:TRAP_HANDLER: 0
; COMPUTE_PGM_RSRC2:TGID_X_EN: 1
; COMPUTE_PGM_RSRC2:TGID_Y_EN: 0
; COMPUTE_PGM_RSRC2:TGID_Z_EN: 0
; COMPUTE_PGM_RSRC2:TIDIG_COMP_CNT: 0
; COMPUTE_PGM_RSRC3_GFX90A:ACCUM_OFFSET: 6
; COMPUTE_PGM_RSRC3_GFX90A:TG_SPLIT: 0
	.section	.text._ZN7rocprim17ROCPRIM_400000_NS6detail17trampoline_kernelINS0_14default_configENS1_20scan_config_selectorIiEEZZNS1_9scan_implILNS1_25lookback_scan_determinismE0ELb0ELb0ES3_N6thrust23THRUST_200600_302600_NS6detail15normal_iteratorINS9_10device_ptrIiEEEENS9_16discard_iteratorINS9_11use_defaultEEEiNS9_4plusIvEEiEEDaPvRmT3_T4_T5_mT6_P12ihipStream_tbENKUlT_T0_E_clISt17integral_constantIbLb0EESX_EEDaSS_ST_EUlSS_E0_NS1_11comp_targetILNS1_3genE3ELNS1_11target_archE908ELNS1_3gpuE7ELNS1_3repE0EEENS1_30default_config_static_selectorELNS0_4arch9wavefront6targetE1EEEvT1_,"axG",@progbits,_ZN7rocprim17ROCPRIM_400000_NS6detail17trampoline_kernelINS0_14default_configENS1_20scan_config_selectorIiEEZZNS1_9scan_implILNS1_25lookback_scan_determinismE0ELb0ELb0ES3_N6thrust23THRUST_200600_302600_NS6detail15normal_iteratorINS9_10device_ptrIiEEEENS9_16discard_iteratorINS9_11use_defaultEEEiNS9_4plusIvEEiEEDaPvRmT3_T4_T5_mT6_P12ihipStream_tbENKUlT_T0_E_clISt17integral_constantIbLb0EESX_EEDaSS_ST_EUlSS_E0_NS1_11comp_targetILNS1_3genE3ELNS1_11target_archE908ELNS1_3gpuE7ELNS1_3repE0EEENS1_30default_config_static_selectorELNS0_4arch9wavefront6targetE1EEEvT1_,comdat
	.protected	_ZN7rocprim17ROCPRIM_400000_NS6detail17trampoline_kernelINS0_14default_configENS1_20scan_config_selectorIiEEZZNS1_9scan_implILNS1_25lookback_scan_determinismE0ELb0ELb0ES3_N6thrust23THRUST_200600_302600_NS6detail15normal_iteratorINS9_10device_ptrIiEEEENS9_16discard_iteratorINS9_11use_defaultEEEiNS9_4plusIvEEiEEDaPvRmT3_T4_T5_mT6_P12ihipStream_tbENKUlT_T0_E_clISt17integral_constantIbLb0EESX_EEDaSS_ST_EUlSS_E0_NS1_11comp_targetILNS1_3genE3ELNS1_11target_archE908ELNS1_3gpuE7ELNS1_3repE0EEENS1_30default_config_static_selectorELNS0_4arch9wavefront6targetE1EEEvT1_ ; -- Begin function _ZN7rocprim17ROCPRIM_400000_NS6detail17trampoline_kernelINS0_14default_configENS1_20scan_config_selectorIiEEZZNS1_9scan_implILNS1_25lookback_scan_determinismE0ELb0ELb0ES3_N6thrust23THRUST_200600_302600_NS6detail15normal_iteratorINS9_10device_ptrIiEEEENS9_16discard_iteratorINS9_11use_defaultEEEiNS9_4plusIvEEiEEDaPvRmT3_T4_T5_mT6_P12ihipStream_tbENKUlT_T0_E_clISt17integral_constantIbLb0EESX_EEDaSS_ST_EUlSS_E0_NS1_11comp_targetILNS1_3genE3ELNS1_11target_archE908ELNS1_3gpuE7ELNS1_3repE0EEENS1_30default_config_static_selectorELNS0_4arch9wavefront6targetE1EEEvT1_
	.globl	_ZN7rocprim17ROCPRIM_400000_NS6detail17trampoline_kernelINS0_14default_configENS1_20scan_config_selectorIiEEZZNS1_9scan_implILNS1_25lookback_scan_determinismE0ELb0ELb0ES3_N6thrust23THRUST_200600_302600_NS6detail15normal_iteratorINS9_10device_ptrIiEEEENS9_16discard_iteratorINS9_11use_defaultEEEiNS9_4plusIvEEiEEDaPvRmT3_T4_T5_mT6_P12ihipStream_tbENKUlT_T0_E_clISt17integral_constantIbLb0EESX_EEDaSS_ST_EUlSS_E0_NS1_11comp_targetILNS1_3genE3ELNS1_11target_archE908ELNS1_3gpuE7ELNS1_3repE0EEENS1_30default_config_static_selectorELNS0_4arch9wavefront6targetE1EEEvT1_
	.p2align	8
	.type	_ZN7rocprim17ROCPRIM_400000_NS6detail17trampoline_kernelINS0_14default_configENS1_20scan_config_selectorIiEEZZNS1_9scan_implILNS1_25lookback_scan_determinismE0ELb0ELb0ES3_N6thrust23THRUST_200600_302600_NS6detail15normal_iteratorINS9_10device_ptrIiEEEENS9_16discard_iteratorINS9_11use_defaultEEEiNS9_4plusIvEEiEEDaPvRmT3_T4_T5_mT6_P12ihipStream_tbENKUlT_T0_E_clISt17integral_constantIbLb0EESX_EEDaSS_ST_EUlSS_E0_NS1_11comp_targetILNS1_3genE3ELNS1_11target_archE908ELNS1_3gpuE7ELNS1_3repE0EEENS1_30default_config_static_selectorELNS0_4arch9wavefront6targetE1EEEvT1_,@function
_ZN7rocprim17ROCPRIM_400000_NS6detail17trampoline_kernelINS0_14default_configENS1_20scan_config_selectorIiEEZZNS1_9scan_implILNS1_25lookback_scan_determinismE0ELb0ELb0ES3_N6thrust23THRUST_200600_302600_NS6detail15normal_iteratorINS9_10device_ptrIiEEEENS9_16discard_iteratorINS9_11use_defaultEEEiNS9_4plusIvEEiEEDaPvRmT3_T4_T5_mT6_P12ihipStream_tbENKUlT_T0_E_clISt17integral_constantIbLb0EESX_EEDaSS_ST_EUlSS_E0_NS1_11comp_targetILNS1_3genE3ELNS1_11target_archE908ELNS1_3gpuE7ELNS1_3repE0EEENS1_30default_config_static_selectorELNS0_4arch9wavefront6targetE1EEEvT1_: ; @_ZN7rocprim17ROCPRIM_400000_NS6detail17trampoline_kernelINS0_14default_configENS1_20scan_config_selectorIiEEZZNS1_9scan_implILNS1_25lookback_scan_determinismE0ELb0ELb0ES3_N6thrust23THRUST_200600_302600_NS6detail15normal_iteratorINS9_10device_ptrIiEEEENS9_16discard_iteratorINS9_11use_defaultEEEiNS9_4plusIvEEiEEDaPvRmT3_T4_T5_mT6_P12ihipStream_tbENKUlT_T0_E_clISt17integral_constantIbLb0EESX_EEDaSS_ST_EUlSS_E0_NS1_11comp_targetILNS1_3genE3ELNS1_11target_archE908ELNS1_3gpuE7ELNS1_3repE0EEENS1_30default_config_static_selectorELNS0_4arch9wavefront6targetE1EEEvT1_
; %bb.0:
	.section	.rodata,"a",@progbits
	.p2align	6, 0x0
	.amdhsa_kernel _ZN7rocprim17ROCPRIM_400000_NS6detail17trampoline_kernelINS0_14default_configENS1_20scan_config_selectorIiEEZZNS1_9scan_implILNS1_25lookback_scan_determinismE0ELb0ELb0ES3_N6thrust23THRUST_200600_302600_NS6detail15normal_iteratorINS9_10device_ptrIiEEEENS9_16discard_iteratorINS9_11use_defaultEEEiNS9_4plusIvEEiEEDaPvRmT3_T4_T5_mT6_P12ihipStream_tbENKUlT_T0_E_clISt17integral_constantIbLb0EESX_EEDaSS_ST_EUlSS_E0_NS1_11comp_targetILNS1_3genE3ELNS1_11target_archE908ELNS1_3gpuE7ELNS1_3repE0EEENS1_30default_config_static_selectorELNS0_4arch9wavefront6targetE1EEEvT1_
		.amdhsa_group_segment_fixed_size 0
		.amdhsa_private_segment_fixed_size 0
		.amdhsa_kernarg_size 40
		.amdhsa_user_sgpr_count 6
		.amdhsa_user_sgpr_private_segment_buffer 1
		.amdhsa_user_sgpr_dispatch_ptr 0
		.amdhsa_user_sgpr_queue_ptr 0
		.amdhsa_user_sgpr_kernarg_segment_ptr 1
		.amdhsa_user_sgpr_dispatch_id 0
		.amdhsa_user_sgpr_flat_scratch_init 0
		.amdhsa_user_sgpr_kernarg_preload_length 0
		.amdhsa_user_sgpr_kernarg_preload_offset 0
		.amdhsa_user_sgpr_private_segment_size 0
		.amdhsa_uses_dynamic_stack 0
		.amdhsa_system_sgpr_private_segment_wavefront_offset 0
		.amdhsa_system_sgpr_workgroup_id_x 1
		.amdhsa_system_sgpr_workgroup_id_y 0
		.amdhsa_system_sgpr_workgroup_id_z 0
		.amdhsa_system_sgpr_workgroup_info 0
		.amdhsa_system_vgpr_workitem_id 0
		.amdhsa_next_free_vgpr 1
		.amdhsa_next_free_sgpr 0
		.amdhsa_accum_offset 4
		.amdhsa_reserve_vcc 0
		.amdhsa_reserve_flat_scratch 0
		.amdhsa_float_round_mode_32 0
		.amdhsa_float_round_mode_16_64 0
		.amdhsa_float_denorm_mode_32 3
		.amdhsa_float_denorm_mode_16_64 3
		.amdhsa_dx10_clamp 1
		.amdhsa_ieee_mode 1
		.amdhsa_fp16_overflow 0
		.amdhsa_tg_split 0
		.amdhsa_exception_fp_ieee_invalid_op 0
		.amdhsa_exception_fp_denorm_src 0
		.amdhsa_exception_fp_ieee_div_zero 0
		.amdhsa_exception_fp_ieee_overflow 0
		.amdhsa_exception_fp_ieee_underflow 0
		.amdhsa_exception_fp_ieee_inexact 0
		.amdhsa_exception_int_div_zero 0
	.end_amdhsa_kernel
	.section	.text._ZN7rocprim17ROCPRIM_400000_NS6detail17trampoline_kernelINS0_14default_configENS1_20scan_config_selectorIiEEZZNS1_9scan_implILNS1_25lookback_scan_determinismE0ELb0ELb0ES3_N6thrust23THRUST_200600_302600_NS6detail15normal_iteratorINS9_10device_ptrIiEEEENS9_16discard_iteratorINS9_11use_defaultEEEiNS9_4plusIvEEiEEDaPvRmT3_T4_T5_mT6_P12ihipStream_tbENKUlT_T0_E_clISt17integral_constantIbLb0EESX_EEDaSS_ST_EUlSS_E0_NS1_11comp_targetILNS1_3genE3ELNS1_11target_archE908ELNS1_3gpuE7ELNS1_3repE0EEENS1_30default_config_static_selectorELNS0_4arch9wavefront6targetE1EEEvT1_,"axG",@progbits,_ZN7rocprim17ROCPRIM_400000_NS6detail17trampoline_kernelINS0_14default_configENS1_20scan_config_selectorIiEEZZNS1_9scan_implILNS1_25lookback_scan_determinismE0ELb0ELb0ES3_N6thrust23THRUST_200600_302600_NS6detail15normal_iteratorINS9_10device_ptrIiEEEENS9_16discard_iteratorINS9_11use_defaultEEEiNS9_4plusIvEEiEEDaPvRmT3_T4_T5_mT6_P12ihipStream_tbENKUlT_T0_E_clISt17integral_constantIbLb0EESX_EEDaSS_ST_EUlSS_E0_NS1_11comp_targetILNS1_3genE3ELNS1_11target_archE908ELNS1_3gpuE7ELNS1_3repE0EEENS1_30default_config_static_selectorELNS0_4arch9wavefront6targetE1EEEvT1_,comdat
.Lfunc_end5738:
	.size	_ZN7rocprim17ROCPRIM_400000_NS6detail17trampoline_kernelINS0_14default_configENS1_20scan_config_selectorIiEEZZNS1_9scan_implILNS1_25lookback_scan_determinismE0ELb0ELb0ES3_N6thrust23THRUST_200600_302600_NS6detail15normal_iteratorINS9_10device_ptrIiEEEENS9_16discard_iteratorINS9_11use_defaultEEEiNS9_4plusIvEEiEEDaPvRmT3_T4_T5_mT6_P12ihipStream_tbENKUlT_T0_E_clISt17integral_constantIbLb0EESX_EEDaSS_ST_EUlSS_E0_NS1_11comp_targetILNS1_3genE3ELNS1_11target_archE908ELNS1_3gpuE7ELNS1_3repE0EEENS1_30default_config_static_selectorELNS0_4arch9wavefront6targetE1EEEvT1_, .Lfunc_end5738-_ZN7rocprim17ROCPRIM_400000_NS6detail17trampoline_kernelINS0_14default_configENS1_20scan_config_selectorIiEEZZNS1_9scan_implILNS1_25lookback_scan_determinismE0ELb0ELb0ES3_N6thrust23THRUST_200600_302600_NS6detail15normal_iteratorINS9_10device_ptrIiEEEENS9_16discard_iteratorINS9_11use_defaultEEEiNS9_4plusIvEEiEEDaPvRmT3_T4_T5_mT6_P12ihipStream_tbENKUlT_T0_E_clISt17integral_constantIbLb0EESX_EEDaSS_ST_EUlSS_E0_NS1_11comp_targetILNS1_3genE3ELNS1_11target_archE908ELNS1_3gpuE7ELNS1_3repE0EEENS1_30default_config_static_selectorELNS0_4arch9wavefront6targetE1EEEvT1_
                                        ; -- End function
	.section	.AMDGPU.csdata,"",@progbits
; Kernel info:
; codeLenInByte = 0
; NumSgprs: 4
; NumVgprs: 0
; NumAgprs: 0
; TotalNumVgprs: 0
; ScratchSize: 0
; MemoryBound: 0
; FloatMode: 240
; IeeeMode: 1
; LDSByteSize: 0 bytes/workgroup (compile time only)
; SGPRBlocks: 0
; VGPRBlocks: 0
; NumSGPRsForWavesPerEU: 4
; NumVGPRsForWavesPerEU: 1
; AccumOffset: 4
; Occupancy: 8
; WaveLimiterHint : 0
; COMPUTE_PGM_RSRC2:SCRATCH_EN: 0
; COMPUTE_PGM_RSRC2:USER_SGPR: 6
; COMPUTE_PGM_RSRC2:TRAP_HANDLER: 0
; COMPUTE_PGM_RSRC2:TGID_X_EN: 1
; COMPUTE_PGM_RSRC2:TGID_Y_EN: 0
; COMPUTE_PGM_RSRC2:TGID_Z_EN: 0
; COMPUTE_PGM_RSRC2:TIDIG_COMP_CNT: 0
; COMPUTE_PGM_RSRC3_GFX90A:ACCUM_OFFSET: 0
; COMPUTE_PGM_RSRC3_GFX90A:TG_SPLIT: 0
	.section	.text._ZN7rocprim17ROCPRIM_400000_NS6detail17trampoline_kernelINS0_14default_configENS1_20scan_config_selectorIiEEZZNS1_9scan_implILNS1_25lookback_scan_determinismE0ELb0ELb0ES3_N6thrust23THRUST_200600_302600_NS6detail15normal_iteratorINS9_10device_ptrIiEEEENS9_16discard_iteratorINS9_11use_defaultEEEiNS9_4plusIvEEiEEDaPvRmT3_T4_T5_mT6_P12ihipStream_tbENKUlT_T0_E_clISt17integral_constantIbLb0EESX_EEDaSS_ST_EUlSS_E0_NS1_11comp_targetILNS1_3genE2ELNS1_11target_archE906ELNS1_3gpuE6ELNS1_3repE0EEENS1_30default_config_static_selectorELNS0_4arch9wavefront6targetE1EEEvT1_,"axG",@progbits,_ZN7rocprim17ROCPRIM_400000_NS6detail17trampoline_kernelINS0_14default_configENS1_20scan_config_selectorIiEEZZNS1_9scan_implILNS1_25lookback_scan_determinismE0ELb0ELb0ES3_N6thrust23THRUST_200600_302600_NS6detail15normal_iteratorINS9_10device_ptrIiEEEENS9_16discard_iteratorINS9_11use_defaultEEEiNS9_4plusIvEEiEEDaPvRmT3_T4_T5_mT6_P12ihipStream_tbENKUlT_T0_E_clISt17integral_constantIbLb0EESX_EEDaSS_ST_EUlSS_E0_NS1_11comp_targetILNS1_3genE2ELNS1_11target_archE906ELNS1_3gpuE6ELNS1_3repE0EEENS1_30default_config_static_selectorELNS0_4arch9wavefront6targetE1EEEvT1_,comdat
	.protected	_ZN7rocprim17ROCPRIM_400000_NS6detail17trampoline_kernelINS0_14default_configENS1_20scan_config_selectorIiEEZZNS1_9scan_implILNS1_25lookback_scan_determinismE0ELb0ELb0ES3_N6thrust23THRUST_200600_302600_NS6detail15normal_iteratorINS9_10device_ptrIiEEEENS9_16discard_iteratorINS9_11use_defaultEEEiNS9_4plusIvEEiEEDaPvRmT3_T4_T5_mT6_P12ihipStream_tbENKUlT_T0_E_clISt17integral_constantIbLb0EESX_EEDaSS_ST_EUlSS_E0_NS1_11comp_targetILNS1_3genE2ELNS1_11target_archE906ELNS1_3gpuE6ELNS1_3repE0EEENS1_30default_config_static_selectorELNS0_4arch9wavefront6targetE1EEEvT1_ ; -- Begin function _ZN7rocprim17ROCPRIM_400000_NS6detail17trampoline_kernelINS0_14default_configENS1_20scan_config_selectorIiEEZZNS1_9scan_implILNS1_25lookback_scan_determinismE0ELb0ELb0ES3_N6thrust23THRUST_200600_302600_NS6detail15normal_iteratorINS9_10device_ptrIiEEEENS9_16discard_iteratorINS9_11use_defaultEEEiNS9_4plusIvEEiEEDaPvRmT3_T4_T5_mT6_P12ihipStream_tbENKUlT_T0_E_clISt17integral_constantIbLb0EESX_EEDaSS_ST_EUlSS_E0_NS1_11comp_targetILNS1_3genE2ELNS1_11target_archE906ELNS1_3gpuE6ELNS1_3repE0EEENS1_30default_config_static_selectorELNS0_4arch9wavefront6targetE1EEEvT1_
	.globl	_ZN7rocprim17ROCPRIM_400000_NS6detail17trampoline_kernelINS0_14default_configENS1_20scan_config_selectorIiEEZZNS1_9scan_implILNS1_25lookback_scan_determinismE0ELb0ELb0ES3_N6thrust23THRUST_200600_302600_NS6detail15normal_iteratorINS9_10device_ptrIiEEEENS9_16discard_iteratorINS9_11use_defaultEEEiNS9_4plusIvEEiEEDaPvRmT3_T4_T5_mT6_P12ihipStream_tbENKUlT_T0_E_clISt17integral_constantIbLb0EESX_EEDaSS_ST_EUlSS_E0_NS1_11comp_targetILNS1_3genE2ELNS1_11target_archE906ELNS1_3gpuE6ELNS1_3repE0EEENS1_30default_config_static_selectorELNS0_4arch9wavefront6targetE1EEEvT1_
	.p2align	8
	.type	_ZN7rocprim17ROCPRIM_400000_NS6detail17trampoline_kernelINS0_14default_configENS1_20scan_config_selectorIiEEZZNS1_9scan_implILNS1_25lookback_scan_determinismE0ELb0ELb0ES3_N6thrust23THRUST_200600_302600_NS6detail15normal_iteratorINS9_10device_ptrIiEEEENS9_16discard_iteratorINS9_11use_defaultEEEiNS9_4plusIvEEiEEDaPvRmT3_T4_T5_mT6_P12ihipStream_tbENKUlT_T0_E_clISt17integral_constantIbLb0EESX_EEDaSS_ST_EUlSS_E0_NS1_11comp_targetILNS1_3genE2ELNS1_11target_archE906ELNS1_3gpuE6ELNS1_3repE0EEENS1_30default_config_static_selectorELNS0_4arch9wavefront6targetE1EEEvT1_,@function
_ZN7rocprim17ROCPRIM_400000_NS6detail17trampoline_kernelINS0_14default_configENS1_20scan_config_selectorIiEEZZNS1_9scan_implILNS1_25lookback_scan_determinismE0ELb0ELb0ES3_N6thrust23THRUST_200600_302600_NS6detail15normal_iteratorINS9_10device_ptrIiEEEENS9_16discard_iteratorINS9_11use_defaultEEEiNS9_4plusIvEEiEEDaPvRmT3_T4_T5_mT6_P12ihipStream_tbENKUlT_T0_E_clISt17integral_constantIbLb0EESX_EEDaSS_ST_EUlSS_E0_NS1_11comp_targetILNS1_3genE2ELNS1_11target_archE906ELNS1_3gpuE6ELNS1_3repE0EEENS1_30default_config_static_selectorELNS0_4arch9wavefront6targetE1EEEvT1_: ; @_ZN7rocprim17ROCPRIM_400000_NS6detail17trampoline_kernelINS0_14default_configENS1_20scan_config_selectorIiEEZZNS1_9scan_implILNS1_25lookback_scan_determinismE0ELb0ELb0ES3_N6thrust23THRUST_200600_302600_NS6detail15normal_iteratorINS9_10device_ptrIiEEEENS9_16discard_iteratorINS9_11use_defaultEEEiNS9_4plusIvEEiEEDaPvRmT3_T4_T5_mT6_P12ihipStream_tbENKUlT_T0_E_clISt17integral_constantIbLb0EESX_EEDaSS_ST_EUlSS_E0_NS1_11comp_targetILNS1_3genE2ELNS1_11target_archE906ELNS1_3gpuE6ELNS1_3repE0EEENS1_30default_config_static_selectorELNS0_4arch9wavefront6targetE1EEEvT1_
; %bb.0:
	.section	.rodata,"a",@progbits
	.p2align	6, 0x0
	.amdhsa_kernel _ZN7rocprim17ROCPRIM_400000_NS6detail17trampoline_kernelINS0_14default_configENS1_20scan_config_selectorIiEEZZNS1_9scan_implILNS1_25lookback_scan_determinismE0ELb0ELb0ES3_N6thrust23THRUST_200600_302600_NS6detail15normal_iteratorINS9_10device_ptrIiEEEENS9_16discard_iteratorINS9_11use_defaultEEEiNS9_4plusIvEEiEEDaPvRmT3_T4_T5_mT6_P12ihipStream_tbENKUlT_T0_E_clISt17integral_constantIbLb0EESX_EEDaSS_ST_EUlSS_E0_NS1_11comp_targetILNS1_3genE2ELNS1_11target_archE906ELNS1_3gpuE6ELNS1_3repE0EEENS1_30default_config_static_selectorELNS0_4arch9wavefront6targetE1EEEvT1_
		.amdhsa_group_segment_fixed_size 0
		.amdhsa_private_segment_fixed_size 0
		.amdhsa_kernarg_size 40
		.amdhsa_user_sgpr_count 6
		.amdhsa_user_sgpr_private_segment_buffer 1
		.amdhsa_user_sgpr_dispatch_ptr 0
		.amdhsa_user_sgpr_queue_ptr 0
		.amdhsa_user_sgpr_kernarg_segment_ptr 1
		.amdhsa_user_sgpr_dispatch_id 0
		.amdhsa_user_sgpr_flat_scratch_init 0
		.amdhsa_user_sgpr_kernarg_preload_length 0
		.amdhsa_user_sgpr_kernarg_preload_offset 0
		.amdhsa_user_sgpr_private_segment_size 0
		.amdhsa_uses_dynamic_stack 0
		.amdhsa_system_sgpr_private_segment_wavefront_offset 0
		.amdhsa_system_sgpr_workgroup_id_x 1
		.amdhsa_system_sgpr_workgroup_id_y 0
		.amdhsa_system_sgpr_workgroup_id_z 0
		.amdhsa_system_sgpr_workgroup_info 0
		.amdhsa_system_vgpr_workitem_id 0
		.amdhsa_next_free_vgpr 1
		.amdhsa_next_free_sgpr 0
		.amdhsa_accum_offset 4
		.amdhsa_reserve_vcc 0
		.amdhsa_reserve_flat_scratch 0
		.amdhsa_float_round_mode_32 0
		.amdhsa_float_round_mode_16_64 0
		.amdhsa_float_denorm_mode_32 3
		.amdhsa_float_denorm_mode_16_64 3
		.amdhsa_dx10_clamp 1
		.amdhsa_ieee_mode 1
		.amdhsa_fp16_overflow 0
		.amdhsa_tg_split 0
		.amdhsa_exception_fp_ieee_invalid_op 0
		.amdhsa_exception_fp_denorm_src 0
		.amdhsa_exception_fp_ieee_div_zero 0
		.amdhsa_exception_fp_ieee_overflow 0
		.amdhsa_exception_fp_ieee_underflow 0
		.amdhsa_exception_fp_ieee_inexact 0
		.amdhsa_exception_int_div_zero 0
	.end_amdhsa_kernel
	.section	.text._ZN7rocprim17ROCPRIM_400000_NS6detail17trampoline_kernelINS0_14default_configENS1_20scan_config_selectorIiEEZZNS1_9scan_implILNS1_25lookback_scan_determinismE0ELb0ELb0ES3_N6thrust23THRUST_200600_302600_NS6detail15normal_iteratorINS9_10device_ptrIiEEEENS9_16discard_iteratorINS9_11use_defaultEEEiNS9_4plusIvEEiEEDaPvRmT3_T4_T5_mT6_P12ihipStream_tbENKUlT_T0_E_clISt17integral_constantIbLb0EESX_EEDaSS_ST_EUlSS_E0_NS1_11comp_targetILNS1_3genE2ELNS1_11target_archE906ELNS1_3gpuE6ELNS1_3repE0EEENS1_30default_config_static_selectorELNS0_4arch9wavefront6targetE1EEEvT1_,"axG",@progbits,_ZN7rocprim17ROCPRIM_400000_NS6detail17trampoline_kernelINS0_14default_configENS1_20scan_config_selectorIiEEZZNS1_9scan_implILNS1_25lookback_scan_determinismE0ELb0ELb0ES3_N6thrust23THRUST_200600_302600_NS6detail15normal_iteratorINS9_10device_ptrIiEEEENS9_16discard_iteratorINS9_11use_defaultEEEiNS9_4plusIvEEiEEDaPvRmT3_T4_T5_mT6_P12ihipStream_tbENKUlT_T0_E_clISt17integral_constantIbLb0EESX_EEDaSS_ST_EUlSS_E0_NS1_11comp_targetILNS1_3genE2ELNS1_11target_archE906ELNS1_3gpuE6ELNS1_3repE0EEENS1_30default_config_static_selectorELNS0_4arch9wavefront6targetE1EEEvT1_,comdat
.Lfunc_end5739:
	.size	_ZN7rocprim17ROCPRIM_400000_NS6detail17trampoline_kernelINS0_14default_configENS1_20scan_config_selectorIiEEZZNS1_9scan_implILNS1_25lookback_scan_determinismE0ELb0ELb0ES3_N6thrust23THRUST_200600_302600_NS6detail15normal_iteratorINS9_10device_ptrIiEEEENS9_16discard_iteratorINS9_11use_defaultEEEiNS9_4plusIvEEiEEDaPvRmT3_T4_T5_mT6_P12ihipStream_tbENKUlT_T0_E_clISt17integral_constantIbLb0EESX_EEDaSS_ST_EUlSS_E0_NS1_11comp_targetILNS1_3genE2ELNS1_11target_archE906ELNS1_3gpuE6ELNS1_3repE0EEENS1_30default_config_static_selectorELNS0_4arch9wavefront6targetE1EEEvT1_, .Lfunc_end5739-_ZN7rocprim17ROCPRIM_400000_NS6detail17trampoline_kernelINS0_14default_configENS1_20scan_config_selectorIiEEZZNS1_9scan_implILNS1_25lookback_scan_determinismE0ELb0ELb0ES3_N6thrust23THRUST_200600_302600_NS6detail15normal_iteratorINS9_10device_ptrIiEEEENS9_16discard_iteratorINS9_11use_defaultEEEiNS9_4plusIvEEiEEDaPvRmT3_T4_T5_mT6_P12ihipStream_tbENKUlT_T0_E_clISt17integral_constantIbLb0EESX_EEDaSS_ST_EUlSS_E0_NS1_11comp_targetILNS1_3genE2ELNS1_11target_archE906ELNS1_3gpuE6ELNS1_3repE0EEENS1_30default_config_static_selectorELNS0_4arch9wavefront6targetE1EEEvT1_
                                        ; -- End function
	.section	.AMDGPU.csdata,"",@progbits
; Kernel info:
; codeLenInByte = 0
; NumSgprs: 4
; NumVgprs: 0
; NumAgprs: 0
; TotalNumVgprs: 0
; ScratchSize: 0
; MemoryBound: 0
; FloatMode: 240
; IeeeMode: 1
; LDSByteSize: 0 bytes/workgroup (compile time only)
; SGPRBlocks: 0
; VGPRBlocks: 0
; NumSGPRsForWavesPerEU: 4
; NumVGPRsForWavesPerEU: 1
; AccumOffset: 4
; Occupancy: 8
; WaveLimiterHint : 0
; COMPUTE_PGM_RSRC2:SCRATCH_EN: 0
; COMPUTE_PGM_RSRC2:USER_SGPR: 6
; COMPUTE_PGM_RSRC2:TRAP_HANDLER: 0
; COMPUTE_PGM_RSRC2:TGID_X_EN: 1
; COMPUTE_PGM_RSRC2:TGID_Y_EN: 0
; COMPUTE_PGM_RSRC2:TGID_Z_EN: 0
; COMPUTE_PGM_RSRC2:TIDIG_COMP_CNT: 0
; COMPUTE_PGM_RSRC3_GFX90A:ACCUM_OFFSET: 0
; COMPUTE_PGM_RSRC3_GFX90A:TG_SPLIT: 0
	.section	.text._ZN7rocprim17ROCPRIM_400000_NS6detail17trampoline_kernelINS0_14default_configENS1_20scan_config_selectorIiEEZZNS1_9scan_implILNS1_25lookback_scan_determinismE0ELb0ELb0ES3_N6thrust23THRUST_200600_302600_NS6detail15normal_iteratorINS9_10device_ptrIiEEEENS9_16discard_iteratorINS9_11use_defaultEEEiNS9_4plusIvEEiEEDaPvRmT3_T4_T5_mT6_P12ihipStream_tbENKUlT_T0_E_clISt17integral_constantIbLb0EESX_EEDaSS_ST_EUlSS_E0_NS1_11comp_targetILNS1_3genE10ELNS1_11target_archE1201ELNS1_3gpuE5ELNS1_3repE0EEENS1_30default_config_static_selectorELNS0_4arch9wavefront6targetE1EEEvT1_,"axG",@progbits,_ZN7rocprim17ROCPRIM_400000_NS6detail17trampoline_kernelINS0_14default_configENS1_20scan_config_selectorIiEEZZNS1_9scan_implILNS1_25lookback_scan_determinismE0ELb0ELb0ES3_N6thrust23THRUST_200600_302600_NS6detail15normal_iteratorINS9_10device_ptrIiEEEENS9_16discard_iteratorINS9_11use_defaultEEEiNS9_4plusIvEEiEEDaPvRmT3_T4_T5_mT6_P12ihipStream_tbENKUlT_T0_E_clISt17integral_constantIbLb0EESX_EEDaSS_ST_EUlSS_E0_NS1_11comp_targetILNS1_3genE10ELNS1_11target_archE1201ELNS1_3gpuE5ELNS1_3repE0EEENS1_30default_config_static_selectorELNS0_4arch9wavefront6targetE1EEEvT1_,comdat
	.protected	_ZN7rocprim17ROCPRIM_400000_NS6detail17trampoline_kernelINS0_14default_configENS1_20scan_config_selectorIiEEZZNS1_9scan_implILNS1_25lookback_scan_determinismE0ELb0ELb0ES3_N6thrust23THRUST_200600_302600_NS6detail15normal_iteratorINS9_10device_ptrIiEEEENS9_16discard_iteratorINS9_11use_defaultEEEiNS9_4plusIvEEiEEDaPvRmT3_T4_T5_mT6_P12ihipStream_tbENKUlT_T0_E_clISt17integral_constantIbLb0EESX_EEDaSS_ST_EUlSS_E0_NS1_11comp_targetILNS1_3genE10ELNS1_11target_archE1201ELNS1_3gpuE5ELNS1_3repE0EEENS1_30default_config_static_selectorELNS0_4arch9wavefront6targetE1EEEvT1_ ; -- Begin function _ZN7rocprim17ROCPRIM_400000_NS6detail17trampoline_kernelINS0_14default_configENS1_20scan_config_selectorIiEEZZNS1_9scan_implILNS1_25lookback_scan_determinismE0ELb0ELb0ES3_N6thrust23THRUST_200600_302600_NS6detail15normal_iteratorINS9_10device_ptrIiEEEENS9_16discard_iteratorINS9_11use_defaultEEEiNS9_4plusIvEEiEEDaPvRmT3_T4_T5_mT6_P12ihipStream_tbENKUlT_T0_E_clISt17integral_constantIbLb0EESX_EEDaSS_ST_EUlSS_E0_NS1_11comp_targetILNS1_3genE10ELNS1_11target_archE1201ELNS1_3gpuE5ELNS1_3repE0EEENS1_30default_config_static_selectorELNS0_4arch9wavefront6targetE1EEEvT1_
	.globl	_ZN7rocprim17ROCPRIM_400000_NS6detail17trampoline_kernelINS0_14default_configENS1_20scan_config_selectorIiEEZZNS1_9scan_implILNS1_25lookback_scan_determinismE0ELb0ELb0ES3_N6thrust23THRUST_200600_302600_NS6detail15normal_iteratorINS9_10device_ptrIiEEEENS9_16discard_iteratorINS9_11use_defaultEEEiNS9_4plusIvEEiEEDaPvRmT3_T4_T5_mT6_P12ihipStream_tbENKUlT_T0_E_clISt17integral_constantIbLb0EESX_EEDaSS_ST_EUlSS_E0_NS1_11comp_targetILNS1_3genE10ELNS1_11target_archE1201ELNS1_3gpuE5ELNS1_3repE0EEENS1_30default_config_static_selectorELNS0_4arch9wavefront6targetE1EEEvT1_
	.p2align	8
	.type	_ZN7rocprim17ROCPRIM_400000_NS6detail17trampoline_kernelINS0_14default_configENS1_20scan_config_selectorIiEEZZNS1_9scan_implILNS1_25lookback_scan_determinismE0ELb0ELb0ES3_N6thrust23THRUST_200600_302600_NS6detail15normal_iteratorINS9_10device_ptrIiEEEENS9_16discard_iteratorINS9_11use_defaultEEEiNS9_4plusIvEEiEEDaPvRmT3_T4_T5_mT6_P12ihipStream_tbENKUlT_T0_E_clISt17integral_constantIbLb0EESX_EEDaSS_ST_EUlSS_E0_NS1_11comp_targetILNS1_3genE10ELNS1_11target_archE1201ELNS1_3gpuE5ELNS1_3repE0EEENS1_30default_config_static_selectorELNS0_4arch9wavefront6targetE1EEEvT1_,@function
_ZN7rocprim17ROCPRIM_400000_NS6detail17trampoline_kernelINS0_14default_configENS1_20scan_config_selectorIiEEZZNS1_9scan_implILNS1_25lookback_scan_determinismE0ELb0ELb0ES3_N6thrust23THRUST_200600_302600_NS6detail15normal_iteratorINS9_10device_ptrIiEEEENS9_16discard_iteratorINS9_11use_defaultEEEiNS9_4plusIvEEiEEDaPvRmT3_T4_T5_mT6_P12ihipStream_tbENKUlT_T0_E_clISt17integral_constantIbLb0EESX_EEDaSS_ST_EUlSS_E0_NS1_11comp_targetILNS1_3genE10ELNS1_11target_archE1201ELNS1_3gpuE5ELNS1_3repE0EEENS1_30default_config_static_selectorELNS0_4arch9wavefront6targetE1EEEvT1_: ; @_ZN7rocprim17ROCPRIM_400000_NS6detail17trampoline_kernelINS0_14default_configENS1_20scan_config_selectorIiEEZZNS1_9scan_implILNS1_25lookback_scan_determinismE0ELb0ELb0ES3_N6thrust23THRUST_200600_302600_NS6detail15normal_iteratorINS9_10device_ptrIiEEEENS9_16discard_iteratorINS9_11use_defaultEEEiNS9_4plusIvEEiEEDaPvRmT3_T4_T5_mT6_P12ihipStream_tbENKUlT_T0_E_clISt17integral_constantIbLb0EESX_EEDaSS_ST_EUlSS_E0_NS1_11comp_targetILNS1_3genE10ELNS1_11target_archE1201ELNS1_3gpuE5ELNS1_3repE0EEENS1_30default_config_static_selectorELNS0_4arch9wavefront6targetE1EEEvT1_
; %bb.0:
	.section	.rodata,"a",@progbits
	.p2align	6, 0x0
	.amdhsa_kernel _ZN7rocprim17ROCPRIM_400000_NS6detail17trampoline_kernelINS0_14default_configENS1_20scan_config_selectorIiEEZZNS1_9scan_implILNS1_25lookback_scan_determinismE0ELb0ELb0ES3_N6thrust23THRUST_200600_302600_NS6detail15normal_iteratorINS9_10device_ptrIiEEEENS9_16discard_iteratorINS9_11use_defaultEEEiNS9_4plusIvEEiEEDaPvRmT3_T4_T5_mT6_P12ihipStream_tbENKUlT_T0_E_clISt17integral_constantIbLb0EESX_EEDaSS_ST_EUlSS_E0_NS1_11comp_targetILNS1_3genE10ELNS1_11target_archE1201ELNS1_3gpuE5ELNS1_3repE0EEENS1_30default_config_static_selectorELNS0_4arch9wavefront6targetE1EEEvT1_
		.amdhsa_group_segment_fixed_size 0
		.amdhsa_private_segment_fixed_size 0
		.amdhsa_kernarg_size 40
		.amdhsa_user_sgpr_count 6
		.amdhsa_user_sgpr_private_segment_buffer 1
		.amdhsa_user_sgpr_dispatch_ptr 0
		.amdhsa_user_sgpr_queue_ptr 0
		.amdhsa_user_sgpr_kernarg_segment_ptr 1
		.amdhsa_user_sgpr_dispatch_id 0
		.amdhsa_user_sgpr_flat_scratch_init 0
		.amdhsa_user_sgpr_kernarg_preload_length 0
		.amdhsa_user_sgpr_kernarg_preload_offset 0
		.amdhsa_user_sgpr_private_segment_size 0
		.amdhsa_uses_dynamic_stack 0
		.amdhsa_system_sgpr_private_segment_wavefront_offset 0
		.amdhsa_system_sgpr_workgroup_id_x 1
		.amdhsa_system_sgpr_workgroup_id_y 0
		.amdhsa_system_sgpr_workgroup_id_z 0
		.amdhsa_system_sgpr_workgroup_info 0
		.amdhsa_system_vgpr_workitem_id 0
		.amdhsa_next_free_vgpr 1
		.amdhsa_next_free_sgpr 0
		.amdhsa_accum_offset 4
		.amdhsa_reserve_vcc 0
		.amdhsa_reserve_flat_scratch 0
		.amdhsa_float_round_mode_32 0
		.amdhsa_float_round_mode_16_64 0
		.amdhsa_float_denorm_mode_32 3
		.amdhsa_float_denorm_mode_16_64 3
		.amdhsa_dx10_clamp 1
		.amdhsa_ieee_mode 1
		.amdhsa_fp16_overflow 0
		.amdhsa_tg_split 0
		.amdhsa_exception_fp_ieee_invalid_op 0
		.amdhsa_exception_fp_denorm_src 0
		.amdhsa_exception_fp_ieee_div_zero 0
		.amdhsa_exception_fp_ieee_overflow 0
		.amdhsa_exception_fp_ieee_underflow 0
		.amdhsa_exception_fp_ieee_inexact 0
		.amdhsa_exception_int_div_zero 0
	.end_amdhsa_kernel
	.section	.text._ZN7rocprim17ROCPRIM_400000_NS6detail17trampoline_kernelINS0_14default_configENS1_20scan_config_selectorIiEEZZNS1_9scan_implILNS1_25lookback_scan_determinismE0ELb0ELb0ES3_N6thrust23THRUST_200600_302600_NS6detail15normal_iteratorINS9_10device_ptrIiEEEENS9_16discard_iteratorINS9_11use_defaultEEEiNS9_4plusIvEEiEEDaPvRmT3_T4_T5_mT6_P12ihipStream_tbENKUlT_T0_E_clISt17integral_constantIbLb0EESX_EEDaSS_ST_EUlSS_E0_NS1_11comp_targetILNS1_3genE10ELNS1_11target_archE1201ELNS1_3gpuE5ELNS1_3repE0EEENS1_30default_config_static_selectorELNS0_4arch9wavefront6targetE1EEEvT1_,"axG",@progbits,_ZN7rocprim17ROCPRIM_400000_NS6detail17trampoline_kernelINS0_14default_configENS1_20scan_config_selectorIiEEZZNS1_9scan_implILNS1_25lookback_scan_determinismE0ELb0ELb0ES3_N6thrust23THRUST_200600_302600_NS6detail15normal_iteratorINS9_10device_ptrIiEEEENS9_16discard_iteratorINS9_11use_defaultEEEiNS9_4plusIvEEiEEDaPvRmT3_T4_T5_mT6_P12ihipStream_tbENKUlT_T0_E_clISt17integral_constantIbLb0EESX_EEDaSS_ST_EUlSS_E0_NS1_11comp_targetILNS1_3genE10ELNS1_11target_archE1201ELNS1_3gpuE5ELNS1_3repE0EEENS1_30default_config_static_selectorELNS0_4arch9wavefront6targetE1EEEvT1_,comdat
.Lfunc_end5740:
	.size	_ZN7rocprim17ROCPRIM_400000_NS6detail17trampoline_kernelINS0_14default_configENS1_20scan_config_selectorIiEEZZNS1_9scan_implILNS1_25lookback_scan_determinismE0ELb0ELb0ES3_N6thrust23THRUST_200600_302600_NS6detail15normal_iteratorINS9_10device_ptrIiEEEENS9_16discard_iteratorINS9_11use_defaultEEEiNS9_4plusIvEEiEEDaPvRmT3_T4_T5_mT6_P12ihipStream_tbENKUlT_T0_E_clISt17integral_constantIbLb0EESX_EEDaSS_ST_EUlSS_E0_NS1_11comp_targetILNS1_3genE10ELNS1_11target_archE1201ELNS1_3gpuE5ELNS1_3repE0EEENS1_30default_config_static_selectorELNS0_4arch9wavefront6targetE1EEEvT1_, .Lfunc_end5740-_ZN7rocprim17ROCPRIM_400000_NS6detail17trampoline_kernelINS0_14default_configENS1_20scan_config_selectorIiEEZZNS1_9scan_implILNS1_25lookback_scan_determinismE0ELb0ELb0ES3_N6thrust23THRUST_200600_302600_NS6detail15normal_iteratorINS9_10device_ptrIiEEEENS9_16discard_iteratorINS9_11use_defaultEEEiNS9_4plusIvEEiEEDaPvRmT3_T4_T5_mT6_P12ihipStream_tbENKUlT_T0_E_clISt17integral_constantIbLb0EESX_EEDaSS_ST_EUlSS_E0_NS1_11comp_targetILNS1_3genE10ELNS1_11target_archE1201ELNS1_3gpuE5ELNS1_3repE0EEENS1_30default_config_static_selectorELNS0_4arch9wavefront6targetE1EEEvT1_
                                        ; -- End function
	.section	.AMDGPU.csdata,"",@progbits
; Kernel info:
; codeLenInByte = 0
; NumSgprs: 4
; NumVgprs: 0
; NumAgprs: 0
; TotalNumVgprs: 0
; ScratchSize: 0
; MemoryBound: 0
; FloatMode: 240
; IeeeMode: 1
; LDSByteSize: 0 bytes/workgroup (compile time only)
; SGPRBlocks: 0
; VGPRBlocks: 0
; NumSGPRsForWavesPerEU: 4
; NumVGPRsForWavesPerEU: 1
; AccumOffset: 4
; Occupancy: 8
; WaveLimiterHint : 0
; COMPUTE_PGM_RSRC2:SCRATCH_EN: 0
; COMPUTE_PGM_RSRC2:USER_SGPR: 6
; COMPUTE_PGM_RSRC2:TRAP_HANDLER: 0
; COMPUTE_PGM_RSRC2:TGID_X_EN: 1
; COMPUTE_PGM_RSRC2:TGID_Y_EN: 0
; COMPUTE_PGM_RSRC2:TGID_Z_EN: 0
; COMPUTE_PGM_RSRC2:TIDIG_COMP_CNT: 0
; COMPUTE_PGM_RSRC3_GFX90A:ACCUM_OFFSET: 0
; COMPUTE_PGM_RSRC3_GFX90A:TG_SPLIT: 0
	.section	.text._ZN7rocprim17ROCPRIM_400000_NS6detail17trampoline_kernelINS0_14default_configENS1_20scan_config_selectorIiEEZZNS1_9scan_implILNS1_25lookback_scan_determinismE0ELb0ELb0ES3_N6thrust23THRUST_200600_302600_NS6detail15normal_iteratorINS9_10device_ptrIiEEEENS9_16discard_iteratorINS9_11use_defaultEEEiNS9_4plusIvEEiEEDaPvRmT3_T4_T5_mT6_P12ihipStream_tbENKUlT_T0_E_clISt17integral_constantIbLb0EESX_EEDaSS_ST_EUlSS_E0_NS1_11comp_targetILNS1_3genE10ELNS1_11target_archE1200ELNS1_3gpuE4ELNS1_3repE0EEENS1_30default_config_static_selectorELNS0_4arch9wavefront6targetE1EEEvT1_,"axG",@progbits,_ZN7rocprim17ROCPRIM_400000_NS6detail17trampoline_kernelINS0_14default_configENS1_20scan_config_selectorIiEEZZNS1_9scan_implILNS1_25lookback_scan_determinismE0ELb0ELb0ES3_N6thrust23THRUST_200600_302600_NS6detail15normal_iteratorINS9_10device_ptrIiEEEENS9_16discard_iteratorINS9_11use_defaultEEEiNS9_4plusIvEEiEEDaPvRmT3_T4_T5_mT6_P12ihipStream_tbENKUlT_T0_E_clISt17integral_constantIbLb0EESX_EEDaSS_ST_EUlSS_E0_NS1_11comp_targetILNS1_3genE10ELNS1_11target_archE1200ELNS1_3gpuE4ELNS1_3repE0EEENS1_30default_config_static_selectorELNS0_4arch9wavefront6targetE1EEEvT1_,comdat
	.protected	_ZN7rocprim17ROCPRIM_400000_NS6detail17trampoline_kernelINS0_14default_configENS1_20scan_config_selectorIiEEZZNS1_9scan_implILNS1_25lookback_scan_determinismE0ELb0ELb0ES3_N6thrust23THRUST_200600_302600_NS6detail15normal_iteratorINS9_10device_ptrIiEEEENS9_16discard_iteratorINS9_11use_defaultEEEiNS9_4plusIvEEiEEDaPvRmT3_T4_T5_mT6_P12ihipStream_tbENKUlT_T0_E_clISt17integral_constantIbLb0EESX_EEDaSS_ST_EUlSS_E0_NS1_11comp_targetILNS1_3genE10ELNS1_11target_archE1200ELNS1_3gpuE4ELNS1_3repE0EEENS1_30default_config_static_selectorELNS0_4arch9wavefront6targetE1EEEvT1_ ; -- Begin function _ZN7rocprim17ROCPRIM_400000_NS6detail17trampoline_kernelINS0_14default_configENS1_20scan_config_selectorIiEEZZNS1_9scan_implILNS1_25lookback_scan_determinismE0ELb0ELb0ES3_N6thrust23THRUST_200600_302600_NS6detail15normal_iteratorINS9_10device_ptrIiEEEENS9_16discard_iteratorINS9_11use_defaultEEEiNS9_4plusIvEEiEEDaPvRmT3_T4_T5_mT6_P12ihipStream_tbENKUlT_T0_E_clISt17integral_constantIbLb0EESX_EEDaSS_ST_EUlSS_E0_NS1_11comp_targetILNS1_3genE10ELNS1_11target_archE1200ELNS1_3gpuE4ELNS1_3repE0EEENS1_30default_config_static_selectorELNS0_4arch9wavefront6targetE1EEEvT1_
	.globl	_ZN7rocprim17ROCPRIM_400000_NS6detail17trampoline_kernelINS0_14default_configENS1_20scan_config_selectorIiEEZZNS1_9scan_implILNS1_25lookback_scan_determinismE0ELb0ELb0ES3_N6thrust23THRUST_200600_302600_NS6detail15normal_iteratorINS9_10device_ptrIiEEEENS9_16discard_iteratorINS9_11use_defaultEEEiNS9_4plusIvEEiEEDaPvRmT3_T4_T5_mT6_P12ihipStream_tbENKUlT_T0_E_clISt17integral_constantIbLb0EESX_EEDaSS_ST_EUlSS_E0_NS1_11comp_targetILNS1_3genE10ELNS1_11target_archE1200ELNS1_3gpuE4ELNS1_3repE0EEENS1_30default_config_static_selectorELNS0_4arch9wavefront6targetE1EEEvT1_
	.p2align	8
	.type	_ZN7rocprim17ROCPRIM_400000_NS6detail17trampoline_kernelINS0_14default_configENS1_20scan_config_selectorIiEEZZNS1_9scan_implILNS1_25lookback_scan_determinismE0ELb0ELb0ES3_N6thrust23THRUST_200600_302600_NS6detail15normal_iteratorINS9_10device_ptrIiEEEENS9_16discard_iteratorINS9_11use_defaultEEEiNS9_4plusIvEEiEEDaPvRmT3_T4_T5_mT6_P12ihipStream_tbENKUlT_T0_E_clISt17integral_constantIbLb0EESX_EEDaSS_ST_EUlSS_E0_NS1_11comp_targetILNS1_3genE10ELNS1_11target_archE1200ELNS1_3gpuE4ELNS1_3repE0EEENS1_30default_config_static_selectorELNS0_4arch9wavefront6targetE1EEEvT1_,@function
_ZN7rocprim17ROCPRIM_400000_NS6detail17trampoline_kernelINS0_14default_configENS1_20scan_config_selectorIiEEZZNS1_9scan_implILNS1_25lookback_scan_determinismE0ELb0ELb0ES3_N6thrust23THRUST_200600_302600_NS6detail15normal_iteratorINS9_10device_ptrIiEEEENS9_16discard_iteratorINS9_11use_defaultEEEiNS9_4plusIvEEiEEDaPvRmT3_T4_T5_mT6_P12ihipStream_tbENKUlT_T0_E_clISt17integral_constantIbLb0EESX_EEDaSS_ST_EUlSS_E0_NS1_11comp_targetILNS1_3genE10ELNS1_11target_archE1200ELNS1_3gpuE4ELNS1_3repE0EEENS1_30default_config_static_selectorELNS0_4arch9wavefront6targetE1EEEvT1_: ; @_ZN7rocprim17ROCPRIM_400000_NS6detail17trampoline_kernelINS0_14default_configENS1_20scan_config_selectorIiEEZZNS1_9scan_implILNS1_25lookback_scan_determinismE0ELb0ELb0ES3_N6thrust23THRUST_200600_302600_NS6detail15normal_iteratorINS9_10device_ptrIiEEEENS9_16discard_iteratorINS9_11use_defaultEEEiNS9_4plusIvEEiEEDaPvRmT3_T4_T5_mT6_P12ihipStream_tbENKUlT_T0_E_clISt17integral_constantIbLb0EESX_EEDaSS_ST_EUlSS_E0_NS1_11comp_targetILNS1_3genE10ELNS1_11target_archE1200ELNS1_3gpuE4ELNS1_3repE0EEENS1_30default_config_static_selectorELNS0_4arch9wavefront6targetE1EEEvT1_
; %bb.0:
	.section	.rodata,"a",@progbits
	.p2align	6, 0x0
	.amdhsa_kernel _ZN7rocprim17ROCPRIM_400000_NS6detail17trampoline_kernelINS0_14default_configENS1_20scan_config_selectorIiEEZZNS1_9scan_implILNS1_25lookback_scan_determinismE0ELb0ELb0ES3_N6thrust23THRUST_200600_302600_NS6detail15normal_iteratorINS9_10device_ptrIiEEEENS9_16discard_iteratorINS9_11use_defaultEEEiNS9_4plusIvEEiEEDaPvRmT3_T4_T5_mT6_P12ihipStream_tbENKUlT_T0_E_clISt17integral_constantIbLb0EESX_EEDaSS_ST_EUlSS_E0_NS1_11comp_targetILNS1_3genE10ELNS1_11target_archE1200ELNS1_3gpuE4ELNS1_3repE0EEENS1_30default_config_static_selectorELNS0_4arch9wavefront6targetE1EEEvT1_
		.amdhsa_group_segment_fixed_size 0
		.amdhsa_private_segment_fixed_size 0
		.amdhsa_kernarg_size 40
		.amdhsa_user_sgpr_count 6
		.amdhsa_user_sgpr_private_segment_buffer 1
		.amdhsa_user_sgpr_dispatch_ptr 0
		.amdhsa_user_sgpr_queue_ptr 0
		.amdhsa_user_sgpr_kernarg_segment_ptr 1
		.amdhsa_user_sgpr_dispatch_id 0
		.amdhsa_user_sgpr_flat_scratch_init 0
		.amdhsa_user_sgpr_kernarg_preload_length 0
		.amdhsa_user_sgpr_kernarg_preload_offset 0
		.amdhsa_user_sgpr_private_segment_size 0
		.amdhsa_uses_dynamic_stack 0
		.amdhsa_system_sgpr_private_segment_wavefront_offset 0
		.amdhsa_system_sgpr_workgroup_id_x 1
		.amdhsa_system_sgpr_workgroup_id_y 0
		.amdhsa_system_sgpr_workgroup_id_z 0
		.amdhsa_system_sgpr_workgroup_info 0
		.amdhsa_system_vgpr_workitem_id 0
		.amdhsa_next_free_vgpr 1
		.amdhsa_next_free_sgpr 0
		.amdhsa_accum_offset 4
		.amdhsa_reserve_vcc 0
		.amdhsa_reserve_flat_scratch 0
		.amdhsa_float_round_mode_32 0
		.amdhsa_float_round_mode_16_64 0
		.amdhsa_float_denorm_mode_32 3
		.amdhsa_float_denorm_mode_16_64 3
		.amdhsa_dx10_clamp 1
		.amdhsa_ieee_mode 1
		.amdhsa_fp16_overflow 0
		.amdhsa_tg_split 0
		.amdhsa_exception_fp_ieee_invalid_op 0
		.amdhsa_exception_fp_denorm_src 0
		.amdhsa_exception_fp_ieee_div_zero 0
		.amdhsa_exception_fp_ieee_overflow 0
		.amdhsa_exception_fp_ieee_underflow 0
		.amdhsa_exception_fp_ieee_inexact 0
		.amdhsa_exception_int_div_zero 0
	.end_amdhsa_kernel
	.section	.text._ZN7rocprim17ROCPRIM_400000_NS6detail17trampoline_kernelINS0_14default_configENS1_20scan_config_selectorIiEEZZNS1_9scan_implILNS1_25lookback_scan_determinismE0ELb0ELb0ES3_N6thrust23THRUST_200600_302600_NS6detail15normal_iteratorINS9_10device_ptrIiEEEENS9_16discard_iteratorINS9_11use_defaultEEEiNS9_4plusIvEEiEEDaPvRmT3_T4_T5_mT6_P12ihipStream_tbENKUlT_T0_E_clISt17integral_constantIbLb0EESX_EEDaSS_ST_EUlSS_E0_NS1_11comp_targetILNS1_3genE10ELNS1_11target_archE1200ELNS1_3gpuE4ELNS1_3repE0EEENS1_30default_config_static_selectorELNS0_4arch9wavefront6targetE1EEEvT1_,"axG",@progbits,_ZN7rocprim17ROCPRIM_400000_NS6detail17trampoline_kernelINS0_14default_configENS1_20scan_config_selectorIiEEZZNS1_9scan_implILNS1_25lookback_scan_determinismE0ELb0ELb0ES3_N6thrust23THRUST_200600_302600_NS6detail15normal_iteratorINS9_10device_ptrIiEEEENS9_16discard_iteratorINS9_11use_defaultEEEiNS9_4plusIvEEiEEDaPvRmT3_T4_T5_mT6_P12ihipStream_tbENKUlT_T0_E_clISt17integral_constantIbLb0EESX_EEDaSS_ST_EUlSS_E0_NS1_11comp_targetILNS1_3genE10ELNS1_11target_archE1200ELNS1_3gpuE4ELNS1_3repE0EEENS1_30default_config_static_selectorELNS0_4arch9wavefront6targetE1EEEvT1_,comdat
.Lfunc_end5741:
	.size	_ZN7rocprim17ROCPRIM_400000_NS6detail17trampoline_kernelINS0_14default_configENS1_20scan_config_selectorIiEEZZNS1_9scan_implILNS1_25lookback_scan_determinismE0ELb0ELb0ES3_N6thrust23THRUST_200600_302600_NS6detail15normal_iteratorINS9_10device_ptrIiEEEENS9_16discard_iteratorINS9_11use_defaultEEEiNS9_4plusIvEEiEEDaPvRmT3_T4_T5_mT6_P12ihipStream_tbENKUlT_T0_E_clISt17integral_constantIbLb0EESX_EEDaSS_ST_EUlSS_E0_NS1_11comp_targetILNS1_3genE10ELNS1_11target_archE1200ELNS1_3gpuE4ELNS1_3repE0EEENS1_30default_config_static_selectorELNS0_4arch9wavefront6targetE1EEEvT1_, .Lfunc_end5741-_ZN7rocprim17ROCPRIM_400000_NS6detail17trampoline_kernelINS0_14default_configENS1_20scan_config_selectorIiEEZZNS1_9scan_implILNS1_25lookback_scan_determinismE0ELb0ELb0ES3_N6thrust23THRUST_200600_302600_NS6detail15normal_iteratorINS9_10device_ptrIiEEEENS9_16discard_iteratorINS9_11use_defaultEEEiNS9_4plusIvEEiEEDaPvRmT3_T4_T5_mT6_P12ihipStream_tbENKUlT_T0_E_clISt17integral_constantIbLb0EESX_EEDaSS_ST_EUlSS_E0_NS1_11comp_targetILNS1_3genE10ELNS1_11target_archE1200ELNS1_3gpuE4ELNS1_3repE0EEENS1_30default_config_static_selectorELNS0_4arch9wavefront6targetE1EEEvT1_
                                        ; -- End function
	.section	.AMDGPU.csdata,"",@progbits
; Kernel info:
; codeLenInByte = 0
; NumSgprs: 4
; NumVgprs: 0
; NumAgprs: 0
; TotalNumVgprs: 0
; ScratchSize: 0
; MemoryBound: 0
; FloatMode: 240
; IeeeMode: 1
; LDSByteSize: 0 bytes/workgroup (compile time only)
; SGPRBlocks: 0
; VGPRBlocks: 0
; NumSGPRsForWavesPerEU: 4
; NumVGPRsForWavesPerEU: 1
; AccumOffset: 4
; Occupancy: 8
; WaveLimiterHint : 0
; COMPUTE_PGM_RSRC2:SCRATCH_EN: 0
; COMPUTE_PGM_RSRC2:USER_SGPR: 6
; COMPUTE_PGM_RSRC2:TRAP_HANDLER: 0
; COMPUTE_PGM_RSRC2:TGID_X_EN: 1
; COMPUTE_PGM_RSRC2:TGID_Y_EN: 0
; COMPUTE_PGM_RSRC2:TGID_Z_EN: 0
; COMPUTE_PGM_RSRC2:TIDIG_COMP_CNT: 0
; COMPUTE_PGM_RSRC3_GFX90A:ACCUM_OFFSET: 0
; COMPUTE_PGM_RSRC3_GFX90A:TG_SPLIT: 0
	.section	.text._ZN7rocprim17ROCPRIM_400000_NS6detail17trampoline_kernelINS0_14default_configENS1_20scan_config_selectorIiEEZZNS1_9scan_implILNS1_25lookback_scan_determinismE0ELb0ELb0ES3_N6thrust23THRUST_200600_302600_NS6detail15normal_iteratorINS9_10device_ptrIiEEEENS9_16discard_iteratorINS9_11use_defaultEEEiNS9_4plusIvEEiEEDaPvRmT3_T4_T5_mT6_P12ihipStream_tbENKUlT_T0_E_clISt17integral_constantIbLb0EESX_EEDaSS_ST_EUlSS_E0_NS1_11comp_targetILNS1_3genE9ELNS1_11target_archE1100ELNS1_3gpuE3ELNS1_3repE0EEENS1_30default_config_static_selectorELNS0_4arch9wavefront6targetE1EEEvT1_,"axG",@progbits,_ZN7rocprim17ROCPRIM_400000_NS6detail17trampoline_kernelINS0_14default_configENS1_20scan_config_selectorIiEEZZNS1_9scan_implILNS1_25lookback_scan_determinismE0ELb0ELb0ES3_N6thrust23THRUST_200600_302600_NS6detail15normal_iteratorINS9_10device_ptrIiEEEENS9_16discard_iteratorINS9_11use_defaultEEEiNS9_4plusIvEEiEEDaPvRmT3_T4_T5_mT6_P12ihipStream_tbENKUlT_T0_E_clISt17integral_constantIbLb0EESX_EEDaSS_ST_EUlSS_E0_NS1_11comp_targetILNS1_3genE9ELNS1_11target_archE1100ELNS1_3gpuE3ELNS1_3repE0EEENS1_30default_config_static_selectorELNS0_4arch9wavefront6targetE1EEEvT1_,comdat
	.protected	_ZN7rocprim17ROCPRIM_400000_NS6detail17trampoline_kernelINS0_14default_configENS1_20scan_config_selectorIiEEZZNS1_9scan_implILNS1_25lookback_scan_determinismE0ELb0ELb0ES3_N6thrust23THRUST_200600_302600_NS6detail15normal_iteratorINS9_10device_ptrIiEEEENS9_16discard_iteratorINS9_11use_defaultEEEiNS9_4plusIvEEiEEDaPvRmT3_T4_T5_mT6_P12ihipStream_tbENKUlT_T0_E_clISt17integral_constantIbLb0EESX_EEDaSS_ST_EUlSS_E0_NS1_11comp_targetILNS1_3genE9ELNS1_11target_archE1100ELNS1_3gpuE3ELNS1_3repE0EEENS1_30default_config_static_selectorELNS0_4arch9wavefront6targetE1EEEvT1_ ; -- Begin function _ZN7rocprim17ROCPRIM_400000_NS6detail17trampoline_kernelINS0_14default_configENS1_20scan_config_selectorIiEEZZNS1_9scan_implILNS1_25lookback_scan_determinismE0ELb0ELb0ES3_N6thrust23THRUST_200600_302600_NS6detail15normal_iteratorINS9_10device_ptrIiEEEENS9_16discard_iteratorINS9_11use_defaultEEEiNS9_4plusIvEEiEEDaPvRmT3_T4_T5_mT6_P12ihipStream_tbENKUlT_T0_E_clISt17integral_constantIbLb0EESX_EEDaSS_ST_EUlSS_E0_NS1_11comp_targetILNS1_3genE9ELNS1_11target_archE1100ELNS1_3gpuE3ELNS1_3repE0EEENS1_30default_config_static_selectorELNS0_4arch9wavefront6targetE1EEEvT1_
	.globl	_ZN7rocprim17ROCPRIM_400000_NS6detail17trampoline_kernelINS0_14default_configENS1_20scan_config_selectorIiEEZZNS1_9scan_implILNS1_25lookback_scan_determinismE0ELb0ELb0ES3_N6thrust23THRUST_200600_302600_NS6detail15normal_iteratorINS9_10device_ptrIiEEEENS9_16discard_iteratorINS9_11use_defaultEEEiNS9_4plusIvEEiEEDaPvRmT3_T4_T5_mT6_P12ihipStream_tbENKUlT_T0_E_clISt17integral_constantIbLb0EESX_EEDaSS_ST_EUlSS_E0_NS1_11comp_targetILNS1_3genE9ELNS1_11target_archE1100ELNS1_3gpuE3ELNS1_3repE0EEENS1_30default_config_static_selectorELNS0_4arch9wavefront6targetE1EEEvT1_
	.p2align	8
	.type	_ZN7rocprim17ROCPRIM_400000_NS6detail17trampoline_kernelINS0_14default_configENS1_20scan_config_selectorIiEEZZNS1_9scan_implILNS1_25lookback_scan_determinismE0ELb0ELb0ES3_N6thrust23THRUST_200600_302600_NS6detail15normal_iteratorINS9_10device_ptrIiEEEENS9_16discard_iteratorINS9_11use_defaultEEEiNS9_4plusIvEEiEEDaPvRmT3_T4_T5_mT6_P12ihipStream_tbENKUlT_T0_E_clISt17integral_constantIbLb0EESX_EEDaSS_ST_EUlSS_E0_NS1_11comp_targetILNS1_3genE9ELNS1_11target_archE1100ELNS1_3gpuE3ELNS1_3repE0EEENS1_30default_config_static_selectorELNS0_4arch9wavefront6targetE1EEEvT1_,@function
_ZN7rocprim17ROCPRIM_400000_NS6detail17trampoline_kernelINS0_14default_configENS1_20scan_config_selectorIiEEZZNS1_9scan_implILNS1_25lookback_scan_determinismE0ELb0ELb0ES3_N6thrust23THRUST_200600_302600_NS6detail15normal_iteratorINS9_10device_ptrIiEEEENS9_16discard_iteratorINS9_11use_defaultEEEiNS9_4plusIvEEiEEDaPvRmT3_T4_T5_mT6_P12ihipStream_tbENKUlT_T0_E_clISt17integral_constantIbLb0EESX_EEDaSS_ST_EUlSS_E0_NS1_11comp_targetILNS1_3genE9ELNS1_11target_archE1100ELNS1_3gpuE3ELNS1_3repE0EEENS1_30default_config_static_selectorELNS0_4arch9wavefront6targetE1EEEvT1_: ; @_ZN7rocprim17ROCPRIM_400000_NS6detail17trampoline_kernelINS0_14default_configENS1_20scan_config_selectorIiEEZZNS1_9scan_implILNS1_25lookback_scan_determinismE0ELb0ELb0ES3_N6thrust23THRUST_200600_302600_NS6detail15normal_iteratorINS9_10device_ptrIiEEEENS9_16discard_iteratorINS9_11use_defaultEEEiNS9_4plusIvEEiEEDaPvRmT3_T4_T5_mT6_P12ihipStream_tbENKUlT_T0_E_clISt17integral_constantIbLb0EESX_EEDaSS_ST_EUlSS_E0_NS1_11comp_targetILNS1_3genE9ELNS1_11target_archE1100ELNS1_3gpuE3ELNS1_3repE0EEENS1_30default_config_static_selectorELNS0_4arch9wavefront6targetE1EEEvT1_
; %bb.0:
	.section	.rodata,"a",@progbits
	.p2align	6, 0x0
	.amdhsa_kernel _ZN7rocprim17ROCPRIM_400000_NS6detail17trampoline_kernelINS0_14default_configENS1_20scan_config_selectorIiEEZZNS1_9scan_implILNS1_25lookback_scan_determinismE0ELb0ELb0ES3_N6thrust23THRUST_200600_302600_NS6detail15normal_iteratorINS9_10device_ptrIiEEEENS9_16discard_iteratorINS9_11use_defaultEEEiNS9_4plusIvEEiEEDaPvRmT3_T4_T5_mT6_P12ihipStream_tbENKUlT_T0_E_clISt17integral_constantIbLb0EESX_EEDaSS_ST_EUlSS_E0_NS1_11comp_targetILNS1_3genE9ELNS1_11target_archE1100ELNS1_3gpuE3ELNS1_3repE0EEENS1_30default_config_static_selectorELNS0_4arch9wavefront6targetE1EEEvT1_
		.amdhsa_group_segment_fixed_size 0
		.amdhsa_private_segment_fixed_size 0
		.amdhsa_kernarg_size 40
		.amdhsa_user_sgpr_count 6
		.amdhsa_user_sgpr_private_segment_buffer 1
		.amdhsa_user_sgpr_dispatch_ptr 0
		.amdhsa_user_sgpr_queue_ptr 0
		.amdhsa_user_sgpr_kernarg_segment_ptr 1
		.amdhsa_user_sgpr_dispatch_id 0
		.amdhsa_user_sgpr_flat_scratch_init 0
		.amdhsa_user_sgpr_kernarg_preload_length 0
		.amdhsa_user_sgpr_kernarg_preload_offset 0
		.amdhsa_user_sgpr_private_segment_size 0
		.amdhsa_uses_dynamic_stack 0
		.amdhsa_system_sgpr_private_segment_wavefront_offset 0
		.amdhsa_system_sgpr_workgroup_id_x 1
		.amdhsa_system_sgpr_workgroup_id_y 0
		.amdhsa_system_sgpr_workgroup_id_z 0
		.amdhsa_system_sgpr_workgroup_info 0
		.amdhsa_system_vgpr_workitem_id 0
		.amdhsa_next_free_vgpr 1
		.amdhsa_next_free_sgpr 0
		.amdhsa_accum_offset 4
		.amdhsa_reserve_vcc 0
		.amdhsa_reserve_flat_scratch 0
		.amdhsa_float_round_mode_32 0
		.amdhsa_float_round_mode_16_64 0
		.amdhsa_float_denorm_mode_32 3
		.amdhsa_float_denorm_mode_16_64 3
		.amdhsa_dx10_clamp 1
		.amdhsa_ieee_mode 1
		.amdhsa_fp16_overflow 0
		.amdhsa_tg_split 0
		.amdhsa_exception_fp_ieee_invalid_op 0
		.amdhsa_exception_fp_denorm_src 0
		.amdhsa_exception_fp_ieee_div_zero 0
		.amdhsa_exception_fp_ieee_overflow 0
		.amdhsa_exception_fp_ieee_underflow 0
		.amdhsa_exception_fp_ieee_inexact 0
		.amdhsa_exception_int_div_zero 0
	.end_amdhsa_kernel
	.section	.text._ZN7rocprim17ROCPRIM_400000_NS6detail17trampoline_kernelINS0_14default_configENS1_20scan_config_selectorIiEEZZNS1_9scan_implILNS1_25lookback_scan_determinismE0ELb0ELb0ES3_N6thrust23THRUST_200600_302600_NS6detail15normal_iteratorINS9_10device_ptrIiEEEENS9_16discard_iteratorINS9_11use_defaultEEEiNS9_4plusIvEEiEEDaPvRmT3_T4_T5_mT6_P12ihipStream_tbENKUlT_T0_E_clISt17integral_constantIbLb0EESX_EEDaSS_ST_EUlSS_E0_NS1_11comp_targetILNS1_3genE9ELNS1_11target_archE1100ELNS1_3gpuE3ELNS1_3repE0EEENS1_30default_config_static_selectorELNS0_4arch9wavefront6targetE1EEEvT1_,"axG",@progbits,_ZN7rocprim17ROCPRIM_400000_NS6detail17trampoline_kernelINS0_14default_configENS1_20scan_config_selectorIiEEZZNS1_9scan_implILNS1_25lookback_scan_determinismE0ELb0ELb0ES3_N6thrust23THRUST_200600_302600_NS6detail15normal_iteratorINS9_10device_ptrIiEEEENS9_16discard_iteratorINS9_11use_defaultEEEiNS9_4plusIvEEiEEDaPvRmT3_T4_T5_mT6_P12ihipStream_tbENKUlT_T0_E_clISt17integral_constantIbLb0EESX_EEDaSS_ST_EUlSS_E0_NS1_11comp_targetILNS1_3genE9ELNS1_11target_archE1100ELNS1_3gpuE3ELNS1_3repE0EEENS1_30default_config_static_selectorELNS0_4arch9wavefront6targetE1EEEvT1_,comdat
.Lfunc_end5742:
	.size	_ZN7rocprim17ROCPRIM_400000_NS6detail17trampoline_kernelINS0_14default_configENS1_20scan_config_selectorIiEEZZNS1_9scan_implILNS1_25lookback_scan_determinismE0ELb0ELb0ES3_N6thrust23THRUST_200600_302600_NS6detail15normal_iteratorINS9_10device_ptrIiEEEENS9_16discard_iteratorINS9_11use_defaultEEEiNS9_4plusIvEEiEEDaPvRmT3_T4_T5_mT6_P12ihipStream_tbENKUlT_T0_E_clISt17integral_constantIbLb0EESX_EEDaSS_ST_EUlSS_E0_NS1_11comp_targetILNS1_3genE9ELNS1_11target_archE1100ELNS1_3gpuE3ELNS1_3repE0EEENS1_30default_config_static_selectorELNS0_4arch9wavefront6targetE1EEEvT1_, .Lfunc_end5742-_ZN7rocprim17ROCPRIM_400000_NS6detail17trampoline_kernelINS0_14default_configENS1_20scan_config_selectorIiEEZZNS1_9scan_implILNS1_25lookback_scan_determinismE0ELb0ELb0ES3_N6thrust23THRUST_200600_302600_NS6detail15normal_iteratorINS9_10device_ptrIiEEEENS9_16discard_iteratorINS9_11use_defaultEEEiNS9_4plusIvEEiEEDaPvRmT3_T4_T5_mT6_P12ihipStream_tbENKUlT_T0_E_clISt17integral_constantIbLb0EESX_EEDaSS_ST_EUlSS_E0_NS1_11comp_targetILNS1_3genE9ELNS1_11target_archE1100ELNS1_3gpuE3ELNS1_3repE0EEENS1_30default_config_static_selectorELNS0_4arch9wavefront6targetE1EEEvT1_
                                        ; -- End function
	.section	.AMDGPU.csdata,"",@progbits
; Kernel info:
; codeLenInByte = 0
; NumSgprs: 4
; NumVgprs: 0
; NumAgprs: 0
; TotalNumVgprs: 0
; ScratchSize: 0
; MemoryBound: 0
; FloatMode: 240
; IeeeMode: 1
; LDSByteSize: 0 bytes/workgroup (compile time only)
; SGPRBlocks: 0
; VGPRBlocks: 0
; NumSGPRsForWavesPerEU: 4
; NumVGPRsForWavesPerEU: 1
; AccumOffset: 4
; Occupancy: 8
; WaveLimiterHint : 0
; COMPUTE_PGM_RSRC2:SCRATCH_EN: 0
; COMPUTE_PGM_RSRC2:USER_SGPR: 6
; COMPUTE_PGM_RSRC2:TRAP_HANDLER: 0
; COMPUTE_PGM_RSRC2:TGID_X_EN: 1
; COMPUTE_PGM_RSRC2:TGID_Y_EN: 0
; COMPUTE_PGM_RSRC2:TGID_Z_EN: 0
; COMPUTE_PGM_RSRC2:TIDIG_COMP_CNT: 0
; COMPUTE_PGM_RSRC3_GFX90A:ACCUM_OFFSET: 0
; COMPUTE_PGM_RSRC3_GFX90A:TG_SPLIT: 0
	.section	.text._ZN7rocprim17ROCPRIM_400000_NS6detail17trampoline_kernelINS0_14default_configENS1_20scan_config_selectorIiEEZZNS1_9scan_implILNS1_25lookback_scan_determinismE0ELb0ELb0ES3_N6thrust23THRUST_200600_302600_NS6detail15normal_iteratorINS9_10device_ptrIiEEEENS9_16discard_iteratorINS9_11use_defaultEEEiNS9_4plusIvEEiEEDaPvRmT3_T4_T5_mT6_P12ihipStream_tbENKUlT_T0_E_clISt17integral_constantIbLb0EESX_EEDaSS_ST_EUlSS_E0_NS1_11comp_targetILNS1_3genE8ELNS1_11target_archE1030ELNS1_3gpuE2ELNS1_3repE0EEENS1_30default_config_static_selectorELNS0_4arch9wavefront6targetE1EEEvT1_,"axG",@progbits,_ZN7rocprim17ROCPRIM_400000_NS6detail17trampoline_kernelINS0_14default_configENS1_20scan_config_selectorIiEEZZNS1_9scan_implILNS1_25lookback_scan_determinismE0ELb0ELb0ES3_N6thrust23THRUST_200600_302600_NS6detail15normal_iteratorINS9_10device_ptrIiEEEENS9_16discard_iteratorINS9_11use_defaultEEEiNS9_4plusIvEEiEEDaPvRmT3_T4_T5_mT6_P12ihipStream_tbENKUlT_T0_E_clISt17integral_constantIbLb0EESX_EEDaSS_ST_EUlSS_E0_NS1_11comp_targetILNS1_3genE8ELNS1_11target_archE1030ELNS1_3gpuE2ELNS1_3repE0EEENS1_30default_config_static_selectorELNS0_4arch9wavefront6targetE1EEEvT1_,comdat
	.protected	_ZN7rocprim17ROCPRIM_400000_NS6detail17trampoline_kernelINS0_14default_configENS1_20scan_config_selectorIiEEZZNS1_9scan_implILNS1_25lookback_scan_determinismE0ELb0ELb0ES3_N6thrust23THRUST_200600_302600_NS6detail15normal_iteratorINS9_10device_ptrIiEEEENS9_16discard_iteratorINS9_11use_defaultEEEiNS9_4plusIvEEiEEDaPvRmT3_T4_T5_mT6_P12ihipStream_tbENKUlT_T0_E_clISt17integral_constantIbLb0EESX_EEDaSS_ST_EUlSS_E0_NS1_11comp_targetILNS1_3genE8ELNS1_11target_archE1030ELNS1_3gpuE2ELNS1_3repE0EEENS1_30default_config_static_selectorELNS0_4arch9wavefront6targetE1EEEvT1_ ; -- Begin function _ZN7rocprim17ROCPRIM_400000_NS6detail17trampoline_kernelINS0_14default_configENS1_20scan_config_selectorIiEEZZNS1_9scan_implILNS1_25lookback_scan_determinismE0ELb0ELb0ES3_N6thrust23THRUST_200600_302600_NS6detail15normal_iteratorINS9_10device_ptrIiEEEENS9_16discard_iteratorINS9_11use_defaultEEEiNS9_4plusIvEEiEEDaPvRmT3_T4_T5_mT6_P12ihipStream_tbENKUlT_T0_E_clISt17integral_constantIbLb0EESX_EEDaSS_ST_EUlSS_E0_NS1_11comp_targetILNS1_3genE8ELNS1_11target_archE1030ELNS1_3gpuE2ELNS1_3repE0EEENS1_30default_config_static_selectorELNS0_4arch9wavefront6targetE1EEEvT1_
	.globl	_ZN7rocprim17ROCPRIM_400000_NS6detail17trampoline_kernelINS0_14default_configENS1_20scan_config_selectorIiEEZZNS1_9scan_implILNS1_25lookback_scan_determinismE0ELb0ELb0ES3_N6thrust23THRUST_200600_302600_NS6detail15normal_iteratorINS9_10device_ptrIiEEEENS9_16discard_iteratorINS9_11use_defaultEEEiNS9_4plusIvEEiEEDaPvRmT3_T4_T5_mT6_P12ihipStream_tbENKUlT_T0_E_clISt17integral_constantIbLb0EESX_EEDaSS_ST_EUlSS_E0_NS1_11comp_targetILNS1_3genE8ELNS1_11target_archE1030ELNS1_3gpuE2ELNS1_3repE0EEENS1_30default_config_static_selectorELNS0_4arch9wavefront6targetE1EEEvT1_
	.p2align	8
	.type	_ZN7rocprim17ROCPRIM_400000_NS6detail17trampoline_kernelINS0_14default_configENS1_20scan_config_selectorIiEEZZNS1_9scan_implILNS1_25lookback_scan_determinismE0ELb0ELb0ES3_N6thrust23THRUST_200600_302600_NS6detail15normal_iteratorINS9_10device_ptrIiEEEENS9_16discard_iteratorINS9_11use_defaultEEEiNS9_4plusIvEEiEEDaPvRmT3_T4_T5_mT6_P12ihipStream_tbENKUlT_T0_E_clISt17integral_constantIbLb0EESX_EEDaSS_ST_EUlSS_E0_NS1_11comp_targetILNS1_3genE8ELNS1_11target_archE1030ELNS1_3gpuE2ELNS1_3repE0EEENS1_30default_config_static_selectorELNS0_4arch9wavefront6targetE1EEEvT1_,@function
_ZN7rocprim17ROCPRIM_400000_NS6detail17trampoline_kernelINS0_14default_configENS1_20scan_config_selectorIiEEZZNS1_9scan_implILNS1_25lookback_scan_determinismE0ELb0ELb0ES3_N6thrust23THRUST_200600_302600_NS6detail15normal_iteratorINS9_10device_ptrIiEEEENS9_16discard_iteratorINS9_11use_defaultEEEiNS9_4plusIvEEiEEDaPvRmT3_T4_T5_mT6_P12ihipStream_tbENKUlT_T0_E_clISt17integral_constantIbLb0EESX_EEDaSS_ST_EUlSS_E0_NS1_11comp_targetILNS1_3genE8ELNS1_11target_archE1030ELNS1_3gpuE2ELNS1_3repE0EEENS1_30default_config_static_selectorELNS0_4arch9wavefront6targetE1EEEvT1_: ; @_ZN7rocprim17ROCPRIM_400000_NS6detail17trampoline_kernelINS0_14default_configENS1_20scan_config_selectorIiEEZZNS1_9scan_implILNS1_25lookback_scan_determinismE0ELb0ELb0ES3_N6thrust23THRUST_200600_302600_NS6detail15normal_iteratorINS9_10device_ptrIiEEEENS9_16discard_iteratorINS9_11use_defaultEEEiNS9_4plusIvEEiEEDaPvRmT3_T4_T5_mT6_P12ihipStream_tbENKUlT_T0_E_clISt17integral_constantIbLb0EESX_EEDaSS_ST_EUlSS_E0_NS1_11comp_targetILNS1_3genE8ELNS1_11target_archE1030ELNS1_3gpuE2ELNS1_3repE0EEENS1_30default_config_static_selectorELNS0_4arch9wavefront6targetE1EEEvT1_
; %bb.0:
	.section	.rodata,"a",@progbits
	.p2align	6, 0x0
	.amdhsa_kernel _ZN7rocprim17ROCPRIM_400000_NS6detail17trampoline_kernelINS0_14default_configENS1_20scan_config_selectorIiEEZZNS1_9scan_implILNS1_25lookback_scan_determinismE0ELb0ELb0ES3_N6thrust23THRUST_200600_302600_NS6detail15normal_iteratorINS9_10device_ptrIiEEEENS9_16discard_iteratorINS9_11use_defaultEEEiNS9_4plusIvEEiEEDaPvRmT3_T4_T5_mT6_P12ihipStream_tbENKUlT_T0_E_clISt17integral_constantIbLb0EESX_EEDaSS_ST_EUlSS_E0_NS1_11comp_targetILNS1_3genE8ELNS1_11target_archE1030ELNS1_3gpuE2ELNS1_3repE0EEENS1_30default_config_static_selectorELNS0_4arch9wavefront6targetE1EEEvT1_
		.amdhsa_group_segment_fixed_size 0
		.amdhsa_private_segment_fixed_size 0
		.amdhsa_kernarg_size 40
		.amdhsa_user_sgpr_count 6
		.amdhsa_user_sgpr_private_segment_buffer 1
		.amdhsa_user_sgpr_dispatch_ptr 0
		.amdhsa_user_sgpr_queue_ptr 0
		.amdhsa_user_sgpr_kernarg_segment_ptr 1
		.amdhsa_user_sgpr_dispatch_id 0
		.amdhsa_user_sgpr_flat_scratch_init 0
		.amdhsa_user_sgpr_kernarg_preload_length 0
		.amdhsa_user_sgpr_kernarg_preload_offset 0
		.amdhsa_user_sgpr_private_segment_size 0
		.amdhsa_uses_dynamic_stack 0
		.amdhsa_system_sgpr_private_segment_wavefront_offset 0
		.amdhsa_system_sgpr_workgroup_id_x 1
		.amdhsa_system_sgpr_workgroup_id_y 0
		.amdhsa_system_sgpr_workgroup_id_z 0
		.amdhsa_system_sgpr_workgroup_info 0
		.amdhsa_system_vgpr_workitem_id 0
		.amdhsa_next_free_vgpr 1
		.amdhsa_next_free_sgpr 0
		.amdhsa_accum_offset 4
		.amdhsa_reserve_vcc 0
		.amdhsa_reserve_flat_scratch 0
		.amdhsa_float_round_mode_32 0
		.amdhsa_float_round_mode_16_64 0
		.amdhsa_float_denorm_mode_32 3
		.amdhsa_float_denorm_mode_16_64 3
		.amdhsa_dx10_clamp 1
		.amdhsa_ieee_mode 1
		.amdhsa_fp16_overflow 0
		.amdhsa_tg_split 0
		.amdhsa_exception_fp_ieee_invalid_op 0
		.amdhsa_exception_fp_denorm_src 0
		.amdhsa_exception_fp_ieee_div_zero 0
		.amdhsa_exception_fp_ieee_overflow 0
		.amdhsa_exception_fp_ieee_underflow 0
		.amdhsa_exception_fp_ieee_inexact 0
		.amdhsa_exception_int_div_zero 0
	.end_amdhsa_kernel
	.section	.text._ZN7rocprim17ROCPRIM_400000_NS6detail17trampoline_kernelINS0_14default_configENS1_20scan_config_selectorIiEEZZNS1_9scan_implILNS1_25lookback_scan_determinismE0ELb0ELb0ES3_N6thrust23THRUST_200600_302600_NS6detail15normal_iteratorINS9_10device_ptrIiEEEENS9_16discard_iteratorINS9_11use_defaultEEEiNS9_4plusIvEEiEEDaPvRmT3_T4_T5_mT6_P12ihipStream_tbENKUlT_T0_E_clISt17integral_constantIbLb0EESX_EEDaSS_ST_EUlSS_E0_NS1_11comp_targetILNS1_3genE8ELNS1_11target_archE1030ELNS1_3gpuE2ELNS1_3repE0EEENS1_30default_config_static_selectorELNS0_4arch9wavefront6targetE1EEEvT1_,"axG",@progbits,_ZN7rocprim17ROCPRIM_400000_NS6detail17trampoline_kernelINS0_14default_configENS1_20scan_config_selectorIiEEZZNS1_9scan_implILNS1_25lookback_scan_determinismE0ELb0ELb0ES3_N6thrust23THRUST_200600_302600_NS6detail15normal_iteratorINS9_10device_ptrIiEEEENS9_16discard_iteratorINS9_11use_defaultEEEiNS9_4plusIvEEiEEDaPvRmT3_T4_T5_mT6_P12ihipStream_tbENKUlT_T0_E_clISt17integral_constantIbLb0EESX_EEDaSS_ST_EUlSS_E0_NS1_11comp_targetILNS1_3genE8ELNS1_11target_archE1030ELNS1_3gpuE2ELNS1_3repE0EEENS1_30default_config_static_selectorELNS0_4arch9wavefront6targetE1EEEvT1_,comdat
.Lfunc_end5743:
	.size	_ZN7rocprim17ROCPRIM_400000_NS6detail17trampoline_kernelINS0_14default_configENS1_20scan_config_selectorIiEEZZNS1_9scan_implILNS1_25lookback_scan_determinismE0ELb0ELb0ES3_N6thrust23THRUST_200600_302600_NS6detail15normal_iteratorINS9_10device_ptrIiEEEENS9_16discard_iteratorINS9_11use_defaultEEEiNS9_4plusIvEEiEEDaPvRmT3_T4_T5_mT6_P12ihipStream_tbENKUlT_T0_E_clISt17integral_constantIbLb0EESX_EEDaSS_ST_EUlSS_E0_NS1_11comp_targetILNS1_3genE8ELNS1_11target_archE1030ELNS1_3gpuE2ELNS1_3repE0EEENS1_30default_config_static_selectorELNS0_4arch9wavefront6targetE1EEEvT1_, .Lfunc_end5743-_ZN7rocprim17ROCPRIM_400000_NS6detail17trampoline_kernelINS0_14default_configENS1_20scan_config_selectorIiEEZZNS1_9scan_implILNS1_25lookback_scan_determinismE0ELb0ELb0ES3_N6thrust23THRUST_200600_302600_NS6detail15normal_iteratorINS9_10device_ptrIiEEEENS9_16discard_iteratorINS9_11use_defaultEEEiNS9_4plusIvEEiEEDaPvRmT3_T4_T5_mT6_P12ihipStream_tbENKUlT_T0_E_clISt17integral_constantIbLb0EESX_EEDaSS_ST_EUlSS_E0_NS1_11comp_targetILNS1_3genE8ELNS1_11target_archE1030ELNS1_3gpuE2ELNS1_3repE0EEENS1_30default_config_static_selectorELNS0_4arch9wavefront6targetE1EEEvT1_
                                        ; -- End function
	.section	.AMDGPU.csdata,"",@progbits
; Kernel info:
; codeLenInByte = 0
; NumSgprs: 4
; NumVgprs: 0
; NumAgprs: 0
; TotalNumVgprs: 0
; ScratchSize: 0
; MemoryBound: 0
; FloatMode: 240
; IeeeMode: 1
; LDSByteSize: 0 bytes/workgroup (compile time only)
; SGPRBlocks: 0
; VGPRBlocks: 0
; NumSGPRsForWavesPerEU: 4
; NumVGPRsForWavesPerEU: 1
; AccumOffset: 4
; Occupancy: 8
; WaveLimiterHint : 0
; COMPUTE_PGM_RSRC2:SCRATCH_EN: 0
; COMPUTE_PGM_RSRC2:USER_SGPR: 6
; COMPUTE_PGM_RSRC2:TRAP_HANDLER: 0
; COMPUTE_PGM_RSRC2:TGID_X_EN: 1
; COMPUTE_PGM_RSRC2:TGID_Y_EN: 0
; COMPUTE_PGM_RSRC2:TGID_Z_EN: 0
; COMPUTE_PGM_RSRC2:TIDIG_COMP_CNT: 0
; COMPUTE_PGM_RSRC3_GFX90A:ACCUM_OFFSET: 0
; COMPUTE_PGM_RSRC3_GFX90A:TG_SPLIT: 0
	.section	.text._ZN7rocprim17ROCPRIM_400000_NS6detail17trampoline_kernelINS0_14default_configENS1_20scan_config_selectorIiEEZZNS1_9scan_implILNS1_25lookback_scan_determinismE0ELb0ELb0ES3_N6thrust23THRUST_200600_302600_NS6detail15normal_iteratorINS9_10device_ptrIiEEEENS9_16discard_iteratorINS9_11use_defaultEEEiNS9_4plusIvEEiEEDaPvRmT3_T4_T5_mT6_P12ihipStream_tbENKUlT_T0_E_clISt17integral_constantIbLb1EESX_EEDaSS_ST_EUlSS_E_NS1_11comp_targetILNS1_3genE0ELNS1_11target_archE4294967295ELNS1_3gpuE0ELNS1_3repE0EEENS1_30default_config_static_selectorELNS0_4arch9wavefront6targetE1EEEvT1_,"axG",@progbits,_ZN7rocprim17ROCPRIM_400000_NS6detail17trampoline_kernelINS0_14default_configENS1_20scan_config_selectorIiEEZZNS1_9scan_implILNS1_25lookback_scan_determinismE0ELb0ELb0ES3_N6thrust23THRUST_200600_302600_NS6detail15normal_iteratorINS9_10device_ptrIiEEEENS9_16discard_iteratorINS9_11use_defaultEEEiNS9_4plusIvEEiEEDaPvRmT3_T4_T5_mT6_P12ihipStream_tbENKUlT_T0_E_clISt17integral_constantIbLb1EESX_EEDaSS_ST_EUlSS_E_NS1_11comp_targetILNS1_3genE0ELNS1_11target_archE4294967295ELNS1_3gpuE0ELNS1_3repE0EEENS1_30default_config_static_selectorELNS0_4arch9wavefront6targetE1EEEvT1_,comdat
	.protected	_ZN7rocprim17ROCPRIM_400000_NS6detail17trampoline_kernelINS0_14default_configENS1_20scan_config_selectorIiEEZZNS1_9scan_implILNS1_25lookback_scan_determinismE0ELb0ELb0ES3_N6thrust23THRUST_200600_302600_NS6detail15normal_iteratorINS9_10device_ptrIiEEEENS9_16discard_iteratorINS9_11use_defaultEEEiNS9_4plusIvEEiEEDaPvRmT3_T4_T5_mT6_P12ihipStream_tbENKUlT_T0_E_clISt17integral_constantIbLb1EESX_EEDaSS_ST_EUlSS_E_NS1_11comp_targetILNS1_3genE0ELNS1_11target_archE4294967295ELNS1_3gpuE0ELNS1_3repE0EEENS1_30default_config_static_selectorELNS0_4arch9wavefront6targetE1EEEvT1_ ; -- Begin function _ZN7rocprim17ROCPRIM_400000_NS6detail17trampoline_kernelINS0_14default_configENS1_20scan_config_selectorIiEEZZNS1_9scan_implILNS1_25lookback_scan_determinismE0ELb0ELb0ES3_N6thrust23THRUST_200600_302600_NS6detail15normal_iteratorINS9_10device_ptrIiEEEENS9_16discard_iteratorINS9_11use_defaultEEEiNS9_4plusIvEEiEEDaPvRmT3_T4_T5_mT6_P12ihipStream_tbENKUlT_T0_E_clISt17integral_constantIbLb1EESX_EEDaSS_ST_EUlSS_E_NS1_11comp_targetILNS1_3genE0ELNS1_11target_archE4294967295ELNS1_3gpuE0ELNS1_3repE0EEENS1_30default_config_static_selectorELNS0_4arch9wavefront6targetE1EEEvT1_
	.globl	_ZN7rocprim17ROCPRIM_400000_NS6detail17trampoline_kernelINS0_14default_configENS1_20scan_config_selectorIiEEZZNS1_9scan_implILNS1_25lookback_scan_determinismE0ELb0ELb0ES3_N6thrust23THRUST_200600_302600_NS6detail15normal_iteratorINS9_10device_ptrIiEEEENS9_16discard_iteratorINS9_11use_defaultEEEiNS9_4plusIvEEiEEDaPvRmT3_T4_T5_mT6_P12ihipStream_tbENKUlT_T0_E_clISt17integral_constantIbLb1EESX_EEDaSS_ST_EUlSS_E_NS1_11comp_targetILNS1_3genE0ELNS1_11target_archE4294967295ELNS1_3gpuE0ELNS1_3repE0EEENS1_30default_config_static_selectorELNS0_4arch9wavefront6targetE1EEEvT1_
	.p2align	8
	.type	_ZN7rocprim17ROCPRIM_400000_NS6detail17trampoline_kernelINS0_14default_configENS1_20scan_config_selectorIiEEZZNS1_9scan_implILNS1_25lookback_scan_determinismE0ELb0ELb0ES3_N6thrust23THRUST_200600_302600_NS6detail15normal_iteratorINS9_10device_ptrIiEEEENS9_16discard_iteratorINS9_11use_defaultEEEiNS9_4plusIvEEiEEDaPvRmT3_T4_T5_mT6_P12ihipStream_tbENKUlT_T0_E_clISt17integral_constantIbLb1EESX_EEDaSS_ST_EUlSS_E_NS1_11comp_targetILNS1_3genE0ELNS1_11target_archE4294967295ELNS1_3gpuE0ELNS1_3repE0EEENS1_30default_config_static_selectorELNS0_4arch9wavefront6targetE1EEEvT1_,@function
_ZN7rocprim17ROCPRIM_400000_NS6detail17trampoline_kernelINS0_14default_configENS1_20scan_config_selectorIiEEZZNS1_9scan_implILNS1_25lookback_scan_determinismE0ELb0ELb0ES3_N6thrust23THRUST_200600_302600_NS6detail15normal_iteratorINS9_10device_ptrIiEEEENS9_16discard_iteratorINS9_11use_defaultEEEiNS9_4plusIvEEiEEDaPvRmT3_T4_T5_mT6_P12ihipStream_tbENKUlT_T0_E_clISt17integral_constantIbLb1EESX_EEDaSS_ST_EUlSS_E_NS1_11comp_targetILNS1_3genE0ELNS1_11target_archE4294967295ELNS1_3gpuE0ELNS1_3repE0EEENS1_30default_config_static_selectorELNS0_4arch9wavefront6targetE1EEEvT1_: ; @_ZN7rocprim17ROCPRIM_400000_NS6detail17trampoline_kernelINS0_14default_configENS1_20scan_config_selectorIiEEZZNS1_9scan_implILNS1_25lookback_scan_determinismE0ELb0ELb0ES3_N6thrust23THRUST_200600_302600_NS6detail15normal_iteratorINS9_10device_ptrIiEEEENS9_16discard_iteratorINS9_11use_defaultEEEiNS9_4plusIvEEiEEDaPvRmT3_T4_T5_mT6_P12ihipStream_tbENKUlT_T0_E_clISt17integral_constantIbLb1EESX_EEDaSS_ST_EUlSS_E_NS1_11comp_targetILNS1_3genE0ELNS1_11target_archE4294967295ELNS1_3gpuE0ELNS1_3repE0EEENS1_30default_config_static_selectorELNS0_4arch9wavefront6targetE1EEEvT1_
; %bb.0:
	.section	.rodata,"a",@progbits
	.p2align	6, 0x0
	.amdhsa_kernel _ZN7rocprim17ROCPRIM_400000_NS6detail17trampoline_kernelINS0_14default_configENS1_20scan_config_selectorIiEEZZNS1_9scan_implILNS1_25lookback_scan_determinismE0ELb0ELb0ES3_N6thrust23THRUST_200600_302600_NS6detail15normal_iteratorINS9_10device_ptrIiEEEENS9_16discard_iteratorINS9_11use_defaultEEEiNS9_4plusIvEEiEEDaPvRmT3_T4_T5_mT6_P12ihipStream_tbENKUlT_T0_E_clISt17integral_constantIbLb1EESX_EEDaSS_ST_EUlSS_E_NS1_11comp_targetILNS1_3genE0ELNS1_11target_archE4294967295ELNS1_3gpuE0ELNS1_3repE0EEENS1_30default_config_static_selectorELNS0_4arch9wavefront6targetE1EEEvT1_
		.amdhsa_group_segment_fixed_size 0
		.amdhsa_private_segment_fixed_size 0
		.amdhsa_kernarg_size 104
		.amdhsa_user_sgpr_count 6
		.amdhsa_user_sgpr_private_segment_buffer 1
		.amdhsa_user_sgpr_dispatch_ptr 0
		.amdhsa_user_sgpr_queue_ptr 0
		.amdhsa_user_sgpr_kernarg_segment_ptr 1
		.amdhsa_user_sgpr_dispatch_id 0
		.amdhsa_user_sgpr_flat_scratch_init 0
		.amdhsa_user_sgpr_kernarg_preload_length 0
		.amdhsa_user_sgpr_kernarg_preload_offset 0
		.amdhsa_user_sgpr_private_segment_size 0
		.amdhsa_uses_dynamic_stack 0
		.amdhsa_system_sgpr_private_segment_wavefront_offset 0
		.amdhsa_system_sgpr_workgroup_id_x 1
		.amdhsa_system_sgpr_workgroup_id_y 0
		.amdhsa_system_sgpr_workgroup_id_z 0
		.amdhsa_system_sgpr_workgroup_info 0
		.amdhsa_system_vgpr_workitem_id 0
		.amdhsa_next_free_vgpr 1
		.amdhsa_next_free_sgpr 0
		.amdhsa_accum_offset 4
		.amdhsa_reserve_vcc 0
		.amdhsa_reserve_flat_scratch 0
		.amdhsa_float_round_mode_32 0
		.amdhsa_float_round_mode_16_64 0
		.amdhsa_float_denorm_mode_32 3
		.amdhsa_float_denorm_mode_16_64 3
		.amdhsa_dx10_clamp 1
		.amdhsa_ieee_mode 1
		.amdhsa_fp16_overflow 0
		.amdhsa_tg_split 0
		.amdhsa_exception_fp_ieee_invalid_op 0
		.amdhsa_exception_fp_denorm_src 0
		.amdhsa_exception_fp_ieee_div_zero 0
		.amdhsa_exception_fp_ieee_overflow 0
		.amdhsa_exception_fp_ieee_underflow 0
		.amdhsa_exception_fp_ieee_inexact 0
		.amdhsa_exception_int_div_zero 0
	.end_amdhsa_kernel
	.section	.text._ZN7rocprim17ROCPRIM_400000_NS6detail17trampoline_kernelINS0_14default_configENS1_20scan_config_selectorIiEEZZNS1_9scan_implILNS1_25lookback_scan_determinismE0ELb0ELb0ES3_N6thrust23THRUST_200600_302600_NS6detail15normal_iteratorINS9_10device_ptrIiEEEENS9_16discard_iteratorINS9_11use_defaultEEEiNS9_4plusIvEEiEEDaPvRmT3_T4_T5_mT6_P12ihipStream_tbENKUlT_T0_E_clISt17integral_constantIbLb1EESX_EEDaSS_ST_EUlSS_E_NS1_11comp_targetILNS1_3genE0ELNS1_11target_archE4294967295ELNS1_3gpuE0ELNS1_3repE0EEENS1_30default_config_static_selectorELNS0_4arch9wavefront6targetE1EEEvT1_,"axG",@progbits,_ZN7rocprim17ROCPRIM_400000_NS6detail17trampoline_kernelINS0_14default_configENS1_20scan_config_selectorIiEEZZNS1_9scan_implILNS1_25lookback_scan_determinismE0ELb0ELb0ES3_N6thrust23THRUST_200600_302600_NS6detail15normal_iteratorINS9_10device_ptrIiEEEENS9_16discard_iteratorINS9_11use_defaultEEEiNS9_4plusIvEEiEEDaPvRmT3_T4_T5_mT6_P12ihipStream_tbENKUlT_T0_E_clISt17integral_constantIbLb1EESX_EEDaSS_ST_EUlSS_E_NS1_11comp_targetILNS1_3genE0ELNS1_11target_archE4294967295ELNS1_3gpuE0ELNS1_3repE0EEENS1_30default_config_static_selectorELNS0_4arch9wavefront6targetE1EEEvT1_,comdat
.Lfunc_end5744:
	.size	_ZN7rocprim17ROCPRIM_400000_NS6detail17trampoline_kernelINS0_14default_configENS1_20scan_config_selectorIiEEZZNS1_9scan_implILNS1_25lookback_scan_determinismE0ELb0ELb0ES3_N6thrust23THRUST_200600_302600_NS6detail15normal_iteratorINS9_10device_ptrIiEEEENS9_16discard_iteratorINS9_11use_defaultEEEiNS9_4plusIvEEiEEDaPvRmT3_T4_T5_mT6_P12ihipStream_tbENKUlT_T0_E_clISt17integral_constantIbLb1EESX_EEDaSS_ST_EUlSS_E_NS1_11comp_targetILNS1_3genE0ELNS1_11target_archE4294967295ELNS1_3gpuE0ELNS1_3repE0EEENS1_30default_config_static_selectorELNS0_4arch9wavefront6targetE1EEEvT1_, .Lfunc_end5744-_ZN7rocprim17ROCPRIM_400000_NS6detail17trampoline_kernelINS0_14default_configENS1_20scan_config_selectorIiEEZZNS1_9scan_implILNS1_25lookback_scan_determinismE0ELb0ELb0ES3_N6thrust23THRUST_200600_302600_NS6detail15normal_iteratorINS9_10device_ptrIiEEEENS9_16discard_iteratorINS9_11use_defaultEEEiNS9_4plusIvEEiEEDaPvRmT3_T4_T5_mT6_P12ihipStream_tbENKUlT_T0_E_clISt17integral_constantIbLb1EESX_EEDaSS_ST_EUlSS_E_NS1_11comp_targetILNS1_3genE0ELNS1_11target_archE4294967295ELNS1_3gpuE0ELNS1_3repE0EEENS1_30default_config_static_selectorELNS0_4arch9wavefront6targetE1EEEvT1_
                                        ; -- End function
	.section	.AMDGPU.csdata,"",@progbits
; Kernel info:
; codeLenInByte = 0
; NumSgprs: 4
; NumVgprs: 0
; NumAgprs: 0
; TotalNumVgprs: 0
; ScratchSize: 0
; MemoryBound: 0
; FloatMode: 240
; IeeeMode: 1
; LDSByteSize: 0 bytes/workgroup (compile time only)
; SGPRBlocks: 0
; VGPRBlocks: 0
; NumSGPRsForWavesPerEU: 4
; NumVGPRsForWavesPerEU: 1
; AccumOffset: 4
; Occupancy: 8
; WaveLimiterHint : 0
; COMPUTE_PGM_RSRC2:SCRATCH_EN: 0
; COMPUTE_PGM_RSRC2:USER_SGPR: 6
; COMPUTE_PGM_RSRC2:TRAP_HANDLER: 0
; COMPUTE_PGM_RSRC2:TGID_X_EN: 1
; COMPUTE_PGM_RSRC2:TGID_Y_EN: 0
; COMPUTE_PGM_RSRC2:TGID_Z_EN: 0
; COMPUTE_PGM_RSRC2:TIDIG_COMP_CNT: 0
; COMPUTE_PGM_RSRC3_GFX90A:ACCUM_OFFSET: 0
; COMPUTE_PGM_RSRC3_GFX90A:TG_SPLIT: 0
	.section	.text._ZN7rocprim17ROCPRIM_400000_NS6detail17trampoline_kernelINS0_14default_configENS1_20scan_config_selectorIiEEZZNS1_9scan_implILNS1_25lookback_scan_determinismE0ELb0ELb0ES3_N6thrust23THRUST_200600_302600_NS6detail15normal_iteratorINS9_10device_ptrIiEEEENS9_16discard_iteratorINS9_11use_defaultEEEiNS9_4plusIvEEiEEDaPvRmT3_T4_T5_mT6_P12ihipStream_tbENKUlT_T0_E_clISt17integral_constantIbLb1EESX_EEDaSS_ST_EUlSS_E_NS1_11comp_targetILNS1_3genE5ELNS1_11target_archE942ELNS1_3gpuE9ELNS1_3repE0EEENS1_30default_config_static_selectorELNS0_4arch9wavefront6targetE1EEEvT1_,"axG",@progbits,_ZN7rocprim17ROCPRIM_400000_NS6detail17trampoline_kernelINS0_14default_configENS1_20scan_config_selectorIiEEZZNS1_9scan_implILNS1_25lookback_scan_determinismE0ELb0ELb0ES3_N6thrust23THRUST_200600_302600_NS6detail15normal_iteratorINS9_10device_ptrIiEEEENS9_16discard_iteratorINS9_11use_defaultEEEiNS9_4plusIvEEiEEDaPvRmT3_T4_T5_mT6_P12ihipStream_tbENKUlT_T0_E_clISt17integral_constantIbLb1EESX_EEDaSS_ST_EUlSS_E_NS1_11comp_targetILNS1_3genE5ELNS1_11target_archE942ELNS1_3gpuE9ELNS1_3repE0EEENS1_30default_config_static_selectorELNS0_4arch9wavefront6targetE1EEEvT1_,comdat
	.protected	_ZN7rocprim17ROCPRIM_400000_NS6detail17trampoline_kernelINS0_14default_configENS1_20scan_config_selectorIiEEZZNS1_9scan_implILNS1_25lookback_scan_determinismE0ELb0ELb0ES3_N6thrust23THRUST_200600_302600_NS6detail15normal_iteratorINS9_10device_ptrIiEEEENS9_16discard_iteratorINS9_11use_defaultEEEiNS9_4plusIvEEiEEDaPvRmT3_T4_T5_mT6_P12ihipStream_tbENKUlT_T0_E_clISt17integral_constantIbLb1EESX_EEDaSS_ST_EUlSS_E_NS1_11comp_targetILNS1_3genE5ELNS1_11target_archE942ELNS1_3gpuE9ELNS1_3repE0EEENS1_30default_config_static_selectorELNS0_4arch9wavefront6targetE1EEEvT1_ ; -- Begin function _ZN7rocprim17ROCPRIM_400000_NS6detail17trampoline_kernelINS0_14default_configENS1_20scan_config_selectorIiEEZZNS1_9scan_implILNS1_25lookback_scan_determinismE0ELb0ELb0ES3_N6thrust23THRUST_200600_302600_NS6detail15normal_iteratorINS9_10device_ptrIiEEEENS9_16discard_iteratorINS9_11use_defaultEEEiNS9_4plusIvEEiEEDaPvRmT3_T4_T5_mT6_P12ihipStream_tbENKUlT_T0_E_clISt17integral_constantIbLb1EESX_EEDaSS_ST_EUlSS_E_NS1_11comp_targetILNS1_3genE5ELNS1_11target_archE942ELNS1_3gpuE9ELNS1_3repE0EEENS1_30default_config_static_selectorELNS0_4arch9wavefront6targetE1EEEvT1_
	.globl	_ZN7rocprim17ROCPRIM_400000_NS6detail17trampoline_kernelINS0_14default_configENS1_20scan_config_selectorIiEEZZNS1_9scan_implILNS1_25lookback_scan_determinismE0ELb0ELb0ES3_N6thrust23THRUST_200600_302600_NS6detail15normal_iteratorINS9_10device_ptrIiEEEENS9_16discard_iteratorINS9_11use_defaultEEEiNS9_4plusIvEEiEEDaPvRmT3_T4_T5_mT6_P12ihipStream_tbENKUlT_T0_E_clISt17integral_constantIbLb1EESX_EEDaSS_ST_EUlSS_E_NS1_11comp_targetILNS1_3genE5ELNS1_11target_archE942ELNS1_3gpuE9ELNS1_3repE0EEENS1_30default_config_static_selectorELNS0_4arch9wavefront6targetE1EEEvT1_
	.p2align	8
	.type	_ZN7rocprim17ROCPRIM_400000_NS6detail17trampoline_kernelINS0_14default_configENS1_20scan_config_selectorIiEEZZNS1_9scan_implILNS1_25lookback_scan_determinismE0ELb0ELb0ES3_N6thrust23THRUST_200600_302600_NS6detail15normal_iteratorINS9_10device_ptrIiEEEENS9_16discard_iteratorINS9_11use_defaultEEEiNS9_4plusIvEEiEEDaPvRmT3_T4_T5_mT6_P12ihipStream_tbENKUlT_T0_E_clISt17integral_constantIbLb1EESX_EEDaSS_ST_EUlSS_E_NS1_11comp_targetILNS1_3genE5ELNS1_11target_archE942ELNS1_3gpuE9ELNS1_3repE0EEENS1_30default_config_static_selectorELNS0_4arch9wavefront6targetE1EEEvT1_,@function
_ZN7rocprim17ROCPRIM_400000_NS6detail17trampoline_kernelINS0_14default_configENS1_20scan_config_selectorIiEEZZNS1_9scan_implILNS1_25lookback_scan_determinismE0ELb0ELb0ES3_N6thrust23THRUST_200600_302600_NS6detail15normal_iteratorINS9_10device_ptrIiEEEENS9_16discard_iteratorINS9_11use_defaultEEEiNS9_4plusIvEEiEEDaPvRmT3_T4_T5_mT6_P12ihipStream_tbENKUlT_T0_E_clISt17integral_constantIbLb1EESX_EEDaSS_ST_EUlSS_E_NS1_11comp_targetILNS1_3genE5ELNS1_11target_archE942ELNS1_3gpuE9ELNS1_3repE0EEENS1_30default_config_static_selectorELNS0_4arch9wavefront6targetE1EEEvT1_: ; @_ZN7rocprim17ROCPRIM_400000_NS6detail17trampoline_kernelINS0_14default_configENS1_20scan_config_selectorIiEEZZNS1_9scan_implILNS1_25lookback_scan_determinismE0ELb0ELb0ES3_N6thrust23THRUST_200600_302600_NS6detail15normal_iteratorINS9_10device_ptrIiEEEENS9_16discard_iteratorINS9_11use_defaultEEEiNS9_4plusIvEEiEEDaPvRmT3_T4_T5_mT6_P12ihipStream_tbENKUlT_T0_E_clISt17integral_constantIbLb1EESX_EEDaSS_ST_EUlSS_E_NS1_11comp_targetILNS1_3genE5ELNS1_11target_archE942ELNS1_3gpuE9ELNS1_3repE0EEENS1_30default_config_static_selectorELNS0_4arch9wavefront6targetE1EEEvT1_
; %bb.0:
	.section	.rodata,"a",@progbits
	.p2align	6, 0x0
	.amdhsa_kernel _ZN7rocprim17ROCPRIM_400000_NS6detail17trampoline_kernelINS0_14default_configENS1_20scan_config_selectorIiEEZZNS1_9scan_implILNS1_25lookback_scan_determinismE0ELb0ELb0ES3_N6thrust23THRUST_200600_302600_NS6detail15normal_iteratorINS9_10device_ptrIiEEEENS9_16discard_iteratorINS9_11use_defaultEEEiNS9_4plusIvEEiEEDaPvRmT3_T4_T5_mT6_P12ihipStream_tbENKUlT_T0_E_clISt17integral_constantIbLb1EESX_EEDaSS_ST_EUlSS_E_NS1_11comp_targetILNS1_3genE5ELNS1_11target_archE942ELNS1_3gpuE9ELNS1_3repE0EEENS1_30default_config_static_selectorELNS0_4arch9wavefront6targetE1EEEvT1_
		.amdhsa_group_segment_fixed_size 0
		.amdhsa_private_segment_fixed_size 0
		.amdhsa_kernarg_size 104
		.amdhsa_user_sgpr_count 6
		.amdhsa_user_sgpr_private_segment_buffer 1
		.amdhsa_user_sgpr_dispatch_ptr 0
		.amdhsa_user_sgpr_queue_ptr 0
		.amdhsa_user_sgpr_kernarg_segment_ptr 1
		.amdhsa_user_sgpr_dispatch_id 0
		.amdhsa_user_sgpr_flat_scratch_init 0
		.amdhsa_user_sgpr_kernarg_preload_length 0
		.amdhsa_user_sgpr_kernarg_preload_offset 0
		.amdhsa_user_sgpr_private_segment_size 0
		.amdhsa_uses_dynamic_stack 0
		.amdhsa_system_sgpr_private_segment_wavefront_offset 0
		.amdhsa_system_sgpr_workgroup_id_x 1
		.amdhsa_system_sgpr_workgroup_id_y 0
		.amdhsa_system_sgpr_workgroup_id_z 0
		.amdhsa_system_sgpr_workgroup_info 0
		.amdhsa_system_vgpr_workitem_id 0
		.amdhsa_next_free_vgpr 1
		.amdhsa_next_free_sgpr 0
		.amdhsa_accum_offset 4
		.amdhsa_reserve_vcc 0
		.amdhsa_reserve_flat_scratch 0
		.amdhsa_float_round_mode_32 0
		.amdhsa_float_round_mode_16_64 0
		.amdhsa_float_denorm_mode_32 3
		.amdhsa_float_denorm_mode_16_64 3
		.amdhsa_dx10_clamp 1
		.amdhsa_ieee_mode 1
		.amdhsa_fp16_overflow 0
		.amdhsa_tg_split 0
		.amdhsa_exception_fp_ieee_invalid_op 0
		.amdhsa_exception_fp_denorm_src 0
		.amdhsa_exception_fp_ieee_div_zero 0
		.amdhsa_exception_fp_ieee_overflow 0
		.amdhsa_exception_fp_ieee_underflow 0
		.amdhsa_exception_fp_ieee_inexact 0
		.amdhsa_exception_int_div_zero 0
	.end_amdhsa_kernel
	.section	.text._ZN7rocprim17ROCPRIM_400000_NS6detail17trampoline_kernelINS0_14default_configENS1_20scan_config_selectorIiEEZZNS1_9scan_implILNS1_25lookback_scan_determinismE0ELb0ELb0ES3_N6thrust23THRUST_200600_302600_NS6detail15normal_iteratorINS9_10device_ptrIiEEEENS9_16discard_iteratorINS9_11use_defaultEEEiNS9_4plusIvEEiEEDaPvRmT3_T4_T5_mT6_P12ihipStream_tbENKUlT_T0_E_clISt17integral_constantIbLb1EESX_EEDaSS_ST_EUlSS_E_NS1_11comp_targetILNS1_3genE5ELNS1_11target_archE942ELNS1_3gpuE9ELNS1_3repE0EEENS1_30default_config_static_selectorELNS0_4arch9wavefront6targetE1EEEvT1_,"axG",@progbits,_ZN7rocprim17ROCPRIM_400000_NS6detail17trampoline_kernelINS0_14default_configENS1_20scan_config_selectorIiEEZZNS1_9scan_implILNS1_25lookback_scan_determinismE0ELb0ELb0ES3_N6thrust23THRUST_200600_302600_NS6detail15normal_iteratorINS9_10device_ptrIiEEEENS9_16discard_iteratorINS9_11use_defaultEEEiNS9_4plusIvEEiEEDaPvRmT3_T4_T5_mT6_P12ihipStream_tbENKUlT_T0_E_clISt17integral_constantIbLb1EESX_EEDaSS_ST_EUlSS_E_NS1_11comp_targetILNS1_3genE5ELNS1_11target_archE942ELNS1_3gpuE9ELNS1_3repE0EEENS1_30default_config_static_selectorELNS0_4arch9wavefront6targetE1EEEvT1_,comdat
.Lfunc_end5745:
	.size	_ZN7rocprim17ROCPRIM_400000_NS6detail17trampoline_kernelINS0_14default_configENS1_20scan_config_selectorIiEEZZNS1_9scan_implILNS1_25lookback_scan_determinismE0ELb0ELb0ES3_N6thrust23THRUST_200600_302600_NS6detail15normal_iteratorINS9_10device_ptrIiEEEENS9_16discard_iteratorINS9_11use_defaultEEEiNS9_4plusIvEEiEEDaPvRmT3_T4_T5_mT6_P12ihipStream_tbENKUlT_T0_E_clISt17integral_constantIbLb1EESX_EEDaSS_ST_EUlSS_E_NS1_11comp_targetILNS1_3genE5ELNS1_11target_archE942ELNS1_3gpuE9ELNS1_3repE0EEENS1_30default_config_static_selectorELNS0_4arch9wavefront6targetE1EEEvT1_, .Lfunc_end5745-_ZN7rocprim17ROCPRIM_400000_NS6detail17trampoline_kernelINS0_14default_configENS1_20scan_config_selectorIiEEZZNS1_9scan_implILNS1_25lookback_scan_determinismE0ELb0ELb0ES3_N6thrust23THRUST_200600_302600_NS6detail15normal_iteratorINS9_10device_ptrIiEEEENS9_16discard_iteratorINS9_11use_defaultEEEiNS9_4plusIvEEiEEDaPvRmT3_T4_T5_mT6_P12ihipStream_tbENKUlT_T0_E_clISt17integral_constantIbLb1EESX_EEDaSS_ST_EUlSS_E_NS1_11comp_targetILNS1_3genE5ELNS1_11target_archE942ELNS1_3gpuE9ELNS1_3repE0EEENS1_30default_config_static_selectorELNS0_4arch9wavefront6targetE1EEEvT1_
                                        ; -- End function
	.section	.AMDGPU.csdata,"",@progbits
; Kernel info:
; codeLenInByte = 0
; NumSgprs: 4
; NumVgprs: 0
; NumAgprs: 0
; TotalNumVgprs: 0
; ScratchSize: 0
; MemoryBound: 0
; FloatMode: 240
; IeeeMode: 1
; LDSByteSize: 0 bytes/workgroup (compile time only)
; SGPRBlocks: 0
; VGPRBlocks: 0
; NumSGPRsForWavesPerEU: 4
; NumVGPRsForWavesPerEU: 1
; AccumOffset: 4
; Occupancy: 8
; WaveLimiterHint : 0
; COMPUTE_PGM_RSRC2:SCRATCH_EN: 0
; COMPUTE_PGM_RSRC2:USER_SGPR: 6
; COMPUTE_PGM_RSRC2:TRAP_HANDLER: 0
; COMPUTE_PGM_RSRC2:TGID_X_EN: 1
; COMPUTE_PGM_RSRC2:TGID_Y_EN: 0
; COMPUTE_PGM_RSRC2:TGID_Z_EN: 0
; COMPUTE_PGM_RSRC2:TIDIG_COMP_CNT: 0
; COMPUTE_PGM_RSRC3_GFX90A:ACCUM_OFFSET: 0
; COMPUTE_PGM_RSRC3_GFX90A:TG_SPLIT: 0
	.section	.text._ZN7rocprim17ROCPRIM_400000_NS6detail17trampoline_kernelINS0_14default_configENS1_20scan_config_selectorIiEEZZNS1_9scan_implILNS1_25lookback_scan_determinismE0ELb0ELb0ES3_N6thrust23THRUST_200600_302600_NS6detail15normal_iteratorINS9_10device_ptrIiEEEENS9_16discard_iteratorINS9_11use_defaultEEEiNS9_4plusIvEEiEEDaPvRmT3_T4_T5_mT6_P12ihipStream_tbENKUlT_T0_E_clISt17integral_constantIbLb1EESX_EEDaSS_ST_EUlSS_E_NS1_11comp_targetILNS1_3genE4ELNS1_11target_archE910ELNS1_3gpuE8ELNS1_3repE0EEENS1_30default_config_static_selectorELNS0_4arch9wavefront6targetE1EEEvT1_,"axG",@progbits,_ZN7rocprim17ROCPRIM_400000_NS6detail17trampoline_kernelINS0_14default_configENS1_20scan_config_selectorIiEEZZNS1_9scan_implILNS1_25lookback_scan_determinismE0ELb0ELb0ES3_N6thrust23THRUST_200600_302600_NS6detail15normal_iteratorINS9_10device_ptrIiEEEENS9_16discard_iteratorINS9_11use_defaultEEEiNS9_4plusIvEEiEEDaPvRmT3_T4_T5_mT6_P12ihipStream_tbENKUlT_T0_E_clISt17integral_constantIbLb1EESX_EEDaSS_ST_EUlSS_E_NS1_11comp_targetILNS1_3genE4ELNS1_11target_archE910ELNS1_3gpuE8ELNS1_3repE0EEENS1_30default_config_static_selectorELNS0_4arch9wavefront6targetE1EEEvT1_,comdat
	.protected	_ZN7rocprim17ROCPRIM_400000_NS6detail17trampoline_kernelINS0_14default_configENS1_20scan_config_selectorIiEEZZNS1_9scan_implILNS1_25lookback_scan_determinismE0ELb0ELb0ES3_N6thrust23THRUST_200600_302600_NS6detail15normal_iteratorINS9_10device_ptrIiEEEENS9_16discard_iteratorINS9_11use_defaultEEEiNS9_4plusIvEEiEEDaPvRmT3_T4_T5_mT6_P12ihipStream_tbENKUlT_T0_E_clISt17integral_constantIbLb1EESX_EEDaSS_ST_EUlSS_E_NS1_11comp_targetILNS1_3genE4ELNS1_11target_archE910ELNS1_3gpuE8ELNS1_3repE0EEENS1_30default_config_static_selectorELNS0_4arch9wavefront6targetE1EEEvT1_ ; -- Begin function _ZN7rocprim17ROCPRIM_400000_NS6detail17trampoline_kernelINS0_14default_configENS1_20scan_config_selectorIiEEZZNS1_9scan_implILNS1_25lookback_scan_determinismE0ELb0ELb0ES3_N6thrust23THRUST_200600_302600_NS6detail15normal_iteratorINS9_10device_ptrIiEEEENS9_16discard_iteratorINS9_11use_defaultEEEiNS9_4plusIvEEiEEDaPvRmT3_T4_T5_mT6_P12ihipStream_tbENKUlT_T0_E_clISt17integral_constantIbLb1EESX_EEDaSS_ST_EUlSS_E_NS1_11comp_targetILNS1_3genE4ELNS1_11target_archE910ELNS1_3gpuE8ELNS1_3repE0EEENS1_30default_config_static_selectorELNS0_4arch9wavefront6targetE1EEEvT1_
	.globl	_ZN7rocprim17ROCPRIM_400000_NS6detail17trampoline_kernelINS0_14default_configENS1_20scan_config_selectorIiEEZZNS1_9scan_implILNS1_25lookback_scan_determinismE0ELb0ELb0ES3_N6thrust23THRUST_200600_302600_NS6detail15normal_iteratorINS9_10device_ptrIiEEEENS9_16discard_iteratorINS9_11use_defaultEEEiNS9_4plusIvEEiEEDaPvRmT3_T4_T5_mT6_P12ihipStream_tbENKUlT_T0_E_clISt17integral_constantIbLb1EESX_EEDaSS_ST_EUlSS_E_NS1_11comp_targetILNS1_3genE4ELNS1_11target_archE910ELNS1_3gpuE8ELNS1_3repE0EEENS1_30default_config_static_selectorELNS0_4arch9wavefront6targetE1EEEvT1_
	.p2align	8
	.type	_ZN7rocprim17ROCPRIM_400000_NS6detail17trampoline_kernelINS0_14default_configENS1_20scan_config_selectorIiEEZZNS1_9scan_implILNS1_25lookback_scan_determinismE0ELb0ELb0ES3_N6thrust23THRUST_200600_302600_NS6detail15normal_iteratorINS9_10device_ptrIiEEEENS9_16discard_iteratorINS9_11use_defaultEEEiNS9_4plusIvEEiEEDaPvRmT3_T4_T5_mT6_P12ihipStream_tbENKUlT_T0_E_clISt17integral_constantIbLb1EESX_EEDaSS_ST_EUlSS_E_NS1_11comp_targetILNS1_3genE4ELNS1_11target_archE910ELNS1_3gpuE8ELNS1_3repE0EEENS1_30default_config_static_selectorELNS0_4arch9wavefront6targetE1EEEvT1_,@function
_ZN7rocprim17ROCPRIM_400000_NS6detail17trampoline_kernelINS0_14default_configENS1_20scan_config_selectorIiEEZZNS1_9scan_implILNS1_25lookback_scan_determinismE0ELb0ELb0ES3_N6thrust23THRUST_200600_302600_NS6detail15normal_iteratorINS9_10device_ptrIiEEEENS9_16discard_iteratorINS9_11use_defaultEEEiNS9_4plusIvEEiEEDaPvRmT3_T4_T5_mT6_P12ihipStream_tbENKUlT_T0_E_clISt17integral_constantIbLb1EESX_EEDaSS_ST_EUlSS_E_NS1_11comp_targetILNS1_3genE4ELNS1_11target_archE910ELNS1_3gpuE8ELNS1_3repE0EEENS1_30default_config_static_selectorELNS0_4arch9wavefront6targetE1EEEvT1_: ; @_ZN7rocprim17ROCPRIM_400000_NS6detail17trampoline_kernelINS0_14default_configENS1_20scan_config_selectorIiEEZZNS1_9scan_implILNS1_25lookback_scan_determinismE0ELb0ELb0ES3_N6thrust23THRUST_200600_302600_NS6detail15normal_iteratorINS9_10device_ptrIiEEEENS9_16discard_iteratorINS9_11use_defaultEEEiNS9_4plusIvEEiEEDaPvRmT3_T4_T5_mT6_P12ihipStream_tbENKUlT_T0_E_clISt17integral_constantIbLb1EESX_EEDaSS_ST_EUlSS_E_NS1_11comp_targetILNS1_3genE4ELNS1_11target_archE910ELNS1_3gpuE8ELNS1_3repE0EEENS1_30default_config_static_selectorELNS0_4arch9wavefront6targetE1EEEvT1_
; %bb.0:
	s_load_dwordx2 s[20:21], s[4:5], 0x20
	s_load_dwordx2 s[6:7], s[4:5], 0x30
	v_cmp_ne_u32_e64 s[0:1], 0, v0
	v_cmp_eq_u32_e64 s[2:3], 0, v0
	s_and_saveexec_b64 s[8:9], s[2:3]
	s_cbranch_execz .LBB5746_4
; %bb.1:
	s_mov_b64 s[12:13], exec
	v_mbcnt_lo_u32_b32 v1, s12, 0
	v_mbcnt_hi_u32_b32 v1, s13, v1
	v_cmp_eq_u32_e32 vcc, 0, v1
                                        ; implicit-def: $vgpr2
	s_and_saveexec_b64 s[10:11], vcc
	s_cbranch_execz .LBB5746_3
; %bb.2:
	s_load_dwordx2 s[14:15], s[4:5], 0x60
	s_bcnt1_i32_b64 s12, s[12:13]
	v_mov_b32_e32 v2, 0
	v_mov_b32_e32 v3, s12
	s_waitcnt lgkmcnt(0)
	global_atomic_add v2, v2, v3, s[14:15] glc
.LBB5746_3:
	s_or_b64 exec, exec, s[10:11]
	s_waitcnt vmcnt(0)
	v_readfirstlane_b32 s10, v2
	v_add_u32_e32 v1, s10, v1
	v_mov_b32_e32 v2, 0
	ds_write_b32 v2, v1
.LBB5746_4:
	s_or_b64 exec, exec, s[8:9]
	v_mov_b32_e32 v3, 0
	s_load_dwordx4 s[16:19], s[4:5], 0x0
	s_load_dword s22, s[4:5], 0x38
	s_load_dwordx8 s[8:15], s[4:5], 0x40
	s_waitcnt lgkmcnt(0)
	s_barrier
	ds_read_b32 v1, v3
	s_lshl_b64 s[4:5], s[18:19], 2
	s_add_u32 s4, s16, s4
	s_movk_i32 s16, 0x500
	s_addc_u32 s5, s17, s5
	s_waitcnt lgkmcnt(0)
	v_mul_lo_u32 v2, v1, s16
	s_add_i32 s16, s22, -1
	s_mul_i32 s17, s16, 0x500
	s_sub_u32 s24, s20, s17
	v_readfirstlane_b32 s26, v1
	s_subb_u32 s25, s21, 0
	v_lshlrev_b64 v[2:3], 2, v[2:3]
	s_cmp_lg_u32 s26, s16
	v_mov_b32_e32 v1, s5
	v_add_co_u32_e32 v12, vcc, s4, v2
	s_cselect_b64 s[16:17], -1, 0
	v_addc_co_u32_e32 v13, vcc, v1, v3, vcc
	s_mov_b64 s[4:5], -1
	s_and_b64 vcc, exec, s[16:17]
	s_barrier
	s_cbranch_vccz .LBB5746_6
; %bb.5:
	v_lshlrev_b32_e32 v1, 2, v0
	v_add_co_u32_e32 v2, vcc, v12, v1
	v_addc_co_u32_e32 v3, vcc, 0, v13, vcc
	flat_load_dword v4, v[2:3]
	flat_load_dword v5, v[2:3] offset:512
	flat_load_dword v6, v[2:3] offset:1024
	flat_load_dword v7, v[2:3] offset:1536
	flat_load_dword v8, v[2:3] offset:2048
	flat_load_dword v9, v[2:3] offset:2560
	flat_load_dword v10, v[2:3] offset:3072
	flat_load_dword v11, v[2:3] offset:3584
	v_add_co_u32_e32 v2, vcc, 0x1000, v2
	v_addc_co_u32_e32 v3, vcc, 0, v3, vcc
	flat_load_dword v14, v[2:3]
	flat_load_dword v15, v[2:3] offset:512
	s_mov_b64 s[4:5], 0
	s_waitcnt vmcnt(0) lgkmcnt(0)
	ds_write2st64_b32 v1, v4, v5 offset1:2
	ds_write2st64_b32 v1, v6, v7 offset0:4 offset1:6
	ds_write2st64_b32 v1, v8, v9 offset0:8 offset1:10
	ds_write2st64_b32 v1, v10, v11 offset0:12 offset1:14
	ds_write2st64_b32 v1, v14, v15 offset0:16 offset1:18
	s_waitcnt lgkmcnt(0)
	s_barrier
.LBB5746_6:
	s_andn2_b64 vcc, exec, s[4:5]
	s_cbranch_vccnz .LBB5746_28
; %bb.7:
	flat_load_dword v1, v[12:13]
	v_cmp_gt_u32_e32 vcc, s24, v0
	s_waitcnt vmcnt(0) lgkmcnt(0)
	v_mov_b32_e32 v2, v1
	v_mov_b32_e32 v3, v1
	;; [unrolled: 1-line block ×9, first 2 shown]
	s_and_saveexec_b64 s[4:5], vcc
	s_cbranch_execz .LBB5746_9
; %bb.8:
	v_lshlrev_b32_e32 v10, 2, v0
	v_add_co_u32_e32 v10, vcc, v12, v10
	v_addc_co_u32_e32 v11, vcc, 0, v13, vcc
	flat_load_dword v10, v[10:11]
.LBB5746_9:
	s_or_b64 exec, exec, s[4:5]
	v_or_b32_e32 v11, 0x80, v0
	v_cmp_gt_u32_e32 vcc, s24, v11
	s_and_saveexec_b64 s[4:5], vcc
	s_cbranch_execz .LBB5746_11
; %bb.10:
	v_lshlrev_b32_e32 v1, 2, v0
	v_add_co_u32_e32 v14, vcc, v12, v1
	v_addc_co_u32_e32 v15, vcc, 0, v13, vcc
	flat_load_dword v1, v[14:15] offset:512
.LBB5746_11:
	s_or_b64 exec, exec, s[4:5]
	v_or_b32_e32 v11, 0x100, v0
	v_cmp_gt_u32_e32 vcc, s24, v11
	s_and_saveexec_b64 s[4:5], vcc
	s_cbranch_execz .LBB5746_13
; %bb.12:
	v_lshlrev_b32_e32 v2, 2, v0
	v_add_co_u32_e32 v14, vcc, v12, v2
	v_addc_co_u32_e32 v15, vcc, 0, v13, vcc
	flat_load_dword v2, v[14:15] offset:1024
.LBB5746_13:
	;; [unrolled: 11-line block ×7, first 2 shown]
	s_or_b64 exec, exec, s[4:5]
	v_or_b32_e32 v11, 0x400, v0
	v_cmp_gt_u32_e32 vcc, s24, v11
	s_and_saveexec_b64 s[4:5], vcc
	s_cbranch_execz .LBB5746_25
; %bb.24:
	v_lshlrev_b32_e32 v8, 2, v11
	v_add_co_u32_e32 v14, vcc, v12, v8
	v_addc_co_u32_e32 v15, vcc, 0, v13, vcc
	flat_load_dword v8, v[14:15]
.LBB5746_25:
	s_or_b64 exec, exec, s[4:5]
	v_or_b32_e32 v11, 0x480, v0
	v_cmp_gt_u32_e32 vcc, s24, v11
	s_and_saveexec_b64 s[4:5], vcc
	s_cbranch_execz .LBB5746_27
; %bb.26:
	v_lshlrev_b32_e32 v9, 2, v11
	v_add_co_u32_e32 v12, vcc, v12, v9
	v_addc_co_u32_e32 v13, vcc, 0, v13, vcc
	flat_load_dword v9, v[12:13]
.LBB5746_27:
	s_or_b64 exec, exec, s[4:5]
	v_lshlrev_b32_e32 v11, 2, v0
	s_waitcnt vmcnt(0) lgkmcnt(0)
	ds_write2st64_b32 v11, v10, v1 offset1:2
	ds_write2st64_b32 v11, v2, v3 offset0:4 offset1:6
	ds_write2st64_b32 v11, v4, v5 offset0:8 offset1:10
	;; [unrolled: 1-line block ×4, first 2 shown]
	s_waitcnt lgkmcnt(0)
	s_barrier
.LBB5746_28:
	v_mul_u32_u24_e32 v22, 10, v0
	v_lshlrev_b32_e32 v1, 2, v22
	ds_read2_b64 v[2:5], v1 offset1:1
	ds_read2_b64 v[16:19], v1 offset0:2 offset1:3
	ds_read_b64 v[20:21], v1 offset:32
	s_cmp_lg_u32 s26, 0
	v_lshrrev_b32_e32 v23, 5, v0
	v_cmp_gt_u32_e32 vcc, 64, v0
	s_waitcnt lgkmcnt(0)
	s_barrier
	s_cbranch_scc0 .LBB5746_57
; %bb.29:
	v_add_u32_e32 v6, v3, v2
	v_add3_u32 v6, v6, v4, v5
	v_add3_u32 v6, v6, v16, v17
	;; [unrolled: 1-line block ×4, first 2 shown]
	v_add_lshl_u32 v7, v23, v0, 2
	ds_write_b32 v7, v6
	s_waitcnt lgkmcnt(0)
	s_barrier
	s_and_saveexec_b64 s[18:19], vcc
	s_cbranch_execz .LBB5746_31
; %bb.30:
	v_lshlrev_b32_e32 v7, 1, v0
	v_lshrrev_b32_e32 v8, 4, v0
	v_add_lshl_u32 v7, v8, v7, 2
	ds_read2_b32 v[8:9], v7 offset1:1
	v_mbcnt_lo_u32_b32 v10, -1, 0
	v_mbcnt_hi_u32_b32 v10, -1, v10
	v_and_b32_e32 v11, 15, v10
	v_cmp_ne_u32_e64 s[4:5], 0, v11
	s_waitcnt lgkmcnt(0)
	v_add_u32_e32 v9, v9, v8
	; wave barrier
	s_nop 1
	v_mov_b32_dpp v12, v9 row_shr:1 row_mask:0xf bank_mask:0xf
	v_cndmask_b32_e64 v12, 0, v12, s[4:5]
	v_add_u32_e32 v9, v12, v9
	v_cmp_lt_u32_e64 s[4:5], 1, v11
	s_nop 0
	v_mov_b32_dpp v12, v9 row_shr:2 row_mask:0xf bank_mask:0xf
	v_cndmask_b32_e64 v12, 0, v12, s[4:5]
	v_add_u32_e32 v9, v9, v12
	v_cmp_lt_u32_e64 s[4:5], 3, v11
	;; [unrolled: 5-line block ×3, first 2 shown]
	s_nop 0
	v_mov_b32_dpp v12, v9 row_shr:8 row_mask:0xf bank_mask:0xf
	v_cndmask_b32_e64 v11, 0, v12, s[4:5]
	v_add_u32_e32 v9, v9, v11
	v_bfe_i32 v12, v10, 4, 1
	v_cmp_lt_u32_e64 s[4:5], 31, v10
	v_mov_b32_dpp v11, v9 row_bcast:15 row_mask:0xf bank_mask:0xf
	v_and_b32_e32 v11, v12, v11
	v_add_u32_e32 v9, v9, v11
	v_and_b32_e32 v12, 64, v10
	s_nop 0
	v_mov_b32_dpp v11, v9 row_bcast:31 row_mask:0xf bank_mask:0xf
	v_cndmask_b32_e64 v11, 0, v11, s[4:5]
	v_add_u32_e32 v9, v9, v11
	v_add_u32_e32 v11, -1, v10
	v_cmp_lt_i32_e64 s[4:5], v11, v12
	v_cndmask_b32_e64 v10, v11, v10, s[4:5]
	v_lshlrev_b32_e32 v10, 2, v10
	ds_bpermute_b32 v9, v10, v9
	s_waitcnt lgkmcnt(0)
	v_add_u32_e32 v8, v9, v8
	v_cndmask_b32_e64 v6, v8, v6, s[2:3]
	ds_write_b32 v7, v6
	; wave barrier
	ds_read_b32 v8, v7 offset:4
	s_waitcnt lgkmcnt(0)
	v_add_u32_e32 v6, v8, v6
	ds_write_b32 v7, v6 offset:4
.LBB5746_31:
	s_or_b64 exec, exec, s[18:19]
	v_mov_b32_e32 v24, 0
	s_waitcnt lgkmcnt(0)
	s_barrier
	s_and_saveexec_b64 s[4:5], s[0:1]
	s_cbranch_execz .LBB5746_33
; %bb.32:
	v_add_u32_e32 v6, -1, v0
	v_lshrrev_b32_e32 v7, 5, v6
	v_add_lshl_u32 v6, v7, v6, 2
	ds_read_b32 v24, v6
.LBB5746_33:
	s_or_b64 exec, exec, s[4:5]
	s_and_saveexec_b64 s[18:19], vcc
	s_cbranch_execz .LBB5746_56
; %bb.34:
	v_mov_b32_e32 v15, 0
	ds_read_b32 v6, v15 offset:520
	v_mbcnt_lo_u32_b32 v7, -1, 0
	v_mbcnt_hi_u32_b32 v9, -1, v7
	s_mov_b32 s23, 0
	v_cmp_eq_u32_e64 s[4:5], 0, v9
	s_and_saveexec_b64 s[20:21], s[4:5]
	s_cbranch_execz .LBB5746_36
; %bb.35:
	s_add_i32 s22, s26, 64
	s_lshl_b64 s[22:23], s[22:23], 3
	s_add_u32 s22, s6, s22
	v_mov_b32_e32 v7, 1
	s_addc_u32 s23, s7, s23
	s_waitcnt lgkmcnt(0)
	global_store_dwordx2 v15, v[6:7], s[22:23]
.LBB5746_36:
	s_or_b64 exec, exec, s[20:21]
	v_xad_u32 v8, v9, -1, s26
	v_add_u32_e32 v14, 64, v8
	v_lshlrev_b64 v[10:11], 3, v[14:15]
	v_mov_b32_e32 v7, s7
	v_add_co_u32_e32 v10, vcc, s6, v10
	v_addc_co_u32_e32 v11, vcc, v7, v11, vcc
	global_load_dwordx2 v[12:13], v[10:11], off glc
	s_waitcnt vmcnt(0)
	v_cmp_eq_u16_sdwa s[22:23], v13, v15 src0_sel:BYTE_0 src1_sel:DWORD
	s_and_saveexec_b64 s[20:21], s[22:23]
	s_cbranch_execz .LBB5746_42
; %bb.37:
	s_mov_b32 s27, 1
	s_mov_b64 s[22:23], 0
	v_mov_b32_e32 v7, 0
.LBB5746_38:                            ; =>This Loop Header: Depth=1
                                        ;     Child Loop BB5746_39 Depth 2
	s_max_u32 s28, s27, 1
.LBB5746_39:                            ;   Parent Loop BB5746_38 Depth=1
                                        ; =>  This Inner Loop Header: Depth=2
	s_add_i32 s28, s28, -1
	s_cmp_eq_u32 s28, 0
	s_sleep 1
	s_cbranch_scc0 .LBB5746_39
; %bb.40:                               ;   in Loop: Header=BB5746_38 Depth=1
	global_load_dwordx2 v[12:13], v[10:11], off glc
	s_cmp_lt_u32 s27, 32
	s_cselect_b64 s[28:29], -1, 0
	s_cmp_lg_u64 s[28:29], 0
	s_addc_u32 s27, s27, 0
	s_waitcnt vmcnt(0)
	v_cmp_ne_u16_sdwa s[28:29], v13, v7 src0_sel:BYTE_0 src1_sel:DWORD
	s_or_b64 s[22:23], s[28:29], s[22:23]
	s_andn2_b64 exec, exec, s[22:23]
	s_cbranch_execnz .LBB5746_38
; %bb.41:
	s_or_b64 exec, exec, s[22:23]
.LBB5746_42:
	s_or_b64 exec, exec, s[20:21]
	v_and_b32_e32 v25, 63, v9
	v_mov_b32_e32 v7, 2
	v_cmp_ne_u32_e32 vcc, 63, v25
	v_cmp_eq_u16_sdwa s[20:21], v13, v7 src0_sel:BYTE_0 src1_sel:DWORD
	v_lshlrev_b64 v[10:11], v9, -1
	v_addc_co_u32_e32 v26, vcc, 0, v9, vcc
	v_and_b32_e32 v14, s21, v11
	v_lshlrev_b32_e32 v26, 2, v26
	v_or_b32_e32 v14, 0x80000000, v14
	ds_bpermute_b32 v27, v26, v12
	v_and_b32_e32 v15, s20, v10
	v_ffbl_b32_e32 v14, v14
	v_add_u32_e32 v14, 32, v14
	v_ffbl_b32_e32 v15, v15
	v_min_u32_e32 v14, v15, v14
	v_cmp_lt_u32_e32 vcc, v25, v14
	s_waitcnt lgkmcnt(0)
	v_cndmask_b32_e32 v15, 0, v27, vcc
	v_cmp_gt_u32_e32 vcc, 62, v25
	v_add_u32_e32 v12, v15, v12
	v_cndmask_b32_e64 v15, 0, 1, vcc
	v_lshlrev_b32_e32 v15, 1, v15
	v_add_lshl_u32 v27, v15, v9, 2
	ds_bpermute_b32 v15, v27, v12
	v_add_u32_e32 v28, 2, v25
	v_cmp_le_u32_e32 vcc, v28, v14
	v_add_u32_e32 v30, 4, v25
	v_add_u32_e32 v32, 8, v25
	s_waitcnt lgkmcnt(0)
	v_cndmask_b32_e32 v15, 0, v15, vcc
	v_cmp_gt_u32_e32 vcc, 60, v25
	v_add_u32_e32 v12, v12, v15
	v_cndmask_b32_e64 v15, 0, 1, vcc
	v_lshlrev_b32_e32 v15, 2, v15
	v_add_lshl_u32 v29, v15, v9, 2
	ds_bpermute_b32 v15, v29, v12
	v_cmp_le_u32_e32 vcc, v30, v14
	v_add_u32_e32 v35, 16, v25
	v_add_u32_e32 v37, 32, v25
	s_waitcnt lgkmcnt(0)
	v_cndmask_b32_e32 v15, 0, v15, vcc
	v_cmp_gt_u32_e32 vcc, 56, v25
	v_add_u32_e32 v12, v12, v15
	v_cndmask_b32_e64 v15, 0, 1, vcc
	v_lshlrev_b32_e32 v15, 3, v15
	v_add_lshl_u32 v31, v15, v9, 2
	ds_bpermute_b32 v15, v31, v12
	v_cmp_le_u32_e32 vcc, v32, v14
	s_waitcnt lgkmcnt(0)
	v_cndmask_b32_e32 v15, 0, v15, vcc
	v_cmp_gt_u32_e32 vcc, 48, v25
	v_add_u32_e32 v12, v12, v15
	v_cndmask_b32_e64 v15, 0, 1, vcc
	v_lshlrev_b32_e32 v15, 4, v15
	v_add_lshl_u32 v34, v15, v9, 2
	ds_bpermute_b32 v15, v34, v12
	v_cmp_le_u32_e32 vcc, v35, v14
	;; [unrolled: 9-line block ×3, first 2 shown]
	s_waitcnt lgkmcnt(0)
	v_cndmask_b32_e32 v9, 0, v9, vcc
	v_add_u32_e32 v12, v12, v9
	v_mov_b32_e32 v9, 0
	s_branch .LBB5746_44
.LBB5746_43:                            ;   in Loop: Header=BB5746_44 Depth=1
	s_or_b64 exec, exec, s[20:21]
	v_cmp_eq_u16_sdwa s[20:21], v13, v7 src0_sel:BYTE_0 src1_sel:DWORD
	v_and_b32_e32 v14, s21, v11
	v_or_b32_e32 v14, 0x80000000, v14
	ds_bpermute_b32 v38, v26, v12
	v_and_b32_e32 v15, s20, v10
	v_ffbl_b32_e32 v14, v14
	v_add_u32_e32 v14, 32, v14
	v_ffbl_b32_e32 v15, v15
	v_min_u32_e32 v14, v15, v14
	v_cmp_lt_u32_e32 vcc, v25, v14
	s_waitcnt lgkmcnt(0)
	v_cndmask_b32_e32 v15, 0, v38, vcc
	v_add_u32_e32 v12, v15, v12
	ds_bpermute_b32 v15, v27, v12
	v_cmp_le_u32_e32 vcc, v28, v14
	v_subrev_u32_e32 v8, 64, v8
	s_waitcnt lgkmcnt(0)
	v_cndmask_b32_e32 v15, 0, v15, vcc
	v_add_u32_e32 v12, v12, v15
	ds_bpermute_b32 v15, v29, v12
	v_cmp_le_u32_e32 vcc, v30, v14
	s_waitcnt lgkmcnt(0)
	v_cndmask_b32_e32 v15, 0, v15, vcc
	v_add_u32_e32 v12, v12, v15
	ds_bpermute_b32 v15, v31, v12
	v_cmp_le_u32_e32 vcc, v32, v14
	;; [unrolled: 5-line block ×4, first 2 shown]
	s_waitcnt lgkmcnt(0)
	v_cndmask_b32_e32 v14, 0, v15, vcc
	v_add3_u32 v12, v14, v33, v12
.LBB5746_44:                            ; =>This Loop Header: Depth=1
                                        ;     Child Loop BB5746_47 Depth 2
                                        ;       Child Loop BB5746_48 Depth 3
	v_cmp_ne_u16_sdwa s[20:21], v13, v7 src0_sel:BYTE_0 src1_sel:DWORD
	v_cndmask_b32_e64 v13, 0, 1, s[20:21]
	;;#ASMSTART
	;;#ASMEND
	v_cmp_ne_u32_e32 vcc, 0, v13
	s_cmp_lg_u64 vcc, exec
	v_mov_b32_e32 v33, v12
	s_cbranch_scc1 .LBB5746_51
; %bb.45:                               ;   in Loop: Header=BB5746_44 Depth=1
	v_lshlrev_b64 v[12:13], 3, v[8:9]
	v_mov_b32_e32 v15, s7
	v_add_co_u32_e32 v14, vcc, s6, v12
	v_addc_co_u32_e32 v15, vcc, v15, v13, vcc
	global_load_dwordx2 v[12:13], v[14:15], off glc
	s_waitcnt vmcnt(0)
	v_cmp_eq_u16_sdwa s[22:23], v13, v9 src0_sel:BYTE_0 src1_sel:DWORD
	s_and_saveexec_b64 s[20:21], s[22:23]
	s_cbranch_execz .LBB5746_43
; %bb.46:                               ;   in Loop: Header=BB5746_44 Depth=1
	s_mov_b32 s27, 1
	s_mov_b64 s[22:23], 0
.LBB5746_47:                            ;   Parent Loop BB5746_44 Depth=1
                                        ; =>  This Loop Header: Depth=2
                                        ;       Child Loop BB5746_48 Depth 3
	s_max_u32 s28, s27, 1
.LBB5746_48:                            ;   Parent Loop BB5746_44 Depth=1
                                        ;     Parent Loop BB5746_47 Depth=2
                                        ; =>    This Inner Loop Header: Depth=3
	s_add_i32 s28, s28, -1
	s_cmp_eq_u32 s28, 0
	s_sleep 1
	s_cbranch_scc0 .LBB5746_48
; %bb.49:                               ;   in Loop: Header=BB5746_47 Depth=2
	global_load_dwordx2 v[12:13], v[14:15], off glc
	s_cmp_lt_u32 s27, 32
	s_cselect_b64 s[28:29], -1, 0
	s_cmp_lg_u64 s[28:29], 0
	s_addc_u32 s27, s27, 0
	s_waitcnt vmcnt(0)
	v_cmp_ne_u16_sdwa s[28:29], v13, v9 src0_sel:BYTE_0 src1_sel:DWORD
	s_or_b64 s[22:23], s[28:29], s[22:23]
	s_andn2_b64 exec, exec, s[22:23]
	s_cbranch_execnz .LBB5746_47
; %bb.50:                               ;   in Loop: Header=BB5746_44 Depth=1
	s_or_b64 exec, exec, s[22:23]
	s_branch .LBB5746_43
.LBB5746_51:                            ;   in Loop: Header=BB5746_44 Depth=1
                                        ; implicit-def: $vgpr12
                                        ; implicit-def: $vgpr13
	s_cbranch_execz .LBB5746_44
; %bb.52:
	s_and_saveexec_b64 s[20:21], s[4:5]
	s_cbranch_execz .LBB5746_54
; %bb.53:
	s_add_i32 s4, s26, 64
	s_mov_b32 s5, 0
	s_lshl_b64 s[4:5], s[4:5], 3
	s_add_u32 s4, s6, s4
	v_add_u32_e32 v6, v33, v6
	v_mov_b32_e32 v7, 2
	s_addc_u32 s5, s7, s5
	v_mov_b32_e32 v8, 0
	global_store_dwordx2 v8, v[6:7], s[4:5]
.LBB5746_54:
	s_or_b64 exec, exec, s[20:21]
	s_and_b64 exec, exec, s[2:3]
	s_cbranch_execz .LBB5746_56
; %bb.55:
	v_mov_b32_e32 v6, 0
	ds_write_b32 v6, v33
.LBB5746_56:
	s_or_b64 exec, exec, s[18:19]
	v_mov_b32_e32 v6, 0
	s_waitcnt lgkmcnt(0)
	s_barrier
	ds_read_b32 v6, v6
	s_waitcnt lgkmcnt(0)
	v_add3_u32 v6, v24, v2, v6
	v_add_u32_e32 v7, v6, v3
	v_add_u32_e32 v8, v7, v4
	;; [unrolled: 1-line block ×9, first 2 shown]
	s_branch .LBB5746_69
.LBB5746_57:
                                        ; implicit-def: $vgpr6_vgpr7_vgpr8_vgpr9_vgpr10_vgpr11_vgpr12_vgpr13_vgpr14_vgpr15
	s_cbranch_execz .LBB5746_69
; %bb.58:
	s_cmp_lg_u64 s[12:13], 0
	s_cselect_b64 s[4:5], -1, 0
	s_and_b64 s[12:13], s[2:3], s[4:5]
	v_mov_b32_e32 v12, v3
	v_mov_b32_e32 v13, v4
	;; [unrolled: 1-line block ×3, first 2 shown]
	s_and_saveexec_b64 s[4:5], s[12:13]
	s_cbranch_execz .LBB5746_60
; %bb.59:
	v_mov_b32_e32 v6, 0
	global_load_dword v6, v6, s[8:9]
	v_mov_b32_e32 v12, v3
	v_mov_b32_e32 v13, v4
	;; [unrolled: 1-line block ×3, first 2 shown]
	s_waitcnt vmcnt(0)
	v_add_u32_e32 v2, v6, v2
.LBB5746_60:
	s_or_b64 exec, exec, s[4:5]
	v_add_u32_e32 v3, v12, v2
	v_add_u32_e32 v4, v3, v13
	;; [unrolled: 1-line block ×9, first 2 shown]
	v_add_lshl_u32 v15, v23, v0, 2
	v_cmp_gt_u32_e32 vcc, 64, v0
	ds_write_b32 v15, v11
	s_waitcnt lgkmcnt(0)
	s_barrier
	s_and_saveexec_b64 s[4:5], vcc
	s_cbranch_execz .LBB5746_62
; %bb.61:
	v_lshlrev_b32_e32 v15, 1, v0
	v_lshrrev_b32_e32 v23, 4, v0
	v_add_lshl_u32 v15, v23, v15, 2
	ds_read2_b32 v[24:25], v15 offset1:1
	v_mbcnt_lo_u32_b32 v23, -1, 0
	v_mbcnt_hi_u32_b32 v23, -1, v23
	v_and_b32_e32 v26, 15, v23
	v_cmp_ne_u32_e32 vcc, 0, v26
	s_waitcnt lgkmcnt(0)
	v_add_u32_e32 v25, v25, v24
	; wave barrier
	s_nop 1
	v_mov_b32_dpp v27, v25 row_shr:1 row_mask:0xf bank_mask:0xf
	v_cndmask_b32_e32 v27, 0, v27, vcc
	v_add_u32_e32 v25, v27, v25
	v_cmp_lt_u32_e32 vcc, 1, v26
	s_nop 0
	v_mov_b32_dpp v27, v25 row_shr:2 row_mask:0xf bank_mask:0xf
	v_cndmask_b32_e32 v27, 0, v27, vcc
	v_add_u32_e32 v25, v25, v27
	v_cmp_lt_u32_e32 vcc, 3, v26
	s_nop 0
	v_mov_b32_dpp v27, v25 row_shr:4 row_mask:0xf bank_mask:0xf
	v_cndmask_b32_e32 v27, 0, v27, vcc
	v_add_u32_e32 v25, v25, v27
	v_cmp_lt_u32_e32 vcc, 7, v26
	s_nop 0
	v_mov_b32_dpp v27, v25 row_shr:8 row_mask:0xf bank_mask:0xf
	v_cndmask_b32_e32 v26, 0, v27, vcc
	v_add_u32_e32 v25, v25, v26
	v_bfe_i32 v27, v23, 4, 1
	v_cmp_lt_u32_e32 vcc, 31, v23
	v_mov_b32_dpp v26, v25 row_bcast:15 row_mask:0xf bank_mask:0xf
	v_and_b32_e32 v26, v27, v26
	v_add_u32_e32 v25, v25, v26
	v_and_b32_e32 v27, 64, v23
	s_nop 0
	v_mov_b32_dpp v26, v25 row_bcast:31 row_mask:0xf bank_mask:0xf
	v_cndmask_b32_e32 v26, 0, v26, vcc
	v_add_u32_e32 v25, v25, v26
	v_add_u32_e32 v26, -1, v23
	v_cmp_lt_i32_e32 vcc, v26, v27
	v_cndmask_b32_e32 v23, v26, v23, vcc
	v_lshlrev_b32_e32 v23, 2, v23
	ds_bpermute_b32 v23, v23, v25
	s_waitcnt lgkmcnt(0)
	v_add_u32_e32 v23, v23, v24
	v_cndmask_b32_e64 v23, v23, v11, s[2:3]
	ds_write_b32 v15, v23
	; wave barrier
	ds_read_b32 v24, v15 offset:4
	s_waitcnt lgkmcnt(0)
	v_add_u32_e32 v23, v24, v23
	ds_write_b32 v15, v23 offset:4
.LBB5746_62:
	s_or_b64 exec, exec, s[4:5]
	v_mov_b32_e32 v15, v11
	s_waitcnt lgkmcnt(0)
	s_barrier
	s_and_saveexec_b64 s[2:3], s[0:1]
	s_cbranch_execz .LBB5746_64
; %bb.63:
	v_add_u32_e32 v15, -1, v0
	v_lshrrev_b32_e32 v23, 5, v15
	v_add_lshl_u32 v15, v23, v15, 2
	ds_read_b32 v15, v15
.LBB5746_64:
	s_or_b64 exec, exec, s[2:3]
	s_and_saveexec_b64 s[2:3], s[0:1]
	s_cbranch_execz .LBB5746_66
; %bb.65:
	s_waitcnt lgkmcnt(0)
	v_add_u32_e32 v2, v15, v2
	v_add_u32_e32 v3, v2, v12
	;; [unrolled: 1-line block ×10, first 2 shown]
	;;#ASMSTART
	;;#ASMEND
.LBB5746_66:
	s_or_b64 exec, exec, s[2:3]
	s_movk_i32 s0, 0x7f
	v_cmp_eq_u32_e32 vcc, s0, v0
	s_and_saveexec_b64 s[0:1], vcc
	s_cbranch_execz .LBB5746_68
; %bb.67:
	v_mov_b32_e32 v14, 0
	v_mov_b32_e32 v13, 2
	;; [unrolled: 1-line block ×3, first 2 shown]
	global_store_dwordx2 v14, v[12:13], s[6:7] offset:512
.LBB5746_68:
	s_or_b64 exec, exec, s[0:1]
	s_waitcnt lgkmcnt(0)
	v_pk_mov_b32 v[14:15], v[10:11], v[10:11] op_sel:[0,1]
	v_pk_mov_b32 v[12:13], v[8:9], v[8:9] op_sel:[0,1]
	;; [unrolled: 1-line block ×5, first 2 shown]
.LBB5746_69:
	s_mov_b64 s[0:1], -1
	s_and_b64 vcc, exec, s[16:17]
	s_barrier
	ds_write2_b64 v1, v[6:7], v[8:9] offset1:1
	ds_write2_b64 v1, v[10:11], v[12:13] offset0:2 offset1:3
	ds_write_b64 v1, v[14:15] offset:32
	s_waitcnt lgkmcnt(0)
	s_cbranch_vccz .LBB5746_71
; %bb.70:
	s_barrier
	s_mov_b64 s[0:1], 0
.LBB5746_71:
	s_andn2_b64 vcc, exec, s[0:1]
	s_cbranch_vccnz .LBB5746_107
; %bb.72:
	v_cmp_lt_u64_e64 s[0:1], s[14:15], 2
	s_and_b64 vcc, exec, s[0:1]
	s_barrier
	s_cbranch_vccnz .LBB5746_107
; %bb.73:
	s_add_u32 s0, s24, -1
	s_addc_u32 s1, s25, -1
	s_add_u32 s2, 0, 0x99986000
	s_addc_u32 s3, 0, 0x59
	s_add_i32 s3, s3, 0x19999940
	s_mul_hi_u32 s7, s2, -10
	s_sub_i32 s7, s7, s2
	s_mul_i32 s8, s3, -10
	s_mul_i32 s4, s2, -10
	s_add_i32 s7, s7, s8
	s_mul_hi_u32 s5, s3, s4
	s_mul_i32 s6, s3, s4
	s_mul_i32 s9, s2, s7
	s_mul_hi_u32 s4, s2, s4
	s_mul_hi_u32 s8, s2, s7
	s_add_u32 s4, s4, s9
	s_addc_u32 s8, 0, s8
	s_add_u32 s4, s4, s6
	s_mul_hi_u32 s9, s3, s7
	s_addc_u32 s4, s8, s5
	s_addc_u32 s5, s9, 0
	s_mul_i32 s6, s3, s7
	s_add_u32 s4, s4, s6
	v_mov_b32_e32 v2, s4
	s_addc_u32 s5, 0, s5
	v_add_co_u32_e32 v2, vcc, s2, v2
	s_cmp_lg_u64 vcc, 0
	s_addc_u32 s2, s3, s5
	v_readfirstlane_b32 s5, v2
	s_mul_i32 s4, s0, s2
	s_mul_hi_u32 s6, s0, s5
	s_mul_hi_u32 s3, s0, s2
	s_add_u32 s4, s6, s4
	s_addc_u32 s3, 0, s3
	s_mul_hi_u32 s7, s1, s5
	s_mul_i32 s5, s1, s5
	s_add_u32 s4, s4, s5
	s_mul_hi_u32 s6, s1, s2
	s_addc_u32 s3, s3, s7
	s_addc_u32 s4, s6, 0
	s_mul_i32 s2, s1, s2
	s_add_u32 s2, s3, s2
	s_addc_u32 s3, 0, s4
	s_add_u32 s4, s2, 1
	s_addc_u32 s5, s3, 0
	s_add_u32 s6, s2, 2
	s_mul_i32 s8, s3, 10
	s_mul_hi_u32 s9, s2, 10
	s_addc_u32 s7, s3, 0
	s_add_i32 s9, s9, s8
	s_mul_i32 s8, s2, 10
	v_mov_b32_e32 v2, s8
	v_sub_co_u32_e32 v2, vcc, s0, v2
	s_cmp_lg_u64 vcc, 0
	s_subb_u32 s8, s1, s9
	v_subrev_co_u32_e32 v3, vcc, 10, v2
	s_cmp_lg_u64 vcc, 0
	s_subb_u32 s9, s8, 0
	v_readfirstlane_b32 s12, v3
	s_cmp_gt_u32 s12, 9
	s_cselect_b32 s12, -1, 0
	s_cmp_eq_u32 s9, 0
	s_cselect_b32 s9, s12, -1
	s_cmp_lg_u32 s9, 0
	s_cselect_b32 s4, s6, s4
	v_readfirstlane_b32 s6, v2
	s_cselect_b32 s5, s7, s5
	s_cmp_gt_u32 s6, 9
	s_cselect_b32 s6, -1, 0
	s_cmp_eq_u32 s8, 0
	s_cselect_b32 s6, s6, -1
	s_cmp_lg_u32 s6, 0
	v_mov_b32_e32 v1, 0
	s_cselect_b32 s3, s5, s3
	s_cselect_b32 s2, s4, s2
	v_cmp_eq_u64_e32 vcc, s[2:3], v[0:1]
	s_and_saveexec_b64 s[2:3], vcc
	s_cbranch_execz .LBB5746_107
; %bb.74:
	v_lshlrev_b32_e32 v2, 2, v0
	v_mul_hi_u32_u24_e32 v1, 10, v0
	v_mov_b32_e32 v3, s1
	v_sub_co_u32_e32 v0, vcc, s0, v22
	v_subb_co_u32_e32 v1, vcc, v3, v1, vcc
	v_cmp_lt_i64_e32 vcc, 4, v[0:1]
	s_and_saveexec_b64 s[0:1], vcc
	s_xor_b64 s[0:1], exec, s[0:1]
	s_cbranch_execz .LBB5746_92
; %bb.75:
	v_cmp_lt_i64_e32 vcc, 6, v[0:1]
	s_and_saveexec_b64 s[2:3], vcc
	s_xor_b64 s[2:3], exec, s[2:3]
	s_cbranch_execz .LBB5746_85
; %bb.76:
	;; [unrolled: 5-line block ×4, first 2 shown]
	ds_read_b32 v0, v2 offset:4608
	v_mov_b32_e32 v1, 0
                                        ; implicit-def: $vgpr2
	s_waitcnt lgkmcnt(0)
	global_store_dword v1, v0, s[10:11]
.LBB5746_79:
	s_andn2_saveexec_b64 s[6:7], s[6:7]
	s_cbranch_execz .LBB5746_81
; %bb.80:
	ds_read_b32 v0, v2 offset:4096
	v_mov_b32_e32 v1, 0
	s_waitcnt lgkmcnt(0)
	global_store_dword v1, v0, s[10:11]
.LBB5746_81:
	s_or_b64 exec, exec, s[6:7]
                                        ; implicit-def: $vgpr2
.LBB5746_82:
	s_andn2_saveexec_b64 s[4:5], s[4:5]
	s_cbranch_execz .LBB5746_84
; %bb.83:
	ds_read_b32 v0, v2 offset:3584
	v_mov_b32_e32 v1, 0
	s_waitcnt lgkmcnt(0)
	global_store_dword v1, v0, s[10:11]
.LBB5746_84:
	s_or_b64 exec, exec, s[4:5]
                                        ; implicit-def: $vgpr2
                                        ; implicit-def: $vgpr0_vgpr1
.LBB5746_85:
	s_andn2_saveexec_b64 s[2:3], s[2:3]
	s_cbranch_execz .LBB5746_91
; %bb.86:
	v_cmp_lt_i64_e32 vcc, 5, v[0:1]
	s_and_saveexec_b64 s[4:5], vcc
	s_xor_b64 s[4:5], exec, s[4:5]
	s_cbranch_execz .LBB5746_88
; %bb.87:
	ds_read_b32 v0, v2 offset:3072
	v_mov_b32_e32 v1, 0
                                        ; implicit-def: $vgpr2
	s_waitcnt lgkmcnt(0)
	global_store_dword v1, v0, s[10:11]
.LBB5746_88:
	s_andn2_saveexec_b64 s[4:5], s[4:5]
	s_cbranch_execz .LBB5746_90
; %bb.89:
	ds_read_b32 v0, v2 offset:2560
	v_mov_b32_e32 v1, 0
	s_waitcnt lgkmcnt(0)
	global_store_dword v1, v0, s[10:11]
.LBB5746_90:
	s_or_b64 exec, exec, s[4:5]
.LBB5746_91:
	s_or_b64 exec, exec, s[2:3]
                                        ; implicit-def: $vgpr0_vgpr1
                                        ; implicit-def: $vgpr2
.LBB5746_92:
	s_andn2_saveexec_b64 s[0:1], s[0:1]
	s_cbranch_execz .LBB5746_107
; %bb.93:
	v_cmp_lt_i64_e32 vcc, 2, v[0:1]
	s_and_saveexec_b64 s[0:1], vcc
	s_xor_b64 s[0:1], exec, s[0:1]
	s_cbranch_execz .LBB5746_99
; %bb.94:
	v_cmp_lt_i64_e32 vcc, 3, v[0:1]
	s_and_saveexec_b64 s[2:3], vcc
	s_xor_b64 s[2:3], exec, s[2:3]
	s_cbranch_execz .LBB5746_96
; %bb.95:
	ds_read_b32 v0, v2 offset:2048
	v_mov_b32_e32 v1, 0
                                        ; implicit-def: $vgpr2
	s_waitcnt lgkmcnt(0)
	global_store_dword v1, v0, s[10:11]
.LBB5746_96:
	s_andn2_saveexec_b64 s[2:3], s[2:3]
	s_cbranch_execz .LBB5746_98
; %bb.97:
	ds_read_b32 v0, v2 offset:1536
	v_mov_b32_e32 v1, 0
	s_waitcnt lgkmcnt(0)
	global_store_dword v1, v0, s[10:11]
.LBB5746_98:
	s_or_b64 exec, exec, s[2:3]
                                        ; implicit-def: $vgpr0_vgpr1
                                        ; implicit-def: $vgpr2
.LBB5746_99:
	s_andn2_saveexec_b64 s[0:1], s[0:1]
	s_cbranch_execz .LBB5746_107
; %bb.100:
	v_cmp_lt_i64_e32 vcc, 1, v[0:1]
	s_and_saveexec_b64 s[0:1], vcc
	s_xor_b64 s[0:1], exec, s[0:1]
	s_cbranch_execz .LBB5746_102
; %bb.101:
	ds_read_b32 v0, v2 offset:1024
	v_mov_b32_e32 v1, 0
                                        ; implicit-def: $vgpr2
	s_waitcnt lgkmcnt(0)
	global_store_dword v1, v0, s[10:11]
                                        ; implicit-def: $vgpr0_vgpr1
.LBB5746_102:
	s_andn2_saveexec_b64 s[0:1], s[0:1]
	s_cbranch_execz .LBB5746_107
; %bb.103:
	v_cmp_ne_u64_e32 vcc, 1, v[0:1]
	s_and_saveexec_b64 s[0:1], vcc
	s_xor_b64 s[0:1], exec, s[0:1]
	s_cbranch_execz .LBB5746_105
; %bb.104:
	ds_read_b32 v0, v2
	v_mov_b32_e32 v1, 0
                                        ; implicit-def: $vgpr2
	s_waitcnt lgkmcnt(0)
	global_store_dword v1, v0, s[10:11]
.LBB5746_105:
	s_andn2_saveexec_b64 s[0:1], s[0:1]
	s_cbranch_execz .LBB5746_107
; %bb.106:
	ds_read_b32 v0, v2 offset:512
	v_mov_b32_e32 v1, 0
	s_waitcnt lgkmcnt(0)
	global_store_dword v1, v0, s[10:11]
.LBB5746_107:
	s_endpgm
	.section	.rodata,"a",@progbits
	.p2align	6, 0x0
	.amdhsa_kernel _ZN7rocprim17ROCPRIM_400000_NS6detail17trampoline_kernelINS0_14default_configENS1_20scan_config_selectorIiEEZZNS1_9scan_implILNS1_25lookback_scan_determinismE0ELb0ELb0ES3_N6thrust23THRUST_200600_302600_NS6detail15normal_iteratorINS9_10device_ptrIiEEEENS9_16discard_iteratorINS9_11use_defaultEEEiNS9_4plusIvEEiEEDaPvRmT3_T4_T5_mT6_P12ihipStream_tbENKUlT_T0_E_clISt17integral_constantIbLb1EESX_EEDaSS_ST_EUlSS_E_NS1_11comp_targetILNS1_3genE4ELNS1_11target_archE910ELNS1_3gpuE8ELNS1_3repE0EEENS1_30default_config_static_selectorELNS0_4arch9wavefront6targetE1EEEvT1_
		.amdhsa_group_segment_fixed_size 5120
		.amdhsa_private_segment_fixed_size 0
		.amdhsa_kernarg_size 104
		.amdhsa_user_sgpr_count 6
		.amdhsa_user_sgpr_private_segment_buffer 1
		.amdhsa_user_sgpr_dispatch_ptr 0
		.amdhsa_user_sgpr_queue_ptr 0
		.amdhsa_user_sgpr_kernarg_segment_ptr 1
		.amdhsa_user_sgpr_dispatch_id 0
		.amdhsa_user_sgpr_flat_scratch_init 0
		.amdhsa_user_sgpr_kernarg_preload_length 0
		.amdhsa_user_sgpr_kernarg_preload_offset 0
		.amdhsa_user_sgpr_private_segment_size 0
		.amdhsa_uses_dynamic_stack 0
		.amdhsa_system_sgpr_private_segment_wavefront_offset 0
		.amdhsa_system_sgpr_workgroup_id_x 1
		.amdhsa_system_sgpr_workgroup_id_y 0
		.amdhsa_system_sgpr_workgroup_id_z 0
		.amdhsa_system_sgpr_workgroup_info 0
		.amdhsa_system_vgpr_workitem_id 0
		.amdhsa_next_free_vgpr 39
		.amdhsa_next_free_sgpr 30
		.amdhsa_accum_offset 40
		.amdhsa_reserve_vcc 1
		.amdhsa_reserve_flat_scratch 0
		.amdhsa_float_round_mode_32 0
		.amdhsa_float_round_mode_16_64 0
		.amdhsa_float_denorm_mode_32 3
		.amdhsa_float_denorm_mode_16_64 3
		.amdhsa_dx10_clamp 1
		.amdhsa_ieee_mode 1
		.amdhsa_fp16_overflow 0
		.amdhsa_tg_split 0
		.amdhsa_exception_fp_ieee_invalid_op 0
		.amdhsa_exception_fp_denorm_src 0
		.amdhsa_exception_fp_ieee_div_zero 0
		.amdhsa_exception_fp_ieee_overflow 0
		.amdhsa_exception_fp_ieee_underflow 0
		.amdhsa_exception_fp_ieee_inexact 0
		.amdhsa_exception_int_div_zero 0
	.end_amdhsa_kernel
	.section	.text._ZN7rocprim17ROCPRIM_400000_NS6detail17trampoline_kernelINS0_14default_configENS1_20scan_config_selectorIiEEZZNS1_9scan_implILNS1_25lookback_scan_determinismE0ELb0ELb0ES3_N6thrust23THRUST_200600_302600_NS6detail15normal_iteratorINS9_10device_ptrIiEEEENS9_16discard_iteratorINS9_11use_defaultEEEiNS9_4plusIvEEiEEDaPvRmT3_T4_T5_mT6_P12ihipStream_tbENKUlT_T0_E_clISt17integral_constantIbLb1EESX_EEDaSS_ST_EUlSS_E_NS1_11comp_targetILNS1_3genE4ELNS1_11target_archE910ELNS1_3gpuE8ELNS1_3repE0EEENS1_30default_config_static_selectorELNS0_4arch9wavefront6targetE1EEEvT1_,"axG",@progbits,_ZN7rocprim17ROCPRIM_400000_NS6detail17trampoline_kernelINS0_14default_configENS1_20scan_config_selectorIiEEZZNS1_9scan_implILNS1_25lookback_scan_determinismE0ELb0ELb0ES3_N6thrust23THRUST_200600_302600_NS6detail15normal_iteratorINS9_10device_ptrIiEEEENS9_16discard_iteratorINS9_11use_defaultEEEiNS9_4plusIvEEiEEDaPvRmT3_T4_T5_mT6_P12ihipStream_tbENKUlT_T0_E_clISt17integral_constantIbLb1EESX_EEDaSS_ST_EUlSS_E_NS1_11comp_targetILNS1_3genE4ELNS1_11target_archE910ELNS1_3gpuE8ELNS1_3repE0EEENS1_30default_config_static_selectorELNS0_4arch9wavefront6targetE1EEEvT1_,comdat
.Lfunc_end5746:
	.size	_ZN7rocprim17ROCPRIM_400000_NS6detail17trampoline_kernelINS0_14default_configENS1_20scan_config_selectorIiEEZZNS1_9scan_implILNS1_25lookback_scan_determinismE0ELb0ELb0ES3_N6thrust23THRUST_200600_302600_NS6detail15normal_iteratorINS9_10device_ptrIiEEEENS9_16discard_iteratorINS9_11use_defaultEEEiNS9_4plusIvEEiEEDaPvRmT3_T4_T5_mT6_P12ihipStream_tbENKUlT_T0_E_clISt17integral_constantIbLb1EESX_EEDaSS_ST_EUlSS_E_NS1_11comp_targetILNS1_3genE4ELNS1_11target_archE910ELNS1_3gpuE8ELNS1_3repE0EEENS1_30default_config_static_selectorELNS0_4arch9wavefront6targetE1EEEvT1_, .Lfunc_end5746-_ZN7rocprim17ROCPRIM_400000_NS6detail17trampoline_kernelINS0_14default_configENS1_20scan_config_selectorIiEEZZNS1_9scan_implILNS1_25lookback_scan_determinismE0ELb0ELb0ES3_N6thrust23THRUST_200600_302600_NS6detail15normal_iteratorINS9_10device_ptrIiEEEENS9_16discard_iteratorINS9_11use_defaultEEEiNS9_4plusIvEEiEEDaPvRmT3_T4_T5_mT6_P12ihipStream_tbENKUlT_T0_E_clISt17integral_constantIbLb1EESX_EEDaSS_ST_EUlSS_E_NS1_11comp_targetILNS1_3genE4ELNS1_11target_archE910ELNS1_3gpuE8ELNS1_3repE0EEENS1_30default_config_static_selectorELNS0_4arch9wavefront6targetE1EEEvT1_
                                        ; -- End function
	.section	.AMDGPU.csdata,"",@progbits
; Kernel info:
; codeLenInByte = 4100
; NumSgprs: 34
; NumVgprs: 39
; NumAgprs: 0
; TotalNumVgprs: 39
; ScratchSize: 0
; MemoryBound: 0
; FloatMode: 240
; IeeeMode: 1
; LDSByteSize: 5120 bytes/workgroup (compile time only)
; SGPRBlocks: 4
; VGPRBlocks: 4
; NumSGPRsForWavesPerEU: 34
; NumVGPRsForWavesPerEU: 39
; AccumOffset: 40
; Occupancy: 6
; WaveLimiterHint : 1
; COMPUTE_PGM_RSRC2:SCRATCH_EN: 0
; COMPUTE_PGM_RSRC2:USER_SGPR: 6
; COMPUTE_PGM_RSRC2:TRAP_HANDLER: 0
; COMPUTE_PGM_RSRC2:TGID_X_EN: 1
; COMPUTE_PGM_RSRC2:TGID_Y_EN: 0
; COMPUTE_PGM_RSRC2:TGID_Z_EN: 0
; COMPUTE_PGM_RSRC2:TIDIG_COMP_CNT: 0
; COMPUTE_PGM_RSRC3_GFX90A:ACCUM_OFFSET: 9
; COMPUTE_PGM_RSRC3_GFX90A:TG_SPLIT: 0
	.section	.text._ZN7rocprim17ROCPRIM_400000_NS6detail17trampoline_kernelINS0_14default_configENS1_20scan_config_selectorIiEEZZNS1_9scan_implILNS1_25lookback_scan_determinismE0ELb0ELb0ES3_N6thrust23THRUST_200600_302600_NS6detail15normal_iteratorINS9_10device_ptrIiEEEENS9_16discard_iteratorINS9_11use_defaultEEEiNS9_4plusIvEEiEEDaPvRmT3_T4_T5_mT6_P12ihipStream_tbENKUlT_T0_E_clISt17integral_constantIbLb1EESX_EEDaSS_ST_EUlSS_E_NS1_11comp_targetILNS1_3genE3ELNS1_11target_archE908ELNS1_3gpuE7ELNS1_3repE0EEENS1_30default_config_static_selectorELNS0_4arch9wavefront6targetE1EEEvT1_,"axG",@progbits,_ZN7rocprim17ROCPRIM_400000_NS6detail17trampoline_kernelINS0_14default_configENS1_20scan_config_selectorIiEEZZNS1_9scan_implILNS1_25lookback_scan_determinismE0ELb0ELb0ES3_N6thrust23THRUST_200600_302600_NS6detail15normal_iteratorINS9_10device_ptrIiEEEENS9_16discard_iteratorINS9_11use_defaultEEEiNS9_4plusIvEEiEEDaPvRmT3_T4_T5_mT6_P12ihipStream_tbENKUlT_T0_E_clISt17integral_constantIbLb1EESX_EEDaSS_ST_EUlSS_E_NS1_11comp_targetILNS1_3genE3ELNS1_11target_archE908ELNS1_3gpuE7ELNS1_3repE0EEENS1_30default_config_static_selectorELNS0_4arch9wavefront6targetE1EEEvT1_,comdat
	.protected	_ZN7rocprim17ROCPRIM_400000_NS6detail17trampoline_kernelINS0_14default_configENS1_20scan_config_selectorIiEEZZNS1_9scan_implILNS1_25lookback_scan_determinismE0ELb0ELb0ES3_N6thrust23THRUST_200600_302600_NS6detail15normal_iteratorINS9_10device_ptrIiEEEENS9_16discard_iteratorINS9_11use_defaultEEEiNS9_4plusIvEEiEEDaPvRmT3_T4_T5_mT6_P12ihipStream_tbENKUlT_T0_E_clISt17integral_constantIbLb1EESX_EEDaSS_ST_EUlSS_E_NS1_11comp_targetILNS1_3genE3ELNS1_11target_archE908ELNS1_3gpuE7ELNS1_3repE0EEENS1_30default_config_static_selectorELNS0_4arch9wavefront6targetE1EEEvT1_ ; -- Begin function _ZN7rocprim17ROCPRIM_400000_NS6detail17trampoline_kernelINS0_14default_configENS1_20scan_config_selectorIiEEZZNS1_9scan_implILNS1_25lookback_scan_determinismE0ELb0ELb0ES3_N6thrust23THRUST_200600_302600_NS6detail15normal_iteratorINS9_10device_ptrIiEEEENS9_16discard_iteratorINS9_11use_defaultEEEiNS9_4plusIvEEiEEDaPvRmT3_T4_T5_mT6_P12ihipStream_tbENKUlT_T0_E_clISt17integral_constantIbLb1EESX_EEDaSS_ST_EUlSS_E_NS1_11comp_targetILNS1_3genE3ELNS1_11target_archE908ELNS1_3gpuE7ELNS1_3repE0EEENS1_30default_config_static_selectorELNS0_4arch9wavefront6targetE1EEEvT1_
	.globl	_ZN7rocprim17ROCPRIM_400000_NS6detail17trampoline_kernelINS0_14default_configENS1_20scan_config_selectorIiEEZZNS1_9scan_implILNS1_25lookback_scan_determinismE0ELb0ELb0ES3_N6thrust23THRUST_200600_302600_NS6detail15normal_iteratorINS9_10device_ptrIiEEEENS9_16discard_iteratorINS9_11use_defaultEEEiNS9_4plusIvEEiEEDaPvRmT3_T4_T5_mT6_P12ihipStream_tbENKUlT_T0_E_clISt17integral_constantIbLb1EESX_EEDaSS_ST_EUlSS_E_NS1_11comp_targetILNS1_3genE3ELNS1_11target_archE908ELNS1_3gpuE7ELNS1_3repE0EEENS1_30default_config_static_selectorELNS0_4arch9wavefront6targetE1EEEvT1_
	.p2align	8
	.type	_ZN7rocprim17ROCPRIM_400000_NS6detail17trampoline_kernelINS0_14default_configENS1_20scan_config_selectorIiEEZZNS1_9scan_implILNS1_25lookback_scan_determinismE0ELb0ELb0ES3_N6thrust23THRUST_200600_302600_NS6detail15normal_iteratorINS9_10device_ptrIiEEEENS9_16discard_iteratorINS9_11use_defaultEEEiNS9_4plusIvEEiEEDaPvRmT3_T4_T5_mT6_P12ihipStream_tbENKUlT_T0_E_clISt17integral_constantIbLb1EESX_EEDaSS_ST_EUlSS_E_NS1_11comp_targetILNS1_3genE3ELNS1_11target_archE908ELNS1_3gpuE7ELNS1_3repE0EEENS1_30default_config_static_selectorELNS0_4arch9wavefront6targetE1EEEvT1_,@function
_ZN7rocprim17ROCPRIM_400000_NS6detail17trampoline_kernelINS0_14default_configENS1_20scan_config_selectorIiEEZZNS1_9scan_implILNS1_25lookback_scan_determinismE0ELb0ELb0ES3_N6thrust23THRUST_200600_302600_NS6detail15normal_iteratorINS9_10device_ptrIiEEEENS9_16discard_iteratorINS9_11use_defaultEEEiNS9_4plusIvEEiEEDaPvRmT3_T4_T5_mT6_P12ihipStream_tbENKUlT_T0_E_clISt17integral_constantIbLb1EESX_EEDaSS_ST_EUlSS_E_NS1_11comp_targetILNS1_3genE3ELNS1_11target_archE908ELNS1_3gpuE7ELNS1_3repE0EEENS1_30default_config_static_selectorELNS0_4arch9wavefront6targetE1EEEvT1_: ; @_ZN7rocprim17ROCPRIM_400000_NS6detail17trampoline_kernelINS0_14default_configENS1_20scan_config_selectorIiEEZZNS1_9scan_implILNS1_25lookback_scan_determinismE0ELb0ELb0ES3_N6thrust23THRUST_200600_302600_NS6detail15normal_iteratorINS9_10device_ptrIiEEEENS9_16discard_iteratorINS9_11use_defaultEEEiNS9_4plusIvEEiEEDaPvRmT3_T4_T5_mT6_P12ihipStream_tbENKUlT_T0_E_clISt17integral_constantIbLb1EESX_EEDaSS_ST_EUlSS_E_NS1_11comp_targetILNS1_3genE3ELNS1_11target_archE908ELNS1_3gpuE7ELNS1_3repE0EEENS1_30default_config_static_selectorELNS0_4arch9wavefront6targetE1EEEvT1_
; %bb.0:
	.section	.rodata,"a",@progbits
	.p2align	6, 0x0
	.amdhsa_kernel _ZN7rocprim17ROCPRIM_400000_NS6detail17trampoline_kernelINS0_14default_configENS1_20scan_config_selectorIiEEZZNS1_9scan_implILNS1_25lookback_scan_determinismE0ELb0ELb0ES3_N6thrust23THRUST_200600_302600_NS6detail15normal_iteratorINS9_10device_ptrIiEEEENS9_16discard_iteratorINS9_11use_defaultEEEiNS9_4plusIvEEiEEDaPvRmT3_T4_T5_mT6_P12ihipStream_tbENKUlT_T0_E_clISt17integral_constantIbLb1EESX_EEDaSS_ST_EUlSS_E_NS1_11comp_targetILNS1_3genE3ELNS1_11target_archE908ELNS1_3gpuE7ELNS1_3repE0EEENS1_30default_config_static_selectorELNS0_4arch9wavefront6targetE1EEEvT1_
		.amdhsa_group_segment_fixed_size 0
		.amdhsa_private_segment_fixed_size 0
		.amdhsa_kernarg_size 104
		.amdhsa_user_sgpr_count 6
		.amdhsa_user_sgpr_private_segment_buffer 1
		.amdhsa_user_sgpr_dispatch_ptr 0
		.amdhsa_user_sgpr_queue_ptr 0
		.amdhsa_user_sgpr_kernarg_segment_ptr 1
		.amdhsa_user_sgpr_dispatch_id 0
		.amdhsa_user_sgpr_flat_scratch_init 0
		.amdhsa_user_sgpr_kernarg_preload_length 0
		.amdhsa_user_sgpr_kernarg_preload_offset 0
		.amdhsa_user_sgpr_private_segment_size 0
		.amdhsa_uses_dynamic_stack 0
		.amdhsa_system_sgpr_private_segment_wavefront_offset 0
		.amdhsa_system_sgpr_workgroup_id_x 1
		.amdhsa_system_sgpr_workgroup_id_y 0
		.amdhsa_system_sgpr_workgroup_id_z 0
		.amdhsa_system_sgpr_workgroup_info 0
		.amdhsa_system_vgpr_workitem_id 0
		.amdhsa_next_free_vgpr 1
		.amdhsa_next_free_sgpr 0
		.amdhsa_accum_offset 4
		.amdhsa_reserve_vcc 0
		.amdhsa_reserve_flat_scratch 0
		.amdhsa_float_round_mode_32 0
		.amdhsa_float_round_mode_16_64 0
		.amdhsa_float_denorm_mode_32 3
		.amdhsa_float_denorm_mode_16_64 3
		.amdhsa_dx10_clamp 1
		.amdhsa_ieee_mode 1
		.amdhsa_fp16_overflow 0
		.amdhsa_tg_split 0
		.amdhsa_exception_fp_ieee_invalid_op 0
		.amdhsa_exception_fp_denorm_src 0
		.amdhsa_exception_fp_ieee_div_zero 0
		.amdhsa_exception_fp_ieee_overflow 0
		.amdhsa_exception_fp_ieee_underflow 0
		.amdhsa_exception_fp_ieee_inexact 0
		.amdhsa_exception_int_div_zero 0
	.end_amdhsa_kernel
	.section	.text._ZN7rocprim17ROCPRIM_400000_NS6detail17trampoline_kernelINS0_14default_configENS1_20scan_config_selectorIiEEZZNS1_9scan_implILNS1_25lookback_scan_determinismE0ELb0ELb0ES3_N6thrust23THRUST_200600_302600_NS6detail15normal_iteratorINS9_10device_ptrIiEEEENS9_16discard_iteratorINS9_11use_defaultEEEiNS9_4plusIvEEiEEDaPvRmT3_T4_T5_mT6_P12ihipStream_tbENKUlT_T0_E_clISt17integral_constantIbLb1EESX_EEDaSS_ST_EUlSS_E_NS1_11comp_targetILNS1_3genE3ELNS1_11target_archE908ELNS1_3gpuE7ELNS1_3repE0EEENS1_30default_config_static_selectorELNS0_4arch9wavefront6targetE1EEEvT1_,"axG",@progbits,_ZN7rocprim17ROCPRIM_400000_NS6detail17trampoline_kernelINS0_14default_configENS1_20scan_config_selectorIiEEZZNS1_9scan_implILNS1_25lookback_scan_determinismE0ELb0ELb0ES3_N6thrust23THRUST_200600_302600_NS6detail15normal_iteratorINS9_10device_ptrIiEEEENS9_16discard_iteratorINS9_11use_defaultEEEiNS9_4plusIvEEiEEDaPvRmT3_T4_T5_mT6_P12ihipStream_tbENKUlT_T0_E_clISt17integral_constantIbLb1EESX_EEDaSS_ST_EUlSS_E_NS1_11comp_targetILNS1_3genE3ELNS1_11target_archE908ELNS1_3gpuE7ELNS1_3repE0EEENS1_30default_config_static_selectorELNS0_4arch9wavefront6targetE1EEEvT1_,comdat
.Lfunc_end5747:
	.size	_ZN7rocprim17ROCPRIM_400000_NS6detail17trampoline_kernelINS0_14default_configENS1_20scan_config_selectorIiEEZZNS1_9scan_implILNS1_25lookback_scan_determinismE0ELb0ELb0ES3_N6thrust23THRUST_200600_302600_NS6detail15normal_iteratorINS9_10device_ptrIiEEEENS9_16discard_iteratorINS9_11use_defaultEEEiNS9_4plusIvEEiEEDaPvRmT3_T4_T5_mT6_P12ihipStream_tbENKUlT_T0_E_clISt17integral_constantIbLb1EESX_EEDaSS_ST_EUlSS_E_NS1_11comp_targetILNS1_3genE3ELNS1_11target_archE908ELNS1_3gpuE7ELNS1_3repE0EEENS1_30default_config_static_selectorELNS0_4arch9wavefront6targetE1EEEvT1_, .Lfunc_end5747-_ZN7rocprim17ROCPRIM_400000_NS6detail17trampoline_kernelINS0_14default_configENS1_20scan_config_selectorIiEEZZNS1_9scan_implILNS1_25lookback_scan_determinismE0ELb0ELb0ES3_N6thrust23THRUST_200600_302600_NS6detail15normal_iteratorINS9_10device_ptrIiEEEENS9_16discard_iteratorINS9_11use_defaultEEEiNS9_4plusIvEEiEEDaPvRmT3_T4_T5_mT6_P12ihipStream_tbENKUlT_T0_E_clISt17integral_constantIbLb1EESX_EEDaSS_ST_EUlSS_E_NS1_11comp_targetILNS1_3genE3ELNS1_11target_archE908ELNS1_3gpuE7ELNS1_3repE0EEENS1_30default_config_static_selectorELNS0_4arch9wavefront6targetE1EEEvT1_
                                        ; -- End function
	.section	.AMDGPU.csdata,"",@progbits
; Kernel info:
; codeLenInByte = 0
; NumSgprs: 4
; NumVgprs: 0
; NumAgprs: 0
; TotalNumVgprs: 0
; ScratchSize: 0
; MemoryBound: 0
; FloatMode: 240
; IeeeMode: 1
; LDSByteSize: 0 bytes/workgroup (compile time only)
; SGPRBlocks: 0
; VGPRBlocks: 0
; NumSGPRsForWavesPerEU: 4
; NumVGPRsForWavesPerEU: 1
; AccumOffset: 4
; Occupancy: 8
; WaveLimiterHint : 0
; COMPUTE_PGM_RSRC2:SCRATCH_EN: 0
; COMPUTE_PGM_RSRC2:USER_SGPR: 6
; COMPUTE_PGM_RSRC2:TRAP_HANDLER: 0
; COMPUTE_PGM_RSRC2:TGID_X_EN: 1
; COMPUTE_PGM_RSRC2:TGID_Y_EN: 0
; COMPUTE_PGM_RSRC2:TGID_Z_EN: 0
; COMPUTE_PGM_RSRC2:TIDIG_COMP_CNT: 0
; COMPUTE_PGM_RSRC3_GFX90A:ACCUM_OFFSET: 0
; COMPUTE_PGM_RSRC3_GFX90A:TG_SPLIT: 0
	.section	.text._ZN7rocprim17ROCPRIM_400000_NS6detail17trampoline_kernelINS0_14default_configENS1_20scan_config_selectorIiEEZZNS1_9scan_implILNS1_25lookback_scan_determinismE0ELb0ELb0ES3_N6thrust23THRUST_200600_302600_NS6detail15normal_iteratorINS9_10device_ptrIiEEEENS9_16discard_iteratorINS9_11use_defaultEEEiNS9_4plusIvEEiEEDaPvRmT3_T4_T5_mT6_P12ihipStream_tbENKUlT_T0_E_clISt17integral_constantIbLb1EESX_EEDaSS_ST_EUlSS_E_NS1_11comp_targetILNS1_3genE2ELNS1_11target_archE906ELNS1_3gpuE6ELNS1_3repE0EEENS1_30default_config_static_selectorELNS0_4arch9wavefront6targetE1EEEvT1_,"axG",@progbits,_ZN7rocprim17ROCPRIM_400000_NS6detail17trampoline_kernelINS0_14default_configENS1_20scan_config_selectorIiEEZZNS1_9scan_implILNS1_25lookback_scan_determinismE0ELb0ELb0ES3_N6thrust23THRUST_200600_302600_NS6detail15normal_iteratorINS9_10device_ptrIiEEEENS9_16discard_iteratorINS9_11use_defaultEEEiNS9_4plusIvEEiEEDaPvRmT3_T4_T5_mT6_P12ihipStream_tbENKUlT_T0_E_clISt17integral_constantIbLb1EESX_EEDaSS_ST_EUlSS_E_NS1_11comp_targetILNS1_3genE2ELNS1_11target_archE906ELNS1_3gpuE6ELNS1_3repE0EEENS1_30default_config_static_selectorELNS0_4arch9wavefront6targetE1EEEvT1_,comdat
	.protected	_ZN7rocprim17ROCPRIM_400000_NS6detail17trampoline_kernelINS0_14default_configENS1_20scan_config_selectorIiEEZZNS1_9scan_implILNS1_25lookback_scan_determinismE0ELb0ELb0ES3_N6thrust23THRUST_200600_302600_NS6detail15normal_iteratorINS9_10device_ptrIiEEEENS9_16discard_iteratorINS9_11use_defaultEEEiNS9_4plusIvEEiEEDaPvRmT3_T4_T5_mT6_P12ihipStream_tbENKUlT_T0_E_clISt17integral_constantIbLb1EESX_EEDaSS_ST_EUlSS_E_NS1_11comp_targetILNS1_3genE2ELNS1_11target_archE906ELNS1_3gpuE6ELNS1_3repE0EEENS1_30default_config_static_selectorELNS0_4arch9wavefront6targetE1EEEvT1_ ; -- Begin function _ZN7rocprim17ROCPRIM_400000_NS6detail17trampoline_kernelINS0_14default_configENS1_20scan_config_selectorIiEEZZNS1_9scan_implILNS1_25lookback_scan_determinismE0ELb0ELb0ES3_N6thrust23THRUST_200600_302600_NS6detail15normal_iteratorINS9_10device_ptrIiEEEENS9_16discard_iteratorINS9_11use_defaultEEEiNS9_4plusIvEEiEEDaPvRmT3_T4_T5_mT6_P12ihipStream_tbENKUlT_T0_E_clISt17integral_constantIbLb1EESX_EEDaSS_ST_EUlSS_E_NS1_11comp_targetILNS1_3genE2ELNS1_11target_archE906ELNS1_3gpuE6ELNS1_3repE0EEENS1_30default_config_static_selectorELNS0_4arch9wavefront6targetE1EEEvT1_
	.globl	_ZN7rocprim17ROCPRIM_400000_NS6detail17trampoline_kernelINS0_14default_configENS1_20scan_config_selectorIiEEZZNS1_9scan_implILNS1_25lookback_scan_determinismE0ELb0ELb0ES3_N6thrust23THRUST_200600_302600_NS6detail15normal_iteratorINS9_10device_ptrIiEEEENS9_16discard_iteratorINS9_11use_defaultEEEiNS9_4plusIvEEiEEDaPvRmT3_T4_T5_mT6_P12ihipStream_tbENKUlT_T0_E_clISt17integral_constantIbLb1EESX_EEDaSS_ST_EUlSS_E_NS1_11comp_targetILNS1_3genE2ELNS1_11target_archE906ELNS1_3gpuE6ELNS1_3repE0EEENS1_30default_config_static_selectorELNS0_4arch9wavefront6targetE1EEEvT1_
	.p2align	8
	.type	_ZN7rocprim17ROCPRIM_400000_NS6detail17trampoline_kernelINS0_14default_configENS1_20scan_config_selectorIiEEZZNS1_9scan_implILNS1_25lookback_scan_determinismE0ELb0ELb0ES3_N6thrust23THRUST_200600_302600_NS6detail15normal_iteratorINS9_10device_ptrIiEEEENS9_16discard_iteratorINS9_11use_defaultEEEiNS9_4plusIvEEiEEDaPvRmT3_T4_T5_mT6_P12ihipStream_tbENKUlT_T0_E_clISt17integral_constantIbLb1EESX_EEDaSS_ST_EUlSS_E_NS1_11comp_targetILNS1_3genE2ELNS1_11target_archE906ELNS1_3gpuE6ELNS1_3repE0EEENS1_30default_config_static_selectorELNS0_4arch9wavefront6targetE1EEEvT1_,@function
_ZN7rocprim17ROCPRIM_400000_NS6detail17trampoline_kernelINS0_14default_configENS1_20scan_config_selectorIiEEZZNS1_9scan_implILNS1_25lookback_scan_determinismE0ELb0ELb0ES3_N6thrust23THRUST_200600_302600_NS6detail15normal_iteratorINS9_10device_ptrIiEEEENS9_16discard_iteratorINS9_11use_defaultEEEiNS9_4plusIvEEiEEDaPvRmT3_T4_T5_mT6_P12ihipStream_tbENKUlT_T0_E_clISt17integral_constantIbLb1EESX_EEDaSS_ST_EUlSS_E_NS1_11comp_targetILNS1_3genE2ELNS1_11target_archE906ELNS1_3gpuE6ELNS1_3repE0EEENS1_30default_config_static_selectorELNS0_4arch9wavefront6targetE1EEEvT1_: ; @_ZN7rocprim17ROCPRIM_400000_NS6detail17trampoline_kernelINS0_14default_configENS1_20scan_config_selectorIiEEZZNS1_9scan_implILNS1_25lookback_scan_determinismE0ELb0ELb0ES3_N6thrust23THRUST_200600_302600_NS6detail15normal_iteratorINS9_10device_ptrIiEEEENS9_16discard_iteratorINS9_11use_defaultEEEiNS9_4plusIvEEiEEDaPvRmT3_T4_T5_mT6_P12ihipStream_tbENKUlT_T0_E_clISt17integral_constantIbLb1EESX_EEDaSS_ST_EUlSS_E_NS1_11comp_targetILNS1_3genE2ELNS1_11target_archE906ELNS1_3gpuE6ELNS1_3repE0EEENS1_30default_config_static_selectorELNS0_4arch9wavefront6targetE1EEEvT1_
; %bb.0:
	.section	.rodata,"a",@progbits
	.p2align	6, 0x0
	.amdhsa_kernel _ZN7rocprim17ROCPRIM_400000_NS6detail17trampoline_kernelINS0_14default_configENS1_20scan_config_selectorIiEEZZNS1_9scan_implILNS1_25lookback_scan_determinismE0ELb0ELb0ES3_N6thrust23THRUST_200600_302600_NS6detail15normal_iteratorINS9_10device_ptrIiEEEENS9_16discard_iteratorINS9_11use_defaultEEEiNS9_4plusIvEEiEEDaPvRmT3_T4_T5_mT6_P12ihipStream_tbENKUlT_T0_E_clISt17integral_constantIbLb1EESX_EEDaSS_ST_EUlSS_E_NS1_11comp_targetILNS1_3genE2ELNS1_11target_archE906ELNS1_3gpuE6ELNS1_3repE0EEENS1_30default_config_static_selectorELNS0_4arch9wavefront6targetE1EEEvT1_
		.amdhsa_group_segment_fixed_size 0
		.amdhsa_private_segment_fixed_size 0
		.amdhsa_kernarg_size 104
		.amdhsa_user_sgpr_count 6
		.amdhsa_user_sgpr_private_segment_buffer 1
		.amdhsa_user_sgpr_dispatch_ptr 0
		.amdhsa_user_sgpr_queue_ptr 0
		.amdhsa_user_sgpr_kernarg_segment_ptr 1
		.amdhsa_user_sgpr_dispatch_id 0
		.amdhsa_user_sgpr_flat_scratch_init 0
		.amdhsa_user_sgpr_kernarg_preload_length 0
		.amdhsa_user_sgpr_kernarg_preload_offset 0
		.amdhsa_user_sgpr_private_segment_size 0
		.amdhsa_uses_dynamic_stack 0
		.amdhsa_system_sgpr_private_segment_wavefront_offset 0
		.amdhsa_system_sgpr_workgroup_id_x 1
		.amdhsa_system_sgpr_workgroup_id_y 0
		.amdhsa_system_sgpr_workgroup_id_z 0
		.amdhsa_system_sgpr_workgroup_info 0
		.amdhsa_system_vgpr_workitem_id 0
		.amdhsa_next_free_vgpr 1
		.amdhsa_next_free_sgpr 0
		.amdhsa_accum_offset 4
		.amdhsa_reserve_vcc 0
		.amdhsa_reserve_flat_scratch 0
		.amdhsa_float_round_mode_32 0
		.amdhsa_float_round_mode_16_64 0
		.amdhsa_float_denorm_mode_32 3
		.amdhsa_float_denorm_mode_16_64 3
		.amdhsa_dx10_clamp 1
		.amdhsa_ieee_mode 1
		.amdhsa_fp16_overflow 0
		.amdhsa_tg_split 0
		.amdhsa_exception_fp_ieee_invalid_op 0
		.amdhsa_exception_fp_denorm_src 0
		.amdhsa_exception_fp_ieee_div_zero 0
		.amdhsa_exception_fp_ieee_overflow 0
		.amdhsa_exception_fp_ieee_underflow 0
		.amdhsa_exception_fp_ieee_inexact 0
		.amdhsa_exception_int_div_zero 0
	.end_amdhsa_kernel
	.section	.text._ZN7rocprim17ROCPRIM_400000_NS6detail17trampoline_kernelINS0_14default_configENS1_20scan_config_selectorIiEEZZNS1_9scan_implILNS1_25lookback_scan_determinismE0ELb0ELb0ES3_N6thrust23THRUST_200600_302600_NS6detail15normal_iteratorINS9_10device_ptrIiEEEENS9_16discard_iteratorINS9_11use_defaultEEEiNS9_4plusIvEEiEEDaPvRmT3_T4_T5_mT6_P12ihipStream_tbENKUlT_T0_E_clISt17integral_constantIbLb1EESX_EEDaSS_ST_EUlSS_E_NS1_11comp_targetILNS1_3genE2ELNS1_11target_archE906ELNS1_3gpuE6ELNS1_3repE0EEENS1_30default_config_static_selectorELNS0_4arch9wavefront6targetE1EEEvT1_,"axG",@progbits,_ZN7rocprim17ROCPRIM_400000_NS6detail17trampoline_kernelINS0_14default_configENS1_20scan_config_selectorIiEEZZNS1_9scan_implILNS1_25lookback_scan_determinismE0ELb0ELb0ES3_N6thrust23THRUST_200600_302600_NS6detail15normal_iteratorINS9_10device_ptrIiEEEENS9_16discard_iteratorINS9_11use_defaultEEEiNS9_4plusIvEEiEEDaPvRmT3_T4_T5_mT6_P12ihipStream_tbENKUlT_T0_E_clISt17integral_constantIbLb1EESX_EEDaSS_ST_EUlSS_E_NS1_11comp_targetILNS1_3genE2ELNS1_11target_archE906ELNS1_3gpuE6ELNS1_3repE0EEENS1_30default_config_static_selectorELNS0_4arch9wavefront6targetE1EEEvT1_,comdat
.Lfunc_end5748:
	.size	_ZN7rocprim17ROCPRIM_400000_NS6detail17trampoline_kernelINS0_14default_configENS1_20scan_config_selectorIiEEZZNS1_9scan_implILNS1_25lookback_scan_determinismE0ELb0ELb0ES3_N6thrust23THRUST_200600_302600_NS6detail15normal_iteratorINS9_10device_ptrIiEEEENS9_16discard_iteratorINS9_11use_defaultEEEiNS9_4plusIvEEiEEDaPvRmT3_T4_T5_mT6_P12ihipStream_tbENKUlT_T0_E_clISt17integral_constantIbLb1EESX_EEDaSS_ST_EUlSS_E_NS1_11comp_targetILNS1_3genE2ELNS1_11target_archE906ELNS1_3gpuE6ELNS1_3repE0EEENS1_30default_config_static_selectorELNS0_4arch9wavefront6targetE1EEEvT1_, .Lfunc_end5748-_ZN7rocprim17ROCPRIM_400000_NS6detail17trampoline_kernelINS0_14default_configENS1_20scan_config_selectorIiEEZZNS1_9scan_implILNS1_25lookback_scan_determinismE0ELb0ELb0ES3_N6thrust23THRUST_200600_302600_NS6detail15normal_iteratorINS9_10device_ptrIiEEEENS9_16discard_iteratorINS9_11use_defaultEEEiNS9_4plusIvEEiEEDaPvRmT3_T4_T5_mT6_P12ihipStream_tbENKUlT_T0_E_clISt17integral_constantIbLb1EESX_EEDaSS_ST_EUlSS_E_NS1_11comp_targetILNS1_3genE2ELNS1_11target_archE906ELNS1_3gpuE6ELNS1_3repE0EEENS1_30default_config_static_selectorELNS0_4arch9wavefront6targetE1EEEvT1_
                                        ; -- End function
	.section	.AMDGPU.csdata,"",@progbits
; Kernel info:
; codeLenInByte = 0
; NumSgprs: 4
; NumVgprs: 0
; NumAgprs: 0
; TotalNumVgprs: 0
; ScratchSize: 0
; MemoryBound: 0
; FloatMode: 240
; IeeeMode: 1
; LDSByteSize: 0 bytes/workgroup (compile time only)
; SGPRBlocks: 0
; VGPRBlocks: 0
; NumSGPRsForWavesPerEU: 4
; NumVGPRsForWavesPerEU: 1
; AccumOffset: 4
; Occupancy: 8
; WaveLimiterHint : 0
; COMPUTE_PGM_RSRC2:SCRATCH_EN: 0
; COMPUTE_PGM_RSRC2:USER_SGPR: 6
; COMPUTE_PGM_RSRC2:TRAP_HANDLER: 0
; COMPUTE_PGM_RSRC2:TGID_X_EN: 1
; COMPUTE_PGM_RSRC2:TGID_Y_EN: 0
; COMPUTE_PGM_RSRC2:TGID_Z_EN: 0
; COMPUTE_PGM_RSRC2:TIDIG_COMP_CNT: 0
; COMPUTE_PGM_RSRC3_GFX90A:ACCUM_OFFSET: 0
; COMPUTE_PGM_RSRC3_GFX90A:TG_SPLIT: 0
	.section	.text._ZN7rocprim17ROCPRIM_400000_NS6detail17trampoline_kernelINS0_14default_configENS1_20scan_config_selectorIiEEZZNS1_9scan_implILNS1_25lookback_scan_determinismE0ELb0ELb0ES3_N6thrust23THRUST_200600_302600_NS6detail15normal_iteratorINS9_10device_ptrIiEEEENS9_16discard_iteratorINS9_11use_defaultEEEiNS9_4plusIvEEiEEDaPvRmT3_T4_T5_mT6_P12ihipStream_tbENKUlT_T0_E_clISt17integral_constantIbLb1EESX_EEDaSS_ST_EUlSS_E_NS1_11comp_targetILNS1_3genE10ELNS1_11target_archE1201ELNS1_3gpuE5ELNS1_3repE0EEENS1_30default_config_static_selectorELNS0_4arch9wavefront6targetE1EEEvT1_,"axG",@progbits,_ZN7rocprim17ROCPRIM_400000_NS6detail17trampoline_kernelINS0_14default_configENS1_20scan_config_selectorIiEEZZNS1_9scan_implILNS1_25lookback_scan_determinismE0ELb0ELb0ES3_N6thrust23THRUST_200600_302600_NS6detail15normal_iteratorINS9_10device_ptrIiEEEENS9_16discard_iteratorINS9_11use_defaultEEEiNS9_4plusIvEEiEEDaPvRmT3_T4_T5_mT6_P12ihipStream_tbENKUlT_T0_E_clISt17integral_constantIbLb1EESX_EEDaSS_ST_EUlSS_E_NS1_11comp_targetILNS1_3genE10ELNS1_11target_archE1201ELNS1_3gpuE5ELNS1_3repE0EEENS1_30default_config_static_selectorELNS0_4arch9wavefront6targetE1EEEvT1_,comdat
	.protected	_ZN7rocprim17ROCPRIM_400000_NS6detail17trampoline_kernelINS0_14default_configENS1_20scan_config_selectorIiEEZZNS1_9scan_implILNS1_25lookback_scan_determinismE0ELb0ELb0ES3_N6thrust23THRUST_200600_302600_NS6detail15normal_iteratorINS9_10device_ptrIiEEEENS9_16discard_iteratorINS9_11use_defaultEEEiNS9_4plusIvEEiEEDaPvRmT3_T4_T5_mT6_P12ihipStream_tbENKUlT_T0_E_clISt17integral_constantIbLb1EESX_EEDaSS_ST_EUlSS_E_NS1_11comp_targetILNS1_3genE10ELNS1_11target_archE1201ELNS1_3gpuE5ELNS1_3repE0EEENS1_30default_config_static_selectorELNS0_4arch9wavefront6targetE1EEEvT1_ ; -- Begin function _ZN7rocprim17ROCPRIM_400000_NS6detail17trampoline_kernelINS0_14default_configENS1_20scan_config_selectorIiEEZZNS1_9scan_implILNS1_25lookback_scan_determinismE0ELb0ELb0ES3_N6thrust23THRUST_200600_302600_NS6detail15normal_iteratorINS9_10device_ptrIiEEEENS9_16discard_iteratorINS9_11use_defaultEEEiNS9_4plusIvEEiEEDaPvRmT3_T4_T5_mT6_P12ihipStream_tbENKUlT_T0_E_clISt17integral_constantIbLb1EESX_EEDaSS_ST_EUlSS_E_NS1_11comp_targetILNS1_3genE10ELNS1_11target_archE1201ELNS1_3gpuE5ELNS1_3repE0EEENS1_30default_config_static_selectorELNS0_4arch9wavefront6targetE1EEEvT1_
	.globl	_ZN7rocprim17ROCPRIM_400000_NS6detail17trampoline_kernelINS0_14default_configENS1_20scan_config_selectorIiEEZZNS1_9scan_implILNS1_25lookback_scan_determinismE0ELb0ELb0ES3_N6thrust23THRUST_200600_302600_NS6detail15normal_iteratorINS9_10device_ptrIiEEEENS9_16discard_iteratorINS9_11use_defaultEEEiNS9_4plusIvEEiEEDaPvRmT3_T4_T5_mT6_P12ihipStream_tbENKUlT_T0_E_clISt17integral_constantIbLb1EESX_EEDaSS_ST_EUlSS_E_NS1_11comp_targetILNS1_3genE10ELNS1_11target_archE1201ELNS1_3gpuE5ELNS1_3repE0EEENS1_30default_config_static_selectorELNS0_4arch9wavefront6targetE1EEEvT1_
	.p2align	8
	.type	_ZN7rocprim17ROCPRIM_400000_NS6detail17trampoline_kernelINS0_14default_configENS1_20scan_config_selectorIiEEZZNS1_9scan_implILNS1_25lookback_scan_determinismE0ELb0ELb0ES3_N6thrust23THRUST_200600_302600_NS6detail15normal_iteratorINS9_10device_ptrIiEEEENS9_16discard_iteratorINS9_11use_defaultEEEiNS9_4plusIvEEiEEDaPvRmT3_T4_T5_mT6_P12ihipStream_tbENKUlT_T0_E_clISt17integral_constantIbLb1EESX_EEDaSS_ST_EUlSS_E_NS1_11comp_targetILNS1_3genE10ELNS1_11target_archE1201ELNS1_3gpuE5ELNS1_3repE0EEENS1_30default_config_static_selectorELNS0_4arch9wavefront6targetE1EEEvT1_,@function
_ZN7rocprim17ROCPRIM_400000_NS6detail17trampoline_kernelINS0_14default_configENS1_20scan_config_selectorIiEEZZNS1_9scan_implILNS1_25lookback_scan_determinismE0ELb0ELb0ES3_N6thrust23THRUST_200600_302600_NS6detail15normal_iteratorINS9_10device_ptrIiEEEENS9_16discard_iteratorINS9_11use_defaultEEEiNS9_4plusIvEEiEEDaPvRmT3_T4_T5_mT6_P12ihipStream_tbENKUlT_T0_E_clISt17integral_constantIbLb1EESX_EEDaSS_ST_EUlSS_E_NS1_11comp_targetILNS1_3genE10ELNS1_11target_archE1201ELNS1_3gpuE5ELNS1_3repE0EEENS1_30default_config_static_selectorELNS0_4arch9wavefront6targetE1EEEvT1_: ; @_ZN7rocprim17ROCPRIM_400000_NS6detail17trampoline_kernelINS0_14default_configENS1_20scan_config_selectorIiEEZZNS1_9scan_implILNS1_25lookback_scan_determinismE0ELb0ELb0ES3_N6thrust23THRUST_200600_302600_NS6detail15normal_iteratorINS9_10device_ptrIiEEEENS9_16discard_iteratorINS9_11use_defaultEEEiNS9_4plusIvEEiEEDaPvRmT3_T4_T5_mT6_P12ihipStream_tbENKUlT_T0_E_clISt17integral_constantIbLb1EESX_EEDaSS_ST_EUlSS_E_NS1_11comp_targetILNS1_3genE10ELNS1_11target_archE1201ELNS1_3gpuE5ELNS1_3repE0EEENS1_30default_config_static_selectorELNS0_4arch9wavefront6targetE1EEEvT1_
; %bb.0:
	.section	.rodata,"a",@progbits
	.p2align	6, 0x0
	.amdhsa_kernel _ZN7rocprim17ROCPRIM_400000_NS6detail17trampoline_kernelINS0_14default_configENS1_20scan_config_selectorIiEEZZNS1_9scan_implILNS1_25lookback_scan_determinismE0ELb0ELb0ES3_N6thrust23THRUST_200600_302600_NS6detail15normal_iteratorINS9_10device_ptrIiEEEENS9_16discard_iteratorINS9_11use_defaultEEEiNS9_4plusIvEEiEEDaPvRmT3_T4_T5_mT6_P12ihipStream_tbENKUlT_T0_E_clISt17integral_constantIbLb1EESX_EEDaSS_ST_EUlSS_E_NS1_11comp_targetILNS1_3genE10ELNS1_11target_archE1201ELNS1_3gpuE5ELNS1_3repE0EEENS1_30default_config_static_selectorELNS0_4arch9wavefront6targetE1EEEvT1_
		.amdhsa_group_segment_fixed_size 0
		.amdhsa_private_segment_fixed_size 0
		.amdhsa_kernarg_size 104
		.amdhsa_user_sgpr_count 6
		.amdhsa_user_sgpr_private_segment_buffer 1
		.amdhsa_user_sgpr_dispatch_ptr 0
		.amdhsa_user_sgpr_queue_ptr 0
		.amdhsa_user_sgpr_kernarg_segment_ptr 1
		.amdhsa_user_sgpr_dispatch_id 0
		.amdhsa_user_sgpr_flat_scratch_init 0
		.amdhsa_user_sgpr_kernarg_preload_length 0
		.amdhsa_user_sgpr_kernarg_preload_offset 0
		.amdhsa_user_sgpr_private_segment_size 0
		.amdhsa_uses_dynamic_stack 0
		.amdhsa_system_sgpr_private_segment_wavefront_offset 0
		.amdhsa_system_sgpr_workgroup_id_x 1
		.amdhsa_system_sgpr_workgroup_id_y 0
		.amdhsa_system_sgpr_workgroup_id_z 0
		.amdhsa_system_sgpr_workgroup_info 0
		.amdhsa_system_vgpr_workitem_id 0
		.amdhsa_next_free_vgpr 1
		.amdhsa_next_free_sgpr 0
		.amdhsa_accum_offset 4
		.amdhsa_reserve_vcc 0
		.amdhsa_reserve_flat_scratch 0
		.amdhsa_float_round_mode_32 0
		.amdhsa_float_round_mode_16_64 0
		.amdhsa_float_denorm_mode_32 3
		.amdhsa_float_denorm_mode_16_64 3
		.amdhsa_dx10_clamp 1
		.amdhsa_ieee_mode 1
		.amdhsa_fp16_overflow 0
		.amdhsa_tg_split 0
		.amdhsa_exception_fp_ieee_invalid_op 0
		.amdhsa_exception_fp_denorm_src 0
		.amdhsa_exception_fp_ieee_div_zero 0
		.amdhsa_exception_fp_ieee_overflow 0
		.amdhsa_exception_fp_ieee_underflow 0
		.amdhsa_exception_fp_ieee_inexact 0
		.amdhsa_exception_int_div_zero 0
	.end_amdhsa_kernel
	.section	.text._ZN7rocprim17ROCPRIM_400000_NS6detail17trampoline_kernelINS0_14default_configENS1_20scan_config_selectorIiEEZZNS1_9scan_implILNS1_25lookback_scan_determinismE0ELb0ELb0ES3_N6thrust23THRUST_200600_302600_NS6detail15normal_iteratorINS9_10device_ptrIiEEEENS9_16discard_iteratorINS9_11use_defaultEEEiNS9_4plusIvEEiEEDaPvRmT3_T4_T5_mT6_P12ihipStream_tbENKUlT_T0_E_clISt17integral_constantIbLb1EESX_EEDaSS_ST_EUlSS_E_NS1_11comp_targetILNS1_3genE10ELNS1_11target_archE1201ELNS1_3gpuE5ELNS1_3repE0EEENS1_30default_config_static_selectorELNS0_4arch9wavefront6targetE1EEEvT1_,"axG",@progbits,_ZN7rocprim17ROCPRIM_400000_NS6detail17trampoline_kernelINS0_14default_configENS1_20scan_config_selectorIiEEZZNS1_9scan_implILNS1_25lookback_scan_determinismE0ELb0ELb0ES3_N6thrust23THRUST_200600_302600_NS6detail15normal_iteratorINS9_10device_ptrIiEEEENS9_16discard_iteratorINS9_11use_defaultEEEiNS9_4plusIvEEiEEDaPvRmT3_T4_T5_mT6_P12ihipStream_tbENKUlT_T0_E_clISt17integral_constantIbLb1EESX_EEDaSS_ST_EUlSS_E_NS1_11comp_targetILNS1_3genE10ELNS1_11target_archE1201ELNS1_3gpuE5ELNS1_3repE0EEENS1_30default_config_static_selectorELNS0_4arch9wavefront6targetE1EEEvT1_,comdat
.Lfunc_end5749:
	.size	_ZN7rocprim17ROCPRIM_400000_NS6detail17trampoline_kernelINS0_14default_configENS1_20scan_config_selectorIiEEZZNS1_9scan_implILNS1_25lookback_scan_determinismE0ELb0ELb0ES3_N6thrust23THRUST_200600_302600_NS6detail15normal_iteratorINS9_10device_ptrIiEEEENS9_16discard_iteratorINS9_11use_defaultEEEiNS9_4plusIvEEiEEDaPvRmT3_T4_T5_mT6_P12ihipStream_tbENKUlT_T0_E_clISt17integral_constantIbLb1EESX_EEDaSS_ST_EUlSS_E_NS1_11comp_targetILNS1_3genE10ELNS1_11target_archE1201ELNS1_3gpuE5ELNS1_3repE0EEENS1_30default_config_static_selectorELNS0_4arch9wavefront6targetE1EEEvT1_, .Lfunc_end5749-_ZN7rocprim17ROCPRIM_400000_NS6detail17trampoline_kernelINS0_14default_configENS1_20scan_config_selectorIiEEZZNS1_9scan_implILNS1_25lookback_scan_determinismE0ELb0ELb0ES3_N6thrust23THRUST_200600_302600_NS6detail15normal_iteratorINS9_10device_ptrIiEEEENS9_16discard_iteratorINS9_11use_defaultEEEiNS9_4plusIvEEiEEDaPvRmT3_T4_T5_mT6_P12ihipStream_tbENKUlT_T0_E_clISt17integral_constantIbLb1EESX_EEDaSS_ST_EUlSS_E_NS1_11comp_targetILNS1_3genE10ELNS1_11target_archE1201ELNS1_3gpuE5ELNS1_3repE0EEENS1_30default_config_static_selectorELNS0_4arch9wavefront6targetE1EEEvT1_
                                        ; -- End function
	.section	.AMDGPU.csdata,"",@progbits
; Kernel info:
; codeLenInByte = 0
; NumSgprs: 4
; NumVgprs: 0
; NumAgprs: 0
; TotalNumVgprs: 0
; ScratchSize: 0
; MemoryBound: 0
; FloatMode: 240
; IeeeMode: 1
; LDSByteSize: 0 bytes/workgroup (compile time only)
; SGPRBlocks: 0
; VGPRBlocks: 0
; NumSGPRsForWavesPerEU: 4
; NumVGPRsForWavesPerEU: 1
; AccumOffset: 4
; Occupancy: 8
; WaveLimiterHint : 0
; COMPUTE_PGM_RSRC2:SCRATCH_EN: 0
; COMPUTE_PGM_RSRC2:USER_SGPR: 6
; COMPUTE_PGM_RSRC2:TRAP_HANDLER: 0
; COMPUTE_PGM_RSRC2:TGID_X_EN: 1
; COMPUTE_PGM_RSRC2:TGID_Y_EN: 0
; COMPUTE_PGM_RSRC2:TGID_Z_EN: 0
; COMPUTE_PGM_RSRC2:TIDIG_COMP_CNT: 0
; COMPUTE_PGM_RSRC3_GFX90A:ACCUM_OFFSET: 0
; COMPUTE_PGM_RSRC3_GFX90A:TG_SPLIT: 0
	.section	.text._ZN7rocprim17ROCPRIM_400000_NS6detail17trampoline_kernelINS0_14default_configENS1_20scan_config_selectorIiEEZZNS1_9scan_implILNS1_25lookback_scan_determinismE0ELb0ELb0ES3_N6thrust23THRUST_200600_302600_NS6detail15normal_iteratorINS9_10device_ptrIiEEEENS9_16discard_iteratorINS9_11use_defaultEEEiNS9_4plusIvEEiEEDaPvRmT3_T4_T5_mT6_P12ihipStream_tbENKUlT_T0_E_clISt17integral_constantIbLb1EESX_EEDaSS_ST_EUlSS_E_NS1_11comp_targetILNS1_3genE10ELNS1_11target_archE1200ELNS1_3gpuE4ELNS1_3repE0EEENS1_30default_config_static_selectorELNS0_4arch9wavefront6targetE1EEEvT1_,"axG",@progbits,_ZN7rocprim17ROCPRIM_400000_NS6detail17trampoline_kernelINS0_14default_configENS1_20scan_config_selectorIiEEZZNS1_9scan_implILNS1_25lookback_scan_determinismE0ELb0ELb0ES3_N6thrust23THRUST_200600_302600_NS6detail15normal_iteratorINS9_10device_ptrIiEEEENS9_16discard_iteratorINS9_11use_defaultEEEiNS9_4plusIvEEiEEDaPvRmT3_T4_T5_mT6_P12ihipStream_tbENKUlT_T0_E_clISt17integral_constantIbLb1EESX_EEDaSS_ST_EUlSS_E_NS1_11comp_targetILNS1_3genE10ELNS1_11target_archE1200ELNS1_3gpuE4ELNS1_3repE0EEENS1_30default_config_static_selectorELNS0_4arch9wavefront6targetE1EEEvT1_,comdat
	.protected	_ZN7rocprim17ROCPRIM_400000_NS6detail17trampoline_kernelINS0_14default_configENS1_20scan_config_selectorIiEEZZNS1_9scan_implILNS1_25lookback_scan_determinismE0ELb0ELb0ES3_N6thrust23THRUST_200600_302600_NS6detail15normal_iteratorINS9_10device_ptrIiEEEENS9_16discard_iteratorINS9_11use_defaultEEEiNS9_4plusIvEEiEEDaPvRmT3_T4_T5_mT6_P12ihipStream_tbENKUlT_T0_E_clISt17integral_constantIbLb1EESX_EEDaSS_ST_EUlSS_E_NS1_11comp_targetILNS1_3genE10ELNS1_11target_archE1200ELNS1_3gpuE4ELNS1_3repE0EEENS1_30default_config_static_selectorELNS0_4arch9wavefront6targetE1EEEvT1_ ; -- Begin function _ZN7rocprim17ROCPRIM_400000_NS6detail17trampoline_kernelINS0_14default_configENS1_20scan_config_selectorIiEEZZNS1_9scan_implILNS1_25lookback_scan_determinismE0ELb0ELb0ES3_N6thrust23THRUST_200600_302600_NS6detail15normal_iteratorINS9_10device_ptrIiEEEENS9_16discard_iteratorINS9_11use_defaultEEEiNS9_4plusIvEEiEEDaPvRmT3_T4_T5_mT6_P12ihipStream_tbENKUlT_T0_E_clISt17integral_constantIbLb1EESX_EEDaSS_ST_EUlSS_E_NS1_11comp_targetILNS1_3genE10ELNS1_11target_archE1200ELNS1_3gpuE4ELNS1_3repE0EEENS1_30default_config_static_selectorELNS0_4arch9wavefront6targetE1EEEvT1_
	.globl	_ZN7rocprim17ROCPRIM_400000_NS6detail17trampoline_kernelINS0_14default_configENS1_20scan_config_selectorIiEEZZNS1_9scan_implILNS1_25lookback_scan_determinismE0ELb0ELb0ES3_N6thrust23THRUST_200600_302600_NS6detail15normal_iteratorINS9_10device_ptrIiEEEENS9_16discard_iteratorINS9_11use_defaultEEEiNS9_4plusIvEEiEEDaPvRmT3_T4_T5_mT6_P12ihipStream_tbENKUlT_T0_E_clISt17integral_constantIbLb1EESX_EEDaSS_ST_EUlSS_E_NS1_11comp_targetILNS1_3genE10ELNS1_11target_archE1200ELNS1_3gpuE4ELNS1_3repE0EEENS1_30default_config_static_selectorELNS0_4arch9wavefront6targetE1EEEvT1_
	.p2align	8
	.type	_ZN7rocprim17ROCPRIM_400000_NS6detail17trampoline_kernelINS0_14default_configENS1_20scan_config_selectorIiEEZZNS1_9scan_implILNS1_25lookback_scan_determinismE0ELb0ELb0ES3_N6thrust23THRUST_200600_302600_NS6detail15normal_iteratorINS9_10device_ptrIiEEEENS9_16discard_iteratorINS9_11use_defaultEEEiNS9_4plusIvEEiEEDaPvRmT3_T4_T5_mT6_P12ihipStream_tbENKUlT_T0_E_clISt17integral_constantIbLb1EESX_EEDaSS_ST_EUlSS_E_NS1_11comp_targetILNS1_3genE10ELNS1_11target_archE1200ELNS1_3gpuE4ELNS1_3repE0EEENS1_30default_config_static_selectorELNS0_4arch9wavefront6targetE1EEEvT1_,@function
_ZN7rocprim17ROCPRIM_400000_NS6detail17trampoline_kernelINS0_14default_configENS1_20scan_config_selectorIiEEZZNS1_9scan_implILNS1_25lookback_scan_determinismE0ELb0ELb0ES3_N6thrust23THRUST_200600_302600_NS6detail15normal_iteratorINS9_10device_ptrIiEEEENS9_16discard_iteratorINS9_11use_defaultEEEiNS9_4plusIvEEiEEDaPvRmT3_T4_T5_mT6_P12ihipStream_tbENKUlT_T0_E_clISt17integral_constantIbLb1EESX_EEDaSS_ST_EUlSS_E_NS1_11comp_targetILNS1_3genE10ELNS1_11target_archE1200ELNS1_3gpuE4ELNS1_3repE0EEENS1_30default_config_static_selectorELNS0_4arch9wavefront6targetE1EEEvT1_: ; @_ZN7rocprim17ROCPRIM_400000_NS6detail17trampoline_kernelINS0_14default_configENS1_20scan_config_selectorIiEEZZNS1_9scan_implILNS1_25lookback_scan_determinismE0ELb0ELb0ES3_N6thrust23THRUST_200600_302600_NS6detail15normal_iteratorINS9_10device_ptrIiEEEENS9_16discard_iteratorINS9_11use_defaultEEEiNS9_4plusIvEEiEEDaPvRmT3_T4_T5_mT6_P12ihipStream_tbENKUlT_T0_E_clISt17integral_constantIbLb1EESX_EEDaSS_ST_EUlSS_E_NS1_11comp_targetILNS1_3genE10ELNS1_11target_archE1200ELNS1_3gpuE4ELNS1_3repE0EEENS1_30default_config_static_selectorELNS0_4arch9wavefront6targetE1EEEvT1_
; %bb.0:
	.section	.rodata,"a",@progbits
	.p2align	6, 0x0
	.amdhsa_kernel _ZN7rocprim17ROCPRIM_400000_NS6detail17trampoline_kernelINS0_14default_configENS1_20scan_config_selectorIiEEZZNS1_9scan_implILNS1_25lookback_scan_determinismE0ELb0ELb0ES3_N6thrust23THRUST_200600_302600_NS6detail15normal_iteratorINS9_10device_ptrIiEEEENS9_16discard_iteratorINS9_11use_defaultEEEiNS9_4plusIvEEiEEDaPvRmT3_T4_T5_mT6_P12ihipStream_tbENKUlT_T0_E_clISt17integral_constantIbLb1EESX_EEDaSS_ST_EUlSS_E_NS1_11comp_targetILNS1_3genE10ELNS1_11target_archE1200ELNS1_3gpuE4ELNS1_3repE0EEENS1_30default_config_static_selectorELNS0_4arch9wavefront6targetE1EEEvT1_
		.amdhsa_group_segment_fixed_size 0
		.amdhsa_private_segment_fixed_size 0
		.amdhsa_kernarg_size 104
		.amdhsa_user_sgpr_count 6
		.amdhsa_user_sgpr_private_segment_buffer 1
		.amdhsa_user_sgpr_dispatch_ptr 0
		.amdhsa_user_sgpr_queue_ptr 0
		.amdhsa_user_sgpr_kernarg_segment_ptr 1
		.amdhsa_user_sgpr_dispatch_id 0
		.amdhsa_user_sgpr_flat_scratch_init 0
		.amdhsa_user_sgpr_kernarg_preload_length 0
		.amdhsa_user_sgpr_kernarg_preload_offset 0
		.amdhsa_user_sgpr_private_segment_size 0
		.amdhsa_uses_dynamic_stack 0
		.amdhsa_system_sgpr_private_segment_wavefront_offset 0
		.amdhsa_system_sgpr_workgroup_id_x 1
		.amdhsa_system_sgpr_workgroup_id_y 0
		.amdhsa_system_sgpr_workgroup_id_z 0
		.amdhsa_system_sgpr_workgroup_info 0
		.amdhsa_system_vgpr_workitem_id 0
		.amdhsa_next_free_vgpr 1
		.amdhsa_next_free_sgpr 0
		.amdhsa_accum_offset 4
		.amdhsa_reserve_vcc 0
		.amdhsa_reserve_flat_scratch 0
		.amdhsa_float_round_mode_32 0
		.amdhsa_float_round_mode_16_64 0
		.amdhsa_float_denorm_mode_32 3
		.amdhsa_float_denorm_mode_16_64 3
		.amdhsa_dx10_clamp 1
		.amdhsa_ieee_mode 1
		.amdhsa_fp16_overflow 0
		.amdhsa_tg_split 0
		.amdhsa_exception_fp_ieee_invalid_op 0
		.amdhsa_exception_fp_denorm_src 0
		.amdhsa_exception_fp_ieee_div_zero 0
		.amdhsa_exception_fp_ieee_overflow 0
		.amdhsa_exception_fp_ieee_underflow 0
		.amdhsa_exception_fp_ieee_inexact 0
		.amdhsa_exception_int_div_zero 0
	.end_amdhsa_kernel
	.section	.text._ZN7rocprim17ROCPRIM_400000_NS6detail17trampoline_kernelINS0_14default_configENS1_20scan_config_selectorIiEEZZNS1_9scan_implILNS1_25lookback_scan_determinismE0ELb0ELb0ES3_N6thrust23THRUST_200600_302600_NS6detail15normal_iteratorINS9_10device_ptrIiEEEENS9_16discard_iteratorINS9_11use_defaultEEEiNS9_4plusIvEEiEEDaPvRmT3_T4_T5_mT6_P12ihipStream_tbENKUlT_T0_E_clISt17integral_constantIbLb1EESX_EEDaSS_ST_EUlSS_E_NS1_11comp_targetILNS1_3genE10ELNS1_11target_archE1200ELNS1_3gpuE4ELNS1_3repE0EEENS1_30default_config_static_selectorELNS0_4arch9wavefront6targetE1EEEvT1_,"axG",@progbits,_ZN7rocprim17ROCPRIM_400000_NS6detail17trampoline_kernelINS0_14default_configENS1_20scan_config_selectorIiEEZZNS1_9scan_implILNS1_25lookback_scan_determinismE0ELb0ELb0ES3_N6thrust23THRUST_200600_302600_NS6detail15normal_iteratorINS9_10device_ptrIiEEEENS9_16discard_iteratorINS9_11use_defaultEEEiNS9_4plusIvEEiEEDaPvRmT3_T4_T5_mT6_P12ihipStream_tbENKUlT_T0_E_clISt17integral_constantIbLb1EESX_EEDaSS_ST_EUlSS_E_NS1_11comp_targetILNS1_3genE10ELNS1_11target_archE1200ELNS1_3gpuE4ELNS1_3repE0EEENS1_30default_config_static_selectorELNS0_4arch9wavefront6targetE1EEEvT1_,comdat
.Lfunc_end5750:
	.size	_ZN7rocprim17ROCPRIM_400000_NS6detail17trampoline_kernelINS0_14default_configENS1_20scan_config_selectorIiEEZZNS1_9scan_implILNS1_25lookback_scan_determinismE0ELb0ELb0ES3_N6thrust23THRUST_200600_302600_NS6detail15normal_iteratorINS9_10device_ptrIiEEEENS9_16discard_iteratorINS9_11use_defaultEEEiNS9_4plusIvEEiEEDaPvRmT3_T4_T5_mT6_P12ihipStream_tbENKUlT_T0_E_clISt17integral_constantIbLb1EESX_EEDaSS_ST_EUlSS_E_NS1_11comp_targetILNS1_3genE10ELNS1_11target_archE1200ELNS1_3gpuE4ELNS1_3repE0EEENS1_30default_config_static_selectorELNS0_4arch9wavefront6targetE1EEEvT1_, .Lfunc_end5750-_ZN7rocprim17ROCPRIM_400000_NS6detail17trampoline_kernelINS0_14default_configENS1_20scan_config_selectorIiEEZZNS1_9scan_implILNS1_25lookback_scan_determinismE0ELb0ELb0ES3_N6thrust23THRUST_200600_302600_NS6detail15normal_iteratorINS9_10device_ptrIiEEEENS9_16discard_iteratorINS9_11use_defaultEEEiNS9_4plusIvEEiEEDaPvRmT3_T4_T5_mT6_P12ihipStream_tbENKUlT_T0_E_clISt17integral_constantIbLb1EESX_EEDaSS_ST_EUlSS_E_NS1_11comp_targetILNS1_3genE10ELNS1_11target_archE1200ELNS1_3gpuE4ELNS1_3repE0EEENS1_30default_config_static_selectorELNS0_4arch9wavefront6targetE1EEEvT1_
                                        ; -- End function
	.section	.AMDGPU.csdata,"",@progbits
; Kernel info:
; codeLenInByte = 0
; NumSgprs: 4
; NumVgprs: 0
; NumAgprs: 0
; TotalNumVgprs: 0
; ScratchSize: 0
; MemoryBound: 0
; FloatMode: 240
; IeeeMode: 1
; LDSByteSize: 0 bytes/workgroup (compile time only)
; SGPRBlocks: 0
; VGPRBlocks: 0
; NumSGPRsForWavesPerEU: 4
; NumVGPRsForWavesPerEU: 1
; AccumOffset: 4
; Occupancy: 8
; WaveLimiterHint : 0
; COMPUTE_PGM_RSRC2:SCRATCH_EN: 0
; COMPUTE_PGM_RSRC2:USER_SGPR: 6
; COMPUTE_PGM_RSRC2:TRAP_HANDLER: 0
; COMPUTE_PGM_RSRC2:TGID_X_EN: 1
; COMPUTE_PGM_RSRC2:TGID_Y_EN: 0
; COMPUTE_PGM_RSRC2:TGID_Z_EN: 0
; COMPUTE_PGM_RSRC2:TIDIG_COMP_CNT: 0
; COMPUTE_PGM_RSRC3_GFX90A:ACCUM_OFFSET: 0
; COMPUTE_PGM_RSRC3_GFX90A:TG_SPLIT: 0
	.section	.text._ZN7rocprim17ROCPRIM_400000_NS6detail17trampoline_kernelINS0_14default_configENS1_20scan_config_selectorIiEEZZNS1_9scan_implILNS1_25lookback_scan_determinismE0ELb0ELb0ES3_N6thrust23THRUST_200600_302600_NS6detail15normal_iteratorINS9_10device_ptrIiEEEENS9_16discard_iteratorINS9_11use_defaultEEEiNS9_4plusIvEEiEEDaPvRmT3_T4_T5_mT6_P12ihipStream_tbENKUlT_T0_E_clISt17integral_constantIbLb1EESX_EEDaSS_ST_EUlSS_E_NS1_11comp_targetILNS1_3genE9ELNS1_11target_archE1100ELNS1_3gpuE3ELNS1_3repE0EEENS1_30default_config_static_selectorELNS0_4arch9wavefront6targetE1EEEvT1_,"axG",@progbits,_ZN7rocprim17ROCPRIM_400000_NS6detail17trampoline_kernelINS0_14default_configENS1_20scan_config_selectorIiEEZZNS1_9scan_implILNS1_25lookback_scan_determinismE0ELb0ELb0ES3_N6thrust23THRUST_200600_302600_NS6detail15normal_iteratorINS9_10device_ptrIiEEEENS9_16discard_iteratorINS9_11use_defaultEEEiNS9_4plusIvEEiEEDaPvRmT3_T4_T5_mT6_P12ihipStream_tbENKUlT_T0_E_clISt17integral_constantIbLb1EESX_EEDaSS_ST_EUlSS_E_NS1_11comp_targetILNS1_3genE9ELNS1_11target_archE1100ELNS1_3gpuE3ELNS1_3repE0EEENS1_30default_config_static_selectorELNS0_4arch9wavefront6targetE1EEEvT1_,comdat
	.protected	_ZN7rocprim17ROCPRIM_400000_NS6detail17trampoline_kernelINS0_14default_configENS1_20scan_config_selectorIiEEZZNS1_9scan_implILNS1_25lookback_scan_determinismE0ELb0ELb0ES3_N6thrust23THRUST_200600_302600_NS6detail15normal_iteratorINS9_10device_ptrIiEEEENS9_16discard_iteratorINS9_11use_defaultEEEiNS9_4plusIvEEiEEDaPvRmT3_T4_T5_mT6_P12ihipStream_tbENKUlT_T0_E_clISt17integral_constantIbLb1EESX_EEDaSS_ST_EUlSS_E_NS1_11comp_targetILNS1_3genE9ELNS1_11target_archE1100ELNS1_3gpuE3ELNS1_3repE0EEENS1_30default_config_static_selectorELNS0_4arch9wavefront6targetE1EEEvT1_ ; -- Begin function _ZN7rocprim17ROCPRIM_400000_NS6detail17trampoline_kernelINS0_14default_configENS1_20scan_config_selectorIiEEZZNS1_9scan_implILNS1_25lookback_scan_determinismE0ELb0ELb0ES3_N6thrust23THRUST_200600_302600_NS6detail15normal_iteratorINS9_10device_ptrIiEEEENS9_16discard_iteratorINS9_11use_defaultEEEiNS9_4plusIvEEiEEDaPvRmT3_T4_T5_mT6_P12ihipStream_tbENKUlT_T0_E_clISt17integral_constantIbLb1EESX_EEDaSS_ST_EUlSS_E_NS1_11comp_targetILNS1_3genE9ELNS1_11target_archE1100ELNS1_3gpuE3ELNS1_3repE0EEENS1_30default_config_static_selectorELNS0_4arch9wavefront6targetE1EEEvT1_
	.globl	_ZN7rocprim17ROCPRIM_400000_NS6detail17trampoline_kernelINS0_14default_configENS1_20scan_config_selectorIiEEZZNS1_9scan_implILNS1_25lookback_scan_determinismE0ELb0ELb0ES3_N6thrust23THRUST_200600_302600_NS6detail15normal_iteratorINS9_10device_ptrIiEEEENS9_16discard_iteratorINS9_11use_defaultEEEiNS9_4plusIvEEiEEDaPvRmT3_T4_T5_mT6_P12ihipStream_tbENKUlT_T0_E_clISt17integral_constantIbLb1EESX_EEDaSS_ST_EUlSS_E_NS1_11comp_targetILNS1_3genE9ELNS1_11target_archE1100ELNS1_3gpuE3ELNS1_3repE0EEENS1_30default_config_static_selectorELNS0_4arch9wavefront6targetE1EEEvT1_
	.p2align	8
	.type	_ZN7rocprim17ROCPRIM_400000_NS6detail17trampoline_kernelINS0_14default_configENS1_20scan_config_selectorIiEEZZNS1_9scan_implILNS1_25lookback_scan_determinismE0ELb0ELb0ES3_N6thrust23THRUST_200600_302600_NS6detail15normal_iteratorINS9_10device_ptrIiEEEENS9_16discard_iteratorINS9_11use_defaultEEEiNS9_4plusIvEEiEEDaPvRmT3_T4_T5_mT6_P12ihipStream_tbENKUlT_T0_E_clISt17integral_constantIbLb1EESX_EEDaSS_ST_EUlSS_E_NS1_11comp_targetILNS1_3genE9ELNS1_11target_archE1100ELNS1_3gpuE3ELNS1_3repE0EEENS1_30default_config_static_selectorELNS0_4arch9wavefront6targetE1EEEvT1_,@function
_ZN7rocprim17ROCPRIM_400000_NS6detail17trampoline_kernelINS0_14default_configENS1_20scan_config_selectorIiEEZZNS1_9scan_implILNS1_25lookback_scan_determinismE0ELb0ELb0ES3_N6thrust23THRUST_200600_302600_NS6detail15normal_iteratorINS9_10device_ptrIiEEEENS9_16discard_iteratorINS9_11use_defaultEEEiNS9_4plusIvEEiEEDaPvRmT3_T4_T5_mT6_P12ihipStream_tbENKUlT_T0_E_clISt17integral_constantIbLb1EESX_EEDaSS_ST_EUlSS_E_NS1_11comp_targetILNS1_3genE9ELNS1_11target_archE1100ELNS1_3gpuE3ELNS1_3repE0EEENS1_30default_config_static_selectorELNS0_4arch9wavefront6targetE1EEEvT1_: ; @_ZN7rocprim17ROCPRIM_400000_NS6detail17trampoline_kernelINS0_14default_configENS1_20scan_config_selectorIiEEZZNS1_9scan_implILNS1_25lookback_scan_determinismE0ELb0ELb0ES3_N6thrust23THRUST_200600_302600_NS6detail15normal_iteratorINS9_10device_ptrIiEEEENS9_16discard_iteratorINS9_11use_defaultEEEiNS9_4plusIvEEiEEDaPvRmT3_T4_T5_mT6_P12ihipStream_tbENKUlT_T0_E_clISt17integral_constantIbLb1EESX_EEDaSS_ST_EUlSS_E_NS1_11comp_targetILNS1_3genE9ELNS1_11target_archE1100ELNS1_3gpuE3ELNS1_3repE0EEENS1_30default_config_static_selectorELNS0_4arch9wavefront6targetE1EEEvT1_
; %bb.0:
	.section	.rodata,"a",@progbits
	.p2align	6, 0x0
	.amdhsa_kernel _ZN7rocprim17ROCPRIM_400000_NS6detail17trampoline_kernelINS0_14default_configENS1_20scan_config_selectorIiEEZZNS1_9scan_implILNS1_25lookback_scan_determinismE0ELb0ELb0ES3_N6thrust23THRUST_200600_302600_NS6detail15normal_iteratorINS9_10device_ptrIiEEEENS9_16discard_iteratorINS9_11use_defaultEEEiNS9_4plusIvEEiEEDaPvRmT3_T4_T5_mT6_P12ihipStream_tbENKUlT_T0_E_clISt17integral_constantIbLb1EESX_EEDaSS_ST_EUlSS_E_NS1_11comp_targetILNS1_3genE9ELNS1_11target_archE1100ELNS1_3gpuE3ELNS1_3repE0EEENS1_30default_config_static_selectorELNS0_4arch9wavefront6targetE1EEEvT1_
		.amdhsa_group_segment_fixed_size 0
		.amdhsa_private_segment_fixed_size 0
		.amdhsa_kernarg_size 104
		.amdhsa_user_sgpr_count 6
		.amdhsa_user_sgpr_private_segment_buffer 1
		.amdhsa_user_sgpr_dispatch_ptr 0
		.amdhsa_user_sgpr_queue_ptr 0
		.amdhsa_user_sgpr_kernarg_segment_ptr 1
		.amdhsa_user_sgpr_dispatch_id 0
		.amdhsa_user_sgpr_flat_scratch_init 0
		.amdhsa_user_sgpr_kernarg_preload_length 0
		.amdhsa_user_sgpr_kernarg_preload_offset 0
		.amdhsa_user_sgpr_private_segment_size 0
		.amdhsa_uses_dynamic_stack 0
		.amdhsa_system_sgpr_private_segment_wavefront_offset 0
		.amdhsa_system_sgpr_workgroup_id_x 1
		.amdhsa_system_sgpr_workgroup_id_y 0
		.amdhsa_system_sgpr_workgroup_id_z 0
		.amdhsa_system_sgpr_workgroup_info 0
		.amdhsa_system_vgpr_workitem_id 0
		.amdhsa_next_free_vgpr 1
		.amdhsa_next_free_sgpr 0
		.amdhsa_accum_offset 4
		.amdhsa_reserve_vcc 0
		.amdhsa_reserve_flat_scratch 0
		.amdhsa_float_round_mode_32 0
		.amdhsa_float_round_mode_16_64 0
		.amdhsa_float_denorm_mode_32 3
		.amdhsa_float_denorm_mode_16_64 3
		.amdhsa_dx10_clamp 1
		.amdhsa_ieee_mode 1
		.amdhsa_fp16_overflow 0
		.amdhsa_tg_split 0
		.amdhsa_exception_fp_ieee_invalid_op 0
		.amdhsa_exception_fp_denorm_src 0
		.amdhsa_exception_fp_ieee_div_zero 0
		.amdhsa_exception_fp_ieee_overflow 0
		.amdhsa_exception_fp_ieee_underflow 0
		.amdhsa_exception_fp_ieee_inexact 0
		.amdhsa_exception_int_div_zero 0
	.end_amdhsa_kernel
	.section	.text._ZN7rocprim17ROCPRIM_400000_NS6detail17trampoline_kernelINS0_14default_configENS1_20scan_config_selectorIiEEZZNS1_9scan_implILNS1_25lookback_scan_determinismE0ELb0ELb0ES3_N6thrust23THRUST_200600_302600_NS6detail15normal_iteratorINS9_10device_ptrIiEEEENS9_16discard_iteratorINS9_11use_defaultEEEiNS9_4plusIvEEiEEDaPvRmT3_T4_T5_mT6_P12ihipStream_tbENKUlT_T0_E_clISt17integral_constantIbLb1EESX_EEDaSS_ST_EUlSS_E_NS1_11comp_targetILNS1_3genE9ELNS1_11target_archE1100ELNS1_3gpuE3ELNS1_3repE0EEENS1_30default_config_static_selectorELNS0_4arch9wavefront6targetE1EEEvT1_,"axG",@progbits,_ZN7rocprim17ROCPRIM_400000_NS6detail17trampoline_kernelINS0_14default_configENS1_20scan_config_selectorIiEEZZNS1_9scan_implILNS1_25lookback_scan_determinismE0ELb0ELb0ES3_N6thrust23THRUST_200600_302600_NS6detail15normal_iteratorINS9_10device_ptrIiEEEENS9_16discard_iteratorINS9_11use_defaultEEEiNS9_4plusIvEEiEEDaPvRmT3_T4_T5_mT6_P12ihipStream_tbENKUlT_T0_E_clISt17integral_constantIbLb1EESX_EEDaSS_ST_EUlSS_E_NS1_11comp_targetILNS1_3genE9ELNS1_11target_archE1100ELNS1_3gpuE3ELNS1_3repE0EEENS1_30default_config_static_selectorELNS0_4arch9wavefront6targetE1EEEvT1_,comdat
.Lfunc_end5751:
	.size	_ZN7rocprim17ROCPRIM_400000_NS6detail17trampoline_kernelINS0_14default_configENS1_20scan_config_selectorIiEEZZNS1_9scan_implILNS1_25lookback_scan_determinismE0ELb0ELb0ES3_N6thrust23THRUST_200600_302600_NS6detail15normal_iteratorINS9_10device_ptrIiEEEENS9_16discard_iteratorINS9_11use_defaultEEEiNS9_4plusIvEEiEEDaPvRmT3_T4_T5_mT6_P12ihipStream_tbENKUlT_T0_E_clISt17integral_constantIbLb1EESX_EEDaSS_ST_EUlSS_E_NS1_11comp_targetILNS1_3genE9ELNS1_11target_archE1100ELNS1_3gpuE3ELNS1_3repE0EEENS1_30default_config_static_selectorELNS0_4arch9wavefront6targetE1EEEvT1_, .Lfunc_end5751-_ZN7rocprim17ROCPRIM_400000_NS6detail17trampoline_kernelINS0_14default_configENS1_20scan_config_selectorIiEEZZNS1_9scan_implILNS1_25lookback_scan_determinismE0ELb0ELb0ES3_N6thrust23THRUST_200600_302600_NS6detail15normal_iteratorINS9_10device_ptrIiEEEENS9_16discard_iteratorINS9_11use_defaultEEEiNS9_4plusIvEEiEEDaPvRmT3_T4_T5_mT6_P12ihipStream_tbENKUlT_T0_E_clISt17integral_constantIbLb1EESX_EEDaSS_ST_EUlSS_E_NS1_11comp_targetILNS1_3genE9ELNS1_11target_archE1100ELNS1_3gpuE3ELNS1_3repE0EEENS1_30default_config_static_selectorELNS0_4arch9wavefront6targetE1EEEvT1_
                                        ; -- End function
	.section	.AMDGPU.csdata,"",@progbits
; Kernel info:
; codeLenInByte = 0
; NumSgprs: 4
; NumVgprs: 0
; NumAgprs: 0
; TotalNumVgprs: 0
; ScratchSize: 0
; MemoryBound: 0
; FloatMode: 240
; IeeeMode: 1
; LDSByteSize: 0 bytes/workgroup (compile time only)
; SGPRBlocks: 0
; VGPRBlocks: 0
; NumSGPRsForWavesPerEU: 4
; NumVGPRsForWavesPerEU: 1
; AccumOffset: 4
; Occupancy: 8
; WaveLimiterHint : 0
; COMPUTE_PGM_RSRC2:SCRATCH_EN: 0
; COMPUTE_PGM_RSRC2:USER_SGPR: 6
; COMPUTE_PGM_RSRC2:TRAP_HANDLER: 0
; COMPUTE_PGM_RSRC2:TGID_X_EN: 1
; COMPUTE_PGM_RSRC2:TGID_Y_EN: 0
; COMPUTE_PGM_RSRC2:TGID_Z_EN: 0
; COMPUTE_PGM_RSRC2:TIDIG_COMP_CNT: 0
; COMPUTE_PGM_RSRC3_GFX90A:ACCUM_OFFSET: 0
; COMPUTE_PGM_RSRC3_GFX90A:TG_SPLIT: 0
	.section	.text._ZN7rocprim17ROCPRIM_400000_NS6detail17trampoline_kernelINS0_14default_configENS1_20scan_config_selectorIiEEZZNS1_9scan_implILNS1_25lookback_scan_determinismE0ELb0ELb0ES3_N6thrust23THRUST_200600_302600_NS6detail15normal_iteratorINS9_10device_ptrIiEEEENS9_16discard_iteratorINS9_11use_defaultEEEiNS9_4plusIvEEiEEDaPvRmT3_T4_T5_mT6_P12ihipStream_tbENKUlT_T0_E_clISt17integral_constantIbLb1EESX_EEDaSS_ST_EUlSS_E_NS1_11comp_targetILNS1_3genE8ELNS1_11target_archE1030ELNS1_3gpuE2ELNS1_3repE0EEENS1_30default_config_static_selectorELNS0_4arch9wavefront6targetE1EEEvT1_,"axG",@progbits,_ZN7rocprim17ROCPRIM_400000_NS6detail17trampoline_kernelINS0_14default_configENS1_20scan_config_selectorIiEEZZNS1_9scan_implILNS1_25lookback_scan_determinismE0ELb0ELb0ES3_N6thrust23THRUST_200600_302600_NS6detail15normal_iteratorINS9_10device_ptrIiEEEENS9_16discard_iteratorINS9_11use_defaultEEEiNS9_4plusIvEEiEEDaPvRmT3_T4_T5_mT6_P12ihipStream_tbENKUlT_T0_E_clISt17integral_constantIbLb1EESX_EEDaSS_ST_EUlSS_E_NS1_11comp_targetILNS1_3genE8ELNS1_11target_archE1030ELNS1_3gpuE2ELNS1_3repE0EEENS1_30default_config_static_selectorELNS0_4arch9wavefront6targetE1EEEvT1_,comdat
	.protected	_ZN7rocprim17ROCPRIM_400000_NS6detail17trampoline_kernelINS0_14default_configENS1_20scan_config_selectorIiEEZZNS1_9scan_implILNS1_25lookback_scan_determinismE0ELb0ELb0ES3_N6thrust23THRUST_200600_302600_NS6detail15normal_iteratorINS9_10device_ptrIiEEEENS9_16discard_iteratorINS9_11use_defaultEEEiNS9_4plusIvEEiEEDaPvRmT3_T4_T5_mT6_P12ihipStream_tbENKUlT_T0_E_clISt17integral_constantIbLb1EESX_EEDaSS_ST_EUlSS_E_NS1_11comp_targetILNS1_3genE8ELNS1_11target_archE1030ELNS1_3gpuE2ELNS1_3repE0EEENS1_30default_config_static_selectorELNS0_4arch9wavefront6targetE1EEEvT1_ ; -- Begin function _ZN7rocprim17ROCPRIM_400000_NS6detail17trampoline_kernelINS0_14default_configENS1_20scan_config_selectorIiEEZZNS1_9scan_implILNS1_25lookback_scan_determinismE0ELb0ELb0ES3_N6thrust23THRUST_200600_302600_NS6detail15normal_iteratorINS9_10device_ptrIiEEEENS9_16discard_iteratorINS9_11use_defaultEEEiNS9_4plusIvEEiEEDaPvRmT3_T4_T5_mT6_P12ihipStream_tbENKUlT_T0_E_clISt17integral_constantIbLb1EESX_EEDaSS_ST_EUlSS_E_NS1_11comp_targetILNS1_3genE8ELNS1_11target_archE1030ELNS1_3gpuE2ELNS1_3repE0EEENS1_30default_config_static_selectorELNS0_4arch9wavefront6targetE1EEEvT1_
	.globl	_ZN7rocprim17ROCPRIM_400000_NS6detail17trampoline_kernelINS0_14default_configENS1_20scan_config_selectorIiEEZZNS1_9scan_implILNS1_25lookback_scan_determinismE0ELb0ELb0ES3_N6thrust23THRUST_200600_302600_NS6detail15normal_iteratorINS9_10device_ptrIiEEEENS9_16discard_iteratorINS9_11use_defaultEEEiNS9_4plusIvEEiEEDaPvRmT3_T4_T5_mT6_P12ihipStream_tbENKUlT_T0_E_clISt17integral_constantIbLb1EESX_EEDaSS_ST_EUlSS_E_NS1_11comp_targetILNS1_3genE8ELNS1_11target_archE1030ELNS1_3gpuE2ELNS1_3repE0EEENS1_30default_config_static_selectorELNS0_4arch9wavefront6targetE1EEEvT1_
	.p2align	8
	.type	_ZN7rocprim17ROCPRIM_400000_NS6detail17trampoline_kernelINS0_14default_configENS1_20scan_config_selectorIiEEZZNS1_9scan_implILNS1_25lookback_scan_determinismE0ELb0ELb0ES3_N6thrust23THRUST_200600_302600_NS6detail15normal_iteratorINS9_10device_ptrIiEEEENS9_16discard_iteratorINS9_11use_defaultEEEiNS9_4plusIvEEiEEDaPvRmT3_T4_T5_mT6_P12ihipStream_tbENKUlT_T0_E_clISt17integral_constantIbLb1EESX_EEDaSS_ST_EUlSS_E_NS1_11comp_targetILNS1_3genE8ELNS1_11target_archE1030ELNS1_3gpuE2ELNS1_3repE0EEENS1_30default_config_static_selectorELNS0_4arch9wavefront6targetE1EEEvT1_,@function
_ZN7rocprim17ROCPRIM_400000_NS6detail17trampoline_kernelINS0_14default_configENS1_20scan_config_selectorIiEEZZNS1_9scan_implILNS1_25lookback_scan_determinismE0ELb0ELb0ES3_N6thrust23THRUST_200600_302600_NS6detail15normal_iteratorINS9_10device_ptrIiEEEENS9_16discard_iteratorINS9_11use_defaultEEEiNS9_4plusIvEEiEEDaPvRmT3_T4_T5_mT6_P12ihipStream_tbENKUlT_T0_E_clISt17integral_constantIbLb1EESX_EEDaSS_ST_EUlSS_E_NS1_11comp_targetILNS1_3genE8ELNS1_11target_archE1030ELNS1_3gpuE2ELNS1_3repE0EEENS1_30default_config_static_selectorELNS0_4arch9wavefront6targetE1EEEvT1_: ; @_ZN7rocprim17ROCPRIM_400000_NS6detail17trampoline_kernelINS0_14default_configENS1_20scan_config_selectorIiEEZZNS1_9scan_implILNS1_25lookback_scan_determinismE0ELb0ELb0ES3_N6thrust23THRUST_200600_302600_NS6detail15normal_iteratorINS9_10device_ptrIiEEEENS9_16discard_iteratorINS9_11use_defaultEEEiNS9_4plusIvEEiEEDaPvRmT3_T4_T5_mT6_P12ihipStream_tbENKUlT_T0_E_clISt17integral_constantIbLb1EESX_EEDaSS_ST_EUlSS_E_NS1_11comp_targetILNS1_3genE8ELNS1_11target_archE1030ELNS1_3gpuE2ELNS1_3repE0EEENS1_30default_config_static_selectorELNS0_4arch9wavefront6targetE1EEEvT1_
; %bb.0:
	.section	.rodata,"a",@progbits
	.p2align	6, 0x0
	.amdhsa_kernel _ZN7rocprim17ROCPRIM_400000_NS6detail17trampoline_kernelINS0_14default_configENS1_20scan_config_selectorIiEEZZNS1_9scan_implILNS1_25lookback_scan_determinismE0ELb0ELb0ES3_N6thrust23THRUST_200600_302600_NS6detail15normal_iteratorINS9_10device_ptrIiEEEENS9_16discard_iteratorINS9_11use_defaultEEEiNS9_4plusIvEEiEEDaPvRmT3_T4_T5_mT6_P12ihipStream_tbENKUlT_T0_E_clISt17integral_constantIbLb1EESX_EEDaSS_ST_EUlSS_E_NS1_11comp_targetILNS1_3genE8ELNS1_11target_archE1030ELNS1_3gpuE2ELNS1_3repE0EEENS1_30default_config_static_selectorELNS0_4arch9wavefront6targetE1EEEvT1_
		.amdhsa_group_segment_fixed_size 0
		.amdhsa_private_segment_fixed_size 0
		.amdhsa_kernarg_size 104
		.amdhsa_user_sgpr_count 6
		.amdhsa_user_sgpr_private_segment_buffer 1
		.amdhsa_user_sgpr_dispatch_ptr 0
		.amdhsa_user_sgpr_queue_ptr 0
		.amdhsa_user_sgpr_kernarg_segment_ptr 1
		.amdhsa_user_sgpr_dispatch_id 0
		.amdhsa_user_sgpr_flat_scratch_init 0
		.amdhsa_user_sgpr_kernarg_preload_length 0
		.amdhsa_user_sgpr_kernarg_preload_offset 0
		.amdhsa_user_sgpr_private_segment_size 0
		.amdhsa_uses_dynamic_stack 0
		.amdhsa_system_sgpr_private_segment_wavefront_offset 0
		.amdhsa_system_sgpr_workgroup_id_x 1
		.amdhsa_system_sgpr_workgroup_id_y 0
		.amdhsa_system_sgpr_workgroup_id_z 0
		.amdhsa_system_sgpr_workgroup_info 0
		.amdhsa_system_vgpr_workitem_id 0
		.amdhsa_next_free_vgpr 1
		.amdhsa_next_free_sgpr 0
		.amdhsa_accum_offset 4
		.amdhsa_reserve_vcc 0
		.amdhsa_reserve_flat_scratch 0
		.amdhsa_float_round_mode_32 0
		.amdhsa_float_round_mode_16_64 0
		.amdhsa_float_denorm_mode_32 3
		.amdhsa_float_denorm_mode_16_64 3
		.amdhsa_dx10_clamp 1
		.amdhsa_ieee_mode 1
		.amdhsa_fp16_overflow 0
		.amdhsa_tg_split 0
		.amdhsa_exception_fp_ieee_invalid_op 0
		.amdhsa_exception_fp_denorm_src 0
		.amdhsa_exception_fp_ieee_div_zero 0
		.amdhsa_exception_fp_ieee_overflow 0
		.amdhsa_exception_fp_ieee_underflow 0
		.amdhsa_exception_fp_ieee_inexact 0
		.amdhsa_exception_int_div_zero 0
	.end_amdhsa_kernel
	.section	.text._ZN7rocprim17ROCPRIM_400000_NS6detail17trampoline_kernelINS0_14default_configENS1_20scan_config_selectorIiEEZZNS1_9scan_implILNS1_25lookback_scan_determinismE0ELb0ELb0ES3_N6thrust23THRUST_200600_302600_NS6detail15normal_iteratorINS9_10device_ptrIiEEEENS9_16discard_iteratorINS9_11use_defaultEEEiNS9_4plusIvEEiEEDaPvRmT3_T4_T5_mT6_P12ihipStream_tbENKUlT_T0_E_clISt17integral_constantIbLb1EESX_EEDaSS_ST_EUlSS_E_NS1_11comp_targetILNS1_3genE8ELNS1_11target_archE1030ELNS1_3gpuE2ELNS1_3repE0EEENS1_30default_config_static_selectorELNS0_4arch9wavefront6targetE1EEEvT1_,"axG",@progbits,_ZN7rocprim17ROCPRIM_400000_NS6detail17trampoline_kernelINS0_14default_configENS1_20scan_config_selectorIiEEZZNS1_9scan_implILNS1_25lookback_scan_determinismE0ELb0ELb0ES3_N6thrust23THRUST_200600_302600_NS6detail15normal_iteratorINS9_10device_ptrIiEEEENS9_16discard_iteratorINS9_11use_defaultEEEiNS9_4plusIvEEiEEDaPvRmT3_T4_T5_mT6_P12ihipStream_tbENKUlT_T0_E_clISt17integral_constantIbLb1EESX_EEDaSS_ST_EUlSS_E_NS1_11comp_targetILNS1_3genE8ELNS1_11target_archE1030ELNS1_3gpuE2ELNS1_3repE0EEENS1_30default_config_static_selectorELNS0_4arch9wavefront6targetE1EEEvT1_,comdat
.Lfunc_end5752:
	.size	_ZN7rocprim17ROCPRIM_400000_NS6detail17trampoline_kernelINS0_14default_configENS1_20scan_config_selectorIiEEZZNS1_9scan_implILNS1_25lookback_scan_determinismE0ELb0ELb0ES3_N6thrust23THRUST_200600_302600_NS6detail15normal_iteratorINS9_10device_ptrIiEEEENS9_16discard_iteratorINS9_11use_defaultEEEiNS9_4plusIvEEiEEDaPvRmT3_T4_T5_mT6_P12ihipStream_tbENKUlT_T0_E_clISt17integral_constantIbLb1EESX_EEDaSS_ST_EUlSS_E_NS1_11comp_targetILNS1_3genE8ELNS1_11target_archE1030ELNS1_3gpuE2ELNS1_3repE0EEENS1_30default_config_static_selectorELNS0_4arch9wavefront6targetE1EEEvT1_, .Lfunc_end5752-_ZN7rocprim17ROCPRIM_400000_NS6detail17trampoline_kernelINS0_14default_configENS1_20scan_config_selectorIiEEZZNS1_9scan_implILNS1_25lookback_scan_determinismE0ELb0ELb0ES3_N6thrust23THRUST_200600_302600_NS6detail15normal_iteratorINS9_10device_ptrIiEEEENS9_16discard_iteratorINS9_11use_defaultEEEiNS9_4plusIvEEiEEDaPvRmT3_T4_T5_mT6_P12ihipStream_tbENKUlT_T0_E_clISt17integral_constantIbLb1EESX_EEDaSS_ST_EUlSS_E_NS1_11comp_targetILNS1_3genE8ELNS1_11target_archE1030ELNS1_3gpuE2ELNS1_3repE0EEENS1_30default_config_static_selectorELNS0_4arch9wavefront6targetE1EEEvT1_
                                        ; -- End function
	.section	.AMDGPU.csdata,"",@progbits
; Kernel info:
; codeLenInByte = 0
; NumSgprs: 4
; NumVgprs: 0
; NumAgprs: 0
; TotalNumVgprs: 0
; ScratchSize: 0
; MemoryBound: 0
; FloatMode: 240
; IeeeMode: 1
; LDSByteSize: 0 bytes/workgroup (compile time only)
; SGPRBlocks: 0
; VGPRBlocks: 0
; NumSGPRsForWavesPerEU: 4
; NumVGPRsForWavesPerEU: 1
; AccumOffset: 4
; Occupancy: 8
; WaveLimiterHint : 0
; COMPUTE_PGM_RSRC2:SCRATCH_EN: 0
; COMPUTE_PGM_RSRC2:USER_SGPR: 6
; COMPUTE_PGM_RSRC2:TRAP_HANDLER: 0
; COMPUTE_PGM_RSRC2:TGID_X_EN: 1
; COMPUTE_PGM_RSRC2:TGID_Y_EN: 0
; COMPUTE_PGM_RSRC2:TGID_Z_EN: 0
; COMPUTE_PGM_RSRC2:TIDIG_COMP_CNT: 0
; COMPUTE_PGM_RSRC3_GFX90A:ACCUM_OFFSET: 0
; COMPUTE_PGM_RSRC3_GFX90A:TG_SPLIT: 0
	.section	.text._ZN7rocprim17ROCPRIM_400000_NS6detail17trampoline_kernelINS0_14default_configENS1_20scan_config_selectorIiEEZZNS1_9scan_implILNS1_25lookback_scan_determinismE0ELb0ELb0ES3_N6thrust23THRUST_200600_302600_NS6detail15normal_iteratorINS9_10device_ptrIiEEEENS9_16discard_iteratorINS9_11use_defaultEEEiNS9_4plusIvEEiEEDaPvRmT3_T4_T5_mT6_P12ihipStream_tbENKUlT_T0_E_clISt17integral_constantIbLb1EESX_EEDaSS_ST_EUlSS_E0_NS1_11comp_targetILNS1_3genE0ELNS1_11target_archE4294967295ELNS1_3gpuE0ELNS1_3repE0EEENS1_30default_config_static_selectorELNS0_4arch9wavefront6targetE1EEEvT1_,"axG",@progbits,_ZN7rocprim17ROCPRIM_400000_NS6detail17trampoline_kernelINS0_14default_configENS1_20scan_config_selectorIiEEZZNS1_9scan_implILNS1_25lookback_scan_determinismE0ELb0ELb0ES3_N6thrust23THRUST_200600_302600_NS6detail15normal_iteratorINS9_10device_ptrIiEEEENS9_16discard_iteratorINS9_11use_defaultEEEiNS9_4plusIvEEiEEDaPvRmT3_T4_T5_mT6_P12ihipStream_tbENKUlT_T0_E_clISt17integral_constantIbLb1EESX_EEDaSS_ST_EUlSS_E0_NS1_11comp_targetILNS1_3genE0ELNS1_11target_archE4294967295ELNS1_3gpuE0ELNS1_3repE0EEENS1_30default_config_static_selectorELNS0_4arch9wavefront6targetE1EEEvT1_,comdat
	.protected	_ZN7rocprim17ROCPRIM_400000_NS6detail17trampoline_kernelINS0_14default_configENS1_20scan_config_selectorIiEEZZNS1_9scan_implILNS1_25lookback_scan_determinismE0ELb0ELb0ES3_N6thrust23THRUST_200600_302600_NS6detail15normal_iteratorINS9_10device_ptrIiEEEENS9_16discard_iteratorINS9_11use_defaultEEEiNS9_4plusIvEEiEEDaPvRmT3_T4_T5_mT6_P12ihipStream_tbENKUlT_T0_E_clISt17integral_constantIbLb1EESX_EEDaSS_ST_EUlSS_E0_NS1_11comp_targetILNS1_3genE0ELNS1_11target_archE4294967295ELNS1_3gpuE0ELNS1_3repE0EEENS1_30default_config_static_selectorELNS0_4arch9wavefront6targetE1EEEvT1_ ; -- Begin function _ZN7rocprim17ROCPRIM_400000_NS6detail17trampoline_kernelINS0_14default_configENS1_20scan_config_selectorIiEEZZNS1_9scan_implILNS1_25lookback_scan_determinismE0ELb0ELb0ES3_N6thrust23THRUST_200600_302600_NS6detail15normal_iteratorINS9_10device_ptrIiEEEENS9_16discard_iteratorINS9_11use_defaultEEEiNS9_4plusIvEEiEEDaPvRmT3_T4_T5_mT6_P12ihipStream_tbENKUlT_T0_E_clISt17integral_constantIbLb1EESX_EEDaSS_ST_EUlSS_E0_NS1_11comp_targetILNS1_3genE0ELNS1_11target_archE4294967295ELNS1_3gpuE0ELNS1_3repE0EEENS1_30default_config_static_selectorELNS0_4arch9wavefront6targetE1EEEvT1_
	.globl	_ZN7rocprim17ROCPRIM_400000_NS6detail17trampoline_kernelINS0_14default_configENS1_20scan_config_selectorIiEEZZNS1_9scan_implILNS1_25lookback_scan_determinismE0ELb0ELb0ES3_N6thrust23THRUST_200600_302600_NS6detail15normal_iteratorINS9_10device_ptrIiEEEENS9_16discard_iteratorINS9_11use_defaultEEEiNS9_4plusIvEEiEEDaPvRmT3_T4_T5_mT6_P12ihipStream_tbENKUlT_T0_E_clISt17integral_constantIbLb1EESX_EEDaSS_ST_EUlSS_E0_NS1_11comp_targetILNS1_3genE0ELNS1_11target_archE4294967295ELNS1_3gpuE0ELNS1_3repE0EEENS1_30default_config_static_selectorELNS0_4arch9wavefront6targetE1EEEvT1_
	.p2align	8
	.type	_ZN7rocprim17ROCPRIM_400000_NS6detail17trampoline_kernelINS0_14default_configENS1_20scan_config_selectorIiEEZZNS1_9scan_implILNS1_25lookback_scan_determinismE0ELb0ELb0ES3_N6thrust23THRUST_200600_302600_NS6detail15normal_iteratorINS9_10device_ptrIiEEEENS9_16discard_iteratorINS9_11use_defaultEEEiNS9_4plusIvEEiEEDaPvRmT3_T4_T5_mT6_P12ihipStream_tbENKUlT_T0_E_clISt17integral_constantIbLb1EESX_EEDaSS_ST_EUlSS_E0_NS1_11comp_targetILNS1_3genE0ELNS1_11target_archE4294967295ELNS1_3gpuE0ELNS1_3repE0EEENS1_30default_config_static_selectorELNS0_4arch9wavefront6targetE1EEEvT1_,@function
_ZN7rocprim17ROCPRIM_400000_NS6detail17trampoline_kernelINS0_14default_configENS1_20scan_config_selectorIiEEZZNS1_9scan_implILNS1_25lookback_scan_determinismE0ELb0ELb0ES3_N6thrust23THRUST_200600_302600_NS6detail15normal_iteratorINS9_10device_ptrIiEEEENS9_16discard_iteratorINS9_11use_defaultEEEiNS9_4plusIvEEiEEDaPvRmT3_T4_T5_mT6_P12ihipStream_tbENKUlT_T0_E_clISt17integral_constantIbLb1EESX_EEDaSS_ST_EUlSS_E0_NS1_11comp_targetILNS1_3genE0ELNS1_11target_archE4294967295ELNS1_3gpuE0ELNS1_3repE0EEENS1_30default_config_static_selectorELNS0_4arch9wavefront6targetE1EEEvT1_: ; @_ZN7rocprim17ROCPRIM_400000_NS6detail17trampoline_kernelINS0_14default_configENS1_20scan_config_selectorIiEEZZNS1_9scan_implILNS1_25lookback_scan_determinismE0ELb0ELb0ES3_N6thrust23THRUST_200600_302600_NS6detail15normal_iteratorINS9_10device_ptrIiEEEENS9_16discard_iteratorINS9_11use_defaultEEEiNS9_4plusIvEEiEEDaPvRmT3_T4_T5_mT6_P12ihipStream_tbENKUlT_T0_E_clISt17integral_constantIbLb1EESX_EEDaSS_ST_EUlSS_E0_NS1_11comp_targetILNS1_3genE0ELNS1_11target_archE4294967295ELNS1_3gpuE0ELNS1_3repE0EEENS1_30default_config_static_selectorELNS0_4arch9wavefront6targetE1EEEvT1_
; %bb.0:
	.section	.rodata,"a",@progbits
	.p2align	6, 0x0
	.amdhsa_kernel _ZN7rocprim17ROCPRIM_400000_NS6detail17trampoline_kernelINS0_14default_configENS1_20scan_config_selectorIiEEZZNS1_9scan_implILNS1_25lookback_scan_determinismE0ELb0ELb0ES3_N6thrust23THRUST_200600_302600_NS6detail15normal_iteratorINS9_10device_ptrIiEEEENS9_16discard_iteratorINS9_11use_defaultEEEiNS9_4plusIvEEiEEDaPvRmT3_T4_T5_mT6_P12ihipStream_tbENKUlT_T0_E_clISt17integral_constantIbLb1EESX_EEDaSS_ST_EUlSS_E0_NS1_11comp_targetILNS1_3genE0ELNS1_11target_archE4294967295ELNS1_3gpuE0ELNS1_3repE0EEENS1_30default_config_static_selectorELNS0_4arch9wavefront6targetE1EEEvT1_
		.amdhsa_group_segment_fixed_size 0
		.amdhsa_private_segment_fixed_size 0
		.amdhsa_kernarg_size 40
		.amdhsa_user_sgpr_count 6
		.amdhsa_user_sgpr_private_segment_buffer 1
		.amdhsa_user_sgpr_dispatch_ptr 0
		.amdhsa_user_sgpr_queue_ptr 0
		.amdhsa_user_sgpr_kernarg_segment_ptr 1
		.amdhsa_user_sgpr_dispatch_id 0
		.amdhsa_user_sgpr_flat_scratch_init 0
		.amdhsa_user_sgpr_kernarg_preload_length 0
		.amdhsa_user_sgpr_kernarg_preload_offset 0
		.amdhsa_user_sgpr_private_segment_size 0
		.amdhsa_uses_dynamic_stack 0
		.amdhsa_system_sgpr_private_segment_wavefront_offset 0
		.amdhsa_system_sgpr_workgroup_id_x 1
		.amdhsa_system_sgpr_workgroup_id_y 0
		.amdhsa_system_sgpr_workgroup_id_z 0
		.amdhsa_system_sgpr_workgroup_info 0
		.amdhsa_system_vgpr_workitem_id 0
		.amdhsa_next_free_vgpr 1
		.amdhsa_next_free_sgpr 0
		.amdhsa_accum_offset 4
		.amdhsa_reserve_vcc 0
		.amdhsa_reserve_flat_scratch 0
		.amdhsa_float_round_mode_32 0
		.amdhsa_float_round_mode_16_64 0
		.amdhsa_float_denorm_mode_32 3
		.amdhsa_float_denorm_mode_16_64 3
		.amdhsa_dx10_clamp 1
		.amdhsa_ieee_mode 1
		.amdhsa_fp16_overflow 0
		.amdhsa_tg_split 0
		.amdhsa_exception_fp_ieee_invalid_op 0
		.amdhsa_exception_fp_denorm_src 0
		.amdhsa_exception_fp_ieee_div_zero 0
		.amdhsa_exception_fp_ieee_overflow 0
		.amdhsa_exception_fp_ieee_underflow 0
		.amdhsa_exception_fp_ieee_inexact 0
		.amdhsa_exception_int_div_zero 0
	.end_amdhsa_kernel
	.section	.text._ZN7rocprim17ROCPRIM_400000_NS6detail17trampoline_kernelINS0_14default_configENS1_20scan_config_selectorIiEEZZNS1_9scan_implILNS1_25lookback_scan_determinismE0ELb0ELb0ES3_N6thrust23THRUST_200600_302600_NS6detail15normal_iteratorINS9_10device_ptrIiEEEENS9_16discard_iteratorINS9_11use_defaultEEEiNS9_4plusIvEEiEEDaPvRmT3_T4_T5_mT6_P12ihipStream_tbENKUlT_T0_E_clISt17integral_constantIbLb1EESX_EEDaSS_ST_EUlSS_E0_NS1_11comp_targetILNS1_3genE0ELNS1_11target_archE4294967295ELNS1_3gpuE0ELNS1_3repE0EEENS1_30default_config_static_selectorELNS0_4arch9wavefront6targetE1EEEvT1_,"axG",@progbits,_ZN7rocprim17ROCPRIM_400000_NS6detail17trampoline_kernelINS0_14default_configENS1_20scan_config_selectorIiEEZZNS1_9scan_implILNS1_25lookback_scan_determinismE0ELb0ELb0ES3_N6thrust23THRUST_200600_302600_NS6detail15normal_iteratorINS9_10device_ptrIiEEEENS9_16discard_iteratorINS9_11use_defaultEEEiNS9_4plusIvEEiEEDaPvRmT3_T4_T5_mT6_P12ihipStream_tbENKUlT_T0_E_clISt17integral_constantIbLb1EESX_EEDaSS_ST_EUlSS_E0_NS1_11comp_targetILNS1_3genE0ELNS1_11target_archE4294967295ELNS1_3gpuE0ELNS1_3repE0EEENS1_30default_config_static_selectorELNS0_4arch9wavefront6targetE1EEEvT1_,comdat
.Lfunc_end5753:
	.size	_ZN7rocprim17ROCPRIM_400000_NS6detail17trampoline_kernelINS0_14default_configENS1_20scan_config_selectorIiEEZZNS1_9scan_implILNS1_25lookback_scan_determinismE0ELb0ELb0ES3_N6thrust23THRUST_200600_302600_NS6detail15normal_iteratorINS9_10device_ptrIiEEEENS9_16discard_iteratorINS9_11use_defaultEEEiNS9_4plusIvEEiEEDaPvRmT3_T4_T5_mT6_P12ihipStream_tbENKUlT_T0_E_clISt17integral_constantIbLb1EESX_EEDaSS_ST_EUlSS_E0_NS1_11comp_targetILNS1_3genE0ELNS1_11target_archE4294967295ELNS1_3gpuE0ELNS1_3repE0EEENS1_30default_config_static_selectorELNS0_4arch9wavefront6targetE1EEEvT1_, .Lfunc_end5753-_ZN7rocprim17ROCPRIM_400000_NS6detail17trampoline_kernelINS0_14default_configENS1_20scan_config_selectorIiEEZZNS1_9scan_implILNS1_25lookback_scan_determinismE0ELb0ELb0ES3_N6thrust23THRUST_200600_302600_NS6detail15normal_iteratorINS9_10device_ptrIiEEEENS9_16discard_iteratorINS9_11use_defaultEEEiNS9_4plusIvEEiEEDaPvRmT3_T4_T5_mT6_P12ihipStream_tbENKUlT_T0_E_clISt17integral_constantIbLb1EESX_EEDaSS_ST_EUlSS_E0_NS1_11comp_targetILNS1_3genE0ELNS1_11target_archE4294967295ELNS1_3gpuE0ELNS1_3repE0EEENS1_30default_config_static_selectorELNS0_4arch9wavefront6targetE1EEEvT1_
                                        ; -- End function
	.section	.AMDGPU.csdata,"",@progbits
; Kernel info:
; codeLenInByte = 0
; NumSgprs: 4
; NumVgprs: 0
; NumAgprs: 0
; TotalNumVgprs: 0
; ScratchSize: 0
; MemoryBound: 0
; FloatMode: 240
; IeeeMode: 1
; LDSByteSize: 0 bytes/workgroup (compile time only)
; SGPRBlocks: 0
; VGPRBlocks: 0
; NumSGPRsForWavesPerEU: 4
; NumVGPRsForWavesPerEU: 1
; AccumOffset: 4
; Occupancy: 8
; WaveLimiterHint : 0
; COMPUTE_PGM_RSRC2:SCRATCH_EN: 0
; COMPUTE_PGM_RSRC2:USER_SGPR: 6
; COMPUTE_PGM_RSRC2:TRAP_HANDLER: 0
; COMPUTE_PGM_RSRC2:TGID_X_EN: 1
; COMPUTE_PGM_RSRC2:TGID_Y_EN: 0
; COMPUTE_PGM_RSRC2:TGID_Z_EN: 0
; COMPUTE_PGM_RSRC2:TIDIG_COMP_CNT: 0
; COMPUTE_PGM_RSRC3_GFX90A:ACCUM_OFFSET: 0
; COMPUTE_PGM_RSRC3_GFX90A:TG_SPLIT: 0
	.section	.text._ZN7rocprim17ROCPRIM_400000_NS6detail17trampoline_kernelINS0_14default_configENS1_20scan_config_selectorIiEEZZNS1_9scan_implILNS1_25lookback_scan_determinismE0ELb0ELb0ES3_N6thrust23THRUST_200600_302600_NS6detail15normal_iteratorINS9_10device_ptrIiEEEENS9_16discard_iteratorINS9_11use_defaultEEEiNS9_4plusIvEEiEEDaPvRmT3_T4_T5_mT6_P12ihipStream_tbENKUlT_T0_E_clISt17integral_constantIbLb1EESX_EEDaSS_ST_EUlSS_E0_NS1_11comp_targetILNS1_3genE5ELNS1_11target_archE942ELNS1_3gpuE9ELNS1_3repE0EEENS1_30default_config_static_selectorELNS0_4arch9wavefront6targetE1EEEvT1_,"axG",@progbits,_ZN7rocprim17ROCPRIM_400000_NS6detail17trampoline_kernelINS0_14default_configENS1_20scan_config_selectorIiEEZZNS1_9scan_implILNS1_25lookback_scan_determinismE0ELb0ELb0ES3_N6thrust23THRUST_200600_302600_NS6detail15normal_iteratorINS9_10device_ptrIiEEEENS9_16discard_iteratorINS9_11use_defaultEEEiNS9_4plusIvEEiEEDaPvRmT3_T4_T5_mT6_P12ihipStream_tbENKUlT_T0_E_clISt17integral_constantIbLb1EESX_EEDaSS_ST_EUlSS_E0_NS1_11comp_targetILNS1_3genE5ELNS1_11target_archE942ELNS1_3gpuE9ELNS1_3repE0EEENS1_30default_config_static_selectorELNS0_4arch9wavefront6targetE1EEEvT1_,comdat
	.protected	_ZN7rocprim17ROCPRIM_400000_NS6detail17trampoline_kernelINS0_14default_configENS1_20scan_config_selectorIiEEZZNS1_9scan_implILNS1_25lookback_scan_determinismE0ELb0ELb0ES3_N6thrust23THRUST_200600_302600_NS6detail15normal_iteratorINS9_10device_ptrIiEEEENS9_16discard_iteratorINS9_11use_defaultEEEiNS9_4plusIvEEiEEDaPvRmT3_T4_T5_mT6_P12ihipStream_tbENKUlT_T0_E_clISt17integral_constantIbLb1EESX_EEDaSS_ST_EUlSS_E0_NS1_11comp_targetILNS1_3genE5ELNS1_11target_archE942ELNS1_3gpuE9ELNS1_3repE0EEENS1_30default_config_static_selectorELNS0_4arch9wavefront6targetE1EEEvT1_ ; -- Begin function _ZN7rocprim17ROCPRIM_400000_NS6detail17trampoline_kernelINS0_14default_configENS1_20scan_config_selectorIiEEZZNS1_9scan_implILNS1_25lookback_scan_determinismE0ELb0ELb0ES3_N6thrust23THRUST_200600_302600_NS6detail15normal_iteratorINS9_10device_ptrIiEEEENS9_16discard_iteratorINS9_11use_defaultEEEiNS9_4plusIvEEiEEDaPvRmT3_T4_T5_mT6_P12ihipStream_tbENKUlT_T0_E_clISt17integral_constantIbLb1EESX_EEDaSS_ST_EUlSS_E0_NS1_11comp_targetILNS1_3genE5ELNS1_11target_archE942ELNS1_3gpuE9ELNS1_3repE0EEENS1_30default_config_static_selectorELNS0_4arch9wavefront6targetE1EEEvT1_
	.globl	_ZN7rocprim17ROCPRIM_400000_NS6detail17trampoline_kernelINS0_14default_configENS1_20scan_config_selectorIiEEZZNS1_9scan_implILNS1_25lookback_scan_determinismE0ELb0ELb0ES3_N6thrust23THRUST_200600_302600_NS6detail15normal_iteratorINS9_10device_ptrIiEEEENS9_16discard_iteratorINS9_11use_defaultEEEiNS9_4plusIvEEiEEDaPvRmT3_T4_T5_mT6_P12ihipStream_tbENKUlT_T0_E_clISt17integral_constantIbLb1EESX_EEDaSS_ST_EUlSS_E0_NS1_11comp_targetILNS1_3genE5ELNS1_11target_archE942ELNS1_3gpuE9ELNS1_3repE0EEENS1_30default_config_static_selectorELNS0_4arch9wavefront6targetE1EEEvT1_
	.p2align	8
	.type	_ZN7rocprim17ROCPRIM_400000_NS6detail17trampoline_kernelINS0_14default_configENS1_20scan_config_selectorIiEEZZNS1_9scan_implILNS1_25lookback_scan_determinismE0ELb0ELb0ES3_N6thrust23THRUST_200600_302600_NS6detail15normal_iteratorINS9_10device_ptrIiEEEENS9_16discard_iteratorINS9_11use_defaultEEEiNS9_4plusIvEEiEEDaPvRmT3_T4_T5_mT6_P12ihipStream_tbENKUlT_T0_E_clISt17integral_constantIbLb1EESX_EEDaSS_ST_EUlSS_E0_NS1_11comp_targetILNS1_3genE5ELNS1_11target_archE942ELNS1_3gpuE9ELNS1_3repE0EEENS1_30default_config_static_selectorELNS0_4arch9wavefront6targetE1EEEvT1_,@function
_ZN7rocprim17ROCPRIM_400000_NS6detail17trampoline_kernelINS0_14default_configENS1_20scan_config_selectorIiEEZZNS1_9scan_implILNS1_25lookback_scan_determinismE0ELb0ELb0ES3_N6thrust23THRUST_200600_302600_NS6detail15normal_iteratorINS9_10device_ptrIiEEEENS9_16discard_iteratorINS9_11use_defaultEEEiNS9_4plusIvEEiEEDaPvRmT3_T4_T5_mT6_P12ihipStream_tbENKUlT_T0_E_clISt17integral_constantIbLb1EESX_EEDaSS_ST_EUlSS_E0_NS1_11comp_targetILNS1_3genE5ELNS1_11target_archE942ELNS1_3gpuE9ELNS1_3repE0EEENS1_30default_config_static_selectorELNS0_4arch9wavefront6targetE1EEEvT1_: ; @_ZN7rocprim17ROCPRIM_400000_NS6detail17trampoline_kernelINS0_14default_configENS1_20scan_config_selectorIiEEZZNS1_9scan_implILNS1_25lookback_scan_determinismE0ELb0ELb0ES3_N6thrust23THRUST_200600_302600_NS6detail15normal_iteratorINS9_10device_ptrIiEEEENS9_16discard_iteratorINS9_11use_defaultEEEiNS9_4plusIvEEiEEDaPvRmT3_T4_T5_mT6_P12ihipStream_tbENKUlT_T0_E_clISt17integral_constantIbLb1EESX_EEDaSS_ST_EUlSS_E0_NS1_11comp_targetILNS1_3genE5ELNS1_11target_archE942ELNS1_3gpuE9ELNS1_3repE0EEENS1_30default_config_static_selectorELNS0_4arch9wavefront6targetE1EEEvT1_
; %bb.0:
	.section	.rodata,"a",@progbits
	.p2align	6, 0x0
	.amdhsa_kernel _ZN7rocprim17ROCPRIM_400000_NS6detail17trampoline_kernelINS0_14default_configENS1_20scan_config_selectorIiEEZZNS1_9scan_implILNS1_25lookback_scan_determinismE0ELb0ELb0ES3_N6thrust23THRUST_200600_302600_NS6detail15normal_iteratorINS9_10device_ptrIiEEEENS9_16discard_iteratorINS9_11use_defaultEEEiNS9_4plusIvEEiEEDaPvRmT3_T4_T5_mT6_P12ihipStream_tbENKUlT_T0_E_clISt17integral_constantIbLb1EESX_EEDaSS_ST_EUlSS_E0_NS1_11comp_targetILNS1_3genE5ELNS1_11target_archE942ELNS1_3gpuE9ELNS1_3repE0EEENS1_30default_config_static_selectorELNS0_4arch9wavefront6targetE1EEEvT1_
		.amdhsa_group_segment_fixed_size 0
		.amdhsa_private_segment_fixed_size 0
		.amdhsa_kernarg_size 40
		.amdhsa_user_sgpr_count 6
		.amdhsa_user_sgpr_private_segment_buffer 1
		.amdhsa_user_sgpr_dispatch_ptr 0
		.amdhsa_user_sgpr_queue_ptr 0
		.amdhsa_user_sgpr_kernarg_segment_ptr 1
		.amdhsa_user_sgpr_dispatch_id 0
		.amdhsa_user_sgpr_flat_scratch_init 0
		.amdhsa_user_sgpr_kernarg_preload_length 0
		.amdhsa_user_sgpr_kernarg_preload_offset 0
		.amdhsa_user_sgpr_private_segment_size 0
		.amdhsa_uses_dynamic_stack 0
		.amdhsa_system_sgpr_private_segment_wavefront_offset 0
		.amdhsa_system_sgpr_workgroup_id_x 1
		.amdhsa_system_sgpr_workgroup_id_y 0
		.amdhsa_system_sgpr_workgroup_id_z 0
		.amdhsa_system_sgpr_workgroup_info 0
		.amdhsa_system_vgpr_workitem_id 0
		.amdhsa_next_free_vgpr 1
		.amdhsa_next_free_sgpr 0
		.amdhsa_accum_offset 4
		.amdhsa_reserve_vcc 0
		.amdhsa_reserve_flat_scratch 0
		.amdhsa_float_round_mode_32 0
		.amdhsa_float_round_mode_16_64 0
		.amdhsa_float_denorm_mode_32 3
		.amdhsa_float_denorm_mode_16_64 3
		.amdhsa_dx10_clamp 1
		.amdhsa_ieee_mode 1
		.amdhsa_fp16_overflow 0
		.amdhsa_tg_split 0
		.amdhsa_exception_fp_ieee_invalid_op 0
		.amdhsa_exception_fp_denorm_src 0
		.amdhsa_exception_fp_ieee_div_zero 0
		.amdhsa_exception_fp_ieee_overflow 0
		.amdhsa_exception_fp_ieee_underflow 0
		.amdhsa_exception_fp_ieee_inexact 0
		.amdhsa_exception_int_div_zero 0
	.end_amdhsa_kernel
	.section	.text._ZN7rocprim17ROCPRIM_400000_NS6detail17trampoline_kernelINS0_14default_configENS1_20scan_config_selectorIiEEZZNS1_9scan_implILNS1_25lookback_scan_determinismE0ELb0ELb0ES3_N6thrust23THRUST_200600_302600_NS6detail15normal_iteratorINS9_10device_ptrIiEEEENS9_16discard_iteratorINS9_11use_defaultEEEiNS9_4plusIvEEiEEDaPvRmT3_T4_T5_mT6_P12ihipStream_tbENKUlT_T0_E_clISt17integral_constantIbLb1EESX_EEDaSS_ST_EUlSS_E0_NS1_11comp_targetILNS1_3genE5ELNS1_11target_archE942ELNS1_3gpuE9ELNS1_3repE0EEENS1_30default_config_static_selectorELNS0_4arch9wavefront6targetE1EEEvT1_,"axG",@progbits,_ZN7rocprim17ROCPRIM_400000_NS6detail17trampoline_kernelINS0_14default_configENS1_20scan_config_selectorIiEEZZNS1_9scan_implILNS1_25lookback_scan_determinismE0ELb0ELb0ES3_N6thrust23THRUST_200600_302600_NS6detail15normal_iteratorINS9_10device_ptrIiEEEENS9_16discard_iteratorINS9_11use_defaultEEEiNS9_4plusIvEEiEEDaPvRmT3_T4_T5_mT6_P12ihipStream_tbENKUlT_T0_E_clISt17integral_constantIbLb1EESX_EEDaSS_ST_EUlSS_E0_NS1_11comp_targetILNS1_3genE5ELNS1_11target_archE942ELNS1_3gpuE9ELNS1_3repE0EEENS1_30default_config_static_selectorELNS0_4arch9wavefront6targetE1EEEvT1_,comdat
.Lfunc_end5754:
	.size	_ZN7rocprim17ROCPRIM_400000_NS6detail17trampoline_kernelINS0_14default_configENS1_20scan_config_selectorIiEEZZNS1_9scan_implILNS1_25lookback_scan_determinismE0ELb0ELb0ES3_N6thrust23THRUST_200600_302600_NS6detail15normal_iteratorINS9_10device_ptrIiEEEENS9_16discard_iteratorINS9_11use_defaultEEEiNS9_4plusIvEEiEEDaPvRmT3_T4_T5_mT6_P12ihipStream_tbENKUlT_T0_E_clISt17integral_constantIbLb1EESX_EEDaSS_ST_EUlSS_E0_NS1_11comp_targetILNS1_3genE5ELNS1_11target_archE942ELNS1_3gpuE9ELNS1_3repE0EEENS1_30default_config_static_selectorELNS0_4arch9wavefront6targetE1EEEvT1_, .Lfunc_end5754-_ZN7rocprim17ROCPRIM_400000_NS6detail17trampoline_kernelINS0_14default_configENS1_20scan_config_selectorIiEEZZNS1_9scan_implILNS1_25lookback_scan_determinismE0ELb0ELb0ES3_N6thrust23THRUST_200600_302600_NS6detail15normal_iteratorINS9_10device_ptrIiEEEENS9_16discard_iteratorINS9_11use_defaultEEEiNS9_4plusIvEEiEEDaPvRmT3_T4_T5_mT6_P12ihipStream_tbENKUlT_T0_E_clISt17integral_constantIbLb1EESX_EEDaSS_ST_EUlSS_E0_NS1_11comp_targetILNS1_3genE5ELNS1_11target_archE942ELNS1_3gpuE9ELNS1_3repE0EEENS1_30default_config_static_selectorELNS0_4arch9wavefront6targetE1EEEvT1_
                                        ; -- End function
	.section	.AMDGPU.csdata,"",@progbits
; Kernel info:
; codeLenInByte = 0
; NumSgprs: 4
; NumVgprs: 0
; NumAgprs: 0
; TotalNumVgprs: 0
; ScratchSize: 0
; MemoryBound: 0
; FloatMode: 240
; IeeeMode: 1
; LDSByteSize: 0 bytes/workgroup (compile time only)
; SGPRBlocks: 0
; VGPRBlocks: 0
; NumSGPRsForWavesPerEU: 4
; NumVGPRsForWavesPerEU: 1
; AccumOffset: 4
; Occupancy: 8
; WaveLimiterHint : 0
; COMPUTE_PGM_RSRC2:SCRATCH_EN: 0
; COMPUTE_PGM_RSRC2:USER_SGPR: 6
; COMPUTE_PGM_RSRC2:TRAP_HANDLER: 0
; COMPUTE_PGM_RSRC2:TGID_X_EN: 1
; COMPUTE_PGM_RSRC2:TGID_Y_EN: 0
; COMPUTE_PGM_RSRC2:TGID_Z_EN: 0
; COMPUTE_PGM_RSRC2:TIDIG_COMP_CNT: 0
; COMPUTE_PGM_RSRC3_GFX90A:ACCUM_OFFSET: 0
; COMPUTE_PGM_RSRC3_GFX90A:TG_SPLIT: 0
	.section	.text._ZN7rocprim17ROCPRIM_400000_NS6detail17trampoline_kernelINS0_14default_configENS1_20scan_config_selectorIiEEZZNS1_9scan_implILNS1_25lookback_scan_determinismE0ELb0ELb0ES3_N6thrust23THRUST_200600_302600_NS6detail15normal_iteratorINS9_10device_ptrIiEEEENS9_16discard_iteratorINS9_11use_defaultEEEiNS9_4plusIvEEiEEDaPvRmT3_T4_T5_mT6_P12ihipStream_tbENKUlT_T0_E_clISt17integral_constantIbLb1EESX_EEDaSS_ST_EUlSS_E0_NS1_11comp_targetILNS1_3genE4ELNS1_11target_archE910ELNS1_3gpuE8ELNS1_3repE0EEENS1_30default_config_static_selectorELNS0_4arch9wavefront6targetE1EEEvT1_,"axG",@progbits,_ZN7rocprim17ROCPRIM_400000_NS6detail17trampoline_kernelINS0_14default_configENS1_20scan_config_selectorIiEEZZNS1_9scan_implILNS1_25lookback_scan_determinismE0ELb0ELb0ES3_N6thrust23THRUST_200600_302600_NS6detail15normal_iteratorINS9_10device_ptrIiEEEENS9_16discard_iteratorINS9_11use_defaultEEEiNS9_4plusIvEEiEEDaPvRmT3_T4_T5_mT6_P12ihipStream_tbENKUlT_T0_E_clISt17integral_constantIbLb1EESX_EEDaSS_ST_EUlSS_E0_NS1_11comp_targetILNS1_3genE4ELNS1_11target_archE910ELNS1_3gpuE8ELNS1_3repE0EEENS1_30default_config_static_selectorELNS0_4arch9wavefront6targetE1EEEvT1_,comdat
	.protected	_ZN7rocprim17ROCPRIM_400000_NS6detail17trampoline_kernelINS0_14default_configENS1_20scan_config_selectorIiEEZZNS1_9scan_implILNS1_25lookback_scan_determinismE0ELb0ELb0ES3_N6thrust23THRUST_200600_302600_NS6detail15normal_iteratorINS9_10device_ptrIiEEEENS9_16discard_iteratorINS9_11use_defaultEEEiNS9_4plusIvEEiEEDaPvRmT3_T4_T5_mT6_P12ihipStream_tbENKUlT_T0_E_clISt17integral_constantIbLb1EESX_EEDaSS_ST_EUlSS_E0_NS1_11comp_targetILNS1_3genE4ELNS1_11target_archE910ELNS1_3gpuE8ELNS1_3repE0EEENS1_30default_config_static_selectorELNS0_4arch9wavefront6targetE1EEEvT1_ ; -- Begin function _ZN7rocprim17ROCPRIM_400000_NS6detail17trampoline_kernelINS0_14default_configENS1_20scan_config_selectorIiEEZZNS1_9scan_implILNS1_25lookback_scan_determinismE0ELb0ELb0ES3_N6thrust23THRUST_200600_302600_NS6detail15normal_iteratorINS9_10device_ptrIiEEEENS9_16discard_iteratorINS9_11use_defaultEEEiNS9_4plusIvEEiEEDaPvRmT3_T4_T5_mT6_P12ihipStream_tbENKUlT_T0_E_clISt17integral_constantIbLb1EESX_EEDaSS_ST_EUlSS_E0_NS1_11comp_targetILNS1_3genE4ELNS1_11target_archE910ELNS1_3gpuE8ELNS1_3repE0EEENS1_30default_config_static_selectorELNS0_4arch9wavefront6targetE1EEEvT1_
	.globl	_ZN7rocprim17ROCPRIM_400000_NS6detail17trampoline_kernelINS0_14default_configENS1_20scan_config_selectorIiEEZZNS1_9scan_implILNS1_25lookback_scan_determinismE0ELb0ELb0ES3_N6thrust23THRUST_200600_302600_NS6detail15normal_iteratorINS9_10device_ptrIiEEEENS9_16discard_iteratorINS9_11use_defaultEEEiNS9_4plusIvEEiEEDaPvRmT3_T4_T5_mT6_P12ihipStream_tbENKUlT_T0_E_clISt17integral_constantIbLb1EESX_EEDaSS_ST_EUlSS_E0_NS1_11comp_targetILNS1_3genE4ELNS1_11target_archE910ELNS1_3gpuE8ELNS1_3repE0EEENS1_30default_config_static_selectorELNS0_4arch9wavefront6targetE1EEEvT1_
	.p2align	8
	.type	_ZN7rocprim17ROCPRIM_400000_NS6detail17trampoline_kernelINS0_14default_configENS1_20scan_config_selectorIiEEZZNS1_9scan_implILNS1_25lookback_scan_determinismE0ELb0ELb0ES3_N6thrust23THRUST_200600_302600_NS6detail15normal_iteratorINS9_10device_ptrIiEEEENS9_16discard_iteratorINS9_11use_defaultEEEiNS9_4plusIvEEiEEDaPvRmT3_T4_T5_mT6_P12ihipStream_tbENKUlT_T0_E_clISt17integral_constantIbLb1EESX_EEDaSS_ST_EUlSS_E0_NS1_11comp_targetILNS1_3genE4ELNS1_11target_archE910ELNS1_3gpuE8ELNS1_3repE0EEENS1_30default_config_static_selectorELNS0_4arch9wavefront6targetE1EEEvT1_,@function
_ZN7rocprim17ROCPRIM_400000_NS6detail17trampoline_kernelINS0_14default_configENS1_20scan_config_selectorIiEEZZNS1_9scan_implILNS1_25lookback_scan_determinismE0ELb0ELb0ES3_N6thrust23THRUST_200600_302600_NS6detail15normal_iteratorINS9_10device_ptrIiEEEENS9_16discard_iteratorINS9_11use_defaultEEEiNS9_4plusIvEEiEEDaPvRmT3_T4_T5_mT6_P12ihipStream_tbENKUlT_T0_E_clISt17integral_constantIbLb1EESX_EEDaSS_ST_EUlSS_E0_NS1_11comp_targetILNS1_3genE4ELNS1_11target_archE910ELNS1_3gpuE8ELNS1_3repE0EEENS1_30default_config_static_selectorELNS0_4arch9wavefront6targetE1EEEvT1_: ; @_ZN7rocprim17ROCPRIM_400000_NS6detail17trampoline_kernelINS0_14default_configENS1_20scan_config_selectorIiEEZZNS1_9scan_implILNS1_25lookback_scan_determinismE0ELb0ELb0ES3_N6thrust23THRUST_200600_302600_NS6detail15normal_iteratorINS9_10device_ptrIiEEEENS9_16discard_iteratorINS9_11use_defaultEEEiNS9_4plusIvEEiEEDaPvRmT3_T4_T5_mT6_P12ihipStream_tbENKUlT_T0_E_clISt17integral_constantIbLb1EESX_EEDaSS_ST_EUlSS_E0_NS1_11comp_targetILNS1_3genE4ELNS1_11target_archE910ELNS1_3gpuE8ELNS1_3repE0EEENS1_30default_config_static_selectorELNS0_4arch9wavefront6targetE1EEEvT1_
; %bb.0:
	s_load_dwordx4 s[0:3], s[4:5], 0x0
	v_lshlrev_b32_e32 v20, 2, v0
	s_waitcnt lgkmcnt(0)
	s_load_dword s3, s[0:1], 0x0
	v_cmp_gt_u32_e32 vcc, s2, v0
	s_waitcnt lgkmcnt(0)
	v_mov_b32_e32 v1, s3
	s_and_saveexec_b64 s[4:5], vcc
	s_cbranch_execz .LBB5755_2
; %bb.1:
	global_load_dword v1, v20, s[0:1]
.LBB5755_2:
	s_or_b64 exec, exec, s[4:5]
	v_or_b32_e32 v2, 0x80, v0
	v_cmp_gt_u32_e32 vcc, s2, v2
	v_mov_b32_e32 v2, s3
	s_and_saveexec_b64 s[4:5], vcc
	s_cbranch_execz .LBB5755_4
; %bb.3:
	global_load_dword v2, v20, s[0:1] offset:512
.LBB5755_4:
	s_or_b64 exec, exec, s[4:5]
	v_or_b32_e32 v3, 0x100, v0
	v_cmp_gt_u32_e32 vcc, s2, v3
	v_mov_b32_e32 v3, s3
	s_and_saveexec_b64 s[4:5], vcc
	s_cbranch_execz .LBB5755_6
; %bb.5:
	global_load_dword v3, v20, s[0:1] offset:1024
.LBB5755_6:
	;; [unrolled: 9-line block ×7, first 2 shown]
	s_or_b64 exec, exec, s[4:5]
	v_or_b32_e32 v10, 0x400, v0
	v_cmp_gt_u32_e32 vcc, s2, v10
	v_mov_b32_e32 v9, s3
	s_and_saveexec_b64 s[4:5], vcc
	s_cbranch_execz .LBB5755_18
; %bb.17:
	v_lshlrev_b32_e32 v9, 2, v10
	global_load_dword v9, v9, s[0:1]
.LBB5755_18:
	s_or_b64 exec, exec, s[4:5]
	v_or_b32_e32 v11, 0x480, v0
	v_cmp_gt_u32_e32 vcc, s2, v11
	v_mov_b32_e32 v10, s3
	s_and_saveexec_b64 s[2:3], vcc
	s_cbranch_execz .LBB5755_20
; %bb.19:
	v_lshlrev_b32_e32 v10, 2, v11
	global_load_dword v10, v10, s[0:1]
.LBB5755_20:
	s_or_b64 exec, exec, s[2:3]
	s_waitcnt vmcnt(0)
	ds_write2st64_b32 v20, v1, v2 offset1:2
	ds_write2st64_b32 v20, v3, v4 offset0:4 offset1:6
	ds_write2st64_b32 v20, v5, v6 offset0:8 offset1:10
	;; [unrolled: 1-line block ×4, first 2 shown]
	v_mad_u32_u24 v1, v0, 36, v20
	s_waitcnt lgkmcnt(0)
	s_barrier
	ds_read2_b64 v[6:9], v1 offset1:1
	ds_read2_b64 v[2:5], v1 offset0:2 offset1:3
	ds_read_b64 v[18:19], v1 offset:32
	v_lshrrev_b32_e32 v21, 3, v0
	v_and_b32_e32 v21, 12, v21
	s_waitcnt lgkmcnt(2)
	v_add_u32_e32 v1, v7, v6
	v_add_u32_e32 v14, v1, v8
	;; [unrolled: 1-line block ×3, first 2 shown]
	s_waitcnt lgkmcnt(1)
	v_add_u32_e32 v10, v15, v2
	v_add_u32_e32 v11, v10, v3
	v_add_u32_e32 v12, v11, v4
	v_add_u32_e32 v13, v12, v5
	s_waitcnt lgkmcnt(0)
	v_add_u32_e32 v16, v13, v18
	v_add_u32_e32 v17, v16, v19
	;; [unrolled: 1-line block ×3, first 2 shown]
	v_cmp_gt_u32_e32 vcc, 64, v0
	s_barrier
	ds_write_b32 v21, v17
	s_waitcnt lgkmcnt(0)
	s_barrier
	s_and_saveexec_b64 s[0:1], vcc
	s_cbranch_execz .LBB5755_22
; %bb.21:
	v_lshlrev_b32_e32 v21, 1, v0
	v_lshrrev_b32_e32 v22, 4, v0
	v_add_lshl_u32 v21, v22, v21, 2
	ds_read2_b32 v[22:23], v21 offset1:1
	v_mbcnt_lo_u32_b32 v24, -1, 0
	v_mbcnt_hi_u32_b32 v24, -1, v24
	v_and_b32_e32 v25, 15, v24
	v_cmp_ne_u32_e32 vcc, 0, v25
	s_waitcnt lgkmcnt(0)
	v_add_u32_e32 v23, v23, v22
	; wave barrier
	s_nop 1
	v_mov_b32_dpp v26, v23 row_shr:1 row_mask:0xf bank_mask:0xf
	v_cndmask_b32_e32 v26, 0, v26, vcc
	v_add_u32_e32 v23, v26, v23
	v_cmp_lt_u32_e32 vcc, 1, v25
	s_nop 0
	v_mov_b32_dpp v26, v23 row_shr:2 row_mask:0xf bank_mask:0xf
	v_cndmask_b32_e32 v26, 0, v26, vcc
	v_add_u32_e32 v23, v23, v26
	v_cmp_lt_u32_e32 vcc, 3, v25
	;; [unrolled: 5-line block ×3, first 2 shown]
	s_nop 0
	v_mov_b32_dpp v26, v23 row_shr:8 row_mask:0xf bank_mask:0xf
	v_cndmask_b32_e32 v25, 0, v26, vcc
	v_add_u32_e32 v23, v23, v25
	v_bfe_i32 v26, v24, 4, 1
	v_cmp_lt_u32_e32 vcc, 31, v24
	v_mov_b32_dpp v25, v23 row_bcast:15 row_mask:0xf bank_mask:0xf
	v_and_b32_e32 v25, v26, v25
	v_add_u32_e32 v23, v23, v25
	v_and_b32_e32 v26, 64, v24
	s_nop 0
	v_mov_b32_dpp v25, v23 row_bcast:31 row_mask:0xf bank_mask:0xf
	v_cndmask_b32_e32 v25, 0, v25, vcc
	v_add_u32_e32 v23, v23, v25
	v_add_u32_e32 v25, -1, v24
	v_cmp_lt_i32_e32 vcc, v25, v26
	v_cndmask_b32_e32 v24, v25, v24, vcc
	v_lshlrev_b32_e32 v24, 2, v24
	ds_bpermute_b32 v23, v24, v23
	v_cmp_eq_u32_e32 vcc, 0, v0
	s_waitcnt lgkmcnt(0)
	v_add_u32_e32 v22, v23, v22
	v_cndmask_b32_e32 v22, v22, v17, vcc
	ds_write_b32 v21, v22
	; wave barrier
	ds_read_b32 v23, v21 offset:4
	s_waitcnt lgkmcnt(0)
	v_add_u32_e32 v22, v23, v22
	ds_write_b32 v21, v22 offset:4
.LBB5755_22:
	s_or_b64 exec, exec, s[0:1]
	v_cmp_ne_u32_e32 vcc, 0, v0
	v_mov_b32_e32 v22, v17
	s_waitcnt lgkmcnt(0)
	s_barrier
	s_and_saveexec_b64 s[0:1], vcc
	s_cbranch_execz .LBB5755_24
; %bb.23:
	v_add_u32_e32 v21, -1, v0
	v_lshrrev_b32_e32 v22, 5, v21
	v_add_lshl_u32 v21, v22, v21, 2
	ds_read_b32 v22, v21
.LBB5755_24:
	s_or_b64 exec, exec, s[0:1]
	v_mul_u32_u24_e32 v21, 36, v0
	v_mov_b32_e32 v0, v6
	s_and_saveexec_b64 s[0:1], vcc
	s_cbranch_execz .LBB5755_26
; %bb.25:
	s_waitcnt lgkmcnt(0)
	v_add_u32_e32 v0, v22, v6
	v_add_u32_e32 v1, v0, v7
	;; [unrolled: 1-line block ×10, first 2 shown]
	;;#ASMSTART
	;;#ASMEND
.LBB5755_26:
	s_or_b64 exec, exec, s[0:1]
	v_add_u32_e32 v2, v20, v21
	s_waitcnt lgkmcnt(0)
	s_barrier
	ds_write2_b64 v2, v[0:1], v[14:15] offset1:1
	ds_write2_b64 v2, v[10:11], v[12:13] offset0:2 offset1:3
	ds_write_b64 v2, v[16:17] offset:32
	s_waitcnt lgkmcnt(0)
	s_barrier
	s_endpgm
	.section	.rodata,"a",@progbits
	.p2align	6, 0x0
	.amdhsa_kernel _ZN7rocprim17ROCPRIM_400000_NS6detail17trampoline_kernelINS0_14default_configENS1_20scan_config_selectorIiEEZZNS1_9scan_implILNS1_25lookback_scan_determinismE0ELb0ELb0ES3_N6thrust23THRUST_200600_302600_NS6detail15normal_iteratorINS9_10device_ptrIiEEEENS9_16discard_iteratorINS9_11use_defaultEEEiNS9_4plusIvEEiEEDaPvRmT3_T4_T5_mT6_P12ihipStream_tbENKUlT_T0_E_clISt17integral_constantIbLb1EESX_EEDaSS_ST_EUlSS_E0_NS1_11comp_targetILNS1_3genE4ELNS1_11target_archE910ELNS1_3gpuE8ELNS1_3repE0EEENS1_30default_config_static_selectorELNS0_4arch9wavefront6targetE1EEEvT1_
		.amdhsa_group_segment_fixed_size 5120
		.amdhsa_private_segment_fixed_size 0
		.amdhsa_kernarg_size 40
		.amdhsa_user_sgpr_count 6
		.amdhsa_user_sgpr_private_segment_buffer 1
		.amdhsa_user_sgpr_dispatch_ptr 0
		.amdhsa_user_sgpr_queue_ptr 0
		.amdhsa_user_sgpr_kernarg_segment_ptr 1
		.amdhsa_user_sgpr_dispatch_id 0
		.amdhsa_user_sgpr_flat_scratch_init 0
		.amdhsa_user_sgpr_kernarg_preload_length 0
		.amdhsa_user_sgpr_kernarg_preload_offset 0
		.amdhsa_user_sgpr_private_segment_size 0
		.amdhsa_uses_dynamic_stack 0
		.amdhsa_system_sgpr_private_segment_wavefront_offset 0
		.amdhsa_system_sgpr_workgroup_id_x 1
		.amdhsa_system_sgpr_workgroup_id_y 0
		.amdhsa_system_sgpr_workgroup_id_z 0
		.amdhsa_system_sgpr_workgroup_info 0
		.amdhsa_system_vgpr_workitem_id 0
		.amdhsa_next_free_vgpr 27
		.amdhsa_next_free_sgpr 6
		.amdhsa_accum_offset 28
		.amdhsa_reserve_vcc 1
		.amdhsa_reserve_flat_scratch 0
		.amdhsa_float_round_mode_32 0
		.amdhsa_float_round_mode_16_64 0
		.amdhsa_float_denorm_mode_32 3
		.amdhsa_float_denorm_mode_16_64 3
		.amdhsa_dx10_clamp 1
		.amdhsa_ieee_mode 1
		.amdhsa_fp16_overflow 0
		.amdhsa_tg_split 0
		.amdhsa_exception_fp_ieee_invalid_op 0
		.amdhsa_exception_fp_denorm_src 0
		.amdhsa_exception_fp_ieee_div_zero 0
		.amdhsa_exception_fp_ieee_overflow 0
		.amdhsa_exception_fp_ieee_underflow 0
		.amdhsa_exception_fp_ieee_inexact 0
		.amdhsa_exception_int_div_zero 0
	.end_amdhsa_kernel
	.section	.text._ZN7rocprim17ROCPRIM_400000_NS6detail17trampoline_kernelINS0_14default_configENS1_20scan_config_selectorIiEEZZNS1_9scan_implILNS1_25lookback_scan_determinismE0ELb0ELb0ES3_N6thrust23THRUST_200600_302600_NS6detail15normal_iteratorINS9_10device_ptrIiEEEENS9_16discard_iteratorINS9_11use_defaultEEEiNS9_4plusIvEEiEEDaPvRmT3_T4_T5_mT6_P12ihipStream_tbENKUlT_T0_E_clISt17integral_constantIbLb1EESX_EEDaSS_ST_EUlSS_E0_NS1_11comp_targetILNS1_3genE4ELNS1_11target_archE910ELNS1_3gpuE8ELNS1_3repE0EEENS1_30default_config_static_selectorELNS0_4arch9wavefront6targetE1EEEvT1_,"axG",@progbits,_ZN7rocprim17ROCPRIM_400000_NS6detail17trampoline_kernelINS0_14default_configENS1_20scan_config_selectorIiEEZZNS1_9scan_implILNS1_25lookback_scan_determinismE0ELb0ELb0ES3_N6thrust23THRUST_200600_302600_NS6detail15normal_iteratorINS9_10device_ptrIiEEEENS9_16discard_iteratorINS9_11use_defaultEEEiNS9_4plusIvEEiEEDaPvRmT3_T4_T5_mT6_P12ihipStream_tbENKUlT_T0_E_clISt17integral_constantIbLb1EESX_EEDaSS_ST_EUlSS_E0_NS1_11comp_targetILNS1_3genE4ELNS1_11target_archE910ELNS1_3gpuE8ELNS1_3repE0EEENS1_30default_config_static_selectorELNS0_4arch9wavefront6targetE1EEEvT1_,comdat
.Lfunc_end5755:
	.size	_ZN7rocprim17ROCPRIM_400000_NS6detail17trampoline_kernelINS0_14default_configENS1_20scan_config_selectorIiEEZZNS1_9scan_implILNS1_25lookback_scan_determinismE0ELb0ELb0ES3_N6thrust23THRUST_200600_302600_NS6detail15normal_iteratorINS9_10device_ptrIiEEEENS9_16discard_iteratorINS9_11use_defaultEEEiNS9_4plusIvEEiEEDaPvRmT3_T4_T5_mT6_P12ihipStream_tbENKUlT_T0_E_clISt17integral_constantIbLb1EESX_EEDaSS_ST_EUlSS_E0_NS1_11comp_targetILNS1_3genE4ELNS1_11target_archE910ELNS1_3gpuE8ELNS1_3repE0EEENS1_30default_config_static_selectorELNS0_4arch9wavefront6targetE1EEEvT1_, .Lfunc_end5755-_ZN7rocprim17ROCPRIM_400000_NS6detail17trampoline_kernelINS0_14default_configENS1_20scan_config_selectorIiEEZZNS1_9scan_implILNS1_25lookback_scan_determinismE0ELb0ELb0ES3_N6thrust23THRUST_200600_302600_NS6detail15normal_iteratorINS9_10device_ptrIiEEEENS9_16discard_iteratorINS9_11use_defaultEEEiNS9_4plusIvEEiEEDaPvRmT3_T4_T5_mT6_P12ihipStream_tbENKUlT_T0_E_clISt17integral_constantIbLb1EESX_EEDaSS_ST_EUlSS_E0_NS1_11comp_targetILNS1_3genE4ELNS1_11target_archE910ELNS1_3gpuE8ELNS1_3repE0EEENS1_30default_config_static_selectorELNS0_4arch9wavefront6targetE1EEEvT1_
                                        ; -- End function
	.section	.AMDGPU.csdata,"",@progbits
; Kernel info:
; codeLenInByte = 1004
; NumSgprs: 10
; NumVgprs: 27
; NumAgprs: 0
; TotalNumVgprs: 27
; ScratchSize: 0
; MemoryBound: 0
; FloatMode: 240
; IeeeMode: 1
; LDSByteSize: 5120 bytes/workgroup (compile time only)
; SGPRBlocks: 1
; VGPRBlocks: 3
; NumSGPRsForWavesPerEU: 10
; NumVGPRsForWavesPerEU: 27
; AccumOffset: 28
; Occupancy: 6
; WaveLimiterHint : 0
; COMPUTE_PGM_RSRC2:SCRATCH_EN: 0
; COMPUTE_PGM_RSRC2:USER_SGPR: 6
; COMPUTE_PGM_RSRC2:TRAP_HANDLER: 0
; COMPUTE_PGM_RSRC2:TGID_X_EN: 1
; COMPUTE_PGM_RSRC2:TGID_Y_EN: 0
; COMPUTE_PGM_RSRC2:TGID_Z_EN: 0
; COMPUTE_PGM_RSRC2:TIDIG_COMP_CNT: 0
; COMPUTE_PGM_RSRC3_GFX90A:ACCUM_OFFSET: 6
; COMPUTE_PGM_RSRC3_GFX90A:TG_SPLIT: 0
	.section	.text._ZN7rocprim17ROCPRIM_400000_NS6detail17trampoline_kernelINS0_14default_configENS1_20scan_config_selectorIiEEZZNS1_9scan_implILNS1_25lookback_scan_determinismE0ELb0ELb0ES3_N6thrust23THRUST_200600_302600_NS6detail15normal_iteratorINS9_10device_ptrIiEEEENS9_16discard_iteratorINS9_11use_defaultEEEiNS9_4plusIvEEiEEDaPvRmT3_T4_T5_mT6_P12ihipStream_tbENKUlT_T0_E_clISt17integral_constantIbLb1EESX_EEDaSS_ST_EUlSS_E0_NS1_11comp_targetILNS1_3genE3ELNS1_11target_archE908ELNS1_3gpuE7ELNS1_3repE0EEENS1_30default_config_static_selectorELNS0_4arch9wavefront6targetE1EEEvT1_,"axG",@progbits,_ZN7rocprim17ROCPRIM_400000_NS6detail17trampoline_kernelINS0_14default_configENS1_20scan_config_selectorIiEEZZNS1_9scan_implILNS1_25lookback_scan_determinismE0ELb0ELb0ES3_N6thrust23THRUST_200600_302600_NS6detail15normal_iteratorINS9_10device_ptrIiEEEENS9_16discard_iteratorINS9_11use_defaultEEEiNS9_4plusIvEEiEEDaPvRmT3_T4_T5_mT6_P12ihipStream_tbENKUlT_T0_E_clISt17integral_constantIbLb1EESX_EEDaSS_ST_EUlSS_E0_NS1_11comp_targetILNS1_3genE3ELNS1_11target_archE908ELNS1_3gpuE7ELNS1_3repE0EEENS1_30default_config_static_selectorELNS0_4arch9wavefront6targetE1EEEvT1_,comdat
	.protected	_ZN7rocprim17ROCPRIM_400000_NS6detail17trampoline_kernelINS0_14default_configENS1_20scan_config_selectorIiEEZZNS1_9scan_implILNS1_25lookback_scan_determinismE0ELb0ELb0ES3_N6thrust23THRUST_200600_302600_NS6detail15normal_iteratorINS9_10device_ptrIiEEEENS9_16discard_iteratorINS9_11use_defaultEEEiNS9_4plusIvEEiEEDaPvRmT3_T4_T5_mT6_P12ihipStream_tbENKUlT_T0_E_clISt17integral_constantIbLb1EESX_EEDaSS_ST_EUlSS_E0_NS1_11comp_targetILNS1_3genE3ELNS1_11target_archE908ELNS1_3gpuE7ELNS1_3repE0EEENS1_30default_config_static_selectorELNS0_4arch9wavefront6targetE1EEEvT1_ ; -- Begin function _ZN7rocprim17ROCPRIM_400000_NS6detail17trampoline_kernelINS0_14default_configENS1_20scan_config_selectorIiEEZZNS1_9scan_implILNS1_25lookback_scan_determinismE0ELb0ELb0ES3_N6thrust23THRUST_200600_302600_NS6detail15normal_iteratorINS9_10device_ptrIiEEEENS9_16discard_iteratorINS9_11use_defaultEEEiNS9_4plusIvEEiEEDaPvRmT3_T4_T5_mT6_P12ihipStream_tbENKUlT_T0_E_clISt17integral_constantIbLb1EESX_EEDaSS_ST_EUlSS_E0_NS1_11comp_targetILNS1_3genE3ELNS1_11target_archE908ELNS1_3gpuE7ELNS1_3repE0EEENS1_30default_config_static_selectorELNS0_4arch9wavefront6targetE1EEEvT1_
	.globl	_ZN7rocprim17ROCPRIM_400000_NS6detail17trampoline_kernelINS0_14default_configENS1_20scan_config_selectorIiEEZZNS1_9scan_implILNS1_25lookback_scan_determinismE0ELb0ELb0ES3_N6thrust23THRUST_200600_302600_NS6detail15normal_iteratorINS9_10device_ptrIiEEEENS9_16discard_iteratorINS9_11use_defaultEEEiNS9_4plusIvEEiEEDaPvRmT3_T4_T5_mT6_P12ihipStream_tbENKUlT_T0_E_clISt17integral_constantIbLb1EESX_EEDaSS_ST_EUlSS_E0_NS1_11comp_targetILNS1_3genE3ELNS1_11target_archE908ELNS1_3gpuE7ELNS1_3repE0EEENS1_30default_config_static_selectorELNS0_4arch9wavefront6targetE1EEEvT1_
	.p2align	8
	.type	_ZN7rocprim17ROCPRIM_400000_NS6detail17trampoline_kernelINS0_14default_configENS1_20scan_config_selectorIiEEZZNS1_9scan_implILNS1_25lookback_scan_determinismE0ELb0ELb0ES3_N6thrust23THRUST_200600_302600_NS6detail15normal_iteratorINS9_10device_ptrIiEEEENS9_16discard_iteratorINS9_11use_defaultEEEiNS9_4plusIvEEiEEDaPvRmT3_T4_T5_mT6_P12ihipStream_tbENKUlT_T0_E_clISt17integral_constantIbLb1EESX_EEDaSS_ST_EUlSS_E0_NS1_11comp_targetILNS1_3genE3ELNS1_11target_archE908ELNS1_3gpuE7ELNS1_3repE0EEENS1_30default_config_static_selectorELNS0_4arch9wavefront6targetE1EEEvT1_,@function
_ZN7rocprim17ROCPRIM_400000_NS6detail17trampoline_kernelINS0_14default_configENS1_20scan_config_selectorIiEEZZNS1_9scan_implILNS1_25lookback_scan_determinismE0ELb0ELb0ES3_N6thrust23THRUST_200600_302600_NS6detail15normal_iteratorINS9_10device_ptrIiEEEENS9_16discard_iteratorINS9_11use_defaultEEEiNS9_4plusIvEEiEEDaPvRmT3_T4_T5_mT6_P12ihipStream_tbENKUlT_T0_E_clISt17integral_constantIbLb1EESX_EEDaSS_ST_EUlSS_E0_NS1_11comp_targetILNS1_3genE3ELNS1_11target_archE908ELNS1_3gpuE7ELNS1_3repE0EEENS1_30default_config_static_selectorELNS0_4arch9wavefront6targetE1EEEvT1_: ; @_ZN7rocprim17ROCPRIM_400000_NS6detail17trampoline_kernelINS0_14default_configENS1_20scan_config_selectorIiEEZZNS1_9scan_implILNS1_25lookback_scan_determinismE0ELb0ELb0ES3_N6thrust23THRUST_200600_302600_NS6detail15normal_iteratorINS9_10device_ptrIiEEEENS9_16discard_iteratorINS9_11use_defaultEEEiNS9_4plusIvEEiEEDaPvRmT3_T4_T5_mT6_P12ihipStream_tbENKUlT_T0_E_clISt17integral_constantIbLb1EESX_EEDaSS_ST_EUlSS_E0_NS1_11comp_targetILNS1_3genE3ELNS1_11target_archE908ELNS1_3gpuE7ELNS1_3repE0EEENS1_30default_config_static_selectorELNS0_4arch9wavefront6targetE1EEEvT1_
; %bb.0:
	.section	.rodata,"a",@progbits
	.p2align	6, 0x0
	.amdhsa_kernel _ZN7rocprim17ROCPRIM_400000_NS6detail17trampoline_kernelINS0_14default_configENS1_20scan_config_selectorIiEEZZNS1_9scan_implILNS1_25lookback_scan_determinismE0ELb0ELb0ES3_N6thrust23THRUST_200600_302600_NS6detail15normal_iteratorINS9_10device_ptrIiEEEENS9_16discard_iteratorINS9_11use_defaultEEEiNS9_4plusIvEEiEEDaPvRmT3_T4_T5_mT6_P12ihipStream_tbENKUlT_T0_E_clISt17integral_constantIbLb1EESX_EEDaSS_ST_EUlSS_E0_NS1_11comp_targetILNS1_3genE3ELNS1_11target_archE908ELNS1_3gpuE7ELNS1_3repE0EEENS1_30default_config_static_selectorELNS0_4arch9wavefront6targetE1EEEvT1_
		.amdhsa_group_segment_fixed_size 0
		.amdhsa_private_segment_fixed_size 0
		.amdhsa_kernarg_size 40
		.amdhsa_user_sgpr_count 6
		.amdhsa_user_sgpr_private_segment_buffer 1
		.amdhsa_user_sgpr_dispatch_ptr 0
		.amdhsa_user_sgpr_queue_ptr 0
		.amdhsa_user_sgpr_kernarg_segment_ptr 1
		.amdhsa_user_sgpr_dispatch_id 0
		.amdhsa_user_sgpr_flat_scratch_init 0
		.amdhsa_user_sgpr_kernarg_preload_length 0
		.amdhsa_user_sgpr_kernarg_preload_offset 0
		.amdhsa_user_sgpr_private_segment_size 0
		.amdhsa_uses_dynamic_stack 0
		.amdhsa_system_sgpr_private_segment_wavefront_offset 0
		.amdhsa_system_sgpr_workgroup_id_x 1
		.amdhsa_system_sgpr_workgroup_id_y 0
		.amdhsa_system_sgpr_workgroup_id_z 0
		.amdhsa_system_sgpr_workgroup_info 0
		.amdhsa_system_vgpr_workitem_id 0
		.amdhsa_next_free_vgpr 1
		.amdhsa_next_free_sgpr 0
		.amdhsa_accum_offset 4
		.amdhsa_reserve_vcc 0
		.amdhsa_reserve_flat_scratch 0
		.amdhsa_float_round_mode_32 0
		.amdhsa_float_round_mode_16_64 0
		.amdhsa_float_denorm_mode_32 3
		.amdhsa_float_denorm_mode_16_64 3
		.amdhsa_dx10_clamp 1
		.amdhsa_ieee_mode 1
		.amdhsa_fp16_overflow 0
		.amdhsa_tg_split 0
		.amdhsa_exception_fp_ieee_invalid_op 0
		.amdhsa_exception_fp_denorm_src 0
		.amdhsa_exception_fp_ieee_div_zero 0
		.amdhsa_exception_fp_ieee_overflow 0
		.amdhsa_exception_fp_ieee_underflow 0
		.amdhsa_exception_fp_ieee_inexact 0
		.amdhsa_exception_int_div_zero 0
	.end_amdhsa_kernel
	.section	.text._ZN7rocprim17ROCPRIM_400000_NS6detail17trampoline_kernelINS0_14default_configENS1_20scan_config_selectorIiEEZZNS1_9scan_implILNS1_25lookback_scan_determinismE0ELb0ELb0ES3_N6thrust23THRUST_200600_302600_NS6detail15normal_iteratorINS9_10device_ptrIiEEEENS9_16discard_iteratorINS9_11use_defaultEEEiNS9_4plusIvEEiEEDaPvRmT3_T4_T5_mT6_P12ihipStream_tbENKUlT_T0_E_clISt17integral_constantIbLb1EESX_EEDaSS_ST_EUlSS_E0_NS1_11comp_targetILNS1_3genE3ELNS1_11target_archE908ELNS1_3gpuE7ELNS1_3repE0EEENS1_30default_config_static_selectorELNS0_4arch9wavefront6targetE1EEEvT1_,"axG",@progbits,_ZN7rocprim17ROCPRIM_400000_NS6detail17trampoline_kernelINS0_14default_configENS1_20scan_config_selectorIiEEZZNS1_9scan_implILNS1_25lookback_scan_determinismE0ELb0ELb0ES3_N6thrust23THRUST_200600_302600_NS6detail15normal_iteratorINS9_10device_ptrIiEEEENS9_16discard_iteratorINS9_11use_defaultEEEiNS9_4plusIvEEiEEDaPvRmT3_T4_T5_mT6_P12ihipStream_tbENKUlT_T0_E_clISt17integral_constantIbLb1EESX_EEDaSS_ST_EUlSS_E0_NS1_11comp_targetILNS1_3genE3ELNS1_11target_archE908ELNS1_3gpuE7ELNS1_3repE0EEENS1_30default_config_static_selectorELNS0_4arch9wavefront6targetE1EEEvT1_,comdat
.Lfunc_end5756:
	.size	_ZN7rocprim17ROCPRIM_400000_NS6detail17trampoline_kernelINS0_14default_configENS1_20scan_config_selectorIiEEZZNS1_9scan_implILNS1_25lookback_scan_determinismE0ELb0ELb0ES3_N6thrust23THRUST_200600_302600_NS6detail15normal_iteratorINS9_10device_ptrIiEEEENS9_16discard_iteratorINS9_11use_defaultEEEiNS9_4plusIvEEiEEDaPvRmT3_T4_T5_mT6_P12ihipStream_tbENKUlT_T0_E_clISt17integral_constantIbLb1EESX_EEDaSS_ST_EUlSS_E0_NS1_11comp_targetILNS1_3genE3ELNS1_11target_archE908ELNS1_3gpuE7ELNS1_3repE0EEENS1_30default_config_static_selectorELNS0_4arch9wavefront6targetE1EEEvT1_, .Lfunc_end5756-_ZN7rocprim17ROCPRIM_400000_NS6detail17trampoline_kernelINS0_14default_configENS1_20scan_config_selectorIiEEZZNS1_9scan_implILNS1_25lookback_scan_determinismE0ELb0ELb0ES3_N6thrust23THRUST_200600_302600_NS6detail15normal_iteratorINS9_10device_ptrIiEEEENS9_16discard_iteratorINS9_11use_defaultEEEiNS9_4plusIvEEiEEDaPvRmT3_T4_T5_mT6_P12ihipStream_tbENKUlT_T0_E_clISt17integral_constantIbLb1EESX_EEDaSS_ST_EUlSS_E0_NS1_11comp_targetILNS1_3genE3ELNS1_11target_archE908ELNS1_3gpuE7ELNS1_3repE0EEENS1_30default_config_static_selectorELNS0_4arch9wavefront6targetE1EEEvT1_
                                        ; -- End function
	.section	.AMDGPU.csdata,"",@progbits
; Kernel info:
; codeLenInByte = 0
; NumSgprs: 4
; NumVgprs: 0
; NumAgprs: 0
; TotalNumVgprs: 0
; ScratchSize: 0
; MemoryBound: 0
; FloatMode: 240
; IeeeMode: 1
; LDSByteSize: 0 bytes/workgroup (compile time only)
; SGPRBlocks: 0
; VGPRBlocks: 0
; NumSGPRsForWavesPerEU: 4
; NumVGPRsForWavesPerEU: 1
; AccumOffset: 4
; Occupancy: 8
; WaveLimiterHint : 0
; COMPUTE_PGM_RSRC2:SCRATCH_EN: 0
; COMPUTE_PGM_RSRC2:USER_SGPR: 6
; COMPUTE_PGM_RSRC2:TRAP_HANDLER: 0
; COMPUTE_PGM_RSRC2:TGID_X_EN: 1
; COMPUTE_PGM_RSRC2:TGID_Y_EN: 0
; COMPUTE_PGM_RSRC2:TGID_Z_EN: 0
; COMPUTE_PGM_RSRC2:TIDIG_COMP_CNT: 0
; COMPUTE_PGM_RSRC3_GFX90A:ACCUM_OFFSET: 0
; COMPUTE_PGM_RSRC3_GFX90A:TG_SPLIT: 0
	.section	.text._ZN7rocprim17ROCPRIM_400000_NS6detail17trampoline_kernelINS0_14default_configENS1_20scan_config_selectorIiEEZZNS1_9scan_implILNS1_25lookback_scan_determinismE0ELb0ELb0ES3_N6thrust23THRUST_200600_302600_NS6detail15normal_iteratorINS9_10device_ptrIiEEEENS9_16discard_iteratorINS9_11use_defaultEEEiNS9_4plusIvEEiEEDaPvRmT3_T4_T5_mT6_P12ihipStream_tbENKUlT_T0_E_clISt17integral_constantIbLb1EESX_EEDaSS_ST_EUlSS_E0_NS1_11comp_targetILNS1_3genE2ELNS1_11target_archE906ELNS1_3gpuE6ELNS1_3repE0EEENS1_30default_config_static_selectorELNS0_4arch9wavefront6targetE1EEEvT1_,"axG",@progbits,_ZN7rocprim17ROCPRIM_400000_NS6detail17trampoline_kernelINS0_14default_configENS1_20scan_config_selectorIiEEZZNS1_9scan_implILNS1_25lookback_scan_determinismE0ELb0ELb0ES3_N6thrust23THRUST_200600_302600_NS6detail15normal_iteratorINS9_10device_ptrIiEEEENS9_16discard_iteratorINS9_11use_defaultEEEiNS9_4plusIvEEiEEDaPvRmT3_T4_T5_mT6_P12ihipStream_tbENKUlT_T0_E_clISt17integral_constantIbLb1EESX_EEDaSS_ST_EUlSS_E0_NS1_11comp_targetILNS1_3genE2ELNS1_11target_archE906ELNS1_3gpuE6ELNS1_3repE0EEENS1_30default_config_static_selectorELNS0_4arch9wavefront6targetE1EEEvT1_,comdat
	.protected	_ZN7rocprim17ROCPRIM_400000_NS6detail17trampoline_kernelINS0_14default_configENS1_20scan_config_selectorIiEEZZNS1_9scan_implILNS1_25lookback_scan_determinismE0ELb0ELb0ES3_N6thrust23THRUST_200600_302600_NS6detail15normal_iteratorINS9_10device_ptrIiEEEENS9_16discard_iteratorINS9_11use_defaultEEEiNS9_4plusIvEEiEEDaPvRmT3_T4_T5_mT6_P12ihipStream_tbENKUlT_T0_E_clISt17integral_constantIbLb1EESX_EEDaSS_ST_EUlSS_E0_NS1_11comp_targetILNS1_3genE2ELNS1_11target_archE906ELNS1_3gpuE6ELNS1_3repE0EEENS1_30default_config_static_selectorELNS0_4arch9wavefront6targetE1EEEvT1_ ; -- Begin function _ZN7rocprim17ROCPRIM_400000_NS6detail17trampoline_kernelINS0_14default_configENS1_20scan_config_selectorIiEEZZNS1_9scan_implILNS1_25lookback_scan_determinismE0ELb0ELb0ES3_N6thrust23THRUST_200600_302600_NS6detail15normal_iteratorINS9_10device_ptrIiEEEENS9_16discard_iteratorINS9_11use_defaultEEEiNS9_4plusIvEEiEEDaPvRmT3_T4_T5_mT6_P12ihipStream_tbENKUlT_T0_E_clISt17integral_constantIbLb1EESX_EEDaSS_ST_EUlSS_E0_NS1_11comp_targetILNS1_3genE2ELNS1_11target_archE906ELNS1_3gpuE6ELNS1_3repE0EEENS1_30default_config_static_selectorELNS0_4arch9wavefront6targetE1EEEvT1_
	.globl	_ZN7rocprim17ROCPRIM_400000_NS6detail17trampoline_kernelINS0_14default_configENS1_20scan_config_selectorIiEEZZNS1_9scan_implILNS1_25lookback_scan_determinismE0ELb0ELb0ES3_N6thrust23THRUST_200600_302600_NS6detail15normal_iteratorINS9_10device_ptrIiEEEENS9_16discard_iteratorINS9_11use_defaultEEEiNS9_4plusIvEEiEEDaPvRmT3_T4_T5_mT6_P12ihipStream_tbENKUlT_T0_E_clISt17integral_constantIbLb1EESX_EEDaSS_ST_EUlSS_E0_NS1_11comp_targetILNS1_3genE2ELNS1_11target_archE906ELNS1_3gpuE6ELNS1_3repE0EEENS1_30default_config_static_selectorELNS0_4arch9wavefront6targetE1EEEvT1_
	.p2align	8
	.type	_ZN7rocprim17ROCPRIM_400000_NS6detail17trampoline_kernelINS0_14default_configENS1_20scan_config_selectorIiEEZZNS1_9scan_implILNS1_25lookback_scan_determinismE0ELb0ELb0ES3_N6thrust23THRUST_200600_302600_NS6detail15normal_iteratorINS9_10device_ptrIiEEEENS9_16discard_iteratorINS9_11use_defaultEEEiNS9_4plusIvEEiEEDaPvRmT3_T4_T5_mT6_P12ihipStream_tbENKUlT_T0_E_clISt17integral_constantIbLb1EESX_EEDaSS_ST_EUlSS_E0_NS1_11comp_targetILNS1_3genE2ELNS1_11target_archE906ELNS1_3gpuE6ELNS1_3repE0EEENS1_30default_config_static_selectorELNS0_4arch9wavefront6targetE1EEEvT1_,@function
_ZN7rocprim17ROCPRIM_400000_NS6detail17trampoline_kernelINS0_14default_configENS1_20scan_config_selectorIiEEZZNS1_9scan_implILNS1_25lookback_scan_determinismE0ELb0ELb0ES3_N6thrust23THRUST_200600_302600_NS6detail15normal_iteratorINS9_10device_ptrIiEEEENS9_16discard_iteratorINS9_11use_defaultEEEiNS9_4plusIvEEiEEDaPvRmT3_T4_T5_mT6_P12ihipStream_tbENKUlT_T0_E_clISt17integral_constantIbLb1EESX_EEDaSS_ST_EUlSS_E0_NS1_11comp_targetILNS1_3genE2ELNS1_11target_archE906ELNS1_3gpuE6ELNS1_3repE0EEENS1_30default_config_static_selectorELNS0_4arch9wavefront6targetE1EEEvT1_: ; @_ZN7rocprim17ROCPRIM_400000_NS6detail17trampoline_kernelINS0_14default_configENS1_20scan_config_selectorIiEEZZNS1_9scan_implILNS1_25lookback_scan_determinismE0ELb0ELb0ES3_N6thrust23THRUST_200600_302600_NS6detail15normal_iteratorINS9_10device_ptrIiEEEENS9_16discard_iteratorINS9_11use_defaultEEEiNS9_4plusIvEEiEEDaPvRmT3_T4_T5_mT6_P12ihipStream_tbENKUlT_T0_E_clISt17integral_constantIbLb1EESX_EEDaSS_ST_EUlSS_E0_NS1_11comp_targetILNS1_3genE2ELNS1_11target_archE906ELNS1_3gpuE6ELNS1_3repE0EEENS1_30default_config_static_selectorELNS0_4arch9wavefront6targetE1EEEvT1_
; %bb.0:
	.section	.rodata,"a",@progbits
	.p2align	6, 0x0
	.amdhsa_kernel _ZN7rocprim17ROCPRIM_400000_NS6detail17trampoline_kernelINS0_14default_configENS1_20scan_config_selectorIiEEZZNS1_9scan_implILNS1_25lookback_scan_determinismE0ELb0ELb0ES3_N6thrust23THRUST_200600_302600_NS6detail15normal_iteratorINS9_10device_ptrIiEEEENS9_16discard_iteratorINS9_11use_defaultEEEiNS9_4plusIvEEiEEDaPvRmT3_T4_T5_mT6_P12ihipStream_tbENKUlT_T0_E_clISt17integral_constantIbLb1EESX_EEDaSS_ST_EUlSS_E0_NS1_11comp_targetILNS1_3genE2ELNS1_11target_archE906ELNS1_3gpuE6ELNS1_3repE0EEENS1_30default_config_static_selectorELNS0_4arch9wavefront6targetE1EEEvT1_
		.amdhsa_group_segment_fixed_size 0
		.amdhsa_private_segment_fixed_size 0
		.amdhsa_kernarg_size 40
		.amdhsa_user_sgpr_count 6
		.amdhsa_user_sgpr_private_segment_buffer 1
		.amdhsa_user_sgpr_dispatch_ptr 0
		.amdhsa_user_sgpr_queue_ptr 0
		.amdhsa_user_sgpr_kernarg_segment_ptr 1
		.amdhsa_user_sgpr_dispatch_id 0
		.amdhsa_user_sgpr_flat_scratch_init 0
		.amdhsa_user_sgpr_kernarg_preload_length 0
		.amdhsa_user_sgpr_kernarg_preload_offset 0
		.amdhsa_user_sgpr_private_segment_size 0
		.amdhsa_uses_dynamic_stack 0
		.amdhsa_system_sgpr_private_segment_wavefront_offset 0
		.amdhsa_system_sgpr_workgroup_id_x 1
		.amdhsa_system_sgpr_workgroup_id_y 0
		.amdhsa_system_sgpr_workgroup_id_z 0
		.amdhsa_system_sgpr_workgroup_info 0
		.amdhsa_system_vgpr_workitem_id 0
		.amdhsa_next_free_vgpr 1
		.amdhsa_next_free_sgpr 0
		.amdhsa_accum_offset 4
		.amdhsa_reserve_vcc 0
		.amdhsa_reserve_flat_scratch 0
		.amdhsa_float_round_mode_32 0
		.amdhsa_float_round_mode_16_64 0
		.amdhsa_float_denorm_mode_32 3
		.amdhsa_float_denorm_mode_16_64 3
		.amdhsa_dx10_clamp 1
		.amdhsa_ieee_mode 1
		.amdhsa_fp16_overflow 0
		.amdhsa_tg_split 0
		.amdhsa_exception_fp_ieee_invalid_op 0
		.amdhsa_exception_fp_denorm_src 0
		.amdhsa_exception_fp_ieee_div_zero 0
		.amdhsa_exception_fp_ieee_overflow 0
		.amdhsa_exception_fp_ieee_underflow 0
		.amdhsa_exception_fp_ieee_inexact 0
		.amdhsa_exception_int_div_zero 0
	.end_amdhsa_kernel
	.section	.text._ZN7rocprim17ROCPRIM_400000_NS6detail17trampoline_kernelINS0_14default_configENS1_20scan_config_selectorIiEEZZNS1_9scan_implILNS1_25lookback_scan_determinismE0ELb0ELb0ES3_N6thrust23THRUST_200600_302600_NS6detail15normal_iteratorINS9_10device_ptrIiEEEENS9_16discard_iteratorINS9_11use_defaultEEEiNS9_4plusIvEEiEEDaPvRmT3_T4_T5_mT6_P12ihipStream_tbENKUlT_T0_E_clISt17integral_constantIbLb1EESX_EEDaSS_ST_EUlSS_E0_NS1_11comp_targetILNS1_3genE2ELNS1_11target_archE906ELNS1_3gpuE6ELNS1_3repE0EEENS1_30default_config_static_selectorELNS0_4arch9wavefront6targetE1EEEvT1_,"axG",@progbits,_ZN7rocprim17ROCPRIM_400000_NS6detail17trampoline_kernelINS0_14default_configENS1_20scan_config_selectorIiEEZZNS1_9scan_implILNS1_25lookback_scan_determinismE0ELb0ELb0ES3_N6thrust23THRUST_200600_302600_NS6detail15normal_iteratorINS9_10device_ptrIiEEEENS9_16discard_iteratorINS9_11use_defaultEEEiNS9_4plusIvEEiEEDaPvRmT3_T4_T5_mT6_P12ihipStream_tbENKUlT_T0_E_clISt17integral_constantIbLb1EESX_EEDaSS_ST_EUlSS_E0_NS1_11comp_targetILNS1_3genE2ELNS1_11target_archE906ELNS1_3gpuE6ELNS1_3repE0EEENS1_30default_config_static_selectorELNS0_4arch9wavefront6targetE1EEEvT1_,comdat
.Lfunc_end5757:
	.size	_ZN7rocprim17ROCPRIM_400000_NS6detail17trampoline_kernelINS0_14default_configENS1_20scan_config_selectorIiEEZZNS1_9scan_implILNS1_25lookback_scan_determinismE0ELb0ELb0ES3_N6thrust23THRUST_200600_302600_NS6detail15normal_iteratorINS9_10device_ptrIiEEEENS9_16discard_iteratorINS9_11use_defaultEEEiNS9_4plusIvEEiEEDaPvRmT3_T4_T5_mT6_P12ihipStream_tbENKUlT_T0_E_clISt17integral_constantIbLb1EESX_EEDaSS_ST_EUlSS_E0_NS1_11comp_targetILNS1_3genE2ELNS1_11target_archE906ELNS1_3gpuE6ELNS1_3repE0EEENS1_30default_config_static_selectorELNS0_4arch9wavefront6targetE1EEEvT1_, .Lfunc_end5757-_ZN7rocprim17ROCPRIM_400000_NS6detail17trampoline_kernelINS0_14default_configENS1_20scan_config_selectorIiEEZZNS1_9scan_implILNS1_25lookback_scan_determinismE0ELb0ELb0ES3_N6thrust23THRUST_200600_302600_NS6detail15normal_iteratorINS9_10device_ptrIiEEEENS9_16discard_iteratorINS9_11use_defaultEEEiNS9_4plusIvEEiEEDaPvRmT3_T4_T5_mT6_P12ihipStream_tbENKUlT_T0_E_clISt17integral_constantIbLb1EESX_EEDaSS_ST_EUlSS_E0_NS1_11comp_targetILNS1_3genE2ELNS1_11target_archE906ELNS1_3gpuE6ELNS1_3repE0EEENS1_30default_config_static_selectorELNS0_4arch9wavefront6targetE1EEEvT1_
                                        ; -- End function
	.section	.AMDGPU.csdata,"",@progbits
; Kernel info:
; codeLenInByte = 0
; NumSgprs: 4
; NumVgprs: 0
; NumAgprs: 0
; TotalNumVgprs: 0
; ScratchSize: 0
; MemoryBound: 0
; FloatMode: 240
; IeeeMode: 1
; LDSByteSize: 0 bytes/workgroup (compile time only)
; SGPRBlocks: 0
; VGPRBlocks: 0
; NumSGPRsForWavesPerEU: 4
; NumVGPRsForWavesPerEU: 1
; AccumOffset: 4
; Occupancy: 8
; WaveLimiterHint : 0
; COMPUTE_PGM_RSRC2:SCRATCH_EN: 0
; COMPUTE_PGM_RSRC2:USER_SGPR: 6
; COMPUTE_PGM_RSRC2:TRAP_HANDLER: 0
; COMPUTE_PGM_RSRC2:TGID_X_EN: 1
; COMPUTE_PGM_RSRC2:TGID_Y_EN: 0
; COMPUTE_PGM_RSRC2:TGID_Z_EN: 0
; COMPUTE_PGM_RSRC2:TIDIG_COMP_CNT: 0
; COMPUTE_PGM_RSRC3_GFX90A:ACCUM_OFFSET: 0
; COMPUTE_PGM_RSRC3_GFX90A:TG_SPLIT: 0
	.section	.text._ZN7rocprim17ROCPRIM_400000_NS6detail17trampoline_kernelINS0_14default_configENS1_20scan_config_selectorIiEEZZNS1_9scan_implILNS1_25lookback_scan_determinismE0ELb0ELb0ES3_N6thrust23THRUST_200600_302600_NS6detail15normal_iteratorINS9_10device_ptrIiEEEENS9_16discard_iteratorINS9_11use_defaultEEEiNS9_4plusIvEEiEEDaPvRmT3_T4_T5_mT6_P12ihipStream_tbENKUlT_T0_E_clISt17integral_constantIbLb1EESX_EEDaSS_ST_EUlSS_E0_NS1_11comp_targetILNS1_3genE10ELNS1_11target_archE1201ELNS1_3gpuE5ELNS1_3repE0EEENS1_30default_config_static_selectorELNS0_4arch9wavefront6targetE1EEEvT1_,"axG",@progbits,_ZN7rocprim17ROCPRIM_400000_NS6detail17trampoline_kernelINS0_14default_configENS1_20scan_config_selectorIiEEZZNS1_9scan_implILNS1_25lookback_scan_determinismE0ELb0ELb0ES3_N6thrust23THRUST_200600_302600_NS6detail15normal_iteratorINS9_10device_ptrIiEEEENS9_16discard_iteratorINS9_11use_defaultEEEiNS9_4plusIvEEiEEDaPvRmT3_T4_T5_mT6_P12ihipStream_tbENKUlT_T0_E_clISt17integral_constantIbLb1EESX_EEDaSS_ST_EUlSS_E0_NS1_11comp_targetILNS1_3genE10ELNS1_11target_archE1201ELNS1_3gpuE5ELNS1_3repE0EEENS1_30default_config_static_selectorELNS0_4arch9wavefront6targetE1EEEvT1_,comdat
	.protected	_ZN7rocprim17ROCPRIM_400000_NS6detail17trampoline_kernelINS0_14default_configENS1_20scan_config_selectorIiEEZZNS1_9scan_implILNS1_25lookback_scan_determinismE0ELb0ELb0ES3_N6thrust23THRUST_200600_302600_NS6detail15normal_iteratorINS9_10device_ptrIiEEEENS9_16discard_iteratorINS9_11use_defaultEEEiNS9_4plusIvEEiEEDaPvRmT3_T4_T5_mT6_P12ihipStream_tbENKUlT_T0_E_clISt17integral_constantIbLb1EESX_EEDaSS_ST_EUlSS_E0_NS1_11comp_targetILNS1_3genE10ELNS1_11target_archE1201ELNS1_3gpuE5ELNS1_3repE0EEENS1_30default_config_static_selectorELNS0_4arch9wavefront6targetE1EEEvT1_ ; -- Begin function _ZN7rocprim17ROCPRIM_400000_NS6detail17trampoline_kernelINS0_14default_configENS1_20scan_config_selectorIiEEZZNS1_9scan_implILNS1_25lookback_scan_determinismE0ELb0ELb0ES3_N6thrust23THRUST_200600_302600_NS6detail15normal_iteratorINS9_10device_ptrIiEEEENS9_16discard_iteratorINS9_11use_defaultEEEiNS9_4plusIvEEiEEDaPvRmT3_T4_T5_mT6_P12ihipStream_tbENKUlT_T0_E_clISt17integral_constantIbLb1EESX_EEDaSS_ST_EUlSS_E0_NS1_11comp_targetILNS1_3genE10ELNS1_11target_archE1201ELNS1_3gpuE5ELNS1_3repE0EEENS1_30default_config_static_selectorELNS0_4arch9wavefront6targetE1EEEvT1_
	.globl	_ZN7rocprim17ROCPRIM_400000_NS6detail17trampoline_kernelINS0_14default_configENS1_20scan_config_selectorIiEEZZNS1_9scan_implILNS1_25lookback_scan_determinismE0ELb0ELb0ES3_N6thrust23THRUST_200600_302600_NS6detail15normal_iteratorINS9_10device_ptrIiEEEENS9_16discard_iteratorINS9_11use_defaultEEEiNS9_4plusIvEEiEEDaPvRmT3_T4_T5_mT6_P12ihipStream_tbENKUlT_T0_E_clISt17integral_constantIbLb1EESX_EEDaSS_ST_EUlSS_E0_NS1_11comp_targetILNS1_3genE10ELNS1_11target_archE1201ELNS1_3gpuE5ELNS1_3repE0EEENS1_30default_config_static_selectorELNS0_4arch9wavefront6targetE1EEEvT1_
	.p2align	8
	.type	_ZN7rocprim17ROCPRIM_400000_NS6detail17trampoline_kernelINS0_14default_configENS1_20scan_config_selectorIiEEZZNS1_9scan_implILNS1_25lookback_scan_determinismE0ELb0ELb0ES3_N6thrust23THRUST_200600_302600_NS6detail15normal_iteratorINS9_10device_ptrIiEEEENS9_16discard_iteratorINS9_11use_defaultEEEiNS9_4plusIvEEiEEDaPvRmT3_T4_T5_mT6_P12ihipStream_tbENKUlT_T0_E_clISt17integral_constantIbLb1EESX_EEDaSS_ST_EUlSS_E0_NS1_11comp_targetILNS1_3genE10ELNS1_11target_archE1201ELNS1_3gpuE5ELNS1_3repE0EEENS1_30default_config_static_selectorELNS0_4arch9wavefront6targetE1EEEvT1_,@function
_ZN7rocprim17ROCPRIM_400000_NS6detail17trampoline_kernelINS0_14default_configENS1_20scan_config_selectorIiEEZZNS1_9scan_implILNS1_25lookback_scan_determinismE0ELb0ELb0ES3_N6thrust23THRUST_200600_302600_NS6detail15normal_iteratorINS9_10device_ptrIiEEEENS9_16discard_iteratorINS9_11use_defaultEEEiNS9_4plusIvEEiEEDaPvRmT3_T4_T5_mT6_P12ihipStream_tbENKUlT_T0_E_clISt17integral_constantIbLb1EESX_EEDaSS_ST_EUlSS_E0_NS1_11comp_targetILNS1_3genE10ELNS1_11target_archE1201ELNS1_3gpuE5ELNS1_3repE0EEENS1_30default_config_static_selectorELNS0_4arch9wavefront6targetE1EEEvT1_: ; @_ZN7rocprim17ROCPRIM_400000_NS6detail17trampoline_kernelINS0_14default_configENS1_20scan_config_selectorIiEEZZNS1_9scan_implILNS1_25lookback_scan_determinismE0ELb0ELb0ES3_N6thrust23THRUST_200600_302600_NS6detail15normal_iteratorINS9_10device_ptrIiEEEENS9_16discard_iteratorINS9_11use_defaultEEEiNS9_4plusIvEEiEEDaPvRmT3_T4_T5_mT6_P12ihipStream_tbENKUlT_T0_E_clISt17integral_constantIbLb1EESX_EEDaSS_ST_EUlSS_E0_NS1_11comp_targetILNS1_3genE10ELNS1_11target_archE1201ELNS1_3gpuE5ELNS1_3repE0EEENS1_30default_config_static_selectorELNS0_4arch9wavefront6targetE1EEEvT1_
; %bb.0:
	.section	.rodata,"a",@progbits
	.p2align	6, 0x0
	.amdhsa_kernel _ZN7rocprim17ROCPRIM_400000_NS6detail17trampoline_kernelINS0_14default_configENS1_20scan_config_selectorIiEEZZNS1_9scan_implILNS1_25lookback_scan_determinismE0ELb0ELb0ES3_N6thrust23THRUST_200600_302600_NS6detail15normal_iteratorINS9_10device_ptrIiEEEENS9_16discard_iteratorINS9_11use_defaultEEEiNS9_4plusIvEEiEEDaPvRmT3_T4_T5_mT6_P12ihipStream_tbENKUlT_T0_E_clISt17integral_constantIbLb1EESX_EEDaSS_ST_EUlSS_E0_NS1_11comp_targetILNS1_3genE10ELNS1_11target_archE1201ELNS1_3gpuE5ELNS1_3repE0EEENS1_30default_config_static_selectorELNS0_4arch9wavefront6targetE1EEEvT1_
		.amdhsa_group_segment_fixed_size 0
		.amdhsa_private_segment_fixed_size 0
		.amdhsa_kernarg_size 40
		.amdhsa_user_sgpr_count 6
		.amdhsa_user_sgpr_private_segment_buffer 1
		.amdhsa_user_sgpr_dispatch_ptr 0
		.amdhsa_user_sgpr_queue_ptr 0
		.amdhsa_user_sgpr_kernarg_segment_ptr 1
		.amdhsa_user_sgpr_dispatch_id 0
		.amdhsa_user_sgpr_flat_scratch_init 0
		.amdhsa_user_sgpr_kernarg_preload_length 0
		.amdhsa_user_sgpr_kernarg_preload_offset 0
		.amdhsa_user_sgpr_private_segment_size 0
		.amdhsa_uses_dynamic_stack 0
		.amdhsa_system_sgpr_private_segment_wavefront_offset 0
		.amdhsa_system_sgpr_workgroup_id_x 1
		.amdhsa_system_sgpr_workgroup_id_y 0
		.amdhsa_system_sgpr_workgroup_id_z 0
		.amdhsa_system_sgpr_workgroup_info 0
		.amdhsa_system_vgpr_workitem_id 0
		.amdhsa_next_free_vgpr 1
		.amdhsa_next_free_sgpr 0
		.amdhsa_accum_offset 4
		.amdhsa_reserve_vcc 0
		.amdhsa_reserve_flat_scratch 0
		.amdhsa_float_round_mode_32 0
		.amdhsa_float_round_mode_16_64 0
		.amdhsa_float_denorm_mode_32 3
		.amdhsa_float_denorm_mode_16_64 3
		.amdhsa_dx10_clamp 1
		.amdhsa_ieee_mode 1
		.amdhsa_fp16_overflow 0
		.amdhsa_tg_split 0
		.amdhsa_exception_fp_ieee_invalid_op 0
		.amdhsa_exception_fp_denorm_src 0
		.amdhsa_exception_fp_ieee_div_zero 0
		.amdhsa_exception_fp_ieee_overflow 0
		.amdhsa_exception_fp_ieee_underflow 0
		.amdhsa_exception_fp_ieee_inexact 0
		.amdhsa_exception_int_div_zero 0
	.end_amdhsa_kernel
	.section	.text._ZN7rocprim17ROCPRIM_400000_NS6detail17trampoline_kernelINS0_14default_configENS1_20scan_config_selectorIiEEZZNS1_9scan_implILNS1_25lookback_scan_determinismE0ELb0ELb0ES3_N6thrust23THRUST_200600_302600_NS6detail15normal_iteratorINS9_10device_ptrIiEEEENS9_16discard_iteratorINS9_11use_defaultEEEiNS9_4plusIvEEiEEDaPvRmT3_T4_T5_mT6_P12ihipStream_tbENKUlT_T0_E_clISt17integral_constantIbLb1EESX_EEDaSS_ST_EUlSS_E0_NS1_11comp_targetILNS1_3genE10ELNS1_11target_archE1201ELNS1_3gpuE5ELNS1_3repE0EEENS1_30default_config_static_selectorELNS0_4arch9wavefront6targetE1EEEvT1_,"axG",@progbits,_ZN7rocprim17ROCPRIM_400000_NS6detail17trampoline_kernelINS0_14default_configENS1_20scan_config_selectorIiEEZZNS1_9scan_implILNS1_25lookback_scan_determinismE0ELb0ELb0ES3_N6thrust23THRUST_200600_302600_NS6detail15normal_iteratorINS9_10device_ptrIiEEEENS9_16discard_iteratorINS9_11use_defaultEEEiNS9_4plusIvEEiEEDaPvRmT3_T4_T5_mT6_P12ihipStream_tbENKUlT_T0_E_clISt17integral_constantIbLb1EESX_EEDaSS_ST_EUlSS_E0_NS1_11comp_targetILNS1_3genE10ELNS1_11target_archE1201ELNS1_3gpuE5ELNS1_3repE0EEENS1_30default_config_static_selectorELNS0_4arch9wavefront6targetE1EEEvT1_,comdat
.Lfunc_end5758:
	.size	_ZN7rocprim17ROCPRIM_400000_NS6detail17trampoline_kernelINS0_14default_configENS1_20scan_config_selectorIiEEZZNS1_9scan_implILNS1_25lookback_scan_determinismE0ELb0ELb0ES3_N6thrust23THRUST_200600_302600_NS6detail15normal_iteratorINS9_10device_ptrIiEEEENS9_16discard_iteratorINS9_11use_defaultEEEiNS9_4plusIvEEiEEDaPvRmT3_T4_T5_mT6_P12ihipStream_tbENKUlT_T0_E_clISt17integral_constantIbLb1EESX_EEDaSS_ST_EUlSS_E0_NS1_11comp_targetILNS1_3genE10ELNS1_11target_archE1201ELNS1_3gpuE5ELNS1_3repE0EEENS1_30default_config_static_selectorELNS0_4arch9wavefront6targetE1EEEvT1_, .Lfunc_end5758-_ZN7rocprim17ROCPRIM_400000_NS6detail17trampoline_kernelINS0_14default_configENS1_20scan_config_selectorIiEEZZNS1_9scan_implILNS1_25lookback_scan_determinismE0ELb0ELb0ES3_N6thrust23THRUST_200600_302600_NS6detail15normal_iteratorINS9_10device_ptrIiEEEENS9_16discard_iteratorINS9_11use_defaultEEEiNS9_4plusIvEEiEEDaPvRmT3_T4_T5_mT6_P12ihipStream_tbENKUlT_T0_E_clISt17integral_constantIbLb1EESX_EEDaSS_ST_EUlSS_E0_NS1_11comp_targetILNS1_3genE10ELNS1_11target_archE1201ELNS1_3gpuE5ELNS1_3repE0EEENS1_30default_config_static_selectorELNS0_4arch9wavefront6targetE1EEEvT1_
                                        ; -- End function
	.section	.AMDGPU.csdata,"",@progbits
; Kernel info:
; codeLenInByte = 0
; NumSgprs: 4
; NumVgprs: 0
; NumAgprs: 0
; TotalNumVgprs: 0
; ScratchSize: 0
; MemoryBound: 0
; FloatMode: 240
; IeeeMode: 1
; LDSByteSize: 0 bytes/workgroup (compile time only)
; SGPRBlocks: 0
; VGPRBlocks: 0
; NumSGPRsForWavesPerEU: 4
; NumVGPRsForWavesPerEU: 1
; AccumOffset: 4
; Occupancy: 8
; WaveLimiterHint : 0
; COMPUTE_PGM_RSRC2:SCRATCH_EN: 0
; COMPUTE_PGM_RSRC2:USER_SGPR: 6
; COMPUTE_PGM_RSRC2:TRAP_HANDLER: 0
; COMPUTE_PGM_RSRC2:TGID_X_EN: 1
; COMPUTE_PGM_RSRC2:TGID_Y_EN: 0
; COMPUTE_PGM_RSRC2:TGID_Z_EN: 0
; COMPUTE_PGM_RSRC2:TIDIG_COMP_CNT: 0
; COMPUTE_PGM_RSRC3_GFX90A:ACCUM_OFFSET: 0
; COMPUTE_PGM_RSRC3_GFX90A:TG_SPLIT: 0
	.section	.text._ZN7rocprim17ROCPRIM_400000_NS6detail17trampoline_kernelINS0_14default_configENS1_20scan_config_selectorIiEEZZNS1_9scan_implILNS1_25lookback_scan_determinismE0ELb0ELb0ES3_N6thrust23THRUST_200600_302600_NS6detail15normal_iteratorINS9_10device_ptrIiEEEENS9_16discard_iteratorINS9_11use_defaultEEEiNS9_4plusIvEEiEEDaPvRmT3_T4_T5_mT6_P12ihipStream_tbENKUlT_T0_E_clISt17integral_constantIbLb1EESX_EEDaSS_ST_EUlSS_E0_NS1_11comp_targetILNS1_3genE10ELNS1_11target_archE1200ELNS1_3gpuE4ELNS1_3repE0EEENS1_30default_config_static_selectorELNS0_4arch9wavefront6targetE1EEEvT1_,"axG",@progbits,_ZN7rocprim17ROCPRIM_400000_NS6detail17trampoline_kernelINS0_14default_configENS1_20scan_config_selectorIiEEZZNS1_9scan_implILNS1_25lookback_scan_determinismE0ELb0ELb0ES3_N6thrust23THRUST_200600_302600_NS6detail15normal_iteratorINS9_10device_ptrIiEEEENS9_16discard_iteratorINS9_11use_defaultEEEiNS9_4plusIvEEiEEDaPvRmT3_T4_T5_mT6_P12ihipStream_tbENKUlT_T0_E_clISt17integral_constantIbLb1EESX_EEDaSS_ST_EUlSS_E0_NS1_11comp_targetILNS1_3genE10ELNS1_11target_archE1200ELNS1_3gpuE4ELNS1_3repE0EEENS1_30default_config_static_selectorELNS0_4arch9wavefront6targetE1EEEvT1_,comdat
	.protected	_ZN7rocprim17ROCPRIM_400000_NS6detail17trampoline_kernelINS0_14default_configENS1_20scan_config_selectorIiEEZZNS1_9scan_implILNS1_25lookback_scan_determinismE0ELb0ELb0ES3_N6thrust23THRUST_200600_302600_NS6detail15normal_iteratorINS9_10device_ptrIiEEEENS9_16discard_iteratorINS9_11use_defaultEEEiNS9_4plusIvEEiEEDaPvRmT3_T4_T5_mT6_P12ihipStream_tbENKUlT_T0_E_clISt17integral_constantIbLb1EESX_EEDaSS_ST_EUlSS_E0_NS1_11comp_targetILNS1_3genE10ELNS1_11target_archE1200ELNS1_3gpuE4ELNS1_3repE0EEENS1_30default_config_static_selectorELNS0_4arch9wavefront6targetE1EEEvT1_ ; -- Begin function _ZN7rocprim17ROCPRIM_400000_NS6detail17trampoline_kernelINS0_14default_configENS1_20scan_config_selectorIiEEZZNS1_9scan_implILNS1_25lookback_scan_determinismE0ELb0ELb0ES3_N6thrust23THRUST_200600_302600_NS6detail15normal_iteratorINS9_10device_ptrIiEEEENS9_16discard_iteratorINS9_11use_defaultEEEiNS9_4plusIvEEiEEDaPvRmT3_T4_T5_mT6_P12ihipStream_tbENKUlT_T0_E_clISt17integral_constantIbLb1EESX_EEDaSS_ST_EUlSS_E0_NS1_11comp_targetILNS1_3genE10ELNS1_11target_archE1200ELNS1_3gpuE4ELNS1_3repE0EEENS1_30default_config_static_selectorELNS0_4arch9wavefront6targetE1EEEvT1_
	.globl	_ZN7rocprim17ROCPRIM_400000_NS6detail17trampoline_kernelINS0_14default_configENS1_20scan_config_selectorIiEEZZNS1_9scan_implILNS1_25lookback_scan_determinismE0ELb0ELb0ES3_N6thrust23THRUST_200600_302600_NS6detail15normal_iteratorINS9_10device_ptrIiEEEENS9_16discard_iteratorINS9_11use_defaultEEEiNS9_4plusIvEEiEEDaPvRmT3_T4_T5_mT6_P12ihipStream_tbENKUlT_T0_E_clISt17integral_constantIbLb1EESX_EEDaSS_ST_EUlSS_E0_NS1_11comp_targetILNS1_3genE10ELNS1_11target_archE1200ELNS1_3gpuE4ELNS1_3repE0EEENS1_30default_config_static_selectorELNS0_4arch9wavefront6targetE1EEEvT1_
	.p2align	8
	.type	_ZN7rocprim17ROCPRIM_400000_NS6detail17trampoline_kernelINS0_14default_configENS1_20scan_config_selectorIiEEZZNS1_9scan_implILNS1_25lookback_scan_determinismE0ELb0ELb0ES3_N6thrust23THRUST_200600_302600_NS6detail15normal_iteratorINS9_10device_ptrIiEEEENS9_16discard_iteratorINS9_11use_defaultEEEiNS9_4plusIvEEiEEDaPvRmT3_T4_T5_mT6_P12ihipStream_tbENKUlT_T0_E_clISt17integral_constantIbLb1EESX_EEDaSS_ST_EUlSS_E0_NS1_11comp_targetILNS1_3genE10ELNS1_11target_archE1200ELNS1_3gpuE4ELNS1_3repE0EEENS1_30default_config_static_selectorELNS0_4arch9wavefront6targetE1EEEvT1_,@function
_ZN7rocprim17ROCPRIM_400000_NS6detail17trampoline_kernelINS0_14default_configENS1_20scan_config_selectorIiEEZZNS1_9scan_implILNS1_25lookback_scan_determinismE0ELb0ELb0ES3_N6thrust23THRUST_200600_302600_NS6detail15normal_iteratorINS9_10device_ptrIiEEEENS9_16discard_iteratorINS9_11use_defaultEEEiNS9_4plusIvEEiEEDaPvRmT3_T4_T5_mT6_P12ihipStream_tbENKUlT_T0_E_clISt17integral_constantIbLb1EESX_EEDaSS_ST_EUlSS_E0_NS1_11comp_targetILNS1_3genE10ELNS1_11target_archE1200ELNS1_3gpuE4ELNS1_3repE0EEENS1_30default_config_static_selectorELNS0_4arch9wavefront6targetE1EEEvT1_: ; @_ZN7rocprim17ROCPRIM_400000_NS6detail17trampoline_kernelINS0_14default_configENS1_20scan_config_selectorIiEEZZNS1_9scan_implILNS1_25lookback_scan_determinismE0ELb0ELb0ES3_N6thrust23THRUST_200600_302600_NS6detail15normal_iteratorINS9_10device_ptrIiEEEENS9_16discard_iteratorINS9_11use_defaultEEEiNS9_4plusIvEEiEEDaPvRmT3_T4_T5_mT6_P12ihipStream_tbENKUlT_T0_E_clISt17integral_constantIbLb1EESX_EEDaSS_ST_EUlSS_E0_NS1_11comp_targetILNS1_3genE10ELNS1_11target_archE1200ELNS1_3gpuE4ELNS1_3repE0EEENS1_30default_config_static_selectorELNS0_4arch9wavefront6targetE1EEEvT1_
; %bb.0:
	.section	.rodata,"a",@progbits
	.p2align	6, 0x0
	.amdhsa_kernel _ZN7rocprim17ROCPRIM_400000_NS6detail17trampoline_kernelINS0_14default_configENS1_20scan_config_selectorIiEEZZNS1_9scan_implILNS1_25lookback_scan_determinismE0ELb0ELb0ES3_N6thrust23THRUST_200600_302600_NS6detail15normal_iteratorINS9_10device_ptrIiEEEENS9_16discard_iteratorINS9_11use_defaultEEEiNS9_4plusIvEEiEEDaPvRmT3_T4_T5_mT6_P12ihipStream_tbENKUlT_T0_E_clISt17integral_constantIbLb1EESX_EEDaSS_ST_EUlSS_E0_NS1_11comp_targetILNS1_3genE10ELNS1_11target_archE1200ELNS1_3gpuE4ELNS1_3repE0EEENS1_30default_config_static_selectorELNS0_4arch9wavefront6targetE1EEEvT1_
		.amdhsa_group_segment_fixed_size 0
		.amdhsa_private_segment_fixed_size 0
		.amdhsa_kernarg_size 40
		.amdhsa_user_sgpr_count 6
		.amdhsa_user_sgpr_private_segment_buffer 1
		.amdhsa_user_sgpr_dispatch_ptr 0
		.amdhsa_user_sgpr_queue_ptr 0
		.amdhsa_user_sgpr_kernarg_segment_ptr 1
		.amdhsa_user_sgpr_dispatch_id 0
		.amdhsa_user_sgpr_flat_scratch_init 0
		.amdhsa_user_sgpr_kernarg_preload_length 0
		.amdhsa_user_sgpr_kernarg_preload_offset 0
		.amdhsa_user_sgpr_private_segment_size 0
		.amdhsa_uses_dynamic_stack 0
		.amdhsa_system_sgpr_private_segment_wavefront_offset 0
		.amdhsa_system_sgpr_workgroup_id_x 1
		.amdhsa_system_sgpr_workgroup_id_y 0
		.amdhsa_system_sgpr_workgroup_id_z 0
		.amdhsa_system_sgpr_workgroup_info 0
		.amdhsa_system_vgpr_workitem_id 0
		.amdhsa_next_free_vgpr 1
		.amdhsa_next_free_sgpr 0
		.amdhsa_accum_offset 4
		.amdhsa_reserve_vcc 0
		.amdhsa_reserve_flat_scratch 0
		.amdhsa_float_round_mode_32 0
		.amdhsa_float_round_mode_16_64 0
		.amdhsa_float_denorm_mode_32 3
		.amdhsa_float_denorm_mode_16_64 3
		.amdhsa_dx10_clamp 1
		.amdhsa_ieee_mode 1
		.amdhsa_fp16_overflow 0
		.amdhsa_tg_split 0
		.amdhsa_exception_fp_ieee_invalid_op 0
		.amdhsa_exception_fp_denorm_src 0
		.amdhsa_exception_fp_ieee_div_zero 0
		.amdhsa_exception_fp_ieee_overflow 0
		.amdhsa_exception_fp_ieee_underflow 0
		.amdhsa_exception_fp_ieee_inexact 0
		.amdhsa_exception_int_div_zero 0
	.end_amdhsa_kernel
	.section	.text._ZN7rocprim17ROCPRIM_400000_NS6detail17trampoline_kernelINS0_14default_configENS1_20scan_config_selectorIiEEZZNS1_9scan_implILNS1_25lookback_scan_determinismE0ELb0ELb0ES3_N6thrust23THRUST_200600_302600_NS6detail15normal_iteratorINS9_10device_ptrIiEEEENS9_16discard_iteratorINS9_11use_defaultEEEiNS9_4plusIvEEiEEDaPvRmT3_T4_T5_mT6_P12ihipStream_tbENKUlT_T0_E_clISt17integral_constantIbLb1EESX_EEDaSS_ST_EUlSS_E0_NS1_11comp_targetILNS1_3genE10ELNS1_11target_archE1200ELNS1_3gpuE4ELNS1_3repE0EEENS1_30default_config_static_selectorELNS0_4arch9wavefront6targetE1EEEvT1_,"axG",@progbits,_ZN7rocprim17ROCPRIM_400000_NS6detail17trampoline_kernelINS0_14default_configENS1_20scan_config_selectorIiEEZZNS1_9scan_implILNS1_25lookback_scan_determinismE0ELb0ELb0ES3_N6thrust23THRUST_200600_302600_NS6detail15normal_iteratorINS9_10device_ptrIiEEEENS9_16discard_iteratorINS9_11use_defaultEEEiNS9_4plusIvEEiEEDaPvRmT3_T4_T5_mT6_P12ihipStream_tbENKUlT_T0_E_clISt17integral_constantIbLb1EESX_EEDaSS_ST_EUlSS_E0_NS1_11comp_targetILNS1_3genE10ELNS1_11target_archE1200ELNS1_3gpuE4ELNS1_3repE0EEENS1_30default_config_static_selectorELNS0_4arch9wavefront6targetE1EEEvT1_,comdat
.Lfunc_end5759:
	.size	_ZN7rocprim17ROCPRIM_400000_NS6detail17trampoline_kernelINS0_14default_configENS1_20scan_config_selectorIiEEZZNS1_9scan_implILNS1_25lookback_scan_determinismE0ELb0ELb0ES3_N6thrust23THRUST_200600_302600_NS6detail15normal_iteratorINS9_10device_ptrIiEEEENS9_16discard_iteratorINS9_11use_defaultEEEiNS9_4plusIvEEiEEDaPvRmT3_T4_T5_mT6_P12ihipStream_tbENKUlT_T0_E_clISt17integral_constantIbLb1EESX_EEDaSS_ST_EUlSS_E0_NS1_11comp_targetILNS1_3genE10ELNS1_11target_archE1200ELNS1_3gpuE4ELNS1_3repE0EEENS1_30default_config_static_selectorELNS0_4arch9wavefront6targetE1EEEvT1_, .Lfunc_end5759-_ZN7rocprim17ROCPRIM_400000_NS6detail17trampoline_kernelINS0_14default_configENS1_20scan_config_selectorIiEEZZNS1_9scan_implILNS1_25lookback_scan_determinismE0ELb0ELb0ES3_N6thrust23THRUST_200600_302600_NS6detail15normal_iteratorINS9_10device_ptrIiEEEENS9_16discard_iteratorINS9_11use_defaultEEEiNS9_4plusIvEEiEEDaPvRmT3_T4_T5_mT6_P12ihipStream_tbENKUlT_T0_E_clISt17integral_constantIbLb1EESX_EEDaSS_ST_EUlSS_E0_NS1_11comp_targetILNS1_3genE10ELNS1_11target_archE1200ELNS1_3gpuE4ELNS1_3repE0EEENS1_30default_config_static_selectorELNS0_4arch9wavefront6targetE1EEEvT1_
                                        ; -- End function
	.section	.AMDGPU.csdata,"",@progbits
; Kernel info:
; codeLenInByte = 0
; NumSgprs: 4
; NumVgprs: 0
; NumAgprs: 0
; TotalNumVgprs: 0
; ScratchSize: 0
; MemoryBound: 0
; FloatMode: 240
; IeeeMode: 1
; LDSByteSize: 0 bytes/workgroup (compile time only)
; SGPRBlocks: 0
; VGPRBlocks: 0
; NumSGPRsForWavesPerEU: 4
; NumVGPRsForWavesPerEU: 1
; AccumOffset: 4
; Occupancy: 8
; WaveLimiterHint : 0
; COMPUTE_PGM_RSRC2:SCRATCH_EN: 0
; COMPUTE_PGM_RSRC2:USER_SGPR: 6
; COMPUTE_PGM_RSRC2:TRAP_HANDLER: 0
; COMPUTE_PGM_RSRC2:TGID_X_EN: 1
; COMPUTE_PGM_RSRC2:TGID_Y_EN: 0
; COMPUTE_PGM_RSRC2:TGID_Z_EN: 0
; COMPUTE_PGM_RSRC2:TIDIG_COMP_CNT: 0
; COMPUTE_PGM_RSRC3_GFX90A:ACCUM_OFFSET: 0
; COMPUTE_PGM_RSRC3_GFX90A:TG_SPLIT: 0
	.section	.text._ZN7rocprim17ROCPRIM_400000_NS6detail17trampoline_kernelINS0_14default_configENS1_20scan_config_selectorIiEEZZNS1_9scan_implILNS1_25lookback_scan_determinismE0ELb0ELb0ES3_N6thrust23THRUST_200600_302600_NS6detail15normal_iteratorINS9_10device_ptrIiEEEENS9_16discard_iteratorINS9_11use_defaultEEEiNS9_4plusIvEEiEEDaPvRmT3_T4_T5_mT6_P12ihipStream_tbENKUlT_T0_E_clISt17integral_constantIbLb1EESX_EEDaSS_ST_EUlSS_E0_NS1_11comp_targetILNS1_3genE9ELNS1_11target_archE1100ELNS1_3gpuE3ELNS1_3repE0EEENS1_30default_config_static_selectorELNS0_4arch9wavefront6targetE1EEEvT1_,"axG",@progbits,_ZN7rocprim17ROCPRIM_400000_NS6detail17trampoline_kernelINS0_14default_configENS1_20scan_config_selectorIiEEZZNS1_9scan_implILNS1_25lookback_scan_determinismE0ELb0ELb0ES3_N6thrust23THRUST_200600_302600_NS6detail15normal_iteratorINS9_10device_ptrIiEEEENS9_16discard_iteratorINS9_11use_defaultEEEiNS9_4plusIvEEiEEDaPvRmT3_T4_T5_mT6_P12ihipStream_tbENKUlT_T0_E_clISt17integral_constantIbLb1EESX_EEDaSS_ST_EUlSS_E0_NS1_11comp_targetILNS1_3genE9ELNS1_11target_archE1100ELNS1_3gpuE3ELNS1_3repE0EEENS1_30default_config_static_selectorELNS0_4arch9wavefront6targetE1EEEvT1_,comdat
	.protected	_ZN7rocprim17ROCPRIM_400000_NS6detail17trampoline_kernelINS0_14default_configENS1_20scan_config_selectorIiEEZZNS1_9scan_implILNS1_25lookback_scan_determinismE0ELb0ELb0ES3_N6thrust23THRUST_200600_302600_NS6detail15normal_iteratorINS9_10device_ptrIiEEEENS9_16discard_iteratorINS9_11use_defaultEEEiNS9_4plusIvEEiEEDaPvRmT3_T4_T5_mT6_P12ihipStream_tbENKUlT_T0_E_clISt17integral_constantIbLb1EESX_EEDaSS_ST_EUlSS_E0_NS1_11comp_targetILNS1_3genE9ELNS1_11target_archE1100ELNS1_3gpuE3ELNS1_3repE0EEENS1_30default_config_static_selectorELNS0_4arch9wavefront6targetE1EEEvT1_ ; -- Begin function _ZN7rocprim17ROCPRIM_400000_NS6detail17trampoline_kernelINS0_14default_configENS1_20scan_config_selectorIiEEZZNS1_9scan_implILNS1_25lookback_scan_determinismE0ELb0ELb0ES3_N6thrust23THRUST_200600_302600_NS6detail15normal_iteratorINS9_10device_ptrIiEEEENS9_16discard_iteratorINS9_11use_defaultEEEiNS9_4plusIvEEiEEDaPvRmT3_T4_T5_mT6_P12ihipStream_tbENKUlT_T0_E_clISt17integral_constantIbLb1EESX_EEDaSS_ST_EUlSS_E0_NS1_11comp_targetILNS1_3genE9ELNS1_11target_archE1100ELNS1_3gpuE3ELNS1_3repE0EEENS1_30default_config_static_selectorELNS0_4arch9wavefront6targetE1EEEvT1_
	.globl	_ZN7rocprim17ROCPRIM_400000_NS6detail17trampoline_kernelINS0_14default_configENS1_20scan_config_selectorIiEEZZNS1_9scan_implILNS1_25lookback_scan_determinismE0ELb0ELb0ES3_N6thrust23THRUST_200600_302600_NS6detail15normal_iteratorINS9_10device_ptrIiEEEENS9_16discard_iteratorINS9_11use_defaultEEEiNS9_4plusIvEEiEEDaPvRmT3_T4_T5_mT6_P12ihipStream_tbENKUlT_T0_E_clISt17integral_constantIbLb1EESX_EEDaSS_ST_EUlSS_E0_NS1_11comp_targetILNS1_3genE9ELNS1_11target_archE1100ELNS1_3gpuE3ELNS1_3repE0EEENS1_30default_config_static_selectorELNS0_4arch9wavefront6targetE1EEEvT1_
	.p2align	8
	.type	_ZN7rocprim17ROCPRIM_400000_NS6detail17trampoline_kernelINS0_14default_configENS1_20scan_config_selectorIiEEZZNS1_9scan_implILNS1_25lookback_scan_determinismE0ELb0ELb0ES3_N6thrust23THRUST_200600_302600_NS6detail15normal_iteratorINS9_10device_ptrIiEEEENS9_16discard_iteratorINS9_11use_defaultEEEiNS9_4plusIvEEiEEDaPvRmT3_T4_T5_mT6_P12ihipStream_tbENKUlT_T0_E_clISt17integral_constantIbLb1EESX_EEDaSS_ST_EUlSS_E0_NS1_11comp_targetILNS1_3genE9ELNS1_11target_archE1100ELNS1_3gpuE3ELNS1_3repE0EEENS1_30default_config_static_selectorELNS0_4arch9wavefront6targetE1EEEvT1_,@function
_ZN7rocprim17ROCPRIM_400000_NS6detail17trampoline_kernelINS0_14default_configENS1_20scan_config_selectorIiEEZZNS1_9scan_implILNS1_25lookback_scan_determinismE0ELb0ELb0ES3_N6thrust23THRUST_200600_302600_NS6detail15normal_iteratorINS9_10device_ptrIiEEEENS9_16discard_iteratorINS9_11use_defaultEEEiNS9_4plusIvEEiEEDaPvRmT3_T4_T5_mT6_P12ihipStream_tbENKUlT_T0_E_clISt17integral_constantIbLb1EESX_EEDaSS_ST_EUlSS_E0_NS1_11comp_targetILNS1_3genE9ELNS1_11target_archE1100ELNS1_3gpuE3ELNS1_3repE0EEENS1_30default_config_static_selectorELNS0_4arch9wavefront6targetE1EEEvT1_: ; @_ZN7rocprim17ROCPRIM_400000_NS6detail17trampoline_kernelINS0_14default_configENS1_20scan_config_selectorIiEEZZNS1_9scan_implILNS1_25lookback_scan_determinismE0ELb0ELb0ES3_N6thrust23THRUST_200600_302600_NS6detail15normal_iteratorINS9_10device_ptrIiEEEENS9_16discard_iteratorINS9_11use_defaultEEEiNS9_4plusIvEEiEEDaPvRmT3_T4_T5_mT6_P12ihipStream_tbENKUlT_T0_E_clISt17integral_constantIbLb1EESX_EEDaSS_ST_EUlSS_E0_NS1_11comp_targetILNS1_3genE9ELNS1_11target_archE1100ELNS1_3gpuE3ELNS1_3repE0EEENS1_30default_config_static_selectorELNS0_4arch9wavefront6targetE1EEEvT1_
; %bb.0:
	.section	.rodata,"a",@progbits
	.p2align	6, 0x0
	.amdhsa_kernel _ZN7rocprim17ROCPRIM_400000_NS6detail17trampoline_kernelINS0_14default_configENS1_20scan_config_selectorIiEEZZNS1_9scan_implILNS1_25lookback_scan_determinismE0ELb0ELb0ES3_N6thrust23THRUST_200600_302600_NS6detail15normal_iteratorINS9_10device_ptrIiEEEENS9_16discard_iteratorINS9_11use_defaultEEEiNS9_4plusIvEEiEEDaPvRmT3_T4_T5_mT6_P12ihipStream_tbENKUlT_T0_E_clISt17integral_constantIbLb1EESX_EEDaSS_ST_EUlSS_E0_NS1_11comp_targetILNS1_3genE9ELNS1_11target_archE1100ELNS1_3gpuE3ELNS1_3repE0EEENS1_30default_config_static_selectorELNS0_4arch9wavefront6targetE1EEEvT1_
		.amdhsa_group_segment_fixed_size 0
		.amdhsa_private_segment_fixed_size 0
		.amdhsa_kernarg_size 40
		.amdhsa_user_sgpr_count 6
		.amdhsa_user_sgpr_private_segment_buffer 1
		.amdhsa_user_sgpr_dispatch_ptr 0
		.amdhsa_user_sgpr_queue_ptr 0
		.amdhsa_user_sgpr_kernarg_segment_ptr 1
		.amdhsa_user_sgpr_dispatch_id 0
		.amdhsa_user_sgpr_flat_scratch_init 0
		.amdhsa_user_sgpr_kernarg_preload_length 0
		.amdhsa_user_sgpr_kernarg_preload_offset 0
		.amdhsa_user_sgpr_private_segment_size 0
		.amdhsa_uses_dynamic_stack 0
		.amdhsa_system_sgpr_private_segment_wavefront_offset 0
		.amdhsa_system_sgpr_workgroup_id_x 1
		.amdhsa_system_sgpr_workgroup_id_y 0
		.amdhsa_system_sgpr_workgroup_id_z 0
		.amdhsa_system_sgpr_workgroup_info 0
		.amdhsa_system_vgpr_workitem_id 0
		.amdhsa_next_free_vgpr 1
		.amdhsa_next_free_sgpr 0
		.amdhsa_accum_offset 4
		.amdhsa_reserve_vcc 0
		.amdhsa_reserve_flat_scratch 0
		.amdhsa_float_round_mode_32 0
		.amdhsa_float_round_mode_16_64 0
		.amdhsa_float_denorm_mode_32 3
		.amdhsa_float_denorm_mode_16_64 3
		.amdhsa_dx10_clamp 1
		.amdhsa_ieee_mode 1
		.amdhsa_fp16_overflow 0
		.amdhsa_tg_split 0
		.amdhsa_exception_fp_ieee_invalid_op 0
		.amdhsa_exception_fp_denorm_src 0
		.amdhsa_exception_fp_ieee_div_zero 0
		.amdhsa_exception_fp_ieee_overflow 0
		.amdhsa_exception_fp_ieee_underflow 0
		.amdhsa_exception_fp_ieee_inexact 0
		.amdhsa_exception_int_div_zero 0
	.end_amdhsa_kernel
	.section	.text._ZN7rocprim17ROCPRIM_400000_NS6detail17trampoline_kernelINS0_14default_configENS1_20scan_config_selectorIiEEZZNS1_9scan_implILNS1_25lookback_scan_determinismE0ELb0ELb0ES3_N6thrust23THRUST_200600_302600_NS6detail15normal_iteratorINS9_10device_ptrIiEEEENS9_16discard_iteratorINS9_11use_defaultEEEiNS9_4plusIvEEiEEDaPvRmT3_T4_T5_mT6_P12ihipStream_tbENKUlT_T0_E_clISt17integral_constantIbLb1EESX_EEDaSS_ST_EUlSS_E0_NS1_11comp_targetILNS1_3genE9ELNS1_11target_archE1100ELNS1_3gpuE3ELNS1_3repE0EEENS1_30default_config_static_selectorELNS0_4arch9wavefront6targetE1EEEvT1_,"axG",@progbits,_ZN7rocprim17ROCPRIM_400000_NS6detail17trampoline_kernelINS0_14default_configENS1_20scan_config_selectorIiEEZZNS1_9scan_implILNS1_25lookback_scan_determinismE0ELb0ELb0ES3_N6thrust23THRUST_200600_302600_NS6detail15normal_iteratorINS9_10device_ptrIiEEEENS9_16discard_iteratorINS9_11use_defaultEEEiNS9_4plusIvEEiEEDaPvRmT3_T4_T5_mT6_P12ihipStream_tbENKUlT_T0_E_clISt17integral_constantIbLb1EESX_EEDaSS_ST_EUlSS_E0_NS1_11comp_targetILNS1_3genE9ELNS1_11target_archE1100ELNS1_3gpuE3ELNS1_3repE0EEENS1_30default_config_static_selectorELNS0_4arch9wavefront6targetE1EEEvT1_,comdat
.Lfunc_end5760:
	.size	_ZN7rocprim17ROCPRIM_400000_NS6detail17trampoline_kernelINS0_14default_configENS1_20scan_config_selectorIiEEZZNS1_9scan_implILNS1_25lookback_scan_determinismE0ELb0ELb0ES3_N6thrust23THRUST_200600_302600_NS6detail15normal_iteratorINS9_10device_ptrIiEEEENS9_16discard_iteratorINS9_11use_defaultEEEiNS9_4plusIvEEiEEDaPvRmT3_T4_T5_mT6_P12ihipStream_tbENKUlT_T0_E_clISt17integral_constantIbLb1EESX_EEDaSS_ST_EUlSS_E0_NS1_11comp_targetILNS1_3genE9ELNS1_11target_archE1100ELNS1_3gpuE3ELNS1_3repE0EEENS1_30default_config_static_selectorELNS0_4arch9wavefront6targetE1EEEvT1_, .Lfunc_end5760-_ZN7rocprim17ROCPRIM_400000_NS6detail17trampoline_kernelINS0_14default_configENS1_20scan_config_selectorIiEEZZNS1_9scan_implILNS1_25lookback_scan_determinismE0ELb0ELb0ES3_N6thrust23THRUST_200600_302600_NS6detail15normal_iteratorINS9_10device_ptrIiEEEENS9_16discard_iteratorINS9_11use_defaultEEEiNS9_4plusIvEEiEEDaPvRmT3_T4_T5_mT6_P12ihipStream_tbENKUlT_T0_E_clISt17integral_constantIbLb1EESX_EEDaSS_ST_EUlSS_E0_NS1_11comp_targetILNS1_3genE9ELNS1_11target_archE1100ELNS1_3gpuE3ELNS1_3repE0EEENS1_30default_config_static_selectorELNS0_4arch9wavefront6targetE1EEEvT1_
                                        ; -- End function
	.section	.AMDGPU.csdata,"",@progbits
; Kernel info:
; codeLenInByte = 0
; NumSgprs: 4
; NumVgprs: 0
; NumAgprs: 0
; TotalNumVgprs: 0
; ScratchSize: 0
; MemoryBound: 0
; FloatMode: 240
; IeeeMode: 1
; LDSByteSize: 0 bytes/workgroup (compile time only)
; SGPRBlocks: 0
; VGPRBlocks: 0
; NumSGPRsForWavesPerEU: 4
; NumVGPRsForWavesPerEU: 1
; AccumOffset: 4
; Occupancy: 8
; WaveLimiterHint : 0
; COMPUTE_PGM_RSRC2:SCRATCH_EN: 0
; COMPUTE_PGM_RSRC2:USER_SGPR: 6
; COMPUTE_PGM_RSRC2:TRAP_HANDLER: 0
; COMPUTE_PGM_RSRC2:TGID_X_EN: 1
; COMPUTE_PGM_RSRC2:TGID_Y_EN: 0
; COMPUTE_PGM_RSRC2:TGID_Z_EN: 0
; COMPUTE_PGM_RSRC2:TIDIG_COMP_CNT: 0
; COMPUTE_PGM_RSRC3_GFX90A:ACCUM_OFFSET: 0
; COMPUTE_PGM_RSRC3_GFX90A:TG_SPLIT: 0
	.section	.text._ZN7rocprim17ROCPRIM_400000_NS6detail17trampoline_kernelINS0_14default_configENS1_20scan_config_selectorIiEEZZNS1_9scan_implILNS1_25lookback_scan_determinismE0ELb0ELb0ES3_N6thrust23THRUST_200600_302600_NS6detail15normal_iteratorINS9_10device_ptrIiEEEENS9_16discard_iteratorINS9_11use_defaultEEEiNS9_4plusIvEEiEEDaPvRmT3_T4_T5_mT6_P12ihipStream_tbENKUlT_T0_E_clISt17integral_constantIbLb1EESX_EEDaSS_ST_EUlSS_E0_NS1_11comp_targetILNS1_3genE8ELNS1_11target_archE1030ELNS1_3gpuE2ELNS1_3repE0EEENS1_30default_config_static_selectorELNS0_4arch9wavefront6targetE1EEEvT1_,"axG",@progbits,_ZN7rocprim17ROCPRIM_400000_NS6detail17trampoline_kernelINS0_14default_configENS1_20scan_config_selectorIiEEZZNS1_9scan_implILNS1_25lookback_scan_determinismE0ELb0ELb0ES3_N6thrust23THRUST_200600_302600_NS6detail15normal_iteratorINS9_10device_ptrIiEEEENS9_16discard_iteratorINS9_11use_defaultEEEiNS9_4plusIvEEiEEDaPvRmT3_T4_T5_mT6_P12ihipStream_tbENKUlT_T0_E_clISt17integral_constantIbLb1EESX_EEDaSS_ST_EUlSS_E0_NS1_11comp_targetILNS1_3genE8ELNS1_11target_archE1030ELNS1_3gpuE2ELNS1_3repE0EEENS1_30default_config_static_selectorELNS0_4arch9wavefront6targetE1EEEvT1_,comdat
	.protected	_ZN7rocprim17ROCPRIM_400000_NS6detail17trampoline_kernelINS0_14default_configENS1_20scan_config_selectorIiEEZZNS1_9scan_implILNS1_25lookback_scan_determinismE0ELb0ELb0ES3_N6thrust23THRUST_200600_302600_NS6detail15normal_iteratorINS9_10device_ptrIiEEEENS9_16discard_iteratorINS9_11use_defaultEEEiNS9_4plusIvEEiEEDaPvRmT3_T4_T5_mT6_P12ihipStream_tbENKUlT_T0_E_clISt17integral_constantIbLb1EESX_EEDaSS_ST_EUlSS_E0_NS1_11comp_targetILNS1_3genE8ELNS1_11target_archE1030ELNS1_3gpuE2ELNS1_3repE0EEENS1_30default_config_static_selectorELNS0_4arch9wavefront6targetE1EEEvT1_ ; -- Begin function _ZN7rocprim17ROCPRIM_400000_NS6detail17trampoline_kernelINS0_14default_configENS1_20scan_config_selectorIiEEZZNS1_9scan_implILNS1_25lookback_scan_determinismE0ELb0ELb0ES3_N6thrust23THRUST_200600_302600_NS6detail15normal_iteratorINS9_10device_ptrIiEEEENS9_16discard_iteratorINS9_11use_defaultEEEiNS9_4plusIvEEiEEDaPvRmT3_T4_T5_mT6_P12ihipStream_tbENKUlT_T0_E_clISt17integral_constantIbLb1EESX_EEDaSS_ST_EUlSS_E0_NS1_11comp_targetILNS1_3genE8ELNS1_11target_archE1030ELNS1_3gpuE2ELNS1_3repE0EEENS1_30default_config_static_selectorELNS0_4arch9wavefront6targetE1EEEvT1_
	.globl	_ZN7rocprim17ROCPRIM_400000_NS6detail17trampoline_kernelINS0_14default_configENS1_20scan_config_selectorIiEEZZNS1_9scan_implILNS1_25lookback_scan_determinismE0ELb0ELb0ES3_N6thrust23THRUST_200600_302600_NS6detail15normal_iteratorINS9_10device_ptrIiEEEENS9_16discard_iteratorINS9_11use_defaultEEEiNS9_4plusIvEEiEEDaPvRmT3_T4_T5_mT6_P12ihipStream_tbENKUlT_T0_E_clISt17integral_constantIbLb1EESX_EEDaSS_ST_EUlSS_E0_NS1_11comp_targetILNS1_3genE8ELNS1_11target_archE1030ELNS1_3gpuE2ELNS1_3repE0EEENS1_30default_config_static_selectorELNS0_4arch9wavefront6targetE1EEEvT1_
	.p2align	8
	.type	_ZN7rocprim17ROCPRIM_400000_NS6detail17trampoline_kernelINS0_14default_configENS1_20scan_config_selectorIiEEZZNS1_9scan_implILNS1_25lookback_scan_determinismE0ELb0ELb0ES3_N6thrust23THRUST_200600_302600_NS6detail15normal_iteratorINS9_10device_ptrIiEEEENS9_16discard_iteratorINS9_11use_defaultEEEiNS9_4plusIvEEiEEDaPvRmT3_T4_T5_mT6_P12ihipStream_tbENKUlT_T0_E_clISt17integral_constantIbLb1EESX_EEDaSS_ST_EUlSS_E0_NS1_11comp_targetILNS1_3genE8ELNS1_11target_archE1030ELNS1_3gpuE2ELNS1_3repE0EEENS1_30default_config_static_selectorELNS0_4arch9wavefront6targetE1EEEvT1_,@function
_ZN7rocprim17ROCPRIM_400000_NS6detail17trampoline_kernelINS0_14default_configENS1_20scan_config_selectorIiEEZZNS1_9scan_implILNS1_25lookback_scan_determinismE0ELb0ELb0ES3_N6thrust23THRUST_200600_302600_NS6detail15normal_iteratorINS9_10device_ptrIiEEEENS9_16discard_iteratorINS9_11use_defaultEEEiNS9_4plusIvEEiEEDaPvRmT3_T4_T5_mT6_P12ihipStream_tbENKUlT_T0_E_clISt17integral_constantIbLb1EESX_EEDaSS_ST_EUlSS_E0_NS1_11comp_targetILNS1_3genE8ELNS1_11target_archE1030ELNS1_3gpuE2ELNS1_3repE0EEENS1_30default_config_static_selectorELNS0_4arch9wavefront6targetE1EEEvT1_: ; @_ZN7rocprim17ROCPRIM_400000_NS6detail17trampoline_kernelINS0_14default_configENS1_20scan_config_selectorIiEEZZNS1_9scan_implILNS1_25lookback_scan_determinismE0ELb0ELb0ES3_N6thrust23THRUST_200600_302600_NS6detail15normal_iteratorINS9_10device_ptrIiEEEENS9_16discard_iteratorINS9_11use_defaultEEEiNS9_4plusIvEEiEEDaPvRmT3_T4_T5_mT6_P12ihipStream_tbENKUlT_T0_E_clISt17integral_constantIbLb1EESX_EEDaSS_ST_EUlSS_E0_NS1_11comp_targetILNS1_3genE8ELNS1_11target_archE1030ELNS1_3gpuE2ELNS1_3repE0EEENS1_30default_config_static_selectorELNS0_4arch9wavefront6targetE1EEEvT1_
; %bb.0:
	.section	.rodata,"a",@progbits
	.p2align	6, 0x0
	.amdhsa_kernel _ZN7rocprim17ROCPRIM_400000_NS6detail17trampoline_kernelINS0_14default_configENS1_20scan_config_selectorIiEEZZNS1_9scan_implILNS1_25lookback_scan_determinismE0ELb0ELb0ES3_N6thrust23THRUST_200600_302600_NS6detail15normal_iteratorINS9_10device_ptrIiEEEENS9_16discard_iteratorINS9_11use_defaultEEEiNS9_4plusIvEEiEEDaPvRmT3_T4_T5_mT6_P12ihipStream_tbENKUlT_T0_E_clISt17integral_constantIbLb1EESX_EEDaSS_ST_EUlSS_E0_NS1_11comp_targetILNS1_3genE8ELNS1_11target_archE1030ELNS1_3gpuE2ELNS1_3repE0EEENS1_30default_config_static_selectorELNS0_4arch9wavefront6targetE1EEEvT1_
		.amdhsa_group_segment_fixed_size 0
		.amdhsa_private_segment_fixed_size 0
		.amdhsa_kernarg_size 40
		.amdhsa_user_sgpr_count 6
		.amdhsa_user_sgpr_private_segment_buffer 1
		.amdhsa_user_sgpr_dispatch_ptr 0
		.amdhsa_user_sgpr_queue_ptr 0
		.amdhsa_user_sgpr_kernarg_segment_ptr 1
		.amdhsa_user_sgpr_dispatch_id 0
		.amdhsa_user_sgpr_flat_scratch_init 0
		.amdhsa_user_sgpr_kernarg_preload_length 0
		.amdhsa_user_sgpr_kernarg_preload_offset 0
		.amdhsa_user_sgpr_private_segment_size 0
		.amdhsa_uses_dynamic_stack 0
		.amdhsa_system_sgpr_private_segment_wavefront_offset 0
		.amdhsa_system_sgpr_workgroup_id_x 1
		.amdhsa_system_sgpr_workgroup_id_y 0
		.amdhsa_system_sgpr_workgroup_id_z 0
		.amdhsa_system_sgpr_workgroup_info 0
		.amdhsa_system_vgpr_workitem_id 0
		.amdhsa_next_free_vgpr 1
		.amdhsa_next_free_sgpr 0
		.amdhsa_accum_offset 4
		.amdhsa_reserve_vcc 0
		.amdhsa_reserve_flat_scratch 0
		.amdhsa_float_round_mode_32 0
		.amdhsa_float_round_mode_16_64 0
		.amdhsa_float_denorm_mode_32 3
		.amdhsa_float_denorm_mode_16_64 3
		.amdhsa_dx10_clamp 1
		.amdhsa_ieee_mode 1
		.amdhsa_fp16_overflow 0
		.amdhsa_tg_split 0
		.amdhsa_exception_fp_ieee_invalid_op 0
		.amdhsa_exception_fp_denorm_src 0
		.amdhsa_exception_fp_ieee_div_zero 0
		.amdhsa_exception_fp_ieee_overflow 0
		.amdhsa_exception_fp_ieee_underflow 0
		.amdhsa_exception_fp_ieee_inexact 0
		.amdhsa_exception_int_div_zero 0
	.end_amdhsa_kernel
	.section	.text._ZN7rocprim17ROCPRIM_400000_NS6detail17trampoline_kernelINS0_14default_configENS1_20scan_config_selectorIiEEZZNS1_9scan_implILNS1_25lookback_scan_determinismE0ELb0ELb0ES3_N6thrust23THRUST_200600_302600_NS6detail15normal_iteratorINS9_10device_ptrIiEEEENS9_16discard_iteratorINS9_11use_defaultEEEiNS9_4plusIvEEiEEDaPvRmT3_T4_T5_mT6_P12ihipStream_tbENKUlT_T0_E_clISt17integral_constantIbLb1EESX_EEDaSS_ST_EUlSS_E0_NS1_11comp_targetILNS1_3genE8ELNS1_11target_archE1030ELNS1_3gpuE2ELNS1_3repE0EEENS1_30default_config_static_selectorELNS0_4arch9wavefront6targetE1EEEvT1_,"axG",@progbits,_ZN7rocprim17ROCPRIM_400000_NS6detail17trampoline_kernelINS0_14default_configENS1_20scan_config_selectorIiEEZZNS1_9scan_implILNS1_25lookback_scan_determinismE0ELb0ELb0ES3_N6thrust23THRUST_200600_302600_NS6detail15normal_iteratorINS9_10device_ptrIiEEEENS9_16discard_iteratorINS9_11use_defaultEEEiNS9_4plusIvEEiEEDaPvRmT3_T4_T5_mT6_P12ihipStream_tbENKUlT_T0_E_clISt17integral_constantIbLb1EESX_EEDaSS_ST_EUlSS_E0_NS1_11comp_targetILNS1_3genE8ELNS1_11target_archE1030ELNS1_3gpuE2ELNS1_3repE0EEENS1_30default_config_static_selectorELNS0_4arch9wavefront6targetE1EEEvT1_,comdat
.Lfunc_end5761:
	.size	_ZN7rocprim17ROCPRIM_400000_NS6detail17trampoline_kernelINS0_14default_configENS1_20scan_config_selectorIiEEZZNS1_9scan_implILNS1_25lookback_scan_determinismE0ELb0ELb0ES3_N6thrust23THRUST_200600_302600_NS6detail15normal_iteratorINS9_10device_ptrIiEEEENS9_16discard_iteratorINS9_11use_defaultEEEiNS9_4plusIvEEiEEDaPvRmT3_T4_T5_mT6_P12ihipStream_tbENKUlT_T0_E_clISt17integral_constantIbLb1EESX_EEDaSS_ST_EUlSS_E0_NS1_11comp_targetILNS1_3genE8ELNS1_11target_archE1030ELNS1_3gpuE2ELNS1_3repE0EEENS1_30default_config_static_selectorELNS0_4arch9wavefront6targetE1EEEvT1_, .Lfunc_end5761-_ZN7rocprim17ROCPRIM_400000_NS6detail17trampoline_kernelINS0_14default_configENS1_20scan_config_selectorIiEEZZNS1_9scan_implILNS1_25lookback_scan_determinismE0ELb0ELb0ES3_N6thrust23THRUST_200600_302600_NS6detail15normal_iteratorINS9_10device_ptrIiEEEENS9_16discard_iteratorINS9_11use_defaultEEEiNS9_4plusIvEEiEEDaPvRmT3_T4_T5_mT6_P12ihipStream_tbENKUlT_T0_E_clISt17integral_constantIbLb1EESX_EEDaSS_ST_EUlSS_E0_NS1_11comp_targetILNS1_3genE8ELNS1_11target_archE1030ELNS1_3gpuE2ELNS1_3repE0EEENS1_30default_config_static_selectorELNS0_4arch9wavefront6targetE1EEEvT1_
                                        ; -- End function
	.section	.AMDGPU.csdata,"",@progbits
; Kernel info:
; codeLenInByte = 0
; NumSgprs: 4
; NumVgprs: 0
; NumAgprs: 0
; TotalNumVgprs: 0
; ScratchSize: 0
; MemoryBound: 0
; FloatMode: 240
; IeeeMode: 1
; LDSByteSize: 0 bytes/workgroup (compile time only)
; SGPRBlocks: 0
; VGPRBlocks: 0
; NumSGPRsForWavesPerEU: 4
; NumVGPRsForWavesPerEU: 1
; AccumOffset: 4
; Occupancy: 8
; WaveLimiterHint : 0
; COMPUTE_PGM_RSRC2:SCRATCH_EN: 0
; COMPUTE_PGM_RSRC2:USER_SGPR: 6
; COMPUTE_PGM_RSRC2:TRAP_HANDLER: 0
; COMPUTE_PGM_RSRC2:TGID_X_EN: 1
; COMPUTE_PGM_RSRC2:TGID_Y_EN: 0
; COMPUTE_PGM_RSRC2:TGID_Z_EN: 0
; COMPUTE_PGM_RSRC2:TIDIG_COMP_CNT: 0
; COMPUTE_PGM_RSRC3_GFX90A:ACCUM_OFFSET: 0
; COMPUTE_PGM_RSRC3_GFX90A:TG_SPLIT: 0
	.section	.text._ZN7rocprim17ROCPRIM_400000_NS6detail17trampoline_kernelINS0_14default_configENS1_20scan_config_selectorIiEEZZNS1_9scan_implILNS1_25lookback_scan_determinismE0ELb0ELb0ES3_N6thrust23THRUST_200600_302600_NS6detail15normal_iteratorINS9_10device_ptrIiEEEENS9_16discard_iteratorINS9_11use_defaultEEEiNS9_4plusIvEEiEEDaPvRmT3_T4_T5_mT6_P12ihipStream_tbENKUlT_T0_E_clISt17integral_constantIbLb1EESW_IbLb0EEEEDaSS_ST_EUlSS_E_NS1_11comp_targetILNS1_3genE0ELNS1_11target_archE4294967295ELNS1_3gpuE0ELNS1_3repE0EEENS1_30default_config_static_selectorELNS0_4arch9wavefront6targetE1EEEvT1_,"axG",@progbits,_ZN7rocprim17ROCPRIM_400000_NS6detail17trampoline_kernelINS0_14default_configENS1_20scan_config_selectorIiEEZZNS1_9scan_implILNS1_25lookback_scan_determinismE0ELb0ELb0ES3_N6thrust23THRUST_200600_302600_NS6detail15normal_iteratorINS9_10device_ptrIiEEEENS9_16discard_iteratorINS9_11use_defaultEEEiNS9_4plusIvEEiEEDaPvRmT3_T4_T5_mT6_P12ihipStream_tbENKUlT_T0_E_clISt17integral_constantIbLb1EESW_IbLb0EEEEDaSS_ST_EUlSS_E_NS1_11comp_targetILNS1_3genE0ELNS1_11target_archE4294967295ELNS1_3gpuE0ELNS1_3repE0EEENS1_30default_config_static_selectorELNS0_4arch9wavefront6targetE1EEEvT1_,comdat
	.protected	_ZN7rocprim17ROCPRIM_400000_NS6detail17trampoline_kernelINS0_14default_configENS1_20scan_config_selectorIiEEZZNS1_9scan_implILNS1_25lookback_scan_determinismE0ELb0ELb0ES3_N6thrust23THRUST_200600_302600_NS6detail15normal_iteratorINS9_10device_ptrIiEEEENS9_16discard_iteratorINS9_11use_defaultEEEiNS9_4plusIvEEiEEDaPvRmT3_T4_T5_mT6_P12ihipStream_tbENKUlT_T0_E_clISt17integral_constantIbLb1EESW_IbLb0EEEEDaSS_ST_EUlSS_E_NS1_11comp_targetILNS1_3genE0ELNS1_11target_archE4294967295ELNS1_3gpuE0ELNS1_3repE0EEENS1_30default_config_static_selectorELNS0_4arch9wavefront6targetE1EEEvT1_ ; -- Begin function _ZN7rocprim17ROCPRIM_400000_NS6detail17trampoline_kernelINS0_14default_configENS1_20scan_config_selectorIiEEZZNS1_9scan_implILNS1_25lookback_scan_determinismE0ELb0ELb0ES3_N6thrust23THRUST_200600_302600_NS6detail15normal_iteratorINS9_10device_ptrIiEEEENS9_16discard_iteratorINS9_11use_defaultEEEiNS9_4plusIvEEiEEDaPvRmT3_T4_T5_mT6_P12ihipStream_tbENKUlT_T0_E_clISt17integral_constantIbLb1EESW_IbLb0EEEEDaSS_ST_EUlSS_E_NS1_11comp_targetILNS1_3genE0ELNS1_11target_archE4294967295ELNS1_3gpuE0ELNS1_3repE0EEENS1_30default_config_static_selectorELNS0_4arch9wavefront6targetE1EEEvT1_
	.globl	_ZN7rocprim17ROCPRIM_400000_NS6detail17trampoline_kernelINS0_14default_configENS1_20scan_config_selectorIiEEZZNS1_9scan_implILNS1_25lookback_scan_determinismE0ELb0ELb0ES3_N6thrust23THRUST_200600_302600_NS6detail15normal_iteratorINS9_10device_ptrIiEEEENS9_16discard_iteratorINS9_11use_defaultEEEiNS9_4plusIvEEiEEDaPvRmT3_T4_T5_mT6_P12ihipStream_tbENKUlT_T0_E_clISt17integral_constantIbLb1EESW_IbLb0EEEEDaSS_ST_EUlSS_E_NS1_11comp_targetILNS1_3genE0ELNS1_11target_archE4294967295ELNS1_3gpuE0ELNS1_3repE0EEENS1_30default_config_static_selectorELNS0_4arch9wavefront6targetE1EEEvT1_
	.p2align	8
	.type	_ZN7rocprim17ROCPRIM_400000_NS6detail17trampoline_kernelINS0_14default_configENS1_20scan_config_selectorIiEEZZNS1_9scan_implILNS1_25lookback_scan_determinismE0ELb0ELb0ES3_N6thrust23THRUST_200600_302600_NS6detail15normal_iteratorINS9_10device_ptrIiEEEENS9_16discard_iteratorINS9_11use_defaultEEEiNS9_4plusIvEEiEEDaPvRmT3_T4_T5_mT6_P12ihipStream_tbENKUlT_T0_E_clISt17integral_constantIbLb1EESW_IbLb0EEEEDaSS_ST_EUlSS_E_NS1_11comp_targetILNS1_3genE0ELNS1_11target_archE4294967295ELNS1_3gpuE0ELNS1_3repE0EEENS1_30default_config_static_selectorELNS0_4arch9wavefront6targetE1EEEvT1_,@function
_ZN7rocprim17ROCPRIM_400000_NS6detail17trampoline_kernelINS0_14default_configENS1_20scan_config_selectorIiEEZZNS1_9scan_implILNS1_25lookback_scan_determinismE0ELb0ELb0ES3_N6thrust23THRUST_200600_302600_NS6detail15normal_iteratorINS9_10device_ptrIiEEEENS9_16discard_iteratorINS9_11use_defaultEEEiNS9_4plusIvEEiEEDaPvRmT3_T4_T5_mT6_P12ihipStream_tbENKUlT_T0_E_clISt17integral_constantIbLb1EESW_IbLb0EEEEDaSS_ST_EUlSS_E_NS1_11comp_targetILNS1_3genE0ELNS1_11target_archE4294967295ELNS1_3gpuE0ELNS1_3repE0EEENS1_30default_config_static_selectorELNS0_4arch9wavefront6targetE1EEEvT1_: ; @_ZN7rocprim17ROCPRIM_400000_NS6detail17trampoline_kernelINS0_14default_configENS1_20scan_config_selectorIiEEZZNS1_9scan_implILNS1_25lookback_scan_determinismE0ELb0ELb0ES3_N6thrust23THRUST_200600_302600_NS6detail15normal_iteratorINS9_10device_ptrIiEEEENS9_16discard_iteratorINS9_11use_defaultEEEiNS9_4plusIvEEiEEDaPvRmT3_T4_T5_mT6_P12ihipStream_tbENKUlT_T0_E_clISt17integral_constantIbLb1EESW_IbLb0EEEEDaSS_ST_EUlSS_E_NS1_11comp_targetILNS1_3genE0ELNS1_11target_archE4294967295ELNS1_3gpuE0ELNS1_3repE0EEENS1_30default_config_static_selectorELNS0_4arch9wavefront6targetE1EEEvT1_
; %bb.0:
	.section	.rodata,"a",@progbits
	.p2align	6, 0x0
	.amdhsa_kernel _ZN7rocprim17ROCPRIM_400000_NS6detail17trampoline_kernelINS0_14default_configENS1_20scan_config_selectorIiEEZZNS1_9scan_implILNS1_25lookback_scan_determinismE0ELb0ELb0ES3_N6thrust23THRUST_200600_302600_NS6detail15normal_iteratorINS9_10device_ptrIiEEEENS9_16discard_iteratorINS9_11use_defaultEEEiNS9_4plusIvEEiEEDaPvRmT3_T4_T5_mT6_P12ihipStream_tbENKUlT_T0_E_clISt17integral_constantIbLb1EESW_IbLb0EEEEDaSS_ST_EUlSS_E_NS1_11comp_targetILNS1_3genE0ELNS1_11target_archE4294967295ELNS1_3gpuE0ELNS1_3repE0EEENS1_30default_config_static_selectorELNS0_4arch9wavefront6targetE1EEEvT1_
		.amdhsa_group_segment_fixed_size 0
		.amdhsa_private_segment_fixed_size 0
		.amdhsa_kernarg_size 104
		.amdhsa_user_sgpr_count 6
		.amdhsa_user_sgpr_private_segment_buffer 1
		.amdhsa_user_sgpr_dispatch_ptr 0
		.amdhsa_user_sgpr_queue_ptr 0
		.amdhsa_user_sgpr_kernarg_segment_ptr 1
		.amdhsa_user_sgpr_dispatch_id 0
		.amdhsa_user_sgpr_flat_scratch_init 0
		.amdhsa_user_sgpr_kernarg_preload_length 0
		.amdhsa_user_sgpr_kernarg_preload_offset 0
		.amdhsa_user_sgpr_private_segment_size 0
		.amdhsa_uses_dynamic_stack 0
		.amdhsa_system_sgpr_private_segment_wavefront_offset 0
		.amdhsa_system_sgpr_workgroup_id_x 1
		.amdhsa_system_sgpr_workgroup_id_y 0
		.amdhsa_system_sgpr_workgroup_id_z 0
		.amdhsa_system_sgpr_workgroup_info 0
		.amdhsa_system_vgpr_workitem_id 0
		.amdhsa_next_free_vgpr 1
		.amdhsa_next_free_sgpr 0
		.amdhsa_accum_offset 4
		.amdhsa_reserve_vcc 0
		.amdhsa_reserve_flat_scratch 0
		.amdhsa_float_round_mode_32 0
		.amdhsa_float_round_mode_16_64 0
		.amdhsa_float_denorm_mode_32 3
		.amdhsa_float_denorm_mode_16_64 3
		.amdhsa_dx10_clamp 1
		.amdhsa_ieee_mode 1
		.amdhsa_fp16_overflow 0
		.amdhsa_tg_split 0
		.amdhsa_exception_fp_ieee_invalid_op 0
		.amdhsa_exception_fp_denorm_src 0
		.amdhsa_exception_fp_ieee_div_zero 0
		.amdhsa_exception_fp_ieee_overflow 0
		.amdhsa_exception_fp_ieee_underflow 0
		.amdhsa_exception_fp_ieee_inexact 0
		.amdhsa_exception_int_div_zero 0
	.end_amdhsa_kernel
	.section	.text._ZN7rocprim17ROCPRIM_400000_NS6detail17trampoline_kernelINS0_14default_configENS1_20scan_config_selectorIiEEZZNS1_9scan_implILNS1_25lookback_scan_determinismE0ELb0ELb0ES3_N6thrust23THRUST_200600_302600_NS6detail15normal_iteratorINS9_10device_ptrIiEEEENS9_16discard_iteratorINS9_11use_defaultEEEiNS9_4plusIvEEiEEDaPvRmT3_T4_T5_mT6_P12ihipStream_tbENKUlT_T0_E_clISt17integral_constantIbLb1EESW_IbLb0EEEEDaSS_ST_EUlSS_E_NS1_11comp_targetILNS1_3genE0ELNS1_11target_archE4294967295ELNS1_3gpuE0ELNS1_3repE0EEENS1_30default_config_static_selectorELNS0_4arch9wavefront6targetE1EEEvT1_,"axG",@progbits,_ZN7rocprim17ROCPRIM_400000_NS6detail17trampoline_kernelINS0_14default_configENS1_20scan_config_selectorIiEEZZNS1_9scan_implILNS1_25lookback_scan_determinismE0ELb0ELb0ES3_N6thrust23THRUST_200600_302600_NS6detail15normal_iteratorINS9_10device_ptrIiEEEENS9_16discard_iteratorINS9_11use_defaultEEEiNS9_4plusIvEEiEEDaPvRmT3_T4_T5_mT6_P12ihipStream_tbENKUlT_T0_E_clISt17integral_constantIbLb1EESW_IbLb0EEEEDaSS_ST_EUlSS_E_NS1_11comp_targetILNS1_3genE0ELNS1_11target_archE4294967295ELNS1_3gpuE0ELNS1_3repE0EEENS1_30default_config_static_selectorELNS0_4arch9wavefront6targetE1EEEvT1_,comdat
.Lfunc_end5762:
	.size	_ZN7rocprim17ROCPRIM_400000_NS6detail17trampoline_kernelINS0_14default_configENS1_20scan_config_selectorIiEEZZNS1_9scan_implILNS1_25lookback_scan_determinismE0ELb0ELb0ES3_N6thrust23THRUST_200600_302600_NS6detail15normal_iteratorINS9_10device_ptrIiEEEENS9_16discard_iteratorINS9_11use_defaultEEEiNS9_4plusIvEEiEEDaPvRmT3_T4_T5_mT6_P12ihipStream_tbENKUlT_T0_E_clISt17integral_constantIbLb1EESW_IbLb0EEEEDaSS_ST_EUlSS_E_NS1_11comp_targetILNS1_3genE0ELNS1_11target_archE4294967295ELNS1_3gpuE0ELNS1_3repE0EEENS1_30default_config_static_selectorELNS0_4arch9wavefront6targetE1EEEvT1_, .Lfunc_end5762-_ZN7rocprim17ROCPRIM_400000_NS6detail17trampoline_kernelINS0_14default_configENS1_20scan_config_selectorIiEEZZNS1_9scan_implILNS1_25lookback_scan_determinismE0ELb0ELb0ES3_N6thrust23THRUST_200600_302600_NS6detail15normal_iteratorINS9_10device_ptrIiEEEENS9_16discard_iteratorINS9_11use_defaultEEEiNS9_4plusIvEEiEEDaPvRmT3_T4_T5_mT6_P12ihipStream_tbENKUlT_T0_E_clISt17integral_constantIbLb1EESW_IbLb0EEEEDaSS_ST_EUlSS_E_NS1_11comp_targetILNS1_3genE0ELNS1_11target_archE4294967295ELNS1_3gpuE0ELNS1_3repE0EEENS1_30default_config_static_selectorELNS0_4arch9wavefront6targetE1EEEvT1_
                                        ; -- End function
	.section	.AMDGPU.csdata,"",@progbits
; Kernel info:
; codeLenInByte = 0
; NumSgprs: 4
; NumVgprs: 0
; NumAgprs: 0
; TotalNumVgprs: 0
; ScratchSize: 0
; MemoryBound: 0
; FloatMode: 240
; IeeeMode: 1
; LDSByteSize: 0 bytes/workgroup (compile time only)
; SGPRBlocks: 0
; VGPRBlocks: 0
; NumSGPRsForWavesPerEU: 4
; NumVGPRsForWavesPerEU: 1
; AccumOffset: 4
; Occupancy: 8
; WaveLimiterHint : 0
; COMPUTE_PGM_RSRC2:SCRATCH_EN: 0
; COMPUTE_PGM_RSRC2:USER_SGPR: 6
; COMPUTE_PGM_RSRC2:TRAP_HANDLER: 0
; COMPUTE_PGM_RSRC2:TGID_X_EN: 1
; COMPUTE_PGM_RSRC2:TGID_Y_EN: 0
; COMPUTE_PGM_RSRC2:TGID_Z_EN: 0
; COMPUTE_PGM_RSRC2:TIDIG_COMP_CNT: 0
; COMPUTE_PGM_RSRC3_GFX90A:ACCUM_OFFSET: 0
; COMPUTE_PGM_RSRC3_GFX90A:TG_SPLIT: 0
	.section	.text._ZN7rocprim17ROCPRIM_400000_NS6detail17trampoline_kernelINS0_14default_configENS1_20scan_config_selectorIiEEZZNS1_9scan_implILNS1_25lookback_scan_determinismE0ELb0ELb0ES3_N6thrust23THRUST_200600_302600_NS6detail15normal_iteratorINS9_10device_ptrIiEEEENS9_16discard_iteratorINS9_11use_defaultEEEiNS9_4plusIvEEiEEDaPvRmT3_T4_T5_mT6_P12ihipStream_tbENKUlT_T0_E_clISt17integral_constantIbLb1EESW_IbLb0EEEEDaSS_ST_EUlSS_E_NS1_11comp_targetILNS1_3genE5ELNS1_11target_archE942ELNS1_3gpuE9ELNS1_3repE0EEENS1_30default_config_static_selectorELNS0_4arch9wavefront6targetE1EEEvT1_,"axG",@progbits,_ZN7rocprim17ROCPRIM_400000_NS6detail17trampoline_kernelINS0_14default_configENS1_20scan_config_selectorIiEEZZNS1_9scan_implILNS1_25lookback_scan_determinismE0ELb0ELb0ES3_N6thrust23THRUST_200600_302600_NS6detail15normal_iteratorINS9_10device_ptrIiEEEENS9_16discard_iteratorINS9_11use_defaultEEEiNS9_4plusIvEEiEEDaPvRmT3_T4_T5_mT6_P12ihipStream_tbENKUlT_T0_E_clISt17integral_constantIbLb1EESW_IbLb0EEEEDaSS_ST_EUlSS_E_NS1_11comp_targetILNS1_3genE5ELNS1_11target_archE942ELNS1_3gpuE9ELNS1_3repE0EEENS1_30default_config_static_selectorELNS0_4arch9wavefront6targetE1EEEvT1_,comdat
	.protected	_ZN7rocprim17ROCPRIM_400000_NS6detail17trampoline_kernelINS0_14default_configENS1_20scan_config_selectorIiEEZZNS1_9scan_implILNS1_25lookback_scan_determinismE0ELb0ELb0ES3_N6thrust23THRUST_200600_302600_NS6detail15normal_iteratorINS9_10device_ptrIiEEEENS9_16discard_iteratorINS9_11use_defaultEEEiNS9_4plusIvEEiEEDaPvRmT3_T4_T5_mT6_P12ihipStream_tbENKUlT_T0_E_clISt17integral_constantIbLb1EESW_IbLb0EEEEDaSS_ST_EUlSS_E_NS1_11comp_targetILNS1_3genE5ELNS1_11target_archE942ELNS1_3gpuE9ELNS1_3repE0EEENS1_30default_config_static_selectorELNS0_4arch9wavefront6targetE1EEEvT1_ ; -- Begin function _ZN7rocprim17ROCPRIM_400000_NS6detail17trampoline_kernelINS0_14default_configENS1_20scan_config_selectorIiEEZZNS1_9scan_implILNS1_25lookback_scan_determinismE0ELb0ELb0ES3_N6thrust23THRUST_200600_302600_NS6detail15normal_iteratorINS9_10device_ptrIiEEEENS9_16discard_iteratorINS9_11use_defaultEEEiNS9_4plusIvEEiEEDaPvRmT3_T4_T5_mT6_P12ihipStream_tbENKUlT_T0_E_clISt17integral_constantIbLb1EESW_IbLb0EEEEDaSS_ST_EUlSS_E_NS1_11comp_targetILNS1_3genE5ELNS1_11target_archE942ELNS1_3gpuE9ELNS1_3repE0EEENS1_30default_config_static_selectorELNS0_4arch9wavefront6targetE1EEEvT1_
	.globl	_ZN7rocprim17ROCPRIM_400000_NS6detail17trampoline_kernelINS0_14default_configENS1_20scan_config_selectorIiEEZZNS1_9scan_implILNS1_25lookback_scan_determinismE0ELb0ELb0ES3_N6thrust23THRUST_200600_302600_NS6detail15normal_iteratorINS9_10device_ptrIiEEEENS9_16discard_iteratorINS9_11use_defaultEEEiNS9_4plusIvEEiEEDaPvRmT3_T4_T5_mT6_P12ihipStream_tbENKUlT_T0_E_clISt17integral_constantIbLb1EESW_IbLb0EEEEDaSS_ST_EUlSS_E_NS1_11comp_targetILNS1_3genE5ELNS1_11target_archE942ELNS1_3gpuE9ELNS1_3repE0EEENS1_30default_config_static_selectorELNS0_4arch9wavefront6targetE1EEEvT1_
	.p2align	8
	.type	_ZN7rocprim17ROCPRIM_400000_NS6detail17trampoline_kernelINS0_14default_configENS1_20scan_config_selectorIiEEZZNS1_9scan_implILNS1_25lookback_scan_determinismE0ELb0ELb0ES3_N6thrust23THRUST_200600_302600_NS6detail15normal_iteratorINS9_10device_ptrIiEEEENS9_16discard_iteratorINS9_11use_defaultEEEiNS9_4plusIvEEiEEDaPvRmT3_T4_T5_mT6_P12ihipStream_tbENKUlT_T0_E_clISt17integral_constantIbLb1EESW_IbLb0EEEEDaSS_ST_EUlSS_E_NS1_11comp_targetILNS1_3genE5ELNS1_11target_archE942ELNS1_3gpuE9ELNS1_3repE0EEENS1_30default_config_static_selectorELNS0_4arch9wavefront6targetE1EEEvT1_,@function
_ZN7rocprim17ROCPRIM_400000_NS6detail17trampoline_kernelINS0_14default_configENS1_20scan_config_selectorIiEEZZNS1_9scan_implILNS1_25lookback_scan_determinismE0ELb0ELb0ES3_N6thrust23THRUST_200600_302600_NS6detail15normal_iteratorINS9_10device_ptrIiEEEENS9_16discard_iteratorINS9_11use_defaultEEEiNS9_4plusIvEEiEEDaPvRmT3_T4_T5_mT6_P12ihipStream_tbENKUlT_T0_E_clISt17integral_constantIbLb1EESW_IbLb0EEEEDaSS_ST_EUlSS_E_NS1_11comp_targetILNS1_3genE5ELNS1_11target_archE942ELNS1_3gpuE9ELNS1_3repE0EEENS1_30default_config_static_selectorELNS0_4arch9wavefront6targetE1EEEvT1_: ; @_ZN7rocprim17ROCPRIM_400000_NS6detail17trampoline_kernelINS0_14default_configENS1_20scan_config_selectorIiEEZZNS1_9scan_implILNS1_25lookback_scan_determinismE0ELb0ELb0ES3_N6thrust23THRUST_200600_302600_NS6detail15normal_iteratorINS9_10device_ptrIiEEEENS9_16discard_iteratorINS9_11use_defaultEEEiNS9_4plusIvEEiEEDaPvRmT3_T4_T5_mT6_P12ihipStream_tbENKUlT_T0_E_clISt17integral_constantIbLb1EESW_IbLb0EEEEDaSS_ST_EUlSS_E_NS1_11comp_targetILNS1_3genE5ELNS1_11target_archE942ELNS1_3gpuE9ELNS1_3repE0EEENS1_30default_config_static_selectorELNS0_4arch9wavefront6targetE1EEEvT1_
; %bb.0:
	.section	.rodata,"a",@progbits
	.p2align	6, 0x0
	.amdhsa_kernel _ZN7rocprim17ROCPRIM_400000_NS6detail17trampoline_kernelINS0_14default_configENS1_20scan_config_selectorIiEEZZNS1_9scan_implILNS1_25lookback_scan_determinismE0ELb0ELb0ES3_N6thrust23THRUST_200600_302600_NS6detail15normal_iteratorINS9_10device_ptrIiEEEENS9_16discard_iteratorINS9_11use_defaultEEEiNS9_4plusIvEEiEEDaPvRmT3_T4_T5_mT6_P12ihipStream_tbENKUlT_T0_E_clISt17integral_constantIbLb1EESW_IbLb0EEEEDaSS_ST_EUlSS_E_NS1_11comp_targetILNS1_3genE5ELNS1_11target_archE942ELNS1_3gpuE9ELNS1_3repE0EEENS1_30default_config_static_selectorELNS0_4arch9wavefront6targetE1EEEvT1_
		.amdhsa_group_segment_fixed_size 0
		.amdhsa_private_segment_fixed_size 0
		.amdhsa_kernarg_size 104
		.amdhsa_user_sgpr_count 6
		.amdhsa_user_sgpr_private_segment_buffer 1
		.amdhsa_user_sgpr_dispatch_ptr 0
		.amdhsa_user_sgpr_queue_ptr 0
		.amdhsa_user_sgpr_kernarg_segment_ptr 1
		.amdhsa_user_sgpr_dispatch_id 0
		.amdhsa_user_sgpr_flat_scratch_init 0
		.amdhsa_user_sgpr_kernarg_preload_length 0
		.amdhsa_user_sgpr_kernarg_preload_offset 0
		.amdhsa_user_sgpr_private_segment_size 0
		.amdhsa_uses_dynamic_stack 0
		.amdhsa_system_sgpr_private_segment_wavefront_offset 0
		.amdhsa_system_sgpr_workgroup_id_x 1
		.amdhsa_system_sgpr_workgroup_id_y 0
		.amdhsa_system_sgpr_workgroup_id_z 0
		.amdhsa_system_sgpr_workgroup_info 0
		.amdhsa_system_vgpr_workitem_id 0
		.amdhsa_next_free_vgpr 1
		.amdhsa_next_free_sgpr 0
		.amdhsa_accum_offset 4
		.amdhsa_reserve_vcc 0
		.amdhsa_reserve_flat_scratch 0
		.amdhsa_float_round_mode_32 0
		.amdhsa_float_round_mode_16_64 0
		.amdhsa_float_denorm_mode_32 3
		.amdhsa_float_denorm_mode_16_64 3
		.amdhsa_dx10_clamp 1
		.amdhsa_ieee_mode 1
		.amdhsa_fp16_overflow 0
		.amdhsa_tg_split 0
		.amdhsa_exception_fp_ieee_invalid_op 0
		.amdhsa_exception_fp_denorm_src 0
		.amdhsa_exception_fp_ieee_div_zero 0
		.amdhsa_exception_fp_ieee_overflow 0
		.amdhsa_exception_fp_ieee_underflow 0
		.amdhsa_exception_fp_ieee_inexact 0
		.amdhsa_exception_int_div_zero 0
	.end_amdhsa_kernel
	.section	.text._ZN7rocprim17ROCPRIM_400000_NS6detail17trampoline_kernelINS0_14default_configENS1_20scan_config_selectorIiEEZZNS1_9scan_implILNS1_25lookback_scan_determinismE0ELb0ELb0ES3_N6thrust23THRUST_200600_302600_NS6detail15normal_iteratorINS9_10device_ptrIiEEEENS9_16discard_iteratorINS9_11use_defaultEEEiNS9_4plusIvEEiEEDaPvRmT3_T4_T5_mT6_P12ihipStream_tbENKUlT_T0_E_clISt17integral_constantIbLb1EESW_IbLb0EEEEDaSS_ST_EUlSS_E_NS1_11comp_targetILNS1_3genE5ELNS1_11target_archE942ELNS1_3gpuE9ELNS1_3repE0EEENS1_30default_config_static_selectorELNS0_4arch9wavefront6targetE1EEEvT1_,"axG",@progbits,_ZN7rocprim17ROCPRIM_400000_NS6detail17trampoline_kernelINS0_14default_configENS1_20scan_config_selectorIiEEZZNS1_9scan_implILNS1_25lookback_scan_determinismE0ELb0ELb0ES3_N6thrust23THRUST_200600_302600_NS6detail15normal_iteratorINS9_10device_ptrIiEEEENS9_16discard_iteratorINS9_11use_defaultEEEiNS9_4plusIvEEiEEDaPvRmT3_T4_T5_mT6_P12ihipStream_tbENKUlT_T0_E_clISt17integral_constantIbLb1EESW_IbLb0EEEEDaSS_ST_EUlSS_E_NS1_11comp_targetILNS1_3genE5ELNS1_11target_archE942ELNS1_3gpuE9ELNS1_3repE0EEENS1_30default_config_static_selectorELNS0_4arch9wavefront6targetE1EEEvT1_,comdat
.Lfunc_end5763:
	.size	_ZN7rocprim17ROCPRIM_400000_NS6detail17trampoline_kernelINS0_14default_configENS1_20scan_config_selectorIiEEZZNS1_9scan_implILNS1_25lookback_scan_determinismE0ELb0ELb0ES3_N6thrust23THRUST_200600_302600_NS6detail15normal_iteratorINS9_10device_ptrIiEEEENS9_16discard_iteratorINS9_11use_defaultEEEiNS9_4plusIvEEiEEDaPvRmT3_T4_T5_mT6_P12ihipStream_tbENKUlT_T0_E_clISt17integral_constantIbLb1EESW_IbLb0EEEEDaSS_ST_EUlSS_E_NS1_11comp_targetILNS1_3genE5ELNS1_11target_archE942ELNS1_3gpuE9ELNS1_3repE0EEENS1_30default_config_static_selectorELNS0_4arch9wavefront6targetE1EEEvT1_, .Lfunc_end5763-_ZN7rocprim17ROCPRIM_400000_NS6detail17trampoline_kernelINS0_14default_configENS1_20scan_config_selectorIiEEZZNS1_9scan_implILNS1_25lookback_scan_determinismE0ELb0ELb0ES3_N6thrust23THRUST_200600_302600_NS6detail15normal_iteratorINS9_10device_ptrIiEEEENS9_16discard_iteratorINS9_11use_defaultEEEiNS9_4plusIvEEiEEDaPvRmT3_T4_T5_mT6_P12ihipStream_tbENKUlT_T0_E_clISt17integral_constantIbLb1EESW_IbLb0EEEEDaSS_ST_EUlSS_E_NS1_11comp_targetILNS1_3genE5ELNS1_11target_archE942ELNS1_3gpuE9ELNS1_3repE0EEENS1_30default_config_static_selectorELNS0_4arch9wavefront6targetE1EEEvT1_
                                        ; -- End function
	.section	.AMDGPU.csdata,"",@progbits
; Kernel info:
; codeLenInByte = 0
; NumSgprs: 4
; NumVgprs: 0
; NumAgprs: 0
; TotalNumVgprs: 0
; ScratchSize: 0
; MemoryBound: 0
; FloatMode: 240
; IeeeMode: 1
; LDSByteSize: 0 bytes/workgroup (compile time only)
; SGPRBlocks: 0
; VGPRBlocks: 0
; NumSGPRsForWavesPerEU: 4
; NumVGPRsForWavesPerEU: 1
; AccumOffset: 4
; Occupancy: 8
; WaveLimiterHint : 0
; COMPUTE_PGM_RSRC2:SCRATCH_EN: 0
; COMPUTE_PGM_RSRC2:USER_SGPR: 6
; COMPUTE_PGM_RSRC2:TRAP_HANDLER: 0
; COMPUTE_PGM_RSRC2:TGID_X_EN: 1
; COMPUTE_PGM_RSRC2:TGID_Y_EN: 0
; COMPUTE_PGM_RSRC2:TGID_Z_EN: 0
; COMPUTE_PGM_RSRC2:TIDIG_COMP_CNT: 0
; COMPUTE_PGM_RSRC3_GFX90A:ACCUM_OFFSET: 0
; COMPUTE_PGM_RSRC3_GFX90A:TG_SPLIT: 0
	.section	.text._ZN7rocprim17ROCPRIM_400000_NS6detail17trampoline_kernelINS0_14default_configENS1_20scan_config_selectorIiEEZZNS1_9scan_implILNS1_25lookback_scan_determinismE0ELb0ELb0ES3_N6thrust23THRUST_200600_302600_NS6detail15normal_iteratorINS9_10device_ptrIiEEEENS9_16discard_iteratorINS9_11use_defaultEEEiNS9_4plusIvEEiEEDaPvRmT3_T4_T5_mT6_P12ihipStream_tbENKUlT_T0_E_clISt17integral_constantIbLb1EESW_IbLb0EEEEDaSS_ST_EUlSS_E_NS1_11comp_targetILNS1_3genE4ELNS1_11target_archE910ELNS1_3gpuE8ELNS1_3repE0EEENS1_30default_config_static_selectorELNS0_4arch9wavefront6targetE1EEEvT1_,"axG",@progbits,_ZN7rocprim17ROCPRIM_400000_NS6detail17trampoline_kernelINS0_14default_configENS1_20scan_config_selectorIiEEZZNS1_9scan_implILNS1_25lookback_scan_determinismE0ELb0ELb0ES3_N6thrust23THRUST_200600_302600_NS6detail15normal_iteratorINS9_10device_ptrIiEEEENS9_16discard_iteratorINS9_11use_defaultEEEiNS9_4plusIvEEiEEDaPvRmT3_T4_T5_mT6_P12ihipStream_tbENKUlT_T0_E_clISt17integral_constantIbLb1EESW_IbLb0EEEEDaSS_ST_EUlSS_E_NS1_11comp_targetILNS1_3genE4ELNS1_11target_archE910ELNS1_3gpuE8ELNS1_3repE0EEENS1_30default_config_static_selectorELNS0_4arch9wavefront6targetE1EEEvT1_,comdat
	.protected	_ZN7rocprim17ROCPRIM_400000_NS6detail17trampoline_kernelINS0_14default_configENS1_20scan_config_selectorIiEEZZNS1_9scan_implILNS1_25lookback_scan_determinismE0ELb0ELb0ES3_N6thrust23THRUST_200600_302600_NS6detail15normal_iteratorINS9_10device_ptrIiEEEENS9_16discard_iteratorINS9_11use_defaultEEEiNS9_4plusIvEEiEEDaPvRmT3_T4_T5_mT6_P12ihipStream_tbENKUlT_T0_E_clISt17integral_constantIbLb1EESW_IbLb0EEEEDaSS_ST_EUlSS_E_NS1_11comp_targetILNS1_3genE4ELNS1_11target_archE910ELNS1_3gpuE8ELNS1_3repE0EEENS1_30default_config_static_selectorELNS0_4arch9wavefront6targetE1EEEvT1_ ; -- Begin function _ZN7rocprim17ROCPRIM_400000_NS6detail17trampoline_kernelINS0_14default_configENS1_20scan_config_selectorIiEEZZNS1_9scan_implILNS1_25lookback_scan_determinismE0ELb0ELb0ES3_N6thrust23THRUST_200600_302600_NS6detail15normal_iteratorINS9_10device_ptrIiEEEENS9_16discard_iteratorINS9_11use_defaultEEEiNS9_4plusIvEEiEEDaPvRmT3_T4_T5_mT6_P12ihipStream_tbENKUlT_T0_E_clISt17integral_constantIbLb1EESW_IbLb0EEEEDaSS_ST_EUlSS_E_NS1_11comp_targetILNS1_3genE4ELNS1_11target_archE910ELNS1_3gpuE8ELNS1_3repE0EEENS1_30default_config_static_selectorELNS0_4arch9wavefront6targetE1EEEvT1_
	.globl	_ZN7rocprim17ROCPRIM_400000_NS6detail17trampoline_kernelINS0_14default_configENS1_20scan_config_selectorIiEEZZNS1_9scan_implILNS1_25lookback_scan_determinismE0ELb0ELb0ES3_N6thrust23THRUST_200600_302600_NS6detail15normal_iteratorINS9_10device_ptrIiEEEENS9_16discard_iteratorINS9_11use_defaultEEEiNS9_4plusIvEEiEEDaPvRmT3_T4_T5_mT6_P12ihipStream_tbENKUlT_T0_E_clISt17integral_constantIbLb1EESW_IbLb0EEEEDaSS_ST_EUlSS_E_NS1_11comp_targetILNS1_3genE4ELNS1_11target_archE910ELNS1_3gpuE8ELNS1_3repE0EEENS1_30default_config_static_selectorELNS0_4arch9wavefront6targetE1EEEvT1_
	.p2align	8
	.type	_ZN7rocprim17ROCPRIM_400000_NS6detail17trampoline_kernelINS0_14default_configENS1_20scan_config_selectorIiEEZZNS1_9scan_implILNS1_25lookback_scan_determinismE0ELb0ELb0ES3_N6thrust23THRUST_200600_302600_NS6detail15normal_iteratorINS9_10device_ptrIiEEEENS9_16discard_iteratorINS9_11use_defaultEEEiNS9_4plusIvEEiEEDaPvRmT3_T4_T5_mT6_P12ihipStream_tbENKUlT_T0_E_clISt17integral_constantIbLb1EESW_IbLb0EEEEDaSS_ST_EUlSS_E_NS1_11comp_targetILNS1_3genE4ELNS1_11target_archE910ELNS1_3gpuE8ELNS1_3repE0EEENS1_30default_config_static_selectorELNS0_4arch9wavefront6targetE1EEEvT1_,@function
_ZN7rocprim17ROCPRIM_400000_NS6detail17trampoline_kernelINS0_14default_configENS1_20scan_config_selectorIiEEZZNS1_9scan_implILNS1_25lookback_scan_determinismE0ELb0ELb0ES3_N6thrust23THRUST_200600_302600_NS6detail15normal_iteratorINS9_10device_ptrIiEEEENS9_16discard_iteratorINS9_11use_defaultEEEiNS9_4plusIvEEiEEDaPvRmT3_T4_T5_mT6_P12ihipStream_tbENKUlT_T0_E_clISt17integral_constantIbLb1EESW_IbLb0EEEEDaSS_ST_EUlSS_E_NS1_11comp_targetILNS1_3genE4ELNS1_11target_archE910ELNS1_3gpuE8ELNS1_3repE0EEENS1_30default_config_static_selectorELNS0_4arch9wavefront6targetE1EEEvT1_: ; @_ZN7rocprim17ROCPRIM_400000_NS6detail17trampoline_kernelINS0_14default_configENS1_20scan_config_selectorIiEEZZNS1_9scan_implILNS1_25lookback_scan_determinismE0ELb0ELb0ES3_N6thrust23THRUST_200600_302600_NS6detail15normal_iteratorINS9_10device_ptrIiEEEENS9_16discard_iteratorINS9_11use_defaultEEEiNS9_4plusIvEEiEEDaPvRmT3_T4_T5_mT6_P12ihipStream_tbENKUlT_T0_E_clISt17integral_constantIbLb1EESW_IbLb0EEEEDaSS_ST_EUlSS_E_NS1_11comp_targetILNS1_3genE4ELNS1_11target_archE910ELNS1_3gpuE8ELNS1_3repE0EEENS1_30default_config_static_selectorELNS0_4arch9wavefront6targetE1EEEvT1_
; %bb.0:
	s_load_dwordx4 s[0:3], s[4:5], 0x0
	s_load_dwordx2 s[8:9], s[4:5], 0x20
	s_load_dword s7, s[4:5], 0x38
	s_waitcnt lgkmcnt(0)
	s_lshl_b64 s[2:3], s[2:3], 2
	s_add_u32 s2, s0, s2
	s_addc_u32 s3, s1, s3
	s_add_i32 s7, s7, -1
	s_mul_i32 s10, s7, 0x500
	s_sub_u32 s18, s8, s10
	s_subb_u32 s19, s9, 0
	s_mul_i32 s0, s6, 0x500
	s_mov_b32 s1, 0
	s_cmp_lg_u32 s6, s7
	s_cselect_b64 s[12:13], -1, 0
	s_lshl_b64 s[0:1], s[0:1], 2
	s_add_u32 s0, s2, s0
	s_addc_u32 s1, s3, s1
	s_mov_b64 s[2:3], -1
	s_and_b64 vcc, exec, s[12:13]
	s_cbranch_vccz .LBB5764_2
; %bb.1:
	v_lshlrev_b32_e32 v1, 2, v0
	v_mov_b32_e32 v3, s1
	v_add_co_u32_e32 v2, vcc, s0, v1
	v_addc_co_u32_e32 v3, vcc, 0, v3, vcc
	flat_load_dword v4, v[2:3]
	flat_load_dword v5, v[2:3] offset:512
	flat_load_dword v6, v[2:3] offset:1024
	;; [unrolled: 1-line block ×7, first 2 shown]
	v_add_co_u32_e32 v2, vcc, 0x1000, v2
	v_addc_co_u32_e32 v3, vcc, 0, v3, vcc
	flat_load_dword v12, v[2:3]
	flat_load_dword v13, v[2:3] offset:512
	s_mov_b64 s[2:3], 0
	s_waitcnt vmcnt(0) lgkmcnt(0)
	ds_write2st64_b32 v1, v4, v5 offset1:2
	ds_write2st64_b32 v1, v6, v7 offset0:4 offset1:6
	ds_write2st64_b32 v1, v8, v9 offset0:8 offset1:10
	;; [unrolled: 1-line block ×4, first 2 shown]
	s_waitcnt lgkmcnt(0)
	s_barrier
.LBB5764_2:
	s_load_dwordx2 s[14:15], s[4:5], 0x30
	s_andn2_b64 vcc, exec, s[2:3]
	s_cbranch_vccnz .LBB5764_24
; %bb.3:
	v_pk_mov_b32 v[2:3], s[0:1], s[0:1] op_sel:[0,1]
	flat_load_dword v1, v[2:3]
	v_cmp_gt_u32_e32 vcc, s18, v0
	s_waitcnt vmcnt(0) lgkmcnt(0)
	v_mov_b32_e32 v2, v1
	v_mov_b32_e32 v3, v1
	;; [unrolled: 1-line block ×9, first 2 shown]
	s_and_saveexec_b64 s[2:3], vcc
	s_cbranch_execz .LBB5764_5
; %bb.4:
	v_lshlrev_b32_e32 v10, 2, v0
	v_mov_b32_e32 v11, s1
	v_add_co_u32_e32 v10, vcc, s0, v10
	v_addc_co_u32_e32 v11, vcc, 0, v11, vcc
	flat_load_dword v10, v[10:11]
.LBB5764_5:
	s_or_b64 exec, exec, s[2:3]
	v_or_b32_e32 v11, 0x80, v0
	v_cmp_gt_u32_e32 vcc, s18, v11
	s_and_saveexec_b64 s[2:3], vcc
	s_cbranch_execz .LBB5764_7
; %bb.6:
	v_lshlrev_b32_e32 v1, 2, v0
	v_mov_b32_e32 v11, s1
	v_add_co_u32_e32 v12, vcc, s0, v1
	v_addc_co_u32_e32 v13, vcc, 0, v11, vcc
	flat_load_dword v1, v[12:13] offset:512
.LBB5764_7:
	s_or_b64 exec, exec, s[2:3]
	v_or_b32_e32 v11, 0x100, v0
	v_cmp_gt_u32_e32 vcc, s18, v11
	s_and_saveexec_b64 s[2:3], vcc
	s_cbranch_execz .LBB5764_9
; %bb.8:
	v_lshlrev_b32_e32 v2, 2, v0
	v_mov_b32_e32 v11, s1
	v_add_co_u32_e32 v12, vcc, s0, v2
	v_addc_co_u32_e32 v13, vcc, 0, v11, vcc
	flat_load_dword v2, v[12:13] offset:1024
.LBB5764_9:
	;; [unrolled: 12-line block ×7, first 2 shown]
	s_or_b64 exec, exec, s[2:3]
	v_or_b32_e32 v11, 0x400, v0
	v_cmp_gt_u32_e32 vcc, s18, v11
	s_and_saveexec_b64 s[2:3], vcc
	s_cbranch_execz .LBB5764_21
; %bb.20:
	v_lshlrev_b32_e32 v8, 2, v11
	v_mov_b32_e32 v11, s1
	v_add_co_u32_e32 v12, vcc, s0, v8
	v_addc_co_u32_e32 v13, vcc, 0, v11, vcc
	flat_load_dword v8, v[12:13]
.LBB5764_21:
	s_or_b64 exec, exec, s[2:3]
	v_or_b32_e32 v11, 0x480, v0
	v_cmp_gt_u32_e32 vcc, s18, v11
	s_and_saveexec_b64 s[2:3], vcc
	s_cbranch_execz .LBB5764_23
; %bb.22:
	v_lshlrev_b32_e32 v9, 2, v11
	v_mov_b32_e32 v11, s1
	v_add_co_u32_e32 v12, vcc, s0, v9
	v_addc_co_u32_e32 v13, vcc, 0, v11, vcc
	flat_load_dword v9, v[12:13]
.LBB5764_23:
	s_or_b64 exec, exec, s[2:3]
	v_lshlrev_b32_e32 v11, 2, v0
	s_waitcnt vmcnt(0) lgkmcnt(0)
	ds_write2st64_b32 v11, v10, v1 offset1:2
	ds_write2st64_b32 v11, v2, v3 offset0:4 offset1:6
	ds_write2st64_b32 v11, v4, v5 offset0:8 offset1:10
	;; [unrolled: 1-line block ×4, first 2 shown]
	s_waitcnt lgkmcnt(0)
	s_barrier
.LBB5764_24:
	v_mul_u32_u24_e32 v22, 10, v0
	v_lshlrev_b32_e32 v1, 2, v22
	s_waitcnt lgkmcnt(0)
	ds_read2_b64 v[2:5], v1 offset1:1
	ds_read2_b64 v[16:19], v1 offset0:2 offset1:3
	ds_read_b64 v[20:21], v1 offset:32
	s_cmp_lg_u32 s6, 0
	v_lshrrev_b32_e32 v23, 5, v0
	v_cmp_gt_u32_e32 vcc, 64, v0
	s_waitcnt lgkmcnt(0)
	s_barrier
	s_cbranch_scc0 .LBB5764_53
; %bb.25:
	v_add_u32_e32 v6, v3, v2
	v_add3_u32 v6, v6, v4, v5
	v_add3_u32 v6, v6, v16, v17
	;; [unrolled: 1-line block ×4, first 2 shown]
	v_add_lshl_u32 v7, v23, v0, 2
	ds_write_b32 v7, v6
	s_waitcnt lgkmcnt(0)
	s_barrier
	s_and_saveexec_b64 s[2:3], vcc
	s_cbranch_execz .LBB5764_27
; %bb.26:
	v_lshlrev_b32_e32 v7, 1, v0
	v_lshrrev_b32_e32 v8, 4, v0
	v_add_lshl_u32 v7, v8, v7, 2
	ds_read2_b32 v[8:9], v7 offset1:1
	v_mbcnt_lo_u32_b32 v10, -1, 0
	v_mbcnt_hi_u32_b32 v10, -1, v10
	v_and_b32_e32 v11, 15, v10
	v_cmp_ne_u32_e64 s[0:1], 0, v11
	s_waitcnt lgkmcnt(0)
	v_add_u32_e32 v9, v9, v8
	; wave barrier
	s_nop 1
	v_mov_b32_dpp v12, v9 row_shr:1 row_mask:0xf bank_mask:0xf
	v_cndmask_b32_e64 v12, 0, v12, s[0:1]
	v_add_u32_e32 v9, v12, v9
	v_cmp_lt_u32_e64 s[0:1], 1, v11
	s_nop 0
	v_mov_b32_dpp v12, v9 row_shr:2 row_mask:0xf bank_mask:0xf
	v_cndmask_b32_e64 v12, 0, v12, s[0:1]
	v_add_u32_e32 v9, v9, v12
	v_cmp_lt_u32_e64 s[0:1], 3, v11
	;; [unrolled: 5-line block ×3, first 2 shown]
	s_nop 0
	v_mov_b32_dpp v12, v9 row_shr:8 row_mask:0xf bank_mask:0xf
	v_cndmask_b32_e64 v11, 0, v12, s[0:1]
	v_add_u32_e32 v9, v9, v11
	v_bfe_i32 v12, v10, 4, 1
	v_cmp_lt_u32_e64 s[0:1], 31, v10
	v_mov_b32_dpp v11, v9 row_bcast:15 row_mask:0xf bank_mask:0xf
	v_and_b32_e32 v11, v12, v11
	v_add_u32_e32 v9, v9, v11
	v_and_b32_e32 v12, 64, v10
	s_nop 0
	v_mov_b32_dpp v11, v9 row_bcast:31 row_mask:0xf bank_mask:0xf
	v_cndmask_b32_e64 v11, 0, v11, s[0:1]
	v_add_u32_e32 v9, v9, v11
	v_add_u32_e32 v11, -1, v10
	v_cmp_lt_i32_e64 s[0:1], v11, v12
	v_cndmask_b32_e64 v10, v11, v10, s[0:1]
	v_lshlrev_b32_e32 v10, 2, v10
	ds_bpermute_b32 v9, v10, v9
	v_cmp_eq_u32_e64 s[0:1], 0, v0
	s_waitcnt lgkmcnt(0)
	v_add_u32_e32 v8, v9, v8
	v_cndmask_b32_e64 v6, v8, v6, s[0:1]
	ds_write_b32 v7, v6
	; wave barrier
	ds_read_b32 v8, v7 offset:4
	s_waitcnt lgkmcnt(0)
	v_add_u32_e32 v6, v8, v6
	ds_write_b32 v7, v6 offset:4
.LBB5764_27:
	s_or_b64 exec, exec, s[2:3]
	v_cmp_eq_u32_e64 s[0:1], 0, v0
	v_cmp_ne_u32_e64 s[2:3], 0, v0
	v_mov_b32_e32 v24, 0
	s_waitcnt lgkmcnt(0)
	s_barrier
	s_and_saveexec_b64 s[8:9], s[2:3]
	s_cbranch_execz .LBB5764_29
; %bb.28:
	v_add_u32_e32 v6, -1, v0
	v_lshrrev_b32_e32 v7, 5, v6
	v_add_lshl_u32 v6, v7, v6, 2
	ds_read_b32 v24, v6
.LBB5764_29:
	s_or_b64 exec, exec, s[8:9]
	s_and_saveexec_b64 s[8:9], vcc
	s_cbranch_execz .LBB5764_52
; %bb.30:
	v_mov_b32_e32 v15, 0
	ds_read_b32 v6, v15 offset:520
	v_mbcnt_lo_u32_b32 v7, -1, 0
	v_mbcnt_hi_u32_b32 v9, -1, v7
	s_mov_b32 s17, 0
	v_cmp_eq_u32_e64 s[2:3], 0, v9
	s_and_saveexec_b64 s[10:11], s[2:3]
	s_cbranch_execz .LBB5764_32
; %bb.31:
	s_add_i32 s16, s6, 64
	s_lshl_b64 s[16:17], s[16:17], 3
	s_add_u32 s16, s14, s16
	v_mov_b32_e32 v7, 1
	s_addc_u32 s17, s15, s17
	s_waitcnt lgkmcnt(0)
	global_store_dwordx2 v15, v[6:7], s[16:17]
.LBB5764_32:
	s_or_b64 exec, exec, s[10:11]
	v_xad_u32 v8, v9, -1, s6
	v_add_u32_e32 v14, 64, v8
	v_lshlrev_b64 v[10:11], 3, v[14:15]
	v_mov_b32_e32 v7, s15
	v_add_co_u32_e32 v10, vcc, s14, v10
	v_addc_co_u32_e32 v11, vcc, v7, v11, vcc
	global_load_dwordx2 v[12:13], v[10:11], off glc
	s_waitcnt vmcnt(0)
	v_cmp_eq_u16_sdwa s[16:17], v13, v15 src0_sel:BYTE_0 src1_sel:DWORD
	s_and_saveexec_b64 s[10:11], s[16:17]
	s_cbranch_execz .LBB5764_38
; %bb.33:
	s_mov_b32 s7, 1
	s_mov_b64 s[16:17], 0
	v_mov_b32_e32 v7, 0
.LBB5764_34:                            ; =>This Loop Header: Depth=1
                                        ;     Child Loop BB5764_35 Depth 2
	s_max_u32 s20, s7, 1
.LBB5764_35:                            ;   Parent Loop BB5764_34 Depth=1
                                        ; =>  This Inner Loop Header: Depth=2
	s_add_i32 s20, s20, -1
	s_cmp_eq_u32 s20, 0
	s_sleep 1
	s_cbranch_scc0 .LBB5764_35
; %bb.36:                               ;   in Loop: Header=BB5764_34 Depth=1
	global_load_dwordx2 v[12:13], v[10:11], off glc
	s_cmp_lt_u32 s7, 32
	s_cselect_b64 s[20:21], -1, 0
	s_cmp_lg_u64 s[20:21], 0
	s_addc_u32 s7, s7, 0
	s_waitcnt vmcnt(0)
	v_cmp_ne_u16_sdwa s[20:21], v13, v7 src0_sel:BYTE_0 src1_sel:DWORD
	s_or_b64 s[16:17], s[20:21], s[16:17]
	s_andn2_b64 exec, exec, s[16:17]
	s_cbranch_execnz .LBB5764_34
; %bb.37:
	s_or_b64 exec, exec, s[16:17]
.LBB5764_38:
	s_or_b64 exec, exec, s[10:11]
	v_and_b32_e32 v25, 63, v9
	v_mov_b32_e32 v7, 2
	v_cmp_ne_u32_e32 vcc, 63, v25
	v_cmp_eq_u16_sdwa s[10:11], v13, v7 src0_sel:BYTE_0 src1_sel:DWORD
	v_lshlrev_b64 v[10:11], v9, -1
	v_addc_co_u32_e32 v26, vcc, 0, v9, vcc
	v_and_b32_e32 v14, s11, v11
	v_lshlrev_b32_e32 v26, 2, v26
	v_or_b32_e32 v14, 0x80000000, v14
	ds_bpermute_b32 v27, v26, v12
	v_and_b32_e32 v15, s10, v10
	v_ffbl_b32_e32 v14, v14
	v_add_u32_e32 v14, 32, v14
	v_ffbl_b32_e32 v15, v15
	v_min_u32_e32 v14, v15, v14
	v_cmp_lt_u32_e32 vcc, v25, v14
	s_waitcnt lgkmcnt(0)
	v_cndmask_b32_e32 v15, 0, v27, vcc
	v_cmp_gt_u32_e32 vcc, 62, v25
	v_add_u32_e32 v12, v15, v12
	v_cndmask_b32_e64 v15, 0, 1, vcc
	v_lshlrev_b32_e32 v15, 1, v15
	v_add_lshl_u32 v27, v15, v9, 2
	ds_bpermute_b32 v15, v27, v12
	v_add_u32_e32 v28, 2, v25
	v_cmp_le_u32_e32 vcc, v28, v14
	v_add_u32_e32 v30, 4, v25
	v_add_u32_e32 v32, 8, v25
	s_waitcnt lgkmcnt(0)
	v_cndmask_b32_e32 v15, 0, v15, vcc
	v_cmp_gt_u32_e32 vcc, 60, v25
	v_add_u32_e32 v12, v12, v15
	v_cndmask_b32_e64 v15, 0, 1, vcc
	v_lshlrev_b32_e32 v15, 2, v15
	v_add_lshl_u32 v29, v15, v9, 2
	ds_bpermute_b32 v15, v29, v12
	v_cmp_le_u32_e32 vcc, v30, v14
	v_add_u32_e32 v35, 16, v25
	v_add_u32_e32 v37, 32, v25
	s_waitcnt lgkmcnt(0)
	v_cndmask_b32_e32 v15, 0, v15, vcc
	v_cmp_gt_u32_e32 vcc, 56, v25
	v_add_u32_e32 v12, v12, v15
	v_cndmask_b32_e64 v15, 0, 1, vcc
	v_lshlrev_b32_e32 v15, 3, v15
	v_add_lshl_u32 v31, v15, v9, 2
	ds_bpermute_b32 v15, v31, v12
	v_cmp_le_u32_e32 vcc, v32, v14
	s_waitcnt lgkmcnt(0)
	v_cndmask_b32_e32 v15, 0, v15, vcc
	v_cmp_gt_u32_e32 vcc, 48, v25
	v_add_u32_e32 v12, v12, v15
	v_cndmask_b32_e64 v15, 0, 1, vcc
	v_lshlrev_b32_e32 v15, 4, v15
	v_add_lshl_u32 v34, v15, v9, 2
	ds_bpermute_b32 v15, v34, v12
	v_cmp_le_u32_e32 vcc, v35, v14
	;; [unrolled: 9-line block ×3, first 2 shown]
	s_waitcnt lgkmcnt(0)
	v_cndmask_b32_e32 v9, 0, v9, vcc
	v_add_u32_e32 v12, v12, v9
	v_mov_b32_e32 v9, 0
	s_branch .LBB5764_40
.LBB5764_39:                            ;   in Loop: Header=BB5764_40 Depth=1
	s_or_b64 exec, exec, s[10:11]
	v_cmp_eq_u16_sdwa s[10:11], v13, v7 src0_sel:BYTE_0 src1_sel:DWORD
	v_and_b32_e32 v14, s11, v11
	v_or_b32_e32 v14, 0x80000000, v14
	ds_bpermute_b32 v38, v26, v12
	v_and_b32_e32 v15, s10, v10
	v_ffbl_b32_e32 v14, v14
	v_add_u32_e32 v14, 32, v14
	v_ffbl_b32_e32 v15, v15
	v_min_u32_e32 v14, v15, v14
	v_cmp_lt_u32_e32 vcc, v25, v14
	s_waitcnt lgkmcnt(0)
	v_cndmask_b32_e32 v15, 0, v38, vcc
	v_add_u32_e32 v12, v15, v12
	ds_bpermute_b32 v15, v27, v12
	v_cmp_le_u32_e32 vcc, v28, v14
	v_subrev_u32_e32 v8, 64, v8
	s_waitcnt lgkmcnt(0)
	v_cndmask_b32_e32 v15, 0, v15, vcc
	v_add_u32_e32 v12, v12, v15
	ds_bpermute_b32 v15, v29, v12
	v_cmp_le_u32_e32 vcc, v30, v14
	s_waitcnt lgkmcnt(0)
	v_cndmask_b32_e32 v15, 0, v15, vcc
	v_add_u32_e32 v12, v12, v15
	ds_bpermute_b32 v15, v31, v12
	v_cmp_le_u32_e32 vcc, v32, v14
	;; [unrolled: 5-line block ×4, first 2 shown]
	s_waitcnt lgkmcnt(0)
	v_cndmask_b32_e32 v14, 0, v15, vcc
	v_add3_u32 v12, v14, v33, v12
.LBB5764_40:                            ; =>This Loop Header: Depth=1
                                        ;     Child Loop BB5764_43 Depth 2
                                        ;       Child Loop BB5764_44 Depth 3
	v_cmp_ne_u16_sdwa s[10:11], v13, v7 src0_sel:BYTE_0 src1_sel:DWORD
	v_cndmask_b32_e64 v13, 0, 1, s[10:11]
	;;#ASMSTART
	;;#ASMEND
	v_cmp_ne_u32_e32 vcc, 0, v13
	s_cmp_lg_u64 vcc, exec
	v_mov_b32_e32 v33, v12
	s_cbranch_scc1 .LBB5764_47
; %bb.41:                               ;   in Loop: Header=BB5764_40 Depth=1
	v_lshlrev_b64 v[12:13], 3, v[8:9]
	v_mov_b32_e32 v15, s15
	v_add_co_u32_e32 v14, vcc, s14, v12
	v_addc_co_u32_e32 v15, vcc, v15, v13, vcc
	global_load_dwordx2 v[12:13], v[14:15], off glc
	s_waitcnt vmcnt(0)
	v_cmp_eq_u16_sdwa s[16:17], v13, v9 src0_sel:BYTE_0 src1_sel:DWORD
	s_and_saveexec_b64 s[10:11], s[16:17]
	s_cbranch_execz .LBB5764_39
; %bb.42:                               ;   in Loop: Header=BB5764_40 Depth=1
	s_mov_b32 s7, 1
	s_mov_b64 s[16:17], 0
.LBB5764_43:                            ;   Parent Loop BB5764_40 Depth=1
                                        ; =>  This Loop Header: Depth=2
                                        ;       Child Loop BB5764_44 Depth 3
	s_max_u32 s20, s7, 1
.LBB5764_44:                            ;   Parent Loop BB5764_40 Depth=1
                                        ;     Parent Loop BB5764_43 Depth=2
                                        ; =>    This Inner Loop Header: Depth=3
	s_add_i32 s20, s20, -1
	s_cmp_eq_u32 s20, 0
	s_sleep 1
	s_cbranch_scc0 .LBB5764_44
; %bb.45:                               ;   in Loop: Header=BB5764_43 Depth=2
	global_load_dwordx2 v[12:13], v[14:15], off glc
	s_cmp_lt_u32 s7, 32
	s_cselect_b64 s[20:21], -1, 0
	s_cmp_lg_u64 s[20:21], 0
	s_addc_u32 s7, s7, 0
	s_waitcnt vmcnt(0)
	v_cmp_ne_u16_sdwa s[20:21], v13, v9 src0_sel:BYTE_0 src1_sel:DWORD
	s_or_b64 s[16:17], s[20:21], s[16:17]
	s_andn2_b64 exec, exec, s[16:17]
	s_cbranch_execnz .LBB5764_43
; %bb.46:                               ;   in Loop: Header=BB5764_40 Depth=1
	s_or_b64 exec, exec, s[16:17]
	s_branch .LBB5764_39
.LBB5764_47:                            ;   in Loop: Header=BB5764_40 Depth=1
                                        ; implicit-def: $vgpr12
                                        ; implicit-def: $vgpr13
	s_cbranch_execz .LBB5764_40
; %bb.48:
	s_and_saveexec_b64 s[10:11], s[2:3]
	s_cbranch_execz .LBB5764_50
; %bb.49:
	s_add_i32 s2, s6, 64
	s_mov_b32 s3, 0
	s_lshl_b64 s[2:3], s[2:3], 3
	s_add_u32 s2, s14, s2
	v_add_u32_e32 v6, v33, v6
	v_mov_b32_e32 v7, 2
	s_addc_u32 s3, s15, s3
	v_mov_b32_e32 v8, 0
	global_store_dwordx2 v8, v[6:7], s[2:3]
.LBB5764_50:
	s_or_b64 exec, exec, s[10:11]
	s_and_b64 exec, exec, s[0:1]
	s_cbranch_execz .LBB5764_52
; %bb.51:
	v_mov_b32_e32 v6, 0
	ds_write_b32 v6, v33
.LBB5764_52:
	s_or_b64 exec, exec, s[8:9]
	v_mov_b32_e32 v6, 0
	s_waitcnt lgkmcnt(0)
	s_barrier
	ds_read_b32 v6, v6
	s_waitcnt lgkmcnt(0)
	v_add3_u32 v6, v24, v2, v6
	v_add_u32_e32 v7, v6, v3
	v_add_u32_e32 v8, v7, v4
	;; [unrolled: 1-line block ×9, first 2 shown]
	s_load_dwordx8 s[4:11], s[4:5], 0x40
	s_branch .LBB5764_65
.LBB5764_53:
                                        ; implicit-def: $vgpr6_vgpr7_vgpr8_vgpr9_vgpr10_vgpr11_vgpr12_vgpr13_vgpr14_vgpr15
	s_load_dwordx8 s[4:11], s[4:5], 0x40
	s_cbranch_execz .LBB5764_65
; %bb.54:
	s_waitcnt lgkmcnt(0)
	s_cmp_lg_u64 s[8:9], 0
	s_cselect_b64 s[2:3], -1, 0
	v_cmp_eq_u32_e64 s[0:1], 0, v0
	v_cmp_ne_u32_e32 vcc, 0, v0
	s_and_b64 s[8:9], s[0:1], s[2:3]
	v_mov_b32_e32 v12, v3
	v_mov_b32_e32 v13, v4
	;; [unrolled: 1-line block ×3, first 2 shown]
	s_and_saveexec_b64 s[2:3], s[8:9]
	s_cbranch_execz .LBB5764_56
; %bb.55:
	v_mov_b32_e32 v6, 0
	global_load_dword v6, v6, s[4:5]
	v_mov_b32_e32 v12, v3
	v_mov_b32_e32 v13, v4
	;; [unrolled: 1-line block ×3, first 2 shown]
	s_waitcnt vmcnt(0)
	v_add_u32_e32 v2, v6, v2
.LBB5764_56:
	s_or_b64 exec, exec, s[2:3]
	v_add_u32_e32 v3, v12, v2
	v_add_u32_e32 v4, v3, v13
	;; [unrolled: 1-line block ×9, first 2 shown]
	v_add_lshl_u32 v15, v23, v0, 2
	v_cmp_gt_u32_e64 s[2:3], 64, v0
	ds_write_b32 v15, v11
	s_waitcnt lgkmcnt(0)
	s_barrier
	s_and_saveexec_b64 s[4:5], s[2:3]
	s_cbranch_execz .LBB5764_58
; %bb.57:
	v_lshlrev_b32_e32 v15, 1, v0
	v_lshrrev_b32_e32 v23, 4, v0
	v_add_lshl_u32 v15, v23, v15, 2
	ds_read2_b32 v[24:25], v15 offset1:1
	v_mbcnt_lo_u32_b32 v23, -1, 0
	v_mbcnt_hi_u32_b32 v23, -1, v23
	v_and_b32_e32 v26, 15, v23
	v_cmp_ne_u32_e64 s[2:3], 0, v26
	s_waitcnt lgkmcnt(0)
	v_add_u32_e32 v25, v25, v24
	; wave barrier
	s_nop 1
	v_mov_b32_dpp v27, v25 row_shr:1 row_mask:0xf bank_mask:0xf
	v_cndmask_b32_e64 v27, 0, v27, s[2:3]
	v_add_u32_e32 v25, v27, v25
	v_cmp_lt_u32_e64 s[2:3], 1, v26
	s_nop 0
	v_mov_b32_dpp v27, v25 row_shr:2 row_mask:0xf bank_mask:0xf
	v_cndmask_b32_e64 v27, 0, v27, s[2:3]
	v_add_u32_e32 v25, v25, v27
	v_cmp_lt_u32_e64 s[2:3], 3, v26
	;; [unrolled: 5-line block ×3, first 2 shown]
	s_nop 0
	v_mov_b32_dpp v27, v25 row_shr:8 row_mask:0xf bank_mask:0xf
	v_cndmask_b32_e64 v26, 0, v27, s[2:3]
	v_add_u32_e32 v25, v25, v26
	v_bfe_i32 v27, v23, 4, 1
	v_cmp_lt_u32_e64 s[2:3], 31, v23
	v_mov_b32_dpp v26, v25 row_bcast:15 row_mask:0xf bank_mask:0xf
	v_and_b32_e32 v26, v27, v26
	v_add_u32_e32 v25, v25, v26
	v_and_b32_e32 v27, 64, v23
	s_nop 0
	v_mov_b32_dpp v26, v25 row_bcast:31 row_mask:0xf bank_mask:0xf
	v_cndmask_b32_e64 v26, 0, v26, s[2:3]
	v_add_u32_e32 v25, v25, v26
	v_add_u32_e32 v26, -1, v23
	v_cmp_lt_i32_e64 s[2:3], v26, v27
	v_cndmask_b32_e64 v23, v26, v23, s[2:3]
	v_lshlrev_b32_e32 v23, 2, v23
	ds_bpermute_b32 v23, v23, v25
	s_waitcnt lgkmcnt(0)
	v_add_u32_e32 v23, v23, v24
	v_cndmask_b32_e64 v23, v23, v11, s[0:1]
	ds_write_b32 v15, v23
	; wave barrier
	ds_read_b32 v24, v15 offset:4
	s_waitcnt lgkmcnt(0)
	v_add_u32_e32 v23, v24, v23
	ds_write_b32 v15, v23 offset:4
.LBB5764_58:
	s_or_b64 exec, exec, s[4:5]
	v_mov_b32_e32 v15, v11
	s_waitcnt lgkmcnt(0)
	s_barrier
	s_and_saveexec_b64 s[0:1], vcc
	s_cbranch_execz .LBB5764_60
; %bb.59:
	v_add_u32_e32 v15, -1, v0
	v_lshrrev_b32_e32 v23, 5, v15
	v_add_lshl_u32 v15, v23, v15, 2
	ds_read_b32 v15, v15
.LBB5764_60:
	s_or_b64 exec, exec, s[0:1]
	s_and_saveexec_b64 s[0:1], vcc
	s_cbranch_execz .LBB5764_62
; %bb.61:
	s_waitcnt lgkmcnt(0)
	v_add_u32_e32 v2, v15, v2
	v_add_u32_e32 v3, v2, v12
	;; [unrolled: 1-line block ×10, first 2 shown]
	;;#ASMSTART
	;;#ASMEND
.LBB5764_62:
	s_or_b64 exec, exec, s[0:1]
	s_movk_i32 s0, 0x7f
	v_cmp_eq_u32_e32 vcc, s0, v0
	s_and_saveexec_b64 s[0:1], vcc
	s_cbranch_execz .LBB5764_64
; %bb.63:
	v_mov_b32_e32 v14, 0
	v_mov_b32_e32 v13, 2
	;; [unrolled: 1-line block ×3, first 2 shown]
	global_store_dwordx2 v14, v[12:13], s[14:15] offset:512
.LBB5764_64:
	s_or_b64 exec, exec, s[0:1]
	s_waitcnt lgkmcnt(0)
	v_pk_mov_b32 v[14:15], v[10:11], v[10:11] op_sel:[0,1]
	v_pk_mov_b32 v[12:13], v[8:9], v[8:9] op_sel:[0,1]
	;; [unrolled: 1-line block ×5, first 2 shown]
.LBB5764_65:
	s_mov_b64 s[0:1], -1
	s_and_b64 vcc, exec, s[12:13]
	s_waitcnt lgkmcnt(0)
	s_barrier
	ds_write2_b64 v1, v[6:7], v[8:9] offset1:1
	ds_write2_b64 v1, v[10:11], v[12:13] offset0:2 offset1:3
	ds_write_b64 v1, v[14:15] offset:32
	s_waitcnt lgkmcnt(0)
	s_cbranch_vccz .LBB5764_67
; %bb.66:
	s_barrier
	s_mov_b64 s[0:1], 0
.LBB5764_67:
	s_andn2_b64 vcc, exec, s[0:1]
	s_cbranch_vccnz .LBB5764_103
; %bb.68:
	v_cmp_lt_u64_e64 s[0:1], s[10:11], 2
	s_and_b64 vcc, exec, s[0:1]
	s_barrier
	s_cbranch_vccnz .LBB5764_103
; %bb.69:
	s_add_u32 s0, s18, -1
	s_addc_u32 s1, s19, -1
	s_add_u32 s2, 0, 0x99986000
	s_addc_u32 s3, 0, 0x59
	s_add_i32 s3, s3, 0x19999940
	s_mul_hi_u32 s9, s2, -10
	s_sub_i32 s9, s9, s2
	s_mul_i32 s10, s3, -10
	s_mul_i32 s4, s2, -10
	s_add_i32 s9, s9, s10
	s_mul_hi_u32 s5, s3, s4
	s_mul_i32 s8, s3, s4
	s_mul_i32 s11, s2, s9
	s_mul_hi_u32 s4, s2, s4
	s_mul_hi_u32 s10, s2, s9
	s_add_u32 s4, s4, s11
	s_addc_u32 s10, 0, s10
	s_add_u32 s4, s4, s8
	s_mul_hi_u32 s11, s3, s9
	s_addc_u32 s4, s10, s5
	s_addc_u32 s5, s11, 0
	s_mul_i32 s8, s3, s9
	s_add_u32 s4, s4, s8
	v_mov_b32_e32 v2, s4
	s_addc_u32 s5, 0, s5
	v_add_co_u32_e32 v2, vcc, s2, v2
	s_cmp_lg_u64 vcc, 0
	s_addc_u32 s2, s3, s5
	v_readfirstlane_b32 s5, v2
	s_mul_i32 s4, s0, s2
	s_mul_hi_u32 s8, s0, s5
	s_mul_hi_u32 s3, s0, s2
	s_add_u32 s4, s8, s4
	s_addc_u32 s3, 0, s3
	s_mul_hi_u32 s9, s1, s5
	s_mul_i32 s5, s1, s5
	s_add_u32 s4, s4, s5
	s_mul_hi_u32 s8, s1, s2
	s_addc_u32 s3, s3, s9
	s_addc_u32 s4, s8, 0
	s_mul_i32 s2, s1, s2
	s_add_u32 s2, s3, s2
	s_addc_u32 s3, 0, s4
	s_add_u32 s4, s2, 1
	s_addc_u32 s5, s3, 0
	s_add_u32 s8, s2, 2
	s_mul_i32 s10, s3, 10
	s_mul_hi_u32 s11, s2, 10
	s_addc_u32 s9, s3, 0
	s_add_i32 s11, s11, s10
	s_mul_i32 s10, s2, 10
	v_mov_b32_e32 v2, s10
	v_sub_co_u32_e32 v2, vcc, s0, v2
	s_cmp_lg_u64 vcc, 0
	s_subb_u32 s10, s1, s11
	v_subrev_co_u32_e32 v3, vcc, 10, v2
	s_cmp_lg_u64 vcc, 0
	s_subb_u32 s11, s10, 0
	v_readfirstlane_b32 s12, v3
	s_cmp_gt_u32 s12, 9
	s_cselect_b32 s12, -1, 0
	s_cmp_eq_u32 s11, 0
	s_cselect_b32 s11, s12, -1
	s_cmp_lg_u32 s11, 0
	s_cselect_b32 s4, s8, s4
	v_readfirstlane_b32 s8, v2
	s_cselect_b32 s5, s9, s5
	s_cmp_gt_u32 s8, 9
	s_cselect_b32 s8, -1, 0
	s_cmp_eq_u32 s10, 0
	s_cselect_b32 s8, s8, -1
	s_cmp_lg_u32 s8, 0
	v_mov_b32_e32 v1, 0
	s_cselect_b32 s3, s5, s3
	s_cselect_b32 s2, s4, s2
	v_cmp_eq_u64_e32 vcc, s[2:3], v[0:1]
	s_and_saveexec_b64 s[2:3], vcc
	s_cbranch_execz .LBB5764_103
; %bb.70:
	v_lshlrev_b32_e32 v2, 2, v0
	v_mul_hi_u32_u24_e32 v1, 10, v0
	v_mov_b32_e32 v3, s1
	v_sub_co_u32_e32 v0, vcc, s0, v22
	v_subb_co_u32_e32 v1, vcc, v3, v1, vcc
	v_cmp_lt_i64_e32 vcc, 4, v[0:1]
	s_and_saveexec_b64 s[0:1], vcc
	s_xor_b64 s[0:1], exec, s[0:1]
	s_cbranch_execz .LBB5764_88
; %bb.71:
	v_cmp_lt_i64_e32 vcc, 6, v[0:1]
	s_and_saveexec_b64 s[2:3], vcc
	s_xor_b64 s[2:3], exec, s[2:3]
	s_cbranch_execz .LBB5764_81
; %bb.72:
	;; [unrolled: 5-line block ×4, first 2 shown]
	ds_read_b32 v0, v2 offset:4608
	v_mov_b32_e32 v1, 0
                                        ; implicit-def: $vgpr2
	s_waitcnt lgkmcnt(0)
	global_store_dword v1, v0, s[6:7]
.LBB5764_75:
	s_andn2_saveexec_b64 s[8:9], s[8:9]
	s_cbranch_execz .LBB5764_77
; %bb.76:
	ds_read_b32 v0, v2 offset:4096
	v_mov_b32_e32 v1, 0
	s_waitcnt lgkmcnt(0)
	global_store_dword v1, v0, s[6:7]
.LBB5764_77:
	s_or_b64 exec, exec, s[8:9]
                                        ; implicit-def: $vgpr2
.LBB5764_78:
	s_andn2_saveexec_b64 s[4:5], s[4:5]
	s_cbranch_execz .LBB5764_80
; %bb.79:
	ds_read_b32 v0, v2 offset:3584
	v_mov_b32_e32 v1, 0
	s_waitcnt lgkmcnt(0)
	global_store_dword v1, v0, s[6:7]
.LBB5764_80:
	s_or_b64 exec, exec, s[4:5]
                                        ; implicit-def: $vgpr2
                                        ; implicit-def: $vgpr0_vgpr1
.LBB5764_81:
	s_andn2_saveexec_b64 s[2:3], s[2:3]
	s_cbranch_execz .LBB5764_87
; %bb.82:
	v_cmp_lt_i64_e32 vcc, 5, v[0:1]
	s_and_saveexec_b64 s[4:5], vcc
	s_xor_b64 s[4:5], exec, s[4:5]
	s_cbranch_execz .LBB5764_84
; %bb.83:
	ds_read_b32 v0, v2 offset:3072
	v_mov_b32_e32 v1, 0
                                        ; implicit-def: $vgpr2
	s_waitcnt lgkmcnt(0)
	global_store_dword v1, v0, s[6:7]
.LBB5764_84:
	s_andn2_saveexec_b64 s[4:5], s[4:5]
	s_cbranch_execz .LBB5764_86
; %bb.85:
	ds_read_b32 v0, v2 offset:2560
	v_mov_b32_e32 v1, 0
	s_waitcnt lgkmcnt(0)
	global_store_dword v1, v0, s[6:7]
.LBB5764_86:
	s_or_b64 exec, exec, s[4:5]
.LBB5764_87:
	s_or_b64 exec, exec, s[2:3]
                                        ; implicit-def: $vgpr0_vgpr1
                                        ; implicit-def: $vgpr2
.LBB5764_88:
	s_andn2_saveexec_b64 s[0:1], s[0:1]
	s_cbranch_execz .LBB5764_103
; %bb.89:
	v_cmp_lt_i64_e32 vcc, 2, v[0:1]
	s_and_saveexec_b64 s[0:1], vcc
	s_xor_b64 s[0:1], exec, s[0:1]
	s_cbranch_execz .LBB5764_95
; %bb.90:
	v_cmp_lt_i64_e32 vcc, 3, v[0:1]
	s_and_saveexec_b64 s[2:3], vcc
	s_xor_b64 s[2:3], exec, s[2:3]
	s_cbranch_execz .LBB5764_92
; %bb.91:
	ds_read_b32 v0, v2 offset:2048
	v_mov_b32_e32 v1, 0
                                        ; implicit-def: $vgpr2
	s_waitcnt lgkmcnt(0)
	global_store_dword v1, v0, s[6:7]
.LBB5764_92:
	s_andn2_saveexec_b64 s[2:3], s[2:3]
	s_cbranch_execz .LBB5764_94
; %bb.93:
	ds_read_b32 v0, v2 offset:1536
	v_mov_b32_e32 v1, 0
	s_waitcnt lgkmcnt(0)
	global_store_dword v1, v0, s[6:7]
.LBB5764_94:
	s_or_b64 exec, exec, s[2:3]
                                        ; implicit-def: $vgpr0_vgpr1
                                        ; implicit-def: $vgpr2
.LBB5764_95:
	s_andn2_saveexec_b64 s[0:1], s[0:1]
	s_cbranch_execz .LBB5764_103
; %bb.96:
	v_cmp_lt_i64_e32 vcc, 1, v[0:1]
	s_and_saveexec_b64 s[0:1], vcc
	s_xor_b64 s[0:1], exec, s[0:1]
	s_cbranch_execz .LBB5764_98
; %bb.97:
	ds_read_b32 v0, v2 offset:1024
	v_mov_b32_e32 v1, 0
                                        ; implicit-def: $vgpr2
	s_waitcnt lgkmcnt(0)
	global_store_dword v1, v0, s[6:7]
                                        ; implicit-def: $vgpr0_vgpr1
.LBB5764_98:
	s_andn2_saveexec_b64 s[0:1], s[0:1]
	s_cbranch_execz .LBB5764_103
; %bb.99:
	v_cmp_ne_u64_e32 vcc, 1, v[0:1]
	s_and_saveexec_b64 s[0:1], vcc
	s_xor_b64 s[0:1], exec, s[0:1]
	s_cbranch_execz .LBB5764_101
; %bb.100:
	ds_read_b32 v0, v2
	v_mov_b32_e32 v1, 0
                                        ; implicit-def: $vgpr2
	s_waitcnt lgkmcnt(0)
	global_store_dword v1, v0, s[6:7]
.LBB5764_101:
	s_andn2_saveexec_b64 s[0:1], s[0:1]
	s_cbranch_execz .LBB5764_103
; %bb.102:
	ds_read_b32 v0, v2 offset:512
	v_mov_b32_e32 v1, 0
	s_waitcnt lgkmcnt(0)
	global_store_dword v1, v0, s[6:7]
.LBB5764_103:
	s_endpgm
	.section	.rodata,"a",@progbits
	.p2align	6, 0x0
	.amdhsa_kernel _ZN7rocprim17ROCPRIM_400000_NS6detail17trampoline_kernelINS0_14default_configENS1_20scan_config_selectorIiEEZZNS1_9scan_implILNS1_25lookback_scan_determinismE0ELb0ELb0ES3_N6thrust23THRUST_200600_302600_NS6detail15normal_iteratorINS9_10device_ptrIiEEEENS9_16discard_iteratorINS9_11use_defaultEEEiNS9_4plusIvEEiEEDaPvRmT3_T4_T5_mT6_P12ihipStream_tbENKUlT_T0_E_clISt17integral_constantIbLb1EESW_IbLb0EEEEDaSS_ST_EUlSS_E_NS1_11comp_targetILNS1_3genE4ELNS1_11target_archE910ELNS1_3gpuE8ELNS1_3repE0EEENS1_30default_config_static_selectorELNS0_4arch9wavefront6targetE1EEEvT1_
		.amdhsa_group_segment_fixed_size 5120
		.amdhsa_private_segment_fixed_size 0
		.amdhsa_kernarg_size 104
		.amdhsa_user_sgpr_count 6
		.amdhsa_user_sgpr_private_segment_buffer 1
		.amdhsa_user_sgpr_dispatch_ptr 0
		.amdhsa_user_sgpr_queue_ptr 0
		.amdhsa_user_sgpr_kernarg_segment_ptr 1
		.amdhsa_user_sgpr_dispatch_id 0
		.amdhsa_user_sgpr_flat_scratch_init 0
		.amdhsa_user_sgpr_kernarg_preload_length 0
		.amdhsa_user_sgpr_kernarg_preload_offset 0
		.amdhsa_user_sgpr_private_segment_size 0
		.amdhsa_uses_dynamic_stack 0
		.amdhsa_system_sgpr_private_segment_wavefront_offset 0
		.amdhsa_system_sgpr_workgroup_id_x 1
		.amdhsa_system_sgpr_workgroup_id_y 0
		.amdhsa_system_sgpr_workgroup_id_z 0
		.amdhsa_system_sgpr_workgroup_info 0
		.amdhsa_system_vgpr_workitem_id 0
		.amdhsa_next_free_vgpr 39
		.amdhsa_next_free_sgpr 22
		.amdhsa_accum_offset 40
		.amdhsa_reserve_vcc 1
		.amdhsa_reserve_flat_scratch 0
		.amdhsa_float_round_mode_32 0
		.amdhsa_float_round_mode_16_64 0
		.amdhsa_float_denorm_mode_32 3
		.amdhsa_float_denorm_mode_16_64 3
		.amdhsa_dx10_clamp 1
		.amdhsa_ieee_mode 1
		.amdhsa_fp16_overflow 0
		.amdhsa_tg_split 0
		.amdhsa_exception_fp_ieee_invalid_op 0
		.amdhsa_exception_fp_denorm_src 0
		.amdhsa_exception_fp_ieee_div_zero 0
		.amdhsa_exception_fp_ieee_overflow 0
		.amdhsa_exception_fp_ieee_underflow 0
		.amdhsa_exception_fp_ieee_inexact 0
		.amdhsa_exception_int_div_zero 0
	.end_amdhsa_kernel
	.section	.text._ZN7rocprim17ROCPRIM_400000_NS6detail17trampoline_kernelINS0_14default_configENS1_20scan_config_selectorIiEEZZNS1_9scan_implILNS1_25lookback_scan_determinismE0ELb0ELb0ES3_N6thrust23THRUST_200600_302600_NS6detail15normal_iteratorINS9_10device_ptrIiEEEENS9_16discard_iteratorINS9_11use_defaultEEEiNS9_4plusIvEEiEEDaPvRmT3_T4_T5_mT6_P12ihipStream_tbENKUlT_T0_E_clISt17integral_constantIbLb1EESW_IbLb0EEEEDaSS_ST_EUlSS_E_NS1_11comp_targetILNS1_3genE4ELNS1_11target_archE910ELNS1_3gpuE8ELNS1_3repE0EEENS1_30default_config_static_selectorELNS0_4arch9wavefront6targetE1EEEvT1_,"axG",@progbits,_ZN7rocprim17ROCPRIM_400000_NS6detail17trampoline_kernelINS0_14default_configENS1_20scan_config_selectorIiEEZZNS1_9scan_implILNS1_25lookback_scan_determinismE0ELb0ELb0ES3_N6thrust23THRUST_200600_302600_NS6detail15normal_iteratorINS9_10device_ptrIiEEEENS9_16discard_iteratorINS9_11use_defaultEEEiNS9_4plusIvEEiEEDaPvRmT3_T4_T5_mT6_P12ihipStream_tbENKUlT_T0_E_clISt17integral_constantIbLb1EESW_IbLb0EEEEDaSS_ST_EUlSS_E_NS1_11comp_targetILNS1_3genE4ELNS1_11target_archE910ELNS1_3gpuE8ELNS1_3repE0EEENS1_30default_config_static_selectorELNS0_4arch9wavefront6targetE1EEEvT1_,comdat
.Lfunc_end5764:
	.size	_ZN7rocprim17ROCPRIM_400000_NS6detail17trampoline_kernelINS0_14default_configENS1_20scan_config_selectorIiEEZZNS1_9scan_implILNS1_25lookback_scan_determinismE0ELb0ELb0ES3_N6thrust23THRUST_200600_302600_NS6detail15normal_iteratorINS9_10device_ptrIiEEEENS9_16discard_iteratorINS9_11use_defaultEEEiNS9_4plusIvEEiEEDaPvRmT3_T4_T5_mT6_P12ihipStream_tbENKUlT_T0_E_clISt17integral_constantIbLb1EESW_IbLb0EEEEDaSS_ST_EUlSS_E_NS1_11comp_targetILNS1_3genE4ELNS1_11target_archE910ELNS1_3gpuE8ELNS1_3repE0EEENS1_30default_config_static_selectorELNS0_4arch9wavefront6targetE1EEEvT1_, .Lfunc_end5764-_ZN7rocprim17ROCPRIM_400000_NS6detail17trampoline_kernelINS0_14default_configENS1_20scan_config_selectorIiEEZZNS1_9scan_implILNS1_25lookback_scan_determinismE0ELb0ELb0ES3_N6thrust23THRUST_200600_302600_NS6detail15normal_iteratorINS9_10device_ptrIiEEEENS9_16discard_iteratorINS9_11use_defaultEEEiNS9_4plusIvEEiEEDaPvRmT3_T4_T5_mT6_P12ihipStream_tbENKUlT_T0_E_clISt17integral_constantIbLb1EESW_IbLb0EEEEDaSS_ST_EUlSS_E_NS1_11comp_targetILNS1_3genE4ELNS1_11target_archE910ELNS1_3gpuE8ELNS1_3repE0EEENS1_30default_config_static_selectorELNS0_4arch9wavefront6targetE1EEEvT1_
                                        ; -- End function
	.section	.AMDGPU.csdata,"",@progbits
; Kernel info:
; codeLenInByte = 4104
; NumSgprs: 26
; NumVgprs: 39
; NumAgprs: 0
; TotalNumVgprs: 39
; ScratchSize: 0
; MemoryBound: 0
; FloatMode: 240
; IeeeMode: 1
; LDSByteSize: 5120 bytes/workgroup (compile time only)
; SGPRBlocks: 3
; VGPRBlocks: 4
; NumSGPRsForWavesPerEU: 26
; NumVGPRsForWavesPerEU: 39
; AccumOffset: 40
; Occupancy: 6
; WaveLimiterHint : 1
; COMPUTE_PGM_RSRC2:SCRATCH_EN: 0
; COMPUTE_PGM_RSRC2:USER_SGPR: 6
; COMPUTE_PGM_RSRC2:TRAP_HANDLER: 0
; COMPUTE_PGM_RSRC2:TGID_X_EN: 1
; COMPUTE_PGM_RSRC2:TGID_Y_EN: 0
; COMPUTE_PGM_RSRC2:TGID_Z_EN: 0
; COMPUTE_PGM_RSRC2:TIDIG_COMP_CNT: 0
; COMPUTE_PGM_RSRC3_GFX90A:ACCUM_OFFSET: 9
; COMPUTE_PGM_RSRC3_GFX90A:TG_SPLIT: 0
	.section	.text._ZN7rocprim17ROCPRIM_400000_NS6detail17trampoline_kernelINS0_14default_configENS1_20scan_config_selectorIiEEZZNS1_9scan_implILNS1_25lookback_scan_determinismE0ELb0ELb0ES3_N6thrust23THRUST_200600_302600_NS6detail15normal_iteratorINS9_10device_ptrIiEEEENS9_16discard_iteratorINS9_11use_defaultEEEiNS9_4plusIvEEiEEDaPvRmT3_T4_T5_mT6_P12ihipStream_tbENKUlT_T0_E_clISt17integral_constantIbLb1EESW_IbLb0EEEEDaSS_ST_EUlSS_E_NS1_11comp_targetILNS1_3genE3ELNS1_11target_archE908ELNS1_3gpuE7ELNS1_3repE0EEENS1_30default_config_static_selectorELNS0_4arch9wavefront6targetE1EEEvT1_,"axG",@progbits,_ZN7rocprim17ROCPRIM_400000_NS6detail17trampoline_kernelINS0_14default_configENS1_20scan_config_selectorIiEEZZNS1_9scan_implILNS1_25lookback_scan_determinismE0ELb0ELb0ES3_N6thrust23THRUST_200600_302600_NS6detail15normal_iteratorINS9_10device_ptrIiEEEENS9_16discard_iteratorINS9_11use_defaultEEEiNS9_4plusIvEEiEEDaPvRmT3_T4_T5_mT6_P12ihipStream_tbENKUlT_T0_E_clISt17integral_constantIbLb1EESW_IbLb0EEEEDaSS_ST_EUlSS_E_NS1_11comp_targetILNS1_3genE3ELNS1_11target_archE908ELNS1_3gpuE7ELNS1_3repE0EEENS1_30default_config_static_selectorELNS0_4arch9wavefront6targetE1EEEvT1_,comdat
	.protected	_ZN7rocprim17ROCPRIM_400000_NS6detail17trampoline_kernelINS0_14default_configENS1_20scan_config_selectorIiEEZZNS1_9scan_implILNS1_25lookback_scan_determinismE0ELb0ELb0ES3_N6thrust23THRUST_200600_302600_NS6detail15normal_iteratorINS9_10device_ptrIiEEEENS9_16discard_iteratorINS9_11use_defaultEEEiNS9_4plusIvEEiEEDaPvRmT3_T4_T5_mT6_P12ihipStream_tbENKUlT_T0_E_clISt17integral_constantIbLb1EESW_IbLb0EEEEDaSS_ST_EUlSS_E_NS1_11comp_targetILNS1_3genE3ELNS1_11target_archE908ELNS1_3gpuE7ELNS1_3repE0EEENS1_30default_config_static_selectorELNS0_4arch9wavefront6targetE1EEEvT1_ ; -- Begin function _ZN7rocprim17ROCPRIM_400000_NS6detail17trampoline_kernelINS0_14default_configENS1_20scan_config_selectorIiEEZZNS1_9scan_implILNS1_25lookback_scan_determinismE0ELb0ELb0ES3_N6thrust23THRUST_200600_302600_NS6detail15normal_iteratorINS9_10device_ptrIiEEEENS9_16discard_iteratorINS9_11use_defaultEEEiNS9_4plusIvEEiEEDaPvRmT3_T4_T5_mT6_P12ihipStream_tbENKUlT_T0_E_clISt17integral_constantIbLb1EESW_IbLb0EEEEDaSS_ST_EUlSS_E_NS1_11comp_targetILNS1_3genE3ELNS1_11target_archE908ELNS1_3gpuE7ELNS1_3repE0EEENS1_30default_config_static_selectorELNS0_4arch9wavefront6targetE1EEEvT1_
	.globl	_ZN7rocprim17ROCPRIM_400000_NS6detail17trampoline_kernelINS0_14default_configENS1_20scan_config_selectorIiEEZZNS1_9scan_implILNS1_25lookback_scan_determinismE0ELb0ELb0ES3_N6thrust23THRUST_200600_302600_NS6detail15normal_iteratorINS9_10device_ptrIiEEEENS9_16discard_iteratorINS9_11use_defaultEEEiNS9_4plusIvEEiEEDaPvRmT3_T4_T5_mT6_P12ihipStream_tbENKUlT_T0_E_clISt17integral_constantIbLb1EESW_IbLb0EEEEDaSS_ST_EUlSS_E_NS1_11comp_targetILNS1_3genE3ELNS1_11target_archE908ELNS1_3gpuE7ELNS1_3repE0EEENS1_30default_config_static_selectorELNS0_4arch9wavefront6targetE1EEEvT1_
	.p2align	8
	.type	_ZN7rocprim17ROCPRIM_400000_NS6detail17trampoline_kernelINS0_14default_configENS1_20scan_config_selectorIiEEZZNS1_9scan_implILNS1_25lookback_scan_determinismE0ELb0ELb0ES3_N6thrust23THRUST_200600_302600_NS6detail15normal_iteratorINS9_10device_ptrIiEEEENS9_16discard_iteratorINS9_11use_defaultEEEiNS9_4plusIvEEiEEDaPvRmT3_T4_T5_mT6_P12ihipStream_tbENKUlT_T0_E_clISt17integral_constantIbLb1EESW_IbLb0EEEEDaSS_ST_EUlSS_E_NS1_11comp_targetILNS1_3genE3ELNS1_11target_archE908ELNS1_3gpuE7ELNS1_3repE0EEENS1_30default_config_static_selectorELNS0_4arch9wavefront6targetE1EEEvT1_,@function
_ZN7rocprim17ROCPRIM_400000_NS6detail17trampoline_kernelINS0_14default_configENS1_20scan_config_selectorIiEEZZNS1_9scan_implILNS1_25lookback_scan_determinismE0ELb0ELb0ES3_N6thrust23THRUST_200600_302600_NS6detail15normal_iteratorINS9_10device_ptrIiEEEENS9_16discard_iteratorINS9_11use_defaultEEEiNS9_4plusIvEEiEEDaPvRmT3_T4_T5_mT6_P12ihipStream_tbENKUlT_T0_E_clISt17integral_constantIbLb1EESW_IbLb0EEEEDaSS_ST_EUlSS_E_NS1_11comp_targetILNS1_3genE3ELNS1_11target_archE908ELNS1_3gpuE7ELNS1_3repE0EEENS1_30default_config_static_selectorELNS0_4arch9wavefront6targetE1EEEvT1_: ; @_ZN7rocprim17ROCPRIM_400000_NS6detail17trampoline_kernelINS0_14default_configENS1_20scan_config_selectorIiEEZZNS1_9scan_implILNS1_25lookback_scan_determinismE0ELb0ELb0ES3_N6thrust23THRUST_200600_302600_NS6detail15normal_iteratorINS9_10device_ptrIiEEEENS9_16discard_iteratorINS9_11use_defaultEEEiNS9_4plusIvEEiEEDaPvRmT3_T4_T5_mT6_P12ihipStream_tbENKUlT_T0_E_clISt17integral_constantIbLb1EESW_IbLb0EEEEDaSS_ST_EUlSS_E_NS1_11comp_targetILNS1_3genE3ELNS1_11target_archE908ELNS1_3gpuE7ELNS1_3repE0EEENS1_30default_config_static_selectorELNS0_4arch9wavefront6targetE1EEEvT1_
; %bb.0:
	.section	.rodata,"a",@progbits
	.p2align	6, 0x0
	.amdhsa_kernel _ZN7rocprim17ROCPRIM_400000_NS6detail17trampoline_kernelINS0_14default_configENS1_20scan_config_selectorIiEEZZNS1_9scan_implILNS1_25lookback_scan_determinismE0ELb0ELb0ES3_N6thrust23THRUST_200600_302600_NS6detail15normal_iteratorINS9_10device_ptrIiEEEENS9_16discard_iteratorINS9_11use_defaultEEEiNS9_4plusIvEEiEEDaPvRmT3_T4_T5_mT6_P12ihipStream_tbENKUlT_T0_E_clISt17integral_constantIbLb1EESW_IbLb0EEEEDaSS_ST_EUlSS_E_NS1_11comp_targetILNS1_3genE3ELNS1_11target_archE908ELNS1_3gpuE7ELNS1_3repE0EEENS1_30default_config_static_selectorELNS0_4arch9wavefront6targetE1EEEvT1_
		.amdhsa_group_segment_fixed_size 0
		.amdhsa_private_segment_fixed_size 0
		.amdhsa_kernarg_size 104
		.amdhsa_user_sgpr_count 6
		.amdhsa_user_sgpr_private_segment_buffer 1
		.amdhsa_user_sgpr_dispatch_ptr 0
		.amdhsa_user_sgpr_queue_ptr 0
		.amdhsa_user_sgpr_kernarg_segment_ptr 1
		.amdhsa_user_sgpr_dispatch_id 0
		.amdhsa_user_sgpr_flat_scratch_init 0
		.amdhsa_user_sgpr_kernarg_preload_length 0
		.amdhsa_user_sgpr_kernarg_preload_offset 0
		.amdhsa_user_sgpr_private_segment_size 0
		.amdhsa_uses_dynamic_stack 0
		.amdhsa_system_sgpr_private_segment_wavefront_offset 0
		.amdhsa_system_sgpr_workgroup_id_x 1
		.amdhsa_system_sgpr_workgroup_id_y 0
		.amdhsa_system_sgpr_workgroup_id_z 0
		.amdhsa_system_sgpr_workgroup_info 0
		.amdhsa_system_vgpr_workitem_id 0
		.amdhsa_next_free_vgpr 1
		.amdhsa_next_free_sgpr 0
		.amdhsa_accum_offset 4
		.amdhsa_reserve_vcc 0
		.amdhsa_reserve_flat_scratch 0
		.amdhsa_float_round_mode_32 0
		.amdhsa_float_round_mode_16_64 0
		.amdhsa_float_denorm_mode_32 3
		.amdhsa_float_denorm_mode_16_64 3
		.amdhsa_dx10_clamp 1
		.amdhsa_ieee_mode 1
		.amdhsa_fp16_overflow 0
		.amdhsa_tg_split 0
		.amdhsa_exception_fp_ieee_invalid_op 0
		.amdhsa_exception_fp_denorm_src 0
		.amdhsa_exception_fp_ieee_div_zero 0
		.amdhsa_exception_fp_ieee_overflow 0
		.amdhsa_exception_fp_ieee_underflow 0
		.amdhsa_exception_fp_ieee_inexact 0
		.amdhsa_exception_int_div_zero 0
	.end_amdhsa_kernel
	.section	.text._ZN7rocprim17ROCPRIM_400000_NS6detail17trampoline_kernelINS0_14default_configENS1_20scan_config_selectorIiEEZZNS1_9scan_implILNS1_25lookback_scan_determinismE0ELb0ELb0ES3_N6thrust23THRUST_200600_302600_NS6detail15normal_iteratorINS9_10device_ptrIiEEEENS9_16discard_iteratorINS9_11use_defaultEEEiNS9_4plusIvEEiEEDaPvRmT3_T4_T5_mT6_P12ihipStream_tbENKUlT_T0_E_clISt17integral_constantIbLb1EESW_IbLb0EEEEDaSS_ST_EUlSS_E_NS1_11comp_targetILNS1_3genE3ELNS1_11target_archE908ELNS1_3gpuE7ELNS1_3repE0EEENS1_30default_config_static_selectorELNS0_4arch9wavefront6targetE1EEEvT1_,"axG",@progbits,_ZN7rocprim17ROCPRIM_400000_NS6detail17trampoline_kernelINS0_14default_configENS1_20scan_config_selectorIiEEZZNS1_9scan_implILNS1_25lookback_scan_determinismE0ELb0ELb0ES3_N6thrust23THRUST_200600_302600_NS6detail15normal_iteratorINS9_10device_ptrIiEEEENS9_16discard_iteratorINS9_11use_defaultEEEiNS9_4plusIvEEiEEDaPvRmT3_T4_T5_mT6_P12ihipStream_tbENKUlT_T0_E_clISt17integral_constantIbLb1EESW_IbLb0EEEEDaSS_ST_EUlSS_E_NS1_11comp_targetILNS1_3genE3ELNS1_11target_archE908ELNS1_3gpuE7ELNS1_3repE0EEENS1_30default_config_static_selectorELNS0_4arch9wavefront6targetE1EEEvT1_,comdat
.Lfunc_end5765:
	.size	_ZN7rocprim17ROCPRIM_400000_NS6detail17trampoline_kernelINS0_14default_configENS1_20scan_config_selectorIiEEZZNS1_9scan_implILNS1_25lookback_scan_determinismE0ELb0ELb0ES3_N6thrust23THRUST_200600_302600_NS6detail15normal_iteratorINS9_10device_ptrIiEEEENS9_16discard_iteratorINS9_11use_defaultEEEiNS9_4plusIvEEiEEDaPvRmT3_T4_T5_mT6_P12ihipStream_tbENKUlT_T0_E_clISt17integral_constantIbLb1EESW_IbLb0EEEEDaSS_ST_EUlSS_E_NS1_11comp_targetILNS1_3genE3ELNS1_11target_archE908ELNS1_3gpuE7ELNS1_3repE0EEENS1_30default_config_static_selectorELNS0_4arch9wavefront6targetE1EEEvT1_, .Lfunc_end5765-_ZN7rocprim17ROCPRIM_400000_NS6detail17trampoline_kernelINS0_14default_configENS1_20scan_config_selectorIiEEZZNS1_9scan_implILNS1_25lookback_scan_determinismE0ELb0ELb0ES3_N6thrust23THRUST_200600_302600_NS6detail15normal_iteratorINS9_10device_ptrIiEEEENS9_16discard_iteratorINS9_11use_defaultEEEiNS9_4plusIvEEiEEDaPvRmT3_T4_T5_mT6_P12ihipStream_tbENKUlT_T0_E_clISt17integral_constantIbLb1EESW_IbLb0EEEEDaSS_ST_EUlSS_E_NS1_11comp_targetILNS1_3genE3ELNS1_11target_archE908ELNS1_3gpuE7ELNS1_3repE0EEENS1_30default_config_static_selectorELNS0_4arch9wavefront6targetE1EEEvT1_
                                        ; -- End function
	.section	.AMDGPU.csdata,"",@progbits
; Kernel info:
; codeLenInByte = 0
; NumSgprs: 4
; NumVgprs: 0
; NumAgprs: 0
; TotalNumVgprs: 0
; ScratchSize: 0
; MemoryBound: 0
; FloatMode: 240
; IeeeMode: 1
; LDSByteSize: 0 bytes/workgroup (compile time only)
; SGPRBlocks: 0
; VGPRBlocks: 0
; NumSGPRsForWavesPerEU: 4
; NumVGPRsForWavesPerEU: 1
; AccumOffset: 4
; Occupancy: 8
; WaveLimiterHint : 0
; COMPUTE_PGM_RSRC2:SCRATCH_EN: 0
; COMPUTE_PGM_RSRC2:USER_SGPR: 6
; COMPUTE_PGM_RSRC2:TRAP_HANDLER: 0
; COMPUTE_PGM_RSRC2:TGID_X_EN: 1
; COMPUTE_PGM_RSRC2:TGID_Y_EN: 0
; COMPUTE_PGM_RSRC2:TGID_Z_EN: 0
; COMPUTE_PGM_RSRC2:TIDIG_COMP_CNT: 0
; COMPUTE_PGM_RSRC3_GFX90A:ACCUM_OFFSET: 0
; COMPUTE_PGM_RSRC3_GFX90A:TG_SPLIT: 0
	.section	.text._ZN7rocprim17ROCPRIM_400000_NS6detail17trampoline_kernelINS0_14default_configENS1_20scan_config_selectorIiEEZZNS1_9scan_implILNS1_25lookback_scan_determinismE0ELb0ELb0ES3_N6thrust23THRUST_200600_302600_NS6detail15normal_iteratorINS9_10device_ptrIiEEEENS9_16discard_iteratorINS9_11use_defaultEEEiNS9_4plusIvEEiEEDaPvRmT3_T4_T5_mT6_P12ihipStream_tbENKUlT_T0_E_clISt17integral_constantIbLb1EESW_IbLb0EEEEDaSS_ST_EUlSS_E_NS1_11comp_targetILNS1_3genE2ELNS1_11target_archE906ELNS1_3gpuE6ELNS1_3repE0EEENS1_30default_config_static_selectorELNS0_4arch9wavefront6targetE1EEEvT1_,"axG",@progbits,_ZN7rocprim17ROCPRIM_400000_NS6detail17trampoline_kernelINS0_14default_configENS1_20scan_config_selectorIiEEZZNS1_9scan_implILNS1_25lookback_scan_determinismE0ELb0ELb0ES3_N6thrust23THRUST_200600_302600_NS6detail15normal_iteratorINS9_10device_ptrIiEEEENS9_16discard_iteratorINS9_11use_defaultEEEiNS9_4plusIvEEiEEDaPvRmT3_T4_T5_mT6_P12ihipStream_tbENKUlT_T0_E_clISt17integral_constantIbLb1EESW_IbLb0EEEEDaSS_ST_EUlSS_E_NS1_11comp_targetILNS1_3genE2ELNS1_11target_archE906ELNS1_3gpuE6ELNS1_3repE0EEENS1_30default_config_static_selectorELNS0_4arch9wavefront6targetE1EEEvT1_,comdat
	.protected	_ZN7rocprim17ROCPRIM_400000_NS6detail17trampoline_kernelINS0_14default_configENS1_20scan_config_selectorIiEEZZNS1_9scan_implILNS1_25lookback_scan_determinismE0ELb0ELb0ES3_N6thrust23THRUST_200600_302600_NS6detail15normal_iteratorINS9_10device_ptrIiEEEENS9_16discard_iteratorINS9_11use_defaultEEEiNS9_4plusIvEEiEEDaPvRmT3_T4_T5_mT6_P12ihipStream_tbENKUlT_T0_E_clISt17integral_constantIbLb1EESW_IbLb0EEEEDaSS_ST_EUlSS_E_NS1_11comp_targetILNS1_3genE2ELNS1_11target_archE906ELNS1_3gpuE6ELNS1_3repE0EEENS1_30default_config_static_selectorELNS0_4arch9wavefront6targetE1EEEvT1_ ; -- Begin function _ZN7rocprim17ROCPRIM_400000_NS6detail17trampoline_kernelINS0_14default_configENS1_20scan_config_selectorIiEEZZNS1_9scan_implILNS1_25lookback_scan_determinismE0ELb0ELb0ES3_N6thrust23THRUST_200600_302600_NS6detail15normal_iteratorINS9_10device_ptrIiEEEENS9_16discard_iteratorINS9_11use_defaultEEEiNS9_4plusIvEEiEEDaPvRmT3_T4_T5_mT6_P12ihipStream_tbENKUlT_T0_E_clISt17integral_constantIbLb1EESW_IbLb0EEEEDaSS_ST_EUlSS_E_NS1_11comp_targetILNS1_3genE2ELNS1_11target_archE906ELNS1_3gpuE6ELNS1_3repE0EEENS1_30default_config_static_selectorELNS0_4arch9wavefront6targetE1EEEvT1_
	.globl	_ZN7rocprim17ROCPRIM_400000_NS6detail17trampoline_kernelINS0_14default_configENS1_20scan_config_selectorIiEEZZNS1_9scan_implILNS1_25lookback_scan_determinismE0ELb0ELb0ES3_N6thrust23THRUST_200600_302600_NS6detail15normal_iteratorINS9_10device_ptrIiEEEENS9_16discard_iteratorINS9_11use_defaultEEEiNS9_4plusIvEEiEEDaPvRmT3_T4_T5_mT6_P12ihipStream_tbENKUlT_T0_E_clISt17integral_constantIbLb1EESW_IbLb0EEEEDaSS_ST_EUlSS_E_NS1_11comp_targetILNS1_3genE2ELNS1_11target_archE906ELNS1_3gpuE6ELNS1_3repE0EEENS1_30default_config_static_selectorELNS0_4arch9wavefront6targetE1EEEvT1_
	.p2align	8
	.type	_ZN7rocprim17ROCPRIM_400000_NS6detail17trampoline_kernelINS0_14default_configENS1_20scan_config_selectorIiEEZZNS1_9scan_implILNS1_25lookback_scan_determinismE0ELb0ELb0ES3_N6thrust23THRUST_200600_302600_NS6detail15normal_iteratorINS9_10device_ptrIiEEEENS9_16discard_iteratorINS9_11use_defaultEEEiNS9_4plusIvEEiEEDaPvRmT3_T4_T5_mT6_P12ihipStream_tbENKUlT_T0_E_clISt17integral_constantIbLb1EESW_IbLb0EEEEDaSS_ST_EUlSS_E_NS1_11comp_targetILNS1_3genE2ELNS1_11target_archE906ELNS1_3gpuE6ELNS1_3repE0EEENS1_30default_config_static_selectorELNS0_4arch9wavefront6targetE1EEEvT1_,@function
_ZN7rocprim17ROCPRIM_400000_NS6detail17trampoline_kernelINS0_14default_configENS1_20scan_config_selectorIiEEZZNS1_9scan_implILNS1_25lookback_scan_determinismE0ELb0ELb0ES3_N6thrust23THRUST_200600_302600_NS6detail15normal_iteratorINS9_10device_ptrIiEEEENS9_16discard_iteratorINS9_11use_defaultEEEiNS9_4plusIvEEiEEDaPvRmT3_T4_T5_mT6_P12ihipStream_tbENKUlT_T0_E_clISt17integral_constantIbLb1EESW_IbLb0EEEEDaSS_ST_EUlSS_E_NS1_11comp_targetILNS1_3genE2ELNS1_11target_archE906ELNS1_3gpuE6ELNS1_3repE0EEENS1_30default_config_static_selectorELNS0_4arch9wavefront6targetE1EEEvT1_: ; @_ZN7rocprim17ROCPRIM_400000_NS6detail17trampoline_kernelINS0_14default_configENS1_20scan_config_selectorIiEEZZNS1_9scan_implILNS1_25lookback_scan_determinismE0ELb0ELb0ES3_N6thrust23THRUST_200600_302600_NS6detail15normal_iteratorINS9_10device_ptrIiEEEENS9_16discard_iteratorINS9_11use_defaultEEEiNS9_4plusIvEEiEEDaPvRmT3_T4_T5_mT6_P12ihipStream_tbENKUlT_T0_E_clISt17integral_constantIbLb1EESW_IbLb0EEEEDaSS_ST_EUlSS_E_NS1_11comp_targetILNS1_3genE2ELNS1_11target_archE906ELNS1_3gpuE6ELNS1_3repE0EEENS1_30default_config_static_selectorELNS0_4arch9wavefront6targetE1EEEvT1_
; %bb.0:
	.section	.rodata,"a",@progbits
	.p2align	6, 0x0
	.amdhsa_kernel _ZN7rocprim17ROCPRIM_400000_NS6detail17trampoline_kernelINS0_14default_configENS1_20scan_config_selectorIiEEZZNS1_9scan_implILNS1_25lookback_scan_determinismE0ELb0ELb0ES3_N6thrust23THRUST_200600_302600_NS6detail15normal_iteratorINS9_10device_ptrIiEEEENS9_16discard_iteratorINS9_11use_defaultEEEiNS9_4plusIvEEiEEDaPvRmT3_T4_T5_mT6_P12ihipStream_tbENKUlT_T0_E_clISt17integral_constantIbLb1EESW_IbLb0EEEEDaSS_ST_EUlSS_E_NS1_11comp_targetILNS1_3genE2ELNS1_11target_archE906ELNS1_3gpuE6ELNS1_3repE0EEENS1_30default_config_static_selectorELNS0_4arch9wavefront6targetE1EEEvT1_
		.amdhsa_group_segment_fixed_size 0
		.amdhsa_private_segment_fixed_size 0
		.amdhsa_kernarg_size 104
		.amdhsa_user_sgpr_count 6
		.amdhsa_user_sgpr_private_segment_buffer 1
		.amdhsa_user_sgpr_dispatch_ptr 0
		.amdhsa_user_sgpr_queue_ptr 0
		.amdhsa_user_sgpr_kernarg_segment_ptr 1
		.amdhsa_user_sgpr_dispatch_id 0
		.amdhsa_user_sgpr_flat_scratch_init 0
		.amdhsa_user_sgpr_kernarg_preload_length 0
		.amdhsa_user_sgpr_kernarg_preload_offset 0
		.amdhsa_user_sgpr_private_segment_size 0
		.amdhsa_uses_dynamic_stack 0
		.amdhsa_system_sgpr_private_segment_wavefront_offset 0
		.amdhsa_system_sgpr_workgroup_id_x 1
		.amdhsa_system_sgpr_workgroup_id_y 0
		.amdhsa_system_sgpr_workgroup_id_z 0
		.amdhsa_system_sgpr_workgroup_info 0
		.amdhsa_system_vgpr_workitem_id 0
		.amdhsa_next_free_vgpr 1
		.amdhsa_next_free_sgpr 0
		.amdhsa_accum_offset 4
		.amdhsa_reserve_vcc 0
		.amdhsa_reserve_flat_scratch 0
		.amdhsa_float_round_mode_32 0
		.amdhsa_float_round_mode_16_64 0
		.amdhsa_float_denorm_mode_32 3
		.amdhsa_float_denorm_mode_16_64 3
		.amdhsa_dx10_clamp 1
		.amdhsa_ieee_mode 1
		.amdhsa_fp16_overflow 0
		.amdhsa_tg_split 0
		.amdhsa_exception_fp_ieee_invalid_op 0
		.amdhsa_exception_fp_denorm_src 0
		.amdhsa_exception_fp_ieee_div_zero 0
		.amdhsa_exception_fp_ieee_overflow 0
		.amdhsa_exception_fp_ieee_underflow 0
		.amdhsa_exception_fp_ieee_inexact 0
		.amdhsa_exception_int_div_zero 0
	.end_amdhsa_kernel
	.section	.text._ZN7rocprim17ROCPRIM_400000_NS6detail17trampoline_kernelINS0_14default_configENS1_20scan_config_selectorIiEEZZNS1_9scan_implILNS1_25lookback_scan_determinismE0ELb0ELb0ES3_N6thrust23THRUST_200600_302600_NS6detail15normal_iteratorINS9_10device_ptrIiEEEENS9_16discard_iteratorINS9_11use_defaultEEEiNS9_4plusIvEEiEEDaPvRmT3_T4_T5_mT6_P12ihipStream_tbENKUlT_T0_E_clISt17integral_constantIbLb1EESW_IbLb0EEEEDaSS_ST_EUlSS_E_NS1_11comp_targetILNS1_3genE2ELNS1_11target_archE906ELNS1_3gpuE6ELNS1_3repE0EEENS1_30default_config_static_selectorELNS0_4arch9wavefront6targetE1EEEvT1_,"axG",@progbits,_ZN7rocprim17ROCPRIM_400000_NS6detail17trampoline_kernelINS0_14default_configENS1_20scan_config_selectorIiEEZZNS1_9scan_implILNS1_25lookback_scan_determinismE0ELb0ELb0ES3_N6thrust23THRUST_200600_302600_NS6detail15normal_iteratorINS9_10device_ptrIiEEEENS9_16discard_iteratorINS9_11use_defaultEEEiNS9_4plusIvEEiEEDaPvRmT3_T4_T5_mT6_P12ihipStream_tbENKUlT_T0_E_clISt17integral_constantIbLb1EESW_IbLb0EEEEDaSS_ST_EUlSS_E_NS1_11comp_targetILNS1_3genE2ELNS1_11target_archE906ELNS1_3gpuE6ELNS1_3repE0EEENS1_30default_config_static_selectorELNS0_4arch9wavefront6targetE1EEEvT1_,comdat
.Lfunc_end5766:
	.size	_ZN7rocprim17ROCPRIM_400000_NS6detail17trampoline_kernelINS0_14default_configENS1_20scan_config_selectorIiEEZZNS1_9scan_implILNS1_25lookback_scan_determinismE0ELb0ELb0ES3_N6thrust23THRUST_200600_302600_NS6detail15normal_iteratorINS9_10device_ptrIiEEEENS9_16discard_iteratorINS9_11use_defaultEEEiNS9_4plusIvEEiEEDaPvRmT3_T4_T5_mT6_P12ihipStream_tbENKUlT_T0_E_clISt17integral_constantIbLb1EESW_IbLb0EEEEDaSS_ST_EUlSS_E_NS1_11comp_targetILNS1_3genE2ELNS1_11target_archE906ELNS1_3gpuE6ELNS1_3repE0EEENS1_30default_config_static_selectorELNS0_4arch9wavefront6targetE1EEEvT1_, .Lfunc_end5766-_ZN7rocprim17ROCPRIM_400000_NS6detail17trampoline_kernelINS0_14default_configENS1_20scan_config_selectorIiEEZZNS1_9scan_implILNS1_25lookback_scan_determinismE0ELb0ELb0ES3_N6thrust23THRUST_200600_302600_NS6detail15normal_iteratorINS9_10device_ptrIiEEEENS9_16discard_iteratorINS9_11use_defaultEEEiNS9_4plusIvEEiEEDaPvRmT3_T4_T5_mT6_P12ihipStream_tbENKUlT_T0_E_clISt17integral_constantIbLb1EESW_IbLb0EEEEDaSS_ST_EUlSS_E_NS1_11comp_targetILNS1_3genE2ELNS1_11target_archE906ELNS1_3gpuE6ELNS1_3repE0EEENS1_30default_config_static_selectorELNS0_4arch9wavefront6targetE1EEEvT1_
                                        ; -- End function
	.section	.AMDGPU.csdata,"",@progbits
; Kernel info:
; codeLenInByte = 0
; NumSgprs: 4
; NumVgprs: 0
; NumAgprs: 0
; TotalNumVgprs: 0
; ScratchSize: 0
; MemoryBound: 0
; FloatMode: 240
; IeeeMode: 1
; LDSByteSize: 0 bytes/workgroup (compile time only)
; SGPRBlocks: 0
; VGPRBlocks: 0
; NumSGPRsForWavesPerEU: 4
; NumVGPRsForWavesPerEU: 1
; AccumOffset: 4
; Occupancy: 8
; WaveLimiterHint : 0
; COMPUTE_PGM_RSRC2:SCRATCH_EN: 0
; COMPUTE_PGM_RSRC2:USER_SGPR: 6
; COMPUTE_PGM_RSRC2:TRAP_HANDLER: 0
; COMPUTE_PGM_RSRC2:TGID_X_EN: 1
; COMPUTE_PGM_RSRC2:TGID_Y_EN: 0
; COMPUTE_PGM_RSRC2:TGID_Z_EN: 0
; COMPUTE_PGM_RSRC2:TIDIG_COMP_CNT: 0
; COMPUTE_PGM_RSRC3_GFX90A:ACCUM_OFFSET: 0
; COMPUTE_PGM_RSRC3_GFX90A:TG_SPLIT: 0
	.section	.text._ZN7rocprim17ROCPRIM_400000_NS6detail17trampoline_kernelINS0_14default_configENS1_20scan_config_selectorIiEEZZNS1_9scan_implILNS1_25lookback_scan_determinismE0ELb0ELb0ES3_N6thrust23THRUST_200600_302600_NS6detail15normal_iteratorINS9_10device_ptrIiEEEENS9_16discard_iteratorINS9_11use_defaultEEEiNS9_4plusIvEEiEEDaPvRmT3_T4_T5_mT6_P12ihipStream_tbENKUlT_T0_E_clISt17integral_constantIbLb1EESW_IbLb0EEEEDaSS_ST_EUlSS_E_NS1_11comp_targetILNS1_3genE10ELNS1_11target_archE1201ELNS1_3gpuE5ELNS1_3repE0EEENS1_30default_config_static_selectorELNS0_4arch9wavefront6targetE1EEEvT1_,"axG",@progbits,_ZN7rocprim17ROCPRIM_400000_NS6detail17trampoline_kernelINS0_14default_configENS1_20scan_config_selectorIiEEZZNS1_9scan_implILNS1_25lookback_scan_determinismE0ELb0ELb0ES3_N6thrust23THRUST_200600_302600_NS6detail15normal_iteratorINS9_10device_ptrIiEEEENS9_16discard_iteratorINS9_11use_defaultEEEiNS9_4plusIvEEiEEDaPvRmT3_T4_T5_mT6_P12ihipStream_tbENKUlT_T0_E_clISt17integral_constantIbLb1EESW_IbLb0EEEEDaSS_ST_EUlSS_E_NS1_11comp_targetILNS1_3genE10ELNS1_11target_archE1201ELNS1_3gpuE5ELNS1_3repE0EEENS1_30default_config_static_selectorELNS0_4arch9wavefront6targetE1EEEvT1_,comdat
	.protected	_ZN7rocprim17ROCPRIM_400000_NS6detail17trampoline_kernelINS0_14default_configENS1_20scan_config_selectorIiEEZZNS1_9scan_implILNS1_25lookback_scan_determinismE0ELb0ELb0ES3_N6thrust23THRUST_200600_302600_NS6detail15normal_iteratorINS9_10device_ptrIiEEEENS9_16discard_iteratorINS9_11use_defaultEEEiNS9_4plusIvEEiEEDaPvRmT3_T4_T5_mT6_P12ihipStream_tbENKUlT_T0_E_clISt17integral_constantIbLb1EESW_IbLb0EEEEDaSS_ST_EUlSS_E_NS1_11comp_targetILNS1_3genE10ELNS1_11target_archE1201ELNS1_3gpuE5ELNS1_3repE0EEENS1_30default_config_static_selectorELNS0_4arch9wavefront6targetE1EEEvT1_ ; -- Begin function _ZN7rocprim17ROCPRIM_400000_NS6detail17trampoline_kernelINS0_14default_configENS1_20scan_config_selectorIiEEZZNS1_9scan_implILNS1_25lookback_scan_determinismE0ELb0ELb0ES3_N6thrust23THRUST_200600_302600_NS6detail15normal_iteratorINS9_10device_ptrIiEEEENS9_16discard_iteratorINS9_11use_defaultEEEiNS9_4plusIvEEiEEDaPvRmT3_T4_T5_mT6_P12ihipStream_tbENKUlT_T0_E_clISt17integral_constantIbLb1EESW_IbLb0EEEEDaSS_ST_EUlSS_E_NS1_11comp_targetILNS1_3genE10ELNS1_11target_archE1201ELNS1_3gpuE5ELNS1_3repE0EEENS1_30default_config_static_selectorELNS0_4arch9wavefront6targetE1EEEvT1_
	.globl	_ZN7rocprim17ROCPRIM_400000_NS6detail17trampoline_kernelINS0_14default_configENS1_20scan_config_selectorIiEEZZNS1_9scan_implILNS1_25lookback_scan_determinismE0ELb0ELb0ES3_N6thrust23THRUST_200600_302600_NS6detail15normal_iteratorINS9_10device_ptrIiEEEENS9_16discard_iteratorINS9_11use_defaultEEEiNS9_4plusIvEEiEEDaPvRmT3_T4_T5_mT6_P12ihipStream_tbENKUlT_T0_E_clISt17integral_constantIbLb1EESW_IbLb0EEEEDaSS_ST_EUlSS_E_NS1_11comp_targetILNS1_3genE10ELNS1_11target_archE1201ELNS1_3gpuE5ELNS1_3repE0EEENS1_30default_config_static_selectorELNS0_4arch9wavefront6targetE1EEEvT1_
	.p2align	8
	.type	_ZN7rocprim17ROCPRIM_400000_NS6detail17trampoline_kernelINS0_14default_configENS1_20scan_config_selectorIiEEZZNS1_9scan_implILNS1_25lookback_scan_determinismE0ELb0ELb0ES3_N6thrust23THRUST_200600_302600_NS6detail15normal_iteratorINS9_10device_ptrIiEEEENS9_16discard_iteratorINS9_11use_defaultEEEiNS9_4plusIvEEiEEDaPvRmT3_T4_T5_mT6_P12ihipStream_tbENKUlT_T0_E_clISt17integral_constantIbLb1EESW_IbLb0EEEEDaSS_ST_EUlSS_E_NS1_11comp_targetILNS1_3genE10ELNS1_11target_archE1201ELNS1_3gpuE5ELNS1_3repE0EEENS1_30default_config_static_selectorELNS0_4arch9wavefront6targetE1EEEvT1_,@function
_ZN7rocprim17ROCPRIM_400000_NS6detail17trampoline_kernelINS0_14default_configENS1_20scan_config_selectorIiEEZZNS1_9scan_implILNS1_25lookback_scan_determinismE0ELb0ELb0ES3_N6thrust23THRUST_200600_302600_NS6detail15normal_iteratorINS9_10device_ptrIiEEEENS9_16discard_iteratorINS9_11use_defaultEEEiNS9_4plusIvEEiEEDaPvRmT3_T4_T5_mT6_P12ihipStream_tbENKUlT_T0_E_clISt17integral_constantIbLb1EESW_IbLb0EEEEDaSS_ST_EUlSS_E_NS1_11comp_targetILNS1_3genE10ELNS1_11target_archE1201ELNS1_3gpuE5ELNS1_3repE0EEENS1_30default_config_static_selectorELNS0_4arch9wavefront6targetE1EEEvT1_: ; @_ZN7rocprim17ROCPRIM_400000_NS6detail17trampoline_kernelINS0_14default_configENS1_20scan_config_selectorIiEEZZNS1_9scan_implILNS1_25lookback_scan_determinismE0ELb0ELb0ES3_N6thrust23THRUST_200600_302600_NS6detail15normal_iteratorINS9_10device_ptrIiEEEENS9_16discard_iteratorINS9_11use_defaultEEEiNS9_4plusIvEEiEEDaPvRmT3_T4_T5_mT6_P12ihipStream_tbENKUlT_T0_E_clISt17integral_constantIbLb1EESW_IbLb0EEEEDaSS_ST_EUlSS_E_NS1_11comp_targetILNS1_3genE10ELNS1_11target_archE1201ELNS1_3gpuE5ELNS1_3repE0EEENS1_30default_config_static_selectorELNS0_4arch9wavefront6targetE1EEEvT1_
; %bb.0:
	.section	.rodata,"a",@progbits
	.p2align	6, 0x0
	.amdhsa_kernel _ZN7rocprim17ROCPRIM_400000_NS6detail17trampoline_kernelINS0_14default_configENS1_20scan_config_selectorIiEEZZNS1_9scan_implILNS1_25lookback_scan_determinismE0ELb0ELb0ES3_N6thrust23THRUST_200600_302600_NS6detail15normal_iteratorINS9_10device_ptrIiEEEENS9_16discard_iteratorINS9_11use_defaultEEEiNS9_4plusIvEEiEEDaPvRmT3_T4_T5_mT6_P12ihipStream_tbENKUlT_T0_E_clISt17integral_constantIbLb1EESW_IbLb0EEEEDaSS_ST_EUlSS_E_NS1_11comp_targetILNS1_3genE10ELNS1_11target_archE1201ELNS1_3gpuE5ELNS1_3repE0EEENS1_30default_config_static_selectorELNS0_4arch9wavefront6targetE1EEEvT1_
		.amdhsa_group_segment_fixed_size 0
		.amdhsa_private_segment_fixed_size 0
		.amdhsa_kernarg_size 104
		.amdhsa_user_sgpr_count 6
		.amdhsa_user_sgpr_private_segment_buffer 1
		.amdhsa_user_sgpr_dispatch_ptr 0
		.amdhsa_user_sgpr_queue_ptr 0
		.amdhsa_user_sgpr_kernarg_segment_ptr 1
		.amdhsa_user_sgpr_dispatch_id 0
		.amdhsa_user_sgpr_flat_scratch_init 0
		.amdhsa_user_sgpr_kernarg_preload_length 0
		.amdhsa_user_sgpr_kernarg_preload_offset 0
		.amdhsa_user_sgpr_private_segment_size 0
		.amdhsa_uses_dynamic_stack 0
		.amdhsa_system_sgpr_private_segment_wavefront_offset 0
		.amdhsa_system_sgpr_workgroup_id_x 1
		.amdhsa_system_sgpr_workgroup_id_y 0
		.amdhsa_system_sgpr_workgroup_id_z 0
		.amdhsa_system_sgpr_workgroup_info 0
		.amdhsa_system_vgpr_workitem_id 0
		.amdhsa_next_free_vgpr 1
		.amdhsa_next_free_sgpr 0
		.amdhsa_accum_offset 4
		.amdhsa_reserve_vcc 0
		.amdhsa_reserve_flat_scratch 0
		.amdhsa_float_round_mode_32 0
		.amdhsa_float_round_mode_16_64 0
		.amdhsa_float_denorm_mode_32 3
		.amdhsa_float_denorm_mode_16_64 3
		.amdhsa_dx10_clamp 1
		.amdhsa_ieee_mode 1
		.amdhsa_fp16_overflow 0
		.amdhsa_tg_split 0
		.amdhsa_exception_fp_ieee_invalid_op 0
		.amdhsa_exception_fp_denorm_src 0
		.amdhsa_exception_fp_ieee_div_zero 0
		.amdhsa_exception_fp_ieee_overflow 0
		.amdhsa_exception_fp_ieee_underflow 0
		.amdhsa_exception_fp_ieee_inexact 0
		.amdhsa_exception_int_div_zero 0
	.end_amdhsa_kernel
	.section	.text._ZN7rocprim17ROCPRIM_400000_NS6detail17trampoline_kernelINS0_14default_configENS1_20scan_config_selectorIiEEZZNS1_9scan_implILNS1_25lookback_scan_determinismE0ELb0ELb0ES3_N6thrust23THRUST_200600_302600_NS6detail15normal_iteratorINS9_10device_ptrIiEEEENS9_16discard_iteratorINS9_11use_defaultEEEiNS9_4plusIvEEiEEDaPvRmT3_T4_T5_mT6_P12ihipStream_tbENKUlT_T0_E_clISt17integral_constantIbLb1EESW_IbLb0EEEEDaSS_ST_EUlSS_E_NS1_11comp_targetILNS1_3genE10ELNS1_11target_archE1201ELNS1_3gpuE5ELNS1_3repE0EEENS1_30default_config_static_selectorELNS0_4arch9wavefront6targetE1EEEvT1_,"axG",@progbits,_ZN7rocprim17ROCPRIM_400000_NS6detail17trampoline_kernelINS0_14default_configENS1_20scan_config_selectorIiEEZZNS1_9scan_implILNS1_25lookback_scan_determinismE0ELb0ELb0ES3_N6thrust23THRUST_200600_302600_NS6detail15normal_iteratorINS9_10device_ptrIiEEEENS9_16discard_iteratorINS9_11use_defaultEEEiNS9_4plusIvEEiEEDaPvRmT3_T4_T5_mT6_P12ihipStream_tbENKUlT_T0_E_clISt17integral_constantIbLb1EESW_IbLb0EEEEDaSS_ST_EUlSS_E_NS1_11comp_targetILNS1_3genE10ELNS1_11target_archE1201ELNS1_3gpuE5ELNS1_3repE0EEENS1_30default_config_static_selectorELNS0_4arch9wavefront6targetE1EEEvT1_,comdat
.Lfunc_end5767:
	.size	_ZN7rocprim17ROCPRIM_400000_NS6detail17trampoline_kernelINS0_14default_configENS1_20scan_config_selectorIiEEZZNS1_9scan_implILNS1_25lookback_scan_determinismE0ELb0ELb0ES3_N6thrust23THRUST_200600_302600_NS6detail15normal_iteratorINS9_10device_ptrIiEEEENS9_16discard_iteratorINS9_11use_defaultEEEiNS9_4plusIvEEiEEDaPvRmT3_T4_T5_mT6_P12ihipStream_tbENKUlT_T0_E_clISt17integral_constantIbLb1EESW_IbLb0EEEEDaSS_ST_EUlSS_E_NS1_11comp_targetILNS1_3genE10ELNS1_11target_archE1201ELNS1_3gpuE5ELNS1_3repE0EEENS1_30default_config_static_selectorELNS0_4arch9wavefront6targetE1EEEvT1_, .Lfunc_end5767-_ZN7rocprim17ROCPRIM_400000_NS6detail17trampoline_kernelINS0_14default_configENS1_20scan_config_selectorIiEEZZNS1_9scan_implILNS1_25lookback_scan_determinismE0ELb0ELb0ES3_N6thrust23THRUST_200600_302600_NS6detail15normal_iteratorINS9_10device_ptrIiEEEENS9_16discard_iteratorINS9_11use_defaultEEEiNS9_4plusIvEEiEEDaPvRmT3_T4_T5_mT6_P12ihipStream_tbENKUlT_T0_E_clISt17integral_constantIbLb1EESW_IbLb0EEEEDaSS_ST_EUlSS_E_NS1_11comp_targetILNS1_3genE10ELNS1_11target_archE1201ELNS1_3gpuE5ELNS1_3repE0EEENS1_30default_config_static_selectorELNS0_4arch9wavefront6targetE1EEEvT1_
                                        ; -- End function
	.section	.AMDGPU.csdata,"",@progbits
; Kernel info:
; codeLenInByte = 0
; NumSgprs: 4
; NumVgprs: 0
; NumAgprs: 0
; TotalNumVgprs: 0
; ScratchSize: 0
; MemoryBound: 0
; FloatMode: 240
; IeeeMode: 1
; LDSByteSize: 0 bytes/workgroup (compile time only)
; SGPRBlocks: 0
; VGPRBlocks: 0
; NumSGPRsForWavesPerEU: 4
; NumVGPRsForWavesPerEU: 1
; AccumOffset: 4
; Occupancy: 8
; WaveLimiterHint : 0
; COMPUTE_PGM_RSRC2:SCRATCH_EN: 0
; COMPUTE_PGM_RSRC2:USER_SGPR: 6
; COMPUTE_PGM_RSRC2:TRAP_HANDLER: 0
; COMPUTE_PGM_RSRC2:TGID_X_EN: 1
; COMPUTE_PGM_RSRC2:TGID_Y_EN: 0
; COMPUTE_PGM_RSRC2:TGID_Z_EN: 0
; COMPUTE_PGM_RSRC2:TIDIG_COMP_CNT: 0
; COMPUTE_PGM_RSRC3_GFX90A:ACCUM_OFFSET: 0
; COMPUTE_PGM_RSRC3_GFX90A:TG_SPLIT: 0
	.section	.text._ZN7rocprim17ROCPRIM_400000_NS6detail17trampoline_kernelINS0_14default_configENS1_20scan_config_selectorIiEEZZNS1_9scan_implILNS1_25lookback_scan_determinismE0ELb0ELb0ES3_N6thrust23THRUST_200600_302600_NS6detail15normal_iteratorINS9_10device_ptrIiEEEENS9_16discard_iteratorINS9_11use_defaultEEEiNS9_4plusIvEEiEEDaPvRmT3_T4_T5_mT6_P12ihipStream_tbENKUlT_T0_E_clISt17integral_constantIbLb1EESW_IbLb0EEEEDaSS_ST_EUlSS_E_NS1_11comp_targetILNS1_3genE10ELNS1_11target_archE1200ELNS1_3gpuE4ELNS1_3repE0EEENS1_30default_config_static_selectorELNS0_4arch9wavefront6targetE1EEEvT1_,"axG",@progbits,_ZN7rocprim17ROCPRIM_400000_NS6detail17trampoline_kernelINS0_14default_configENS1_20scan_config_selectorIiEEZZNS1_9scan_implILNS1_25lookback_scan_determinismE0ELb0ELb0ES3_N6thrust23THRUST_200600_302600_NS6detail15normal_iteratorINS9_10device_ptrIiEEEENS9_16discard_iteratorINS9_11use_defaultEEEiNS9_4plusIvEEiEEDaPvRmT3_T4_T5_mT6_P12ihipStream_tbENKUlT_T0_E_clISt17integral_constantIbLb1EESW_IbLb0EEEEDaSS_ST_EUlSS_E_NS1_11comp_targetILNS1_3genE10ELNS1_11target_archE1200ELNS1_3gpuE4ELNS1_3repE0EEENS1_30default_config_static_selectorELNS0_4arch9wavefront6targetE1EEEvT1_,comdat
	.protected	_ZN7rocprim17ROCPRIM_400000_NS6detail17trampoline_kernelINS0_14default_configENS1_20scan_config_selectorIiEEZZNS1_9scan_implILNS1_25lookback_scan_determinismE0ELb0ELb0ES3_N6thrust23THRUST_200600_302600_NS6detail15normal_iteratorINS9_10device_ptrIiEEEENS9_16discard_iteratorINS9_11use_defaultEEEiNS9_4plusIvEEiEEDaPvRmT3_T4_T5_mT6_P12ihipStream_tbENKUlT_T0_E_clISt17integral_constantIbLb1EESW_IbLb0EEEEDaSS_ST_EUlSS_E_NS1_11comp_targetILNS1_3genE10ELNS1_11target_archE1200ELNS1_3gpuE4ELNS1_3repE0EEENS1_30default_config_static_selectorELNS0_4arch9wavefront6targetE1EEEvT1_ ; -- Begin function _ZN7rocprim17ROCPRIM_400000_NS6detail17trampoline_kernelINS0_14default_configENS1_20scan_config_selectorIiEEZZNS1_9scan_implILNS1_25lookback_scan_determinismE0ELb0ELb0ES3_N6thrust23THRUST_200600_302600_NS6detail15normal_iteratorINS9_10device_ptrIiEEEENS9_16discard_iteratorINS9_11use_defaultEEEiNS9_4plusIvEEiEEDaPvRmT3_T4_T5_mT6_P12ihipStream_tbENKUlT_T0_E_clISt17integral_constantIbLb1EESW_IbLb0EEEEDaSS_ST_EUlSS_E_NS1_11comp_targetILNS1_3genE10ELNS1_11target_archE1200ELNS1_3gpuE4ELNS1_3repE0EEENS1_30default_config_static_selectorELNS0_4arch9wavefront6targetE1EEEvT1_
	.globl	_ZN7rocprim17ROCPRIM_400000_NS6detail17trampoline_kernelINS0_14default_configENS1_20scan_config_selectorIiEEZZNS1_9scan_implILNS1_25lookback_scan_determinismE0ELb0ELb0ES3_N6thrust23THRUST_200600_302600_NS6detail15normal_iteratorINS9_10device_ptrIiEEEENS9_16discard_iteratorINS9_11use_defaultEEEiNS9_4plusIvEEiEEDaPvRmT3_T4_T5_mT6_P12ihipStream_tbENKUlT_T0_E_clISt17integral_constantIbLb1EESW_IbLb0EEEEDaSS_ST_EUlSS_E_NS1_11comp_targetILNS1_3genE10ELNS1_11target_archE1200ELNS1_3gpuE4ELNS1_3repE0EEENS1_30default_config_static_selectorELNS0_4arch9wavefront6targetE1EEEvT1_
	.p2align	8
	.type	_ZN7rocprim17ROCPRIM_400000_NS6detail17trampoline_kernelINS0_14default_configENS1_20scan_config_selectorIiEEZZNS1_9scan_implILNS1_25lookback_scan_determinismE0ELb0ELb0ES3_N6thrust23THRUST_200600_302600_NS6detail15normal_iteratorINS9_10device_ptrIiEEEENS9_16discard_iteratorINS9_11use_defaultEEEiNS9_4plusIvEEiEEDaPvRmT3_T4_T5_mT6_P12ihipStream_tbENKUlT_T0_E_clISt17integral_constantIbLb1EESW_IbLb0EEEEDaSS_ST_EUlSS_E_NS1_11comp_targetILNS1_3genE10ELNS1_11target_archE1200ELNS1_3gpuE4ELNS1_3repE0EEENS1_30default_config_static_selectorELNS0_4arch9wavefront6targetE1EEEvT1_,@function
_ZN7rocprim17ROCPRIM_400000_NS6detail17trampoline_kernelINS0_14default_configENS1_20scan_config_selectorIiEEZZNS1_9scan_implILNS1_25lookback_scan_determinismE0ELb0ELb0ES3_N6thrust23THRUST_200600_302600_NS6detail15normal_iteratorINS9_10device_ptrIiEEEENS9_16discard_iteratorINS9_11use_defaultEEEiNS9_4plusIvEEiEEDaPvRmT3_T4_T5_mT6_P12ihipStream_tbENKUlT_T0_E_clISt17integral_constantIbLb1EESW_IbLb0EEEEDaSS_ST_EUlSS_E_NS1_11comp_targetILNS1_3genE10ELNS1_11target_archE1200ELNS1_3gpuE4ELNS1_3repE0EEENS1_30default_config_static_selectorELNS0_4arch9wavefront6targetE1EEEvT1_: ; @_ZN7rocprim17ROCPRIM_400000_NS6detail17trampoline_kernelINS0_14default_configENS1_20scan_config_selectorIiEEZZNS1_9scan_implILNS1_25lookback_scan_determinismE0ELb0ELb0ES3_N6thrust23THRUST_200600_302600_NS6detail15normal_iteratorINS9_10device_ptrIiEEEENS9_16discard_iteratorINS9_11use_defaultEEEiNS9_4plusIvEEiEEDaPvRmT3_T4_T5_mT6_P12ihipStream_tbENKUlT_T0_E_clISt17integral_constantIbLb1EESW_IbLb0EEEEDaSS_ST_EUlSS_E_NS1_11comp_targetILNS1_3genE10ELNS1_11target_archE1200ELNS1_3gpuE4ELNS1_3repE0EEENS1_30default_config_static_selectorELNS0_4arch9wavefront6targetE1EEEvT1_
; %bb.0:
	.section	.rodata,"a",@progbits
	.p2align	6, 0x0
	.amdhsa_kernel _ZN7rocprim17ROCPRIM_400000_NS6detail17trampoline_kernelINS0_14default_configENS1_20scan_config_selectorIiEEZZNS1_9scan_implILNS1_25lookback_scan_determinismE0ELb0ELb0ES3_N6thrust23THRUST_200600_302600_NS6detail15normal_iteratorINS9_10device_ptrIiEEEENS9_16discard_iteratorINS9_11use_defaultEEEiNS9_4plusIvEEiEEDaPvRmT3_T4_T5_mT6_P12ihipStream_tbENKUlT_T0_E_clISt17integral_constantIbLb1EESW_IbLb0EEEEDaSS_ST_EUlSS_E_NS1_11comp_targetILNS1_3genE10ELNS1_11target_archE1200ELNS1_3gpuE4ELNS1_3repE0EEENS1_30default_config_static_selectorELNS0_4arch9wavefront6targetE1EEEvT1_
		.amdhsa_group_segment_fixed_size 0
		.amdhsa_private_segment_fixed_size 0
		.amdhsa_kernarg_size 104
		.amdhsa_user_sgpr_count 6
		.amdhsa_user_sgpr_private_segment_buffer 1
		.amdhsa_user_sgpr_dispatch_ptr 0
		.amdhsa_user_sgpr_queue_ptr 0
		.amdhsa_user_sgpr_kernarg_segment_ptr 1
		.amdhsa_user_sgpr_dispatch_id 0
		.amdhsa_user_sgpr_flat_scratch_init 0
		.amdhsa_user_sgpr_kernarg_preload_length 0
		.amdhsa_user_sgpr_kernarg_preload_offset 0
		.amdhsa_user_sgpr_private_segment_size 0
		.amdhsa_uses_dynamic_stack 0
		.amdhsa_system_sgpr_private_segment_wavefront_offset 0
		.amdhsa_system_sgpr_workgroup_id_x 1
		.amdhsa_system_sgpr_workgroup_id_y 0
		.amdhsa_system_sgpr_workgroup_id_z 0
		.amdhsa_system_sgpr_workgroup_info 0
		.amdhsa_system_vgpr_workitem_id 0
		.amdhsa_next_free_vgpr 1
		.amdhsa_next_free_sgpr 0
		.amdhsa_accum_offset 4
		.amdhsa_reserve_vcc 0
		.amdhsa_reserve_flat_scratch 0
		.amdhsa_float_round_mode_32 0
		.amdhsa_float_round_mode_16_64 0
		.amdhsa_float_denorm_mode_32 3
		.amdhsa_float_denorm_mode_16_64 3
		.amdhsa_dx10_clamp 1
		.amdhsa_ieee_mode 1
		.amdhsa_fp16_overflow 0
		.amdhsa_tg_split 0
		.amdhsa_exception_fp_ieee_invalid_op 0
		.amdhsa_exception_fp_denorm_src 0
		.amdhsa_exception_fp_ieee_div_zero 0
		.amdhsa_exception_fp_ieee_overflow 0
		.amdhsa_exception_fp_ieee_underflow 0
		.amdhsa_exception_fp_ieee_inexact 0
		.amdhsa_exception_int_div_zero 0
	.end_amdhsa_kernel
	.section	.text._ZN7rocprim17ROCPRIM_400000_NS6detail17trampoline_kernelINS0_14default_configENS1_20scan_config_selectorIiEEZZNS1_9scan_implILNS1_25lookback_scan_determinismE0ELb0ELb0ES3_N6thrust23THRUST_200600_302600_NS6detail15normal_iteratorINS9_10device_ptrIiEEEENS9_16discard_iteratorINS9_11use_defaultEEEiNS9_4plusIvEEiEEDaPvRmT3_T4_T5_mT6_P12ihipStream_tbENKUlT_T0_E_clISt17integral_constantIbLb1EESW_IbLb0EEEEDaSS_ST_EUlSS_E_NS1_11comp_targetILNS1_3genE10ELNS1_11target_archE1200ELNS1_3gpuE4ELNS1_3repE0EEENS1_30default_config_static_selectorELNS0_4arch9wavefront6targetE1EEEvT1_,"axG",@progbits,_ZN7rocprim17ROCPRIM_400000_NS6detail17trampoline_kernelINS0_14default_configENS1_20scan_config_selectorIiEEZZNS1_9scan_implILNS1_25lookback_scan_determinismE0ELb0ELb0ES3_N6thrust23THRUST_200600_302600_NS6detail15normal_iteratorINS9_10device_ptrIiEEEENS9_16discard_iteratorINS9_11use_defaultEEEiNS9_4plusIvEEiEEDaPvRmT3_T4_T5_mT6_P12ihipStream_tbENKUlT_T0_E_clISt17integral_constantIbLb1EESW_IbLb0EEEEDaSS_ST_EUlSS_E_NS1_11comp_targetILNS1_3genE10ELNS1_11target_archE1200ELNS1_3gpuE4ELNS1_3repE0EEENS1_30default_config_static_selectorELNS0_4arch9wavefront6targetE1EEEvT1_,comdat
.Lfunc_end5768:
	.size	_ZN7rocprim17ROCPRIM_400000_NS6detail17trampoline_kernelINS0_14default_configENS1_20scan_config_selectorIiEEZZNS1_9scan_implILNS1_25lookback_scan_determinismE0ELb0ELb0ES3_N6thrust23THRUST_200600_302600_NS6detail15normal_iteratorINS9_10device_ptrIiEEEENS9_16discard_iteratorINS9_11use_defaultEEEiNS9_4plusIvEEiEEDaPvRmT3_T4_T5_mT6_P12ihipStream_tbENKUlT_T0_E_clISt17integral_constantIbLb1EESW_IbLb0EEEEDaSS_ST_EUlSS_E_NS1_11comp_targetILNS1_3genE10ELNS1_11target_archE1200ELNS1_3gpuE4ELNS1_3repE0EEENS1_30default_config_static_selectorELNS0_4arch9wavefront6targetE1EEEvT1_, .Lfunc_end5768-_ZN7rocprim17ROCPRIM_400000_NS6detail17trampoline_kernelINS0_14default_configENS1_20scan_config_selectorIiEEZZNS1_9scan_implILNS1_25lookback_scan_determinismE0ELb0ELb0ES3_N6thrust23THRUST_200600_302600_NS6detail15normal_iteratorINS9_10device_ptrIiEEEENS9_16discard_iteratorINS9_11use_defaultEEEiNS9_4plusIvEEiEEDaPvRmT3_T4_T5_mT6_P12ihipStream_tbENKUlT_T0_E_clISt17integral_constantIbLb1EESW_IbLb0EEEEDaSS_ST_EUlSS_E_NS1_11comp_targetILNS1_3genE10ELNS1_11target_archE1200ELNS1_3gpuE4ELNS1_3repE0EEENS1_30default_config_static_selectorELNS0_4arch9wavefront6targetE1EEEvT1_
                                        ; -- End function
	.section	.AMDGPU.csdata,"",@progbits
; Kernel info:
; codeLenInByte = 0
; NumSgprs: 4
; NumVgprs: 0
; NumAgprs: 0
; TotalNumVgprs: 0
; ScratchSize: 0
; MemoryBound: 0
; FloatMode: 240
; IeeeMode: 1
; LDSByteSize: 0 bytes/workgroup (compile time only)
; SGPRBlocks: 0
; VGPRBlocks: 0
; NumSGPRsForWavesPerEU: 4
; NumVGPRsForWavesPerEU: 1
; AccumOffset: 4
; Occupancy: 8
; WaveLimiterHint : 0
; COMPUTE_PGM_RSRC2:SCRATCH_EN: 0
; COMPUTE_PGM_RSRC2:USER_SGPR: 6
; COMPUTE_PGM_RSRC2:TRAP_HANDLER: 0
; COMPUTE_PGM_RSRC2:TGID_X_EN: 1
; COMPUTE_PGM_RSRC2:TGID_Y_EN: 0
; COMPUTE_PGM_RSRC2:TGID_Z_EN: 0
; COMPUTE_PGM_RSRC2:TIDIG_COMP_CNT: 0
; COMPUTE_PGM_RSRC3_GFX90A:ACCUM_OFFSET: 0
; COMPUTE_PGM_RSRC3_GFX90A:TG_SPLIT: 0
	.section	.text._ZN7rocprim17ROCPRIM_400000_NS6detail17trampoline_kernelINS0_14default_configENS1_20scan_config_selectorIiEEZZNS1_9scan_implILNS1_25lookback_scan_determinismE0ELb0ELb0ES3_N6thrust23THRUST_200600_302600_NS6detail15normal_iteratorINS9_10device_ptrIiEEEENS9_16discard_iteratorINS9_11use_defaultEEEiNS9_4plusIvEEiEEDaPvRmT3_T4_T5_mT6_P12ihipStream_tbENKUlT_T0_E_clISt17integral_constantIbLb1EESW_IbLb0EEEEDaSS_ST_EUlSS_E_NS1_11comp_targetILNS1_3genE9ELNS1_11target_archE1100ELNS1_3gpuE3ELNS1_3repE0EEENS1_30default_config_static_selectorELNS0_4arch9wavefront6targetE1EEEvT1_,"axG",@progbits,_ZN7rocprim17ROCPRIM_400000_NS6detail17trampoline_kernelINS0_14default_configENS1_20scan_config_selectorIiEEZZNS1_9scan_implILNS1_25lookback_scan_determinismE0ELb0ELb0ES3_N6thrust23THRUST_200600_302600_NS6detail15normal_iteratorINS9_10device_ptrIiEEEENS9_16discard_iteratorINS9_11use_defaultEEEiNS9_4plusIvEEiEEDaPvRmT3_T4_T5_mT6_P12ihipStream_tbENKUlT_T0_E_clISt17integral_constantIbLb1EESW_IbLb0EEEEDaSS_ST_EUlSS_E_NS1_11comp_targetILNS1_3genE9ELNS1_11target_archE1100ELNS1_3gpuE3ELNS1_3repE0EEENS1_30default_config_static_selectorELNS0_4arch9wavefront6targetE1EEEvT1_,comdat
	.protected	_ZN7rocprim17ROCPRIM_400000_NS6detail17trampoline_kernelINS0_14default_configENS1_20scan_config_selectorIiEEZZNS1_9scan_implILNS1_25lookback_scan_determinismE0ELb0ELb0ES3_N6thrust23THRUST_200600_302600_NS6detail15normal_iteratorINS9_10device_ptrIiEEEENS9_16discard_iteratorINS9_11use_defaultEEEiNS9_4plusIvEEiEEDaPvRmT3_T4_T5_mT6_P12ihipStream_tbENKUlT_T0_E_clISt17integral_constantIbLb1EESW_IbLb0EEEEDaSS_ST_EUlSS_E_NS1_11comp_targetILNS1_3genE9ELNS1_11target_archE1100ELNS1_3gpuE3ELNS1_3repE0EEENS1_30default_config_static_selectorELNS0_4arch9wavefront6targetE1EEEvT1_ ; -- Begin function _ZN7rocprim17ROCPRIM_400000_NS6detail17trampoline_kernelINS0_14default_configENS1_20scan_config_selectorIiEEZZNS1_9scan_implILNS1_25lookback_scan_determinismE0ELb0ELb0ES3_N6thrust23THRUST_200600_302600_NS6detail15normal_iteratorINS9_10device_ptrIiEEEENS9_16discard_iteratorINS9_11use_defaultEEEiNS9_4plusIvEEiEEDaPvRmT3_T4_T5_mT6_P12ihipStream_tbENKUlT_T0_E_clISt17integral_constantIbLb1EESW_IbLb0EEEEDaSS_ST_EUlSS_E_NS1_11comp_targetILNS1_3genE9ELNS1_11target_archE1100ELNS1_3gpuE3ELNS1_3repE0EEENS1_30default_config_static_selectorELNS0_4arch9wavefront6targetE1EEEvT1_
	.globl	_ZN7rocprim17ROCPRIM_400000_NS6detail17trampoline_kernelINS0_14default_configENS1_20scan_config_selectorIiEEZZNS1_9scan_implILNS1_25lookback_scan_determinismE0ELb0ELb0ES3_N6thrust23THRUST_200600_302600_NS6detail15normal_iteratorINS9_10device_ptrIiEEEENS9_16discard_iteratorINS9_11use_defaultEEEiNS9_4plusIvEEiEEDaPvRmT3_T4_T5_mT6_P12ihipStream_tbENKUlT_T0_E_clISt17integral_constantIbLb1EESW_IbLb0EEEEDaSS_ST_EUlSS_E_NS1_11comp_targetILNS1_3genE9ELNS1_11target_archE1100ELNS1_3gpuE3ELNS1_3repE0EEENS1_30default_config_static_selectorELNS0_4arch9wavefront6targetE1EEEvT1_
	.p2align	8
	.type	_ZN7rocprim17ROCPRIM_400000_NS6detail17trampoline_kernelINS0_14default_configENS1_20scan_config_selectorIiEEZZNS1_9scan_implILNS1_25lookback_scan_determinismE0ELb0ELb0ES3_N6thrust23THRUST_200600_302600_NS6detail15normal_iteratorINS9_10device_ptrIiEEEENS9_16discard_iteratorINS9_11use_defaultEEEiNS9_4plusIvEEiEEDaPvRmT3_T4_T5_mT6_P12ihipStream_tbENKUlT_T0_E_clISt17integral_constantIbLb1EESW_IbLb0EEEEDaSS_ST_EUlSS_E_NS1_11comp_targetILNS1_3genE9ELNS1_11target_archE1100ELNS1_3gpuE3ELNS1_3repE0EEENS1_30default_config_static_selectorELNS0_4arch9wavefront6targetE1EEEvT1_,@function
_ZN7rocprim17ROCPRIM_400000_NS6detail17trampoline_kernelINS0_14default_configENS1_20scan_config_selectorIiEEZZNS1_9scan_implILNS1_25lookback_scan_determinismE0ELb0ELb0ES3_N6thrust23THRUST_200600_302600_NS6detail15normal_iteratorINS9_10device_ptrIiEEEENS9_16discard_iteratorINS9_11use_defaultEEEiNS9_4plusIvEEiEEDaPvRmT3_T4_T5_mT6_P12ihipStream_tbENKUlT_T0_E_clISt17integral_constantIbLb1EESW_IbLb0EEEEDaSS_ST_EUlSS_E_NS1_11comp_targetILNS1_3genE9ELNS1_11target_archE1100ELNS1_3gpuE3ELNS1_3repE0EEENS1_30default_config_static_selectorELNS0_4arch9wavefront6targetE1EEEvT1_: ; @_ZN7rocprim17ROCPRIM_400000_NS6detail17trampoline_kernelINS0_14default_configENS1_20scan_config_selectorIiEEZZNS1_9scan_implILNS1_25lookback_scan_determinismE0ELb0ELb0ES3_N6thrust23THRUST_200600_302600_NS6detail15normal_iteratorINS9_10device_ptrIiEEEENS9_16discard_iteratorINS9_11use_defaultEEEiNS9_4plusIvEEiEEDaPvRmT3_T4_T5_mT6_P12ihipStream_tbENKUlT_T0_E_clISt17integral_constantIbLb1EESW_IbLb0EEEEDaSS_ST_EUlSS_E_NS1_11comp_targetILNS1_3genE9ELNS1_11target_archE1100ELNS1_3gpuE3ELNS1_3repE0EEENS1_30default_config_static_selectorELNS0_4arch9wavefront6targetE1EEEvT1_
; %bb.0:
	.section	.rodata,"a",@progbits
	.p2align	6, 0x0
	.amdhsa_kernel _ZN7rocprim17ROCPRIM_400000_NS6detail17trampoline_kernelINS0_14default_configENS1_20scan_config_selectorIiEEZZNS1_9scan_implILNS1_25lookback_scan_determinismE0ELb0ELb0ES3_N6thrust23THRUST_200600_302600_NS6detail15normal_iteratorINS9_10device_ptrIiEEEENS9_16discard_iteratorINS9_11use_defaultEEEiNS9_4plusIvEEiEEDaPvRmT3_T4_T5_mT6_P12ihipStream_tbENKUlT_T0_E_clISt17integral_constantIbLb1EESW_IbLb0EEEEDaSS_ST_EUlSS_E_NS1_11comp_targetILNS1_3genE9ELNS1_11target_archE1100ELNS1_3gpuE3ELNS1_3repE0EEENS1_30default_config_static_selectorELNS0_4arch9wavefront6targetE1EEEvT1_
		.amdhsa_group_segment_fixed_size 0
		.amdhsa_private_segment_fixed_size 0
		.amdhsa_kernarg_size 104
		.amdhsa_user_sgpr_count 6
		.amdhsa_user_sgpr_private_segment_buffer 1
		.amdhsa_user_sgpr_dispatch_ptr 0
		.amdhsa_user_sgpr_queue_ptr 0
		.amdhsa_user_sgpr_kernarg_segment_ptr 1
		.amdhsa_user_sgpr_dispatch_id 0
		.amdhsa_user_sgpr_flat_scratch_init 0
		.amdhsa_user_sgpr_kernarg_preload_length 0
		.amdhsa_user_sgpr_kernarg_preload_offset 0
		.amdhsa_user_sgpr_private_segment_size 0
		.amdhsa_uses_dynamic_stack 0
		.amdhsa_system_sgpr_private_segment_wavefront_offset 0
		.amdhsa_system_sgpr_workgroup_id_x 1
		.amdhsa_system_sgpr_workgroup_id_y 0
		.amdhsa_system_sgpr_workgroup_id_z 0
		.amdhsa_system_sgpr_workgroup_info 0
		.amdhsa_system_vgpr_workitem_id 0
		.amdhsa_next_free_vgpr 1
		.amdhsa_next_free_sgpr 0
		.amdhsa_accum_offset 4
		.amdhsa_reserve_vcc 0
		.amdhsa_reserve_flat_scratch 0
		.amdhsa_float_round_mode_32 0
		.amdhsa_float_round_mode_16_64 0
		.amdhsa_float_denorm_mode_32 3
		.amdhsa_float_denorm_mode_16_64 3
		.amdhsa_dx10_clamp 1
		.amdhsa_ieee_mode 1
		.amdhsa_fp16_overflow 0
		.amdhsa_tg_split 0
		.amdhsa_exception_fp_ieee_invalid_op 0
		.amdhsa_exception_fp_denorm_src 0
		.amdhsa_exception_fp_ieee_div_zero 0
		.amdhsa_exception_fp_ieee_overflow 0
		.amdhsa_exception_fp_ieee_underflow 0
		.amdhsa_exception_fp_ieee_inexact 0
		.amdhsa_exception_int_div_zero 0
	.end_amdhsa_kernel
	.section	.text._ZN7rocprim17ROCPRIM_400000_NS6detail17trampoline_kernelINS0_14default_configENS1_20scan_config_selectorIiEEZZNS1_9scan_implILNS1_25lookback_scan_determinismE0ELb0ELb0ES3_N6thrust23THRUST_200600_302600_NS6detail15normal_iteratorINS9_10device_ptrIiEEEENS9_16discard_iteratorINS9_11use_defaultEEEiNS9_4plusIvEEiEEDaPvRmT3_T4_T5_mT6_P12ihipStream_tbENKUlT_T0_E_clISt17integral_constantIbLb1EESW_IbLb0EEEEDaSS_ST_EUlSS_E_NS1_11comp_targetILNS1_3genE9ELNS1_11target_archE1100ELNS1_3gpuE3ELNS1_3repE0EEENS1_30default_config_static_selectorELNS0_4arch9wavefront6targetE1EEEvT1_,"axG",@progbits,_ZN7rocprim17ROCPRIM_400000_NS6detail17trampoline_kernelINS0_14default_configENS1_20scan_config_selectorIiEEZZNS1_9scan_implILNS1_25lookback_scan_determinismE0ELb0ELb0ES3_N6thrust23THRUST_200600_302600_NS6detail15normal_iteratorINS9_10device_ptrIiEEEENS9_16discard_iteratorINS9_11use_defaultEEEiNS9_4plusIvEEiEEDaPvRmT3_T4_T5_mT6_P12ihipStream_tbENKUlT_T0_E_clISt17integral_constantIbLb1EESW_IbLb0EEEEDaSS_ST_EUlSS_E_NS1_11comp_targetILNS1_3genE9ELNS1_11target_archE1100ELNS1_3gpuE3ELNS1_3repE0EEENS1_30default_config_static_selectorELNS0_4arch9wavefront6targetE1EEEvT1_,comdat
.Lfunc_end5769:
	.size	_ZN7rocprim17ROCPRIM_400000_NS6detail17trampoline_kernelINS0_14default_configENS1_20scan_config_selectorIiEEZZNS1_9scan_implILNS1_25lookback_scan_determinismE0ELb0ELb0ES3_N6thrust23THRUST_200600_302600_NS6detail15normal_iteratorINS9_10device_ptrIiEEEENS9_16discard_iteratorINS9_11use_defaultEEEiNS9_4plusIvEEiEEDaPvRmT3_T4_T5_mT6_P12ihipStream_tbENKUlT_T0_E_clISt17integral_constantIbLb1EESW_IbLb0EEEEDaSS_ST_EUlSS_E_NS1_11comp_targetILNS1_3genE9ELNS1_11target_archE1100ELNS1_3gpuE3ELNS1_3repE0EEENS1_30default_config_static_selectorELNS0_4arch9wavefront6targetE1EEEvT1_, .Lfunc_end5769-_ZN7rocprim17ROCPRIM_400000_NS6detail17trampoline_kernelINS0_14default_configENS1_20scan_config_selectorIiEEZZNS1_9scan_implILNS1_25lookback_scan_determinismE0ELb0ELb0ES3_N6thrust23THRUST_200600_302600_NS6detail15normal_iteratorINS9_10device_ptrIiEEEENS9_16discard_iteratorINS9_11use_defaultEEEiNS9_4plusIvEEiEEDaPvRmT3_T4_T5_mT6_P12ihipStream_tbENKUlT_T0_E_clISt17integral_constantIbLb1EESW_IbLb0EEEEDaSS_ST_EUlSS_E_NS1_11comp_targetILNS1_3genE9ELNS1_11target_archE1100ELNS1_3gpuE3ELNS1_3repE0EEENS1_30default_config_static_selectorELNS0_4arch9wavefront6targetE1EEEvT1_
                                        ; -- End function
	.section	.AMDGPU.csdata,"",@progbits
; Kernel info:
; codeLenInByte = 0
; NumSgprs: 4
; NumVgprs: 0
; NumAgprs: 0
; TotalNumVgprs: 0
; ScratchSize: 0
; MemoryBound: 0
; FloatMode: 240
; IeeeMode: 1
; LDSByteSize: 0 bytes/workgroup (compile time only)
; SGPRBlocks: 0
; VGPRBlocks: 0
; NumSGPRsForWavesPerEU: 4
; NumVGPRsForWavesPerEU: 1
; AccumOffset: 4
; Occupancy: 8
; WaveLimiterHint : 0
; COMPUTE_PGM_RSRC2:SCRATCH_EN: 0
; COMPUTE_PGM_RSRC2:USER_SGPR: 6
; COMPUTE_PGM_RSRC2:TRAP_HANDLER: 0
; COMPUTE_PGM_RSRC2:TGID_X_EN: 1
; COMPUTE_PGM_RSRC2:TGID_Y_EN: 0
; COMPUTE_PGM_RSRC2:TGID_Z_EN: 0
; COMPUTE_PGM_RSRC2:TIDIG_COMP_CNT: 0
; COMPUTE_PGM_RSRC3_GFX90A:ACCUM_OFFSET: 0
; COMPUTE_PGM_RSRC3_GFX90A:TG_SPLIT: 0
	.section	.text._ZN7rocprim17ROCPRIM_400000_NS6detail17trampoline_kernelINS0_14default_configENS1_20scan_config_selectorIiEEZZNS1_9scan_implILNS1_25lookback_scan_determinismE0ELb0ELb0ES3_N6thrust23THRUST_200600_302600_NS6detail15normal_iteratorINS9_10device_ptrIiEEEENS9_16discard_iteratorINS9_11use_defaultEEEiNS9_4plusIvEEiEEDaPvRmT3_T4_T5_mT6_P12ihipStream_tbENKUlT_T0_E_clISt17integral_constantIbLb1EESW_IbLb0EEEEDaSS_ST_EUlSS_E_NS1_11comp_targetILNS1_3genE8ELNS1_11target_archE1030ELNS1_3gpuE2ELNS1_3repE0EEENS1_30default_config_static_selectorELNS0_4arch9wavefront6targetE1EEEvT1_,"axG",@progbits,_ZN7rocprim17ROCPRIM_400000_NS6detail17trampoline_kernelINS0_14default_configENS1_20scan_config_selectorIiEEZZNS1_9scan_implILNS1_25lookback_scan_determinismE0ELb0ELb0ES3_N6thrust23THRUST_200600_302600_NS6detail15normal_iteratorINS9_10device_ptrIiEEEENS9_16discard_iteratorINS9_11use_defaultEEEiNS9_4plusIvEEiEEDaPvRmT3_T4_T5_mT6_P12ihipStream_tbENKUlT_T0_E_clISt17integral_constantIbLb1EESW_IbLb0EEEEDaSS_ST_EUlSS_E_NS1_11comp_targetILNS1_3genE8ELNS1_11target_archE1030ELNS1_3gpuE2ELNS1_3repE0EEENS1_30default_config_static_selectorELNS0_4arch9wavefront6targetE1EEEvT1_,comdat
	.protected	_ZN7rocprim17ROCPRIM_400000_NS6detail17trampoline_kernelINS0_14default_configENS1_20scan_config_selectorIiEEZZNS1_9scan_implILNS1_25lookback_scan_determinismE0ELb0ELb0ES3_N6thrust23THRUST_200600_302600_NS6detail15normal_iteratorINS9_10device_ptrIiEEEENS9_16discard_iteratorINS9_11use_defaultEEEiNS9_4plusIvEEiEEDaPvRmT3_T4_T5_mT6_P12ihipStream_tbENKUlT_T0_E_clISt17integral_constantIbLb1EESW_IbLb0EEEEDaSS_ST_EUlSS_E_NS1_11comp_targetILNS1_3genE8ELNS1_11target_archE1030ELNS1_3gpuE2ELNS1_3repE0EEENS1_30default_config_static_selectorELNS0_4arch9wavefront6targetE1EEEvT1_ ; -- Begin function _ZN7rocprim17ROCPRIM_400000_NS6detail17trampoline_kernelINS0_14default_configENS1_20scan_config_selectorIiEEZZNS1_9scan_implILNS1_25lookback_scan_determinismE0ELb0ELb0ES3_N6thrust23THRUST_200600_302600_NS6detail15normal_iteratorINS9_10device_ptrIiEEEENS9_16discard_iteratorINS9_11use_defaultEEEiNS9_4plusIvEEiEEDaPvRmT3_T4_T5_mT6_P12ihipStream_tbENKUlT_T0_E_clISt17integral_constantIbLb1EESW_IbLb0EEEEDaSS_ST_EUlSS_E_NS1_11comp_targetILNS1_3genE8ELNS1_11target_archE1030ELNS1_3gpuE2ELNS1_3repE0EEENS1_30default_config_static_selectorELNS0_4arch9wavefront6targetE1EEEvT1_
	.globl	_ZN7rocprim17ROCPRIM_400000_NS6detail17trampoline_kernelINS0_14default_configENS1_20scan_config_selectorIiEEZZNS1_9scan_implILNS1_25lookback_scan_determinismE0ELb0ELb0ES3_N6thrust23THRUST_200600_302600_NS6detail15normal_iteratorINS9_10device_ptrIiEEEENS9_16discard_iteratorINS9_11use_defaultEEEiNS9_4plusIvEEiEEDaPvRmT3_T4_T5_mT6_P12ihipStream_tbENKUlT_T0_E_clISt17integral_constantIbLb1EESW_IbLb0EEEEDaSS_ST_EUlSS_E_NS1_11comp_targetILNS1_3genE8ELNS1_11target_archE1030ELNS1_3gpuE2ELNS1_3repE0EEENS1_30default_config_static_selectorELNS0_4arch9wavefront6targetE1EEEvT1_
	.p2align	8
	.type	_ZN7rocprim17ROCPRIM_400000_NS6detail17trampoline_kernelINS0_14default_configENS1_20scan_config_selectorIiEEZZNS1_9scan_implILNS1_25lookback_scan_determinismE0ELb0ELb0ES3_N6thrust23THRUST_200600_302600_NS6detail15normal_iteratorINS9_10device_ptrIiEEEENS9_16discard_iteratorINS9_11use_defaultEEEiNS9_4plusIvEEiEEDaPvRmT3_T4_T5_mT6_P12ihipStream_tbENKUlT_T0_E_clISt17integral_constantIbLb1EESW_IbLb0EEEEDaSS_ST_EUlSS_E_NS1_11comp_targetILNS1_3genE8ELNS1_11target_archE1030ELNS1_3gpuE2ELNS1_3repE0EEENS1_30default_config_static_selectorELNS0_4arch9wavefront6targetE1EEEvT1_,@function
_ZN7rocprim17ROCPRIM_400000_NS6detail17trampoline_kernelINS0_14default_configENS1_20scan_config_selectorIiEEZZNS1_9scan_implILNS1_25lookback_scan_determinismE0ELb0ELb0ES3_N6thrust23THRUST_200600_302600_NS6detail15normal_iteratorINS9_10device_ptrIiEEEENS9_16discard_iteratorINS9_11use_defaultEEEiNS9_4plusIvEEiEEDaPvRmT3_T4_T5_mT6_P12ihipStream_tbENKUlT_T0_E_clISt17integral_constantIbLb1EESW_IbLb0EEEEDaSS_ST_EUlSS_E_NS1_11comp_targetILNS1_3genE8ELNS1_11target_archE1030ELNS1_3gpuE2ELNS1_3repE0EEENS1_30default_config_static_selectorELNS0_4arch9wavefront6targetE1EEEvT1_: ; @_ZN7rocprim17ROCPRIM_400000_NS6detail17trampoline_kernelINS0_14default_configENS1_20scan_config_selectorIiEEZZNS1_9scan_implILNS1_25lookback_scan_determinismE0ELb0ELb0ES3_N6thrust23THRUST_200600_302600_NS6detail15normal_iteratorINS9_10device_ptrIiEEEENS9_16discard_iteratorINS9_11use_defaultEEEiNS9_4plusIvEEiEEDaPvRmT3_T4_T5_mT6_P12ihipStream_tbENKUlT_T0_E_clISt17integral_constantIbLb1EESW_IbLb0EEEEDaSS_ST_EUlSS_E_NS1_11comp_targetILNS1_3genE8ELNS1_11target_archE1030ELNS1_3gpuE2ELNS1_3repE0EEENS1_30default_config_static_selectorELNS0_4arch9wavefront6targetE1EEEvT1_
; %bb.0:
	.section	.rodata,"a",@progbits
	.p2align	6, 0x0
	.amdhsa_kernel _ZN7rocprim17ROCPRIM_400000_NS6detail17trampoline_kernelINS0_14default_configENS1_20scan_config_selectorIiEEZZNS1_9scan_implILNS1_25lookback_scan_determinismE0ELb0ELb0ES3_N6thrust23THRUST_200600_302600_NS6detail15normal_iteratorINS9_10device_ptrIiEEEENS9_16discard_iteratorINS9_11use_defaultEEEiNS9_4plusIvEEiEEDaPvRmT3_T4_T5_mT6_P12ihipStream_tbENKUlT_T0_E_clISt17integral_constantIbLb1EESW_IbLb0EEEEDaSS_ST_EUlSS_E_NS1_11comp_targetILNS1_3genE8ELNS1_11target_archE1030ELNS1_3gpuE2ELNS1_3repE0EEENS1_30default_config_static_selectorELNS0_4arch9wavefront6targetE1EEEvT1_
		.amdhsa_group_segment_fixed_size 0
		.amdhsa_private_segment_fixed_size 0
		.amdhsa_kernarg_size 104
		.amdhsa_user_sgpr_count 6
		.amdhsa_user_sgpr_private_segment_buffer 1
		.amdhsa_user_sgpr_dispatch_ptr 0
		.amdhsa_user_sgpr_queue_ptr 0
		.amdhsa_user_sgpr_kernarg_segment_ptr 1
		.amdhsa_user_sgpr_dispatch_id 0
		.amdhsa_user_sgpr_flat_scratch_init 0
		.amdhsa_user_sgpr_kernarg_preload_length 0
		.amdhsa_user_sgpr_kernarg_preload_offset 0
		.amdhsa_user_sgpr_private_segment_size 0
		.amdhsa_uses_dynamic_stack 0
		.amdhsa_system_sgpr_private_segment_wavefront_offset 0
		.amdhsa_system_sgpr_workgroup_id_x 1
		.amdhsa_system_sgpr_workgroup_id_y 0
		.amdhsa_system_sgpr_workgroup_id_z 0
		.amdhsa_system_sgpr_workgroup_info 0
		.amdhsa_system_vgpr_workitem_id 0
		.amdhsa_next_free_vgpr 1
		.amdhsa_next_free_sgpr 0
		.amdhsa_accum_offset 4
		.amdhsa_reserve_vcc 0
		.amdhsa_reserve_flat_scratch 0
		.amdhsa_float_round_mode_32 0
		.amdhsa_float_round_mode_16_64 0
		.amdhsa_float_denorm_mode_32 3
		.amdhsa_float_denorm_mode_16_64 3
		.amdhsa_dx10_clamp 1
		.amdhsa_ieee_mode 1
		.amdhsa_fp16_overflow 0
		.amdhsa_tg_split 0
		.amdhsa_exception_fp_ieee_invalid_op 0
		.amdhsa_exception_fp_denorm_src 0
		.amdhsa_exception_fp_ieee_div_zero 0
		.amdhsa_exception_fp_ieee_overflow 0
		.amdhsa_exception_fp_ieee_underflow 0
		.amdhsa_exception_fp_ieee_inexact 0
		.amdhsa_exception_int_div_zero 0
	.end_amdhsa_kernel
	.section	.text._ZN7rocprim17ROCPRIM_400000_NS6detail17trampoline_kernelINS0_14default_configENS1_20scan_config_selectorIiEEZZNS1_9scan_implILNS1_25lookback_scan_determinismE0ELb0ELb0ES3_N6thrust23THRUST_200600_302600_NS6detail15normal_iteratorINS9_10device_ptrIiEEEENS9_16discard_iteratorINS9_11use_defaultEEEiNS9_4plusIvEEiEEDaPvRmT3_T4_T5_mT6_P12ihipStream_tbENKUlT_T0_E_clISt17integral_constantIbLb1EESW_IbLb0EEEEDaSS_ST_EUlSS_E_NS1_11comp_targetILNS1_3genE8ELNS1_11target_archE1030ELNS1_3gpuE2ELNS1_3repE0EEENS1_30default_config_static_selectorELNS0_4arch9wavefront6targetE1EEEvT1_,"axG",@progbits,_ZN7rocprim17ROCPRIM_400000_NS6detail17trampoline_kernelINS0_14default_configENS1_20scan_config_selectorIiEEZZNS1_9scan_implILNS1_25lookback_scan_determinismE0ELb0ELb0ES3_N6thrust23THRUST_200600_302600_NS6detail15normal_iteratorINS9_10device_ptrIiEEEENS9_16discard_iteratorINS9_11use_defaultEEEiNS9_4plusIvEEiEEDaPvRmT3_T4_T5_mT6_P12ihipStream_tbENKUlT_T0_E_clISt17integral_constantIbLb1EESW_IbLb0EEEEDaSS_ST_EUlSS_E_NS1_11comp_targetILNS1_3genE8ELNS1_11target_archE1030ELNS1_3gpuE2ELNS1_3repE0EEENS1_30default_config_static_selectorELNS0_4arch9wavefront6targetE1EEEvT1_,comdat
.Lfunc_end5770:
	.size	_ZN7rocprim17ROCPRIM_400000_NS6detail17trampoline_kernelINS0_14default_configENS1_20scan_config_selectorIiEEZZNS1_9scan_implILNS1_25lookback_scan_determinismE0ELb0ELb0ES3_N6thrust23THRUST_200600_302600_NS6detail15normal_iteratorINS9_10device_ptrIiEEEENS9_16discard_iteratorINS9_11use_defaultEEEiNS9_4plusIvEEiEEDaPvRmT3_T4_T5_mT6_P12ihipStream_tbENKUlT_T0_E_clISt17integral_constantIbLb1EESW_IbLb0EEEEDaSS_ST_EUlSS_E_NS1_11comp_targetILNS1_3genE8ELNS1_11target_archE1030ELNS1_3gpuE2ELNS1_3repE0EEENS1_30default_config_static_selectorELNS0_4arch9wavefront6targetE1EEEvT1_, .Lfunc_end5770-_ZN7rocprim17ROCPRIM_400000_NS6detail17trampoline_kernelINS0_14default_configENS1_20scan_config_selectorIiEEZZNS1_9scan_implILNS1_25lookback_scan_determinismE0ELb0ELb0ES3_N6thrust23THRUST_200600_302600_NS6detail15normal_iteratorINS9_10device_ptrIiEEEENS9_16discard_iteratorINS9_11use_defaultEEEiNS9_4plusIvEEiEEDaPvRmT3_T4_T5_mT6_P12ihipStream_tbENKUlT_T0_E_clISt17integral_constantIbLb1EESW_IbLb0EEEEDaSS_ST_EUlSS_E_NS1_11comp_targetILNS1_3genE8ELNS1_11target_archE1030ELNS1_3gpuE2ELNS1_3repE0EEENS1_30default_config_static_selectorELNS0_4arch9wavefront6targetE1EEEvT1_
                                        ; -- End function
	.section	.AMDGPU.csdata,"",@progbits
; Kernel info:
; codeLenInByte = 0
; NumSgprs: 4
; NumVgprs: 0
; NumAgprs: 0
; TotalNumVgprs: 0
; ScratchSize: 0
; MemoryBound: 0
; FloatMode: 240
; IeeeMode: 1
; LDSByteSize: 0 bytes/workgroup (compile time only)
; SGPRBlocks: 0
; VGPRBlocks: 0
; NumSGPRsForWavesPerEU: 4
; NumVGPRsForWavesPerEU: 1
; AccumOffset: 4
; Occupancy: 8
; WaveLimiterHint : 0
; COMPUTE_PGM_RSRC2:SCRATCH_EN: 0
; COMPUTE_PGM_RSRC2:USER_SGPR: 6
; COMPUTE_PGM_RSRC2:TRAP_HANDLER: 0
; COMPUTE_PGM_RSRC2:TGID_X_EN: 1
; COMPUTE_PGM_RSRC2:TGID_Y_EN: 0
; COMPUTE_PGM_RSRC2:TGID_Z_EN: 0
; COMPUTE_PGM_RSRC2:TIDIG_COMP_CNT: 0
; COMPUTE_PGM_RSRC3_GFX90A:ACCUM_OFFSET: 0
; COMPUTE_PGM_RSRC3_GFX90A:TG_SPLIT: 0
	.section	.text._ZN7rocprim17ROCPRIM_400000_NS6detail17trampoline_kernelINS0_14default_configENS1_20scan_config_selectorIiEEZZNS1_9scan_implILNS1_25lookback_scan_determinismE0ELb0ELb0ES3_N6thrust23THRUST_200600_302600_NS6detail15normal_iteratorINS9_10device_ptrIiEEEENS9_16discard_iteratorINS9_11use_defaultEEEiNS9_4plusIvEEiEEDaPvRmT3_T4_T5_mT6_P12ihipStream_tbENKUlT_T0_E_clISt17integral_constantIbLb1EESW_IbLb0EEEEDaSS_ST_EUlSS_E0_NS1_11comp_targetILNS1_3genE0ELNS1_11target_archE4294967295ELNS1_3gpuE0ELNS1_3repE0EEENS1_30default_config_static_selectorELNS0_4arch9wavefront6targetE1EEEvT1_,"axG",@progbits,_ZN7rocprim17ROCPRIM_400000_NS6detail17trampoline_kernelINS0_14default_configENS1_20scan_config_selectorIiEEZZNS1_9scan_implILNS1_25lookback_scan_determinismE0ELb0ELb0ES3_N6thrust23THRUST_200600_302600_NS6detail15normal_iteratorINS9_10device_ptrIiEEEENS9_16discard_iteratorINS9_11use_defaultEEEiNS9_4plusIvEEiEEDaPvRmT3_T4_T5_mT6_P12ihipStream_tbENKUlT_T0_E_clISt17integral_constantIbLb1EESW_IbLb0EEEEDaSS_ST_EUlSS_E0_NS1_11comp_targetILNS1_3genE0ELNS1_11target_archE4294967295ELNS1_3gpuE0ELNS1_3repE0EEENS1_30default_config_static_selectorELNS0_4arch9wavefront6targetE1EEEvT1_,comdat
	.protected	_ZN7rocprim17ROCPRIM_400000_NS6detail17trampoline_kernelINS0_14default_configENS1_20scan_config_selectorIiEEZZNS1_9scan_implILNS1_25lookback_scan_determinismE0ELb0ELb0ES3_N6thrust23THRUST_200600_302600_NS6detail15normal_iteratorINS9_10device_ptrIiEEEENS9_16discard_iteratorINS9_11use_defaultEEEiNS9_4plusIvEEiEEDaPvRmT3_T4_T5_mT6_P12ihipStream_tbENKUlT_T0_E_clISt17integral_constantIbLb1EESW_IbLb0EEEEDaSS_ST_EUlSS_E0_NS1_11comp_targetILNS1_3genE0ELNS1_11target_archE4294967295ELNS1_3gpuE0ELNS1_3repE0EEENS1_30default_config_static_selectorELNS0_4arch9wavefront6targetE1EEEvT1_ ; -- Begin function _ZN7rocprim17ROCPRIM_400000_NS6detail17trampoline_kernelINS0_14default_configENS1_20scan_config_selectorIiEEZZNS1_9scan_implILNS1_25lookback_scan_determinismE0ELb0ELb0ES3_N6thrust23THRUST_200600_302600_NS6detail15normal_iteratorINS9_10device_ptrIiEEEENS9_16discard_iteratorINS9_11use_defaultEEEiNS9_4plusIvEEiEEDaPvRmT3_T4_T5_mT6_P12ihipStream_tbENKUlT_T0_E_clISt17integral_constantIbLb1EESW_IbLb0EEEEDaSS_ST_EUlSS_E0_NS1_11comp_targetILNS1_3genE0ELNS1_11target_archE4294967295ELNS1_3gpuE0ELNS1_3repE0EEENS1_30default_config_static_selectorELNS0_4arch9wavefront6targetE1EEEvT1_
	.globl	_ZN7rocprim17ROCPRIM_400000_NS6detail17trampoline_kernelINS0_14default_configENS1_20scan_config_selectorIiEEZZNS1_9scan_implILNS1_25lookback_scan_determinismE0ELb0ELb0ES3_N6thrust23THRUST_200600_302600_NS6detail15normal_iteratorINS9_10device_ptrIiEEEENS9_16discard_iteratorINS9_11use_defaultEEEiNS9_4plusIvEEiEEDaPvRmT3_T4_T5_mT6_P12ihipStream_tbENKUlT_T0_E_clISt17integral_constantIbLb1EESW_IbLb0EEEEDaSS_ST_EUlSS_E0_NS1_11comp_targetILNS1_3genE0ELNS1_11target_archE4294967295ELNS1_3gpuE0ELNS1_3repE0EEENS1_30default_config_static_selectorELNS0_4arch9wavefront6targetE1EEEvT1_
	.p2align	8
	.type	_ZN7rocprim17ROCPRIM_400000_NS6detail17trampoline_kernelINS0_14default_configENS1_20scan_config_selectorIiEEZZNS1_9scan_implILNS1_25lookback_scan_determinismE0ELb0ELb0ES3_N6thrust23THRUST_200600_302600_NS6detail15normal_iteratorINS9_10device_ptrIiEEEENS9_16discard_iteratorINS9_11use_defaultEEEiNS9_4plusIvEEiEEDaPvRmT3_T4_T5_mT6_P12ihipStream_tbENKUlT_T0_E_clISt17integral_constantIbLb1EESW_IbLb0EEEEDaSS_ST_EUlSS_E0_NS1_11comp_targetILNS1_3genE0ELNS1_11target_archE4294967295ELNS1_3gpuE0ELNS1_3repE0EEENS1_30default_config_static_selectorELNS0_4arch9wavefront6targetE1EEEvT1_,@function
_ZN7rocprim17ROCPRIM_400000_NS6detail17trampoline_kernelINS0_14default_configENS1_20scan_config_selectorIiEEZZNS1_9scan_implILNS1_25lookback_scan_determinismE0ELb0ELb0ES3_N6thrust23THRUST_200600_302600_NS6detail15normal_iteratorINS9_10device_ptrIiEEEENS9_16discard_iteratorINS9_11use_defaultEEEiNS9_4plusIvEEiEEDaPvRmT3_T4_T5_mT6_P12ihipStream_tbENKUlT_T0_E_clISt17integral_constantIbLb1EESW_IbLb0EEEEDaSS_ST_EUlSS_E0_NS1_11comp_targetILNS1_3genE0ELNS1_11target_archE4294967295ELNS1_3gpuE0ELNS1_3repE0EEENS1_30default_config_static_selectorELNS0_4arch9wavefront6targetE1EEEvT1_: ; @_ZN7rocprim17ROCPRIM_400000_NS6detail17trampoline_kernelINS0_14default_configENS1_20scan_config_selectorIiEEZZNS1_9scan_implILNS1_25lookback_scan_determinismE0ELb0ELb0ES3_N6thrust23THRUST_200600_302600_NS6detail15normal_iteratorINS9_10device_ptrIiEEEENS9_16discard_iteratorINS9_11use_defaultEEEiNS9_4plusIvEEiEEDaPvRmT3_T4_T5_mT6_P12ihipStream_tbENKUlT_T0_E_clISt17integral_constantIbLb1EESW_IbLb0EEEEDaSS_ST_EUlSS_E0_NS1_11comp_targetILNS1_3genE0ELNS1_11target_archE4294967295ELNS1_3gpuE0ELNS1_3repE0EEENS1_30default_config_static_selectorELNS0_4arch9wavefront6targetE1EEEvT1_
; %bb.0:
	.section	.rodata,"a",@progbits
	.p2align	6, 0x0
	.amdhsa_kernel _ZN7rocprim17ROCPRIM_400000_NS6detail17trampoline_kernelINS0_14default_configENS1_20scan_config_selectorIiEEZZNS1_9scan_implILNS1_25lookback_scan_determinismE0ELb0ELb0ES3_N6thrust23THRUST_200600_302600_NS6detail15normal_iteratorINS9_10device_ptrIiEEEENS9_16discard_iteratorINS9_11use_defaultEEEiNS9_4plusIvEEiEEDaPvRmT3_T4_T5_mT6_P12ihipStream_tbENKUlT_T0_E_clISt17integral_constantIbLb1EESW_IbLb0EEEEDaSS_ST_EUlSS_E0_NS1_11comp_targetILNS1_3genE0ELNS1_11target_archE4294967295ELNS1_3gpuE0ELNS1_3repE0EEENS1_30default_config_static_selectorELNS0_4arch9wavefront6targetE1EEEvT1_
		.amdhsa_group_segment_fixed_size 0
		.amdhsa_private_segment_fixed_size 0
		.amdhsa_kernarg_size 40
		.amdhsa_user_sgpr_count 6
		.amdhsa_user_sgpr_private_segment_buffer 1
		.amdhsa_user_sgpr_dispatch_ptr 0
		.amdhsa_user_sgpr_queue_ptr 0
		.amdhsa_user_sgpr_kernarg_segment_ptr 1
		.amdhsa_user_sgpr_dispatch_id 0
		.amdhsa_user_sgpr_flat_scratch_init 0
		.amdhsa_user_sgpr_kernarg_preload_length 0
		.amdhsa_user_sgpr_kernarg_preload_offset 0
		.amdhsa_user_sgpr_private_segment_size 0
		.amdhsa_uses_dynamic_stack 0
		.amdhsa_system_sgpr_private_segment_wavefront_offset 0
		.amdhsa_system_sgpr_workgroup_id_x 1
		.amdhsa_system_sgpr_workgroup_id_y 0
		.amdhsa_system_sgpr_workgroup_id_z 0
		.amdhsa_system_sgpr_workgroup_info 0
		.amdhsa_system_vgpr_workitem_id 0
		.amdhsa_next_free_vgpr 1
		.amdhsa_next_free_sgpr 0
		.amdhsa_accum_offset 4
		.amdhsa_reserve_vcc 0
		.amdhsa_reserve_flat_scratch 0
		.amdhsa_float_round_mode_32 0
		.amdhsa_float_round_mode_16_64 0
		.amdhsa_float_denorm_mode_32 3
		.amdhsa_float_denorm_mode_16_64 3
		.amdhsa_dx10_clamp 1
		.amdhsa_ieee_mode 1
		.amdhsa_fp16_overflow 0
		.amdhsa_tg_split 0
		.amdhsa_exception_fp_ieee_invalid_op 0
		.amdhsa_exception_fp_denorm_src 0
		.amdhsa_exception_fp_ieee_div_zero 0
		.amdhsa_exception_fp_ieee_overflow 0
		.amdhsa_exception_fp_ieee_underflow 0
		.amdhsa_exception_fp_ieee_inexact 0
		.amdhsa_exception_int_div_zero 0
	.end_amdhsa_kernel
	.section	.text._ZN7rocprim17ROCPRIM_400000_NS6detail17trampoline_kernelINS0_14default_configENS1_20scan_config_selectorIiEEZZNS1_9scan_implILNS1_25lookback_scan_determinismE0ELb0ELb0ES3_N6thrust23THRUST_200600_302600_NS6detail15normal_iteratorINS9_10device_ptrIiEEEENS9_16discard_iteratorINS9_11use_defaultEEEiNS9_4plusIvEEiEEDaPvRmT3_T4_T5_mT6_P12ihipStream_tbENKUlT_T0_E_clISt17integral_constantIbLb1EESW_IbLb0EEEEDaSS_ST_EUlSS_E0_NS1_11comp_targetILNS1_3genE0ELNS1_11target_archE4294967295ELNS1_3gpuE0ELNS1_3repE0EEENS1_30default_config_static_selectorELNS0_4arch9wavefront6targetE1EEEvT1_,"axG",@progbits,_ZN7rocprim17ROCPRIM_400000_NS6detail17trampoline_kernelINS0_14default_configENS1_20scan_config_selectorIiEEZZNS1_9scan_implILNS1_25lookback_scan_determinismE0ELb0ELb0ES3_N6thrust23THRUST_200600_302600_NS6detail15normal_iteratorINS9_10device_ptrIiEEEENS9_16discard_iteratorINS9_11use_defaultEEEiNS9_4plusIvEEiEEDaPvRmT3_T4_T5_mT6_P12ihipStream_tbENKUlT_T0_E_clISt17integral_constantIbLb1EESW_IbLb0EEEEDaSS_ST_EUlSS_E0_NS1_11comp_targetILNS1_3genE0ELNS1_11target_archE4294967295ELNS1_3gpuE0ELNS1_3repE0EEENS1_30default_config_static_selectorELNS0_4arch9wavefront6targetE1EEEvT1_,comdat
.Lfunc_end5771:
	.size	_ZN7rocprim17ROCPRIM_400000_NS6detail17trampoline_kernelINS0_14default_configENS1_20scan_config_selectorIiEEZZNS1_9scan_implILNS1_25lookback_scan_determinismE0ELb0ELb0ES3_N6thrust23THRUST_200600_302600_NS6detail15normal_iteratorINS9_10device_ptrIiEEEENS9_16discard_iteratorINS9_11use_defaultEEEiNS9_4plusIvEEiEEDaPvRmT3_T4_T5_mT6_P12ihipStream_tbENKUlT_T0_E_clISt17integral_constantIbLb1EESW_IbLb0EEEEDaSS_ST_EUlSS_E0_NS1_11comp_targetILNS1_3genE0ELNS1_11target_archE4294967295ELNS1_3gpuE0ELNS1_3repE0EEENS1_30default_config_static_selectorELNS0_4arch9wavefront6targetE1EEEvT1_, .Lfunc_end5771-_ZN7rocprim17ROCPRIM_400000_NS6detail17trampoline_kernelINS0_14default_configENS1_20scan_config_selectorIiEEZZNS1_9scan_implILNS1_25lookback_scan_determinismE0ELb0ELb0ES3_N6thrust23THRUST_200600_302600_NS6detail15normal_iteratorINS9_10device_ptrIiEEEENS9_16discard_iteratorINS9_11use_defaultEEEiNS9_4plusIvEEiEEDaPvRmT3_T4_T5_mT6_P12ihipStream_tbENKUlT_T0_E_clISt17integral_constantIbLb1EESW_IbLb0EEEEDaSS_ST_EUlSS_E0_NS1_11comp_targetILNS1_3genE0ELNS1_11target_archE4294967295ELNS1_3gpuE0ELNS1_3repE0EEENS1_30default_config_static_selectorELNS0_4arch9wavefront6targetE1EEEvT1_
                                        ; -- End function
	.section	.AMDGPU.csdata,"",@progbits
; Kernel info:
; codeLenInByte = 0
; NumSgprs: 4
; NumVgprs: 0
; NumAgprs: 0
; TotalNumVgprs: 0
; ScratchSize: 0
; MemoryBound: 0
; FloatMode: 240
; IeeeMode: 1
; LDSByteSize: 0 bytes/workgroup (compile time only)
; SGPRBlocks: 0
; VGPRBlocks: 0
; NumSGPRsForWavesPerEU: 4
; NumVGPRsForWavesPerEU: 1
; AccumOffset: 4
; Occupancy: 8
; WaveLimiterHint : 0
; COMPUTE_PGM_RSRC2:SCRATCH_EN: 0
; COMPUTE_PGM_RSRC2:USER_SGPR: 6
; COMPUTE_PGM_RSRC2:TRAP_HANDLER: 0
; COMPUTE_PGM_RSRC2:TGID_X_EN: 1
; COMPUTE_PGM_RSRC2:TGID_Y_EN: 0
; COMPUTE_PGM_RSRC2:TGID_Z_EN: 0
; COMPUTE_PGM_RSRC2:TIDIG_COMP_CNT: 0
; COMPUTE_PGM_RSRC3_GFX90A:ACCUM_OFFSET: 0
; COMPUTE_PGM_RSRC3_GFX90A:TG_SPLIT: 0
	.section	.text._ZN7rocprim17ROCPRIM_400000_NS6detail17trampoline_kernelINS0_14default_configENS1_20scan_config_selectorIiEEZZNS1_9scan_implILNS1_25lookback_scan_determinismE0ELb0ELb0ES3_N6thrust23THRUST_200600_302600_NS6detail15normal_iteratorINS9_10device_ptrIiEEEENS9_16discard_iteratorINS9_11use_defaultEEEiNS9_4plusIvEEiEEDaPvRmT3_T4_T5_mT6_P12ihipStream_tbENKUlT_T0_E_clISt17integral_constantIbLb1EESW_IbLb0EEEEDaSS_ST_EUlSS_E0_NS1_11comp_targetILNS1_3genE5ELNS1_11target_archE942ELNS1_3gpuE9ELNS1_3repE0EEENS1_30default_config_static_selectorELNS0_4arch9wavefront6targetE1EEEvT1_,"axG",@progbits,_ZN7rocprim17ROCPRIM_400000_NS6detail17trampoline_kernelINS0_14default_configENS1_20scan_config_selectorIiEEZZNS1_9scan_implILNS1_25lookback_scan_determinismE0ELb0ELb0ES3_N6thrust23THRUST_200600_302600_NS6detail15normal_iteratorINS9_10device_ptrIiEEEENS9_16discard_iteratorINS9_11use_defaultEEEiNS9_4plusIvEEiEEDaPvRmT3_T4_T5_mT6_P12ihipStream_tbENKUlT_T0_E_clISt17integral_constantIbLb1EESW_IbLb0EEEEDaSS_ST_EUlSS_E0_NS1_11comp_targetILNS1_3genE5ELNS1_11target_archE942ELNS1_3gpuE9ELNS1_3repE0EEENS1_30default_config_static_selectorELNS0_4arch9wavefront6targetE1EEEvT1_,comdat
	.protected	_ZN7rocprim17ROCPRIM_400000_NS6detail17trampoline_kernelINS0_14default_configENS1_20scan_config_selectorIiEEZZNS1_9scan_implILNS1_25lookback_scan_determinismE0ELb0ELb0ES3_N6thrust23THRUST_200600_302600_NS6detail15normal_iteratorINS9_10device_ptrIiEEEENS9_16discard_iteratorINS9_11use_defaultEEEiNS9_4plusIvEEiEEDaPvRmT3_T4_T5_mT6_P12ihipStream_tbENKUlT_T0_E_clISt17integral_constantIbLb1EESW_IbLb0EEEEDaSS_ST_EUlSS_E0_NS1_11comp_targetILNS1_3genE5ELNS1_11target_archE942ELNS1_3gpuE9ELNS1_3repE0EEENS1_30default_config_static_selectorELNS0_4arch9wavefront6targetE1EEEvT1_ ; -- Begin function _ZN7rocprim17ROCPRIM_400000_NS6detail17trampoline_kernelINS0_14default_configENS1_20scan_config_selectorIiEEZZNS1_9scan_implILNS1_25lookback_scan_determinismE0ELb0ELb0ES3_N6thrust23THRUST_200600_302600_NS6detail15normal_iteratorINS9_10device_ptrIiEEEENS9_16discard_iteratorINS9_11use_defaultEEEiNS9_4plusIvEEiEEDaPvRmT3_T4_T5_mT6_P12ihipStream_tbENKUlT_T0_E_clISt17integral_constantIbLb1EESW_IbLb0EEEEDaSS_ST_EUlSS_E0_NS1_11comp_targetILNS1_3genE5ELNS1_11target_archE942ELNS1_3gpuE9ELNS1_3repE0EEENS1_30default_config_static_selectorELNS0_4arch9wavefront6targetE1EEEvT1_
	.globl	_ZN7rocprim17ROCPRIM_400000_NS6detail17trampoline_kernelINS0_14default_configENS1_20scan_config_selectorIiEEZZNS1_9scan_implILNS1_25lookback_scan_determinismE0ELb0ELb0ES3_N6thrust23THRUST_200600_302600_NS6detail15normal_iteratorINS9_10device_ptrIiEEEENS9_16discard_iteratorINS9_11use_defaultEEEiNS9_4plusIvEEiEEDaPvRmT3_T4_T5_mT6_P12ihipStream_tbENKUlT_T0_E_clISt17integral_constantIbLb1EESW_IbLb0EEEEDaSS_ST_EUlSS_E0_NS1_11comp_targetILNS1_3genE5ELNS1_11target_archE942ELNS1_3gpuE9ELNS1_3repE0EEENS1_30default_config_static_selectorELNS0_4arch9wavefront6targetE1EEEvT1_
	.p2align	8
	.type	_ZN7rocprim17ROCPRIM_400000_NS6detail17trampoline_kernelINS0_14default_configENS1_20scan_config_selectorIiEEZZNS1_9scan_implILNS1_25lookback_scan_determinismE0ELb0ELb0ES3_N6thrust23THRUST_200600_302600_NS6detail15normal_iteratorINS9_10device_ptrIiEEEENS9_16discard_iteratorINS9_11use_defaultEEEiNS9_4plusIvEEiEEDaPvRmT3_T4_T5_mT6_P12ihipStream_tbENKUlT_T0_E_clISt17integral_constantIbLb1EESW_IbLb0EEEEDaSS_ST_EUlSS_E0_NS1_11comp_targetILNS1_3genE5ELNS1_11target_archE942ELNS1_3gpuE9ELNS1_3repE0EEENS1_30default_config_static_selectorELNS0_4arch9wavefront6targetE1EEEvT1_,@function
_ZN7rocprim17ROCPRIM_400000_NS6detail17trampoline_kernelINS0_14default_configENS1_20scan_config_selectorIiEEZZNS1_9scan_implILNS1_25lookback_scan_determinismE0ELb0ELb0ES3_N6thrust23THRUST_200600_302600_NS6detail15normal_iteratorINS9_10device_ptrIiEEEENS9_16discard_iteratorINS9_11use_defaultEEEiNS9_4plusIvEEiEEDaPvRmT3_T4_T5_mT6_P12ihipStream_tbENKUlT_T0_E_clISt17integral_constantIbLb1EESW_IbLb0EEEEDaSS_ST_EUlSS_E0_NS1_11comp_targetILNS1_3genE5ELNS1_11target_archE942ELNS1_3gpuE9ELNS1_3repE0EEENS1_30default_config_static_selectorELNS0_4arch9wavefront6targetE1EEEvT1_: ; @_ZN7rocprim17ROCPRIM_400000_NS6detail17trampoline_kernelINS0_14default_configENS1_20scan_config_selectorIiEEZZNS1_9scan_implILNS1_25lookback_scan_determinismE0ELb0ELb0ES3_N6thrust23THRUST_200600_302600_NS6detail15normal_iteratorINS9_10device_ptrIiEEEENS9_16discard_iteratorINS9_11use_defaultEEEiNS9_4plusIvEEiEEDaPvRmT3_T4_T5_mT6_P12ihipStream_tbENKUlT_T0_E_clISt17integral_constantIbLb1EESW_IbLb0EEEEDaSS_ST_EUlSS_E0_NS1_11comp_targetILNS1_3genE5ELNS1_11target_archE942ELNS1_3gpuE9ELNS1_3repE0EEENS1_30default_config_static_selectorELNS0_4arch9wavefront6targetE1EEEvT1_
; %bb.0:
	.section	.rodata,"a",@progbits
	.p2align	6, 0x0
	.amdhsa_kernel _ZN7rocprim17ROCPRIM_400000_NS6detail17trampoline_kernelINS0_14default_configENS1_20scan_config_selectorIiEEZZNS1_9scan_implILNS1_25lookback_scan_determinismE0ELb0ELb0ES3_N6thrust23THRUST_200600_302600_NS6detail15normal_iteratorINS9_10device_ptrIiEEEENS9_16discard_iteratorINS9_11use_defaultEEEiNS9_4plusIvEEiEEDaPvRmT3_T4_T5_mT6_P12ihipStream_tbENKUlT_T0_E_clISt17integral_constantIbLb1EESW_IbLb0EEEEDaSS_ST_EUlSS_E0_NS1_11comp_targetILNS1_3genE5ELNS1_11target_archE942ELNS1_3gpuE9ELNS1_3repE0EEENS1_30default_config_static_selectorELNS0_4arch9wavefront6targetE1EEEvT1_
		.amdhsa_group_segment_fixed_size 0
		.amdhsa_private_segment_fixed_size 0
		.amdhsa_kernarg_size 40
		.amdhsa_user_sgpr_count 6
		.amdhsa_user_sgpr_private_segment_buffer 1
		.amdhsa_user_sgpr_dispatch_ptr 0
		.amdhsa_user_sgpr_queue_ptr 0
		.amdhsa_user_sgpr_kernarg_segment_ptr 1
		.amdhsa_user_sgpr_dispatch_id 0
		.amdhsa_user_sgpr_flat_scratch_init 0
		.amdhsa_user_sgpr_kernarg_preload_length 0
		.amdhsa_user_sgpr_kernarg_preload_offset 0
		.amdhsa_user_sgpr_private_segment_size 0
		.amdhsa_uses_dynamic_stack 0
		.amdhsa_system_sgpr_private_segment_wavefront_offset 0
		.amdhsa_system_sgpr_workgroup_id_x 1
		.amdhsa_system_sgpr_workgroup_id_y 0
		.amdhsa_system_sgpr_workgroup_id_z 0
		.amdhsa_system_sgpr_workgroup_info 0
		.amdhsa_system_vgpr_workitem_id 0
		.amdhsa_next_free_vgpr 1
		.amdhsa_next_free_sgpr 0
		.amdhsa_accum_offset 4
		.amdhsa_reserve_vcc 0
		.amdhsa_reserve_flat_scratch 0
		.amdhsa_float_round_mode_32 0
		.amdhsa_float_round_mode_16_64 0
		.amdhsa_float_denorm_mode_32 3
		.amdhsa_float_denorm_mode_16_64 3
		.amdhsa_dx10_clamp 1
		.amdhsa_ieee_mode 1
		.amdhsa_fp16_overflow 0
		.amdhsa_tg_split 0
		.amdhsa_exception_fp_ieee_invalid_op 0
		.amdhsa_exception_fp_denorm_src 0
		.amdhsa_exception_fp_ieee_div_zero 0
		.amdhsa_exception_fp_ieee_overflow 0
		.amdhsa_exception_fp_ieee_underflow 0
		.amdhsa_exception_fp_ieee_inexact 0
		.amdhsa_exception_int_div_zero 0
	.end_amdhsa_kernel
	.section	.text._ZN7rocprim17ROCPRIM_400000_NS6detail17trampoline_kernelINS0_14default_configENS1_20scan_config_selectorIiEEZZNS1_9scan_implILNS1_25lookback_scan_determinismE0ELb0ELb0ES3_N6thrust23THRUST_200600_302600_NS6detail15normal_iteratorINS9_10device_ptrIiEEEENS9_16discard_iteratorINS9_11use_defaultEEEiNS9_4plusIvEEiEEDaPvRmT3_T4_T5_mT6_P12ihipStream_tbENKUlT_T0_E_clISt17integral_constantIbLb1EESW_IbLb0EEEEDaSS_ST_EUlSS_E0_NS1_11comp_targetILNS1_3genE5ELNS1_11target_archE942ELNS1_3gpuE9ELNS1_3repE0EEENS1_30default_config_static_selectorELNS0_4arch9wavefront6targetE1EEEvT1_,"axG",@progbits,_ZN7rocprim17ROCPRIM_400000_NS6detail17trampoline_kernelINS0_14default_configENS1_20scan_config_selectorIiEEZZNS1_9scan_implILNS1_25lookback_scan_determinismE0ELb0ELb0ES3_N6thrust23THRUST_200600_302600_NS6detail15normal_iteratorINS9_10device_ptrIiEEEENS9_16discard_iteratorINS9_11use_defaultEEEiNS9_4plusIvEEiEEDaPvRmT3_T4_T5_mT6_P12ihipStream_tbENKUlT_T0_E_clISt17integral_constantIbLb1EESW_IbLb0EEEEDaSS_ST_EUlSS_E0_NS1_11comp_targetILNS1_3genE5ELNS1_11target_archE942ELNS1_3gpuE9ELNS1_3repE0EEENS1_30default_config_static_selectorELNS0_4arch9wavefront6targetE1EEEvT1_,comdat
.Lfunc_end5772:
	.size	_ZN7rocprim17ROCPRIM_400000_NS6detail17trampoline_kernelINS0_14default_configENS1_20scan_config_selectorIiEEZZNS1_9scan_implILNS1_25lookback_scan_determinismE0ELb0ELb0ES3_N6thrust23THRUST_200600_302600_NS6detail15normal_iteratorINS9_10device_ptrIiEEEENS9_16discard_iteratorINS9_11use_defaultEEEiNS9_4plusIvEEiEEDaPvRmT3_T4_T5_mT6_P12ihipStream_tbENKUlT_T0_E_clISt17integral_constantIbLb1EESW_IbLb0EEEEDaSS_ST_EUlSS_E0_NS1_11comp_targetILNS1_3genE5ELNS1_11target_archE942ELNS1_3gpuE9ELNS1_3repE0EEENS1_30default_config_static_selectorELNS0_4arch9wavefront6targetE1EEEvT1_, .Lfunc_end5772-_ZN7rocprim17ROCPRIM_400000_NS6detail17trampoline_kernelINS0_14default_configENS1_20scan_config_selectorIiEEZZNS1_9scan_implILNS1_25lookback_scan_determinismE0ELb0ELb0ES3_N6thrust23THRUST_200600_302600_NS6detail15normal_iteratorINS9_10device_ptrIiEEEENS9_16discard_iteratorINS9_11use_defaultEEEiNS9_4plusIvEEiEEDaPvRmT3_T4_T5_mT6_P12ihipStream_tbENKUlT_T0_E_clISt17integral_constantIbLb1EESW_IbLb0EEEEDaSS_ST_EUlSS_E0_NS1_11comp_targetILNS1_3genE5ELNS1_11target_archE942ELNS1_3gpuE9ELNS1_3repE0EEENS1_30default_config_static_selectorELNS0_4arch9wavefront6targetE1EEEvT1_
                                        ; -- End function
	.section	.AMDGPU.csdata,"",@progbits
; Kernel info:
; codeLenInByte = 0
; NumSgprs: 4
; NumVgprs: 0
; NumAgprs: 0
; TotalNumVgprs: 0
; ScratchSize: 0
; MemoryBound: 0
; FloatMode: 240
; IeeeMode: 1
; LDSByteSize: 0 bytes/workgroup (compile time only)
; SGPRBlocks: 0
; VGPRBlocks: 0
; NumSGPRsForWavesPerEU: 4
; NumVGPRsForWavesPerEU: 1
; AccumOffset: 4
; Occupancy: 8
; WaveLimiterHint : 0
; COMPUTE_PGM_RSRC2:SCRATCH_EN: 0
; COMPUTE_PGM_RSRC2:USER_SGPR: 6
; COMPUTE_PGM_RSRC2:TRAP_HANDLER: 0
; COMPUTE_PGM_RSRC2:TGID_X_EN: 1
; COMPUTE_PGM_RSRC2:TGID_Y_EN: 0
; COMPUTE_PGM_RSRC2:TGID_Z_EN: 0
; COMPUTE_PGM_RSRC2:TIDIG_COMP_CNT: 0
; COMPUTE_PGM_RSRC3_GFX90A:ACCUM_OFFSET: 0
; COMPUTE_PGM_RSRC3_GFX90A:TG_SPLIT: 0
	.section	.text._ZN7rocprim17ROCPRIM_400000_NS6detail17trampoline_kernelINS0_14default_configENS1_20scan_config_selectorIiEEZZNS1_9scan_implILNS1_25lookback_scan_determinismE0ELb0ELb0ES3_N6thrust23THRUST_200600_302600_NS6detail15normal_iteratorINS9_10device_ptrIiEEEENS9_16discard_iteratorINS9_11use_defaultEEEiNS9_4plusIvEEiEEDaPvRmT3_T4_T5_mT6_P12ihipStream_tbENKUlT_T0_E_clISt17integral_constantIbLb1EESW_IbLb0EEEEDaSS_ST_EUlSS_E0_NS1_11comp_targetILNS1_3genE4ELNS1_11target_archE910ELNS1_3gpuE8ELNS1_3repE0EEENS1_30default_config_static_selectorELNS0_4arch9wavefront6targetE1EEEvT1_,"axG",@progbits,_ZN7rocprim17ROCPRIM_400000_NS6detail17trampoline_kernelINS0_14default_configENS1_20scan_config_selectorIiEEZZNS1_9scan_implILNS1_25lookback_scan_determinismE0ELb0ELb0ES3_N6thrust23THRUST_200600_302600_NS6detail15normal_iteratorINS9_10device_ptrIiEEEENS9_16discard_iteratorINS9_11use_defaultEEEiNS9_4plusIvEEiEEDaPvRmT3_T4_T5_mT6_P12ihipStream_tbENKUlT_T0_E_clISt17integral_constantIbLb1EESW_IbLb0EEEEDaSS_ST_EUlSS_E0_NS1_11comp_targetILNS1_3genE4ELNS1_11target_archE910ELNS1_3gpuE8ELNS1_3repE0EEENS1_30default_config_static_selectorELNS0_4arch9wavefront6targetE1EEEvT1_,comdat
	.protected	_ZN7rocprim17ROCPRIM_400000_NS6detail17trampoline_kernelINS0_14default_configENS1_20scan_config_selectorIiEEZZNS1_9scan_implILNS1_25lookback_scan_determinismE0ELb0ELb0ES3_N6thrust23THRUST_200600_302600_NS6detail15normal_iteratorINS9_10device_ptrIiEEEENS9_16discard_iteratorINS9_11use_defaultEEEiNS9_4plusIvEEiEEDaPvRmT3_T4_T5_mT6_P12ihipStream_tbENKUlT_T0_E_clISt17integral_constantIbLb1EESW_IbLb0EEEEDaSS_ST_EUlSS_E0_NS1_11comp_targetILNS1_3genE4ELNS1_11target_archE910ELNS1_3gpuE8ELNS1_3repE0EEENS1_30default_config_static_selectorELNS0_4arch9wavefront6targetE1EEEvT1_ ; -- Begin function _ZN7rocprim17ROCPRIM_400000_NS6detail17trampoline_kernelINS0_14default_configENS1_20scan_config_selectorIiEEZZNS1_9scan_implILNS1_25lookback_scan_determinismE0ELb0ELb0ES3_N6thrust23THRUST_200600_302600_NS6detail15normal_iteratorINS9_10device_ptrIiEEEENS9_16discard_iteratorINS9_11use_defaultEEEiNS9_4plusIvEEiEEDaPvRmT3_T4_T5_mT6_P12ihipStream_tbENKUlT_T0_E_clISt17integral_constantIbLb1EESW_IbLb0EEEEDaSS_ST_EUlSS_E0_NS1_11comp_targetILNS1_3genE4ELNS1_11target_archE910ELNS1_3gpuE8ELNS1_3repE0EEENS1_30default_config_static_selectorELNS0_4arch9wavefront6targetE1EEEvT1_
	.globl	_ZN7rocprim17ROCPRIM_400000_NS6detail17trampoline_kernelINS0_14default_configENS1_20scan_config_selectorIiEEZZNS1_9scan_implILNS1_25lookback_scan_determinismE0ELb0ELb0ES3_N6thrust23THRUST_200600_302600_NS6detail15normal_iteratorINS9_10device_ptrIiEEEENS9_16discard_iteratorINS9_11use_defaultEEEiNS9_4plusIvEEiEEDaPvRmT3_T4_T5_mT6_P12ihipStream_tbENKUlT_T0_E_clISt17integral_constantIbLb1EESW_IbLb0EEEEDaSS_ST_EUlSS_E0_NS1_11comp_targetILNS1_3genE4ELNS1_11target_archE910ELNS1_3gpuE8ELNS1_3repE0EEENS1_30default_config_static_selectorELNS0_4arch9wavefront6targetE1EEEvT1_
	.p2align	8
	.type	_ZN7rocprim17ROCPRIM_400000_NS6detail17trampoline_kernelINS0_14default_configENS1_20scan_config_selectorIiEEZZNS1_9scan_implILNS1_25lookback_scan_determinismE0ELb0ELb0ES3_N6thrust23THRUST_200600_302600_NS6detail15normal_iteratorINS9_10device_ptrIiEEEENS9_16discard_iteratorINS9_11use_defaultEEEiNS9_4plusIvEEiEEDaPvRmT3_T4_T5_mT6_P12ihipStream_tbENKUlT_T0_E_clISt17integral_constantIbLb1EESW_IbLb0EEEEDaSS_ST_EUlSS_E0_NS1_11comp_targetILNS1_3genE4ELNS1_11target_archE910ELNS1_3gpuE8ELNS1_3repE0EEENS1_30default_config_static_selectorELNS0_4arch9wavefront6targetE1EEEvT1_,@function
_ZN7rocprim17ROCPRIM_400000_NS6detail17trampoline_kernelINS0_14default_configENS1_20scan_config_selectorIiEEZZNS1_9scan_implILNS1_25lookback_scan_determinismE0ELb0ELb0ES3_N6thrust23THRUST_200600_302600_NS6detail15normal_iteratorINS9_10device_ptrIiEEEENS9_16discard_iteratorINS9_11use_defaultEEEiNS9_4plusIvEEiEEDaPvRmT3_T4_T5_mT6_P12ihipStream_tbENKUlT_T0_E_clISt17integral_constantIbLb1EESW_IbLb0EEEEDaSS_ST_EUlSS_E0_NS1_11comp_targetILNS1_3genE4ELNS1_11target_archE910ELNS1_3gpuE8ELNS1_3repE0EEENS1_30default_config_static_selectorELNS0_4arch9wavefront6targetE1EEEvT1_: ; @_ZN7rocprim17ROCPRIM_400000_NS6detail17trampoline_kernelINS0_14default_configENS1_20scan_config_selectorIiEEZZNS1_9scan_implILNS1_25lookback_scan_determinismE0ELb0ELb0ES3_N6thrust23THRUST_200600_302600_NS6detail15normal_iteratorINS9_10device_ptrIiEEEENS9_16discard_iteratorINS9_11use_defaultEEEiNS9_4plusIvEEiEEDaPvRmT3_T4_T5_mT6_P12ihipStream_tbENKUlT_T0_E_clISt17integral_constantIbLb1EESW_IbLb0EEEEDaSS_ST_EUlSS_E0_NS1_11comp_targetILNS1_3genE4ELNS1_11target_archE910ELNS1_3gpuE8ELNS1_3repE0EEENS1_30default_config_static_selectorELNS0_4arch9wavefront6targetE1EEEvT1_
; %bb.0:
	s_load_dwordx4 s[0:3], s[4:5], 0x0
	v_lshlrev_b32_e32 v20, 2, v0
	s_waitcnt lgkmcnt(0)
	s_load_dword s3, s[0:1], 0x0
	v_cmp_gt_u32_e32 vcc, s2, v0
	s_waitcnt lgkmcnt(0)
	v_mov_b32_e32 v1, s3
	s_and_saveexec_b64 s[4:5], vcc
	s_cbranch_execz .LBB5773_2
; %bb.1:
	global_load_dword v1, v20, s[0:1]
.LBB5773_2:
	s_or_b64 exec, exec, s[4:5]
	v_or_b32_e32 v2, 0x80, v0
	v_cmp_gt_u32_e32 vcc, s2, v2
	v_mov_b32_e32 v2, s3
	s_and_saveexec_b64 s[4:5], vcc
	s_cbranch_execz .LBB5773_4
; %bb.3:
	global_load_dword v2, v20, s[0:1] offset:512
.LBB5773_4:
	s_or_b64 exec, exec, s[4:5]
	v_or_b32_e32 v3, 0x100, v0
	v_cmp_gt_u32_e32 vcc, s2, v3
	v_mov_b32_e32 v3, s3
	s_and_saveexec_b64 s[4:5], vcc
	s_cbranch_execz .LBB5773_6
; %bb.5:
	global_load_dword v3, v20, s[0:1] offset:1024
.LBB5773_6:
	;; [unrolled: 9-line block ×7, first 2 shown]
	s_or_b64 exec, exec, s[4:5]
	v_or_b32_e32 v10, 0x400, v0
	v_cmp_gt_u32_e32 vcc, s2, v10
	v_mov_b32_e32 v9, s3
	s_and_saveexec_b64 s[4:5], vcc
	s_cbranch_execz .LBB5773_18
; %bb.17:
	v_lshlrev_b32_e32 v9, 2, v10
	global_load_dword v9, v9, s[0:1]
.LBB5773_18:
	s_or_b64 exec, exec, s[4:5]
	v_or_b32_e32 v11, 0x480, v0
	v_cmp_gt_u32_e32 vcc, s2, v11
	v_mov_b32_e32 v10, s3
	s_and_saveexec_b64 s[2:3], vcc
	s_cbranch_execz .LBB5773_20
; %bb.19:
	v_lshlrev_b32_e32 v10, 2, v11
	global_load_dword v10, v10, s[0:1]
.LBB5773_20:
	s_or_b64 exec, exec, s[2:3]
	s_waitcnt vmcnt(0)
	ds_write2st64_b32 v20, v1, v2 offset1:2
	ds_write2st64_b32 v20, v3, v4 offset0:4 offset1:6
	ds_write2st64_b32 v20, v5, v6 offset0:8 offset1:10
	;; [unrolled: 1-line block ×4, first 2 shown]
	v_mad_u32_u24 v1, v0, 36, v20
	s_waitcnt lgkmcnt(0)
	s_barrier
	ds_read2_b64 v[6:9], v1 offset1:1
	ds_read2_b64 v[2:5], v1 offset0:2 offset1:3
	ds_read_b64 v[18:19], v1 offset:32
	v_lshrrev_b32_e32 v21, 3, v0
	v_and_b32_e32 v21, 12, v21
	s_waitcnt lgkmcnt(2)
	v_add_u32_e32 v1, v7, v6
	v_add_u32_e32 v14, v1, v8
	;; [unrolled: 1-line block ×3, first 2 shown]
	s_waitcnt lgkmcnt(1)
	v_add_u32_e32 v10, v15, v2
	v_add_u32_e32 v11, v10, v3
	;; [unrolled: 1-line block ×4, first 2 shown]
	s_waitcnt lgkmcnt(0)
	v_add_u32_e32 v16, v13, v18
	v_add_u32_e32 v17, v16, v19
	;; [unrolled: 1-line block ×3, first 2 shown]
	v_cmp_gt_u32_e32 vcc, 64, v0
	s_barrier
	ds_write_b32 v21, v17
	s_waitcnt lgkmcnt(0)
	s_barrier
	s_and_saveexec_b64 s[0:1], vcc
	s_cbranch_execz .LBB5773_22
; %bb.21:
	v_lshlrev_b32_e32 v21, 1, v0
	v_lshrrev_b32_e32 v22, 4, v0
	v_add_lshl_u32 v21, v22, v21, 2
	ds_read2_b32 v[22:23], v21 offset1:1
	v_mbcnt_lo_u32_b32 v24, -1, 0
	v_mbcnt_hi_u32_b32 v24, -1, v24
	v_and_b32_e32 v25, 15, v24
	v_cmp_ne_u32_e32 vcc, 0, v25
	s_waitcnt lgkmcnt(0)
	v_add_u32_e32 v23, v23, v22
	; wave barrier
	s_nop 1
	v_mov_b32_dpp v26, v23 row_shr:1 row_mask:0xf bank_mask:0xf
	v_cndmask_b32_e32 v26, 0, v26, vcc
	v_add_u32_e32 v23, v26, v23
	v_cmp_lt_u32_e32 vcc, 1, v25
	s_nop 0
	v_mov_b32_dpp v26, v23 row_shr:2 row_mask:0xf bank_mask:0xf
	v_cndmask_b32_e32 v26, 0, v26, vcc
	v_add_u32_e32 v23, v23, v26
	v_cmp_lt_u32_e32 vcc, 3, v25
	;; [unrolled: 5-line block ×3, first 2 shown]
	s_nop 0
	v_mov_b32_dpp v26, v23 row_shr:8 row_mask:0xf bank_mask:0xf
	v_cndmask_b32_e32 v25, 0, v26, vcc
	v_add_u32_e32 v23, v23, v25
	v_bfe_i32 v26, v24, 4, 1
	v_cmp_lt_u32_e32 vcc, 31, v24
	v_mov_b32_dpp v25, v23 row_bcast:15 row_mask:0xf bank_mask:0xf
	v_and_b32_e32 v25, v26, v25
	v_add_u32_e32 v23, v23, v25
	v_and_b32_e32 v26, 64, v24
	s_nop 0
	v_mov_b32_dpp v25, v23 row_bcast:31 row_mask:0xf bank_mask:0xf
	v_cndmask_b32_e32 v25, 0, v25, vcc
	v_add_u32_e32 v23, v23, v25
	v_add_u32_e32 v25, -1, v24
	v_cmp_lt_i32_e32 vcc, v25, v26
	v_cndmask_b32_e32 v24, v25, v24, vcc
	v_lshlrev_b32_e32 v24, 2, v24
	ds_bpermute_b32 v23, v24, v23
	v_cmp_eq_u32_e32 vcc, 0, v0
	s_waitcnt lgkmcnt(0)
	v_add_u32_e32 v22, v23, v22
	v_cndmask_b32_e32 v22, v22, v17, vcc
	ds_write_b32 v21, v22
	; wave barrier
	ds_read_b32 v23, v21 offset:4
	s_waitcnt lgkmcnt(0)
	v_add_u32_e32 v22, v23, v22
	ds_write_b32 v21, v22 offset:4
.LBB5773_22:
	s_or_b64 exec, exec, s[0:1]
	v_cmp_ne_u32_e32 vcc, 0, v0
	v_mov_b32_e32 v22, v17
	s_waitcnt lgkmcnt(0)
	s_barrier
	s_and_saveexec_b64 s[0:1], vcc
	s_cbranch_execz .LBB5773_24
; %bb.23:
	v_add_u32_e32 v21, -1, v0
	v_lshrrev_b32_e32 v22, 5, v21
	v_add_lshl_u32 v21, v22, v21, 2
	ds_read_b32 v22, v21
.LBB5773_24:
	s_or_b64 exec, exec, s[0:1]
	v_mul_u32_u24_e32 v21, 36, v0
	v_mov_b32_e32 v0, v6
	s_and_saveexec_b64 s[0:1], vcc
	s_cbranch_execz .LBB5773_26
; %bb.25:
	s_waitcnt lgkmcnt(0)
	v_add_u32_e32 v0, v22, v6
	v_add_u32_e32 v1, v0, v7
	;; [unrolled: 1-line block ×10, first 2 shown]
	;;#ASMSTART
	;;#ASMEND
.LBB5773_26:
	s_or_b64 exec, exec, s[0:1]
	v_add_u32_e32 v2, v20, v21
	s_waitcnt lgkmcnt(0)
	s_barrier
	ds_write2_b64 v2, v[0:1], v[14:15] offset1:1
	ds_write2_b64 v2, v[10:11], v[12:13] offset0:2 offset1:3
	ds_write_b64 v2, v[16:17] offset:32
	s_waitcnt lgkmcnt(0)
	s_barrier
	s_endpgm
	.section	.rodata,"a",@progbits
	.p2align	6, 0x0
	.amdhsa_kernel _ZN7rocprim17ROCPRIM_400000_NS6detail17trampoline_kernelINS0_14default_configENS1_20scan_config_selectorIiEEZZNS1_9scan_implILNS1_25lookback_scan_determinismE0ELb0ELb0ES3_N6thrust23THRUST_200600_302600_NS6detail15normal_iteratorINS9_10device_ptrIiEEEENS9_16discard_iteratorINS9_11use_defaultEEEiNS9_4plusIvEEiEEDaPvRmT3_T4_T5_mT6_P12ihipStream_tbENKUlT_T0_E_clISt17integral_constantIbLb1EESW_IbLb0EEEEDaSS_ST_EUlSS_E0_NS1_11comp_targetILNS1_3genE4ELNS1_11target_archE910ELNS1_3gpuE8ELNS1_3repE0EEENS1_30default_config_static_selectorELNS0_4arch9wavefront6targetE1EEEvT1_
		.amdhsa_group_segment_fixed_size 5120
		.amdhsa_private_segment_fixed_size 0
		.amdhsa_kernarg_size 40
		.amdhsa_user_sgpr_count 6
		.amdhsa_user_sgpr_private_segment_buffer 1
		.amdhsa_user_sgpr_dispatch_ptr 0
		.amdhsa_user_sgpr_queue_ptr 0
		.amdhsa_user_sgpr_kernarg_segment_ptr 1
		.amdhsa_user_sgpr_dispatch_id 0
		.amdhsa_user_sgpr_flat_scratch_init 0
		.amdhsa_user_sgpr_kernarg_preload_length 0
		.amdhsa_user_sgpr_kernarg_preload_offset 0
		.amdhsa_user_sgpr_private_segment_size 0
		.amdhsa_uses_dynamic_stack 0
		.amdhsa_system_sgpr_private_segment_wavefront_offset 0
		.amdhsa_system_sgpr_workgroup_id_x 1
		.amdhsa_system_sgpr_workgroup_id_y 0
		.amdhsa_system_sgpr_workgroup_id_z 0
		.amdhsa_system_sgpr_workgroup_info 0
		.amdhsa_system_vgpr_workitem_id 0
		.amdhsa_next_free_vgpr 27
		.amdhsa_next_free_sgpr 6
		.amdhsa_accum_offset 28
		.amdhsa_reserve_vcc 1
		.amdhsa_reserve_flat_scratch 0
		.amdhsa_float_round_mode_32 0
		.amdhsa_float_round_mode_16_64 0
		.amdhsa_float_denorm_mode_32 3
		.amdhsa_float_denorm_mode_16_64 3
		.amdhsa_dx10_clamp 1
		.amdhsa_ieee_mode 1
		.amdhsa_fp16_overflow 0
		.amdhsa_tg_split 0
		.amdhsa_exception_fp_ieee_invalid_op 0
		.amdhsa_exception_fp_denorm_src 0
		.amdhsa_exception_fp_ieee_div_zero 0
		.amdhsa_exception_fp_ieee_overflow 0
		.amdhsa_exception_fp_ieee_underflow 0
		.amdhsa_exception_fp_ieee_inexact 0
		.amdhsa_exception_int_div_zero 0
	.end_amdhsa_kernel
	.section	.text._ZN7rocprim17ROCPRIM_400000_NS6detail17trampoline_kernelINS0_14default_configENS1_20scan_config_selectorIiEEZZNS1_9scan_implILNS1_25lookback_scan_determinismE0ELb0ELb0ES3_N6thrust23THRUST_200600_302600_NS6detail15normal_iteratorINS9_10device_ptrIiEEEENS9_16discard_iteratorINS9_11use_defaultEEEiNS9_4plusIvEEiEEDaPvRmT3_T4_T5_mT6_P12ihipStream_tbENKUlT_T0_E_clISt17integral_constantIbLb1EESW_IbLb0EEEEDaSS_ST_EUlSS_E0_NS1_11comp_targetILNS1_3genE4ELNS1_11target_archE910ELNS1_3gpuE8ELNS1_3repE0EEENS1_30default_config_static_selectorELNS0_4arch9wavefront6targetE1EEEvT1_,"axG",@progbits,_ZN7rocprim17ROCPRIM_400000_NS6detail17trampoline_kernelINS0_14default_configENS1_20scan_config_selectorIiEEZZNS1_9scan_implILNS1_25lookback_scan_determinismE0ELb0ELb0ES3_N6thrust23THRUST_200600_302600_NS6detail15normal_iteratorINS9_10device_ptrIiEEEENS9_16discard_iteratorINS9_11use_defaultEEEiNS9_4plusIvEEiEEDaPvRmT3_T4_T5_mT6_P12ihipStream_tbENKUlT_T0_E_clISt17integral_constantIbLb1EESW_IbLb0EEEEDaSS_ST_EUlSS_E0_NS1_11comp_targetILNS1_3genE4ELNS1_11target_archE910ELNS1_3gpuE8ELNS1_3repE0EEENS1_30default_config_static_selectorELNS0_4arch9wavefront6targetE1EEEvT1_,comdat
.Lfunc_end5773:
	.size	_ZN7rocprim17ROCPRIM_400000_NS6detail17trampoline_kernelINS0_14default_configENS1_20scan_config_selectorIiEEZZNS1_9scan_implILNS1_25lookback_scan_determinismE0ELb0ELb0ES3_N6thrust23THRUST_200600_302600_NS6detail15normal_iteratorINS9_10device_ptrIiEEEENS9_16discard_iteratorINS9_11use_defaultEEEiNS9_4plusIvEEiEEDaPvRmT3_T4_T5_mT6_P12ihipStream_tbENKUlT_T0_E_clISt17integral_constantIbLb1EESW_IbLb0EEEEDaSS_ST_EUlSS_E0_NS1_11comp_targetILNS1_3genE4ELNS1_11target_archE910ELNS1_3gpuE8ELNS1_3repE0EEENS1_30default_config_static_selectorELNS0_4arch9wavefront6targetE1EEEvT1_, .Lfunc_end5773-_ZN7rocprim17ROCPRIM_400000_NS6detail17trampoline_kernelINS0_14default_configENS1_20scan_config_selectorIiEEZZNS1_9scan_implILNS1_25lookback_scan_determinismE0ELb0ELb0ES3_N6thrust23THRUST_200600_302600_NS6detail15normal_iteratorINS9_10device_ptrIiEEEENS9_16discard_iteratorINS9_11use_defaultEEEiNS9_4plusIvEEiEEDaPvRmT3_T4_T5_mT6_P12ihipStream_tbENKUlT_T0_E_clISt17integral_constantIbLb1EESW_IbLb0EEEEDaSS_ST_EUlSS_E0_NS1_11comp_targetILNS1_3genE4ELNS1_11target_archE910ELNS1_3gpuE8ELNS1_3repE0EEENS1_30default_config_static_selectorELNS0_4arch9wavefront6targetE1EEEvT1_
                                        ; -- End function
	.section	.AMDGPU.csdata,"",@progbits
; Kernel info:
; codeLenInByte = 1004
; NumSgprs: 10
; NumVgprs: 27
; NumAgprs: 0
; TotalNumVgprs: 27
; ScratchSize: 0
; MemoryBound: 0
; FloatMode: 240
; IeeeMode: 1
; LDSByteSize: 5120 bytes/workgroup (compile time only)
; SGPRBlocks: 1
; VGPRBlocks: 3
; NumSGPRsForWavesPerEU: 10
; NumVGPRsForWavesPerEU: 27
; AccumOffset: 28
; Occupancy: 6
; WaveLimiterHint : 0
; COMPUTE_PGM_RSRC2:SCRATCH_EN: 0
; COMPUTE_PGM_RSRC2:USER_SGPR: 6
; COMPUTE_PGM_RSRC2:TRAP_HANDLER: 0
; COMPUTE_PGM_RSRC2:TGID_X_EN: 1
; COMPUTE_PGM_RSRC2:TGID_Y_EN: 0
; COMPUTE_PGM_RSRC2:TGID_Z_EN: 0
; COMPUTE_PGM_RSRC2:TIDIG_COMP_CNT: 0
; COMPUTE_PGM_RSRC3_GFX90A:ACCUM_OFFSET: 6
; COMPUTE_PGM_RSRC3_GFX90A:TG_SPLIT: 0
	.section	.text._ZN7rocprim17ROCPRIM_400000_NS6detail17trampoline_kernelINS0_14default_configENS1_20scan_config_selectorIiEEZZNS1_9scan_implILNS1_25lookback_scan_determinismE0ELb0ELb0ES3_N6thrust23THRUST_200600_302600_NS6detail15normal_iteratorINS9_10device_ptrIiEEEENS9_16discard_iteratorINS9_11use_defaultEEEiNS9_4plusIvEEiEEDaPvRmT3_T4_T5_mT6_P12ihipStream_tbENKUlT_T0_E_clISt17integral_constantIbLb1EESW_IbLb0EEEEDaSS_ST_EUlSS_E0_NS1_11comp_targetILNS1_3genE3ELNS1_11target_archE908ELNS1_3gpuE7ELNS1_3repE0EEENS1_30default_config_static_selectorELNS0_4arch9wavefront6targetE1EEEvT1_,"axG",@progbits,_ZN7rocprim17ROCPRIM_400000_NS6detail17trampoline_kernelINS0_14default_configENS1_20scan_config_selectorIiEEZZNS1_9scan_implILNS1_25lookback_scan_determinismE0ELb0ELb0ES3_N6thrust23THRUST_200600_302600_NS6detail15normal_iteratorINS9_10device_ptrIiEEEENS9_16discard_iteratorINS9_11use_defaultEEEiNS9_4plusIvEEiEEDaPvRmT3_T4_T5_mT6_P12ihipStream_tbENKUlT_T0_E_clISt17integral_constantIbLb1EESW_IbLb0EEEEDaSS_ST_EUlSS_E0_NS1_11comp_targetILNS1_3genE3ELNS1_11target_archE908ELNS1_3gpuE7ELNS1_3repE0EEENS1_30default_config_static_selectorELNS0_4arch9wavefront6targetE1EEEvT1_,comdat
	.protected	_ZN7rocprim17ROCPRIM_400000_NS6detail17trampoline_kernelINS0_14default_configENS1_20scan_config_selectorIiEEZZNS1_9scan_implILNS1_25lookback_scan_determinismE0ELb0ELb0ES3_N6thrust23THRUST_200600_302600_NS6detail15normal_iteratorINS9_10device_ptrIiEEEENS9_16discard_iteratorINS9_11use_defaultEEEiNS9_4plusIvEEiEEDaPvRmT3_T4_T5_mT6_P12ihipStream_tbENKUlT_T0_E_clISt17integral_constantIbLb1EESW_IbLb0EEEEDaSS_ST_EUlSS_E0_NS1_11comp_targetILNS1_3genE3ELNS1_11target_archE908ELNS1_3gpuE7ELNS1_3repE0EEENS1_30default_config_static_selectorELNS0_4arch9wavefront6targetE1EEEvT1_ ; -- Begin function _ZN7rocprim17ROCPRIM_400000_NS6detail17trampoline_kernelINS0_14default_configENS1_20scan_config_selectorIiEEZZNS1_9scan_implILNS1_25lookback_scan_determinismE0ELb0ELb0ES3_N6thrust23THRUST_200600_302600_NS6detail15normal_iteratorINS9_10device_ptrIiEEEENS9_16discard_iteratorINS9_11use_defaultEEEiNS9_4plusIvEEiEEDaPvRmT3_T4_T5_mT6_P12ihipStream_tbENKUlT_T0_E_clISt17integral_constantIbLb1EESW_IbLb0EEEEDaSS_ST_EUlSS_E0_NS1_11comp_targetILNS1_3genE3ELNS1_11target_archE908ELNS1_3gpuE7ELNS1_3repE0EEENS1_30default_config_static_selectorELNS0_4arch9wavefront6targetE1EEEvT1_
	.globl	_ZN7rocprim17ROCPRIM_400000_NS6detail17trampoline_kernelINS0_14default_configENS1_20scan_config_selectorIiEEZZNS1_9scan_implILNS1_25lookback_scan_determinismE0ELb0ELb0ES3_N6thrust23THRUST_200600_302600_NS6detail15normal_iteratorINS9_10device_ptrIiEEEENS9_16discard_iteratorINS9_11use_defaultEEEiNS9_4plusIvEEiEEDaPvRmT3_T4_T5_mT6_P12ihipStream_tbENKUlT_T0_E_clISt17integral_constantIbLb1EESW_IbLb0EEEEDaSS_ST_EUlSS_E0_NS1_11comp_targetILNS1_3genE3ELNS1_11target_archE908ELNS1_3gpuE7ELNS1_3repE0EEENS1_30default_config_static_selectorELNS0_4arch9wavefront6targetE1EEEvT1_
	.p2align	8
	.type	_ZN7rocprim17ROCPRIM_400000_NS6detail17trampoline_kernelINS0_14default_configENS1_20scan_config_selectorIiEEZZNS1_9scan_implILNS1_25lookback_scan_determinismE0ELb0ELb0ES3_N6thrust23THRUST_200600_302600_NS6detail15normal_iteratorINS9_10device_ptrIiEEEENS9_16discard_iteratorINS9_11use_defaultEEEiNS9_4plusIvEEiEEDaPvRmT3_T4_T5_mT6_P12ihipStream_tbENKUlT_T0_E_clISt17integral_constantIbLb1EESW_IbLb0EEEEDaSS_ST_EUlSS_E0_NS1_11comp_targetILNS1_3genE3ELNS1_11target_archE908ELNS1_3gpuE7ELNS1_3repE0EEENS1_30default_config_static_selectorELNS0_4arch9wavefront6targetE1EEEvT1_,@function
_ZN7rocprim17ROCPRIM_400000_NS6detail17trampoline_kernelINS0_14default_configENS1_20scan_config_selectorIiEEZZNS1_9scan_implILNS1_25lookback_scan_determinismE0ELb0ELb0ES3_N6thrust23THRUST_200600_302600_NS6detail15normal_iteratorINS9_10device_ptrIiEEEENS9_16discard_iteratorINS9_11use_defaultEEEiNS9_4plusIvEEiEEDaPvRmT3_T4_T5_mT6_P12ihipStream_tbENKUlT_T0_E_clISt17integral_constantIbLb1EESW_IbLb0EEEEDaSS_ST_EUlSS_E0_NS1_11comp_targetILNS1_3genE3ELNS1_11target_archE908ELNS1_3gpuE7ELNS1_3repE0EEENS1_30default_config_static_selectorELNS0_4arch9wavefront6targetE1EEEvT1_: ; @_ZN7rocprim17ROCPRIM_400000_NS6detail17trampoline_kernelINS0_14default_configENS1_20scan_config_selectorIiEEZZNS1_9scan_implILNS1_25lookback_scan_determinismE0ELb0ELb0ES3_N6thrust23THRUST_200600_302600_NS6detail15normal_iteratorINS9_10device_ptrIiEEEENS9_16discard_iteratorINS9_11use_defaultEEEiNS9_4plusIvEEiEEDaPvRmT3_T4_T5_mT6_P12ihipStream_tbENKUlT_T0_E_clISt17integral_constantIbLb1EESW_IbLb0EEEEDaSS_ST_EUlSS_E0_NS1_11comp_targetILNS1_3genE3ELNS1_11target_archE908ELNS1_3gpuE7ELNS1_3repE0EEENS1_30default_config_static_selectorELNS0_4arch9wavefront6targetE1EEEvT1_
; %bb.0:
	.section	.rodata,"a",@progbits
	.p2align	6, 0x0
	.amdhsa_kernel _ZN7rocprim17ROCPRIM_400000_NS6detail17trampoline_kernelINS0_14default_configENS1_20scan_config_selectorIiEEZZNS1_9scan_implILNS1_25lookback_scan_determinismE0ELb0ELb0ES3_N6thrust23THRUST_200600_302600_NS6detail15normal_iteratorINS9_10device_ptrIiEEEENS9_16discard_iteratorINS9_11use_defaultEEEiNS9_4plusIvEEiEEDaPvRmT3_T4_T5_mT6_P12ihipStream_tbENKUlT_T0_E_clISt17integral_constantIbLb1EESW_IbLb0EEEEDaSS_ST_EUlSS_E0_NS1_11comp_targetILNS1_3genE3ELNS1_11target_archE908ELNS1_3gpuE7ELNS1_3repE0EEENS1_30default_config_static_selectorELNS0_4arch9wavefront6targetE1EEEvT1_
		.amdhsa_group_segment_fixed_size 0
		.amdhsa_private_segment_fixed_size 0
		.amdhsa_kernarg_size 40
		.amdhsa_user_sgpr_count 6
		.amdhsa_user_sgpr_private_segment_buffer 1
		.amdhsa_user_sgpr_dispatch_ptr 0
		.amdhsa_user_sgpr_queue_ptr 0
		.amdhsa_user_sgpr_kernarg_segment_ptr 1
		.amdhsa_user_sgpr_dispatch_id 0
		.amdhsa_user_sgpr_flat_scratch_init 0
		.amdhsa_user_sgpr_kernarg_preload_length 0
		.amdhsa_user_sgpr_kernarg_preload_offset 0
		.amdhsa_user_sgpr_private_segment_size 0
		.amdhsa_uses_dynamic_stack 0
		.amdhsa_system_sgpr_private_segment_wavefront_offset 0
		.amdhsa_system_sgpr_workgroup_id_x 1
		.amdhsa_system_sgpr_workgroup_id_y 0
		.amdhsa_system_sgpr_workgroup_id_z 0
		.amdhsa_system_sgpr_workgroup_info 0
		.amdhsa_system_vgpr_workitem_id 0
		.amdhsa_next_free_vgpr 1
		.amdhsa_next_free_sgpr 0
		.amdhsa_accum_offset 4
		.amdhsa_reserve_vcc 0
		.amdhsa_reserve_flat_scratch 0
		.amdhsa_float_round_mode_32 0
		.amdhsa_float_round_mode_16_64 0
		.amdhsa_float_denorm_mode_32 3
		.amdhsa_float_denorm_mode_16_64 3
		.amdhsa_dx10_clamp 1
		.amdhsa_ieee_mode 1
		.amdhsa_fp16_overflow 0
		.amdhsa_tg_split 0
		.amdhsa_exception_fp_ieee_invalid_op 0
		.amdhsa_exception_fp_denorm_src 0
		.amdhsa_exception_fp_ieee_div_zero 0
		.amdhsa_exception_fp_ieee_overflow 0
		.amdhsa_exception_fp_ieee_underflow 0
		.amdhsa_exception_fp_ieee_inexact 0
		.amdhsa_exception_int_div_zero 0
	.end_amdhsa_kernel
	.section	.text._ZN7rocprim17ROCPRIM_400000_NS6detail17trampoline_kernelINS0_14default_configENS1_20scan_config_selectorIiEEZZNS1_9scan_implILNS1_25lookback_scan_determinismE0ELb0ELb0ES3_N6thrust23THRUST_200600_302600_NS6detail15normal_iteratorINS9_10device_ptrIiEEEENS9_16discard_iteratorINS9_11use_defaultEEEiNS9_4plusIvEEiEEDaPvRmT3_T4_T5_mT6_P12ihipStream_tbENKUlT_T0_E_clISt17integral_constantIbLb1EESW_IbLb0EEEEDaSS_ST_EUlSS_E0_NS1_11comp_targetILNS1_3genE3ELNS1_11target_archE908ELNS1_3gpuE7ELNS1_3repE0EEENS1_30default_config_static_selectorELNS0_4arch9wavefront6targetE1EEEvT1_,"axG",@progbits,_ZN7rocprim17ROCPRIM_400000_NS6detail17trampoline_kernelINS0_14default_configENS1_20scan_config_selectorIiEEZZNS1_9scan_implILNS1_25lookback_scan_determinismE0ELb0ELb0ES3_N6thrust23THRUST_200600_302600_NS6detail15normal_iteratorINS9_10device_ptrIiEEEENS9_16discard_iteratorINS9_11use_defaultEEEiNS9_4plusIvEEiEEDaPvRmT3_T4_T5_mT6_P12ihipStream_tbENKUlT_T0_E_clISt17integral_constantIbLb1EESW_IbLb0EEEEDaSS_ST_EUlSS_E0_NS1_11comp_targetILNS1_3genE3ELNS1_11target_archE908ELNS1_3gpuE7ELNS1_3repE0EEENS1_30default_config_static_selectorELNS0_4arch9wavefront6targetE1EEEvT1_,comdat
.Lfunc_end5774:
	.size	_ZN7rocprim17ROCPRIM_400000_NS6detail17trampoline_kernelINS0_14default_configENS1_20scan_config_selectorIiEEZZNS1_9scan_implILNS1_25lookback_scan_determinismE0ELb0ELb0ES3_N6thrust23THRUST_200600_302600_NS6detail15normal_iteratorINS9_10device_ptrIiEEEENS9_16discard_iteratorINS9_11use_defaultEEEiNS9_4plusIvEEiEEDaPvRmT3_T4_T5_mT6_P12ihipStream_tbENKUlT_T0_E_clISt17integral_constantIbLb1EESW_IbLb0EEEEDaSS_ST_EUlSS_E0_NS1_11comp_targetILNS1_3genE3ELNS1_11target_archE908ELNS1_3gpuE7ELNS1_3repE0EEENS1_30default_config_static_selectorELNS0_4arch9wavefront6targetE1EEEvT1_, .Lfunc_end5774-_ZN7rocprim17ROCPRIM_400000_NS6detail17trampoline_kernelINS0_14default_configENS1_20scan_config_selectorIiEEZZNS1_9scan_implILNS1_25lookback_scan_determinismE0ELb0ELb0ES3_N6thrust23THRUST_200600_302600_NS6detail15normal_iteratorINS9_10device_ptrIiEEEENS9_16discard_iteratorINS9_11use_defaultEEEiNS9_4plusIvEEiEEDaPvRmT3_T4_T5_mT6_P12ihipStream_tbENKUlT_T0_E_clISt17integral_constantIbLb1EESW_IbLb0EEEEDaSS_ST_EUlSS_E0_NS1_11comp_targetILNS1_3genE3ELNS1_11target_archE908ELNS1_3gpuE7ELNS1_3repE0EEENS1_30default_config_static_selectorELNS0_4arch9wavefront6targetE1EEEvT1_
                                        ; -- End function
	.section	.AMDGPU.csdata,"",@progbits
; Kernel info:
; codeLenInByte = 0
; NumSgprs: 4
; NumVgprs: 0
; NumAgprs: 0
; TotalNumVgprs: 0
; ScratchSize: 0
; MemoryBound: 0
; FloatMode: 240
; IeeeMode: 1
; LDSByteSize: 0 bytes/workgroup (compile time only)
; SGPRBlocks: 0
; VGPRBlocks: 0
; NumSGPRsForWavesPerEU: 4
; NumVGPRsForWavesPerEU: 1
; AccumOffset: 4
; Occupancy: 8
; WaveLimiterHint : 0
; COMPUTE_PGM_RSRC2:SCRATCH_EN: 0
; COMPUTE_PGM_RSRC2:USER_SGPR: 6
; COMPUTE_PGM_RSRC2:TRAP_HANDLER: 0
; COMPUTE_PGM_RSRC2:TGID_X_EN: 1
; COMPUTE_PGM_RSRC2:TGID_Y_EN: 0
; COMPUTE_PGM_RSRC2:TGID_Z_EN: 0
; COMPUTE_PGM_RSRC2:TIDIG_COMP_CNT: 0
; COMPUTE_PGM_RSRC3_GFX90A:ACCUM_OFFSET: 0
; COMPUTE_PGM_RSRC3_GFX90A:TG_SPLIT: 0
	.section	.text._ZN7rocprim17ROCPRIM_400000_NS6detail17trampoline_kernelINS0_14default_configENS1_20scan_config_selectorIiEEZZNS1_9scan_implILNS1_25lookback_scan_determinismE0ELb0ELb0ES3_N6thrust23THRUST_200600_302600_NS6detail15normal_iteratorINS9_10device_ptrIiEEEENS9_16discard_iteratorINS9_11use_defaultEEEiNS9_4plusIvEEiEEDaPvRmT3_T4_T5_mT6_P12ihipStream_tbENKUlT_T0_E_clISt17integral_constantIbLb1EESW_IbLb0EEEEDaSS_ST_EUlSS_E0_NS1_11comp_targetILNS1_3genE2ELNS1_11target_archE906ELNS1_3gpuE6ELNS1_3repE0EEENS1_30default_config_static_selectorELNS0_4arch9wavefront6targetE1EEEvT1_,"axG",@progbits,_ZN7rocprim17ROCPRIM_400000_NS6detail17trampoline_kernelINS0_14default_configENS1_20scan_config_selectorIiEEZZNS1_9scan_implILNS1_25lookback_scan_determinismE0ELb0ELb0ES3_N6thrust23THRUST_200600_302600_NS6detail15normal_iteratorINS9_10device_ptrIiEEEENS9_16discard_iteratorINS9_11use_defaultEEEiNS9_4plusIvEEiEEDaPvRmT3_T4_T5_mT6_P12ihipStream_tbENKUlT_T0_E_clISt17integral_constantIbLb1EESW_IbLb0EEEEDaSS_ST_EUlSS_E0_NS1_11comp_targetILNS1_3genE2ELNS1_11target_archE906ELNS1_3gpuE6ELNS1_3repE0EEENS1_30default_config_static_selectorELNS0_4arch9wavefront6targetE1EEEvT1_,comdat
	.protected	_ZN7rocprim17ROCPRIM_400000_NS6detail17trampoline_kernelINS0_14default_configENS1_20scan_config_selectorIiEEZZNS1_9scan_implILNS1_25lookback_scan_determinismE0ELb0ELb0ES3_N6thrust23THRUST_200600_302600_NS6detail15normal_iteratorINS9_10device_ptrIiEEEENS9_16discard_iteratorINS9_11use_defaultEEEiNS9_4plusIvEEiEEDaPvRmT3_T4_T5_mT6_P12ihipStream_tbENKUlT_T0_E_clISt17integral_constantIbLb1EESW_IbLb0EEEEDaSS_ST_EUlSS_E0_NS1_11comp_targetILNS1_3genE2ELNS1_11target_archE906ELNS1_3gpuE6ELNS1_3repE0EEENS1_30default_config_static_selectorELNS0_4arch9wavefront6targetE1EEEvT1_ ; -- Begin function _ZN7rocprim17ROCPRIM_400000_NS6detail17trampoline_kernelINS0_14default_configENS1_20scan_config_selectorIiEEZZNS1_9scan_implILNS1_25lookback_scan_determinismE0ELb0ELb0ES3_N6thrust23THRUST_200600_302600_NS6detail15normal_iteratorINS9_10device_ptrIiEEEENS9_16discard_iteratorINS9_11use_defaultEEEiNS9_4plusIvEEiEEDaPvRmT3_T4_T5_mT6_P12ihipStream_tbENKUlT_T0_E_clISt17integral_constantIbLb1EESW_IbLb0EEEEDaSS_ST_EUlSS_E0_NS1_11comp_targetILNS1_3genE2ELNS1_11target_archE906ELNS1_3gpuE6ELNS1_3repE0EEENS1_30default_config_static_selectorELNS0_4arch9wavefront6targetE1EEEvT1_
	.globl	_ZN7rocprim17ROCPRIM_400000_NS6detail17trampoline_kernelINS0_14default_configENS1_20scan_config_selectorIiEEZZNS1_9scan_implILNS1_25lookback_scan_determinismE0ELb0ELb0ES3_N6thrust23THRUST_200600_302600_NS6detail15normal_iteratorINS9_10device_ptrIiEEEENS9_16discard_iteratorINS9_11use_defaultEEEiNS9_4plusIvEEiEEDaPvRmT3_T4_T5_mT6_P12ihipStream_tbENKUlT_T0_E_clISt17integral_constantIbLb1EESW_IbLb0EEEEDaSS_ST_EUlSS_E0_NS1_11comp_targetILNS1_3genE2ELNS1_11target_archE906ELNS1_3gpuE6ELNS1_3repE0EEENS1_30default_config_static_selectorELNS0_4arch9wavefront6targetE1EEEvT1_
	.p2align	8
	.type	_ZN7rocprim17ROCPRIM_400000_NS6detail17trampoline_kernelINS0_14default_configENS1_20scan_config_selectorIiEEZZNS1_9scan_implILNS1_25lookback_scan_determinismE0ELb0ELb0ES3_N6thrust23THRUST_200600_302600_NS6detail15normal_iteratorINS9_10device_ptrIiEEEENS9_16discard_iteratorINS9_11use_defaultEEEiNS9_4plusIvEEiEEDaPvRmT3_T4_T5_mT6_P12ihipStream_tbENKUlT_T0_E_clISt17integral_constantIbLb1EESW_IbLb0EEEEDaSS_ST_EUlSS_E0_NS1_11comp_targetILNS1_3genE2ELNS1_11target_archE906ELNS1_3gpuE6ELNS1_3repE0EEENS1_30default_config_static_selectorELNS0_4arch9wavefront6targetE1EEEvT1_,@function
_ZN7rocprim17ROCPRIM_400000_NS6detail17trampoline_kernelINS0_14default_configENS1_20scan_config_selectorIiEEZZNS1_9scan_implILNS1_25lookback_scan_determinismE0ELb0ELb0ES3_N6thrust23THRUST_200600_302600_NS6detail15normal_iteratorINS9_10device_ptrIiEEEENS9_16discard_iteratorINS9_11use_defaultEEEiNS9_4plusIvEEiEEDaPvRmT3_T4_T5_mT6_P12ihipStream_tbENKUlT_T0_E_clISt17integral_constantIbLb1EESW_IbLb0EEEEDaSS_ST_EUlSS_E0_NS1_11comp_targetILNS1_3genE2ELNS1_11target_archE906ELNS1_3gpuE6ELNS1_3repE0EEENS1_30default_config_static_selectorELNS0_4arch9wavefront6targetE1EEEvT1_: ; @_ZN7rocprim17ROCPRIM_400000_NS6detail17trampoline_kernelINS0_14default_configENS1_20scan_config_selectorIiEEZZNS1_9scan_implILNS1_25lookback_scan_determinismE0ELb0ELb0ES3_N6thrust23THRUST_200600_302600_NS6detail15normal_iteratorINS9_10device_ptrIiEEEENS9_16discard_iteratorINS9_11use_defaultEEEiNS9_4plusIvEEiEEDaPvRmT3_T4_T5_mT6_P12ihipStream_tbENKUlT_T0_E_clISt17integral_constantIbLb1EESW_IbLb0EEEEDaSS_ST_EUlSS_E0_NS1_11comp_targetILNS1_3genE2ELNS1_11target_archE906ELNS1_3gpuE6ELNS1_3repE0EEENS1_30default_config_static_selectorELNS0_4arch9wavefront6targetE1EEEvT1_
; %bb.0:
	.section	.rodata,"a",@progbits
	.p2align	6, 0x0
	.amdhsa_kernel _ZN7rocprim17ROCPRIM_400000_NS6detail17trampoline_kernelINS0_14default_configENS1_20scan_config_selectorIiEEZZNS1_9scan_implILNS1_25lookback_scan_determinismE0ELb0ELb0ES3_N6thrust23THRUST_200600_302600_NS6detail15normal_iteratorINS9_10device_ptrIiEEEENS9_16discard_iteratorINS9_11use_defaultEEEiNS9_4plusIvEEiEEDaPvRmT3_T4_T5_mT6_P12ihipStream_tbENKUlT_T0_E_clISt17integral_constantIbLb1EESW_IbLb0EEEEDaSS_ST_EUlSS_E0_NS1_11comp_targetILNS1_3genE2ELNS1_11target_archE906ELNS1_3gpuE6ELNS1_3repE0EEENS1_30default_config_static_selectorELNS0_4arch9wavefront6targetE1EEEvT1_
		.amdhsa_group_segment_fixed_size 0
		.amdhsa_private_segment_fixed_size 0
		.amdhsa_kernarg_size 40
		.amdhsa_user_sgpr_count 6
		.amdhsa_user_sgpr_private_segment_buffer 1
		.amdhsa_user_sgpr_dispatch_ptr 0
		.amdhsa_user_sgpr_queue_ptr 0
		.amdhsa_user_sgpr_kernarg_segment_ptr 1
		.amdhsa_user_sgpr_dispatch_id 0
		.amdhsa_user_sgpr_flat_scratch_init 0
		.amdhsa_user_sgpr_kernarg_preload_length 0
		.amdhsa_user_sgpr_kernarg_preload_offset 0
		.amdhsa_user_sgpr_private_segment_size 0
		.amdhsa_uses_dynamic_stack 0
		.amdhsa_system_sgpr_private_segment_wavefront_offset 0
		.amdhsa_system_sgpr_workgroup_id_x 1
		.amdhsa_system_sgpr_workgroup_id_y 0
		.amdhsa_system_sgpr_workgroup_id_z 0
		.amdhsa_system_sgpr_workgroup_info 0
		.amdhsa_system_vgpr_workitem_id 0
		.amdhsa_next_free_vgpr 1
		.amdhsa_next_free_sgpr 0
		.amdhsa_accum_offset 4
		.amdhsa_reserve_vcc 0
		.amdhsa_reserve_flat_scratch 0
		.amdhsa_float_round_mode_32 0
		.amdhsa_float_round_mode_16_64 0
		.amdhsa_float_denorm_mode_32 3
		.amdhsa_float_denorm_mode_16_64 3
		.amdhsa_dx10_clamp 1
		.amdhsa_ieee_mode 1
		.amdhsa_fp16_overflow 0
		.amdhsa_tg_split 0
		.amdhsa_exception_fp_ieee_invalid_op 0
		.amdhsa_exception_fp_denorm_src 0
		.amdhsa_exception_fp_ieee_div_zero 0
		.amdhsa_exception_fp_ieee_overflow 0
		.amdhsa_exception_fp_ieee_underflow 0
		.amdhsa_exception_fp_ieee_inexact 0
		.amdhsa_exception_int_div_zero 0
	.end_amdhsa_kernel
	.section	.text._ZN7rocprim17ROCPRIM_400000_NS6detail17trampoline_kernelINS0_14default_configENS1_20scan_config_selectorIiEEZZNS1_9scan_implILNS1_25lookback_scan_determinismE0ELb0ELb0ES3_N6thrust23THRUST_200600_302600_NS6detail15normal_iteratorINS9_10device_ptrIiEEEENS9_16discard_iteratorINS9_11use_defaultEEEiNS9_4plusIvEEiEEDaPvRmT3_T4_T5_mT6_P12ihipStream_tbENKUlT_T0_E_clISt17integral_constantIbLb1EESW_IbLb0EEEEDaSS_ST_EUlSS_E0_NS1_11comp_targetILNS1_3genE2ELNS1_11target_archE906ELNS1_3gpuE6ELNS1_3repE0EEENS1_30default_config_static_selectorELNS0_4arch9wavefront6targetE1EEEvT1_,"axG",@progbits,_ZN7rocprim17ROCPRIM_400000_NS6detail17trampoline_kernelINS0_14default_configENS1_20scan_config_selectorIiEEZZNS1_9scan_implILNS1_25lookback_scan_determinismE0ELb0ELb0ES3_N6thrust23THRUST_200600_302600_NS6detail15normal_iteratorINS9_10device_ptrIiEEEENS9_16discard_iteratorINS9_11use_defaultEEEiNS9_4plusIvEEiEEDaPvRmT3_T4_T5_mT6_P12ihipStream_tbENKUlT_T0_E_clISt17integral_constantIbLb1EESW_IbLb0EEEEDaSS_ST_EUlSS_E0_NS1_11comp_targetILNS1_3genE2ELNS1_11target_archE906ELNS1_3gpuE6ELNS1_3repE0EEENS1_30default_config_static_selectorELNS0_4arch9wavefront6targetE1EEEvT1_,comdat
.Lfunc_end5775:
	.size	_ZN7rocprim17ROCPRIM_400000_NS6detail17trampoline_kernelINS0_14default_configENS1_20scan_config_selectorIiEEZZNS1_9scan_implILNS1_25lookback_scan_determinismE0ELb0ELb0ES3_N6thrust23THRUST_200600_302600_NS6detail15normal_iteratorINS9_10device_ptrIiEEEENS9_16discard_iteratorINS9_11use_defaultEEEiNS9_4plusIvEEiEEDaPvRmT3_T4_T5_mT6_P12ihipStream_tbENKUlT_T0_E_clISt17integral_constantIbLb1EESW_IbLb0EEEEDaSS_ST_EUlSS_E0_NS1_11comp_targetILNS1_3genE2ELNS1_11target_archE906ELNS1_3gpuE6ELNS1_3repE0EEENS1_30default_config_static_selectorELNS0_4arch9wavefront6targetE1EEEvT1_, .Lfunc_end5775-_ZN7rocprim17ROCPRIM_400000_NS6detail17trampoline_kernelINS0_14default_configENS1_20scan_config_selectorIiEEZZNS1_9scan_implILNS1_25lookback_scan_determinismE0ELb0ELb0ES3_N6thrust23THRUST_200600_302600_NS6detail15normal_iteratorINS9_10device_ptrIiEEEENS9_16discard_iteratorINS9_11use_defaultEEEiNS9_4plusIvEEiEEDaPvRmT3_T4_T5_mT6_P12ihipStream_tbENKUlT_T0_E_clISt17integral_constantIbLb1EESW_IbLb0EEEEDaSS_ST_EUlSS_E0_NS1_11comp_targetILNS1_3genE2ELNS1_11target_archE906ELNS1_3gpuE6ELNS1_3repE0EEENS1_30default_config_static_selectorELNS0_4arch9wavefront6targetE1EEEvT1_
                                        ; -- End function
	.section	.AMDGPU.csdata,"",@progbits
; Kernel info:
; codeLenInByte = 0
; NumSgprs: 4
; NumVgprs: 0
; NumAgprs: 0
; TotalNumVgprs: 0
; ScratchSize: 0
; MemoryBound: 0
; FloatMode: 240
; IeeeMode: 1
; LDSByteSize: 0 bytes/workgroup (compile time only)
; SGPRBlocks: 0
; VGPRBlocks: 0
; NumSGPRsForWavesPerEU: 4
; NumVGPRsForWavesPerEU: 1
; AccumOffset: 4
; Occupancy: 8
; WaveLimiterHint : 0
; COMPUTE_PGM_RSRC2:SCRATCH_EN: 0
; COMPUTE_PGM_RSRC2:USER_SGPR: 6
; COMPUTE_PGM_RSRC2:TRAP_HANDLER: 0
; COMPUTE_PGM_RSRC2:TGID_X_EN: 1
; COMPUTE_PGM_RSRC2:TGID_Y_EN: 0
; COMPUTE_PGM_RSRC2:TGID_Z_EN: 0
; COMPUTE_PGM_RSRC2:TIDIG_COMP_CNT: 0
; COMPUTE_PGM_RSRC3_GFX90A:ACCUM_OFFSET: 0
; COMPUTE_PGM_RSRC3_GFX90A:TG_SPLIT: 0
	.section	.text._ZN7rocprim17ROCPRIM_400000_NS6detail17trampoline_kernelINS0_14default_configENS1_20scan_config_selectorIiEEZZNS1_9scan_implILNS1_25lookback_scan_determinismE0ELb0ELb0ES3_N6thrust23THRUST_200600_302600_NS6detail15normal_iteratorINS9_10device_ptrIiEEEENS9_16discard_iteratorINS9_11use_defaultEEEiNS9_4plusIvEEiEEDaPvRmT3_T4_T5_mT6_P12ihipStream_tbENKUlT_T0_E_clISt17integral_constantIbLb1EESW_IbLb0EEEEDaSS_ST_EUlSS_E0_NS1_11comp_targetILNS1_3genE10ELNS1_11target_archE1201ELNS1_3gpuE5ELNS1_3repE0EEENS1_30default_config_static_selectorELNS0_4arch9wavefront6targetE1EEEvT1_,"axG",@progbits,_ZN7rocprim17ROCPRIM_400000_NS6detail17trampoline_kernelINS0_14default_configENS1_20scan_config_selectorIiEEZZNS1_9scan_implILNS1_25lookback_scan_determinismE0ELb0ELb0ES3_N6thrust23THRUST_200600_302600_NS6detail15normal_iteratorINS9_10device_ptrIiEEEENS9_16discard_iteratorINS9_11use_defaultEEEiNS9_4plusIvEEiEEDaPvRmT3_T4_T5_mT6_P12ihipStream_tbENKUlT_T0_E_clISt17integral_constantIbLb1EESW_IbLb0EEEEDaSS_ST_EUlSS_E0_NS1_11comp_targetILNS1_3genE10ELNS1_11target_archE1201ELNS1_3gpuE5ELNS1_3repE0EEENS1_30default_config_static_selectorELNS0_4arch9wavefront6targetE1EEEvT1_,comdat
	.protected	_ZN7rocprim17ROCPRIM_400000_NS6detail17trampoline_kernelINS0_14default_configENS1_20scan_config_selectorIiEEZZNS1_9scan_implILNS1_25lookback_scan_determinismE0ELb0ELb0ES3_N6thrust23THRUST_200600_302600_NS6detail15normal_iteratorINS9_10device_ptrIiEEEENS9_16discard_iteratorINS9_11use_defaultEEEiNS9_4plusIvEEiEEDaPvRmT3_T4_T5_mT6_P12ihipStream_tbENKUlT_T0_E_clISt17integral_constantIbLb1EESW_IbLb0EEEEDaSS_ST_EUlSS_E0_NS1_11comp_targetILNS1_3genE10ELNS1_11target_archE1201ELNS1_3gpuE5ELNS1_3repE0EEENS1_30default_config_static_selectorELNS0_4arch9wavefront6targetE1EEEvT1_ ; -- Begin function _ZN7rocprim17ROCPRIM_400000_NS6detail17trampoline_kernelINS0_14default_configENS1_20scan_config_selectorIiEEZZNS1_9scan_implILNS1_25lookback_scan_determinismE0ELb0ELb0ES3_N6thrust23THRUST_200600_302600_NS6detail15normal_iteratorINS9_10device_ptrIiEEEENS9_16discard_iteratorINS9_11use_defaultEEEiNS9_4plusIvEEiEEDaPvRmT3_T4_T5_mT6_P12ihipStream_tbENKUlT_T0_E_clISt17integral_constantIbLb1EESW_IbLb0EEEEDaSS_ST_EUlSS_E0_NS1_11comp_targetILNS1_3genE10ELNS1_11target_archE1201ELNS1_3gpuE5ELNS1_3repE0EEENS1_30default_config_static_selectorELNS0_4arch9wavefront6targetE1EEEvT1_
	.globl	_ZN7rocprim17ROCPRIM_400000_NS6detail17trampoline_kernelINS0_14default_configENS1_20scan_config_selectorIiEEZZNS1_9scan_implILNS1_25lookback_scan_determinismE0ELb0ELb0ES3_N6thrust23THRUST_200600_302600_NS6detail15normal_iteratorINS9_10device_ptrIiEEEENS9_16discard_iteratorINS9_11use_defaultEEEiNS9_4plusIvEEiEEDaPvRmT3_T4_T5_mT6_P12ihipStream_tbENKUlT_T0_E_clISt17integral_constantIbLb1EESW_IbLb0EEEEDaSS_ST_EUlSS_E0_NS1_11comp_targetILNS1_3genE10ELNS1_11target_archE1201ELNS1_3gpuE5ELNS1_3repE0EEENS1_30default_config_static_selectorELNS0_4arch9wavefront6targetE1EEEvT1_
	.p2align	8
	.type	_ZN7rocprim17ROCPRIM_400000_NS6detail17trampoline_kernelINS0_14default_configENS1_20scan_config_selectorIiEEZZNS1_9scan_implILNS1_25lookback_scan_determinismE0ELb0ELb0ES3_N6thrust23THRUST_200600_302600_NS6detail15normal_iteratorINS9_10device_ptrIiEEEENS9_16discard_iteratorINS9_11use_defaultEEEiNS9_4plusIvEEiEEDaPvRmT3_T4_T5_mT6_P12ihipStream_tbENKUlT_T0_E_clISt17integral_constantIbLb1EESW_IbLb0EEEEDaSS_ST_EUlSS_E0_NS1_11comp_targetILNS1_3genE10ELNS1_11target_archE1201ELNS1_3gpuE5ELNS1_3repE0EEENS1_30default_config_static_selectorELNS0_4arch9wavefront6targetE1EEEvT1_,@function
_ZN7rocprim17ROCPRIM_400000_NS6detail17trampoline_kernelINS0_14default_configENS1_20scan_config_selectorIiEEZZNS1_9scan_implILNS1_25lookback_scan_determinismE0ELb0ELb0ES3_N6thrust23THRUST_200600_302600_NS6detail15normal_iteratorINS9_10device_ptrIiEEEENS9_16discard_iteratorINS9_11use_defaultEEEiNS9_4plusIvEEiEEDaPvRmT3_T4_T5_mT6_P12ihipStream_tbENKUlT_T0_E_clISt17integral_constantIbLb1EESW_IbLb0EEEEDaSS_ST_EUlSS_E0_NS1_11comp_targetILNS1_3genE10ELNS1_11target_archE1201ELNS1_3gpuE5ELNS1_3repE0EEENS1_30default_config_static_selectorELNS0_4arch9wavefront6targetE1EEEvT1_: ; @_ZN7rocprim17ROCPRIM_400000_NS6detail17trampoline_kernelINS0_14default_configENS1_20scan_config_selectorIiEEZZNS1_9scan_implILNS1_25lookback_scan_determinismE0ELb0ELb0ES3_N6thrust23THRUST_200600_302600_NS6detail15normal_iteratorINS9_10device_ptrIiEEEENS9_16discard_iteratorINS9_11use_defaultEEEiNS9_4plusIvEEiEEDaPvRmT3_T4_T5_mT6_P12ihipStream_tbENKUlT_T0_E_clISt17integral_constantIbLb1EESW_IbLb0EEEEDaSS_ST_EUlSS_E0_NS1_11comp_targetILNS1_3genE10ELNS1_11target_archE1201ELNS1_3gpuE5ELNS1_3repE0EEENS1_30default_config_static_selectorELNS0_4arch9wavefront6targetE1EEEvT1_
; %bb.0:
	.section	.rodata,"a",@progbits
	.p2align	6, 0x0
	.amdhsa_kernel _ZN7rocprim17ROCPRIM_400000_NS6detail17trampoline_kernelINS0_14default_configENS1_20scan_config_selectorIiEEZZNS1_9scan_implILNS1_25lookback_scan_determinismE0ELb0ELb0ES3_N6thrust23THRUST_200600_302600_NS6detail15normal_iteratorINS9_10device_ptrIiEEEENS9_16discard_iteratorINS9_11use_defaultEEEiNS9_4plusIvEEiEEDaPvRmT3_T4_T5_mT6_P12ihipStream_tbENKUlT_T0_E_clISt17integral_constantIbLb1EESW_IbLb0EEEEDaSS_ST_EUlSS_E0_NS1_11comp_targetILNS1_3genE10ELNS1_11target_archE1201ELNS1_3gpuE5ELNS1_3repE0EEENS1_30default_config_static_selectorELNS0_4arch9wavefront6targetE1EEEvT1_
		.amdhsa_group_segment_fixed_size 0
		.amdhsa_private_segment_fixed_size 0
		.amdhsa_kernarg_size 40
		.amdhsa_user_sgpr_count 6
		.amdhsa_user_sgpr_private_segment_buffer 1
		.amdhsa_user_sgpr_dispatch_ptr 0
		.amdhsa_user_sgpr_queue_ptr 0
		.amdhsa_user_sgpr_kernarg_segment_ptr 1
		.amdhsa_user_sgpr_dispatch_id 0
		.amdhsa_user_sgpr_flat_scratch_init 0
		.amdhsa_user_sgpr_kernarg_preload_length 0
		.amdhsa_user_sgpr_kernarg_preload_offset 0
		.amdhsa_user_sgpr_private_segment_size 0
		.amdhsa_uses_dynamic_stack 0
		.amdhsa_system_sgpr_private_segment_wavefront_offset 0
		.amdhsa_system_sgpr_workgroup_id_x 1
		.amdhsa_system_sgpr_workgroup_id_y 0
		.amdhsa_system_sgpr_workgroup_id_z 0
		.amdhsa_system_sgpr_workgroup_info 0
		.amdhsa_system_vgpr_workitem_id 0
		.amdhsa_next_free_vgpr 1
		.amdhsa_next_free_sgpr 0
		.amdhsa_accum_offset 4
		.amdhsa_reserve_vcc 0
		.amdhsa_reserve_flat_scratch 0
		.amdhsa_float_round_mode_32 0
		.amdhsa_float_round_mode_16_64 0
		.amdhsa_float_denorm_mode_32 3
		.amdhsa_float_denorm_mode_16_64 3
		.amdhsa_dx10_clamp 1
		.amdhsa_ieee_mode 1
		.amdhsa_fp16_overflow 0
		.amdhsa_tg_split 0
		.amdhsa_exception_fp_ieee_invalid_op 0
		.amdhsa_exception_fp_denorm_src 0
		.amdhsa_exception_fp_ieee_div_zero 0
		.amdhsa_exception_fp_ieee_overflow 0
		.amdhsa_exception_fp_ieee_underflow 0
		.amdhsa_exception_fp_ieee_inexact 0
		.amdhsa_exception_int_div_zero 0
	.end_amdhsa_kernel
	.section	.text._ZN7rocprim17ROCPRIM_400000_NS6detail17trampoline_kernelINS0_14default_configENS1_20scan_config_selectorIiEEZZNS1_9scan_implILNS1_25lookback_scan_determinismE0ELb0ELb0ES3_N6thrust23THRUST_200600_302600_NS6detail15normal_iteratorINS9_10device_ptrIiEEEENS9_16discard_iteratorINS9_11use_defaultEEEiNS9_4plusIvEEiEEDaPvRmT3_T4_T5_mT6_P12ihipStream_tbENKUlT_T0_E_clISt17integral_constantIbLb1EESW_IbLb0EEEEDaSS_ST_EUlSS_E0_NS1_11comp_targetILNS1_3genE10ELNS1_11target_archE1201ELNS1_3gpuE5ELNS1_3repE0EEENS1_30default_config_static_selectorELNS0_4arch9wavefront6targetE1EEEvT1_,"axG",@progbits,_ZN7rocprim17ROCPRIM_400000_NS6detail17trampoline_kernelINS0_14default_configENS1_20scan_config_selectorIiEEZZNS1_9scan_implILNS1_25lookback_scan_determinismE0ELb0ELb0ES3_N6thrust23THRUST_200600_302600_NS6detail15normal_iteratorINS9_10device_ptrIiEEEENS9_16discard_iteratorINS9_11use_defaultEEEiNS9_4plusIvEEiEEDaPvRmT3_T4_T5_mT6_P12ihipStream_tbENKUlT_T0_E_clISt17integral_constantIbLb1EESW_IbLb0EEEEDaSS_ST_EUlSS_E0_NS1_11comp_targetILNS1_3genE10ELNS1_11target_archE1201ELNS1_3gpuE5ELNS1_3repE0EEENS1_30default_config_static_selectorELNS0_4arch9wavefront6targetE1EEEvT1_,comdat
.Lfunc_end5776:
	.size	_ZN7rocprim17ROCPRIM_400000_NS6detail17trampoline_kernelINS0_14default_configENS1_20scan_config_selectorIiEEZZNS1_9scan_implILNS1_25lookback_scan_determinismE0ELb0ELb0ES3_N6thrust23THRUST_200600_302600_NS6detail15normal_iteratorINS9_10device_ptrIiEEEENS9_16discard_iteratorINS9_11use_defaultEEEiNS9_4plusIvEEiEEDaPvRmT3_T4_T5_mT6_P12ihipStream_tbENKUlT_T0_E_clISt17integral_constantIbLb1EESW_IbLb0EEEEDaSS_ST_EUlSS_E0_NS1_11comp_targetILNS1_3genE10ELNS1_11target_archE1201ELNS1_3gpuE5ELNS1_3repE0EEENS1_30default_config_static_selectorELNS0_4arch9wavefront6targetE1EEEvT1_, .Lfunc_end5776-_ZN7rocprim17ROCPRIM_400000_NS6detail17trampoline_kernelINS0_14default_configENS1_20scan_config_selectorIiEEZZNS1_9scan_implILNS1_25lookback_scan_determinismE0ELb0ELb0ES3_N6thrust23THRUST_200600_302600_NS6detail15normal_iteratorINS9_10device_ptrIiEEEENS9_16discard_iteratorINS9_11use_defaultEEEiNS9_4plusIvEEiEEDaPvRmT3_T4_T5_mT6_P12ihipStream_tbENKUlT_T0_E_clISt17integral_constantIbLb1EESW_IbLb0EEEEDaSS_ST_EUlSS_E0_NS1_11comp_targetILNS1_3genE10ELNS1_11target_archE1201ELNS1_3gpuE5ELNS1_3repE0EEENS1_30default_config_static_selectorELNS0_4arch9wavefront6targetE1EEEvT1_
                                        ; -- End function
	.section	.AMDGPU.csdata,"",@progbits
; Kernel info:
; codeLenInByte = 0
; NumSgprs: 4
; NumVgprs: 0
; NumAgprs: 0
; TotalNumVgprs: 0
; ScratchSize: 0
; MemoryBound: 0
; FloatMode: 240
; IeeeMode: 1
; LDSByteSize: 0 bytes/workgroup (compile time only)
; SGPRBlocks: 0
; VGPRBlocks: 0
; NumSGPRsForWavesPerEU: 4
; NumVGPRsForWavesPerEU: 1
; AccumOffset: 4
; Occupancy: 8
; WaveLimiterHint : 0
; COMPUTE_PGM_RSRC2:SCRATCH_EN: 0
; COMPUTE_PGM_RSRC2:USER_SGPR: 6
; COMPUTE_PGM_RSRC2:TRAP_HANDLER: 0
; COMPUTE_PGM_RSRC2:TGID_X_EN: 1
; COMPUTE_PGM_RSRC2:TGID_Y_EN: 0
; COMPUTE_PGM_RSRC2:TGID_Z_EN: 0
; COMPUTE_PGM_RSRC2:TIDIG_COMP_CNT: 0
; COMPUTE_PGM_RSRC3_GFX90A:ACCUM_OFFSET: 0
; COMPUTE_PGM_RSRC3_GFX90A:TG_SPLIT: 0
	.section	.text._ZN7rocprim17ROCPRIM_400000_NS6detail17trampoline_kernelINS0_14default_configENS1_20scan_config_selectorIiEEZZNS1_9scan_implILNS1_25lookback_scan_determinismE0ELb0ELb0ES3_N6thrust23THRUST_200600_302600_NS6detail15normal_iteratorINS9_10device_ptrIiEEEENS9_16discard_iteratorINS9_11use_defaultEEEiNS9_4plusIvEEiEEDaPvRmT3_T4_T5_mT6_P12ihipStream_tbENKUlT_T0_E_clISt17integral_constantIbLb1EESW_IbLb0EEEEDaSS_ST_EUlSS_E0_NS1_11comp_targetILNS1_3genE10ELNS1_11target_archE1200ELNS1_3gpuE4ELNS1_3repE0EEENS1_30default_config_static_selectorELNS0_4arch9wavefront6targetE1EEEvT1_,"axG",@progbits,_ZN7rocprim17ROCPRIM_400000_NS6detail17trampoline_kernelINS0_14default_configENS1_20scan_config_selectorIiEEZZNS1_9scan_implILNS1_25lookback_scan_determinismE0ELb0ELb0ES3_N6thrust23THRUST_200600_302600_NS6detail15normal_iteratorINS9_10device_ptrIiEEEENS9_16discard_iteratorINS9_11use_defaultEEEiNS9_4plusIvEEiEEDaPvRmT3_T4_T5_mT6_P12ihipStream_tbENKUlT_T0_E_clISt17integral_constantIbLb1EESW_IbLb0EEEEDaSS_ST_EUlSS_E0_NS1_11comp_targetILNS1_3genE10ELNS1_11target_archE1200ELNS1_3gpuE4ELNS1_3repE0EEENS1_30default_config_static_selectorELNS0_4arch9wavefront6targetE1EEEvT1_,comdat
	.protected	_ZN7rocprim17ROCPRIM_400000_NS6detail17trampoline_kernelINS0_14default_configENS1_20scan_config_selectorIiEEZZNS1_9scan_implILNS1_25lookback_scan_determinismE0ELb0ELb0ES3_N6thrust23THRUST_200600_302600_NS6detail15normal_iteratorINS9_10device_ptrIiEEEENS9_16discard_iteratorINS9_11use_defaultEEEiNS9_4plusIvEEiEEDaPvRmT3_T4_T5_mT6_P12ihipStream_tbENKUlT_T0_E_clISt17integral_constantIbLb1EESW_IbLb0EEEEDaSS_ST_EUlSS_E0_NS1_11comp_targetILNS1_3genE10ELNS1_11target_archE1200ELNS1_3gpuE4ELNS1_3repE0EEENS1_30default_config_static_selectorELNS0_4arch9wavefront6targetE1EEEvT1_ ; -- Begin function _ZN7rocprim17ROCPRIM_400000_NS6detail17trampoline_kernelINS0_14default_configENS1_20scan_config_selectorIiEEZZNS1_9scan_implILNS1_25lookback_scan_determinismE0ELb0ELb0ES3_N6thrust23THRUST_200600_302600_NS6detail15normal_iteratorINS9_10device_ptrIiEEEENS9_16discard_iteratorINS9_11use_defaultEEEiNS9_4plusIvEEiEEDaPvRmT3_T4_T5_mT6_P12ihipStream_tbENKUlT_T0_E_clISt17integral_constantIbLb1EESW_IbLb0EEEEDaSS_ST_EUlSS_E0_NS1_11comp_targetILNS1_3genE10ELNS1_11target_archE1200ELNS1_3gpuE4ELNS1_3repE0EEENS1_30default_config_static_selectorELNS0_4arch9wavefront6targetE1EEEvT1_
	.globl	_ZN7rocprim17ROCPRIM_400000_NS6detail17trampoline_kernelINS0_14default_configENS1_20scan_config_selectorIiEEZZNS1_9scan_implILNS1_25lookback_scan_determinismE0ELb0ELb0ES3_N6thrust23THRUST_200600_302600_NS6detail15normal_iteratorINS9_10device_ptrIiEEEENS9_16discard_iteratorINS9_11use_defaultEEEiNS9_4plusIvEEiEEDaPvRmT3_T4_T5_mT6_P12ihipStream_tbENKUlT_T0_E_clISt17integral_constantIbLb1EESW_IbLb0EEEEDaSS_ST_EUlSS_E0_NS1_11comp_targetILNS1_3genE10ELNS1_11target_archE1200ELNS1_3gpuE4ELNS1_3repE0EEENS1_30default_config_static_selectorELNS0_4arch9wavefront6targetE1EEEvT1_
	.p2align	8
	.type	_ZN7rocprim17ROCPRIM_400000_NS6detail17trampoline_kernelINS0_14default_configENS1_20scan_config_selectorIiEEZZNS1_9scan_implILNS1_25lookback_scan_determinismE0ELb0ELb0ES3_N6thrust23THRUST_200600_302600_NS6detail15normal_iteratorINS9_10device_ptrIiEEEENS9_16discard_iteratorINS9_11use_defaultEEEiNS9_4plusIvEEiEEDaPvRmT3_T4_T5_mT6_P12ihipStream_tbENKUlT_T0_E_clISt17integral_constantIbLb1EESW_IbLb0EEEEDaSS_ST_EUlSS_E0_NS1_11comp_targetILNS1_3genE10ELNS1_11target_archE1200ELNS1_3gpuE4ELNS1_3repE0EEENS1_30default_config_static_selectorELNS0_4arch9wavefront6targetE1EEEvT1_,@function
_ZN7rocprim17ROCPRIM_400000_NS6detail17trampoline_kernelINS0_14default_configENS1_20scan_config_selectorIiEEZZNS1_9scan_implILNS1_25lookback_scan_determinismE0ELb0ELb0ES3_N6thrust23THRUST_200600_302600_NS6detail15normal_iteratorINS9_10device_ptrIiEEEENS9_16discard_iteratorINS9_11use_defaultEEEiNS9_4plusIvEEiEEDaPvRmT3_T4_T5_mT6_P12ihipStream_tbENKUlT_T0_E_clISt17integral_constantIbLb1EESW_IbLb0EEEEDaSS_ST_EUlSS_E0_NS1_11comp_targetILNS1_3genE10ELNS1_11target_archE1200ELNS1_3gpuE4ELNS1_3repE0EEENS1_30default_config_static_selectorELNS0_4arch9wavefront6targetE1EEEvT1_: ; @_ZN7rocprim17ROCPRIM_400000_NS6detail17trampoline_kernelINS0_14default_configENS1_20scan_config_selectorIiEEZZNS1_9scan_implILNS1_25lookback_scan_determinismE0ELb0ELb0ES3_N6thrust23THRUST_200600_302600_NS6detail15normal_iteratorINS9_10device_ptrIiEEEENS9_16discard_iteratorINS9_11use_defaultEEEiNS9_4plusIvEEiEEDaPvRmT3_T4_T5_mT6_P12ihipStream_tbENKUlT_T0_E_clISt17integral_constantIbLb1EESW_IbLb0EEEEDaSS_ST_EUlSS_E0_NS1_11comp_targetILNS1_3genE10ELNS1_11target_archE1200ELNS1_3gpuE4ELNS1_3repE0EEENS1_30default_config_static_selectorELNS0_4arch9wavefront6targetE1EEEvT1_
; %bb.0:
	.section	.rodata,"a",@progbits
	.p2align	6, 0x0
	.amdhsa_kernel _ZN7rocprim17ROCPRIM_400000_NS6detail17trampoline_kernelINS0_14default_configENS1_20scan_config_selectorIiEEZZNS1_9scan_implILNS1_25lookback_scan_determinismE0ELb0ELb0ES3_N6thrust23THRUST_200600_302600_NS6detail15normal_iteratorINS9_10device_ptrIiEEEENS9_16discard_iteratorINS9_11use_defaultEEEiNS9_4plusIvEEiEEDaPvRmT3_T4_T5_mT6_P12ihipStream_tbENKUlT_T0_E_clISt17integral_constantIbLb1EESW_IbLb0EEEEDaSS_ST_EUlSS_E0_NS1_11comp_targetILNS1_3genE10ELNS1_11target_archE1200ELNS1_3gpuE4ELNS1_3repE0EEENS1_30default_config_static_selectorELNS0_4arch9wavefront6targetE1EEEvT1_
		.amdhsa_group_segment_fixed_size 0
		.amdhsa_private_segment_fixed_size 0
		.amdhsa_kernarg_size 40
		.amdhsa_user_sgpr_count 6
		.amdhsa_user_sgpr_private_segment_buffer 1
		.amdhsa_user_sgpr_dispatch_ptr 0
		.amdhsa_user_sgpr_queue_ptr 0
		.amdhsa_user_sgpr_kernarg_segment_ptr 1
		.amdhsa_user_sgpr_dispatch_id 0
		.amdhsa_user_sgpr_flat_scratch_init 0
		.amdhsa_user_sgpr_kernarg_preload_length 0
		.amdhsa_user_sgpr_kernarg_preload_offset 0
		.amdhsa_user_sgpr_private_segment_size 0
		.amdhsa_uses_dynamic_stack 0
		.amdhsa_system_sgpr_private_segment_wavefront_offset 0
		.amdhsa_system_sgpr_workgroup_id_x 1
		.amdhsa_system_sgpr_workgroup_id_y 0
		.amdhsa_system_sgpr_workgroup_id_z 0
		.amdhsa_system_sgpr_workgroup_info 0
		.amdhsa_system_vgpr_workitem_id 0
		.amdhsa_next_free_vgpr 1
		.amdhsa_next_free_sgpr 0
		.amdhsa_accum_offset 4
		.amdhsa_reserve_vcc 0
		.amdhsa_reserve_flat_scratch 0
		.amdhsa_float_round_mode_32 0
		.amdhsa_float_round_mode_16_64 0
		.amdhsa_float_denorm_mode_32 3
		.amdhsa_float_denorm_mode_16_64 3
		.amdhsa_dx10_clamp 1
		.amdhsa_ieee_mode 1
		.amdhsa_fp16_overflow 0
		.amdhsa_tg_split 0
		.amdhsa_exception_fp_ieee_invalid_op 0
		.amdhsa_exception_fp_denorm_src 0
		.amdhsa_exception_fp_ieee_div_zero 0
		.amdhsa_exception_fp_ieee_overflow 0
		.amdhsa_exception_fp_ieee_underflow 0
		.amdhsa_exception_fp_ieee_inexact 0
		.amdhsa_exception_int_div_zero 0
	.end_amdhsa_kernel
	.section	.text._ZN7rocprim17ROCPRIM_400000_NS6detail17trampoline_kernelINS0_14default_configENS1_20scan_config_selectorIiEEZZNS1_9scan_implILNS1_25lookback_scan_determinismE0ELb0ELb0ES3_N6thrust23THRUST_200600_302600_NS6detail15normal_iteratorINS9_10device_ptrIiEEEENS9_16discard_iteratorINS9_11use_defaultEEEiNS9_4plusIvEEiEEDaPvRmT3_T4_T5_mT6_P12ihipStream_tbENKUlT_T0_E_clISt17integral_constantIbLb1EESW_IbLb0EEEEDaSS_ST_EUlSS_E0_NS1_11comp_targetILNS1_3genE10ELNS1_11target_archE1200ELNS1_3gpuE4ELNS1_3repE0EEENS1_30default_config_static_selectorELNS0_4arch9wavefront6targetE1EEEvT1_,"axG",@progbits,_ZN7rocprim17ROCPRIM_400000_NS6detail17trampoline_kernelINS0_14default_configENS1_20scan_config_selectorIiEEZZNS1_9scan_implILNS1_25lookback_scan_determinismE0ELb0ELb0ES3_N6thrust23THRUST_200600_302600_NS6detail15normal_iteratorINS9_10device_ptrIiEEEENS9_16discard_iteratorINS9_11use_defaultEEEiNS9_4plusIvEEiEEDaPvRmT3_T4_T5_mT6_P12ihipStream_tbENKUlT_T0_E_clISt17integral_constantIbLb1EESW_IbLb0EEEEDaSS_ST_EUlSS_E0_NS1_11comp_targetILNS1_3genE10ELNS1_11target_archE1200ELNS1_3gpuE4ELNS1_3repE0EEENS1_30default_config_static_selectorELNS0_4arch9wavefront6targetE1EEEvT1_,comdat
.Lfunc_end5777:
	.size	_ZN7rocprim17ROCPRIM_400000_NS6detail17trampoline_kernelINS0_14default_configENS1_20scan_config_selectorIiEEZZNS1_9scan_implILNS1_25lookback_scan_determinismE0ELb0ELb0ES3_N6thrust23THRUST_200600_302600_NS6detail15normal_iteratorINS9_10device_ptrIiEEEENS9_16discard_iteratorINS9_11use_defaultEEEiNS9_4plusIvEEiEEDaPvRmT3_T4_T5_mT6_P12ihipStream_tbENKUlT_T0_E_clISt17integral_constantIbLb1EESW_IbLb0EEEEDaSS_ST_EUlSS_E0_NS1_11comp_targetILNS1_3genE10ELNS1_11target_archE1200ELNS1_3gpuE4ELNS1_3repE0EEENS1_30default_config_static_selectorELNS0_4arch9wavefront6targetE1EEEvT1_, .Lfunc_end5777-_ZN7rocprim17ROCPRIM_400000_NS6detail17trampoline_kernelINS0_14default_configENS1_20scan_config_selectorIiEEZZNS1_9scan_implILNS1_25lookback_scan_determinismE0ELb0ELb0ES3_N6thrust23THRUST_200600_302600_NS6detail15normal_iteratorINS9_10device_ptrIiEEEENS9_16discard_iteratorINS9_11use_defaultEEEiNS9_4plusIvEEiEEDaPvRmT3_T4_T5_mT6_P12ihipStream_tbENKUlT_T0_E_clISt17integral_constantIbLb1EESW_IbLb0EEEEDaSS_ST_EUlSS_E0_NS1_11comp_targetILNS1_3genE10ELNS1_11target_archE1200ELNS1_3gpuE4ELNS1_3repE0EEENS1_30default_config_static_selectorELNS0_4arch9wavefront6targetE1EEEvT1_
                                        ; -- End function
	.section	.AMDGPU.csdata,"",@progbits
; Kernel info:
; codeLenInByte = 0
; NumSgprs: 4
; NumVgprs: 0
; NumAgprs: 0
; TotalNumVgprs: 0
; ScratchSize: 0
; MemoryBound: 0
; FloatMode: 240
; IeeeMode: 1
; LDSByteSize: 0 bytes/workgroup (compile time only)
; SGPRBlocks: 0
; VGPRBlocks: 0
; NumSGPRsForWavesPerEU: 4
; NumVGPRsForWavesPerEU: 1
; AccumOffset: 4
; Occupancy: 8
; WaveLimiterHint : 0
; COMPUTE_PGM_RSRC2:SCRATCH_EN: 0
; COMPUTE_PGM_RSRC2:USER_SGPR: 6
; COMPUTE_PGM_RSRC2:TRAP_HANDLER: 0
; COMPUTE_PGM_RSRC2:TGID_X_EN: 1
; COMPUTE_PGM_RSRC2:TGID_Y_EN: 0
; COMPUTE_PGM_RSRC2:TGID_Z_EN: 0
; COMPUTE_PGM_RSRC2:TIDIG_COMP_CNT: 0
; COMPUTE_PGM_RSRC3_GFX90A:ACCUM_OFFSET: 0
; COMPUTE_PGM_RSRC3_GFX90A:TG_SPLIT: 0
	.section	.text._ZN7rocprim17ROCPRIM_400000_NS6detail17trampoline_kernelINS0_14default_configENS1_20scan_config_selectorIiEEZZNS1_9scan_implILNS1_25lookback_scan_determinismE0ELb0ELb0ES3_N6thrust23THRUST_200600_302600_NS6detail15normal_iteratorINS9_10device_ptrIiEEEENS9_16discard_iteratorINS9_11use_defaultEEEiNS9_4plusIvEEiEEDaPvRmT3_T4_T5_mT6_P12ihipStream_tbENKUlT_T0_E_clISt17integral_constantIbLb1EESW_IbLb0EEEEDaSS_ST_EUlSS_E0_NS1_11comp_targetILNS1_3genE9ELNS1_11target_archE1100ELNS1_3gpuE3ELNS1_3repE0EEENS1_30default_config_static_selectorELNS0_4arch9wavefront6targetE1EEEvT1_,"axG",@progbits,_ZN7rocprim17ROCPRIM_400000_NS6detail17trampoline_kernelINS0_14default_configENS1_20scan_config_selectorIiEEZZNS1_9scan_implILNS1_25lookback_scan_determinismE0ELb0ELb0ES3_N6thrust23THRUST_200600_302600_NS6detail15normal_iteratorINS9_10device_ptrIiEEEENS9_16discard_iteratorINS9_11use_defaultEEEiNS9_4plusIvEEiEEDaPvRmT3_T4_T5_mT6_P12ihipStream_tbENKUlT_T0_E_clISt17integral_constantIbLb1EESW_IbLb0EEEEDaSS_ST_EUlSS_E0_NS1_11comp_targetILNS1_3genE9ELNS1_11target_archE1100ELNS1_3gpuE3ELNS1_3repE0EEENS1_30default_config_static_selectorELNS0_4arch9wavefront6targetE1EEEvT1_,comdat
	.protected	_ZN7rocprim17ROCPRIM_400000_NS6detail17trampoline_kernelINS0_14default_configENS1_20scan_config_selectorIiEEZZNS1_9scan_implILNS1_25lookback_scan_determinismE0ELb0ELb0ES3_N6thrust23THRUST_200600_302600_NS6detail15normal_iteratorINS9_10device_ptrIiEEEENS9_16discard_iteratorINS9_11use_defaultEEEiNS9_4plusIvEEiEEDaPvRmT3_T4_T5_mT6_P12ihipStream_tbENKUlT_T0_E_clISt17integral_constantIbLb1EESW_IbLb0EEEEDaSS_ST_EUlSS_E0_NS1_11comp_targetILNS1_3genE9ELNS1_11target_archE1100ELNS1_3gpuE3ELNS1_3repE0EEENS1_30default_config_static_selectorELNS0_4arch9wavefront6targetE1EEEvT1_ ; -- Begin function _ZN7rocprim17ROCPRIM_400000_NS6detail17trampoline_kernelINS0_14default_configENS1_20scan_config_selectorIiEEZZNS1_9scan_implILNS1_25lookback_scan_determinismE0ELb0ELb0ES3_N6thrust23THRUST_200600_302600_NS6detail15normal_iteratorINS9_10device_ptrIiEEEENS9_16discard_iteratorINS9_11use_defaultEEEiNS9_4plusIvEEiEEDaPvRmT3_T4_T5_mT6_P12ihipStream_tbENKUlT_T0_E_clISt17integral_constantIbLb1EESW_IbLb0EEEEDaSS_ST_EUlSS_E0_NS1_11comp_targetILNS1_3genE9ELNS1_11target_archE1100ELNS1_3gpuE3ELNS1_3repE0EEENS1_30default_config_static_selectorELNS0_4arch9wavefront6targetE1EEEvT1_
	.globl	_ZN7rocprim17ROCPRIM_400000_NS6detail17trampoline_kernelINS0_14default_configENS1_20scan_config_selectorIiEEZZNS1_9scan_implILNS1_25lookback_scan_determinismE0ELb0ELb0ES3_N6thrust23THRUST_200600_302600_NS6detail15normal_iteratorINS9_10device_ptrIiEEEENS9_16discard_iteratorINS9_11use_defaultEEEiNS9_4plusIvEEiEEDaPvRmT3_T4_T5_mT6_P12ihipStream_tbENKUlT_T0_E_clISt17integral_constantIbLb1EESW_IbLb0EEEEDaSS_ST_EUlSS_E0_NS1_11comp_targetILNS1_3genE9ELNS1_11target_archE1100ELNS1_3gpuE3ELNS1_3repE0EEENS1_30default_config_static_selectorELNS0_4arch9wavefront6targetE1EEEvT1_
	.p2align	8
	.type	_ZN7rocprim17ROCPRIM_400000_NS6detail17trampoline_kernelINS0_14default_configENS1_20scan_config_selectorIiEEZZNS1_9scan_implILNS1_25lookback_scan_determinismE0ELb0ELb0ES3_N6thrust23THRUST_200600_302600_NS6detail15normal_iteratorINS9_10device_ptrIiEEEENS9_16discard_iteratorINS9_11use_defaultEEEiNS9_4plusIvEEiEEDaPvRmT3_T4_T5_mT6_P12ihipStream_tbENKUlT_T0_E_clISt17integral_constantIbLb1EESW_IbLb0EEEEDaSS_ST_EUlSS_E0_NS1_11comp_targetILNS1_3genE9ELNS1_11target_archE1100ELNS1_3gpuE3ELNS1_3repE0EEENS1_30default_config_static_selectorELNS0_4arch9wavefront6targetE1EEEvT1_,@function
_ZN7rocprim17ROCPRIM_400000_NS6detail17trampoline_kernelINS0_14default_configENS1_20scan_config_selectorIiEEZZNS1_9scan_implILNS1_25lookback_scan_determinismE0ELb0ELb0ES3_N6thrust23THRUST_200600_302600_NS6detail15normal_iteratorINS9_10device_ptrIiEEEENS9_16discard_iteratorINS9_11use_defaultEEEiNS9_4plusIvEEiEEDaPvRmT3_T4_T5_mT6_P12ihipStream_tbENKUlT_T0_E_clISt17integral_constantIbLb1EESW_IbLb0EEEEDaSS_ST_EUlSS_E0_NS1_11comp_targetILNS1_3genE9ELNS1_11target_archE1100ELNS1_3gpuE3ELNS1_3repE0EEENS1_30default_config_static_selectorELNS0_4arch9wavefront6targetE1EEEvT1_: ; @_ZN7rocprim17ROCPRIM_400000_NS6detail17trampoline_kernelINS0_14default_configENS1_20scan_config_selectorIiEEZZNS1_9scan_implILNS1_25lookback_scan_determinismE0ELb0ELb0ES3_N6thrust23THRUST_200600_302600_NS6detail15normal_iteratorINS9_10device_ptrIiEEEENS9_16discard_iteratorINS9_11use_defaultEEEiNS9_4plusIvEEiEEDaPvRmT3_T4_T5_mT6_P12ihipStream_tbENKUlT_T0_E_clISt17integral_constantIbLb1EESW_IbLb0EEEEDaSS_ST_EUlSS_E0_NS1_11comp_targetILNS1_3genE9ELNS1_11target_archE1100ELNS1_3gpuE3ELNS1_3repE0EEENS1_30default_config_static_selectorELNS0_4arch9wavefront6targetE1EEEvT1_
; %bb.0:
	.section	.rodata,"a",@progbits
	.p2align	6, 0x0
	.amdhsa_kernel _ZN7rocprim17ROCPRIM_400000_NS6detail17trampoline_kernelINS0_14default_configENS1_20scan_config_selectorIiEEZZNS1_9scan_implILNS1_25lookback_scan_determinismE0ELb0ELb0ES3_N6thrust23THRUST_200600_302600_NS6detail15normal_iteratorINS9_10device_ptrIiEEEENS9_16discard_iteratorINS9_11use_defaultEEEiNS9_4plusIvEEiEEDaPvRmT3_T4_T5_mT6_P12ihipStream_tbENKUlT_T0_E_clISt17integral_constantIbLb1EESW_IbLb0EEEEDaSS_ST_EUlSS_E0_NS1_11comp_targetILNS1_3genE9ELNS1_11target_archE1100ELNS1_3gpuE3ELNS1_3repE0EEENS1_30default_config_static_selectorELNS0_4arch9wavefront6targetE1EEEvT1_
		.amdhsa_group_segment_fixed_size 0
		.amdhsa_private_segment_fixed_size 0
		.amdhsa_kernarg_size 40
		.amdhsa_user_sgpr_count 6
		.amdhsa_user_sgpr_private_segment_buffer 1
		.amdhsa_user_sgpr_dispatch_ptr 0
		.amdhsa_user_sgpr_queue_ptr 0
		.amdhsa_user_sgpr_kernarg_segment_ptr 1
		.amdhsa_user_sgpr_dispatch_id 0
		.amdhsa_user_sgpr_flat_scratch_init 0
		.amdhsa_user_sgpr_kernarg_preload_length 0
		.amdhsa_user_sgpr_kernarg_preload_offset 0
		.amdhsa_user_sgpr_private_segment_size 0
		.amdhsa_uses_dynamic_stack 0
		.amdhsa_system_sgpr_private_segment_wavefront_offset 0
		.amdhsa_system_sgpr_workgroup_id_x 1
		.amdhsa_system_sgpr_workgroup_id_y 0
		.amdhsa_system_sgpr_workgroup_id_z 0
		.amdhsa_system_sgpr_workgroup_info 0
		.amdhsa_system_vgpr_workitem_id 0
		.amdhsa_next_free_vgpr 1
		.amdhsa_next_free_sgpr 0
		.amdhsa_accum_offset 4
		.amdhsa_reserve_vcc 0
		.amdhsa_reserve_flat_scratch 0
		.amdhsa_float_round_mode_32 0
		.amdhsa_float_round_mode_16_64 0
		.amdhsa_float_denorm_mode_32 3
		.amdhsa_float_denorm_mode_16_64 3
		.amdhsa_dx10_clamp 1
		.amdhsa_ieee_mode 1
		.amdhsa_fp16_overflow 0
		.amdhsa_tg_split 0
		.amdhsa_exception_fp_ieee_invalid_op 0
		.amdhsa_exception_fp_denorm_src 0
		.amdhsa_exception_fp_ieee_div_zero 0
		.amdhsa_exception_fp_ieee_overflow 0
		.amdhsa_exception_fp_ieee_underflow 0
		.amdhsa_exception_fp_ieee_inexact 0
		.amdhsa_exception_int_div_zero 0
	.end_amdhsa_kernel
	.section	.text._ZN7rocprim17ROCPRIM_400000_NS6detail17trampoline_kernelINS0_14default_configENS1_20scan_config_selectorIiEEZZNS1_9scan_implILNS1_25lookback_scan_determinismE0ELb0ELb0ES3_N6thrust23THRUST_200600_302600_NS6detail15normal_iteratorINS9_10device_ptrIiEEEENS9_16discard_iteratorINS9_11use_defaultEEEiNS9_4plusIvEEiEEDaPvRmT3_T4_T5_mT6_P12ihipStream_tbENKUlT_T0_E_clISt17integral_constantIbLb1EESW_IbLb0EEEEDaSS_ST_EUlSS_E0_NS1_11comp_targetILNS1_3genE9ELNS1_11target_archE1100ELNS1_3gpuE3ELNS1_3repE0EEENS1_30default_config_static_selectorELNS0_4arch9wavefront6targetE1EEEvT1_,"axG",@progbits,_ZN7rocprim17ROCPRIM_400000_NS6detail17trampoline_kernelINS0_14default_configENS1_20scan_config_selectorIiEEZZNS1_9scan_implILNS1_25lookback_scan_determinismE0ELb0ELb0ES3_N6thrust23THRUST_200600_302600_NS6detail15normal_iteratorINS9_10device_ptrIiEEEENS9_16discard_iteratorINS9_11use_defaultEEEiNS9_4plusIvEEiEEDaPvRmT3_T4_T5_mT6_P12ihipStream_tbENKUlT_T0_E_clISt17integral_constantIbLb1EESW_IbLb0EEEEDaSS_ST_EUlSS_E0_NS1_11comp_targetILNS1_3genE9ELNS1_11target_archE1100ELNS1_3gpuE3ELNS1_3repE0EEENS1_30default_config_static_selectorELNS0_4arch9wavefront6targetE1EEEvT1_,comdat
.Lfunc_end5778:
	.size	_ZN7rocprim17ROCPRIM_400000_NS6detail17trampoline_kernelINS0_14default_configENS1_20scan_config_selectorIiEEZZNS1_9scan_implILNS1_25lookback_scan_determinismE0ELb0ELb0ES3_N6thrust23THRUST_200600_302600_NS6detail15normal_iteratorINS9_10device_ptrIiEEEENS9_16discard_iteratorINS9_11use_defaultEEEiNS9_4plusIvEEiEEDaPvRmT3_T4_T5_mT6_P12ihipStream_tbENKUlT_T0_E_clISt17integral_constantIbLb1EESW_IbLb0EEEEDaSS_ST_EUlSS_E0_NS1_11comp_targetILNS1_3genE9ELNS1_11target_archE1100ELNS1_3gpuE3ELNS1_3repE0EEENS1_30default_config_static_selectorELNS0_4arch9wavefront6targetE1EEEvT1_, .Lfunc_end5778-_ZN7rocprim17ROCPRIM_400000_NS6detail17trampoline_kernelINS0_14default_configENS1_20scan_config_selectorIiEEZZNS1_9scan_implILNS1_25lookback_scan_determinismE0ELb0ELb0ES3_N6thrust23THRUST_200600_302600_NS6detail15normal_iteratorINS9_10device_ptrIiEEEENS9_16discard_iteratorINS9_11use_defaultEEEiNS9_4plusIvEEiEEDaPvRmT3_T4_T5_mT6_P12ihipStream_tbENKUlT_T0_E_clISt17integral_constantIbLb1EESW_IbLb0EEEEDaSS_ST_EUlSS_E0_NS1_11comp_targetILNS1_3genE9ELNS1_11target_archE1100ELNS1_3gpuE3ELNS1_3repE0EEENS1_30default_config_static_selectorELNS0_4arch9wavefront6targetE1EEEvT1_
                                        ; -- End function
	.section	.AMDGPU.csdata,"",@progbits
; Kernel info:
; codeLenInByte = 0
; NumSgprs: 4
; NumVgprs: 0
; NumAgprs: 0
; TotalNumVgprs: 0
; ScratchSize: 0
; MemoryBound: 0
; FloatMode: 240
; IeeeMode: 1
; LDSByteSize: 0 bytes/workgroup (compile time only)
; SGPRBlocks: 0
; VGPRBlocks: 0
; NumSGPRsForWavesPerEU: 4
; NumVGPRsForWavesPerEU: 1
; AccumOffset: 4
; Occupancy: 8
; WaveLimiterHint : 0
; COMPUTE_PGM_RSRC2:SCRATCH_EN: 0
; COMPUTE_PGM_RSRC2:USER_SGPR: 6
; COMPUTE_PGM_RSRC2:TRAP_HANDLER: 0
; COMPUTE_PGM_RSRC2:TGID_X_EN: 1
; COMPUTE_PGM_RSRC2:TGID_Y_EN: 0
; COMPUTE_PGM_RSRC2:TGID_Z_EN: 0
; COMPUTE_PGM_RSRC2:TIDIG_COMP_CNT: 0
; COMPUTE_PGM_RSRC3_GFX90A:ACCUM_OFFSET: 0
; COMPUTE_PGM_RSRC3_GFX90A:TG_SPLIT: 0
	.section	.text._ZN7rocprim17ROCPRIM_400000_NS6detail17trampoline_kernelINS0_14default_configENS1_20scan_config_selectorIiEEZZNS1_9scan_implILNS1_25lookback_scan_determinismE0ELb0ELb0ES3_N6thrust23THRUST_200600_302600_NS6detail15normal_iteratorINS9_10device_ptrIiEEEENS9_16discard_iteratorINS9_11use_defaultEEEiNS9_4plusIvEEiEEDaPvRmT3_T4_T5_mT6_P12ihipStream_tbENKUlT_T0_E_clISt17integral_constantIbLb1EESW_IbLb0EEEEDaSS_ST_EUlSS_E0_NS1_11comp_targetILNS1_3genE8ELNS1_11target_archE1030ELNS1_3gpuE2ELNS1_3repE0EEENS1_30default_config_static_selectorELNS0_4arch9wavefront6targetE1EEEvT1_,"axG",@progbits,_ZN7rocprim17ROCPRIM_400000_NS6detail17trampoline_kernelINS0_14default_configENS1_20scan_config_selectorIiEEZZNS1_9scan_implILNS1_25lookback_scan_determinismE0ELb0ELb0ES3_N6thrust23THRUST_200600_302600_NS6detail15normal_iteratorINS9_10device_ptrIiEEEENS9_16discard_iteratorINS9_11use_defaultEEEiNS9_4plusIvEEiEEDaPvRmT3_T4_T5_mT6_P12ihipStream_tbENKUlT_T0_E_clISt17integral_constantIbLb1EESW_IbLb0EEEEDaSS_ST_EUlSS_E0_NS1_11comp_targetILNS1_3genE8ELNS1_11target_archE1030ELNS1_3gpuE2ELNS1_3repE0EEENS1_30default_config_static_selectorELNS0_4arch9wavefront6targetE1EEEvT1_,comdat
	.protected	_ZN7rocprim17ROCPRIM_400000_NS6detail17trampoline_kernelINS0_14default_configENS1_20scan_config_selectorIiEEZZNS1_9scan_implILNS1_25lookback_scan_determinismE0ELb0ELb0ES3_N6thrust23THRUST_200600_302600_NS6detail15normal_iteratorINS9_10device_ptrIiEEEENS9_16discard_iteratorINS9_11use_defaultEEEiNS9_4plusIvEEiEEDaPvRmT3_T4_T5_mT6_P12ihipStream_tbENKUlT_T0_E_clISt17integral_constantIbLb1EESW_IbLb0EEEEDaSS_ST_EUlSS_E0_NS1_11comp_targetILNS1_3genE8ELNS1_11target_archE1030ELNS1_3gpuE2ELNS1_3repE0EEENS1_30default_config_static_selectorELNS0_4arch9wavefront6targetE1EEEvT1_ ; -- Begin function _ZN7rocprim17ROCPRIM_400000_NS6detail17trampoline_kernelINS0_14default_configENS1_20scan_config_selectorIiEEZZNS1_9scan_implILNS1_25lookback_scan_determinismE0ELb0ELb0ES3_N6thrust23THRUST_200600_302600_NS6detail15normal_iteratorINS9_10device_ptrIiEEEENS9_16discard_iteratorINS9_11use_defaultEEEiNS9_4plusIvEEiEEDaPvRmT3_T4_T5_mT6_P12ihipStream_tbENKUlT_T0_E_clISt17integral_constantIbLb1EESW_IbLb0EEEEDaSS_ST_EUlSS_E0_NS1_11comp_targetILNS1_3genE8ELNS1_11target_archE1030ELNS1_3gpuE2ELNS1_3repE0EEENS1_30default_config_static_selectorELNS0_4arch9wavefront6targetE1EEEvT1_
	.globl	_ZN7rocprim17ROCPRIM_400000_NS6detail17trampoline_kernelINS0_14default_configENS1_20scan_config_selectorIiEEZZNS1_9scan_implILNS1_25lookback_scan_determinismE0ELb0ELb0ES3_N6thrust23THRUST_200600_302600_NS6detail15normal_iteratorINS9_10device_ptrIiEEEENS9_16discard_iteratorINS9_11use_defaultEEEiNS9_4plusIvEEiEEDaPvRmT3_T4_T5_mT6_P12ihipStream_tbENKUlT_T0_E_clISt17integral_constantIbLb1EESW_IbLb0EEEEDaSS_ST_EUlSS_E0_NS1_11comp_targetILNS1_3genE8ELNS1_11target_archE1030ELNS1_3gpuE2ELNS1_3repE0EEENS1_30default_config_static_selectorELNS0_4arch9wavefront6targetE1EEEvT1_
	.p2align	8
	.type	_ZN7rocprim17ROCPRIM_400000_NS6detail17trampoline_kernelINS0_14default_configENS1_20scan_config_selectorIiEEZZNS1_9scan_implILNS1_25lookback_scan_determinismE0ELb0ELb0ES3_N6thrust23THRUST_200600_302600_NS6detail15normal_iteratorINS9_10device_ptrIiEEEENS9_16discard_iteratorINS9_11use_defaultEEEiNS9_4plusIvEEiEEDaPvRmT3_T4_T5_mT6_P12ihipStream_tbENKUlT_T0_E_clISt17integral_constantIbLb1EESW_IbLb0EEEEDaSS_ST_EUlSS_E0_NS1_11comp_targetILNS1_3genE8ELNS1_11target_archE1030ELNS1_3gpuE2ELNS1_3repE0EEENS1_30default_config_static_selectorELNS0_4arch9wavefront6targetE1EEEvT1_,@function
_ZN7rocprim17ROCPRIM_400000_NS6detail17trampoline_kernelINS0_14default_configENS1_20scan_config_selectorIiEEZZNS1_9scan_implILNS1_25lookback_scan_determinismE0ELb0ELb0ES3_N6thrust23THRUST_200600_302600_NS6detail15normal_iteratorINS9_10device_ptrIiEEEENS9_16discard_iteratorINS9_11use_defaultEEEiNS9_4plusIvEEiEEDaPvRmT3_T4_T5_mT6_P12ihipStream_tbENKUlT_T0_E_clISt17integral_constantIbLb1EESW_IbLb0EEEEDaSS_ST_EUlSS_E0_NS1_11comp_targetILNS1_3genE8ELNS1_11target_archE1030ELNS1_3gpuE2ELNS1_3repE0EEENS1_30default_config_static_selectorELNS0_4arch9wavefront6targetE1EEEvT1_: ; @_ZN7rocprim17ROCPRIM_400000_NS6detail17trampoline_kernelINS0_14default_configENS1_20scan_config_selectorIiEEZZNS1_9scan_implILNS1_25lookback_scan_determinismE0ELb0ELb0ES3_N6thrust23THRUST_200600_302600_NS6detail15normal_iteratorINS9_10device_ptrIiEEEENS9_16discard_iteratorINS9_11use_defaultEEEiNS9_4plusIvEEiEEDaPvRmT3_T4_T5_mT6_P12ihipStream_tbENKUlT_T0_E_clISt17integral_constantIbLb1EESW_IbLb0EEEEDaSS_ST_EUlSS_E0_NS1_11comp_targetILNS1_3genE8ELNS1_11target_archE1030ELNS1_3gpuE2ELNS1_3repE0EEENS1_30default_config_static_selectorELNS0_4arch9wavefront6targetE1EEEvT1_
; %bb.0:
	.section	.rodata,"a",@progbits
	.p2align	6, 0x0
	.amdhsa_kernel _ZN7rocprim17ROCPRIM_400000_NS6detail17trampoline_kernelINS0_14default_configENS1_20scan_config_selectorIiEEZZNS1_9scan_implILNS1_25lookback_scan_determinismE0ELb0ELb0ES3_N6thrust23THRUST_200600_302600_NS6detail15normal_iteratorINS9_10device_ptrIiEEEENS9_16discard_iteratorINS9_11use_defaultEEEiNS9_4plusIvEEiEEDaPvRmT3_T4_T5_mT6_P12ihipStream_tbENKUlT_T0_E_clISt17integral_constantIbLb1EESW_IbLb0EEEEDaSS_ST_EUlSS_E0_NS1_11comp_targetILNS1_3genE8ELNS1_11target_archE1030ELNS1_3gpuE2ELNS1_3repE0EEENS1_30default_config_static_selectorELNS0_4arch9wavefront6targetE1EEEvT1_
		.amdhsa_group_segment_fixed_size 0
		.amdhsa_private_segment_fixed_size 0
		.amdhsa_kernarg_size 40
		.amdhsa_user_sgpr_count 6
		.amdhsa_user_sgpr_private_segment_buffer 1
		.amdhsa_user_sgpr_dispatch_ptr 0
		.amdhsa_user_sgpr_queue_ptr 0
		.amdhsa_user_sgpr_kernarg_segment_ptr 1
		.amdhsa_user_sgpr_dispatch_id 0
		.amdhsa_user_sgpr_flat_scratch_init 0
		.amdhsa_user_sgpr_kernarg_preload_length 0
		.amdhsa_user_sgpr_kernarg_preload_offset 0
		.amdhsa_user_sgpr_private_segment_size 0
		.amdhsa_uses_dynamic_stack 0
		.amdhsa_system_sgpr_private_segment_wavefront_offset 0
		.amdhsa_system_sgpr_workgroup_id_x 1
		.amdhsa_system_sgpr_workgroup_id_y 0
		.amdhsa_system_sgpr_workgroup_id_z 0
		.amdhsa_system_sgpr_workgroup_info 0
		.amdhsa_system_vgpr_workitem_id 0
		.amdhsa_next_free_vgpr 1
		.amdhsa_next_free_sgpr 0
		.amdhsa_accum_offset 4
		.amdhsa_reserve_vcc 0
		.amdhsa_reserve_flat_scratch 0
		.amdhsa_float_round_mode_32 0
		.amdhsa_float_round_mode_16_64 0
		.amdhsa_float_denorm_mode_32 3
		.amdhsa_float_denorm_mode_16_64 3
		.amdhsa_dx10_clamp 1
		.amdhsa_ieee_mode 1
		.amdhsa_fp16_overflow 0
		.amdhsa_tg_split 0
		.amdhsa_exception_fp_ieee_invalid_op 0
		.amdhsa_exception_fp_denorm_src 0
		.amdhsa_exception_fp_ieee_div_zero 0
		.amdhsa_exception_fp_ieee_overflow 0
		.amdhsa_exception_fp_ieee_underflow 0
		.amdhsa_exception_fp_ieee_inexact 0
		.amdhsa_exception_int_div_zero 0
	.end_amdhsa_kernel
	.section	.text._ZN7rocprim17ROCPRIM_400000_NS6detail17trampoline_kernelINS0_14default_configENS1_20scan_config_selectorIiEEZZNS1_9scan_implILNS1_25lookback_scan_determinismE0ELb0ELb0ES3_N6thrust23THRUST_200600_302600_NS6detail15normal_iteratorINS9_10device_ptrIiEEEENS9_16discard_iteratorINS9_11use_defaultEEEiNS9_4plusIvEEiEEDaPvRmT3_T4_T5_mT6_P12ihipStream_tbENKUlT_T0_E_clISt17integral_constantIbLb1EESW_IbLb0EEEEDaSS_ST_EUlSS_E0_NS1_11comp_targetILNS1_3genE8ELNS1_11target_archE1030ELNS1_3gpuE2ELNS1_3repE0EEENS1_30default_config_static_selectorELNS0_4arch9wavefront6targetE1EEEvT1_,"axG",@progbits,_ZN7rocprim17ROCPRIM_400000_NS6detail17trampoline_kernelINS0_14default_configENS1_20scan_config_selectorIiEEZZNS1_9scan_implILNS1_25lookback_scan_determinismE0ELb0ELb0ES3_N6thrust23THRUST_200600_302600_NS6detail15normal_iteratorINS9_10device_ptrIiEEEENS9_16discard_iteratorINS9_11use_defaultEEEiNS9_4plusIvEEiEEDaPvRmT3_T4_T5_mT6_P12ihipStream_tbENKUlT_T0_E_clISt17integral_constantIbLb1EESW_IbLb0EEEEDaSS_ST_EUlSS_E0_NS1_11comp_targetILNS1_3genE8ELNS1_11target_archE1030ELNS1_3gpuE2ELNS1_3repE0EEENS1_30default_config_static_selectorELNS0_4arch9wavefront6targetE1EEEvT1_,comdat
.Lfunc_end5779:
	.size	_ZN7rocprim17ROCPRIM_400000_NS6detail17trampoline_kernelINS0_14default_configENS1_20scan_config_selectorIiEEZZNS1_9scan_implILNS1_25lookback_scan_determinismE0ELb0ELb0ES3_N6thrust23THRUST_200600_302600_NS6detail15normal_iteratorINS9_10device_ptrIiEEEENS9_16discard_iteratorINS9_11use_defaultEEEiNS9_4plusIvEEiEEDaPvRmT3_T4_T5_mT6_P12ihipStream_tbENKUlT_T0_E_clISt17integral_constantIbLb1EESW_IbLb0EEEEDaSS_ST_EUlSS_E0_NS1_11comp_targetILNS1_3genE8ELNS1_11target_archE1030ELNS1_3gpuE2ELNS1_3repE0EEENS1_30default_config_static_selectorELNS0_4arch9wavefront6targetE1EEEvT1_, .Lfunc_end5779-_ZN7rocprim17ROCPRIM_400000_NS6detail17trampoline_kernelINS0_14default_configENS1_20scan_config_selectorIiEEZZNS1_9scan_implILNS1_25lookback_scan_determinismE0ELb0ELb0ES3_N6thrust23THRUST_200600_302600_NS6detail15normal_iteratorINS9_10device_ptrIiEEEENS9_16discard_iteratorINS9_11use_defaultEEEiNS9_4plusIvEEiEEDaPvRmT3_T4_T5_mT6_P12ihipStream_tbENKUlT_T0_E_clISt17integral_constantIbLb1EESW_IbLb0EEEEDaSS_ST_EUlSS_E0_NS1_11comp_targetILNS1_3genE8ELNS1_11target_archE1030ELNS1_3gpuE2ELNS1_3repE0EEENS1_30default_config_static_selectorELNS0_4arch9wavefront6targetE1EEEvT1_
                                        ; -- End function
	.section	.AMDGPU.csdata,"",@progbits
; Kernel info:
; codeLenInByte = 0
; NumSgprs: 4
; NumVgprs: 0
; NumAgprs: 0
; TotalNumVgprs: 0
; ScratchSize: 0
; MemoryBound: 0
; FloatMode: 240
; IeeeMode: 1
; LDSByteSize: 0 bytes/workgroup (compile time only)
; SGPRBlocks: 0
; VGPRBlocks: 0
; NumSGPRsForWavesPerEU: 4
; NumVGPRsForWavesPerEU: 1
; AccumOffset: 4
; Occupancy: 8
; WaveLimiterHint : 0
; COMPUTE_PGM_RSRC2:SCRATCH_EN: 0
; COMPUTE_PGM_RSRC2:USER_SGPR: 6
; COMPUTE_PGM_RSRC2:TRAP_HANDLER: 0
; COMPUTE_PGM_RSRC2:TGID_X_EN: 1
; COMPUTE_PGM_RSRC2:TGID_Y_EN: 0
; COMPUTE_PGM_RSRC2:TGID_Z_EN: 0
; COMPUTE_PGM_RSRC2:TIDIG_COMP_CNT: 0
; COMPUTE_PGM_RSRC3_GFX90A:ACCUM_OFFSET: 0
; COMPUTE_PGM_RSRC3_GFX90A:TG_SPLIT: 0
	.section	.text._ZN7rocprim17ROCPRIM_400000_NS6detail17trampoline_kernelINS0_14default_configENS1_20scan_config_selectorIiEEZZNS1_9scan_implILNS1_25lookback_scan_determinismE0ELb0ELb0ES3_N6thrust23THRUST_200600_302600_NS6detail15normal_iteratorINS9_10device_ptrIiEEEENS9_16discard_iteratorINS9_11use_defaultEEEiNS9_4plusIvEEiEEDaPvRmT3_T4_T5_mT6_P12ihipStream_tbENKUlT_T0_E_clISt17integral_constantIbLb0EESW_IbLb1EEEEDaSS_ST_EUlSS_E_NS1_11comp_targetILNS1_3genE0ELNS1_11target_archE4294967295ELNS1_3gpuE0ELNS1_3repE0EEENS1_30default_config_static_selectorELNS0_4arch9wavefront6targetE1EEEvT1_,"axG",@progbits,_ZN7rocprim17ROCPRIM_400000_NS6detail17trampoline_kernelINS0_14default_configENS1_20scan_config_selectorIiEEZZNS1_9scan_implILNS1_25lookback_scan_determinismE0ELb0ELb0ES3_N6thrust23THRUST_200600_302600_NS6detail15normal_iteratorINS9_10device_ptrIiEEEENS9_16discard_iteratorINS9_11use_defaultEEEiNS9_4plusIvEEiEEDaPvRmT3_T4_T5_mT6_P12ihipStream_tbENKUlT_T0_E_clISt17integral_constantIbLb0EESW_IbLb1EEEEDaSS_ST_EUlSS_E_NS1_11comp_targetILNS1_3genE0ELNS1_11target_archE4294967295ELNS1_3gpuE0ELNS1_3repE0EEENS1_30default_config_static_selectorELNS0_4arch9wavefront6targetE1EEEvT1_,comdat
	.protected	_ZN7rocprim17ROCPRIM_400000_NS6detail17trampoline_kernelINS0_14default_configENS1_20scan_config_selectorIiEEZZNS1_9scan_implILNS1_25lookback_scan_determinismE0ELb0ELb0ES3_N6thrust23THRUST_200600_302600_NS6detail15normal_iteratorINS9_10device_ptrIiEEEENS9_16discard_iteratorINS9_11use_defaultEEEiNS9_4plusIvEEiEEDaPvRmT3_T4_T5_mT6_P12ihipStream_tbENKUlT_T0_E_clISt17integral_constantIbLb0EESW_IbLb1EEEEDaSS_ST_EUlSS_E_NS1_11comp_targetILNS1_3genE0ELNS1_11target_archE4294967295ELNS1_3gpuE0ELNS1_3repE0EEENS1_30default_config_static_selectorELNS0_4arch9wavefront6targetE1EEEvT1_ ; -- Begin function _ZN7rocprim17ROCPRIM_400000_NS6detail17trampoline_kernelINS0_14default_configENS1_20scan_config_selectorIiEEZZNS1_9scan_implILNS1_25lookback_scan_determinismE0ELb0ELb0ES3_N6thrust23THRUST_200600_302600_NS6detail15normal_iteratorINS9_10device_ptrIiEEEENS9_16discard_iteratorINS9_11use_defaultEEEiNS9_4plusIvEEiEEDaPvRmT3_T4_T5_mT6_P12ihipStream_tbENKUlT_T0_E_clISt17integral_constantIbLb0EESW_IbLb1EEEEDaSS_ST_EUlSS_E_NS1_11comp_targetILNS1_3genE0ELNS1_11target_archE4294967295ELNS1_3gpuE0ELNS1_3repE0EEENS1_30default_config_static_selectorELNS0_4arch9wavefront6targetE1EEEvT1_
	.globl	_ZN7rocprim17ROCPRIM_400000_NS6detail17trampoline_kernelINS0_14default_configENS1_20scan_config_selectorIiEEZZNS1_9scan_implILNS1_25lookback_scan_determinismE0ELb0ELb0ES3_N6thrust23THRUST_200600_302600_NS6detail15normal_iteratorINS9_10device_ptrIiEEEENS9_16discard_iteratorINS9_11use_defaultEEEiNS9_4plusIvEEiEEDaPvRmT3_T4_T5_mT6_P12ihipStream_tbENKUlT_T0_E_clISt17integral_constantIbLb0EESW_IbLb1EEEEDaSS_ST_EUlSS_E_NS1_11comp_targetILNS1_3genE0ELNS1_11target_archE4294967295ELNS1_3gpuE0ELNS1_3repE0EEENS1_30default_config_static_selectorELNS0_4arch9wavefront6targetE1EEEvT1_
	.p2align	8
	.type	_ZN7rocprim17ROCPRIM_400000_NS6detail17trampoline_kernelINS0_14default_configENS1_20scan_config_selectorIiEEZZNS1_9scan_implILNS1_25lookback_scan_determinismE0ELb0ELb0ES3_N6thrust23THRUST_200600_302600_NS6detail15normal_iteratorINS9_10device_ptrIiEEEENS9_16discard_iteratorINS9_11use_defaultEEEiNS9_4plusIvEEiEEDaPvRmT3_T4_T5_mT6_P12ihipStream_tbENKUlT_T0_E_clISt17integral_constantIbLb0EESW_IbLb1EEEEDaSS_ST_EUlSS_E_NS1_11comp_targetILNS1_3genE0ELNS1_11target_archE4294967295ELNS1_3gpuE0ELNS1_3repE0EEENS1_30default_config_static_selectorELNS0_4arch9wavefront6targetE1EEEvT1_,@function
_ZN7rocprim17ROCPRIM_400000_NS6detail17trampoline_kernelINS0_14default_configENS1_20scan_config_selectorIiEEZZNS1_9scan_implILNS1_25lookback_scan_determinismE0ELb0ELb0ES3_N6thrust23THRUST_200600_302600_NS6detail15normal_iteratorINS9_10device_ptrIiEEEENS9_16discard_iteratorINS9_11use_defaultEEEiNS9_4plusIvEEiEEDaPvRmT3_T4_T5_mT6_P12ihipStream_tbENKUlT_T0_E_clISt17integral_constantIbLb0EESW_IbLb1EEEEDaSS_ST_EUlSS_E_NS1_11comp_targetILNS1_3genE0ELNS1_11target_archE4294967295ELNS1_3gpuE0ELNS1_3repE0EEENS1_30default_config_static_selectorELNS0_4arch9wavefront6targetE1EEEvT1_: ; @_ZN7rocprim17ROCPRIM_400000_NS6detail17trampoline_kernelINS0_14default_configENS1_20scan_config_selectorIiEEZZNS1_9scan_implILNS1_25lookback_scan_determinismE0ELb0ELb0ES3_N6thrust23THRUST_200600_302600_NS6detail15normal_iteratorINS9_10device_ptrIiEEEENS9_16discard_iteratorINS9_11use_defaultEEEiNS9_4plusIvEEiEEDaPvRmT3_T4_T5_mT6_P12ihipStream_tbENKUlT_T0_E_clISt17integral_constantIbLb0EESW_IbLb1EEEEDaSS_ST_EUlSS_E_NS1_11comp_targetILNS1_3genE0ELNS1_11target_archE4294967295ELNS1_3gpuE0ELNS1_3repE0EEENS1_30default_config_static_selectorELNS0_4arch9wavefront6targetE1EEEvT1_
; %bb.0:
	.section	.rodata,"a",@progbits
	.p2align	6, 0x0
	.amdhsa_kernel _ZN7rocprim17ROCPRIM_400000_NS6detail17trampoline_kernelINS0_14default_configENS1_20scan_config_selectorIiEEZZNS1_9scan_implILNS1_25lookback_scan_determinismE0ELb0ELb0ES3_N6thrust23THRUST_200600_302600_NS6detail15normal_iteratorINS9_10device_ptrIiEEEENS9_16discard_iteratorINS9_11use_defaultEEEiNS9_4plusIvEEiEEDaPvRmT3_T4_T5_mT6_P12ihipStream_tbENKUlT_T0_E_clISt17integral_constantIbLb0EESW_IbLb1EEEEDaSS_ST_EUlSS_E_NS1_11comp_targetILNS1_3genE0ELNS1_11target_archE4294967295ELNS1_3gpuE0ELNS1_3repE0EEENS1_30default_config_static_selectorELNS0_4arch9wavefront6targetE1EEEvT1_
		.amdhsa_group_segment_fixed_size 0
		.amdhsa_private_segment_fixed_size 0
		.amdhsa_kernarg_size 104
		.amdhsa_user_sgpr_count 6
		.amdhsa_user_sgpr_private_segment_buffer 1
		.amdhsa_user_sgpr_dispatch_ptr 0
		.amdhsa_user_sgpr_queue_ptr 0
		.amdhsa_user_sgpr_kernarg_segment_ptr 1
		.amdhsa_user_sgpr_dispatch_id 0
		.amdhsa_user_sgpr_flat_scratch_init 0
		.amdhsa_user_sgpr_kernarg_preload_length 0
		.amdhsa_user_sgpr_kernarg_preload_offset 0
		.amdhsa_user_sgpr_private_segment_size 0
		.amdhsa_uses_dynamic_stack 0
		.amdhsa_system_sgpr_private_segment_wavefront_offset 0
		.amdhsa_system_sgpr_workgroup_id_x 1
		.amdhsa_system_sgpr_workgroup_id_y 0
		.amdhsa_system_sgpr_workgroup_id_z 0
		.amdhsa_system_sgpr_workgroup_info 0
		.amdhsa_system_vgpr_workitem_id 0
		.amdhsa_next_free_vgpr 1
		.amdhsa_next_free_sgpr 0
		.amdhsa_accum_offset 4
		.amdhsa_reserve_vcc 0
		.amdhsa_reserve_flat_scratch 0
		.amdhsa_float_round_mode_32 0
		.amdhsa_float_round_mode_16_64 0
		.amdhsa_float_denorm_mode_32 3
		.amdhsa_float_denorm_mode_16_64 3
		.amdhsa_dx10_clamp 1
		.amdhsa_ieee_mode 1
		.amdhsa_fp16_overflow 0
		.amdhsa_tg_split 0
		.amdhsa_exception_fp_ieee_invalid_op 0
		.amdhsa_exception_fp_denorm_src 0
		.amdhsa_exception_fp_ieee_div_zero 0
		.amdhsa_exception_fp_ieee_overflow 0
		.amdhsa_exception_fp_ieee_underflow 0
		.amdhsa_exception_fp_ieee_inexact 0
		.amdhsa_exception_int_div_zero 0
	.end_amdhsa_kernel
	.section	.text._ZN7rocprim17ROCPRIM_400000_NS6detail17trampoline_kernelINS0_14default_configENS1_20scan_config_selectorIiEEZZNS1_9scan_implILNS1_25lookback_scan_determinismE0ELb0ELb0ES3_N6thrust23THRUST_200600_302600_NS6detail15normal_iteratorINS9_10device_ptrIiEEEENS9_16discard_iteratorINS9_11use_defaultEEEiNS9_4plusIvEEiEEDaPvRmT3_T4_T5_mT6_P12ihipStream_tbENKUlT_T0_E_clISt17integral_constantIbLb0EESW_IbLb1EEEEDaSS_ST_EUlSS_E_NS1_11comp_targetILNS1_3genE0ELNS1_11target_archE4294967295ELNS1_3gpuE0ELNS1_3repE0EEENS1_30default_config_static_selectorELNS0_4arch9wavefront6targetE1EEEvT1_,"axG",@progbits,_ZN7rocprim17ROCPRIM_400000_NS6detail17trampoline_kernelINS0_14default_configENS1_20scan_config_selectorIiEEZZNS1_9scan_implILNS1_25lookback_scan_determinismE0ELb0ELb0ES3_N6thrust23THRUST_200600_302600_NS6detail15normal_iteratorINS9_10device_ptrIiEEEENS9_16discard_iteratorINS9_11use_defaultEEEiNS9_4plusIvEEiEEDaPvRmT3_T4_T5_mT6_P12ihipStream_tbENKUlT_T0_E_clISt17integral_constantIbLb0EESW_IbLb1EEEEDaSS_ST_EUlSS_E_NS1_11comp_targetILNS1_3genE0ELNS1_11target_archE4294967295ELNS1_3gpuE0ELNS1_3repE0EEENS1_30default_config_static_selectorELNS0_4arch9wavefront6targetE1EEEvT1_,comdat
.Lfunc_end5780:
	.size	_ZN7rocprim17ROCPRIM_400000_NS6detail17trampoline_kernelINS0_14default_configENS1_20scan_config_selectorIiEEZZNS1_9scan_implILNS1_25lookback_scan_determinismE0ELb0ELb0ES3_N6thrust23THRUST_200600_302600_NS6detail15normal_iteratorINS9_10device_ptrIiEEEENS9_16discard_iteratorINS9_11use_defaultEEEiNS9_4plusIvEEiEEDaPvRmT3_T4_T5_mT6_P12ihipStream_tbENKUlT_T0_E_clISt17integral_constantIbLb0EESW_IbLb1EEEEDaSS_ST_EUlSS_E_NS1_11comp_targetILNS1_3genE0ELNS1_11target_archE4294967295ELNS1_3gpuE0ELNS1_3repE0EEENS1_30default_config_static_selectorELNS0_4arch9wavefront6targetE1EEEvT1_, .Lfunc_end5780-_ZN7rocprim17ROCPRIM_400000_NS6detail17trampoline_kernelINS0_14default_configENS1_20scan_config_selectorIiEEZZNS1_9scan_implILNS1_25lookback_scan_determinismE0ELb0ELb0ES3_N6thrust23THRUST_200600_302600_NS6detail15normal_iteratorINS9_10device_ptrIiEEEENS9_16discard_iteratorINS9_11use_defaultEEEiNS9_4plusIvEEiEEDaPvRmT3_T4_T5_mT6_P12ihipStream_tbENKUlT_T0_E_clISt17integral_constantIbLb0EESW_IbLb1EEEEDaSS_ST_EUlSS_E_NS1_11comp_targetILNS1_3genE0ELNS1_11target_archE4294967295ELNS1_3gpuE0ELNS1_3repE0EEENS1_30default_config_static_selectorELNS0_4arch9wavefront6targetE1EEEvT1_
                                        ; -- End function
	.section	.AMDGPU.csdata,"",@progbits
; Kernel info:
; codeLenInByte = 0
; NumSgprs: 4
; NumVgprs: 0
; NumAgprs: 0
; TotalNumVgprs: 0
; ScratchSize: 0
; MemoryBound: 0
; FloatMode: 240
; IeeeMode: 1
; LDSByteSize: 0 bytes/workgroup (compile time only)
; SGPRBlocks: 0
; VGPRBlocks: 0
; NumSGPRsForWavesPerEU: 4
; NumVGPRsForWavesPerEU: 1
; AccumOffset: 4
; Occupancy: 8
; WaveLimiterHint : 0
; COMPUTE_PGM_RSRC2:SCRATCH_EN: 0
; COMPUTE_PGM_RSRC2:USER_SGPR: 6
; COMPUTE_PGM_RSRC2:TRAP_HANDLER: 0
; COMPUTE_PGM_RSRC2:TGID_X_EN: 1
; COMPUTE_PGM_RSRC2:TGID_Y_EN: 0
; COMPUTE_PGM_RSRC2:TGID_Z_EN: 0
; COMPUTE_PGM_RSRC2:TIDIG_COMP_CNT: 0
; COMPUTE_PGM_RSRC3_GFX90A:ACCUM_OFFSET: 0
; COMPUTE_PGM_RSRC3_GFX90A:TG_SPLIT: 0
	.section	.text._ZN7rocprim17ROCPRIM_400000_NS6detail17trampoline_kernelINS0_14default_configENS1_20scan_config_selectorIiEEZZNS1_9scan_implILNS1_25lookback_scan_determinismE0ELb0ELb0ES3_N6thrust23THRUST_200600_302600_NS6detail15normal_iteratorINS9_10device_ptrIiEEEENS9_16discard_iteratorINS9_11use_defaultEEEiNS9_4plusIvEEiEEDaPvRmT3_T4_T5_mT6_P12ihipStream_tbENKUlT_T0_E_clISt17integral_constantIbLb0EESW_IbLb1EEEEDaSS_ST_EUlSS_E_NS1_11comp_targetILNS1_3genE5ELNS1_11target_archE942ELNS1_3gpuE9ELNS1_3repE0EEENS1_30default_config_static_selectorELNS0_4arch9wavefront6targetE1EEEvT1_,"axG",@progbits,_ZN7rocprim17ROCPRIM_400000_NS6detail17trampoline_kernelINS0_14default_configENS1_20scan_config_selectorIiEEZZNS1_9scan_implILNS1_25lookback_scan_determinismE0ELb0ELb0ES3_N6thrust23THRUST_200600_302600_NS6detail15normal_iteratorINS9_10device_ptrIiEEEENS9_16discard_iteratorINS9_11use_defaultEEEiNS9_4plusIvEEiEEDaPvRmT3_T4_T5_mT6_P12ihipStream_tbENKUlT_T0_E_clISt17integral_constantIbLb0EESW_IbLb1EEEEDaSS_ST_EUlSS_E_NS1_11comp_targetILNS1_3genE5ELNS1_11target_archE942ELNS1_3gpuE9ELNS1_3repE0EEENS1_30default_config_static_selectorELNS0_4arch9wavefront6targetE1EEEvT1_,comdat
	.protected	_ZN7rocprim17ROCPRIM_400000_NS6detail17trampoline_kernelINS0_14default_configENS1_20scan_config_selectorIiEEZZNS1_9scan_implILNS1_25lookback_scan_determinismE0ELb0ELb0ES3_N6thrust23THRUST_200600_302600_NS6detail15normal_iteratorINS9_10device_ptrIiEEEENS9_16discard_iteratorINS9_11use_defaultEEEiNS9_4plusIvEEiEEDaPvRmT3_T4_T5_mT6_P12ihipStream_tbENKUlT_T0_E_clISt17integral_constantIbLb0EESW_IbLb1EEEEDaSS_ST_EUlSS_E_NS1_11comp_targetILNS1_3genE5ELNS1_11target_archE942ELNS1_3gpuE9ELNS1_3repE0EEENS1_30default_config_static_selectorELNS0_4arch9wavefront6targetE1EEEvT1_ ; -- Begin function _ZN7rocprim17ROCPRIM_400000_NS6detail17trampoline_kernelINS0_14default_configENS1_20scan_config_selectorIiEEZZNS1_9scan_implILNS1_25lookback_scan_determinismE0ELb0ELb0ES3_N6thrust23THRUST_200600_302600_NS6detail15normal_iteratorINS9_10device_ptrIiEEEENS9_16discard_iteratorINS9_11use_defaultEEEiNS9_4plusIvEEiEEDaPvRmT3_T4_T5_mT6_P12ihipStream_tbENKUlT_T0_E_clISt17integral_constantIbLb0EESW_IbLb1EEEEDaSS_ST_EUlSS_E_NS1_11comp_targetILNS1_3genE5ELNS1_11target_archE942ELNS1_3gpuE9ELNS1_3repE0EEENS1_30default_config_static_selectorELNS0_4arch9wavefront6targetE1EEEvT1_
	.globl	_ZN7rocprim17ROCPRIM_400000_NS6detail17trampoline_kernelINS0_14default_configENS1_20scan_config_selectorIiEEZZNS1_9scan_implILNS1_25lookback_scan_determinismE0ELb0ELb0ES3_N6thrust23THRUST_200600_302600_NS6detail15normal_iteratorINS9_10device_ptrIiEEEENS9_16discard_iteratorINS9_11use_defaultEEEiNS9_4plusIvEEiEEDaPvRmT3_T4_T5_mT6_P12ihipStream_tbENKUlT_T0_E_clISt17integral_constantIbLb0EESW_IbLb1EEEEDaSS_ST_EUlSS_E_NS1_11comp_targetILNS1_3genE5ELNS1_11target_archE942ELNS1_3gpuE9ELNS1_3repE0EEENS1_30default_config_static_selectorELNS0_4arch9wavefront6targetE1EEEvT1_
	.p2align	8
	.type	_ZN7rocprim17ROCPRIM_400000_NS6detail17trampoline_kernelINS0_14default_configENS1_20scan_config_selectorIiEEZZNS1_9scan_implILNS1_25lookback_scan_determinismE0ELb0ELb0ES3_N6thrust23THRUST_200600_302600_NS6detail15normal_iteratorINS9_10device_ptrIiEEEENS9_16discard_iteratorINS9_11use_defaultEEEiNS9_4plusIvEEiEEDaPvRmT3_T4_T5_mT6_P12ihipStream_tbENKUlT_T0_E_clISt17integral_constantIbLb0EESW_IbLb1EEEEDaSS_ST_EUlSS_E_NS1_11comp_targetILNS1_3genE5ELNS1_11target_archE942ELNS1_3gpuE9ELNS1_3repE0EEENS1_30default_config_static_selectorELNS0_4arch9wavefront6targetE1EEEvT1_,@function
_ZN7rocprim17ROCPRIM_400000_NS6detail17trampoline_kernelINS0_14default_configENS1_20scan_config_selectorIiEEZZNS1_9scan_implILNS1_25lookback_scan_determinismE0ELb0ELb0ES3_N6thrust23THRUST_200600_302600_NS6detail15normal_iteratorINS9_10device_ptrIiEEEENS9_16discard_iteratorINS9_11use_defaultEEEiNS9_4plusIvEEiEEDaPvRmT3_T4_T5_mT6_P12ihipStream_tbENKUlT_T0_E_clISt17integral_constantIbLb0EESW_IbLb1EEEEDaSS_ST_EUlSS_E_NS1_11comp_targetILNS1_3genE5ELNS1_11target_archE942ELNS1_3gpuE9ELNS1_3repE0EEENS1_30default_config_static_selectorELNS0_4arch9wavefront6targetE1EEEvT1_: ; @_ZN7rocprim17ROCPRIM_400000_NS6detail17trampoline_kernelINS0_14default_configENS1_20scan_config_selectorIiEEZZNS1_9scan_implILNS1_25lookback_scan_determinismE0ELb0ELb0ES3_N6thrust23THRUST_200600_302600_NS6detail15normal_iteratorINS9_10device_ptrIiEEEENS9_16discard_iteratorINS9_11use_defaultEEEiNS9_4plusIvEEiEEDaPvRmT3_T4_T5_mT6_P12ihipStream_tbENKUlT_T0_E_clISt17integral_constantIbLb0EESW_IbLb1EEEEDaSS_ST_EUlSS_E_NS1_11comp_targetILNS1_3genE5ELNS1_11target_archE942ELNS1_3gpuE9ELNS1_3repE0EEENS1_30default_config_static_selectorELNS0_4arch9wavefront6targetE1EEEvT1_
; %bb.0:
	.section	.rodata,"a",@progbits
	.p2align	6, 0x0
	.amdhsa_kernel _ZN7rocprim17ROCPRIM_400000_NS6detail17trampoline_kernelINS0_14default_configENS1_20scan_config_selectorIiEEZZNS1_9scan_implILNS1_25lookback_scan_determinismE0ELb0ELb0ES3_N6thrust23THRUST_200600_302600_NS6detail15normal_iteratorINS9_10device_ptrIiEEEENS9_16discard_iteratorINS9_11use_defaultEEEiNS9_4plusIvEEiEEDaPvRmT3_T4_T5_mT6_P12ihipStream_tbENKUlT_T0_E_clISt17integral_constantIbLb0EESW_IbLb1EEEEDaSS_ST_EUlSS_E_NS1_11comp_targetILNS1_3genE5ELNS1_11target_archE942ELNS1_3gpuE9ELNS1_3repE0EEENS1_30default_config_static_selectorELNS0_4arch9wavefront6targetE1EEEvT1_
		.amdhsa_group_segment_fixed_size 0
		.amdhsa_private_segment_fixed_size 0
		.amdhsa_kernarg_size 104
		.amdhsa_user_sgpr_count 6
		.amdhsa_user_sgpr_private_segment_buffer 1
		.amdhsa_user_sgpr_dispatch_ptr 0
		.amdhsa_user_sgpr_queue_ptr 0
		.amdhsa_user_sgpr_kernarg_segment_ptr 1
		.amdhsa_user_sgpr_dispatch_id 0
		.amdhsa_user_sgpr_flat_scratch_init 0
		.amdhsa_user_sgpr_kernarg_preload_length 0
		.amdhsa_user_sgpr_kernarg_preload_offset 0
		.amdhsa_user_sgpr_private_segment_size 0
		.amdhsa_uses_dynamic_stack 0
		.amdhsa_system_sgpr_private_segment_wavefront_offset 0
		.amdhsa_system_sgpr_workgroup_id_x 1
		.amdhsa_system_sgpr_workgroup_id_y 0
		.amdhsa_system_sgpr_workgroup_id_z 0
		.amdhsa_system_sgpr_workgroup_info 0
		.amdhsa_system_vgpr_workitem_id 0
		.amdhsa_next_free_vgpr 1
		.amdhsa_next_free_sgpr 0
		.amdhsa_accum_offset 4
		.amdhsa_reserve_vcc 0
		.amdhsa_reserve_flat_scratch 0
		.amdhsa_float_round_mode_32 0
		.amdhsa_float_round_mode_16_64 0
		.amdhsa_float_denorm_mode_32 3
		.amdhsa_float_denorm_mode_16_64 3
		.amdhsa_dx10_clamp 1
		.amdhsa_ieee_mode 1
		.amdhsa_fp16_overflow 0
		.amdhsa_tg_split 0
		.amdhsa_exception_fp_ieee_invalid_op 0
		.amdhsa_exception_fp_denorm_src 0
		.amdhsa_exception_fp_ieee_div_zero 0
		.amdhsa_exception_fp_ieee_overflow 0
		.amdhsa_exception_fp_ieee_underflow 0
		.amdhsa_exception_fp_ieee_inexact 0
		.amdhsa_exception_int_div_zero 0
	.end_amdhsa_kernel
	.section	.text._ZN7rocprim17ROCPRIM_400000_NS6detail17trampoline_kernelINS0_14default_configENS1_20scan_config_selectorIiEEZZNS1_9scan_implILNS1_25lookback_scan_determinismE0ELb0ELb0ES3_N6thrust23THRUST_200600_302600_NS6detail15normal_iteratorINS9_10device_ptrIiEEEENS9_16discard_iteratorINS9_11use_defaultEEEiNS9_4plusIvEEiEEDaPvRmT3_T4_T5_mT6_P12ihipStream_tbENKUlT_T0_E_clISt17integral_constantIbLb0EESW_IbLb1EEEEDaSS_ST_EUlSS_E_NS1_11comp_targetILNS1_3genE5ELNS1_11target_archE942ELNS1_3gpuE9ELNS1_3repE0EEENS1_30default_config_static_selectorELNS0_4arch9wavefront6targetE1EEEvT1_,"axG",@progbits,_ZN7rocprim17ROCPRIM_400000_NS6detail17trampoline_kernelINS0_14default_configENS1_20scan_config_selectorIiEEZZNS1_9scan_implILNS1_25lookback_scan_determinismE0ELb0ELb0ES3_N6thrust23THRUST_200600_302600_NS6detail15normal_iteratorINS9_10device_ptrIiEEEENS9_16discard_iteratorINS9_11use_defaultEEEiNS9_4plusIvEEiEEDaPvRmT3_T4_T5_mT6_P12ihipStream_tbENKUlT_T0_E_clISt17integral_constantIbLb0EESW_IbLb1EEEEDaSS_ST_EUlSS_E_NS1_11comp_targetILNS1_3genE5ELNS1_11target_archE942ELNS1_3gpuE9ELNS1_3repE0EEENS1_30default_config_static_selectorELNS0_4arch9wavefront6targetE1EEEvT1_,comdat
.Lfunc_end5781:
	.size	_ZN7rocprim17ROCPRIM_400000_NS6detail17trampoline_kernelINS0_14default_configENS1_20scan_config_selectorIiEEZZNS1_9scan_implILNS1_25lookback_scan_determinismE0ELb0ELb0ES3_N6thrust23THRUST_200600_302600_NS6detail15normal_iteratorINS9_10device_ptrIiEEEENS9_16discard_iteratorINS9_11use_defaultEEEiNS9_4plusIvEEiEEDaPvRmT3_T4_T5_mT6_P12ihipStream_tbENKUlT_T0_E_clISt17integral_constantIbLb0EESW_IbLb1EEEEDaSS_ST_EUlSS_E_NS1_11comp_targetILNS1_3genE5ELNS1_11target_archE942ELNS1_3gpuE9ELNS1_3repE0EEENS1_30default_config_static_selectorELNS0_4arch9wavefront6targetE1EEEvT1_, .Lfunc_end5781-_ZN7rocprim17ROCPRIM_400000_NS6detail17trampoline_kernelINS0_14default_configENS1_20scan_config_selectorIiEEZZNS1_9scan_implILNS1_25lookback_scan_determinismE0ELb0ELb0ES3_N6thrust23THRUST_200600_302600_NS6detail15normal_iteratorINS9_10device_ptrIiEEEENS9_16discard_iteratorINS9_11use_defaultEEEiNS9_4plusIvEEiEEDaPvRmT3_T4_T5_mT6_P12ihipStream_tbENKUlT_T0_E_clISt17integral_constantIbLb0EESW_IbLb1EEEEDaSS_ST_EUlSS_E_NS1_11comp_targetILNS1_3genE5ELNS1_11target_archE942ELNS1_3gpuE9ELNS1_3repE0EEENS1_30default_config_static_selectorELNS0_4arch9wavefront6targetE1EEEvT1_
                                        ; -- End function
	.section	.AMDGPU.csdata,"",@progbits
; Kernel info:
; codeLenInByte = 0
; NumSgprs: 4
; NumVgprs: 0
; NumAgprs: 0
; TotalNumVgprs: 0
; ScratchSize: 0
; MemoryBound: 0
; FloatMode: 240
; IeeeMode: 1
; LDSByteSize: 0 bytes/workgroup (compile time only)
; SGPRBlocks: 0
; VGPRBlocks: 0
; NumSGPRsForWavesPerEU: 4
; NumVGPRsForWavesPerEU: 1
; AccumOffset: 4
; Occupancy: 8
; WaveLimiterHint : 0
; COMPUTE_PGM_RSRC2:SCRATCH_EN: 0
; COMPUTE_PGM_RSRC2:USER_SGPR: 6
; COMPUTE_PGM_RSRC2:TRAP_HANDLER: 0
; COMPUTE_PGM_RSRC2:TGID_X_EN: 1
; COMPUTE_PGM_RSRC2:TGID_Y_EN: 0
; COMPUTE_PGM_RSRC2:TGID_Z_EN: 0
; COMPUTE_PGM_RSRC2:TIDIG_COMP_CNT: 0
; COMPUTE_PGM_RSRC3_GFX90A:ACCUM_OFFSET: 0
; COMPUTE_PGM_RSRC3_GFX90A:TG_SPLIT: 0
	.section	.text._ZN7rocprim17ROCPRIM_400000_NS6detail17trampoline_kernelINS0_14default_configENS1_20scan_config_selectorIiEEZZNS1_9scan_implILNS1_25lookback_scan_determinismE0ELb0ELb0ES3_N6thrust23THRUST_200600_302600_NS6detail15normal_iteratorINS9_10device_ptrIiEEEENS9_16discard_iteratorINS9_11use_defaultEEEiNS9_4plusIvEEiEEDaPvRmT3_T4_T5_mT6_P12ihipStream_tbENKUlT_T0_E_clISt17integral_constantIbLb0EESW_IbLb1EEEEDaSS_ST_EUlSS_E_NS1_11comp_targetILNS1_3genE4ELNS1_11target_archE910ELNS1_3gpuE8ELNS1_3repE0EEENS1_30default_config_static_selectorELNS0_4arch9wavefront6targetE1EEEvT1_,"axG",@progbits,_ZN7rocprim17ROCPRIM_400000_NS6detail17trampoline_kernelINS0_14default_configENS1_20scan_config_selectorIiEEZZNS1_9scan_implILNS1_25lookback_scan_determinismE0ELb0ELb0ES3_N6thrust23THRUST_200600_302600_NS6detail15normal_iteratorINS9_10device_ptrIiEEEENS9_16discard_iteratorINS9_11use_defaultEEEiNS9_4plusIvEEiEEDaPvRmT3_T4_T5_mT6_P12ihipStream_tbENKUlT_T0_E_clISt17integral_constantIbLb0EESW_IbLb1EEEEDaSS_ST_EUlSS_E_NS1_11comp_targetILNS1_3genE4ELNS1_11target_archE910ELNS1_3gpuE8ELNS1_3repE0EEENS1_30default_config_static_selectorELNS0_4arch9wavefront6targetE1EEEvT1_,comdat
	.protected	_ZN7rocprim17ROCPRIM_400000_NS6detail17trampoline_kernelINS0_14default_configENS1_20scan_config_selectorIiEEZZNS1_9scan_implILNS1_25lookback_scan_determinismE0ELb0ELb0ES3_N6thrust23THRUST_200600_302600_NS6detail15normal_iteratorINS9_10device_ptrIiEEEENS9_16discard_iteratorINS9_11use_defaultEEEiNS9_4plusIvEEiEEDaPvRmT3_T4_T5_mT6_P12ihipStream_tbENKUlT_T0_E_clISt17integral_constantIbLb0EESW_IbLb1EEEEDaSS_ST_EUlSS_E_NS1_11comp_targetILNS1_3genE4ELNS1_11target_archE910ELNS1_3gpuE8ELNS1_3repE0EEENS1_30default_config_static_selectorELNS0_4arch9wavefront6targetE1EEEvT1_ ; -- Begin function _ZN7rocprim17ROCPRIM_400000_NS6detail17trampoline_kernelINS0_14default_configENS1_20scan_config_selectorIiEEZZNS1_9scan_implILNS1_25lookback_scan_determinismE0ELb0ELb0ES3_N6thrust23THRUST_200600_302600_NS6detail15normal_iteratorINS9_10device_ptrIiEEEENS9_16discard_iteratorINS9_11use_defaultEEEiNS9_4plusIvEEiEEDaPvRmT3_T4_T5_mT6_P12ihipStream_tbENKUlT_T0_E_clISt17integral_constantIbLb0EESW_IbLb1EEEEDaSS_ST_EUlSS_E_NS1_11comp_targetILNS1_3genE4ELNS1_11target_archE910ELNS1_3gpuE8ELNS1_3repE0EEENS1_30default_config_static_selectorELNS0_4arch9wavefront6targetE1EEEvT1_
	.globl	_ZN7rocprim17ROCPRIM_400000_NS6detail17trampoline_kernelINS0_14default_configENS1_20scan_config_selectorIiEEZZNS1_9scan_implILNS1_25lookback_scan_determinismE0ELb0ELb0ES3_N6thrust23THRUST_200600_302600_NS6detail15normal_iteratorINS9_10device_ptrIiEEEENS9_16discard_iteratorINS9_11use_defaultEEEiNS9_4plusIvEEiEEDaPvRmT3_T4_T5_mT6_P12ihipStream_tbENKUlT_T0_E_clISt17integral_constantIbLb0EESW_IbLb1EEEEDaSS_ST_EUlSS_E_NS1_11comp_targetILNS1_3genE4ELNS1_11target_archE910ELNS1_3gpuE8ELNS1_3repE0EEENS1_30default_config_static_selectorELNS0_4arch9wavefront6targetE1EEEvT1_
	.p2align	8
	.type	_ZN7rocprim17ROCPRIM_400000_NS6detail17trampoline_kernelINS0_14default_configENS1_20scan_config_selectorIiEEZZNS1_9scan_implILNS1_25lookback_scan_determinismE0ELb0ELb0ES3_N6thrust23THRUST_200600_302600_NS6detail15normal_iteratorINS9_10device_ptrIiEEEENS9_16discard_iteratorINS9_11use_defaultEEEiNS9_4plusIvEEiEEDaPvRmT3_T4_T5_mT6_P12ihipStream_tbENKUlT_T0_E_clISt17integral_constantIbLb0EESW_IbLb1EEEEDaSS_ST_EUlSS_E_NS1_11comp_targetILNS1_3genE4ELNS1_11target_archE910ELNS1_3gpuE8ELNS1_3repE0EEENS1_30default_config_static_selectorELNS0_4arch9wavefront6targetE1EEEvT1_,@function
_ZN7rocprim17ROCPRIM_400000_NS6detail17trampoline_kernelINS0_14default_configENS1_20scan_config_selectorIiEEZZNS1_9scan_implILNS1_25lookback_scan_determinismE0ELb0ELb0ES3_N6thrust23THRUST_200600_302600_NS6detail15normal_iteratorINS9_10device_ptrIiEEEENS9_16discard_iteratorINS9_11use_defaultEEEiNS9_4plusIvEEiEEDaPvRmT3_T4_T5_mT6_P12ihipStream_tbENKUlT_T0_E_clISt17integral_constantIbLb0EESW_IbLb1EEEEDaSS_ST_EUlSS_E_NS1_11comp_targetILNS1_3genE4ELNS1_11target_archE910ELNS1_3gpuE8ELNS1_3repE0EEENS1_30default_config_static_selectorELNS0_4arch9wavefront6targetE1EEEvT1_: ; @_ZN7rocprim17ROCPRIM_400000_NS6detail17trampoline_kernelINS0_14default_configENS1_20scan_config_selectorIiEEZZNS1_9scan_implILNS1_25lookback_scan_determinismE0ELb0ELb0ES3_N6thrust23THRUST_200600_302600_NS6detail15normal_iteratorINS9_10device_ptrIiEEEENS9_16discard_iteratorINS9_11use_defaultEEEiNS9_4plusIvEEiEEDaPvRmT3_T4_T5_mT6_P12ihipStream_tbENKUlT_T0_E_clISt17integral_constantIbLb0EESW_IbLb1EEEEDaSS_ST_EUlSS_E_NS1_11comp_targetILNS1_3genE4ELNS1_11target_archE910ELNS1_3gpuE8ELNS1_3repE0EEENS1_30default_config_static_selectorELNS0_4arch9wavefront6targetE1EEEvT1_
; %bb.0:
	s_load_dwordx2 s[20:21], s[4:5], 0x20
	s_load_dwordx2 s[6:7], s[4:5], 0x30
	v_cmp_ne_u32_e64 s[0:1], 0, v0
	v_cmp_eq_u32_e64 s[2:3], 0, v0
	s_and_saveexec_b64 s[8:9], s[2:3]
	s_cbranch_execz .LBB5782_4
; %bb.1:
	s_mov_b64 s[12:13], exec
	v_mbcnt_lo_u32_b32 v1, s12, 0
	v_mbcnt_hi_u32_b32 v1, s13, v1
	v_cmp_eq_u32_e32 vcc, 0, v1
                                        ; implicit-def: $vgpr2
	s_and_saveexec_b64 s[10:11], vcc
	s_cbranch_execz .LBB5782_3
; %bb.2:
	s_load_dwordx2 s[14:15], s[4:5], 0x60
	s_bcnt1_i32_b64 s12, s[12:13]
	v_mov_b32_e32 v2, 0
	v_mov_b32_e32 v3, s12
	s_waitcnt lgkmcnt(0)
	global_atomic_add v2, v2, v3, s[14:15] glc
.LBB5782_3:
	s_or_b64 exec, exec, s[10:11]
	s_waitcnt vmcnt(0)
	v_readfirstlane_b32 s10, v2
	v_add_u32_e32 v1, s10, v1
	v_mov_b32_e32 v2, 0
	ds_write_b32 v2, v1
.LBB5782_4:
	s_or_b64 exec, exec, s[8:9]
	v_mov_b32_e32 v3, 0
	s_load_dwordx4 s[16:19], s[4:5], 0x0
	s_load_dword s22, s[4:5], 0x38
	s_load_dwordx8 s[8:15], s[4:5], 0x40
	s_waitcnt lgkmcnt(0)
	s_barrier
	ds_read_b32 v1, v3
	s_lshl_b64 s[4:5], s[18:19], 2
	s_add_u32 s4, s16, s4
	s_movk_i32 s16, 0x500
	s_addc_u32 s5, s17, s5
	s_waitcnt lgkmcnt(0)
	v_mul_lo_u32 v2, v1, s16
	s_add_i32 s16, s22, -1
	s_mul_i32 s17, s16, 0x500
	s_sub_u32 s24, s20, s17
	v_readfirstlane_b32 s26, v1
	s_subb_u32 s25, s21, 0
	v_lshlrev_b64 v[2:3], 2, v[2:3]
	s_cmp_lg_u32 s26, s16
	v_mov_b32_e32 v1, s5
	v_add_co_u32_e32 v12, vcc, s4, v2
	s_cselect_b64 s[16:17], -1, 0
	v_addc_co_u32_e32 v13, vcc, v1, v3, vcc
	s_mov_b64 s[4:5], -1
	s_and_b64 vcc, exec, s[16:17]
	s_barrier
	s_cbranch_vccz .LBB5782_6
; %bb.5:
	v_lshlrev_b32_e32 v1, 2, v0
	v_add_co_u32_e32 v2, vcc, v12, v1
	v_addc_co_u32_e32 v3, vcc, 0, v13, vcc
	flat_load_dword v4, v[2:3]
	flat_load_dword v5, v[2:3] offset:512
	flat_load_dword v6, v[2:3] offset:1024
	;; [unrolled: 1-line block ×7, first 2 shown]
	v_add_co_u32_e32 v2, vcc, 0x1000, v2
	v_addc_co_u32_e32 v3, vcc, 0, v3, vcc
	flat_load_dword v14, v[2:3]
	flat_load_dword v15, v[2:3] offset:512
	s_mov_b64 s[4:5], 0
	s_waitcnt vmcnt(0) lgkmcnt(0)
	ds_write2st64_b32 v1, v4, v5 offset1:2
	ds_write2st64_b32 v1, v6, v7 offset0:4 offset1:6
	ds_write2st64_b32 v1, v8, v9 offset0:8 offset1:10
	;; [unrolled: 1-line block ×4, first 2 shown]
	s_waitcnt lgkmcnt(0)
	s_barrier
.LBB5782_6:
	s_andn2_b64 vcc, exec, s[4:5]
	s_cbranch_vccnz .LBB5782_28
; %bb.7:
	flat_load_dword v1, v[12:13]
	v_cmp_gt_u32_e32 vcc, s24, v0
	s_waitcnt vmcnt(0) lgkmcnt(0)
	v_mov_b32_e32 v2, v1
	v_mov_b32_e32 v3, v1
	;; [unrolled: 1-line block ×9, first 2 shown]
	s_and_saveexec_b64 s[4:5], vcc
	s_cbranch_execz .LBB5782_9
; %bb.8:
	v_lshlrev_b32_e32 v10, 2, v0
	v_add_co_u32_e32 v10, vcc, v12, v10
	v_addc_co_u32_e32 v11, vcc, 0, v13, vcc
	flat_load_dword v10, v[10:11]
.LBB5782_9:
	s_or_b64 exec, exec, s[4:5]
	v_or_b32_e32 v11, 0x80, v0
	v_cmp_gt_u32_e32 vcc, s24, v11
	s_and_saveexec_b64 s[4:5], vcc
	s_cbranch_execz .LBB5782_11
; %bb.10:
	v_lshlrev_b32_e32 v1, 2, v0
	v_add_co_u32_e32 v14, vcc, v12, v1
	v_addc_co_u32_e32 v15, vcc, 0, v13, vcc
	flat_load_dword v1, v[14:15] offset:512
.LBB5782_11:
	s_or_b64 exec, exec, s[4:5]
	v_or_b32_e32 v11, 0x100, v0
	v_cmp_gt_u32_e32 vcc, s24, v11
	s_and_saveexec_b64 s[4:5], vcc
	s_cbranch_execz .LBB5782_13
; %bb.12:
	v_lshlrev_b32_e32 v2, 2, v0
	v_add_co_u32_e32 v14, vcc, v12, v2
	v_addc_co_u32_e32 v15, vcc, 0, v13, vcc
	flat_load_dword v2, v[14:15] offset:1024
.LBB5782_13:
	;; [unrolled: 11-line block ×7, first 2 shown]
	s_or_b64 exec, exec, s[4:5]
	v_or_b32_e32 v11, 0x400, v0
	v_cmp_gt_u32_e32 vcc, s24, v11
	s_and_saveexec_b64 s[4:5], vcc
	s_cbranch_execz .LBB5782_25
; %bb.24:
	v_lshlrev_b32_e32 v8, 2, v11
	v_add_co_u32_e32 v14, vcc, v12, v8
	v_addc_co_u32_e32 v15, vcc, 0, v13, vcc
	flat_load_dword v8, v[14:15]
.LBB5782_25:
	s_or_b64 exec, exec, s[4:5]
	v_or_b32_e32 v11, 0x480, v0
	v_cmp_gt_u32_e32 vcc, s24, v11
	s_and_saveexec_b64 s[4:5], vcc
	s_cbranch_execz .LBB5782_27
; %bb.26:
	v_lshlrev_b32_e32 v9, 2, v11
	v_add_co_u32_e32 v12, vcc, v12, v9
	v_addc_co_u32_e32 v13, vcc, 0, v13, vcc
	flat_load_dword v9, v[12:13]
.LBB5782_27:
	s_or_b64 exec, exec, s[4:5]
	v_lshlrev_b32_e32 v11, 2, v0
	s_waitcnt vmcnt(0) lgkmcnt(0)
	ds_write2st64_b32 v11, v10, v1 offset1:2
	ds_write2st64_b32 v11, v2, v3 offset0:4 offset1:6
	ds_write2st64_b32 v11, v4, v5 offset0:8 offset1:10
	;; [unrolled: 1-line block ×4, first 2 shown]
	s_waitcnt lgkmcnt(0)
	s_barrier
.LBB5782_28:
	v_mul_u32_u24_e32 v22, 10, v0
	v_lshlrev_b32_e32 v1, 2, v22
	ds_read2_b64 v[2:5], v1 offset1:1
	ds_read2_b64 v[16:19], v1 offset0:2 offset1:3
	ds_read_b64 v[20:21], v1 offset:32
	s_cmp_lg_u32 s26, 0
	v_lshrrev_b32_e32 v23, 5, v0
	v_cmp_gt_u32_e32 vcc, 64, v0
	s_waitcnt lgkmcnt(0)
	s_barrier
	s_cbranch_scc0 .LBB5782_53
; %bb.29:
	v_add_u32_e32 v6, v3, v2
	v_add3_u32 v6, v6, v4, v5
	v_add3_u32 v6, v6, v16, v17
	;; [unrolled: 1-line block ×4, first 2 shown]
	v_add_lshl_u32 v7, v23, v0, 2
	ds_write_b32 v7, v6
	s_waitcnt lgkmcnt(0)
	s_barrier
	s_and_saveexec_b64 s[18:19], vcc
	s_cbranch_execz .LBB5782_31
; %bb.30:
	v_lshlrev_b32_e32 v7, 1, v0
	v_lshrrev_b32_e32 v8, 4, v0
	v_add_lshl_u32 v7, v8, v7, 2
	ds_read2_b32 v[8:9], v7 offset1:1
	v_mbcnt_lo_u32_b32 v10, -1, 0
	v_mbcnt_hi_u32_b32 v10, -1, v10
	v_and_b32_e32 v11, 15, v10
	v_cmp_ne_u32_e64 s[4:5], 0, v11
	s_waitcnt lgkmcnt(0)
	v_add_u32_e32 v9, v9, v8
	; wave barrier
	s_nop 1
	v_mov_b32_dpp v12, v9 row_shr:1 row_mask:0xf bank_mask:0xf
	v_cndmask_b32_e64 v12, 0, v12, s[4:5]
	v_add_u32_e32 v9, v12, v9
	v_cmp_lt_u32_e64 s[4:5], 1, v11
	s_nop 0
	v_mov_b32_dpp v12, v9 row_shr:2 row_mask:0xf bank_mask:0xf
	v_cndmask_b32_e64 v12, 0, v12, s[4:5]
	v_add_u32_e32 v9, v9, v12
	v_cmp_lt_u32_e64 s[4:5], 3, v11
	;; [unrolled: 5-line block ×3, first 2 shown]
	s_nop 0
	v_mov_b32_dpp v12, v9 row_shr:8 row_mask:0xf bank_mask:0xf
	v_cndmask_b32_e64 v11, 0, v12, s[4:5]
	v_add_u32_e32 v9, v9, v11
	v_bfe_i32 v12, v10, 4, 1
	v_cmp_lt_u32_e64 s[4:5], 31, v10
	v_mov_b32_dpp v11, v9 row_bcast:15 row_mask:0xf bank_mask:0xf
	v_and_b32_e32 v11, v12, v11
	v_add_u32_e32 v9, v9, v11
	v_and_b32_e32 v12, 64, v10
	s_nop 0
	v_mov_b32_dpp v11, v9 row_bcast:31 row_mask:0xf bank_mask:0xf
	v_cndmask_b32_e64 v11, 0, v11, s[4:5]
	v_add_u32_e32 v9, v9, v11
	v_add_u32_e32 v11, -1, v10
	v_cmp_lt_i32_e64 s[4:5], v11, v12
	v_cndmask_b32_e64 v10, v11, v10, s[4:5]
	v_lshlrev_b32_e32 v10, 2, v10
	ds_bpermute_b32 v9, v10, v9
	s_waitcnt lgkmcnt(0)
	v_add_u32_e32 v8, v9, v8
	v_cndmask_b32_e64 v6, v8, v6, s[2:3]
	ds_write_b32 v7, v6
	; wave barrier
	ds_read_b32 v8, v7 offset:4
	s_waitcnt lgkmcnt(0)
	v_add_u32_e32 v6, v8, v6
	ds_write_b32 v7, v6 offset:4
.LBB5782_31:
	s_or_b64 exec, exec, s[18:19]
	v_mov_b32_e32 v24, 0
	s_waitcnt lgkmcnt(0)
	s_barrier
	s_and_saveexec_b64 s[4:5], s[0:1]
	s_cbranch_execz .LBB5782_33
; %bb.32:
	v_add_u32_e32 v6, -1, v0
	v_lshrrev_b32_e32 v7, 5, v6
	v_add_lshl_u32 v6, v7, v6, 2
	ds_read_b32 v24, v6
.LBB5782_33:
	s_or_b64 exec, exec, s[4:5]
	s_and_saveexec_b64 s[18:19], vcc
	s_cbranch_execz .LBB5782_52
; %bb.34:
	v_mov_b32_e32 v13, 0
	ds_read_b32 v6, v13 offset:520
	v_mbcnt_lo_u32_b32 v7, -1, 0
	v_mbcnt_hi_u32_b32 v9, -1, v7
	s_mov_b32 s23, 0
	v_cmp_eq_u32_e64 s[4:5], 0, v9
	s_and_saveexec_b64 s[20:21], s[4:5]
	s_cbranch_execz .LBB5782_36
; %bb.35:
	s_add_i32 s22, s26, 64
	s_lshl_b64 s[22:23], s[22:23], 3
	s_add_u32 s22, s6, s22
	v_mov_b32_e32 v7, 1
	s_addc_u32 s23, s7, s23
	s_waitcnt lgkmcnt(0)
	global_store_dwordx2 v13, v[6:7], s[22:23]
.LBB5782_36:
	s_or_b64 exec, exec, s[20:21]
	v_xad_u32 v8, v9, -1, s26
	v_add_u32_e32 v12, 64, v8
	v_lshlrev_b64 v[10:11], 3, v[12:13]
	v_mov_b32_e32 v7, s7
	v_add_co_u32_e32 v14, vcc, s6, v10
	v_addc_co_u32_e32 v15, vcc, v7, v11, vcc
	global_load_dwordx2 v[10:11], v[14:15], off glc
	s_waitcnt vmcnt(0)
	v_cmp_eq_u16_sdwa s[22:23], v11, v13 src0_sel:BYTE_0 src1_sel:DWORD
	s_and_saveexec_b64 s[20:21], s[22:23]
	s_cbranch_execz .LBB5782_40
; %bb.37:
	s_mov_b64 s[22:23], 0
	v_mov_b32_e32 v7, 0
.LBB5782_38:                            ; =>This Inner Loop Header: Depth=1
	global_load_dwordx2 v[10:11], v[14:15], off glc
	s_waitcnt vmcnt(0)
	v_cmp_ne_u16_sdwa s[28:29], v11, v7 src0_sel:BYTE_0 src1_sel:DWORD
	s_or_b64 s[22:23], s[28:29], s[22:23]
	s_andn2_b64 exec, exec, s[22:23]
	s_cbranch_execnz .LBB5782_38
; %bb.39:
	s_or_b64 exec, exec, s[22:23]
.LBB5782_40:
	s_or_b64 exec, exec, s[20:21]
	v_and_b32_e32 v25, 63, v9
	v_mov_b32_e32 v7, 2
	v_cmp_ne_u32_e32 vcc, 63, v25
	v_cmp_eq_u16_sdwa s[20:21], v11, v7 src0_sel:BYTE_0 src1_sel:DWORD
	v_lshlrev_b64 v[12:13], v9, -1
	v_addc_co_u32_e32 v26, vcc, 0, v9, vcc
	v_and_b32_e32 v14, s21, v13
	v_lshlrev_b32_e32 v26, 2, v26
	v_or_b32_e32 v14, 0x80000000, v14
	ds_bpermute_b32 v27, v26, v10
	v_and_b32_e32 v15, s20, v12
	v_ffbl_b32_e32 v14, v14
	v_add_u32_e32 v14, 32, v14
	v_ffbl_b32_e32 v15, v15
	v_min_u32_e32 v14, v15, v14
	v_cmp_lt_u32_e32 vcc, v25, v14
	s_waitcnt lgkmcnt(0)
	v_cndmask_b32_e32 v15, 0, v27, vcc
	v_cmp_gt_u32_e32 vcc, 62, v25
	v_add_u32_e32 v10, v15, v10
	v_cndmask_b32_e64 v15, 0, 1, vcc
	v_lshlrev_b32_e32 v15, 1, v15
	v_add_lshl_u32 v27, v15, v9, 2
	ds_bpermute_b32 v15, v27, v10
	v_add_u32_e32 v28, 2, v25
	v_cmp_le_u32_e32 vcc, v28, v14
	v_add_u32_e32 v30, 4, v25
	v_add_u32_e32 v32, 8, v25
	s_waitcnt lgkmcnt(0)
	v_cndmask_b32_e32 v15, 0, v15, vcc
	v_cmp_gt_u32_e32 vcc, 60, v25
	v_add_u32_e32 v10, v10, v15
	v_cndmask_b32_e64 v15, 0, 1, vcc
	v_lshlrev_b32_e32 v15, 2, v15
	v_add_lshl_u32 v29, v15, v9, 2
	ds_bpermute_b32 v15, v29, v10
	v_cmp_le_u32_e32 vcc, v30, v14
	v_add_u32_e32 v35, 16, v25
	v_add_u32_e32 v37, 32, v25
	s_waitcnt lgkmcnt(0)
	v_cndmask_b32_e32 v15, 0, v15, vcc
	v_cmp_gt_u32_e32 vcc, 56, v25
	v_add_u32_e32 v10, v10, v15
	v_cndmask_b32_e64 v15, 0, 1, vcc
	v_lshlrev_b32_e32 v15, 3, v15
	v_add_lshl_u32 v31, v15, v9, 2
	ds_bpermute_b32 v15, v31, v10
	v_cmp_le_u32_e32 vcc, v32, v14
	s_waitcnt lgkmcnt(0)
	v_cndmask_b32_e32 v15, 0, v15, vcc
	v_cmp_gt_u32_e32 vcc, 48, v25
	v_add_u32_e32 v10, v10, v15
	v_cndmask_b32_e64 v15, 0, 1, vcc
	v_lshlrev_b32_e32 v15, 4, v15
	v_add_lshl_u32 v34, v15, v9, 2
	ds_bpermute_b32 v15, v34, v10
	v_cmp_le_u32_e32 vcc, v35, v14
	;; [unrolled: 9-line block ×3, first 2 shown]
	s_waitcnt lgkmcnt(0)
	v_cndmask_b32_e32 v9, 0, v9, vcc
	v_add_u32_e32 v10, v10, v9
	v_mov_b32_e32 v9, 0
	s_branch .LBB5782_42
.LBB5782_41:                            ;   in Loop: Header=BB5782_42 Depth=1
	s_or_b64 exec, exec, s[20:21]
	v_cmp_eq_u16_sdwa s[20:21], v11, v7 src0_sel:BYTE_0 src1_sel:DWORD
	v_and_b32_e32 v14, s21, v13
	v_or_b32_e32 v14, 0x80000000, v14
	ds_bpermute_b32 v38, v26, v10
	v_and_b32_e32 v15, s20, v12
	v_ffbl_b32_e32 v14, v14
	v_add_u32_e32 v14, 32, v14
	v_ffbl_b32_e32 v15, v15
	v_min_u32_e32 v14, v15, v14
	v_cmp_lt_u32_e32 vcc, v25, v14
	s_waitcnt lgkmcnt(0)
	v_cndmask_b32_e32 v15, 0, v38, vcc
	v_add_u32_e32 v10, v15, v10
	ds_bpermute_b32 v15, v27, v10
	v_cmp_le_u32_e32 vcc, v28, v14
	v_subrev_u32_e32 v8, 64, v8
	s_waitcnt lgkmcnt(0)
	v_cndmask_b32_e32 v15, 0, v15, vcc
	v_add_u32_e32 v10, v10, v15
	ds_bpermute_b32 v15, v29, v10
	v_cmp_le_u32_e32 vcc, v30, v14
	s_waitcnt lgkmcnt(0)
	v_cndmask_b32_e32 v15, 0, v15, vcc
	v_add_u32_e32 v10, v10, v15
	ds_bpermute_b32 v15, v31, v10
	v_cmp_le_u32_e32 vcc, v32, v14
	;; [unrolled: 5-line block ×4, first 2 shown]
	s_waitcnt lgkmcnt(0)
	v_cndmask_b32_e32 v14, 0, v15, vcc
	v_add3_u32 v10, v14, v33, v10
.LBB5782_42:                            ; =>This Loop Header: Depth=1
                                        ;     Child Loop BB5782_45 Depth 2
	v_cmp_ne_u16_sdwa s[20:21], v11, v7 src0_sel:BYTE_0 src1_sel:DWORD
	v_cndmask_b32_e64 v11, 0, 1, s[20:21]
	;;#ASMSTART
	;;#ASMEND
	v_cmp_ne_u32_e32 vcc, 0, v11
	s_cmp_lg_u64 vcc, exec
	v_mov_b32_e32 v33, v10
	s_cbranch_scc1 .LBB5782_47
; %bb.43:                               ;   in Loop: Header=BB5782_42 Depth=1
	v_lshlrev_b64 v[10:11], 3, v[8:9]
	v_mov_b32_e32 v15, s7
	v_add_co_u32_e32 v14, vcc, s6, v10
	v_addc_co_u32_e32 v15, vcc, v15, v11, vcc
	global_load_dwordx2 v[10:11], v[14:15], off glc
	s_waitcnt vmcnt(0)
	v_cmp_eq_u16_sdwa s[22:23], v11, v9 src0_sel:BYTE_0 src1_sel:DWORD
	s_and_saveexec_b64 s[20:21], s[22:23]
	s_cbranch_execz .LBB5782_41
; %bb.44:                               ;   in Loop: Header=BB5782_42 Depth=1
	s_mov_b64 s[22:23], 0
.LBB5782_45:                            ;   Parent Loop BB5782_42 Depth=1
                                        ; =>  This Inner Loop Header: Depth=2
	global_load_dwordx2 v[10:11], v[14:15], off glc
	s_waitcnt vmcnt(0)
	v_cmp_ne_u16_sdwa s[28:29], v11, v9 src0_sel:BYTE_0 src1_sel:DWORD
	s_or_b64 s[22:23], s[28:29], s[22:23]
	s_andn2_b64 exec, exec, s[22:23]
	s_cbranch_execnz .LBB5782_45
; %bb.46:                               ;   in Loop: Header=BB5782_42 Depth=1
	s_or_b64 exec, exec, s[22:23]
	s_branch .LBB5782_41
.LBB5782_47:                            ;   in Loop: Header=BB5782_42 Depth=1
                                        ; implicit-def: $vgpr10
                                        ; implicit-def: $vgpr11
	s_cbranch_execz .LBB5782_42
; %bb.48:
	s_and_saveexec_b64 s[20:21], s[4:5]
	s_cbranch_execz .LBB5782_50
; %bb.49:
	s_add_i32 s4, s26, 64
	s_mov_b32 s5, 0
	s_lshl_b64 s[4:5], s[4:5], 3
	s_add_u32 s4, s6, s4
	v_add_u32_e32 v6, v33, v6
	v_mov_b32_e32 v7, 2
	s_addc_u32 s5, s7, s5
	v_mov_b32_e32 v8, 0
	global_store_dwordx2 v8, v[6:7], s[4:5]
.LBB5782_50:
	s_or_b64 exec, exec, s[20:21]
	s_and_b64 exec, exec, s[2:3]
	s_cbranch_execz .LBB5782_52
; %bb.51:
	v_mov_b32_e32 v6, 0
	ds_write_b32 v6, v33
.LBB5782_52:
	s_or_b64 exec, exec, s[18:19]
	v_mov_b32_e32 v6, 0
	s_waitcnt lgkmcnt(0)
	s_barrier
	ds_read_b32 v6, v6
	s_waitcnt lgkmcnt(0)
	v_add3_u32 v6, v24, v2, v6
	v_add_u32_e32 v7, v6, v3
	v_add_u32_e32 v8, v7, v4
	;; [unrolled: 1-line block ×9, first 2 shown]
	s_branch .LBB5782_65
.LBB5782_53:
                                        ; implicit-def: $vgpr6_vgpr7_vgpr8_vgpr9_vgpr10_vgpr11_vgpr12_vgpr13_vgpr14_vgpr15
	s_cbranch_execz .LBB5782_65
; %bb.54:
	s_cmp_lg_u64 s[12:13], 0
	s_cselect_b64 s[4:5], -1, 0
	s_and_b64 s[12:13], s[2:3], s[4:5]
	v_mov_b32_e32 v12, v3
	v_mov_b32_e32 v13, v4
	v_mov_b32_e32 v14, v5
	s_and_saveexec_b64 s[4:5], s[12:13]
	s_cbranch_execz .LBB5782_56
; %bb.55:
	v_mov_b32_e32 v6, 0
	global_load_dword v6, v6, s[8:9]
	v_mov_b32_e32 v12, v3
	v_mov_b32_e32 v13, v4
	;; [unrolled: 1-line block ×3, first 2 shown]
	s_waitcnt vmcnt(0)
	v_add_u32_e32 v2, v6, v2
.LBB5782_56:
	s_or_b64 exec, exec, s[4:5]
	v_add_u32_e32 v3, v12, v2
	v_add_u32_e32 v4, v3, v13
	;; [unrolled: 1-line block ×9, first 2 shown]
	v_add_lshl_u32 v15, v23, v0, 2
	v_cmp_gt_u32_e32 vcc, 64, v0
	ds_write_b32 v15, v11
	s_waitcnt lgkmcnt(0)
	s_barrier
	s_and_saveexec_b64 s[4:5], vcc
	s_cbranch_execz .LBB5782_58
; %bb.57:
	v_lshlrev_b32_e32 v15, 1, v0
	v_lshrrev_b32_e32 v23, 4, v0
	v_add_lshl_u32 v15, v23, v15, 2
	ds_read2_b32 v[24:25], v15 offset1:1
	v_mbcnt_lo_u32_b32 v23, -1, 0
	v_mbcnt_hi_u32_b32 v23, -1, v23
	v_and_b32_e32 v26, 15, v23
	v_cmp_ne_u32_e32 vcc, 0, v26
	s_waitcnt lgkmcnt(0)
	v_add_u32_e32 v25, v25, v24
	; wave barrier
	s_nop 1
	v_mov_b32_dpp v27, v25 row_shr:1 row_mask:0xf bank_mask:0xf
	v_cndmask_b32_e32 v27, 0, v27, vcc
	v_add_u32_e32 v25, v27, v25
	v_cmp_lt_u32_e32 vcc, 1, v26
	s_nop 0
	v_mov_b32_dpp v27, v25 row_shr:2 row_mask:0xf bank_mask:0xf
	v_cndmask_b32_e32 v27, 0, v27, vcc
	v_add_u32_e32 v25, v25, v27
	v_cmp_lt_u32_e32 vcc, 3, v26
	;; [unrolled: 5-line block ×3, first 2 shown]
	s_nop 0
	v_mov_b32_dpp v27, v25 row_shr:8 row_mask:0xf bank_mask:0xf
	v_cndmask_b32_e32 v26, 0, v27, vcc
	v_add_u32_e32 v25, v25, v26
	v_bfe_i32 v27, v23, 4, 1
	v_cmp_lt_u32_e32 vcc, 31, v23
	v_mov_b32_dpp v26, v25 row_bcast:15 row_mask:0xf bank_mask:0xf
	v_and_b32_e32 v26, v27, v26
	v_add_u32_e32 v25, v25, v26
	v_and_b32_e32 v27, 64, v23
	s_nop 0
	v_mov_b32_dpp v26, v25 row_bcast:31 row_mask:0xf bank_mask:0xf
	v_cndmask_b32_e32 v26, 0, v26, vcc
	v_add_u32_e32 v25, v25, v26
	v_add_u32_e32 v26, -1, v23
	v_cmp_lt_i32_e32 vcc, v26, v27
	v_cndmask_b32_e32 v23, v26, v23, vcc
	v_lshlrev_b32_e32 v23, 2, v23
	ds_bpermute_b32 v23, v23, v25
	s_waitcnt lgkmcnt(0)
	v_add_u32_e32 v23, v23, v24
	v_cndmask_b32_e64 v23, v23, v11, s[2:3]
	ds_write_b32 v15, v23
	; wave barrier
	ds_read_b32 v24, v15 offset:4
	s_waitcnt lgkmcnt(0)
	v_add_u32_e32 v23, v24, v23
	ds_write_b32 v15, v23 offset:4
.LBB5782_58:
	s_or_b64 exec, exec, s[4:5]
	v_mov_b32_e32 v15, v11
	s_waitcnt lgkmcnt(0)
	s_barrier
	s_and_saveexec_b64 s[2:3], s[0:1]
	s_cbranch_execz .LBB5782_60
; %bb.59:
	v_add_u32_e32 v15, -1, v0
	v_lshrrev_b32_e32 v23, 5, v15
	v_add_lshl_u32 v15, v23, v15, 2
	ds_read_b32 v15, v15
.LBB5782_60:
	s_or_b64 exec, exec, s[2:3]
	s_and_saveexec_b64 s[2:3], s[0:1]
	s_cbranch_execz .LBB5782_62
; %bb.61:
	s_waitcnt lgkmcnt(0)
	v_add_u32_e32 v2, v15, v2
	v_add_u32_e32 v3, v2, v12
	;; [unrolled: 1-line block ×10, first 2 shown]
	;;#ASMSTART
	;;#ASMEND
.LBB5782_62:
	s_or_b64 exec, exec, s[2:3]
	s_movk_i32 s0, 0x7f
	v_cmp_eq_u32_e32 vcc, s0, v0
	s_and_saveexec_b64 s[0:1], vcc
	s_cbranch_execz .LBB5782_64
; %bb.63:
	v_mov_b32_e32 v14, 0
	v_mov_b32_e32 v13, 2
	;; [unrolled: 1-line block ×3, first 2 shown]
	global_store_dwordx2 v14, v[12:13], s[6:7] offset:512
.LBB5782_64:
	s_or_b64 exec, exec, s[0:1]
	s_waitcnt lgkmcnt(0)
	v_pk_mov_b32 v[14:15], v[10:11], v[10:11] op_sel:[0,1]
	v_pk_mov_b32 v[12:13], v[8:9], v[8:9] op_sel:[0,1]
	;; [unrolled: 1-line block ×5, first 2 shown]
.LBB5782_65:
	s_mov_b64 s[0:1], -1
	s_and_b64 vcc, exec, s[16:17]
	s_barrier
	ds_write2_b64 v1, v[6:7], v[8:9] offset1:1
	ds_write2_b64 v1, v[10:11], v[12:13] offset0:2 offset1:3
	ds_write_b64 v1, v[14:15] offset:32
	s_waitcnt lgkmcnt(0)
	s_cbranch_vccz .LBB5782_67
; %bb.66:
	s_barrier
	s_mov_b64 s[0:1], 0
.LBB5782_67:
	s_andn2_b64 vcc, exec, s[0:1]
	s_cbranch_vccnz .LBB5782_103
; %bb.68:
	v_cmp_lt_u64_e64 s[0:1], s[14:15], 2
	s_and_b64 vcc, exec, s[0:1]
	s_barrier
	s_cbranch_vccnz .LBB5782_103
; %bb.69:
	s_add_u32 s0, s24, -1
	s_addc_u32 s1, s25, -1
	s_add_u32 s2, 0, 0x99986000
	s_addc_u32 s3, 0, 0x59
	s_add_i32 s3, s3, 0x19999940
	s_mul_hi_u32 s7, s2, -10
	s_sub_i32 s7, s7, s2
	s_mul_i32 s8, s3, -10
	s_mul_i32 s4, s2, -10
	s_add_i32 s7, s7, s8
	s_mul_hi_u32 s5, s3, s4
	s_mul_i32 s6, s3, s4
	s_mul_i32 s9, s2, s7
	s_mul_hi_u32 s4, s2, s4
	s_mul_hi_u32 s8, s2, s7
	s_add_u32 s4, s4, s9
	s_addc_u32 s8, 0, s8
	s_add_u32 s4, s4, s6
	s_mul_hi_u32 s9, s3, s7
	s_addc_u32 s4, s8, s5
	s_addc_u32 s5, s9, 0
	s_mul_i32 s6, s3, s7
	s_add_u32 s4, s4, s6
	v_mov_b32_e32 v2, s4
	s_addc_u32 s5, 0, s5
	v_add_co_u32_e32 v2, vcc, s2, v2
	s_cmp_lg_u64 vcc, 0
	s_addc_u32 s2, s3, s5
	v_readfirstlane_b32 s5, v2
	s_mul_i32 s4, s0, s2
	s_mul_hi_u32 s6, s0, s5
	s_mul_hi_u32 s3, s0, s2
	s_add_u32 s4, s6, s4
	s_addc_u32 s3, 0, s3
	s_mul_hi_u32 s7, s1, s5
	s_mul_i32 s5, s1, s5
	s_add_u32 s4, s4, s5
	s_mul_hi_u32 s6, s1, s2
	s_addc_u32 s3, s3, s7
	s_addc_u32 s4, s6, 0
	s_mul_i32 s2, s1, s2
	s_add_u32 s2, s3, s2
	s_addc_u32 s3, 0, s4
	s_add_u32 s4, s2, 1
	s_addc_u32 s5, s3, 0
	s_add_u32 s6, s2, 2
	s_mul_i32 s8, s3, 10
	s_mul_hi_u32 s9, s2, 10
	s_addc_u32 s7, s3, 0
	s_add_i32 s9, s9, s8
	s_mul_i32 s8, s2, 10
	v_mov_b32_e32 v2, s8
	v_sub_co_u32_e32 v2, vcc, s0, v2
	s_cmp_lg_u64 vcc, 0
	s_subb_u32 s8, s1, s9
	v_subrev_co_u32_e32 v3, vcc, 10, v2
	s_cmp_lg_u64 vcc, 0
	s_subb_u32 s9, s8, 0
	v_readfirstlane_b32 s12, v3
	s_cmp_gt_u32 s12, 9
	s_cselect_b32 s12, -1, 0
	s_cmp_eq_u32 s9, 0
	s_cselect_b32 s9, s12, -1
	s_cmp_lg_u32 s9, 0
	s_cselect_b32 s4, s6, s4
	v_readfirstlane_b32 s6, v2
	s_cselect_b32 s5, s7, s5
	s_cmp_gt_u32 s6, 9
	s_cselect_b32 s6, -1, 0
	s_cmp_eq_u32 s8, 0
	s_cselect_b32 s6, s6, -1
	s_cmp_lg_u32 s6, 0
	v_mov_b32_e32 v1, 0
	s_cselect_b32 s3, s5, s3
	s_cselect_b32 s2, s4, s2
	v_cmp_eq_u64_e32 vcc, s[2:3], v[0:1]
	s_and_saveexec_b64 s[2:3], vcc
	s_cbranch_execz .LBB5782_103
; %bb.70:
	v_lshlrev_b32_e32 v2, 2, v0
	v_mul_hi_u32_u24_e32 v1, 10, v0
	v_mov_b32_e32 v3, s1
	v_sub_co_u32_e32 v0, vcc, s0, v22
	v_subb_co_u32_e32 v1, vcc, v3, v1, vcc
	v_cmp_lt_i64_e32 vcc, 4, v[0:1]
	s_and_saveexec_b64 s[0:1], vcc
	s_xor_b64 s[0:1], exec, s[0:1]
	s_cbranch_execz .LBB5782_88
; %bb.71:
	v_cmp_lt_i64_e32 vcc, 6, v[0:1]
	s_and_saveexec_b64 s[2:3], vcc
	s_xor_b64 s[2:3], exec, s[2:3]
	s_cbranch_execz .LBB5782_81
; %bb.72:
	;; [unrolled: 5-line block ×4, first 2 shown]
	ds_read_b32 v0, v2 offset:4608
	v_mov_b32_e32 v1, 0
                                        ; implicit-def: $vgpr2
	s_waitcnt lgkmcnt(0)
	global_store_dword v1, v0, s[10:11]
.LBB5782_75:
	s_andn2_saveexec_b64 s[6:7], s[6:7]
	s_cbranch_execz .LBB5782_77
; %bb.76:
	ds_read_b32 v0, v2 offset:4096
	v_mov_b32_e32 v1, 0
	s_waitcnt lgkmcnt(0)
	global_store_dword v1, v0, s[10:11]
.LBB5782_77:
	s_or_b64 exec, exec, s[6:7]
                                        ; implicit-def: $vgpr2
.LBB5782_78:
	s_andn2_saveexec_b64 s[4:5], s[4:5]
	s_cbranch_execz .LBB5782_80
; %bb.79:
	ds_read_b32 v0, v2 offset:3584
	v_mov_b32_e32 v1, 0
	s_waitcnt lgkmcnt(0)
	global_store_dword v1, v0, s[10:11]
.LBB5782_80:
	s_or_b64 exec, exec, s[4:5]
                                        ; implicit-def: $vgpr2
                                        ; implicit-def: $vgpr0_vgpr1
.LBB5782_81:
	s_andn2_saveexec_b64 s[2:3], s[2:3]
	s_cbranch_execz .LBB5782_87
; %bb.82:
	v_cmp_lt_i64_e32 vcc, 5, v[0:1]
	s_and_saveexec_b64 s[4:5], vcc
	s_xor_b64 s[4:5], exec, s[4:5]
	s_cbranch_execz .LBB5782_84
; %bb.83:
	ds_read_b32 v0, v2 offset:3072
	v_mov_b32_e32 v1, 0
                                        ; implicit-def: $vgpr2
	s_waitcnt lgkmcnt(0)
	global_store_dword v1, v0, s[10:11]
.LBB5782_84:
	s_andn2_saveexec_b64 s[4:5], s[4:5]
	s_cbranch_execz .LBB5782_86
; %bb.85:
	ds_read_b32 v0, v2 offset:2560
	v_mov_b32_e32 v1, 0
	s_waitcnt lgkmcnt(0)
	global_store_dword v1, v0, s[10:11]
.LBB5782_86:
	s_or_b64 exec, exec, s[4:5]
.LBB5782_87:
	s_or_b64 exec, exec, s[2:3]
                                        ; implicit-def: $vgpr0_vgpr1
                                        ; implicit-def: $vgpr2
.LBB5782_88:
	s_andn2_saveexec_b64 s[0:1], s[0:1]
	s_cbranch_execz .LBB5782_103
; %bb.89:
	v_cmp_lt_i64_e32 vcc, 2, v[0:1]
	s_and_saveexec_b64 s[0:1], vcc
	s_xor_b64 s[0:1], exec, s[0:1]
	s_cbranch_execz .LBB5782_95
; %bb.90:
	v_cmp_lt_i64_e32 vcc, 3, v[0:1]
	s_and_saveexec_b64 s[2:3], vcc
	s_xor_b64 s[2:3], exec, s[2:3]
	s_cbranch_execz .LBB5782_92
; %bb.91:
	ds_read_b32 v0, v2 offset:2048
	v_mov_b32_e32 v1, 0
                                        ; implicit-def: $vgpr2
	s_waitcnt lgkmcnt(0)
	global_store_dword v1, v0, s[10:11]
.LBB5782_92:
	s_andn2_saveexec_b64 s[2:3], s[2:3]
	s_cbranch_execz .LBB5782_94
; %bb.93:
	ds_read_b32 v0, v2 offset:1536
	v_mov_b32_e32 v1, 0
	s_waitcnt lgkmcnt(0)
	global_store_dword v1, v0, s[10:11]
.LBB5782_94:
	s_or_b64 exec, exec, s[2:3]
                                        ; implicit-def: $vgpr0_vgpr1
                                        ; implicit-def: $vgpr2
.LBB5782_95:
	s_andn2_saveexec_b64 s[0:1], s[0:1]
	s_cbranch_execz .LBB5782_103
; %bb.96:
	v_cmp_lt_i64_e32 vcc, 1, v[0:1]
	s_and_saveexec_b64 s[0:1], vcc
	s_xor_b64 s[0:1], exec, s[0:1]
	s_cbranch_execz .LBB5782_98
; %bb.97:
	ds_read_b32 v0, v2 offset:1024
	v_mov_b32_e32 v1, 0
                                        ; implicit-def: $vgpr2
	s_waitcnt lgkmcnt(0)
	global_store_dword v1, v0, s[10:11]
                                        ; implicit-def: $vgpr0_vgpr1
.LBB5782_98:
	s_andn2_saveexec_b64 s[0:1], s[0:1]
	s_cbranch_execz .LBB5782_103
; %bb.99:
	v_cmp_ne_u64_e32 vcc, 1, v[0:1]
	s_and_saveexec_b64 s[0:1], vcc
	s_xor_b64 s[0:1], exec, s[0:1]
	s_cbranch_execz .LBB5782_101
; %bb.100:
	ds_read_b32 v0, v2
	v_mov_b32_e32 v1, 0
                                        ; implicit-def: $vgpr2
	s_waitcnt lgkmcnt(0)
	global_store_dword v1, v0, s[10:11]
.LBB5782_101:
	s_andn2_saveexec_b64 s[0:1], s[0:1]
	s_cbranch_execz .LBB5782_103
; %bb.102:
	ds_read_b32 v0, v2 offset:512
	v_mov_b32_e32 v1, 0
	s_waitcnt lgkmcnt(0)
	global_store_dword v1, v0, s[10:11]
.LBB5782_103:
	s_endpgm
	.section	.rodata,"a",@progbits
	.p2align	6, 0x0
	.amdhsa_kernel _ZN7rocprim17ROCPRIM_400000_NS6detail17trampoline_kernelINS0_14default_configENS1_20scan_config_selectorIiEEZZNS1_9scan_implILNS1_25lookback_scan_determinismE0ELb0ELb0ES3_N6thrust23THRUST_200600_302600_NS6detail15normal_iteratorINS9_10device_ptrIiEEEENS9_16discard_iteratorINS9_11use_defaultEEEiNS9_4plusIvEEiEEDaPvRmT3_T4_T5_mT6_P12ihipStream_tbENKUlT_T0_E_clISt17integral_constantIbLb0EESW_IbLb1EEEEDaSS_ST_EUlSS_E_NS1_11comp_targetILNS1_3genE4ELNS1_11target_archE910ELNS1_3gpuE8ELNS1_3repE0EEENS1_30default_config_static_selectorELNS0_4arch9wavefront6targetE1EEEvT1_
		.amdhsa_group_segment_fixed_size 5120
		.amdhsa_private_segment_fixed_size 0
		.amdhsa_kernarg_size 104
		.amdhsa_user_sgpr_count 6
		.amdhsa_user_sgpr_private_segment_buffer 1
		.amdhsa_user_sgpr_dispatch_ptr 0
		.amdhsa_user_sgpr_queue_ptr 0
		.amdhsa_user_sgpr_kernarg_segment_ptr 1
		.amdhsa_user_sgpr_dispatch_id 0
		.amdhsa_user_sgpr_flat_scratch_init 0
		.amdhsa_user_sgpr_kernarg_preload_length 0
		.amdhsa_user_sgpr_kernarg_preload_offset 0
		.amdhsa_user_sgpr_private_segment_size 0
		.amdhsa_uses_dynamic_stack 0
		.amdhsa_system_sgpr_private_segment_wavefront_offset 0
		.amdhsa_system_sgpr_workgroup_id_x 1
		.amdhsa_system_sgpr_workgroup_id_y 0
		.amdhsa_system_sgpr_workgroup_id_z 0
		.amdhsa_system_sgpr_workgroup_info 0
		.amdhsa_system_vgpr_workitem_id 0
		.amdhsa_next_free_vgpr 39
		.amdhsa_next_free_sgpr 30
		.amdhsa_accum_offset 40
		.amdhsa_reserve_vcc 1
		.amdhsa_reserve_flat_scratch 0
		.amdhsa_float_round_mode_32 0
		.amdhsa_float_round_mode_16_64 0
		.amdhsa_float_denorm_mode_32 3
		.amdhsa_float_denorm_mode_16_64 3
		.amdhsa_dx10_clamp 1
		.amdhsa_ieee_mode 1
		.amdhsa_fp16_overflow 0
		.amdhsa_tg_split 0
		.amdhsa_exception_fp_ieee_invalid_op 0
		.amdhsa_exception_fp_denorm_src 0
		.amdhsa_exception_fp_ieee_div_zero 0
		.amdhsa_exception_fp_ieee_overflow 0
		.amdhsa_exception_fp_ieee_underflow 0
		.amdhsa_exception_fp_ieee_inexact 0
		.amdhsa_exception_int_div_zero 0
	.end_amdhsa_kernel
	.section	.text._ZN7rocprim17ROCPRIM_400000_NS6detail17trampoline_kernelINS0_14default_configENS1_20scan_config_selectorIiEEZZNS1_9scan_implILNS1_25lookback_scan_determinismE0ELb0ELb0ES3_N6thrust23THRUST_200600_302600_NS6detail15normal_iteratorINS9_10device_ptrIiEEEENS9_16discard_iteratorINS9_11use_defaultEEEiNS9_4plusIvEEiEEDaPvRmT3_T4_T5_mT6_P12ihipStream_tbENKUlT_T0_E_clISt17integral_constantIbLb0EESW_IbLb1EEEEDaSS_ST_EUlSS_E_NS1_11comp_targetILNS1_3genE4ELNS1_11target_archE910ELNS1_3gpuE8ELNS1_3repE0EEENS1_30default_config_static_selectorELNS0_4arch9wavefront6targetE1EEEvT1_,"axG",@progbits,_ZN7rocprim17ROCPRIM_400000_NS6detail17trampoline_kernelINS0_14default_configENS1_20scan_config_selectorIiEEZZNS1_9scan_implILNS1_25lookback_scan_determinismE0ELb0ELb0ES3_N6thrust23THRUST_200600_302600_NS6detail15normal_iteratorINS9_10device_ptrIiEEEENS9_16discard_iteratorINS9_11use_defaultEEEiNS9_4plusIvEEiEEDaPvRmT3_T4_T5_mT6_P12ihipStream_tbENKUlT_T0_E_clISt17integral_constantIbLb0EESW_IbLb1EEEEDaSS_ST_EUlSS_E_NS1_11comp_targetILNS1_3genE4ELNS1_11target_archE910ELNS1_3gpuE8ELNS1_3repE0EEENS1_30default_config_static_selectorELNS0_4arch9wavefront6targetE1EEEvT1_,comdat
.Lfunc_end5782:
	.size	_ZN7rocprim17ROCPRIM_400000_NS6detail17trampoline_kernelINS0_14default_configENS1_20scan_config_selectorIiEEZZNS1_9scan_implILNS1_25lookback_scan_determinismE0ELb0ELb0ES3_N6thrust23THRUST_200600_302600_NS6detail15normal_iteratorINS9_10device_ptrIiEEEENS9_16discard_iteratorINS9_11use_defaultEEEiNS9_4plusIvEEiEEDaPvRmT3_T4_T5_mT6_P12ihipStream_tbENKUlT_T0_E_clISt17integral_constantIbLb0EESW_IbLb1EEEEDaSS_ST_EUlSS_E_NS1_11comp_targetILNS1_3genE4ELNS1_11target_archE910ELNS1_3gpuE8ELNS1_3repE0EEENS1_30default_config_static_selectorELNS0_4arch9wavefront6targetE1EEEvT1_, .Lfunc_end5782-_ZN7rocprim17ROCPRIM_400000_NS6detail17trampoline_kernelINS0_14default_configENS1_20scan_config_selectorIiEEZZNS1_9scan_implILNS1_25lookback_scan_determinismE0ELb0ELb0ES3_N6thrust23THRUST_200600_302600_NS6detail15normal_iteratorINS9_10device_ptrIiEEEENS9_16discard_iteratorINS9_11use_defaultEEEiNS9_4plusIvEEiEEDaPvRmT3_T4_T5_mT6_P12ihipStream_tbENKUlT_T0_E_clISt17integral_constantIbLb0EESW_IbLb1EEEEDaSS_ST_EUlSS_E_NS1_11comp_targetILNS1_3genE4ELNS1_11target_archE910ELNS1_3gpuE8ELNS1_3repE0EEENS1_30default_config_static_selectorELNS0_4arch9wavefront6targetE1EEEvT1_
                                        ; -- End function
	.section	.AMDGPU.csdata,"",@progbits
; Kernel info:
; codeLenInByte = 4020
; NumSgprs: 34
; NumVgprs: 39
; NumAgprs: 0
; TotalNumVgprs: 39
; ScratchSize: 0
; MemoryBound: 0
; FloatMode: 240
; IeeeMode: 1
; LDSByteSize: 5120 bytes/workgroup (compile time only)
; SGPRBlocks: 4
; VGPRBlocks: 4
; NumSGPRsForWavesPerEU: 34
; NumVGPRsForWavesPerEU: 39
; AccumOffset: 40
; Occupancy: 6
; WaveLimiterHint : 1
; COMPUTE_PGM_RSRC2:SCRATCH_EN: 0
; COMPUTE_PGM_RSRC2:USER_SGPR: 6
; COMPUTE_PGM_RSRC2:TRAP_HANDLER: 0
; COMPUTE_PGM_RSRC2:TGID_X_EN: 1
; COMPUTE_PGM_RSRC2:TGID_Y_EN: 0
; COMPUTE_PGM_RSRC2:TGID_Z_EN: 0
; COMPUTE_PGM_RSRC2:TIDIG_COMP_CNT: 0
; COMPUTE_PGM_RSRC3_GFX90A:ACCUM_OFFSET: 9
; COMPUTE_PGM_RSRC3_GFX90A:TG_SPLIT: 0
	.section	.text._ZN7rocprim17ROCPRIM_400000_NS6detail17trampoline_kernelINS0_14default_configENS1_20scan_config_selectorIiEEZZNS1_9scan_implILNS1_25lookback_scan_determinismE0ELb0ELb0ES3_N6thrust23THRUST_200600_302600_NS6detail15normal_iteratorINS9_10device_ptrIiEEEENS9_16discard_iteratorINS9_11use_defaultEEEiNS9_4plusIvEEiEEDaPvRmT3_T4_T5_mT6_P12ihipStream_tbENKUlT_T0_E_clISt17integral_constantIbLb0EESW_IbLb1EEEEDaSS_ST_EUlSS_E_NS1_11comp_targetILNS1_3genE3ELNS1_11target_archE908ELNS1_3gpuE7ELNS1_3repE0EEENS1_30default_config_static_selectorELNS0_4arch9wavefront6targetE1EEEvT1_,"axG",@progbits,_ZN7rocprim17ROCPRIM_400000_NS6detail17trampoline_kernelINS0_14default_configENS1_20scan_config_selectorIiEEZZNS1_9scan_implILNS1_25lookback_scan_determinismE0ELb0ELb0ES3_N6thrust23THRUST_200600_302600_NS6detail15normal_iteratorINS9_10device_ptrIiEEEENS9_16discard_iteratorINS9_11use_defaultEEEiNS9_4plusIvEEiEEDaPvRmT3_T4_T5_mT6_P12ihipStream_tbENKUlT_T0_E_clISt17integral_constantIbLb0EESW_IbLb1EEEEDaSS_ST_EUlSS_E_NS1_11comp_targetILNS1_3genE3ELNS1_11target_archE908ELNS1_3gpuE7ELNS1_3repE0EEENS1_30default_config_static_selectorELNS0_4arch9wavefront6targetE1EEEvT1_,comdat
	.protected	_ZN7rocprim17ROCPRIM_400000_NS6detail17trampoline_kernelINS0_14default_configENS1_20scan_config_selectorIiEEZZNS1_9scan_implILNS1_25lookback_scan_determinismE0ELb0ELb0ES3_N6thrust23THRUST_200600_302600_NS6detail15normal_iteratorINS9_10device_ptrIiEEEENS9_16discard_iteratorINS9_11use_defaultEEEiNS9_4plusIvEEiEEDaPvRmT3_T4_T5_mT6_P12ihipStream_tbENKUlT_T0_E_clISt17integral_constantIbLb0EESW_IbLb1EEEEDaSS_ST_EUlSS_E_NS1_11comp_targetILNS1_3genE3ELNS1_11target_archE908ELNS1_3gpuE7ELNS1_3repE0EEENS1_30default_config_static_selectorELNS0_4arch9wavefront6targetE1EEEvT1_ ; -- Begin function _ZN7rocprim17ROCPRIM_400000_NS6detail17trampoline_kernelINS0_14default_configENS1_20scan_config_selectorIiEEZZNS1_9scan_implILNS1_25lookback_scan_determinismE0ELb0ELb0ES3_N6thrust23THRUST_200600_302600_NS6detail15normal_iteratorINS9_10device_ptrIiEEEENS9_16discard_iteratorINS9_11use_defaultEEEiNS9_4plusIvEEiEEDaPvRmT3_T4_T5_mT6_P12ihipStream_tbENKUlT_T0_E_clISt17integral_constantIbLb0EESW_IbLb1EEEEDaSS_ST_EUlSS_E_NS1_11comp_targetILNS1_3genE3ELNS1_11target_archE908ELNS1_3gpuE7ELNS1_3repE0EEENS1_30default_config_static_selectorELNS0_4arch9wavefront6targetE1EEEvT1_
	.globl	_ZN7rocprim17ROCPRIM_400000_NS6detail17trampoline_kernelINS0_14default_configENS1_20scan_config_selectorIiEEZZNS1_9scan_implILNS1_25lookback_scan_determinismE0ELb0ELb0ES3_N6thrust23THRUST_200600_302600_NS6detail15normal_iteratorINS9_10device_ptrIiEEEENS9_16discard_iteratorINS9_11use_defaultEEEiNS9_4plusIvEEiEEDaPvRmT3_T4_T5_mT6_P12ihipStream_tbENKUlT_T0_E_clISt17integral_constantIbLb0EESW_IbLb1EEEEDaSS_ST_EUlSS_E_NS1_11comp_targetILNS1_3genE3ELNS1_11target_archE908ELNS1_3gpuE7ELNS1_3repE0EEENS1_30default_config_static_selectorELNS0_4arch9wavefront6targetE1EEEvT1_
	.p2align	8
	.type	_ZN7rocprim17ROCPRIM_400000_NS6detail17trampoline_kernelINS0_14default_configENS1_20scan_config_selectorIiEEZZNS1_9scan_implILNS1_25lookback_scan_determinismE0ELb0ELb0ES3_N6thrust23THRUST_200600_302600_NS6detail15normal_iteratorINS9_10device_ptrIiEEEENS9_16discard_iteratorINS9_11use_defaultEEEiNS9_4plusIvEEiEEDaPvRmT3_T4_T5_mT6_P12ihipStream_tbENKUlT_T0_E_clISt17integral_constantIbLb0EESW_IbLb1EEEEDaSS_ST_EUlSS_E_NS1_11comp_targetILNS1_3genE3ELNS1_11target_archE908ELNS1_3gpuE7ELNS1_3repE0EEENS1_30default_config_static_selectorELNS0_4arch9wavefront6targetE1EEEvT1_,@function
_ZN7rocprim17ROCPRIM_400000_NS6detail17trampoline_kernelINS0_14default_configENS1_20scan_config_selectorIiEEZZNS1_9scan_implILNS1_25lookback_scan_determinismE0ELb0ELb0ES3_N6thrust23THRUST_200600_302600_NS6detail15normal_iteratorINS9_10device_ptrIiEEEENS9_16discard_iteratorINS9_11use_defaultEEEiNS9_4plusIvEEiEEDaPvRmT3_T4_T5_mT6_P12ihipStream_tbENKUlT_T0_E_clISt17integral_constantIbLb0EESW_IbLb1EEEEDaSS_ST_EUlSS_E_NS1_11comp_targetILNS1_3genE3ELNS1_11target_archE908ELNS1_3gpuE7ELNS1_3repE0EEENS1_30default_config_static_selectorELNS0_4arch9wavefront6targetE1EEEvT1_: ; @_ZN7rocprim17ROCPRIM_400000_NS6detail17trampoline_kernelINS0_14default_configENS1_20scan_config_selectorIiEEZZNS1_9scan_implILNS1_25lookback_scan_determinismE0ELb0ELb0ES3_N6thrust23THRUST_200600_302600_NS6detail15normal_iteratorINS9_10device_ptrIiEEEENS9_16discard_iteratorINS9_11use_defaultEEEiNS9_4plusIvEEiEEDaPvRmT3_T4_T5_mT6_P12ihipStream_tbENKUlT_T0_E_clISt17integral_constantIbLb0EESW_IbLb1EEEEDaSS_ST_EUlSS_E_NS1_11comp_targetILNS1_3genE3ELNS1_11target_archE908ELNS1_3gpuE7ELNS1_3repE0EEENS1_30default_config_static_selectorELNS0_4arch9wavefront6targetE1EEEvT1_
; %bb.0:
	.section	.rodata,"a",@progbits
	.p2align	6, 0x0
	.amdhsa_kernel _ZN7rocprim17ROCPRIM_400000_NS6detail17trampoline_kernelINS0_14default_configENS1_20scan_config_selectorIiEEZZNS1_9scan_implILNS1_25lookback_scan_determinismE0ELb0ELb0ES3_N6thrust23THRUST_200600_302600_NS6detail15normal_iteratorINS9_10device_ptrIiEEEENS9_16discard_iteratorINS9_11use_defaultEEEiNS9_4plusIvEEiEEDaPvRmT3_T4_T5_mT6_P12ihipStream_tbENKUlT_T0_E_clISt17integral_constantIbLb0EESW_IbLb1EEEEDaSS_ST_EUlSS_E_NS1_11comp_targetILNS1_3genE3ELNS1_11target_archE908ELNS1_3gpuE7ELNS1_3repE0EEENS1_30default_config_static_selectorELNS0_4arch9wavefront6targetE1EEEvT1_
		.amdhsa_group_segment_fixed_size 0
		.amdhsa_private_segment_fixed_size 0
		.amdhsa_kernarg_size 104
		.amdhsa_user_sgpr_count 6
		.amdhsa_user_sgpr_private_segment_buffer 1
		.amdhsa_user_sgpr_dispatch_ptr 0
		.amdhsa_user_sgpr_queue_ptr 0
		.amdhsa_user_sgpr_kernarg_segment_ptr 1
		.amdhsa_user_sgpr_dispatch_id 0
		.amdhsa_user_sgpr_flat_scratch_init 0
		.amdhsa_user_sgpr_kernarg_preload_length 0
		.amdhsa_user_sgpr_kernarg_preload_offset 0
		.amdhsa_user_sgpr_private_segment_size 0
		.amdhsa_uses_dynamic_stack 0
		.amdhsa_system_sgpr_private_segment_wavefront_offset 0
		.amdhsa_system_sgpr_workgroup_id_x 1
		.amdhsa_system_sgpr_workgroup_id_y 0
		.amdhsa_system_sgpr_workgroup_id_z 0
		.amdhsa_system_sgpr_workgroup_info 0
		.amdhsa_system_vgpr_workitem_id 0
		.amdhsa_next_free_vgpr 1
		.amdhsa_next_free_sgpr 0
		.amdhsa_accum_offset 4
		.amdhsa_reserve_vcc 0
		.amdhsa_reserve_flat_scratch 0
		.amdhsa_float_round_mode_32 0
		.amdhsa_float_round_mode_16_64 0
		.amdhsa_float_denorm_mode_32 3
		.amdhsa_float_denorm_mode_16_64 3
		.amdhsa_dx10_clamp 1
		.amdhsa_ieee_mode 1
		.amdhsa_fp16_overflow 0
		.amdhsa_tg_split 0
		.amdhsa_exception_fp_ieee_invalid_op 0
		.amdhsa_exception_fp_denorm_src 0
		.amdhsa_exception_fp_ieee_div_zero 0
		.amdhsa_exception_fp_ieee_overflow 0
		.amdhsa_exception_fp_ieee_underflow 0
		.amdhsa_exception_fp_ieee_inexact 0
		.amdhsa_exception_int_div_zero 0
	.end_amdhsa_kernel
	.section	.text._ZN7rocprim17ROCPRIM_400000_NS6detail17trampoline_kernelINS0_14default_configENS1_20scan_config_selectorIiEEZZNS1_9scan_implILNS1_25lookback_scan_determinismE0ELb0ELb0ES3_N6thrust23THRUST_200600_302600_NS6detail15normal_iteratorINS9_10device_ptrIiEEEENS9_16discard_iteratorINS9_11use_defaultEEEiNS9_4plusIvEEiEEDaPvRmT3_T4_T5_mT6_P12ihipStream_tbENKUlT_T0_E_clISt17integral_constantIbLb0EESW_IbLb1EEEEDaSS_ST_EUlSS_E_NS1_11comp_targetILNS1_3genE3ELNS1_11target_archE908ELNS1_3gpuE7ELNS1_3repE0EEENS1_30default_config_static_selectorELNS0_4arch9wavefront6targetE1EEEvT1_,"axG",@progbits,_ZN7rocprim17ROCPRIM_400000_NS6detail17trampoline_kernelINS0_14default_configENS1_20scan_config_selectorIiEEZZNS1_9scan_implILNS1_25lookback_scan_determinismE0ELb0ELb0ES3_N6thrust23THRUST_200600_302600_NS6detail15normal_iteratorINS9_10device_ptrIiEEEENS9_16discard_iteratorINS9_11use_defaultEEEiNS9_4plusIvEEiEEDaPvRmT3_T4_T5_mT6_P12ihipStream_tbENKUlT_T0_E_clISt17integral_constantIbLb0EESW_IbLb1EEEEDaSS_ST_EUlSS_E_NS1_11comp_targetILNS1_3genE3ELNS1_11target_archE908ELNS1_3gpuE7ELNS1_3repE0EEENS1_30default_config_static_selectorELNS0_4arch9wavefront6targetE1EEEvT1_,comdat
.Lfunc_end5783:
	.size	_ZN7rocprim17ROCPRIM_400000_NS6detail17trampoline_kernelINS0_14default_configENS1_20scan_config_selectorIiEEZZNS1_9scan_implILNS1_25lookback_scan_determinismE0ELb0ELb0ES3_N6thrust23THRUST_200600_302600_NS6detail15normal_iteratorINS9_10device_ptrIiEEEENS9_16discard_iteratorINS9_11use_defaultEEEiNS9_4plusIvEEiEEDaPvRmT3_T4_T5_mT6_P12ihipStream_tbENKUlT_T0_E_clISt17integral_constantIbLb0EESW_IbLb1EEEEDaSS_ST_EUlSS_E_NS1_11comp_targetILNS1_3genE3ELNS1_11target_archE908ELNS1_3gpuE7ELNS1_3repE0EEENS1_30default_config_static_selectorELNS0_4arch9wavefront6targetE1EEEvT1_, .Lfunc_end5783-_ZN7rocprim17ROCPRIM_400000_NS6detail17trampoline_kernelINS0_14default_configENS1_20scan_config_selectorIiEEZZNS1_9scan_implILNS1_25lookback_scan_determinismE0ELb0ELb0ES3_N6thrust23THRUST_200600_302600_NS6detail15normal_iteratorINS9_10device_ptrIiEEEENS9_16discard_iteratorINS9_11use_defaultEEEiNS9_4plusIvEEiEEDaPvRmT3_T4_T5_mT6_P12ihipStream_tbENKUlT_T0_E_clISt17integral_constantIbLb0EESW_IbLb1EEEEDaSS_ST_EUlSS_E_NS1_11comp_targetILNS1_3genE3ELNS1_11target_archE908ELNS1_3gpuE7ELNS1_3repE0EEENS1_30default_config_static_selectorELNS0_4arch9wavefront6targetE1EEEvT1_
                                        ; -- End function
	.section	.AMDGPU.csdata,"",@progbits
; Kernel info:
; codeLenInByte = 0
; NumSgprs: 4
; NumVgprs: 0
; NumAgprs: 0
; TotalNumVgprs: 0
; ScratchSize: 0
; MemoryBound: 0
; FloatMode: 240
; IeeeMode: 1
; LDSByteSize: 0 bytes/workgroup (compile time only)
; SGPRBlocks: 0
; VGPRBlocks: 0
; NumSGPRsForWavesPerEU: 4
; NumVGPRsForWavesPerEU: 1
; AccumOffset: 4
; Occupancy: 8
; WaveLimiterHint : 0
; COMPUTE_PGM_RSRC2:SCRATCH_EN: 0
; COMPUTE_PGM_RSRC2:USER_SGPR: 6
; COMPUTE_PGM_RSRC2:TRAP_HANDLER: 0
; COMPUTE_PGM_RSRC2:TGID_X_EN: 1
; COMPUTE_PGM_RSRC2:TGID_Y_EN: 0
; COMPUTE_PGM_RSRC2:TGID_Z_EN: 0
; COMPUTE_PGM_RSRC2:TIDIG_COMP_CNT: 0
; COMPUTE_PGM_RSRC3_GFX90A:ACCUM_OFFSET: 0
; COMPUTE_PGM_RSRC3_GFX90A:TG_SPLIT: 0
	.section	.text._ZN7rocprim17ROCPRIM_400000_NS6detail17trampoline_kernelINS0_14default_configENS1_20scan_config_selectorIiEEZZNS1_9scan_implILNS1_25lookback_scan_determinismE0ELb0ELb0ES3_N6thrust23THRUST_200600_302600_NS6detail15normal_iteratorINS9_10device_ptrIiEEEENS9_16discard_iteratorINS9_11use_defaultEEEiNS9_4plusIvEEiEEDaPvRmT3_T4_T5_mT6_P12ihipStream_tbENKUlT_T0_E_clISt17integral_constantIbLb0EESW_IbLb1EEEEDaSS_ST_EUlSS_E_NS1_11comp_targetILNS1_3genE2ELNS1_11target_archE906ELNS1_3gpuE6ELNS1_3repE0EEENS1_30default_config_static_selectorELNS0_4arch9wavefront6targetE1EEEvT1_,"axG",@progbits,_ZN7rocprim17ROCPRIM_400000_NS6detail17trampoline_kernelINS0_14default_configENS1_20scan_config_selectorIiEEZZNS1_9scan_implILNS1_25lookback_scan_determinismE0ELb0ELb0ES3_N6thrust23THRUST_200600_302600_NS6detail15normal_iteratorINS9_10device_ptrIiEEEENS9_16discard_iteratorINS9_11use_defaultEEEiNS9_4plusIvEEiEEDaPvRmT3_T4_T5_mT6_P12ihipStream_tbENKUlT_T0_E_clISt17integral_constantIbLb0EESW_IbLb1EEEEDaSS_ST_EUlSS_E_NS1_11comp_targetILNS1_3genE2ELNS1_11target_archE906ELNS1_3gpuE6ELNS1_3repE0EEENS1_30default_config_static_selectorELNS0_4arch9wavefront6targetE1EEEvT1_,comdat
	.protected	_ZN7rocprim17ROCPRIM_400000_NS6detail17trampoline_kernelINS0_14default_configENS1_20scan_config_selectorIiEEZZNS1_9scan_implILNS1_25lookback_scan_determinismE0ELb0ELb0ES3_N6thrust23THRUST_200600_302600_NS6detail15normal_iteratorINS9_10device_ptrIiEEEENS9_16discard_iteratorINS9_11use_defaultEEEiNS9_4plusIvEEiEEDaPvRmT3_T4_T5_mT6_P12ihipStream_tbENKUlT_T0_E_clISt17integral_constantIbLb0EESW_IbLb1EEEEDaSS_ST_EUlSS_E_NS1_11comp_targetILNS1_3genE2ELNS1_11target_archE906ELNS1_3gpuE6ELNS1_3repE0EEENS1_30default_config_static_selectorELNS0_4arch9wavefront6targetE1EEEvT1_ ; -- Begin function _ZN7rocprim17ROCPRIM_400000_NS6detail17trampoline_kernelINS0_14default_configENS1_20scan_config_selectorIiEEZZNS1_9scan_implILNS1_25lookback_scan_determinismE0ELb0ELb0ES3_N6thrust23THRUST_200600_302600_NS6detail15normal_iteratorINS9_10device_ptrIiEEEENS9_16discard_iteratorINS9_11use_defaultEEEiNS9_4plusIvEEiEEDaPvRmT3_T4_T5_mT6_P12ihipStream_tbENKUlT_T0_E_clISt17integral_constantIbLb0EESW_IbLb1EEEEDaSS_ST_EUlSS_E_NS1_11comp_targetILNS1_3genE2ELNS1_11target_archE906ELNS1_3gpuE6ELNS1_3repE0EEENS1_30default_config_static_selectorELNS0_4arch9wavefront6targetE1EEEvT1_
	.globl	_ZN7rocprim17ROCPRIM_400000_NS6detail17trampoline_kernelINS0_14default_configENS1_20scan_config_selectorIiEEZZNS1_9scan_implILNS1_25lookback_scan_determinismE0ELb0ELb0ES3_N6thrust23THRUST_200600_302600_NS6detail15normal_iteratorINS9_10device_ptrIiEEEENS9_16discard_iteratorINS9_11use_defaultEEEiNS9_4plusIvEEiEEDaPvRmT3_T4_T5_mT6_P12ihipStream_tbENKUlT_T0_E_clISt17integral_constantIbLb0EESW_IbLb1EEEEDaSS_ST_EUlSS_E_NS1_11comp_targetILNS1_3genE2ELNS1_11target_archE906ELNS1_3gpuE6ELNS1_3repE0EEENS1_30default_config_static_selectorELNS0_4arch9wavefront6targetE1EEEvT1_
	.p2align	8
	.type	_ZN7rocprim17ROCPRIM_400000_NS6detail17trampoline_kernelINS0_14default_configENS1_20scan_config_selectorIiEEZZNS1_9scan_implILNS1_25lookback_scan_determinismE0ELb0ELb0ES3_N6thrust23THRUST_200600_302600_NS6detail15normal_iteratorINS9_10device_ptrIiEEEENS9_16discard_iteratorINS9_11use_defaultEEEiNS9_4plusIvEEiEEDaPvRmT3_T4_T5_mT6_P12ihipStream_tbENKUlT_T0_E_clISt17integral_constantIbLb0EESW_IbLb1EEEEDaSS_ST_EUlSS_E_NS1_11comp_targetILNS1_3genE2ELNS1_11target_archE906ELNS1_3gpuE6ELNS1_3repE0EEENS1_30default_config_static_selectorELNS0_4arch9wavefront6targetE1EEEvT1_,@function
_ZN7rocprim17ROCPRIM_400000_NS6detail17trampoline_kernelINS0_14default_configENS1_20scan_config_selectorIiEEZZNS1_9scan_implILNS1_25lookback_scan_determinismE0ELb0ELb0ES3_N6thrust23THRUST_200600_302600_NS6detail15normal_iteratorINS9_10device_ptrIiEEEENS9_16discard_iteratorINS9_11use_defaultEEEiNS9_4plusIvEEiEEDaPvRmT3_T4_T5_mT6_P12ihipStream_tbENKUlT_T0_E_clISt17integral_constantIbLb0EESW_IbLb1EEEEDaSS_ST_EUlSS_E_NS1_11comp_targetILNS1_3genE2ELNS1_11target_archE906ELNS1_3gpuE6ELNS1_3repE0EEENS1_30default_config_static_selectorELNS0_4arch9wavefront6targetE1EEEvT1_: ; @_ZN7rocprim17ROCPRIM_400000_NS6detail17trampoline_kernelINS0_14default_configENS1_20scan_config_selectorIiEEZZNS1_9scan_implILNS1_25lookback_scan_determinismE0ELb0ELb0ES3_N6thrust23THRUST_200600_302600_NS6detail15normal_iteratorINS9_10device_ptrIiEEEENS9_16discard_iteratorINS9_11use_defaultEEEiNS9_4plusIvEEiEEDaPvRmT3_T4_T5_mT6_P12ihipStream_tbENKUlT_T0_E_clISt17integral_constantIbLb0EESW_IbLb1EEEEDaSS_ST_EUlSS_E_NS1_11comp_targetILNS1_3genE2ELNS1_11target_archE906ELNS1_3gpuE6ELNS1_3repE0EEENS1_30default_config_static_selectorELNS0_4arch9wavefront6targetE1EEEvT1_
; %bb.0:
	.section	.rodata,"a",@progbits
	.p2align	6, 0x0
	.amdhsa_kernel _ZN7rocprim17ROCPRIM_400000_NS6detail17trampoline_kernelINS0_14default_configENS1_20scan_config_selectorIiEEZZNS1_9scan_implILNS1_25lookback_scan_determinismE0ELb0ELb0ES3_N6thrust23THRUST_200600_302600_NS6detail15normal_iteratorINS9_10device_ptrIiEEEENS9_16discard_iteratorINS9_11use_defaultEEEiNS9_4plusIvEEiEEDaPvRmT3_T4_T5_mT6_P12ihipStream_tbENKUlT_T0_E_clISt17integral_constantIbLb0EESW_IbLb1EEEEDaSS_ST_EUlSS_E_NS1_11comp_targetILNS1_3genE2ELNS1_11target_archE906ELNS1_3gpuE6ELNS1_3repE0EEENS1_30default_config_static_selectorELNS0_4arch9wavefront6targetE1EEEvT1_
		.amdhsa_group_segment_fixed_size 0
		.amdhsa_private_segment_fixed_size 0
		.amdhsa_kernarg_size 104
		.amdhsa_user_sgpr_count 6
		.amdhsa_user_sgpr_private_segment_buffer 1
		.amdhsa_user_sgpr_dispatch_ptr 0
		.amdhsa_user_sgpr_queue_ptr 0
		.amdhsa_user_sgpr_kernarg_segment_ptr 1
		.amdhsa_user_sgpr_dispatch_id 0
		.amdhsa_user_sgpr_flat_scratch_init 0
		.amdhsa_user_sgpr_kernarg_preload_length 0
		.amdhsa_user_sgpr_kernarg_preload_offset 0
		.amdhsa_user_sgpr_private_segment_size 0
		.amdhsa_uses_dynamic_stack 0
		.amdhsa_system_sgpr_private_segment_wavefront_offset 0
		.amdhsa_system_sgpr_workgroup_id_x 1
		.amdhsa_system_sgpr_workgroup_id_y 0
		.amdhsa_system_sgpr_workgroup_id_z 0
		.amdhsa_system_sgpr_workgroup_info 0
		.amdhsa_system_vgpr_workitem_id 0
		.amdhsa_next_free_vgpr 1
		.amdhsa_next_free_sgpr 0
		.amdhsa_accum_offset 4
		.amdhsa_reserve_vcc 0
		.amdhsa_reserve_flat_scratch 0
		.amdhsa_float_round_mode_32 0
		.amdhsa_float_round_mode_16_64 0
		.amdhsa_float_denorm_mode_32 3
		.amdhsa_float_denorm_mode_16_64 3
		.amdhsa_dx10_clamp 1
		.amdhsa_ieee_mode 1
		.amdhsa_fp16_overflow 0
		.amdhsa_tg_split 0
		.amdhsa_exception_fp_ieee_invalid_op 0
		.amdhsa_exception_fp_denorm_src 0
		.amdhsa_exception_fp_ieee_div_zero 0
		.amdhsa_exception_fp_ieee_overflow 0
		.amdhsa_exception_fp_ieee_underflow 0
		.amdhsa_exception_fp_ieee_inexact 0
		.amdhsa_exception_int_div_zero 0
	.end_amdhsa_kernel
	.section	.text._ZN7rocprim17ROCPRIM_400000_NS6detail17trampoline_kernelINS0_14default_configENS1_20scan_config_selectorIiEEZZNS1_9scan_implILNS1_25lookback_scan_determinismE0ELb0ELb0ES3_N6thrust23THRUST_200600_302600_NS6detail15normal_iteratorINS9_10device_ptrIiEEEENS9_16discard_iteratorINS9_11use_defaultEEEiNS9_4plusIvEEiEEDaPvRmT3_T4_T5_mT6_P12ihipStream_tbENKUlT_T0_E_clISt17integral_constantIbLb0EESW_IbLb1EEEEDaSS_ST_EUlSS_E_NS1_11comp_targetILNS1_3genE2ELNS1_11target_archE906ELNS1_3gpuE6ELNS1_3repE0EEENS1_30default_config_static_selectorELNS0_4arch9wavefront6targetE1EEEvT1_,"axG",@progbits,_ZN7rocprim17ROCPRIM_400000_NS6detail17trampoline_kernelINS0_14default_configENS1_20scan_config_selectorIiEEZZNS1_9scan_implILNS1_25lookback_scan_determinismE0ELb0ELb0ES3_N6thrust23THRUST_200600_302600_NS6detail15normal_iteratorINS9_10device_ptrIiEEEENS9_16discard_iteratorINS9_11use_defaultEEEiNS9_4plusIvEEiEEDaPvRmT3_T4_T5_mT6_P12ihipStream_tbENKUlT_T0_E_clISt17integral_constantIbLb0EESW_IbLb1EEEEDaSS_ST_EUlSS_E_NS1_11comp_targetILNS1_3genE2ELNS1_11target_archE906ELNS1_3gpuE6ELNS1_3repE0EEENS1_30default_config_static_selectorELNS0_4arch9wavefront6targetE1EEEvT1_,comdat
.Lfunc_end5784:
	.size	_ZN7rocprim17ROCPRIM_400000_NS6detail17trampoline_kernelINS0_14default_configENS1_20scan_config_selectorIiEEZZNS1_9scan_implILNS1_25lookback_scan_determinismE0ELb0ELb0ES3_N6thrust23THRUST_200600_302600_NS6detail15normal_iteratorINS9_10device_ptrIiEEEENS9_16discard_iteratorINS9_11use_defaultEEEiNS9_4plusIvEEiEEDaPvRmT3_T4_T5_mT6_P12ihipStream_tbENKUlT_T0_E_clISt17integral_constantIbLb0EESW_IbLb1EEEEDaSS_ST_EUlSS_E_NS1_11comp_targetILNS1_3genE2ELNS1_11target_archE906ELNS1_3gpuE6ELNS1_3repE0EEENS1_30default_config_static_selectorELNS0_4arch9wavefront6targetE1EEEvT1_, .Lfunc_end5784-_ZN7rocprim17ROCPRIM_400000_NS6detail17trampoline_kernelINS0_14default_configENS1_20scan_config_selectorIiEEZZNS1_9scan_implILNS1_25lookback_scan_determinismE0ELb0ELb0ES3_N6thrust23THRUST_200600_302600_NS6detail15normal_iteratorINS9_10device_ptrIiEEEENS9_16discard_iteratorINS9_11use_defaultEEEiNS9_4plusIvEEiEEDaPvRmT3_T4_T5_mT6_P12ihipStream_tbENKUlT_T0_E_clISt17integral_constantIbLb0EESW_IbLb1EEEEDaSS_ST_EUlSS_E_NS1_11comp_targetILNS1_3genE2ELNS1_11target_archE906ELNS1_3gpuE6ELNS1_3repE0EEENS1_30default_config_static_selectorELNS0_4arch9wavefront6targetE1EEEvT1_
                                        ; -- End function
	.section	.AMDGPU.csdata,"",@progbits
; Kernel info:
; codeLenInByte = 0
; NumSgprs: 4
; NumVgprs: 0
; NumAgprs: 0
; TotalNumVgprs: 0
; ScratchSize: 0
; MemoryBound: 0
; FloatMode: 240
; IeeeMode: 1
; LDSByteSize: 0 bytes/workgroup (compile time only)
; SGPRBlocks: 0
; VGPRBlocks: 0
; NumSGPRsForWavesPerEU: 4
; NumVGPRsForWavesPerEU: 1
; AccumOffset: 4
; Occupancy: 8
; WaveLimiterHint : 0
; COMPUTE_PGM_RSRC2:SCRATCH_EN: 0
; COMPUTE_PGM_RSRC2:USER_SGPR: 6
; COMPUTE_PGM_RSRC2:TRAP_HANDLER: 0
; COMPUTE_PGM_RSRC2:TGID_X_EN: 1
; COMPUTE_PGM_RSRC2:TGID_Y_EN: 0
; COMPUTE_PGM_RSRC2:TGID_Z_EN: 0
; COMPUTE_PGM_RSRC2:TIDIG_COMP_CNT: 0
; COMPUTE_PGM_RSRC3_GFX90A:ACCUM_OFFSET: 0
; COMPUTE_PGM_RSRC3_GFX90A:TG_SPLIT: 0
	.section	.text._ZN7rocprim17ROCPRIM_400000_NS6detail17trampoline_kernelINS0_14default_configENS1_20scan_config_selectorIiEEZZNS1_9scan_implILNS1_25lookback_scan_determinismE0ELb0ELb0ES3_N6thrust23THRUST_200600_302600_NS6detail15normal_iteratorINS9_10device_ptrIiEEEENS9_16discard_iteratorINS9_11use_defaultEEEiNS9_4plusIvEEiEEDaPvRmT3_T4_T5_mT6_P12ihipStream_tbENKUlT_T0_E_clISt17integral_constantIbLb0EESW_IbLb1EEEEDaSS_ST_EUlSS_E_NS1_11comp_targetILNS1_3genE10ELNS1_11target_archE1201ELNS1_3gpuE5ELNS1_3repE0EEENS1_30default_config_static_selectorELNS0_4arch9wavefront6targetE1EEEvT1_,"axG",@progbits,_ZN7rocprim17ROCPRIM_400000_NS6detail17trampoline_kernelINS0_14default_configENS1_20scan_config_selectorIiEEZZNS1_9scan_implILNS1_25lookback_scan_determinismE0ELb0ELb0ES3_N6thrust23THRUST_200600_302600_NS6detail15normal_iteratorINS9_10device_ptrIiEEEENS9_16discard_iteratorINS9_11use_defaultEEEiNS9_4plusIvEEiEEDaPvRmT3_T4_T5_mT6_P12ihipStream_tbENKUlT_T0_E_clISt17integral_constantIbLb0EESW_IbLb1EEEEDaSS_ST_EUlSS_E_NS1_11comp_targetILNS1_3genE10ELNS1_11target_archE1201ELNS1_3gpuE5ELNS1_3repE0EEENS1_30default_config_static_selectorELNS0_4arch9wavefront6targetE1EEEvT1_,comdat
	.protected	_ZN7rocprim17ROCPRIM_400000_NS6detail17trampoline_kernelINS0_14default_configENS1_20scan_config_selectorIiEEZZNS1_9scan_implILNS1_25lookback_scan_determinismE0ELb0ELb0ES3_N6thrust23THRUST_200600_302600_NS6detail15normal_iteratorINS9_10device_ptrIiEEEENS9_16discard_iteratorINS9_11use_defaultEEEiNS9_4plusIvEEiEEDaPvRmT3_T4_T5_mT6_P12ihipStream_tbENKUlT_T0_E_clISt17integral_constantIbLb0EESW_IbLb1EEEEDaSS_ST_EUlSS_E_NS1_11comp_targetILNS1_3genE10ELNS1_11target_archE1201ELNS1_3gpuE5ELNS1_3repE0EEENS1_30default_config_static_selectorELNS0_4arch9wavefront6targetE1EEEvT1_ ; -- Begin function _ZN7rocprim17ROCPRIM_400000_NS6detail17trampoline_kernelINS0_14default_configENS1_20scan_config_selectorIiEEZZNS1_9scan_implILNS1_25lookback_scan_determinismE0ELb0ELb0ES3_N6thrust23THRUST_200600_302600_NS6detail15normal_iteratorINS9_10device_ptrIiEEEENS9_16discard_iteratorINS9_11use_defaultEEEiNS9_4plusIvEEiEEDaPvRmT3_T4_T5_mT6_P12ihipStream_tbENKUlT_T0_E_clISt17integral_constantIbLb0EESW_IbLb1EEEEDaSS_ST_EUlSS_E_NS1_11comp_targetILNS1_3genE10ELNS1_11target_archE1201ELNS1_3gpuE5ELNS1_3repE0EEENS1_30default_config_static_selectorELNS0_4arch9wavefront6targetE1EEEvT1_
	.globl	_ZN7rocprim17ROCPRIM_400000_NS6detail17trampoline_kernelINS0_14default_configENS1_20scan_config_selectorIiEEZZNS1_9scan_implILNS1_25lookback_scan_determinismE0ELb0ELb0ES3_N6thrust23THRUST_200600_302600_NS6detail15normal_iteratorINS9_10device_ptrIiEEEENS9_16discard_iteratorINS9_11use_defaultEEEiNS9_4plusIvEEiEEDaPvRmT3_T4_T5_mT6_P12ihipStream_tbENKUlT_T0_E_clISt17integral_constantIbLb0EESW_IbLb1EEEEDaSS_ST_EUlSS_E_NS1_11comp_targetILNS1_3genE10ELNS1_11target_archE1201ELNS1_3gpuE5ELNS1_3repE0EEENS1_30default_config_static_selectorELNS0_4arch9wavefront6targetE1EEEvT1_
	.p2align	8
	.type	_ZN7rocprim17ROCPRIM_400000_NS6detail17trampoline_kernelINS0_14default_configENS1_20scan_config_selectorIiEEZZNS1_9scan_implILNS1_25lookback_scan_determinismE0ELb0ELb0ES3_N6thrust23THRUST_200600_302600_NS6detail15normal_iteratorINS9_10device_ptrIiEEEENS9_16discard_iteratorINS9_11use_defaultEEEiNS9_4plusIvEEiEEDaPvRmT3_T4_T5_mT6_P12ihipStream_tbENKUlT_T0_E_clISt17integral_constantIbLb0EESW_IbLb1EEEEDaSS_ST_EUlSS_E_NS1_11comp_targetILNS1_3genE10ELNS1_11target_archE1201ELNS1_3gpuE5ELNS1_3repE0EEENS1_30default_config_static_selectorELNS0_4arch9wavefront6targetE1EEEvT1_,@function
_ZN7rocprim17ROCPRIM_400000_NS6detail17trampoline_kernelINS0_14default_configENS1_20scan_config_selectorIiEEZZNS1_9scan_implILNS1_25lookback_scan_determinismE0ELb0ELb0ES3_N6thrust23THRUST_200600_302600_NS6detail15normal_iteratorINS9_10device_ptrIiEEEENS9_16discard_iteratorINS9_11use_defaultEEEiNS9_4plusIvEEiEEDaPvRmT3_T4_T5_mT6_P12ihipStream_tbENKUlT_T0_E_clISt17integral_constantIbLb0EESW_IbLb1EEEEDaSS_ST_EUlSS_E_NS1_11comp_targetILNS1_3genE10ELNS1_11target_archE1201ELNS1_3gpuE5ELNS1_3repE0EEENS1_30default_config_static_selectorELNS0_4arch9wavefront6targetE1EEEvT1_: ; @_ZN7rocprim17ROCPRIM_400000_NS6detail17trampoline_kernelINS0_14default_configENS1_20scan_config_selectorIiEEZZNS1_9scan_implILNS1_25lookback_scan_determinismE0ELb0ELb0ES3_N6thrust23THRUST_200600_302600_NS6detail15normal_iteratorINS9_10device_ptrIiEEEENS9_16discard_iteratorINS9_11use_defaultEEEiNS9_4plusIvEEiEEDaPvRmT3_T4_T5_mT6_P12ihipStream_tbENKUlT_T0_E_clISt17integral_constantIbLb0EESW_IbLb1EEEEDaSS_ST_EUlSS_E_NS1_11comp_targetILNS1_3genE10ELNS1_11target_archE1201ELNS1_3gpuE5ELNS1_3repE0EEENS1_30default_config_static_selectorELNS0_4arch9wavefront6targetE1EEEvT1_
; %bb.0:
	.section	.rodata,"a",@progbits
	.p2align	6, 0x0
	.amdhsa_kernel _ZN7rocprim17ROCPRIM_400000_NS6detail17trampoline_kernelINS0_14default_configENS1_20scan_config_selectorIiEEZZNS1_9scan_implILNS1_25lookback_scan_determinismE0ELb0ELb0ES3_N6thrust23THRUST_200600_302600_NS6detail15normal_iteratorINS9_10device_ptrIiEEEENS9_16discard_iteratorINS9_11use_defaultEEEiNS9_4plusIvEEiEEDaPvRmT3_T4_T5_mT6_P12ihipStream_tbENKUlT_T0_E_clISt17integral_constantIbLb0EESW_IbLb1EEEEDaSS_ST_EUlSS_E_NS1_11comp_targetILNS1_3genE10ELNS1_11target_archE1201ELNS1_3gpuE5ELNS1_3repE0EEENS1_30default_config_static_selectorELNS0_4arch9wavefront6targetE1EEEvT1_
		.amdhsa_group_segment_fixed_size 0
		.amdhsa_private_segment_fixed_size 0
		.amdhsa_kernarg_size 104
		.amdhsa_user_sgpr_count 6
		.amdhsa_user_sgpr_private_segment_buffer 1
		.amdhsa_user_sgpr_dispatch_ptr 0
		.amdhsa_user_sgpr_queue_ptr 0
		.amdhsa_user_sgpr_kernarg_segment_ptr 1
		.amdhsa_user_sgpr_dispatch_id 0
		.amdhsa_user_sgpr_flat_scratch_init 0
		.amdhsa_user_sgpr_kernarg_preload_length 0
		.amdhsa_user_sgpr_kernarg_preload_offset 0
		.amdhsa_user_sgpr_private_segment_size 0
		.amdhsa_uses_dynamic_stack 0
		.amdhsa_system_sgpr_private_segment_wavefront_offset 0
		.amdhsa_system_sgpr_workgroup_id_x 1
		.amdhsa_system_sgpr_workgroup_id_y 0
		.amdhsa_system_sgpr_workgroup_id_z 0
		.amdhsa_system_sgpr_workgroup_info 0
		.amdhsa_system_vgpr_workitem_id 0
		.amdhsa_next_free_vgpr 1
		.amdhsa_next_free_sgpr 0
		.amdhsa_accum_offset 4
		.amdhsa_reserve_vcc 0
		.amdhsa_reserve_flat_scratch 0
		.amdhsa_float_round_mode_32 0
		.amdhsa_float_round_mode_16_64 0
		.amdhsa_float_denorm_mode_32 3
		.amdhsa_float_denorm_mode_16_64 3
		.amdhsa_dx10_clamp 1
		.amdhsa_ieee_mode 1
		.amdhsa_fp16_overflow 0
		.amdhsa_tg_split 0
		.amdhsa_exception_fp_ieee_invalid_op 0
		.amdhsa_exception_fp_denorm_src 0
		.amdhsa_exception_fp_ieee_div_zero 0
		.amdhsa_exception_fp_ieee_overflow 0
		.amdhsa_exception_fp_ieee_underflow 0
		.amdhsa_exception_fp_ieee_inexact 0
		.amdhsa_exception_int_div_zero 0
	.end_amdhsa_kernel
	.section	.text._ZN7rocprim17ROCPRIM_400000_NS6detail17trampoline_kernelINS0_14default_configENS1_20scan_config_selectorIiEEZZNS1_9scan_implILNS1_25lookback_scan_determinismE0ELb0ELb0ES3_N6thrust23THRUST_200600_302600_NS6detail15normal_iteratorINS9_10device_ptrIiEEEENS9_16discard_iteratorINS9_11use_defaultEEEiNS9_4plusIvEEiEEDaPvRmT3_T4_T5_mT6_P12ihipStream_tbENKUlT_T0_E_clISt17integral_constantIbLb0EESW_IbLb1EEEEDaSS_ST_EUlSS_E_NS1_11comp_targetILNS1_3genE10ELNS1_11target_archE1201ELNS1_3gpuE5ELNS1_3repE0EEENS1_30default_config_static_selectorELNS0_4arch9wavefront6targetE1EEEvT1_,"axG",@progbits,_ZN7rocprim17ROCPRIM_400000_NS6detail17trampoline_kernelINS0_14default_configENS1_20scan_config_selectorIiEEZZNS1_9scan_implILNS1_25lookback_scan_determinismE0ELb0ELb0ES3_N6thrust23THRUST_200600_302600_NS6detail15normal_iteratorINS9_10device_ptrIiEEEENS9_16discard_iteratorINS9_11use_defaultEEEiNS9_4plusIvEEiEEDaPvRmT3_T4_T5_mT6_P12ihipStream_tbENKUlT_T0_E_clISt17integral_constantIbLb0EESW_IbLb1EEEEDaSS_ST_EUlSS_E_NS1_11comp_targetILNS1_3genE10ELNS1_11target_archE1201ELNS1_3gpuE5ELNS1_3repE0EEENS1_30default_config_static_selectorELNS0_4arch9wavefront6targetE1EEEvT1_,comdat
.Lfunc_end5785:
	.size	_ZN7rocprim17ROCPRIM_400000_NS6detail17trampoline_kernelINS0_14default_configENS1_20scan_config_selectorIiEEZZNS1_9scan_implILNS1_25lookback_scan_determinismE0ELb0ELb0ES3_N6thrust23THRUST_200600_302600_NS6detail15normal_iteratorINS9_10device_ptrIiEEEENS9_16discard_iteratorINS9_11use_defaultEEEiNS9_4plusIvEEiEEDaPvRmT3_T4_T5_mT6_P12ihipStream_tbENKUlT_T0_E_clISt17integral_constantIbLb0EESW_IbLb1EEEEDaSS_ST_EUlSS_E_NS1_11comp_targetILNS1_3genE10ELNS1_11target_archE1201ELNS1_3gpuE5ELNS1_3repE0EEENS1_30default_config_static_selectorELNS0_4arch9wavefront6targetE1EEEvT1_, .Lfunc_end5785-_ZN7rocprim17ROCPRIM_400000_NS6detail17trampoline_kernelINS0_14default_configENS1_20scan_config_selectorIiEEZZNS1_9scan_implILNS1_25lookback_scan_determinismE0ELb0ELb0ES3_N6thrust23THRUST_200600_302600_NS6detail15normal_iteratorINS9_10device_ptrIiEEEENS9_16discard_iteratorINS9_11use_defaultEEEiNS9_4plusIvEEiEEDaPvRmT3_T4_T5_mT6_P12ihipStream_tbENKUlT_T0_E_clISt17integral_constantIbLb0EESW_IbLb1EEEEDaSS_ST_EUlSS_E_NS1_11comp_targetILNS1_3genE10ELNS1_11target_archE1201ELNS1_3gpuE5ELNS1_3repE0EEENS1_30default_config_static_selectorELNS0_4arch9wavefront6targetE1EEEvT1_
                                        ; -- End function
	.section	.AMDGPU.csdata,"",@progbits
; Kernel info:
; codeLenInByte = 0
; NumSgprs: 4
; NumVgprs: 0
; NumAgprs: 0
; TotalNumVgprs: 0
; ScratchSize: 0
; MemoryBound: 0
; FloatMode: 240
; IeeeMode: 1
; LDSByteSize: 0 bytes/workgroup (compile time only)
; SGPRBlocks: 0
; VGPRBlocks: 0
; NumSGPRsForWavesPerEU: 4
; NumVGPRsForWavesPerEU: 1
; AccumOffset: 4
; Occupancy: 8
; WaveLimiterHint : 0
; COMPUTE_PGM_RSRC2:SCRATCH_EN: 0
; COMPUTE_PGM_RSRC2:USER_SGPR: 6
; COMPUTE_PGM_RSRC2:TRAP_HANDLER: 0
; COMPUTE_PGM_RSRC2:TGID_X_EN: 1
; COMPUTE_PGM_RSRC2:TGID_Y_EN: 0
; COMPUTE_PGM_RSRC2:TGID_Z_EN: 0
; COMPUTE_PGM_RSRC2:TIDIG_COMP_CNT: 0
; COMPUTE_PGM_RSRC3_GFX90A:ACCUM_OFFSET: 0
; COMPUTE_PGM_RSRC3_GFX90A:TG_SPLIT: 0
	.section	.text._ZN7rocprim17ROCPRIM_400000_NS6detail17trampoline_kernelINS0_14default_configENS1_20scan_config_selectorIiEEZZNS1_9scan_implILNS1_25lookback_scan_determinismE0ELb0ELb0ES3_N6thrust23THRUST_200600_302600_NS6detail15normal_iteratorINS9_10device_ptrIiEEEENS9_16discard_iteratorINS9_11use_defaultEEEiNS9_4plusIvEEiEEDaPvRmT3_T4_T5_mT6_P12ihipStream_tbENKUlT_T0_E_clISt17integral_constantIbLb0EESW_IbLb1EEEEDaSS_ST_EUlSS_E_NS1_11comp_targetILNS1_3genE10ELNS1_11target_archE1200ELNS1_3gpuE4ELNS1_3repE0EEENS1_30default_config_static_selectorELNS0_4arch9wavefront6targetE1EEEvT1_,"axG",@progbits,_ZN7rocprim17ROCPRIM_400000_NS6detail17trampoline_kernelINS0_14default_configENS1_20scan_config_selectorIiEEZZNS1_9scan_implILNS1_25lookback_scan_determinismE0ELb0ELb0ES3_N6thrust23THRUST_200600_302600_NS6detail15normal_iteratorINS9_10device_ptrIiEEEENS9_16discard_iteratorINS9_11use_defaultEEEiNS9_4plusIvEEiEEDaPvRmT3_T4_T5_mT6_P12ihipStream_tbENKUlT_T0_E_clISt17integral_constantIbLb0EESW_IbLb1EEEEDaSS_ST_EUlSS_E_NS1_11comp_targetILNS1_3genE10ELNS1_11target_archE1200ELNS1_3gpuE4ELNS1_3repE0EEENS1_30default_config_static_selectorELNS0_4arch9wavefront6targetE1EEEvT1_,comdat
	.protected	_ZN7rocprim17ROCPRIM_400000_NS6detail17trampoline_kernelINS0_14default_configENS1_20scan_config_selectorIiEEZZNS1_9scan_implILNS1_25lookback_scan_determinismE0ELb0ELb0ES3_N6thrust23THRUST_200600_302600_NS6detail15normal_iteratorINS9_10device_ptrIiEEEENS9_16discard_iteratorINS9_11use_defaultEEEiNS9_4plusIvEEiEEDaPvRmT3_T4_T5_mT6_P12ihipStream_tbENKUlT_T0_E_clISt17integral_constantIbLb0EESW_IbLb1EEEEDaSS_ST_EUlSS_E_NS1_11comp_targetILNS1_3genE10ELNS1_11target_archE1200ELNS1_3gpuE4ELNS1_3repE0EEENS1_30default_config_static_selectorELNS0_4arch9wavefront6targetE1EEEvT1_ ; -- Begin function _ZN7rocprim17ROCPRIM_400000_NS6detail17trampoline_kernelINS0_14default_configENS1_20scan_config_selectorIiEEZZNS1_9scan_implILNS1_25lookback_scan_determinismE0ELb0ELb0ES3_N6thrust23THRUST_200600_302600_NS6detail15normal_iteratorINS9_10device_ptrIiEEEENS9_16discard_iteratorINS9_11use_defaultEEEiNS9_4plusIvEEiEEDaPvRmT3_T4_T5_mT6_P12ihipStream_tbENKUlT_T0_E_clISt17integral_constantIbLb0EESW_IbLb1EEEEDaSS_ST_EUlSS_E_NS1_11comp_targetILNS1_3genE10ELNS1_11target_archE1200ELNS1_3gpuE4ELNS1_3repE0EEENS1_30default_config_static_selectorELNS0_4arch9wavefront6targetE1EEEvT1_
	.globl	_ZN7rocprim17ROCPRIM_400000_NS6detail17trampoline_kernelINS0_14default_configENS1_20scan_config_selectorIiEEZZNS1_9scan_implILNS1_25lookback_scan_determinismE0ELb0ELb0ES3_N6thrust23THRUST_200600_302600_NS6detail15normal_iteratorINS9_10device_ptrIiEEEENS9_16discard_iteratorINS9_11use_defaultEEEiNS9_4plusIvEEiEEDaPvRmT3_T4_T5_mT6_P12ihipStream_tbENKUlT_T0_E_clISt17integral_constantIbLb0EESW_IbLb1EEEEDaSS_ST_EUlSS_E_NS1_11comp_targetILNS1_3genE10ELNS1_11target_archE1200ELNS1_3gpuE4ELNS1_3repE0EEENS1_30default_config_static_selectorELNS0_4arch9wavefront6targetE1EEEvT1_
	.p2align	8
	.type	_ZN7rocprim17ROCPRIM_400000_NS6detail17trampoline_kernelINS0_14default_configENS1_20scan_config_selectorIiEEZZNS1_9scan_implILNS1_25lookback_scan_determinismE0ELb0ELb0ES3_N6thrust23THRUST_200600_302600_NS6detail15normal_iteratorINS9_10device_ptrIiEEEENS9_16discard_iteratorINS9_11use_defaultEEEiNS9_4plusIvEEiEEDaPvRmT3_T4_T5_mT6_P12ihipStream_tbENKUlT_T0_E_clISt17integral_constantIbLb0EESW_IbLb1EEEEDaSS_ST_EUlSS_E_NS1_11comp_targetILNS1_3genE10ELNS1_11target_archE1200ELNS1_3gpuE4ELNS1_3repE0EEENS1_30default_config_static_selectorELNS0_4arch9wavefront6targetE1EEEvT1_,@function
_ZN7rocprim17ROCPRIM_400000_NS6detail17trampoline_kernelINS0_14default_configENS1_20scan_config_selectorIiEEZZNS1_9scan_implILNS1_25lookback_scan_determinismE0ELb0ELb0ES3_N6thrust23THRUST_200600_302600_NS6detail15normal_iteratorINS9_10device_ptrIiEEEENS9_16discard_iteratorINS9_11use_defaultEEEiNS9_4plusIvEEiEEDaPvRmT3_T4_T5_mT6_P12ihipStream_tbENKUlT_T0_E_clISt17integral_constantIbLb0EESW_IbLb1EEEEDaSS_ST_EUlSS_E_NS1_11comp_targetILNS1_3genE10ELNS1_11target_archE1200ELNS1_3gpuE4ELNS1_3repE0EEENS1_30default_config_static_selectorELNS0_4arch9wavefront6targetE1EEEvT1_: ; @_ZN7rocprim17ROCPRIM_400000_NS6detail17trampoline_kernelINS0_14default_configENS1_20scan_config_selectorIiEEZZNS1_9scan_implILNS1_25lookback_scan_determinismE0ELb0ELb0ES3_N6thrust23THRUST_200600_302600_NS6detail15normal_iteratorINS9_10device_ptrIiEEEENS9_16discard_iteratorINS9_11use_defaultEEEiNS9_4plusIvEEiEEDaPvRmT3_T4_T5_mT6_P12ihipStream_tbENKUlT_T0_E_clISt17integral_constantIbLb0EESW_IbLb1EEEEDaSS_ST_EUlSS_E_NS1_11comp_targetILNS1_3genE10ELNS1_11target_archE1200ELNS1_3gpuE4ELNS1_3repE0EEENS1_30default_config_static_selectorELNS0_4arch9wavefront6targetE1EEEvT1_
; %bb.0:
	.section	.rodata,"a",@progbits
	.p2align	6, 0x0
	.amdhsa_kernel _ZN7rocprim17ROCPRIM_400000_NS6detail17trampoline_kernelINS0_14default_configENS1_20scan_config_selectorIiEEZZNS1_9scan_implILNS1_25lookback_scan_determinismE0ELb0ELb0ES3_N6thrust23THRUST_200600_302600_NS6detail15normal_iteratorINS9_10device_ptrIiEEEENS9_16discard_iteratorINS9_11use_defaultEEEiNS9_4plusIvEEiEEDaPvRmT3_T4_T5_mT6_P12ihipStream_tbENKUlT_T0_E_clISt17integral_constantIbLb0EESW_IbLb1EEEEDaSS_ST_EUlSS_E_NS1_11comp_targetILNS1_3genE10ELNS1_11target_archE1200ELNS1_3gpuE4ELNS1_3repE0EEENS1_30default_config_static_selectorELNS0_4arch9wavefront6targetE1EEEvT1_
		.amdhsa_group_segment_fixed_size 0
		.amdhsa_private_segment_fixed_size 0
		.amdhsa_kernarg_size 104
		.amdhsa_user_sgpr_count 6
		.amdhsa_user_sgpr_private_segment_buffer 1
		.amdhsa_user_sgpr_dispatch_ptr 0
		.amdhsa_user_sgpr_queue_ptr 0
		.amdhsa_user_sgpr_kernarg_segment_ptr 1
		.amdhsa_user_sgpr_dispatch_id 0
		.amdhsa_user_sgpr_flat_scratch_init 0
		.amdhsa_user_sgpr_kernarg_preload_length 0
		.amdhsa_user_sgpr_kernarg_preload_offset 0
		.amdhsa_user_sgpr_private_segment_size 0
		.amdhsa_uses_dynamic_stack 0
		.amdhsa_system_sgpr_private_segment_wavefront_offset 0
		.amdhsa_system_sgpr_workgroup_id_x 1
		.amdhsa_system_sgpr_workgroup_id_y 0
		.amdhsa_system_sgpr_workgroup_id_z 0
		.amdhsa_system_sgpr_workgroup_info 0
		.amdhsa_system_vgpr_workitem_id 0
		.amdhsa_next_free_vgpr 1
		.amdhsa_next_free_sgpr 0
		.amdhsa_accum_offset 4
		.amdhsa_reserve_vcc 0
		.amdhsa_reserve_flat_scratch 0
		.amdhsa_float_round_mode_32 0
		.amdhsa_float_round_mode_16_64 0
		.amdhsa_float_denorm_mode_32 3
		.amdhsa_float_denorm_mode_16_64 3
		.amdhsa_dx10_clamp 1
		.amdhsa_ieee_mode 1
		.amdhsa_fp16_overflow 0
		.amdhsa_tg_split 0
		.amdhsa_exception_fp_ieee_invalid_op 0
		.amdhsa_exception_fp_denorm_src 0
		.amdhsa_exception_fp_ieee_div_zero 0
		.amdhsa_exception_fp_ieee_overflow 0
		.amdhsa_exception_fp_ieee_underflow 0
		.amdhsa_exception_fp_ieee_inexact 0
		.amdhsa_exception_int_div_zero 0
	.end_amdhsa_kernel
	.section	.text._ZN7rocprim17ROCPRIM_400000_NS6detail17trampoline_kernelINS0_14default_configENS1_20scan_config_selectorIiEEZZNS1_9scan_implILNS1_25lookback_scan_determinismE0ELb0ELb0ES3_N6thrust23THRUST_200600_302600_NS6detail15normal_iteratorINS9_10device_ptrIiEEEENS9_16discard_iteratorINS9_11use_defaultEEEiNS9_4plusIvEEiEEDaPvRmT3_T4_T5_mT6_P12ihipStream_tbENKUlT_T0_E_clISt17integral_constantIbLb0EESW_IbLb1EEEEDaSS_ST_EUlSS_E_NS1_11comp_targetILNS1_3genE10ELNS1_11target_archE1200ELNS1_3gpuE4ELNS1_3repE0EEENS1_30default_config_static_selectorELNS0_4arch9wavefront6targetE1EEEvT1_,"axG",@progbits,_ZN7rocprim17ROCPRIM_400000_NS6detail17trampoline_kernelINS0_14default_configENS1_20scan_config_selectorIiEEZZNS1_9scan_implILNS1_25lookback_scan_determinismE0ELb0ELb0ES3_N6thrust23THRUST_200600_302600_NS6detail15normal_iteratorINS9_10device_ptrIiEEEENS9_16discard_iteratorINS9_11use_defaultEEEiNS9_4plusIvEEiEEDaPvRmT3_T4_T5_mT6_P12ihipStream_tbENKUlT_T0_E_clISt17integral_constantIbLb0EESW_IbLb1EEEEDaSS_ST_EUlSS_E_NS1_11comp_targetILNS1_3genE10ELNS1_11target_archE1200ELNS1_3gpuE4ELNS1_3repE0EEENS1_30default_config_static_selectorELNS0_4arch9wavefront6targetE1EEEvT1_,comdat
.Lfunc_end5786:
	.size	_ZN7rocprim17ROCPRIM_400000_NS6detail17trampoline_kernelINS0_14default_configENS1_20scan_config_selectorIiEEZZNS1_9scan_implILNS1_25lookback_scan_determinismE0ELb0ELb0ES3_N6thrust23THRUST_200600_302600_NS6detail15normal_iteratorINS9_10device_ptrIiEEEENS9_16discard_iteratorINS9_11use_defaultEEEiNS9_4plusIvEEiEEDaPvRmT3_T4_T5_mT6_P12ihipStream_tbENKUlT_T0_E_clISt17integral_constantIbLb0EESW_IbLb1EEEEDaSS_ST_EUlSS_E_NS1_11comp_targetILNS1_3genE10ELNS1_11target_archE1200ELNS1_3gpuE4ELNS1_3repE0EEENS1_30default_config_static_selectorELNS0_4arch9wavefront6targetE1EEEvT1_, .Lfunc_end5786-_ZN7rocprim17ROCPRIM_400000_NS6detail17trampoline_kernelINS0_14default_configENS1_20scan_config_selectorIiEEZZNS1_9scan_implILNS1_25lookback_scan_determinismE0ELb0ELb0ES3_N6thrust23THRUST_200600_302600_NS6detail15normal_iteratorINS9_10device_ptrIiEEEENS9_16discard_iteratorINS9_11use_defaultEEEiNS9_4plusIvEEiEEDaPvRmT3_T4_T5_mT6_P12ihipStream_tbENKUlT_T0_E_clISt17integral_constantIbLb0EESW_IbLb1EEEEDaSS_ST_EUlSS_E_NS1_11comp_targetILNS1_3genE10ELNS1_11target_archE1200ELNS1_3gpuE4ELNS1_3repE0EEENS1_30default_config_static_selectorELNS0_4arch9wavefront6targetE1EEEvT1_
                                        ; -- End function
	.section	.AMDGPU.csdata,"",@progbits
; Kernel info:
; codeLenInByte = 0
; NumSgprs: 4
; NumVgprs: 0
; NumAgprs: 0
; TotalNumVgprs: 0
; ScratchSize: 0
; MemoryBound: 0
; FloatMode: 240
; IeeeMode: 1
; LDSByteSize: 0 bytes/workgroup (compile time only)
; SGPRBlocks: 0
; VGPRBlocks: 0
; NumSGPRsForWavesPerEU: 4
; NumVGPRsForWavesPerEU: 1
; AccumOffset: 4
; Occupancy: 8
; WaveLimiterHint : 0
; COMPUTE_PGM_RSRC2:SCRATCH_EN: 0
; COMPUTE_PGM_RSRC2:USER_SGPR: 6
; COMPUTE_PGM_RSRC2:TRAP_HANDLER: 0
; COMPUTE_PGM_RSRC2:TGID_X_EN: 1
; COMPUTE_PGM_RSRC2:TGID_Y_EN: 0
; COMPUTE_PGM_RSRC2:TGID_Z_EN: 0
; COMPUTE_PGM_RSRC2:TIDIG_COMP_CNT: 0
; COMPUTE_PGM_RSRC3_GFX90A:ACCUM_OFFSET: 0
; COMPUTE_PGM_RSRC3_GFX90A:TG_SPLIT: 0
	.section	.text._ZN7rocprim17ROCPRIM_400000_NS6detail17trampoline_kernelINS0_14default_configENS1_20scan_config_selectorIiEEZZNS1_9scan_implILNS1_25lookback_scan_determinismE0ELb0ELb0ES3_N6thrust23THRUST_200600_302600_NS6detail15normal_iteratorINS9_10device_ptrIiEEEENS9_16discard_iteratorINS9_11use_defaultEEEiNS9_4plusIvEEiEEDaPvRmT3_T4_T5_mT6_P12ihipStream_tbENKUlT_T0_E_clISt17integral_constantIbLb0EESW_IbLb1EEEEDaSS_ST_EUlSS_E_NS1_11comp_targetILNS1_3genE9ELNS1_11target_archE1100ELNS1_3gpuE3ELNS1_3repE0EEENS1_30default_config_static_selectorELNS0_4arch9wavefront6targetE1EEEvT1_,"axG",@progbits,_ZN7rocprim17ROCPRIM_400000_NS6detail17trampoline_kernelINS0_14default_configENS1_20scan_config_selectorIiEEZZNS1_9scan_implILNS1_25lookback_scan_determinismE0ELb0ELb0ES3_N6thrust23THRUST_200600_302600_NS6detail15normal_iteratorINS9_10device_ptrIiEEEENS9_16discard_iteratorINS9_11use_defaultEEEiNS9_4plusIvEEiEEDaPvRmT3_T4_T5_mT6_P12ihipStream_tbENKUlT_T0_E_clISt17integral_constantIbLb0EESW_IbLb1EEEEDaSS_ST_EUlSS_E_NS1_11comp_targetILNS1_3genE9ELNS1_11target_archE1100ELNS1_3gpuE3ELNS1_3repE0EEENS1_30default_config_static_selectorELNS0_4arch9wavefront6targetE1EEEvT1_,comdat
	.protected	_ZN7rocprim17ROCPRIM_400000_NS6detail17trampoline_kernelINS0_14default_configENS1_20scan_config_selectorIiEEZZNS1_9scan_implILNS1_25lookback_scan_determinismE0ELb0ELb0ES3_N6thrust23THRUST_200600_302600_NS6detail15normal_iteratorINS9_10device_ptrIiEEEENS9_16discard_iteratorINS9_11use_defaultEEEiNS9_4plusIvEEiEEDaPvRmT3_T4_T5_mT6_P12ihipStream_tbENKUlT_T0_E_clISt17integral_constantIbLb0EESW_IbLb1EEEEDaSS_ST_EUlSS_E_NS1_11comp_targetILNS1_3genE9ELNS1_11target_archE1100ELNS1_3gpuE3ELNS1_3repE0EEENS1_30default_config_static_selectorELNS0_4arch9wavefront6targetE1EEEvT1_ ; -- Begin function _ZN7rocprim17ROCPRIM_400000_NS6detail17trampoline_kernelINS0_14default_configENS1_20scan_config_selectorIiEEZZNS1_9scan_implILNS1_25lookback_scan_determinismE0ELb0ELb0ES3_N6thrust23THRUST_200600_302600_NS6detail15normal_iteratorINS9_10device_ptrIiEEEENS9_16discard_iteratorINS9_11use_defaultEEEiNS9_4plusIvEEiEEDaPvRmT3_T4_T5_mT6_P12ihipStream_tbENKUlT_T0_E_clISt17integral_constantIbLb0EESW_IbLb1EEEEDaSS_ST_EUlSS_E_NS1_11comp_targetILNS1_3genE9ELNS1_11target_archE1100ELNS1_3gpuE3ELNS1_3repE0EEENS1_30default_config_static_selectorELNS0_4arch9wavefront6targetE1EEEvT1_
	.globl	_ZN7rocprim17ROCPRIM_400000_NS6detail17trampoline_kernelINS0_14default_configENS1_20scan_config_selectorIiEEZZNS1_9scan_implILNS1_25lookback_scan_determinismE0ELb0ELb0ES3_N6thrust23THRUST_200600_302600_NS6detail15normal_iteratorINS9_10device_ptrIiEEEENS9_16discard_iteratorINS9_11use_defaultEEEiNS9_4plusIvEEiEEDaPvRmT3_T4_T5_mT6_P12ihipStream_tbENKUlT_T0_E_clISt17integral_constantIbLb0EESW_IbLb1EEEEDaSS_ST_EUlSS_E_NS1_11comp_targetILNS1_3genE9ELNS1_11target_archE1100ELNS1_3gpuE3ELNS1_3repE0EEENS1_30default_config_static_selectorELNS0_4arch9wavefront6targetE1EEEvT1_
	.p2align	8
	.type	_ZN7rocprim17ROCPRIM_400000_NS6detail17trampoline_kernelINS0_14default_configENS1_20scan_config_selectorIiEEZZNS1_9scan_implILNS1_25lookback_scan_determinismE0ELb0ELb0ES3_N6thrust23THRUST_200600_302600_NS6detail15normal_iteratorINS9_10device_ptrIiEEEENS9_16discard_iteratorINS9_11use_defaultEEEiNS9_4plusIvEEiEEDaPvRmT3_T4_T5_mT6_P12ihipStream_tbENKUlT_T0_E_clISt17integral_constantIbLb0EESW_IbLb1EEEEDaSS_ST_EUlSS_E_NS1_11comp_targetILNS1_3genE9ELNS1_11target_archE1100ELNS1_3gpuE3ELNS1_3repE0EEENS1_30default_config_static_selectorELNS0_4arch9wavefront6targetE1EEEvT1_,@function
_ZN7rocprim17ROCPRIM_400000_NS6detail17trampoline_kernelINS0_14default_configENS1_20scan_config_selectorIiEEZZNS1_9scan_implILNS1_25lookback_scan_determinismE0ELb0ELb0ES3_N6thrust23THRUST_200600_302600_NS6detail15normal_iteratorINS9_10device_ptrIiEEEENS9_16discard_iteratorINS9_11use_defaultEEEiNS9_4plusIvEEiEEDaPvRmT3_T4_T5_mT6_P12ihipStream_tbENKUlT_T0_E_clISt17integral_constantIbLb0EESW_IbLb1EEEEDaSS_ST_EUlSS_E_NS1_11comp_targetILNS1_3genE9ELNS1_11target_archE1100ELNS1_3gpuE3ELNS1_3repE0EEENS1_30default_config_static_selectorELNS0_4arch9wavefront6targetE1EEEvT1_: ; @_ZN7rocprim17ROCPRIM_400000_NS6detail17trampoline_kernelINS0_14default_configENS1_20scan_config_selectorIiEEZZNS1_9scan_implILNS1_25lookback_scan_determinismE0ELb0ELb0ES3_N6thrust23THRUST_200600_302600_NS6detail15normal_iteratorINS9_10device_ptrIiEEEENS9_16discard_iteratorINS9_11use_defaultEEEiNS9_4plusIvEEiEEDaPvRmT3_T4_T5_mT6_P12ihipStream_tbENKUlT_T0_E_clISt17integral_constantIbLb0EESW_IbLb1EEEEDaSS_ST_EUlSS_E_NS1_11comp_targetILNS1_3genE9ELNS1_11target_archE1100ELNS1_3gpuE3ELNS1_3repE0EEENS1_30default_config_static_selectorELNS0_4arch9wavefront6targetE1EEEvT1_
; %bb.0:
	.section	.rodata,"a",@progbits
	.p2align	6, 0x0
	.amdhsa_kernel _ZN7rocprim17ROCPRIM_400000_NS6detail17trampoline_kernelINS0_14default_configENS1_20scan_config_selectorIiEEZZNS1_9scan_implILNS1_25lookback_scan_determinismE0ELb0ELb0ES3_N6thrust23THRUST_200600_302600_NS6detail15normal_iteratorINS9_10device_ptrIiEEEENS9_16discard_iteratorINS9_11use_defaultEEEiNS9_4plusIvEEiEEDaPvRmT3_T4_T5_mT6_P12ihipStream_tbENKUlT_T0_E_clISt17integral_constantIbLb0EESW_IbLb1EEEEDaSS_ST_EUlSS_E_NS1_11comp_targetILNS1_3genE9ELNS1_11target_archE1100ELNS1_3gpuE3ELNS1_3repE0EEENS1_30default_config_static_selectorELNS0_4arch9wavefront6targetE1EEEvT1_
		.amdhsa_group_segment_fixed_size 0
		.amdhsa_private_segment_fixed_size 0
		.amdhsa_kernarg_size 104
		.amdhsa_user_sgpr_count 6
		.amdhsa_user_sgpr_private_segment_buffer 1
		.amdhsa_user_sgpr_dispatch_ptr 0
		.amdhsa_user_sgpr_queue_ptr 0
		.amdhsa_user_sgpr_kernarg_segment_ptr 1
		.amdhsa_user_sgpr_dispatch_id 0
		.amdhsa_user_sgpr_flat_scratch_init 0
		.amdhsa_user_sgpr_kernarg_preload_length 0
		.amdhsa_user_sgpr_kernarg_preload_offset 0
		.amdhsa_user_sgpr_private_segment_size 0
		.amdhsa_uses_dynamic_stack 0
		.amdhsa_system_sgpr_private_segment_wavefront_offset 0
		.amdhsa_system_sgpr_workgroup_id_x 1
		.amdhsa_system_sgpr_workgroup_id_y 0
		.amdhsa_system_sgpr_workgroup_id_z 0
		.amdhsa_system_sgpr_workgroup_info 0
		.amdhsa_system_vgpr_workitem_id 0
		.amdhsa_next_free_vgpr 1
		.amdhsa_next_free_sgpr 0
		.amdhsa_accum_offset 4
		.amdhsa_reserve_vcc 0
		.amdhsa_reserve_flat_scratch 0
		.amdhsa_float_round_mode_32 0
		.amdhsa_float_round_mode_16_64 0
		.amdhsa_float_denorm_mode_32 3
		.amdhsa_float_denorm_mode_16_64 3
		.amdhsa_dx10_clamp 1
		.amdhsa_ieee_mode 1
		.amdhsa_fp16_overflow 0
		.amdhsa_tg_split 0
		.amdhsa_exception_fp_ieee_invalid_op 0
		.amdhsa_exception_fp_denorm_src 0
		.amdhsa_exception_fp_ieee_div_zero 0
		.amdhsa_exception_fp_ieee_overflow 0
		.amdhsa_exception_fp_ieee_underflow 0
		.amdhsa_exception_fp_ieee_inexact 0
		.amdhsa_exception_int_div_zero 0
	.end_amdhsa_kernel
	.section	.text._ZN7rocprim17ROCPRIM_400000_NS6detail17trampoline_kernelINS0_14default_configENS1_20scan_config_selectorIiEEZZNS1_9scan_implILNS1_25lookback_scan_determinismE0ELb0ELb0ES3_N6thrust23THRUST_200600_302600_NS6detail15normal_iteratorINS9_10device_ptrIiEEEENS9_16discard_iteratorINS9_11use_defaultEEEiNS9_4plusIvEEiEEDaPvRmT3_T4_T5_mT6_P12ihipStream_tbENKUlT_T0_E_clISt17integral_constantIbLb0EESW_IbLb1EEEEDaSS_ST_EUlSS_E_NS1_11comp_targetILNS1_3genE9ELNS1_11target_archE1100ELNS1_3gpuE3ELNS1_3repE0EEENS1_30default_config_static_selectorELNS0_4arch9wavefront6targetE1EEEvT1_,"axG",@progbits,_ZN7rocprim17ROCPRIM_400000_NS6detail17trampoline_kernelINS0_14default_configENS1_20scan_config_selectorIiEEZZNS1_9scan_implILNS1_25lookback_scan_determinismE0ELb0ELb0ES3_N6thrust23THRUST_200600_302600_NS6detail15normal_iteratorINS9_10device_ptrIiEEEENS9_16discard_iteratorINS9_11use_defaultEEEiNS9_4plusIvEEiEEDaPvRmT3_T4_T5_mT6_P12ihipStream_tbENKUlT_T0_E_clISt17integral_constantIbLb0EESW_IbLb1EEEEDaSS_ST_EUlSS_E_NS1_11comp_targetILNS1_3genE9ELNS1_11target_archE1100ELNS1_3gpuE3ELNS1_3repE0EEENS1_30default_config_static_selectorELNS0_4arch9wavefront6targetE1EEEvT1_,comdat
.Lfunc_end5787:
	.size	_ZN7rocprim17ROCPRIM_400000_NS6detail17trampoline_kernelINS0_14default_configENS1_20scan_config_selectorIiEEZZNS1_9scan_implILNS1_25lookback_scan_determinismE0ELb0ELb0ES3_N6thrust23THRUST_200600_302600_NS6detail15normal_iteratorINS9_10device_ptrIiEEEENS9_16discard_iteratorINS9_11use_defaultEEEiNS9_4plusIvEEiEEDaPvRmT3_T4_T5_mT6_P12ihipStream_tbENKUlT_T0_E_clISt17integral_constantIbLb0EESW_IbLb1EEEEDaSS_ST_EUlSS_E_NS1_11comp_targetILNS1_3genE9ELNS1_11target_archE1100ELNS1_3gpuE3ELNS1_3repE0EEENS1_30default_config_static_selectorELNS0_4arch9wavefront6targetE1EEEvT1_, .Lfunc_end5787-_ZN7rocprim17ROCPRIM_400000_NS6detail17trampoline_kernelINS0_14default_configENS1_20scan_config_selectorIiEEZZNS1_9scan_implILNS1_25lookback_scan_determinismE0ELb0ELb0ES3_N6thrust23THRUST_200600_302600_NS6detail15normal_iteratorINS9_10device_ptrIiEEEENS9_16discard_iteratorINS9_11use_defaultEEEiNS9_4plusIvEEiEEDaPvRmT3_T4_T5_mT6_P12ihipStream_tbENKUlT_T0_E_clISt17integral_constantIbLb0EESW_IbLb1EEEEDaSS_ST_EUlSS_E_NS1_11comp_targetILNS1_3genE9ELNS1_11target_archE1100ELNS1_3gpuE3ELNS1_3repE0EEENS1_30default_config_static_selectorELNS0_4arch9wavefront6targetE1EEEvT1_
                                        ; -- End function
	.section	.AMDGPU.csdata,"",@progbits
; Kernel info:
; codeLenInByte = 0
; NumSgprs: 4
; NumVgprs: 0
; NumAgprs: 0
; TotalNumVgprs: 0
; ScratchSize: 0
; MemoryBound: 0
; FloatMode: 240
; IeeeMode: 1
; LDSByteSize: 0 bytes/workgroup (compile time only)
; SGPRBlocks: 0
; VGPRBlocks: 0
; NumSGPRsForWavesPerEU: 4
; NumVGPRsForWavesPerEU: 1
; AccumOffset: 4
; Occupancy: 8
; WaveLimiterHint : 0
; COMPUTE_PGM_RSRC2:SCRATCH_EN: 0
; COMPUTE_PGM_RSRC2:USER_SGPR: 6
; COMPUTE_PGM_RSRC2:TRAP_HANDLER: 0
; COMPUTE_PGM_RSRC2:TGID_X_EN: 1
; COMPUTE_PGM_RSRC2:TGID_Y_EN: 0
; COMPUTE_PGM_RSRC2:TGID_Z_EN: 0
; COMPUTE_PGM_RSRC2:TIDIG_COMP_CNT: 0
; COMPUTE_PGM_RSRC3_GFX90A:ACCUM_OFFSET: 0
; COMPUTE_PGM_RSRC3_GFX90A:TG_SPLIT: 0
	.section	.text._ZN7rocprim17ROCPRIM_400000_NS6detail17trampoline_kernelINS0_14default_configENS1_20scan_config_selectorIiEEZZNS1_9scan_implILNS1_25lookback_scan_determinismE0ELb0ELb0ES3_N6thrust23THRUST_200600_302600_NS6detail15normal_iteratorINS9_10device_ptrIiEEEENS9_16discard_iteratorINS9_11use_defaultEEEiNS9_4plusIvEEiEEDaPvRmT3_T4_T5_mT6_P12ihipStream_tbENKUlT_T0_E_clISt17integral_constantIbLb0EESW_IbLb1EEEEDaSS_ST_EUlSS_E_NS1_11comp_targetILNS1_3genE8ELNS1_11target_archE1030ELNS1_3gpuE2ELNS1_3repE0EEENS1_30default_config_static_selectorELNS0_4arch9wavefront6targetE1EEEvT1_,"axG",@progbits,_ZN7rocprim17ROCPRIM_400000_NS6detail17trampoline_kernelINS0_14default_configENS1_20scan_config_selectorIiEEZZNS1_9scan_implILNS1_25lookback_scan_determinismE0ELb0ELb0ES3_N6thrust23THRUST_200600_302600_NS6detail15normal_iteratorINS9_10device_ptrIiEEEENS9_16discard_iteratorINS9_11use_defaultEEEiNS9_4plusIvEEiEEDaPvRmT3_T4_T5_mT6_P12ihipStream_tbENKUlT_T0_E_clISt17integral_constantIbLb0EESW_IbLb1EEEEDaSS_ST_EUlSS_E_NS1_11comp_targetILNS1_3genE8ELNS1_11target_archE1030ELNS1_3gpuE2ELNS1_3repE0EEENS1_30default_config_static_selectorELNS0_4arch9wavefront6targetE1EEEvT1_,comdat
	.protected	_ZN7rocprim17ROCPRIM_400000_NS6detail17trampoline_kernelINS0_14default_configENS1_20scan_config_selectorIiEEZZNS1_9scan_implILNS1_25lookback_scan_determinismE0ELb0ELb0ES3_N6thrust23THRUST_200600_302600_NS6detail15normal_iteratorINS9_10device_ptrIiEEEENS9_16discard_iteratorINS9_11use_defaultEEEiNS9_4plusIvEEiEEDaPvRmT3_T4_T5_mT6_P12ihipStream_tbENKUlT_T0_E_clISt17integral_constantIbLb0EESW_IbLb1EEEEDaSS_ST_EUlSS_E_NS1_11comp_targetILNS1_3genE8ELNS1_11target_archE1030ELNS1_3gpuE2ELNS1_3repE0EEENS1_30default_config_static_selectorELNS0_4arch9wavefront6targetE1EEEvT1_ ; -- Begin function _ZN7rocprim17ROCPRIM_400000_NS6detail17trampoline_kernelINS0_14default_configENS1_20scan_config_selectorIiEEZZNS1_9scan_implILNS1_25lookback_scan_determinismE0ELb0ELb0ES3_N6thrust23THRUST_200600_302600_NS6detail15normal_iteratorINS9_10device_ptrIiEEEENS9_16discard_iteratorINS9_11use_defaultEEEiNS9_4plusIvEEiEEDaPvRmT3_T4_T5_mT6_P12ihipStream_tbENKUlT_T0_E_clISt17integral_constantIbLb0EESW_IbLb1EEEEDaSS_ST_EUlSS_E_NS1_11comp_targetILNS1_3genE8ELNS1_11target_archE1030ELNS1_3gpuE2ELNS1_3repE0EEENS1_30default_config_static_selectorELNS0_4arch9wavefront6targetE1EEEvT1_
	.globl	_ZN7rocprim17ROCPRIM_400000_NS6detail17trampoline_kernelINS0_14default_configENS1_20scan_config_selectorIiEEZZNS1_9scan_implILNS1_25lookback_scan_determinismE0ELb0ELb0ES3_N6thrust23THRUST_200600_302600_NS6detail15normal_iteratorINS9_10device_ptrIiEEEENS9_16discard_iteratorINS9_11use_defaultEEEiNS9_4plusIvEEiEEDaPvRmT3_T4_T5_mT6_P12ihipStream_tbENKUlT_T0_E_clISt17integral_constantIbLb0EESW_IbLb1EEEEDaSS_ST_EUlSS_E_NS1_11comp_targetILNS1_3genE8ELNS1_11target_archE1030ELNS1_3gpuE2ELNS1_3repE0EEENS1_30default_config_static_selectorELNS0_4arch9wavefront6targetE1EEEvT1_
	.p2align	8
	.type	_ZN7rocprim17ROCPRIM_400000_NS6detail17trampoline_kernelINS0_14default_configENS1_20scan_config_selectorIiEEZZNS1_9scan_implILNS1_25lookback_scan_determinismE0ELb0ELb0ES3_N6thrust23THRUST_200600_302600_NS6detail15normal_iteratorINS9_10device_ptrIiEEEENS9_16discard_iteratorINS9_11use_defaultEEEiNS9_4plusIvEEiEEDaPvRmT3_T4_T5_mT6_P12ihipStream_tbENKUlT_T0_E_clISt17integral_constantIbLb0EESW_IbLb1EEEEDaSS_ST_EUlSS_E_NS1_11comp_targetILNS1_3genE8ELNS1_11target_archE1030ELNS1_3gpuE2ELNS1_3repE0EEENS1_30default_config_static_selectorELNS0_4arch9wavefront6targetE1EEEvT1_,@function
_ZN7rocprim17ROCPRIM_400000_NS6detail17trampoline_kernelINS0_14default_configENS1_20scan_config_selectorIiEEZZNS1_9scan_implILNS1_25lookback_scan_determinismE0ELb0ELb0ES3_N6thrust23THRUST_200600_302600_NS6detail15normal_iteratorINS9_10device_ptrIiEEEENS9_16discard_iteratorINS9_11use_defaultEEEiNS9_4plusIvEEiEEDaPvRmT3_T4_T5_mT6_P12ihipStream_tbENKUlT_T0_E_clISt17integral_constantIbLb0EESW_IbLb1EEEEDaSS_ST_EUlSS_E_NS1_11comp_targetILNS1_3genE8ELNS1_11target_archE1030ELNS1_3gpuE2ELNS1_3repE0EEENS1_30default_config_static_selectorELNS0_4arch9wavefront6targetE1EEEvT1_: ; @_ZN7rocprim17ROCPRIM_400000_NS6detail17trampoline_kernelINS0_14default_configENS1_20scan_config_selectorIiEEZZNS1_9scan_implILNS1_25lookback_scan_determinismE0ELb0ELb0ES3_N6thrust23THRUST_200600_302600_NS6detail15normal_iteratorINS9_10device_ptrIiEEEENS9_16discard_iteratorINS9_11use_defaultEEEiNS9_4plusIvEEiEEDaPvRmT3_T4_T5_mT6_P12ihipStream_tbENKUlT_T0_E_clISt17integral_constantIbLb0EESW_IbLb1EEEEDaSS_ST_EUlSS_E_NS1_11comp_targetILNS1_3genE8ELNS1_11target_archE1030ELNS1_3gpuE2ELNS1_3repE0EEENS1_30default_config_static_selectorELNS0_4arch9wavefront6targetE1EEEvT1_
; %bb.0:
	.section	.rodata,"a",@progbits
	.p2align	6, 0x0
	.amdhsa_kernel _ZN7rocprim17ROCPRIM_400000_NS6detail17trampoline_kernelINS0_14default_configENS1_20scan_config_selectorIiEEZZNS1_9scan_implILNS1_25lookback_scan_determinismE0ELb0ELb0ES3_N6thrust23THRUST_200600_302600_NS6detail15normal_iteratorINS9_10device_ptrIiEEEENS9_16discard_iteratorINS9_11use_defaultEEEiNS9_4plusIvEEiEEDaPvRmT3_T4_T5_mT6_P12ihipStream_tbENKUlT_T0_E_clISt17integral_constantIbLb0EESW_IbLb1EEEEDaSS_ST_EUlSS_E_NS1_11comp_targetILNS1_3genE8ELNS1_11target_archE1030ELNS1_3gpuE2ELNS1_3repE0EEENS1_30default_config_static_selectorELNS0_4arch9wavefront6targetE1EEEvT1_
		.amdhsa_group_segment_fixed_size 0
		.amdhsa_private_segment_fixed_size 0
		.amdhsa_kernarg_size 104
		.amdhsa_user_sgpr_count 6
		.amdhsa_user_sgpr_private_segment_buffer 1
		.amdhsa_user_sgpr_dispatch_ptr 0
		.amdhsa_user_sgpr_queue_ptr 0
		.amdhsa_user_sgpr_kernarg_segment_ptr 1
		.amdhsa_user_sgpr_dispatch_id 0
		.amdhsa_user_sgpr_flat_scratch_init 0
		.amdhsa_user_sgpr_kernarg_preload_length 0
		.amdhsa_user_sgpr_kernarg_preload_offset 0
		.amdhsa_user_sgpr_private_segment_size 0
		.amdhsa_uses_dynamic_stack 0
		.amdhsa_system_sgpr_private_segment_wavefront_offset 0
		.amdhsa_system_sgpr_workgroup_id_x 1
		.amdhsa_system_sgpr_workgroup_id_y 0
		.amdhsa_system_sgpr_workgroup_id_z 0
		.amdhsa_system_sgpr_workgroup_info 0
		.amdhsa_system_vgpr_workitem_id 0
		.amdhsa_next_free_vgpr 1
		.amdhsa_next_free_sgpr 0
		.amdhsa_accum_offset 4
		.amdhsa_reserve_vcc 0
		.amdhsa_reserve_flat_scratch 0
		.amdhsa_float_round_mode_32 0
		.amdhsa_float_round_mode_16_64 0
		.amdhsa_float_denorm_mode_32 3
		.amdhsa_float_denorm_mode_16_64 3
		.amdhsa_dx10_clamp 1
		.amdhsa_ieee_mode 1
		.amdhsa_fp16_overflow 0
		.amdhsa_tg_split 0
		.amdhsa_exception_fp_ieee_invalid_op 0
		.amdhsa_exception_fp_denorm_src 0
		.amdhsa_exception_fp_ieee_div_zero 0
		.amdhsa_exception_fp_ieee_overflow 0
		.amdhsa_exception_fp_ieee_underflow 0
		.amdhsa_exception_fp_ieee_inexact 0
		.amdhsa_exception_int_div_zero 0
	.end_amdhsa_kernel
	.section	.text._ZN7rocprim17ROCPRIM_400000_NS6detail17trampoline_kernelINS0_14default_configENS1_20scan_config_selectorIiEEZZNS1_9scan_implILNS1_25lookback_scan_determinismE0ELb0ELb0ES3_N6thrust23THRUST_200600_302600_NS6detail15normal_iteratorINS9_10device_ptrIiEEEENS9_16discard_iteratorINS9_11use_defaultEEEiNS9_4plusIvEEiEEDaPvRmT3_T4_T5_mT6_P12ihipStream_tbENKUlT_T0_E_clISt17integral_constantIbLb0EESW_IbLb1EEEEDaSS_ST_EUlSS_E_NS1_11comp_targetILNS1_3genE8ELNS1_11target_archE1030ELNS1_3gpuE2ELNS1_3repE0EEENS1_30default_config_static_selectorELNS0_4arch9wavefront6targetE1EEEvT1_,"axG",@progbits,_ZN7rocprim17ROCPRIM_400000_NS6detail17trampoline_kernelINS0_14default_configENS1_20scan_config_selectorIiEEZZNS1_9scan_implILNS1_25lookback_scan_determinismE0ELb0ELb0ES3_N6thrust23THRUST_200600_302600_NS6detail15normal_iteratorINS9_10device_ptrIiEEEENS9_16discard_iteratorINS9_11use_defaultEEEiNS9_4plusIvEEiEEDaPvRmT3_T4_T5_mT6_P12ihipStream_tbENKUlT_T0_E_clISt17integral_constantIbLb0EESW_IbLb1EEEEDaSS_ST_EUlSS_E_NS1_11comp_targetILNS1_3genE8ELNS1_11target_archE1030ELNS1_3gpuE2ELNS1_3repE0EEENS1_30default_config_static_selectorELNS0_4arch9wavefront6targetE1EEEvT1_,comdat
.Lfunc_end5788:
	.size	_ZN7rocprim17ROCPRIM_400000_NS6detail17trampoline_kernelINS0_14default_configENS1_20scan_config_selectorIiEEZZNS1_9scan_implILNS1_25lookback_scan_determinismE0ELb0ELb0ES3_N6thrust23THRUST_200600_302600_NS6detail15normal_iteratorINS9_10device_ptrIiEEEENS9_16discard_iteratorINS9_11use_defaultEEEiNS9_4plusIvEEiEEDaPvRmT3_T4_T5_mT6_P12ihipStream_tbENKUlT_T0_E_clISt17integral_constantIbLb0EESW_IbLb1EEEEDaSS_ST_EUlSS_E_NS1_11comp_targetILNS1_3genE8ELNS1_11target_archE1030ELNS1_3gpuE2ELNS1_3repE0EEENS1_30default_config_static_selectorELNS0_4arch9wavefront6targetE1EEEvT1_, .Lfunc_end5788-_ZN7rocprim17ROCPRIM_400000_NS6detail17trampoline_kernelINS0_14default_configENS1_20scan_config_selectorIiEEZZNS1_9scan_implILNS1_25lookback_scan_determinismE0ELb0ELb0ES3_N6thrust23THRUST_200600_302600_NS6detail15normal_iteratorINS9_10device_ptrIiEEEENS9_16discard_iteratorINS9_11use_defaultEEEiNS9_4plusIvEEiEEDaPvRmT3_T4_T5_mT6_P12ihipStream_tbENKUlT_T0_E_clISt17integral_constantIbLb0EESW_IbLb1EEEEDaSS_ST_EUlSS_E_NS1_11comp_targetILNS1_3genE8ELNS1_11target_archE1030ELNS1_3gpuE2ELNS1_3repE0EEENS1_30default_config_static_selectorELNS0_4arch9wavefront6targetE1EEEvT1_
                                        ; -- End function
	.section	.AMDGPU.csdata,"",@progbits
; Kernel info:
; codeLenInByte = 0
; NumSgprs: 4
; NumVgprs: 0
; NumAgprs: 0
; TotalNumVgprs: 0
; ScratchSize: 0
; MemoryBound: 0
; FloatMode: 240
; IeeeMode: 1
; LDSByteSize: 0 bytes/workgroup (compile time only)
; SGPRBlocks: 0
; VGPRBlocks: 0
; NumSGPRsForWavesPerEU: 4
; NumVGPRsForWavesPerEU: 1
; AccumOffset: 4
; Occupancy: 8
; WaveLimiterHint : 0
; COMPUTE_PGM_RSRC2:SCRATCH_EN: 0
; COMPUTE_PGM_RSRC2:USER_SGPR: 6
; COMPUTE_PGM_RSRC2:TRAP_HANDLER: 0
; COMPUTE_PGM_RSRC2:TGID_X_EN: 1
; COMPUTE_PGM_RSRC2:TGID_Y_EN: 0
; COMPUTE_PGM_RSRC2:TGID_Z_EN: 0
; COMPUTE_PGM_RSRC2:TIDIG_COMP_CNT: 0
; COMPUTE_PGM_RSRC3_GFX90A:ACCUM_OFFSET: 0
; COMPUTE_PGM_RSRC3_GFX90A:TG_SPLIT: 0
	.section	.text._ZN7rocprim17ROCPRIM_400000_NS6detail17trampoline_kernelINS0_14default_configENS1_20scan_config_selectorIiEEZZNS1_9scan_implILNS1_25lookback_scan_determinismE0ELb0ELb0ES3_N6thrust23THRUST_200600_302600_NS6detail15normal_iteratorINS9_10device_ptrIiEEEENS9_16discard_iteratorINS9_11use_defaultEEEiNS9_4plusIvEEiEEDaPvRmT3_T4_T5_mT6_P12ihipStream_tbENKUlT_T0_E_clISt17integral_constantIbLb0EESW_IbLb1EEEEDaSS_ST_EUlSS_E0_NS1_11comp_targetILNS1_3genE0ELNS1_11target_archE4294967295ELNS1_3gpuE0ELNS1_3repE0EEENS1_30default_config_static_selectorELNS0_4arch9wavefront6targetE1EEEvT1_,"axG",@progbits,_ZN7rocprim17ROCPRIM_400000_NS6detail17trampoline_kernelINS0_14default_configENS1_20scan_config_selectorIiEEZZNS1_9scan_implILNS1_25lookback_scan_determinismE0ELb0ELb0ES3_N6thrust23THRUST_200600_302600_NS6detail15normal_iteratorINS9_10device_ptrIiEEEENS9_16discard_iteratorINS9_11use_defaultEEEiNS9_4plusIvEEiEEDaPvRmT3_T4_T5_mT6_P12ihipStream_tbENKUlT_T0_E_clISt17integral_constantIbLb0EESW_IbLb1EEEEDaSS_ST_EUlSS_E0_NS1_11comp_targetILNS1_3genE0ELNS1_11target_archE4294967295ELNS1_3gpuE0ELNS1_3repE0EEENS1_30default_config_static_selectorELNS0_4arch9wavefront6targetE1EEEvT1_,comdat
	.protected	_ZN7rocprim17ROCPRIM_400000_NS6detail17trampoline_kernelINS0_14default_configENS1_20scan_config_selectorIiEEZZNS1_9scan_implILNS1_25lookback_scan_determinismE0ELb0ELb0ES3_N6thrust23THRUST_200600_302600_NS6detail15normal_iteratorINS9_10device_ptrIiEEEENS9_16discard_iteratorINS9_11use_defaultEEEiNS9_4plusIvEEiEEDaPvRmT3_T4_T5_mT6_P12ihipStream_tbENKUlT_T0_E_clISt17integral_constantIbLb0EESW_IbLb1EEEEDaSS_ST_EUlSS_E0_NS1_11comp_targetILNS1_3genE0ELNS1_11target_archE4294967295ELNS1_3gpuE0ELNS1_3repE0EEENS1_30default_config_static_selectorELNS0_4arch9wavefront6targetE1EEEvT1_ ; -- Begin function _ZN7rocprim17ROCPRIM_400000_NS6detail17trampoline_kernelINS0_14default_configENS1_20scan_config_selectorIiEEZZNS1_9scan_implILNS1_25lookback_scan_determinismE0ELb0ELb0ES3_N6thrust23THRUST_200600_302600_NS6detail15normal_iteratorINS9_10device_ptrIiEEEENS9_16discard_iteratorINS9_11use_defaultEEEiNS9_4plusIvEEiEEDaPvRmT3_T4_T5_mT6_P12ihipStream_tbENKUlT_T0_E_clISt17integral_constantIbLb0EESW_IbLb1EEEEDaSS_ST_EUlSS_E0_NS1_11comp_targetILNS1_3genE0ELNS1_11target_archE4294967295ELNS1_3gpuE0ELNS1_3repE0EEENS1_30default_config_static_selectorELNS0_4arch9wavefront6targetE1EEEvT1_
	.globl	_ZN7rocprim17ROCPRIM_400000_NS6detail17trampoline_kernelINS0_14default_configENS1_20scan_config_selectorIiEEZZNS1_9scan_implILNS1_25lookback_scan_determinismE0ELb0ELb0ES3_N6thrust23THRUST_200600_302600_NS6detail15normal_iteratorINS9_10device_ptrIiEEEENS9_16discard_iteratorINS9_11use_defaultEEEiNS9_4plusIvEEiEEDaPvRmT3_T4_T5_mT6_P12ihipStream_tbENKUlT_T0_E_clISt17integral_constantIbLb0EESW_IbLb1EEEEDaSS_ST_EUlSS_E0_NS1_11comp_targetILNS1_3genE0ELNS1_11target_archE4294967295ELNS1_3gpuE0ELNS1_3repE0EEENS1_30default_config_static_selectorELNS0_4arch9wavefront6targetE1EEEvT1_
	.p2align	8
	.type	_ZN7rocprim17ROCPRIM_400000_NS6detail17trampoline_kernelINS0_14default_configENS1_20scan_config_selectorIiEEZZNS1_9scan_implILNS1_25lookback_scan_determinismE0ELb0ELb0ES3_N6thrust23THRUST_200600_302600_NS6detail15normal_iteratorINS9_10device_ptrIiEEEENS9_16discard_iteratorINS9_11use_defaultEEEiNS9_4plusIvEEiEEDaPvRmT3_T4_T5_mT6_P12ihipStream_tbENKUlT_T0_E_clISt17integral_constantIbLb0EESW_IbLb1EEEEDaSS_ST_EUlSS_E0_NS1_11comp_targetILNS1_3genE0ELNS1_11target_archE4294967295ELNS1_3gpuE0ELNS1_3repE0EEENS1_30default_config_static_selectorELNS0_4arch9wavefront6targetE1EEEvT1_,@function
_ZN7rocprim17ROCPRIM_400000_NS6detail17trampoline_kernelINS0_14default_configENS1_20scan_config_selectorIiEEZZNS1_9scan_implILNS1_25lookback_scan_determinismE0ELb0ELb0ES3_N6thrust23THRUST_200600_302600_NS6detail15normal_iteratorINS9_10device_ptrIiEEEENS9_16discard_iteratorINS9_11use_defaultEEEiNS9_4plusIvEEiEEDaPvRmT3_T4_T5_mT6_P12ihipStream_tbENKUlT_T0_E_clISt17integral_constantIbLb0EESW_IbLb1EEEEDaSS_ST_EUlSS_E0_NS1_11comp_targetILNS1_3genE0ELNS1_11target_archE4294967295ELNS1_3gpuE0ELNS1_3repE0EEENS1_30default_config_static_selectorELNS0_4arch9wavefront6targetE1EEEvT1_: ; @_ZN7rocprim17ROCPRIM_400000_NS6detail17trampoline_kernelINS0_14default_configENS1_20scan_config_selectorIiEEZZNS1_9scan_implILNS1_25lookback_scan_determinismE0ELb0ELb0ES3_N6thrust23THRUST_200600_302600_NS6detail15normal_iteratorINS9_10device_ptrIiEEEENS9_16discard_iteratorINS9_11use_defaultEEEiNS9_4plusIvEEiEEDaPvRmT3_T4_T5_mT6_P12ihipStream_tbENKUlT_T0_E_clISt17integral_constantIbLb0EESW_IbLb1EEEEDaSS_ST_EUlSS_E0_NS1_11comp_targetILNS1_3genE0ELNS1_11target_archE4294967295ELNS1_3gpuE0ELNS1_3repE0EEENS1_30default_config_static_selectorELNS0_4arch9wavefront6targetE1EEEvT1_
; %bb.0:
	.section	.rodata,"a",@progbits
	.p2align	6, 0x0
	.amdhsa_kernel _ZN7rocprim17ROCPRIM_400000_NS6detail17trampoline_kernelINS0_14default_configENS1_20scan_config_selectorIiEEZZNS1_9scan_implILNS1_25lookback_scan_determinismE0ELb0ELb0ES3_N6thrust23THRUST_200600_302600_NS6detail15normal_iteratorINS9_10device_ptrIiEEEENS9_16discard_iteratorINS9_11use_defaultEEEiNS9_4plusIvEEiEEDaPvRmT3_T4_T5_mT6_P12ihipStream_tbENKUlT_T0_E_clISt17integral_constantIbLb0EESW_IbLb1EEEEDaSS_ST_EUlSS_E0_NS1_11comp_targetILNS1_3genE0ELNS1_11target_archE4294967295ELNS1_3gpuE0ELNS1_3repE0EEENS1_30default_config_static_selectorELNS0_4arch9wavefront6targetE1EEEvT1_
		.amdhsa_group_segment_fixed_size 0
		.amdhsa_private_segment_fixed_size 0
		.amdhsa_kernarg_size 40
		.amdhsa_user_sgpr_count 6
		.amdhsa_user_sgpr_private_segment_buffer 1
		.amdhsa_user_sgpr_dispatch_ptr 0
		.amdhsa_user_sgpr_queue_ptr 0
		.amdhsa_user_sgpr_kernarg_segment_ptr 1
		.amdhsa_user_sgpr_dispatch_id 0
		.amdhsa_user_sgpr_flat_scratch_init 0
		.amdhsa_user_sgpr_kernarg_preload_length 0
		.amdhsa_user_sgpr_kernarg_preload_offset 0
		.amdhsa_user_sgpr_private_segment_size 0
		.amdhsa_uses_dynamic_stack 0
		.amdhsa_system_sgpr_private_segment_wavefront_offset 0
		.amdhsa_system_sgpr_workgroup_id_x 1
		.amdhsa_system_sgpr_workgroup_id_y 0
		.amdhsa_system_sgpr_workgroup_id_z 0
		.amdhsa_system_sgpr_workgroup_info 0
		.amdhsa_system_vgpr_workitem_id 0
		.amdhsa_next_free_vgpr 1
		.amdhsa_next_free_sgpr 0
		.amdhsa_accum_offset 4
		.amdhsa_reserve_vcc 0
		.amdhsa_reserve_flat_scratch 0
		.amdhsa_float_round_mode_32 0
		.amdhsa_float_round_mode_16_64 0
		.amdhsa_float_denorm_mode_32 3
		.amdhsa_float_denorm_mode_16_64 3
		.amdhsa_dx10_clamp 1
		.amdhsa_ieee_mode 1
		.amdhsa_fp16_overflow 0
		.amdhsa_tg_split 0
		.amdhsa_exception_fp_ieee_invalid_op 0
		.amdhsa_exception_fp_denorm_src 0
		.amdhsa_exception_fp_ieee_div_zero 0
		.amdhsa_exception_fp_ieee_overflow 0
		.amdhsa_exception_fp_ieee_underflow 0
		.amdhsa_exception_fp_ieee_inexact 0
		.amdhsa_exception_int_div_zero 0
	.end_amdhsa_kernel
	.section	.text._ZN7rocprim17ROCPRIM_400000_NS6detail17trampoline_kernelINS0_14default_configENS1_20scan_config_selectorIiEEZZNS1_9scan_implILNS1_25lookback_scan_determinismE0ELb0ELb0ES3_N6thrust23THRUST_200600_302600_NS6detail15normal_iteratorINS9_10device_ptrIiEEEENS9_16discard_iteratorINS9_11use_defaultEEEiNS9_4plusIvEEiEEDaPvRmT3_T4_T5_mT6_P12ihipStream_tbENKUlT_T0_E_clISt17integral_constantIbLb0EESW_IbLb1EEEEDaSS_ST_EUlSS_E0_NS1_11comp_targetILNS1_3genE0ELNS1_11target_archE4294967295ELNS1_3gpuE0ELNS1_3repE0EEENS1_30default_config_static_selectorELNS0_4arch9wavefront6targetE1EEEvT1_,"axG",@progbits,_ZN7rocprim17ROCPRIM_400000_NS6detail17trampoline_kernelINS0_14default_configENS1_20scan_config_selectorIiEEZZNS1_9scan_implILNS1_25lookback_scan_determinismE0ELb0ELb0ES3_N6thrust23THRUST_200600_302600_NS6detail15normal_iteratorINS9_10device_ptrIiEEEENS9_16discard_iteratorINS9_11use_defaultEEEiNS9_4plusIvEEiEEDaPvRmT3_T4_T5_mT6_P12ihipStream_tbENKUlT_T0_E_clISt17integral_constantIbLb0EESW_IbLb1EEEEDaSS_ST_EUlSS_E0_NS1_11comp_targetILNS1_3genE0ELNS1_11target_archE4294967295ELNS1_3gpuE0ELNS1_3repE0EEENS1_30default_config_static_selectorELNS0_4arch9wavefront6targetE1EEEvT1_,comdat
.Lfunc_end5789:
	.size	_ZN7rocprim17ROCPRIM_400000_NS6detail17trampoline_kernelINS0_14default_configENS1_20scan_config_selectorIiEEZZNS1_9scan_implILNS1_25lookback_scan_determinismE0ELb0ELb0ES3_N6thrust23THRUST_200600_302600_NS6detail15normal_iteratorINS9_10device_ptrIiEEEENS9_16discard_iteratorINS9_11use_defaultEEEiNS9_4plusIvEEiEEDaPvRmT3_T4_T5_mT6_P12ihipStream_tbENKUlT_T0_E_clISt17integral_constantIbLb0EESW_IbLb1EEEEDaSS_ST_EUlSS_E0_NS1_11comp_targetILNS1_3genE0ELNS1_11target_archE4294967295ELNS1_3gpuE0ELNS1_3repE0EEENS1_30default_config_static_selectorELNS0_4arch9wavefront6targetE1EEEvT1_, .Lfunc_end5789-_ZN7rocprim17ROCPRIM_400000_NS6detail17trampoline_kernelINS0_14default_configENS1_20scan_config_selectorIiEEZZNS1_9scan_implILNS1_25lookback_scan_determinismE0ELb0ELb0ES3_N6thrust23THRUST_200600_302600_NS6detail15normal_iteratorINS9_10device_ptrIiEEEENS9_16discard_iteratorINS9_11use_defaultEEEiNS9_4plusIvEEiEEDaPvRmT3_T4_T5_mT6_P12ihipStream_tbENKUlT_T0_E_clISt17integral_constantIbLb0EESW_IbLb1EEEEDaSS_ST_EUlSS_E0_NS1_11comp_targetILNS1_3genE0ELNS1_11target_archE4294967295ELNS1_3gpuE0ELNS1_3repE0EEENS1_30default_config_static_selectorELNS0_4arch9wavefront6targetE1EEEvT1_
                                        ; -- End function
	.section	.AMDGPU.csdata,"",@progbits
; Kernel info:
; codeLenInByte = 0
; NumSgprs: 4
; NumVgprs: 0
; NumAgprs: 0
; TotalNumVgprs: 0
; ScratchSize: 0
; MemoryBound: 0
; FloatMode: 240
; IeeeMode: 1
; LDSByteSize: 0 bytes/workgroup (compile time only)
; SGPRBlocks: 0
; VGPRBlocks: 0
; NumSGPRsForWavesPerEU: 4
; NumVGPRsForWavesPerEU: 1
; AccumOffset: 4
; Occupancy: 8
; WaveLimiterHint : 0
; COMPUTE_PGM_RSRC2:SCRATCH_EN: 0
; COMPUTE_PGM_RSRC2:USER_SGPR: 6
; COMPUTE_PGM_RSRC2:TRAP_HANDLER: 0
; COMPUTE_PGM_RSRC2:TGID_X_EN: 1
; COMPUTE_PGM_RSRC2:TGID_Y_EN: 0
; COMPUTE_PGM_RSRC2:TGID_Z_EN: 0
; COMPUTE_PGM_RSRC2:TIDIG_COMP_CNT: 0
; COMPUTE_PGM_RSRC3_GFX90A:ACCUM_OFFSET: 0
; COMPUTE_PGM_RSRC3_GFX90A:TG_SPLIT: 0
	.section	.text._ZN7rocprim17ROCPRIM_400000_NS6detail17trampoline_kernelINS0_14default_configENS1_20scan_config_selectorIiEEZZNS1_9scan_implILNS1_25lookback_scan_determinismE0ELb0ELb0ES3_N6thrust23THRUST_200600_302600_NS6detail15normal_iteratorINS9_10device_ptrIiEEEENS9_16discard_iteratorINS9_11use_defaultEEEiNS9_4plusIvEEiEEDaPvRmT3_T4_T5_mT6_P12ihipStream_tbENKUlT_T0_E_clISt17integral_constantIbLb0EESW_IbLb1EEEEDaSS_ST_EUlSS_E0_NS1_11comp_targetILNS1_3genE5ELNS1_11target_archE942ELNS1_3gpuE9ELNS1_3repE0EEENS1_30default_config_static_selectorELNS0_4arch9wavefront6targetE1EEEvT1_,"axG",@progbits,_ZN7rocprim17ROCPRIM_400000_NS6detail17trampoline_kernelINS0_14default_configENS1_20scan_config_selectorIiEEZZNS1_9scan_implILNS1_25lookback_scan_determinismE0ELb0ELb0ES3_N6thrust23THRUST_200600_302600_NS6detail15normal_iteratorINS9_10device_ptrIiEEEENS9_16discard_iteratorINS9_11use_defaultEEEiNS9_4plusIvEEiEEDaPvRmT3_T4_T5_mT6_P12ihipStream_tbENKUlT_T0_E_clISt17integral_constantIbLb0EESW_IbLb1EEEEDaSS_ST_EUlSS_E0_NS1_11comp_targetILNS1_3genE5ELNS1_11target_archE942ELNS1_3gpuE9ELNS1_3repE0EEENS1_30default_config_static_selectorELNS0_4arch9wavefront6targetE1EEEvT1_,comdat
	.protected	_ZN7rocprim17ROCPRIM_400000_NS6detail17trampoline_kernelINS0_14default_configENS1_20scan_config_selectorIiEEZZNS1_9scan_implILNS1_25lookback_scan_determinismE0ELb0ELb0ES3_N6thrust23THRUST_200600_302600_NS6detail15normal_iteratorINS9_10device_ptrIiEEEENS9_16discard_iteratorINS9_11use_defaultEEEiNS9_4plusIvEEiEEDaPvRmT3_T4_T5_mT6_P12ihipStream_tbENKUlT_T0_E_clISt17integral_constantIbLb0EESW_IbLb1EEEEDaSS_ST_EUlSS_E0_NS1_11comp_targetILNS1_3genE5ELNS1_11target_archE942ELNS1_3gpuE9ELNS1_3repE0EEENS1_30default_config_static_selectorELNS0_4arch9wavefront6targetE1EEEvT1_ ; -- Begin function _ZN7rocprim17ROCPRIM_400000_NS6detail17trampoline_kernelINS0_14default_configENS1_20scan_config_selectorIiEEZZNS1_9scan_implILNS1_25lookback_scan_determinismE0ELb0ELb0ES3_N6thrust23THRUST_200600_302600_NS6detail15normal_iteratorINS9_10device_ptrIiEEEENS9_16discard_iteratorINS9_11use_defaultEEEiNS9_4plusIvEEiEEDaPvRmT3_T4_T5_mT6_P12ihipStream_tbENKUlT_T0_E_clISt17integral_constantIbLb0EESW_IbLb1EEEEDaSS_ST_EUlSS_E0_NS1_11comp_targetILNS1_3genE5ELNS1_11target_archE942ELNS1_3gpuE9ELNS1_3repE0EEENS1_30default_config_static_selectorELNS0_4arch9wavefront6targetE1EEEvT1_
	.globl	_ZN7rocprim17ROCPRIM_400000_NS6detail17trampoline_kernelINS0_14default_configENS1_20scan_config_selectorIiEEZZNS1_9scan_implILNS1_25lookback_scan_determinismE0ELb0ELb0ES3_N6thrust23THRUST_200600_302600_NS6detail15normal_iteratorINS9_10device_ptrIiEEEENS9_16discard_iteratorINS9_11use_defaultEEEiNS9_4plusIvEEiEEDaPvRmT3_T4_T5_mT6_P12ihipStream_tbENKUlT_T0_E_clISt17integral_constantIbLb0EESW_IbLb1EEEEDaSS_ST_EUlSS_E0_NS1_11comp_targetILNS1_3genE5ELNS1_11target_archE942ELNS1_3gpuE9ELNS1_3repE0EEENS1_30default_config_static_selectorELNS0_4arch9wavefront6targetE1EEEvT1_
	.p2align	8
	.type	_ZN7rocprim17ROCPRIM_400000_NS6detail17trampoline_kernelINS0_14default_configENS1_20scan_config_selectorIiEEZZNS1_9scan_implILNS1_25lookback_scan_determinismE0ELb0ELb0ES3_N6thrust23THRUST_200600_302600_NS6detail15normal_iteratorINS9_10device_ptrIiEEEENS9_16discard_iteratorINS9_11use_defaultEEEiNS9_4plusIvEEiEEDaPvRmT3_T4_T5_mT6_P12ihipStream_tbENKUlT_T0_E_clISt17integral_constantIbLb0EESW_IbLb1EEEEDaSS_ST_EUlSS_E0_NS1_11comp_targetILNS1_3genE5ELNS1_11target_archE942ELNS1_3gpuE9ELNS1_3repE0EEENS1_30default_config_static_selectorELNS0_4arch9wavefront6targetE1EEEvT1_,@function
_ZN7rocprim17ROCPRIM_400000_NS6detail17trampoline_kernelINS0_14default_configENS1_20scan_config_selectorIiEEZZNS1_9scan_implILNS1_25lookback_scan_determinismE0ELb0ELb0ES3_N6thrust23THRUST_200600_302600_NS6detail15normal_iteratorINS9_10device_ptrIiEEEENS9_16discard_iteratorINS9_11use_defaultEEEiNS9_4plusIvEEiEEDaPvRmT3_T4_T5_mT6_P12ihipStream_tbENKUlT_T0_E_clISt17integral_constantIbLb0EESW_IbLb1EEEEDaSS_ST_EUlSS_E0_NS1_11comp_targetILNS1_3genE5ELNS1_11target_archE942ELNS1_3gpuE9ELNS1_3repE0EEENS1_30default_config_static_selectorELNS0_4arch9wavefront6targetE1EEEvT1_: ; @_ZN7rocprim17ROCPRIM_400000_NS6detail17trampoline_kernelINS0_14default_configENS1_20scan_config_selectorIiEEZZNS1_9scan_implILNS1_25lookback_scan_determinismE0ELb0ELb0ES3_N6thrust23THRUST_200600_302600_NS6detail15normal_iteratorINS9_10device_ptrIiEEEENS9_16discard_iteratorINS9_11use_defaultEEEiNS9_4plusIvEEiEEDaPvRmT3_T4_T5_mT6_P12ihipStream_tbENKUlT_T0_E_clISt17integral_constantIbLb0EESW_IbLb1EEEEDaSS_ST_EUlSS_E0_NS1_11comp_targetILNS1_3genE5ELNS1_11target_archE942ELNS1_3gpuE9ELNS1_3repE0EEENS1_30default_config_static_selectorELNS0_4arch9wavefront6targetE1EEEvT1_
; %bb.0:
	.section	.rodata,"a",@progbits
	.p2align	6, 0x0
	.amdhsa_kernel _ZN7rocprim17ROCPRIM_400000_NS6detail17trampoline_kernelINS0_14default_configENS1_20scan_config_selectorIiEEZZNS1_9scan_implILNS1_25lookback_scan_determinismE0ELb0ELb0ES3_N6thrust23THRUST_200600_302600_NS6detail15normal_iteratorINS9_10device_ptrIiEEEENS9_16discard_iteratorINS9_11use_defaultEEEiNS9_4plusIvEEiEEDaPvRmT3_T4_T5_mT6_P12ihipStream_tbENKUlT_T0_E_clISt17integral_constantIbLb0EESW_IbLb1EEEEDaSS_ST_EUlSS_E0_NS1_11comp_targetILNS1_3genE5ELNS1_11target_archE942ELNS1_3gpuE9ELNS1_3repE0EEENS1_30default_config_static_selectorELNS0_4arch9wavefront6targetE1EEEvT1_
		.amdhsa_group_segment_fixed_size 0
		.amdhsa_private_segment_fixed_size 0
		.amdhsa_kernarg_size 40
		.amdhsa_user_sgpr_count 6
		.amdhsa_user_sgpr_private_segment_buffer 1
		.amdhsa_user_sgpr_dispatch_ptr 0
		.amdhsa_user_sgpr_queue_ptr 0
		.amdhsa_user_sgpr_kernarg_segment_ptr 1
		.amdhsa_user_sgpr_dispatch_id 0
		.amdhsa_user_sgpr_flat_scratch_init 0
		.amdhsa_user_sgpr_kernarg_preload_length 0
		.amdhsa_user_sgpr_kernarg_preload_offset 0
		.amdhsa_user_sgpr_private_segment_size 0
		.amdhsa_uses_dynamic_stack 0
		.amdhsa_system_sgpr_private_segment_wavefront_offset 0
		.amdhsa_system_sgpr_workgroup_id_x 1
		.amdhsa_system_sgpr_workgroup_id_y 0
		.amdhsa_system_sgpr_workgroup_id_z 0
		.amdhsa_system_sgpr_workgroup_info 0
		.amdhsa_system_vgpr_workitem_id 0
		.amdhsa_next_free_vgpr 1
		.amdhsa_next_free_sgpr 0
		.amdhsa_accum_offset 4
		.amdhsa_reserve_vcc 0
		.amdhsa_reserve_flat_scratch 0
		.amdhsa_float_round_mode_32 0
		.amdhsa_float_round_mode_16_64 0
		.amdhsa_float_denorm_mode_32 3
		.amdhsa_float_denorm_mode_16_64 3
		.amdhsa_dx10_clamp 1
		.amdhsa_ieee_mode 1
		.amdhsa_fp16_overflow 0
		.amdhsa_tg_split 0
		.amdhsa_exception_fp_ieee_invalid_op 0
		.amdhsa_exception_fp_denorm_src 0
		.amdhsa_exception_fp_ieee_div_zero 0
		.amdhsa_exception_fp_ieee_overflow 0
		.amdhsa_exception_fp_ieee_underflow 0
		.amdhsa_exception_fp_ieee_inexact 0
		.amdhsa_exception_int_div_zero 0
	.end_amdhsa_kernel
	.section	.text._ZN7rocprim17ROCPRIM_400000_NS6detail17trampoline_kernelINS0_14default_configENS1_20scan_config_selectorIiEEZZNS1_9scan_implILNS1_25lookback_scan_determinismE0ELb0ELb0ES3_N6thrust23THRUST_200600_302600_NS6detail15normal_iteratorINS9_10device_ptrIiEEEENS9_16discard_iteratorINS9_11use_defaultEEEiNS9_4plusIvEEiEEDaPvRmT3_T4_T5_mT6_P12ihipStream_tbENKUlT_T0_E_clISt17integral_constantIbLb0EESW_IbLb1EEEEDaSS_ST_EUlSS_E0_NS1_11comp_targetILNS1_3genE5ELNS1_11target_archE942ELNS1_3gpuE9ELNS1_3repE0EEENS1_30default_config_static_selectorELNS0_4arch9wavefront6targetE1EEEvT1_,"axG",@progbits,_ZN7rocprim17ROCPRIM_400000_NS6detail17trampoline_kernelINS0_14default_configENS1_20scan_config_selectorIiEEZZNS1_9scan_implILNS1_25lookback_scan_determinismE0ELb0ELb0ES3_N6thrust23THRUST_200600_302600_NS6detail15normal_iteratorINS9_10device_ptrIiEEEENS9_16discard_iteratorINS9_11use_defaultEEEiNS9_4plusIvEEiEEDaPvRmT3_T4_T5_mT6_P12ihipStream_tbENKUlT_T0_E_clISt17integral_constantIbLb0EESW_IbLb1EEEEDaSS_ST_EUlSS_E0_NS1_11comp_targetILNS1_3genE5ELNS1_11target_archE942ELNS1_3gpuE9ELNS1_3repE0EEENS1_30default_config_static_selectorELNS0_4arch9wavefront6targetE1EEEvT1_,comdat
.Lfunc_end5790:
	.size	_ZN7rocprim17ROCPRIM_400000_NS6detail17trampoline_kernelINS0_14default_configENS1_20scan_config_selectorIiEEZZNS1_9scan_implILNS1_25lookback_scan_determinismE0ELb0ELb0ES3_N6thrust23THRUST_200600_302600_NS6detail15normal_iteratorINS9_10device_ptrIiEEEENS9_16discard_iteratorINS9_11use_defaultEEEiNS9_4plusIvEEiEEDaPvRmT3_T4_T5_mT6_P12ihipStream_tbENKUlT_T0_E_clISt17integral_constantIbLb0EESW_IbLb1EEEEDaSS_ST_EUlSS_E0_NS1_11comp_targetILNS1_3genE5ELNS1_11target_archE942ELNS1_3gpuE9ELNS1_3repE0EEENS1_30default_config_static_selectorELNS0_4arch9wavefront6targetE1EEEvT1_, .Lfunc_end5790-_ZN7rocprim17ROCPRIM_400000_NS6detail17trampoline_kernelINS0_14default_configENS1_20scan_config_selectorIiEEZZNS1_9scan_implILNS1_25lookback_scan_determinismE0ELb0ELb0ES3_N6thrust23THRUST_200600_302600_NS6detail15normal_iteratorINS9_10device_ptrIiEEEENS9_16discard_iteratorINS9_11use_defaultEEEiNS9_4plusIvEEiEEDaPvRmT3_T4_T5_mT6_P12ihipStream_tbENKUlT_T0_E_clISt17integral_constantIbLb0EESW_IbLb1EEEEDaSS_ST_EUlSS_E0_NS1_11comp_targetILNS1_3genE5ELNS1_11target_archE942ELNS1_3gpuE9ELNS1_3repE0EEENS1_30default_config_static_selectorELNS0_4arch9wavefront6targetE1EEEvT1_
                                        ; -- End function
	.section	.AMDGPU.csdata,"",@progbits
; Kernel info:
; codeLenInByte = 0
; NumSgprs: 4
; NumVgprs: 0
; NumAgprs: 0
; TotalNumVgprs: 0
; ScratchSize: 0
; MemoryBound: 0
; FloatMode: 240
; IeeeMode: 1
; LDSByteSize: 0 bytes/workgroup (compile time only)
; SGPRBlocks: 0
; VGPRBlocks: 0
; NumSGPRsForWavesPerEU: 4
; NumVGPRsForWavesPerEU: 1
; AccumOffset: 4
; Occupancy: 8
; WaveLimiterHint : 0
; COMPUTE_PGM_RSRC2:SCRATCH_EN: 0
; COMPUTE_PGM_RSRC2:USER_SGPR: 6
; COMPUTE_PGM_RSRC2:TRAP_HANDLER: 0
; COMPUTE_PGM_RSRC2:TGID_X_EN: 1
; COMPUTE_PGM_RSRC2:TGID_Y_EN: 0
; COMPUTE_PGM_RSRC2:TGID_Z_EN: 0
; COMPUTE_PGM_RSRC2:TIDIG_COMP_CNT: 0
; COMPUTE_PGM_RSRC3_GFX90A:ACCUM_OFFSET: 0
; COMPUTE_PGM_RSRC3_GFX90A:TG_SPLIT: 0
	.section	.text._ZN7rocprim17ROCPRIM_400000_NS6detail17trampoline_kernelINS0_14default_configENS1_20scan_config_selectorIiEEZZNS1_9scan_implILNS1_25lookback_scan_determinismE0ELb0ELb0ES3_N6thrust23THRUST_200600_302600_NS6detail15normal_iteratorINS9_10device_ptrIiEEEENS9_16discard_iteratorINS9_11use_defaultEEEiNS9_4plusIvEEiEEDaPvRmT3_T4_T5_mT6_P12ihipStream_tbENKUlT_T0_E_clISt17integral_constantIbLb0EESW_IbLb1EEEEDaSS_ST_EUlSS_E0_NS1_11comp_targetILNS1_3genE4ELNS1_11target_archE910ELNS1_3gpuE8ELNS1_3repE0EEENS1_30default_config_static_selectorELNS0_4arch9wavefront6targetE1EEEvT1_,"axG",@progbits,_ZN7rocprim17ROCPRIM_400000_NS6detail17trampoline_kernelINS0_14default_configENS1_20scan_config_selectorIiEEZZNS1_9scan_implILNS1_25lookback_scan_determinismE0ELb0ELb0ES3_N6thrust23THRUST_200600_302600_NS6detail15normal_iteratorINS9_10device_ptrIiEEEENS9_16discard_iteratorINS9_11use_defaultEEEiNS9_4plusIvEEiEEDaPvRmT3_T4_T5_mT6_P12ihipStream_tbENKUlT_T0_E_clISt17integral_constantIbLb0EESW_IbLb1EEEEDaSS_ST_EUlSS_E0_NS1_11comp_targetILNS1_3genE4ELNS1_11target_archE910ELNS1_3gpuE8ELNS1_3repE0EEENS1_30default_config_static_selectorELNS0_4arch9wavefront6targetE1EEEvT1_,comdat
	.protected	_ZN7rocprim17ROCPRIM_400000_NS6detail17trampoline_kernelINS0_14default_configENS1_20scan_config_selectorIiEEZZNS1_9scan_implILNS1_25lookback_scan_determinismE0ELb0ELb0ES3_N6thrust23THRUST_200600_302600_NS6detail15normal_iteratorINS9_10device_ptrIiEEEENS9_16discard_iteratorINS9_11use_defaultEEEiNS9_4plusIvEEiEEDaPvRmT3_T4_T5_mT6_P12ihipStream_tbENKUlT_T0_E_clISt17integral_constantIbLb0EESW_IbLb1EEEEDaSS_ST_EUlSS_E0_NS1_11comp_targetILNS1_3genE4ELNS1_11target_archE910ELNS1_3gpuE8ELNS1_3repE0EEENS1_30default_config_static_selectorELNS0_4arch9wavefront6targetE1EEEvT1_ ; -- Begin function _ZN7rocprim17ROCPRIM_400000_NS6detail17trampoline_kernelINS0_14default_configENS1_20scan_config_selectorIiEEZZNS1_9scan_implILNS1_25lookback_scan_determinismE0ELb0ELb0ES3_N6thrust23THRUST_200600_302600_NS6detail15normal_iteratorINS9_10device_ptrIiEEEENS9_16discard_iteratorINS9_11use_defaultEEEiNS9_4plusIvEEiEEDaPvRmT3_T4_T5_mT6_P12ihipStream_tbENKUlT_T0_E_clISt17integral_constantIbLb0EESW_IbLb1EEEEDaSS_ST_EUlSS_E0_NS1_11comp_targetILNS1_3genE4ELNS1_11target_archE910ELNS1_3gpuE8ELNS1_3repE0EEENS1_30default_config_static_selectorELNS0_4arch9wavefront6targetE1EEEvT1_
	.globl	_ZN7rocprim17ROCPRIM_400000_NS6detail17trampoline_kernelINS0_14default_configENS1_20scan_config_selectorIiEEZZNS1_9scan_implILNS1_25lookback_scan_determinismE0ELb0ELb0ES3_N6thrust23THRUST_200600_302600_NS6detail15normal_iteratorINS9_10device_ptrIiEEEENS9_16discard_iteratorINS9_11use_defaultEEEiNS9_4plusIvEEiEEDaPvRmT3_T4_T5_mT6_P12ihipStream_tbENKUlT_T0_E_clISt17integral_constantIbLb0EESW_IbLb1EEEEDaSS_ST_EUlSS_E0_NS1_11comp_targetILNS1_3genE4ELNS1_11target_archE910ELNS1_3gpuE8ELNS1_3repE0EEENS1_30default_config_static_selectorELNS0_4arch9wavefront6targetE1EEEvT1_
	.p2align	8
	.type	_ZN7rocprim17ROCPRIM_400000_NS6detail17trampoline_kernelINS0_14default_configENS1_20scan_config_selectorIiEEZZNS1_9scan_implILNS1_25lookback_scan_determinismE0ELb0ELb0ES3_N6thrust23THRUST_200600_302600_NS6detail15normal_iteratorINS9_10device_ptrIiEEEENS9_16discard_iteratorINS9_11use_defaultEEEiNS9_4plusIvEEiEEDaPvRmT3_T4_T5_mT6_P12ihipStream_tbENKUlT_T0_E_clISt17integral_constantIbLb0EESW_IbLb1EEEEDaSS_ST_EUlSS_E0_NS1_11comp_targetILNS1_3genE4ELNS1_11target_archE910ELNS1_3gpuE8ELNS1_3repE0EEENS1_30default_config_static_selectorELNS0_4arch9wavefront6targetE1EEEvT1_,@function
_ZN7rocprim17ROCPRIM_400000_NS6detail17trampoline_kernelINS0_14default_configENS1_20scan_config_selectorIiEEZZNS1_9scan_implILNS1_25lookback_scan_determinismE0ELb0ELb0ES3_N6thrust23THRUST_200600_302600_NS6detail15normal_iteratorINS9_10device_ptrIiEEEENS9_16discard_iteratorINS9_11use_defaultEEEiNS9_4plusIvEEiEEDaPvRmT3_T4_T5_mT6_P12ihipStream_tbENKUlT_T0_E_clISt17integral_constantIbLb0EESW_IbLb1EEEEDaSS_ST_EUlSS_E0_NS1_11comp_targetILNS1_3genE4ELNS1_11target_archE910ELNS1_3gpuE8ELNS1_3repE0EEENS1_30default_config_static_selectorELNS0_4arch9wavefront6targetE1EEEvT1_: ; @_ZN7rocprim17ROCPRIM_400000_NS6detail17trampoline_kernelINS0_14default_configENS1_20scan_config_selectorIiEEZZNS1_9scan_implILNS1_25lookback_scan_determinismE0ELb0ELb0ES3_N6thrust23THRUST_200600_302600_NS6detail15normal_iteratorINS9_10device_ptrIiEEEENS9_16discard_iteratorINS9_11use_defaultEEEiNS9_4plusIvEEiEEDaPvRmT3_T4_T5_mT6_P12ihipStream_tbENKUlT_T0_E_clISt17integral_constantIbLb0EESW_IbLb1EEEEDaSS_ST_EUlSS_E0_NS1_11comp_targetILNS1_3genE4ELNS1_11target_archE910ELNS1_3gpuE8ELNS1_3repE0EEENS1_30default_config_static_selectorELNS0_4arch9wavefront6targetE1EEEvT1_
; %bb.0:
	s_load_dwordx4 s[0:3], s[4:5], 0x0
	v_lshlrev_b32_e32 v20, 2, v0
	s_waitcnt lgkmcnt(0)
	s_load_dword s3, s[0:1], 0x0
	v_cmp_gt_u32_e32 vcc, s2, v0
	s_waitcnt lgkmcnt(0)
	v_mov_b32_e32 v1, s3
	s_and_saveexec_b64 s[4:5], vcc
	s_cbranch_execz .LBB5791_2
; %bb.1:
	global_load_dword v1, v20, s[0:1]
.LBB5791_2:
	s_or_b64 exec, exec, s[4:5]
	v_or_b32_e32 v2, 0x80, v0
	v_cmp_gt_u32_e32 vcc, s2, v2
	v_mov_b32_e32 v2, s3
	s_and_saveexec_b64 s[4:5], vcc
	s_cbranch_execz .LBB5791_4
; %bb.3:
	global_load_dword v2, v20, s[0:1] offset:512
.LBB5791_4:
	s_or_b64 exec, exec, s[4:5]
	v_or_b32_e32 v3, 0x100, v0
	v_cmp_gt_u32_e32 vcc, s2, v3
	v_mov_b32_e32 v3, s3
	s_and_saveexec_b64 s[4:5], vcc
	s_cbranch_execz .LBB5791_6
; %bb.5:
	global_load_dword v3, v20, s[0:1] offset:1024
.LBB5791_6:
	;; [unrolled: 9-line block ×7, first 2 shown]
	s_or_b64 exec, exec, s[4:5]
	v_or_b32_e32 v10, 0x400, v0
	v_cmp_gt_u32_e32 vcc, s2, v10
	v_mov_b32_e32 v9, s3
	s_and_saveexec_b64 s[4:5], vcc
	s_cbranch_execz .LBB5791_18
; %bb.17:
	v_lshlrev_b32_e32 v9, 2, v10
	global_load_dword v9, v9, s[0:1]
.LBB5791_18:
	s_or_b64 exec, exec, s[4:5]
	v_or_b32_e32 v11, 0x480, v0
	v_cmp_gt_u32_e32 vcc, s2, v11
	v_mov_b32_e32 v10, s3
	s_and_saveexec_b64 s[2:3], vcc
	s_cbranch_execz .LBB5791_20
; %bb.19:
	v_lshlrev_b32_e32 v10, 2, v11
	global_load_dword v10, v10, s[0:1]
.LBB5791_20:
	s_or_b64 exec, exec, s[2:3]
	s_waitcnt vmcnt(0)
	ds_write2st64_b32 v20, v1, v2 offset1:2
	ds_write2st64_b32 v20, v3, v4 offset0:4 offset1:6
	ds_write2st64_b32 v20, v5, v6 offset0:8 offset1:10
	;; [unrolled: 1-line block ×4, first 2 shown]
	v_mad_u32_u24 v1, v0, 36, v20
	s_waitcnt lgkmcnt(0)
	s_barrier
	ds_read2_b64 v[6:9], v1 offset1:1
	ds_read2_b64 v[2:5], v1 offset0:2 offset1:3
	ds_read_b64 v[18:19], v1 offset:32
	v_lshrrev_b32_e32 v21, 3, v0
	v_and_b32_e32 v21, 12, v21
	s_waitcnt lgkmcnt(2)
	v_add_u32_e32 v1, v7, v6
	v_add_u32_e32 v14, v1, v8
	;; [unrolled: 1-line block ×3, first 2 shown]
	s_waitcnt lgkmcnt(1)
	v_add_u32_e32 v10, v15, v2
	v_add_u32_e32 v11, v10, v3
	;; [unrolled: 1-line block ×4, first 2 shown]
	s_waitcnt lgkmcnt(0)
	v_add_u32_e32 v16, v13, v18
	v_add_u32_e32 v17, v16, v19
	;; [unrolled: 1-line block ×3, first 2 shown]
	v_cmp_gt_u32_e32 vcc, 64, v0
	s_barrier
	ds_write_b32 v21, v17
	s_waitcnt lgkmcnt(0)
	s_barrier
	s_and_saveexec_b64 s[0:1], vcc
	s_cbranch_execz .LBB5791_22
; %bb.21:
	v_lshlrev_b32_e32 v21, 1, v0
	v_lshrrev_b32_e32 v22, 4, v0
	v_add_lshl_u32 v21, v22, v21, 2
	ds_read2_b32 v[22:23], v21 offset1:1
	v_mbcnt_lo_u32_b32 v24, -1, 0
	v_mbcnt_hi_u32_b32 v24, -1, v24
	v_and_b32_e32 v25, 15, v24
	v_cmp_ne_u32_e32 vcc, 0, v25
	s_waitcnt lgkmcnt(0)
	v_add_u32_e32 v23, v23, v22
	; wave barrier
	s_nop 1
	v_mov_b32_dpp v26, v23 row_shr:1 row_mask:0xf bank_mask:0xf
	v_cndmask_b32_e32 v26, 0, v26, vcc
	v_add_u32_e32 v23, v26, v23
	v_cmp_lt_u32_e32 vcc, 1, v25
	s_nop 0
	v_mov_b32_dpp v26, v23 row_shr:2 row_mask:0xf bank_mask:0xf
	v_cndmask_b32_e32 v26, 0, v26, vcc
	v_add_u32_e32 v23, v23, v26
	v_cmp_lt_u32_e32 vcc, 3, v25
	;; [unrolled: 5-line block ×3, first 2 shown]
	s_nop 0
	v_mov_b32_dpp v26, v23 row_shr:8 row_mask:0xf bank_mask:0xf
	v_cndmask_b32_e32 v25, 0, v26, vcc
	v_add_u32_e32 v23, v23, v25
	v_bfe_i32 v26, v24, 4, 1
	v_cmp_lt_u32_e32 vcc, 31, v24
	v_mov_b32_dpp v25, v23 row_bcast:15 row_mask:0xf bank_mask:0xf
	v_and_b32_e32 v25, v26, v25
	v_add_u32_e32 v23, v23, v25
	v_and_b32_e32 v26, 64, v24
	s_nop 0
	v_mov_b32_dpp v25, v23 row_bcast:31 row_mask:0xf bank_mask:0xf
	v_cndmask_b32_e32 v25, 0, v25, vcc
	v_add_u32_e32 v23, v23, v25
	v_add_u32_e32 v25, -1, v24
	v_cmp_lt_i32_e32 vcc, v25, v26
	v_cndmask_b32_e32 v24, v25, v24, vcc
	v_lshlrev_b32_e32 v24, 2, v24
	ds_bpermute_b32 v23, v24, v23
	v_cmp_eq_u32_e32 vcc, 0, v0
	s_waitcnt lgkmcnt(0)
	v_add_u32_e32 v22, v23, v22
	v_cndmask_b32_e32 v22, v22, v17, vcc
	ds_write_b32 v21, v22
	; wave barrier
	ds_read_b32 v23, v21 offset:4
	s_waitcnt lgkmcnt(0)
	v_add_u32_e32 v22, v23, v22
	ds_write_b32 v21, v22 offset:4
.LBB5791_22:
	s_or_b64 exec, exec, s[0:1]
	v_cmp_ne_u32_e32 vcc, 0, v0
	v_mov_b32_e32 v22, v17
	s_waitcnt lgkmcnt(0)
	s_barrier
	s_and_saveexec_b64 s[0:1], vcc
	s_cbranch_execz .LBB5791_24
; %bb.23:
	v_add_u32_e32 v21, -1, v0
	v_lshrrev_b32_e32 v22, 5, v21
	v_add_lshl_u32 v21, v22, v21, 2
	ds_read_b32 v22, v21
.LBB5791_24:
	s_or_b64 exec, exec, s[0:1]
	v_mul_u32_u24_e32 v21, 36, v0
	v_mov_b32_e32 v0, v6
	s_and_saveexec_b64 s[0:1], vcc
	s_cbranch_execz .LBB5791_26
; %bb.25:
	s_waitcnt lgkmcnt(0)
	v_add_u32_e32 v0, v22, v6
	v_add_u32_e32 v1, v0, v7
	;; [unrolled: 1-line block ×10, first 2 shown]
	;;#ASMSTART
	;;#ASMEND
.LBB5791_26:
	s_or_b64 exec, exec, s[0:1]
	v_add_u32_e32 v2, v20, v21
	s_waitcnt lgkmcnt(0)
	s_barrier
	ds_write2_b64 v2, v[0:1], v[14:15] offset1:1
	ds_write2_b64 v2, v[10:11], v[12:13] offset0:2 offset1:3
	ds_write_b64 v2, v[16:17] offset:32
	s_waitcnt lgkmcnt(0)
	s_barrier
	s_endpgm
	.section	.rodata,"a",@progbits
	.p2align	6, 0x0
	.amdhsa_kernel _ZN7rocprim17ROCPRIM_400000_NS6detail17trampoline_kernelINS0_14default_configENS1_20scan_config_selectorIiEEZZNS1_9scan_implILNS1_25lookback_scan_determinismE0ELb0ELb0ES3_N6thrust23THRUST_200600_302600_NS6detail15normal_iteratorINS9_10device_ptrIiEEEENS9_16discard_iteratorINS9_11use_defaultEEEiNS9_4plusIvEEiEEDaPvRmT3_T4_T5_mT6_P12ihipStream_tbENKUlT_T0_E_clISt17integral_constantIbLb0EESW_IbLb1EEEEDaSS_ST_EUlSS_E0_NS1_11comp_targetILNS1_3genE4ELNS1_11target_archE910ELNS1_3gpuE8ELNS1_3repE0EEENS1_30default_config_static_selectorELNS0_4arch9wavefront6targetE1EEEvT1_
		.amdhsa_group_segment_fixed_size 5120
		.amdhsa_private_segment_fixed_size 0
		.amdhsa_kernarg_size 40
		.amdhsa_user_sgpr_count 6
		.amdhsa_user_sgpr_private_segment_buffer 1
		.amdhsa_user_sgpr_dispatch_ptr 0
		.amdhsa_user_sgpr_queue_ptr 0
		.amdhsa_user_sgpr_kernarg_segment_ptr 1
		.amdhsa_user_sgpr_dispatch_id 0
		.amdhsa_user_sgpr_flat_scratch_init 0
		.amdhsa_user_sgpr_kernarg_preload_length 0
		.amdhsa_user_sgpr_kernarg_preload_offset 0
		.amdhsa_user_sgpr_private_segment_size 0
		.amdhsa_uses_dynamic_stack 0
		.amdhsa_system_sgpr_private_segment_wavefront_offset 0
		.amdhsa_system_sgpr_workgroup_id_x 1
		.amdhsa_system_sgpr_workgroup_id_y 0
		.amdhsa_system_sgpr_workgroup_id_z 0
		.amdhsa_system_sgpr_workgroup_info 0
		.amdhsa_system_vgpr_workitem_id 0
		.amdhsa_next_free_vgpr 27
		.amdhsa_next_free_sgpr 6
		.amdhsa_accum_offset 28
		.amdhsa_reserve_vcc 1
		.amdhsa_reserve_flat_scratch 0
		.amdhsa_float_round_mode_32 0
		.amdhsa_float_round_mode_16_64 0
		.amdhsa_float_denorm_mode_32 3
		.amdhsa_float_denorm_mode_16_64 3
		.amdhsa_dx10_clamp 1
		.amdhsa_ieee_mode 1
		.amdhsa_fp16_overflow 0
		.amdhsa_tg_split 0
		.amdhsa_exception_fp_ieee_invalid_op 0
		.amdhsa_exception_fp_denorm_src 0
		.amdhsa_exception_fp_ieee_div_zero 0
		.amdhsa_exception_fp_ieee_overflow 0
		.amdhsa_exception_fp_ieee_underflow 0
		.amdhsa_exception_fp_ieee_inexact 0
		.amdhsa_exception_int_div_zero 0
	.end_amdhsa_kernel
	.section	.text._ZN7rocprim17ROCPRIM_400000_NS6detail17trampoline_kernelINS0_14default_configENS1_20scan_config_selectorIiEEZZNS1_9scan_implILNS1_25lookback_scan_determinismE0ELb0ELb0ES3_N6thrust23THRUST_200600_302600_NS6detail15normal_iteratorINS9_10device_ptrIiEEEENS9_16discard_iteratorINS9_11use_defaultEEEiNS9_4plusIvEEiEEDaPvRmT3_T4_T5_mT6_P12ihipStream_tbENKUlT_T0_E_clISt17integral_constantIbLb0EESW_IbLb1EEEEDaSS_ST_EUlSS_E0_NS1_11comp_targetILNS1_3genE4ELNS1_11target_archE910ELNS1_3gpuE8ELNS1_3repE0EEENS1_30default_config_static_selectorELNS0_4arch9wavefront6targetE1EEEvT1_,"axG",@progbits,_ZN7rocprim17ROCPRIM_400000_NS6detail17trampoline_kernelINS0_14default_configENS1_20scan_config_selectorIiEEZZNS1_9scan_implILNS1_25lookback_scan_determinismE0ELb0ELb0ES3_N6thrust23THRUST_200600_302600_NS6detail15normal_iteratorINS9_10device_ptrIiEEEENS9_16discard_iteratorINS9_11use_defaultEEEiNS9_4plusIvEEiEEDaPvRmT3_T4_T5_mT6_P12ihipStream_tbENKUlT_T0_E_clISt17integral_constantIbLb0EESW_IbLb1EEEEDaSS_ST_EUlSS_E0_NS1_11comp_targetILNS1_3genE4ELNS1_11target_archE910ELNS1_3gpuE8ELNS1_3repE0EEENS1_30default_config_static_selectorELNS0_4arch9wavefront6targetE1EEEvT1_,comdat
.Lfunc_end5791:
	.size	_ZN7rocprim17ROCPRIM_400000_NS6detail17trampoline_kernelINS0_14default_configENS1_20scan_config_selectorIiEEZZNS1_9scan_implILNS1_25lookback_scan_determinismE0ELb0ELb0ES3_N6thrust23THRUST_200600_302600_NS6detail15normal_iteratorINS9_10device_ptrIiEEEENS9_16discard_iteratorINS9_11use_defaultEEEiNS9_4plusIvEEiEEDaPvRmT3_T4_T5_mT6_P12ihipStream_tbENKUlT_T0_E_clISt17integral_constantIbLb0EESW_IbLb1EEEEDaSS_ST_EUlSS_E0_NS1_11comp_targetILNS1_3genE4ELNS1_11target_archE910ELNS1_3gpuE8ELNS1_3repE0EEENS1_30default_config_static_selectorELNS0_4arch9wavefront6targetE1EEEvT1_, .Lfunc_end5791-_ZN7rocprim17ROCPRIM_400000_NS6detail17trampoline_kernelINS0_14default_configENS1_20scan_config_selectorIiEEZZNS1_9scan_implILNS1_25lookback_scan_determinismE0ELb0ELb0ES3_N6thrust23THRUST_200600_302600_NS6detail15normal_iteratorINS9_10device_ptrIiEEEENS9_16discard_iteratorINS9_11use_defaultEEEiNS9_4plusIvEEiEEDaPvRmT3_T4_T5_mT6_P12ihipStream_tbENKUlT_T0_E_clISt17integral_constantIbLb0EESW_IbLb1EEEEDaSS_ST_EUlSS_E0_NS1_11comp_targetILNS1_3genE4ELNS1_11target_archE910ELNS1_3gpuE8ELNS1_3repE0EEENS1_30default_config_static_selectorELNS0_4arch9wavefront6targetE1EEEvT1_
                                        ; -- End function
	.section	.AMDGPU.csdata,"",@progbits
; Kernel info:
; codeLenInByte = 1004
; NumSgprs: 10
; NumVgprs: 27
; NumAgprs: 0
; TotalNumVgprs: 27
; ScratchSize: 0
; MemoryBound: 0
; FloatMode: 240
; IeeeMode: 1
; LDSByteSize: 5120 bytes/workgroup (compile time only)
; SGPRBlocks: 1
; VGPRBlocks: 3
; NumSGPRsForWavesPerEU: 10
; NumVGPRsForWavesPerEU: 27
; AccumOffset: 28
; Occupancy: 6
; WaveLimiterHint : 0
; COMPUTE_PGM_RSRC2:SCRATCH_EN: 0
; COMPUTE_PGM_RSRC2:USER_SGPR: 6
; COMPUTE_PGM_RSRC2:TRAP_HANDLER: 0
; COMPUTE_PGM_RSRC2:TGID_X_EN: 1
; COMPUTE_PGM_RSRC2:TGID_Y_EN: 0
; COMPUTE_PGM_RSRC2:TGID_Z_EN: 0
; COMPUTE_PGM_RSRC2:TIDIG_COMP_CNT: 0
; COMPUTE_PGM_RSRC3_GFX90A:ACCUM_OFFSET: 6
; COMPUTE_PGM_RSRC3_GFX90A:TG_SPLIT: 0
	.section	.text._ZN7rocprim17ROCPRIM_400000_NS6detail17trampoline_kernelINS0_14default_configENS1_20scan_config_selectorIiEEZZNS1_9scan_implILNS1_25lookback_scan_determinismE0ELb0ELb0ES3_N6thrust23THRUST_200600_302600_NS6detail15normal_iteratorINS9_10device_ptrIiEEEENS9_16discard_iteratorINS9_11use_defaultEEEiNS9_4plusIvEEiEEDaPvRmT3_T4_T5_mT6_P12ihipStream_tbENKUlT_T0_E_clISt17integral_constantIbLb0EESW_IbLb1EEEEDaSS_ST_EUlSS_E0_NS1_11comp_targetILNS1_3genE3ELNS1_11target_archE908ELNS1_3gpuE7ELNS1_3repE0EEENS1_30default_config_static_selectorELNS0_4arch9wavefront6targetE1EEEvT1_,"axG",@progbits,_ZN7rocprim17ROCPRIM_400000_NS6detail17trampoline_kernelINS0_14default_configENS1_20scan_config_selectorIiEEZZNS1_9scan_implILNS1_25lookback_scan_determinismE0ELb0ELb0ES3_N6thrust23THRUST_200600_302600_NS6detail15normal_iteratorINS9_10device_ptrIiEEEENS9_16discard_iteratorINS9_11use_defaultEEEiNS9_4plusIvEEiEEDaPvRmT3_T4_T5_mT6_P12ihipStream_tbENKUlT_T0_E_clISt17integral_constantIbLb0EESW_IbLb1EEEEDaSS_ST_EUlSS_E0_NS1_11comp_targetILNS1_3genE3ELNS1_11target_archE908ELNS1_3gpuE7ELNS1_3repE0EEENS1_30default_config_static_selectorELNS0_4arch9wavefront6targetE1EEEvT1_,comdat
	.protected	_ZN7rocprim17ROCPRIM_400000_NS6detail17trampoline_kernelINS0_14default_configENS1_20scan_config_selectorIiEEZZNS1_9scan_implILNS1_25lookback_scan_determinismE0ELb0ELb0ES3_N6thrust23THRUST_200600_302600_NS6detail15normal_iteratorINS9_10device_ptrIiEEEENS9_16discard_iteratorINS9_11use_defaultEEEiNS9_4plusIvEEiEEDaPvRmT3_T4_T5_mT6_P12ihipStream_tbENKUlT_T0_E_clISt17integral_constantIbLb0EESW_IbLb1EEEEDaSS_ST_EUlSS_E0_NS1_11comp_targetILNS1_3genE3ELNS1_11target_archE908ELNS1_3gpuE7ELNS1_3repE0EEENS1_30default_config_static_selectorELNS0_4arch9wavefront6targetE1EEEvT1_ ; -- Begin function _ZN7rocprim17ROCPRIM_400000_NS6detail17trampoline_kernelINS0_14default_configENS1_20scan_config_selectorIiEEZZNS1_9scan_implILNS1_25lookback_scan_determinismE0ELb0ELb0ES3_N6thrust23THRUST_200600_302600_NS6detail15normal_iteratorINS9_10device_ptrIiEEEENS9_16discard_iteratorINS9_11use_defaultEEEiNS9_4plusIvEEiEEDaPvRmT3_T4_T5_mT6_P12ihipStream_tbENKUlT_T0_E_clISt17integral_constantIbLb0EESW_IbLb1EEEEDaSS_ST_EUlSS_E0_NS1_11comp_targetILNS1_3genE3ELNS1_11target_archE908ELNS1_3gpuE7ELNS1_3repE0EEENS1_30default_config_static_selectorELNS0_4arch9wavefront6targetE1EEEvT1_
	.globl	_ZN7rocprim17ROCPRIM_400000_NS6detail17trampoline_kernelINS0_14default_configENS1_20scan_config_selectorIiEEZZNS1_9scan_implILNS1_25lookback_scan_determinismE0ELb0ELb0ES3_N6thrust23THRUST_200600_302600_NS6detail15normal_iteratorINS9_10device_ptrIiEEEENS9_16discard_iteratorINS9_11use_defaultEEEiNS9_4plusIvEEiEEDaPvRmT3_T4_T5_mT6_P12ihipStream_tbENKUlT_T0_E_clISt17integral_constantIbLb0EESW_IbLb1EEEEDaSS_ST_EUlSS_E0_NS1_11comp_targetILNS1_3genE3ELNS1_11target_archE908ELNS1_3gpuE7ELNS1_3repE0EEENS1_30default_config_static_selectorELNS0_4arch9wavefront6targetE1EEEvT1_
	.p2align	8
	.type	_ZN7rocprim17ROCPRIM_400000_NS6detail17trampoline_kernelINS0_14default_configENS1_20scan_config_selectorIiEEZZNS1_9scan_implILNS1_25lookback_scan_determinismE0ELb0ELb0ES3_N6thrust23THRUST_200600_302600_NS6detail15normal_iteratorINS9_10device_ptrIiEEEENS9_16discard_iteratorINS9_11use_defaultEEEiNS9_4plusIvEEiEEDaPvRmT3_T4_T5_mT6_P12ihipStream_tbENKUlT_T0_E_clISt17integral_constantIbLb0EESW_IbLb1EEEEDaSS_ST_EUlSS_E0_NS1_11comp_targetILNS1_3genE3ELNS1_11target_archE908ELNS1_3gpuE7ELNS1_3repE0EEENS1_30default_config_static_selectorELNS0_4arch9wavefront6targetE1EEEvT1_,@function
_ZN7rocprim17ROCPRIM_400000_NS6detail17trampoline_kernelINS0_14default_configENS1_20scan_config_selectorIiEEZZNS1_9scan_implILNS1_25lookback_scan_determinismE0ELb0ELb0ES3_N6thrust23THRUST_200600_302600_NS6detail15normal_iteratorINS9_10device_ptrIiEEEENS9_16discard_iteratorINS9_11use_defaultEEEiNS9_4plusIvEEiEEDaPvRmT3_T4_T5_mT6_P12ihipStream_tbENKUlT_T0_E_clISt17integral_constantIbLb0EESW_IbLb1EEEEDaSS_ST_EUlSS_E0_NS1_11comp_targetILNS1_3genE3ELNS1_11target_archE908ELNS1_3gpuE7ELNS1_3repE0EEENS1_30default_config_static_selectorELNS0_4arch9wavefront6targetE1EEEvT1_: ; @_ZN7rocprim17ROCPRIM_400000_NS6detail17trampoline_kernelINS0_14default_configENS1_20scan_config_selectorIiEEZZNS1_9scan_implILNS1_25lookback_scan_determinismE0ELb0ELb0ES3_N6thrust23THRUST_200600_302600_NS6detail15normal_iteratorINS9_10device_ptrIiEEEENS9_16discard_iteratorINS9_11use_defaultEEEiNS9_4plusIvEEiEEDaPvRmT3_T4_T5_mT6_P12ihipStream_tbENKUlT_T0_E_clISt17integral_constantIbLb0EESW_IbLb1EEEEDaSS_ST_EUlSS_E0_NS1_11comp_targetILNS1_3genE3ELNS1_11target_archE908ELNS1_3gpuE7ELNS1_3repE0EEENS1_30default_config_static_selectorELNS0_4arch9wavefront6targetE1EEEvT1_
; %bb.0:
	.section	.rodata,"a",@progbits
	.p2align	6, 0x0
	.amdhsa_kernel _ZN7rocprim17ROCPRIM_400000_NS6detail17trampoline_kernelINS0_14default_configENS1_20scan_config_selectorIiEEZZNS1_9scan_implILNS1_25lookback_scan_determinismE0ELb0ELb0ES3_N6thrust23THRUST_200600_302600_NS6detail15normal_iteratorINS9_10device_ptrIiEEEENS9_16discard_iteratorINS9_11use_defaultEEEiNS9_4plusIvEEiEEDaPvRmT3_T4_T5_mT6_P12ihipStream_tbENKUlT_T0_E_clISt17integral_constantIbLb0EESW_IbLb1EEEEDaSS_ST_EUlSS_E0_NS1_11comp_targetILNS1_3genE3ELNS1_11target_archE908ELNS1_3gpuE7ELNS1_3repE0EEENS1_30default_config_static_selectorELNS0_4arch9wavefront6targetE1EEEvT1_
		.amdhsa_group_segment_fixed_size 0
		.amdhsa_private_segment_fixed_size 0
		.amdhsa_kernarg_size 40
		.amdhsa_user_sgpr_count 6
		.amdhsa_user_sgpr_private_segment_buffer 1
		.amdhsa_user_sgpr_dispatch_ptr 0
		.amdhsa_user_sgpr_queue_ptr 0
		.amdhsa_user_sgpr_kernarg_segment_ptr 1
		.amdhsa_user_sgpr_dispatch_id 0
		.amdhsa_user_sgpr_flat_scratch_init 0
		.amdhsa_user_sgpr_kernarg_preload_length 0
		.amdhsa_user_sgpr_kernarg_preload_offset 0
		.amdhsa_user_sgpr_private_segment_size 0
		.amdhsa_uses_dynamic_stack 0
		.amdhsa_system_sgpr_private_segment_wavefront_offset 0
		.amdhsa_system_sgpr_workgroup_id_x 1
		.amdhsa_system_sgpr_workgroup_id_y 0
		.amdhsa_system_sgpr_workgroup_id_z 0
		.amdhsa_system_sgpr_workgroup_info 0
		.amdhsa_system_vgpr_workitem_id 0
		.amdhsa_next_free_vgpr 1
		.amdhsa_next_free_sgpr 0
		.amdhsa_accum_offset 4
		.amdhsa_reserve_vcc 0
		.amdhsa_reserve_flat_scratch 0
		.amdhsa_float_round_mode_32 0
		.amdhsa_float_round_mode_16_64 0
		.amdhsa_float_denorm_mode_32 3
		.amdhsa_float_denorm_mode_16_64 3
		.amdhsa_dx10_clamp 1
		.amdhsa_ieee_mode 1
		.amdhsa_fp16_overflow 0
		.amdhsa_tg_split 0
		.amdhsa_exception_fp_ieee_invalid_op 0
		.amdhsa_exception_fp_denorm_src 0
		.amdhsa_exception_fp_ieee_div_zero 0
		.amdhsa_exception_fp_ieee_overflow 0
		.amdhsa_exception_fp_ieee_underflow 0
		.amdhsa_exception_fp_ieee_inexact 0
		.amdhsa_exception_int_div_zero 0
	.end_amdhsa_kernel
	.section	.text._ZN7rocprim17ROCPRIM_400000_NS6detail17trampoline_kernelINS0_14default_configENS1_20scan_config_selectorIiEEZZNS1_9scan_implILNS1_25lookback_scan_determinismE0ELb0ELb0ES3_N6thrust23THRUST_200600_302600_NS6detail15normal_iteratorINS9_10device_ptrIiEEEENS9_16discard_iteratorINS9_11use_defaultEEEiNS9_4plusIvEEiEEDaPvRmT3_T4_T5_mT6_P12ihipStream_tbENKUlT_T0_E_clISt17integral_constantIbLb0EESW_IbLb1EEEEDaSS_ST_EUlSS_E0_NS1_11comp_targetILNS1_3genE3ELNS1_11target_archE908ELNS1_3gpuE7ELNS1_3repE0EEENS1_30default_config_static_selectorELNS0_4arch9wavefront6targetE1EEEvT1_,"axG",@progbits,_ZN7rocprim17ROCPRIM_400000_NS6detail17trampoline_kernelINS0_14default_configENS1_20scan_config_selectorIiEEZZNS1_9scan_implILNS1_25lookback_scan_determinismE0ELb0ELb0ES3_N6thrust23THRUST_200600_302600_NS6detail15normal_iteratorINS9_10device_ptrIiEEEENS9_16discard_iteratorINS9_11use_defaultEEEiNS9_4plusIvEEiEEDaPvRmT3_T4_T5_mT6_P12ihipStream_tbENKUlT_T0_E_clISt17integral_constantIbLb0EESW_IbLb1EEEEDaSS_ST_EUlSS_E0_NS1_11comp_targetILNS1_3genE3ELNS1_11target_archE908ELNS1_3gpuE7ELNS1_3repE0EEENS1_30default_config_static_selectorELNS0_4arch9wavefront6targetE1EEEvT1_,comdat
.Lfunc_end5792:
	.size	_ZN7rocprim17ROCPRIM_400000_NS6detail17trampoline_kernelINS0_14default_configENS1_20scan_config_selectorIiEEZZNS1_9scan_implILNS1_25lookback_scan_determinismE0ELb0ELb0ES3_N6thrust23THRUST_200600_302600_NS6detail15normal_iteratorINS9_10device_ptrIiEEEENS9_16discard_iteratorINS9_11use_defaultEEEiNS9_4plusIvEEiEEDaPvRmT3_T4_T5_mT6_P12ihipStream_tbENKUlT_T0_E_clISt17integral_constantIbLb0EESW_IbLb1EEEEDaSS_ST_EUlSS_E0_NS1_11comp_targetILNS1_3genE3ELNS1_11target_archE908ELNS1_3gpuE7ELNS1_3repE0EEENS1_30default_config_static_selectorELNS0_4arch9wavefront6targetE1EEEvT1_, .Lfunc_end5792-_ZN7rocprim17ROCPRIM_400000_NS6detail17trampoline_kernelINS0_14default_configENS1_20scan_config_selectorIiEEZZNS1_9scan_implILNS1_25lookback_scan_determinismE0ELb0ELb0ES3_N6thrust23THRUST_200600_302600_NS6detail15normal_iteratorINS9_10device_ptrIiEEEENS9_16discard_iteratorINS9_11use_defaultEEEiNS9_4plusIvEEiEEDaPvRmT3_T4_T5_mT6_P12ihipStream_tbENKUlT_T0_E_clISt17integral_constantIbLb0EESW_IbLb1EEEEDaSS_ST_EUlSS_E0_NS1_11comp_targetILNS1_3genE3ELNS1_11target_archE908ELNS1_3gpuE7ELNS1_3repE0EEENS1_30default_config_static_selectorELNS0_4arch9wavefront6targetE1EEEvT1_
                                        ; -- End function
	.section	.AMDGPU.csdata,"",@progbits
; Kernel info:
; codeLenInByte = 0
; NumSgprs: 4
; NumVgprs: 0
; NumAgprs: 0
; TotalNumVgprs: 0
; ScratchSize: 0
; MemoryBound: 0
; FloatMode: 240
; IeeeMode: 1
; LDSByteSize: 0 bytes/workgroup (compile time only)
; SGPRBlocks: 0
; VGPRBlocks: 0
; NumSGPRsForWavesPerEU: 4
; NumVGPRsForWavesPerEU: 1
; AccumOffset: 4
; Occupancy: 8
; WaveLimiterHint : 0
; COMPUTE_PGM_RSRC2:SCRATCH_EN: 0
; COMPUTE_PGM_RSRC2:USER_SGPR: 6
; COMPUTE_PGM_RSRC2:TRAP_HANDLER: 0
; COMPUTE_PGM_RSRC2:TGID_X_EN: 1
; COMPUTE_PGM_RSRC2:TGID_Y_EN: 0
; COMPUTE_PGM_RSRC2:TGID_Z_EN: 0
; COMPUTE_PGM_RSRC2:TIDIG_COMP_CNT: 0
; COMPUTE_PGM_RSRC3_GFX90A:ACCUM_OFFSET: 0
; COMPUTE_PGM_RSRC3_GFX90A:TG_SPLIT: 0
	.section	.text._ZN7rocprim17ROCPRIM_400000_NS6detail17trampoline_kernelINS0_14default_configENS1_20scan_config_selectorIiEEZZNS1_9scan_implILNS1_25lookback_scan_determinismE0ELb0ELb0ES3_N6thrust23THRUST_200600_302600_NS6detail15normal_iteratorINS9_10device_ptrIiEEEENS9_16discard_iteratorINS9_11use_defaultEEEiNS9_4plusIvEEiEEDaPvRmT3_T4_T5_mT6_P12ihipStream_tbENKUlT_T0_E_clISt17integral_constantIbLb0EESW_IbLb1EEEEDaSS_ST_EUlSS_E0_NS1_11comp_targetILNS1_3genE2ELNS1_11target_archE906ELNS1_3gpuE6ELNS1_3repE0EEENS1_30default_config_static_selectorELNS0_4arch9wavefront6targetE1EEEvT1_,"axG",@progbits,_ZN7rocprim17ROCPRIM_400000_NS6detail17trampoline_kernelINS0_14default_configENS1_20scan_config_selectorIiEEZZNS1_9scan_implILNS1_25lookback_scan_determinismE0ELb0ELb0ES3_N6thrust23THRUST_200600_302600_NS6detail15normal_iteratorINS9_10device_ptrIiEEEENS9_16discard_iteratorINS9_11use_defaultEEEiNS9_4plusIvEEiEEDaPvRmT3_T4_T5_mT6_P12ihipStream_tbENKUlT_T0_E_clISt17integral_constantIbLb0EESW_IbLb1EEEEDaSS_ST_EUlSS_E0_NS1_11comp_targetILNS1_3genE2ELNS1_11target_archE906ELNS1_3gpuE6ELNS1_3repE0EEENS1_30default_config_static_selectorELNS0_4arch9wavefront6targetE1EEEvT1_,comdat
	.protected	_ZN7rocprim17ROCPRIM_400000_NS6detail17trampoline_kernelINS0_14default_configENS1_20scan_config_selectorIiEEZZNS1_9scan_implILNS1_25lookback_scan_determinismE0ELb0ELb0ES3_N6thrust23THRUST_200600_302600_NS6detail15normal_iteratorINS9_10device_ptrIiEEEENS9_16discard_iteratorINS9_11use_defaultEEEiNS9_4plusIvEEiEEDaPvRmT3_T4_T5_mT6_P12ihipStream_tbENKUlT_T0_E_clISt17integral_constantIbLb0EESW_IbLb1EEEEDaSS_ST_EUlSS_E0_NS1_11comp_targetILNS1_3genE2ELNS1_11target_archE906ELNS1_3gpuE6ELNS1_3repE0EEENS1_30default_config_static_selectorELNS0_4arch9wavefront6targetE1EEEvT1_ ; -- Begin function _ZN7rocprim17ROCPRIM_400000_NS6detail17trampoline_kernelINS0_14default_configENS1_20scan_config_selectorIiEEZZNS1_9scan_implILNS1_25lookback_scan_determinismE0ELb0ELb0ES3_N6thrust23THRUST_200600_302600_NS6detail15normal_iteratorINS9_10device_ptrIiEEEENS9_16discard_iteratorINS9_11use_defaultEEEiNS9_4plusIvEEiEEDaPvRmT3_T4_T5_mT6_P12ihipStream_tbENKUlT_T0_E_clISt17integral_constantIbLb0EESW_IbLb1EEEEDaSS_ST_EUlSS_E0_NS1_11comp_targetILNS1_3genE2ELNS1_11target_archE906ELNS1_3gpuE6ELNS1_3repE0EEENS1_30default_config_static_selectorELNS0_4arch9wavefront6targetE1EEEvT1_
	.globl	_ZN7rocprim17ROCPRIM_400000_NS6detail17trampoline_kernelINS0_14default_configENS1_20scan_config_selectorIiEEZZNS1_9scan_implILNS1_25lookback_scan_determinismE0ELb0ELb0ES3_N6thrust23THRUST_200600_302600_NS6detail15normal_iteratorINS9_10device_ptrIiEEEENS9_16discard_iteratorINS9_11use_defaultEEEiNS9_4plusIvEEiEEDaPvRmT3_T4_T5_mT6_P12ihipStream_tbENKUlT_T0_E_clISt17integral_constantIbLb0EESW_IbLb1EEEEDaSS_ST_EUlSS_E0_NS1_11comp_targetILNS1_3genE2ELNS1_11target_archE906ELNS1_3gpuE6ELNS1_3repE0EEENS1_30default_config_static_selectorELNS0_4arch9wavefront6targetE1EEEvT1_
	.p2align	8
	.type	_ZN7rocprim17ROCPRIM_400000_NS6detail17trampoline_kernelINS0_14default_configENS1_20scan_config_selectorIiEEZZNS1_9scan_implILNS1_25lookback_scan_determinismE0ELb0ELb0ES3_N6thrust23THRUST_200600_302600_NS6detail15normal_iteratorINS9_10device_ptrIiEEEENS9_16discard_iteratorINS9_11use_defaultEEEiNS9_4plusIvEEiEEDaPvRmT3_T4_T5_mT6_P12ihipStream_tbENKUlT_T0_E_clISt17integral_constantIbLb0EESW_IbLb1EEEEDaSS_ST_EUlSS_E0_NS1_11comp_targetILNS1_3genE2ELNS1_11target_archE906ELNS1_3gpuE6ELNS1_3repE0EEENS1_30default_config_static_selectorELNS0_4arch9wavefront6targetE1EEEvT1_,@function
_ZN7rocprim17ROCPRIM_400000_NS6detail17trampoline_kernelINS0_14default_configENS1_20scan_config_selectorIiEEZZNS1_9scan_implILNS1_25lookback_scan_determinismE0ELb0ELb0ES3_N6thrust23THRUST_200600_302600_NS6detail15normal_iteratorINS9_10device_ptrIiEEEENS9_16discard_iteratorINS9_11use_defaultEEEiNS9_4plusIvEEiEEDaPvRmT3_T4_T5_mT6_P12ihipStream_tbENKUlT_T0_E_clISt17integral_constantIbLb0EESW_IbLb1EEEEDaSS_ST_EUlSS_E0_NS1_11comp_targetILNS1_3genE2ELNS1_11target_archE906ELNS1_3gpuE6ELNS1_3repE0EEENS1_30default_config_static_selectorELNS0_4arch9wavefront6targetE1EEEvT1_: ; @_ZN7rocprim17ROCPRIM_400000_NS6detail17trampoline_kernelINS0_14default_configENS1_20scan_config_selectorIiEEZZNS1_9scan_implILNS1_25lookback_scan_determinismE0ELb0ELb0ES3_N6thrust23THRUST_200600_302600_NS6detail15normal_iteratorINS9_10device_ptrIiEEEENS9_16discard_iteratorINS9_11use_defaultEEEiNS9_4plusIvEEiEEDaPvRmT3_T4_T5_mT6_P12ihipStream_tbENKUlT_T0_E_clISt17integral_constantIbLb0EESW_IbLb1EEEEDaSS_ST_EUlSS_E0_NS1_11comp_targetILNS1_3genE2ELNS1_11target_archE906ELNS1_3gpuE6ELNS1_3repE0EEENS1_30default_config_static_selectorELNS0_4arch9wavefront6targetE1EEEvT1_
; %bb.0:
	.section	.rodata,"a",@progbits
	.p2align	6, 0x0
	.amdhsa_kernel _ZN7rocprim17ROCPRIM_400000_NS6detail17trampoline_kernelINS0_14default_configENS1_20scan_config_selectorIiEEZZNS1_9scan_implILNS1_25lookback_scan_determinismE0ELb0ELb0ES3_N6thrust23THRUST_200600_302600_NS6detail15normal_iteratorINS9_10device_ptrIiEEEENS9_16discard_iteratorINS9_11use_defaultEEEiNS9_4plusIvEEiEEDaPvRmT3_T4_T5_mT6_P12ihipStream_tbENKUlT_T0_E_clISt17integral_constantIbLb0EESW_IbLb1EEEEDaSS_ST_EUlSS_E0_NS1_11comp_targetILNS1_3genE2ELNS1_11target_archE906ELNS1_3gpuE6ELNS1_3repE0EEENS1_30default_config_static_selectorELNS0_4arch9wavefront6targetE1EEEvT1_
		.amdhsa_group_segment_fixed_size 0
		.amdhsa_private_segment_fixed_size 0
		.amdhsa_kernarg_size 40
		.amdhsa_user_sgpr_count 6
		.amdhsa_user_sgpr_private_segment_buffer 1
		.amdhsa_user_sgpr_dispatch_ptr 0
		.amdhsa_user_sgpr_queue_ptr 0
		.amdhsa_user_sgpr_kernarg_segment_ptr 1
		.amdhsa_user_sgpr_dispatch_id 0
		.amdhsa_user_sgpr_flat_scratch_init 0
		.amdhsa_user_sgpr_kernarg_preload_length 0
		.amdhsa_user_sgpr_kernarg_preload_offset 0
		.amdhsa_user_sgpr_private_segment_size 0
		.amdhsa_uses_dynamic_stack 0
		.amdhsa_system_sgpr_private_segment_wavefront_offset 0
		.amdhsa_system_sgpr_workgroup_id_x 1
		.amdhsa_system_sgpr_workgroup_id_y 0
		.amdhsa_system_sgpr_workgroup_id_z 0
		.amdhsa_system_sgpr_workgroup_info 0
		.amdhsa_system_vgpr_workitem_id 0
		.amdhsa_next_free_vgpr 1
		.amdhsa_next_free_sgpr 0
		.amdhsa_accum_offset 4
		.amdhsa_reserve_vcc 0
		.amdhsa_reserve_flat_scratch 0
		.amdhsa_float_round_mode_32 0
		.amdhsa_float_round_mode_16_64 0
		.amdhsa_float_denorm_mode_32 3
		.amdhsa_float_denorm_mode_16_64 3
		.amdhsa_dx10_clamp 1
		.amdhsa_ieee_mode 1
		.amdhsa_fp16_overflow 0
		.amdhsa_tg_split 0
		.amdhsa_exception_fp_ieee_invalid_op 0
		.amdhsa_exception_fp_denorm_src 0
		.amdhsa_exception_fp_ieee_div_zero 0
		.amdhsa_exception_fp_ieee_overflow 0
		.amdhsa_exception_fp_ieee_underflow 0
		.amdhsa_exception_fp_ieee_inexact 0
		.amdhsa_exception_int_div_zero 0
	.end_amdhsa_kernel
	.section	.text._ZN7rocprim17ROCPRIM_400000_NS6detail17trampoline_kernelINS0_14default_configENS1_20scan_config_selectorIiEEZZNS1_9scan_implILNS1_25lookback_scan_determinismE0ELb0ELb0ES3_N6thrust23THRUST_200600_302600_NS6detail15normal_iteratorINS9_10device_ptrIiEEEENS9_16discard_iteratorINS9_11use_defaultEEEiNS9_4plusIvEEiEEDaPvRmT3_T4_T5_mT6_P12ihipStream_tbENKUlT_T0_E_clISt17integral_constantIbLb0EESW_IbLb1EEEEDaSS_ST_EUlSS_E0_NS1_11comp_targetILNS1_3genE2ELNS1_11target_archE906ELNS1_3gpuE6ELNS1_3repE0EEENS1_30default_config_static_selectorELNS0_4arch9wavefront6targetE1EEEvT1_,"axG",@progbits,_ZN7rocprim17ROCPRIM_400000_NS6detail17trampoline_kernelINS0_14default_configENS1_20scan_config_selectorIiEEZZNS1_9scan_implILNS1_25lookback_scan_determinismE0ELb0ELb0ES3_N6thrust23THRUST_200600_302600_NS6detail15normal_iteratorINS9_10device_ptrIiEEEENS9_16discard_iteratorINS9_11use_defaultEEEiNS9_4plusIvEEiEEDaPvRmT3_T4_T5_mT6_P12ihipStream_tbENKUlT_T0_E_clISt17integral_constantIbLb0EESW_IbLb1EEEEDaSS_ST_EUlSS_E0_NS1_11comp_targetILNS1_3genE2ELNS1_11target_archE906ELNS1_3gpuE6ELNS1_3repE0EEENS1_30default_config_static_selectorELNS0_4arch9wavefront6targetE1EEEvT1_,comdat
.Lfunc_end5793:
	.size	_ZN7rocprim17ROCPRIM_400000_NS6detail17trampoline_kernelINS0_14default_configENS1_20scan_config_selectorIiEEZZNS1_9scan_implILNS1_25lookback_scan_determinismE0ELb0ELb0ES3_N6thrust23THRUST_200600_302600_NS6detail15normal_iteratorINS9_10device_ptrIiEEEENS9_16discard_iteratorINS9_11use_defaultEEEiNS9_4plusIvEEiEEDaPvRmT3_T4_T5_mT6_P12ihipStream_tbENKUlT_T0_E_clISt17integral_constantIbLb0EESW_IbLb1EEEEDaSS_ST_EUlSS_E0_NS1_11comp_targetILNS1_3genE2ELNS1_11target_archE906ELNS1_3gpuE6ELNS1_3repE0EEENS1_30default_config_static_selectorELNS0_4arch9wavefront6targetE1EEEvT1_, .Lfunc_end5793-_ZN7rocprim17ROCPRIM_400000_NS6detail17trampoline_kernelINS0_14default_configENS1_20scan_config_selectorIiEEZZNS1_9scan_implILNS1_25lookback_scan_determinismE0ELb0ELb0ES3_N6thrust23THRUST_200600_302600_NS6detail15normal_iteratorINS9_10device_ptrIiEEEENS9_16discard_iteratorINS9_11use_defaultEEEiNS9_4plusIvEEiEEDaPvRmT3_T4_T5_mT6_P12ihipStream_tbENKUlT_T0_E_clISt17integral_constantIbLb0EESW_IbLb1EEEEDaSS_ST_EUlSS_E0_NS1_11comp_targetILNS1_3genE2ELNS1_11target_archE906ELNS1_3gpuE6ELNS1_3repE0EEENS1_30default_config_static_selectorELNS0_4arch9wavefront6targetE1EEEvT1_
                                        ; -- End function
	.section	.AMDGPU.csdata,"",@progbits
; Kernel info:
; codeLenInByte = 0
; NumSgprs: 4
; NumVgprs: 0
; NumAgprs: 0
; TotalNumVgprs: 0
; ScratchSize: 0
; MemoryBound: 0
; FloatMode: 240
; IeeeMode: 1
; LDSByteSize: 0 bytes/workgroup (compile time only)
; SGPRBlocks: 0
; VGPRBlocks: 0
; NumSGPRsForWavesPerEU: 4
; NumVGPRsForWavesPerEU: 1
; AccumOffset: 4
; Occupancy: 8
; WaveLimiterHint : 0
; COMPUTE_PGM_RSRC2:SCRATCH_EN: 0
; COMPUTE_PGM_RSRC2:USER_SGPR: 6
; COMPUTE_PGM_RSRC2:TRAP_HANDLER: 0
; COMPUTE_PGM_RSRC2:TGID_X_EN: 1
; COMPUTE_PGM_RSRC2:TGID_Y_EN: 0
; COMPUTE_PGM_RSRC2:TGID_Z_EN: 0
; COMPUTE_PGM_RSRC2:TIDIG_COMP_CNT: 0
; COMPUTE_PGM_RSRC3_GFX90A:ACCUM_OFFSET: 0
; COMPUTE_PGM_RSRC3_GFX90A:TG_SPLIT: 0
	.section	.text._ZN7rocprim17ROCPRIM_400000_NS6detail17trampoline_kernelINS0_14default_configENS1_20scan_config_selectorIiEEZZNS1_9scan_implILNS1_25lookback_scan_determinismE0ELb0ELb0ES3_N6thrust23THRUST_200600_302600_NS6detail15normal_iteratorINS9_10device_ptrIiEEEENS9_16discard_iteratorINS9_11use_defaultEEEiNS9_4plusIvEEiEEDaPvRmT3_T4_T5_mT6_P12ihipStream_tbENKUlT_T0_E_clISt17integral_constantIbLb0EESW_IbLb1EEEEDaSS_ST_EUlSS_E0_NS1_11comp_targetILNS1_3genE10ELNS1_11target_archE1201ELNS1_3gpuE5ELNS1_3repE0EEENS1_30default_config_static_selectorELNS0_4arch9wavefront6targetE1EEEvT1_,"axG",@progbits,_ZN7rocprim17ROCPRIM_400000_NS6detail17trampoline_kernelINS0_14default_configENS1_20scan_config_selectorIiEEZZNS1_9scan_implILNS1_25lookback_scan_determinismE0ELb0ELb0ES3_N6thrust23THRUST_200600_302600_NS6detail15normal_iteratorINS9_10device_ptrIiEEEENS9_16discard_iteratorINS9_11use_defaultEEEiNS9_4plusIvEEiEEDaPvRmT3_T4_T5_mT6_P12ihipStream_tbENKUlT_T0_E_clISt17integral_constantIbLb0EESW_IbLb1EEEEDaSS_ST_EUlSS_E0_NS1_11comp_targetILNS1_3genE10ELNS1_11target_archE1201ELNS1_3gpuE5ELNS1_3repE0EEENS1_30default_config_static_selectorELNS0_4arch9wavefront6targetE1EEEvT1_,comdat
	.protected	_ZN7rocprim17ROCPRIM_400000_NS6detail17trampoline_kernelINS0_14default_configENS1_20scan_config_selectorIiEEZZNS1_9scan_implILNS1_25lookback_scan_determinismE0ELb0ELb0ES3_N6thrust23THRUST_200600_302600_NS6detail15normal_iteratorINS9_10device_ptrIiEEEENS9_16discard_iteratorINS9_11use_defaultEEEiNS9_4plusIvEEiEEDaPvRmT3_T4_T5_mT6_P12ihipStream_tbENKUlT_T0_E_clISt17integral_constantIbLb0EESW_IbLb1EEEEDaSS_ST_EUlSS_E0_NS1_11comp_targetILNS1_3genE10ELNS1_11target_archE1201ELNS1_3gpuE5ELNS1_3repE0EEENS1_30default_config_static_selectorELNS0_4arch9wavefront6targetE1EEEvT1_ ; -- Begin function _ZN7rocprim17ROCPRIM_400000_NS6detail17trampoline_kernelINS0_14default_configENS1_20scan_config_selectorIiEEZZNS1_9scan_implILNS1_25lookback_scan_determinismE0ELb0ELb0ES3_N6thrust23THRUST_200600_302600_NS6detail15normal_iteratorINS9_10device_ptrIiEEEENS9_16discard_iteratorINS9_11use_defaultEEEiNS9_4plusIvEEiEEDaPvRmT3_T4_T5_mT6_P12ihipStream_tbENKUlT_T0_E_clISt17integral_constantIbLb0EESW_IbLb1EEEEDaSS_ST_EUlSS_E0_NS1_11comp_targetILNS1_3genE10ELNS1_11target_archE1201ELNS1_3gpuE5ELNS1_3repE0EEENS1_30default_config_static_selectorELNS0_4arch9wavefront6targetE1EEEvT1_
	.globl	_ZN7rocprim17ROCPRIM_400000_NS6detail17trampoline_kernelINS0_14default_configENS1_20scan_config_selectorIiEEZZNS1_9scan_implILNS1_25lookback_scan_determinismE0ELb0ELb0ES3_N6thrust23THRUST_200600_302600_NS6detail15normal_iteratorINS9_10device_ptrIiEEEENS9_16discard_iteratorINS9_11use_defaultEEEiNS9_4plusIvEEiEEDaPvRmT3_T4_T5_mT6_P12ihipStream_tbENKUlT_T0_E_clISt17integral_constantIbLb0EESW_IbLb1EEEEDaSS_ST_EUlSS_E0_NS1_11comp_targetILNS1_3genE10ELNS1_11target_archE1201ELNS1_3gpuE5ELNS1_3repE0EEENS1_30default_config_static_selectorELNS0_4arch9wavefront6targetE1EEEvT1_
	.p2align	8
	.type	_ZN7rocprim17ROCPRIM_400000_NS6detail17trampoline_kernelINS0_14default_configENS1_20scan_config_selectorIiEEZZNS1_9scan_implILNS1_25lookback_scan_determinismE0ELb0ELb0ES3_N6thrust23THRUST_200600_302600_NS6detail15normal_iteratorINS9_10device_ptrIiEEEENS9_16discard_iteratorINS9_11use_defaultEEEiNS9_4plusIvEEiEEDaPvRmT3_T4_T5_mT6_P12ihipStream_tbENKUlT_T0_E_clISt17integral_constantIbLb0EESW_IbLb1EEEEDaSS_ST_EUlSS_E0_NS1_11comp_targetILNS1_3genE10ELNS1_11target_archE1201ELNS1_3gpuE5ELNS1_3repE0EEENS1_30default_config_static_selectorELNS0_4arch9wavefront6targetE1EEEvT1_,@function
_ZN7rocprim17ROCPRIM_400000_NS6detail17trampoline_kernelINS0_14default_configENS1_20scan_config_selectorIiEEZZNS1_9scan_implILNS1_25lookback_scan_determinismE0ELb0ELb0ES3_N6thrust23THRUST_200600_302600_NS6detail15normal_iteratorINS9_10device_ptrIiEEEENS9_16discard_iteratorINS9_11use_defaultEEEiNS9_4plusIvEEiEEDaPvRmT3_T4_T5_mT6_P12ihipStream_tbENKUlT_T0_E_clISt17integral_constantIbLb0EESW_IbLb1EEEEDaSS_ST_EUlSS_E0_NS1_11comp_targetILNS1_3genE10ELNS1_11target_archE1201ELNS1_3gpuE5ELNS1_3repE0EEENS1_30default_config_static_selectorELNS0_4arch9wavefront6targetE1EEEvT1_: ; @_ZN7rocprim17ROCPRIM_400000_NS6detail17trampoline_kernelINS0_14default_configENS1_20scan_config_selectorIiEEZZNS1_9scan_implILNS1_25lookback_scan_determinismE0ELb0ELb0ES3_N6thrust23THRUST_200600_302600_NS6detail15normal_iteratorINS9_10device_ptrIiEEEENS9_16discard_iteratorINS9_11use_defaultEEEiNS9_4plusIvEEiEEDaPvRmT3_T4_T5_mT6_P12ihipStream_tbENKUlT_T0_E_clISt17integral_constantIbLb0EESW_IbLb1EEEEDaSS_ST_EUlSS_E0_NS1_11comp_targetILNS1_3genE10ELNS1_11target_archE1201ELNS1_3gpuE5ELNS1_3repE0EEENS1_30default_config_static_selectorELNS0_4arch9wavefront6targetE1EEEvT1_
; %bb.0:
	.section	.rodata,"a",@progbits
	.p2align	6, 0x0
	.amdhsa_kernel _ZN7rocprim17ROCPRIM_400000_NS6detail17trampoline_kernelINS0_14default_configENS1_20scan_config_selectorIiEEZZNS1_9scan_implILNS1_25lookback_scan_determinismE0ELb0ELb0ES3_N6thrust23THRUST_200600_302600_NS6detail15normal_iteratorINS9_10device_ptrIiEEEENS9_16discard_iteratorINS9_11use_defaultEEEiNS9_4plusIvEEiEEDaPvRmT3_T4_T5_mT6_P12ihipStream_tbENKUlT_T0_E_clISt17integral_constantIbLb0EESW_IbLb1EEEEDaSS_ST_EUlSS_E0_NS1_11comp_targetILNS1_3genE10ELNS1_11target_archE1201ELNS1_3gpuE5ELNS1_3repE0EEENS1_30default_config_static_selectorELNS0_4arch9wavefront6targetE1EEEvT1_
		.amdhsa_group_segment_fixed_size 0
		.amdhsa_private_segment_fixed_size 0
		.amdhsa_kernarg_size 40
		.amdhsa_user_sgpr_count 6
		.amdhsa_user_sgpr_private_segment_buffer 1
		.amdhsa_user_sgpr_dispatch_ptr 0
		.amdhsa_user_sgpr_queue_ptr 0
		.amdhsa_user_sgpr_kernarg_segment_ptr 1
		.amdhsa_user_sgpr_dispatch_id 0
		.amdhsa_user_sgpr_flat_scratch_init 0
		.amdhsa_user_sgpr_kernarg_preload_length 0
		.amdhsa_user_sgpr_kernarg_preload_offset 0
		.amdhsa_user_sgpr_private_segment_size 0
		.amdhsa_uses_dynamic_stack 0
		.amdhsa_system_sgpr_private_segment_wavefront_offset 0
		.amdhsa_system_sgpr_workgroup_id_x 1
		.amdhsa_system_sgpr_workgroup_id_y 0
		.amdhsa_system_sgpr_workgroup_id_z 0
		.amdhsa_system_sgpr_workgroup_info 0
		.amdhsa_system_vgpr_workitem_id 0
		.amdhsa_next_free_vgpr 1
		.amdhsa_next_free_sgpr 0
		.amdhsa_accum_offset 4
		.amdhsa_reserve_vcc 0
		.amdhsa_reserve_flat_scratch 0
		.amdhsa_float_round_mode_32 0
		.amdhsa_float_round_mode_16_64 0
		.amdhsa_float_denorm_mode_32 3
		.amdhsa_float_denorm_mode_16_64 3
		.amdhsa_dx10_clamp 1
		.amdhsa_ieee_mode 1
		.amdhsa_fp16_overflow 0
		.amdhsa_tg_split 0
		.amdhsa_exception_fp_ieee_invalid_op 0
		.amdhsa_exception_fp_denorm_src 0
		.amdhsa_exception_fp_ieee_div_zero 0
		.amdhsa_exception_fp_ieee_overflow 0
		.amdhsa_exception_fp_ieee_underflow 0
		.amdhsa_exception_fp_ieee_inexact 0
		.amdhsa_exception_int_div_zero 0
	.end_amdhsa_kernel
	.section	.text._ZN7rocprim17ROCPRIM_400000_NS6detail17trampoline_kernelINS0_14default_configENS1_20scan_config_selectorIiEEZZNS1_9scan_implILNS1_25lookback_scan_determinismE0ELb0ELb0ES3_N6thrust23THRUST_200600_302600_NS6detail15normal_iteratorINS9_10device_ptrIiEEEENS9_16discard_iteratorINS9_11use_defaultEEEiNS9_4plusIvEEiEEDaPvRmT3_T4_T5_mT6_P12ihipStream_tbENKUlT_T0_E_clISt17integral_constantIbLb0EESW_IbLb1EEEEDaSS_ST_EUlSS_E0_NS1_11comp_targetILNS1_3genE10ELNS1_11target_archE1201ELNS1_3gpuE5ELNS1_3repE0EEENS1_30default_config_static_selectorELNS0_4arch9wavefront6targetE1EEEvT1_,"axG",@progbits,_ZN7rocprim17ROCPRIM_400000_NS6detail17trampoline_kernelINS0_14default_configENS1_20scan_config_selectorIiEEZZNS1_9scan_implILNS1_25lookback_scan_determinismE0ELb0ELb0ES3_N6thrust23THRUST_200600_302600_NS6detail15normal_iteratorINS9_10device_ptrIiEEEENS9_16discard_iteratorINS9_11use_defaultEEEiNS9_4plusIvEEiEEDaPvRmT3_T4_T5_mT6_P12ihipStream_tbENKUlT_T0_E_clISt17integral_constantIbLb0EESW_IbLb1EEEEDaSS_ST_EUlSS_E0_NS1_11comp_targetILNS1_3genE10ELNS1_11target_archE1201ELNS1_3gpuE5ELNS1_3repE0EEENS1_30default_config_static_selectorELNS0_4arch9wavefront6targetE1EEEvT1_,comdat
.Lfunc_end5794:
	.size	_ZN7rocprim17ROCPRIM_400000_NS6detail17trampoline_kernelINS0_14default_configENS1_20scan_config_selectorIiEEZZNS1_9scan_implILNS1_25lookback_scan_determinismE0ELb0ELb0ES3_N6thrust23THRUST_200600_302600_NS6detail15normal_iteratorINS9_10device_ptrIiEEEENS9_16discard_iteratorINS9_11use_defaultEEEiNS9_4plusIvEEiEEDaPvRmT3_T4_T5_mT6_P12ihipStream_tbENKUlT_T0_E_clISt17integral_constantIbLb0EESW_IbLb1EEEEDaSS_ST_EUlSS_E0_NS1_11comp_targetILNS1_3genE10ELNS1_11target_archE1201ELNS1_3gpuE5ELNS1_3repE0EEENS1_30default_config_static_selectorELNS0_4arch9wavefront6targetE1EEEvT1_, .Lfunc_end5794-_ZN7rocprim17ROCPRIM_400000_NS6detail17trampoline_kernelINS0_14default_configENS1_20scan_config_selectorIiEEZZNS1_9scan_implILNS1_25lookback_scan_determinismE0ELb0ELb0ES3_N6thrust23THRUST_200600_302600_NS6detail15normal_iteratorINS9_10device_ptrIiEEEENS9_16discard_iteratorINS9_11use_defaultEEEiNS9_4plusIvEEiEEDaPvRmT3_T4_T5_mT6_P12ihipStream_tbENKUlT_T0_E_clISt17integral_constantIbLb0EESW_IbLb1EEEEDaSS_ST_EUlSS_E0_NS1_11comp_targetILNS1_3genE10ELNS1_11target_archE1201ELNS1_3gpuE5ELNS1_3repE0EEENS1_30default_config_static_selectorELNS0_4arch9wavefront6targetE1EEEvT1_
                                        ; -- End function
	.section	.AMDGPU.csdata,"",@progbits
; Kernel info:
; codeLenInByte = 0
; NumSgprs: 4
; NumVgprs: 0
; NumAgprs: 0
; TotalNumVgprs: 0
; ScratchSize: 0
; MemoryBound: 0
; FloatMode: 240
; IeeeMode: 1
; LDSByteSize: 0 bytes/workgroup (compile time only)
; SGPRBlocks: 0
; VGPRBlocks: 0
; NumSGPRsForWavesPerEU: 4
; NumVGPRsForWavesPerEU: 1
; AccumOffset: 4
; Occupancy: 8
; WaveLimiterHint : 0
; COMPUTE_PGM_RSRC2:SCRATCH_EN: 0
; COMPUTE_PGM_RSRC2:USER_SGPR: 6
; COMPUTE_PGM_RSRC2:TRAP_HANDLER: 0
; COMPUTE_PGM_RSRC2:TGID_X_EN: 1
; COMPUTE_PGM_RSRC2:TGID_Y_EN: 0
; COMPUTE_PGM_RSRC2:TGID_Z_EN: 0
; COMPUTE_PGM_RSRC2:TIDIG_COMP_CNT: 0
; COMPUTE_PGM_RSRC3_GFX90A:ACCUM_OFFSET: 0
; COMPUTE_PGM_RSRC3_GFX90A:TG_SPLIT: 0
	.section	.text._ZN7rocprim17ROCPRIM_400000_NS6detail17trampoline_kernelINS0_14default_configENS1_20scan_config_selectorIiEEZZNS1_9scan_implILNS1_25lookback_scan_determinismE0ELb0ELb0ES3_N6thrust23THRUST_200600_302600_NS6detail15normal_iteratorINS9_10device_ptrIiEEEENS9_16discard_iteratorINS9_11use_defaultEEEiNS9_4plusIvEEiEEDaPvRmT3_T4_T5_mT6_P12ihipStream_tbENKUlT_T0_E_clISt17integral_constantIbLb0EESW_IbLb1EEEEDaSS_ST_EUlSS_E0_NS1_11comp_targetILNS1_3genE10ELNS1_11target_archE1200ELNS1_3gpuE4ELNS1_3repE0EEENS1_30default_config_static_selectorELNS0_4arch9wavefront6targetE1EEEvT1_,"axG",@progbits,_ZN7rocprim17ROCPRIM_400000_NS6detail17trampoline_kernelINS0_14default_configENS1_20scan_config_selectorIiEEZZNS1_9scan_implILNS1_25lookback_scan_determinismE0ELb0ELb0ES3_N6thrust23THRUST_200600_302600_NS6detail15normal_iteratorINS9_10device_ptrIiEEEENS9_16discard_iteratorINS9_11use_defaultEEEiNS9_4plusIvEEiEEDaPvRmT3_T4_T5_mT6_P12ihipStream_tbENKUlT_T0_E_clISt17integral_constantIbLb0EESW_IbLb1EEEEDaSS_ST_EUlSS_E0_NS1_11comp_targetILNS1_3genE10ELNS1_11target_archE1200ELNS1_3gpuE4ELNS1_3repE0EEENS1_30default_config_static_selectorELNS0_4arch9wavefront6targetE1EEEvT1_,comdat
	.protected	_ZN7rocprim17ROCPRIM_400000_NS6detail17trampoline_kernelINS0_14default_configENS1_20scan_config_selectorIiEEZZNS1_9scan_implILNS1_25lookback_scan_determinismE0ELb0ELb0ES3_N6thrust23THRUST_200600_302600_NS6detail15normal_iteratorINS9_10device_ptrIiEEEENS9_16discard_iteratorINS9_11use_defaultEEEiNS9_4plusIvEEiEEDaPvRmT3_T4_T5_mT6_P12ihipStream_tbENKUlT_T0_E_clISt17integral_constantIbLb0EESW_IbLb1EEEEDaSS_ST_EUlSS_E0_NS1_11comp_targetILNS1_3genE10ELNS1_11target_archE1200ELNS1_3gpuE4ELNS1_3repE0EEENS1_30default_config_static_selectorELNS0_4arch9wavefront6targetE1EEEvT1_ ; -- Begin function _ZN7rocprim17ROCPRIM_400000_NS6detail17trampoline_kernelINS0_14default_configENS1_20scan_config_selectorIiEEZZNS1_9scan_implILNS1_25lookback_scan_determinismE0ELb0ELb0ES3_N6thrust23THRUST_200600_302600_NS6detail15normal_iteratorINS9_10device_ptrIiEEEENS9_16discard_iteratorINS9_11use_defaultEEEiNS9_4plusIvEEiEEDaPvRmT3_T4_T5_mT6_P12ihipStream_tbENKUlT_T0_E_clISt17integral_constantIbLb0EESW_IbLb1EEEEDaSS_ST_EUlSS_E0_NS1_11comp_targetILNS1_3genE10ELNS1_11target_archE1200ELNS1_3gpuE4ELNS1_3repE0EEENS1_30default_config_static_selectorELNS0_4arch9wavefront6targetE1EEEvT1_
	.globl	_ZN7rocprim17ROCPRIM_400000_NS6detail17trampoline_kernelINS0_14default_configENS1_20scan_config_selectorIiEEZZNS1_9scan_implILNS1_25lookback_scan_determinismE0ELb0ELb0ES3_N6thrust23THRUST_200600_302600_NS6detail15normal_iteratorINS9_10device_ptrIiEEEENS9_16discard_iteratorINS9_11use_defaultEEEiNS9_4plusIvEEiEEDaPvRmT3_T4_T5_mT6_P12ihipStream_tbENKUlT_T0_E_clISt17integral_constantIbLb0EESW_IbLb1EEEEDaSS_ST_EUlSS_E0_NS1_11comp_targetILNS1_3genE10ELNS1_11target_archE1200ELNS1_3gpuE4ELNS1_3repE0EEENS1_30default_config_static_selectorELNS0_4arch9wavefront6targetE1EEEvT1_
	.p2align	8
	.type	_ZN7rocprim17ROCPRIM_400000_NS6detail17trampoline_kernelINS0_14default_configENS1_20scan_config_selectorIiEEZZNS1_9scan_implILNS1_25lookback_scan_determinismE0ELb0ELb0ES3_N6thrust23THRUST_200600_302600_NS6detail15normal_iteratorINS9_10device_ptrIiEEEENS9_16discard_iteratorINS9_11use_defaultEEEiNS9_4plusIvEEiEEDaPvRmT3_T4_T5_mT6_P12ihipStream_tbENKUlT_T0_E_clISt17integral_constantIbLb0EESW_IbLb1EEEEDaSS_ST_EUlSS_E0_NS1_11comp_targetILNS1_3genE10ELNS1_11target_archE1200ELNS1_3gpuE4ELNS1_3repE0EEENS1_30default_config_static_selectorELNS0_4arch9wavefront6targetE1EEEvT1_,@function
_ZN7rocprim17ROCPRIM_400000_NS6detail17trampoline_kernelINS0_14default_configENS1_20scan_config_selectorIiEEZZNS1_9scan_implILNS1_25lookback_scan_determinismE0ELb0ELb0ES3_N6thrust23THRUST_200600_302600_NS6detail15normal_iteratorINS9_10device_ptrIiEEEENS9_16discard_iteratorINS9_11use_defaultEEEiNS9_4plusIvEEiEEDaPvRmT3_T4_T5_mT6_P12ihipStream_tbENKUlT_T0_E_clISt17integral_constantIbLb0EESW_IbLb1EEEEDaSS_ST_EUlSS_E0_NS1_11comp_targetILNS1_3genE10ELNS1_11target_archE1200ELNS1_3gpuE4ELNS1_3repE0EEENS1_30default_config_static_selectorELNS0_4arch9wavefront6targetE1EEEvT1_: ; @_ZN7rocprim17ROCPRIM_400000_NS6detail17trampoline_kernelINS0_14default_configENS1_20scan_config_selectorIiEEZZNS1_9scan_implILNS1_25lookback_scan_determinismE0ELb0ELb0ES3_N6thrust23THRUST_200600_302600_NS6detail15normal_iteratorINS9_10device_ptrIiEEEENS9_16discard_iteratorINS9_11use_defaultEEEiNS9_4plusIvEEiEEDaPvRmT3_T4_T5_mT6_P12ihipStream_tbENKUlT_T0_E_clISt17integral_constantIbLb0EESW_IbLb1EEEEDaSS_ST_EUlSS_E0_NS1_11comp_targetILNS1_3genE10ELNS1_11target_archE1200ELNS1_3gpuE4ELNS1_3repE0EEENS1_30default_config_static_selectorELNS0_4arch9wavefront6targetE1EEEvT1_
; %bb.0:
	.section	.rodata,"a",@progbits
	.p2align	6, 0x0
	.amdhsa_kernel _ZN7rocprim17ROCPRIM_400000_NS6detail17trampoline_kernelINS0_14default_configENS1_20scan_config_selectorIiEEZZNS1_9scan_implILNS1_25lookback_scan_determinismE0ELb0ELb0ES3_N6thrust23THRUST_200600_302600_NS6detail15normal_iteratorINS9_10device_ptrIiEEEENS9_16discard_iteratorINS9_11use_defaultEEEiNS9_4plusIvEEiEEDaPvRmT3_T4_T5_mT6_P12ihipStream_tbENKUlT_T0_E_clISt17integral_constantIbLb0EESW_IbLb1EEEEDaSS_ST_EUlSS_E0_NS1_11comp_targetILNS1_3genE10ELNS1_11target_archE1200ELNS1_3gpuE4ELNS1_3repE0EEENS1_30default_config_static_selectorELNS0_4arch9wavefront6targetE1EEEvT1_
		.amdhsa_group_segment_fixed_size 0
		.amdhsa_private_segment_fixed_size 0
		.amdhsa_kernarg_size 40
		.amdhsa_user_sgpr_count 6
		.amdhsa_user_sgpr_private_segment_buffer 1
		.amdhsa_user_sgpr_dispatch_ptr 0
		.amdhsa_user_sgpr_queue_ptr 0
		.amdhsa_user_sgpr_kernarg_segment_ptr 1
		.amdhsa_user_sgpr_dispatch_id 0
		.amdhsa_user_sgpr_flat_scratch_init 0
		.amdhsa_user_sgpr_kernarg_preload_length 0
		.amdhsa_user_sgpr_kernarg_preload_offset 0
		.amdhsa_user_sgpr_private_segment_size 0
		.amdhsa_uses_dynamic_stack 0
		.amdhsa_system_sgpr_private_segment_wavefront_offset 0
		.amdhsa_system_sgpr_workgroup_id_x 1
		.amdhsa_system_sgpr_workgroup_id_y 0
		.amdhsa_system_sgpr_workgroup_id_z 0
		.amdhsa_system_sgpr_workgroup_info 0
		.amdhsa_system_vgpr_workitem_id 0
		.amdhsa_next_free_vgpr 1
		.amdhsa_next_free_sgpr 0
		.amdhsa_accum_offset 4
		.amdhsa_reserve_vcc 0
		.amdhsa_reserve_flat_scratch 0
		.amdhsa_float_round_mode_32 0
		.amdhsa_float_round_mode_16_64 0
		.amdhsa_float_denorm_mode_32 3
		.amdhsa_float_denorm_mode_16_64 3
		.amdhsa_dx10_clamp 1
		.amdhsa_ieee_mode 1
		.amdhsa_fp16_overflow 0
		.amdhsa_tg_split 0
		.amdhsa_exception_fp_ieee_invalid_op 0
		.amdhsa_exception_fp_denorm_src 0
		.amdhsa_exception_fp_ieee_div_zero 0
		.amdhsa_exception_fp_ieee_overflow 0
		.amdhsa_exception_fp_ieee_underflow 0
		.amdhsa_exception_fp_ieee_inexact 0
		.amdhsa_exception_int_div_zero 0
	.end_amdhsa_kernel
	.section	.text._ZN7rocprim17ROCPRIM_400000_NS6detail17trampoline_kernelINS0_14default_configENS1_20scan_config_selectorIiEEZZNS1_9scan_implILNS1_25lookback_scan_determinismE0ELb0ELb0ES3_N6thrust23THRUST_200600_302600_NS6detail15normal_iteratorINS9_10device_ptrIiEEEENS9_16discard_iteratorINS9_11use_defaultEEEiNS9_4plusIvEEiEEDaPvRmT3_T4_T5_mT6_P12ihipStream_tbENKUlT_T0_E_clISt17integral_constantIbLb0EESW_IbLb1EEEEDaSS_ST_EUlSS_E0_NS1_11comp_targetILNS1_3genE10ELNS1_11target_archE1200ELNS1_3gpuE4ELNS1_3repE0EEENS1_30default_config_static_selectorELNS0_4arch9wavefront6targetE1EEEvT1_,"axG",@progbits,_ZN7rocprim17ROCPRIM_400000_NS6detail17trampoline_kernelINS0_14default_configENS1_20scan_config_selectorIiEEZZNS1_9scan_implILNS1_25lookback_scan_determinismE0ELb0ELb0ES3_N6thrust23THRUST_200600_302600_NS6detail15normal_iteratorINS9_10device_ptrIiEEEENS9_16discard_iteratorINS9_11use_defaultEEEiNS9_4plusIvEEiEEDaPvRmT3_T4_T5_mT6_P12ihipStream_tbENKUlT_T0_E_clISt17integral_constantIbLb0EESW_IbLb1EEEEDaSS_ST_EUlSS_E0_NS1_11comp_targetILNS1_3genE10ELNS1_11target_archE1200ELNS1_3gpuE4ELNS1_3repE0EEENS1_30default_config_static_selectorELNS0_4arch9wavefront6targetE1EEEvT1_,comdat
.Lfunc_end5795:
	.size	_ZN7rocprim17ROCPRIM_400000_NS6detail17trampoline_kernelINS0_14default_configENS1_20scan_config_selectorIiEEZZNS1_9scan_implILNS1_25lookback_scan_determinismE0ELb0ELb0ES3_N6thrust23THRUST_200600_302600_NS6detail15normal_iteratorINS9_10device_ptrIiEEEENS9_16discard_iteratorINS9_11use_defaultEEEiNS9_4plusIvEEiEEDaPvRmT3_T4_T5_mT6_P12ihipStream_tbENKUlT_T0_E_clISt17integral_constantIbLb0EESW_IbLb1EEEEDaSS_ST_EUlSS_E0_NS1_11comp_targetILNS1_3genE10ELNS1_11target_archE1200ELNS1_3gpuE4ELNS1_3repE0EEENS1_30default_config_static_selectorELNS0_4arch9wavefront6targetE1EEEvT1_, .Lfunc_end5795-_ZN7rocprim17ROCPRIM_400000_NS6detail17trampoline_kernelINS0_14default_configENS1_20scan_config_selectorIiEEZZNS1_9scan_implILNS1_25lookback_scan_determinismE0ELb0ELb0ES3_N6thrust23THRUST_200600_302600_NS6detail15normal_iteratorINS9_10device_ptrIiEEEENS9_16discard_iteratorINS9_11use_defaultEEEiNS9_4plusIvEEiEEDaPvRmT3_T4_T5_mT6_P12ihipStream_tbENKUlT_T0_E_clISt17integral_constantIbLb0EESW_IbLb1EEEEDaSS_ST_EUlSS_E0_NS1_11comp_targetILNS1_3genE10ELNS1_11target_archE1200ELNS1_3gpuE4ELNS1_3repE0EEENS1_30default_config_static_selectorELNS0_4arch9wavefront6targetE1EEEvT1_
                                        ; -- End function
	.section	.AMDGPU.csdata,"",@progbits
; Kernel info:
; codeLenInByte = 0
; NumSgprs: 4
; NumVgprs: 0
; NumAgprs: 0
; TotalNumVgprs: 0
; ScratchSize: 0
; MemoryBound: 0
; FloatMode: 240
; IeeeMode: 1
; LDSByteSize: 0 bytes/workgroup (compile time only)
; SGPRBlocks: 0
; VGPRBlocks: 0
; NumSGPRsForWavesPerEU: 4
; NumVGPRsForWavesPerEU: 1
; AccumOffset: 4
; Occupancy: 8
; WaveLimiterHint : 0
; COMPUTE_PGM_RSRC2:SCRATCH_EN: 0
; COMPUTE_PGM_RSRC2:USER_SGPR: 6
; COMPUTE_PGM_RSRC2:TRAP_HANDLER: 0
; COMPUTE_PGM_RSRC2:TGID_X_EN: 1
; COMPUTE_PGM_RSRC2:TGID_Y_EN: 0
; COMPUTE_PGM_RSRC2:TGID_Z_EN: 0
; COMPUTE_PGM_RSRC2:TIDIG_COMP_CNT: 0
; COMPUTE_PGM_RSRC3_GFX90A:ACCUM_OFFSET: 0
; COMPUTE_PGM_RSRC3_GFX90A:TG_SPLIT: 0
	.section	.text._ZN7rocprim17ROCPRIM_400000_NS6detail17trampoline_kernelINS0_14default_configENS1_20scan_config_selectorIiEEZZNS1_9scan_implILNS1_25lookback_scan_determinismE0ELb0ELb0ES3_N6thrust23THRUST_200600_302600_NS6detail15normal_iteratorINS9_10device_ptrIiEEEENS9_16discard_iteratorINS9_11use_defaultEEEiNS9_4plusIvEEiEEDaPvRmT3_T4_T5_mT6_P12ihipStream_tbENKUlT_T0_E_clISt17integral_constantIbLb0EESW_IbLb1EEEEDaSS_ST_EUlSS_E0_NS1_11comp_targetILNS1_3genE9ELNS1_11target_archE1100ELNS1_3gpuE3ELNS1_3repE0EEENS1_30default_config_static_selectorELNS0_4arch9wavefront6targetE1EEEvT1_,"axG",@progbits,_ZN7rocprim17ROCPRIM_400000_NS6detail17trampoline_kernelINS0_14default_configENS1_20scan_config_selectorIiEEZZNS1_9scan_implILNS1_25lookback_scan_determinismE0ELb0ELb0ES3_N6thrust23THRUST_200600_302600_NS6detail15normal_iteratorINS9_10device_ptrIiEEEENS9_16discard_iteratorINS9_11use_defaultEEEiNS9_4plusIvEEiEEDaPvRmT3_T4_T5_mT6_P12ihipStream_tbENKUlT_T0_E_clISt17integral_constantIbLb0EESW_IbLb1EEEEDaSS_ST_EUlSS_E0_NS1_11comp_targetILNS1_3genE9ELNS1_11target_archE1100ELNS1_3gpuE3ELNS1_3repE0EEENS1_30default_config_static_selectorELNS0_4arch9wavefront6targetE1EEEvT1_,comdat
	.protected	_ZN7rocprim17ROCPRIM_400000_NS6detail17trampoline_kernelINS0_14default_configENS1_20scan_config_selectorIiEEZZNS1_9scan_implILNS1_25lookback_scan_determinismE0ELb0ELb0ES3_N6thrust23THRUST_200600_302600_NS6detail15normal_iteratorINS9_10device_ptrIiEEEENS9_16discard_iteratorINS9_11use_defaultEEEiNS9_4plusIvEEiEEDaPvRmT3_T4_T5_mT6_P12ihipStream_tbENKUlT_T0_E_clISt17integral_constantIbLb0EESW_IbLb1EEEEDaSS_ST_EUlSS_E0_NS1_11comp_targetILNS1_3genE9ELNS1_11target_archE1100ELNS1_3gpuE3ELNS1_3repE0EEENS1_30default_config_static_selectorELNS0_4arch9wavefront6targetE1EEEvT1_ ; -- Begin function _ZN7rocprim17ROCPRIM_400000_NS6detail17trampoline_kernelINS0_14default_configENS1_20scan_config_selectorIiEEZZNS1_9scan_implILNS1_25lookback_scan_determinismE0ELb0ELb0ES3_N6thrust23THRUST_200600_302600_NS6detail15normal_iteratorINS9_10device_ptrIiEEEENS9_16discard_iteratorINS9_11use_defaultEEEiNS9_4plusIvEEiEEDaPvRmT3_T4_T5_mT6_P12ihipStream_tbENKUlT_T0_E_clISt17integral_constantIbLb0EESW_IbLb1EEEEDaSS_ST_EUlSS_E0_NS1_11comp_targetILNS1_3genE9ELNS1_11target_archE1100ELNS1_3gpuE3ELNS1_3repE0EEENS1_30default_config_static_selectorELNS0_4arch9wavefront6targetE1EEEvT1_
	.globl	_ZN7rocprim17ROCPRIM_400000_NS6detail17trampoline_kernelINS0_14default_configENS1_20scan_config_selectorIiEEZZNS1_9scan_implILNS1_25lookback_scan_determinismE0ELb0ELb0ES3_N6thrust23THRUST_200600_302600_NS6detail15normal_iteratorINS9_10device_ptrIiEEEENS9_16discard_iteratorINS9_11use_defaultEEEiNS9_4plusIvEEiEEDaPvRmT3_T4_T5_mT6_P12ihipStream_tbENKUlT_T0_E_clISt17integral_constantIbLb0EESW_IbLb1EEEEDaSS_ST_EUlSS_E0_NS1_11comp_targetILNS1_3genE9ELNS1_11target_archE1100ELNS1_3gpuE3ELNS1_3repE0EEENS1_30default_config_static_selectorELNS0_4arch9wavefront6targetE1EEEvT1_
	.p2align	8
	.type	_ZN7rocprim17ROCPRIM_400000_NS6detail17trampoline_kernelINS0_14default_configENS1_20scan_config_selectorIiEEZZNS1_9scan_implILNS1_25lookback_scan_determinismE0ELb0ELb0ES3_N6thrust23THRUST_200600_302600_NS6detail15normal_iteratorINS9_10device_ptrIiEEEENS9_16discard_iteratorINS9_11use_defaultEEEiNS9_4plusIvEEiEEDaPvRmT3_T4_T5_mT6_P12ihipStream_tbENKUlT_T0_E_clISt17integral_constantIbLb0EESW_IbLb1EEEEDaSS_ST_EUlSS_E0_NS1_11comp_targetILNS1_3genE9ELNS1_11target_archE1100ELNS1_3gpuE3ELNS1_3repE0EEENS1_30default_config_static_selectorELNS0_4arch9wavefront6targetE1EEEvT1_,@function
_ZN7rocprim17ROCPRIM_400000_NS6detail17trampoline_kernelINS0_14default_configENS1_20scan_config_selectorIiEEZZNS1_9scan_implILNS1_25lookback_scan_determinismE0ELb0ELb0ES3_N6thrust23THRUST_200600_302600_NS6detail15normal_iteratorINS9_10device_ptrIiEEEENS9_16discard_iteratorINS9_11use_defaultEEEiNS9_4plusIvEEiEEDaPvRmT3_T4_T5_mT6_P12ihipStream_tbENKUlT_T0_E_clISt17integral_constantIbLb0EESW_IbLb1EEEEDaSS_ST_EUlSS_E0_NS1_11comp_targetILNS1_3genE9ELNS1_11target_archE1100ELNS1_3gpuE3ELNS1_3repE0EEENS1_30default_config_static_selectorELNS0_4arch9wavefront6targetE1EEEvT1_: ; @_ZN7rocprim17ROCPRIM_400000_NS6detail17trampoline_kernelINS0_14default_configENS1_20scan_config_selectorIiEEZZNS1_9scan_implILNS1_25lookback_scan_determinismE0ELb0ELb0ES3_N6thrust23THRUST_200600_302600_NS6detail15normal_iteratorINS9_10device_ptrIiEEEENS9_16discard_iteratorINS9_11use_defaultEEEiNS9_4plusIvEEiEEDaPvRmT3_T4_T5_mT6_P12ihipStream_tbENKUlT_T0_E_clISt17integral_constantIbLb0EESW_IbLb1EEEEDaSS_ST_EUlSS_E0_NS1_11comp_targetILNS1_3genE9ELNS1_11target_archE1100ELNS1_3gpuE3ELNS1_3repE0EEENS1_30default_config_static_selectorELNS0_4arch9wavefront6targetE1EEEvT1_
; %bb.0:
	.section	.rodata,"a",@progbits
	.p2align	6, 0x0
	.amdhsa_kernel _ZN7rocprim17ROCPRIM_400000_NS6detail17trampoline_kernelINS0_14default_configENS1_20scan_config_selectorIiEEZZNS1_9scan_implILNS1_25lookback_scan_determinismE0ELb0ELb0ES3_N6thrust23THRUST_200600_302600_NS6detail15normal_iteratorINS9_10device_ptrIiEEEENS9_16discard_iteratorINS9_11use_defaultEEEiNS9_4plusIvEEiEEDaPvRmT3_T4_T5_mT6_P12ihipStream_tbENKUlT_T0_E_clISt17integral_constantIbLb0EESW_IbLb1EEEEDaSS_ST_EUlSS_E0_NS1_11comp_targetILNS1_3genE9ELNS1_11target_archE1100ELNS1_3gpuE3ELNS1_3repE0EEENS1_30default_config_static_selectorELNS0_4arch9wavefront6targetE1EEEvT1_
		.amdhsa_group_segment_fixed_size 0
		.amdhsa_private_segment_fixed_size 0
		.amdhsa_kernarg_size 40
		.amdhsa_user_sgpr_count 6
		.amdhsa_user_sgpr_private_segment_buffer 1
		.amdhsa_user_sgpr_dispatch_ptr 0
		.amdhsa_user_sgpr_queue_ptr 0
		.amdhsa_user_sgpr_kernarg_segment_ptr 1
		.amdhsa_user_sgpr_dispatch_id 0
		.amdhsa_user_sgpr_flat_scratch_init 0
		.amdhsa_user_sgpr_kernarg_preload_length 0
		.amdhsa_user_sgpr_kernarg_preload_offset 0
		.amdhsa_user_sgpr_private_segment_size 0
		.amdhsa_uses_dynamic_stack 0
		.amdhsa_system_sgpr_private_segment_wavefront_offset 0
		.amdhsa_system_sgpr_workgroup_id_x 1
		.amdhsa_system_sgpr_workgroup_id_y 0
		.amdhsa_system_sgpr_workgroup_id_z 0
		.amdhsa_system_sgpr_workgroup_info 0
		.amdhsa_system_vgpr_workitem_id 0
		.amdhsa_next_free_vgpr 1
		.amdhsa_next_free_sgpr 0
		.amdhsa_accum_offset 4
		.amdhsa_reserve_vcc 0
		.amdhsa_reserve_flat_scratch 0
		.amdhsa_float_round_mode_32 0
		.amdhsa_float_round_mode_16_64 0
		.amdhsa_float_denorm_mode_32 3
		.amdhsa_float_denorm_mode_16_64 3
		.amdhsa_dx10_clamp 1
		.amdhsa_ieee_mode 1
		.amdhsa_fp16_overflow 0
		.amdhsa_tg_split 0
		.amdhsa_exception_fp_ieee_invalid_op 0
		.amdhsa_exception_fp_denorm_src 0
		.amdhsa_exception_fp_ieee_div_zero 0
		.amdhsa_exception_fp_ieee_overflow 0
		.amdhsa_exception_fp_ieee_underflow 0
		.amdhsa_exception_fp_ieee_inexact 0
		.amdhsa_exception_int_div_zero 0
	.end_amdhsa_kernel
	.section	.text._ZN7rocprim17ROCPRIM_400000_NS6detail17trampoline_kernelINS0_14default_configENS1_20scan_config_selectorIiEEZZNS1_9scan_implILNS1_25lookback_scan_determinismE0ELb0ELb0ES3_N6thrust23THRUST_200600_302600_NS6detail15normal_iteratorINS9_10device_ptrIiEEEENS9_16discard_iteratorINS9_11use_defaultEEEiNS9_4plusIvEEiEEDaPvRmT3_T4_T5_mT6_P12ihipStream_tbENKUlT_T0_E_clISt17integral_constantIbLb0EESW_IbLb1EEEEDaSS_ST_EUlSS_E0_NS1_11comp_targetILNS1_3genE9ELNS1_11target_archE1100ELNS1_3gpuE3ELNS1_3repE0EEENS1_30default_config_static_selectorELNS0_4arch9wavefront6targetE1EEEvT1_,"axG",@progbits,_ZN7rocprim17ROCPRIM_400000_NS6detail17trampoline_kernelINS0_14default_configENS1_20scan_config_selectorIiEEZZNS1_9scan_implILNS1_25lookback_scan_determinismE0ELb0ELb0ES3_N6thrust23THRUST_200600_302600_NS6detail15normal_iteratorINS9_10device_ptrIiEEEENS9_16discard_iteratorINS9_11use_defaultEEEiNS9_4plusIvEEiEEDaPvRmT3_T4_T5_mT6_P12ihipStream_tbENKUlT_T0_E_clISt17integral_constantIbLb0EESW_IbLb1EEEEDaSS_ST_EUlSS_E0_NS1_11comp_targetILNS1_3genE9ELNS1_11target_archE1100ELNS1_3gpuE3ELNS1_3repE0EEENS1_30default_config_static_selectorELNS0_4arch9wavefront6targetE1EEEvT1_,comdat
.Lfunc_end5796:
	.size	_ZN7rocprim17ROCPRIM_400000_NS6detail17trampoline_kernelINS0_14default_configENS1_20scan_config_selectorIiEEZZNS1_9scan_implILNS1_25lookback_scan_determinismE0ELb0ELb0ES3_N6thrust23THRUST_200600_302600_NS6detail15normal_iteratorINS9_10device_ptrIiEEEENS9_16discard_iteratorINS9_11use_defaultEEEiNS9_4plusIvEEiEEDaPvRmT3_T4_T5_mT6_P12ihipStream_tbENKUlT_T0_E_clISt17integral_constantIbLb0EESW_IbLb1EEEEDaSS_ST_EUlSS_E0_NS1_11comp_targetILNS1_3genE9ELNS1_11target_archE1100ELNS1_3gpuE3ELNS1_3repE0EEENS1_30default_config_static_selectorELNS0_4arch9wavefront6targetE1EEEvT1_, .Lfunc_end5796-_ZN7rocprim17ROCPRIM_400000_NS6detail17trampoline_kernelINS0_14default_configENS1_20scan_config_selectorIiEEZZNS1_9scan_implILNS1_25lookback_scan_determinismE0ELb0ELb0ES3_N6thrust23THRUST_200600_302600_NS6detail15normal_iteratorINS9_10device_ptrIiEEEENS9_16discard_iteratorINS9_11use_defaultEEEiNS9_4plusIvEEiEEDaPvRmT3_T4_T5_mT6_P12ihipStream_tbENKUlT_T0_E_clISt17integral_constantIbLb0EESW_IbLb1EEEEDaSS_ST_EUlSS_E0_NS1_11comp_targetILNS1_3genE9ELNS1_11target_archE1100ELNS1_3gpuE3ELNS1_3repE0EEENS1_30default_config_static_selectorELNS0_4arch9wavefront6targetE1EEEvT1_
                                        ; -- End function
	.section	.AMDGPU.csdata,"",@progbits
; Kernel info:
; codeLenInByte = 0
; NumSgprs: 4
; NumVgprs: 0
; NumAgprs: 0
; TotalNumVgprs: 0
; ScratchSize: 0
; MemoryBound: 0
; FloatMode: 240
; IeeeMode: 1
; LDSByteSize: 0 bytes/workgroup (compile time only)
; SGPRBlocks: 0
; VGPRBlocks: 0
; NumSGPRsForWavesPerEU: 4
; NumVGPRsForWavesPerEU: 1
; AccumOffset: 4
; Occupancy: 8
; WaveLimiterHint : 0
; COMPUTE_PGM_RSRC2:SCRATCH_EN: 0
; COMPUTE_PGM_RSRC2:USER_SGPR: 6
; COMPUTE_PGM_RSRC2:TRAP_HANDLER: 0
; COMPUTE_PGM_RSRC2:TGID_X_EN: 1
; COMPUTE_PGM_RSRC2:TGID_Y_EN: 0
; COMPUTE_PGM_RSRC2:TGID_Z_EN: 0
; COMPUTE_PGM_RSRC2:TIDIG_COMP_CNT: 0
; COMPUTE_PGM_RSRC3_GFX90A:ACCUM_OFFSET: 0
; COMPUTE_PGM_RSRC3_GFX90A:TG_SPLIT: 0
	.section	.text._ZN7rocprim17ROCPRIM_400000_NS6detail17trampoline_kernelINS0_14default_configENS1_20scan_config_selectorIiEEZZNS1_9scan_implILNS1_25lookback_scan_determinismE0ELb0ELb0ES3_N6thrust23THRUST_200600_302600_NS6detail15normal_iteratorINS9_10device_ptrIiEEEENS9_16discard_iteratorINS9_11use_defaultEEEiNS9_4plusIvEEiEEDaPvRmT3_T4_T5_mT6_P12ihipStream_tbENKUlT_T0_E_clISt17integral_constantIbLb0EESW_IbLb1EEEEDaSS_ST_EUlSS_E0_NS1_11comp_targetILNS1_3genE8ELNS1_11target_archE1030ELNS1_3gpuE2ELNS1_3repE0EEENS1_30default_config_static_selectorELNS0_4arch9wavefront6targetE1EEEvT1_,"axG",@progbits,_ZN7rocprim17ROCPRIM_400000_NS6detail17trampoline_kernelINS0_14default_configENS1_20scan_config_selectorIiEEZZNS1_9scan_implILNS1_25lookback_scan_determinismE0ELb0ELb0ES3_N6thrust23THRUST_200600_302600_NS6detail15normal_iteratorINS9_10device_ptrIiEEEENS9_16discard_iteratorINS9_11use_defaultEEEiNS9_4plusIvEEiEEDaPvRmT3_T4_T5_mT6_P12ihipStream_tbENKUlT_T0_E_clISt17integral_constantIbLb0EESW_IbLb1EEEEDaSS_ST_EUlSS_E0_NS1_11comp_targetILNS1_3genE8ELNS1_11target_archE1030ELNS1_3gpuE2ELNS1_3repE0EEENS1_30default_config_static_selectorELNS0_4arch9wavefront6targetE1EEEvT1_,comdat
	.protected	_ZN7rocprim17ROCPRIM_400000_NS6detail17trampoline_kernelINS0_14default_configENS1_20scan_config_selectorIiEEZZNS1_9scan_implILNS1_25lookback_scan_determinismE0ELb0ELb0ES3_N6thrust23THRUST_200600_302600_NS6detail15normal_iteratorINS9_10device_ptrIiEEEENS9_16discard_iteratorINS9_11use_defaultEEEiNS9_4plusIvEEiEEDaPvRmT3_T4_T5_mT6_P12ihipStream_tbENKUlT_T0_E_clISt17integral_constantIbLb0EESW_IbLb1EEEEDaSS_ST_EUlSS_E0_NS1_11comp_targetILNS1_3genE8ELNS1_11target_archE1030ELNS1_3gpuE2ELNS1_3repE0EEENS1_30default_config_static_selectorELNS0_4arch9wavefront6targetE1EEEvT1_ ; -- Begin function _ZN7rocprim17ROCPRIM_400000_NS6detail17trampoline_kernelINS0_14default_configENS1_20scan_config_selectorIiEEZZNS1_9scan_implILNS1_25lookback_scan_determinismE0ELb0ELb0ES3_N6thrust23THRUST_200600_302600_NS6detail15normal_iteratorINS9_10device_ptrIiEEEENS9_16discard_iteratorINS9_11use_defaultEEEiNS9_4plusIvEEiEEDaPvRmT3_T4_T5_mT6_P12ihipStream_tbENKUlT_T0_E_clISt17integral_constantIbLb0EESW_IbLb1EEEEDaSS_ST_EUlSS_E0_NS1_11comp_targetILNS1_3genE8ELNS1_11target_archE1030ELNS1_3gpuE2ELNS1_3repE0EEENS1_30default_config_static_selectorELNS0_4arch9wavefront6targetE1EEEvT1_
	.globl	_ZN7rocprim17ROCPRIM_400000_NS6detail17trampoline_kernelINS0_14default_configENS1_20scan_config_selectorIiEEZZNS1_9scan_implILNS1_25lookback_scan_determinismE0ELb0ELb0ES3_N6thrust23THRUST_200600_302600_NS6detail15normal_iteratorINS9_10device_ptrIiEEEENS9_16discard_iteratorINS9_11use_defaultEEEiNS9_4plusIvEEiEEDaPvRmT3_T4_T5_mT6_P12ihipStream_tbENKUlT_T0_E_clISt17integral_constantIbLb0EESW_IbLb1EEEEDaSS_ST_EUlSS_E0_NS1_11comp_targetILNS1_3genE8ELNS1_11target_archE1030ELNS1_3gpuE2ELNS1_3repE0EEENS1_30default_config_static_selectorELNS0_4arch9wavefront6targetE1EEEvT1_
	.p2align	8
	.type	_ZN7rocprim17ROCPRIM_400000_NS6detail17trampoline_kernelINS0_14default_configENS1_20scan_config_selectorIiEEZZNS1_9scan_implILNS1_25lookback_scan_determinismE0ELb0ELb0ES3_N6thrust23THRUST_200600_302600_NS6detail15normal_iteratorINS9_10device_ptrIiEEEENS9_16discard_iteratorINS9_11use_defaultEEEiNS9_4plusIvEEiEEDaPvRmT3_T4_T5_mT6_P12ihipStream_tbENKUlT_T0_E_clISt17integral_constantIbLb0EESW_IbLb1EEEEDaSS_ST_EUlSS_E0_NS1_11comp_targetILNS1_3genE8ELNS1_11target_archE1030ELNS1_3gpuE2ELNS1_3repE0EEENS1_30default_config_static_selectorELNS0_4arch9wavefront6targetE1EEEvT1_,@function
_ZN7rocprim17ROCPRIM_400000_NS6detail17trampoline_kernelINS0_14default_configENS1_20scan_config_selectorIiEEZZNS1_9scan_implILNS1_25lookback_scan_determinismE0ELb0ELb0ES3_N6thrust23THRUST_200600_302600_NS6detail15normal_iteratorINS9_10device_ptrIiEEEENS9_16discard_iteratorINS9_11use_defaultEEEiNS9_4plusIvEEiEEDaPvRmT3_T4_T5_mT6_P12ihipStream_tbENKUlT_T0_E_clISt17integral_constantIbLb0EESW_IbLb1EEEEDaSS_ST_EUlSS_E0_NS1_11comp_targetILNS1_3genE8ELNS1_11target_archE1030ELNS1_3gpuE2ELNS1_3repE0EEENS1_30default_config_static_selectorELNS0_4arch9wavefront6targetE1EEEvT1_: ; @_ZN7rocprim17ROCPRIM_400000_NS6detail17trampoline_kernelINS0_14default_configENS1_20scan_config_selectorIiEEZZNS1_9scan_implILNS1_25lookback_scan_determinismE0ELb0ELb0ES3_N6thrust23THRUST_200600_302600_NS6detail15normal_iteratorINS9_10device_ptrIiEEEENS9_16discard_iteratorINS9_11use_defaultEEEiNS9_4plusIvEEiEEDaPvRmT3_T4_T5_mT6_P12ihipStream_tbENKUlT_T0_E_clISt17integral_constantIbLb0EESW_IbLb1EEEEDaSS_ST_EUlSS_E0_NS1_11comp_targetILNS1_3genE8ELNS1_11target_archE1030ELNS1_3gpuE2ELNS1_3repE0EEENS1_30default_config_static_selectorELNS0_4arch9wavefront6targetE1EEEvT1_
; %bb.0:
	.section	.rodata,"a",@progbits
	.p2align	6, 0x0
	.amdhsa_kernel _ZN7rocprim17ROCPRIM_400000_NS6detail17trampoline_kernelINS0_14default_configENS1_20scan_config_selectorIiEEZZNS1_9scan_implILNS1_25lookback_scan_determinismE0ELb0ELb0ES3_N6thrust23THRUST_200600_302600_NS6detail15normal_iteratorINS9_10device_ptrIiEEEENS9_16discard_iteratorINS9_11use_defaultEEEiNS9_4plusIvEEiEEDaPvRmT3_T4_T5_mT6_P12ihipStream_tbENKUlT_T0_E_clISt17integral_constantIbLb0EESW_IbLb1EEEEDaSS_ST_EUlSS_E0_NS1_11comp_targetILNS1_3genE8ELNS1_11target_archE1030ELNS1_3gpuE2ELNS1_3repE0EEENS1_30default_config_static_selectorELNS0_4arch9wavefront6targetE1EEEvT1_
		.amdhsa_group_segment_fixed_size 0
		.amdhsa_private_segment_fixed_size 0
		.amdhsa_kernarg_size 40
		.amdhsa_user_sgpr_count 6
		.amdhsa_user_sgpr_private_segment_buffer 1
		.amdhsa_user_sgpr_dispatch_ptr 0
		.amdhsa_user_sgpr_queue_ptr 0
		.amdhsa_user_sgpr_kernarg_segment_ptr 1
		.amdhsa_user_sgpr_dispatch_id 0
		.amdhsa_user_sgpr_flat_scratch_init 0
		.amdhsa_user_sgpr_kernarg_preload_length 0
		.amdhsa_user_sgpr_kernarg_preload_offset 0
		.amdhsa_user_sgpr_private_segment_size 0
		.amdhsa_uses_dynamic_stack 0
		.amdhsa_system_sgpr_private_segment_wavefront_offset 0
		.amdhsa_system_sgpr_workgroup_id_x 1
		.amdhsa_system_sgpr_workgroup_id_y 0
		.amdhsa_system_sgpr_workgroup_id_z 0
		.amdhsa_system_sgpr_workgroup_info 0
		.amdhsa_system_vgpr_workitem_id 0
		.amdhsa_next_free_vgpr 1
		.amdhsa_next_free_sgpr 0
		.amdhsa_accum_offset 4
		.amdhsa_reserve_vcc 0
		.amdhsa_reserve_flat_scratch 0
		.amdhsa_float_round_mode_32 0
		.amdhsa_float_round_mode_16_64 0
		.amdhsa_float_denorm_mode_32 3
		.amdhsa_float_denorm_mode_16_64 3
		.amdhsa_dx10_clamp 1
		.amdhsa_ieee_mode 1
		.amdhsa_fp16_overflow 0
		.amdhsa_tg_split 0
		.amdhsa_exception_fp_ieee_invalid_op 0
		.amdhsa_exception_fp_denorm_src 0
		.amdhsa_exception_fp_ieee_div_zero 0
		.amdhsa_exception_fp_ieee_overflow 0
		.amdhsa_exception_fp_ieee_underflow 0
		.amdhsa_exception_fp_ieee_inexact 0
		.amdhsa_exception_int_div_zero 0
	.end_amdhsa_kernel
	.section	.text._ZN7rocprim17ROCPRIM_400000_NS6detail17trampoline_kernelINS0_14default_configENS1_20scan_config_selectorIiEEZZNS1_9scan_implILNS1_25lookback_scan_determinismE0ELb0ELb0ES3_N6thrust23THRUST_200600_302600_NS6detail15normal_iteratorINS9_10device_ptrIiEEEENS9_16discard_iteratorINS9_11use_defaultEEEiNS9_4plusIvEEiEEDaPvRmT3_T4_T5_mT6_P12ihipStream_tbENKUlT_T0_E_clISt17integral_constantIbLb0EESW_IbLb1EEEEDaSS_ST_EUlSS_E0_NS1_11comp_targetILNS1_3genE8ELNS1_11target_archE1030ELNS1_3gpuE2ELNS1_3repE0EEENS1_30default_config_static_selectorELNS0_4arch9wavefront6targetE1EEEvT1_,"axG",@progbits,_ZN7rocprim17ROCPRIM_400000_NS6detail17trampoline_kernelINS0_14default_configENS1_20scan_config_selectorIiEEZZNS1_9scan_implILNS1_25lookback_scan_determinismE0ELb0ELb0ES3_N6thrust23THRUST_200600_302600_NS6detail15normal_iteratorINS9_10device_ptrIiEEEENS9_16discard_iteratorINS9_11use_defaultEEEiNS9_4plusIvEEiEEDaPvRmT3_T4_T5_mT6_P12ihipStream_tbENKUlT_T0_E_clISt17integral_constantIbLb0EESW_IbLb1EEEEDaSS_ST_EUlSS_E0_NS1_11comp_targetILNS1_3genE8ELNS1_11target_archE1030ELNS1_3gpuE2ELNS1_3repE0EEENS1_30default_config_static_selectorELNS0_4arch9wavefront6targetE1EEEvT1_,comdat
.Lfunc_end5797:
	.size	_ZN7rocprim17ROCPRIM_400000_NS6detail17trampoline_kernelINS0_14default_configENS1_20scan_config_selectorIiEEZZNS1_9scan_implILNS1_25lookback_scan_determinismE0ELb0ELb0ES3_N6thrust23THRUST_200600_302600_NS6detail15normal_iteratorINS9_10device_ptrIiEEEENS9_16discard_iteratorINS9_11use_defaultEEEiNS9_4plusIvEEiEEDaPvRmT3_T4_T5_mT6_P12ihipStream_tbENKUlT_T0_E_clISt17integral_constantIbLb0EESW_IbLb1EEEEDaSS_ST_EUlSS_E0_NS1_11comp_targetILNS1_3genE8ELNS1_11target_archE1030ELNS1_3gpuE2ELNS1_3repE0EEENS1_30default_config_static_selectorELNS0_4arch9wavefront6targetE1EEEvT1_, .Lfunc_end5797-_ZN7rocprim17ROCPRIM_400000_NS6detail17trampoline_kernelINS0_14default_configENS1_20scan_config_selectorIiEEZZNS1_9scan_implILNS1_25lookback_scan_determinismE0ELb0ELb0ES3_N6thrust23THRUST_200600_302600_NS6detail15normal_iteratorINS9_10device_ptrIiEEEENS9_16discard_iteratorINS9_11use_defaultEEEiNS9_4plusIvEEiEEDaPvRmT3_T4_T5_mT6_P12ihipStream_tbENKUlT_T0_E_clISt17integral_constantIbLb0EESW_IbLb1EEEEDaSS_ST_EUlSS_E0_NS1_11comp_targetILNS1_3genE8ELNS1_11target_archE1030ELNS1_3gpuE2ELNS1_3repE0EEENS1_30default_config_static_selectorELNS0_4arch9wavefront6targetE1EEEvT1_
                                        ; -- End function
	.section	.AMDGPU.csdata,"",@progbits
; Kernel info:
; codeLenInByte = 0
; NumSgprs: 4
; NumVgprs: 0
; NumAgprs: 0
; TotalNumVgprs: 0
; ScratchSize: 0
; MemoryBound: 0
; FloatMode: 240
; IeeeMode: 1
; LDSByteSize: 0 bytes/workgroup (compile time only)
; SGPRBlocks: 0
; VGPRBlocks: 0
; NumSGPRsForWavesPerEU: 4
; NumVGPRsForWavesPerEU: 1
; AccumOffset: 4
; Occupancy: 8
; WaveLimiterHint : 0
; COMPUTE_PGM_RSRC2:SCRATCH_EN: 0
; COMPUTE_PGM_RSRC2:USER_SGPR: 6
; COMPUTE_PGM_RSRC2:TRAP_HANDLER: 0
; COMPUTE_PGM_RSRC2:TGID_X_EN: 1
; COMPUTE_PGM_RSRC2:TGID_Y_EN: 0
; COMPUTE_PGM_RSRC2:TGID_Z_EN: 0
; COMPUTE_PGM_RSRC2:TIDIG_COMP_CNT: 0
; COMPUTE_PGM_RSRC3_GFX90A:ACCUM_OFFSET: 0
; COMPUTE_PGM_RSRC3_GFX90A:TG_SPLIT: 0
	.section	.text._ZN7rocprim17ROCPRIM_400000_NS6detail17trampoline_kernelINS0_14default_configENS1_20scan_config_selectorIiEEZZNS1_9scan_implILNS1_25lookback_scan_determinismE0ELb1ELb1ES3_N6thrust23THRUST_200600_302600_NS6detail15normal_iteratorINS9_10device_ptrIiEEEENS9_16discard_iteratorINS9_11use_defaultEEEiNS9_4plusIvEEiEEDaPvRmT3_T4_T5_mT6_P12ihipStream_tbENKUlT_T0_E_clISt17integral_constantIbLb0EESX_EEDaSS_ST_EUlSS_E_NS1_11comp_targetILNS1_3genE0ELNS1_11target_archE4294967295ELNS1_3gpuE0ELNS1_3repE0EEENS1_30default_config_static_selectorELNS0_4arch9wavefront6targetE1EEEvT1_,"axG",@progbits,_ZN7rocprim17ROCPRIM_400000_NS6detail17trampoline_kernelINS0_14default_configENS1_20scan_config_selectorIiEEZZNS1_9scan_implILNS1_25lookback_scan_determinismE0ELb1ELb1ES3_N6thrust23THRUST_200600_302600_NS6detail15normal_iteratorINS9_10device_ptrIiEEEENS9_16discard_iteratorINS9_11use_defaultEEEiNS9_4plusIvEEiEEDaPvRmT3_T4_T5_mT6_P12ihipStream_tbENKUlT_T0_E_clISt17integral_constantIbLb0EESX_EEDaSS_ST_EUlSS_E_NS1_11comp_targetILNS1_3genE0ELNS1_11target_archE4294967295ELNS1_3gpuE0ELNS1_3repE0EEENS1_30default_config_static_selectorELNS0_4arch9wavefront6targetE1EEEvT1_,comdat
	.protected	_ZN7rocprim17ROCPRIM_400000_NS6detail17trampoline_kernelINS0_14default_configENS1_20scan_config_selectorIiEEZZNS1_9scan_implILNS1_25lookback_scan_determinismE0ELb1ELb1ES3_N6thrust23THRUST_200600_302600_NS6detail15normal_iteratorINS9_10device_ptrIiEEEENS9_16discard_iteratorINS9_11use_defaultEEEiNS9_4plusIvEEiEEDaPvRmT3_T4_T5_mT6_P12ihipStream_tbENKUlT_T0_E_clISt17integral_constantIbLb0EESX_EEDaSS_ST_EUlSS_E_NS1_11comp_targetILNS1_3genE0ELNS1_11target_archE4294967295ELNS1_3gpuE0ELNS1_3repE0EEENS1_30default_config_static_selectorELNS0_4arch9wavefront6targetE1EEEvT1_ ; -- Begin function _ZN7rocprim17ROCPRIM_400000_NS6detail17trampoline_kernelINS0_14default_configENS1_20scan_config_selectorIiEEZZNS1_9scan_implILNS1_25lookback_scan_determinismE0ELb1ELb1ES3_N6thrust23THRUST_200600_302600_NS6detail15normal_iteratorINS9_10device_ptrIiEEEENS9_16discard_iteratorINS9_11use_defaultEEEiNS9_4plusIvEEiEEDaPvRmT3_T4_T5_mT6_P12ihipStream_tbENKUlT_T0_E_clISt17integral_constantIbLb0EESX_EEDaSS_ST_EUlSS_E_NS1_11comp_targetILNS1_3genE0ELNS1_11target_archE4294967295ELNS1_3gpuE0ELNS1_3repE0EEENS1_30default_config_static_selectorELNS0_4arch9wavefront6targetE1EEEvT1_
	.globl	_ZN7rocprim17ROCPRIM_400000_NS6detail17trampoline_kernelINS0_14default_configENS1_20scan_config_selectorIiEEZZNS1_9scan_implILNS1_25lookback_scan_determinismE0ELb1ELb1ES3_N6thrust23THRUST_200600_302600_NS6detail15normal_iteratorINS9_10device_ptrIiEEEENS9_16discard_iteratorINS9_11use_defaultEEEiNS9_4plusIvEEiEEDaPvRmT3_T4_T5_mT6_P12ihipStream_tbENKUlT_T0_E_clISt17integral_constantIbLb0EESX_EEDaSS_ST_EUlSS_E_NS1_11comp_targetILNS1_3genE0ELNS1_11target_archE4294967295ELNS1_3gpuE0ELNS1_3repE0EEENS1_30default_config_static_selectorELNS0_4arch9wavefront6targetE1EEEvT1_
	.p2align	8
	.type	_ZN7rocprim17ROCPRIM_400000_NS6detail17trampoline_kernelINS0_14default_configENS1_20scan_config_selectorIiEEZZNS1_9scan_implILNS1_25lookback_scan_determinismE0ELb1ELb1ES3_N6thrust23THRUST_200600_302600_NS6detail15normal_iteratorINS9_10device_ptrIiEEEENS9_16discard_iteratorINS9_11use_defaultEEEiNS9_4plusIvEEiEEDaPvRmT3_T4_T5_mT6_P12ihipStream_tbENKUlT_T0_E_clISt17integral_constantIbLb0EESX_EEDaSS_ST_EUlSS_E_NS1_11comp_targetILNS1_3genE0ELNS1_11target_archE4294967295ELNS1_3gpuE0ELNS1_3repE0EEENS1_30default_config_static_selectorELNS0_4arch9wavefront6targetE1EEEvT1_,@function
_ZN7rocprim17ROCPRIM_400000_NS6detail17trampoline_kernelINS0_14default_configENS1_20scan_config_selectorIiEEZZNS1_9scan_implILNS1_25lookback_scan_determinismE0ELb1ELb1ES3_N6thrust23THRUST_200600_302600_NS6detail15normal_iteratorINS9_10device_ptrIiEEEENS9_16discard_iteratorINS9_11use_defaultEEEiNS9_4plusIvEEiEEDaPvRmT3_T4_T5_mT6_P12ihipStream_tbENKUlT_T0_E_clISt17integral_constantIbLb0EESX_EEDaSS_ST_EUlSS_E_NS1_11comp_targetILNS1_3genE0ELNS1_11target_archE4294967295ELNS1_3gpuE0ELNS1_3repE0EEENS1_30default_config_static_selectorELNS0_4arch9wavefront6targetE1EEEvT1_: ; @_ZN7rocprim17ROCPRIM_400000_NS6detail17trampoline_kernelINS0_14default_configENS1_20scan_config_selectorIiEEZZNS1_9scan_implILNS1_25lookback_scan_determinismE0ELb1ELb1ES3_N6thrust23THRUST_200600_302600_NS6detail15normal_iteratorINS9_10device_ptrIiEEEENS9_16discard_iteratorINS9_11use_defaultEEEiNS9_4plusIvEEiEEDaPvRmT3_T4_T5_mT6_P12ihipStream_tbENKUlT_T0_E_clISt17integral_constantIbLb0EESX_EEDaSS_ST_EUlSS_E_NS1_11comp_targetILNS1_3genE0ELNS1_11target_archE4294967295ELNS1_3gpuE0ELNS1_3repE0EEENS1_30default_config_static_selectorELNS0_4arch9wavefront6targetE1EEEvT1_
; %bb.0:
	.section	.rodata,"a",@progbits
	.p2align	6, 0x0
	.amdhsa_kernel _ZN7rocprim17ROCPRIM_400000_NS6detail17trampoline_kernelINS0_14default_configENS1_20scan_config_selectorIiEEZZNS1_9scan_implILNS1_25lookback_scan_determinismE0ELb1ELb1ES3_N6thrust23THRUST_200600_302600_NS6detail15normal_iteratorINS9_10device_ptrIiEEEENS9_16discard_iteratorINS9_11use_defaultEEEiNS9_4plusIvEEiEEDaPvRmT3_T4_T5_mT6_P12ihipStream_tbENKUlT_T0_E_clISt17integral_constantIbLb0EESX_EEDaSS_ST_EUlSS_E_NS1_11comp_targetILNS1_3genE0ELNS1_11target_archE4294967295ELNS1_3gpuE0ELNS1_3repE0EEENS1_30default_config_static_selectorELNS0_4arch9wavefront6targetE1EEEvT1_
		.amdhsa_group_segment_fixed_size 0
		.amdhsa_private_segment_fixed_size 0
		.amdhsa_kernarg_size 104
		.amdhsa_user_sgpr_count 6
		.amdhsa_user_sgpr_private_segment_buffer 1
		.amdhsa_user_sgpr_dispatch_ptr 0
		.amdhsa_user_sgpr_queue_ptr 0
		.amdhsa_user_sgpr_kernarg_segment_ptr 1
		.amdhsa_user_sgpr_dispatch_id 0
		.amdhsa_user_sgpr_flat_scratch_init 0
		.amdhsa_user_sgpr_kernarg_preload_length 0
		.amdhsa_user_sgpr_kernarg_preload_offset 0
		.amdhsa_user_sgpr_private_segment_size 0
		.amdhsa_uses_dynamic_stack 0
		.amdhsa_system_sgpr_private_segment_wavefront_offset 0
		.amdhsa_system_sgpr_workgroup_id_x 1
		.amdhsa_system_sgpr_workgroup_id_y 0
		.amdhsa_system_sgpr_workgroup_id_z 0
		.amdhsa_system_sgpr_workgroup_info 0
		.amdhsa_system_vgpr_workitem_id 0
		.amdhsa_next_free_vgpr 1
		.amdhsa_next_free_sgpr 0
		.amdhsa_accum_offset 4
		.amdhsa_reserve_vcc 0
		.amdhsa_reserve_flat_scratch 0
		.amdhsa_float_round_mode_32 0
		.amdhsa_float_round_mode_16_64 0
		.amdhsa_float_denorm_mode_32 3
		.amdhsa_float_denorm_mode_16_64 3
		.amdhsa_dx10_clamp 1
		.amdhsa_ieee_mode 1
		.amdhsa_fp16_overflow 0
		.amdhsa_tg_split 0
		.amdhsa_exception_fp_ieee_invalid_op 0
		.amdhsa_exception_fp_denorm_src 0
		.amdhsa_exception_fp_ieee_div_zero 0
		.amdhsa_exception_fp_ieee_overflow 0
		.amdhsa_exception_fp_ieee_underflow 0
		.amdhsa_exception_fp_ieee_inexact 0
		.amdhsa_exception_int_div_zero 0
	.end_amdhsa_kernel
	.section	.text._ZN7rocprim17ROCPRIM_400000_NS6detail17trampoline_kernelINS0_14default_configENS1_20scan_config_selectorIiEEZZNS1_9scan_implILNS1_25lookback_scan_determinismE0ELb1ELb1ES3_N6thrust23THRUST_200600_302600_NS6detail15normal_iteratorINS9_10device_ptrIiEEEENS9_16discard_iteratorINS9_11use_defaultEEEiNS9_4plusIvEEiEEDaPvRmT3_T4_T5_mT6_P12ihipStream_tbENKUlT_T0_E_clISt17integral_constantIbLb0EESX_EEDaSS_ST_EUlSS_E_NS1_11comp_targetILNS1_3genE0ELNS1_11target_archE4294967295ELNS1_3gpuE0ELNS1_3repE0EEENS1_30default_config_static_selectorELNS0_4arch9wavefront6targetE1EEEvT1_,"axG",@progbits,_ZN7rocprim17ROCPRIM_400000_NS6detail17trampoline_kernelINS0_14default_configENS1_20scan_config_selectorIiEEZZNS1_9scan_implILNS1_25lookback_scan_determinismE0ELb1ELb1ES3_N6thrust23THRUST_200600_302600_NS6detail15normal_iteratorINS9_10device_ptrIiEEEENS9_16discard_iteratorINS9_11use_defaultEEEiNS9_4plusIvEEiEEDaPvRmT3_T4_T5_mT6_P12ihipStream_tbENKUlT_T0_E_clISt17integral_constantIbLb0EESX_EEDaSS_ST_EUlSS_E_NS1_11comp_targetILNS1_3genE0ELNS1_11target_archE4294967295ELNS1_3gpuE0ELNS1_3repE0EEENS1_30default_config_static_selectorELNS0_4arch9wavefront6targetE1EEEvT1_,comdat
.Lfunc_end5798:
	.size	_ZN7rocprim17ROCPRIM_400000_NS6detail17trampoline_kernelINS0_14default_configENS1_20scan_config_selectorIiEEZZNS1_9scan_implILNS1_25lookback_scan_determinismE0ELb1ELb1ES3_N6thrust23THRUST_200600_302600_NS6detail15normal_iteratorINS9_10device_ptrIiEEEENS9_16discard_iteratorINS9_11use_defaultEEEiNS9_4plusIvEEiEEDaPvRmT3_T4_T5_mT6_P12ihipStream_tbENKUlT_T0_E_clISt17integral_constantIbLb0EESX_EEDaSS_ST_EUlSS_E_NS1_11comp_targetILNS1_3genE0ELNS1_11target_archE4294967295ELNS1_3gpuE0ELNS1_3repE0EEENS1_30default_config_static_selectorELNS0_4arch9wavefront6targetE1EEEvT1_, .Lfunc_end5798-_ZN7rocprim17ROCPRIM_400000_NS6detail17trampoline_kernelINS0_14default_configENS1_20scan_config_selectorIiEEZZNS1_9scan_implILNS1_25lookback_scan_determinismE0ELb1ELb1ES3_N6thrust23THRUST_200600_302600_NS6detail15normal_iteratorINS9_10device_ptrIiEEEENS9_16discard_iteratorINS9_11use_defaultEEEiNS9_4plusIvEEiEEDaPvRmT3_T4_T5_mT6_P12ihipStream_tbENKUlT_T0_E_clISt17integral_constantIbLb0EESX_EEDaSS_ST_EUlSS_E_NS1_11comp_targetILNS1_3genE0ELNS1_11target_archE4294967295ELNS1_3gpuE0ELNS1_3repE0EEENS1_30default_config_static_selectorELNS0_4arch9wavefront6targetE1EEEvT1_
                                        ; -- End function
	.section	.AMDGPU.csdata,"",@progbits
; Kernel info:
; codeLenInByte = 0
; NumSgprs: 4
; NumVgprs: 0
; NumAgprs: 0
; TotalNumVgprs: 0
; ScratchSize: 0
; MemoryBound: 0
; FloatMode: 240
; IeeeMode: 1
; LDSByteSize: 0 bytes/workgroup (compile time only)
; SGPRBlocks: 0
; VGPRBlocks: 0
; NumSGPRsForWavesPerEU: 4
; NumVGPRsForWavesPerEU: 1
; AccumOffset: 4
; Occupancy: 8
; WaveLimiterHint : 0
; COMPUTE_PGM_RSRC2:SCRATCH_EN: 0
; COMPUTE_PGM_RSRC2:USER_SGPR: 6
; COMPUTE_PGM_RSRC2:TRAP_HANDLER: 0
; COMPUTE_PGM_RSRC2:TGID_X_EN: 1
; COMPUTE_PGM_RSRC2:TGID_Y_EN: 0
; COMPUTE_PGM_RSRC2:TGID_Z_EN: 0
; COMPUTE_PGM_RSRC2:TIDIG_COMP_CNT: 0
; COMPUTE_PGM_RSRC3_GFX90A:ACCUM_OFFSET: 0
; COMPUTE_PGM_RSRC3_GFX90A:TG_SPLIT: 0
	.section	.text._ZN7rocprim17ROCPRIM_400000_NS6detail17trampoline_kernelINS0_14default_configENS1_20scan_config_selectorIiEEZZNS1_9scan_implILNS1_25lookback_scan_determinismE0ELb1ELb1ES3_N6thrust23THRUST_200600_302600_NS6detail15normal_iteratorINS9_10device_ptrIiEEEENS9_16discard_iteratorINS9_11use_defaultEEEiNS9_4plusIvEEiEEDaPvRmT3_T4_T5_mT6_P12ihipStream_tbENKUlT_T0_E_clISt17integral_constantIbLb0EESX_EEDaSS_ST_EUlSS_E_NS1_11comp_targetILNS1_3genE5ELNS1_11target_archE942ELNS1_3gpuE9ELNS1_3repE0EEENS1_30default_config_static_selectorELNS0_4arch9wavefront6targetE1EEEvT1_,"axG",@progbits,_ZN7rocprim17ROCPRIM_400000_NS6detail17trampoline_kernelINS0_14default_configENS1_20scan_config_selectorIiEEZZNS1_9scan_implILNS1_25lookback_scan_determinismE0ELb1ELb1ES3_N6thrust23THRUST_200600_302600_NS6detail15normal_iteratorINS9_10device_ptrIiEEEENS9_16discard_iteratorINS9_11use_defaultEEEiNS9_4plusIvEEiEEDaPvRmT3_T4_T5_mT6_P12ihipStream_tbENKUlT_T0_E_clISt17integral_constantIbLb0EESX_EEDaSS_ST_EUlSS_E_NS1_11comp_targetILNS1_3genE5ELNS1_11target_archE942ELNS1_3gpuE9ELNS1_3repE0EEENS1_30default_config_static_selectorELNS0_4arch9wavefront6targetE1EEEvT1_,comdat
	.protected	_ZN7rocprim17ROCPRIM_400000_NS6detail17trampoline_kernelINS0_14default_configENS1_20scan_config_selectorIiEEZZNS1_9scan_implILNS1_25lookback_scan_determinismE0ELb1ELb1ES3_N6thrust23THRUST_200600_302600_NS6detail15normal_iteratorINS9_10device_ptrIiEEEENS9_16discard_iteratorINS9_11use_defaultEEEiNS9_4plusIvEEiEEDaPvRmT3_T4_T5_mT6_P12ihipStream_tbENKUlT_T0_E_clISt17integral_constantIbLb0EESX_EEDaSS_ST_EUlSS_E_NS1_11comp_targetILNS1_3genE5ELNS1_11target_archE942ELNS1_3gpuE9ELNS1_3repE0EEENS1_30default_config_static_selectorELNS0_4arch9wavefront6targetE1EEEvT1_ ; -- Begin function _ZN7rocprim17ROCPRIM_400000_NS6detail17trampoline_kernelINS0_14default_configENS1_20scan_config_selectorIiEEZZNS1_9scan_implILNS1_25lookback_scan_determinismE0ELb1ELb1ES3_N6thrust23THRUST_200600_302600_NS6detail15normal_iteratorINS9_10device_ptrIiEEEENS9_16discard_iteratorINS9_11use_defaultEEEiNS9_4plusIvEEiEEDaPvRmT3_T4_T5_mT6_P12ihipStream_tbENKUlT_T0_E_clISt17integral_constantIbLb0EESX_EEDaSS_ST_EUlSS_E_NS1_11comp_targetILNS1_3genE5ELNS1_11target_archE942ELNS1_3gpuE9ELNS1_3repE0EEENS1_30default_config_static_selectorELNS0_4arch9wavefront6targetE1EEEvT1_
	.globl	_ZN7rocprim17ROCPRIM_400000_NS6detail17trampoline_kernelINS0_14default_configENS1_20scan_config_selectorIiEEZZNS1_9scan_implILNS1_25lookback_scan_determinismE0ELb1ELb1ES3_N6thrust23THRUST_200600_302600_NS6detail15normal_iteratorINS9_10device_ptrIiEEEENS9_16discard_iteratorINS9_11use_defaultEEEiNS9_4plusIvEEiEEDaPvRmT3_T4_T5_mT6_P12ihipStream_tbENKUlT_T0_E_clISt17integral_constantIbLb0EESX_EEDaSS_ST_EUlSS_E_NS1_11comp_targetILNS1_3genE5ELNS1_11target_archE942ELNS1_3gpuE9ELNS1_3repE0EEENS1_30default_config_static_selectorELNS0_4arch9wavefront6targetE1EEEvT1_
	.p2align	8
	.type	_ZN7rocprim17ROCPRIM_400000_NS6detail17trampoline_kernelINS0_14default_configENS1_20scan_config_selectorIiEEZZNS1_9scan_implILNS1_25lookback_scan_determinismE0ELb1ELb1ES3_N6thrust23THRUST_200600_302600_NS6detail15normal_iteratorINS9_10device_ptrIiEEEENS9_16discard_iteratorINS9_11use_defaultEEEiNS9_4plusIvEEiEEDaPvRmT3_T4_T5_mT6_P12ihipStream_tbENKUlT_T0_E_clISt17integral_constantIbLb0EESX_EEDaSS_ST_EUlSS_E_NS1_11comp_targetILNS1_3genE5ELNS1_11target_archE942ELNS1_3gpuE9ELNS1_3repE0EEENS1_30default_config_static_selectorELNS0_4arch9wavefront6targetE1EEEvT1_,@function
_ZN7rocprim17ROCPRIM_400000_NS6detail17trampoline_kernelINS0_14default_configENS1_20scan_config_selectorIiEEZZNS1_9scan_implILNS1_25lookback_scan_determinismE0ELb1ELb1ES3_N6thrust23THRUST_200600_302600_NS6detail15normal_iteratorINS9_10device_ptrIiEEEENS9_16discard_iteratorINS9_11use_defaultEEEiNS9_4plusIvEEiEEDaPvRmT3_T4_T5_mT6_P12ihipStream_tbENKUlT_T0_E_clISt17integral_constantIbLb0EESX_EEDaSS_ST_EUlSS_E_NS1_11comp_targetILNS1_3genE5ELNS1_11target_archE942ELNS1_3gpuE9ELNS1_3repE0EEENS1_30default_config_static_selectorELNS0_4arch9wavefront6targetE1EEEvT1_: ; @_ZN7rocprim17ROCPRIM_400000_NS6detail17trampoline_kernelINS0_14default_configENS1_20scan_config_selectorIiEEZZNS1_9scan_implILNS1_25lookback_scan_determinismE0ELb1ELb1ES3_N6thrust23THRUST_200600_302600_NS6detail15normal_iteratorINS9_10device_ptrIiEEEENS9_16discard_iteratorINS9_11use_defaultEEEiNS9_4plusIvEEiEEDaPvRmT3_T4_T5_mT6_P12ihipStream_tbENKUlT_T0_E_clISt17integral_constantIbLb0EESX_EEDaSS_ST_EUlSS_E_NS1_11comp_targetILNS1_3genE5ELNS1_11target_archE942ELNS1_3gpuE9ELNS1_3repE0EEENS1_30default_config_static_selectorELNS0_4arch9wavefront6targetE1EEEvT1_
; %bb.0:
	.section	.rodata,"a",@progbits
	.p2align	6, 0x0
	.amdhsa_kernel _ZN7rocprim17ROCPRIM_400000_NS6detail17trampoline_kernelINS0_14default_configENS1_20scan_config_selectorIiEEZZNS1_9scan_implILNS1_25lookback_scan_determinismE0ELb1ELb1ES3_N6thrust23THRUST_200600_302600_NS6detail15normal_iteratorINS9_10device_ptrIiEEEENS9_16discard_iteratorINS9_11use_defaultEEEiNS9_4plusIvEEiEEDaPvRmT3_T4_T5_mT6_P12ihipStream_tbENKUlT_T0_E_clISt17integral_constantIbLb0EESX_EEDaSS_ST_EUlSS_E_NS1_11comp_targetILNS1_3genE5ELNS1_11target_archE942ELNS1_3gpuE9ELNS1_3repE0EEENS1_30default_config_static_selectorELNS0_4arch9wavefront6targetE1EEEvT1_
		.amdhsa_group_segment_fixed_size 0
		.amdhsa_private_segment_fixed_size 0
		.amdhsa_kernarg_size 104
		.amdhsa_user_sgpr_count 6
		.amdhsa_user_sgpr_private_segment_buffer 1
		.amdhsa_user_sgpr_dispatch_ptr 0
		.amdhsa_user_sgpr_queue_ptr 0
		.amdhsa_user_sgpr_kernarg_segment_ptr 1
		.amdhsa_user_sgpr_dispatch_id 0
		.amdhsa_user_sgpr_flat_scratch_init 0
		.amdhsa_user_sgpr_kernarg_preload_length 0
		.amdhsa_user_sgpr_kernarg_preload_offset 0
		.amdhsa_user_sgpr_private_segment_size 0
		.amdhsa_uses_dynamic_stack 0
		.amdhsa_system_sgpr_private_segment_wavefront_offset 0
		.amdhsa_system_sgpr_workgroup_id_x 1
		.amdhsa_system_sgpr_workgroup_id_y 0
		.amdhsa_system_sgpr_workgroup_id_z 0
		.amdhsa_system_sgpr_workgroup_info 0
		.amdhsa_system_vgpr_workitem_id 0
		.amdhsa_next_free_vgpr 1
		.amdhsa_next_free_sgpr 0
		.amdhsa_accum_offset 4
		.amdhsa_reserve_vcc 0
		.amdhsa_reserve_flat_scratch 0
		.amdhsa_float_round_mode_32 0
		.amdhsa_float_round_mode_16_64 0
		.amdhsa_float_denorm_mode_32 3
		.amdhsa_float_denorm_mode_16_64 3
		.amdhsa_dx10_clamp 1
		.amdhsa_ieee_mode 1
		.amdhsa_fp16_overflow 0
		.amdhsa_tg_split 0
		.amdhsa_exception_fp_ieee_invalid_op 0
		.amdhsa_exception_fp_denorm_src 0
		.amdhsa_exception_fp_ieee_div_zero 0
		.amdhsa_exception_fp_ieee_overflow 0
		.amdhsa_exception_fp_ieee_underflow 0
		.amdhsa_exception_fp_ieee_inexact 0
		.amdhsa_exception_int_div_zero 0
	.end_amdhsa_kernel
	.section	.text._ZN7rocprim17ROCPRIM_400000_NS6detail17trampoline_kernelINS0_14default_configENS1_20scan_config_selectorIiEEZZNS1_9scan_implILNS1_25lookback_scan_determinismE0ELb1ELb1ES3_N6thrust23THRUST_200600_302600_NS6detail15normal_iteratorINS9_10device_ptrIiEEEENS9_16discard_iteratorINS9_11use_defaultEEEiNS9_4plusIvEEiEEDaPvRmT3_T4_T5_mT6_P12ihipStream_tbENKUlT_T0_E_clISt17integral_constantIbLb0EESX_EEDaSS_ST_EUlSS_E_NS1_11comp_targetILNS1_3genE5ELNS1_11target_archE942ELNS1_3gpuE9ELNS1_3repE0EEENS1_30default_config_static_selectorELNS0_4arch9wavefront6targetE1EEEvT1_,"axG",@progbits,_ZN7rocprim17ROCPRIM_400000_NS6detail17trampoline_kernelINS0_14default_configENS1_20scan_config_selectorIiEEZZNS1_9scan_implILNS1_25lookback_scan_determinismE0ELb1ELb1ES3_N6thrust23THRUST_200600_302600_NS6detail15normal_iteratorINS9_10device_ptrIiEEEENS9_16discard_iteratorINS9_11use_defaultEEEiNS9_4plusIvEEiEEDaPvRmT3_T4_T5_mT6_P12ihipStream_tbENKUlT_T0_E_clISt17integral_constantIbLb0EESX_EEDaSS_ST_EUlSS_E_NS1_11comp_targetILNS1_3genE5ELNS1_11target_archE942ELNS1_3gpuE9ELNS1_3repE0EEENS1_30default_config_static_selectorELNS0_4arch9wavefront6targetE1EEEvT1_,comdat
.Lfunc_end5799:
	.size	_ZN7rocprim17ROCPRIM_400000_NS6detail17trampoline_kernelINS0_14default_configENS1_20scan_config_selectorIiEEZZNS1_9scan_implILNS1_25lookback_scan_determinismE0ELb1ELb1ES3_N6thrust23THRUST_200600_302600_NS6detail15normal_iteratorINS9_10device_ptrIiEEEENS9_16discard_iteratorINS9_11use_defaultEEEiNS9_4plusIvEEiEEDaPvRmT3_T4_T5_mT6_P12ihipStream_tbENKUlT_T0_E_clISt17integral_constantIbLb0EESX_EEDaSS_ST_EUlSS_E_NS1_11comp_targetILNS1_3genE5ELNS1_11target_archE942ELNS1_3gpuE9ELNS1_3repE0EEENS1_30default_config_static_selectorELNS0_4arch9wavefront6targetE1EEEvT1_, .Lfunc_end5799-_ZN7rocprim17ROCPRIM_400000_NS6detail17trampoline_kernelINS0_14default_configENS1_20scan_config_selectorIiEEZZNS1_9scan_implILNS1_25lookback_scan_determinismE0ELb1ELb1ES3_N6thrust23THRUST_200600_302600_NS6detail15normal_iteratorINS9_10device_ptrIiEEEENS9_16discard_iteratorINS9_11use_defaultEEEiNS9_4plusIvEEiEEDaPvRmT3_T4_T5_mT6_P12ihipStream_tbENKUlT_T0_E_clISt17integral_constantIbLb0EESX_EEDaSS_ST_EUlSS_E_NS1_11comp_targetILNS1_3genE5ELNS1_11target_archE942ELNS1_3gpuE9ELNS1_3repE0EEENS1_30default_config_static_selectorELNS0_4arch9wavefront6targetE1EEEvT1_
                                        ; -- End function
	.section	.AMDGPU.csdata,"",@progbits
; Kernel info:
; codeLenInByte = 0
; NumSgprs: 4
; NumVgprs: 0
; NumAgprs: 0
; TotalNumVgprs: 0
; ScratchSize: 0
; MemoryBound: 0
; FloatMode: 240
; IeeeMode: 1
; LDSByteSize: 0 bytes/workgroup (compile time only)
; SGPRBlocks: 0
; VGPRBlocks: 0
; NumSGPRsForWavesPerEU: 4
; NumVGPRsForWavesPerEU: 1
; AccumOffset: 4
; Occupancy: 8
; WaveLimiterHint : 0
; COMPUTE_PGM_RSRC2:SCRATCH_EN: 0
; COMPUTE_PGM_RSRC2:USER_SGPR: 6
; COMPUTE_PGM_RSRC2:TRAP_HANDLER: 0
; COMPUTE_PGM_RSRC2:TGID_X_EN: 1
; COMPUTE_PGM_RSRC2:TGID_Y_EN: 0
; COMPUTE_PGM_RSRC2:TGID_Z_EN: 0
; COMPUTE_PGM_RSRC2:TIDIG_COMP_CNT: 0
; COMPUTE_PGM_RSRC3_GFX90A:ACCUM_OFFSET: 0
; COMPUTE_PGM_RSRC3_GFX90A:TG_SPLIT: 0
	.section	.text._ZN7rocprim17ROCPRIM_400000_NS6detail17trampoline_kernelINS0_14default_configENS1_20scan_config_selectorIiEEZZNS1_9scan_implILNS1_25lookback_scan_determinismE0ELb1ELb1ES3_N6thrust23THRUST_200600_302600_NS6detail15normal_iteratorINS9_10device_ptrIiEEEENS9_16discard_iteratorINS9_11use_defaultEEEiNS9_4plusIvEEiEEDaPvRmT3_T4_T5_mT6_P12ihipStream_tbENKUlT_T0_E_clISt17integral_constantIbLb0EESX_EEDaSS_ST_EUlSS_E_NS1_11comp_targetILNS1_3genE4ELNS1_11target_archE910ELNS1_3gpuE8ELNS1_3repE0EEENS1_30default_config_static_selectorELNS0_4arch9wavefront6targetE1EEEvT1_,"axG",@progbits,_ZN7rocprim17ROCPRIM_400000_NS6detail17trampoline_kernelINS0_14default_configENS1_20scan_config_selectorIiEEZZNS1_9scan_implILNS1_25lookback_scan_determinismE0ELb1ELb1ES3_N6thrust23THRUST_200600_302600_NS6detail15normal_iteratorINS9_10device_ptrIiEEEENS9_16discard_iteratorINS9_11use_defaultEEEiNS9_4plusIvEEiEEDaPvRmT3_T4_T5_mT6_P12ihipStream_tbENKUlT_T0_E_clISt17integral_constantIbLb0EESX_EEDaSS_ST_EUlSS_E_NS1_11comp_targetILNS1_3genE4ELNS1_11target_archE910ELNS1_3gpuE8ELNS1_3repE0EEENS1_30default_config_static_selectorELNS0_4arch9wavefront6targetE1EEEvT1_,comdat
	.protected	_ZN7rocprim17ROCPRIM_400000_NS6detail17trampoline_kernelINS0_14default_configENS1_20scan_config_selectorIiEEZZNS1_9scan_implILNS1_25lookback_scan_determinismE0ELb1ELb1ES3_N6thrust23THRUST_200600_302600_NS6detail15normal_iteratorINS9_10device_ptrIiEEEENS9_16discard_iteratorINS9_11use_defaultEEEiNS9_4plusIvEEiEEDaPvRmT3_T4_T5_mT6_P12ihipStream_tbENKUlT_T0_E_clISt17integral_constantIbLb0EESX_EEDaSS_ST_EUlSS_E_NS1_11comp_targetILNS1_3genE4ELNS1_11target_archE910ELNS1_3gpuE8ELNS1_3repE0EEENS1_30default_config_static_selectorELNS0_4arch9wavefront6targetE1EEEvT1_ ; -- Begin function _ZN7rocprim17ROCPRIM_400000_NS6detail17trampoline_kernelINS0_14default_configENS1_20scan_config_selectorIiEEZZNS1_9scan_implILNS1_25lookback_scan_determinismE0ELb1ELb1ES3_N6thrust23THRUST_200600_302600_NS6detail15normal_iteratorINS9_10device_ptrIiEEEENS9_16discard_iteratorINS9_11use_defaultEEEiNS9_4plusIvEEiEEDaPvRmT3_T4_T5_mT6_P12ihipStream_tbENKUlT_T0_E_clISt17integral_constantIbLb0EESX_EEDaSS_ST_EUlSS_E_NS1_11comp_targetILNS1_3genE4ELNS1_11target_archE910ELNS1_3gpuE8ELNS1_3repE0EEENS1_30default_config_static_selectorELNS0_4arch9wavefront6targetE1EEEvT1_
	.globl	_ZN7rocprim17ROCPRIM_400000_NS6detail17trampoline_kernelINS0_14default_configENS1_20scan_config_selectorIiEEZZNS1_9scan_implILNS1_25lookback_scan_determinismE0ELb1ELb1ES3_N6thrust23THRUST_200600_302600_NS6detail15normal_iteratorINS9_10device_ptrIiEEEENS9_16discard_iteratorINS9_11use_defaultEEEiNS9_4plusIvEEiEEDaPvRmT3_T4_T5_mT6_P12ihipStream_tbENKUlT_T0_E_clISt17integral_constantIbLb0EESX_EEDaSS_ST_EUlSS_E_NS1_11comp_targetILNS1_3genE4ELNS1_11target_archE910ELNS1_3gpuE8ELNS1_3repE0EEENS1_30default_config_static_selectorELNS0_4arch9wavefront6targetE1EEEvT1_
	.p2align	8
	.type	_ZN7rocprim17ROCPRIM_400000_NS6detail17trampoline_kernelINS0_14default_configENS1_20scan_config_selectorIiEEZZNS1_9scan_implILNS1_25lookback_scan_determinismE0ELb1ELb1ES3_N6thrust23THRUST_200600_302600_NS6detail15normal_iteratorINS9_10device_ptrIiEEEENS9_16discard_iteratorINS9_11use_defaultEEEiNS9_4plusIvEEiEEDaPvRmT3_T4_T5_mT6_P12ihipStream_tbENKUlT_T0_E_clISt17integral_constantIbLb0EESX_EEDaSS_ST_EUlSS_E_NS1_11comp_targetILNS1_3genE4ELNS1_11target_archE910ELNS1_3gpuE8ELNS1_3repE0EEENS1_30default_config_static_selectorELNS0_4arch9wavefront6targetE1EEEvT1_,@function
_ZN7rocprim17ROCPRIM_400000_NS6detail17trampoline_kernelINS0_14default_configENS1_20scan_config_selectorIiEEZZNS1_9scan_implILNS1_25lookback_scan_determinismE0ELb1ELb1ES3_N6thrust23THRUST_200600_302600_NS6detail15normal_iteratorINS9_10device_ptrIiEEEENS9_16discard_iteratorINS9_11use_defaultEEEiNS9_4plusIvEEiEEDaPvRmT3_T4_T5_mT6_P12ihipStream_tbENKUlT_T0_E_clISt17integral_constantIbLb0EESX_EEDaSS_ST_EUlSS_E_NS1_11comp_targetILNS1_3genE4ELNS1_11target_archE910ELNS1_3gpuE8ELNS1_3repE0EEENS1_30default_config_static_selectorELNS0_4arch9wavefront6targetE1EEEvT1_: ; @_ZN7rocprim17ROCPRIM_400000_NS6detail17trampoline_kernelINS0_14default_configENS1_20scan_config_selectorIiEEZZNS1_9scan_implILNS1_25lookback_scan_determinismE0ELb1ELb1ES3_N6thrust23THRUST_200600_302600_NS6detail15normal_iteratorINS9_10device_ptrIiEEEENS9_16discard_iteratorINS9_11use_defaultEEEiNS9_4plusIvEEiEEDaPvRmT3_T4_T5_mT6_P12ihipStream_tbENKUlT_T0_E_clISt17integral_constantIbLb0EESX_EEDaSS_ST_EUlSS_E_NS1_11comp_targetILNS1_3genE4ELNS1_11target_archE910ELNS1_3gpuE8ELNS1_3repE0EEENS1_30default_config_static_selectorELNS0_4arch9wavefront6targetE1EEEvT1_
; %bb.0:
	s_load_dwordx4 s[0:3], s[4:5], 0x0
	s_load_dwordx2 s[8:9], s[4:5], 0x20
	s_load_dword s7, s[4:5], 0x38
	s_waitcnt lgkmcnt(0)
	s_lshl_b64 s[2:3], s[2:3], 2
	s_add_u32 s21, s0, s2
	s_addc_u32 s22, s1, s3
	s_add_i32 s2, s7, -1
	s_mul_i32 s3, s2, 0x500
	s_sub_u32 s7, s8, s3
	s_subb_u32 s20, s9, 0
	s_mul_i32 s0, s6, 0x500
	s_mov_b32 s1, 0
	s_cmp_lg_u32 s6, s2
	s_cselect_b64 s[16:17], -1, 0
	s_lshl_b64 s[0:1], s[0:1], 2
	s_add_u32 s0, s21, s0
	s_addc_u32 s1, s22, s1
	s_mov_b64 s[2:3], -1
	s_and_b64 vcc, exec, s[16:17]
	s_cbranch_vccz .LBB5800_2
; %bb.1:
	v_lshlrev_b32_e32 v1, 2, v0
	v_mov_b32_e32 v3, s1
	v_add_co_u32_e32 v2, vcc, s0, v1
	v_addc_co_u32_e32 v3, vcc, 0, v3, vcc
	flat_load_dword v4, v[2:3]
	flat_load_dword v5, v[2:3] offset:512
	flat_load_dword v6, v[2:3] offset:1024
	;; [unrolled: 1-line block ×7, first 2 shown]
	v_add_co_u32_e32 v2, vcc, 0x1000, v2
	v_addc_co_u32_e32 v3, vcc, 0, v3, vcc
	flat_load_dword v12, v[2:3]
	flat_load_dword v13, v[2:3] offset:512
	s_mov_b64 s[2:3], 0
	s_waitcnt vmcnt(0) lgkmcnt(0)
	ds_write2st64_b32 v1, v4, v5 offset1:2
	ds_write2st64_b32 v1, v6, v7 offset0:4 offset1:6
	ds_write2st64_b32 v1, v8, v9 offset0:8 offset1:10
	;; [unrolled: 1-line block ×4, first 2 shown]
	s_waitcnt lgkmcnt(0)
	s_barrier
.LBB5800_2:
	s_load_dwordx2 s[18:19], s[4:5], 0x30
	s_andn2_b64 vcc, exec, s[2:3]
	s_cbranch_vccnz .LBB5800_24
; %bb.3:
	v_pk_mov_b32 v[2:3], s[0:1], s[0:1] op_sel:[0,1]
	flat_load_dword v1, v[2:3]
	v_cmp_gt_u32_e32 vcc, s7, v0
	s_waitcnt vmcnt(0) lgkmcnt(0)
	v_mov_b32_e32 v2, v1
	v_mov_b32_e32 v3, v1
	;; [unrolled: 1-line block ×9, first 2 shown]
	s_and_saveexec_b64 s[2:3], vcc
	s_cbranch_execz .LBB5800_5
; %bb.4:
	v_lshlrev_b32_e32 v10, 2, v0
	v_mov_b32_e32 v11, s1
	v_add_co_u32_e32 v10, vcc, s0, v10
	v_addc_co_u32_e32 v11, vcc, 0, v11, vcc
	flat_load_dword v10, v[10:11]
.LBB5800_5:
	s_or_b64 exec, exec, s[2:3]
	v_or_b32_e32 v11, 0x80, v0
	v_cmp_gt_u32_e32 vcc, s7, v11
	s_and_saveexec_b64 s[2:3], vcc
	s_cbranch_execz .LBB5800_7
; %bb.6:
	v_lshlrev_b32_e32 v1, 2, v0
	v_mov_b32_e32 v11, s1
	v_add_co_u32_e32 v12, vcc, s0, v1
	v_addc_co_u32_e32 v13, vcc, 0, v11, vcc
	flat_load_dword v1, v[12:13] offset:512
.LBB5800_7:
	s_or_b64 exec, exec, s[2:3]
	v_or_b32_e32 v11, 0x100, v0
	v_cmp_gt_u32_e32 vcc, s7, v11
	s_and_saveexec_b64 s[2:3], vcc
	s_cbranch_execz .LBB5800_9
; %bb.8:
	v_lshlrev_b32_e32 v2, 2, v0
	v_mov_b32_e32 v11, s1
	v_add_co_u32_e32 v12, vcc, s0, v2
	v_addc_co_u32_e32 v13, vcc, 0, v11, vcc
	flat_load_dword v2, v[12:13] offset:1024
.LBB5800_9:
	;; [unrolled: 12-line block ×7, first 2 shown]
	s_or_b64 exec, exec, s[2:3]
	v_or_b32_e32 v11, 0x400, v0
	v_cmp_gt_u32_e32 vcc, s7, v11
	s_and_saveexec_b64 s[2:3], vcc
	s_cbranch_execz .LBB5800_21
; %bb.20:
	v_lshlrev_b32_e32 v8, 2, v11
	v_mov_b32_e32 v11, s1
	v_add_co_u32_e32 v12, vcc, s0, v8
	v_addc_co_u32_e32 v13, vcc, 0, v11, vcc
	flat_load_dword v8, v[12:13]
.LBB5800_21:
	s_or_b64 exec, exec, s[2:3]
	v_or_b32_e32 v11, 0x480, v0
	v_cmp_gt_u32_e32 vcc, s7, v11
	s_and_saveexec_b64 s[2:3], vcc
	s_cbranch_execz .LBB5800_23
; %bb.22:
	v_lshlrev_b32_e32 v9, 2, v11
	v_mov_b32_e32 v11, s1
	v_add_co_u32_e32 v12, vcc, s0, v9
	v_addc_co_u32_e32 v13, vcc, 0, v11, vcc
	flat_load_dword v9, v[12:13]
.LBB5800_23:
	s_or_b64 exec, exec, s[2:3]
	v_lshlrev_b32_e32 v11, 2, v0
	s_waitcnt vmcnt(0) lgkmcnt(0)
	ds_write2st64_b32 v11, v10, v1 offset1:2
	ds_write2st64_b32 v11, v2, v3 offset0:4 offset1:6
	ds_write2st64_b32 v11, v4, v5 offset0:8 offset1:10
	;; [unrolled: 1-line block ×4, first 2 shown]
	s_waitcnt lgkmcnt(0)
	s_barrier
.LBB5800_24:
	v_mul_u32_u24_e32 v22, 10, v0
	v_lshlrev_b32_e32 v1, 2, v22
	s_waitcnt lgkmcnt(0)
	ds_read2_b64 v[16:19], v1 offset1:1
	ds_read2_b64 v[12:15], v1 offset0:2 offset1:3
	ds_read_b64 v[20:21], v1 offset:32
	s_cmp_lg_u32 s6, 0
	v_lshrrev_b32_e32 v23, 5, v0
	s_waitcnt lgkmcnt(2)
	v_add_u32_e32 v2, v17, v16
	v_add3_u32 v24, v2, v18, v19
	v_cmp_gt_u32_e32 vcc, 64, v0
	s_waitcnt lgkmcnt(0)
	s_barrier
	s_cbranch_scc0 .LBB5800_49
; %bb.25:
	v_add3_u32 v2, v24, v12, v13
	v_add3_u32 v2, v2, v14, v15
	;; [unrolled: 1-line block ×3, first 2 shown]
	v_add_lshl_u32 v3, v23, v0, 2
	ds_write_b32 v3, v2
	s_waitcnt lgkmcnt(0)
	s_barrier
	s_and_saveexec_b64 s[2:3], vcc
	s_cbranch_execz .LBB5800_27
; %bb.26:
	v_lshlrev_b32_e32 v3, 1, v0
	v_lshrrev_b32_e32 v4, 4, v0
	v_add_lshl_u32 v3, v4, v3, 2
	ds_read2_b32 v[4:5], v3 offset1:1
	v_mbcnt_lo_u32_b32 v6, -1, 0
	v_mbcnt_hi_u32_b32 v6, -1, v6
	v_and_b32_e32 v7, 15, v6
	v_cmp_ne_u32_e64 s[0:1], 0, v7
	s_waitcnt lgkmcnt(0)
	v_add_u32_e32 v5, v5, v4
	; wave barrier
	s_nop 1
	v_mov_b32_dpp v8, v5 row_shr:1 row_mask:0xf bank_mask:0xf
	v_cndmask_b32_e64 v8, 0, v8, s[0:1]
	v_add_u32_e32 v5, v8, v5
	v_cmp_lt_u32_e64 s[0:1], 1, v7
	s_nop 0
	v_mov_b32_dpp v8, v5 row_shr:2 row_mask:0xf bank_mask:0xf
	v_cndmask_b32_e64 v8, 0, v8, s[0:1]
	v_add_u32_e32 v5, v5, v8
	v_cmp_lt_u32_e64 s[0:1], 3, v7
	;; [unrolled: 5-line block ×3, first 2 shown]
	s_nop 0
	v_mov_b32_dpp v8, v5 row_shr:8 row_mask:0xf bank_mask:0xf
	v_cndmask_b32_e64 v7, 0, v8, s[0:1]
	v_add_u32_e32 v5, v5, v7
	v_bfe_i32 v8, v6, 4, 1
	v_cmp_lt_u32_e64 s[0:1], 31, v6
	v_mov_b32_dpp v7, v5 row_bcast:15 row_mask:0xf bank_mask:0xf
	v_and_b32_e32 v7, v8, v7
	v_add_u32_e32 v5, v5, v7
	v_and_b32_e32 v8, 64, v6
	s_nop 0
	v_mov_b32_dpp v7, v5 row_bcast:31 row_mask:0xf bank_mask:0xf
	v_cndmask_b32_e64 v7, 0, v7, s[0:1]
	v_add_u32_e32 v5, v5, v7
	v_add_u32_e32 v7, -1, v6
	v_cmp_lt_i32_e64 s[0:1], v7, v8
	v_cndmask_b32_e64 v6, v7, v6, s[0:1]
	v_lshlrev_b32_e32 v6, 2, v6
	ds_bpermute_b32 v5, v6, v5
	v_cmp_eq_u32_e64 s[0:1], 0, v0
	s_waitcnt lgkmcnt(0)
	v_add_u32_e32 v4, v5, v4
	v_cndmask_b32_e64 v2, v4, v2, s[0:1]
	ds_write_b32 v3, v2
	; wave barrier
	ds_read_b32 v4, v3 offset:4
	s_waitcnt lgkmcnt(0)
	v_add_u32_e32 v2, v4, v2
	ds_write_b32 v3, v2 offset:4
.LBB5800_27:
	s_or_b64 exec, exec, s[2:3]
	v_cmp_eq_u32_e64 s[0:1], 0, v0
	v_cmp_ne_u32_e64 s[2:3], 0, v0
	v_mov_b32_e32 v25, 0
	s_waitcnt lgkmcnt(0)
	s_barrier
	s_and_saveexec_b64 s[8:9], s[2:3]
	s_cbranch_execz .LBB5800_29
; %bb.28:
	v_add_u32_e32 v2, -1, v0
	v_lshrrev_b32_e32 v3, 5, v2
	v_add_lshl_u32 v2, v3, v2, 2
	ds_read_b32 v25, v2
.LBB5800_29:
	s_or_b64 exec, exec, s[8:9]
	s_and_saveexec_b64 s[8:9], vcc
	s_cbranch_execz .LBB5800_48
; %bb.30:
	v_mov_b32_e32 v9, 0
	ds_read_b32 v2, v9 offset:520
	v_mbcnt_lo_u32_b32 v3, -1, 0
	v_mbcnt_hi_u32_b32 v5, -1, v3
	s_mov_b32 s13, 0
	v_cmp_eq_u32_e64 s[2:3], 0, v5
	s_and_saveexec_b64 s[10:11], s[2:3]
	s_cbranch_execz .LBB5800_32
; %bb.31:
	s_add_i32 s12, s6, 64
	s_lshl_b64 s[12:13], s[12:13], 3
	s_add_u32 s12, s18, s12
	v_mov_b32_e32 v3, 1
	s_addc_u32 s13, s19, s13
	s_waitcnt lgkmcnt(0)
	global_store_dwordx2 v9, v[2:3], s[12:13]
.LBB5800_32:
	s_or_b64 exec, exec, s[10:11]
	v_xad_u32 v4, v5, -1, s6
	v_add_u32_e32 v8, 64, v4
	v_lshlrev_b64 v[6:7], 3, v[8:9]
	v_mov_b32_e32 v3, s19
	v_add_co_u32_e32 v10, vcc, s18, v6
	v_addc_co_u32_e32 v11, vcc, v3, v7, vcc
	global_load_dwordx2 v[6:7], v[10:11], off glc
	s_waitcnt vmcnt(0)
	v_cmp_eq_u16_sdwa s[12:13], v7, v9 src0_sel:BYTE_0 src1_sel:DWORD
	s_and_saveexec_b64 s[10:11], s[12:13]
	s_cbranch_execz .LBB5800_36
; %bb.33:
	s_mov_b64 s[12:13], 0
	v_mov_b32_e32 v3, 0
.LBB5800_34:                            ; =>This Inner Loop Header: Depth=1
	global_load_dwordx2 v[6:7], v[10:11], off glc
	s_waitcnt vmcnt(0)
	v_cmp_ne_u16_sdwa s[14:15], v7, v3 src0_sel:BYTE_0 src1_sel:DWORD
	s_or_b64 s[12:13], s[14:15], s[12:13]
	s_andn2_b64 exec, exec, s[12:13]
	s_cbranch_execnz .LBB5800_34
; %bb.35:
	s_or_b64 exec, exec, s[12:13]
.LBB5800_36:
	s_or_b64 exec, exec, s[10:11]
	v_and_b32_e32 v26, 63, v5
	v_mov_b32_e32 v3, 2
	v_cmp_ne_u32_e32 vcc, 63, v26
	v_cmp_eq_u16_sdwa s[10:11], v7, v3 src0_sel:BYTE_0 src1_sel:DWORD
	v_lshlrev_b64 v[8:9], v5, -1
	v_addc_co_u32_e32 v27, vcc, 0, v5, vcc
	v_and_b32_e32 v10, s11, v9
	v_lshlrev_b32_e32 v27, 2, v27
	v_or_b32_e32 v10, 0x80000000, v10
	ds_bpermute_b32 v28, v27, v6
	v_and_b32_e32 v11, s10, v8
	v_ffbl_b32_e32 v10, v10
	v_add_u32_e32 v10, 32, v10
	v_ffbl_b32_e32 v11, v11
	v_min_u32_e32 v10, v11, v10
	v_cmp_lt_u32_e32 vcc, v26, v10
	s_waitcnt lgkmcnt(0)
	v_cndmask_b32_e32 v11, 0, v28, vcc
	v_cmp_gt_u32_e32 vcc, 62, v26
	v_add_u32_e32 v6, v11, v6
	v_cndmask_b32_e64 v11, 0, 1, vcc
	v_lshlrev_b32_e32 v11, 1, v11
	v_add_lshl_u32 v28, v11, v5, 2
	ds_bpermute_b32 v11, v28, v6
	v_add_u32_e32 v29, 2, v26
	v_cmp_le_u32_e32 vcc, v29, v10
	v_add_u32_e32 v31, 4, v26
	v_add_u32_e32 v33, 8, v26
	s_waitcnt lgkmcnt(0)
	v_cndmask_b32_e32 v11, 0, v11, vcc
	v_cmp_gt_u32_e32 vcc, 60, v26
	v_add_u32_e32 v6, v6, v11
	v_cndmask_b32_e64 v11, 0, 1, vcc
	v_lshlrev_b32_e32 v11, 2, v11
	v_add_lshl_u32 v30, v11, v5, 2
	ds_bpermute_b32 v11, v30, v6
	v_cmp_le_u32_e32 vcc, v31, v10
	v_add_u32_e32 v36, 16, v26
	v_add_u32_e32 v38, 32, v26
	s_waitcnt lgkmcnt(0)
	v_cndmask_b32_e32 v11, 0, v11, vcc
	v_cmp_gt_u32_e32 vcc, 56, v26
	v_add_u32_e32 v6, v6, v11
	v_cndmask_b32_e64 v11, 0, 1, vcc
	v_lshlrev_b32_e32 v11, 3, v11
	v_add_lshl_u32 v32, v11, v5, 2
	ds_bpermute_b32 v11, v32, v6
	v_cmp_le_u32_e32 vcc, v33, v10
	s_waitcnt lgkmcnt(0)
	v_cndmask_b32_e32 v11, 0, v11, vcc
	v_cmp_gt_u32_e32 vcc, 48, v26
	v_add_u32_e32 v6, v6, v11
	v_cndmask_b32_e64 v11, 0, 1, vcc
	v_lshlrev_b32_e32 v11, 4, v11
	v_add_lshl_u32 v35, v11, v5, 2
	ds_bpermute_b32 v11, v35, v6
	v_cmp_le_u32_e32 vcc, v36, v10
	;; [unrolled: 9-line block ×3, first 2 shown]
	s_waitcnt lgkmcnt(0)
	v_cndmask_b32_e32 v5, 0, v5, vcc
	v_add_u32_e32 v6, v6, v5
	v_mov_b32_e32 v5, 0
	s_branch .LBB5800_38
.LBB5800_37:                            ;   in Loop: Header=BB5800_38 Depth=1
	s_or_b64 exec, exec, s[10:11]
	v_cmp_eq_u16_sdwa s[10:11], v7, v3 src0_sel:BYTE_0 src1_sel:DWORD
	v_and_b32_e32 v10, s11, v9
	v_or_b32_e32 v10, 0x80000000, v10
	ds_bpermute_b32 v39, v27, v6
	v_and_b32_e32 v11, s10, v8
	v_ffbl_b32_e32 v10, v10
	v_add_u32_e32 v10, 32, v10
	v_ffbl_b32_e32 v11, v11
	v_min_u32_e32 v10, v11, v10
	v_cmp_lt_u32_e32 vcc, v26, v10
	s_waitcnt lgkmcnt(0)
	v_cndmask_b32_e32 v11, 0, v39, vcc
	v_add_u32_e32 v6, v11, v6
	ds_bpermute_b32 v11, v28, v6
	v_cmp_le_u32_e32 vcc, v29, v10
	v_subrev_u32_e32 v4, 64, v4
	s_waitcnt lgkmcnt(0)
	v_cndmask_b32_e32 v11, 0, v11, vcc
	v_add_u32_e32 v6, v6, v11
	ds_bpermute_b32 v11, v30, v6
	v_cmp_le_u32_e32 vcc, v31, v10
	s_waitcnt lgkmcnt(0)
	v_cndmask_b32_e32 v11, 0, v11, vcc
	v_add_u32_e32 v6, v6, v11
	ds_bpermute_b32 v11, v32, v6
	v_cmp_le_u32_e32 vcc, v33, v10
	;; [unrolled: 5-line block ×4, first 2 shown]
	s_waitcnt lgkmcnt(0)
	v_cndmask_b32_e32 v10, 0, v11, vcc
	v_add3_u32 v6, v10, v34, v6
.LBB5800_38:                            ; =>This Loop Header: Depth=1
                                        ;     Child Loop BB5800_41 Depth 2
	v_cmp_ne_u16_sdwa s[10:11], v7, v3 src0_sel:BYTE_0 src1_sel:DWORD
	v_cndmask_b32_e64 v7, 0, 1, s[10:11]
	;;#ASMSTART
	;;#ASMEND
	v_cmp_ne_u32_e32 vcc, 0, v7
	s_cmp_lg_u64 vcc, exec
	v_mov_b32_e32 v34, v6
	s_cbranch_scc1 .LBB5800_43
; %bb.39:                               ;   in Loop: Header=BB5800_38 Depth=1
	v_lshlrev_b64 v[6:7], 3, v[4:5]
	v_mov_b32_e32 v11, s19
	v_add_co_u32_e32 v10, vcc, s18, v6
	v_addc_co_u32_e32 v11, vcc, v11, v7, vcc
	global_load_dwordx2 v[6:7], v[10:11], off glc
	s_waitcnt vmcnt(0)
	v_cmp_eq_u16_sdwa s[12:13], v7, v5 src0_sel:BYTE_0 src1_sel:DWORD
	s_and_saveexec_b64 s[10:11], s[12:13]
	s_cbranch_execz .LBB5800_37
; %bb.40:                               ;   in Loop: Header=BB5800_38 Depth=1
	s_mov_b64 s[12:13], 0
.LBB5800_41:                            ;   Parent Loop BB5800_38 Depth=1
                                        ; =>  This Inner Loop Header: Depth=2
	global_load_dwordx2 v[6:7], v[10:11], off glc
	s_waitcnt vmcnt(0)
	v_cmp_ne_u16_sdwa s[14:15], v7, v5 src0_sel:BYTE_0 src1_sel:DWORD
	s_or_b64 s[12:13], s[14:15], s[12:13]
	s_andn2_b64 exec, exec, s[12:13]
	s_cbranch_execnz .LBB5800_41
; %bb.42:                               ;   in Loop: Header=BB5800_38 Depth=1
	s_or_b64 exec, exec, s[12:13]
	s_branch .LBB5800_37
.LBB5800_43:                            ;   in Loop: Header=BB5800_38 Depth=1
                                        ; implicit-def: $vgpr6
                                        ; implicit-def: $vgpr7
	s_cbranch_execz .LBB5800_38
; %bb.44:
	s_and_saveexec_b64 s[10:11], s[2:3]
	s_cbranch_execz .LBB5800_46
; %bb.45:
	s_add_i32 s2, s6, 64
	s_mov_b32 s3, 0
	s_lshl_b64 s[2:3], s[2:3], 3
	s_add_u32 s2, s18, s2
	v_add_u32_e32 v2, v34, v2
	v_mov_b32_e32 v3, 2
	s_addc_u32 s3, s19, s3
	v_mov_b32_e32 v4, 0
	global_store_dwordx2 v4, v[2:3], s[2:3]
.LBB5800_46:
	s_or_b64 exec, exec, s[10:11]
	s_and_b64 exec, exec, s[0:1]
	s_cbranch_execz .LBB5800_48
; %bb.47:
	v_mov_b32_e32 v2, 0
	ds_write_b32 v2, v34
.LBB5800_48:
	s_or_b64 exec, exec, s[8:9]
	v_mov_b32_e32 v2, 0
	s_waitcnt lgkmcnt(0)
	s_barrier
	ds_read_b32 v2, v2
	s_waitcnt lgkmcnt(0)
	v_add_u32_e32 v2, v2, v25
	v_add_u32_e32 v3, v2, v16
	;; [unrolled: 1-line block ×10, first 2 shown]
	s_load_dwordx8 s[8:15], s[4:5], 0x40
	s_branch .LBB5800_59
.LBB5800_49:
                                        ; implicit-def: $vgpr2_vgpr3_vgpr4_vgpr5_vgpr6_vgpr7_vgpr8_vgpr9_vgpr10_vgpr11
	s_load_dwordx8 s[8:15], s[4:5], 0x40
	s_cbranch_execz .LBB5800_59
; %bb.50:
	s_load_dword s0, s[4:5], 0x28
	s_waitcnt lgkmcnt(0)
	s_cmp_eq_u64 s[12:13], 0
	v_mov_b32_e32 v25, s0
	s_cbranch_scc1 .LBB5800_52
; %bb.51:
	v_mov_b32_e32 v3, s22
	v_add_co_u32_e64 v2, vcc, -4, s21
	v_addc_co_u32_e32 v3, vcc, -1, v3, vcc
	v_mov_b32_e32 v4, 0
	flat_load_dword v5, v[2:3]
	global_load_dword v6, v4, s[8:9]
	s_waitcnt vmcnt(0) lgkmcnt(0)
	v_add_u32_e32 v25, v6, v5
.LBB5800_52:
	v_add3_u32 v2, v24, v12, v13
	v_add3_u32 v2, v2, v14, v15
	;; [unrolled: 1-line block ×3, first 2 shown]
	v_add_lshl_u32 v3, v23, v0, 2
	v_cmp_gt_u32_e32 vcc, 64, v0
	ds_write_b32 v3, v2
	s_waitcnt lgkmcnt(0)
	s_barrier
	s_and_saveexec_b64 s[0:1], vcc
	s_cbranch_execz .LBB5800_54
; %bb.53:
	v_lshlrev_b32_e32 v3, 1, v0
	v_lshrrev_b32_e32 v4, 4, v0
	v_add_lshl_u32 v3, v4, v3, 2
	ds_read2_b32 v[4:5], v3 offset1:1
	v_mbcnt_lo_u32_b32 v6, -1, 0
	v_mbcnt_hi_u32_b32 v6, -1, v6
	v_and_b32_e32 v7, 15, v6
	v_cmp_ne_u32_e32 vcc, 0, v7
	s_waitcnt lgkmcnt(0)
	v_add_u32_e32 v5, v5, v4
	; wave barrier
	s_nop 1
	v_mov_b32_dpp v8, v5 row_shr:1 row_mask:0xf bank_mask:0xf
	v_cndmask_b32_e32 v8, 0, v8, vcc
	v_add_u32_e32 v5, v8, v5
	v_cmp_lt_u32_e32 vcc, 1, v7
	s_nop 0
	v_mov_b32_dpp v8, v5 row_shr:2 row_mask:0xf bank_mask:0xf
	v_cndmask_b32_e32 v8, 0, v8, vcc
	v_add_u32_e32 v5, v5, v8
	v_cmp_lt_u32_e32 vcc, 3, v7
	;; [unrolled: 5-line block ×3, first 2 shown]
	s_nop 0
	v_mov_b32_dpp v8, v5 row_shr:8 row_mask:0xf bank_mask:0xf
	v_cndmask_b32_e32 v7, 0, v8, vcc
	v_add_u32_e32 v5, v5, v7
	v_bfe_i32 v8, v6, 4, 1
	v_cmp_lt_u32_e32 vcc, 31, v6
	v_mov_b32_dpp v7, v5 row_bcast:15 row_mask:0xf bank_mask:0xf
	v_and_b32_e32 v7, v8, v7
	v_add_u32_e32 v5, v5, v7
	v_and_b32_e32 v8, 64, v6
	s_nop 0
	v_mov_b32_dpp v7, v5 row_bcast:31 row_mask:0xf bank_mask:0xf
	v_cndmask_b32_e32 v7, 0, v7, vcc
	v_add_u32_e32 v5, v5, v7
	v_add_u32_e32 v7, -1, v6
	v_cmp_lt_i32_e32 vcc, v7, v8
	v_cndmask_b32_e32 v6, v7, v6, vcc
	v_lshlrev_b32_e32 v6, 2, v6
	ds_bpermute_b32 v5, v6, v5
	v_cmp_eq_u32_e32 vcc, 0, v0
	s_waitcnt lgkmcnt(0)
	v_add_u32_e32 v4, v5, v4
	v_cndmask_b32_e32 v2, v4, v2, vcc
	ds_write_b32 v3, v2
	; wave barrier
	ds_read_b32 v4, v3 offset:4
	s_waitcnt lgkmcnt(0)
	v_add_u32_e32 v2, v4, v2
	ds_write_b32 v3, v2 offset:4
.LBB5800_54:
	s_or_b64 exec, exec, s[0:1]
	v_cmp_eq_u32_e32 vcc, 0, v0
	v_cmp_ne_u32_e64 s[0:1], 0, v0
	v_mov_b32_e32 v2, v25
	s_waitcnt lgkmcnt(0)
	s_barrier
	s_and_saveexec_b64 s[2:3], s[0:1]
	s_cbranch_execz .LBB5800_56
; %bb.55:
	v_add_u32_e32 v2, -1, v0
	v_lshrrev_b32_e32 v3, 5, v2
	v_add_lshl_u32 v2, v3, v2, 2
	ds_read_b32 v2, v2
	s_waitcnt lgkmcnt(0)
	v_add_u32_e32 v2, v2, v25
.LBB5800_56:
	s_or_b64 exec, exec, s[2:3]
	v_add_u32_e32 v3, v2, v16
	v_add_u32_e32 v4, v3, v17
	;; [unrolled: 1-line block ×9, first 2 shown]
	s_and_saveexec_b64 s[0:1], vcc
	s_cbranch_execz .LBB5800_58
; %bb.57:
	v_mov_b32_e32 v14, 0
	ds_read_b32 v12, v14 offset:520
	v_mov_b32_e32 v13, 2
	s_waitcnt lgkmcnt(0)
	v_add_u32_e32 v12, v12, v25
	global_store_dwordx2 v14, v[12:13], s[18:19] offset:512
.LBB5800_58:
	s_or_b64 exec, exec, s[0:1]
.LBB5800_59:
	s_mov_b64 s[0:1], -1
	s_and_b64 vcc, exec, s[16:17]
	s_waitcnt lgkmcnt(0)
	s_barrier
	ds_write2_b64 v1, v[2:3], v[4:5] offset1:1
	ds_write2_b64 v1, v[6:7], v[8:9] offset0:2 offset1:3
	ds_write_b64 v1, v[10:11] offset:32
	s_waitcnt lgkmcnt(0)
	s_cbranch_vccz .LBB5800_61
; %bb.60:
	s_barrier
	s_mov_b64 s[0:1], 0
.LBB5800_61:
	s_andn2_b64 vcc, exec, s[0:1]
	s_cbranch_vccnz .LBB5800_97
; %bb.62:
	v_cmp_lt_u64_e64 s[0:1], s[14:15], 2
	s_and_b64 vcc, exec, s[0:1]
	s_barrier
	s_cbranch_vccnz .LBB5800_97
; %bb.63:
	s_add_u32 s0, s7, -1
	s_addc_u32 s1, s20, -1
	s_add_u32 s2, 0, 0x99986000
	s_addc_u32 s3, 0, 0x59
	s_add_i32 s3, s3, 0x19999940
	s_mul_hi_u32 s7, s2, -10
	s_sub_i32 s7, s7, s2
	s_mul_i32 s8, s3, -10
	s_mul_i32 s4, s2, -10
	s_add_i32 s7, s7, s8
	s_mul_hi_u32 s5, s3, s4
	s_mul_i32 s6, s3, s4
	s_mul_i32 s9, s2, s7
	s_mul_hi_u32 s4, s2, s4
	s_mul_hi_u32 s8, s2, s7
	s_add_u32 s4, s4, s9
	s_addc_u32 s8, 0, s8
	s_add_u32 s4, s4, s6
	s_mul_hi_u32 s9, s3, s7
	s_addc_u32 s4, s8, s5
	s_addc_u32 s5, s9, 0
	s_mul_i32 s6, s3, s7
	s_add_u32 s4, s4, s6
	v_mov_b32_e32 v2, s4
	s_addc_u32 s5, 0, s5
	v_add_co_u32_e32 v2, vcc, s2, v2
	s_cmp_lg_u64 vcc, 0
	s_addc_u32 s2, s3, s5
	v_readfirstlane_b32 s5, v2
	s_mul_i32 s4, s0, s2
	s_mul_hi_u32 s6, s0, s5
	s_mul_hi_u32 s3, s0, s2
	s_add_u32 s4, s6, s4
	s_addc_u32 s3, 0, s3
	s_mul_hi_u32 s7, s1, s5
	s_mul_i32 s5, s1, s5
	s_add_u32 s4, s4, s5
	s_mul_hi_u32 s6, s1, s2
	s_addc_u32 s3, s3, s7
	s_addc_u32 s4, s6, 0
	s_mul_i32 s2, s1, s2
	s_add_u32 s2, s3, s2
	s_addc_u32 s3, 0, s4
	s_add_u32 s4, s2, 1
	s_addc_u32 s5, s3, 0
	s_add_u32 s6, s2, 2
	s_mul_i32 s8, s3, 10
	s_mul_hi_u32 s9, s2, 10
	s_addc_u32 s7, s3, 0
	s_add_i32 s9, s9, s8
	s_mul_i32 s8, s2, 10
	v_mov_b32_e32 v2, s8
	v_sub_co_u32_e32 v2, vcc, s0, v2
	s_cmp_lg_u64 vcc, 0
	s_subb_u32 s8, s1, s9
	v_subrev_co_u32_e32 v3, vcc, 10, v2
	s_cmp_lg_u64 vcc, 0
	s_subb_u32 s9, s8, 0
	v_readfirstlane_b32 s12, v3
	s_cmp_gt_u32 s12, 9
	s_cselect_b32 s12, -1, 0
	s_cmp_eq_u32 s9, 0
	s_cselect_b32 s9, s12, -1
	s_cmp_lg_u32 s9, 0
	s_cselect_b32 s4, s6, s4
	v_readfirstlane_b32 s6, v2
	s_cselect_b32 s5, s7, s5
	s_cmp_gt_u32 s6, 9
	s_cselect_b32 s6, -1, 0
	s_cmp_eq_u32 s8, 0
	s_cselect_b32 s6, s6, -1
	s_cmp_lg_u32 s6, 0
	v_mov_b32_e32 v1, 0
	s_cselect_b32 s3, s5, s3
	s_cselect_b32 s2, s4, s2
	v_cmp_eq_u64_e32 vcc, s[2:3], v[0:1]
	s_and_saveexec_b64 s[2:3], vcc
	s_cbranch_execz .LBB5800_97
; %bb.64:
	v_lshlrev_b32_e32 v2, 2, v0
	v_mul_hi_u32_u24_e32 v1, 10, v0
	v_mov_b32_e32 v3, s1
	v_sub_co_u32_e32 v0, vcc, s0, v22
	v_subb_co_u32_e32 v1, vcc, v3, v1, vcc
	v_cmp_lt_i64_e32 vcc, 4, v[0:1]
	s_and_saveexec_b64 s[0:1], vcc
	s_xor_b64 s[0:1], exec, s[0:1]
	s_cbranch_execz .LBB5800_82
; %bb.65:
	v_cmp_lt_i64_e32 vcc, 6, v[0:1]
	s_and_saveexec_b64 s[2:3], vcc
	s_xor_b64 s[2:3], exec, s[2:3]
	s_cbranch_execz .LBB5800_75
; %bb.66:
	;; [unrolled: 5-line block ×4, first 2 shown]
	ds_read_b32 v0, v2 offset:4608
	v_mov_b32_e32 v1, 0
                                        ; implicit-def: $vgpr2
	s_waitcnt lgkmcnt(0)
	global_store_dword v1, v0, s[10:11]
.LBB5800_69:
	s_andn2_saveexec_b64 s[6:7], s[6:7]
	s_cbranch_execz .LBB5800_71
; %bb.70:
	ds_read_b32 v0, v2 offset:4096
	v_mov_b32_e32 v1, 0
	s_waitcnt lgkmcnt(0)
	global_store_dword v1, v0, s[10:11]
.LBB5800_71:
	s_or_b64 exec, exec, s[6:7]
                                        ; implicit-def: $vgpr2
.LBB5800_72:
	s_andn2_saveexec_b64 s[4:5], s[4:5]
	s_cbranch_execz .LBB5800_74
; %bb.73:
	ds_read_b32 v0, v2 offset:3584
	v_mov_b32_e32 v1, 0
	s_waitcnt lgkmcnt(0)
	global_store_dword v1, v0, s[10:11]
.LBB5800_74:
	s_or_b64 exec, exec, s[4:5]
                                        ; implicit-def: $vgpr2
                                        ; implicit-def: $vgpr0_vgpr1
.LBB5800_75:
	s_andn2_saveexec_b64 s[2:3], s[2:3]
	s_cbranch_execz .LBB5800_81
; %bb.76:
	v_cmp_lt_i64_e32 vcc, 5, v[0:1]
	s_and_saveexec_b64 s[4:5], vcc
	s_xor_b64 s[4:5], exec, s[4:5]
	s_cbranch_execz .LBB5800_78
; %bb.77:
	ds_read_b32 v0, v2 offset:3072
	v_mov_b32_e32 v1, 0
                                        ; implicit-def: $vgpr2
	s_waitcnt lgkmcnt(0)
	global_store_dword v1, v0, s[10:11]
.LBB5800_78:
	s_andn2_saveexec_b64 s[4:5], s[4:5]
	s_cbranch_execz .LBB5800_80
; %bb.79:
	ds_read_b32 v0, v2 offset:2560
	v_mov_b32_e32 v1, 0
	s_waitcnt lgkmcnt(0)
	global_store_dword v1, v0, s[10:11]
.LBB5800_80:
	s_or_b64 exec, exec, s[4:5]
.LBB5800_81:
	s_or_b64 exec, exec, s[2:3]
                                        ; implicit-def: $vgpr0_vgpr1
                                        ; implicit-def: $vgpr2
.LBB5800_82:
	s_andn2_saveexec_b64 s[0:1], s[0:1]
	s_cbranch_execz .LBB5800_97
; %bb.83:
	v_cmp_lt_i64_e32 vcc, 2, v[0:1]
	s_and_saveexec_b64 s[0:1], vcc
	s_xor_b64 s[0:1], exec, s[0:1]
	s_cbranch_execz .LBB5800_89
; %bb.84:
	v_cmp_lt_i64_e32 vcc, 3, v[0:1]
	s_and_saveexec_b64 s[2:3], vcc
	s_xor_b64 s[2:3], exec, s[2:3]
	s_cbranch_execz .LBB5800_86
; %bb.85:
	ds_read_b32 v0, v2 offset:2048
	v_mov_b32_e32 v1, 0
                                        ; implicit-def: $vgpr2
	s_waitcnt lgkmcnt(0)
	global_store_dword v1, v0, s[10:11]
.LBB5800_86:
	s_andn2_saveexec_b64 s[2:3], s[2:3]
	s_cbranch_execz .LBB5800_88
; %bb.87:
	ds_read_b32 v0, v2 offset:1536
	v_mov_b32_e32 v1, 0
	s_waitcnt lgkmcnt(0)
	global_store_dword v1, v0, s[10:11]
.LBB5800_88:
	s_or_b64 exec, exec, s[2:3]
                                        ; implicit-def: $vgpr0_vgpr1
                                        ; implicit-def: $vgpr2
.LBB5800_89:
	s_andn2_saveexec_b64 s[0:1], s[0:1]
	s_cbranch_execz .LBB5800_97
; %bb.90:
	v_cmp_lt_i64_e32 vcc, 1, v[0:1]
	s_and_saveexec_b64 s[0:1], vcc
	s_xor_b64 s[0:1], exec, s[0:1]
	s_cbranch_execz .LBB5800_92
; %bb.91:
	ds_read_b32 v0, v2 offset:1024
	v_mov_b32_e32 v1, 0
                                        ; implicit-def: $vgpr2
	s_waitcnt lgkmcnt(0)
	global_store_dword v1, v0, s[10:11]
                                        ; implicit-def: $vgpr0_vgpr1
.LBB5800_92:
	s_andn2_saveexec_b64 s[0:1], s[0:1]
	s_cbranch_execz .LBB5800_97
; %bb.93:
	v_cmp_ne_u64_e32 vcc, 1, v[0:1]
	s_and_saveexec_b64 s[0:1], vcc
	s_xor_b64 s[0:1], exec, s[0:1]
	s_cbranch_execz .LBB5800_95
; %bb.94:
	ds_read_b32 v0, v2
	v_mov_b32_e32 v1, 0
                                        ; implicit-def: $vgpr2
	s_waitcnt lgkmcnt(0)
	global_store_dword v1, v0, s[10:11]
.LBB5800_95:
	s_andn2_saveexec_b64 s[0:1], s[0:1]
	s_cbranch_execz .LBB5800_97
; %bb.96:
	ds_read_b32 v0, v2 offset:512
	v_mov_b32_e32 v1, 0
	s_waitcnt lgkmcnt(0)
	global_store_dword v1, v0, s[10:11]
.LBB5800_97:
	s_endpgm
	.section	.rodata,"a",@progbits
	.p2align	6, 0x0
	.amdhsa_kernel _ZN7rocprim17ROCPRIM_400000_NS6detail17trampoline_kernelINS0_14default_configENS1_20scan_config_selectorIiEEZZNS1_9scan_implILNS1_25lookback_scan_determinismE0ELb1ELb1ES3_N6thrust23THRUST_200600_302600_NS6detail15normal_iteratorINS9_10device_ptrIiEEEENS9_16discard_iteratorINS9_11use_defaultEEEiNS9_4plusIvEEiEEDaPvRmT3_T4_T5_mT6_P12ihipStream_tbENKUlT_T0_E_clISt17integral_constantIbLb0EESX_EEDaSS_ST_EUlSS_E_NS1_11comp_targetILNS1_3genE4ELNS1_11target_archE910ELNS1_3gpuE8ELNS1_3repE0EEENS1_30default_config_static_selectorELNS0_4arch9wavefront6targetE1EEEvT1_
		.amdhsa_group_segment_fixed_size 5120
		.amdhsa_private_segment_fixed_size 0
		.amdhsa_kernarg_size 104
		.amdhsa_user_sgpr_count 6
		.amdhsa_user_sgpr_private_segment_buffer 1
		.amdhsa_user_sgpr_dispatch_ptr 0
		.amdhsa_user_sgpr_queue_ptr 0
		.amdhsa_user_sgpr_kernarg_segment_ptr 1
		.amdhsa_user_sgpr_dispatch_id 0
		.amdhsa_user_sgpr_flat_scratch_init 0
		.amdhsa_user_sgpr_kernarg_preload_length 0
		.amdhsa_user_sgpr_kernarg_preload_offset 0
		.amdhsa_user_sgpr_private_segment_size 0
		.amdhsa_uses_dynamic_stack 0
		.amdhsa_system_sgpr_private_segment_wavefront_offset 0
		.amdhsa_system_sgpr_workgroup_id_x 1
		.amdhsa_system_sgpr_workgroup_id_y 0
		.amdhsa_system_sgpr_workgroup_id_z 0
		.amdhsa_system_sgpr_workgroup_info 0
		.amdhsa_system_vgpr_workitem_id 0
		.amdhsa_next_free_vgpr 40
		.amdhsa_next_free_sgpr 23
		.amdhsa_accum_offset 40
		.amdhsa_reserve_vcc 1
		.amdhsa_reserve_flat_scratch 0
		.amdhsa_float_round_mode_32 0
		.amdhsa_float_round_mode_16_64 0
		.amdhsa_float_denorm_mode_32 3
		.amdhsa_float_denorm_mode_16_64 3
		.amdhsa_dx10_clamp 1
		.amdhsa_ieee_mode 1
		.amdhsa_fp16_overflow 0
		.amdhsa_tg_split 0
		.amdhsa_exception_fp_ieee_invalid_op 0
		.amdhsa_exception_fp_denorm_src 0
		.amdhsa_exception_fp_ieee_div_zero 0
		.amdhsa_exception_fp_ieee_overflow 0
		.amdhsa_exception_fp_ieee_underflow 0
		.amdhsa_exception_fp_ieee_inexact 0
		.amdhsa_exception_int_div_zero 0
	.end_amdhsa_kernel
	.section	.text._ZN7rocprim17ROCPRIM_400000_NS6detail17trampoline_kernelINS0_14default_configENS1_20scan_config_selectorIiEEZZNS1_9scan_implILNS1_25lookback_scan_determinismE0ELb1ELb1ES3_N6thrust23THRUST_200600_302600_NS6detail15normal_iteratorINS9_10device_ptrIiEEEENS9_16discard_iteratorINS9_11use_defaultEEEiNS9_4plusIvEEiEEDaPvRmT3_T4_T5_mT6_P12ihipStream_tbENKUlT_T0_E_clISt17integral_constantIbLb0EESX_EEDaSS_ST_EUlSS_E_NS1_11comp_targetILNS1_3genE4ELNS1_11target_archE910ELNS1_3gpuE8ELNS1_3repE0EEENS1_30default_config_static_selectorELNS0_4arch9wavefront6targetE1EEEvT1_,"axG",@progbits,_ZN7rocprim17ROCPRIM_400000_NS6detail17trampoline_kernelINS0_14default_configENS1_20scan_config_selectorIiEEZZNS1_9scan_implILNS1_25lookback_scan_determinismE0ELb1ELb1ES3_N6thrust23THRUST_200600_302600_NS6detail15normal_iteratorINS9_10device_ptrIiEEEENS9_16discard_iteratorINS9_11use_defaultEEEiNS9_4plusIvEEiEEDaPvRmT3_T4_T5_mT6_P12ihipStream_tbENKUlT_T0_E_clISt17integral_constantIbLb0EESX_EEDaSS_ST_EUlSS_E_NS1_11comp_targetILNS1_3genE4ELNS1_11target_archE910ELNS1_3gpuE8ELNS1_3repE0EEENS1_30default_config_static_selectorELNS0_4arch9wavefront6targetE1EEEvT1_,comdat
.Lfunc_end5800:
	.size	_ZN7rocprim17ROCPRIM_400000_NS6detail17trampoline_kernelINS0_14default_configENS1_20scan_config_selectorIiEEZZNS1_9scan_implILNS1_25lookback_scan_determinismE0ELb1ELb1ES3_N6thrust23THRUST_200600_302600_NS6detail15normal_iteratorINS9_10device_ptrIiEEEENS9_16discard_iteratorINS9_11use_defaultEEEiNS9_4plusIvEEiEEDaPvRmT3_T4_T5_mT6_P12ihipStream_tbENKUlT_T0_E_clISt17integral_constantIbLb0EESX_EEDaSS_ST_EUlSS_E_NS1_11comp_targetILNS1_3genE4ELNS1_11target_archE910ELNS1_3gpuE8ELNS1_3repE0EEENS1_30default_config_static_selectorELNS0_4arch9wavefront6targetE1EEEvT1_, .Lfunc_end5800-_ZN7rocprim17ROCPRIM_400000_NS6detail17trampoline_kernelINS0_14default_configENS1_20scan_config_selectorIiEEZZNS1_9scan_implILNS1_25lookback_scan_determinismE0ELb1ELb1ES3_N6thrust23THRUST_200600_302600_NS6detail15normal_iteratorINS9_10device_ptrIiEEEENS9_16discard_iteratorINS9_11use_defaultEEEiNS9_4plusIvEEiEEDaPvRmT3_T4_T5_mT6_P12ihipStream_tbENKUlT_T0_E_clISt17integral_constantIbLb0EESX_EEDaSS_ST_EUlSS_E_NS1_11comp_targetILNS1_3genE4ELNS1_11target_archE910ELNS1_3gpuE8ELNS1_3repE0EEENS1_30default_config_static_selectorELNS0_4arch9wavefront6targetE1EEEvT1_
                                        ; -- End function
	.section	.AMDGPU.csdata,"",@progbits
; Kernel info:
; codeLenInByte = 3904
; NumSgprs: 27
; NumVgprs: 40
; NumAgprs: 0
; TotalNumVgprs: 40
; ScratchSize: 0
; MemoryBound: 0
; FloatMode: 240
; IeeeMode: 1
; LDSByteSize: 5120 bytes/workgroup (compile time only)
; SGPRBlocks: 3
; VGPRBlocks: 4
; NumSGPRsForWavesPerEU: 27
; NumVGPRsForWavesPerEU: 40
; AccumOffset: 40
; Occupancy: 6
; WaveLimiterHint : 1
; COMPUTE_PGM_RSRC2:SCRATCH_EN: 0
; COMPUTE_PGM_RSRC2:USER_SGPR: 6
; COMPUTE_PGM_RSRC2:TRAP_HANDLER: 0
; COMPUTE_PGM_RSRC2:TGID_X_EN: 1
; COMPUTE_PGM_RSRC2:TGID_Y_EN: 0
; COMPUTE_PGM_RSRC2:TGID_Z_EN: 0
; COMPUTE_PGM_RSRC2:TIDIG_COMP_CNT: 0
; COMPUTE_PGM_RSRC3_GFX90A:ACCUM_OFFSET: 9
; COMPUTE_PGM_RSRC3_GFX90A:TG_SPLIT: 0
	.section	.text._ZN7rocprim17ROCPRIM_400000_NS6detail17trampoline_kernelINS0_14default_configENS1_20scan_config_selectorIiEEZZNS1_9scan_implILNS1_25lookback_scan_determinismE0ELb1ELb1ES3_N6thrust23THRUST_200600_302600_NS6detail15normal_iteratorINS9_10device_ptrIiEEEENS9_16discard_iteratorINS9_11use_defaultEEEiNS9_4plusIvEEiEEDaPvRmT3_T4_T5_mT6_P12ihipStream_tbENKUlT_T0_E_clISt17integral_constantIbLb0EESX_EEDaSS_ST_EUlSS_E_NS1_11comp_targetILNS1_3genE3ELNS1_11target_archE908ELNS1_3gpuE7ELNS1_3repE0EEENS1_30default_config_static_selectorELNS0_4arch9wavefront6targetE1EEEvT1_,"axG",@progbits,_ZN7rocprim17ROCPRIM_400000_NS6detail17trampoline_kernelINS0_14default_configENS1_20scan_config_selectorIiEEZZNS1_9scan_implILNS1_25lookback_scan_determinismE0ELb1ELb1ES3_N6thrust23THRUST_200600_302600_NS6detail15normal_iteratorINS9_10device_ptrIiEEEENS9_16discard_iteratorINS9_11use_defaultEEEiNS9_4plusIvEEiEEDaPvRmT3_T4_T5_mT6_P12ihipStream_tbENKUlT_T0_E_clISt17integral_constantIbLb0EESX_EEDaSS_ST_EUlSS_E_NS1_11comp_targetILNS1_3genE3ELNS1_11target_archE908ELNS1_3gpuE7ELNS1_3repE0EEENS1_30default_config_static_selectorELNS0_4arch9wavefront6targetE1EEEvT1_,comdat
	.protected	_ZN7rocprim17ROCPRIM_400000_NS6detail17trampoline_kernelINS0_14default_configENS1_20scan_config_selectorIiEEZZNS1_9scan_implILNS1_25lookback_scan_determinismE0ELb1ELb1ES3_N6thrust23THRUST_200600_302600_NS6detail15normal_iteratorINS9_10device_ptrIiEEEENS9_16discard_iteratorINS9_11use_defaultEEEiNS9_4plusIvEEiEEDaPvRmT3_T4_T5_mT6_P12ihipStream_tbENKUlT_T0_E_clISt17integral_constantIbLb0EESX_EEDaSS_ST_EUlSS_E_NS1_11comp_targetILNS1_3genE3ELNS1_11target_archE908ELNS1_3gpuE7ELNS1_3repE0EEENS1_30default_config_static_selectorELNS0_4arch9wavefront6targetE1EEEvT1_ ; -- Begin function _ZN7rocprim17ROCPRIM_400000_NS6detail17trampoline_kernelINS0_14default_configENS1_20scan_config_selectorIiEEZZNS1_9scan_implILNS1_25lookback_scan_determinismE0ELb1ELb1ES3_N6thrust23THRUST_200600_302600_NS6detail15normal_iteratorINS9_10device_ptrIiEEEENS9_16discard_iteratorINS9_11use_defaultEEEiNS9_4plusIvEEiEEDaPvRmT3_T4_T5_mT6_P12ihipStream_tbENKUlT_T0_E_clISt17integral_constantIbLb0EESX_EEDaSS_ST_EUlSS_E_NS1_11comp_targetILNS1_3genE3ELNS1_11target_archE908ELNS1_3gpuE7ELNS1_3repE0EEENS1_30default_config_static_selectorELNS0_4arch9wavefront6targetE1EEEvT1_
	.globl	_ZN7rocprim17ROCPRIM_400000_NS6detail17trampoline_kernelINS0_14default_configENS1_20scan_config_selectorIiEEZZNS1_9scan_implILNS1_25lookback_scan_determinismE0ELb1ELb1ES3_N6thrust23THRUST_200600_302600_NS6detail15normal_iteratorINS9_10device_ptrIiEEEENS9_16discard_iteratorINS9_11use_defaultEEEiNS9_4plusIvEEiEEDaPvRmT3_T4_T5_mT6_P12ihipStream_tbENKUlT_T0_E_clISt17integral_constantIbLb0EESX_EEDaSS_ST_EUlSS_E_NS1_11comp_targetILNS1_3genE3ELNS1_11target_archE908ELNS1_3gpuE7ELNS1_3repE0EEENS1_30default_config_static_selectorELNS0_4arch9wavefront6targetE1EEEvT1_
	.p2align	8
	.type	_ZN7rocprim17ROCPRIM_400000_NS6detail17trampoline_kernelINS0_14default_configENS1_20scan_config_selectorIiEEZZNS1_9scan_implILNS1_25lookback_scan_determinismE0ELb1ELb1ES3_N6thrust23THRUST_200600_302600_NS6detail15normal_iteratorINS9_10device_ptrIiEEEENS9_16discard_iteratorINS9_11use_defaultEEEiNS9_4plusIvEEiEEDaPvRmT3_T4_T5_mT6_P12ihipStream_tbENKUlT_T0_E_clISt17integral_constantIbLb0EESX_EEDaSS_ST_EUlSS_E_NS1_11comp_targetILNS1_3genE3ELNS1_11target_archE908ELNS1_3gpuE7ELNS1_3repE0EEENS1_30default_config_static_selectorELNS0_4arch9wavefront6targetE1EEEvT1_,@function
_ZN7rocprim17ROCPRIM_400000_NS6detail17trampoline_kernelINS0_14default_configENS1_20scan_config_selectorIiEEZZNS1_9scan_implILNS1_25lookback_scan_determinismE0ELb1ELb1ES3_N6thrust23THRUST_200600_302600_NS6detail15normal_iteratorINS9_10device_ptrIiEEEENS9_16discard_iteratorINS9_11use_defaultEEEiNS9_4plusIvEEiEEDaPvRmT3_T4_T5_mT6_P12ihipStream_tbENKUlT_T0_E_clISt17integral_constantIbLb0EESX_EEDaSS_ST_EUlSS_E_NS1_11comp_targetILNS1_3genE3ELNS1_11target_archE908ELNS1_3gpuE7ELNS1_3repE0EEENS1_30default_config_static_selectorELNS0_4arch9wavefront6targetE1EEEvT1_: ; @_ZN7rocprim17ROCPRIM_400000_NS6detail17trampoline_kernelINS0_14default_configENS1_20scan_config_selectorIiEEZZNS1_9scan_implILNS1_25lookback_scan_determinismE0ELb1ELb1ES3_N6thrust23THRUST_200600_302600_NS6detail15normal_iteratorINS9_10device_ptrIiEEEENS9_16discard_iteratorINS9_11use_defaultEEEiNS9_4plusIvEEiEEDaPvRmT3_T4_T5_mT6_P12ihipStream_tbENKUlT_T0_E_clISt17integral_constantIbLb0EESX_EEDaSS_ST_EUlSS_E_NS1_11comp_targetILNS1_3genE3ELNS1_11target_archE908ELNS1_3gpuE7ELNS1_3repE0EEENS1_30default_config_static_selectorELNS0_4arch9wavefront6targetE1EEEvT1_
; %bb.0:
	.section	.rodata,"a",@progbits
	.p2align	6, 0x0
	.amdhsa_kernel _ZN7rocprim17ROCPRIM_400000_NS6detail17trampoline_kernelINS0_14default_configENS1_20scan_config_selectorIiEEZZNS1_9scan_implILNS1_25lookback_scan_determinismE0ELb1ELb1ES3_N6thrust23THRUST_200600_302600_NS6detail15normal_iteratorINS9_10device_ptrIiEEEENS9_16discard_iteratorINS9_11use_defaultEEEiNS9_4plusIvEEiEEDaPvRmT3_T4_T5_mT6_P12ihipStream_tbENKUlT_T0_E_clISt17integral_constantIbLb0EESX_EEDaSS_ST_EUlSS_E_NS1_11comp_targetILNS1_3genE3ELNS1_11target_archE908ELNS1_3gpuE7ELNS1_3repE0EEENS1_30default_config_static_selectorELNS0_4arch9wavefront6targetE1EEEvT1_
		.amdhsa_group_segment_fixed_size 0
		.amdhsa_private_segment_fixed_size 0
		.amdhsa_kernarg_size 104
		.amdhsa_user_sgpr_count 6
		.amdhsa_user_sgpr_private_segment_buffer 1
		.amdhsa_user_sgpr_dispatch_ptr 0
		.amdhsa_user_sgpr_queue_ptr 0
		.amdhsa_user_sgpr_kernarg_segment_ptr 1
		.amdhsa_user_sgpr_dispatch_id 0
		.amdhsa_user_sgpr_flat_scratch_init 0
		.amdhsa_user_sgpr_kernarg_preload_length 0
		.amdhsa_user_sgpr_kernarg_preload_offset 0
		.amdhsa_user_sgpr_private_segment_size 0
		.amdhsa_uses_dynamic_stack 0
		.amdhsa_system_sgpr_private_segment_wavefront_offset 0
		.amdhsa_system_sgpr_workgroup_id_x 1
		.amdhsa_system_sgpr_workgroup_id_y 0
		.amdhsa_system_sgpr_workgroup_id_z 0
		.amdhsa_system_sgpr_workgroup_info 0
		.amdhsa_system_vgpr_workitem_id 0
		.amdhsa_next_free_vgpr 1
		.amdhsa_next_free_sgpr 0
		.amdhsa_accum_offset 4
		.amdhsa_reserve_vcc 0
		.amdhsa_reserve_flat_scratch 0
		.amdhsa_float_round_mode_32 0
		.amdhsa_float_round_mode_16_64 0
		.amdhsa_float_denorm_mode_32 3
		.amdhsa_float_denorm_mode_16_64 3
		.amdhsa_dx10_clamp 1
		.amdhsa_ieee_mode 1
		.amdhsa_fp16_overflow 0
		.amdhsa_tg_split 0
		.amdhsa_exception_fp_ieee_invalid_op 0
		.amdhsa_exception_fp_denorm_src 0
		.amdhsa_exception_fp_ieee_div_zero 0
		.amdhsa_exception_fp_ieee_overflow 0
		.amdhsa_exception_fp_ieee_underflow 0
		.amdhsa_exception_fp_ieee_inexact 0
		.amdhsa_exception_int_div_zero 0
	.end_amdhsa_kernel
	.section	.text._ZN7rocprim17ROCPRIM_400000_NS6detail17trampoline_kernelINS0_14default_configENS1_20scan_config_selectorIiEEZZNS1_9scan_implILNS1_25lookback_scan_determinismE0ELb1ELb1ES3_N6thrust23THRUST_200600_302600_NS6detail15normal_iteratorINS9_10device_ptrIiEEEENS9_16discard_iteratorINS9_11use_defaultEEEiNS9_4plusIvEEiEEDaPvRmT3_T4_T5_mT6_P12ihipStream_tbENKUlT_T0_E_clISt17integral_constantIbLb0EESX_EEDaSS_ST_EUlSS_E_NS1_11comp_targetILNS1_3genE3ELNS1_11target_archE908ELNS1_3gpuE7ELNS1_3repE0EEENS1_30default_config_static_selectorELNS0_4arch9wavefront6targetE1EEEvT1_,"axG",@progbits,_ZN7rocprim17ROCPRIM_400000_NS6detail17trampoline_kernelINS0_14default_configENS1_20scan_config_selectorIiEEZZNS1_9scan_implILNS1_25lookback_scan_determinismE0ELb1ELb1ES3_N6thrust23THRUST_200600_302600_NS6detail15normal_iteratorINS9_10device_ptrIiEEEENS9_16discard_iteratorINS9_11use_defaultEEEiNS9_4plusIvEEiEEDaPvRmT3_T4_T5_mT6_P12ihipStream_tbENKUlT_T0_E_clISt17integral_constantIbLb0EESX_EEDaSS_ST_EUlSS_E_NS1_11comp_targetILNS1_3genE3ELNS1_11target_archE908ELNS1_3gpuE7ELNS1_3repE0EEENS1_30default_config_static_selectorELNS0_4arch9wavefront6targetE1EEEvT1_,comdat
.Lfunc_end5801:
	.size	_ZN7rocprim17ROCPRIM_400000_NS6detail17trampoline_kernelINS0_14default_configENS1_20scan_config_selectorIiEEZZNS1_9scan_implILNS1_25lookback_scan_determinismE0ELb1ELb1ES3_N6thrust23THRUST_200600_302600_NS6detail15normal_iteratorINS9_10device_ptrIiEEEENS9_16discard_iteratorINS9_11use_defaultEEEiNS9_4plusIvEEiEEDaPvRmT3_T4_T5_mT6_P12ihipStream_tbENKUlT_T0_E_clISt17integral_constantIbLb0EESX_EEDaSS_ST_EUlSS_E_NS1_11comp_targetILNS1_3genE3ELNS1_11target_archE908ELNS1_3gpuE7ELNS1_3repE0EEENS1_30default_config_static_selectorELNS0_4arch9wavefront6targetE1EEEvT1_, .Lfunc_end5801-_ZN7rocprim17ROCPRIM_400000_NS6detail17trampoline_kernelINS0_14default_configENS1_20scan_config_selectorIiEEZZNS1_9scan_implILNS1_25lookback_scan_determinismE0ELb1ELb1ES3_N6thrust23THRUST_200600_302600_NS6detail15normal_iteratorINS9_10device_ptrIiEEEENS9_16discard_iteratorINS9_11use_defaultEEEiNS9_4plusIvEEiEEDaPvRmT3_T4_T5_mT6_P12ihipStream_tbENKUlT_T0_E_clISt17integral_constantIbLb0EESX_EEDaSS_ST_EUlSS_E_NS1_11comp_targetILNS1_3genE3ELNS1_11target_archE908ELNS1_3gpuE7ELNS1_3repE0EEENS1_30default_config_static_selectorELNS0_4arch9wavefront6targetE1EEEvT1_
                                        ; -- End function
	.section	.AMDGPU.csdata,"",@progbits
; Kernel info:
; codeLenInByte = 0
; NumSgprs: 4
; NumVgprs: 0
; NumAgprs: 0
; TotalNumVgprs: 0
; ScratchSize: 0
; MemoryBound: 0
; FloatMode: 240
; IeeeMode: 1
; LDSByteSize: 0 bytes/workgroup (compile time only)
; SGPRBlocks: 0
; VGPRBlocks: 0
; NumSGPRsForWavesPerEU: 4
; NumVGPRsForWavesPerEU: 1
; AccumOffset: 4
; Occupancy: 8
; WaveLimiterHint : 0
; COMPUTE_PGM_RSRC2:SCRATCH_EN: 0
; COMPUTE_PGM_RSRC2:USER_SGPR: 6
; COMPUTE_PGM_RSRC2:TRAP_HANDLER: 0
; COMPUTE_PGM_RSRC2:TGID_X_EN: 1
; COMPUTE_PGM_RSRC2:TGID_Y_EN: 0
; COMPUTE_PGM_RSRC2:TGID_Z_EN: 0
; COMPUTE_PGM_RSRC2:TIDIG_COMP_CNT: 0
; COMPUTE_PGM_RSRC3_GFX90A:ACCUM_OFFSET: 0
; COMPUTE_PGM_RSRC3_GFX90A:TG_SPLIT: 0
	.section	.text._ZN7rocprim17ROCPRIM_400000_NS6detail17trampoline_kernelINS0_14default_configENS1_20scan_config_selectorIiEEZZNS1_9scan_implILNS1_25lookback_scan_determinismE0ELb1ELb1ES3_N6thrust23THRUST_200600_302600_NS6detail15normal_iteratorINS9_10device_ptrIiEEEENS9_16discard_iteratorINS9_11use_defaultEEEiNS9_4plusIvEEiEEDaPvRmT3_T4_T5_mT6_P12ihipStream_tbENKUlT_T0_E_clISt17integral_constantIbLb0EESX_EEDaSS_ST_EUlSS_E_NS1_11comp_targetILNS1_3genE2ELNS1_11target_archE906ELNS1_3gpuE6ELNS1_3repE0EEENS1_30default_config_static_selectorELNS0_4arch9wavefront6targetE1EEEvT1_,"axG",@progbits,_ZN7rocprim17ROCPRIM_400000_NS6detail17trampoline_kernelINS0_14default_configENS1_20scan_config_selectorIiEEZZNS1_9scan_implILNS1_25lookback_scan_determinismE0ELb1ELb1ES3_N6thrust23THRUST_200600_302600_NS6detail15normal_iteratorINS9_10device_ptrIiEEEENS9_16discard_iteratorINS9_11use_defaultEEEiNS9_4plusIvEEiEEDaPvRmT3_T4_T5_mT6_P12ihipStream_tbENKUlT_T0_E_clISt17integral_constantIbLb0EESX_EEDaSS_ST_EUlSS_E_NS1_11comp_targetILNS1_3genE2ELNS1_11target_archE906ELNS1_3gpuE6ELNS1_3repE0EEENS1_30default_config_static_selectorELNS0_4arch9wavefront6targetE1EEEvT1_,comdat
	.protected	_ZN7rocprim17ROCPRIM_400000_NS6detail17trampoline_kernelINS0_14default_configENS1_20scan_config_selectorIiEEZZNS1_9scan_implILNS1_25lookback_scan_determinismE0ELb1ELb1ES3_N6thrust23THRUST_200600_302600_NS6detail15normal_iteratorINS9_10device_ptrIiEEEENS9_16discard_iteratorINS9_11use_defaultEEEiNS9_4plusIvEEiEEDaPvRmT3_T4_T5_mT6_P12ihipStream_tbENKUlT_T0_E_clISt17integral_constantIbLb0EESX_EEDaSS_ST_EUlSS_E_NS1_11comp_targetILNS1_3genE2ELNS1_11target_archE906ELNS1_3gpuE6ELNS1_3repE0EEENS1_30default_config_static_selectorELNS0_4arch9wavefront6targetE1EEEvT1_ ; -- Begin function _ZN7rocprim17ROCPRIM_400000_NS6detail17trampoline_kernelINS0_14default_configENS1_20scan_config_selectorIiEEZZNS1_9scan_implILNS1_25lookback_scan_determinismE0ELb1ELb1ES3_N6thrust23THRUST_200600_302600_NS6detail15normal_iteratorINS9_10device_ptrIiEEEENS9_16discard_iteratorINS9_11use_defaultEEEiNS9_4plusIvEEiEEDaPvRmT3_T4_T5_mT6_P12ihipStream_tbENKUlT_T0_E_clISt17integral_constantIbLb0EESX_EEDaSS_ST_EUlSS_E_NS1_11comp_targetILNS1_3genE2ELNS1_11target_archE906ELNS1_3gpuE6ELNS1_3repE0EEENS1_30default_config_static_selectorELNS0_4arch9wavefront6targetE1EEEvT1_
	.globl	_ZN7rocprim17ROCPRIM_400000_NS6detail17trampoline_kernelINS0_14default_configENS1_20scan_config_selectorIiEEZZNS1_9scan_implILNS1_25lookback_scan_determinismE0ELb1ELb1ES3_N6thrust23THRUST_200600_302600_NS6detail15normal_iteratorINS9_10device_ptrIiEEEENS9_16discard_iteratorINS9_11use_defaultEEEiNS9_4plusIvEEiEEDaPvRmT3_T4_T5_mT6_P12ihipStream_tbENKUlT_T0_E_clISt17integral_constantIbLb0EESX_EEDaSS_ST_EUlSS_E_NS1_11comp_targetILNS1_3genE2ELNS1_11target_archE906ELNS1_3gpuE6ELNS1_3repE0EEENS1_30default_config_static_selectorELNS0_4arch9wavefront6targetE1EEEvT1_
	.p2align	8
	.type	_ZN7rocprim17ROCPRIM_400000_NS6detail17trampoline_kernelINS0_14default_configENS1_20scan_config_selectorIiEEZZNS1_9scan_implILNS1_25lookback_scan_determinismE0ELb1ELb1ES3_N6thrust23THRUST_200600_302600_NS6detail15normal_iteratorINS9_10device_ptrIiEEEENS9_16discard_iteratorINS9_11use_defaultEEEiNS9_4plusIvEEiEEDaPvRmT3_T4_T5_mT6_P12ihipStream_tbENKUlT_T0_E_clISt17integral_constantIbLb0EESX_EEDaSS_ST_EUlSS_E_NS1_11comp_targetILNS1_3genE2ELNS1_11target_archE906ELNS1_3gpuE6ELNS1_3repE0EEENS1_30default_config_static_selectorELNS0_4arch9wavefront6targetE1EEEvT1_,@function
_ZN7rocprim17ROCPRIM_400000_NS6detail17trampoline_kernelINS0_14default_configENS1_20scan_config_selectorIiEEZZNS1_9scan_implILNS1_25lookback_scan_determinismE0ELb1ELb1ES3_N6thrust23THRUST_200600_302600_NS6detail15normal_iteratorINS9_10device_ptrIiEEEENS9_16discard_iteratorINS9_11use_defaultEEEiNS9_4plusIvEEiEEDaPvRmT3_T4_T5_mT6_P12ihipStream_tbENKUlT_T0_E_clISt17integral_constantIbLb0EESX_EEDaSS_ST_EUlSS_E_NS1_11comp_targetILNS1_3genE2ELNS1_11target_archE906ELNS1_3gpuE6ELNS1_3repE0EEENS1_30default_config_static_selectorELNS0_4arch9wavefront6targetE1EEEvT1_: ; @_ZN7rocprim17ROCPRIM_400000_NS6detail17trampoline_kernelINS0_14default_configENS1_20scan_config_selectorIiEEZZNS1_9scan_implILNS1_25lookback_scan_determinismE0ELb1ELb1ES3_N6thrust23THRUST_200600_302600_NS6detail15normal_iteratorINS9_10device_ptrIiEEEENS9_16discard_iteratorINS9_11use_defaultEEEiNS9_4plusIvEEiEEDaPvRmT3_T4_T5_mT6_P12ihipStream_tbENKUlT_T0_E_clISt17integral_constantIbLb0EESX_EEDaSS_ST_EUlSS_E_NS1_11comp_targetILNS1_3genE2ELNS1_11target_archE906ELNS1_3gpuE6ELNS1_3repE0EEENS1_30default_config_static_selectorELNS0_4arch9wavefront6targetE1EEEvT1_
; %bb.0:
	.section	.rodata,"a",@progbits
	.p2align	6, 0x0
	.amdhsa_kernel _ZN7rocprim17ROCPRIM_400000_NS6detail17trampoline_kernelINS0_14default_configENS1_20scan_config_selectorIiEEZZNS1_9scan_implILNS1_25lookback_scan_determinismE0ELb1ELb1ES3_N6thrust23THRUST_200600_302600_NS6detail15normal_iteratorINS9_10device_ptrIiEEEENS9_16discard_iteratorINS9_11use_defaultEEEiNS9_4plusIvEEiEEDaPvRmT3_T4_T5_mT6_P12ihipStream_tbENKUlT_T0_E_clISt17integral_constantIbLb0EESX_EEDaSS_ST_EUlSS_E_NS1_11comp_targetILNS1_3genE2ELNS1_11target_archE906ELNS1_3gpuE6ELNS1_3repE0EEENS1_30default_config_static_selectorELNS0_4arch9wavefront6targetE1EEEvT1_
		.amdhsa_group_segment_fixed_size 0
		.amdhsa_private_segment_fixed_size 0
		.amdhsa_kernarg_size 104
		.amdhsa_user_sgpr_count 6
		.amdhsa_user_sgpr_private_segment_buffer 1
		.amdhsa_user_sgpr_dispatch_ptr 0
		.amdhsa_user_sgpr_queue_ptr 0
		.amdhsa_user_sgpr_kernarg_segment_ptr 1
		.amdhsa_user_sgpr_dispatch_id 0
		.amdhsa_user_sgpr_flat_scratch_init 0
		.amdhsa_user_sgpr_kernarg_preload_length 0
		.amdhsa_user_sgpr_kernarg_preload_offset 0
		.amdhsa_user_sgpr_private_segment_size 0
		.amdhsa_uses_dynamic_stack 0
		.amdhsa_system_sgpr_private_segment_wavefront_offset 0
		.amdhsa_system_sgpr_workgroup_id_x 1
		.amdhsa_system_sgpr_workgroup_id_y 0
		.amdhsa_system_sgpr_workgroup_id_z 0
		.amdhsa_system_sgpr_workgroup_info 0
		.amdhsa_system_vgpr_workitem_id 0
		.amdhsa_next_free_vgpr 1
		.amdhsa_next_free_sgpr 0
		.amdhsa_accum_offset 4
		.amdhsa_reserve_vcc 0
		.amdhsa_reserve_flat_scratch 0
		.amdhsa_float_round_mode_32 0
		.amdhsa_float_round_mode_16_64 0
		.amdhsa_float_denorm_mode_32 3
		.amdhsa_float_denorm_mode_16_64 3
		.amdhsa_dx10_clamp 1
		.amdhsa_ieee_mode 1
		.amdhsa_fp16_overflow 0
		.amdhsa_tg_split 0
		.amdhsa_exception_fp_ieee_invalid_op 0
		.amdhsa_exception_fp_denorm_src 0
		.amdhsa_exception_fp_ieee_div_zero 0
		.amdhsa_exception_fp_ieee_overflow 0
		.amdhsa_exception_fp_ieee_underflow 0
		.amdhsa_exception_fp_ieee_inexact 0
		.amdhsa_exception_int_div_zero 0
	.end_amdhsa_kernel
	.section	.text._ZN7rocprim17ROCPRIM_400000_NS6detail17trampoline_kernelINS0_14default_configENS1_20scan_config_selectorIiEEZZNS1_9scan_implILNS1_25lookback_scan_determinismE0ELb1ELb1ES3_N6thrust23THRUST_200600_302600_NS6detail15normal_iteratorINS9_10device_ptrIiEEEENS9_16discard_iteratorINS9_11use_defaultEEEiNS9_4plusIvEEiEEDaPvRmT3_T4_T5_mT6_P12ihipStream_tbENKUlT_T0_E_clISt17integral_constantIbLb0EESX_EEDaSS_ST_EUlSS_E_NS1_11comp_targetILNS1_3genE2ELNS1_11target_archE906ELNS1_3gpuE6ELNS1_3repE0EEENS1_30default_config_static_selectorELNS0_4arch9wavefront6targetE1EEEvT1_,"axG",@progbits,_ZN7rocprim17ROCPRIM_400000_NS6detail17trampoline_kernelINS0_14default_configENS1_20scan_config_selectorIiEEZZNS1_9scan_implILNS1_25lookback_scan_determinismE0ELb1ELb1ES3_N6thrust23THRUST_200600_302600_NS6detail15normal_iteratorINS9_10device_ptrIiEEEENS9_16discard_iteratorINS9_11use_defaultEEEiNS9_4plusIvEEiEEDaPvRmT3_T4_T5_mT6_P12ihipStream_tbENKUlT_T0_E_clISt17integral_constantIbLb0EESX_EEDaSS_ST_EUlSS_E_NS1_11comp_targetILNS1_3genE2ELNS1_11target_archE906ELNS1_3gpuE6ELNS1_3repE0EEENS1_30default_config_static_selectorELNS0_4arch9wavefront6targetE1EEEvT1_,comdat
.Lfunc_end5802:
	.size	_ZN7rocprim17ROCPRIM_400000_NS6detail17trampoline_kernelINS0_14default_configENS1_20scan_config_selectorIiEEZZNS1_9scan_implILNS1_25lookback_scan_determinismE0ELb1ELb1ES3_N6thrust23THRUST_200600_302600_NS6detail15normal_iteratorINS9_10device_ptrIiEEEENS9_16discard_iteratorINS9_11use_defaultEEEiNS9_4plusIvEEiEEDaPvRmT3_T4_T5_mT6_P12ihipStream_tbENKUlT_T0_E_clISt17integral_constantIbLb0EESX_EEDaSS_ST_EUlSS_E_NS1_11comp_targetILNS1_3genE2ELNS1_11target_archE906ELNS1_3gpuE6ELNS1_3repE0EEENS1_30default_config_static_selectorELNS0_4arch9wavefront6targetE1EEEvT1_, .Lfunc_end5802-_ZN7rocprim17ROCPRIM_400000_NS6detail17trampoline_kernelINS0_14default_configENS1_20scan_config_selectorIiEEZZNS1_9scan_implILNS1_25lookback_scan_determinismE0ELb1ELb1ES3_N6thrust23THRUST_200600_302600_NS6detail15normal_iteratorINS9_10device_ptrIiEEEENS9_16discard_iteratorINS9_11use_defaultEEEiNS9_4plusIvEEiEEDaPvRmT3_T4_T5_mT6_P12ihipStream_tbENKUlT_T0_E_clISt17integral_constantIbLb0EESX_EEDaSS_ST_EUlSS_E_NS1_11comp_targetILNS1_3genE2ELNS1_11target_archE906ELNS1_3gpuE6ELNS1_3repE0EEENS1_30default_config_static_selectorELNS0_4arch9wavefront6targetE1EEEvT1_
                                        ; -- End function
	.section	.AMDGPU.csdata,"",@progbits
; Kernel info:
; codeLenInByte = 0
; NumSgprs: 4
; NumVgprs: 0
; NumAgprs: 0
; TotalNumVgprs: 0
; ScratchSize: 0
; MemoryBound: 0
; FloatMode: 240
; IeeeMode: 1
; LDSByteSize: 0 bytes/workgroup (compile time only)
; SGPRBlocks: 0
; VGPRBlocks: 0
; NumSGPRsForWavesPerEU: 4
; NumVGPRsForWavesPerEU: 1
; AccumOffset: 4
; Occupancy: 8
; WaveLimiterHint : 0
; COMPUTE_PGM_RSRC2:SCRATCH_EN: 0
; COMPUTE_PGM_RSRC2:USER_SGPR: 6
; COMPUTE_PGM_RSRC2:TRAP_HANDLER: 0
; COMPUTE_PGM_RSRC2:TGID_X_EN: 1
; COMPUTE_PGM_RSRC2:TGID_Y_EN: 0
; COMPUTE_PGM_RSRC2:TGID_Z_EN: 0
; COMPUTE_PGM_RSRC2:TIDIG_COMP_CNT: 0
; COMPUTE_PGM_RSRC3_GFX90A:ACCUM_OFFSET: 0
; COMPUTE_PGM_RSRC3_GFX90A:TG_SPLIT: 0
	.section	.text._ZN7rocprim17ROCPRIM_400000_NS6detail17trampoline_kernelINS0_14default_configENS1_20scan_config_selectorIiEEZZNS1_9scan_implILNS1_25lookback_scan_determinismE0ELb1ELb1ES3_N6thrust23THRUST_200600_302600_NS6detail15normal_iteratorINS9_10device_ptrIiEEEENS9_16discard_iteratorINS9_11use_defaultEEEiNS9_4plusIvEEiEEDaPvRmT3_T4_T5_mT6_P12ihipStream_tbENKUlT_T0_E_clISt17integral_constantIbLb0EESX_EEDaSS_ST_EUlSS_E_NS1_11comp_targetILNS1_3genE10ELNS1_11target_archE1201ELNS1_3gpuE5ELNS1_3repE0EEENS1_30default_config_static_selectorELNS0_4arch9wavefront6targetE1EEEvT1_,"axG",@progbits,_ZN7rocprim17ROCPRIM_400000_NS6detail17trampoline_kernelINS0_14default_configENS1_20scan_config_selectorIiEEZZNS1_9scan_implILNS1_25lookback_scan_determinismE0ELb1ELb1ES3_N6thrust23THRUST_200600_302600_NS6detail15normal_iteratorINS9_10device_ptrIiEEEENS9_16discard_iteratorINS9_11use_defaultEEEiNS9_4plusIvEEiEEDaPvRmT3_T4_T5_mT6_P12ihipStream_tbENKUlT_T0_E_clISt17integral_constantIbLb0EESX_EEDaSS_ST_EUlSS_E_NS1_11comp_targetILNS1_3genE10ELNS1_11target_archE1201ELNS1_3gpuE5ELNS1_3repE0EEENS1_30default_config_static_selectorELNS0_4arch9wavefront6targetE1EEEvT1_,comdat
	.protected	_ZN7rocprim17ROCPRIM_400000_NS6detail17trampoline_kernelINS0_14default_configENS1_20scan_config_selectorIiEEZZNS1_9scan_implILNS1_25lookback_scan_determinismE0ELb1ELb1ES3_N6thrust23THRUST_200600_302600_NS6detail15normal_iteratorINS9_10device_ptrIiEEEENS9_16discard_iteratorINS9_11use_defaultEEEiNS9_4plusIvEEiEEDaPvRmT3_T4_T5_mT6_P12ihipStream_tbENKUlT_T0_E_clISt17integral_constantIbLb0EESX_EEDaSS_ST_EUlSS_E_NS1_11comp_targetILNS1_3genE10ELNS1_11target_archE1201ELNS1_3gpuE5ELNS1_3repE0EEENS1_30default_config_static_selectorELNS0_4arch9wavefront6targetE1EEEvT1_ ; -- Begin function _ZN7rocprim17ROCPRIM_400000_NS6detail17trampoline_kernelINS0_14default_configENS1_20scan_config_selectorIiEEZZNS1_9scan_implILNS1_25lookback_scan_determinismE0ELb1ELb1ES3_N6thrust23THRUST_200600_302600_NS6detail15normal_iteratorINS9_10device_ptrIiEEEENS9_16discard_iteratorINS9_11use_defaultEEEiNS9_4plusIvEEiEEDaPvRmT3_T4_T5_mT6_P12ihipStream_tbENKUlT_T0_E_clISt17integral_constantIbLb0EESX_EEDaSS_ST_EUlSS_E_NS1_11comp_targetILNS1_3genE10ELNS1_11target_archE1201ELNS1_3gpuE5ELNS1_3repE0EEENS1_30default_config_static_selectorELNS0_4arch9wavefront6targetE1EEEvT1_
	.globl	_ZN7rocprim17ROCPRIM_400000_NS6detail17trampoline_kernelINS0_14default_configENS1_20scan_config_selectorIiEEZZNS1_9scan_implILNS1_25lookback_scan_determinismE0ELb1ELb1ES3_N6thrust23THRUST_200600_302600_NS6detail15normal_iteratorINS9_10device_ptrIiEEEENS9_16discard_iteratorINS9_11use_defaultEEEiNS9_4plusIvEEiEEDaPvRmT3_T4_T5_mT6_P12ihipStream_tbENKUlT_T0_E_clISt17integral_constantIbLb0EESX_EEDaSS_ST_EUlSS_E_NS1_11comp_targetILNS1_3genE10ELNS1_11target_archE1201ELNS1_3gpuE5ELNS1_3repE0EEENS1_30default_config_static_selectorELNS0_4arch9wavefront6targetE1EEEvT1_
	.p2align	8
	.type	_ZN7rocprim17ROCPRIM_400000_NS6detail17trampoline_kernelINS0_14default_configENS1_20scan_config_selectorIiEEZZNS1_9scan_implILNS1_25lookback_scan_determinismE0ELb1ELb1ES3_N6thrust23THRUST_200600_302600_NS6detail15normal_iteratorINS9_10device_ptrIiEEEENS9_16discard_iteratorINS9_11use_defaultEEEiNS9_4plusIvEEiEEDaPvRmT3_T4_T5_mT6_P12ihipStream_tbENKUlT_T0_E_clISt17integral_constantIbLb0EESX_EEDaSS_ST_EUlSS_E_NS1_11comp_targetILNS1_3genE10ELNS1_11target_archE1201ELNS1_3gpuE5ELNS1_3repE0EEENS1_30default_config_static_selectorELNS0_4arch9wavefront6targetE1EEEvT1_,@function
_ZN7rocprim17ROCPRIM_400000_NS6detail17trampoline_kernelINS0_14default_configENS1_20scan_config_selectorIiEEZZNS1_9scan_implILNS1_25lookback_scan_determinismE0ELb1ELb1ES3_N6thrust23THRUST_200600_302600_NS6detail15normal_iteratorINS9_10device_ptrIiEEEENS9_16discard_iteratorINS9_11use_defaultEEEiNS9_4plusIvEEiEEDaPvRmT3_T4_T5_mT6_P12ihipStream_tbENKUlT_T0_E_clISt17integral_constantIbLb0EESX_EEDaSS_ST_EUlSS_E_NS1_11comp_targetILNS1_3genE10ELNS1_11target_archE1201ELNS1_3gpuE5ELNS1_3repE0EEENS1_30default_config_static_selectorELNS0_4arch9wavefront6targetE1EEEvT1_: ; @_ZN7rocprim17ROCPRIM_400000_NS6detail17trampoline_kernelINS0_14default_configENS1_20scan_config_selectorIiEEZZNS1_9scan_implILNS1_25lookback_scan_determinismE0ELb1ELb1ES3_N6thrust23THRUST_200600_302600_NS6detail15normal_iteratorINS9_10device_ptrIiEEEENS9_16discard_iteratorINS9_11use_defaultEEEiNS9_4plusIvEEiEEDaPvRmT3_T4_T5_mT6_P12ihipStream_tbENKUlT_T0_E_clISt17integral_constantIbLb0EESX_EEDaSS_ST_EUlSS_E_NS1_11comp_targetILNS1_3genE10ELNS1_11target_archE1201ELNS1_3gpuE5ELNS1_3repE0EEENS1_30default_config_static_selectorELNS0_4arch9wavefront6targetE1EEEvT1_
; %bb.0:
	.section	.rodata,"a",@progbits
	.p2align	6, 0x0
	.amdhsa_kernel _ZN7rocprim17ROCPRIM_400000_NS6detail17trampoline_kernelINS0_14default_configENS1_20scan_config_selectorIiEEZZNS1_9scan_implILNS1_25lookback_scan_determinismE0ELb1ELb1ES3_N6thrust23THRUST_200600_302600_NS6detail15normal_iteratorINS9_10device_ptrIiEEEENS9_16discard_iteratorINS9_11use_defaultEEEiNS9_4plusIvEEiEEDaPvRmT3_T4_T5_mT6_P12ihipStream_tbENKUlT_T0_E_clISt17integral_constantIbLb0EESX_EEDaSS_ST_EUlSS_E_NS1_11comp_targetILNS1_3genE10ELNS1_11target_archE1201ELNS1_3gpuE5ELNS1_3repE0EEENS1_30default_config_static_selectorELNS0_4arch9wavefront6targetE1EEEvT1_
		.amdhsa_group_segment_fixed_size 0
		.amdhsa_private_segment_fixed_size 0
		.amdhsa_kernarg_size 104
		.amdhsa_user_sgpr_count 6
		.amdhsa_user_sgpr_private_segment_buffer 1
		.amdhsa_user_sgpr_dispatch_ptr 0
		.amdhsa_user_sgpr_queue_ptr 0
		.amdhsa_user_sgpr_kernarg_segment_ptr 1
		.amdhsa_user_sgpr_dispatch_id 0
		.amdhsa_user_sgpr_flat_scratch_init 0
		.amdhsa_user_sgpr_kernarg_preload_length 0
		.amdhsa_user_sgpr_kernarg_preload_offset 0
		.amdhsa_user_sgpr_private_segment_size 0
		.amdhsa_uses_dynamic_stack 0
		.amdhsa_system_sgpr_private_segment_wavefront_offset 0
		.amdhsa_system_sgpr_workgroup_id_x 1
		.amdhsa_system_sgpr_workgroup_id_y 0
		.amdhsa_system_sgpr_workgroup_id_z 0
		.amdhsa_system_sgpr_workgroup_info 0
		.amdhsa_system_vgpr_workitem_id 0
		.amdhsa_next_free_vgpr 1
		.amdhsa_next_free_sgpr 0
		.amdhsa_accum_offset 4
		.amdhsa_reserve_vcc 0
		.amdhsa_reserve_flat_scratch 0
		.amdhsa_float_round_mode_32 0
		.amdhsa_float_round_mode_16_64 0
		.amdhsa_float_denorm_mode_32 3
		.amdhsa_float_denorm_mode_16_64 3
		.amdhsa_dx10_clamp 1
		.amdhsa_ieee_mode 1
		.amdhsa_fp16_overflow 0
		.amdhsa_tg_split 0
		.amdhsa_exception_fp_ieee_invalid_op 0
		.amdhsa_exception_fp_denorm_src 0
		.amdhsa_exception_fp_ieee_div_zero 0
		.amdhsa_exception_fp_ieee_overflow 0
		.amdhsa_exception_fp_ieee_underflow 0
		.amdhsa_exception_fp_ieee_inexact 0
		.amdhsa_exception_int_div_zero 0
	.end_amdhsa_kernel
	.section	.text._ZN7rocprim17ROCPRIM_400000_NS6detail17trampoline_kernelINS0_14default_configENS1_20scan_config_selectorIiEEZZNS1_9scan_implILNS1_25lookback_scan_determinismE0ELb1ELb1ES3_N6thrust23THRUST_200600_302600_NS6detail15normal_iteratorINS9_10device_ptrIiEEEENS9_16discard_iteratorINS9_11use_defaultEEEiNS9_4plusIvEEiEEDaPvRmT3_T4_T5_mT6_P12ihipStream_tbENKUlT_T0_E_clISt17integral_constantIbLb0EESX_EEDaSS_ST_EUlSS_E_NS1_11comp_targetILNS1_3genE10ELNS1_11target_archE1201ELNS1_3gpuE5ELNS1_3repE0EEENS1_30default_config_static_selectorELNS0_4arch9wavefront6targetE1EEEvT1_,"axG",@progbits,_ZN7rocprim17ROCPRIM_400000_NS6detail17trampoline_kernelINS0_14default_configENS1_20scan_config_selectorIiEEZZNS1_9scan_implILNS1_25lookback_scan_determinismE0ELb1ELb1ES3_N6thrust23THRUST_200600_302600_NS6detail15normal_iteratorINS9_10device_ptrIiEEEENS9_16discard_iteratorINS9_11use_defaultEEEiNS9_4plusIvEEiEEDaPvRmT3_T4_T5_mT6_P12ihipStream_tbENKUlT_T0_E_clISt17integral_constantIbLb0EESX_EEDaSS_ST_EUlSS_E_NS1_11comp_targetILNS1_3genE10ELNS1_11target_archE1201ELNS1_3gpuE5ELNS1_3repE0EEENS1_30default_config_static_selectorELNS0_4arch9wavefront6targetE1EEEvT1_,comdat
.Lfunc_end5803:
	.size	_ZN7rocprim17ROCPRIM_400000_NS6detail17trampoline_kernelINS0_14default_configENS1_20scan_config_selectorIiEEZZNS1_9scan_implILNS1_25lookback_scan_determinismE0ELb1ELb1ES3_N6thrust23THRUST_200600_302600_NS6detail15normal_iteratorINS9_10device_ptrIiEEEENS9_16discard_iteratorINS9_11use_defaultEEEiNS9_4plusIvEEiEEDaPvRmT3_T4_T5_mT6_P12ihipStream_tbENKUlT_T0_E_clISt17integral_constantIbLb0EESX_EEDaSS_ST_EUlSS_E_NS1_11comp_targetILNS1_3genE10ELNS1_11target_archE1201ELNS1_3gpuE5ELNS1_3repE0EEENS1_30default_config_static_selectorELNS0_4arch9wavefront6targetE1EEEvT1_, .Lfunc_end5803-_ZN7rocprim17ROCPRIM_400000_NS6detail17trampoline_kernelINS0_14default_configENS1_20scan_config_selectorIiEEZZNS1_9scan_implILNS1_25lookback_scan_determinismE0ELb1ELb1ES3_N6thrust23THRUST_200600_302600_NS6detail15normal_iteratorINS9_10device_ptrIiEEEENS9_16discard_iteratorINS9_11use_defaultEEEiNS9_4plusIvEEiEEDaPvRmT3_T4_T5_mT6_P12ihipStream_tbENKUlT_T0_E_clISt17integral_constantIbLb0EESX_EEDaSS_ST_EUlSS_E_NS1_11comp_targetILNS1_3genE10ELNS1_11target_archE1201ELNS1_3gpuE5ELNS1_3repE0EEENS1_30default_config_static_selectorELNS0_4arch9wavefront6targetE1EEEvT1_
                                        ; -- End function
	.section	.AMDGPU.csdata,"",@progbits
; Kernel info:
; codeLenInByte = 0
; NumSgprs: 4
; NumVgprs: 0
; NumAgprs: 0
; TotalNumVgprs: 0
; ScratchSize: 0
; MemoryBound: 0
; FloatMode: 240
; IeeeMode: 1
; LDSByteSize: 0 bytes/workgroup (compile time only)
; SGPRBlocks: 0
; VGPRBlocks: 0
; NumSGPRsForWavesPerEU: 4
; NumVGPRsForWavesPerEU: 1
; AccumOffset: 4
; Occupancy: 8
; WaveLimiterHint : 0
; COMPUTE_PGM_RSRC2:SCRATCH_EN: 0
; COMPUTE_PGM_RSRC2:USER_SGPR: 6
; COMPUTE_PGM_RSRC2:TRAP_HANDLER: 0
; COMPUTE_PGM_RSRC2:TGID_X_EN: 1
; COMPUTE_PGM_RSRC2:TGID_Y_EN: 0
; COMPUTE_PGM_RSRC2:TGID_Z_EN: 0
; COMPUTE_PGM_RSRC2:TIDIG_COMP_CNT: 0
; COMPUTE_PGM_RSRC3_GFX90A:ACCUM_OFFSET: 0
; COMPUTE_PGM_RSRC3_GFX90A:TG_SPLIT: 0
	.section	.text._ZN7rocprim17ROCPRIM_400000_NS6detail17trampoline_kernelINS0_14default_configENS1_20scan_config_selectorIiEEZZNS1_9scan_implILNS1_25lookback_scan_determinismE0ELb1ELb1ES3_N6thrust23THRUST_200600_302600_NS6detail15normal_iteratorINS9_10device_ptrIiEEEENS9_16discard_iteratorINS9_11use_defaultEEEiNS9_4plusIvEEiEEDaPvRmT3_T4_T5_mT6_P12ihipStream_tbENKUlT_T0_E_clISt17integral_constantIbLb0EESX_EEDaSS_ST_EUlSS_E_NS1_11comp_targetILNS1_3genE10ELNS1_11target_archE1200ELNS1_3gpuE4ELNS1_3repE0EEENS1_30default_config_static_selectorELNS0_4arch9wavefront6targetE1EEEvT1_,"axG",@progbits,_ZN7rocprim17ROCPRIM_400000_NS6detail17trampoline_kernelINS0_14default_configENS1_20scan_config_selectorIiEEZZNS1_9scan_implILNS1_25lookback_scan_determinismE0ELb1ELb1ES3_N6thrust23THRUST_200600_302600_NS6detail15normal_iteratorINS9_10device_ptrIiEEEENS9_16discard_iteratorINS9_11use_defaultEEEiNS9_4plusIvEEiEEDaPvRmT3_T4_T5_mT6_P12ihipStream_tbENKUlT_T0_E_clISt17integral_constantIbLb0EESX_EEDaSS_ST_EUlSS_E_NS1_11comp_targetILNS1_3genE10ELNS1_11target_archE1200ELNS1_3gpuE4ELNS1_3repE0EEENS1_30default_config_static_selectorELNS0_4arch9wavefront6targetE1EEEvT1_,comdat
	.protected	_ZN7rocprim17ROCPRIM_400000_NS6detail17trampoline_kernelINS0_14default_configENS1_20scan_config_selectorIiEEZZNS1_9scan_implILNS1_25lookback_scan_determinismE0ELb1ELb1ES3_N6thrust23THRUST_200600_302600_NS6detail15normal_iteratorINS9_10device_ptrIiEEEENS9_16discard_iteratorINS9_11use_defaultEEEiNS9_4plusIvEEiEEDaPvRmT3_T4_T5_mT6_P12ihipStream_tbENKUlT_T0_E_clISt17integral_constantIbLb0EESX_EEDaSS_ST_EUlSS_E_NS1_11comp_targetILNS1_3genE10ELNS1_11target_archE1200ELNS1_3gpuE4ELNS1_3repE0EEENS1_30default_config_static_selectorELNS0_4arch9wavefront6targetE1EEEvT1_ ; -- Begin function _ZN7rocprim17ROCPRIM_400000_NS6detail17trampoline_kernelINS0_14default_configENS1_20scan_config_selectorIiEEZZNS1_9scan_implILNS1_25lookback_scan_determinismE0ELb1ELb1ES3_N6thrust23THRUST_200600_302600_NS6detail15normal_iteratorINS9_10device_ptrIiEEEENS9_16discard_iteratorINS9_11use_defaultEEEiNS9_4plusIvEEiEEDaPvRmT3_T4_T5_mT6_P12ihipStream_tbENKUlT_T0_E_clISt17integral_constantIbLb0EESX_EEDaSS_ST_EUlSS_E_NS1_11comp_targetILNS1_3genE10ELNS1_11target_archE1200ELNS1_3gpuE4ELNS1_3repE0EEENS1_30default_config_static_selectorELNS0_4arch9wavefront6targetE1EEEvT1_
	.globl	_ZN7rocprim17ROCPRIM_400000_NS6detail17trampoline_kernelINS0_14default_configENS1_20scan_config_selectorIiEEZZNS1_9scan_implILNS1_25lookback_scan_determinismE0ELb1ELb1ES3_N6thrust23THRUST_200600_302600_NS6detail15normal_iteratorINS9_10device_ptrIiEEEENS9_16discard_iteratorINS9_11use_defaultEEEiNS9_4plusIvEEiEEDaPvRmT3_T4_T5_mT6_P12ihipStream_tbENKUlT_T0_E_clISt17integral_constantIbLb0EESX_EEDaSS_ST_EUlSS_E_NS1_11comp_targetILNS1_3genE10ELNS1_11target_archE1200ELNS1_3gpuE4ELNS1_3repE0EEENS1_30default_config_static_selectorELNS0_4arch9wavefront6targetE1EEEvT1_
	.p2align	8
	.type	_ZN7rocprim17ROCPRIM_400000_NS6detail17trampoline_kernelINS0_14default_configENS1_20scan_config_selectorIiEEZZNS1_9scan_implILNS1_25lookback_scan_determinismE0ELb1ELb1ES3_N6thrust23THRUST_200600_302600_NS6detail15normal_iteratorINS9_10device_ptrIiEEEENS9_16discard_iteratorINS9_11use_defaultEEEiNS9_4plusIvEEiEEDaPvRmT3_T4_T5_mT6_P12ihipStream_tbENKUlT_T0_E_clISt17integral_constantIbLb0EESX_EEDaSS_ST_EUlSS_E_NS1_11comp_targetILNS1_3genE10ELNS1_11target_archE1200ELNS1_3gpuE4ELNS1_3repE0EEENS1_30default_config_static_selectorELNS0_4arch9wavefront6targetE1EEEvT1_,@function
_ZN7rocprim17ROCPRIM_400000_NS6detail17trampoline_kernelINS0_14default_configENS1_20scan_config_selectorIiEEZZNS1_9scan_implILNS1_25lookback_scan_determinismE0ELb1ELb1ES3_N6thrust23THRUST_200600_302600_NS6detail15normal_iteratorINS9_10device_ptrIiEEEENS9_16discard_iteratorINS9_11use_defaultEEEiNS9_4plusIvEEiEEDaPvRmT3_T4_T5_mT6_P12ihipStream_tbENKUlT_T0_E_clISt17integral_constantIbLb0EESX_EEDaSS_ST_EUlSS_E_NS1_11comp_targetILNS1_3genE10ELNS1_11target_archE1200ELNS1_3gpuE4ELNS1_3repE0EEENS1_30default_config_static_selectorELNS0_4arch9wavefront6targetE1EEEvT1_: ; @_ZN7rocprim17ROCPRIM_400000_NS6detail17trampoline_kernelINS0_14default_configENS1_20scan_config_selectorIiEEZZNS1_9scan_implILNS1_25lookback_scan_determinismE0ELb1ELb1ES3_N6thrust23THRUST_200600_302600_NS6detail15normal_iteratorINS9_10device_ptrIiEEEENS9_16discard_iteratorINS9_11use_defaultEEEiNS9_4plusIvEEiEEDaPvRmT3_T4_T5_mT6_P12ihipStream_tbENKUlT_T0_E_clISt17integral_constantIbLb0EESX_EEDaSS_ST_EUlSS_E_NS1_11comp_targetILNS1_3genE10ELNS1_11target_archE1200ELNS1_3gpuE4ELNS1_3repE0EEENS1_30default_config_static_selectorELNS0_4arch9wavefront6targetE1EEEvT1_
; %bb.0:
	.section	.rodata,"a",@progbits
	.p2align	6, 0x0
	.amdhsa_kernel _ZN7rocprim17ROCPRIM_400000_NS6detail17trampoline_kernelINS0_14default_configENS1_20scan_config_selectorIiEEZZNS1_9scan_implILNS1_25lookback_scan_determinismE0ELb1ELb1ES3_N6thrust23THRUST_200600_302600_NS6detail15normal_iteratorINS9_10device_ptrIiEEEENS9_16discard_iteratorINS9_11use_defaultEEEiNS9_4plusIvEEiEEDaPvRmT3_T4_T5_mT6_P12ihipStream_tbENKUlT_T0_E_clISt17integral_constantIbLb0EESX_EEDaSS_ST_EUlSS_E_NS1_11comp_targetILNS1_3genE10ELNS1_11target_archE1200ELNS1_3gpuE4ELNS1_3repE0EEENS1_30default_config_static_selectorELNS0_4arch9wavefront6targetE1EEEvT1_
		.amdhsa_group_segment_fixed_size 0
		.amdhsa_private_segment_fixed_size 0
		.amdhsa_kernarg_size 104
		.amdhsa_user_sgpr_count 6
		.amdhsa_user_sgpr_private_segment_buffer 1
		.amdhsa_user_sgpr_dispatch_ptr 0
		.amdhsa_user_sgpr_queue_ptr 0
		.amdhsa_user_sgpr_kernarg_segment_ptr 1
		.amdhsa_user_sgpr_dispatch_id 0
		.amdhsa_user_sgpr_flat_scratch_init 0
		.amdhsa_user_sgpr_kernarg_preload_length 0
		.amdhsa_user_sgpr_kernarg_preload_offset 0
		.amdhsa_user_sgpr_private_segment_size 0
		.amdhsa_uses_dynamic_stack 0
		.amdhsa_system_sgpr_private_segment_wavefront_offset 0
		.amdhsa_system_sgpr_workgroup_id_x 1
		.amdhsa_system_sgpr_workgroup_id_y 0
		.amdhsa_system_sgpr_workgroup_id_z 0
		.amdhsa_system_sgpr_workgroup_info 0
		.amdhsa_system_vgpr_workitem_id 0
		.amdhsa_next_free_vgpr 1
		.amdhsa_next_free_sgpr 0
		.amdhsa_accum_offset 4
		.amdhsa_reserve_vcc 0
		.amdhsa_reserve_flat_scratch 0
		.amdhsa_float_round_mode_32 0
		.amdhsa_float_round_mode_16_64 0
		.amdhsa_float_denorm_mode_32 3
		.amdhsa_float_denorm_mode_16_64 3
		.amdhsa_dx10_clamp 1
		.amdhsa_ieee_mode 1
		.amdhsa_fp16_overflow 0
		.amdhsa_tg_split 0
		.amdhsa_exception_fp_ieee_invalid_op 0
		.amdhsa_exception_fp_denorm_src 0
		.amdhsa_exception_fp_ieee_div_zero 0
		.amdhsa_exception_fp_ieee_overflow 0
		.amdhsa_exception_fp_ieee_underflow 0
		.amdhsa_exception_fp_ieee_inexact 0
		.amdhsa_exception_int_div_zero 0
	.end_amdhsa_kernel
	.section	.text._ZN7rocprim17ROCPRIM_400000_NS6detail17trampoline_kernelINS0_14default_configENS1_20scan_config_selectorIiEEZZNS1_9scan_implILNS1_25lookback_scan_determinismE0ELb1ELb1ES3_N6thrust23THRUST_200600_302600_NS6detail15normal_iteratorINS9_10device_ptrIiEEEENS9_16discard_iteratorINS9_11use_defaultEEEiNS9_4plusIvEEiEEDaPvRmT3_T4_T5_mT6_P12ihipStream_tbENKUlT_T0_E_clISt17integral_constantIbLb0EESX_EEDaSS_ST_EUlSS_E_NS1_11comp_targetILNS1_3genE10ELNS1_11target_archE1200ELNS1_3gpuE4ELNS1_3repE0EEENS1_30default_config_static_selectorELNS0_4arch9wavefront6targetE1EEEvT1_,"axG",@progbits,_ZN7rocprim17ROCPRIM_400000_NS6detail17trampoline_kernelINS0_14default_configENS1_20scan_config_selectorIiEEZZNS1_9scan_implILNS1_25lookback_scan_determinismE0ELb1ELb1ES3_N6thrust23THRUST_200600_302600_NS6detail15normal_iteratorINS9_10device_ptrIiEEEENS9_16discard_iteratorINS9_11use_defaultEEEiNS9_4plusIvEEiEEDaPvRmT3_T4_T5_mT6_P12ihipStream_tbENKUlT_T0_E_clISt17integral_constantIbLb0EESX_EEDaSS_ST_EUlSS_E_NS1_11comp_targetILNS1_3genE10ELNS1_11target_archE1200ELNS1_3gpuE4ELNS1_3repE0EEENS1_30default_config_static_selectorELNS0_4arch9wavefront6targetE1EEEvT1_,comdat
.Lfunc_end5804:
	.size	_ZN7rocprim17ROCPRIM_400000_NS6detail17trampoline_kernelINS0_14default_configENS1_20scan_config_selectorIiEEZZNS1_9scan_implILNS1_25lookback_scan_determinismE0ELb1ELb1ES3_N6thrust23THRUST_200600_302600_NS6detail15normal_iteratorINS9_10device_ptrIiEEEENS9_16discard_iteratorINS9_11use_defaultEEEiNS9_4plusIvEEiEEDaPvRmT3_T4_T5_mT6_P12ihipStream_tbENKUlT_T0_E_clISt17integral_constantIbLb0EESX_EEDaSS_ST_EUlSS_E_NS1_11comp_targetILNS1_3genE10ELNS1_11target_archE1200ELNS1_3gpuE4ELNS1_3repE0EEENS1_30default_config_static_selectorELNS0_4arch9wavefront6targetE1EEEvT1_, .Lfunc_end5804-_ZN7rocprim17ROCPRIM_400000_NS6detail17trampoline_kernelINS0_14default_configENS1_20scan_config_selectorIiEEZZNS1_9scan_implILNS1_25lookback_scan_determinismE0ELb1ELb1ES3_N6thrust23THRUST_200600_302600_NS6detail15normal_iteratorINS9_10device_ptrIiEEEENS9_16discard_iteratorINS9_11use_defaultEEEiNS9_4plusIvEEiEEDaPvRmT3_T4_T5_mT6_P12ihipStream_tbENKUlT_T0_E_clISt17integral_constantIbLb0EESX_EEDaSS_ST_EUlSS_E_NS1_11comp_targetILNS1_3genE10ELNS1_11target_archE1200ELNS1_3gpuE4ELNS1_3repE0EEENS1_30default_config_static_selectorELNS0_4arch9wavefront6targetE1EEEvT1_
                                        ; -- End function
	.section	.AMDGPU.csdata,"",@progbits
; Kernel info:
; codeLenInByte = 0
; NumSgprs: 4
; NumVgprs: 0
; NumAgprs: 0
; TotalNumVgprs: 0
; ScratchSize: 0
; MemoryBound: 0
; FloatMode: 240
; IeeeMode: 1
; LDSByteSize: 0 bytes/workgroup (compile time only)
; SGPRBlocks: 0
; VGPRBlocks: 0
; NumSGPRsForWavesPerEU: 4
; NumVGPRsForWavesPerEU: 1
; AccumOffset: 4
; Occupancy: 8
; WaveLimiterHint : 0
; COMPUTE_PGM_RSRC2:SCRATCH_EN: 0
; COMPUTE_PGM_RSRC2:USER_SGPR: 6
; COMPUTE_PGM_RSRC2:TRAP_HANDLER: 0
; COMPUTE_PGM_RSRC2:TGID_X_EN: 1
; COMPUTE_PGM_RSRC2:TGID_Y_EN: 0
; COMPUTE_PGM_RSRC2:TGID_Z_EN: 0
; COMPUTE_PGM_RSRC2:TIDIG_COMP_CNT: 0
; COMPUTE_PGM_RSRC3_GFX90A:ACCUM_OFFSET: 0
; COMPUTE_PGM_RSRC3_GFX90A:TG_SPLIT: 0
	.section	.text._ZN7rocprim17ROCPRIM_400000_NS6detail17trampoline_kernelINS0_14default_configENS1_20scan_config_selectorIiEEZZNS1_9scan_implILNS1_25lookback_scan_determinismE0ELb1ELb1ES3_N6thrust23THRUST_200600_302600_NS6detail15normal_iteratorINS9_10device_ptrIiEEEENS9_16discard_iteratorINS9_11use_defaultEEEiNS9_4plusIvEEiEEDaPvRmT3_T4_T5_mT6_P12ihipStream_tbENKUlT_T0_E_clISt17integral_constantIbLb0EESX_EEDaSS_ST_EUlSS_E_NS1_11comp_targetILNS1_3genE9ELNS1_11target_archE1100ELNS1_3gpuE3ELNS1_3repE0EEENS1_30default_config_static_selectorELNS0_4arch9wavefront6targetE1EEEvT1_,"axG",@progbits,_ZN7rocprim17ROCPRIM_400000_NS6detail17trampoline_kernelINS0_14default_configENS1_20scan_config_selectorIiEEZZNS1_9scan_implILNS1_25lookback_scan_determinismE0ELb1ELb1ES3_N6thrust23THRUST_200600_302600_NS6detail15normal_iteratorINS9_10device_ptrIiEEEENS9_16discard_iteratorINS9_11use_defaultEEEiNS9_4plusIvEEiEEDaPvRmT3_T4_T5_mT6_P12ihipStream_tbENKUlT_T0_E_clISt17integral_constantIbLb0EESX_EEDaSS_ST_EUlSS_E_NS1_11comp_targetILNS1_3genE9ELNS1_11target_archE1100ELNS1_3gpuE3ELNS1_3repE0EEENS1_30default_config_static_selectorELNS0_4arch9wavefront6targetE1EEEvT1_,comdat
	.protected	_ZN7rocprim17ROCPRIM_400000_NS6detail17trampoline_kernelINS0_14default_configENS1_20scan_config_selectorIiEEZZNS1_9scan_implILNS1_25lookback_scan_determinismE0ELb1ELb1ES3_N6thrust23THRUST_200600_302600_NS6detail15normal_iteratorINS9_10device_ptrIiEEEENS9_16discard_iteratorINS9_11use_defaultEEEiNS9_4plusIvEEiEEDaPvRmT3_T4_T5_mT6_P12ihipStream_tbENKUlT_T0_E_clISt17integral_constantIbLb0EESX_EEDaSS_ST_EUlSS_E_NS1_11comp_targetILNS1_3genE9ELNS1_11target_archE1100ELNS1_3gpuE3ELNS1_3repE0EEENS1_30default_config_static_selectorELNS0_4arch9wavefront6targetE1EEEvT1_ ; -- Begin function _ZN7rocprim17ROCPRIM_400000_NS6detail17trampoline_kernelINS0_14default_configENS1_20scan_config_selectorIiEEZZNS1_9scan_implILNS1_25lookback_scan_determinismE0ELb1ELb1ES3_N6thrust23THRUST_200600_302600_NS6detail15normal_iteratorINS9_10device_ptrIiEEEENS9_16discard_iteratorINS9_11use_defaultEEEiNS9_4plusIvEEiEEDaPvRmT3_T4_T5_mT6_P12ihipStream_tbENKUlT_T0_E_clISt17integral_constantIbLb0EESX_EEDaSS_ST_EUlSS_E_NS1_11comp_targetILNS1_3genE9ELNS1_11target_archE1100ELNS1_3gpuE3ELNS1_3repE0EEENS1_30default_config_static_selectorELNS0_4arch9wavefront6targetE1EEEvT1_
	.globl	_ZN7rocprim17ROCPRIM_400000_NS6detail17trampoline_kernelINS0_14default_configENS1_20scan_config_selectorIiEEZZNS1_9scan_implILNS1_25lookback_scan_determinismE0ELb1ELb1ES3_N6thrust23THRUST_200600_302600_NS6detail15normal_iteratorINS9_10device_ptrIiEEEENS9_16discard_iteratorINS9_11use_defaultEEEiNS9_4plusIvEEiEEDaPvRmT3_T4_T5_mT6_P12ihipStream_tbENKUlT_T0_E_clISt17integral_constantIbLb0EESX_EEDaSS_ST_EUlSS_E_NS1_11comp_targetILNS1_3genE9ELNS1_11target_archE1100ELNS1_3gpuE3ELNS1_3repE0EEENS1_30default_config_static_selectorELNS0_4arch9wavefront6targetE1EEEvT1_
	.p2align	8
	.type	_ZN7rocprim17ROCPRIM_400000_NS6detail17trampoline_kernelINS0_14default_configENS1_20scan_config_selectorIiEEZZNS1_9scan_implILNS1_25lookback_scan_determinismE0ELb1ELb1ES3_N6thrust23THRUST_200600_302600_NS6detail15normal_iteratorINS9_10device_ptrIiEEEENS9_16discard_iteratorINS9_11use_defaultEEEiNS9_4plusIvEEiEEDaPvRmT3_T4_T5_mT6_P12ihipStream_tbENKUlT_T0_E_clISt17integral_constantIbLb0EESX_EEDaSS_ST_EUlSS_E_NS1_11comp_targetILNS1_3genE9ELNS1_11target_archE1100ELNS1_3gpuE3ELNS1_3repE0EEENS1_30default_config_static_selectorELNS0_4arch9wavefront6targetE1EEEvT1_,@function
_ZN7rocprim17ROCPRIM_400000_NS6detail17trampoline_kernelINS0_14default_configENS1_20scan_config_selectorIiEEZZNS1_9scan_implILNS1_25lookback_scan_determinismE0ELb1ELb1ES3_N6thrust23THRUST_200600_302600_NS6detail15normal_iteratorINS9_10device_ptrIiEEEENS9_16discard_iteratorINS9_11use_defaultEEEiNS9_4plusIvEEiEEDaPvRmT3_T4_T5_mT6_P12ihipStream_tbENKUlT_T0_E_clISt17integral_constantIbLb0EESX_EEDaSS_ST_EUlSS_E_NS1_11comp_targetILNS1_3genE9ELNS1_11target_archE1100ELNS1_3gpuE3ELNS1_3repE0EEENS1_30default_config_static_selectorELNS0_4arch9wavefront6targetE1EEEvT1_: ; @_ZN7rocprim17ROCPRIM_400000_NS6detail17trampoline_kernelINS0_14default_configENS1_20scan_config_selectorIiEEZZNS1_9scan_implILNS1_25lookback_scan_determinismE0ELb1ELb1ES3_N6thrust23THRUST_200600_302600_NS6detail15normal_iteratorINS9_10device_ptrIiEEEENS9_16discard_iteratorINS9_11use_defaultEEEiNS9_4plusIvEEiEEDaPvRmT3_T4_T5_mT6_P12ihipStream_tbENKUlT_T0_E_clISt17integral_constantIbLb0EESX_EEDaSS_ST_EUlSS_E_NS1_11comp_targetILNS1_3genE9ELNS1_11target_archE1100ELNS1_3gpuE3ELNS1_3repE0EEENS1_30default_config_static_selectorELNS0_4arch9wavefront6targetE1EEEvT1_
; %bb.0:
	.section	.rodata,"a",@progbits
	.p2align	6, 0x0
	.amdhsa_kernel _ZN7rocprim17ROCPRIM_400000_NS6detail17trampoline_kernelINS0_14default_configENS1_20scan_config_selectorIiEEZZNS1_9scan_implILNS1_25lookback_scan_determinismE0ELb1ELb1ES3_N6thrust23THRUST_200600_302600_NS6detail15normal_iteratorINS9_10device_ptrIiEEEENS9_16discard_iteratorINS9_11use_defaultEEEiNS9_4plusIvEEiEEDaPvRmT3_T4_T5_mT6_P12ihipStream_tbENKUlT_T0_E_clISt17integral_constantIbLb0EESX_EEDaSS_ST_EUlSS_E_NS1_11comp_targetILNS1_3genE9ELNS1_11target_archE1100ELNS1_3gpuE3ELNS1_3repE0EEENS1_30default_config_static_selectorELNS0_4arch9wavefront6targetE1EEEvT1_
		.amdhsa_group_segment_fixed_size 0
		.amdhsa_private_segment_fixed_size 0
		.amdhsa_kernarg_size 104
		.amdhsa_user_sgpr_count 6
		.amdhsa_user_sgpr_private_segment_buffer 1
		.amdhsa_user_sgpr_dispatch_ptr 0
		.amdhsa_user_sgpr_queue_ptr 0
		.amdhsa_user_sgpr_kernarg_segment_ptr 1
		.amdhsa_user_sgpr_dispatch_id 0
		.amdhsa_user_sgpr_flat_scratch_init 0
		.amdhsa_user_sgpr_kernarg_preload_length 0
		.amdhsa_user_sgpr_kernarg_preload_offset 0
		.amdhsa_user_sgpr_private_segment_size 0
		.amdhsa_uses_dynamic_stack 0
		.amdhsa_system_sgpr_private_segment_wavefront_offset 0
		.amdhsa_system_sgpr_workgroup_id_x 1
		.amdhsa_system_sgpr_workgroup_id_y 0
		.amdhsa_system_sgpr_workgroup_id_z 0
		.amdhsa_system_sgpr_workgroup_info 0
		.amdhsa_system_vgpr_workitem_id 0
		.amdhsa_next_free_vgpr 1
		.amdhsa_next_free_sgpr 0
		.amdhsa_accum_offset 4
		.amdhsa_reserve_vcc 0
		.amdhsa_reserve_flat_scratch 0
		.amdhsa_float_round_mode_32 0
		.amdhsa_float_round_mode_16_64 0
		.amdhsa_float_denorm_mode_32 3
		.amdhsa_float_denorm_mode_16_64 3
		.amdhsa_dx10_clamp 1
		.amdhsa_ieee_mode 1
		.amdhsa_fp16_overflow 0
		.amdhsa_tg_split 0
		.amdhsa_exception_fp_ieee_invalid_op 0
		.amdhsa_exception_fp_denorm_src 0
		.amdhsa_exception_fp_ieee_div_zero 0
		.amdhsa_exception_fp_ieee_overflow 0
		.amdhsa_exception_fp_ieee_underflow 0
		.amdhsa_exception_fp_ieee_inexact 0
		.amdhsa_exception_int_div_zero 0
	.end_amdhsa_kernel
	.section	.text._ZN7rocprim17ROCPRIM_400000_NS6detail17trampoline_kernelINS0_14default_configENS1_20scan_config_selectorIiEEZZNS1_9scan_implILNS1_25lookback_scan_determinismE0ELb1ELb1ES3_N6thrust23THRUST_200600_302600_NS6detail15normal_iteratorINS9_10device_ptrIiEEEENS9_16discard_iteratorINS9_11use_defaultEEEiNS9_4plusIvEEiEEDaPvRmT3_T4_T5_mT6_P12ihipStream_tbENKUlT_T0_E_clISt17integral_constantIbLb0EESX_EEDaSS_ST_EUlSS_E_NS1_11comp_targetILNS1_3genE9ELNS1_11target_archE1100ELNS1_3gpuE3ELNS1_3repE0EEENS1_30default_config_static_selectorELNS0_4arch9wavefront6targetE1EEEvT1_,"axG",@progbits,_ZN7rocprim17ROCPRIM_400000_NS6detail17trampoline_kernelINS0_14default_configENS1_20scan_config_selectorIiEEZZNS1_9scan_implILNS1_25lookback_scan_determinismE0ELb1ELb1ES3_N6thrust23THRUST_200600_302600_NS6detail15normal_iteratorINS9_10device_ptrIiEEEENS9_16discard_iteratorINS9_11use_defaultEEEiNS9_4plusIvEEiEEDaPvRmT3_T4_T5_mT6_P12ihipStream_tbENKUlT_T0_E_clISt17integral_constantIbLb0EESX_EEDaSS_ST_EUlSS_E_NS1_11comp_targetILNS1_3genE9ELNS1_11target_archE1100ELNS1_3gpuE3ELNS1_3repE0EEENS1_30default_config_static_selectorELNS0_4arch9wavefront6targetE1EEEvT1_,comdat
.Lfunc_end5805:
	.size	_ZN7rocprim17ROCPRIM_400000_NS6detail17trampoline_kernelINS0_14default_configENS1_20scan_config_selectorIiEEZZNS1_9scan_implILNS1_25lookback_scan_determinismE0ELb1ELb1ES3_N6thrust23THRUST_200600_302600_NS6detail15normal_iteratorINS9_10device_ptrIiEEEENS9_16discard_iteratorINS9_11use_defaultEEEiNS9_4plusIvEEiEEDaPvRmT3_T4_T5_mT6_P12ihipStream_tbENKUlT_T0_E_clISt17integral_constantIbLb0EESX_EEDaSS_ST_EUlSS_E_NS1_11comp_targetILNS1_3genE9ELNS1_11target_archE1100ELNS1_3gpuE3ELNS1_3repE0EEENS1_30default_config_static_selectorELNS0_4arch9wavefront6targetE1EEEvT1_, .Lfunc_end5805-_ZN7rocprim17ROCPRIM_400000_NS6detail17trampoline_kernelINS0_14default_configENS1_20scan_config_selectorIiEEZZNS1_9scan_implILNS1_25lookback_scan_determinismE0ELb1ELb1ES3_N6thrust23THRUST_200600_302600_NS6detail15normal_iteratorINS9_10device_ptrIiEEEENS9_16discard_iteratorINS9_11use_defaultEEEiNS9_4plusIvEEiEEDaPvRmT3_T4_T5_mT6_P12ihipStream_tbENKUlT_T0_E_clISt17integral_constantIbLb0EESX_EEDaSS_ST_EUlSS_E_NS1_11comp_targetILNS1_3genE9ELNS1_11target_archE1100ELNS1_3gpuE3ELNS1_3repE0EEENS1_30default_config_static_selectorELNS0_4arch9wavefront6targetE1EEEvT1_
                                        ; -- End function
	.section	.AMDGPU.csdata,"",@progbits
; Kernel info:
; codeLenInByte = 0
; NumSgprs: 4
; NumVgprs: 0
; NumAgprs: 0
; TotalNumVgprs: 0
; ScratchSize: 0
; MemoryBound: 0
; FloatMode: 240
; IeeeMode: 1
; LDSByteSize: 0 bytes/workgroup (compile time only)
; SGPRBlocks: 0
; VGPRBlocks: 0
; NumSGPRsForWavesPerEU: 4
; NumVGPRsForWavesPerEU: 1
; AccumOffset: 4
; Occupancy: 8
; WaveLimiterHint : 0
; COMPUTE_PGM_RSRC2:SCRATCH_EN: 0
; COMPUTE_PGM_RSRC2:USER_SGPR: 6
; COMPUTE_PGM_RSRC2:TRAP_HANDLER: 0
; COMPUTE_PGM_RSRC2:TGID_X_EN: 1
; COMPUTE_PGM_RSRC2:TGID_Y_EN: 0
; COMPUTE_PGM_RSRC2:TGID_Z_EN: 0
; COMPUTE_PGM_RSRC2:TIDIG_COMP_CNT: 0
; COMPUTE_PGM_RSRC3_GFX90A:ACCUM_OFFSET: 0
; COMPUTE_PGM_RSRC3_GFX90A:TG_SPLIT: 0
	.section	.text._ZN7rocprim17ROCPRIM_400000_NS6detail17trampoline_kernelINS0_14default_configENS1_20scan_config_selectorIiEEZZNS1_9scan_implILNS1_25lookback_scan_determinismE0ELb1ELb1ES3_N6thrust23THRUST_200600_302600_NS6detail15normal_iteratorINS9_10device_ptrIiEEEENS9_16discard_iteratorINS9_11use_defaultEEEiNS9_4plusIvEEiEEDaPvRmT3_T4_T5_mT6_P12ihipStream_tbENKUlT_T0_E_clISt17integral_constantIbLb0EESX_EEDaSS_ST_EUlSS_E_NS1_11comp_targetILNS1_3genE8ELNS1_11target_archE1030ELNS1_3gpuE2ELNS1_3repE0EEENS1_30default_config_static_selectorELNS0_4arch9wavefront6targetE1EEEvT1_,"axG",@progbits,_ZN7rocprim17ROCPRIM_400000_NS6detail17trampoline_kernelINS0_14default_configENS1_20scan_config_selectorIiEEZZNS1_9scan_implILNS1_25lookback_scan_determinismE0ELb1ELb1ES3_N6thrust23THRUST_200600_302600_NS6detail15normal_iteratorINS9_10device_ptrIiEEEENS9_16discard_iteratorINS9_11use_defaultEEEiNS9_4plusIvEEiEEDaPvRmT3_T4_T5_mT6_P12ihipStream_tbENKUlT_T0_E_clISt17integral_constantIbLb0EESX_EEDaSS_ST_EUlSS_E_NS1_11comp_targetILNS1_3genE8ELNS1_11target_archE1030ELNS1_3gpuE2ELNS1_3repE0EEENS1_30default_config_static_selectorELNS0_4arch9wavefront6targetE1EEEvT1_,comdat
	.protected	_ZN7rocprim17ROCPRIM_400000_NS6detail17trampoline_kernelINS0_14default_configENS1_20scan_config_selectorIiEEZZNS1_9scan_implILNS1_25lookback_scan_determinismE0ELb1ELb1ES3_N6thrust23THRUST_200600_302600_NS6detail15normal_iteratorINS9_10device_ptrIiEEEENS9_16discard_iteratorINS9_11use_defaultEEEiNS9_4plusIvEEiEEDaPvRmT3_T4_T5_mT6_P12ihipStream_tbENKUlT_T0_E_clISt17integral_constantIbLb0EESX_EEDaSS_ST_EUlSS_E_NS1_11comp_targetILNS1_3genE8ELNS1_11target_archE1030ELNS1_3gpuE2ELNS1_3repE0EEENS1_30default_config_static_selectorELNS0_4arch9wavefront6targetE1EEEvT1_ ; -- Begin function _ZN7rocprim17ROCPRIM_400000_NS6detail17trampoline_kernelINS0_14default_configENS1_20scan_config_selectorIiEEZZNS1_9scan_implILNS1_25lookback_scan_determinismE0ELb1ELb1ES3_N6thrust23THRUST_200600_302600_NS6detail15normal_iteratorINS9_10device_ptrIiEEEENS9_16discard_iteratorINS9_11use_defaultEEEiNS9_4plusIvEEiEEDaPvRmT3_T4_T5_mT6_P12ihipStream_tbENKUlT_T0_E_clISt17integral_constantIbLb0EESX_EEDaSS_ST_EUlSS_E_NS1_11comp_targetILNS1_3genE8ELNS1_11target_archE1030ELNS1_3gpuE2ELNS1_3repE0EEENS1_30default_config_static_selectorELNS0_4arch9wavefront6targetE1EEEvT1_
	.globl	_ZN7rocprim17ROCPRIM_400000_NS6detail17trampoline_kernelINS0_14default_configENS1_20scan_config_selectorIiEEZZNS1_9scan_implILNS1_25lookback_scan_determinismE0ELb1ELb1ES3_N6thrust23THRUST_200600_302600_NS6detail15normal_iteratorINS9_10device_ptrIiEEEENS9_16discard_iteratorINS9_11use_defaultEEEiNS9_4plusIvEEiEEDaPvRmT3_T4_T5_mT6_P12ihipStream_tbENKUlT_T0_E_clISt17integral_constantIbLb0EESX_EEDaSS_ST_EUlSS_E_NS1_11comp_targetILNS1_3genE8ELNS1_11target_archE1030ELNS1_3gpuE2ELNS1_3repE0EEENS1_30default_config_static_selectorELNS0_4arch9wavefront6targetE1EEEvT1_
	.p2align	8
	.type	_ZN7rocprim17ROCPRIM_400000_NS6detail17trampoline_kernelINS0_14default_configENS1_20scan_config_selectorIiEEZZNS1_9scan_implILNS1_25lookback_scan_determinismE0ELb1ELb1ES3_N6thrust23THRUST_200600_302600_NS6detail15normal_iteratorINS9_10device_ptrIiEEEENS9_16discard_iteratorINS9_11use_defaultEEEiNS9_4plusIvEEiEEDaPvRmT3_T4_T5_mT6_P12ihipStream_tbENKUlT_T0_E_clISt17integral_constantIbLb0EESX_EEDaSS_ST_EUlSS_E_NS1_11comp_targetILNS1_3genE8ELNS1_11target_archE1030ELNS1_3gpuE2ELNS1_3repE0EEENS1_30default_config_static_selectorELNS0_4arch9wavefront6targetE1EEEvT1_,@function
_ZN7rocprim17ROCPRIM_400000_NS6detail17trampoline_kernelINS0_14default_configENS1_20scan_config_selectorIiEEZZNS1_9scan_implILNS1_25lookback_scan_determinismE0ELb1ELb1ES3_N6thrust23THRUST_200600_302600_NS6detail15normal_iteratorINS9_10device_ptrIiEEEENS9_16discard_iteratorINS9_11use_defaultEEEiNS9_4plusIvEEiEEDaPvRmT3_T4_T5_mT6_P12ihipStream_tbENKUlT_T0_E_clISt17integral_constantIbLb0EESX_EEDaSS_ST_EUlSS_E_NS1_11comp_targetILNS1_3genE8ELNS1_11target_archE1030ELNS1_3gpuE2ELNS1_3repE0EEENS1_30default_config_static_selectorELNS0_4arch9wavefront6targetE1EEEvT1_: ; @_ZN7rocprim17ROCPRIM_400000_NS6detail17trampoline_kernelINS0_14default_configENS1_20scan_config_selectorIiEEZZNS1_9scan_implILNS1_25lookback_scan_determinismE0ELb1ELb1ES3_N6thrust23THRUST_200600_302600_NS6detail15normal_iteratorINS9_10device_ptrIiEEEENS9_16discard_iteratorINS9_11use_defaultEEEiNS9_4plusIvEEiEEDaPvRmT3_T4_T5_mT6_P12ihipStream_tbENKUlT_T0_E_clISt17integral_constantIbLb0EESX_EEDaSS_ST_EUlSS_E_NS1_11comp_targetILNS1_3genE8ELNS1_11target_archE1030ELNS1_3gpuE2ELNS1_3repE0EEENS1_30default_config_static_selectorELNS0_4arch9wavefront6targetE1EEEvT1_
; %bb.0:
	.section	.rodata,"a",@progbits
	.p2align	6, 0x0
	.amdhsa_kernel _ZN7rocprim17ROCPRIM_400000_NS6detail17trampoline_kernelINS0_14default_configENS1_20scan_config_selectorIiEEZZNS1_9scan_implILNS1_25lookback_scan_determinismE0ELb1ELb1ES3_N6thrust23THRUST_200600_302600_NS6detail15normal_iteratorINS9_10device_ptrIiEEEENS9_16discard_iteratorINS9_11use_defaultEEEiNS9_4plusIvEEiEEDaPvRmT3_T4_T5_mT6_P12ihipStream_tbENKUlT_T0_E_clISt17integral_constantIbLb0EESX_EEDaSS_ST_EUlSS_E_NS1_11comp_targetILNS1_3genE8ELNS1_11target_archE1030ELNS1_3gpuE2ELNS1_3repE0EEENS1_30default_config_static_selectorELNS0_4arch9wavefront6targetE1EEEvT1_
		.amdhsa_group_segment_fixed_size 0
		.amdhsa_private_segment_fixed_size 0
		.amdhsa_kernarg_size 104
		.amdhsa_user_sgpr_count 6
		.amdhsa_user_sgpr_private_segment_buffer 1
		.amdhsa_user_sgpr_dispatch_ptr 0
		.amdhsa_user_sgpr_queue_ptr 0
		.amdhsa_user_sgpr_kernarg_segment_ptr 1
		.amdhsa_user_sgpr_dispatch_id 0
		.amdhsa_user_sgpr_flat_scratch_init 0
		.amdhsa_user_sgpr_kernarg_preload_length 0
		.amdhsa_user_sgpr_kernarg_preload_offset 0
		.amdhsa_user_sgpr_private_segment_size 0
		.amdhsa_uses_dynamic_stack 0
		.amdhsa_system_sgpr_private_segment_wavefront_offset 0
		.amdhsa_system_sgpr_workgroup_id_x 1
		.amdhsa_system_sgpr_workgroup_id_y 0
		.amdhsa_system_sgpr_workgroup_id_z 0
		.amdhsa_system_sgpr_workgroup_info 0
		.amdhsa_system_vgpr_workitem_id 0
		.amdhsa_next_free_vgpr 1
		.amdhsa_next_free_sgpr 0
		.amdhsa_accum_offset 4
		.amdhsa_reserve_vcc 0
		.amdhsa_reserve_flat_scratch 0
		.amdhsa_float_round_mode_32 0
		.amdhsa_float_round_mode_16_64 0
		.amdhsa_float_denorm_mode_32 3
		.amdhsa_float_denorm_mode_16_64 3
		.amdhsa_dx10_clamp 1
		.amdhsa_ieee_mode 1
		.amdhsa_fp16_overflow 0
		.amdhsa_tg_split 0
		.amdhsa_exception_fp_ieee_invalid_op 0
		.amdhsa_exception_fp_denorm_src 0
		.amdhsa_exception_fp_ieee_div_zero 0
		.amdhsa_exception_fp_ieee_overflow 0
		.amdhsa_exception_fp_ieee_underflow 0
		.amdhsa_exception_fp_ieee_inexact 0
		.amdhsa_exception_int_div_zero 0
	.end_amdhsa_kernel
	.section	.text._ZN7rocprim17ROCPRIM_400000_NS6detail17trampoline_kernelINS0_14default_configENS1_20scan_config_selectorIiEEZZNS1_9scan_implILNS1_25lookback_scan_determinismE0ELb1ELb1ES3_N6thrust23THRUST_200600_302600_NS6detail15normal_iteratorINS9_10device_ptrIiEEEENS9_16discard_iteratorINS9_11use_defaultEEEiNS9_4plusIvEEiEEDaPvRmT3_T4_T5_mT6_P12ihipStream_tbENKUlT_T0_E_clISt17integral_constantIbLb0EESX_EEDaSS_ST_EUlSS_E_NS1_11comp_targetILNS1_3genE8ELNS1_11target_archE1030ELNS1_3gpuE2ELNS1_3repE0EEENS1_30default_config_static_selectorELNS0_4arch9wavefront6targetE1EEEvT1_,"axG",@progbits,_ZN7rocprim17ROCPRIM_400000_NS6detail17trampoline_kernelINS0_14default_configENS1_20scan_config_selectorIiEEZZNS1_9scan_implILNS1_25lookback_scan_determinismE0ELb1ELb1ES3_N6thrust23THRUST_200600_302600_NS6detail15normal_iteratorINS9_10device_ptrIiEEEENS9_16discard_iteratorINS9_11use_defaultEEEiNS9_4plusIvEEiEEDaPvRmT3_T4_T5_mT6_P12ihipStream_tbENKUlT_T0_E_clISt17integral_constantIbLb0EESX_EEDaSS_ST_EUlSS_E_NS1_11comp_targetILNS1_3genE8ELNS1_11target_archE1030ELNS1_3gpuE2ELNS1_3repE0EEENS1_30default_config_static_selectorELNS0_4arch9wavefront6targetE1EEEvT1_,comdat
.Lfunc_end5806:
	.size	_ZN7rocprim17ROCPRIM_400000_NS6detail17trampoline_kernelINS0_14default_configENS1_20scan_config_selectorIiEEZZNS1_9scan_implILNS1_25lookback_scan_determinismE0ELb1ELb1ES3_N6thrust23THRUST_200600_302600_NS6detail15normal_iteratorINS9_10device_ptrIiEEEENS9_16discard_iteratorINS9_11use_defaultEEEiNS9_4plusIvEEiEEDaPvRmT3_T4_T5_mT6_P12ihipStream_tbENKUlT_T0_E_clISt17integral_constantIbLb0EESX_EEDaSS_ST_EUlSS_E_NS1_11comp_targetILNS1_3genE8ELNS1_11target_archE1030ELNS1_3gpuE2ELNS1_3repE0EEENS1_30default_config_static_selectorELNS0_4arch9wavefront6targetE1EEEvT1_, .Lfunc_end5806-_ZN7rocprim17ROCPRIM_400000_NS6detail17trampoline_kernelINS0_14default_configENS1_20scan_config_selectorIiEEZZNS1_9scan_implILNS1_25lookback_scan_determinismE0ELb1ELb1ES3_N6thrust23THRUST_200600_302600_NS6detail15normal_iteratorINS9_10device_ptrIiEEEENS9_16discard_iteratorINS9_11use_defaultEEEiNS9_4plusIvEEiEEDaPvRmT3_T4_T5_mT6_P12ihipStream_tbENKUlT_T0_E_clISt17integral_constantIbLb0EESX_EEDaSS_ST_EUlSS_E_NS1_11comp_targetILNS1_3genE8ELNS1_11target_archE1030ELNS1_3gpuE2ELNS1_3repE0EEENS1_30default_config_static_selectorELNS0_4arch9wavefront6targetE1EEEvT1_
                                        ; -- End function
	.section	.AMDGPU.csdata,"",@progbits
; Kernel info:
; codeLenInByte = 0
; NumSgprs: 4
; NumVgprs: 0
; NumAgprs: 0
; TotalNumVgprs: 0
; ScratchSize: 0
; MemoryBound: 0
; FloatMode: 240
; IeeeMode: 1
; LDSByteSize: 0 bytes/workgroup (compile time only)
; SGPRBlocks: 0
; VGPRBlocks: 0
; NumSGPRsForWavesPerEU: 4
; NumVGPRsForWavesPerEU: 1
; AccumOffset: 4
; Occupancy: 8
; WaveLimiterHint : 0
; COMPUTE_PGM_RSRC2:SCRATCH_EN: 0
; COMPUTE_PGM_RSRC2:USER_SGPR: 6
; COMPUTE_PGM_RSRC2:TRAP_HANDLER: 0
; COMPUTE_PGM_RSRC2:TGID_X_EN: 1
; COMPUTE_PGM_RSRC2:TGID_Y_EN: 0
; COMPUTE_PGM_RSRC2:TGID_Z_EN: 0
; COMPUTE_PGM_RSRC2:TIDIG_COMP_CNT: 0
; COMPUTE_PGM_RSRC3_GFX90A:ACCUM_OFFSET: 0
; COMPUTE_PGM_RSRC3_GFX90A:TG_SPLIT: 0
	.section	.text._ZN7rocprim17ROCPRIM_400000_NS6detail17trampoline_kernelINS0_14default_configENS1_20scan_config_selectorIiEEZZNS1_9scan_implILNS1_25lookback_scan_determinismE0ELb1ELb1ES3_N6thrust23THRUST_200600_302600_NS6detail15normal_iteratorINS9_10device_ptrIiEEEENS9_16discard_iteratorINS9_11use_defaultEEEiNS9_4plusIvEEiEEDaPvRmT3_T4_T5_mT6_P12ihipStream_tbENKUlT_T0_E_clISt17integral_constantIbLb0EESX_EEDaSS_ST_EUlSS_E0_NS1_11comp_targetILNS1_3genE0ELNS1_11target_archE4294967295ELNS1_3gpuE0ELNS1_3repE0EEENS1_30default_config_static_selectorELNS0_4arch9wavefront6targetE1EEEvT1_,"axG",@progbits,_ZN7rocprim17ROCPRIM_400000_NS6detail17trampoline_kernelINS0_14default_configENS1_20scan_config_selectorIiEEZZNS1_9scan_implILNS1_25lookback_scan_determinismE0ELb1ELb1ES3_N6thrust23THRUST_200600_302600_NS6detail15normal_iteratorINS9_10device_ptrIiEEEENS9_16discard_iteratorINS9_11use_defaultEEEiNS9_4plusIvEEiEEDaPvRmT3_T4_T5_mT6_P12ihipStream_tbENKUlT_T0_E_clISt17integral_constantIbLb0EESX_EEDaSS_ST_EUlSS_E0_NS1_11comp_targetILNS1_3genE0ELNS1_11target_archE4294967295ELNS1_3gpuE0ELNS1_3repE0EEENS1_30default_config_static_selectorELNS0_4arch9wavefront6targetE1EEEvT1_,comdat
	.protected	_ZN7rocprim17ROCPRIM_400000_NS6detail17trampoline_kernelINS0_14default_configENS1_20scan_config_selectorIiEEZZNS1_9scan_implILNS1_25lookback_scan_determinismE0ELb1ELb1ES3_N6thrust23THRUST_200600_302600_NS6detail15normal_iteratorINS9_10device_ptrIiEEEENS9_16discard_iteratorINS9_11use_defaultEEEiNS9_4plusIvEEiEEDaPvRmT3_T4_T5_mT6_P12ihipStream_tbENKUlT_T0_E_clISt17integral_constantIbLb0EESX_EEDaSS_ST_EUlSS_E0_NS1_11comp_targetILNS1_3genE0ELNS1_11target_archE4294967295ELNS1_3gpuE0ELNS1_3repE0EEENS1_30default_config_static_selectorELNS0_4arch9wavefront6targetE1EEEvT1_ ; -- Begin function _ZN7rocprim17ROCPRIM_400000_NS6detail17trampoline_kernelINS0_14default_configENS1_20scan_config_selectorIiEEZZNS1_9scan_implILNS1_25lookback_scan_determinismE0ELb1ELb1ES3_N6thrust23THRUST_200600_302600_NS6detail15normal_iteratorINS9_10device_ptrIiEEEENS9_16discard_iteratorINS9_11use_defaultEEEiNS9_4plusIvEEiEEDaPvRmT3_T4_T5_mT6_P12ihipStream_tbENKUlT_T0_E_clISt17integral_constantIbLb0EESX_EEDaSS_ST_EUlSS_E0_NS1_11comp_targetILNS1_3genE0ELNS1_11target_archE4294967295ELNS1_3gpuE0ELNS1_3repE0EEENS1_30default_config_static_selectorELNS0_4arch9wavefront6targetE1EEEvT1_
	.globl	_ZN7rocprim17ROCPRIM_400000_NS6detail17trampoline_kernelINS0_14default_configENS1_20scan_config_selectorIiEEZZNS1_9scan_implILNS1_25lookback_scan_determinismE0ELb1ELb1ES3_N6thrust23THRUST_200600_302600_NS6detail15normal_iteratorINS9_10device_ptrIiEEEENS9_16discard_iteratorINS9_11use_defaultEEEiNS9_4plusIvEEiEEDaPvRmT3_T4_T5_mT6_P12ihipStream_tbENKUlT_T0_E_clISt17integral_constantIbLb0EESX_EEDaSS_ST_EUlSS_E0_NS1_11comp_targetILNS1_3genE0ELNS1_11target_archE4294967295ELNS1_3gpuE0ELNS1_3repE0EEENS1_30default_config_static_selectorELNS0_4arch9wavefront6targetE1EEEvT1_
	.p2align	8
	.type	_ZN7rocprim17ROCPRIM_400000_NS6detail17trampoline_kernelINS0_14default_configENS1_20scan_config_selectorIiEEZZNS1_9scan_implILNS1_25lookback_scan_determinismE0ELb1ELb1ES3_N6thrust23THRUST_200600_302600_NS6detail15normal_iteratorINS9_10device_ptrIiEEEENS9_16discard_iteratorINS9_11use_defaultEEEiNS9_4plusIvEEiEEDaPvRmT3_T4_T5_mT6_P12ihipStream_tbENKUlT_T0_E_clISt17integral_constantIbLb0EESX_EEDaSS_ST_EUlSS_E0_NS1_11comp_targetILNS1_3genE0ELNS1_11target_archE4294967295ELNS1_3gpuE0ELNS1_3repE0EEENS1_30default_config_static_selectorELNS0_4arch9wavefront6targetE1EEEvT1_,@function
_ZN7rocprim17ROCPRIM_400000_NS6detail17trampoline_kernelINS0_14default_configENS1_20scan_config_selectorIiEEZZNS1_9scan_implILNS1_25lookback_scan_determinismE0ELb1ELb1ES3_N6thrust23THRUST_200600_302600_NS6detail15normal_iteratorINS9_10device_ptrIiEEEENS9_16discard_iteratorINS9_11use_defaultEEEiNS9_4plusIvEEiEEDaPvRmT3_T4_T5_mT6_P12ihipStream_tbENKUlT_T0_E_clISt17integral_constantIbLb0EESX_EEDaSS_ST_EUlSS_E0_NS1_11comp_targetILNS1_3genE0ELNS1_11target_archE4294967295ELNS1_3gpuE0ELNS1_3repE0EEENS1_30default_config_static_selectorELNS0_4arch9wavefront6targetE1EEEvT1_: ; @_ZN7rocprim17ROCPRIM_400000_NS6detail17trampoline_kernelINS0_14default_configENS1_20scan_config_selectorIiEEZZNS1_9scan_implILNS1_25lookback_scan_determinismE0ELb1ELb1ES3_N6thrust23THRUST_200600_302600_NS6detail15normal_iteratorINS9_10device_ptrIiEEEENS9_16discard_iteratorINS9_11use_defaultEEEiNS9_4plusIvEEiEEDaPvRmT3_T4_T5_mT6_P12ihipStream_tbENKUlT_T0_E_clISt17integral_constantIbLb0EESX_EEDaSS_ST_EUlSS_E0_NS1_11comp_targetILNS1_3genE0ELNS1_11target_archE4294967295ELNS1_3gpuE0ELNS1_3repE0EEENS1_30default_config_static_selectorELNS0_4arch9wavefront6targetE1EEEvT1_
; %bb.0:
	.section	.rodata,"a",@progbits
	.p2align	6, 0x0
	.amdhsa_kernel _ZN7rocprim17ROCPRIM_400000_NS6detail17trampoline_kernelINS0_14default_configENS1_20scan_config_selectorIiEEZZNS1_9scan_implILNS1_25lookback_scan_determinismE0ELb1ELb1ES3_N6thrust23THRUST_200600_302600_NS6detail15normal_iteratorINS9_10device_ptrIiEEEENS9_16discard_iteratorINS9_11use_defaultEEEiNS9_4plusIvEEiEEDaPvRmT3_T4_T5_mT6_P12ihipStream_tbENKUlT_T0_E_clISt17integral_constantIbLb0EESX_EEDaSS_ST_EUlSS_E0_NS1_11comp_targetILNS1_3genE0ELNS1_11target_archE4294967295ELNS1_3gpuE0ELNS1_3repE0EEENS1_30default_config_static_selectorELNS0_4arch9wavefront6targetE1EEEvT1_
		.amdhsa_group_segment_fixed_size 0
		.amdhsa_private_segment_fixed_size 0
		.amdhsa_kernarg_size 40
		.amdhsa_user_sgpr_count 6
		.amdhsa_user_sgpr_private_segment_buffer 1
		.amdhsa_user_sgpr_dispatch_ptr 0
		.amdhsa_user_sgpr_queue_ptr 0
		.amdhsa_user_sgpr_kernarg_segment_ptr 1
		.amdhsa_user_sgpr_dispatch_id 0
		.amdhsa_user_sgpr_flat_scratch_init 0
		.amdhsa_user_sgpr_kernarg_preload_length 0
		.amdhsa_user_sgpr_kernarg_preload_offset 0
		.amdhsa_user_sgpr_private_segment_size 0
		.amdhsa_uses_dynamic_stack 0
		.amdhsa_system_sgpr_private_segment_wavefront_offset 0
		.amdhsa_system_sgpr_workgroup_id_x 1
		.amdhsa_system_sgpr_workgroup_id_y 0
		.amdhsa_system_sgpr_workgroup_id_z 0
		.amdhsa_system_sgpr_workgroup_info 0
		.amdhsa_system_vgpr_workitem_id 0
		.amdhsa_next_free_vgpr 1
		.amdhsa_next_free_sgpr 0
		.amdhsa_accum_offset 4
		.amdhsa_reserve_vcc 0
		.amdhsa_reserve_flat_scratch 0
		.amdhsa_float_round_mode_32 0
		.amdhsa_float_round_mode_16_64 0
		.amdhsa_float_denorm_mode_32 3
		.amdhsa_float_denorm_mode_16_64 3
		.amdhsa_dx10_clamp 1
		.amdhsa_ieee_mode 1
		.amdhsa_fp16_overflow 0
		.amdhsa_tg_split 0
		.amdhsa_exception_fp_ieee_invalid_op 0
		.amdhsa_exception_fp_denorm_src 0
		.amdhsa_exception_fp_ieee_div_zero 0
		.amdhsa_exception_fp_ieee_overflow 0
		.amdhsa_exception_fp_ieee_underflow 0
		.amdhsa_exception_fp_ieee_inexact 0
		.amdhsa_exception_int_div_zero 0
	.end_amdhsa_kernel
	.section	.text._ZN7rocprim17ROCPRIM_400000_NS6detail17trampoline_kernelINS0_14default_configENS1_20scan_config_selectorIiEEZZNS1_9scan_implILNS1_25lookback_scan_determinismE0ELb1ELb1ES3_N6thrust23THRUST_200600_302600_NS6detail15normal_iteratorINS9_10device_ptrIiEEEENS9_16discard_iteratorINS9_11use_defaultEEEiNS9_4plusIvEEiEEDaPvRmT3_T4_T5_mT6_P12ihipStream_tbENKUlT_T0_E_clISt17integral_constantIbLb0EESX_EEDaSS_ST_EUlSS_E0_NS1_11comp_targetILNS1_3genE0ELNS1_11target_archE4294967295ELNS1_3gpuE0ELNS1_3repE0EEENS1_30default_config_static_selectorELNS0_4arch9wavefront6targetE1EEEvT1_,"axG",@progbits,_ZN7rocprim17ROCPRIM_400000_NS6detail17trampoline_kernelINS0_14default_configENS1_20scan_config_selectorIiEEZZNS1_9scan_implILNS1_25lookback_scan_determinismE0ELb1ELb1ES3_N6thrust23THRUST_200600_302600_NS6detail15normal_iteratorINS9_10device_ptrIiEEEENS9_16discard_iteratorINS9_11use_defaultEEEiNS9_4plusIvEEiEEDaPvRmT3_T4_T5_mT6_P12ihipStream_tbENKUlT_T0_E_clISt17integral_constantIbLb0EESX_EEDaSS_ST_EUlSS_E0_NS1_11comp_targetILNS1_3genE0ELNS1_11target_archE4294967295ELNS1_3gpuE0ELNS1_3repE0EEENS1_30default_config_static_selectorELNS0_4arch9wavefront6targetE1EEEvT1_,comdat
.Lfunc_end5807:
	.size	_ZN7rocprim17ROCPRIM_400000_NS6detail17trampoline_kernelINS0_14default_configENS1_20scan_config_selectorIiEEZZNS1_9scan_implILNS1_25lookback_scan_determinismE0ELb1ELb1ES3_N6thrust23THRUST_200600_302600_NS6detail15normal_iteratorINS9_10device_ptrIiEEEENS9_16discard_iteratorINS9_11use_defaultEEEiNS9_4plusIvEEiEEDaPvRmT3_T4_T5_mT6_P12ihipStream_tbENKUlT_T0_E_clISt17integral_constantIbLb0EESX_EEDaSS_ST_EUlSS_E0_NS1_11comp_targetILNS1_3genE0ELNS1_11target_archE4294967295ELNS1_3gpuE0ELNS1_3repE0EEENS1_30default_config_static_selectorELNS0_4arch9wavefront6targetE1EEEvT1_, .Lfunc_end5807-_ZN7rocprim17ROCPRIM_400000_NS6detail17trampoline_kernelINS0_14default_configENS1_20scan_config_selectorIiEEZZNS1_9scan_implILNS1_25lookback_scan_determinismE0ELb1ELb1ES3_N6thrust23THRUST_200600_302600_NS6detail15normal_iteratorINS9_10device_ptrIiEEEENS9_16discard_iteratorINS9_11use_defaultEEEiNS9_4plusIvEEiEEDaPvRmT3_T4_T5_mT6_P12ihipStream_tbENKUlT_T0_E_clISt17integral_constantIbLb0EESX_EEDaSS_ST_EUlSS_E0_NS1_11comp_targetILNS1_3genE0ELNS1_11target_archE4294967295ELNS1_3gpuE0ELNS1_3repE0EEENS1_30default_config_static_selectorELNS0_4arch9wavefront6targetE1EEEvT1_
                                        ; -- End function
	.section	.AMDGPU.csdata,"",@progbits
; Kernel info:
; codeLenInByte = 0
; NumSgprs: 4
; NumVgprs: 0
; NumAgprs: 0
; TotalNumVgprs: 0
; ScratchSize: 0
; MemoryBound: 0
; FloatMode: 240
; IeeeMode: 1
; LDSByteSize: 0 bytes/workgroup (compile time only)
; SGPRBlocks: 0
; VGPRBlocks: 0
; NumSGPRsForWavesPerEU: 4
; NumVGPRsForWavesPerEU: 1
; AccumOffset: 4
; Occupancy: 8
; WaveLimiterHint : 0
; COMPUTE_PGM_RSRC2:SCRATCH_EN: 0
; COMPUTE_PGM_RSRC2:USER_SGPR: 6
; COMPUTE_PGM_RSRC2:TRAP_HANDLER: 0
; COMPUTE_PGM_RSRC2:TGID_X_EN: 1
; COMPUTE_PGM_RSRC2:TGID_Y_EN: 0
; COMPUTE_PGM_RSRC2:TGID_Z_EN: 0
; COMPUTE_PGM_RSRC2:TIDIG_COMP_CNT: 0
; COMPUTE_PGM_RSRC3_GFX90A:ACCUM_OFFSET: 0
; COMPUTE_PGM_RSRC3_GFX90A:TG_SPLIT: 0
	.section	.text._ZN7rocprim17ROCPRIM_400000_NS6detail17trampoline_kernelINS0_14default_configENS1_20scan_config_selectorIiEEZZNS1_9scan_implILNS1_25lookback_scan_determinismE0ELb1ELb1ES3_N6thrust23THRUST_200600_302600_NS6detail15normal_iteratorINS9_10device_ptrIiEEEENS9_16discard_iteratorINS9_11use_defaultEEEiNS9_4plusIvEEiEEDaPvRmT3_T4_T5_mT6_P12ihipStream_tbENKUlT_T0_E_clISt17integral_constantIbLb0EESX_EEDaSS_ST_EUlSS_E0_NS1_11comp_targetILNS1_3genE5ELNS1_11target_archE942ELNS1_3gpuE9ELNS1_3repE0EEENS1_30default_config_static_selectorELNS0_4arch9wavefront6targetE1EEEvT1_,"axG",@progbits,_ZN7rocprim17ROCPRIM_400000_NS6detail17trampoline_kernelINS0_14default_configENS1_20scan_config_selectorIiEEZZNS1_9scan_implILNS1_25lookback_scan_determinismE0ELb1ELb1ES3_N6thrust23THRUST_200600_302600_NS6detail15normal_iteratorINS9_10device_ptrIiEEEENS9_16discard_iteratorINS9_11use_defaultEEEiNS9_4plusIvEEiEEDaPvRmT3_T4_T5_mT6_P12ihipStream_tbENKUlT_T0_E_clISt17integral_constantIbLb0EESX_EEDaSS_ST_EUlSS_E0_NS1_11comp_targetILNS1_3genE5ELNS1_11target_archE942ELNS1_3gpuE9ELNS1_3repE0EEENS1_30default_config_static_selectorELNS0_4arch9wavefront6targetE1EEEvT1_,comdat
	.protected	_ZN7rocprim17ROCPRIM_400000_NS6detail17trampoline_kernelINS0_14default_configENS1_20scan_config_selectorIiEEZZNS1_9scan_implILNS1_25lookback_scan_determinismE0ELb1ELb1ES3_N6thrust23THRUST_200600_302600_NS6detail15normal_iteratorINS9_10device_ptrIiEEEENS9_16discard_iteratorINS9_11use_defaultEEEiNS9_4plusIvEEiEEDaPvRmT3_T4_T5_mT6_P12ihipStream_tbENKUlT_T0_E_clISt17integral_constantIbLb0EESX_EEDaSS_ST_EUlSS_E0_NS1_11comp_targetILNS1_3genE5ELNS1_11target_archE942ELNS1_3gpuE9ELNS1_3repE0EEENS1_30default_config_static_selectorELNS0_4arch9wavefront6targetE1EEEvT1_ ; -- Begin function _ZN7rocprim17ROCPRIM_400000_NS6detail17trampoline_kernelINS0_14default_configENS1_20scan_config_selectorIiEEZZNS1_9scan_implILNS1_25lookback_scan_determinismE0ELb1ELb1ES3_N6thrust23THRUST_200600_302600_NS6detail15normal_iteratorINS9_10device_ptrIiEEEENS9_16discard_iteratorINS9_11use_defaultEEEiNS9_4plusIvEEiEEDaPvRmT3_T4_T5_mT6_P12ihipStream_tbENKUlT_T0_E_clISt17integral_constantIbLb0EESX_EEDaSS_ST_EUlSS_E0_NS1_11comp_targetILNS1_3genE5ELNS1_11target_archE942ELNS1_3gpuE9ELNS1_3repE0EEENS1_30default_config_static_selectorELNS0_4arch9wavefront6targetE1EEEvT1_
	.globl	_ZN7rocprim17ROCPRIM_400000_NS6detail17trampoline_kernelINS0_14default_configENS1_20scan_config_selectorIiEEZZNS1_9scan_implILNS1_25lookback_scan_determinismE0ELb1ELb1ES3_N6thrust23THRUST_200600_302600_NS6detail15normal_iteratorINS9_10device_ptrIiEEEENS9_16discard_iteratorINS9_11use_defaultEEEiNS9_4plusIvEEiEEDaPvRmT3_T4_T5_mT6_P12ihipStream_tbENKUlT_T0_E_clISt17integral_constantIbLb0EESX_EEDaSS_ST_EUlSS_E0_NS1_11comp_targetILNS1_3genE5ELNS1_11target_archE942ELNS1_3gpuE9ELNS1_3repE0EEENS1_30default_config_static_selectorELNS0_4arch9wavefront6targetE1EEEvT1_
	.p2align	8
	.type	_ZN7rocprim17ROCPRIM_400000_NS6detail17trampoline_kernelINS0_14default_configENS1_20scan_config_selectorIiEEZZNS1_9scan_implILNS1_25lookback_scan_determinismE0ELb1ELb1ES3_N6thrust23THRUST_200600_302600_NS6detail15normal_iteratorINS9_10device_ptrIiEEEENS9_16discard_iteratorINS9_11use_defaultEEEiNS9_4plusIvEEiEEDaPvRmT3_T4_T5_mT6_P12ihipStream_tbENKUlT_T0_E_clISt17integral_constantIbLb0EESX_EEDaSS_ST_EUlSS_E0_NS1_11comp_targetILNS1_3genE5ELNS1_11target_archE942ELNS1_3gpuE9ELNS1_3repE0EEENS1_30default_config_static_selectorELNS0_4arch9wavefront6targetE1EEEvT1_,@function
_ZN7rocprim17ROCPRIM_400000_NS6detail17trampoline_kernelINS0_14default_configENS1_20scan_config_selectorIiEEZZNS1_9scan_implILNS1_25lookback_scan_determinismE0ELb1ELb1ES3_N6thrust23THRUST_200600_302600_NS6detail15normal_iteratorINS9_10device_ptrIiEEEENS9_16discard_iteratorINS9_11use_defaultEEEiNS9_4plusIvEEiEEDaPvRmT3_T4_T5_mT6_P12ihipStream_tbENKUlT_T0_E_clISt17integral_constantIbLb0EESX_EEDaSS_ST_EUlSS_E0_NS1_11comp_targetILNS1_3genE5ELNS1_11target_archE942ELNS1_3gpuE9ELNS1_3repE0EEENS1_30default_config_static_selectorELNS0_4arch9wavefront6targetE1EEEvT1_: ; @_ZN7rocprim17ROCPRIM_400000_NS6detail17trampoline_kernelINS0_14default_configENS1_20scan_config_selectorIiEEZZNS1_9scan_implILNS1_25lookback_scan_determinismE0ELb1ELb1ES3_N6thrust23THRUST_200600_302600_NS6detail15normal_iteratorINS9_10device_ptrIiEEEENS9_16discard_iteratorINS9_11use_defaultEEEiNS9_4plusIvEEiEEDaPvRmT3_T4_T5_mT6_P12ihipStream_tbENKUlT_T0_E_clISt17integral_constantIbLb0EESX_EEDaSS_ST_EUlSS_E0_NS1_11comp_targetILNS1_3genE5ELNS1_11target_archE942ELNS1_3gpuE9ELNS1_3repE0EEENS1_30default_config_static_selectorELNS0_4arch9wavefront6targetE1EEEvT1_
; %bb.0:
	.section	.rodata,"a",@progbits
	.p2align	6, 0x0
	.amdhsa_kernel _ZN7rocprim17ROCPRIM_400000_NS6detail17trampoline_kernelINS0_14default_configENS1_20scan_config_selectorIiEEZZNS1_9scan_implILNS1_25lookback_scan_determinismE0ELb1ELb1ES3_N6thrust23THRUST_200600_302600_NS6detail15normal_iteratorINS9_10device_ptrIiEEEENS9_16discard_iteratorINS9_11use_defaultEEEiNS9_4plusIvEEiEEDaPvRmT3_T4_T5_mT6_P12ihipStream_tbENKUlT_T0_E_clISt17integral_constantIbLb0EESX_EEDaSS_ST_EUlSS_E0_NS1_11comp_targetILNS1_3genE5ELNS1_11target_archE942ELNS1_3gpuE9ELNS1_3repE0EEENS1_30default_config_static_selectorELNS0_4arch9wavefront6targetE1EEEvT1_
		.amdhsa_group_segment_fixed_size 0
		.amdhsa_private_segment_fixed_size 0
		.amdhsa_kernarg_size 40
		.amdhsa_user_sgpr_count 6
		.amdhsa_user_sgpr_private_segment_buffer 1
		.amdhsa_user_sgpr_dispatch_ptr 0
		.amdhsa_user_sgpr_queue_ptr 0
		.amdhsa_user_sgpr_kernarg_segment_ptr 1
		.amdhsa_user_sgpr_dispatch_id 0
		.amdhsa_user_sgpr_flat_scratch_init 0
		.amdhsa_user_sgpr_kernarg_preload_length 0
		.amdhsa_user_sgpr_kernarg_preload_offset 0
		.amdhsa_user_sgpr_private_segment_size 0
		.amdhsa_uses_dynamic_stack 0
		.amdhsa_system_sgpr_private_segment_wavefront_offset 0
		.amdhsa_system_sgpr_workgroup_id_x 1
		.amdhsa_system_sgpr_workgroup_id_y 0
		.amdhsa_system_sgpr_workgroup_id_z 0
		.amdhsa_system_sgpr_workgroup_info 0
		.amdhsa_system_vgpr_workitem_id 0
		.amdhsa_next_free_vgpr 1
		.amdhsa_next_free_sgpr 0
		.amdhsa_accum_offset 4
		.amdhsa_reserve_vcc 0
		.amdhsa_reserve_flat_scratch 0
		.amdhsa_float_round_mode_32 0
		.amdhsa_float_round_mode_16_64 0
		.amdhsa_float_denorm_mode_32 3
		.amdhsa_float_denorm_mode_16_64 3
		.amdhsa_dx10_clamp 1
		.amdhsa_ieee_mode 1
		.amdhsa_fp16_overflow 0
		.amdhsa_tg_split 0
		.amdhsa_exception_fp_ieee_invalid_op 0
		.amdhsa_exception_fp_denorm_src 0
		.amdhsa_exception_fp_ieee_div_zero 0
		.amdhsa_exception_fp_ieee_overflow 0
		.amdhsa_exception_fp_ieee_underflow 0
		.amdhsa_exception_fp_ieee_inexact 0
		.amdhsa_exception_int_div_zero 0
	.end_amdhsa_kernel
	.section	.text._ZN7rocprim17ROCPRIM_400000_NS6detail17trampoline_kernelINS0_14default_configENS1_20scan_config_selectorIiEEZZNS1_9scan_implILNS1_25lookback_scan_determinismE0ELb1ELb1ES3_N6thrust23THRUST_200600_302600_NS6detail15normal_iteratorINS9_10device_ptrIiEEEENS9_16discard_iteratorINS9_11use_defaultEEEiNS9_4plusIvEEiEEDaPvRmT3_T4_T5_mT6_P12ihipStream_tbENKUlT_T0_E_clISt17integral_constantIbLb0EESX_EEDaSS_ST_EUlSS_E0_NS1_11comp_targetILNS1_3genE5ELNS1_11target_archE942ELNS1_3gpuE9ELNS1_3repE0EEENS1_30default_config_static_selectorELNS0_4arch9wavefront6targetE1EEEvT1_,"axG",@progbits,_ZN7rocprim17ROCPRIM_400000_NS6detail17trampoline_kernelINS0_14default_configENS1_20scan_config_selectorIiEEZZNS1_9scan_implILNS1_25lookback_scan_determinismE0ELb1ELb1ES3_N6thrust23THRUST_200600_302600_NS6detail15normal_iteratorINS9_10device_ptrIiEEEENS9_16discard_iteratorINS9_11use_defaultEEEiNS9_4plusIvEEiEEDaPvRmT3_T4_T5_mT6_P12ihipStream_tbENKUlT_T0_E_clISt17integral_constantIbLb0EESX_EEDaSS_ST_EUlSS_E0_NS1_11comp_targetILNS1_3genE5ELNS1_11target_archE942ELNS1_3gpuE9ELNS1_3repE0EEENS1_30default_config_static_selectorELNS0_4arch9wavefront6targetE1EEEvT1_,comdat
.Lfunc_end5808:
	.size	_ZN7rocprim17ROCPRIM_400000_NS6detail17trampoline_kernelINS0_14default_configENS1_20scan_config_selectorIiEEZZNS1_9scan_implILNS1_25lookback_scan_determinismE0ELb1ELb1ES3_N6thrust23THRUST_200600_302600_NS6detail15normal_iteratorINS9_10device_ptrIiEEEENS9_16discard_iteratorINS9_11use_defaultEEEiNS9_4plusIvEEiEEDaPvRmT3_T4_T5_mT6_P12ihipStream_tbENKUlT_T0_E_clISt17integral_constantIbLb0EESX_EEDaSS_ST_EUlSS_E0_NS1_11comp_targetILNS1_3genE5ELNS1_11target_archE942ELNS1_3gpuE9ELNS1_3repE0EEENS1_30default_config_static_selectorELNS0_4arch9wavefront6targetE1EEEvT1_, .Lfunc_end5808-_ZN7rocprim17ROCPRIM_400000_NS6detail17trampoline_kernelINS0_14default_configENS1_20scan_config_selectorIiEEZZNS1_9scan_implILNS1_25lookback_scan_determinismE0ELb1ELb1ES3_N6thrust23THRUST_200600_302600_NS6detail15normal_iteratorINS9_10device_ptrIiEEEENS9_16discard_iteratorINS9_11use_defaultEEEiNS9_4plusIvEEiEEDaPvRmT3_T4_T5_mT6_P12ihipStream_tbENKUlT_T0_E_clISt17integral_constantIbLb0EESX_EEDaSS_ST_EUlSS_E0_NS1_11comp_targetILNS1_3genE5ELNS1_11target_archE942ELNS1_3gpuE9ELNS1_3repE0EEENS1_30default_config_static_selectorELNS0_4arch9wavefront6targetE1EEEvT1_
                                        ; -- End function
	.section	.AMDGPU.csdata,"",@progbits
; Kernel info:
; codeLenInByte = 0
; NumSgprs: 4
; NumVgprs: 0
; NumAgprs: 0
; TotalNumVgprs: 0
; ScratchSize: 0
; MemoryBound: 0
; FloatMode: 240
; IeeeMode: 1
; LDSByteSize: 0 bytes/workgroup (compile time only)
; SGPRBlocks: 0
; VGPRBlocks: 0
; NumSGPRsForWavesPerEU: 4
; NumVGPRsForWavesPerEU: 1
; AccumOffset: 4
; Occupancy: 8
; WaveLimiterHint : 0
; COMPUTE_PGM_RSRC2:SCRATCH_EN: 0
; COMPUTE_PGM_RSRC2:USER_SGPR: 6
; COMPUTE_PGM_RSRC2:TRAP_HANDLER: 0
; COMPUTE_PGM_RSRC2:TGID_X_EN: 1
; COMPUTE_PGM_RSRC2:TGID_Y_EN: 0
; COMPUTE_PGM_RSRC2:TGID_Z_EN: 0
; COMPUTE_PGM_RSRC2:TIDIG_COMP_CNT: 0
; COMPUTE_PGM_RSRC3_GFX90A:ACCUM_OFFSET: 0
; COMPUTE_PGM_RSRC3_GFX90A:TG_SPLIT: 0
	.section	.text._ZN7rocprim17ROCPRIM_400000_NS6detail17trampoline_kernelINS0_14default_configENS1_20scan_config_selectorIiEEZZNS1_9scan_implILNS1_25lookback_scan_determinismE0ELb1ELb1ES3_N6thrust23THRUST_200600_302600_NS6detail15normal_iteratorINS9_10device_ptrIiEEEENS9_16discard_iteratorINS9_11use_defaultEEEiNS9_4plusIvEEiEEDaPvRmT3_T4_T5_mT6_P12ihipStream_tbENKUlT_T0_E_clISt17integral_constantIbLb0EESX_EEDaSS_ST_EUlSS_E0_NS1_11comp_targetILNS1_3genE4ELNS1_11target_archE910ELNS1_3gpuE8ELNS1_3repE0EEENS1_30default_config_static_selectorELNS0_4arch9wavefront6targetE1EEEvT1_,"axG",@progbits,_ZN7rocprim17ROCPRIM_400000_NS6detail17trampoline_kernelINS0_14default_configENS1_20scan_config_selectorIiEEZZNS1_9scan_implILNS1_25lookback_scan_determinismE0ELb1ELb1ES3_N6thrust23THRUST_200600_302600_NS6detail15normal_iteratorINS9_10device_ptrIiEEEENS9_16discard_iteratorINS9_11use_defaultEEEiNS9_4plusIvEEiEEDaPvRmT3_T4_T5_mT6_P12ihipStream_tbENKUlT_T0_E_clISt17integral_constantIbLb0EESX_EEDaSS_ST_EUlSS_E0_NS1_11comp_targetILNS1_3genE4ELNS1_11target_archE910ELNS1_3gpuE8ELNS1_3repE0EEENS1_30default_config_static_selectorELNS0_4arch9wavefront6targetE1EEEvT1_,comdat
	.protected	_ZN7rocprim17ROCPRIM_400000_NS6detail17trampoline_kernelINS0_14default_configENS1_20scan_config_selectorIiEEZZNS1_9scan_implILNS1_25lookback_scan_determinismE0ELb1ELb1ES3_N6thrust23THRUST_200600_302600_NS6detail15normal_iteratorINS9_10device_ptrIiEEEENS9_16discard_iteratorINS9_11use_defaultEEEiNS9_4plusIvEEiEEDaPvRmT3_T4_T5_mT6_P12ihipStream_tbENKUlT_T0_E_clISt17integral_constantIbLb0EESX_EEDaSS_ST_EUlSS_E0_NS1_11comp_targetILNS1_3genE4ELNS1_11target_archE910ELNS1_3gpuE8ELNS1_3repE0EEENS1_30default_config_static_selectorELNS0_4arch9wavefront6targetE1EEEvT1_ ; -- Begin function _ZN7rocprim17ROCPRIM_400000_NS6detail17trampoline_kernelINS0_14default_configENS1_20scan_config_selectorIiEEZZNS1_9scan_implILNS1_25lookback_scan_determinismE0ELb1ELb1ES3_N6thrust23THRUST_200600_302600_NS6detail15normal_iteratorINS9_10device_ptrIiEEEENS9_16discard_iteratorINS9_11use_defaultEEEiNS9_4plusIvEEiEEDaPvRmT3_T4_T5_mT6_P12ihipStream_tbENKUlT_T0_E_clISt17integral_constantIbLb0EESX_EEDaSS_ST_EUlSS_E0_NS1_11comp_targetILNS1_3genE4ELNS1_11target_archE910ELNS1_3gpuE8ELNS1_3repE0EEENS1_30default_config_static_selectorELNS0_4arch9wavefront6targetE1EEEvT1_
	.globl	_ZN7rocprim17ROCPRIM_400000_NS6detail17trampoline_kernelINS0_14default_configENS1_20scan_config_selectorIiEEZZNS1_9scan_implILNS1_25lookback_scan_determinismE0ELb1ELb1ES3_N6thrust23THRUST_200600_302600_NS6detail15normal_iteratorINS9_10device_ptrIiEEEENS9_16discard_iteratorINS9_11use_defaultEEEiNS9_4plusIvEEiEEDaPvRmT3_T4_T5_mT6_P12ihipStream_tbENKUlT_T0_E_clISt17integral_constantIbLb0EESX_EEDaSS_ST_EUlSS_E0_NS1_11comp_targetILNS1_3genE4ELNS1_11target_archE910ELNS1_3gpuE8ELNS1_3repE0EEENS1_30default_config_static_selectorELNS0_4arch9wavefront6targetE1EEEvT1_
	.p2align	8
	.type	_ZN7rocprim17ROCPRIM_400000_NS6detail17trampoline_kernelINS0_14default_configENS1_20scan_config_selectorIiEEZZNS1_9scan_implILNS1_25lookback_scan_determinismE0ELb1ELb1ES3_N6thrust23THRUST_200600_302600_NS6detail15normal_iteratorINS9_10device_ptrIiEEEENS9_16discard_iteratorINS9_11use_defaultEEEiNS9_4plusIvEEiEEDaPvRmT3_T4_T5_mT6_P12ihipStream_tbENKUlT_T0_E_clISt17integral_constantIbLb0EESX_EEDaSS_ST_EUlSS_E0_NS1_11comp_targetILNS1_3genE4ELNS1_11target_archE910ELNS1_3gpuE8ELNS1_3repE0EEENS1_30default_config_static_selectorELNS0_4arch9wavefront6targetE1EEEvT1_,@function
_ZN7rocprim17ROCPRIM_400000_NS6detail17trampoline_kernelINS0_14default_configENS1_20scan_config_selectorIiEEZZNS1_9scan_implILNS1_25lookback_scan_determinismE0ELb1ELb1ES3_N6thrust23THRUST_200600_302600_NS6detail15normal_iteratorINS9_10device_ptrIiEEEENS9_16discard_iteratorINS9_11use_defaultEEEiNS9_4plusIvEEiEEDaPvRmT3_T4_T5_mT6_P12ihipStream_tbENKUlT_T0_E_clISt17integral_constantIbLb0EESX_EEDaSS_ST_EUlSS_E0_NS1_11comp_targetILNS1_3genE4ELNS1_11target_archE910ELNS1_3gpuE8ELNS1_3repE0EEENS1_30default_config_static_selectorELNS0_4arch9wavefront6targetE1EEEvT1_: ; @_ZN7rocprim17ROCPRIM_400000_NS6detail17trampoline_kernelINS0_14default_configENS1_20scan_config_selectorIiEEZZNS1_9scan_implILNS1_25lookback_scan_determinismE0ELb1ELb1ES3_N6thrust23THRUST_200600_302600_NS6detail15normal_iteratorINS9_10device_ptrIiEEEENS9_16discard_iteratorINS9_11use_defaultEEEiNS9_4plusIvEEiEEDaPvRmT3_T4_T5_mT6_P12ihipStream_tbENKUlT_T0_E_clISt17integral_constantIbLb0EESX_EEDaSS_ST_EUlSS_E0_NS1_11comp_targetILNS1_3genE4ELNS1_11target_archE910ELNS1_3gpuE8ELNS1_3repE0EEENS1_30default_config_static_selectorELNS0_4arch9wavefront6targetE1EEEvT1_
; %bb.0:
	s_load_dwordx4 s[0:3], s[4:5], 0x0
	v_lshlrev_b32_e32 v1, 2, v0
	s_waitcnt lgkmcnt(0)
	s_load_dword s3, s[0:1], 0x0
	v_cmp_gt_u32_e32 vcc, s2, v0
	s_waitcnt lgkmcnt(0)
	v_mov_b32_e32 v2, s3
	s_and_saveexec_b64 s[6:7], vcc
	s_cbranch_execz .LBB5809_2
; %bb.1:
	global_load_dword v2, v1, s[0:1]
.LBB5809_2:
	s_or_b64 exec, exec, s[6:7]
	v_or_b32_e32 v3, 0x80, v0
	v_cmp_gt_u32_e32 vcc, s2, v3
	v_mov_b32_e32 v3, s3
	s_and_saveexec_b64 s[6:7], vcc
	s_cbranch_execz .LBB5809_4
; %bb.3:
	global_load_dword v3, v1, s[0:1] offset:512
.LBB5809_4:
	s_or_b64 exec, exec, s[6:7]
	v_or_b32_e32 v4, 0x100, v0
	v_cmp_gt_u32_e32 vcc, s2, v4
	v_mov_b32_e32 v4, s3
	s_and_saveexec_b64 s[6:7], vcc
	s_cbranch_execz .LBB5809_6
; %bb.5:
	global_load_dword v4, v1, s[0:1] offset:1024
.LBB5809_6:
	;; [unrolled: 9-line block ×7, first 2 shown]
	s_or_b64 exec, exec, s[6:7]
	v_or_b32_e32 v11, 0x400, v0
	v_cmp_gt_u32_e32 vcc, s2, v11
	v_mov_b32_e32 v10, s3
	s_and_saveexec_b64 s[6:7], vcc
	s_cbranch_execz .LBB5809_18
; %bb.17:
	v_lshlrev_b32_e32 v10, 2, v11
	global_load_dword v10, v10, s[0:1]
.LBB5809_18:
	s_or_b64 exec, exec, s[6:7]
	s_load_dword s4, s[4:5], 0x10
	v_or_b32_e32 v12, 0x480, v0
	v_cmp_gt_u32_e32 vcc, s2, v12
	v_mov_b32_e32 v11, s3
	s_and_saveexec_b64 s[2:3], vcc
	s_cbranch_execz .LBB5809_20
; %bb.19:
	v_lshlrev_b32_e32 v11, 2, v12
	global_load_dword v11, v11, s[0:1]
.LBB5809_20:
	s_or_b64 exec, exec, s[2:3]
	s_waitcnt vmcnt(0)
	ds_write2st64_b32 v1, v2, v3 offset1:2
	ds_write2st64_b32 v1, v4, v5 offset0:4 offset1:6
	ds_write2st64_b32 v1, v6, v7 offset0:8 offset1:10
	;; [unrolled: 1-line block ×4, first 2 shown]
	v_mad_u32_u24 v10, v0, 36, v1
	s_waitcnt lgkmcnt(0)
	s_barrier
	ds_read2_b64 v[6:9], v10 offset1:1
	ds_read2_b64 v[2:5], v10 offset0:2 offset1:3
	ds_read_b64 v[10:11], v10 offset:32
	v_cmp_gt_u32_e32 vcc, 64, v0
	s_waitcnt lgkmcnt(0)
	v_add_u32_e32 v12, v7, v6
	v_add3_u32 v12, v12, v8, v9
	v_add3_u32 v12, v12, v2, v3
	;; [unrolled: 1-line block ×4, first 2 shown]
	v_lshrrev_b32_e32 v12, 3, v0
	v_and_b32_e32 v12, 12, v12
	v_add_u32_e32 v12, v1, v12
	s_barrier
	ds_write_b32 v12, v11
	s_waitcnt lgkmcnt(0)
	s_barrier
	s_and_saveexec_b64 s[0:1], vcc
	s_cbranch_execz .LBB5809_22
; %bb.21:
	v_lshlrev_b32_e32 v12, 1, v0
	v_lshrrev_b32_e32 v13, 4, v0
	v_add_lshl_u32 v14, v13, v12, 2
	ds_read2_b32 v[12:13], v14 offset1:1
	v_mbcnt_lo_u32_b32 v15, -1, 0
	v_mbcnt_hi_u32_b32 v15, -1, v15
	v_and_b32_e32 v16, 15, v15
	v_cmp_ne_u32_e32 vcc, 0, v16
	s_waitcnt lgkmcnt(0)
	v_add_u32_e32 v13, v13, v12
	; wave barrier
	s_nop 1
	v_mov_b32_dpp v17, v13 row_shr:1 row_mask:0xf bank_mask:0xf
	v_cndmask_b32_e32 v17, 0, v17, vcc
	v_add_u32_e32 v13, v17, v13
	v_cmp_lt_u32_e32 vcc, 1, v16
	s_nop 0
	v_mov_b32_dpp v17, v13 row_shr:2 row_mask:0xf bank_mask:0xf
	v_cndmask_b32_e32 v17, 0, v17, vcc
	v_add_u32_e32 v13, v13, v17
	v_cmp_lt_u32_e32 vcc, 3, v16
	;; [unrolled: 5-line block ×3, first 2 shown]
	s_nop 0
	v_mov_b32_dpp v17, v13 row_shr:8 row_mask:0xf bank_mask:0xf
	v_cndmask_b32_e32 v16, 0, v17, vcc
	v_add_u32_e32 v13, v13, v16
	v_bfe_i32 v17, v15, 4, 1
	v_cmp_lt_u32_e32 vcc, 31, v15
	v_mov_b32_dpp v16, v13 row_bcast:15 row_mask:0xf bank_mask:0xf
	v_and_b32_e32 v16, v17, v16
	v_add_u32_e32 v13, v13, v16
	v_and_b32_e32 v17, 64, v15
	s_nop 0
	v_mov_b32_dpp v16, v13 row_bcast:31 row_mask:0xf bank_mask:0xf
	v_cndmask_b32_e32 v16, 0, v16, vcc
	v_add_u32_e32 v13, v13, v16
	v_add_u32_e32 v16, -1, v15
	v_cmp_lt_i32_e32 vcc, v16, v17
	v_cndmask_b32_e32 v15, v16, v15, vcc
	v_lshlrev_b32_e32 v15, 2, v15
	ds_bpermute_b32 v13, v15, v13
	v_cmp_eq_u32_e32 vcc, 0, v0
	s_waitcnt lgkmcnt(0)
	v_add_u32_e32 v12, v13, v12
	v_cndmask_b32_e32 v11, v12, v11, vcc
	ds_write_b32 v14, v11
	; wave barrier
	ds_read_b32 v12, v14 offset:4
	s_waitcnt lgkmcnt(0)
	v_add_u32_e32 v11, v12, v11
	ds_write_b32 v14, v11 offset:4
.LBB5809_22:
	s_or_b64 exec, exec, s[0:1]
	v_mul_u32_u24_e32 v11, 36, v0
	v_cmp_ne_u32_e32 vcc, 0, v0
	v_mov_b32_e32 v12, s4
	s_waitcnt lgkmcnt(0)
	s_barrier
	s_and_saveexec_b64 s[0:1], vcc
	s_cbranch_execz .LBB5809_24
; %bb.23:
	v_add_u32_e32 v0, -1, v0
	v_lshrrev_b32_e32 v12, 5, v0
	v_add_lshl_u32 v0, v12, v0, 2
	ds_read_b32 v0, v0
	s_waitcnt lgkmcnt(0)
	v_add_u32_e32 v12, s4, v0
.LBB5809_24:
	s_or_b64 exec, exec, s[0:1]
	v_add_u32_e32 v13, v12, v6
	v_add_u32_e32 v6, v13, v7
	;; [unrolled: 1-line block ×10, first 2 shown]
	s_barrier
	ds_write2_b64 v0, v[12:13], v[6:7] offset1:1
	ds_write2_b64 v0, v[8:9], v[2:3] offset0:2 offset1:3
	ds_write_b64 v0, v[4:5] offset:32
	s_waitcnt lgkmcnt(0)
	s_barrier
	s_endpgm
	.section	.rodata,"a",@progbits
	.p2align	6, 0x0
	.amdhsa_kernel _ZN7rocprim17ROCPRIM_400000_NS6detail17trampoline_kernelINS0_14default_configENS1_20scan_config_selectorIiEEZZNS1_9scan_implILNS1_25lookback_scan_determinismE0ELb1ELb1ES3_N6thrust23THRUST_200600_302600_NS6detail15normal_iteratorINS9_10device_ptrIiEEEENS9_16discard_iteratorINS9_11use_defaultEEEiNS9_4plusIvEEiEEDaPvRmT3_T4_T5_mT6_P12ihipStream_tbENKUlT_T0_E_clISt17integral_constantIbLb0EESX_EEDaSS_ST_EUlSS_E0_NS1_11comp_targetILNS1_3genE4ELNS1_11target_archE910ELNS1_3gpuE8ELNS1_3repE0EEENS1_30default_config_static_selectorELNS0_4arch9wavefront6targetE1EEEvT1_
		.amdhsa_group_segment_fixed_size 5120
		.amdhsa_private_segment_fixed_size 0
		.amdhsa_kernarg_size 40
		.amdhsa_user_sgpr_count 6
		.amdhsa_user_sgpr_private_segment_buffer 1
		.amdhsa_user_sgpr_dispatch_ptr 0
		.amdhsa_user_sgpr_queue_ptr 0
		.amdhsa_user_sgpr_kernarg_segment_ptr 1
		.amdhsa_user_sgpr_dispatch_id 0
		.amdhsa_user_sgpr_flat_scratch_init 0
		.amdhsa_user_sgpr_kernarg_preload_length 0
		.amdhsa_user_sgpr_kernarg_preload_offset 0
		.amdhsa_user_sgpr_private_segment_size 0
		.amdhsa_uses_dynamic_stack 0
		.amdhsa_system_sgpr_private_segment_wavefront_offset 0
		.amdhsa_system_sgpr_workgroup_id_x 1
		.amdhsa_system_sgpr_workgroup_id_y 0
		.amdhsa_system_sgpr_workgroup_id_z 0
		.amdhsa_system_sgpr_workgroup_info 0
		.amdhsa_system_vgpr_workitem_id 0
		.amdhsa_next_free_vgpr 18
		.amdhsa_next_free_sgpr 8
		.amdhsa_accum_offset 20
		.amdhsa_reserve_vcc 1
		.amdhsa_reserve_flat_scratch 0
		.amdhsa_float_round_mode_32 0
		.amdhsa_float_round_mode_16_64 0
		.amdhsa_float_denorm_mode_32 3
		.amdhsa_float_denorm_mode_16_64 3
		.amdhsa_dx10_clamp 1
		.amdhsa_ieee_mode 1
		.amdhsa_fp16_overflow 0
		.amdhsa_tg_split 0
		.amdhsa_exception_fp_ieee_invalid_op 0
		.amdhsa_exception_fp_denorm_src 0
		.amdhsa_exception_fp_ieee_div_zero 0
		.amdhsa_exception_fp_ieee_overflow 0
		.amdhsa_exception_fp_ieee_underflow 0
		.amdhsa_exception_fp_ieee_inexact 0
		.amdhsa_exception_int_div_zero 0
	.end_amdhsa_kernel
	.section	.text._ZN7rocprim17ROCPRIM_400000_NS6detail17trampoline_kernelINS0_14default_configENS1_20scan_config_selectorIiEEZZNS1_9scan_implILNS1_25lookback_scan_determinismE0ELb1ELb1ES3_N6thrust23THRUST_200600_302600_NS6detail15normal_iteratorINS9_10device_ptrIiEEEENS9_16discard_iteratorINS9_11use_defaultEEEiNS9_4plusIvEEiEEDaPvRmT3_T4_T5_mT6_P12ihipStream_tbENKUlT_T0_E_clISt17integral_constantIbLb0EESX_EEDaSS_ST_EUlSS_E0_NS1_11comp_targetILNS1_3genE4ELNS1_11target_archE910ELNS1_3gpuE8ELNS1_3repE0EEENS1_30default_config_static_selectorELNS0_4arch9wavefront6targetE1EEEvT1_,"axG",@progbits,_ZN7rocprim17ROCPRIM_400000_NS6detail17trampoline_kernelINS0_14default_configENS1_20scan_config_selectorIiEEZZNS1_9scan_implILNS1_25lookback_scan_determinismE0ELb1ELb1ES3_N6thrust23THRUST_200600_302600_NS6detail15normal_iteratorINS9_10device_ptrIiEEEENS9_16discard_iteratorINS9_11use_defaultEEEiNS9_4plusIvEEiEEDaPvRmT3_T4_T5_mT6_P12ihipStream_tbENKUlT_T0_E_clISt17integral_constantIbLb0EESX_EEDaSS_ST_EUlSS_E0_NS1_11comp_targetILNS1_3genE4ELNS1_11target_archE910ELNS1_3gpuE8ELNS1_3repE0EEENS1_30default_config_static_selectorELNS0_4arch9wavefront6targetE1EEEvT1_,comdat
.Lfunc_end5809:
	.size	_ZN7rocprim17ROCPRIM_400000_NS6detail17trampoline_kernelINS0_14default_configENS1_20scan_config_selectorIiEEZZNS1_9scan_implILNS1_25lookback_scan_determinismE0ELb1ELb1ES3_N6thrust23THRUST_200600_302600_NS6detail15normal_iteratorINS9_10device_ptrIiEEEENS9_16discard_iteratorINS9_11use_defaultEEEiNS9_4plusIvEEiEEDaPvRmT3_T4_T5_mT6_P12ihipStream_tbENKUlT_T0_E_clISt17integral_constantIbLb0EESX_EEDaSS_ST_EUlSS_E0_NS1_11comp_targetILNS1_3genE4ELNS1_11target_archE910ELNS1_3gpuE8ELNS1_3repE0EEENS1_30default_config_static_selectorELNS0_4arch9wavefront6targetE1EEEvT1_, .Lfunc_end5809-_ZN7rocprim17ROCPRIM_400000_NS6detail17trampoline_kernelINS0_14default_configENS1_20scan_config_selectorIiEEZZNS1_9scan_implILNS1_25lookback_scan_determinismE0ELb1ELb1ES3_N6thrust23THRUST_200600_302600_NS6detail15normal_iteratorINS9_10device_ptrIiEEEENS9_16discard_iteratorINS9_11use_defaultEEEiNS9_4plusIvEEiEEDaPvRmT3_T4_T5_mT6_P12ihipStream_tbENKUlT_T0_E_clISt17integral_constantIbLb0EESX_EEDaSS_ST_EUlSS_E0_NS1_11comp_targetILNS1_3genE4ELNS1_11target_archE910ELNS1_3gpuE8ELNS1_3repE0EEENS1_30default_config_static_selectorELNS0_4arch9wavefront6targetE1EEEvT1_
                                        ; -- End function
	.section	.AMDGPU.csdata,"",@progbits
; Kernel info:
; codeLenInByte = 984
; NumSgprs: 12
; NumVgprs: 18
; NumAgprs: 0
; TotalNumVgprs: 18
; ScratchSize: 0
; MemoryBound: 0
; FloatMode: 240
; IeeeMode: 1
; LDSByteSize: 5120 bytes/workgroup (compile time only)
; SGPRBlocks: 1
; VGPRBlocks: 2
; NumSGPRsForWavesPerEU: 12
; NumVGPRsForWavesPerEU: 18
; AccumOffset: 20
; Occupancy: 6
; WaveLimiterHint : 0
; COMPUTE_PGM_RSRC2:SCRATCH_EN: 0
; COMPUTE_PGM_RSRC2:USER_SGPR: 6
; COMPUTE_PGM_RSRC2:TRAP_HANDLER: 0
; COMPUTE_PGM_RSRC2:TGID_X_EN: 1
; COMPUTE_PGM_RSRC2:TGID_Y_EN: 0
; COMPUTE_PGM_RSRC2:TGID_Z_EN: 0
; COMPUTE_PGM_RSRC2:TIDIG_COMP_CNT: 0
; COMPUTE_PGM_RSRC3_GFX90A:ACCUM_OFFSET: 4
; COMPUTE_PGM_RSRC3_GFX90A:TG_SPLIT: 0
	.section	.text._ZN7rocprim17ROCPRIM_400000_NS6detail17trampoline_kernelINS0_14default_configENS1_20scan_config_selectorIiEEZZNS1_9scan_implILNS1_25lookback_scan_determinismE0ELb1ELb1ES3_N6thrust23THRUST_200600_302600_NS6detail15normal_iteratorINS9_10device_ptrIiEEEENS9_16discard_iteratorINS9_11use_defaultEEEiNS9_4plusIvEEiEEDaPvRmT3_T4_T5_mT6_P12ihipStream_tbENKUlT_T0_E_clISt17integral_constantIbLb0EESX_EEDaSS_ST_EUlSS_E0_NS1_11comp_targetILNS1_3genE3ELNS1_11target_archE908ELNS1_3gpuE7ELNS1_3repE0EEENS1_30default_config_static_selectorELNS0_4arch9wavefront6targetE1EEEvT1_,"axG",@progbits,_ZN7rocprim17ROCPRIM_400000_NS6detail17trampoline_kernelINS0_14default_configENS1_20scan_config_selectorIiEEZZNS1_9scan_implILNS1_25lookback_scan_determinismE0ELb1ELb1ES3_N6thrust23THRUST_200600_302600_NS6detail15normal_iteratorINS9_10device_ptrIiEEEENS9_16discard_iteratorINS9_11use_defaultEEEiNS9_4plusIvEEiEEDaPvRmT3_T4_T5_mT6_P12ihipStream_tbENKUlT_T0_E_clISt17integral_constantIbLb0EESX_EEDaSS_ST_EUlSS_E0_NS1_11comp_targetILNS1_3genE3ELNS1_11target_archE908ELNS1_3gpuE7ELNS1_3repE0EEENS1_30default_config_static_selectorELNS0_4arch9wavefront6targetE1EEEvT1_,comdat
	.protected	_ZN7rocprim17ROCPRIM_400000_NS6detail17trampoline_kernelINS0_14default_configENS1_20scan_config_selectorIiEEZZNS1_9scan_implILNS1_25lookback_scan_determinismE0ELb1ELb1ES3_N6thrust23THRUST_200600_302600_NS6detail15normal_iteratorINS9_10device_ptrIiEEEENS9_16discard_iteratorINS9_11use_defaultEEEiNS9_4plusIvEEiEEDaPvRmT3_T4_T5_mT6_P12ihipStream_tbENKUlT_T0_E_clISt17integral_constantIbLb0EESX_EEDaSS_ST_EUlSS_E0_NS1_11comp_targetILNS1_3genE3ELNS1_11target_archE908ELNS1_3gpuE7ELNS1_3repE0EEENS1_30default_config_static_selectorELNS0_4arch9wavefront6targetE1EEEvT1_ ; -- Begin function _ZN7rocprim17ROCPRIM_400000_NS6detail17trampoline_kernelINS0_14default_configENS1_20scan_config_selectorIiEEZZNS1_9scan_implILNS1_25lookback_scan_determinismE0ELb1ELb1ES3_N6thrust23THRUST_200600_302600_NS6detail15normal_iteratorINS9_10device_ptrIiEEEENS9_16discard_iteratorINS9_11use_defaultEEEiNS9_4plusIvEEiEEDaPvRmT3_T4_T5_mT6_P12ihipStream_tbENKUlT_T0_E_clISt17integral_constantIbLb0EESX_EEDaSS_ST_EUlSS_E0_NS1_11comp_targetILNS1_3genE3ELNS1_11target_archE908ELNS1_3gpuE7ELNS1_3repE0EEENS1_30default_config_static_selectorELNS0_4arch9wavefront6targetE1EEEvT1_
	.globl	_ZN7rocprim17ROCPRIM_400000_NS6detail17trampoline_kernelINS0_14default_configENS1_20scan_config_selectorIiEEZZNS1_9scan_implILNS1_25lookback_scan_determinismE0ELb1ELb1ES3_N6thrust23THRUST_200600_302600_NS6detail15normal_iteratorINS9_10device_ptrIiEEEENS9_16discard_iteratorINS9_11use_defaultEEEiNS9_4plusIvEEiEEDaPvRmT3_T4_T5_mT6_P12ihipStream_tbENKUlT_T0_E_clISt17integral_constantIbLb0EESX_EEDaSS_ST_EUlSS_E0_NS1_11comp_targetILNS1_3genE3ELNS1_11target_archE908ELNS1_3gpuE7ELNS1_3repE0EEENS1_30default_config_static_selectorELNS0_4arch9wavefront6targetE1EEEvT1_
	.p2align	8
	.type	_ZN7rocprim17ROCPRIM_400000_NS6detail17trampoline_kernelINS0_14default_configENS1_20scan_config_selectorIiEEZZNS1_9scan_implILNS1_25lookback_scan_determinismE0ELb1ELb1ES3_N6thrust23THRUST_200600_302600_NS6detail15normal_iteratorINS9_10device_ptrIiEEEENS9_16discard_iteratorINS9_11use_defaultEEEiNS9_4plusIvEEiEEDaPvRmT3_T4_T5_mT6_P12ihipStream_tbENKUlT_T0_E_clISt17integral_constantIbLb0EESX_EEDaSS_ST_EUlSS_E0_NS1_11comp_targetILNS1_3genE3ELNS1_11target_archE908ELNS1_3gpuE7ELNS1_3repE0EEENS1_30default_config_static_selectorELNS0_4arch9wavefront6targetE1EEEvT1_,@function
_ZN7rocprim17ROCPRIM_400000_NS6detail17trampoline_kernelINS0_14default_configENS1_20scan_config_selectorIiEEZZNS1_9scan_implILNS1_25lookback_scan_determinismE0ELb1ELb1ES3_N6thrust23THRUST_200600_302600_NS6detail15normal_iteratorINS9_10device_ptrIiEEEENS9_16discard_iteratorINS9_11use_defaultEEEiNS9_4plusIvEEiEEDaPvRmT3_T4_T5_mT6_P12ihipStream_tbENKUlT_T0_E_clISt17integral_constantIbLb0EESX_EEDaSS_ST_EUlSS_E0_NS1_11comp_targetILNS1_3genE3ELNS1_11target_archE908ELNS1_3gpuE7ELNS1_3repE0EEENS1_30default_config_static_selectorELNS0_4arch9wavefront6targetE1EEEvT1_: ; @_ZN7rocprim17ROCPRIM_400000_NS6detail17trampoline_kernelINS0_14default_configENS1_20scan_config_selectorIiEEZZNS1_9scan_implILNS1_25lookback_scan_determinismE0ELb1ELb1ES3_N6thrust23THRUST_200600_302600_NS6detail15normal_iteratorINS9_10device_ptrIiEEEENS9_16discard_iteratorINS9_11use_defaultEEEiNS9_4plusIvEEiEEDaPvRmT3_T4_T5_mT6_P12ihipStream_tbENKUlT_T0_E_clISt17integral_constantIbLb0EESX_EEDaSS_ST_EUlSS_E0_NS1_11comp_targetILNS1_3genE3ELNS1_11target_archE908ELNS1_3gpuE7ELNS1_3repE0EEENS1_30default_config_static_selectorELNS0_4arch9wavefront6targetE1EEEvT1_
; %bb.0:
	.section	.rodata,"a",@progbits
	.p2align	6, 0x0
	.amdhsa_kernel _ZN7rocprim17ROCPRIM_400000_NS6detail17trampoline_kernelINS0_14default_configENS1_20scan_config_selectorIiEEZZNS1_9scan_implILNS1_25lookback_scan_determinismE0ELb1ELb1ES3_N6thrust23THRUST_200600_302600_NS6detail15normal_iteratorINS9_10device_ptrIiEEEENS9_16discard_iteratorINS9_11use_defaultEEEiNS9_4plusIvEEiEEDaPvRmT3_T4_T5_mT6_P12ihipStream_tbENKUlT_T0_E_clISt17integral_constantIbLb0EESX_EEDaSS_ST_EUlSS_E0_NS1_11comp_targetILNS1_3genE3ELNS1_11target_archE908ELNS1_3gpuE7ELNS1_3repE0EEENS1_30default_config_static_selectorELNS0_4arch9wavefront6targetE1EEEvT1_
		.amdhsa_group_segment_fixed_size 0
		.amdhsa_private_segment_fixed_size 0
		.amdhsa_kernarg_size 40
		.amdhsa_user_sgpr_count 6
		.amdhsa_user_sgpr_private_segment_buffer 1
		.amdhsa_user_sgpr_dispatch_ptr 0
		.amdhsa_user_sgpr_queue_ptr 0
		.amdhsa_user_sgpr_kernarg_segment_ptr 1
		.amdhsa_user_sgpr_dispatch_id 0
		.amdhsa_user_sgpr_flat_scratch_init 0
		.amdhsa_user_sgpr_kernarg_preload_length 0
		.amdhsa_user_sgpr_kernarg_preload_offset 0
		.amdhsa_user_sgpr_private_segment_size 0
		.amdhsa_uses_dynamic_stack 0
		.amdhsa_system_sgpr_private_segment_wavefront_offset 0
		.amdhsa_system_sgpr_workgroup_id_x 1
		.amdhsa_system_sgpr_workgroup_id_y 0
		.amdhsa_system_sgpr_workgroup_id_z 0
		.amdhsa_system_sgpr_workgroup_info 0
		.amdhsa_system_vgpr_workitem_id 0
		.amdhsa_next_free_vgpr 1
		.amdhsa_next_free_sgpr 0
		.amdhsa_accum_offset 4
		.amdhsa_reserve_vcc 0
		.amdhsa_reserve_flat_scratch 0
		.amdhsa_float_round_mode_32 0
		.amdhsa_float_round_mode_16_64 0
		.amdhsa_float_denorm_mode_32 3
		.amdhsa_float_denorm_mode_16_64 3
		.amdhsa_dx10_clamp 1
		.amdhsa_ieee_mode 1
		.amdhsa_fp16_overflow 0
		.amdhsa_tg_split 0
		.amdhsa_exception_fp_ieee_invalid_op 0
		.amdhsa_exception_fp_denorm_src 0
		.amdhsa_exception_fp_ieee_div_zero 0
		.amdhsa_exception_fp_ieee_overflow 0
		.amdhsa_exception_fp_ieee_underflow 0
		.amdhsa_exception_fp_ieee_inexact 0
		.amdhsa_exception_int_div_zero 0
	.end_amdhsa_kernel
	.section	.text._ZN7rocprim17ROCPRIM_400000_NS6detail17trampoline_kernelINS0_14default_configENS1_20scan_config_selectorIiEEZZNS1_9scan_implILNS1_25lookback_scan_determinismE0ELb1ELb1ES3_N6thrust23THRUST_200600_302600_NS6detail15normal_iteratorINS9_10device_ptrIiEEEENS9_16discard_iteratorINS9_11use_defaultEEEiNS9_4plusIvEEiEEDaPvRmT3_T4_T5_mT6_P12ihipStream_tbENKUlT_T0_E_clISt17integral_constantIbLb0EESX_EEDaSS_ST_EUlSS_E0_NS1_11comp_targetILNS1_3genE3ELNS1_11target_archE908ELNS1_3gpuE7ELNS1_3repE0EEENS1_30default_config_static_selectorELNS0_4arch9wavefront6targetE1EEEvT1_,"axG",@progbits,_ZN7rocprim17ROCPRIM_400000_NS6detail17trampoline_kernelINS0_14default_configENS1_20scan_config_selectorIiEEZZNS1_9scan_implILNS1_25lookback_scan_determinismE0ELb1ELb1ES3_N6thrust23THRUST_200600_302600_NS6detail15normal_iteratorINS9_10device_ptrIiEEEENS9_16discard_iteratorINS9_11use_defaultEEEiNS9_4plusIvEEiEEDaPvRmT3_T4_T5_mT6_P12ihipStream_tbENKUlT_T0_E_clISt17integral_constantIbLb0EESX_EEDaSS_ST_EUlSS_E0_NS1_11comp_targetILNS1_3genE3ELNS1_11target_archE908ELNS1_3gpuE7ELNS1_3repE0EEENS1_30default_config_static_selectorELNS0_4arch9wavefront6targetE1EEEvT1_,comdat
.Lfunc_end5810:
	.size	_ZN7rocprim17ROCPRIM_400000_NS6detail17trampoline_kernelINS0_14default_configENS1_20scan_config_selectorIiEEZZNS1_9scan_implILNS1_25lookback_scan_determinismE0ELb1ELb1ES3_N6thrust23THRUST_200600_302600_NS6detail15normal_iteratorINS9_10device_ptrIiEEEENS9_16discard_iteratorINS9_11use_defaultEEEiNS9_4plusIvEEiEEDaPvRmT3_T4_T5_mT6_P12ihipStream_tbENKUlT_T0_E_clISt17integral_constantIbLb0EESX_EEDaSS_ST_EUlSS_E0_NS1_11comp_targetILNS1_3genE3ELNS1_11target_archE908ELNS1_3gpuE7ELNS1_3repE0EEENS1_30default_config_static_selectorELNS0_4arch9wavefront6targetE1EEEvT1_, .Lfunc_end5810-_ZN7rocprim17ROCPRIM_400000_NS6detail17trampoline_kernelINS0_14default_configENS1_20scan_config_selectorIiEEZZNS1_9scan_implILNS1_25lookback_scan_determinismE0ELb1ELb1ES3_N6thrust23THRUST_200600_302600_NS6detail15normal_iteratorINS9_10device_ptrIiEEEENS9_16discard_iteratorINS9_11use_defaultEEEiNS9_4plusIvEEiEEDaPvRmT3_T4_T5_mT6_P12ihipStream_tbENKUlT_T0_E_clISt17integral_constantIbLb0EESX_EEDaSS_ST_EUlSS_E0_NS1_11comp_targetILNS1_3genE3ELNS1_11target_archE908ELNS1_3gpuE7ELNS1_3repE0EEENS1_30default_config_static_selectorELNS0_4arch9wavefront6targetE1EEEvT1_
                                        ; -- End function
	.section	.AMDGPU.csdata,"",@progbits
; Kernel info:
; codeLenInByte = 0
; NumSgprs: 4
; NumVgprs: 0
; NumAgprs: 0
; TotalNumVgprs: 0
; ScratchSize: 0
; MemoryBound: 0
; FloatMode: 240
; IeeeMode: 1
; LDSByteSize: 0 bytes/workgroup (compile time only)
; SGPRBlocks: 0
; VGPRBlocks: 0
; NumSGPRsForWavesPerEU: 4
; NumVGPRsForWavesPerEU: 1
; AccumOffset: 4
; Occupancy: 8
; WaveLimiterHint : 0
; COMPUTE_PGM_RSRC2:SCRATCH_EN: 0
; COMPUTE_PGM_RSRC2:USER_SGPR: 6
; COMPUTE_PGM_RSRC2:TRAP_HANDLER: 0
; COMPUTE_PGM_RSRC2:TGID_X_EN: 1
; COMPUTE_PGM_RSRC2:TGID_Y_EN: 0
; COMPUTE_PGM_RSRC2:TGID_Z_EN: 0
; COMPUTE_PGM_RSRC2:TIDIG_COMP_CNT: 0
; COMPUTE_PGM_RSRC3_GFX90A:ACCUM_OFFSET: 0
; COMPUTE_PGM_RSRC3_GFX90A:TG_SPLIT: 0
	.section	.text._ZN7rocprim17ROCPRIM_400000_NS6detail17trampoline_kernelINS0_14default_configENS1_20scan_config_selectorIiEEZZNS1_9scan_implILNS1_25lookback_scan_determinismE0ELb1ELb1ES3_N6thrust23THRUST_200600_302600_NS6detail15normal_iteratorINS9_10device_ptrIiEEEENS9_16discard_iteratorINS9_11use_defaultEEEiNS9_4plusIvEEiEEDaPvRmT3_T4_T5_mT6_P12ihipStream_tbENKUlT_T0_E_clISt17integral_constantIbLb0EESX_EEDaSS_ST_EUlSS_E0_NS1_11comp_targetILNS1_3genE2ELNS1_11target_archE906ELNS1_3gpuE6ELNS1_3repE0EEENS1_30default_config_static_selectorELNS0_4arch9wavefront6targetE1EEEvT1_,"axG",@progbits,_ZN7rocprim17ROCPRIM_400000_NS6detail17trampoline_kernelINS0_14default_configENS1_20scan_config_selectorIiEEZZNS1_9scan_implILNS1_25lookback_scan_determinismE0ELb1ELb1ES3_N6thrust23THRUST_200600_302600_NS6detail15normal_iteratorINS9_10device_ptrIiEEEENS9_16discard_iteratorINS9_11use_defaultEEEiNS9_4plusIvEEiEEDaPvRmT3_T4_T5_mT6_P12ihipStream_tbENKUlT_T0_E_clISt17integral_constantIbLb0EESX_EEDaSS_ST_EUlSS_E0_NS1_11comp_targetILNS1_3genE2ELNS1_11target_archE906ELNS1_3gpuE6ELNS1_3repE0EEENS1_30default_config_static_selectorELNS0_4arch9wavefront6targetE1EEEvT1_,comdat
	.protected	_ZN7rocprim17ROCPRIM_400000_NS6detail17trampoline_kernelINS0_14default_configENS1_20scan_config_selectorIiEEZZNS1_9scan_implILNS1_25lookback_scan_determinismE0ELb1ELb1ES3_N6thrust23THRUST_200600_302600_NS6detail15normal_iteratorINS9_10device_ptrIiEEEENS9_16discard_iteratorINS9_11use_defaultEEEiNS9_4plusIvEEiEEDaPvRmT3_T4_T5_mT6_P12ihipStream_tbENKUlT_T0_E_clISt17integral_constantIbLb0EESX_EEDaSS_ST_EUlSS_E0_NS1_11comp_targetILNS1_3genE2ELNS1_11target_archE906ELNS1_3gpuE6ELNS1_3repE0EEENS1_30default_config_static_selectorELNS0_4arch9wavefront6targetE1EEEvT1_ ; -- Begin function _ZN7rocprim17ROCPRIM_400000_NS6detail17trampoline_kernelINS0_14default_configENS1_20scan_config_selectorIiEEZZNS1_9scan_implILNS1_25lookback_scan_determinismE0ELb1ELb1ES3_N6thrust23THRUST_200600_302600_NS6detail15normal_iteratorINS9_10device_ptrIiEEEENS9_16discard_iteratorINS9_11use_defaultEEEiNS9_4plusIvEEiEEDaPvRmT3_T4_T5_mT6_P12ihipStream_tbENKUlT_T0_E_clISt17integral_constantIbLb0EESX_EEDaSS_ST_EUlSS_E0_NS1_11comp_targetILNS1_3genE2ELNS1_11target_archE906ELNS1_3gpuE6ELNS1_3repE0EEENS1_30default_config_static_selectorELNS0_4arch9wavefront6targetE1EEEvT1_
	.globl	_ZN7rocprim17ROCPRIM_400000_NS6detail17trampoline_kernelINS0_14default_configENS1_20scan_config_selectorIiEEZZNS1_9scan_implILNS1_25lookback_scan_determinismE0ELb1ELb1ES3_N6thrust23THRUST_200600_302600_NS6detail15normal_iteratorINS9_10device_ptrIiEEEENS9_16discard_iteratorINS9_11use_defaultEEEiNS9_4plusIvEEiEEDaPvRmT3_T4_T5_mT6_P12ihipStream_tbENKUlT_T0_E_clISt17integral_constantIbLb0EESX_EEDaSS_ST_EUlSS_E0_NS1_11comp_targetILNS1_3genE2ELNS1_11target_archE906ELNS1_3gpuE6ELNS1_3repE0EEENS1_30default_config_static_selectorELNS0_4arch9wavefront6targetE1EEEvT1_
	.p2align	8
	.type	_ZN7rocprim17ROCPRIM_400000_NS6detail17trampoline_kernelINS0_14default_configENS1_20scan_config_selectorIiEEZZNS1_9scan_implILNS1_25lookback_scan_determinismE0ELb1ELb1ES3_N6thrust23THRUST_200600_302600_NS6detail15normal_iteratorINS9_10device_ptrIiEEEENS9_16discard_iteratorINS9_11use_defaultEEEiNS9_4plusIvEEiEEDaPvRmT3_T4_T5_mT6_P12ihipStream_tbENKUlT_T0_E_clISt17integral_constantIbLb0EESX_EEDaSS_ST_EUlSS_E0_NS1_11comp_targetILNS1_3genE2ELNS1_11target_archE906ELNS1_3gpuE6ELNS1_3repE0EEENS1_30default_config_static_selectorELNS0_4arch9wavefront6targetE1EEEvT1_,@function
_ZN7rocprim17ROCPRIM_400000_NS6detail17trampoline_kernelINS0_14default_configENS1_20scan_config_selectorIiEEZZNS1_9scan_implILNS1_25lookback_scan_determinismE0ELb1ELb1ES3_N6thrust23THRUST_200600_302600_NS6detail15normal_iteratorINS9_10device_ptrIiEEEENS9_16discard_iteratorINS9_11use_defaultEEEiNS9_4plusIvEEiEEDaPvRmT3_T4_T5_mT6_P12ihipStream_tbENKUlT_T0_E_clISt17integral_constantIbLb0EESX_EEDaSS_ST_EUlSS_E0_NS1_11comp_targetILNS1_3genE2ELNS1_11target_archE906ELNS1_3gpuE6ELNS1_3repE0EEENS1_30default_config_static_selectorELNS0_4arch9wavefront6targetE1EEEvT1_: ; @_ZN7rocprim17ROCPRIM_400000_NS6detail17trampoline_kernelINS0_14default_configENS1_20scan_config_selectorIiEEZZNS1_9scan_implILNS1_25lookback_scan_determinismE0ELb1ELb1ES3_N6thrust23THRUST_200600_302600_NS6detail15normal_iteratorINS9_10device_ptrIiEEEENS9_16discard_iteratorINS9_11use_defaultEEEiNS9_4plusIvEEiEEDaPvRmT3_T4_T5_mT6_P12ihipStream_tbENKUlT_T0_E_clISt17integral_constantIbLb0EESX_EEDaSS_ST_EUlSS_E0_NS1_11comp_targetILNS1_3genE2ELNS1_11target_archE906ELNS1_3gpuE6ELNS1_3repE0EEENS1_30default_config_static_selectorELNS0_4arch9wavefront6targetE1EEEvT1_
; %bb.0:
	.section	.rodata,"a",@progbits
	.p2align	6, 0x0
	.amdhsa_kernel _ZN7rocprim17ROCPRIM_400000_NS6detail17trampoline_kernelINS0_14default_configENS1_20scan_config_selectorIiEEZZNS1_9scan_implILNS1_25lookback_scan_determinismE0ELb1ELb1ES3_N6thrust23THRUST_200600_302600_NS6detail15normal_iteratorINS9_10device_ptrIiEEEENS9_16discard_iteratorINS9_11use_defaultEEEiNS9_4plusIvEEiEEDaPvRmT3_T4_T5_mT6_P12ihipStream_tbENKUlT_T0_E_clISt17integral_constantIbLb0EESX_EEDaSS_ST_EUlSS_E0_NS1_11comp_targetILNS1_3genE2ELNS1_11target_archE906ELNS1_3gpuE6ELNS1_3repE0EEENS1_30default_config_static_selectorELNS0_4arch9wavefront6targetE1EEEvT1_
		.amdhsa_group_segment_fixed_size 0
		.amdhsa_private_segment_fixed_size 0
		.amdhsa_kernarg_size 40
		.amdhsa_user_sgpr_count 6
		.amdhsa_user_sgpr_private_segment_buffer 1
		.amdhsa_user_sgpr_dispatch_ptr 0
		.amdhsa_user_sgpr_queue_ptr 0
		.amdhsa_user_sgpr_kernarg_segment_ptr 1
		.amdhsa_user_sgpr_dispatch_id 0
		.amdhsa_user_sgpr_flat_scratch_init 0
		.amdhsa_user_sgpr_kernarg_preload_length 0
		.amdhsa_user_sgpr_kernarg_preload_offset 0
		.amdhsa_user_sgpr_private_segment_size 0
		.amdhsa_uses_dynamic_stack 0
		.amdhsa_system_sgpr_private_segment_wavefront_offset 0
		.amdhsa_system_sgpr_workgroup_id_x 1
		.amdhsa_system_sgpr_workgroup_id_y 0
		.amdhsa_system_sgpr_workgroup_id_z 0
		.amdhsa_system_sgpr_workgroup_info 0
		.amdhsa_system_vgpr_workitem_id 0
		.amdhsa_next_free_vgpr 1
		.amdhsa_next_free_sgpr 0
		.amdhsa_accum_offset 4
		.amdhsa_reserve_vcc 0
		.amdhsa_reserve_flat_scratch 0
		.amdhsa_float_round_mode_32 0
		.amdhsa_float_round_mode_16_64 0
		.amdhsa_float_denorm_mode_32 3
		.amdhsa_float_denorm_mode_16_64 3
		.amdhsa_dx10_clamp 1
		.amdhsa_ieee_mode 1
		.amdhsa_fp16_overflow 0
		.amdhsa_tg_split 0
		.amdhsa_exception_fp_ieee_invalid_op 0
		.amdhsa_exception_fp_denorm_src 0
		.amdhsa_exception_fp_ieee_div_zero 0
		.amdhsa_exception_fp_ieee_overflow 0
		.amdhsa_exception_fp_ieee_underflow 0
		.amdhsa_exception_fp_ieee_inexact 0
		.amdhsa_exception_int_div_zero 0
	.end_amdhsa_kernel
	.section	.text._ZN7rocprim17ROCPRIM_400000_NS6detail17trampoline_kernelINS0_14default_configENS1_20scan_config_selectorIiEEZZNS1_9scan_implILNS1_25lookback_scan_determinismE0ELb1ELb1ES3_N6thrust23THRUST_200600_302600_NS6detail15normal_iteratorINS9_10device_ptrIiEEEENS9_16discard_iteratorINS9_11use_defaultEEEiNS9_4plusIvEEiEEDaPvRmT3_T4_T5_mT6_P12ihipStream_tbENKUlT_T0_E_clISt17integral_constantIbLb0EESX_EEDaSS_ST_EUlSS_E0_NS1_11comp_targetILNS1_3genE2ELNS1_11target_archE906ELNS1_3gpuE6ELNS1_3repE0EEENS1_30default_config_static_selectorELNS0_4arch9wavefront6targetE1EEEvT1_,"axG",@progbits,_ZN7rocprim17ROCPRIM_400000_NS6detail17trampoline_kernelINS0_14default_configENS1_20scan_config_selectorIiEEZZNS1_9scan_implILNS1_25lookback_scan_determinismE0ELb1ELb1ES3_N6thrust23THRUST_200600_302600_NS6detail15normal_iteratorINS9_10device_ptrIiEEEENS9_16discard_iteratorINS9_11use_defaultEEEiNS9_4plusIvEEiEEDaPvRmT3_T4_T5_mT6_P12ihipStream_tbENKUlT_T0_E_clISt17integral_constantIbLb0EESX_EEDaSS_ST_EUlSS_E0_NS1_11comp_targetILNS1_3genE2ELNS1_11target_archE906ELNS1_3gpuE6ELNS1_3repE0EEENS1_30default_config_static_selectorELNS0_4arch9wavefront6targetE1EEEvT1_,comdat
.Lfunc_end5811:
	.size	_ZN7rocprim17ROCPRIM_400000_NS6detail17trampoline_kernelINS0_14default_configENS1_20scan_config_selectorIiEEZZNS1_9scan_implILNS1_25lookback_scan_determinismE0ELb1ELb1ES3_N6thrust23THRUST_200600_302600_NS6detail15normal_iteratorINS9_10device_ptrIiEEEENS9_16discard_iteratorINS9_11use_defaultEEEiNS9_4plusIvEEiEEDaPvRmT3_T4_T5_mT6_P12ihipStream_tbENKUlT_T0_E_clISt17integral_constantIbLb0EESX_EEDaSS_ST_EUlSS_E0_NS1_11comp_targetILNS1_3genE2ELNS1_11target_archE906ELNS1_3gpuE6ELNS1_3repE0EEENS1_30default_config_static_selectorELNS0_4arch9wavefront6targetE1EEEvT1_, .Lfunc_end5811-_ZN7rocprim17ROCPRIM_400000_NS6detail17trampoline_kernelINS0_14default_configENS1_20scan_config_selectorIiEEZZNS1_9scan_implILNS1_25lookback_scan_determinismE0ELb1ELb1ES3_N6thrust23THRUST_200600_302600_NS6detail15normal_iteratorINS9_10device_ptrIiEEEENS9_16discard_iteratorINS9_11use_defaultEEEiNS9_4plusIvEEiEEDaPvRmT3_T4_T5_mT6_P12ihipStream_tbENKUlT_T0_E_clISt17integral_constantIbLb0EESX_EEDaSS_ST_EUlSS_E0_NS1_11comp_targetILNS1_3genE2ELNS1_11target_archE906ELNS1_3gpuE6ELNS1_3repE0EEENS1_30default_config_static_selectorELNS0_4arch9wavefront6targetE1EEEvT1_
                                        ; -- End function
	.section	.AMDGPU.csdata,"",@progbits
; Kernel info:
; codeLenInByte = 0
; NumSgprs: 4
; NumVgprs: 0
; NumAgprs: 0
; TotalNumVgprs: 0
; ScratchSize: 0
; MemoryBound: 0
; FloatMode: 240
; IeeeMode: 1
; LDSByteSize: 0 bytes/workgroup (compile time only)
; SGPRBlocks: 0
; VGPRBlocks: 0
; NumSGPRsForWavesPerEU: 4
; NumVGPRsForWavesPerEU: 1
; AccumOffset: 4
; Occupancy: 8
; WaveLimiterHint : 0
; COMPUTE_PGM_RSRC2:SCRATCH_EN: 0
; COMPUTE_PGM_RSRC2:USER_SGPR: 6
; COMPUTE_PGM_RSRC2:TRAP_HANDLER: 0
; COMPUTE_PGM_RSRC2:TGID_X_EN: 1
; COMPUTE_PGM_RSRC2:TGID_Y_EN: 0
; COMPUTE_PGM_RSRC2:TGID_Z_EN: 0
; COMPUTE_PGM_RSRC2:TIDIG_COMP_CNT: 0
; COMPUTE_PGM_RSRC3_GFX90A:ACCUM_OFFSET: 0
; COMPUTE_PGM_RSRC3_GFX90A:TG_SPLIT: 0
	.section	.text._ZN7rocprim17ROCPRIM_400000_NS6detail17trampoline_kernelINS0_14default_configENS1_20scan_config_selectorIiEEZZNS1_9scan_implILNS1_25lookback_scan_determinismE0ELb1ELb1ES3_N6thrust23THRUST_200600_302600_NS6detail15normal_iteratorINS9_10device_ptrIiEEEENS9_16discard_iteratorINS9_11use_defaultEEEiNS9_4plusIvEEiEEDaPvRmT3_T4_T5_mT6_P12ihipStream_tbENKUlT_T0_E_clISt17integral_constantIbLb0EESX_EEDaSS_ST_EUlSS_E0_NS1_11comp_targetILNS1_3genE10ELNS1_11target_archE1201ELNS1_3gpuE5ELNS1_3repE0EEENS1_30default_config_static_selectorELNS0_4arch9wavefront6targetE1EEEvT1_,"axG",@progbits,_ZN7rocprim17ROCPRIM_400000_NS6detail17trampoline_kernelINS0_14default_configENS1_20scan_config_selectorIiEEZZNS1_9scan_implILNS1_25lookback_scan_determinismE0ELb1ELb1ES3_N6thrust23THRUST_200600_302600_NS6detail15normal_iteratorINS9_10device_ptrIiEEEENS9_16discard_iteratorINS9_11use_defaultEEEiNS9_4plusIvEEiEEDaPvRmT3_T4_T5_mT6_P12ihipStream_tbENKUlT_T0_E_clISt17integral_constantIbLb0EESX_EEDaSS_ST_EUlSS_E0_NS1_11comp_targetILNS1_3genE10ELNS1_11target_archE1201ELNS1_3gpuE5ELNS1_3repE0EEENS1_30default_config_static_selectorELNS0_4arch9wavefront6targetE1EEEvT1_,comdat
	.protected	_ZN7rocprim17ROCPRIM_400000_NS6detail17trampoline_kernelINS0_14default_configENS1_20scan_config_selectorIiEEZZNS1_9scan_implILNS1_25lookback_scan_determinismE0ELb1ELb1ES3_N6thrust23THRUST_200600_302600_NS6detail15normal_iteratorINS9_10device_ptrIiEEEENS9_16discard_iteratorINS9_11use_defaultEEEiNS9_4plusIvEEiEEDaPvRmT3_T4_T5_mT6_P12ihipStream_tbENKUlT_T0_E_clISt17integral_constantIbLb0EESX_EEDaSS_ST_EUlSS_E0_NS1_11comp_targetILNS1_3genE10ELNS1_11target_archE1201ELNS1_3gpuE5ELNS1_3repE0EEENS1_30default_config_static_selectorELNS0_4arch9wavefront6targetE1EEEvT1_ ; -- Begin function _ZN7rocprim17ROCPRIM_400000_NS6detail17trampoline_kernelINS0_14default_configENS1_20scan_config_selectorIiEEZZNS1_9scan_implILNS1_25lookback_scan_determinismE0ELb1ELb1ES3_N6thrust23THRUST_200600_302600_NS6detail15normal_iteratorINS9_10device_ptrIiEEEENS9_16discard_iteratorINS9_11use_defaultEEEiNS9_4plusIvEEiEEDaPvRmT3_T4_T5_mT6_P12ihipStream_tbENKUlT_T0_E_clISt17integral_constantIbLb0EESX_EEDaSS_ST_EUlSS_E0_NS1_11comp_targetILNS1_3genE10ELNS1_11target_archE1201ELNS1_3gpuE5ELNS1_3repE0EEENS1_30default_config_static_selectorELNS0_4arch9wavefront6targetE1EEEvT1_
	.globl	_ZN7rocprim17ROCPRIM_400000_NS6detail17trampoline_kernelINS0_14default_configENS1_20scan_config_selectorIiEEZZNS1_9scan_implILNS1_25lookback_scan_determinismE0ELb1ELb1ES3_N6thrust23THRUST_200600_302600_NS6detail15normal_iteratorINS9_10device_ptrIiEEEENS9_16discard_iteratorINS9_11use_defaultEEEiNS9_4plusIvEEiEEDaPvRmT3_T4_T5_mT6_P12ihipStream_tbENKUlT_T0_E_clISt17integral_constantIbLb0EESX_EEDaSS_ST_EUlSS_E0_NS1_11comp_targetILNS1_3genE10ELNS1_11target_archE1201ELNS1_3gpuE5ELNS1_3repE0EEENS1_30default_config_static_selectorELNS0_4arch9wavefront6targetE1EEEvT1_
	.p2align	8
	.type	_ZN7rocprim17ROCPRIM_400000_NS6detail17trampoline_kernelINS0_14default_configENS1_20scan_config_selectorIiEEZZNS1_9scan_implILNS1_25lookback_scan_determinismE0ELb1ELb1ES3_N6thrust23THRUST_200600_302600_NS6detail15normal_iteratorINS9_10device_ptrIiEEEENS9_16discard_iteratorINS9_11use_defaultEEEiNS9_4plusIvEEiEEDaPvRmT3_T4_T5_mT6_P12ihipStream_tbENKUlT_T0_E_clISt17integral_constantIbLb0EESX_EEDaSS_ST_EUlSS_E0_NS1_11comp_targetILNS1_3genE10ELNS1_11target_archE1201ELNS1_3gpuE5ELNS1_3repE0EEENS1_30default_config_static_selectorELNS0_4arch9wavefront6targetE1EEEvT1_,@function
_ZN7rocprim17ROCPRIM_400000_NS6detail17trampoline_kernelINS0_14default_configENS1_20scan_config_selectorIiEEZZNS1_9scan_implILNS1_25lookback_scan_determinismE0ELb1ELb1ES3_N6thrust23THRUST_200600_302600_NS6detail15normal_iteratorINS9_10device_ptrIiEEEENS9_16discard_iteratorINS9_11use_defaultEEEiNS9_4plusIvEEiEEDaPvRmT3_T4_T5_mT6_P12ihipStream_tbENKUlT_T0_E_clISt17integral_constantIbLb0EESX_EEDaSS_ST_EUlSS_E0_NS1_11comp_targetILNS1_3genE10ELNS1_11target_archE1201ELNS1_3gpuE5ELNS1_3repE0EEENS1_30default_config_static_selectorELNS0_4arch9wavefront6targetE1EEEvT1_: ; @_ZN7rocprim17ROCPRIM_400000_NS6detail17trampoline_kernelINS0_14default_configENS1_20scan_config_selectorIiEEZZNS1_9scan_implILNS1_25lookback_scan_determinismE0ELb1ELb1ES3_N6thrust23THRUST_200600_302600_NS6detail15normal_iteratorINS9_10device_ptrIiEEEENS9_16discard_iteratorINS9_11use_defaultEEEiNS9_4plusIvEEiEEDaPvRmT3_T4_T5_mT6_P12ihipStream_tbENKUlT_T0_E_clISt17integral_constantIbLb0EESX_EEDaSS_ST_EUlSS_E0_NS1_11comp_targetILNS1_3genE10ELNS1_11target_archE1201ELNS1_3gpuE5ELNS1_3repE0EEENS1_30default_config_static_selectorELNS0_4arch9wavefront6targetE1EEEvT1_
; %bb.0:
	.section	.rodata,"a",@progbits
	.p2align	6, 0x0
	.amdhsa_kernel _ZN7rocprim17ROCPRIM_400000_NS6detail17trampoline_kernelINS0_14default_configENS1_20scan_config_selectorIiEEZZNS1_9scan_implILNS1_25lookback_scan_determinismE0ELb1ELb1ES3_N6thrust23THRUST_200600_302600_NS6detail15normal_iteratorINS9_10device_ptrIiEEEENS9_16discard_iteratorINS9_11use_defaultEEEiNS9_4plusIvEEiEEDaPvRmT3_T4_T5_mT6_P12ihipStream_tbENKUlT_T0_E_clISt17integral_constantIbLb0EESX_EEDaSS_ST_EUlSS_E0_NS1_11comp_targetILNS1_3genE10ELNS1_11target_archE1201ELNS1_3gpuE5ELNS1_3repE0EEENS1_30default_config_static_selectorELNS0_4arch9wavefront6targetE1EEEvT1_
		.amdhsa_group_segment_fixed_size 0
		.amdhsa_private_segment_fixed_size 0
		.amdhsa_kernarg_size 40
		.amdhsa_user_sgpr_count 6
		.amdhsa_user_sgpr_private_segment_buffer 1
		.amdhsa_user_sgpr_dispatch_ptr 0
		.amdhsa_user_sgpr_queue_ptr 0
		.amdhsa_user_sgpr_kernarg_segment_ptr 1
		.amdhsa_user_sgpr_dispatch_id 0
		.amdhsa_user_sgpr_flat_scratch_init 0
		.amdhsa_user_sgpr_kernarg_preload_length 0
		.amdhsa_user_sgpr_kernarg_preload_offset 0
		.amdhsa_user_sgpr_private_segment_size 0
		.amdhsa_uses_dynamic_stack 0
		.amdhsa_system_sgpr_private_segment_wavefront_offset 0
		.amdhsa_system_sgpr_workgroup_id_x 1
		.amdhsa_system_sgpr_workgroup_id_y 0
		.amdhsa_system_sgpr_workgroup_id_z 0
		.amdhsa_system_sgpr_workgroup_info 0
		.amdhsa_system_vgpr_workitem_id 0
		.amdhsa_next_free_vgpr 1
		.amdhsa_next_free_sgpr 0
		.amdhsa_accum_offset 4
		.amdhsa_reserve_vcc 0
		.amdhsa_reserve_flat_scratch 0
		.amdhsa_float_round_mode_32 0
		.amdhsa_float_round_mode_16_64 0
		.amdhsa_float_denorm_mode_32 3
		.amdhsa_float_denorm_mode_16_64 3
		.amdhsa_dx10_clamp 1
		.amdhsa_ieee_mode 1
		.amdhsa_fp16_overflow 0
		.amdhsa_tg_split 0
		.amdhsa_exception_fp_ieee_invalid_op 0
		.amdhsa_exception_fp_denorm_src 0
		.amdhsa_exception_fp_ieee_div_zero 0
		.amdhsa_exception_fp_ieee_overflow 0
		.amdhsa_exception_fp_ieee_underflow 0
		.amdhsa_exception_fp_ieee_inexact 0
		.amdhsa_exception_int_div_zero 0
	.end_amdhsa_kernel
	.section	.text._ZN7rocprim17ROCPRIM_400000_NS6detail17trampoline_kernelINS0_14default_configENS1_20scan_config_selectorIiEEZZNS1_9scan_implILNS1_25lookback_scan_determinismE0ELb1ELb1ES3_N6thrust23THRUST_200600_302600_NS6detail15normal_iteratorINS9_10device_ptrIiEEEENS9_16discard_iteratorINS9_11use_defaultEEEiNS9_4plusIvEEiEEDaPvRmT3_T4_T5_mT6_P12ihipStream_tbENKUlT_T0_E_clISt17integral_constantIbLb0EESX_EEDaSS_ST_EUlSS_E0_NS1_11comp_targetILNS1_3genE10ELNS1_11target_archE1201ELNS1_3gpuE5ELNS1_3repE0EEENS1_30default_config_static_selectorELNS0_4arch9wavefront6targetE1EEEvT1_,"axG",@progbits,_ZN7rocprim17ROCPRIM_400000_NS6detail17trampoline_kernelINS0_14default_configENS1_20scan_config_selectorIiEEZZNS1_9scan_implILNS1_25lookback_scan_determinismE0ELb1ELb1ES3_N6thrust23THRUST_200600_302600_NS6detail15normal_iteratorINS9_10device_ptrIiEEEENS9_16discard_iteratorINS9_11use_defaultEEEiNS9_4plusIvEEiEEDaPvRmT3_T4_T5_mT6_P12ihipStream_tbENKUlT_T0_E_clISt17integral_constantIbLb0EESX_EEDaSS_ST_EUlSS_E0_NS1_11comp_targetILNS1_3genE10ELNS1_11target_archE1201ELNS1_3gpuE5ELNS1_3repE0EEENS1_30default_config_static_selectorELNS0_4arch9wavefront6targetE1EEEvT1_,comdat
.Lfunc_end5812:
	.size	_ZN7rocprim17ROCPRIM_400000_NS6detail17trampoline_kernelINS0_14default_configENS1_20scan_config_selectorIiEEZZNS1_9scan_implILNS1_25lookback_scan_determinismE0ELb1ELb1ES3_N6thrust23THRUST_200600_302600_NS6detail15normal_iteratorINS9_10device_ptrIiEEEENS9_16discard_iteratorINS9_11use_defaultEEEiNS9_4plusIvEEiEEDaPvRmT3_T4_T5_mT6_P12ihipStream_tbENKUlT_T0_E_clISt17integral_constantIbLb0EESX_EEDaSS_ST_EUlSS_E0_NS1_11comp_targetILNS1_3genE10ELNS1_11target_archE1201ELNS1_3gpuE5ELNS1_3repE0EEENS1_30default_config_static_selectorELNS0_4arch9wavefront6targetE1EEEvT1_, .Lfunc_end5812-_ZN7rocprim17ROCPRIM_400000_NS6detail17trampoline_kernelINS0_14default_configENS1_20scan_config_selectorIiEEZZNS1_9scan_implILNS1_25lookback_scan_determinismE0ELb1ELb1ES3_N6thrust23THRUST_200600_302600_NS6detail15normal_iteratorINS9_10device_ptrIiEEEENS9_16discard_iteratorINS9_11use_defaultEEEiNS9_4plusIvEEiEEDaPvRmT3_T4_T5_mT6_P12ihipStream_tbENKUlT_T0_E_clISt17integral_constantIbLb0EESX_EEDaSS_ST_EUlSS_E0_NS1_11comp_targetILNS1_3genE10ELNS1_11target_archE1201ELNS1_3gpuE5ELNS1_3repE0EEENS1_30default_config_static_selectorELNS0_4arch9wavefront6targetE1EEEvT1_
                                        ; -- End function
	.section	.AMDGPU.csdata,"",@progbits
; Kernel info:
; codeLenInByte = 0
; NumSgprs: 4
; NumVgprs: 0
; NumAgprs: 0
; TotalNumVgprs: 0
; ScratchSize: 0
; MemoryBound: 0
; FloatMode: 240
; IeeeMode: 1
; LDSByteSize: 0 bytes/workgroup (compile time only)
; SGPRBlocks: 0
; VGPRBlocks: 0
; NumSGPRsForWavesPerEU: 4
; NumVGPRsForWavesPerEU: 1
; AccumOffset: 4
; Occupancy: 8
; WaveLimiterHint : 0
; COMPUTE_PGM_RSRC2:SCRATCH_EN: 0
; COMPUTE_PGM_RSRC2:USER_SGPR: 6
; COMPUTE_PGM_RSRC2:TRAP_HANDLER: 0
; COMPUTE_PGM_RSRC2:TGID_X_EN: 1
; COMPUTE_PGM_RSRC2:TGID_Y_EN: 0
; COMPUTE_PGM_RSRC2:TGID_Z_EN: 0
; COMPUTE_PGM_RSRC2:TIDIG_COMP_CNT: 0
; COMPUTE_PGM_RSRC3_GFX90A:ACCUM_OFFSET: 0
; COMPUTE_PGM_RSRC3_GFX90A:TG_SPLIT: 0
	.section	.text._ZN7rocprim17ROCPRIM_400000_NS6detail17trampoline_kernelINS0_14default_configENS1_20scan_config_selectorIiEEZZNS1_9scan_implILNS1_25lookback_scan_determinismE0ELb1ELb1ES3_N6thrust23THRUST_200600_302600_NS6detail15normal_iteratorINS9_10device_ptrIiEEEENS9_16discard_iteratorINS9_11use_defaultEEEiNS9_4plusIvEEiEEDaPvRmT3_T4_T5_mT6_P12ihipStream_tbENKUlT_T0_E_clISt17integral_constantIbLb0EESX_EEDaSS_ST_EUlSS_E0_NS1_11comp_targetILNS1_3genE10ELNS1_11target_archE1200ELNS1_3gpuE4ELNS1_3repE0EEENS1_30default_config_static_selectorELNS0_4arch9wavefront6targetE1EEEvT1_,"axG",@progbits,_ZN7rocprim17ROCPRIM_400000_NS6detail17trampoline_kernelINS0_14default_configENS1_20scan_config_selectorIiEEZZNS1_9scan_implILNS1_25lookback_scan_determinismE0ELb1ELb1ES3_N6thrust23THRUST_200600_302600_NS6detail15normal_iteratorINS9_10device_ptrIiEEEENS9_16discard_iteratorINS9_11use_defaultEEEiNS9_4plusIvEEiEEDaPvRmT3_T4_T5_mT6_P12ihipStream_tbENKUlT_T0_E_clISt17integral_constantIbLb0EESX_EEDaSS_ST_EUlSS_E0_NS1_11comp_targetILNS1_3genE10ELNS1_11target_archE1200ELNS1_3gpuE4ELNS1_3repE0EEENS1_30default_config_static_selectorELNS0_4arch9wavefront6targetE1EEEvT1_,comdat
	.protected	_ZN7rocprim17ROCPRIM_400000_NS6detail17trampoline_kernelINS0_14default_configENS1_20scan_config_selectorIiEEZZNS1_9scan_implILNS1_25lookback_scan_determinismE0ELb1ELb1ES3_N6thrust23THRUST_200600_302600_NS6detail15normal_iteratorINS9_10device_ptrIiEEEENS9_16discard_iteratorINS9_11use_defaultEEEiNS9_4plusIvEEiEEDaPvRmT3_T4_T5_mT6_P12ihipStream_tbENKUlT_T0_E_clISt17integral_constantIbLb0EESX_EEDaSS_ST_EUlSS_E0_NS1_11comp_targetILNS1_3genE10ELNS1_11target_archE1200ELNS1_3gpuE4ELNS1_3repE0EEENS1_30default_config_static_selectorELNS0_4arch9wavefront6targetE1EEEvT1_ ; -- Begin function _ZN7rocprim17ROCPRIM_400000_NS6detail17trampoline_kernelINS0_14default_configENS1_20scan_config_selectorIiEEZZNS1_9scan_implILNS1_25lookback_scan_determinismE0ELb1ELb1ES3_N6thrust23THRUST_200600_302600_NS6detail15normal_iteratorINS9_10device_ptrIiEEEENS9_16discard_iteratorINS9_11use_defaultEEEiNS9_4plusIvEEiEEDaPvRmT3_T4_T5_mT6_P12ihipStream_tbENKUlT_T0_E_clISt17integral_constantIbLb0EESX_EEDaSS_ST_EUlSS_E0_NS1_11comp_targetILNS1_3genE10ELNS1_11target_archE1200ELNS1_3gpuE4ELNS1_3repE0EEENS1_30default_config_static_selectorELNS0_4arch9wavefront6targetE1EEEvT1_
	.globl	_ZN7rocprim17ROCPRIM_400000_NS6detail17trampoline_kernelINS0_14default_configENS1_20scan_config_selectorIiEEZZNS1_9scan_implILNS1_25lookback_scan_determinismE0ELb1ELb1ES3_N6thrust23THRUST_200600_302600_NS6detail15normal_iteratorINS9_10device_ptrIiEEEENS9_16discard_iteratorINS9_11use_defaultEEEiNS9_4plusIvEEiEEDaPvRmT3_T4_T5_mT6_P12ihipStream_tbENKUlT_T0_E_clISt17integral_constantIbLb0EESX_EEDaSS_ST_EUlSS_E0_NS1_11comp_targetILNS1_3genE10ELNS1_11target_archE1200ELNS1_3gpuE4ELNS1_3repE0EEENS1_30default_config_static_selectorELNS0_4arch9wavefront6targetE1EEEvT1_
	.p2align	8
	.type	_ZN7rocprim17ROCPRIM_400000_NS6detail17trampoline_kernelINS0_14default_configENS1_20scan_config_selectorIiEEZZNS1_9scan_implILNS1_25lookback_scan_determinismE0ELb1ELb1ES3_N6thrust23THRUST_200600_302600_NS6detail15normal_iteratorINS9_10device_ptrIiEEEENS9_16discard_iteratorINS9_11use_defaultEEEiNS9_4plusIvEEiEEDaPvRmT3_T4_T5_mT6_P12ihipStream_tbENKUlT_T0_E_clISt17integral_constantIbLb0EESX_EEDaSS_ST_EUlSS_E0_NS1_11comp_targetILNS1_3genE10ELNS1_11target_archE1200ELNS1_3gpuE4ELNS1_3repE0EEENS1_30default_config_static_selectorELNS0_4arch9wavefront6targetE1EEEvT1_,@function
_ZN7rocprim17ROCPRIM_400000_NS6detail17trampoline_kernelINS0_14default_configENS1_20scan_config_selectorIiEEZZNS1_9scan_implILNS1_25lookback_scan_determinismE0ELb1ELb1ES3_N6thrust23THRUST_200600_302600_NS6detail15normal_iteratorINS9_10device_ptrIiEEEENS9_16discard_iteratorINS9_11use_defaultEEEiNS9_4plusIvEEiEEDaPvRmT3_T4_T5_mT6_P12ihipStream_tbENKUlT_T0_E_clISt17integral_constantIbLb0EESX_EEDaSS_ST_EUlSS_E0_NS1_11comp_targetILNS1_3genE10ELNS1_11target_archE1200ELNS1_3gpuE4ELNS1_3repE0EEENS1_30default_config_static_selectorELNS0_4arch9wavefront6targetE1EEEvT1_: ; @_ZN7rocprim17ROCPRIM_400000_NS6detail17trampoline_kernelINS0_14default_configENS1_20scan_config_selectorIiEEZZNS1_9scan_implILNS1_25lookback_scan_determinismE0ELb1ELb1ES3_N6thrust23THRUST_200600_302600_NS6detail15normal_iteratorINS9_10device_ptrIiEEEENS9_16discard_iteratorINS9_11use_defaultEEEiNS9_4plusIvEEiEEDaPvRmT3_T4_T5_mT6_P12ihipStream_tbENKUlT_T0_E_clISt17integral_constantIbLb0EESX_EEDaSS_ST_EUlSS_E0_NS1_11comp_targetILNS1_3genE10ELNS1_11target_archE1200ELNS1_3gpuE4ELNS1_3repE0EEENS1_30default_config_static_selectorELNS0_4arch9wavefront6targetE1EEEvT1_
; %bb.0:
	.section	.rodata,"a",@progbits
	.p2align	6, 0x0
	.amdhsa_kernel _ZN7rocprim17ROCPRIM_400000_NS6detail17trampoline_kernelINS0_14default_configENS1_20scan_config_selectorIiEEZZNS1_9scan_implILNS1_25lookback_scan_determinismE0ELb1ELb1ES3_N6thrust23THRUST_200600_302600_NS6detail15normal_iteratorINS9_10device_ptrIiEEEENS9_16discard_iteratorINS9_11use_defaultEEEiNS9_4plusIvEEiEEDaPvRmT3_T4_T5_mT6_P12ihipStream_tbENKUlT_T0_E_clISt17integral_constantIbLb0EESX_EEDaSS_ST_EUlSS_E0_NS1_11comp_targetILNS1_3genE10ELNS1_11target_archE1200ELNS1_3gpuE4ELNS1_3repE0EEENS1_30default_config_static_selectorELNS0_4arch9wavefront6targetE1EEEvT1_
		.amdhsa_group_segment_fixed_size 0
		.amdhsa_private_segment_fixed_size 0
		.amdhsa_kernarg_size 40
		.amdhsa_user_sgpr_count 6
		.amdhsa_user_sgpr_private_segment_buffer 1
		.amdhsa_user_sgpr_dispatch_ptr 0
		.amdhsa_user_sgpr_queue_ptr 0
		.amdhsa_user_sgpr_kernarg_segment_ptr 1
		.amdhsa_user_sgpr_dispatch_id 0
		.amdhsa_user_sgpr_flat_scratch_init 0
		.amdhsa_user_sgpr_kernarg_preload_length 0
		.amdhsa_user_sgpr_kernarg_preload_offset 0
		.amdhsa_user_sgpr_private_segment_size 0
		.amdhsa_uses_dynamic_stack 0
		.amdhsa_system_sgpr_private_segment_wavefront_offset 0
		.amdhsa_system_sgpr_workgroup_id_x 1
		.amdhsa_system_sgpr_workgroup_id_y 0
		.amdhsa_system_sgpr_workgroup_id_z 0
		.amdhsa_system_sgpr_workgroup_info 0
		.amdhsa_system_vgpr_workitem_id 0
		.amdhsa_next_free_vgpr 1
		.amdhsa_next_free_sgpr 0
		.amdhsa_accum_offset 4
		.amdhsa_reserve_vcc 0
		.amdhsa_reserve_flat_scratch 0
		.amdhsa_float_round_mode_32 0
		.amdhsa_float_round_mode_16_64 0
		.amdhsa_float_denorm_mode_32 3
		.amdhsa_float_denorm_mode_16_64 3
		.amdhsa_dx10_clamp 1
		.amdhsa_ieee_mode 1
		.amdhsa_fp16_overflow 0
		.amdhsa_tg_split 0
		.amdhsa_exception_fp_ieee_invalid_op 0
		.amdhsa_exception_fp_denorm_src 0
		.amdhsa_exception_fp_ieee_div_zero 0
		.amdhsa_exception_fp_ieee_overflow 0
		.amdhsa_exception_fp_ieee_underflow 0
		.amdhsa_exception_fp_ieee_inexact 0
		.amdhsa_exception_int_div_zero 0
	.end_amdhsa_kernel
	.section	.text._ZN7rocprim17ROCPRIM_400000_NS6detail17trampoline_kernelINS0_14default_configENS1_20scan_config_selectorIiEEZZNS1_9scan_implILNS1_25lookback_scan_determinismE0ELb1ELb1ES3_N6thrust23THRUST_200600_302600_NS6detail15normal_iteratorINS9_10device_ptrIiEEEENS9_16discard_iteratorINS9_11use_defaultEEEiNS9_4plusIvEEiEEDaPvRmT3_T4_T5_mT6_P12ihipStream_tbENKUlT_T0_E_clISt17integral_constantIbLb0EESX_EEDaSS_ST_EUlSS_E0_NS1_11comp_targetILNS1_3genE10ELNS1_11target_archE1200ELNS1_3gpuE4ELNS1_3repE0EEENS1_30default_config_static_selectorELNS0_4arch9wavefront6targetE1EEEvT1_,"axG",@progbits,_ZN7rocprim17ROCPRIM_400000_NS6detail17trampoline_kernelINS0_14default_configENS1_20scan_config_selectorIiEEZZNS1_9scan_implILNS1_25lookback_scan_determinismE0ELb1ELb1ES3_N6thrust23THRUST_200600_302600_NS6detail15normal_iteratorINS9_10device_ptrIiEEEENS9_16discard_iteratorINS9_11use_defaultEEEiNS9_4plusIvEEiEEDaPvRmT3_T4_T5_mT6_P12ihipStream_tbENKUlT_T0_E_clISt17integral_constantIbLb0EESX_EEDaSS_ST_EUlSS_E0_NS1_11comp_targetILNS1_3genE10ELNS1_11target_archE1200ELNS1_3gpuE4ELNS1_3repE0EEENS1_30default_config_static_selectorELNS0_4arch9wavefront6targetE1EEEvT1_,comdat
.Lfunc_end5813:
	.size	_ZN7rocprim17ROCPRIM_400000_NS6detail17trampoline_kernelINS0_14default_configENS1_20scan_config_selectorIiEEZZNS1_9scan_implILNS1_25lookback_scan_determinismE0ELb1ELb1ES3_N6thrust23THRUST_200600_302600_NS6detail15normal_iteratorINS9_10device_ptrIiEEEENS9_16discard_iteratorINS9_11use_defaultEEEiNS9_4plusIvEEiEEDaPvRmT3_T4_T5_mT6_P12ihipStream_tbENKUlT_T0_E_clISt17integral_constantIbLb0EESX_EEDaSS_ST_EUlSS_E0_NS1_11comp_targetILNS1_3genE10ELNS1_11target_archE1200ELNS1_3gpuE4ELNS1_3repE0EEENS1_30default_config_static_selectorELNS0_4arch9wavefront6targetE1EEEvT1_, .Lfunc_end5813-_ZN7rocprim17ROCPRIM_400000_NS6detail17trampoline_kernelINS0_14default_configENS1_20scan_config_selectorIiEEZZNS1_9scan_implILNS1_25lookback_scan_determinismE0ELb1ELb1ES3_N6thrust23THRUST_200600_302600_NS6detail15normal_iteratorINS9_10device_ptrIiEEEENS9_16discard_iteratorINS9_11use_defaultEEEiNS9_4plusIvEEiEEDaPvRmT3_T4_T5_mT6_P12ihipStream_tbENKUlT_T0_E_clISt17integral_constantIbLb0EESX_EEDaSS_ST_EUlSS_E0_NS1_11comp_targetILNS1_3genE10ELNS1_11target_archE1200ELNS1_3gpuE4ELNS1_3repE0EEENS1_30default_config_static_selectorELNS0_4arch9wavefront6targetE1EEEvT1_
                                        ; -- End function
	.section	.AMDGPU.csdata,"",@progbits
; Kernel info:
; codeLenInByte = 0
; NumSgprs: 4
; NumVgprs: 0
; NumAgprs: 0
; TotalNumVgprs: 0
; ScratchSize: 0
; MemoryBound: 0
; FloatMode: 240
; IeeeMode: 1
; LDSByteSize: 0 bytes/workgroup (compile time only)
; SGPRBlocks: 0
; VGPRBlocks: 0
; NumSGPRsForWavesPerEU: 4
; NumVGPRsForWavesPerEU: 1
; AccumOffset: 4
; Occupancy: 8
; WaveLimiterHint : 0
; COMPUTE_PGM_RSRC2:SCRATCH_EN: 0
; COMPUTE_PGM_RSRC2:USER_SGPR: 6
; COMPUTE_PGM_RSRC2:TRAP_HANDLER: 0
; COMPUTE_PGM_RSRC2:TGID_X_EN: 1
; COMPUTE_PGM_RSRC2:TGID_Y_EN: 0
; COMPUTE_PGM_RSRC2:TGID_Z_EN: 0
; COMPUTE_PGM_RSRC2:TIDIG_COMP_CNT: 0
; COMPUTE_PGM_RSRC3_GFX90A:ACCUM_OFFSET: 0
; COMPUTE_PGM_RSRC3_GFX90A:TG_SPLIT: 0
	.section	.text._ZN7rocprim17ROCPRIM_400000_NS6detail17trampoline_kernelINS0_14default_configENS1_20scan_config_selectorIiEEZZNS1_9scan_implILNS1_25lookback_scan_determinismE0ELb1ELb1ES3_N6thrust23THRUST_200600_302600_NS6detail15normal_iteratorINS9_10device_ptrIiEEEENS9_16discard_iteratorINS9_11use_defaultEEEiNS9_4plusIvEEiEEDaPvRmT3_T4_T5_mT6_P12ihipStream_tbENKUlT_T0_E_clISt17integral_constantIbLb0EESX_EEDaSS_ST_EUlSS_E0_NS1_11comp_targetILNS1_3genE9ELNS1_11target_archE1100ELNS1_3gpuE3ELNS1_3repE0EEENS1_30default_config_static_selectorELNS0_4arch9wavefront6targetE1EEEvT1_,"axG",@progbits,_ZN7rocprim17ROCPRIM_400000_NS6detail17trampoline_kernelINS0_14default_configENS1_20scan_config_selectorIiEEZZNS1_9scan_implILNS1_25lookback_scan_determinismE0ELb1ELb1ES3_N6thrust23THRUST_200600_302600_NS6detail15normal_iteratorINS9_10device_ptrIiEEEENS9_16discard_iteratorINS9_11use_defaultEEEiNS9_4plusIvEEiEEDaPvRmT3_T4_T5_mT6_P12ihipStream_tbENKUlT_T0_E_clISt17integral_constantIbLb0EESX_EEDaSS_ST_EUlSS_E0_NS1_11comp_targetILNS1_3genE9ELNS1_11target_archE1100ELNS1_3gpuE3ELNS1_3repE0EEENS1_30default_config_static_selectorELNS0_4arch9wavefront6targetE1EEEvT1_,comdat
	.protected	_ZN7rocprim17ROCPRIM_400000_NS6detail17trampoline_kernelINS0_14default_configENS1_20scan_config_selectorIiEEZZNS1_9scan_implILNS1_25lookback_scan_determinismE0ELb1ELb1ES3_N6thrust23THRUST_200600_302600_NS6detail15normal_iteratorINS9_10device_ptrIiEEEENS9_16discard_iteratorINS9_11use_defaultEEEiNS9_4plusIvEEiEEDaPvRmT3_T4_T5_mT6_P12ihipStream_tbENKUlT_T0_E_clISt17integral_constantIbLb0EESX_EEDaSS_ST_EUlSS_E0_NS1_11comp_targetILNS1_3genE9ELNS1_11target_archE1100ELNS1_3gpuE3ELNS1_3repE0EEENS1_30default_config_static_selectorELNS0_4arch9wavefront6targetE1EEEvT1_ ; -- Begin function _ZN7rocprim17ROCPRIM_400000_NS6detail17trampoline_kernelINS0_14default_configENS1_20scan_config_selectorIiEEZZNS1_9scan_implILNS1_25lookback_scan_determinismE0ELb1ELb1ES3_N6thrust23THRUST_200600_302600_NS6detail15normal_iteratorINS9_10device_ptrIiEEEENS9_16discard_iteratorINS9_11use_defaultEEEiNS9_4plusIvEEiEEDaPvRmT3_T4_T5_mT6_P12ihipStream_tbENKUlT_T0_E_clISt17integral_constantIbLb0EESX_EEDaSS_ST_EUlSS_E0_NS1_11comp_targetILNS1_3genE9ELNS1_11target_archE1100ELNS1_3gpuE3ELNS1_3repE0EEENS1_30default_config_static_selectorELNS0_4arch9wavefront6targetE1EEEvT1_
	.globl	_ZN7rocprim17ROCPRIM_400000_NS6detail17trampoline_kernelINS0_14default_configENS1_20scan_config_selectorIiEEZZNS1_9scan_implILNS1_25lookback_scan_determinismE0ELb1ELb1ES3_N6thrust23THRUST_200600_302600_NS6detail15normal_iteratorINS9_10device_ptrIiEEEENS9_16discard_iteratorINS9_11use_defaultEEEiNS9_4plusIvEEiEEDaPvRmT3_T4_T5_mT6_P12ihipStream_tbENKUlT_T0_E_clISt17integral_constantIbLb0EESX_EEDaSS_ST_EUlSS_E0_NS1_11comp_targetILNS1_3genE9ELNS1_11target_archE1100ELNS1_3gpuE3ELNS1_3repE0EEENS1_30default_config_static_selectorELNS0_4arch9wavefront6targetE1EEEvT1_
	.p2align	8
	.type	_ZN7rocprim17ROCPRIM_400000_NS6detail17trampoline_kernelINS0_14default_configENS1_20scan_config_selectorIiEEZZNS1_9scan_implILNS1_25lookback_scan_determinismE0ELb1ELb1ES3_N6thrust23THRUST_200600_302600_NS6detail15normal_iteratorINS9_10device_ptrIiEEEENS9_16discard_iteratorINS9_11use_defaultEEEiNS9_4plusIvEEiEEDaPvRmT3_T4_T5_mT6_P12ihipStream_tbENKUlT_T0_E_clISt17integral_constantIbLb0EESX_EEDaSS_ST_EUlSS_E0_NS1_11comp_targetILNS1_3genE9ELNS1_11target_archE1100ELNS1_3gpuE3ELNS1_3repE0EEENS1_30default_config_static_selectorELNS0_4arch9wavefront6targetE1EEEvT1_,@function
_ZN7rocprim17ROCPRIM_400000_NS6detail17trampoline_kernelINS0_14default_configENS1_20scan_config_selectorIiEEZZNS1_9scan_implILNS1_25lookback_scan_determinismE0ELb1ELb1ES3_N6thrust23THRUST_200600_302600_NS6detail15normal_iteratorINS9_10device_ptrIiEEEENS9_16discard_iteratorINS9_11use_defaultEEEiNS9_4plusIvEEiEEDaPvRmT3_T4_T5_mT6_P12ihipStream_tbENKUlT_T0_E_clISt17integral_constantIbLb0EESX_EEDaSS_ST_EUlSS_E0_NS1_11comp_targetILNS1_3genE9ELNS1_11target_archE1100ELNS1_3gpuE3ELNS1_3repE0EEENS1_30default_config_static_selectorELNS0_4arch9wavefront6targetE1EEEvT1_: ; @_ZN7rocprim17ROCPRIM_400000_NS6detail17trampoline_kernelINS0_14default_configENS1_20scan_config_selectorIiEEZZNS1_9scan_implILNS1_25lookback_scan_determinismE0ELb1ELb1ES3_N6thrust23THRUST_200600_302600_NS6detail15normal_iteratorINS9_10device_ptrIiEEEENS9_16discard_iteratorINS9_11use_defaultEEEiNS9_4plusIvEEiEEDaPvRmT3_T4_T5_mT6_P12ihipStream_tbENKUlT_T0_E_clISt17integral_constantIbLb0EESX_EEDaSS_ST_EUlSS_E0_NS1_11comp_targetILNS1_3genE9ELNS1_11target_archE1100ELNS1_3gpuE3ELNS1_3repE0EEENS1_30default_config_static_selectorELNS0_4arch9wavefront6targetE1EEEvT1_
; %bb.0:
	.section	.rodata,"a",@progbits
	.p2align	6, 0x0
	.amdhsa_kernel _ZN7rocprim17ROCPRIM_400000_NS6detail17trampoline_kernelINS0_14default_configENS1_20scan_config_selectorIiEEZZNS1_9scan_implILNS1_25lookback_scan_determinismE0ELb1ELb1ES3_N6thrust23THRUST_200600_302600_NS6detail15normal_iteratorINS9_10device_ptrIiEEEENS9_16discard_iteratorINS9_11use_defaultEEEiNS9_4plusIvEEiEEDaPvRmT3_T4_T5_mT6_P12ihipStream_tbENKUlT_T0_E_clISt17integral_constantIbLb0EESX_EEDaSS_ST_EUlSS_E0_NS1_11comp_targetILNS1_3genE9ELNS1_11target_archE1100ELNS1_3gpuE3ELNS1_3repE0EEENS1_30default_config_static_selectorELNS0_4arch9wavefront6targetE1EEEvT1_
		.amdhsa_group_segment_fixed_size 0
		.amdhsa_private_segment_fixed_size 0
		.amdhsa_kernarg_size 40
		.amdhsa_user_sgpr_count 6
		.amdhsa_user_sgpr_private_segment_buffer 1
		.amdhsa_user_sgpr_dispatch_ptr 0
		.amdhsa_user_sgpr_queue_ptr 0
		.amdhsa_user_sgpr_kernarg_segment_ptr 1
		.amdhsa_user_sgpr_dispatch_id 0
		.amdhsa_user_sgpr_flat_scratch_init 0
		.amdhsa_user_sgpr_kernarg_preload_length 0
		.amdhsa_user_sgpr_kernarg_preload_offset 0
		.amdhsa_user_sgpr_private_segment_size 0
		.amdhsa_uses_dynamic_stack 0
		.amdhsa_system_sgpr_private_segment_wavefront_offset 0
		.amdhsa_system_sgpr_workgroup_id_x 1
		.amdhsa_system_sgpr_workgroup_id_y 0
		.amdhsa_system_sgpr_workgroup_id_z 0
		.amdhsa_system_sgpr_workgroup_info 0
		.amdhsa_system_vgpr_workitem_id 0
		.amdhsa_next_free_vgpr 1
		.amdhsa_next_free_sgpr 0
		.amdhsa_accum_offset 4
		.amdhsa_reserve_vcc 0
		.amdhsa_reserve_flat_scratch 0
		.amdhsa_float_round_mode_32 0
		.amdhsa_float_round_mode_16_64 0
		.amdhsa_float_denorm_mode_32 3
		.amdhsa_float_denorm_mode_16_64 3
		.amdhsa_dx10_clamp 1
		.amdhsa_ieee_mode 1
		.amdhsa_fp16_overflow 0
		.amdhsa_tg_split 0
		.amdhsa_exception_fp_ieee_invalid_op 0
		.amdhsa_exception_fp_denorm_src 0
		.amdhsa_exception_fp_ieee_div_zero 0
		.amdhsa_exception_fp_ieee_overflow 0
		.amdhsa_exception_fp_ieee_underflow 0
		.amdhsa_exception_fp_ieee_inexact 0
		.amdhsa_exception_int_div_zero 0
	.end_amdhsa_kernel
	.section	.text._ZN7rocprim17ROCPRIM_400000_NS6detail17trampoline_kernelINS0_14default_configENS1_20scan_config_selectorIiEEZZNS1_9scan_implILNS1_25lookback_scan_determinismE0ELb1ELb1ES3_N6thrust23THRUST_200600_302600_NS6detail15normal_iteratorINS9_10device_ptrIiEEEENS9_16discard_iteratorINS9_11use_defaultEEEiNS9_4plusIvEEiEEDaPvRmT3_T4_T5_mT6_P12ihipStream_tbENKUlT_T0_E_clISt17integral_constantIbLb0EESX_EEDaSS_ST_EUlSS_E0_NS1_11comp_targetILNS1_3genE9ELNS1_11target_archE1100ELNS1_3gpuE3ELNS1_3repE0EEENS1_30default_config_static_selectorELNS0_4arch9wavefront6targetE1EEEvT1_,"axG",@progbits,_ZN7rocprim17ROCPRIM_400000_NS6detail17trampoline_kernelINS0_14default_configENS1_20scan_config_selectorIiEEZZNS1_9scan_implILNS1_25lookback_scan_determinismE0ELb1ELb1ES3_N6thrust23THRUST_200600_302600_NS6detail15normal_iteratorINS9_10device_ptrIiEEEENS9_16discard_iteratorINS9_11use_defaultEEEiNS9_4plusIvEEiEEDaPvRmT3_T4_T5_mT6_P12ihipStream_tbENKUlT_T0_E_clISt17integral_constantIbLb0EESX_EEDaSS_ST_EUlSS_E0_NS1_11comp_targetILNS1_3genE9ELNS1_11target_archE1100ELNS1_3gpuE3ELNS1_3repE0EEENS1_30default_config_static_selectorELNS0_4arch9wavefront6targetE1EEEvT1_,comdat
.Lfunc_end5814:
	.size	_ZN7rocprim17ROCPRIM_400000_NS6detail17trampoline_kernelINS0_14default_configENS1_20scan_config_selectorIiEEZZNS1_9scan_implILNS1_25lookback_scan_determinismE0ELb1ELb1ES3_N6thrust23THRUST_200600_302600_NS6detail15normal_iteratorINS9_10device_ptrIiEEEENS9_16discard_iteratorINS9_11use_defaultEEEiNS9_4plusIvEEiEEDaPvRmT3_T4_T5_mT6_P12ihipStream_tbENKUlT_T0_E_clISt17integral_constantIbLb0EESX_EEDaSS_ST_EUlSS_E0_NS1_11comp_targetILNS1_3genE9ELNS1_11target_archE1100ELNS1_3gpuE3ELNS1_3repE0EEENS1_30default_config_static_selectorELNS0_4arch9wavefront6targetE1EEEvT1_, .Lfunc_end5814-_ZN7rocprim17ROCPRIM_400000_NS6detail17trampoline_kernelINS0_14default_configENS1_20scan_config_selectorIiEEZZNS1_9scan_implILNS1_25lookback_scan_determinismE0ELb1ELb1ES3_N6thrust23THRUST_200600_302600_NS6detail15normal_iteratorINS9_10device_ptrIiEEEENS9_16discard_iteratorINS9_11use_defaultEEEiNS9_4plusIvEEiEEDaPvRmT3_T4_T5_mT6_P12ihipStream_tbENKUlT_T0_E_clISt17integral_constantIbLb0EESX_EEDaSS_ST_EUlSS_E0_NS1_11comp_targetILNS1_3genE9ELNS1_11target_archE1100ELNS1_3gpuE3ELNS1_3repE0EEENS1_30default_config_static_selectorELNS0_4arch9wavefront6targetE1EEEvT1_
                                        ; -- End function
	.section	.AMDGPU.csdata,"",@progbits
; Kernel info:
; codeLenInByte = 0
; NumSgprs: 4
; NumVgprs: 0
; NumAgprs: 0
; TotalNumVgprs: 0
; ScratchSize: 0
; MemoryBound: 0
; FloatMode: 240
; IeeeMode: 1
; LDSByteSize: 0 bytes/workgroup (compile time only)
; SGPRBlocks: 0
; VGPRBlocks: 0
; NumSGPRsForWavesPerEU: 4
; NumVGPRsForWavesPerEU: 1
; AccumOffset: 4
; Occupancy: 8
; WaveLimiterHint : 0
; COMPUTE_PGM_RSRC2:SCRATCH_EN: 0
; COMPUTE_PGM_RSRC2:USER_SGPR: 6
; COMPUTE_PGM_RSRC2:TRAP_HANDLER: 0
; COMPUTE_PGM_RSRC2:TGID_X_EN: 1
; COMPUTE_PGM_RSRC2:TGID_Y_EN: 0
; COMPUTE_PGM_RSRC2:TGID_Z_EN: 0
; COMPUTE_PGM_RSRC2:TIDIG_COMP_CNT: 0
; COMPUTE_PGM_RSRC3_GFX90A:ACCUM_OFFSET: 0
; COMPUTE_PGM_RSRC3_GFX90A:TG_SPLIT: 0
	.section	.text._ZN7rocprim17ROCPRIM_400000_NS6detail17trampoline_kernelINS0_14default_configENS1_20scan_config_selectorIiEEZZNS1_9scan_implILNS1_25lookback_scan_determinismE0ELb1ELb1ES3_N6thrust23THRUST_200600_302600_NS6detail15normal_iteratorINS9_10device_ptrIiEEEENS9_16discard_iteratorINS9_11use_defaultEEEiNS9_4plusIvEEiEEDaPvRmT3_T4_T5_mT6_P12ihipStream_tbENKUlT_T0_E_clISt17integral_constantIbLb0EESX_EEDaSS_ST_EUlSS_E0_NS1_11comp_targetILNS1_3genE8ELNS1_11target_archE1030ELNS1_3gpuE2ELNS1_3repE0EEENS1_30default_config_static_selectorELNS0_4arch9wavefront6targetE1EEEvT1_,"axG",@progbits,_ZN7rocprim17ROCPRIM_400000_NS6detail17trampoline_kernelINS0_14default_configENS1_20scan_config_selectorIiEEZZNS1_9scan_implILNS1_25lookback_scan_determinismE0ELb1ELb1ES3_N6thrust23THRUST_200600_302600_NS6detail15normal_iteratorINS9_10device_ptrIiEEEENS9_16discard_iteratorINS9_11use_defaultEEEiNS9_4plusIvEEiEEDaPvRmT3_T4_T5_mT6_P12ihipStream_tbENKUlT_T0_E_clISt17integral_constantIbLb0EESX_EEDaSS_ST_EUlSS_E0_NS1_11comp_targetILNS1_3genE8ELNS1_11target_archE1030ELNS1_3gpuE2ELNS1_3repE0EEENS1_30default_config_static_selectorELNS0_4arch9wavefront6targetE1EEEvT1_,comdat
	.protected	_ZN7rocprim17ROCPRIM_400000_NS6detail17trampoline_kernelINS0_14default_configENS1_20scan_config_selectorIiEEZZNS1_9scan_implILNS1_25lookback_scan_determinismE0ELb1ELb1ES3_N6thrust23THRUST_200600_302600_NS6detail15normal_iteratorINS9_10device_ptrIiEEEENS9_16discard_iteratorINS9_11use_defaultEEEiNS9_4plusIvEEiEEDaPvRmT3_T4_T5_mT6_P12ihipStream_tbENKUlT_T0_E_clISt17integral_constantIbLb0EESX_EEDaSS_ST_EUlSS_E0_NS1_11comp_targetILNS1_3genE8ELNS1_11target_archE1030ELNS1_3gpuE2ELNS1_3repE0EEENS1_30default_config_static_selectorELNS0_4arch9wavefront6targetE1EEEvT1_ ; -- Begin function _ZN7rocprim17ROCPRIM_400000_NS6detail17trampoline_kernelINS0_14default_configENS1_20scan_config_selectorIiEEZZNS1_9scan_implILNS1_25lookback_scan_determinismE0ELb1ELb1ES3_N6thrust23THRUST_200600_302600_NS6detail15normal_iteratorINS9_10device_ptrIiEEEENS9_16discard_iteratorINS9_11use_defaultEEEiNS9_4plusIvEEiEEDaPvRmT3_T4_T5_mT6_P12ihipStream_tbENKUlT_T0_E_clISt17integral_constantIbLb0EESX_EEDaSS_ST_EUlSS_E0_NS1_11comp_targetILNS1_3genE8ELNS1_11target_archE1030ELNS1_3gpuE2ELNS1_3repE0EEENS1_30default_config_static_selectorELNS0_4arch9wavefront6targetE1EEEvT1_
	.globl	_ZN7rocprim17ROCPRIM_400000_NS6detail17trampoline_kernelINS0_14default_configENS1_20scan_config_selectorIiEEZZNS1_9scan_implILNS1_25lookback_scan_determinismE0ELb1ELb1ES3_N6thrust23THRUST_200600_302600_NS6detail15normal_iteratorINS9_10device_ptrIiEEEENS9_16discard_iteratorINS9_11use_defaultEEEiNS9_4plusIvEEiEEDaPvRmT3_T4_T5_mT6_P12ihipStream_tbENKUlT_T0_E_clISt17integral_constantIbLb0EESX_EEDaSS_ST_EUlSS_E0_NS1_11comp_targetILNS1_3genE8ELNS1_11target_archE1030ELNS1_3gpuE2ELNS1_3repE0EEENS1_30default_config_static_selectorELNS0_4arch9wavefront6targetE1EEEvT1_
	.p2align	8
	.type	_ZN7rocprim17ROCPRIM_400000_NS6detail17trampoline_kernelINS0_14default_configENS1_20scan_config_selectorIiEEZZNS1_9scan_implILNS1_25lookback_scan_determinismE0ELb1ELb1ES3_N6thrust23THRUST_200600_302600_NS6detail15normal_iteratorINS9_10device_ptrIiEEEENS9_16discard_iteratorINS9_11use_defaultEEEiNS9_4plusIvEEiEEDaPvRmT3_T4_T5_mT6_P12ihipStream_tbENKUlT_T0_E_clISt17integral_constantIbLb0EESX_EEDaSS_ST_EUlSS_E0_NS1_11comp_targetILNS1_3genE8ELNS1_11target_archE1030ELNS1_3gpuE2ELNS1_3repE0EEENS1_30default_config_static_selectorELNS0_4arch9wavefront6targetE1EEEvT1_,@function
_ZN7rocprim17ROCPRIM_400000_NS6detail17trampoline_kernelINS0_14default_configENS1_20scan_config_selectorIiEEZZNS1_9scan_implILNS1_25lookback_scan_determinismE0ELb1ELb1ES3_N6thrust23THRUST_200600_302600_NS6detail15normal_iteratorINS9_10device_ptrIiEEEENS9_16discard_iteratorINS9_11use_defaultEEEiNS9_4plusIvEEiEEDaPvRmT3_T4_T5_mT6_P12ihipStream_tbENKUlT_T0_E_clISt17integral_constantIbLb0EESX_EEDaSS_ST_EUlSS_E0_NS1_11comp_targetILNS1_3genE8ELNS1_11target_archE1030ELNS1_3gpuE2ELNS1_3repE0EEENS1_30default_config_static_selectorELNS0_4arch9wavefront6targetE1EEEvT1_: ; @_ZN7rocprim17ROCPRIM_400000_NS6detail17trampoline_kernelINS0_14default_configENS1_20scan_config_selectorIiEEZZNS1_9scan_implILNS1_25lookback_scan_determinismE0ELb1ELb1ES3_N6thrust23THRUST_200600_302600_NS6detail15normal_iteratorINS9_10device_ptrIiEEEENS9_16discard_iteratorINS9_11use_defaultEEEiNS9_4plusIvEEiEEDaPvRmT3_T4_T5_mT6_P12ihipStream_tbENKUlT_T0_E_clISt17integral_constantIbLb0EESX_EEDaSS_ST_EUlSS_E0_NS1_11comp_targetILNS1_3genE8ELNS1_11target_archE1030ELNS1_3gpuE2ELNS1_3repE0EEENS1_30default_config_static_selectorELNS0_4arch9wavefront6targetE1EEEvT1_
; %bb.0:
	.section	.rodata,"a",@progbits
	.p2align	6, 0x0
	.amdhsa_kernel _ZN7rocprim17ROCPRIM_400000_NS6detail17trampoline_kernelINS0_14default_configENS1_20scan_config_selectorIiEEZZNS1_9scan_implILNS1_25lookback_scan_determinismE0ELb1ELb1ES3_N6thrust23THRUST_200600_302600_NS6detail15normal_iteratorINS9_10device_ptrIiEEEENS9_16discard_iteratorINS9_11use_defaultEEEiNS9_4plusIvEEiEEDaPvRmT3_T4_T5_mT6_P12ihipStream_tbENKUlT_T0_E_clISt17integral_constantIbLb0EESX_EEDaSS_ST_EUlSS_E0_NS1_11comp_targetILNS1_3genE8ELNS1_11target_archE1030ELNS1_3gpuE2ELNS1_3repE0EEENS1_30default_config_static_selectorELNS0_4arch9wavefront6targetE1EEEvT1_
		.amdhsa_group_segment_fixed_size 0
		.amdhsa_private_segment_fixed_size 0
		.amdhsa_kernarg_size 40
		.amdhsa_user_sgpr_count 6
		.amdhsa_user_sgpr_private_segment_buffer 1
		.amdhsa_user_sgpr_dispatch_ptr 0
		.amdhsa_user_sgpr_queue_ptr 0
		.amdhsa_user_sgpr_kernarg_segment_ptr 1
		.amdhsa_user_sgpr_dispatch_id 0
		.amdhsa_user_sgpr_flat_scratch_init 0
		.amdhsa_user_sgpr_kernarg_preload_length 0
		.amdhsa_user_sgpr_kernarg_preload_offset 0
		.amdhsa_user_sgpr_private_segment_size 0
		.amdhsa_uses_dynamic_stack 0
		.amdhsa_system_sgpr_private_segment_wavefront_offset 0
		.amdhsa_system_sgpr_workgroup_id_x 1
		.amdhsa_system_sgpr_workgroup_id_y 0
		.amdhsa_system_sgpr_workgroup_id_z 0
		.amdhsa_system_sgpr_workgroup_info 0
		.amdhsa_system_vgpr_workitem_id 0
		.amdhsa_next_free_vgpr 1
		.amdhsa_next_free_sgpr 0
		.amdhsa_accum_offset 4
		.amdhsa_reserve_vcc 0
		.amdhsa_reserve_flat_scratch 0
		.amdhsa_float_round_mode_32 0
		.amdhsa_float_round_mode_16_64 0
		.amdhsa_float_denorm_mode_32 3
		.amdhsa_float_denorm_mode_16_64 3
		.amdhsa_dx10_clamp 1
		.amdhsa_ieee_mode 1
		.amdhsa_fp16_overflow 0
		.amdhsa_tg_split 0
		.amdhsa_exception_fp_ieee_invalid_op 0
		.amdhsa_exception_fp_denorm_src 0
		.amdhsa_exception_fp_ieee_div_zero 0
		.amdhsa_exception_fp_ieee_overflow 0
		.amdhsa_exception_fp_ieee_underflow 0
		.amdhsa_exception_fp_ieee_inexact 0
		.amdhsa_exception_int_div_zero 0
	.end_amdhsa_kernel
	.section	.text._ZN7rocprim17ROCPRIM_400000_NS6detail17trampoline_kernelINS0_14default_configENS1_20scan_config_selectorIiEEZZNS1_9scan_implILNS1_25lookback_scan_determinismE0ELb1ELb1ES3_N6thrust23THRUST_200600_302600_NS6detail15normal_iteratorINS9_10device_ptrIiEEEENS9_16discard_iteratorINS9_11use_defaultEEEiNS9_4plusIvEEiEEDaPvRmT3_T4_T5_mT6_P12ihipStream_tbENKUlT_T0_E_clISt17integral_constantIbLb0EESX_EEDaSS_ST_EUlSS_E0_NS1_11comp_targetILNS1_3genE8ELNS1_11target_archE1030ELNS1_3gpuE2ELNS1_3repE0EEENS1_30default_config_static_selectorELNS0_4arch9wavefront6targetE1EEEvT1_,"axG",@progbits,_ZN7rocprim17ROCPRIM_400000_NS6detail17trampoline_kernelINS0_14default_configENS1_20scan_config_selectorIiEEZZNS1_9scan_implILNS1_25lookback_scan_determinismE0ELb1ELb1ES3_N6thrust23THRUST_200600_302600_NS6detail15normal_iteratorINS9_10device_ptrIiEEEENS9_16discard_iteratorINS9_11use_defaultEEEiNS9_4plusIvEEiEEDaPvRmT3_T4_T5_mT6_P12ihipStream_tbENKUlT_T0_E_clISt17integral_constantIbLb0EESX_EEDaSS_ST_EUlSS_E0_NS1_11comp_targetILNS1_3genE8ELNS1_11target_archE1030ELNS1_3gpuE2ELNS1_3repE0EEENS1_30default_config_static_selectorELNS0_4arch9wavefront6targetE1EEEvT1_,comdat
.Lfunc_end5815:
	.size	_ZN7rocprim17ROCPRIM_400000_NS6detail17trampoline_kernelINS0_14default_configENS1_20scan_config_selectorIiEEZZNS1_9scan_implILNS1_25lookback_scan_determinismE0ELb1ELb1ES3_N6thrust23THRUST_200600_302600_NS6detail15normal_iteratorINS9_10device_ptrIiEEEENS9_16discard_iteratorINS9_11use_defaultEEEiNS9_4plusIvEEiEEDaPvRmT3_T4_T5_mT6_P12ihipStream_tbENKUlT_T0_E_clISt17integral_constantIbLb0EESX_EEDaSS_ST_EUlSS_E0_NS1_11comp_targetILNS1_3genE8ELNS1_11target_archE1030ELNS1_3gpuE2ELNS1_3repE0EEENS1_30default_config_static_selectorELNS0_4arch9wavefront6targetE1EEEvT1_, .Lfunc_end5815-_ZN7rocprim17ROCPRIM_400000_NS6detail17trampoline_kernelINS0_14default_configENS1_20scan_config_selectorIiEEZZNS1_9scan_implILNS1_25lookback_scan_determinismE0ELb1ELb1ES3_N6thrust23THRUST_200600_302600_NS6detail15normal_iteratorINS9_10device_ptrIiEEEENS9_16discard_iteratorINS9_11use_defaultEEEiNS9_4plusIvEEiEEDaPvRmT3_T4_T5_mT6_P12ihipStream_tbENKUlT_T0_E_clISt17integral_constantIbLb0EESX_EEDaSS_ST_EUlSS_E0_NS1_11comp_targetILNS1_3genE8ELNS1_11target_archE1030ELNS1_3gpuE2ELNS1_3repE0EEENS1_30default_config_static_selectorELNS0_4arch9wavefront6targetE1EEEvT1_
                                        ; -- End function
	.section	.AMDGPU.csdata,"",@progbits
; Kernel info:
; codeLenInByte = 0
; NumSgprs: 4
; NumVgprs: 0
; NumAgprs: 0
; TotalNumVgprs: 0
; ScratchSize: 0
; MemoryBound: 0
; FloatMode: 240
; IeeeMode: 1
; LDSByteSize: 0 bytes/workgroup (compile time only)
; SGPRBlocks: 0
; VGPRBlocks: 0
; NumSGPRsForWavesPerEU: 4
; NumVGPRsForWavesPerEU: 1
; AccumOffset: 4
; Occupancy: 8
; WaveLimiterHint : 0
; COMPUTE_PGM_RSRC2:SCRATCH_EN: 0
; COMPUTE_PGM_RSRC2:USER_SGPR: 6
; COMPUTE_PGM_RSRC2:TRAP_HANDLER: 0
; COMPUTE_PGM_RSRC2:TGID_X_EN: 1
; COMPUTE_PGM_RSRC2:TGID_Y_EN: 0
; COMPUTE_PGM_RSRC2:TGID_Z_EN: 0
; COMPUTE_PGM_RSRC2:TIDIG_COMP_CNT: 0
; COMPUTE_PGM_RSRC3_GFX90A:ACCUM_OFFSET: 0
; COMPUTE_PGM_RSRC3_GFX90A:TG_SPLIT: 0
	.section	.text._ZN7rocprim17ROCPRIM_400000_NS6detail17trampoline_kernelINS0_14default_configENS1_20scan_config_selectorIiEEZZNS1_9scan_implILNS1_25lookback_scan_determinismE0ELb1ELb1ES3_N6thrust23THRUST_200600_302600_NS6detail15normal_iteratorINS9_10device_ptrIiEEEENS9_16discard_iteratorINS9_11use_defaultEEEiNS9_4plusIvEEiEEDaPvRmT3_T4_T5_mT6_P12ihipStream_tbENKUlT_T0_E_clISt17integral_constantIbLb1EESX_EEDaSS_ST_EUlSS_E_NS1_11comp_targetILNS1_3genE0ELNS1_11target_archE4294967295ELNS1_3gpuE0ELNS1_3repE0EEENS1_30default_config_static_selectorELNS0_4arch9wavefront6targetE1EEEvT1_,"axG",@progbits,_ZN7rocprim17ROCPRIM_400000_NS6detail17trampoline_kernelINS0_14default_configENS1_20scan_config_selectorIiEEZZNS1_9scan_implILNS1_25lookback_scan_determinismE0ELb1ELb1ES3_N6thrust23THRUST_200600_302600_NS6detail15normal_iteratorINS9_10device_ptrIiEEEENS9_16discard_iteratorINS9_11use_defaultEEEiNS9_4plusIvEEiEEDaPvRmT3_T4_T5_mT6_P12ihipStream_tbENKUlT_T0_E_clISt17integral_constantIbLb1EESX_EEDaSS_ST_EUlSS_E_NS1_11comp_targetILNS1_3genE0ELNS1_11target_archE4294967295ELNS1_3gpuE0ELNS1_3repE0EEENS1_30default_config_static_selectorELNS0_4arch9wavefront6targetE1EEEvT1_,comdat
	.protected	_ZN7rocprim17ROCPRIM_400000_NS6detail17trampoline_kernelINS0_14default_configENS1_20scan_config_selectorIiEEZZNS1_9scan_implILNS1_25lookback_scan_determinismE0ELb1ELb1ES3_N6thrust23THRUST_200600_302600_NS6detail15normal_iteratorINS9_10device_ptrIiEEEENS9_16discard_iteratorINS9_11use_defaultEEEiNS9_4plusIvEEiEEDaPvRmT3_T4_T5_mT6_P12ihipStream_tbENKUlT_T0_E_clISt17integral_constantIbLb1EESX_EEDaSS_ST_EUlSS_E_NS1_11comp_targetILNS1_3genE0ELNS1_11target_archE4294967295ELNS1_3gpuE0ELNS1_3repE0EEENS1_30default_config_static_selectorELNS0_4arch9wavefront6targetE1EEEvT1_ ; -- Begin function _ZN7rocprim17ROCPRIM_400000_NS6detail17trampoline_kernelINS0_14default_configENS1_20scan_config_selectorIiEEZZNS1_9scan_implILNS1_25lookback_scan_determinismE0ELb1ELb1ES3_N6thrust23THRUST_200600_302600_NS6detail15normal_iteratorINS9_10device_ptrIiEEEENS9_16discard_iteratorINS9_11use_defaultEEEiNS9_4plusIvEEiEEDaPvRmT3_T4_T5_mT6_P12ihipStream_tbENKUlT_T0_E_clISt17integral_constantIbLb1EESX_EEDaSS_ST_EUlSS_E_NS1_11comp_targetILNS1_3genE0ELNS1_11target_archE4294967295ELNS1_3gpuE0ELNS1_3repE0EEENS1_30default_config_static_selectorELNS0_4arch9wavefront6targetE1EEEvT1_
	.globl	_ZN7rocprim17ROCPRIM_400000_NS6detail17trampoline_kernelINS0_14default_configENS1_20scan_config_selectorIiEEZZNS1_9scan_implILNS1_25lookback_scan_determinismE0ELb1ELb1ES3_N6thrust23THRUST_200600_302600_NS6detail15normal_iteratorINS9_10device_ptrIiEEEENS9_16discard_iteratorINS9_11use_defaultEEEiNS9_4plusIvEEiEEDaPvRmT3_T4_T5_mT6_P12ihipStream_tbENKUlT_T0_E_clISt17integral_constantIbLb1EESX_EEDaSS_ST_EUlSS_E_NS1_11comp_targetILNS1_3genE0ELNS1_11target_archE4294967295ELNS1_3gpuE0ELNS1_3repE0EEENS1_30default_config_static_selectorELNS0_4arch9wavefront6targetE1EEEvT1_
	.p2align	8
	.type	_ZN7rocprim17ROCPRIM_400000_NS6detail17trampoline_kernelINS0_14default_configENS1_20scan_config_selectorIiEEZZNS1_9scan_implILNS1_25lookback_scan_determinismE0ELb1ELb1ES3_N6thrust23THRUST_200600_302600_NS6detail15normal_iteratorINS9_10device_ptrIiEEEENS9_16discard_iteratorINS9_11use_defaultEEEiNS9_4plusIvEEiEEDaPvRmT3_T4_T5_mT6_P12ihipStream_tbENKUlT_T0_E_clISt17integral_constantIbLb1EESX_EEDaSS_ST_EUlSS_E_NS1_11comp_targetILNS1_3genE0ELNS1_11target_archE4294967295ELNS1_3gpuE0ELNS1_3repE0EEENS1_30default_config_static_selectorELNS0_4arch9wavefront6targetE1EEEvT1_,@function
_ZN7rocprim17ROCPRIM_400000_NS6detail17trampoline_kernelINS0_14default_configENS1_20scan_config_selectorIiEEZZNS1_9scan_implILNS1_25lookback_scan_determinismE0ELb1ELb1ES3_N6thrust23THRUST_200600_302600_NS6detail15normal_iteratorINS9_10device_ptrIiEEEENS9_16discard_iteratorINS9_11use_defaultEEEiNS9_4plusIvEEiEEDaPvRmT3_T4_T5_mT6_P12ihipStream_tbENKUlT_T0_E_clISt17integral_constantIbLb1EESX_EEDaSS_ST_EUlSS_E_NS1_11comp_targetILNS1_3genE0ELNS1_11target_archE4294967295ELNS1_3gpuE0ELNS1_3repE0EEENS1_30default_config_static_selectorELNS0_4arch9wavefront6targetE1EEEvT1_: ; @_ZN7rocprim17ROCPRIM_400000_NS6detail17trampoline_kernelINS0_14default_configENS1_20scan_config_selectorIiEEZZNS1_9scan_implILNS1_25lookback_scan_determinismE0ELb1ELb1ES3_N6thrust23THRUST_200600_302600_NS6detail15normal_iteratorINS9_10device_ptrIiEEEENS9_16discard_iteratorINS9_11use_defaultEEEiNS9_4plusIvEEiEEDaPvRmT3_T4_T5_mT6_P12ihipStream_tbENKUlT_T0_E_clISt17integral_constantIbLb1EESX_EEDaSS_ST_EUlSS_E_NS1_11comp_targetILNS1_3genE0ELNS1_11target_archE4294967295ELNS1_3gpuE0ELNS1_3repE0EEENS1_30default_config_static_selectorELNS0_4arch9wavefront6targetE1EEEvT1_
; %bb.0:
	.section	.rodata,"a",@progbits
	.p2align	6, 0x0
	.amdhsa_kernel _ZN7rocprim17ROCPRIM_400000_NS6detail17trampoline_kernelINS0_14default_configENS1_20scan_config_selectorIiEEZZNS1_9scan_implILNS1_25lookback_scan_determinismE0ELb1ELb1ES3_N6thrust23THRUST_200600_302600_NS6detail15normal_iteratorINS9_10device_ptrIiEEEENS9_16discard_iteratorINS9_11use_defaultEEEiNS9_4plusIvEEiEEDaPvRmT3_T4_T5_mT6_P12ihipStream_tbENKUlT_T0_E_clISt17integral_constantIbLb1EESX_EEDaSS_ST_EUlSS_E_NS1_11comp_targetILNS1_3genE0ELNS1_11target_archE4294967295ELNS1_3gpuE0ELNS1_3repE0EEENS1_30default_config_static_selectorELNS0_4arch9wavefront6targetE1EEEvT1_
		.amdhsa_group_segment_fixed_size 0
		.amdhsa_private_segment_fixed_size 0
		.amdhsa_kernarg_size 104
		.amdhsa_user_sgpr_count 6
		.amdhsa_user_sgpr_private_segment_buffer 1
		.amdhsa_user_sgpr_dispatch_ptr 0
		.amdhsa_user_sgpr_queue_ptr 0
		.amdhsa_user_sgpr_kernarg_segment_ptr 1
		.amdhsa_user_sgpr_dispatch_id 0
		.amdhsa_user_sgpr_flat_scratch_init 0
		.amdhsa_user_sgpr_kernarg_preload_length 0
		.amdhsa_user_sgpr_kernarg_preload_offset 0
		.amdhsa_user_sgpr_private_segment_size 0
		.amdhsa_uses_dynamic_stack 0
		.amdhsa_system_sgpr_private_segment_wavefront_offset 0
		.amdhsa_system_sgpr_workgroup_id_x 1
		.amdhsa_system_sgpr_workgroup_id_y 0
		.amdhsa_system_sgpr_workgroup_id_z 0
		.amdhsa_system_sgpr_workgroup_info 0
		.amdhsa_system_vgpr_workitem_id 0
		.amdhsa_next_free_vgpr 1
		.amdhsa_next_free_sgpr 0
		.amdhsa_accum_offset 4
		.amdhsa_reserve_vcc 0
		.amdhsa_reserve_flat_scratch 0
		.amdhsa_float_round_mode_32 0
		.amdhsa_float_round_mode_16_64 0
		.amdhsa_float_denorm_mode_32 3
		.amdhsa_float_denorm_mode_16_64 3
		.amdhsa_dx10_clamp 1
		.amdhsa_ieee_mode 1
		.amdhsa_fp16_overflow 0
		.amdhsa_tg_split 0
		.amdhsa_exception_fp_ieee_invalid_op 0
		.amdhsa_exception_fp_denorm_src 0
		.amdhsa_exception_fp_ieee_div_zero 0
		.amdhsa_exception_fp_ieee_overflow 0
		.amdhsa_exception_fp_ieee_underflow 0
		.amdhsa_exception_fp_ieee_inexact 0
		.amdhsa_exception_int_div_zero 0
	.end_amdhsa_kernel
	.section	.text._ZN7rocprim17ROCPRIM_400000_NS6detail17trampoline_kernelINS0_14default_configENS1_20scan_config_selectorIiEEZZNS1_9scan_implILNS1_25lookback_scan_determinismE0ELb1ELb1ES3_N6thrust23THRUST_200600_302600_NS6detail15normal_iteratorINS9_10device_ptrIiEEEENS9_16discard_iteratorINS9_11use_defaultEEEiNS9_4plusIvEEiEEDaPvRmT3_T4_T5_mT6_P12ihipStream_tbENKUlT_T0_E_clISt17integral_constantIbLb1EESX_EEDaSS_ST_EUlSS_E_NS1_11comp_targetILNS1_3genE0ELNS1_11target_archE4294967295ELNS1_3gpuE0ELNS1_3repE0EEENS1_30default_config_static_selectorELNS0_4arch9wavefront6targetE1EEEvT1_,"axG",@progbits,_ZN7rocprim17ROCPRIM_400000_NS6detail17trampoline_kernelINS0_14default_configENS1_20scan_config_selectorIiEEZZNS1_9scan_implILNS1_25lookback_scan_determinismE0ELb1ELb1ES3_N6thrust23THRUST_200600_302600_NS6detail15normal_iteratorINS9_10device_ptrIiEEEENS9_16discard_iteratorINS9_11use_defaultEEEiNS9_4plusIvEEiEEDaPvRmT3_T4_T5_mT6_P12ihipStream_tbENKUlT_T0_E_clISt17integral_constantIbLb1EESX_EEDaSS_ST_EUlSS_E_NS1_11comp_targetILNS1_3genE0ELNS1_11target_archE4294967295ELNS1_3gpuE0ELNS1_3repE0EEENS1_30default_config_static_selectorELNS0_4arch9wavefront6targetE1EEEvT1_,comdat
.Lfunc_end5816:
	.size	_ZN7rocprim17ROCPRIM_400000_NS6detail17trampoline_kernelINS0_14default_configENS1_20scan_config_selectorIiEEZZNS1_9scan_implILNS1_25lookback_scan_determinismE0ELb1ELb1ES3_N6thrust23THRUST_200600_302600_NS6detail15normal_iteratorINS9_10device_ptrIiEEEENS9_16discard_iteratorINS9_11use_defaultEEEiNS9_4plusIvEEiEEDaPvRmT3_T4_T5_mT6_P12ihipStream_tbENKUlT_T0_E_clISt17integral_constantIbLb1EESX_EEDaSS_ST_EUlSS_E_NS1_11comp_targetILNS1_3genE0ELNS1_11target_archE4294967295ELNS1_3gpuE0ELNS1_3repE0EEENS1_30default_config_static_selectorELNS0_4arch9wavefront6targetE1EEEvT1_, .Lfunc_end5816-_ZN7rocprim17ROCPRIM_400000_NS6detail17trampoline_kernelINS0_14default_configENS1_20scan_config_selectorIiEEZZNS1_9scan_implILNS1_25lookback_scan_determinismE0ELb1ELb1ES3_N6thrust23THRUST_200600_302600_NS6detail15normal_iteratorINS9_10device_ptrIiEEEENS9_16discard_iteratorINS9_11use_defaultEEEiNS9_4plusIvEEiEEDaPvRmT3_T4_T5_mT6_P12ihipStream_tbENKUlT_T0_E_clISt17integral_constantIbLb1EESX_EEDaSS_ST_EUlSS_E_NS1_11comp_targetILNS1_3genE0ELNS1_11target_archE4294967295ELNS1_3gpuE0ELNS1_3repE0EEENS1_30default_config_static_selectorELNS0_4arch9wavefront6targetE1EEEvT1_
                                        ; -- End function
	.section	.AMDGPU.csdata,"",@progbits
; Kernel info:
; codeLenInByte = 0
; NumSgprs: 4
; NumVgprs: 0
; NumAgprs: 0
; TotalNumVgprs: 0
; ScratchSize: 0
; MemoryBound: 0
; FloatMode: 240
; IeeeMode: 1
; LDSByteSize: 0 bytes/workgroup (compile time only)
; SGPRBlocks: 0
; VGPRBlocks: 0
; NumSGPRsForWavesPerEU: 4
; NumVGPRsForWavesPerEU: 1
; AccumOffset: 4
; Occupancy: 8
; WaveLimiterHint : 0
; COMPUTE_PGM_RSRC2:SCRATCH_EN: 0
; COMPUTE_PGM_RSRC2:USER_SGPR: 6
; COMPUTE_PGM_RSRC2:TRAP_HANDLER: 0
; COMPUTE_PGM_RSRC2:TGID_X_EN: 1
; COMPUTE_PGM_RSRC2:TGID_Y_EN: 0
; COMPUTE_PGM_RSRC2:TGID_Z_EN: 0
; COMPUTE_PGM_RSRC2:TIDIG_COMP_CNT: 0
; COMPUTE_PGM_RSRC3_GFX90A:ACCUM_OFFSET: 0
; COMPUTE_PGM_RSRC3_GFX90A:TG_SPLIT: 0
	.section	.text._ZN7rocprim17ROCPRIM_400000_NS6detail17trampoline_kernelINS0_14default_configENS1_20scan_config_selectorIiEEZZNS1_9scan_implILNS1_25lookback_scan_determinismE0ELb1ELb1ES3_N6thrust23THRUST_200600_302600_NS6detail15normal_iteratorINS9_10device_ptrIiEEEENS9_16discard_iteratorINS9_11use_defaultEEEiNS9_4plusIvEEiEEDaPvRmT3_T4_T5_mT6_P12ihipStream_tbENKUlT_T0_E_clISt17integral_constantIbLb1EESX_EEDaSS_ST_EUlSS_E_NS1_11comp_targetILNS1_3genE5ELNS1_11target_archE942ELNS1_3gpuE9ELNS1_3repE0EEENS1_30default_config_static_selectorELNS0_4arch9wavefront6targetE1EEEvT1_,"axG",@progbits,_ZN7rocprim17ROCPRIM_400000_NS6detail17trampoline_kernelINS0_14default_configENS1_20scan_config_selectorIiEEZZNS1_9scan_implILNS1_25lookback_scan_determinismE0ELb1ELb1ES3_N6thrust23THRUST_200600_302600_NS6detail15normal_iteratorINS9_10device_ptrIiEEEENS9_16discard_iteratorINS9_11use_defaultEEEiNS9_4plusIvEEiEEDaPvRmT3_T4_T5_mT6_P12ihipStream_tbENKUlT_T0_E_clISt17integral_constantIbLb1EESX_EEDaSS_ST_EUlSS_E_NS1_11comp_targetILNS1_3genE5ELNS1_11target_archE942ELNS1_3gpuE9ELNS1_3repE0EEENS1_30default_config_static_selectorELNS0_4arch9wavefront6targetE1EEEvT1_,comdat
	.protected	_ZN7rocprim17ROCPRIM_400000_NS6detail17trampoline_kernelINS0_14default_configENS1_20scan_config_selectorIiEEZZNS1_9scan_implILNS1_25lookback_scan_determinismE0ELb1ELb1ES3_N6thrust23THRUST_200600_302600_NS6detail15normal_iteratorINS9_10device_ptrIiEEEENS9_16discard_iteratorINS9_11use_defaultEEEiNS9_4plusIvEEiEEDaPvRmT3_T4_T5_mT6_P12ihipStream_tbENKUlT_T0_E_clISt17integral_constantIbLb1EESX_EEDaSS_ST_EUlSS_E_NS1_11comp_targetILNS1_3genE5ELNS1_11target_archE942ELNS1_3gpuE9ELNS1_3repE0EEENS1_30default_config_static_selectorELNS0_4arch9wavefront6targetE1EEEvT1_ ; -- Begin function _ZN7rocprim17ROCPRIM_400000_NS6detail17trampoline_kernelINS0_14default_configENS1_20scan_config_selectorIiEEZZNS1_9scan_implILNS1_25lookback_scan_determinismE0ELb1ELb1ES3_N6thrust23THRUST_200600_302600_NS6detail15normal_iteratorINS9_10device_ptrIiEEEENS9_16discard_iteratorINS9_11use_defaultEEEiNS9_4plusIvEEiEEDaPvRmT3_T4_T5_mT6_P12ihipStream_tbENKUlT_T0_E_clISt17integral_constantIbLb1EESX_EEDaSS_ST_EUlSS_E_NS1_11comp_targetILNS1_3genE5ELNS1_11target_archE942ELNS1_3gpuE9ELNS1_3repE0EEENS1_30default_config_static_selectorELNS0_4arch9wavefront6targetE1EEEvT1_
	.globl	_ZN7rocprim17ROCPRIM_400000_NS6detail17trampoline_kernelINS0_14default_configENS1_20scan_config_selectorIiEEZZNS1_9scan_implILNS1_25lookback_scan_determinismE0ELb1ELb1ES3_N6thrust23THRUST_200600_302600_NS6detail15normal_iteratorINS9_10device_ptrIiEEEENS9_16discard_iteratorINS9_11use_defaultEEEiNS9_4plusIvEEiEEDaPvRmT3_T4_T5_mT6_P12ihipStream_tbENKUlT_T0_E_clISt17integral_constantIbLb1EESX_EEDaSS_ST_EUlSS_E_NS1_11comp_targetILNS1_3genE5ELNS1_11target_archE942ELNS1_3gpuE9ELNS1_3repE0EEENS1_30default_config_static_selectorELNS0_4arch9wavefront6targetE1EEEvT1_
	.p2align	8
	.type	_ZN7rocprim17ROCPRIM_400000_NS6detail17trampoline_kernelINS0_14default_configENS1_20scan_config_selectorIiEEZZNS1_9scan_implILNS1_25lookback_scan_determinismE0ELb1ELb1ES3_N6thrust23THRUST_200600_302600_NS6detail15normal_iteratorINS9_10device_ptrIiEEEENS9_16discard_iteratorINS9_11use_defaultEEEiNS9_4plusIvEEiEEDaPvRmT3_T4_T5_mT6_P12ihipStream_tbENKUlT_T0_E_clISt17integral_constantIbLb1EESX_EEDaSS_ST_EUlSS_E_NS1_11comp_targetILNS1_3genE5ELNS1_11target_archE942ELNS1_3gpuE9ELNS1_3repE0EEENS1_30default_config_static_selectorELNS0_4arch9wavefront6targetE1EEEvT1_,@function
_ZN7rocprim17ROCPRIM_400000_NS6detail17trampoline_kernelINS0_14default_configENS1_20scan_config_selectorIiEEZZNS1_9scan_implILNS1_25lookback_scan_determinismE0ELb1ELb1ES3_N6thrust23THRUST_200600_302600_NS6detail15normal_iteratorINS9_10device_ptrIiEEEENS9_16discard_iteratorINS9_11use_defaultEEEiNS9_4plusIvEEiEEDaPvRmT3_T4_T5_mT6_P12ihipStream_tbENKUlT_T0_E_clISt17integral_constantIbLb1EESX_EEDaSS_ST_EUlSS_E_NS1_11comp_targetILNS1_3genE5ELNS1_11target_archE942ELNS1_3gpuE9ELNS1_3repE0EEENS1_30default_config_static_selectorELNS0_4arch9wavefront6targetE1EEEvT1_: ; @_ZN7rocprim17ROCPRIM_400000_NS6detail17trampoline_kernelINS0_14default_configENS1_20scan_config_selectorIiEEZZNS1_9scan_implILNS1_25lookback_scan_determinismE0ELb1ELb1ES3_N6thrust23THRUST_200600_302600_NS6detail15normal_iteratorINS9_10device_ptrIiEEEENS9_16discard_iteratorINS9_11use_defaultEEEiNS9_4plusIvEEiEEDaPvRmT3_T4_T5_mT6_P12ihipStream_tbENKUlT_T0_E_clISt17integral_constantIbLb1EESX_EEDaSS_ST_EUlSS_E_NS1_11comp_targetILNS1_3genE5ELNS1_11target_archE942ELNS1_3gpuE9ELNS1_3repE0EEENS1_30default_config_static_selectorELNS0_4arch9wavefront6targetE1EEEvT1_
; %bb.0:
	.section	.rodata,"a",@progbits
	.p2align	6, 0x0
	.amdhsa_kernel _ZN7rocprim17ROCPRIM_400000_NS6detail17trampoline_kernelINS0_14default_configENS1_20scan_config_selectorIiEEZZNS1_9scan_implILNS1_25lookback_scan_determinismE0ELb1ELb1ES3_N6thrust23THRUST_200600_302600_NS6detail15normal_iteratorINS9_10device_ptrIiEEEENS9_16discard_iteratorINS9_11use_defaultEEEiNS9_4plusIvEEiEEDaPvRmT3_T4_T5_mT6_P12ihipStream_tbENKUlT_T0_E_clISt17integral_constantIbLb1EESX_EEDaSS_ST_EUlSS_E_NS1_11comp_targetILNS1_3genE5ELNS1_11target_archE942ELNS1_3gpuE9ELNS1_3repE0EEENS1_30default_config_static_selectorELNS0_4arch9wavefront6targetE1EEEvT1_
		.amdhsa_group_segment_fixed_size 0
		.amdhsa_private_segment_fixed_size 0
		.amdhsa_kernarg_size 104
		.amdhsa_user_sgpr_count 6
		.amdhsa_user_sgpr_private_segment_buffer 1
		.amdhsa_user_sgpr_dispatch_ptr 0
		.amdhsa_user_sgpr_queue_ptr 0
		.amdhsa_user_sgpr_kernarg_segment_ptr 1
		.amdhsa_user_sgpr_dispatch_id 0
		.amdhsa_user_sgpr_flat_scratch_init 0
		.amdhsa_user_sgpr_kernarg_preload_length 0
		.amdhsa_user_sgpr_kernarg_preload_offset 0
		.amdhsa_user_sgpr_private_segment_size 0
		.amdhsa_uses_dynamic_stack 0
		.amdhsa_system_sgpr_private_segment_wavefront_offset 0
		.amdhsa_system_sgpr_workgroup_id_x 1
		.amdhsa_system_sgpr_workgroup_id_y 0
		.amdhsa_system_sgpr_workgroup_id_z 0
		.amdhsa_system_sgpr_workgroup_info 0
		.amdhsa_system_vgpr_workitem_id 0
		.amdhsa_next_free_vgpr 1
		.amdhsa_next_free_sgpr 0
		.amdhsa_accum_offset 4
		.amdhsa_reserve_vcc 0
		.amdhsa_reserve_flat_scratch 0
		.amdhsa_float_round_mode_32 0
		.amdhsa_float_round_mode_16_64 0
		.amdhsa_float_denorm_mode_32 3
		.amdhsa_float_denorm_mode_16_64 3
		.amdhsa_dx10_clamp 1
		.amdhsa_ieee_mode 1
		.amdhsa_fp16_overflow 0
		.amdhsa_tg_split 0
		.amdhsa_exception_fp_ieee_invalid_op 0
		.amdhsa_exception_fp_denorm_src 0
		.amdhsa_exception_fp_ieee_div_zero 0
		.amdhsa_exception_fp_ieee_overflow 0
		.amdhsa_exception_fp_ieee_underflow 0
		.amdhsa_exception_fp_ieee_inexact 0
		.amdhsa_exception_int_div_zero 0
	.end_amdhsa_kernel
	.section	.text._ZN7rocprim17ROCPRIM_400000_NS6detail17trampoline_kernelINS0_14default_configENS1_20scan_config_selectorIiEEZZNS1_9scan_implILNS1_25lookback_scan_determinismE0ELb1ELb1ES3_N6thrust23THRUST_200600_302600_NS6detail15normal_iteratorINS9_10device_ptrIiEEEENS9_16discard_iteratorINS9_11use_defaultEEEiNS9_4plusIvEEiEEDaPvRmT3_T4_T5_mT6_P12ihipStream_tbENKUlT_T0_E_clISt17integral_constantIbLb1EESX_EEDaSS_ST_EUlSS_E_NS1_11comp_targetILNS1_3genE5ELNS1_11target_archE942ELNS1_3gpuE9ELNS1_3repE0EEENS1_30default_config_static_selectorELNS0_4arch9wavefront6targetE1EEEvT1_,"axG",@progbits,_ZN7rocprim17ROCPRIM_400000_NS6detail17trampoline_kernelINS0_14default_configENS1_20scan_config_selectorIiEEZZNS1_9scan_implILNS1_25lookback_scan_determinismE0ELb1ELb1ES3_N6thrust23THRUST_200600_302600_NS6detail15normal_iteratorINS9_10device_ptrIiEEEENS9_16discard_iteratorINS9_11use_defaultEEEiNS9_4plusIvEEiEEDaPvRmT3_T4_T5_mT6_P12ihipStream_tbENKUlT_T0_E_clISt17integral_constantIbLb1EESX_EEDaSS_ST_EUlSS_E_NS1_11comp_targetILNS1_3genE5ELNS1_11target_archE942ELNS1_3gpuE9ELNS1_3repE0EEENS1_30default_config_static_selectorELNS0_4arch9wavefront6targetE1EEEvT1_,comdat
.Lfunc_end5817:
	.size	_ZN7rocprim17ROCPRIM_400000_NS6detail17trampoline_kernelINS0_14default_configENS1_20scan_config_selectorIiEEZZNS1_9scan_implILNS1_25lookback_scan_determinismE0ELb1ELb1ES3_N6thrust23THRUST_200600_302600_NS6detail15normal_iteratorINS9_10device_ptrIiEEEENS9_16discard_iteratorINS9_11use_defaultEEEiNS9_4plusIvEEiEEDaPvRmT3_T4_T5_mT6_P12ihipStream_tbENKUlT_T0_E_clISt17integral_constantIbLb1EESX_EEDaSS_ST_EUlSS_E_NS1_11comp_targetILNS1_3genE5ELNS1_11target_archE942ELNS1_3gpuE9ELNS1_3repE0EEENS1_30default_config_static_selectorELNS0_4arch9wavefront6targetE1EEEvT1_, .Lfunc_end5817-_ZN7rocprim17ROCPRIM_400000_NS6detail17trampoline_kernelINS0_14default_configENS1_20scan_config_selectorIiEEZZNS1_9scan_implILNS1_25lookback_scan_determinismE0ELb1ELb1ES3_N6thrust23THRUST_200600_302600_NS6detail15normal_iteratorINS9_10device_ptrIiEEEENS9_16discard_iteratorINS9_11use_defaultEEEiNS9_4plusIvEEiEEDaPvRmT3_T4_T5_mT6_P12ihipStream_tbENKUlT_T0_E_clISt17integral_constantIbLb1EESX_EEDaSS_ST_EUlSS_E_NS1_11comp_targetILNS1_3genE5ELNS1_11target_archE942ELNS1_3gpuE9ELNS1_3repE0EEENS1_30default_config_static_selectorELNS0_4arch9wavefront6targetE1EEEvT1_
                                        ; -- End function
	.section	.AMDGPU.csdata,"",@progbits
; Kernel info:
; codeLenInByte = 0
; NumSgprs: 4
; NumVgprs: 0
; NumAgprs: 0
; TotalNumVgprs: 0
; ScratchSize: 0
; MemoryBound: 0
; FloatMode: 240
; IeeeMode: 1
; LDSByteSize: 0 bytes/workgroup (compile time only)
; SGPRBlocks: 0
; VGPRBlocks: 0
; NumSGPRsForWavesPerEU: 4
; NumVGPRsForWavesPerEU: 1
; AccumOffset: 4
; Occupancy: 8
; WaveLimiterHint : 0
; COMPUTE_PGM_RSRC2:SCRATCH_EN: 0
; COMPUTE_PGM_RSRC2:USER_SGPR: 6
; COMPUTE_PGM_RSRC2:TRAP_HANDLER: 0
; COMPUTE_PGM_RSRC2:TGID_X_EN: 1
; COMPUTE_PGM_RSRC2:TGID_Y_EN: 0
; COMPUTE_PGM_RSRC2:TGID_Z_EN: 0
; COMPUTE_PGM_RSRC2:TIDIG_COMP_CNT: 0
; COMPUTE_PGM_RSRC3_GFX90A:ACCUM_OFFSET: 0
; COMPUTE_PGM_RSRC3_GFX90A:TG_SPLIT: 0
	.section	.text._ZN7rocprim17ROCPRIM_400000_NS6detail17trampoline_kernelINS0_14default_configENS1_20scan_config_selectorIiEEZZNS1_9scan_implILNS1_25lookback_scan_determinismE0ELb1ELb1ES3_N6thrust23THRUST_200600_302600_NS6detail15normal_iteratorINS9_10device_ptrIiEEEENS9_16discard_iteratorINS9_11use_defaultEEEiNS9_4plusIvEEiEEDaPvRmT3_T4_T5_mT6_P12ihipStream_tbENKUlT_T0_E_clISt17integral_constantIbLb1EESX_EEDaSS_ST_EUlSS_E_NS1_11comp_targetILNS1_3genE4ELNS1_11target_archE910ELNS1_3gpuE8ELNS1_3repE0EEENS1_30default_config_static_selectorELNS0_4arch9wavefront6targetE1EEEvT1_,"axG",@progbits,_ZN7rocprim17ROCPRIM_400000_NS6detail17trampoline_kernelINS0_14default_configENS1_20scan_config_selectorIiEEZZNS1_9scan_implILNS1_25lookback_scan_determinismE0ELb1ELb1ES3_N6thrust23THRUST_200600_302600_NS6detail15normal_iteratorINS9_10device_ptrIiEEEENS9_16discard_iteratorINS9_11use_defaultEEEiNS9_4plusIvEEiEEDaPvRmT3_T4_T5_mT6_P12ihipStream_tbENKUlT_T0_E_clISt17integral_constantIbLb1EESX_EEDaSS_ST_EUlSS_E_NS1_11comp_targetILNS1_3genE4ELNS1_11target_archE910ELNS1_3gpuE8ELNS1_3repE0EEENS1_30default_config_static_selectorELNS0_4arch9wavefront6targetE1EEEvT1_,comdat
	.protected	_ZN7rocprim17ROCPRIM_400000_NS6detail17trampoline_kernelINS0_14default_configENS1_20scan_config_selectorIiEEZZNS1_9scan_implILNS1_25lookback_scan_determinismE0ELb1ELb1ES3_N6thrust23THRUST_200600_302600_NS6detail15normal_iteratorINS9_10device_ptrIiEEEENS9_16discard_iteratorINS9_11use_defaultEEEiNS9_4plusIvEEiEEDaPvRmT3_T4_T5_mT6_P12ihipStream_tbENKUlT_T0_E_clISt17integral_constantIbLb1EESX_EEDaSS_ST_EUlSS_E_NS1_11comp_targetILNS1_3genE4ELNS1_11target_archE910ELNS1_3gpuE8ELNS1_3repE0EEENS1_30default_config_static_selectorELNS0_4arch9wavefront6targetE1EEEvT1_ ; -- Begin function _ZN7rocprim17ROCPRIM_400000_NS6detail17trampoline_kernelINS0_14default_configENS1_20scan_config_selectorIiEEZZNS1_9scan_implILNS1_25lookback_scan_determinismE0ELb1ELb1ES3_N6thrust23THRUST_200600_302600_NS6detail15normal_iteratorINS9_10device_ptrIiEEEENS9_16discard_iteratorINS9_11use_defaultEEEiNS9_4plusIvEEiEEDaPvRmT3_T4_T5_mT6_P12ihipStream_tbENKUlT_T0_E_clISt17integral_constantIbLb1EESX_EEDaSS_ST_EUlSS_E_NS1_11comp_targetILNS1_3genE4ELNS1_11target_archE910ELNS1_3gpuE8ELNS1_3repE0EEENS1_30default_config_static_selectorELNS0_4arch9wavefront6targetE1EEEvT1_
	.globl	_ZN7rocprim17ROCPRIM_400000_NS6detail17trampoline_kernelINS0_14default_configENS1_20scan_config_selectorIiEEZZNS1_9scan_implILNS1_25lookback_scan_determinismE0ELb1ELb1ES3_N6thrust23THRUST_200600_302600_NS6detail15normal_iteratorINS9_10device_ptrIiEEEENS9_16discard_iteratorINS9_11use_defaultEEEiNS9_4plusIvEEiEEDaPvRmT3_T4_T5_mT6_P12ihipStream_tbENKUlT_T0_E_clISt17integral_constantIbLb1EESX_EEDaSS_ST_EUlSS_E_NS1_11comp_targetILNS1_3genE4ELNS1_11target_archE910ELNS1_3gpuE8ELNS1_3repE0EEENS1_30default_config_static_selectorELNS0_4arch9wavefront6targetE1EEEvT1_
	.p2align	8
	.type	_ZN7rocprim17ROCPRIM_400000_NS6detail17trampoline_kernelINS0_14default_configENS1_20scan_config_selectorIiEEZZNS1_9scan_implILNS1_25lookback_scan_determinismE0ELb1ELb1ES3_N6thrust23THRUST_200600_302600_NS6detail15normal_iteratorINS9_10device_ptrIiEEEENS9_16discard_iteratorINS9_11use_defaultEEEiNS9_4plusIvEEiEEDaPvRmT3_T4_T5_mT6_P12ihipStream_tbENKUlT_T0_E_clISt17integral_constantIbLb1EESX_EEDaSS_ST_EUlSS_E_NS1_11comp_targetILNS1_3genE4ELNS1_11target_archE910ELNS1_3gpuE8ELNS1_3repE0EEENS1_30default_config_static_selectorELNS0_4arch9wavefront6targetE1EEEvT1_,@function
_ZN7rocprim17ROCPRIM_400000_NS6detail17trampoline_kernelINS0_14default_configENS1_20scan_config_selectorIiEEZZNS1_9scan_implILNS1_25lookback_scan_determinismE0ELb1ELb1ES3_N6thrust23THRUST_200600_302600_NS6detail15normal_iteratorINS9_10device_ptrIiEEEENS9_16discard_iteratorINS9_11use_defaultEEEiNS9_4plusIvEEiEEDaPvRmT3_T4_T5_mT6_P12ihipStream_tbENKUlT_T0_E_clISt17integral_constantIbLb1EESX_EEDaSS_ST_EUlSS_E_NS1_11comp_targetILNS1_3genE4ELNS1_11target_archE910ELNS1_3gpuE8ELNS1_3repE0EEENS1_30default_config_static_selectorELNS0_4arch9wavefront6targetE1EEEvT1_: ; @_ZN7rocprim17ROCPRIM_400000_NS6detail17trampoline_kernelINS0_14default_configENS1_20scan_config_selectorIiEEZZNS1_9scan_implILNS1_25lookback_scan_determinismE0ELb1ELb1ES3_N6thrust23THRUST_200600_302600_NS6detail15normal_iteratorINS9_10device_ptrIiEEEENS9_16discard_iteratorINS9_11use_defaultEEEiNS9_4plusIvEEiEEDaPvRmT3_T4_T5_mT6_P12ihipStream_tbENKUlT_T0_E_clISt17integral_constantIbLb1EESX_EEDaSS_ST_EUlSS_E_NS1_11comp_targetILNS1_3genE4ELNS1_11target_archE910ELNS1_3gpuE8ELNS1_3repE0EEENS1_30default_config_static_selectorELNS0_4arch9wavefront6targetE1EEEvT1_
; %bb.0:
	s_load_dwordx2 s[20:21], s[4:5], 0x20
	s_load_dword s26, s[4:5], 0x28
	s_load_dwordx2 s[6:7], s[4:5], 0x30
	v_cmp_ne_u32_e64 s[2:3], 0, v0
	v_cmp_eq_u32_e64 s[0:1], 0, v0
	s_and_saveexec_b64 s[8:9], s[0:1]
	s_cbranch_execz .LBB5818_4
; %bb.1:
	s_mov_b64 s[12:13], exec
	v_mbcnt_lo_u32_b32 v1, s12, 0
	v_mbcnt_hi_u32_b32 v1, s13, v1
	v_cmp_eq_u32_e32 vcc, 0, v1
                                        ; implicit-def: $vgpr2
	s_and_saveexec_b64 s[10:11], vcc
	s_cbranch_execz .LBB5818_3
; %bb.2:
	s_load_dwordx2 s[14:15], s[4:5], 0x60
	s_bcnt1_i32_b64 s12, s[12:13]
	v_mov_b32_e32 v2, 0
	v_mov_b32_e32 v3, s12
	s_waitcnt lgkmcnt(0)
	global_atomic_add v2, v2, v3, s[14:15] glc
.LBB5818_3:
	s_or_b64 exec, exec, s[10:11]
	s_waitcnt vmcnt(0)
	v_readfirstlane_b32 s10, v2
	v_add_u32_e32 v1, s10, v1
	v_mov_b32_e32 v2, 0
	ds_write_b32 v2, v1
.LBB5818_4:
	s_or_b64 exec, exec, s[8:9]
	v_mov_b32_e32 v3, 0
	s_load_dwordx4 s[16:19], s[4:5], 0x0
	s_load_dword s22, s[4:5], 0x38
	s_load_dwordx8 s[8:15], s[4:5], 0x40
	s_waitcnt lgkmcnt(0)
	s_barrier
	ds_read_b32 v1, v3
	s_lshl_b64 s[4:5], s[18:19], 2
	s_add_u32 s27, s16, s4
	s_movk_i32 s4, 0x500
	s_addc_u32 s28, s17, s5
	s_waitcnt lgkmcnt(0)
	v_mul_lo_u32 v2, v1, s4
	s_add_i32 s4, s22, -1
	s_mul_i32 s5, s4, 0x500
	s_sub_u32 s24, s20, s5
	v_readfirstlane_b32 s29, v1
	s_subb_u32 s25, s21, 0
	v_lshlrev_b64 v[2:3], 2, v[2:3]
	s_cmp_lg_u32 s29, s4
	v_mov_b32_e32 v1, s28
	v_add_co_u32_e32 v12, vcc, s27, v2
	s_cselect_b64 s[16:17], -1, 0
	v_addc_co_u32_e32 v13, vcc, v1, v3, vcc
	s_mov_b64 s[4:5], -1
	s_and_b64 vcc, exec, s[16:17]
	s_barrier
	s_cbranch_vccz .LBB5818_6
; %bb.5:
	v_lshlrev_b32_e32 v1, 2, v0
	v_add_co_u32_e32 v2, vcc, v12, v1
	v_addc_co_u32_e32 v3, vcc, 0, v13, vcc
	flat_load_dword v4, v[2:3]
	flat_load_dword v5, v[2:3] offset:512
	flat_load_dword v6, v[2:3] offset:1024
	;; [unrolled: 1-line block ×7, first 2 shown]
	v_add_co_u32_e32 v2, vcc, 0x1000, v2
	v_addc_co_u32_e32 v3, vcc, 0, v3, vcc
	flat_load_dword v14, v[2:3]
	flat_load_dword v15, v[2:3] offset:512
	s_mov_b64 s[4:5], 0
	s_waitcnt vmcnt(0) lgkmcnt(0)
	ds_write2st64_b32 v1, v4, v5 offset1:2
	ds_write2st64_b32 v1, v6, v7 offset0:4 offset1:6
	ds_write2st64_b32 v1, v8, v9 offset0:8 offset1:10
	;; [unrolled: 1-line block ×4, first 2 shown]
	s_waitcnt lgkmcnt(0)
	s_barrier
.LBB5818_6:
	s_andn2_b64 vcc, exec, s[4:5]
	s_cbranch_vccnz .LBB5818_28
; %bb.7:
	flat_load_dword v1, v[12:13]
	v_cmp_gt_u32_e32 vcc, s24, v0
	s_waitcnt vmcnt(0) lgkmcnt(0)
	v_mov_b32_e32 v2, v1
	v_mov_b32_e32 v3, v1
	;; [unrolled: 1-line block ×9, first 2 shown]
	s_and_saveexec_b64 s[4:5], vcc
	s_cbranch_execz .LBB5818_9
; %bb.8:
	v_lshlrev_b32_e32 v10, 2, v0
	v_add_co_u32_e32 v10, vcc, v12, v10
	v_addc_co_u32_e32 v11, vcc, 0, v13, vcc
	flat_load_dword v10, v[10:11]
.LBB5818_9:
	s_or_b64 exec, exec, s[4:5]
	v_or_b32_e32 v11, 0x80, v0
	v_cmp_gt_u32_e32 vcc, s24, v11
	s_and_saveexec_b64 s[4:5], vcc
	s_cbranch_execz .LBB5818_11
; %bb.10:
	v_lshlrev_b32_e32 v1, 2, v0
	v_add_co_u32_e32 v14, vcc, v12, v1
	v_addc_co_u32_e32 v15, vcc, 0, v13, vcc
	flat_load_dword v1, v[14:15] offset:512
.LBB5818_11:
	s_or_b64 exec, exec, s[4:5]
	v_or_b32_e32 v11, 0x100, v0
	v_cmp_gt_u32_e32 vcc, s24, v11
	s_and_saveexec_b64 s[4:5], vcc
	s_cbranch_execz .LBB5818_13
; %bb.12:
	v_lshlrev_b32_e32 v2, 2, v0
	v_add_co_u32_e32 v14, vcc, v12, v2
	v_addc_co_u32_e32 v15, vcc, 0, v13, vcc
	flat_load_dword v2, v[14:15] offset:1024
.LBB5818_13:
	;; [unrolled: 11-line block ×7, first 2 shown]
	s_or_b64 exec, exec, s[4:5]
	v_or_b32_e32 v11, 0x400, v0
	v_cmp_gt_u32_e32 vcc, s24, v11
	s_and_saveexec_b64 s[4:5], vcc
	s_cbranch_execz .LBB5818_25
; %bb.24:
	v_lshlrev_b32_e32 v8, 2, v11
	v_add_co_u32_e32 v14, vcc, v12, v8
	v_addc_co_u32_e32 v15, vcc, 0, v13, vcc
	flat_load_dword v8, v[14:15]
.LBB5818_25:
	s_or_b64 exec, exec, s[4:5]
	v_or_b32_e32 v11, 0x480, v0
	v_cmp_gt_u32_e32 vcc, s24, v11
	s_and_saveexec_b64 s[4:5], vcc
	s_cbranch_execz .LBB5818_27
; %bb.26:
	v_lshlrev_b32_e32 v9, 2, v11
	v_add_co_u32_e32 v12, vcc, v12, v9
	v_addc_co_u32_e32 v13, vcc, 0, v13, vcc
	flat_load_dword v9, v[12:13]
.LBB5818_27:
	s_or_b64 exec, exec, s[4:5]
	v_lshlrev_b32_e32 v11, 2, v0
	s_waitcnt vmcnt(0) lgkmcnt(0)
	ds_write2st64_b32 v11, v10, v1 offset1:2
	ds_write2st64_b32 v11, v2, v3 offset0:4 offset1:6
	ds_write2st64_b32 v11, v4, v5 offset0:8 offset1:10
	;; [unrolled: 1-line block ×4, first 2 shown]
	s_waitcnt lgkmcnt(0)
	s_barrier
.LBB5818_28:
	v_mul_u32_u24_e32 v22, 10, v0
	v_lshlrev_b32_e32 v1, 2, v22
	ds_read2_b64 v[16:19], v1 offset1:1
	ds_read2_b64 v[12:15], v1 offset0:2 offset1:3
	ds_read_b64 v[20:21], v1 offset:32
	s_cmp_lg_u32 s29, 0
	v_lshrrev_b32_e32 v23, 5, v0
	s_waitcnt lgkmcnt(2)
	v_add_u32_e32 v2, v17, v16
	v_add3_u32 v24, v2, v18, v19
	v_cmp_gt_u32_e32 vcc, 64, v0
	s_waitcnt lgkmcnt(0)
	s_barrier
	s_cbranch_scc0 .LBB5818_57
; %bb.29:
	v_add3_u32 v2, v24, v12, v13
	v_add3_u32 v2, v2, v14, v15
	v_add3_u32 v2, v2, v20, v21
	v_add_lshl_u32 v3, v23, v0, 2
	ds_write_b32 v3, v2
	s_waitcnt lgkmcnt(0)
	s_barrier
	s_and_saveexec_b64 s[18:19], vcc
	s_cbranch_execz .LBB5818_31
; %bb.30:
	v_lshlrev_b32_e32 v3, 1, v0
	v_lshrrev_b32_e32 v4, 4, v0
	v_add_lshl_u32 v3, v4, v3, 2
	ds_read2_b32 v[4:5], v3 offset1:1
	v_mbcnt_lo_u32_b32 v6, -1, 0
	v_mbcnt_hi_u32_b32 v6, -1, v6
	v_and_b32_e32 v7, 15, v6
	v_cmp_ne_u32_e64 s[4:5], 0, v7
	s_waitcnt lgkmcnt(0)
	v_add_u32_e32 v5, v5, v4
	; wave barrier
	s_nop 1
	v_mov_b32_dpp v8, v5 row_shr:1 row_mask:0xf bank_mask:0xf
	v_cndmask_b32_e64 v8, 0, v8, s[4:5]
	v_add_u32_e32 v5, v8, v5
	v_cmp_lt_u32_e64 s[4:5], 1, v7
	s_nop 0
	v_mov_b32_dpp v8, v5 row_shr:2 row_mask:0xf bank_mask:0xf
	v_cndmask_b32_e64 v8, 0, v8, s[4:5]
	v_add_u32_e32 v5, v5, v8
	v_cmp_lt_u32_e64 s[4:5], 3, v7
	;; [unrolled: 5-line block ×3, first 2 shown]
	s_nop 0
	v_mov_b32_dpp v8, v5 row_shr:8 row_mask:0xf bank_mask:0xf
	v_cndmask_b32_e64 v7, 0, v8, s[4:5]
	v_add_u32_e32 v5, v5, v7
	v_bfe_i32 v8, v6, 4, 1
	v_cmp_lt_u32_e64 s[4:5], 31, v6
	v_mov_b32_dpp v7, v5 row_bcast:15 row_mask:0xf bank_mask:0xf
	v_and_b32_e32 v7, v8, v7
	v_add_u32_e32 v5, v5, v7
	v_and_b32_e32 v8, 64, v6
	s_nop 0
	v_mov_b32_dpp v7, v5 row_bcast:31 row_mask:0xf bank_mask:0xf
	v_cndmask_b32_e64 v7, 0, v7, s[4:5]
	v_add_u32_e32 v5, v5, v7
	v_add_u32_e32 v7, -1, v6
	v_cmp_lt_i32_e64 s[4:5], v7, v8
	v_cndmask_b32_e64 v6, v7, v6, s[4:5]
	v_lshlrev_b32_e32 v6, 2, v6
	ds_bpermute_b32 v5, v6, v5
	s_waitcnt lgkmcnt(0)
	v_add_u32_e32 v4, v5, v4
	v_cndmask_b32_e64 v2, v4, v2, s[0:1]
	ds_write_b32 v3, v2
	; wave barrier
	ds_read_b32 v4, v3 offset:4
	s_waitcnt lgkmcnt(0)
	v_add_u32_e32 v2, v4, v2
	ds_write_b32 v3, v2 offset:4
.LBB5818_31:
	s_or_b64 exec, exec, s[18:19]
	v_mov_b32_e32 v25, 0
	s_waitcnt lgkmcnt(0)
	s_barrier
	s_and_saveexec_b64 s[4:5], s[2:3]
	s_cbranch_execz .LBB5818_33
; %bb.32:
	v_add_u32_e32 v2, -1, v0
	v_lshrrev_b32_e32 v3, 5, v2
	v_add_lshl_u32 v2, v3, v2, 2
	ds_read_b32 v25, v2
.LBB5818_33:
	s_or_b64 exec, exec, s[4:5]
	s_and_saveexec_b64 s[18:19], vcc
	s_cbranch_execz .LBB5818_56
; %bb.34:
	v_mov_b32_e32 v11, 0
	ds_read_b32 v2, v11 offset:520
	v_mbcnt_lo_u32_b32 v3, -1, 0
	v_mbcnt_hi_u32_b32 v5, -1, v3
	s_mov_b32 s23, 0
	v_cmp_eq_u32_e64 s[4:5], 0, v5
	s_and_saveexec_b64 s[20:21], s[4:5]
	s_cbranch_execz .LBB5818_36
; %bb.35:
	s_add_i32 s22, s29, 64
	s_lshl_b64 s[22:23], s[22:23], 3
	s_add_u32 s22, s6, s22
	v_mov_b32_e32 v3, 1
	s_addc_u32 s23, s7, s23
	s_waitcnt lgkmcnt(0)
	global_store_dwordx2 v11, v[2:3], s[22:23]
.LBB5818_36:
	s_or_b64 exec, exec, s[20:21]
	v_xad_u32 v4, v5, -1, s29
	v_add_u32_e32 v10, 64, v4
	v_lshlrev_b64 v[6:7], 3, v[10:11]
	v_mov_b32_e32 v3, s7
	v_add_co_u32_e32 v6, vcc, s6, v6
	v_addc_co_u32_e32 v7, vcc, v3, v7, vcc
	global_load_dwordx2 v[8:9], v[6:7], off glc
	s_waitcnt vmcnt(0)
	v_cmp_eq_u16_sdwa s[22:23], v9, v11 src0_sel:BYTE_0 src1_sel:DWORD
	s_and_saveexec_b64 s[20:21], s[22:23]
	s_cbranch_execz .LBB5818_42
; %bb.37:
	s_mov_b32 s30, 1
	s_mov_b64 s[22:23], 0
	v_mov_b32_e32 v3, 0
.LBB5818_38:                            ; =>This Loop Header: Depth=1
                                        ;     Child Loop BB5818_39 Depth 2
	s_max_u32 s31, s30, 1
.LBB5818_39:                            ;   Parent Loop BB5818_38 Depth=1
                                        ; =>  This Inner Loop Header: Depth=2
	s_add_i32 s31, s31, -1
	s_cmp_eq_u32 s31, 0
	s_sleep 1
	s_cbranch_scc0 .LBB5818_39
; %bb.40:                               ;   in Loop: Header=BB5818_38 Depth=1
	global_load_dwordx2 v[8:9], v[6:7], off glc
	s_cmp_lt_u32 s30, 32
	s_cselect_b64 s[34:35], -1, 0
	s_cmp_lg_u64 s[34:35], 0
	s_addc_u32 s30, s30, 0
	s_waitcnt vmcnt(0)
	v_cmp_ne_u16_sdwa s[34:35], v9, v3 src0_sel:BYTE_0 src1_sel:DWORD
	s_or_b64 s[22:23], s[34:35], s[22:23]
	s_andn2_b64 exec, exec, s[22:23]
	s_cbranch_execnz .LBB5818_38
; %bb.41:
	s_or_b64 exec, exec, s[22:23]
.LBB5818_42:
	s_or_b64 exec, exec, s[20:21]
	v_and_b32_e32 v26, 63, v5
	v_mov_b32_e32 v3, 2
	v_cmp_ne_u32_e32 vcc, 63, v26
	v_cmp_eq_u16_sdwa s[20:21], v9, v3 src0_sel:BYTE_0 src1_sel:DWORD
	v_lshlrev_b64 v[6:7], v5, -1
	v_addc_co_u32_e32 v27, vcc, 0, v5, vcc
	v_and_b32_e32 v10, s21, v7
	v_lshlrev_b32_e32 v27, 2, v27
	v_or_b32_e32 v10, 0x80000000, v10
	ds_bpermute_b32 v28, v27, v8
	v_and_b32_e32 v11, s20, v6
	v_ffbl_b32_e32 v10, v10
	v_add_u32_e32 v10, 32, v10
	v_ffbl_b32_e32 v11, v11
	v_min_u32_e32 v10, v11, v10
	v_cmp_lt_u32_e32 vcc, v26, v10
	s_waitcnt lgkmcnt(0)
	v_cndmask_b32_e32 v11, 0, v28, vcc
	v_cmp_gt_u32_e32 vcc, 62, v26
	v_add_u32_e32 v8, v11, v8
	v_cndmask_b32_e64 v11, 0, 1, vcc
	v_lshlrev_b32_e32 v11, 1, v11
	v_add_lshl_u32 v28, v11, v5, 2
	ds_bpermute_b32 v11, v28, v8
	v_add_u32_e32 v29, 2, v26
	v_cmp_le_u32_e32 vcc, v29, v10
	v_add_u32_e32 v31, 4, v26
	v_add_u32_e32 v33, 8, v26
	s_waitcnt lgkmcnt(0)
	v_cndmask_b32_e32 v11, 0, v11, vcc
	v_cmp_gt_u32_e32 vcc, 60, v26
	v_add_u32_e32 v8, v8, v11
	v_cndmask_b32_e64 v11, 0, 1, vcc
	v_lshlrev_b32_e32 v11, 2, v11
	v_add_lshl_u32 v30, v11, v5, 2
	ds_bpermute_b32 v11, v30, v8
	v_cmp_le_u32_e32 vcc, v31, v10
	v_add_u32_e32 v36, 16, v26
	v_add_u32_e32 v38, 32, v26
	s_waitcnt lgkmcnt(0)
	v_cndmask_b32_e32 v11, 0, v11, vcc
	v_cmp_gt_u32_e32 vcc, 56, v26
	v_add_u32_e32 v8, v8, v11
	v_cndmask_b32_e64 v11, 0, 1, vcc
	v_lshlrev_b32_e32 v11, 3, v11
	v_add_lshl_u32 v32, v11, v5, 2
	ds_bpermute_b32 v11, v32, v8
	v_cmp_le_u32_e32 vcc, v33, v10
	s_waitcnt lgkmcnt(0)
	v_cndmask_b32_e32 v11, 0, v11, vcc
	v_cmp_gt_u32_e32 vcc, 48, v26
	v_add_u32_e32 v8, v8, v11
	v_cndmask_b32_e64 v11, 0, 1, vcc
	v_lshlrev_b32_e32 v11, 4, v11
	v_add_lshl_u32 v35, v11, v5, 2
	ds_bpermute_b32 v11, v35, v8
	v_cmp_le_u32_e32 vcc, v36, v10
	;; [unrolled: 9-line block ×3, first 2 shown]
	s_waitcnt lgkmcnt(0)
	v_cndmask_b32_e32 v5, 0, v5, vcc
	v_add_u32_e32 v8, v8, v5
	v_mov_b32_e32 v5, 0
	s_branch .LBB5818_44
.LBB5818_43:                            ;   in Loop: Header=BB5818_44 Depth=1
	s_or_b64 exec, exec, s[20:21]
	v_cmp_eq_u16_sdwa s[20:21], v9, v3 src0_sel:BYTE_0 src1_sel:DWORD
	v_and_b32_e32 v10, s21, v7
	v_or_b32_e32 v10, 0x80000000, v10
	ds_bpermute_b32 v39, v27, v8
	v_and_b32_e32 v11, s20, v6
	v_ffbl_b32_e32 v10, v10
	v_add_u32_e32 v10, 32, v10
	v_ffbl_b32_e32 v11, v11
	v_min_u32_e32 v10, v11, v10
	v_cmp_lt_u32_e32 vcc, v26, v10
	s_waitcnt lgkmcnt(0)
	v_cndmask_b32_e32 v11, 0, v39, vcc
	v_add_u32_e32 v8, v11, v8
	ds_bpermute_b32 v11, v28, v8
	v_cmp_le_u32_e32 vcc, v29, v10
	v_subrev_u32_e32 v4, 64, v4
	s_waitcnt lgkmcnt(0)
	v_cndmask_b32_e32 v11, 0, v11, vcc
	v_add_u32_e32 v8, v8, v11
	ds_bpermute_b32 v11, v30, v8
	v_cmp_le_u32_e32 vcc, v31, v10
	s_waitcnt lgkmcnt(0)
	v_cndmask_b32_e32 v11, 0, v11, vcc
	v_add_u32_e32 v8, v8, v11
	ds_bpermute_b32 v11, v32, v8
	v_cmp_le_u32_e32 vcc, v33, v10
	;; [unrolled: 5-line block ×4, first 2 shown]
	s_waitcnt lgkmcnt(0)
	v_cndmask_b32_e32 v10, 0, v11, vcc
	v_add3_u32 v8, v10, v34, v8
.LBB5818_44:                            ; =>This Loop Header: Depth=1
                                        ;     Child Loop BB5818_47 Depth 2
                                        ;       Child Loop BB5818_48 Depth 3
	v_cmp_ne_u16_sdwa s[20:21], v9, v3 src0_sel:BYTE_0 src1_sel:DWORD
	v_cndmask_b32_e64 v9, 0, 1, s[20:21]
	;;#ASMSTART
	;;#ASMEND
	v_cmp_ne_u32_e32 vcc, 0, v9
	s_cmp_lg_u64 vcc, exec
	v_mov_b32_e32 v34, v8
	s_cbranch_scc1 .LBB5818_51
; %bb.45:                               ;   in Loop: Header=BB5818_44 Depth=1
	v_lshlrev_b64 v[8:9], 3, v[4:5]
	v_mov_b32_e32 v11, s7
	v_add_co_u32_e32 v10, vcc, s6, v8
	v_addc_co_u32_e32 v11, vcc, v11, v9, vcc
	global_load_dwordx2 v[8:9], v[10:11], off glc
	s_waitcnt vmcnt(0)
	v_cmp_eq_u16_sdwa s[22:23], v9, v5 src0_sel:BYTE_0 src1_sel:DWORD
	s_and_saveexec_b64 s[20:21], s[22:23]
	s_cbranch_execz .LBB5818_43
; %bb.46:                               ;   in Loop: Header=BB5818_44 Depth=1
	s_mov_b32 s30, 1
	s_mov_b64 s[22:23], 0
.LBB5818_47:                            ;   Parent Loop BB5818_44 Depth=1
                                        ; =>  This Loop Header: Depth=2
                                        ;       Child Loop BB5818_48 Depth 3
	s_max_u32 s31, s30, 1
.LBB5818_48:                            ;   Parent Loop BB5818_44 Depth=1
                                        ;     Parent Loop BB5818_47 Depth=2
                                        ; =>    This Inner Loop Header: Depth=3
	s_add_i32 s31, s31, -1
	s_cmp_eq_u32 s31, 0
	s_sleep 1
	s_cbranch_scc0 .LBB5818_48
; %bb.49:                               ;   in Loop: Header=BB5818_47 Depth=2
	global_load_dwordx2 v[8:9], v[10:11], off glc
	s_cmp_lt_u32 s30, 32
	s_cselect_b64 s[34:35], -1, 0
	s_cmp_lg_u64 s[34:35], 0
	s_addc_u32 s30, s30, 0
	s_waitcnt vmcnt(0)
	v_cmp_ne_u16_sdwa s[34:35], v9, v5 src0_sel:BYTE_0 src1_sel:DWORD
	s_or_b64 s[22:23], s[34:35], s[22:23]
	s_andn2_b64 exec, exec, s[22:23]
	s_cbranch_execnz .LBB5818_47
; %bb.50:                               ;   in Loop: Header=BB5818_44 Depth=1
	s_or_b64 exec, exec, s[22:23]
	s_branch .LBB5818_43
.LBB5818_51:                            ;   in Loop: Header=BB5818_44 Depth=1
                                        ; implicit-def: $vgpr8
                                        ; implicit-def: $vgpr9
	s_cbranch_execz .LBB5818_44
; %bb.52:
	s_and_saveexec_b64 s[20:21], s[4:5]
	s_cbranch_execz .LBB5818_54
; %bb.53:
	s_add_i32 s4, s29, 64
	s_mov_b32 s5, 0
	s_lshl_b64 s[4:5], s[4:5], 3
	s_add_u32 s4, s6, s4
	v_add_u32_e32 v2, v34, v2
	v_mov_b32_e32 v3, 2
	s_addc_u32 s5, s7, s5
	v_mov_b32_e32 v4, 0
	global_store_dwordx2 v4, v[2:3], s[4:5]
.LBB5818_54:
	s_or_b64 exec, exec, s[20:21]
	s_and_b64 exec, exec, s[0:1]
	s_cbranch_execz .LBB5818_56
; %bb.55:
	v_mov_b32_e32 v2, 0
	ds_write_b32 v2, v34
.LBB5818_56:
	s_or_b64 exec, exec, s[18:19]
	v_mov_b32_e32 v2, 0
	s_waitcnt lgkmcnt(0)
	s_barrier
	ds_read_b32 v2, v2
	s_waitcnt lgkmcnt(0)
	v_add_u32_e32 v2, v2, v25
	v_add_u32_e32 v3, v2, v16
	;; [unrolled: 1-line block ×10, first 2 shown]
	s_branch .LBB5818_67
.LBB5818_57:
                                        ; implicit-def: $vgpr2_vgpr3_vgpr4_vgpr5_vgpr6_vgpr7_vgpr8_vgpr9_vgpr10_vgpr11
	s_cbranch_execz .LBB5818_67
; %bb.58:
	s_cmp_eq_u64 s[12:13], 0
	v_mov_b32_e32 v25, s26
	s_cbranch_scc1 .LBB5818_60
; %bb.59:
	v_mov_b32_e32 v3, s28
	v_add_co_u32_e64 v2, vcc, -4, s27
	v_addc_co_u32_e32 v3, vcc, -1, v3, vcc
	v_mov_b32_e32 v4, 0
	flat_load_dword v5, v[2:3]
	global_load_dword v6, v4, s[8:9]
	s_waitcnt vmcnt(0) lgkmcnt(0)
	v_add_u32_e32 v25, v6, v5
.LBB5818_60:
	v_add3_u32 v2, v24, v12, v13
	v_add3_u32 v2, v2, v14, v15
	;; [unrolled: 1-line block ×3, first 2 shown]
	v_add_lshl_u32 v3, v23, v0, 2
	v_cmp_gt_u32_e32 vcc, 64, v0
	ds_write_b32 v3, v2
	s_waitcnt lgkmcnt(0)
	s_barrier
	s_and_saveexec_b64 s[4:5], vcc
	s_cbranch_execz .LBB5818_62
; %bb.61:
	v_lshlrev_b32_e32 v3, 1, v0
	v_lshrrev_b32_e32 v4, 4, v0
	v_add_lshl_u32 v3, v4, v3, 2
	ds_read2_b32 v[4:5], v3 offset1:1
	v_mbcnt_lo_u32_b32 v6, -1, 0
	v_mbcnt_hi_u32_b32 v6, -1, v6
	v_and_b32_e32 v7, 15, v6
	v_cmp_ne_u32_e32 vcc, 0, v7
	s_waitcnt lgkmcnt(0)
	v_add_u32_e32 v5, v5, v4
	; wave barrier
	s_nop 1
	v_mov_b32_dpp v8, v5 row_shr:1 row_mask:0xf bank_mask:0xf
	v_cndmask_b32_e32 v8, 0, v8, vcc
	v_add_u32_e32 v5, v8, v5
	v_cmp_lt_u32_e32 vcc, 1, v7
	s_nop 0
	v_mov_b32_dpp v8, v5 row_shr:2 row_mask:0xf bank_mask:0xf
	v_cndmask_b32_e32 v8, 0, v8, vcc
	v_add_u32_e32 v5, v5, v8
	v_cmp_lt_u32_e32 vcc, 3, v7
	;; [unrolled: 5-line block ×3, first 2 shown]
	s_nop 0
	v_mov_b32_dpp v8, v5 row_shr:8 row_mask:0xf bank_mask:0xf
	v_cndmask_b32_e32 v7, 0, v8, vcc
	v_add_u32_e32 v5, v5, v7
	v_bfe_i32 v8, v6, 4, 1
	v_cmp_lt_u32_e32 vcc, 31, v6
	v_mov_b32_dpp v7, v5 row_bcast:15 row_mask:0xf bank_mask:0xf
	v_and_b32_e32 v7, v8, v7
	v_add_u32_e32 v5, v5, v7
	v_and_b32_e32 v8, 64, v6
	s_nop 0
	v_mov_b32_dpp v7, v5 row_bcast:31 row_mask:0xf bank_mask:0xf
	v_cndmask_b32_e32 v7, 0, v7, vcc
	v_add_u32_e32 v5, v5, v7
	v_add_u32_e32 v7, -1, v6
	v_cmp_lt_i32_e32 vcc, v7, v8
	v_cndmask_b32_e32 v6, v7, v6, vcc
	v_lshlrev_b32_e32 v6, 2, v6
	ds_bpermute_b32 v5, v6, v5
	s_waitcnt lgkmcnt(0)
	v_add_u32_e32 v4, v5, v4
	v_cndmask_b32_e64 v2, v4, v2, s[0:1]
	ds_write_b32 v3, v2
	; wave barrier
	ds_read_b32 v4, v3 offset:4
	s_waitcnt lgkmcnt(0)
	v_add_u32_e32 v2, v4, v2
	ds_write_b32 v3, v2 offset:4
.LBB5818_62:
	s_or_b64 exec, exec, s[4:5]
	v_mov_b32_e32 v2, v25
	s_waitcnt lgkmcnt(0)
	s_barrier
	s_and_saveexec_b64 s[4:5], s[2:3]
	s_cbranch_execz .LBB5818_64
; %bb.63:
	v_add_u32_e32 v2, -1, v0
	v_lshrrev_b32_e32 v3, 5, v2
	v_add_lshl_u32 v2, v3, v2, 2
	ds_read_b32 v2, v2
	s_waitcnt lgkmcnt(0)
	v_add_u32_e32 v2, v2, v25
.LBB5818_64:
	s_or_b64 exec, exec, s[4:5]
	v_add_u32_e32 v3, v2, v16
	v_add_u32_e32 v4, v3, v17
	;; [unrolled: 1-line block ×9, first 2 shown]
	s_and_saveexec_b64 s[2:3], s[0:1]
	s_cbranch_execz .LBB5818_66
; %bb.65:
	v_mov_b32_e32 v14, 0
	ds_read_b32 v12, v14 offset:520
	v_mov_b32_e32 v13, 2
	s_waitcnt lgkmcnt(0)
	v_add_u32_e32 v12, v12, v25
	global_store_dwordx2 v14, v[12:13], s[6:7] offset:512
.LBB5818_66:
	s_or_b64 exec, exec, s[2:3]
.LBB5818_67:
	s_mov_b64 s[0:1], -1
	s_and_b64 vcc, exec, s[16:17]
	s_barrier
	ds_write2_b64 v1, v[2:3], v[4:5] offset1:1
	ds_write2_b64 v1, v[6:7], v[8:9] offset0:2 offset1:3
	ds_write_b64 v1, v[10:11] offset:32
	s_waitcnt lgkmcnt(0)
	s_cbranch_vccz .LBB5818_69
; %bb.68:
	s_barrier
	s_mov_b64 s[0:1], 0
.LBB5818_69:
	s_andn2_b64 vcc, exec, s[0:1]
	s_cbranch_vccnz .LBB5818_105
; %bb.70:
	v_cmp_lt_u64_e64 s[0:1], s[14:15], 2
	s_and_b64 vcc, exec, s[0:1]
	s_barrier
	s_cbranch_vccnz .LBB5818_105
; %bb.71:
	s_add_u32 s0, s24, -1
	s_addc_u32 s1, s25, -1
	s_add_u32 s2, 0, 0x99986000
	s_addc_u32 s3, 0, 0x59
	s_add_i32 s3, s3, 0x19999940
	s_mul_hi_u32 s7, s2, -10
	s_sub_i32 s7, s7, s2
	s_mul_i32 s8, s3, -10
	s_mul_i32 s4, s2, -10
	s_add_i32 s7, s7, s8
	s_mul_hi_u32 s5, s3, s4
	s_mul_i32 s6, s3, s4
	s_mul_i32 s9, s2, s7
	s_mul_hi_u32 s4, s2, s4
	s_mul_hi_u32 s8, s2, s7
	s_add_u32 s4, s4, s9
	s_addc_u32 s8, 0, s8
	s_add_u32 s4, s4, s6
	s_mul_hi_u32 s9, s3, s7
	s_addc_u32 s4, s8, s5
	s_addc_u32 s5, s9, 0
	s_mul_i32 s6, s3, s7
	s_add_u32 s4, s4, s6
	v_mov_b32_e32 v2, s4
	s_addc_u32 s5, 0, s5
	v_add_co_u32_e32 v2, vcc, s2, v2
	s_cmp_lg_u64 vcc, 0
	s_addc_u32 s2, s3, s5
	v_readfirstlane_b32 s5, v2
	s_mul_i32 s4, s0, s2
	s_mul_hi_u32 s6, s0, s5
	s_mul_hi_u32 s3, s0, s2
	s_add_u32 s4, s6, s4
	s_addc_u32 s3, 0, s3
	s_mul_hi_u32 s7, s1, s5
	s_mul_i32 s5, s1, s5
	s_add_u32 s4, s4, s5
	s_mul_hi_u32 s6, s1, s2
	s_addc_u32 s3, s3, s7
	s_addc_u32 s4, s6, 0
	s_mul_i32 s2, s1, s2
	s_add_u32 s2, s3, s2
	s_addc_u32 s3, 0, s4
	s_add_u32 s4, s2, 1
	s_addc_u32 s5, s3, 0
	s_add_u32 s6, s2, 2
	s_mul_i32 s8, s3, 10
	s_mul_hi_u32 s9, s2, 10
	s_addc_u32 s7, s3, 0
	s_add_i32 s9, s9, s8
	s_mul_i32 s8, s2, 10
	v_mov_b32_e32 v2, s8
	v_sub_co_u32_e32 v2, vcc, s0, v2
	s_cmp_lg_u64 vcc, 0
	s_subb_u32 s8, s1, s9
	v_subrev_co_u32_e32 v3, vcc, 10, v2
	s_cmp_lg_u64 vcc, 0
	s_subb_u32 s9, s8, 0
	v_readfirstlane_b32 s12, v3
	s_cmp_gt_u32 s12, 9
	s_cselect_b32 s12, -1, 0
	s_cmp_eq_u32 s9, 0
	s_cselect_b32 s9, s12, -1
	s_cmp_lg_u32 s9, 0
	s_cselect_b32 s4, s6, s4
	v_readfirstlane_b32 s6, v2
	s_cselect_b32 s5, s7, s5
	s_cmp_gt_u32 s6, 9
	s_cselect_b32 s6, -1, 0
	s_cmp_eq_u32 s8, 0
	s_cselect_b32 s6, s6, -1
	s_cmp_lg_u32 s6, 0
	v_mov_b32_e32 v1, 0
	s_cselect_b32 s3, s5, s3
	s_cselect_b32 s2, s4, s2
	v_cmp_eq_u64_e32 vcc, s[2:3], v[0:1]
	s_and_saveexec_b64 s[2:3], vcc
	s_cbranch_execz .LBB5818_105
; %bb.72:
	v_lshlrev_b32_e32 v2, 2, v0
	v_mul_hi_u32_u24_e32 v1, 10, v0
	v_mov_b32_e32 v3, s1
	v_sub_co_u32_e32 v0, vcc, s0, v22
	v_subb_co_u32_e32 v1, vcc, v3, v1, vcc
	v_cmp_lt_i64_e32 vcc, 4, v[0:1]
	s_and_saveexec_b64 s[0:1], vcc
	s_xor_b64 s[0:1], exec, s[0:1]
	s_cbranch_execz .LBB5818_90
; %bb.73:
	v_cmp_lt_i64_e32 vcc, 6, v[0:1]
	s_and_saveexec_b64 s[2:3], vcc
	s_xor_b64 s[2:3], exec, s[2:3]
	s_cbranch_execz .LBB5818_83
; %bb.74:
	;; [unrolled: 5-line block ×4, first 2 shown]
	ds_read_b32 v0, v2 offset:4608
	v_mov_b32_e32 v1, 0
                                        ; implicit-def: $vgpr2
	s_waitcnt lgkmcnt(0)
	global_store_dword v1, v0, s[10:11]
.LBB5818_77:
	s_andn2_saveexec_b64 s[6:7], s[6:7]
	s_cbranch_execz .LBB5818_79
; %bb.78:
	ds_read_b32 v0, v2 offset:4096
	v_mov_b32_e32 v1, 0
	s_waitcnt lgkmcnt(0)
	global_store_dword v1, v0, s[10:11]
.LBB5818_79:
	s_or_b64 exec, exec, s[6:7]
                                        ; implicit-def: $vgpr2
.LBB5818_80:
	s_andn2_saveexec_b64 s[4:5], s[4:5]
	s_cbranch_execz .LBB5818_82
; %bb.81:
	ds_read_b32 v0, v2 offset:3584
	v_mov_b32_e32 v1, 0
	s_waitcnt lgkmcnt(0)
	global_store_dword v1, v0, s[10:11]
.LBB5818_82:
	s_or_b64 exec, exec, s[4:5]
                                        ; implicit-def: $vgpr2
                                        ; implicit-def: $vgpr0_vgpr1
.LBB5818_83:
	s_andn2_saveexec_b64 s[2:3], s[2:3]
	s_cbranch_execz .LBB5818_89
; %bb.84:
	v_cmp_lt_i64_e32 vcc, 5, v[0:1]
	s_and_saveexec_b64 s[4:5], vcc
	s_xor_b64 s[4:5], exec, s[4:5]
	s_cbranch_execz .LBB5818_86
; %bb.85:
	ds_read_b32 v0, v2 offset:3072
	v_mov_b32_e32 v1, 0
                                        ; implicit-def: $vgpr2
	s_waitcnt lgkmcnt(0)
	global_store_dword v1, v0, s[10:11]
.LBB5818_86:
	s_andn2_saveexec_b64 s[4:5], s[4:5]
	s_cbranch_execz .LBB5818_88
; %bb.87:
	ds_read_b32 v0, v2 offset:2560
	v_mov_b32_e32 v1, 0
	s_waitcnt lgkmcnt(0)
	global_store_dword v1, v0, s[10:11]
.LBB5818_88:
	s_or_b64 exec, exec, s[4:5]
.LBB5818_89:
	s_or_b64 exec, exec, s[2:3]
                                        ; implicit-def: $vgpr0_vgpr1
                                        ; implicit-def: $vgpr2
.LBB5818_90:
	s_andn2_saveexec_b64 s[0:1], s[0:1]
	s_cbranch_execz .LBB5818_105
; %bb.91:
	v_cmp_lt_i64_e32 vcc, 2, v[0:1]
	s_and_saveexec_b64 s[0:1], vcc
	s_xor_b64 s[0:1], exec, s[0:1]
	s_cbranch_execz .LBB5818_97
; %bb.92:
	v_cmp_lt_i64_e32 vcc, 3, v[0:1]
	s_and_saveexec_b64 s[2:3], vcc
	s_xor_b64 s[2:3], exec, s[2:3]
	s_cbranch_execz .LBB5818_94
; %bb.93:
	ds_read_b32 v0, v2 offset:2048
	v_mov_b32_e32 v1, 0
                                        ; implicit-def: $vgpr2
	s_waitcnt lgkmcnt(0)
	global_store_dword v1, v0, s[10:11]
.LBB5818_94:
	s_andn2_saveexec_b64 s[2:3], s[2:3]
	s_cbranch_execz .LBB5818_96
; %bb.95:
	ds_read_b32 v0, v2 offset:1536
	v_mov_b32_e32 v1, 0
	s_waitcnt lgkmcnt(0)
	global_store_dword v1, v0, s[10:11]
.LBB5818_96:
	s_or_b64 exec, exec, s[2:3]
                                        ; implicit-def: $vgpr0_vgpr1
                                        ; implicit-def: $vgpr2
.LBB5818_97:
	s_andn2_saveexec_b64 s[0:1], s[0:1]
	s_cbranch_execz .LBB5818_105
; %bb.98:
	v_cmp_lt_i64_e32 vcc, 1, v[0:1]
	s_and_saveexec_b64 s[0:1], vcc
	s_xor_b64 s[0:1], exec, s[0:1]
	s_cbranch_execz .LBB5818_100
; %bb.99:
	ds_read_b32 v0, v2 offset:1024
	v_mov_b32_e32 v1, 0
                                        ; implicit-def: $vgpr2
	s_waitcnt lgkmcnt(0)
	global_store_dword v1, v0, s[10:11]
                                        ; implicit-def: $vgpr0_vgpr1
.LBB5818_100:
	s_andn2_saveexec_b64 s[0:1], s[0:1]
	s_cbranch_execz .LBB5818_105
; %bb.101:
	v_cmp_ne_u64_e32 vcc, 1, v[0:1]
	s_and_saveexec_b64 s[0:1], vcc
	s_xor_b64 s[0:1], exec, s[0:1]
	s_cbranch_execz .LBB5818_103
; %bb.102:
	ds_read_b32 v0, v2
	v_mov_b32_e32 v1, 0
                                        ; implicit-def: $vgpr2
	s_waitcnt lgkmcnt(0)
	global_store_dword v1, v0, s[10:11]
.LBB5818_103:
	s_andn2_saveexec_b64 s[0:1], s[0:1]
	s_cbranch_execz .LBB5818_105
; %bb.104:
	ds_read_b32 v0, v2 offset:512
	v_mov_b32_e32 v1, 0
	s_waitcnt lgkmcnt(0)
	global_store_dword v1, v0, s[10:11]
.LBB5818_105:
	s_endpgm
	.section	.rodata,"a",@progbits
	.p2align	6, 0x0
	.amdhsa_kernel _ZN7rocprim17ROCPRIM_400000_NS6detail17trampoline_kernelINS0_14default_configENS1_20scan_config_selectorIiEEZZNS1_9scan_implILNS1_25lookback_scan_determinismE0ELb1ELb1ES3_N6thrust23THRUST_200600_302600_NS6detail15normal_iteratorINS9_10device_ptrIiEEEENS9_16discard_iteratorINS9_11use_defaultEEEiNS9_4plusIvEEiEEDaPvRmT3_T4_T5_mT6_P12ihipStream_tbENKUlT_T0_E_clISt17integral_constantIbLb1EESX_EEDaSS_ST_EUlSS_E_NS1_11comp_targetILNS1_3genE4ELNS1_11target_archE910ELNS1_3gpuE8ELNS1_3repE0EEENS1_30default_config_static_selectorELNS0_4arch9wavefront6targetE1EEEvT1_
		.amdhsa_group_segment_fixed_size 5120
		.amdhsa_private_segment_fixed_size 0
		.amdhsa_kernarg_size 104
		.amdhsa_user_sgpr_count 6
		.amdhsa_user_sgpr_private_segment_buffer 1
		.amdhsa_user_sgpr_dispatch_ptr 0
		.amdhsa_user_sgpr_queue_ptr 0
		.amdhsa_user_sgpr_kernarg_segment_ptr 1
		.amdhsa_user_sgpr_dispatch_id 0
		.amdhsa_user_sgpr_flat_scratch_init 0
		.amdhsa_user_sgpr_kernarg_preload_length 0
		.amdhsa_user_sgpr_kernarg_preload_offset 0
		.amdhsa_user_sgpr_private_segment_size 0
		.amdhsa_uses_dynamic_stack 0
		.amdhsa_system_sgpr_private_segment_wavefront_offset 0
		.amdhsa_system_sgpr_workgroup_id_x 1
		.amdhsa_system_sgpr_workgroup_id_y 0
		.amdhsa_system_sgpr_workgroup_id_z 0
		.amdhsa_system_sgpr_workgroup_info 0
		.amdhsa_system_vgpr_workitem_id 0
		.amdhsa_next_free_vgpr 40
		.amdhsa_next_free_sgpr 36
		.amdhsa_accum_offset 40
		.amdhsa_reserve_vcc 1
		.amdhsa_reserve_flat_scratch 0
		.amdhsa_float_round_mode_32 0
		.amdhsa_float_round_mode_16_64 0
		.amdhsa_float_denorm_mode_32 3
		.amdhsa_float_denorm_mode_16_64 3
		.amdhsa_dx10_clamp 1
		.amdhsa_ieee_mode 1
		.amdhsa_fp16_overflow 0
		.amdhsa_tg_split 0
		.amdhsa_exception_fp_ieee_invalid_op 0
		.amdhsa_exception_fp_denorm_src 0
		.amdhsa_exception_fp_ieee_div_zero 0
		.amdhsa_exception_fp_ieee_overflow 0
		.amdhsa_exception_fp_ieee_underflow 0
		.amdhsa_exception_fp_ieee_inexact 0
		.amdhsa_exception_int_div_zero 0
	.end_amdhsa_kernel
	.section	.text._ZN7rocprim17ROCPRIM_400000_NS6detail17trampoline_kernelINS0_14default_configENS1_20scan_config_selectorIiEEZZNS1_9scan_implILNS1_25lookback_scan_determinismE0ELb1ELb1ES3_N6thrust23THRUST_200600_302600_NS6detail15normal_iteratorINS9_10device_ptrIiEEEENS9_16discard_iteratorINS9_11use_defaultEEEiNS9_4plusIvEEiEEDaPvRmT3_T4_T5_mT6_P12ihipStream_tbENKUlT_T0_E_clISt17integral_constantIbLb1EESX_EEDaSS_ST_EUlSS_E_NS1_11comp_targetILNS1_3genE4ELNS1_11target_archE910ELNS1_3gpuE8ELNS1_3repE0EEENS1_30default_config_static_selectorELNS0_4arch9wavefront6targetE1EEEvT1_,"axG",@progbits,_ZN7rocprim17ROCPRIM_400000_NS6detail17trampoline_kernelINS0_14default_configENS1_20scan_config_selectorIiEEZZNS1_9scan_implILNS1_25lookback_scan_determinismE0ELb1ELb1ES3_N6thrust23THRUST_200600_302600_NS6detail15normal_iteratorINS9_10device_ptrIiEEEENS9_16discard_iteratorINS9_11use_defaultEEEiNS9_4plusIvEEiEEDaPvRmT3_T4_T5_mT6_P12ihipStream_tbENKUlT_T0_E_clISt17integral_constantIbLb1EESX_EEDaSS_ST_EUlSS_E_NS1_11comp_targetILNS1_3genE4ELNS1_11target_archE910ELNS1_3gpuE8ELNS1_3repE0EEENS1_30default_config_static_selectorELNS0_4arch9wavefront6targetE1EEEvT1_,comdat
.Lfunc_end5818:
	.size	_ZN7rocprim17ROCPRIM_400000_NS6detail17trampoline_kernelINS0_14default_configENS1_20scan_config_selectorIiEEZZNS1_9scan_implILNS1_25lookback_scan_determinismE0ELb1ELb1ES3_N6thrust23THRUST_200600_302600_NS6detail15normal_iteratorINS9_10device_ptrIiEEEENS9_16discard_iteratorINS9_11use_defaultEEEiNS9_4plusIvEEiEEDaPvRmT3_T4_T5_mT6_P12ihipStream_tbENKUlT_T0_E_clISt17integral_constantIbLb1EESX_EEDaSS_ST_EUlSS_E_NS1_11comp_targetILNS1_3genE4ELNS1_11target_archE910ELNS1_3gpuE8ELNS1_3repE0EEENS1_30default_config_static_selectorELNS0_4arch9wavefront6targetE1EEEvT1_, .Lfunc_end5818-_ZN7rocprim17ROCPRIM_400000_NS6detail17trampoline_kernelINS0_14default_configENS1_20scan_config_selectorIiEEZZNS1_9scan_implILNS1_25lookback_scan_determinismE0ELb1ELb1ES3_N6thrust23THRUST_200600_302600_NS6detail15normal_iteratorINS9_10device_ptrIiEEEENS9_16discard_iteratorINS9_11use_defaultEEEiNS9_4plusIvEEiEEDaPvRmT3_T4_T5_mT6_P12ihipStream_tbENKUlT_T0_E_clISt17integral_constantIbLb1EESX_EEDaSS_ST_EUlSS_E_NS1_11comp_targetILNS1_3genE4ELNS1_11target_archE910ELNS1_3gpuE8ELNS1_3repE0EEENS1_30default_config_static_selectorELNS0_4arch9wavefront6targetE1EEEvT1_
                                        ; -- End function
	.section	.AMDGPU.csdata,"",@progbits
; Kernel info:
; codeLenInByte = 4032
; NumSgprs: 40
; NumVgprs: 40
; NumAgprs: 0
; TotalNumVgprs: 40
; ScratchSize: 0
; MemoryBound: 0
; FloatMode: 240
; IeeeMode: 1
; LDSByteSize: 5120 bytes/workgroup (compile time only)
; SGPRBlocks: 4
; VGPRBlocks: 4
; NumSGPRsForWavesPerEU: 40
; NumVGPRsForWavesPerEU: 40
; AccumOffset: 40
; Occupancy: 6
; WaveLimiterHint : 1
; COMPUTE_PGM_RSRC2:SCRATCH_EN: 0
; COMPUTE_PGM_RSRC2:USER_SGPR: 6
; COMPUTE_PGM_RSRC2:TRAP_HANDLER: 0
; COMPUTE_PGM_RSRC2:TGID_X_EN: 1
; COMPUTE_PGM_RSRC2:TGID_Y_EN: 0
; COMPUTE_PGM_RSRC2:TGID_Z_EN: 0
; COMPUTE_PGM_RSRC2:TIDIG_COMP_CNT: 0
; COMPUTE_PGM_RSRC3_GFX90A:ACCUM_OFFSET: 9
; COMPUTE_PGM_RSRC3_GFX90A:TG_SPLIT: 0
	.section	.text._ZN7rocprim17ROCPRIM_400000_NS6detail17trampoline_kernelINS0_14default_configENS1_20scan_config_selectorIiEEZZNS1_9scan_implILNS1_25lookback_scan_determinismE0ELb1ELb1ES3_N6thrust23THRUST_200600_302600_NS6detail15normal_iteratorINS9_10device_ptrIiEEEENS9_16discard_iteratorINS9_11use_defaultEEEiNS9_4plusIvEEiEEDaPvRmT3_T4_T5_mT6_P12ihipStream_tbENKUlT_T0_E_clISt17integral_constantIbLb1EESX_EEDaSS_ST_EUlSS_E_NS1_11comp_targetILNS1_3genE3ELNS1_11target_archE908ELNS1_3gpuE7ELNS1_3repE0EEENS1_30default_config_static_selectorELNS0_4arch9wavefront6targetE1EEEvT1_,"axG",@progbits,_ZN7rocprim17ROCPRIM_400000_NS6detail17trampoline_kernelINS0_14default_configENS1_20scan_config_selectorIiEEZZNS1_9scan_implILNS1_25lookback_scan_determinismE0ELb1ELb1ES3_N6thrust23THRUST_200600_302600_NS6detail15normal_iteratorINS9_10device_ptrIiEEEENS9_16discard_iteratorINS9_11use_defaultEEEiNS9_4plusIvEEiEEDaPvRmT3_T4_T5_mT6_P12ihipStream_tbENKUlT_T0_E_clISt17integral_constantIbLb1EESX_EEDaSS_ST_EUlSS_E_NS1_11comp_targetILNS1_3genE3ELNS1_11target_archE908ELNS1_3gpuE7ELNS1_3repE0EEENS1_30default_config_static_selectorELNS0_4arch9wavefront6targetE1EEEvT1_,comdat
	.protected	_ZN7rocprim17ROCPRIM_400000_NS6detail17trampoline_kernelINS0_14default_configENS1_20scan_config_selectorIiEEZZNS1_9scan_implILNS1_25lookback_scan_determinismE0ELb1ELb1ES3_N6thrust23THRUST_200600_302600_NS6detail15normal_iteratorINS9_10device_ptrIiEEEENS9_16discard_iteratorINS9_11use_defaultEEEiNS9_4plusIvEEiEEDaPvRmT3_T4_T5_mT6_P12ihipStream_tbENKUlT_T0_E_clISt17integral_constantIbLb1EESX_EEDaSS_ST_EUlSS_E_NS1_11comp_targetILNS1_3genE3ELNS1_11target_archE908ELNS1_3gpuE7ELNS1_3repE0EEENS1_30default_config_static_selectorELNS0_4arch9wavefront6targetE1EEEvT1_ ; -- Begin function _ZN7rocprim17ROCPRIM_400000_NS6detail17trampoline_kernelINS0_14default_configENS1_20scan_config_selectorIiEEZZNS1_9scan_implILNS1_25lookback_scan_determinismE0ELb1ELb1ES3_N6thrust23THRUST_200600_302600_NS6detail15normal_iteratorINS9_10device_ptrIiEEEENS9_16discard_iteratorINS9_11use_defaultEEEiNS9_4plusIvEEiEEDaPvRmT3_T4_T5_mT6_P12ihipStream_tbENKUlT_T0_E_clISt17integral_constantIbLb1EESX_EEDaSS_ST_EUlSS_E_NS1_11comp_targetILNS1_3genE3ELNS1_11target_archE908ELNS1_3gpuE7ELNS1_3repE0EEENS1_30default_config_static_selectorELNS0_4arch9wavefront6targetE1EEEvT1_
	.globl	_ZN7rocprim17ROCPRIM_400000_NS6detail17trampoline_kernelINS0_14default_configENS1_20scan_config_selectorIiEEZZNS1_9scan_implILNS1_25lookback_scan_determinismE0ELb1ELb1ES3_N6thrust23THRUST_200600_302600_NS6detail15normal_iteratorINS9_10device_ptrIiEEEENS9_16discard_iteratorINS9_11use_defaultEEEiNS9_4plusIvEEiEEDaPvRmT3_T4_T5_mT6_P12ihipStream_tbENKUlT_T0_E_clISt17integral_constantIbLb1EESX_EEDaSS_ST_EUlSS_E_NS1_11comp_targetILNS1_3genE3ELNS1_11target_archE908ELNS1_3gpuE7ELNS1_3repE0EEENS1_30default_config_static_selectorELNS0_4arch9wavefront6targetE1EEEvT1_
	.p2align	8
	.type	_ZN7rocprim17ROCPRIM_400000_NS6detail17trampoline_kernelINS0_14default_configENS1_20scan_config_selectorIiEEZZNS1_9scan_implILNS1_25lookback_scan_determinismE0ELb1ELb1ES3_N6thrust23THRUST_200600_302600_NS6detail15normal_iteratorINS9_10device_ptrIiEEEENS9_16discard_iteratorINS9_11use_defaultEEEiNS9_4plusIvEEiEEDaPvRmT3_T4_T5_mT6_P12ihipStream_tbENKUlT_T0_E_clISt17integral_constantIbLb1EESX_EEDaSS_ST_EUlSS_E_NS1_11comp_targetILNS1_3genE3ELNS1_11target_archE908ELNS1_3gpuE7ELNS1_3repE0EEENS1_30default_config_static_selectorELNS0_4arch9wavefront6targetE1EEEvT1_,@function
_ZN7rocprim17ROCPRIM_400000_NS6detail17trampoline_kernelINS0_14default_configENS1_20scan_config_selectorIiEEZZNS1_9scan_implILNS1_25lookback_scan_determinismE0ELb1ELb1ES3_N6thrust23THRUST_200600_302600_NS6detail15normal_iteratorINS9_10device_ptrIiEEEENS9_16discard_iteratorINS9_11use_defaultEEEiNS9_4plusIvEEiEEDaPvRmT3_T4_T5_mT6_P12ihipStream_tbENKUlT_T0_E_clISt17integral_constantIbLb1EESX_EEDaSS_ST_EUlSS_E_NS1_11comp_targetILNS1_3genE3ELNS1_11target_archE908ELNS1_3gpuE7ELNS1_3repE0EEENS1_30default_config_static_selectorELNS0_4arch9wavefront6targetE1EEEvT1_: ; @_ZN7rocprim17ROCPRIM_400000_NS6detail17trampoline_kernelINS0_14default_configENS1_20scan_config_selectorIiEEZZNS1_9scan_implILNS1_25lookback_scan_determinismE0ELb1ELb1ES3_N6thrust23THRUST_200600_302600_NS6detail15normal_iteratorINS9_10device_ptrIiEEEENS9_16discard_iteratorINS9_11use_defaultEEEiNS9_4plusIvEEiEEDaPvRmT3_T4_T5_mT6_P12ihipStream_tbENKUlT_T0_E_clISt17integral_constantIbLb1EESX_EEDaSS_ST_EUlSS_E_NS1_11comp_targetILNS1_3genE3ELNS1_11target_archE908ELNS1_3gpuE7ELNS1_3repE0EEENS1_30default_config_static_selectorELNS0_4arch9wavefront6targetE1EEEvT1_
; %bb.0:
	.section	.rodata,"a",@progbits
	.p2align	6, 0x0
	.amdhsa_kernel _ZN7rocprim17ROCPRIM_400000_NS6detail17trampoline_kernelINS0_14default_configENS1_20scan_config_selectorIiEEZZNS1_9scan_implILNS1_25lookback_scan_determinismE0ELb1ELb1ES3_N6thrust23THRUST_200600_302600_NS6detail15normal_iteratorINS9_10device_ptrIiEEEENS9_16discard_iteratorINS9_11use_defaultEEEiNS9_4plusIvEEiEEDaPvRmT3_T4_T5_mT6_P12ihipStream_tbENKUlT_T0_E_clISt17integral_constantIbLb1EESX_EEDaSS_ST_EUlSS_E_NS1_11comp_targetILNS1_3genE3ELNS1_11target_archE908ELNS1_3gpuE7ELNS1_3repE0EEENS1_30default_config_static_selectorELNS0_4arch9wavefront6targetE1EEEvT1_
		.amdhsa_group_segment_fixed_size 0
		.amdhsa_private_segment_fixed_size 0
		.amdhsa_kernarg_size 104
		.amdhsa_user_sgpr_count 6
		.amdhsa_user_sgpr_private_segment_buffer 1
		.amdhsa_user_sgpr_dispatch_ptr 0
		.amdhsa_user_sgpr_queue_ptr 0
		.amdhsa_user_sgpr_kernarg_segment_ptr 1
		.amdhsa_user_sgpr_dispatch_id 0
		.amdhsa_user_sgpr_flat_scratch_init 0
		.amdhsa_user_sgpr_kernarg_preload_length 0
		.amdhsa_user_sgpr_kernarg_preload_offset 0
		.amdhsa_user_sgpr_private_segment_size 0
		.amdhsa_uses_dynamic_stack 0
		.amdhsa_system_sgpr_private_segment_wavefront_offset 0
		.amdhsa_system_sgpr_workgroup_id_x 1
		.amdhsa_system_sgpr_workgroup_id_y 0
		.amdhsa_system_sgpr_workgroup_id_z 0
		.amdhsa_system_sgpr_workgroup_info 0
		.amdhsa_system_vgpr_workitem_id 0
		.amdhsa_next_free_vgpr 1
		.amdhsa_next_free_sgpr 0
		.amdhsa_accum_offset 4
		.amdhsa_reserve_vcc 0
		.amdhsa_reserve_flat_scratch 0
		.amdhsa_float_round_mode_32 0
		.amdhsa_float_round_mode_16_64 0
		.amdhsa_float_denorm_mode_32 3
		.amdhsa_float_denorm_mode_16_64 3
		.amdhsa_dx10_clamp 1
		.amdhsa_ieee_mode 1
		.amdhsa_fp16_overflow 0
		.amdhsa_tg_split 0
		.amdhsa_exception_fp_ieee_invalid_op 0
		.amdhsa_exception_fp_denorm_src 0
		.amdhsa_exception_fp_ieee_div_zero 0
		.amdhsa_exception_fp_ieee_overflow 0
		.amdhsa_exception_fp_ieee_underflow 0
		.amdhsa_exception_fp_ieee_inexact 0
		.amdhsa_exception_int_div_zero 0
	.end_amdhsa_kernel
	.section	.text._ZN7rocprim17ROCPRIM_400000_NS6detail17trampoline_kernelINS0_14default_configENS1_20scan_config_selectorIiEEZZNS1_9scan_implILNS1_25lookback_scan_determinismE0ELb1ELb1ES3_N6thrust23THRUST_200600_302600_NS6detail15normal_iteratorINS9_10device_ptrIiEEEENS9_16discard_iteratorINS9_11use_defaultEEEiNS9_4plusIvEEiEEDaPvRmT3_T4_T5_mT6_P12ihipStream_tbENKUlT_T0_E_clISt17integral_constantIbLb1EESX_EEDaSS_ST_EUlSS_E_NS1_11comp_targetILNS1_3genE3ELNS1_11target_archE908ELNS1_3gpuE7ELNS1_3repE0EEENS1_30default_config_static_selectorELNS0_4arch9wavefront6targetE1EEEvT1_,"axG",@progbits,_ZN7rocprim17ROCPRIM_400000_NS6detail17trampoline_kernelINS0_14default_configENS1_20scan_config_selectorIiEEZZNS1_9scan_implILNS1_25lookback_scan_determinismE0ELb1ELb1ES3_N6thrust23THRUST_200600_302600_NS6detail15normal_iteratorINS9_10device_ptrIiEEEENS9_16discard_iteratorINS9_11use_defaultEEEiNS9_4plusIvEEiEEDaPvRmT3_T4_T5_mT6_P12ihipStream_tbENKUlT_T0_E_clISt17integral_constantIbLb1EESX_EEDaSS_ST_EUlSS_E_NS1_11comp_targetILNS1_3genE3ELNS1_11target_archE908ELNS1_3gpuE7ELNS1_3repE0EEENS1_30default_config_static_selectorELNS0_4arch9wavefront6targetE1EEEvT1_,comdat
.Lfunc_end5819:
	.size	_ZN7rocprim17ROCPRIM_400000_NS6detail17trampoline_kernelINS0_14default_configENS1_20scan_config_selectorIiEEZZNS1_9scan_implILNS1_25lookback_scan_determinismE0ELb1ELb1ES3_N6thrust23THRUST_200600_302600_NS6detail15normal_iteratorINS9_10device_ptrIiEEEENS9_16discard_iteratorINS9_11use_defaultEEEiNS9_4plusIvEEiEEDaPvRmT3_T4_T5_mT6_P12ihipStream_tbENKUlT_T0_E_clISt17integral_constantIbLb1EESX_EEDaSS_ST_EUlSS_E_NS1_11comp_targetILNS1_3genE3ELNS1_11target_archE908ELNS1_3gpuE7ELNS1_3repE0EEENS1_30default_config_static_selectorELNS0_4arch9wavefront6targetE1EEEvT1_, .Lfunc_end5819-_ZN7rocprim17ROCPRIM_400000_NS6detail17trampoline_kernelINS0_14default_configENS1_20scan_config_selectorIiEEZZNS1_9scan_implILNS1_25lookback_scan_determinismE0ELb1ELb1ES3_N6thrust23THRUST_200600_302600_NS6detail15normal_iteratorINS9_10device_ptrIiEEEENS9_16discard_iteratorINS9_11use_defaultEEEiNS9_4plusIvEEiEEDaPvRmT3_T4_T5_mT6_P12ihipStream_tbENKUlT_T0_E_clISt17integral_constantIbLb1EESX_EEDaSS_ST_EUlSS_E_NS1_11comp_targetILNS1_3genE3ELNS1_11target_archE908ELNS1_3gpuE7ELNS1_3repE0EEENS1_30default_config_static_selectorELNS0_4arch9wavefront6targetE1EEEvT1_
                                        ; -- End function
	.section	.AMDGPU.csdata,"",@progbits
; Kernel info:
; codeLenInByte = 0
; NumSgprs: 4
; NumVgprs: 0
; NumAgprs: 0
; TotalNumVgprs: 0
; ScratchSize: 0
; MemoryBound: 0
; FloatMode: 240
; IeeeMode: 1
; LDSByteSize: 0 bytes/workgroup (compile time only)
; SGPRBlocks: 0
; VGPRBlocks: 0
; NumSGPRsForWavesPerEU: 4
; NumVGPRsForWavesPerEU: 1
; AccumOffset: 4
; Occupancy: 8
; WaveLimiterHint : 0
; COMPUTE_PGM_RSRC2:SCRATCH_EN: 0
; COMPUTE_PGM_RSRC2:USER_SGPR: 6
; COMPUTE_PGM_RSRC2:TRAP_HANDLER: 0
; COMPUTE_PGM_RSRC2:TGID_X_EN: 1
; COMPUTE_PGM_RSRC2:TGID_Y_EN: 0
; COMPUTE_PGM_RSRC2:TGID_Z_EN: 0
; COMPUTE_PGM_RSRC2:TIDIG_COMP_CNT: 0
; COMPUTE_PGM_RSRC3_GFX90A:ACCUM_OFFSET: 0
; COMPUTE_PGM_RSRC3_GFX90A:TG_SPLIT: 0
	.section	.text._ZN7rocprim17ROCPRIM_400000_NS6detail17trampoline_kernelINS0_14default_configENS1_20scan_config_selectorIiEEZZNS1_9scan_implILNS1_25lookback_scan_determinismE0ELb1ELb1ES3_N6thrust23THRUST_200600_302600_NS6detail15normal_iteratorINS9_10device_ptrIiEEEENS9_16discard_iteratorINS9_11use_defaultEEEiNS9_4plusIvEEiEEDaPvRmT3_T4_T5_mT6_P12ihipStream_tbENKUlT_T0_E_clISt17integral_constantIbLb1EESX_EEDaSS_ST_EUlSS_E_NS1_11comp_targetILNS1_3genE2ELNS1_11target_archE906ELNS1_3gpuE6ELNS1_3repE0EEENS1_30default_config_static_selectorELNS0_4arch9wavefront6targetE1EEEvT1_,"axG",@progbits,_ZN7rocprim17ROCPRIM_400000_NS6detail17trampoline_kernelINS0_14default_configENS1_20scan_config_selectorIiEEZZNS1_9scan_implILNS1_25lookback_scan_determinismE0ELb1ELb1ES3_N6thrust23THRUST_200600_302600_NS6detail15normal_iteratorINS9_10device_ptrIiEEEENS9_16discard_iteratorINS9_11use_defaultEEEiNS9_4plusIvEEiEEDaPvRmT3_T4_T5_mT6_P12ihipStream_tbENKUlT_T0_E_clISt17integral_constantIbLb1EESX_EEDaSS_ST_EUlSS_E_NS1_11comp_targetILNS1_3genE2ELNS1_11target_archE906ELNS1_3gpuE6ELNS1_3repE0EEENS1_30default_config_static_selectorELNS0_4arch9wavefront6targetE1EEEvT1_,comdat
	.protected	_ZN7rocprim17ROCPRIM_400000_NS6detail17trampoline_kernelINS0_14default_configENS1_20scan_config_selectorIiEEZZNS1_9scan_implILNS1_25lookback_scan_determinismE0ELb1ELb1ES3_N6thrust23THRUST_200600_302600_NS6detail15normal_iteratorINS9_10device_ptrIiEEEENS9_16discard_iteratorINS9_11use_defaultEEEiNS9_4plusIvEEiEEDaPvRmT3_T4_T5_mT6_P12ihipStream_tbENKUlT_T0_E_clISt17integral_constantIbLb1EESX_EEDaSS_ST_EUlSS_E_NS1_11comp_targetILNS1_3genE2ELNS1_11target_archE906ELNS1_3gpuE6ELNS1_3repE0EEENS1_30default_config_static_selectorELNS0_4arch9wavefront6targetE1EEEvT1_ ; -- Begin function _ZN7rocprim17ROCPRIM_400000_NS6detail17trampoline_kernelINS0_14default_configENS1_20scan_config_selectorIiEEZZNS1_9scan_implILNS1_25lookback_scan_determinismE0ELb1ELb1ES3_N6thrust23THRUST_200600_302600_NS6detail15normal_iteratorINS9_10device_ptrIiEEEENS9_16discard_iteratorINS9_11use_defaultEEEiNS9_4plusIvEEiEEDaPvRmT3_T4_T5_mT6_P12ihipStream_tbENKUlT_T0_E_clISt17integral_constantIbLb1EESX_EEDaSS_ST_EUlSS_E_NS1_11comp_targetILNS1_3genE2ELNS1_11target_archE906ELNS1_3gpuE6ELNS1_3repE0EEENS1_30default_config_static_selectorELNS0_4arch9wavefront6targetE1EEEvT1_
	.globl	_ZN7rocprim17ROCPRIM_400000_NS6detail17trampoline_kernelINS0_14default_configENS1_20scan_config_selectorIiEEZZNS1_9scan_implILNS1_25lookback_scan_determinismE0ELb1ELb1ES3_N6thrust23THRUST_200600_302600_NS6detail15normal_iteratorINS9_10device_ptrIiEEEENS9_16discard_iteratorINS9_11use_defaultEEEiNS9_4plusIvEEiEEDaPvRmT3_T4_T5_mT6_P12ihipStream_tbENKUlT_T0_E_clISt17integral_constantIbLb1EESX_EEDaSS_ST_EUlSS_E_NS1_11comp_targetILNS1_3genE2ELNS1_11target_archE906ELNS1_3gpuE6ELNS1_3repE0EEENS1_30default_config_static_selectorELNS0_4arch9wavefront6targetE1EEEvT1_
	.p2align	8
	.type	_ZN7rocprim17ROCPRIM_400000_NS6detail17trampoline_kernelINS0_14default_configENS1_20scan_config_selectorIiEEZZNS1_9scan_implILNS1_25lookback_scan_determinismE0ELb1ELb1ES3_N6thrust23THRUST_200600_302600_NS6detail15normal_iteratorINS9_10device_ptrIiEEEENS9_16discard_iteratorINS9_11use_defaultEEEiNS9_4plusIvEEiEEDaPvRmT3_T4_T5_mT6_P12ihipStream_tbENKUlT_T0_E_clISt17integral_constantIbLb1EESX_EEDaSS_ST_EUlSS_E_NS1_11comp_targetILNS1_3genE2ELNS1_11target_archE906ELNS1_3gpuE6ELNS1_3repE0EEENS1_30default_config_static_selectorELNS0_4arch9wavefront6targetE1EEEvT1_,@function
_ZN7rocprim17ROCPRIM_400000_NS6detail17trampoline_kernelINS0_14default_configENS1_20scan_config_selectorIiEEZZNS1_9scan_implILNS1_25lookback_scan_determinismE0ELb1ELb1ES3_N6thrust23THRUST_200600_302600_NS6detail15normal_iteratorINS9_10device_ptrIiEEEENS9_16discard_iteratorINS9_11use_defaultEEEiNS9_4plusIvEEiEEDaPvRmT3_T4_T5_mT6_P12ihipStream_tbENKUlT_T0_E_clISt17integral_constantIbLb1EESX_EEDaSS_ST_EUlSS_E_NS1_11comp_targetILNS1_3genE2ELNS1_11target_archE906ELNS1_3gpuE6ELNS1_3repE0EEENS1_30default_config_static_selectorELNS0_4arch9wavefront6targetE1EEEvT1_: ; @_ZN7rocprim17ROCPRIM_400000_NS6detail17trampoline_kernelINS0_14default_configENS1_20scan_config_selectorIiEEZZNS1_9scan_implILNS1_25lookback_scan_determinismE0ELb1ELb1ES3_N6thrust23THRUST_200600_302600_NS6detail15normal_iteratorINS9_10device_ptrIiEEEENS9_16discard_iteratorINS9_11use_defaultEEEiNS9_4plusIvEEiEEDaPvRmT3_T4_T5_mT6_P12ihipStream_tbENKUlT_T0_E_clISt17integral_constantIbLb1EESX_EEDaSS_ST_EUlSS_E_NS1_11comp_targetILNS1_3genE2ELNS1_11target_archE906ELNS1_3gpuE6ELNS1_3repE0EEENS1_30default_config_static_selectorELNS0_4arch9wavefront6targetE1EEEvT1_
; %bb.0:
	.section	.rodata,"a",@progbits
	.p2align	6, 0x0
	.amdhsa_kernel _ZN7rocprim17ROCPRIM_400000_NS6detail17trampoline_kernelINS0_14default_configENS1_20scan_config_selectorIiEEZZNS1_9scan_implILNS1_25lookback_scan_determinismE0ELb1ELb1ES3_N6thrust23THRUST_200600_302600_NS6detail15normal_iteratorINS9_10device_ptrIiEEEENS9_16discard_iteratorINS9_11use_defaultEEEiNS9_4plusIvEEiEEDaPvRmT3_T4_T5_mT6_P12ihipStream_tbENKUlT_T0_E_clISt17integral_constantIbLb1EESX_EEDaSS_ST_EUlSS_E_NS1_11comp_targetILNS1_3genE2ELNS1_11target_archE906ELNS1_3gpuE6ELNS1_3repE0EEENS1_30default_config_static_selectorELNS0_4arch9wavefront6targetE1EEEvT1_
		.amdhsa_group_segment_fixed_size 0
		.amdhsa_private_segment_fixed_size 0
		.amdhsa_kernarg_size 104
		.amdhsa_user_sgpr_count 6
		.amdhsa_user_sgpr_private_segment_buffer 1
		.amdhsa_user_sgpr_dispatch_ptr 0
		.amdhsa_user_sgpr_queue_ptr 0
		.amdhsa_user_sgpr_kernarg_segment_ptr 1
		.amdhsa_user_sgpr_dispatch_id 0
		.amdhsa_user_sgpr_flat_scratch_init 0
		.amdhsa_user_sgpr_kernarg_preload_length 0
		.amdhsa_user_sgpr_kernarg_preload_offset 0
		.amdhsa_user_sgpr_private_segment_size 0
		.amdhsa_uses_dynamic_stack 0
		.amdhsa_system_sgpr_private_segment_wavefront_offset 0
		.amdhsa_system_sgpr_workgroup_id_x 1
		.amdhsa_system_sgpr_workgroup_id_y 0
		.amdhsa_system_sgpr_workgroup_id_z 0
		.amdhsa_system_sgpr_workgroup_info 0
		.amdhsa_system_vgpr_workitem_id 0
		.amdhsa_next_free_vgpr 1
		.amdhsa_next_free_sgpr 0
		.amdhsa_accum_offset 4
		.amdhsa_reserve_vcc 0
		.amdhsa_reserve_flat_scratch 0
		.amdhsa_float_round_mode_32 0
		.amdhsa_float_round_mode_16_64 0
		.amdhsa_float_denorm_mode_32 3
		.amdhsa_float_denorm_mode_16_64 3
		.amdhsa_dx10_clamp 1
		.amdhsa_ieee_mode 1
		.amdhsa_fp16_overflow 0
		.amdhsa_tg_split 0
		.amdhsa_exception_fp_ieee_invalid_op 0
		.amdhsa_exception_fp_denorm_src 0
		.amdhsa_exception_fp_ieee_div_zero 0
		.amdhsa_exception_fp_ieee_overflow 0
		.amdhsa_exception_fp_ieee_underflow 0
		.amdhsa_exception_fp_ieee_inexact 0
		.amdhsa_exception_int_div_zero 0
	.end_amdhsa_kernel
	.section	.text._ZN7rocprim17ROCPRIM_400000_NS6detail17trampoline_kernelINS0_14default_configENS1_20scan_config_selectorIiEEZZNS1_9scan_implILNS1_25lookback_scan_determinismE0ELb1ELb1ES3_N6thrust23THRUST_200600_302600_NS6detail15normal_iteratorINS9_10device_ptrIiEEEENS9_16discard_iteratorINS9_11use_defaultEEEiNS9_4plusIvEEiEEDaPvRmT3_T4_T5_mT6_P12ihipStream_tbENKUlT_T0_E_clISt17integral_constantIbLb1EESX_EEDaSS_ST_EUlSS_E_NS1_11comp_targetILNS1_3genE2ELNS1_11target_archE906ELNS1_3gpuE6ELNS1_3repE0EEENS1_30default_config_static_selectorELNS0_4arch9wavefront6targetE1EEEvT1_,"axG",@progbits,_ZN7rocprim17ROCPRIM_400000_NS6detail17trampoline_kernelINS0_14default_configENS1_20scan_config_selectorIiEEZZNS1_9scan_implILNS1_25lookback_scan_determinismE0ELb1ELb1ES3_N6thrust23THRUST_200600_302600_NS6detail15normal_iteratorINS9_10device_ptrIiEEEENS9_16discard_iteratorINS9_11use_defaultEEEiNS9_4plusIvEEiEEDaPvRmT3_T4_T5_mT6_P12ihipStream_tbENKUlT_T0_E_clISt17integral_constantIbLb1EESX_EEDaSS_ST_EUlSS_E_NS1_11comp_targetILNS1_3genE2ELNS1_11target_archE906ELNS1_3gpuE6ELNS1_3repE0EEENS1_30default_config_static_selectorELNS0_4arch9wavefront6targetE1EEEvT1_,comdat
.Lfunc_end5820:
	.size	_ZN7rocprim17ROCPRIM_400000_NS6detail17trampoline_kernelINS0_14default_configENS1_20scan_config_selectorIiEEZZNS1_9scan_implILNS1_25lookback_scan_determinismE0ELb1ELb1ES3_N6thrust23THRUST_200600_302600_NS6detail15normal_iteratorINS9_10device_ptrIiEEEENS9_16discard_iteratorINS9_11use_defaultEEEiNS9_4plusIvEEiEEDaPvRmT3_T4_T5_mT6_P12ihipStream_tbENKUlT_T0_E_clISt17integral_constantIbLb1EESX_EEDaSS_ST_EUlSS_E_NS1_11comp_targetILNS1_3genE2ELNS1_11target_archE906ELNS1_3gpuE6ELNS1_3repE0EEENS1_30default_config_static_selectorELNS0_4arch9wavefront6targetE1EEEvT1_, .Lfunc_end5820-_ZN7rocprim17ROCPRIM_400000_NS6detail17trampoline_kernelINS0_14default_configENS1_20scan_config_selectorIiEEZZNS1_9scan_implILNS1_25lookback_scan_determinismE0ELb1ELb1ES3_N6thrust23THRUST_200600_302600_NS6detail15normal_iteratorINS9_10device_ptrIiEEEENS9_16discard_iteratorINS9_11use_defaultEEEiNS9_4plusIvEEiEEDaPvRmT3_T4_T5_mT6_P12ihipStream_tbENKUlT_T0_E_clISt17integral_constantIbLb1EESX_EEDaSS_ST_EUlSS_E_NS1_11comp_targetILNS1_3genE2ELNS1_11target_archE906ELNS1_3gpuE6ELNS1_3repE0EEENS1_30default_config_static_selectorELNS0_4arch9wavefront6targetE1EEEvT1_
                                        ; -- End function
	.section	.AMDGPU.csdata,"",@progbits
; Kernel info:
; codeLenInByte = 0
; NumSgprs: 4
; NumVgprs: 0
; NumAgprs: 0
; TotalNumVgprs: 0
; ScratchSize: 0
; MemoryBound: 0
; FloatMode: 240
; IeeeMode: 1
; LDSByteSize: 0 bytes/workgroup (compile time only)
; SGPRBlocks: 0
; VGPRBlocks: 0
; NumSGPRsForWavesPerEU: 4
; NumVGPRsForWavesPerEU: 1
; AccumOffset: 4
; Occupancy: 8
; WaveLimiterHint : 0
; COMPUTE_PGM_RSRC2:SCRATCH_EN: 0
; COMPUTE_PGM_RSRC2:USER_SGPR: 6
; COMPUTE_PGM_RSRC2:TRAP_HANDLER: 0
; COMPUTE_PGM_RSRC2:TGID_X_EN: 1
; COMPUTE_PGM_RSRC2:TGID_Y_EN: 0
; COMPUTE_PGM_RSRC2:TGID_Z_EN: 0
; COMPUTE_PGM_RSRC2:TIDIG_COMP_CNT: 0
; COMPUTE_PGM_RSRC3_GFX90A:ACCUM_OFFSET: 0
; COMPUTE_PGM_RSRC3_GFX90A:TG_SPLIT: 0
	.section	.text._ZN7rocprim17ROCPRIM_400000_NS6detail17trampoline_kernelINS0_14default_configENS1_20scan_config_selectorIiEEZZNS1_9scan_implILNS1_25lookback_scan_determinismE0ELb1ELb1ES3_N6thrust23THRUST_200600_302600_NS6detail15normal_iteratorINS9_10device_ptrIiEEEENS9_16discard_iteratorINS9_11use_defaultEEEiNS9_4plusIvEEiEEDaPvRmT3_T4_T5_mT6_P12ihipStream_tbENKUlT_T0_E_clISt17integral_constantIbLb1EESX_EEDaSS_ST_EUlSS_E_NS1_11comp_targetILNS1_3genE10ELNS1_11target_archE1201ELNS1_3gpuE5ELNS1_3repE0EEENS1_30default_config_static_selectorELNS0_4arch9wavefront6targetE1EEEvT1_,"axG",@progbits,_ZN7rocprim17ROCPRIM_400000_NS6detail17trampoline_kernelINS0_14default_configENS1_20scan_config_selectorIiEEZZNS1_9scan_implILNS1_25lookback_scan_determinismE0ELb1ELb1ES3_N6thrust23THRUST_200600_302600_NS6detail15normal_iteratorINS9_10device_ptrIiEEEENS9_16discard_iteratorINS9_11use_defaultEEEiNS9_4plusIvEEiEEDaPvRmT3_T4_T5_mT6_P12ihipStream_tbENKUlT_T0_E_clISt17integral_constantIbLb1EESX_EEDaSS_ST_EUlSS_E_NS1_11comp_targetILNS1_3genE10ELNS1_11target_archE1201ELNS1_3gpuE5ELNS1_3repE0EEENS1_30default_config_static_selectorELNS0_4arch9wavefront6targetE1EEEvT1_,comdat
	.protected	_ZN7rocprim17ROCPRIM_400000_NS6detail17trampoline_kernelINS0_14default_configENS1_20scan_config_selectorIiEEZZNS1_9scan_implILNS1_25lookback_scan_determinismE0ELb1ELb1ES3_N6thrust23THRUST_200600_302600_NS6detail15normal_iteratorINS9_10device_ptrIiEEEENS9_16discard_iteratorINS9_11use_defaultEEEiNS9_4plusIvEEiEEDaPvRmT3_T4_T5_mT6_P12ihipStream_tbENKUlT_T0_E_clISt17integral_constantIbLb1EESX_EEDaSS_ST_EUlSS_E_NS1_11comp_targetILNS1_3genE10ELNS1_11target_archE1201ELNS1_3gpuE5ELNS1_3repE0EEENS1_30default_config_static_selectorELNS0_4arch9wavefront6targetE1EEEvT1_ ; -- Begin function _ZN7rocprim17ROCPRIM_400000_NS6detail17trampoline_kernelINS0_14default_configENS1_20scan_config_selectorIiEEZZNS1_9scan_implILNS1_25lookback_scan_determinismE0ELb1ELb1ES3_N6thrust23THRUST_200600_302600_NS6detail15normal_iteratorINS9_10device_ptrIiEEEENS9_16discard_iteratorINS9_11use_defaultEEEiNS9_4plusIvEEiEEDaPvRmT3_T4_T5_mT6_P12ihipStream_tbENKUlT_T0_E_clISt17integral_constantIbLb1EESX_EEDaSS_ST_EUlSS_E_NS1_11comp_targetILNS1_3genE10ELNS1_11target_archE1201ELNS1_3gpuE5ELNS1_3repE0EEENS1_30default_config_static_selectorELNS0_4arch9wavefront6targetE1EEEvT1_
	.globl	_ZN7rocprim17ROCPRIM_400000_NS6detail17trampoline_kernelINS0_14default_configENS1_20scan_config_selectorIiEEZZNS1_9scan_implILNS1_25lookback_scan_determinismE0ELb1ELb1ES3_N6thrust23THRUST_200600_302600_NS6detail15normal_iteratorINS9_10device_ptrIiEEEENS9_16discard_iteratorINS9_11use_defaultEEEiNS9_4plusIvEEiEEDaPvRmT3_T4_T5_mT6_P12ihipStream_tbENKUlT_T0_E_clISt17integral_constantIbLb1EESX_EEDaSS_ST_EUlSS_E_NS1_11comp_targetILNS1_3genE10ELNS1_11target_archE1201ELNS1_3gpuE5ELNS1_3repE0EEENS1_30default_config_static_selectorELNS0_4arch9wavefront6targetE1EEEvT1_
	.p2align	8
	.type	_ZN7rocprim17ROCPRIM_400000_NS6detail17trampoline_kernelINS0_14default_configENS1_20scan_config_selectorIiEEZZNS1_9scan_implILNS1_25lookback_scan_determinismE0ELb1ELb1ES3_N6thrust23THRUST_200600_302600_NS6detail15normal_iteratorINS9_10device_ptrIiEEEENS9_16discard_iteratorINS9_11use_defaultEEEiNS9_4plusIvEEiEEDaPvRmT3_T4_T5_mT6_P12ihipStream_tbENKUlT_T0_E_clISt17integral_constantIbLb1EESX_EEDaSS_ST_EUlSS_E_NS1_11comp_targetILNS1_3genE10ELNS1_11target_archE1201ELNS1_3gpuE5ELNS1_3repE0EEENS1_30default_config_static_selectorELNS0_4arch9wavefront6targetE1EEEvT1_,@function
_ZN7rocprim17ROCPRIM_400000_NS6detail17trampoline_kernelINS0_14default_configENS1_20scan_config_selectorIiEEZZNS1_9scan_implILNS1_25lookback_scan_determinismE0ELb1ELb1ES3_N6thrust23THRUST_200600_302600_NS6detail15normal_iteratorINS9_10device_ptrIiEEEENS9_16discard_iteratorINS9_11use_defaultEEEiNS9_4plusIvEEiEEDaPvRmT3_T4_T5_mT6_P12ihipStream_tbENKUlT_T0_E_clISt17integral_constantIbLb1EESX_EEDaSS_ST_EUlSS_E_NS1_11comp_targetILNS1_3genE10ELNS1_11target_archE1201ELNS1_3gpuE5ELNS1_3repE0EEENS1_30default_config_static_selectorELNS0_4arch9wavefront6targetE1EEEvT1_: ; @_ZN7rocprim17ROCPRIM_400000_NS6detail17trampoline_kernelINS0_14default_configENS1_20scan_config_selectorIiEEZZNS1_9scan_implILNS1_25lookback_scan_determinismE0ELb1ELb1ES3_N6thrust23THRUST_200600_302600_NS6detail15normal_iteratorINS9_10device_ptrIiEEEENS9_16discard_iteratorINS9_11use_defaultEEEiNS9_4plusIvEEiEEDaPvRmT3_T4_T5_mT6_P12ihipStream_tbENKUlT_T0_E_clISt17integral_constantIbLb1EESX_EEDaSS_ST_EUlSS_E_NS1_11comp_targetILNS1_3genE10ELNS1_11target_archE1201ELNS1_3gpuE5ELNS1_3repE0EEENS1_30default_config_static_selectorELNS0_4arch9wavefront6targetE1EEEvT1_
; %bb.0:
	.section	.rodata,"a",@progbits
	.p2align	6, 0x0
	.amdhsa_kernel _ZN7rocprim17ROCPRIM_400000_NS6detail17trampoline_kernelINS0_14default_configENS1_20scan_config_selectorIiEEZZNS1_9scan_implILNS1_25lookback_scan_determinismE0ELb1ELb1ES3_N6thrust23THRUST_200600_302600_NS6detail15normal_iteratorINS9_10device_ptrIiEEEENS9_16discard_iteratorINS9_11use_defaultEEEiNS9_4plusIvEEiEEDaPvRmT3_T4_T5_mT6_P12ihipStream_tbENKUlT_T0_E_clISt17integral_constantIbLb1EESX_EEDaSS_ST_EUlSS_E_NS1_11comp_targetILNS1_3genE10ELNS1_11target_archE1201ELNS1_3gpuE5ELNS1_3repE0EEENS1_30default_config_static_selectorELNS0_4arch9wavefront6targetE1EEEvT1_
		.amdhsa_group_segment_fixed_size 0
		.amdhsa_private_segment_fixed_size 0
		.amdhsa_kernarg_size 104
		.amdhsa_user_sgpr_count 6
		.amdhsa_user_sgpr_private_segment_buffer 1
		.amdhsa_user_sgpr_dispatch_ptr 0
		.amdhsa_user_sgpr_queue_ptr 0
		.amdhsa_user_sgpr_kernarg_segment_ptr 1
		.amdhsa_user_sgpr_dispatch_id 0
		.amdhsa_user_sgpr_flat_scratch_init 0
		.amdhsa_user_sgpr_kernarg_preload_length 0
		.amdhsa_user_sgpr_kernarg_preload_offset 0
		.amdhsa_user_sgpr_private_segment_size 0
		.amdhsa_uses_dynamic_stack 0
		.amdhsa_system_sgpr_private_segment_wavefront_offset 0
		.amdhsa_system_sgpr_workgroup_id_x 1
		.amdhsa_system_sgpr_workgroup_id_y 0
		.amdhsa_system_sgpr_workgroup_id_z 0
		.amdhsa_system_sgpr_workgroup_info 0
		.amdhsa_system_vgpr_workitem_id 0
		.amdhsa_next_free_vgpr 1
		.amdhsa_next_free_sgpr 0
		.amdhsa_accum_offset 4
		.amdhsa_reserve_vcc 0
		.amdhsa_reserve_flat_scratch 0
		.amdhsa_float_round_mode_32 0
		.amdhsa_float_round_mode_16_64 0
		.amdhsa_float_denorm_mode_32 3
		.amdhsa_float_denorm_mode_16_64 3
		.amdhsa_dx10_clamp 1
		.amdhsa_ieee_mode 1
		.amdhsa_fp16_overflow 0
		.amdhsa_tg_split 0
		.amdhsa_exception_fp_ieee_invalid_op 0
		.amdhsa_exception_fp_denorm_src 0
		.amdhsa_exception_fp_ieee_div_zero 0
		.amdhsa_exception_fp_ieee_overflow 0
		.amdhsa_exception_fp_ieee_underflow 0
		.amdhsa_exception_fp_ieee_inexact 0
		.amdhsa_exception_int_div_zero 0
	.end_amdhsa_kernel
	.section	.text._ZN7rocprim17ROCPRIM_400000_NS6detail17trampoline_kernelINS0_14default_configENS1_20scan_config_selectorIiEEZZNS1_9scan_implILNS1_25lookback_scan_determinismE0ELb1ELb1ES3_N6thrust23THRUST_200600_302600_NS6detail15normal_iteratorINS9_10device_ptrIiEEEENS9_16discard_iteratorINS9_11use_defaultEEEiNS9_4plusIvEEiEEDaPvRmT3_T4_T5_mT6_P12ihipStream_tbENKUlT_T0_E_clISt17integral_constantIbLb1EESX_EEDaSS_ST_EUlSS_E_NS1_11comp_targetILNS1_3genE10ELNS1_11target_archE1201ELNS1_3gpuE5ELNS1_3repE0EEENS1_30default_config_static_selectorELNS0_4arch9wavefront6targetE1EEEvT1_,"axG",@progbits,_ZN7rocprim17ROCPRIM_400000_NS6detail17trampoline_kernelINS0_14default_configENS1_20scan_config_selectorIiEEZZNS1_9scan_implILNS1_25lookback_scan_determinismE0ELb1ELb1ES3_N6thrust23THRUST_200600_302600_NS6detail15normal_iteratorINS9_10device_ptrIiEEEENS9_16discard_iteratorINS9_11use_defaultEEEiNS9_4plusIvEEiEEDaPvRmT3_T4_T5_mT6_P12ihipStream_tbENKUlT_T0_E_clISt17integral_constantIbLb1EESX_EEDaSS_ST_EUlSS_E_NS1_11comp_targetILNS1_3genE10ELNS1_11target_archE1201ELNS1_3gpuE5ELNS1_3repE0EEENS1_30default_config_static_selectorELNS0_4arch9wavefront6targetE1EEEvT1_,comdat
.Lfunc_end5821:
	.size	_ZN7rocprim17ROCPRIM_400000_NS6detail17trampoline_kernelINS0_14default_configENS1_20scan_config_selectorIiEEZZNS1_9scan_implILNS1_25lookback_scan_determinismE0ELb1ELb1ES3_N6thrust23THRUST_200600_302600_NS6detail15normal_iteratorINS9_10device_ptrIiEEEENS9_16discard_iteratorINS9_11use_defaultEEEiNS9_4plusIvEEiEEDaPvRmT3_T4_T5_mT6_P12ihipStream_tbENKUlT_T0_E_clISt17integral_constantIbLb1EESX_EEDaSS_ST_EUlSS_E_NS1_11comp_targetILNS1_3genE10ELNS1_11target_archE1201ELNS1_3gpuE5ELNS1_3repE0EEENS1_30default_config_static_selectorELNS0_4arch9wavefront6targetE1EEEvT1_, .Lfunc_end5821-_ZN7rocprim17ROCPRIM_400000_NS6detail17trampoline_kernelINS0_14default_configENS1_20scan_config_selectorIiEEZZNS1_9scan_implILNS1_25lookback_scan_determinismE0ELb1ELb1ES3_N6thrust23THRUST_200600_302600_NS6detail15normal_iteratorINS9_10device_ptrIiEEEENS9_16discard_iteratorINS9_11use_defaultEEEiNS9_4plusIvEEiEEDaPvRmT3_T4_T5_mT6_P12ihipStream_tbENKUlT_T0_E_clISt17integral_constantIbLb1EESX_EEDaSS_ST_EUlSS_E_NS1_11comp_targetILNS1_3genE10ELNS1_11target_archE1201ELNS1_3gpuE5ELNS1_3repE0EEENS1_30default_config_static_selectorELNS0_4arch9wavefront6targetE1EEEvT1_
                                        ; -- End function
	.section	.AMDGPU.csdata,"",@progbits
; Kernel info:
; codeLenInByte = 0
; NumSgprs: 4
; NumVgprs: 0
; NumAgprs: 0
; TotalNumVgprs: 0
; ScratchSize: 0
; MemoryBound: 0
; FloatMode: 240
; IeeeMode: 1
; LDSByteSize: 0 bytes/workgroup (compile time only)
; SGPRBlocks: 0
; VGPRBlocks: 0
; NumSGPRsForWavesPerEU: 4
; NumVGPRsForWavesPerEU: 1
; AccumOffset: 4
; Occupancy: 8
; WaveLimiterHint : 0
; COMPUTE_PGM_RSRC2:SCRATCH_EN: 0
; COMPUTE_PGM_RSRC2:USER_SGPR: 6
; COMPUTE_PGM_RSRC2:TRAP_HANDLER: 0
; COMPUTE_PGM_RSRC2:TGID_X_EN: 1
; COMPUTE_PGM_RSRC2:TGID_Y_EN: 0
; COMPUTE_PGM_RSRC2:TGID_Z_EN: 0
; COMPUTE_PGM_RSRC2:TIDIG_COMP_CNT: 0
; COMPUTE_PGM_RSRC3_GFX90A:ACCUM_OFFSET: 0
; COMPUTE_PGM_RSRC3_GFX90A:TG_SPLIT: 0
	.section	.text._ZN7rocprim17ROCPRIM_400000_NS6detail17trampoline_kernelINS0_14default_configENS1_20scan_config_selectorIiEEZZNS1_9scan_implILNS1_25lookback_scan_determinismE0ELb1ELb1ES3_N6thrust23THRUST_200600_302600_NS6detail15normal_iteratorINS9_10device_ptrIiEEEENS9_16discard_iteratorINS9_11use_defaultEEEiNS9_4plusIvEEiEEDaPvRmT3_T4_T5_mT6_P12ihipStream_tbENKUlT_T0_E_clISt17integral_constantIbLb1EESX_EEDaSS_ST_EUlSS_E_NS1_11comp_targetILNS1_3genE10ELNS1_11target_archE1200ELNS1_3gpuE4ELNS1_3repE0EEENS1_30default_config_static_selectorELNS0_4arch9wavefront6targetE1EEEvT1_,"axG",@progbits,_ZN7rocprim17ROCPRIM_400000_NS6detail17trampoline_kernelINS0_14default_configENS1_20scan_config_selectorIiEEZZNS1_9scan_implILNS1_25lookback_scan_determinismE0ELb1ELb1ES3_N6thrust23THRUST_200600_302600_NS6detail15normal_iteratorINS9_10device_ptrIiEEEENS9_16discard_iteratorINS9_11use_defaultEEEiNS9_4plusIvEEiEEDaPvRmT3_T4_T5_mT6_P12ihipStream_tbENKUlT_T0_E_clISt17integral_constantIbLb1EESX_EEDaSS_ST_EUlSS_E_NS1_11comp_targetILNS1_3genE10ELNS1_11target_archE1200ELNS1_3gpuE4ELNS1_3repE0EEENS1_30default_config_static_selectorELNS0_4arch9wavefront6targetE1EEEvT1_,comdat
	.protected	_ZN7rocprim17ROCPRIM_400000_NS6detail17trampoline_kernelINS0_14default_configENS1_20scan_config_selectorIiEEZZNS1_9scan_implILNS1_25lookback_scan_determinismE0ELb1ELb1ES3_N6thrust23THRUST_200600_302600_NS6detail15normal_iteratorINS9_10device_ptrIiEEEENS9_16discard_iteratorINS9_11use_defaultEEEiNS9_4plusIvEEiEEDaPvRmT3_T4_T5_mT6_P12ihipStream_tbENKUlT_T0_E_clISt17integral_constantIbLb1EESX_EEDaSS_ST_EUlSS_E_NS1_11comp_targetILNS1_3genE10ELNS1_11target_archE1200ELNS1_3gpuE4ELNS1_3repE0EEENS1_30default_config_static_selectorELNS0_4arch9wavefront6targetE1EEEvT1_ ; -- Begin function _ZN7rocprim17ROCPRIM_400000_NS6detail17trampoline_kernelINS0_14default_configENS1_20scan_config_selectorIiEEZZNS1_9scan_implILNS1_25lookback_scan_determinismE0ELb1ELb1ES3_N6thrust23THRUST_200600_302600_NS6detail15normal_iteratorINS9_10device_ptrIiEEEENS9_16discard_iteratorINS9_11use_defaultEEEiNS9_4plusIvEEiEEDaPvRmT3_T4_T5_mT6_P12ihipStream_tbENKUlT_T0_E_clISt17integral_constantIbLb1EESX_EEDaSS_ST_EUlSS_E_NS1_11comp_targetILNS1_3genE10ELNS1_11target_archE1200ELNS1_3gpuE4ELNS1_3repE0EEENS1_30default_config_static_selectorELNS0_4arch9wavefront6targetE1EEEvT1_
	.globl	_ZN7rocprim17ROCPRIM_400000_NS6detail17trampoline_kernelINS0_14default_configENS1_20scan_config_selectorIiEEZZNS1_9scan_implILNS1_25lookback_scan_determinismE0ELb1ELb1ES3_N6thrust23THRUST_200600_302600_NS6detail15normal_iteratorINS9_10device_ptrIiEEEENS9_16discard_iteratorINS9_11use_defaultEEEiNS9_4plusIvEEiEEDaPvRmT3_T4_T5_mT6_P12ihipStream_tbENKUlT_T0_E_clISt17integral_constantIbLb1EESX_EEDaSS_ST_EUlSS_E_NS1_11comp_targetILNS1_3genE10ELNS1_11target_archE1200ELNS1_3gpuE4ELNS1_3repE0EEENS1_30default_config_static_selectorELNS0_4arch9wavefront6targetE1EEEvT1_
	.p2align	8
	.type	_ZN7rocprim17ROCPRIM_400000_NS6detail17trampoline_kernelINS0_14default_configENS1_20scan_config_selectorIiEEZZNS1_9scan_implILNS1_25lookback_scan_determinismE0ELb1ELb1ES3_N6thrust23THRUST_200600_302600_NS6detail15normal_iteratorINS9_10device_ptrIiEEEENS9_16discard_iteratorINS9_11use_defaultEEEiNS9_4plusIvEEiEEDaPvRmT3_T4_T5_mT6_P12ihipStream_tbENKUlT_T0_E_clISt17integral_constantIbLb1EESX_EEDaSS_ST_EUlSS_E_NS1_11comp_targetILNS1_3genE10ELNS1_11target_archE1200ELNS1_3gpuE4ELNS1_3repE0EEENS1_30default_config_static_selectorELNS0_4arch9wavefront6targetE1EEEvT1_,@function
_ZN7rocprim17ROCPRIM_400000_NS6detail17trampoline_kernelINS0_14default_configENS1_20scan_config_selectorIiEEZZNS1_9scan_implILNS1_25lookback_scan_determinismE0ELb1ELb1ES3_N6thrust23THRUST_200600_302600_NS6detail15normal_iteratorINS9_10device_ptrIiEEEENS9_16discard_iteratorINS9_11use_defaultEEEiNS9_4plusIvEEiEEDaPvRmT3_T4_T5_mT6_P12ihipStream_tbENKUlT_T0_E_clISt17integral_constantIbLb1EESX_EEDaSS_ST_EUlSS_E_NS1_11comp_targetILNS1_3genE10ELNS1_11target_archE1200ELNS1_3gpuE4ELNS1_3repE0EEENS1_30default_config_static_selectorELNS0_4arch9wavefront6targetE1EEEvT1_: ; @_ZN7rocprim17ROCPRIM_400000_NS6detail17trampoline_kernelINS0_14default_configENS1_20scan_config_selectorIiEEZZNS1_9scan_implILNS1_25lookback_scan_determinismE0ELb1ELb1ES3_N6thrust23THRUST_200600_302600_NS6detail15normal_iteratorINS9_10device_ptrIiEEEENS9_16discard_iteratorINS9_11use_defaultEEEiNS9_4plusIvEEiEEDaPvRmT3_T4_T5_mT6_P12ihipStream_tbENKUlT_T0_E_clISt17integral_constantIbLb1EESX_EEDaSS_ST_EUlSS_E_NS1_11comp_targetILNS1_3genE10ELNS1_11target_archE1200ELNS1_3gpuE4ELNS1_3repE0EEENS1_30default_config_static_selectorELNS0_4arch9wavefront6targetE1EEEvT1_
; %bb.0:
	.section	.rodata,"a",@progbits
	.p2align	6, 0x0
	.amdhsa_kernel _ZN7rocprim17ROCPRIM_400000_NS6detail17trampoline_kernelINS0_14default_configENS1_20scan_config_selectorIiEEZZNS1_9scan_implILNS1_25lookback_scan_determinismE0ELb1ELb1ES3_N6thrust23THRUST_200600_302600_NS6detail15normal_iteratorINS9_10device_ptrIiEEEENS9_16discard_iteratorINS9_11use_defaultEEEiNS9_4plusIvEEiEEDaPvRmT3_T4_T5_mT6_P12ihipStream_tbENKUlT_T0_E_clISt17integral_constantIbLb1EESX_EEDaSS_ST_EUlSS_E_NS1_11comp_targetILNS1_3genE10ELNS1_11target_archE1200ELNS1_3gpuE4ELNS1_3repE0EEENS1_30default_config_static_selectorELNS0_4arch9wavefront6targetE1EEEvT1_
		.amdhsa_group_segment_fixed_size 0
		.amdhsa_private_segment_fixed_size 0
		.amdhsa_kernarg_size 104
		.amdhsa_user_sgpr_count 6
		.amdhsa_user_sgpr_private_segment_buffer 1
		.amdhsa_user_sgpr_dispatch_ptr 0
		.amdhsa_user_sgpr_queue_ptr 0
		.amdhsa_user_sgpr_kernarg_segment_ptr 1
		.amdhsa_user_sgpr_dispatch_id 0
		.amdhsa_user_sgpr_flat_scratch_init 0
		.amdhsa_user_sgpr_kernarg_preload_length 0
		.amdhsa_user_sgpr_kernarg_preload_offset 0
		.amdhsa_user_sgpr_private_segment_size 0
		.amdhsa_uses_dynamic_stack 0
		.amdhsa_system_sgpr_private_segment_wavefront_offset 0
		.amdhsa_system_sgpr_workgroup_id_x 1
		.amdhsa_system_sgpr_workgroup_id_y 0
		.amdhsa_system_sgpr_workgroup_id_z 0
		.amdhsa_system_sgpr_workgroup_info 0
		.amdhsa_system_vgpr_workitem_id 0
		.amdhsa_next_free_vgpr 1
		.amdhsa_next_free_sgpr 0
		.amdhsa_accum_offset 4
		.amdhsa_reserve_vcc 0
		.amdhsa_reserve_flat_scratch 0
		.amdhsa_float_round_mode_32 0
		.amdhsa_float_round_mode_16_64 0
		.amdhsa_float_denorm_mode_32 3
		.amdhsa_float_denorm_mode_16_64 3
		.amdhsa_dx10_clamp 1
		.amdhsa_ieee_mode 1
		.amdhsa_fp16_overflow 0
		.amdhsa_tg_split 0
		.amdhsa_exception_fp_ieee_invalid_op 0
		.amdhsa_exception_fp_denorm_src 0
		.amdhsa_exception_fp_ieee_div_zero 0
		.amdhsa_exception_fp_ieee_overflow 0
		.amdhsa_exception_fp_ieee_underflow 0
		.amdhsa_exception_fp_ieee_inexact 0
		.amdhsa_exception_int_div_zero 0
	.end_amdhsa_kernel
	.section	.text._ZN7rocprim17ROCPRIM_400000_NS6detail17trampoline_kernelINS0_14default_configENS1_20scan_config_selectorIiEEZZNS1_9scan_implILNS1_25lookback_scan_determinismE0ELb1ELb1ES3_N6thrust23THRUST_200600_302600_NS6detail15normal_iteratorINS9_10device_ptrIiEEEENS9_16discard_iteratorINS9_11use_defaultEEEiNS9_4plusIvEEiEEDaPvRmT3_T4_T5_mT6_P12ihipStream_tbENKUlT_T0_E_clISt17integral_constantIbLb1EESX_EEDaSS_ST_EUlSS_E_NS1_11comp_targetILNS1_3genE10ELNS1_11target_archE1200ELNS1_3gpuE4ELNS1_3repE0EEENS1_30default_config_static_selectorELNS0_4arch9wavefront6targetE1EEEvT1_,"axG",@progbits,_ZN7rocprim17ROCPRIM_400000_NS6detail17trampoline_kernelINS0_14default_configENS1_20scan_config_selectorIiEEZZNS1_9scan_implILNS1_25lookback_scan_determinismE0ELb1ELb1ES3_N6thrust23THRUST_200600_302600_NS6detail15normal_iteratorINS9_10device_ptrIiEEEENS9_16discard_iteratorINS9_11use_defaultEEEiNS9_4plusIvEEiEEDaPvRmT3_T4_T5_mT6_P12ihipStream_tbENKUlT_T0_E_clISt17integral_constantIbLb1EESX_EEDaSS_ST_EUlSS_E_NS1_11comp_targetILNS1_3genE10ELNS1_11target_archE1200ELNS1_3gpuE4ELNS1_3repE0EEENS1_30default_config_static_selectorELNS0_4arch9wavefront6targetE1EEEvT1_,comdat
.Lfunc_end5822:
	.size	_ZN7rocprim17ROCPRIM_400000_NS6detail17trampoline_kernelINS0_14default_configENS1_20scan_config_selectorIiEEZZNS1_9scan_implILNS1_25lookback_scan_determinismE0ELb1ELb1ES3_N6thrust23THRUST_200600_302600_NS6detail15normal_iteratorINS9_10device_ptrIiEEEENS9_16discard_iteratorINS9_11use_defaultEEEiNS9_4plusIvEEiEEDaPvRmT3_T4_T5_mT6_P12ihipStream_tbENKUlT_T0_E_clISt17integral_constantIbLb1EESX_EEDaSS_ST_EUlSS_E_NS1_11comp_targetILNS1_3genE10ELNS1_11target_archE1200ELNS1_3gpuE4ELNS1_3repE0EEENS1_30default_config_static_selectorELNS0_4arch9wavefront6targetE1EEEvT1_, .Lfunc_end5822-_ZN7rocprim17ROCPRIM_400000_NS6detail17trampoline_kernelINS0_14default_configENS1_20scan_config_selectorIiEEZZNS1_9scan_implILNS1_25lookback_scan_determinismE0ELb1ELb1ES3_N6thrust23THRUST_200600_302600_NS6detail15normal_iteratorINS9_10device_ptrIiEEEENS9_16discard_iteratorINS9_11use_defaultEEEiNS9_4plusIvEEiEEDaPvRmT3_T4_T5_mT6_P12ihipStream_tbENKUlT_T0_E_clISt17integral_constantIbLb1EESX_EEDaSS_ST_EUlSS_E_NS1_11comp_targetILNS1_3genE10ELNS1_11target_archE1200ELNS1_3gpuE4ELNS1_3repE0EEENS1_30default_config_static_selectorELNS0_4arch9wavefront6targetE1EEEvT1_
                                        ; -- End function
	.section	.AMDGPU.csdata,"",@progbits
; Kernel info:
; codeLenInByte = 0
; NumSgprs: 4
; NumVgprs: 0
; NumAgprs: 0
; TotalNumVgprs: 0
; ScratchSize: 0
; MemoryBound: 0
; FloatMode: 240
; IeeeMode: 1
; LDSByteSize: 0 bytes/workgroup (compile time only)
; SGPRBlocks: 0
; VGPRBlocks: 0
; NumSGPRsForWavesPerEU: 4
; NumVGPRsForWavesPerEU: 1
; AccumOffset: 4
; Occupancy: 8
; WaveLimiterHint : 0
; COMPUTE_PGM_RSRC2:SCRATCH_EN: 0
; COMPUTE_PGM_RSRC2:USER_SGPR: 6
; COMPUTE_PGM_RSRC2:TRAP_HANDLER: 0
; COMPUTE_PGM_RSRC2:TGID_X_EN: 1
; COMPUTE_PGM_RSRC2:TGID_Y_EN: 0
; COMPUTE_PGM_RSRC2:TGID_Z_EN: 0
; COMPUTE_PGM_RSRC2:TIDIG_COMP_CNT: 0
; COMPUTE_PGM_RSRC3_GFX90A:ACCUM_OFFSET: 0
; COMPUTE_PGM_RSRC3_GFX90A:TG_SPLIT: 0
	.section	.text._ZN7rocprim17ROCPRIM_400000_NS6detail17trampoline_kernelINS0_14default_configENS1_20scan_config_selectorIiEEZZNS1_9scan_implILNS1_25lookback_scan_determinismE0ELb1ELb1ES3_N6thrust23THRUST_200600_302600_NS6detail15normal_iteratorINS9_10device_ptrIiEEEENS9_16discard_iteratorINS9_11use_defaultEEEiNS9_4plusIvEEiEEDaPvRmT3_T4_T5_mT6_P12ihipStream_tbENKUlT_T0_E_clISt17integral_constantIbLb1EESX_EEDaSS_ST_EUlSS_E_NS1_11comp_targetILNS1_3genE9ELNS1_11target_archE1100ELNS1_3gpuE3ELNS1_3repE0EEENS1_30default_config_static_selectorELNS0_4arch9wavefront6targetE1EEEvT1_,"axG",@progbits,_ZN7rocprim17ROCPRIM_400000_NS6detail17trampoline_kernelINS0_14default_configENS1_20scan_config_selectorIiEEZZNS1_9scan_implILNS1_25lookback_scan_determinismE0ELb1ELb1ES3_N6thrust23THRUST_200600_302600_NS6detail15normal_iteratorINS9_10device_ptrIiEEEENS9_16discard_iteratorINS9_11use_defaultEEEiNS9_4plusIvEEiEEDaPvRmT3_T4_T5_mT6_P12ihipStream_tbENKUlT_T0_E_clISt17integral_constantIbLb1EESX_EEDaSS_ST_EUlSS_E_NS1_11comp_targetILNS1_3genE9ELNS1_11target_archE1100ELNS1_3gpuE3ELNS1_3repE0EEENS1_30default_config_static_selectorELNS0_4arch9wavefront6targetE1EEEvT1_,comdat
	.protected	_ZN7rocprim17ROCPRIM_400000_NS6detail17trampoline_kernelINS0_14default_configENS1_20scan_config_selectorIiEEZZNS1_9scan_implILNS1_25lookback_scan_determinismE0ELb1ELb1ES3_N6thrust23THRUST_200600_302600_NS6detail15normal_iteratorINS9_10device_ptrIiEEEENS9_16discard_iteratorINS9_11use_defaultEEEiNS9_4plusIvEEiEEDaPvRmT3_T4_T5_mT6_P12ihipStream_tbENKUlT_T0_E_clISt17integral_constantIbLb1EESX_EEDaSS_ST_EUlSS_E_NS1_11comp_targetILNS1_3genE9ELNS1_11target_archE1100ELNS1_3gpuE3ELNS1_3repE0EEENS1_30default_config_static_selectorELNS0_4arch9wavefront6targetE1EEEvT1_ ; -- Begin function _ZN7rocprim17ROCPRIM_400000_NS6detail17trampoline_kernelINS0_14default_configENS1_20scan_config_selectorIiEEZZNS1_9scan_implILNS1_25lookback_scan_determinismE0ELb1ELb1ES3_N6thrust23THRUST_200600_302600_NS6detail15normal_iteratorINS9_10device_ptrIiEEEENS9_16discard_iteratorINS9_11use_defaultEEEiNS9_4plusIvEEiEEDaPvRmT3_T4_T5_mT6_P12ihipStream_tbENKUlT_T0_E_clISt17integral_constantIbLb1EESX_EEDaSS_ST_EUlSS_E_NS1_11comp_targetILNS1_3genE9ELNS1_11target_archE1100ELNS1_3gpuE3ELNS1_3repE0EEENS1_30default_config_static_selectorELNS0_4arch9wavefront6targetE1EEEvT1_
	.globl	_ZN7rocprim17ROCPRIM_400000_NS6detail17trampoline_kernelINS0_14default_configENS1_20scan_config_selectorIiEEZZNS1_9scan_implILNS1_25lookback_scan_determinismE0ELb1ELb1ES3_N6thrust23THRUST_200600_302600_NS6detail15normal_iteratorINS9_10device_ptrIiEEEENS9_16discard_iteratorINS9_11use_defaultEEEiNS9_4plusIvEEiEEDaPvRmT3_T4_T5_mT6_P12ihipStream_tbENKUlT_T0_E_clISt17integral_constantIbLb1EESX_EEDaSS_ST_EUlSS_E_NS1_11comp_targetILNS1_3genE9ELNS1_11target_archE1100ELNS1_3gpuE3ELNS1_3repE0EEENS1_30default_config_static_selectorELNS0_4arch9wavefront6targetE1EEEvT1_
	.p2align	8
	.type	_ZN7rocprim17ROCPRIM_400000_NS6detail17trampoline_kernelINS0_14default_configENS1_20scan_config_selectorIiEEZZNS1_9scan_implILNS1_25lookback_scan_determinismE0ELb1ELb1ES3_N6thrust23THRUST_200600_302600_NS6detail15normal_iteratorINS9_10device_ptrIiEEEENS9_16discard_iteratorINS9_11use_defaultEEEiNS9_4plusIvEEiEEDaPvRmT3_T4_T5_mT6_P12ihipStream_tbENKUlT_T0_E_clISt17integral_constantIbLb1EESX_EEDaSS_ST_EUlSS_E_NS1_11comp_targetILNS1_3genE9ELNS1_11target_archE1100ELNS1_3gpuE3ELNS1_3repE0EEENS1_30default_config_static_selectorELNS0_4arch9wavefront6targetE1EEEvT1_,@function
_ZN7rocprim17ROCPRIM_400000_NS6detail17trampoline_kernelINS0_14default_configENS1_20scan_config_selectorIiEEZZNS1_9scan_implILNS1_25lookback_scan_determinismE0ELb1ELb1ES3_N6thrust23THRUST_200600_302600_NS6detail15normal_iteratorINS9_10device_ptrIiEEEENS9_16discard_iteratorINS9_11use_defaultEEEiNS9_4plusIvEEiEEDaPvRmT3_T4_T5_mT6_P12ihipStream_tbENKUlT_T0_E_clISt17integral_constantIbLb1EESX_EEDaSS_ST_EUlSS_E_NS1_11comp_targetILNS1_3genE9ELNS1_11target_archE1100ELNS1_3gpuE3ELNS1_3repE0EEENS1_30default_config_static_selectorELNS0_4arch9wavefront6targetE1EEEvT1_: ; @_ZN7rocprim17ROCPRIM_400000_NS6detail17trampoline_kernelINS0_14default_configENS1_20scan_config_selectorIiEEZZNS1_9scan_implILNS1_25lookback_scan_determinismE0ELb1ELb1ES3_N6thrust23THRUST_200600_302600_NS6detail15normal_iteratorINS9_10device_ptrIiEEEENS9_16discard_iteratorINS9_11use_defaultEEEiNS9_4plusIvEEiEEDaPvRmT3_T4_T5_mT6_P12ihipStream_tbENKUlT_T0_E_clISt17integral_constantIbLb1EESX_EEDaSS_ST_EUlSS_E_NS1_11comp_targetILNS1_3genE9ELNS1_11target_archE1100ELNS1_3gpuE3ELNS1_3repE0EEENS1_30default_config_static_selectorELNS0_4arch9wavefront6targetE1EEEvT1_
; %bb.0:
	.section	.rodata,"a",@progbits
	.p2align	6, 0x0
	.amdhsa_kernel _ZN7rocprim17ROCPRIM_400000_NS6detail17trampoline_kernelINS0_14default_configENS1_20scan_config_selectorIiEEZZNS1_9scan_implILNS1_25lookback_scan_determinismE0ELb1ELb1ES3_N6thrust23THRUST_200600_302600_NS6detail15normal_iteratorINS9_10device_ptrIiEEEENS9_16discard_iteratorINS9_11use_defaultEEEiNS9_4plusIvEEiEEDaPvRmT3_T4_T5_mT6_P12ihipStream_tbENKUlT_T0_E_clISt17integral_constantIbLb1EESX_EEDaSS_ST_EUlSS_E_NS1_11comp_targetILNS1_3genE9ELNS1_11target_archE1100ELNS1_3gpuE3ELNS1_3repE0EEENS1_30default_config_static_selectorELNS0_4arch9wavefront6targetE1EEEvT1_
		.amdhsa_group_segment_fixed_size 0
		.amdhsa_private_segment_fixed_size 0
		.amdhsa_kernarg_size 104
		.amdhsa_user_sgpr_count 6
		.amdhsa_user_sgpr_private_segment_buffer 1
		.amdhsa_user_sgpr_dispatch_ptr 0
		.amdhsa_user_sgpr_queue_ptr 0
		.amdhsa_user_sgpr_kernarg_segment_ptr 1
		.amdhsa_user_sgpr_dispatch_id 0
		.amdhsa_user_sgpr_flat_scratch_init 0
		.amdhsa_user_sgpr_kernarg_preload_length 0
		.amdhsa_user_sgpr_kernarg_preload_offset 0
		.amdhsa_user_sgpr_private_segment_size 0
		.amdhsa_uses_dynamic_stack 0
		.amdhsa_system_sgpr_private_segment_wavefront_offset 0
		.amdhsa_system_sgpr_workgroup_id_x 1
		.amdhsa_system_sgpr_workgroup_id_y 0
		.amdhsa_system_sgpr_workgroup_id_z 0
		.amdhsa_system_sgpr_workgroup_info 0
		.amdhsa_system_vgpr_workitem_id 0
		.amdhsa_next_free_vgpr 1
		.amdhsa_next_free_sgpr 0
		.amdhsa_accum_offset 4
		.amdhsa_reserve_vcc 0
		.amdhsa_reserve_flat_scratch 0
		.amdhsa_float_round_mode_32 0
		.amdhsa_float_round_mode_16_64 0
		.amdhsa_float_denorm_mode_32 3
		.amdhsa_float_denorm_mode_16_64 3
		.amdhsa_dx10_clamp 1
		.amdhsa_ieee_mode 1
		.amdhsa_fp16_overflow 0
		.amdhsa_tg_split 0
		.amdhsa_exception_fp_ieee_invalid_op 0
		.amdhsa_exception_fp_denorm_src 0
		.amdhsa_exception_fp_ieee_div_zero 0
		.amdhsa_exception_fp_ieee_overflow 0
		.amdhsa_exception_fp_ieee_underflow 0
		.amdhsa_exception_fp_ieee_inexact 0
		.amdhsa_exception_int_div_zero 0
	.end_amdhsa_kernel
	.section	.text._ZN7rocprim17ROCPRIM_400000_NS6detail17trampoline_kernelINS0_14default_configENS1_20scan_config_selectorIiEEZZNS1_9scan_implILNS1_25lookback_scan_determinismE0ELb1ELb1ES3_N6thrust23THRUST_200600_302600_NS6detail15normal_iteratorINS9_10device_ptrIiEEEENS9_16discard_iteratorINS9_11use_defaultEEEiNS9_4plusIvEEiEEDaPvRmT3_T4_T5_mT6_P12ihipStream_tbENKUlT_T0_E_clISt17integral_constantIbLb1EESX_EEDaSS_ST_EUlSS_E_NS1_11comp_targetILNS1_3genE9ELNS1_11target_archE1100ELNS1_3gpuE3ELNS1_3repE0EEENS1_30default_config_static_selectorELNS0_4arch9wavefront6targetE1EEEvT1_,"axG",@progbits,_ZN7rocprim17ROCPRIM_400000_NS6detail17trampoline_kernelINS0_14default_configENS1_20scan_config_selectorIiEEZZNS1_9scan_implILNS1_25lookback_scan_determinismE0ELb1ELb1ES3_N6thrust23THRUST_200600_302600_NS6detail15normal_iteratorINS9_10device_ptrIiEEEENS9_16discard_iteratorINS9_11use_defaultEEEiNS9_4plusIvEEiEEDaPvRmT3_T4_T5_mT6_P12ihipStream_tbENKUlT_T0_E_clISt17integral_constantIbLb1EESX_EEDaSS_ST_EUlSS_E_NS1_11comp_targetILNS1_3genE9ELNS1_11target_archE1100ELNS1_3gpuE3ELNS1_3repE0EEENS1_30default_config_static_selectorELNS0_4arch9wavefront6targetE1EEEvT1_,comdat
.Lfunc_end5823:
	.size	_ZN7rocprim17ROCPRIM_400000_NS6detail17trampoline_kernelINS0_14default_configENS1_20scan_config_selectorIiEEZZNS1_9scan_implILNS1_25lookback_scan_determinismE0ELb1ELb1ES3_N6thrust23THRUST_200600_302600_NS6detail15normal_iteratorINS9_10device_ptrIiEEEENS9_16discard_iteratorINS9_11use_defaultEEEiNS9_4plusIvEEiEEDaPvRmT3_T4_T5_mT6_P12ihipStream_tbENKUlT_T0_E_clISt17integral_constantIbLb1EESX_EEDaSS_ST_EUlSS_E_NS1_11comp_targetILNS1_3genE9ELNS1_11target_archE1100ELNS1_3gpuE3ELNS1_3repE0EEENS1_30default_config_static_selectorELNS0_4arch9wavefront6targetE1EEEvT1_, .Lfunc_end5823-_ZN7rocprim17ROCPRIM_400000_NS6detail17trampoline_kernelINS0_14default_configENS1_20scan_config_selectorIiEEZZNS1_9scan_implILNS1_25lookback_scan_determinismE0ELb1ELb1ES3_N6thrust23THRUST_200600_302600_NS6detail15normal_iteratorINS9_10device_ptrIiEEEENS9_16discard_iteratorINS9_11use_defaultEEEiNS9_4plusIvEEiEEDaPvRmT3_T4_T5_mT6_P12ihipStream_tbENKUlT_T0_E_clISt17integral_constantIbLb1EESX_EEDaSS_ST_EUlSS_E_NS1_11comp_targetILNS1_3genE9ELNS1_11target_archE1100ELNS1_3gpuE3ELNS1_3repE0EEENS1_30default_config_static_selectorELNS0_4arch9wavefront6targetE1EEEvT1_
                                        ; -- End function
	.section	.AMDGPU.csdata,"",@progbits
; Kernel info:
; codeLenInByte = 0
; NumSgprs: 4
; NumVgprs: 0
; NumAgprs: 0
; TotalNumVgprs: 0
; ScratchSize: 0
; MemoryBound: 0
; FloatMode: 240
; IeeeMode: 1
; LDSByteSize: 0 bytes/workgroup (compile time only)
; SGPRBlocks: 0
; VGPRBlocks: 0
; NumSGPRsForWavesPerEU: 4
; NumVGPRsForWavesPerEU: 1
; AccumOffset: 4
; Occupancy: 8
; WaveLimiterHint : 0
; COMPUTE_PGM_RSRC2:SCRATCH_EN: 0
; COMPUTE_PGM_RSRC2:USER_SGPR: 6
; COMPUTE_PGM_RSRC2:TRAP_HANDLER: 0
; COMPUTE_PGM_RSRC2:TGID_X_EN: 1
; COMPUTE_PGM_RSRC2:TGID_Y_EN: 0
; COMPUTE_PGM_RSRC2:TGID_Z_EN: 0
; COMPUTE_PGM_RSRC2:TIDIG_COMP_CNT: 0
; COMPUTE_PGM_RSRC3_GFX90A:ACCUM_OFFSET: 0
; COMPUTE_PGM_RSRC3_GFX90A:TG_SPLIT: 0
	.section	.text._ZN7rocprim17ROCPRIM_400000_NS6detail17trampoline_kernelINS0_14default_configENS1_20scan_config_selectorIiEEZZNS1_9scan_implILNS1_25lookback_scan_determinismE0ELb1ELb1ES3_N6thrust23THRUST_200600_302600_NS6detail15normal_iteratorINS9_10device_ptrIiEEEENS9_16discard_iteratorINS9_11use_defaultEEEiNS9_4plusIvEEiEEDaPvRmT3_T4_T5_mT6_P12ihipStream_tbENKUlT_T0_E_clISt17integral_constantIbLb1EESX_EEDaSS_ST_EUlSS_E_NS1_11comp_targetILNS1_3genE8ELNS1_11target_archE1030ELNS1_3gpuE2ELNS1_3repE0EEENS1_30default_config_static_selectorELNS0_4arch9wavefront6targetE1EEEvT1_,"axG",@progbits,_ZN7rocprim17ROCPRIM_400000_NS6detail17trampoline_kernelINS0_14default_configENS1_20scan_config_selectorIiEEZZNS1_9scan_implILNS1_25lookback_scan_determinismE0ELb1ELb1ES3_N6thrust23THRUST_200600_302600_NS6detail15normal_iteratorINS9_10device_ptrIiEEEENS9_16discard_iteratorINS9_11use_defaultEEEiNS9_4plusIvEEiEEDaPvRmT3_T4_T5_mT6_P12ihipStream_tbENKUlT_T0_E_clISt17integral_constantIbLb1EESX_EEDaSS_ST_EUlSS_E_NS1_11comp_targetILNS1_3genE8ELNS1_11target_archE1030ELNS1_3gpuE2ELNS1_3repE0EEENS1_30default_config_static_selectorELNS0_4arch9wavefront6targetE1EEEvT1_,comdat
	.protected	_ZN7rocprim17ROCPRIM_400000_NS6detail17trampoline_kernelINS0_14default_configENS1_20scan_config_selectorIiEEZZNS1_9scan_implILNS1_25lookback_scan_determinismE0ELb1ELb1ES3_N6thrust23THRUST_200600_302600_NS6detail15normal_iteratorINS9_10device_ptrIiEEEENS9_16discard_iteratorINS9_11use_defaultEEEiNS9_4plusIvEEiEEDaPvRmT3_T4_T5_mT6_P12ihipStream_tbENKUlT_T0_E_clISt17integral_constantIbLb1EESX_EEDaSS_ST_EUlSS_E_NS1_11comp_targetILNS1_3genE8ELNS1_11target_archE1030ELNS1_3gpuE2ELNS1_3repE0EEENS1_30default_config_static_selectorELNS0_4arch9wavefront6targetE1EEEvT1_ ; -- Begin function _ZN7rocprim17ROCPRIM_400000_NS6detail17trampoline_kernelINS0_14default_configENS1_20scan_config_selectorIiEEZZNS1_9scan_implILNS1_25lookback_scan_determinismE0ELb1ELb1ES3_N6thrust23THRUST_200600_302600_NS6detail15normal_iteratorINS9_10device_ptrIiEEEENS9_16discard_iteratorINS9_11use_defaultEEEiNS9_4plusIvEEiEEDaPvRmT3_T4_T5_mT6_P12ihipStream_tbENKUlT_T0_E_clISt17integral_constantIbLb1EESX_EEDaSS_ST_EUlSS_E_NS1_11comp_targetILNS1_3genE8ELNS1_11target_archE1030ELNS1_3gpuE2ELNS1_3repE0EEENS1_30default_config_static_selectorELNS0_4arch9wavefront6targetE1EEEvT1_
	.globl	_ZN7rocprim17ROCPRIM_400000_NS6detail17trampoline_kernelINS0_14default_configENS1_20scan_config_selectorIiEEZZNS1_9scan_implILNS1_25lookback_scan_determinismE0ELb1ELb1ES3_N6thrust23THRUST_200600_302600_NS6detail15normal_iteratorINS9_10device_ptrIiEEEENS9_16discard_iteratorINS9_11use_defaultEEEiNS9_4plusIvEEiEEDaPvRmT3_T4_T5_mT6_P12ihipStream_tbENKUlT_T0_E_clISt17integral_constantIbLb1EESX_EEDaSS_ST_EUlSS_E_NS1_11comp_targetILNS1_3genE8ELNS1_11target_archE1030ELNS1_3gpuE2ELNS1_3repE0EEENS1_30default_config_static_selectorELNS0_4arch9wavefront6targetE1EEEvT1_
	.p2align	8
	.type	_ZN7rocprim17ROCPRIM_400000_NS6detail17trampoline_kernelINS0_14default_configENS1_20scan_config_selectorIiEEZZNS1_9scan_implILNS1_25lookback_scan_determinismE0ELb1ELb1ES3_N6thrust23THRUST_200600_302600_NS6detail15normal_iteratorINS9_10device_ptrIiEEEENS9_16discard_iteratorINS9_11use_defaultEEEiNS9_4plusIvEEiEEDaPvRmT3_T4_T5_mT6_P12ihipStream_tbENKUlT_T0_E_clISt17integral_constantIbLb1EESX_EEDaSS_ST_EUlSS_E_NS1_11comp_targetILNS1_3genE8ELNS1_11target_archE1030ELNS1_3gpuE2ELNS1_3repE0EEENS1_30default_config_static_selectorELNS0_4arch9wavefront6targetE1EEEvT1_,@function
_ZN7rocprim17ROCPRIM_400000_NS6detail17trampoline_kernelINS0_14default_configENS1_20scan_config_selectorIiEEZZNS1_9scan_implILNS1_25lookback_scan_determinismE0ELb1ELb1ES3_N6thrust23THRUST_200600_302600_NS6detail15normal_iteratorINS9_10device_ptrIiEEEENS9_16discard_iteratorINS9_11use_defaultEEEiNS9_4plusIvEEiEEDaPvRmT3_T4_T5_mT6_P12ihipStream_tbENKUlT_T0_E_clISt17integral_constantIbLb1EESX_EEDaSS_ST_EUlSS_E_NS1_11comp_targetILNS1_3genE8ELNS1_11target_archE1030ELNS1_3gpuE2ELNS1_3repE0EEENS1_30default_config_static_selectorELNS0_4arch9wavefront6targetE1EEEvT1_: ; @_ZN7rocprim17ROCPRIM_400000_NS6detail17trampoline_kernelINS0_14default_configENS1_20scan_config_selectorIiEEZZNS1_9scan_implILNS1_25lookback_scan_determinismE0ELb1ELb1ES3_N6thrust23THRUST_200600_302600_NS6detail15normal_iteratorINS9_10device_ptrIiEEEENS9_16discard_iteratorINS9_11use_defaultEEEiNS9_4plusIvEEiEEDaPvRmT3_T4_T5_mT6_P12ihipStream_tbENKUlT_T0_E_clISt17integral_constantIbLb1EESX_EEDaSS_ST_EUlSS_E_NS1_11comp_targetILNS1_3genE8ELNS1_11target_archE1030ELNS1_3gpuE2ELNS1_3repE0EEENS1_30default_config_static_selectorELNS0_4arch9wavefront6targetE1EEEvT1_
; %bb.0:
	.section	.rodata,"a",@progbits
	.p2align	6, 0x0
	.amdhsa_kernel _ZN7rocprim17ROCPRIM_400000_NS6detail17trampoline_kernelINS0_14default_configENS1_20scan_config_selectorIiEEZZNS1_9scan_implILNS1_25lookback_scan_determinismE0ELb1ELb1ES3_N6thrust23THRUST_200600_302600_NS6detail15normal_iteratorINS9_10device_ptrIiEEEENS9_16discard_iteratorINS9_11use_defaultEEEiNS9_4plusIvEEiEEDaPvRmT3_T4_T5_mT6_P12ihipStream_tbENKUlT_T0_E_clISt17integral_constantIbLb1EESX_EEDaSS_ST_EUlSS_E_NS1_11comp_targetILNS1_3genE8ELNS1_11target_archE1030ELNS1_3gpuE2ELNS1_3repE0EEENS1_30default_config_static_selectorELNS0_4arch9wavefront6targetE1EEEvT1_
		.amdhsa_group_segment_fixed_size 0
		.amdhsa_private_segment_fixed_size 0
		.amdhsa_kernarg_size 104
		.amdhsa_user_sgpr_count 6
		.amdhsa_user_sgpr_private_segment_buffer 1
		.amdhsa_user_sgpr_dispatch_ptr 0
		.amdhsa_user_sgpr_queue_ptr 0
		.amdhsa_user_sgpr_kernarg_segment_ptr 1
		.amdhsa_user_sgpr_dispatch_id 0
		.amdhsa_user_sgpr_flat_scratch_init 0
		.amdhsa_user_sgpr_kernarg_preload_length 0
		.amdhsa_user_sgpr_kernarg_preload_offset 0
		.amdhsa_user_sgpr_private_segment_size 0
		.amdhsa_uses_dynamic_stack 0
		.amdhsa_system_sgpr_private_segment_wavefront_offset 0
		.amdhsa_system_sgpr_workgroup_id_x 1
		.amdhsa_system_sgpr_workgroup_id_y 0
		.amdhsa_system_sgpr_workgroup_id_z 0
		.amdhsa_system_sgpr_workgroup_info 0
		.amdhsa_system_vgpr_workitem_id 0
		.amdhsa_next_free_vgpr 1
		.amdhsa_next_free_sgpr 0
		.amdhsa_accum_offset 4
		.amdhsa_reserve_vcc 0
		.amdhsa_reserve_flat_scratch 0
		.amdhsa_float_round_mode_32 0
		.amdhsa_float_round_mode_16_64 0
		.amdhsa_float_denorm_mode_32 3
		.amdhsa_float_denorm_mode_16_64 3
		.amdhsa_dx10_clamp 1
		.amdhsa_ieee_mode 1
		.amdhsa_fp16_overflow 0
		.amdhsa_tg_split 0
		.amdhsa_exception_fp_ieee_invalid_op 0
		.amdhsa_exception_fp_denorm_src 0
		.amdhsa_exception_fp_ieee_div_zero 0
		.amdhsa_exception_fp_ieee_overflow 0
		.amdhsa_exception_fp_ieee_underflow 0
		.amdhsa_exception_fp_ieee_inexact 0
		.amdhsa_exception_int_div_zero 0
	.end_amdhsa_kernel
	.section	.text._ZN7rocprim17ROCPRIM_400000_NS6detail17trampoline_kernelINS0_14default_configENS1_20scan_config_selectorIiEEZZNS1_9scan_implILNS1_25lookback_scan_determinismE0ELb1ELb1ES3_N6thrust23THRUST_200600_302600_NS6detail15normal_iteratorINS9_10device_ptrIiEEEENS9_16discard_iteratorINS9_11use_defaultEEEiNS9_4plusIvEEiEEDaPvRmT3_T4_T5_mT6_P12ihipStream_tbENKUlT_T0_E_clISt17integral_constantIbLb1EESX_EEDaSS_ST_EUlSS_E_NS1_11comp_targetILNS1_3genE8ELNS1_11target_archE1030ELNS1_3gpuE2ELNS1_3repE0EEENS1_30default_config_static_selectorELNS0_4arch9wavefront6targetE1EEEvT1_,"axG",@progbits,_ZN7rocprim17ROCPRIM_400000_NS6detail17trampoline_kernelINS0_14default_configENS1_20scan_config_selectorIiEEZZNS1_9scan_implILNS1_25lookback_scan_determinismE0ELb1ELb1ES3_N6thrust23THRUST_200600_302600_NS6detail15normal_iteratorINS9_10device_ptrIiEEEENS9_16discard_iteratorINS9_11use_defaultEEEiNS9_4plusIvEEiEEDaPvRmT3_T4_T5_mT6_P12ihipStream_tbENKUlT_T0_E_clISt17integral_constantIbLb1EESX_EEDaSS_ST_EUlSS_E_NS1_11comp_targetILNS1_3genE8ELNS1_11target_archE1030ELNS1_3gpuE2ELNS1_3repE0EEENS1_30default_config_static_selectorELNS0_4arch9wavefront6targetE1EEEvT1_,comdat
.Lfunc_end5824:
	.size	_ZN7rocprim17ROCPRIM_400000_NS6detail17trampoline_kernelINS0_14default_configENS1_20scan_config_selectorIiEEZZNS1_9scan_implILNS1_25lookback_scan_determinismE0ELb1ELb1ES3_N6thrust23THRUST_200600_302600_NS6detail15normal_iteratorINS9_10device_ptrIiEEEENS9_16discard_iteratorINS9_11use_defaultEEEiNS9_4plusIvEEiEEDaPvRmT3_T4_T5_mT6_P12ihipStream_tbENKUlT_T0_E_clISt17integral_constantIbLb1EESX_EEDaSS_ST_EUlSS_E_NS1_11comp_targetILNS1_3genE8ELNS1_11target_archE1030ELNS1_3gpuE2ELNS1_3repE0EEENS1_30default_config_static_selectorELNS0_4arch9wavefront6targetE1EEEvT1_, .Lfunc_end5824-_ZN7rocprim17ROCPRIM_400000_NS6detail17trampoline_kernelINS0_14default_configENS1_20scan_config_selectorIiEEZZNS1_9scan_implILNS1_25lookback_scan_determinismE0ELb1ELb1ES3_N6thrust23THRUST_200600_302600_NS6detail15normal_iteratorINS9_10device_ptrIiEEEENS9_16discard_iteratorINS9_11use_defaultEEEiNS9_4plusIvEEiEEDaPvRmT3_T4_T5_mT6_P12ihipStream_tbENKUlT_T0_E_clISt17integral_constantIbLb1EESX_EEDaSS_ST_EUlSS_E_NS1_11comp_targetILNS1_3genE8ELNS1_11target_archE1030ELNS1_3gpuE2ELNS1_3repE0EEENS1_30default_config_static_selectorELNS0_4arch9wavefront6targetE1EEEvT1_
                                        ; -- End function
	.section	.AMDGPU.csdata,"",@progbits
; Kernel info:
; codeLenInByte = 0
; NumSgprs: 4
; NumVgprs: 0
; NumAgprs: 0
; TotalNumVgprs: 0
; ScratchSize: 0
; MemoryBound: 0
; FloatMode: 240
; IeeeMode: 1
; LDSByteSize: 0 bytes/workgroup (compile time only)
; SGPRBlocks: 0
; VGPRBlocks: 0
; NumSGPRsForWavesPerEU: 4
; NumVGPRsForWavesPerEU: 1
; AccumOffset: 4
; Occupancy: 8
; WaveLimiterHint : 0
; COMPUTE_PGM_RSRC2:SCRATCH_EN: 0
; COMPUTE_PGM_RSRC2:USER_SGPR: 6
; COMPUTE_PGM_RSRC2:TRAP_HANDLER: 0
; COMPUTE_PGM_RSRC2:TGID_X_EN: 1
; COMPUTE_PGM_RSRC2:TGID_Y_EN: 0
; COMPUTE_PGM_RSRC2:TGID_Z_EN: 0
; COMPUTE_PGM_RSRC2:TIDIG_COMP_CNT: 0
; COMPUTE_PGM_RSRC3_GFX90A:ACCUM_OFFSET: 0
; COMPUTE_PGM_RSRC3_GFX90A:TG_SPLIT: 0
	.section	.text._ZN7rocprim17ROCPRIM_400000_NS6detail17trampoline_kernelINS0_14default_configENS1_20scan_config_selectorIiEEZZNS1_9scan_implILNS1_25lookback_scan_determinismE0ELb1ELb1ES3_N6thrust23THRUST_200600_302600_NS6detail15normal_iteratorINS9_10device_ptrIiEEEENS9_16discard_iteratorINS9_11use_defaultEEEiNS9_4plusIvEEiEEDaPvRmT3_T4_T5_mT6_P12ihipStream_tbENKUlT_T0_E_clISt17integral_constantIbLb1EESX_EEDaSS_ST_EUlSS_E0_NS1_11comp_targetILNS1_3genE0ELNS1_11target_archE4294967295ELNS1_3gpuE0ELNS1_3repE0EEENS1_30default_config_static_selectorELNS0_4arch9wavefront6targetE1EEEvT1_,"axG",@progbits,_ZN7rocprim17ROCPRIM_400000_NS6detail17trampoline_kernelINS0_14default_configENS1_20scan_config_selectorIiEEZZNS1_9scan_implILNS1_25lookback_scan_determinismE0ELb1ELb1ES3_N6thrust23THRUST_200600_302600_NS6detail15normal_iteratorINS9_10device_ptrIiEEEENS9_16discard_iteratorINS9_11use_defaultEEEiNS9_4plusIvEEiEEDaPvRmT3_T4_T5_mT6_P12ihipStream_tbENKUlT_T0_E_clISt17integral_constantIbLb1EESX_EEDaSS_ST_EUlSS_E0_NS1_11comp_targetILNS1_3genE0ELNS1_11target_archE4294967295ELNS1_3gpuE0ELNS1_3repE0EEENS1_30default_config_static_selectorELNS0_4arch9wavefront6targetE1EEEvT1_,comdat
	.protected	_ZN7rocprim17ROCPRIM_400000_NS6detail17trampoline_kernelINS0_14default_configENS1_20scan_config_selectorIiEEZZNS1_9scan_implILNS1_25lookback_scan_determinismE0ELb1ELb1ES3_N6thrust23THRUST_200600_302600_NS6detail15normal_iteratorINS9_10device_ptrIiEEEENS9_16discard_iteratorINS9_11use_defaultEEEiNS9_4plusIvEEiEEDaPvRmT3_T4_T5_mT6_P12ihipStream_tbENKUlT_T0_E_clISt17integral_constantIbLb1EESX_EEDaSS_ST_EUlSS_E0_NS1_11comp_targetILNS1_3genE0ELNS1_11target_archE4294967295ELNS1_3gpuE0ELNS1_3repE0EEENS1_30default_config_static_selectorELNS0_4arch9wavefront6targetE1EEEvT1_ ; -- Begin function _ZN7rocprim17ROCPRIM_400000_NS6detail17trampoline_kernelINS0_14default_configENS1_20scan_config_selectorIiEEZZNS1_9scan_implILNS1_25lookback_scan_determinismE0ELb1ELb1ES3_N6thrust23THRUST_200600_302600_NS6detail15normal_iteratorINS9_10device_ptrIiEEEENS9_16discard_iteratorINS9_11use_defaultEEEiNS9_4plusIvEEiEEDaPvRmT3_T4_T5_mT6_P12ihipStream_tbENKUlT_T0_E_clISt17integral_constantIbLb1EESX_EEDaSS_ST_EUlSS_E0_NS1_11comp_targetILNS1_3genE0ELNS1_11target_archE4294967295ELNS1_3gpuE0ELNS1_3repE0EEENS1_30default_config_static_selectorELNS0_4arch9wavefront6targetE1EEEvT1_
	.globl	_ZN7rocprim17ROCPRIM_400000_NS6detail17trampoline_kernelINS0_14default_configENS1_20scan_config_selectorIiEEZZNS1_9scan_implILNS1_25lookback_scan_determinismE0ELb1ELb1ES3_N6thrust23THRUST_200600_302600_NS6detail15normal_iteratorINS9_10device_ptrIiEEEENS9_16discard_iteratorINS9_11use_defaultEEEiNS9_4plusIvEEiEEDaPvRmT3_T4_T5_mT6_P12ihipStream_tbENKUlT_T0_E_clISt17integral_constantIbLb1EESX_EEDaSS_ST_EUlSS_E0_NS1_11comp_targetILNS1_3genE0ELNS1_11target_archE4294967295ELNS1_3gpuE0ELNS1_3repE0EEENS1_30default_config_static_selectorELNS0_4arch9wavefront6targetE1EEEvT1_
	.p2align	8
	.type	_ZN7rocprim17ROCPRIM_400000_NS6detail17trampoline_kernelINS0_14default_configENS1_20scan_config_selectorIiEEZZNS1_9scan_implILNS1_25lookback_scan_determinismE0ELb1ELb1ES3_N6thrust23THRUST_200600_302600_NS6detail15normal_iteratorINS9_10device_ptrIiEEEENS9_16discard_iteratorINS9_11use_defaultEEEiNS9_4plusIvEEiEEDaPvRmT3_T4_T5_mT6_P12ihipStream_tbENKUlT_T0_E_clISt17integral_constantIbLb1EESX_EEDaSS_ST_EUlSS_E0_NS1_11comp_targetILNS1_3genE0ELNS1_11target_archE4294967295ELNS1_3gpuE0ELNS1_3repE0EEENS1_30default_config_static_selectorELNS0_4arch9wavefront6targetE1EEEvT1_,@function
_ZN7rocprim17ROCPRIM_400000_NS6detail17trampoline_kernelINS0_14default_configENS1_20scan_config_selectorIiEEZZNS1_9scan_implILNS1_25lookback_scan_determinismE0ELb1ELb1ES3_N6thrust23THRUST_200600_302600_NS6detail15normal_iteratorINS9_10device_ptrIiEEEENS9_16discard_iteratorINS9_11use_defaultEEEiNS9_4plusIvEEiEEDaPvRmT3_T4_T5_mT6_P12ihipStream_tbENKUlT_T0_E_clISt17integral_constantIbLb1EESX_EEDaSS_ST_EUlSS_E0_NS1_11comp_targetILNS1_3genE0ELNS1_11target_archE4294967295ELNS1_3gpuE0ELNS1_3repE0EEENS1_30default_config_static_selectorELNS0_4arch9wavefront6targetE1EEEvT1_: ; @_ZN7rocprim17ROCPRIM_400000_NS6detail17trampoline_kernelINS0_14default_configENS1_20scan_config_selectorIiEEZZNS1_9scan_implILNS1_25lookback_scan_determinismE0ELb1ELb1ES3_N6thrust23THRUST_200600_302600_NS6detail15normal_iteratorINS9_10device_ptrIiEEEENS9_16discard_iteratorINS9_11use_defaultEEEiNS9_4plusIvEEiEEDaPvRmT3_T4_T5_mT6_P12ihipStream_tbENKUlT_T0_E_clISt17integral_constantIbLb1EESX_EEDaSS_ST_EUlSS_E0_NS1_11comp_targetILNS1_3genE0ELNS1_11target_archE4294967295ELNS1_3gpuE0ELNS1_3repE0EEENS1_30default_config_static_selectorELNS0_4arch9wavefront6targetE1EEEvT1_
; %bb.0:
	.section	.rodata,"a",@progbits
	.p2align	6, 0x0
	.amdhsa_kernel _ZN7rocprim17ROCPRIM_400000_NS6detail17trampoline_kernelINS0_14default_configENS1_20scan_config_selectorIiEEZZNS1_9scan_implILNS1_25lookback_scan_determinismE0ELb1ELb1ES3_N6thrust23THRUST_200600_302600_NS6detail15normal_iteratorINS9_10device_ptrIiEEEENS9_16discard_iteratorINS9_11use_defaultEEEiNS9_4plusIvEEiEEDaPvRmT3_T4_T5_mT6_P12ihipStream_tbENKUlT_T0_E_clISt17integral_constantIbLb1EESX_EEDaSS_ST_EUlSS_E0_NS1_11comp_targetILNS1_3genE0ELNS1_11target_archE4294967295ELNS1_3gpuE0ELNS1_3repE0EEENS1_30default_config_static_selectorELNS0_4arch9wavefront6targetE1EEEvT1_
		.amdhsa_group_segment_fixed_size 0
		.amdhsa_private_segment_fixed_size 0
		.amdhsa_kernarg_size 40
		.amdhsa_user_sgpr_count 6
		.amdhsa_user_sgpr_private_segment_buffer 1
		.amdhsa_user_sgpr_dispatch_ptr 0
		.amdhsa_user_sgpr_queue_ptr 0
		.amdhsa_user_sgpr_kernarg_segment_ptr 1
		.amdhsa_user_sgpr_dispatch_id 0
		.amdhsa_user_sgpr_flat_scratch_init 0
		.amdhsa_user_sgpr_kernarg_preload_length 0
		.amdhsa_user_sgpr_kernarg_preload_offset 0
		.amdhsa_user_sgpr_private_segment_size 0
		.amdhsa_uses_dynamic_stack 0
		.amdhsa_system_sgpr_private_segment_wavefront_offset 0
		.amdhsa_system_sgpr_workgroup_id_x 1
		.amdhsa_system_sgpr_workgroup_id_y 0
		.amdhsa_system_sgpr_workgroup_id_z 0
		.amdhsa_system_sgpr_workgroup_info 0
		.amdhsa_system_vgpr_workitem_id 0
		.amdhsa_next_free_vgpr 1
		.amdhsa_next_free_sgpr 0
		.amdhsa_accum_offset 4
		.amdhsa_reserve_vcc 0
		.amdhsa_reserve_flat_scratch 0
		.amdhsa_float_round_mode_32 0
		.amdhsa_float_round_mode_16_64 0
		.amdhsa_float_denorm_mode_32 3
		.amdhsa_float_denorm_mode_16_64 3
		.amdhsa_dx10_clamp 1
		.amdhsa_ieee_mode 1
		.amdhsa_fp16_overflow 0
		.amdhsa_tg_split 0
		.amdhsa_exception_fp_ieee_invalid_op 0
		.amdhsa_exception_fp_denorm_src 0
		.amdhsa_exception_fp_ieee_div_zero 0
		.amdhsa_exception_fp_ieee_overflow 0
		.amdhsa_exception_fp_ieee_underflow 0
		.amdhsa_exception_fp_ieee_inexact 0
		.amdhsa_exception_int_div_zero 0
	.end_amdhsa_kernel
	.section	.text._ZN7rocprim17ROCPRIM_400000_NS6detail17trampoline_kernelINS0_14default_configENS1_20scan_config_selectorIiEEZZNS1_9scan_implILNS1_25lookback_scan_determinismE0ELb1ELb1ES3_N6thrust23THRUST_200600_302600_NS6detail15normal_iteratorINS9_10device_ptrIiEEEENS9_16discard_iteratorINS9_11use_defaultEEEiNS9_4plusIvEEiEEDaPvRmT3_T4_T5_mT6_P12ihipStream_tbENKUlT_T0_E_clISt17integral_constantIbLb1EESX_EEDaSS_ST_EUlSS_E0_NS1_11comp_targetILNS1_3genE0ELNS1_11target_archE4294967295ELNS1_3gpuE0ELNS1_3repE0EEENS1_30default_config_static_selectorELNS0_4arch9wavefront6targetE1EEEvT1_,"axG",@progbits,_ZN7rocprim17ROCPRIM_400000_NS6detail17trampoline_kernelINS0_14default_configENS1_20scan_config_selectorIiEEZZNS1_9scan_implILNS1_25lookback_scan_determinismE0ELb1ELb1ES3_N6thrust23THRUST_200600_302600_NS6detail15normal_iteratorINS9_10device_ptrIiEEEENS9_16discard_iteratorINS9_11use_defaultEEEiNS9_4plusIvEEiEEDaPvRmT3_T4_T5_mT6_P12ihipStream_tbENKUlT_T0_E_clISt17integral_constantIbLb1EESX_EEDaSS_ST_EUlSS_E0_NS1_11comp_targetILNS1_3genE0ELNS1_11target_archE4294967295ELNS1_3gpuE0ELNS1_3repE0EEENS1_30default_config_static_selectorELNS0_4arch9wavefront6targetE1EEEvT1_,comdat
.Lfunc_end5825:
	.size	_ZN7rocprim17ROCPRIM_400000_NS6detail17trampoline_kernelINS0_14default_configENS1_20scan_config_selectorIiEEZZNS1_9scan_implILNS1_25lookback_scan_determinismE0ELb1ELb1ES3_N6thrust23THRUST_200600_302600_NS6detail15normal_iteratorINS9_10device_ptrIiEEEENS9_16discard_iteratorINS9_11use_defaultEEEiNS9_4plusIvEEiEEDaPvRmT3_T4_T5_mT6_P12ihipStream_tbENKUlT_T0_E_clISt17integral_constantIbLb1EESX_EEDaSS_ST_EUlSS_E0_NS1_11comp_targetILNS1_3genE0ELNS1_11target_archE4294967295ELNS1_3gpuE0ELNS1_3repE0EEENS1_30default_config_static_selectorELNS0_4arch9wavefront6targetE1EEEvT1_, .Lfunc_end5825-_ZN7rocprim17ROCPRIM_400000_NS6detail17trampoline_kernelINS0_14default_configENS1_20scan_config_selectorIiEEZZNS1_9scan_implILNS1_25lookback_scan_determinismE0ELb1ELb1ES3_N6thrust23THRUST_200600_302600_NS6detail15normal_iteratorINS9_10device_ptrIiEEEENS9_16discard_iteratorINS9_11use_defaultEEEiNS9_4plusIvEEiEEDaPvRmT3_T4_T5_mT6_P12ihipStream_tbENKUlT_T0_E_clISt17integral_constantIbLb1EESX_EEDaSS_ST_EUlSS_E0_NS1_11comp_targetILNS1_3genE0ELNS1_11target_archE4294967295ELNS1_3gpuE0ELNS1_3repE0EEENS1_30default_config_static_selectorELNS0_4arch9wavefront6targetE1EEEvT1_
                                        ; -- End function
	.section	.AMDGPU.csdata,"",@progbits
; Kernel info:
; codeLenInByte = 0
; NumSgprs: 4
; NumVgprs: 0
; NumAgprs: 0
; TotalNumVgprs: 0
; ScratchSize: 0
; MemoryBound: 0
; FloatMode: 240
; IeeeMode: 1
; LDSByteSize: 0 bytes/workgroup (compile time only)
; SGPRBlocks: 0
; VGPRBlocks: 0
; NumSGPRsForWavesPerEU: 4
; NumVGPRsForWavesPerEU: 1
; AccumOffset: 4
; Occupancy: 8
; WaveLimiterHint : 0
; COMPUTE_PGM_RSRC2:SCRATCH_EN: 0
; COMPUTE_PGM_RSRC2:USER_SGPR: 6
; COMPUTE_PGM_RSRC2:TRAP_HANDLER: 0
; COMPUTE_PGM_RSRC2:TGID_X_EN: 1
; COMPUTE_PGM_RSRC2:TGID_Y_EN: 0
; COMPUTE_PGM_RSRC2:TGID_Z_EN: 0
; COMPUTE_PGM_RSRC2:TIDIG_COMP_CNT: 0
; COMPUTE_PGM_RSRC3_GFX90A:ACCUM_OFFSET: 0
; COMPUTE_PGM_RSRC3_GFX90A:TG_SPLIT: 0
	.section	.text._ZN7rocprim17ROCPRIM_400000_NS6detail17trampoline_kernelINS0_14default_configENS1_20scan_config_selectorIiEEZZNS1_9scan_implILNS1_25lookback_scan_determinismE0ELb1ELb1ES3_N6thrust23THRUST_200600_302600_NS6detail15normal_iteratorINS9_10device_ptrIiEEEENS9_16discard_iteratorINS9_11use_defaultEEEiNS9_4plusIvEEiEEDaPvRmT3_T4_T5_mT6_P12ihipStream_tbENKUlT_T0_E_clISt17integral_constantIbLb1EESX_EEDaSS_ST_EUlSS_E0_NS1_11comp_targetILNS1_3genE5ELNS1_11target_archE942ELNS1_3gpuE9ELNS1_3repE0EEENS1_30default_config_static_selectorELNS0_4arch9wavefront6targetE1EEEvT1_,"axG",@progbits,_ZN7rocprim17ROCPRIM_400000_NS6detail17trampoline_kernelINS0_14default_configENS1_20scan_config_selectorIiEEZZNS1_9scan_implILNS1_25lookback_scan_determinismE0ELb1ELb1ES3_N6thrust23THRUST_200600_302600_NS6detail15normal_iteratorINS9_10device_ptrIiEEEENS9_16discard_iteratorINS9_11use_defaultEEEiNS9_4plusIvEEiEEDaPvRmT3_T4_T5_mT6_P12ihipStream_tbENKUlT_T0_E_clISt17integral_constantIbLb1EESX_EEDaSS_ST_EUlSS_E0_NS1_11comp_targetILNS1_3genE5ELNS1_11target_archE942ELNS1_3gpuE9ELNS1_3repE0EEENS1_30default_config_static_selectorELNS0_4arch9wavefront6targetE1EEEvT1_,comdat
	.protected	_ZN7rocprim17ROCPRIM_400000_NS6detail17trampoline_kernelINS0_14default_configENS1_20scan_config_selectorIiEEZZNS1_9scan_implILNS1_25lookback_scan_determinismE0ELb1ELb1ES3_N6thrust23THRUST_200600_302600_NS6detail15normal_iteratorINS9_10device_ptrIiEEEENS9_16discard_iteratorINS9_11use_defaultEEEiNS9_4plusIvEEiEEDaPvRmT3_T4_T5_mT6_P12ihipStream_tbENKUlT_T0_E_clISt17integral_constantIbLb1EESX_EEDaSS_ST_EUlSS_E0_NS1_11comp_targetILNS1_3genE5ELNS1_11target_archE942ELNS1_3gpuE9ELNS1_3repE0EEENS1_30default_config_static_selectorELNS0_4arch9wavefront6targetE1EEEvT1_ ; -- Begin function _ZN7rocprim17ROCPRIM_400000_NS6detail17trampoline_kernelINS0_14default_configENS1_20scan_config_selectorIiEEZZNS1_9scan_implILNS1_25lookback_scan_determinismE0ELb1ELb1ES3_N6thrust23THRUST_200600_302600_NS6detail15normal_iteratorINS9_10device_ptrIiEEEENS9_16discard_iteratorINS9_11use_defaultEEEiNS9_4plusIvEEiEEDaPvRmT3_T4_T5_mT6_P12ihipStream_tbENKUlT_T0_E_clISt17integral_constantIbLb1EESX_EEDaSS_ST_EUlSS_E0_NS1_11comp_targetILNS1_3genE5ELNS1_11target_archE942ELNS1_3gpuE9ELNS1_3repE0EEENS1_30default_config_static_selectorELNS0_4arch9wavefront6targetE1EEEvT1_
	.globl	_ZN7rocprim17ROCPRIM_400000_NS6detail17trampoline_kernelINS0_14default_configENS1_20scan_config_selectorIiEEZZNS1_9scan_implILNS1_25lookback_scan_determinismE0ELb1ELb1ES3_N6thrust23THRUST_200600_302600_NS6detail15normal_iteratorINS9_10device_ptrIiEEEENS9_16discard_iteratorINS9_11use_defaultEEEiNS9_4plusIvEEiEEDaPvRmT3_T4_T5_mT6_P12ihipStream_tbENKUlT_T0_E_clISt17integral_constantIbLb1EESX_EEDaSS_ST_EUlSS_E0_NS1_11comp_targetILNS1_3genE5ELNS1_11target_archE942ELNS1_3gpuE9ELNS1_3repE0EEENS1_30default_config_static_selectorELNS0_4arch9wavefront6targetE1EEEvT1_
	.p2align	8
	.type	_ZN7rocprim17ROCPRIM_400000_NS6detail17trampoline_kernelINS0_14default_configENS1_20scan_config_selectorIiEEZZNS1_9scan_implILNS1_25lookback_scan_determinismE0ELb1ELb1ES3_N6thrust23THRUST_200600_302600_NS6detail15normal_iteratorINS9_10device_ptrIiEEEENS9_16discard_iteratorINS9_11use_defaultEEEiNS9_4plusIvEEiEEDaPvRmT3_T4_T5_mT6_P12ihipStream_tbENKUlT_T0_E_clISt17integral_constantIbLb1EESX_EEDaSS_ST_EUlSS_E0_NS1_11comp_targetILNS1_3genE5ELNS1_11target_archE942ELNS1_3gpuE9ELNS1_3repE0EEENS1_30default_config_static_selectorELNS0_4arch9wavefront6targetE1EEEvT1_,@function
_ZN7rocprim17ROCPRIM_400000_NS6detail17trampoline_kernelINS0_14default_configENS1_20scan_config_selectorIiEEZZNS1_9scan_implILNS1_25lookback_scan_determinismE0ELb1ELb1ES3_N6thrust23THRUST_200600_302600_NS6detail15normal_iteratorINS9_10device_ptrIiEEEENS9_16discard_iteratorINS9_11use_defaultEEEiNS9_4plusIvEEiEEDaPvRmT3_T4_T5_mT6_P12ihipStream_tbENKUlT_T0_E_clISt17integral_constantIbLb1EESX_EEDaSS_ST_EUlSS_E0_NS1_11comp_targetILNS1_3genE5ELNS1_11target_archE942ELNS1_3gpuE9ELNS1_3repE0EEENS1_30default_config_static_selectorELNS0_4arch9wavefront6targetE1EEEvT1_: ; @_ZN7rocprim17ROCPRIM_400000_NS6detail17trampoline_kernelINS0_14default_configENS1_20scan_config_selectorIiEEZZNS1_9scan_implILNS1_25lookback_scan_determinismE0ELb1ELb1ES3_N6thrust23THRUST_200600_302600_NS6detail15normal_iteratorINS9_10device_ptrIiEEEENS9_16discard_iteratorINS9_11use_defaultEEEiNS9_4plusIvEEiEEDaPvRmT3_T4_T5_mT6_P12ihipStream_tbENKUlT_T0_E_clISt17integral_constantIbLb1EESX_EEDaSS_ST_EUlSS_E0_NS1_11comp_targetILNS1_3genE5ELNS1_11target_archE942ELNS1_3gpuE9ELNS1_3repE0EEENS1_30default_config_static_selectorELNS0_4arch9wavefront6targetE1EEEvT1_
; %bb.0:
	.section	.rodata,"a",@progbits
	.p2align	6, 0x0
	.amdhsa_kernel _ZN7rocprim17ROCPRIM_400000_NS6detail17trampoline_kernelINS0_14default_configENS1_20scan_config_selectorIiEEZZNS1_9scan_implILNS1_25lookback_scan_determinismE0ELb1ELb1ES3_N6thrust23THRUST_200600_302600_NS6detail15normal_iteratorINS9_10device_ptrIiEEEENS9_16discard_iteratorINS9_11use_defaultEEEiNS9_4plusIvEEiEEDaPvRmT3_T4_T5_mT6_P12ihipStream_tbENKUlT_T0_E_clISt17integral_constantIbLb1EESX_EEDaSS_ST_EUlSS_E0_NS1_11comp_targetILNS1_3genE5ELNS1_11target_archE942ELNS1_3gpuE9ELNS1_3repE0EEENS1_30default_config_static_selectorELNS0_4arch9wavefront6targetE1EEEvT1_
		.amdhsa_group_segment_fixed_size 0
		.amdhsa_private_segment_fixed_size 0
		.amdhsa_kernarg_size 40
		.amdhsa_user_sgpr_count 6
		.amdhsa_user_sgpr_private_segment_buffer 1
		.amdhsa_user_sgpr_dispatch_ptr 0
		.amdhsa_user_sgpr_queue_ptr 0
		.amdhsa_user_sgpr_kernarg_segment_ptr 1
		.amdhsa_user_sgpr_dispatch_id 0
		.amdhsa_user_sgpr_flat_scratch_init 0
		.amdhsa_user_sgpr_kernarg_preload_length 0
		.amdhsa_user_sgpr_kernarg_preload_offset 0
		.amdhsa_user_sgpr_private_segment_size 0
		.amdhsa_uses_dynamic_stack 0
		.amdhsa_system_sgpr_private_segment_wavefront_offset 0
		.amdhsa_system_sgpr_workgroup_id_x 1
		.amdhsa_system_sgpr_workgroup_id_y 0
		.amdhsa_system_sgpr_workgroup_id_z 0
		.amdhsa_system_sgpr_workgroup_info 0
		.amdhsa_system_vgpr_workitem_id 0
		.amdhsa_next_free_vgpr 1
		.amdhsa_next_free_sgpr 0
		.amdhsa_accum_offset 4
		.amdhsa_reserve_vcc 0
		.amdhsa_reserve_flat_scratch 0
		.amdhsa_float_round_mode_32 0
		.amdhsa_float_round_mode_16_64 0
		.amdhsa_float_denorm_mode_32 3
		.amdhsa_float_denorm_mode_16_64 3
		.amdhsa_dx10_clamp 1
		.amdhsa_ieee_mode 1
		.amdhsa_fp16_overflow 0
		.amdhsa_tg_split 0
		.amdhsa_exception_fp_ieee_invalid_op 0
		.amdhsa_exception_fp_denorm_src 0
		.amdhsa_exception_fp_ieee_div_zero 0
		.amdhsa_exception_fp_ieee_overflow 0
		.amdhsa_exception_fp_ieee_underflow 0
		.amdhsa_exception_fp_ieee_inexact 0
		.amdhsa_exception_int_div_zero 0
	.end_amdhsa_kernel
	.section	.text._ZN7rocprim17ROCPRIM_400000_NS6detail17trampoline_kernelINS0_14default_configENS1_20scan_config_selectorIiEEZZNS1_9scan_implILNS1_25lookback_scan_determinismE0ELb1ELb1ES3_N6thrust23THRUST_200600_302600_NS6detail15normal_iteratorINS9_10device_ptrIiEEEENS9_16discard_iteratorINS9_11use_defaultEEEiNS9_4plusIvEEiEEDaPvRmT3_T4_T5_mT6_P12ihipStream_tbENKUlT_T0_E_clISt17integral_constantIbLb1EESX_EEDaSS_ST_EUlSS_E0_NS1_11comp_targetILNS1_3genE5ELNS1_11target_archE942ELNS1_3gpuE9ELNS1_3repE0EEENS1_30default_config_static_selectorELNS0_4arch9wavefront6targetE1EEEvT1_,"axG",@progbits,_ZN7rocprim17ROCPRIM_400000_NS6detail17trampoline_kernelINS0_14default_configENS1_20scan_config_selectorIiEEZZNS1_9scan_implILNS1_25lookback_scan_determinismE0ELb1ELb1ES3_N6thrust23THRUST_200600_302600_NS6detail15normal_iteratorINS9_10device_ptrIiEEEENS9_16discard_iteratorINS9_11use_defaultEEEiNS9_4plusIvEEiEEDaPvRmT3_T4_T5_mT6_P12ihipStream_tbENKUlT_T0_E_clISt17integral_constantIbLb1EESX_EEDaSS_ST_EUlSS_E0_NS1_11comp_targetILNS1_3genE5ELNS1_11target_archE942ELNS1_3gpuE9ELNS1_3repE0EEENS1_30default_config_static_selectorELNS0_4arch9wavefront6targetE1EEEvT1_,comdat
.Lfunc_end5826:
	.size	_ZN7rocprim17ROCPRIM_400000_NS6detail17trampoline_kernelINS0_14default_configENS1_20scan_config_selectorIiEEZZNS1_9scan_implILNS1_25lookback_scan_determinismE0ELb1ELb1ES3_N6thrust23THRUST_200600_302600_NS6detail15normal_iteratorINS9_10device_ptrIiEEEENS9_16discard_iteratorINS9_11use_defaultEEEiNS9_4plusIvEEiEEDaPvRmT3_T4_T5_mT6_P12ihipStream_tbENKUlT_T0_E_clISt17integral_constantIbLb1EESX_EEDaSS_ST_EUlSS_E0_NS1_11comp_targetILNS1_3genE5ELNS1_11target_archE942ELNS1_3gpuE9ELNS1_3repE0EEENS1_30default_config_static_selectorELNS0_4arch9wavefront6targetE1EEEvT1_, .Lfunc_end5826-_ZN7rocprim17ROCPRIM_400000_NS6detail17trampoline_kernelINS0_14default_configENS1_20scan_config_selectorIiEEZZNS1_9scan_implILNS1_25lookback_scan_determinismE0ELb1ELb1ES3_N6thrust23THRUST_200600_302600_NS6detail15normal_iteratorINS9_10device_ptrIiEEEENS9_16discard_iteratorINS9_11use_defaultEEEiNS9_4plusIvEEiEEDaPvRmT3_T4_T5_mT6_P12ihipStream_tbENKUlT_T0_E_clISt17integral_constantIbLb1EESX_EEDaSS_ST_EUlSS_E0_NS1_11comp_targetILNS1_3genE5ELNS1_11target_archE942ELNS1_3gpuE9ELNS1_3repE0EEENS1_30default_config_static_selectorELNS0_4arch9wavefront6targetE1EEEvT1_
                                        ; -- End function
	.section	.AMDGPU.csdata,"",@progbits
; Kernel info:
; codeLenInByte = 0
; NumSgprs: 4
; NumVgprs: 0
; NumAgprs: 0
; TotalNumVgprs: 0
; ScratchSize: 0
; MemoryBound: 0
; FloatMode: 240
; IeeeMode: 1
; LDSByteSize: 0 bytes/workgroup (compile time only)
; SGPRBlocks: 0
; VGPRBlocks: 0
; NumSGPRsForWavesPerEU: 4
; NumVGPRsForWavesPerEU: 1
; AccumOffset: 4
; Occupancy: 8
; WaveLimiterHint : 0
; COMPUTE_PGM_RSRC2:SCRATCH_EN: 0
; COMPUTE_PGM_RSRC2:USER_SGPR: 6
; COMPUTE_PGM_RSRC2:TRAP_HANDLER: 0
; COMPUTE_PGM_RSRC2:TGID_X_EN: 1
; COMPUTE_PGM_RSRC2:TGID_Y_EN: 0
; COMPUTE_PGM_RSRC2:TGID_Z_EN: 0
; COMPUTE_PGM_RSRC2:TIDIG_COMP_CNT: 0
; COMPUTE_PGM_RSRC3_GFX90A:ACCUM_OFFSET: 0
; COMPUTE_PGM_RSRC3_GFX90A:TG_SPLIT: 0
	.section	.text._ZN7rocprim17ROCPRIM_400000_NS6detail17trampoline_kernelINS0_14default_configENS1_20scan_config_selectorIiEEZZNS1_9scan_implILNS1_25lookback_scan_determinismE0ELb1ELb1ES3_N6thrust23THRUST_200600_302600_NS6detail15normal_iteratorINS9_10device_ptrIiEEEENS9_16discard_iteratorINS9_11use_defaultEEEiNS9_4plusIvEEiEEDaPvRmT3_T4_T5_mT6_P12ihipStream_tbENKUlT_T0_E_clISt17integral_constantIbLb1EESX_EEDaSS_ST_EUlSS_E0_NS1_11comp_targetILNS1_3genE4ELNS1_11target_archE910ELNS1_3gpuE8ELNS1_3repE0EEENS1_30default_config_static_selectorELNS0_4arch9wavefront6targetE1EEEvT1_,"axG",@progbits,_ZN7rocprim17ROCPRIM_400000_NS6detail17trampoline_kernelINS0_14default_configENS1_20scan_config_selectorIiEEZZNS1_9scan_implILNS1_25lookback_scan_determinismE0ELb1ELb1ES3_N6thrust23THRUST_200600_302600_NS6detail15normal_iteratorINS9_10device_ptrIiEEEENS9_16discard_iteratorINS9_11use_defaultEEEiNS9_4plusIvEEiEEDaPvRmT3_T4_T5_mT6_P12ihipStream_tbENKUlT_T0_E_clISt17integral_constantIbLb1EESX_EEDaSS_ST_EUlSS_E0_NS1_11comp_targetILNS1_3genE4ELNS1_11target_archE910ELNS1_3gpuE8ELNS1_3repE0EEENS1_30default_config_static_selectorELNS0_4arch9wavefront6targetE1EEEvT1_,comdat
	.protected	_ZN7rocprim17ROCPRIM_400000_NS6detail17trampoline_kernelINS0_14default_configENS1_20scan_config_selectorIiEEZZNS1_9scan_implILNS1_25lookback_scan_determinismE0ELb1ELb1ES3_N6thrust23THRUST_200600_302600_NS6detail15normal_iteratorINS9_10device_ptrIiEEEENS9_16discard_iteratorINS9_11use_defaultEEEiNS9_4plusIvEEiEEDaPvRmT3_T4_T5_mT6_P12ihipStream_tbENKUlT_T0_E_clISt17integral_constantIbLb1EESX_EEDaSS_ST_EUlSS_E0_NS1_11comp_targetILNS1_3genE4ELNS1_11target_archE910ELNS1_3gpuE8ELNS1_3repE0EEENS1_30default_config_static_selectorELNS0_4arch9wavefront6targetE1EEEvT1_ ; -- Begin function _ZN7rocprim17ROCPRIM_400000_NS6detail17trampoline_kernelINS0_14default_configENS1_20scan_config_selectorIiEEZZNS1_9scan_implILNS1_25lookback_scan_determinismE0ELb1ELb1ES3_N6thrust23THRUST_200600_302600_NS6detail15normal_iteratorINS9_10device_ptrIiEEEENS9_16discard_iteratorINS9_11use_defaultEEEiNS9_4plusIvEEiEEDaPvRmT3_T4_T5_mT6_P12ihipStream_tbENKUlT_T0_E_clISt17integral_constantIbLb1EESX_EEDaSS_ST_EUlSS_E0_NS1_11comp_targetILNS1_3genE4ELNS1_11target_archE910ELNS1_3gpuE8ELNS1_3repE0EEENS1_30default_config_static_selectorELNS0_4arch9wavefront6targetE1EEEvT1_
	.globl	_ZN7rocprim17ROCPRIM_400000_NS6detail17trampoline_kernelINS0_14default_configENS1_20scan_config_selectorIiEEZZNS1_9scan_implILNS1_25lookback_scan_determinismE0ELb1ELb1ES3_N6thrust23THRUST_200600_302600_NS6detail15normal_iteratorINS9_10device_ptrIiEEEENS9_16discard_iteratorINS9_11use_defaultEEEiNS9_4plusIvEEiEEDaPvRmT3_T4_T5_mT6_P12ihipStream_tbENKUlT_T0_E_clISt17integral_constantIbLb1EESX_EEDaSS_ST_EUlSS_E0_NS1_11comp_targetILNS1_3genE4ELNS1_11target_archE910ELNS1_3gpuE8ELNS1_3repE0EEENS1_30default_config_static_selectorELNS0_4arch9wavefront6targetE1EEEvT1_
	.p2align	8
	.type	_ZN7rocprim17ROCPRIM_400000_NS6detail17trampoline_kernelINS0_14default_configENS1_20scan_config_selectorIiEEZZNS1_9scan_implILNS1_25lookback_scan_determinismE0ELb1ELb1ES3_N6thrust23THRUST_200600_302600_NS6detail15normal_iteratorINS9_10device_ptrIiEEEENS9_16discard_iteratorINS9_11use_defaultEEEiNS9_4plusIvEEiEEDaPvRmT3_T4_T5_mT6_P12ihipStream_tbENKUlT_T0_E_clISt17integral_constantIbLb1EESX_EEDaSS_ST_EUlSS_E0_NS1_11comp_targetILNS1_3genE4ELNS1_11target_archE910ELNS1_3gpuE8ELNS1_3repE0EEENS1_30default_config_static_selectorELNS0_4arch9wavefront6targetE1EEEvT1_,@function
_ZN7rocprim17ROCPRIM_400000_NS6detail17trampoline_kernelINS0_14default_configENS1_20scan_config_selectorIiEEZZNS1_9scan_implILNS1_25lookback_scan_determinismE0ELb1ELb1ES3_N6thrust23THRUST_200600_302600_NS6detail15normal_iteratorINS9_10device_ptrIiEEEENS9_16discard_iteratorINS9_11use_defaultEEEiNS9_4plusIvEEiEEDaPvRmT3_T4_T5_mT6_P12ihipStream_tbENKUlT_T0_E_clISt17integral_constantIbLb1EESX_EEDaSS_ST_EUlSS_E0_NS1_11comp_targetILNS1_3genE4ELNS1_11target_archE910ELNS1_3gpuE8ELNS1_3repE0EEENS1_30default_config_static_selectorELNS0_4arch9wavefront6targetE1EEEvT1_: ; @_ZN7rocprim17ROCPRIM_400000_NS6detail17trampoline_kernelINS0_14default_configENS1_20scan_config_selectorIiEEZZNS1_9scan_implILNS1_25lookback_scan_determinismE0ELb1ELb1ES3_N6thrust23THRUST_200600_302600_NS6detail15normal_iteratorINS9_10device_ptrIiEEEENS9_16discard_iteratorINS9_11use_defaultEEEiNS9_4plusIvEEiEEDaPvRmT3_T4_T5_mT6_P12ihipStream_tbENKUlT_T0_E_clISt17integral_constantIbLb1EESX_EEDaSS_ST_EUlSS_E0_NS1_11comp_targetILNS1_3genE4ELNS1_11target_archE910ELNS1_3gpuE8ELNS1_3repE0EEENS1_30default_config_static_selectorELNS0_4arch9wavefront6targetE1EEEvT1_
; %bb.0:
	s_load_dwordx4 s[0:3], s[4:5], 0x0
	v_lshlrev_b32_e32 v1, 2, v0
	s_waitcnt lgkmcnt(0)
	s_load_dword s3, s[0:1], 0x0
	v_cmp_gt_u32_e32 vcc, s2, v0
	s_waitcnt lgkmcnt(0)
	v_mov_b32_e32 v2, s3
	s_and_saveexec_b64 s[6:7], vcc
	s_cbranch_execz .LBB5827_2
; %bb.1:
	global_load_dword v2, v1, s[0:1]
.LBB5827_2:
	s_or_b64 exec, exec, s[6:7]
	v_or_b32_e32 v3, 0x80, v0
	v_cmp_gt_u32_e32 vcc, s2, v3
	v_mov_b32_e32 v3, s3
	s_and_saveexec_b64 s[6:7], vcc
	s_cbranch_execz .LBB5827_4
; %bb.3:
	global_load_dword v3, v1, s[0:1] offset:512
.LBB5827_4:
	s_or_b64 exec, exec, s[6:7]
	v_or_b32_e32 v4, 0x100, v0
	v_cmp_gt_u32_e32 vcc, s2, v4
	v_mov_b32_e32 v4, s3
	s_and_saveexec_b64 s[6:7], vcc
	s_cbranch_execz .LBB5827_6
; %bb.5:
	global_load_dword v4, v1, s[0:1] offset:1024
.LBB5827_6:
	;; [unrolled: 9-line block ×7, first 2 shown]
	s_or_b64 exec, exec, s[6:7]
	v_or_b32_e32 v11, 0x400, v0
	v_cmp_gt_u32_e32 vcc, s2, v11
	v_mov_b32_e32 v10, s3
	s_and_saveexec_b64 s[6:7], vcc
	s_cbranch_execz .LBB5827_18
; %bb.17:
	v_lshlrev_b32_e32 v10, 2, v11
	global_load_dword v10, v10, s[0:1]
.LBB5827_18:
	s_or_b64 exec, exec, s[6:7]
	s_load_dword s4, s[4:5], 0x10
	v_or_b32_e32 v12, 0x480, v0
	v_cmp_gt_u32_e32 vcc, s2, v12
	v_mov_b32_e32 v11, s3
	s_and_saveexec_b64 s[2:3], vcc
	s_cbranch_execz .LBB5827_20
; %bb.19:
	v_lshlrev_b32_e32 v11, 2, v12
	global_load_dword v11, v11, s[0:1]
.LBB5827_20:
	s_or_b64 exec, exec, s[2:3]
	s_waitcnt vmcnt(0)
	ds_write2st64_b32 v1, v2, v3 offset1:2
	ds_write2st64_b32 v1, v4, v5 offset0:4 offset1:6
	ds_write2st64_b32 v1, v6, v7 offset0:8 offset1:10
	;; [unrolled: 1-line block ×4, first 2 shown]
	v_mad_u32_u24 v10, v0, 36, v1
	s_waitcnt lgkmcnt(0)
	s_barrier
	ds_read2_b64 v[6:9], v10 offset1:1
	ds_read2_b64 v[2:5], v10 offset0:2 offset1:3
	ds_read_b64 v[10:11], v10 offset:32
	v_cmp_gt_u32_e32 vcc, 64, v0
	s_waitcnt lgkmcnt(0)
	v_add_u32_e32 v12, v7, v6
	v_add3_u32 v12, v12, v8, v9
	v_add3_u32 v12, v12, v2, v3
	;; [unrolled: 1-line block ×4, first 2 shown]
	v_lshrrev_b32_e32 v12, 3, v0
	v_and_b32_e32 v12, 12, v12
	v_add_u32_e32 v12, v1, v12
	s_barrier
	ds_write_b32 v12, v11
	s_waitcnt lgkmcnt(0)
	s_barrier
	s_and_saveexec_b64 s[0:1], vcc
	s_cbranch_execz .LBB5827_22
; %bb.21:
	v_lshlrev_b32_e32 v12, 1, v0
	v_lshrrev_b32_e32 v13, 4, v0
	v_add_lshl_u32 v14, v13, v12, 2
	ds_read2_b32 v[12:13], v14 offset1:1
	v_mbcnt_lo_u32_b32 v15, -1, 0
	v_mbcnt_hi_u32_b32 v15, -1, v15
	v_and_b32_e32 v16, 15, v15
	v_cmp_ne_u32_e32 vcc, 0, v16
	s_waitcnt lgkmcnt(0)
	v_add_u32_e32 v13, v13, v12
	; wave barrier
	s_nop 1
	v_mov_b32_dpp v17, v13 row_shr:1 row_mask:0xf bank_mask:0xf
	v_cndmask_b32_e32 v17, 0, v17, vcc
	v_add_u32_e32 v13, v17, v13
	v_cmp_lt_u32_e32 vcc, 1, v16
	s_nop 0
	v_mov_b32_dpp v17, v13 row_shr:2 row_mask:0xf bank_mask:0xf
	v_cndmask_b32_e32 v17, 0, v17, vcc
	v_add_u32_e32 v13, v13, v17
	v_cmp_lt_u32_e32 vcc, 3, v16
	;; [unrolled: 5-line block ×3, first 2 shown]
	s_nop 0
	v_mov_b32_dpp v17, v13 row_shr:8 row_mask:0xf bank_mask:0xf
	v_cndmask_b32_e32 v16, 0, v17, vcc
	v_add_u32_e32 v13, v13, v16
	v_bfe_i32 v17, v15, 4, 1
	v_cmp_lt_u32_e32 vcc, 31, v15
	v_mov_b32_dpp v16, v13 row_bcast:15 row_mask:0xf bank_mask:0xf
	v_and_b32_e32 v16, v17, v16
	v_add_u32_e32 v13, v13, v16
	v_and_b32_e32 v17, 64, v15
	s_nop 0
	v_mov_b32_dpp v16, v13 row_bcast:31 row_mask:0xf bank_mask:0xf
	v_cndmask_b32_e32 v16, 0, v16, vcc
	v_add_u32_e32 v13, v13, v16
	v_add_u32_e32 v16, -1, v15
	v_cmp_lt_i32_e32 vcc, v16, v17
	v_cndmask_b32_e32 v15, v16, v15, vcc
	v_lshlrev_b32_e32 v15, 2, v15
	ds_bpermute_b32 v13, v15, v13
	v_cmp_eq_u32_e32 vcc, 0, v0
	s_waitcnt lgkmcnt(0)
	v_add_u32_e32 v12, v13, v12
	v_cndmask_b32_e32 v11, v12, v11, vcc
	ds_write_b32 v14, v11
	; wave barrier
	ds_read_b32 v12, v14 offset:4
	s_waitcnt lgkmcnt(0)
	v_add_u32_e32 v11, v12, v11
	ds_write_b32 v14, v11 offset:4
.LBB5827_22:
	s_or_b64 exec, exec, s[0:1]
	v_mul_u32_u24_e32 v11, 36, v0
	v_cmp_ne_u32_e32 vcc, 0, v0
	v_mov_b32_e32 v12, s4
	s_waitcnt lgkmcnt(0)
	s_barrier
	s_and_saveexec_b64 s[0:1], vcc
	s_cbranch_execz .LBB5827_24
; %bb.23:
	v_add_u32_e32 v0, -1, v0
	v_lshrrev_b32_e32 v12, 5, v0
	v_add_lshl_u32 v0, v12, v0, 2
	ds_read_b32 v0, v0
	s_waitcnt lgkmcnt(0)
	v_add_u32_e32 v12, s4, v0
.LBB5827_24:
	s_or_b64 exec, exec, s[0:1]
	v_add_u32_e32 v13, v12, v6
	v_add_u32_e32 v6, v13, v7
	;; [unrolled: 1-line block ×10, first 2 shown]
	s_barrier
	ds_write2_b64 v0, v[12:13], v[6:7] offset1:1
	ds_write2_b64 v0, v[8:9], v[2:3] offset0:2 offset1:3
	ds_write_b64 v0, v[4:5] offset:32
	s_waitcnt lgkmcnt(0)
	s_barrier
	s_endpgm
	.section	.rodata,"a",@progbits
	.p2align	6, 0x0
	.amdhsa_kernel _ZN7rocprim17ROCPRIM_400000_NS6detail17trampoline_kernelINS0_14default_configENS1_20scan_config_selectorIiEEZZNS1_9scan_implILNS1_25lookback_scan_determinismE0ELb1ELb1ES3_N6thrust23THRUST_200600_302600_NS6detail15normal_iteratorINS9_10device_ptrIiEEEENS9_16discard_iteratorINS9_11use_defaultEEEiNS9_4plusIvEEiEEDaPvRmT3_T4_T5_mT6_P12ihipStream_tbENKUlT_T0_E_clISt17integral_constantIbLb1EESX_EEDaSS_ST_EUlSS_E0_NS1_11comp_targetILNS1_3genE4ELNS1_11target_archE910ELNS1_3gpuE8ELNS1_3repE0EEENS1_30default_config_static_selectorELNS0_4arch9wavefront6targetE1EEEvT1_
		.amdhsa_group_segment_fixed_size 5120
		.amdhsa_private_segment_fixed_size 0
		.amdhsa_kernarg_size 40
		.amdhsa_user_sgpr_count 6
		.amdhsa_user_sgpr_private_segment_buffer 1
		.amdhsa_user_sgpr_dispatch_ptr 0
		.amdhsa_user_sgpr_queue_ptr 0
		.amdhsa_user_sgpr_kernarg_segment_ptr 1
		.amdhsa_user_sgpr_dispatch_id 0
		.amdhsa_user_sgpr_flat_scratch_init 0
		.amdhsa_user_sgpr_kernarg_preload_length 0
		.amdhsa_user_sgpr_kernarg_preload_offset 0
		.amdhsa_user_sgpr_private_segment_size 0
		.amdhsa_uses_dynamic_stack 0
		.amdhsa_system_sgpr_private_segment_wavefront_offset 0
		.amdhsa_system_sgpr_workgroup_id_x 1
		.amdhsa_system_sgpr_workgroup_id_y 0
		.amdhsa_system_sgpr_workgroup_id_z 0
		.amdhsa_system_sgpr_workgroup_info 0
		.amdhsa_system_vgpr_workitem_id 0
		.amdhsa_next_free_vgpr 18
		.amdhsa_next_free_sgpr 8
		.amdhsa_accum_offset 20
		.amdhsa_reserve_vcc 1
		.amdhsa_reserve_flat_scratch 0
		.amdhsa_float_round_mode_32 0
		.amdhsa_float_round_mode_16_64 0
		.amdhsa_float_denorm_mode_32 3
		.amdhsa_float_denorm_mode_16_64 3
		.amdhsa_dx10_clamp 1
		.amdhsa_ieee_mode 1
		.amdhsa_fp16_overflow 0
		.amdhsa_tg_split 0
		.amdhsa_exception_fp_ieee_invalid_op 0
		.amdhsa_exception_fp_denorm_src 0
		.amdhsa_exception_fp_ieee_div_zero 0
		.amdhsa_exception_fp_ieee_overflow 0
		.amdhsa_exception_fp_ieee_underflow 0
		.amdhsa_exception_fp_ieee_inexact 0
		.amdhsa_exception_int_div_zero 0
	.end_amdhsa_kernel
	.section	.text._ZN7rocprim17ROCPRIM_400000_NS6detail17trampoline_kernelINS0_14default_configENS1_20scan_config_selectorIiEEZZNS1_9scan_implILNS1_25lookback_scan_determinismE0ELb1ELb1ES3_N6thrust23THRUST_200600_302600_NS6detail15normal_iteratorINS9_10device_ptrIiEEEENS9_16discard_iteratorINS9_11use_defaultEEEiNS9_4plusIvEEiEEDaPvRmT3_T4_T5_mT6_P12ihipStream_tbENKUlT_T0_E_clISt17integral_constantIbLb1EESX_EEDaSS_ST_EUlSS_E0_NS1_11comp_targetILNS1_3genE4ELNS1_11target_archE910ELNS1_3gpuE8ELNS1_3repE0EEENS1_30default_config_static_selectorELNS0_4arch9wavefront6targetE1EEEvT1_,"axG",@progbits,_ZN7rocprim17ROCPRIM_400000_NS6detail17trampoline_kernelINS0_14default_configENS1_20scan_config_selectorIiEEZZNS1_9scan_implILNS1_25lookback_scan_determinismE0ELb1ELb1ES3_N6thrust23THRUST_200600_302600_NS6detail15normal_iteratorINS9_10device_ptrIiEEEENS9_16discard_iteratorINS9_11use_defaultEEEiNS9_4plusIvEEiEEDaPvRmT3_T4_T5_mT6_P12ihipStream_tbENKUlT_T0_E_clISt17integral_constantIbLb1EESX_EEDaSS_ST_EUlSS_E0_NS1_11comp_targetILNS1_3genE4ELNS1_11target_archE910ELNS1_3gpuE8ELNS1_3repE0EEENS1_30default_config_static_selectorELNS0_4arch9wavefront6targetE1EEEvT1_,comdat
.Lfunc_end5827:
	.size	_ZN7rocprim17ROCPRIM_400000_NS6detail17trampoline_kernelINS0_14default_configENS1_20scan_config_selectorIiEEZZNS1_9scan_implILNS1_25lookback_scan_determinismE0ELb1ELb1ES3_N6thrust23THRUST_200600_302600_NS6detail15normal_iteratorINS9_10device_ptrIiEEEENS9_16discard_iteratorINS9_11use_defaultEEEiNS9_4plusIvEEiEEDaPvRmT3_T4_T5_mT6_P12ihipStream_tbENKUlT_T0_E_clISt17integral_constantIbLb1EESX_EEDaSS_ST_EUlSS_E0_NS1_11comp_targetILNS1_3genE4ELNS1_11target_archE910ELNS1_3gpuE8ELNS1_3repE0EEENS1_30default_config_static_selectorELNS0_4arch9wavefront6targetE1EEEvT1_, .Lfunc_end5827-_ZN7rocprim17ROCPRIM_400000_NS6detail17trampoline_kernelINS0_14default_configENS1_20scan_config_selectorIiEEZZNS1_9scan_implILNS1_25lookback_scan_determinismE0ELb1ELb1ES3_N6thrust23THRUST_200600_302600_NS6detail15normal_iteratorINS9_10device_ptrIiEEEENS9_16discard_iteratorINS9_11use_defaultEEEiNS9_4plusIvEEiEEDaPvRmT3_T4_T5_mT6_P12ihipStream_tbENKUlT_T0_E_clISt17integral_constantIbLb1EESX_EEDaSS_ST_EUlSS_E0_NS1_11comp_targetILNS1_3genE4ELNS1_11target_archE910ELNS1_3gpuE8ELNS1_3repE0EEENS1_30default_config_static_selectorELNS0_4arch9wavefront6targetE1EEEvT1_
                                        ; -- End function
	.section	.AMDGPU.csdata,"",@progbits
; Kernel info:
; codeLenInByte = 984
; NumSgprs: 12
; NumVgprs: 18
; NumAgprs: 0
; TotalNumVgprs: 18
; ScratchSize: 0
; MemoryBound: 0
; FloatMode: 240
; IeeeMode: 1
; LDSByteSize: 5120 bytes/workgroup (compile time only)
; SGPRBlocks: 1
; VGPRBlocks: 2
; NumSGPRsForWavesPerEU: 12
; NumVGPRsForWavesPerEU: 18
; AccumOffset: 20
; Occupancy: 6
; WaveLimiterHint : 0
; COMPUTE_PGM_RSRC2:SCRATCH_EN: 0
; COMPUTE_PGM_RSRC2:USER_SGPR: 6
; COMPUTE_PGM_RSRC2:TRAP_HANDLER: 0
; COMPUTE_PGM_RSRC2:TGID_X_EN: 1
; COMPUTE_PGM_RSRC2:TGID_Y_EN: 0
; COMPUTE_PGM_RSRC2:TGID_Z_EN: 0
; COMPUTE_PGM_RSRC2:TIDIG_COMP_CNT: 0
; COMPUTE_PGM_RSRC3_GFX90A:ACCUM_OFFSET: 4
; COMPUTE_PGM_RSRC3_GFX90A:TG_SPLIT: 0
	.section	.text._ZN7rocprim17ROCPRIM_400000_NS6detail17trampoline_kernelINS0_14default_configENS1_20scan_config_selectorIiEEZZNS1_9scan_implILNS1_25lookback_scan_determinismE0ELb1ELb1ES3_N6thrust23THRUST_200600_302600_NS6detail15normal_iteratorINS9_10device_ptrIiEEEENS9_16discard_iteratorINS9_11use_defaultEEEiNS9_4plusIvEEiEEDaPvRmT3_T4_T5_mT6_P12ihipStream_tbENKUlT_T0_E_clISt17integral_constantIbLb1EESX_EEDaSS_ST_EUlSS_E0_NS1_11comp_targetILNS1_3genE3ELNS1_11target_archE908ELNS1_3gpuE7ELNS1_3repE0EEENS1_30default_config_static_selectorELNS0_4arch9wavefront6targetE1EEEvT1_,"axG",@progbits,_ZN7rocprim17ROCPRIM_400000_NS6detail17trampoline_kernelINS0_14default_configENS1_20scan_config_selectorIiEEZZNS1_9scan_implILNS1_25lookback_scan_determinismE0ELb1ELb1ES3_N6thrust23THRUST_200600_302600_NS6detail15normal_iteratorINS9_10device_ptrIiEEEENS9_16discard_iteratorINS9_11use_defaultEEEiNS9_4plusIvEEiEEDaPvRmT3_T4_T5_mT6_P12ihipStream_tbENKUlT_T0_E_clISt17integral_constantIbLb1EESX_EEDaSS_ST_EUlSS_E0_NS1_11comp_targetILNS1_3genE3ELNS1_11target_archE908ELNS1_3gpuE7ELNS1_3repE0EEENS1_30default_config_static_selectorELNS0_4arch9wavefront6targetE1EEEvT1_,comdat
	.protected	_ZN7rocprim17ROCPRIM_400000_NS6detail17trampoline_kernelINS0_14default_configENS1_20scan_config_selectorIiEEZZNS1_9scan_implILNS1_25lookback_scan_determinismE0ELb1ELb1ES3_N6thrust23THRUST_200600_302600_NS6detail15normal_iteratorINS9_10device_ptrIiEEEENS9_16discard_iteratorINS9_11use_defaultEEEiNS9_4plusIvEEiEEDaPvRmT3_T4_T5_mT6_P12ihipStream_tbENKUlT_T0_E_clISt17integral_constantIbLb1EESX_EEDaSS_ST_EUlSS_E0_NS1_11comp_targetILNS1_3genE3ELNS1_11target_archE908ELNS1_3gpuE7ELNS1_3repE0EEENS1_30default_config_static_selectorELNS0_4arch9wavefront6targetE1EEEvT1_ ; -- Begin function _ZN7rocprim17ROCPRIM_400000_NS6detail17trampoline_kernelINS0_14default_configENS1_20scan_config_selectorIiEEZZNS1_9scan_implILNS1_25lookback_scan_determinismE0ELb1ELb1ES3_N6thrust23THRUST_200600_302600_NS6detail15normal_iteratorINS9_10device_ptrIiEEEENS9_16discard_iteratorINS9_11use_defaultEEEiNS9_4plusIvEEiEEDaPvRmT3_T4_T5_mT6_P12ihipStream_tbENKUlT_T0_E_clISt17integral_constantIbLb1EESX_EEDaSS_ST_EUlSS_E0_NS1_11comp_targetILNS1_3genE3ELNS1_11target_archE908ELNS1_3gpuE7ELNS1_3repE0EEENS1_30default_config_static_selectorELNS0_4arch9wavefront6targetE1EEEvT1_
	.globl	_ZN7rocprim17ROCPRIM_400000_NS6detail17trampoline_kernelINS0_14default_configENS1_20scan_config_selectorIiEEZZNS1_9scan_implILNS1_25lookback_scan_determinismE0ELb1ELb1ES3_N6thrust23THRUST_200600_302600_NS6detail15normal_iteratorINS9_10device_ptrIiEEEENS9_16discard_iteratorINS9_11use_defaultEEEiNS9_4plusIvEEiEEDaPvRmT3_T4_T5_mT6_P12ihipStream_tbENKUlT_T0_E_clISt17integral_constantIbLb1EESX_EEDaSS_ST_EUlSS_E0_NS1_11comp_targetILNS1_3genE3ELNS1_11target_archE908ELNS1_3gpuE7ELNS1_3repE0EEENS1_30default_config_static_selectorELNS0_4arch9wavefront6targetE1EEEvT1_
	.p2align	8
	.type	_ZN7rocprim17ROCPRIM_400000_NS6detail17trampoline_kernelINS0_14default_configENS1_20scan_config_selectorIiEEZZNS1_9scan_implILNS1_25lookback_scan_determinismE0ELb1ELb1ES3_N6thrust23THRUST_200600_302600_NS6detail15normal_iteratorINS9_10device_ptrIiEEEENS9_16discard_iteratorINS9_11use_defaultEEEiNS9_4plusIvEEiEEDaPvRmT3_T4_T5_mT6_P12ihipStream_tbENKUlT_T0_E_clISt17integral_constantIbLb1EESX_EEDaSS_ST_EUlSS_E0_NS1_11comp_targetILNS1_3genE3ELNS1_11target_archE908ELNS1_3gpuE7ELNS1_3repE0EEENS1_30default_config_static_selectorELNS0_4arch9wavefront6targetE1EEEvT1_,@function
_ZN7rocprim17ROCPRIM_400000_NS6detail17trampoline_kernelINS0_14default_configENS1_20scan_config_selectorIiEEZZNS1_9scan_implILNS1_25lookback_scan_determinismE0ELb1ELb1ES3_N6thrust23THRUST_200600_302600_NS6detail15normal_iteratorINS9_10device_ptrIiEEEENS9_16discard_iteratorINS9_11use_defaultEEEiNS9_4plusIvEEiEEDaPvRmT3_T4_T5_mT6_P12ihipStream_tbENKUlT_T0_E_clISt17integral_constantIbLb1EESX_EEDaSS_ST_EUlSS_E0_NS1_11comp_targetILNS1_3genE3ELNS1_11target_archE908ELNS1_3gpuE7ELNS1_3repE0EEENS1_30default_config_static_selectorELNS0_4arch9wavefront6targetE1EEEvT1_: ; @_ZN7rocprim17ROCPRIM_400000_NS6detail17trampoline_kernelINS0_14default_configENS1_20scan_config_selectorIiEEZZNS1_9scan_implILNS1_25lookback_scan_determinismE0ELb1ELb1ES3_N6thrust23THRUST_200600_302600_NS6detail15normal_iteratorINS9_10device_ptrIiEEEENS9_16discard_iteratorINS9_11use_defaultEEEiNS9_4plusIvEEiEEDaPvRmT3_T4_T5_mT6_P12ihipStream_tbENKUlT_T0_E_clISt17integral_constantIbLb1EESX_EEDaSS_ST_EUlSS_E0_NS1_11comp_targetILNS1_3genE3ELNS1_11target_archE908ELNS1_3gpuE7ELNS1_3repE0EEENS1_30default_config_static_selectorELNS0_4arch9wavefront6targetE1EEEvT1_
; %bb.0:
	.section	.rodata,"a",@progbits
	.p2align	6, 0x0
	.amdhsa_kernel _ZN7rocprim17ROCPRIM_400000_NS6detail17trampoline_kernelINS0_14default_configENS1_20scan_config_selectorIiEEZZNS1_9scan_implILNS1_25lookback_scan_determinismE0ELb1ELb1ES3_N6thrust23THRUST_200600_302600_NS6detail15normal_iteratorINS9_10device_ptrIiEEEENS9_16discard_iteratorINS9_11use_defaultEEEiNS9_4plusIvEEiEEDaPvRmT3_T4_T5_mT6_P12ihipStream_tbENKUlT_T0_E_clISt17integral_constantIbLb1EESX_EEDaSS_ST_EUlSS_E0_NS1_11comp_targetILNS1_3genE3ELNS1_11target_archE908ELNS1_3gpuE7ELNS1_3repE0EEENS1_30default_config_static_selectorELNS0_4arch9wavefront6targetE1EEEvT1_
		.amdhsa_group_segment_fixed_size 0
		.amdhsa_private_segment_fixed_size 0
		.amdhsa_kernarg_size 40
		.amdhsa_user_sgpr_count 6
		.amdhsa_user_sgpr_private_segment_buffer 1
		.amdhsa_user_sgpr_dispatch_ptr 0
		.amdhsa_user_sgpr_queue_ptr 0
		.amdhsa_user_sgpr_kernarg_segment_ptr 1
		.amdhsa_user_sgpr_dispatch_id 0
		.amdhsa_user_sgpr_flat_scratch_init 0
		.amdhsa_user_sgpr_kernarg_preload_length 0
		.amdhsa_user_sgpr_kernarg_preload_offset 0
		.amdhsa_user_sgpr_private_segment_size 0
		.amdhsa_uses_dynamic_stack 0
		.amdhsa_system_sgpr_private_segment_wavefront_offset 0
		.amdhsa_system_sgpr_workgroup_id_x 1
		.amdhsa_system_sgpr_workgroup_id_y 0
		.amdhsa_system_sgpr_workgroup_id_z 0
		.amdhsa_system_sgpr_workgroup_info 0
		.amdhsa_system_vgpr_workitem_id 0
		.amdhsa_next_free_vgpr 1
		.amdhsa_next_free_sgpr 0
		.amdhsa_accum_offset 4
		.amdhsa_reserve_vcc 0
		.amdhsa_reserve_flat_scratch 0
		.amdhsa_float_round_mode_32 0
		.amdhsa_float_round_mode_16_64 0
		.amdhsa_float_denorm_mode_32 3
		.amdhsa_float_denorm_mode_16_64 3
		.amdhsa_dx10_clamp 1
		.amdhsa_ieee_mode 1
		.amdhsa_fp16_overflow 0
		.amdhsa_tg_split 0
		.amdhsa_exception_fp_ieee_invalid_op 0
		.amdhsa_exception_fp_denorm_src 0
		.amdhsa_exception_fp_ieee_div_zero 0
		.amdhsa_exception_fp_ieee_overflow 0
		.amdhsa_exception_fp_ieee_underflow 0
		.amdhsa_exception_fp_ieee_inexact 0
		.amdhsa_exception_int_div_zero 0
	.end_amdhsa_kernel
	.section	.text._ZN7rocprim17ROCPRIM_400000_NS6detail17trampoline_kernelINS0_14default_configENS1_20scan_config_selectorIiEEZZNS1_9scan_implILNS1_25lookback_scan_determinismE0ELb1ELb1ES3_N6thrust23THRUST_200600_302600_NS6detail15normal_iteratorINS9_10device_ptrIiEEEENS9_16discard_iteratorINS9_11use_defaultEEEiNS9_4plusIvEEiEEDaPvRmT3_T4_T5_mT6_P12ihipStream_tbENKUlT_T0_E_clISt17integral_constantIbLb1EESX_EEDaSS_ST_EUlSS_E0_NS1_11comp_targetILNS1_3genE3ELNS1_11target_archE908ELNS1_3gpuE7ELNS1_3repE0EEENS1_30default_config_static_selectorELNS0_4arch9wavefront6targetE1EEEvT1_,"axG",@progbits,_ZN7rocprim17ROCPRIM_400000_NS6detail17trampoline_kernelINS0_14default_configENS1_20scan_config_selectorIiEEZZNS1_9scan_implILNS1_25lookback_scan_determinismE0ELb1ELb1ES3_N6thrust23THRUST_200600_302600_NS6detail15normal_iteratorINS9_10device_ptrIiEEEENS9_16discard_iteratorINS9_11use_defaultEEEiNS9_4plusIvEEiEEDaPvRmT3_T4_T5_mT6_P12ihipStream_tbENKUlT_T0_E_clISt17integral_constantIbLb1EESX_EEDaSS_ST_EUlSS_E0_NS1_11comp_targetILNS1_3genE3ELNS1_11target_archE908ELNS1_3gpuE7ELNS1_3repE0EEENS1_30default_config_static_selectorELNS0_4arch9wavefront6targetE1EEEvT1_,comdat
.Lfunc_end5828:
	.size	_ZN7rocprim17ROCPRIM_400000_NS6detail17trampoline_kernelINS0_14default_configENS1_20scan_config_selectorIiEEZZNS1_9scan_implILNS1_25lookback_scan_determinismE0ELb1ELb1ES3_N6thrust23THRUST_200600_302600_NS6detail15normal_iteratorINS9_10device_ptrIiEEEENS9_16discard_iteratorINS9_11use_defaultEEEiNS9_4plusIvEEiEEDaPvRmT3_T4_T5_mT6_P12ihipStream_tbENKUlT_T0_E_clISt17integral_constantIbLb1EESX_EEDaSS_ST_EUlSS_E0_NS1_11comp_targetILNS1_3genE3ELNS1_11target_archE908ELNS1_3gpuE7ELNS1_3repE0EEENS1_30default_config_static_selectorELNS0_4arch9wavefront6targetE1EEEvT1_, .Lfunc_end5828-_ZN7rocprim17ROCPRIM_400000_NS6detail17trampoline_kernelINS0_14default_configENS1_20scan_config_selectorIiEEZZNS1_9scan_implILNS1_25lookback_scan_determinismE0ELb1ELb1ES3_N6thrust23THRUST_200600_302600_NS6detail15normal_iteratorINS9_10device_ptrIiEEEENS9_16discard_iteratorINS9_11use_defaultEEEiNS9_4plusIvEEiEEDaPvRmT3_T4_T5_mT6_P12ihipStream_tbENKUlT_T0_E_clISt17integral_constantIbLb1EESX_EEDaSS_ST_EUlSS_E0_NS1_11comp_targetILNS1_3genE3ELNS1_11target_archE908ELNS1_3gpuE7ELNS1_3repE0EEENS1_30default_config_static_selectorELNS0_4arch9wavefront6targetE1EEEvT1_
                                        ; -- End function
	.section	.AMDGPU.csdata,"",@progbits
; Kernel info:
; codeLenInByte = 0
; NumSgprs: 4
; NumVgprs: 0
; NumAgprs: 0
; TotalNumVgprs: 0
; ScratchSize: 0
; MemoryBound: 0
; FloatMode: 240
; IeeeMode: 1
; LDSByteSize: 0 bytes/workgroup (compile time only)
; SGPRBlocks: 0
; VGPRBlocks: 0
; NumSGPRsForWavesPerEU: 4
; NumVGPRsForWavesPerEU: 1
; AccumOffset: 4
; Occupancy: 8
; WaveLimiterHint : 0
; COMPUTE_PGM_RSRC2:SCRATCH_EN: 0
; COMPUTE_PGM_RSRC2:USER_SGPR: 6
; COMPUTE_PGM_RSRC2:TRAP_HANDLER: 0
; COMPUTE_PGM_RSRC2:TGID_X_EN: 1
; COMPUTE_PGM_RSRC2:TGID_Y_EN: 0
; COMPUTE_PGM_RSRC2:TGID_Z_EN: 0
; COMPUTE_PGM_RSRC2:TIDIG_COMP_CNT: 0
; COMPUTE_PGM_RSRC3_GFX90A:ACCUM_OFFSET: 0
; COMPUTE_PGM_RSRC3_GFX90A:TG_SPLIT: 0
	.section	.text._ZN7rocprim17ROCPRIM_400000_NS6detail17trampoline_kernelINS0_14default_configENS1_20scan_config_selectorIiEEZZNS1_9scan_implILNS1_25lookback_scan_determinismE0ELb1ELb1ES3_N6thrust23THRUST_200600_302600_NS6detail15normal_iteratorINS9_10device_ptrIiEEEENS9_16discard_iteratorINS9_11use_defaultEEEiNS9_4plusIvEEiEEDaPvRmT3_T4_T5_mT6_P12ihipStream_tbENKUlT_T0_E_clISt17integral_constantIbLb1EESX_EEDaSS_ST_EUlSS_E0_NS1_11comp_targetILNS1_3genE2ELNS1_11target_archE906ELNS1_3gpuE6ELNS1_3repE0EEENS1_30default_config_static_selectorELNS0_4arch9wavefront6targetE1EEEvT1_,"axG",@progbits,_ZN7rocprim17ROCPRIM_400000_NS6detail17trampoline_kernelINS0_14default_configENS1_20scan_config_selectorIiEEZZNS1_9scan_implILNS1_25lookback_scan_determinismE0ELb1ELb1ES3_N6thrust23THRUST_200600_302600_NS6detail15normal_iteratorINS9_10device_ptrIiEEEENS9_16discard_iteratorINS9_11use_defaultEEEiNS9_4plusIvEEiEEDaPvRmT3_T4_T5_mT6_P12ihipStream_tbENKUlT_T0_E_clISt17integral_constantIbLb1EESX_EEDaSS_ST_EUlSS_E0_NS1_11comp_targetILNS1_3genE2ELNS1_11target_archE906ELNS1_3gpuE6ELNS1_3repE0EEENS1_30default_config_static_selectorELNS0_4arch9wavefront6targetE1EEEvT1_,comdat
	.protected	_ZN7rocprim17ROCPRIM_400000_NS6detail17trampoline_kernelINS0_14default_configENS1_20scan_config_selectorIiEEZZNS1_9scan_implILNS1_25lookback_scan_determinismE0ELb1ELb1ES3_N6thrust23THRUST_200600_302600_NS6detail15normal_iteratorINS9_10device_ptrIiEEEENS9_16discard_iteratorINS9_11use_defaultEEEiNS9_4plusIvEEiEEDaPvRmT3_T4_T5_mT6_P12ihipStream_tbENKUlT_T0_E_clISt17integral_constantIbLb1EESX_EEDaSS_ST_EUlSS_E0_NS1_11comp_targetILNS1_3genE2ELNS1_11target_archE906ELNS1_3gpuE6ELNS1_3repE0EEENS1_30default_config_static_selectorELNS0_4arch9wavefront6targetE1EEEvT1_ ; -- Begin function _ZN7rocprim17ROCPRIM_400000_NS6detail17trampoline_kernelINS0_14default_configENS1_20scan_config_selectorIiEEZZNS1_9scan_implILNS1_25lookback_scan_determinismE0ELb1ELb1ES3_N6thrust23THRUST_200600_302600_NS6detail15normal_iteratorINS9_10device_ptrIiEEEENS9_16discard_iteratorINS9_11use_defaultEEEiNS9_4plusIvEEiEEDaPvRmT3_T4_T5_mT6_P12ihipStream_tbENKUlT_T0_E_clISt17integral_constantIbLb1EESX_EEDaSS_ST_EUlSS_E0_NS1_11comp_targetILNS1_3genE2ELNS1_11target_archE906ELNS1_3gpuE6ELNS1_3repE0EEENS1_30default_config_static_selectorELNS0_4arch9wavefront6targetE1EEEvT1_
	.globl	_ZN7rocprim17ROCPRIM_400000_NS6detail17trampoline_kernelINS0_14default_configENS1_20scan_config_selectorIiEEZZNS1_9scan_implILNS1_25lookback_scan_determinismE0ELb1ELb1ES3_N6thrust23THRUST_200600_302600_NS6detail15normal_iteratorINS9_10device_ptrIiEEEENS9_16discard_iteratorINS9_11use_defaultEEEiNS9_4plusIvEEiEEDaPvRmT3_T4_T5_mT6_P12ihipStream_tbENKUlT_T0_E_clISt17integral_constantIbLb1EESX_EEDaSS_ST_EUlSS_E0_NS1_11comp_targetILNS1_3genE2ELNS1_11target_archE906ELNS1_3gpuE6ELNS1_3repE0EEENS1_30default_config_static_selectorELNS0_4arch9wavefront6targetE1EEEvT1_
	.p2align	8
	.type	_ZN7rocprim17ROCPRIM_400000_NS6detail17trampoline_kernelINS0_14default_configENS1_20scan_config_selectorIiEEZZNS1_9scan_implILNS1_25lookback_scan_determinismE0ELb1ELb1ES3_N6thrust23THRUST_200600_302600_NS6detail15normal_iteratorINS9_10device_ptrIiEEEENS9_16discard_iteratorINS9_11use_defaultEEEiNS9_4plusIvEEiEEDaPvRmT3_T4_T5_mT6_P12ihipStream_tbENKUlT_T0_E_clISt17integral_constantIbLb1EESX_EEDaSS_ST_EUlSS_E0_NS1_11comp_targetILNS1_3genE2ELNS1_11target_archE906ELNS1_3gpuE6ELNS1_3repE0EEENS1_30default_config_static_selectorELNS0_4arch9wavefront6targetE1EEEvT1_,@function
_ZN7rocprim17ROCPRIM_400000_NS6detail17trampoline_kernelINS0_14default_configENS1_20scan_config_selectorIiEEZZNS1_9scan_implILNS1_25lookback_scan_determinismE0ELb1ELb1ES3_N6thrust23THRUST_200600_302600_NS6detail15normal_iteratorINS9_10device_ptrIiEEEENS9_16discard_iteratorINS9_11use_defaultEEEiNS9_4plusIvEEiEEDaPvRmT3_T4_T5_mT6_P12ihipStream_tbENKUlT_T0_E_clISt17integral_constantIbLb1EESX_EEDaSS_ST_EUlSS_E0_NS1_11comp_targetILNS1_3genE2ELNS1_11target_archE906ELNS1_3gpuE6ELNS1_3repE0EEENS1_30default_config_static_selectorELNS0_4arch9wavefront6targetE1EEEvT1_: ; @_ZN7rocprim17ROCPRIM_400000_NS6detail17trampoline_kernelINS0_14default_configENS1_20scan_config_selectorIiEEZZNS1_9scan_implILNS1_25lookback_scan_determinismE0ELb1ELb1ES3_N6thrust23THRUST_200600_302600_NS6detail15normal_iteratorINS9_10device_ptrIiEEEENS9_16discard_iteratorINS9_11use_defaultEEEiNS9_4plusIvEEiEEDaPvRmT3_T4_T5_mT6_P12ihipStream_tbENKUlT_T0_E_clISt17integral_constantIbLb1EESX_EEDaSS_ST_EUlSS_E0_NS1_11comp_targetILNS1_3genE2ELNS1_11target_archE906ELNS1_3gpuE6ELNS1_3repE0EEENS1_30default_config_static_selectorELNS0_4arch9wavefront6targetE1EEEvT1_
; %bb.0:
	.section	.rodata,"a",@progbits
	.p2align	6, 0x0
	.amdhsa_kernel _ZN7rocprim17ROCPRIM_400000_NS6detail17trampoline_kernelINS0_14default_configENS1_20scan_config_selectorIiEEZZNS1_9scan_implILNS1_25lookback_scan_determinismE0ELb1ELb1ES3_N6thrust23THRUST_200600_302600_NS6detail15normal_iteratorINS9_10device_ptrIiEEEENS9_16discard_iteratorINS9_11use_defaultEEEiNS9_4plusIvEEiEEDaPvRmT3_T4_T5_mT6_P12ihipStream_tbENKUlT_T0_E_clISt17integral_constantIbLb1EESX_EEDaSS_ST_EUlSS_E0_NS1_11comp_targetILNS1_3genE2ELNS1_11target_archE906ELNS1_3gpuE6ELNS1_3repE0EEENS1_30default_config_static_selectorELNS0_4arch9wavefront6targetE1EEEvT1_
		.amdhsa_group_segment_fixed_size 0
		.amdhsa_private_segment_fixed_size 0
		.amdhsa_kernarg_size 40
		.amdhsa_user_sgpr_count 6
		.amdhsa_user_sgpr_private_segment_buffer 1
		.amdhsa_user_sgpr_dispatch_ptr 0
		.amdhsa_user_sgpr_queue_ptr 0
		.amdhsa_user_sgpr_kernarg_segment_ptr 1
		.amdhsa_user_sgpr_dispatch_id 0
		.amdhsa_user_sgpr_flat_scratch_init 0
		.amdhsa_user_sgpr_kernarg_preload_length 0
		.amdhsa_user_sgpr_kernarg_preload_offset 0
		.amdhsa_user_sgpr_private_segment_size 0
		.amdhsa_uses_dynamic_stack 0
		.amdhsa_system_sgpr_private_segment_wavefront_offset 0
		.amdhsa_system_sgpr_workgroup_id_x 1
		.amdhsa_system_sgpr_workgroup_id_y 0
		.amdhsa_system_sgpr_workgroup_id_z 0
		.amdhsa_system_sgpr_workgroup_info 0
		.amdhsa_system_vgpr_workitem_id 0
		.amdhsa_next_free_vgpr 1
		.amdhsa_next_free_sgpr 0
		.amdhsa_accum_offset 4
		.amdhsa_reserve_vcc 0
		.amdhsa_reserve_flat_scratch 0
		.amdhsa_float_round_mode_32 0
		.amdhsa_float_round_mode_16_64 0
		.amdhsa_float_denorm_mode_32 3
		.amdhsa_float_denorm_mode_16_64 3
		.amdhsa_dx10_clamp 1
		.amdhsa_ieee_mode 1
		.amdhsa_fp16_overflow 0
		.amdhsa_tg_split 0
		.amdhsa_exception_fp_ieee_invalid_op 0
		.amdhsa_exception_fp_denorm_src 0
		.amdhsa_exception_fp_ieee_div_zero 0
		.amdhsa_exception_fp_ieee_overflow 0
		.amdhsa_exception_fp_ieee_underflow 0
		.amdhsa_exception_fp_ieee_inexact 0
		.amdhsa_exception_int_div_zero 0
	.end_amdhsa_kernel
	.section	.text._ZN7rocprim17ROCPRIM_400000_NS6detail17trampoline_kernelINS0_14default_configENS1_20scan_config_selectorIiEEZZNS1_9scan_implILNS1_25lookback_scan_determinismE0ELb1ELb1ES3_N6thrust23THRUST_200600_302600_NS6detail15normal_iteratorINS9_10device_ptrIiEEEENS9_16discard_iteratorINS9_11use_defaultEEEiNS9_4plusIvEEiEEDaPvRmT3_T4_T5_mT6_P12ihipStream_tbENKUlT_T0_E_clISt17integral_constantIbLb1EESX_EEDaSS_ST_EUlSS_E0_NS1_11comp_targetILNS1_3genE2ELNS1_11target_archE906ELNS1_3gpuE6ELNS1_3repE0EEENS1_30default_config_static_selectorELNS0_4arch9wavefront6targetE1EEEvT1_,"axG",@progbits,_ZN7rocprim17ROCPRIM_400000_NS6detail17trampoline_kernelINS0_14default_configENS1_20scan_config_selectorIiEEZZNS1_9scan_implILNS1_25lookback_scan_determinismE0ELb1ELb1ES3_N6thrust23THRUST_200600_302600_NS6detail15normal_iteratorINS9_10device_ptrIiEEEENS9_16discard_iteratorINS9_11use_defaultEEEiNS9_4plusIvEEiEEDaPvRmT3_T4_T5_mT6_P12ihipStream_tbENKUlT_T0_E_clISt17integral_constantIbLb1EESX_EEDaSS_ST_EUlSS_E0_NS1_11comp_targetILNS1_3genE2ELNS1_11target_archE906ELNS1_3gpuE6ELNS1_3repE0EEENS1_30default_config_static_selectorELNS0_4arch9wavefront6targetE1EEEvT1_,comdat
.Lfunc_end5829:
	.size	_ZN7rocprim17ROCPRIM_400000_NS6detail17trampoline_kernelINS0_14default_configENS1_20scan_config_selectorIiEEZZNS1_9scan_implILNS1_25lookback_scan_determinismE0ELb1ELb1ES3_N6thrust23THRUST_200600_302600_NS6detail15normal_iteratorINS9_10device_ptrIiEEEENS9_16discard_iteratorINS9_11use_defaultEEEiNS9_4plusIvEEiEEDaPvRmT3_T4_T5_mT6_P12ihipStream_tbENKUlT_T0_E_clISt17integral_constantIbLb1EESX_EEDaSS_ST_EUlSS_E0_NS1_11comp_targetILNS1_3genE2ELNS1_11target_archE906ELNS1_3gpuE6ELNS1_3repE0EEENS1_30default_config_static_selectorELNS0_4arch9wavefront6targetE1EEEvT1_, .Lfunc_end5829-_ZN7rocprim17ROCPRIM_400000_NS6detail17trampoline_kernelINS0_14default_configENS1_20scan_config_selectorIiEEZZNS1_9scan_implILNS1_25lookback_scan_determinismE0ELb1ELb1ES3_N6thrust23THRUST_200600_302600_NS6detail15normal_iteratorINS9_10device_ptrIiEEEENS9_16discard_iteratorINS9_11use_defaultEEEiNS9_4plusIvEEiEEDaPvRmT3_T4_T5_mT6_P12ihipStream_tbENKUlT_T0_E_clISt17integral_constantIbLb1EESX_EEDaSS_ST_EUlSS_E0_NS1_11comp_targetILNS1_3genE2ELNS1_11target_archE906ELNS1_3gpuE6ELNS1_3repE0EEENS1_30default_config_static_selectorELNS0_4arch9wavefront6targetE1EEEvT1_
                                        ; -- End function
	.section	.AMDGPU.csdata,"",@progbits
; Kernel info:
; codeLenInByte = 0
; NumSgprs: 4
; NumVgprs: 0
; NumAgprs: 0
; TotalNumVgprs: 0
; ScratchSize: 0
; MemoryBound: 0
; FloatMode: 240
; IeeeMode: 1
; LDSByteSize: 0 bytes/workgroup (compile time only)
; SGPRBlocks: 0
; VGPRBlocks: 0
; NumSGPRsForWavesPerEU: 4
; NumVGPRsForWavesPerEU: 1
; AccumOffset: 4
; Occupancy: 8
; WaveLimiterHint : 0
; COMPUTE_PGM_RSRC2:SCRATCH_EN: 0
; COMPUTE_PGM_RSRC2:USER_SGPR: 6
; COMPUTE_PGM_RSRC2:TRAP_HANDLER: 0
; COMPUTE_PGM_RSRC2:TGID_X_EN: 1
; COMPUTE_PGM_RSRC2:TGID_Y_EN: 0
; COMPUTE_PGM_RSRC2:TGID_Z_EN: 0
; COMPUTE_PGM_RSRC2:TIDIG_COMP_CNT: 0
; COMPUTE_PGM_RSRC3_GFX90A:ACCUM_OFFSET: 0
; COMPUTE_PGM_RSRC3_GFX90A:TG_SPLIT: 0
	.section	.text._ZN7rocprim17ROCPRIM_400000_NS6detail17trampoline_kernelINS0_14default_configENS1_20scan_config_selectorIiEEZZNS1_9scan_implILNS1_25lookback_scan_determinismE0ELb1ELb1ES3_N6thrust23THRUST_200600_302600_NS6detail15normal_iteratorINS9_10device_ptrIiEEEENS9_16discard_iteratorINS9_11use_defaultEEEiNS9_4plusIvEEiEEDaPvRmT3_T4_T5_mT6_P12ihipStream_tbENKUlT_T0_E_clISt17integral_constantIbLb1EESX_EEDaSS_ST_EUlSS_E0_NS1_11comp_targetILNS1_3genE10ELNS1_11target_archE1201ELNS1_3gpuE5ELNS1_3repE0EEENS1_30default_config_static_selectorELNS0_4arch9wavefront6targetE1EEEvT1_,"axG",@progbits,_ZN7rocprim17ROCPRIM_400000_NS6detail17trampoline_kernelINS0_14default_configENS1_20scan_config_selectorIiEEZZNS1_9scan_implILNS1_25lookback_scan_determinismE0ELb1ELb1ES3_N6thrust23THRUST_200600_302600_NS6detail15normal_iteratorINS9_10device_ptrIiEEEENS9_16discard_iteratorINS9_11use_defaultEEEiNS9_4plusIvEEiEEDaPvRmT3_T4_T5_mT6_P12ihipStream_tbENKUlT_T0_E_clISt17integral_constantIbLb1EESX_EEDaSS_ST_EUlSS_E0_NS1_11comp_targetILNS1_3genE10ELNS1_11target_archE1201ELNS1_3gpuE5ELNS1_3repE0EEENS1_30default_config_static_selectorELNS0_4arch9wavefront6targetE1EEEvT1_,comdat
	.protected	_ZN7rocprim17ROCPRIM_400000_NS6detail17trampoline_kernelINS0_14default_configENS1_20scan_config_selectorIiEEZZNS1_9scan_implILNS1_25lookback_scan_determinismE0ELb1ELb1ES3_N6thrust23THRUST_200600_302600_NS6detail15normal_iteratorINS9_10device_ptrIiEEEENS9_16discard_iteratorINS9_11use_defaultEEEiNS9_4plusIvEEiEEDaPvRmT3_T4_T5_mT6_P12ihipStream_tbENKUlT_T0_E_clISt17integral_constantIbLb1EESX_EEDaSS_ST_EUlSS_E0_NS1_11comp_targetILNS1_3genE10ELNS1_11target_archE1201ELNS1_3gpuE5ELNS1_3repE0EEENS1_30default_config_static_selectorELNS0_4arch9wavefront6targetE1EEEvT1_ ; -- Begin function _ZN7rocprim17ROCPRIM_400000_NS6detail17trampoline_kernelINS0_14default_configENS1_20scan_config_selectorIiEEZZNS1_9scan_implILNS1_25lookback_scan_determinismE0ELb1ELb1ES3_N6thrust23THRUST_200600_302600_NS6detail15normal_iteratorINS9_10device_ptrIiEEEENS9_16discard_iteratorINS9_11use_defaultEEEiNS9_4plusIvEEiEEDaPvRmT3_T4_T5_mT6_P12ihipStream_tbENKUlT_T0_E_clISt17integral_constantIbLb1EESX_EEDaSS_ST_EUlSS_E0_NS1_11comp_targetILNS1_3genE10ELNS1_11target_archE1201ELNS1_3gpuE5ELNS1_3repE0EEENS1_30default_config_static_selectorELNS0_4arch9wavefront6targetE1EEEvT1_
	.globl	_ZN7rocprim17ROCPRIM_400000_NS6detail17trampoline_kernelINS0_14default_configENS1_20scan_config_selectorIiEEZZNS1_9scan_implILNS1_25lookback_scan_determinismE0ELb1ELb1ES3_N6thrust23THRUST_200600_302600_NS6detail15normal_iteratorINS9_10device_ptrIiEEEENS9_16discard_iteratorINS9_11use_defaultEEEiNS9_4plusIvEEiEEDaPvRmT3_T4_T5_mT6_P12ihipStream_tbENKUlT_T0_E_clISt17integral_constantIbLb1EESX_EEDaSS_ST_EUlSS_E0_NS1_11comp_targetILNS1_3genE10ELNS1_11target_archE1201ELNS1_3gpuE5ELNS1_3repE0EEENS1_30default_config_static_selectorELNS0_4arch9wavefront6targetE1EEEvT1_
	.p2align	8
	.type	_ZN7rocprim17ROCPRIM_400000_NS6detail17trampoline_kernelINS0_14default_configENS1_20scan_config_selectorIiEEZZNS1_9scan_implILNS1_25lookback_scan_determinismE0ELb1ELb1ES3_N6thrust23THRUST_200600_302600_NS6detail15normal_iteratorINS9_10device_ptrIiEEEENS9_16discard_iteratorINS9_11use_defaultEEEiNS9_4plusIvEEiEEDaPvRmT3_T4_T5_mT6_P12ihipStream_tbENKUlT_T0_E_clISt17integral_constantIbLb1EESX_EEDaSS_ST_EUlSS_E0_NS1_11comp_targetILNS1_3genE10ELNS1_11target_archE1201ELNS1_3gpuE5ELNS1_3repE0EEENS1_30default_config_static_selectorELNS0_4arch9wavefront6targetE1EEEvT1_,@function
_ZN7rocprim17ROCPRIM_400000_NS6detail17trampoline_kernelINS0_14default_configENS1_20scan_config_selectorIiEEZZNS1_9scan_implILNS1_25lookback_scan_determinismE0ELb1ELb1ES3_N6thrust23THRUST_200600_302600_NS6detail15normal_iteratorINS9_10device_ptrIiEEEENS9_16discard_iteratorINS9_11use_defaultEEEiNS9_4plusIvEEiEEDaPvRmT3_T4_T5_mT6_P12ihipStream_tbENKUlT_T0_E_clISt17integral_constantIbLb1EESX_EEDaSS_ST_EUlSS_E0_NS1_11comp_targetILNS1_3genE10ELNS1_11target_archE1201ELNS1_3gpuE5ELNS1_3repE0EEENS1_30default_config_static_selectorELNS0_4arch9wavefront6targetE1EEEvT1_: ; @_ZN7rocprim17ROCPRIM_400000_NS6detail17trampoline_kernelINS0_14default_configENS1_20scan_config_selectorIiEEZZNS1_9scan_implILNS1_25lookback_scan_determinismE0ELb1ELb1ES3_N6thrust23THRUST_200600_302600_NS6detail15normal_iteratorINS9_10device_ptrIiEEEENS9_16discard_iteratorINS9_11use_defaultEEEiNS9_4plusIvEEiEEDaPvRmT3_T4_T5_mT6_P12ihipStream_tbENKUlT_T0_E_clISt17integral_constantIbLb1EESX_EEDaSS_ST_EUlSS_E0_NS1_11comp_targetILNS1_3genE10ELNS1_11target_archE1201ELNS1_3gpuE5ELNS1_3repE0EEENS1_30default_config_static_selectorELNS0_4arch9wavefront6targetE1EEEvT1_
; %bb.0:
	.section	.rodata,"a",@progbits
	.p2align	6, 0x0
	.amdhsa_kernel _ZN7rocprim17ROCPRIM_400000_NS6detail17trampoline_kernelINS0_14default_configENS1_20scan_config_selectorIiEEZZNS1_9scan_implILNS1_25lookback_scan_determinismE0ELb1ELb1ES3_N6thrust23THRUST_200600_302600_NS6detail15normal_iteratorINS9_10device_ptrIiEEEENS9_16discard_iteratorINS9_11use_defaultEEEiNS9_4plusIvEEiEEDaPvRmT3_T4_T5_mT6_P12ihipStream_tbENKUlT_T0_E_clISt17integral_constantIbLb1EESX_EEDaSS_ST_EUlSS_E0_NS1_11comp_targetILNS1_3genE10ELNS1_11target_archE1201ELNS1_3gpuE5ELNS1_3repE0EEENS1_30default_config_static_selectorELNS0_4arch9wavefront6targetE1EEEvT1_
		.amdhsa_group_segment_fixed_size 0
		.amdhsa_private_segment_fixed_size 0
		.amdhsa_kernarg_size 40
		.amdhsa_user_sgpr_count 6
		.amdhsa_user_sgpr_private_segment_buffer 1
		.amdhsa_user_sgpr_dispatch_ptr 0
		.amdhsa_user_sgpr_queue_ptr 0
		.amdhsa_user_sgpr_kernarg_segment_ptr 1
		.amdhsa_user_sgpr_dispatch_id 0
		.amdhsa_user_sgpr_flat_scratch_init 0
		.amdhsa_user_sgpr_kernarg_preload_length 0
		.amdhsa_user_sgpr_kernarg_preload_offset 0
		.amdhsa_user_sgpr_private_segment_size 0
		.amdhsa_uses_dynamic_stack 0
		.amdhsa_system_sgpr_private_segment_wavefront_offset 0
		.amdhsa_system_sgpr_workgroup_id_x 1
		.amdhsa_system_sgpr_workgroup_id_y 0
		.amdhsa_system_sgpr_workgroup_id_z 0
		.amdhsa_system_sgpr_workgroup_info 0
		.amdhsa_system_vgpr_workitem_id 0
		.amdhsa_next_free_vgpr 1
		.amdhsa_next_free_sgpr 0
		.amdhsa_accum_offset 4
		.amdhsa_reserve_vcc 0
		.amdhsa_reserve_flat_scratch 0
		.amdhsa_float_round_mode_32 0
		.amdhsa_float_round_mode_16_64 0
		.amdhsa_float_denorm_mode_32 3
		.amdhsa_float_denorm_mode_16_64 3
		.amdhsa_dx10_clamp 1
		.amdhsa_ieee_mode 1
		.amdhsa_fp16_overflow 0
		.amdhsa_tg_split 0
		.amdhsa_exception_fp_ieee_invalid_op 0
		.amdhsa_exception_fp_denorm_src 0
		.amdhsa_exception_fp_ieee_div_zero 0
		.amdhsa_exception_fp_ieee_overflow 0
		.amdhsa_exception_fp_ieee_underflow 0
		.amdhsa_exception_fp_ieee_inexact 0
		.amdhsa_exception_int_div_zero 0
	.end_amdhsa_kernel
	.section	.text._ZN7rocprim17ROCPRIM_400000_NS6detail17trampoline_kernelINS0_14default_configENS1_20scan_config_selectorIiEEZZNS1_9scan_implILNS1_25lookback_scan_determinismE0ELb1ELb1ES3_N6thrust23THRUST_200600_302600_NS6detail15normal_iteratorINS9_10device_ptrIiEEEENS9_16discard_iteratorINS9_11use_defaultEEEiNS9_4plusIvEEiEEDaPvRmT3_T4_T5_mT6_P12ihipStream_tbENKUlT_T0_E_clISt17integral_constantIbLb1EESX_EEDaSS_ST_EUlSS_E0_NS1_11comp_targetILNS1_3genE10ELNS1_11target_archE1201ELNS1_3gpuE5ELNS1_3repE0EEENS1_30default_config_static_selectorELNS0_4arch9wavefront6targetE1EEEvT1_,"axG",@progbits,_ZN7rocprim17ROCPRIM_400000_NS6detail17trampoline_kernelINS0_14default_configENS1_20scan_config_selectorIiEEZZNS1_9scan_implILNS1_25lookback_scan_determinismE0ELb1ELb1ES3_N6thrust23THRUST_200600_302600_NS6detail15normal_iteratorINS9_10device_ptrIiEEEENS9_16discard_iteratorINS9_11use_defaultEEEiNS9_4plusIvEEiEEDaPvRmT3_T4_T5_mT6_P12ihipStream_tbENKUlT_T0_E_clISt17integral_constantIbLb1EESX_EEDaSS_ST_EUlSS_E0_NS1_11comp_targetILNS1_3genE10ELNS1_11target_archE1201ELNS1_3gpuE5ELNS1_3repE0EEENS1_30default_config_static_selectorELNS0_4arch9wavefront6targetE1EEEvT1_,comdat
.Lfunc_end5830:
	.size	_ZN7rocprim17ROCPRIM_400000_NS6detail17trampoline_kernelINS0_14default_configENS1_20scan_config_selectorIiEEZZNS1_9scan_implILNS1_25lookback_scan_determinismE0ELb1ELb1ES3_N6thrust23THRUST_200600_302600_NS6detail15normal_iteratorINS9_10device_ptrIiEEEENS9_16discard_iteratorINS9_11use_defaultEEEiNS9_4plusIvEEiEEDaPvRmT3_T4_T5_mT6_P12ihipStream_tbENKUlT_T0_E_clISt17integral_constantIbLb1EESX_EEDaSS_ST_EUlSS_E0_NS1_11comp_targetILNS1_3genE10ELNS1_11target_archE1201ELNS1_3gpuE5ELNS1_3repE0EEENS1_30default_config_static_selectorELNS0_4arch9wavefront6targetE1EEEvT1_, .Lfunc_end5830-_ZN7rocprim17ROCPRIM_400000_NS6detail17trampoline_kernelINS0_14default_configENS1_20scan_config_selectorIiEEZZNS1_9scan_implILNS1_25lookback_scan_determinismE0ELb1ELb1ES3_N6thrust23THRUST_200600_302600_NS6detail15normal_iteratorINS9_10device_ptrIiEEEENS9_16discard_iteratorINS9_11use_defaultEEEiNS9_4plusIvEEiEEDaPvRmT3_T4_T5_mT6_P12ihipStream_tbENKUlT_T0_E_clISt17integral_constantIbLb1EESX_EEDaSS_ST_EUlSS_E0_NS1_11comp_targetILNS1_3genE10ELNS1_11target_archE1201ELNS1_3gpuE5ELNS1_3repE0EEENS1_30default_config_static_selectorELNS0_4arch9wavefront6targetE1EEEvT1_
                                        ; -- End function
	.section	.AMDGPU.csdata,"",@progbits
; Kernel info:
; codeLenInByte = 0
; NumSgprs: 4
; NumVgprs: 0
; NumAgprs: 0
; TotalNumVgprs: 0
; ScratchSize: 0
; MemoryBound: 0
; FloatMode: 240
; IeeeMode: 1
; LDSByteSize: 0 bytes/workgroup (compile time only)
; SGPRBlocks: 0
; VGPRBlocks: 0
; NumSGPRsForWavesPerEU: 4
; NumVGPRsForWavesPerEU: 1
; AccumOffset: 4
; Occupancy: 8
; WaveLimiterHint : 0
; COMPUTE_PGM_RSRC2:SCRATCH_EN: 0
; COMPUTE_PGM_RSRC2:USER_SGPR: 6
; COMPUTE_PGM_RSRC2:TRAP_HANDLER: 0
; COMPUTE_PGM_RSRC2:TGID_X_EN: 1
; COMPUTE_PGM_RSRC2:TGID_Y_EN: 0
; COMPUTE_PGM_RSRC2:TGID_Z_EN: 0
; COMPUTE_PGM_RSRC2:TIDIG_COMP_CNT: 0
; COMPUTE_PGM_RSRC3_GFX90A:ACCUM_OFFSET: 0
; COMPUTE_PGM_RSRC3_GFX90A:TG_SPLIT: 0
	.section	.text._ZN7rocprim17ROCPRIM_400000_NS6detail17trampoline_kernelINS0_14default_configENS1_20scan_config_selectorIiEEZZNS1_9scan_implILNS1_25lookback_scan_determinismE0ELb1ELb1ES3_N6thrust23THRUST_200600_302600_NS6detail15normal_iteratorINS9_10device_ptrIiEEEENS9_16discard_iteratorINS9_11use_defaultEEEiNS9_4plusIvEEiEEDaPvRmT3_T4_T5_mT6_P12ihipStream_tbENKUlT_T0_E_clISt17integral_constantIbLb1EESX_EEDaSS_ST_EUlSS_E0_NS1_11comp_targetILNS1_3genE10ELNS1_11target_archE1200ELNS1_3gpuE4ELNS1_3repE0EEENS1_30default_config_static_selectorELNS0_4arch9wavefront6targetE1EEEvT1_,"axG",@progbits,_ZN7rocprim17ROCPRIM_400000_NS6detail17trampoline_kernelINS0_14default_configENS1_20scan_config_selectorIiEEZZNS1_9scan_implILNS1_25lookback_scan_determinismE0ELb1ELb1ES3_N6thrust23THRUST_200600_302600_NS6detail15normal_iteratorINS9_10device_ptrIiEEEENS9_16discard_iteratorINS9_11use_defaultEEEiNS9_4plusIvEEiEEDaPvRmT3_T4_T5_mT6_P12ihipStream_tbENKUlT_T0_E_clISt17integral_constantIbLb1EESX_EEDaSS_ST_EUlSS_E0_NS1_11comp_targetILNS1_3genE10ELNS1_11target_archE1200ELNS1_3gpuE4ELNS1_3repE0EEENS1_30default_config_static_selectorELNS0_4arch9wavefront6targetE1EEEvT1_,comdat
	.protected	_ZN7rocprim17ROCPRIM_400000_NS6detail17trampoline_kernelINS0_14default_configENS1_20scan_config_selectorIiEEZZNS1_9scan_implILNS1_25lookback_scan_determinismE0ELb1ELb1ES3_N6thrust23THRUST_200600_302600_NS6detail15normal_iteratorINS9_10device_ptrIiEEEENS9_16discard_iteratorINS9_11use_defaultEEEiNS9_4plusIvEEiEEDaPvRmT3_T4_T5_mT6_P12ihipStream_tbENKUlT_T0_E_clISt17integral_constantIbLb1EESX_EEDaSS_ST_EUlSS_E0_NS1_11comp_targetILNS1_3genE10ELNS1_11target_archE1200ELNS1_3gpuE4ELNS1_3repE0EEENS1_30default_config_static_selectorELNS0_4arch9wavefront6targetE1EEEvT1_ ; -- Begin function _ZN7rocprim17ROCPRIM_400000_NS6detail17trampoline_kernelINS0_14default_configENS1_20scan_config_selectorIiEEZZNS1_9scan_implILNS1_25lookback_scan_determinismE0ELb1ELb1ES3_N6thrust23THRUST_200600_302600_NS6detail15normal_iteratorINS9_10device_ptrIiEEEENS9_16discard_iteratorINS9_11use_defaultEEEiNS9_4plusIvEEiEEDaPvRmT3_T4_T5_mT6_P12ihipStream_tbENKUlT_T0_E_clISt17integral_constantIbLb1EESX_EEDaSS_ST_EUlSS_E0_NS1_11comp_targetILNS1_3genE10ELNS1_11target_archE1200ELNS1_3gpuE4ELNS1_3repE0EEENS1_30default_config_static_selectorELNS0_4arch9wavefront6targetE1EEEvT1_
	.globl	_ZN7rocprim17ROCPRIM_400000_NS6detail17trampoline_kernelINS0_14default_configENS1_20scan_config_selectorIiEEZZNS1_9scan_implILNS1_25lookback_scan_determinismE0ELb1ELb1ES3_N6thrust23THRUST_200600_302600_NS6detail15normal_iteratorINS9_10device_ptrIiEEEENS9_16discard_iteratorINS9_11use_defaultEEEiNS9_4plusIvEEiEEDaPvRmT3_T4_T5_mT6_P12ihipStream_tbENKUlT_T0_E_clISt17integral_constantIbLb1EESX_EEDaSS_ST_EUlSS_E0_NS1_11comp_targetILNS1_3genE10ELNS1_11target_archE1200ELNS1_3gpuE4ELNS1_3repE0EEENS1_30default_config_static_selectorELNS0_4arch9wavefront6targetE1EEEvT1_
	.p2align	8
	.type	_ZN7rocprim17ROCPRIM_400000_NS6detail17trampoline_kernelINS0_14default_configENS1_20scan_config_selectorIiEEZZNS1_9scan_implILNS1_25lookback_scan_determinismE0ELb1ELb1ES3_N6thrust23THRUST_200600_302600_NS6detail15normal_iteratorINS9_10device_ptrIiEEEENS9_16discard_iteratorINS9_11use_defaultEEEiNS9_4plusIvEEiEEDaPvRmT3_T4_T5_mT6_P12ihipStream_tbENKUlT_T0_E_clISt17integral_constantIbLb1EESX_EEDaSS_ST_EUlSS_E0_NS1_11comp_targetILNS1_3genE10ELNS1_11target_archE1200ELNS1_3gpuE4ELNS1_3repE0EEENS1_30default_config_static_selectorELNS0_4arch9wavefront6targetE1EEEvT1_,@function
_ZN7rocprim17ROCPRIM_400000_NS6detail17trampoline_kernelINS0_14default_configENS1_20scan_config_selectorIiEEZZNS1_9scan_implILNS1_25lookback_scan_determinismE0ELb1ELb1ES3_N6thrust23THRUST_200600_302600_NS6detail15normal_iteratorINS9_10device_ptrIiEEEENS9_16discard_iteratorINS9_11use_defaultEEEiNS9_4plusIvEEiEEDaPvRmT3_T4_T5_mT6_P12ihipStream_tbENKUlT_T0_E_clISt17integral_constantIbLb1EESX_EEDaSS_ST_EUlSS_E0_NS1_11comp_targetILNS1_3genE10ELNS1_11target_archE1200ELNS1_3gpuE4ELNS1_3repE0EEENS1_30default_config_static_selectorELNS0_4arch9wavefront6targetE1EEEvT1_: ; @_ZN7rocprim17ROCPRIM_400000_NS6detail17trampoline_kernelINS0_14default_configENS1_20scan_config_selectorIiEEZZNS1_9scan_implILNS1_25lookback_scan_determinismE0ELb1ELb1ES3_N6thrust23THRUST_200600_302600_NS6detail15normal_iteratorINS9_10device_ptrIiEEEENS9_16discard_iteratorINS9_11use_defaultEEEiNS9_4plusIvEEiEEDaPvRmT3_T4_T5_mT6_P12ihipStream_tbENKUlT_T0_E_clISt17integral_constantIbLb1EESX_EEDaSS_ST_EUlSS_E0_NS1_11comp_targetILNS1_3genE10ELNS1_11target_archE1200ELNS1_3gpuE4ELNS1_3repE0EEENS1_30default_config_static_selectorELNS0_4arch9wavefront6targetE1EEEvT1_
; %bb.0:
	.section	.rodata,"a",@progbits
	.p2align	6, 0x0
	.amdhsa_kernel _ZN7rocprim17ROCPRIM_400000_NS6detail17trampoline_kernelINS0_14default_configENS1_20scan_config_selectorIiEEZZNS1_9scan_implILNS1_25lookback_scan_determinismE0ELb1ELb1ES3_N6thrust23THRUST_200600_302600_NS6detail15normal_iteratorINS9_10device_ptrIiEEEENS9_16discard_iteratorINS9_11use_defaultEEEiNS9_4plusIvEEiEEDaPvRmT3_T4_T5_mT6_P12ihipStream_tbENKUlT_T0_E_clISt17integral_constantIbLb1EESX_EEDaSS_ST_EUlSS_E0_NS1_11comp_targetILNS1_3genE10ELNS1_11target_archE1200ELNS1_3gpuE4ELNS1_3repE0EEENS1_30default_config_static_selectorELNS0_4arch9wavefront6targetE1EEEvT1_
		.amdhsa_group_segment_fixed_size 0
		.amdhsa_private_segment_fixed_size 0
		.amdhsa_kernarg_size 40
		.amdhsa_user_sgpr_count 6
		.amdhsa_user_sgpr_private_segment_buffer 1
		.amdhsa_user_sgpr_dispatch_ptr 0
		.amdhsa_user_sgpr_queue_ptr 0
		.amdhsa_user_sgpr_kernarg_segment_ptr 1
		.amdhsa_user_sgpr_dispatch_id 0
		.amdhsa_user_sgpr_flat_scratch_init 0
		.amdhsa_user_sgpr_kernarg_preload_length 0
		.amdhsa_user_sgpr_kernarg_preload_offset 0
		.amdhsa_user_sgpr_private_segment_size 0
		.amdhsa_uses_dynamic_stack 0
		.amdhsa_system_sgpr_private_segment_wavefront_offset 0
		.amdhsa_system_sgpr_workgroup_id_x 1
		.amdhsa_system_sgpr_workgroup_id_y 0
		.amdhsa_system_sgpr_workgroup_id_z 0
		.amdhsa_system_sgpr_workgroup_info 0
		.amdhsa_system_vgpr_workitem_id 0
		.amdhsa_next_free_vgpr 1
		.amdhsa_next_free_sgpr 0
		.amdhsa_accum_offset 4
		.amdhsa_reserve_vcc 0
		.amdhsa_reserve_flat_scratch 0
		.amdhsa_float_round_mode_32 0
		.amdhsa_float_round_mode_16_64 0
		.amdhsa_float_denorm_mode_32 3
		.amdhsa_float_denorm_mode_16_64 3
		.amdhsa_dx10_clamp 1
		.amdhsa_ieee_mode 1
		.amdhsa_fp16_overflow 0
		.amdhsa_tg_split 0
		.amdhsa_exception_fp_ieee_invalid_op 0
		.amdhsa_exception_fp_denorm_src 0
		.amdhsa_exception_fp_ieee_div_zero 0
		.amdhsa_exception_fp_ieee_overflow 0
		.amdhsa_exception_fp_ieee_underflow 0
		.amdhsa_exception_fp_ieee_inexact 0
		.amdhsa_exception_int_div_zero 0
	.end_amdhsa_kernel
	.section	.text._ZN7rocprim17ROCPRIM_400000_NS6detail17trampoline_kernelINS0_14default_configENS1_20scan_config_selectorIiEEZZNS1_9scan_implILNS1_25lookback_scan_determinismE0ELb1ELb1ES3_N6thrust23THRUST_200600_302600_NS6detail15normal_iteratorINS9_10device_ptrIiEEEENS9_16discard_iteratorINS9_11use_defaultEEEiNS9_4plusIvEEiEEDaPvRmT3_T4_T5_mT6_P12ihipStream_tbENKUlT_T0_E_clISt17integral_constantIbLb1EESX_EEDaSS_ST_EUlSS_E0_NS1_11comp_targetILNS1_3genE10ELNS1_11target_archE1200ELNS1_3gpuE4ELNS1_3repE0EEENS1_30default_config_static_selectorELNS0_4arch9wavefront6targetE1EEEvT1_,"axG",@progbits,_ZN7rocprim17ROCPRIM_400000_NS6detail17trampoline_kernelINS0_14default_configENS1_20scan_config_selectorIiEEZZNS1_9scan_implILNS1_25lookback_scan_determinismE0ELb1ELb1ES3_N6thrust23THRUST_200600_302600_NS6detail15normal_iteratorINS9_10device_ptrIiEEEENS9_16discard_iteratorINS9_11use_defaultEEEiNS9_4plusIvEEiEEDaPvRmT3_T4_T5_mT6_P12ihipStream_tbENKUlT_T0_E_clISt17integral_constantIbLb1EESX_EEDaSS_ST_EUlSS_E0_NS1_11comp_targetILNS1_3genE10ELNS1_11target_archE1200ELNS1_3gpuE4ELNS1_3repE0EEENS1_30default_config_static_selectorELNS0_4arch9wavefront6targetE1EEEvT1_,comdat
.Lfunc_end5831:
	.size	_ZN7rocprim17ROCPRIM_400000_NS6detail17trampoline_kernelINS0_14default_configENS1_20scan_config_selectorIiEEZZNS1_9scan_implILNS1_25lookback_scan_determinismE0ELb1ELb1ES3_N6thrust23THRUST_200600_302600_NS6detail15normal_iteratorINS9_10device_ptrIiEEEENS9_16discard_iteratorINS9_11use_defaultEEEiNS9_4plusIvEEiEEDaPvRmT3_T4_T5_mT6_P12ihipStream_tbENKUlT_T0_E_clISt17integral_constantIbLb1EESX_EEDaSS_ST_EUlSS_E0_NS1_11comp_targetILNS1_3genE10ELNS1_11target_archE1200ELNS1_3gpuE4ELNS1_3repE0EEENS1_30default_config_static_selectorELNS0_4arch9wavefront6targetE1EEEvT1_, .Lfunc_end5831-_ZN7rocprim17ROCPRIM_400000_NS6detail17trampoline_kernelINS0_14default_configENS1_20scan_config_selectorIiEEZZNS1_9scan_implILNS1_25lookback_scan_determinismE0ELb1ELb1ES3_N6thrust23THRUST_200600_302600_NS6detail15normal_iteratorINS9_10device_ptrIiEEEENS9_16discard_iteratorINS9_11use_defaultEEEiNS9_4plusIvEEiEEDaPvRmT3_T4_T5_mT6_P12ihipStream_tbENKUlT_T0_E_clISt17integral_constantIbLb1EESX_EEDaSS_ST_EUlSS_E0_NS1_11comp_targetILNS1_3genE10ELNS1_11target_archE1200ELNS1_3gpuE4ELNS1_3repE0EEENS1_30default_config_static_selectorELNS0_4arch9wavefront6targetE1EEEvT1_
                                        ; -- End function
	.section	.AMDGPU.csdata,"",@progbits
; Kernel info:
; codeLenInByte = 0
; NumSgprs: 4
; NumVgprs: 0
; NumAgprs: 0
; TotalNumVgprs: 0
; ScratchSize: 0
; MemoryBound: 0
; FloatMode: 240
; IeeeMode: 1
; LDSByteSize: 0 bytes/workgroup (compile time only)
; SGPRBlocks: 0
; VGPRBlocks: 0
; NumSGPRsForWavesPerEU: 4
; NumVGPRsForWavesPerEU: 1
; AccumOffset: 4
; Occupancy: 8
; WaveLimiterHint : 0
; COMPUTE_PGM_RSRC2:SCRATCH_EN: 0
; COMPUTE_PGM_RSRC2:USER_SGPR: 6
; COMPUTE_PGM_RSRC2:TRAP_HANDLER: 0
; COMPUTE_PGM_RSRC2:TGID_X_EN: 1
; COMPUTE_PGM_RSRC2:TGID_Y_EN: 0
; COMPUTE_PGM_RSRC2:TGID_Z_EN: 0
; COMPUTE_PGM_RSRC2:TIDIG_COMP_CNT: 0
; COMPUTE_PGM_RSRC3_GFX90A:ACCUM_OFFSET: 0
; COMPUTE_PGM_RSRC3_GFX90A:TG_SPLIT: 0
	.section	.text._ZN7rocprim17ROCPRIM_400000_NS6detail17trampoline_kernelINS0_14default_configENS1_20scan_config_selectorIiEEZZNS1_9scan_implILNS1_25lookback_scan_determinismE0ELb1ELb1ES3_N6thrust23THRUST_200600_302600_NS6detail15normal_iteratorINS9_10device_ptrIiEEEENS9_16discard_iteratorINS9_11use_defaultEEEiNS9_4plusIvEEiEEDaPvRmT3_T4_T5_mT6_P12ihipStream_tbENKUlT_T0_E_clISt17integral_constantIbLb1EESX_EEDaSS_ST_EUlSS_E0_NS1_11comp_targetILNS1_3genE9ELNS1_11target_archE1100ELNS1_3gpuE3ELNS1_3repE0EEENS1_30default_config_static_selectorELNS0_4arch9wavefront6targetE1EEEvT1_,"axG",@progbits,_ZN7rocprim17ROCPRIM_400000_NS6detail17trampoline_kernelINS0_14default_configENS1_20scan_config_selectorIiEEZZNS1_9scan_implILNS1_25lookback_scan_determinismE0ELb1ELb1ES3_N6thrust23THRUST_200600_302600_NS6detail15normal_iteratorINS9_10device_ptrIiEEEENS9_16discard_iteratorINS9_11use_defaultEEEiNS9_4plusIvEEiEEDaPvRmT3_T4_T5_mT6_P12ihipStream_tbENKUlT_T0_E_clISt17integral_constantIbLb1EESX_EEDaSS_ST_EUlSS_E0_NS1_11comp_targetILNS1_3genE9ELNS1_11target_archE1100ELNS1_3gpuE3ELNS1_3repE0EEENS1_30default_config_static_selectorELNS0_4arch9wavefront6targetE1EEEvT1_,comdat
	.protected	_ZN7rocprim17ROCPRIM_400000_NS6detail17trampoline_kernelINS0_14default_configENS1_20scan_config_selectorIiEEZZNS1_9scan_implILNS1_25lookback_scan_determinismE0ELb1ELb1ES3_N6thrust23THRUST_200600_302600_NS6detail15normal_iteratorINS9_10device_ptrIiEEEENS9_16discard_iteratorINS9_11use_defaultEEEiNS9_4plusIvEEiEEDaPvRmT3_T4_T5_mT6_P12ihipStream_tbENKUlT_T0_E_clISt17integral_constantIbLb1EESX_EEDaSS_ST_EUlSS_E0_NS1_11comp_targetILNS1_3genE9ELNS1_11target_archE1100ELNS1_3gpuE3ELNS1_3repE0EEENS1_30default_config_static_selectorELNS0_4arch9wavefront6targetE1EEEvT1_ ; -- Begin function _ZN7rocprim17ROCPRIM_400000_NS6detail17trampoline_kernelINS0_14default_configENS1_20scan_config_selectorIiEEZZNS1_9scan_implILNS1_25lookback_scan_determinismE0ELb1ELb1ES3_N6thrust23THRUST_200600_302600_NS6detail15normal_iteratorINS9_10device_ptrIiEEEENS9_16discard_iteratorINS9_11use_defaultEEEiNS9_4plusIvEEiEEDaPvRmT3_T4_T5_mT6_P12ihipStream_tbENKUlT_T0_E_clISt17integral_constantIbLb1EESX_EEDaSS_ST_EUlSS_E0_NS1_11comp_targetILNS1_3genE9ELNS1_11target_archE1100ELNS1_3gpuE3ELNS1_3repE0EEENS1_30default_config_static_selectorELNS0_4arch9wavefront6targetE1EEEvT1_
	.globl	_ZN7rocprim17ROCPRIM_400000_NS6detail17trampoline_kernelINS0_14default_configENS1_20scan_config_selectorIiEEZZNS1_9scan_implILNS1_25lookback_scan_determinismE0ELb1ELb1ES3_N6thrust23THRUST_200600_302600_NS6detail15normal_iteratorINS9_10device_ptrIiEEEENS9_16discard_iteratorINS9_11use_defaultEEEiNS9_4plusIvEEiEEDaPvRmT3_T4_T5_mT6_P12ihipStream_tbENKUlT_T0_E_clISt17integral_constantIbLb1EESX_EEDaSS_ST_EUlSS_E0_NS1_11comp_targetILNS1_3genE9ELNS1_11target_archE1100ELNS1_3gpuE3ELNS1_3repE0EEENS1_30default_config_static_selectorELNS0_4arch9wavefront6targetE1EEEvT1_
	.p2align	8
	.type	_ZN7rocprim17ROCPRIM_400000_NS6detail17trampoline_kernelINS0_14default_configENS1_20scan_config_selectorIiEEZZNS1_9scan_implILNS1_25lookback_scan_determinismE0ELb1ELb1ES3_N6thrust23THRUST_200600_302600_NS6detail15normal_iteratorINS9_10device_ptrIiEEEENS9_16discard_iteratorINS9_11use_defaultEEEiNS9_4plusIvEEiEEDaPvRmT3_T4_T5_mT6_P12ihipStream_tbENKUlT_T0_E_clISt17integral_constantIbLb1EESX_EEDaSS_ST_EUlSS_E0_NS1_11comp_targetILNS1_3genE9ELNS1_11target_archE1100ELNS1_3gpuE3ELNS1_3repE0EEENS1_30default_config_static_selectorELNS0_4arch9wavefront6targetE1EEEvT1_,@function
_ZN7rocprim17ROCPRIM_400000_NS6detail17trampoline_kernelINS0_14default_configENS1_20scan_config_selectorIiEEZZNS1_9scan_implILNS1_25lookback_scan_determinismE0ELb1ELb1ES3_N6thrust23THRUST_200600_302600_NS6detail15normal_iteratorINS9_10device_ptrIiEEEENS9_16discard_iteratorINS9_11use_defaultEEEiNS9_4plusIvEEiEEDaPvRmT3_T4_T5_mT6_P12ihipStream_tbENKUlT_T0_E_clISt17integral_constantIbLb1EESX_EEDaSS_ST_EUlSS_E0_NS1_11comp_targetILNS1_3genE9ELNS1_11target_archE1100ELNS1_3gpuE3ELNS1_3repE0EEENS1_30default_config_static_selectorELNS0_4arch9wavefront6targetE1EEEvT1_: ; @_ZN7rocprim17ROCPRIM_400000_NS6detail17trampoline_kernelINS0_14default_configENS1_20scan_config_selectorIiEEZZNS1_9scan_implILNS1_25lookback_scan_determinismE0ELb1ELb1ES3_N6thrust23THRUST_200600_302600_NS6detail15normal_iteratorINS9_10device_ptrIiEEEENS9_16discard_iteratorINS9_11use_defaultEEEiNS9_4plusIvEEiEEDaPvRmT3_T4_T5_mT6_P12ihipStream_tbENKUlT_T0_E_clISt17integral_constantIbLb1EESX_EEDaSS_ST_EUlSS_E0_NS1_11comp_targetILNS1_3genE9ELNS1_11target_archE1100ELNS1_3gpuE3ELNS1_3repE0EEENS1_30default_config_static_selectorELNS0_4arch9wavefront6targetE1EEEvT1_
; %bb.0:
	.section	.rodata,"a",@progbits
	.p2align	6, 0x0
	.amdhsa_kernel _ZN7rocprim17ROCPRIM_400000_NS6detail17trampoline_kernelINS0_14default_configENS1_20scan_config_selectorIiEEZZNS1_9scan_implILNS1_25lookback_scan_determinismE0ELb1ELb1ES3_N6thrust23THRUST_200600_302600_NS6detail15normal_iteratorINS9_10device_ptrIiEEEENS9_16discard_iteratorINS9_11use_defaultEEEiNS9_4plusIvEEiEEDaPvRmT3_T4_T5_mT6_P12ihipStream_tbENKUlT_T0_E_clISt17integral_constantIbLb1EESX_EEDaSS_ST_EUlSS_E0_NS1_11comp_targetILNS1_3genE9ELNS1_11target_archE1100ELNS1_3gpuE3ELNS1_3repE0EEENS1_30default_config_static_selectorELNS0_4arch9wavefront6targetE1EEEvT1_
		.amdhsa_group_segment_fixed_size 0
		.amdhsa_private_segment_fixed_size 0
		.amdhsa_kernarg_size 40
		.amdhsa_user_sgpr_count 6
		.amdhsa_user_sgpr_private_segment_buffer 1
		.amdhsa_user_sgpr_dispatch_ptr 0
		.amdhsa_user_sgpr_queue_ptr 0
		.amdhsa_user_sgpr_kernarg_segment_ptr 1
		.amdhsa_user_sgpr_dispatch_id 0
		.amdhsa_user_sgpr_flat_scratch_init 0
		.amdhsa_user_sgpr_kernarg_preload_length 0
		.amdhsa_user_sgpr_kernarg_preload_offset 0
		.amdhsa_user_sgpr_private_segment_size 0
		.amdhsa_uses_dynamic_stack 0
		.amdhsa_system_sgpr_private_segment_wavefront_offset 0
		.amdhsa_system_sgpr_workgroup_id_x 1
		.amdhsa_system_sgpr_workgroup_id_y 0
		.amdhsa_system_sgpr_workgroup_id_z 0
		.amdhsa_system_sgpr_workgroup_info 0
		.amdhsa_system_vgpr_workitem_id 0
		.amdhsa_next_free_vgpr 1
		.amdhsa_next_free_sgpr 0
		.amdhsa_accum_offset 4
		.amdhsa_reserve_vcc 0
		.amdhsa_reserve_flat_scratch 0
		.amdhsa_float_round_mode_32 0
		.amdhsa_float_round_mode_16_64 0
		.amdhsa_float_denorm_mode_32 3
		.amdhsa_float_denorm_mode_16_64 3
		.amdhsa_dx10_clamp 1
		.amdhsa_ieee_mode 1
		.amdhsa_fp16_overflow 0
		.amdhsa_tg_split 0
		.amdhsa_exception_fp_ieee_invalid_op 0
		.amdhsa_exception_fp_denorm_src 0
		.amdhsa_exception_fp_ieee_div_zero 0
		.amdhsa_exception_fp_ieee_overflow 0
		.amdhsa_exception_fp_ieee_underflow 0
		.amdhsa_exception_fp_ieee_inexact 0
		.amdhsa_exception_int_div_zero 0
	.end_amdhsa_kernel
	.section	.text._ZN7rocprim17ROCPRIM_400000_NS6detail17trampoline_kernelINS0_14default_configENS1_20scan_config_selectorIiEEZZNS1_9scan_implILNS1_25lookback_scan_determinismE0ELb1ELb1ES3_N6thrust23THRUST_200600_302600_NS6detail15normal_iteratorINS9_10device_ptrIiEEEENS9_16discard_iteratorINS9_11use_defaultEEEiNS9_4plusIvEEiEEDaPvRmT3_T4_T5_mT6_P12ihipStream_tbENKUlT_T0_E_clISt17integral_constantIbLb1EESX_EEDaSS_ST_EUlSS_E0_NS1_11comp_targetILNS1_3genE9ELNS1_11target_archE1100ELNS1_3gpuE3ELNS1_3repE0EEENS1_30default_config_static_selectorELNS0_4arch9wavefront6targetE1EEEvT1_,"axG",@progbits,_ZN7rocprim17ROCPRIM_400000_NS6detail17trampoline_kernelINS0_14default_configENS1_20scan_config_selectorIiEEZZNS1_9scan_implILNS1_25lookback_scan_determinismE0ELb1ELb1ES3_N6thrust23THRUST_200600_302600_NS6detail15normal_iteratorINS9_10device_ptrIiEEEENS9_16discard_iteratorINS9_11use_defaultEEEiNS9_4plusIvEEiEEDaPvRmT3_T4_T5_mT6_P12ihipStream_tbENKUlT_T0_E_clISt17integral_constantIbLb1EESX_EEDaSS_ST_EUlSS_E0_NS1_11comp_targetILNS1_3genE9ELNS1_11target_archE1100ELNS1_3gpuE3ELNS1_3repE0EEENS1_30default_config_static_selectorELNS0_4arch9wavefront6targetE1EEEvT1_,comdat
.Lfunc_end5832:
	.size	_ZN7rocprim17ROCPRIM_400000_NS6detail17trampoline_kernelINS0_14default_configENS1_20scan_config_selectorIiEEZZNS1_9scan_implILNS1_25lookback_scan_determinismE0ELb1ELb1ES3_N6thrust23THRUST_200600_302600_NS6detail15normal_iteratorINS9_10device_ptrIiEEEENS9_16discard_iteratorINS9_11use_defaultEEEiNS9_4plusIvEEiEEDaPvRmT3_T4_T5_mT6_P12ihipStream_tbENKUlT_T0_E_clISt17integral_constantIbLb1EESX_EEDaSS_ST_EUlSS_E0_NS1_11comp_targetILNS1_3genE9ELNS1_11target_archE1100ELNS1_3gpuE3ELNS1_3repE0EEENS1_30default_config_static_selectorELNS0_4arch9wavefront6targetE1EEEvT1_, .Lfunc_end5832-_ZN7rocprim17ROCPRIM_400000_NS6detail17trampoline_kernelINS0_14default_configENS1_20scan_config_selectorIiEEZZNS1_9scan_implILNS1_25lookback_scan_determinismE0ELb1ELb1ES3_N6thrust23THRUST_200600_302600_NS6detail15normal_iteratorINS9_10device_ptrIiEEEENS9_16discard_iteratorINS9_11use_defaultEEEiNS9_4plusIvEEiEEDaPvRmT3_T4_T5_mT6_P12ihipStream_tbENKUlT_T0_E_clISt17integral_constantIbLb1EESX_EEDaSS_ST_EUlSS_E0_NS1_11comp_targetILNS1_3genE9ELNS1_11target_archE1100ELNS1_3gpuE3ELNS1_3repE0EEENS1_30default_config_static_selectorELNS0_4arch9wavefront6targetE1EEEvT1_
                                        ; -- End function
	.section	.AMDGPU.csdata,"",@progbits
; Kernel info:
; codeLenInByte = 0
; NumSgprs: 4
; NumVgprs: 0
; NumAgprs: 0
; TotalNumVgprs: 0
; ScratchSize: 0
; MemoryBound: 0
; FloatMode: 240
; IeeeMode: 1
; LDSByteSize: 0 bytes/workgroup (compile time only)
; SGPRBlocks: 0
; VGPRBlocks: 0
; NumSGPRsForWavesPerEU: 4
; NumVGPRsForWavesPerEU: 1
; AccumOffset: 4
; Occupancy: 8
; WaveLimiterHint : 0
; COMPUTE_PGM_RSRC2:SCRATCH_EN: 0
; COMPUTE_PGM_RSRC2:USER_SGPR: 6
; COMPUTE_PGM_RSRC2:TRAP_HANDLER: 0
; COMPUTE_PGM_RSRC2:TGID_X_EN: 1
; COMPUTE_PGM_RSRC2:TGID_Y_EN: 0
; COMPUTE_PGM_RSRC2:TGID_Z_EN: 0
; COMPUTE_PGM_RSRC2:TIDIG_COMP_CNT: 0
; COMPUTE_PGM_RSRC3_GFX90A:ACCUM_OFFSET: 0
; COMPUTE_PGM_RSRC3_GFX90A:TG_SPLIT: 0
	.section	.text._ZN7rocprim17ROCPRIM_400000_NS6detail17trampoline_kernelINS0_14default_configENS1_20scan_config_selectorIiEEZZNS1_9scan_implILNS1_25lookback_scan_determinismE0ELb1ELb1ES3_N6thrust23THRUST_200600_302600_NS6detail15normal_iteratorINS9_10device_ptrIiEEEENS9_16discard_iteratorINS9_11use_defaultEEEiNS9_4plusIvEEiEEDaPvRmT3_T4_T5_mT6_P12ihipStream_tbENKUlT_T0_E_clISt17integral_constantIbLb1EESX_EEDaSS_ST_EUlSS_E0_NS1_11comp_targetILNS1_3genE8ELNS1_11target_archE1030ELNS1_3gpuE2ELNS1_3repE0EEENS1_30default_config_static_selectorELNS0_4arch9wavefront6targetE1EEEvT1_,"axG",@progbits,_ZN7rocprim17ROCPRIM_400000_NS6detail17trampoline_kernelINS0_14default_configENS1_20scan_config_selectorIiEEZZNS1_9scan_implILNS1_25lookback_scan_determinismE0ELb1ELb1ES3_N6thrust23THRUST_200600_302600_NS6detail15normal_iteratorINS9_10device_ptrIiEEEENS9_16discard_iteratorINS9_11use_defaultEEEiNS9_4plusIvEEiEEDaPvRmT3_T4_T5_mT6_P12ihipStream_tbENKUlT_T0_E_clISt17integral_constantIbLb1EESX_EEDaSS_ST_EUlSS_E0_NS1_11comp_targetILNS1_3genE8ELNS1_11target_archE1030ELNS1_3gpuE2ELNS1_3repE0EEENS1_30default_config_static_selectorELNS0_4arch9wavefront6targetE1EEEvT1_,comdat
	.protected	_ZN7rocprim17ROCPRIM_400000_NS6detail17trampoline_kernelINS0_14default_configENS1_20scan_config_selectorIiEEZZNS1_9scan_implILNS1_25lookback_scan_determinismE0ELb1ELb1ES3_N6thrust23THRUST_200600_302600_NS6detail15normal_iteratorINS9_10device_ptrIiEEEENS9_16discard_iteratorINS9_11use_defaultEEEiNS9_4plusIvEEiEEDaPvRmT3_T4_T5_mT6_P12ihipStream_tbENKUlT_T0_E_clISt17integral_constantIbLb1EESX_EEDaSS_ST_EUlSS_E0_NS1_11comp_targetILNS1_3genE8ELNS1_11target_archE1030ELNS1_3gpuE2ELNS1_3repE0EEENS1_30default_config_static_selectorELNS0_4arch9wavefront6targetE1EEEvT1_ ; -- Begin function _ZN7rocprim17ROCPRIM_400000_NS6detail17trampoline_kernelINS0_14default_configENS1_20scan_config_selectorIiEEZZNS1_9scan_implILNS1_25lookback_scan_determinismE0ELb1ELb1ES3_N6thrust23THRUST_200600_302600_NS6detail15normal_iteratorINS9_10device_ptrIiEEEENS9_16discard_iteratorINS9_11use_defaultEEEiNS9_4plusIvEEiEEDaPvRmT3_T4_T5_mT6_P12ihipStream_tbENKUlT_T0_E_clISt17integral_constantIbLb1EESX_EEDaSS_ST_EUlSS_E0_NS1_11comp_targetILNS1_3genE8ELNS1_11target_archE1030ELNS1_3gpuE2ELNS1_3repE0EEENS1_30default_config_static_selectorELNS0_4arch9wavefront6targetE1EEEvT1_
	.globl	_ZN7rocprim17ROCPRIM_400000_NS6detail17trampoline_kernelINS0_14default_configENS1_20scan_config_selectorIiEEZZNS1_9scan_implILNS1_25lookback_scan_determinismE0ELb1ELb1ES3_N6thrust23THRUST_200600_302600_NS6detail15normal_iteratorINS9_10device_ptrIiEEEENS9_16discard_iteratorINS9_11use_defaultEEEiNS9_4plusIvEEiEEDaPvRmT3_T4_T5_mT6_P12ihipStream_tbENKUlT_T0_E_clISt17integral_constantIbLb1EESX_EEDaSS_ST_EUlSS_E0_NS1_11comp_targetILNS1_3genE8ELNS1_11target_archE1030ELNS1_3gpuE2ELNS1_3repE0EEENS1_30default_config_static_selectorELNS0_4arch9wavefront6targetE1EEEvT1_
	.p2align	8
	.type	_ZN7rocprim17ROCPRIM_400000_NS6detail17trampoline_kernelINS0_14default_configENS1_20scan_config_selectorIiEEZZNS1_9scan_implILNS1_25lookback_scan_determinismE0ELb1ELb1ES3_N6thrust23THRUST_200600_302600_NS6detail15normal_iteratorINS9_10device_ptrIiEEEENS9_16discard_iteratorINS9_11use_defaultEEEiNS9_4plusIvEEiEEDaPvRmT3_T4_T5_mT6_P12ihipStream_tbENKUlT_T0_E_clISt17integral_constantIbLb1EESX_EEDaSS_ST_EUlSS_E0_NS1_11comp_targetILNS1_3genE8ELNS1_11target_archE1030ELNS1_3gpuE2ELNS1_3repE0EEENS1_30default_config_static_selectorELNS0_4arch9wavefront6targetE1EEEvT1_,@function
_ZN7rocprim17ROCPRIM_400000_NS6detail17trampoline_kernelINS0_14default_configENS1_20scan_config_selectorIiEEZZNS1_9scan_implILNS1_25lookback_scan_determinismE0ELb1ELb1ES3_N6thrust23THRUST_200600_302600_NS6detail15normal_iteratorINS9_10device_ptrIiEEEENS9_16discard_iteratorINS9_11use_defaultEEEiNS9_4plusIvEEiEEDaPvRmT3_T4_T5_mT6_P12ihipStream_tbENKUlT_T0_E_clISt17integral_constantIbLb1EESX_EEDaSS_ST_EUlSS_E0_NS1_11comp_targetILNS1_3genE8ELNS1_11target_archE1030ELNS1_3gpuE2ELNS1_3repE0EEENS1_30default_config_static_selectorELNS0_4arch9wavefront6targetE1EEEvT1_: ; @_ZN7rocprim17ROCPRIM_400000_NS6detail17trampoline_kernelINS0_14default_configENS1_20scan_config_selectorIiEEZZNS1_9scan_implILNS1_25lookback_scan_determinismE0ELb1ELb1ES3_N6thrust23THRUST_200600_302600_NS6detail15normal_iteratorINS9_10device_ptrIiEEEENS9_16discard_iteratorINS9_11use_defaultEEEiNS9_4plusIvEEiEEDaPvRmT3_T4_T5_mT6_P12ihipStream_tbENKUlT_T0_E_clISt17integral_constantIbLb1EESX_EEDaSS_ST_EUlSS_E0_NS1_11comp_targetILNS1_3genE8ELNS1_11target_archE1030ELNS1_3gpuE2ELNS1_3repE0EEENS1_30default_config_static_selectorELNS0_4arch9wavefront6targetE1EEEvT1_
; %bb.0:
	.section	.rodata,"a",@progbits
	.p2align	6, 0x0
	.amdhsa_kernel _ZN7rocprim17ROCPRIM_400000_NS6detail17trampoline_kernelINS0_14default_configENS1_20scan_config_selectorIiEEZZNS1_9scan_implILNS1_25lookback_scan_determinismE0ELb1ELb1ES3_N6thrust23THRUST_200600_302600_NS6detail15normal_iteratorINS9_10device_ptrIiEEEENS9_16discard_iteratorINS9_11use_defaultEEEiNS9_4plusIvEEiEEDaPvRmT3_T4_T5_mT6_P12ihipStream_tbENKUlT_T0_E_clISt17integral_constantIbLb1EESX_EEDaSS_ST_EUlSS_E0_NS1_11comp_targetILNS1_3genE8ELNS1_11target_archE1030ELNS1_3gpuE2ELNS1_3repE0EEENS1_30default_config_static_selectorELNS0_4arch9wavefront6targetE1EEEvT1_
		.amdhsa_group_segment_fixed_size 0
		.amdhsa_private_segment_fixed_size 0
		.amdhsa_kernarg_size 40
		.amdhsa_user_sgpr_count 6
		.amdhsa_user_sgpr_private_segment_buffer 1
		.amdhsa_user_sgpr_dispatch_ptr 0
		.amdhsa_user_sgpr_queue_ptr 0
		.amdhsa_user_sgpr_kernarg_segment_ptr 1
		.amdhsa_user_sgpr_dispatch_id 0
		.amdhsa_user_sgpr_flat_scratch_init 0
		.amdhsa_user_sgpr_kernarg_preload_length 0
		.amdhsa_user_sgpr_kernarg_preload_offset 0
		.amdhsa_user_sgpr_private_segment_size 0
		.amdhsa_uses_dynamic_stack 0
		.amdhsa_system_sgpr_private_segment_wavefront_offset 0
		.amdhsa_system_sgpr_workgroup_id_x 1
		.amdhsa_system_sgpr_workgroup_id_y 0
		.amdhsa_system_sgpr_workgroup_id_z 0
		.amdhsa_system_sgpr_workgroup_info 0
		.amdhsa_system_vgpr_workitem_id 0
		.amdhsa_next_free_vgpr 1
		.amdhsa_next_free_sgpr 0
		.amdhsa_accum_offset 4
		.amdhsa_reserve_vcc 0
		.amdhsa_reserve_flat_scratch 0
		.amdhsa_float_round_mode_32 0
		.amdhsa_float_round_mode_16_64 0
		.amdhsa_float_denorm_mode_32 3
		.amdhsa_float_denorm_mode_16_64 3
		.amdhsa_dx10_clamp 1
		.amdhsa_ieee_mode 1
		.amdhsa_fp16_overflow 0
		.amdhsa_tg_split 0
		.amdhsa_exception_fp_ieee_invalid_op 0
		.amdhsa_exception_fp_denorm_src 0
		.amdhsa_exception_fp_ieee_div_zero 0
		.amdhsa_exception_fp_ieee_overflow 0
		.amdhsa_exception_fp_ieee_underflow 0
		.amdhsa_exception_fp_ieee_inexact 0
		.amdhsa_exception_int_div_zero 0
	.end_amdhsa_kernel
	.section	.text._ZN7rocprim17ROCPRIM_400000_NS6detail17trampoline_kernelINS0_14default_configENS1_20scan_config_selectorIiEEZZNS1_9scan_implILNS1_25lookback_scan_determinismE0ELb1ELb1ES3_N6thrust23THRUST_200600_302600_NS6detail15normal_iteratorINS9_10device_ptrIiEEEENS9_16discard_iteratorINS9_11use_defaultEEEiNS9_4plusIvEEiEEDaPvRmT3_T4_T5_mT6_P12ihipStream_tbENKUlT_T0_E_clISt17integral_constantIbLb1EESX_EEDaSS_ST_EUlSS_E0_NS1_11comp_targetILNS1_3genE8ELNS1_11target_archE1030ELNS1_3gpuE2ELNS1_3repE0EEENS1_30default_config_static_selectorELNS0_4arch9wavefront6targetE1EEEvT1_,"axG",@progbits,_ZN7rocprim17ROCPRIM_400000_NS6detail17trampoline_kernelINS0_14default_configENS1_20scan_config_selectorIiEEZZNS1_9scan_implILNS1_25lookback_scan_determinismE0ELb1ELb1ES3_N6thrust23THRUST_200600_302600_NS6detail15normal_iteratorINS9_10device_ptrIiEEEENS9_16discard_iteratorINS9_11use_defaultEEEiNS9_4plusIvEEiEEDaPvRmT3_T4_T5_mT6_P12ihipStream_tbENKUlT_T0_E_clISt17integral_constantIbLb1EESX_EEDaSS_ST_EUlSS_E0_NS1_11comp_targetILNS1_3genE8ELNS1_11target_archE1030ELNS1_3gpuE2ELNS1_3repE0EEENS1_30default_config_static_selectorELNS0_4arch9wavefront6targetE1EEEvT1_,comdat
.Lfunc_end5833:
	.size	_ZN7rocprim17ROCPRIM_400000_NS6detail17trampoline_kernelINS0_14default_configENS1_20scan_config_selectorIiEEZZNS1_9scan_implILNS1_25lookback_scan_determinismE0ELb1ELb1ES3_N6thrust23THRUST_200600_302600_NS6detail15normal_iteratorINS9_10device_ptrIiEEEENS9_16discard_iteratorINS9_11use_defaultEEEiNS9_4plusIvEEiEEDaPvRmT3_T4_T5_mT6_P12ihipStream_tbENKUlT_T0_E_clISt17integral_constantIbLb1EESX_EEDaSS_ST_EUlSS_E0_NS1_11comp_targetILNS1_3genE8ELNS1_11target_archE1030ELNS1_3gpuE2ELNS1_3repE0EEENS1_30default_config_static_selectorELNS0_4arch9wavefront6targetE1EEEvT1_, .Lfunc_end5833-_ZN7rocprim17ROCPRIM_400000_NS6detail17trampoline_kernelINS0_14default_configENS1_20scan_config_selectorIiEEZZNS1_9scan_implILNS1_25lookback_scan_determinismE0ELb1ELb1ES3_N6thrust23THRUST_200600_302600_NS6detail15normal_iteratorINS9_10device_ptrIiEEEENS9_16discard_iteratorINS9_11use_defaultEEEiNS9_4plusIvEEiEEDaPvRmT3_T4_T5_mT6_P12ihipStream_tbENKUlT_T0_E_clISt17integral_constantIbLb1EESX_EEDaSS_ST_EUlSS_E0_NS1_11comp_targetILNS1_3genE8ELNS1_11target_archE1030ELNS1_3gpuE2ELNS1_3repE0EEENS1_30default_config_static_selectorELNS0_4arch9wavefront6targetE1EEEvT1_
                                        ; -- End function
	.section	.AMDGPU.csdata,"",@progbits
; Kernel info:
; codeLenInByte = 0
; NumSgprs: 4
; NumVgprs: 0
; NumAgprs: 0
; TotalNumVgprs: 0
; ScratchSize: 0
; MemoryBound: 0
; FloatMode: 240
; IeeeMode: 1
; LDSByteSize: 0 bytes/workgroup (compile time only)
; SGPRBlocks: 0
; VGPRBlocks: 0
; NumSGPRsForWavesPerEU: 4
; NumVGPRsForWavesPerEU: 1
; AccumOffset: 4
; Occupancy: 8
; WaveLimiterHint : 0
; COMPUTE_PGM_RSRC2:SCRATCH_EN: 0
; COMPUTE_PGM_RSRC2:USER_SGPR: 6
; COMPUTE_PGM_RSRC2:TRAP_HANDLER: 0
; COMPUTE_PGM_RSRC2:TGID_X_EN: 1
; COMPUTE_PGM_RSRC2:TGID_Y_EN: 0
; COMPUTE_PGM_RSRC2:TGID_Z_EN: 0
; COMPUTE_PGM_RSRC2:TIDIG_COMP_CNT: 0
; COMPUTE_PGM_RSRC3_GFX90A:ACCUM_OFFSET: 0
; COMPUTE_PGM_RSRC3_GFX90A:TG_SPLIT: 0
	.section	.text._ZN7rocprim17ROCPRIM_400000_NS6detail17trampoline_kernelINS0_14default_configENS1_20scan_config_selectorIiEEZZNS1_9scan_implILNS1_25lookback_scan_determinismE0ELb1ELb1ES3_N6thrust23THRUST_200600_302600_NS6detail15normal_iteratorINS9_10device_ptrIiEEEENS9_16discard_iteratorINS9_11use_defaultEEEiNS9_4plusIvEEiEEDaPvRmT3_T4_T5_mT6_P12ihipStream_tbENKUlT_T0_E_clISt17integral_constantIbLb1EESW_IbLb0EEEEDaSS_ST_EUlSS_E_NS1_11comp_targetILNS1_3genE0ELNS1_11target_archE4294967295ELNS1_3gpuE0ELNS1_3repE0EEENS1_30default_config_static_selectorELNS0_4arch9wavefront6targetE1EEEvT1_,"axG",@progbits,_ZN7rocprim17ROCPRIM_400000_NS6detail17trampoline_kernelINS0_14default_configENS1_20scan_config_selectorIiEEZZNS1_9scan_implILNS1_25lookback_scan_determinismE0ELb1ELb1ES3_N6thrust23THRUST_200600_302600_NS6detail15normal_iteratorINS9_10device_ptrIiEEEENS9_16discard_iteratorINS9_11use_defaultEEEiNS9_4plusIvEEiEEDaPvRmT3_T4_T5_mT6_P12ihipStream_tbENKUlT_T0_E_clISt17integral_constantIbLb1EESW_IbLb0EEEEDaSS_ST_EUlSS_E_NS1_11comp_targetILNS1_3genE0ELNS1_11target_archE4294967295ELNS1_3gpuE0ELNS1_3repE0EEENS1_30default_config_static_selectorELNS0_4arch9wavefront6targetE1EEEvT1_,comdat
	.protected	_ZN7rocprim17ROCPRIM_400000_NS6detail17trampoline_kernelINS0_14default_configENS1_20scan_config_selectorIiEEZZNS1_9scan_implILNS1_25lookback_scan_determinismE0ELb1ELb1ES3_N6thrust23THRUST_200600_302600_NS6detail15normal_iteratorINS9_10device_ptrIiEEEENS9_16discard_iteratorINS9_11use_defaultEEEiNS9_4plusIvEEiEEDaPvRmT3_T4_T5_mT6_P12ihipStream_tbENKUlT_T0_E_clISt17integral_constantIbLb1EESW_IbLb0EEEEDaSS_ST_EUlSS_E_NS1_11comp_targetILNS1_3genE0ELNS1_11target_archE4294967295ELNS1_3gpuE0ELNS1_3repE0EEENS1_30default_config_static_selectorELNS0_4arch9wavefront6targetE1EEEvT1_ ; -- Begin function _ZN7rocprim17ROCPRIM_400000_NS6detail17trampoline_kernelINS0_14default_configENS1_20scan_config_selectorIiEEZZNS1_9scan_implILNS1_25lookback_scan_determinismE0ELb1ELb1ES3_N6thrust23THRUST_200600_302600_NS6detail15normal_iteratorINS9_10device_ptrIiEEEENS9_16discard_iteratorINS9_11use_defaultEEEiNS9_4plusIvEEiEEDaPvRmT3_T4_T5_mT6_P12ihipStream_tbENKUlT_T0_E_clISt17integral_constantIbLb1EESW_IbLb0EEEEDaSS_ST_EUlSS_E_NS1_11comp_targetILNS1_3genE0ELNS1_11target_archE4294967295ELNS1_3gpuE0ELNS1_3repE0EEENS1_30default_config_static_selectorELNS0_4arch9wavefront6targetE1EEEvT1_
	.globl	_ZN7rocprim17ROCPRIM_400000_NS6detail17trampoline_kernelINS0_14default_configENS1_20scan_config_selectorIiEEZZNS1_9scan_implILNS1_25lookback_scan_determinismE0ELb1ELb1ES3_N6thrust23THRUST_200600_302600_NS6detail15normal_iteratorINS9_10device_ptrIiEEEENS9_16discard_iteratorINS9_11use_defaultEEEiNS9_4plusIvEEiEEDaPvRmT3_T4_T5_mT6_P12ihipStream_tbENKUlT_T0_E_clISt17integral_constantIbLb1EESW_IbLb0EEEEDaSS_ST_EUlSS_E_NS1_11comp_targetILNS1_3genE0ELNS1_11target_archE4294967295ELNS1_3gpuE0ELNS1_3repE0EEENS1_30default_config_static_selectorELNS0_4arch9wavefront6targetE1EEEvT1_
	.p2align	8
	.type	_ZN7rocprim17ROCPRIM_400000_NS6detail17trampoline_kernelINS0_14default_configENS1_20scan_config_selectorIiEEZZNS1_9scan_implILNS1_25lookback_scan_determinismE0ELb1ELb1ES3_N6thrust23THRUST_200600_302600_NS6detail15normal_iteratorINS9_10device_ptrIiEEEENS9_16discard_iteratorINS9_11use_defaultEEEiNS9_4plusIvEEiEEDaPvRmT3_T4_T5_mT6_P12ihipStream_tbENKUlT_T0_E_clISt17integral_constantIbLb1EESW_IbLb0EEEEDaSS_ST_EUlSS_E_NS1_11comp_targetILNS1_3genE0ELNS1_11target_archE4294967295ELNS1_3gpuE0ELNS1_3repE0EEENS1_30default_config_static_selectorELNS0_4arch9wavefront6targetE1EEEvT1_,@function
_ZN7rocprim17ROCPRIM_400000_NS6detail17trampoline_kernelINS0_14default_configENS1_20scan_config_selectorIiEEZZNS1_9scan_implILNS1_25lookback_scan_determinismE0ELb1ELb1ES3_N6thrust23THRUST_200600_302600_NS6detail15normal_iteratorINS9_10device_ptrIiEEEENS9_16discard_iteratorINS9_11use_defaultEEEiNS9_4plusIvEEiEEDaPvRmT3_T4_T5_mT6_P12ihipStream_tbENKUlT_T0_E_clISt17integral_constantIbLb1EESW_IbLb0EEEEDaSS_ST_EUlSS_E_NS1_11comp_targetILNS1_3genE0ELNS1_11target_archE4294967295ELNS1_3gpuE0ELNS1_3repE0EEENS1_30default_config_static_selectorELNS0_4arch9wavefront6targetE1EEEvT1_: ; @_ZN7rocprim17ROCPRIM_400000_NS6detail17trampoline_kernelINS0_14default_configENS1_20scan_config_selectorIiEEZZNS1_9scan_implILNS1_25lookback_scan_determinismE0ELb1ELb1ES3_N6thrust23THRUST_200600_302600_NS6detail15normal_iteratorINS9_10device_ptrIiEEEENS9_16discard_iteratorINS9_11use_defaultEEEiNS9_4plusIvEEiEEDaPvRmT3_T4_T5_mT6_P12ihipStream_tbENKUlT_T0_E_clISt17integral_constantIbLb1EESW_IbLb0EEEEDaSS_ST_EUlSS_E_NS1_11comp_targetILNS1_3genE0ELNS1_11target_archE4294967295ELNS1_3gpuE0ELNS1_3repE0EEENS1_30default_config_static_selectorELNS0_4arch9wavefront6targetE1EEEvT1_
; %bb.0:
	.section	.rodata,"a",@progbits
	.p2align	6, 0x0
	.amdhsa_kernel _ZN7rocprim17ROCPRIM_400000_NS6detail17trampoline_kernelINS0_14default_configENS1_20scan_config_selectorIiEEZZNS1_9scan_implILNS1_25lookback_scan_determinismE0ELb1ELb1ES3_N6thrust23THRUST_200600_302600_NS6detail15normal_iteratorINS9_10device_ptrIiEEEENS9_16discard_iteratorINS9_11use_defaultEEEiNS9_4plusIvEEiEEDaPvRmT3_T4_T5_mT6_P12ihipStream_tbENKUlT_T0_E_clISt17integral_constantIbLb1EESW_IbLb0EEEEDaSS_ST_EUlSS_E_NS1_11comp_targetILNS1_3genE0ELNS1_11target_archE4294967295ELNS1_3gpuE0ELNS1_3repE0EEENS1_30default_config_static_selectorELNS0_4arch9wavefront6targetE1EEEvT1_
		.amdhsa_group_segment_fixed_size 0
		.amdhsa_private_segment_fixed_size 0
		.amdhsa_kernarg_size 104
		.amdhsa_user_sgpr_count 6
		.amdhsa_user_sgpr_private_segment_buffer 1
		.amdhsa_user_sgpr_dispatch_ptr 0
		.amdhsa_user_sgpr_queue_ptr 0
		.amdhsa_user_sgpr_kernarg_segment_ptr 1
		.amdhsa_user_sgpr_dispatch_id 0
		.amdhsa_user_sgpr_flat_scratch_init 0
		.amdhsa_user_sgpr_kernarg_preload_length 0
		.amdhsa_user_sgpr_kernarg_preload_offset 0
		.amdhsa_user_sgpr_private_segment_size 0
		.amdhsa_uses_dynamic_stack 0
		.amdhsa_system_sgpr_private_segment_wavefront_offset 0
		.amdhsa_system_sgpr_workgroup_id_x 1
		.amdhsa_system_sgpr_workgroup_id_y 0
		.amdhsa_system_sgpr_workgroup_id_z 0
		.amdhsa_system_sgpr_workgroup_info 0
		.amdhsa_system_vgpr_workitem_id 0
		.amdhsa_next_free_vgpr 1
		.amdhsa_next_free_sgpr 0
		.amdhsa_accum_offset 4
		.amdhsa_reserve_vcc 0
		.amdhsa_reserve_flat_scratch 0
		.amdhsa_float_round_mode_32 0
		.amdhsa_float_round_mode_16_64 0
		.amdhsa_float_denorm_mode_32 3
		.amdhsa_float_denorm_mode_16_64 3
		.amdhsa_dx10_clamp 1
		.amdhsa_ieee_mode 1
		.amdhsa_fp16_overflow 0
		.amdhsa_tg_split 0
		.amdhsa_exception_fp_ieee_invalid_op 0
		.amdhsa_exception_fp_denorm_src 0
		.amdhsa_exception_fp_ieee_div_zero 0
		.amdhsa_exception_fp_ieee_overflow 0
		.amdhsa_exception_fp_ieee_underflow 0
		.amdhsa_exception_fp_ieee_inexact 0
		.amdhsa_exception_int_div_zero 0
	.end_amdhsa_kernel
	.section	.text._ZN7rocprim17ROCPRIM_400000_NS6detail17trampoline_kernelINS0_14default_configENS1_20scan_config_selectorIiEEZZNS1_9scan_implILNS1_25lookback_scan_determinismE0ELb1ELb1ES3_N6thrust23THRUST_200600_302600_NS6detail15normal_iteratorINS9_10device_ptrIiEEEENS9_16discard_iteratorINS9_11use_defaultEEEiNS9_4plusIvEEiEEDaPvRmT3_T4_T5_mT6_P12ihipStream_tbENKUlT_T0_E_clISt17integral_constantIbLb1EESW_IbLb0EEEEDaSS_ST_EUlSS_E_NS1_11comp_targetILNS1_3genE0ELNS1_11target_archE4294967295ELNS1_3gpuE0ELNS1_3repE0EEENS1_30default_config_static_selectorELNS0_4arch9wavefront6targetE1EEEvT1_,"axG",@progbits,_ZN7rocprim17ROCPRIM_400000_NS6detail17trampoline_kernelINS0_14default_configENS1_20scan_config_selectorIiEEZZNS1_9scan_implILNS1_25lookback_scan_determinismE0ELb1ELb1ES3_N6thrust23THRUST_200600_302600_NS6detail15normal_iteratorINS9_10device_ptrIiEEEENS9_16discard_iteratorINS9_11use_defaultEEEiNS9_4plusIvEEiEEDaPvRmT3_T4_T5_mT6_P12ihipStream_tbENKUlT_T0_E_clISt17integral_constantIbLb1EESW_IbLb0EEEEDaSS_ST_EUlSS_E_NS1_11comp_targetILNS1_3genE0ELNS1_11target_archE4294967295ELNS1_3gpuE0ELNS1_3repE0EEENS1_30default_config_static_selectorELNS0_4arch9wavefront6targetE1EEEvT1_,comdat
.Lfunc_end5834:
	.size	_ZN7rocprim17ROCPRIM_400000_NS6detail17trampoline_kernelINS0_14default_configENS1_20scan_config_selectorIiEEZZNS1_9scan_implILNS1_25lookback_scan_determinismE0ELb1ELb1ES3_N6thrust23THRUST_200600_302600_NS6detail15normal_iteratorINS9_10device_ptrIiEEEENS9_16discard_iteratorINS9_11use_defaultEEEiNS9_4plusIvEEiEEDaPvRmT3_T4_T5_mT6_P12ihipStream_tbENKUlT_T0_E_clISt17integral_constantIbLb1EESW_IbLb0EEEEDaSS_ST_EUlSS_E_NS1_11comp_targetILNS1_3genE0ELNS1_11target_archE4294967295ELNS1_3gpuE0ELNS1_3repE0EEENS1_30default_config_static_selectorELNS0_4arch9wavefront6targetE1EEEvT1_, .Lfunc_end5834-_ZN7rocprim17ROCPRIM_400000_NS6detail17trampoline_kernelINS0_14default_configENS1_20scan_config_selectorIiEEZZNS1_9scan_implILNS1_25lookback_scan_determinismE0ELb1ELb1ES3_N6thrust23THRUST_200600_302600_NS6detail15normal_iteratorINS9_10device_ptrIiEEEENS9_16discard_iteratorINS9_11use_defaultEEEiNS9_4plusIvEEiEEDaPvRmT3_T4_T5_mT6_P12ihipStream_tbENKUlT_T0_E_clISt17integral_constantIbLb1EESW_IbLb0EEEEDaSS_ST_EUlSS_E_NS1_11comp_targetILNS1_3genE0ELNS1_11target_archE4294967295ELNS1_3gpuE0ELNS1_3repE0EEENS1_30default_config_static_selectorELNS0_4arch9wavefront6targetE1EEEvT1_
                                        ; -- End function
	.section	.AMDGPU.csdata,"",@progbits
; Kernel info:
; codeLenInByte = 0
; NumSgprs: 4
; NumVgprs: 0
; NumAgprs: 0
; TotalNumVgprs: 0
; ScratchSize: 0
; MemoryBound: 0
; FloatMode: 240
; IeeeMode: 1
; LDSByteSize: 0 bytes/workgroup (compile time only)
; SGPRBlocks: 0
; VGPRBlocks: 0
; NumSGPRsForWavesPerEU: 4
; NumVGPRsForWavesPerEU: 1
; AccumOffset: 4
; Occupancy: 8
; WaveLimiterHint : 0
; COMPUTE_PGM_RSRC2:SCRATCH_EN: 0
; COMPUTE_PGM_RSRC2:USER_SGPR: 6
; COMPUTE_PGM_RSRC2:TRAP_HANDLER: 0
; COMPUTE_PGM_RSRC2:TGID_X_EN: 1
; COMPUTE_PGM_RSRC2:TGID_Y_EN: 0
; COMPUTE_PGM_RSRC2:TGID_Z_EN: 0
; COMPUTE_PGM_RSRC2:TIDIG_COMP_CNT: 0
; COMPUTE_PGM_RSRC3_GFX90A:ACCUM_OFFSET: 0
; COMPUTE_PGM_RSRC3_GFX90A:TG_SPLIT: 0
	.section	.text._ZN7rocprim17ROCPRIM_400000_NS6detail17trampoline_kernelINS0_14default_configENS1_20scan_config_selectorIiEEZZNS1_9scan_implILNS1_25lookback_scan_determinismE0ELb1ELb1ES3_N6thrust23THRUST_200600_302600_NS6detail15normal_iteratorINS9_10device_ptrIiEEEENS9_16discard_iteratorINS9_11use_defaultEEEiNS9_4plusIvEEiEEDaPvRmT3_T4_T5_mT6_P12ihipStream_tbENKUlT_T0_E_clISt17integral_constantIbLb1EESW_IbLb0EEEEDaSS_ST_EUlSS_E_NS1_11comp_targetILNS1_3genE5ELNS1_11target_archE942ELNS1_3gpuE9ELNS1_3repE0EEENS1_30default_config_static_selectorELNS0_4arch9wavefront6targetE1EEEvT1_,"axG",@progbits,_ZN7rocprim17ROCPRIM_400000_NS6detail17trampoline_kernelINS0_14default_configENS1_20scan_config_selectorIiEEZZNS1_9scan_implILNS1_25lookback_scan_determinismE0ELb1ELb1ES3_N6thrust23THRUST_200600_302600_NS6detail15normal_iteratorINS9_10device_ptrIiEEEENS9_16discard_iteratorINS9_11use_defaultEEEiNS9_4plusIvEEiEEDaPvRmT3_T4_T5_mT6_P12ihipStream_tbENKUlT_T0_E_clISt17integral_constantIbLb1EESW_IbLb0EEEEDaSS_ST_EUlSS_E_NS1_11comp_targetILNS1_3genE5ELNS1_11target_archE942ELNS1_3gpuE9ELNS1_3repE0EEENS1_30default_config_static_selectorELNS0_4arch9wavefront6targetE1EEEvT1_,comdat
	.protected	_ZN7rocprim17ROCPRIM_400000_NS6detail17trampoline_kernelINS0_14default_configENS1_20scan_config_selectorIiEEZZNS1_9scan_implILNS1_25lookback_scan_determinismE0ELb1ELb1ES3_N6thrust23THRUST_200600_302600_NS6detail15normal_iteratorINS9_10device_ptrIiEEEENS9_16discard_iteratorINS9_11use_defaultEEEiNS9_4plusIvEEiEEDaPvRmT3_T4_T5_mT6_P12ihipStream_tbENKUlT_T0_E_clISt17integral_constantIbLb1EESW_IbLb0EEEEDaSS_ST_EUlSS_E_NS1_11comp_targetILNS1_3genE5ELNS1_11target_archE942ELNS1_3gpuE9ELNS1_3repE0EEENS1_30default_config_static_selectorELNS0_4arch9wavefront6targetE1EEEvT1_ ; -- Begin function _ZN7rocprim17ROCPRIM_400000_NS6detail17trampoline_kernelINS0_14default_configENS1_20scan_config_selectorIiEEZZNS1_9scan_implILNS1_25lookback_scan_determinismE0ELb1ELb1ES3_N6thrust23THRUST_200600_302600_NS6detail15normal_iteratorINS9_10device_ptrIiEEEENS9_16discard_iteratorINS9_11use_defaultEEEiNS9_4plusIvEEiEEDaPvRmT3_T4_T5_mT6_P12ihipStream_tbENKUlT_T0_E_clISt17integral_constantIbLb1EESW_IbLb0EEEEDaSS_ST_EUlSS_E_NS1_11comp_targetILNS1_3genE5ELNS1_11target_archE942ELNS1_3gpuE9ELNS1_3repE0EEENS1_30default_config_static_selectorELNS0_4arch9wavefront6targetE1EEEvT1_
	.globl	_ZN7rocprim17ROCPRIM_400000_NS6detail17trampoline_kernelINS0_14default_configENS1_20scan_config_selectorIiEEZZNS1_9scan_implILNS1_25lookback_scan_determinismE0ELb1ELb1ES3_N6thrust23THRUST_200600_302600_NS6detail15normal_iteratorINS9_10device_ptrIiEEEENS9_16discard_iteratorINS9_11use_defaultEEEiNS9_4plusIvEEiEEDaPvRmT3_T4_T5_mT6_P12ihipStream_tbENKUlT_T0_E_clISt17integral_constantIbLb1EESW_IbLb0EEEEDaSS_ST_EUlSS_E_NS1_11comp_targetILNS1_3genE5ELNS1_11target_archE942ELNS1_3gpuE9ELNS1_3repE0EEENS1_30default_config_static_selectorELNS0_4arch9wavefront6targetE1EEEvT1_
	.p2align	8
	.type	_ZN7rocprim17ROCPRIM_400000_NS6detail17trampoline_kernelINS0_14default_configENS1_20scan_config_selectorIiEEZZNS1_9scan_implILNS1_25lookback_scan_determinismE0ELb1ELb1ES3_N6thrust23THRUST_200600_302600_NS6detail15normal_iteratorINS9_10device_ptrIiEEEENS9_16discard_iteratorINS9_11use_defaultEEEiNS9_4plusIvEEiEEDaPvRmT3_T4_T5_mT6_P12ihipStream_tbENKUlT_T0_E_clISt17integral_constantIbLb1EESW_IbLb0EEEEDaSS_ST_EUlSS_E_NS1_11comp_targetILNS1_3genE5ELNS1_11target_archE942ELNS1_3gpuE9ELNS1_3repE0EEENS1_30default_config_static_selectorELNS0_4arch9wavefront6targetE1EEEvT1_,@function
_ZN7rocprim17ROCPRIM_400000_NS6detail17trampoline_kernelINS0_14default_configENS1_20scan_config_selectorIiEEZZNS1_9scan_implILNS1_25lookback_scan_determinismE0ELb1ELb1ES3_N6thrust23THRUST_200600_302600_NS6detail15normal_iteratorINS9_10device_ptrIiEEEENS9_16discard_iteratorINS9_11use_defaultEEEiNS9_4plusIvEEiEEDaPvRmT3_T4_T5_mT6_P12ihipStream_tbENKUlT_T0_E_clISt17integral_constantIbLb1EESW_IbLb0EEEEDaSS_ST_EUlSS_E_NS1_11comp_targetILNS1_3genE5ELNS1_11target_archE942ELNS1_3gpuE9ELNS1_3repE0EEENS1_30default_config_static_selectorELNS0_4arch9wavefront6targetE1EEEvT1_: ; @_ZN7rocprim17ROCPRIM_400000_NS6detail17trampoline_kernelINS0_14default_configENS1_20scan_config_selectorIiEEZZNS1_9scan_implILNS1_25lookback_scan_determinismE0ELb1ELb1ES3_N6thrust23THRUST_200600_302600_NS6detail15normal_iteratorINS9_10device_ptrIiEEEENS9_16discard_iteratorINS9_11use_defaultEEEiNS9_4plusIvEEiEEDaPvRmT3_T4_T5_mT6_P12ihipStream_tbENKUlT_T0_E_clISt17integral_constantIbLb1EESW_IbLb0EEEEDaSS_ST_EUlSS_E_NS1_11comp_targetILNS1_3genE5ELNS1_11target_archE942ELNS1_3gpuE9ELNS1_3repE0EEENS1_30default_config_static_selectorELNS0_4arch9wavefront6targetE1EEEvT1_
; %bb.0:
	.section	.rodata,"a",@progbits
	.p2align	6, 0x0
	.amdhsa_kernel _ZN7rocprim17ROCPRIM_400000_NS6detail17trampoline_kernelINS0_14default_configENS1_20scan_config_selectorIiEEZZNS1_9scan_implILNS1_25lookback_scan_determinismE0ELb1ELb1ES3_N6thrust23THRUST_200600_302600_NS6detail15normal_iteratorINS9_10device_ptrIiEEEENS9_16discard_iteratorINS9_11use_defaultEEEiNS9_4plusIvEEiEEDaPvRmT3_T4_T5_mT6_P12ihipStream_tbENKUlT_T0_E_clISt17integral_constantIbLb1EESW_IbLb0EEEEDaSS_ST_EUlSS_E_NS1_11comp_targetILNS1_3genE5ELNS1_11target_archE942ELNS1_3gpuE9ELNS1_3repE0EEENS1_30default_config_static_selectorELNS0_4arch9wavefront6targetE1EEEvT1_
		.amdhsa_group_segment_fixed_size 0
		.amdhsa_private_segment_fixed_size 0
		.amdhsa_kernarg_size 104
		.amdhsa_user_sgpr_count 6
		.amdhsa_user_sgpr_private_segment_buffer 1
		.amdhsa_user_sgpr_dispatch_ptr 0
		.amdhsa_user_sgpr_queue_ptr 0
		.amdhsa_user_sgpr_kernarg_segment_ptr 1
		.amdhsa_user_sgpr_dispatch_id 0
		.amdhsa_user_sgpr_flat_scratch_init 0
		.amdhsa_user_sgpr_kernarg_preload_length 0
		.amdhsa_user_sgpr_kernarg_preload_offset 0
		.amdhsa_user_sgpr_private_segment_size 0
		.amdhsa_uses_dynamic_stack 0
		.amdhsa_system_sgpr_private_segment_wavefront_offset 0
		.amdhsa_system_sgpr_workgroup_id_x 1
		.amdhsa_system_sgpr_workgroup_id_y 0
		.amdhsa_system_sgpr_workgroup_id_z 0
		.amdhsa_system_sgpr_workgroup_info 0
		.amdhsa_system_vgpr_workitem_id 0
		.amdhsa_next_free_vgpr 1
		.amdhsa_next_free_sgpr 0
		.amdhsa_accum_offset 4
		.amdhsa_reserve_vcc 0
		.amdhsa_reserve_flat_scratch 0
		.amdhsa_float_round_mode_32 0
		.amdhsa_float_round_mode_16_64 0
		.amdhsa_float_denorm_mode_32 3
		.amdhsa_float_denorm_mode_16_64 3
		.amdhsa_dx10_clamp 1
		.amdhsa_ieee_mode 1
		.amdhsa_fp16_overflow 0
		.amdhsa_tg_split 0
		.amdhsa_exception_fp_ieee_invalid_op 0
		.amdhsa_exception_fp_denorm_src 0
		.amdhsa_exception_fp_ieee_div_zero 0
		.amdhsa_exception_fp_ieee_overflow 0
		.amdhsa_exception_fp_ieee_underflow 0
		.amdhsa_exception_fp_ieee_inexact 0
		.amdhsa_exception_int_div_zero 0
	.end_amdhsa_kernel
	.section	.text._ZN7rocprim17ROCPRIM_400000_NS6detail17trampoline_kernelINS0_14default_configENS1_20scan_config_selectorIiEEZZNS1_9scan_implILNS1_25lookback_scan_determinismE0ELb1ELb1ES3_N6thrust23THRUST_200600_302600_NS6detail15normal_iteratorINS9_10device_ptrIiEEEENS9_16discard_iteratorINS9_11use_defaultEEEiNS9_4plusIvEEiEEDaPvRmT3_T4_T5_mT6_P12ihipStream_tbENKUlT_T0_E_clISt17integral_constantIbLb1EESW_IbLb0EEEEDaSS_ST_EUlSS_E_NS1_11comp_targetILNS1_3genE5ELNS1_11target_archE942ELNS1_3gpuE9ELNS1_3repE0EEENS1_30default_config_static_selectorELNS0_4arch9wavefront6targetE1EEEvT1_,"axG",@progbits,_ZN7rocprim17ROCPRIM_400000_NS6detail17trampoline_kernelINS0_14default_configENS1_20scan_config_selectorIiEEZZNS1_9scan_implILNS1_25lookback_scan_determinismE0ELb1ELb1ES3_N6thrust23THRUST_200600_302600_NS6detail15normal_iteratorINS9_10device_ptrIiEEEENS9_16discard_iteratorINS9_11use_defaultEEEiNS9_4plusIvEEiEEDaPvRmT3_T4_T5_mT6_P12ihipStream_tbENKUlT_T0_E_clISt17integral_constantIbLb1EESW_IbLb0EEEEDaSS_ST_EUlSS_E_NS1_11comp_targetILNS1_3genE5ELNS1_11target_archE942ELNS1_3gpuE9ELNS1_3repE0EEENS1_30default_config_static_selectorELNS0_4arch9wavefront6targetE1EEEvT1_,comdat
.Lfunc_end5835:
	.size	_ZN7rocprim17ROCPRIM_400000_NS6detail17trampoline_kernelINS0_14default_configENS1_20scan_config_selectorIiEEZZNS1_9scan_implILNS1_25lookback_scan_determinismE0ELb1ELb1ES3_N6thrust23THRUST_200600_302600_NS6detail15normal_iteratorINS9_10device_ptrIiEEEENS9_16discard_iteratorINS9_11use_defaultEEEiNS9_4plusIvEEiEEDaPvRmT3_T4_T5_mT6_P12ihipStream_tbENKUlT_T0_E_clISt17integral_constantIbLb1EESW_IbLb0EEEEDaSS_ST_EUlSS_E_NS1_11comp_targetILNS1_3genE5ELNS1_11target_archE942ELNS1_3gpuE9ELNS1_3repE0EEENS1_30default_config_static_selectorELNS0_4arch9wavefront6targetE1EEEvT1_, .Lfunc_end5835-_ZN7rocprim17ROCPRIM_400000_NS6detail17trampoline_kernelINS0_14default_configENS1_20scan_config_selectorIiEEZZNS1_9scan_implILNS1_25lookback_scan_determinismE0ELb1ELb1ES3_N6thrust23THRUST_200600_302600_NS6detail15normal_iteratorINS9_10device_ptrIiEEEENS9_16discard_iteratorINS9_11use_defaultEEEiNS9_4plusIvEEiEEDaPvRmT3_T4_T5_mT6_P12ihipStream_tbENKUlT_T0_E_clISt17integral_constantIbLb1EESW_IbLb0EEEEDaSS_ST_EUlSS_E_NS1_11comp_targetILNS1_3genE5ELNS1_11target_archE942ELNS1_3gpuE9ELNS1_3repE0EEENS1_30default_config_static_selectorELNS0_4arch9wavefront6targetE1EEEvT1_
                                        ; -- End function
	.section	.AMDGPU.csdata,"",@progbits
; Kernel info:
; codeLenInByte = 0
; NumSgprs: 4
; NumVgprs: 0
; NumAgprs: 0
; TotalNumVgprs: 0
; ScratchSize: 0
; MemoryBound: 0
; FloatMode: 240
; IeeeMode: 1
; LDSByteSize: 0 bytes/workgroup (compile time only)
; SGPRBlocks: 0
; VGPRBlocks: 0
; NumSGPRsForWavesPerEU: 4
; NumVGPRsForWavesPerEU: 1
; AccumOffset: 4
; Occupancy: 8
; WaveLimiterHint : 0
; COMPUTE_PGM_RSRC2:SCRATCH_EN: 0
; COMPUTE_PGM_RSRC2:USER_SGPR: 6
; COMPUTE_PGM_RSRC2:TRAP_HANDLER: 0
; COMPUTE_PGM_RSRC2:TGID_X_EN: 1
; COMPUTE_PGM_RSRC2:TGID_Y_EN: 0
; COMPUTE_PGM_RSRC2:TGID_Z_EN: 0
; COMPUTE_PGM_RSRC2:TIDIG_COMP_CNT: 0
; COMPUTE_PGM_RSRC3_GFX90A:ACCUM_OFFSET: 0
; COMPUTE_PGM_RSRC3_GFX90A:TG_SPLIT: 0
	.section	.text._ZN7rocprim17ROCPRIM_400000_NS6detail17trampoline_kernelINS0_14default_configENS1_20scan_config_selectorIiEEZZNS1_9scan_implILNS1_25lookback_scan_determinismE0ELb1ELb1ES3_N6thrust23THRUST_200600_302600_NS6detail15normal_iteratorINS9_10device_ptrIiEEEENS9_16discard_iteratorINS9_11use_defaultEEEiNS9_4plusIvEEiEEDaPvRmT3_T4_T5_mT6_P12ihipStream_tbENKUlT_T0_E_clISt17integral_constantIbLb1EESW_IbLb0EEEEDaSS_ST_EUlSS_E_NS1_11comp_targetILNS1_3genE4ELNS1_11target_archE910ELNS1_3gpuE8ELNS1_3repE0EEENS1_30default_config_static_selectorELNS0_4arch9wavefront6targetE1EEEvT1_,"axG",@progbits,_ZN7rocprim17ROCPRIM_400000_NS6detail17trampoline_kernelINS0_14default_configENS1_20scan_config_selectorIiEEZZNS1_9scan_implILNS1_25lookback_scan_determinismE0ELb1ELb1ES3_N6thrust23THRUST_200600_302600_NS6detail15normal_iteratorINS9_10device_ptrIiEEEENS9_16discard_iteratorINS9_11use_defaultEEEiNS9_4plusIvEEiEEDaPvRmT3_T4_T5_mT6_P12ihipStream_tbENKUlT_T0_E_clISt17integral_constantIbLb1EESW_IbLb0EEEEDaSS_ST_EUlSS_E_NS1_11comp_targetILNS1_3genE4ELNS1_11target_archE910ELNS1_3gpuE8ELNS1_3repE0EEENS1_30default_config_static_selectorELNS0_4arch9wavefront6targetE1EEEvT1_,comdat
	.protected	_ZN7rocprim17ROCPRIM_400000_NS6detail17trampoline_kernelINS0_14default_configENS1_20scan_config_selectorIiEEZZNS1_9scan_implILNS1_25lookback_scan_determinismE0ELb1ELb1ES3_N6thrust23THRUST_200600_302600_NS6detail15normal_iteratorINS9_10device_ptrIiEEEENS9_16discard_iteratorINS9_11use_defaultEEEiNS9_4plusIvEEiEEDaPvRmT3_T4_T5_mT6_P12ihipStream_tbENKUlT_T0_E_clISt17integral_constantIbLb1EESW_IbLb0EEEEDaSS_ST_EUlSS_E_NS1_11comp_targetILNS1_3genE4ELNS1_11target_archE910ELNS1_3gpuE8ELNS1_3repE0EEENS1_30default_config_static_selectorELNS0_4arch9wavefront6targetE1EEEvT1_ ; -- Begin function _ZN7rocprim17ROCPRIM_400000_NS6detail17trampoline_kernelINS0_14default_configENS1_20scan_config_selectorIiEEZZNS1_9scan_implILNS1_25lookback_scan_determinismE0ELb1ELb1ES3_N6thrust23THRUST_200600_302600_NS6detail15normal_iteratorINS9_10device_ptrIiEEEENS9_16discard_iteratorINS9_11use_defaultEEEiNS9_4plusIvEEiEEDaPvRmT3_T4_T5_mT6_P12ihipStream_tbENKUlT_T0_E_clISt17integral_constantIbLb1EESW_IbLb0EEEEDaSS_ST_EUlSS_E_NS1_11comp_targetILNS1_3genE4ELNS1_11target_archE910ELNS1_3gpuE8ELNS1_3repE0EEENS1_30default_config_static_selectorELNS0_4arch9wavefront6targetE1EEEvT1_
	.globl	_ZN7rocprim17ROCPRIM_400000_NS6detail17trampoline_kernelINS0_14default_configENS1_20scan_config_selectorIiEEZZNS1_9scan_implILNS1_25lookback_scan_determinismE0ELb1ELb1ES3_N6thrust23THRUST_200600_302600_NS6detail15normal_iteratorINS9_10device_ptrIiEEEENS9_16discard_iteratorINS9_11use_defaultEEEiNS9_4plusIvEEiEEDaPvRmT3_T4_T5_mT6_P12ihipStream_tbENKUlT_T0_E_clISt17integral_constantIbLb1EESW_IbLb0EEEEDaSS_ST_EUlSS_E_NS1_11comp_targetILNS1_3genE4ELNS1_11target_archE910ELNS1_3gpuE8ELNS1_3repE0EEENS1_30default_config_static_selectorELNS0_4arch9wavefront6targetE1EEEvT1_
	.p2align	8
	.type	_ZN7rocprim17ROCPRIM_400000_NS6detail17trampoline_kernelINS0_14default_configENS1_20scan_config_selectorIiEEZZNS1_9scan_implILNS1_25lookback_scan_determinismE0ELb1ELb1ES3_N6thrust23THRUST_200600_302600_NS6detail15normal_iteratorINS9_10device_ptrIiEEEENS9_16discard_iteratorINS9_11use_defaultEEEiNS9_4plusIvEEiEEDaPvRmT3_T4_T5_mT6_P12ihipStream_tbENKUlT_T0_E_clISt17integral_constantIbLb1EESW_IbLb0EEEEDaSS_ST_EUlSS_E_NS1_11comp_targetILNS1_3genE4ELNS1_11target_archE910ELNS1_3gpuE8ELNS1_3repE0EEENS1_30default_config_static_selectorELNS0_4arch9wavefront6targetE1EEEvT1_,@function
_ZN7rocprim17ROCPRIM_400000_NS6detail17trampoline_kernelINS0_14default_configENS1_20scan_config_selectorIiEEZZNS1_9scan_implILNS1_25lookback_scan_determinismE0ELb1ELb1ES3_N6thrust23THRUST_200600_302600_NS6detail15normal_iteratorINS9_10device_ptrIiEEEENS9_16discard_iteratorINS9_11use_defaultEEEiNS9_4plusIvEEiEEDaPvRmT3_T4_T5_mT6_P12ihipStream_tbENKUlT_T0_E_clISt17integral_constantIbLb1EESW_IbLb0EEEEDaSS_ST_EUlSS_E_NS1_11comp_targetILNS1_3genE4ELNS1_11target_archE910ELNS1_3gpuE8ELNS1_3repE0EEENS1_30default_config_static_selectorELNS0_4arch9wavefront6targetE1EEEvT1_: ; @_ZN7rocprim17ROCPRIM_400000_NS6detail17trampoline_kernelINS0_14default_configENS1_20scan_config_selectorIiEEZZNS1_9scan_implILNS1_25lookback_scan_determinismE0ELb1ELb1ES3_N6thrust23THRUST_200600_302600_NS6detail15normal_iteratorINS9_10device_ptrIiEEEENS9_16discard_iteratorINS9_11use_defaultEEEiNS9_4plusIvEEiEEDaPvRmT3_T4_T5_mT6_P12ihipStream_tbENKUlT_T0_E_clISt17integral_constantIbLb1EESW_IbLb0EEEEDaSS_ST_EUlSS_E_NS1_11comp_targetILNS1_3genE4ELNS1_11target_archE910ELNS1_3gpuE8ELNS1_3repE0EEENS1_30default_config_static_selectorELNS0_4arch9wavefront6targetE1EEEvT1_
; %bb.0:
	s_load_dwordx4 s[0:3], s[4:5], 0x0
	s_load_dwordx2 s[8:9], s[4:5], 0x20
	s_load_dword s7, s[4:5], 0x38
	s_waitcnt lgkmcnt(0)
	s_lshl_b64 s[2:3], s[2:3], 2
	s_add_u32 s21, s0, s2
	s_addc_u32 s22, s1, s3
	s_add_i32 s2, s7, -1
	s_mul_i32 s3, s2, 0x500
	s_sub_u32 s7, s8, s3
	s_subb_u32 s20, s9, 0
	s_mul_i32 s0, s6, 0x500
	s_mov_b32 s1, 0
	s_cmp_lg_u32 s6, s2
	s_cselect_b64 s[16:17], -1, 0
	s_lshl_b64 s[0:1], s[0:1], 2
	s_add_u32 s0, s21, s0
	s_addc_u32 s1, s22, s1
	s_mov_b64 s[2:3], -1
	s_and_b64 vcc, exec, s[16:17]
	s_cbranch_vccz .LBB5836_2
; %bb.1:
	v_lshlrev_b32_e32 v1, 2, v0
	v_mov_b32_e32 v3, s1
	v_add_co_u32_e32 v2, vcc, s0, v1
	v_addc_co_u32_e32 v3, vcc, 0, v3, vcc
	flat_load_dword v4, v[2:3]
	flat_load_dword v5, v[2:3] offset:512
	flat_load_dword v6, v[2:3] offset:1024
	;; [unrolled: 1-line block ×7, first 2 shown]
	v_add_co_u32_e32 v2, vcc, 0x1000, v2
	v_addc_co_u32_e32 v3, vcc, 0, v3, vcc
	flat_load_dword v12, v[2:3]
	flat_load_dword v13, v[2:3] offset:512
	s_mov_b64 s[2:3], 0
	s_waitcnt vmcnt(0) lgkmcnt(0)
	ds_write2st64_b32 v1, v4, v5 offset1:2
	ds_write2st64_b32 v1, v6, v7 offset0:4 offset1:6
	ds_write2st64_b32 v1, v8, v9 offset0:8 offset1:10
	ds_write2st64_b32 v1, v10, v11 offset0:12 offset1:14
	ds_write2st64_b32 v1, v12, v13 offset0:16 offset1:18
	s_waitcnt lgkmcnt(0)
	s_barrier
.LBB5836_2:
	s_load_dwordx2 s[18:19], s[4:5], 0x30
	s_andn2_b64 vcc, exec, s[2:3]
	s_cbranch_vccnz .LBB5836_24
; %bb.3:
	v_pk_mov_b32 v[2:3], s[0:1], s[0:1] op_sel:[0,1]
	flat_load_dword v1, v[2:3]
	v_cmp_gt_u32_e32 vcc, s7, v0
	s_waitcnt vmcnt(0) lgkmcnt(0)
	v_mov_b32_e32 v2, v1
	v_mov_b32_e32 v3, v1
	;; [unrolled: 1-line block ×9, first 2 shown]
	s_and_saveexec_b64 s[2:3], vcc
	s_cbranch_execz .LBB5836_5
; %bb.4:
	v_lshlrev_b32_e32 v10, 2, v0
	v_mov_b32_e32 v11, s1
	v_add_co_u32_e32 v10, vcc, s0, v10
	v_addc_co_u32_e32 v11, vcc, 0, v11, vcc
	flat_load_dword v10, v[10:11]
.LBB5836_5:
	s_or_b64 exec, exec, s[2:3]
	v_or_b32_e32 v11, 0x80, v0
	v_cmp_gt_u32_e32 vcc, s7, v11
	s_and_saveexec_b64 s[2:3], vcc
	s_cbranch_execz .LBB5836_7
; %bb.6:
	v_lshlrev_b32_e32 v1, 2, v0
	v_mov_b32_e32 v11, s1
	v_add_co_u32_e32 v12, vcc, s0, v1
	v_addc_co_u32_e32 v13, vcc, 0, v11, vcc
	flat_load_dword v1, v[12:13] offset:512
.LBB5836_7:
	s_or_b64 exec, exec, s[2:3]
	v_or_b32_e32 v11, 0x100, v0
	v_cmp_gt_u32_e32 vcc, s7, v11
	s_and_saveexec_b64 s[2:3], vcc
	s_cbranch_execz .LBB5836_9
; %bb.8:
	v_lshlrev_b32_e32 v2, 2, v0
	v_mov_b32_e32 v11, s1
	v_add_co_u32_e32 v12, vcc, s0, v2
	v_addc_co_u32_e32 v13, vcc, 0, v11, vcc
	flat_load_dword v2, v[12:13] offset:1024
.LBB5836_9:
	;; [unrolled: 12-line block ×7, first 2 shown]
	s_or_b64 exec, exec, s[2:3]
	v_or_b32_e32 v11, 0x400, v0
	v_cmp_gt_u32_e32 vcc, s7, v11
	s_and_saveexec_b64 s[2:3], vcc
	s_cbranch_execz .LBB5836_21
; %bb.20:
	v_lshlrev_b32_e32 v8, 2, v11
	v_mov_b32_e32 v11, s1
	v_add_co_u32_e32 v12, vcc, s0, v8
	v_addc_co_u32_e32 v13, vcc, 0, v11, vcc
	flat_load_dword v8, v[12:13]
.LBB5836_21:
	s_or_b64 exec, exec, s[2:3]
	v_or_b32_e32 v11, 0x480, v0
	v_cmp_gt_u32_e32 vcc, s7, v11
	s_and_saveexec_b64 s[2:3], vcc
	s_cbranch_execz .LBB5836_23
; %bb.22:
	v_lshlrev_b32_e32 v9, 2, v11
	v_mov_b32_e32 v11, s1
	v_add_co_u32_e32 v12, vcc, s0, v9
	v_addc_co_u32_e32 v13, vcc, 0, v11, vcc
	flat_load_dword v9, v[12:13]
.LBB5836_23:
	s_or_b64 exec, exec, s[2:3]
	v_lshlrev_b32_e32 v11, 2, v0
	s_waitcnt vmcnt(0) lgkmcnt(0)
	ds_write2st64_b32 v11, v10, v1 offset1:2
	ds_write2st64_b32 v11, v2, v3 offset0:4 offset1:6
	ds_write2st64_b32 v11, v4, v5 offset0:8 offset1:10
	;; [unrolled: 1-line block ×4, first 2 shown]
	s_waitcnt lgkmcnt(0)
	s_barrier
.LBB5836_24:
	v_mul_u32_u24_e32 v22, 10, v0
	v_lshlrev_b32_e32 v1, 2, v22
	s_waitcnt lgkmcnt(0)
	ds_read2_b64 v[16:19], v1 offset1:1
	ds_read2_b64 v[12:15], v1 offset0:2 offset1:3
	ds_read_b64 v[20:21], v1 offset:32
	s_cmp_lg_u32 s6, 0
	v_lshrrev_b32_e32 v23, 5, v0
	s_waitcnt lgkmcnt(2)
	v_add_u32_e32 v2, v17, v16
	v_add3_u32 v24, v2, v18, v19
	v_cmp_gt_u32_e32 vcc, 64, v0
	s_waitcnt lgkmcnt(0)
	s_barrier
	s_cbranch_scc0 .LBB5836_53
; %bb.25:
	v_add3_u32 v2, v24, v12, v13
	v_add3_u32 v2, v2, v14, v15
	;; [unrolled: 1-line block ×3, first 2 shown]
	v_add_lshl_u32 v3, v23, v0, 2
	ds_write_b32 v3, v2
	s_waitcnt lgkmcnt(0)
	s_barrier
	s_and_saveexec_b64 s[2:3], vcc
	s_cbranch_execz .LBB5836_27
; %bb.26:
	v_lshlrev_b32_e32 v3, 1, v0
	v_lshrrev_b32_e32 v4, 4, v0
	v_add_lshl_u32 v3, v4, v3, 2
	ds_read2_b32 v[4:5], v3 offset1:1
	v_mbcnt_lo_u32_b32 v6, -1, 0
	v_mbcnt_hi_u32_b32 v6, -1, v6
	v_and_b32_e32 v7, 15, v6
	v_cmp_ne_u32_e64 s[0:1], 0, v7
	s_waitcnt lgkmcnt(0)
	v_add_u32_e32 v5, v5, v4
	; wave barrier
	s_nop 1
	v_mov_b32_dpp v8, v5 row_shr:1 row_mask:0xf bank_mask:0xf
	v_cndmask_b32_e64 v8, 0, v8, s[0:1]
	v_add_u32_e32 v5, v8, v5
	v_cmp_lt_u32_e64 s[0:1], 1, v7
	s_nop 0
	v_mov_b32_dpp v8, v5 row_shr:2 row_mask:0xf bank_mask:0xf
	v_cndmask_b32_e64 v8, 0, v8, s[0:1]
	v_add_u32_e32 v5, v5, v8
	v_cmp_lt_u32_e64 s[0:1], 3, v7
	;; [unrolled: 5-line block ×3, first 2 shown]
	s_nop 0
	v_mov_b32_dpp v8, v5 row_shr:8 row_mask:0xf bank_mask:0xf
	v_cndmask_b32_e64 v7, 0, v8, s[0:1]
	v_add_u32_e32 v5, v5, v7
	v_bfe_i32 v8, v6, 4, 1
	v_cmp_lt_u32_e64 s[0:1], 31, v6
	v_mov_b32_dpp v7, v5 row_bcast:15 row_mask:0xf bank_mask:0xf
	v_and_b32_e32 v7, v8, v7
	v_add_u32_e32 v5, v5, v7
	v_and_b32_e32 v8, 64, v6
	s_nop 0
	v_mov_b32_dpp v7, v5 row_bcast:31 row_mask:0xf bank_mask:0xf
	v_cndmask_b32_e64 v7, 0, v7, s[0:1]
	v_add_u32_e32 v5, v5, v7
	v_add_u32_e32 v7, -1, v6
	v_cmp_lt_i32_e64 s[0:1], v7, v8
	v_cndmask_b32_e64 v6, v7, v6, s[0:1]
	v_lshlrev_b32_e32 v6, 2, v6
	ds_bpermute_b32 v5, v6, v5
	v_cmp_eq_u32_e64 s[0:1], 0, v0
	s_waitcnt lgkmcnt(0)
	v_add_u32_e32 v4, v5, v4
	v_cndmask_b32_e64 v2, v4, v2, s[0:1]
	ds_write_b32 v3, v2
	; wave barrier
	ds_read_b32 v4, v3 offset:4
	s_waitcnt lgkmcnt(0)
	v_add_u32_e32 v2, v4, v2
	ds_write_b32 v3, v2 offset:4
.LBB5836_27:
	s_or_b64 exec, exec, s[2:3]
	v_cmp_eq_u32_e64 s[0:1], 0, v0
	v_cmp_ne_u32_e64 s[2:3], 0, v0
	v_mov_b32_e32 v25, 0
	s_waitcnt lgkmcnt(0)
	s_barrier
	s_and_saveexec_b64 s[8:9], s[2:3]
	s_cbranch_execz .LBB5836_29
; %bb.28:
	v_add_u32_e32 v2, -1, v0
	v_lshrrev_b32_e32 v3, 5, v2
	v_add_lshl_u32 v2, v3, v2, 2
	ds_read_b32 v25, v2
.LBB5836_29:
	s_or_b64 exec, exec, s[8:9]
	s_and_saveexec_b64 s[8:9], vcc
	s_cbranch_execz .LBB5836_52
; %bb.30:
	v_mov_b32_e32 v11, 0
	ds_read_b32 v2, v11 offset:520
	v_mbcnt_lo_u32_b32 v3, -1, 0
	v_mbcnt_hi_u32_b32 v5, -1, v3
	s_mov_b32 s13, 0
	v_cmp_eq_u32_e64 s[2:3], 0, v5
	s_and_saveexec_b64 s[10:11], s[2:3]
	s_cbranch_execz .LBB5836_32
; %bb.31:
	s_add_i32 s12, s6, 64
	s_lshl_b64 s[12:13], s[12:13], 3
	s_add_u32 s12, s18, s12
	v_mov_b32_e32 v3, 1
	s_addc_u32 s13, s19, s13
	s_waitcnt lgkmcnt(0)
	global_store_dwordx2 v11, v[2:3], s[12:13]
.LBB5836_32:
	s_or_b64 exec, exec, s[10:11]
	v_xad_u32 v4, v5, -1, s6
	v_add_u32_e32 v10, 64, v4
	v_lshlrev_b64 v[6:7], 3, v[10:11]
	v_mov_b32_e32 v3, s19
	v_add_co_u32_e32 v6, vcc, s18, v6
	v_addc_co_u32_e32 v7, vcc, v3, v7, vcc
	global_load_dwordx2 v[8:9], v[6:7], off glc
	s_waitcnt vmcnt(0)
	v_cmp_eq_u16_sdwa s[12:13], v9, v11 src0_sel:BYTE_0 src1_sel:DWORD
	s_and_saveexec_b64 s[10:11], s[12:13]
	s_cbranch_execz .LBB5836_38
; %bb.33:
	s_mov_b32 s14, 1
	s_mov_b64 s[12:13], 0
	v_mov_b32_e32 v3, 0
.LBB5836_34:                            ; =>This Loop Header: Depth=1
                                        ;     Child Loop BB5836_35 Depth 2
	s_max_u32 s15, s14, 1
.LBB5836_35:                            ;   Parent Loop BB5836_34 Depth=1
                                        ; =>  This Inner Loop Header: Depth=2
	s_add_i32 s15, s15, -1
	s_cmp_eq_u32 s15, 0
	s_sleep 1
	s_cbranch_scc0 .LBB5836_35
; %bb.36:                               ;   in Loop: Header=BB5836_34 Depth=1
	global_load_dwordx2 v[8:9], v[6:7], off glc
	s_cmp_lt_u32 s14, 32
	s_cselect_b64 s[24:25], -1, 0
	s_cmp_lg_u64 s[24:25], 0
	s_addc_u32 s14, s14, 0
	s_waitcnt vmcnt(0)
	v_cmp_ne_u16_sdwa s[24:25], v9, v3 src0_sel:BYTE_0 src1_sel:DWORD
	s_or_b64 s[12:13], s[24:25], s[12:13]
	s_andn2_b64 exec, exec, s[12:13]
	s_cbranch_execnz .LBB5836_34
; %bb.37:
	s_or_b64 exec, exec, s[12:13]
.LBB5836_38:
	s_or_b64 exec, exec, s[10:11]
	v_and_b32_e32 v26, 63, v5
	v_mov_b32_e32 v3, 2
	v_cmp_ne_u32_e32 vcc, 63, v26
	v_cmp_eq_u16_sdwa s[10:11], v9, v3 src0_sel:BYTE_0 src1_sel:DWORD
	v_lshlrev_b64 v[6:7], v5, -1
	v_addc_co_u32_e32 v27, vcc, 0, v5, vcc
	v_and_b32_e32 v10, s11, v7
	v_lshlrev_b32_e32 v27, 2, v27
	v_or_b32_e32 v10, 0x80000000, v10
	ds_bpermute_b32 v28, v27, v8
	v_and_b32_e32 v11, s10, v6
	v_ffbl_b32_e32 v10, v10
	v_add_u32_e32 v10, 32, v10
	v_ffbl_b32_e32 v11, v11
	v_min_u32_e32 v10, v11, v10
	v_cmp_lt_u32_e32 vcc, v26, v10
	s_waitcnt lgkmcnt(0)
	v_cndmask_b32_e32 v11, 0, v28, vcc
	v_cmp_gt_u32_e32 vcc, 62, v26
	v_add_u32_e32 v8, v11, v8
	v_cndmask_b32_e64 v11, 0, 1, vcc
	v_lshlrev_b32_e32 v11, 1, v11
	v_add_lshl_u32 v28, v11, v5, 2
	ds_bpermute_b32 v11, v28, v8
	v_add_u32_e32 v29, 2, v26
	v_cmp_le_u32_e32 vcc, v29, v10
	v_add_u32_e32 v31, 4, v26
	v_add_u32_e32 v33, 8, v26
	s_waitcnt lgkmcnt(0)
	v_cndmask_b32_e32 v11, 0, v11, vcc
	v_cmp_gt_u32_e32 vcc, 60, v26
	v_add_u32_e32 v8, v8, v11
	v_cndmask_b32_e64 v11, 0, 1, vcc
	v_lshlrev_b32_e32 v11, 2, v11
	v_add_lshl_u32 v30, v11, v5, 2
	ds_bpermute_b32 v11, v30, v8
	v_cmp_le_u32_e32 vcc, v31, v10
	v_add_u32_e32 v36, 16, v26
	v_add_u32_e32 v38, 32, v26
	s_waitcnt lgkmcnt(0)
	v_cndmask_b32_e32 v11, 0, v11, vcc
	v_cmp_gt_u32_e32 vcc, 56, v26
	v_add_u32_e32 v8, v8, v11
	v_cndmask_b32_e64 v11, 0, 1, vcc
	v_lshlrev_b32_e32 v11, 3, v11
	v_add_lshl_u32 v32, v11, v5, 2
	ds_bpermute_b32 v11, v32, v8
	v_cmp_le_u32_e32 vcc, v33, v10
	s_waitcnt lgkmcnt(0)
	v_cndmask_b32_e32 v11, 0, v11, vcc
	v_cmp_gt_u32_e32 vcc, 48, v26
	v_add_u32_e32 v8, v8, v11
	v_cndmask_b32_e64 v11, 0, 1, vcc
	v_lshlrev_b32_e32 v11, 4, v11
	v_add_lshl_u32 v35, v11, v5, 2
	ds_bpermute_b32 v11, v35, v8
	v_cmp_le_u32_e32 vcc, v36, v10
	;; [unrolled: 9-line block ×3, first 2 shown]
	s_waitcnt lgkmcnt(0)
	v_cndmask_b32_e32 v5, 0, v5, vcc
	v_add_u32_e32 v8, v8, v5
	v_mov_b32_e32 v5, 0
	s_branch .LBB5836_40
.LBB5836_39:                            ;   in Loop: Header=BB5836_40 Depth=1
	s_or_b64 exec, exec, s[10:11]
	v_cmp_eq_u16_sdwa s[10:11], v9, v3 src0_sel:BYTE_0 src1_sel:DWORD
	v_and_b32_e32 v10, s11, v7
	v_or_b32_e32 v10, 0x80000000, v10
	ds_bpermute_b32 v39, v27, v8
	v_and_b32_e32 v11, s10, v6
	v_ffbl_b32_e32 v10, v10
	v_add_u32_e32 v10, 32, v10
	v_ffbl_b32_e32 v11, v11
	v_min_u32_e32 v10, v11, v10
	v_cmp_lt_u32_e32 vcc, v26, v10
	s_waitcnt lgkmcnt(0)
	v_cndmask_b32_e32 v11, 0, v39, vcc
	v_add_u32_e32 v8, v11, v8
	ds_bpermute_b32 v11, v28, v8
	v_cmp_le_u32_e32 vcc, v29, v10
	v_subrev_u32_e32 v4, 64, v4
	s_waitcnt lgkmcnt(0)
	v_cndmask_b32_e32 v11, 0, v11, vcc
	v_add_u32_e32 v8, v8, v11
	ds_bpermute_b32 v11, v30, v8
	v_cmp_le_u32_e32 vcc, v31, v10
	s_waitcnt lgkmcnt(0)
	v_cndmask_b32_e32 v11, 0, v11, vcc
	v_add_u32_e32 v8, v8, v11
	ds_bpermute_b32 v11, v32, v8
	v_cmp_le_u32_e32 vcc, v33, v10
	;; [unrolled: 5-line block ×4, first 2 shown]
	s_waitcnt lgkmcnt(0)
	v_cndmask_b32_e32 v10, 0, v11, vcc
	v_add3_u32 v8, v10, v34, v8
.LBB5836_40:                            ; =>This Loop Header: Depth=1
                                        ;     Child Loop BB5836_43 Depth 2
                                        ;       Child Loop BB5836_44 Depth 3
	v_cmp_ne_u16_sdwa s[10:11], v9, v3 src0_sel:BYTE_0 src1_sel:DWORD
	v_cndmask_b32_e64 v9, 0, 1, s[10:11]
	;;#ASMSTART
	;;#ASMEND
	v_cmp_ne_u32_e32 vcc, 0, v9
	s_cmp_lg_u64 vcc, exec
	v_mov_b32_e32 v34, v8
	s_cbranch_scc1 .LBB5836_47
; %bb.41:                               ;   in Loop: Header=BB5836_40 Depth=1
	v_lshlrev_b64 v[8:9], 3, v[4:5]
	v_mov_b32_e32 v11, s19
	v_add_co_u32_e32 v10, vcc, s18, v8
	v_addc_co_u32_e32 v11, vcc, v11, v9, vcc
	global_load_dwordx2 v[8:9], v[10:11], off glc
	s_waitcnt vmcnt(0)
	v_cmp_eq_u16_sdwa s[12:13], v9, v5 src0_sel:BYTE_0 src1_sel:DWORD
	s_and_saveexec_b64 s[10:11], s[12:13]
	s_cbranch_execz .LBB5836_39
; %bb.42:                               ;   in Loop: Header=BB5836_40 Depth=1
	s_mov_b32 s14, 1
	s_mov_b64 s[12:13], 0
.LBB5836_43:                            ;   Parent Loop BB5836_40 Depth=1
                                        ; =>  This Loop Header: Depth=2
                                        ;       Child Loop BB5836_44 Depth 3
	s_max_u32 s15, s14, 1
.LBB5836_44:                            ;   Parent Loop BB5836_40 Depth=1
                                        ;     Parent Loop BB5836_43 Depth=2
                                        ; =>    This Inner Loop Header: Depth=3
	s_add_i32 s15, s15, -1
	s_cmp_eq_u32 s15, 0
	s_sleep 1
	s_cbranch_scc0 .LBB5836_44
; %bb.45:                               ;   in Loop: Header=BB5836_43 Depth=2
	global_load_dwordx2 v[8:9], v[10:11], off glc
	s_cmp_lt_u32 s14, 32
	s_cselect_b64 s[24:25], -1, 0
	s_cmp_lg_u64 s[24:25], 0
	s_addc_u32 s14, s14, 0
	s_waitcnt vmcnt(0)
	v_cmp_ne_u16_sdwa s[24:25], v9, v5 src0_sel:BYTE_0 src1_sel:DWORD
	s_or_b64 s[12:13], s[24:25], s[12:13]
	s_andn2_b64 exec, exec, s[12:13]
	s_cbranch_execnz .LBB5836_43
; %bb.46:                               ;   in Loop: Header=BB5836_40 Depth=1
	s_or_b64 exec, exec, s[12:13]
	s_branch .LBB5836_39
.LBB5836_47:                            ;   in Loop: Header=BB5836_40 Depth=1
                                        ; implicit-def: $vgpr8
                                        ; implicit-def: $vgpr9
	s_cbranch_execz .LBB5836_40
; %bb.48:
	s_and_saveexec_b64 s[10:11], s[2:3]
	s_cbranch_execz .LBB5836_50
; %bb.49:
	s_add_i32 s2, s6, 64
	s_mov_b32 s3, 0
	s_lshl_b64 s[2:3], s[2:3], 3
	s_add_u32 s2, s18, s2
	v_add_u32_e32 v2, v34, v2
	v_mov_b32_e32 v3, 2
	s_addc_u32 s3, s19, s3
	v_mov_b32_e32 v4, 0
	global_store_dwordx2 v4, v[2:3], s[2:3]
.LBB5836_50:
	s_or_b64 exec, exec, s[10:11]
	s_and_b64 exec, exec, s[0:1]
	s_cbranch_execz .LBB5836_52
; %bb.51:
	v_mov_b32_e32 v2, 0
	ds_write_b32 v2, v34
.LBB5836_52:
	s_or_b64 exec, exec, s[8:9]
	v_mov_b32_e32 v2, 0
	s_waitcnt lgkmcnt(0)
	s_barrier
	ds_read_b32 v2, v2
	s_waitcnt lgkmcnt(0)
	v_add_u32_e32 v2, v2, v25
	v_add_u32_e32 v3, v2, v16
	;; [unrolled: 1-line block ×10, first 2 shown]
	s_load_dwordx8 s[8:15], s[4:5], 0x40
	s_branch .LBB5836_63
.LBB5836_53:
                                        ; implicit-def: $vgpr2_vgpr3_vgpr4_vgpr5_vgpr6_vgpr7_vgpr8_vgpr9_vgpr10_vgpr11
	s_load_dwordx8 s[8:15], s[4:5], 0x40
	s_cbranch_execz .LBB5836_63
; %bb.54:
	s_load_dword s0, s[4:5], 0x28
	s_waitcnt lgkmcnt(0)
	s_cmp_eq_u64 s[12:13], 0
	v_mov_b32_e32 v25, s0
	s_cbranch_scc1 .LBB5836_56
; %bb.55:
	v_mov_b32_e32 v3, s22
	v_add_co_u32_e64 v2, vcc, -4, s21
	v_addc_co_u32_e32 v3, vcc, -1, v3, vcc
	v_mov_b32_e32 v4, 0
	flat_load_dword v5, v[2:3]
	global_load_dword v6, v4, s[8:9]
	s_waitcnt vmcnt(0) lgkmcnt(0)
	v_add_u32_e32 v25, v6, v5
.LBB5836_56:
	v_add3_u32 v2, v24, v12, v13
	v_add3_u32 v2, v2, v14, v15
	;; [unrolled: 1-line block ×3, first 2 shown]
	v_add_lshl_u32 v3, v23, v0, 2
	v_cmp_gt_u32_e32 vcc, 64, v0
	ds_write_b32 v3, v2
	s_waitcnt lgkmcnt(0)
	s_barrier
	s_and_saveexec_b64 s[0:1], vcc
	s_cbranch_execz .LBB5836_58
; %bb.57:
	v_lshlrev_b32_e32 v3, 1, v0
	v_lshrrev_b32_e32 v4, 4, v0
	v_add_lshl_u32 v3, v4, v3, 2
	ds_read2_b32 v[4:5], v3 offset1:1
	v_mbcnt_lo_u32_b32 v6, -1, 0
	v_mbcnt_hi_u32_b32 v6, -1, v6
	v_and_b32_e32 v7, 15, v6
	v_cmp_ne_u32_e32 vcc, 0, v7
	s_waitcnt lgkmcnt(0)
	v_add_u32_e32 v5, v5, v4
	; wave barrier
	s_nop 1
	v_mov_b32_dpp v8, v5 row_shr:1 row_mask:0xf bank_mask:0xf
	v_cndmask_b32_e32 v8, 0, v8, vcc
	v_add_u32_e32 v5, v8, v5
	v_cmp_lt_u32_e32 vcc, 1, v7
	s_nop 0
	v_mov_b32_dpp v8, v5 row_shr:2 row_mask:0xf bank_mask:0xf
	v_cndmask_b32_e32 v8, 0, v8, vcc
	v_add_u32_e32 v5, v5, v8
	v_cmp_lt_u32_e32 vcc, 3, v7
	s_nop 0
	v_mov_b32_dpp v8, v5 row_shr:4 row_mask:0xf bank_mask:0xf
	v_cndmask_b32_e32 v8, 0, v8, vcc
	v_add_u32_e32 v5, v5, v8
	v_cmp_lt_u32_e32 vcc, 7, v7
	s_nop 0
	v_mov_b32_dpp v8, v5 row_shr:8 row_mask:0xf bank_mask:0xf
	v_cndmask_b32_e32 v7, 0, v8, vcc
	v_add_u32_e32 v5, v5, v7
	v_bfe_i32 v8, v6, 4, 1
	v_cmp_lt_u32_e32 vcc, 31, v6
	v_mov_b32_dpp v7, v5 row_bcast:15 row_mask:0xf bank_mask:0xf
	v_and_b32_e32 v7, v8, v7
	v_add_u32_e32 v5, v5, v7
	v_and_b32_e32 v8, 64, v6
	s_nop 0
	v_mov_b32_dpp v7, v5 row_bcast:31 row_mask:0xf bank_mask:0xf
	v_cndmask_b32_e32 v7, 0, v7, vcc
	v_add_u32_e32 v5, v5, v7
	v_add_u32_e32 v7, -1, v6
	v_cmp_lt_i32_e32 vcc, v7, v8
	v_cndmask_b32_e32 v6, v7, v6, vcc
	v_lshlrev_b32_e32 v6, 2, v6
	ds_bpermute_b32 v5, v6, v5
	v_cmp_eq_u32_e32 vcc, 0, v0
	s_waitcnt lgkmcnt(0)
	v_add_u32_e32 v4, v5, v4
	v_cndmask_b32_e32 v2, v4, v2, vcc
	ds_write_b32 v3, v2
	; wave barrier
	ds_read_b32 v4, v3 offset:4
	s_waitcnt lgkmcnt(0)
	v_add_u32_e32 v2, v4, v2
	ds_write_b32 v3, v2 offset:4
.LBB5836_58:
	s_or_b64 exec, exec, s[0:1]
	v_cmp_eq_u32_e32 vcc, 0, v0
	v_cmp_ne_u32_e64 s[0:1], 0, v0
	v_mov_b32_e32 v2, v25
	s_waitcnt lgkmcnt(0)
	s_barrier
	s_and_saveexec_b64 s[2:3], s[0:1]
	s_cbranch_execz .LBB5836_60
; %bb.59:
	v_add_u32_e32 v2, -1, v0
	v_lshrrev_b32_e32 v3, 5, v2
	v_add_lshl_u32 v2, v3, v2, 2
	ds_read_b32 v2, v2
	s_waitcnt lgkmcnt(0)
	v_add_u32_e32 v2, v2, v25
.LBB5836_60:
	s_or_b64 exec, exec, s[2:3]
	v_add_u32_e32 v3, v2, v16
	v_add_u32_e32 v4, v3, v17
	;; [unrolled: 1-line block ×9, first 2 shown]
	s_and_saveexec_b64 s[0:1], vcc
	s_cbranch_execz .LBB5836_62
; %bb.61:
	v_mov_b32_e32 v14, 0
	ds_read_b32 v12, v14 offset:520
	v_mov_b32_e32 v13, 2
	s_waitcnt lgkmcnt(0)
	v_add_u32_e32 v12, v12, v25
	global_store_dwordx2 v14, v[12:13], s[18:19] offset:512
.LBB5836_62:
	s_or_b64 exec, exec, s[0:1]
.LBB5836_63:
	s_mov_b64 s[0:1], -1
	s_and_b64 vcc, exec, s[16:17]
	s_waitcnt lgkmcnt(0)
	s_barrier
	ds_write2_b64 v1, v[2:3], v[4:5] offset1:1
	ds_write2_b64 v1, v[6:7], v[8:9] offset0:2 offset1:3
	ds_write_b64 v1, v[10:11] offset:32
	s_waitcnt lgkmcnt(0)
	s_cbranch_vccz .LBB5836_65
; %bb.64:
	s_barrier
	s_mov_b64 s[0:1], 0
.LBB5836_65:
	s_andn2_b64 vcc, exec, s[0:1]
	s_cbranch_vccnz .LBB5836_101
; %bb.66:
	v_cmp_lt_u64_e64 s[0:1], s[14:15], 2
	s_and_b64 vcc, exec, s[0:1]
	s_barrier
	s_cbranch_vccnz .LBB5836_101
; %bb.67:
	s_add_u32 s0, s7, -1
	s_addc_u32 s1, s20, -1
	s_add_u32 s2, 0, 0x99986000
	s_addc_u32 s3, 0, 0x59
	s_add_i32 s3, s3, 0x19999940
	s_mul_hi_u32 s7, s2, -10
	s_sub_i32 s7, s7, s2
	s_mul_i32 s8, s3, -10
	s_mul_i32 s4, s2, -10
	s_add_i32 s7, s7, s8
	s_mul_hi_u32 s5, s3, s4
	s_mul_i32 s6, s3, s4
	s_mul_i32 s9, s2, s7
	s_mul_hi_u32 s4, s2, s4
	s_mul_hi_u32 s8, s2, s7
	s_add_u32 s4, s4, s9
	s_addc_u32 s8, 0, s8
	s_add_u32 s4, s4, s6
	s_mul_hi_u32 s9, s3, s7
	s_addc_u32 s4, s8, s5
	s_addc_u32 s5, s9, 0
	s_mul_i32 s6, s3, s7
	s_add_u32 s4, s4, s6
	v_mov_b32_e32 v2, s4
	s_addc_u32 s5, 0, s5
	v_add_co_u32_e32 v2, vcc, s2, v2
	s_cmp_lg_u64 vcc, 0
	s_addc_u32 s2, s3, s5
	v_readfirstlane_b32 s5, v2
	s_mul_i32 s4, s0, s2
	s_mul_hi_u32 s6, s0, s5
	s_mul_hi_u32 s3, s0, s2
	s_add_u32 s4, s6, s4
	s_addc_u32 s3, 0, s3
	s_mul_hi_u32 s7, s1, s5
	s_mul_i32 s5, s1, s5
	s_add_u32 s4, s4, s5
	s_mul_hi_u32 s6, s1, s2
	s_addc_u32 s3, s3, s7
	s_addc_u32 s4, s6, 0
	s_mul_i32 s2, s1, s2
	s_add_u32 s2, s3, s2
	s_addc_u32 s3, 0, s4
	s_add_u32 s4, s2, 1
	s_addc_u32 s5, s3, 0
	s_add_u32 s6, s2, 2
	s_mul_i32 s8, s3, 10
	s_mul_hi_u32 s9, s2, 10
	s_addc_u32 s7, s3, 0
	s_add_i32 s9, s9, s8
	s_mul_i32 s8, s2, 10
	v_mov_b32_e32 v2, s8
	v_sub_co_u32_e32 v2, vcc, s0, v2
	s_cmp_lg_u64 vcc, 0
	s_subb_u32 s8, s1, s9
	v_subrev_co_u32_e32 v3, vcc, 10, v2
	s_cmp_lg_u64 vcc, 0
	s_subb_u32 s9, s8, 0
	v_readfirstlane_b32 s12, v3
	s_cmp_gt_u32 s12, 9
	s_cselect_b32 s12, -1, 0
	s_cmp_eq_u32 s9, 0
	s_cselect_b32 s9, s12, -1
	s_cmp_lg_u32 s9, 0
	s_cselect_b32 s4, s6, s4
	v_readfirstlane_b32 s6, v2
	s_cselect_b32 s5, s7, s5
	s_cmp_gt_u32 s6, 9
	s_cselect_b32 s6, -1, 0
	s_cmp_eq_u32 s8, 0
	s_cselect_b32 s6, s6, -1
	s_cmp_lg_u32 s6, 0
	v_mov_b32_e32 v1, 0
	s_cselect_b32 s3, s5, s3
	s_cselect_b32 s2, s4, s2
	v_cmp_eq_u64_e32 vcc, s[2:3], v[0:1]
	s_and_saveexec_b64 s[2:3], vcc
	s_cbranch_execz .LBB5836_101
; %bb.68:
	v_lshlrev_b32_e32 v2, 2, v0
	v_mul_hi_u32_u24_e32 v1, 10, v0
	v_mov_b32_e32 v3, s1
	v_sub_co_u32_e32 v0, vcc, s0, v22
	v_subb_co_u32_e32 v1, vcc, v3, v1, vcc
	v_cmp_lt_i64_e32 vcc, 4, v[0:1]
	s_and_saveexec_b64 s[0:1], vcc
	s_xor_b64 s[0:1], exec, s[0:1]
	s_cbranch_execz .LBB5836_86
; %bb.69:
	v_cmp_lt_i64_e32 vcc, 6, v[0:1]
	s_and_saveexec_b64 s[2:3], vcc
	s_xor_b64 s[2:3], exec, s[2:3]
	s_cbranch_execz .LBB5836_79
; %bb.70:
	;; [unrolled: 5-line block ×4, first 2 shown]
	ds_read_b32 v0, v2 offset:4608
	v_mov_b32_e32 v1, 0
                                        ; implicit-def: $vgpr2
	s_waitcnt lgkmcnt(0)
	global_store_dword v1, v0, s[10:11]
.LBB5836_73:
	s_andn2_saveexec_b64 s[6:7], s[6:7]
	s_cbranch_execz .LBB5836_75
; %bb.74:
	ds_read_b32 v0, v2 offset:4096
	v_mov_b32_e32 v1, 0
	s_waitcnt lgkmcnt(0)
	global_store_dword v1, v0, s[10:11]
.LBB5836_75:
	s_or_b64 exec, exec, s[6:7]
                                        ; implicit-def: $vgpr2
.LBB5836_76:
	s_andn2_saveexec_b64 s[4:5], s[4:5]
	s_cbranch_execz .LBB5836_78
; %bb.77:
	ds_read_b32 v0, v2 offset:3584
	v_mov_b32_e32 v1, 0
	s_waitcnt lgkmcnt(0)
	global_store_dword v1, v0, s[10:11]
.LBB5836_78:
	s_or_b64 exec, exec, s[4:5]
                                        ; implicit-def: $vgpr2
                                        ; implicit-def: $vgpr0_vgpr1
.LBB5836_79:
	s_andn2_saveexec_b64 s[2:3], s[2:3]
	s_cbranch_execz .LBB5836_85
; %bb.80:
	v_cmp_lt_i64_e32 vcc, 5, v[0:1]
	s_and_saveexec_b64 s[4:5], vcc
	s_xor_b64 s[4:5], exec, s[4:5]
	s_cbranch_execz .LBB5836_82
; %bb.81:
	ds_read_b32 v0, v2 offset:3072
	v_mov_b32_e32 v1, 0
                                        ; implicit-def: $vgpr2
	s_waitcnt lgkmcnt(0)
	global_store_dword v1, v0, s[10:11]
.LBB5836_82:
	s_andn2_saveexec_b64 s[4:5], s[4:5]
	s_cbranch_execz .LBB5836_84
; %bb.83:
	ds_read_b32 v0, v2 offset:2560
	v_mov_b32_e32 v1, 0
	s_waitcnt lgkmcnt(0)
	global_store_dword v1, v0, s[10:11]
.LBB5836_84:
	s_or_b64 exec, exec, s[4:5]
.LBB5836_85:
	s_or_b64 exec, exec, s[2:3]
                                        ; implicit-def: $vgpr0_vgpr1
                                        ; implicit-def: $vgpr2
.LBB5836_86:
	s_andn2_saveexec_b64 s[0:1], s[0:1]
	s_cbranch_execz .LBB5836_101
; %bb.87:
	v_cmp_lt_i64_e32 vcc, 2, v[0:1]
	s_and_saveexec_b64 s[0:1], vcc
	s_xor_b64 s[0:1], exec, s[0:1]
	s_cbranch_execz .LBB5836_93
; %bb.88:
	v_cmp_lt_i64_e32 vcc, 3, v[0:1]
	s_and_saveexec_b64 s[2:3], vcc
	s_xor_b64 s[2:3], exec, s[2:3]
	s_cbranch_execz .LBB5836_90
; %bb.89:
	ds_read_b32 v0, v2 offset:2048
	v_mov_b32_e32 v1, 0
                                        ; implicit-def: $vgpr2
	s_waitcnt lgkmcnt(0)
	global_store_dword v1, v0, s[10:11]
.LBB5836_90:
	s_andn2_saveexec_b64 s[2:3], s[2:3]
	s_cbranch_execz .LBB5836_92
; %bb.91:
	ds_read_b32 v0, v2 offset:1536
	v_mov_b32_e32 v1, 0
	s_waitcnt lgkmcnt(0)
	global_store_dword v1, v0, s[10:11]
.LBB5836_92:
	s_or_b64 exec, exec, s[2:3]
                                        ; implicit-def: $vgpr0_vgpr1
                                        ; implicit-def: $vgpr2
.LBB5836_93:
	s_andn2_saveexec_b64 s[0:1], s[0:1]
	s_cbranch_execz .LBB5836_101
; %bb.94:
	v_cmp_lt_i64_e32 vcc, 1, v[0:1]
	s_and_saveexec_b64 s[0:1], vcc
	s_xor_b64 s[0:1], exec, s[0:1]
	s_cbranch_execz .LBB5836_96
; %bb.95:
	ds_read_b32 v0, v2 offset:1024
	v_mov_b32_e32 v1, 0
                                        ; implicit-def: $vgpr2
	s_waitcnt lgkmcnt(0)
	global_store_dword v1, v0, s[10:11]
                                        ; implicit-def: $vgpr0_vgpr1
.LBB5836_96:
	s_andn2_saveexec_b64 s[0:1], s[0:1]
	s_cbranch_execz .LBB5836_101
; %bb.97:
	v_cmp_ne_u64_e32 vcc, 1, v[0:1]
	s_and_saveexec_b64 s[0:1], vcc
	s_xor_b64 s[0:1], exec, s[0:1]
	s_cbranch_execz .LBB5836_99
; %bb.98:
	ds_read_b32 v0, v2
	v_mov_b32_e32 v1, 0
                                        ; implicit-def: $vgpr2
	s_waitcnt lgkmcnt(0)
	global_store_dword v1, v0, s[10:11]
.LBB5836_99:
	s_andn2_saveexec_b64 s[0:1], s[0:1]
	s_cbranch_execz .LBB5836_101
; %bb.100:
	ds_read_b32 v0, v2 offset:512
	v_mov_b32_e32 v1, 0
	s_waitcnt lgkmcnt(0)
	global_store_dword v1, v0, s[10:11]
.LBB5836_101:
	s_endpgm
	.section	.rodata,"a",@progbits
	.p2align	6, 0x0
	.amdhsa_kernel _ZN7rocprim17ROCPRIM_400000_NS6detail17trampoline_kernelINS0_14default_configENS1_20scan_config_selectorIiEEZZNS1_9scan_implILNS1_25lookback_scan_determinismE0ELb1ELb1ES3_N6thrust23THRUST_200600_302600_NS6detail15normal_iteratorINS9_10device_ptrIiEEEENS9_16discard_iteratorINS9_11use_defaultEEEiNS9_4plusIvEEiEEDaPvRmT3_T4_T5_mT6_P12ihipStream_tbENKUlT_T0_E_clISt17integral_constantIbLb1EESW_IbLb0EEEEDaSS_ST_EUlSS_E_NS1_11comp_targetILNS1_3genE4ELNS1_11target_archE910ELNS1_3gpuE8ELNS1_3repE0EEENS1_30default_config_static_selectorELNS0_4arch9wavefront6targetE1EEEvT1_
		.amdhsa_group_segment_fixed_size 5120
		.amdhsa_private_segment_fixed_size 0
		.amdhsa_kernarg_size 104
		.amdhsa_user_sgpr_count 6
		.amdhsa_user_sgpr_private_segment_buffer 1
		.amdhsa_user_sgpr_dispatch_ptr 0
		.amdhsa_user_sgpr_queue_ptr 0
		.amdhsa_user_sgpr_kernarg_segment_ptr 1
		.amdhsa_user_sgpr_dispatch_id 0
		.amdhsa_user_sgpr_flat_scratch_init 0
		.amdhsa_user_sgpr_kernarg_preload_length 0
		.amdhsa_user_sgpr_kernarg_preload_offset 0
		.amdhsa_user_sgpr_private_segment_size 0
		.amdhsa_uses_dynamic_stack 0
		.amdhsa_system_sgpr_private_segment_wavefront_offset 0
		.amdhsa_system_sgpr_workgroup_id_x 1
		.amdhsa_system_sgpr_workgroup_id_y 0
		.amdhsa_system_sgpr_workgroup_id_z 0
		.amdhsa_system_sgpr_workgroup_info 0
		.amdhsa_system_vgpr_workitem_id 0
		.amdhsa_next_free_vgpr 40
		.amdhsa_next_free_sgpr 26
		.amdhsa_accum_offset 40
		.amdhsa_reserve_vcc 1
		.amdhsa_reserve_flat_scratch 0
		.amdhsa_float_round_mode_32 0
		.amdhsa_float_round_mode_16_64 0
		.amdhsa_float_denorm_mode_32 3
		.amdhsa_float_denorm_mode_16_64 3
		.amdhsa_dx10_clamp 1
		.amdhsa_ieee_mode 1
		.amdhsa_fp16_overflow 0
		.amdhsa_tg_split 0
		.amdhsa_exception_fp_ieee_invalid_op 0
		.amdhsa_exception_fp_denorm_src 0
		.amdhsa_exception_fp_ieee_div_zero 0
		.amdhsa_exception_fp_ieee_overflow 0
		.amdhsa_exception_fp_ieee_underflow 0
		.amdhsa_exception_fp_ieee_inexact 0
		.amdhsa_exception_int_div_zero 0
	.end_amdhsa_kernel
	.section	.text._ZN7rocprim17ROCPRIM_400000_NS6detail17trampoline_kernelINS0_14default_configENS1_20scan_config_selectorIiEEZZNS1_9scan_implILNS1_25lookback_scan_determinismE0ELb1ELb1ES3_N6thrust23THRUST_200600_302600_NS6detail15normal_iteratorINS9_10device_ptrIiEEEENS9_16discard_iteratorINS9_11use_defaultEEEiNS9_4plusIvEEiEEDaPvRmT3_T4_T5_mT6_P12ihipStream_tbENKUlT_T0_E_clISt17integral_constantIbLb1EESW_IbLb0EEEEDaSS_ST_EUlSS_E_NS1_11comp_targetILNS1_3genE4ELNS1_11target_archE910ELNS1_3gpuE8ELNS1_3repE0EEENS1_30default_config_static_selectorELNS0_4arch9wavefront6targetE1EEEvT1_,"axG",@progbits,_ZN7rocprim17ROCPRIM_400000_NS6detail17trampoline_kernelINS0_14default_configENS1_20scan_config_selectorIiEEZZNS1_9scan_implILNS1_25lookback_scan_determinismE0ELb1ELb1ES3_N6thrust23THRUST_200600_302600_NS6detail15normal_iteratorINS9_10device_ptrIiEEEENS9_16discard_iteratorINS9_11use_defaultEEEiNS9_4plusIvEEiEEDaPvRmT3_T4_T5_mT6_P12ihipStream_tbENKUlT_T0_E_clISt17integral_constantIbLb1EESW_IbLb0EEEEDaSS_ST_EUlSS_E_NS1_11comp_targetILNS1_3genE4ELNS1_11target_archE910ELNS1_3gpuE8ELNS1_3repE0EEENS1_30default_config_static_selectorELNS0_4arch9wavefront6targetE1EEEvT1_,comdat
.Lfunc_end5836:
	.size	_ZN7rocprim17ROCPRIM_400000_NS6detail17trampoline_kernelINS0_14default_configENS1_20scan_config_selectorIiEEZZNS1_9scan_implILNS1_25lookback_scan_determinismE0ELb1ELb1ES3_N6thrust23THRUST_200600_302600_NS6detail15normal_iteratorINS9_10device_ptrIiEEEENS9_16discard_iteratorINS9_11use_defaultEEEiNS9_4plusIvEEiEEDaPvRmT3_T4_T5_mT6_P12ihipStream_tbENKUlT_T0_E_clISt17integral_constantIbLb1EESW_IbLb0EEEEDaSS_ST_EUlSS_E_NS1_11comp_targetILNS1_3genE4ELNS1_11target_archE910ELNS1_3gpuE8ELNS1_3repE0EEENS1_30default_config_static_selectorELNS0_4arch9wavefront6targetE1EEEvT1_, .Lfunc_end5836-_ZN7rocprim17ROCPRIM_400000_NS6detail17trampoline_kernelINS0_14default_configENS1_20scan_config_selectorIiEEZZNS1_9scan_implILNS1_25lookback_scan_determinismE0ELb1ELb1ES3_N6thrust23THRUST_200600_302600_NS6detail15normal_iteratorINS9_10device_ptrIiEEEENS9_16discard_iteratorINS9_11use_defaultEEEiNS9_4plusIvEEiEEDaPvRmT3_T4_T5_mT6_P12ihipStream_tbENKUlT_T0_E_clISt17integral_constantIbLb1EESW_IbLb0EEEEDaSS_ST_EUlSS_E_NS1_11comp_targetILNS1_3genE4ELNS1_11target_archE910ELNS1_3gpuE8ELNS1_3repE0EEENS1_30default_config_static_selectorELNS0_4arch9wavefront6targetE1EEEvT1_
                                        ; -- End function
	.section	.AMDGPU.csdata,"",@progbits
; Kernel info:
; codeLenInByte = 3984
; NumSgprs: 30
; NumVgprs: 40
; NumAgprs: 0
; TotalNumVgprs: 40
; ScratchSize: 0
; MemoryBound: 0
; FloatMode: 240
; IeeeMode: 1
; LDSByteSize: 5120 bytes/workgroup (compile time only)
; SGPRBlocks: 3
; VGPRBlocks: 4
; NumSGPRsForWavesPerEU: 30
; NumVGPRsForWavesPerEU: 40
; AccumOffset: 40
; Occupancy: 6
; WaveLimiterHint : 1
; COMPUTE_PGM_RSRC2:SCRATCH_EN: 0
; COMPUTE_PGM_RSRC2:USER_SGPR: 6
; COMPUTE_PGM_RSRC2:TRAP_HANDLER: 0
; COMPUTE_PGM_RSRC2:TGID_X_EN: 1
; COMPUTE_PGM_RSRC2:TGID_Y_EN: 0
; COMPUTE_PGM_RSRC2:TGID_Z_EN: 0
; COMPUTE_PGM_RSRC2:TIDIG_COMP_CNT: 0
; COMPUTE_PGM_RSRC3_GFX90A:ACCUM_OFFSET: 9
; COMPUTE_PGM_RSRC3_GFX90A:TG_SPLIT: 0
	.section	.text._ZN7rocprim17ROCPRIM_400000_NS6detail17trampoline_kernelINS0_14default_configENS1_20scan_config_selectorIiEEZZNS1_9scan_implILNS1_25lookback_scan_determinismE0ELb1ELb1ES3_N6thrust23THRUST_200600_302600_NS6detail15normal_iteratorINS9_10device_ptrIiEEEENS9_16discard_iteratorINS9_11use_defaultEEEiNS9_4plusIvEEiEEDaPvRmT3_T4_T5_mT6_P12ihipStream_tbENKUlT_T0_E_clISt17integral_constantIbLb1EESW_IbLb0EEEEDaSS_ST_EUlSS_E_NS1_11comp_targetILNS1_3genE3ELNS1_11target_archE908ELNS1_3gpuE7ELNS1_3repE0EEENS1_30default_config_static_selectorELNS0_4arch9wavefront6targetE1EEEvT1_,"axG",@progbits,_ZN7rocprim17ROCPRIM_400000_NS6detail17trampoline_kernelINS0_14default_configENS1_20scan_config_selectorIiEEZZNS1_9scan_implILNS1_25lookback_scan_determinismE0ELb1ELb1ES3_N6thrust23THRUST_200600_302600_NS6detail15normal_iteratorINS9_10device_ptrIiEEEENS9_16discard_iteratorINS9_11use_defaultEEEiNS9_4plusIvEEiEEDaPvRmT3_T4_T5_mT6_P12ihipStream_tbENKUlT_T0_E_clISt17integral_constantIbLb1EESW_IbLb0EEEEDaSS_ST_EUlSS_E_NS1_11comp_targetILNS1_3genE3ELNS1_11target_archE908ELNS1_3gpuE7ELNS1_3repE0EEENS1_30default_config_static_selectorELNS0_4arch9wavefront6targetE1EEEvT1_,comdat
	.protected	_ZN7rocprim17ROCPRIM_400000_NS6detail17trampoline_kernelINS0_14default_configENS1_20scan_config_selectorIiEEZZNS1_9scan_implILNS1_25lookback_scan_determinismE0ELb1ELb1ES3_N6thrust23THRUST_200600_302600_NS6detail15normal_iteratorINS9_10device_ptrIiEEEENS9_16discard_iteratorINS9_11use_defaultEEEiNS9_4plusIvEEiEEDaPvRmT3_T4_T5_mT6_P12ihipStream_tbENKUlT_T0_E_clISt17integral_constantIbLb1EESW_IbLb0EEEEDaSS_ST_EUlSS_E_NS1_11comp_targetILNS1_3genE3ELNS1_11target_archE908ELNS1_3gpuE7ELNS1_3repE0EEENS1_30default_config_static_selectorELNS0_4arch9wavefront6targetE1EEEvT1_ ; -- Begin function _ZN7rocprim17ROCPRIM_400000_NS6detail17trampoline_kernelINS0_14default_configENS1_20scan_config_selectorIiEEZZNS1_9scan_implILNS1_25lookback_scan_determinismE0ELb1ELb1ES3_N6thrust23THRUST_200600_302600_NS6detail15normal_iteratorINS9_10device_ptrIiEEEENS9_16discard_iteratorINS9_11use_defaultEEEiNS9_4plusIvEEiEEDaPvRmT3_T4_T5_mT6_P12ihipStream_tbENKUlT_T0_E_clISt17integral_constantIbLb1EESW_IbLb0EEEEDaSS_ST_EUlSS_E_NS1_11comp_targetILNS1_3genE3ELNS1_11target_archE908ELNS1_3gpuE7ELNS1_3repE0EEENS1_30default_config_static_selectorELNS0_4arch9wavefront6targetE1EEEvT1_
	.globl	_ZN7rocprim17ROCPRIM_400000_NS6detail17trampoline_kernelINS0_14default_configENS1_20scan_config_selectorIiEEZZNS1_9scan_implILNS1_25lookback_scan_determinismE0ELb1ELb1ES3_N6thrust23THRUST_200600_302600_NS6detail15normal_iteratorINS9_10device_ptrIiEEEENS9_16discard_iteratorINS9_11use_defaultEEEiNS9_4plusIvEEiEEDaPvRmT3_T4_T5_mT6_P12ihipStream_tbENKUlT_T0_E_clISt17integral_constantIbLb1EESW_IbLb0EEEEDaSS_ST_EUlSS_E_NS1_11comp_targetILNS1_3genE3ELNS1_11target_archE908ELNS1_3gpuE7ELNS1_3repE0EEENS1_30default_config_static_selectorELNS0_4arch9wavefront6targetE1EEEvT1_
	.p2align	8
	.type	_ZN7rocprim17ROCPRIM_400000_NS6detail17trampoline_kernelINS0_14default_configENS1_20scan_config_selectorIiEEZZNS1_9scan_implILNS1_25lookback_scan_determinismE0ELb1ELb1ES3_N6thrust23THRUST_200600_302600_NS6detail15normal_iteratorINS9_10device_ptrIiEEEENS9_16discard_iteratorINS9_11use_defaultEEEiNS9_4plusIvEEiEEDaPvRmT3_T4_T5_mT6_P12ihipStream_tbENKUlT_T0_E_clISt17integral_constantIbLb1EESW_IbLb0EEEEDaSS_ST_EUlSS_E_NS1_11comp_targetILNS1_3genE3ELNS1_11target_archE908ELNS1_3gpuE7ELNS1_3repE0EEENS1_30default_config_static_selectorELNS0_4arch9wavefront6targetE1EEEvT1_,@function
_ZN7rocprim17ROCPRIM_400000_NS6detail17trampoline_kernelINS0_14default_configENS1_20scan_config_selectorIiEEZZNS1_9scan_implILNS1_25lookback_scan_determinismE0ELb1ELb1ES3_N6thrust23THRUST_200600_302600_NS6detail15normal_iteratorINS9_10device_ptrIiEEEENS9_16discard_iteratorINS9_11use_defaultEEEiNS9_4plusIvEEiEEDaPvRmT3_T4_T5_mT6_P12ihipStream_tbENKUlT_T0_E_clISt17integral_constantIbLb1EESW_IbLb0EEEEDaSS_ST_EUlSS_E_NS1_11comp_targetILNS1_3genE3ELNS1_11target_archE908ELNS1_3gpuE7ELNS1_3repE0EEENS1_30default_config_static_selectorELNS0_4arch9wavefront6targetE1EEEvT1_: ; @_ZN7rocprim17ROCPRIM_400000_NS6detail17trampoline_kernelINS0_14default_configENS1_20scan_config_selectorIiEEZZNS1_9scan_implILNS1_25lookback_scan_determinismE0ELb1ELb1ES3_N6thrust23THRUST_200600_302600_NS6detail15normal_iteratorINS9_10device_ptrIiEEEENS9_16discard_iteratorINS9_11use_defaultEEEiNS9_4plusIvEEiEEDaPvRmT3_T4_T5_mT6_P12ihipStream_tbENKUlT_T0_E_clISt17integral_constantIbLb1EESW_IbLb0EEEEDaSS_ST_EUlSS_E_NS1_11comp_targetILNS1_3genE3ELNS1_11target_archE908ELNS1_3gpuE7ELNS1_3repE0EEENS1_30default_config_static_selectorELNS0_4arch9wavefront6targetE1EEEvT1_
; %bb.0:
	.section	.rodata,"a",@progbits
	.p2align	6, 0x0
	.amdhsa_kernel _ZN7rocprim17ROCPRIM_400000_NS6detail17trampoline_kernelINS0_14default_configENS1_20scan_config_selectorIiEEZZNS1_9scan_implILNS1_25lookback_scan_determinismE0ELb1ELb1ES3_N6thrust23THRUST_200600_302600_NS6detail15normal_iteratorINS9_10device_ptrIiEEEENS9_16discard_iteratorINS9_11use_defaultEEEiNS9_4plusIvEEiEEDaPvRmT3_T4_T5_mT6_P12ihipStream_tbENKUlT_T0_E_clISt17integral_constantIbLb1EESW_IbLb0EEEEDaSS_ST_EUlSS_E_NS1_11comp_targetILNS1_3genE3ELNS1_11target_archE908ELNS1_3gpuE7ELNS1_3repE0EEENS1_30default_config_static_selectorELNS0_4arch9wavefront6targetE1EEEvT1_
		.amdhsa_group_segment_fixed_size 0
		.amdhsa_private_segment_fixed_size 0
		.amdhsa_kernarg_size 104
		.amdhsa_user_sgpr_count 6
		.amdhsa_user_sgpr_private_segment_buffer 1
		.amdhsa_user_sgpr_dispatch_ptr 0
		.amdhsa_user_sgpr_queue_ptr 0
		.amdhsa_user_sgpr_kernarg_segment_ptr 1
		.amdhsa_user_sgpr_dispatch_id 0
		.amdhsa_user_sgpr_flat_scratch_init 0
		.amdhsa_user_sgpr_kernarg_preload_length 0
		.amdhsa_user_sgpr_kernarg_preload_offset 0
		.amdhsa_user_sgpr_private_segment_size 0
		.amdhsa_uses_dynamic_stack 0
		.amdhsa_system_sgpr_private_segment_wavefront_offset 0
		.amdhsa_system_sgpr_workgroup_id_x 1
		.amdhsa_system_sgpr_workgroup_id_y 0
		.amdhsa_system_sgpr_workgroup_id_z 0
		.amdhsa_system_sgpr_workgroup_info 0
		.amdhsa_system_vgpr_workitem_id 0
		.amdhsa_next_free_vgpr 1
		.amdhsa_next_free_sgpr 0
		.amdhsa_accum_offset 4
		.amdhsa_reserve_vcc 0
		.amdhsa_reserve_flat_scratch 0
		.amdhsa_float_round_mode_32 0
		.amdhsa_float_round_mode_16_64 0
		.amdhsa_float_denorm_mode_32 3
		.amdhsa_float_denorm_mode_16_64 3
		.amdhsa_dx10_clamp 1
		.amdhsa_ieee_mode 1
		.amdhsa_fp16_overflow 0
		.amdhsa_tg_split 0
		.amdhsa_exception_fp_ieee_invalid_op 0
		.amdhsa_exception_fp_denorm_src 0
		.amdhsa_exception_fp_ieee_div_zero 0
		.amdhsa_exception_fp_ieee_overflow 0
		.amdhsa_exception_fp_ieee_underflow 0
		.amdhsa_exception_fp_ieee_inexact 0
		.amdhsa_exception_int_div_zero 0
	.end_amdhsa_kernel
	.section	.text._ZN7rocprim17ROCPRIM_400000_NS6detail17trampoline_kernelINS0_14default_configENS1_20scan_config_selectorIiEEZZNS1_9scan_implILNS1_25lookback_scan_determinismE0ELb1ELb1ES3_N6thrust23THRUST_200600_302600_NS6detail15normal_iteratorINS9_10device_ptrIiEEEENS9_16discard_iteratorINS9_11use_defaultEEEiNS9_4plusIvEEiEEDaPvRmT3_T4_T5_mT6_P12ihipStream_tbENKUlT_T0_E_clISt17integral_constantIbLb1EESW_IbLb0EEEEDaSS_ST_EUlSS_E_NS1_11comp_targetILNS1_3genE3ELNS1_11target_archE908ELNS1_3gpuE7ELNS1_3repE0EEENS1_30default_config_static_selectorELNS0_4arch9wavefront6targetE1EEEvT1_,"axG",@progbits,_ZN7rocprim17ROCPRIM_400000_NS6detail17trampoline_kernelINS0_14default_configENS1_20scan_config_selectorIiEEZZNS1_9scan_implILNS1_25lookback_scan_determinismE0ELb1ELb1ES3_N6thrust23THRUST_200600_302600_NS6detail15normal_iteratorINS9_10device_ptrIiEEEENS9_16discard_iteratorINS9_11use_defaultEEEiNS9_4plusIvEEiEEDaPvRmT3_T4_T5_mT6_P12ihipStream_tbENKUlT_T0_E_clISt17integral_constantIbLb1EESW_IbLb0EEEEDaSS_ST_EUlSS_E_NS1_11comp_targetILNS1_3genE3ELNS1_11target_archE908ELNS1_3gpuE7ELNS1_3repE0EEENS1_30default_config_static_selectorELNS0_4arch9wavefront6targetE1EEEvT1_,comdat
.Lfunc_end5837:
	.size	_ZN7rocprim17ROCPRIM_400000_NS6detail17trampoline_kernelINS0_14default_configENS1_20scan_config_selectorIiEEZZNS1_9scan_implILNS1_25lookback_scan_determinismE0ELb1ELb1ES3_N6thrust23THRUST_200600_302600_NS6detail15normal_iteratorINS9_10device_ptrIiEEEENS9_16discard_iteratorINS9_11use_defaultEEEiNS9_4plusIvEEiEEDaPvRmT3_T4_T5_mT6_P12ihipStream_tbENKUlT_T0_E_clISt17integral_constantIbLb1EESW_IbLb0EEEEDaSS_ST_EUlSS_E_NS1_11comp_targetILNS1_3genE3ELNS1_11target_archE908ELNS1_3gpuE7ELNS1_3repE0EEENS1_30default_config_static_selectorELNS0_4arch9wavefront6targetE1EEEvT1_, .Lfunc_end5837-_ZN7rocprim17ROCPRIM_400000_NS6detail17trampoline_kernelINS0_14default_configENS1_20scan_config_selectorIiEEZZNS1_9scan_implILNS1_25lookback_scan_determinismE0ELb1ELb1ES3_N6thrust23THRUST_200600_302600_NS6detail15normal_iteratorINS9_10device_ptrIiEEEENS9_16discard_iteratorINS9_11use_defaultEEEiNS9_4plusIvEEiEEDaPvRmT3_T4_T5_mT6_P12ihipStream_tbENKUlT_T0_E_clISt17integral_constantIbLb1EESW_IbLb0EEEEDaSS_ST_EUlSS_E_NS1_11comp_targetILNS1_3genE3ELNS1_11target_archE908ELNS1_3gpuE7ELNS1_3repE0EEENS1_30default_config_static_selectorELNS0_4arch9wavefront6targetE1EEEvT1_
                                        ; -- End function
	.section	.AMDGPU.csdata,"",@progbits
; Kernel info:
; codeLenInByte = 0
; NumSgprs: 4
; NumVgprs: 0
; NumAgprs: 0
; TotalNumVgprs: 0
; ScratchSize: 0
; MemoryBound: 0
; FloatMode: 240
; IeeeMode: 1
; LDSByteSize: 0 bytes/workgroup (compile time only)
; SGPRBlocks: 0
; VGPRBlocks: 0
; NumSGPRsForWavesPerEU: 4
; NumVGPRsForWavesPerEU: 1
; AccumOffset: 4
; Occupancy: 8
; WaveLimiterHint : 0
; COMPUTE_PGM_RSRC2:SCRATCH_EN: 0
; COMPUTE_PGM_RSRC2:USER_SGPR: 6
; COMPUTE_PGM_RSRC2:TRAP_HANDLER: 0
; COMPUTE_PGM_RSRC2:TGID_X_EN: 1
; COMPUTE_PGM_RSRC2:TGID_Y_EN: 0
; COMPUTE_PGM_RSRC2:TGID_Z_EN: 0
; COMPUTE_PGM_RSRC2:TIDIG_COMP_CNT: 0
; COMPUTE_PGM_RSRC3_GFX90A:ACCUM_OFFSET: 0
; COMPUTE_PGM_RSRC3_GFX90A:TG_SPLIT: 0
	.section	.text._ZN7rocprim17ROCPRIM_400000_NS6detail17trampoline_kernelINS0_14default_configENS1_20scan_config_selectorIiEEZZNS1_9scan_implILNS1_25lookback_scan_determinismE0ELb1ELb1ES3_N6thrust23THRUST_200600_302600_NS6detail15normal_iteratorINS9_10device_ptrIiEEEENS9_16discard_iteratorINS9_11use_defaultEEEiNS9_4plusIvEEiEEDaPvRmT3_T4_T5_mT6_P12ihipStream_tbENKUlT_T0_E_clISt17integral_constantIbLb1EESW_IbLb0EEEEDaSS_ST_EUlSS_E_NS1_11comp_targetILNS1_3genE2ELNS1_11target_archE906ELNS1_3gpuE6ELNS1_3repE0EEENS1_30default_config_static_selectorELNS0_4arch9wavefront6targetE1EEEvT1_,"axG",@progbits,_ZN7rocprim17ROCPRIM_400000_NS6detail17trampoline_kernelINS0_14default_configENS1_20scan_config_selectorIiEEZZNS1_9scan_implILNS1_25lookback_scan_determinismE0ELb1ELb1ES3_N6thrust23THRUST_200600_302600_NS6detail15normal_iteratorINS9_10device_ptrIiEEEENS9_16discard_iteratorINS9_11use_defaultEEEiNS9_4plusIvEEiEEDaPvRmT3_T4_T5_mT6_P12ihipStream_tbENKUlT_T0_E_clISt17integral_constantIbLb1EESW_IbLb0EEEEDaSS_ST_EUlSS_E_NS1_11comp_targetILNS1_3genE2ELNS1_11target_archE906ELNS1_3gpuE6ELNS1_3repE0EEENS1_30default_config_static_selectorELNS0_4arch9wavefront6targetE1EEEvT1_,comdat
	.protected	_ZN7rocprim17ROCPRIM_400000_NS6detail17trampoline_kernelINS0_14default_configENS1_20scan_config_selectorIiEEZZNS1_9scan_implILNS1_25lookback_scan_determinismE0ELb1ELb1ES3_N6thrust23THRUST_200600_302600_NS6detail15normal_iteratorINS9_10device_ptrIiEEEENS9_16discard_iteratorINS9_11use_defaultEEEiNS9_4plusIvEEiEEDaPvRmT3_T4_T5_mT6_P12ihipStream_tbENKUlT_T0_E_clISt17integral_constantIbLb1EESW_IbLb0EEEEDaSS_ST_EUlSS_E_NS1_11comp_targetILNS1_3genE2ELNS1_11target_archE906ELNS1_3gpuE6ELNS1_3repE0EEENS1_30default_config_static_selectorELNS0_4arch9wavefront6targetE1EEEvT1_ ; -- Begin function _ZN7rocprim17ROCPRIM_400000_NS6detail17trampoline_kernelINS0_14default_configENS1_20scan_config_selectorIiEEZZNS1_9scan_implILNS1_25lookback_scan_determinismE0ELb1ELb1ES3_N6thrust23THRUST_200600_302600_NS6detail15normal_iteratorINS9_10device_ptrIiEEEENS9_16discard_iteratorINS9_11use_defaultEEEiNS9_4plusIvEEiEEDaPvRmT3_T4_T5_mT6_P12ihipStream_tbENKUlT_T0_E_clISt17integral_constantIbLb1EESW_IbLb0EEEEDaSS_ST_EUlSS_E_NS1_11comp_targetILNS1_3genE2ELNS1_11target_archE906ELNS1_3gpuE6ELNS1_3repE0EEENS1_30default_config_static_selectorELNS0_4arch9wavefront6targetE1EEEvT1_
	.globl	_ZN7rocprim17ROCPRIM_400000_NS6detail17trampoline_kernelINS0_14default_configENS1_20scan_config_selectorIiEEZZNS1_9scan_implILNS1_25lookback_scan_determinismE0ELb1ELb1ES3_N6thrust23THRUST_200600_302600_NS6detail15normal_iteratorINS9_10device_ptrIiEEEENS9_16discard_iteratorINS9_11use_defaultEEEiNS9_4plusIvEEiEEDaPvRmT3_T4_T5_mT6_P12ihipStream_tbENKUlT_T0_E_clISt17integral_constantIbLb1EESW_IbLb0EEEEDaSS_ST_EUlSS_E_NS1_11comp_targetILNS1_3genE2ELNS1_11target_archE906ELNS1_3gpuE6ELNS1_3repE0EEENS1_30default_config_static_selectorELNS0_4arch9wavefront6targetE1EEEvT1_
	.p2align	8
	.type	_ZN7rocprim17ROCPRIM_400000_NS6detail17trampoline_kernelINS0_14default_configENS1_20scan_config_selectorIiEEZZNS1_9scan_implILNS1_25lookback_scan_determinismE0ELb1ELb1ES3_N6thrust23THRUST_200600_302600_NS6detail15normal_iteratorINS9_10device_ptrIiEEEENS9_16discard_iteratorINS9_11use_defaultEEEiNS9_4plusIvEEiEEDaPvRmT3_T4_T5_mT6_P12ihipStream_tbENKUlT_T0_E_clISt17integral_constantIbLb1EESW_IbLb0EEEEDaSS_ST_EUlSS_E_NS1_11comp_targetILNS1_3genE2ELNS1_11target_archE906ELNS1_3gpuE6ELNS1_3repE0EEENS1_30default_config_static_selectorELNS0_4arch9wavefront6targetE1EEEvT1_,@function
_ZN7rocprim17ROCPRIM_400000_NS6detail17trampoline_kernelINS0_14default_configENS1_20scan_config_selectorIiEEZZNS1_9scan_implILNS1_25lookback_scan_determinismE0ELb1ELb1ES3_N6thrust23THRUST_200600_302600_NS6detail15normal_iteratorINS9_10device_ptrIiEEEENS9_16discard_iteratorINS9_11use_defaultEEEiNS9_4plusIvEEiEEDaPvRmT3_T4_T5_mT6_P12ihipStream_tbENKUlT_T0_E_clISt17integral_constantIbLb1EESW_IbLb0EEEEDaSS_ST_EUlSS_E_NS1_11comp_targetILNS1_3genE2ELNS1_11target_archE906ELNS1_3gpuE6ELNS1_3repE0EEENS1_30default_config_static_selectorELNS0_4arch9wavefront6targetE1EEEvT1_: ; @_ZN7rocprim17ROCPRIM_400000_NS6detail17trampoline_kernelINS0_14default_configENS1_20scan_config_selectorIiEEZZNS1_9scan_implILNS1_25lookback_scan_determinismE0ELb1ELb1ES3_N6thrust23THRUST_200600_302600_NS6detail15normal_iteratorINS9_10device_ptrIiEEEENS9_16discard_iteratorINS9_11use_defaultEEEiNS9_4plusIvEEiEEDaPvRmT3_T4_T5_mT6_P12ihipStream_tbENKUlT_T0_E_clISt17integral_constantIbLb1EESW_IbLb0EEEEDaSS_ST_EUlSS_E_NS1_11comp_targetILNS1_3genE2ELNS1_11target_archE906ELNS1_3gpuE6ELNS1_3repE0EEENS1_30default_config_static_selectorELNS0_4arch9wavefront6targetE1EEEvT1_
; %bb.0:
	.section	.rodata,"a",@progbits
	.p2align	6, 0x0
	.amdhsa_kernel _ZN7rocprim17ROCPRIM_400000_NS6detail17trampoline_kernelINS0_14default_configENS1_20scan_config_selectorIiEEZZNS1_9scan_implILNS1_25lookback_scan_determinismE0ELb1ELb1ES3_N6thrust23THRUST_200600_302600_NS6detail15normal_iteratorINS9_10device_ptrIiEEEENS9_16discard_iteratorINS9_11use_defaultEEEiNS9_4plusIvEEiEEDaPvRmT3_T4_T5_mT6_P12ihipStream_tbENKUlT_T0_E_clISt17integral_constantIbLb1EESW_IbLb0EEEEDaSS_ST_EUlSS_E_NS1_11comp_targetILNS1_3genE2ELNS1_11target_archE906ELNS1_3gpuE6ELNS1_3repE0EEENS1_30default_config_static_selectorELNS0_4arch9wavefront6targetE1EEEvT1_
		.amdhsa_group_segment_fixed_size 0
		.amdhsa_private_segment_fixed_size 0
		.amdhsa_kernarg_size 104
		.amdhsa_user_sgpr_count 6
		.amdhsa_user_sgpr_private_segment_buffer 1
		.amdhsa_user_sgpr_dispatch_ptr 0
		.amdhsa_user_sgpr_queue_ptr 0
		.amdhsa_user_sgpr_kernarg_segment_ptr 1
		.amdhsa_user_sgpr_dispatch_id 0
		.amdhsa_user_sgpr_flat_scratch_init 0
		.amdhsa_user_sgpr_kernarg_preload_length 0
		.amdhsa_user_sgpr_kernarg_preload_offset 0
		.amdhsa_user_sgpr_private_segment_size 0
		.amdhsa_uses_dynamic_stack 0
		.amdhsa_system_sgpr_private_segment_wavefront_offset 0
		.amdhsa_system_sgpr_workgroup_id_x 1
		.amdhsa_system_sgpr_workgroup_id_y 0
		.amdhsa_system_sgpr_workgroup_id_z 0
		.amdhsa_system_sgpr_workgroup_info 0
		.amdhsa_system_vgpr_workitem_id 0
		.amdhsa_next_free_vgpr 1
		.amdhsa_next_free_sgpr 0
		.amdhsa_accum_offset 4
		.amdhsa_reserve_vcc 0
		.amdhsa_reserve_flat_scratch 0
		.amdhsa_float_round_mode_32 0
		.amdhsa_float_round_mode_16_64 0
		.amdhsa_float_denorm_mode_32 3
		.amdhsa_float_denorm_mode_16_64 3
		.amdhsa_dx10_clamp 1
		.amdhsa_ieee_mode 1
		.amdhsa_fp16_overflow 0
		.amdhsa_tg_split 0
		.amdhsa_exception_fp_ieee_invalid_op 0
		.amdhsa_exception_fp_denorm_src 0
		.amdhsa_exception_fp_ieee_div_zero 0
		.amdhsa_exception_fp_ieee_overflow 0
		.amdhsa_exception_fp_ieee_underflow 0
		.amdhsa_exception_fp_ieee_inexact 0
		.amdhsa_exception_int_div_zero 0
	.end_amdhsa_kernel
	.section	.text._ZN7rocprim17ROCPRIM_400000_NS6detail17trampoline_kernelINS0_14default_configENS1_20scan_config_selectorIiEEZZNS1_9scan_implILNS1_25lookback_scan_determinismE0ELb1ELb1ES3_N6thrust23THRUST_200600_302600_NS6detail15normal_iteratorINS9_10device_ptrIiEEEENS9_16discard_iteratorINS9_11use_defaultEEEiNS9_4plusIvEEiEEDaPvRmT3_T4_T5_mT6_P12ihipStream_tbENKUlT_T0_E_clISt17integral_constantIbLb1EESW_IbLb0EEEEDaSS_ST_EUlSS_E_NS1_11comp_targetILNS1_3genE2ELNS1_11target_archE906ELNS1_3gpuE6ELNS1_3repE0EEENS1_30default_config_static_selectorELNS0_4arch9wavefront6targetE1EEEvT1_,"axG",@progbits,_ZN7rocprim17ROCPRIM_400000_NS6detail17trampoline_kernelINS0_14default_configENS1_20scan_config_selectorIiEEZZNS1_9scan_implILNS1_25lookback_scan_determinismE0ELb1ELb1ES3_N6thrust23THRUST_200600_302600_NS6detail15normal_iteratorINS9_10device_ptrIiEEEENS9_16discard_iteratorINS9_11use_defaultEEEiNS9_4plusIvEEiEEDaPvRmT3_T4_T5_mT6_P12ihipStream_tbENKUlT_T0_E_clISt17integral_constantIbLb1EESW_IbLb0EEEEDaSS_ST_EUlSS_E_NS1_11comp_targetILNS1_3genE2ELNS1_11target_archE906ELNS1_3gpuE6ELNS1_3repE0EEENS1_30default_config_static_selectorELNS0_4arch9wavefront6targetE1EEEvT1_,comdat
.Lfunc_end5838:
	.size	_ZN7rocprim17ROCPRIM_400000_NS6detail17trampoline_kernelINS0_14default_configENS1_20scan_config_selectorIiEEZZNS1_9scan_implILNS1_25lookback_scan_determinismE0ELb1ELb1ES3_N6thrust23THRUST_200600_302600_NS6detail15normal_iteratorINS9_10device_ptrIiEEEENS9_16discard_iteratorINS9_11use_defaultEEEiNS9_4plusIvEEiEEDaPvRmT3_T4_T5_mT6_P12ihipStream_tbENKUlT_T0_E_clISt17integral_constantIbLb1EESW_IbLb0EEEEDaSS_ST_EUlSS_E_NS1_11comp_targetILNS1_3genE2ELNS1_11target_archE906ELNS1_3gpuE6ELNS1_3repE0EEENS1_30default_config_static_selectorELNS0_4arch9wavefront6targetE1EEEvT1_, .Lfunc_end5838-_ZN7rocprim17ROCPRIM_400000_NS6detail17trampoline_kernelINS0_14default_configENS1_20scan_config_selectorIiEEZZNS1_9scan_implILNS1_25lookback_scan_determinismE0ELb1ELb1ES3_N6thrust23THRUST_200600_302600_NS6detail15normal_iteratorINS9_10device_ptrIiEEEENS9_16discard_iteratorINS9_11use_defaultEEEiNS9_4plusIvEEiEEDaPvRmT3_T4_T5_mT6_P12ihipStream_tbENKUlT_T0_E_clISt17integral_constantIbLb1EESW_IbLb0EEEEDaSS_ST_EUlSS_E_NS1_11comp_targetILNS1_3genE2ELNS1_11target_archE906ELNS1_3gpuE6ELNS1_3repE0EEENS1_30default_config_static_selectorELNS0_4arch9wavefront6targetE1EEEvT1_
                                        ; -- End function
	.section	.AMDGPU.csdata,"",@progbits
; Kernel info:
; codeLenInByte = 0
; NumSgprs: 4
; NumVgprs: 0
; NumAgprs: 0
; TotalNumVgprs: 0
; ScratchSize: 0
; MemoryBound: 0
; FloatMode: 240
; IeeeMode: 1
; LDSByteSize: 0 bytes/workgroup (compile time only)
; SGPRBlocks: 0
; VGPRBlocks: 0
; NumSGPRsForWavesPerEU: 4
; NumVGPRsForWavesPerEU: 1
; AccumOffset: 4
; Occupancy: 8
; WaveLimiterHint : 0
; COMPUTE_PGM_RSRC2:SCRATCH_EN: 0
; COMPUTE_PGM_RSRC2:USER_SGPR: 6
; COMPUTE_PGM_RSRC2:TRAP_HANDLER: 0
; COMPUTE_PGM_RSRC2:TGID_X_EN: 1
; COMPUTE_PGM_RSRC2:TGID_Y_EN: 0
; COMPUTE_PGM_RSRC2:TGID_Z_EN: 0
; COMPUTE_PGM_RSRC2:TIDIG_COMP_CNT: 0
; COMPUTE_PGM_RSRC3_GFX90A:ACCUM_OFFSET: 0
; COMPUTE_PGM_RSRC3_GFX90A:TG_SPLIT: 0
	.section	.text._ZN7rocprim17ROCPRIM_400000_NS6detail17trampoline_kernelINS0_14default_configENS1_20scan_config_selectorIiEEZZNS1_9scan_implILNS1_25lookback_scan_determinismE0ELb1ELb1ES3_N6thrust23THRUST_200600_302600_NS6detail15normal_iteratorINS9_10device_ptrIiEEEENS9_16discard_iteratorINS9_11use_defaultEEEiNS9_4plusIvEEiEEDaPvRmT3_T4_T5_mT6_P12ihipStream_tbENKUlT_T0_E_clISt17integral_constantIbLb1EESW_IbLb0EEEEDaSS_ST_EUlSS_E_NS1_11comp_targetILNS1_3genE10ELNS1_11target_archE1201ELNS1_3gpuE5ELNS1_3repE0EEENS1_30default_config_static_selectorELNS0_4arch9wavefront6targetE1EEEvT1_,"axG",@progbits,_ZN7rocprim17ROCPRIM_400000_NS6detail17trampoline_kernelINS0_14default_configENS1_20scan_config_selectorIiEEZZNS1_9scan_implILNS1_25lookback_scan_determinismE0ELb1ELb1ES3_N6thrust23THRUST_200600_302600_NS6detail15normal_iteratorINS9_10device_ptrIiEEEENS9_16discard_iteratorINS9_11use_defaultEEEiNS9_4plusIvEEiEEDaPvRmT3_T4_T5_mT6_P12ihipStream_tbENKUlT_T0_E_clISt17integral_constantIbLb1EESW_IbLb0EEEEDaSS_ST_EUlSS_E_NS1_11comp_targetILNS1_3genE10ELNS1_11target_archE1201ELNS1_3gpuE5ELNS1_3repE0EEENS1_30default_config_static_selectorELNS0_4arch9wavefront6targetE1EEEvT1_,comdat
	.protected	_ZN7rocprim17ROCPRIM_400000_NS6detail17trampoline_kernelINS0_14default_configENS1_20scan_config_selectorIiEEZZNS1_9scan_implILNS1_25lookback_scan_determinismE0ELb1ELb1ES3_N6thrust23THRUST_200600_302600_NS6detail15normal_iteratorINS9_10device_ptrIiEEEENS9_16discard_iteratorINS9_11use_defaultEEEiNS9_4plusIvEEiEEDaPvRmT3_T4_T5_mT6_P12ihipStream_tbENKUlT_T0_E_clISt17integral_constantIbLb1EESW_IbLb0EEEEDaSS_ST_EUlSS_E_NS1_11comp_targetILNS1_3genE10ELNS1_11target_archE1201ELNS1_3gpuE5ELNS1_3repE0EEENS1_30default_config_static_selectorELNS0_4arch9wavefront6targetE1EEEvT1_ ; -- Begin function _ZN7rocprim17ROCPRIM_400000_NS6detail17trampoline_kernelINS0_14default_configENS1_20scan_config_selectorIiEEZZNS1_9scan_implILNS1_25lookback_scan_determinismE0ELb1ELb1ES3_N6thrust23THRUST_200600_302600_NS6detail15normal_iteratorINS9_10device_ptrIiEEEENS9_16discard_iteratorINS9_11use_defaultEEEiNS9_4plusIvEEiEEDaPvRmT3_T4_T5_mT6_P12ihipStream_tbENKUlT_T0_E_clISt17integral_constantIbLb1EESW_IbLb0EEEEDaSS_ST_EUlSS_E_NS1_11comp_targetILNS1_3genE10ELNS1_11target_archE1201ELNS1_3gpuE5ELNS1_3repE0EEENS1_30default_config_static_selectorELNS0_4arch9wavefront6targetE1EEEvT1_
	.globl	_ZN7rocprim17ROCPRIM_400000_NS6detail17trampoline_kernelINS0_14default_configENS1_20scan_config_selectorIiEEZZNS1_9scan_implILNS1_25lookback_scan_determinismE0ELb1ELb1ES3_N6thrust23THRUST_200600_302600_NS6detail15normal_iteratorINS9_10device_ptrIiEEEENS9_16discard_iteratorINS9_11use_defaultEEEiNS9_4plusIvEEiEEDaPvRmT3_T4_T5_mT6_P12ihipStream_tbENKUlT_T0_E_clISt17integral_constantIbLb1EESW_IbLb0EEEEDaSS_ST_EUlSS_E_NS1_11comp_targetILNS1_3genE10ELNS1_11target_archE1201ELNS1_3gpuE5ELNS1_3repE0EEENS1_30default_config_static_selectorELNS0_4arch9wavefront6targetE1EEEvT1_
	.p2align	8
	.type	_ZN7rocprim17ROCPRIM_400000_NS6detail17trampoline_kernelINS0_14default_configENS1_20scan_config_selectorIiEEZZNS1_9scan_implILNS1_25lookback_scan_determinismE0ELb1ELb1ES3_N6thrust23THRUST_200600_302600_NS6detail15normal_iteratorINS9_10device_ptrIiEEEENS9_16discard_iteratorINS9_11use_defaultEEEiNS9_4plusIvEEiEEDaPvRmT3_T4_T5_mT6_P12ihipStream_tbENKUlT_T0_E_clISt17integral_constantIbLb1EESW_IbLb0EEEEDaSS_ST_EUlSS_E_NS1_11comp_targetILNS1_3genE10ELNS1_11target_archE1201ELNS1_3gpuE5ELNS1_3repE0EEENS1_30default_config_static_selectorELNS0_4arch9wavefront6targetE1EEEvT1_,@function
_ZN7rocprim17ROCPRIM_400000_NS6detail17trampoline_kernelINS0_14default_configENS1_20scan_config_selectorIiEEZZNS1_9scan_implILNS1_25lookback_scan_determinismE0ELb1ELb1ES3_N6thrust23THRUST_200600_302600_NS6detail15normal_iteratorINS9_10device_ptrIiEEEENS9_16discard_iteratorINS9_11use_defaultEEEiNS9_4plusIvEEiEEDaPvRmT3_T4_T5_mT6_P12ihipStream_tbENKUlT_T0_E_clISt17integral_constantIbLb1EESW_IbLb0EEEEDaSS_ST_EUlSS_E_NS1_11comp_targetILNS1_3genE10ELNS1_11target_archE1201ELNS1_3gpuE5ELNS1_3repE0EEENS1_30default_config_static_selectorELNS0_4arch9wavefront6targetE1EEEvT1_: ; @_ZN7rocprim17ROCPRIM_400000_NS6detail17trampoline_kernelINS0_14default_configENS1_20scan_config_selectorIiEEZZNS1_9scan_implILNS1_25lookback_scan_determinismE0ELb1ELb1ES3_N6thrust23THRUST_200600_302600_NS6detail15normal_iteratorINS9_10device_ptrIiEEEENS9_16discard_iteratorINS9_11use_defaultEEEiNS9_4plusIvEEiEEDaPvRmT3_T4_T5_mT6_P12ihipStream_tbENKUlT_T0_E_clISt17integral_constantIbLb1EESW_IbLb0EEEEDaSS_ST_EUlSS_E_NS1_11comp_targetILNS1_3genE10ELNS1_11target_archE1201ELNS1_3gpuE5ELNS1_3repE0EEENS1_30default_config_static_selectorELNS0_4arch9wavefront6targetE1EEEvT1_
; %bb.0:
	.section	.rodata,"a",@progbits
	.p2align	6, 0x0
	.amdhsa_kernel _ZN7rocprim17ROCPRIM_400000_NS6detail17trampoline_kernelINS0_14default_configENS1_20scan_config_selectorIiEEZZNS1_9scan_implILNS1_25lookback_scan_determinismE0ELb1ELb1ES3_N6thrust23THRUST_200600_302600_NS6detail15normal_iteratorINS9_10device_ptrIiEEEENS9_16discard_iteratorINS9_11use_defaultEEEiNS9_4plusIvEEiEEDaPvRmT3_T4_T5_mT6_P12ihipStream_tbENKUlT_T0_E_clISt17integral_constantIbLb1EESW_IbLb0EEEEDaSS_ST_EUlSS_E_NS1_11comp_targetILNS1_3genE10ELNS1_11target_archE1201ELNS1_3gpuE5ELNS1_3repE0EEENS1_30default_config_static_selectorELNS0_4arch9wavefront6targetE1EEEvT1_
		.amdhsa_group_segment_fixed_size 0
		.amdhsa_private_segment_fixed_size 0
		.amdhsa_kernarg_size 104
		.amdhsa_user_sgpr_count 6
		.amdhsa_user_sgpr_private_segment_buffer 1
		.amdhsa_user_sgpr_dispatch_ptr 0
		.amdhsa_user_sgpr_queue_ptr 0
		.amdhsa_user_sgpr_kernarg_segment_ptr 1
		.amdhsa_user_sgpr_dispatch_id 0
		.amdhsa_user_sgpr_flat_scratch_init 0
		.amdhsa_user_sgpr_kernarg_preload_length 0
		.amdhsa_user_sgpr_kernarg_preload_offset 0
		.amdhsa_user_sgpr_private_segment_size 0
		.amdhsa_uses_dynamic_stack 0
		.amdhsa_system_sgpr_private_segment_wavefront_offset 0
		.amdhsa_system_sgpr_workgroup_id_x 1
		.amdhsa_system_sgpr_workgroup_id_y 0
		.amdhsa_system_sgpr_workgroup_id_z 0
		.amdhsa_system_sgpr_workgroup_info 0
		.amdhsa_system_vgpr_workitem_id 0
		.amdhsa_next_free_vgpr 1
		.amdhsa_next_free_sgpr 0
		.amdhsa_accum_offset 4
		.amdhsa_reserve_vcc 0
		.amdhsa_reserve_flat_scratch 0
		.amdhsa_float_round_mode_32 0
		.amdhsa_float_round_mode_16_64 0
		.amdhsa_float_denorm_mode_32 3
		.amdhsa_float_denorm_mode_16_64 3
		.amdhsa_dx10_clamp 1
		.amdhsa_ieee_mode 1
		.amdhsa_fp16_overflow 0
		.amdhsa_tg_split 0
		.amdhsa_exception_fp_ieee_invalid_op 0
		.amdhsa_exception_fp_denorm_src 0
		.amdhsa_exception_fp_ieee_div_zero 0
		.amdhsa_exception_fp_ieee_overflow 0
		.amdhsa_exception_fp_ieee_underflow 0
		.amdhsa_exception_fp_ieee_inexact 0
		.amdhsa_exception_int_div_zero 0
	.end_amdhsa_kernel
	.section	.text._ZN7rocprim17ROCPRIM_400000_NS6detail17trampoline_kernelINS0_14default_configENS1_20scan_config_selectorIiEEZZNS1_9scan_implILNS1_25lookback_scan_determinismE0ELb1ELb1ES3_N6thrust23THRUST_200600_302600_NS6detail15normal_iteratorINS9_10device_ptrIiEEEENS9_16discard_iteratorINS9_11use_defaultEEEiNS9_4plusIvEEiEEDaPvRmT3_T4_T5_mT6_P12ihipStream_tbENKUlT_T0_E_clISt17integral_constantIbLb1EESW_IbLb0EEEEDaSS_ST_EUlSS_E_NS1_11comp_targetILNS1_3genE10ELNS1_11target_archE1201ELNS1_3gpuE5ELNS1_3repE0EEENS1_30default_config_static_selectorELNS0_4arch9wavefront6targetE1EEEvT1_,"axG",@progbits,_ZN7rocprim17ROCPRIM_400000_NS6detail17trampoline_kernelINS0_14default_configENS1_20scan_config_selectorIiEEZZNS1_9scan_implILNS1_25lookback_scan_determinismE0ELb1ELb1ES3_N6thrust23THRUST_200600_302600_NS6detail15normal_iteratorINS9_10device_ptrIiEEEENS9_16discard_iteratorINS9_11use_defaultEEEiNS9_4plusIvEEiEEDaPvRmT3_T4_T5_mT6_P12ihipStream_tbENKUlT_T0_E_clISt17integral_constantIbLb1EESW_IbLb0EEEEDaSS_ST_EUlSS_E_NS1_11comp_targetILNS1_3genE10ELNS1_11target_archE1201ELNS1_3gpuE5ELNS1_3repE0EEENS1_30default_config_static_selectorELNS0_4arch9wavefront6targetE1EEEvT1_,comdat
.Lfunc_end5839:
	.size	_ZN7rocprim17ROCPRIM_400000_NS6detail17trampoline_kernelINS0_14default_configENS1_20scan_config_selectorIiEEZZNS1_9scan_implILNS1_25lookback_scan_determinismE0ELb1ELb1ES3_N6thrust23THRUST_200600_302600_NS6detail15normal_iteratorINS9_10device_ptrIiEEEENS9_16discard_iteratorINS9_11use_defaultEEEiNS9_4plusIvEEiEEDaPvRmT3_T4_T5_mT6_P12ihipStream_tbENKUlT_T0_E_clISt17integral_constantIbLb1EESW_IbLb0EEEEDaSS_ST_EUlSS_E_NS1_11comp_targetILNS1_3genE10ELNS1_11target_archE1201ELNS1_3gpuE5ELNS1_3repE0EEENS1_30default_config_static_selectorELNS0_4arch9wavefront6targetE1EEEvT1_, .Lfunc_end5839-_ZN7rocprim17ROCPRIM_400000_NS6detail17trampoline_kernelINS0_14default_configENS1_20scan_config_selectorIiEEZZNS1_9scan_implILNS1_25lookback_scan_determinismE0ELb1ELb1ES3_N6thrust23THRUST_200600_302600_NS6detail15normal_iteratorINS9_10device_ptrIiEEEENS9_16discard_iteratorINS9_11use_defaultEEEiNS9_4plusIvEEiEEDaPvRmT3_T4_T5_mT6_P12ihipStream_tbENKUlT_T0_E_clISt17integral_constantIbLb1EESW_IbLb0EEEEDaSS_ST_EUlSS_E_NS1_11comp_targetILNS1_3genE10ELNS1_11target_archE1201ELNS1_3gpuE5ELNS1_3repE0EEENS1_30default_config_static_selectorELNS0_4arch9wavefront6targetE1EEEvT1_
                                        ; -- End function
	.section	.AMDGPU.csdata,"",@progbits
; Kernel info:
; codeLenInByte = 0
; NumSgprs: 4
; NumVgprs: 0
; NumAgprs: 0
; TotalNumVgprs: 0
; ScratchSize: 0
; MemoryBound: 0
; FloatMode: 240
; IeeeMode: 1
; LDSByteSize: 0 bytes/workgroup (compile time only)
; SGPRBlocks: 0
; VGPRBlocks: 0
; NumSGPRsForWavesPerEU: 4
; NumVGPRsForWavesPerEU: 1
; AccumOffset: 4
; Occupancy: 8
; WaveLimiterHint : 0
; COMPUTE_PGM_RSRC2:SCRATCH_EN: 0
; COMPUTE_PGM_RSRC2:USER_SGPR: 6
; COMPUTE_PGM_RSRC2:TRAP_HANDLER: 0
; COMPUTE_PGM_RSRC2:TGID_X_EN: 1
; COMPUTE_PGM_RSRC2:TGID_Y_EN: 0
; COMPUTE_PGM_RSRC2:TGID_Z_EN: 0
; COMPUTE_PGM_RSRC2:TIDIG_COMP_CNT: 0
; COMPUTE_PGM_RSRC3_GFX90A:ACCUM_OFFSET: 0
; COMPUTE_PGM_RSRC3_GFX90A:TG_SPLIT: 0
	.section	.text._ZN7rocprim17ROCPRIM_400000_NS6detail17trampoline_kernelINS0_14default_configENS1_20scan_config_selectorIiEEZZNS1_9scan_implILNS1_25lookback_scan_determinismE0ELb1ELb1ES3_N6thrust23THRUST_200600_302600_NS6detail15normal_iteratorINS9_10device_ptrIiEEEENS9_16discard_iteratorINS9_11use_defaultEEEiNS9_4plusIvEEiEEDaPvRmT3_T4_T5_mT6_P12ihipStream_tbENKUlT_T0_E_clISt17integral_constantIbLb1EESW_IbLb0EEEEDaSS_ST_EUlSS_E_NS1_11comp_targetILNS1_3genE10ELNS1_11target_archE1200ELNS1_3gpuE4ELNS1_3repE0EEENS1_30default_config_static_selectorELNS0_4arch9wavefront6targetE1EEEvT1_,"axG",@progbits,_ZN7rocprim17ROCPRIM_400000_NS6detail17trampoline_kernelINS0_14default_configENS1_20scan_config_selectorIiEEZZNS1_9scan_implILNS1_25lookback_scan_determinismE0ELb1ELb1ES3_N6thrust23THRUST_200600_302600_NS6detail15normal_iteratorINS9_10device_ptrIiEEEENS9_16discard_iteratorINS9_11use_defaultEEEiNS9_4plusIvEEiEEDaPvRmT3_T4_T5_mT6_P12ihipStream_tbENKUlT_T0_E_clISt17integral_constantIbLb1EESW_IbLb0EEEEDaSS_ST_EUlSS_E_NS1_11comp_targetILNS1_3genE10ELNS1_11target_archE1200ELNS1_3gpuE4ELNS1_3repE0EEENS1_30default_config_static_selectorELNS0_4arch9wavefront6targetE1EEEvT1_,comdat
	.protected	_ZN7rocprim17ROCPRIM_400000_NS6detail17trampoline_kernelINS0_14default_configENS1_20scan_config_selectorIiEEZZNS1_9scan_implILNS1_25lookback_scan_determinismE0ELb1ELb1ES3_N6thrust23THRUST_200600_302600_NS6detail15normal_iteratorINS9_10device_ptrIiEEEENS9_16discard_iteratorINS9_11use_defaultEEEiNS9_4plusIvEEiEEDaPvRmT3_T4_T5_mT6_P12ihipStream_tbENKUlT_T0_E_clISt17integral_constantIbLb1EESW_IbLb0EEEEDaSS_ST_EUlSS_E_NS1_11comp_targetILNS1_3genE10ELNS1_11target_archE1200ELNS1_3gpuE4ELNS1_3repE0EEENS1_30default_config_static_selectorELNS0_4arch9wavefront6targetE1EEEvT1_ ; -- Begin function _ZN7rocprim17ROCPRIM_400000_NS6detail17trampoline_kernelINS0_14default_configENS1_20scan_config_selectorIiEEZZNS1_9scan_implILNS1_25lookback_scan_determinismE0ELb1ELb1ES3_N6thrust23THRUST_200600_302600_NS6detail15normal_iteratorINS9_10device_ptrIiEEEENS9_16discard_iteratorINS9_11use_defaultEEEiNS9_4plusIvEEiEEDaPvRmT3_T4_T5_mT6_P12ihipStream_tbENKUlT_T0_E_clISt17integral_constantIbLb1EESW_IbLb0EEEEDaSS_ST_EUlSS_E_NS1_11comp_targetILNS1_3genE10ELNS1_11target_archE1200ELNS1_3gpuE4ELNS1_3repE0EEENS1_30default_config_static_selectorELNS0_4arch9wavefront6targetE1EEEvT1_
	.globl	_ZN7rocprim17ROCPRIM_400000_NS6detail17trampoline_kernelINS0_14default_configENS1_20scan_config_selectorIiEEZZNS1_9scan_implILNS1_25lookback_scan_determinismE0ELb1ELb1ES3_N6thrust23THRUST_200600_302600_NS6detail15normal_iteratorINS9_10device_ptrIiEEEENS9_16discard_iteratorINS9_11use_defaultEEEiNS9_4plusIvEEiEEDaPvRmT3_T4_T5_mT6_P12ihipStream_tbENKUlT_T0_E_clISt17integral_constantIbLb1EESW_IbLb0EEEEDaSS_ST_EUlSS_E_NS1_11comp_targetILNS1_3genE10ELNS1_11target_archE1200ELNS1_3gpuE4ELNS1_3repE0EEENS1_30default_config_static_selectorELNS0_4arch9wavefront6targetE1EEEvT1_
	.p2align	8
	.type	_ZN7rocprim17ROCPRIM_400000_NS6detail17trampoline_kernelINS0_14default_configENS1_20scan_config_selectorIiEEZZNS1_9scan_implILNS1_25lookback_scan_determinismE0ELb1ELb1ES3_N6thrust23THRUST_200600_302600_NS6detail15normal_iteratorINS9_10device_ptrIiEEEENS9_16discard_iteratorINS9_11use_defaultEEEiNS9_4plusIvEEiEEDaPvRmT3_T4_T5_mT6_P12ihipStream_tbENKUlT_T0_E_clISt17integral_constantIbLb1EESW_IbLb0EEEEDaSS_ST_EUlSS_E_NS1_11comp_targetILNS1_3genE10ELNS1_11target_archE1200ELNS1_3gpuE4ELNS1_3repE0EEENS1_30default_config_static_selectorELNS0_4arch9wavefront6targetE1EEEvT1_,@function
_ZN7rocprim17ROCPRIM_400000_NS6detail17trampoline_kernelINS0_14default_configENS1_20scan_config_selectorIiEEZZNS1_9scan_implILNS1_25lookback_scan_determinismE0ELb1ELb1ES3_N6thrust23THRUST_200600_302600_NS6detail15normal_iteratorINS9_10device_ptrIiEEEENS9_16discard_iteratorINS9_11use_defaultEEEiNS9_4plusIvEEiEEDaPvRmT3_T4_T5_mT6_P12ihipStream_tbENKUlT_T0_E_clISt17integral_constantIbLb1EESW_IbLb0EEEEDaSS_ST_EUlSS_E_NS1_11comp_targetILNS1_3genE10ELNS1_11target_archE1200ELNS1_3gpuE4ELNS1_3repE0EEENS1_30default_config_static_selectorELNS0_4arch9wavefront6targetE1EEEvT1_: ; @_ZN7rocprim17ROCPRIM_400000_NS6detail17trampoline_kernelINS0_14default_configENS1_20scan_config_selectorIiEEZZNS1_9scan_implILNS1_25lookback_scan_determinismE0ELb1ELb1ES3_N6thrust23THRUST_200600_302600_NS6detail15normal_iteratorINS9_10device_ptrIiEEEENS9_16discard_iteratorINS9_11use_defaultEEEiNS9_4plusIvEEiEEDaPvRmT3_T4_T5_mT6_P12ihipStream_tbENKUlT_T0_E_clISt17integral_constantIbLb1EESW_IbLb0EEEEDaSS_ST_EUlSS_E_NS1_11comp_targetILNS1_3genE10ELNS1_11target_archE1200ELNS1_3gpuE4ELNS1_3repE0EEENS1_30default_config_static_selectorELNS0_4arch9wavefront6targetE1EEEvT1_
; %bb.0:
	.section	.rodata,"a",@progbits
	.p2align	6, 0x0
	.amdhsa_kernel _ZN7rocprim17ROCPRIM_400000_NS6detail17trampoline_kernelINS0_14default_configENS1_20scan_config_selectorIiEEZZNS1_9scan_implILNS1_25lookback_scan_determinismE0ELb1ELb1ES3_N6thrust23THRUST_200600_302600_NS6detail15normal_iteratorINS9_10device_ptrIiEEEENS9_16discard_iteratorINS9_11use_defaultEEEiNS9_4plusIvEEiEEDaPvRmT3_T4_T5_mT6_P12ihipStream_tbENKUlT_T0_E_clISt17integral_constantIbLb1EESW_IbLb0EEEEDaSS_ST_EUlSS_E_NS1_11comp_targetILNS1_3genE10ELNS1_11target_archE1200ELNS1_3gpuE4ELNS1_3repE0EEENS1_30default_config_static_selectorELNS0_4arch9wavefront6targetE1EEEvT1_
		.amdhsa_group_segment_fixed_size 0
		.amdhsa_private_segment_fixed_size 0
		.amdhsa_kernarg_size 104
		.amdhsa_user_sgpr_count 6
		.amdhsa_user_sgpr_private_segment_buffer 1
		.amdhsa_user_sgpr_dispatch_ptr 0
		.amdhsa_user_sgpr_queue_ptr 0
		.amdhsa_user_sgpr_kernarg_segment_ptr 1
		.amdhsa_user_sgpr_dispatch_id 0
		.amdhsa_user_sgpr_flat_scratch_init 0
		.amdhsa_user_sgpr_kernarg_preload_length 0
		.amdhsa_user_sgpr_kernarg_preload_offset 0
		.amdhsa_user_sgpr_private_segment_size 0
		.amdhsa_uses_dynamic_stack 0
		.amdhsa_system_sgpr_private_segment_wavefront_offset 0
		.amdhsa_system_sgpr_workgroup_id_x 1
		.amdhsa_system_sgpr_workgroup_id_y 0
		.amdhsa_system_sgpr_workgroup_id_z 0
		.amdhsa_system_sgpr_workgroup_info 0
		.amdhsa_system_vgpr_workitem_id 0
		.amdhsa_next_free_vgpr 1
		.amdhsa_next_free_sgpr 0
		.amdhsa_accum_offset 4
		.amdhsa_reserve_vcc 0
		.amdhsa_reserve_flat_scratch 0
		.amdhsa_float_round_mode_32 0
		.amdhsa_float_round_mode_16_64 0
		.amdhsa_float_denorm_mode_32 3
		.amdhsa_float_denorm_mode_16_64 3
		.amdhsa_dx10_clamp 1
		.amdhsa_ieee_mode 1
		.amdhsa_fp16_overflow 0
		.amdhsa_tg_split 0
		.amdhsa_exception_fp_ieee_invalid_op 0
		.amdhsa_exception_fp_denorm_src 0
		.amdhsa_exception_fp_ieee_div_zero 0
		.amdhsa_exception_fp_ieee_overflow 0
		.amdhsa_exception_fp_ieee_underflow 0
		.amdhsa_exception_fp_ieee_inexact 0
		.amdhsa_exception_int_div_zero 0
	.end_amdhsa_kernel
	.section	.text._ZN7rocprim17ROCPRIM_400000_NS6detail17trampoline_kernelINS0_14default_configENS1_20scan_config_selectorIiEEZZNS1_9scan_implILNS1_25lookback_scan_determinismE0ELb1ELb1ES3_N6thrust23THRUST_200600_302600_NS6detail15normal_iteratorINS9_10device_ptrIiEEEENS9_16discard_iteratorINS9_11use_defaultEEEiNS9_4plusIvEEiEEDaPvRmT3_T4_T5_mT6_P12ihipStream_tbENKUlT_T0_E_clISt17integral_constantIbLb1EESW_IbLb0EEEEDaSS_ST_EUlSS_E_NS1_11comp_targetILNS1_3genE10ELNS1_11target_archE1200ELNS1_3gpuE4ELNS1_3repE0EEENS1_30default_config_static_selectorELNS0_4arch9wavefront6targetE1EEEvT1_,"axG",@progbits,_ZN7rocprim17ROCPRIM_400000_NS6detail17trampoline_kernelINS0_14default_configENS1_20scan_config_selectorIiEEZZNS1_9scan_implILNS1_25lookback_scan_determinismE0ELb1ELb1ES3_N6thrust23THRUST_200600_302600_NS6detail15normal_iteratorINS9_10device_ptrIiEEEENS9_16discard_iteratorINS9_11use_defaultEEEiNS9_4plusIvEEiEEDaPvRmT3_T4_T5_mT6_P12ihipStream_tbENKUlT_T0_E_clISt17integral_constantIbLb1EESW_IbLb0EEEEDaSS_ST_EUlSS_E_NS1_11comp_targetILNS1_3genE10ELNS1_11target_archE1200ELNS1_3gpuE4ELNS1_3repE0EEENS1_30default_config_static_selectorELNS0_4arch9wavefront6targetE1EEEvT1_,comdat
.Lfunc_end5840:
	.size	_ZN7rocprim17ROCPRIM_400000_NS6detail17trampoline_kernelINS0_14default_configENS1_20scan_config_selectorIiEEZZNS1_9scan_implILNS1_25lookback_scan_determinismE0ELb1ELb1ES3_N6thrust23THRUST_200600_302600_NS6detail15normal_iteratorINS9_10device_ptrIiEEEENS9_16discard_iteratorINS9_11use_defaultEEEiNS9_4plusIvEEiEEDaPvRmT3_T4_T5_mT6_P12ihipStream_tbENKUlT_T0_E_clISt17integral_constantIbLb1EESW_IbLb0EEEEDaSS_ST_EUlSS_E_NS1_11comp_targetILNS1_3genE10ELNS1_11target_archE1200ELNS1_3gpuE4ELNS1_3repE0EEENS1_30default_config_static_selectorELNS0_4arch9wavefront6targetE1EEEvT1_, .Lfunc_end5840-_ZN7rocprim17ROCPRIM_400000_NS6detail17trampoline_kernelINS0_14default_configENS1_20scan_config_selectorIiEEZZNS1_9scan_implILNS1_25lookback_scan_determinismE0ELb1ELb1ES3_N6thrust23THRUST_200600_302600_NS6detail15normal_iteratorINS9_10device_ptrIiEEEENS9_16discard_iteratorINS9_11use_defaultEEEiNS9_4plusIvEEiEEDaPvRmT3_T4_T5_mT6_P12ihipStream_tbENKUlT_T0_E_clISt17integral_constantIbLb1EESW_IbLb0EEEEDaSS_ST_EUlSS_E_NS1_11comp_targetILNS1_3genE10ELNS1_11target_archE1200ELNS1_3gpuE4ELNS1_3repE0EEENS1_30default_config_static_selectorELNS0_4arch9wavefront6targetE1EEEvT1_
                                        ; -- End function
	.section	.AMDGPU.csdata,"",@progbits
; Kernel info:
; codeLenInByte = 0
; NumSgprs: 4
; NumVgprs: 0
; NumAgprs: 0
; TotalNumVgprs: 0
; ScratchSize: 0
; MemoryBound: 0
; FloatMode: 240
; IeeeMode: 1
; LDSByteSize: 0 bytes/workgroup (compile time only)
; SGPRBlocks: 0
; VGPRBlocks: 0
; NumSGPRsForWavesPerEU: 4
; NumVGPRsForWavesPerEU: 1
; AccumOffset: 4
; Occupancy: 8
; WaveLimiterHint : 0
; COMPUTE_PGM_RSRC2:SCRATCH_EN: 0
; COMPUTE_PGM_RSRC2:USER_SGPR: 6
; COMPUTE_PGM_RSRC2:TRAP_HANDLER: 0
; COMPUTE_PGM_RSRC2:TGID_X_EN: 1
; COMPUTE_PGM_RSRC2:TGID_Y_EN: 0
; COMPUTE_PGM_RSRC2:TGID_Z_EN: 0
; COMPUTE_PGM_RSRC2:TIDIG_COMP_CNT: 0
; COMPUTE_PGM_RSRC3_GFX90A:ACCUM_OFFSET: 0
; COMPUTE_PGM_RSRC3_GFX90A:TG_SPLIT: 0
	.section	.text._ZN7rocprim17ROCPRIM_400000_NS6detail17trampoline_kernelINS0_14default_configENS1_20scan_config_selectorIiEEZZNS1_9scan_implILNS1_25lookback_scan_determinismE0ELb1ELb1ES3_N6thrust23THRUST_200600_302600_NS6detail15normal_iteratorINS9_10device_ptrIiEEEENS9_16discard_iteratorINS9_11use_defaultEEEiNS9_4plusIvEEiEEDaPvRmT3_T4_T5_mT6_P12ihipStream_tbENKUlT_T0_E_clISt17integral_constantIbLb1EESW_IbLb0EEEEDaSS_ST_EUlSS_E_NS1_11comp_targetILNS1_3genE9ELNS1_11target_archE1100ELNS1_3gpuE3ELNS1_3repE0EEENS1_30default_config_static_selectorELNS0_4arch9wavefront6targetE1EEEvT1_,"axG",@progbits,_ZN7rocprim17ROCPRIM_400000_NS6detail17trampoline_kernelINS0_14default_configENS1_20scan_config_selectorIiEEZZNS1_9scan_implILNS1_25lookback_scan_determinismE0ELb1ELb1ES3_N6thrust23THRUST_200600_302600_NS6detail15normal_iteratorINS9_10device_ptrIiEEEENS9_16discard_iteratorINS9_11use_defaultEEEiNS9_4plusIvEEiEEDaPvRmT3_T4_T5_mT6_P12ihipStream_tbENKUlT_T0_E_clISt17integral_constantIbLb1EESW_IbLb0EEEEDaSS_ST_EUlSS_E_NS1_11comp_targetILNS1_3genE9ELNS1_11target_archE1100ELNS1_3gpuE3ELNS1_3repE0EEENS1_30default_config_static_selectorELNS0_4arch9wavefront6targetE1EEEvT1_,comdat
	.protected	_ZN7rocprim17ROCPRIM_400000_NS6detail17trampoline_kernelINS0_14default_configENS1_20scan_config_selectorIiEEZZNS1_9scan_implILNS1_25lookback_scan_determinismE0ELb1ELb1ES3_N6thrust23THRUST_200600_302600_NS6detail15normal_iteratorINS9_10device_ptrIiEEEENS9_16discard_iteratorINS9_11use_defaultEEEiNS9_4plusIvEEiEEDaPvRmT3_T4_T5_mT6_P12ihipStream_tbENKUlT_T0_E_clISt17integral_constantIbLb1EESW_IbLb0EEEEDaSS_ST_EUlSS_E_NS1_11comp_targetILNS1_3genE9ELNS1_11target_archE1100ELNS1_3gpuE3ELNS1_3repE0EEENS1_30default_config_static_selectorELNS0_4arch9wavefront6targetE1EEEvT1_ ; -- Begin function _ZN7rocprim17ROCPRIM_400000_NS6detail17trampoline_kernelINS0_14default_configENS1_20scan_config_selectorIiEEZZNS1_9scan_implILNS1_25lookback_scan_determinismE0ELb1ELb1ES3_N6thrust23THRUST_200600_302600_NS6detail15normal_iteratorINS9_10device_ptrIiEEEENS9_16discard_iteratorINS9_11use_defaultEEEiNS9_4plusIvEEiEEDaPvRmT3_T4_T5_mT6_P12ihipStream_tbENKUlT_T0_E_clISt17integral_constantIbLb1EESW_IbLb0EEEEDaSS_ST_EUlSS_E_NS1_11comp_targetILNS1_3genE9ELNS1_11target_archE1100ELNS1_3gpuE3ELNS1_3repE0EEENS1_30default_config_static_selectorELNS0_4arch9wavefront6targetE1EEEvT1_
	.globl	_ZN7rocprim17ROCPRIM_400000_NS6detail17trampoline_kernelINS0_14default_configENS1_20scan_config_selectorIiEEZZNS1_9scan_implILNS1_25lookback_scan_determinismE0ELb1ELb1ES3_N6thrust23THRUST_200600_302600_NS6detail15normal_iteratorINS9_10device_ptrIiEEEENS9_16discard_iteratorINS9_11use_defaultEEEiNS9_4plusIvEEiEEDaPvRmT3_T4_T5_mT6_P12ihipStream_tbENKUlT_T0_E_clISt17integral_constantIbLb1EESW_IbLb0EEEEDaSS_ST_EUlSS_E_NS1_11comp_targetILNS1_3genE9ELNS1_11target_archE1100ELNS1_3gpuE3ELNS1_3repE0EEENS1_30default_config_static_selectorELNS0_4arch9wavefront6targetE1EEEvT1_
	.p2align	8
	.type	_ZN7rocprim17ROCPRIM_400000_NS6detail17trampoline_kernelINS0_14default_configENS1_20scan_config_selectorIiEEZZNS1_9scan_implILNS1_25lookback_scan_determinismE0ELb1ELb1ES3_N6thrust23THRUST_200600_302600_NS6detail15normal_iteratorINS9_10device_ptrIiEEEENS9_16discard_iteratorINS9_11use_defaultEEEiNS9_4plusIvEEiEEDaPvRmT3_T4_T5_mT6_P12ihipStream_tbENKUlT_T0_E_clISt17integral_constantIbLb1EESW_IbLb0EEEEDaSS_ST_EUlSS_E_NS1_11comp_targetILNS1_3genE9ELNS1_11target_archE1100ELNS1_3gpuE3ELNS1_3repE0EEENS1_30default_config_static_selectorELNS0_4arch9wavefront6targetE1EEEvT1_,@function
_ZN7rocprim17ROCPRIM_400000_NS6detail17trampoline_kernelINS0_14default_configENS1_20scan_config_selectorIiEEZZNS1_9scan_implILNS1_25lookback_scan_determinismE0ELb1ELb1ES3_N6thrust23THRUST_200600_302600_NS6detail15normal_iteratorINS9_10device_ptrIiEEEENS9_16discard_iteratorINS9_11use_defaultEEEiNS9_4plusIvEEiEEDaPvRmT3_T4_T5_mT6_P12ihipStream_tbENKUlT_T0_E_clISt17integral_constantIbLb1EESW_IbLb0EEEEDaSS_ST_EUlSS_E_NS1_11comp_targetILNS1_3genE9ELNS1_11target_archE1100ELNS1_3gpuE3ELNS1_3repE0EEENS1_30default_config_static_selectorELNS0_4arch9wavefront6targetE1EEEvT1_: ; @_ZN7rocprim17ROCPRIM_400000_NS6detail17trampoline_kernelINS0_14default_configENS1_20scan_config_selectorIiEEZZNS1_9scan_implILNS1_25lookback_scan_determinismE0ELb1ELb1ES3_N6thrust23THRUST_200600_302600_NS6detail15normal_iteratorINS9_10device_ptrIiEEEENS9_16discard_iteratorINS9_11use_defaultEEEiNS9_4plusIvEEiEEDaPvRmT3_T4_T5_mT6_P12ihipStream_tbENKUlT_T0_E_clISt17integral_constantIbLb1EESW_IbLb0EEEEDaSS_ST_EUlSS_E_NS1_11comp_targetILNS1_3genE9ELNS1_11target_archE1100ELNS1_3gpuE3ELNS1_3repE0EEENS1_30default_config_static_selectorELNS0_4arch9wavefront6targetE1EEEvT1_
; %bb.0:
	.section	.rodata,"a",@progbits
	.p2align	6, 0x0
	.amdhsa_kernel _ZN7rocprim17ROCPRIM_400000_NS6detail17trampoline_kernelINS0_14default_configENS1_20scan_config_selectorIiEEZZNS1_9scan_implILNS1_25lookback_scan_determinismE0ELb1ELb1ES3_N6thrust23THRUST_200600_302600_NS6detail15normal_iteratorINS9_10device_ptrIiEEEENS9_16discard_iteratorINS9_11use_defaultEEEiNS9_4plusIvEEiEEDaPvRmT3_T4_T5_mT6_P12ihipStream_tbENKUlT_T0_E_clISt17integral_constantIbLb1EESW_IbLb0EEEEDaSS_ST_EUlSS_E_NS1_11comp_targetILNS1_3genE9ELNS1_11target_archE1100ELNS1_3gpuE3ELNS1_3repE0EEENS1_30default_config_static_selectorELNS0_4arch9wavefront6targetE1EEEvT1_
		.amdhsa_group_segment_fixed_size 0
		.amdhsa_private_segment_fixed_size 0
		.amdhsa_kernarg_size 104
		.amdhsa_user_sgpr_count 6
		.amdhsa_user_sgpr_private_segment_buffer 1
		.amdhsa_user_sgpr_dispatch_ptr 0
		.amdhsa_user_sgpr_queue_ptr 0
		.amdhsa_user_sgpr_kernarg_segment_ptr 1
		.amdhsa_user_sgpr_dispatch_id 0
		.amdhsa_user_sgpr_flat_scratch_init 0
		.amdhsa_user_sgpr_kernarg_preload_length 0
		.amdhsa_user_sgpr_kernarg_preload_offset 0
		.amdhsa_user_sgpr_private_segment_size 0
		.amdhsa_uses_dynamic_stack 0
		.amdhsa_system_sgpr_private_segment_wavefront_offset 0
		.amdhsa_system_sgpr_workgroup_id_x 1
		.amdhsa_system_sgpr_workgroup_id_y 0
		.amdhsa_system_sgpr_workgroup_id_z 0
		.amdhsa_system_sgpr_workgroup_info 0
		.amdhsa_system_vgpr_workitem_id 0
		.amdhsa_next_free_vgpr 1
		.amdhsa_next_free_sgpr 0
		.amdhsa_accum_offset 4
		.amdhsa_reserve_vcc 0
		.amdhsa_reserve_flat_scratch 0
		.amdhsa_float_round_mode_32 0
		.amdhsa_float_round_mode_16_64 0
		.amdhsa_float_denorm_mode_32 3
		.amdhsa_float_denorm_mode_16_64 3
		.amdhsa_dx10_clamp 1
		.amdhsa_ieee_mode 1
		.amdhsa_fp16_overflow 0
		.amdhsa_tg_split 0
		.amdhsa_exception_fp_ieee_invalid_op 0
		.amdhsa_exception_fp_denorm_src 0
		.amdhsa_exception_fp_ieee_div_zero 0
		.amdhsa_exception_fp_ieee_overflow 0
		.amdhsa_exception_fp_ieee_underflow 0
		.amdhsa_exception_fp_ieee_inexact 0
		.amdhsa_exception_int_div_zero 0
	.end_amdhsa_kernel
	.section	.text._ZN7rocprim17ROCPRIM_400000_NS6detail17trampoline_kernelINS0_14default_configENS1_20scan_config_selectorIiEEZZNS1_9scan_implILNS1_25lookback_scan_determinismE0ELb1ELb1ES3_N6thrust23THRUST_200600_302600_NS6detail15normal_iteratorINS9_10device_ptrIiEEEENS9_16discard_iteratorINS9_11use_defaultEEEiNS9_4plusIvEEiEEDaPvRmT3_T4_T5_mT6_P12ihipStream_tbENKUlT_T0_E_clISt17integral_constantIbLb1EESW_IbLb0EEEEDaSS_ST_EUlSS_E_NS1_11comp_targetILNS1_3genE9ELNS1_11target_archE1100ELNS1_3gpuE3ELNS1_3repE0EEENS1_30default_config_static_selectorELNS0_4arch9wavefront6targetE1EEEvT1_,"axG",@progbits,_ZN7rocprim17ROCPRIM_400000_NS6detail17trampoline_kernelINS0_14default_configENS1_20scan_config_selectorIiEEZZNS1_9scan_implILNS1_25lookback_scan_determinismE0ELb1ELb1ES3_N6thrust23THRUST_200600_302600_NS6detail15normal_iteratorINS9_10device_ptrIiEEEENS9_16discard_iteratorINS9_11use_defaultEEEiNS9_4plusIvEEiEEDaPvRmT3_T4_T5_mT6_P12ihipStream_tbENKUlT_T0_E_clISt17integral_constantIbLb1EESW_IbLb0EEEEDaSS_ST_EUlSS_E_NS1_11comp_targetILNS1_3genE9ELNS1_11target_archE1100ELNS1_3gpuE3ELNS1_3repE0EEENS1_30default_config_static_selectorELNS0_4arch9wavefront6targetE1EEEvT1_,comdat
.Lfunc_end5841:
	.size	_ZN7rocprim17ROCPRIM_400000_NS6detail17trampoline_kernelINS0_14default_configENS1_20scan_config_selectorIiEEZZNS1_9scan_implILNS1_25lookback_scan_determinismE0ELb1ELb1ES3_N6thrust23THRUST_200600_302600_NS6detail15normal_iteratorINS9_10device_ptrIiEEEENS9_16discard_iteratorINS9_11use_defaultEEEiNS9_4plusIvEEiEEDaPvRmT3_T4_T5_mT6_P12ihipStream_tbENKUlT_T0_E_clISt17integral_constantIbLb1EESW_IbLb0EEEEDaSS_ST_EUlSS_E_NS1_11comp_targetILNS1_3genE9ELNS1_11target_archE1100ELNS1_3gpuE3ELNS1_3repE0EEENS1_30default_config_static_selectorELNS0_4arch9wavefront6targetE1EEEvT1_, .Lfunc_end5841-_ZN7rocprim17ROCPRIM_400000_NS6detail17trampoline_kernelINS0_14default_configENS1_20scan_config_selectorIiEEZZNS1_9scan_implILNS1_25lookback_scan_determinismE0ELb1ELb1ES3_N6thrust23THRUST_200600_302600_NS6detail15normal_iteratorINS9_10device_ptrIiEEEENS9_16discard_iteratorINS9_11use_defaultEEEiNS9_4plusIvEEiEEDaPvRmT3_T4_T5_mT6_P12ihipStream_tbENKUlT_T0_E_clISt17integral_constantIbLb1EESW_IbLb0EEEEDaSS_ST_EUlSS_E_NS1_11comp_targetILNS1_3genE9ELNS1_11target_archE1100ELNS1_3gpuE3ELNS1_3repE0EEENS1_30default_config_static_selectorELNS0_4arch9wavefront6targetE1EEEvT1_
                                        ; -- End function
	.section	.AMDGPU.csdata,"",@progbits
; Kernel info:
; codeLenInByte = 0
; NumSgprs: 4
; NumVgprs: 0
; NumAgprs: 0
; TotalNumVgprs: 0
; ScratchSize: 0
; MemoryBound: 0
; FloatMode: 240
; IeeeMode: 1
; LDSByteSize: 0 bytes/workgroup (compile time only)
; SGPRBlocks: 0
; VGPRBlocks: 0
; NumSGPRsForWavesPerEU: 4
; NumVGPRsForWavesPerEU: 1
; AccumOffset: 4
; Occupancy: 8
; WaveLimiterHint : 0
; COMPUTE_PGM_RSRC2:SCRATCH_EN: 0
; COMPUTE_PGM_RSRC2:USER_SGPR: 6
; COMPUTE_PGM_RSRC2:TRAP_HANDLER: 0
; COMPUTE_PGM_RSRC2:TGID_X_EN: 1
; COMPUTE_PGM_RSRC2:TGID_Y_EN: 0
; COMPUTE_PGM_RSRC2:TGID_Z_EN: 0
; COMPUTE_PGM_RSRC2:TIDIG_COMP_CNT: 0
; COMPUTE_PGM_RSRC3_GFX90A:ACCUM_OFFSET: 0
; COMPUTE_PGM_RSRC3_GFX90A:TG_SPLIT: 0
	.section	.text._ZN7rocprim17ROCPRIM_400000_NS6detail17trampoline_kernelINS0_14default_configENS1_20scan_config_selectorIiEEZZNS1_9scan_implILNS1_25lookback_scan_determinismE0ELb1ELb1ES3_N6thrust23THRUST_200600_302600_NS6detail15normal_iteratorINS9_10device_ptrIiEEEENS9_16discard_iteratorINS9_11use_defaultEEEiNS9_4plusIvEEiEEDaPvRmT3_T4_T5_mT6_P12ihipStream_tbENKUlT_T0_E_clISt17integral_constantIbLb1EESW_IbLb0EEEEDaSS_ST_EUlSS_E_NS1_11comp_targetILNS1_3genE8ELNS1_11target_archE1030ELNS1_3gpuE2ELNS1_3repE0EEENS1_30default_config_static_selectorELNS0_4arch9wavefront6targetE1EEEvT1_,"axG",@progbits,_ZN7rocprim17ROCPRIM_400000_NS6detail17trampoline_kernelINS0_14default_configENS1_20scan_config_selectorIiEEZZNS1_9scan_implILNS1_25lookback_scan_determinismE0ELb1ELb1ES3_N6thrust23THRUST_200600_302600_NS6detail15normal_iteratorINS9_10device_ptrIiEEEENS9_16discard_iteratorINS9_11use_defaultEEEiNS9_4plusIvEEiEEDaPvRmT3_T4_T5_mT6_P12ihipStream_tbENKUlT_T0_E_clISt17integral_constantIbLb1EESW_IbLb0EEEEDaSS_ST_EUlSS_E_NS1_11comp_targetILNS1_3genE8ELNS1_11target_archE1030ELNS1_3gpuE2ELNS1_3repE0EEENS1_30default_config_static_selectorELNS0_4arch9wavefront6targetE1EEEvT1_,comdat
	.protected	_ZN7rocprim17ROCPRIM_400000_NS6detail17trampoline_kernelINS0_14default_configENS1_20scan_config_selectorIiEEZZNS1_9scan_implILNS1_25lookback_scan_determinismE0ELb1ELb1ES3_N6thrust23THRUST_200600_302600_NS6detail15normal_iteratorINS9_10device_ptrIiEEEENS9_16discard_iteratorINS9_11use_defaultEEEiNS9_4plusIvEEiEEDaPvRmT3_T4_T5_mT6_P12ihipStream_tbENKUlT_T0_E_clISt17integral_constantIbLb1EESW_IbLb0EEEEDaSS_ST_EUlSS_E_NS1_11comp_targetILNS1_3genE8ELNS1_11target_archE1030ELNS1_3gpuE2ELNS1_3repE0EEENS1_30default_config_static_selectorELNS0_4arch9wavefront6targetE1EEEvT1_ ; -- Begin function _ZN7rocprim17ROCPRIM_400000_NS6detail17trampoline_kernelINS0_14default_configENS1_20scan_config_selectorIiEEZZNS1_9scan_implILNS1_25lookback_scan_determinismE0ELb1ELb1ES3_N6thrust23THRUST_200600_302600_NS6detail15normal_iteratorINS9_10device_ptrIiEEEENS9_16discard_iteratorINS9_11use_defaultEEEiNS9_4plusIvEEiEEDaPvRmT3_T4_T5_mT6_P12ihipStream_tbENKUlT_T0_E_clISt17integral_constantIbLb1EESW_IbLb0EEEEDaSS_ST_EUlSS_E_NS1_11comp_targetILNS1_3genE8ELNS1_11target_archE1030ELNS1_3gpuE2ELNS1_3repE0EEENS1_30default_config_static_selectorELNS0_4arch9wavefront6targetE1EEEvT1_
	.globl	_ZN7rocprim17ROCPRIM_400000_NS6detail17trampoline_kernelINS0_14default_configENS1_20scan_config_selectorIiEEZZNS1_9scan_implILNS1_25lookback_scan_determinismE0ELb1ELb1ES3_N6thrust23THRUST_200600_302600_NS6detail15normal_iteratorINS9_10device_ptrIiEEEENS9_16discard_iteratorINS9_11use_defaultEEEiNS9_4plusIvEEiEEDaPvRmT3_T4_T5_mT6_P12ihipStream_tbENKUlT_T0_E_clISt17integral_constantIbLb1EESW_IbLb0EEEEDaSS_ST_EUlSS_E_NS1_11comp_targetILNS1_3genE8ELNS1_11target_archE1030ELNS1_3gpuE2ELNS1_3repE0EEENS1_30default_config_static_selectorELNS0_4arch9wavefront6targetE1EEEvT1_
	.p2align	8
	.type	_ZN7rocprim17ROCPRIM_400000_NS6detail17trampoline_kernelINS0_14default_configENS1_20scan_config_selectorIiEEZZNS1_9scan_implILNS1_25lookback_scan_determinismE0ELb1ELb1ES3_N6thrust23THRUST_200600_302600_NS6detail15normal_iteratorINS9_10device_ptrIiEEEENS9_16discard_iteratorINS9_11use_defaultEEEiNS9_4plusIvEEiEEDaPvRmT3_T4_T5_mT6_P12ihipStream_tbENKUlT_T0_E_clISt17integral_constantIbLb1EESW_IbLb0EEEEDaSS_ST_EUlSS_E_NS1_11comp_targetILNS1_3genE8ELNS1_11target_archE1030ELNS1_3gpuE2ELNS1_3repE0EEENS1_30default_config_static_selectorELNS0_4arch9wavefront6targetE1EEEvT1_,@function
_ZN7rocprim17ROCPRIM_400000_NS6detail17trampoline_kernelINS0_14default_configENS1_20scan_config_selectorIiEEZZNS1_9scan_implILNS1_25lookback_scan_determinismE0ELb1ELb1ES3_N6thrust23THRUST_200600_302600_NS6detail15normal_iteratorINS9_10device_ptrIiEEEENS9_16discard_iteratorINS9_11use_defaultEEEiNS9_4plusIvEEiEEDaPvRmT3_T4_T5_mT6_P12ihipStream_tbENKUlT_T0_E_clISt17integral_constantIbLb1EESW_IbLb0EEEEDaSS_ST_EUlSS_E_NS1_11comp_targetILNS1_3genE8ELNS1_11target_archE1030ELNS1_3gpuE2ELNS1_3repE0EEENS1_30default_config_static_selectorELNS0_4arch9wavefront6targetE1EEEvT1_: ; @_ZN7rocprim17ROCPRIM_400000_NS6detail17trampoline_kernelINS0_14default_configENS1_20scan_config_selectorIiEEZZNS1_9scan_implILNS1_25lookback_scan_determinismE0ELb1ELb1ES3_N6thrust23THRUST_200600_302600_NS6detail15normal_iteratorINS9_10device_ptrIiEEEENS9_16discard_iteratorINS9_11use_defaultEEEiNS9_4plusIvEEiEEDaPvRmT3_T4_T5_mT6_P12ihipStream_tbENKUlT_T0_E_clISt17integral_constantIbLb1EESW_IbLb0EEEEDaSS_ST_EUlSS_E_NS1_11comp_targetILNS1_3genE8ELNS1_11target_archE1030ELNS1_3gpuE2ELNS1_3repE0EEENS1_30default_config_static_selectorELNS0_4arch9wavefront6targetE1EEEvT1_
; %bb.0:
	.section	.rodata,"a",@progbits
	.p2align	6, 0x0
	.amdhsa_kernel _ZN7rocprim17ROCPRIM_400000_NS6detail17trampoline_kernelINS0_14default_configENS1_20scan_config_selectorIiEEZZNS1_9scan_implILNS1_25lookback_scan_determinismE0ELb1ELb1ES3_N6thrust23THRUST_200600_302600_NS6detail15normal_iteratorINS9_10device_ptrIiEEEENS9_16discard_iteratorINS9_11use_defaultEEEiNS9_4plusIvEEiEEDaPvRmT3_T4_T5_mT6_P12ihipStream_tbENKUlT_T0_E_clISt17integral_constantIbLb1EESW_IbLb0EEEEDaSS_ST_EUlSS_E_NS1_11comp_targetILNS1_3genE8ELNS1_11target_archE1030ELNS1_3gpuE2ELNS1_3repE0EEENS1_30default_config_static_selectorELNS0_4arch9wavefront6targetE1EEEvT1_
		.amdhsa_group_segment_fixed_size 0
		.amdhsa_private_segment_fixed_size 0
		.amdhsa_kernarg_size 104
		.amdhsa_user_sgpr_count 6
		.amdhsa_user_sgpr_private_segment_buffer 1
		.amdhsa_user_sgpr_dispatch_ptr 0
		.amdhsa_user_sgpr_queue_ptr 0
		.amdhsa_user_sgpr_kernarg_segment_ptr 1
		.amdhsa_user_sgpr_dispatch_id 0
		.amdhsa_user_sgpr_flat_scratch_init 0
		.amdhsa_user_sgpr_kernarg_preload_length 0
		.amdhsa_user_sgpr_kernarg_preload_offset 0
		.amdhsa_user_sgpr_private_segment_size 0
		.amdhsa_uses_dynamic_stack 0
		.amdhsa_system_sgpr_private_segment_wavefront_offset 0
		.amdhsa_system_sgpr_workgroup_id_x 1
		.amdhsa_system_sgpr_workgroup_id_y 0
		.amdhsa_system_sgpr_workgroup_id_z 0
		.amdhsa_system_sgpr_workgroup_info 0
		.amdhsa_system_vgpr_workitem_id 0
		.amdhsa_next_free_vgpr 1
		.amdhsa_next_free_sgpr 0
		.amdhsa_accum_offset 4
		.amdhsa_reserve_vcc 0
		.amdhsa_reserve_flat_scratch 0
		.amdhsa_float_round_mode_32 0
		.amdhsa_float_round_mode_16_64 0
		.amdhsa_float_denorm_mode_32 3
		.amdhsa_float_denorm_mode_16_64 3
		.amdhsa_dx10_clamp 1
		.amdhsa_ieee_mode 1
		.amdhsa_fp16_overflow 0
		.amdhsa_tg_split 0
		.amdhsa_exception_fp_ieee_invalid_op 0
		.amdhsa_exception_fp_denorm_src 0
		.amdhsa_exception_fp_ieee_div_zero 0
		.amdhsa_exception_fp_ieee_overflow 0
		.amdhsa_exception_fp_ieee_underflow 0
		.amdhsa_exception_fp_ieee_inexact 0
		.amdhsa_exception_int_div_zero 0
	.end_amdhsa_kernel
	.section	.text._ZN7rocprim17ROCPRIM_400000_NS6detail17trampoline_kernelINS0_14default_configENS1_20scan_config_selectorIiEEZZNS1_9scan_implILNS1_25lookback_scan_determinismE0ELb1ELb1ES3_N6thrust23THRUST_200600_302600_NS6detail15normal_iteratorINS9_10device_ptrIiEEEENS9_16discard_iteratorINS9_11use_defaultEEEiNS9_4plusIvEEiEEDaPvRmT3_T4_T5_mT6_P12ihipStream_tbENKUlT_T0_E_clISt17integral_constantIbLb1EESW_IbLb0EEEEDaSS_ST_EUlSS_E_NS1_11comp_targetILNS1_3genE8ELNS1_11target_archE1030ELNS1_3gpuE2ELNS1_3repE0EEENS1_30default_config_static_selectorELNS0_4arch9wavefront6targetE1EEEvT1_,"axG",@progbits,_ZN7rocprim17ROCPRIM_400000_NS6detail17trampoline_kernelINS0_14default_configENS1_20scan_config_selectorIiEEZZNS1_9scan_implILNS1_25lookback_scan_determinismE0ELb1ELb1ES3_N6thrust23THRUST_200600_302600_NS6detail15normal_iteratorINS9_10device_ptrIiEEEENS9_16discard_iteratorINS9_11use_defaultEEEiNS9_4plusIvEEiEEDaPvRmT3_T4_T5_mT6_P12ihipStream_tbENKUlT_T0_E_clISt17integral_constantIbLb1EESW_IbLb0EEEEDaSS_ST_EUlSS_E_NS1_11comp_targetILNS1_3genE8ELNS1_11target_archE1030ELNS1_3gpuE2ELNS1_3repE0EEENS1_30default_config_static_selectorELNS0_4arch9wavefront6targetE1EEEvT1_,comdat
.Lfunc_end5842:
	.size	_ZN7rocprim17ROCPRIM_400000_NS6detail17trampoline_kernelINS0_14default_configENS1_20scan_config_selectorIiEEZZNS1_9scan_implILNS1_25lookback_scan_determinismE0ELb1ELb1ES3_N6thrust23THRUST_200600_302600_NS6detail15normal_iteratorINS9_10device_ptrIiEEEENS9_16discard_iteratorINS9_11use_defaultEEEiNS9_4plusIvEEiEEDaPvRmT3_T4_T5_mT6_P12ihipStream_tbENKUlT_T0_E_clISt17integral_constantIbLb1EESW_IbLb0EEEEDaSS_ST_EUlSS_E_NS1_11comp_targetILNS1_3genE8ELNS1_11target_archE1030ELNS1_3gpuE2ELNS1_3repE0EEENS1_30default_config_static_selectorELNS0_4arch9wavefront6targetE1EEEvT1_, .Lfunc_end5842-_ZN7rocprim17ROCPRIM_400000_NS6detail17trampoline_kernelINS0_14default_configENS1_20scan_config_selectorIiEEZZNS1_9scan_implILNS1_25lookback_scan_determinismE0ELb1ELb1ES3_N6thrust23THRUST_200600_302600_NS6detail15normal_iteratorINS9_10device_ptrIiEEEENS9_16discard_iteratorINS9_11use_defaultEEEiNS9_4plusIvEEiEEDaPvRmT3_T4_T5_mT6_P12ihipStream_tbENKUlT_T0_E_clISt17integral_constantIbLb1EESW_IbLb0EEEEDaSS_ST_EUlSS_E_NS1_11comp_targetILNS1_3genE8ELNS1_11target_archE1030ELNS1_3gpuE2ELNS1_3repE0EEENS1_30default_config_static_selectorELNS0_4arch9wavefront6targetE1EEEvT1_
                                        ; -- End function
	.section	.AMDGPU.csdata,"",@progbits
; Kernel info:
; codeLenInByte = 0
; NumSgprs: 4
; NumVgprs: 0
; NumAgprs: 0
; TotalNumVgprs: 0
; ScratchSize: 0
; MemoryBound: 0
; FloatMode: 240
; IeeeMode: 1
; LDSByteSize: 0 bytes/workgroup (compile time only)
; SGPRBlocks: 0
; VGPRBlocks: 0
; NumSGPRsForWavesPerEU: 4
; NumVGPRsForWavesPerEU: 1
; AccumOffset: 4
; Occupancy: 8
; WaveLimiterHint : 0
; COMPUTE_PGM_RSRC2:SCRATCH_EN: 0
; COMPUTE_PGM_RSRC2:USER_SGPR: 6
; COMPUTE_PGM_RSRC2:TRAP_HANDLER: 0
; COMPUTE_PGM_RSRC2:TGID_X_EN: 1
; COMPUTE_PGM_RSRC2:TGID_Y_EN: 0
; COMPUTE_PGM_RSRC2:TGID_Z_EN: 0
; COMPUTE_PGM_RSRC2:TIDIG_COMP_CNT: 0
; COMPUTE_PGM_RSRC3_GFX90A:ACCUM_OFFSET: 0
; COMPUTE_PGM_RSRC3_GFX90A:TG_SPLIT: 0
	.section	.text._ZN7rocprim17ROCPRIM_400000_NS6detail17trampoline_kernelINS0_14default_configENS1_20scan_config_selectorIiEEZZNS1_9scan_implILNS1_25lookback_scan_determinismE0ELb1ELb1ES3_N6thrust23THRUST_200600_302600_NS6detail15normal_iteratorINS9_10device_ptrIiEEEENS9_16discard_iteratorINS9_11use_defaultEEEiNS9_4plusIvEEiEEDaPvRmT3_T4_T5_mT6_P12ihipStream_tbENKUlT_T0_E_clISt17integral_constantIbLb1EESW_IbLb0EEEEDaSS_ST_EUlSS_E0_NS1_11comp_targetILNS1_3genE0ELNS1_11target_archE4294967295ELNS1_3gpuE0ELNS1_3repE0EEENS1_30default_config_static_selectorELNS0_4arch9wavefront6targetE1EEEvT1_,"axG",@progbits,_ZN7rocprim17ROCPRIM_400000_NS6detail17trampoline_kernelINS0_14default_configENS1_20scan_config_selectorIiEEZZNS1_9scan_implILNS1_25lookback_scan_determinismE0ELb1ELb1ES3_N6thrust23THRUST_200600_302600_NS6detail15normal_iteratorINS9_10device_ptrIiEEEENS9_16discard_iteratorINS9_11use_defaultEEEiNS9_4plusIvEEiEEDaPvRmT3_T4_T5_mT6_P12ihipStream_tbENKUlT_T0_E_clISt17integral_constantIbLb1EESW_IbLb0EEEEDaSS_ST_EUlSS_E0_NS1_11comp_targetILNS1_3genE0ELNS1_11target_archE4294967295ELNS1_3gpuE0ELNS1_3repE0EEENS1_30default_config_static_selectorELNS0_4arch9wavefront6targetE1EEEvT1_,comdat
	.protected	_ZN7rocprim17ROCPRIM_400000_NS6detail17trampoline_kernelINS0_14default_configENS1_20scan_config_selectorIiEEZZNS1_9scan_implILNS1_25lookback_scan_determinismE0ELb1ELb1ES3_N6thrust23THRUST_200600_302600_NS6detail15normal_iteratorINS9_10device_ptrIiEEEENS9_16discard_iteratorINS9_11use_defaultEEEiNS9_4plusIvEEiEEDaPvRmT3_T4_T5_mT6_P12ihipStream_tbENKUlT_T0_E_clISt17integral_constantIbLb1EESW_IbLb0EEEEDaSS_ST_EUlSS_E0_NS1_11comp_targetILNS1_3genE0ELNS1_11target_archE4294967295ELNS1_3gpuE0ELNS1_3repE0EEENS1_30default_config_static_selectorELNS0_4arch9wavefront6targetE1EEEvT1_ ; -- Begin function _ZN7rocprim17ROCPRIM_400000_NS6detail17trampoline_kernelINS0_14default_configENS1_20scan_config_selectorIiEEZZNS1_9scan_implILNS1_25lookback_scan_determinismE0ELb1ELb1ES3_N6thrust23THRUST_200600_302600_NS6detail15normal_iteratorINS9_10device_ptrIiEEEENS9_16discard_iteratorINS9_11use_defaultEEEiNS9_4plusIvEEiEEDaPvRmT3_T4_T5_mT6_P12ihipStream_tbENKUlT_T0_E_clISt17integral_constantIbLb1EESW_IbLb0EEEEDaSS_ST_EUlSS_E0_NS1_11comp_targetILNS1_3genE0ELNS1_11target_archE4294967295ELNS1_3gpuE0ELNS1_3repE0EEENS1_30default_config_static_selectorELNS0_4arch9wavefront6targetE1EEEvT1_
	.globl	_ZN7rocprim17ROCPRIM_400000_NS6detail17trampoline_kernelINS0_14default_configENS1_20scan_config_selectorIiEEZZNS1_9scan_implILNS1_25lookback_scan_determinismE0ELb1ELb1ES3_N6thrust23THRUST_200600_302600_NS6detail15normal_iteratorINS9_10device_ptrIiEEEENS9_16discard_iteratorINS9_11use_defaultEEEiNS9_4plusIvEEiEEDaPvRmT3_T4_T5_mT6_P12ihipStream_tbENKUlT_T0_E_clISt17integral_constantIbLb1EESW_IbLb0EEEEDaSS_ST_EUlSS_E0_NS1_11comp_targetILNS1_3genE0ELNS1_11target_archE4294967295ELNS1_3gpuE0ELNS1_3repE0EEENS1_30default_config_static_selectorELNS0_4arch9wavefront6targetE1EEEvT1_
	.p2align	8
	.type	_ZN7rocprim17ROCPRIM_400000_NS6detail17trampoline_kernelINS0_14default_configENS1_20scan_config_selectorIiEEZZNS1_9scan_implILNS1_25lookback_scan_determinismE0ELb1ELb1ES3_N6thrust23THRUST_200600_302600_NS6detail15normal_iteratorINS9_10device_ptrIiEEEENS9_16discard_iteratorINS9_11use_defaultEEEiNS9_4plusIvEEiEEDaPvRmT3_T4_T5_mT6_P12ihipStream_tbENKUlT_T0_E_clISt17integral_constantIbLb1EESW_IbLb0EEEEDaSS_ST_EUlSS_E0_NS1_11comp_targetILNS1_3genE0ELNS1_11target_archE4294967295ELNS1_3gpuE0ELNS1_3repE0EEENS1_30default_config_static_selectorELNS0_4arch9wavefront6targetE1EEEvT1_,@function
_ZN7rocprim17ROCPRIM_400000_NS6detail17trampoline_kernelINS0_14default_configENS1_20scan_config_selectorIiEEZZNS1_9scan_implILNS1_25lookback_scan_determinismE0ELb1ELb1ES3_N6thrust23THRUST_200600_302600_NS6detail15normal_iteratorINS9_10device_ptrIiEEEENS9_16discard_iteratorINS9_11use_defaultEEEiNS9_4plusIvEEiEEDaPvRmT3_T4_T5_mT6_P12ihipStream_tbENKUlT_T0_E_clISt17integral_constantIbLb1EESW_IbLb0EEEEDaSS_ST_EUlSS_E0_NS1_11comp_targetILNS1_3genE0ELNS1_11target_archE4294967295ELNS1_3gpuE0ELNS1_3repE0EEENS1_30default_config_static_selectorELNS0_4arch9wavefront6targetE1EEEvT1_: ; @_ZN7rocprim17ROCPRIM_400000_NS6detail17trampoline_kernelINS0_14default_configENS1_20scan_config_selectorIiEEZZNS1_9scan_implILNS1_25lookback_scan_determinismE0ELb1ELb1ES3_N6thrust23THRUST_200600_302600_NS6detail15normal_iteratorINS9_10device_ptrIiEEEENS9_16discard_iteratorINS9_11use_defaultEEEiNS9_4plusIvEEiEEDaPvRmT3_T4_T5_mT6_P12ihipStream_tbENKUlT_T0_E_clISt17integral_constantIbLb1EESW_IbLb0EEEEDaSS_ST_EUlSS_E0_NS1_11comp_targetILNS1_3genE0ELNS1_11target_archE4294967295ELNS1_3gpuE0ELNS1_3repE0EEENS1_30default_config_static_selectorELNS0_4arch9wavefront6targetE1EEEvT1_
; %bb.0:
	.section	.rodata,"a",@progbits
	.p2align	6, 0x0
	.amdhsa_kernel _ZN7rocprim17ROCPRIM_400000_NS6detail17trampoline_kernelINS0_14default_configENS1_20scan_config_selectorIiEEZZNS1_9scan_implILNS1_25lookback_scan_determinismE0ELb1ELb1ES3_N6thrust23THRUST_200600_302600_NS6detail15normal_iteratorINS9_10device_ptrIiEEEENS9_16discard_iteratorINS9_11use_defaultEEEiNS9_4plusIvEEiEEDaPvRmT3_T4_T5_mT6_P12ihipStream_tbENKUlT_T0_E_clISt17integral_constantIbLb1EESW_IbLb0EEEEDaSS_ST_EUlSS_E0_NS1_11comp_targetILNS1_3genE0ELNS1_11target_archE4294967295ELNS1_3gpuE0ELNS1_3repE0EEENS1_30default_config_static_selectorELNS0_4arch9wavefront6targetE1EEEvT1_
		.amdhsa_group_segment_fixed_size 0
		.amdhsa_private_segment_fixed_size 0
		.amdhsa_kernarg_size 40
		.amdhsa_user_sgpr_count 6
		.amdhsa_user_sgpr_private_segment_buffer 1
		.amdhsa_user_sgpr_dispatch_ptr 0
		.amdhsa_user_sgpr_queue_ptr 0
		.amdhsa_user_sgpr_kernarg_segment_ptr 1
		.amdhsa_user_sgpr_dispatch_id 0
		.amdhsa_user_sgpr_flat_scratch_init 0
		.amdhsa_user_sgpr_kernarg_preload_length 0
		.amdhsa_user_sgpr_kernarg_preload_offset 0
		.amdhsa_user_sgpr_private_segment_size 0
		.amdhsa_uses_dynamic_stack 0
		.amdhsa_system_sgpr_private_segment_wavefront_offset 0
		.amdhsa_system_sgpr_workgroup_id_x 1
		.amdhsa_system_sgpr_workgroup_id_y 0
		.amdhsa_system_sgpr_workgroup_id_z 0
		.amdhsa_system_sgpr_workgroup_info 0
		.amdhsa_system_vgpr_workitem_id 0
		.amdhsa_next_free_vgpr 1
		.amdhsa_next_free_sgpr 0
		.amdhsa_accum_offset 4
		.amdhsa_reserve_vcc 0
		.amdhsa_reserve_flat_scratch 0
		.amdhsa_float_round_mode_32 0
		.amdhsa_float_round_mode_16_64 0
		.amdhsa_float_denorm_mode_32 3
		.amdhsa_float_denorm_mode_16_64 3
		.amdhsa_dx10_clamp 1
		.amdhsa_ieee_mode 1
		.amdhsa_fp16_overflow 0
		.amdhsa_tg_split 0
		.amdhsa_exception_fp_ieee_invalid_op 0
		.amdhsa_exception_fp_denorm_src 0
		.amdhsa_exception_fp_ieee_div_zero 0
		.amdhsa_exception_fp_ieee_overflow 0
		.amdhsa_exception_fp_ieee_underflow 0
		.amdhsa_exception_fp_ieee_inexact 0
		.amdhsa_exception_int_div_zero 0
	.end_amdhsa_kernel
	.section	.text._ZN7rocprim17ROCPRIM_400000_NS6detail17trampoline_kernelINS0_14default_configENS1_20scan_config_selectorIiEEZZNS1_9scan_implILNS1_25lookback_scan_determinismE0ELb1ELb1ES3_N6thrust23THRUST_200600_302600_NS6detail15normal_iteratorINS9_10device_ptrIiEEEENS9_16discard_iteratorINS9_11use_defaultEEEiNS9_4plusIvEEiEEDaPvRmT3_T4_T5_mT6_P12ihipStream_tbENKUlT_T0_E_clISt17integral_constantIbLb1EESW_IbLb0EEEEDaSS_ST_EUlSS_E0_NS1_11comp_targetILNS1_3genE0ELNS1_11target_archE4294967295ELNS1_3gpuE0ELNS1_3repE0EEENS1_30default_config_static_selectorELNS0_4arch9wavefront6targetE1EEEvT1_,"axG",@progbits,_ZN7rocprim17ROCPRIM_400000_NS6detail17trampoline_kernelINS0_14default_configENS1_20scan_config_selectorIiEEZZNS1_9scan_implILNS1_25lookback_scan_determinismE0ELb1ELb1ES3_N6thrust23THRUST_200600_302600_NS6detail15normal_iteratorINS9_10device_ptrIiEEEENS9_16discard_iteratorINS9_11use_defaultEEEiNS9_4plusIvEEiEEDaPvRmT3_T4_T5_mT6_P12ihipStream_tbENKUlT_T0_E_clISt17integral_constantIbLb1EESW_IbLb0EEEEDaSS_ST_EUlSS_E0_NS1_11comp_targetILNS1_3genE0ELNS1_11target_archE4294967295ELNS1_3gpuE0ELNS1_3repE0EEENS1_30default_config_static_selectorELNS0_4arch9wavefront6targetE1EEEvT1_,comdat
.Lfunc_end5843:
	.size	_ZN7rocprim17ROCPRIM_400000_NS6detail17trampoline_kernelINS0_14default_configENS1_20scan_config_selectorIiEEZZNS1_9scan_implILNS1_25lookback_scan_determinismE0ELb1ELb1ES3_N6thrust23THRUST_200600_302600_NS6detail15normal_iteratorINS9_10device_ptrIiEEEENS9_16discard_iteratorINS9_11use_defaultEEEiNS9_4plusIvEEiEEDaPvRmT3_T4_T5_mT6_P12ihipStream_tbENKUlT_T0_E_clISt17integral_constantIbLb1EESW_IbLb0EEEEDaSS_ST_EUlSS_E0_NS1_11comp_targetILNS1_3genE0ELNS1_11target_archE4294967295ELNS1_3gpuE0ELNS1_3repE0EEENS1_30default_config_static_selectorELNS0_4arch9wavefront6targetE1EEEvT1_, .Lfunc_end5843-_ZN7rocprim17ROCPRIM_400000_NS6detail17trampoline_kernelINS0_14default_configENS1_20scan_config_selectorIiEEZZNS1_9scan_implILNS1_25lookback_scan_determinismE0ELb1ELb1ES3_N6thrust23THRUST_200600_302600_NS6detail15normal_iteratorINS9_10device_ptrIiEEEENS9_16discard_iteratorINS9_11use_defaultEEEiNS9_4plusIvEEiEEDaPvRmT3_T4_T5_mT6_P12ihipStream_tbENKUlT_T0_E_clISt17integral_constantIbLb1EESW_IbLb0EEEEDaSS_ST_EUlSS_E0_NS1_11comp_targetILNS1_3genE0ELNS1_11target_archE4294967295ELNS1_3gpuE0ELNS1_3repE0EEENS1_30default_config_static_selectorELNS0_4arch9wavefront6targetE1EEEvT1_
                                        ; -- End function
	.section	.AMDGPU.csdata,"",@progbits
; Kernel info:
; codeLenInByte = 0
; NumSgprs: 4
; NumVgprs: 0
; NumAgprs: 0
; TotalNumVgprs: 0
; ScratchSize: 0
; MemoryBound: 0
; FloatMode: 240
; IeeeMode: 1
; LDSByteSize: 0 bytes/workgroup (compile time only)
; SGPRBlocks: 0
; VGPRBlocks: 0
; NumSGPRsForWavesPerEU: 4
; NumVGPRsForWavesPerEU: 1
; AccumOffset: 4
; Occupancy: 8
; WaveLimiterHint : 0
; COMPUTE_PGM_RSRC2:SCRATCH_EN: 0
; COMPUTE_PGM_RSRC2:USER_SGPR: 6
; COMPUTE_PGM_RSRC2:TRAP_HANDLER: 0
; COMPUTE_PGM_RSRC2:TGID_X_EN: 1
; COMPUTE_PGM_RSRC2:TGID_Y_EN: 0
; COMPUTE_PGM_RSRC2:TGID_Z_EN: 0
; COMPUTE_PGM_RSRC2:TIDIG_COMP_CNT: 0
; COMPUTE_PGM_RSRC3_GFX90A:ACCUM_OFFSET: 0
; COMPUTE_PGM_RSRC3_GFX90A:TG_SPLIT: 0
	.section	.text._ZN7rocprim17ROCPRIM_400000_NS6detail17trampoline_kernelINS0_14default_configENS1_20scan_config_selectorIiEEZZNS1_9scan_implILNS1_25lookback_scan_determinismE0ELb1ELb1ES3_N6thrust23THRUST_200600_302600_NS6detail15normal_iteratorINS9_10device_ptrIiEEEENS9_16discard_iteratorINS9_11use_defaultEEEiNS9_4plusIvEEiEEDaPvRmT3_T4_T5_mT6_P12ihipStream_tbENKUlT_T0_E_clISt17integral_constantIbLb1EESW_IbLb0EEEEDaSS_ST_EUlSS_E0_NS1_11comp_targetILNS1_3genE5ELNS1_11target_archE942ELNS1_3gpuE9ELNS1_3repE0EEENS1_30default_config_static_selectorELNS0_4arch9wavefront6targetE1EEEvT1_,"axG",@progbits,_ZN7rocprim17ROCPRIM_400000_NS6detail17trampoline_kernelINS0_14default_configENS1_20scan_config_selectorIiEEZZNS1_9scan_implILNS1_25lookback_scan_determinismE0ELb1ELb1ES3_N6thrust23THRUST_200600_302600_NS6detail15normal_iteratorINS9_10device_ptrIiEEEENS9_16discard_iteratorINS9_11use_defaultEEEiNS9_4plusIvEEiEEDaPvRmT3_T4_T5_mT6_P12ihipStream_tbENKUlT_T0_E_clISt17integral_constantIbLb1EESW_IbLb0EEEEDaSS_ST_EUlSS_E0_NS1_11comp_targetILNS1_3genE5ELNS1_11target_archE942ELNS1_3gpuE9ELNS1_3repE0EEENS1_30default_config_static_selectorELNS0_4arch9wavefront6targetE1EEEvT1_,comdat
	.protected	_ZN7rocprim17ROCPRIM_400000_NS6detail17trampoline_kernelINS0_14default_configENS1_20scan_config_selectorIiEEZZNS1_9scan_implILNS1_25lookback_scan_determinismE0ELb1ELb1ES3_N6thrust23THRUST_200600_302600_NS6detail15normal_iteratorINS9_10device_ptrIiEEEENS9_16discard_iteratorINS9_11use_defaultEEEiNS9_4plusIvEEiEEDaPvRmT3_T4_T5_mT6_P12ihipStream_tbENKUlT_T0_E_clISt17integral_constantIbLb1EESW_IbLb0EEEEDaSS_ST_EUlSS_E0_NS1_11comp_targetILNS1_3genE5ELNS1_11target_archE942ELNS1_3gpuE9ELNS1_3repE0EEENS1_30default_config_static_selectorELNS0_4arch9wavefront6targetE1EEEvT1_ ; -- Begin function _ZN7rocprim17ROCPRIM_400000_NS6detail17trampoline_kernelINS0_14default_configENS1_20scan_config_selectorIiEEZZNS1_9scan_implILNS1_25lookback_scan_determinismE0ELb1ELb1ES3_N6thrust23THRUST_200600_302600_NS6detail15normal_iteratorINS9_10device_ptrIiEEEENS9_16discard_iteratorINS9_11use_defaultEEEiNS9_4plusIvEEiEEDaPvRmT3_T4_T5_mT6_P12ihipStream_tbENKUlT_T0_E_clISt17integral_constantIbLb1EESW_IbLb0EEEEDaSS_ST_EUlSS_E0_NS1_11comp_targetILNS1_3genE5ELNS1_11target_archE942ELNS1_3gpuE9ELNS1_3repE0EEENS1_30default_config_static_selectorELNS0_4arch9wavefront6targetE1EEEvT1_
	.globl	_ZN7rocprim17ROCPRIM_400000_NS6detail17trampoline_kernelINS0_14default_configENS1_20scan_config_selectorIiEEZZNS1_9scan_implILNS1_25lookback_scan_determinismE0ELb1ELb1ES3_N6thrust23THRUST_200600_302600_NS6detail15normal_iteratorINS9_10device_ptrIiEEEENS9_16discard_iteratorINS9_11use_defaultEEEiNS9_4plusIvEEiEEDaPvRmT3_T4_T5_mT6_P12ihipStream_tbENKUlT_T0_E_clISt17integral_constantIbLb1EESW_IbLb0EEEEDaSS_ST_EUlSS_E0_NS1_11comp_targetILNS1_3genE5ELNS1_11target_archE942ELNS1_3gpuE9ELNS1_3repE0EEENS1_30default_config_static_selectorELNS0_4arch9wavefront6targetE1EEEvT1_
	.p2align	8
	.type	_ZN7rocprim17ROCPRIM_400000_NS6detail17trampoline_kernelINS0_14default_configENS1_20scan_config_selectorIiEEZZNS1_9scan_implILNS1_25lookback_scan_determinismE0ELb1ELb1ES3_N6thrust23THRUST_200600_302600_NS6detail15normal_iteratorINS9_10device_ptrIiEEEENS9_16discard_iteratorINS9_11use_defaultEEEiNS9_4plusIvEEiEEDaPvRmT3_T4_T5_mT6_P12ihipStream_tbENKUlT_T0_E_clISt17integral_constantIbLb1EESW_IbLb0EEEEDaSS_ST_EUlSS_E0_NS1_11comp_targetILNS1_3genE5ELNS1_11target_archE942ELNS1_3gpuE9ELNS1_3repE0EEENS1_30default_config_static_selectorELNS0_4arch9wavefront6targetE1EEEvT1_,@function
_ZN7rocprim17ROCPRIM_400000_NS6detail17trampoline_kernelINS0_14default_configENS1_20scan_config_selectorIiEEZZNS1_9scan_implILNS1_25lookback_scan_determinismE0ELb1ELb1ES3_N6thrust23THRUST_200600_302600_NS6detail15normal_iteratorINS9_10device_ptrIiEEEENS9_16discard_iteratorINS9_11use_defaultEEEiNS9_4plusIvEEiEEDaPvRmT3_T4_T5_mT6_P12ihipStream_tbENKUlT_T0_E_clISt17integral_constantIbLb1EESW_IbLb0EEEEDaSS_ST_EUlSS_E0_NS1_11comp_targetILNS1_3genE5ELNS1_11target_archE942ELNS1_3gpuE9ELNS1_3repE0EEENS1_30default_config_static_selectorELNS0_4arch9wavefront6targetE1EEEvT1_: ; @_ZN7rocprim17ROCPRIM_400000_NS6detail17trampoline_kernelINS0_14default_configENS1_20scan_config_selectorIiEEZZNS1_9scan_implILNS1_25lookback_scan_determinismE0ELb1ELb1ES3_N6thrust23THRUST_200600_302600_NS6detail15normal_iteratorINS9_10device_ptrIiEEEENS9_16discard_iteratorINS9_11use_defaultEEEiNS9_4plusIvEEiEEDaPvRmT3_T4_T5_mT6_P12ihipStream_tbENKUlT_T0_E_clISt17integral_constantIbLb1EESW_IbLb0EEEEDaSS_ST_EUlSS_E0_NS1_11comp_targetILNS1_3genE5ELNS1_11target_archE942ELNS1_3gpuE9ELNS1_3repE0EEENS1_30default_config_static_selectorELNS0_4arch9wavefront6targetE1EEEvT1_
; %bb.0:
	.section	.rodata,"a",@progbits
	.p2align	6, 0x0
	.amdhsa_kernel _ZN7rocprim17ROCPRIM_400000_NS6detail17trampoline_kernelINS0_14default_configENS1_20scan_config_selectorIiEEZZNS1_9scan_implILNS1_25lookback_scan_determinismE0ELb1ELb1ES3_N6thrust23THRUST_200600_302600_NS6detail15normal_iteratorINS9_10device_ptrIiEEEENS9_16discard_iteratorINS9_11use_defaultEEEiNS9_4plusIvEEiEEDaPvRmT3_T4_T5_mT6_P12ihipStream_tbENKUlT_T0_E_clISt17integral_constantIbLb1EESW_IbLb0EEEEDaSS_ST_EUlSS_E0_NS1_11comp_targetILNS1_3genE5ELNS1_11target_archE942ELNS1_3gpuE9ELNS1_3repE0EEENS1_30default_config_static_selectorELNS0_4arch9wavefront6targetE1EEEvT1_
		.amdhsa_group_segment_fixed_size 0
		.amdhsa_private_segment_fixed_size 0
		.amdhsa_kernarg_size 40
		.amdhsa_user_sgpr_count 6
		.amdhsa_user_sgpr_private_segment_buffer 1
		.amdhsa_user_sgpr_dispatch_ptr 0
		.amdhsa_user_sgpr_queue_ptr 0
		.amdhsa_user_sgpr_kernarg_segment_ptr 1
		.amdhsa_user_sgpr_dispatch_id 0
		.amdhsa_user_sgpr_flat_scratch_init 0
		.amdhsa_user_sgpr_kernarg_preload_length 0
		.amdhsa_user_sgpr_kernarg_preload_offset 0
		.amdhsa_user_sgpr_private_segment_size 0
		.amdhsa_uses_dynamic_stack 0
		.amdhsa_system_sgpr_private_segment_wavefront_offset 0
		.amdhsa_system_sgpr_workgroup_id_x 1
		.amdhsa_system_sgpr_workgroup_id_y 0
		.amdhsa_system_sgpr_workgroup_id_z 0
		.amdhsa_system_sgpr_workgroup_info 0
		.amdhsa_system_vgpr_workitem_id 0
		.amdhsa_next_free_vgpr 1
		.amdhsa_next_free_sgpr 0
		.amdhsa_accum_offset 4
		.amdhsa_reserve_vcc 0
		.amdhsa_reserve_flat_scratch 0
		.amdhsa_float_round_mode_32 0
		.amdhsa_float_round_mode_16_64 0
		.amdhsa_float_denorm_mode_32 3
		.amdhsa_float_denorm_mode_16_64 3
		.amdhsa_dx10_clamp 1
		.amdhsa_ieee_mode 1
		.amdhsa_fp16_overflow 0
		.amdhsa_tg_split 0
		.amdhsa_exception_fp_ieee_invalid_op 0
		.amdhsa_exception_fp_denorm_src 0
		.amdhsa_exception_fp_ieee_div_zero 0
		.amdhsa_exception_fp_ieee_overflow 0
		.amdhsa_exception_fp_ieee_underflow 0
		.amdhsa_exception_fp_ieee_inexact 0
		.amdhsa_exception_int_div_zero 0
	.end_amdhsa_kernel
	.section	.text._ZN7rocprim17ROCPRIM_400000_NS6detail17trampoline_kernelINS0_14default_configENS1_20scan_config_selectorIiEEZZNS1_9scan_implILNS1_25lookback_scan_determinismE0ELb1ELb1ES3_N6thrust23THRUST_200600_302600_NS6detail15normal_iteratorINS9_10device_ptrIiEEEENS9_16discard_iteratorINS9_11use_defaultEEEiNS9_4plusIvEEiEEDaPvRmT3_T4_T5_mT6_P12ihipStream_tbENKUlT_T0_E_clISt17integral_constantIbLb1EESW_IbLb0EEEEDaSS_ST_EUlSS_E0_NS1_11comp_targetILNS1_3genE5ELNS1_11target_archE942ELNS1_3gpuE9ELNS1_3repE0EEENS1_30default_config_static_selectorELNS0_4arch9wavefront6targetE1EEEvT1_,"axG",@progbits,_ZN7rocprim17ROCPRIM_400000_NS6detail17trampoline_kernelINS0_14default_configENS1_20scan_config_selectorIiEEZZNS1_9scan_implILNS1_25lookback_scan_determinismE0ELb1ELb1ES3_N6thrust23THRUST_200600_302600_NS6detail15normal_iteratorINS9_10device_ptrIiEEEENS9_16discard_iteratorINS9_11use_defaultEEEiNS9_4plusIvEEiEEDaPvRmT3_T4_T5_mT6_P12ihipStream_tbENKUlT_T0_E_clISt17integral_constantIbLb1EESW_IbLb0EEEEDaSS_ST_EUlSS_E0_NS1_11comp_targetILNS1_3genE5ELNS1_11target_archE942ELNS1_3gpuE9ELNS1_3repE0EEENS1_30default_config_static_selectorELNS0_4arch9wavefront6targetE1EEEvT1_,comdat
.Lfunc_end5844:
	.size	_ZN7rocprim17ROCPRIM_400000_NS6detail17trampoline_kernelINS0_14default_configENS1_20scan_config_selectorIiEEZZNS1_9scan_implILNS1_25lookback_scan_determinismE0ELb1ELb1ES3_N6thrust23THRUST_200600_302600_NS6detail15normal_iteratorINS9_10device_ptrIiEEEENS9_16discard_iteratorINS9_11use_defaultEEEiNS9_4plusIvEEiEEDaPvRmT3_T4_T5_mT6_P12ihipStream_tbENKUlT_T0_E_clISt17integral_constantIbLb1EESW_IbLb0EEEEDaSS_ST_EUlSS_E0_NS1_11comp_targetILNS1_3genE5ELNS1_11target_archE942ELNS1_3gpuE9ELNS1_3repE0EEENS1_30default_config_static_selectorELNS0_4arch9wavefront6targetE1EEEvT1_, .Lfunc_end5844-_ZN7rocprim17ROCPRIM_400000_NS6detail17trampoline_kernelINS0_14default_configENS1_20scan_config_selectorIiEEZZNS1_9scan_implILNS1_25lookback_scan_determinismE0ELb1ELb1ES3_N6thrust23THRUST_200600_302600_NS6detail15normal_iteratorINS9_10device_ptrIiEEEENS9_16discard_iteratorINS9_11use_defaultEEEiNS9_4plusIvEEiEEDaPvRmT3_T4_T5_mT6_P12ihipStream_tbENKUlT_T0_E_clISt17integral_constantIbLb1EESW_IbLb0EEEEDaSS_ST_EUlSS_E0_NS1_11comp_targetILNS1_3genE5ELNS1_11target_archE942ELNS1_3gpuE9ELNS1_3repE0EEENS1_30default_config_static_selectorELNS0_4arch9wavefront6targetE1EEEvT1_
                                        ; -- End function
	.section	.AMDGPU.csdata,"",@progbits
; Kernel info:
; codeLenInByte = 0
; NumSgprs: 4
; NumVgprs: 0
; NumAgprs: 0
; TotalNumVgprs: 0
; ScratchSize: 0
; MemoryBound: 0
; FloatMode: 240
; IeeeMode: 1
; LDSByteSize: 0 bytes/workgroup (compile time only)
; SGPRBlocks: 0
; VGPRBlocks: 0
; NumSGPRsForWavesPerEU: 4
; NumVGPRsForWavesPerEU: 1
; AccumOffset: 4
; Occupancy: 8
; WaveLimiterHint : 0
; COMPUTE_PGM_RSRC2:SCRATCH_EN: 0
; COMPUTE_PGM_RSRC2:USER_SGPR: 6
; COMPUTE_PGM_RSRC2:TRAP_HANDLER: 0
; COMPUTE_PGM_RSRC2:TGID_X_EN: 1
; COMPUTE_PGM_RSRC2:TGID_Y_EN: 0
; COMPUTE_PGM_RSRC2:TGID_Z_EN: 0
; COMPUTE_PGM_RSRC2:TIDIG_COMP_CNT: 0
; COMPUTE_PGM_RSRC3_GFX90A:ACCUM_OFFSET: 0
; COMPUTE_PGM_RSRC3_GFX90A:TG_SPLIT: 0
	.section	.text._ZN7rocprim17ROCPRIM_400000_NS6detail17trampoline_kernelINS0_14default_configENS1_20scan_config_selectorIiEEZZNS1_9scan_implILNS1_25lookback_scan_determinismE0ELb1ELb1ES3_N6thrust23THRUST_200600_302600_NS6detail15normal_iteratorINS9_10device_ptrIiEEEENS9_16discard_iteratorINS9_11use_defaultEEEiNS9_4plusIvEEiEEDaPvRmT3_T4_T5_mT6_P12ihipStream_tbENKUlT_T0_E_clISt17integral_constantIbLb1EESW_IbLb0EEEEDaSS_ST_EUlSS_E0_NS1_11comp_targetILNS1_3genE4ELNS1_11target_archE910ELNS1_3gpuE8ELNS1_3repE0EEENS1_30default_config_static_selectorELNS0_4arch9wavefront6targetE1EEEvT1_,"axG",@progbits,_ZN7rocprim17ROCPRIM_400000_NS6detail17trampoline_kernelINS0_14default_configENS1_20scan_config_selectorIiEEZZNS1_9scan_implILNS1_25lookback_scan_determinismE0ELb1ELb1ES3_N6thrust23THRUST_200600_302600_NS6detail15normal_iteratorINS9_10device_ptrIiEEEENS9_16discard_iteratorINS9_11use_defaultEEEiNS9_4plusIvEEiEEDaPvRmT3_T4_T5_mT6_P12ihipStream_tbENKUlT_T0_E_clISt17integral_constantIbLb1EESW_IbLb0EEEEDaSS_ST_EUlSS_E0_NS1_11comp_targetILNS1_3genE4ELNS1_11target_archE910ELNS1_3gpuE8ELNS1_3repE0EEENS1_30default_config_static_selectorELNS0_4arch9wavefront6targetE1EEEvT1_,comdat
	.protected	_ZN7rocprim17ROCPRIM_400000_NS6detail17trampoline_kernelINS0_14default_configENS1_20scan_config_selectorIiEEZZNS1_9scan_implILNS1_25lookback_scan_determinismE0ELb1ELb1ES3_N6thrust23THRUST_200600_302600_NS6detail15normal_iteratorINS9_10device_ptrIiEEEENS9_16discard_iteratorINS9_11use_defaultEEEiNS9_4plusIvEEiEEDaPvRmT3_T4_T5_mT6_P12ihipStream_tbENKUlT_T0_E_clISt17integral_constantIbLb1EESW_IbLb0EEEEDaSS_ST_EUlSS_E0_NS1_11comp_targetILNS1_3genE4ELNS1_11target_archE910ELNS1_3gpuE8ELNS1_3repE0EEENS1_30default_config_static_selectorELNS0_4arch9wavefront6targetE1EEEvT1_ ; -- Begin function _ZN7rocprim17ROCPRIM_400000_NS6detail17trampoline_kernelINS0_14default_configENS1_20scan_config_selectorIiEEZZNS1_9scan_implILNS1_25lookback_scan_determinismE0ELb1ELb1ES3_N6thrust23THRUST_200600_302600_NS6detail15normal_iteratorINS9_10device_ptrIiEEEENS9_16discard_iteratorINS9_11use_defaultEEEiNS9_4plusIvEEiEEDaPvRmT3_T4_T5_mT6_P12ihipStream_tbENKUlT_T0_E_clISt17integral_constantIbLb1EESW_IbLb0EEEEDaSS_ST_EUlSS_E0_NS1_11comp_targetILNS1_3genE4ELNS1_11target_archE910ELNS1_3gpuE8ELNS1_3repE0EEENS1_30default_config_static_selectorELNS0_4arch9wavefront6targetE1EEEvT1_
	.globl	_ZN7rocprim17ROCPRIM_400000_NS6detail17trampoline_kernelINS0_14default_configENS1_20scan_config_selectorIiEEZZNS1_9scan_implILNS1_25lookback_scan_determinismE0ELb1ELb1ES3_N6thrust23THRUST_200600_302600_NS6detail15normal_iteratorINS9_10device_ptrIiEEEENS9_16discard_iteratorINS9_11use_defaultEEEiNS9_4plusIvEEiEEDaPvRmT3_T4_T5_mT6_P12ihipStream_tbENKUlT_T0_E_clISt17integral_constantIbLb1EESW_IbLb0EEEEDaSS_ST_EUlSS_E0_NS1_11comp_targetILNS1_3genE4ELNS1_11target_archE910ELNS1_3gpuE8ELNS1_3repE0EEENS1_30default_config_static_selectorELNS0_4arch9wavefront6targetE1EEEvT1_
	.p2align	8
	.type	_ZN7rocprim17ROCPRIM_400000_NS6detail17trampoline_kernelINS0_14default_configENS1_20scan_config_selectorIiEEZZNS1_9scan_implILNS1_25lookback_scan_determinismE0ELb1ELb1ES3_N6thrust23THRUST_200600_302600_NS6detail15normal_iteratorINS9_10device_ptrIiEEEENS9_16discard_iteratorINS9_11use_defaultEEEiNS9_4plusIvEEiEEDaPvRmT3_T4_T5_mT6_P12ihipStream_tbENKUlT_T0_E_clISt17integral_constantIbLb1EESW_IbLb0EEEEDaSS_ST_EUlSS_E0_NS1_11comp_targetILNS1_3genE4ELNS1_11target_archE910ELNS1_3gpuE8ELNS1_3repE0EEENS1_30default_config_static_selectorELNS0_4arch9wavefront6targetE1EEEvT1_,@function
_ZN7rocprim17ROCPRIM_400000_NS6detail17trampoline_kernelINS0_14default_configENS1_20scan_config_selectorIiEEZZNS1_9scan_implILNS1_25lookback_scan_determinismE0ELb1ELb1ES3_N6thrust23THRUST_200600_302600_NS6detail15normal_iteratorINS9_10device_ptrIiEEEENS9_16discard_iteratorINS9_11use_defaultEEEiNS9_4plusIvEEiEEDaPvRmT3_T4_T5_mT6_P12ihipStream_tbENKUlT_T0_E_clISt17integral_constantIbLb1EESW_IbLb0EEEEDaSS_ST_EUlSS_E0_NS1_11comp_targetILNS1_3genE4ELNS1_11target_archE910ELNS1_3gpuE8ELNS1_3repE0EEENS1_30default_config_static_selectorELNS0_4arch9wavefront6targetE1EEEvT1_: ; @_ZN7rocprim17ROCPRIM_400000_NS6detail17trampoline_kernelINS0_14default_configENS1_20scan_config_selectorIiEEZZNS1_9scan_implILNS1_25lookback_scan_determinismE0ELb1ELb1ES3_N6thrust23THRUST_200600_302600_NS6detail15normal_iteratorINS9_10device_ptrIiEEEENS9_16discard_iteratorINS9_11use_defaultEEEiNS9_4plusIvEEiEEDaPvRmT3_T4_T5_mT6_P12ihipStream_tbENKUlT_T0_E_clISt17integral_constantIbLb1EESW_IbLb0EEEEDaSS_ST_EUlSS_E0_NS1_11comp_targetILNS1_3genE4ELNS1_11target_archE910ELNS1_3gpuE8ELNS1_3repE0EEENS1_30default_config_static_selectorELNS0_4arch9wavefront6targetE1EEEvT1_
; %bb.0:
	s_load_dwordx4 s[0:3], s[4:5], 0x0
	v_lshlrev_b32_e32 v1, 2, v0
	s_waitcnt lgkmcnt(0)
	s_load_dword s3, s[0:1], 0x0
	v_cmp_gt_u32_e32 vcc, s2, v0
	s_waitcnt lgkmcnt(0)
	v_mov_b32_e32 v2, s3
	s_and_saveexec_b64 s[6:7], vcc
	s_cbranch_execz .LBB5845_2
; %bb.1:
	global_load_dword v2, v1, s[0:1]
.LBB5845_2:
	s_or_b64 exec, exec, s[6:7]
	v_or_b32_e32 v3, 0x80, v0
	v_cmp_gt_u32_e32 vcc, s2, v3
	v_mov_b32_e32 v3, s3
	s_and_saveexec_b64 s[6:7], vcc
	s_cbranch_execz .LBB5845_4
; %bb.3:
	global_load_dword v3, v1, s[0:1] offset:512
.LBB5845_4:
	s_or_b64 exec, exec, s[6:7]
	v_or_b32_e32 v4, 0x100, v0
	v_cmp_gt_u32_e32 vcc, s2, v4
	v_mov_b32_e32 v4, s3
	s_and_saveexec_b64 s[6:7], vcc
	s_cbranch_execz .LBB5845_6
; %bb.5:
	global_load_dword v4, v1, s[0:1] offset:1024
.LBB5845_6:
	;; [unrolled: 9-line block ×7, first 2 shown]
	s_or_b64 exec, exec, s[6:7]
	v_or_b32_e32 v11, 0x400, v0
	v_cmp_gt_u32_e32 vcc, s2, v11
	v_mov_b32_e32 v10, s3
	s_and_saveexec_b64 s[6:7], vcc
	s_cbranch_execz .LBB5845_18
; %bb.17:
	v_lshlrev_b32_e32 v10, 2, v11
	global_load_dword v10, v10, s[0:1]
.LBB5845_18:
	s_or_b64 exec, exec, s[6:7]
	s_load_dword s4, s[4:5], 0x10
	v_or_b32_e32 v12, 0x480, v0
	v_cmp_gt_u32_e32 vcc, s2, v12
	v_mov_b32_e32 v11, s3
	s_and_saveexec_b64 s[2:3], vcc
	s_cbranch_execz .LBB5845_20
; %bb.19:
	v_lshlrev_b32_e32 v11, 2, v12
	global_load_dword v11, v11, s[0:1]
.LBB5845_20:
	s_or_b64 exec, exec, s[2:3]
	s_waitcnt vmcnt(0)
	ds_write2st64_b32 v1, v2, v3 offset1:2
	ds_write2st64_b32 v1, v4, v5 offset0:4 offset1:6
	ds_write2st64_b32 v1, v6, v7 offset0:8 offset1:10
	;; [unrolled: 1-line block ×4, first 2 shown]
	v_mad_u32_u24 v10, v0, 36, v1
	s_waitcnt lgkmcnt(0)
	s_barrier
	ds_read2_b64 v[6:9], v10 offset1:1
	ds_read2_b64 v[2:5], v10 offset0:2 offset1:3
	ds_read_b64 v[10:11], v10 offset:32
	v_cmp_gt_u32_e32 vcc, 64, v0
	s_waitcnt lgkmcnt(0)
	v_add_u32_e32 v12, v7, v6
	v_add3_u32 v12, v12, v8, v9
	v_add3_u32 v12, v12, v2, v3
	;; [unrolled: 1-line block ×4, first 2 shown]
	v_lshrrev_b32_e32 v12, 3, v0
	v_and_b32_e32 v12, 12, v12
	v_add_u32_e32 v12, v1, v12
	s_barrier
	ds_write_b32 v12, v11
	s_waitcnt lgkmcnt(0)
	s_barrier
	s_and_saveexec_b64 s[0:1], vcc
	s_cbranch_execz .LBB5845_22
; %bb.21:
	v_lshlrev_b32_e32 v12, 1, v0
	v_lshrrev_b32_e32 v13, 4, v0
	v_add_lshl_u32 v14, v13, v12, 2
	ds_read2_b32 v[12:13], v14 offset1:1
	v_mbcnt_lo_u32_b32 v15, -1, 0
	v_mbcnt_hi_u32_b32 v15, -1, v15
	v_and_b32_e32 v16, 15, v15
	v_cmp_ne_u32_e32 vcc, 0, v16
	s_waitcnt lgkmcnt(0)
	v_add_u32_e32 v13, v13, v12
	; wave barrier
	s_nop 1
	v_mov_b32_dpp v17, v13 row_shr:1 row_mask:0xf bank_mask:0xf
	v_cndmask_b32_e32 v17, 0, v17, vcc
	v_add_u32_e32 v13, v17, v13
	v_cmp_lt_u32_e32 vcc, 1, v16
	s_nop 0
	v_mov_b32_dpp v17, v13 row_shr:2 row_mask:0xf bank_mask:0xf
	v_cndmask_b32_e32 v17, 0, v17, vcc
	v_add_u32_e32 v13, v13, v17
	v_cmp_lt_u32_e32 vcc, 3, v16
	;; [unrolled: 5-line block ×3, first 2 shown]
	s_nop 0
	v_mov_b32_dpp v17, v13 row_shr:8 row_mask:0xf bank_mask:0xf
	v_cndmask_b32_e32 v16, 0, v17, vcc
	v_add_u32_e32 v13, v13, v16
	v_bfe_i32 v17, v15, 4, 1
	v_cmp_lt_u32_e32 vcc, 31, v15
	v_mov_b32_dpp v16, v13 row_bcast:15 row_mask:0xf bank_mask:0xf
	v_and_b32_e32 v16, v17, v16
	v_add_u32_e32 v13, v13, v16
	v_and_b32_e32 v17, 64, v15
	s_nop 0
	v_mov_b32_dpp v16, v13 row_bcast:31 row_mask:0xf bank_mask:0xf
	v_cndmask_b32_e32 v16, 0, v16, vcc
	v_add_u32_e32 v13, v13, v16
	v_add_u32_e32 v16, -1, v15
	v_cmp_lt_i32_e32 vcc, v16, v17
	v_cndmask_b32_e32 v15, v16, v15, vcc
	v_lshlrev_b32_e32 v15, 2, v15
	ds_bpermute_b32 v13, v15, v13
	v_cmp_eq_u32_e32 vcc, 0, v0
	s_waitcnt lgkmcnt(0)
	v_add_u32_e32 v12, v13, v12
	v_cndmask_b32_e32 v11, v12, v11, vcc
	ds_write_b32 v14, v11
	; wave barrier
	ds_read_b32 v12, v14 offset:4
	s_waitcnt lgkmcnt(0)
	v_add_u32_e32 v11, v12, v11
	ds_write_b32 v14, v11 offset:4
.LBB5845_22:
	s_or_b64 exec, exec, s[0:1]
	v_mul_u32_u24_e32 v11, 36, v0
	v_cmp_ne_u32_e32 vcc, 0, v0
	v_mov_b32_e32 v12, s4
	s_waitcnt lgkmcnt(0)
	s_barrier
	s_and_saveexec_b64 s[0:1], vcc
	s_cbranch_execz .LBB5845_24
; %bb.23:
	v_add_u32_e32 v0, -1, v0
	v_lshrrev_b32_e32 v12, 5, v0
	v_add_lshl_u32 v0, v12, v0, 2
	ds_read_b32 v0, v0
	s_waitcnt lgkmcnt(0)
	v_add_u32_e32 v12, s4, v0
.LBB5845_24:
	s_or_b64 exec, exec, s[0:1]
	v_add_u32_e32 v13, v12, v6
	v_add_u32_e32 v6, v13, v7
	;; [unrolled: 1-line block ×10, first 2 shown]
	s_barrier
	ds_write2_b64 v0, v[12:13], v[6:7] offset1:1
	ds_write2_b64 v0, v[8:9], v[2:3] offset0:2 offset1:3
	ds_write_b64 v0, v[4:5] offset:32
	s_waitcnt lgkmcnt(0)
	s_barrier
	s_endpgm
	.section	.rodata,"a",@progbits
	.p2align	6, 0x0
	.amdhsa_kernel _ZN7rocprim17ROCPRIM_400000_NS6detail17trampoline_kernelINS0_14default_configENS1_20scan_config_selectorIiEEZZNS1_9scan_implILNS1_25lookback_scan_determinismE0ELb1ELb1ES3_N6thrust23THRUST_200600_302600_NS6detail15normal_iteratorINS9_10device_ptrIiEEEENS9_16discard_iteratorINS9_11use_defaultEEEiNS9_4plusIvEEiEEDaPvRmT3_T4_T5_mT6_P12ihipStream_tbENKUlT_T0_E_clISt17integral_constantIbLb1EESW_IbLb0EEEEDaSS_ST_EUlSS_E0_NS1_11comp_targetILNS1_3genE4ELNS1_11target_archE910ELNS1_3gpuE8ELNS1_3repE0EEENS1_30default_config_static_selectorELNS0_4arch9wavefront6targetE1EEEvT1_
		.amdhsa_group_segment_fixed_size 5120
		.amdhsa_private_segment_fixed_size 0
		.amdhsa_kernarg_size 40
		.amdhsa_user_sgpr_count 6
		.amdhsa_user_sgpr_private_segment_buffer 1
		.amdhsa_user_sgpr_dispatch_ptr 0
		.amdhsa_user_sgpr_queue_ptr 0
		.amdhsa_user_sgpr_kernarg_segment_ptr 1
		.amdhsa_user_sgpr_dispatch_id 0
		.amdhsa_user_sgpr_flat_scratch_init 0
		.amdhsa_user_sgpr_kernarg_preload_length 0
		.amdhsa_user_sgpr_kernarg_preload_offset 0
		.amdhsa_user_sgpr_private_segment_size 0
		.amdhsa_uses_dynamic_stack 0
		.amdhsa_system_sgpr_private_segment_wavefront_offset 0
		.amdhsa_system_sgpr_workgroup_id_x 1
		.amdhsa_system_sgpr_workgroup_id_y 0
		.amdhsa_system_sgpr_workgroup_id_z 0
		.amdhsa_system_sgpr_workgroup_info 0
		.amdhsa_system_vgpr_workitem_id 0
		.amdhsa_next_free_vgpr 18
		.amdhsa_next_free_sgpr 8
		.amdhsa_accum_offset 20
		.amdhsa_reserve_vcc 1
		.amdhsa_reserve_flat_scratch 0
		.amdhsa_float_round_mode_32 0
		.amdhsa_float_round_mode_16_64 0
		.amdhsa_float_denorm_mode_32 3
		.amdhsa_float_denorm_mode_16_64 3
		.amdhsa_dx10_clamp 1
		.amdhsa_ieee_mode 1
		.amdhsa_fp16_overflow 0
		.amdhsa_tg_split 0
		.amdhsa_exception_fp_ieee_invalid_op 0
		.amdhsa_exception_fp_denorm_src 0
		.amdhsa_exception_fp_ieee_div_zero 0
		.amdhsa_exception_fp_ieee_overflow 0
		.amdhsa_exception_fp_ieee_underflow 0
		.amdhsa_exception_fp_ieee_inexact 0
		.amdhsa_exception_int_div_zero 0
	.end_amdhsa_kernel
	.section	.text._ZN7rocprim17ROCPRIM_400000_NS6detail17trampoline_kernelINS0_14default_configENS1_20scan_config_selectorIiEEZZNS1_9scan_implILNS1_25lookback_scan_determinismE0ELb1ELb1ES3_N6thrust23THRUST_200600_302600_NS6detail15normal_iteratorINS9_10device_ptrIiEEEENS9_16discard_iteratorINS9_11use_defaultEEEiNS9_4plusIvEEiEEDaPvRmT3_T4_T5_mT6_P12ihipStream_tbENKUlT_T0_E_clISt17integral_constantIbLb1EESW_IbLb0EEEEDaSS_ST_EUlSS_E0_NS1_11comp_targetILNS1_3genE4ELNS1_11target_archE910ELNS1_3gpuE8ELNS1_3repE0EEENS1_30default_config_static_selectorELNS0_4arch9wavefront6targetE1EEEvT1_,"axG",@progbits,_ZN7rocprim17ROCPRIM_400000_NS6detail17trampoline_kernelINS0_14default_configENS1_20scan_config_selectorIiEEZZNS1_9scan_implILNS1_25lookback_scan_determinismE0ELb1ELb1ES3_N6thrust23THRUST_200600_302600_NS6detail15normal_iteratorINS9_10device_ptrIiEEEENS9_16discard_iteratorINS9_11use_defaultEEEiNS9_4plusIvEEiEEDaPvRmT3_T4_T5_mT6_P12ihipStream_tbENKUlT_T0_E_clISt17integral_constantIbLb1EESW_IbLb0EEEEDaSS_ST_EUlSS_E0_NS1_11comp_targetILNS1_3genE4ELNS1_11target_archE910ELNS1_3gpuE8ELNS1_3repE0EEENS1_30default_config_static_selectorELNS0_4arch9wavefront6targetE1EEEvT1_,comdat
.Lfunc_end5845:
	.size	_ZN7rocprim17ROCPRIM_400000_NS6detail17trampoline_kernelINS0_14default_configENS1_20scan_config_selectorIiEEZZNS1_9scan_implILNS1_25lookback_scan_determinismE0ELb1ELb1ES3_N6thrust23THRUST_200600_302600_NS6detail15normal_iteratorINS9_10device_ptrIiEEEENS9_16discard_iteratorINS9_11use_defaultEEEiNS9_4plusIvEEiEEDaPvRmT3_T4_T5_mT6_P12ihipStream_tbENKUlT_T0_E_clISt17integral_constantIbLb1EESW_IbLb0EEEEDaSS_ST_EUlSS_E0_NS1_11comp_targetILNS1_3genE4ELNS1_11target_archE910ELNS1_3gpuE8ELNS1_3repE0EEENS1_30default_config_static_selectorELNS0_4arch9wavefront6targetE1EEEvT1_, .Lfunc_end5845-_ZN7rocprim17ROCPRIM_400000_NS6detail17trampoline_kernelINS0_14default_configENS1_20scan_config_selectorIiEEZZNS1_9scan_implILNS1_25lookback_scan_determinismE0ELb1ELb1ES3_N6thrust23THRUST_200600_302600_NS6detail15normal_iteratorINS9_10device_ptrIiEEEENS9_16discard_iteratorINS9_11use_defaultEEEiNS9_4plusIvEEiEEDaPvRmT3_T4_T5_mT6_P12ihipStream_tbENKUlT_T0_E_clISt17integral_constantIbLb1EESW_IbLb0EEEEDaSS_ST_EUlSS_E0_NS1_11comp_targetILNS1_3genE4ELNS1_11target_archE910ELNS1_3gpuE8ELNS1_3repE0EEENS1_30default_config_static_selectorELNS0_4arch9wavefront6targetE1EEEvT1_
                                        ; -- End function
	.section	.AMDGPU.csdata,"",@progbits
; Kernel info:
; codeLenInByte = 984
; NumSgprs: 12
; NumVgprs: 18
; NumAgprs: 0
; TotalNumVgprs: 18
; ScratchSize: 0
; MemoryBound: 0
; FloatMode: 240
; IeeeMode: 1
; LDSByteSize: 5120 bytes/workgroup (compile time only)
; SGPRBlocks: 1
; VGPRBlocks: 2
; NumSGPRsForWavesPerEU: 12
; NumVGPRsForWavesPerEU: 18
; AccumOffset: 20
; Occupancy: 6
; WaveLimiterHint : 0
; COMPUTE_PGM_RSRC2:SCRATCH_EN: 0
; COMPUTE_PGM_RSRC2:USER_SGPR: 6
; COMPUTE_PGM_RSRC2:TRAP_HANDLER: 0
; COMPUTE_PGM_RSRC2:TGID_X_EN: 1
; COMPUTE_PGM_RSRC2:TGID_Y_EN: 0
; COMPUTE_PGM_RSRC2:TGID_Z_EN: 0
; COMPUTE_PGM_RSRC2:TIDIG_COMP_CNT: 0
; COMPUTE_PGM_RSRC3_GFX90A:ACCUM_OFFSET: 4
; COMPUTE_PGM_RSRC3_GFX90A:TG_SPLIT: 0
	.section	.text._ZN7rocprim17ROCPRIM_400000_NS6detail17trampoline_kernelINS0_14default_configENS1_20scan_config_selectorIiEEZZNS1_9scan_implILNS1_25lookback_scan_determinismE0ELb1ELb1ES3_N6thrust23THRUST_200600_302600_NS6detail15normal_iteratorINS9_10device_ptrIiEEEENS9_16discard_iteratorINS9_11use_defaultEEEiNS9_4plusIvEEiEEDaPvRmT3_T4_T5_mT6_P12ihipStream_tbENKUlT_T0_E_clISt17integral_constantIbLb1EESW_IbLb0EEEEDaSS_ST_EUlSS_E0_NS1_11comp_targetILNS1_3genE3ELNS1_11target_archE908ELNS1_3gpuE7ELNS1_3repE0EEENS1_30default_config_static_selectorELNS0_4arch9wavefront6targetE1EEEvT1_,"axG",@progbits,_ZN7rocprim17ROCPRIM_400000_NS6detail17trampoline_kernelINS0_14default_configENS1_20scan_config_selectorIiEEZZNS1_9scan_implILNS1_25lookback_scan_determinismE0ELb1ELb1ES3_N6thrust23THRUST_200600_302600_NS6detail15normal_iteratorINS9_10device_ptrIiEEEENS9_16discard_iteratorINS9_11use_defaultEEEiNS9_4plusIvEEiEEDaPvRmT3_T4_T5_mT6_P12ihipStream_tbENKUlT_T0_E_clISt17integral_constantIbLb1EESW_IbLb0EEEEDaSS_ST_EUlSS_E0_NS1_11comp_targetILNS1_3genE3ELNS1_11target_archE908ELNS1_3gpuE7ELNS1_3repE0EEENS1_30default_config_static_selectorELNS0_4arch9wavefront6targetE1EEEvT1_,comdat
	.protected	_ZN7rocprim17ROCPRIM_400000_NS6detail17trampoline_kernelINS0_14default_configENS1_20scan_config_selectorIiEEZZNS1_9scan_implILNS1_25lookback_scan_determinismE0ELb1ELb1ES3_N6thrust23THRUST_200600_302600_NS6detail15normal_iteratorINS9_10device_ptrIiEEEENS9_16discard_iteratorINS9_11use_defaultEEEiNS9_4plusIvEEiEEDaPvRmT3_T4_T5_mT6_P12ihipStream_tbENKUlT_T0_E_clISt17integral_constantIbLb1EESW_IbLb0EEEEDaSS_ST_EUlSS_E0_NS1_11comp_targetILNS1_3genE3ELNS1_11target_archE908ELNS1_3gpuE7ELNS1_3repE0EEENS1_30default_config_static_selectorELNS0_4arch9wavefront6targetE1EEEvT1_ ; -- Begin function _ZN7rocprim17ROCPRIM_400000_NS6detail17trampoline_kernelINS0_14default_configENS1_20scan_config_selectorIiEEZZNS1_9scan_implILNS1_25lookback_scan_determinismE0ELb1ELb1ES3_N6thrust23THRUST_200600_302600_NS6detail15normal_iteratorINS9_10device_ptrIiEEEENS9_16discard_iteratorINS9_11use_defaultEEEiNS9_4plusIvEEiEEDaPvRmT3_T4_T5_mT6_P12ihipStream_tbENKUlT_T0_E_clISt17integral_constantIbLb1EESW_IbLb0EEEEDaSS_ST_EUlSS_E0_NS1_11comp_targetILNS1_3genE3ELNS1_11target_archE908ELNS1_3gpuE7ELNS1_3repE0EEENS1_30default_config_static_selectorELNS0_4arch9wavefront6targetE1EEEvT1_
	.globl	_ZN7rocprim17ROCPRIM_400000_NS6detail17trampoline_kernelINS0_14default_configENS1_20scan_config_selectorIiEEZZNS1_9scan_implILNS1_25lookback_scan_determinismE0ELb1ELb1ES3_N6thrust23THRUST_200600_302600_NS6detail15normal_iteratorINS9_10device_ptrIiEEEENS9_16discard_iteratorINS9_11use_defaultEEEiNS9_4plusIvEEiEEDaPvRmT3_T4_T5_mT6_P12ihipStream_tbENKUlT_T0_E_clISt17integral_constantIbLb1EESW_IbLb0EEEEDaSS_ST_EUlSS_E0_NS1_11comp_targetILNS1_3genE3ELNS1_11target_archE908ELNS1_3gpuE7ELNS1_3repE0EEENS1_30default_config_static_selectorELNS0_4arch9wavefront6targetE1EEEvT1_
	.p2align	8
	.type	_ZN7rocprim17ROCPRIM_400000_NS6detail17trampoline_kernelINS0_14default_configENS1_20scan_config_selectorIiEEZZNS1_9scan_implILNS1_25lookback_scan_determinismE0ELb1ELb1ES3_N6thrust23THRUST_200600_302600_NS6detail15normal_iteratorINS9_10device_ptrIiEEEENS9_16discard_iteratorINS9_11use_defaultEEEiNS9_4plusIvEEiEEDaPvRmT3_T4_T5_mT6_P12ihipStream_tbENKUlT_T0_E_clISt17integral_constantIbLb1EESW_IbLb0EEEEDaSS_ST_EUlSS_E0_NS1_11comp_targetILNS1_3genE3ELNS1_11target_archE908ELNS1_3gpuE7ELNS1_3repE0EEENS1_30default_config_static_selectorELNS0_4arch9wavefront6targetE1EEEvT1_,@function
_ZN7rocprim17ROCPRIM_400000_NS6detail17trampoline_kernelINS0_14default_configENS1_20scan_config_selectorIiEEZZNS1_9scan_implILNS1_25lookback_scan_determinismE0ELb1ELb1ES3_N6thrust23THRUST_200600_302600_NS6detail15normal_iteratorINS9_10device_ptrIiEEEENS9_16discard_iteratorINS9_11use_defaultEEEiNS9_4plusIvEEiEEDaPvRmT3_T4_T5_mT6_P12ihipStream_tbENKUlT_T0_E_clISt17integral_constantIbLb1EESW_IbLb0EEEEDaSS_ST_EUlSS_E0_NS1_11comp_targetILNS1_3genE3ELNS1_11target_archE908ELNS1_3gpuE7ELNS1_3repE0EEENS1_30default_config_static_selectorELNS0_4arch9wavefront6targetE1EEEvT1_: ; @_ZN7rocprim17ROCPRIM_400000_NS6detail17trampoline_kernelINS0_14default_configENS1_20scan_config_selectorIiEEZZNS1_9scan_implILNS1_25lookback_scan_determinismE0ELb1ELb1ES3_N6thrust23THRUST_200600_302600_NS6detail15normal_iteratorINS9_10device_ptrIiEEEENS9_16discard_iteratorINS9_11use_defaultEEEiNS9_4plusIvEEiEEDaPvRmT3_T4_T5_mT6_P12ihipStream_tbENKUlT_T0_E_clISt17integral_constantIbLb1EESW_IbLb0EEEEDaSS_ST_EUlSS_E0_NS1_11comp_targetILNS1_3genE3ELNS1_11target_archE908ELNS1_3gpuE7ELNS1_3repE0EEENS1_30default_config_static_selectorELNS0_4arch9wavefront6targetE1EEEvT1_
; %bb.0:
	.section	.rodata,"a",@progbits
	.p2align	6, 0x0
	.amdhsa_kernel _ZN7rocprim17ROCPRIM_400000_NS6detail17trampoline_kernelINS0_14default_configENS1_20scan_config_selectorIiEEZZNS1_9scan_implILNS1_25lookback_scan_determinismE0ELb1ELb1ES3_N6thrust23THRUST_200600_302600_NS6detail15normal_iteratorINS9_10device_ptrIiEEEENS9_16discard_iteratorINS9_11use_defaultEEEiNS9_4plusIvEEiEEDaPvRmT3_T4_T5_mT6_P12ihipStream_tbENKUlT_T0_E_clISt17integral_constantIbLb1EESW_IbLb0EEEEDaSS_ST_EUlSS_E0_NS1_11comp_targetILNS1_3genE3ELNS1_11target_archE908ELNS1_3gpuE7ELNS1_3repE0EEENS1_30default_config_static_selectorELNS0_4arch9wavefront6targetE1EEEvT1_
		.amdhsa_group_segment_fixed_size 0
		.amdhsa_private_segment_fixed_size 0
		.amdhsa_kernarg_size 40
		.amdhsa_user_sgpr_count 6
		.amdhsa_user_sgpr_private_segment_buffer 1
		.amdhsa_user_sgpr_dispatch_ptr 0
		.amdhsa_user_sgpr_queue_ptr 0
		.amdhsa_user_sgpr_kernarg_segment_ptr 1
		.amdhsa_user_sgpr_dispatch_id 0
		.amdhsa_user_sgpr_flat_scratch_init 0
		.amdhsa_user_sgpr_kernarg_preload_length 0
		.amdhsa_user_sgpr_kernarg_preload_offset 0
		.amdhsa_user_sgpr_private_segment_size 0
		.amdhsa_uses_dynamic_stack 0
		.amdhsa_system_sgpr_private_segment_wavefront_offset 0
		.amdhsa_system_sgpr_workgroup_id_x 1
		.amdhsa_system_sgpr_workgroup_id_y 0
		.amdhsa_system_sgpr_workgroup_id_z 0
		.amdhsa_system_sgpr_workgroup_info 0
		.amdhsa_system_vgpr_workitem_id 0
		.amdhsa_next_free_vgpr 1
		.amdhsa_next_free_sgpr 0
		.amdhsa_accum_offset 4
		.amdhsa_reserve_vcc 0
		.amdhsa_reserve_flat_scratch 0
		.amdhsa_float_round_mode_32 0
		.amdhsa_float_round_mode_16_64 0
		.amdhsa_float_denorm_mode_32 3
		.amdhsa_float_denorm_mode_16_64 3
		.amdhsa_dx10_clamp 1
		.amdhsa_ieee_mode 1
		.amdhsa_fp16_overflow 0
		.amdhsa_tg_split 0
		.amdhsa_exception_fp_ieee_invalid_op 0
		.amdhsa_exception_fp_denorm_src 0
		.amdhsa_exception_fp_ieee_div_zero 0
		.amdhsa_exception_fp_ieee_overflow 0
		.amdhsa_exception_fp_ieee_underflow 0
		.amdhsa_exception_fp_ieee_inexact 0
		.amdhsa_exception_int_div_zero 0
	.end_amdhsa_kernel
	.section	.text._ZN7rocprim17ROCPRIM_400000_NS6detail17trampoline_kernelINS0_14default_configENS1_20scan_config_selectorIiEEZZNS1_9scan_implILNS1_25lookback_scan_determinismE0ELb1ELb1ES3_N6thrust23THRUST_200600_302600_NS6detail15normal_iteratorINS9_10device_ptrIiEEEENS9_16discard_iteratorINS9_11use_defaultEEEiNS9_4plusIvEEiEEDaPvRmT3_T4_T5_mT6_P12ihipStream_tbENKUlT_T0_E_clISt17integral_constantIbLb1EESW_IbLb0EEEEDaSS_ST_EUlSS_E0_NS1_11comp_targetILNS1_3genE3ELNS1_11target_archE908ELNS1_3gpuE7ELNS1_3repE0EEENS1_30default_config_static_selectorELNS0_4arch9wavefront6targetE1EEEvT1_,"axG",@progbits,_ZN7rocprim17ROCPRIM_400000_NS6detail17trampoline_kernelINS0_14default_configENS1_20scan_config_selectorIiEEZZNS1_9scan_implILNS1_25lookback_scan_determinismE0ELb1ELb1ES3_N6thrust23THRUST_200600_302600_NS6detail15normal_iteratorINS9_10device_ptrIiEEEENS9_16discard_iteratorINS9_11use_defaultEEEiNS9_4plusIvEEiEEDaPvRmT3_T4_T5_mT6_P12ihipStream_tbENKUlT_T0_E_clISt17integral_constantIbLb1EESW_IbLb0EEEEDaSS_ST_EUlSS_E0_NS1_11comp_targetILNS1_3genE3ELNS1_11target_archE908ELNS1_3gpuE7ELNS1_3repE0EEENS1_30default_config_static_selectorELNS0_4arch9wavefront6targetE1EEEvT1_,comdat
.Lfunc_end5846:
	.size	_ZN7rocprim17ROCPRIM_400000_NS6detail17trampoline_kernelINS0_14default_configENS1_20scan_config_selectorIiEEZZNS1_9scan_implILNS1_25lookback_scan_determinismE0ELb1ELb1ES3_N6thrust23THRUST_200600_302600_NS6detail15normal_iteratorINS9_10device_ptrIiEEEENS9_16discard_iteratorINS9_11use_defaultEEEiNS9_4plusIvEEiEEDaPvRmT3_T4_T5_mT6_P12ihipStream_tbENKUlT_T0_E_clISt17integral_constantIbLb1EESW_IbLb0EEEEDaSS_ST_EUlSS_E0_NS1_11comp_targetILNS1_3genE3ELNS1_11target_archE908ELNS1_3gpuE7ELNS1_3repE0EEENS1_30default_config_static_selectorELNS0_4arch9wavefront6targetE1EEEvT1_, .Lfunc_end5846-_ZN7rocprim17ROCPRIM_400000_NS6detail17trampoline_kernelINS0_14default_configENS1_20scan_config_selectorIiEEZZNS1_9scan_implILNS1_25lookback_scan_determinismE0ELb1ELb1ES3_N6thrust23THRUST_200600_302600_NS6detail15normal_iteratorINS9_10device_ptrIiEEEENS9_16discard_iteratorINS9_11use_defaultEEEiNS9_4plusIvEEiEEDaPvRmT3_T4_T5_mT6_P12ihipStream_tbENKUlT_T0_E_clISt17integral_constantIbLb1EESW_IbLb0EEEEDaSS_ST_EUlSS_E0_NS1_11comp_targetILNS1_3genE3ELNS1_11target_archE908ELNS1_3gpuE7ELNS1_3repE0EEENS1_30default_config_static_selectorELNS0_4arch9wavefront6targetE1EEEvT1_
                                        ; -- End function
	.section	.AMDGPU.csdata,"",@progbits
; Kernel info:
; codeLenInByte = 0
; NumSgprs: 4
; NumVgprs: 0
; NumAgprs: 0
; TotalNumVgprs: 0
; ScratchSize: 0
; MemoryBound: 0
; FloatMode: 240
; IeeeMode: 1
; LDSByteSize: 0 bytes/workgroup (compile time only)
; SGPRBlocks: 0
; VGPRBlocks: 0
; NumSGPRsForWavesPerEU: 4
; NumVGPRsForWavesPerEU: 1
; AccumOffset: 4
; Occupancy: 8
; WaveLimiterHint : 0
; COMPUTE_PGM_RSRC2:SCRATCH_EN: 0
; COMPUTE_PGM_RSRC2:USER_SGPR: 6
; COMPUTE_PGM_RSRC2:TRAP_HANDLER: 0
; COMPUTE_PGM_RSRC2:TGID_X_EN: 1
; COMPUTE_PGM_RSRC2:TGID_Y_EN: 0
; COMPUTE_PGM_RSRC2:TGID_Z_EN: 0
; COMPUTE_PGM_RSRC2:TIDIG_COMP_CNT: 0
; COMPUTE_PGM_RSRC3_GFX90A:ACCUM_OFFSET: 0
; COMPUTE_PGM_RSRC3_GFX90A:TG_SPLIT: 0
	.section	.text._ZN7rocprim17ROCPRIM_400000_NS6detail17trampoline_kernelINS0_14default_configENS1_20scan_config_selectorIiEEZZNS1_9scan_implILNS1_25lookback_scan_determinismE0ELb1ELb1ES3_N6thrust23THRUST_200600_302600_NS6detail15normal_iteratorINS9_10device_ptrIiEEEENS9_16discard_iteratorINS9_11use_defaultEEEiNS9_4plusIvEEiEEDaPvRmT3_T4_T5_mT6_P12ihipStream_tbENKUlT_T0_E_clISt17integral_constantIbLb1EESW_IbLb0EEEEDaSS_ST_EUlSS_E0_NS1_11comp_targetILNS1_3genE2ELNS1_11target_archE906ELNS1_3gpuE6ELNS1_3repE0EEENS1_30default_config_static_selectorELNS0_4arch9wavefront6targetE1EEEvT1_,"axG",@progbits,_ZN7rocprim17ROCPRIM_400000_NS6detail17trampoline_kernelINS0_14default_configENS1_20scan_config_selectorIiEEZZNS1_9scan_implILNS1_25lookback_scan_determinismE0ELb1ELb1ES3_N6thrust23THRUST_200600_302600_NS6detail15normal_iteratorINS9_10device_ptrIiEEEENS9_16discard_iteratorINS9_11use_defaultEEEiNS9_4plusIvEEiEEDaPvRmT3_T4_T5_mT6_P12ihipStream_tbENKUlT_T0_E_clISt17integral_constantIbLb1EESW_IbLb0EEEEDaSS_ST_EUlSS_E0_NS1_11comp_targetILNS1_3genE2ELNS1_11target_archE906ELNS1_3gpuE6ELNS1_3repE0EEENS1_30default_config_static_selectorELNS0_4arch9wavefront6targetE1EEEvT1_,comdat
	.protected	_ZN7rocprim17ROCPRIM_400000_NS6detail17trampoline_kernelINS0_14default_configENS1_20scan_config_selectorIiEEZZNS1_9scan_implILNS1_25lookback_scan_determinismE0ELb1ELb1ES3_N6thrust23THRUST_200600_302600_NS6detail15normal_iteratorINS9_10device_ptrIiEEEENS9_16discard_iteratorINS9_11use_defaultEEEiNS9_4plusIvEEiEEDaPvRmT3_T4_T5_mT6_P12ihipStream_tbENKUlT_T0_E_clISt17integral_constantIbLb1EESW_IbLb0EEEEDaSS_ST_EUlSS_E0_NS1_11comp_targetILNS1_3genE2ELNS1_11target_archE906ELNS1_3gpuE6ELNS1_3repE0EEENS1_30default_config_static_selectorELNS0_4arch9wavefront6targetE1EEEvT1_ ; -- Begin function _ZN7rocprim17ROCPRIM_400000_NS6detail17trampoline_kernelINS0_14default_configENS1_20scan_config_selectorIiEEZZNS1_9scan_implILNS1_25lookback_scan_determinismE0ELb1ELb1ES3_N6thrust23THRUST_200600_302600_NS6detail15normal_iteratorINS9_10device_ptrIiEEEENS9_16discard_iteratorINS9_11use_defaultEEEiNS9_4plusIvEEiEEDaPvRmT3_T4_T5_mT6_P12ihipStream_tbENKUlT_T0_E_clISt17integral_constantIbLb1EESW_IbLb0EEEEDaSS_ST_EUlSS_E0_NS1_11comp_targetILNS1_3genE2ELNS1_11target_archE906ELNS1_3gpuE6ELNS1_3repE0EEENS1_30default_config_static_selectorELNS0_4arch9wavefront6targetE1EEEvT1_
	.globl	_ZN7rocprim17ROCPRIM_400000_NS6detail17trampoline_kernelINS0_14default_configENS1_20scan_config_selectorIiEEZZNS1_9scan_implILNS1_25lookback_scan_determinismE0ELb1ELb1ES3_N6thrust23THRUST_200600_302600_NS6detail15normal_iteratorINS9_10device_ptrIiEEEENS9_16discard_iteratorINS9_11use_defaultEEEiNS9_4plusIvEEiEEDaPvRmT3_T4_T5_mT6_P12ihipStream_tbENKUlT_T0_E_clISt17integral_constantIbLb1EESW_IbLb0EEEEDaSS_ST_EUlSS_E0_NS1_11comp_targetILNS1_3genE2ELNS1_11target_archE906ELNS1_3gpuE6ELNS1_3repE0EEENS1_30default_config_static_selectorELNS0_4arch9wavefront6targetE1EEEvT1_
	.p2align	8
	.type	_ZN7rocprim17ROCPRIM_400000_NS6detail17trampoline_kernelINS0_14default_configENS1_20scan_config_selectorIiEEZZNS1_9scan_implILNS1_25lookback_scan_determinismE0ELb1ELb1ES3_N6thrust23THRUST_200600_302600_NS6detail15normal_iteratorINS9_10device_ptrIiEEEENS9_16discard_iteratorINS9_11use_defaultEEEiNS9_4plusIvEEiEEDaPvRmT3_T4_T5_mT6_P12ihipStream_tbENKUlT_T0_E_clISt17integral_constantIbLb1EESW_IbLb0EEEEDaSS_ST_EUlSS_E0_NS1_11comp_targetILNS1_3genE2ELNS1_11target_archE906ELNS1_3gpuE6ELNS1_3repE0EEENS1_30default_config_static_selectorELNS0_4arch9wavefront6targetE1EEEvT1_,@function
_ZN7rocprim17ROCPRIM_400000_NS6detail17trampoline_kernelINS0_14default_configENS1_20scan_config_selectorIiEEZZNS1_9scan_implILNS1_25lookback_scan_determinismE0ELb1ELb1ES3_N6thrust23THRUST_200600_302600_NS6detail15normal_iteratorINS9_10device_ptrIiEEEENS9_16discard_iteratorINS9_11use_defaultEEEiNS9_4plusIvEEiEEDaPvRmT3_T4_T5_mT6_P12ihipStream_tbENKUlT_T0_E_clISt17integral_constantIbLb1EESW_IbLb0EEEEDaSS_ST_EUlSS_E0_NS1_11comp_targetILNS1_3genE2ELNS1_11target_archE906ELNS1_3gpuE6ELNS1_3repE0EEENS1_30default_config_static_selectorELNS0_4arch9wavefront6targetE1EEEvT1_: ; @_ZN7rocprim17ROCPRIM_400000_NS6detail17trampoline_kernelINS0_14default_configENS1_20scan_config_selectorIiEEZZNS1_9scan_implILNS1_25lookback_scan_determinismE0ELb1ELb1ES3_N6thrust23THRUST_200600_302600_NS6detail15normal_iteratorINS9_10device_ptrIiEEEENS9_16discard_iteratorINS9_11use_defaultEEEiNS9_4plusIvEEiEEDaPvRmT3_T4_T5_mT6_P12ihipStream_tbENKUlT_T0_E_clISt17integral_constantIbLb1EESW_IbLb0EEEEDaSS_ST_EUlSS_E0_NS1_11comp_targetILNS1_3genE2ELNS1_11target_archE906ELNS1_3gpuE6ELNS1_3repE0EEENS1_30default_config_static_selectorELNS0_4arch9wavefront6targetE1EEEvT1_
; %bb.0:
	.section	.rodata,"a",@progbits
	.p2align	6, 0x0
	.amdhsa_kernel _ZN7rocprim17ROCPRIM_400000_NS6detail17trampoline_kernelINS0_14default_configENS1_20scan_config_selectorIiEEZZNS1_9scan_implILNS1_25lookback_scan_determinismE0ELb1ELb1ES3_N6thrust23THRUST_200600_302600_NS6detail15normal_iteratorINS9_10device_ptrIiEEEENS9_16discard_iteratorINS9_11use_defaultEEEiNS9_4plusIvEEiEEDaPvRmT3_T4_T5_mT6_P12ihipStream_tbENKUlT_T0_E_clISt17integral_constantIbLb1EESW_IbLb0EEEEDaSS_ST_EUlSS_E0_NS1_11comp_targetILNS1_3genE2ELNS1_11target_archE906ELNS1_3gpuE6ELNS1_3repE0EEENS1_30default_config_static_selectorELNS0_4arch9wavefront6targetE1EEEvT1_
		.amdhsa_group_segment_fixed_size 0
		.amdhsa_private_segment_fixed_size 0
		.amdhsa_kernarg_size 40
		.amdhsa_user_sgpr_count 6
		.amdhsa_user_sgpr_private_segment_buffer 1
		.amdhsa_user_sgpr_dispatch_ptr 0
		.amdhsa_user_sgpr_queue_ptr 0
		.amdhsa_user_sgpr_kernarg_segment_ptr 1
		.amdhsa_user_sgpr_dispatch_id 0
		.amdhsa_user_sgpr_flat_scratch_init 0
		.amdhsa_user_sgpr_kernarg_preload_length 0
		.amdhsa_user_sgpr_kernarg_preload_offset 0
		.amdhsa_user_sgpr_private_segment_size 0
		.amdhsa_uses_dynamic_stack 0
		.amdhsa_system_sgpr_private_segment_wavefront_offset 0
		.amdhsa_system_sgpr_workgroup_id_x 1
		.amdhsa_system_sgpr_workgroup_id_y 0
		.amdhsa_system_sgpr_workgroup_id_z 0
		.amdhsa_system_sgpr_workgroup_info 0
		.amdhsa_system_vgpr_workitem_id 0
		.amdhsa_next_free_vgpr 1
		.amdhsa_next_free_sgpr 0
		.amdhsa_accum_offset 4
		.amdhsa_reserve_vcc 0
		.amdhsa_reserve_flat_scratch 0
		.amdhsa_float_round_mode_32 0
		.amdhsa_float_round_mode_16_64 0
		.amdhsa_float_denorm_mode_32 3
		.amdhsa_float_denorm_mode_16_64 3
		.amdhsa_dx10_clamp 1
		.amdhsa_ieee_mode 1
		.amdhsa_fp16_overflow 0
		.amdhsa_tg_split 0
		.amdhsa_exception_fp_ieee_invalid_op 0
		.amdhsa_exception_fp_denorm_src 0
		.amdhsa_exception_fp_ieee_div_zero 0
		.amdhsa_exception_fp_ieee_overflow 0
		.amdhsa_exception_fp_ieee_underflow 0
		.amdhsa_exception_fp_ieee_inexact 0
		.amdhsa_exception_int_div_zero 0
	.end_amdhsa_kernel
	.section	.text._ZN7rocprim17ROCPRIM_400000_NS6detail17trampoline_kernelINS0_14default_configENS1_20scan_config_selectorIiEEZZNS1_9scan_implILNS1_25lookback_scan_determinismE0ELb1ELb1ES3_N6thrust23THRUST_200600_302600_NS6detail15normal_iteratorINS9_10device_ptrIiEEEENS9_16discard_iteratorINS9_11use_defaultEEEiNS9_4plusIvEEiEEDaPvRmT3_T4_T5_mT6_P12ihipStream_tbENKUlT_T0_E_clISt17integral_constantIbLb1EESW_IbLb0EEEEDaSS_ST_EUlSS_E0_NS1_11comp_targetILNS1_3genE2ELNS1_11target_archE906ELNS1_3gpuE6ELNS1_3repE0EEENS1_30default_config_static_selectorELNS0_4arch9wavefront6targetE1EEEvT1_,"axG",@progbits,_ZN7rocprim17ROCPRIM_400000_NS6detail17trampoline_kernelINS0_14default_configENS1_20scan_config_selectorIiEEZZNS1_9scan_implILNS1_25lookback_scan_determinismE0ELb1ELb1ES3_N6thrust23THRUST_200600_302600_NS6detail15normal_iteratorINS9_10device_ptrIiEEEENS9_16discard_iteratorINS9_11use_defaultEEEiNS9_4plusIvEEiEEDaPvRmT3_T4_T5_mT6_P12ihipStream_tbENKUlT_T0_E_clISt17integral_constantIbLb1EESW_IbLb0EEEEDaSS_ST_EUlSS_E0_NS1_11comp_targetILNS1_3genE2ELNS1_11target_archE906ELNS1_3gpuE6ELNS1_3repE0EEENS1_30default_config_static_selectorELNS0_4arch9wavefront6targetE1EEEvT1_,comdat
.Lfunc_end5847:
	.size	_ZN7rocprim17ROCPRIM_400000_NS6detail17trampoline_kernelINS0_14default_configENS1_20scan_config_selectorIiEEZZNS1_9scan_implILNS1_25lookback_scan_determinismE0ELb1ELb1ES3_N6thrust23THRUST_200600_302600_NS6detail15normal_iteratorINS9_10device_ptrIiEEEENS9_16discard_iteratorINS9_11use_defaultEEEiNS9_4plusIvEEiEEDaPvRmT3_T4_T5_mT6_P12ihipStream_tbENKUlT_T0_E_clISt17integral_constantIbLb1EESW_IbLb0EEEEDaSS_ST_EUlSS_E0_NS1_11comp_targetILNS1_3genE2ELNS1_11target_archE906ELNS1_3gpuE6ELNS1_3repE0EEENS1_30default_config_static_selectorELNS0_4arch9wavefront6targetE1EEEvT1_, .Lfunc_end5847-_ZN7rocprim17ROCPRIM_400000_NS6detail17trampoline_kernelINS0_14default_configENS1_20scan_config_selectorIiEEZZNS1_9scan_implILNS1_25lookback_scan_determinismE0ELb1ELb1ES3_N6thrust23THRUST_200600_302600_NS6detail15normal_iteratorINS9_10device_ptrIiEEEENS9_16discard_iteratorINS9_11use_defaultEEEiNS9_4plusIvEEiEEDaPvRmT3_T4_T5_mT6_P12ihipStream_tbENKUlT_T0_E_clISt17integral_constantIbLb1EESW_IbLb0EEEEDaSS_ST_EUlSS_E0_NS1_11comp_targetILNS1_3genE2ELNS1_11target_archE906ELNS1_3gpuE6ELNS1_3repE0EEENS1_30default_config_static_selectorELNS0_4arch9wavefront6targetE1EEEvT1_
                                        ; -- End function
	.section	.AMDGPU.csdata,"",@progbits
; Kernel info:
; codeLenInByte = 0
; NumSgprs: 4
; NumVgprs: 0
; NumAgprs: 0
; TotalNumVgprs: 0
; ScratchSize: 0
; MemoryBound: 0
; FloatMode: 240
; IeeeMode: 1
; LDSByteSize: 0 bytes/workgroup (compile time only)
; SGPRBlocks: 0
; VGPRBlocks: 0
; NumSGPRsForWavesPerEU: 4
; NumVGPRsForWavesPerEU: 1
; AccumOffset: 4
; Occupancy: 8
; WaveLimiterHint : 0
; COMPUTE_PGM_RSRC2:SCRATCH_EN: 0
; COMPUTE_PGM_RSRC2:USER_SGPR: 6
; COMPUTE_PGM_RSRC2:TRAP_HANDLER: 0
; COMPUTE_PGM_RSRC2:TGID_X_EN: 1
; COMPUTE_PGM_RSRC2:TGID_Y_EN: 0
; COMPUTE_PGM_RSRC2:TGID_Z_EN: 0
; COMPUTE_PGM_RSRC2:TIDIG_COMP_CNT: 0
; COMPUTE_PGM_RSRC3_GFX90A:ACCUM_OFFSET: 0
; COMPUTE_PGM_RSRC3_GFX90A:TG_SPLIT: 0
	.section	.text._ZN7rocprim17ROCPRIM_400000_NS6detail17trampoline_kernelINS0_14default_configENS1_20scan_config_selectorIiEEZZNS1_9scan_implILNS1_25lookback_scan_determinismE0ELb1ELb1ES3_N6thrust23THRUST_200600_302600_NS6detail15normal_iteratorINS9_10device_ptrIiEEEENS9_16discard_iteratorINS9_11use_defaultEEEiNS9_4plusIvEEiEEDaPvRmT3_T4_T5_mT6_P12ihipStream_tbENKUlT_T0_E_clISt17integral_constantIbLb1EESW_IbLb0EEEEDaSS_ST_EUlSS_E0_NS1_11comp_targetILNS1_3genE10ELNS1_11target_archE1201ELNS1_3gpuE5ELNS1_3repE0EEENS1_30default_config_static_selectorELNS0_4arch9wavefront6targetE1EEEvT1_,"axG",@progbits,_ZN7rocprim17ROCPRIM_400000_NS6detail17trampoline_kernelINS0_14default_configENS1_20scan_config_selectorIiEEZZNS1_9scan_implILNS1_25lookback_scan_determinismE0ELb1ELb1ES3_N6thrust23THRUST_200600_302600_NS6detail15normal_iteratorINS9_10device_ptrIiEEEENS9_16discard_iteratorINS9_11use_defaultEEEiNS9_4plusIvEEiEEDaPvRmT3_T4_T5_mT6_P12ihipStream_tbENKUlT_T0_E_clISt17integral_constantIbLb1EESW_IbLb0EEEEDaSS_ST_EUlSS_E0_NS1_11comp_targetILNS1_3genE10ELNS1_11target_archE1201ELNS1_3gpuE5ELNS1_3repE0EEENS1_30default_config_static_selectorELNS0_4arch9wavefront6targetE1EEEvT1_,comdat
	.protected	_ZN7rocprim17ROCPRIM_400000_NS6detail17trampoline_kernelINS0_14default_configENS1_20scan_config_selectorIiEEZZNS1_9scan_implILNS1_25lookback_scan_determinismE0ELb1ELb1ES3_N6thrust23THRUST_200600_302600_NS6detail15normal_iteratorINS9_10device_ptrIiEEEENS9_16discard_iteratorINS9_11use_defaultEEEiNS9_4plusIvEEiEEDaPvRmT3_T4_T5_mT6_P12ihipStream_tbENKUlT_T0_E_clISt17integral_constantIbLb1EESW_IbLb0EEEEDaSS_ST_EUlSS_E0_NS1_11comp_targetILNS1_3genE10ELNS1_11target_archE1201ELNS1_3gpuE5ELNS1_3repE0EEENS1_30default_config_static_selectorELNS0_4arch9wavefront6targetE1EEEvT1_ ; -- Begin function _ZN7rocprim17ROCPRIM_400000_NS6detail17trampoline_kernelINS0_14default_configENS1_20scan_config_selectorIiEEZZNS1_9scan_implILNS1_25lookback_scan_determinismE0ELb1ELb1ES3_N6thrust23THRUST_200600_302600_NS6detail15normal_iteratorINS9_10device_ptrIiEEEENS9_16discard_iteratorINS9_11use_defaultEEEiNS9_4plusIvEEiEEDaPvRmT3_T4_T5_mT6_P12ihipStream_tbENKUlT_T0_E_clISt17integral_constantIbLb1EESW_IbLb0EEEEDaSS_ST_EUlSS_E0_NS1_11comp_targetILNS1_3genE10ELNS1_11target_archE1201ELNS1_3gpuE5ELNS1_3repE0EEENS1_30default_config_static_selectorELNS0_4arch9wavefront6targetE1EEEvT1_
	.globl	_ZN7rocprim17ROCPRIM_400000_NS6detail17trampoline_kernelINS0_14default_configENS1_20scan_config_selectorIiEEZZNS1_9scan_implILNS1_25lookback_scan_determinismE0ELb1ELb1ES3_N6thrust23THRUST_200600_302600_NS6detail15normal_iteratorINS9_10device_ptrIiEEEENS9_16discard_iteratorINS9_11use_defaultEEEiNS9_4plusIvEEiEEDaPvRmT3_T4_T5_mT6_P12ihipStream_tbENKUlT_T0_E_clISt17integral_constantIbLb1EESW_IbLb0EEEEDaSS_ST_EUlSS_E0_NS1_11comp_targetILNS1_3genE10ELNS1_11target_archE1201ELNS1_3gpuE5ELNS1_3repE0EEENS1_30default_config_static_selectorELNS0_4arch9wavefront6targetE1EEEvT1_
	.p2align	8
	.type	_ZN7rocprim17ROCPRIM_400000_NS6detail17trampoline_kernelINS0_14default_configENS1_20scan_config_selectorIiEEZZNS1_9scan_implILNS1_25lookback_scan_determinismE0ELb1ELb1ES3_N6thrust23THRUST_200600_302600_NS6detail15normal_iteratorINS9_10device_ptrIiEEEENS9_16discard_iteratorINS9_11use_defaultEEEiNS9_4plusIvEEiEEDaPvRmT3_T4_T5_mT6_P12ihipStream_tbENKUlT_T0_E_clISt17integral_constantIbLb1EESW_IbLb0EEEEDaSS_ST_EUlSS_E0_NS1_11comp_targetILNS1_3genE10ELNS1_11target_archE1201ELNS1_3gpuE5ELNS1_3repE0EEENS1_30default_config_static_selectorELNS0_4arch9wavefront6targetE1EEEvT1_,@function
_ZN7rocprim17ROCPRIM_400000_NS6detail17trampoline_kernelINS0_14default_configENS1_20scan_config_selectorIiEEZZNS1_9scan_implILNS1_25lookback_scan_determinismE0ELb1ELb1ES3_N6thrust23THRUST_200600_302600_NS6detail15normal_iteratorINS9_10device_ptrIiEEEENS9_16discard_iteratorINS9_11use_defaultEEEiNS9_4plusIvEEiEEDaPvRmT3_T4_T5_mT6_P12ihipStream_tbENKUlT_T0_E_clISt17integral_constantIbLb1EESW_IbLb0EEEEDaSS_ST_EUlSS_E0_NS1_11comp_targetILNS1_3genE10ELNS1_11target_archE1201ELNS1_3gpuE5ELNS1_3repE0EEENS1_30default_config_static_selectorELNS0_4arch9wavefront6targetE1EEEvT1_: ; @_ZN7rocprim17ROCPRIM_400000_NS6detail17trampoline_kernelINS0_14default_configENS1_20scan_config_selectorIiEEZZNS1_9scan_implILNS1_25lookback_scan_determinismE0ELb1ELb1ES3_N6thrust23THRUST_200600_302600_NS6detail15normal_iteratorINS9_10device_ptrIiEEEENS9_16discard_iteratorINS9_11use_defaultEEEiNS9_4plusIvEEiEEDaPvRmT3_T4_T5_mT6_P12ihipStream_tbENKUlT_T0_E_clISt17integral_constantIbLb1EESW_IbLb0EEEEDaSS_ST_EUlSS_E0_NS1_11comp_targetILNS1_3genE10ELNS1_11target_archE1201ELNS1_3gpuE5ELNS1_3repE0EEENS1_30default_config_static_selectorELNS0_4arch9wavefront6targetE1EEEvT1_
; %bb.0:
	.section	.rodata,"a",@progbits
	.p2align	6, 0x0
	.amdhsa_kernel _ZN7rocprim17ROCPRIM_400000_NS6detail17trampoline_kernelINS0_14default_configENS1_20scan_config_selectorIiEEZZNS1_9scan_implILNS1_25lookback_scan_determinismE0ELb1ELb1ES3_N6thrust23THRUST_200600_302600_NS6detail15normal_iteratorINS9_10device_ptrIiEEEENS9_16discard_iteratorINS9_11use_defaultEEEiNS9_4plusIvEEiEEDaPvRmT3_T4_T5_mT6_P12ihipStream_tbENKUlT_T0_E_clISt17integral_constantIbLb1EESW_IbLb0EEEEDaSS_ST_EUlSS_E0_NS1_11comp_targetILNS1_3genE10ELNS1_11target_archE1201ELNS1_3gpuE5ELNS1_3repE0EEENS1_30default_config_static_selectorELNS0_4arch9wavefront6targetE1EEEvT1_
		.amdhsa_group_segment_fixed_size 0
		.amdhsa_private_segment_fixed_size 0
		.amdhsa_kernarg_size 40
		.amdhsa_user_sgpr_count 6
		.amdhsa_user_sgpr_private_segment_buffer 1
		.amdhsa_user_sgpr_dispatch_ptr 0
		.amdhsa_user_sgpr_queue_ptr 0
		.amdhsa_user_sgpr_kernarg_segment_ptr 1
		.amdhsa_user_sgpr_dispatch_id 0
		.amdhsa_user_sgpr_flat_scratch_init 0
		.amdhsa_user_sgpr_kernarg_preload_length 0
		.amdhsa_user_sgpr_kernarg_preload_offset 0
		.amdhsa_user_sgpr_private_segment_size 0
		.amdhsa_uses_dynamic_stack 0
		.amdhsa_system_sgpr_private_segment_wavefront_offset 0
		.amdhsa_system_sgpr_workgroup_id_x 1
		.amdhsa_system_sgpr_workgroup_id_y 0
		.amdhsa_system_sgpr_workgroup_id_z 0
		.amdhsa_system_sgpr_workgroup_info 0
		.amdhsa_system_vgpr_workitem_id 0
		.amdhsa_next_free_vgpr 1
		.amdhsa_next_free_sgpr 0
		.amdhsa_accum_offset 4
		.amdhsa_reserve_vcc 0
		.amdhsa_reserve_flat_scratch 0
		.amdhsa_float_round_mode_32 0
		.amdhsa_float_round_mode_16_64 0
		.amdhsa_float_denorm_mode_32 3
		.amdhsa_float_denorm_mode_16_64 3
		.amdhsa_dx10_clamp 1
		.amdhsa_ieee_mode 1
		.amdhsa_fp16_overflow 0
		.amdhsa_tg_split 0
		.amdhsa_exception_fp_ieee_invalid_op 0
		.amdhsa_exception_fp_denorm_src 0
		.amdhsa_exception_fp_ieee_div_zero 0
		.amdhsa_exception_fp_ieee_overflow 0
		.amdhsa_exception_fp_ieee_underflow 0
		.amdhsa_exception_fp_ieee_inexact 0
		.amdhsa_exception_int_div_zero 0
	.end_amdhsa_kernel
	.section	.text._ZN7rocprim17ROCPRIM_400000_NS6detail17trampoline_kernelINS0_14default_configENS1_20scan_config_selectorIiEEZZNS1_9scan_implILNS1_25lookback_scan_determinismE0ELb1ELb1ES3_N6thrust23THRUST_200600_302600_NS6detail15normal_iteratorINS9_10device_ptrIiEEEENS9_16discard_iteratorINS9_11use_defaultEEEiNS9_4plusIvEEiEEDaPvRmT3_T4_T5_mT6_P12ihipStream_tbENKUlT_T0_E_clISt17integral_constantIbLb1EESW_IbLb0EEEEDaSS_ST_EUlSS_E0_NS1_11comp_targetILNS1_3genE10ELNS1_11target_archE1201ELNS1_3gpuE5ELNS1_3repE0EEENS1_30default_config_static_selectorELNS0_4arch9wavefront6targetE1EEEvT1_,"axG",@progbits,_ZN7rocprim17ROCPRIM_400000_NS6detail17trampoline_kernelINS0_14default_configENS1_20scan_config_selectorIiEEZZNS1_9scan_implILNS1_25lookback_scan_determinismE0ELb1ELb1ES3_N6thrust23THRUST_200600_302600_NS6detail15normal_iteratorINS9_10device_ptrIiEEEENS9_16discard_iteratorINS9_11use_defaultEEEiNS9_4plusIvEEiEEDaPvRmT3_T4_T5_mT6_P12ihipStream_tbENKUlT_T0_E_clISt17integral_constantIbLb1EESW_IbLb0EEEEDaSS_ST_EUlSS_E0_NS1_11comp_targetILNS1_3genE10ELNS1_11target_archE1201ELNS1_3gpuE5ELNS1_3repE0EEENS1_30default_config_static_selectorELNS0_4arch9wavefront6targetE1EEEvT1_,comdat
.Lfunc_end5848:
	.size	_ZN7rocprim17ROCPRIM_400000_NS6detail17trampoline_kernelINS0_14default_configENS1_20scan_config_selectorIiEEZZNS1_9scan_implILNS1_25lookback_scan_determinismE0ELb1ELb1ES3_N6thrust23THRUST_200600_302600_NS6detail15normal_iteratorINS9_10device_ptrIiEEEENS9_16discard_iteratorINS9_11use_defaultEEEiNS9_4plusIvEEiEEDaPvRmT3_T4_T5_mT6_P12ihipStream_tbENKUlT_T0_E_clISt17integral_constantIbLb1EESW_IbLb0EEEEDaSS_ST_EUlSS_E0_NS1_11comp_targetILNS1_3genE10ELNS1_11target_archE1201ELNS1_3gpuE5ELNS1_3repE0EEENS1_30default_config_static_selectorELNS0_4arch9wavefront6targetE1EEEvT1_, .Lfunc_end5848-_ZN7rocprim17ROCPRIM_400000_NS6detail17trampoline_kernelINS0_14default_configENS1_20scan_config_selectorIiEEZZNS1_9scan_implILNS1_25lookback_scan_determinismE0ELb1ELb1ES3_N6thrust23THRUST_200600_302600_NS6detail15normal_iteratorINS9_10device_ptrIiEEEENS9_16discard_iteratorINS9_11use_defaultEEEiNS9_4plusIvEEiEEDaPvRmT3_T4_T5_mT6_P12ihipStream_tbENKUlT_T0_E_clISt17integral_constantIbLb1EESW_IbLb0EEEEDaSS_ST_EUlSS_E0_NS1_11comp_targetILNS1_3genE10ELNS1_11target_archE1201ELNS1_3gpuE5ELNS1_3repE0EEENS1_30default_config_static_selectorELNS0_4arch9wavefront6targetE1EEEvT1_
                                        ; -- End function
	.section	.AMDGPU.csdata,"",@progbits
; Kernel info:
; codeLenInByte = 0
; NumSgprs: 4
; NumVgprs: 0
; NumAgprs: 0
; TotalNumVgprs: 0
; ScratchSize: 0
; MemoryBound: 0
; FloatMode: 240
; IeeeMode: 1
; LDSByteSize: 0 bytes/workgroup (compile time only)
; SGPRBlocks: 0
; VGPRBlocks: 0
; NumSGPRsForWavesPerEU: 4
; NumVGPRsForWavesPerEU: 1
; AccumOffset: 4
; Occupancy: 8
; WaveLimiterHint : 0
; COMPUTE_PGM_RSRC2:SCRATCH_EN: 0
; COMPUTE_PGM_RSRC2:USER_SGPR: 6
; COMPUTE_PGM_RSRC2:TRAP_HANDLER: 0
; COMPUTE_PGM_RSRC2:TGID_X_EN: 1
; COMPUTE_PGM_RSRC2:TGID_Y_EN: 0
; COMPUTE_PGM_RSRC2:TGID_Z_EN: 0
; COMPUTE_PGM_RSRC2:TIDIG_COMP_CNT: 0
; COMPUTE_PGM_RSRC3_GFX90A:ACCUM_OFFSET: 0
; COMPUTE_PGM_RSRC3_GFX90A:TG_SPLIT: 0
	.section	.text._ZN7rocprim17ROCPRIM_400000_NS6detail17trampoline_kernelINS0_14default_configENS1_20scan_config_selectorIiEEZZNS1_9scan_implILNS1_25lookback_scan_determinismE0ELb1ELb1ES3_N6thrust23THRUST_200600_302600_NS6detail15normal_iteratorINS9_10device_ptrIiEEEENS9_16discard_iteratorINS9_11use_defaultEEEiNS9_4plusIvEEiEEDaPvRmT3_T4_T5_mT6_P12ihipStream_tbENKUlT_T0_E_clISt17integral_constantIbLb1EESW_IbLb0EEEEDaSS_ST_EUlSS_E0_NS1_11comp_targetILNS1_3genE10ELNS1_11target_archE1200ELNS1_3gpuE4ELNS1_3repE0EEENS1_30default_config_static_selectorELNS0_4arch9wavefront6targetE1EEEvT1_,"axG",@progbits,_ZN7rocprim17ROCPRIM_400000_NS6detail17trampoline_kernelINS0_14default_configENS1_20scan_config_selectorIiEEZZNS1_9scan_implILNS1_25lookback_scan_determinismE0ELb1ELb1ES3_N6thrust23THRUST_200600_302600_NS6detail15normal_iteratorINS9_10device_ptrIiEEEENS9_16discard_iteratorINS9_11use_defaultEEEiNS9_4plusIvEEiEEDaPvRmT3_T4_T5_mT6_P12ihipStream_tbENKUlT_T0_E_clISt17integral_constantIbLb1EESW_IbLb0EEEEDaSS_ST_EUlSS_E0_NS1_11comp_targetILNS1_3genE10ELNS1_11target_archE1200ELNS1_3gpuE4ELNS1_3repE0EEENS1_30default_config_static_selectorELNS0_4arch9wavefront6targetE1EEEvT1_,comdat
	.protected	_ZN7rocprim17ROCPRIM_400000_NS6detail17trampoline_kernelINS0_14default_configENS1_20scan_config_selectorIiEEZZNS1_9scan_implILNS1_25lookback_scan_determinismE0ELb1ELb1ES3_N6thrust23THRUST_200600_302600_NS6detail15normal_iteratorINS9_10device_ptrIiEEEENS9_16discard_iteratorINS9_11use_defaultEEEiNS9_4plusIvEEiEEDaPvRmT3_T4_T5_mT6_P12ihipStream_tbENKUlT_T0_E_clISt17integral_constantIbLb1EESW_IbLb0EEEEDaSS_ST_EUlSS_E0_NS1_11comp_targetILNS1_3genE10ELNS1_11target_archE1200ELNS1_3gpuE4ELNS1_3repE0EEENS1_30default_config_static_selectorELNS0_4arch9wavefront6targetE1EEEvT1_ ; -- Begin function _ZN7rocprim17ROCPRIM_400000_NS6detail17trampoline_kernelINS0_14default_configENS1_20scan_config_selectorIiEEZZNS1_9scan_implILNS1_25lookback_scan_determinismE0ELb1ELb1ES3_N6thrust23THRUST_200600_302600_NS6detail15normal_iteratorINS9_10device_ptrIiEEEENS9_16discard_iteratorINS9_11use_defaultEEEiNS9_4plusIvEEiEEDaPvRmT3_T4_T5_mT6_P12ihipStream_tbENKUlT_T0_E_clISt17integral_constantIbLb1EESW_IbLb0EEEEDaSS_ST_EUlSS_E0_NS1_11comp_targetILNS1_3genE10ELNS1_11target_archE1200ELNS1_3gpuE4ELNS1_3repE0EEENS1_30default_config_static_selectorELNS0_4arch9wavefront6targetE1EEEvT1_
	.globl	_ZN7rocprim17ROCPRIM_400000_NS6detail17trampoline_kernelINS0_14default_configENS1_20scan_config_selectorIiEEZZNS1_9scan_implILNS1_25lookback_scan_determinismE0ELb1ELb1ES3_N6thrust23THRUST_200600_302600_NS6detail15normal_iteratorINS9_10device_ptrIiEEEENS9_16discard_iteratorINS9_11use_defaultEEEiNS9_4plusIvEEiEEDaPvRmT3_T4_T5_mT6_P12ihipStream_tbENKUlT_T0_E_clISt17integral_constantIbLb1EESW_IbLb0EEEEDaSS_ST_EUlSS_E0_NS1_11comp_targetILNS1_3genE10ELNS1_11target_archE1200ELNS1_3gpuE4ELNS1_3repE0EEENS1_30default_config_static_selectorELNS0_4arch9wavefront6targetE1EEEvT1_
	.p2align	8
	.type	_ZN7rocprim17ROCPRIM_400000_NS6detail17trampoline_kernelINS0_14default_configENS1_20scan_config_selectorIiEEZZNS1_9scan_implILNS1_25lookback_scan_determinismE0ELb1ELb1ES3_N6thrust23THRUST_200600_302600_NS6detail15normal_iteratorINS9_10device_ptrIiEEEENS9_16discard_iteratorINS9_11use_defaultEEEiNS9_4plusIvEEiEEDaPvRmT3_T4_T5_mT6_P12ihipStream_tbENKUlT_T0_E_clISt17integral_constantIbLb1EESW_IbLb0EEEEDaSS_ST_EUlSS_E0_NS1_11comp_targetILNS1_3genE10ELNS1_11target_archE1200ELNS1_3gpuE4ELNS1_3repE0EEENS1_30default_config_static_selectorELNS0_4arch9wavefront6targetE1EEEvT1_,@function
_ZN7rocprim17ROCPRIM_400000_NS6detail17trampoline_kernelINS0_14default_configENS1_20scan_config_selectorIiEEZZNS1_9scan_implILNS1_25lookback_scan_determinismE0ELb1ELb1ES3_N6thrust23THRUST_200600_302600_NS6detail15normal_iteratorINS9_10device_ptrIiEEEENS9_16discard_iteratorINS9_11use_defaultEEEiNS9_4plusIvEEiEEDaPvRmT3_T4_T5_mT6_P12ihipStream_tbENKUlT_T0_E_clISt17integral_constantIbLb1EESW_IbLb0EEEEDaSS_ST_EUlSS_E0_NS1_11comp_targetILNS1_3genE10ELNS1_11target_archE1200ELNS1_3gpuE4ELNS1_3repE0EEENS1_30default_config_static_selectorELNS0_4arch9wavefront6targetE1EEEvT1_: ; @_ZN7rocprim17ROCPRIM_400000_NS6detail17trampoline_kernelINS0_14default_configENS1_20scan_config_selectorIiEEZZNS1_9scan_implILNS1_25lookback_scan_determinismE0ELb1ELb1ES3_N6thrust23THRUST_200600_302600_NS6detail15normal_iteratorINS9_10device_ptrIiEEEENS9_16discard_iteratorINS9_11use_defaultEEEiNS9_4plusIvEEiEEDaPvRmT3_T4_T5_mT6_P12ihipStream_tbENKUlT_T0_E_clISt17integral_constantIbLb1EESW_IbLb0EEEEDaSS_ST_EUlSS_E0_NS1_11comp_targetILNS1_3genE10ELNS1_11target_archE1200ELNS1_3gpuE4ELNS1_3repE0EEENS1_30default_config_static_selectorELNS0_4arch9wavefront6targetE1EEEvT1_
; %bb.0:
	.section	.rodata,"a",@progbits
	.p2align	6, 0x0
	.amdhsa_kernel _ZN7rocprim17ROCPRIM_400000_NS6detail17trampoline_kernelINS0_14default_configENS1_20scan_config_selectorIiEEZZNS1_9scan_implILNS1_25lookback_scan_determinismE0ELb1ELb1ES3_N6thrust23THRUST_200600_302600_NS6detail15normal_iteratorINS9_10device_ptrIiEEEENS9_16discard_iteratorINS9_11use_defaultEEEiNS9_4plusIvEEiEEDaPvRmT3_T4_T5_mT6_P12ihipStream_tbENKUlT_T0_E_clISt17integral_constantIbLb1EESW_IbLb0EEEEDaSS_ST_EUlSS_E0_NS1_11comp_targetILNS1_3genE10ELNS1_11target_archE1200ELNS1_3gpuE4ELNS1_3repE0EEENS1_30default_config_static_selectorELNS0_4arch9wavefront6targetE1EEEvT1_
		.amdhsa_group_segment_fixed_size 0
		.amdhsa_private_segment_fixed_size 0
		.amdhsa_kernarg_size 40
		.amdhsa_user_sgpr_count 6
		.amdhsa_user_sgpr_private_segment_buffer 1
		.amdhsa_user_sgpr_dispatch_ptr 0
		.amdhsa_user_sgpr_queue_ptr 0
		.amdhsa_user_sgpr_kernarg_segment_ptr 1
		.amdhsa_user_sgpr_dispatch_id 0
		.amdhsa_user_sgpr_flat_scratch_init 0
		.amdhsa_user_sgpr_kernarg_preload_length 0
		.amdhsa_user_sgpr_kernarg_preload_offset 0
		.amdhsa_user_sgpr_private_segment_size 0
		.amdhsa_uses_dynamic_stack 0
		.amdhsa_system_sgpr_private_segment_wavefront_offset 0
		.amdhsa_system_sgpr_workgroup_id_x 1
		.amdhsa_system_sgpr_workgroup_id_y 0
		.amdhsa_system_sgpr_workgroup_id_z 0
		.amdhsa_system_sgpr_workgroup_info 0
		.amdhsa_system_vgpr_workitem_id 0
		.amdhsa_next_free_vgpr 1
		.amdhsa_next_free_sgpr 0
		.amdhsa_accum_offset 4
		.amdhsa_reserve_vcc 0
		.amdhsa_reserve_flat_scratch 0
		.amdhsa_float_round_mode_32 0
		.amdhsa_float_round_mode_16_64 0
		.amdhsa_float_denorm_mode_32 3
		.amdhsa_float_denorm_mode_16_64 3
		.amdhsa_dx10_clamp 1
		.amdhsa_ieee_mode 1
		.amdhsa_fp16_overflow 0
		.amdhsa_tg_split 0
		.amdhsa_exception_fp_ieee_invalid_op 0
		.amdhsa_exception_fp_denorm_src 0
		.amdhsa_exception_fp_ieee_div_zero 0
		.amdhsa_exception_fp_ieee_overflow 0
		.amdhsa_exception_fp_ieee_underflow 0
		.amdhsa_exception_fp_ieee_inexact 0
		.amdhsa_exception_int_div_zero 0
	.end_amdhsa_kernel
	.section	.text._ZN7rocprim17ROCPRIM_400000_NS6detail17trampoline_kernelINS0_14default_configENS1_20scan_config_selectorIiEEZZNS1_9scan_implILNS1_25lookback_scan_determinismE0ELb1ELb1ES3_N6thrust23THRUST_200600_302600_NS6detail15normal_iteratorINS9_10device_ptrIiEEEENS9_16discard_iteratorINS9_11use_defaultEEEiNS9_4plusIvEEiEEDaPvRmT3_T4_T5_mT6_P12ihipStream_tbENKUlT_T0_E_clISt17integral_constantIbLb1EESW_IbLb0EEEEDaSS_ST_EUlSS_E0_NS1_11comp_targetILNS1_3genE10ELNS1_11target_archE1200ELNS1_3gpuE4ELNS1_3repE0EEENS1_30default_config_static_selectorELNS0_4arch9wavefront6targetE1EEEvT1_,"axG",@progbits,_ZN7rocprim17ROCPRIM_400000_NS6detail17trampoline_kernelINS0_14default_configENS1_20scan_config_selectorIiEEZZNS1_9scan_implILNS1_25lookback_scan_determinismE0ELb1ELb1ES3_N6thrust23THRUST_200600_302600_NS6detail15normal_iteratorINS9_10device_ptrIiEEEENS9_16discard_iteratorINS9_11use_defaultEEEiNS9_4plusIvEEiEEDaPvRmT3_T4_T5_mT6_P12ihipStream_tbENKUlT_T0_E_clISt17integral_constantIbLb1EESW_IbLb0EEEEDaSS_ST_EUlSS_E0_NS1_11comp_targetILNS1_3genE10ELNS1_11target_archE1200ELNS1_3gpuE4ELNS1_3repE0EEENS1_30default_config_static_selectorELNS0_4arch9wavefront6targetE1EEEvT1_,comdat
.Lfunc_end5849:
	.size	_ZN7rocprim17ROCPRIM_400000_NS6detail17trampoline_kernelINS0_14default_configENS1_20scan_config_selectorIiEEZZNS1_9scan_implILNS1_25lookback_scan_determinismE0ELb1ELb1ES3_N6thrust23THRUST_200600_302600_NS6detail15normal_iteratorINS9_10device_ptrIiEEEENS9_16discard_iteratorINS9_11use_defaultEEEiNS9_4plusIvEEiEEDaPvRmT3_T4_T5_mT6_P12ihipStream_tbENKUlT_T0_E_clISt17integral_constantIbLb1EESW_IbLb0EEEEDaSS_ST_EUlSS_E0_NS1_11comp_targetILNS1_3genE10ELNS1_11target_archE1200ELNS1_3gpuE4ELNS1_3repE0EEENS1_30default_config_static_selectorELNS0_4arch9wavefront6targetE1EEEvT1_, .Lfunc_end5849-_ZN7rocprim17ROCPRIM_400000_NS6detail17trampoline_kernelINS0_14default_configENS1_20scan_config_selectorIiEEZZNS1_9scan_implILNS1_25lookback_scan_determinismE0ELb1ELb1ES3_N6thrust23THRUST_200600_302600_NS6detail15normal_iteratorINS9_10device_ptrIiEEEENS9_16discard_iteratorINS9_11use_defaultEEEiNS9_4plusIvEEiEEDaPvRmT3_T4_T5_mT6_P12ihipStream_tbENKUlT_T0_E_clISt17integral_constantIbLb1EESW_IbLb0EEEEDaSS_ST_EUlSS_E0_NS1_11comp_targetILNS1_3genE10ELNS1_11target_archE1200ELNS1_3gpuE4ELNS1_3repE0EEENS1_30default_config_static_selectorELNS0_4arch9wavefront6targetE1EEEvT1_
                                        ; -- End function
	.section	.AMDGPU.csdata,"",@progbits
; Kernel info:
; codeLenInByte = 0
; NumSgprs: 4
; NumVgprs: 0
; NumAgprs: 0
; TotalNumVgprs: 0
; ScratchSize: 0
; MemoryBound: 0
; FloatMode: 240
; IeeeMode: 1
; LDSByteSize: 0 bytes/workgroup (compile time only)
; SGPRBlocks: 0
; VGPRBlocks: 0
; NumSGPRsForWavesPerEU: 4
; NumVGPRsForWavesPerEU: 1
; AccumOffset: 4
; Occupancy: 8
; WaveLimiterHint : 0
; COMPUTE_PGM_RSRC2:SCRATCH_EN: 0
; COMPUTE_PGM_RSRC2:USER_SGPR: 6
; COMPUTE_PGM_RSRC2:TRAP_HANDLER: 0
; COMPUTE_PGM_RSRC2:TGID_X_EN: 1
; COMPUTE_PGM_RSRC2:TGID_Y_EN: 0
; COMPUTE_PGM_RSRC2:TGID_Z_EN: 0
; COMPUTE_PGM_RSRC2:TIDIG_COMP_CNT: 0
; COMPUTE_PGM_RSRC3_GFX90A:ACCUM_OFFSET: 0
; COMPUTE_PGM_RSRC3_GFX90A:TG_SPLIT: 0
	.section	.text._ZN7rocprim17ROCPRIM_400000_NS6detail17trampoline_kernelINS0_14default_configENS1_20scan_config_selectorIiEEZZNS1_9scan_implILNS1_25lookback_scan_determinismE0ELb1ELb1ES3_N6thrust23THRUST_200600_302600_NS6detail15normal_iteratorINS9_10device_ptrIiEEEENS9_16discard_iteratorINS9_11use_defaultEEEiNS9_4plusIvEEiEEDaPvRmT3_T4_T5_mT6_P12ihipStream_tbENKUlT_T0_E_clISt17integral_constantIbLb1EESW_IbLb0EEEEDaSS_ST_EUlSS_E0_NS1_11comp_targetILNS1_3genE9ELNS1_11target_archE1100ELNS1_3gpuE3ELNS1_3repE0EEENS1_30default_config_static_selectorELNS0_4arch9wavefront6targetE1EEEvT1_,"axG",@progbits,_ZN7rocprim17ROCPRIM_400000_NS6detail17trampoline_kernelINS0_14default_configENS1_20scan_config_selectorIiEEZZNS1_9scan_implILNS1_25lookback_scan_determinismE0ELb1ELb1ES3_N6thrust23THRUST_200600_302600_NS6detail15normal_iteratorINS9_10device_ptrIiEEEENS9_16discard_iteratorINS9_11use_defaultEEEiNS9_4plusIvEEiEEDaPvRmT3_T4_T5_mT6_P12ihipStream_tbENKUlT_T0_E_clISt17integral_constantIbLb1EESW_IbLb0EEEEDaSS_ST_EUlSS_E0_NS1_11comp_targetILNS1_3genE9ELNS1_11target_archE1100ELNS1_3gpuE3ELNS1_3repE0EEENS1_30default_config_static_selectorELNS0_4arch9wavefront6targetE1EEEvT1_,comdat
	.protected	_ZN7rocprim17ROCPRIM_400000_NS6detail17trampoline_kernelINS0_14default_configENS1_20scan_config_selectorIiEEZZNS1_9scan_implILNS1_25lookback_scan_determinismE0ELb1ELb1ES3_N6thrust23THRUST_200600_302600_NS6detail15normal_iteratorINS9_10device_ptrIiEEEENS9_16discard_iteratorINS9_11use_defaultEEEiNS9_4plusIvEEiEEDaPvRmT3_T4_T5_mT6_P12ihipStream_tbENKUlT_T0_E_clISt17integral_constantIbLb1EESW_IbLb0EEEEDaSS_ST_EUlSS_E0_NS1_11comp_targetILNS1_3genE9ELNS1_11target_archE1100ELNS1_3gpuE3ELNS1_3repE0EEENS1_30default_config_static_selectorELNS0_4arch9wavefront6targetE1EEEvT1_ ; -- Begin function _ZN7rocprim17ROCPRIM_400000_NS6detail17trampoline_kernelINS0_14default_configENS1_20scan_config_selectorIiEEZZNS1_9scan_implILNS1_25lookback_scan_determinismE0ELb1ELb1ES3_N6thrust23THRUST_200600_302600_NS6detail15normal_iteratorINS9_10device_ptrIiEEEENS9_16discard_iteratorINS9_11use_defaultEEEiNS9_4plusIvEEiEEDaPvRmT3_T4_T5_mT6_P12ihipStream_tbENKUlT_T0_E_clISt17integral_constantIbLb1EESW_IbLb0EEEEDaSS_ST_EUlSS_E0_NS1_11comp_targetILNS1_3genE9ELNS1_11target_archE1100ELNS1_3gpuE3ELNS1_3repE0EEENS1_30default_config_static_selectorELNS0_4arch9wavefront6targetE1EEEvT1_
	.globl	_ZN7rocprim17ROCPRIM_400000_NS6detail17trampoline_kernelINS0_14default_configENS1_20scan_config_selectorIiEEZZNS1_9scan_implILNS1_25lookback_scan_determinismE0ELb1ELb1ES3_N6thrust23THRUST_200600_302600_NS6detail15normal_iteratorINS9_10device_ptrIiEEEENS9_16discard_iteratorINS9_11use_defaultEEEiNS9_4plusIvEEiEEDaPvRmT3_T4_T5_mT6_P12ihipStream_tbENKUlT_T0_E_clISt17integral_constantIbLb1EESW_IbLb0EEEEDaSS_ST_EUlSS_E0_NS1_11comp_targetILNS1_3genE9ELNS1_11target_archE1100ELNS1_3gpuE3ELNS1_3repE0EEENS1_30default_config_static_selectorELNS0_4arch9wavefront6targetE1EEEvT1_
	.p2align	8
	.type	_ZN7rocprim17ROCPRIM_400000_NS6detail17trampoline_kernelINS0_14default_configENS1_20scan_config_selectorIiEEZZNS1_9scan_implILNS1_25lookback_scan_determinismE0ELb1ELb1ES3_N6thrust23THRUST_200600_302600_NS6detail15normal_iteratorINS9_10device_ptrIiEEEENS9_16discard_iteratorINS9_11use_defaultEEEiNS9_4plusIvEEiEEDaPvRmT3_T4_T5_mT6_P12ihipStream_tbENKUlT_T0_E_clISt17integral_constantIbLb1EESW_IbLb0EEEEDaSS_ST_EUlSS_E0_NS1_11comp_targetILNS1_3genE9ELNS1_11target_archE1100ELNS1_3gpuE3ELNS1_3repE0EEENS1_30default_config_static_selectorELNS0_4arch9wavefront6targetE1EEEvT1_,@function
_ZN7rocprim17ROCPRIM_400000_NS6detail17trampoline_kernelINS0_14default_configENS1_20scan_config_selectorIiEEZZNS1_9scan_implILNS1_25lookback_scan_determinismE0ELb1ELb1ES3_N6thrust23THRUST_200600_302600_NS6detail15normal_iteratorINS9_10device_ptrIiEEEENS9_16discard_iteratorINS9_11use_defaultEEEiNS9_4plusIvEEiEEDaPvRmT3_T4_T5_mT6_P12ihipStream_tbENKUlT_T0_E_clISt17integral_constantIbLb1EESW_IbLb0EEEEDaSS_ST_EUlSS_E0_NS1_11comp_targetILNS1_3genE9ELNS1_11target_archE1100ELNS1_3gpuE3ELNS1_3repE0EEENS1_30default_config_static_selectorELNS0_4arch9wavefront6targetE1EEEvT1_: ; @_ZN7rocprim17ROCPRIM_400000_NS6detail17trampoline_kernelINS0_14default_configENS1_20scan_config_selectorIiEEZZNS1_9scan_implILNS1_25lookback_scan_determinismE0ELb1ELb1ES3_N6thrust23THRUST_200600_302600_NS6detail15normal_iteratorINS9_10device_ptrIiEEEENS9_16discard_iteratorINS9_11use_defaultEEEiNS9_4plusIvEEiEEDaPvRmT3_T4_T5_mT6_P12ihipStream_tbENKUlT_T0_E_clISt17integral_constantIbLb1EESW_IbLb0EEEEDaSS_ST_EUlSS_E0_NS1_11comp_targetILNS1_3genE9ELNS1_11target_archE1100ELNS1_3gpuE3ELNS1_3repE0EEENS1_30default_config_static_selectorELNS0_4arch9wavefront6targetE1EEEvT1_
; %bb.0:
	.section	.rodata,"a",@progbits
	.p2align	6, 0x0
	.amdhsa_kernel _ZN7rocprim17ROCPRIM_400000_NS6detail17trampoline_kernelINS0_14default_configENS1_20scan_config_selectorIiEEZZNS1_9scan_implILNS1_25lookback_scan_determinismE0ELb1ELb1ES3_N6thrust23THRUST_200600_302600_NS6detail15normal_iteratorINS9_10device_ptrIiEEEENS9_16discard_iteratorINS9_11use_defaultEEEiNS9_4plusIvEEiEEDaPvRmT3_T4_T5_mT6_P12ihipStream_tbENKUlT_T0_E_clISt17integral_constantIbLb1EESW_IbLb0EEEEDaSS_ST_EUlSS_E0_NS1_11comp_targetILNS1_3genE9ELNS1_11target_archE1100ELNS1_3gpuE3ELNS1_3repE0EEENS1_30default_config_static_selectorELNS0_4arch9wavefront6targetE1EEEvT1_
		.amdhsa_group_segment_fixed_size 0
		.amdhsa_private_segment_fixed_size 0
		.amdhsa_kernarg_size 40
		.amdhsa_user_sgpr_count 6
		.amdhsa_user_sgpr_private_segment_buffer 1
		.amdhsa_user_sgpr_dispatch_ptr 0
		.amdhsa_user_sgpr_queue_ptr 0
		.amdhsa_user_sgpr_kernarg_segment_ptr 1
		.amdhsa_user_sgpr_dispatch_id 0
		.amdhsa_user_sgpr_flat_scratch_init 0
		.amdhsa_user_sgpr_kernarg_preload_length 0
		.amdhsa_user_sgpr_kernarg_preload_offset 0
		.amdhsa_user_sgpr_private_segment_size 0
		.amdhsa_uses_dynamic_stack 0
		.amdhsa_system_sgpr_private_segment_wavefront_offset 0
		.amdhsa_system_sgpr_workgroup_id_x 1
		.amdhsa_system_sgpr_workgroup_id_y 0
		.amdhsa_system_sgpr_workgroup_id_z 0
		.amdhsa_system_sgpr_workgroup_info 0
		.amdhsa_system_vgpr_workitem_id 0
		.amdhsa_next_free_vgpr 1
		.amdhsa_next_free_sgpr 0
		.amdhsa_accum_offset 4
		.amdhsa_reserve_vcc 0
		.amdhsa_reserve_flat_scratch 0
		.amdhsa_float_round_mode_32 0
		.amdhsa_float_round_mode_16_64 0
		.amdhsa_float_denorm_mode_32 3
		.amdhsa_float_denorm_mode_16_64 3
		.amdhsa_dx10_clamp 1
		.amdhsa_ieee_mode 1
		.amdhsa_fp16_overflow 0
		.amdhsa_tg_split 0
		.amdhsa_exception_fp_ieee_invalid_op 0
		.amdhsa_exception_fp_denorm_src 0
		.amdhsa_exception_fp_ieee_div_zero 0
		.amdhsa_exception_fp_ieee_overflow 0
		.amdhsa_exception_fp_ieee_underflow 0
		.amdhsa_exception_fp_ieee_inexact 0
		.amdhsa_exception_int_div_zero 0
	.end_amdhsa_kernel
	.section	.text._ZN7rocprim17ROCPRIM_400000_NS6detail17trampoline_kernelINS0_14default_configENS1_20scan_config_selectorIiEEZZNS1_9scan_implILNS1_25lookback_scan_determinismE0ELb1ELb1ES3_N6thrust23THRUST_200600_302600_NS6detail15normal_iteratorINS9_10device_ptrIiEEEENS9_16discard_iteratorINS9_11use_defaultEEEiNS9_4plusIvEEiEEDaPvRmT3_T4_T5_mT6_P12ihipStream_tbENKUlT_T0_E_clISt17integral_constantIbLb1EESW_IbLb0EEEEDaSS_ST_EUlSS_E0_NS1_11comp_targetILNS1_3genE9ELNS1_11target_archE1100ELNS1_3gpuE3ELNS1_3repE0EEENS1_30default_config_static_selectorELNS0_4arch9wavefront6targetE1EEEvT1_,"axG",@progbits,_ZN7rocprim17ROCPRIM_400000_NS6detail17trampoline_kernelINS0_14default_configENS1_20scan_config_selectorIiEEZZNS1_9scan_implILNS1_25lookback_scan_determinismE0ELb1ELb1ES3_N6thrust23THRUST_200600_302600_NS6detail15normal_iteratorINS9_10device_ptrIiEEEENS9_16discard_iteratorINS9_11use_defaultEEEiNS9_4plusIvEEiEEDaPvRmT3_T4_T5_mT6_P12ihipStream_tbENKUlT_T0_E_clISt17integral_constantIbLb1EESW_IbLb0EEEEDaSS_ST_EUlSS_E0_NS1_11comp_targetILNS1_3genE9ELNS1_11target_archE1100ELNS1_3gpuE3ELNS1_3repE0EEENS1_30default_config_static_selectorELNS0_4arch9wavefront6targetE1EEEvT1_,comdat
.Lfunc_end5850:
	.size	_ZN7rocprim17ROCPRIM_400000_NS6detail17trampoline_kernelINS0_14default_configENS1_20scan_config_selectorIiEEZZNS1_9scan_implILNS1_25lookback_scan_determinismE0ELb1ELb1ES3_N6thrust23THRUST_200600_302600_NS6detail15normal_iteratorINS9_10device_ptrIiEEEENS9_16discard_iteratorINS9_11use_defaultEEEiNS9_4plusIvEEiEEDaPvRmT3_T4_T5_mT6_P12ihipStream_tbENKUlT_T0_E_clISt17integral_constantIbLb1EESW_IbLb0EEEEDaSS_ST_EUlSS_E0_NS1_11comp_targetILNS1_3genE9ELNS1_11target_archE1100ELNS1_3gpuE3ELNS1_3repE0EEENS1_30default_config_static_selectorELNS0_4arch9wavefront6targetE1EEEvT1_, .Lfunc_end5850-_ZN7rocprim17ROCPRIM_400000_NS6detail17trampoline_kernelINS0_14default_configENS1_20scan_config_selectorIiEEZZNS1_9scan_implILNS1_25lookback_scan_determinismE0ELb1ELb1ES3_N6thrust23THRUST_200600_302600_NS6detail15normal_iteratorINS9_10device_ptrIiEEEENS9_16discard_iteratorINS9_11use_defaultEEEiNS9_4plusIvEEiEEDaPvRmT3_T4_T5_mT6_P12ihipStream_tbENKUlT_T0_E_clISt17integral_constantIbLb1EESW_IbLb0EEEEDaSS_ST_EUlSS_E0_NS1_11comp_targetILNS1_3genE9ELNS1_11target_archE1100ELNS1_3gpuE3ELNS1_3repE0EEENS1_30default_config_static_selectorELNS0_4arch9wavefront6targetE1EEEvT1_
                                        ; -- End function
	.section	.AMDGPU.csdata,"",@progbits
; Kernel info:
; codeLenInByte = 0
; NumSgprs: 4
; NumVgprs: 0
; NumAgprs: 0
; TotalNumVgprs: 0
; ScratchSize: 0
; MemoryBound: 0
; FloatMode: 240
; IeeeMode: 1
; LDSByteSize: 0 bytes/workgroup (compile time only)
; SGPRBlocks: 0
; VGPRBlocks: 0
; NumSGPRsForWavesPerEU: 4
; NumVGPRsForWavesPerEU: 1
; AccumOffset: 4
; Occupancy: 8
; WaveLimiterHint : 0
; COMPUTE_PGM_RSRC2:SCRATCH_EN: 0
; COMPUTE_PGM_RSRC2:USER_SGPR: 6
; COMPUTE_PGM_RSRC2:TRAP_HANDLER: 0
; COMPUTE_PGM_RSRC2:TGID_X_EN: 1
; COMPUTE_PGM_RSRC2:TGID_Y_EN: 0
; COMPUTE_PGM_RSRC2:TGID_Z_EN: 0
; COMPUTE_PGM_RSRC2:TIDIG_COMP_CNT: 0
; COMPUTE_PGM_RSRC3_GFX90A:ACCUM_OFFSET: 0
; COMPUTE_PGM_RSRC3_GFX90A:TG_SPLIT: 0
	.section	.text._ZN7rocprim17ROCPRIM_400000_NS6detail17trampoline_kernelINS0_14default_configENS1_20scan_config_selectorIiEEZZNS1_9scan_implILNS1_25lookback_scan_determinismE0ELb1ELb1ES3_N6thrust23THRUST_200600_302600_NS6detail15normal_iteratorINS9_10device_ptrIiEEEENS9_16discard_iteratorINS9_11use_defaultEEEiNS9_4plusIvEEiEEDaPvRmT3_T4_T5_mT6_P12ihipStream_tbENKUlT_T0_E_clISt17integral_constantIbLb1EESW_IbLb0EEEEDaSS_ST_EUlSS_E0_NS1_11comp_targetILNS1_3genE8ELNS1_11target_archE1030ELNS1_3gpuE2ELNS1_3repE0EEENS1_30default_config_static_selectorELNS0_4arch9wavefront6targetE1EEEvT1_,"axG",@progbits,_ZN7rocprim17ROCPRIM_400000_NS6detail17trampoline_kernelINS0_14default_configENS1_20scan_config_selectorIiEEZZNS1_9scan_implILNS1_25lookback_scan_determinismE0ELb1ELb1ES3_N6thrust23THRUST_200600_302600_NS6detail15normal_iteratorINS9_10device_ptrIiEEEENS9_16discard_iteratorINS9_11use_defaultEEEiNS9_4plusIvEEiEEDaPvRmT3_T4_T5_mT6_P12ihipStream_tbENKUlT_T0_E_clISt17integral_constantIbLb1EESW_IbLb0EEEEDaSS_ST_EUlSS_E0_NS1_11comp_targetILNS1_3genE8ELNS1_11target_archE1030ELNS1_3gpuE2ELNS1_3repE0EEENS1_30default_config_static_selectorELNS0_4arch9wavefront6targetE1EEEvT1_,comdat
	.protected	_ZN7rocprim17ROCPRIM_400000_NS6detail17trampoline_kernelINS0_14default_configENS1_20scan_config_selectorIiEEZZNS1_9scan_implILNS1_25lookback_scan_determinismE0ELb1ELb1ES3_N6thrust23THRUST_200600_302600_NS6detail15normal_iteratorINS9_10device_ptrIiEEEENS9_16discard_iteratorINS9_11use_defaultEEEiNS9_4plusIvEEiEEDaPvRmT3_T4_T5_mT6_P12ihipStream_tbENKUlT_T0_E_clISt17integral_constantIbLb1EESW_IbLb0EEEEDaSS_ST_EUlSS_E0_NS1_11comp_targetILNS1_3genE8ELNS1_11target_archE1030ELNS1_3gpuE2ELNS1_3repE0EEENS1_30default_config_static_selectorELNS0_4arch9wavefront6targetE1EEEvT1_ ; -- Begin function _ZN7rocprim17ROCPRIM_400000_NS6detail17trampoline_kernelINS0_14default_configENS1_20scan_config_selectorIiEEZZNS1_9scan_implILNS1_25lookback_scan_determinismE0ELb1ELb1ES3_N6thrust23THRUST_200600_302600_NS6detail15normal_iteratorINS9_10device_ptrIiEEEENS9_16discard_iteratorINS9_11use_defaultEEEiNS9_4plusIvEEiEEDaPvRmT3_T4_T5_mT6_P12ihipStream_tbENKUlT_T0_E_clISt17integral_constantIbLb1EESW_IbLb0EEEEDaSS_ST_EUlSS_E0_NS1_11comp_targetILNS1_3genE8ELNS1_11target_archE1030ELNS1_3gpuE2ELNS1_3repE0EEENS1_30default_config_static_selectorELNS0_4arch9wavefront6targetE1EEEvT1_
	.globl	_ZN7rocprim17ROCPRIM_400000_NS6detail17trampoline_kernelINS0_14default_configENS1_20scan_config_selectorIiEEZZNS1_9scan_implILNS1_25lookback_scan_determinismE0ELb1ELb1ES3_N6thrust23THRUST_200600_302600_NS6detail15normal_iteratorINS9_10device_ptrIiEEEENS9_16discard_iteratorINS9_11use_defaultEEEiNS9_4plusIvEEiEEDaPvRmT3_T4_T5_mT6_P12ihipStream_tbENKUlT_T0_E_clISt17integral_constantIbLb1EESW_IbLb0EEEEDaSS_ST_EUlSS_E0_NS1_11comp_targetILNS1_3genE8ELNS1_11target_archE1030ELNS1_3gpuE2ELNS1_3repE0EEENS1_30default_config_static_selectorELNS0_4arch9wavefront6targetE1EEEvT1_
	.p2align	8
	.type	_ZN7rocprim17ROCPRIM_400000_NS6detail17trampoline_kernelINS0_14default_configENS1_20scan_config_selectorIiEEZZNS1_9scan_implILNS1_25lookback_scan_determinismE0ELb1ELb1ES3_N6thrust23THRUST_200600_302600_NS6detail15normal_iteratorINS9_10device_ptrIiEEEENS9_16discard_iteratorINS9_11use_defaultEEEiNS9_4plusIvEEiEEDaPvRmT3_T4_T5_mT6_P12ihipStream_tbENKUlT_T0_E_clISt17integral_constantIbLb1EESW_IbLb0EEEEDaSS_ST_EUlSS_E0_NS1_11comp_targetILNS1_3genE8ELNS1_11target_archE1030ELNS1_3gpuE2ELNS1_3repE0EEENS1_30default_config_static_selectorELNS0_4arch9wavefront6targetE1EEEvT1_,@function
_ZN7rocprim17ROCPRIM_400000_NS6detail17trampoline_kernelINS0_14default_configENS1_20scan_config_selectorIiEEZZNS1_9scan_implILNS1_25lookback_scan_determinismE0ELb1ELb1ES3_N6thrust23THRUST_200600_302600_NS6detail15normal_iteratorINS9_10device_ptrIiEEEENS9_16discard_iteratorINS9_11use_defaultEEEiNS9_4plusIvEEiEEDaPvRmT3_T4_T5_mT6_P12ihipStream_tbENKUlT_T0_E_clISt17integral_constantIbLb1EESW_IbLb0EEEEDaSS_ST_EUlSS_E0_NS1_11comp_targetILNS1_3genE8ELNS1_11target_archE1030ELNS1_3gpuE2ELNS1_3repE0EEENS1_30default_config_static_selectorELNS0_4arch9wavefront6targetE1EEEvT1_: ; @_ZN7rocprim17ROCPRIM_400000_NS6detail17trampoline_kernelINS0_14default_configENS1_20scan_config_selectorIiEEZZNS1_9scan_implILNS1_25lookback_scan_determinismE0ELb1ELb1ES3_N6thrust23THRUST_200600_302600_NS6detail15normal_iteratorINS9_10device_ptrIiEEEENS9_16discard_iteratorINS9_11use_defaultEEEiNS9_4plusIvEEiEEDaPvRmT3_T4_T5_mT6_P12ihipStream_tbENKUlT_T0_E_clISt17integral_constantIbLb1EESW_IbLb0EEEEDaSS_ST_EUlSS_E0_NS1_11comp_targetILNS1_3genE8ELNS1_11target_archE1030ELNS1_3gpuE2ELNS1_3repE0EEENS1_30default_config_static_selectorELNS0_4arch9wavefront6targetE1EEEvT1_
; %bb.0:
	.section	.rodata,"a",@progbits
	.p2align	6, 0x0
	.amdhsa_kernel _ZN7rocprim17ROCPRIM_400000_NS6detail17trampoline_kernelINS0_14default_configENS1_20scan_config_selectorIiEEZZNS1_9scan_implILNS1_25lookback_scan_determinismE0ELb1ELb1ES3_N6thrust23THRUST_200600_302600_NS6detail15normal_iteratorINS9_10device_ptrIiEEEENS9_16discard_iteratorINS9_11use_defaultEEEiNS9_4plusIvEEiEEDaPvRmT3_T4_T5_mT6_P12ihipStream_tbENKUlT_T0_E_clISt17integral_constantIbLb1EESW_IbLb0EEEEDaSS_ST_EUlSS_E0_NS1_11comp_targetILNS1_3genE8ELNS1_11target_archE1030ELNS1_3gpuE2ELNS1_3repE0EEENS1_30default_config_static_selectorELNS0_4arch9wavefront6targetE1EEEvT1_
		.amdhsa_group_segment_fixed_size 0
		.amdhsa_private_segment_fixed_size 0
		.amdhsa_kernarg_size 40
		.amdhsa_user_sgpr_count 6
		.amdhsa_user_sgpr_private_segment_buffer 1
		.amdhsa_user_sgpr_dispatch_ptr 0
		.amdhsa_user_sgpr_queue_ptr 0
		.amdhsa_user_sgpr_kernarg_segment_ptr 1
		.amdhsa_user_sgpr_dispatch_id 0
		.amdhsa_user_sgpr_flat_scratch_init 0
		.amdhsa_user_sgpr_kernarg_preload_length 0
		.amdhsa_user_sgpr_kernarg_preload_offset 0
		.amdhsa_user_sgpr_private_segment_size 0
		.amdhsa_uses_dynamic_stack 0
		.amdhsa_system_sgpr_private_segment_wavefront_offset 0
		.amdhsa_system_sgpr_workgroup_id_x 1
		.amdhsa_system_sgpr_workgroup_id_y 0
		.amdhsa_system_sgpr_workgroup_id_z 0
		.amdhsa_system_sgpr_workgroup_info 0
		.amdhsa_system_vgpr_workitem_id 0
		.amdhsa_next_free_vgpr 1
		.amdhsa_next_free_sgpr 0
		.amdhsa_accum_offset 4
		.amdhsa_reserve_vcc 0
		.amdhsa_reserve_flat_scratch 0
		.amdhsa_float_round_mode_32 0
		.amdhsa_float_round_mode_16_64 0
		.amdhsa_float_denorm_mode_32 3
		.amdhsa_float_denorm_mode_16_64 3
		.amdhsa_dx10_clamp 1
		.amdhsa_ieee_mode 1
		.amdhsa_fp16_overflow 0
		.amdhsa_tg_split 0
		.amdhsa_exception_fp_ieee_invalid_op 0
		.amdhsa_exception_fp_denorm_src 0
		.amdhsa_exception_fp_ieee_div_zero 0
		.amdhsa_exception_fp_ieee_overflow 0
		.amdhsa_exception_fp_ieee_underflow 0
		.amdhsa_exception_fp_ieee_inexact 0
		.amdhsa_exception_int_div_zero 0
	.end_amdhsa_kernel
	.section	.text._ZN7rocprim17ROCPRIM_400000_NS6detail17trampoline_kernelINS0_14default_configENS1_20scan_config_selectorIiEEZZNS1_9scan_implILNS1_25lookback_scan_determinismE0ELb1ELb1ES3_N6thrust23THRUST_200600_302600_NS6detail15normal_iteratorINS9_10device_ptrIiEEEENS9_16discard_iteratorINS9_11use_defaultEEEiNS9_4plusIvEEiEEDaPvRmT3_T4_T5_mT6_P12ihipStream_tbENKUlT_T0_E_clISt17integral_constantIbLb1EESW_IbLb0EEEEDaSS_ST_EUlSS_E0_NS1_11comp_targetILNS1_3genE8ELNS1_11target_archE1030ELNS1_3gpuE2ELNS1_3repE0EEENS1_30default_config_static_selectorELNS0_4arch9wavefront6targetE1EEEvT1_,"axG",@progbits,_ZN7rocprim17ROCPRIM_400000_NS6detail17trampoline_kernelINS0_14default_configENS1_20scan_config_selectorIiEEZZNS1_9scan_implILNS1_25lookback_scan_determinismE0ELb1ELb1ES3_N6thrust23THRUST_200600_302600_NS6detail15normal_iteratorINS9_10device_ptrIiEEEENS9_16discard_iteratorINS9_11use_defaultEEEiNS9_4plusIvEEiEEDaPvRmT3_T4_T5_mT6_P12ihipStream_tbENKUlT_T0_E_clISt17integral_constantIbLb1EESW_IbLb0EEEEDaSS_ST_EUlSS_E0_NS1_11comp_targetILNS1_3genE8ELNS1_11target_archE1030ELNS1_3gpuE2ELNS1_3repE0EEENS1_30default_config_static_selectorELNS0_4arch9wavefront6targetE1EEEvT1_,comdat
.Lfunc_end5851:
	.size	_ZN7rocprim17ROCPRIM_400000_NS6detail17trampoline_kernelINS0_14default_configENS1_20scan_config_selectorIiEEZZNS1_9scan_implILNS1_25lookback_scan_determinismE0ELb1ELb1ES3_N6thrust23THRUST_200600_302600_NS6detail15normal_iteratorINS9_10device_ptrIiEEEENS9_16discard_iteratorINS9_11use_defaultEEEiNS9_4plusIvEEiEEDaPvRmT3_T4_T5_mT6_P12ihipStream_tbENKUlT_T0_E_clISt17integral_constantIbLb1EESW_IbLb0EEEEDaSS_ST_EUlSS_E0_NS1_11comp_targetILNS1_3genE8ELNS1_11target_archE1030ELNS1_3gpuE2ELNS1_3repE0EEENS1_30default_config_static_selectorELNS0_4arch9wavefront6targetE1EEEvT1_, .Lfunc_end5851-_ZN7rocprim17ROCPRIM_400000_NS6detail17trampoline_kernelINS0_14default_configENS1_20scan_config_selectorIiEEZZNS1_9scan_implILNS1_25lookback_scan_determinismE0ELb1ELb1ES3_N6thrust23THRUST_200600_302600_NS6detail15normal_iteratorINS9_10device_ptrIiEEEENS9_16discard_iteratorINS9_11use_defaultEEEiNS9_4plusIvEEiEEDaPvRmT3_T4_T5_mT6_P12ihipStream_tbENKUlT_T0_E_clISt17integral_constantIbLb1EESW_IbLb0EEEEDaSS_ST_EUlSS_E0_NS1_11comp_targetILNS1_3genE8ELNS1_11target_archE1030ELNS1_3gpuE2ELNS1_3repE0EEENS1_30default_config_static_selectorELNS0_4arch9wavefront6targetE1EEEvT1_
                                        ; -- End function
	.section	.AMDGPU.csdata,"",@progbits
; Kernel info:
; codeLenInByte = 0
; NumSgprs: 4
; NumVgprs: 0
; NumAgprs: 0
; TotalNumVgprs: 0
; ScratchSize: 0
; MemoryBound: 0
; FloatMode: 240
; IeeeMode: 1
; LDSByteSize: 0 bytes/workgroup (compile time only)
; SGPRBlocks: 0
; VGPRBlocks: 0
; NumSGPRsForWavesPerEU: 4
; NumVGPRsForWavesPerEU: 1
; AccumOffset: 4
; Occupancy: 8
; WaveLimiterHint : 0
; COMPUTE_PGM_RSRC2:SCRATCH_EN: 0
; COMPUTE_PGM_RSRC2:USER_SGPR: 6
; COMPUTE_PGM_RSRC2:TRAP_HANDLER: 0
; COMPUTE_PGM_RSRC2:TGID_X_EN: 1
; COMPUTE_PGM_RSRC2:TGID_Y_EN: 0
; COMPUTE_PGM_RSRC2:TGID_Z_EN: 0
; COMPUTE_PGM_RSRC2:TIDIG_COMP_CNT: 0
; COMPUTE_PGM_RSRC3_GFX90A:ACCUM_OFFSET: 0
; COMPUTE_PGM_RSRC3_GFX90A:TG_SPLIT: 0
	.section	.text._ZN7rocprim17ROCPRIM_400000_NS6detail17trampoline_kernelINS0_14default_configENS1_20scan_config_selectorIiEEZZNS1_9scan_implILNS1_25lookback_scan_determinismE0ELb1ELb1ES3_N6thrust23THRUST_200600_302600_NS6detail15normal_iteratorINS9_10device_ptrIiEEEENS9_16discard_iteratorINS9_11use_defaultEEEiNS9_4plusIvEEiEEDaPvRmT3_T4_T5_mT6_P12ihipStream_tbENKUlT_T0_E_clISt17integral_constantIbLb0EESW_IbLb1EEEEDaSS_ST_EUlSS_E_NS1_11comp_targetILNS1_3genE0ELNS1_11target_archE4294967295ELNS1_3gpuE0ELNS1_3repE0EEENS1_30default_config_static_selectorELNS0_4arch9wavefront6targetE1EEEvT1_,"axG",@progbits,_ZN7rocprim17ROCPRIM_400000_NS6detail17trampoline_kernelINS0_14default_configENS1_20scan_config_selectorIiEEZZNS1_9scan_implILNS1_25lookback_scan_determinismE0ELb1ELb1ES3_N6thrust23THRUST_200600_302600_NS6detail15normal_iteratorINS9_10device_ptrIiEEEENS9_16discard_iteratorINS9_11use_defaultEEEiNS9_4plusIvEEiEEDaPvRmT3_T4_T5_mT6_P12ihipStream_tbENKUlT_T0_E_clISt17integral_constantIbLb0EESW_IbLb1EEEEDaSS_ST_EUlSS_E_NS1_11comp_targetILNS1_3genE0ELNS1_11target_archE4294967295ELNS1_3gpuE0ELNS1_3repE0EEENS1_30default_config_static_selectorELNS0_4arch9wavefront6targetE1EEEvT1_,comdat
	.protected	_ZN7rocprim17ROCPRIM_400000_NS6detail17trampoline_kernelINS0_14default_configENS1_20scan_config_selectorIiEEZZNS1_9scan_implILNS1_25lookback_scan_determinismE0ELb1ELb1ES3_N6thrust23THRUST_200600_302600_NS6detail15normal_iteratorINS9_10device_ptrIiEEEENS9_16discard_iteratorINS9_11use_defaultEEEiNS9_4plusIvEEiEEDaPvRmT3_T4_T5_mT6_P12ihipStream_tbENKUlT_T0_E_clISt17integral_constantIbLb0EESW_IbLb1EEEEDaSS_ST_EUlSS_E_NS1_11comp_targetILNS1_3genE0ELNS1_11target_archE4294967295ELNS1_3gpuE0ELNS1_3repE0EEENS1_30default_config_static_selectorELNS0_4arch9wavefront6targetE1EEEvT1_ ; -- Begin function _ZN7rocprim17ROCPRIM_400000_NS6detail17trampoline_kernelINS0_14default_configENS1_20scan_config_selectorIiEEZZNS1_9scan_implILNS1_25lookback_scan_determinismE0ELb1ELb1ES3_N6thrust23THRUST_200600_302600_NS6detail15normal_iteratorINS9_10device_ptrIiEEEENS9_16discard_iteratorINS9_11use_defaultEEEiNS9_4plusIvEEiEEDaPvRmT3_T4_T5_mT6_P12ihipStream_tbENKUlT_T0_E_clISt17integral_constantIbLb0EESW_IbLb1EEEEDaSS_ST_EUlSS_E_NS1_11comp_targetILNS1_3genE0ELNS1_11target_archE4294967295ELNS1_3gpuE0ELNS1_3repE0EEENS1_30default_config_static_selectorELNS0_4arch9wavefront6targetE1EEEvT1_
	.globl	_ZN7rocprim17ROCPRIM_400000_NS6detail17trampoline_kernelINS0_14default_configENS1_20scan_config_selectorIiEEZZNS1_9scan_implILNS1_25lookback_scan_determinismE0ELb1ELb1ES3_N6thrust23THRUST_200600_302600_NS6detail15normal_iteratorINS9_10device_ptrIiEEEENS9_16discard_iteratorINS9_11use_defaultEEEiNS9_4plusIvEEiEEDaPvRmT3_T4_T5_mT6_P12ihipStream_tbENKUlT_T0_E_clISt17integral_constantIbLb0EESW_IbLb1EEEEDaSS_ST_EUlSS_E_NS1_11comp_targetILNS1_3genE0ELNS1_11target_archE4294967295ELNS1_3gpuE0ELNS1_3repE0EEENS1_30default_config_static_selectorELNS0_4arch9wavefront6targetE1EEEvT1_
	.p2align	8
	.type	_ZN7rocprim17ROCPRIM_400000_NS6detail17trampoline_kernelINS0_14default_configENS1_20scan_config_selectorIiEEZZNS1_9scan_implILNS1_25lookback_scan_determinismE0ELb1ELb1ES3_N6thrust23THRUST_200600_302600_NS6detail15normal_iteratorINS9_10device_ptrIiEEEENS9_16discard_iteratorINS9_11use_defaultEEEiNS9_4plusIvEEiEEDaPvRmT3_T4_T5_mT6_P12ihipStream_tbENKUlT_T0_E_clISt17integral_constantIbLb0EESW_IbLb1EEEEDaSS_ST_EUlSS_E_NS1_11comp_targetILNS1_3genE0ELNS1_11target_archE4294967295ELNS1_3gpuE0ELNS1_3repE0EEENS1_30default_config_static_selectorELNS0_4arch9wavefront6targetE1EEEvT1_,@function
_ZN7rocprim17ROCPRIM_400000_NS6detail17trampoline_kernelINS0_14default_configENS1_20scan_config_selectorIiEEZZNS1_9scan_implILNS1_25lookback_scan_determinismE0ELb1ELb1ES3_N6thrust23THRUST_200600_302600_NS6detail15normal_iteratorINS9_10device_ptrIiEEEENS9_16discard_iteratorINS9_11use_defaultEEEiNS9_4plusIvEEiEEDaPvRmT3_T4_T5_mT6_P12ihipStream_tbENKUlT_T0_E_clISt17integral_constantIbLb0EESW_IbLb1EEEEDaSS_ST_EUlSS_E_NS1_11comp_targetILNS1_3genE0ELNS1_11target_archE4294967295ELNS1_3gpuE0ELNS1_3repE0EEENS1_30default_config_static_selectorELNS0_4arch9wavefront6targetE1EEEvT1_: ; @_ZN7rocprim17ROCPRIM_400000_NS6detail17trampoline_kernelINS0_14default_configENS1_20scan_config_selectorIiEEZZNS1_9scan_implILNS1_25lookback_scan_determinismE0ELb1ELb1ES3_N6thrust23THRUST_200600_302600_NS6detail15normal_iteratorINS9_10device_ptrIiEEEENS9_16discard_iteratorINS9_11use_defaultEEEiNS9_4plusIvEEiEEDaPvRmT3_T4_T5_mT6_P12ihipStream_tbENKUlT_T0_E_clISt17integral_constantIbLb0EESW_IbLb1EEEEDaSS_ST_EUlSS_E_NS1_11comp_targetILNS1_3genE0ELNS1_11target_archE4294967295ELNS1_3gpuE0ELNS1_3repE0EEENS1_30default_config_static_selectorELNS0_4arch9wavefront6targetE1EEEvT1_
; %bb.0:
	.section	.rodata,"a",@progbits
	.p2align	6, 0x0
	.amdhsa_kernel _ZN7rocprim17ROCPRIM_400000_NS6detail17trampoline_kernelINS0_14default_configENS1_20scan_config_selectorIiEEZZNS1_9scan_implILNS1_25lookback_scan_determinismE0ELb1ELb1ES3_N6thrust23THRUST_200600_302600_NS6detail15normal_iteratorINS9_10device_ptrIiEEEENS9_16discard_iteratorINS9_11use_defaultEEEiNS9_4plusIvEEiEEDaPvRmT3_T4_T5_mT6_P12ihipStream_tbENKUlT_T0_E_clISt17integral_constantIbLb0EESW_IbLb1EEEEDaSS_ST_EUlSS_E_NS1_11comp_targetILNS1_3genE0ELNS1_11target_archE4294967295ELNS1_3gpuE0ELNS1_3repE0EEENS1_30default_config_static_selectorELNS0_4arch9wavefront6targetE1EEEvT1_
		.amdhsa_group_segment_fixed_size 0
		.amdhsa_private_segment_fixed_size 0
		.amdhsa_kernarg_size 104
		.amdhsa_user_sgpr_count 6
		.amdhsa_user_sgpr_private_segment_buffer 1
		.amdhsa_user_sgpr_dispatch_ptr 0
		.amdhsa_user_sgpr_queue_ptr 0
		.amdhsa_user_sgpr_kernarg_segment_ptr 1
		.amdhsa_user_sgpr_dispatch_id 0
		.amdhsa_user_sgpr_flat_scratch_init 0
		.amdhsa_user_sgpr_kernarg_preload_length 0
		.amdhsa_user_sgpr_kernarg_preload_offset 0
		.amdhsa_user_sgpr_private_segment_size 0
		.amdhsa_uses_dynamic_stack 0
		.amdhsa_system_sgpr_private_segment_wavefront_offset 0
		.amdhsa_system_sgpr_workgroup_id_x 1
		.amdhsa_system_sgpr_workgroup_id_y 0
		.amdhsa_system_sgpr_workgroup_id_z 0
		.amdhsa_system_sgpr_workgroup_info 0
		.amdhsa_system_vgpr_workitem_id 0
		.amdhsa_next_free_vgpr 1
		.amdhsa_next_free_sgpr 0
		.amdhsa_accum_offset 4
		.amdhsa_reserve_vcc 0
		.amdhsa_reserve_flat_scratch 0
		.amdhsa_float_round_mode_32 0
		.amdhsa_float_round_mode_16_64 0
		.amdhsa_float_denorm_mode_32 3
		.amdhsa_float_denorm_mode_16_64 3
		.amdhsa_dx10_clamp 1
		.amdhsa_ieee_mode 1
		.amdhsa_fp16_overflow 0
		.amdhsa_tg_split 0
		.amdhsa_exception_fp_ieee_invalid_op 0
		.amdhsa_exception_fp_denorm_src 0
		.amdhsa_exception_fp_ieee_div_zero 0
		.amdhsa_exception_fp_ieee_overflow 0
		.amdhsa_exception_fp_ieee_underflow 0
		.amdhsa_exception_fp_ieee_inexact 0
		.amdhsa_exception_int_div_zero 0
	.end_amdhsa_kernel
	.section	.text._ZN7rocprim17ROCPRIM_400000_NS6detail17trampoline_kernelINS0_14default_configENS1_20scan_config_selectorIiEEZZNS1_9scan_implILNS1_25lookback_scan_determinismE0ELb1ELb1ES3_N6thrust23THRUST_200600_302600_NS6detail15normal_iteratorINS9_10device_ptrIiEEEENS9_16discard_iteratorINS9_11use_defaultEEEiNS9_4plusIvEEiEEDaPvRmT3_T4_T5_mT6_P12ihipStream_tbENKUlT_T0_E_clISt17integral_constantIbLb0EESW_IbLb1EEEEDaSS_ST_EUlSS_E_NS1_11comp_targetILNS1_3genE0ELNS1_11target_archE4294967295ELNS1_3gpuE0ELNS1_3repE0EEENS1_30default_config_static_selectorELNS0_4arch9wavefront6targetE1EEEvT1_,"axG",@progbits,_ZN7rocprim17ROCPRIM_400000_NS6detail17trampoline_kernelINS0_14default_configENS1_20scan_config_selectorIiEEZZNS1_9scan_implILNS1_25lookback_scan_determinismE0ELb1ELb1ES3_N6thrust23THRUST_200600_302600_NS6detail15normal_iteratorINS9_10device_ptrIiEEEENS9_16discard_iteratorINS9_11use_defaultEEEiNS9_4plusIvEEiEEDaPvRmT3_T4_T5_mT6_P12ihipStream_tbENKUlT_T0_E_clISt17integral_constantIbLb0EESW_IbLb1EEEEDaSS_ST_EUlSS_E_NS1_11comp_targetILNS1_3genE0ELNS1_11target_archE4294967295ELNS1_3gpuE0ELNS1_3repE0EEENS1_30default_config_static_selectorELNS0_4arch9wavefront6targetE1EEEvT1_,comdat
.Lfunc_end5852:
	.size	_ZN7rocprim17ROCPRIM_400000_NS6detail17trampoline_kernelINS0_14default_configENS1_20scan_config_selectorIiEEZZNS1_9scan_implILNS1_25lookback_scan_determinismE0ELb1ELb1ES3_N6thrust23THRUST_200600_302600_NS6detail15normal_iteratorINS9_10device_ptrIiEEEENS9_16discard_iteratorINS9_11use_defaultEEEiNS9_4plusIvEEiEEDaPvRmT3_T4_T5_mT6_P12ihipStream_tbENKUlT_T0_E_clISt17integral_constantIbLb0EESW_IbLb1EEEEDaSS_ST_EUlSS_E_NS1_11comp_targetILNS1_3genE0ELNS1_11target_archE4294967295ELNS1_3gpuE0ELNS1_3repE0EEENS1_30default_config_static_selectorELNS0_4arch9wavefront6targetE1EEEvT1_, .Lfunc_end5852-_ZN7rocprim17ROCPRIM_400000_NS6detail17trampoline_kernelINS0_14default_configENS1_20scan_config_selectorIiEEZZNS1_9scan_implILNS1_25lookback_scan_determinismE0ELb1ELb1ES3_N6thrust23THRUST_200600_302600_NS6detail15normal_iteratorINS9_10device_ptrIiEEEENS9_16discard_iteratorINS9_11use_defaultEEEiNS9_4plusIvEEiEEDaPvRmT3_T4_T5_mT6_P12ihipStream_tbENKUlT_T0_E_clISt17integral_constantIbLb0EESW_IbLb1EEEEDaSS_ST_EUlSS_E_NS1_11comp_targetILNS1_3genE0ELNS1_11target_archE4294967295ELNS1_3gpuE0ELNS1_3repE0EEENS1_30default_config_static_selectorELNS0_4arch9wavefront6targetE1EEEvT1_
                                        ; -- End function
	.section	.AMDGPU.csdata,"",@progbits
; Kernel info:
; codeLenInByte = 0
; NumSgprs: 4
; NumVgprs: 0
; NumAgprs: 0
; TotalNumVgprs: 0
; ScratchSize: 0
; MemoryBound: 0
; FloatMode: 240
; IeeeMode: 1
; LDSByteSize: 0 bytes/workgroup (compile time only)
; SGPRBlocks: 0
; VGPRBlocks: 0
; NumSGPRsForWavesPerEU: 4
; NumVGPRsForWavesPerEU: 1
; AccumOffset: 4
; Occupancy: 8
; WaveLimiterHint : 0
; COMPUTE_PGM_RSRC2:SCRATCH_EN: 0
; COMPUTE_PGM_RSRC2:USER_SGPR: 6
; COMPUTE_PGM_RSRC2:TRAP_HANDLER: 0
; COMPUTE_PGM_RSRC2:TGID_X_EN: 1
; COMPUTE_PGM_RSRC2:TGID_Y_EN: 0
; COMPUTE_PGM_RSRC2:TGID_Z_EN: 0
; COMPUTE_PGM_RSRC2:TIDIG_COMP_CNT: 0
; COMPUTE_PGM_RSRC3_GFX90A:ACCUM_OFFSET: 0
; COMPUTE_PGM_RSRC3_GFX90A:TG_SPLIT: 0
	.section	.text._ZN7rocprim17ROCPRIM_400000_NS6detail17trampoline_kernelINS0_14default_configENS1_20scan_config_selectorIiEEZZNS1_9scan_implILNS1_25lookback_scan_determinismE0ELb1ELb1ES3_N6thrust23THRUST_200600_302600_NS6detail15normal_iteratorINS9_10device_ptrIiEEEENS9_16discard_iteratorINS9_11use_defaultEEEiNS9_4plusIvEEiEEDaPvRmT3_T4_T5_mT6_P12ihipStream_tbENKUlT_T0_E_clISt17integral_constantIbLb0EESW_IbLb1EEEEDaSS_ST_EUlSS_E_NS1_11comp_targetILNS1_3genE5ELNS1_11target_archE942ELNS1_3gpuE9ELNS1_3repE0EEENS1_30default_config_static_selectorELNS0_4arch9wavefront6targetE1EEEvT1_,"axG",@progbits,_ZN7rocprim17ROCPRIM_400000_NS6detail17trampoline_kernelINS0_14default_configENS1_20scan_config_selectorIiEEZZNS1_9scan_implILNS1_25lookback_scan_determinismE0ELb1ELb1ES3_N6thrust23THRUST_200600_302600_NS6detail15normal_iteratorINS9_10device_ptrIiEEEENS9_16discard_iteratorINS9_11use_defaultEEEiNS9_4plusIvEEiEEDaPvRmT3_T4_T5_mT6_P12ihipStream_tbENKUlT_T0_E_clISt17integral_constantIbLb0EESW_IbLb1EEEEDaSS_ST_EUlSS_E_NS1_11comp_targetILNS1_3genE5ELNS1_11target_archE942ELNS1_3gpuE9ELNS1_3repE0EEENS1_30default_config_static_selectorELNS0_4arch9wavefront6targetE1EEEvT1_,comdat
	.protected	_ZN7rocprim17ROCPRIM_400000_NS6detail17trampoline_kernelINS0_14default_configENS1_20scan_config_selectorIiEEZZNS1_9scan_implILNS1_25lookback_scan_determinismE0ELb1ELb1ES3_N6thrust23THRUST_200600_302600_NS6detail15normal_iteratorINS9_10device_ptrIiEEEENS9_16discard_iteratorINS9_11use_defaultEEEiNS9_4plusIvEEiEEDaPvRmT3_T4_T5_mT6_P12ihipStream_tbENKUlT_T0_E_clISt17integral_constantIbLb0EESW_IbLb1EEEEDaSS_ST_EUlSS_E_NS1_11comp_targetILNS1_3genE5ELNS1_11target_archE942ELNS1_3gpuE9ELNS1_3repE0EEENS1_30default_config_static_selectorELNS0_4arch9wavefront6targetE1EEEvT1_ ; -- Begin function _ZN7rocprim17ROCPRIM_400000_NS6detail17trampoline_kernelINS0_14default_configENS1_20scan_config_selectorIiEEZZNS1_9scan_implILNS1_25lookback_scan_determinismE0ELb1ELb1ES3_N6thrust23THRUST_200600_302600_NS6detail15normal_iteratorINS9_10device_ptrIiEEEENS9_16discard_iteratorINS9_11use_defaultEEEiNS9_4plusIvEEiEEDaPvRmT3_T4_T5_mT6_P12ihipStream_tbENKUlT_T0_E_clISt17integral_constantIbLb0EESW_IbLb1EEEEDaSS_ST_EUlSS_E_NS1_11comp_targetILNS1_3genE5ELNS1_11target_archE942ELNS1_3gpuE9ELNS1_3repE0EEENS1_30default_config_static_selectorELNS0_4arch9wavefront6targetE1EEEvT1_
	.globl	_ZN7rocprim17ROCPRIM_400000_NS6detail17trampoline_kernelINS0_14default_configENS1_20scan_config_selectorIiEEZZNS1_9scan_implILNS1_25lookback_scan_determinismE0ELb1ELb1ES3_N6thrust23THRUST_200600_302600_NS6detail15normal_iteratorINS9_10device_ptrIiEEEENS9_16discard_iteratorINS9_11use_defaultEEEiNS9_4plusIvEEiEEDaPvRmT3_T4_T5_mT6_P12ihipStream_tbENKUlT_T0_E_clISt17integral_constantIbLb0EESW_IbLb1EEEEDaSS_ST_EUlSS_E_NS1_11comp_targetILNS1_3genE5ELNS1_11target_archE942ELNS1_3gpuE9ELNS1_3repE0EEENS1_30default_config_static_selectorELNS0_4arch9wavefront6targetE1EEEvT1_
	.p2align	8
	.type	_ZN7rocprim17ROCPRIM_400000_NS6detail17trampoline_kernelINS0_14default_configENS1_20scan_config_selectorIiEEZZNS1_9scan_implILNS1_25lookback_scan_determinismE0ELb1ELb1ES3_N6thrust23THRUST_200600_302600_NS6detail15normal_iteratorINS9_10device_ptrIiEEEENS9_16discard_iteratorINS9_11use_defaultEEEiNS9_4plusIvEEiEEDaPvRmT3_T4_T5_mT6_P12ihipStream_tbENKUlT_T0_E_clISt17integral_constantIbLb0EESW_IbLb1EEEEDaSS_ST_EUlSS_E_NS1_11comp_targetILNS1_3genE5ELNS1_11target_archE942ELNS1_3gpuE9ELNS1_3repE0EEENS1_30default_config_static_selectorELNS0_4arch9wavefront6targetE1EEEvT1_,@function
_ZN7rocprim17ROCPRIM_400000_NS6detail17trampoline_kernelINS0_14default_configENS1_20scan_config_selectorIiEEZZNS1_9scan_implILNS1_25lookback_scan_determinismE0ELb1ELb1ES3_N6thrust23THRUST_200600_302600_NS6detail15normal_iteratorINS9_10device_ptrIiEEEENS9_16discard_iteratorINS9_11use_defaultEEEiNS9_4plusIvEEiEEDaPvRmT3_T4_T5_mT6_P12ihipStream_tbENKUlT_T0_E_clISt17integral_constantIbLb0EESW_IbLb1EEEEDaSS_ST_EUlSS_E_NS1_11comp_targetILNS1_3genE5ELNS1_11target_archE942ELNS1_3gpuE9ELNS1_3repE0EEENS1_30default_config_static_selectorELNS0_4arch9wavefront6targetE1EEEvT1_: ; @_ZN7rocprim17ROCPRIM_400000_NS6detail17trampoline_kernelINS0_14default_configENS1_20scan_config_selectorIiEEZZNS1_9scan_implILNS1_25lookback_scan_determinismE0ELb1ELb1ES3_N6thrust23THRUST_200600_302600_NS6detail15normal_iteratorINS9_10device_ptrIiEEEENS9_16discard_iteratorINS9_11use_defaultEEEiNS9_4plusIvEEiEEDaPvRmT3_T4_T5_mT6_P12ihipStream_tbENKUlT_T0_E_clISt17integral_constantIbLb0EESW_IbLb1EEEEDaSS_ST_EUlSS_E_NS1_11comp_targetILNS1_3genE5ELNS1_11target_archE942ELNS1_3gpuE9ELNS1_3repE0EEENS1_30default_config_static_selectorELNS0_4arch9wavefront6targetE1EEEvT1_
; %bb.0:
	.section	.rodata,"a",@progbits
	.p2align	6, 0x0
	.amdhsa_kernel _ZN7rocprim17ROCPRIM_400000_NS6detail17trampoline_kernelINS0_14default_configENS1_20scan_config_selectorIiEEZZNS1_9scan_implILNS1_25lookback_scan_determinismE0ELb1ELb1ES3_N6thrust23THRUST_200600_302600_NS6detail15normal_iteratorINS9_10device_ptrIiEEEENS9_16discard_iteratorINS9_11use_defaultEEEiNS9_4plusIvEEiEEDaPvRmT3_T4_T5_mT6_P12ihipStream_tbENKUlT_T0_E_clISt17integral_constantIbLb0EESW_IbLb1EEEEDaSS_ST_EUlSS_E_NS1_11comp_targetILNS1_3genE5ELNS1_11target_archE942ELNS1_3gpuE9ELNS1_3repE0EEENS1_30default_config_static_selectorELNS0_4arch9wavefront6targetE1EEEvT1_
		.amdhsa_group_segment_fixed_size 0
		.amdhsa_private_segment_fixed_size 0
		.amdhsa_kernarg_size 104
		.amdhsa_user_sgpr_count 6
		.amdhsa_user_sgpr_private_segment_buffer 1
		.amdhsa_user_sgpr_dispatch_ptr 0
		.amdhsa_user_sgpr_queue_ptr 0
		.amdhsa_user_sgpr_kernarg_segment_ptr 1
		.amdhsa_user_sgpr_dispatch_id 0
		.amdhsa_user_sgpr_flat_scratch_init 0
		.amdhsa_user_sgpr_kernarg_preload_length 0
		.amdhsa_user_sgpr_kernarg_preload_offset 0
		.amdhsa_user_sgpr_private_segment_size 0
		.amdhsa_uses_dynamic_stack 0
		.amdhsa_system_sgpr_private_segment_wavefront_offset 0
		.amdhsa_system_sgpr_workgroup_id_x 1
		.amdhsa_system_sgpr_workgroup_id_y 0
		.amdhsa_system_sgpr_workgroup_id_z 0
		.amdhsa_system_sgpr_workgroup_info 0
		.amdhsa_system_vgpr_workitem_id 0
		.amdhsa_next_free_vgpr 1
		.amdhsa_next_free_sgpr 0
		.amdhsa_accum_offset 4
		.amdhsa_reserve_vcc 0
		.amdhsa_reserve_flat_scratch 0
		.amdhsa_float_round_mode_32 0
		.amdhsa_float_round_mode_16_64 0
		.amdhsa_float_denorm_mode_32 3
		.amdhsa_float_denorm_mode_16_64 3
		.amdhsa_dx10_clamp 1
		.amdhsa_ieee_mode 1
		.amdhsa_fp16_overflow 0
		.amdhsa_tg_split 0
		.amdhsa_exception_fp_ieee_invalid_op 0
		.amdhsa_exception_fp_denorm_src 0
		.amdhsa_exception_fp_ieee_div_zero 0
		.amdhsa_exception_fp_ieee_overflow 0
		.amdhsa_exception_fp_ieee_underflow 0
		.amdhsa_exception_fp_ieee_inexact 0
		.amdhsa_exception_int_div_zero 0
	.end_amdhsa_kernel
	.section	.text._ZN7rocprim17ROCPRIM_400000_NS6detail17trampoline_kernelINS0_14default_configENS1_20scan_config_selectorIiEEZZNS1_9scan_implILNS1_25lookback_scan_determinismE0ELb1ELb1ES3_N6thrust23THRUST_200600_302600_NS6detail15normal_iteratorINS9_10device_ptrIiEEEENS9_16discard_iteratorINS9_11use_defaultEEEiNS9_4plusIvEEiEEDaPvRmT3_T4_T5_mT6_P12ihipStream_tbENKUlT_T0_E_clISt17integral_constantIbLb0EESW_IbLb1EEEEDaSS_ST_EUlSS_E_NS1_11comp_targetILNS1_3genE5ELNS1_11target_archE942ELNS1_3gpuE9ELNS1_3repE0EEENS1_30default_config_static_selectorELNS0_4arch9wavefront6targetE1EEEvT1_,"axG",@progbits,_ZN7rocprim17ROCPRIM_400000_NS6detail17trampoline_kernelINS0_14default_configENS1_20scan_config_selectorIiEEZZNS1_9scan_implILNS1_25lookback_scan_determinismE0ELb1ELb1ES3_N6thrust23THRUST_200600_302600_NS6detail15normal_iteratorINS9_10device_ptrIiEEEENS9_16discard_iteratorINS9_11use_defaultEEEiNS9_4plusIvEEiEEDaPvRmT3_T4_T5_mT6_P12ihipStream_tbENKUlT_T0_E_clISt17integral_constantIbLb0EESW_IbLb1EEEEDaSS_ST_EUlSS_E_NS1_11comp_targetILNS1_3genE5ELNS1_11target_archE942ELNS1_3gpuE9ELNS1_3repE0EEENS1_30default_config_static_selectorELNS0_4arch9wavefront6targetE1EEEvT1_,comdat
.Lfunc_end5853:
	.size	_ZN7rocprim17ROCPRIM_400000_NS6detail17trampoline_kernelINS0_14default_configENS1_20scan_config_selectorIiEEZZNS1_9scan_implILNS1_25lookback_scan_determinismE0ELb1ELb1ES3_N6thrust23THRUST_200600_302600_NS6detail15normal_iteratorINS9_10device_ptrIiEEEENS9_16discard_iteratorINS9_11use_defaultEEEiNS9_4plusIvEEiEEDaPvRmT3_T4_T5_mT6_P12ihipStream_tbENKUlT_T0_E_clISt17integral_constantIbLb0EESW_IbLb1EEEEDaSS_ST_EUlSS_E_NS1_11comp_targetILNS1_3genE5ELNS1_11target_archE942ELNS1_3gpuE9ELNS1_3repE0EEENS1_30default_config_static_selectorELNS0_4arch9wavefront6targetE1EEEvT1_, .Lfunc_end5853-_ZN7rocprim17ROCPRIM_400000_NS6detail17trampoline_kernelINS0_14default_configENS1_20scan_config_selectorIiEEZZNS1_9scan_implILNS1_25lookback_scan_determinismE0ELb1ELb1ES3_N6thrust23THRUST_200600_302600_NS6detail15normal_iteratorINS9_10device_ptrIiEEEENS9_16discard_iteratorINS9_11use_defaultEEEiNS9_4plusIvEEiEEDaPvRmT3_T4_T5_mT6_P12ihipStream_tbENKUlT_T0_E_clISt17integral_constantIbLb0EESW_IbLb1EEEEDaSS_ST_EUlSS_E_NS1_11comp_targetILNS1_3genE5ELNS1_11target_archE942ELNS1_3gpuE9ELNS1_3repE0EEENS1_30default_config_static_selectorELNS0_4arch9wavefront6targetE1EEEvT1_
                                        ; -- End function
	.section	.AMDGPU.csdata,"",@progbits
; Kernel info:
; codeLenInByte = 0
; NumSgprs: 4
; NumVgprs: 0
; NumAgprs: 0
; TotalNumVgprs: 0
; ScratchSize: 0
; MemoryBound: 0
; FloatMode: 240
; IeeeMode: 1
; LDSByteSize: 0 bytes/workgroup (compile time only)
; SGPRBlocks: 0
; VGPRBlocks: 0
; NumSGPRsForWavesPerEU: 4
; NumVGPRsForWavesPerEU: 1
; AccumOffset: 4
; Occupancy: 8
; WaveLimiterHint : 0
; COMPUTE_PGM_RSRC2:SCRATCH_EN: 0
; COMPUTE_PGM_RSRC2:USER_SGPR: 6
; COMPUTE_PGM_RSRC2:TRAP_HANDLER: 0
; COMPUTE_PGM_RSRC2:TGID_X_EN: 1
; COMPUTE_PGM_RSRC2:TGID_Y_EN: 0
; COMPUTE_PGM_RSRC2:TGID_Z_EN: 0
; COMPUTE_PGM_RSRC2:TIDIG_COMP_CNT: 0
; COMPUTE_PGM_RSRC3_GFX90A:ACCUM_OFFSET: 0
; COMPUTE_PGM_RSRC3_GFX90A:TG_SPLIT: 0
	.section	.text._ZN7rocprim17ROCPRIM_400000_NS6detail17trampoline_kernelINS0_14default_configENS1_20scan_config_selectorIiEEZZNS1_9scan_implILNS1_25lookback_scan_determinismE0ELb1ELb1ES3_N6thrust23THRUST_200600_302600_NS6detail15normal_iteratorINS9_10device_ptrIiEEEENS9_16discard_iteratorINS9_11use_defaultEEEiNS9_4plusIvEEiEEDaPvRmT3_T4_T5_mT6_P12ihipStream_tbENKUlT_T0_E_clISt17integral_constantIbLb0EESW_IbLb1EEEEDaSS_ST_EUlSS_E_NS1_11comp_targetILNS1_3genE4ELNS1_11target_archE910ELNS1_3gpuE8ELNS1_3repE0EEENS1_30default_config_static_selectorELNS0_4arch9wavefront6targetE1EEEvT1_,"axG",@progbits,_ZN7rocprim17ROCPRIM_400000_NS6detail17trampoline_kernelINS0_14default_configENS1_20scan_config_selectorIiEEZZNS1_9scan_implILNS1_25lookback_scan_determinismE0ELb1ELb1ES3_N6thrust23THRUST_200600_302600_NS6detail15normal_iteratorINS9_10device_ptrIiEEEENS9_16discard_iteratorINS9_11use_defaultEEEiNS9_4plusIvEEiEEDaPvRmT3_T4_T5_mT6_P12ihipStream_tbENKUlT_T0_E_clISt17integral_constantIbLb0EESW_IbLb1EEEEDaSS_ST_EUlSS_E_NS1_11comp_targetILNS1_3genE4ELNS1_11target_archE910ELNS1_3gpuE8ELNS1_3repE0EEENS1_30default_config_static_selectorELNS0_4arch9wavefront6targetE1EEEvT1_,comdat
	.protected	_ZN7rocprim17ROCPRIM_400000_NS6detail17trampoline_kernelINS0_14default_configENS1_20scan_config_selectorIiEEZZNS1_9scan_implILNS1_25lookback_scan_determinismE0ELb1ELb1ES3_N6thrust23THRUST_200600_302600_NS6detail15normal_iteratorINS9_10device_ptrIiEEEENS9_16discard_iteratorINS9_11use_defaultEEEiNS9_4plusIvEEiEEDaPvRmT3_T4_T5_mT6_P12ihipStream_tbENKUlT_T0_E_clISt17integral_constantIbLb0EESW_IbLb1EEEEDaSS_ST_EUlSS_E_NS1_11comp_targetILNS1_3genE4ELNS1_11target_archE910ELNS1_3gpuE8ELNS1_3repE0EEENS1_30default_config_static_selectorELNS0_4arch9wavefront6targetE1EEEvT1_ ; -- Begin function _ZN7rocprim17ROCPRIM_400000_NS6detail17trampoline_kernelINS0_14default_configENS1_20scan_config_selectorIiEEZZNS1_9scan_implILNS1_25lookback_scan_determinismE0ELb1ELb1ES3_N6thrust23THRUST_200600_302600_NS6detail15normal_iteratorINS9_10device_ptrIiEEEENS9_16discard_iteratorINS9_11use_defaultEEEiNS9_4plusIvEEiEEDaPvRmT3_T4_T5_mT6_P12ihipStream_tbENKUlT_T0_E_clISt17integral_constantIbLb0EESW_IbLb1EEEEDaSS_ST_EUlSS_E_NS1_11comp_targetILNS1_3genE4ELNS1_11target_archE910ELNS1_3gpuE8ELNS1_3repE0EEENS1_30default_config_static_selectorELNS0_4arch9wavefront6targetE1EEEvT1_
	.globl	_ZN7rocprim17ROCPRIM_400000_NS6detail17trampoline_kernelINS0_14default_configENS1_20scan_config_selectorIiEEZZNS1_9scan_implILNS1_25lookback_scan_determinismE0ELb1ELb1ES3_N6thrust23THRUST_200600_302600_NS6detail15normal_iteratorINS9_10device_ptrIiEEEENS9_16discard_iteratorINS9_11use_defaultEEEiNS9_4plusIvEEiEEDaPvRmT3_T4_T5_mT6_P12ihipStream_tbENKUlT_T0_E_clISt17integral_constantIbLb0EESW_IbLb1EEEEDaSS_ST_EUlSS_E_NS1_11comp_targetILNS1_3genE4ELNS1_11target_archE910ELNS1_3gpuE8ELNS1_3repE0EEENS1_30default_config_static_selectorELNS0_4arch9wavefront6targetE1EEEvT1_
	.p2align	8
	.type	_ZN7rocprim17ROCPRIM_400000_NS6detail17trampoline_kernelINS0_14default_configENS1_20scan_config_selectorIiEEZZNS1_9scan_implILNS1_25lookback_scan_determinismE0ELb1ELb1ES3_N6thrust23THRUST_200600_302600_NS6detail15normal_iteratorINS9_10device_ptrIiEEEENS9_16discard_iteratorINS9_11use_defaultEEEiNS9_4plusIvEEiEEDaPvRmT3_T4_T5_mT6_P12ihipStream_tbENKUlT_T0_E_clISt17integral_constantIbLb0EESW_IbLb1EEEEDaSS_ST_EUlSS_E_NS1_11comp_targetILNS1_3genE4ELNS1_11target_archE910ELNS1_3gpuE8ELNS1_3repE0EEENS1_30default_config_static_selectorELNS0_4arch9wavefront6targetE1EEEvT1_,@function
_ZN7rocprim17ROCPRIM_400000_NS6detail17trampoline_kernelINS0_14default_configENS1_20scan_config_selectorIiEEZZNS1_9scan_implILNS1_25lookback_scan_determinismE0ELb1ELb1ES3_N6thrust23THRUST_200600_302600_NS6detail15normal_iteratorINS9_10device_ptrIiEEEENS9_16discard_iteratorINS9_11use_defaultEEEiNS9_4plusIvEEiEEDaPvRmT3_T4_T5_mT6_P12ihipStream_tbENKUlT_T0_E_clISt17integral_constantIbLb0EESW_IbLb1EEEEDaSS_ST_EUlSS_E_NS1_11comp_targetILNS1_3genE4ELNS1_11target_archE910ELNS1_3gpuE8ELNS1_3repE0EEENS1_30default_config_static_selectorELNS0_4arch9wavefront6targetE1EEEvT1_: ; @_ZN7rocprim17ROCPRIM_400000_NS6detail17trampoline_kernelINS0_14default_configENS1_20scan_config_selectorIiEEZZNS1_9scan_implILNS1_25lookback_scan_determinismE0ELb1ELb1ES3_N6thrust23THRUST_200600_302600_NS6detail15normal_iteratorINS9_10device_ptrIiEEEENS9_16discard_iteratorINS9_11use_defaultEEEiNS9_4plusIvEEiEEDaPvRmT3_T4_T5_mT6_P12ihipStream_tbENKUlT_T0_E_clISt17integral_constantIbLb0EESW_IbLb1EEEEDaSS_ST_EUlSS_E_NS1_11comp_targetILNS1_3genE4ELNS1_11target_archE910ELNS1_3gpuE8ELNS1_3repE0EEENS1_30default_config_static_selectorELNS0_4arch9wavefront6targetE1EEEvT1_
; %bb.0:
	s_load_dwordx2 s[20:21], s[4:5], 0x20
	s_load_dword s26, s[4:5], 0x28
	s_load_dwordx2 s[6:7], s[4:5], 0x30
	v_cmp_ne_u32_e64 s[2:3], 0, v0
	v_cmp_eq_u32_e64 s[0:1], 0, v0
	s_and_saveexec_b64 s[8:9], s[0:1]
	s_cbranch_execz .LBB5854_4
; %bb.1:
	s_mov_b64 s[12:13], exec
	v_mbcnt_lo_u32_b32 v1, s12, 0
	v_mbcnt_hi_u32_b32 v1, s13, v1
	v_cmp_eq_u32_e32 vcc, 0, v1
                                        ; implicit-def: $vgpr2
	s_and_saveexec_b64 s[10:11], vcc
	s_cbranch_execz .LBB5854_3
; %bb.2:
	s_load_dwordx2 s[14:15], s[4:5], 0x60
	s_bcnt1_i32_b64 s12, s[12:13]
	v_mov_b32_e32 v2, 0
	v_mov_b32_e32 v3, s12
	s_waitcnt lgkmcnt(0)
	global_atomic_add v2, v2, v3, s[14:15] glc
.LBB5854_3:
	s_or_b64 exec, exec, s[10:11]
	s_waitcnt vmcnt(0)
	v_readfirstlane_b32 s10, v2
	v_add_u32_e32 v1, s10, v1
	v_mov_b32_e32 v2, 0
	ds_write_b32 v2, v1
.LBB5854_4:
	s_or_b64 exec, exec, s[8:9]
	v_mov_b32_e32 v3, 0
	s_load_dwordx4 s[16:19], s[4:5], 0x0
	s_load_dword s22, s[4:5], 0x38
	s_load_dwordx8 s[8:15], s[4:5], 0x40
	s_waitcnt lgkmcnt(0)
	s_barrier
	ds_read_b32 v1, v3
	s_lshl_b64 s[4:5], s[18:19], 2
	s_add_u32 s27, s16, s4
	s_movk_i32 s4, 0x500
	s_addc_u32 s28, s17, s5
	s_waitcnt lgkmcnt(0)
	v_mul_lo_u32 v2, v1, s4
	s_add_i32 s4, s22, -1
	s_mul_i32 s5, s4, 0x500
	s_sub_u32 s24, s20, s5
	v_readfirstlane_b32 s29, v1
	s_subb_u32 s25, s21, 0
	v_lshlrev_b64 v[2:3], 2, v[2:3]
	s_cmp_lg_u32 s29, s4
	v_mov_b32_e32 v1, s28
	v_add_co_u32_e32 v12, vcc, s27, v2
	s_cselect_b64 s[16:17], -1, 0
	v_addc_co_u32_e32 v13, vcc, v1, v3, vcc
	s_mov_b64 s[4:5], -1
	s_and_b64 vcc, exec, s[16:17]
	s_barrier
	s_cbranch_vccz .LBB5854_6
; %bb.5:
	v_lshlrev_b32_e32 v1, 2, v0
	v_add_co_u32_e32 v2, vcc, v12, v1
	v_addc_co_u32_e32 v3, vcc, 0, v13, vcc
	flat_load_dword v4, v[2:3]
	flat_load_dword v5, v[2:3] offset:512
	flat_load_dword v6, v[2:3] offset:1024
	;; [unrolled: 1-line block ×7, first 2 shown]
	v_add_co_u32_e32 v2, vcc, 0x1000, v2
	v_addc_co_u32_e32 v3, vcc, 0, v3, vcc
	flat_load_dword v14, v[2:3]
	flat_load_dword v15, v[2:3] offset:512
	s_mov_b64 s[4:5], 0
	s_waitcnt vmcnt(0) lgkmcnt(0)
	ds_write2st64_b32 v1, v4, v5 offset1:2
	ds_write2st64_b32 v1, v6, v7 offset0:4 offset1:6
	ds_write2st64_b32 v1, v8, v9 offset0:8 offset1:10
	;; [unrolled: 1-line block ×4, first 2 shown]
	s_waitcnt lgkmcnt(0)
	s_barrier
.LBB5854_6:
	s_andn2_b64 vcc, exec, s[4:5]
	s_cbranch_vccnz .LBB5854_28
; %bb.7:
	flat_load_dword v1, v[12:13]
	v_cmp_gt_u32_e32 vcc, s24, v0
	s_waitcnt vmcnt(0) lgkmcnt(0)
	v_mov_b32_e32 v2, v1
	v_mov_b32_e32 v3, v1
	;; [unrolled: 1-line block ×9, first 2 shown]
	s_and_saveexec_b64 s[4:5], vcc
	s_cbranch_execz .LBB5854_9
; %bb.8:
	v_lshlrev_b32_e32 v10, 2, v0
	v_add_co_u32_e32 v10, vcc, v12, v10
	v_addc_co_u32_e32 v11, vcc, 0, v13, vcc
	flat_load_dword v10, v[10:11]
.LBB5854_9:
	s_or_b64 exec, exec, s[4:5]
	v_or_b32_e32 v11, 0x80, v0
	v_cmp_gt_u32_e32 vcc, s24, v11
	s_and_saveexec_b64 s[4:5], vcc
	s_cbranch_execz .LBB5854_11
; %bb.10:
	v_lshlrev_b32_e32 v1, 2, v0
	v_add_co_u32_e32 v14, vcc, v12, v1
	v_addc_co_u32_e32 v15, vcc, 0, v13, vcc
	flat_load_dword v1, v[14:15] offset:512
.LBB5854_11:
	s_or_b64 exec, exec, s[4:5]
	v_or_b32_e32 v11, 0x100, v0
	v_cmp_gt_u32_e32 vcc, s24, v11
	s_and_saveexec_b64 s[4:5], vcc
	s_cbranch_execz .LBB5854_13
; %bb.12:
	v_lshlrev_b32_e32 v2, 2, v0
	v_add_co_u32_e32 v14, vcc, v12, v2
	v_addc_co_u32_e32 v15, vcc, 0, v13, vcc
	flat_load_dword v2, v[14:15] offset:1024
.LBB5854_13:
	;; [unrolled: 11-line block ×7, first 2 shown]
	s_or_b64 exec, exec, s[4:5]
	v_or_b32_e32 v11, 0x400, v0
	v_cmp_gt_u32_e32 vcc, s24, v11
	s_and_saveexec_b64 s[4:5], vcc
	s_cbranch_execz .LBB5854_25
; %bb.24:
	v_lshlrev_b32_e32 v8, 2, v11
	v_add_co_u32_e32 v14, vcc, v12, v8
	v_addc_co_u32_e32 v15, vcc, 0, v13, vcc
	flat_load_dword v8, v[14:15]
.LBB5854_25:
	s_or_b64 exec, exec, s[4:5]
	v_or_b32_e32 v11, 0x480, v0
	v_cmp_gt_u32_e32 vcc, s24, v11
	s_and_saveexec_b64 s[4:5], vcc
	s_cbranch_execz .LBB5854_27
; %bb.26:
	v_lshlrev_b32_e32 v9, 2, v11
	v_add_co_u32_e32 v12, vcc, v12, v9
	v_addc_co_u32_e32 v13, vcc, 0, v13, vcc
	flat_load_dword v9, v[12:13]
.LBB5854_27:
	s_or_b64 exec, exec, s[4:5]
	v_lshlrev_b32_e32 v11, 2, v0
	s_waitcnt vmcnt(0) lgkmcnt(0)
	ds_write2st64_b32 v11, v10, v1 offset1:2
	ds_write2st64_b32 v11, v2, v3 offset0:4 offset1:6
	ds_write2st64_b32 v11, v4, v5 offset0:8 offset1:10
	;; [unrolled: 1-line block ×4, first 2 shown]
	s_waitcnt lgkmcnt(0)
	s_barrier
.LBB5854_28:
	v_mul_u32_u24_e32 v22, 10, v0
	v_lshlrev_b32_e32 v1, 2, v22
	ds_read2_b64 v[16:19], v1 offset1:1
	ds_read2_b64 v[12:15], v1 offset0:2 offset1:3
	ds_read_b64 v[20:21], v1 offset:32
	s_cmp_lg_u32 s29, 0
	v_lshrrev_b32_e32 v23, 5, v0
	s_waitcnt lgkmcnt(2)
	v_add_u32_e32 v2, v17, v16
	v_add3_u32 v24, v2, v18, v19
	v_cmp_gt_u32_e32 vcc, 64, v0
	s_waitcnt lgkmcnt(0)
	s_barrier
	s_cbranch_scc0 .LBB5854_53
; %bb.29:
	v_add3_u32 v2, v24, v12, v13
	v_add3_u32 v2, v2, v14, v15
	;; [unrolled: 1-line block ×3, first 2 shown]
	v_add_lshl_u32 v3, v23, v0, 2
	ds_write_b32 v3, v2
	s_waitcnt lgkmcnt(0)
	s_barrier
	s_and_saveexec_b64 s[18:19], vcc
	s_cbranch_execz .LBB5854_31
; %bb.30:
	v_lshlrev_b32_e32 v3, 1, v0
	v_lshrrev_b32_e32 v4, 4, v0
	v_add_lshl_u32 v3, v4, v3, 2
	ds_read2_b32 v[4:5], v3 offset1:1
	v_mbcnt_lo_u32_b32 v6, -1, 0
	v_mbcnt_hi_u32_b32 v6, -1, v6
	v_and_b32_e32 v7, 15, v6
	v_cmp_ne_u32_e64 s[4:5], 0, v7
	s_waitcnt lgkmcnt(0)
	v_add_u32_e32 v5, v5, v4
	; wave barrier
	s_nop 1
	v_mov_b32_dpp v8, v5 row_shr:1 row_mask:0xf bank_mask:0xf
	v_cndmask_b32_e64 v8, 0, v8, s[4:5]
	v_add_u32_e32 v5, v8, v5
	v_cmp_lt_u32_e64 s[4:5], 1, v7
	s_nop 0
	v_mov_b32_dpp v8, v5 row_shr:2 row_mask:0xf bank_mask:0xf
	v_cndmask_b32_e64 v8, 0, v8, s[4:5]
	v_add_u32_e32 v5, v5, v8
	v_cmp_lt_u32_e64 s[4:5], 3, v7
	;; [unrolled: 5-line block ×3, first 2 shown]
	s_nop 0
	v_mov_b32_dpp v8, v5 row_shr:8 row_mask:0xf bank_mask:0xf
	v_cndmask_b32_e64 v7, 0, v8, s[4:5]
	v_add_u32_e32 v5, v5, v7
	v_bfe_i32 v8, v6, 4, 1
	v_cmp_lt_u32_e64 s[4:5], 31, v6
	v_mov_b32_dpp v7, v5 row_bcast:15 row_mask:0xf bank_mask:0xf
	v_and_b32_e32 v7, v8, v7
	v_add_u32_e32 v5, v5, v7
	v_and_b32_e32 v8, 64, v6
	s_nop 0
	v_mov_b32_dpp v7, v5 row_bcast:31 row_mask:0xf bank_mask:0xf
	v_cndmask_b32_e64 v7, 0, v7, s[4:5]
	v_add_u32_e32 v5, v5, v7
	v_add_u32_e32 v7, -1, v6
	v_cmp_lt_i32_e64 s[4:5], v7, v8
	v_cndmask_b32_e64 v6, v7, v6, s[4:5]
	v_lshlrev_b32_e32 v6, 2, v6
	ds_bpermute_b32 v5, v6, v5
	s_waitcnt lgkmcnt(0)
	v_add_u32_e32 v4, v5, v4
	v_cndmask_b32_e64 v2, v4, v2, s[0:1]
	ds_write_b32 v3, v2
	; wave barrier
	ds_read_b32 v4, v3 offset:4
	s_waitcnt lgkmcnt(0)
	v_add_u32_e32 v2, v4, v2
	ds_write_b32 v3, v2 offset:4
.LBB5854_31:
	s_or_b64 exec, exec, s[18:19]
	v_mov_b32_e32 v25, 0
	s_waitcnt lgkmcnt(0)
	s_barrier
	s_and_saveexec_b64 s[4:5], s[2:3]
	s_cbranch_execz .LBB5854_33
; %bb.32:
	v_add_u32_e32 v2, -1, v0
	v_lshrrev_b32_e32 v3, 5, v2
	v_add_lshl_u32 v2, v3, v2, 2
	ds_read_b32 v25, v2
.LBB5854_33:
	s_or_b64 exec, exec, s[4:5]
	s_and_saveexec_b64 s[18:19], vcc
	s_cbranch_execz .LBB5854_52
; %bb.34:
	v_mov_b32_e32 v9, 0
	ds_read_b32 v2, v9 offset:520
	v_mbcnt_lo_u32_b32 v3, -1, 0
	v_mbcnt_hi_u32_b32 v5, -1, v3
	s_mov_b32 s23, 0
	v_cmp_eq_u32_e64 s[4:5], 0, v5
	s_and_saveexec_b64 s[20:21], s[4:5]
	s_cbranch_execz .LBB5854_36
; %bb.35:
	s_add_i32 s22, s29, 64
	s_lshl_b64 s[22:23], s[22:23], 3
	s_add_u32 s22, s6, s22
	v_mov_b32_e32 v3, 1
	s_addc_u32 s23, s7, s23
	s_waitcnt lgkmcnt(0)
	global_store_dwordx2 v9, v[2:3], s[22:23]
.LBB5854_36:
	s_or_b64 exec, exec, s[20:21]
	v_xad_u32 v4, v5, -1, s29
	v_add_u32_e32 v8, 64, v4
	v_lshlrev_b64 v[6:7], 3, v[8:9]
	v_mov_b32_e32 v3, s7
	v_add_co_u32_e32 v10, vcc, s6, v6
	v_addc_co_u32_e32 v11, vcc, v3, v7, vcc
	global_load_dwordx2 v[6:7], v[10:11], off glc
	s_waitcnt vmcnt(0)
	v_cmp_eq_u16_sdwa s[22:23], v7, v9 src0_sel:BYTE_0 src1_sel:DWORD
	s_and_saveexec_b64 s[20:21], s[22:23]
	s_cbranch_execz .LBB5854_40
; %bb.37:
	s_mov_b64 s[22:23], 0
	v_mov_b32_e32 v3, 0
.LBB5854_38:                            ; =>This Inner Loop Header: Depth=1
	global_load_dwordx2 v[6:7], v[10:11], off glc
	s_waitcnt vmcnt(0)
	v_cmp_ne_u16_sdwa s[30:31], v7, v3 src0_sel:BYTE_0 src1_sel:DWORD
	s_or_b64 s[22:23], s[30:31], s[22:23]
	s_andn2_b64 exec, exec, s[22:23]
	s_cbranch_execnz .LBB5854_38
; %bb.39:
	s_or_b64 exec, exec, s[22:23]
.LBB5854_40:
	s_or_b64 exec, exec, s[20:21]
	v_and_b32_e32 v26, 63, v5
	v_mov_b32_e32 v3, 2
	v_cmp_ne_u32_e32 vcc, 63, v26
	v_cmp_eq_u16_sdwa s[20:21], v7, v3 src0_sel:BYTE_0 src1_sel:DWORD
	v_lshlrev_b64 v[8:9], v5, -1
	v_addc_co_u32_e32 v27, vcc, 0, v5, vcc
	v_and_b32_e32 v10, s21, v9
	v_lshlrev_b32_e32 v27, 2, v27
	v_or_b32_e32 v10, 0x80000000, v10
	ds_bpermute_b32 v28, v27, v6
	v_and_b32_e32 v11, s20, v8
	v_ffbl_b32_e32 v10, v10
	v_add_u32_e32 v10, 32, v10
	v_ffbl_b32_e32 v11, v11
	v_min_u32_e32 v10, v11, v10
	v_cmp_lt_u32_e32 vcc, v26, v10
	s_waitcnt lgkmcnt(0)
	v_cndmask_b32_e32 v11, 0, v28, vcc
	v_cmp_gt_u32_e32 vcc, 62, v26
	v_add_u32_e32 v6, v11, v6
	v_cndmask_b32_e64 v11, 0, 1, vcc
	v_lshlrev_b32_e32 v11, 1, v11
	v_add_lshl_u32 v28, v11, v5, 2
	ds_bpermute_b32 v11, v28, v6
	v_add_u32_e32 v29, 2, v26
	v_cmp_le_u32_e32 vcc, v29, v10
	v_add_u32_e32 v31, 4, v26
	v_add_u32_e32 v33, 8, v26
	s_waitcnt lgkmcnt(0)
	v_cndmask_b32_e32 v11, 0, v11, vcc
	v_cmp_gt_u32_e32 vcc, 60, v26
	v_add_u32_e32 v6, v6, v11
	v_cndmask_b32_e64 v11, 0, 1, vcc
	v_lshlrev_b32_e32 v11, 2, v11
	v_add_lshl_u32 v30, v11, v5, 2
	ds_bpermute_b32 v11, v30, v6
	v_cmp_le_u32_e32 vcc, v31, v10
	v_add_u32_e32 v36, 16, v26
	v_add_u32_e32 v38, 32, v26
	s_waitcnt lgkmcnt(0)
	v_cndmask_b32_e32 v11, 0, v11, vcc
	v_cmp_gt_u32_e32 vcc, 56, v26
	v_add_u32_e32 v6, v6, v11
	v_cndmask_b32_e64 v11, 0, 1, vcc
	v_lshlrev_b32_e32 v11, 3, v11
	v_add_lshl_u32 v32, v11, v5, 2
	ds_bpermute_b32 v11, v32, v6
	v_cmp_le_u32_e32 vcc, v33, v10
	s_waitcnt lgkmcnt(0)
	v_cndmask_b32_e32 v11, 0, v11, vcc
	v_cmp_gt_u32_e32 vcc, 48, v26
	v_add_u32_e32 v6, v6, v11
	v_cndmask_b32_e64 v11, 0, 1, vcc
	v_lshlrev_b32_e32 v11, 4, v11
	v_add_lshl_u32 v35, v11, v5, 2
	ds_bpermute_b32 v11, v35, v6
	v_cmp_le_u32_e32 vcc, v36, v10
	;; [unrolled: 9-line block ×3, first 2 shown]
	s_waitcnt lgkmcnt(0)
	v_cndmask_b32_e32 v5, 0, v5, vcc
	v_add_u32_e32 v6, v6, v5
	v_mov_b32_e32 v5, 0
	s_branch .LBB5854_42
.LBB5854_41:                            ;   in Loop: Header=BB5854_42 Depth=1
	s_or_b64 exec, exec, s[20:21]
	v_cmp_eq_u16_sdwa s[20:21], v7, v3 src0_sel:BYTE_0 src1_sel:DWORD
	v_and_b32_e32 v10, s21, v9
	v_or_b32_e32 v10, 0x80000000, v10
	ds_bpermute_b32 v39, v27, v6
	v_and_b32_e32 v11, s20, v8
	v_ffbl_b32_e32 v10, v10
	v_add_u32_e32 v10, 32, v10
	v_ffbl_b32_e32 v11, v11
	v_min_u32_e32 v10, v11, v10
	v_cmp_lt_u32_e32 vcc, v26, v10
	s_waitcnt lgkmcnt(0)
	v_cndmask_b32_e32 v11, 0, v39, vcc
	v_add_u32_e32 v6, v11, v6
	ds_bpermute_b32 v11, v28, v6
	v_cmp_le_u32_e32 vcc, v29, v10
	v_subrev_u32_e32 v4, 64, v4
	s_waitcnt lgkmcnt(0)
	v_cndmask_b32_e32 v11, 0, v11, vcc
	v_add_u32_e32 v6, v6, v11
	ds_bpermute_b32 v11, v30, v6
	v_cmp_le_u32_e32 vcc, v31, v10
	s_waitcnt lgkmcnt(0)
	v_cndmask_b32_e32 v11, 0, v11, vcc
	v_add_u32_e32 v6, v6, v11
	ds_bpermute_b32 v11, v32, v6
	v_cmp_le_u32_e32 vcc, v33, v10
	;; [unrolled: 5-line block ×4, first 2 shown]
	s_waitcnt lgkmcnt(0)
	v_cndmask_b32_e32 v10, 0, v11, vcc
	v_add3_u32 v6, v10, v34, v6
.LBB5854_42:                            ; =>This Loop Header: Depth=1
                                        ;     Child Loop BB5854_45 Depth 2
	v_cmp_ne_u16_sdwa s[20:21], v7, v3 src0_sel:BYTE_0 src1_sel:DWORD
	v_cndmask_b32_e64 v7, 0, 1, s[20:21]
	;;#ASMSTART
	;;#ASMEND
	v_cmp_ne_u32_e32 vcc, 0, v7
	s_cmp_lg_u64 vcc, exec
	v_mov_b32_e32 v34, v6
	s_cbranch_scc1 .LBB5854_47
; %bb.43:                               ;   in Loop: Header=BB5854_42 Depth=1
	v_lshlrev_b64 v[6:7], 3, v[4:5]
	v_mov_b32_e32 v11, s7
	v_add_co_u32_e32 v10, vcc, s6, v6
	v_addc_co_u32_e32 v11, vcc, v11, v7, vcc
	global_load_dwordx2 v[6:7], v[10:11], off glc
	s_waitcnt vmcnt(0)
	v_cmp_eq_u16_sdwa s[22:23], v7, v5 src0_sel:BYTE_0 src1_sel:DWORD
	s_and_saveexec_b64 s[20:21], s[22:23]
	s_cbranch_execz .LBB5854_41
; %bb.44:                               ;   in Loop: Header=BB5854_42 Depth=1
	s_mov_b64 s[22:23], 0
.LBB5854_45:                            ;   Parent Loop BB5854_42 Depth=1
                                        ; =>  This Inner Loop Header: Depth=2
	global_load_dwordx2 v[6:7], v[10:11], off glc
	s_waitcnt vmcnt(0)
	v_cmp_ne_u16_sdwa s[30:31], v7, v5 src0_sel:BYTE_0 src1_sel:DWORD
	s_or_b64 s[22:23], s[30:31], s[22:23]
	s_andn2_b64 exec, exec, s[22:23]
	s_cbranch_execnz .LBB5854_45
; %bb.46:                               ;   in Loop: Header=BB5854_42 Depth=1
	s_or_b64 exec, exec, s[22:23]
	s_branch .LBB5854_41
.LBB5854_47:                            ;   in Loop: Header=BB5854_42 Depth=1
                                        ; implicit-def: $vgpr6
                                        ; implicit-def: $vgpr7
	s_cbranch_execz .LBB5854_42
; %bb.48:
	s_and_saveexec_b64 s[20:21], s[4:5]
	s_cbranch_execz .LBB5854_50
; %bb.49:
	s_add_i32 s4, s29, 64
	s_mov_b32 s5, 0
	s_lshl_b64 s[4:5], s[4:5], 3
	s_add_u32 s4, s6, s4
	v_add_u32_e32 v2, v34, v2
	v_mov_b32_e32 v3, 2
	s_addc_u32 s5, s7, s5
	v_mov_b32_e32 v4, 0
	global_store_dwordx2 v4, v[2:3], s[4:5]
.LBB5854_50:
	s_or_b64 exec, exec, s[20:21]
	s_and_b64 exec, exec, s[0:1]
	s_cbranch_execz .LBB5854_52
; %bb.51:
	v_mov_b32_e32 v2, 0
	ds_write_b32 v2, v34
.LBB5854_52:
	s_or_b64 exec, exec, s[18:19]
	v_mov_b32_e32 v2, 0
	s_waitcnt lgkmcnt(0)
	s_barrier
	ds_read_b32 v2, v2
	s_waitcnt lgkmcnt(0)
	v_add_u32_e32 v2, v2, v25
	v_add_u32_e32 v3, v2, v16
	;; [unrolled: 1-line block ×10, first 2 shown]
	s_branch .LBB5854_63
.LBB5854_53:
                                        ; implicit-def: $vgpr2_vgpr3_vgpr4_vgpr5_vgpr6_vgpr7_vgpr8_vgpr9_vgpr10_vgpr11
	s_cbranch_execz .LBB5854_63
; %bb.54:
	s_cmp_eq_u64 s[12:13], 0
	v_mov_b32_e32 v25, s26
	s_cbranch_scc1 .LBB5854_56
; %bb.55:
	v_mov_b32_e32 v3, s28
	v_add_co_u32_e64 v2, vcc, -4, s27
	v_addc_co_u32_e32 v3, vcc, -1, v3, vcc
	v_mov_b32_e32 v4, 0
	flat_load_dword v5, v[2:3]
	global_load_dword v6, v4, s[8:9]
	s_waitcnt vmcnt(0) lgkmcnt(0)
	v_add_u32_e32 v25, v6, v5
.LBB5854_56:
	v_add3_u32 v2, v24, v12, v13
	v_add3_u32 v2, v2, v14, v15
	v_add3_u32 v2, v2, v20, v21
	v_add_lshl_u32 v3, v23, v0, 2
	v_cmp_gt_u32_e32 vcc, 64, v0
	ds_write_b32 v3, v2
	s_waitcnt lgkmcnt(0)
	s_barrier
	s_and_saveexec_b64 s[4:5], vcc
	s_cbranch_execz .LBB5854_58
; %bb.57:
	v_lshlrev_b32_e32 v3, 1, v0
	v_lshrrev_b32_e32 v4, 4, v0
	v_add_lshl_u32 v3, v4, v3, 2
	ds_read2_b32 v[4:5], v3 offset1:1
	v_mbcnt_lo_u32_b32 v6, -1, 0
	v_mbcnt_hi_u32_b32 v6, -1, v6
	v_and_b32_e32 v7, 15, v6
	v_cmp_ne_u32_e32 vcc, 0, v7
	s_waitcnt lgkmcnt(0)
	v_add_u32_e32 v5, v5, v4
	; wave barrier
	s_nop 1
	v_mov_b32_dpp v8, v5 row_shr:1 row_mask:0xf bank_mask:0xf
	v_cndmask_b32_e32 v8, 0, v8, vcc
	v_add_u32_e32 v5, v8, v5
	v_cmp_lt_u32_e32 vcc, 1, v7
	s_nop 0
	v_mov_b32_dpp v8, v5 row_shr:2 row_mask:0xf bank_mask:0xf
	v_cndmask_b32_e32 v8, 0, v8, vcc
	v_add_u32_e32 v5, v5, v8
	v_cmp_lt_u32_e32 vcc, 3, v7
	;; [unrolled: 5-line block ×3, first 2 shown]
	s_nop 0
	v_mov_b32_dpp v8, v5 row_shr:8 row_mask:0xf bank_mask:0xf
	v_cndmask_b32_e32 v7, 0, v8, vcc
	v_add_u32_e32 v5, v5, v7
	v_bfe_i32 v8, v6, 4, 1
	v_cmp_lt_u32_e32 vcc, 31, v6
	v_mov_b32_dpp v7, v5 row_bcast:15 row_mask:0xf bank_mask:0xf
	v_and_b32_e32 v7, v8, v7
	v_add_u32_e32 v5, v5, v7
	v_and_b32_e32 v8, 64, v6
	s_nop 0
	v_mov_b32_dpp v7, v5 row_bcast:31 row_mask:0xf bank_mask:0xf
	v_cndmask_b32_e32 v7, 0, v7, vcc
	v_add_u32_e32 v5, v5, v7
	v_add_u32_e32 v7, -1, v6
	v_cmp_lt_i32_e32 vcc, v7, v8
	v_cndmask_b32_e32 v6, v7, v6, vcc
	v_lshlrev_b32_e32 v6, 2, v6
	ds_bpermute_b32 v5, v6, v5
	s_waitcnt lgkmcnt(0)
	v_add_u32_e32 v4, v5, v4
	v_cndmask_b32_e64 v2, v4, v2, s[0:1]
	ds_write_b32 v3, v2
	; wave barrier
	ds_read_b32 v4, v3 offset:4
	s_waitcnt lgkmcnt(0)
	v_add_u32_e32 v2, v4, v2
	ds_write_b32 v3, v2 offset:4
.LBB5854_58:
	s_or_b64 exec, exec, s[4:5]
	v_mov_b32_e32 v2, v25
	s_waitcnt lgkmcnt(0)
	s_barrier
	s_and_saveexec_b64 s[4:5], s[2:3]
	s_cbranch_execz .LBB5854_60
; %bb.59:
	v_add_u32_e32 v2, -1, v0
	v_lshrrev_b32_e32 v3, 5, v2
	v_add_lshl_u32 v2, v3, v2, 2
	ds_read_b32 v2, v2
	s_waitcnt lgkmcnt(0)
	v_add_u32_e32 v2, v2, v25
.LBB5854_60:
	s_or_b64 exec, exec, s[4:5]
	v_add_u32_e32 v3, v2, v16
	v_add_u32_e32 v4, v3, v17
	;; [unrolled: 1-line block ×9, first 2 shown]
	s_and_saveexec_b64 s[2:3], s[0:1]
	s_cbranch_execz .LBB5854_62
; %bb.61:
	v_mov_b32_e32 v14, 0
	ds_read_b32 v12, v14 offset:520
	v_mov_b32_e32 v13, 2
	s_waitcnt lgkmcnt(0)
	v_add_u32_e32 v12, v12, v25
	global_store_dwordx2 v14, v[12:13], s[6:7] offset:512
.LBB5854_62:
	s_or_b64 exec, exec, s[2:3]
.LBB5854_63:
	s_mov_b64 s[0:1], -1
	s_and_b64 vcc, exec, s[16:17]
	s_barrier
	ds_write2_b64 v1, v[2:3], v[4:5] offset1:1
	ds_write2_b64 v1, v[6:7], v[8:9] offset0:2 offset1:3
	ds_write_b64 v1, v[10:11] offset:32
	s_waitcnt lgkmcnt(0)
	s_cbranch_vccz .LBB5854_65
; %bb.64:
	s_barrier
	s_mov_b64 s[0:1], 0
.LBB5854_65:
	s_andn2_b64 vcc, exec, s[0:1]
	s_cbranch_vccnz .LBB5854_101
; %bb.66:
	v_cmp_lt_u64_e64 s[0:1], s[14:15], 2
	s_and_b64 vcc, exec, s[0:1]
	s_barrier
	s_cbranch_vccnz .LBB5854_101
; %bb.67:
	s_add_u32 s0, s24, -1
	s_addc_u32 s1, s25, -1
	s_add_u32 s2, 0, 0x99986000
	s_addc_u32 s3, 0, 0x59
	s_add_i32 s3, s3, 0x19999940
	s_mul_hi_u32 s7, s2, -10
	s_sub_i32 s7, s7, s2
	s_mul_i32 s8, s3, -10
	s_mul_i32 s4, s2, -10
	s_add_i32 s7, s7, s8
	s_mul_hi_u32 s5, s3, s4
	s_mul_i32 s6, s3, s4
	s_mul_i32 s9, s2, s7
	s_mul_hi_u32 s4, s2, s4
	s_mul_hi_u32 s8, s2, s7
	s_add_u32 s4, s4, s9
	s_addc_u32 s8, 0, s8
	s_add_u32 s4, s4, s6
	s_mul_hi_u32 s9, s3, s7
	s_addc_u32 s4, s8, s5
	s_addc_u32 s5, s9, 0
	s_mul_i32 s6, s3, s7
	s_add_u32 s4, s4, s6
	v_mov_b32_e32 v2, s4
	s_addc_u32 s5, 0, s5
	v_add_co_u32_e32 v2, vcc, s2, v2
	s_cmp_lg_u64 vcc, 0
	s_addc_u32 s2, s3, s5
	v_readfirstlane_b32 s5, v2
	s_mul_i32 s4, s0, s2
	s_mul_hi_u32 s6, s0, s5
	s_mul_hi_u32 s3, s0, s2
	s_add_u32 s4, s6, s4
	s_addc_u32 s3, 0, s3
	s_mul_hi_u32 s7, s1, s5
	s_mul_i32 s5, s1, s5
	s_add_u32 s4, s4, s5
	s_mul_hi_u32 s6, s1, s2
	s_addc_u32 s3, s3, s7
	s_addc_u32 s4, s6, 0
	s_mul_i32 s2, s1, s2
	s_add_u32 s2, s3, s2
	s_addc_u32 s3, 0, s4
	s_add_u32 s4, s2, 1
	s_addc_u32 s5, s3, 0
	s_add_u32 s6, s2, 2
	s_mul_i32 s8, s3, 10
	s_mul_hi_u32 s9, s2, 10
	s_addc_u32 s7, s3, 0
	s_add_i32 s9, s9, s8
	s_mul_i32 s8, s2, 10
	v_mov_b32_e32 v2, s8
	v_sub_co_u32_e32 v2, vcc, s0, v2
	s_cmp_lg_u64 vcc, 0
	s_subb_u32 s8, s1, s9
	v_subrev_co_u32_e32 v3, vcc, 10, v2
	s_cmp_lg_u64 vcc, 0
	s_subb_u32 s9, s8, 0
	v_readfirstlane_b32 s12, v3
	s_cmp_gt_u32 s12, 9
	s_cselect_b32 s12, -1, 0
	s_cmp_eq_u32 s9, 0
	s_cselect_b32 s9, s12, -1
	s_cmp_lg_u32 s9, 0
	s_cselect_b32 s4, s6, s4
	v_readfirstlane_b32 s6, v2
	s_cselect_b32 s5, s7, s5
	s_cmp_gt_u32 s6, 9
	s_cselect_b32 s6, -1, 0
	s_cmp_eq_u32 s8, 0
	s_cselect_b32 s6, s6, -1
	s_cmp_lg_u32 s6, 0
	v_mov_b32_e32 v1, 0
	s_cselect_b32 s3, s5, s3
	s_cselect_b32 s2, s4, s2
	v_cmp_eq_u64_e32 vcc, s[2:3], v[0:1]
	s_and_saveexec_b64 s[2:3], vcc
	s_cbranch_execz .LBB5854_101
; %bb.68:
	v_lshlrev_b32_e32 v2, 2, v0
	v_mul_hi_u32_u24_e32 v1, 10, v0
	v_mov_b32_e32 v3, s1
	v_sub_co_u32_e32 v0, vcc, s0, v22
	v_subb_co_u32_e32 v1, vcc, v3, v1, vcc
	v_cmp_lt_i64_e32 vcc, 4, v[0:1]
	s_and_saveexec_b64 s[0:1], vcc
	s_xor_b64 s[0:1], exec, s[0:1]
	s_cbranch_execz .LBB5854_86
; %bb.69:
	v_cmp_lt_i64_e32 vcc, 6, v[0:1]
	s_and_saveexec_b64 s[2:3], vcc
	s_xor_b64 s[2:3], exec, s[2:3]
	s_cbranch_execz .LBB5854_79
; %bb.70:
	v_cmp_lt_i64_e32 vcc, 7, v[0:1]
	s_and_saveexec_b64 s[4:5], vcc
	s_xor_b64 s[4:5], exec, s[4:5]
	s_cbranch_execz .LBB5854_76
; %bb.71:
	v_cmp_lt_i64_e32 vcc, 8, v[0:1]
	s_and_saveexec_b64 s[6:7], vcc
	s_xor_b64 s[6:7], exec, s[6:7]
	s_cbranch_execz .LBB5854_73
; %bb.72:
	ds_read_b32 v0, v2 offset:4608
	v_mov_b32_e32 v1, 0
                                        ; implicit-def: $vgpr2
	s_waitcnt lgkmcnt(0)
	global_store_dword v1, v0, s[10:11]
.LBB5854_73:
	s_andn2_saveexec_b64 s[6:7], s[6:7]
	s_cbranch_execz .LBB5854_75
; %bb.74:
	ds_read_b32 v0, v2 offset:4096
	v_mov_b32_e32 v1, 0
	s_waitcnt lgkmcnt(0)
	global_store_dword v1, v0, s[10:11]
.LBB5854_75:
	s_or_b64 exec, exec, s[6:7]
                                        ; implicit-def: $vgpr2
.LBB5854_76:
	s_andn2_saveexec_b64 s[4:5], s[4:5]
	s_cbranch_execz .LBB5854_78
; %bb.77:
	ds_read_b32 v0, v2 offset:3584
	v_mov_b32_e32 v1, 0
	s_waitcnt lgkmcnt(0)
	global_store_dword v1, v0, s[10:11]
.LBB5854_78:
	s_or_b64 exec, exec, s[4:5]
                                        ; implicit-def: $vgpr2
                                        ; implicit-def: $vgpr0_vgpr1
.LBB5854_79:
	s_andn2_saveexec_b64 s[2:3], s[2:3]
	s_cbranch_execz .LBB5854_85
; %bb.80:
	v_cmp_lt_i64_e32 vcc, 5, v[0:1]
	s_and_saveexec_b64 s[4:5], vcc
	s_xor_b64 s[4:5], exec, s[4:5]
	s_cbranch_execz .LBB5854_82
; %bb.81:
	ds_read_b32 v0, v2 offset:3072
	v_mov_b32_e32 v1, 0
                                        ; implicit-def: $vgpr2
	s_waitcnt lgkmcnt(0)
	global_store_dword v1, v0, s[10:11]
.LBB5854_82:
	s_andn2_saveexec_b64 s[4:5], s[4:5]
	s_cbranch_execz .LBB5854_84
; %bb.83:
	ds_read_b32 v0, v2 offset:2560
	v_mov_b32_e32 v1, 0
	s_waitcnt lgkmcnt(0)
	global_store_dword v1, v0, s[10:11]
.LBB5854_84:
	s_or_b64 exec, exec, s[4:5]
.LBB5854_85:
	s_or_b64 exec, exec, s[2:3]
                                        ; implicit-def: $vgpr0_vgpr1
                                        ; implicit-def: $vgpr2
.LBB5854_86:
	s_andn2_saveexec_b64 s[0:1], s[0:1]
	s_cbranch_execz .LBB5854_101
; %bb.87:
	v_cmp_lt_i64_e32 vcc, 2, v[0:1]
	s_and_saveexec_b64 s[0:1], vcc
	s_xor_b64 s[0:1], exec, s[0:1]
	s_cbranch_execz .LBB5854_93
; %bb.88:
	v_cmp_lt_i64_e32 vcc, 3, v[0:1]
	s_and_saveexec_b64 s[2:3], vcc
	s_xor_b64 s[2:3], exec, s[2:3]
	s_cbranch_execz .LBB5854_90
; %bb.89:
	ds_read_b32 v0, v2 offset:2048
	v_mov_b32_e32 v1, 0
                                        ; implicit-def: $vgpr2
	s_waitcnt lgkmcnt(0)
	global_store_dword v1, v0, s[10:11]
.LBB5854_90:
	s_andn2_saveexec_b64 s[2:3], s[2:3]
	s_cbranch_execz .LBB5854_92
; %bb.91:
	ds_read_b32 v0, v2 offset:1536
	v_mov_b32_e32 v1, 0
	s_waitcnt lgkmcnt(0)
	global_store_dword v1, v0, s[10:11]
.LBB5854_92:
	s_or_b64 exec, exec, s[2:3]
                                        ; implicit-def: $vgpr0_vgpr1
                                        ; implicit-def: $vgpr2
.LBB5854_93:
	s_andn2_saveexec_b64 s[0:1], s[0:1]
	s_cbranch_execz .LBB5854_101
; %bb.94:
	v_cmp_lt_i64_e32 vcc, 1, v[0:1]
	s_and_saveexec_b64 s[0:1], vcc
	s_xor_b64 s[0:1], exec, s[0:1]
	s_cbranch_execz .LBB5854_96
; %bb.95:
	ds_read_b32 v0, v2 offset:1024
	v_mov_b32_e32 v1, 0
                                        ; implicit-def: $vgpr2
	s_waitcnt lgkmcnt(0)
	global_store_dword v1, v0, s[10:11]
                                        ; implicit-def: $vgpr0_vgpr1
.LBB5854_96:
	s_andn2_saveexec_b64 s[0:1], s[0:1]
	s_cbranch_execz .LBB5854_101
; %bb.97:
	v_cmp_ne_u64_e32 vcc, 1, v[0:1]
	s_and_saveexec_b64 s[0:1], vcc
	s_xor_b64 s[0:1], exec, s[0:1]
	s_cbranch_execz .LBB5854_99
; %bb.98:
	ds_read_b32 v0, v2
	v_mov_b32_e32 v1, 0
                                        ; implicit-def: $vgpr2
	s_waitcnt lgkmcnt(0)
	global_store_dword v1, v0, s[10:11]
.LBB5854_99:
	s_andn2_saveexec_b64 s[0:1], s[0:1]
	s_cbranch_execz .LBB5854_101
; %bb.100:
	ds_read_b32 v0, v2 offset:512
	v_mov_b32_e32 v1, 0
	s_waitcnt lgkmcnt(0)
	global_store_dword v1, v0, s[10:11]
.LBB5854_101:
	s_endpgm
	.section	.rodata,"a",@progbits
	.p2align	6, 0x0
	.amdhsa_kernel _ZN7rocprim17ROCPRIM_400000_NS6detail17trampoline_kernelINS0_14default_configENS1_20scan_config_selectorIiEEZZNS1_9scan_implILNS1_25lookback_scan_determinismE0ELb1ELb1ES3_N6thrust23THRUST_200600_302600_NS6detail15normal_iteratorINS9_10device_ptrIiEEEENS9_16discard_iteratorINS9_11use_defaultEEEiNS9_4plusIvEEiEEDaPvRmT3_T4_T5_mT6_P12ihipStream_tbENKUlT_T0_E_clISt17integral_constantIbLb0EESW_IbLb1EEEEDaSS_ST_EUlSS_E_NS1_11comp_targetILNS1_3genE4ELNS1_11target_archE910ELNS1_3gpuE8ELNS1_3repE0EEENS1_30default_config_static_selectorELNS0_4arch9wavefront6targetE1EEEvT1_
		.amdhsa_group_segment_fixed_size 5120
		.amdhsa_private_segment_fixed_size 0
		.amdhsa_kernarg_size 104
		.amdhsa_user_sgpr_count 6
		.amdhsa_user_sgpr_private_segment_buffer 1
		.amdhsa_user_sgpr_dispatch_ptr 0
		.amdhsa_user_sgpr_queue_ptr 0
		.amdhsa_user_sgpr_kernarg_segment_ptr 1
		.amdhsa_user_sgpr_dispatch_id 0
		.amdhsa_user_sgpr_flat_scratch_init 0
		.amdhsa_user_sgpr_kernarg_preload_length 0
		.amdhsa_user_sgpr_kernarg_preload_offset 0
		.amdhsa_user_sgpr_private_segment_size 0
		.amdhsa_uses_dynamic_stack 0
		.amdhsa_system_sgpr_private_segment_wavefront_offset 0
		.amdhsa_system_sgpr_workgroup_id_x 1
		.amdhsa_system_sgpr_workgroup_id_y 0
		.amdhsa_system_sgpr_workgroup_id_z 0
		.amdhsa_system_sgpr_workgroup_info 0
		.amdhsa_system_vgpr_workitem_id 0
		.amdhsa_next_free_vgpr 40
		.amdhsa_next_free_sgpr 32
		.amdhsa_accum_offset 40
		.amdhsa_reserve_vcc 1
		.amdhsa_reserve_flat_scratch 0
		.amdhsa_float_round_mode_32 0
		.amdhsa_float_round_mode_16_64 0
		.amdhsa_float_denorm_mode_32 3
		.amdhsa_float_denorm_mode_16_64 3
		.amdhsa_dx10_clamp 1
		.amdhsa_ieee_mode 1
		.amdhsa_fp16_overflow 0
		.amdhsa_tg_split 0
		.amdhsa_exception_fp_ieee_invalid_op 0
		.amdhsa_exception_fp_denorm_src 0
		.amdhsa_exception_fp_ieee_div_zero 0
		.amdhsa_exception_fp_ieee_overflow 0
		.amdhsa_exception_fp_ieee_underflow 0
		.amdhsa_exception_fp_ieee_inexact 0
		.amdhsa_exception_int_div_zero 0
	.end_amdhsa_kernel
	.section	.text._ZN7rocprim17ROCPRIM_400000_NS6detail17trampoline_kernelINS0_14default_configENS1_20scan_config_selectorIiEEZZNS1_9scan_implILNS1_25lookback_scan_determinismE0ELb1ELb1ES3_N6thrust23THRUST_200600_302600_NS6detail15normal_iteratorINS9_10device_ptrIiEEEENS9_16discard_iteratorINS9_11use_defaultEEEiNS9_4plusIvEEiEEDaPvRmT3_T4_T5_mT6_P12ihipStream_tbENKUlT_T0_E_clISt17integral_constantIbLb0EESW_IbLb1EEEEDaSS_ST_EUlSS_E_NS1_11comp_targetILNS1_3genE4ELNS1_11target_archE910ELNS1_3gpuE8ELNS1_3repE0EEENS1_30default_config_static_selectorELNS0_4arch9wavefront6targetE1EEEvT1_,"axG",@progbits,_ZN7rocprim17ROCPRIM_400000_NS6detail17trampoline_kernelINS0_14default_configENS1_20scan_config_selectorIiEEZZNS1_9scan_implILNS1_25lookback_scan_determinismE0ELb1ELb1ES3_N6thrust23THRUST_200600_302600_NS6detail15normal_iteratorINS9_10device_ptrIiEEEENS9_16discard_iteratorINS9_11use_defaultEEEiNS9_4plusIvEEiEEDaPvRmT3_T4_T5_mT6_P12ihipStream_tbENKUlT_T0_E_clISt17integral_constantIbLb0EESW_IbLb1EEEEDaSS_ST_EUlSS_E_NS1_11comp_targetILNS1_3genE4ELNS1_11target_archE910ELNS1_3gpuE8ELNS1_3repE0EEENS1_30default_config_static_selectorELNS0_4arch9wavefront6targetE1EEEvT1_,comdat
.Lfunc_end5854:
	.size	_ZN7rocprim17ROCPRIM_400000_NS6detail17trampoline_kernelINS0_14default_configENS1_20scan_config_selectorIiEEZZNS1_9scan_implILNS1_25lookback_scan_determinismE0ELb1ELb1ES3_N6thrust23THRUST_200600_302600_NS6detail15normal_iteratorINS9_10device_ptrIiEEEENS9_16discard_iteratorINS9_11use_defaultEEEiNS9_4plusIvEEiEEDaPvRmT3_T4_T5_mT6_P12ihipStream_tbENKUlT_T0_E_clISt17integral_constantIbLb0EESW_IbLb1EEEEDaSS_ST_EUlSS_E_NS1_11comp_targetILNS1_3genE4ELNS1_11target_archE910ELNS1_3gpuE8ELNS1_3repE0EEENS1_30default_config_static_selectorELNS0_4arch9wavefront6targetE1EEEvT1_, .Lfunc_end5854-_ZN7rocprim17ROCPRIM_400000_NS6detail17trampoline_kernelINS0_14default_configENS1_20scan_config_selectorIiEEZZNS1_9scan_implILNS1_25lookback_scan_determinismE0ELb1ELb1ES3_N6thrust23THRUST_200600_302600_NS6detail15normal_iteratorINS9_10device_ptrIiEEEENS9_16discard_iteratorINS9_11use_defaultEEEiNS9_4plusIvEEiEEDaPvRmT3_T4_T5_mT6_P12ihipStream_tbENKUlT_T0_E_clISt17integral_constantIbLb0EESW_IbLb1EEEEDaSS_ST_EUlSS_E_NS1_11comp_targetILNS1_3genE4ELNS1_11target_archE910ELNS1_3gpuE8ELNS1_3repE0EEENS1_30default_config_static_selectorELNS0_4arch9wavefront6targetE1EEEvT1_
                                        ; -- End function
	.section	.AMDGPU.csdata,"",@progbits
; Kernel info:
; codeLenInByte = 3952
; NumSgprs: 36
; NumVgprs: 40
; NumAgprs: 0
; TotalNumVgprs: 40
; ScratchSize: 0
; MemoryBound: 0
; FloatMode: 240
; IeeeMode: 1
; LDSByteSize: 5120 bytes/workgroup (compile time only)
; SGPRBlocks: 4
; VGPRBlocks: 4
; NumSGPRsForWavesPerEU: 36
; NumVGPRsForWavesPerEU: 40
; AccumOffset: 40
; Occupancy: 6
; WaveLimiterHint : 1
; COMPUTE_PGM_RSRC2:SCRATCH_EN: 0
; COMPUTE_PGM_RSRC2:USER_SGPR: 6
; COMPUTE_PGM_RSRC2:TRAP_HANDLER: 0
; COMPUTE_PGM_RSRC2:TGID_X_EN: 1
; COMPUTE_PGM_RSRC2:TGID_Y_EN: 0
; COMPUTE_PGM_RSRC2:TGID_Z_EN: 0
; COMPUTE_PGM_RSRC2:TIDIG_COMP_CNT: 0
; COMPUTE_PGM_RSRC3_GFX90A:ACCUM_OFFSET: 9
; COMPUTE_PGM_RSRC3_GFX90A:TG_SPLIT: 0
	.section	.text._ZN7rocprim17ROCPRIM_400000_NS6detail17trampoline_kernelINS0_14default_configENS1_20scan_config_selectorIiEEZZNS1_9scan_implILNS1_25lookback_scan_determinismE0ELb1ELb1ES3_N6thrust23THRUST_200600_302600_NS6detail15normal_iteratorINS9_10device_ptrIiEEEENS9_16discard_iteratorINS9_11use_defaultEEEiNS9_4plusIvEEiEEDaPvRmT3_T4_T5_mT6_P12ihipStream_tbENKUlT_T0_E_clISt17integral_constantIbLb0EESW_IbLb1EEEEDaSS_ST_EUlSS_E_NS1_11comp_targetILNS1_3genE3ELNS1_11target_archE908ELNS1_3gpuE7ELNS1_3repE0EEENS1_30default_config_static_selectorELNS0_4arch9wavefront6targetE1EEEvT1_,"axG",@progbits,_ZN7rocprim17ROCPRIM_400000_NS6detail17trampoline_kernelINS0_14default_configENS1_20scan_config_selectorIiEEZZNS1_9scan_implILNS1_25lookback_scan_determinismE0ELb1ELb1ES3_N6thrust23THRUST_200600_302600_NS6detail15normal_iteratorINS9_10device_ptrIiEEEENS9_16discard_iteratorINS9_11use_defaultEEEiNS9_4plusIvEEiEEDaPvRmT3_T4_T5_mT6_P12ihipStream_tbENKUlT_T0_E_clISt17integral_constantIbLb0EESW_IbLb1EEEEDaSS_ST_EUlSS_E_NS1_11comp_targetILNS1_3genE3ELNS1_11target_archE908ELNS1_3gpuE7ELNS1_3repE0EEENS1_30default_config_static_selectorELNS0_4arch9wavefront6targetE1EEEvT1_,comdat
	.protected	_ZN7rocprim17ROCPRIM_400000_NS6detail17trampoline_kernelINS0_14default_configENS1_20scan_config_selectorIiEEZZNS1_9scan_implILNS1_25lookback_scan_determinismE0ELb1ELb1ES3_N6thrust23THRUST_200600_302600_NS6detail15normal_iteratorINS9_10device_ptrIiEEEENS9_16discard_iteratorINS9_11use_defaultEEEiNS9_4plusIvEEiEEDaPvRmT3_T4_T5_mT6_P12ihipStream_tbENKUlT_T0_E_clISt17integral_constantIbLb0EESW_IbLb1EEEEDaSS_ST_EUlSS_E_NS1_11comp_targetILNS1_3genE3ELNS1_11target_archE908ELNS1_3gpuE7ELNS1_3repE0EEENS1_30default_config_static_selectorELNS0_4arch9wavefront6targetE1EEEvT1_ ; -- Begin function _ZN7rocprim17ROCPRIM_400000_NS6detail17trampoline_kernelINS0_14default_configENS1_20scan_config_selectorIiEEZZNS1_9scan_implILNS1_25lookback_scan_determinismE0ELb1ELb1ES3_N6thrust23THRUST_200600_302600_NS6detail15normal_iteratorINS9_10device_ptrIiEEEENS9_16discard_iteratorINS9_11use_defaultEEEiNS9_4plusIvEEiEEDaPvRmT3_T4_T5_mT6_P12ihipStream_tbENKUlT_T0_E_clISt17integral_constantIbLb0EESW_IbLb1EEEEDaSS_ST_EUlSS_E_NS1_11comp_targetILNS1_3genE3ELNS1_11target_archE908ELNS1_3gpuE7ELNS1_3repE0EEENS1_30default_config_static_selectorELNS0_4arch9wavefront6targetE1EEEvT1_
	.globl	_ZN7rocprim17ROCPRIM_400000_NS6detail17trampoline_kernelINS0_14default_configENS1_20scan_config_selectorIiEEZZNS1_9scan_implILNS1_25lookback_scan_determinismE0ELb1ELb1ES3_N6thrust23THRUST_200600_302600_NS6detail15normal_iteratorINS9_10device_ptrIiEEEENS9_16discard_iteratorINS9_11use_defaultEEEiNS9_4plusIvEEiEEDaPvRmT3_T4_T5_mT6_P12ihipStream_tbENKUlT_T0_E_clISt17integral_constantIbLb0EESW_IbLb1EEEEDaSS_ST_EUlSS_E_NS1_11comp_targetILNS1_3genE3ELNS1_11target_archE908ELNS1_3gpuE7ELNS1_3repE0EEENS1_30default_config_static_selectorELNS0_4arch9wavefront6targetE1EEEvT1_
	.p2align	8
	.type	_ZN7rocprim17ROCPRIM_400000_NS6detail17trampoline_kernelINS0_14default_configENS1_20scan_config_selectorIiEEZZNS1_9scan_implILNS1_25lookback_scan_determinismE0ELb1ELb1ES3_N6thrust23THRUST_200600_302600_NS6detail15normal_iteratorINS9_10device_ptrIiEEEENS9_16discard_iteratorINS9_11use_defaultEEEiNS9_4plusIvEEiEEDaPvRmT3_T4_T5_mT6_P12ihipStream_tbENKUlT_T0_E_clISt17integral_constantIbLb0EESW_IbLb1EEEEDaSS_ST_EUlSS_E_NS1_11comp_targetILNS1_3genE3ELNS1_11target_archE908ELNS1_3gpuE7ELNS1_3repE0EEENS1_30default_config_static_selectorELNS0_4arch9wavefront6targetE1EEEvT1_,@function
_ZN7rocprim17ROCPRIM_400000_NS6detail17trampoline_kernelINS0_14default_configENS1_20scan_config_selectorIiEEZZNS1_9scan_implILNS1_25lookback_scan_determinismE0ELb1ELb1ES3_N6thrust23THRUST_200600_302600_NS6detail15normal_iteratorINS9_10device_ptrIiEEEENS9_16discard_iteratorINS9_11use_defaultEEEiNS9_4plusIvEEiEEDaPvRmT3_T4_T5_mT6_P12ihipStream_tbENKUlT_T0_E_clISt17integral_constantIbLb0EESW_IbLb1EEEEDaSS_ST_EUlSS_E_NS1_11comp_targetILNS1_3genE3ELNS1_11target_archE908ELNS1_3gpuE7ELNS1_3repE0EEENS1_30default_config_static_selectorELNS0_4arch9wavefront6targetE1EEEvT1_: ; @_ZN7rocprim17ROCPRIM_400000_NS6detail17trampoline_kernelINS0_14default_configENS1_20scan_config_selectorIiEEZZNS1_9scan_implILNS1_25lookback_scan_determinismE0ELb1ELb1ES3_N6thrust23THRUST_200600_302600_NS6detail15normal_iteratorINS9_10device_ptrIiEEEENS9_16discard_iteratorINS9_11use_defaultEEEiNS9_4plusIvEEiEEDaPvRmT3_T4_T5_mT6_P12ihipStream_tbENKUlT_T0_E_clISt17integral_constantIbLb0EESW_IbLb1EEEEDaSS_ST_EUlSS_E_NS1_11comp_targetILNS1_3genE3ELNS1_11target_archE908ELNS1_3gpuE7ELNS1_3repE0EEENS1_30default_config_static_selectorELNS0_4arch9wavefront6targetE1EEEvT1_
; %bb.0:
	.section	.rodata,"a",@progbits
	.p2align	6, 0x0
	.amdhsa_kernel _ZN7rocprim17ROCPRIM_400000_NS6detail17trampoline_kernelINS0_14default_configENS1_20scan_config_selectorIiEEZZNS1_9scan_implILNS1_25lookback_scan_determinismE0ELb1ELb1ES3_N6thrust23THRUST_200600_302600_NS6detail15normal_iteratorINS9_10device_ptrIiEEEENS9_16discard_iteratorINS9_11use_defaultEEEiNS9_4plusIvEEiEEDaPvRmT3_T4_T5_mT6_P12ihipStream_tbENKUlT_T0_E_clISt17integral_constantIbLb0EESW_IbLb1EEEEDaSS_ST_EUlSS_E_NS1_11comp_targetILNS1_3genE3ELNS1_11target_archE908ELNS1_3gpuE7ELNS1_3repE0EEENS1_30default_config_static_selectorELNS0_4arch9wavefront6targetE1EEEvT1_
		.amdhsa_group_segment_fixed_size 0
		.amdhsa_private_segment_fixed_size 0
		.amdhsa_kernarg_size 104
		.amdhsa_user_sgpr_count 6
		.amdhsa_user_sgpr_private_segment_buffer 1
		.amdhsa_user_sgpr_dispatch_ptr 0
		.amdhsa_user_sgpr_queue_ptr 0
		.amdhsa_user_sgpr_kernarg_segment_ptr 1
		.amdhsa_user_sgpr_dispatch_id 0
		.amdhsa_user_sgpr_flat_scratch_init 0
		.amdhsa_user_sgpr_kernarg_preload_length 0
		.amdhsa_user_sgpr_kernarg_preload_offset 0
		.amdhsa_user_sgpr_private_segment_size 0
		.amdhsa_uses_dynamic_stack 0
		.amdhsa_system_sgpr_private_segment_wavefront_offset 0
		.amdhsa_system_sgpr_workgroup_id_x 1
		.amdhsa_system_sgpr_workgroup_id_y 0
		.amdhsa_system_sgpr_workgroup_id_z 0
		.amdhsa_system_sgpr_workgroup_info 0
		.amdhsa_system_vgpr_workitem_id 0
		.amdhsa_next_free_vgpr 1
		.amdhsa_next_free_sgpr 0
		.amdhsa_accum_offset 4
		.amdhsa_reserve_vcc 0
		.amdhsa_reserve_flat_scratch 0
		.amdhsa_float_round_mode_32 0
		.amdhsa_float_round_mode_16_64 0
		.amdhsa_float_denorm_mode_32 3
		.amdhsa_float_denorm_mode_16_64 3
		.amdhsa_dx10_clamp 1
		.amdhsa_ieee_mode 1
		.amdhsa_fp16_overflow 0
		.amdhsa_tg_split 0
		.amdhsa_exception_fp_ieee_invalid_op 0
		.amdhsa_exception_fp_denorm_src 0
		.amdhsa_exception_fp_ieee_div_zero 0
		.amdhsa_exception_fp_ieee_overflow 0
		.amdhsa_exception_fp_ieee_underflow 0
		.amdhsa_exception_fp_ieee_inexact 0
		.amdhsa_exception_int_div_zero 0
	.end_amdhsa_kernel
	.section	.text._ZN7rocprim17ROCPRIM_400000_NS6detail17trampoline_kernelINS0_14default_configENS1_20scan_config_selectorIiEEZZNS1_9scan_implILNS1_25lookback_scan_determinismE0ELb1ELb1ES3_N6thrust23THRUST_200600_302600_NS6detail15normal_iteratorINS9_10device_ptrIiEEEENS9_16discard_iteratorINS9_11use_defaultEEEiNS9_4plusIvEEiEEDaPvRmT3_T4_T5_mT6_P12ihipStream_tbENKUlT_T0_E_clISt17integral_constantIbLb0EESW_IbLb1EEEEDaSS_ST_EUlSS_E_NS1_11comp_targetILNS1_3genE3ELNS1_11target_archE908ELNS1_3gpuE7ELNS1_3repE0EEENS1_30default_config_static_selectorELNS0_4arch9wavefront6targetE1EEEvT1_,"axG",@progbits,_ZN7rocprim17ROCPRIM_400000_NS6detail17trampoline_kernelINS0_14default_configENS1_20scan_config_selectorIiEEZZNS1_9scan_implILNS1_25lookback_scan_determinismE0ELb1ELb1ES3_N6thrust23THRUST_200600_302600_NS6detail15normal_iteratorINS9_10device_ptrIiEEEENS9_16discard_iteratorINS9_11use_defaultEEEiNS9_4plusIvEEiEEDaPvRmT3_T4_T5_mT6_P12ihipStream_tbENKUlT_T0_E_clISt17integral_constantIbLb0EESW_IbLb1EEEEDaSS_ST_EUlSS_E_NS1_11comp_targetILNS1_3genE3ELNS1_11target_archE908ELNS1_3gpuE7ELNS1_3repE0EEENS1_30default_config_static_selectorELNS0_4arch9wavefront6targetE1EEEvT1_,comdat
.Lfunc_end5855:
	.size	_ZN7rocprim17ROCPRIM_400000_NS6detail17trampoline_kernelINS0_14default_configENS1_20scan_config_selectorIiEEZZNS1_9scan_implILNS1_25lookback_scan_determinismE0ELb1ELb1ES3_N6thrust23THRUST_200600_302600_NS6detail15normal_iteratorINS9_10device_ptrIiEEEENS9_16discard_iteratorINS9_11use_defaultEEEiNS9_4plusIvEEiEEDaPvRmT3_T4_T5_mT6_P12ihipStream_tbENKUlT_T0_E_clISt17integral_constantIbLb0EESW_IbLb1EEEEDaSS_ST_EUlSS_E_NS1_11comp_targetILNS1_3genE3ELNS1_11target_archE908ELNS1_3gpuE7ELNS1_3repE0EEENS1_30default_config_static_selectorELNS0_4arch9wavefront6targetE1EEEvT1_, .Lfunc_end5855-_ZN7rocprim17ROCPRIM_400000_NS6detail17trampoline_kernelINS0_14default_configENS1_20scan_config_selectorIiEEZZNS1_9scan_implILNS1_25lookback_scan_determinismE0ELb1ELb1ES3_N6thrust23THRUST_200600_302600_NS6detail15normal_iteratorINS9_10device_ptrIiEEEENS9_16discard_iteratorINS9_11use_defaultEEEiNS9_4plusIvEEiEEDaPvRmT3_T4_T5_mT6_P12ihipStream_tbENKUlT_T0_E_clISt17integral_constantIbLb0EESW_IbLb1EEEEDaSS_ST_EUlSS_E_NS1_11comp_targetILNS1_3genE3ELNS1_11target_archE908ELNS1_3gpuE7ELNS1_3repE0EEENS1_30default_config_static_selectorELNS0_4arch9wavefront6targetE1EEEvT1_
                                        ; -- End function
	.section	.AMDGPU.csdata,"",@progbits
; Kernel info:
; codeLenInByte = 0
; NumSgprs: 4
; NumVgprs: 0
; NumAgprs: 0
; TotalNumVgprs: 0
; ScratchSize: 0
; MemoryBound: 0
; FloatMode: 240
; IeeeMode: 1
; LDSByteSize: 0 bytes/workgroup (compile time only)
; SGPRBlocks: 0
; VGPRBlocks: 0
; NumSGPRsForWavesPerEU: 4
; NumVGPRsForWavesPerEU: 1
; AccumOffset: 4
; Occupancy: 8
; WaveLimiterHint : 0
; COMPUTE_PGM_RSRC2:SCRATCH_EN: 0
; COMPUTE_PGM_RSRC2:USER_SGPR: 6
; COMPUTE_PGM_RSRC2:TRAP_HANDLER: 0
; COMPUTE_PGM_RSRC2:TGID_X_EN: 1
; COMPUTE_PGM_RSRC2:TGID_Y_EN: 0
; COMPUTE_PGM_RSRC2:TGID_Z_EN: 0
; COMPUTE_PGM_RSRC2:TIDIG_COMP_CNT: 0
; COMPUTE_PGM_RSRC3_GFX90A:ACCUM_OFFSET: 0
; COMPUTE_PGM_RSRC3_GFX90A:TG_SPLIT: 0
	.section	.text._ZN7rocprim17ROCPRIM_400000_NS6detail17trampoline_kernelINS0_14default_configENS1_20scan_config_selectorIiEEZZNS1_9scan_implILNS1_25lookback_scan_determinismE0ELb1ELb1ES3_N6thrust23THRUST_200600_302600_NS6detail15normal_iteratorINS9_10device_ptrIiEEEENS9_16discard_iteratorINS9_11use_defaultEEEiNS9_4plusIvEEiEEDaPvRmT3_T4_T5_mT6_P12ihipStream_tbENKUlT_T0_E_clISt17integral_constantIbLb0EESW_IbLb1EEEEDaSS_ST_EUlSS_E_NS1_11comp_targetILNS1_3genE2ELNS1_11target_archE906ELNS1_3gpuE6ELNS1_3repE0EEENS1_30default_config_static_selectorELNS0_4arch9wavefront6targetE1EEEvT1_,"axG",@progbits,_ZN7rocprim17ROCPRIM_400000_NS6detail17trampoline_kernelINS0_14default_configENS1_20scan_config_selectorIiEEZZNS1_9scan_implILNS1_25lookback_scan_determinismE0ELb1ELb1ES3_N6thrust23THRUST_200600_302600_NS6detail15normal_iteratorINS9_10device_ptrIiEEEENS9_16discard_iteratorINS9_11use_defaultEEEiNS9_4plusIvEEiEEDaPvRmT3_T4_T5_mT6_P12ihipStream_tbENKUlT_T0_E_clISt17integral_constantIbLb0EESW_IbLb1EEEEDaSS_ST_EUlSS_E_NS1_11comp_targetILNS1_3genE2ELNS1_11target_archE906ELNS1_3gpuE6ELNS1_3repE0EEENS1_30default_config_static_selectorELNS0_4arch9wavefront6targetE1EEEvT1_,comdat
	.protected	_ZN7rocprim17ROCPRIM_400000_NS6detail17trampoline_kernelINS0_14default_configENS1_20scan_config_selectorIiEEZZNS1_9scan_implILNS1_25lookback_scan_determinismE0ELb1ELb1ES3_N6thrust23THRUST_200600_302600_NS6detail15normal_iteratorINS9_10device_ptrIiEEEENS9_16discard_iteratorINS9_11use_defaultEEEiNS9_4plusIvEEiEEDaPvRmT3_T4_T5_mT6_P12ihipStream_tbENKUlT_T0_E_clISt17integral_constantIbLb0EESW_IbLb1EEEEDaSS_ST_EUlSS_E_NS1_11comp_targetILNS1_3genE2ELNS1_11target_archE906ELNS1_3gpuE6ELNS1_3repE0EEENS1_30default_config_static_selectorELNS0_4arch9wavefront6targetE1EEEvT1_ ; -- Begin function _ZN7rocprim17ROCPRIM_400000_NS6detail17trampoline_kernelINS0_14default_configENS1_20scan_config_selectorIiEEZZNS1_9scan_implILNS1_25lookback_scan_determinismE0ELb1ELb1ES3_N6thrust23THRUST_200600_302600_NS6detail15normal_iteratorINS9_10device_ptrIiEEEENS9_16discard_iteratorINS9_11use_defaultEEEiNS9_4plusIvEEiEEDaPvRmT3_T4_T5_mT6_P12ihipStream_tbENKUlT_T0_E_clISt17integral_constantIbLb0EESW_IbLb1EEEEDaSS_ST_EUlSS_E_NS1_11comp_targetILNS1_3genE2ELNS1_11target_archE906ELNS1_3gpuE6ELNS1_3repE0EEENS1_30default_config_static_selectorELNS0_4arch9wavefront6targetE1EEEvT1_
	.globl	_ZN7rocprim17ROCPRIM_400000_NS6detail17trampoline_kernelINS0_14default_configENS1_20scan_config_selectorIiEEZZNS1_9scan_implILNS1_25lookback_scan_determinismE0ELb1ELb1ES3_N6thrust23THRUST_200600_302600_NS6detail15normal_iteratorINS9_10device_ptrIiEEEENS9_16discard_iteratorINS9_11use_defaultEEEiNS9_4plusIvEEiEEDaPvRmT3_T4_T5_mT6_P12ihipStream_tbENKUlT_T0_E_clISt17integral_constantIbLb0EESW_IbLb1EEEEDaSS_ST_EUlSS_E_NS1_11comp_targetILNS1_3genE2ELNS1_11target_archE906ELNS1_3gpuE6ELNS1_3repE0EEENS1_30default_config_static_selectorELNS0_4arch9wavefront6targetE1EEEvT1_
	.p2align	8
	.type	_ZN7rocprim17ROCPRIM_400000_NS6detail17trampoline_kernelINS0_14default_configENS1_20scan_config_selectorIiEEZZNS1_9scan_implILNS1_25lookback_scan_determinismE0ELb1ELb1ES3_N6thrust23THRUST_200600_302600_NS6detail15normal_iteratorINS9_10device_ptrIiEEEENS9_16discard_iteratorINS9_11use_defaultEEEiNS9_4plusIvEEiEEDaPvRmT3_T4_T5_mT6_P12ihipStream_tbENKUlT_T0_E_clISt17integral_constantIbLb0EESW_IbLb1EEEEDaSS_ST_EUlSS_E_NS1_11comp_targetILNS1_3genE2ELNS1_11target_archE906ELNS1_3gpuE6ELNS1_3repE0EEENS1_30default_config_static_selectorELNS0_4arch9wavefront6targetE1EEEvT1_,@function
_ZN7rocprim17ROCPRIM_400000_NS6detail17trampoline_kernelINS0_14default_configENS1_20scan_config_selectorIiEEZZNS1_9scan_implILNS1_25lookback_scan_determinismE0ELb1ELb1ES3_N6thrust23THRUST_200600_302600_NS6detail15normal_iteratorINS9_10device_ptrIiEEEENS9_16discard_iteratorINS9_11use_defaultEEEiNS9_4plusIvEEiEEDaPvRmT3_T4_T5_mT6_P12ihipStream_tbENKUlT_T0_E_clISt17integral_constantIbLb0EESW_IbLb1EEEEDaSS_ST_EUlSS_E_NS1_11comp_targetILNS1_3genE2ELNS1_11target_archE906ELNS1_3gpuE6ELNS1_3repE0EEENS1_30default_config_static_selectorELNS0_4arch9wavefront6targetE1EEEvT1_: ; @_ZN7rocprim17ROCPRIM_400000_NS6detail17trampoline_kernelINS0_14default_configENS1_20scan_config_selectorIiEEZZNS1_9scan_implILNS1_25lookback_scan_determinismE0ELb1ELb1ES3_N6thrust23THRUST_200600_302600_NS6detail15normal_iteratorINS9_10device_ptrIiEEEENS9_16discard_iteratorINS9_11use_defaultEEEiNS9_4plusIvEEiEEDaPvRmT3_T4_T5_mT6_P12ihipStream_tbENKUlT_T0_E_clISt17integral_constantIbLb0EESW_IbLb1EEEEDaSS_ST_EUlSS_E_NS1_11comp_targetILNS1_3genE2ELNS1_11target_archE906ELNS1_3gpuE6ELNS1_3repE0EEENS1_30default_config_static_selectorELNS0_4arch9wavefront6targetE1EEEvT1_
; %bb.0:
	.section	.rodata,"a",@progbits
	.p2align	6, 0x0
	.amdhsa_kernel _ZN7rocprim17ROCPRIM_400000_NS6detail17trampoline_kernelINS0_14default_configENS1_20scan_config_selectorIiEEZZNS1_9scan_implILNS1_25lookback_scan_determinismE0ELb1ELb1ES3_N6thrust23THRUST_200600_302600_NS6detail15normal_iteratorINS9_10device_ptrIiEEEENS9_16discard_iteratorINS9_11use_defaultEEEiNS9_4plusIvEEiEEDaPvRmT3_T4_T5_mT6_P12ihipStream_tbENKUlT_T0_E_clISt17integral_constantIbLb0EESW_IbLb1EEEEDaSS_ST_EUlSS_E_NS1_11comp_targetILNS1_3genE2ELNS1_11target_archE906ELNS1_3gpuE6ELNS1_3repE0EEENS1_30default_config_static_selectorELNS0_4arch9wavefront6targetE1EEEvT1_
		.amdhsa_group_segment_fixed_size 0
		.amdhsa_private_segment_fixed_size 0
		.amdhsa_kernarg_size 104
		.amdhsa_user_sgpr_count 6
		.amdhsa_user_sgpr_private_segment_buffer 1
		.amdhsa_user_sgpr_dispatch_ptr 0
		.amdhsa_user_sgpr_queue_ptr 0
		.amdhsa_user_sgpr_kernarg_segment_ptr 1
		.amdhsa_user_sgpr_dispatch_id 0
		.amdhsa_user_sgpr_flat_scratch_init 0
		.amdhsa_user_sgpr_kernarg_preload_length 0
		.amdhsa_user_sgpr_kernarg_preload_offset 0
		.amdhsa_user_sgpr_private_segment_size 0
		.amdhsa_uses_dynamic_stack 0
		.amdhsa_system_sgpr_private_segment_wavefront_offset 0
		.amdhsa_system_sgpr_workgroup_id_x 1
		.amdhsa_system_sgpr_workgroup_id_y 0
		.amdhsa_system_sgpr_workgroup_id_z 0
		.amdhsa_system_sgpr_workgroup_info 0
		.amdhsa_system_vgpr_workitem_id 0
		.amdhsa_next_free_vgpr 1
		.amdhsa_next_free_sgpr 0
		.amdhsa_accum_offset 4
		.amdhsa_reserve_vcc 0
		.amdhsa_reserve_flat_scratch 0
		.amdhsa_float_round_mode_32 0
		.amdhsa_float_round_mode_16_64 0
		.amdhsa_float_denorm_mode_32 3
		.amdhsa_float_denorm_mode_16_64 3
		.amdhsa_dx10_clamp 1
		.amdhsa_ieee_mode 1
		.amdhsa_fp16_overflow 0
		.amdhsa_tg_split 0
		.amdhsa_exception_fp_ieee_invalid_op 0
		.amdhsa_exception_fp_denorm_src 0
		.amdhsa_exception_fp_ieee_div_zero 0
		.amdhsa_exception_fp_ieee_overflow 0
		.amdhsa_exception_fp_ieee_underflow 0
		.amdhsa_exception_fp_ieee_inexact 0
		.amdhsa_exception_int_div_zero 0
	.end_amdhsa_kernel
	.section	.text._ZN7rocprim17ROCPRIM_400000_NS6detail17trampoline_kernelINS0_14default_configENS1_20scan_config_selectorIiEEZZNS1_9scan_implILNS1_25lookback_scan_determinismE0ELb1ELb1ES3_N6thrust23THRUST_200600_302600_NS6detail15normal_iteratorINS9_10device_ptrIiEEEENS9_16discard_iteratorINS9_11use_defaultEEEiNS9_4plusIvEEiEEDaPvRmT3_T4_T5_mT6_P12ihipStream_tbENKUlT_T0_E_clISt17integral_constantIbLb0EESW_IbLb1EEEEDaSS_ST_EUlSS_E_NS1_11comp_targetILNS1_3genE2ELNS1_11target_archE906ELNS1_3gpuE6ELNS1_3repE0EEENS1_30default_config_static_selectorELNS0_4arch9wavefront6targetE1EEEvT1_,"axG",@progbits,_ZN7rocprim17ROCPRIM_400000_NS6detail17trampoline_kernelINS0_14default_configENS1_20scan_config_selectorIiEEZZNS1_9scan_implILNS1_25lookback_scan_determinismE0ELb1ELb1ES3_N6thrust23THRUST_200600_302600_NS6detail15normal_iteratorINS9_10device_ptrIiEEEENS9_16discard_iteratorINS9_11use_defaultEEEiNS9_4plusIvEEiEEDaPvRmT3_T4_T5_mT6_P12ihipStream_tbENKUlT_T0_E_clISt17integral_constantIbLb0EESW_IbLb1EEEEDaSS_ST_EUlSS_E_NS1_11comp_targetILNS1_3genE2ELNS1_11target_archE906ELNS1_3gpuE6ELNS1_3repE0EEENS1_30default_config_static_selectorELNS0_4arch9wavefront6targetE1EEEvT1_,comdat
.Lfunc_end5856:
	.size	_ZN7rocprim17ROCPRIM_400000_NS6detail17trampoline_kernelINS0_14default_configENS1_20scan_config_selectorIiEEZZNS1_9scan_implILNS1_25lookback_scan_determinismE0ELb1ELb1ES3_N6thrust23THRUST_200600_302600_NS6detail15normal_iteratorINS9_10device_ptrIiEEEENS9_16discard_iteratorINS9_11use_defaultEEEiNS9_4plusIvEEiEEDaPvRmT3_T4_T5_mT6_P12ihipStream_tbENKUlT_T0_E_clISt17integral_constantIbLb0EESW_IbLb1EEEEDaSS_ST_EUlSS_E_NS1_11comp_targetILNS1_3genE2ELNS1_11target_archE906ELNS1_3gpuE6ELNS1_3repE0EEENS1_30default_config_static_selectorELNS0_4arch9wavefront6targetE1EEEvT1_, .Lfunc_end5856-_ZN7rocprim17ROCPRIM_400000_NS6detail17trampoline_kernelINS0_14default_configENS1_20scan_config_selectorIiEEZZNS1_9scan_implILNS1_25lookback_scan_determinismE0ELb1ELb1ES3_N6thrust23THRUST_200600_302600_NS6detail15normal_iteratorINS9_10device_ptrIiEEEENS9_16discard_iteratorINS9_11use_defaultEEEiNS9_4plusIvEEiEEDaPvRmT3_T4_T5_mT6_P12ihipStream_tbENKUlT_T0_E_clISt17integral_constantIbLb0EESW_IbLb1EEEEDaSS_ST_EUlSS_E_NS1_11comp_targetILNS1_3genE2ELNS1_11target_archE906ELNS1_3gpuE6ELNS1_3repE0EEENS1_30default_config_static_selectorELNS0_4arch9wavefront6targetE1EEEvT1_
                                        ; -- End function
	.section	.AMDGPU.csdata,"",@progbits
; Kernel info:
; codeLenInByte = 0
; NumSgprs: 4
; NumVgprs: 0
; NumAgprs: 0
; TotalNumVgprs: 0
; ScratchSize: 0
; MemoryBound: 0
; FloatMode: 240
; IeeeMode: 1
; LDSByteSize: 0 bytes/workgroup (compile time only)
; SGPRBlocks: 0
; VGPRBlocks: 0
; NumSGPRsForWavesPerEU: 4
; NumVGPRsForWavesPerEU: 1
; AccumOffset: 4
; Occupancy: 8
; WaveLimiterHint : 0
; COMPUTE_PGM_RSRC2:SCRATCH_EN: 0
; COMPUTE_PGM_RSRC2:USER_SGPR: 6
; COMPUTE_PGM_RSRC2:TRAP_HANDLER: 0
; COMPUTE_PGM_RSRC2:TGID_X_EN: 1
; COMPUTE_PGM_RSRC2:TGID_Y_EN: 0
; COMPUTE_PGM_RSRC2:TGID_Z_EN: 0
; COMPUTE_PGM_RSRC2:TIDIG_COMP_CNT: 0
; COMPUTE_PGM_RSRC3_GFX90A:ACCUM_OFFSET: 0
; COMPUTE_PGM_RSRC3_GFX90A:TG_SPLIT: 0
	.section	.text._ZN7rocprim17ROCPRIM_400000_NS6detail17trampoline_kernelINS0_14default_configENS1_20scan_config_selectorIiEEZZNS1_9scan_implILNS1_25lookback_scan_determinismE0ELb1ELb1ES3_N6thrust23THRUST_200600_302600_NS6detail15normal_iteratorINS9_10device_ptrIiEEEENS9_16discard_iteratorINS9_11use_defaultEEEiNS9_4plusIvEEiEEDaPvRmT3_T4_T5_mT6_P12ihipStream_tbENKUlT_T0_E_clISt17integral_constantIbLb0EESW_IbLb1EEEEDaSS_ST_EUlSS_E_NS1_11comp_targetILNS1_3genE10ELNS1_11target_archE1201ELNS1_3gpuE5ELNS1_3repE0EEENS1_30default_config_static_selectorELNS0_4arch9wavefront6targetE1EEEvT1_,"axG",@progbits,_ZN7rocprim17ROCPRIM_400000_NS6detail17trampoline_kernelINS0_14default_configENS1_20scan_config_selectorIiEEZZNS1_9scan_implILNS1_25lookback_scan_determinismE0ELb1ELb1ES3_N6thrust23THRUST_200600_302600_NS6detail15normal_iteratorINS9_10device_ptrIiEEEENS9_16discard_iteratorINS9_11use_defaultEEEiNS9_4plusIvEEiEEDaPvRmT3_T4_T5_mT6_P12ihipStream_tbENKUlT_T0_E_clISt17integral_constantIbLb0EESW_IbLb1EEEEDaSS_ST_EUlSS_E_NS1_11comp_targetILNS1_3genE10ELNS1_11target_archE1201ELNS1_3gpuE5ELNS1_3repE0EEENS1_30default_config_static_selectorELNS0_4arch9wavefront6targetE1EEEvT1_,comdat
	.protected	_ZN7rocprim17ROCPRIM_400000_NS6detail17trampoline_kernelINS0_14default_configENS1_20scan_config_selectorIiEEZZNS1_9scan_implILNS1_25lookback_scan_determinismE0ELb1ELb1ES3_N6thrust23THRUST_200600_302600_NS6detail15normal_iteratorINS9_10device_ptrIiEEEENS9_16discard_iteratorINS9_11use_defaultEEEiNS9_4plusIvEEiEEDaPvRmT3_T4_T5_mT6_P12ihipStream_tbENKUlT_T0_E_clISt17integral_constantIbLb0EESW_IbLb1EEEEDaSS_ST_EUlSS_E_NS1_11comp_targetILNS1_3genE10ELNS1_11target_archE1201ELNS1_3gpuE5ELNS1_3repE0EEENS1_30default_config_static_selectorELNS0_4arch9wavefront6targetE1EEEvT1_ ; -- Begin function _ZN7rocprim17ROCPRIM_400000_NS6detail17trampoline_kernelINS0_14default_configENS1_20scan_config_selectorIiEEZZNS1_9scan_implILNS1_25lookback_scan_determinismE0ELb1ELb1ES3_N6thrust23THRUST_200600_302600_NS6detail15normal_iteratorINS9_10device_ptrIiEEEENS9_16discard_iteratorINS9_11use_defaultEEEiNS9_4plusIvEEiEEDaPvRmT3_T4_T5_mT6_P12ihipStream_tbENKUlT_T0_E_clISt17integral_constantIbLb0EESW_IbLb1EEEEDaSS_ST_EUlSS_E_NS1_11comp_targetILNS1_3genE10ELNS1_11target_archE1201ELNS1_3gpuE5ELNS1_3repE0EEENS1_30default_config_static_selectorELNS0_4arch9wavefront6targetE1EEEvT1_
	.globl	_ZN7rocprim17ROCPRIM_400000_NS6detail17trampoline_kernelINS0_14default_configENS1_20scan_config_selectorIiEEZZNS1_9scan_implILNS1_25lookback_scan_determinismE0ELb1ELb1ES3_N6thrust23THRUST_200600_302600_NS6detail15normal_iteratorINS9_10device_ptrIiEEEENS9_16discard_iteratorINS9_11use_defaultEEEiNS9_4plusIvEEiEEDaPvRmT3_T4_T5_mT6_P12ihipStream_tbENKUlT_T0_E_clISt17integral_constantIbLb0EESW_IbLb1EEEEDaSS_ST_EUlSS_E_NS1_11comp_targetILNS1_3genE10ELNS1_11target_archE1201ELNS1_3gpuE5ELNS1_3repE0EEENS1_30default_config_static_selectorELNS0_4arch9wavefront6targetE1EEEvT1_
	.p2align	8
	.type	_ZN7rocprim17ROCPRIM_400000_NS6detail17trampoline_kernelINS0_14default_configENS1_20scan_config_selectorIiEEZZNS1_9scan_implILNS1_25lookback_scan_determinismE0ELb1ELb1ES3_N6thrust23THRUST_200600_302600_NS6detail15normal_iteratorINS9_10device_ptrIiEEEENS9_16discard_iteratorINS9_11use_defaultEEEiNS9_4plusIvEEiEEDaPvRmT3_T4_T5_mT6_P12ihipStream_tbENKUlT_T0_E_clISt17integral_constantIbLb0EESW_IbLb1EEEEDaSS_ST_EUlSS_E_NS1_11comp_targetILNS1_3genE10ELNS1_11target_archE1201ELNS1_3gpuE5ELNS1_3repE0EEENS1_30default_config_static_selectorELNS0_4arch9wavefront6targetE1EEEvT1_,@function
_ZN7rocprim17ROCPRIM_400000_NS6detail17trampoline_kernelINS0_14default_configENS1_20scan_config_selectorIiEEZZNS1_9scan_implILNS1_25lookback_scan_determinismE0ELb1ELb1ES3_N6thrust23THRUST_200600_302600_NS6detail15normal_iteratorINS9_10device_ptrIiEEEENS9_16discard_iteratorINS9_11use_defaultEEEiNS9_4plusIvEEiEEDaPvRmT3_T4_T5_mT6_P12ihipStream_tbENKUlT_T0_E_clISt17integral_constantIbLb0EESW_IbLb1EEEEDaSS_ST_EUlSS_E_NS1_11comp_targetILNS1_3genE10ELNS1_11target_archE1201ELNS1_3gpuE5ELNS1_3repE0EEENS1_30default_config_static_selectorELNS0_4arch9wavefront6targetE1EEEvT1_: ; @_ZN7rocprim17ROCPRIM_400000_NS6detail17trampoline_kernelINS0_14default_configENS1_20scan_config_selectorIiEEZZNS1_9scan_implILNS1_25lookback_scan_determinismE0ELb1ELb1ES3_N6thrust23THRUST_200600_302600_NS6detail15normal_iteratorINS9_10device_ptrIiEEEENS9_16discard_iteratorINS9_11use_defaultEEEiNS9_4plusIvEEiEEDaPvRmT3_T4_T5_mT6_P12ihipStream_tbENKUlT_T0_E_clISt17integral_constantIbLb0EESW_IbLb1EEEEDaSS_ST_EUlSS_E_NS1_11comp_targetILNS1_3genE10ELNS1_11target_archE1201ELNS1_3gpuE5ELNS1_3repE0EEENS1_30default_config_static_selectorELNS0_4arch9wavefront6targetE1EEEvT1_
; %bb.0:
	.section	.rodata,"a",@progbits
	.p2align	6, 0x0
	.amdhsa_kernel _ZN7rocprim17ROCPRIM_400000_NS6detail17trampoline_kernelINS0_14default_configENS1_20scan_config_selectorIiEEZZNS1_9scan_implILNS1_25lookback_scan_determinismE0ELb1ELb1ES3_N6thrust23THRUST_200600_302600_NS6detail15normal_iteratorINS9_10device_ptrIiEEEENS9_16discard_iteratorINS9_11use_defaultEEEiNS9_4plusIvEEiEEDaPvRmT3_T4_T5_mT6_P12ihipStream_tbENKUlT_T0_E_clISt17integral_constantIbLb0EESW_IbLb1EEEEDaSS_ST_EUlSS_E_NS1_11comp_targetILNS1_3genE10ELNS1_11target_archE1201ELNS1_3gpuE5ELNS1_3repE0EEENS1_30default_config_static_selectorELNS0_4arch9wavefront6targetE1EEEvT1_
		.amdhsa_group_segment_fixed_size 0
		.amdhsa_private_segment_fixed_size 0
		.amdhsa_kernarg_size 104
		.amdhsa_user_sgpr_count 6
		.amdhsa_user_sgpr_private_segment_buffer 1
		.amdhsa_user_sgpr_dispatch_ptr 0
		.amdhsa_user_sgpr_queue_ptr 0
		.amdhsa_user_sgpr_kernarg_segment_ptr 1
		.amdhsa_user_sgpr_dispatch_id 0
		.amdhsa_user_sgpr_flat_scratch_init 0
		.amdhsa_user_sgpr_kernarg_preload_length 0
		.amdhsa_user_sgpr_kernarg_preload_offset 0
		.amdhsa_user_sgpr_private_segment_size 0
		.amdhsa_uses_dynamic_stack 0
		.amdhsa_system_sgpr_private_segment_wavefront_offset 0
		.amdhsa_system_sgpr_workgroup_id_x 1
		.amdhsa_system_sgpr_workgroup_id_y 0
		.amdhsa_system_sgpr_workgroup_id_z 0
		.amdhsa_system_sgpr_workgroup_info 0
		.amdhsa_system_vgpr_workitem_id 0
		.amdhsa_next_free_vgpr 1
		.amdhsa_next_free_sgpr 0
		.amdhsa_accum_offset 4
		.amdhsa_reserve_vcc 0
		.amdhsa_reserve_flat_scratch 0
		.amdhsa_float_round_mode_32 0
		.amdhsa_float_round_mode_16_64 0
		.amdhsa_float_denorm_mode_32 3
		.amdhsa_float_denorm_mode_16_64 3
		.amdhsa_dx10_clamp 1
		.amdhsa_ieee_mode 1
		.amdhsa_fp16_overflow 0
		.amdhsa_tg_split 0
		.amdhsa_exception_fp_ieee_invalid_op 0
		.amdhsa_exception_fp_denorm_src 0
		.amdhsa_exception_fp_ieee_div_zero 0
		.amdhsa_exception_fp_ieee_overflow 0
		.amdhsa_exception_fp_ieee_underflow 0
		.amdhsa_exception_fp_ieee_inexact 0
		.amdhsa_exception_int_div_zero 0
	.end_amdhsa_kernel
	.section	.text._ZN7rocprim17ROCPRIM_400000_NS6detail17trampoline_kernelINS0_14default_configENS1_20scan_config_selectorIiEEZZNS1_9scan_implILNS1_25lookback_scan_determinismE0ELb1ELb1ES3_N6thrust23THRUST_200600_302600_NS6detail15normal_iteratorINS9_10device_ptrIiEEEENS9_16discard_iteratorINS9_11use_defaultEEEiNS9_4plusIvEEiEEDaPvRmT3_T4_T5_mT6_P12ihipStream_tbENKUlT_T0_E_clISt17integral_constantIbLb0EESW_IbLb1EEEEDaSS_ST_EUlSS_E_NS1_11comp_targetILNS1_3genE10ELNS1_11target_archE1201ELNS1_3gpuE5ELNS1_3repE0EEENS1_30default_config_static_selectorELNS0_4arch9wavefront6targetE1EEEvT1_,"axG",@progbits,_ZN7rocprim17ROCPRIM_400000_NS6detail17trampoline_kernelINS0_14default_configENS1_20scan_config_selectorIiEEZZNS1_9scan_implILNS1_25lookback_scan_determinismE0ELb1ELb1ES3_N6thrust23THRUST_200600_302600_NS6detail15normal_iteratorINS9_10device_ptrIiEEEENS9_16discard_iteratorINS9_11use_defaultEEEiNS9_4plusIvEEiEEDaPvRmT3_T4_T5_mT6_P12ihipStream_tbENKUlT_T0_E_clISt17integral_constantIbLb0EESW_IbLb1EEEEDaSS_ST_EUlSS_E_NS1_11comp_targetILNS1_3genE10ELNS1_11target_archE1201ELNS1_3gpuE5ELNS1_3repE0EEENS1_30default_config_static_selectorELNS0_4arch9wavefront6targetE1EEEvT1_,comdat
.Lfunc_end5857:
	.size	_ZN7rocprim17ROCPRIM_400000_NS6detail17trampoline_kernelINS0_14default_configENS1_20scan_config_selectorIiEEZZNS1_9scan_implILNS1_25lookback_scan_determinismE0ELb1ELb1ES3_N6thrust23THRUST_200600_302600_NS6detail15normal_iteratorINS9_10device_ptrIiEEEENS9_16discard_iteratorINS9_11use_defaultEEEiNS9_4plusIvEEiEEDaPvRmT3_T4_T5_mT6_P12ihipStream_tbENKUlT_T0_E_clISt17integral_constantIbLb0EESW_IbLb1EEEEDaSS_ST_EUlSS_E_NS1_11comp_targetILNS1_3genE10ELNS1_11target_archE1201ELNS1_3gpuE5ELNS1_3repE0EEENS1_30default_config_static_selectorELNS0_4arch9wavefront6targetE1EEEvT1_, .Lfunc_end5857-_ZN7rocprim17ROCPRIM_400000_NS6detail17trampoline_kernelINS0_14default_configENS1_20scan_config_selectorIiEEZZNS1_9scan_implILNS1_25lookback_scan_determinismE0ELb1ELb1ES3_N6thrust23THRUST_200600_302600_NS6detail15normal_iteratorINS9_10device_ptrIiEEEENS9_16discard_iteratorINS9_11use_defaultEEEiNS9_4plusIvEEiEEDaPvRmT3_T4_T5_mT6_P12ihipStream_tbENKUlT_T0_E_clISt17integral_constantIbLb0EESW_IbLb1EEEEDaSS_ST_EUlSS_E_NS1_11comp_targetILNS1_3genE10ELNS1_11target_archE1201ELNS1_3gpuE5ELNS1_3repE0EEENS1_30default_config_static_selectorELNS0_4arch9wavefront6targetE1EEEvT1_
                                        ; -- End function
	.section	.AMDGPU.csdata,"",@progbits
; Kernel info:
; codeLenInByte = 0
; NumSgprs: 4
; NumVgprs: 0
; NumAgprs: 0
; TotalNumVgprs: 0
; ScratchSize: 0
; MemoryBound: 0
; FloatMode: 240
; IeeeMode: 1
; LDSByteSize: 0 bytes/workgroup (compile time only)
; SGPRBlocks: 0
; VGPRBlocks: 0
; NumSGPRsForWavesPerEU: 4
; NumVGPRsForWavesPerEU: 1
; AccumOffset: 4
; Occupancy: 8
; WaveLimiterHint : 0
; COMPUTE_PGM_RSRC2:SCRATCH_EN: 0
; COMPUTE_PGM_RSRC2:USER_SGPR: 6
; COMPUTE_PGM_RSRC2:TRAP_HANDLER: 0
; COMPUTE_PGM_RSRC2:TGID_X_EN: 1
; COMPUTE_PGM_RSRC2:TGID_Y_EN: 0
; COMPUTE_PGM_RSRC2:TGID_Z_EN: 0
; COMPUTE_PGM_RSRC2:TIDIG_COMP_CNT: 0
; COMPUTE_PGM_RSRC3_GFX90A:ACCUM_OFFSET: 0
; COMPUTE_PGM_RSRC3_GFX90A:TG_SPLIT: 0
	.section	.text._ZN7rocprim17ROCPRIM_400000_NS6detail17trampoline_kernelINS0_14default_configENS1_20scan_config_selectorIiEEZZNS1_9scan_implILNS1_25lookback_scan_determinismE0ELb1ELb1ES3_N6thrust23THRUST_200600_302600_NS6detail15normal_iteratorINS9_10device_ptrIiEEEENS9_16discard_iteratorINS9_11use_defaultEEEiNS9_4plusIvEEiEEDaPvRmT3_T4_T5_mT6_P12ihipStream_tbENKUlT_T0_E_clISt17integral_constantIbLb0EESW_IbLb1EEEEDaSS_ST_EUlSS_E_NS1_11comp_targetILNS1_3genE10ELNS1_11target_archE1200ELNS1_3gpuE4ELNS1_3repE0EEENS1_30default_config_static_selectorELNS0_4arch9wavefront6targetE1EEEvT1_,"axG",@progbits,_ZN7rocprim17ROCPRIM_400000_NS6detail17trampoline_kernelINS0_14default_configENS1_20scan_config_selectorIiEEZZNS1_9scan_implILNS1_25lookback_scan_determinismE0ELb1ELb1ES3_N6thrust23THRUST_200600_302600_NS6detail15normal_iteratorINS9_10device_ptrIiEEEENS9_16discard_iteratorINS9_11use_defaultEEEiNS9_4plusIvEEiEEDaPvRmT3_T4_T5_mT6_P12ihipStream_tbENKUlT_T0_E_clISt17integral_constantIbLb0EESW_IbLb1EEEEDaSS_ST_EUlSS_E_NS1_11comp_targetILNS1_3genE10ELNS1_11target_archE1200ELNS1_3gpuE4ELNS1_3repE0EEENS1_30default_config_static_selectorELNS0_4arch9wavefront6targetE1EEEvT1_,comdat
	.protected	_ZN7rocprim17ROCPRIM_400000_NS6detail17trampoline_kernelINS0_14default_configENS1_20scan_config_selectorIiEEZZNS1_9scan_implILNS1_25lookback_scan_determinismE0ELb1ELb1ES3_N6thrust23THRUST_200600_302600_NS6detail15normal_iteratorINS9_10device_ptrIiEEEENS9_16discard_iteratorINS9_11use_defaultEEEiNS9_4plusIvEEiEEDaPvRmT3_T4_T5_mT6_P12ihipStream_tbENKUlT_T0_E_clISt17integral_constantIbLb0EESW_IbLb1EEEEDaSS_ST_EUlSS_E_NS1_11comp_targetILNS1_3genE10ELNS1_11target_archE1200ELNS1_3gpuE4ELNS1_3repE0EEENS1_30default_config_static_selectorELNS0_4arch9wavefront6targetE1EEEvT1_ ; -- Begin function _ZN7rocprim17ROCPRIM_400000_NS6detail17trampoline_kernelINS0_14default_configENS1_20scan_config_selectorIiEEZZNS1_9scan_implILNS1_25lookback_scan_determinismE0ELb1ELb1ES3_N6thrust23THRUST_200600_302600_NS6detail15normal_iteratorINS9_10device_ptrIiEEEENS9_16discard_iteratorINS9_11use_defaultEEEiNS9_4plusIvEEiEEDaPvRmT3_T4_T5_mT6_P12ihipStream_tbENKUlT_T0_E_clISt17integral_constantIbLb0EESW_IbLb1EEEEDaSS_ST_EUlSS_E_NS1_11comp_targetILNS1_3genE10ELNS1_11target_archE1200ELNS1_3gpuE4ELNS1_3repE0EEENS1_30default_config_static_selectorELNS0_4arch9wavefront6targetE1EEEvT1_
	.globl	_ZN7rocprim17ROCPRIM_400000_NS6detail17trampoline_kernelINS0_14default_configENS1_20scan_config_selectorIiEEZZNS1_9scan_implILNS1_25lookback_scan_determinismE0ELb1ELb1ES3_N6thrust23THRUST_200600_302600_NS6detail15normal_iteratorINS9_10device_ptrIiEEEENS9_16discard_iteratorINS9_11use_defaultEEEiNS9_4plusIvEEiEEDaPvRmT3_T4_T5_mT6_P12ihipStream_tbENKUlT_T0_E_clISt17integral_constantIbLb0EESW_IbLb1EEEEDaSS_ST_EUlSS_E_NS1_11comp_targetILNS1_3genE10ELNS1_11target_archE1200ELNS1_3gpuE4ELNS1_3repE0EEENS1_30default_config_static_selectorELNS0_4arch9wavefront6targetE1EEEvT1_
	.p2align	8
	.type	_ZN7rocprim17ROCPRIM_400000_NS6detail17trampoline_kernelINS0_14default_configENS1_20scan_config_selectorIiEEZZNS1_9scan_implILNS1_25lookback_scan_determinismE0ELb1ELb1ES3_N6thrust23THRUST_200600_302600_NS6detail15normal_iteratorINS9_10device_ptrIiEEEENS9_16discard_iteratorINS9_11use_defaultEEEiNS9_4plusIvEEiEEDaPvRmT3_T4_T5_mT6_P12ihipStream_tbENKUlT_T0_E_clISt17integral_constantIbLb0EESW_IbLb1EEEEDaSS_ST_EUlSS_E_NS1_11comp_targetILNS1_3genE10ELNS1_11target_archE1200ELNS1_3gpuE4ELNS1_3repE0EEENS1_30default_config_static_selectorELNS0_4arch9wavefront6targetE1EEEvT1_,@function
_ZN7rocprim17ROCPRIM_400000_NS6detail17trampoline_kernelINS0_14default_configENS1_20scan_config_selectorIiEEZZNS1_9scan_implILNS1_25lookback_scan_determinismE0ELb1ELb1ES3_N6thrust23THRUST_200600_302600_NS6detail15normal_iteratorINS9_10device_ptrIiEEEENS9_16discard_iteratorINS9_11use_defaultEEEiNS9_4plusIvEEiEEDaPvRmT3_T4_T5_mT6_P12ihipStream_tbENKUlT_T0_E_clISt17integral_constantIbLb0EESW_IbLb1EEEEDaSS_ST_EUlSS_E_NS1_11comp_targetILNS1_3genE10ELNS1_11target_archE1200ELNS1_3gpuE4ELNS1_3repE0EEENS1_30default_config_static_selectorELNS0_4arch9wavefront6targetE1EEEvT1_: ; @_ZN7rocprim17ROCPRIM_400000_NS6detail17trampoline_kernelINS0_14default_configENS1_20scan_config_selectorIiEEZZNS1_9scan_implILNS1_25lookback_scan_determinismE0ELb1ELb1ES3_N6thrust23THRUST_200600_302600_NS6detail15normal_iteratorINS9_10device_ptrIiEEEENS9_16discard_iteratorINS9_11use_defaultEEEiNS9_4plusIvEEiEEDaPvRmT3_T4_T5_mT6_P12ihipStream_tbENKUlT_T0_E_clISt17integral_constantIbLb0EESW_IbLb1EEEEDaSS_ST_EUlSS_E_NS1_11comp_targetILNS1_3genE10ELNS1_11target_archE1200ELNS1_3gpuE4ELNS1_3repE0EEENS1_30default_config_static_selectorELNS0_4arch9wavefront6targetE1EEEvT1_
; %bb.0:
	.section	.rodata,"a",@progbits
	.p2align	6, 0x0
	.amdhsa_kernel _ZN7rocprim17ROCPRIM_400000_NS6detail17trampoline_kernelINS0_14default_configENS1_20scan_config_selectorIiEEZZNS1_9scan_implILNS1_25lookback_scan_determinismE0ELb1ELb1ES3_N6thrust23THRUST_200600_302600_NS6detail15normal_iteratorINS9_10device_ptrIiEEEENS9_16discard_iteratorINS9_11use_defaultEEEiNS9_4plusIvEEiEEDaPvRmT3_T4_T5_mT6_P12ihipStream_tbENKUlT_T0_E_clISt17integral_constantIbLb0EESW_IbLb1EEEEDaSS_ST_EUlSS_E_NS1_11comp_targetILNS1_3genE10ELNS1_11target_archE1200ELNS1_3gpuE4ELNS1_3repE0EEENS1_30default_config_static_selectorELNS0_4arch9wavefront6targetE1EEEvT1_
		.amdhsa_group_segment_fixed_size 0
		.amdhsa_private_segment_fixed_size 0
		.amdhsa_kernarg_size 104
		.amdhsa_user_sgpr_count 6
		.amdhsa_user_sgpr_private_segment_buffer 1
		.amdhsa_user_sgpr_dispatch_ptr 0
		.amdhsa_user_sgpr_queue_ptr 0
		.amdhsa_user_sgpr_kernarg_segment_ptr 1
		.amdhsa_user_sgpr_dispatch_id 0
		.amdhsa_user_sgpr_flat_scratch_init 0
		.amdhsa_user_sgpr_kernarg_preload_length 0
		.amdhsa_user_sgpr_kernarg_preload_offset 0
		.amdhsa_user_sgpr_private_segment_size 0
		.amdhsa_uses_dynamic_stack 0
		.amdhsa_system_sgpr_private_segment_wavefront_offset 0
		.amdhsa_system_sgpr_workgroup_id_x 1
		.amdhsa_system_sgpr_workgroup_id_y 0
		.amdhsa_system_sgpr_workgroup_id_z 0
		.amdhsa_system_sgpr_workgroup_info 0
		.amdhsa_system_vgpr_workitem_id 0
		.amdhsa_next_free_vgpr 1
		.amdhsa_next_free_sgpr 0
		.amdhsa_accum_offset 4
		.amdhsa_reserve_vcc 0
		.amdhsa_reserve_flat_scratch 0
		.amdhsa_float_round_mode_32 0
		.amdhsa_float_round_mode_16_64 0
		.amdhsa_float_denorm_mode_32 3
		.amdhsa_float_denorm_mode_16_64 3
		.amdhsa_dx10_clamp 1
		.amdhsa_ieee_mode 1
		.amdhsa_fp16_overflow 0
		.amdhsa_tg_split 0
		.amdhsa_exception_fp_ieee_invalid_op 0
		.amdhsa_exception_fp_denorm_src 0
		.amdhsa_exception_fp_ieee_div_zero 0
		.amdhsa_exception_fp_ieee_overflow 0
		.amdhsa_exception_fp_ieee_underflow 0
		.amdhsa_exception_fp_ieee_inexact 0
		.amdhsa_exception_int_div_zero 0
	.end_amdhsa_kernel
	.section	.text._ZN7rocprim17ROCPRIM_400000_NS6detail17trampoline_kernelINS0_14default_configENS1_20scan_config_selectorIiEEZZNS1_9scan_implILNS1_25lookback_scan_determinismE0ELb1ELb1ES3_N6thrust23THRUST_200600_302600_NS6detail15normal_iteratorINS9_10device_ptrIiEEEENS9_16discard_iteratorINS9_11use_defaultEEEiNS9_4plusIvEEiEEDaPvRmT3_T4_T5_mT6_P12ihipStream_tbENKUlT_T0_E_clISt17integral_constantIbLb0EESW_IbLb1EEEEDaSS_ST_EUlSS_E_NS1_11comp_targetILNS1_3genE10ELNS1_11target_archE1200ELNS1_3gpuE4ELNS1_3repE0EEENS1_30default_config_static_selectorELNS0_4arch9wavefront6targetE1EEEvT1_,"axG",@progbits,_ZN7rocprim17ROCPRIM_400000_NS6detail17trampoline_kernelINS0_14default_configENS1_20scan_config_selectorIiEEZZNS1_9scan_implILNS1_25lookback_scan_determinismE0ELb1ELb1ES3_N6thrust23THRUST_200600_302600_NS6detail15normal_iteratorINS9_10device_ptrIiEEEENS9_16discard_iteratorINS9_11use_defaultEEEiNS9_4plusIvEEiEEDaPvRmT3_T4_T5_mT6_P12ihipStream_tbENKUlT_T0_E_clISt17integral_constantIbLb0EESW_IbLb1EEEEDaSS_ST_EUlSS_E_NS1_11comp_targetILNS1_3genE10ELNS1_11target_archE1200ELNS1_3gpuE4ELNS1_3repE0EEENS1_30default_config_static_selectorELNS0_4arch9wavefront6targetE1EEEvT1_,comdat
.Lfunc_end5858:
	.size	_ZN7rocprim17ROCPRIM_400000_NS6detail17trampoline_kernelINS0_14default_configENS1_20scan_config_selectorIiEEZZNS1_9scan_implILNS1_25lookback_scan_determinismE0ELb1ELb1ES3_N6thrust23THRUST_200600_302600_NS6detail15normal_iteratorINS9_10device_ptrIiEEEENS9_16discard_iteratorINS9_11use_defaultEEEiNS9_4plusIvEEiEEDaPvRmT3_T4_T5_mT6_P12ihipStream_tbENKUlT_T0_E_clISt17integral_constantIbLb0EESW_IbLb1EEEEDaSS_ST_EUlSS_E_NS1_11comp_targetILNS1_3genE10ELNS1_11target_archE1200ELNS1_3gpuE4ELNS1_3repE0EEENS1_30default_config_static_selectorELNS0_4arch9wavefront6targetE1EEEvT1_, .Lfunc_end5858-_ZN7rocprim17ROCPRIM_400000_NS6detail17trampoline_kernelINS0_14default_configENS1_20scan_config_selectorIiEEZZNS1_9scan_implILNS1_25lookback_scan_determinismE0ELb1ELb1ES3_N6thrust23THRUST_200600_302600_NS6detail15normal_iteratorINS9_10device_ptrIiEEEENS9_16discard_iteratorINS9_11use_defaultEEEiNS9_4plusIvEEiEEDaPvRmT3_T4_T5_mT6_P12ihipStream_tbENKUlT_T0_E_clISt17integral_constantIbLb0EESW_IbLb1EEEEDaSS_ST_EUlSS_E_NS1_11comp_targetILNS1_3genE10ELNS1_11target_archE1200ELNS1_3gpuE4ELNS1_3repE0EEENS1_30default_config_static_selectorELNS0_4arch9wavefront6targetE1EEEvT1_
                                        ; -- End function
	.section	.AMDGPU.csdata,"",@progbits
; Kernel info:
; codeLenInByte = 0
; NumSgprs: 4
; NumVgprs: 0
; NumAgprs: 0
; TotalNumVgprs: 0
; ScratchSize: 0
; MemoryBound: 0
; FloatMode: 240
; IeeeMode: 1
; LDSByteSize: 0 bytes/workgroup (compile time only)
; SGPRBlocks: 0
; VGPRBlocks: 0
; NumSGPRsForWavesPerEU: 4
; NumVGPRsForWavesPerEU: 1
; AccumOffset: 4
; Occupancy: 8
; WaveLimiterHint : 0
; COMPUTE_PGM_RSRC2:SCRATCH_EN: 0
; COMPUTE_PGM_RSRC2:USER_SGPR: 6
; COMPUTE_PGM_RSRC2:TRAP_HANDLER: 0
; COMPUTE_PGM_RSRC2:TGID_X_EN: 1
; COMPUTE_PGM_RSRC2:TGID_Y_EN: 0
; COMPUTE_PGM_RSRC2:TGID_Z_EN: 0
; COMPUTE_PGM_RSRC2:TIDIG_COMP_CNT: 0
; COMPUTE_PGM_RSRC3_GFX90A:ACCUM_OFFSET: 0
; COMPUTE_PGM_RSRC3_GFX90A:TG_SPLIT: 0
	.section	.text._ZN7rocprim17ROCPRIM_400000_NS6detail17trampoline_kernelINS0_14default_configENS1_20scan_config_selectorIiEEZZNS1_9scan_implILNS1_25lookback_scan_determinismE0ELb1ELb1ES3_N6thrust23THRUST_200600_302600_NS6detail15normal_iteratorINS9_10device_ptrIiEEEENS9_16discard_iteratorINS9_11use_defaultEEEiNS9_4plusIvEEiEEDaPvRmT3_T4_T5_mT6_P12ihipStream_tbENKUlT_T0_E_clISt17integral_constantIbLb0EESW_IbLb1EEEEDaSS_ST_EUlSS_E_NS1_11comp_targetILNS1_3genE9ELNS1_11target_archE1100ELNS1_3gpuE3ELNS1_3repE0EEENS1_30default_config_static_selectorELNS0_4arch9wavefront6targetE1EEEvT1_,"axG",@progbits,_ZN7rocprim17ROCPRIM_400000_NS6detail17trampoline_kernelINS0_14default_configENS1_20scan_config_selectorIiEEZZNS1_9scan_implILNS1_25lookback_scan_determinismE0ELb1ELb1ES3_N6thrust23THRUST_200600_302600_NS6detail15normal_iteratorINS9_10device_ptrIiEEEENS9_16discard_iteratorINS9_11use_defaultEEEiNS9_4plusIvEEiEEDaPvRmT3_T4_T5_mT6_P12ihipStream_tbENKUlT_T0_E_clISt17integral_constantIbLb0EESW_IbLb1EEEEDaSS_ST_EUlSS_E_NS1_11comp_targetILNS1_3genE9ELNS1_11target_archE1100ELNS1_3gpuE3ELNS1_3repE0EEENS1_30default_config_static_selectorELNS0_4arch9wavefront6targetE1EEEvT1_,comdat
	.protected	_ZN7rocprim17ROCPRIM_400000_NS6detail17trampoline_kernelINS0_14default_configENS1_20scan_config_selectorIiEEZZNS1_9scan_implILNS1_25lookback_scan_determinismE0ELb1ELb1ES3_N6thrust23THRUST_200600_302600_NS6detail15normal_iteratorINS9_10device_ptrIiEEEENS9_16discard_iteratorINS9_11use_defaultEEEiNS9_4plusIvEEiEEDaPvRmT3_T4_T5_mT6_P12ihipStream_tbENKUlT_T0_E_clISt17integral_constantIbLb0EESW_IbLb1EEEEDaSS_ST_EUlSS_E_NS1_11comp_targetILNS1_3genE9ELNS1_11target_archE1100ELNS1_3gpuE3ELNS1_3repE0EEENS1_30default_config_static_selectorELNS0_4arch9wavefront6targetE1EEEvT1_ ; -- Begin function _ZN7rocprim17ROCPRIM_400000_NS6detail17trampoline_kernelINS0_14default_configENS1_20scan_config_selectorIiEEZZNS1_9scan_implILNS1_25lookback_scan_determinismE0ELb1ELb1ES3_N6thrust23THRUST_200600_302600_NS6detail15normal_iteratorINS9_10device_ptrIiEEEENS9_16discard_iteratorINS9_11use_defaultEEEiNS9_4plusIvEEiEEDaPvRmT3_T4_T5_mT6_P12ihipStream_tbENKUlT_T0_E_clISt17integral_constantIbLb0EESW_IbLb1EEEEDaSS_ST_EUlSS_E_NS1_11comp_targetILNS1_3genE9ELNS1_11target_archE1100ELNS1_3gpuE3ELNS1_3repE0EEENS1_30default_config_static_selectorELNS0_4arch9wavefront6targetE1EEEvT1_
	.globl	_ZN7rocprim17ROCPRIM_400000_NS6detail17trampoline_kernelINS0_14default_configENS1_20scan_config_selectorIiEEZZNS1_9scan_implILNS1_25lookback_scan_determinismE0ELb1ELb1ES3_N6thrust23THRUST_200600_302600_NS6detail15normal_iteratorINS9_10device_ptrIiEEEENS9_16discard_iteratorINS9_11use_defaultEEEiNS9_4plusIvEEiEEDaPvRmT3_T4_T5_mT6_P12ihipStream_tbENKUlT_T0_E_clISt17integral_constantIbLb0EESW_IbLb1EEEEDaSS_ST_EUlSS_E_NS1_11comp_targetILNS1_3genE9ELNS1_11target_archE1100ELNS1_3gpuE3ELNS1_3repE0EEENS1_30default_config_static_selectorELNS0_4arch9wavefront6targetE1EEEvT1_
	.p2align	8
	.type	_ZN7rocprim17ROCPRIM_400000_NS6detail17trampoline_kernelINS0_14default_configENS1_20scan_config_selectorIiEEZZNS1_9scan_implILNS1_25lookback_scan_determinismE0ELb1ELb1ES3_N6thrust23THRUST_200600_302600_NS6detail15normal_iteratorINS9_10device_ptrIiEEEENS9_16discard_iteratorINS9_11use_defaultEEEiNS9_4plusIvEEiEEDaPvRmT3_T4_T5_mT6_P12ihipStream_tbENKUlT_T0_E_clISt17integral_constantIbLb0EESW_IbLb1EEEEDaSS_ST_EUlSS_E_NS1_11comp_targetILNS1_3genE9ELNS1_11target_archE1100ELNS1_3gpuE3ELNS1_3repE0EEENS1_30default_config_static_selectorELNS0_4arch9wavefront6targetE1EEEvT1_,@function
_ZN7rocprim17ROCPRIM_400000_NS6detail17trampoline_kernelINS0_14default_configENS1_20scan_config_selectorIiEEZZNS1_9scan_implILNS1_25lookback_scan_determinismE0ELb1ELb1ES3_N6thrust23THRUST_200600_302600_NS6detail15normal_iteratorINS9_10device_ptrIiEEEENS9_16discard_iteratorINS9_11use_defaultEEEiNS9_4plusIvEEiEEDaPvRmT3_T4_T5_mT6_P12ihipStream_tbENKUlT_T0_E_clISt17integral_constantIbLb0EESW_IbLb1EEEEDaSS_ST_EUlSS_E_NS1_11comp_targetILNS1_3genE9ELNS1_11target_archE1100ELNS1_3gpuE3ELNS1_3repE0EEENS1_30default_config_static_selectorELNS0_4arch9wavefront6targetE1EEEvT1_: ; @_ZN7rocprim17ROCPRIM_400000_NS6detail17trampoline_kernelINS0_14default_configENS1_20scan_config_selectorIiEEZZNS1_9scan_implILNS1_25lookback_scan_determinismE0ELb1ELb1ES3_N6thrust23THRUST_200600_302600_NS6detail15normal_iteratorINS9_10device_ptrIiEEEENS9_16discard_iteratorINS9_11use_defaultEEEiNS9_4plusIvEEiEEDaPvRmT3_T4_T5_mT6_P12ihipStream_tbENKUlT_T0_E_clISt17integral_constantIbLb0EESW_IbLb1EEEEDaSS_ST_EUlSS_E_NS1_11comp_targetILNS1_3genE9ELNS1_11target_archE1100ELNS1_3gpuE3ELNS1_3repE0EEENS1_30default_config_static_selectorELNS0_4arch9wavefront6targetE1EEEvT1_
; %bb.0:
	.section	.rodata,"a",@progbits
	.p2align	6, 0x0
	.amdhsa_kernel _ZN7rocprim17ROCPRIM_400000_NS6detail17trampoline_kernelINS0_14default_configENS1_20scan_config_selectorIiEEZZNS1_9scan_implILNS1_25lookback_scan_determinismE0ELb1ELb1ES3_N6thrust23THRUST_200600_302600_NS6detail15normal_iteratorINS9_10device_ptrIiEEEENS9_16discard_iteratorINS9_11use_defaultEEEiNS9_4plusIvEEiEEDaPvRmT3_T4_T5_mT6_P12ihipStream_tbENKUlT_T0_E_clISt17integral_constantIbLb0EESW_IbLb1EEEEDaSS_ST_EUlSS_E_NS1_11comp_targetILNS1_3genE9ELNS1_11target_archE1100ELNS1_3gpuE3ELNS1_3repE0EEENS1_30default_config_static_selectorELNS0_4arch9wavefront6targetE1EEEvT1_
		.amdhsa_group_segment_fixed_size 0
		.amdhsa_private_segment_fixed_size 0
		.amdhsa_kernarg_size 104
		.amdhsa_user_sgpr_count 6
		.amdhsa_user_sgpr_private_segment_buffer 1
		.amdhsa_user_sgpr_dispatch_ptr 0
		.amdhsa_user_sgpr_queue_ptr 0
		.amdhsa_user_sgpr_kernarg_segment_ptr 1
		.amdhsa_user_sgpr_dispatch_id 0
		.amdhsa_user_sgpr_flat_scratch_init 0
		.amdhsa_user_sgpr_kernarg_preload_length 0
		.amdhsa_user_sgpr_kernarg_preload_offset 0
		.amdhsa_user_sgpr_private_segment_size 0
		.amdhsa_uses_dynamic_stack 0
		.amdhsa_system_sgpr_private_segment_wavefront_offset 0
		.amdhsa_system_sgpr_workgroup_id_x 1
		.amdhsa_system_sgpr_workgroup_id_y 0
		.amdhsa_system_sgpr_workgroup_id_z 0
		.amdhsa_system_sgpr_workgroup_info 0
		.amdhsa_system_vgpr_workitem_id 0
		.amdhsa_next_free_vgpr 1
		.amdhsa_next_free_sgpr 0
		.amdhsa_accum_offset 4
		.amdhsa_reserve_vcc 0
		.amdhsa_reserve_flat_scratch 0
		.amdhsa_float_round_mode_32 0
		.amdhsa_float_round_mode_16_64 0
		.amdhsa_float_denorm_mode_32 3
		.amdhsa_float_denorm_mode_16_64 3
		.amdhsa_dx10_clamp 1
		.amdhsa_ieee_mode 1
		.amdhsa_fp16_overflow 0
		.amdhsa_tg_split 0
		.amdhsa_exception_fp_ieee_invalid_op 0
		.amdhsa_exception_fp_denorm_src 0
		.amdhsa_exception_fp_ieee_div_zero 0
		.amdhsa_exception_fp_ieee_overflow 0
		.amdhsa_exception_fp_ieee_underflow 0
		.amdhsa_exception_fp_ieee_inexact 0
		.amdhsa_exception_int_div_zero 0
	.end_amdhsa_kernel
	.section	.text._ZN7rocprim17ROCPRIM_400000_NS6detail17trampoline_kernelINS0_14default_configENS1_20scan_config_selectorIiEEZZNS1_9scan_implILNS1_25lookback_scan_determinismE0ELb1ELb1ES3_N6thrust23THRUST_200600_302600_NS6detail15normal_iteratorINS9_10device_ptrIiEEEENS9_16discard_iteratorINS9_11use_defaultEEEiNS9_4plusIvEEiEEDaPvRmT3_T4_T5_mT6_P12ihipStream_tbENKUlT_T0_E_clISt17integral_constantIbLb0EESW_IbLb1EEEEDaSS_ST_EUlSS_E_NS1_11comp_targetILNS1_3genE9ELNS1_11target_archE1100ELNS1_3gpuE3ELNS1_3repE0EEENS1_30default_config_static_selectorELNS0_4arch9wavefront6targetE1EEEvT1_,"axG",@progbits,_ZN7rocprim17ROCPRIM_400000_NS6detail17trampoline_kernelINS0_14default_configENS1_20scan_config_selectorIiEEZZNS1_9scan_implILNS1_25lookback_scan_determinismE0ELb1ELb1ES3_N6thrust23THRUST_200600_302600_NS6detail15normal_iteratorINS9_10device_ptrIiEEEENS9_16discard_iteratorINS9_11use_defaultEEEiNS9_4plusIvEEiEEDaPvRmT3_T4_T5_mT6_P12ihipStream_tbENKUlT_T0_E_clISt17integral_constantIbLb0EESW_IbLb1EEEEDaSS_ST_EUlSS_E_NS1_11comp_targetILNS1_3genE9ELNS1_11target_archE1100ELNS1_3gpuE3ELNS1_3repE0EEENS1_30default_config_static_selectorELNS0_4arch9wavefront6targetE1EEEvT1_,comdat
.Lfunc_end5859:
	.size	_ZN7rocprim17ROCPRIM_400000_NS6detail17trampoline_kernelINS0_14default_configENS1_20scan_config_selectorIiEEZZNS1_9scan_implILNS1_25lookback_scan_determinismE0ELb1ELb1ES3_N6thrust23THRUST_200600_302600_NS6detail15normal_iteratorINS9_10device_ptrIiEEEENS9_16discard_iteratorINS9_11use_defaultEEEiNS9_4plusIvEEiEEDaPvRmT3_T4_T5_mT6_P12ihipStream_tbENKUlT_T0_E_clISt17integral_constantIbLb0EESW_IbLb1EEEEDaSS_ST_EUlSS_E_NS1_11comp_targetILNS1_3genE9ELNS1_11target_archE1100ELNS1_3gpuE3ELNS1_3repE0EEENS1_30default_config_static_selectorELNS0_4arch9wavefront6targetE1EEEvT1_, .Lfunc_end5859-_ZN7rocprim17ROCPRIM_400000_NS6detail17trampoline_kernelINS0_14default_configENS1_20scan_config_selectorIiEEZZNS1_9scan_implILNS1_25lookback_scan_determinismE0ELb1ELb1ES3_N6thrust23THRUST_200600_302600_NS6detail15normal_iteratorINS9_10device_ptrIiEEEENS9_16discard_iteratorINS9_11use_defaultEEEiNS9_4plusIvEEiEEDaPvRmT3_T4_T5_mT6_P12ihipStream_tbENKUlT_T0_E_clISt17integral_constantIbLb0EESW_IbLb1EEEEDaSS_ST_EUlSS_E_NS1_11comp_targetILNS1_3genE9ELNS1_11target_archE1100ELNS1_3gpuE3ELNS1_3repE0EEENS1_30default_config_static_selectorELNS0_4arch9wavefront6targetE1EEEvT1_
                                        ; -- End function
	.section	.AMDGPU.csdata,"",@progbits
; Kernel info:
; codeLenInByte = 0
; NumSgprs: 4
; NumVgprs: 0
; NumAgprs: 0
; TotalNumVgprs: 0
; ScratchSize: 0
; MemoryBound: 0
; FloatMode: 240
; IeeeMode: 1
; LDSByteSize: 0 bytes/workgroup (compile time only)
; SGPRBlocks: 0
; VGPRBlocks: 0
; NumSGPRsForWavesPerEU: 4
; NumVGPRsForWavesPerEU: 1
; AccumOffset: 4
; Occupancy: 8
; WaveLimiterHint : 0
; COMPUTE_PGM_RSRC2:SCRATCH_EN: 0
; COMPUTE_PGM_RSRC2:USER_SGPR: 6
; COMPUTE_PGM_RSRC2:TRAP_HANDLER: 0
; COMPUTE_PGM_RSRC2:TGID_X_EN: 1
; COMPUTE_PGM_RSRC2:TGID_Y_EN: 0
; COMPUTE_PGM_RSRC2:TGID_Z_EN: 0
; COMPUTE_PGM_RSRC2:TIDIG_COMP_CNT: 0
; COMPUTE_PGM_RSRC3_GFX90A:ACCUM_OFFSET: 0
; COMPUTE_PGM_RSRC3_GFX90A:TG_SPLIT: 0
	.section	.text._ZN7rocprim17ROCPRIM_400000_NS6detail17trampoline_kernelINS0_14default_configENS1_20scan_config_selectorIiEEZZNS1_9scan_implILNS1_25lookback_scan_determinismE0ELb1ELb1ES3_N6thrust23THRUST_200600_302600_NS6detail15normal_iteratorINS9_10device_ptrIiEEEENS9_16discard_iteratorINS9_11use_defaultEEEiNS9_4plusIvEEiEEDaPvRmT3_T4_T5_mT6_P12ihipStream_tbENKUlT_T0_E_clISt17integral_constantIbLb0EESW_IbLb1EEEEDaSS_ST_EUlSS_E_NS1_11comp_targetILNS1_3genE8ELNS1_11target_archE1030ELNS1_3gpuE2ELNS1_3repE0EEENS1_30default_config_static_selectorELNS0_4arch9wavefront6targetE1EEEvT1_,"axG",@progbits,_ZN7rocprim17ROCPRIM_400000_NS6detail17trampoline_kernelINS0_14default_configENS1_20scan_config_selectorIiEEZZNS1_9scan_implILNS1_25lookback_scan_determinismE0ELb1ELb1ES3_N6thrust23THRUST_200600_302600_NS6detail15normal_iteratorINS9_10device_ptrIiEEEENS9_16discard_iteratorINS9_11use_defaultEEEiNS9_4plusIvEEiEEDaPvRmT3_T4_T5_mT6_P12ihipStream_tbENKUlT_T0_E_clISt17integral_constantIbLb0EESW_IbLb1EEEEDaSS_ST_EUlSS_E_NS1_11comp_targetILNS1_3genE8ELNS1_11target_archE1030ELNS1_3gpuE2ELNS1_3repE0EEENS1_30default_config_static_selectorELNS0_4arch9wavefront6targetE1EEEvT1_,comdat
	.protected	_ZN7rocprim17ROCPRIM_400000_NS6detail17trampoline_kernelINS0_14default_configENS1_20scan_config_selectorIiEEZZNS1_9scan_implILNS1_25lookback_scan_determinismE0ELb1ELb1ES3_N6thrust23THRUST_200600_302600_NS6detail15normal_iteratorINS9_10device_ptrIiEEEENS9_16discard_iteratorINS9_11use_defaultEEEiNS9_4plusIvEEiEEDaPvRmT3_T4_T5_mT6_P12ihipStream_tbENKUlT_T0_E_clISt17integral_constantIbLb0EESW_IbLb1EEEEDaSS_ST_EUlSS_E_NS1_11comp_targetILNS1_3genE8ELNS1_11target_archE1030ELNS1_3gpuE2ELNS1_3repE0EEENS1_30default_config_static_selectorELNS0_4arch9wavefront6targetE1EEEvT1_ ; -- Begin function _ZN7rocprim17ROCPRIM_400000_NS6detail17trampoline_kernelINS0_14default_configENS1_20scan_config_selectorIiEEZZNS1_9scan_implILNS1_25lookback_scan_determinismE0ELb1ELb1ES3_N6thrust23THRUST_200600_302600_NS6detail15normal_iteratorINS9_10device_ptrIiEEEENS9_16discard_iteratorINS9_11use_defaultEEEiNS9_4plusIvEEiEEDaPvRmT3_T4_T5_mT6_P12ihipStream_tbENKUlT_T0_E_clISt17integral_constantIbLb0EESW_IbLb1EEEEDaSS_ST_EUlSS_E_NS1_11comp_targetILNS1_3genE8ELNS1_11target_archE1030ELNS1_3gpuE2ELNS1_3repE0EEENS1_30default_config_static_selectorELNS0_4arch9wavefront6targetE1EEEvT1_
	.globl	_ZN7rocprim17ROCPRIM_400000_NS6detail17trampoline_kernelINS0_14default_configENS1_20scan_config_selectorIiEEZZNS1_9scan_implILNS1_25lookback_scan_determinismE0ELb1ELb1ES3_N6thrust23THRUST_200600_302600_NS6detail15normal_iteratorINS9_10device_ptrIiEEEENS9_16discard_iteratorINS9_11use_defaultEEEiNS9_4plusIvEEiEEDaPvRmT3_T4_T5_mT6_P12ihipStream_tbENKUlT_T0_E_clISt17integral_constantIbLb0EESW_IbLb1EEEEDaSS_ST_EUlSS_E_NS1_11comp_targetILNS1_3genE8ELNS1_11target_archE1030ELNS1_3gpuE2ELNS1_3repE0EEENS1_30default_config_static_selectorELNS0_4arch9wavefront6targetE1EEEvT1_
	.p2align	8
	.type	_ZN7rocprim17ROCPRIM_400000_NS6detail17trampoline_kernelINS0_14default_configENS1_20scan_config_selectorIiEEZZNS1_9scan_implILNS1_25lookback_scan_determinismE0ELb1ELb1ES3_N6thrust23THRUST_200600_302600_NS6detail15normal_iteratorINS9_10device_ptrIiEEEENS9_16discard_iteratorINS9_11use_defaultEEEiNS9_4plusIvEEiEEDaPvRmT3_T4_T5_mT6_P12ihipStream_tbENKUlT_T0_E_clISt17integral_constantIbLb0EESW_IbLb1EEEEDaSS_ST_EUlSS_E_NS1_11comp_targetILNS1_3genE8ELNS1_11target_archE1030ELNS1_3gpuE2ELNS1_3repE0EEENS1_30default_config_static_selectorELNS0_4arch9wavefront6targetE1EEEvT1_,@function
_ZN7rocprim17ROCPRIM_400000_NS6detail17trampoline_kernelINS0_14default_configENS1_20scan_config_selectorIiEEZZNS1_9scan_implILNS1_25lookback_scan_determinismE0ELb1ELb1ES3_N6thrust23THRUST_200600_302600_NS6detail15normal_iteratorINS9_10device_ptrIiEEEENS9_16discard_iteratorINS9_11use_defaultEEEiNS9_4plusIvEEiEEDaPvRmT3_T4_T5_mT6_P12ihipStream_tbENKUlT_T0_E_clISt17integral_constantIbLb0EESW_IbLb1EEEEDaSS_ST_EUlSS_E_NS1_11comp_targetILNS1_3genE8ELNS1_11target_archE1030ELNS1_3gpuE2ELNS1_3repE0EEENS1_30default_config_static_selectorELNS0_4arch9wavefront6targetE1EEEvT1_: ; @_ZN7rocprim17ROCPRIM_400000_NS6detail17trampoline_kernelINS0_14default_configENS1_20scan_config_selectorIiEEZZNS1_9scan_implILNS1_25lookback_scan_determinismE0ELb1ELb1ES3_N6thrust23THRUST_200600_302600_NS6detail15normal_iteratorINS9_10device_ptrIiEEEENS9_16discard_iteratorINS9_11use_defaultEEEiNS9_4plusIvEEiEEDaPvRmT3_T4_T5_mT6_P12ihipStream_tbENKUlT_T0_E_clISt17integral_constantIbLb0EESW_IbLb1EEEEDaSS_ST_EUlSS_E_NS1_11comp_targetILNS1_3genE8ELNS1_11target_archE1030ELNS1_3gpuE2ELNS1_3repE0EEENS1_30default_config_static_selectorELNS0_4arch9wavefront6targetE1EEEvT1_
; %bb.0:
	.section	.rodata,"a",@progbits
	.p2align	6, 0x0
	.amdhsa_kernel _ZN7rocprim17ROCPRIM_400000_NS6detail17trampoline_kernelINS0_14default_configENS1_20scan_config_selectorIiEEZZNS1_9scan_implILNS1_25lookback_scan_determinismE0ELb1ELb1ES3_N6thrust23THRUST_200600_302600_NS6detail15normal_iteratorINS9_10device_ptrIiEEEENS9_16discard_iteratorINS9_11use_defaultEEEiNS9_4plusIvEEiEEDaPvRmT3_T4_T5_mT6_P12ihipStream_tbENKUlT_T0_E_clISt17integral_constantIbLb0EESW_IbLb1EEEEDaSS_ST_EUlSS_E_NS1_11comp_targetILNS1_3genE8ELNS1_11target_archE1030ELNS1_3gpuE2ELNS1_3repE0EEENS1_30default_config_static_selectorELNS0_4arch9wavefront6targetE1EEEvT1_
		.amdhsa_group_segment_fixed_size 0
		.amdhsa_private_segment_fixed_size 0
		.amdhsa_kernarg_size 104
		.amdhsa_user_sgpr_count 6
		.amdhsa_user_sgpr_private_segment_buffer 1
		.amdhsa_user_sgpr_dispatch_ptr 0
		.amdhsa_user_sgpr_queue_ptr 0
		.amdhsa_user_sgpr_kernarg_segment_ptr 1
		.amdhsa_user_sgpr_dispatch_id 0
		.amdhsa_user_sgpr_flat_scratch_init 0
		.amdhsa_user_sgpr_kernarg_preload_length 0
		.amdhsa_user_sgpr_kernarg_preload_offset 0
		.amdhsa_user_sgpr_private_segment_size 0
		.amdhsa_uses_dynamic_stack 0
		.amdhsa_system_sgpr_private_segment_wavefront_offset 0
		.amdhsa_system_sgpr_workgroup_id_x 1
		.amdhsa_system_sgpr_workgroup_id_y 0
		.amdhsa_system_sgpr_workgroup_id_z 0
		.amdhsa_system_sgpr_workgroup_info 0
		.amdhsa_system_vgpr_workitem_id 0
		.amdhsa_next_free_vgpr 1
		.amdhsa_next_free_sgpr 0
		.amdhsa_accum_offset 4
		.amdhsa_reserve_vcc 0
		.amdhsa_reserve_flat_scratch 0
		.amdhsa_float_round_mode_32 0
		.amdhsa_float_round_mode_16_64 0
		.amdhsa_float_denorm_mode_32 3
		.amdhsa_float_denorm_mode_16_64 3
		.amdhsa_dx10_clamp 1
		.amdhsa_ieee_mode 1
		.amdhsa_fp16_overflow 0
		.amdhsa_tg_split 0
		.amdhsa_exception_fp_ieee_invalid_op 0
		.amdhsa_exception_fp_denorm_src 0
		.amdhsa_exception_fp_ieee_div_zero 0
		.amdhsa_exception_fp_ieee_overflow 0
		.amdhsa_exception_fp_ieee_underflow 0
		.amdhsa_exception_fp_ieee_inexact 0
		.amdhsa_exception_int_div_zero 0
	.end_amdhsa_kernel
	.section	.text._ZN7rocprim17ROCPRIM_400000_NS6detail17trampoline_kernelINS0_14default_configENS1_20scan_config_selectorIiEEZZNS1_9scan_implILNS1_25lookback_scan_determinismE0ELb1ELb1ES3_N6thrust23THRUST_200600_302600_NS6detail15normal_iteratorINS9_10device_ptrIiEEEENS9_16discard_iteratorINS9_11use_defaultEEEiNS9_4plusIvEEiEEDaPvRmT3_T4_T5_mT6_P12ihipStream_tbENKUlT_T0_E_clISt17integral_constantIbLb0EESW_IbLb1EEEEDaSS_ST_EUlSS_E_NS1_11comp_targetILNS1_3genE8ELNS1_11target_archE1030ELNS1_3gpuE2ELNS1_3repE0EEENS1_30default_config_static_selectorELNS0_4arch9wavefront6targetE1EEEvT1_,"axG",@progbits,_ZN7rocprim17ROCPRIM_400000_NS6detail17trampoline_kernelINS0_14default_configENS1_20scan_config_selectorIiEEZZNS1_9scan_implILNS1_25lookback_scan_determinismE0ELb1ELb1ES3_N6thrust23THRUST_200600_302600_NS6detail15normal_iteratorINS9_10device_ptrIiEEEENS9_16discard_iteratorINS9_11use_defaultEEEiNS9_4plusIvEEiEEDaPvRmT3_T4_T5_mT6_P12ihipStream_tbENKUlT_T0_E_clISt17integral_constantIbLb0EESW_IbLb1EEEEDaSS_ST_EUlSS_E_NS1_11comp_targetILNS1_3genE8ELNS1_11target_archE1030ELNS1_3gpuE2ELNS1_3repE0EEENS1_30default_config_static_selectorELNS0_4arch9wavefront6targetE1EEEvT1_,comdat
.Lfunc_end5860:
	.size	_ZN7rocprim17ROCPRIM_400000_NS6detail17trampoline_kernelINS0_14default_configENS1_20scan_config_selectorIiEEZZNS1_9scan_implILNS1_25lookback_scan_determinismE0ELb1ELb1ES3_N6thrust23THRUST_200600_302600_NS6detail15normal_iteratorINS9_10device_ptrIiEEEENS9_16discard_iteratorINS9_11use_defaultEEEiNS9_4plusIvEEiEEDaPvRmT3_T4_T5_mT6_P12ihipStream_tbENKUlT_T0_E_clISt17integral_constantIbLb0EESW_IbLb1EEEEDaSS_ST_EUlSS_E_NS1_11comp_targetILNS1_3genE8ELNS1_11target_archE1030ELNS1_3gpuE2ELNS1_3repE0EEENS1_30default_config_static_selectorELNS0_4arch9wavefront6targetE1EEEvT1_, .Lfunc_end5860-_ZN7rocprim17ROCPRIM_400000_NS6detail17trampoline_kernelINS0_14default_configENS1_20scan_config_selectorIiEEZZNS1_9scan_implILNS1_25lookback_scan_determinismE0ELb1ELb1ES3_N6thrust23THRUST_200600_302600_NS6detail15normal_iteratorINS9_10device_ptrIiEEEENS9_16discard_iteratorINS9_11use_defaultEEEiNS9_4plusIvEEiEEDaPvRmT3_T4_T5_mT6_P12ihipStream_tbENKUlT_T0_E_clISt17integral_constantIbLb0EESW_IbLb1EEEEDaSS_ST_EUlSS_E_NS1_11comp_targetILNS1_3genE8ELNS1_11target_archE1030ELNS1_3gpuE2ELNS1_3repE0EEENS1_30default_config_static_selectorELNS0_4arch9wavefront6targetE1EEEvT1_
                                        ; -- End function
	.section	.AMDGPU.csdata,"",@progbits
; Kernel info:
; codeLenInByte = 0
; NumSgprs: 4
; NumVgprs: 0
; NumAgprs: 0
; TotalNumVgprs: 0
; ScratchSize: 0
; MemoryBound: 0
; FloatMode: 240
; IeeeMode: 1
; LDSByteSize: 0 bytes/workgroup (compile time only)
; SGPRBlocks: 0
; VGPRBlocks: 0
; NumSGPRsForWavesPerEU: 4
; NumVGPRsForWavesPerEU: 1
; AccumOffset: 4
; Occupancy: 8
; WaveLimiterHint : 0
; COMPUTE_PGM_RSRC2:SCRATCH_EN: 0
; COMPUTE_PGM_RSRC2:USER_SGPR: 6
; COMPUTE_PGM_RSRC2:TRAP_HANDLER: 0
; COMPUTE_PGM_RSRC2:TGID_X_EN: 1
; COMPUTE_PGM_RSRC2:TGID_Y_EN: 0
; COMPUTE_PGM_RSRC2:TGID_Z_EN: 0
; COMPUTE_PGM_RSRC2:TIDIG_COMP_CNT: 0
; COMPUTE_PGM_RSRC3_GFX90A:ACCUM_OFFSET: 0
; COMPUTE_PGM_RSRC3_GFX90A:TG_SPLIT: 0
	.section	.text._ZN7rocprim17ROCPRIM_400000_NS6detail17trampoline_kernelINS0_14default_configENS1_20scan_config_selectorIiEEZZNS1_9scan_implILNS1_25lookback_scan_determinismE0ELb1ELb1ES3_N6thrust23THRUST_200600_302600_NS6detail15normal_iteratorINS9_10device_ptrIiEEEENS9_16discard_iteratorINS9_11use_defaultEEEiNS9_4plusIvEEiEEDaPvRmT3_T4_T5_mT6_P12ihipStream_tbENKUlT_T0_E_clISt17integral_constantIbLb0EESW_IbLb1EEEEDaSS_ST_EUlSS_E0_NS1_11comp_targetILNS1_3genE0ELNS1_11target_archE4294967295ELNS1_3gpuE0ELNS1_3repE0EEENS1_30default_config_static_selectorELNS0_4arch9wavefront6targetE1EEEvT1_,"axG",@progbits,_ZN7rocprim17ROCPRIM_400000_NS6detail17trampoline_kernelINS0_14default_configENS1_20scan_config_selectorIiEEZZNS1_9scan_implILNS1_25lookback_scan_determinismE0ELb1ELb1ES3_N6thrust23THRUST_200600_302600_NS6detail15normal_iteratorINS9_10device_ptrIiEEEENS9_16discard_iteratorINS9_11use_defaultEEEiNS9_4plusIvEEiEEDaPvRmT3_T4_T5_mT6_P12ihipStream_tbENKUlT_T0_E_clISt17integral_constantIbLb0EESW_IbLb1EEEEDaSS_ST_EUlSS_E0_NS1_11comp_targetILNS1_3genE0ELNS1_11target_archE4294967295ELNS1_3gpuE0ELNS1_3repE0EEENS1_30default_config_static_selectorELNS0_4arch9wavefront6targetE1EEEvT1_,comdat
	.protected	_ZN7rocprim17ROCPRIM_400000_NS6detail17trampoline_kernelINS0_14default_configENS1_20scan_config_selectorIiEEZZNS1_9scan_implILNS1_25lookback_scan_determinismE0ELb1ELb1ES3_N6thrust23THRUST_200600_302600_NS6detail15normal_iteratorINS9_10device_ptrIiEEEENS9_16discard_iteratorINS9_11use_defaultEEEiNS9_4plusIvEEiEEDaPvRmT3_T4_T5_mT6_P12ihipStream_tbENKUlT_T0_E_clISt17integral_constantIbLb0EESW_IbLb1EEEEDaSS_ST_EUlSS_E0_NS1_11comp_targetILNS1_3genE0ELNS1_11target_archE4294967295ELNS1_3gpuE0ELNS1_3repE0EEENS1_30default_config_static_selectorELNS0_4arch9wavefront6targetE1EEEvT1_ ; -- Begin function _ZN7rocprim17ROCPRIM_400000_NS6detail17trampoline_kernelINS0_14default_configENS1_20scan_config_selectorIiEEZZNS1_9scan_implILNS1_25lookback_scan_determinismE0ELb1ELb1ES3_N6thrust23THRUST_200600_302600_NS6detail15normal_iteratorINS9_10device_ptrIiEEEENS9_16discard_iteratorINS9_11use_defaultEEEiNS9_4plusIvEEiEEDaPvRmT3_T4_T5_mT6_P12ihipStream_tbENKUlT_T0_E_clISt17integral_constantIbLb0EESW_IbLb1EEEEDaSS_ST_EUlSS_E0_NS1_11comp_targetILNS1_3genE0ELNS1_11target_archE4294967295ELNS1_3gpuE0ELNS1_3repE0EEENS1_30default_config_static_selectorELNS0_4arch9wavefront6targetE1EEEvT1_
	.globl	_ZN7rocprim17ROCPRIM_400000_NS6detail17trampoline_kernelINS0_14default_configENS1_20scan_config_selectorIiEEZZNS1_9scan_implILNS1_25lookback_scan_determinismE0ELb1ELb1ES3_N6thrust23THRUST_200600_302600_NS6detail15normal_iteratorINS9_10device_ptrIiEEEENS9_16discard_iteratorINS9_11use_defaultEEEiNS9_4plusIvEEiEEDaPvRmT3_T4_T5_mT6_P12ihipStream_tbENKUlT_T0_E_clISt17integral_constantIbLb0EESW_IbLb1EEEEDaSS_ST_EUlSS_E0_NS1_11comp_targetILNS1_3genE0ELNS1_11target_archE4294967295ELNS1_3gpuE0ELNS1_3repE0EEENS1_30default_config_static_selectorELNS0_4arch9wavefront6targetE1EEEvT1_
	.p2align	8
	.type	_ZN7rocprim17ROCPRIM_400000_NS6detail17trampoline_kernelINS0_14default_configENS1_20scan_config_selectorIiEEZZNS1_9scan_implILNS1_25lookback_scan_determinismE0ELb1ELb1ES3_N6thrust23THRUST_200600_302600_NS6detail15normal_iteratorINS9_10device_ptrIiEEEENS9_16discard_iteratorINS9_11use_defaultEEEiNS9_4plusIvEEiEEDaPvRmT3_T4_T5_mT6_P12ihipStream_tbENKUlT_T0_E_clISt17integral_constantIbLb0EESW_IbLb1EEEEDaSS_ST_EUlSS_E0_NS1_11comp_targetILNS1_3genE0ELNS1_11target_archE4294967295ELNS1_3gpuE0ELNS1_3repE0EEENS1_30default_config_static_selectorELNS0_4arch9wavefront6targetE1EEEvT1_,@function
_ZN7rocprim17ROCPRIM_400000_NS6detail17trampoline_kernelINS0_14default_configENS1_20scan_config_selectorIiEEZZNS1_9scan_implILNS1_25lookback_scan_determinismE0ELb1ELb1ES3_N6thrust23THRUST_200600_302600_NS6detail15normal_iteratorINS9_10device_ptrIiEEEENS9_16discard_iteratorINS9_11use_defaultEEEiNS9_4plusIvEEiEEDaPvRmT3_T4_T5_mT6_P12ihipStream_tbENKUlT_T0_E_clISt17integral_constantIbLb0EESW_IbLb1EEEEDaSS_ST_EUlSS_E0_NS1_11comp_targetILNS1_3genE0ELNS1_11target_archE4294967295ELNS1_3gpuE0ELNS1_3repE0EEENS1_30default_config_static_selectorELNS0_4arch9wavefront6targetE1EEEvT1_: ; @_ZN7rocprim17ROCPRIM_400000_NS6detail17trampoline_kernelINS0_14default_configENS1_20scan_config_selectorIiEEZZNS1_9scan_implILNS1_25lookback_scan_determinismE0ELb1ELb1ES3_N6thrust23THRUST_200600_302600_NS6detail15normal_iteratorINS9_10device_ptrIiEEEENS9_16discard_iteratorINS9_11use_defaultEEEiNS9_4plusIvEEiEEDaPvRmT3_T4_T5_mT6_P12ihipStream_tbENKUlT_T0_E_clISt17integral_constantIbLb0EESW_IbLb1EEEEDaSS_ST_EUlSS_E0_NS1_11comp_targetILNS1_3genE0ELNS1_11target_archE4294967295ELNS1_3gpuE0ELNS1_3repE0EEENS1_30default_config_static_selectorELNS0_4arch9wavefront6targetE1EEEvT1_
; %bb.0:
	.section	.rodata,"a",@progbits
	.p2align	6, 0x0
	.amdhsa_kernel _ZN7rocprim17ROCPRIM_400000_NS6detail17trampoline_kernelINS0_14default_configENS1_20scan_config_selectorIiEEZZNS1_9scan_implILNS1_25lookback_scan_determinismE0ELb1ELb1ES3_N6thrust23THRUST_200600_302600_NS6detail15normal_iteratorINS9_10device_ptrIiEEEENS9_16discard_iteratorINS9_11use_defaultEEEiNS9_4plusIvEEiEEDaPvRmT3_T4_T5_mT6_P12ihipStream_tbENKUlT_T0_E_clISt17integral_constantIbLb0EESW_IbLb1EEEEDaSS_ST_EUlSS_E0_NS1_11comp_targetILNS1_3genE0ELNS1_11target_archE4294967295ELNS1_3gpuE0ELNS1_3repE0EEENS1_30default_config_static_selectorELNS0_4arch9wavefront6targetE1EEEvT1_
		.amdhsa_group_segment_fixed_size 0
		.amdhsa_private_segment_fixed_size 0
		.amdhsa_kernarg_size 40
		.amdhsa_user_sgpr_count 6
		.amdhsa_user_sgpr_private_segment_buffer 1
		.amdhsa_user_sgpr_dispatch_ptr 0
		.amdhsa_user_sgpr_queue_ptr 0
		.amdhsa_user_sgpr_kernarg_segment_ptr 1
		.amdhsa_user_sgpr_dispatch_id 0
		.amdhsa_user_sgpr_flat_scratch_init 0
		.amdhsa_user_sgpr_kernarg_preload_length 0
		.amdhsa_user_sgpr_kernarg_preload_offset 0
		.amdhsa_user_sgpr_private_segment_size 0
		.amdhsa_uses_dynamic_stack 0
		.amdhsa_system_sgpr_private_segment_wavefront_offset 0
		.amdhsa_system_sgpr_workgroup_id_x 1
		.amdhsa_system_sgpr_workgroup_id_y 0
		.amdhsa_system_sgpr_workgroup_id_z 0
		.amdhsa_system_sgpr_workgroup_info 0
		.amdhsa_system_vgpr_workitem_id 0
		.amdhsa_next_free_vgpr 1
		.amdhsa_next_free_sgpr 0
		.amdhsa_accum_offset 4
		.amdhsa_reserve_vcc 0
		.amdhsa_reserve_flat_scratch 0
		.amdhsa_float_round_mode_32 0
		.amdhsa_float_round_mode_16_64 0
		.amdhsa_float_denorm_mode_32 3
		.amdhsa_float_denorm_mode_16_64 3
		.amdhsa_dx10_clamp 1
		.amdhsa_ieee_mode 1
		.amdhsa_fp16_overflow 0
		.amdhsa_tg_split 0
		.amdhsa_exception_fp_ieee_invalid_op 0
		.amdhsa_exception_fp_denorm_src 0
		.amdhsa_exception_fp_ieee_div_zero 0
		.amdhsa_exception_fp_ieee_overflow 0
		.amdhsa_exception_fp_ieee_underflow 0
		.amdhsa_exception_fp_ieee_inexact 0
		.amdhsa_exception_int_div_zero 0
	.end_amdhsa_kernel
	.section	.text._ZN7rocprim17ROCPRIM_400000_NS6detail17trampoline_kernelINS0_14default_configENS1_20scan_config_selectorIiEEZZNS1_9scan_implILNS1_25lookback_scan_determinismE0ELb1ELb1ES3_N6thrust23THRUST_200600_302600_NS6detail15normal_iteratorINS9_10device_ptrIiEEEENS9_16discard_iteratorINS9_11use_defaultEEEiNS9_4plusIvEEiEEDaPvRmT3_T4_T5_mT6_P12ihipStream_tbENKUlT_T0_E_clISt17integral_constantIbLb0EESW_IbLb1EEEEDaSS_ST_EUlSS_E0_NS1_11comp_targetILNS1_3genE0ELNS1_11target_archE4294967295ELNS1_3gpuE0ELNS1_3repE0EEENS1_30default_config_static_selectorELNS0_4arch9wavefront6targetE1EEEvT1_,"axG",@progbits,_ZN7rocprim17ROCPRIM_400000_NS6detail17trampoline_kernelINS0_14default_configENS1_20scan_config_selectorIiEEZZNS1_9scan_implILNS1_25lookback_scan_determinismE0ELb1ELb1ES3_N6thrust23THRUST_200600_302600_NS6detail15normal_iteratorINS9_10device_ptrIiEEEENS9_16discard_iteratorINS9_11use_defaultEEEiNS9_4plusIvEEiEEDaPvRmT3_T4_T5_mT6_P12ihipStream_tbENKUlT_T0_E_clISt17integral_constantIbLb0EESW_IbLb1EEEEDaSS_ST_EUlSS_E0_NS1_11comp_targetILNS1_3genE0ELNS1_11target_archE4294967295ELNS1_3gpuE0ELNS1_3repE0EEENS1_30default_config_static_selectorELNS0_4arch9wavefront6targetE1EEEvT1_,comdat
.Lfunc_end5861:
	.size	_ZN7rocprim17ROCPRIM_400000_NS6detail17trampoline_kernelINS0_14default_configENS1_20scan_config_selectorIiEEZZNS1_9scan_implILNS1_25lookback_scan_determinismE0ELb1ELb1ES3_N6thrust23THRUST_200600_302600_NS6detail15normal_iteratorINS9_10device_ptrIiEEEENS9_16discard_iteratorINS9_11use_defaultEEEiNS9_4plusIvEEiEEDaPvRmT3_T4_T5_mT6_P12ihipStream_tbENKUlT_T0_E_clISt17integral_constantIbLb0EESW_IbLb1EEEEDaSS_ST_EUlSS_E0_NS1_11comp_targetILNS1_3genE0ELNS1_11target_archE4294967295ELNS1_3gpuE0ELNS1_3repE0EEENS1_30default_config_static_selectorELNS0_4arch9wavefront6targetE1EEEvT1_, .Lfunc_end5861-_ZN7rocprim17ROCPRIM_400000_NS6detail17trampoline_kernelINS0_14default_configENS1_20scan_config_selectorIiEEZZNS1_9scan_implILNS1_25lookback_scan_determinismE0ELb1ELb1ES3_N6thrust23THRUST_200600_302600_NS6detail15normal_iteratorINS9_10device_ptrIiEEEENS9_16discard_iteratorINS9_11use_defaultEEEiNS9_4plusIvEEiEEDaPvRmT3_T4_T5_mT6_P12ihipStream_tbENKUlT_T0_E_clISt17integral_constantIbLb0EESW_IbLb1EEEEDaSS_ST_EUlSS_E0_NS1_11comp_targetILNS1_3genE0ELNS1_11target_archE4294967295ELNS1_3gpuE0ELNS1_3repE0EEENS1_30default_config_static_selectorELNS0_4arch9wavefront6targetE1EEEvT1_
                                        ; -- End function
	.section	.AMDGPU.csdata,"",@progbits
; Kernel info:
; codeLenInByte = 0
; NumSgprs: 4
; NumVgprs: 0
; NumAgprs: 0
; TotalNumVgprs: 0
; ScratchSize: 0
; MemoryBound: 0
; FloatMode: 240
; IeeeMode: 1
; LDSByteSize: 0 bytes/workgroup (compile time only)
; SGPRBlocks: 0
; VGPRBlocks: 0
; NumSGPRsForWavesPerEU: 4
; NumVGPRsForWavesPerEU: 1
; AccumOffset: 4
; Occupancy: 8
; WaveLimiterHint : 0
; COMPUTE_PGM_RSRC2:SCRATCH_EN: 0
; COMPUTE_PGM_RSRC2:USER_SGPR: 6
; COMPUTE_PGM_RSRC2:TRAP_HANDLER: 0
; COMPUTE_PGM_RSRC2:TGID_X_EN: 1
; COMPUTE_PGM_RSRC2:TGID_Y_EN: 0
; COMPUTE_PGM_RSRC2:TGID_Z_EN: 0
; COMPUTE_PGM_RSRC2:TIDIG_COMP_CNT: 0
; COMPUTE_PGM_RSRC3_GFX90A:ACCUM_OFFSET: 0
; COMPUTE_PGM_RSRC3_GFX90A:TG_SPLIT: 0
	.section	.text._ZN7rocprim17ROCPRIM_400000_NS6detail17trampoline_kernelINS0_14default_configENS1_20scan_config_selectorIiEEZZNS1_9scan_implILNS1_25lookback_scan_determinismE0ELb1ELb1ES3_N6thrust23THRUST_200600_302600_NS6detail15normal_iteratorINS9_10device_ptrIiEEEENS9_16discard_iteratorINS9_11use_defaultEEEiNS9_4plusIvEEiEEDaPvRmT3_T4_T5_mT6_P12ihipStream_tbENKUlT_T0_E_clISt17integral_constantIbLb0EESW_IbLb1EEEEDaSS_ST_EUlSS_E0_NS1_11comp_targetILNS1_3genE5ELNS1_11target_archE942ELNS1_3gpuE9ELNS1_3repE0EEENS1_30default_config_static_selectorELNS0_4arch9wavefront6targetE1EEEvT1_,"axG",@progbits,_ZN7rocprim17ROCPRIM_400000_NS6detail17trampoline_kernelINS0_14default_configENS1_20scan_config_selectorIiEEZZNS1_9scan_implILNS1_25lookback_scan_determinismE0ELb1ELb1ES3_N6thrust23THRUST_200600_302600_NS6detail15normal_iteratorINS9_10device_ptrIiEEEENS9_16discard_iteratorINS9_11use_defaultEEEiNS9_4plusIvEEiEEDaPvRmT3_T4_T5_mT6_P12ihipStream_tbENKUlT_T0_E_clISt17integral_constantIbLb0EESW_IbLb1EEEEDaSS_ST_EUlSS_E0_NS1_11comp_targetILNS1_3genE5ELNS1_11target_archE942ELNS1_3gpuE9ELNS1_3repE0EEENS1_30default_config_static_selectorELNS0_4arch9wavefront6targetE1EEEvT1_,comdat
	.protected	_ZN7rocprim17ROCPRIM_400000_NS6detail17trampoline_kernelINS0_14default_configENS1_20scan_config_selectorIiEEZZNS1_9scan_implILNS1_25lookback_scan_determinismE0ELb1ELb1ES3_N6thrust23THRUST_200600_302600_NS6detail15normal_iteratorINS9_10device_ptrIiEEEENS9_16discard_iteratorINS9_11use_defaultEEEiNS9_4plusIvEEiEEDaPvRmT3_T4_T5_mT6_P12ihipStream_tbENKUlT_T0_E_clISt17integral_constantIbLb0EESW_IbLb1EEEEDaSS_ST_EUlSS_E0_NS1_11comp_targetILNS1_3genE5ELNS1_11target_archE942ELNS1_3gpuE9ELNS1_3repE0EEENS1_30default_config_static_selectorELNS0_4arch9wavefront6targetE1EEEvT1_ ; -- Begin function _ZN7rocprim17ROCPRIM_400000_NS6detail17trampoline_kernelINS0_14default_configENS1_20scan_config_selectorIiEEZZNS1_9scan_implILNS1_25lookback_scan_determinismE0ELb1ELb1ES3_N6thrust23THRUST_200600_302600_NS6detail15normal_iteratorINS9_10device_ptrIiEEEENS9_16discard_iteratorINS9_11use_defaultEEEiNS9_4plusIvEEiEEDaPvRmT3_T4_T5_mT6_P12ihipStream_tbENKUlT_T0_E_clISt17integral_constantIbLb0EESW_IbLb1EEEEDaSS_ST_EUlSS_E0_NS1_11comp_targetILNS1_3genE5ELNS1_11target_archE942ELNS1_3gpuE9ELNS1_3repE0EEENS1_30default_config_static_selectorELNS0_4arch9wavefront6targetE1EEEvT1_
	.globl	_ZN7rocprim17ROCPRIM_400000_NS6detail17trampoline_kernelINS0_14default_configENS1_20scan_config_selectorIiEEZZNS1_9scan_implILNS1_25lookback_scan_determinismE0ELb1ELb1ES3_N6thrust23THRUST_200600_302600_NS6detail15normal_iteratorINS9_10device_ptrIiEEEENS9_16discard_iteratorINS9_11use_defaultEEEiNS9_4plusIvEEiEEDaPvRmT3_T4_T5_mT6_P12ihipStream_tbENKUlT_T0_E_clISt17integral_constantIbLb0EESW_IbLb1EEEEDaSS_ST_EUlSS_E0_NS1_11comp_targetILNS1_3genE5ELNS1_11target_archE942ELNS1_3gpuE9ELNS1_3repE0EEENS1_30default_config_static_selectorELNS0_4arch9wavefront6targetE1EEEvT1_
	.p2align	8
	.type	_ZN7rocprim17ROCPRIM_400000_NS6detail17trampoline_kernelINS0_14default_configENS1_20scan_config_selectorIiEEZZNS1_9scan_implILNS1_25lookback_scan_determinismE0ELb1ELb1ES3_N6thrust23THRUST_200600_302600_NS6detail15normal_iteratorINS9_10device_ptrIiEEEENS9_16discard_iteratorINS9_11use_defaultEEEiNS9_4plusIvEEiEEDaPvRmT3_T4_T5_mT6_P12ihipStream_tbENKUlT_T0_E_clISt17integral_constantIbLb0EESW_IbLb1EEEEDaSS_ST_EUlSS_E0_NS1_11comp_targetILNS1_3genE5ELNS1_11target_archE942ELNS1_3gpuE9ELNS1_3repE0EEENS1_30default_config_static_selectorELNS0_4arch9wavefront6targetE1EEEvT1_,@function
_ZN7rocprim17ROCPRIM_400000_NS6detail17trampoline_kernelINS0_14default_configENS1_20scan_config_selectorIiEEZZNS1_9scan_implILNS1_25lookback_scan_determinismE0ELb1ELb1ES3_N6thrust23THRUST_200600_302600_NS6detail15normal_iteratorINS9_10device_ptrIiEEEENS9_16discard_iteratorINS9_11use_defaultEEEiNS9_4plusIvEEiEEDaPvRmT3_T4_T5_mT6_P12ihipStream_tbENKUlT_T0_E_clISt17integral_constantIbLb0EESW_IbLb1EEEEDaSS_ST_EUlSS_E0_NS1_11comp_targetILNS1_3genE5ELNS1_11target_archE942ELNS1_3gpuE9ELNS1_3repE0EEENS1_30default_config_static_selectorELNS0_4arch9wavefront6targetE1EEEvT1_: ; @_ZN7rocprim17ROCPRIM_400000_NS6detail17trampoline_kernelINS0_14default_configENS1_20scan_config_selectorIiEEZZNS1_9scan_implILNS1_25lookback_scan_determinismE0ELb1ELb1ES3_N6thrust23THRUST_200600_302600_NS6detail15normal_iteratorINS9_10device_ptrIiEEEENS9_16discard_iteratorINS9_11use_defaultEEEiNS9_4plusIvEEiEEDaPvRmT3_T4_T5_mT6_P12ihipStream_tbENKUlT_T0_E_clISt17integral_constantIbLb0EESW_IbLb1EEEEDaSS_ST_EUlSS_E0_NS1_11comp_targetILNS1_3genE5ELNS1_11target_archE942ELNS1_3gpuE9ELNS1_3repE0EEENS1_30default_config_static_selectorELNS0_4arch9wavefront6targetE1EEEvT1_
; %bb.0:
	.section	.rodata,"a",@progbits
	.p2align	6, 0x0
	.amdhsa_kernel _ZN7rocprim17ROCPRIM_400000_NS6detail17trampoline_kernelINS0_14default_configENS1_20scan_config_selectorIiEEZZNS1_9scan_implILNS1_25lookback_scan_determinismE0ELb1ELb1ES3_N6thrust23THRUST_200600_302600_NS6detail15normal_iteratorINS9_10device_ptrIiEEEENS9_16discard_iteratorINS9_11use_defaultEEEiNS9_4plusIvEEiEEDaPvRmT3_T4_T5_mT6_P12ihipStream_tbENKUlT_T0_E_clISt17integral_constantIbLb0EESW_IbLb1EEEEDaSS_ST_EUlSS_E0_NS1_11comp_targetILNS1_3genE5ELNS1_11target_archE942ELNS1_3gpuE9ELNS1_3repE0EEENS1_30default_config_static_selectorELNS0_4arch9wavefront6targetE1EEEvT1_
		.amdhsa_group_segment_fixed_size 0
		.amdhsa_private_segment_fixed_size 0
		.amdhsa_kernarg_size 40
		.amdhsa_user_sgpr_count 6
		.amdhsa_user_sgpr_private_segment_buffer 1
		.amdhsa_user_sgpr_dispatch_ptr 0
		.amdhsa_user_sgpr_queue_ptr 0
		.amdhsa_user_sgpr_kernarg_segment_ptr 1
		.amdhsa_user_sgpr_dispatch_id 0
		.amdhsa_user_sgpr_flat_scratch_init 0
		.amdhsa_user_sgpr_kernarg_preload_length 0
		.amdhsa_user_sgpr_kernarg_preload_offset 0
		.amdhsa_user_sgpr_private_segment_size 0
		.amdhsa_uses_dynamic_stack 0
		.amdhsa_system_sgpr_private_segment_wavefront_offset 0
		.amdhsa_system_sgpr_workgroup_id_x 1
		.amdhsa_system_sgpr_workgroup_id_y 0
		.amdhsa_system_sgpr_workgroup_id_z 0
		.amdhsa_system_sgpr_workgroup_info 0
		.amdhsa_system_vgpr_workitem_id 0
		.amdhsa_next_free_vgpr 1
		.amdhsa_next_free_sgpr 0
		.amdhsa_accum_offset 4
		.amdhsa_reserve_vcc 0
		.amdhsa_reserve_flat_scratch 0
		.amdhsa_float_round_mode_32 0
		.amdhsa_float_round_mode_16_64 0
		.amdhsa_float_denorm_mode_32 3
		.amdhsa_float_denorm_mode_16_64 3
		.amdhsa_dx10_clamp 1
		.amdhsa_ieee_mode 1
		.amdhsa_fp16_overflow 0
		.amdhsa_tg_split 0
		.amdhsa_exception_fp_ieee_invalid_op 0
		.amdhsa_exception_fp_denorm_src 0
		.amdhsa_exception_fp_ieee_div_zero 0
		.amdhsa_exception_fp_ieee_overflow 0
		.amdhsa_exception_fp_ieee_underflow 0
		.amdhsa_exception_fp_ieee_inexact 0
		.amdhsa_exception_int_div_zero 0
	.end_amdhsa_kernel
	.section	.text._ZN7rocprim17ROCPRIM_400000_NS6detail17trampoline_kernelINS0_14default_configENS1_20scan_config_selectorIiEEZZNS1_9scan_implILNS1_25lookback_scan_determinismE0ELb1ELb1ES3_N6thrust23THRUST_200600_302600_NS6detail15normal_iteratorINS9_10device_ptrIiEEEENS9_16discard_iteratorINS9_11use_defaultEEEiNS9_4plusIvEEiEEDaPvRmT3_T4_T5_mT6_P12ihipStream_tbENKUlT_T0_E_clISt17integral_constantIbLb0EESW_IbLb1EEEEDaSS_ST_EUlSS_E0_NS1_11comp_targetILNS1_3genE5ELNS1_11target_archE942ELNS1_3gpuE9ELNS1_3repE0EEENS1_30default_config_static_selectorELNS0_4arch9wavefront6targetE1EEEvT1_,"axG",@progbits,_ZN7rocprim17ROCPRIM_400000_NS6detail17trampoline_kernelINS0_14default_configENS1_20scan_config_selectorIiEEZZNS1_9scan_implILNS1_25lookback_scan_determinismE0ELb1ELb1ES3_N6thrust23THRUST_200600_302600_NS6detail15normal_iteratorINS9_10device_ptrIiEEEENS9_16discard_iteratorINS9_11use_defaultEEEiNS9_4plusIvEEiEEDaPvRmT3_T4_T5_mT6_P12ihipStream_tbENKUlT_T0_E_clISt17integral_constantIbLb0EESW_IbLb1EEEEDaSS_ST_EUlSS_E0_NS1_11comp_targetILNS1_3genE5ELNS1_11target_archE942ELNS1_3gpuE9ELNS1_3repE0EEENS1_30default_config_static_selectorELNS0_4arch9wavefront6targetE1EEEvT1_,comdat
.Lfunc_end5862:
	.size	_ZN7rocprim17ROCPRIM_400000_NS6detail17trampoline_kernelINS0_14default_configENS1_20scan_config_selectorIiEEZZNS1_9scan_implILNS1_25lookback_scan_determinismE0ELb1ELb1ES3_N6thrust23THRUST_200600_302600_NS6detail15normal_iteratorINS9_10device_ptrIiEEEENS9_16discard_iteratorINS9_11use_defaultEEEiNS9_4plusIvEEiEEDaPvRmT3_T4_T5_mT6_P12ihipStream_tbENKUlT_T0_E_clISt17integral_constantIbLb0EESW_IbLb1EEEEDaSS_ST_EUlSS_E0_NS1_11comp_targetILNS1_3genE5ELNS1_11target_archE942ELNS1_3gpuE9ELNS1_3repE0EEENS1_30default_config_static_selectorELNS0_4arch9wavefront6targetE1EEEvT1_, .Lfunc_end5862-_ZN7rocprim17ROCPRIM_400000_NS6detail17trampoline_kernelINS0_14default_configENS1_20scan_config_selectorIiEEZZNS1_9scan_implILNS1_25lookback_scan_determinismE0ELb1ELb1ES3_N6thrust23THRUST_200600_302600_NS6detail15normal_iteratorINS9_10device_ptrIiEEEENS9_16discard_iteratorINS9_11use_defaultEEEiNS9_4plusIvEEiEEDaPvRmT3_T4_T5_mT6_P12ihipStream_tbENKUlT_T0_E_clISt17integral_constantIbLb0EESW_IbLb1EEEEDaSS_ST_EUlSS_E0_NS1_11comp_targetILNS1_3genE5ELNS1_11target_archE942ELNS1_3gpuE9ELNS1_3repE0EEENS1_30default_config_static_selectorELNS0_4arch9wavefront6targetE1EEEvT1_
                                        ; -- End function
	.section	.AMDGPU.csdata,"",@progbits
; Kernel info:
; codeLenInByte = 0
; NumSgprs: 4
; NumVgprs: 0
; NumAgprs: 0
; TotalNumVgprs: 0
; ScratchSize: 0
; MemoryBound: 0
; FloatMode: 240
; IeeeMode: 1
; LDSByteSize: 0 bytes/workgroup (compile time only)
; SGPRBlocks: 0
; VGPRBlocks: 0
; NumSGPRsForWavesPerEU: 4
; NumVGPRsForWavesPerEU: 1
; AccumOffset: 4
; Occupancy: 8
; WaveLimiterHint : 0
; COMPUTE_PGM_RSRC2:SCRATCH_EN: 0
; COMPUTE_PGM_RSRC2:USER_SGPR: 6
; COMPUTE_PGM_RSRC2:TRAP_HANDLER: 0
; COMPUTE_PGM_RSRC2:TGID_X_EN: 1
; COMPUTE_PGM_RSRC2:TGID_Y_EN: 0
; COMPUTE_PGM_RSRC2:TGID_Z_EN: 0
; COMPUTE_PGM_RSRC2:TIDIG_COMP_CNT: 0
; COMPUTE_PGM_RSRC3_GFX90A:ACCUM_OFFSET: 0
; COMPUTE_PGM_RSRC3_GFX90A:TG_SPLIT: 0
	.section	.text._ZN7rocprim17ROCPRIM_400000_NS6detail17trampoline_kernelINS0_14default_configENS1_20scan_config_selectorIiEEZZNS1_9scan_implILNS1_25lookback_scan_determinismE0ELb1ELb1ES3_N6thrust23THRUST_200600_302600_NS6detail15normal_iteratorINS9_10device_ptrIiEEEENS9_16discard_iteratorINS9_11use_defaultEEEiNS9_4plusIvEEiEEDaPvRmT3_T4_T5_mT6_P12ihipStream_tbENKUlT_T0_E_clISt17integral_constantIbLb0EESW_IbLb1EEEEDaSS_ST_EUlSS_E0_NS1_11comp_targetILNS1_3genE4ELNS1_11target_archE910ELNS1_3gpuE8ELNS1_3repE0EEENS1_30default_config_static_selectorELNS0_4arch9wavefront6targetE1EEEvT1_,"axG",@progbits,_ZN7rocprim17ROCPRIM_400000_NS6detail17trampoline_kernelINS0_14default_configENS1_20scan_config_selectorIiEEZZNS1_9scan_implILNS1_25lookback_scan_determinismE0ELb1ELb1ES3_N6thrust23THRUST_200600_302600_NS6detail15normal_iteratorINS9_10device_ptrIiEEEENS9_16discard_iteratorINS9_11use_defaultEEEiNS9_4plusIvEEiEEDaPvRmT3_T4_T5_mT6_P12ihipStream_tbENKUlT_T0_E_clISt17integral_constantIbLb0EESW_IbLb1EEEEDaSS_ST_EUlSS_E0_NS1_11comp_targetILNS1_3genE4ELNS1_11target_archE910ELNS1_3gpuE8ELNS1_3repE0EEENS1_30default_config_static_selectorELNS0_4arch9wavefront6targetE1EEEvT1_,comdat
	.protected	_ZN7rocprim17ROCPRIM_400000_NS6detail17trampoline_kernelINS0_14default_configENS1_20scan_config_selectorIiEEZZNS1_9scan_implILNS1_25lookback_scan_determinismE0ELb1ELb1ES3_N6thrust23THRUST_200600_302600_NS6detail15normal_iteratorINS9_10device_ptrIiEEEENS9_16discard_iteratorINS9_11use_defaultEEEiNS9_4plusIvEEiEEDaPvRmT3_T4_T5_mT6_P12ihipStream_tbENKUlT_T0_E_clISt17integral_constantIbLb0EESW_IbLb1EEEEDaSS_ST_EUlSS_E0_NS1_11comp_targetILNS1_3genE4ELNS1_11target_archE910ELNS1_3gpuE8ELNS1_3repE0EEENS1_30default_config_static_selectorELNS0_4arch9wavefront6targetE1EEEvT1_ ; -- Begin function _ZN7rocprim17ROCPRIM_400000_NS6detail17trampoline_kernelINS0_14default_configENS1_20scan_config_selectorIiEEZZNS1_9scan_implILNS1_25lookback_scan_determinismE0ELb1ELb1ES3_N6thrust23THRUST_200600_302600_NS6detail15normal_iteratorINS9_10device_ptrIiEEEENS9_16discard_iteratorINS9_11use_defaultEEEiNS9_4plusIvEEiEEDaPvRmT3_T4_T5_mT6_P12ihipStream_tbENKUlT_T0_E_clISt17integral_constantIbLb0EESW_IbLb1EEEEDaSS_ST_EUlSS_E0_NS1_11comp_targetILNS1_3genE4ELNS1_11target_archE910ELNS1_3gpuE8ELNS1_3repE0EEENS1_30default_config_static_selectorELNS0_4arch9wavefront6targetE1EEEvT1_
	.globl	_ZN7rocprim17ROCPRIM_400000_NS6detail17trampoline_kernelINS0_14default_configENS1_20scan_config_selectorIiEEZZNS1_9scan_implILNS1_25lookback_scan_determinismE0ELb1ELb1ES3_N6thrust23THRUST_200600_302600_NS6detail15normal_iteratorINS9_10device_ptrIiEEEENS9_16discard_iteratorINS9_11use_defaultEEEiNS9_4plusIvEEiEEDaPvRmT3_T4_T5_mT6_P12ihipStream_tbENKUlT_T0_E_clISt17integral_constantIbLb0EESW_IbLb1EEEEDaSS_ST_EUlSS_E0_NS1_11comp_targetILNS1_3genE4ELNS1_11target_archE910ELNS1_3gpuE8ELNS1_3repE0EEENS1_30default_config_static_selectorELNS0_4arch9wavefront6targetE1EEEvT1_
	.p2align	8
	.type	_ZN7rocprim17ROCPRIM_400000_NS6detail17trampoline_kernelINS0_14default_configENS1_20scan_config_selectorIiEEZZNS1_9scan_implILNS1_25lookback_scan_determinismE0ELb1ELb1ES3_N6thrust23THRUST_200600_302600_NS6detail15normal_iteratorINS9_10device_ptrIiEEEENS9_16discard_iteratorINS9_11use_defaultEEEiNS9_4plusIvEEiEEDaPvRmT3_T4_T5_mT6_P12ihipStream_tbENKUlT_T0_E_clISt17integral_constantIbLb0EESW_IbLb1EEEEDaSS_ST_EUlSS_E0_NS1_11comp_targetILNS1_3genE4ELNS1_11target_archE910ELNS1_3gpuE8ELNS1_3repE0EEENS1_30default_config_static_selectorELNS0_4arch9wavefront6targetE1EEEvT1_,@function
_ZN7rocprim17ROCPRIM_400000_NS6detail17trampoline_kernelINS0_14default_configENS1_20scan_config_selectorIiEEZZNS1_9scan_implILNS1_25lookback_scan_determinismE0ELb1ELb1ES3_N6thrust23THRUST_200600_302600_NS6detail15normal_iteratorINS9_10device_ptrIiEEEENS9_16discard_iteratorINS9_11use_defaultEEEiNS9_4plusIvEEiEEDaPvRmT3_T4_T5_mT6_P12ihipStream_tbENKUlT_T0_E_clISt17integral_constantIbLb0EESW_IbLb1EEEEDaSS_ST_EUlSS_E0_NS1_11comp_targetILNS1_3genE4ELNS1_11target_archE910ELNS1_3gpuE8ELNS1_3repE0EEENS1_30default_config_static_selectorELNS0_4arch9wavefront6targetE1EEEvT1_: ; @_ZN7rocprim17ROCPRIM_400000_NS6detail17trampoline_kernelINS0_14default_configENS1_20scan_config_selectorIiEEZZNS1_9scan_implILNS1_25lookback_scan_determinismE0ELb1ELb1ES3_N6thrust23THRUST_200600_302600_NS6detail15normal_iteratorINS9_10device_ptrIiEEEENS9_16discard_iteratorINS9_11use_defaultEEEiNS9_4plusIvEEiEEDaPvRmT3_T4_T5_mT6_P12ihipStream_tbENKUlT_T0_E_clISt17integral_constantIbLb0EESW_IbLb1EEEEDaSS_ST_EUlSS_E0_NS1_11comp_targetILNS1_3genE4ELNS1_11target_archE910ELNS1_3gpuE8ELNS1_3repE0EEENS1_30default_config_static_selectorELNS0_4arch9wavefront6targetE1EEEvT1_
; %bb.0:
	s_load_dwordx4 s[0:3], s[4:5], 0x0
	v_lshlrev_b32_e32 v1, 2, v0
	s_waitcnt lgkmcnt(0)
	s_load_dword s3, s[0:1], 0x0
	v_cmp_gt_u32_e32 vcc, s2, v0
	s_waitcnt lgkmcnt(0)
	v_mov_b32_e32 v2, s3
	s_and_saveexec_b64 s[6:7], vcc
	s_cbranch_execz .LBB5863_2
; %bb.1:
	global_load_dword v2, v1, s[0:1]
.LBB5863_2:
	s_or_b64 exec, exec, s[6:7]
	v_or_b32_e32 v3, 0x80, v0
	v_cmp_gt_u32_e32 vcc, s2, v3
	v_mov_b32_e32 v3, s3
	s_and_saveexec_b64 s[6:7], vcc
	s_cbranch_execz .LBB5863_4
; %bb.3:
	global_load_dword v3, v1, s[0:1] offset:512
.LBB5863_4:
	s_or_b64 exec, exec, s[6:7]
	v_or_b32_e32 v4, 0x100, v0
	v_cmp_gt_u32_e32 vcc, s2, v4
	v_mov_b32_e32 v4, s3
	s_and_saveexec_b64 s[6:7], vcc
	s_cbranch_execz .LBB5863_6
; %bb.5:
	global_load_dword v4, v1, s[0:1] offset:1024
.LBB5863_6:
	;; [unrolled: 9-line block ×7, first 2 shown]
	s_or_b64 exec, exec, s[6:7]
	v_or_b32_e32 v11, 0x400, v0
	v_cmp_gt_u32_e32 vcc, s2, v11
	v_mov_b32_e32 v10, s3
	s_and_saveexec_b64 s[6:7], vcc
	s_cbranch_execz .LBB5863_18
; %bb.17:
	v_lshlrev_b32_e32 v10, 2, v11
	global_load_dword v10, v10, s[0:1]
.LBB5863_18:
	s_or_b64 exec, exec, s[6:7]
	s_load_dword s4, s[4:5], 0x10
	v_or_b32_e32 v12, 0x480, v0
	v_cmp_gt_u32_e32 vcc, s2, v12
	v_mov_b32_e32 v11, s3
	s_and_saveexec_b64 s[2:3], vcc
	s_cbranch_execz .LBB5863_20
; %bb.19:
	v_lshlrev_b32_e32 v11, 2, v12
	global_load_dword v11, v11, s[0:1]
.LBB5863_20:
	s_or_b64 exec, exec, s[2:3]
	s_waitcnt vmcnt(0)
	ds_write2st64_b32 v1, v2, v3 offset1:2
	ds_write2st64_b32 v1, v4, v5 offset0:4 offset1:6
	ds_write2st64_b32 v1, v6, v7 offset0:8 offset1:10
	;; [unrolled: 1-line block ×4, first 2 shown]
	v_mad_u32_u24 v10, v0, 36, v1
	s_waitcnt lgkmcnt(0)
	s_barrier
	ds_read2_b64 v[6:9], v10 offset1:1
	ds_read2_b64 v[2:5], v10 offset0:2 offset1:3
	ds_read_b64 v[10:11], v10 offset:32
	v_cmp_gt_u32_e32 vcc, 64, v0
	s_waitcnt lgkmcnt(0)
	v_add_u32_e32 v12, v7, v6
	v_add3_u32 v12, v12, v8, v9
	v_add3_u32 v12, v12, v2, v3
	;; [unrolled: 1-line block ×4, first 2 shown]
	v_lshrrev_b32_e32 v12, 3, v0
	v_and_b32_e32 v12, 12, v12
	v_add_u32_e32 v12, v1, v12
	s_barrier
	ds_write_b32 v12, v11
	s_waitcnt lgkmcnt(0)
	s_barrier
	s_and_saveexec_b64 s[0:1], vcc
	s_cbranch_execz .LBB5863_22
; %bb.21:
	v_lshlrev_b32_e32 v12, 1, v0
	v_lshrrev_b32_e32 v13, 4, v0
	v_add_lshl_u32 v14, v13, v12, 2
	ds_read2_b32 v[12:13], v14 offset1:1
	v_mbcnt_lo_u32_b32 v15, -1, 0
	v_mbcnt_hi_u32_b32 v15, -1, v15
	v_and_b32_e32 v16, 15, v15
	v_cmp_ne_u32_e32 vcc, 0, v16
	s_waitcnt lgkmcnt(0)
	v_add_u32_e32 v13, v13, v12
	; wave barrier
	s_nop 1
	v_mov_b32_dpp v17, v13 row_shr:1 row_mask:0xf bank_mask:0xf
	v_cndmask_b32_e32 v17, 0, v17, vcc
	v_add_u32_e32 v13, v17, v13
	v_cmp_lt_u32_e32 vcc, 1, v16
	s_nop 0
	v_mov_b32_dpp v17, v13 row_shr:2 row_mask:0xf bank_mask:0xf
	v_cndmask_b32_e32 v17, 0, v17, vcc
	v_add_u32_e32 v13, v13, v17
	v_cmp_lt_u32_e32 vcc, 3, v16
	;; [unrolled: 5-line block ×3, first 2 shown]
	s_nop 0
	v_mov_b32_dpp v17, v13 row_shr:8 row_mask:0xf bank_mask:0xf
	v_cndmask_b32_e32 v16, 0, v17, vcc
	v_add_u32_e32 v13, v13, v16
	v_bfe_i32 v17, v15, 4, 1
	v_cmp_lt_u32_e32 vcc, 31, v15
	v_mov_b32_dpp v16, v13 row_bcast:15 row_mask:0xf bank_mask:0xf
	v_and_b32_e32 v16, v17, v16
	v_add_u32_e32 v13, v13, v16
	v_and_b32_e32 v17, 64, v15
	s_nop 0
	v_mov_b32_dpp v16, v13 row_bcast:31 row_mask:0xf bank_mask:0xf
	v_cndmask_b32_e32 v16, 0, v16, vcc
	v_add_u32_e32 v13, v13, v16
	v_add_u32_e32 v16, -1, v15
	v_cmp_lt_i32_e32 vcc, v16, v17
	v_cndmask_b32_e32 v15, v16, v15, vcc
	v_lshlrev_b32_e32 v15, 2, v15
	ds_bpermute_b32 v13, v15, v13
	v_cmp_eq_u32_e32 vcc, 0, v0
	s_waitcnt lgkmcnt(0)
	v_add_u32_e32 v12, v13, v12
	v_cndmask_b32_e32 v11, v12, v11, vcc
	ds_write_b32 v14, v11
	; wave barrier
	ds_read_b32 v12, v14 offset:4
	s_waitcnt lgkmcnt(0)
	v_add_u32_e32 v11, v12, v11
	ds_write_b32 v14, v11 offset:4
.LBB5863_22:
	s_or_b64 exec, exec, s[0:1]
	v_mul_u32_u24_e32 v11, 36, v0
	v_cmp_ne_u32_e32 vcc, 0, v0
	v_mov_b32_e32 v12, s4
	s_waitcnt lgkmcnt(0)
	s_barrier
	s_and_saveexec_b64 s[0:1], vcc
	s_cbranch_execz .LBB5863_24
; %bb.23:
	v_add_u32_e32 v0, -1, v0
	v_lshrrev_b32_e32 v12, 5, v0
	v_add_lshl_u32 v0, v12, v0, 2
	ds_read_b32 v0, v0
	s_waitcnt lgkmcnt(0)
	v_add_u32_e32 v12, s4, v0
.LBB5863_24:
	s_or_b64 exec, exec, s[0:1]
	v_add_u32_e32 v13, v12, v6
	v_add_u32_e32 v6, v13, v7
	;; [unrolled: 1-line block ×10, first 2 shown]
	s_barrier
	ds_write2_b64 v0, v[12:13], v[6:7] offset1:1
	ds_write2_b64 v0, v[8:9], v[2:3] offset0:2 offset1:3
	ds_write_b64 v0, v[4:5] offset:32
	s_waitcnt lgkmcnt(0)
	s_barrier
	s_endpgm
	.section	.rodata,"a",@progbits
	.p2align	6, 0x0
	.amdhsa_kernel _ZN7rocprim17ROCPRIM_400000_NS6detail17trampoline_kernelINS0_14default_configENS1_20scan_config_selectorIiEEZZNS1_9scan_implILNS1_25lookback_scan_determinismE0ELb1ELb1ES3_N6thrust23THRUST_200600_302600_NS6detail15normal_iteratorINS9_10device_ptrIiEEEENS9_16discard_iteratorINS9_11use_defaultEEEiNS9_4plusIvEEiEEDaPvRmT3_T4_T5_mT6_P12ihipStream_tbENKUlT_T0_E_clISt17integral_constantIbLb0EESW_IbLb1EEEEDaSS_ST_EUlSS_E0_NS1_11comp_targetILNS1_3genE4ELNS1_11target_archE910ELNS1_3gpuE8ELNS1_3repE0EEENS1_30default_config_static_selectorELNS0_4arch9wavefront6targetE1EEEvT1_
		.amdhsa_group_segment_fixed_size 5120
		.amdhsa_private_segment_fixed_size 0
		.amdhsa_kernarg_size 40
		.amdhsa_user_sgpr_count 6
		.amdhsa_user_sgpr_private_segment_buffer 1
		.amdhsa_user_sgpr_dispatch_ptr 0
		.amdhsa_user_sgpr_queue_ptr 0
		.amdhsa_user_sgpr_kernarg_segment_ptr 1
		.amdhsa_user_sgpr_dispatch_id 0
		.amdhsa_user_sgpr_flat_scratch_init 0
		.amdhsa_user_sgpr_kernarg_preload_length 0
		.amdhsa_user_sgpr_kernarg_preload_offset 0
		.amdhsa_user_sgpr_private_segment_size 0
		.amdhsa_uses_dynamic_stack 0
		.amdhsa_system_sgpr_private_segment_wavefront_offset 0
		.amdhsa_system_sgpr_workgroup_id_x 1
		.amdhsa_system_sgpr_workgroup_id_y 0
		.amdhsa_system_sgpr_workgroup_id_z 0
		.amdhsa_system_sgpr_workgroup_info 0
		.amdhsa_system_vgpr_workitem_id 0
		.amdhsa_next_free_vgpr 18
		.amdhsa_next_free_sgpr 8
		.amdhsa_accum_offset 20
		.amdhsa_reserve_vcc 1
		.amdhsa_reserve_flat_scratch 0
		.amdhsa_float_round_mode_32 0
		.amdhsa_float_round_mode_16_64 0
		.amdhsa_float_denorm_mode_32 3
		.amdhsa_float_denorm_mode_16_64 3
		.amdhsa_dx10_clamp 1
		.amdhsa_ieee_mode 1
		.amdhsa_fp16_overflow 0
		.amdhsa_tg_split 0
		.amdhsa_exception_fp_ieee_invalid_op 0
		.amdhsa_exception_fp_denorm_src 0
		.amdhsa_exception_fp_ieee_div_zero 0
		.amdhsa_exception_fp_ieee_overflow 0
		.amdhsa_exception_fp_ieee_underflow 0
		.amdhsa_exception_fp_ieee_inexact 0
		.amdhsa_exception_int_div_zero 0
	.end_amdhsa_kernel
	.section	.text._ZN7rocprim17ROCPRIM_400000_NS6detail17trampoline_kernelINS0_14default_configENS1_20scan_config_selectorIiEEZZNS1_9scan_implILNS1_25lookback_scan_determinismE0ELb1ELb1ES3_N6thrust23THRUST_200600_302600_NS6detail15normal_iteratorINS9_10device_ptrIiEEEENS9_16discard_iteratorINS9_11use_defaultEEEiNS9_4plusIvEEiEEDaPvRmT3_T4_T5_mT6_P12ihipStream_tbENKUlT_T0_E_clISt17integral_constantIbLb0EESW_IbLb1EEEEDaSS_ST_EUlSS_E0_NS1_11comp_targetILNS1_3genE4ELNS1_11target_archE910ELNS1_3gpuE8ELNS1_3repE0EEENS1_30default_config_static_selectorELNS0_4arch9wavefront6targetE1EEEvT1_,"axG",@progbits,_ZN7rocprim17ROCPRIM_400000_NS6detail17trampoline_kernelINS0_14default_configENS1_20scan_config_selectorIiEEZZNS1_9scan_implILNS1_25lookback_scan_determinismE0ELb1ELb1ES3_N6thrust23THRUST_200600_302600_NS6detail15normal_iteratorINS9_10device_ptrIiEEEENS9_16discard_iteratorINS9_11use_defaultEEEiNS9_4plusIvEEiEEDaPvRmT3_T4_T5_mT6_P12ihipStream_tbENKUlT_T0_E_clISt17integral_constantIbLb0EESW_IbLb1EEEEDaSS_ST_EUlSS_E0_NS1_11comp_targetILNS1_3genE4ELNS1_11target_archE910ELNS1_3gpuE8ELNS1_3repE0EEENS1_30default_config_static_selectorELNS0_4arch9wavefront6targetE1EEEvT1_,comdat
.Lfunc_end5863:
	.size	_ZN7rocprim17ROCPRIM_400000_NS6detail17trampoline_kernelINS0_14default_configENS1_20scan_config_selectorIiEEZZNS1_9scan_implILNS1_25lookback_scan_determinismE0ELb1ELb1ES3_N6thrust23THRUST_200600_302600_NS6detail15normal_iteratorINS9_10device_ptrIiEEEENS9_16discard_iteratorINS9_11use_defaultEEEiNS9_4plusIvEEiEEDaPvRmT3_T4_T5_mT6_P12ihipStream_tbENKUlT_T0_E_clISt17integral_constantIbLb0EESW_IbLb1EEEEDaSS_ST_EUlSS_E0_NS1_11comp_targetILNS1_3genE4ELNS1_11target_archE910ELNS1_3gpuE8ELNS1_3repE0EEENS1_30default_config_static_selectorELNS0_4arch9wavefront6targetE1EEEvT1_, .Lfunc_end5863-_ZN7rocprim17ROCPRIM_400000_NS6detail17trampoline_kernelINS0_14default_configENS1_20scan_config_selectorIiEEZZNS1_9scan_implILNS1_25lookback_scan_determinismE0ELb1ELb1ES3_N6thrust23THRUST_200600_302600_NS6detail15normal_iteratorINS9_10device_ptrIiEEEENS9_16discard_iteratorINS9_11use_defaultEEEiNS9_4plusIvEEiEEDaPvRmT3_T4_T5_mT6_P12ihipStream_tbENKUlT_T0_E_clISt17integral_constantIbLb0EESW_IbLb1EEEEDaSS_ST_EUlSS_E0_NS1_11comp_targetILNS1_3genE4ELNS1_11target_archE910ELNS1_3gpuE8ELNS1_3repE0EEENS1_30default_config_static_selectorELNS0_4arch9wavefront6targetE1EEEvT1_
                                        ; -- End function
	.section	.AMDGPU.csdata,"",@progbits
; Kernel info:
; codeLenInByte = 984
; NumSgprs: 12
; NumVgprs: 18
; NumAgprs: 0
; TotalNumVgprs: 18
; ScratchSize: 0
; MemoryBound: 0
; FloatMode: 240
; IeeeMode: 1
; LDSByteSize: 5120 bytes/workgroup (compile time only)
; SGPRBlocks: 1
; VGPRBlocks: 2
; NumSGPRsForWavesPerEU: 12
; NumVGPRsForWavesPerEU: 18
; AccumOffset: 20
; Occupancy: 6
; WaveLimiterHint : 0
; COMPUTE_PGM_RSRC2:SCRATCH_EN: 0
; COMPUTE_PGM_RSRC2:USER_SGPR: 6
; COMPUTE_PGM_RSRC2:TRAP_HANDLER: 0
; COMPUTE_PGM_RSRC2:TGID_X_EN: 1
; COMPUTE_PGM_RSRC2:TGID_Y_EN: 0
; COMPUTE_PGM_RSRC2:TGID_Z_EN: 0
; COMPUTE_PGM_RSRC2:TIDIG_COMP_CNT: 0
; COMPUTE_PGM_RSRC3_GFX90A:ACCUM_OFFSET: 4
; COMPUTE_PGM_RSRC3_GFX90A:TG_SPLIT: 0
	.section	.text._ZN7rocprim17ROCPRIM_400000_NS6detail17trampoline_kernelINS0_14default_configENS1_20scan_config_selectorIiEEZZNS1_9scan_implILNS1_25lookback_scan_determinismE0ELb1ELb1ES3_N6thrust23THRUST_200600_302600_NS6detail15normal_iteratorINS9_10device_ptrIiEEEENS9_16discard_iteratorINS9_11use_defaultEEEiNS9_4plusIvEEiEEDaPvRmT3_T4_T5_mT6_P12ihipStream_tbENKUlT_T0_E_clISt17integral_constantIbLb0EESW_IbLb1EEEEDaSS_ST_EUlSS_E0_NS1_11comp_targetILNS1_3genE3ELNS1_11target_archE908ELNS1_3gpuE7ELNS1_3repE0EEENS1_30default_config_static_selectorELNS0_4arch9wavefront6targetE1EEEvT1_,"axG",@progbits,_ZN7rocprim17ROCPRIM_400000_NS6detail17trampoline_kernelINS0_14default_configENS1_20scan_config_selectorIiEEZZNS1_9scan_implILNS1_25lookback_scan_determinismE0ELb1ELb1ES3_N6thrust23THRUST_200600_302600_NS6detail15normal_iteratorINS9_10device_ptrIiEEEENS9_16discard_iteratorINS9_11use_defaultEEEiNS9_4plusIvEEiEEDaPvRmT3_T4_T5_mT6_P12ihipStream_tbENKUlT_T0_E_clISt17integral_constantIbLb0EESW_IbLb1EEEEDaSS_ST_EUlSS_E0_NS1_11comp_targetILNS1_3genE3ELNS1_11target_archE908ELNS1_3gpuE7ELNS1_3repE0EEENS1_30default_config_static_selectorELNS0_4arch9wavefront6targetE1EEEvT1_,comdat
	.protected	_ZN7rocprim17ROCPRIM_400000_NS6detail17trampoline_kernelINS0_14default_configENS1_20scan_config_selectorIiEEZZNS1_9scan_implILNS1_25lookback_scan_determinismE0ELb1ELb1ES3_N6thrust23THRUST_200600_302600_NS6detail15normal_iteratorINS9_10device_ptrIiEEEENS9_16discard_iteratorINS9_11use_defaultEEEiNS9_4plusIvEEiEEDaPvRmT3_T4_T5_mT6_P12ihipStream_tbENKUlT_T0_E_clISt17integral_constantIbLb0EESW_IbLb1EEEEDaSS_ST_EUlSS_E0_NS1_11comp_targetILNS1_3genE3ELNS1_11target_archE908ELNS1_3gpuE7ELNS1_3repE0EEENS1_30default_config_static_selectorELNS0_4arch9wavefront6targetE1EEEvT1_ ; -- Begin function _ZN7rocprim17ROCPRIM_400000_NS6detail17trampoline_kernelINS0_14default_configENS1_20scan_config_selectorIiEEZZNS1_9scan_implILNS1_25lookback_scan_determinismE0ELb1ELb1ES3_N6thrust23THRUST_200600_302600_NS6detail15normal_iteratorINS9_10device_ptrIiEEEENS9_16discard_iteratorINS9_11use_defaultEEEiNS9_4plusIvEEiEEDaPvRmT3_T4_T5_mT6_P12ihipStream_tbENKUlT_T0_E_clISt17integral_constantIbLb0EESW_IbLb1EEEEDaSS_ST_EUlSS_E0_NS1_11comp_targetILNS1_3genE3ELNS1_11target_archE908ELNS1_3gpuE7ELNS1_3repE0EEENS1_30default_config_static_selectorELNS0_4arch9wavefront6targetE1EEEvT1_
	.globl	_ZN7rocprim17ROCPRIM_400000_NS6detail17trampoline_kernelINS0_14default_configENS1_20scan_config_selectorIiEEZZNS1_9scan_implILNS1_25lookback_scan_determinismE0ELb1ELb1ES3_N6thrust23THRUST_200600_302600_NS6detail15normal_iteratorINS9_10device_ptrIiEEEENS9_16discard_iteratorINS9_11use_defaultEEEiNS9_4plusIvEEiEEDaPvRmT3_T4_T5_mT6_P12ihipStream_tbENKUlT_T0_E_clISt17integral_constantIbLb0EESW_IbLb1EEEEDaSS_ST_EUlSS_E0_NS1_11comp_targetILNS1_3genE3ELNS1_11target_archE908ELNS1_3gpuE7ELNS1_3repE0EEENS1_30default_config_static_selectorELNS0_4arch9wavefront6targetE1EEEvT1_
	.p2align	8
	.type	_ZN7rocprim17ROCPRIM_400000_NS6detail17trampoline_kernelINS0_14default_configENS1_20scan_config_selectorIiEEZZNS1_9scan_implILNS1_25lookback_scan_determinismE0ELb1ELb1ES3_N6thrust23THRUST_200600_302600_NS6detail15normal_iteratorINS9_10device_ptrIiEEEENS9_16discard_iteratorINS9_11use_defaultEEEiNS9_4plusIvEEiEEDaPvRmT3_T4_T5_mT6_P12ihipStream_tbENKUlT_T0_E_clISt17integral_constantIbLb0EESW_IbLb1EEEEDaSS_ST_EUlSS_E0_NS1_11comp_targetILNS1_3genE3ELNS1_11target_archE908ELNS1_3gpuE7ELNS1_3repE0EEENS1_30default_config_static_selectorELNS0_4arch9wavefront6targetE1EEEvT1_,@function
_ZN7rocprim17ROCPRIM_400000_NS6detail17trampoline_kernelINS0_14default_configENS1_20scan_config_selectorIiEEZZNS1_9scan_implILNS1_25lookback_scan_determinismE0ELb1ELb1ES3_N6thrust23THRUST_200600_302600_NS6detail15normal_iteratorINS9_10device_ptrIiEEEENS9_16discard_iteratorINS9_11use_defaultEEEiNS9_4plusIvEEiEEDaPvRmT3_T4_T5_mT6_P12ihipStream_tbENKUlT_T0_E_clISt17integral_constantIbLb0EESW_IbLb1EEEEDaSS_ST_EUlSS_E0_NS1_11comp_targetILNS1_3genE3ELNS1_11target_archE908ELNS1_3gpuE7ELNS1_3repE0EEENS1_30default_config_static_selectorELNS0_4arch9wavefront6targetE1EEEvT1_: ; @_ZN7rocprim17ROCPRIM_400000_NS6detail17trampoline_kernelINS0_14default_configENS1_20scan_config_selectorIiEEZZNS1_9scan_implILNS1_25lookback_scan_determinismE0ELb1ELb1ES3_N6thrust23THRUST_200600_302600_NS6detail15normal_iteratorINS9_10device_ptrIiEEEENS9_16discard_iteratorINS9_11use_defaultEEEiNS9_4plusIvEEiEEDaPvRmT3_T4_T5_mT6_P12ihipStream_tbENKUlT_T0_E_clISt17integral_constantIbLb0EESW_IbLb1EEEEDaSS_ST_EUlSS_E0_NS1_11comp_targetILNS1_3genE3ELNS1_11target_archE908ELNS1_3gpuE7ELNS1_3repE0EEENS1_30default_config_static_selectorELNS0_4arch9wavefront6targetE1EEEvT1_
; %bb.0:
	.section	.rodata,"a",@progbits
	.p2align	6, 0x0
	.amdhsa_kernel _ZN7rocprim17ROCPRIM_400000_NS6detail17trampoline_kernelINS0_14default_configENS1_20scan_config_selectorIiEEZZNS1_9scan_implILNS1_25lookback_scan_determinismE0ELb1ELb1ES3_N6thrust23THRUST_200600_302600_NS6detail15normal_iteratorINS9_10device_ptrIiEEEENS9_16discard_iteratorINS9_11use_defaultEEEiNS9_4plusIvEEiEEDaPvRmT3_T4_T5_mT6_P12ihipStream_tbENKUlT_T0_E_clISt17integral_constantIbLb0EESW_IbLb1EEEEDaSS_ST_EUlSS_E0_NS1_11comp_targetILNS1_3genE3ELNS1_11target_archE908ELNS1_3gpuE7ELNS1_3repE0EEENS1_30default_config_static_selectorELNS0_4arch9wavefront6targetE1EEEvT1_
		.amdhsa_group_segment_fixed_size 0
		.amdhsa_private_segment_fixed_size 0
		.amdhsa_kernarg_size 40
		.amdhsa_user_sgpr_count 6
		.amdhsa_user_sgpr_private_segment_buffer 1
		.amdhsa_user_sgpr_dispatch_ptr 0
		.amdhsa_user_sgpr_queue_ptr 0
		.amdhsa_user_sgpr_kernarg_segment_ptr 1
		.amdhsa_user_sgpr_dispatch_id 0
		.amdhsa_user_sgpr_flat_scratch_init 0
		.amdhsa_user_sgpr_kernarg_preload_length 0
		.amdhsa_user_sgpr_kernarg_preload_offset 0
		.amdhsa_user_sgpr_private_segment_size 0
		.amdhsa_uses_dynamic_stack 0
		.amdhsa_system_sgpr_private_segment_wavefront_offset 0
		.amdhsa_system_sgpr_workgroup_id_x 1
		.amdhsa_system_sgpr_workgroup_id_y 0
		.amdhsa_system_sgpr_workgroup_id_z 0
		.amdhsa_system_sgpr_workgroup_info 0
		.amdhsa_system_vgpr_workitem_id 0
		.amdhsa_next_free_vgpr 1
		.amdhsa_next_free_sgpr 0
		.amdhsa_accum_offset 4
		.amdhsa_reserve_vcc 0
		.amdhsa_reserve_flat_scratch 0
		.amdhsa_float_round_mode_32 0
		.amdhsa_float_round_mode_16_64 0
		.amdhsa_float_denorm_mode_32 3
		.amdhsa_float_denorm_mode_16_64 3
		.amdhsa_dx10_clamp 1
		.amdhsa_ieee_mode 1
		.amdhsa_fp16_overflow 0
		.amdhsa_tg_split 0
		.amdhsa_exception_fp_ieee_invalid_op 0
		.amdhsa_exception_fp_denorm_src 0
		.amdhsa_exception_fp_ieee_div_zero 0
		.amdhsa_exception_fp_ieee_overflow 0
		.amdhsa_exception_fp_ieee_underflow 0
		.amdhsa_exception_fp_ieee_inexact 0
		.amdhsa_exception_int_div_zero 0
	.end_amdhsa_kernel
	.section	.text._ZN7rocprim17ROCPRIM_400000_NS6detail17trampoline_kernelINS0_14default_configENS1_20scan_config_selectorIiEEZZNS1_9scan_implILNS1_25lookback_scan_determinismE0ELb1ELb1ES3_N6thrust23THRUST_200600_302600_NS6detail15normal_iteratorINS9_10device_ptrIiEEEENS9_16discard_iteratorINS9_11use_defaultEEEiNS9_4plusIvEEiEEDaPvRmT3_T4_T5_mT6_P12ihipStream_tbENKUlT_T0_E_clISt17integral_constantIbLb0EESW_IbLb1EEEEDaSS_ST_EUlSS_E0_NS1_11comp_targetILNS1_3genE3ELNS1_11target_archE908ELNS1_3gpuE7ELNS1_3repE0EEENS1_30default_config_static_selectorELNS0_4arch9wavefront6targetE1EEEvT1_,"axG",@progbits,_ZN7rocprim17ROCPRIM_400000_NS6detail17trampoline_kernelINS0_14default_configENS1_20scan_config_selectorIiEEZZNS1_9scan_implILNS1_25lookback_scan_determinismE0ELb1ELb1ES3_N6thrust23THRUST_200600_302600_NS6detail15normal_iteratorINS9_10device_ptrIiEEEENS9_16discard_iteratorINS9_11use_defaultEEEiNS9_4plusIvEEiEEDaPvRmT3_T4_T5_mT6_P12ihipStream_tbENKUlT_T0_E_clISt17integral_constantIbLb0EESW_IbLb1EEEEDaSS_ST_EUlSS_E0_NS1_11comp_targetILNS1_3genE3ELNS1_11target_archE908ELNS1_3gpuE7ELNS1_3repE0EEENS1_30default_config_static_selectorELNS0_4arch9wavefront6targetE1EEEvT1_,comdat
.Lfunc_end5864:
	.size	_ZN7rocprim17ROCPRIM_400000_NS6detail17trampoline_kernelINS0_14default_configENS1_20scan_config_selectorIiEEZZNS1_9scan_implILNS1_25lookback_scan_determinismE0ELb1ELb1ES3_N6thrust23THRUST_200600_302600_NS6detail15normal_iteratorINS9_10device_ptrIiEEEENS9_16discard_iteratorINS9_11use_defaultEEEiNS9_4plusIvEEiEEDaPvRmT3_T4_T5_mT6_P12ihipStream_tbENKUlT_T0_E_clISt17integral_constantIbLb0EESW_IbLb1EEEEDaSS_ST_EUlSS_E0_NS1_11comp_targetILNS1_3genE3ELNS1_11target_archE908ELNS1_3gpuE7ELNS1_3repE0EEENS1_30default_config_static_selectorELNS0_4arch9wavefront6targetE1EEEvT1_, .Lfunc_end5864-_ZN7rocprim17ROCPRIM_400000_NS6detail17trampoline_kernelINS0_14default_configENS1_20scan_config_selectorIiEEZZNS1_9scan_implILNS1_25lookback_scan_determinismE0ELb1ELb1ES3_N6thrust23THRUST_200600_302600_NS6detail15normal_iteratorINS9_10device_ptrIiEEEENS9_16discard_iteratorINS9_11use_defaultEEEiNS9_4plusIvEEiEEDaPvRmT3_T4_T5_mT6_P12ihipStream_tbENKUlT_T0_E_clISt17integral_constantIbLb0EESW_IbLb1EEEEDaSS_ST_EUlSS_E0_NS1_11comp_targetILNS1_3genE3ELNS1_11target_archE908ELNS1_3gpuE7ELNS1_3repE0EEENS1_30default_config_static_selectorELNS0_4arch9wavefront6targetE1EEEvT1_
                                        ; -- End function
	.section	.AMDGPU.csdata,"",@progbits
; Kernel info:
; codeLenInByte = 0
; NumSgprs: 4
; NumVgprs: 0
; NumAgprs: 0
; TotalNumVgprs: 0
; ScratchSize: 0
; MemoryBound: 0
; FloatMode: 240
; IeeeMode: 1
; LDSByteSize: 0 bytes/workgroup (compile time only)
; SGPRBlocks: 0
; VGPRBlocks: 0
; NumSGPRsForWavesPerEU: 4
; NumVGPRsForWavesPerEU: 1
; AccumOffset: 4
; Occupancy: 8
; WaveLimiterHint : 0
; COMPUTE_PGM_RSRC2:SCRATCH_EN: 0
; COMPUTE_PGM_RSRC2:USER_SGPR: 6
; COMPUTE_PGM_RSRC2:TRAP_HANDLER: 0
; COMPUTE_PGM_RSRC2:TGID_X_EN: 1
; COMPUTE_PGM_RSRC2:TGID_Y_EN: 0
; COMPUTE_PGM_RSRC2:TGID_Z_EN: 0
; COMPUTE_PGM_RSRC2:TIDIG_COMP_CNT: 0
; COMPUTE_PGM_RSRC3_GFX90A:ACCUM_OFFSET: 0
; COMPUTE_PGM_RSRC3_GFX90A:TG_SPLIT: 0
	.section	.text._ZN7rocprim17ROCPRIM_400000_NS6detail17trampoline_kernelINS0_14default_configENS1_20scan_config_selectorIiEEZZNS1_9scan_implILNS1_25lookback_scan_determinismE0ELb1ELb1ES3_N6thrust23THRUST_200600_302600_NS6detail15normal_iteratorINS9_10device_ptrIiEEEENS9_16discard_iteratorINS9_11use_defaultEEEiNS9_4plusIvEEiEEDaPvRmT3_T4_T5_mT6_P12ihipStream_tbENKUlT_T0_E_clISt17integral_constantIbLb0EESW_IbLb1EEEEDaSS_ST_EUlSS_E0_NS1_11comp_targetILNS1_3genE2ELNS1_11target_archE906ELNS1_3gpuE6ELNS1_3repE0EEENS1_30default_config_static_selectorELNS0_4arch9wavefront6targetE1EEEvT1_,"axG",@progbits,_ZN7rocprim17ROCPRIM_400000_NS6detail17trampoline_kernelINS0_14default_configENS1_20scan_config_selectorIiEEZZNS1_9scan_implILNS1_25lookback_scan_determinismE0ELb1ELb1ES3_N6thrust23THRUST_200600_302600_NS6detail15normal_iteratorINS9_10device_ptrIiEEEENS9_16discard_iteratorINS9_11use_defaultEEEiNS9_4plusIvEEiEEDaPvRmT3_T4_T5_mT6_P12ihipStream_tbENKUlT_T0_E_clISt17integral_constantIbLb0EESW_IbLb1EEEEDaSS_ST_EUlSS_E0_NS1_11comp_targetILNS1_3genE2ELNS1_11target_archE906ELNS1_3gpuE6ELNS1_3repE0EEENS1_30default_config_static_selectorELNS0_4arch9wavefront6targetE1EEEvT1_,comdat
	.protected	_ZN7rocprim17ROCPRIM_400000_NS6detail17trampoline_kernelINS0_14default_configENS1_20scan_config_selectorIiEEZZNS1_9scan_implILNS1_25lookback_scan_determinismE0ELb1ELb1ES3_N6thrust23THRUST_200600_302600_NS6detail15normal_iteratorINS9_10device_ptrIiEEEENS9_16discard_iteratorINS9_11use_defaultEEEiNS9_4plusIvEEiEEDaPvRmT3_T4_T5_mT6_P12ihipStream_tbENKUlT_T0_E_clISt17integral_constantIbLb0EESW_IbLb1EEEEDaSS_ST_EUlSS_E0_NS1_11comp_targetILNS1_3genE2ELNS1_11target_archE906ELNS1_3gpuE6ELNS1_3repE0EEENS1_30default_config_static_selectorELNS0_4arch9wavefront6targetE1EEEvT1_ ; -- Begin function _ZN7rocprim17ROCPRIM_400000_NS6detail17trampoline_kernelINS0_14default_configENS1_20scan_config_selectorIiEEZZNS1_9scan_implILNS1_25lookback_scan_determinismE0ELb1ELb1ES3_N6thrust23THRUST_200600_302600_NS6detail15normal_iteratorINS9_10device_ptrIiEEEENS9_16discard_iteratorINS9_11use_defaultEEEiNS9_4plusIvEEiEEDaPvRmT3_T4_T5_mT6_P12ihipStream_tbENKUlT_T0_E_clISt17integral_constantIbLb0EESW_IbLb1EEEEDaSS_ST_EUlSS_E0_NS1_11comp_targetILNS1_3genE2ELNS1_11target_archE906ELNS1_3gpuE6ELNS1_3repE0EEENS1_30default_config_static_selectorELNS0_4arch9wavefront6targetE1EEEvT1_
	.globl	_ZN7rocprim17ROCPRIM_400000_NS6detail17trampoline_kernelINS0_14default_configENS1_20scan_config_selectorIiEEZZNS1_9scan_implILNS1_25lookback_scan_determinismE0ELb1ELb1ES3_N6thrust23THRUST_200600_302600_NS6detail15normal_iteratorINS9_10device_ptrIiEEEENS9_16discard_iteratorINS9_11use_defaultEEEiNS9_4plusIvEEiEEDaPvRmT3_T4_T5_mT6_P12ihipStream_tbENKUlT_T0_E_clISt17integral_constantIbLb0EESW_IbLb1EEEEDaSS_ST_EUlSS_E0_NS1_11comp_targetILNS1_3genE2ELNS1_11target_archE906ELNS1_3gpuE6ELNS1_3repE0EEENS1_30default_config_static_selectorELNS0_4arch9wavefront6targetE1EEEvT1_
	.p2align	8
	.type	_ZN7rocprim17ROCPRIM_400000_NS6detail17trampoline_kernelINS0_14default_configENS1_20scan_config_selectorIiEEZZNS1_9scan_implILNS1_25lookback_scan_determinismE0ELb1ELb1ES3_N6thrust23THRUST_200600_302600_NS6detail15normal_iteratorINS9_10device_ptrIiEEEENS9_16discard_iteratorINS9_11use_defaultEEEiNS9_4plusIvEEiEEDaPvRmT3_T4_T5_mT6_P12ihipStream_tbENKUlT_T0_E_clISt17integral_constantIbLb0EESW_IbLb1EEEEDaSS_ST_EUlSS_E0_NS1_11comp_targetILNS1_3genE2ELNS1_11target_archE906ELNS1_3gpuE6ELNS1_3repE0EEENS1_30default_config_static_selectorELNS0_4arch9wavefront6targetE1EEEvT1_,@function
_ZN7rocprim17ROCPRIM_400000_NS6detail17trampoline_kernelINS0_14default_configENS1_20scan_config_selectorIiEEZZNS1_9scan_implILNS1_25lookback_scan_determinismE0ELb1ELb1ES3_N6thrust23THRUST_200600_302600_NS6detail15normal_iteratorINS9_10device_ptrIiEEEENS9_16discard_iteratorINS9_11use_defaultEEEiNS9_4plusIvEEiEEDaPvRmT3_T4_T5_mT6_P12ihipStream_tbENKUlT_T0_E_clISt17integral_constantIbLb0EESW_IbLb1EEEEDaSS_ST_EUlSS_E0_NS1_11comp_targetILNS1_3genE2ELNS1_11target_archE906ELNS1_3gpuE6ELNS1_3repE0EEENS1_30default_config_static_selectorELNS0_4arch9wavefront6targetE1EEEvT1_: ; @_ZN7rocprim17ROCPRIM_400000_NS6detail17trampoline_kernelINS0_14default_configENS1_20scan_config_selectorIiEEZZNS1_9scan_implILNS1_25lookback_scan_determinismE0ELb1ELb1ES3_N6thrust23THRUST_200600_302600_NS6detail15normal_iteratorINS9_10device_ptrIiEEEENS9_16discard_iteratorINS9_11use_defaultEEEiNS9_4plusIvEEiEEDaPvRmT3_T4_T5_mT6_P12ihipStream_tbENKUlT_T0_E_clISt17integral_constantIbLb0EESW_IbLb1EEEEDaSS_ST_EUlSS_E0_NS1_11comp_targetILNS1_3genE2ELNS1_11target_archE906ELNS1_3gpuE6ELNS1_3repE0EEENS1_30default_config_static_selectorELNS0_4arch9wavefront6targetE1EEEvT1_
; %bb.0:
	.section	.rodata,"a",@progbits
	.p2align	6, 0x0
	.amdhsa_kernel _ZN7rocprim17ROCPRIM_400000_NS6detail17trampoline_kernelINS0_14default_configENS1_20scan_config_selectorIiEEZZNS1_9scan_implILNS1_25lookback_scan_determinismE0ELb1ELb1ES3_N6thrust23THRUST_200600_302600_NS6detail15normal_iteratorINS9_10device_ptrIiEEEENS9_16discard_iteratorINS9_11use_defaultEEEiNS9_4plusIvEEiEEDaPvRmT3_T4_T5_mT6_P12ihipStream_tbENKUlT_T0_E_clISt17integral_constantIbLb0EESW_IbLb1EEEEDaSS_ST_EUlSS_E0_NS1_11comp_targetILNS1_3genE2ELNS1_11target_archE906ELNS1_3gpuE6ELNS1_3repE0EEENS1_30default_config_static_selectorELNS0_4arch9wavefront6targetE1EEEvT1_
		.amdhsa_group_segment_fixed_size 0
		.amdhsa_private_segment_fixed_size 0
		.amdhsa_kernarg_size 40
		.amdhsa_user_sgpr_count 6
		.amdhsa_user_sgpr_private_segment_buffer 1
		.amdhsa_user_sgpr_dispatch_ptr 0
		.amdhsa_user_sgpr_queue_ptr 0
		.amdhsa_user_sgpr_kernarg_segment_ptr 1
		.amdhsa_user_sgpr_dispatch_id 0
		.amdhsa_user_sgpr_flat_scratch_init 0
		.amdhsa_user_sgpr_kernarg_preload_length 0
		.amdhsa_user_sgpr_kernarg_preload_offset 0
		.amdhsa_user_sgpr_private_segment_size 0
		.amdhsa_uses_dynamic_stack 0
		.amdhsa_system_sgpr_private_segment_wavefront_offset 0
		.amdhsa_system_sgpr_workgroup_id_x 1
		.amdhsa_system_sgpr_workgroup_id_y 0
		.amdhsa_system_sgpr_workgroup_id_z 0
		.amdhsa_system_sgpr_workgroup_info 0
		.amdhsa_system_vgpr_workitem_id 0
		.amdhsa_next_free_vgpr 1
		.amdhsa_next_free_sgpr 0
		.amdhsa_accum_offset 4
		.amdhsa_reserve_vcc 0
		.amdhsa_reserve_flat_scratch 0
		.amdhsa_float_round_mode_32 0
		.amdhsa_float_round_mode_16_64 0
		.amdhsa_float_denorm_mode_32 3
		.amdhsa_float_denorm_mode_16_64 3
		.amdhsa_dx10_clamp 1
		.amdhsa_ieee_mode 1
		.amdhsa_fp16_overflow 0
		.amdhsa_tg_split 0
		.amdhsa_exception_fp_ieee_invalid_op 0
		.amdhsa_exception_fp_denorm_src 0
		.amdhsa_exception_fp_ieee_div_zero 0
		.amdhsa_exception_fp_ieee_overflow 0
		.amdhsa_exception_fp_ieee_underflow 0
		.amdhsa_exception_fp_ieee_inexact 0
		.amdhsa_exception_int_div_zero 0
	.end_amdhsa_kernel
	.section	.text._ZN7rocprim17ROCPRIM_400000_NS6detail17trampoline_kernelINS0_14default_configENS1_20scan_config_selectorIiEEZZNS1_9scan_implILNS1_25lookback_scan_determinismE0ELb1ELb1ES3_N6thrust23THRUST_200600_302600_NS6detail15normal_iteratorINS9_10device_ptrIiEEEENS9_16discard_iteratorINS9_11use_defaultEEEiNS9_4plusIvEEiEEDaPvRmT3_T4_T5_mT6_P12ihipStream_tbENKUlT_T0_E_clISt17integral_constantIbLb0EESW_IbLb1EEEEDaSS_ST_EUlSS_E0_NS1_11comp_targetILNS1_3genE2ELNS1_11target_archE906ELNS1_3gpuE6ELNS1_3repE0EEENS1_30default_config_static_selectorELNS0_4arch9wavefront6targetE1EEEvT1_,"axG",@progbits,_ZN7rocprim17ROCPRIM_400000_NS6detail17trampoline_kernelINS0_14default_configENS1_20scan_config_selectorIiEEZZNS1_9scan_implILNS1_25lookback_scan_determinismE0ELb1ELb1ES3_N6thrust23THRUST_200600_302600_NS6detail15normal_iteratorINS9_10device_ptrIiEEEENS9_16discard_iteratorINS9_11use_defaultEEEiNS9_4plusIvEEiEEDaPvRmT3_T4_T5_mT6_P12ihipStream_tbENKUlT_T0_E_clISt17integral_constantIbLb0EESW_IbLb1EEEEDaSS_ST_EUlSS_E0_NS1_11comp_targetILNS1_3genE2ELNS1_11target_archE906ELNS1_3gpuE6ELNS1_3repE0EEENS1_30default_config_static_selectorELNS0_4arch9wavefront6targetE1EEEvT1_,comdat
.Lfunc_end5865:
	.size	_ZN7rocprim17ROCPRIM_400000_NS6detail17trampoline_kernelINS0_14default_configENS1_20scan_config_selectorIiEEZZNS1_9scan_implILNS1_25lookback_scan_determinismE0ELb1ELb1ES3_N6thrust23THRUST_200600_302600_NS6detail15normal_iteratorINS9_10device_ptrIiEEEENS9_16discard_iteratorINS9_11use_defaultEEEiNS9_4plusIvEEiEEDaPvRmT3_T4_T5_mT6_P12ihipStream_tbENKUlT_T0_E_clISt17integral_constantIbLb0EESW_IbLb1EEEEDaSS_ST_EUlSS_E0_NS1_11comp_targetILNS1_3genE2ELNS1_11target_archE906ELNS1_3gpuE6ELNS1_3repE0EEENS1_30default_config_static_selectorELNS0_4arch9wavefront6targetE1EEEvT1_, .Lfunc_end5865-_ZN7rocprim17ROCPRIM_400000_NS6detail17trampoline_kernelINS0_14default_configENS1_20scan_config_selectorIiEEZZNS1_9scan_implILNS1_25lookback_scan_determinismE0ELb1ELb1ES3_N6thrust23THRUST_200600_302600_NS6detail15normal_iteratorINS9_10device_ptrIiEEEENS9_16discard_iteratorINS9_11use_defaultEEEiNS9_4plusIvEEiEEDaPvRmT3_T4_T5_mT6_P12ihipStream_tbENKUlT_T0_E_clISt17integral_constantIbLb0EESW_IbLb1EEEEDaSS_ST_EUlSS_E0_NS1_11comp_targetILNS1_3genE2ELNS1_11target_archE906ELNS1_3gpuE6ELNS1_3repE0EEENS1_30default_config_static_selectorELNS0_4arch9wavefront6targetE1EEEvT1_
                                        ; -- End function
	.section	.AMDGPU.csdata,"",@progbits
; Kernel info:
; codeLenInByte = 0
; NumSgprs: 4
; NumVgprs: 0
; NumAgprs: 0
; TotalNumVgprs: 0
; ScratchSize: 0
; MemoryBound: 0
; FloatMode: 240
; IeeeMode: 1
; LDSByteSize: 0 bytes/workgroup (compile time only)
; SGPRBlocks: 0
; VGPRBlocks: 0
; NumSGPRsForWavesPerEU: 4
; NumVGPRsForWavesPerEU: 1
; AccumOffset: 4
; Occupancy: 8
; WaveLimiterHint : 0
; COMPUTE_PGM_RSRC2:SCRATCH_EN: 0
; COMPUTE_PGM_RSRC2:USER_SGPR: 6
; COMPUTE_PGM_RSRC2:TRAP_HANDLER: 0
; COMPUTE_PGM_RSRC2:TGID_X_EN: 1
; COMPUTE_PGM_RSRC2:TGID_Y_EN: 0
; COMPUTE_PGM_RSRC2:TGID_Z_EN: 0
; COMPUTE_PGM_RSRC2:TIDIG_COMP_CNT: 0
; COMPUTE_PGM_RSRC3_GFX90A:ACCUM_OFFSET: 0
; COMPUTE_PGM_RSRC3_GFX90A:TG_SPLIT: 0
	.section	.text._ZN7rocprim17ROCPRIM_400000_NS6detail17trampoline_kernelINS0_14default_configENS1_20scan_config_selectorIiEEZZNS1_9scan_implILNS1_25lookback_scan_determinismE0ELb1ELb1ES3_N6thrust23THRUST_200600_302600_NS6detail15normal_iteratorINS9_10device_ptrIiEEEENS9_16discard_iteratorINS9_11use_defaultEEEiNS9_4plusIvEEiEEDaPvRmT3_T4_T5_mT6_P12ihipStream_tbENKUlT_T0_E_clISt17integral_constantIbLb0EESW_IbLb1EEEEDaSS_ST_EUlSS_E0_NS1_11comp_targetILNS1_3genE10ELNS1_11target_archE1201ELNS1_3gpuE5ELNS1_3repE0EEENS1_30default_config_static_selectorELNS0_4arch9wavefront6targetE1EEEvT1_,"axG",@progbits,_ZN7rocprim17ROCPRIM_400000_NS6detail17trampoline_kernelINS0_14default_configENS1_20scan_config_selectorIiEEZZNS1_9scan_implILNS1_25lookback_scan_determinismE0ELb1ELb1ES3_N6thrust23THRUST_200600_302600_NS6detail15normal_iteratorINS9_10device_ptrIiEEEENS9_16discard_iteratorINS9_11use_defaultEEEiNS9_4plusIvEEiEEDaPvRmT3_T4_T5_mT6_P12ihipStream_tbENKUlT_T0_E_clISt17integral_constantIbLb0EESW_IbLb1EEEEDaSS_ST_EUlSS_E0_NS1_11comp_targetILNS1_3genE10ELNS1_11target_archE1201ELNS1_3gpuE5ELNS1_3repE0EEENS1_30default_config_static_selectorELNS0_4arch9wavefront6targetE1EEEvT1_,comdat
	.protected	_ZN7rocprim17ROCPRIM_400000_NS6detail17trampoline_kernelINS0_14default_configENS1_20scan_config_selectorIiEEZZNS1_9scan_implILNS1_25lookback_scan_determinismE0ELb1ELb1ES3_N6thrust23THRUST_200600_302600_NS6detail15normal_iteratorINS9_10device_ptrIiEEEENS9_16discard_iteratorINS9_11use_defaultEEEiNS9_4plusIvEEiEEDaPvRmT3_T4_T5_mT6_P12ihipStream_tbENKUlT_T0_E_clISt17integral_constantIbLb0EESW_IbLb1EEEEDaSS_ST_EUlSS_E0_NS1_11comp_targetILNS1_3genE10ELNS1_11target_archE1201ELNS1_3gpuE5ELNS1_3repE0EEENS1_30default_config_static_selectorELNS0_4arch9wavefront6targetE1EEEvT1_ ; -- Begin function _ZN7rocprim17ROCPRIM_400000_NS6detail17trampoline_kernelINS0_14default_configENS1_20scan_config_selectorIiEEZZNS1_9scan_implILNS1_25lookback_scan_determinismE0ELb1ELb1ES3_N6thrust23THRUST_200600_302600_NS6detail15normal_iteratorINS9_10device_ptrIiEEEENS9_16discard_iteratorINS9_11use_defaultEEEiNS9_4plusIvEEiEEDaPvRmT3_T4_T5_mT6_P12ihipStream_tbENKUlT_T0_E_clISt17integral_constantIbLb0EESW_IbLb1EEEEDaSS_ST_EUlSS_E0_NS1_11comp_targetILNS1_3genE10ELNS1_11target_archE1201ELNS1_3gpuE5ELNS1_3repE0EEENS1_30default_config_static_selectorELNS0_4arch9wavefront6targetE1EEEvT1_
	.globl	_ZN7rocprim17ROCPRIM_400000_NS6detail17trampoline_kernelINS0_14default_configENS1_20scan_config_selectorIiEEZZNS1_9scan_implILNS1_25lookback_scan_determinismE0ELb1ELb1ES3_N6thrust23THRUST_200600_302600_NS6detail15normal_iteratorINS9_10device_ptrIiEEEENS9_16discard_iteratorINS9_11use_defaultEEEiNS9_4plusIvEEiEEDaPvRmT3_T4_T5_mT6_P12ihipStream_tbENKUlT_T0_E_clISt17integral_constantIbLb0EESW_IbLb1EEEEDaSS_ST_EUlSS_E0_NS1_11comp_targetILNS1_3genE10ELNS1_11target_archE1201ELNS1_3gpuE5ELNS1_3repE0EEENS1_30default_config_static_selectorELNS0_4arch9wavefront6targetE1EEEvT1_
	.p2align	8
	.type	_ZN7rocprim17ROCPRIM_400000_NS6detail17trampoline_kernelINS0_14default_configENS1_20scan_config_selectorIiEEZZNS1_9scan_implILNS1_25lookback_scan_determinismE0ELb1ELb1ES3_N6thrust23THRUST_200600_302600_NS6detail15normal_iteratorINS9_10device_ptrIiEEEENS9_16discard_iteratorINS9_11use_defaultEEEiNS9_4plusIvEEiEEDaPvRmT3_T4_T5_mT6_P12ihipStream_tbENKUlT_T0_E_clISt17integral_constantIbLb0EESW_IbLb1EEEEDaSS_ST_EUlSS_E0_NS1_11comp_targetILNS1_3genE10ELNS1_11target_archE1201ELNS1_3gpuE5ELNS1_3repE0EEENS1_30default_config_static_selectorELNS0_4arch9wavefront6targetE1EEEvT1_,@function
_ZN7rocprim17ROCPRIM_400000_NS6detail17trampoline_kernelINS0_14default_configENS1_20scan_config_selectorIiEEZZNS1_9scan_implILNS1_25lookback_scan_determinismE0ELb1ELb1ES3_N6thrust23THRUST_200600_302600_NS6detail15normal_iteratorINS9_10device_ptrIiEEEENS9_16discard_iteratorINS9_11use_defaultEEEiNS9_4plusIvEEiEEDaPvRmT3_T4_T5_mT6_P12ihipStream_tbENKUlT_T0_E_clISt17integral_constantIbLb0EESW_IbLb1EEEEDaSS_ST_EUlSS_E0_NS1_11comp_targetILNS1_3genE10ELNS1_11target_archE1201ELNS1_3gpuE5ELNS1_3repE0EEENS1_30default_config_static_selectorELNS0_4arch9wavefront6targetE1EEEvT1_: ; @_ZN7rocprim17ROCPRIM_400000_NS6detail17trampoline_kernelINS0_14default_configENS1_20scan_config_selectorIiEEZZNS1_9scan_implILNS1_25lookback_scan_determinismE0ELb1ELb1ES3_N6thrust23THRUST_200600_302600_NS6detail15normal_iteratorINS9_10device_ptrIiEEEENS9_16discard_iteratorINS9_11use_defaultEEEiNS9_4plusIvEEiEEDaPvRmT3_T4_T5_mT6_P12ihipStream_tbENKUlT_T0_E_clISt17integral_constantIbLb0EESW_IbLb1EEEEDaSS_ST_EUlSS_E0_NS1_11comp_targetILNS1_3genE10ELNS1_11target_archE1201ELNS1_3gpuE5ELNS1_3repE0EEENS1_30default_config_static_selectorELNS0_4arch9wavefront6targetE1EEEvT1_
; %bb.0:
	.section	.rodata,"a",@progbits
	.p2align	6, 0x0
	.amdhsa_kernel _ZN7rocprim17ROCPRIM_400000_NS6detail17trampoline_kernelINS0_14default_configENS1_20scan_config_selectorIiEEZZNS1_9scan_implILNS1_25lookback_scan_determinismE0ELb1ELb1ES3_N6thrust23THRUST_200600_302600_NS6detail15normal_iteratorINS9_10device_ptrIiEEEENS9_16discard_iteratorINS9_11use_defaultEEEiNS9_4plusIvEEiEEDaPvRmT3_T4_T5_mT6_P12ihipStream_tbENKUlT_T0_E_clISt17integral_constantIbLb0EESW_IbLb1EEEEDaSS_ST_EUlSS_E0_NS1_11comp_targetILNS1_3genE10ELNS1_11target_archE1201ELNS1_3gpuE5ELNS1_3repE0EEENS1_30default_config_static_selectorELNS0_4arch9wavefront6targetE1EEEvT1_
		.amdhsa_group_segment_fixed_size 0
		.amdhsa_private_segment_fixed_size 0
		.amdhsa_kernarg_size 40
		.amdhsa_user_sgpr_count 6
		.amdhsa_user_sgpr_private_segment_buffer 1
		.amdhsa_user_sgpr_dispatch_ptr 0
		.amdhsa_user_sgpr_queue_ptr 0
		.amdhsa_user_sgpr_kernarg_segment_ptr 1
		.amdhsa_user_sgpr_dispatch_id 0
		.amdhsa_user_sgpr_flat_scratch_init 0
		.amdhsa_user_sgpr_kernarg_preload_length 0
		.amdhsa_user_sgpr_kernarg_preload_offset 0
		.amdhsa_user_sgpr_private_segment_size 0
		.amdhsa_uses_dynamic_stack 0
		.amdhsa_system_sgpr_private_segment_wavefront_offset 0
		.amdhsa_system_sgpr_workgroup_id_x 1
		.amdhsa_system_sgpr_workgroup_id_y 0
		.amdhsa_system_sgpr_workgroup_id_z 0
		.amdhsa_system_sgpr_workgroup_info 0
		.amdhsa_system_vgpr_workitem_id 0
		.amdhsa_next_free_vgpr 1
		.amdhsa_next_free_sgpr 0
		.amdhsa_accum_offset 4
		.amdhsa_reserve_vcc 0
		.amdhsa_reserve_flat_scratch 0
		.amdhsa_float_round_mode_32 0
		.amdhsa_float_round_mode_16_64 0
		.amdhsa_float_denorm_mode_32 3
		.amdhsa_float_denorm_mode_16_64 3
		.amdhsa_dx10_clamp 1
		.amdhsa_ieee_mode 1
		.amdhsa_fp16_overflow 0
		.amdhsa_tg_split 0
		.amdhsa_exception_fp_ieee_invalid_op 0
		.amdhsa_exception_fp_denorm_src 0
		.amdhsa_exception_fp_ieee_div_zero 0
		.amdhsa_exception_fp_ieee_overflow 0
		.amdhsa_exception_fp_ieee_underflow 0
		.amdhsa_exception_fp_ieee_inexact 0
		.amdhsa_exception_int_div_zero 0
	.end_amdhsa_kernel
	.section	.text._ZN7rocprim17ROCPRIM_400000_NS6detail17trampoline_kernelINS0_14default_configENS1_20scan_config_selectorIiEEZZNS1_9scan_implILNS1_25lookback_scan_determinismE0ELb1ELb1ES3_N6thrust23THRUST_200600_302600_NS6detail15normal_iteratorINS9_10device_ptrIiEEEENS9_16discard_iteratorINS9_11use_defaultEEEiNS9_4plusIvEEiEEDaPvRmT3_T4_T5_mT6_P12ihipStream_tbENKUlT_T0_E_clISt17integral_constantIbLb0EESW_IbLb1EEEEDaSS_ST_EUlSS_E0_NS1_11comp_targetILNS1_3genE10ELNS1_11target_archE1201ELNS1_3gpuE5ELNS1_3repE0EEENS1_30default_config_static_selectorELNS0_4arch9wavefront6targetE1EEEvT1_,"axG",@progbits,_ZN7rocprim17ROCPRIM_400000_NS6detail17trampoline_kernelINS0_14default_configENS1_20scan_config_selectorIiEEZZNS1_9scan_implILNS1_25lookback_scan_determinismE0ELb1ELb1ES3_N6thrust23THRUST_200600_302600_NS6detail15normal_iteratorINS9_10device_ptrIiEEEENS9_16discard_iteratorINS9_11use_defaultEEEiNS9_4plusIvEEiEEDaPvRmT3_T4_T5_mT6_P12ihipStream_tbENKUlT_T0_E_clISt17integral_constantIbLb0EESW_IbLb1EEEEDaSS_ST_EUlSS_E0_NS1_11comp_targetILNS1_3genE10ELNS1_11target_archE1201ELNS1_3gpuE5ELNS1_3repE0EEENS1_30default_config_static_selectorELNS0_4arch9wavefront6targetE1EEEvT1_,comdat
.Lfunc_end5866:
	.size	_ZN7rocprim17ROCPRIM_400000_NS6detail17trampoline_kernelINS0_14default_configENS1_20scan_config_selectorIiEEZZNS1_9scan_implILNS1_25lookback_scan_determinismE0ELb1ELb1ES3_N6thrust23THRUST_200600_302600_NS6detail15normal_iteratorINS9_10device_ptrIiEEEENS9_16discard_iteratorINS9_11use_defaultEEEiNS9_4plusIvEEiEEDaPvRmT3_T4_T5_mT6_P12ihipStream_tbENKUlT_T0_E_clISt17integral_constantIbLb0EESW_IbLb1EEEEDaSS_ST_EUlSS_E0_NS1_11comp_targetILNS1_3genE10ELNS1_11target_archE1201ELNS1_3gpuE5ELNS1_3repE0EEENS1_30default_config_static_selectorELNS0_4arch9wavefront6targetE1EEEvT1_, .Lfunc_end5866-_ZN7rocprim17ROCPRIM_400000_NS6detail17trampoline_kernelINS0_14default_configENS1_20scan_config_selectorIiEEZZNS1_9scan_implILNS1_25lookback_scan_determinismE0ELb1ELb1ES3_N6thrust23THRUST_200600_302600_NS6detail15normal_iteratorINS9_10device_ptrIiEEEENS9_16discard_iteratorINS9_11use_defaultEEEiNS9_4plusIvEEiEEDaPvRmT3_T4_T5_mT6_P12ihipStream_tbENKUlT_T0_E_clISt17integral_constantIbLb0EESW_IbLb1EEEEDaSS_ST_EUlSS_E0_NS1_11comp_targetILNS1_3genE10ELNS1_11target_archE1201ELNS1_3gpuE5ELNS1_3repE0EEENS1_30default_config_static_selectorELNS0_4arch9wavefront6targetE1EEEvT1_
                                        ; -- End function
	.section	.AMDGPU.csdata,"",@progbits
; Kernel info:
; codeLenInByte = 0
; NumSgprs: 4
; NumVgprs: 0
; NumAgprs: 0
; TotalNumVgprs: 0
; ScratchSize: 0
; MemoryBound: 0
; FloatMode: 240
; IeeeMode: 1
; LDSByteSize: 0 bytes/workgroup (compile time only)
; SGPRBlocks: 0
; VGPRBlocks: 0
; NumSGPRsForWavesPerEU: 4
; NumVGPRsForWavesPerEU: 1
; AccumOffset: 4
; Occupancy: 8
; WaveLimiterHint : 0
; COMPUTE_PGM_RSRC2:SCRATCH_EN: 0
; COMPUTE_PGM_RSRC2:USER_SGPR: 6
; COMPUTE_PGM_RSRC2:TRAP_HANDLER: 0
; COMPUTE_PGM_RSRC2:TGID_X_EN: 1
; COMPUTE_PGM_RSRC2:TGID_Y_EN: 0
; COMPUTE_PGM_RSRC2:TGID_Z_EN: 0
; COMPUTE_PGM_RSRC2:TIDIG_COMP_CNT: 0
; COMPUTE_PGM_RSRC3_GFX90A:ACCUM_OFFSET: 0
; COMPUTE_PGM_RSRC3_GFX90A:TG_SPLIT: 0
	.section	.text._ZN7rocprim17ROCPRIM_400000_NS6detail17trampoline_kernelINS0_14default_configENS1_20scan_config_selectorIiEEZZNS1_9scan_implILNS1_25lookback_scan_determinismE0ELb1ELb1ES3_N6thrust23THRUST_200600_302600_NS6detail15normal_iteratorINS9_10device_ptrIiEEEENS9_16discard_iteratorINS9_11use_defaultEEEiNS9_4plusIvEEiEEDaPvRmT3_T4_T5_mT6_P12ihipStream_tbENKUlT_T0_E_clISt17integral_constantIbLb0EESW_IbLb1EEEEDaSS_ST_EUlSS_E0_NS1_11comp_targetILNS1_3genE10ELNS1_11target_archE1200ELNS1_3gpuE4ELNS1_3repE0EEENS1_30default_config_static_selectorELNS0_4arch9wavefront6targetE1EEEvT1_,"axG",@progbits,_ZN7rocprim17ROCPRIM_400000_NS6detail17trampoline_kernelINS0_14default_configENS1_20scan_config_selectorIiEEZZNS1_9scan_implILNS1_25lookback_scan_determinismE0ELb1ELb1ES3_N6thrust23THRUST_200600_302600_NS6detail15normal_iteratorINS9_10device_ptrIiEEEENS9_16discard_iteratorINS9_11use_defaultEEEiNS9_4plusIvEEiEEDaPvRmT3_T4_T5_mT6_P12ihipStream_tbENKUlT_T0_E_clISt17integral_constantIbLb0EESW_IbLb1EEEEDaSS_ST_EUlSS_E0_NS1_11comp_targetILNS1_3genE10ELNS1_11target_archE1200ELNS1_3gpuE4ELNS1_3repE0EEENS1_30default_config_static_selectorELNS0_4arch9wavefront6targetE1EEEvT1_,comdat
	.protected	_ZN7rocprim17ROCPRIM_400000_NS6detail17trampoline_kernelINS0_14default_configENS1_20scan_config_selectorIiEEZZNS1_9scan_implILNS1_25lookback_scan_determinismE0ELb1ELb1ES3_N6thrust23THRUST_200600_302600_NS6detail15normal_iteratorINS9_10device_ptrIiEEEENS9_16discard_iteratorINS9_11use_defaultEEEiNS9_4plusIvEEiEEDaPvRmT3_T4_T5_mT6_P12ihipStream_tbENKUlT_T0_E_clISt17integral_constantIbLb0EESW_IbLb1EEEEDaSS_ST_EUlSS_E0_NS1_11comp_targetILNS1_3genE10ELNS1_11target_archE1200ELNS1_3gpuE4ELNS1_3repE0EEENS1_30default_config_static_selectorELNS0_4arch9wavefront6targetE1EEEvT1_ ; -- Begin function _ZN7rocprim17ROCPRIM_400000_NS6detail17trampoline_kernelINS0_14default_configENS1_20scan_config_selectorIiEEZZNS1_9scan_implILNS1_25lookback_scan_determinismE0ELb1ELb1ES3_N6thrust23THRUST_200600_302600_NS6detail15normal_iteratorINS9_10device_ptrIiEEEENS9_16discard_iteratorINS9_11use_defaultEEEiNS9_4plusIvEEiEEDaPvRmT3_T4_T5_mT6_P12ihipStream_tbENKUlT_T0_E_clISt17integral_constantIbLb0EESW_IbLb1EEEEDaSS_ST_EUlSS_E0_NS1_11comp_targetILNS1_3genE10ELNS1_11target_archE1200ELNS1_3gpuE4ELNS1_3repE0EEENS1_30default_config_static_selectorELNS0_4arch9wavefront6targetE1EEEvT1_
	.globl	_ZN7rocprim17ROCPRIM_400000_NS6detail17trampoline_kernelINS0_14default_configENS1_20scan_config_selectorIiEEZZNS1_9scan_implILNS1_25lookback_scan_determinismE0ELb1ELb1ES3_N6thrust23THRUST_200600_302600_NS6detail15normal_iteratorINS9_10device_ptrIiEEEENS9_16discard_iteratorINS9_11use_defaultEEEiNS9_4plusIvEEiEEDaPvRmT3_T4_T5_mT6_P12ihipStream_tbENKUlT_T0_E_clISt17integral_constantIbLb0EESW_IbLb1EEEEDaSS_ST_EUlSS_E0_NS1_11comp_targetILNS1_3genE10ELNS1_11target_archE1200ELNS1_3gpuE4ELNS1_3repE0EEENS1_30default_config_static_selectorELNS0_4arch9wavefront6targetE1EEEvT1_
	.p2align	8
	.type	_ZN7rocprim17ROCPRIM_400000_NS6detail17trampoline_kernelINS0_14default_configENS1_20scan_config_selectorIiEEZZNS1_9scan_implILNS1_25lookback_scan_determinismE0ELb1ELb1ES3_N6thrust23THRUST_200600_302600_NS6detail15normal_iteratorINS9_10device_ptrIiEEEENS9_16discard_iteratorINS9_11use_defaultEEEiNS9_4plusIvEEiEEDaPvRmT3_T4_T5_mT6_P12ihipStream_tbENKUlT_T0_E_clISt17integral_constantIbLb0EESW_IbLb1EEEEDaSS_ST_EUlSS_E0_NS1_11comp_targetILNS1_3genE10ELNS1_11target_archE1200ELNS1_3gpuE4ELNS1_3repE0EEENS1_30default_config_static_selectorELNS0_4arch9wavefront6targetE1EEEvT1_,@function
_ZN7rocprim17ROCPRIM_400000_NS6detail17trampoline_kernelINS0_14default_configENS1_20scan_config_selectorIiEEZZNS1_9scan_implILNS1_25lookback_scan_determinismE0ELb1ELb1ES3_N6thrust23THRUST_200600_302600_NS6detail15normal_iteratorINS9_10device_ptrIiEEEENS9_16discard_iteratorINS9_11use_defaultEEEiNS9_4plusIvEEiEEDaPvRmT3_T4_T5_mT6_P12ihipStream_tbENKUlT_T0_E_clISt17integral_constantIbLb0EESW_IbLb1EEEEDaSS_ST_EUlSS_E0_NS1_11comp_targetILNS1_3genE10ELNS1_11target_archE1200ELNS1_3gpuE4ELNS1_3repE0EEENS1_30default_config_static_selectorELNS0_4arch9wavefront6targetE1EEEvT1_: ; @_ZN7rocprim17ROCPRIM_400000_NS6detail17trampoline_kernelINS0_14default_configENS1_20scan_config_selectorIiEEZZNS1_9scan_implILNS1_25lookback_scan_determinismE0ELb1ELb1ES3_N6thrust23THRUST_200600_302600_NS6detail15normal_iteratorINS9_10device_ptrIiEEEENS9_16discard_iteratorINS9_11use_defaultEEEiNS9_4plusIvEEiEEDaPvRmT3_T4_T5_mT6_P12ihipStream_tbENKUlT_T0_E_clISt17integral_constantIbLb0EESW_IbLb1EEEEDaSS_ST_EUlSS_E0_NS1_11comp_targetILNS1_3genE10ELNS1_11target_archE1200ELNS1_3gpuE4ELNS1_3repE0EEENS1_30default_config_static_selectorELNS0_4arch9wavefront6targetE1EEEvT1_
; %bb.0:
	.section	.rodata,"a",@progbits
	.p2align	6, 0x0
	.amdhsa_kernel _ZN7rocprim17ROCPRIM_400000_NS6detail17trampoline_kernelINS0_14default_configENS1_20scan_config_selectorIiEEZZNS1_9scan_implILNS1_25lookback_scan_determinismE0ELb1ELb1ES3_N6thrust23THRUST_200600_302600_NS6detail15normal_iteratorINS9_10device_ptrIiEEEENS9_16discard_iteratorINS9_11use_defaultEEEiNS9_4plusIvEEiEEDaPvRmT3_T4_T5_mT6_P12ihipStream_tbENKUlT_T0_E_clISt17integral_constantIbLb0EESW_IbLb1EEEEDaSS_ST_EUlSS_E0_NS1_11comp_targetILNS1_3genE10ELNS1_11target_archE1200ELNS1_3gpuE4ELNS1_3repE0EEENS1_30default_config_static_selectorELNS0_4arch9wavefront6targetE1EEEvT1_
		.amdhsa_group_segment_fixed_size 0
		.amdhsa_private_segment_fixed_size 0
		.amdhsa_kernarg_size 40
		.amdhsa_user_sgpr_count 6
		.amdhsa_user_sgpr_private_segment_buffer 1
		.amdhsa_user_sgpr_dispatch_ptr 0
		.amdhsa_user_sgpr_queue_ptr 0
		.amdhsa_user_sgpr_kernarg_segment_ptr 1
		.amdhsa_user_sgpr_dispatch_id 0
		.amdhsa_user_sgpr_flat_scratch_init 0
		.amdhsa_user_sgpr_kernarg_preload_length 0
		.amdhsa_user_sgpr_kernarg_preload_offset 0
		.amdhsa_user_sgpr_private_segment_size 0
		.amdhsa_uses_dynamic_stack 0
		.amdhsa_system_sgpr_private_segment_wavefront_offset 0
		.amdhsa_system_sgpr_workgroup_id_x 1
		.amdhsa_system_sgpr_workgroup_id_y 0
		.amdhsa_system_sgpr_workgroup_id_z 0
		.amdhsa_system_sgpr_workgroup_info 0
		.amdhsa_system_vgpr_workitem_id 0
		.amdhsa_next_free_vgpr 1
		.amdhsa_next_free_sgpr 0
		.amdhsa_accum_offset 4
		.amdhsa_reserve_vcc 0
		.amdhsa_reserve_flat_scratch 0
		.amdhsa_float_round_mode_32 0
		.amdhsa_float_round_mode_16_64 0
		.amdhsa_float_denorm_mode_32 3
		.amdhsa_float_denorm_mode_16_64 3
		.amdhsa_dx10_clamp 1
		.amdhsa_ieee_mode 1
		.amdhsa_fp16_overflow 0
		.amdhsa_tg_split 0
		.amdhsa_exception_fp_ieee_invalid_op 0
		.amdhsa_exception_fp_denorm_src 0
		.amdhsa_exception_fp_ieee_div_zero 0
		.amdhsa_exception_fp_ieee_overflow 0
		.amdhsa_exception_fp_ieee_underflow 0
		.amdhsa_exception_fp_ieee_inexact 0
		.amdhsa_exception_int_div_zero 0
	.end_amdhsa_kernel
	.section	.text._ZN7rocprim17ROCPRIM_400000_NS6detail17trampoline_kernelINS0_14default_configENS1_20scan_config_selectorIiEEZZNS1_9scan_implILNS1_25lookback_scan_determinismE0ELb1ELb1ES3_N6thrust23THRUST_200600_302600_NS6detail15normal_iteratorINS9_10device_ptrIiEEEENS9_16discard_iteratorINS9_11use_defaultEEEiNS9_4plusIvEEiEEDaPvRmT3_T4_T5_mT6_P12ihipStream_tbENKUlT_T0_E_clISt17integral_constantIbLb0EESW_IbLb1EEEEDaSS_ST_EUlSS_E0_NS1_11comp_targetILNS1_3genE10ELNS1_11target_archE1200ELNS1_3gpuE4ELNS1_3repE0EEENS1_30default_config_static_selectorELNS0_4arch9wavefront6targetE1EEEvT1_,"axG",@progbits,_ZN7rocprim17ROCPRIM_400000_NS6detail17trampoline_kernelINS0_14default_configENS1_20scan_config_selectorIiEEZZNS1_9scan_implILNS1_25lookback_scan_determinismE0ELb1ELb1ES3_N6thrust23THRUST_200600_302600_NS6detail15normal_iteratorINS9_10device_ptrIiEEEENS9_16discard_iteratorINS9_11use_defaultEEEiNS9_4plusIvEEiEEDaPvRmT3_T4_T5_mT6_P12ihipStream_tbENKUlT_T0_E_clISt17integral_constantIbLb0EESW_IbLb1EEEEDaSS_ST_EUlSS_E0_NS1_11comp_targetILNS1_3genE10ELNS1_11target_archE1200ELNS1_3gpuE4ELNS1_3repE0EEENS1_30default_config_static_selectorELNS0_4arch9wavefront6targetE1EEEvT1_,comdat
.Lfunc_end5867:
	.size	_ZN7rocprim17ROCPRIM_400000_NS6detail17trampoline_kernelINS0_14default_configENS1_20scan_config_selectorIiEEZZNS1_9scan_implILNS1_25lookback_scan_determinismE0ELb1ELb1ES3_N6thrust23THRUST_200600_302600_NS6detail15normal_iteratorINS9_10device_ptrIiEEEENS9_16discard_iteratorINS9_11use_defaultEEEiNS9_4plusIvEEiEEDaPvRmT3_T4_T5_mT6_P12ihipStream_tbENKUlT_T0_E_clISt17integral_constantIbLb0EESW_IbLb1EEEEDaSS_ST_EUlSS_E0_NS1_11comp_targetILNS1_3genE10ELNS1_11target_archE1200ELNS1_3gpuE4ELNS1_3repE0EEENS1_30default_config_static_selectorELNS0_4arch9wavefront6targetE1EEEvT1_, .Lfunc_end5867-_ZN7rocprim17ROCPRIM_400000_NS6detail17trampoline_kernelINS0_14default_configENS1_20scan_config_selectorIiEEZZNS1_9scan_implILNS1_25lookback_scan_determinismE0ELb1ELb1ES3_N6thrust23THRUST_200600_302600_NS6detail15normal_iteratorINS9_10device_ptrIiEEEENS9_16discard_iteratorINS9_11use_defaultEEEiNS9_4plusIvEEiEEDaPvRmT3_T4_T5_mT6_P12ihipStream_tbENKUlT_T0_E_clISt17integral_constantIbLb0EESW_IbLb1EEEEDaSS_ST_EUlSS_E0_NS1_11comp_targetILNS1_3genE10ELNS1_11target_archE1200ELNS1_3gpuE4ELNS1_3repE0EEENS1_30default_config_static_selectorELNS0_4arch9wavefront6targetE1EEEvT1_
                                        ; -- End function
	.section	.AMDGPU.csdata,"",@progbits
; Kernel info:
; codeLenInByte = 0
; NumSgprs: 4
; NumVgprs: 0
; NumAgprs: 0
; TotalNumVgprs: 0
; ScratchSize: 0
; MemoryBound: 0
; FloatMode: 240
; IeeeMode: 1
; LDSByteSize: 0 bytes/workgroup (compile time only)
; SGPRBlocks: 0
; VGPRBlocks: 0
; NumSGPRsForWavesPerEU: 4
; NumVGPRsForWavesPerEU: 1
; AccumOffset: 4
; Occupancy: 8
; WaveLimiterHint : 0
; COMPUTE_PGM_RSRC2:SCRATCH_EN: 0
; COMPUTE_PGM_RSRC2:USER_SGPR: 6
; COMPUTE_PGM_RSRC2:TRAP_HANDLER: 0
; COMPUTE_PGM_RSRC2:TGID_X_EN: 1
; COMPUTE_PGM_RSRC2:TGID_Y_EN: 0
; COMPUTE_PGM_RSRC2:TGID_Z_EN: 0
; COMPUTE_PGM_RSRC2:TIDIG_COMP_CNT: 0
; COMPUTE_PGM_RSRC3_GFX90A:ACCUM_OFFSET: 0
; COMPUTE_PGM_RSRC3_GFX90A:TG_SPLIT: 0
	.section	.text._ZN7rocprim17ROCPRIM_400000_NS6detail17trampoline_kernelINS0_14default_configENS1_20scan_config_selectorIiEEZZNS1_9scan_implILNS1_25lookback_scan_determinismE0ELb1ELb1ES3_N6thrust23THRUST_200600_302600_NS6detail15normal_iteratorINS9_10device_ptrIiEEEENS9_16discard_iteratorINS9_11use_defaultEEEiNS9_4plusIvEEiEEDaPvRmT3_T4_T5_mT6_P12ihipStream_tbENKUlT_T0_E_clISt17integral_constantIbLb0EESW_IbLb1EEEEDaSS_ST_EUlSS_E0_NS1_11comp_targetILNS1_3genE9ELNS1_11target_archE1100ELNS1_3gpuE3ELNS1_3repE0EEENS1_30default_config_static_selectorELNS0_4arch9wavefront6targetE1EEEvT1_,"axG",@progbits,_ZN7rocprim17ROCPRIM_400000_NS6detail17trampoline_kernelINS0_14default_configENS1_20scan_config_selectorIiEEZZNS1_9scan_implILNS1_25lookback_scan_determinismE0ELb1ELb1ES3_N6thrust23THRUST_200600_302600_NS6detail15normal_iteratorINS9_10device_ptrIiEEEENS9_16discard_iteratorINS9_11use_defaultEEEiNS9_4plusIvEEiEEDaPvRmT3_T4_T5_mT6_P12ihipStream_tbENKUlT_T0_E_clISt17integral_constantIbLb0EESW_IbLb1EEEEDaSS_ST_EUlSS_E0_NS1_11comp_targetILNS1_3genE9ELNS1_11target_archE1100ELNS1_3gpuE3ELNS1_3repE0EEENS1_30default_config_static_selectorELNS0_4arch9wavefront6targetE1EEEvT1_,comdat
	.protected	_ZN7rocprim17ROCPRIM_400000_NS6detail17trampoline_kernelINS0_14default_configENS1_20scan_config_selectorIiEEZZNS1_9scan_implILNS1_25lookback_scan_determinismE0ELb1ELb1ES3_N6thrust23THRUST_200600_302600_NS6detail15normal_iteratorINS9_10device_ptrIiEEEENS9_16discard_iteratorINS9_11use_defaultEEEiNS9_4plusIvEEiEEDaPvRmT3_T4_T5_mT6_P12ihipStream_tbENKUlT_T0_E_clISt17integral_constantIbLb0EESW_IbLb1EEEEDaSS_ST_EUlSS_E0_NS1_11comp_targetILNS1_3genE9ELNS1_11target_archE1100ELNS1_3gpuE3ELNS1_3repE0EEENS1_30default_config_static_selectorELNS0_4arch9wavefront6targetE1EEEvT1_ ; -- Begin function _ZN7rocprim17ROCPRIM_400000_NS6detail17trampoline_kernelINS0_14default_configENS1_20scan_config_selectorIiEEZZNS1_9scan_implILNS1_25lookback_scan_determinismE0ELb1ELb1ES3_N6thrust23THRUST_200600_302600_NS6detail15normal_iteratorINS9_10device_ptrIiEEEENS9_16discard_iteratorINS9_11use_defaultEEEiNS9_4plusIvEEiEEDaPvRmT3_T4_T5_mT6_P12ihipStream_tbENKUlT_T0_E_clISt17integral_constantIbLb0EESW_IbLb1EEEEDaSS_ST_EUlSS_E0_NS1_11comp_targetILNS1_3genE9ELNS1_11target_archE1100ELNS1_3gpuE3ELNS1_3repE0EEENS1_30default_config_static_selectorELNS0_4arch9wavefront6targetE1EEEvT1_
	.globl	_ZN7rocprim17ROCPRIM_400000_NS6detail17trampoline_kernelINS0_14default_configENS1_20scan_config_selectorIiEEZZNS1_9scan_implILNS1_25lookback_scan_determinismE0ELb1ELb1ES3_N6thrust23THRUST_200600_302600_NS6detail15normal_iteratorINS9_10device_ptrIiEEEENS9_16discard_iteratorINS9_11use_defaultEEEiNS9_4plusIvEEiEEDaPvRmT3_T4_T5_mT6_P12ihipStream_tbENKUlT_T0_E_clISt17integral_constantIbLb0EESW_IbLb1EEEEDaSS_ST_EUlSS_E0_NS1_11comp_targetILNS1_3genE9ELNS1_11target_archE1100ELNS1_3gpuE3ELNS1_3repE0EEENS1_30default_config_static_selectorELNS0_4arch9wavefront6targetE1EEEvT1_
	.p2align	8
	.type	_ZN7rocprim17ROCPRIM_400000_NS6detail17trampoline_kernelINS0_14default_configENS1_20scan_config_selectorIiEEZZNS1_9scan_implILNS1_25lookback_scan_determinismE0ELb1ELb1ES3_N6thrust23THRUST_200600_302600_NS6detail15normal_iteratorINS9_10device_ptrIiEEEENS9_16discard_iteratorINS9_11use_defaultEEEiNS9_4plusIvEEiEEDaPvRmT3_T4_T5_mT6_P12ihipStream_tbENKUlT_T0_E_clISt17integral_constantIbLb0EESW_IbLb1EEEEDaSS_ST_EUlSS_E0_NS1_11comp_targetILNS1_3genE9ELNS1_11target_archE1100ELNS1_3gpuE3ELNS1_3repE0EEENS1_30default_config_static_selectorELNS0_4arch9wavefront6targetE1EEEvT1_,@function
_ZN7rocprim17ROCPRIM_400000_NS6detail17trampoline_kernelINS0_14default_configENS1_20scan_config_selectorIiEEZZNS1_9scan_implILNS1_25lookback_scan_determinismE0ELb1ELb1ES3_N6thrust23THRUST_200600_302600_NS6detail15normal_iteratorINS9_10device_ptrIiEEEENS9_16discard_iteratorINS9_11use_defaultEEEiNS9_4plusIvEEiEEDaPvRmT3_T4_T5_mT6_P12ihipStream_tbENKUlT_T0_E_clISt17integral_constantIbLb0EESW_IbLb1EEEEDaSS_ST_EUlSS_E0_NS1_11comp_targetILNS1_3genE9ELNS1_11target_archE1100ELNS1_3gpuE3ELNS1_3repE0EEENS1_30default_config_static_selectorELNS0_4arch9wavefront6targetE1EEEvT1_: ; @_ZN7rocprim17ROCPRIM_400000_NS6detail17trampoline_kernelINS0_14default_configENS1_20scan_config_selectorIiEEZZNS1_9scan_implILNS1_25lookback_scan_determinismE0ELb1ELb1ES3_N6thrust23THRUST_200600_302600_NS6detail15normal_iteratorINS9_10device_ptrIiEEEENS9_16discard_iteratorINS9_11use_defaultEEEiNS9_4plusIvEEiEEDaPvRmT3_T4_T5_mT6_P12ihipStream_tbENKUlT_T0_E_clISt17integral_constantIbLb0EESW_IbLb1EEEEDaSS_ST_EUlSS_E0_NS1_11comp_targetILNS1_3genE9ELNS1_11target_archE1100ELNS1_3gpuE3ELNS1_3repE0EEENS1_30default_config_static_selectorELNS0_4arch9wavefront6targetE1EEEvT1_
; %bb.0:
	.section	.rodata,"a",@progbits
	.p2align	6, 0x0
	.amdhsa_kernel _ZN7rocprim17ROCPRIM_400000_NS6detail17trampoline_kernelINS0_14default_configENS1_20scan_config_selectorIiEEZZNS1_9scan_implILNS1_25lookback_scan_determinismE0ELb1ELb1ES3_N6thrust23THRUST_200600_302600_NS6detail15normal_iteratorINS9_10device_ptrIiEEEENS9_16discard_iteratorINS9_11use_defaultEEEiNS9_4plusIvEEiEEDaPvRmT3_T4_T5_mT6_P12ihipStream_tbENKUlT_T0_E_clISt17integral_constantIbLb0EESW_IbLb1EEEEDaSS_ST_EUlSS_E0_NS1_11comp_targetILNS1_3genE9ELNS1_11target_archE1100ELNS1_3gpuE3ELNS1_3repE0EEENS1_30default_config_static_selectorELNS0_4arch9wavefront6targetE1EEEvT1_
		.amdhsa_group_segment_fixed_size 0
		.amdhsa_private_segment_fixed_size 0
		.amdhsa_kernarg_size 40
		.amdhsa_user_sgpr_count 6
		.amdhsa_user_sgpr_private_segment_buffer 1
		.amdhsa_user_sgpr_dispatch_ptr 0
		.amdhsa_user_sgpr_queue_ptr 0
		.amdhsa_user_sgpr_kernarg_segment_ptr 1
		.amdhsa_user_sgpr_dispatch_id 0
		.amdhsa_user_sgpr_flat_scratch_init 0
		.amdhsa_user_sgpr_kernarg_preload_length 0
		.amdhsa_user_sgpr_kernarg_preload_offset 0
		.amdhsa_user_sgpr_private_segment_size 0
		.amdhsa_uses_dynamic_stack 0
		.amdhsa_system_sgpr_private_segment_wavefront_offset 0
		.amdhsa_system_sgpr_workgroup_id_x 1
		.amdhsa_system_sgpr_workgroup_id_y 0
		.amdhsa_system_sgpr_workgroup_id_z 0
		.amdhsa_system_sgpr_workgroup_info 0
		.amdhsa_system_vgpr_workitem_id 0
		.amdhsa_next_free_vgpr 1
		.amdhsa_next_free_sgpr 0
		.amdhsa_accum_offset 4
		.amdhsa_reserve_vcc 0
		.amdhsa_reserve_flat_scratch 0
		.amdhsa_float_round_mode_32 0
		.amdhsa_float_round_mode_16_64 0
		.amdhsa_float_denorm_mode_32 3
		.amdhsa_float_denorm_mode_16_64 3
		.amdhsa_dx10_clamp 1
		.amdhsa_ieee_mode 1
		.amdhsa_fp16_overflow 0
		.amdhsa_tg_split 0
		.amdhsa_exception_fp_ieee_invalid_op 0
		.amdhsa_exception_fp_denorm_src 0
		.amdhsa_exception_fp_ieee_div_zero 0
		.amdhsa_exception_fp_ieee_overflow 0
		.amdhsa_exception_fp_ieee_underflow 0
		.amdhsa_exception_fp_ieee_inexact 0
		.amdhsa_exception_int_div_zero 0
	.end_amdhsa_kernel
	.section	.text._ZN7rocprim17ROCPRIM_400000_NS6detail17trampoline_kernelINS0_14default_configENS1_20scan_config_selectorIiEEZZNS1_9scan_implILNS1_25lookback_scan_determinismE0ELb1ELb1ES3_N6thrust23THRUST_200600_302600_NS6detail15normal_iteratorINS9_10device_ptrIiEEEENS9_16discard_iteratorINS9_11use_defaultEEEiNS9_4plusIvEEiEEDaPvRmT3_T4_T5_mT6_P12ihipStream_tbENKUlT_T0_E_clISt17integral_constantIbLb0EESW_IbLb1EEEEDaSS_ST_EUlSS_E0_NS1_11comp_targetILNS1_3genE9ELNS1_11target_archE1100ELNS1_3gpuE3ELNS1_3repE0EEENS1_30default_config_static_selectorELNS0_4arch9wavefront6targetE1EEEvT1_,"axG",@progbits,_ZN7rocprim17ROCPRIM_400000_NS6detail17trampoline_kernelINS0_14default_configENS1_20scan_config_selectorIiEEZZNS1_9scan_implILNS1_25lookback_scan_determinismE0ELb1ELb1ES3_N6thrust23THRUST_200600_302600_NS6detail15normal_iteratorINS9_10device_ptrIiEEEENS9_16discard_iteratorINS9_11use_defaultEEEiNS9_4plusIvEEiEEDaPvRmT3_T4_T5_mT6_P12ihipStream_tbENKUlT_T0_E_clISt17integral_constantIbLb0EESW_IbLb1EEEEDaSS_ST_EUlSS_E0_NS1_11comp_targetILNS1_3genE9ELNS1_11target_archE1100ELNS1_3gpuE3ELNS1_3repE0EEENS1_30default_config_static_selectorELNS0_4arch9wavefront6targetE1EEEvT1_,comdat
.Lfunc_end5868:
	.size	_ZN7rocprim17ROCPRIM_400000_NS6detail17trampoline_kernelINS0_14default_configENS1_20scan_config_selectorIiEEZZNS1_9scan_implILNS1_25lookback_scan_determinismE0ELb1ELb1ES3_N6thrust23THRUST_200600_302600_NS6detail15normal_iteratorINS9_10device_ptrIiEEEENS9_16discard_iteratorINS9_11use_defaultEEEiNS9_4plusIvEEiEEDaPvRmT3_T4_T5_mT6_P12ihipStream_tbENKUlT_T0_E_clISt17integral_constantIbLb0EESW_IbLb1EEEEDaSS_ST_EUlSS_E0_NS1_11comp_targetILNS1_3genE9ELNS1_11target_archE1100ELNS1_3gpuE3ELNS1_3repE0EEENS1_30default_config_static_selectorELNS0_4arch9wavefront6targetE1EEEvT1_, .Lfunc_end5868-_ZN7rocprim17ROCPRIM_400000_NS6detail17trampoline_kernelINS0_14default_configENS1_20scan_config_selectorIiEEZZNS1_9scan_implILNS1_25lookback_scan_determinismE0ELb1ELb1ES3_N6thrust23THRUST_200600_302600_NS6detail15normal_iteratorINS9_10device_ptrIiEEEENS9_16discard_iteratorINS9_11use_defaultEEEiNS9_4plusIvEEiEEDaPvRmT3_T4_T5_mT6_P12ihipStream_tbENKUlT_T0_E_clISt17integral_constantIbLb0EESW_IbLb1EEEEDaSS_ST_EUlSS_E0_NS1_11comp_targetILNS1_3genE9ELNS1_11target_archE1100ELNS1_3gpuE3ELNS1_3repE0EEENS1_30default_config_static_selectorELNS0_4arch9wavefront6targetE1EEEvT1_
                                        ; -- End function
	.section	.AMDGPU.csdata,"",@progbits
; Kernel info:
; codeLenInByte = 0
; NumSgprs: 4
; NumVgprs: 0
; NumAgprs: 0
; TotalNumVgprs: 0
; ScratchSize: 0
; MemoryBound: 0
; FloatMode: 240
; IeeeMode: 1
; LDSByteSize: 0 bytes/workgroup (compile time only)
; SGPRBlocks: 0
; VGPRBlocks: 0
; NumSGPRsForWavesPerEU: 4
; NumVGPRsForWavesPerEU: 1
; AccumOffset: 4
; Occupancy: 8
; WaveLimiterHint : 0
; COMPUTE_PGM_RSRC2:SCRATCH_EN: 0
; COMPUTE_PGM_RSRC2:USER_SGPR: 6
; COMPUTE_PGM_RSRC2:TRAP_HANDLER: 0
; COMPUTE_PGM_RSRC2:TGID_X_EN: 1
; COMPUTE_PGM_RSRC2:TGID_Y_EN: 0
; COMPUTE_PGM_RSRC2:TGID_Z_EN: 0
; COMPUTE_PGM_RSRC2:TIDIG_COMP_CNT: 0
; COMPUTE_PGM_RSRC3_GFX90A:ACCUM_OFFSET: 0
; COMPUTE_PGM_RSRC3_GFX90A:TG_SPLIT: 0
	.section	.text._ZN7rocprim17ROCPRIM_400000_NS6detail17trampoline_kernelINS0_14default_configENS1_20scan_config_selectorIiEEZZNS1_9scan_implILNS1_25lookback_scan_determinismE0ELb1ELb1ES3_N6thrust23THRUST_200600_302600_NS6detail15normal_iteratorINS9_10device_ptrIiEEEENS9_16discard_iteratorINS9_11use_defaultEEEiNS9_4plusIvEEiEEDaPvRmT3_T4_T5_mT6_P12ihipStream_tbENKUlT_T0_E_clISt17integral_constantIbLb0EESW_IbLb1EEEEDaSS_ST_EUlSS_E0_NS1_11comp_targetILNS1_3genE8ELNS1_11target_archE1030ELNS1_3gpuE2ELNS1_3repE0EEENS1_30default_config_static_selectorELNS0_4arch9wavefront6targetE1EEEvT1_,"axG",@progbits,_ZN7rocprim17ROCPRIM_400000_NS6detail17trampoline_kernelINS0_14default_configENS1_20scan_config_selectorIiEEZZNS1_9scan_implILNS1_25lookback_scan_determinismE0ELb1ELb1ES3_N6thrust23THRUST_200600_302600_NS6detail15normal_iteratorINS9_10device_ptrIiEEEENS9_16discard_iteratorINS9_11use_defaultEEEiNS9_4plusIvEEiEEDaPvRmT3_T4_T5_mT6_P12ihipStream_tbENKUlT_T0_E_clISt17integral_constantIbLb0EESW_IbLb1EEEEDaSS_ST_EUlSS_E0_NS1_11comp_targetILNS1_3genE8ELNS1_11target_archE1030ELNS1_3gpuE2ELNS1_3repE0EEENS1_30default_config_static_selectorELNS0_4arch9wavefront6targetE1EEEvT1_,comdat
	.protected	_ZN7rocprim17ROCPRIM_400000_NS6detail17trampoline_kernelINS0_14default_configENS1_20scan_config_selectorIiEEZZNS1_9scan_implILNS1_25lookback_scan_determinismE0ELb1ELb1ES3_N6thrust23THRUST_200600_302600_NS6detail15normal_iteratorINS9_10device_ptrIiEEEENS9_16discard_iteratorINS9_11use_defaultEEEiNS9_4plusIvEEiEEDaPvRmT3_T4_T5_mT6_P12ihipStream_tbENKUlT_T0_E_clISt17integral_constantIbLb0EESW_IbLb1EEEEDaSS_ST_EUlSS_E0_NS1_11comp_targetILNS1_3genE8ELNS1_11target_archE1030ELNS1_3gpuE2ELNS1_3repE0EEENS1_30default_config_static_selectorELNS0_4arch9wavefront6targetE1EEEvT1_ ; -- Begin function _ZN7rocprim17ROCPRIM_400000_NS6detail17trampoline_kernelINS0_14default_configENS1_20scan_config_selectorIiEEZZNS1_9scan_implILNS1_25lookback_scan_determinismE0ELb1ELb1ES3_N6thrust23THRUST_200600_302600_NS6detail15normal_iteratorINS9_10device_ptrIiEEEENS9_16discard_iteratorINS9_11use_defaultEEEiNS9_4plusIvEEiEEDaPvRmT3_T4_T5_mT6_P12ihipStream_tbENKUlT_T0_E_clISt17integral_constantIbLb0EESW_IbLb1EEEEDaSS_ST_EUlSS_E0_NS1_11comp_targetILNS1_3genE8ELNS1_11target_archE1030ELNS1_3gpuE2ELNS1_3repE0EEENS1_30default_config_static_selectorELNS0_4arch9wavefront6targetE1EEEvT1_
	.globl	_ZN7rocprim17ROCPRIM_400000_NS6detail17trampoline_kernelINS0_14default_configENS1_20scan_config_selectorIiEEZZNS1_9scan_implILNS1_25lookback_scan_determinismE0ELb1ELb1ES3_N6thrust23THRUST_200600_302600_NS6detail15normal_iteratorINS9_10device_ptrIiEEEENS9_16discard_iteratorINS9_11use_defaultEEEiNS9_4plusIvEEiEEDaPvRmT3_T4_T5_mT6_P12ihipStream_tbENKUlT_T0_E_clISt17integral_constantIbLb0EESW_IbLb1EEEEDaSS_ST_EUlSS_E0_NS1_11comp_targetILNS1_3genE8ELNS1_11target_archE1030ELNS1_3gpuE2ELNS1_3repE0EEENS1_30default_config_static_selectorELNS0_4arch9wavefront6targetE1EEEvT1_
	.p2align	8
	.type	_ZN7rocprim17ROCPRIM_400000_NS6detail17trampoline_kernelINS0_14default_configENS1_20scan_config_selectorIiEEZZNS1_9scan_implILNS1_25lookback_scan_determinismE0ELb1ELb1ES3_N6thrust23THRUST_200600_302600_NS6detail15normal_iteratorINS9_10device_ptrIiEEEENS9_16discard_iteratorINS9_11use_defaultEEEiNS9_4plusIvEEiEEDaPvRmT3_T4_T5_mT6_P12ihipStream_tbENKUlT_T0_E_clISt17integral_constantIbLb0EESW_IbLb1EEEEDaSS_ST_EUlSS_E0_NS1_11comp_targetILNS1_3genE8ELNS1_11target_archE1030ELNS1_3gpuE2ELNS1_3repE0EEENS1_30default_config_static_selectorELNS0_4arch9wavefront6targetE1EEEvT1_,@function
_ZN7rocprim17ROCPRIM_400000_NS6detail17trampoline_kernelINS0_14default_configENS1_20scan_config_selectorIiEEZZNS1_9scan_implILNS1_25lookback_scan_determinismE0ELb1ELb1ES3_N6thrust23THRUST_200600_302600_NS6detail15normal_iteratorINS9_10device_ptrIiEEEENS9_16discard_iteratorINS9_11use_defaultEEEiNS9_4plusIvEEiEEDaPvRmT3_T4_T5_mT6_P12ihipStream_tbENKUlT_T0_E_clISt17integral_constantIbLb0EESW_IbLb1EEEEDaSS_ST_EUlSS_E0_NS1_11comp_targetILNS1_3genE8ELNS1_11target_archE1030ELNS1_3gpuE2ELNS1_3repE0EEENS1_30default_config_static_selectorELNS0_4arch9wavefront6targetE1EEEvT1_: ; @_ZN7rocprim17ROCPRIM_400000_NS6detail17trampoline_kernelINS0_14default_configENS1_20scan_config_selectorIiEEZZNS1_9scan_implILNS1_25lookback_scan_determinismE0ELb1ELb1ES3_N6thrust23THRUST_200600_302600_NS6detail15normal_iteratorINS9_10device_ptrIiEEEENS9_16discard_iteratorINS9_11use_defaultEEEiNS9_4plusIvEEiEEDaPvRmT3_T4_T5_mT6_P12ihipStream_tbENKUlT_T0_E_clISt17integral_constantIbLb0EESW_IbLb1EEEEDaSS_ST_EUlSS_E0_NS1_11comp_targetILNS1_3genE8ELNS1_11target_archE1030ELNS1_3gpuE2ELNS1_3repE0EEENS1_30default_config_static_selectorELNS0_4arch9wavefront6targetE1EEEvT1_
; %bb.0:
	.section	.rodata,"a",@progbits
	.p2align	6, 0x0
	.amdhsa_kernel _ZN7rocprim17ROCPRIM_400000_NS6detail17trampoline_kernelINS0_14default_configENS1_20scan_config_selectorIiEEZZNS1_9scan_implILNS1_25lookback_scan_determinismE0ELb1ELb1ES3_N6thrust23THRUST_200600_302600_NS6detail15normal_iteratorINS9_10device_ptrIiEEEENS9_16discard_iteratorINS9_11use_defaultEEEiNS9_4plusIvEEiEEDaPvRmT3_T4_T5_mT6_P12ihipStream_tbENKUlT_T0_E_clISt17integral_constantIbLb0EESW_IbLb1EEEEDaSS_ST_EUlSS_E0_NS1_11comp_targetILNS1_3genE8ELNS1_11target_archE1030ELNS1_3gpuE2ELNS1_3repE0EEENS1_30default_config_static_selectorELNS0_4arch9wavefront6targetE1EEEvT1_
		.amdhsa_group_segment_fixed_size 0
		.amdhsa_private_segment_fixed_size 0
		.amdhsa_kernarg_size 40
		.amdhsa_user_sgpr_count 6
		.amdhsa_user_sgpr_private_segment_buffer 1
		.amdhsa_user_sgpr_dispatch_ptr 0
		.amdhsa_user_sgpr_queue_ptr 0
		.amdhsa_user_sgpr_kernarg_segment_ptr 1
		.amdhsa_user_sgpr_dispatch_id 0
		.amdhsa_user_sgpr_flat_scratch_init 0
		.amdhsa_user_sgpr_kernarg_preload_length 0
		.amdhsa_user_sgpr_kernarg_preload_offset 0
		.amdhsa_user_sgpr_private_segment_size 0
		.amdhsa_uses_dynamic_stack 0
		.amdhsa_system_sgpr_private_segment_wavefront_offset 0
		.amdhsa_system_sgpr_workgroup_id_x 1
		.amdhsa_system_sgpr_workgroup_id_y 0
		.amdhsa_system_sgpr_workgroup_id_z 0
		.amdhsa_system_sgpr_workgroup_info 0
		.amdhsa_system_vgpr_workitem_id 0
		.amdhsa_next_free_vgpr 1
		.amdhsa_next_free_sgpr 0
		.amdhsa_accum_offset 4
		.amdhsa_reserve_vcc 0
		.amdhsa_reserve_flat_scratch 0
		.amdhsa_float_round_mode_32 0
		.amdhsa_float_round_mode_16_64 0
		.amdhsa_float_denorm_mode_32 3
		.amdhsa_float_denorm_mode_16_64 3
		.amdhsa_dx10_clamp 1
		.amdhsa_ieee_mode 1
		.amdhsa_fp16_overflow 0
		.amdhsa_tg_split 0
		.amdhsa_exception_fp_ieee_invalid_op 0
		.amdhsa_exception_fp_denorm_src 0
		.amdhsa_exception_fp_ieee_div_zero 0
		.amdhsa_exception_fp_ieee_overflow 0
		.amdhsa_exception_fp_ieee_underflow 0
		.amdhsa_exception_fp_ieee_inexact 0
		.amdhsa_exception_int_div_zero 0
	.end_amdhsa_kernel
	.section	.text._ZN7rocprim17ROCPRIM_400000_NS6detail17trampoline_kernelINS0_14default_configENS1_20scan_config_selectorIiEEZZNS1_9scan_implILNS1_25lookback_scan_determinismE0ELb1ELb1ES3_N6thrust23THRUST_200600_302600_NS6detail15normal_iteratorINS9_10device_ptrIiEEEENS9_16discard_iteratorINS9_11use_defaultEEEiNS9_4plusIvEEiEEDaPvRmT3_T4_T5_mT6_P12ihipStream_tbENKUlT_T0_E_clISt17integral_constantIbLb0EESW_IbLb1EEEEDaSS_ST_EUlSS_E0_NS1_11comp_targetILNS1_3genE8ELNS1_11target_archE1030ELNS1_3gpuE2ELNS1_3repE0EEENS1_30default_config_static_selectorELNS0_4arch9wavefront6targetE1EEEvT1_,"axG",@progbits,_ZN7rocprim17ROCPRIM_400000_NS6detail17trampoline_kernelINS0_14default_configENS1_20scan_config_selectorIiEEZZNS1_9scan_implILNS1_25lookback_scan_determinismE0ELb1ELb1ES3_N6thrust23THRUST_200600_302600_NS6detail15normal_iteratorINS9_10device_ptrIiEEEENS9_16discard_iteratorINS9_11use_defaultEEEiNS9_4plusIvEEiEEDaPvRmT3_T4_T5_mT6_P12ihipStream_tbENKUlT_T0_E_clISt17integral_constantIbLb0EESW_IbLb1EEEEDaSS_ST_EUlSS_E0_NS1_11comp_targetILNS1_3genE8ELNS1_11target_archE1030ELNS1_3gpuE2ELNS1_3repE0EEENS1_30default_config_static_selectorELNS0_4arch9wavefront6targetE1EEEvT1_,comdat
.Lfunc_end5869:
	.size	_ZN7rocprim17ROCPRIM_400000_NS6detail17trampoline_kernelINS0_14default_configENS1_20scan_config_selectorIiEEZZNS1_9scan_implILNS1_25lookback_scan_determinismE0ELb1ELb1ES3_N6thrust23THRUST_200600_302600_NS6detail15normal_iteratorINS9_10device_ptrIiEEEENS9_16discard_iteratorINS9_11use_defaultEEEiNS9_4plusIvEEiEEDaPvRmT3_T4_T5_mT6_P12ihipStream_tbENKUlT_T0_E_clISt17integral_constantIbLb0EESW_IbLb1EEEEDaSS_ST_EUlSS_E0_NS1_11comp_targetILNS1_3genE8ELNS1_11target_archE1030ELNS1_3gpuE2ELNS1_3repE0EEENS1_30default_config_static_selectorELNS0_4arch9wavefront6targetE1EEEvT1_, .Lfunc_end5869-_ZN7rocprim17ROCPRIM_400000_NS6detail17trampoline_kernelINS0_14default_configENS1_20scan_config_selectorIiEEZZNS1_9scan_implILNS1_25lookback_scan_determinismE0ELb1ELb1ES3_N6thrust23THRUST_200600_302600_NS6detail15normal_iteratorINS9_10device_ptrIiEEEENS9_16discard_iteratorINS9_11use_defaultEEEiNS9_4plusIvEEiEEDaPvRmT3_T4_T5_mT6_P12ihipStream_tbENKUlT_T0_E_clISt17integral_constantIbLb0EESW_IbLb1EEEEDaSS_ST_EUlSS_E0_NS1_11comp_targetILNS1_3genE8ELNS1_11target_archE1030ELNS1_3gpuE2ELNS1_3repE0EEENS1_30default_config_static_selectorELNS0_4arch9wavefront6targetE1EEEvT1_
                                        ; -- End function
	.section	.AMDGPU.csdata,"",@progbits
; Kernel info:
; codeLenInByte = 0
; NumSgprs: 4
; NumVgprs: 0
; NumAgprs: 0
; TotalNumVgprs: 0
; ScratchSize: 0
; MemoryBound: 0
; FloatMode: 240
; IeeeMode: 1
; LDSByteSize: 0 bytes/workgroup (compile time only)
; SGPRBlocks: 0
; VGPRBlocks: 0
; NumSGPRsForWavesPerEU: 4
; NumVGPRsForWavesPerEU: 1
; AccumOffset: 4
; Occupancy: 8
; WaveLimiterHint : 0
; COMPUTE_PGM_RSRC2:SCRATCH_EN: 0
; COMPUTE_PGM_RSRC2:USER_SGPR: 6
; COMPUTE_PGM_RSRC2:TRAP_HANDLER: 0
; COMPUTE_PGM_RSRC2:TGID_X_EN: 1
; COMPUTE_PGM_RSRC2:TGID_Y_EN: 0
; COMPUTE_PGM_RSRC2:TGID_Z_EN: 0
; COMPUTE_PGM_RSRC2:TIDIG_COMP_CNT: 0
; COMPUTE_PGM_RSRC3_GFX90A:ACCUM_OFFSET: 0
; COMPUTE_PGM_RSRC3_GFX90A:TG_SPLIT: 0
	.section	.text._ZN7rocprim17ROCPRIM_400000_NS6detail17trampoline_kernelINS0_14default_configENS1_20scan_config_selectorIsEEZZNS1_9scan_implILNS1_25lookback_scan_determinismE0ELb0ELb0ES3_N6thrust23THRUST_200600_302600_NS6detail15normal_iteratorINS9_10device_ptrIsEEEENS9_16discard_iteratorINS9_11use_defaultEEEsNS9_4plusIvEEsEEDaPvRmT3_T4_T5_mT6_P12ihipStream_tbENKUlT_T0_E_clISt17integral_constantIbLb0EESX_EEDaSS_ST_EUlSS_E_NS1_11comp_targetILNS1_3genE0ELNS1_11target_archE4294967295ELNS1_3gpuE0ELNS1_3repE0EEENS1_30default_config_static_selectorELNS0_4arch9wavefront6targetE1EEEvT1_,"axG",@progbits,_ZN7rocprim17ROCPRIM_400000_NS6detail17trampoline_kernelINS0_14default_configENS1_20scan_config_selectorIsEEZZNS1_9scan_implILNS1_25lookback_scan_determinismE0ELb0ELb0ES3_N6thrust23THRUST_200600_302600_NS6detail15normal_iteratorINS9_10device_ptrIsEEEENS9_16discard_iteratorINS9_11use_defaultEEEsNS9_4plusIvEEsEEDaPvRmT3_T4_T5_mT6_P12ihipStream_tbENKUlT_T0_E_clISt17integral_constantIbLb0EESX_EEDaSS_ST_EUlSS_E_NS1_11comp_targetILNS1_3genE0ELNS1_11target_archE4294967295ELNS1_3gpuE0ELNS1_3repE0EEENS1_30default_config_static_selectorELNS0_4arch9wavefront6targetE1EEEvT1_,comdat
	.protected	_ZN7rocprim17ROCPRIM_400000_NS6detail17trampoline_kernelINS0_14default_configENS1_20scan_config_selectorIsEEZZNS1_9scan_implILNS1_25lookback_scan_determinismE0ELb0ELb0ES3_N6thrust23THRUST_200600_302600_NS6detail15normal_iteratorINS9_10device_ptrIsEEEENS9_16discard_iteratorINS9_11use_defaultEEEsNS9_4plusIvEEsEEDaPvRmT3_T4_T5_mT6_P12ihipStream_tbENKUlT_T0_E_clISt17integral_constantIbLb0EESX_EEDaSS_ST_EUlSS_E_NS1_11comp_targetILNS1_3genE0ELNS1_11target_archE4294967295ELNS1_3gpuE0ELNS1_3repE0EEENS1_30default_config_static_selectorELNS0_4arch9wavefront6targetE1EEEvT1_ ; -- Begin function _ZN7rocprim17ROCPRIM_400000_NS6detail17trampoline_kernelINS0_14default_configENS1_20scan_config_selectorIsEEZZNS1_9scan_implILNS1_25lookback_scan_determinismE0ELb0ELb0ES3_N6thrust23THRUST_200600_302600_NS6detail15normal_iteratorINS9_10device_ptrIsEEEENS9_16discard_iteratorINS9_11use_defaultEEEsNS9_4plusIvEEsEEDaPvRmT3_T4_T5_mT6_P12ihipStream_tbENKUlT_T0_E_clISt17integral_constantIbLb0EESX_EEDaSS_ST_EUlSS_E_NS1_11comp_targetILNS1_3genE0ELNS1_11target_archE4294967295ELNS1_3gpuE0ELNS1_3repE0EEENS1_30default_config_static_selectorELNS0_4arch9wavefront6targetE1EEEvT1_
	.globl	_ZN7rocprim17ROCPRIM_400000_NS6detail17trampoline_kernelINS0_14default_configENS1_20scan_config_selectorIsEEZZNS1_9scan_implILNS1_25lookback_scan_determinismE0ELb0ELb0ES3_N6thrust23THRUST_200600_302600_NS6detail15normal_iteratorINS9_10device_ptrIsEEEENS9_16discard_iteratorINS9_11use_defaultEEEsNS9_4plusIvEEsEEDaPvRmT3_T4_T5_mT6_P12ihipStream_tbENKUlT_T0_E_clISt17integral_constantIbLb0EESX_EEDaSS_ST_EUlSS_E_NS1_11comp_targetILNS1_3genE0ELNS1_11target_archE4294967295ELNS1_3gpuE0ELNS1_3repE0EEENS1_30default_config_static_selectorELNS0_4arch9wavefront6targetE1EEEvT1_
	.p2align	8
	.type	_ZN7rocprim17ROCPRIM_400000_NS6detail17trampoline_kernelINS0_14default_configENS1_20scan_config_selectorIsEEZZNS1_9scan_implILNS1_25lookback_scan_determinismE0ELb0ELb0ES3_N6thrust23THRUST_200600_302600_NS6detail15normal_iteratorINS9_10device_ptrIsEEEENS9_16discard_iteratorINS9_11use_defaultEEEsNS9_4plusIvEEsEEDaPvRmT3_T4_T5_mT6_P12ihipStream_tbENKUlT_T0_E_clISt17integral_constantIbLb0EESX_EEDaSS_ST_EUlSS_E_NS1_11comp_targetILNS1_3genE0ELNS1_11target_archE4294967295ELNS1_3gpuE0ELNS1_3repE0EEENS1_30default_config_static_selectorELNS0_4arch9wavefront6targetE1EEEvT1_,@function
_ZN7rocprim17ROCPRIM_400000_NS6detail17trampoline_kernelINS0_14default_configENS1_20scan_config_selectorIsEEZZNS1_9scan_implILNS1_25lookback_scan_determinismE0ELb0ELb0ES3_N6thrust23THRUST_200600_302600_NS6detail15normal_iteratorINS9_10device_ptrIsEEEENS9_16discard_iteratorINS9_11use_defaultEEEsNS9_4plusIvEEsEEDaPvRmT3_T4_T5_mT6_P12ihipStream_tbENKUlT_T0_E_clISt17integral_constantIbLb0EESX_EEDaSS_ST_EUlSS_E_NS1_11comp_targetILNS1_3genE0ELNS1_11target_archE4294967295ELNS1_3gpuE0ELNS1_3repE0EEENS1_30default_config_static_selectorELNS0_4arch9wavefront6targetE1EEEvT1_: ; @_ZN7rocprim17ROCPRIM_400000_NS6detail17trampoline_kernelINS0_14default_configENS1_20scan_config_selectorIsEEZZNS1_9scan_implILNS1_25lookback_scan_determinismE0ELb0ELb0ES3_N6thrust23THRUST_200600_302600_NS6detail15normal_iteratorINS9_10device_ptrIsEEEENS9_16discard_iteratorINS9_11use_defaultEEEsNS9_4plusIvEEsEEDaPvRmT3_T4_T5_mT6_P12ihipStream_tbENKUlT_T0_E_clISt17integral_constantIbLb0EESX_EEDaSS_ST_EUlSS_E_NS1_11comp_targetILNS1_3genE0ELNS1_11target_archE4294967295ELNS1_3gpuE0ELNS1_3repE0EEENS1_30default_config_static_selectorELNS0_4arch9wavefront6targetE1EEEvT1_
; %bb.0:
	.section	.rodata,"a",@progbits
	.p2align	6, 0x0
	.amdhsa_kernel _ZN7rocprim17ROCPRIM_400000_NS6detail17trampoline_kernelINS0_14default_configENS1_20scan_config_selectorIsEEZZNS1_9scan_implILNS1_25lookback_scan_determinismE0ELb0ELb0ES3_N6thrust23THRUST_200600_302600_NS6detail15normal_iteratorINS9_10device_ptrIsEEEENS9_16discard_iteratorINS9_11use_defaultEEEsNS9_4plusIvEEsEEDaPvRmT3_T4_T5_mT6_P12ihipStream_tbENKUlT_T0_E_clISt17integral_constantIbLb0EESX_EEDaSS_ST_EUlSS_E_NS1_11comp_targetILNS1_3genE0ELNS1_11target_archE4294967295ELNS1_3gpuE0ELNS1_3repE0EEENS1_30default_config_static_selectorELNS0_4arch9wavefront6targetE1EEEvT1_
		.amdhsa_group_segment_fixed_size 0
		.amdhsa_private_segment_fixed_size 0
		.amdhsa_kernarg_size 104
		.amdhsa_user_sgpr_count 6
		.amdhsa_user_sgpr_private_segment_buffer 1
		.amdhsa_user_sgpr_dispatch_ptr 0
		.amdhsa_user_sgpr_queue_ptr 0
		.amdhsa_user_sgpr_kernarg_segment_ptr 1
		.amdhsa_user_sgpr_dispatch_id 0
		.amdhsa_user_sgpr_flat_scratch_init 0
		.amdhsa_user_sgpr_kernarg_preload_length 0
		.amdhsa_user_sgpr_kernarg_preload_offset 0
		.amdhsa_user_sgpr_private_segment_size 0
		.amdhsa_uses_dynamic_stack 0
		.amdhsa_system_sgpr_private_segment_wavefront_offset 0
		.amdhsa_system_sgpr_workgroup_id_x 1
		.amdhsa_system_sgpr_workgroup_id_y 0
		.amdhsa_system_sgpr_workgroup_id_z 0
		.amdhsa_system_sgpr_workgroup_info 0
		.amdhsa_system_vgpr_workitem_id 0
		.amdhsa_next_free_vgpr 1
		.amdhsa_next_free_sgpr 0
		.amdhsa_accum_offset 4
		.amdhsa_reserve_vcc 0
		.amdhsa_reserve_flat_scratch 0
		.amdhsa_float_round_mode_32 0
		.amdhsa_float_round_mode_16_64 0
		.amdhsa_float_denorm_mode_32 3
		.amdhsa_float_denorm_mode_16_64 3
		.amdhsa_dx10_clamp 1
		.amdhsa_ieee_mode 1
		.amdhsa_fp16_overflow 0
		.amdhsa_tg_split 0
		.amdhsa_exception_fp_ieee_invalid_op 0
		.amdhsa_exception_fp_denorm_src 0
		.amdhsa_exception_fp_ieee_div_zero 0
		.amdhsa_exception_fp_ieee_overflow 0
		.amdhsa_exception_fp_ieee_underflow 0
		.amdhsa_exception_fp_ieee_inexact 0
		.amdhsa_exception_int_div_zero 0
	.end_amdhsa_kernel
	.section	.text._ZN7rocprim17ROCPRIM_400000_NS6detail17trampoline_kernelINS0_14default_configENS1_20scan_config_selectorIsEEZZNS1_9scan_implILNS1_25lookback_scan_determinismE0ELb0ELb0ES3_N6thrust23THRUST_200600_302600_NS6detail15normal_iteratorINS9_10device_ptrIsEEEENS9_16discard_iteratorINS9_11use_defaultEEEsNS9_4plusIvEEsEEDaPvRmT3_T4_T5_mT6_P12ihipStream_tbENKUlT_T0_E_clISt17integral_constantIbLb0EESX_EEDaSS_ST_EUlSS_E_NS1_11comp_targetILNS1_3genE0ELNS1_11target_archE4294967295ELNS1_3gpuE0ELNS1_3repE0EEENS1_30default_config_static_selectorELNS0_4arch9wavefront6targetE1EEEvT1_,"axG",@progbits,_ZN7rocprim17ROCPRIM_400000_NS6detail17trampoline_kernelINS0_14default_configENS1_20scan_config_selectorIsEEZZNS1_9scan_implILNS1_25lookback_scan_determinismE0ELb0ELb0ES3_N6thrust23THRUST_200600_302600_NS6detail15normal_iteratorINS9_10device_ptrIsEEEENS9_16discard_iteratorINS9_11use_defaultEEEsNS9_4plusIvEEsEEDaPvRmT3_T4_T5_mT6_P12ihipStream_tbENKUlT_T0_E_clISt17integral_constantIbLb0EESX_EEDaSS_ST_EUlSS_E_NS1_11comp_targetILNS1_3genE0ELNS1_11target_archE4294967295ELNS1_3gpuE0ELNS1_3repE0EEENS1_30default_config_static_selectorELNS0_4arch9wavefront6targetE1EEEvT1_,comdat
.Lfunc_end5870:
	.size	_ZN7rocprim17ROCPRIM_400000_NS6detail17trampoline_kernelINS0_14default_configENS1_20scan_config_selectorIsEEZZNS1_9scan_implILNS1_25lookback_scan_determinismE0ELb0ELb0ES3_N6thrust23THRUST_200600_302600_NS6detail15normal_iteratorINS9_10device_ptrIsEEEENS9_16discard_iteratorINS9_11use_defaultEEEsNS9_4plusIvEEsEEDaPvRmT3_T4_T5_mT6_P12ihipStream_tbENKUlT_T0_E_clISt17integral_constantIbLb0EESX_EEDaSS_ST_EUlSS_E_NS1_11comp_targetILNS1_3genE0ELNS1_11target_archE4294967295ELNS1_3gpuE0ELNS1_3repE0EEENS1_30default_config_static_selectorELNS0_4arch9wavefront6targetE1EEEvT1_, .Lfunc_end5870-_ZN7rocprim17ROCPRIM_400000_NS6detail17trampoline_kernelINS0_14default_configENS1_20scan_config_selectorIsEEZZNS1_9scan_implILNS1_25lookback_scan_determinismE0ELb0ELb0ES3_N6thrust23THRUST_200600_302600_NS6detail15normal_iteratorINS9_10device_ptrIsEEEENS9_16discard_iteratorINS9_11use_defaultEEEsNS9_4plusIvEEsEEDaPvRmT3_T4_T5_mT6_P12ihipStream_tbENKUlT_T0_E_clISt17integral_constantIbLb0EESX_EEDaSS_ST_EUlSS_E_NS1_11comp_targetILNS1_3genE0ELNS1_11target_archE4294967295ELNS1_3gpuE0ELNS1_3repE0EEENS1_30default_config_static_selectorELNS0_4arch9wavefront6targetE1EEEvT1_
                                        ; -- End function
	.section	.AMDGPU.csdata,"",@progbits
; Kernel info:
; codeLenInByte = 0
; NumSgprs: 4
; NumVgprs: 0
; NumAgprs: 0
; TotalNumVgprs: 0
; ScratchSize: 0
; MemoryBound: 0
; FloatMode: 240
; IeeeMode: 1
; LDSByteSize: 0 bytes/workgroup (compile time only)
; SGPRBlocks: 0
; VGPRBlocks: 0
; NumSGPRsForWavesPerEU: 4
; NumVGPRsForWavesPerEU: 1
; AccumOffset: 4
; Occupancy: 8
; WaveLimiterHint : 0
; COMPUTE_PGM_RSRC2:SCRATCH_EN: 0
; COMPUTE_PGM_RSRC2:USER_SGPR: 6
; COMPUTE_PGM_RSRC2:TRAP_HANDLER: 0
; COMPUTE_PGM_RSRC2:TGID_X_EN: 1
; COMPUTE_PGM_RSRC2:TGID_Y_EN: 0
; COMPUTE_PGM_RSRC2:TGID_Z_EN: 0
; COMPUTE_PGM_RSRC2:TIDIG_COMP_CNT: 0
; COMPUTE_PGM_RSRC3_GFX90A:ACCUM_OFFSET: 0
; COMPUTE_PGM_RSRC3_GFX90A:TG_SPLIT: 0
	.section	.text._ZN7rocprim17ROCPRIM_400000_NS6detail17trampoline_kernelINS0_14default_configENS1_20scan_config_selectorIsEEZZNS1_9scan_implILNS1_25lookback_scan_determinismE0ELb0ELb0ES3_N6thrust23THRUST_200600_302600_NS6detail15normal_iteratorINS9_10device_ptrIsEEEENS9_16discard_iteratorINS9_11use_defaultEEEsNS9_4plusIvEEsEEDaPvRmT3_T4_T5_mT6_P12ihipStream_tbENKUlT_T0_E_clISt17integral_constantIbLb0EESX_EEDaSS_ST_EUlSS_E_NS1_11comp_targetILNS1_3genE5ELNS1_11target_archE942ELNS1_3gpuE9ELNS1_3repE0EEENS1_30default_config_static_selectorELNS0_4arch9wavefront6targetE1EEEvT1_,"axG",@progbits,_ZN7rocprim17ROCPRIM_400000_NS6detail17trampoline_kernelINS0_14default_configENS1_20scan_config_selectorIsEEZZNS1_9scan_implILNS1_25lookback_scan_determinismE0ELb0ELb0ES3_N6thrust23THRUST_200600_302600_NS6detail15normal_iteratorINS9_10device_ptrIsEEEENS9_16discard_iteratorINS9_11use_defaultEEEsNS9_4plusIvEEsEEDaPvRmT3_T4_T5_mT6_P12ihipStream_tbENKUlT_T0_E_clISt17integral_constantIbLb0EESX_EEDaSS_ST_EUlSS_E_NS1_11comp_targetILNS1_3genE5ELNS1_11target_archE942ELNS1_3gpuE9ELNS1_3repE0EEENS1_30default_config_static_selectorELNS0_4arch9wavefront6targetE1EEEvT1_,comdat
	.protected	_ZN7rocprim17ROCPRIM_400000_NS6detail17trampoline_kernelINS0_14default_configENS1_20scan_config_selectorIsEEZZNS1_9scan_implILNS1_25lookback_scan_determinismE0ELb0ELb0ES3_N6thrust23THRUST_200600_302600_NS6detail15normal_iteratorINS9_10device_ptrIsEEEENS9_16discard_iteratorINS9_11use_defaultEEEsNS9_4plusIvEEsEEDaPvRmT3_T4_T5_mT6_P12ihipStream_tbENKUlT_T0_E_clISt17integral_constantIbLb0EESX_EEDaSS_ST_EUlSS_E_NS1_11comp_targetILNS1_3genE5ELNS1_11target_archE942ELNS1_3gpuE9ELNS1_3repE0EEENS1_30default_config_static_selectorELNS0_4arch9wavefront6targetE1EEEvT1_ ; -- Begin function _ZN7rocprim17ROCPRIM_400000_NS6detail17trampoline_kernelINS0_14default_configENS1_20scan_config_selectorIsEEZZNS1_9scan_implILNS1_25lookback_scan_determinismE0ELb0ELb0ES3_N6thrust23THRUST_200600_302600_NS6detail15normal_iteratorINS9_10device_ptrIsEEEENS9_16discard_iteratorINS9_11use_defaultEEEsNS9_4plusIvEEsEEDaPvRmT3_T4_T5_mT6_P12ihipStream_tbENKUlT_T0_E_clISt17integral_constantIbLb0EESX_EEDaSS_ST_EUlSS_E_NS1_11comp_targetILNS1_3genE5ELNS1_11target_archE942ELNS1_3gpuE9ELNS1_3repE0EEENS1_30default_config_static_selectorELNS0_4arch9wavefront6targetE1EEEvT1_
	.globl	_ZN7rocprim17ROCPRIM_400000_NS6detail17trampoline_kernelINS0_14default_configENS1_20scan_config_selectorIsEEZZNS1_9scan_implILNS1_25lookback_scan_determinismE0ELb0ELb0ES3_N6thrust23THRUST_200600_302600_NS6detail15normal_iteratorINS9_10device_ptrIsEEEENS9_16discard_iteratorINS9_11use_defaultEEEsNS9_4plusIvEEsEEDaPvRmT3_T4_T5_mT6_P12ihipStream_tbENKUlT_T0_E_clISt17integral_constantIbLb0EESX_EEDaSS_ST_EUlSS_E_NS1_11comp_targetILNS1_3genE5ELNS1_11target_archE942ELNS1_3gpuE9ELNS1_3repE0EEENS1_30default_config_static_selectorELNS0_4arch9wavefront6targetE1EEEvT1_
	.p2align	8
	.type	_ZN7rocprim17ROCPRIM_400000_NS6detail17trampoline_kernelINS0_14default_configENS1_20scan_config_selectorIsEEZZNS1_9scan_implILNS1_25lookback_scan_determinismE0ELb0ELb0ES3_N6thrust23THRUST_200600_302600_NS6detail15normal_iteratorINS9_10device_ptrIsEEEENS9_16discard_iteratorINS9_11use_defaultEEEsNS9_4plusIvEEsEEDaPvRmT3_T4_T5_mT6_P12ihipStream_tbENKUlT_T0_E_clISt17integral_constantIbLb0EESX_EEDaSS_ST_EUlSS_E_NS1_11comp_targetILNS1_3genE5ELNS1_11target_archE942ELNS1_3gpuE9ELNS1_3repE0EEENS1_30default_config_static_selectorELNS0_4arch9wavefront6targetE1EEEvT1_,@function
_ZN7rocprim17ROCPRIM_400000_NS6detail17trampoline_kernelINS0_14default_configENS1_20scan_config_selectorIsEEZZNS1_9scan_implILNS1_25lookback_scan_determinismE0ELb0ELb0ES3_N6thrust23THRUST_200600_302600_NS6detail15normal_iteratorINS9_10device_ptrIsEEEENS9_16discard_iteratorINS9_11use_defaultEEEsNS9_4plusIvEEsEEDaPvRmT3_T4_T5_mT6_P12ihipStream_tbENKUlT_T0_E_clISt17integral_constantIbLb0EESX_EEDaSS_ST_EUlSS_E_NS1_11comp_targetILNS1_3genE5ELNS1_11target_archE942ELNS1_3gpuE9ELNS1_3repE0EEENS1_30default_config_static_selectorELNS0_4arch9wavefront6targetE1EEEvT1_: ; @_ZN7rocprim17ROCPRIM_400000_NS6detail17trampoline_kernelINS0_14default_configENS1_20scan_config_selectorIsEEZZNS1_9scan_implILNS1_25lookback_scan_determinismE0ELb0ELb0ES3_N6thrust23THRUST_200600_302600_NS6detail15normal_iteratorINS9_10device_ptrIsEEEENS9_16discard_iteratorINS9_11use_defaultEEEsNS9_4plusIvEEsEEDaPvRmT3_T4_T5_mT6_P12ihipStream_tbENKUlT_T0_E_clISt17integral_constantIbLb0EESX_EEDaSS_ST_EUlSS_E_NS1_11comp_targetILNS1_3genE5ELNS1_11target_archE942ELNS1_3gpuE9ELNS1_3repE0EEENS1_30default_config_static_selectorELNS0_4arch9wavefront6targetE1EEEvT1_
; %bb.0:
	.section	.rodata,"a",@progbits
	.p2align	6, 0x0
	.amdhsa_kernel _ZN7rocprim17ROCPRIM_400000_NS6detail17trampoline_kernelINS0_14default_configENS1_20scan_config_selectorIsEEZZNS1_9scan_implILNS1_25lookback_scan_determinismE0ELb0ELb0ES3_N6thrust23THRUST_200600_302600_NS6detail15normal_iteratorINS9_10device_ptrIsEEEENS9_16discard_iteratorINS9_11use_defaultEEEsNS9_4plusIvEEsEEDaPvRmT3_T4_T5_mT6_P12ihipStream_tbENKUlT_T0_E_clISt17integral_constantIbLb0EESX_EEDaSS_ST_EUlSS_E_NS1_11comp_targetILNS1_3genE5ELNS1_11target_archE942ELNS1_3gpuE9ELNS1_3repE0EEENS1_30default_config_static_selectorELNS0_4arch9wavefront6targetE1EEEvT1_
		.amdhsa_group_segment_fixed_size 0
		.amdhsa_private_segment_fixed_size 0
		.amdhsa_kernarg_size 104
		.amdhsa_user_sgpr_count 6
		.amdhsa_user_sgpr_private_segment_buffer 1
		.amdhsa_user_sgpr_dispatch_ptr 0
		.amdhsa_user_sgpr_queue_ptr 0
		.amdhsa_user_sgpr_kernarg_segment_ptr 1
		.amdhsa_user_sgpr_dispatch_id 0
		.amdhsa_user_sgpr_flat_scratch_init 0
		.amdhsa_user_sgpr_kernarg_preload_length 0
		.amdhsa_user_sgpr_kernarg_preload_offset 0
		.amdhsa_user_sgpr_private_segment_size 0
		.amdhsa_uses_dynamic_stack 0
		.amdhsa_system_sgpr_private_segment_wavefront_offset 0
		.amdhsa_system_sgpr_workgroup_id_x 1
		.amdhsa_system_sgpr_workgroup_id_y 0
		.amdhsa_system_sgpr_workgroup_id_z 0
		.amdhsa_system_sgpr_workgroup_info 0
		.amdhsa_system_vgpr_workitem_id 0
		.amdhsa_next_free_vgpr 1
		.amdhsa_next_free_sgpr 0
		.amdhsa_accum_offset 4
		.amdhsa_reserve_vcc 0
		.amdhsa_reserve_flat_scratch 0
		.amdhsa_float_round_mode_32 0
		.amdhsa_float_round_mode_16_64 0
		.amdhsa_float_denorm_mode_32 3
		.amdhsa_float_denorm_mode_16_64 3
		.amdhsa_dx10_clamp 1
		.amdhsa_ieee_mode 1
		.amdhsa_fp16_overflow 0
		.amdhsa_tg_split 0
		.amdhsa_exception_fp_ieee_invalid_op 0
		.amdhsa_exception_fp_denorm_src 0
		.amdhsa_exception_fp_ieee_div_zero 0
		.amdhsa_exception_fp_ieee_overflow 0
		.amdhsa_exception_fp_ieee_underflow 0
		.amdhsa_exception_fp_ieee_inexact 0
		.amdhsa_exception_int_div_zero 0
	.end_amdhsa_kernel
	.section	.text._ZN7rocprim17ROCPRIM_400000_NS6detail17trampoline_kernelINS0_14default_configENS1_20scan_config_selectorIsEEZZNS1_9scan_implILNS1_25lookback_scan_determinismE0ELb0ELb0ES3_N6thrust23THRUST_200600_302600_NS6detail15normal_iteratorINS9_10device_ptrIsEEEENS9_16discard_iteratorINS9_11use_defaultEEEsNS9_4plusIvEEsEEDaPvRmT3_T4_T5_mT6_P12ihipStream_tbENKUlT_T0_E_clISt17integral_constantIbLb0EESX_EEDaSS_ST_EUlSS_E_NS1_11comp_targetILNS1_3genE5ELNS1_11target_archE942ELNS1_3gpuE9ELNS1_3repE0EEENS1_30default_config_static_selectorELNS0_4arch9wavefront6targetE1EEEvT1_,"axG",@progbits,_ZN7rocprim17ROCPRIM_400000_NS6detail17trampoline_kernelINS0_14default_configENS1_20scan_config_selectorIsEEZZNS1_9scan_implILNS1_25lookback_scan_determinismE0ELb0ELb0ES3_N6thrust23THRUST_200600_302600_NS6detail15normal_iteratorINS9_10device_ptrIsEEEENS9_16discard_iteratorINS9_11use_defaultEEEsNS9_4plusIvEEsEEDaPvRmT3_T4_T5_mT6_P12ihipStream_tbENKUlT_T0_E_clISt17integral_constantIbLb0EESX_EEDaSS_ST_EUlSS_E_NS1_11comp_targetILNS1_3genE5ELNS1_11target_archE942ELNS1_3gpuE9ELNS1_3repE0EEENS1_30default_config_static_selectorELNS0_4arch9wavefront6targetE1EEEvT1_,comdat
.Lfunc_end5871:
	.size	_ZN7rocprim17ROCPRIM_400000_NS6detail17trampoline_kernelINS0_14default_configENS1_20scan_config_selectorIsEEZZNS1_9scan_implILNS1_25lookback_scan_determinismE0ELb0ELb0ES3_N6thrust23THRUST_200600_302600_NS6detail15normal_iteratorINS9_10device_ptrIsEEEENS9_16discard_iteratorINS9_11use_defaultEEEsNS9_4plusIvEEsEEDaPvRmT3_T4_T5_mT6_P12ihipStream_tbENKUlT_T0_E_clISt17integral_constantIbLb0EESX_EEDaSS_ST_EUlSS_E_NS1_11comp_targetILNS1_3genE5ELNS1_11target_archE942ELNS1_3gpuE9ELNS1_3repE0EEENS1_30default_config_static_selectorELNS0_4arch9wavefront6targetE1EEEvT1_, .Lfunc_end5871-_ZN7rocprim17ROCPRIM_400000_NS6detail17trampoline_kernelINS0_14default_configENS1_20scan_config_selectorIsEEZZNS1_9scan_implILNS1_25lookback_scan_determinismE0ELb0ELb0ES3_N6thrust23THRUST_200600_302600_NS6detail15normal_iteratorINS9_10device_ptrIsEEEENS9_16discard_iteratorINS9_11use_defaultEEEsNS9_4plusIvEEsEEDaPvRmT3_T4_T5_mT6_P12ihipStream_tbENKUlT_T0_E_clISt17integral_constantIbLb0EESX_EEDaSS_ST_EUlSS_E_NS1_11comp_targetILNS1_3genE5ELNS1_11target_archE942ELNS1_3gpuE9ELNS1_3repE0EEENS1_30default_config_static_selectorELNS0_4arch9wavefront6targetE1EEEvT1_
                                        ; -- End function
	.section	.AMDGPU.csdata,"",@progbits
; Kernel info:
; codeLenInByte = 0
; NumSgprs: 4
; NumVgprs: 0
; NumAgprs: 0
; TotalNumVgprs: 0
; ScratchSize: 0
; MemoryBound: 0
; FloatMode: 240
; IeeeMode: 1
; LDSByteSize: 0 bytes/workgroup (compile time only)
; SGPRBlocks: 0
; VGPRBlocks: 0
; NumSGPRsForWavesPerEU: 4
; NumVGPRsForWavesPerEU: 1
; AccumOffset: 4
; Occupancy: 8
; WaveLimiterHint : 0
; COMPUTE_PGM_RSRC2:SCRATCH_EN: 0
; COMPUTE_PGM_RSRC2:USER_SGPR: 6
; COMPUTE_PGM_RSRC2:TRAP_HANDLER: 0
; COMPUTE_PGM_RSRC2:TGID_X_EN: 1
; COMPUTE_PGM_RSRC2:TGID_Y_EN: 0
; COMPUTE_PGM_RSRC2:TGID_Z_EN: 0
; COMPUTE_PGM_RSRC2:TIDIG_COMP_CNT: 0
; COMPUTE_PGM_RSRC3_GFX90A:ACCUM_OFFSET: 0
; COMPUTE_PGM_RSRC3_GFX90A:TG_SPLIT: 0
	.section	.text._ZN7rocprim17ROCPRIM_400000_NS6detail17trampoline_kernelINS0_14default_configENS1_20scan_config_selectorIsEEZZNS1_9scan_implILNS1_25lookback_scan_determinismE0ELb0ELb0ES3_N6thrust23THRUST_200600_302600_NS6detail15normal_iteratorINS9_10device_ptrIsEEEENS9_16discard_iteratorINS9_11use_defaultEEEsNS9_4plusIvEEsEEDaPvRmT3_T4_T5_mT6_P12ihipStream_tbENKUlT_T0_E_clISt17integral_constantIbLb0EESX_EEDaSS_ST_EUlSS_E_NS1_11comp_targetILNS1_3genE4ELNS1_11target_archE910ELNS1_3gpuE8ELNS1_3repE0EEENS1_30default_config_static_selectorELNS0_4arch9wavefront6targetE1EEEvT1_,"axG",@progbits,_ZN7rocprim17ROCPRIM_400000_NS6detail17trampoline_kernelINS0_14default_configENS1_20scan_config_selectorIsEEZZNS1_9scan_implILNS1_25lookback_scan_determinismE0ELb0ELb0ES3_N6thrust23THRUST_200600_302600_NS6detail15normal_iteratorINS9_10device_ptrIsEEEENS9_16discard_iteratorINS9_11use_defaultEEEsNS9_4plusIvEEsEEDaPvRmT3_T4_T5_mT6_P12ihipStream_tbENKUlT_T0_E_clISt17integral_constantIbLb0EESX_EEDaSS_ST_EUlSS_E_NS1_11comp_targetILNS1_3genE4ELNS1_11target_archE910ELNS1_3gpuE8ELNS1_3repE0EEENS1_30default_config_static_selectorELNS0_4arch9wavefront6targetE1EEEvT1_,comdat
	.protected	_ZN7rocprim17ROCPRIM_400000_NS6detail17trampoline_kernelINS0_14default_configENS1_20scan_config_selectorIsEEZZNS1_9scan_implILNS1_25lookback_scan_determinismE0ELb0ELb0ES3_N6thrust23THRUST_200600_302600_NS6detail15normal_iteratorINS9_10device_ptrIsEEEENS9_16discard_iteratorINS9_11use_defaultEEEsNS9_4plusIvEEsEEDaPvRmT3_T4_T5_mT6_P12ihipStream_tbENKUlT_T0_E_clISt17integral_constantIbLb0EESX_EEDaSS_ST_EUlSS_E_NS1_11comp_targetILNS1_3genE4ELNS1_11target_archE910ELNS1_3gpuE8ELNS1_3repE0EEENS1_30default_config_static_selectorELNS0_4arch9wavefront6targetE1EEEvT1_ ; -- Begin function _ZN7rocprim17ROCPRIM_400000_NS6detail17trampoline_kernelINS0_14default_configENS1_20scan_config_selectorIsEEZZNS1_9scan_implILNS1_25lookback_scan_determinismE0ELb0ELb0ES3_N6thrust23THRUST_200600_302600_NS6detail15normal_iteratorINS9_10device_ptrIsEEEENS9_16discard_iteratorINS9_11use_defaultEEEsNS9_4plusIvEEsEEDaPvRmT3_T4_T5_mT6_P12ihipStream_tbENKUlT_T0_E_clISt17integral_constantIbLb0EESX_EEDaSS_ST_EUlSS_E_NS1_11comp_targetILNS1_3genE4ELNS1_11target_archE910ELNS1_3gpuE8ELNS1_3repE0EEENS1_30default_config_static_selectorELNS0_4arch9wavefront6targetE1EEEvT1_
	.globl	_ZN7rocprim17ROCPRIM_400000_NS6detail17trampoline_kernelINS0_14default_configENS1_20scan_config_selectorIsEEZZNS1_9scan_implILNS1_25lookback_scan_determinismE0ELb0ELb0ES3_N6thrust23THRUST_200600_302600_NS6detail15normal_iteratorINS9_10device_ptrIsEEEENS9_16discard_iteratorINS9_11use_defaultEEEsNS9_4plusIvEEsEEDaPvRmT3_T4_T5_mT6_P12ihipStream_tbENKUlT_T0_E_clISt17integral_constantIbLb0EESX_EEDaSS_ST_EUlSS_E_NS1_11comp_targetILNS1_3genE4ELNS1_11target_archE910ELNS1_3gpuE8ELNS1_3repE0EEENS1_30default_config_static_selectorELNS0_4arch9wavefront6targetE1EEEvT1_
	.p2align	8
	.type	_ZN7rocprim17ROCPRIM_400000_NS6detail17trampoline_kernelINS0_14default_configENS1_20scan_config_selectorIsEEZZNS1_9scan_implILNS1_25lookback_scan_determinismE0ELb0ELb0ES3_N6thrust23THRUST_200600_302600_NS6detail15normal_iteratorINS9_10device_ptrIsEEEENS9_16discard_iteratorINS9_11use_defaultEEEsNS9_4plusIvEEsEEDaPvRmT3_T4_T5_mT6_P12ihipStream_tbENKUlT_T0_E_clISt17integral_constantIbLb0EESX_EEDaSS_ST_EUlSS_E_NS1_11comp_targetILNS1_3genE4ELNS1_11target_archE910ELNS1_3gpuE8ELNS1_3repE0EEENS1_30default_config_static_selectorELNS0_4arch9wavefront6targetE1EEEvT1_,@function
_ZN7rocprim17ROCPRIM_400000_NS6detail17trampoline_kernelINS0_14default_configENS1_20scan_config_selectorIsEEZZNS1_9scan_implILNS1_25lookback_scan_determinismE0ELb0ELb0ES3_N6thrust23THRUST_200600_302600_NS6detail15normal_iteratorINS9_10device_ptrIsEEEENS9_16discard_iteratorINS9_11use_defaultEEEsNS9_4plusIvEEsEEDaPvRmT3_T4_T5_mT6_P12ihipStream_tbENKUlT_T0_E_clISt17integral_constantIbLb0EESX_EEDaSS_ST_EUlSS_E_NS1_11comp_targetILNS1_3genE4ELNS1_11target_archE910ELNS1_3gpuE8ELNS1_3repE0EEENS1_30default_config_static_selectorELNS0_4arch9wavefront6targetE1EEEvT1_: ; @_ZN7rocprim17ROCPRIM_400000_NS6detail17trampoline_kernelINS0_14default_configENS1_20scan_config_selectorIsEEZZNS1_9scan_implILNS1_25lookback_scan_determinismE0ELb0ELb0ES3_N6thrust23THRUST_200600_302600_NS6detail15normal_iteratorINS9_10device_ptrIsEEEENS9_16discard_iteratorINS9_11use_defaultEEEsNS9_4plusIvEEsEEDaPvRmT3_T4_T5_mT6_P12ihipStream_tbENKUlT_T0_E_clISt17integral_constantIbLb0EESX_EEDaSS_ST_EUlSS_E_NS1_11comp_targetILNS1_3genE4ELNS1_11target_archE910ELNS1_3gpuE8ELNS1_3repE0EEENS1_30default_config_static_selectorELNS0_4arch9wavefront6targetE1EEEvT1_
; %bb.0:
	s_load_dwordx4 s[0:3], s[4:5], 0x0
	s_load_dwordx2 s[8:9], s[4:5], 0x20
	s_load_dword s7, s[4:5], 0x38
	s_waitcnt lgkmcnt(0)
	s_lshl_b64 s[2:3], s[2:3], 1
	s_add_u32 s2, s0, s2
	s_addc_u32 s3, s1, s3
	s_add_i32 s7, s7, -1
	s_mul_i32 s10, s7, 0x600
	s_sub_u32 s16, s8, s10
	s_subb_u32 s17, s9, 0
	s_mul_i32 s0, s6, 0x600
	s_mov_b32 s1, 0
	s_cmp_lg_u32 s6, s7
	s_cselect_b64 s[12:13], -1, 0
	s_lshl_b64 s[0:1], s[0:1], 1
	s_add_u32 s0, s2, s0
	s_addc_u32 s1, s3, s1
	s_mov_b64 s[2:3], -1
	s_and_b64 vcc, exec, s[12:13]
	s_cbranch_vccz .LBB5872_2
; %bb.1:
	v_lshlrev_b32_e32 v1, 1, v0
	v_mov_b32_e32 v3, s1
	v_add_co_u32_e32 v2, vcc, s0, v1
	v_addc_co_u32_e32 v3, vcc, 0, v3, vcc
	flat_load_ushort v4, v[2:3]
	flat_load_ushort v5, v[2:3] offset:128
	flat_load_ushort v6, v[2:3] offset:256
	;; [unrolled: 1-line block ×23, first 2 shown]
	s_mov_b64 s[2:3], 0
	s_waitcnt vmcnt(0) lgkmcnt(0)
	ds_write_b16 v1, v4
	ds_write_b16 v1, v5 offset:128
	ds_write_b16 v1, v6 offset:256
	;; [unrolled: 1-line block ×23, first 2 shown]
	s_waitcnt lgkmcnt(0)
	; wave barrier
.LBB5872_2:
	s_load_dwordx2 s[14:15], s[4:5], 0x30
	s_andn2_b64 vcc, exec, s[2:3]
	s_cbranch_vccnz .LBB5872_52
; %bb.3:
	v_pk_mov_b32 v[2:3], s[0:1], s[0:1] op_sel:[0,1]
	flat_load_ushort v1, v[2:3]
	v_cmp_gt_u32_e32 vcc, s16, v0
	s_waitcnt vmcnt(0) lgkmcnt(0)
	v_mov_b32_e32 v2, v1
	s_and_saveexec_b64 s[2:3], vcc
	s_cbranch_execz .LBB5872_5
; %bb.4:
	v_lshlrev_b32_e32 v2, 1, v0
	v_mov_b32_e32 v3, s1
	v_add_co_u32_e32 v2, vcc, s0, v2
	v_addc_co_u32_e32 v3, vcc, 0, v3, vcc
	flat_load_ushort v2, v[2:3]
.LBB5872_5:
	s_or_b64 exec, exec, s[2:3]
	v_or_b32_e32 v3, 64, v0
	v_cmp_gt_u32_e32 vcc, s16, v3
	v_mov_b32_e32 v3, v1
	s_and_saveexec_b64 s[2:3], vcc
	s_cbranch_execz .LBB5872_7
; %bb.6:
	v_lshlrev_b32_e32 v3, 1, v0
	v_mov_b32_e32 v5, s1
	v_add_co_u32_e32 v4, vcc, s0, v3
	v_addc_co_u32_e32 v5, vcc, 0, v5, vcc
	flat_load_ushort v3, v[4:5] offset:128
.LBB5872_7:
	s_or_b64 exec, exec, s[2:3]
	v_or_b32_e32 v4, 0x80, v0
	v_cmp_gt_u32_e32 vcc, s16, v4
	v_mov_b32_e32 v4, v1
	s_and_saveexec_b64 s[2:3], vcc
	s_cbranch_execz .LBB5872_9
; %bb.8:
	v_lshlrev_b32_e32 v4, 1, v0
	v_mov_b32_e32 v5, s1
	v_add_co_u32_e32 v4, vcc, s0, v4
	v_addc_co_u32_e32 v5, vcc, 0, v5, vcc
	flat_load_ushort v4, v[4:5] offset:256
.LBB5872_9:
	;; [unrolled: 13-line block ×22, first 2 shown]
	s_or_b64 exec, exec, s[2:3]
	v_or_b32_e32 v25, 0x5c0, v0
	v_cmp_gt_u32_e32 vcc, s16, v25
	s_and_saveexec_b64 s[2:3], vcc
	s_cbranch_execz .LBB5872_51
; %bb.50:
	v_lshlrev_b32_e32 v1, 1, v0
	v_mov_b32_e32 v25, s1
	v_add_co_u32_e32 v26, vcc, s0, v1
	v_addc_co_u32_e32 v27, vcc, 0, v25, vcc
	flat_load_ushort v1, v[26:27] offset:2944
.LBB5872_51:
	s_or_b64 exec, exec, s[2:3]
	v_lshlrev_b32_e32 v25, 1, v0
	s_waitcnt vmcnt(0) lgkmcnt(0)
	ds_write_b16 v25, v2
	ds_write_b16 v25, v3 offset:128
	ds_write_b16 v25, v4 offset:256
	;; [unrolled: 1-line block ×23, first 2 shown]
	s_waitcnt lgkmcnt(0)
	; wave barrier
.LBB5872_52:
	v_mul_u32_u24_e32 v20, 24, v0
	v_lshlrev_b32_e32 v1, 1, v20
	s_waitcnt lgkmcnt(0)
	ds_read_b128 v[10:13], v1
	ds_read_b128 v[6:9], v1 offset:16
	ds_read_b128 v[2:5], v1 offset:32
	s_cmp_lg_u32 s6, 0
	v_mbcnt_lo_u32_b32 v21, -1, 0
	v_cmp_eq_u32_e32 vcc, 63, v0
	s_waitcnt lgkmcnt(0)
	; wave barrier
	s_waitcnt lgkmcnt(0)
	s_cbranch_scc0 .LBB5872_75
; %bb.53:
	v_add_u16_sdwa v14, v10, v10 dst_sel:DWORD dst_unused:UNUSED_PAD src0_sel:WORD_1 src1_sel:DWORD
	v_add_u16_e32 v14, v14, v11
	v_add_u16_sdwa v14, v14, v11 dst_sel:DWORD dst_unused:UNUSED_PAD src0_sel:DWORD src1_sel:WORD_1
	v_add_u16_e32 v14, v14, v12
	v_add_u16_sdwa v14, v14, v12 dst_sel:DWORD dst_unused:UNUSED_PAD src0_sel:DWORD src1_sel:WORD_1
	;; [unrolled: 2-line block ×10, first 2 shown]
	v_add_u16_e32 v14, v14, v5
	v_mbcnt_hi_u32_b32 v15, -1, v21
	v_add_u16_sdwa v14, v14, v5 dst_sel:DWORD dst_unused:UNUSED_PAD src0_sel:DWORD src1_sel:WORD_1
	v_and_b32_e32 v16, 15, v15
	v_cmp_ne_u32_e64 s[0:1], 0, v16
	v_mov_b32_dpp v17, v14 row_shr:1 row_mask:0xf bank_mask:0xf
	v_cndmask_b32_e64 v17, 0, v17, s[0:1]
	v_add_u16_e32 v14, v17, v14
	v_cmp_lt_u32_e64 s[0:1], 1, v16
	s_nop 0
	v_mov_b32_dpp v17, v14 row_shr:2 row_mask:0xf bank_mask:0xf
	v_cndmask_b32_e64 v17, 0, v17, s[0:1]
	v_add_u16_e32 v14, v14, v17
	v_cmp_lt_u32_e64 s[0:1], 3, v16
	s_nop 0
	;; [unrolled: 5-line block ×3, first 2 shown]
	v_mov_b32_dpp v17, v14 row_shr:8 row_mask:0xf bank_mask:0xf
	v_cndmask_b32_e64 v16, 0, v17, s[0:1]
	v_add_u16_e32 v14, v14, v16
	v_and_b32_e32 v17, 16, v15
	v_cmp_ne_u32_e64 s[0:1], 0, v17
	v_mov_b32_dpp v16, v14 row_bcast:15 row_mask:0xf bank_mask:0xf
	v_cndmask_b32_e64 v16, 0, v16, s[0:1]
	v_add_u16_e32 v14, v14, v16
	v_cmp_lt_u32_e64 s[0:1], 31, v15
	s_nop 0
	v_mov_b32_dpp v16, v14 row_bcast:31 row_mask:0xf bank_mask:0xf
	v_cndmask_b32_e64 v16, 0, v16, s[0:1]
	v_add_u16_e32 v14, v14, v16
	s_and_saveexec_b64 s[0:1], vcc
	s_cbranch_execz .LBB5872_55
; %bb.54:
	v_mov_b32_e32 v16, 0
	ds_write_b16 v16, v14
.LBB5872_55:
	s_or_b64 exec, exec, s[0:1]
	v_add_u32_e32 v16, -1, v15
	v_and_b32_e32 v17, 64, v15
	v_cmp_lt_i32_e32 vcc, v16, v17
	v_cndmask_b32_e32 v16, v16, v15, vcc
	v_lshlrev_b32_e32 v16, 2, v16
	ds_bpermute_b32 v22, v16, v14
	v_cmp_gt_u32_e32 vcc, 64, v0
	s_waitcnt lgkmcnt(0)
	; wave barrier
	s_waitcnt lgkmcnt(0)
	s_and_saveexec_b64 s[10:11], vcc
	s_cbranch_execz .LBB5872_74
; %bb.56:
	v_mov_b32_e32 v17, 0
	ds_read_u16 v23, v17
	s_mov_b32 s9, 0
	v_cmp_eq_u32_e64 s[0:1], 0, v15
	s_and_saveexec_b64 s[2:3], s[0:1]
	s_cbranch_execz .LBB5872_58
; %bb.57:
	s_add_i32 s8, s6, 64
	s_lshl_b64 s[8:9], s[8:9], 2
	s_add_u32 s8, s14, s8
	s_waitcnt lgkmcnt(0)
	v_or_b32_e32 v14, 0x10000, v23
	s_addc_u32 s9, s15, s9
	global_store_dword v17, v14, s[8:9]
.LBB5872_58:
	s_or_b64 exec, exec, s[2:3]
	v_xad_u32 v14, v15, -1, s6
	v_add_u32_e32 v16, 64, v14
	v_lshlrev_b64 v[18:19], 2, v[16:17]
	v_mov_b32_e32 v16, s15
	v_add_co_u32_e32 v18, vcc, s14, v18
	v_addc_co_u32_e32 v19, vcc, v16, v19, vcc
	global_load_dword v36, v[18:19], off glc
	s_waitcnt vmcnt(0)
	v_lshrrev_b32_e32 v25, 16, v36
	v_cmp_eq_u16_sdwa s[8:9], v25, v17 src0_sel:BYTE_0 src1_sel:DWORD
	s_and_saveexec_b64 s[2:3], s[8:9]
	s_cbranch_execz .LBB5872_62
; %bb.59:
	s_mov_b64 s[8:9], 0
	v_mov_b32_e32 v16, 0
.LBB5872_60:                            ; =>This Inner Loop Header: Depth=1
	global_load_dword v36, v[18:19], off glc
	s_waitcnt vmcnt(0)
	v_lshrrev_b32_e32 v25, 16, v36
	v_cmp_ne_u16_sdwa s[18:19], v25, v16 src0_sel:BYTE_0 src1_sel:DWORD
	s_or_b64 s[8:9], s[18:19], s[8:9]
	s_andn2_b64 exec, exec, s[8:9]
	s_cbranch_execnz .LBB5872_60
; %bb.61:
	s_or_b64 exec, exec, s[8:9]
.LBB5872_62:
	s_or_b64 exec, exec, s[2:3]
	v_and_b32_e32 v26, 63, v15
	v_cmp_ne_u32_e32 vcc, 63, v26
	v_mov_b32_e32 v24, 2
	v_addc_co_u32_e32 v27, vcc, 0, v15, vcc
	v_cmp_eq_u16_sdwa s[2:3], v25, v24 src0_sel:BYTE_0 src1_sel:DWORD
	v_lshlrev_b64 v[16:17], v15, -1
	v_and_b32_e32 v28, 0xffff, v36
	v_lshlrev_b32_e32 v27, 2, v27
	v_and_b32_e32 v18, s3, v17
	ds_bpermute_b32 v29, v27, v28
	v_or_b32_e32 v18, 0x80000000, v18
	v_and_b32_e32 v19, s2, v16
	v_ffbl_b32_e32 v18, v18
	v_add_u32_e32 v18, 32, v18
	v_ffbl_b32_e32 v19, v19
	v_min_u32_e32 v18, v19, v18
	s_waitcnt lgkmcnt(0)
	v_add_u16_e32 v19, v29, v36
	v_cmp_lt_u32_e32 vcc, v26, v18
	v_cmp_gt_u32_e64 s[2:3], 62, v26
	v_cndmask_b32_e32 v30, v28, v19, vcc
	v_cndmask_b32_e64 v28, 0, 1, s[2:3]
	v_lshlrev_b32_e32 v28, 1, v28
	v_add_lshl_u32 v28, v28, v15, 2
	ds_bpermute_b32 v31, v28, v30
	v_cndmask_b32_e32 v19, v36, v19, vcc
	v_add_u32_e32 v29, 2, v26
	v_cmp_gt_u32_e64 s[2:3], v29, v18
	v_cmp_gt_u32_e64 s[8:9], 60, v26
	s_waitcnt lgkmcnt(0)
	v_add_u16_e32 v31, v19, v31
	v_cndmask_b32_e64 v32, v31, v30, s[2:3]
	v_cndmask_b32_e64 v30, 0, 1, s[8:9]
	v_lshlrev_b32_e32 v30, 2, v30
	v_add_lshl_u32 v30, v30, v15, 2
	ds_bpermute_b32 v33, v30, v32
	v_cndmask_b32_e64 v19, v31, v19, s[2:3]
	v_add_u32_e32 v31, 4, v26
	v_cmp_gt_u32_e64 s[2:3], v31, v18
	v_cmp_gt_u32_e64 s[8:9], 56, v26
	s_waitcnt lgkmcnt(0)
	v_add_u16_e32 v33, v19, v33
	v_cndmask_b32_e64 v34, v33, v32, s[2:3]
	v_cndmask_b32_e64 v32, 0, 1, s[8:9]
	v_lshlrev_b32_e32 v32, 3, v32
	v_add_lshl_u32 v32, v32, v15, 2
	ds_bpermute_b32 v35, v32, v34
	v_cndmask_b32_e64 v19, v33, v19, s[2:3]
	;; [unrolled: 11-line block ×3, first 2 shown]
	v_add_u32_e32 v35, 16, v26
	v_cmp_gt_u32_e64 s[2:3], v35, v18
	v_cmp_gt_u32_e64 s[8:9], 32, v26
	s_waitcnt lgkmcnt(0)
	v_add_u16_e32 v39, v19, v38
	v_cndmask_b32_e64 v38, v39, v37, s[2:3]
	v_cndmask_b32_e64 v37, 0, 1, s[8:9]
	v_lshlrev_b32_e32 v37, 5, v37
	v_add_lshl_u32 v37, v37, v15, 2
	ds_bpermute_b32 v15, v37, v38
	v_add_u32_e32 v38, 32, v26
	v_cndmask_b32_e64 v19, v39, v19, s[2:3]
	v_cmp_le_u32_e64 s[2:3], v38, v18
	s_waitcnt lgkmcnt(0)
	v_cndmask_b32_e64 v15, 0, v15, s[2:3]
	v_add_u16_e32 v15, v19, v15
	v_cndmask_b32_e32 v18, v36, v15, vcc
	v_mov_b32_e32 v15, 0
	s_branch .LBB5872_64
.LBB5872_63:                            ;   in Loop: Header=BB5872_64 Depth=1
	s_or_b64 exec, exec, s[2:3]
	v_cmp_eq_u16_sdwa s[2:3], v25, v24 src0_sel:BYTE_0 src1_sel:DWORD
	v_and_b32_e32 v40, 0xffff, v39
	v_and_b32_e32 v18, s3, v17
	ds_bpermute_b32 v41, v27, v40
	v_or_b32_e32 v18, 0x80000000, v18
	v_and_b32_e32 v19, s2, v16
	v_ffbl_b32_e32 v18, v18
	v_add_u32_e32 v18, 32, v18
	v_ffbl_b32_e32 v19, v19
	v_min_u32_e32 v18, v19, v18
	s_waitcnt lgkmcnt(0)
	v_add_u16_e32 v19, v41, v39
	v_cmp_lt_u32_e32 vcc, v26, v18
	v_cndmask_b32_e32 v40, v40, v19, vcc
	ds_bpermute_b32 v41, v28, v40
	v_cndmask_b32_e32 v19, v39, v19, vcc
	v_cmp_gt_u32_e64 s[2:3], v29, v18
	v_subrev_u32_e32 v14, 64, v14
	s_waitcnt lgkmcnt(0)
	v_add_u16_e32 v41, v19, v41
	v_cndmask_b32_e64 v40, v41, v40, s[2:3]
	ds_bpermute_b32 v42, v30, v40
	v_cndmask_b32_e64 v19, v41, v19, s[2:3]
	v_cmp_gt_u32_e64 s[2:3], v31, v18
	s_waitcnt lgkmcnt(0)
	v_add_u16_e32 v41, v19, v42
	v_cndmask_b32_e64 v40, v41, v40, s[2:3]
	ds_bpermute_b32 v42, v32, v40
	v_cndmask_b32_e64 v19, v41, v19, s[2:3]
	v_cmp_gt_u32_e64 s[2:3], v33, v18
	;; [unrolled: 6-line block ×3, first 2 shown]
	s_waitcnt lgkmcnt(0)
	v_add_u16_e32 v41, v19, v42
	v_cndmask_b32_e64 v40, v41, v40, s[2:3]
	ds_bpermute_b32 v40, v37, v40
	v_cndmask_b32_e64 v19, v41, v19, s[2:3]
	v_cmp_le_u32_e64 s[2:3], v38, v18
	s_waitcnt lgkmcnt(0)
	v_cndmask_b32_e64 v18, 0, v40, s[2:3]
	v_add_u16_e32 v18, v19, v18
	v_cndmask_b32_e32 v18, v39, v18, vcc
	v_add_u16_e32 v18, v18, v36
.LBB5872_64:                            ; =>This Loop Header: Depth=1
                                        ;     Child Loop BB5872_67 Depth 2
	v_cmp_ne_u16_sdwa s[2:3], v25, v24 src0_sel:BYTE_0 src1_sel:DWORD
	v_cndmask_b32_e64 v19, 0, 1, s[2:3]
	;;#ASMSTART
	;;#ASMEND
	v_cmp_ne_u32_e32 vcc, 0, v19
	s_cmp_lg_u64 vcc, exec
	v_mov_b32_e32 v36, v18
	s_cbranch_scc1 .LBB5872_69
; %bb.65:                               ;   in Loop: Header=BB5872_64 Depth=1
	v_lshlrev_b64 v[18:19], 2, v[14:15]
	v_mov_b32_e32 v25, s15
	v_add_co_u32_e32 v18, vcc, s14, v18
	v_addc_co_u32_e32 v19, vcc, v25, v19, vcc
	global_load_dword v39, v[18:19], off glc
	s_waitcnt vmcnt(0)
	v_lshrrev_b32_e32 v25, 16, v39
	v_cmp_eq_u16_sdwa s[8:9], v25, v15 src0_sel:BYTE_0 src1_sel:DWORD
	s_and_saveexec_b64 s[2:3], s[8:9]
	s_cbranch_execz .LBB5872_63
; %bb.66:                               ;   in Loop: Header=BB5872_64 Depth=1
	s_mov_b64 s[8:9], 0
.LBB5872_67:                            ;   Parent Loop BB5872_64 Depth=1
                                        ; =>  This Inner Loop Header: Depth=2
	global_load_dword v39, v[18:19], off glc
	s_waitcnt vmcnt(0)
	v_lshrrev_b32_e32 v25, 16, v39
	v_cmp_ne_u16_sdwa s[18:19], v25, v15 src0_sel:BYTE_0 src1_sel:DWORD
	s_or_b64 s[8:9], s[18:19], s[8:9]
	s_andn2_b64 exec, exec, s[8:9]
	s_cbranch_execnz .LBB5872_67
; %bb.68:                               ;   in Loop: Header=BB5872_64 Depth=1
	s_or_b64 exec, exec, s[8:9]
	s_branch .LBB5872_63
.LBB5872_69:                            ;   in Loop: Header=BB5872_64 Depth=1
                                        ; implicit-def: $vgpr18
                                        ; implicit-def: $vgpr25
	s_cbranch_execz .LBB5872_64
; %bb.70:
	s_and_saveexec_b64 s[2:3], s[0:1]
	s_cbranch_execz .LBB5872_72
; %bb.71:
	s_add_i32 s0, s6, 64
	s_mov_b32 s1, 0
	s_lshl_b64 s[0:1], s[0:1], 2
	v_add_u16_e32 v14, v36, v23
	s_add_u32 s0, s14, s0
	v_or_b32_e32 v14, 0x20000, v14
	s_addc_u32 s1, s15, s1
	v_mov_b32_e32 v15, 0
	global_store_dword v15, v14, s[0:1]
.LBB5872_72:
	s_or_b64 exec, exec, s[2:3]
	v_cmp_eq_u32_e32 vcc, 0, v0
	s_and_b64 exec, exec, vcc
	s_cbranch_execz .LBB5872_74
; %bb.73:
	v_mov_b32_e32 v14, 0
	ds_write_b16 v14, v36
.LBB5872_74:
	s_or_b64 exec, exec, s[10:11]
	v_mov_b32_e32 v14, 0
	s_waitcnt lgkmcnt(0)
	; wave barrier
	s_waitcnt lgkmcnt(0)
	ds_read_u16 v14, v14
	v_cmp_ne_u32_e32 vcc, 0, v0
	v_cndmask_b32_e32 v15, 0, v22, vcc
	v_add_u16_e32 v15, v15, v10
	s_waitcnt lgkmcnt(0)
	v_add_u16_e32 v14, v15, v14
	v_add_u16_sdwa v15, v14, v10 dst_sel:DWORD dst_unused:UNUSED_PAD src0_sel:DWORD src1_sel:WORD_1
	v_add_u16_e32 v16, v15, v11
	v_add_u16_sdwa v17, v16, v11 dst_sel:DWORD dst_unused:UNUSED_PAD src0_sel:DWORD src1_sel:WORD_1
	;; [unrolled: 2-line block ×12, first 2 shown]
	s_load_dwordx8 s[4:11], s[4:5], 0x40
	s_branch .LBB5872_85
.LBB5872_75:
                                        ; implicit-def: $vgpr14
                                        ; implicit-def: $vgpr15
                                        ; implicit-def: $vgpr16
                                        ; implicit-def: $vgpr17
                                        ; implicit-def: $vgpr18
                                        ; implicit-def: $vgpr19
                                        ; implicit-def: $vgpr23
                                        ; implicit-def: $vgpr25
                                        ; implicit-def: $vgpr22
                                        ; implicit-def: $vgpr24
                                        ; implicit-def: $vgpr26
                                        ; implicit-def: $vgpr27
                                        ; implicit-def: $vgpr28
                                        ; implicit-def: $vgpr29
                                        ; implicit-def: $vgpr31
                                        ; implicit-def: $vgpr33
                                        ; implicit-def: $vgpr30
                                        ; implicit-def: $vgpr32
                                        ; implicit-def: $vgpr34
                                        ; implicit-def: $vgpr35
                                        ; implicit-def: $vgpr36
                                        ; implicit-def: $vgpr37
                                        ; implicit-def: $vgpr38
                                        ; implicit-def: $vgpr39
	s_load_dwordx8 s[4:11], s[4:5], 0x40
	s_cbranch_execz .LBB5872_85
; %bb.76:
	s_waitcnt lgkmcnt(0)
	s_cmp_lg_u64 s[8:9], 0
	s_cselect_b64 s[2:3], -1, 0
	v_cmp_eq_u32_e32 vcc, 0, v0
	v_cmp_ne_u32_e64 s[0:1], 0, v0
	s_and_b64 s[8:9], vcc, s[2:3]
	v_mov_b32_e32 v14, v10
	s_and_saveexec_b64 s[2:3], s[8:9]
	s_cbranch_execz .LBB5872_78
; %bb.77:
	v_mov_b32_e32 v14, 0
	global_load_ushort v14, v14, s[4:5]
	s_waitcnt vmcnt(0)
	v_add_u16_e32 v14, v14, v10
.LBB5872_78:
	s_or_b64 exec, exec, s[2:3]
	v_add_u16_sdwa v15, v14, v10 dst_sel:DWORD dst_unused:UNUSED_PAD src0_sel:DWORD src1_sel:WORD_1
	v_add_u16_e32 v16, v15, v11
	v_add_u16_sdwa v17, v16, v11 dst_sel:DWORD dst_unused:UNUSED_PAD src0_sel:DWORD src1_sel:WORD_1
	v_add_u16_e32 v18, v17, v12
	v_add_u16_sdwa v19, v18, v12 dst_sel:DWORD dst_unused:UNUSED_PAD src0_sel:DWORD src1_sel:WORD_1
	v_add_u16_e32 v23, v19, v13
	v_add_u16_sdwa v25, v23, v13 dst_sel:DWORD dst_unused:UNUSED_PAD src0_sel:DWORD src1_sel:WORD_1
	v_add_u16_e32 v22, v25, v6
	v_add_u16_sdwa v24, v22, v6 dst_sel:DWORD dst_unused:UNUSED_PAD src0_sel:DWORD src1_sel:WORD_1
	v_add_u16_e32 v26, v24, v7
	v_add_u16_sdwa v27, v26, v7 dst_sel:DWORD dst_unused:UNUSED_PAD src0_sel:DWORD src1_sel:WORD_1
	v_add_u16_e32 v28, v27, v8
	v_add_u16_sdwa v29, v28, v8 dst_sel:DWORD dst_unused:UNUSED_PAD src0_sel:DWORD src1_sel:WORD_1
	v_add_u16_e32 v31, v29, v9
	v_add_u16_sdwa v33, v31, v9 dst_sel:DWORD dst_unused:UNUSED_PAD src0_sel:DWORD src1_sel:WORD_1
	v_add_u16_e32 v30, v33, v2
	v_add_u16_sdwa v32, v30, v2 dst_sel:DWORD dst_unused:UNUSED_PAD src0_sel:DWORD src1_sel:WORD_1
	v_add_u16_e32 v34, v32, v3
	v_add_u16_sdwa v35, v34, v3 dst_sel:DWORD dst_unused:UNUSED_PAD src0_sel:DWORD src1_sel:WORD_1
	v_add_u16_e32 v36, v35, v4
	v_add_u16_sdwa v37, v36, v4 dst_sel:DWORD dst_unused:UNUSED_PAD src0_sel:DWORD src1_sel:WORD_1
	v_add_u16_e32 v38, v37, v5
	v_mbcnt_hi_u32_b32 v21, -1, v21
	v_add_u16_sdwa v39, v38, v5 dst_sel:DWORD dst_unused:UNUSED_PAD src0_sel:DWORD src1_sel:WORD_1
	v_and_b32_e32 v40, 15, v21
	v_cmp_ne_u32_e32 vcc, 0, v40
	v_mov_b32_dpp v41, v39 row_shr:1 row_mask:0xf bank_mask:0xf
	v_cndmask_b32_e32 v41, 0, v41, vcc
	v_add_u16_e32 v41, v39, v41
	v_cmp_lt_u32_e32 vcc, 1, v40
	s_nop 0
	v_mov_b32_dpp v42, v41 row_shr:2 row_mask:0xf bank_mask:0xf
	v_cndmask_b32_e32 v42, 0, v42, vcc
	v_add_u16_e32 v41, v41, v42
	v_cmp_lt_u32_e32 vcc, 3, v40
	s_nop 0
	;; [unrolled: 5-line block ×3, first 2 shown]
	v_mov_b32_dpp v42, v41 row_shr:8 row_mask:0xf bank_mask:0xf
	v_cndmask_b32_e32 v40, 0, v42, vcc
	v_add_u16_e32 v40, v41, v40
	v_and_b32_e32 v42, 16, v21
	v_cmp_ne_u32_e32 vcc, 0, v42
	v_mov_b32_dpp v41, v40 row_bcast:15 row_mask:0xf bank_mask:0xf
	v_cndmask_b32_e32 v41, 0, v41, vcc
	v_add_u16_e32 v40, v40, v41
	v_cmp_lt_u32_e32 vcc, 31, v21
	s_nop 0
	v_mov_b32_dpp v41, v40 row_bcast:31 row_mask:0xf bank_mask:0xf
	v_cndmask_b32_e32 v41, 0, v41, vcc
	v_add_u16_e32 v40, v40, v41
	v_cmp_eq_u32_e32 vcc, 63, v0
	s_and_saveexec_b64 s[2:3], vcc
	s_cbranch_execz .LBB5872_80
; %bb.79:
	v_mov_b32_e32 v41, 0
	ds_write_b16 v41, v40
.LBB5872_80:
	s_or_b64 exec, exec, s[2:3]
	v_add_u32_e32 v41, -1, v21
	v_and_b32_e32 v42, 64, v21
	v_cmp_lt_i32_e64 s[2:3], v41, v42
	v_cndmask_b32_e64 v21, v41, v21, s[2:3]
	v_lshlrev_b32_e32 v21, 2, v21
	ds_bpermute_b32 v21, v21, v40
	s_waitcnt lgkmcnt(0)
	; wave barrier
	s_waitcnt lgkmcnt(0)
	s_and_saveexec_b64 s[2:3], s[0:1]
	s_cbranch_execz .LBB5872_82
; %bb.81:
	v_add_u16_e32 v14, v14, v21
	v_add_u16_sdwa v15, v14, v10 dst_sel:DWORD dst_unused:UNUSED_PAD src0_sel:DWORD src1_sel:WORD_1
	v_add_u16_e32 v16, v15, v11
	v_add_u16_sdwa v17, v16, v11 dst_sel:DWORD dst_unused:UNUSED_PAD src0_sel:DWORD src1_sel:WORD_1
	v_add_u16_e32 v18, v17, v12
	v_add_u16_sdwa v19, v18, v12 dst_sel:DWORD dst_unused:UNUSED_PAD src0_sel:DWORD src1_sel:WORD_1
	v_add_u16_e32 v23, v19, v13
	v_add_u16_sdwa v25, v23, v13 dst_sel:DWORD dst_unused:UNUSED_PAD src0_sel:DWORD src1_sel:WORD_1
	v_add_u16_e32 v22, v25, v6
	v_add_u16_sdwa v24, v22, v6 dst_sel:DWORD dst_unused:UNUSED_PAD src0_sel:DWORD src1_sel:WORD_1
	v_add_u16_e32 v26, v24, v7
	v_add_u16_sdwa v27, v26, v7 dst_sel:DWORD dst_unused:UNUSED_PAD src0_sel:DWORD src1_sel:WORD_1
	v_add_u16_e32 v28, v27, v8
	v_add_u16_sdwa v29, v28, v8 dst_sel:DWORD dst_unused:UNUSED_PAD src0_sel:DWORD src1_sel:WORD_1
	v_add_u16_e32 v31, v29, v9
	v_add_u16_sdwa v33, v31, v9 dst_sel:DWORD dst_unused:UNUSED_PAD src0_sel:DWORD src1_sel:WORD_1
	v_add_u16_e32 v30, v33, v2
	v_add_u16_sdwa v32, v30, v2 dst_sel:DWORD dst_unused:UNUSED_PAD src0_sel:DWORD src1_sel:WORD_1
	v_add_u16_e32 v34, v32, v3
	v_add_u16_sdwa v35, v34, v3 dst_sel:DWORD dst_unused:UNUSED_PAD src0_sel:DWORD src1_sel:WORD_1
	v_add_u16_e32 v36, v35, v4
	v_add_u16_sdwa v37, v36, v4 dst_sel:DWORD dst_unused:UNUSED_PAD src0_sel:DWORD src1_sel:WORD_1
	v_add_u16_e32 v38, v37, v5
	v_add_u16_sdwa v39, v38, v5 dst_sel:DWORD dst_unused:UNUSED_PAD src0_sel:DWORD src1_sel:WORD_1
	;;#ASMSTART
	;;#ASMEND
.LBB5872_82:
	s_or_b64 exec, exec, s[2:3]
	s_and_saveexec_b64 s[0:1], vcc
	s_cbranch_execz .LBB5872_84
; %bb.83:
	s_mov_b32 s2, 0x20000
	v_mov_b32_e32 v2, 0
	v_or_b32_sdwa v3, v39, s2 dst_sel:DWORD dst_unused:UNUSED_PAD src0_sel:WORD_0 src1_sel:DWORD
	global_store_dword v2, v3, s[14:15] offset:256
.LBB5872_84:
	s_or_b64 exec, exec, s[0:1]
.LBB5872_85:
	s_mov_b32 s0, 0x5040100
	v_perm_b32 v5, v25, v23, s0
	v_perm_b32 v4, v19, v18, s0
	;; [unrolled: 1-line block ×4, first 2 shown]
	s_waitcnt lgkmcnt(0)
	; wave barrier
	s_waitcnt lgkmcnt(0)
	ds_write_b128 v1, v[2:5]
	v_perm_b32 v5, v33, v31, s0
	v_perm_b32 v4, v29, v28, s0
	;; [unrolled: 1-line block ×4, first 2 shown]
	ds_write_b128 v1, v[2:5] offset:16
	v_perm_b32 v5, v39, v38, s0
	v_perm_b32 v4, v37, v36, s0
	;; [unrolled: 1-line block ×4, first 2 shown]
	s_mov_b64 s[0:1], -1
	s_and_b64 vcc, exec, s[12:13]
	ds_write_b128 v1, v[2:5] offset:32
	s_waitcnt lgkmcnt(0)
	s_cbranch_vccz .LBB5872_87
; %bb.86:
	; wave barrier
	s_mov_b64 s[0:1], 0
.LBB5872_87:
	s_andn2_b64 vcc, exec, s[0:1]
	s_cbranch_vccnz .LBB5872_96
; %bb.88:
	v_cmp_lt_u64_e64 s[0:1], s[10:11], 2
	s_and_b64 vcc, exec, s[0:1]
	; wave barrier
	s_cbranch_vccnz .LBB5872_96
; %bb.89:
	s_add_u32 s0, s16, -1
	s_addc_u32 s1, s17, -1
	s_add_u32 s2, 0, 0xaaaa0000
	s_addc_u32 s3, 0, 42
	s_add_i32 s3, s3, 0xaaaaa80
	s_mul_hi_u32 s9, s2, 0xffffffe8
	s_sub_i32 s9, s9, s2
	s_mul_i32 s10, s3, 0xffffffe8
	s_mul_i32 s4, s2, 0xffffffe8
	s_add_i32 s9, s9, s10
	s_mul_hi_u32 s5, s3, s4
	s_mul_i32 s8, s3, s4
	s_mul_i32 s11, s2, s9
	s_mul_hi_u32 s4, s2, s4
	s_mul_hi_u32 s10, s2, s9
	s_add_u32 s4, s4, s11
	s_addc_u32 s10, 0, s10
	s_add_u32 s4, s4, s8
	s_mul_hi_u32 s11, s3, s9
	s_addc_u32 s4, s10, s5
	s_addc_u32 s5, s11, 0
	s_mul_i32 s8, s3, s9
	s_add_u32 s4, s4, s8
	v_mov_b32_e32 v2, s4
	s_addc_u32 s5, 0, s5
	v_add_co_u32_e32 v2, vcc, s2, v2
	s_cmp_lg_u64 vcc, 0
	s_addc_u32 s2, s3, s5
	v_readfirstlane_b32 s5, v2
	s_mul_i32 s4, s0, s2
	s_mul_hi_u32 s8, s0, s5
	s_mul_hi_u32 s3, s0, s2
	s_add_u32 s4, s8, s4
	s_addc_u32 s3, 0, s3
	s_mul_hi_u32 s9, s1, s5
	s_mul_i32 s5, s1, s5
	s_add_u32 s4, s4, s5
	s_mul_hi_u32 s8, s1, s2
	s_addc_u32 s3, s3, s9
	s_addc_u32 s4, s8, 0
	s_mul_i32 s2, s1, s2
	s_add_u32 s2, s3, s2
	s_addc_u32 s3, 0, s4
	s_add_u32 s4, s2, 1
	s_addc_u32 s5, s3, 0
	s_add_u32 s8, s2, 2
	s_mul_i32 s10, s3, 24
	s_mul_hi_u32 s11, s2, 24
	s_addc_u32 s9, s3, 0
	s_add_i32 s11, s11, s10
	s_mul_i32 s10, s2, 24
	v_mov_b32_e32 v2, s10
	v_sub_co_u32_e32 v2, vcc, s0, v2
	s_cmp_lg_u64 vcc, 0
	s_subb_u32 s10, s1, s11
	v_subrev_co_u32_e32 v3, vcc, 24, v2
	s_cmp_lg_u64 vcc, 0
	s_subb_u32 s11, s10, 0
	v_readfirstlane_b32 s12, v3
	s_cmp_gt_u32 s12, 23
	s_cselect_b32 s12, -1, 0
	s_cmp_eq_u32 s11, 0
	s_cselect_b32 s11, s12, -1
	s_cmp_lg_u32 s11, 0
	s_cselect_b32 s4, s8, s4
	v_readfirstlane_b32 s8, v2
	s_cselect_b32 s5, s9, s5
	s_cmp_gt_u32 s8, 23
	s_cselect_b32 s8, -1, 0
	s_cmp_eq_u32 s10, 0
	s_cselect_b32 s8, s8, -1
	s_cmp_lg_u32 s8, 0
	v_mov_b32_e32 v1, 0
	s_cselect_b32 s3, s5, s3
	s_cselect_b32 s2, s4, s2
	v_cmp_eq_u64_e32 vcc, s[2:3], v[0:1]
	s_and_saveexec_b64 s[2:3], vcc
	s_cbranch_execz .LBB5872_96
; %bb.90:
	v_lshlrev_b32_e32 v2, 1, v0
	v_mul_hi_u32_u24_e32 v1, 24, v0
	v_mov_b32_e32 v3, s1
	v_sub_co_u32_e32 v0, vcc, s0, v20
	v_subb_co_u32_e32 v1, vcc, v3, v1, vcc
	v_cmp_lt_i64_e32 vcc, 11, v[0:1]
	s_mov_b64 s[0:1], 0
	s_mov_b64 s[10:11], 0
	s_mov_b64 s[8:9], 0
	s_mov_b64 s[4:5], 0
                                        ; implicit-def: $vgpr3
                                        ; implicit-def: $vgpr4
                                        ; implicit-def: $vgpr5
	s_and_saveexec_b64 s[2:3], vcc
	s_xor_b64 s[2:3], exec, s[2:3]
	s_cbranch_execnz .LBB5872_97
; %bb.91:
	s_andn2_saveexec_b64 s[2:3], s[2:3]
	s_cbranch_execnz .LBB5872_142
.LBB5872_92:
	s_or_b64 exec, exec, s[2:3]
	s_and_saveexec_b64 s[2:3], s[10:11]
	s_cbranch_execnz .LBB5872_159
.LBB5872_93:
	s_or_b64 exec, exec, s[2:3]
	s_and_saveexec_b64 s[2:3], s[8:9]
	s_cbranch_execnz .LBB5872_160
.LBB5872_94:
	s_or_b64 exec, exec, s[2:3]
	s_and_saveexec_b64 s[2:3], s[4:5]
	s_xor_b64 s[2:3], exec, s[2:3]
	s_cbranch_execnz .LBB5872_161
.LBB5872_95:
	s_or_b64 exec, exec, s[2:3]
	s_and_b64 exec, exec, s[0:1]
	s_cbranch_execnz .LBB5872_162
.LBB5872_96:
	s_endpgm
.LBB5872_97:
	v_cmp_lt_i64_e32 vcc, 17, v[0:1]
                                        ; implicit-def: $vgpr3
                                        ; implicit-def: $vgpr4
                                        ; implicit-def: $vgpr5
	s_and_saveexec_b64 s[12:13], vcc
	s_xor_b64 s[12:13], exec, s[12:13]
	s_cbranch_execz .LBB5872_119
; %bb.98:
	v_cmp_lt_i64_e32 vcc, 20, v[0:1]
                                        ; implicit-def: $vgpr3
                                        ; implicit-def: $vgpr4
	s_and_saveexec_b64 s[14:15], vcc
	s_xor_b64 s[14:15], exec, s[14:15]
	s_cbranch_execz .LBB5872_108
; %bb.99:
	v_cmp_lt_i64_e32 vcc, 21, v[0:1]
	s_mov_b64 s[16:17], 0
                                        ; implicit-def: $vgpr3
	s_and_saveexec_b64 s[4:5], vcc
	s_xor_b64 s[4:5], exec, s[4:5]
	s_cbranch_execz .LBB5872_105
; %bb.100:
	v_cmp_lt_i64_e32 vcc, 22, v[0:1]
	s_and_saveexec_b64 s[16:17], vcc
	s_xor_b64 s[16:17], exec, s[16:17]
	s_cbranch_execz .LBB5872_102
; %bb.101:
	ds_read_u16 v3, v2 offset:2944
	v_mov_b32_e32 v4, 0
	s_waitcnt lgkmcnt(0)
	global_store_short v4, v3, s[6:7]
.LBB5872_102:
	s_or_saveexec_b64 s[16:17], s[16:17]
	s_mov_b64 s[18:19], 0
                                        ; implicit-def: $vgpr3
	s_xor_b64 exec, exec, s[16:17]
	s_cbranch_execz .LBB5872_104
; %bb.103:
	ds_read_u16 v3, v2 offset:2816
	s_mov_b64 s[18:19], exec
.LBB5872_104:
	s_or_b64 exec, exec, s[16:17]
	s_and_b64 s[16:17], s[18:19], exec
.LBB5872_105:
	s_or_saveexec_b64 s[4:5], s[4:5]
                                        ; implicit-def: $vgpr4
	s_xor_b64 exec, exec, s[4:5]
	s_cbranch_execz .LBB5872_107
; %bb.106:
	ds_read_u16 v4, v2 offset:2688
	s_mov_b64 s[8:9], exec
                                        ; implicit-def: $vgpr3
.LBB5872_107:
	s_or_b64 exec, exec, s[4:5]
	s_and_b64 s[4:5], s[16:17], exec
	s_and_b64 s[8:9], s[8:9], exec
.LBB5872_108:
	s_or_saveexec_b64 s[14:15], s[14:15]
                                        ; implicit-def: $vgpr5
	s_xor_b64 exec, exec, s[14:15]
	s_cbranch_execz .LBB5872_118
; %bb.109:
	v_cmp_lt_i64_e32 vcc, 18, v[0:1]
	s_mov_b64 s[16:17], 0
                                        ; implicit-def: $vgpr5
	s_and_saveexec_b64 s[10:11], vcc
	s_xor_b64 s[10:11], exec, s[10:11]
	s_cbranch_execz .LBB5872_115
; %bb.110:
	v_cmp_lt_i64_e32 vcc, 19, v[0:1]
                                        ; implicit-def: $vgpr5
	s_and_saveexec_b64 s[18:19], vcc
	s_xor_b64 s[18:19], exec, s[18:19]
	s_cbranch_execz .LBB5872_112
; %bb.111:
	ds_read_u16 v5, v2 offset:2560
	s_mov_b64 s[16:17], exec
.LBB5872_112:
	s_andn2_saveexec_b64 s[18:19], s[18:19]
	s_cbranch_execz .LBB5872_114
; %bb.113:
	s_waitcnt lgkmcnt(0)
	ds_read_u16 v3, v2 offset:2432
	v_mov_b32_e32 v4, 0
                                        ; implicit-def: $vgpr5
	s_waitcnt lgkmcnt(0)
	global_store_short v4, v3, s[6:7]
.LBB5872_114:
	s_or_b64 exec, exec, s[18:19]
	s_and_b64 s[16:17], s[16:17], exec
.LBB5872_115:
	s_andn2_saveexec_b64 s[10:11], s[10:11]
	s_cbranch_execz .LBB5872_117
; %bb.116:
	s_waitcnt lgkmcnt(0)
	ds_read_u16 v3, v2 offset:2304
	v_mov_b32_e32 v4, 0
                                        ; implicit-def: $vgpr5
	s_waitcnt lgkmcnt(0)
	global_store_short v4, v3, s[6:7]
.LBB5872_117:
	s_or_b64 exec, exec, s[10:11]
	s_and_b64 s[10:11], s[16:17], exec
                                        ; implicit-def: $vgpr3
                                        ; implicit-def: $vgpr4
.LBB5872_118:
	s_or_b64 exec, exec, s[14:15]
	s_and_b64 s[4:5], s[4:5], exec
	s_and_b64 s[8:9], s[8:9], exec
	;; [unrolled: 1-line block ×3, first 2 shown]
.LBB5872_119:
	s_andn2_saveexec_b64 s[12:13], s[12:13]
	s_cbranch_execz .LBB5872_141
; %bb.120:
	v_cmp_lt_i64_e32 vcc, 14, v[0:1]
	s_mov_b64 s[14:15], s[4:5]
                                        ; implicit-def: $vgpr3
	s_and_saveexec_b64 s[16:17], vcc
	s_xor_b64 s[16:17], exec, s[16:17]
	s_cbranch_execz .LBB5872_130
; %bb.121:
	v_cmp_lt_i64_e32 vcc, 15, v[0:1]
	s_and_saveexec_b64 s[14:15], vcc
	s_xor_b64 s[14:15], exec, s[14:15]
	s_cbranch_execz .LBB5872_127
; %bb.122:
	v_cmp_lt_i64_e32 vcc, 16, v[0:1]
	s_and_saveexec_b64 s[18:19], vcc
	s_xor_b64 s[18:19], exec, s[18:19]
	s_cbranch_execz .LBB5872_124
; %bb.123:
	s_waitcnt lgkmcnt(0)
	ds_read_u16 v3, v2 offset:2176
	v_mov_b32_e32 v4, 0
	s_waitcnt lgkmcnt(0)
	global_store_short v4, v3, s[6:7]
.LBB5872_124:
	s_andn2_saveexec_b64 s[18:19], s[18:19]
	s_cbranch_execz .LBB5872_126
; %bb.125:
	s_waitcnt lgkmcnt(0)
	ds_read_u16 v3, v2 offset:2048
	v_mov_b32_e32 v4, 0
	s_waitcnt lgkmcnt(0)
	global_store_short v4, v3, s[6:7]
.LBB5872_126:
	s_or_b64 exec, exec, s[18:19]
.LBB5872_127:
	s_or_saveexec_b64 s[14:15], s[14:15]
	s_mov_b64 s[18:19], s[4:5]
                                        ; implicit-def: $vgpr3
	s_xor_b64 exec, exec, s[14:15]
	s_cbranch_execz .LBB5872_129
; %bb.128:
	s_waitcnt lgkmcnt(0)
	ds_read_u16 v3, v2 offset:1920
	s_or_b64 s[18:19], s[4:5], exec
.LBB5872_129:
	s_or_b64 exec, exec, s[14:15]
	s_andn2_b64 s[14:15], s[4:5], exec
	s_and_b64 s[18:19], s[18:19], exec
	s_or_b64 s[14:15], s[14:15], s[18:19]
.LBB5872_130:
	s_or_saveexec_b64 s[16:17], s[16:17]
	s_mov_b64 s[18:19], s[8:9]
                                        ; implicit-def: $vgpr4
	s_xor_b64 exec, exec, s[16:17]
	s_cbranch_execz .LBB5872_140
; %bb.131:
	v_cmp_lt_i64_e32 vcc, 12, v[0:1]
	s_mov_b64 s[20:21], s[8:9]
	s_mov_b64 s[22:23], s[14:15]
                                        ; implicit-def: $vgpr3
                                        ; implicit-def: $vgpr4
	s_and_saveexec_b64 s[18:19], vcc
	s_xor_b64 s[18:19], exec, s[18:19]
	s_cbranch_execz .LBB5872_137
; %bb.132:
	v_cmp_lt_i64_e32 vcc, 13, v[0:1]
	s_mov_b64 s[20:21], s[14:15]
                                        ; implicit-def: $vgpr3
	s_and_saveexec_b64 s[22:23], vcc
	s_xor_b64 s[22:23], exec, s[22:23]
	s_cbranch_execz .LBB5872_134
; %bb.133:
	s_waitcnt lgkmcnt(0)
	ds_read_u16 v3, v2 offset:1792
	s_or_b64 s[20:21], s[14:15], exec
.LBB5872_134:
	s_or_saveexec_b64 s[22:23], s[22:23]
	s_mov_b64 s[24:25], s[8:9]
                                        ; implicit-def: $vgpr4
	s_xor_b64 exec, exec, s[22:23]
	s_cbranch_execz .LBB5872_136
; %bb.135:
	s_waitcnt lgkmcnt(0)
	ds_read_u16 v4, v2 offset:1664
	s_or_b64 s[24:25], s[8:9], exec
                                        ; implicit-def: $vgpr3
.LBB5872_136:
	s_or_b64 exec, exec, s[22:23]
	s_andn2_b64 s[22:23], s[14:15], exec
	s_and_b64 s[20:21], s[20:21], exec
	s_or_b64 s[22:23], s[22:23], s[20:21]
	s_andn2_b64 s[20:21], s[8:9], exec
	s_and_b64 s[24:25], s[24:25], exec
	s_or_b64 s[20:21], s[20:21], s[24:25]
.LBB5872_137:
	s_andn2_saveexec_b64 s[18:19], s[18:19]
	s_cbranch_execz .LBB5872_139
; %bb.138:
	s_waitcnt lgkmcnt(0)
	ds_read_u16 v4, v2 offset:1536
	s_or_b64 s[20:21], s[20:21], exec
                                        ; implicit-def: $vgpr3
.LBB5872_139:
	s_or_b64 exec, exec, s[18:19]
	s_andn2_b64 s[14:15], s[14:15], exec
	s_and_b64 s[18:19], s[22:23], exec
	s_or_b64 s[14:15], s[14:15], s[18:19]
	s_andn2_b64 s[18:19], s[8:9], exec
	s_and_b64 s[20:21], s[20:21], exec
	s_or_b64 s[18:19], s[18:19], s[20:21]
.LBB5872_140:
	s_or_b64 exec, exec, s[16:17]
	s_andn2_b64 s[4:5], s[4:5], exec
	s_and_b64 s[14:15], s[14:15], exec
	s_or_b64 s[4:5], s[4:5], s[14:15]
	s_andn2_b64 s[8:9], s[8:9], exec
	s_and_b64 s[14:15], s[18:19], exec
	s_or_b64 s[8:9], s[8:9], s[14:15]
                                        ; implicit-def: $vgpr5
.LBB5872_141:
	s_or_b64 exec, exec, s[12:13]
	s_and_b64 s[4:5], s[4:5], exec
	s_and_b64 s[8:9], s[8:9], exec
	;; [unrolled: 1-line block ×3, first 2 shown]
	s_andn2_saveexec_b64 s[2:3], s[2:3]
	s_cbranch_execz .LBB5872_92
.LBB5872_142:
	v_cmp_lt_i64_e32 vcc, 5, v[0:1]
	s_mov_b64 s[14:15], -1
	s_mov_b64 s[12:13], s[10:11]
	s_mov_b64 s[16:17], s[8:9]
	;; [unrolled: 1-line block ×3, first 2 shown]
                                        ; implicit-def: $vgpr3
                                        ; implicit-def: $vgpr4
                                        ; implicit-def: $vgpr5
	s_and_saveexec_b64 s[0:1], vcc
	s_cbranch_execz .LBB5872_158
; %bb.143:
	v_cmp_lt_i64_e32 vcc, 8, v[0:1]
	s_mov_b64 s[12:13], s[10:11]
                                        ; implicit-def: $vgpr5
	s_and_saveexec_b64 s[14:15], vcc
	s_xor_b64 s[14:15], exec, s[14:15]
	s_cbranch_execz .LBB5872_153
; %bb.144:
	v_cmp_lt_i64_e32 vcc, 9, v[0:1]
                                        ; implicit-def: $vgpr5
	s_and_saveexec_b64 s[12:13], vcc
	s_xor_b64 s[12:13], exec, s[12:13]
	s_cbranch_execz .LBB5872_150
; %bb.145:
	v_cmp_lt_i64_e32 vcc, 10, v[0:1]
                                        ; implicit-def: $vgpr5
	s_and_saveexec_b64 s[16:17], vcc
	s_xor_b64 s[16:17], exec, s[16:17]
	s_cbranch_execz .LBB5872_147
; %bb.146:
	s_waitcnt lgkmcnt(0)
	ds_read_u16 v5, v2 offset:1408
.LBB5872_147:
	s_andn2_saveexec_b64 s[16:17], s[16:17]
	s_cbranch_execz .LBB5872_149
; %bb.148:
	s_waitcnt lgkmcnt(0)
	ds_read_u16 v5, v2 offset:1280
.LBB5872_149:
	s_or_b64 exec, exec, s[16:17]
.LBB5872_150:
	s_andn2_saveexec_b64 s[12:13], s[12:13]
	s_cbranch_execz .LBB5872_152
; %bb.151:
	s_waitcnt lgkmcnt(0)
	ds_read_u16 v5, v2 offset:1152
.LBB5872_152:
	s_or_b64 exec, exec, s[12:13]
	s_or_b64 s[12:13], s[10:11], exec
.LBB5872_153:
	s_or_saveexec_b64 s[14:15], s[14:15]
	s_mov_b64 s[16:17], s[8:9]
	s_mov_b64 s[20:21], s[4:5]
                                        ; implicit-def: $vgpr3
                                        ; implicit-def: $vgpr4
	s_xor_b64 exec, exec, s[14:15]
	s_cbranch_execz .LBB5872_157
; %bb.154:
	s_waitcnt lgkmcnt(0)
	ds_read_u16 v3, v2 offset:768
	v_cmp_lt_i64_e32 vcc, 6, v[0:1]
	s_mov_b64 s[20:21], -1
	s_mov_b64 s[18:19], s[12:13]
	s_mov_b64 s[16:17], s[8:9]
                                        ; implicit-def: $vgpr4
                                        ; implicit-def: $vgpr5
	s_and_saveexec_b64 s[22:23], vcc
	s_cbranch_execz .LBB5872_156
; %bb.155:
	ds_read_u16 v4, v2 offset:896
	ds_read_u16 v5, v2 offset:1024
	v_cmp_lt_i64_e32 vcc, 7, v[0:1]
	s_andn2_b64 s[18:19], s[12:13], exec
	s_and_b64 s[24:25], vcc, exec
	s_xor_b64 s[20:21], exec, -1
	s_or_b64 s[16:17], s[8:9], exec
	s_or_b64 s[18:19], s[18:19], s[24:25]
                                        ; implicit-def: $vgpr3
.LBB5872_156:
	s_or_b64 exec, exec, s[22:23]
	s_andn2_b64 s[22:23], s[4:5], exec
	s_and_b64 s[20:21], s[20:21], exec
	s_or_b64 s[20:21], s[22:23], s[20:21]
	s_andn2_b64 s[22:23], s[8:9], exec
	s_and_b64 s[16:17], s[16:17], exec
	s_andn2_b64 s[12:13], s[12:13], exec
	s_and_b64 s[18:19], s[18:19], exec
	s_or_b64 s[16:17], s[22:23], s[16:17]
	s_or_b64 s[12:13], s[12:13], s[18:19]
.LBB5872_157:
	s_or_b64 exec, exec, s[14:15]
	s_andn2_b64 s[18:19], s[4:5], exec
	s_and_b64 s[20:21], s[20:21], exec
	s_or_b64 s[18:19], s[18:19], s[20:21]
	s_andn2_b64 s[20:21], s[8:9], exec
	s_and_b64 s[16:17], s[16:17], exec
	s_or_b64 s[16:17], s[20:21], s[16:17]
	s_andn2_b64 s[20:21], s[10:11], exec
	s_and_b64 s[12:13], s[12:13], exec
	s_xor_b64 s[14:15], exec, -1
	s_or_b64 s[12:13], s[20:21], s[12:13]
.LBB5872_158:
	s_or_b64 exec, exec, s[0:1]
	s_and_b64 s[0:1], s[14:15], exec
	s_andn2_b64 s[4:5], s[4:5], exec
	s_and_b64 s[14:15], s[18:19], exec
	s_or_b64 s[4:5], s[4:5], s[14:15]
	s_andn2_b64 s[8:9], s[8:9], exec
	s_and_b64 s[14:15], s[16:17], exec
	s_andn2_b64 s[10:11], s[10:11], exec
	s_and_b64 s[12:13], s[12:13], exec
	s_or_b64 s[8:9], s[8:9], s[14:15]
	s_or_b64 s[10:11], s[10:11], s[12:13]
	s_or_b64 exec, exec, s[2:3]
	s_and_saveexec_b64 s[2:3], s[10:11]
	s_cbranch_execz .LBB5872_93
.LBB5872_159:
	s_waitcnt lgkmcnt(0)
	v_mov_b32_e32 v3, 0
	s_andn2_b64 s[8:9], s[8:9], exec
	global_store_short v3, v5, s[6:7]
                                        ; implicit-def: $vgpr3
                                        ; implicit-def: $vgpr4
	s_or_b64 exec, exec, s[2:3]
	s_and_saveexec_b64 s[2:3], s[8:9]
	s_cbranch_execz .LBB5872_94
.LBB5872_160:
	s_waitcnt lgkmcnt(0)
	v_mov_b32_e32 v3, 0
	global_store_short v3, v4, s[6:7]
                                        ; implicit-def: $vgpr3
	s_or_b64 exec, exec, s[2:3]
	s_and_saveexec_b64 s[2:3], s[4:5]
	s_xor_b64 s[2:3], exec, s[2:3]
	s_cbranch_execz .LBB5872_95
.LBB5872_161:
	s_waitcnt lgkmcnt(0)
	v_mov_b32_e32 v4, 0
	global_store_short v4, v3, s[6:7]
	s_or_b64 exec, exec, s[2:3]
	s_and_b64 exec, exec, s[0:1]
	s_cbranch_execz .LBB5872_96
.LBB5872_162:
	v_cmp_lt_i64_e32 vcc, 2, v[0:1]
	s_and_saveexec_b64 s[0:1], vcc
	s_xor_b64 s[0:1], exec, s[0:1]
	s_cbranch_execz .LBB5872_172
; %bb.163:
	v_cmp_lt_i64_e32 vcc, 3, v[0:1]
	s_and_saveexec_b64 s[2:3], vcc
	s_xor_b64 s[2:3], exec, s[2:3]
	s_cbranch_execz .LBB5872_169
; %bb.164:
	v_cmp_lt_i64_e32 vcc, 4, v[0:1]
	s_and_saveexec_b64 s[4:5], vcc
	s_xor_b64 s[4:5], exec, s[4:5]
	s_cbranch_execz .LBB5872_166
; %bb.165:
	ds_read_u16 v0, v2 offset:640
	v_mov_b32_e32 v1, 0
                                        ; implicit-def: $vgpr2
	s_waitcnt lgkmcnt(0)
	global_store_short v1, v0, s[6:7]
.LBB5872_166:
	s_andn2_saveexec_b64 s[4:5], s[4:5]
	s_cbranch_execz .LBB5872_168
; %bb.167:
	ds_read_u16 v0, v2 offset:512
	v_mov_b32_e32 v1, 0
	s_waitcnt lgkmcnt(0)
	global_store_short v1, v0, s[6:7]
.LBB5872_168:
	s_or_b64 exec, exec, s[4:5]
                                        ; implicit-def: $vgpr2
.LBB5872_169:
	s_andn2_saveexec_b64 s[2:3], s[2:3]
	s_cbranch_execz .LBB5872_171
; %bb.170:
	ds_read_u16 v0, v2 offset:384
	v_mov_b32_e32 v1, 0
	s_waitcnt lgkmcnt(0)
	global_store_short v1, v0, s[6:7]
.LBB5872_171:
	s_or_b64 exec, exec, s[2:3]
                                        ; implicit-def: $vgpr0_vgpr1
                                        ; implicit-def: $vgpr2
.LBB5872_172:
	s_andn2_saveexec_b64 s[0:1], s[0:1]
	s_cbranch_execz .LBB5872_96
; %bb.173:
	v_cmp_lt_i64_e32 vcc, 1, v[0:1]
	s_and_saveexec_b64 s[0:1], vcc
	s_xor_b64 s[0:1], exec, s[0:1]
	s_cbranch_execz .LBB5872_175
; %bb.174:
	ds_read_u16 v0, v2 offset:256
	v_mov_b32_e32 v1, 0
                                        ; implicit-def: $vgpr2
	s_waitcnt lgkmcnt(0)
	global_store_short v1, v0, s[6:7]
                                        ; implicit-def: $vgpr0_vgpr1
.LBB5872_175:
	s_andn2_saveexec_b64 s[0:1], s[0:1]
	s_cbranch_execz .LBB5872_96
; %bb.176:
	v_cmp_ne_u64_e32 vcc, 1, v[0:1]
	s_and_saveexec_b64 s[0:1], vcc
	s_xor_b64 s[0:1], exec, s[0:1]
	s_cbranch_execz .LBB5872_178
; %bb.177:
	ds_read_u16 v0, v2
	v_mov_b32_e32 v1, 0
                                        ; implicit-def: $vgpr2
	s_waitcnt lgkmcnt(0)
	global_store_short v1, v0, s[6:7]
.LBB5872_178:
	s_andn2_saveexec_b64 s[0:1], s[0:1]
	s_cbranch_execz .LBB5872_96
; %bb.179:
	ds_read_u16 v0, v2 offset:128
	v_mov_b32_e32 v1, 0
	s_waitcnt lgkmcnt(0)
	global_store_short v1, v0, s[6:7]
	s_endpgm
	.section	.rodata,"a",@progbits
	.p2align	6, 0x0
	.amdhsa_kernel _ZN7rocprim17ROCPRIM_400000_NS6detail17trampoline_kernelINS0_14default_configENS1_20scan_config_selectorIsEEZZNS1_9scan_implILNS1_25lookback_scan_determinismE0ELb0ELb0ES3_N6thrust23THRUST_200600_302600_NS6detail15normal_iteratorINS9_10device_ptrIsEEEENS9_16discard_iteratorINS9_11use_defaultEEEsNS9_4plusIvEEsEEDaPvRmT3_T4_T5_mT6_P12ihipStream_tbENKUlT_T0_E_clISt17integral_constantIbLb0EESX_EEDaSS_ST_EUlSS_E_NS1_11comp_targetILNS1_3genE4ELNS1_11target_archE910ELNS1_3gpuE8ELNS1_3repE0EEENS1_30default_config_static_selectorELNS0_4arch9wavefront6targetE1EEEvT1_
		.amdhsa_group_segment_fixed_size 3072
		.amdhsa_private_segment_fixed_size 0
		.amdhsa_kernarg_size 104
		.amdhsa_user_sgpr_count 6
		.amdhsa_user_sgpr_private_segment_buffer 1
		.amdhsa_user_sgpr_dispatch_ptr 0
		.amdhsa_user_sgpr_queue_ptr 0
		.amdhsa_user_sgpr_kernarg_segment_ptr 1
		.amdhsa_user_sgpr_dispatch_id 0
		.amdhsa_user_sgpr_flat_scratch_init 0
		.amdhsa_user_sgpr_kernarg_preload_length 0
		.amdhsa_user_sgpr_kernarg_preload_offset 0
		.amdhsa_user_sgpr_private_segment_size 0
		.amdhsa_uses_dynamic_stack 0
		.amdhsa_system_sgpr_private_segment_wavefront_offset 0
		.amdhsa_system_sgpr_workgroup_id_x 1
		.amdhsa_system_sgpr_workgroup_id_y 0
		.amdhsa_system_sgpr_workgroup_id_z 0
		.amdhsa_system_sgpr_workgroup_info 0
		.amdhsa_system_vgpr_workitem_id 0
		.amdhsa_next_free_vgpr 43
		.amdhsa_next_free_sgpr 26
		.amdhsa_accum_offset 44
		.amdhsa_reserve_vcc 1
		.amdhsa_reserve_flat_scratch 0
		.amdhsa_float_round_mode_32 0
		.amdhsa_float_round_mode_16_64 0
		.amdhsa_float_denorm_mode_32 3
		.amdhsa_float_denorm_mode_16_64 3
		.amdhsa_dx10_clamp 1
		.amdhsa_ieee_mode 1
		.amdhsa_fp16_overflow 0
		.amdhsa_tg_split 0
		.amdhsa_exception_fp_ieee_invalid_op 0
		.amdhsa_exception_fp_denorm_src 0
		.amdhsa_exception_fp_ieee_div_zero 0
		.amdhsa_exception_fp_ieee_overflow 0
		.amdhsa_exception_fp_ieee_underflow 0
		.amdhsa_exception_fp_ieee_inexact 0
		.amdhsa_exception_int_div_zero 0
	.end_amdhsa_kernel
	.section	.text._ZN7rocprim17ROCPRIM_400000_NS6detail17trampoline_kernelINS0_14default_configENS1_20scan_config_selectorIsEEZZNS1_9scan_implILNS1_25lookback_scan_determinismE0ELb0ELb0ES3_N6thrust23THRUST_200600_302600_NS6detail15normal_iteratorINS9_10device_ptrIsEEEENS9_16discard_iteratorINS9_11use_defaultEEEsNS9_4plusIvEEsEEDaPvRmT3_T4_T5_mT6_P12ihipStream_tbENKUlT_T0_E_clISt17integral_constantIbLb0EESX_EEDaSS_ST_EUlSS_E_NS1_11comp_targetILNS1_3genE4ELNS1_11target_archE910ELNS1_3gpuE8ELNS1_3repE0EEENS1_30default_config_static_selectorELNS0_4arch9wavefront6targetE1EEEvT1_,"axG",@progbits,_ZN7rocprim17ROCPRIM_400000_NS6detail17trampoline_kernelINS0_14default_configENS1_20scan_config_selectorIsEEZZNS1_9scan_implILNS1_25lookback_scan_determinismE0ELb0ELb0ES3_N6thrust23THRUST_200600_302600_NS6detail15normal_iteratorINS9_10device_ptrIsEEEENS9_16discard_iteratorINS9_11use_defaultEEEsNS9_4plusIvEEsEEDaPvRmT3_T4_T5_mT6_P12ihipStream_tbENKUlT_T0_E_clISt17integral_constantIbLb0EESX_EEDaSS_ST_EUlSS_E_NS1_11comp_targetILNS1_3genE4ELNS1_11target_archE910ELNS1_3gpuE8ELNS1_3repE0EEENS1_30default_config_static_selectorELNS0_4arch9wavefront6targetE1EEEvT1_,comdat
.Lfunc_end5872:
	.size	_ZN7rocprim17ROCPRIM_400000_NS6detail17trampoline_kernelINS0_14default_configENS1_20scan_config_selectorIsEEZZNS1_9scan_implILNS1_25lookback_scan_determinismE0ELb0ELb0ES3_N6thrust23THRUST_200600_302600_NS6detail15normal_iteratorINS9_10device_ptrIsEEEENS9_16discard_iteratorINS9_11use_defaultEEEsNS9_4plusIvEEsEEDaPvRmT3_T4_T5_mT6_P12ihipStream_tbENKUlT_T0_E_clISt17integral_constantIbLb0EESX_EEDaSS_ST_EUlSS_E_NS1_11comp_targetILNS1_3genE4ELNS1_11target_archE910ELNS1_3gpuE8ELNS1_3repE0EEENS1_30default_config_static_selectorELNS0_4arch9wavefront6targetE1EEEvT1_, .Lfunc_end5872-_ZN7rocprim17ROCPRIM_400000_NS6detail17trampoline_kernelINS0_14default_configENS1_20scan_config_selectorIsEEZZNS1_9scan_implILNS1_25lookback_scan_determinismE0ELb0ELb0ES3_N6thrust23THRUST_200600_302600_NS6detail15normal_iteratorINS9_10device_ptrIsEEEENS9_16discard_iteratorINS9_11use_defaultEEEsNS9_4plusIvEEsEEDaPvRmT3_T4_T5_mT6_P12ihipStream_tbENKUlT_T0_E_clISt17integral_constantIbLb0EESX_EEDaSS_ST_EUlSS_E_NS1_11comp_targetILNS1_3genE4ELNS1_11target_archE910ELNS1_3gpuE8ELNS1_3repE0EEENS1_30default_config_static_selectorELNS0_4arch9wavefront6targetE1EEEvT1_
                                        ; -- End function
	.section	.AMDGPU.csdata,"",@progbits
; Kernel info:
; codeLenInByte = 6572
; NumSgprs: 30
; NumVgprs: 43
; NumAgprs: 0
; TotalNumVgprs: 43
; ScratchSize: 0
; MemoryBound: 0
; FloatMode: 240
; IeeeMode: 1
; LDSByteSize: 3072 bytes/workgroup (compile time only)
; SGPRBlocks: 3
; VGPRBlocks: 5
; NumSGPRsForWavesPerEU: 30
; NumVGPRsForWavesPerEU: 43
; AccumOffset: 44
; Occupancy: 6
; WaveLimiterHint : 1
; COMPUTE_PGM_RSRC2:SCRATCH_EN: 0
; COMPUTE_PGM_RSRC2:USER_SGPR: 6
; COMPUTE_PGM_RSRC2:TRAP_HANDLER: 0
; COMPUTE_PGM_RSRC2:TGID_X_EN: 1
; COMPUTE_PGM_RSRC2:TGID_Y_EN: 0
; COMPUTE_PGM_RSRC2:TGID_Z_EN: 0
; COMPUTE_PGM_RSRC2:TIDIG_COMP_CNT: 0
; COMPUTE_PGM_RSRC3_GFX90A:ACCUM_OFFSET: 10
; COMPUTE_PGM_RSRC3_GFX90A:TG_SPLIT: 0
	.section	.text._ZN7rocprim17ROCPRIM_400000_NS6detail17trampoline_kernelINS0_14default_configENS1_20scan_config_selectorIsEEZZNS1_9scan_implILNS1_25lookback_scan_determinismE0ELb0ELb0ES3_N6thrust23THRUST_200600_302600_NS6detail15normal_iteratorINS9_10device_ptrIsEEEENS9_16discard_iteratorINS9_11use_defaultEEEsNS9_4plusIvEEsEEDaPvRmT3_T4_T5_mT6_P12ihipStream_tbENKUlT_T0_E_clISt17integral_constantIbLb0EESX_EEDaSS_ST_EUlSS_E_NS1_11comp_targetILNS1_3genE3ELNS1_11target_archE908ELNS1_3gpuE7ELNS1_3repE0EEENS1_30default_config_static_selectorELNS0_4arch9wavefront6targetE1EEEvT1_,"axG",@progbits,_ZN7rocprim17ROCPRIM_400000_NS6detail17trampoline_kernelINS0_14default_configENS1_20scan_config_selectorIsEEZZNS1_9scan_implILNS1_25lookback_scan_determinismE0ELb0ELb0ES3_N6thrust23THRUST_200600_302600_NS6detail15normal_iteratorINS9_10device_ptrIsEEEENS9_16discard_iteratorINS9_11use_defaultEEEsNS9_4plusIvEEsEEDaPvRmT3_T4_T5_mT6_P12ihipStream_tbENKUlT_T0_E_clISt17integral_constantIbLb0EESX_EEDaSS_ST_EUlSS_E_NS1_11comp_targetILNS1_3genE3ELNS1_11target_archE908ELNS1_3gpuE7ELNS1_3repE0EEENS1_30default_config_static_selectorELNS0_4arch9wavefront6targetE1EEEvT1_,comdat
	.protected	_ZN7rocprim17ROCPRIM_400000_NS6detail17trampoline_kernelINS0_14default_configENS1_20scan_config_selectorIsEEZZNS1_9scan_implILNS1_25lookback_scan_determinismE0ELb0ELb0ES3_N6thrust23THRUST_200600_302600_NS6detail15normal_iteratorINS9_10device_ptrIsEEEENS9_16discard_iteratorINS9_11use_defaultEEEsNS9_4plusIvEEsEEDaPvRmT3_T4_T5_mT6_P12ihipStream_tbENKUlT_T0_E_clISt17integral_constantIbLb0EESX_EEDaSS_ST_EUlSS_E_NS1_11comp_targetILNS1_3genE3ELNS1_11target_archE908ELNS1_3gpuE7ELNS1_3repE0EEENS1_30default_config_static_selectorELNS0_4arch9wavefront6targetE1EEEvT1_ ; -- Begin function _ZN7rocprim17ROCPRIM_400000_NS6detail17trampoline_kernelINS0_14default_configENS1_20scan_config_selectorIsEEZZNS1_9scan_implILNS1_25lookback_scan_determinismE0ELb0ELb0ES3_N6thrust23THRUST_200600_302600_NS6detail15normal_iteratorINS9_10device_ptrIsEEEENS9_16discard_iteratorINS9_11use_defaultEEEsNS9_4plusIvEEsEEDaPvRmT3_T4_T5_mT6_P12ihipStream_tbENKUlT_T0_E_clISt17integral_constantIbLb0EESX_EEDaSS_ST_EUlSS_E_NS1_11comp_targetILNS1_3genE3ELNS1_11target_archE908ELNS1_3gpuE7ELNS1_3repE0EEENS1_30default_config_static_selectorELNS0_4arch9wavefront6targetE1EEEvT1_
	.globl	_ZN7rocprim17ROCPRIM_400000_NS6detail17trampoline_kernelINS0_14default_configENS1_20scan_config_selectorIsEEZZNS1_9scan_implILNS1_25lookback_scan_determinismE0ELb0ELb0ES3_N6thrust23THRUST_200600_302600_NS6detail15normal_iteratorINS9_10device_ptrIsEEEENS9_16discard_iteratorINS9_11use_defaultEEEsNS9_4plusIvEEsEEDaPvRmT3_T4_T5_mT6_P12ihipStream_tbENKUlT_T0_E_clISt17integral_constantIbLb0EESX_EEDaSS_ST_EUlSS_E_NS1_11comp_targetILNS1_3genE3ELNS1_11target_archE908ELNS1_3gpuE7ELNS1_3repE0EEENS1_30default_config_static_selectorELNS0_4arch9wavefront6targetE1EEEvT1_
	.p2align	8
	.type	_ZN7rocprim17ROCPRIM_400000_NS6detail17trampoline_kernelINS0_14default_configENS1_20scan_config_selectorIsEEZZNS1_9scan_implILNS1_25lookback_scan_determinismE0ELb0ELb0ES3_N6thrust23THRUST_200600_302600_NS6detail15normal_iteratorINS9_10device_ptrIsEEEENS9_16discard_iteratorINS9_11use_defaultEEEsNS9_4plusIvEEsEEDaPvRmT3_T4_T5_mT6_P12ihipStream_tbENKUlT_T0_E_clISt17integral_constantIbLb0EESX_EEDaSS_ST_EUlSS_E_NS1_11comp_targetILNS1_3genE3ELNS1_11target_archE908ELNS1_3gpuE7ELNS1_3repE0EEENS1_30default_config_static_selectorELNS0_4arch9wavefront6targetE1EEEvT1_,@function
_ZN7rocprim17ROCPRIM_400000_NS6detail17trampoline_kernelINS0_14default_configENS1_20scan_config_selectorIsEEZZNS1_9scan_implILNS1_25lookback_scan_determinismE0ELb0ELb0ES3_N6thrust23THRUST_200600_302600_NS6detail15normal_iteratorINS9_10device_ptrIsEEEENS9_16discard_iteratorINS9_11use_defaultEEEsNS9_4plusIvEEsEEDaPvRmT3_T4_T5_mT6_P12ihipStream_tbENKUlT_T0_E_clISt17integral_constantIbLb0EESX_EEDaSS_ST_EUlSS_E_NS1_11comp_targetILNS1_3genE3ELNS1_11target_archE908ELNS1_3gpuE7ELNS1_3repE0EEENS1_30default_config_static_selectorELNS0_4arch9wavefront6targetE1EEEvT1_: ; @_ZN7rocprim17ROCPRIM_400000_NS6detail17trampoline_kernelINS0_14default_configENS1_20scan_config_selectorIsEEZZNS1_9scan_implILNS1_25lookback_scan_determinismE0ELb0ELb0ES3_N6thrust23THRUST_200600_302600_NS6detail15normal_iteratorINS9_10device_ptrIsEEEENS9_16discard_iteratorINS9_11use_defaultEEEsNS9_4plusIvEEsEEDaPvRmT3_T4_T5_mT6_P12ihipStream_tbENKUlT_T0_E_clISt17integral_constantIbLb0EESX_EEDaSS_ST_EUlSS_E_NS1_11comp_targetILNS1_3genE3ELNS1_11target_archE908ELNS1_3gpuE7ELNS1_3repE0EEENS1_30default_config_static_selectorELNS0_4arch9wavefront6targetE1EEEvT1_
; %bb.0:
	.section	.rodata,"a",@progbits
	.p2align	6, 0x0
	.amdhsa_kernel _ZN7rocprim17ROCPRIM_400000_NS6detail17trampoline_kernelINS0_14default_configENS1_20scan_config_selectorIsEEZZNS1_9scan_implILNS1_25lookback_scan_determinismE0ELb0ELb0ES3_N6thrust23THRUST_200600_302600_NS6detail15normal_iteratorINS9_10device_ptrIsEEEENS9_16discard_iteratorINS9_11use_defaultEEEsNS9_4plusIvEEsEEDaPvRmT3_T4_T5_mT6_P12ihipStream_tbENKUlT_T0_E_clISt17integral_constantIbLb0EESX_EEDaSS_ST_EUlSS_E_NS1_11comp_targetILNS1_3genE3ELNS1_11target_archE908ELNS1_3gpuE7ELNS1_3repE0EEENS1_30default_config_static_selectorELNS0_4arch9wavefront6targetE1EEEvT1_
		.amdhsa_group_segment_fixed_size 0
		.amdhsa_private_segment_fixed_size 0
		.amdhsa_kernarg_size 104
		.amdhsa_user_sgpr_count 6
		.amdhsa_user_sgpr_private_segment_buffer 1
		.amdhsa_user_sgpr_dispatch_ptr 0
		.amdhsa_user_sgpr_queue_ptr 0
		.amdhsa_user_sgpr_kernarg_segment_ptr 1
		.amdhsa_user_sgpr_dispatch_id 0
		.amdhsa_user_sgpr_flat_scratch_init 0
		.amdhsa_user_sgpr_kernarg_preload_length 0
		.amdhsa_user_sgpr_kernarg_preload_offset 0
		.amdhsa_user_sgpr_private_segment_size 0
		.amdhsa_uses_dynamic_stack 0
		.amdhsa_system_sgpr_private_segment_wavefront_offset 0
		.amdhsa_system_sgpr_workgroup_id_x 1
		.amdhsa_system_sgpr_workgroup_id_y 0
		.amdhsa_system_sgpr_workgroup_id_z 0
		.amdhsa_system_sgpr_workgroup_info 0
		.amdhsa_system_vgpr_workitem_id 0
		.amdhsa_next_free_vgpr 1
		.amdhsa_next_free_sgpr 0
		.amdhsa_accum_offset 4
		.amdhsa_reserve_vcc 0
		.amdhsa_reserve_flat_scratch 0
		.amdhsa_float_round_mode_32 0
		.amdhsa_float_round_mode_16_64 0
		.amdhsa_float_denorm_mode_32 3
		.amdhsa_float_denorm_mode_16_64 3
		.amdhsa_dx10_clamp 1
		.amdhsa_ieee_mode 1
		.amdhsa_fp16_overflow 0
		.amdhsa_tg_split 0
		.amdhsa_exception_fp_ieee_invalid_op 0
		.amdhsa_exception_fp_denorm_src 0
		.amdhsa_exception_fp_ieee_div_zero 0
		.amdhsa_exception_fp_ieee_overflow 0
		.amdhsa_exception_fp_ieee_underflow 0
		.amdhsa_exception_fp_ieee_inexact 0
		.amdhsa_exception_int_div_zero 0
	.end_amdhsa_kernel
	.section	.text._ZN7rocprim17ROCPRIM_400000_NS6detail17trampoline_kernelINS0_14default_configENS1_20scan_config_selectorIsEEZZNS1_9scan_implILNS1_25lookback_scan_determinismE0ELb0ELb0ES3_N6thrust23THRUST_200600_302600_NS6detail15normal_iteratorINS9_10device_ptrIsEEEENS9_16discard_iteratorINS9_11use_defaultEEEsNS9_4plusIvEEsEEDaPvRmT3_T4_T5_mT6_P12ihipStream_tbENKUlT_T0_E_clISt17integral_constantIbLb0EESX_EEDaSS_ST_EUlSS_E_NS1_11comp_targetILNS1_3genE3ELNS1_11target_archE908ELNS1_3gpuE7ELNS1_3repE0EEENS1_30default_config_static_selectorELNS0_4arch9wavefront6targetE1EEEvT1_,"axG",@progbits,_ZN7rocprim17ROCPRIM_400000_NS6detail17trampoline_kernelINS0_14default_configENS1_20scan_config_selectorIsEEZZNS1_9scan_implILNS1_25lookback_scan_determinismE0ELb0ELb0ES3_N6thrust23THRUST_200600_302600_NS6detail15normal_iteratorINS9_10device_ptrIsEEEENS9_16discard_iteratorINS9_11use_defaultEEEsNS9_4plusIvEEsEEDaPvRmT3_T4_T5_mT6_P12ihipStream_tbENKUlT_T0_E_clISt17integral_constantIbLb0EESX_EEDaSS_ST_EUlSS_E_NS1_11comp_targetILNS1_3genE3ELNS1_11target_archE908ELNS1_3gpuE7ELNS1_3repE0EEENS1_30default_config_static_selectorELNS0_4arch9wavefront6targetE1EEEvT1_,comdat
.Lfunc_end5873:
	.size	_ZN7rocprim17ROCPRIM_400000_NS6detail17trampoline_kernelINS0_14default_configENS1_20scan_config_selectorIsEEZZNS1_9scan_implILNS1_25lookback_scan_determinismE0ELb0ELb0ES3_N6thrust23THRUST_200600_302600_NS6detail15normal_iteratorINS9_10device_ptrIsEEEENS9_16discard_iteratorINS9_11use_defaultEEEsNS9_4plusIvEEsEEDaPvRmT3_T4_T5_mT6_P12ihipStream_tbENKUlT_T0_E_clISt17integral_constantIbLb0EESX_EEDaSS_ST_EUlSS_E_NS1_11comp_targetILNS1_3genE3ELNS1_11target_archE908ELNS1_3gpuE7ELNS1_3repE0EEENS1_30default_config_static_selectorELNS0_4arch9wavefront6targetE1EEEvT1_, .Lfunc_end5873-_ZN7rocprim17ROCPRIM_400000_NS6detail17trampoline_kernelINS0_14default_configENS1_20scan_config_selectorIsEEZZNS1_9scan_implILNS1_25lookback_scan_determinismE0ELb0ELb0ES3_N6thrust23THRUST_200600_302600_NS6detail15normal_iteratorINS9_10device_ptrIsEEEENS9_16discard_iteratorINS9_11use_defaultEEEsNS9_4plusIvEEsEEDaPvRmT3_T4_T5_mT6_P12ihipStream_tbENKUlT_T0_E_clISt17integral_constantIbLb0EESX_EEDaSS_ST_EUlSS_E_NS1_11comp_targetILNS1_3genE3ELNS1_11target_archE908ELNS1_3gpuE7ELNS1_3repE0EEENS1_30default_config_static_selectorELNS0_4arch9wavefront6targetE1EEEvT1_
                                        ; -- End function
	.section	.AMDGPU.csdata,"",@progbits
; Kernel info:
; codeLenInByte = 0
; NumSgprs: 4
; NumVgprs: 0
; NumAgprs: 0
; TotalNumVgprs: 0
; ScratchSize: 0
; MemoryBound: 0
; FloatMode: 240
; IeeeMode: 1
; LDSByteSize: 0 bytes/workgroup (compile time only)
; SGPRBlocks: 0
; VGPRBlocks: 0
; NumSGPRsForWavesPerEU: 4
; NumVGPRsForWavesPerEU: 1
; AccumOffset: 4
; Occupancy: 8
; WaveLimiterHint : 0
; COMPUTE_PGM_RSRC2:SCRATCH_EN: 0
; COMPUTE_PGM_RSRC2:USER_SGPR: 6
; COMPUTE_PGM_RSRC2:TRAP_HANDLER: 0
; COMPUTE_PGM_RSRC2:TGID_X_EN: 1
; COMPUTE_PGM_RSRC2:TGID_Y_EN: 0
; COMPUTE_PGM_RSRC2:TGID_Z_EN: 0
; COMPUTE_PGM_RSRC2:TIDIG_COMP_CNT: 0
; COMPUTE_PGM_RSRC3_GFX90A:ACCUM_OFFSET: 0
; COMPUTE_PGM_RSRC3_GFX90A:TG_SPLIT: 0
	.section	.text._ZN7rocprim17ROCPRIM_400000_NS6detail17trampoline_kernelINS0_14default_configENS1_20scan_config_selectorIsEEZZNS1_9scan_implILNS1_25lookback_scan_determinismE0ELb0ELb0ES3_N6thrust23THRUST_200600_302600_NS6detail15normal_iteratorINS9_10device_ptrIsEEEENS9_16discard_iteratorINS9_11use_defaultEEEsNS9_4plusIvEEsEEDaPvRmT3_T4_T5_mT6_P12ihipStream_tbENKUlT_T0_E_clISt17integral_constantIbLb0EESX_EEDaSS_ST_EUlSS_E_NS1_11comp_targetILNS1_3genE2ELNS1_11target_archE906ELNS1_3gpuE6ELNS1_3repE0EEENS1_30default_config_static_selectorELNS0_4arch9wavefront6targetE1EEEvT1_,"axG",@progbits,_ZN7rocprim17ROCPRIM_400000_NS6detail17trampoline_kernelINS0_14default_configENS1_20scan_config_selectorIsEEZZNS1_9scan_implILNS1_25lookback_scan_determinismE0ELb0ELb0ES3_N6thrust23THRUST_200600_302600_NS6detail15normal_iteratorINS9_10device_ptrIsEEEENS9_16discard_iteratorINS9_11use_defaultEEEsNS9_4plusIvEEsEEDaPvRmT3_T4_T5_mT6_P12ihipStream_tbENKUlT_T0_E_clISt17integral_constantIbLb0EESX_EEDaSS_ST_EUlSS_E_NS1_11comp_targetILNS1_3genE2ELNS1_11target_archE906ELNS1_3gpuE6ELNS1_3repE0EEENS1_30default_config_static_selectorELNS0_4arch9wavefront6targetE1EEEvT1_,comdat
	.protected	_ZN7rocprim17ROCPRIM_400000_NS6detail17trampoline_kernelINS0_14default_configENS1_20scan_config_selectorIsEEZZNS1_9scan_implILNS1_25lookback_scan_determinismE0ELb0ELb0ES3_N6thrust23THRUST_200600_302600_NS6detail15normal_iteratorINS9_10device_ptrIsEEEENS9_16discard_iteratorINS9_11use_defaultEEEsNS9_4plusIvEEsEEDaPvRmT3_T4_T5_mT6_P12ihipStream_tbENKUlT_T0_E_clISt17integral_constantIbLb0EESX_EEDaSS_ST_EUlSS_E_NS1_11comp_targetILNS1_3genE2ELNS1_11target_archE906ELNS1_3gpuE6ELNS1_3repE0EEENS1_30default_config_static_selectorELNS0_4arch9wavefront6targetE1EEEvT1_ ; -- Begin function _ZN7rocprim17ROCPRIM_400000_NS6detail17trampoline_kernelINS0_14default_configENS1_20scan_config_selectorIsEEZZNS1_9scan_implILNS1_25lookback_scan_determinismE0ELb0ELb0ES3_N6thrust23THRUST_200600_302600_NS6detail15normal_iteratorINS9_10device_ptrIsEEEENS9_16discard_iteratorINS9_11use_defaultEEEsNS9_4plusIvEEsEEDaPvRmT3_T4_T5_mT6_P12ihipStream_tbENKUlT_T0_E_clISt17integral_constantIbLb0EESX_EEDaSS_ST_EUlSS_E_NS1_11comp_targetILNS1_3genE2ELNS1_11target_archE906ELNS1_3gpuE6ELNS1_3repE0EEENS1_30default_config_static_selectorELNS0_4arch9wavefront6targetE1EEEvT1_
	.globl	_ZN7rocprim17ROCPRIM_400000_NS6detail17trampoline_kernelINS0_14default_configENS1_20scan_config_selectorIsEEZZNS1_9scan_implILNS1_25lookback_scan_determinismE0ELb0ELb0ES3_N6thrust23THRUST_200600_302600_NS6detail15normal_iteratorINS9_10device_ptrIsEEEENS9_16discard_iteratorINS9_11use_defaultEEEsNS9_4plusIvEEsEEDaPvRmT3_T4_T5_mT6_P12ihipStream_tbENKUlT_T0_E_clISt17integral_constantIbLb0EESX_EEDaSS_ST_EUlSS_E_NS1_11comp_targetILNS1_3genE2ELNS1_11target_archE906ELNS1_3gpuE6ELNS1_3repE0EEENS1_30default_config_static_selectorELNS0_4arch9wavefront6targetE1EEEvT1_
	.p2align	8
	.type	_ZN7rocprim17ROCPRIM_400000_NS6detail17trampoline_kernelINS0_14default_configENS1_20scan_config_selectorIsEEZZNS1_9scan_implILNS1_25lookback_scan_determinismE0ELb0ELb0ES3_N6thrust23THRUST_200600_302600_NS6detail15normal_iteratorINS9_10device_ptrIsEEEENS9_16discard_iteratorINS9_11use_defaultEEEsNS9_4plusIvEEsEEDaPvRmT3_T4_T5_mT6_P12ihipStream_tbENKUlT_T0_E_clISt17integral_constantIbLb0EESX_EEDaSS_ST_EUlSS_E_NS1_11comp_targetILNS1_3genE2ELNS1_11target_archE906ELNS1_3gpuE6ELNS1_3repE0EEENS1_30default_config_static_selectorELNS0_4arch9wavefront6targetE1EEEvT1_,@function
_ZN7rocprim17ROCPRIM_400000_NS6detail17trampoline_kernelINS0_14default_configENS1_20scan_config_selectorIsEEZZNS1_9scan_implILNS1_25lookback_scan_determinismE0ELb0ELb0ES3_N6thrust23THRUST_200600_302600_NS6detail15normal_iteratorINS9_10device_ptrIsEEEENS9_16discard_iteratorINS9_11use_defaultEEEsNS9_4plusIvEEsEEDaPvRmT3_T4_T5_mT6_P12ihipStream_tbENKUlT_T0_E_clISt17integral_constantIbLb0EESX_EEDaSS_ST_EUlSS_E_NS1_11comp_targetILNS1_3genE2ELNS1_11target_archE906ELNS1_3gpuE6ELNS1_3repE0EEENS1_30default_config_static_selectorELNS0_4arch9wavefront6targetE1EEEvT1_: ; @_ZN7rocprim17ROCPRIM_400000_NS6detail17trampoline_kernelINS0_14default_configENS1_20scan_config_selectorIsEEZZNS1_9scan_implILNS1_25lookback_scan_determinismE0ELb0ELb0ES3_N6thrust23THRUST_200600_302600_NS6detail15normal_iteratorINS9_10device_ptrIsEEEENS9_16discard_iteratorINS9_11use_defaultEEEsNS9_4plusIvEEsEEDaPvRmT3_T4_T5_mT6_P12ihipStream_tbENKUlT_T0_E_clISt17integral_constantIbLb0EESX_EEDaSS_ST_EUlSS_E_NS1_11comp_targetILNS1_3genE2ELNS1_11target_archE906ELNS1_3gpuE6ELNS1_3repE0EEENS1_30default_config_static_selectorELNS0_4arch9wavefront6targetE1EEEvT1_
; %bb.0:
	.section	.rodata,"a",@progbits
	.p2align	6, 0x0
	.amdhsa_kernel _ZN7rocprim17ROCPRIM_400000_NS6detail17trampoline_kernelINS0_14default_configENS1_20scan_config_selectorIsEEZZNS1_9scan_implILNS1_25lookback_scan_determinismE0ELb0ELb0ES3_N6thrust23THRUST_200600_302600_NS6detail15normal_iteratorINS9_10device_ptrIsEEEENS9_16discard_iteratorINS9_11use_defaultEEEsNS9_4plusIvEEsEEDaPvRmT3_T4_T5_mT6_P12ihipStream_tbENKUlT_T0_E_clISt17integral_constantIbLb0EESX_EEDaSS_ST_EUlSS_E_NS1_11comp_targetILNS1_3genE2ELNS1_11target_archE906ELNS1_3gpuE6ELNS1_3repE0EEENS1_30default_config_static_selectorELNS0_4arch9wavefront6targetE1EEEvT1_
		.amdhsa_group_segment_fixed_size 0
		.amdhsa_private_segment_fixed_size 0
		.amdhsa_kernarg_size 104
		.amdhsa_user_sgpr_count 6
		.amdhsa_user_sgpr_private_segment_buffer 1
		.amdhsa_user_sgpr_dispatch_ptr 0
		.amdhsa_user_sgpr_queue_ptr 0
		.amdhsa_user_sgpr_kernarg_segment_ptr 1
		.amdhsa_user_sgpr_dispatch_id 0
		.amdhsa_user_sgpr_flat_scratch_init 0
		.amdhsa_user_sgpr_kernarg_preload_length 0
		.amdhsa_user_sgpr_kernarg_preload_offset 0
		.amdhsa_user_sgpr_private_segment_size 0
		.amdhsa_uses_dynamic_stack 0
		.amdhsa_system_sgpr_private_segment_wavefront_offset 0
		.amdhsa_system_sgpr_workgroup_id_x 1
		.amdhsa_system_sgpr_workgroup_id_y 0
		.amdhsa_system_sgpr_workgroup_id_z 0
		.amdhsa_system_sgpr_workgroup_info 0
		.amdhsa_system_vgpr_workitem_id 0
		.amdhsa_next_free_vgpr 1
		.amdhsa_next_free_sgpr 0
		.amdhsa_accum_offset 4
		.amdhsa_reserve_vcc 0
		.amdhsa_reserve_flat_scratch 0
		.amdhsa_float_round_mode_32 0
		.amdhsa_float_round_mode_16_64 0
		.amdhsa_float_denorm_mode_32 3
		.amdhsa_float_denorm_mode_16_64 3
		.amdhsa_dx10_clamp 1
		.amdhsa_ieee_mode 1
		.amdhsa_fp16_overflow 0
		.amdhsa_tg_split 0
		.amdhsa_exception_fp_ieee_invalid_op 0
		.amdhsa_exception_fp_denorm_src 0
		.amdhsa_exception_fp_ieee_div_zero 0
		.amdhsa_exception_fp_ieee_overflow 0
		.amdhsa_exception_fp_ieee_underflow 0
		.amdhsa_exception_fp_ieee_inexact 0
		.amdhsa_exception_int_div_zero 0
	.end_amdhsa_kernel
	.section	.text._ZN7rocprim17ROCPRIM_400000_NS6detail17trampoline_kernelINS0_14default_configENS1_20scan_config_selectorIsEEZZNS1_9scan_implILNS1_25lookback_scan_determinismE0ELb0ELb0ES3_N6thrust23THRUST_200600_302600_NS6detail15normal_iteratorINS9_10device_ptrIsEEEENS9_16discard_iteratorINS9_11use_defaultEEEsNS9_4plusIvEEsEEDaPvRmT3_T4_T5_mT6_P12ihipStream_tbENKUlT_T0_E_clISt17integral_constantIbLb0EESX_EEDaSS_ST_EUlSS_E_NS1_11comp_targetILNS1_3genE2ELNS1_11target_archE906ELNS1_3gpuE6ELNS1_3repE0EEENS1_30default_config_static_selectorELNS0_4arch9wavefront6targetE1EEEvT1_,"axG",@progbits,_ZN7rocprim17ROCPRIM_400000_NS6detail17trampoline_kernelINS0_14default_configENS1_20scan_config_selectorIsEEZZNS1_9scan_implILNS1_25lookback_scan_determinismE0ELb0ELb0ES3_N6thrust23THRUST_200600_302600_NS6detail15normal_iteratorINS9_10device_ptrIsEEEENS9_16discard_iteratorINS9_11use_defaultEEEsNS9_4plusIvEEsEEDaPvRmT3_T4_T5_mT6_P12ihipStream_tbENKUlT_T0_E_clISt17integral_constantIbLb0EESX_EEDaSS_ST_EUlSS_E_NS1_11comp_targetILNS1_3genE2ELNS1_11target_archE906ELNS1_3gpuE6ELNS1_3repE0EEENS1_30default_config_static_selectorELNS0_4arch9wavefront6targetE1EEEvT1_,comdat
.Lfunc_end5874:
	.size	_ZN7rocprim17ROCPRIM_400000_NS6detail17trampoline_kernelINS0_14default_configENS1_20scan_config_selectorIsEEZZNS1_9scan_implILNS1_25lookback_scan_determinismE0ELb0ELb0ES3_N6thrust23THRUST_200600_302600_NS6detail15normal_iteratorINS9_10device_ptrIsEEEENS9_16discard_iteratorINS9_11use_defaultEEEsNS9_4plusIvEEsEEDaPvRmT3_T4_T5_mT6_P12ihipStream_tbENKUlT_T0_E_clISt17integral_constantIbLb0EESX_EEDaSS_ST_EUlSS_E_NS1_11comp_targetILNS1_3genE2ELNS1_11target_archE906ELNS1_3gpuE6ELNS1_3repE0EEENS1_30default_config_static_selectorELNS0_4arch9wavefront6targetE1EEEvT1_, .Lfunc_end5874-_ZN7rocprim17ROCPRIM_400000_NS6detail17trampoline_kernelINS0_14default_configENS1_20scan_config_selectorIsEEZZNS1_9scan_implILNS1_25lookback_scan_determinismE0ELb0ELb0ES3_N6thrust23THRUST_200600_302600_NS6detail15normal_iteratorINS9_10device_ptrIsEEEENS9_16discard_iteratorINS9_11use_defaultEEEsNS9_4plusIvEEsEEDaPvRmT3_T4_T5_mT6_P12ihipStream_tbENKUlT_T0_E_clISt17integral_constantIbLb0EESX_EEDaSS_ST_EUlSS_E_NS1_11comp_targetILNS1_3genE2ELNS1_11target_archE906ELNS1_3gpuE6ELNS1_3repE0EEENS1_30default_config_static_selectorELNS0_4arch9wavefront6targetE1EEEvT1_
                                        ; -- End function
	.section	.AMDGPU.csdata,"",@progbits
; Kernel info:
; codeLenInByte = 0
; NumSgprs: 4
; NumVgprs: 0
; NumAgprs: 0
; TotalNumVgprs: 0
; ScratchSize: 0
; MemoryBound: 0
; FloatMode: 240
; IeeeMode: 1
; LDSByteSize: 0 bytes/workgroup (compile time only)
; SGPRBlocks: 0
; VGPRBlocks: 0
; NumSGPRsForWavesPerEU: 4
; NumVGPRsForWavesPerEU: 1
; AccumOffset: 4
; Occupancy: 8
; WaveLimiterHint : 0
; COMPUTE_PGM_RSRC2:SCRATCH_EN: 0
; COMPUTE_PGM_RSRC2:USER_SGPR: 6
; COMPUTE_PGM_RSRC2:TRAP_HANDLER: 0
; COMPUTE_PGM_RSRC2:TGID_X_EN: 1
; COMPUTE_PGM_RSRC2:TGID_Y_EN: 0
; COMPUTE_PGM_RSRC2:TGID_Z_EN: 0
; COMPUTE_PGM_RSRC2:TIDIG_COMP_CNT: 0
; COMPUTE_PGM_RSRC3_GFX90A:ACCUM_OFFSET: 0
; COMPUTE_PGM_RSRC3_GFX90A:TG_SPLIT: 0
	.section	.text._ZN7rocprim17ROCPRIM_400000_NS6detail17trampoline_kernelINS0_14default_configENS1_20scan_config_selectorIsEEZZNS1_9scan_implILNS1_25lookback_scan_determinismE0ELb0ELb0ES3_N6thrust23THRUST_200600_302600_NS6detail15normal_iteratorINS9_10device_ptrIsEEEENS9_16discard_iteratorINS9_11use_defaultEEEsNS9_4plusIvEEsEEDaPvRmT3_T4_T5_mT6_P12ihipStream_tbENKUlT_T0_E_clISt17integral_constantIbLb0EESX_EEDaSS_ST_EUlSS_E_NS1_11comp_targetILNS1_3genE10ELNS1_11target_archE1201ELNS1_3gpuE5ELNS1_3repE0EEENS1_30default_config_static_selectorELNS0_4arch9wavefront6targetE1EEEvT1_,"axG",@progbits,_ZN7rocprim17ROCPRIM_400000_NS6detail17trampoline_kernelINS0_14default_configENS1_20scan_config_selectorIsEEZZNS1_9scan_implILNS1_25lookback_scan_determinismE0ELb0ELb0ES3_N6thrust23THRUST_200600_302600_NS6detail15normal_iteratorINS9_10device_ptrIsEEEENS9_16discard_iteratorINS9_11use_defaultEEEsNS9_4plusIvEEsEEDaPvRmT3_T4_T5_mT6_P12ihipStream_tbENKUlT_T0_E_clISt17integral_constantIbLb0EESX_EEDaSS_ST_EUlSS_E_NS1_11comp_targetILNS1_3genE10ELNS1_11target_archE1201ELNS1_3gpuE5ELNS1_3repE0EEENS1_30default_config_static_selectorELNS0_4arch9wavefront6targetE1EEEvT1_,comdat
	.protected	_ZN7rocprim17ROCPRIM_400000_NS6detail17trampoline_kernelINS0_14default_configENS1_20scan_config_selectorIsEEZZNS1_9scan_implILNS1_25lookback_scan_determinismE0ELb0ELb0ES3_N6thrust23THRUST_200600_302600_NS6detail15normal_iteratorINS9_10device_ptrIsEEEENS9_16discard_iteratorINS9_11use_defaultEEEsNS9_4plusIvEEsEEDaPvRmT3_T4_T5_mT6_P12ihipStream_tbENKUlT_T0_E_clISt17integral_constantIbLb0EESX_EEDaSS_ST_EUlSS_E_NS1_11comp_targetILNS1_3genE10ELNS1_11target_archE1201ELNS1_3gpuE5ELNS1_3repE0EEENS1_30default_config_static_selectorELNS0_4arch9wavefront6targetE1EEEvT1_ ; -- Begin function _ZN7rocprim17ROCPRIM_400000_NS6detail17trampoline_kernelINS0_14default_configENS1_20scan_config_selectorIsEEZZNS1_9scan_implILNS1_25lookback_scan_determinismE0ELb0ELb0ES3_N6thrust23THRUST_200600_302600_NS6detail15normal_iteratorINS9_10device_ptrIsEEEENS9_16discard_iteratorINS9_11use_defaultEEEsNS9_4plusIvEEsEEDaPvRmT3_T4_T5_mT6_P12ihipStream_tbENKUlT_T0_E_clISt17integral_constantIbLb0EESX_EEDaSS_ST_EUlSS_E_NS1_11comp_targetILNS1_3genE10ELNS1_11target_archE1201ELNS1_3gpuE5ELNS1_3repE0EEENS1_30default_config_static_selectorELNS0_4arch9wavefront6targetE1EEEvT1_
	.globl	_ZN7rocprim17ROCPRIM_400000_NS6detail17trampoline_kernelINS0_14default_configENS1_20scan_config_selectorIsEEZZNS1_9scan_implILNS1_25lookback_scan_determinismE0ELb0ELb0ES3_N6thrust23THRUST_200600_302600_NS6detail15normal_iteratorINS9_10device_ptrIsEEEENS9_16discard_iteratorINS9_11use_defaultEEEsNS9_4plusIvEEsEEDaPvRmT3_T4_T5_mT6_P12ihipStream_tbENKUlT_T0_E_clISt17integral_constantIbLb0EESX_EEDaSS_ST_EUlSS_E_NS1_11comp_targetILNS1_3genE10ELNS1_11target_archE1201ELNS1_3gpuE5ELNS1_3repE0EEENS1_30default_config_static_selectorELNS0_4arch9wavefront6targetE1EEEvT1_
	.p2align	8
	.type	_ZN7rocprim17ROCPRIM_400000_NS6detail17trampoline_kernelINS0_14default_configENS1_20scan_config_selectorIsEEZZNS1_9scan_implILNS1_25lookback_scan_determinismE0ELb0ELb0ES3_N6thrust23THRUST_200600_302600_NS6detail15normal_iteratorINS9_10device_ptrIsEEEENS9_16discard_iteratorINS9_11use_defaultEEEsNS9_4plusIvEEsEEDaPvRmT3_T4_T5_mT6_P12ihipStream_tbENKUlT_T0_E_clISt17integral_constantIbLb0EESX_EEDaSS_ST_EUlSS_E_NS1_11comp_targetILNS1_3genE10ELNS1_11target_archE1201ELNS1_3gpuE5ELNS1_3repE0EEENS1_30default_config_static_selectorELNS0_4arch9wavefront6targetE1EEEvT1_,@function
_ZN7rocprim17ROCPRIM_400000_NS6detail17trampoline_kernelINS0_14default_configENS1_20scan_config_selectorIsEEZZNS1_9scan_implILNS1_25lookback_scan_determinismE0ELb0ELb0ES3_N6thrust23THRUST_200600_302600_NS6detail15normal_iteratorINS9_10device_ptrIsEEEENS9_16discard_iteratorINS9_11use_defaultEEEsNS9_4plusIvEEsEEDaPvRmT3_T4_T5_mT6_P12ihipStream_tbENKUlT_T0_E_clISt17integral_constantIbLb0EESX_EEDaSS_ST_EUlSS_E_NS1_11comp_targetILNS1_3genE10ELNS1_11target_archE1201ELNS1_3gpuE5ELNS1_3repE0EEENS1_30default_config_static_selectorELNS0_4arch9wavefront6targetE1EEEvT1_: ; @_ZN7rocprim17ROCPRIM_400000_NS6detail17trampoline_kernelINS0_14default_configENS1_20scan_config_selectorIsEEZZNS1_9scan_implILNS1_25lookback_scan_determinismE0ELb0ELb0ES3_N6thrust23THRUST_200600_302600_NS6detail15normal_iteratorINS9_10device_ptrIsEEEENS9_16discard_iteratorINS9_11use_defaultEEEsNS9_4plusIvEEsEEDaPvRmT3_T4_T5_mT6_P12ihipStream_tbENKUlT_T0_E_clISt17integral_constantIbLb0EESX_EEDaSS_ST_EUlSS_E_NS1_11comp_targetILNS1_3genE10ELNS1_11target_archE1201ELNS1_3gpuE5ELNS1_3repE0EEENS1_30default_config_static_selectorELNS0_4arch9wavefront6targetE1EEEvT1_
; %bb.0:
	.section	.rodata,"a",@progbits
	.p2align	6, 0x0
	.amdhsa_kernel _ZN7rocprim17ROCPRIM_400000_NS6detail17trampoline_kernelINS0_14default_configENS1_20scan_config_selectorIsEEZZNS1_9scan_implILNS1_25lookback_scan_determinismE0ELb0ELb0ES3_N6thrust23THRUST_200600_302600_NS6detail15normal_iteratorINS9_10device_ptrIsEEEENS9_16discard_iteratorINS9_11use_defaultEEEsNS9_4plusIvEEsEEDaPvRmT3_T4_T5_mT6_P12ihipStream_tbENKUlT_T0_E_clISt17integral_constantIbLb0EESX_EEDaSS_ST_EUlSS_E_NS1_11comp_targetILNS1_3genE10ELNS1_11target_archE1201ELNS1_3gpuE5ELNS1_3repE0EEENS1_30default_config_static_selectorELNS0_4arch9wavefront6targetE1EEEvT1_
		.amdhsa_group_segment_fixed_size 0
		.amdhsa_private_segment_fixed_size 0
		.amdhsa_kernarg_size 104
		.amdhsa_user_sgpr_count 6
		.amdhsa_user_sgpr_private_segment_buffer 1
		.amdhsa_user_sgpr_dispatch_ptr 0
		.amdhsa_user_sgpr_queue_ptr 0
		.amdhsa_user_sgpr_kernarg_segment_ptr 1
		.amdhsa_user_sgpr_dispatch_id 0
		.amdhsa_user_sgpr_flat_scratch_init 0
		.amdhsa_user_sgpr_kernarg_preload_length 0
		.amdhsa_user_sgpr_kernarg_preload_offset 0
		.amdhsa_user_sgpr_private_segment_size 0
		.amdhsa_uses_dynamic_stack 0
		.amdhsa_system_sgpr_private_segment_wavefront_offset 0
		.amdhsa_system_sgpr_workgroup_id_x 1
		.amdhsa_system_sgpr_workgroup_id_y 0
		.amdhsa_system_sgpr_workgroup_id_z 0
		.amdhsa_system_sgpr_workgroup_info 0
		.amdhsa_system_vgpr_workitem_id 0
		.amdhsa_next_free_vgpr 1
		.amdhsa_next_free_sgpr 0
		.amdhsa_accum_offset 4
		.amdhsa_reserve_vcc 0
		.amdhsa_reserve_flat_scratch 0
		.amdhsa_float_round_mode_32 0
		.amdhsa_float_round_mode_16_64 0
		.amdhsa_float_denorm_mode_32 3
		.amdhsa_float_denorm_mode_16_64 3
		.amdhsa_dx10_clamp 1
		.amdhsa_ieee_mode 1
		.amdhsa_fp16_overflow 0
		.amdhsa_tg_split 0
		.amdhsa_exception_fp_ieee_invalid_op 0
		.amdhsa_exception_fp_denorm_src 0
		.amdhsa_exception_fp_ieee_div_zero 0
		.amdhsa_exception_fp_ieee_overflow 0
		.amdhsa_exception_fp_ieee_underflow 0
		.amdhsa_exception_fp_ieee_inexact 0
		.amdhsa_exception_int_div_zero 0
	.end_amdhsa_kernel
	.section	.text._ZN7rocprim17ROCPRIM_400000_NS6detail17trampoline_kernelINS0_14default_configENS1_20scan_config_selectorIsEEZZNS1_9scan_implILNS1_25lookback_scan_determinismE0ELb0ELb0ES3_N6thrust23THRUST_200600_302600_NS6detail15normal_iteratorINS9_10device_ptrIsEEEENS9_16discard_iteratorINS9_11use_defaultEEEsNS9_4plusIvEEsEEDaPvRmT3_T4_T5_mT6_P12ihipStream_tbENKUlT_T0_E_clISt17integral_constantIbLb0EESX_EEDaSS_ST_EUlSS_E_NS1_11comp_targetILNS1_3genE10ELNS1_11target_archE1201ELNS1_3gpuE5ELNS1_3repE0EEENS1_30default_config_static_selectorELNS0_4arch9wavefront6targetE1EEEvT1_,"axG",@progbits,_ZN7rocprim17ROCPRIM_400000_NS6detail17trampoline_kernelINS0_14default_configENS1_20scan_config_selectorIsEEZZNS1_9scan_implILNS1_25lookback_scan_determinismE0ELb0ELb0ES3_N6thrust23THRUST_200600_302600_NS6detail15normal_iteratorINS9_10device_ptrIsEEEENS9_16discard_iteratorINS9_11use_defaultEEEsNS9_4plusIvEEsEEDaPvRmT3_T4_T5_mT6_P12ihipStream_tbENKUlT_T0_E_clISt17integral_constantIbLb0EESX_EEDaSS_ST_EUlSS_E_NS1_11comp_targetILNS1_3genE10ELNS1_11target_archE1201ELNS1_3gpuE5ELNS1_3repE0EEENS1_30default_config_static_selectorELNS0_4arch9wavefront6targetE1EEEvT1_,comdat
.Lfunc_end5875:
	.size	_ZN7rocprim17ROCPRIM_400000_NS6detail17trampoline_kernelINS0_14default_configENS1_20scan_config_selectorIsEEZZNS1_9scan_implILNS1_25lookback_scan_determinismE0ELb0ELb0ES3_N6thrust23THRUST_200600_302600_NS6detail15normal_iteratorINS9_10device_ptrIsEEEENS9_16discard_iteratorINS9_11use_defaultEEEsNS9_4plusIvEEsEEDaPvRmT3_T4_T5_mT6_P12ihipStream_tbENKUlT_T0_E_clISt17integral_constantIbLb0EESX_EEDaSS_ST_EUlSS_E_NS1_11comp_targetILNS1_3genE10ELNS1_11target_archE1201ELNS1_3gpuE5ELNS1_3repE0EEENS1_30default_config_static_selectorELNS0_4arch9wavefront6targetE1EEEvT1_, .Lfunc_end5875-_ZN7rocprim17ROCPRIM_400000_NS6detail17trampoline_kernelINS0_14default_configENS1_20scan_config_selectorIsEEZZNS1_9scan_implILNS1_25lookback_scan_determinismE0ELb0ELb0ES3_N6thrust23THRUST_200600_302600_NS6detail15normal_iteratorINS9_10device_ptrIsEEEENS9_16discard_iteratorINS9_11use_defaultEEEsNS9_4plusIvEEsEEDaPvRmT3_T4_T5_mT6_P12ihipStream_tbENKUlT_T0_E_clISt17integral_constantIbLb0EESX_EEDaSS_ST_EUlSS_E_NS1_11comp_targetILNS1_3genE10ELNS1_11target_archE1201ELNS1_3gpuE5ELNS1_3repE0EEENS1_30default_config_static_selectorELNS0_4arch9wavefront6targetE1EEEvT1_
                                        ; -- End function
	.section	.AMDGPU.csdata,"",@progbits
; Kernel info:
; codeLenInByte = 0
; NumSgprs: 4
; NumVgprs: 0
; NumAgprs: 0
; TotalNumVgprs: 0
; ScratchSize: 0
; MemoryBound: 0
; FloatMode: 240
; IeeeMode: 1
; LDSByteSize: 0 bytes/workgroup (compile time only)
; SGPRBlocks: 0
; VGPRBlocks: 0
; NumSGPRsForWavesPerEU: 4
; NumVGPRsForWavesPerEU: 1
; AccumOffset: 4
; Occupancy: 8
; WaveLimiterHint : 0
; COMPUTE_PGM_RSRC2:SCRATCH_EN: 0
; COMPUTE_PGM_RSRC2:USER_SGPR: 6
; COMPUTE_PGM_RSRC2:TRAP_HANDLER: 0
; COMPUTE_PGM_RSRC2:TGID_X_EN: 1
; COMPUTE_PGM_RSRC2:TGID_Y_EN: 0
; COMPUTE_PGM_RSRC2:TGID_Z_EN: 0
; COMPUTE_PGM_RSRC2:TIDIG_COMP_CNT: 0
; COMPUTE_PGM_RSRC3_GFX90A:ACCUM_OFFSET: 0
; COMPUTE_PGM_RSRC3_GFX90A:TG_SPLIT: 0
	.section	.text._ZN7rocprim17ROCPRIM_400000_NS6detail17trampoline_kernelINS0_14default_configENS1_20scan_config_selectorIsEEZZNS1_9scan_implILNS1_25lookback_scan_determinismE0ELb0ELb0ES3_N6thrust23THRUST_200600_302600_NS6detail15normal_iteratorINS9_10device_ptrIsEEEENS9_16discard_iteratorINS9_11use_defaultEEEsNS9_4plusIvEEsEEDaPvRmT3_T4_T5_mT6_P12ihipStream_tbENKUlT_T0_E_clISt17integral_constantIbLb0EESX_EEDaSS_ST_EUlSS_E_NS1_11comp_targetILNS1_3genE10ELNS1_11target_archE1200ELNS1_3gpuE4ELNS1_3repE0EEENS1_30default_config_static_selectorELNS0_4arch9wavefront6targetE1EEEvT1_,"axG",@progbits,_ZN7rocprim17ROCPRIM_400000_NS6detail17trampoline_kernelINS0_14default_configENS1_20scan_config_selectorIsEEZZNS1_9scan_implILNS1_25lookback_scan_determinismE0ELb0ELb0ES3_N6thrust23THRUST_200600_302600_NS6detail15normal_iteratorINS9_10device_ptrIsEEEENS9_16discard_iteratorINS9_11use_defaultEEEsNS9_4plusIvEEsEEDaPvRmT3_T4_T5_mT6_P12ihipStream_tbENKUlT_T0_E_clISt17integral_constantIbLb0EESX_EEDaSS_ST_EUlSS_E_NS1_11comp_targetILNS1_3genE10ELNS1_11target_archE1200ELNS1_3gpuE4ELNS1_3repE0EEENS1_30default_config_static_selectorELNS0_4arch9wavefront6targetE1EEEvT1_,comdat
	.protected	_ZN7rocprim17ROCPRIM_400000_NS6detail17trampoline_kernelINS0_14default_configENS1_20scan_config_selectorIsEEZZNS1_9scan_implILNS1_25lookback_scan_determinismE0ELb0ELb0ES3_N6thrust23THRUST_200600_302600_NS6detail15normal_iteratorINS9_10device_ptrIsEEEENS9_16discard_iteratorINS9_11use_defaultEEEsNS9_4plusIvEEsEEDaPvRmT3_T4_T5_mT6_P12ihipStream_tbENKUlT_T0_E_clISt17integral_constantIbLb0EESX_EEDaSS_ST_EUlSS_E_NS1_11comp_targetILNS1_3genE10ELNS1_11target_archE1200ELNS1_3gpuE4ELNS1_3repE0EEENS1_30default_config_static_selectorELNS0_4arch9wavefront6targetE1EEEvT1_ ; -- Begin function _ZN7rocprim17ROCPRIM_400000_NS6detail17trampoline_kernelINS0_14default_configENS1_20scan_config_selectorIsEEZZNS1_9scan_implILNS1_25lookback_scan_determinismE0ELb0ELb0ES3_N6thrust23THRUST_200600_302600_NS6detail15normal_iteratorINS9_10device_ptrIsEEEENS9_16discard_iteratorINS9_11use_defaultEEEsNS9_4plusIvEEsEEDaPvRmT3_T4_T5_mT6_P12ihipStream_tbENKUlT_T0_E_clISt17integral_constantIbLb0EESX_EEDaSS_ST_EUlSS_E_NS1_11comp_targetILNS1_3genE10ELNS1_11target_archE1200ELNS1_3gpuE4ELNS1_3repE0EEENS1_30default_config_static_selectorELNS0_4arch9wavefront6targetE1EEEvT1_
	.globl	_ZN7rocprim17ROCPRIM_400000_NS6detail17trampoline_kernelINS0_14default_configENS1_20scan_config_selectorIsEEZZNS1_9scan_implILNS1_25lookback_scan_determinismE0ELb0ELb0ES3_N6thrust23THRUST_200600_302600_NS6detail15normal_iteratorINS9_10device_ptrIsEEEENS9_16discard_iteratorINS9_11use_defaultEEEsNS9_4plusIvEEsEEDaPvRmT3_T4_T5_mT6_P12ihipStream_tbENKUlT_T0_E_clISt17integral_constantIbLb0EESX_EEDaSS_ST_EUlSS_E_NS1_11comp_targetILNS1_3genE10ELNS1_11target_archE1200ELNS1_3gpuE4ELNS1_3repE0EEENS1_30default_config_static_selectorELNS0_4arch9wavefront6targetE1EEEvT1_
	.p2align	8
	.type	_ZN7rocprim17ROCPRIM_400000_NS6detail17trampoline_kernelINS0_14default_configENS1_20scan_config_selectorIsEEZZNS1_9scan_implILNS1_25lookback_scan_determinismE0ELb0ELb0ES3_N6thrust23THRUST_200600_302600_NS6detail15normal_iteratorINS9_10device_ptrIsEEEENS9_16discard_iteratorINS9_11use_defaultEEEsNS9_4plusIvEEsEEDaPvRmT3_T4_T5_mT6_P12ihipStream_tbENKUlT_T0_E_clISt17integral_constantIbLb0EESX_EEDaSS_ST_EUlSS_E_NS1_11comp_targetILNS1_3genE10ELNS1_11target_archE1200ELNS1_3gpuE4ELNS1_3repE0EEENS1_30default_config_static_selectorELNS0_4arch9wavefront6targetE1EEEvT1_,@function
_ZN7rocprim17ROCPRIM_400000_NS6detail17trampoline_kernelINS0_14default_configENS1_20scan_config_selectorIsEEZZNS1_9scan_implILNS1_25lookback_scan_determinismE0ELb0ELb0ES3_N6thrust23THRUST_200600_302600_NS6detail15normal_iteratorINS9_10device_ptrIsEEEENS9_16discard_iteratorINS9_11use_defaultEEEsNS9_4plusIvEEsEEDaPvRmT3_T4_T5_mT6_P12ihipStream_tbENKUlT_T0_E_clISt17integral_constantIbLb0EESX_EEDaSS_ST_EUlSS_E_NS1_11comp_targetILNS1_3genE10ELNS1_11target_archE1200ELNS1_3gpuE4ELNS1_3repE0EEENS1_30default_config_static_selectorELNS0_4arch9wavefront6targetE1EEEvT1_: ; @_ZN7rocprim17ROCPRIM_400000_NS6detail17trampoline_kernelINS0_14default_configENS1_20scan_config_selectorIsEEZZNS1_9scan_implILNS1_25lookback_scan_determinismE0ELb0ELb0ES3_N6thrust23THRUST_200600_302600_NS6detail15normal_iteratorINS9_10device_ptrIsEEEENS9_16discard_iteratorINS9_11use_defaultEEEsNS9_4plusIvEEsEEDaPvRmT3_T4_T5_mT6_P12ihipStream_tbENKUlT_T0_E_clISt17integral_constantIbLb0EESX_EEDaSS_ST_EUlSS_E_NS1_11comp_targetILNS1_3genE10ELNS1_11target_archE1200ELNS1_3gpuE4ELNS1_3repE0EEENS1_30default_config_static_selectorELNS0_4arch9wavefront6targetE1EEEvT1_
; %bb.0:
	.section	.rodata,"a",@progbits
	.p2align	6, 0x0
	.amdhsa_kernel _ZN7rocprim17ROCPRIM_400000_NS6detail17trampoline_kernelINS0_14default_configENS1_20scan_config_selectorIsEEZZNS1_9scan_implILNS1_25lookback_scan_determinismE0ELb0ELb0ES3_N6thrust23THRUST_200600_302600_NS6detail15normal_iteratorINS9_10device_ptrIsEEEENS9_16discard_iteratorINS9_11use_defaultEEEsNS9_4plusIvEEsEEDaPvRmT3_T4_T5_mT6_P12ihipStream_tbENKUlT_T0_E_clISt17integral_constantIbLb0EESX_EEDaSS_ST_EUlSS_E_NS1_11comp_targetILNS1_3genE10ELNS1_11target_archE1200ELNS1_3gpuE4ELNS1_3repE0EEENS1_30default_config_static_selectorELNS0_4arch9wavefront6targetE1EEEvT1_
		.amdhsa_group_segment_fixed_size 0
		.amdhsa_private_segment_fixed_size 0
		.amdhsa_kernarg_size 104
		.amdhsa_user_sgpr_count 6
		.amdhsa_user_sgpr_private_segment_buffer 1
		.amdhsa_user_sgpr_dispatch_ptr 0
		.amdhsa_user_sgpr_queue_ptr 0
		.amdhsa_user_sgpr_kernarg_segment_ptr 1
		.amdhsa_user_sgpr_dispatch_id 0
		.amdhsa_user_sgpr_flat_scratch_init 0
		.amdhsa_user_sgpr_kernarg_preload_length 0
		.amdhsa_user_sgpr_kernarg_preload_offset 0
		.amdhsa_user_sgpr_private_segment_size 0
		.amdhsa_uses_dynamic_stack 0
		.amdhsa_system_sgpr_private_segment_wavefront_offset 0
		.amdhsa_system_sgpr_workgroup_id_x 1
		.amdhsa_system_sgpr_workgroup_id_y 0
		.amdhsa_system_sgpr_workgroup_id_z 0
		.amdhsa_system_sgpr_workgroup_info 0
		.amdhsa_system_vgpr_workitem_id 0
		.amdhsa_next_free_vgpr 1
		.amdhsa_next_free_sgpr 0
		.amdhsa_accum_offset 4
		.amdhsa_reserve_vcc 0
		.amdhsa_reserve_flat_scratch 0
		.amdhsa_float_round_mode_32 0
		.amdhsa_float_round_mode_16_64 0
		.amdhsa_float_denorm_mode_32 3
		.amdhsa_float_denorm_mode_16_64 3
		.amdhsa_dx10_clamp 1
		.amdhsa_ieee_mode 1
		.amdhsa_fp16_overflow 0
		.amdhsa_tg_split 0
		.amdhsa_exception_fp_ieee_invalid_op 0
		.amdhsa_exception_fp_denorm_src 0
		.amdhsa_exception_fp_ieee_div_zero 0
		.amdhsa_exception_fp_ieee_overflow 0
		.amdhsa_exception_fp_ieee_underflow 0
		.amdhsa_exception_fp_ieee_inexact 0
		.amdhsa_exception_int_div_zero 0
	.end_amdhsa_kernel
	.section	.text._ZN7rocprim17ROCPRIM_400000_NS6detail17trampoline_kernelINS0_14default_configENS1_20scan_config_selectorIsEEZZNS1_9scan_implILNS1_25lookback_scan_determinismE0ELb0ELb0ES3_N6thrust23THRUST_200600_302600_NS6detail15normal_iteratorINS9_10device_ptrIsEEEENS9_16discard_iteratorINS9_11use_defaultEEEsNS9_4plusIvEEsEEDaPvRmT3_T4_T5_mT6_P12ihipStream_tbENKUlT_T0_E_clISt17integral_constantIbLb0EESX_EEDaSS_ST_EUlSS_E_NS1_11comp_targetILNS1_3genE10ELNS1_11target_archE1200ELNS1_3gpuE4ELNS1_3repE0EEENS1_30default_config_static_selectorELNS0_4arch9wavefront6targetE1EEEvT1_,"axG",@progbits,_ZN7rocprim17ROCPRIM_400000_NS6detail17trampoline_kernelINS0_14default_configENS1_20scan_config_selectorIsEEZZNS1_9scan_implILNS1_25lookback_scan_determinismE0ELb0ELb0ES3_N6thrust23THRUST_200600_302600_NS6detail15normal_iteratorINS9_10device_ptrIsEEEENS9_16discard_iteratorINS9_11use_defaultEEEsNS9_4plusIvEEsEEDaPvRmT3_T4_T5_mT6_P12ihipStream_tbENKUlT_T0_E_clISt17integral_constantIbLb0EESX_EEDaSS_ST_EUlSS_E_NS1_11comp_targetILNS1_3genE10ELNS1_11target_archE1200ELNS1_3gpuE4ELNS1_3repE0EEENS1_30default_config_static_selectorELNS0_4arch9wavefront6targetE1EEEvT1_,comdat
.Lfunc_end5876:
	.size	_ZN7rocprim17ROCPRIM_400000_NS6detail17trampoline_kernelINS0_14default_configENS1_20scan_config_selectorIsEEZZNS1_9scan_implILNS1_25lookback_scan_determinismE0ELb0ELb0ES3_N6thrust23THRUST_200600_302600_NS6detail15normal_iteratorINS9_10device_ptrIsEEEENS9_16discard_iteratorINS9_11use_defaultEEEsNS9_4plusIvEEsEEDaPvRmT3_T4_T5_mT6_P12ihipStream_tbENKUlT_T0_E_clISt17integral_constantIbLb0EESX_EEDaSS_ST_EUlSS_E_NS1_11comp_targetILNS1_3genE10ELNS1_11target_archE1200ELNS1_3gpuE4ELNS1_3repE0EEENS1_30default_config_static_selectorELNS0_4arch9wavefront6targetE1EEEvT1_, .Lfunc_end5876-_ZN7rocprim17ROCPRIM_400000_NS6detail17trampoline_kernelINS0_14default_configENS1_20scan_config_selectorIsEEZZNS1_9scan_implILNS1_25lookback_scan_determinismE0ELb0ELb0ES3_N6thrust23THRUST_200600_302600_NS6detail15normal_iteratorINS9_10device_ptrIsEEEENS9_16discard_iteratorINS9_11use_defaultEEEsNS9_4plusIvEEsEEDaPvRmT3_T4_T5_mT6_P12ihipStream_tbENKUlT_T0_E_clISt17integral_constantIbLb0EESX_EEDaSS_ST_EUlSS_E_NS1_11comp_targetILNS1_3genE10ELNS1_11target_archE1200ELNS1_3gpuE4ELNS1_3repE0EEENS1_30default_config_static_selectorELNS0_4arch9wavefront6targetE1EEEvT1_
                                        ; -- End function
	.section	.AMDGPU.csdata,"",@progbits
; Kernel info:
; codeLenInByte = 0
; NumSgprs: 4
; NumVgprs: 0
; NumAgprs: 0
; TotalNumVgprs: 0
; ScratchSize: 0
; MemoryBound: 0
; FloatMode: 240
; IeeeMode: 1
; LDSByteSize: 0 bytes/workgroup (compile time only)
; SGPRBlocks: 0
; VGPRBlocks: 0
; NumSGPRsForWavesPerEU: 4
; NumVGPRsForWavesPerEU: 1
; AccumOffset: 4
; Occupancy: 8
; WaveLimiterHint : 0
; COMPUTE_PGM_RSRC2:SCRATCH_EN: 0
; COMPUTE_PGM_RSRC2:USER_SGPR: 6
; COMPUTE_PGM_RSRC2:TRAP_HANDLER: 0
; COMPUTE_PGM_RSRC2:TGID_X_EN: 1
; COMPUTE_PGM_RSRC2:TGID_Y_EN: 0
; COMPUTE_PGM_RSRC2:TGID_Z_EN: 0
; COMPUTE_PGM_RSRC2:TIDIG_COMP_CNT: 0
; COMPUTE_PGM_RSRC3_GFX90A:ACCUM_OFFSET: 0
; COMPUTE_PGM_RSRC3_GFX90A:TG_SPLIT: 0
	.section	.text._ZN7rocprim17ROCPRIM_400000_NS6detail17trampoline_kernelINS0_14default_configENS1_20scan_config_selectorIsEEZZNS1_9scan_implILNS1_25lookback_scan_determinismE0ELb0ELb0ES3_N6thrust23THRUST_200600_302600_NS6detail15normal_iteratorINS9_10device_ptrIsEEEENS9_16discard_iteratorINS9_11use_defaultEEEsNS9_4plusIvEEsEEDaPvRmT3_T4_T5_mT6_P12ihipStream_tbENKUlT_T0_E_clISt17integral_constantIbLb0EESX_EEDaSS_ST_EUlSS_E_NS1_11comp_targetILNS1_3genE9ELNS1_11target_archE1100ELNS1_3gpuE3ELNS1_3repE0EEENS1_30default_config_static_selectorELNS0_4arch9wavefront6targetE1EEEvT1_,"axG",@progbits,_ZN7rocprim17ROCPRIM_400000_NS6detail17trampoline_kernelINS0_14default_configENS1_20scan_config_selectorIsEEZZNS1_9scan_implILNS1_25lookback_scan_determinismE0ELb0ELb0ES3_N6thrust23THRUST_200600_302600_NS6detail15normal_iteratorINS9_10device_ptrIsEEEENS9_16discard_iteratorINS9_11use_defaultEEEsNS9_4plusIvEEsEEDaPvRmT3_T4_T5_mT6_P12ihipStream_tbENKUlT_T0_E_clISt17integral_constantIbLb0EESX_EEDaSS_ST_EUlSS_E_NS1_11comp_targetILNS1_3genE9ELNS1_11target_archE1100ELNS1_3gpuE3ELNS1_3repE0EEENS1_30default_config_static_selectorELNS0_4arch9wavefront6targetE1EEEvT1_,comdat
	.protected	_ZN7rocprim17ROCPRIM_400000_NS6detail17trampoline_kernelINS0_14default_configENS1_20scan_config_selectorIsEEZZNS1_9scan_implILNS1_25lookback_scan_determinismE0ELb0ELb0ES3_N6thrust23THRUST_200600_302600_NS6detail15normal_iteratorINS9_10device_ptrIsEEEENS9_16discard_iteratorINS9_11use_defaultEEEsNS9_4plusIvEEsEEDaPvRmT3_T4_T5_mT6_P12ihipStream_tbENKUlT_T0_E_clISt17integral_constantIbLb0EESX_EEDaSS_ST_EUlSS_E_NS1_11comp_targetILNS1_3genE9ELNS1_11target_archE1100ELNS1_3gpuE3ELNS1_3repE0EEENS1_30default_config_static_selectorELNS0_4arch9wavefront6targetE1EEEvT1_ ; -- Begin function _ZN7rocprim17ROCPRIM_400000_NS6detail17trampoline_kernelINS0_14default_configENS1_20scan_config_selectorIsEEZZNS1_9scan_implILNS1_25lookback_scan_determinismE0ELb0ELb0ES3_N6thrust23THRUST_200600_302600_NS6detail15normal_iteratorINS9_10device_ptrIsEEEENS9_16discard_iteratorINS9_11use_defaultEEEsNS9_4plusIvEEsEEDaPvRmT3_T4_T5_mT6_P12ihipStream_tbENKUlT_T0_E_clISt17integral_constantIbLb0EESX_EEDaSS_ST_EUlSS_E_NS1_11comp_targetILNS1_3genE9ELNS1_11target_archE1100ELNS1_3gpuE3ELNS1_3repE0EEENS1_30default_config_static_selectorELNS0_4arch9wavefront6targetE1EEEvT1_
	.globl	_ZN7rocprim17ROCPRIM_400000_NS6detail17trampoline_kernelINS0_14default_configENS1_20scan_config_selectorIsEEZZNS1_9scan_implILNS1_25lookback_scan_determinismE0ELb0ELb0ES3_N6thrust23THRUST_200600_302600_NS6detail15normal_iteratorINS9_10device_ptrIsEEEENS9_16discard_iteratorINS9_11use_defaultEEEsNS9_4plusIvEEsEEDaPvRmT3_T4_T5_mT6_P12ihipStream_tbENKUlT_T0_E_clISt17integral_constantIbLb0EESX_EEDaSS_ST_EUlSS_E_NS1_11comp_targetILNS1_3genE9ELNS1_11target_archE1100ELNS1_3gpuE3ELNS1_3repE0EEENS1_30default_config_static_selectorELNS0_4arch9wavefront6targetE1EEEvT1_
	.p2align	8
	.type	_ZN7rocprim17ROCPRIM_400000_NS6detail17trampoline_kernelINS0_14default_configENS1_20scan_config_selectorIsEEZZNS1_9scan_implILNS1_25lookback_scan_determinismE0ELb0ELb0ES3_N6thrust23THRUST_200600_302600_NS6detail15normal_iteratorINS9_10device_ptrIsEEEENS9_16discard_iteratorINS9_11use_defaultEEEsNS9_4plusIvEEsEEDaPvRmT3_T4_T5_mT6_P12ihipStream_tbENKUlT_T0_E_clISt17integral_constantIbLb0EESX_EEDaSS_ST_EUlSS_E_NS1_11comp_targetILNS1_3genE9ELNS1_11target_archE1100ELNS1_3gpuE3ELNS1_3repE0EEENS1_30default_config_static_selectorELNS0_4arch9wavefront6targetE1EEEvT1_,@function
_ZN7rocprim17ROCPRIM_400000_NS6detail17trampoline_kernelINS0_14default_configENS1_20scan_config_selectorIsEEZZNS1_9scan_implILNS1_25lookback_scan_determinismE0ELb0ELb0ES3_N6thrust23THRUST_200600_302600_NS6detail15normal_iteratorINS9_10device_ptrIsEEEENS9_16discard_iteratorINS9_11use_defaultEEEsNS9_4plusIvEEsEEDaPvRmT3_T4_T5_mT6_P12ihipStream_tbENKUlT_T0_E_clISt17integral_constantIbLb0EESX_EEDaSS_ST_EUlSS_E_NS1_11comp_targetILNS1_3genE9ELNS1_11target_archE1100ELNS1_3gpuE3ELNS1_3repE0EEENS1_30default_config_static_selectorELNS0_4arch9wavefront6targetE1EEEvT1_: ; @_ZN7rocprim17ROCPRIM_400000_NS6detail17trampoline_kernelINS0_14default_configENS1_20scan_config_selectorIsEEZZNS1_9scan_implILNS1_25lookback_scan_determinismE0ELb0ELb0ES3_N6thrust23THRUST_200600_302600_NS6detail15normal_iteratorINS9_10device_ptrIsEEEENS9_16discard_iteratorINS9_11use_defaultEEEsNS9_4plusIvEEsEEDaPvRmT3_T4_T5_mT6_P12ihipStream_tbENKUlT_T0_E_clISt17integral_constantIbLb0EESX_EEDaSS_ST_EUlSS_E_NS1_11comp_targetILNS1_3genE9ELNS1_11target_archE1100ELNS1_3gpuE3ELNS1_3repE0EEENS1_30default_config_static_selectorELNS0_4arch9wavefront6targetE1EEEvT1_
; %bb.0:
	.section	.rodata,"a",@progbits
	.p2align	6, 0x0
	.amdhsa_kernel _ZN7rocprim17ROCPRIM_400000_NS6detail17trampoline_kernelINS0_14default_configENS1_20scan_config_selectorIsEEZZNS1_9scan_implILNS1_25lookback_scan_determinismE0ELb0ELb0ES3_N6thrust23THRUST_200600_302600_NS6detail15normal_iteratorINS9_10device_ptrIsEEEENS9_16discard_iteratorINS9_11use_defaultEEEsNS9_4plusIvEEsEEDaPvRmT3_T4_T5_mT6_P12ihipStream_tbENKUlT_T0_E_clISt17integral_constantIbLb0EESX_EEDaSS_ST_EUlSS_E_NS1_11comp_targetILNS1_3genE9ELNS1_11target_archE1100ELNS1_3gpuE3ELNS1_3repE0EEENS1_30default_config_static_selectorELNS0_4arch9wavefront6targetE1EEEvT1_
		.amdhsa_group_segment_fixed_size 0
		.amdhsa_private_segment_fixed_size 0
		.amdhsa_kernarg_size 104
		.amdhsa_user_sgpr_count 6
		.amdhsa_user_sgpr_private_segment_buffer 1
		.amdhsa_user_sgpr_dispatch_ptr 0
		.amdhsa_user_sgpr_queue_ptr 0
		.amdhsa_user_sgpr_kernarg_segment_ptr 1
		.amdhsa_user_sgpr_dispatch_id 0
		.amdhsa_user_sgpr_flat_scratch_init 0
		.amdhsa_user_sgpr_kernarg_preload_length 0
		.amdhsa_user_sgpr_kernarg_preload_offset 0
		.amdhsa_user_sgpr_private_segment_size 0
		.amdhsa_uses_dynamic_stack 0
		.amdhsa_system_sgpr_private_segment_wavefront_offset 0
		.amdhsa_system_sgpr_workgroup_id_x 1
		.amdhsa_system_sgpr_workgroup_id_y 0
		.amdhsa_system_sgpr_workgroup_id_z 0
		.amdhsa_system_sgpr_workgroup_info 0
		.amdhsa_system_vgpr_workitem_id 0
		.amdhsa_next_free_vgpr 1
		.amdhsa_next_free_sgpr 0
		.amdhsa_accum_offset 4
		.amdhsa_reserve_vcc 0
		.amdhsa_reserve_flat_scratch 0
		.amdhsa_float_round_mode_32 0
		.amdhsa_float_round_mode_16_64 0
		.amdhsa_float_denorm_mode_32 3
		.amdhsa_float_denorm_mode_16_64 3
		.amdhsa_dx10_clamp 1
		.amdhsa_ieee_mode 1
		.amdhsa_fp16_overflow 0
		.amdhsa_tg_split 0
		.amdhsa_exception_fp_ieee_invalid_op 0
		.amdhsa_exception_fp_denorm_src 0
		.amdhsa_exception_fp_ieee_div_zero 0
		.amdhsa_exception_fp_ieee_overflow 0
		.amdhsa_exception_fp_ieee_underflow 0
		.amdhsa_exception_fp_ieee_inexact 0
		.amdhsa_exception_int_div_zero 0
	.end_amdhsa_kernel
	.section	.text._ZN7rocprim17ROCPRIM_400000_NS6detail17trampoline_kernelINS0_14default_configENS1_20scan_config_selectorIsEEZZNS1_9scan_implILNS1_25lookback_scan_determinismE0ELb0ELb0ES3_N6thrust23THRUST_200600_302600_NS6detail15normal_iteratorINS9_10device_ptrIsEEEENS9_16discard_iteratorINS9_11use_defaultEEEsNS9_4plusIvEEsEEDaPvRmT3_T4_T5_mT6_P12ihipStream_tbENKUlT_T0_E_clISt17integral_constantIbLb0EESX_EEDaSS_ST_EUlSS_E_NS1_11comp_targetILNS1_3genE9ELNS1_11target_archE1100ELNS1_3gpuE3ELNS1_3repE0EEENS1_30default_config_static_selectorELNS0_4arch9wavefront6targetE1EEEvT1_,"axG",@progbits,_ZN7rocprim17ROCPRIM_400000_NS6detail17trampoline_kernelINS0_14default_configENS1_20scan_config_selectorIsEEZZNS1_9scan_implILNS1_25lookback_scan_determinismE0ELb0ELb0ES3_N6thrust23THRUST_200600_302600_NS6detail15normal_iteratorINS9_10device_ptrIsEEEENS9_16discard_iteratorINS9_11use_defaultEEEsNS9_4plusIvEEsEEDaPvRmT3_T4_T5_mT6_P12ihipStream_tbENKUlT_T0_E_clISt17integral_constantIbLb0EESX_EEDaSS_ST_EUlSS_E_NS1_11comp_targetILNS1_3genE9ELNS1_11target_archE1100ELNS1_3gpuE3ELNS1_3repE0EEENS1_30default_config_static_selectorELNS0_4arch9wavefront6targetE1EEEvT1_,comdat
.Lfunc_end5877:
	.size	_ZN7rocprim17ROCPRIM_400000_NS6detail17trampoline_kernelINS0_14default_configENS1_20scan_config_selectorIsEEZZNS1_9scan_implILNS1_25lookback_scan_determinismE0ELb0ELb0ES3_N6thrust23THRUST_200600_302600_NS6detail15normal_iteratorINS9_10device_ptrIsEEEENS9_16discard_iteratorINS9_11use_defaultEEEsNS9_4plusIvEEsEEDaPvRmT3_T4_T5_mT6_P12ihipStream_tbENKUlT_T0_E_clISt17integral_constantIbLb0EESX_EEDaSS_ST_EUlSS_E_NS1_11comp_targetILNS1_3genE9ELNS1_11target_archE1100ELNS1_3gpuE3ELNS1_3repE0EEENS1_30default_config_static_selectorELNS0_4arch9wavefront6targetE1EEEvT1_, .Lfunc_end5877-_ZN7rocprim17ROCPRIM_400000_NS6detail17trampoline_kernelINS0_14default_configENS1_20scan_config_selectorIsEEZZNS1_9scan_implILNS1_25lookback_scan_determinismE0ELb0ELb0ES3_N6thrust23THRUST_200600_302600_NS6detail15normal_iteratorINS9_10device_ptrIsEEEENS9_16discard_iteratorINS9_11use_defaultEEEsNS9_4plusIvEEsEEDaPvRmT3_T4_T5_mT6_P12ihipStream_tbENKUlT_T0_E_clISt17integral_constantIbLb0EESX_EEDaSS_ST_EUlSS_E_NS1_11comp_targetILNS1_3genE9ELNS1_11target_archE1100ELNS1_3gpuE3ELNS1_3repE0EEENS1_30default_config_static_selectorELNS0_4arch9wavefront6targetE1EEEvT1_
                                        ; -- End function
	.section	.AMDGPU.csdata,"",@progbits
; Kernel info:
; codeLenInByte = 0
; NumSgprs: 4
; NumVgprs: 0
; NumAgprs: 0
; TotalNumVgprs: 0
; ScratchSize: 0
; MemoryBound: 0
; FloatMode: 240
; IeeeMode: 1
; LDSByteSize: 0 bytes/workgroup (compile time only)
; SGPRBlocks: 0
; VGPRBlocks: 0
; NumSGPRsForWavesPerEU: 4
; NumVGPRsForWavesPerEU: 1
; AccumOffset: 4
; Occupancy: 8
; WaveLimiterHint : 0
; COMPUTE_PGM_RSRC2:SCRATCH_EN: 0
; COMPUTE_PGM_RSRC2:USER_SGPR: 6
; COMPUTE_PGM_RSRC2:TRAP_HANDLER: 0
; COMPUTE_PGM_RSRC2:TGID_X_EN: 1
; COMPUTE_PGM_RSRC2:TGID_Y_EN: 0
; COMPUTE_PGM_RSRC2:TGID_Z_EN: 0
; COMPUTE_PGM_RSRC2:TIDIG_COMP_CNT: 0
; COMPUTE_PGM_RSRC3_GFX90A:ACCUM_OFFSET: 0
; COMPUTE_PGM_RSRC3_GFX90A:TG_SPLIT: 0
	.section	.text._ZN7rocprim17ROCPRIM_400000_NS6detail17trampoline_kernelINS0_14default_configENS1_20scan_config_selectorIsEEZZNS1_9scan_implILNS1_25lookback_scan_determinismE0ELb0ELb0ES3_N6thrust23THRUST_200600_302600_NS6detail15normal_iteratorINS9_10device_ptrIsEEEENS9_16discard_iteratorINS9_11use_defaultEEEsNS9_4plusIvEEsEEDaPvRmT3_T4_T5_mT6_P12ihipStream_tbENKUlT_T0_E_clISt17integral_constantIbLb0EESX_EEDaSS_ST_EUlSS_E_NS1_11comp_targetILNS1_3genE8ELNS1_11target_archE1030ELNS1_3gpuE2ELNS1_3repE0EEENS1_30default_config_static_selectorELNS0_4arch9wavefront6targetE1EEEvT1_,"axG",@progbits,_ZN7rocprim17ROCPRIM_400000_NS6detail17trampoline_kernelINS0_14default_configENS1_20scan_config_selectorIsEEZZNS1_9scan_implILNS1_25lookback_scan_determinismE0ELb0ELb0ES3_N6thrust23THRUST_200600_302600_NS6detail15normal_iteratorINS9_10device_ptrIsEEEENS9_16discard_iteratorINS9_11use_defaultEEEsNS9_4plusIvEEsEEDaPvRmT3_T4_T5_mT6_P12ihipStream_tbENKUlT_T0_E_clISt17integral_constantIbLb0EESX_EEDaSS_ST_EUlSS_E_NS1_11comp_targetILNS1_3genE8ELNS1_11target_archE1030ELNS1_3gpuE2ELNS1_3repE0EEENS1_30default_config_static_selectorELNS0_4arch9wavefront6targetE1EEEvT1_,comdat
	.protected	_ZN7rocprim17ROCPRIM_400000_NS6detail17trampoline_kernelINS0_14default_configENS1_20scan_config_selectorIsEEZZNS1_9scan_implILNS1_25lookback_scan_determinismE0ELb0ELb0ES3_N6thrust23THRUST_200600_302600_NS6detail15normal_iteratorINS9_10device_ptrIsEEEENS9_16discard_iteratorINS9_11use_defaultEEEsNS9_4plusIvEEsEEDaPvRmT3_T4_T5_mT6_P12ihipStream_tbENKUlT_T0_E_clISt17integral_constantIbLb0EESX_EEDaSS_ST_EUlSS_E_NS1_11comp_targetILNS1_3genE8ELNS1_11target_archE1030ELNS1_3gpuE2ELNS1_3repE0EEENS1_30default_config_static_selectorELNS0_4arch9wavefront6targetE1EEEvT1_ ; -- Begin function _ZN7rocprim17ROCPRIM_400000_NS6detail17trampoline_kernelINS0_14default_configENS1_20scan_config_selectorIsEEZZNS1_9scan_implILNS1_25lookback_scan_determinismE0ELb0ELb0ES3_N6thrust23THRUST_200600_302600_NS6detail15normal_iteratorINS9_10device_ptrIsEEEENS9_16discard_iteratorINS9_11use_defaultEEEsNS9_4plusIvEEsEEDaPvRmT3_T4_T5_mT6_P12ihipStream_tbENKUlT_T0_E_clISt17integral_constantIbLb0EESX_EEDaSS_ST_EUlSS_E_NS1_11comp_targetILNS1_3genE8ELNS1_11target_archE1030ELNS1_3gpuE2ELNS1_3repE0EEENS1_30default_config_static_selectorELNS0_4arch9wavefront6targetE1EEEvT1_
	.globl	_ZN7rocprim17ROCPRIM_400000_NS6detail17trampoline_kernelINS0_14default_configENS1_20scan_config_selectorIsEEZZNS1_9scan_implILNS1_25lookback_scan_determinismE0ELb0ELb0ES3_N6thrust23THRUST_200600_302600_NS6detail15normal_iteratorINS9_10device_ptrIsEEEENS9_16discard_iteratorINS9_11use_defaultEEEsNS9_4plusIvEEsEEDaPvRmT3_T4_T5_mT6_P12ihipStream_tbENKUlT_T0_E_clISt17integral_constantIbLb0EESX_EEDaSS_ST_EUlSS_E_NS1_11comp_targetILNS1_3genE8ELNS1_11target_archE1030ELNS1_3gpuE2ELNS1_3repE0EEENS1_30default_config_static_selectorELNS0_4arch9wavefront6targetE1EEEvT1_
	.p2align	8
	.type	_ZN7rocprim17ROCPRIM_400000_NS6detail17trampoline_kernelINS0_14default_configENS1_20scan_config_selectorIsEEZZNS1_9scan_implILNS1_25lookback_scan_determinismE0ELb0ELb0ES3_N6thrust23THRUST_200600_302600_NS6detail15normal_iteratorINS9_10device_ptrIsEEEENS9_16discard_iteratorINS9_11use_defaultEEEsNS9_4plusIvEEsEEDaPvRmT3_T4_T5_mT6_P12ihipStream_tbENKUlT_T0_E_clISt17integral_constantIbLb0EESX_EEDaSS_ST_EUlSS_E_NS1_11comp_targetILNS1_3genE8ELNS1_11target_archE1030ELNS1_3gpuE2ELNS1_3repE0EEENS1_30default_config_static_selectorELNS0_4arch9wavefront6targetE1EEEvT1_,@function
_ZN7rocprim17ROCPRIM_400000_NS6detail17trampoline_kernelINS0_14default_configENS1_20scan_config_selectorIsEEZZNS1_9scan_implILNS1_25lookback_scan_determinismE0ELb0ELb0ES3_N6thrust23THRUST_200600_302600_NS6detail15normal_iteratorINS9_10device_ptrIsEEEENS9_16discard_iteratorINS9_11use_defaultEEEsNS9_4plusIvEEsEEDaPvRmT3_T4_T5_mT6_P12ihipStream_tbENKUlT_T0_E_clISt17integral_constantIbLb0EESX_EEDaSS_ST_EUlSS_E_NS1_11comp_targetILNS1_3genE8ELNS1_11target_archE1030ELNS1_3gpuE2ELNS1_3repE0EEENS1_30default_config_static_selectorELNS0_4arch9wavefront6targetE1EEEvT1_: ; @_ZN7rocprim17ROCPRIM_400000_NS6detail17trampoline_kernelINS0_14default_configENS1_20scan_config_selectorIsEEZZNS1_9scan_implILNS1_25lookback_scan_determinismE0ELb0ELb0ES3_N6thrust23THRUST_200600_302600_NS6detail15normal_iteratorINS9_10device_ptrIsEEEENS9_16discard_iteratorINS9_11use_defaultEEEsNS9_4plusIvEEsEEDaPvRmT3_T4_T5_mT6_P12ihipStream_tbENKUlT_T0_E_clISt17integral_constantIbLb0EESX_EEDaSS_ST_EUlSS_E_NS1_11comp_targetILNS1_3genE8ELNS1_11target_archE1030ELNS1_3gpuE2ELNS1_3repE0EEENS1_30default_config_static_selectorELNS0_4arch9wavefront6targetE1EEEvT1_
; %bb.0:
	.section	.rodata,"a",@progbits
	.p2align	6, 0x0
	.amdhsa_kernel _ZN7rocprim17ROCPRIM_400000_NS6detail17trampoline_kernelINS0_14default_configENS1_20scan_config_selectorIsEEZZNS1_9scan_implILNS1_25lookback_scan_determinismE0ELb0ELb0ES3_N6thrust23THRUST_200600_302600_NS6detail15normal_iteratorINS9_10device_ptrIsEEEENS9_16discard_iteratorINS9_11use_defaultEEEsNS9_4plusIvEEsEEDaPvRmT3_T4_T5_mT6_P12ihipStream_tbENKUlT_T0_E_clISt17integral_constantIbLb0EESX_EEDaSS_ST_EUlSS_E_NS1_11comp_targetILNS1_3genE8ELNS1_11target_archE1030ELNS1_3gpuE2ELNS1_3repE0EEENS1_30default_config_static_selectorELNS0_4arch9wavefront6targetE1EEEvT1_
		.amdhsa_group_segment_fixed_size 0
		.amdhsa_private_segment_fixed_size 0
		.amdhsa_kernarg_size 104
		.amdhsa_user_sgpr_count 6
		.amdhsa_user_sgpr_private_segment_buffer 1
		.amdhsa_user_sgpr_dispatch_ptr 0
		.amdhsa_user_sgpr_queue_ptr 0
		.amdhsa_user_sgpr_kernarg_segment_ptr 1
		.amdhsa_user_sgpr_dispatch_id 0
		.amdhsa_user_sgpr_flat_scratch_init 0
		.amdhsa_user_sgpr_kernarg_preload_length 0
		.amdhsa_user_sgpr_kernarg_preload_offset 0
		.amdhsa_user_sgpr_private_segment_size 0
		.amdhsa_uses_dynamic_stack 0
		.amdhsa_system_sgpr_private_segment_wavefront_offset 0
		.amdhsa_system_sgpr_workgroup_id_x 1
		.amdhsa_system_sgpr_workgroup_id_y 0
		.amdhsa_system_sgpr_workgroup_id_z 0
		.amdhsa_system_sgpr_workgroup_info 0
		.amdhsa_system_vgpr_workitem_id 0
		.amdhsa_next_free_vgpr 1
		.amdhsa_next_free_sgpr 0
		.amdhsa_accum_offset 4
		.amdhsa_reserve_vcc 0
		.amdhsa_reserve_flat_scratch 0
		.amdhsa_float_round_mode_32 0
		.amdhsa_float_round_mode_16_64 0
		.amdhsa_float_denorm_mode_32 3
		.amdhsa_float_denorm_mode_16_64 3
		.amdhsa_dx10_clamp 1
		.amdhsa_ieee_mode 1
		.amdhsa_fp16_overflow 0
		.amdhsa_tg_split 0
		.amdhsa_exception_fp_ieee_invalid_op 0
		.amdhsa_exception_fp_denorm_src 0
		.amdhsa_exception_fp_ieee_div_zero 0
		.amdhsa_exception_fp_ieee_overflow 0
		.amdhsa_exception_fp_ieee_underflow 0
		.amdhsa_exception_fp_ieee_inexact 0
		.amdhsa_exception_int_div_zero 0
	.end_amdhsa_kernel
	.section	.text._ZN7rocprim17ROCPRIM_400000_NS6detail17trampoline_kernelINS0_14default_configENS1_20scan_config_selectorIsEEZZNS1_9scan_implILNS1_25lookback_scan_determinismE0ELb0ELb0ES3_N6thrust23THRUST_200600_302600_NS6detail15normal_iteratorINS9_10device_ptrIsEEEENS9_16discard_iteratorINS9_11use_defaultEEEsNS9_4plusIvEEsEEDaPvRmT3_T4_T5_mT6_P12ihipStream_tbENKUlT_T0_E_clISt17integral_constantIbLb0EESX_EEDaSS_ST_EUlSS_E_NS1_11comp_targetILNS1_3genE8ELNS1_11target_archE1030ELNS1_3gpuE2ELNS1_3repE0EEENS1_30default_config_static_selectorELNS0_4arch9wavefront6targetE1EEEvT1_,"axG",@progbits,_ZN7rocprim17ROCPRIM_400000_NS6detail17trampoline_kernelINS0_14default_configENS1_20scan_config_selectorIsEEZZNS1_9scan_implILNS1_25lookback_scan_determinismE0ELb0ELb0ES3_N6thrust23THRUST_200600_302600_NS6detail15normal_iteratorINS9_10device_ptrIsEEEENS9_16discard_iteratorINS9_11use_defaultEEEsNS9_4plusIvEEsEEDaPvRmT3_T4_T5_mT6_P12ihipStream_tbENKUlT_T0_E_clISt17integral_constantIbLb0EESX_EEDaSS_ST_EUlSS_E_NS1_11comp_targetILNS1_3genE8ELNS1_11target_archE1030ELNS1_3gpuE2ELNS1_3repE0EEENS1_30default_config_static_selectorELNS0_4arch9wavefront6targetE1EEEvT1_,comdat
.Lfunc_end5878:
	.size	_ZN7rocprim17ROCPRIM_400000_NS6detail17trampoline_kernelINS0_14default_configENS1_20scan_config_selectorIsEEZZNS1_9scan_implILNS1_25lookback_scan_determinismE0ELb0ELb0ES3_N6thrust23THRUST_200600_302600_NS6detail15normal_iteratorINS9_10device_ptrIsEEEENS9_16discard_iteratorINS9_11use_defaultEEEsNS9_4plusIvEEsEEDaPvRmT3_T4_T5_mT6_P12ihipStream_tbENKUlT_T0_E_clISt17integral_constantIbLb0EESX_EEDaSS_ST_EUlSS_E_NS1_11comp_targetILNS1_3genE8ELNS1_11target_archE1030ELNS1_3gpuE2ELNS1_3repE0EEENS1_30default_config_static_selectorELNS0_4arch9wavefront6targetE1EEEvT1_, .Lfunc_end5878-_ZN7rocprim17ROCPRIM_400000_NS6detail17trampoline_kernelINS0_14default_configENS1_20scan_config_selectorIsEEZZNS1_9scan_implILNS1_25lookback_scan_determinismE0ELb0ELb0ES3_N6thrust23THRUST_200600_302600_NS6detail15normal_iteratorINS9_10device_ptrIsEEEENS9_16discard_iteratorINS9_11use_defaultEEEsNS9_4plusIvEEsEEDaPvRmT3_T4_T5_mT6_P12ihipStream_tbENKUlT_T0_E_clISt17integral_constantIbLb0EESX_EEDaSS_ST_EUlSS_E_NS1_11comp_targetILNS1_3genE8ELNS1_11target_archE1030ELNS1_3gpuE2ELNS1_3repE0EEENS1_30default_config_static_selectorELNS0_4arch9wavefront6targetE1EEEvT1_
                                        ; -- End function
	.section	.AMDGPU.csdata,"",@progbits
; Kernel info:
; codeLenInByte = 0
; NumSgprs: 4
; NumVgprs: 0
; NumAgprs: 0
; TotalNumVgprs: 0
; ScratchSize: 0
; MemoryBound: 0
; FloatMode: 240
; IeeeMode: 1
; LDSByteSize: 0 bytes/workgroup (compile time only)
; SGPRBlocks: 0
; VGPRBlocks: 0
; NumSGPRsForWavesPerEU: 4
; NumVGPRsForWavesPerEU: 1
; AccumOffset: 4
; Occupancy: 8
; WaveLimiterHint : 0
; COMPUTE_PGM_RSRC2:SCRATCH_EN: 0
; COMPUTE_PGM_RSRC2:USER_SGPR: 6
; COMPUTE_PGM_RSRC2:TRAP_HANDLER: 0
; COMPUTE_PGM_RSRC2:TGID_X_EN: 1
; COMPUTE_PGM_RSRC2:TGID_Y_EN: 0
; COMPUTE_PGM_RSRC2:TGID_Z_EN: 0
; COMPUTE_PGM_RSRC2:TIDIG_COMP_CNT: 0
; COMPUTE_PGM_RSRC3_GFX90A:ACCUM_OFFSET: 0
; COMPUTE_PGM_RSRC3_GFX90A:TG_SPLIT: 0
	.section	.text._ZN7rocprim17ROCPRIM_400000_NS6detail17trampoline_kernelINS0_14default_configENS1_20scan_config_selectorIsEEZZNS1_9scan_implILNS1_25lookback_scan_determinismE0ELb0ELb0ES3_N6thrust23THRUST_200600_302600_NS6detail15normal_iteratorINS9_10device_ptrIsEEEENS9_16discard_iteratorINS9_11use_defaultEEEsNS9_4plusIvEEsEEDaPvRmT3_T4_T5_mT6_P12ihipStream_tbENKUlT_T0_E_clISt17integral_constantIbLb0EESX_EEDaSS_ST_EUlSS_E0_NS1_11comp_targetILNS1_3genE0ELNS1_11target_archE4294967295ELNS1_3gpuE0ELNS1_3repE0EEENS1_30default_config_static_selectorELNS0_4arch9wavefront6targetE1EEEvT1_,"axG",@progbits,_ZN7rocprim17ROCPRIM_400000_NS6detail17trampoline_kernelINS0_14default_configENS1_20scan_config_selectorIsEEZZNS1_9scan_implILNS1_25lookback_scan_determinismE0ELb0ELb0ES3_N6thrust23THRUST_200600_302600_NS6detail15normal_iteratorINS9_10device_ptrIsEEEENS9_16discard_iteratorINS9_11use_defaultEEEsNS9_4plusIvEEsEEDaPvRmT3_T4_T5_mT6_P12ihipStream_tbENKUlT_T0_E_clISt17integral_constantIbLb0EESX_EEDaSS_ST_EUlSS_E0_NS1_11comp_targetILNS1_3genE0ELNS1_11target_archE4294967295ELNS1_3gpuE0ELNS1_3repE0EEENS1_30default_config_static_selectorELNS0_4arch9wavefront6targetE1EEEvT1_,comdat
	.protected	_ZN7rocprim17ROCPRIM_400000_NS6detail17trampoline_kernelINS0_14default_configENS1_20scan_config_selectorIsEEZZNS1_9scan_implILNS1_25lookback_scan_determinismE0ELb0ELb0ES3_N6thrust23THRUST_200600_302600_NS6detail15normal_iteratorINS9_10device_ptrIsEEEENS9_16discard_iteratorINS9_11use_defaultEEEsNS9_4plusIvEEsEEDaPvRmT3_T4_T5_mT6_P12ihipStream_tbENKUlT_T0_E_clISt17integral_constantIbLb0EESX_EEDaSS_ST_EUlSS_E0_NS1_11comp_targetILNS1_3genE0ELNS1_11target_archE4294967295ELNS1_3gpuE0ELNS1_3repE0EEENS1_30default_config_static_selectorELNS0_4arch9wavefront6targetE1EEEvT1_ ; -- Begin function _ZN7rocprim17ROCPRIM_400000_NS6detail17trampoline_kernelINS0_14default_configENS1_20scan_config_selectorIsEEZZNS1_9scan_implILNS1_25lookback_scan_determinismE0ELb0ELb0ES3_N6thrust23THRUST_200600_302600_NS6detail15normal_iteratorINS9_10device_ptrIsEEEENS9_16discard_iteratorINS9_11use_defaultEEEsNS9_4plusIvEEsEEDaPvRmT3_T4_T5_mT6_P12ihipStream_tbENKUlT_T0_E_clISt17integral_constantIbLb0EESX_EEDaSS_ST_EUlSS_E0_NS1_11comp_targetILNS1_3genE0ELNS1_11target_archE4294967295ELNS1_3gpuE0ELNS1_3repE0EEENS1_30default_config_static_selectorELNS0_4arch9wavefront6targetE1EEEvT1_
	.globl	_ZN7rocprim17ROCPRIM_400000_NS6detail17trampoline_kernelINS0_14default_configENS1_20scan_config_selectorIsEEZZNS1_9scan_implILNS1_25lookback_scan_determinismE0ELb0ELb0ES3_N6thrust23THRUST_200600_302600_NS6detail15normal_iteratorINS9_10device_ptrIsEEEENS9_16discard_iteratorINS9_11use_defaultEEEsNS9_4plusIvEEsEEDaPvRmT3_T4_T5_mT6_P12ihipStream_tbENKUlT_T0_E_clISt17integral_constantIbLb0EESX_EEDaSS_ST_EUlSS_E0_NS1_11comp_targetILNS1_3genE0ELNS1_11target_archE4294967295ELNS1_3gpuE0ELNS1_3repE0EEENS1_30default_config_static_selectorELNS0_4arch9wavefront6targetE1EEEvT1_
	.p2align	8
	.type	_ZN7rocprim17ROCPRIM_400000_NS6detail17trampoline_kernelINS0_14default_configENS1_20scan_config_selectorIsEEZZNS1_9scan_implILNS1_25lookback_scan_determinismE0ELb0ELb0ES3_N6thrust23THRUST_200600_302600_NS6detail15normal_iteratorINS9_10device_ptrIsEEEENS9_16discard_iteratorINS9_11use_defaultEEEsNS9_4plusIvEEsEEDaPvRmT3_T4_T5_mT6_P12ihipStream_tbENKUlT_T0_E_clISt17integral_constantIbLb0EESX_EEDaSS_ST_EUlSS_E0_NS1_11comp_targetILNS1_3genE0ELNS1_11target_archE4294967295ELNS1_3gpuE0ELNS1_3repE0EEENS1_30default_config_static_selectorELNS0_4arch9wavefront6targetE1EEEvT1_,@function
_ZN7rocprim17ROCPRIM_400000_NS6detail17trampoline_kernelINS0_14default_configENS1_20scan_config_selectorIsEEZZNS1_9scan_implILNS1_25lookback_scan_determinismE0ELb0ELb0ES3_N6thrust23THRUST_200600_302600_NS6detail15normal_iteratorINS9_10device_ptrIsEEEENS9_16discard_iteratorINS9_11use_defaultEEEsNS9_4plusIvEEsEEDaPvRmT3_T4_T5_mT6_P12ihipStream_tbENKUlT_T0_E_clISt17integral_constantIbLb0EESX_EEDaSS_ST_EUlSS_E0_NS1_11comp_targetILNS1_3genE0ELNS1_11target_archE4294967295ELNS1_3gpuE0ELNS1_3repE0EEENS1_30default_config_static_selectorELNS0_4arch9wavefront6targetE1EEEvT1_: ; @_ZN7rocprim17ROCPRIM_400000_NS6detail17trampoline_kernelINS0_14default_configENS1_20scan_config_selectorIsEEZZNS1_9scan_implILNS1_25lookback_scan_determinismE0ELb0ELb0ES3_N6thrust23THRUST_200600_302600_NS6detail15normal_iteratorINS9_10device_ptrIsEEEENS9_16discard_iteratorINS9_11use_defaultEEEsNS9_4plusIvEEsEEDaPvRmT3_T4_T5_mT6_P12ihipStream_tbENKUlT_T0_E_clISt17integral_constantIbLb0EESX_EEDaSS_ST_EUlSS_E0_NS1_11comp_targetILNS1_3genE0ELNS1_11target_archE4294967295ELNS1_3gpuE0ELNS1_3repE0EEENS1_30default_config_static_selectorELNS0_4arch9wavefront6targetE1EEEvT1_
; %bb.0:
	.section	.rodata,"a",@progbits
	.p2align	6, 0x0
	.amdhsa_kernel _ZN7rocprim17ROCPRIM_400000_NS6detail17trampoline_kernelINS0_14default_configENS1_20scan_config_selectorIsEEZZNS1_9scan_implILNS1_25lookback_scan_determinismE0ELb0ELb0ES3_N6thrust23THRUST_200600_302600_NS6detail15normal_iteratorINS9_10device_ptrIsEEEENS9_16discard_iteratorINS9_11use_defaultEEEsNS9_4plusIvEEsEEDaPvRmT3_T4_T5_mT6_P12ihipStream_tbENKUlT_T0_E_clISt17integral_constantIbLb0EESX_EEDaSS_ST_EUlSS_E0_NS1_11comp_targetILNS1_3genE0ELNS1_11target_archE4294967295ELNS1_3gpuE0ELNS1_3repE0EEENS1_30default_config_static_selectorELNS0_4arch9wavefront6targetE1EEEvT1_
		.amdhsa_group_segment_fixed_size 0
		.amdhsa_private_segment_fixed_size 0
		.amdhsa_kernarg_size 40
		.amdhsa_user_sgpr_count 6
		.amdhsa_user_sgpr_private_segment_buffer 1
		.amdhsa_user_sgpr_dispatch_ptr 0
		.amdhsa_user_sgpr_queue_ptr 0
		.amdhsa_user_sgpr_kernarg_segment_ptr 1
		.amdhsa_user_sgpr_dispatch_id 0
		.amdhsa_user_sgpr_flat_scratch_init 0
		.amdhsa_user_sgpr_kernarg_preload_length 0
		.amdhsa_user_sgpr_kernarg_preload_offset 0
		.amdhsa_user_sgpr_private_segment_size 0
		.amdhsa_uses_dynamic_stack 0
		.amdhsa_system_sgpr_private_segment_wavefront_offset 0
		.amdhsa_system_sgpr_workgroup_id_x 1
		.amdhsa_system_sgpr_workgroup_id_y 0
		.amdhsa_system_sgpr_workgroup_id_z 0
		.amdhsa_system_sgpr_workgroup_info 0
		.amdhsa_system_vgpr_workitem_id 0
		.amdhsa_next_free_vgpr 1
		.amdhsa_next_free_sgpr 0
		.amdhsa_accum_offset 4
		.amdhsa_reserve_vcc 0
		.amdhsa_reserve_flat_scratch 0
		.amdhsa_float_round_mode_32 0
		.amdhsa_float_round_mode_16_64 0
		.amdhsa_float_denorm_mode_32 3
		.amdhsa_float_denorm_mode_16_64 3
		.amdhsa_dx10_clamp 1
		.amdhsa_ieee_mode 1
		.amdhsa_fp16_overflow 0
		.amdhsa_tg_split 0
		.amdhsa_exception_fp_ieee_invalid_op 0
		.amdhsa_exception_fp_denorm_src 0
		.amdhsa_exception_fp_ieee_div_zero 0
		.amdhsa_exception_fp_ieee_overflow 0
		.amdhsa_exception_fp_ieee_underflow 0
		.amdhsa_exception_fp_ieee_inexact 0
		.amdhsa_exception_int_div_zero 0
	.end_amdhsa_kernel
	.section	.text._ZN7rocprim17ROCPRIM_400000_NS6detail17trampoline_kernelINS0_14default_configENS1_20scan_config_selectorIsEEZZNS1_9scan_implILNS1_25lookback_scan_determinismE0ELb0ELb0ES3_N6thrust23THRUST_200600_302600_NS6detail15normal_iteratorINS9_10device_ptrIsEEEENS9_16discard_iteratorINS9_11use_defaultEEEsNS9_4plusIvEEsEEDaPvRmT3_T4_T5_mT6_P12ihipStream_tbENKUlT_T0_E_clISt17integral_constantIbLb0EESX_EEDaSS_ST_EUlSS_E0_NS1_11comp_targetILNS1_3genE0ELNS1_11target_archE4294967295ELNS1_3gpuE0ELNS1_3repE0EEENS1_30default_config_static_selectorELNS0_4arch9wavefront6targetE1EEEvT1_,"axG",@progbits,_ZN7rocprim17ROCPRIM_400000_NS6detail17trampoline_kernelINS0_14default_configENS1_20scan_config_selectorIsEEZZNS1_9scan_implILNS1_25lookback_scan_determinismE0ELb0ELb0ES3_N6thrust23THRUST_200600_302600_NS6detail15normal_iteratorINS9_10device_ptrIsEEEENS9_16discard_iteratorINS9_11use_defaultEEEsNS9_4plusIvEEsEEDaPvRmT3_T4_T5_mT6_P12ihipStream_tbENKUlT_T0_E_clISt17integral_constantIbLb0EESX_EEDaSS_ST_EUlSS_E0_NS1_11comp_targetILNS1_3genE0ELNS1_11target_archE4294967295ELNS1_3gpuE0ELNS1_3repE0EEENS1_30default_config_static_selectorELNS0_4arch9wavefront6targetE1EEEvT1_,comdat
.Lfunc_end5879:
	.size	_ZN7rocprim17ROCPRIM_400000_NS6detail17trampoline_kernelINS0_14default_configENS1_20scan_config_selectorIsEEZZNS1_9scan_implILNS1_25lookback_scan_determinismE0ELb0ELb0ES3_N6thrust23THRUST_200600_302600_NS6detail15normal_iteratorINS9_10device_ptrIsEEEENS9_16discard_iteratorINS9_11use_defaultEEEsNS9_4plusIvEEsEEDaPvRmT3_T4_T5_mT6_P12ihipStream_tbENKUlT_T0_E_clISt17integral_constantIbLb0EESX_EEDaSS_ST_EUlSS_E0_NS1_11comp_targetILNS1_3genE0ELNS1_11target_archE4294967295ELNS1_3gpuE0ELNS1_3repE0EEENS1_30default_config_static_selectorELNS0_4arch9wavefront6targetE1EEEvT1_, .Lfunc_end5879-_ZN7rocprim17ROCPRIM_400000_NS6detail17trampoline_kernelINS0_14default_configENS1_20scan_config_selectorIsEEZZNS1_9scan_implILNS1_25lookback_scan_determinismE0ELb0ELb0ES3_N6thrust23THRUST_200600_302600_NS6detail15normal_iteratorINS9_10device_ptrIsEEEENS9_16discard_iteratorINS9_11use_defaultEEEsNS9_4plusIvEEsEEDaPvRmT3_T4_T5_mT6_P12ihipStream_tbENKUlT_T0_E_clISt17integral_constantIbLb0EESX_EEDaSS_ST_EUlSS_E0_NS1_11comp_targetILNS1_3genE0ELNS1_11target_archE4294967295ELNS1_3gpuE0ELNS1_3repE0EEENS1_30default_config_static_selectorELNS0_4arch9wavefront6targetE1EEEvT1_
                                        ; -- End function
	.section	.AMDGPU.csdata,"",@progbits
; Kernel info:
; codeLenInByte = 0
; NumSgprs: 4
; NumVgprs: 0
; NumAgprs: 0
; TotalNumVgprs: 0
; ScratchSize: 0
; MemoryBound: 0
; FloatMode: 240
; IeeeMode: 1
; LDSByteSize: 0 bytes/workgroup (compile time only)
; SGPRBlocks: 0
; VGPRBlocks: 0
; NumSGPRsForWavesPerEU: 4
; NumVGPRsForWavesPerEU: 1
; AccumOffset: 4
; Occupancy: 8
; WaveLimiterHint : 0
; COMPUTE_PGM_RSRC2:SCRATCH_EN: 0
; COMPUTE_PGM_RSRC2:USER_SGPR: 6
; COMPUTE_PGM_RSRC2:TRAP_HANDLER: 0
; COMPUTE_PGM_RSRC2:TGID_X_EN: 1
; COMPUTE_PGM_RSRC2:TGID_Y_EN: 0
; COMPUTE_PGM_RSRC2:TGID_Z_EN: 0
; COMPUTE_PGM_RSRC2:TIDIG_COMP_CNT: 0
; COMPUTE_PGM_RSRC3_GFX90A:ACCUM_OFFSET: 0
; COMPUTE_PGM_RSRC3_GFX90A:TG_SPLIT: 0
	.section	.text._ZN7rocprim17ROCPRIM_400000_NS6detail17trampoline_kernelINS0_14default_configENS1_20scan_config_selectorIsEEZZNS1_9scan_implILNS1_25lookback_scan_determinismE0ELb0ELb0ES3_N6thrust23THRUST_200600_302600_NS6detail15normal_iteratorINS9_10device_ptrIsEEEENS9_16discard_iteratorINS9_11use_defaultEEEsNS9_4plusIvEEsEEDaPvRmT3_T4_T5_mT6_P12ihipStream_tbENKUlT_T0_E_clISt17integral_constantIbLb0EESX_EEDaSS_ST_EUlSS_E0_NS1_11comp_targetILNS1_3genE5ELNS1_11target_archE942ELNS1_3gpuE9ELNS1_3repE0EEENS1_30default_config_static_selectorELNS0_4arch9wavefront6targetE1EEEvT1_,"axG",@progbits,_ZN7rocprim17ROCPRIM_400000_NS6detail17trampoline_kernelINS0_14default_configENS1_20scan_config_selectorIsEEZZNS1_9scan_implILNS1_25lookback_scan_determinismE0ELb0ELb0ES3_N6thrust23THRUST_200600_302600_NS6detail15normal_iteratorINS9_10device_ptrIsEEEENS9_16discard_iteratorINS9_11use_defaultEEEsNS9_4plusIvEEsEEDaPvRmT3_T4_T5_mT6_P12ihipStream_tbENKUlT_T0_E_clISt17integral_constantIbLb0EESX_EEDaSS_ST_EUlSS_E0_NS1_11comp_targetILNS1_3genE5ELNS1_11target_archE942ELNS1_3gpuE9ELNS1_3repE0EEENS1_30default_config_static_selectorELNS0_4arch9wavefront6targetE1EEEvT1_,comdat
	.protected	_ZN7rocprim17ROCPRIM_400000_NS6detail17trampoline_kernelINS0_14default_configENS1_20scan_config_selectorIsEEZZNS1_9scan_implILNS1_25lookback_scan_determinismE0ELb0ELb0ES3_N6thrust23THRUST_200600_302600_NS6detail15normal_iteratorINS9_10device_ptrIsEEEENS9_16discard_iteratorINS9_11use_defaultEEEsNS9_4plusIvEEsEEDaPvRmT3_T4_T5_mT6_P12ihipStream_tbENKUlT_T0_E_clISt17integral_constantIbLb0EESX_EEDaSS_ST_EUlSS_E0_NS1_11comp_targetILNS1_3genE5ELNS1_11target_archE942ELNS1_3gpuE9ELNS1_3repE0EEENS1_30default_config_static_selectorELNS0_4arch9wavefront6targetE1EEEvT1_ ; -- Begin function _ZN7rocprim17ROCPRIM_400000_NS6detail17trampoline_kernelINS0_14default_configENS1_20scan_config_selectorIsEEZZNS1_9scan_implILNS1_25lookback_scan_determinismE0ELb0ELb0ES3_N6thrust23THRUST_200600_302600_NS6detail15normal_iteratorINS9_10device_ptrIsEEEENS9_16discard_iteratorINS9_11use_defaultEEEsNS9_4plusIvEEsEEDaPvRmT3_T4_T5_mT6_P12ihipStream_tbENKUlT_T0_E_clISt17integral_constantIbLb0EESX_EEDaSS_ST_EUlSS_E0_NS1_11comp_targetILNS1_3genE5ELNS1_11target_archE942ELNS1_3gpuE9ELNS1_3repE0EEENS1_30default_config_static_selectorELNS0_4arch9wavefront6targetE1EEEvT1_
	.globl	_ZN7rocprim17ROCPRIM_400000_NS6detail17trampoline_kernelINS0_14default_configENS1_20scan_config_selectorIsEEZZNS1_9scan_implILNS1_25lookback_scan_determinismE0ELb0ELb0ES3_N6thrust23THRUST_200600_302600_NS6detail15normal_iteratorINS9_10device_ptrIsEEEENS9_16discard_iteratorINS9_11use_defaultEEEsNS9_4plusIvEEsEEDaPvRmT3_T4_T5_mT6_P12ihipStream_tbENKUlT_T0_E_clISt17integral_constantIbLb0EESX_EEDaSS_ST_EUlSS_E0_NS1_11comp_targetILNS1_3genE5ELNS1_11target_archE942ELNS1_3gpuE9ELNS1_3repE0EEENS1_30default_config_static_selectorELNS0_4arch9wavefront6targetE1EEEvT1_
	.p2align	8
	.type	_ZN7rocprim17ROCPRIM_400000_NS6detail17trampoline_kernelINS0_14default_configENS1_20scan_config_selectorIsEEZZNS1_9scan_implILNS1_25lookback_scan_determinismE0ELb0ELb0ES3_N6thrust23THRUST_200600_302600_NS6detail15normal_iteratorINS9_10device_ptrIsEEEENS9_16discard_iteratorINS9_11use_defaultEEEsNS9_4plusIvEEsEEDaPvRmT3_T4_T5_mT6_P12ihipStream_tbENKUlT_T0_E_clISt17integral_constantIbLb0EESX_EEDaSS_ST_EUlSS_E0_NS1_11comp_targetILNS1_3genE5ELNS1_11target_archE942ELNS1_3gpuE9ELNS1_3repE0EEENS1_30default_config_static_selectorELNS0_4arch9wavefront6targetE1EEEvT1_,@function
_ZN7rocprim17ROCPRIM_400000_NS6detail17trampoline_kernelINS0_14default_configENS1_20scan_config_selectorIsEEZZNS1_9scan_implILNS1_25lookback_scan_determinismE0ELb0ELb0ES3_N6thrust23THRUST_200600_302600_NS6detail15normal_iteratorINS9_10device_ptrIsEEEENS9_16discard_iteratorINS9_11use_defaultEEEsNS9_4plusIvEEsEEDaPvRmT3_T4_T5_mT6_P12ihipStream_tbENKUlT_T0_E_clISt17integral_constantIbLb0EESX_EEDaSS_ST_EUlSS_E0_NS1_11comp_targetILNS1_3genE5ELNS1_11target_archE942ELNS1_3gpuE9ELNS1_3repE0EEENS1_30default_config_static_selectorELNS0_4arch9wavefront6targetE1EEEvT1_: ; @_ZN7rocprim17ROCPRIM_400000_NS6detail17trampoline_kernelINS0_14default_configENS1_20scan_config_selectorIsEEZZNS1_9scan_implILNS1_25lookback_scan_determinismE0ELb0ELb0ES3_N6thrust23THRUST_200600_302600_NS6detail15normal_iteratorINS9_10device_ptrIsEEEENS9_16discard_iteratorINS9_11use_defaultEEEsNS9_4plusIvEEsEEDaPvRmT3_T4_T5_mT6_P12ihipStream_tbENKUlT_T0_E_clISt17integral_constantIbLb0EESX_EEDaSS_ST_EUlSS_E0_NS1_11comp_targetILNS1_3genE5ELNS1_11target_archE942ELNS1_3gpuE9ELNS1_3repE0EEENS1_30default_config_static_selectorELNS0_4arch9wavefront6targetE1EEEvT1_
; %bb.0:
	.section	.rodata,"a",@progbits
	.p2align	6, 0x0
	.amdhsa_kernel _ZN7rocprim17ROCPRIM_400000_NS6detail17trampoline_kernelINS0_14default_configENS1_20scan_config_selectorIsEEZZNS1_9scan_implILNS1_25lookback_scan_determinismE0ELb0ELb0ES3_N6thrust23THRUST_200600_302600_NS6detail15normal_iteratorINS9_10device_ptrIsEEEENS9_16discard_iteratorINS9_11use_defaultEEEsNS9_4plusIvEEsEEDaPvRmT3_T4_T5_mT6_P12ihipStream_tbENKUlT_T0_E_clISt17integral_constantIbLb0EESX_EEDaSS_ST_EUlSS_E0_NS1_11comp_targetILNS1_3genE5ELNS1_11target_archE942ELNS1_3gpuE9ELNS1_3repE0EEENS1_30default_config_static_selectorELNS0_4arch9wavefront6targetE1EEEvT1_
		.amdhsa_group_segment_fixed_size 0
		.amdhsa_private_segment_fixed_size 0
		.amdhsa_kernarg_size 40
		.amdhsa_user_sgpr_count 6
		.amdhsa_user_sgpr_private_segment_buffer 1
		.amdhsa_user_sgpr_dispatch_ptr 0
		.amdhsa_user_sgpr_queue_ptr 0
		.amdhsa_user_sgpr_kernarg_segment_ptr 1
		.amdhsa_user_sgpr_dispatch_id 0
		.amdhsa_user_sgpr_flat_scratch_init 0
		.amdhsa_user_sgpr_kernarg_preload_length 0
		.amdhsa_user_sgpr_kernarg_preload_offset 0
		.amdhsa_user_sgpr_private_segment_size 0
		.amdhsa_uses_dynamic_stack 0
		.amdhsa_system_sgpr_private_segment_wavefront_offset 0
		.amdhsa_system_sgpr_workgroup_id_x 1
		.amdhsa_system_sgpr_workgroup_id_y 0
		.amdhsa_system_sgpr_workgroup_id_z 0
		.amdhsa_system_sgpr_workgroup_info 0
		.amdhsa_system_vgpr_workitem_id 0
		.amdhsa_next_free_vgpr 1
		.amdhsa_next_free_sgpr 0
		.amdhsa_accum_offset 4
		.amdhsa_reserve_vcc 0
		.amdhsa_reserve_flat_scratch 0
		.amdhsa_float_round_mode_32 0
		.amdhsa_float_round_mode_16_64 0
		.amdhsa_float_denorm_mode_32 3
		.amdhsa_float_denorm_mode_16_64 3
		.amdhsa_dx10_clamp 1
		.amdhsa_ieee_mode 1
		.amdhsa_fp16_overflow 0
		.amdhsa_tg_split 0
		.amdhsa_exception_fp_ieee_invalid_op 0
		.amdhsa_exception_fp_denorm_src 0
		.amdhsa_exception_fp_ieee_div_zero 0
		.amdhsa_exception_fp_ieee_overflow 0
		.amdhsa_exception_fp_ieee_underflow 0
		.amdhsa_exception_fp_ieee_inexact 0
		.amdhsa_exception_int_div_zero 0
	.end_amdhsa_kernel
	.section	.text._ZN7rocprim17ROCPRIM_400000_NS6detail17trampoline_kernelINS0_14default_configENS1_20scan_config_selectorIsEEZZNS1_9scan_implILNS1_25lookback_scan_determinismE0ELb0ELb0ES3_N6thrust23THRUST_200600_302600_NS6detail15normal_iteratorINS9_10device_ptrIsEEEENS9_16discard_iteratorINS9_11use_defaultEEEsNS9_4plusIvEEsEEDaPvRmT3_T4_T5_mT6_P12ihipStream_tbENKUlT_T0_E_clISt17integral_constantIbLb0EESX_EEDaSS_ST_EUlSS_E0_NS1_11comp_targetILNS1_3genE5ELNS1_11target_archE942ELNS1_3gpuE9ELNS1_3repE0EEENS1_30default_config_static_selectorELNS0_4arch9wavefront6targetE1EEEvT1_,"axG",@progbits,_ZN7rocprim17ROCPRIM_400000_NS6detail17trampoline_kernelINS0_14default_configENS1_20scan_config_selectorIsEEZZNS1_9scan_implILNS1_25lookback_scan_determinismE0ELb0ELb0ES3_N6thrust23THRUST_200600_302600_NS6detail15normal_iteratorINS9_10device_ptrIsEEEENS9_16discard_iteratorINS9_11use_defaultEEEsNS9_4plusIvEEsEEDaPvRmT3_T4_T5_mT6_P12ihipStream_tbENKUlT_T0_E_clISt17integral_constantIbLb0EESX_EEDaSS_ST_EUlSS_E0_NS1_11comp_targetILNS1_3genE5ELNS1_11target_archE942ELNS1_3gpuE9ELNS1_3repE0EEENS1_30default_config_static_selectorELNS0_4arch9wavefront6targetE1EEEvT1_,comdat
.Lfunc_end5880:
	.size	_ZN7rocprim17ROCPRIM_400000_NS6detail17trampoline_kernelINS0_14default_configENS1_20scan_config_selectorIsEEZZNS1_9scan_implILNS1_25lookback_scan_determinismE0ELb0ELb0ES3_N6thrust23THRUST_200600_302600_NS6detail15normal_iteratorINS9_10device_ptrIsEEEENS9_16discard_iteratorINS9_11use_defaultEEEsNS9_4plusIvEEsEEDaPvRmT3_T4_T5_mT6_P12ihipStream_tbENKUlT_T0_E_clISt17integral_constantIbLb0EESX_EEDaSS_ST_EUlSS_E0_NS1_11comp_targetILNS1_3genE5ELNS1_11target_archE942ELNS1_3gpuE9ELNS1_3repE0EEENS1_30default_config_static_selectorELNS0_4arch9wavefront6targetE1EEEvT1_, .Lfunc_end5880-_ZN7rocprim17ROCPRIM_400000_NS6detail17trampoline_kernelINS0_14default_configENS1_20scan_config_selectorIsEEZZNS1_9scan_implILNS1_25lookback_scan_determinismE0ELb0ELb0ES3_N6thrust23THRUST_200600_302600_NS6detail15normal_iteratorINS9_10device_ptrIsEEEENS9_16discard_iteratorINS9_11use_defaultEEEsNS9_4plusIvEEsEEDaPvRmT3_T4_T5_mT6_P12ihipStream_tbENKUlT_T0_E_clISt17integral_constantIbLb0EESX_EEDaSS_ST_EUlSS_E0_NS1_11comp_targetILNS1_3genE5ELNS1_11target_archE942ELNS1_3gpuE9ELNS1_3repE0EEENS1_30default_config_static_selectorELNS0_4arch9wavefront6targetE1EEEvT1_
                                        ; -- End function
	.section	.AMDGPU.csdata,"",@progbits
; Kernel info:
; codeLenInByte = 0
; NumSgprs: 4
; NumVgprs: 0
; NumAgprs: 0
; TotalNumVgprs: 0
; ScratchSize: 0
; MemoryBound: 0
; FloatMode: 240
; IeeeMode: 1
; LDSByteSize: 0 bytes/workgroup (compile time only)
; SGPRBlocks: 0
; VGPRBlocks: 0
; NumSGPRsForWavesPerEU: 4
; NumVGPRsForWavesPerEU: 1
; AccumOffset: 4
; Occupancy: 8
; WaveLimiterHint : 0
; COMPUTE_PGM_RSRC2:SCRATCH_EN: 0
; COMPUTE_PGM_RSRC2:USER_SGPR: 6
; COMPUTE_PGM_RSRC2:TRAP_HANDLER: 0
; COMPUTE_PGM_RSRC2:TGID_X_EN: 1
; COMPUTE_PGM_RSRC2:TGID_Y_EN: 0
; COMPUTE_PGM_RSRC2:TGID_Z_EN: 0
; COMPUTE_PGM_RSRC2:TIDIG_COMP_CNT: 0
; COMPUTE_PGM_RSRC3_GFX90A:ACCUM_OFFSET: 0
; COMPUTE_PGM_RSRC3_GFX90A:TG_SPLIT: 0
	.section	.text._ZN7rocprim17ROCPRIM_400000_NS6detail17trampoline_kernelINS0_14default_configENS1_20scan_config_selectorIsEEZZNS1_9scan_implILNS1_25lookback_scan_determinismE0ELb0ELb0ES3_N6thrust23THRUST_200600_302600_NS6detail15normal_iteratorINS9_10device_ptrIsEEEENS9_16discard_iteratorINS9_11use_defaultEEEsNS9_4plusIvEEsEEDaPvRmT3_T4_T5_mT6_P12ihipStream_tbENKUlT_T0_E_clISt17integral_constantIbLb0EESX_EEDaSS_ST_EUlSS_E0_NS1_11comp_targetILNS1_3genE4ELNS1_11target_archE910ELNS1_3gpuE8ELNS1_3repE0EEENS1_30default_config_static_selectorELNS0_4arch9wavefront6targetE1EEEvT1_,"axG",@progbits,_ZN7rocprim17ROCPRIM_400000_NS6detail17trampoline_kernelINS0_14default_configENS1_20scan_config_selectorIsEEZZNS1_9scan_implILNS1_25lookback_scan_determinismE0ELb0ELb0ES3_N6thrust23THRUST_200600_302600_NS6detail15normal_iteratorINS9_10device_ptrIsEEEENS9_16discard_iteratorINS9_11use_defaultEEEsNS9_4plusIvEEsEEDaPvRmT3_T4_T5_mT6_P12ihipStream_tbENKUlT_T0_E_clISt17integral_constantIbLb0EESX_EEDaSS_ST_EUlSS_E0_NS1_11comp_targetILNS1_3genE4ELNS1_11target_archE910ELNS1_3gpuE8ELNS1_3repE0EEENS1_30default_config_static_selectorELNS0_4arch9wavefront6targetE1EEEvT1_,comdat
	.protected	_ZN7rocprim17ROCPRIM_400000_NS6detail17trampoline_kernelINS0_14default_configENS1_20scan_config_selectorIsEEZZNS1_9scan_implILNS1_25lookback_scan_determinismE0ELb0ELb0ES3_N6thrust23THRUST_200600_302600_NS6detail15normal_iteratorINS9_10device_ptrIsEEEENS9_16discard_iteratorINS9_11use_defaultEEEsNS9_4plusIvEEsEEDaPvRmT3_T4_T5_mT6_P12ihipStream_tbENKUlT_T0_E_clISt17integral_constantIbLb0EESX_EEDaSS_ST_EUlSS_E0_NS1_11comp_targetILNS1_3genE4ELNS1_11target_archE910ELNS1_3gpuE8ELNS1_3repE0EEENS1_30default_config_static_selectorELNS0_4arch9wavefront6targetE1EEEvT1_ ; -- Begin function _ZN7rocprim17ROCPRIM_400000_NS6detail17trampoline_kernelINS0_14default_configENS1_20scan_config_selectorIsEEZZNS1_9scan_implILNS1_25lookback_scan_determinismE0ELb0ELb0ES3_N6thrust23THRUST_200600_302600_NS6detail15normal_iteratorINS9_10device_ptrIsEEEENS9_16discard_iteratorINS9_11use_defaultEEEsNS9_4plusIvEEsEEDaPvRmT3_T4_T5_mT6_P12ihipStream_tbENKUlT_T0_E_clISt17integral_constantIbLb0EESX_EEDaSS_ST_EUlSS_E0_NS1_11comp_targetILNS1_3genE4ELNS1_11target_archE910ELNS1_3gpuE8ELNS1_3repE0EEENS1_30default_config_static_selectorELNS0_4arch9wavefront6targetE1EEEvT1_
	.globl	_ZN7rocprim17ROCPRIM_400000_NS6detail17trampoline_kernelINS0_14default_configENS1_20scan_config_selectorIsEEZZNS1_9scan_implILNS1_25lookback_scan_determinismE0ELb0ELb0ES3_N6thrust23THRUST_200600_302600_NS6detail15normal_iteratorINS9_10device_ptrIsEEEENS9_16discard_iteratorINS9_11use_defaultEEEsNS9_4plusIvEEsEEDaPvRmT3_T4_T5_mT6_P12ihipStream_tbENKUlT_T0_E_clISt17integral_constantIbLb0EESX_EEDaSS_ST_EUlSS_E0_NS1_11comp_targetILNS1_3genE4ELNS1_11target_archE910ELNS1_3gpuE8ELNS1_3repE0EEENS1_30default_config_static_selectorELNS0_4arch9wavefront6targetE1EEEvT1_
	.p2align	8
	.type	_ZN7rocprim17ROCPRIM_400000_NS6detail17trampoline_kernelINS0_14default_configENS1_20scan_config_selectorIsEEZZNS1_9scan_implILNS1_25lookback_scan_determinismE0ELb0ELb0ES3_N6thrust23THRUST_200600_302600_NS6detail15normal_iteratorINS9_10device_ptrIsEEEENS9_16discard_iteratorINS9_11use_defaultEEEsNS9_4plusIvEEsEEDaPvRmT3_T4_T5_mT6_P12ihipStream_tbENKUlT_T0_E_clISt17integral_constantIbLb0EESX_EEDaSS_ST_EUlSS_E0_NS1_11comp_targetILNS1_3genE4ELNS1_11target_archE910ELNS1_3gpuE8ELNS1_3repE0EEENS1_30default_config_static_selectorELNS0_4arch9wavefront6targetE1EEEvT1_,@function
_ZN7rocprim17ROCPRIM_400000_NS6detail17trampoline_kernelINS0_14default_configENS1_20scan_config_selectorIsEEZZNS1_9scan_implILNS1_25lookback_scan_determinismE0ELb0ELb0ES3_N6thrust23THRUST_200600_302600_NS6detail15normal_iteratorINS9_10device_ptrIsEEEENS9_16discard_iteratorINS9_11use_defaultEEEsNS9_4plusIvEEsEEDaPvRmT3_T4_T5_mT6_P12ihipStream_tbENKUlT_T0_E_clISt17integral_constantIbLb0EESX_EEDaSS_ST_EUlSS_E0_NS1_11comp_targetILNS1_3genE4ELNS1_11target_archE910ELNS1_3gpuE8ELNS1_3repE0EEENS1_30default_config_static_selectorELNS0_4arch9wavefront6targetE1EEEvT1_: ; @_ZN7rocprim17ROCPRIM_400000_NS6detail17trampoline_kernelINS0_14default_configENS1_20scan_config_selectorIsEEZZNS1_9scan_implILNS1_25lookback_scan_determinismE0ELb0ELb0ES3_N6thrust23THRUST_200600_302600_NS6detail15normal_iteratorINS9_10device_ptrIsEEEENS9_16discard_iteratorINS9_11use_defaultEEEsNS9_4plusIvEEsEEDaPvRmT3_T4_T5_mT6_P12ihipStream_tbENKUlT_T0_E_clISt17integral_constantIbLb0EESX_EEDaSS_ST_EUlSS_E0_NS1_11comp_targetILNS1_3genE4ELNS1_11target_archE910ELNS1_3gpuE8ELNS1_3repE0EEENS1_30default_config_static_selectorELNS0_4arch9wavefront6targetE1EEEvT1_
; %bb.0:
	s_load_dwordx4 s[0:3], s[4:5], 0x0
	v_mov_b32_e32 v1, 0
	s_waitcnt lgkmcnt(0)
	global_load_ushort v2, v1, s[0:1]
	v_cmp_gt_u32_e32 vcc, s2, v0
	v_lshlrev_b32_e32 v1, 1, v0
	s_waitcnt vmcnt(0)
	v_mov_b32_e32 v3, v2
	s_and_saveexec_b64 s[4:5], vcc
	s_cbranch_execz .LBB5881_2
; %bb.1:
	global_load_ushort v3, v1, s[0:1]
.LBB5881_2:
	s_or_b64 exec, exec, s[4:5]
	v_or_b32_e32 v4, 64, v0
	v_cmp_gt_u32_e32 vcc, s2, v4
	v_mov_b32_e32 v4, v2
	s_and_saveexec_b64 s[4:5], vcc
	s_cbranch_execz .LBB5881_4
; %bb.3:
	global_load_ushort v4, v1, s[0:1] offset:128
.LBB5881_4:
	s_or_b64 exec, exec, s[4:5]
	v_or_b32_e32 v5, 0x80, v0
	v_cmp_gt_u32_e32 vcc, s2, v5
	v_mov_b32_e32 v5, v2
	s_and_saveexec_b64 s[4:5], vcc
	s_cbranch_execz .LBB5881_6
; %bb.5:
	global_load_ushort v5, v1, s[0:1] offset:256
.LBB5881_6:
	;; [unrolled: 9-line block ×22, first 2 shown]
	s_or_b64 exec, exec, s[4:5]
	v_or_b32_e32 v26, 0x5c0, v0
	v_cmp_gt_u32_e32 vcc, s2, v26
	s_and_saveexec_b64 s[2:3], vcc
	s_cbranch_execz .LBB5881_48
; %bb.47:
	global_load_ushort v2, v1, s[0:1] offset:2944
.LBB5881_48:
	s_or_b64 exec, exec, s[2:3]
	s_waitcnt vmcnt(0)
	ds_write_b16 v1, v3
	ds_write_b16 v1, v4 offset:128
	ds_write_b16 v1, v5 offset:256
	;; [unrolled: 1-line block ×23, first 2 shown]
	v_mad_u32_u24 v6, v0, 46, v1
	s_waitcnt lgkmcnt(0)
	; wave barrier
	s_waitcnt lgkmcnt(0)
	ds_read_b128 v[2:5], v6
	ds_read_b128 v[10:13], v6 offset:16
	ds_read_b128 v[6:9], v6 offset:32
	v_mbcnt_lo_u32_b32 v37, -1, 0
	v_mbcnt_hi_u32_b32 v37, -1, v37
	s_waitcnt lgkmcnt(2)
	v_add_u16_sdwa v14, v2, v2 dst_sel:DWORD dst_unused:UNUSED_PAD src0_sel:WORD_1 src1_sel:DWORD
	v_add_u16_e32 v15, v14, v3
	v_add_u16_sdwa v17, v15, v3 dst_sel:DWORD dst_unused:UNUSED_PAD src0_sel:DWORD src1_sel:WORD_1
	v_add_u16_e32 v19, v17, v4
	v_add_u16_sdwa v21, v19, v4 dst_sel:DWORD dst_unused:UNUSED_PAD src0_sel:DWORD src1_sel:WORD_1
	;; [unrolled: 2-line block ×3, first 2 shown]
	s_waitcnt lgkmcnt(1)
	v_add_u16_e32 v16, v27, v10
	v_add_u16_sdwa v18, v16, v10 dst_sel:DWORD dst_unused:UNUSED_PAD src0_sel:DWORD src1_sel:WORD_1
	v_add_u16_e32 v20, v18, v11
	v_add_u16_sdwa v23, v20, v11 dst_sel:DWORD dst_unused:UNUSED_PAD src0_sel:DWORD src1_sel:WORD_1
	;; [unrolled: 2-line block ×4, first 2 shown]
	s_waitcnt lgkmcnt(0)
	v_add_u16_e32 v22, v33, v6
	v_add_u16_sdwa v25, v22, v6 dst_sel:DWORD dst_unused:UNUSED_PAD src0_sel:DWORD src1_sel:WORD_1
	v_add_u16_e32 v28, v25, v7
	v_add_u16_sdwa v30, v28, v7 dst_sel:DWORD dst_unused:UNUSED_PAD src0_sel:DWORD src1_sel:WORD_1
	;; [unrolled: 2-line block ×4, first 2 shown]
	v_and_b32_e32 v38, 15, v37
	v_cmp_ne_u32_e32 vcc, 0, v38
	v_mov_b32_dpp v39, v36 row_shr:1 row_mask:0xf bank_mask:0xf
	v_cndmask_b32_e32 v39, 0, v39, vcc
	v_add_u16_e32 v39, v39, v36
	v_cmp_lt_u32_e32 vcc, 1, v38
	s_nop 0
	v_mov_b32_dpp v40, v39 row_shr:2 row_mask:0xf bank_mask:0xf
	v_cndmask_b32_e32 v40, 0, v40, vcc
	v_add_u16_e32 v39, v39, v40
	v_cmp_lt_u32_e32 vcc, 3, v38
	; wave barrier
	s_nop 0
	v_mov_b32_dpp v40, v39 row_shr:4 row_mask:0xf bank_mask:0xf
	v_cndmask_b32_e32 v40, 0, v40, vcc
	v_add_u16_e32 v39, v39, v40
	v_cmp_lt_u32_e32 vcc, 7, v38
	s_nop 0
	v_mov_b32_dpp v40, v39 row_shr:8 row_mask:0xf bank_mask:0xf
	v_cndmask_b32_e32 v38, 0, v40, vcc
	v_add_u16_e32 v38, v39, v38
	v_and_b32_e32 v40, 16, v37
	v_cmp_ne_u32_e32 vcc, 0, v40
	v_mov_b32_dpp v39, v38 row_bcast:15 row_mask:0xf bank_mask:0xf
	v_cndmask_b32_e32 v39, 0, v39, vcc
	v_add_u16_e32 v38, v38, v39
	v_cmp_lt_u32_e32 vcc, 31, v37
	s_nop 0
	v_mov_b32_dpp v39, v38 row_bcast:31 row_mask:0xf bank_mask:0xf
	v_cndmask_b32_e32 v39, 0, v39, vcc
	v_add_u16_e32 v38, v38, v39
	v_cmp_eq_u32_e32 vcc, 63, v0
	s_and_saveexec_b64 s[0:1], vcc
	s_cbranch_execz .LBB5881_50
; %bb.49:
	v_mov_b32_e32 v39, 0
	ds_write_b16 v39, v38
.LBB5881_50:
	s_or_b64 exec, exec, s[0:1]
	v_add_u32_e32 v39, -1, v37
	v_and_b32_e32 v40, 64, v37
	v_cmp_lt_i32_e32 vcc, v39, v40
	v_cndmask_b32_e32 v37, v39, v37, vcc
	v_lshlrev_b32_e32 v37, 2, v37
	ds_bpermute_b32 v38, v37, v38
	v_mul_u32_u24_e32 v37, 46, v0
	v_cmp_ne_u32_e32 vcc, 0, v0
	s_waitcnt lgkmcnt(0)
	; wave barrier
	s_waitcnt lgkmcnt(0)
	s_and_saveexec_b64 s[0:1], vcc
	s_cbranch_execz .LBB5881_52
; %bb.51:
	v_add_u16_e32 v0, v2, v38
	v_add_u16_sdwa v14, v0, v2 dst_sel:DWORD dst_unused:UNUSED_PAD src0_sel:DWORD src1_sel:WORD_1
	v_add_u16_e32 v15, v14, v3
	v_add_u16_sdwa v17, v15, v3 dst_sel:DWORD dst_unused:UNUSED_PAD src0_sel:DWORD src1_sel:WORD_1
	;; [unrolled: 2-line block ×12, first 2 shown]
	v_mov_b32_e32 v2, v0
	;;#ASMSTART
	;;#ASMEND
.LBB5881_52:
	s_or_b64 exec, exec, s[0:1]
	s_mov_b32 s0, 0x5040100
	v_add_u32_e32 v6, v1, v37
	v_perm_b32 v5, v27, v24, s0
	v_perm_b32 v4, v21, v19, s0
	;; [unrolled: 1-line block ×4, first 2 shown]
	s_waitcnt lgkmcnt(0)
	; wave barrier
	ds_write_b128 v6, v[2:5]
	v_perm_b32 v3, v33, v31, s0
	v_perm_b32 v2, v29, v26, s0
	;; [unrolled: 1-line block ×4, first 2 shown]
	ds_write_b128 v6, v[0:3] offset:16
	v_perm_b32 v3, v36, v35, s0
	v_perm_b32 v2, v34, v32, s0
	;; [unrolled: 1-line block ×4, first 2 shown]
	ds_write_b128 v6, v[0:3] offset:32
	s_waitcnt lgkmcnt(0)
	; wave barrier
	s_waitcnt lgkmcnt(0)
	s_endpgm
	.section	.rodata,"a",@progbits
	.p2align	6, 0x0
	.amdhsa_kernel _ZN7rocprim17ROCPRIM_400000_NS6detail17trampoline_kernelINS0_14default_configENS1_20scan_config_selectorIsEEZZNS1_9scan_implILNS1_25lookback_scan_determinismE0ELb0ELb0ES3_N6thrust23THRUST_200600_302600_NS6detail15normal_iteratorINS9_10device_ptrIsEEEENS9_16discard_iteratorINS9_11use_defaultEEEsNS9_4plusIvEEsEEDaPvRmT3_T4_T5_mT6_P12ihipStream_tbENKUlT_T0_E_clISt17integral_constantIbLb0EESX_EEDaSS_ST_EUlSS_E0_NS1_11comp_targetILNS1_3genE4ELNS1_11target_archE910ELNS1_3gpuE8ELNS1_3repE0EEENS1_30default_config_static_selectorELNS0_4arch9wavefront6targetE1EEEvT1_
		.amdhsa_group_segment_fixed_size 3072
		.amdhsa_private_segment_fixed_size 0
		.amdhsa_kernarg_size 40
		.amdhsa_user_sgpr_count 6
		.amdhsa_user_sgpr_private_segment_buffer 1
		.amdhsa_user_sgpr_dispatch_ptr 0
		.amdhsa_user_sgpr_queue_ptr 0
		.amdhsa_user_sgpr_kernarg_segment_ptr 1
		.amdhsa_user_sgpr_dispatch_id 0
		.amdhsa_user_sgpr_flat_scratch_init 0
		.amdhsa_user_sgpr_kernarg_preload_length 0
		.amdhsa_user_sgpr_kernarg_preload_offset 0
		.amdhsa_user_sgpr_private_segment_size 0
		.amdhsa_uses_dynamic_stack 0
		.amdhsa_system_sgpr_private_segment_wavefront_offset 0
		.amdhsa_system_sgpr_workgroup_id_x 1
		.amdhsa_system_sgpr_workgroup_id_y 0
		.amdhsa_system_sgpr_workgroup_id_z 0
		.amdhsa_system_sgpr_workgroup_info 0
		.amdhsa_system_vgpr_workitem_id 0
		.amdhsa_next_free_vgpr 41
		.amdhsa_next_free_sgpr 6
		.amdhsa_accum_offset 44
		.amdhsa_reserve_vcc 1
		.amdhsa_reserve_flat_scratch 0
		.amdhsa_float_round_mode_32 0
		.amdhsa_float_round_mode_16_64 0
		.amdhsa_float_denorm_mode_32 3
		.amdhsa_float_denorm_mode_16_64 3
		.amdhsa_dx10_clamp 1
		.amdhsa_ieee_mode 1
		.amdhsa_fp16_overflow 0
		.amdhsa_tg_split 0
		.amdhsa_exception_fp_ieee_invalid_op 0
		.amdhsa_exception_fp_denorm_src 0
		.amdhsa_exception_fp_ieee_div_zero 0
		.amdhsa_exception_fp_ieee_overflow 0
		.amdhsa_exception_fp_ieee_underflow 0
		.amdhsa_exception_fp_ieee_inexact 0
		.amdhsa_exception_int_div_zero 0
	.end_amdhsa_kernel
	.section	.text._ZN7rocprim17ROCPRIM_400000_NS6detail17trampoline_kernelINS0_14default_configENS1_20scan_config_selectorIsEEZZNS1_9scan_implILNS1_25lookback_scan_determinismE0ELb0ELb0ES3_N6thrust23THRUST_200600_302600_NS6detail15normal_iteratorINS9_10device_ptrIsEEEENS9_16discard_iteratorINS9_11use_defaultEEEsNS9_4plusIvEEsEEDaPvRmT3_T4_T5_mT6_P12ihipStream_tbENKUlT_T0_E_clISt17integral_constantIbLb0EESX_EEDaSS_ST_EUlSS_E0_NS1_11comp_targetILNS1_3genE4ELNS1_11target_archE910ELNS1_3gpuE8ELNS1_3repE0EEENS1_30default_config_static_selectorELNS0_4arch9wavefront6targetE1EEEvT1_,"axG",@progbits,_ZN7rocprim17ROCPRIM_400000_NS6detail17trampoline_kernelINS0_14default_configENS1_20scan_config_selectorIsEEZZNS1_9scan_implILNS1_25lookback_scan_determinismE0ELb0ELb0ES3_N6thrust23THRUST_200600_302600_NS6detail15normal_iteratorINS9_10device_ptrIsEEEENS9_16discard_iteratorINS9_11use_defaultEEEsNS9_4plusIvEEsEEDaPvRmT3_T4_T5_mT6_P12ihipStream_tbENKUlT_T0_E_clISt17integral_constantIbLb0EESX_EEDaSS_ST_EUlSS_E0_NS1_11comp_targetILNS1_3genE4ELNS1_11target_archE910ELNS1_3gpuE8ELNS1_3repE0EEENS1_30default_config_static_selectorELNS0_4arch9wavefront6targetE1EEEvT1_,comdat
.Lfunc_end5881:
	.size	_ZN7rocprim17ROCPRIM_400000_NS6detail17trampoline_kernelINS0_14default_configENS1_20scan_config_selectorIsEEZZNS1_9scan_implILNS1_25lookback_scan_determinismE0ELb0ELb0ES3_N6thrust23THRUST_200600_302600_NS6detail15normal_iteratorINS9_10device_ptrIsEEEENS9_16discard_iteratorINS9_11use_defaultEEEsNS9_4plusIvEEsEEDaPvRmT3_T4_T5_mT6_P12ihipStream_tbENKUlT_T0_E_clISt17integral_constantIbLb0EESX_EEDaSS_ST_EUlSS_E0_NS1_11comp_targetILNS1_3genE4ELNS1_11target_archE910ELNS1_3gpuE8ELNS1_3repE0EEENS1_30default_config_static_selectorELNS0_4arch9wavefront6targetE1EEEvT1_, .Lfunc_end5881-_ZN7rocprim17ROCPRIM_400000_NS6detail17trampoline_kernelINS0_14default_configENS1_20scan_config_selectorIsEEZZNS1_9scan_implILNS1_25lookback_scan_determinismE0ELb0ELb0ES3_N6thrust23THRUST_200600_302600_NS6detail15normal_iteratorINS9_10device_ptrIsEEEENS9_16discard_iteratorINS9_11use_defaultEEEsNS9_4plusIvEEsEEDaPvRmT3_T4_T5_mT6_P12ihipStream_tbENKUlT_T0_E_clISt17integral_constantIbLb0EESX_EEDaSS_ST_EUlSS_E0_NS1_11comp_targetILNS1_3genE4ELNS1_11target_archE910ELNS1_3gpuE8ELNS1_3repE0EEENS1_30default_config_static_selectorELNS0_4arch9wavefront6targetE1EEEvT1_
                                        ; -- End function
	.section	.AMDGPU.csdata,"",@progbits
; Kernel info:
; codeLenInByte = 1808
; NumSgprs: 10
; NumVgprs: 41
; NumAgprs: 0
; TotalNumVgprs: 41
; ScratchSize: 0
; MemoryBound: 0
; FloatMode: 240
; IeeeMode: 1
; LDSByteSize: 3072 bytes/workgroup (compile time only)
; SGPRBlocks: 1
; VGPRBlocks: 5
; NumSGPRsForWavesPerEU: 10
; NumVGPRsForWavesPerEU: 41
; AccumOffset: 44
; Occupancy: 6
; WaveLimiterHint : 0
; COMPUTE_PGM_RSRC2:SCRATCH_EN: 0
; COMPUTE_PGM_RSRC2:USER_SGPR: 6
; COMPUTE_PGM_RSRC2:TRAP_HANDLER: 0
; COMPUTE_PGM_RSRC2:TGID_X_EN: 1
; COMPUTE_PGM_RSRC2:TGID_Y_EN: 0
; COMPUTE_PGM_RSRC2:TGID_Z_EN: 0
; COMPUTE_PGM_RSRC2:TIDIG_COMP_CNT: 0
; COMPUTE_PGM_RSRC3_GFX90A:ACCUM_OFFSET: 10
; COMPUTE_PGM_RSRC3_GFX90A:TG_SPLIT: 0
	.section	.text._ZN7rocprim17ROCPRIM_400000_NS6detail17trampoline_kernelINS0_14default_configENS1_20scan_config_selectorIsEEZZNS1_9scan_implILNS1_25lookback_scan_determinismE0ELb0ELb0ES3_N6thrust23THRUST_200600_302600_NS6detail15normal_iteratorINS9_10device_ptrIsEEEENS9_16discard_iteratorINS9_11use_defaultEEEsNS9_4plusIvEEsEEDaPvRmT3_T4_T5_mT6_P12ihipStream_tbENKUlT_T0_E_clISt17integral_constantIbLb0EESX_EEDaSS_ST_EUlSS_E0_NS1_11comp_targetILNS1_3genE3ELNS1_11target_archE908ELNS1_3gpuE7ELNS1_3repE0EEENS1_30default_config_static_selectorELNS0_4arch9wavefront6targetE1EEEvT1_,"axG",@progbits,_ZN7rocprim17ROCPRIM_400000_NS6detail17trampoline_kernelINS0_14default_configENS1_20scan_config_selectorIsEEZZNS1_9scan_implILNS1_25lookback_scan_determinismE0ELb0ELb0ES3_N6thrust23THRUST_200600_302600_NS6detail15normal_iteratorINS9_10device_ptrIsEEEENS9_16discard_iteratorINS9_11use_defaultEEEsNS9_4plusIvEEsEEDaPvRmT3_T4_T5_mT6_P12ihipStream_tbENKUlT_T0_E_clISt17integral_constantIbLb0EESX_EEDaSS_ST_EUlSS_E0_NS1_11comp_targetILNS1_3genE3ELNS1_11target_archE908ELNS1_3gpuE7ELNS1_3repE0EEENS1_30default_config_static_selectorELNS0_4arch9wavefront6targetE1EEEvT1_,comdat
	.protected	_ZN7rocprim17ROCPRIM_400000_NS6detail17trampoline_kernelINS0_14default_configENS1_20scan_config_selectorIsEEZZNS1_9scan_implILNS1_25lookback_scan_determinismE0ELb0ELb0ES3_N6thrust23THRUST_200600_302600_NS6detail15normal_iteratorINS9_10device_ptrIsEEEENS9_16discard_iteratorINS9_11use_defaultEEEsNS9_4plusIvEEsEEDaPvRmT3_T4_T5_mT6_P12ihipStream_tbENKUlT_T0_E_clISt17integral_constantIbLb0EESX_EEDaSS_ST_EUlSS_E0_NS1_11comp_targetILNS1_3genE3ELNS1_11target_archE908ELNS1_3gpuE7ELNS1_3repE0EEENS1_30default_config_static_selectorELNS0_4arch9wavefront6targetE1EEEvT1_ ; -- Begin function _ZN7rocprim17ROCPRIM_400000_NS6detail17trampoline_kernelINS0_14default_configENS1_20scan_config_selectorIsEEZZNS1_9scan_implILNS1_25lookback_scan_determinismE0ELb0ELb0ES3_N6thrust23THRUST_200600_302600_NS6detail15normal_iteratorINS9_10device_ptrIsEEEENS9_16discard_iteratorINS9_11use_defaultEEEsNS9_4plusIvEEsEEDaPvRmT3_T4_T5_mT6_P12ihipStream_tbENKUlT_T0_E_clISt17integral_constantIbLb0EESX_EEDaSS_ST_EUlSS_E0_NS1_11comp_targetILNS1_3genE3ELNS1_11target_archE908ELNS1_3gpuE7ELNS1_3repE0EEENS1_30default_config_static_selectorELNS0_4arch9wavefront6targetE1EEEvT1_
	.globl	_ZN7rocprim17ROCPRIM_400000_NS6detail17trampoline_kernelINS0_14default_configENS1_20scan_config_selectorIsEEZZNS1_9scan_implILNS1_25lookback_scan_determinismE0ELb0ELb0ES3_N6thrust23THRUST_200600_302600_NS6detail15normal_iteratorINS9_10device_ptrIsEEEENS9_16discard_iteratorINS9_11use_defaultEEEsNS9_4plusIvEEsEEDaPvRmT3_T4_T5_mT6_P12ihipStream_tbENKUlT_T0_E_clISt17integral_constantIbLb0EESX_EEDaSS_ST_EUlSS_E0_NS1_11comp_targetILNS1_3genE3ELNS1_11target_archE908ELNS1_3gpuE7ELNS1_3repE0EEENS1_30default_config_static_selectorELNS0_4arch9wavefront6targetE1EEEvT1_
	.p2align	8
	.type	_ZN7rocprim17ROCPRIM_400000_NS6detail17trampoline_kernelINS0_14default_configENS1_20scan_config_selectorIsEEZZNS1_9scan_implILNS1_25lookback_scan_determinismE0ELb0ELb0ES3_N6thrust23THRUST_200600_302600_NS6detail15normal_iteratorINS9_10device_ptrIsEEEENS9_16discard_iteratorINS9_11use_defaultEEEsNS9_4plusIvEEsEEDaPvRmT3_T4_T5_mT6_P12ihipStream_tbENKUlT_T0_E_clISt17integral_constantIbLb0EESX_EEDaSS_ST_EUlSS_E0_NS1_11comp_targetILNS1_3genE3ELNS1_11target_archE908ELNS1_3gpuE7ELNS1_3repE0EEENS1_30default_config_static_selectorELNS0_4arch9wavefront6targetE1EEEvT1_,@function
_ZN7rocprim17ROCPRIM_400000_NS6detail17trampoline_kernelINS0_14default_configENS1_20scan_config_selectorIsEEZZNS1_9scan_implILNS1_25lookback_scan_determinismE0ELb0ELb0ES3_N6thrust23THRUST_200600_302600_NS6detail15normal_iteratorINS9_10device_ptrIsEEEENS9_16discard_iteratorINS9_11use_defaultEEEsNS9_4plusIvEEsEEDaPvRmT3_T4_T5_mT6_P12ihipStream_tbENKUlT_T0_E_clISt17integral_constantIbLb0EESX_EEDaSS_ST_EUlSS_E0_NS1_11comp_targetILNS1_3genE3ELNS1_11target_archE908ELNS1_3gpuE7ELNS1_3repE0EEENS1_30default_config_static_selectorELNS0_4arch9wavefront6targetE1EEEvT1_: ; @_ZN7rocprim17ROCPRIM_400000_NS6detail17trampoline_kernelINS0_14default_configENS1_20scan_config_selectorIsEEZZNS1_9scan_implILNS1_25lookback_scan_determinismE0ELb0ELb0ES3_N6thrust23THRUST_200600_302600_NS6detail15normal_iteratorINS9_10device_ptrIsEEEENS9_16discard_iteratorINS9_11use_defaultEEEsNS9_4plusIvEEsEEDaPvRmT3_T4_T5_mT6_P12ihipStream_tbENKUlT_T0_E_clISt17integral_constantIbLb0EESX_EEDaSS_ST_EUlSS_E0_NS1_11comp_targetILNS1_3genE3ELNS1_11target_archE908ELNS1_3gpuE7ELNS1_3repE0EEENS1_30default_config_static_selectorELNS0_4arch9wavefront6targetE1EEEvT1_
; %bb.0:
	.section	.rodata,"a",@progbits
	.p2align	6, 0x0
	.amdhsa_kernel _ZN7rocprim17ROCPRIM_400000_NS6detail17trampoline_kernelINS0_14default_configENS1_20scan_config_selectorIsEEZZNS1_9scan_implILNS1_25lookback_scan_determinismE0ELb0ELb0ES3_N6thrust23THRUST_200600_302600_NS6detail15normal_iteratorINS9_10device_ptrIsEEEENS9_16discard_iteratorINS9_11use_defaultEEEsNS9_4plusIvEEsEEDaPvRmT3_T4_T5_mT6_P12ihipStream_tbENKUlT_T0_E_clISt17integral_constantIbLb0EESX_EEDaSS_ST_EUlSS_E0_NS1_11comp_targetILNS1_3genE3ELNS1_11target_archE908ELNS1_3gpuE7ELNS1_3repE0EEENS1_30default_config_static_selectorELNS0_4arch9wavefront6targetE1EEEvT1_
		.amdhsa_group_segment_fixed_size 0
		.amdhsa_private_segment_fixed_size 0
		.amdhsa_kernarg_size 40
		.amdhsa_user_sgpr_count 6
		.amdhsa_user_sgpr_private_segment_buffer 1
		.amdhsa_user_sgpr_dispatch_ptr 0
		.amdhsa_user_sgpr_queue_ptr 0
		.amdhsa_user_sgpr_kernarg_segment_ptr 1
		.amdhsa_user_sgpr_dispatch_id 0
		.amdhsa_user_sgpr_flat_scratch_init 0
		.amdhsa_user_sgpr_kernarg_preload_length 0
		.amdhsa_user_sgpr_kernarg_preload_offset 0
		.amdhsa_user_sgpr_private_segment_size 0
		.amdhsa_uses_dynamic_stack 0
		.amdhsa_system_sgpr_private_segment_wavefront_offset 0
		.amdhsa_system_sgpr_workgroup_id_x 1
		.amdhsa_system_sgpr_workgroup_id_y 0
		.amdhsa_system_sgpr_workgroup_id_z 0
		.amdhsa_system_sgpr_workgroup_info 0
		.amdhsa_system_vgpr_workitem_id 0
		.amdhsa_next_free_vgpr 1
		.amdhsa_next_free_sgpr 0
		.amdhsa_accum_offset 4
		.amdhsa_reserve_vcc 0
		.amdhsa_reserve_flat_scratch 0
		.amdhsa_float_round_mode_32 0
		.amdhsa_float_round_mode_16_64 0
		.amdhsa_float_denorm_mode_32 3
		.amdhsa_float_denorm_mode_16_64 3
		.amdhsa_dx10_clamp 1
		.amdhsa_ieee_mode 1
		.amdhsa_fp16_overflow 0
		.amdhsa_tg_split 0
		.amdhsa_exception_fp_ieee_invalid_op 0
		.amdhsa_exception_fp_denorm_src 0
		.amdhsa_exception_fp_ieee_div_zero 0
		.amdhsa_exception_fp_ieee_overflow 0
		.amdhsa_exception_fp_ieee_underflow 0
		.amdhsa_exception_fp_ieee_inexact 0
		.amdhsa_exception_int_div_zero 0
	.end_amdhsa_kernel
	.section	.text._ZN7rocprim17ROCPRIM_400000_NS6detail17trampoline_kernelINS0_14default_configENS1_20scan_config_selectorIsEEZZNS1_9scan_implILNS1_25lookback_scan_determinismE0ELb0ELb0ES3_N6thrust23THRUST_200600_302600_NS6detail15normal_iteratorINS9_10device_ptrIsEEEENS9_16discard_iteratorINS9_11use_defaultEEEsNS9_4plusIvEEsEEDaPvRmT3_T4_T5_mT6_P12ihipStream_tbENKUlT_T0_E_clISt17integral_constantIbLb0EESX_EEDaSS_ST_EUlSS_E0_NS1_11comp_targetILNS1_3genE3ELNS1_11target_archE908ELNS1_3gpuE7ELNS1_3repE0EEENS1_30default_config_static_selectorELNS0_4arch9wavefront6targetE1EEEvT1_,"axG",@progbits,_ZN7rocprim17ROCPRIM_400000_NS6detail17trampoline_kernelINS0_14default_configENS1_20scan_config_selectorIsEEZZNS1_9scan_implILNS1_25lookback_scan_determinismE0ELb0ELb0ES3_N6thrust23THRUST_200600_302600_NS6detail15normal_iteratorINS9_10device_ptrIsEEEENS9_16discard_iteratorINS9_11use_defaultEEEsNS9_4plusIvEEsEEDaPvRmT3_T4_T5_mT6_P12ihipStream_tbENKUlT_T0_E_clISt17integral_constantIbLb0EESX_EEDaSS_ST_EUlSS_E0_NS1_11comp_targetILNS1_3genE3ELNS1_11target_archE908ELNS1_3gpuE7ELNS1_3repE0EEENS1_30default_config_static_selectorELNS0_4arch9wavefront6targetE1EEEvT1_,comdat
.Lfunc_end5882:
	.size	_ZN7rocprim17ROCPRIM_400000_NS6detail17trampoline_kernelINS0_14default_configENS1_20scan_config_selectorIsEEZZNS1_9scan_implILNS1_25lookback_scan_determinismE0ELb0ELb0ES3_N6thrust23THRUST_200600_302600_NS6detail15normal_iteratorINS9_10device_ptrIsEEEENS9_16discard_iteratorINS9_11use_defaultEEEsNS9_4plusIvEEsEEDaPvRmT3_T4_T5_mT6_P12ihipStream_tbENKUlT_T0_E_clISt17integral_constantIbLb0EESX_EEDaSS_ST_EUlSS_E0_NS1_11comp_targetILNS1_3genE3ELNS1_11target_archE908ELNS1_3gpuE7ELNS1_3repE0EEENS1_30default_config_static_selectorELNS0_4arch9wavefront6targetE1EEEvT1_, .Lfunc_end5882-_ZN7rocprim17ROCPRIM_400000_NS6detail17trampoline_kernelINS0_14default_configENS1_20scan_config_selectorIsEEZZNS1_9scan_implILNS1_25lookback_scan_determinismE0ELb0ELb0ES3_N6thrust23THRUST_200600_302600_NS6detail15normal_iteratorINS9_10device_ptrIsEEEENS9_16discard_iteratorINS9_11use_defaultEEEsNS9_4plusIvEEsEEDaPvRmT3_T4_T5_mT6_P12ihipStream_tbENKUlT_T0_E_clISt17integral_constantIbLb0EESX_EEDaSS_ST_EUlSS_E0_NS1_11comp_targetILNS1_3genE3ELNS1_11target_archE908ELNS1_3gpuE7ELNS1_3repE0EEENS1_30default_config_static_selectorELNS0_4arch9wavefront6targetE1EEEvT1_
                                        ; -- End function
	.section	.AMDGPU.csdata,"",@progbits
; Kernel info:
; codeLenInByte = 0
; NumSgprs: 4
; NumVgprs: 0
; NumAgprs: 0
; TotalNumVgprs: 0
; ScratchSize: 0
; MemoryBound: 0
; FloatMode: 240
; IeeeMode: 1
; LDSByteSize: 0 bytes/workgroup (compile time only)
; SGPRBlocks: 0
; VGPRBlocks: 0
; NumSGPRsForWavesPerEU: 4
; NumVGPRsForWavesPerEU: 1
; AccumOffset: 4
; Occupancy: 8
; WaveLimiterHint : 0
; COMPUTE_PGM_RSRC2:SCRATCH_EN: 0
; COMPUTE_PGM_RSRC2:USER_SGPR: 6
; COMPUTE_PGM_RSRC2:TRAP_HANDLER: 0
; COMPUTE_PGM_RSRC2:TGID_X_EN: 1
; COMPUTE_PGM_RSRC2:TGID_Y_EN: 0
; COMPUTE_PGM_RSRC2:TGID_Z_EN: 0
; COMPUTE_PGM_RSRC2:TIDIG_COMP_CNT: 0
; COMPUTE_PGM_RSRC3_GFX90A:ACCUM_OFFSET: 0
; COMPUTE_PGM_RSRC3_GFX90A:TG_SPLIT: 0
	.section	.text._ZN7rocprim17ROCPRIM_400000_NS6detail17trampoline_kernelINS0_14default_configENS1_20scan_config_selectorIsEEZZNS1_9scan_implILNS1_25lookback_scan_determinismE0ELb0ELb0ES3_N6thrust23THRUST_200600_302600_NS6detail15normal_iteratorINS9_10device_ptrIsEEEENS9_16discard_iteratorINS9_11use_defaultEEEsNS9_4plusIvEEsEEDaPvRmT3_T4_T5_mT6_P12ihipStream_tbENKUlT_T0_E_clISt17integral_constantIbLb0EESX_EEDaSS_ST_EUlSS_E0_NS1_11comp_targetILNS1_3genE2ELNS1_11target_archE906ELNS1_3gpuE6ELNS1_3repE0EEENS1_30default_config_static_selectorELNS0_4arch9wavefront6targetE1EEEvT1_,"axG",@progbits,_ZN7rocprim17ROCPRIM_400000_NS6detail17trampoline_kernelINS0_14default_configENS1_20scan_config_selectorIsEEZZNS1_9scan_implILNS1_25lookback_scan_determinismE0ELb0ELb0ES3_N6thrust23THRUST_200600_302600_NS6detail15normal_iteratorINS9_10device_ptrIsEEEENS9_16discard_iteratorINS9_11use_defaultEEEsNS9_4plusIvEEsEEDaPvRmT3_T4_T5_mT6_P12ihipStream_tbENKUlT_T0_E_clISt17integral_constantIbLb0EESX_EEDaSS_ST_EUlSS_E0_NS1_11comp_targetILNS1_3genE2ELNS1_11target_archE906ELNS1_3gpuE6ELNS1_3repE0EEENS1_30default_config_static_selectorELNS0_4arch9wavefront6targetE1EEEvT1_,comdat
	.protected	_ZN7rocprim17ROCPRIM_400000_NS6detail17trampoline_kernelINS0_14default_configENS1_20scan_config_selectorIsEEZZNS1_9scan_implILNS1_25lookback_scan_determinismE0ELb0ELb0ES3_N6thrust23THRUST_200600_302600_NS6detail15normal_iteratorINS9_10device_ptrIsEEEENS9_16discard_iteratorINS9_11use_defaultEEEsNS9_4plusIvEEsEEDaPvRmT3_T4_T5_mT6_P12ihipStream_tbENKUlT_T0_E_clISt17integral_constantIbLb0EESX_EEDaSS_ST_EUlSS_E0_NS1_11comp_targetILNS1_3genE2ELNS1_11target_archE906ELNS1_3gpuE6ELNS1_3repE0EEENS1_30default_config_static_selectorELNS0_4arch9wavefront6targetE1EEEvT1_ ; -- Begin function _ZN7rocprim17ROCPRIM_400000_NS6detail17trampoline_kernelINS0_14default_configENS1_20scan_config_selectorIsEEZZNS1_9scan_implILNS1_25lookback_scan_determinismE0ELb0ELb0ES3_N6thrust23THRUST_200600_302600_NS6detail15normal_iteratorINS9_10device_ptrIsEEEENS9_16discard_iteratorINS9_11use_defaultEEEsNS9_4plusIvEEsEEDaPvRmT3_T4_T5_mT6_P12ihipStream_tbENKUlT_T0_E_clISt17integral_constantIbLb0EESX_EEDaSS_ST_EUlSS_E0_NS1_11comp_targetILNS1_3genE2ELNS1_11target_archE906ELNS1_3gpuE6ELNS1_3repE0EEENS1_30default_config_static_selectorELNS0_4arch9wavefront6targetE1EEEvT1_
	.globl	_ZN7rocprim17ROCPRIM_400000_NS6detail17trampoline_kernelINS0_14default_configENS1_20scan_config_selectorIsEEZZNS1_9scan_implILNS1_25lookback_scan_determinismE0ELb0ELb0ES3_N6thrust23THRUST_200600_302600_NS6detail15normal_iteratorINS9_10device_ptrIsEEEENS9_16discard_iteratorINS9_11use_defaultEEEsNS9_4plusIvEEsEEDaPvRmT3_T4_T5_mT6_P12ihipStream_tbENKUlT_T0_E_clISt17integral_constantIbLb0EESX_EEDaSS_ST_EUlSS_E0_NS1_11comp_targetILNS1_3genE2ELNS1_11target_archE906ELNS1_3gpuE6ELNS1_3repE0EEENS1_30default_config_static_selectorELNS0_4arch9wavefront6targetE1EEEvT1_
	.p2align	8
	.type	_ZN7rocprim17ROCPRIM_400000_NS6detail17trampoline_kernelINS0_14default_configENS1_20scan_config_selectorIsEEZZNS1_9scan_implILNS1_25lookback_scan_determinismE0ELb0ELb0ES3_N6thrust23THRUST_200600_302600_NS6detail15normal_iteratorINS9_10device_ptrIsEEEENS9_16discard_iteratorINS9_11use_defaultEEEsNS9_4plusIvEEsEEDaPvRmT3_T4_T5_mT6_P12ihipStream_tbENKUlT_T0_E_clISt17integral_constantIbLb0EESX_EEDaSS_ST_EUlSS_E0_NS1_11comp_targetILNS1_3genE2ELNS1_11target_archE906ELNS1_3gpuE6ELNS1_3repE0EEENS1_30default_config_static_selectorELNS0_4arch9wavefront6targetE1EEEvT1_,@function
_ZN7rocprim17ROCPRIM_400000_NS6detail17trampoline_kernelINS0_14default_configENS1_20scan_config_selectorIsEEZZNS1_9scan_implILNS1_25lookback_scan_determinismE0ELb0ELb0ES3_N6thrust23THRUST_200600_302600_NS6detail15normal_iteratorINS9_10device_ptrIsEEEENS9_16discard_iteratorINS9_11use_defaultEEEsNS9_4plusIvEEsEEDaPvRmT3_T4_T5_mT6_P12ihipStream_tbENKUlT_T0_E_clISt17integral_constantIbLb0EESX_EEDaSS_ST_EUlSS_E0_NS1_11comp_targetILNS1_3genE2ELNS1_11target_archE906ELNS1_3gpuE6ELNS1_3repE0EEENS1_30default_config_static_selectorELNS0_4arch9wavefront6targetE1EEEvT1_: ; @_ZN7rocprim17ROCPRIM_400000_NS6detail17trampoline_kernelINS0_14default_configENS1_20scan_config_selectorIsEEZZNS1_9scan_implILNS1_25lookback_scan_determinismE0ELb0ELb0ES3_N6thrust23THRUST_200600_302600_NS6detail15normal_iteratorINS9_10device_ptrIsEEEENS9_16discard_iteratorINS9_11use_defaultEEEsNS9_4plusIvEEsEEDaPvRmT3_T4_T5_mT6_P12ihipStream_tbENKUlT_T0_E_clISt17integral_constantIbLb0EESX_EEDaSS_ST_EUlSS_E0_NS1_11comp_targetILNS1_3genE2ELNS1_11target_archE906ELNS1_3gpuE6ELNS1_3repE0EEENS1_30default_config_static_selectorELNS0_4arch9wavefront6targetE1EEEvT1_
; %bb.0:
	.section	.rodata,"a",@progbits
	.p2align	6, 0x0
	.amdhsa_kernel _ZN7rocprim17ROCPRIM_400000_NS6detail17trampoline_kernelINS0_14default_configENS1_20scan_config_selectorIsEEZZNS1_9scan_implILNS1_25lookback_scan_determinismE0ELb0ELb0ES3_N6thrust23THRUST_200600_302600_NS6detail15normal_iteratorINS9_10device_ptrIsEEEENS9_16discard_iteratorINS9_11use_defaultEEEsNS9_4plusIvEEsEEDaPvRmT3_T4_T5_mT6_P12ihipStream_tbENKUlT_T0_E_clISt17integral_constantIbLb0EESX_EEDaSS_ST_EUlSS_E0_NS1_11comp_targetILNS1_3genE2ELNS1_11target_archE906ELNS1_3gpuE6ELNS1_3repE0EEENS1_30default_config_static_selectorELNS0_4arch9wavefront6targetE1EEEvT1_
		.amdhsa_group_segment_fixed_size 0
		.amdhsa_private_segment_fixed_size 0
		.amdhsa_kernarg_size 40
		.amdhsa_user_sgpr_count 6
		.amdhsa_user_sgpr_private_segment_buffer 1
		.amdhsa_user_sgpr_dispatch_ptr 0
		.amdhsa_user_sgpr_queue_ptr 0
		.amdhsa_user_sgpr_kernarg_segment_ptr 1
		.amdhsa_user_sgpr_dispatch_id 0
		.amdhsa_user_sgpr_flat_scratch_init 0
		.amdhsa_user_sgpr_kernarg_preload_length 0
		.amdhsa_user_sgpr_kernarg_preload_offset 0
		.amdhsa_user_sgpr_private_segment_size 0
		.amdhsa_uses_dynamic_stack 0
		.amdhsa_system_sgpr_private_segment_wavefront_offset 0
		.amdhsa_system_sgpr_workgroup_id_x 1
		.amdhsa_system_sgpr_workgroup_id_y 0
		.amdhsa_system_sgpr_workgroup_id_z 0
		.amdhsa_system_sgpr_workgroup_info 0
		.amdhsa_system_vgpr_workitem_id 0
		.amdhsa_next_free_vgpr 1
		.amdhsa_next_free_sgpr 0
		.amdhsa_accum_offset 4
		.amdhsa_reserve_vcc 0
		.amdhsa_reserve_flat_scratch 0
		.amdhsa_float_round_mode_32 0
		.amdhsa_float_round_mode_16_64 0
		.amdhsa_float_denorm_mode_32 3
		.amdhsa_float_denorm_mode_16_64 3
		.amdhsa_dx10_clamp 1
		.amdhsa_ieee_mode 1
		.amdhsa_fp16_overflow 0
		.amdhsa_tg_split 0
		.amdhsa_exception_fp_ieee_invalid_op 0
		.amdhsa_exception_fp_denorm_src 0
		.amdhsa_exception_fp_ieee_div_zero 0
		.amdhsa_exception_fp_ieee_overflow 0
		.amdhsa_exception_fp_ieee_underflow 0
		.amdhsa_exception_fp_ieee_inexact 0
		.amdhsa_exception_int_div_zero 0
	.end_amdhsa_kernel
	.section	.text._ZN7rocprim17ROCPRIM_400000_NS6detail17trampoline_kernelINS0_14default_configENS1_20scan_config_selectorIsEEZZNS1_9scan_implILNS1_25lookback_scan_determinismE0ELb0ELb0ES3_N6thrust23THRUST_200600_302600_NS6detail15normal_iteratorINS9_10device_ptrIsEEEENS9_16discard_iteratorINS9_11use_defaultEEEsNS9_4plusIvEEsEEDaPvRmT3_T4_T5_mT6_P12ihipStream_tbENKUlT_T0_E_clISt17integral_constantIbLb0EESX_EEDaSS_ST_EUlSS_E0_NS1_11comp_targetILNS1_3genE2ELNS1_11target_archE906ELNS1_3gpuE6ELNS1_3repE0EEENS1_30default_config_static_selectorELNS0_4arch9wavefront6targetE1EEEvT1_,"axG",@progbits,_ZN7rocprim17ROCPRIM_400000_NS6detail17trampoline_kernelINS0_14default_configENS1_20scan_config_selectorIsEEZZNS1_9scan_implILNS1_25lookback_scan_determinismE0ELb0ELb0ES3_N6thrust23THRUST_200600_302600_NS6detail15normal_iteratorINS9_10device_ptrIsEEEENS9_16discard_iteratorINS9_11use_defaultEEEsNS9_4plusIvEEsEEDaPvRmT3_T4_T5_mT6_P12ihipStream_tbENKUlT_T0_E_clISt17integral_constantIbLb0EESX_EEDaSS_ST_EUlSS_E0_NS1_11comp_targetILNS1_3genE2ELNS1_11target_archE906ELNS1_3gpuE6ELNS1_3repE0EEENS1_30default_config_static_selectorELNS0_4arch9wavefront6targetE1EEEvT1_,comdat
.Lfunc_end5883:
	.size	_ZN7rocprim17ROCPRIM_400000_NS6detail17trampoline_kernelINS0_14default_configENS1_20scan_config_selectorIsEEZZNS1_9scan_implILNS1_25lookback_scan_determinismE0ELb0ELb0ES3_N6thrust23THRUST_200600_302600_NS6detail15normal_iteratorINS9_10device_ptrIsEEEENS9_16discard_iteratorINS9_11use_defaultEEEsNS9_4plusIvEEsEEDaPvRmT3_T4_T5_mT6_P12ihipStream_tbENKUlT_T0_E_clISt17integral_constantIbLb0EESX_EEDaSS_ST_EUlSS_E0_NS1_11comp_targetILNS1_3genE2ELNS1_11target_archE906ELNS1_3gpuE6ELNS1_3repE0EEENS1_30default_config_static_selectorELNS0_4arch9wavefront6targetE1EEEvT1_, .Lfunc_end5883-_ZN7rocprim17ROCPRIM_400000_NS6detail17trampoline_kernelINS0_14default_configENS1_20scan_config_selectorIsEEZZNS1_9scan_implILNS1_25lookback_scan_determinismE0ELb0ELb0ES3_N6thrust23THRUST_200600_302600_NS6detail15normal_iteratorINS9_10device_ptrIsEEEENS9_16discard_iteratorINS9_11use_defaultEEEsNS9_4plusIvEEsEEDaPvRmT3_T4_T5_mT6_P12ihipStream_tbENKUlT_T0_E_clISt17integral_constantIbLb0EESX_EEDaSS_ST_EUlSS_E0_NS1_11comp_targetILNS1_3genE2ELNS1_11target_archE906ELNS1_3gpuE6ELNS1_3repE0EEENS1_30default_config_static_selectorELNS0_4arch9wavefront6targetE1EEEvT1_
                                        ; -- End function
	.section	.AMDGPU.csdata,"",@progbits
; Kernel info:
; codeLenInByte = 0
; NumSgprs: 4
; NumVgprs: 0
; NumAgprs: 0
; TotalNumVgprs: 0
; ScratchSize: 0
; MemoryBound: 0
; FloatMode: 240
; IeeeMode: 1
; LDSByteSize: 0 bytes/workgroup (compile time only)
; SGPRBlocks: 0
; VGPRBlocks: 0
; NumSGPRsForWavesPerEU: 4
; NumVGPRsForWavesPerEU: 1
; AccumOffset: 4
; Occupancy: 8
; WaveLimiterHint : 0
; COMPUTE_PGM_RSRC2:SCRATCH_EN: 0
; COMPUTE_PGM_RSRC2:USER_SGPR: 6
; COMPUTE_PGM_RSRC2:TRAP_HANDLER: 0
; COMPUTE_PGM_RSRC2:TGID_X_EN: 1
; COMPUTE_PGM_RSRC2:TGID_Y_EN: 0
; COMPUTE_PGM_RSRC2:TGID_Z_EN: 0
; COMPUTE_PGM_RSRC2:TIDIG_COMP_CNT: 0
; COMPUTE_PGM_RSRC3_GFX90A:ACCUM_OFFSET: 0
; COMPUTE_PGM_RSRC3_GFX90A:TG_SPLIT: 0
	.section	.text._ZN7rocprim17ROCPRIM_400000_NS6detail17trampoline_kernelINS0_14default_configENS1_20scan_config_selectorIsEEZZNS1_9scan_implILNS1_25lookback_scan_determinismE0ELb0ELb0ES3_N6thrust23THRUST_200600_302600_NS6detail15normal_iteratorINS9_10device_ptrIsEEEENS9_16discard_iteratorINS9_11use_defaultEEEsNS9_4plusIvEEsEEDaPvRmT3_T4_T5_mT6_P12ihipStream_tbENKUlT_T0_E_clISt17integral_constantIbLb0EESX_EEDaSS_ST_EUlSS_E0_NS1_11comp_targetILNS1_3genE10ELNS1_11target_archE1201ELNS1_3gpuE5ELNS1_3repE0EEENS1_30default_config_static_selectorELNS0_4arch9wavefront6targetE1EEEvT1_,"axG",@progbits,_ZN7rocprim17ROCPRIM_400000_NS6detail17trampoline_kernelINS0_14default_configENS1_20scan_config_selectorIsEEZZNS1_9scan_implILNS1_25lookback_scan_determinismE0ELb0ELb0ES3_N6thrust23THRUST_200600_302600_NS6detail15normal_iteratorINS9_10device_ptrIsEEEENS9_16discard_iteratorINS9_11use_defaultEEEsNS9_4plusIvEEsEEDaPvRmT3_T4_T5_mT6_P12ihipStream_tbENKUlT_T0_E_clISt17integral_constantIbLb0EESX_EEDaSS_ST_EUlSS_E0_NS1_11comp_targetILNS1_3genE10ELNS1_11target_archE1201ELNS1_3gpuE5ELNS1_3repE0EEENS1_30default_config_static_selectorELNS0_4arch9wavefront6targetE1EEEvT1_,comdat
	.protected	_ZN7rocprim17ROCPRIM_400000_NS6detail17trampoline_kernelINS0_14default_configENS1_20scan_config_selectorIsEEZZNS1_9scan_implILNS1_25lookback_scan_determinismE0ELb0ELb0ES3_N6thrust23THRUST_200600_302600_NS6detail15normal_iteratorINS9_10device_ptrIsEEEENS9_16discard_iteratorINS9_11use_defaultEEEsNS9_4plusIvEEsEEDaPvRmT3_T4_T5_mT6_P12ihipStream_tbENKUlT_T0_E_clISt17integral_constantIbLb0EESX_EEDaSS_ST_EUlSS_E0_NS1_11comp_targetILNS1_3genE10ELNS1_11target_archE1201ELNS1_3gpuE5ELNS1_3repE0EEENS1_30default_config_static_selectorELNS0_4arch9wavefront6targetE1EEEvT1_ ; -- Begin function _ZN7rocprim17ROCPRIM_400000_NS6detail17trampoline_kernelINS0_14default_configENS1_20scan_config_selectorIsEEZZNS1_9scan_implILNS1_25lookback_scan_determinismE0ELb0ELb0ES3_N6thrust23THRUST_200600_302600_NS6detail15normal_iteratorINS9_10device_ptrIsEEEENS9_16discard_iteratorINS9_11use_defaultEEEsNS9_4plusIvEEsEEDaPvRmT3_T4_T5_mT6_P12ihipStream_tbENKUlT_T0_E_clISt17integral_constantIbLb0EESX_EEDaSS_ST_EUlSS_E0_NS1_11comp_targetILNS1_3genE10ELNS1_11target_archE1201ELNS1_3gpuE5ELNS1_3repE0EEENS1_30default_config_static_selectorELNS0_4arch9wavefront6targetE1EEEvT1_
	.globl	_ZN7rocprim17ROCPRIM_400000_NS6detail17trampoline_kernelINS0_14default_configENS1_20scan_config_selectorIsEEZZNS1_9scan_implILNS1_25lookback_scan_determinismE0ELb0ELb0ES3_N6thrust23THRUST_200600_302600_NS6detail15normal_iteratorINS9_10device_ptrIsEEEENS9_16discard_iteratorINS9_11use_defaultEEEsNS9_4plusIvEEsEEDaPvRmT3_T4_T5_mT6_P12ihipStream_tbENKUlT_T0_E_clISt17integral_constantIbLb0EESX_EEDaSS_ST_EUlSS_E0_NS1_11comp_targetILNS1_3genE10ELNS1_11target_archE1201ELNS1_3gpuE5ELNS1_3repE0EEENS1_30default_config_static_selectorELNS0_4arch9wavefront6targetE1EEEvT1_
	.p2align	8
	.type	_ZN7rocprim17ROCPRIM_400000_NS6detail17trampoline_kernelINS0_14default_configENS1_20scan_config_selectorIsEEZZNS1_9scan_implILNS1_25lookback_scan_determinismE0ELb0ELb0ES3_N6thrust23THRUST_200600_302600_NS6detail15normal_iteratorINS9_10device_ptrIsEEEENS9_16discard_iteratorINS9_11use_defaultEEEsNS9_4plusIvEEsEEDaPvRmT3_T4_T5_mT6_P12ihipStream_tbENKUlT_T0_E_clISt17integral_constantIbLb0EESX_EEDaSS_ST_EUlSS_E0_NS1_11comp_targetILNS1_3genE10ELNS1_11target_archE1201ELNS1_3gpuE5ELNS1_3repE0EEENS1_30default_config_static_selectorELNS0_4arch9wavefront6targetE1EEEvT1_,@function
_ZN7rocprim17ROCPRIM_400000_NS6detail17trampoline_kernelINS0_14default_configENS1_20scan_config_selectorIsEEZZNS1_9scan_implILNS1_25lookback_scan_determinismE0ELb0ELb0ES3_N6thrust23THRUST_200600_302600_NS6detail15normal_iteratorINS9_10device_ptrIsEEEENS9_16discard_iteratorINS9_11use_defaultEEEsNS9_4plusIvEEsEEDaPvRmT3_T4_T5_mT6_P12ihipStream_tbENKUlT_T0_E_clISt17integral_constantIbLb0EESX_EEDaSS_ST_EUlSS_E0_NS1_11comp_targetILNS1_3genE10ELNS1_11target_archE1201ELNS1_3gpuE5ELNS1_3repE0EEENS1_30default_config_static_selectorELNS0_4arch9wavefront6targetE1EEEvT1_: ; @_ZN7rocprim17ROCPRIM_400000_NS6detail17trampoline_kernelINS0_14default_configENS1_20scan_config_selectorIsEEZZNS1_9scan_implILNS1_25lookback_scan_determinismE0ELb0ELb0ES3_N6thrust23THRUST_200600_302600_NS6detail15normal_iteratorINS9_10device_ptrIsEEEENS9_16discard_iteratorINS9_11use_defaultEEEsNS9_4plusIvEEsEEDaPvRmT3_T4_T5_mT6_P12ihipStream_tbENKUlT_T0_E_clISt17integral_constantIbLb0EESX_EEDaSS_ST_EUlSS_E0_NS1_11comp_targetILNS1_3genE10ELNS1_11target_archE1201ELNS1_3gpuE5ELNS1_3repE0EEENS1_30default_config_static_selectorELNS0_4arch9wavefront6targetE1EEEvT1_
; %bb.0:
	.section	.rodata,"a",@progbits
	.p2align	6, 0x0
	.amdhsa_kernel _ZN7rocprim17ROCPRIM_400000_NS6detail17trampoline_kernelINS0_14default_configENS1_20scan_config_selectorIsEEZZNS1_9scan_implILNS1_25lookback_scan_determinismE0ELb0ELb0ES3_N6thrust23THRUST_200600_302600_NS6detail15normal_iteratorINS9_10device_ptrIsEEEENS9_16discard_iteratorINS9_11use_defaultEEEsNS9_4plusIvEEsEEDaPvRmT3_T4_T5_mT6_P12ihipStream_tbENKUlT_T0_E_clISt17integral_constantIbLb0EESX_EEDaSS_ST_EUlSS_E0_NS1_11comp_targetILNS1_3genE10ELNS1_11target_archE1201ELNS1_3gpuE5ELNS1_3repE0EEENS1_30default_config_static_selectorELNS0_4arch9wavefront6targetE1EEEvT1_
		.amdhsa_group_segment_fixed_size 0
		.amdhsa_private_segment_fixed_size 0
		.amdhsa_kernarg_size 40
		.amdhsa_user_sgpr_count 6
		.amdhsa_user_sgpr_private_segment_buffer 1
		.amdhsa_user_sgpr_dispatch_ptr 0
		.amdhsa_user_sgpr_queue_ptr 0
		.amdhsa_user_sgpr_kernarg_segment_ptr 1
		.amdhsa_user_sgpr_dispatch_id 0
		.amdhsa_user_sgpr_flat_scratch_init 0
		.amdhsa_user_sgpr_kernarg_preload_length 0
		.amdhsa_user_sgpr_kernarg_preload_offset 0
		.amdhsa_user_sgpr_private_segment_size 0
		.amdhsa_uses_dynamic_stack 0
		.amdhsa_system_sgpr_private_segment_wavefront_offset 0
		.amdhsa_system_sgpr_workgroup_id_x 1
		.amdhsa_system_sgpr_workgroup_id_y 0
		.amdhsa_system_sgpr_workgroup_id_z 0
		.amdhsa_system_sgpr_workgroup_info 0
		.amdhsa_system_vgpr_workitem_id 0
		.amdhsa_next_free_vgpr 1
		.amdhsa_next_free_sgpr 0
		.amdhsa_accum_offset 4
		.amdhsa_reserve_vcc 0
		.amdhsa_reserve_flat_scratch 0
		.amdhsa_float_round_mode_32 0
		.amdhsa_float_round_mode_16_64 0
		.amdhsa_float_denorm_mode_32 3
		.amdhsa_float_denorm_mode_16_64 3
		.amdhsa_dx10_clamp 1
		.amdhsa_ieee_mode 1
		.amdhsa_fp16_overflow 0
		.amdhsa_tg_split 0
		.amdhsa_exception_fp_ieee_invalid_op 0
		.amdhsa_exception_fp_denorm_src 0
		.amdhsa_exception_fp_ieee_div_zero 0
		.amdhsa_exception_fp_ieee_overflow 0
		.amdhsa_exception_fp_ieee_underflow 0
		.amdhsa_exception_fp_ieee_inexact 0
		.amdhsa_exception_int_div_zero 0
	.end_amdhsa_kernel
	.section	.text._ZN7rocprim17ROCPRIM_400000_NS6detail17trampoline_kernelINS0_14default_configENS1_20scan_config_selectorIsEEZZNS1_9scan_implILNS1_25lookback_scan_determinismE0ELb0ELb0ES3_N6thrust23THRUST_200600_302600_NS6detail15normal_iteratorINS9_10device_ptrIsEEEENS9_16discard_iteratorINS9_11use_defaultEEEsNS9_4plusIvEEsEEDaPvRmT3_T4_T5_mT6_P12ihipStream_tbENKUlT_T0_E_clISt17integral_constantIbLb0EESX_EEDaSS_ST_EUlSS_E0_NS1_11comp_targetILNS1_3genE10ELNS1_11target_archE1201ELNS1_3gpuE5ELNS1_3repE0EEENS1_30default_config_static_selectorELNS0_4arch9wavefront6targetE1EEEvT1_,"axG",@progbits,_ZN7rocprim17ROCPRIM_400000_NS6detail17trampoline_kernelINS0_14default_configENS1_20scan_config_selectorIsEEZZNS1_9scan_implILNS1_25lookback_scan_determinismE0ELb0ELb0ES3_N6thrust23THRUST_200600_302600_NS6detail15normal_iteratorINS9_10device_ptrIsEEEENS9_16discard_iteratorINS9_11use_defaultEEEsNS9_4plusIvEEsEEDaPvRmT3_T4_T5_mT6_P12ihipStream_tbENKUlT_T0_E_clISt17integral_constantIbLb0EESX_EEDaSS_ST_EUlSS_E0_NS1_11comp_targetILNS1_3genE10ELNS1_11target_archE1201ELNS1_3gpuE5ELNS1_3repE0EEENS1_30default_config_static_selectorELNS0_4arch9wavefront6targetE1EEEvT1_,comdat
.Lfunc_end5884:
	.size	_ZN7rocprim17ROCPRIM_400000_NS6detail17trampoline_kernelINS0_14default_configENS1_20scan_config_selectorIsEEZZNS1_9scan_implILNS1_25lookback_scan_determinismE0ELb0ELb0ES3_N6thrust23THRUST_200600_302600_NS6detail15normal_iteratorINS9_10device_ptrIsEEEENS9_16discard_iteratorINS9_11use_defaultEEEsNS9_4plusIvEEsEEDaPvRmT3_T4_T5_mT6_P12ihipStream_tbENKUlT_T0_E_clISt17integral_constantIbLb0EESX_EEDaSS_ST_EUlSS_E0_NS1_11comp_targetILNS1_3genE10ELNS1_11target_archE1201ELNS1_3gpuE5ELNS1_3repE0EEENS1_30default_config_static_selectorELNS0_4arch9wavefront6targetE1EEEvT1_, .Lfunc_end5884-_ZN7rocprim17ROCPRIM_400000_NS6detail17trampoline_kernelINS0_14default_configENS1_20scan_config_selectorIsEEZZNS1_9scan_implILNS1_25lookback_scan_determinismE0ELb0ELb0ES3_N6thrust23THRUST_200600_302600_NS6detail15normal_iteratorINS9_10device_ptrIsEEEENS9_16discard_iteratorINS9_11use_defaultEEEsNS9_4plusIvEEsEEDaPvRmT3_T4_T5_mT6_P12ihipStream_tbENKUlT_T0_E_clISt17integral_constantIbLb0EESX_EEDaSS_ST_EUlSS_E0_NS1_11comp_targetILNS1_3genE10ELNS1_11target_archE1201ELNS1_3gpuE5ELNS1_3repE0EEENS1_30default_config_static_selectorELNS0_4arch9wavefront6targetE1EEEvT1_
                                        ; -- End function
	.section	.AMDGPU.csdata,"",@progbits
; Kernel info:
; codeLenInByte = 0
; NumSgprs: 4
; NumVgprs: 0
; NumAgprs: 0
; TotalNumVgprs: 0
; ScratchSize: 0
; MemoryBound: 0
; FloatMode: 240
; IeeeMode: 1
; LDSByteSize: 0 bytes/workgroup (compile time only)
; SGPRBlocks: 0
; VGPRBlocks: 0
; NumSGPRsForWavesPerEU: 4
; NumVGPRsForWavesPerEU: 1
; AccumOffset: 4
; Occupancy: 8
; WaveLimiterHint : 0
; COMPUTE_PGM_RSRC2:SCRATCH_EN: 0
; COMPUTE_PGM_RSRC2:USER_SGPR: 6
; COMPUTE_PGM_RSRC2:TRAP_HANDLER: 0
; COMPUTE_PGM_RSRC2:TGID_X_EN: 1
; COMPUTE_PGM_RSRC2:TGID_Y_EN: 0
; COMPUTE_PGM_RSRC2:TGID_Z_EN: 0
; COMPUTE_PGM_RSRC2:TIDIG_COMP_CNT: 0
; COMPUTE_PGM_RSRC3_GFX90A:ACCUM_OFFSET: 0
; COMPUTE_PGM_RSRC3_GFX90A:TG_SPLIT: 0
	.section	.text._ZN7rocprim17ROCPRIM_400000_NS6detail17trampoline_kernelINS0_14default_configENS1_20scan_config_selectorIsEEZZNS1_9scan_implILNS1_25lookback_scan_determinismE0ELb0ELb0ES3_N6thrust23THRUST_200600_302600_NS6detail15normal_iteratorINS9_10device_ptrIsEEEENS9_16discard_iteratorINS9_11use_defaultEEEsNS9_4plusIvEEsEEDaPvRmT3_T4_T5_mT6_P12ihipStream_tbENKUlT_T0_E_clISt17integral_constantIbLb0EESX_EEDaSS_ST_EUlSS_E0_NS1_11comp_targetILNS1_3genE10ELNS1_11target_archE1200ELNS1_3gpuE4ELNS1_3repE0EEENS1_30default_config_static_selectorELNS0_4arch9wavefront6targetE1EEEvT1_,"axG",@progbits,_ZN7rocprim17ROCPRIM_400000_NS6detail17trampoline_kernelINS0_14default_configENS1_20scan_config_selectorIsEEZZNS1_9scan_implILNS1_25lookback_scan_determinismE0ELb0ELb0ES3_N6thrust23THRUST_200600_302600_NS6detail15normal_iteratorINS9_10device_ptrIsEEEENS9_16discard_iteratorINS9_11use_defaultEEEsNS9_4plusIvEEsEEDaPvRmT3_T4_T5_mT6_P12ihipStream_tbENKUlT_T0_E_clISt17integral_constantIbLb0EESX_EEDaSS_ST_EUlSS_E0_NS1_11comp_targetILNS1_3genE10ELNS1_11target_archE1200ELNS1_3gpuE4ELNS1_3repE0EEENS1_30default_config_static_selectorELNS0_4arch9wavefront6targetE1EEEvT1_,comdat
	.protected	_ZN7rocprim17ROCPRIM_400000_NS6detail17trampoline_kernelINS0_14default_configENS1_20scan_config_selectorIsEEZZNS1_9scan_implILNS1_25lookback_scan_determinismE0ELb0ELb0ES3_N6thrust23THRUST_200600_302600_NS6detail15normal_iteratorINS9_10device_ptrIsEEEENS9_16discard_iteratorINS9_11use_defaultEEEsNS9_4plusIvEEsEEDaPvRmT3_T4_T5_mT6_P12ihipStream_tbENKUlT_T0_E_clISt17integral_constantIbLb0EESX_EEDaSS_ST_EUlSS_E0_NS1_11comp_targetILNS1_3genE10ELNS1_11target_archE1200ELNS1_3gpuE4ELNS1_3repE0EEENS1_30default_config_static_selectorELNS0_4arch9wavefront6targetE1EEEvT1_ ; -- Begin function _ZN7rocprim17ROCPRIM_400000_NS6detail17trampoline_kernelINS0_14default_configENS1_20scan_config_selectorIsEEZZNS1_9scan_implILNS1_25lookback_scan_determinismE0ELb0ELb0ES3_N6thrust23THRUST_200600_302600_NS6detail15normal_iteratorINS9_10device_ptrIsEEEENS9_16discard_iteratorINS9_11use_defaultEEEsNS9_4plusIvEEsEEDaPvRmT3_T4_T5_mT6_P12ihipStream_tbENKUlT_T0_E_clISt17integral_constantIbLb0EESX_EEDaSS_ST_EUlSS_E0_NS1_11comp_targetILNS1_3genE10ELNS1_11target_archE1200ELNS1_3gpuE4ELNS1_3repE0EEENS1_30default_config_static_selectorELNS0_4arch9wavefront6targetE1EEEvT1_
	.globl	_ZN7rocprim17ROCPRIM_400000_NS6detail17trampoline_kernelINS0_14default_configENS1_20scan_config_selectorIsEEZZNS1_9scan_implILNS1_25lookback_scan_determinismE0ELb0ELb0ES3_N6thrust23THRUST_200600_302600_NS6detail15normal_iteratorINS9_10device_ptrIsEEEENS9_16discard_iteratorINS9_11use_defaultEEEsNS9_4plusIvEEsEEDaPvRmT3_T4_T5_mT6_P12ihipStream_tbENKUlT_T0_E_clISt17integral_constantIbLb0EESX_EEDaSS_ST_EUlSS_E0_NS1_11comp_targetILNS1_3genE10ELNS1_11target_archE1200ELNS1_3gpuE4ELNS1_3repE0EEENS1_30default_config_static_selectorELNS0_4arch9wavefront6targetE1EEEvT1_
	.p2align	8
	.type	_ZN7rocprim17ROCPRIM_400000_NS6detail17trampoline_kernelINS0_14default_configENS1_20scan_config_selectorIsEEZZNS1_9scan_implILNS1_25lookback_scan_determinismE0ELb0ELb0ES3_N6thrust23THRUST_200600_302600_NS6detail15normal_iteratorINS9_10device_ptrIsEEEENS9_16discard_iteratorINS9_11use_defaultEEEsNS9_4plusIvEEsEEDaPvRmT3_T4_T5_mT6_P12ihipStream_tbENKUlT_T0_E_clISt17integral_constantIbLb0EESX_EEDaSS_ST_EUlSS_E0_NS1_11comp_targetILNS1_3genE10ELNS1_11target_archE1200ELNS1_3gpuE4ELNS1_3repE0EEENS1_30default_config_static_selectorELNS0_4arch9wavefront6targetE1EEEvT1_,@function
_ZN7rocprim17ROCPRIM_400000_NS6detail17trampoline_kernelINS0_14default_configENS1_20scan_config_selectorIsEEZZNS1_9scan_implILNS1_25lookback_scan_determinismE0ELb0ELb0ES3_N6thrust23THRUST_200600_302600_NS6detail15normal_iteratorINS9_10device_ptrIsEEEENS9_16discard_iteratorINS9_11use_defaultEEEsNS9_4plusIvEEsEEDaPvRmT3_T4_T5_mT6_P12ihipStream_tbENKUlT_T0_E_clISt17integral_constantIbLb0EESX_EEDaSS_ST_EUlSS_E0_NS1_11comp_targetILNS1_3genE10ELNS1_11target_archE1200ELNS1_3gpuE4ELNS1_3repE0EEENS1_30default_config_static_selectorELNS0_4arch9wavefront6targetE1EEEvT1_: ; @_ZN7rocprim17ROCPRIM_400000_NS6detail17trampoline_kernelINS0_14default_configENS1_20scan_config_selectorIsEEZZNS1_9scan_implILNS1_25lookback_scan_determinismE0ELb0ELb0ES3_N6thrust23THRUST_200600_302600_NS6detail15normal_iteratorINS9_10device_ptrIsEEEENS9_16discard_iteratorINS9_11use_defaultEEEsNS9_4plusIvEEsEEDaPvRmT3_T4_T5_mT6_P12ihipStream_tbENKUlT_T0_E_clISt17integral_constantIbLb0EESX_EEDaSS_ST_EUlSS_E0_NS1_11comp_targetILNS1_3genE10ELNS1_11target_archE1200ELNS1_3gpuE4ELNS1_3repE0EEENS1_30default_config_static_selectorELNS0_4arch9wavefront6targetE1EEEvT1_
; %bb.0:
	.section	.rodata,"a",@progbits
	.p2align	6, 0x0
	.amdhsa_kernel _ZN7rocprim17ROCPRIM_400000_NS6detail17trampoline_kernelINS0_14default_configENS1_20scan_config_selectorIsEEZZNS1_9scan_implILNS1_25lookback_scan_determinismE0ELb0ELb0ES3_N6thrust23THRUST_200600_302600_NS6detail15normal_iteratorINS9_10device_ptrIsEEEENS9_16discard_iteratorINS9_11use_defaultEEEsNS9_4plusIvEEsEEDaPvRmT3_T4_T5_mT6_P12ihipStream_tbENKUlT_T0_E_clISt17integral_constantIbLb0EESX_EEDaSS_ST_EUlSS_E0_NS1_11comp_targetILNS1_3genE10ELNS1_11target_archE1200ELNS1_3gpuE4ELNS1_3repE0EEENS1_30default_config_static_selectorELNS0_4arch9wavefront6targetE1EEEvT1_
		.amdhsa_group_segment_fixed_size 0
		.amdhsa_private_segment_fixed_size 0
		.amdhsa_kernarg_size 40
		.amdhsa_user_sgpr_count 6
		.amdhsa_user_sgpr_private_segment_buffer 1
		.amdhsa_user_sgpr_dispatch_ptr 0
		.amdhsa_user_sgpr_queue_ptr 0
		.amdhsa_user_sgpr_kernarg_segment_ptr 1
		.amdhsa_user_sgpr_dispatch_id 0
		.amdhsa_user_sgpr_flat_scratch_init 0
		.amdhsa_user_sgpr_kernarg_preload_length 0
		.amdhsa_user_sgpr_kernarg_preload_offset 0
		.amdhsa_user_sgpr_private_segment_size 0
		.amdhsa_uses_dynamic_stack 0
		.amdhsa_system_sgpr_private_segment_wavefront_offset 0
		.amdhsa_system_sgpr_workgroup_id_x 1
		.amdhsa_system_sgpr_workgroup_id_y 0
		.amdhsa_system_sgpr_workgroup_id_z 0
		.amdhsa_system_sgpr_workgroup_info 0
		.amdhsa_system_vgpr_workitem_id 0
		.amdhsa_next_free_vgpr 1
		.amdhsa_next_free_sgpr 0
		.amdhsa_accum_offset 4
		.amdhsa_reserve_vcc 0
		.amdhsa_reserve_flat_scratch 0
		.amdhsa_float_round_mode_32 0
		.amdhsa_float_round_mode_16_64 0
		.amdhsa_float_denorm_mode_32 3
		.amdhsa_float_denorm_mode_16_64 3
		.amdhsa_dx10_clamp 1
		.amdhsa_ieee_mode 1
		.amdhsa_fp16_overflow 0
		.amdhsa_tg_split 0
		.amdhsa_exception_fp_ieee_invalid_op 0
		.amdhsa_exception_fp_denorm_src 0
		.amdhsa_exception_fp_ieee_div_zero 0
		.amdhsa_exception_fp_ieee_overflow 0
		.amdhsa_exception_fp_ieee_underflow 0
		.amdhsa_exception_fp_ieee_inexact 0
		.amdhsa_exception_int_div_zero 0
	.end_amdhsa_kernel
	.section	.text._ZN7rocprim17ROCPRIM_400000_NS6detail17trampoline_kernelINS0_14default_configENS1_20scan_config_selectorIsEEZZNS1_9scan_implILNS1_25lookback_scan_determinismE0ELb0ELb0ES3_N6thrust23THRUST_200600_302600_NS6detail15normal_iteratorINS9_10device_ptrIsEEEENS9_16discard_iteratorINS9_11use_defaultEEEsNS9_4plusIvEEsEEDaPvRmT3_T4_T5_mT6_P12ihipStream_tbENKUlT_T0_E_clISt17integral_constantIbLb0EESX_EEDaSS_ST_EUlSS_E0_NS1_11comp_targetILNS1_3genE10ELNS1_11target_archE1200ELNS1_3gpuE4ELNS1_3repE0EEENS1_30default_config_static_selectorELNS0_4arch9wavefront6targetE1EEEvT1_,"axG",@progbits,_ZN7rocprim17ROCPRIM_400000_NS6detail17trampoline_kernelINS0_14default_configENS1_20scan_config_selectorIsEEZZNS1_9scan_implILNS1_25lookback_scan_determinismE0ELb0ELb0ES3_N6thrust23THRUST_200600_302600_NS6detail15normal_iteratorINS9_10device_ptrIsEEEENS9_16discard_iteratorINS9_11use_defaultEEEsNS9_4plusIvEEsEEDaPvRmT3_T4_T5_mT6_P12ihipStream_tbENKUlT_T0_E_clISt17integral_constantIbLb0EESX_EEDaSS_ST_EUlSS_E0_NS1_11comp_targetILNS1_3genE10ELNS1_11target_archE1200ELNS1_3gpuE4ELNS1_3repE0EEENS1_30default_config_static_selectorELNS0_4arch9wavefront6targetE1EEEvT1_,comdat
.Lfunc_end5885:
	.size	_ZN7rocprim17ROCPRIM_400000_NS6detail17trampoline_kernelINS0_14default_configENS1_20scan_config_selectorIsEEZZNS1_9scan_implILNS1_25lookback_scan_determinismE0ELb0ELb0ES3_N6thrust23THRUST_200600_302600_NS6detail15normal_iteratorINS9_10device_ptrIsEEEENS9_16discard_iteratorINS9_11use_defaultEEEsNS9_4plusIvEEsEEDaPvRmT3_T4_T5_mT6_P12ihipStream_tbENKUlT_T0_E_clISt17integral_constantIbLb0EESX_EEDaSS_ST_EUlSS_E0_NS1_11comp_targetILNS1_3genE10ELNS1_11target_archE1200ELNS1_3gpuE4ELNS1_3repE0EEENS1_30default_config_static_selectorELNS0_4arch9wavefront6targetE1EEEvT1_, .Lfunc_end5885-_ZN7rocprim17ROCPRIM_400000_NS6detail17trampoline_kernelINS0_14default_configENS1_20scan_config_selectorIsEEZZNS1_9scan_implILNS1_25lookback_scan_determinismE0ELb0ELb0ES3_N6thrust23THRUST_200600_302600_NS6detail15normal_iteratorINS9_10device_ptrIsEEEENS9_16discard_iteratorINS9_11use_defaultEEEsNS9_4plusIvEEsEEDaPvRmT3_T4_T5_mT6_P12ihipStream_tbENKUlT_T0_E_clISt17integral_constantIbLb0EESX_EEDaSS_ST_EUlSS_E0_NS1_11comp_targetILNS1_3genE10ELNS1_11target_archE1200ELNS1_3gpuE4ELNS1_3repE0EEENS1_30default_config_static_selectorELNS0_4arch9wavefront6targetE1EEEvT1_
                                        ; -- End function
	.section	.AMDGPU.csdata,"",@progbits
; Kernel info:
; codeLenInByte = 0
; NumSgprs: 4
; NumVgprs: 0
; NumAgprs: 0
; TotalNumVgprs: 0
; ScratchSize: 0
; MemoryBound: 0
; FloatMode: 240
; IeeeMode: 1
; LDSByteSize: 0 bytes/workgroup (compile time only)
; SGPRBlocks: 0
; VGPRBlocks: 0
; NumSGPRsForWavesPerEU: 4
; NumVGPRsForWavesPerEU: 1
; AccumOffset: 4
; Occupancy: 8
; WaveLimiterHint : 0
; COMPUTE_PGM_RSRC2:SCRATCH_EN: 0
; COMPUTE_PGM_RSRC2:USER_SGPR: 6
; COMPUTE_PGM_RSRC2:TRAP_HANDLER: 0
; COMPUTE_PGM_RSRC2:TGID_X_EN: 1
; COMPUTE_PGM_RSRC2:TGID_Y_EN: 0
; COMPUTE_PGM_RSRC2:TGID_Z_EN: 0
; COMPUTE_PGM_RSRC2:TIDIG_COMP_CNT: 0
; COMPUTE_PGM_RSRC3_GFX90A:ACCUM_OFFSET: 0
; COMPUTE_PGM_RSRC3_GFX90A:TG_SPLIT: 0
	.section	.text._ZN7rocprim17ROCPRIM_400000_NS6detail17trampoline_kernelINS0_14default_configENS1_20scan_config_selectorIsEEZZNS1_9scan_implILNS1_25lookback_scan_determinismE0ELb0ELb0ES3_N6thrust23THRUST_200600_302600_NS6detail15normal_iteratorINS9_10device_ptrIsEEEENS9_16discard_iteratorINS9_11use_defaultEEEsNS9_4plusIvEEsEEDaPvRmT3_T4_T5_mT6_P12ihipStream_tbENKUlT_T0_E_clISt17integral_constantIbLb0EESX_EEDaSS_ST_EUlSS_E0_NS1_11comp_targetILNS1_3genE9ELNS1_11target_archE1100ELNS1_3gpuE3ELNS1_3repE0EEENS1_30default_config_static_selectorELNS0_4arch9wavefront6targetE1EEEvT1_,"axG",@progbits,_ZN7rocprim17ROCPRIM_400000_NS6detail17trampoline_kernelINS0_14default_configENS1_20scan_config_selectorIsEEZZNS1_9scan_implILNS1_25lookback_scan_determinismE0ELb0ELb0ES3_N6thrust23THRUST_200600_302600_NS6detail15normal_iteratorINS9_10device_ptrIsEEEENS9_16discard_iteratorINS9_11use_defaultEEEsNS9_4plusIvEEsEEDaPvRmT3_T4_T5_mT6_P12ihipStream_tbENKUlT_T0_E_clISt17integral_constantIbLb0EESX_EEDaSS_ST_EUlSS_E0_NS1_11comp_targetILNS1_3genE9ELNS1_11target_archE1100ELNS1_3gpuE3ELNS1_3repE0EEENS1_30default_config_static_selectorELNS0_4arch9wavefront6targetE1EEEvT1_,comdat
	.protected	_ZN7rocprim17ROCPRIM_400000_NS6detail17trampoline_kernelINS0_14default_configENS1_20scan_config_selectorIsEEZZNS1_9scan_implILNS1_25lookback_scan_determinismE0ELb0ELb0ES3_N6thrust23THRUST_200600_302600_NS6detail15normal_iteratorINS9_10device_ptrIsEEEENS9_16discard_iteratorINS9_11use_defaultEEEsNS9_4plusIvEEsEEDaPvRmT3_T4_T5_mT6_P12ihipStream_tbENKUlT_T0_E_clISt17integral_constantIbLb0EESX_EEDaSS_ST_EUlSS_E0_NS1_11comp_targetILNS1_3genE9ELNS1_11target_archE1100ELNS1_3gpuE3ELNS1_3repE0EEENS1_30default_config_static_selectorELNS0_4arch9wavefront6targetE1EEEvT1_ ; -- Begin function _ZN7rocprim17ROCPRIM_400000_NS6detail17trampoline_kernelINS0_14default_configENS1_20scan_config_selectorIsEEZZNS1_9scan_implILNS1_25lookback_scan_determinismE0ELb0ELb0ES3_N6thrust23THRUST_200600_302600_NS6detail15normal_iteratorINS9_10device_ptrIsEEEENS9_16discard_iteratorINS9_11use_defaultEEEsNS9_4plusIvEEsEEDaPvRmT3_T4_T5_mT6_P12ihipStream_tbENKUlT_T0_E_clISt17integral_constantIbLb0EESX_EEDaSS_ST_EUlSS_E0_NS1_11comp_targetILNS1_3genE9ELNS1_11target_archE1100ELNS1_3gpuE3ELNS1_3repE0EEENS1_30default_config_static_selectorELNS0_4arch9wavefront6targetE1EEEvT1_
	.globl	_ZN7rocprim17ROCPRIM_400000_NS6detail17trampoline_kernelINS0_14default_configENS1_20scan_config_selectorIsEEZZNS1_9scan_implILNS1_25lookback_scan_determinismE0ELb0ELb0ES3_N6thrust23THRUST_200600_302600_NS6detail15normal_iteratorINS9_10device_ptrIsEEEENS9_16discard_iteratorINS9_11use_defaultEEEsNS9_4plusIvEEsEEDaPvRmT3_T4_T5_mT6_P12ihipStream_tbENKUlT_T0_E_clISt17integral_constantIbLb0EESX_EEDaSS_ST_EUlSS_E0_NS1_11comp_targetILNS1_3genE9ELNS1_11target_archE1100ELNS1_3gpuE3ELNS1_3repE0EEENS1_30default_config_static_selectorELNS0_4arch9wavefront6targetE1EEEvT1_
	.p2align	8
	.type	_ZN7rocprim17ROCPRIM_400000_NS6detail17trampoline_kernelINS0_14default_configENS1_20scan_config_selectorIsEEZZNS1_9scan_implILNS1_25lookback_scan_determinismE0ELb0ELb0ES3_N6thrust23THRUST_200600_302600_NS6detail15normal_iteratorINS9_10device_ptrIsEEEENS9_16discard_iteratorINS9_11use_defaultEEEsNS9_4plusIvEEsEEDaPvRmT3_T4_T5_mT6_P12ihipStream_tbENKUlT_T0_E_clISt17integral_constantIbLb0EESX_EEDaSS_ST_EUlSS_E0_NS1_11comp_targetILNS1_3genE9ELNS1_11target_archE1100ELNS1_3gpuE3ELNS1_3repE0EEENS1_30default_config_static_selectorELNS0_4arch9wavefront6targetE1EEEvT1_,@function
_ZN7rocprim17ROCPRIM_400000_NS6detail17trampoline_kernelINS0_14default_configENS1_20scan_config_selectorIsEEZZNS1_9scan_implILNS1_25lookback_scan_determinismE0ELb0ELb0ES3_N6thrust23THRUST_200600_302600_NS6detail15normal_iteratorINS9_10device_ptrIsEEEENS9_16discard_iteratorINS9_11use_defaultEEEsNS9_4plusIvEEsEEDaPvRmT3_T4_T5_mT6_P12ihipStream_tbENKUlT_T0_E_clISt17integral_constantIbLb0EESX_EEDaSS_ST_EUlSS_E0_NS1_11comp_targetILNS1_3genE9ELNS1_11target_archE1100ELNS1_3gpuE3ELNS1_3repE0EEENS1_30default_config_static_selectorELNS0_4arch9wavefront6targetE1EEEvT1_: ; @_ZN7rocprim17ROCPRIM_400000_NS6detail17trampoline_kernelINS0_14default_configENS1_20scan_config_selectorIsEEZZNS1_9scan_implILNS1_25lookback_scan_determinismE0ELb0ELb0ES3_N6thrust23THRUST_200600_302600_NS6detail15normal_iteratorINS9_10device_ptrIsEEEENS9_16discard_iteratorINS9_11use_defaultEEEsNS9_4plusIvEEsEEDaPvRmT3_T4_T5_mT6_P12ihipStream_tbENKUlT_T0_E_clISt17integral_constantIbLb0EESX_EEDaSS_ST_EUlSS_E0_NS1_11comp_targetILNS1_3genE9ELNS1_11target_archE1100ELNS1_3gpuE3ELNS1_3repE0EEENS1_30default_config_static_selectorELNS0_4arch9wavefront6targetE1EEEvT1_
; %bb.0:
	.section	.rodata,"a",@progbits
	.p2align	6, 0x0
	.amdhsa_kernel _ZN7rocprim17ROCPRIM_400000_NS6detail17trampoline_kernelINS0_14default_configENS1_20scan_config_selectorIsEEZZNS1_9scan_implILNS1_25lookback_scan_determinismE0ELb0ELb0ES3_N6thrust23THRUST_200600_302600_NS6detail15normal_iteratorINS9_10device_ptrIsEEEENS9_16discard_iteratorINS9_11use_defaultEEEsNS9_4plusIvEEsEEDaPvRmT3_T4_T5_mT6_P12ihipStream_tbENKUlT_T0_E_clISt17integral_constantIbLb0EESX_EEDaSS_ST_EUlSS_E0_NS1_11comp_targetILNS1_3genE9ELNS1_11target_archE1100ELNS1_3gpuE3ELNS1_3repE0EEENS1_30default_config_static_selectorELNS0_4arch9wavefront6targetE1EEEvT1_
		.amdhsa_group_segment_fixed_size 0
		.amdhsa_private_segment_fixed_size 0
		.amdhsa_kernarg_size 40
		.amdhsa_user_sgpr_count 6
		.amdhsa_user_sgpr_private_segment_buffer 1
		.amdhsa_user_sgpr_dispatch_ptr 0
		.amdhsa_user_sgpr_queue_ptr 0
		.amdhsa_user_sgpr_kernarg_segment_ptr 1
		.amdhsa_user_sgpr_dispatch_id 0
		.amdhsa_user_sgpr_flat_scratch_init 0
		.amdhsa_user_sgpr_kernarg_preload_length 0
		.amdhsa_user_sgpr_kernarg_preload_offset 0
		.amdhsa_user_sgpr_private_segment_size 0
		.amdhsa_uses_dynamic_stack 0
		.amdhsa_system_sgpr_private_segment_wavefront_offset 0
		.amdhsa_system_sgpr_workgroup_id_x 1
		.amdhsa_system_sgpr_workgroup_id_y 0
		.amdhsa_system_sgpr_workgroup_id_z 0
		.amdhsa_system_sgpr_workgroup_info 0
		.amdhsa_system_vgpr_workitem_id 0
		.amdhsa_next_free_vgpr 1
		.amdhsa_next_free_sgpr 0
		.amdhsa_accum_offset 4
		.amdhsa_reserve_vcc 0
		.amdhsa_reserve_flat_scratch 0
		.amdhsa_float_round_mode_32 0
		.amdhsa_float_round_mode_16_64 0
		.amdhsa_float_denorm_mode_32 3
		.amdhsa_float_denorm_mode_16_64 3
		.amdhsa_dx10_clamp 1
		.amdhsa_ieee_mode 1
		.amdhsa_fp16_overflow 0
		.amdhsa_tg_split 0
		.amdhsa_exception_fp_ieee_invalid_op 0
		.amdhsa_exception_fp_denorm_src 0
		.amdhsa_exception_fp_ieee_div_zero 0
		.amdhsa_exception_fp_ieee_overflow 0
		.amdhsa_exception_fp_ieee_underflow 0
		.amdhsa_exception_fp_ieee_inexact 0
		.amdhsa_exception_int_div_zero 0
	.end_amdhsa_kernel
	.section	.text._ZN7rocprim17ROCPRIM_400000_NS6detail17trampoline_kernelINS0_14default_configENS1_20scan_config_selectorIsEEZZNS1_9scan_implILNS1_25lookback_scan_determinismE0ELb0ELb0ES3_N6thrust23THRUST_200600_302600_NS6detail15normal_iteratorINS9_10device_ptrIsEEEENS9_16discard_iteratorINS9_11use_defaultEEEsNS9_4plusIvEEsEEDaPvRmT3_T4_T5_mT6_P12ihipStream_tbENKUlT_T0_E_clISt17integral_constantIbLb0EESX_EEDaSS_ST_EUlSS_E0_NS1_11comp_targetILNS1_3genE9ELNS1_11target_archE1100ELNS1_3gpuE3ELNS1_3repE0EEENS1_30default_config_static_selectorELNS0_4arch9wavefront6targetE1EEEvT1_,"axG",@progbits,_ZN7rocprim17ROCPRIM_400000_NS6detail17trampoline_kernelINS0_14default_configENS1_20scan_config_selectorIsEEZZNS1_9scan_implILNS1_25lookback_scan_determinismE0ELb0ELb0ES3_N6thrust23THRUST_200600_302600_NS6detail15normal_iteratorINS9_10device_ptrIsEEEENS9_16discard_iteratorINS9_11use_defaultEEEsNS9_4plusIvEEsEEDaPvRmT3_T4_T5_mT6_P12ihipStream_tbENKUlT_T0_E_clISt17integral_constantIbLb0EESX_EEDaSS_ST_EUlSS_E0_NS1_11comp_targetILNS1_3genE9ELNS1_11target_archE1100ELNS1_3gpuE3ELNS1_3repE0EEENS1_30default_config_static_selectorELNS0_4arch9wavefront6targetE1EEEvT1_,comdat
.Lfunc_end5886:
	.size	_ZN7rocprim17ROCPRIM_400000_NS6detail17trampoline_kernelINS0_14default_configENS1_20scan_config_selectorIsEEZZNS1_9scan_implILNS1_25lookback_scan_determinismE0ELb0ELb0ES3_N6thrust23THRUST_200600_302600_NS6detail15normal_iteratorINS9_10device_ptrIsEEEENS9_16discard_iteratorINS9_11use_defaultEEEsNS9_4plusIvEEsEEDaPvRmT3_T4_T5_mT6_P12ihipStream_tbENKUlT_T0_E_clISt17integral_constantIbLb0EESX_EEDaSS_ST_EUlSS_E0_NS1_11comp_targetILNS1_3genE9ELNS1_11target_archE1100ELNS1_3gpuE3ELNS1_3repE0EEENS1_30default_config_static_selectorELNS0_4arch9wavefront6targetE1EEEvT1_, .Lfunc_end5886-_ZN7rocprim17ROCPRIM_400000_NS6detail17trampoline_kernelINS0_14default_configENS1_20scan_config_selectorIsEEZZNS1_9scan_implILNS1_25lookback_scan_determinismE0ELb0ELb0ES3_N6thrust23THRUST_200600_302600_NS6detail15normal_iteratorINS9_10device_ptrIsEEEENS9_16discard_iteratorINS9_11use_defaultEEEsNS9_4plusIvEEsEEDaPvRmT3_T4_T5_mT6_P12ihipStream_tbENKUlT_T0_E_clISt17integral_constantIbLb0EESX_EEDaSS_ST_EUlSS_E0_NS1_11comp_targetILNS1_3genE9ELNS1_11target_archE1100ELNS1_3gpuE3ELNS1_3repE0EEENS1_30default_config_static_selectorELNS0_4arch9wavefront6targetE1EEEvT1_
                                        ; -- End function
	.section	.AMDGPU.csdata,"",@progbits
; Kernel info:
; codeLenInByte = 0
; NumSgprs: 4
; NumVgprs: 0
; NumAgprs: 0
; TotalNumVgprs: 0
; ScratchSize: 0
; MemoryBound: 0
; FloatMode: 240
; IeeeMode: 1
; LDSByteSize: 0 bytes/workgroup (compile time only)
; SGPRBlocks: 0
; VGPRBlocks: 0
; NumSGPRsForWavesPerEU: 4
; NumVGPRsForWavesPerEU: 1
; AccumOffset: 4
; Occupancy: 8
; WaveLimiterHint : 0
; COMPUTE_PGM_RSRC2:SCRATCH_EN: 0
; COMPUTE_PGM_RSRC2:USER_SGPR: 6
; COMPUTE_PGM_RSRC2:TRAP_HANDLER: 0
; COMPUTE_PGM_RSRC2:TGID_X_EN: 1
; COMPUTE_PGM_RSRC2:TGID_Y_EN: 0
; COMPUTE_PGM_RSRC2:TGID_Z_EN: 0
; COMPUTE_PGM_RSRC2:TIDIG_COMP_CNT: 0
; COMPUTE_PGM_RSRC3_GFX90A:ACCUM_OFFSET: 0
; COMPUTE_PGM_RSRC3_GFX90A:TG_SPLIT: 0
	.section	.text._ZN7rocprim17ROCPRIM_400000_NS6detail17trampoline_kernelINS0_14default_configENS1_20scan_config_selectorIsEEZZNS1_9scan_implILNS1_25lookback_scan_determinismE0ELb0ELb0ES3_N6thrust23THRUST_200600_302600_NS6detail15normal_iteratorINS9_10device_ptrIsEEEENS9_16discard_iteratorINS9_11use_defaultEEEsNS9_4plusIvEEsEEDaPvRmT3_T4_T5_mT6_P12ihipStream_tbENKUlT_T0_E_clISt17integral_constantIbLb0EESX_EEDaSS_ST_EUlSS_E0_NS1_11comp_targetILNS1_3genE8ELNS1_11target_archE1030ELNS1_3gpuE2ELNS1_3repE0EEENS1_30default_config_static_selectorELNS0_4arch9wavefront6targetE1EEEvT1_,"axG",@progbits,_ZN7rocprim17ROCPRIM_400000_NS6detail17trampoline_kernelINS0_14default_configENS1_20scan_config_selectorIsEEZZNS1_9scan_implILNS1_25lookback_scan_determinismE0ELb0ELb0ES3_N6thrust23THRUST_200600_302600_NS6detail15normal_iteratorINS9_10device_ptrIsEEEENS9_16discard_iteratorINS9_11use_defaultEEEsNS9_4plusIvEEsEEDaPvRmT3_T4_T5_mT6_P12ihipStream_tbENKUlT_T0_E_clISt17integral_constantIbLb0EESX_EEDaSS_ST_EUlSS_E0_NS1_11comp_targetILNS1_3genE8ELNS1_11target_archE1030ELNS1_3gpuE2ELNS1_3repE0EEENS1_30default_config_static_selectorELNS0_4arch9wavefront6targetE1EEEvT1_,comdat
	.protected	_ZN7rocprim17ROCPRIM_400000_NS6detail17trampoline_kernelINS0_14default_configENS1_20scan_config_selectorIsEEZZNS1_9scan_implILNS1_25lookback_scan_determinismE0ELb0ELb0ES3_N6thrust23THRUST_200600_302600_NS6detail15normal_iteratorINS9_10device_ptrIsEEEENS9_16discard_iteratorINS9_11use_defaultEEEsNS9_4plusIvEEsEEDaPvRmT3_T4_T5_mT6_P12ihipStream_tbENKUlT_T0_E_clISt17integral_constantIbLb0EESX_EEDaSS_ST_EUlSS_E0_NS1_11comp_targetILNS1_3genE8ELNS1_11target_archE1030ELNS1_3gpuE2ELNS1_3repE0EEENS1_30default_config_static_selectorELNS0_4arch9wavefront6targetE1EEEvT1_ ; -- Begin function _ZN7rocprim17ROCPRIM_400000_NS6detail17trampoline_kernelINS0_14default_configENS1_20scan_config_selectorIsEEZZNS1_9scan_implILNS1_25lookback_scan_determinismE0ELb0ELb0ES3_N6thrust23THRUST_200600_302600_NS6detail15normal_iteratorINS9_10device_ptrIsEEEENS9_16discard_iteratorINS9_11use_defaultEEEsNS9_4plusIvEEsEEDaPvRmT3_T4_T5_mT6_P12ihipStream_tbENKUlT_T0_E_clISt17integral_constantIbLb0EESX_EEDaSS_ST_EUlSS_E0_NS1_11comp_targetILNS1_3genE8ELNS1_11target_archE1030ELNS1_3gpuE2ELNS1_3repE0EEENS1_30default_config_static_selectorELNS0_4arch9wavefront6targetE1EEEvT1_
	.globl	_ZN7rocprim17ROCPRIM_400000_NS6detail17trampoline_kernelINS0_14default_configENS1_20scan_config_selectorIsEEZZNS1_9scan_implILNS1_25lookback_scan_determinismE0ELb0ELb0ES3_N6thrust23THRUST_200600_302600_NS6detail15normal_iteratorINS9_10device_ptrIsEEEENS9_16discard_iteratorINS9_11use_defaultEEEsNS9_4plusIvEEsEEDaPvRmT3_T4_T5_mT6_P12ihipStream_tbENKUlT_T0_E_clISt17integral_constantIbLb0EESX_EEDaSS_ST_EUlSS_E0_NS1_11comp_targetILNS1_3genE8ELNS1_11target_archE1030ELNS1_3gpuE2ELNS1_3repE0EEENS1_30default_config_static_selectorELNS0_4arch9wavefront6targetE1EEEvT1_
	.p2align	8
	.type	_ZN7rocprim17ROCPRIM_400000_NS6detail17trampoline_kernelINS0_14default_configENS1_20scan_config_selectorIsEEZZNS1_9scan_implILNS1_25lookback_scan_determinismE0ELb0ELb0ES3_N6thrust23THRUST_200600_302600_NS6detail15normal_iteratorINS9_10device_ptrIsEEEENS9_16discard_iteratorINS9_11use_defaultEEEsNS9_4plusIvEEsEEDaPvRmT3_T4_T5_mT6_P12ihipStream_tbENKUlT_T0_E_clISt17integral_constantIbLb0EESX_EEDaSS_ST_EUlSS_E0_NS1_11comp_targetILNS1_3genE8ELNS1_11target_archE1030ELNS1_3gpuE2ELNS1_3repE0EEENS1_30default_config_static_selectorELNS0_4arch9wavefront6targetE1EEEvT1_,@function
_ZN7rocprim17ROCPRIM_400000_NS6detail17trampoline_kernelINS0_14default_configENS1_20scan_config_selectorIsEEZZNS1_9scan_implILNS1_25lookback_scan_determinismE0ELb0ELb0ES3_N6thrust23THRUST_200600_302600_NS6detail15normal_iteratorINS9_10device_ptrIsEEEENS9_16discard_iteratorINS9_11use_defaultEEEsNS9_4plusIvEEsEEDaPvRmT3_T4_T5_mT6_P12ihipStream_tbENKUlT_T0_E_clISt17integral_constantIbLb0EESX_EEDaSS_ST_EUlSS_E0_NS1_11comp_targetILNS1_3genE8ELNS1_11target_archE1030ELNS1_3gpuE2ELNS1_3repE0EEENS1_30default_config_static_selectorELNS0_4arch9wavefront6targetE1EEEvT1_: ; @_ZN7rocprim17ROCPRIM_400000_NS6detail17trampoline_kernelINS0_14default_configENS1_20scan_config_selectorIsEEZZNS1_9scan_implILNS1_25lookback_scan_determinismE0ELb0ELb0ES3_N6thrust23THRUST_200600_302600_NS6detail15normal_iteratorINS9_10device_ptrIsEEEENS9_16discard_iteratorINS9_11use_defaultEEEsNS9_4plusIvEEsEEDaPvRmT3_T4_T5_mT6_P12ihipStream_tbENKUlT_T0_E_clISt17integral_constantIbLb0EESX_EEDaSS_ST_EUlSS_E0_NS1_11comp_targetILNS1_3genE8ELNS1_11target_archE1030ELNS1_3gpuE2ELNS1_3repE0EEENS1_30default_config_static_selectorELNS0_4arch9wavefront6targetE1EEEvT1_
; %bb.0:
	.section	.rodata,"a",@progbits
	.p2align	6, 0x0
	.amdhsa_kernel _ZN7rocprim17ROCPRIM_400000_NS6detail17trampoline_kernelINS0_14default_configENS1_20scan_config_selectorIsEEZZNS1_9scan_implILNS1_25lookback_scan_determinismE0ELb0ELb0ES3_N6thrust23THRUST_200600_302600_NS6detail15normal_iteratorINS9_10device_ptrIsEEEENS9_16discard_iteratorINS9_11use_defaultEEEsNS9_4plusIvEEsEEDaPvRmT3_T4_T5_mT6_P12ihipStream_tbENKUlT_T0_E_clISt17integral_constantIbLb0EESX_EEDaSS_ST_EUlSS_E0_NS1_11comp_targetILNS1_3genE8ELNS1_11target_archE1030ELNS1_3gpuE2ELNS1_3repE0EEENS1_30default_config_static_selectorELNS0_4arch9wavefront6targetE1EEEvT1_
		.amdhsa_group_segment_fixed_size 0
		.amdhsa_private_segment_fixed_size 0
		.amdhsa_kernarg_size 40
		.amdhsa_user_sgpr_count 6
		.amdhsa_user_sgpr_private_segment_buffer 1
		.amdhsa_user_sgpr_dispatch_ptr 0
		.amdhsa_user_sgpr_queue_ptr 0
		.amdhsa_user_sgpr_kernarg_segment_ptr 1
		.amdhsa_user_sgpr_dispatch_id 0
		.amdhsa_user_sgpr_flat_scratch_init 0
		.amdhsa_user_sgpr_kernarg_preload_length 0
		.amdhsa_user_sgpr_kernarg_preload_offset 0
		.amdhsa_user_sgpr_private_segment_size 0
		.amdhsa_uses_dynamic_stack 0
		.amdhsa_system_sgpr_private_segment_wavefront_offset 0
		.amdhsa_system_sgpr_workgroup_id_x 1
		.amdhsa_system_sgpr_workgroup_id_y 0
		.amdhsa_system_sgpr_workgroup_id_z 0
		.amdhsa_system_sgpr_workgroup_info 0
		.amdhsa_system_vgpr_workitem_id 0
		.amdhsa_next_free_vgpr 1
		.amdhsa_next_free_sgpr 0
		.amdhsa_accum_offset 4
		.amdhsa_reserve_vcc 0
		.amdhsa_reserve_flat_scratch 0
		.amdhsa_float_round_mode_32 0
		.amdhsa_float_round_mode_16_64 0
		.amdhsa_float_denorm_mode_32 3
		.amdhsa_float_denorm_mode_16_64 3
		.amdhsa_dx10_clamp 1
		.amdhsa_ieee_mode 1
		.amdhsa_fp16_overflow 0
		.amdhsa_tg_split 0
		.amdhsa_exception_fp_ieee_invalid_op 0
		.amdhsa_exception_fp_denorm_src 0
		.amdhsa_exception_fp_ieee_div_zero 0
		.amdhsa_exception_fp_ieee_overflow 0
		.amdhsa_exception_fp_ieee_underflow 0
		.amdhsa_exception_fp_ieee_inexact 0
		.amdhsa_exception_int_div_zero 0
	.end_amdhsa_kernel
	.section	.text._ZN7rocprim17ROCPRIM_400000_NS6detail17trampoline_kernelINS0_14default_configENS1_20scan_config_selectorIsEEZZNS1_9scan_implILNS1_25lookback_scan_determinismE0ELb0ELb0ES3_N6thrust23THRUST_200600_302600_NS6detail15normal_iteratorINS9_10device_ptrIsEEEENS9_16discard_iteratorINS9_11use_defaultEEEsNS9_4plusIvEEsEEDaPvRmT3_T4_T5_mT6_P12ihipStream_tbENKUlT_T0_E_clISt17integral_constantIbLb0EESX_EEDaSS_ST_EUlSS_E0_NS1_11comp_targetILNS1_3genE8ELNS1_11target_archE1030ELNS1_3gpuE2ELNS1_3repE0EEENS1_30default_config_static_selectorELNS0_4arch9wavefront6targetE1EEEvT1_,"axG",@progbits,_ZN7rocprim17ROCPRIM_400000_NS6detail17trampoline_kernelINS0_14default_configENS1_20scan_config_selectorIsEEZZNS1_9scan_implILNS1_25lookback_scan_determinismE0ELb0ELb0ES3_N6thrust23THRUST_200600_302600_NS6detail15normal_iteratorINS9_10device_ptrIsEEEENS9_16discard_iteratorINS9_11use_defaultEEEsNS9_4plusIvEEsEEDaPvRmT3_T4_T5_mT6_P12ihipStream_tbENKUlT_T0_E_clISt17integral_constantIbLb0EESX_EEDaSS_ST_EUlSS_E0_NS1_11comp_targetILNS1_3genE8ELNS1_11target_archE1030ELNS1_3gpuE2ELNS1_3repE0EEENS1_30default_config_static_selectorELNS0_4arch9wavefront6targetE1EEEvT1_,comdat
.Lfunc_end5887:
	.size	_ZN7rocprim17ROCPRIM_400000_NS6detail17trampoline_kernelINS0_14default_configENS1_20scan_config_selectorIsEEZZNS1_9scan_implILNS1_25lookback_scan_determinismE0ELb0ELb0ES3_N6thrust23THRUST_200600_302600_NS6detail15normal_iteratorINS9_10device_ptrIsEEEENS9_16discard_iteratorINS9_11use_defaultEEEsNS9_4plusIvEEsEEDaPvRmT3_T4_T5_mT6_P12ihipStream_tbENKUlT_T0_E_clISt17integral_constantIbLb0EESX_EEDaSS_ST_EUlSS_E0_NS1_11comp_targetILNS1_3genE8ELNS1_11target_archE1030ELNS1_3gpuE2ELNS1_3repE0EEENS1_30default_config_static_selectorELNS0_4arch9wavefront6targetE1EEEvT1_, .Lfunc_end5887-_ZN7rocprim17ROCPRIM_400000_NS6detail17trampoline_kernelINS0_14default_configENS1_20scan_config_selectorIsEEZZNS1_9scan_implILNS1_25lookback_scan_determinismE0ELb0ELb0ES3_N6thrust23THRUST_200600_302600_NS6detail15normal_iteratorINS9_10device_ptrIsEEEENS9_16discard_iteratorINS9_11use_defaultEEEsNS9_4plusIvEEsEEDaPvRmT3_T4_T5_mT6_P12ihipStream_tbENKUlT_T0_E_clISt17integral_constantIbLb0EESX_EEDaSS_ST_EUlSS_E0_NS1_11comp_targetILNS1_3genE8ELNS1_11target_archE1030ELNS1_3gpuE2ELNS1_3repE0EEENS1_30default_config_static_selectorELNS0_4arch9wavefront6targetE1EEEvT1_
                                        ; -- End function
	.section	.AMDGPU.csdata,"",@progbits
; Kernel info:
; codeLenInByte = 0
; NumSgprs: 4
; NumVgprs: 0
; NumAgprs: 0
; TotalNumVgprs: 0
; ScratchSize: 0
; MemoryBound: 0
; FloatMode: 240
; IeeeMode: 1
; LDSByteSize: 0 bytes/workgroup (compile time only)
; SGPRBlocks: 0
; VGPRBlocks: 0
; NumSGPRsForWavesPerEU: 4
; NumVGPRsForWavesPerEU: 1
; AccumOffset: 4
; Occupancy: 8
; WaveLimiterHint : 0
; COMPUTE_PGM_RSRC2:SCRATCH_EN: 0
; COMPUTE_PGM_RSRC2:USER_SGPR: 6
; COMPUTE_PGM_RSRC2:TRAP_HANDLER: 0
; COMPUTE_PGM_RSRC2:TGID_X_EN: 1
; COMPUTE_PGM_RSRC2:TGID_Y_EN: 0
; COMPUTE_PGM_RSRC2:TGID_Z_EN: 0
; COMPUTE_PGM_RSRC2:TIDIG_COMP_CNT: 0
; COMPUTE_PGM_RSRC3_GFX90A:ACCUM_OFFSET: 0
; COMPUTE_PGM_RSRC3_GFX90A:TG_SPLIT: 0
	.section	.text._ZN7rocprim17ROCPRIM_400000_NS6detail17trampoline_kernelINS0_14default_configENS1_20scan_config_selectorIsEEZZNS1_9scan_implILNS1_25lookback_scan_determinismE0ELb0ELb0ES3_N6thrust23THRUST_200600_302600_NS6detail15normal_iteratorINS9_10device_ptrIsEEEENS9_16discard_iteratorINS9_11use_defaultEEEsNS9_4plusIvEEsEEDaPvRmT3_T4_T5_mT6_P12ihipStream_tbENKUlT_T0_E_clISt17integral_constantIbLb1EESX_EEDaSS_ST_EUlSS_E_NS1_11comp_targetILNS1_3genE0ELNS1_11target_archE4294967295ELNS1_3gpuE0ELNS1_3repE0EEENS1_30default_config_static_selectorELNS0_4arch9wavefront6targetE1EEEvT1_,"axG",@progbits,_ZN7rocprim17ROCPRIM_400000_NS6detail17trampoline_kernelINS0_14default_configENS1_20scan_config_selectorIsEEZZNS1_9scan_implILNS1_25lookback_scan_determinismE0ELb0ELb0ES3_N6thrust23THRUST_200600_302600_NS6detail15normal_iteratorINS9_10device_ptrIsEEEENS9_16discard_iteratorINS9_11use_defaultEEEsNS9_4plusIvEEsEEDaPvRmT3_T4_T5_mT6_P12ihipStream_tbENKUlT_T0_E_clISt17integral_constantIbLb1EESX_EEDaSS_ST_EUlSS_E_NS1_11comp_targetILNS1_3genE0ELNS1_11target_archE4294967295ELNS1_3gpuE0ELNS1_3repE0EEENS1_30default_config_static_selectorELNS0_4arch9wavefront6targetE1EEEvT1_,comdat
	.protected	_ZN7rocprim17ROCPRIM_400000_NS6detail17trampoline_kernelINS0_14default_configENS1_20scan_config_selectorIsEEZZNS1_9scan_implILNS1_25lookback_scan_determinismE0ELb0ELb0ES3_N6thrust23THRUST_200600_302600_NS6detail15normal_iteratorINS9_10device_ptrIsEEEENS9_16discard_iteratorINS9_11use_defaultEEEsNS9_4plusIvEEsEEDaPvRmT3_T4_T5_mT6_P12ihipStream_tbENKUlT_T0_E_clISt17integral_constantIbLb1EESX_EEDaSS_ST_EUlSS_E_NS1_11comp_targetILNS1_3genE0ELNS1_11target_archE4294967295ELNS1_3gpuE0ELNS1_3repE0EEENS1_30default_config_static_selectorELNS0_4arch9wavefront6targetE1EEEvT1_ ; -- Begin function _ZN7rocprim17ROCPRIM_400000_NS6detail17trampoline_kernelINS0_14default_configENS1_20scan_config_selectorIsEEZZNS1_9scan_implILNS1_25lookback_scan_determinismE0ELb0ELb0ES3_N6thrust23THRUST_200600_302600_NS6detail15normal_iteratorINS9_10device_ptrIsEEEENS9_16discard_iteratorINS9_11use_defaultEEEsNS9_4plusIvEEsEEDaPvRmT3_T4_T5_mT6_P12ihipStream_tbENKUlT_T0_E_clISt17integral_constantIbLb1EESX_EEDaSS_ST_EUlSS_E_NS1_11comp_targetILNS1_3genE0ELNS1_11target_archE4294967295ELNS1_3gpuE0ELNS1_3repE0EEENS1_30default_config_static_selectorELNS0_4arch9wavefront6targetE1EEEvT1_
	.globl	_ZN7rocprim17ROCPRIM_400000_NS6detail17trampoline_kernelINS0_14default_configENS1_20scan_config_selectorIsEEZZNS1_9scan_implILNS1_25lookback_scan_determinismE0ELb0ELb0ES3_N6thrust23THRUST_200600_302600_NS6detail15normal_iteratorINS9_10device_ptrIsEEEENS9_16discard_iteratorINS9_11use_defaultEEEsNS9_4plusIvEEsEEDaPvRmT3_T4_T5_mT6_P12ihipStream_tbENKUlT_T0_E_clISt17integral_constantIbLb1EESX_EEDaSS_ST_EUlSS_E_NS1_11comp_targetILNS1_3genE0ELNS1_11target_archE4294967295ELNS1_3gpuE0ELNS1_3repE0EEENS1_30default_config_static_selectorELNS0_4arch9wavefront6targetE1EEEvT1_
	.p2align	8
	.type	_ZN7rocprim17ROCPRIM_400000_NS6detail17trampoline_kernelINS0_14default_configENS1_20scan_config_selectorIsEEZZNS1_9scan_implILNS1_25lookback_scan_determinismE0ELb0ELb0ES3_N6thrust23THRUST_200600_302600_NS6detail15normal_iteratorINS9_10device_ptrIsEEEENS9_16discard_iteratorINS9_11use_defaultEEEsNS9_4plusIvEEsEEDaPvRmT3_T4_T5_mT6_P12ihipStream_tbENKUlT_T0_E_clISt17integral_constantIbLb1EESX_EEDaSS_ST_EUlSS_E_NS1_11comp_targetILNS1_3genE0ELNS1_11target_archE4294967295ELNS1_3gpuE0ELNS1_3repE0EEENS1_30default_config_static_selectorELNS0_4arch9wavefront6targetE1EEEvT1_,@function
_ZN7rocprim17ROCPRIM_400000_NS6detail17trampoline_kernelINS0_14default_configENS1_20scan_config_selectorIsEEZZNS1_9scan_implILNS1_25lookback_scan_determinismE0ELb0ELb0ES3_N6thrust23THRUST_200600_302600_NS6detail15normal_iteratorINS9_10device_ptrIsEEEENS9_16discard_iteratorINS9_11use_defaultEEEsNS9_4plusIvEEsEEDaPvRmT3_T4_T5_mT6_P12ihipStream_tbENKUlT_T0_E_clISt17integral_constantIbLb1EESX_EEDaSS_ST_EUlSS_E_NS1_11comp_targetILNS1_3genE0ELNS1_11target_archE4294967295ELNS1_3gpuE0ELNS1_3repE0EEENS1_30default_config_static_selectorELNS0_4arch9wavefront6targetE1EEEvT1_: ; @_ZN7rocprim17ROCPRIM_400000_NS6detail17trampoline_kernelINS0_14default_configENS1_20scan_config_selectorIsEEZZNS1_9scan_implILNS1_25lookback_scan_determinismE0ELb0ELb0ES3_N6thrust23THRUST_200600_302600_NS6detail15normal_iteratorINS9_10device_ptrIsEEEENS9_16discard_iteratorINS9_11use_defaultEEEsNS9_4plusIvEEsEEDaPvRmT3_T4_T5_mT6_P12ihipStream_tbENKUlT_T0_E_clISt17integral_constantIbLb1EESX_EEDaSS_ST_EUlSS_E_NS1_11comp_targetILNS1_3genE0ELNS1_11target_archE4294967295ELNS1_3gpuE0ELNS1_3repE0EEENS1_30default_config_static_selectorELNS0_4arch9wavefront6targetE1EEEvT1_
; %bb.0:
	.section	.rodata,"a",@progbits
	.p2align	6, 0x0
	.amdhsa_kernel _ZN7rocprim17ROCPRIM_400000_NS6detail17trampoline_kernelINS0_14default_configENS1_20scan_config_selectorIsEEZZNS1_9scan_implILNS1_25lookback_scan_determinismE0ELb0ELb0ES3_N6thrust23THRUST_200600_302600_NS6detail15normal_iteratorINS9_10device_ptrIsEEEENS9_16discard_iteratorINS9_11use_defaultEEEsNS9_4plusIvEEsEEDaPvRmT3_T4_T5_mT6_P12ihipStream_tbENKUlT_T0_E_clISt17integral_constantIbLb1EESX_EEDaSS_ST_EUlSS_E_NS1_11comp_targetILNS1_3genE0ELNS1_11target_archE4294967295ELNS1_3gpuE0ELNS1_3repE0EEENS1_30default_config_static_selectorELNS0_4arch9wavefront6targetE1EEEvT1_
		.amdhsa_group_segment_fixed_size 0
		.amdhsa_private_segment_fixed_size 0
		.amdhsa_kernarg_size 104
		.amdhsa_user_sgpr_count 6
		.amdhsa_user_sgpr_private_segment_buffer 1
		.amdhsa_user_sgpr_dispatch_ptr 0
		.amdhsa_user_sgpr_queue_ptr 0
		.amdhsa_user_sgpr_kernarg_segment_ptr 1
		.amdhsa_user_sgpr_dispatch_id 0
		.amdhsa_user_sgpr_flat_scratch_init 0
		.amdhsa_user_sgpr_kernarg_preload_length 0
		.amdhsa_user_sgpr_kernarg_preload_offset 0
		.amdhsa_user_sgpr_private_segment_size 0
		.amdhsa_uses_dynamic_stack 0
		.amdhsa_system_sgpr_private_segment_wavefront_offset 0
		.amdhsa_system_sgpr_workgroup_id_x 1
		.amdhsa_system_sgpr_workgroup_id_y 0
		.amdhsa_system_sgpr_workgroup_id_z 0
		.amdhsa_system_sgpr_workgroup_info 0
		.amdhsa_system_vgpr_workitem_id 0
		.amdhsa_next_free_vgpr 1
		.amdhsa_next_free_sgpr 0
		.amdhsa_accum_offset 4
		.amdhsa_reserve_vcc 0
		.amdhsa_reserve_flat_scratch 0
		.amdhsa_float_round_mode_32 0
		.amdhsa_float_round_mode_16_64 0
		.amdhsa_float_denorm_mode_32 3
		.amdhsa_float_denorm_mode_16_64 3
		.amdhsa_dx10_clamp 1
		.amdhsa_ieee_mode 1
		.amdhsa_fp16_overflow 0
		.amdhsa_tg_split 0
		.amdhsa_exception_fp_ieee_invalid_op 0
		.amdhsa_exception_fp_denorm_src 0
		.amdhsa_exception_fp_ieee_div_zero 0
		.amdhsa_exception_fp_ieee_overflow 0
		.amdhsa_exception_fp_ieee_underflow 0
		.amdhsa_exception_fp_ieee_inexact 0
		.amdhsa_exception_int_div_zero 0
	.end_amdhsa_kernel
	.section	.text._ZN7rocprim17ROCPRIM_400000_NS6detail17trampoline_kernelINS0_14default_configENS1_20scan_config_selectorIsEEZZNS1_9scan_implILNS1_25lookback_scan_determinismE0ELb0ELb0ES3_N6thrust23THRUST_200600_302600_NS6detail15normal_iteratorINS9_10device_ptrIsEEEENS9_16discard_iteratorINS9_11use_defaultEEEsNS9_4plusIvEEsEEDaPvRmT3_T4_T5_mT6_P12ihipStream_tbENKUlT_T0_E_clISt17integral_constantIbLb1EESX_EEDaSS_ST_EUlSS_E_NS1_11comp_targetILNS1_3genE0ELNS1_11target_archE4294967295ELNS1_3gpuE0ELNS1_3repE0EEENS1_30default_config_static_selectorELNS0_4arch9wavefront6targetE1EEEvT1_,"axG",@progbits,_ZN7rocprim17ROCPRIM_400000_NS6detail17trampoline_kernelINS0_14default_configENS1_20scan_config_selectorIsEEZZNS1_9scan_implILNS1_25lookback_scan_determinismE0ELb0ELb0ES3_N6thrust23THRUST_200600_302600_NS6detail15normal_iteratorINS9_10device_ptrIsEEEENS9_16discard_iteratorINS9_11use_defaultEEEsNS9_4plusIvEEsEEDaPvRmT3_T4_T5_mT6_P12ihipStream_tbENKUlT_T0_E_clISt17integral_constantIbLb1EESX_EEDaSS_ST_EUlSS_E_NS1_11comp_targetILNS1_3genE0ELNS1_11target_archE4294967295ELNS1_3gpuE0ELNS1_3repE0EEENS1_30default_config_static_selectorELNS0_4arch9wavefront6targetE1EEEvT1_,comdat
.Lfunc_end5888:
	.size	_ZN7rocprim17ROCPRIM_400000_NS6detail17trampoline_kernelINS0_14default_configENS1_20scan_config_selectorIsEEZZNS1_9scan_implILNS1_25lookback_scan_determinismE0ELb0ELb0ES3_N6thrust23THRUST_200600_302600_NS6detail15normal_iteratorINS9_10device_ptrIsEEEENS9_16discard_iteratorINS9_11use_defaultEEEsNS9_4plusIvEEsEEDaPvRmT3_T4_T5_mT6_P12ihipStream_tbENKUlT_T0_E_clISt17integral_constantIbLb1EESX_EEDaSS_ST_EUlSS_E_NS1_11comp_targetILNS1_3genE0ELNS1_11target_archE4294967295ELNS1_3gpuE0ELNS1_3repE0EEENS1_30default_config_static_selectorELNS0_4arch9wavefront6targetE1EEEvT1_, .Lfunc_end5888-_ZN7rocprim17ROCPRIM_400000_NS6detail17trampoline_kernelINS0_14default_configENS1_20scan_config_selectorIsEEZZNS1_9scan_implILNS1_25lookback_scan_determinismE0ELb0ELb0ES3_N6thrust23THRUST_200600_302600_NS6detail15normal_iteratorINS9_10device_ptrIsEEEENS9_16discard_iteratorINS9_11use_defaultEEEsNS9_4plusIvEEsEEDaPvRmT3_T4_T5_mT6_P12ihipStream_tbENKUlT_T0_E_clISt17integral_constantIbLb1EESX_EEDaSS_ST_EUlSS_E_NS1_11comp_targetILNS1_3genE0ELNS1_11target_archE4294967295ELNS1_3gpuE0ELNS1_3repE0EEENS1_30default_config_static_selectorELNS0_4arch9wavefront6targetE1EEEvT1_
                                        ; -- End function
	.section	.AMDGPU.csdata,"",@progbits
; Kernel info:
; codeLenInByte = 0
; NumSgprs: 4
; NumVgprs: 0
; NumAgprs: 0
; TotalNumVgprs: 0
; ScratchSize: 0
; MemoryBound: 0
; FloatMode: 240
; IeeeMode: 1
; LDSByteSize: 0 bytes/workgroup (compile time only)
; SGPRBlocks: 0
; VGPRBlocks: 0
; NumSGPRsForWavesPerEU: 4
; NumVGPRsForWavesPerEU: 1
; AccumOffset: 4
; Occupancy: 8
; WaveLimiterHint : 0
; COMPUTE_PGM_RSRC2:SCRATCH_EN: 0
; COMPUTE_PGM_RSRC2:USER_SGPR: 6
; COMPUTE_PGM_RSRC2:TRAP_HANDLER: 0
; COMPUTE_PGM_RSRC2:TGID_X_EN: 1
; COMPUTE_PGM_RSRC2:TGID_Y_EN: 0
; COMPUTE_PGM_RSRC2:TGID_Z_EN: 0
; COMPUTE_PGM_RSRC2:TIDIG_COMP_CNT: 0
; COMPUTE_PGM_RSRC3_GFX90A:ACCUM_OFFSET: 0
; COMPUTE_PGM_RSRC3_GFX90A:TG_SPLIT: 0
	.section	.text._ZN7rocprim17ROCPRIM_400000_NS6detail17trampoline_kernelINS0_14default_configENS1_20scan_config_selectorIsEEZZNS1_9scan_implILNS1_25lookback_scan_determinismE0ELb0ELb0ES3_N6thrust23THRUST_200600_302600_NS6detail15normal_iteratorINS9_10device_ptrIsEEEENS9_16discard_iteratorINS9_11use_defaultEEEsNS9_4plusIvEEsEEDaPvRmT3_T4_T5_mT6_P12ihipStream_tbENKUlT_T0_E_clISt17integral_constantIbLb1EESX_EEDaSS_ST_EUlSS_E_NS1_11comp_targetILNS1_3genE5ELNS1_11target_archE942ELNS1_3gpuE9ELNS1_3repE0EEENS1_30default_config_static_selectorELNS0_4arch9wavefront6targetE1EEEvT1_,"axG",@progbits,_ZN7rocprim17ROCPRIM_400000_NS6detail17trampoline_kernelINS0_14default_configENS1_20scan_config_selectorIsEEZZNS1_9scan_implILNS1_25lookback_scan_determinismE0ELb0ELb0ES3_N6thrust23THRUST_200600_302600_NS6detail15normal_iteratorINS9_10device_ptrIsEEEENS9_16discard_iteratorINS9_11use_defaultEEEsNS9_4plusIvEEsEEDaPvRmT3_T4_T5_mT6_P12ihipStream_tbENKUlT_T0_E_clISt17integral_constantIbLb1EESX_EEDaSS_ST_EUlSS_E_NS1_11comp_targetILNS1_3genE5ELNS1_11target_archE942ELNS1_3gpuE9ELNS1_3repE0EEENS1_30default_config_static_selectorELNS0_4arch9wavefront6targetE1EEEvT1_,comdat
	.protected	_ZN7rocprim17ROCPRIM_400000_NS6detail17trampoline_kernelINS0_14default_configENS1_20scan_config_selectorIsEEZZNS1_9scan_implILNS1_25lookback_scan_determinismE0ELb0ELb0ES3_N6thrust23THRUST_200600_302600_NS6detail15normal_iteratorINS9_10device_ptrIsEEEENS9_16discard_iteratorINS9_11use_defaultEEEsNS9_4plusIvEEsEEDaPvRmT3_T4_T5_mT6_P12ihipStream_tbENKUlT_T0_E_clISt17integral_constantIbLb1EESX_EEDaSS_ST_EUlSS_E_NS1_11comp_targetILNS1_3genE5ELNS1_11target_archE942ELNS1_3gpuE9ELNS1_3repE0EEENS1_30default_config_static_selectorELNS0_4arch9wavefront6targetE1EEEvT1_ ; -- Begin function _ZN7rocprim17ROCPRIM_400000_NS6detail17trampoline_kernelINS0_14default_configENS1_20scan_config_selectorIsEEZZNS1_9scan_implILNS1_25lookback_scan_determinismE0ELb0ELb0ES3_N6thrust23THRUST_200600_302600_NS6detail15normal_iteratorINS9_10device_ptrIsEEEENS9_16discard_iteratorINS9_11use_defaultEEEsNS9_4plusIvEEsEEDaPvRmT3_T4_T5_mT6_P12ihipStream_tbENKUlT_T0_E_clISt17integral_constantIbLb1EESX_EEDaSS_ST_EUlSS_E_NS1_11comp_targetILNS1_3genE5ELNS1_11target_archE942ELNS1_3gpuE9ELNS1_3repE0EEENS1_30default_config_static_selectorELNS0_4arch9wavefront6targetE1EEEvT1_
	.globl	_ZN7rocprim17ROCPRIM_400000_NS6detail17trampoline_kernelINS0_14default_configENS1_20scan_config_selectorIsEEZZNS1_9scan_implILNS1_25lookback_scan_determinismE0ELb0ELb0ES3_N6thrust23THRUST_200600_302600_NS6detail15normal_iteratorINS9_10device_ptrIsEEEENS9_16discard_iteratorINS9_11use_defaultEEEsNS9_4plusIvEEsEEDaPvRmT3_T4_T5_mT6_P12ihipStream_tbENKUlT_T0_E_clISt17integral_constantIbLb1EESX_EEDaSS_ST_EUlSS_E_NS1_11comp_targetILNS1_3genE5ELNS1_11target_archE942ELNS1_3gpuE9ELNS1_3repE0EEENS1_30default_config_static_selectorELNS0_4arch9wavefront6targetE1EEEvT1_
	.p2align	8
	.type	_ZN7rocprim17ROCPRIM_400000_NS6detail17trampoline_kernelINS0_14default_configENS1_20scan_config_selectorIsEEZZNS1_9scan_implILNS1_25lookback_scan_determinismE0ELb0ELb0ES3_N6thrust23THRUST_200600_302600_NS6detail15normal_iteratorINS9_10device_ptrIsEEEENS9_16discard_iteratorINS9_11use_defaultEEEsNS9_4plusIvEEsEEDaPvRmT3_T4_T5_mT6_P12ihipStream_tbENKUlT_T0_E_clISt17integral_constantIbLb1EESX_EEDaSS_ST_EUlSS_E_NS1_11comp_targetILNS1_3genE5ELNS1_11target_archE942ELNS1_3gpuE9ELNS1_3repE0EEENS1_30default_config_static_selectorELNS0_4arch9wavefront6targetE1EEEvT1_,@function
_ZN7rocprim17ROCPRIM_400000_NS6detail17trampoline_kernelINS0_14default_configENS1_20scan_config_selectorIsEEZZNS1_9scan_implILNS1_25lookback_scan_determinismE0ELb0ELb0ES3_N6thrust23THRUST_200600_302600_NS6detail15normal_iteratorINS9_10device_ptrIsEEEENS9_16discard_iteratorINS9_11use_defaultEEEsNS9_4plusIvEEsEEDaPvRmT3_T4_T5_mT6_P12ihipStream_tbENKUlT_T0_E_clISt17integral_constantIbLb1EESX_EEDaSS_ST_EUlSS_E_NS1_11comp_targetILNS1_3genE5ELNS1_11target_archE942ELNS1_3gpuE9ELNS1_3repE0EEENS1_30default_config_static_selectorELNS0_4arch9wavefront6targetE1EEEvT1_: ; @_ZN7rocprim17ROCPRIM_400000_NS6detail17trampoline_kernelINS0_14default_configENS1_20scan_config_selectorIsEEZZNS1_9scan_implILNS1_25lookback_scan_determinismE0ELb0ELb0ES3_N6thrust23THRUST_200600_302600_NS6detail15normal_iteratorINS9_10device_ptrIsEEEENS9_16discard_iteratorINS9_11use_defaultEEEsNS9_4plusIvEEsEEDaPvRmT3_T4_T5_mT6_P12ihipStream_tbENKUlT_T0_E_clISt17integral_constantIbLb1EESX_EEDaSS_ST_EUlSS_E_NS1_11comp_targetILNS1_3genE5ELNS1_11target_archE942ELNS1_3gpuE9ELNS1_3repE0EEENS1_30default_config_static_selectorELNS0_4arch9wavefront6targetE1EEEvT1_
; %bb.0:
	.section	.rodata,"a",@progbits
	.p2align	6, 0x0
	.amdhsa_kernel _ZN7rocprim17ROCPRIM_400000_NS6detail17trampoline_kernelINS0_14default_configENS1_20scan_config_selectorIsEEZZNS1_9scan_implILNS1_25lookback_scan_determinismE0ELb0ELb0ES3_N6thrust23THRUST_200600_302600_NS6detail15normal_iteratorINS9_10device_ptrIsEEEENS9_16discard_iteratorINS9_11use_defaultEEEsNS9_4plusIvEEsEEDaPvRmT3_T4_T5_mT6_P12ihipStream_tbENKUlT_T0_E_clISt17integral_constantIbLb1EESX_EEDaSS_ST_EUlSS_E_NS1_11comp_targetILNS1_3genE5ELNS1_11target_archE942ELNS1_3gpuE9ELNS1_3repE0EEENS1_30default_config_static_selectorELNS0_4arch9wavefront6targetE1EEEvT1_
		.amdhsa_group_segment_fixed_size 0
		.amdhsa_private_segment_fixed_size 0
		.amdhsa_kernarg_size 104
		.amdhsa_user_sgpr_count 6
		.amdhsa_user_sgpr_private_segment_buffer 1
		.amdhsa_user_sgpr_dispatch_ptr 0
		.amdhsa_user_sgpr_queue_ptr 0
		.amdhsa_user_sgpr_kernarg_segment_ptr 1
		.amdhsa_user_sgpr_dispatch_id 0
		.amdhsa_user_sgpr_flat_scratch_init 0
		.amdhsa_user_sgpr_kernarg_preload_length 0
		.amdhsa_user_sgpr_kernarg_preload_offset 0
		.amdhsa_user_sgpr_private_segment_size 0
		.amdhsa_uses_dynamic_stack 0
		.amdhsa_system_sgpr_private_segment_wavefront_offset 0
		.amdhsa_system_sgpr_workgroup_id_x 1
		.amdhsa_system_sgpr_workgroup_id_y 0
		.amdhsa_system_sgpr_workgroup_id_z 0
		.amdhsa_system_sgpr_workgroup_info 0
		.amdhsa_system_vgpr_workitem_id 0
		.amdhsa_next_free_vgpr 1
		.amdhsa_next_free_sgpr 0
		.amdhsa_accum_offset 4
		.amdhsa_reserve_vcc 0
		.amdhsa_reserve_flat_scratch 0
		.amdhsa_float_round_mode_32 0
		.amdhsa_float_round_mode_16_64 0
		.amdhsa_float_denorm_mode_32 3
		.amdhsa_float_denorm_mode_16_64 3
		.amdhsa_dx10_clamp 1
		.amdhsa_ieee_mode 1
		.amdhsa_fp16_overflow 0
		.amdhsa_tg_split 0
		.amdhsa_exception_fp_ieee_invalid_op 0
		.amdhsa_exception_fp_denorm_src 0
		.amdhsa_exception_fp_ieee_div_zero 0
		.amdhsa_exception_fp_ieee_overflow 0
		.amdhsa_exception_fp_ieee_underflow 0
		.amdhsa_exception_fp_ieee_inexact 0
		.amdhsa_exception_int_div_zero 0
	.end_amdhsa_kernel
	.section	.text._ZN7rocprim17ROCPRIM_400000_NS6detail17trampoline_kernelINS0_14default_configENS1_20scan_config_selectorIsEEZZNS1_9scan_implILNS1_25lookback_scan_determinismE0ELb0ELb0ES3_N6thrust23THRUST_200600_302600_NS6detail15normal_iteratorINS9_10device_ptrIsEEEENS9_16discard_iteratorINS9_11use_defaultEEEsNS9_4plusIvEEsEEDaPvRmT3_T4_T5_mT6_P12ihipStream_tbENKUlT_T0_E_clISt17integral_constantIbLb1EESX_EEDaSS_ST_EUlSS_E_NS1_11comp_targetILNS1_3genE5ELNS1_11target_archE942ELNS1_3gpuE9ELNS1_3repE0EEENS1_30default_config_static_selectorELNS0_4arch9wavefront6targetE1EEEvT1_,"axG",@progbits,_ZN7rocprim17ROCPRIM_400000_NS6detail17trampoline_kernelINS0_14default_configENS1_20scan_config_selectorIsEEZZNS1_9scan_implILNS1_25lookback_scan_determinismE0ELb0ELb0ES3_N6thrust23THRUST_200600_302600_NS6detail15normal_iteratorINS9_10device_ptrIsEEEENS9_16discard_iteratorINS9_11use_defaultEEEsNS9_4plusIvEEsEEDaPvRmT3_T4_T5_mT6_P12ihipStream_tbENKUlT_T0_E_clISt17integral_constantIbLb1EESX_EEDaSS_ST_EUlSS_E_NS1_11comp_targetILNS1_3genE5ELNS1_11target_archE942ELNS1_3gpuE9ELNS1_3repE0EEENS1_30default_config_static_selectorELNS0_4arch9wavefront6targetE1EEEvT1_,comdat
.Lfunc_end5889:
	.size	_ZN7rocprim17ROCPRIM_400000_NS6detail17trampoline_kernelINS0_14default_configENS1_20scan_config_selectorIsEEZZNS1_9scan_implILNS1_25lookback_scan_determinismE0ELb0ELb0ES3_N6thrust23THRUST_200600_302600_NS6detail15normal_iteratorINS9_10device_ptrIsEEEENS9_16discard_iteratorINS9_11use_defaultEEEsNS9_4plusIvEEsEEDaPvRmT3_T4_T5_mT6_P12ihipStream_tbENKUlT_T0_E_clISt17integral_constantIbLb1EESX_EEDaSS_ST_EUlSS_E_NS1_11comp_targetILNS1_3genE5ELNS1_11target_archE942ELNS1_3gpuE9ELNS1_3repE0EEENS1_30default_config_static_selectorELNS0_4arch9wavefront6targetE1EEEvT1_, .Lfunc_end5889-_ZN7rocprim17ROCPRIM_400000_NS6detail17trampoline_kernelINS0_14default_configENS1_20scan_config_selectorIsEEZZNS1_9scan_implILNS1_25lookback_scan_determinismE0ELb0ELb0ES3_N6thrust23THRUST_200600_302600_NS6detail15normal_iteratorINS9_10device_ptrIsEEEENS9_16discard_iteratorINS9_11use_defaultEEEsNS9_4plusIvEEsEEDaPvRmT3_T4_T5_mT6_P12ihipStream_tbENKUlT_T0_E_clISt17integral_constantIbLb1EESX_EEDaSS_ST_EUlSS_E_NS1_11comp_targetILNS1_3genE5ELNS1_11target_archE942ELNS1_3gpuE9ELNS1_3repE0EEENS1_30default_config_static_selectorELNS0_4arch9wavefront6targetE1EEEvT1_
                                        ; -- End function
	.section	.AMDGPU.csdata,"",@progbits
; Kernel info:
; codeLenInByte = 0
; NumSgprs: 4
; NumVgprs: 0
; NumAgprs: 0
; TotalNumVgprs: 0
; ScratchSize: 0
; MemoryBound: 0
; FloatMode: 240
; IeeeMode: 1
; LDSByteSize: 0 bytes/workgroup (compile time only)
; SGPRBlocks: 0
; VGPRBlocks: 0
; NumSGPRsForWavesPerEU: 4
; NumVGPRsForWavesPerEU: 1
; AccumOffset: 4
; Occupancy: 8
; WaveLimiterHint : 0
; COMPUTE_PGM_RSRC2:SCRATCH_EN: 0
; COMPUTE_PGM_RSRC2:USER_SGPR: 6
; COMPUTE_PGM_RSRC2:TRAP_HANDLER: 0
; COMPUTE_PGM_RSRC2:TGID_X_EN: 1
; COMPUTE_PGM_RSRC2:TGID_Y_EN: 0
; COMPUTE_PGM_RSRC2:TGID_Z_EN: 0
; COMPUTE_PGM_RSRC2:TIDIG_COMP_CNT: 0
; COMPUTE_PGM_RSRC3_GFX90A:ACCUM_OFFSET: 0
; COMPUTE_PGM_RSRC3_GFX90A:TG_SPLIT: 0
	.section	.text._ZN7rocprim17ROCPRIM_400000_NS6detail17trampoline_kernelINS0_14default_configENS1_20scan_config_selectorIsEEZZNS1_9scan_implILNS1_25lookback_scan_determinismE0ELb0ELb0ES3_N6thrust23THRUST_200600_302600_NS6detail15normal_iteratorINS9_10device_ptrIsEEEENS9_16discard_iteratorINS9_11use_defaultEEEsNS9_4plusIvEEsEEDaPvRmT3_T4_T5_mT6_P12ihipStream_tbENKUlT_T0_E_clISt17integral_constantIbLb1EESX_EEDaSS_ST_EUlSS_E_NS1_11comp_targetILNS1_3genE4ELNS1_11target_archE910ELNS1_3gpuE8ELNS1_3repE0EEENS1_30default_config_static_selectorELNS0_4arch9wavefront6targetE1EEEvT1_,"axG",@progbits,_ZN7rocprim17ROCPRIM_400000_NS6detail17trampoline_kernelINS0_14default_configENS1_20scan_config_selectorIsEEZZNS1_9scan_implILNS1_25lookback_scan_determinismE0ELb0ELb0ES3_N6thrust23THRUST_200600_302600_NS6detail15normal_iteratorINS9_10device_ptrIsEEEENS9_16discard_iteratorINS9_11use_defaultEEEsNS9_4plusIvEEsEEDaPvRmT3_T4_T5_mT6_P12ihipStream_tbENKUlT_T0_E_clISt17integral_constantIbLb1EESX_EEDaSS_ST_EUlSS_E_NS1_11comp_targetILNS1_3genE4ELNS1_11target_archE910ELNS1_3gpuE8ELNS1_3repE0EEENS1_30default_config_static_selectorELNS0_4arch9wavefront6targetE1EEEvT1_,comdat
	.protected	_ZN7rocprim17ROCPRIM_400000_NS6detail17trampoline_kernelINS0_14default_configENS1_20scan_config_selectorIsEEZZNS1_9scan_implILNS1_25lookback_scan_determinismE0ELb0ELb0ES3_N6thrust23THRUST_200600_302600_NS6detail15normal_iteratorINS9_10device_ptrIsEEEENS9_16discard_iteratorINS9_11use_defaultEEEsNS9_4plusIvEEsEEDaPvRmT3_T4_T5_mT6_P12ihipStream_tbENKUlT_T0_E_clISt17integral_constantIbLb1EESX_EEDaSS_ST_EUlSS_E_NS1_11comp_targetILNS1_3genE4ELNS1_11target_archE910ELNS1_3gpuE8ELNS1_3repE0EEENS1_30default_config_static_selectorELNS0_4arch9wavefront6targetE1EEEvT1_ ; -- Begin function _ZN7rocprim17ROCPRIM_400000_NS6detail17trampoline_kernelINS0_14default_configENS1_20scan_config_selectorIsEEZZNS1_9scan_implILNS1_25lookback_scan_determinismE0ELb0ELb0ES3_N6thrust23THRUST_200600_302600_NS6detail15normal_iteratorINS9_10device_ptrIsEEEENS9_16discard_iteratorINS9_11use_defaultEEEsNS9_4plusIvEEsEEDaPvRmT3_T4_T5_mT6_P12ihipStream_tbENKUlT_T0_E_clISt17integral_constantIbLb1EESX_EEDaSS_ST_EUlSS_E_NS1_11comp_targetILNS1_3genE4ELNS1_11target_archE910ELNS1_3gpuE8ELNS1_3repE0EEENS1_30default_config_static_selectorELNS0_4arch9wavefront6targetE1EEEvT1_
	.globl	_ZN7rocprim17ROCPRIM_400000_NS6detail17trampoline_kernelINS0_14default_configENS1_20scan_config_selectorIsEEZZNS1_9scan_implILNS1_25lookback_scan_determinismE0ELb0ELb0ES3_N6thrust23THRUST_200600_302600_NS6detail15normal_iteratorINS9_10device_ptrIsEEEENS9_16discard_iteratorINS9_11use_defaultEEEsNS9_4plusIvEEsEEDaPvRmT3_T4_T5_mT6_P12ihipStream_tbENKUlT_T0_E_clISt17integral_constantIbLb1EESX_EEDaSS_ST_EUlSS_E_NS1_11comp_targetILNS1_3genE4ELNS1_11target_archE910ELNS1_3gpuE8ELNS1_3repE0EEENS1_30default_config_static_selectorELNS0_4arch9wavefront6targetE1EEEvT1_
	.p2align	8
	.type	_ZN7rocprim17ROCPRIM_400000_NS6detail17trampoline_kernelINS0_14default_configENS1_20scan_config_selectorIsEEZZNS1_9scan_implILNS1_25lookback_scan_determinismE0ELb0ELb0ES3_N6thrust23THRUST_200600_302600_NS6detail15normal_iteratorINS9_10device_ptrIsEEEENS9_16discard_iteratorINS9_11use_defaultEEEsNS9_4plusIvEEsEEDaPvRmT3_T4_T5_mT6_P12ihipStream_tbENKUlT_T0_E_clISt17integral_constantIbLb1EESX_EEDaSS_ST_EUlSS_E_NS1_11comp_targetILNS1_3genE4ELNS1_11target_archE910ELNS1_3gpuE8ELNS1_3repE0EEENS1_30default_config_static_selectorELNS0_4arch9wavefront6targetE1EEEvT1_,@function
_ZN7rocprim17ROCPRIM_400000_NS6detail17trampoline_kernelINS0_14default_configENS1_20scan_config_selectorIsEEZZNS1_9scan_implILNS1_25lookback_scan_determinismE0ELb0ELb0ES3_N6thrust23THRUST_200600_302600_NS6detail15normal_iteratorINS9_10device_ptrIsEEEENS9_16discard_iteratorINS9_11use_defaultEEEsNS9_4plusIvEEsEEDaPvRmT3_T4_T5_mT6_P12ihipStream_tbENKUlT_T0_E_clISt17integral_constantIbLb1EESX_EEDaSS_ST_EUlSS_E_NS1_11comp_targetILNS1_3genE4ELNS1_11target_archE910ELNS1_3gpuE8ELNS1_3repE0EEENS1_30default_config_static_selectorELNS0_4arch9wavefront6targetE1EEEvT1_: ; @_ZN7rocprim17ROCPRIM_400000_NS6detail17trampoline_kernelINS0_14default_configENS1_20scan_config_selectorIsEEZZNS1_9scan_implILNS1_25lookback_scan_determinismE0ELb0ELb0ES3_N6thrust23THRUST_200600_302600_NS6detail15normal_iteratorINS9_10device_ptrIsEEEENS9_16discard_iteratorINS9_11use_defaultEEEsNS9_4plusIvEEsEEDaPvRmT3_T4_T5_mT6_P12ihipStream_tbENKUlT_T0_E_clISt17integral_constantIbLb1EESX_EEDaSS_ST_EUlSS_E_NS1_11comp_targetILNS1_3genE4ELNS1_11target_archE910ELNS1_3gpuE8ELNS1_3repE0EEENS1_30default_config_static_selectorELNS0_4arch9wavefront6targetE1EEEvT1_
; %bb.0:
	s_load_dwordx2 s[6:7], s[4:5], 0x20
	s_load_dwordx2 s[20:21], s[4:5], 0x30
	v_cmp_ne_u32_e64 s[0:1], 0, v0
	v_cmp_eq_u32_e64 s[2:3], 0, v0
	s_and_saveexec_b64 s[8:9], s[2:3]
	s_cbranch_execz .LBB5890_4
; %bb.1:
	s_mov_b64 s[12:13], exec
	v_mbcnt_lo_u32_b32 v1, s12, 0
	v_mbcnt_hi_u32_b32 v1, s13, v1
	v_cmp_eq_u32_e32 vcc, 0, v1
                                        ; implicit-def: $vgpr2
	s_and_saveexec_b64 s[10:11], vcc
	s_cbranch_execz .LBB5890_3
; %bb.2:
	s_load_dwordx2 s[14:15], s[4:5], 0x60
	s_bcnt1_i32_b64 s12, s[12:13]
	v_mov_b32_e32 v2, 0
	v_mov_b32_e32 v3, s12
	s_waitcnt lgkmcnt(0)
	global_atomic_add v2, v2, v3, s[14:15] glc
.LBB5890_3:
	s_or_b64 exec, exec, s[10:11]
	s_waitcnt vmcnt(0)
	v_readfirstlane_b32 s10, v2
	v_add_u32_e32 v1, s10, v1
	v_mov_b32_e32 v2, 0
	ds_write_b32 v2, v1
.LBB5890_4:
	s_or_b64 exec, exec, s[8:9]
	v_mov_b32_e32 v3, 0
	s_load_dwordx4 s[8:11], s[4:5], 0x0
	s_load_dword s22, s[4:5], 0x38
	s_load_dwordx8 s[12:19], s[4:5], 0x40
	s_waitcnt lgkmcnt(0)
	; wave barrier
	s_waitcnt lgkmcnt(0)
	ds_read_b32 v1, v3
	s_lshl_b64 s[4:5], s[10:11], 1
	s_add_u32 s4, s8, s4
	s_movk_i32 s8, 0x600
	s_addc_u32 s5, s9, s5
	s_waitcnt lgkmcnt(0)
	v_mul_lo_u32 v2, v1, s8
	s_add_i32 s8, s22, -1
	s_mul_i32 s9, s8, 0x600
	s_sub_u32 s24, s6, s9
	v_readfirstlane_b32 s26, v1
	s_subb_u32 s25, s7, 0
	v_lshlrev_b64 v[2:3], 1, v[2:3]
	s_cmp_lg_u32 s26, s8
	v_mov_b32_e32 v1, s5
	v_add_co_u32_e32 v2, vcc, s4, v2
	s_cselect_b64 s[10:11], -1, 0
	v_addc_co_u32_e32 v3, vcc, v1, v3, vcc
	s_mov_b64 s[4:5], -1
	s_and_b64 vcc, exec, s[10:11]
	s_waitcnt lgkmcnt(0)
	; wave barrier
	s_cbranch_vccz .LBB5890_6
; %bb.5:
	v_lshlrev_b32_e32 v1, 1, v0
	v_add_co_u32_e32 v4, vcc, v2, v1
	v_addc_co_u32_e32 v5, vcc, 0, v3, vcc
	flat_load_ushort v6, v[4:5]
	flat_load_ushort v7, v[4:5] offset:128
	flat_load_ushort v8, v[4:5] offset:256
	;; [unrolled: 1-line block ×23, first 2 shown]
	s_mov_b64 s[4:5], 0
	s_waitcnt vmcnt(0) lgkmcnt(0)
	ds_write_b16 v1, v6
	ds_write_b16 v1, v7 offset:128
	ds_write_b16 v1, v8 offset:256
	;; [unrolled: 1-line block ×23, first 2 shown]
	s_waitcnt lgkmcnt(0)
	; wave barrier
.LBB5890_6:
	s_andn2_b64 vcc, exec, s[4:5]
	s_cbranch_vccnz .LBB5890_56
; %bb.7:
	flat_load_ushort v1, v[2:3]
	v_cmp_gt_u32_e32 vcc, s24, v0
	s_waitcnt vmcnt(0) lgkmcnt(0)
	v_mov_b32_e32 v4, v1
	s_and_saveexec_b64 s[4:5], vcc
	s_cbranch_execz .LBB5890_9
; %bb.8:
	v_lshlrev_b32_e32 v4, 1, v0
	v_add_co_u32_e32 v4, vcc, v2, v4
	v_addc_co_u32_e32 v5, vcc, 0, v3, vcc
	flat_load_ushort v4, v[4:5]
.LBB5890_9:
	s_or_b64 exec, exec, s[4:5]
	v_or_b32_e32 v5, 64, v0
	v_cmp_gt_u32_e32 vcc, s24, v5
	v_mov_b32_e32 v5, v1
	s_and_saveexec_b64 s[4:5], vcc
	s_cbranch_execz .LBB5890_11
; %bb.10:
	v_lshlrev_b32_e32 v5, 1, v0
	v_add_co_u32_e32 v6, vcc, v2, v5
	v_addc_co_u32_e32 v7, vcc, 0, v3, vcc
	flat_load_ushort v5, v[6:7] offset:128
.LBB5890_11:
	s_or_b64 exec, exec, s[4:5]
	v_or_b32_e32 v6, 0x80, v0
	v_cmp_gt_u32_e32 vcc, s24, v6
	v_mov_b32_e32 v6, v1
	s_and_saveexec_b64 s[4:5], vcc
	s_cbranch_execz .LBB5890_13
; %bb.12:
	v_lshlrev_b32_e32 v6, 1, v0
	v_add_co_u32_e32 v6, vcc, v2, v6
	v_addc_co_u32_e32 v7, vcc, 0, v3, vcc
	flat_load_ushort v6, v[6:7] offset:256
.LBB5890_13:
	;; [unrolled: 12-line block ×22, first 2 shown]
	s_or_b64 exec, exec, s[4:5]
	v_or_b32_e32 v27, 0x5c0, v0
	v_cmp_gt_u32_e32 vcc, s24, v27
	s_and_saveexec_b64 s[4:5], vcc
	s_cbranch_execz .LBB5890_55
; %bb.54:
	v_lshlrev_b32_e32 v1, 1, v0
	v_add_co_u32_e32 v2, vcc, v2, v1
	v_addc_co_u32_e32 v3, vcc, 0, v3, vcc
	flat_load_ushort v1, v[2:3] offset:2944
.LBB5890_55:
	s_or_b64 exec, exec, s[4:5]
	v_lshlrev_b32_e32 v2, 1, v0
	s_waitcnt vmcnt(0) lgkmcnt(0)
	ds_write_b16 v2, v4
	ds_write_b16 v2, v5 offset:128
	ds_write_b16 v2, v6 offset:256
	;; [unrolled: 1-line block ×23, first 2 shown]
	s_waitcnt lgkmcnt(0)
	; wave barrier
.LBB5890_56:
	v_mul_u32_u24_e32 v20, 24, v0
	v_lshlrev_b32_e32 v1, 1, v20
	s_waitcnt lgkmcnt(0)
	ds_read_b128 v[10:13], v1
	ds_read_b128 v[6:9], v1 offset:16
	ds_read_b128 v[2:5], v1 offset:32
	s_cmp_lg_u32 s26, 0
	v_mbcnt_lo_u32_b32 v21, -1, 0
	v_cmp_eq_u32_e32 vcc, 63, v0
	s_waitcnt lgkmcnt(0)
	; wave barrier
	s_waitcnt lgkmcnt(0)
	s_cbranch_scc0 .LBB5890_83
; %bb.57:
	v_add_u16_sdwa v14, v10, v10 dst_sel:DWORD dst_unused:UNUSED_PAD src0_sel:WORD_1 src1_sel:DWORD
	v_add_u16_e32 v14, v14, v11
	v_add_u16_sdwa v14, v14, v11 dst_sel:DWORD dst_unused:UNUSED_PAD src0_sel:DWORD src1_sel:WORD_1
	v_add_u16_e32 v14, v14, v12
	v_add_u16_sdwa v14, v14, v12 dst_sel:DWORD dst_unused:UNUSED_PAD src0_sel:DWORD src1_sel:WORD_1
	v_add_u16_e32 v14, v14, v13
	v_add_u16_sdwa v14, v14, v13 dst_sel:DWORD dst_unused:UNUSED_PAD src0_sel:DWORD src1_sel:WORD_1
	v_add_u16_e32 v14, v14, v6
	v_add_u16_sdwa v14, v14, v6 dst_sel:DWORD dst_unused:UNUSED_PAD src0_sel:DWORD src1_sel:WORD_1
	v_add_u16_e32 v14, v14, v7
	v_add_u16_sdwa v14, v14, v7 dst_sel:DWORD dst_unused:UNUSED_PAD src0_sel:DWORD src1_sel:WORD_1
	v_add_u16_e32 v14, v14, v8
	v_add_u16_sdwa v14, v14, v8 dst_sel:DWORD dst_unused:UNUSED_PAD src0_sel:DWORD src1_sel:WORD_1
	v_add_u16_e32 v14, v14, v9
	v_add_u16_sdwa v14, v14, v9 dst_sel:DWORD dst_unused:UNUSED_PAD src0_sel:DWORD src1_sel:WORD_1
	v_add_u16_e32 v14, v14, v2
	v_add_u16_sdwa v14, v14, v2 dst_sel:DWORD dst_unused:UNUSED_PAD src0_sel:DWORD src1_sel:WORD_1
	v_add_u16_e32 v14, v14, v3
	v_add_u16_sdwa v14, v14, v3 dst_sel:DWORD dst_unused:UNUSED_PAD src0_sel:DWORD src1_sel:WORD_1
	v_add_u16_e32 v14, v14, v4
	v_add_u16_sdwa v14, v14, v4 dst_sel:DWORD dst_unused:UNUSED_PAD src0_sel:DWORD src1_sel:WORD_1
	v_add_u16_e32 v14, v14, v5
	v_mbcnt_hi_u32_b32 v15, -1, v21
	v_add_u16_sdwa v14, v14, v5 dst_sel:DWORD dst_unused:UNUSED_PAD src0_sel:DWORD src1_sel:WORD_1
	v_and_b32_e32 v16, 15, v15
	v_cmp_ne_u32_e64 s[4:5], 0, v16
	v_mov_b32_dpp v17, v14 row_shr:1 row_mask:0xf bank_mask:0xf
	v_cndmask_b32_e64 v17, 0, v17, s[4:5]
	v_add_u16_e32 v14, v17, v14
	v_cmp_lt_u32_e64 s[4:5], 1, v16
	s_nop 0
	v_mov_b32_dpp v17, v14 row_shr:2 row_mask:0xf bank_mask:0xf
	v_cndmask_b32_e64 v17, 0, v17, s[4:5]
	v_add_u16_e32 v14, v14, v17
	v_cmp_lt_u32_e64 s[4:5], 3, v16
	s_nop 0
	;; [unrolled: 5-line block ×3, first 2 shown]
	v_mov_b32_dpp v17, v14 row_shr:8 row_mask:0xf bank_mask:0xf
	v_cndmask_b32_e64 v16, 0, v17, s[4:5]
	v_add_u16_e32 v14, v14, v16
	v_and_b32_e32 v17, 16, v15
	v_cmp_ne_u32_e64 s[4:5], 0, v17
	v_mov_b32_dpp v16, v14 row_bcast:15 row_mask:0xf bank_mask:0xf
	v_cndmask_b32_e64 v16, 0, v16, s[4:5]
	v_add_u16_e32 v14, v14, v16
	v_cmp_lt_u32_e64 s[4:5], 31, v15
	s_nop 0
	v_mov_b32_dpp v16, v14 row_bcast:31 row_mask:0xf bank_mask:0xf
	v_cndmask_b32_e64 v16, 0, v16, s[4:5]
	v_add_u16_e32 v14, v14, v16
	s_and_saveexec_b64 s[4:5], vcc
	s_cbranch_execz .LBB5890_59
; %bb.58:
	v_mov_b32_e32 v16, 0
	ds_write_b16 v16, v14
.LBB5890_59:
	s_or_b64 exec, exec, s[4:5]
	v_add_u32_e32 v16, -1, v15
	v_and_b32_e32 v17, 64, v15
	v_cmp_lt_i32_e32 vcc, v16, v17
	v_cndmask_b32_e32 v16, v16, v15, vcc
	v_lshlrev_b32_e32 v16, 2, v16
	ds_bpermute_b32 v22, v16, v14
	v_cmp_gt_u32_e32 vcc, 64, v0
	s_waitcnt lgkmcnt(0)
	; wave barrier
	s_waitcnt lgkmcnt(0)
	s_and_saveexec_b64 s[22:23], vcc
	s_cbranch_execz .LBB5890_82
; %bb.60:
	v_mov_b32_e32 v19, 0
	ds_read_u16 v23, v19
	s_mov_b32 s9, 0
	v_cmp_eq_u32_e64 s[4:5], 0, v15
	s_and_saveexec_b64 s[6:7], s[4:5]
	s_cbranch_execz .LBB5890_62
; %bb.61:
	s_add_i32 s8, s26, 64
	s_lshl_b64 s[8:9], s[8:9], 2
	s_add_u32 s8, s20, s8
	s_waitcnt lgkmcnt(0)
	v_or_b32_e32 v14, 0x10000, v23
	s_addc_u32 s9, s21, s9
	global_store_dword v19, v14, s[8:9]
.LBB5890_62:
	s_or_b64 exec, exec, s[6:7]
	v_xad_u32 v14, v15, -1, s26
	v_add_u32_e32 v18, 64, v14
	v_lshlrev_b64 v[16:17], 2, v[18:19]
	v_mov_b32_e32 v18, s21
	v_add_co_u32_e32 v16, vcc, s20, v16
	v_addc_co_u32_e32 v17, vcc, v18, v17, vcc
	global_load_dword v18, v[16:17], off glc
	s_waitcnt vmcnt(0)
	v_lshrrev_b32_e32 v27, 16, v18
	v_cmp_eq_u16_sdwa s[8:9], v27, v19 src0_sel:BYTE_0 src1_sel:DWORD
	s_and_saveexec_b64 s[6:7], s[8:9]
	s_cbranch_execz .LBB5890_68
; %bb.63:
	s_mov_b32 s27, 1
	s_mov_b64 s[8:9], 0
	v_mov_b32_e32 v19, 0
.LBB5890_64:                            ; =>This Loop Header: Depth=1
                                        ;     Child Loop BB5890_65 Depth 2
	s_max_u32 s28, s27, 1
.LBB5890_65:                            ;   Parent Loop BB5890_64 Depth=1
                                        ; =>  This Inner Loop Header: Depth=2
	s_add_i32 s28, s28, -1
	s_cmp_eq_u32 s28, 0
	s_sleep 1
	s_cbranch_scc0 .LBB5890_65
; %bb.66:                               ;   in Loop: Header=BB5890_64 Depth=1
	global_load_dword v18, v[16:17], off glc
	s_cmp_lt_u32 s27, 32
	s_cselect_b64 s[28:29], -1, 0
	s_cmp_lg_u64 s[28:29], 0
	s_addc_u32 s27, s27, 0
	s_waitcnt vmcnt(0)
	v_lshrrev_b32_e32 v27, 16, v18
	v_cmp_ne_u16_sdwa s[28:29], v27, v19 src0_sel:BYTE_0 src1_sel:DWORD
	s_or_b64 s[8:9], s[28:29], s[8:9]
	s_andn2_b64 exec, exec, s[8:9]
	s_cbranch_execnz .LBB5890_64
; %bb.67:
	s_or_b64 exec, exec, s[8:9]
.LBB5890_68:
	s_or_b64 exec, exec, s[6:7]
	v_and_b32_e32 v25, 63, v15
	v_cmp_ne_u32_e32 vcc, 63, v25
	v_mov_b32_e32 v24, 2
	v_addc_co_u32_e32 v26, vcc, 0, v15, vcc
	v_cmp_eq_u16_sdwa s[6:7], v27, v24 src0_sel:BYTE_0 src1_sel:DWORD
	v_lshlrev_b64 v[16:17], v15, -1
	v_and_b32_e32 v29, 0xffff, v18
	v_lshlrev_b32_e32 v26, 2, v26
	v_and_b32_e32 v19, s7, v17
	ds_bpermute_b32 v30, v26, v29
	v_or_b32_e32 v19, 0x80000000, v19
	v_and_b32_e32 v28, s6, v16
	v_ffbl_b32_e32 v19, v19
	v_add_u32_e32 v19, 32, v19
	v_ffbl_b32_e32 v28, v28
	v_cmp_gt_u32_e64 s[6:7], 62, v25
	v_min_u32_e32 v19, v28, v19
	v_cndmask_b32_e64 v28, 0, 1, s[6:7]
	s_waitcnt lgkmcnt(0)
	v_add_u16_e32 v30, v30, v18
	v_cmp_lt_u32_e32 vcc, v25, v19
	v_lshlrev_b32_e32 v28, 1, v28
	v_cndmask_b32_e32 v31, v29, v30, vcc
	v_add_lshl_u32 v28, v28, v15, 2
	ds_bpermute_b32 v32, v28, v31
	v_cmp_gt_u32_e64 s[8:9], 60, v25
	v_cndmask_b32_e32 v33, v18, v30, vcc
	v_add_u32_e32 v29, 2, v25
	v_cndmask_b32_e64 v30, 0, 1, s[8:9]
	s_waitcnt lgkmcnt(0)
	v_add_u16_e32 v32, v33, v32
	v_cmp_gt_u32_e64 s[6:7], v29, v19
	v_lshlrev_b32_e32 v30, 2, v30
	v_cndmask_b32_e64 v34, v32, v31, s[6:7]
	v_add_lshl_u32 v30, v30, v15, 2
	ds_bpermute_b32 v35, v30, v34
	v_cmp_gt_u32_e64 s[8:9], 56, v25
	v_cndmask_b32_e64 v33, v32, v33, s[6:7]
	v_add_u32_e32 v31, 4, v25
	v_cndmask_b32_e64 v32, 0, 1, s[8:9]
	s_waitcnt lgkmcnt(0)
	v_add_u16_e32 v35, v33, v35
	v_cmp_gt_u32_e64 s[6:7], v31, v19
	v_lshlrev_b32_e32 v32, 3, v32
	v_cndmask_b32_e64 v34, v35, v34, s[6:7]
	v_add_lshl_u32 v32, v32, v15, 2
	ds_bpermute_b32 v36, v32, v34
	v_cndmask_b32_e64 v35, v35, v33, s[6:7]
	v_add_u32_e32 v33, 8, v25
	v_cmp_gt_u32_e64 s[6:7], v33, v19
	v_cmp_gt_u32_e64 s[8:9], 48, v25
	s_waitcnt lgkmcnt(0)
	v_add_u16_e32 v36, v35, v36
	v_cndmask_b32_e64 v37, v36, v34, s[6:7]
	v_cndmask_b32_e64 v34, 0, 1, s[8:9]
	v_lshlrev_b32_e32 v34, 4, v34
	v_add_lshl_u32 v34, v34, v15, 2
	ds_bpermute_b32 v38, v34, v37
	v_cndmask_b32_e64 v36, v36, v35, s[6:7]
	v_add_u32_e32 v35, 16, v25
	v_cmp_gt_u32_e64 s[6:7], v35, v19
	v_cmp_gt_u32_e64 s[8:9], 32, v25
	s_waitcnt lgkmcnt(0)
	v_add_u16_e32 v39, v36, v38
	v_cndmask_b32_e64 v38, v39, v37, s[6:7]
	v_cndmask_b32_e64 v37, 0, 1, s[8:9]
	v_lshlrev_b32_e32 v37, 5, v37
	v_add_lshl_u32 v37, v37, v15, 2
	ds_bpermute_b32 v15, v37, v38
	v_add_u32_e32 v38, 32, v25
	v_cndmask_b32_e64 v36, v39, v36, s[6:7]
	v_cmp_le_u32_e64 s[6:7], v38, v19
	s_waitcnt lgkmcnt(0)
	v_cndmask_b32_e64 v15, 0, v15, s[6:7]
	v_add_u16_e32 v15, v36, v15
	v_cndmask_b32_e32 v18, v18, v15, vcc
	v_mov_b32_e32 v15, 0
	s_branch .LBB5890_70
.LBB5890_69:                            ;   in Loop: Header=BB5890_70 Depth=1
	s_or_b64 exec, exec, s[6:7]
	v_cmp_eq_u16_sdwa s[6:7], v27, v24 src0_sel:BYTE_0 src1_sel:DWORD
	v_and_b32_e32 v40, 0xffff, v39
	v_and_b32_e32 v18, s7, v17
	ds_bpermute_b32 v41, v26, v40
	v_or_b32_e32 v18, 0x80000000, v18
	v_and_b32_e32 v19, s6, v16
	v_ffbl_b32_e32 v18, v18
	v_add_u32_e32 v18, 32, v18
	v_ffbl_b32_e32 v19, v19
	v_min_u32_e32 v18, v19, v18
	s_waitcnt lgkmcnt(0)
	v_add_u16_e32 v19, v41, v39
	v_cmp_lt_u32_e32 vcc, v25, v18
	v_cndmask_b32_e32 v40, v40, v19, vcc
	ds_bpermute_b32 v41, v28, v40
	v_cndmask_b32_e32 v19, v39, v19, vcc
	v_cmp_gt_u32_e64 s[6:7], v29, v18
	v_subrev_u32_e32 v14, 64, v14
	s_waitcnt lgkmcnt(0)
	v_add_u16_e32 v41, v19, v41
	v_cndmask_b32_e64 v40, v41, v40, s[6:7]
	ds_bpermute_b32 v42, v30, v40
	v_cndmask_b32_e64 v19, v41, v19, s[6:7]
	v_cmp_gt_u32_e64 s[6:7], v31, v18
	s_waitcnt lgkmcnt(0)
	v_add_u16_e32 v41, v19, v42
	v_cndmask_b32_e64 v40, v41, v40, s[6:7]
	ds_bpermute_b32 v42, v32, v40
	v_cndmask_b32_e64 v19, v41, v19, s[6:7]
	v_cmp_gt_u32_e64 s[6:7], v33, v18
	;; [unrolled: 6-line block ×3, first 2 shown]
	s_waitcnt lgkmcnt(0)
	v_add_u16_e32 v41, v19, v42
	v_cndmask_b32_e64 v40, v41, v40, s[6:7]
	ds_bpermute_b32 v40, v37, v40
	v_cndmask_b32_e64 v19, v41, v19, s[6:7]
	v_cmp_le_u32_e64 s[6:7], v38, v18
	s_waitcnt lgkmcnt(0)
	v_cndmask_b32_e64 v18, 0, v40, s[6:7]
	v_add_u16_e32 v18, v19, v18
	v_cndmask_b32_e32 v18, v39, v18, vcc
	v_add_u16_e32 v18, v18, v36
.LBB5890_70:                            ; =>This Loop Header: Depth=1
                                        ;     Child Loop BB5890_73 Depth 2
                                        ;       Child Loop BB5890_74 Depth 3
	v_cmp_ne_u16_sdwa s[6:7], v27, v24 src0_sel:BYTE_0 src1_sel:DWORD
	v_cndmask_b32_e64 v19, 0, 1, s[6:7]
	;;#ASMSTART
	;;#ASMEND
	v_cmp_ne_u32_e32 vcc, 0, v19
	s_cmp_lg_u64 vcc, exec
	v_mov_b32_e32 v36, v18
	s_cbranch_scc1 .LBB5890_77
; %bb.71:                               ;   in Loop: Header=BB5890_70 Depth=1
	v_lshlrev_b64 v[18:19], 2, v[14:15]
	v_mov_b32_e32 v27, s21
	v_add_co_u32_e32 v18, vcc, s20, v18
	v_addc_co_u32_e32 v19, vcc, v27, v19, vcc
	global_load_dword v39, v[18:19], off glc
	s_waitcnt vmcnt(0)
	v_lshrrev_b32_e32 v27, 16, v39
	v_cmp_eq_u16_sdwa s[8:9], v27, v15 src0_sel:BYTE_0 src1_sel:DWORD
	s_and_saveexec_b64 s[6:7], s[8:9]
	s_cbranch_execz .LBB5890_69
; %bb.72:                               ;   in Loop: Header=BB5890_70 Depth=1
	s_mov_b32 s27, 1
	s_mov_b64 s[8:9], 0
.LBB5890_73:                            ;   Parent Loop BB5890_70 Depth=1
                                        ; =>  This Loop Header: Depth=2
                                        ;       Child Loop BB5890_74 Depth 3
	s_max_u32 s28, s27, 1
.LBB5890_74:                            ;   Parent Loop BB5890_70 Depth=1
                                        ;     Parent Loop BB5890_73 Depth=2
                                        ; =>    This Inner Loop Header: Depth=3
	s_add_i32 s28, s28, -1
	s_cmp_eq_u32 s28, 0
	s_sleep 1
	s_cbranch_scc0 .LBB5890_74
; %bb.75:                               ;   in Loop: Header=BB5890_73 Depth=2
	global_load_dword v39, v[18:19], off glc
	s_cmp_lt_u32 s27, 32
	s_cselect_b64 s[28:29], -1, 0
	s_cmp_lg_u64 s[28:29], 0
	s_addc_u32 s27, s27, 0
	s_waitcnt vmcnt(0)
	v_lshrrev_b32_e32 v27, 16, v39
	v_cmp_ne_u16_sdwa s[28:29], v27, v15 src0_sel:BYTE_0 src1_sel:DWORD
	s_or_b64 s[8:9], s[28:29], s[8:9]
	s_andn2_b64 exec, exec, s[8:9]
	s_cbranch_execnz .LBB5890_73
; %bb.76:                               ;   in Loop: Header=BB5890_70 Depth=1
	s_or_b64 exec, exec, s[8:9]
	s_branch .LBB5890_69
.LBB5890_77:                            ;   in Loop: Header=BB5890_70 Depth=1
                                        ; implicit-def: $vgpr18
                                        ; implicit-def: $vgpr27
	s_cbranch_execz .LBB5890_70
; %bb.78:
	s_and_saveexec_b64 s[6:7], s[4:5]
	s_cbranch_execz .LBB5890_80
; %bb.79:
	s_add_i32 s4, s26, 64
	s_mov_b32 s5, 0
	s_lshl_b64 s[4:5], s[4:5], 2
	v_add_u16_e32 v14, v36, v23
	s_add_u32 s4, s20, s4
	v_or_b32_e32 v14, 0x20000, v14
	s_addc_u32 s5, s21, s5
	v_mov_b32_e32 v15, 0
	global_store_dword v15, v14, s[4:5]
.LBB5890_80:
	s_or_b64 exec, exec, s[6:7]
	s_and_b64 exec, exec, s[2:3]
	s_cbranch_execz .LBB5890_82
; %bb.81:
	v_mov_b32_e32 v14, 0
	ds_write_b16 v14, v36
.LBB5890_82:
	s_or_b64 exec, exec, s[22:23]
	v_mov_b32_e32 v14, 0
	s_waitcnt lgkmcnt(0)
	; wave barrier
	s_waitcnt lgkmcnt(0)
	ds_read_u16 v14, v14
	v_cndmask_b32_e64 v15, v22, 0, s[2:3]
	v_add_u16_e32 v15, v15, v10
	s_waitcnt lgkmcnt(0)
	v_add_u16_e32 v14, v15, v14
	v_add_u16_sdwa v15, v14, v10 dst_sel:DWORD dst_unused:UNUSED_PAD src0_sel:DWORD src1_sel:WORD_1
	v_add_u16_e32 v16, v15, v11
	v_add_u16_sdwa v17, v16, v11 dst_sel:DWORD dst_unused:UNUSED_PAD src0_sel:DWORD src1_sel:WORD_1
	;; [unrolled: 2-line block ×12, first 2 shown]
	s_branch .LBB5890_93
.LBB5890_83:
                                        ; implicit-def: $vgpr14
                                        ; implicit-def: $vgpr15
                                        ; implicit-def: $vgpr16
                                        ; implicit-def: $vgpr17
                                        ; implicit-def: $vgpr18
                                        ; implicit-def: $vgpr19
                                        ; implicit-def: $vgpr23
                                        ; implicit-def: $vgpr25
                                        ; implicit-def: $vgpr22
                                        ; implicit-def: $vgpr24
                                        ; implicit-def: $vgpr26
                                        ; implicit-def: $vgpr27
                                        ; implicit-def: $vgpr28
                                        ; implicit-def: $vgpr29
                                        ; implicit-def: $vgpr31
                                        ; implicit-def: $vgpr33
                                        ; implicit-def: $vgpr30
                                        ; implicit-def: $vgpr32
                                        ; implicit-def: $vgpr34
                                        ; implicit-def: $vgpr35
                                        ; implicit-def: $vgpr36
                                        ; implicit-def: $vgpr37
                                        ; implicit-def: $vgpr38
                                        ; implicit-def: $vgpr39
	s_cbranch_execz .LBB5890_93
; %bb.84:
	s_cmp_lg_u64 s[16:17], 0
	s_cselect_b64 s[4:5], -1, 0
	s_and_b64 s[4:5], s[2:3], s[4:5]
	v_mov_b32_e32 v14, v10
	s_and_saveexec_b64 s[2:3], s[4:5]
	s_cbranch_execz .LBB5890_86
; %bb.85:
	v_mov_b32_e32 v14, 0
	global_load_ushort v14, v14, s[12:13]
	s_waitcnt vmcnt(0)
	v_add_u16_e32 v14, v14, v10
.LBB5890_86:
	s_or_b64 exec, exec, s[2:3]
	v_add_u16_sdwa v15, v14, v10 dst_sel:DWORD dst_unused:UNUSED_PAD src0_sel:DWORD src1_sel:WORD_1
	v_add_u16_e32 v16, v15, v11
	v_add_u16_sdwa v17, v16, v11 dst_sel:DWORD dst_unused:UNUSED_PAD src0_sel:DWORD src1_sel:WORD_1
	v_add_u16_e32 v18, v17, v12
	;; [unrolled: 2-line block ×11, first 2 shown]
	v_mbcnt_hi_u32_b32 v21, -1, v21
	v_add_u16_sdwa v39, v38, v5 dst_sel:DWORD dst_unused:UNUSED_PAD src0_sel:DWORD src1_sel:WORD_1
	v_and_b32_e32 v40, 15, v21
	v_cmp_ne_u32_e32 vcc, 0, v40
	v_mov_b32_dpp v41, v39 row_shr:1 row_mask:0xf bank_mask:0xf
	v_cndmask_b32_e32 v41, 0, v41, vcc
	v_add_u16_e32 v41, v39, v41
	v_cmp_lt_u32_e32 vcc, 1, v40
	s_nop 0
	v_mov_b32_dpp v42, v41 row_shr:2 row_mask:0xf bank_mask:0xf
	v_cndmask_b32_e32 v42, 0, v42, vcc
	v_add_u16_e32 v41, v41, v42
	v_cmp_lt_u32_e32 vcc, 3, v40
	s_nop 0
	;; [unrolled: 5-line block ×3, first 2 shown]
	v_mov_b32_dpp v42, v41 row_shr:8 row_mask:0xf bank_mask:0xf
	v_cndmask_b32_e32 v40, 0, v42, vcc
	v_add_u16_e32 v40, v41, v40
	v_and_b32_e32 v42, 16, v21
	v_cmp_ne_u32_e32 vcc, 0, v42
	v_mov_b32_dpp v41, v40 row_bcast:15 row_mask:0xf bank_mask:0xf
	v_cndmask_b32_e32 v41, 0, v41, vcc
	v_add_u16_e32 v40, v40, v41
	v_cmp_lt_u32_e32 vcc, 31, v21
	s_nop 0
	v_mov_b32_dpp v41, v40 row_bcast:31 row_mask:0xf bank_mask:0xf
	v_cndmask_b32_e32 v41, 0, v41, vcc
	v_add_u16_e32 v40, v40, v41
	v_cmp_eq_u32_e32 vcc, 63, v0
	s_and_saveexec_b64 s[2:3], vcc
	s_cbranch_execz .LBB5890_88
; %bb.87:
	v_mov_b32_e32 v41, 0
	ds_write_b16 v41, v40
.LBB5890_88:
	s_or_b64 exec, exec, s[2:3]
	v_add_u32_e32 v41, -1, v21
	v_and_b32_e32 v42, 64, v21
	v_cmp_lt_i32_e64 s[2:3], v41, v42
	v_cndmask_b32_e64 v21, v41, v21, s[2:3]
	v_lshlrev_b32_e32 v21, 2, v21
	ds_bpermute_b32 v21, v21, v40
	s_waitcnt lgkmcnt(0)
	; wave barrier
	s_waitcnt lgkmcnt(0)
	s_and_saveexec_b64 s[2:3], s[0:1]
	s_cbranch_execz .LBB5890_90
; %bb.89:
	v_add_u16_e32 v14, v14, v21
	v_add_u16_sdwa v15, v14, v10 dst_sel:DWORD dst_unused:UNUSED_PAD src0_sel:DWORD src1_sel:WORD_1
	v_add_u16_e32 v16, v15, v11
	v_add_u16_sdwa v17, v16, v11 dst_sel:DWORD dst_unused:UNUSED_PAD src0_sel:DWORD src1_sel:WORD_1
	;; [unrolled: 2-line block ×12, first 2 shown]
	;;#ASMSTART
	;;#ASMEND
.LBB5890_90:
	s_or_b64 exec, exec, s[2:3]
	s_and_saveexec_b64 s[0:1], vcc
	s_cbranch_execz .LBB5890_92
; %bb.91:
	s_mov_b32 s2, 0x20000
	v_mov_b32_e32 v2, 0
	v_or_b32_sdwa v3, v39, s2 dst_sel:DWORD dst_unused:UNUSED_PAD src0_sel:WORD_0 src1_sel:DWORD
	global_store_dword v2, v3, s[20:21] offset:256
.LBB5890_92:
	s_or_b64 exec, exec, s[0:1]
.LBB5890_93:
	s_mov_b32 s0, 0x5040100
	v_perm_b32 v5, v25, v23, s0
	v_perm_b32 v4, v19, v18, s0
	;; [unrolled: 1-line block ×4, first 2 shown]
	s_waitcnt lgkmcnt(0)
	; wave barrier
	ds_write_b128 v1, v[2:5]
	v_perm_b32 v5, v33, v31, s0
	v_perm_b32 v4, v29, v28, s0
	;; [unrolled: 1-line block ×4, first 2 shown]
	ds_write_b128 v1, v[2:5] offset:16
	v_perm_b32 v5, v39, v38, s0
	v_perm_b32 v4, v37, v36, s0
	;; [unrolled: 1-line block ×4, first 2 shown]
	s_mov_b64 s[0:1], -1
	s_and_b64 vcc, exec, s[10:11]
	ds_write_b128 v1, v[2:5] offset:32
	s_waitcnt lgkmcnt(0)
	s_cbranch_vccz .LBB5890_95
; %bb.94:
	; wave barrier
	s_mov_b64 s[0:1], 0
.LBB5890_95:
	s_andn2_b64 vcc, exec, s[0:1]
	s_cbranch_vccnz .LBB5890_104
; %bb.96:
	v_cmp_lt_u64_e64 s[0:1], s[18:19], 2
	s_and_b64 vcc, exec, s[0:1]
	; wave barrier
	s_cbranch_vccnz .LBB5890_104
; %bb.97:
	s_add_u32 s0, s24, -1
	s_addc_u32 s1, s25, -1
	s_add_u32 s2, 0, 0xaaaa0000
	s_addc_u32 s3, 0, 42
	s_add_i32 s3, s3, 0xaaaaa80
	s_mul_hi_u32 s7, s2, 0xffffffe8
	s_sub_i32 s7, s7, s2
	s_mul_i32 s8, s3, 0xffffffe8
	s_mul_i32 s4, s2, 0xffffffe8
	s_add_i32 s7, s7, s8
	s_mul_hi_u32 s5, s3, s4
	s_mul_i32 s6, s3, s4
	s_mul_i32 s9, s2, s7
	s_mul_hi_u32 s4, s2, s4
	s_mul_hi_u32 s8, s2, s7
	s_add_u32 s4, s4, s9
	s_addc_u32 s8, 0, s8
	s_add_u32 s4, s4, s6
	s_mul_hi_u32 s9, s3, s7
	s_addc_u32 s4, s8, s5
	s_addc_u32 s5, s9, 0
	s_mul_i32 s6, s3, s7
	s_add_u32 s4, s4, s6
	v_mov_b32_e32 v2, s4
	s_addc_u32 s5, 0, s5
	v_add_co_u32_e32 v2, vcc, s2, v2
	s_cmp_lg_u64 vcc, 0
	s_addc_u32 s2, s3, s5
	v_readfirstlane_b32 s5, v2
	s_mul_i32 s4, s0, s2
	s_mul_hi_u32 s6, s0, s5
	s_mul_hi_u32 s3, s0, s2
	s_add_u32 s4, s6, s4
	s_addc_u32 s3, 0, s3
	s_mul_hi_u32 s7, s1, s5
	s_mul_i32 s5, s1, s5
	s_add_u32 s4, s4, s5
	s_mul_hi_u32 s6, s1, s2
	s_addc_u32 s3, s3, s7
	s_addc_u32 s4, s6, 0
	s_mul_i32 s2, s1, s2
	s_add_u32 s2, s3, s2
	s_addc_u32 s3, 0, s4
	s_add_u32 s4, s2, 1
	s_addc_u32 s5, s3, 0
	s_add_u32 s6, s2, 2
	s_mul_i32 s8, s3, 24
	s_mul_hi_u32 s9, s2, 24
	s_addc_u32 s7, s3, 0
	s_add_i32 s9, s9, s8
	s_mul_i32 s8, s2, 24
	v_mov_b32_e32 v2, s8
	v_sub_co_u32_e32 v2, vcc, s0, v2
	s_cmp_lg_u64 vcc, 0
	s_subb_u32 s8, s1, s9
	v_subrev_co_u32_e32 v3, vcc, 24, v2
	s_cmp_lg_u64 vcc, 0
	s_subb_u32 s9, s8, 0
	v_readfirstlane_b32 s10, v3
	s_cmp_gt_u32 s10, 23
	s_cselect_b32 s10, -1, 0
	s_cmp_eq_u32 s9, 0
	s_cselect_b32 s9, s10, -1
	s_cmp_lg_u32 s9, 0
	s_cselect_b32 s4, s6, s4
	v_readfirstlane_b32 s6, v2
	s_cselect_b32 s5, s7, s5
	s_cmp_gt_u32 s6, 23
	s_cselect_b32 s6, -1, 0
	s_cmp_eq_u32 s8, 0
	s_cselect_b32 s6, s6, -1
	s_cmp_lg_u32 s6, 0
	v_mov_b32_e32 v1, 0
	s_cselect_b32 s3, s5, s3
	s_cselect_b32 s2, s4, s2
	v_cmp_eq_u64_e32 vcc, s[2:3], v[0:1]
	s_and_saveexec_b64 s[2:3], vcc
	s_cbranch_execz .LBB5890_104
; %bb.98:
	v_lshlrev_b32_e32 v2, 1, v0
	v_mul_hi_u32_u24_e32 v1, 24, v0
	v_mov_b32_e32 v3, s1
	v_sub_co_u32_e32 v0, vcc, s0, v20
	v_subb_co_u32_e32 v1, vcc, v3, v1, vcc
	v_cmp_lt_i64_e32 vcc, 11, v[0:1]
	s_mov_b64 s[0:1], 0
	s_mov_b64 s[8:9], 0
	;; [unrolled: 1-line block ×4, first 2 shown]
                                        ; implicit-def: $vgpr3
                                        ; implicit-def: $vgpr4
                                        ; implicit-def: $vgpr5
	s_and_saveexec_b64 s[2:3], vcc
	s_xor_b64 s[2:3], exec, s[2:3]
	s_cbranch_execnz .LBB5890_105
; %bb.99:
	s_andn2_saveexec_b64 s[2:3], s[2:3]
	s_cbranch_execnz .LBB5890_150
.LBB5890_100:
	s_or_b64 exec, exec, s[2:3]
	s_and_saveexec_b64 s[2:3], s[8:9]
	s_cbranch_execnz .LBB5890_167
.LBB5890_101:
	s_or_b64 exec, exec, s[2:3]
	s_and_saveexec_b64 s[2:3], s[6:7]
	s_cbranch_execnz .LBB5890_168
.LBB5890_102:
	s_or_b64 exec, exec, s[2:3]
	s_and_saveexec_b64 s[2:3], s[4:5]
	s_xor_b64 s[2:3], exec, s[2:3]
	s_cbranch_execnz .LBB5890_169
.LBB5890_103:
	s_or_b64 exec, exec, s[2:3]
	s_and_b64 exec, exec, s[0:1]
	s_cbranch_execnz .LBB5890_170
.LBB5890_104:
	s_endpgm
.LBB5890_105:
	v_cmp_lt_i64_e32 vcc, 17, v[0:1]
                                        ; implicit-def: $vgpr3
                                        ; implicit-def: $vgpr4
                                        ; implicit-def: $vgpr5
	s_and_saveexec_b64 s[10:11], vcc
	s_xor_b64 s[10:11], exec, s[10:11]
	s_cbranch_execz .LBB5890_127
; %bb.106:
	v_cmp_lt_i64_e32 vcc, 20, v[0:1]
                                        ; implicit-def: $vgpr3
                                        ; implicit-def: $vgpr4
	s_and_saveexec_b64 s[12:13], vcc
	s_xor_b64 s[12:13], exec, s[12:13]
	s_cbranch_execz .LBB5890_116
; %bb.107:
	v_cmp_lt_i64_e32 vcc, 21, v[0:1]
	s_mov_b64 s[16:17], 0
                                        ; implicit-def: $vgpr3
	s_and_saveexec_b64 s[4:5], vcc
	s_xor_b64 s[4:5], exec, s[4:5]
	s_cbranch_execz .LBB5890_113
; %bb.108:
	v_cmp_lt_i64_e32 vcc, 22, v[0:1]
	s_and_saveexec_b64 s[16:17], vcc
	s_xor_b64 s[16:17], exec, s[16:17]
	s_cbranch_execz .LBB5890_110
; %bb.109:
	ds_read_u16 v3, v2 offset:2944
	v_mov_b32_e32 v4, 0
	s_waitcnt lgkmcnt(0)
	global_store_short v4, v3, s[14:15]
.LBB5890_110:
	s_or_saveexec_b64 s[16:17], s[16:17]
	s_mov_b64 s[18:19], 0
                                        ; implicit-def: $vgpr3
	s_xor_b64 exec, exec, s[16:17]
	s_cbranch_execz .LBB5890_112
; %bb.111:
	ds_read_u16 v3, v2 offset:2816
	s_mov_b64 s[18:19], exec
.LBB5890_112:
	s_or_b64 exec, exec, s[16:17]
	s_and_b64 s[16:17], s[18:19], exec
.LBB5890_113:
	s_or_saveexec_b64 s[4:5], s[4:5]
                                        ; implicit-def: $vgpr4
	s_xor_b64 exec, exec, s[4:5]
	s_cbranch_execz .LBB5890_115
; %bb.114:
	ds_read_u16 v4, v2 offset:2688
	s_mov_b64 s[6:7], exec
                                        ; implicit-def: $vgpr3
.LBB5890_115:
	s_or_b64 exec, exec, s[4:5]
	s_and_b64 s[4:5], s[16:17], exec
	s_and_b64 s[6:7], s[6:7], exec
.LBB5890_116:
	s_or_saveexec_b64 s[12:13], s[12:13]
                                        ; implicit-def: $vgpr5
	s_xor_b64 exec, exec, s[12:13]
	s_cbranch_execz .LBB5890_126
; %bb.117:
	v_cmp_lt_i64_e32 vcc, 18, v[0:1]
	s_mov_b64 s[16:17], 0
                                        ; implicit-def: $vgpr5
	s_and_saveexec_b64 s[8:9], vcc
	s_xor_b64 s[8:9], exec, s[8:9]
	s_cbranch_execz .LBB5890_123
; %bb.118:
	v_cmp_lt_i64_e32 vcc, 19, v[0:1]
                                        ; implicit-def: $vgpr5
	s_and_saveexec_b64 s[18:19], vcc
	s_xor_b64 s[18:19], exec, s[18:19]
	s_cbranch_execz .LBB5890_120
; %bb.119:
	ds_read_u16 v5, v2 offset:2560
	s_mov_b64 s[16:17], exec
.LBB5890_120:
	s_andn2_saveexec_b64 s[18:19], s[18:19]
	s_cbranch_execz .LBB5890_122
; %bb.121:
	s_waitcnt lgkmcnt(0)
	ds_read_u16 v3, v2 offset:2432
	v_mov_b32_e32 v4, 0
                                        ; implicit-def: $vgpr5
	s_waitcnt lgkmcnt(0)
	global_store_short v4, v3, s[14:15]
.LBB5890_122:
	s_or_b64 exec, exec, s[18:19]
	s_and_b64 s[16:17], s[16:17], exec
.LBB5890_123:
	s_andn2_saveexec_b64 s[8:9], s[8:9]
	s_cbranch_execz .LBB5890_125
; %bb.124:
	s_waitcnt lgkmcnt(0)
	ds_read_u16 v3, v2 offset:2304
	v_mov_b32_e32 v4, 0
                                        ; implicit-def: $vgpr5
	s_waitcnt lgkmcnt(0)
	global_store_short v4, v3, s[14:15]
.LBB5890_125:
	s_or_b64 exec, exec, s[8:9]
	s_and_b64 s[8:9], s[16:17], exec
                                        ; implicit-def: $vgpr3
                                        ; implicit-def: $vgpr4
.LBB5890_126:
	s_or_b64 exec, exec, s[12:13]
	s_and_b64 s[4:5], s[4:5], exec
	s_and_b64 s[6:7], s[6:7], exec
	;; [unrolled: 1-line block ×3, first 2 shown]
.LBB5890_127:
	s_andn2_saveexec_b64 s[10:11], s[10:11]
	s_cbranch_execz .LBB5890_149
; %bb.128:
	v_cmp_lt_i64_e32 vcc, 14, v[0:1]
	s_mov_b64 s[12:13], s[4:5]
                                        ; implicit-def: $vgpr3
	s_and_saveexec_b64 s[16:17], vcc
	s_xor_b64 s[16:17], exec, s[16:17]
	s_cbranch_execz .LBB5890_138
; %bb.129:
	v_cmp_lt_i64_e32 vcc, 15, v[0:1]
	s_and_saveexec_b64 s[12:13], vcc
	s_xor_b64 s[12:13], exec, s[12:13]
	s_cbranch_execz .LBB5890_135
; %bb.130:
	v_cmp_lt_i64_e32 vcc, 16, v[0:1]
	s_and_saveexec_b64 s[18:19], vcc
	s_xor_b64 s[18:19], exec, s[18:19]
	s_cbranch_execz .LBB5890_132
; %bb.131:
	s_waitcnt lgkmcnt(0)
	ds_read_u16 v3, v2 offset:2176
	v_mov_b32_e32 v4, 0
	s_waitcnt lgkmcnt(0)
	global_store_short v4, v3, s[14:15]
.LBB5890_132:
	s_andn2_saveexec_b64 s[18:19], s[18:19]
	s_cbranch_execz .LBB5890_134
; %bb.133:
	s_waitcnt lgkmcnt(0)
	ds_read_u16 v3, v2 offset:2048
	v_mov_b32_e32 v4, 0
	s_waitcnt lgkmcnt(0)
	global_store_short v4, v3, s[14:15]
.LBB5890_134:
	s_or_b64 exec, exec, s[18:19]
.LBB5890_135:
	s_or_saveexec_b64 s[12:13], s[12:13]
	s_mov_b64 s[18:19], s[4:5]
                                        ; implicit-def: $vgpr3
	s_xor_b64 exec, exec, s[12:13]
	s_cbranch_execz .LBB5890_137
; %bb.136:
	s_waitcnt lgkmcnt(0)
	ds_read_u16 v3, v2 offset:1920
	s_or_b64 s[18:19], s[4:5], exec
.LBB5890_137:
	s_or_b64 exec, exec, s[12:13]
	s_andn2_b64 s[12:13], s[4:5], exec
	s_and_b64 s[18:19], s[18:19], exec
	s_or_b64 s[12:13], s[12:13], s[18:19]
.LBB5890_138:
	s_or_saveexec_b64 s[16:17], s[16:17]
	s_mov_b64 s[18:19], s[6:7]
                                        ; implicit-def: $vgpr4
	s_xor_b64 exec, exec, s[16:17]
	s_cbranch_execz .LBB5890_148
; %bb.139:
	v_cmp_lt_i64_e32 vcc, 12, v[0:1]
	s_mov_b64 s[20:21], s[6:7]
	s_mov_b64 s[22:23], s[12:13]
                                        ; implicit-def: $vgpr3
                                        ; implicit-def: $vgpr4
	s_and_saveexec_b64 s[18:19], vcc
	s_xor_b64 s[18:19], exec, s[18:19]
	s_cbranch_execz .LBB5890_145
; %bb.140:
	v_cmp_lt_i64_e32 vcc, 13, v[0:1]
	s_mov_b64 s[20:21], s[12:13]
                                        ; implicit-def: $vgpr3
	s_and_saveexec_b64 s[22:23], vcc
	s_xor_b64 s[22:23], exec, s[22:23]
	s_cbranch_execz .LBB5890_142
; %bb.141:
	s_waitcnt lgkmcnt(0)
	ds_read_u16 v3, v2 offset:1792
	s_or_b64 s[20:21], s[12:13], exec
.LBB5890_142:
	s_or_saveexec_b64 s[22:23], s[22:23]
	s_mov_b64 s[24:25], s[6:7]
                                        ; implicit-def: $vgpr4
	s_xor_b64 exec, exec, s[22:23]
	s_cbranch_execz .LBB5890_144
; %bb.143:
	s_waitcnt lgkmcnt(0)
	ds_read_u16 v4, v2 offset:1664
	s_or_b64 s[24:25], s[6:7], exec
                                        ; implicit-def: $vgpr3
.LBB5890_144:
	s_or_b64 exec, exec, s[22:23]
	s_andn2_b64 s[22:23], s[12:13], exec
	s_and_b64 s[20:21], s[20:21], exec
	s_or_b64 s[22:23], s[22:23], s[20:21]
	s_andn2_b64 s[20:21], s[6:7], exec
	s_and_b64 s[24:25], s[24:25], exec
	s_or_b64 s[20:21], s[20:21], s[24:25]
.LBB5890_145:
	s_andn2_saveexec_b64 s[18:19], s[18:19]
	s_cbranch_execz .LBB5890_147
; %bb.146:
	s_waitcnt lgkmcnt(0)
	ds_read_u16 v4, v2 offset:1536
	s_or_b64 s[20:21], s[20:21], exec
                                        ; implicit-def: $vgpr3
.LBB5890_147:
	s_or_b64 exec, exec, s[18:19]
	s_andn2_b64 s[12:13], s[12:13], exec
	s_and_b64 s[18:19], s[22:23], exec
	s_or_b64 s[12:13], s[12:13], s[18:19]
	s_andn2_b64 s[18:19], s[6:7], exec
	s_and_b64 s[20:21], s[20:21], exec
	s_or_b64 s[18:19], s[18:19], s[20:21]
.LBB5890_148:
	s_or_b64 exec, exec, s[16:17]
	s_andn2_b64 s[4:5], s[4:5], exec
	s_and_b64 s[12:13], s[12:13], exec
	s_or_b64 s[4:5], s[4:5], s[12:13]
	s_andn2_b64 s[6:7], s[6:7], exec
	s_and_b64 s[12:13], s[18:19], exec
	s_or_b64 s[6:7], s[6:7], s[12:13]
                                        ; implicit-def: $vgpr5
.LBB5890_149:
	s_or_b64 exec, exec, s[10:11]
	s_and_b64 s[4:5], s[4:5], exec
	s_and_b64 s[6:7], s[6:7], exec
	;; [unrolled: 1-line block ×3, first 2 shown]
	s_andn2_saveexec_b64 s[2:3], s[2:3]
	s_cbranch_execz .LBB5890_100
.LBB5890_150:
	v_cmp_lt_i64_e32 vcc, 5, v[0:1]
	s_mov_b64 s[12:13], -1
	s_mov_b64 s[10:11], s[8:9]
	s_mov_b64 s[16:17], s[6:7]
	;; [unrolled: 1-line block ×3, first 2 shown]
                                        ; implicit-def: $vgpr3
                                        ; implicit-def: $vgpr4
                                        ; implicit-def: $vgpr5
	s_and_saveexec_b64 s[0:1], vcc
	s_cbranch_execz .LBB5890_166
; %bb.151:
	v_cmp_lt_i64_e32 vcc, 8, v[0:1]
	s_mov_b64 s[10:11], s[8:9]
                                        ; implicit-def: $vgpr5
	s_and_saveexec_b64 s[12:13], vcc
	s_xor_b64 s[12:13], exec, s[12:13]
	s_cbranch_execz .LBB5890_161
; %bb.152:
	v_cmp_lt_i64_e32 vcc, 9, v[0:1]
                                        ; implicit-def: $vgpr5
	s_and_saveexec_b64 s[10:11], vcc
	s_xor_b64 s[10:11], exec, s[10:11]
	s_cbranch_execz .LBB5890_158
; %bb.153:
	v_cmp_lt_i64_e32 vcc, 10, v[0:1]
                                        ; implicit-def: $vgpr5
	s_and_saveexec_b64 s[16:17], vcc
	s_xor_b64 s[16:17], exec, s[16:17]
	s_cbranch_execz .LBB5890_155
; %bb.154:
	s_waitcnt lgkmcnt(0)
	ds_read_u16 v5, v2 offset:1408
.LBB5890_155:
	s_andn2_saveexec_b64 s[16:17], s[16:17]
	s_cbranch_execz .LBB5890_157
; %bb.156:
	s_waitcnt lgkmcnt(0)
	ds_read_u16 v5, v2 offset:1280
.LBB5890_157:
	s_or_b64 exec, exec, s[16:17]
.LBB5890_158:
	s_andn2_saveexec_b64 s[10:11], s[10:11]
	s_cbranch_execz .LBB5890_160
; %bb.159:
	s_waitcnt lgkmcnt(0)
	ds_read_u16 v5, v2 offset:1152
.LBB5890_160:
	s_or_b64 exec, exec, s[10:11]
	s_or_b64 s[10:11], s[8:9], exec
.LBB5890_161:
	s_or_saveexec_b64 s[12:13], s[12:13]
	s_mov_b64 s[16:17], s[6:7]
	s_mov_b64 s[20:21], s[4:5]
                                        ; implicit-def: $vgpr3
                                        ; implicit-def: $vgpr4
	s_xor_b64 exec, exec, s[12:13]
	s_cbranch_execz .LBB5890_165
; %bb.162:
	s_waitcnt lgkmcnt(0)
	ds_read_u16 v3, v2 offset:768
	v_cmp_lt_i64_e32 vcc, 6, v[0:1]
	s_mov_b64 s[20:21], -1
	s_mov_b64 s[18:19], s[10:11]
	s_mov_b64 s[16:17], s[6:7]
                                        ; implicit-def: $vgpr4
                                        ; implicit-def: $vgpr5
	s_and_saveexec_b64 s[22:23], vcc
	s_cbranch_execz .LBB5890_164
; %bb.163:
	ds_read_u16 v4, v2 offset:896
	ds_read_u16 v5, v2 offset:1024
	v_cmp_lt_i64_e32 vcc, 7, v[0:1]
	s_andn2_b64 s[18:19], s[10:11], exec
	s_and_b64 s[24:25], vcc, exec
	s_xor_b64 s[20:21], exec, -1
	s_or_b64 s[16:17], s[6:7], exec
	s_or_b64 s[18:19], s[18:19], s[24:25]
                                        ; implicit-def: $vgpr3
.LBB5890_164:
	s_or_b64 exec, exec, s[22:23]
	s_andn2_b64 s[22:23], s[4:5], exec
	s_and_b64 s[20:21], s[20:21], exec
	s_or_b64 s[20:21], s[22:23], s[20:21]
	s_andn2_b64 s[22:23], s[6:7], exec
	s_and_b64 s[16:17], s[16:17], exec
	s_andn2_b64 s[10:11], s[10:11], exec
	s_and_b64 s[18:19], s[18:19], exec
	s_or_b64 s[16:17], s[22:23], s[16:17]
	s_or_b64 s[10:11], s[10:11], s[18:19]
.LBB5890_165:
	s_or_b64 exec, exec, s[12:13]
	s_andn2_b64 s[18:19], s[4:5], exec
	s_and_b64 s[20:21], s[20:21], exec
	s_or_b64 s[18:19], s[18:19], s[20:21]
	s_andn2_b64 s[20:21], s[6:7], exec
	s_and_b64 s[16:17], s[16:17], exec
	s_or_b64 s[16:17], s[20:21], s[16:17]
	s_andn2_b64 s[20:21], s[8:9], exec
	s_and_b64 s[10:11], s[10:11], exec
	s_xor_b64 s[12:13], exec, -1
	s_or_b64 s[10:11], s[20:21], s[10:11]
.LBB5890_166:
	s_or_b64 exec, exec, s[0:1]
	s_and_b64 s[0:1], s[12:13], exec
	s_andn2_b64 s[4:5], s[4:5], exec
	s_and_b64 s[12:13], s[18:19], exec
	s_or_b64 s[4:5], s[4:5], s[12:13]
	s_andn2_b64 s[6:7], s[6:7], exec
	s_and_b64 s[12:13], s[16:17], exec
	s_andn2_b64 s[8:9], s[8:9], exec
	s_and_b64 s[10:11], s[10:11], exec
	s_or_b64 s[6:7], s[6:7], s[12:13]
	s_or_b64 s[8:9], s[8:9], s[10:11]
	s_or_b64 exec, exec, s[2:3]
	s_and_saveexec_b64 s[2:3], s[8:9]
	s_cbranch_execz .LBB5890_101
.LBB5890_167:
	s_waitcnt lgkmcnt(0)
	v_mov_b32_e32 v3, 0
	s_andn2_b64 s[6:7], s[6:7], exec
	global_store_short v3, v5, s[14:15]
                                        ; implicit-def: $vgpr3
                                        ; implicit-def: $vgpr4
	s_or_b64 exec, exec, s[2:3]
	s_and_saveexec_b64 s[2:3], s[6:7]
	s_cbranch_execz .LBB5890_102
.LBB5890_168:
	s_waitcnt lgkmcnt(0)
	v_mov_b32_e32 v3, 0
	global_store_short v3, v4, s[14:15]
                                        ; implicit-def: $vgpr3
	s_or_b64 exec, exec, s[2:3]
	s_and_saveexec_b64 s[2:3], s[4:5]
	s_xor_b64 s[2:3], exec, s[2:3]
	s_cbranch_execz .LBB5890_103
.LBB5890_169:
	s_waitcnt lgkmcnt(0)
	v_mov_b32_e32 v4, 0
	global_store_short v4, v3, s[14:15]
	s_or_b64 exec, exec, s[2:3]
	s_and_b64 exec, exec, s[0:1]
	s_cbranch_execz .LBB5890_104
.LBB5890_170:
	v_cmp_lt_i64_e32 vcc, 2, v[0:1]
	s_and_saveexec_b64 s[0:1], vcc
	s_xor_b64 s[0:1], exec, s[0:1]
	s_cbranch_execz .LBB5890_180
; %bb.171:
	v_cmp_lt_i64_e32 vcc, 3, v[0:1]
	s_and_saveexec_b64 s[2:3], vcc
	s_xor_b64 s[2:3], exec, s[2:3]
	s_cbranch_execz .LBB5890_177
; %bb.172:
	;; [unrolled: 5-line block ×3, first 2 shown]
	ds_read_u16 v0, v2 offset:640
	v_mov_b32_e32 v1, 0
                                        ; implicit-def: $vgpr2
	s_waitcnt lgkmcnt(0)
	global_store_short v1, v0, s[14:15]
.LBB5890_174:
	s_andn2_saveexec_b64 s[4:5], s[4:5]
	s_cbranch_execz .LBB5890_176
; %bb.175:
	ds_read_u16 v0, v2 offset:512
	v_mov_b32_e32 v1, 0
	s_waitcnt lgkmcnt(0)
	global_store_short v1, v0, s[14:15]
.LBB5890_176:
	s_or_b64 exec, exec, s[4:5]
                                        ; implicit-def: $vgpr2
.LBB5890_177:
	s_andn2_saveexec_b64 s[2:3], s[2:3]
	s_cbranch_execz .LBB5890_179
; %bb.178:
	ds_read_u16 v0, v2 offset:384
	v_mov_b32_e32 v1, 0
	s_waitcnt lgkmcnt(0)
	global_store_short v1, v0, s[14:15]
.LBB5890_179:
	s_or_b64 exec, exec, s[2:3]
                                        ; implicit-def: $vgpr0_vgpr1
                                        ; implicit-def: $vgpr2
.LBB5890_180:
	s_andn2_saveexec_b64 s[0:1], s[0:1]
	s_cbranch_execz .LBB5890_104
; %bb.181:
	v_cmp_lt_i64_e32 vcc, 1, v[0:1]
	s_and_saveexec_b64 s[0:1], vcc
	s_xor_b64 s[0:1], exec, s[0:1]
	s_cbranch_execz .LBB5890_183
; %bb.182:
	ds_read_u16 v0, v2 offset:256
	v_mov_b32_e32 v1, 0
                                        ; implicit-def: $vgpr2
	s_waitcnt lgkmcnt(0)
	global_store_short v1, v0, s[14:15]
                                        ; implicit-def: $vgpr0_vgpr1
.LBB5890_183:
	s_andn2_saveexec_b64 s[0:1], s[0:1]
	s_cbranch_execz .LBB5890_104
; %bb.184:
	v_cmp_ne_u64_e32 vcc, 1, v[0:1]
	s_and_saveexec_b64 s[0:1], vcc
	s_xor_b64 s[0:1], exec, s[0:1]
	s_cbranch_execz .LBB5890_186
; %bb.185:
	ds_read_u16 v0, v2
	v_mov_b32_e32 v1, 0
                                        ; implicit-def: $vgpr2
	s_waitcnt lgkmcnt(0)
	global_store_short v1, v0, s[14:15]
.LBB5890_186:
	s_andn2_saveexec_b64 s[0:1], s[0:1]
	s_cbranch_execz .LBB5890_104
; %bb.187:
	ds_read_u16 v0, v2 offset:128
	v_mov_b32_e32 v1, 0
	s_waitcnt lgkmcnt(0)
	global_store_short v1, v0, s[14:15]
	s_endpgm
	.section	.rodata,"a",@progbits
	.p2align	6, 0x0
	.amdhsa_kernel _ZN7rocprim17ROCPRIM_400000_NS6detail17trampoline_kernelINS0_14default_configENS1_20scan_config_selectorIsEEZZNS1_9scan_implILNS1_25lookback_scan_determinismE0ELb0ELb0ES3_N6thrust23THRUST_200600_302600_NS6detail15normal_iteratorINS9_10device_ptrIsEEEENS9_16discard_iteratorINS9_11use_defaultEEEsNS9_4plusIvEEsEEDaPvRmT3_T4_T5_mT6_P12ihipStream_tbENKUlT_T0_E_clISt17integral_constantIbLb1EESX_EEDaSS_ST_EUlSS_E_NS1_11comp_targetILNS1_3genE4ELNS1_11target_archE910ELNS1_3gpuE8ELNS1_3repE0EEENS1_30default_config_static_selectorELNS0_4arch9wavefront6targetE1EEEvT1_
		.amdhsa_group_segment_fixed_size 3072
		.amdhsa_private_segment_fixed_size 0
		.amdhsa_kernarg_size 104
		.amdhsa_user_sgpr_count 6
		.amdhsa_user_sgpr_private_segment_buffer 1
		.amdhsa_user_sgpr_dispatch_ptr 0
		.amdhsa_user_sgpr_queue_ptr 0
		.amdhsa_user_sgpr_kernarg_segment_ptr 1
		.amdhsa_user_sgpr_dispatch_id 0
		.amdhsa_user_sgpr_flat_scratch_init 0
		.amdhsa_user_sgpr_kernarg_preload_length 0
		.amdhsa_user_sgpr_kernarg_preload_offset 0
		.amdhsa_user_sgpr_private_segment_size 0
		.amdhsa_uses_dynamic_stack 0
		.amdhsa_system_sgpr_private_segment_wavefront_offset 0
		.amdhsa_system_sgpr_workgroup_id_x 1
		.amdhsa_system_sgpr_workgroup_id_y 0
		.amdhsa_system_sgpr_workgroup_id_z 0
		.amdhsa_system_sgpr_workgroup_info 0
		.amdhsa_system_vgpr_workitem_id 0
		.amdhsa_next_free_vgpr 43
		.amdhsa_next_free_sgpr 30
		.amdhsa_accum_offset 44
		.amdhsa_reserve_vcc 1
		.amdhsa_reserve_flat_scratch 0
		.amdhsa_float_round_mode_32 0
		.amdhsa_float_round_mode_16_64 0
		.amdhsa_float_denorm_mode_32 3
		.amdhsa_float_denorm_mode_16_64 3
		.amdhsa_dx10_clamp 1
		.amdhsa_ieee_mode 1
		.amdhsa_fp16_overflow 0
		.amdhsa_tg_split 0
		.amdhsa_exception_fp_ieee_invalid_op 0
		.amdhsa_exception_fp_denorm_src 0
		.amdhsa_exception_fp_ieee_div_zero 0
		.amdhsa_exception_fp_ieee_overflow 0
		.amdhsa_exception_fp_ieee_underflow 0
		.amdhsa_exception_fp_ieee_inexact 0
		.amdhsa_exception_int_div_zero 0
	.end_amdhsa_kernel
	.section	.text._ZN7rocprim17ROCPRIM_400000_NS6detail17trampoline_kernelINS0_14default_configENS1_20scan_config_selectorIsEEZZNS1_9scan_implILNS1_25lookback_scan_determinismE0ELb0ELb0ES3_N6thrust23THRUST_200600_302600_NS6detail15normal_iteratorINS9_10device_ptrIsEEEENS9_16discard_iteratorINS9_11use_defaultEEEsNS9_4plusIvEEsEEDaPvRmT3_T4_T5_mT6_P12ihipStream_tbENKUlT_T0_E_clISt17integral_constantIbLb1EESX_EEDaSS_ST_EUlSS_E_NS1_11comp_targetILNS1_3genE4ELNS1_11target_archE910ELNS1_3gpuE8ELNS1_3repE0EEENS1_30default_config_static_selectorELNS0_4arch9wavefront6targetE1EEEvT1_,"axG",@progbits,_ZN7rocprim17ROCPRIM_400000_NS6detail17trampoline_kernelINS0_14default_configENS1_20scan_config_selectorIsEEZZNS1_9scan_implILNS1_25lookback_scan_determinismE0ELb0ELb0ES3_N6thrust23THRUST_200600_302600_NS6detail15normal_iteratorINS9_10device_ptrIsEEEENS9_16discard_iteratorINS9_11use_defaultEEEsNS9_4plusIvEEsEEDaPvRmT3_T4_T5_mT6_P12ihipStream_tbENKUlT_T0_E_clISt17integral_constantIbLb1EESX_EEDaSS_ST_EUlSS_E_NS1_11comp_targetILNS1_3genE4ELNS1_11target_archE910ELNS1_3gpuE8ELNS1_3repE0EEENS1_30default_config_static_selectorELNS0_4arch9wavefront6targetE1EEEvT1_,comdat
.Lfunc_end5890:
	.size	_ZN7rocprim17ROCPRIM_400000_NS6detail17trampoline_kernelINS0_14default_configENS1_20scan_config_selectorIsEEZZNS1_9scan_implILNS1_25lookback_scan_determinismE0ELb0ELb0ES3_N6thrust23THRUST_200600_302600_NS6detail15normal_iteratorINS9_10device_ptrIsEEEENS9_16discard_iteratorINS9_11use_defaultEEEsNS9_4plusIvEEsEEDaPvRmT3_T4_T5_mT6_P12ihipStream_tbENKUlT_T0_E_clISt17integral_constantIbLb1EESX_EEDaSS_ST_EUlSS_E_NS1_11comp_targetILNS1_3genE4ELNS1_11target_archE910ELNS1_3gpuE8ELNS1_3repE0EEENS1_30default_config_static_selectorELNS0_4arch9wavefront6targetE1EEEvT1_, .Lfunc_end5890-_ZN7rocprim17ROCPRIM_400000_NS6detail17trampoline_kernelINS0_14default_configENS1_20scan_config_selectorIsEEZZNS1_9scan_implILNS1_25lookback_scan_determinismE0ELb0ELb0ES3_N6thrust23THRUST_200600_302600_NS6detail15normal_iteratorINS9_10device_ptrIsEEEENS9_16discard_iteratorINS9_11use_defaultEEEsNS9_4plusIvEEsEEDaPvRmT3_T4_T5_mT6_P12ihipStream_tbENKUlT_T0_E_clISt17integral_constantIbLb1EESX_EEDaSS_ST_EUlSS_E_NS1_11comp_targetILNS1_3genE4ELNS1_11target_archE910ELNS1_3gpuE8ELNS1_3repE0EEENS1_30default_config_static_selectorELNS0_4arch9wavefront6targetE1EEEvT1_
                                        ; -- End function
	.section	.AMDGPU.csdata,"",@progbits
; Kernel info:
; codeLenInByte = 6668
; NumSgprs: 34
; NumVgprs: 43
; NumAgprs: 0
; TotalNumVgprs: 43
; ScratchSize: 0
; MemoryBound: 0
; FloatMode: 240
; IeeeMode: 1
; LDSByteSize: 3072 bytes/workgroup (compile time only)
; SGPRBlocks: 4
; VGPRBlocks: 5
; NumSGPRsForWavesPerEU: 34
; NumVGPRsForWavesPerEU: 43
; AccumOffset: 44
; Occupancy: 6
; WaveLimiterHint : 1
; COMPUTE_PGM_RSRC2:SCRATCH_EN: 0
; COMPUTE_PGM_RSRC2:USER_SGPR: 6
; COMPUTE_PGM_RSRC2:TRAP_HANDLER: 0
; COMPUTE_PGM_RSRC2:TGID_X_EN: 1
; COMPUTE_PGM_RSRC2:TGID_Y_EN: 0
; COMPUTE_PGM_RSRC2:TGID_Z_EN: 0
; COMPUTE_PGM_RSRC2:TIDIG_COMP_CNT: 0
; COMPUTE_PGM_RSRC3_GFX90A:ACCUM_OFFSET: 10
; COMPUTE_PGM_RSRC3_GFX90A:TG_SPLIT: 0
	.section	.text._ZN7rocprim17ROCPRIM_400000_NS6detail17trampoline_kernelINS0_14default_configENS1_20scan_config_selectorIsEEZZNS1_9scan_implILNS1_25lookback_scan_determinismE0ELb0ELb0ES3_N6thrust23THRUST_200600_302600_NS6detail15normal_iteratorINS9_10device_ptrIsEEEENS9_16discard_iteratorINS9_11use_defaultEEEsNS9_4plusIvEEsEEDaPvRmT3_T4_T5_mT6_P12ihipStream_tbENKUlT_T0_E_clISt17integral_constantIbLb1EESX_EEDaSS_ST_EUlSS_E_NS1_11comp_targetILNS1_3genE3ELNS1_11target_archE908ELNS1_3gpuE7ELNS1_3repE0EEENS1_30default_config_static_selectorELNS0_4arch9wavefront6targetE1EEEvT1_,"axG",@progbits,_ZN7rocprim17ROCPRIM_400000_NS6detail17trampoline_kernelINS0_14default_configENS1_20scan_config_selectorIsEEZZNS1_9scan_implILNS1_25lookback_scan_determinismE0ELb0ELb0ES3_N6thrust23THRUST_200600_302600_NS6detail15normal_iteratorINS9_10device_ptrIsEEEENS9_16discard_iteratorINS9_11use_defaultEEEsNS9_4plusIvEEsEEDaPvRmT3_T4_T5_mT6_P12ihipStream_tbENKUlT_T0_E_clISt17integral_constantIbLb1EESX_EEDaSS_ST_EUlSS_E_NS1_11comp_targetILNS1_3genE3ELNS1_11target_archE908ELNS1_3gpuE7ELNS1_3repE0EEENS1_30default_config_static_selectorELNS0_4arch9wavefront6targetE1EEEvT1_,comdat
	.protected	_ZN7rocprim17ROCPRIM_400000_NS6detail17trampoline_kernelINS0_14default_configENS1_20scan_config_selectorIsEEZZNS1_9scan_implILNS1_25lookback_scan_determinismE0ELb0ELb0ES3_N6thrust23THRUST_200600_302600_NS6detail15normal_iteratorINS9_10device_ptrIsEEEENS9_16discard_iteratorINS9_11use_defaultEEEsNS9_4plusIvEEsEEDaPvRmT3_T4_T5_mT6_P12ihipStream_tbENKUlT_T0_E_clISt17integral_constantIbLb1EESX_EEDaSS_ST_EUlSS_E_NS1_11comp_targetILNS1_3genE3ELNS1_11target_archE908ELNS1_3gpuE7ELNS1_3repE0EEENS1_30default_config_static_selectorELNS0_4arch9wavefront6targetE1EEEvT1_ ; -- Begin function _ZN7rocprim17ROCPRIM_400000_NS6detail17trampoline_kernelINS0_14default_configENS1_20scan_config_selectorIsEEZZNS1_9scan_implILNS1_25lookback_scan_determinismE0ELb0ELb0ES3_N6thrust23THRUST_200600_302600_NS6detail15normal_iteratorINS9_10device_ptrIsEEEENS9_16discard_iteratorINS9_11use_defaultEEEsNS9_4plusIvEEsEEDaPvRmT3_T4_T5_mT6_P12ihipStream_tbENKUlT_T0_E_clISt17integral_constantIbLb1EESX_EEDaSS_ST_EUlSS_E_NS1_11comp_targetILNS1_3genE3ELNS1_11target_archE908ELNS1_3gpuE7ELNS1_3repE0EEENS1_30default_config_static_selectorELNS0_4arch9wavefront6targetE1EEEvT1_
	.globl	_ZN7rocprim17ROCPRIM_400000_NS6detail17trampoline_kernelINS0_14default_configENS1_20scan_config_selectorIsEEZZNS1_9scan_implILNS1_25lookback_scan_determinismE0ELb0ELb0ES3_N6thrust23THRUST_200600_302600_NS6detail15normal_iteratorINS9_10device_ptrIsEEEENS9_16discard_iteratorINS9_11use_defaultEEEsNS9_4plusIvEEsEEDaPvRmT3_T4_T5_mT6_P12ihipStream_tbENKUlT_T0_E_clISt17integral_constantIbLb1EESX_EEDaSS_ST_EUlSS_E_NS1_11comp_targetILNS1_3genE3ELNS1_11target_archE908ELNS1_3gpuE7ELNS1_3repE0EEENS1_30default_config_static_selectorELNS0_4arch9wavefront6targetE1EEEvT1_
	.p2align	8
	.type	_ZN7rocprim17ROCPRIM_400000_NS6detail17trampoline_kernelINS0_14default_configENS1_20scan_config_selectorIsEEZZNS1_9scan_implILNS1_25lookback_scan_determinismE0ELb0ELb0ES3_N6thrust23THRUST_200600_302600_NS6detail15normal_iteratorINS9_10device_ptrIsEEEENS9_16discard_iteratorINS9_11use_defaultEEEsNS9_4plusIvEEsEEDaPvRmT3_T4_T5_mT6_P12ihipStream_tbENKUlT_T0_E_clISt17integral_constantIbLb1EESX_EEDaSS_ST_EUlSS_E_NS1_11comp_targetILNS1_3genE3ELNS1_11target_archE908ELNS1_3gpuE7ELNS1_3repE0EEENS1_30default_config_static_selectorELNS0_4arch9wavefront6targetE1EEEvT1_,@function
_ZN7rocprim17ROCPRIM_400000_NS6detail17trampoline_kernelINS0_14default_configENS1_20scan_config_selectorIsEEZZNS1_9scan_implILNS1_25lookback_scan_determinismE0ELb0ELb0ES3_N6thrust23THRUST_200600_302600_NS6detail15normal_iteratorINS9_10device_ptrIsEEEENS9_16discard_iteratorINS9_11use_defaultEEEsNS9_4plusIvEEsEEDaPvRmT3_T4_T5_mT6_P12ihipStream_tbENKUlT_T0_E_clISt17integral_constantIbLb1EESX_EEDaSS_ST_EUlSS_E_NS1_11comp_targetILNS1_3genE3ELNS1_11target_archE908ELNS1_3gpuE7ELNS1_3repE0EEENS1_30default_config_static_selectorELNS0_4arch9wavefront6targetE1EEEvT1_: ; @_ZN7rocprim17ROCPRIM_400000_NS6detail17trampoline_kernelINS0_14default_configENS1_20scan_config_selectorIsEEZZNS1_9scan_implILNS1_25lookback_scan_determinismE0ELb0ELb0ES3_N6thrust23THRUST_200600_302600_NS6detail15normal_iteratorINS9_10device_ptrIsEEEENS9_16discard_iteratorINS9_11use_defaultEEEsNS9_4plusIvEEsEEDaPvRmT3_T4_T5_mT6_P12ihipStream_tbENKUlT_T0_E_clISt17integral_constantIbLb1EESX_EEDaSS_ST_EUlSS_E_NS1_11comp_targetILNS1_3genE3ELNS1_11target_archE908ELNS1_3gpuE7ELNS1_3repE0EEENS1_30default_config_static_selectorELNS0_4arch9wavefront6targetE1EEEvT1_
; %bb.0:
	.section	.rodata,"a",@progbits
	.p2align	6, 0x0
	.amdhsa_kernel _ZN7rocprim17ROCPRIM_400000_NS6detail17trampoline_kernelINS0_14default_configENS1_20scan_config_selectorIsEEZZNS1_9scan_implILNS1_25lookback_scan_determinismE0ELb0ELb0ES3_N6thrust23THRUST_200600_302600_NS6detail15normal_iteratorINS9_10device_ptrIsEEEENS9_16discard_iteratorINS9_11use_defaultEEEsNS9_4plusIvEEsEEDaPvRmT3_T4_T5_mT6_P12ihipStream_tbENKUlT_T0_E_clISt17integral_constantIbLb1EESX_EEDaSS_ST_EUlSS_E_NS1_11comp_targetILNS1_3genE3ELNS1_11target_archE908ELNS1_3gpuE7ELNS1_3repE0EEENS1_30default_config_static_selectorELNS0_4arch9wavefront6targetE1EEEvT1_
		.amdhsa_group_segment_fixed_size 0
		.amdhsa_private_segment_fixed_size 0
		.amdhsa_kernarg_size 104
		.amdhsa_user_sgpr_count 6
		.amdhsa_user_sgpr_private_segment_buffer 1
		.amdhsa_user_sgpr_dispatch_ptr 0
		.amdhsa_user_sgpr_queue_ptr 0
		.amdhsa_user_sgpr_kernarg_segment_ptr 1
		.amdhsa_user_sgpr_dispatch_id 0
		.amdhsa_user_sgpr_flat_scratch_init 0
		.amdhsa_user_sgpr_kernarg_preload_length 0
		.amdhsa_user_sgpr_kernarg_preload_offset 0
		.amdhsa_user_sgpr_private_segment_size 0
		.amdhsa_uses_dynamic_stack 0
		.amdhsa_system_sgpr_private_segment_wavefront_offset 0
		.amdhsa_system_sgpr_workgroup_id_x 1
		.amdhsa_system_sgpr_workgroup_id_y 0
		.amdhsa_system_sgpr_workgroup_id_z 0
		.amdhsa_system_sgpr_workgroup_info 0
		.amdhsa_system_vgpr_workitem_id 0
		.amdhsa_next_free_vgpr 1
		.amdhsa_next_free_sgpr 0
		.amdhsa_accum_offset 4
		.amdhsa_reserve_vcc 0
		.amdhsa_reserve_flat_scratch 0
		.amdhsa_float_round_mode_32 0
		.amdhsa_float_round_mode_16_64 0
		.amdhsa_float_denorm_mode_32 3
		.amdhsa_float_denorm_mode_16_64 3
		.amdhsa_dx10_clamp 1
		.amdhsa_ieee_mode 1
		.amdhsa_fp16_overflow 0
		.amdhsa_tg_split 0
		.amdhsa_exception_fp_ieee_invalid_op 0
		.amdhsa_exception_fp_denorm_src 0
		.amdhsa_exception_fp_ieee_div_zero 0
		.amdhsa_exception_fp_ieee_overflow 0
		.amdhsa_exception_fp_ieee_underflow 0
		.amdhsa_exception_fp_ieee_inexact 0
		.amdhsa_exception_int_div_zero 0
	.end_amdhsa_kernel
	.section	.text._ZN7rocprim17ROCPRIM_400000_NS6detail17trampoline_kernelINS0_14default_configENS1_20scan_config_selectorIsEEZZNS1_9scan_implILNS1_25lookback_scan_determinismE0ELb0ELb0ES3_N6thrust23THRUST_200600_302600_NS6detail15normal_iteratorINS9_10device_ptrIsEEEENS9_16discard_iteratorINS9_11use_defaultEEEsNS9_4plusIvEEsEEDaPvRmT3_T4_T5_mT6_P12ihipStream_tbENKUlT_T0_E_clISt17integral_constantIbLb1EESX_EEDaSS_ST_EUlSS_E_NS1_11comp_targetILNS1_3genE3ELNS1_11target_archE908ELNS1_3gpuE7ELNS1_3repE0EEENS1_30default_config_static_selectorELNS0_4arch9wavefront6targetE1EEEvT1_,"axG",@progbits,_ZN7rocprim17ROCPRIM_400000_NS6detail17trampoline_kernelINS0_14default_configENS1_20scan_config_selectorIsEEZZNS1_9scan_implILNS1_25lookback_scan_determinismE0ELb0ELb0ES3_N6thrust23THRUST_200600_302600_NS6detail15normal_iteratorINS9_10device_ptrIsEEEENS9_16discard_iteratorINS9_11use_defaultEEEsNS9_4plusIvEEsEEDaPvRmT3_T4_T5_mT6_P12ihipStream_tbENKUlT_T0_E_clISt17integral_constantIbLb1EESX_EEDaSS_ST_EUlSS_E_NS1_11comp_targetILNS1_3genE3ELNS1_11target_archE908ELNS1_3gpuE7ELNS1_3repE0EEENS1_30default_config_static_selectorELNS0_4arch9wavefront6targetE1EEEvT1_,comdat
.Lfunc_end5891:
	.size	_ZN7rocprim17ROCPRIM_400000_NS6detail17trampoline_kernelINS0_14default_configENS1_20scan_config_selectorIsEEZZNS1_9scan_implILNS1_25lookback_scan_determinismE0ELb0ELb0ES3_N6thrust23THRUST_200600_302600_NS6detail15normal_iteratorINS9_10device_ptrIsEEEENS9_16discard_iteratorINS9_11use_defaultEEEsNS9_4plusIvEEsEEDaPvRmT3_T4_T5_mT6_P12ihipStream_tbENKUlT_T0_E_clISt17integral_constantIbLb1EESX_EEDaSS_ST_EUlSS_E_NS1_11comp_targetILNS1_3genE3ELNS1_11target_archE908ELNS1_3gpuE7ELNS1_3repE0EEENS1_30default_config_static_selectorELNS0_4arch9wavefront6targetE1EEEvT1_, .Lfunc_end5891-_ZN7rocprim17ROCPRIM_400000_NS6detail17trampoline_kernelINS0_14default_configENS1_20scan_config_selectorIsEEZZNS1_9scan_implILNS1_25lookback_scan_determinismE0ELb0ELb0ES3_N6thrust23THRUST_200600_302600_NS6detail15normal_iteratorINS9_10device_ptrIsEEEENS9_16discard_iteratorINS9_11use_defaultEEEsNS9_4plusIvEEsEEDaPvRmT3_T4_T5_mT6_P12ihipStream_tbENKUlT_T0_E_clISt17integral_constantIbLb1EESX_EEDaSS_ST_EUlSS_E_NS1_11comp_targetILNS1_3genE3ELNS1_11target_archE908ELNS1_3gpuE7ELNS1_3repE0EEENS1_30default_config_static_selectorELNS0_4arch9wavefront6targetE1EEEvT1_
                                        ; -- End function
	.section	.AMDGPU.csdata,"",@progbits
; Kernel info:
; codeLenInByte = 0
; NumSgprs: 4
; NumVgprs: 0
; NumAgprs: 0
; TotalNumVgprs: 0
; ScratchSize: 0
; MemoryBound: 0
; FloatMode: 240
; IeeeMode: 1
; LDSByteSize: 0 bytes/workgroup (compile time only)
; SGPRBlocks: 0
; VGPRBlocks: 0
; NumSGPRsForWavesPerEU: 4
; NumVGPRsForWavesPerEU: 1
; AccumOffset: 4
; Occupancy: 8
; WaveLimiterHint : 0
; COMPUTE_PGM_RSRC2:SCRATCH_EN: 0
; COMPUTE_PGM_RSRC2:USER_SGPR: 6
; COMPUTE_PGM_RSRC2:TRAP_HANDLER: 0
; COMPUTE_PGM_RSRC2:TGID_X_EN: 1
; COMPUTE_PGM_RSRC2:TGID_Y_EN: 0
; COMPUTE_PGM_RSRC2:TGID_Z_EN: 0
; COMPUTE_PGM_RSRC2:TIDIG_COMP_CNT: 0
; COMPUTE_PGM_RSRC3_GFX90A:ACCUM_OFFSET: 0
; COMPUTE_PGM_RSRC3_GFX90A:TG_SPLIT: 0
	.section	.text._ZN7rocprim17ROCPRIM_400000_NS6detail17trampoline_kernelINS0_14default_configENS1_20scan_config_selectorIsEEZZNS1_9scan_implILNS1_25lookback_scan_determinismE0ELb0ELb0ES3_N6thrust23THRUST_200600_302600_NS6detail15normal_iteratorINS9_10device_ptrIsEEEENS9_16discard_iteratorINS9_11use_defaultEEEsNS9_4plusIvEEsEEDaPvRmT3_T4_T5_mT6_P12ihipStream_tbENKUlT_T0_E_clISt17integral_constantIbLb1EESX_EEDaSS_ST_EUlSS_E_NS1_11comp_targetILNS1_3genE2ELNS1_11target_archE906ELNS1_3gpuE6ELNS1_3repE0EEENS1_30default_config_static_selectorELNS0_4arch9wavefront6targetE1EEEvT1_,"axG",@progbits,_ZN7rocprim17ROCPRIM_400000_NS6detail17trampoline_kernelINS0_14default_configENS1_20scan_config_selectorIsEEZZNS1_9scan_implILNS1_25lookback_scan_determinismE0ELb0ELb0ES3_N6thrust23THRUST_200600_302600_NS6detail15normal_iteratorINS9_10device_ptrIsEEEENS9_16discard_iteratorINS9_11use_defaultEEEsNS9_4plusIvEEsEEDaPvRmT3_T4_T5_mT6_P12ihipStream_tbENKUlT_T0_E_clISt17integral_constantIbLb1EESX_EEDaSS_ST_EUlSS_E_NS1_11comp_targetILNS1_3genE2ELNS1_11target_archE906ELNS1_3gpuE6ELNS1_3repE0EEENS1_30default_config_static_selectorELNS0_4arch9wavefront6targetE1EEEvT1_,comdat
	.protected	_ZN7rocprim17ROCPRIM_400000_NS6detail17trampoline_kernelINS0_14default_configENS1_20scan_config_selectorIsEEZZNS1_9scan_implILNS1_25lookback_scan_determinismE0ELb0ELb0ES3_N6thrust23THRUST_200600_302600_NS6detail15normal_iteratorINS9_10device_ptrIsEEEENS9_16discard_iteratorINS9_11use_defaultEEEsNS9_4plusIvEEsEEDaPvRmT3_T4_T5_mT6_P12ihipStream_tbENKUlT_T0_E_clISt17integral_constantIbLb1EESX_EEDaSS_ST_EUlSS_E_NS1_11comp_targetILNS1_3genE2ELNS1_11target_archE906ELNS1_3gpuE6ELNS1_3repE0EEENS1_30default_config_static_selectorELNS0_4arch9wavefront6targetE1EEEvT1_ ; -- Begin function _ZN7rocprim17ROCPRIM_400000_NS6detail17trampoline_kernelINS0_14default_configENS1_20scan_config_selectorIsEEZZNS1_9scan_implILNS1_25lookback_scan_determinismE0ELb0ELb0ES3_N6thrust23THRUST_200600_302600_NS6detail15normal_iteratorINS9_10device_ptrIsEEEENS9_16discard_iteratorINS9_11use_defaultEEEsNS9_4plusIvEEsEEDaPvRmT3_T4_T5_mT6_P12ihipStream_tbENKUlT_T0_E_clISt17integral_constantIbLb1EESX_EEDaSS_ST_EUlSS_E_NS1_11comp_targetILNS1_3genE2ELNS1_11target_archE906ELNS1_3gpuE6ELNS1_3repE0EEENS1_30default_config_static_selectorELNS0_4arch9wavefront6targetE1EEEvT1_
	.globl	_ZN7rocprim17ROCPRIM_400000_NS6detail17trampoline_kernelINS0_14default_configENS1_20scan_config_selectorIsEEZZNS1_9scan_implILNS1_25lookback_scan_determinismE0ELb0ELb0ES3_N6thrust23THRUST_200600_302600_NS6detail15normal_iteratorINS9_10device_ptrIsEEEENS9_16discard_iteratorINS9_11use_defaultEEEsNS9_4plusIvEEsEEDaPvRmT3_T4_T5_mT6_P12ihipStream_tbENKUlT_T0_E_clISt17integral_constantIbLb1EESX_EEDaSS_ST_EUlSS_E_NS1_11comp_targetILNS1_3genE2ELNS1_11target_archE906ELNS1_3gpuE6ELNS1_3repE0EEENS1_30default_config_static_selectorELNS0_4arch9wavefront6targetE1EEEvT1_
	.p2align	8
	.type	_ZN7rocprim17ROCPRIM_400000_NS6detail17trampoline_kernelINS0_14default_configENS1_20scan_config_selectorIsEEZZNS1_9scan_implILNS1_25lookback_scan_determinismE0ELb0ELb0ES3_N6thrust23THRUST_200600_302600_NS6detail15normal_iteratorINS9_10device_ptrIsEEEENS9_16discard_iteratorINS9_11use_defaultEEEsNS9_4plusIvEEsEEDaPvRmT3_T4_T5_mT6_P12ihipStream_tbENKUlT_T0_E_clISt17integral_constantIbLb1EESX_EEDaSS_ST_EUlSS_E_NS1_11comp_targetILNS1_3genE2ELNS1_11target_archE906ELNS1_3gpuE6ELNS1_3repE0EEENS1_30default_config_static_selectorELNS0_4arch9wavefront6targetE1EEEvT1_,@function
_ZN7rocprim17ROCPRIM_400000_NS6detail17trampoline_kernelINS0_14default_configENS1_20scan_config_selectorIsEEZZNS1_9scan_implILNS1_25lookback_scan_determinismE0ELb0ELb0ES3_N6thrust23THRUST_200600_302600_NS6detail15normal_iteratorINS9_10device_ptrIsEEEENS9_16discard_iteratorINS9_11use_defaultEEEsNS9_4plusIvEEsEEDaPvRmT3_T4_T5_mT6_P12ihipStream_tbENKUlT_T0_E_clISt17integral_constantIbLb1EESX_EEDaSS_ST_EUlSS_E_NS1_11comp_targetILNS1_3genE2ELNS1_11target_archE906ELNS1_3gpuE6ELNS1_3repE0EEENS1_30default_config_static_selectorELNS0_4arch9wavefront6targetE1EEEvT1_: ; @_ZN7rocprim17ROCPRIM_400000_NS6detail17trampoline_kernelINS0_14default_configENS1_20scan_config_selectorIsEEZZNS1_9scan_implILNS1_25lookback_scan_determinismE0ELb0ELb0ES3_N6thrust23THRUST_200600_302600_NS6detail15normal_iteratorINS9_10device_ptrIsEEEENS9_16discard_iteratorINS9_11use_defaultEEEsNS9_4plusIvEEsEEDaPvRmT3_T4_T5_mT6_P12ihipStream_tbENKUlT_T0_E_clISt17integral_constantIbLb1EESX_EEDaSS_ST_EUlSS_E_NS1_11comp_targetILNS1_3genE2ELNS1_11target_archE906ELNS1_3gpuE6ELNS1_3repE0EEENS1_30default_config_static_selectorELNS0_4arch9wavefront6targetE1EEEvT1_
; %bb.0:
	.section	.rodata,"a",@progbits
	.p2align	6, 0x0
	.amdhsa_kernel _ZN7rocprim17ROCPRIM_400000_NS6detail17trampoline_kernelINS0_14default_configENS1_20scan_config_selectorIsEEZZNS1_9scan_implILNS1_25lookback_scan_determinismE0ELb0ELb0ES3_N6thrust23THRUST_200600_302600_NS6detail15normal_iteratorINS9_10device_ptrIsEEEENS9_16discard_iteratorINS9_11use_defaultEEEsNS9_4plusIvEEsEEDaPvRmT3_T4_T5_mT6_P12ihipStream_tbENKUlT_T0_E_clISt17integral_constantIbLb1EESX_EEDaSS_ST_EUlSS_E_NS1_11comp_targetILNS1_3genE2ELNS1_11target_archE906ELNS1_3gpuE6ELNS1_3repE0EEENS1_30default_config_static_selectorELNS0_4arch9wavefront6targetE1EEEvT1_
		.amdhsa_group_segment_fixed_size 0
		.amdhsa_private_segment_fixed_size 0
		.amdhsa_kernarg_size 104
		.amdhsa_user_sgpr_count 6
		.amdhsa_user_sgpr_private_segment_buffer 1
		.amdhsa_user_sgpr_dispatch_ptr 0
		.amdhsa_user_sgpr_queue_ptr 0
		.amdhsa_user_sgpr_kernarg_segment_ptr 1
		.amdhsa_user_sgpr_dispatch_id 0
		.amdhsa_user_sgpr_flat_scratch_init 0
		.amdhsa_user_sgpr_kernarg_preload_length 0
		.amdhsa_user_sgpr_kernarg_preload_offset 0
		.amdhsa_user_sgpr_private_segment_size 0
		.amdhsa_uses_dynamic_stack 0
		.amdhsa_system_sgpr_private_segment_wavefront_offset 0
		.amdhsa_system_sgpr_workgroup_id_x 1
		.amdhsa_system_sgpr_workgroup_id_y 0
		.amdhsa_system_sgpr_workgroup_id_z 0
		.amdhsa_system_sgpr_workgroup_info 0
		.amdhsa_system_vgpr_workitem_id 0
		.amdhsa_next_free_vgpr 1
		.amdhsa_next_free_sgpr 0
		.amdhsa_accum_offset 4
		.amdhsa_reserve_vcc 0
		.amdhsa_reserve_flat_scratch 0
		.amdhsa_float_round_mode_32 0
		.amdhsa_float_round_mode_16_64 0
		.amdhsa_float_denorm_mode_32 3
		.amdhsa_float_denorm_mode_16_64 3
		.amdhsa_dx10_clamp 1
		.amdhsa_ieee_mode 1
		.amdhsa_fp16_overflow 0
		.amdhsa_tg_split 0
		.amdhsa_exception_fp_ieee_invalid_op 0
		.amdhsa_exception_fp_denorm_src 0
		.amdhsa_exception_fp_ieee_div_zero 0
		.amdhsa_exception_fp_ieee_overflow 0
		.amdhsa_exception_fp_ieee_underflow 0
		.amdhsa_exception_fp_ieee_inexact 0
		.amdhsa_exception_int_div_zero 0
	.end_amdhsa_kernel
	.section	.text._ZN7rocprim17ROCPRIM_400000_NS6detail17trampoline_kernelINS0_14default_configENS1_20scan_config_selectorIsEEZZNS1_9scan_implILNS1_25lookback_scan_determinismE0ELb0ELb0ES3_N6thrust23THRUST_200600_302600_NS6detail15normal_iteratorINS9_10device_ptrIsEEEENS9_16discard_iteratorINS9_11use_defaultEEEsNS9_4plusIvEEsEEDaPvRmT3_T4_T5_mT6_P12ihipStream_tbENKUlT_T0_E_clISt17integral_constantIbLb1EESX_EEDaSS_ST_EUlSS_E_NS1_11comp_targetILNS1_3genE2ELNS1_11target_archE906ELNS1_3gpuE6ELNS1_3repE0EEENS1_30default_config_static_selectorELNS0_4arch9wavefront6targetE1EEEvT1_,"axG",@progbits,_ZN7rocprim17ROCPRIM_400000_NS6detail17trampoline_kernelINS0_14default_configENS1_20scan_config_selectorIsEEZZNS1_9scan_implILNS1_25lookback_scan_determinismE0ELb0ELb0ES3_N6thrust23THRUST_200600_302600_NS6detail15normal_iteratorINS9_10device_ptrIsEEEENS9_16discard_iteratorINS9_11use_defaultEEEsNS9_4plusIvEEsEEDaPvRmT3_T4_T5_mT6_P12ihipStream_tbENKUlT_T0_E_clISt17integral_constantIbLb1EESX_EEDaSS_ST_EUlSS_E_NS1_11comp_targetILNS1_3genE2ELNS1_11target_archE906ELNS1_3gpuE6ELNS1_3repE0EEENS1_30default_config_static_selectorELNS0_4arch9wavefront6targetE1EEEvT1_,comdat
.Lfunc_end5892:
	.size	_ZN7rocprim17ROCPRIM_400000_NS6detail17trampoline_kernelINS0_14default_configENS1_20scan_config_selectorIsEEZZNS1_9scan_implILNS1_25lookback_scan_determinismE0ELb0ELb0ES3_N6thrust23THRUST_200600_302600_NS6detail15normal_iteratorINS9_10device_ptrIsEEEENS9_16discard_iteratorINS9_11use_defaultEEEsNS9_4plusIvEEsEEDaPvRmT3_T4_T5_mT6_P12ihipStream_tbENKUlT_T0_E_clISt17integral_constantIbLb1EESX_EEDaSS_ST_EUlSS_E_NS1_11comp_targetILNS1_3genE2ELNS1_11target_archE906ELNS1_3gpuE6ELNS1_3repE0EEENS1_30default_config_static_selectorELNS0_4arch9wavefront6targetE1EEEvT1_, .Lfunc_end5892-_ZN7rocprim17ROCPRIM_400000_NS6detail17trampoline_kernelINS0_14default_configENS1_20scan_config_selectorIsEEZZNS1_9scan_implILNS1_25lookback_scan_determinismE0ELb0ELb0ES3_N6thrust23THRUST_200600_302600_NS6detail15normal_iteratorINS9_10device_ptrIsEEEENS9_16discard_iteratorINS9_11use_defaultEEEsNS9_4plusIvEEsEEDaPvRmT3_T4_T5_mT6_P12ihipStream_tbENKUlT_T0_E_clISt17integral_constantIbLb1EESX_EEDaSS_ST_EUlSS_E_NS1_11comp_targetILNS1_3genE2ELNS1_11target_archE906ELNS1_3gpuE6ELNS1_3repE0EEENS1_30default_config_static_selectorELNS0_4arch9wavefront6targetE1EEEvT1_
                                        ; -- End function
	.section	.AMDGPU.csdata,"",@progbits
; Kernel info:
; codeLenInByte = 0
; NumSgprs: 4
; NumVgprs: 0
; NumAgprs: 0
; TotalNumVgprs: 0
; ScratchSize: 0
; MemoryBound: 0
; FloatMode: 240
; IeeeMode: 1
; LDSByteSize: 0 bytes/workgroup (compile time only)
; SGPRBlocks: 0
; VGPRBlocks: 0
; NumSGPRsForWavesPerEU: 4
; NumVGPRsForWavesPerEU: 1
; AccumOffset: 4
; Occupancy: 8
; WaveLimiterHint : 0
; COMPUTE_PGM_RSRC2:SCRATCH_EN: 0
; COMPUTE_PGM_RSRC2:USER_SGPR: 6
; COMPUTE_PGM_RSRC2:TRAP_HANDLER: 0
; COMPUTE_PGM_RSRC2:TGID_X_EN: 1
; COMPUTE_PGM_RSRC2:TGID_Y_EN: 0
; COMPUTE_PGM_RSRC2:TGID_Z_EN: 0
; COMPUTE_PGM_RSRC2:TIDIG_COMP_CNT: 0
; COMPUTE_PGM_RSRC3_GFX90A:ACCUM_OFFSET: 0
; COMPUTE_PGM_RSRC3_GFX90A:TG_SPLIT: 0
	.section	.text._ZN7rocprim17ROCPRIM_400000_NS6detail17trampoline_kernelINS0_14default_configENS1_20scan_config_selectorIsEEZZNS1_9scan_implILNS1_25lookback_scan_determinismE0ELb0ELb0ES3_N6thrust23THRUST_200600_302600_NS6detail15normal_iteratorINS9_10device_ptrIsEEEENS9_16discard_iteratorINS9_11use_defaultEEEsNS9_4plusIvEEsEEDaPvRmT3_T4_T5_mT6_P12ihipStream_tbENKUlT_T0_E_clISt17integral_constantIbLb1EESX_EEDaSS_ST_EUlSS_E_NS1_11comp_targetILNS1_3genE10ELNS1_11target_archE1201ELNS1_3gpuE5ELNS1_3repE0EEENS1_30default_config_static_selectorELNS0_4arch9wavefront6targetE1EEEvT1_,"axG",@progbits,_ZN7rocprim17ROCPRIM_400000_NS6detail17trampoline_kernelINS0_14default_configENS1_20scan_config_selectorIsEEZZNS1_9scan_implILNS1_25lookback_scan_determinismE0ELb0ELb0ES3_N6thrust23THRUST_200600_302600_NS6detail15normal_iteratorINS9_10device_ptrIsEEEENS9_16discard_iteratorINS9_11use_defaultEEEsNS9_4plusIvEEsEEDaPvRmT3_T4_T5_mT6_P12ihipStream_tbENKUlT_T0_E_clISt17integral_constantIbLb1EESX_EEDaSS_ST_EUlSS_E_NS1_11comp_targetILNS1_3genE10ELNS1_11target_archE1201ELNS1_3gpuE5ELNS1_3repE0EEENS1_30default_config_static_selectorELNS0_4arch9wavefront6targetE1EEEvT1_,comdat
	.protected	_ZN7rocprim17ROCPRIM_400000_NS6detail17trampoline_kernelINS0_14default_configENS1_20scan_config_selectorIsEEZZNS1_9scan_implILNS1_25lookback_scan_determinismE0ELb0ELb0ES3_N6thrust23THRUST_200600_302600_NS6detail15normal_iteratorINS9_10device_ptrIsEEEENS9_16discard_iteratorINS9_11use_defaultEEEsNS9_4plusIvEEsEEDaPvRmT3_T4_T5_mT6_P12ihipStream_tbENKUlT_T0_E_clISt17integral_constantIbLb1EESX_EEDaSS_ST_EUlSS_E_NS1_11comp_targetILNS1_3genE10ELNS1_11target_archE1201ELNS1_3gpuE5ELNS1_3repE0EEENS1_30default_config_static_selectorELNS0_4arch9wavefront6targetE1EEEvT1_ ; -- Begin function _ZN7rocprim17ROCPRIM_400000_NS6detail17trampoline_kernelINS0_14default_configENS1_20scan_config_selectorIsEEZZNS1_9scan_implILNS1_25lookback_scan_determinismE0ELb0ELb0ES3_N6thrust23THRUST_200600_302600_NS6detail15normal_iteratorINS9_10device_ptrIsEEEENS9_16discard_iteratorINS9_11use_defaultEEEsNS9_4plusIvEEsEEDaPvRmT3_T4_T5_mT6_P12ihipStream_tbENKUlT_T0_E_clISt17integral_constantIbLb1EESX_EEDaSS_ST_EUlSS_E_NS1_11comp_targetILNS1_3genE10ELNS1_11target_archE1201ELNS1_3gpuE5ELNS1_3repE0EEENS1_30default_config_static_selectorELNS0_4arch9wavefront6targetE1EEEvT1_
	.globl	_ZN7rocprim17ROCPRIM_400000_NS6detail17trampoline_kernelINS0_14default_configENS1_20scan_config_selectorIsEEZZNS1_9scan_implILNS1_25lookback_scan_determinismE0ELb0ELb0ES3_N6thrust23THRUST_200600_302600_NS6detail15normal_iteratorINS9_10device_ptrIsEEEENS9_16discard_iteratorINS9_11use_defaultEEEsNS9_4plusIvEEsEEDaPvRmT3_T4_T5_mT6_P12ihipStream_tbENKUlT_T0_E_clISt17integral_constantIbLb1EESX_EEDaSS_ST_EUlSS_E_NS1_11comp_targetILNS1_3genE10ELNS1_11target_archE1201ELNS1_3gpuE5ELNS1_3repE0EEENS1_30default_config_static_selectorELNS0_4arch9wavefront6targetE1EEEvT1_
	.p2align	8
	.type	_ZN7rocprim17ROCPRIM_400000_NS6detail17trampoline_kernelINS0_14default_configENS1_20scan_config_selectorIsEEZZNS1_9scan_implILNS1_25lookback_scan_determinismE0ELb0ELb0ES3_N6thrust23THRUST_200600_302600_NS6detail15normal_iteratorINS9_10device_ptrIsEEEENS9_16discard_iteratorINS9_11use_defaultEEEsNS9_4plusIvEEsEEDaPvRmT3_T4_T5_mT6_P12ihipStream_tbENKUlT_T0_E_clISt17integral_constantIbLb1EESX_EEDaSS_ST_EUlSS_E_NS1_11comp_targetILNS1_3genE10ELNS1_11target_archE1201ELNS1_3gpuE5ELNS1_3repE0EEENS1_30default_config_static_selectorELNS0_4arch9wavefront6targetE1EEEvT1_,@function
_ZN7rocprim17ROCPRIM_400000_NS6detail17trampoline_kernelINS0_14default_configENS1_20scan_config_selectorIsEEZZNS1_9scan_implILNS1_25lookback_scan_determinismE0ELb0ELb0ES3_N6thrust23THRUST_200600_302600_NS6detail15normal_iteratorINS9_10device_ptrIsEEEENS9_16discard_iteratorINS9_11use_defaultEEEsNS9_4plusIvEEsEEDaPvRmT3_T4_T5_mT6_P12ihipStream_tbENKUlT_T0_E_clISt17integral_constantIbLb1EESX_EEDaSS_ST_EUlSS_E_NS1_11comp_targetILNS1_3genE10ELNS1_11target_archE1201ELNS1_3gpuE5ELNS1_3repE0EEENS1_30default_config_static_selectorELNS0_4arch9wavefront6targetE1EEEvT1_: ; @_ZN7rocprim17ROCPRIM_400000_NS6detail17trampoline_kernelINS0_14default_configENS1_20scan_config_selectorIsEEZZNS1_9scan_implILNS1_25lookback_scan_determinismE0ELb0ELb0ES3_N6thrust23THRUST_200600_302600_NS6detail15normal_iteratorINS9_10device_ptrIsEEEENS9_16discard_iteratorINS9_11use_defaultEEEsNS9_4plusIvEEsEEDaPvRmT3_T4_T5_mT6_P12ihipStream_tbENKUlT_T0_E_clISt17integral_constantIbLb1EESX_EEDaSS_ST_EUlSS_E_NS1_11comp_targetILNS1_3genE10ELNS1_11target_archE1201ELNS1_3gpuE5ELNS1_3repE0EEENS1_30default_config_static_selectorELNS0_4arch9wavefront6targetE1EEEvT1_
; %bb.0:
	.section	.rodata,"a",@progbits
	.p2align	6, 0x0
	.amdhsa_kernel _ZN7rocprim17ROCPRIM_400000_NS6detail17trampoline_kernelINS0_14default_configENS1_20scan_config_selectorIsEEZZNS1_9scan_implILNS1_25lookback_scan_determinismE0ELb0ELb0ES3_N6thrust23THRUST_200600_302600_NS6detail15normal_iteratorINS9_10device_ptrIsEEEENS9_16discard_iteratorINS9_11use_defaultEEEsNS9_4plusIvEEsEEDaPvRmT3_T4_T5_mT6_P12ihipStream_tbENKUlT_T0_E_clISt17integral_constantIbLb1EESX_EEDaSS_ST_EUlSS_E_NS1_11comp_targetILNS1_3genE10ELNS1_11target_archE1201ELNS1_3gpuE5ELNS1_3repE0EEENS1_30default_config_static_selectorELNS0_4arch9wavefront6targetE1EEEvT1_
		.amdhsa_group_segment_fixed_size 0
		.amdhsa_private_segment_fixed_size 0
		.amdhsa_kernarg_size 104
		.amdhsa_user_sgpr_count 6
		.amdhsa_user_sgpr_private_segment_buffer 1
		.amdhsa_user_sgpr_dispatch_ptr 0
		.amdhsa_user_sgpr_queue_ptr 0
		.amdhsa_user_sgpr_kernarg_segment_ptr 1
		.amdhsa_user_sgpr_dispatch_id 0
		.amdhsa_user_sgpr_flat_scratch_init 0
		.amdhsa_user_sgpr_kernarg_preload_length 0
		.amdhsa_user_sgpr_kernarg_preload_offset 0
		.amdhsa_user_sgpr_private_segment_size 0
		.amdhsa_uses_dynamic_stack 0
		.amdhsa_system_sgpr_private_segment_wavefront_offset 0
		.amdhsa_system_sgpr_workgroup_id_x 1
		.amdhsa_system_sgpr_workgroup_id_y 0
		.amdhsa_system_sgpr_workgroup_id_z 0
		.amdhsa_system_sgpr_workgroup_info 0
		.amdhsa_system_vgpr_workitem_id 0
		.amdhsa_next_free_vgpr 1
		.amdhsa_next_free_sgpr 0
		.amdhsa_accum_offset 4
		.amdhsa_reserve_vcc 0
		.amdhsa_reserve_flat_scratch 0
		.amdhsa_float_round_mode_32 0
		.amdhsa_float_round_mode_16_64 0
		.amdhsa_float_denorm_mode_32 3
		.amdhsa_float_denorm_mode_16_64 3
		.amdhsa_dx10_clamp 1
		.amdhsa_ieee_mode 1
		.amdhsa_fp16_overflow 0
		.amdhsa_tg_split 0
		.amdhsa_exception_fp_ieee_invalid_op 0
		.amdhsa_exception_fp_denorm_src 0
		.amdhsa_exception_fp_ieee_div_zero 0
		.amdhsa_exception_fp_ieee_overflow 0
		.amdhsa_exception_fp_ieee_underflow 0
		.amdhsa_exception_fp_ieee_inexact 0
		.amdhsa_exception_int_div_zero 0
	.end_amdhsa_kernel
	.section	.text._ZN7rocprim17ROCPRIM_400000_NS6detail17trampoline_kernelINS0_14default_configENS1_20scan_config_selectorIsEEZZNS1_9scan_implILNS1_25lookback_scan_determinismE0ELb0ELb0ES3_N6thrust23THRUST_200600_302600_NS6detail15normal_iteratorINS9_10device_ptrIsEEEENS9_16discard_iteratorINS9_11use_defaultEEEsNS9_4plusIvEEsEEDaPvRmT3_T4_T5_mT6_P12ihipStream_tbENKUlT_T0_E_clISt17integral_constantIbLb1EESX_EEDaSS_ST_EUlSS_E_NS1_11comp_targetILNS1_3genE10ELNS1_11target_archE1201ELNS1_3gpuE5ELNS1_3repE0EEENS1_30default_config_static_selectorELNS0_4arch9wavefront6targetE1EEEvT1_,"axG",@progbits,_ZN7rocprim17ROCPRIM_400000_NS6detail17trampoline_kernelINS0_14default_configENS1_20scan_config_selectorIsEEZZNS1_9scan_implILNS1_25lookback_scan_determinismE0ELb0ELb0ES3_N6thrust23THRUST_200600_302600_NS6detail15normal_iteratorINS9_10device_ptrIsEEEENS9_16discard_iteratorINS9_11use_defaultEEEsNS9_4plusIvEEsEEDaPvRmT3_T4_T5_mT6_P12ihipStream_tbENKUlT_T0_E_clISt17integral_constantIbLb1EESX_EEDaSS_ST_EUlSS_E_NS1_11comp_targetILNS1_3genE10ELNS1_11target_archE1201ELNS1_3gpuE5ELNS1_3repE0EEENS1_30default_config_static_selectorELNS0_4arch9wavefront6targetE1EEEvT1_,comdat
.Lfunc_end5893:
	.size	_ZN7rocprim17ROCPRIM_400000_NS6detail17trampoline_kernelINS0_14default_configENS1_20scan_config_selectorIsEEZZNS1_9scan_implILNS1_25lookback_scan_determinismE0ELb0ELb0ES3_N6thrust23THRUST_200600_302600_NS6detail15normal_iteratorINS9_10device_ptrIsEEEENS9_16discard_iteratorINS9_11use_defaultEEEsNS9_4plusIvEEsEEDaPvRmT3_T4_T5_mT6_P12ihipStream_tbENKUlT_T0_E_clISt17integral_constantIbLb1EESX_EEDaSS_ST_EUlSS_E_NS1_11comp_targetILNS1_3genE10ELNS1_11target_archE1201ELNS1_3gpuE5ELNS1_3repE0EEENS1_30default_config_static_selectorELNS0_4arch9wavefront6targetE1EEEvT1_, .Lfunc_end5893-_ZN7rocprim17ROCPRIM_400000_NS6detail17trampoline_kernelINS0_14default_configENS1_20scan_config_selectorIsEEZZNS1_9scan_implILNS1_25lookback_scan_determinismE0ELb0ELb0ES3_N6thrust23THRUST_200600_302600_NS6detail15normal_iteratorINS9_10device_ptrIsEEEENS9_16discard_iteratorINS9_11use_defaultEEEsNS9_4plusIvEEsEEDaPvRmT3_T4_T5_mT6_P12ihipStream_tbENKUlT_T0_E_clISt17integral_constantIbLb1EESX_EEDaSS_ST_EUlSS_E_NS1_11comp_targetILNS1_3genE10ELNS1_11target_archE1201ELNS1_3gpuE5ELNS1_3repE0EEENS1_30default_config_static_selectorELNS0_4arch9wavefront6targetE1EEEvT1_
                                        ; -- End function
	.section	.AMDGPU.csdata,"",@progbits
; Kernel info:
; codeLenInByte = 0
; NumSgprs: 4
; NumVgprs: 0
; NumAgprs: 0
; TotalNumVgprs: 0
; ScratchSize: 0
; MemoryBound: 0
; FloatMode: 240
; IeeeMode: 1
; LDSByteSize: 0 bytes/workgroup (compile time only)
; SGPRBlocks: 0
; VGPRBlocks: 0
; NumSGPRsForWavesPerEU: 4
; NumVGPRsForWavesPerEU: 1
; AccumOffset: 4
; Occupancy: 8
; WaveLimiterHint : 0
; COMPUTE_PGM_RSRC2:SCRATCH_EN: 0
; COMPUTE_PGM_RSRC2:USER_SGPR: 6
; COMPUTE_PGM_RSRC2:TRAP_HANDLER: 0
; COMPUTE_PGM_RSRC2:TGID_X_EN: 1
; COMPUTE_PGM_RSRC2:TGID_Y_EN: 0
; COMPUTE_PGM_RSRC2:TGID_Z_EN: 0
; COMPUTE_PGM_RSRC2:TIDIG_COMP_CNT: 0
; COMPUTE_PGM_RSRC3_GFX90A:ACCUM_OFFSET: 0
; COMPUTE_PGM_RSRC3_GFX90A:TG_SPLIT: 0
	.section	.text._ZN7rocprim17ROCPRIM_400000_NS6detail17trampoline_kernelINS0_14default_configENS1_20scan_config_selectorIsEEZZNS1_9scan_implILNS1_25lookback_scan_determinismE0ELb0ELb0ES3_N6thrust23THRUST_200600_302600_NS6detail15normal_iteratorINS9_10device_ptrIsEEEENS9_16discard_iteratorINS9_11use_defaultEEEsNS9_4plusIvEEsEEDaPvRmT3_T4_T5_mT6_P12ihipStream_tbENKUlT_T0_E_clISt17integral_constantIbLb1EESX_EEDaSS_ST_EUlSS_E_NS1_11comp_targetILNS1_3genE10ELNS1_11target_archE1200ELNS1_3gpuE4ELNS1_3repE0EEENS1_30default_config_static_selectorELNS0_4arch9wavefront6targetE1EEEvT1_,"axG",@progbits,_ZN7rocprim17ROCPRIM_400000_NS6detail17trampoline_kernelINS0_14default_configENS1_20scan_config_selectorIsEEZZNS1_9scan_implILNS1_25lookback_scan_determinismE0ELb0ELb0ES3_N6thrust23THRUST_200600_302600_NS6detail15normal_iteratorINS9_10device_ptrIsEEEENS9_16discard_iteratorINS9_11use_defaultEEEsNS9_4plusIvEEsEEDaPvRmT3_T4_T5_mT6_P12ihipStream_tbENKUlT_T0_E_clISt17integral_constantIbLb1EESX_EEDaSS_ST_EUlSS_E_NS1_11comp_targetILNS1_3genE10ELNS1_11target_archE1200ELNS1_3gpuE4ELNS1_3repE0EEENS1_30default_config_static_selectorELNS0_4arch9wavefront6targetE1EEEvT1_,comdat
	.protected	_ZN7rocprim17ROCPRIM_400000_NS6detail17trampoline_kernelINS0_14default_configENS1_20scan_config_selectorIsEEZZNS1_9scan_implILNS1_25lookback_scan_determinismE0ELb0ELb0ES3_N6thrust23THRUST_200600_302600_NS6detail15normal_iteratorINS9_10device_ptrIsEEEENS9_16discard_iteratorINS9_11use_defaultEEEsNS9_4plusIvEEsEEDaPvRmT3_T4_T5_mT6_P12ihipStream_tbENKUlT_T0_E_clISt17integral_constantIbLb1EESX_EEDaSS_ST_EUlSS_E_NS1_11comp_targetILNS1_3genE10ELNS1_11target_archE1200ELNS1_3gpuE4ELNS1_3repE0EEENS1_30default_config_static_selectorELNS0_4arch9wavefront6targetE1EEEvT1_ ; -- Begin function _ZN7rocprim17ROCPRIM_400000_NS6detail17trampoline_kernelINS0_14default_configENS1_20scan_config_selectorIsEEZZNS1_9scan_implILNS1_25lookback_scan_determinismE0ELb0ELb0ES3_N6thrust23THRUST_200600_302600_NS6detail15normal_iteratorINS9_10device_ptrIsEEEENS9_16discard_iteratorINS9_11use_defaultEEEsNS9_4plusIvEEsEEDaPvRmT3_T4_T5_mT6_P12ihipStream_tbENKUlT_T0_E_clISt17integral_constantIbLb1EESX_EEDaSS_ST_EUlSS_E_NS1_11comp_targetILNS1_3genE10ELNS1_11target_archE1200ELNS1_3gpuE4ELNS1_3repE0EEENS1_30default_config_static_selectorELNS0_4arch9wavefront6targetE1EEEvT1_
	.globl	_ZN7rocprim17ROCPRIM_400000_NS6detail17trampoline_kernelINS0_14default_configENS1_20scan_config_selectorIsEEZZNS1_9scan_implILNS1_25lookback_scan_determinismE0ELb0ELb0ES3_N6thrust23THRUST_200600_302600_NS6detail15normal_iteratorINS9_10device_ptrIsEEEENS9_16discard_iteratorINS9_11use_defaultEEEsNS9_4plusIvEEsEEDaPvRmT3_T4_T5_mT6_P12ihipStream_tbENKUlT_T0_E_clISt17integral_constantIbLb1EESX_EEDaSS_ST_EUlSS_E_NS1_11comp_targetILNS1_3genE10ELNS1_11target_archE1200ELNS1_3gpuE4ELNS1_3repE0EEENS1_30default_config_static_selectorELNS0_4arch9wavefront6targetE1EEEvT1_
	.p2align	8
	.type	_ZN7rocprim17ROCPRIM_400000_NS6detail17trampoline_kernelINS0_14default_configENS1_20scan_config_selectorIsEEZZNS1_9scan_implILNS1_25lookback_scan_determinismE0ELb0ELb0ES3_N6thrust23THRUST_200600_302600_NS6detail15normal_iteratorINS9_10device_ptrIsEEEENS9_16discard_iteratorINS9_11use_defaultEEEsNS9_4plusIvEEsEEDaPvRmT3_T4_T5_mT6_P12ihipStream_tbENKUlT_T0_E_clISt17integral_constantIbLb1EESX_EEDaSS_ST_EUlSS_E_NS1_11comp_targetILNS1_3genE10ELNS1_11target_archE1200ELNS1_3gpuE4ELNS1_3repE0EEENS1_30default_config_static_selectorELNS0_4arch9wavefront6targetE1EEEvT1_,@function
_ZN7rocprim17ROCPRIM_400000_NS6detail17trampoline_kernelINS0_14default_configENS1_20scan_config_selectorIsEEZZNS1_9scan_implILNS1_25lookback_scan_determinismE0ELb0ELb0ES3_N6thrust23THRUST_200600_302600_NS6detail15normal_iteratorINS9_10device_ptrIsEEEENS9_16discard_iteratorINS9_11use_defaultEEEsNS9_4plusIvEEsEEDaPvRmT3_T4_T5_mT6_P12ihipStream_tbENKUlT_T0_E_clISt17integral_constantIbLb1EESX_EEDaSS_ST_EUlSS_E_NS1_11comp_targetILNS1_3genE10ELNS1_11target_archE1200ELNS1_3gpuE4ELNS1_3repE0EEENS1_30default_config_static_selectorELNS0_4arch9wavefront6targetE1EEEvT1_: ; @_ZN7rocprim17ROCPRIM_400000_NS6detail17trampoline_kernelINS0_14default_configENS1_20scan_config_selectorIsEEZZNS1_9scan_implILNS1_25lookback_scan_determinismE0ELb0ELb0ES3_N6thrust23THRUST_200600_302600_NS6detail15normal_iteratorINS9_10device_ptrIsEEEENS9_16discard_iteratorINS9_11use_defaultEEEsNS9_4plusIvEEsEEDaPvRmT3_T4_T5_mT6_P12ihipStream_tbENKUlT_T0_E_clISt17integral_constantIbLb1EESX_EEDaSS_ST_EUlSS_E_NS1_11comp_targetILNS1_3genE10ELNS1_11target_archE1200ELNS1_3gpuE4ELNS1_3repE0EEENS1_30default_config_static_selectorELNS0_4arch9wavefront6targetE1EEEvT1_
; %bb.0:
	.section	.rodata,"a",@progbits
	.p2align	6, 0x0
	.amdhsa_kernel _ZN7rocprim17ROCPRIM_400000_NS6detail17trampoline_kernelINS0_14default_configENS1_20scan_config_selectorIsEEZZNS1_9scan_implILNS1_25lookback_scan_determinismE0ELb0ELb0ES3_N6thrust23THRUST_200600_302600_NS6detail15normal_iteratorINS9_10device_ptrIsEEEENS9_16discard_iteratorINS9_11use_defaultEEEsNS9_4plusIvEEsEEDaPvRmT3_T4_T5_mT6_P12ihipStream_tbENKUlT_T0_E_clISt17integral_constantIbLb1EESX_EEDaSS_ST_EUlSS_E_NS1_11comp_targetILNS1_3genE10ELNS1_11target_archE1200ELNS1_3gpuE4ELNS1_3repE0EEENS1_30default_config_static_selectorELNS0_4arch9wavefront6targetE1EEEvT1_
		.amdhsa_group_segment_fixed_size 0
		.amdhsa_private_segment_fixed_size 0
		.amdhsa_kernarg_size 104
		.amdhsa_user_sgpr_count 6
		.amdhsa_user_sgpr_private_segment_buffer 1
		.amdhsa_user_sgpr_dispatch_ptr 0
		.amdhsa_user_sgpr_queue_ptr 0
		.amdhsa_user_sgpr_kernarg_segment_ptr 1
		.amdhsa_user_sgpr_dispatch_id 0
		.amdhsa_user_sgpr_flat_scratch_init 0
		.amdhsa_user_sgpr_kernarg_preload_length 0
		.amdhsa_user_sgpr_kernarg_preload_offset 0
		.amdhsa_user_sgpr_private_segment_size 0
		.amdhsa_uses_dynamic_stack 0
		.amdhsa_system_sgpr_private_segment_wavefront_offset 0
		.amdhsa_system_sgpr_workgroup_id_x 1
		.amdhsa_system_sgpr_workgroup_id_y 0
		.amdhsa_system_sgpr_workgroup_id_z 0
		.amdhsa_system_sgpr_workgroup_info 0
		.amdhsa_system_vgpr_workitem_id 0
		.amdhsa_next_free_vgpr 1
		.amdhsa_next_free_sgpr 0
		.amdhsa_accum_offset 4
		.amdhsa_reserve_vcc 0
		.amdhsa_reserve_flat_scratch 0
		.amdhsa_float_round_mode_32 0
		.amdhsa_float_round_mode_16_64 0
		.amdhsa_float_denorm_mode_32 3
		.amdhsa_float_denorm_mode_16_64 3
		.amdhsa_dx10_clamp 1
		.amdhsa_ieee_mode 1
		.amdhsa_fp16_overflow 0
		.amdhsa_tg_split 0
		.amdhsa_exception_fp_ieee_invalid_op 0
		.amdhsa_exception_fp_denorm_src 0
		.amdhsa_exception_fp_ieee_div_zero 0
		.amdhsa_exception_fp_ieee_overflow 0
		.amdhsa_exception_fp_ieee_underflow 0
		.amdhsa_exception_fp_ieee_inexact 0
		.amdhsa_exception_int_div_zero 0
	.end_amdhsa_kernel
	.section	.text._ZN7rocprim17ROCPRIM_400000_NS6detail17trampoline_kernelINS0_14default_configENS1_20scan_config_selectorIsEEZZNS1_9scan_implILNS1_25lookback_scan_determinismE0ELb0ELb0ES3_N6thrust23THRUST_200600_302600_NS6detail15normal_iteratorINS9_10device_ptrIsEEEENS9_16discard_iteratorINS9_11use_defaultEEEsNS9_4plusIvEEsEEDaPvRmT3_T4_T5_mT6_P12ihipStream_tbENKUlT_T0_E_clISt17integral_constantIbLb1EESX_EEDaSS_ST_EUlSS_E_NS1_11comp_targetILNS1_3genE10ELNS1_11target_archE1200ELNS1_3gpuE4ELNS1_3repE0EEENS1_30default_config_static_selectorELNS0_4arch9wavefront6targetE1EEEvT1_,"axG",@progbits,_ZN7rocprim17ROCPRIM_400000_NS6detail17trampoline_kernelINS0_14default_configENS1_20scan_config_selectorIsEEZZNS1_9scan_implILNS1_25lookback_scan_determinismE0ELb0ELb0ES3_N6thrust23THRUST_200600_302600_NS6detail15normal_iteratorINS9_10device_ptrIsEEEENS9_16discard_iteratorINS9_11use_defaultEEEsNS9_4plusIvEEsEEDaPvRmT3_T4_T5_mT6_P12ihipStream_tbENKUlT_T0_E_clISt17integral_constantIbLb1EESX_EEDaSS_ST_EUlSS_E_NS1_11comp_targetILNS1_3genE10ELNS1_11target_archE1200ELNS1_3gpuE4ELNS1_3repE0EEENS1_30default_config_static_selectorELNS0_4arch9wavefront6targetE1EEEvT1_,comdat
.Lfunc_end5894:
	.size	_ZN7rocprim17ROCPRIM_400000_NS6detail17trampoline_kernelINS0_14default_configENS1_20scan_config_selectorIsEEZZNS1_9scan_implILNS1_25lookback_scan_determinismE0ELb0ELb0ES3_N6thrust23THRUST_200600_302600_NS6detail15normal_iteratorINS9_10device_ptrIsEEEENS9_16discard_iteratorINS9_11use_defaultEEEsNS9_4plusIvEEsEEDaPvRmT3_T4_T5_mT6_P12ihipStream_tbENKUlT_T0_E_clISt17integral_constantIbLb1EESX_EEDaSS_ST_EUlSS_E_NS1_11comp_targetILNS1_3genE10ELNS1_11target_archE1200ELNS1_3gpuE4ELNS1_3repE0EEENS1_30default_config_static_selectorELNS0_4arch9wavefront6targetE1EEEvT1_, .Lfunc_end5894-_ZN7rocprim17ROCPRIM_400000_NS6detail17trampoline_kernelINS0_14default_configENS1_20scan_config_selectorIsEEZZNS1_9scan_implILNS1_25lookback_scan_determinismE0ELb0ELb0ES3_N6thrust23THRUST_200600_302600_NS6detail15normal_iteratorINS9_10device_ptrIsEEEENS9_16discard_iteratorINS9_11use_defaultEEEsNS9_4plusIvEEsEEDaPvRmT3_T4_T5_mT6_P12ihipStream_tbENKUlT_T0_E_clISt17integral_constantIbLb1EESX_EEDaSS_ST_EUlSS_E_NS1_11comp_targetILNS1_3genE10ELNS1_11target_archE1200ELNS1_3gpuE4ELNS1_3repE0EEENS1_30default_config_static_selectorELNS0_4arch9wavefront6targetE1EEEvT1_
                                        ; -- End function
	.section	.AMDGPU.csdata,"",@progbits
; Kernel info:
; codeLenInByte = 0
; NumSgprs: 4
; NumVgprs: 0
; NumAgprs: 0
; TotalNumVgprs: 0
; ScratchSize: 0
; MemoryBound: 0
; FloatMode: 240
; IeeeMode: 1
; LDSByteSize: 0 bytes/workgroup (compile time only)
; SGPRBlocks: 0
; VGPRBlocks: 0
; NumSGPRsForWavesPerEU: 4
; NumVGPRsForWavesPerEU: 1
; AccumOffset: 4
; Occupancy: 8
; WaveLimiterHint : 0
; COMPUTE_PGM_RSRC2:SCRATCH_EN: 0
; COMPUTE_PGM_RSRC2:USER_SGPR: 6
; COMPUTE_PGM_RSRC2:TRAP_HANDLER: 0
; COMPUTE_PGM_RSRC2:TGID_X_EN: 1
; COMPUTE_PGM_RSRC2:TGID_Y_EN: 0
; COMPUTE_PGM_RSRC2:TGID_Z_EN: 0
; COMPUTE_PGM_RSRC2:TIDIG_COMP_CNT: 0
; COMPUTE_PGM_RSRC3_GFX90A:ACCUM_OFFSET: 0
; COMPUTE_PGM_RSRC3_GFX90A:TG_SPLIT: 0
	.section	.text._ZN7rocprim17ROCPRIM_400000_NS6detail17trampoline_kernelINS0_14default_configENS1_20scan_config_selectorIsEEZZNS1_9scan_implILNS1_25lookback_scan_determinismE0ELb0ELb0ES3_N6thrust23THRUST_200600_302600_NS6detail15normal_iteratorINS9_10device_ptrIsEEEENS9_16discard_iteratorINS9_11use_defaultEEEsNS9_4plusIvEEsEEDaPvRmT3_T4_T5_mT6_P12ihipStream_tbENKUlT_T0_E_clISt17integral_constantIbLb1EESX_EEDaSS_ST_EUlSS_E_NS1_11comp_targetILNS1_3genE9ELNS1_11target_archE1100ELNS1_3gpuE3ELNS1_3repE0EEENS1_30default_config_static_selectorELNS0_4arch9wavefront6targetE1EEEvT1_,"axG",@progbits,_ZN7rocprim17ROCPRIM_400000_NS6detail17trampoline_kernelINS0_14default_configENS1_20scan_config_selectorIsEEZZNS1_9scan_implILNS1_25lookback_scan_determinismE0ELb0ELb0ES3_N6thrust23THRUST_200600_302600_NS6detail15normal_iteratorINS9_10device_ptrIsEEEENS9_16discard_iteratorINS9_11use_defaultEEEsNS9_4plusIvEEsEEDaPvRmT3_T4_T5_mT6_P12ihipStream_tbENKUlT_T0_E_clISt17integral_constantIbLb1EESX_EEDaSS_ST_EUlSS_E_NS1_11comp_targetILNS1_3genE9ELNS1_11target_archE1100ELNS1_3gpuE3ELNS1_3repE0EEENS1_30default_config_static_selectorELNS0_4arch9wavefront6targetE1EEEvT1_,comdat
	.protected	_ZN7rocprim17ROCPRIM_400000_NS6detail17trampoline_kernelINS0_14default_configENS1_20scan_config_selectorIsEEZZNS1_9scan_implILNS1_25lookback_scan_determinismE0ELb0ELb0ES3_N6thrust23THRUST_200600_302600_NS6detail15normal_iteratorINS9_10device_ptrIsEEEENS9_16discard_iteratorINS9_11use_defaultEEEsNS9_4plusIvEEsEEDaPvRmT3_T4_T5_mT6_P12ihipStream_tbENKUlT_T0_E_clISt17integral_constantIbLb1EESX_EEDaSS_ST_EUlSS_E_NS1_11comp_targetILNS1_3genE9ELNS1_11target_archE1100ELNS1_3gpuE3ELNS1_3repE0EEENS1_30default_config_static_selectorELNS0_4arch9wavefront6targetE1EEEvT1_ ; -- Begin function _ZN7rocprim17ROCPRIM_400000_NS6detail17trampoline_kernelINS0_14default_configENS1_20scan_config_selectorIsEEZZNS1_9scan_implILNS1_25lookback_scan_determinismE0ELb0ELb0ES3_N6thrust23THRUST_200600_302600_NS6detail15normal_iteratorINS9_10device_ptrIsEEEENS9_16discard_iteratorINS9_11use_defaultEEEsNS9_4plusIvEEsEEDaPvRmT3_T4_T5_mT6_P12ihipStream_tbENKUlT_T0_E_clISt17integral_constantIbLb1EESX_EEDaSS_ST_EUlSS_E_NS1_11comp_targetILNS1_3genE9ELNS1_11target_archE1100ELNS1_3gpuE3ELNS1_3repE0EEENS1_30default_config_static_selectorELNS0_4arch9wavefront6targetE1EEEvT1_
	.globl	_ZN7rocprim17ROCPRIM_400000_NS6detail17trampoline_kernelINS0_14default_configENS1_20scan_config_selectorIsEEZZNS1_9scan_implILNS1_25lookback_scan_determinismE0ELb0ELb0ES3_N6thrust23THRUST_200600_302600_NS6detail15normal_iteratorINS9_10device_ptrIsEEEENS9_16discard_iteratorINS9_11use_defaultEEEsNS9_4plusIvEEsEEDaPvRmT3_T4_T5_mT6_P12ihipStream_tbENKUlT_T0_E_clISt17integral_constantIbLb1EESX_EEDaSS_ST_EUlSS_E_NS1_11comp_targetILNS1_3genE9ELNS1_11target_archE1100ELNS1_3gpuE3ELNS1_3repE0EEENS1_30default_config_static_selectorELNS0_4arch9wavefront6targetE1EEEvT1_
	.p2align	8
	.type	_ZN7rocprim17ROCPRIM_400000_NS6detail17trampoline_kernelINS0_14default_configENS1_20scan_config_selectorIsEEZZNS1_9scan_implILNS1_25lookback_scan_determinismE0ELb0ELb0ES3_N6thrust23THRUST_200600_302600_NS6detail15normal_iteratorINS9_10device_ptrIsEEEENS9_16discard_iteratorINS9_11use_defaultEEEsNS9_4plusIvEEsEEDaPvRmT3_T4_T5_mT6_P12ihipStream_tbENKUlT_T0_E_clISt17integral_constantIbLb1EESX_EEDaSS_ST_EUlSS_E_NS1_11comp_targetILNS1_3genE9ELNS1_11target_archE1100ELNS1_3gpuE3ELNS1_3repE0EEENS1_30default_config_static_selectorELNS0_4arch9wavefront6targetE1EEEvT1_,@function
_ZN7rocprim17ROCPRIM_400000_NS6detail17trampoline_kernelINS0_14default_configENS1_20scan_config_selectorIsEEZZNS1_9scan_implILNS1_25lookback_scan_determinismE0ELb0ELb0ES3_N6thrust23THRUST_200600_302600_NS6detail15normal_iteratorINS9_10device_ptrIsEEEENS9_16discard_iteratorINS9_11use_defaultEEEsNS9_4plusIvEEsEEDaPvRmT3_T4_T5_mT6_P12ihipStream_tbENKUlT_T0_E_clISt17integral_constantIbLb1EESX_EEDaSS_ST_EUlSS_E_NS1_11comp_targetILNS1_3genE9ELNS1_11target_archE1100ELNS1_3gpuE3ELNS1_3repE0EEENS1_30default_config_static_selectorELNS0_4arch9wavefront6targetE1EEEvT1_: ; @_ZN7rocprim17ROCPRIM_400000_NS6detail17trampoline_kernelINS0_14default_configENS1_20scan_config_selectorIsEEZZNS1_9scan_implILNS1_25lookback_scan_determinismE0ELb0ELb0ES3_N6thrust23THRUST_200600_302600_NS6detail15normal_iteratorINS9_10device_ptrIsEEEENS9_16discard_iteratorINS9_11use_defaultEEEsNS9_4plusIvEEsEEDaPvRmT3_T4_T5_mT6_P12ihipStream_tbENKUlT_T0_E_clISt17integral_constantIbLb1EESX_EEDaSS_ST_EUlSS_E_NS1_11comp_targetILNS1_3genE9ELNS1_11target_archE1100ELNS1_3gpuE3ELNS1_3repE0EEENS1_30default_config_static_selectorELNS0_4arch9wavefront6targetE1EEEvT1_
; %bb.0:
	.section	.rodata,"a",@progbits
	.p2align	6, 0x0
	.amdhsa_kernel _ZN7rocprim17ROCPRIM_400000_NS6detail17trampoline_kernelINS0_14default_configENS1_20scan_config_selectorIsEEZZNS1_9scan_implILNS1_25lookback_scan_determinismE0ELb0ELb0ES3_N6thrust23THRUST_200600_302600_NS6detail15normal_iteratorINS9_10device_ptrIsEEEENS9_16discard_iteratorINS9_11use_defaultEEEsNS9_4plusIvEEsEEDaPvRmT3_T4_T5_mT6_P12ihipStream_tbENKUlT_T0_E_clISt17integral_constantIbLb1EESX_EEDaSS_ST_EUlSS_E_NS1_11comp_targetILNS1_3genE9ELNS1_11target_archE1100ELNS1_3gpuE3ELNS1_3repE0EEENS1_30default_config_static_selectorELNS0_4arch9wavefront6targetE1EEEvT1_
		.amdhsa_group_segment_fixed_size 0
		.amdhsa_private_segment_fixed_size 0
		.amdhsa_kernarg_size 104
		.amdhsa_user_sgpr_count 6
		.amdhsa_user_sgpr_private_segment_buffer 1
		.amdhsa_user_sgpr_dispatch_ptr 0
		.amdhsa_user_sgpr_queue_ptr 0
		.amdhsa_user_sgpr_kernarg_segment_ptr 1
		.amdhsa_user_sgpr_dispatch_id 0
		.amdhsa_user_sgpr_flat_scratch_init 0
		.amdhsa_user_sgpr_kernarg_preload_length 0
		.amdhsa_user_sgpr_kernarg_preload_offset 0
		.amdhsa_user_sgpr_private_segment_size 0
		.amdhsa_uses_dynamic_stack 0
		.amdhsa_system_sgpr_private_segment_wavefront_offset 0
		.amdhsa_system_sgpr_workgroup_id_x 1
		.amdhsa_system_sgpr_workgroup_id_y 0
		.amdhsa_system_sgpr_workgroup_id_z 0
		.amdhsa_system_sgpr_workgroup_info 0
		.amdhsa_system_vgpr_workitem_id 0
		.amdhsa_next_free_vgpr 1
		.amdhsa_next_free_sgpr 0
		.amdhsa_accum_offset 4
		.amdhsa_reserve_vcc 0
		.amdhsa_reserve_flat_scratch 0
		.amdhsa_float_round_mode_32 0
		.amdhsa_float_round_mode_16_64 0
		.amdhsa_float_denorm_mode_32 3
		.amdhsa_float_denorm_mode_16_64 3
		.amdhsa_dx10_clamp 1
		.amdhsa_ieee_mode 1
		.amdhsa_fp16_overflow 0
		.amdhsa_tg_split 0
		.amdhsa_exception_fp_ieee_invalid_op 0
		.amdhsa_exception_fp_denorm_src 0
		.amdhsa_exception_fp_ieee_div_zero 0
		.amdhsa_exception_fp_ieee_overflow 0
		.amdhsa_exception_fp_ieee_underflow 0
		.amdhsa_exception_fp_ieee_inexact 0
		.amdhsa_exception_int_div_zero 0
	.end_amdhsa_kernel
	.section	.text._ZN7rocprim17ROCPRIM_400000_NS6detail17trampoline_kernelINS0_14default_configENS1_20scan_config_selectorIsEEZZNS1_9scan_implILNS1_25lookback_scan_determinismE0ELb0ELb0ES3_N6thrust23THRUST_200600_302600_NS6detail15normal_iteratorINS9_10device_ptrIsEEEENS9_16discard_iteratorINS9_11use_defaultEEEsNS9_4plusIvEEsEEDaPvRmT3_T4_T5_mT6_P12ihipStream_tbENKUlT_T0_E_clISt17integral_constantIbLb1EESX_EEDaSS_ST_EUlSS_E_NS1_11comp_targetILNS1_3genE9ELNS1_11target_archE1100ELNS1_3gpuE3ELNS1_3repE0EEENS1_30default_config_static_selectorELNS0_4arch9wavefront6targetE1EEEvT1_,"axG",@progbits,_ZN7rocprim17ROCPRIM_400000_NS6detail17trampoline_kernelINS0_14default_configENS1_20scan_config_selectorIsEEZZNS1_9scan_implILNS1_25lookback_scan_determinismE0ELb0ELb0ES3_N6thrust23THRUST_200600_302600_NS6detail15normal_iteratorINS9_10device_ptrIsEEEENS9_16discard_iteratorINS9_11use_defaultEEEsNS9_4plusIvEEsEEDaPvRmT3_T4_T5_mT6_P12ihipStream_tbENKUlT_T0_E_clISt17integral_constantIbLb1EESX_EEDaSS_ST_EUlSS_E_NS1_11comp_targetILNS1_3genE9ELNS1_11target_archE1100ELNS1_3gpuE3ELNS1_3repE0EEENS1_30default_config_static_selectorELNS0_4arch9wavefront6targetE1EEEvT1_,comdat
.Lfunc_end5895:
	.size	_ZN7rocprim17ROCPRIM_400000_NS6detail17trampoline_kernelINS0_14default_configENS1_20scan_config_selectorIsEEZZNS1_9scan_implILNS1_25lookback_scan_determinismE0ELb0ELb0ES3_N6thrust23THRUST_200600_302600_NS6detail15normal_iteratorINS9_10device_ptrIsEEEENS9_16discard_iteratorINS9_11use_defaultEEEsNS9_4plusIvEEsEEDaPvRmT3_T4_T5_mT6_P12ihipStream_tbENKUlT_T0_E_clISt17integral_constantIbLb1EESX_EEDaSS_ST_EUlSS_E_NS1_11comp_targetILNS1_3genE9ELNS1_11target_archE1100ELNS1_3gpuE3ELNS1_3repE0EEENS1_30default_config_static_selectorELNS0_4arch9wavefront6targetE1EEEvT1_, .Lfunc_end5895-_ZN7rocprim17ROCPRIM_400000_NS6detail17trampoline_kernelINS0_14default_configENS1_20scan_config_selectorIsEEZZNS1_9scan_implILNS1_25lookback_scan_determinismE0ELb0ELb0ES3_N6thrust23THRUST_200600_302600_NS6detail15normal_iteratorINS9_10device_ptrIsEEEENS9_16discard_iteratorINS9_11use_defaultEEEsNS9_4plusIvEEsEEDaPvRmT3_T4_T5_mT6_P12ihipStream_tbENKUlT_T0_E_clISt17integral_constantIbLb1EESX_EEDaSS_ST_EUlSS_E_NS1_11comp_targetILNS1_3genE9ELNS1_11target_archE1100ELNS1_3gpuE3ELNS1_3repE0EEENS1_30default_config_static_selectorELNS0_4arch9wavefront6targetE1EEEvT1_
                                        ; -- End function
	.section	.AMDGPU.csdata,"",@progbits
; Kernel info:
; codeLenInByte = 0
; NumSgprs: 4
; NumVgprs: 0
; NumAgprs: 0
; TotalNumVgprs: 0
; ScratchSize: 0
; MemoryBound: 0
; FloatMode: 240
; IeeeMode: 1
; LDSByteSize: 0 bytes/workgroup (compile time only)
; SGPRBlocks: 0
; VGPRBlocks: 0
; NumSGPRsForWavesPerEU: 4
; NumVGPRsForWavesPerEU: 1
; AccumOffset: 4
; Occupancy: 8
; WaveLimiterHint : 0
; COMPUTE_PGM_RSRC2:SCRATCH_EN: 0
; COMPUTE_PGM_RSRC2:USER_SGPR: 6
; COMPUTE_PGM_RSRC2:TRAP_HANDLER: 0
; COMPUTE_PGM_RSRC2:TGID_X_EN: 1
; COMPUTE_PGM_RSRC2:TGID_Y_EN: 0
; COMPUTE_PGM_RSRC2:TGID_Z_EN: 0
; COMPUTE_PGM_RSRC2:TIDIG_COMP_CNT: 0
; COMPUTE_PGM_RSRC3_GFX90A:ACCUM_OFFSET: 0
; COMPUTE_PGM_RSRC3_GFX90A:TG_SPLIT: 0
	.section	.text._ZN7rocprim17ROCPRIM_400000_NS6detail17trampoline_kernelINS0_14default_configENS1_20scan_config_selectorIsEEZZNS1_9scan_implILNS1_25lookback_scan_determinismE0ELb0ELb0ES3_N6thrust23THRUST_200600_302600_NS6detail15normal_iteratorINS9_10device_ptrIsEEEENS9_16discard_iteratorINS9_11use_defaultEEEsNS9_4plusIvEEsEEDaPvRmT3_T4_T5_mT6_P12ihipStream_tbENKUlT_T0_E_clISt17integral_constantIbLb1EESX_EEDaSS_ST_EUlSS_E_NS1_11comp_targetILNS1_3genE8ELNS1_11target_archE1030ELNS1_3gpuE2ELNS1_3repE0EEENS1_30default_config_static_selectorELNS0_4arch9wavefront6targetE1EEEvT1_,"axG",@progbits,_ZN7rocprim17ROCPRIM_400000_NS6detail17trampoline_kernelINS0_14default_configENS1_20scan_config_selectorIsEEZZNS1_9scan_implILNS1_25lookback_scan_determinismE0ELb0ELb0ES3_N6thrust23THRUST_200600_302600_NS6detail15normal_iteratorINS9_10device_ptrIsEEEENS9_16discard_iteratorINS9_11use_defaultEEEsNS9_4plusIvEEsEEDaPvRmT3_T4_T5_mT6_P12ihipStream_tbENKUlT_T0_E_clISt17integral_constantIbLb1EESX_EEDaSS_ST_EUlSS_E_NS1_11comp_targetILNS1_3genE8ELNS1_11target_archE1030ELNS1_3gpuE2ELNS1_3repE0EEENS1_30default_config_static_selectorELNS0_4arch9wavefront6targetE1EEEvT1_,comdat
	.protected	_ZN7rocprim17ROCPRIM_400000_NS6detail17trampoline_kernelINS0_14default_configENS1_20scan_config_selectorIsEEZZNS1_9scan_implILNS1_25lookback_scan_determinismE0ELb0ELb0ES3_N6thrust23THRUST_200600_302600_NS6detail15normal_iteratorINS9_10device_ptrIsEEEENS9_16discard_iteratorINS9_11use_defaultEEEsNS9_4plusIvEEsEEDaPvRmT3_T4_T5_mT6_P12ihipStream_tbENKUlT_T0_E_clISt17integral_constantIbLb1EESX_EEDaSS_ST_EUlSS_E_NS1_11comp_targetILNS1_3genE8ELNS1_11target_archE1030ELNS1_3gpuE2ELNS1_3repE0EEENS1_30default_config_static_selectorELNS0_4arch9wavefront6targetE1EEEvT1_ ; -- Begin function _ZN7rocprim17ROCPRIM_400000_NS6detail17trampoline_kernelINS0_14default_configENS1_20scan_config_selectorIsEEZZNS1_9scan_implILNS1_25lookback_scan_determinismE0ELb0ELb0ES3_N6thrust23THRUST_200600_302600_NS6detail15normal_iteratorINS9_10device_ptrIsEEEENS9_16discard_iteratorINS9_11use_defaultEEEsNS9_4plusIvEEsEEDaPvRmT3_T4_T5_mT6_P12ihipStream_tbENKUlT_T0_E_clISt17integral_constantIbLb1EESX_EEDaSS_ST_EUlSS_E_NS1_11comp_targetILNS1_3genE8ELNS1_11target_archE1030ELNS1_3gpuE2ELNS1_3repE0EEENS1_30default_config_static_selectorELNS0_4arch9wavefront6targetE1EEEvT1_
	.globl	_ZN7rocprim17ROCPRIM_400000_NS6detail17trampoline_kernelINS0_14default_configENS1_20scan_config_selectorIsEEZZNS1_9scan_implILNS1_25lookback_scan_determinismE0ELb0ELb0ES3_N6thrust23THRUST_200600_302600_NS6detail15normal_iteratorINS9_10device_ptrIsEEEENS9_16discard_iteratorINS9_11use_defaultEEEsNS9_4plusIvEEsEEDaPvRmT3_T4_T5_mT6_P12ihipStream_tbENKUlT_T0_E_clISt17integral_constantIbLb1EESX_EEDaSS_ST_EUlSS_E_NS1_11comp_targetILNS1_3genE8ELNS1_11target_archE1030ELNS1_3gpuE2ELNS1_3repE0EEENS1_30default_config_static_selectorELNS0_4arch9wavefront6targetE1EEEvT1_
	.p2align	8
	.type	_ZN7rocprim17ROCPRIM_400000_NS6detail17trampoline_kernelINS0_14default_configENS1_20scan_config_selectorIsEEZZNS1_9scan_implILNS1_25lookback_scan_determinismE0ELb0ELb0ES3_N6thrust23THRUST_200600_302600_NS6detail15normal_iteratorINS9_10device_ptrIsEEEENS9_16discard_iteratorINS9_11use_defaultEEEsNS9_4plusIvEEsEEDaPvRmT3_T4_T5_mT6_P12ihipStream_tbENKUlT_T0_E_clISt17integral_constantIbLb1EESX_EEDaSS_ST_EUlSS_E_NS1_11comp_targetILNS1_3genE8ELNS1_11target_archE1030ELNS1_3gpuE2ELNS1_3repE0EEENS1_30default_config_static_selectorELNS0_4arch9wavefront6targetE1EEEvT1_,@function
_ZN7rocprim17ROCPRIM_400000_NS6detail17trampoline_kernelINS0_14default_configENS1_20scan_config_selectorIsEEZZNS1_9scan_implILNS1_25lookback_scan_determinismE0ELb0ELb0ES3_N6thrust23THRUST_200600_302600_NS6detail15normal_iteratorINS9_10device_ptrIsEEEENS9_16discard_iteratorINS9_11use_defaultEEEsNS9_4plusIvEEsEEDaPvRmT3_T4_T5_mT6_P12ihipStream_tbENKUlT_T0_E_clISt17integral_constantIbLb1EESX_EEDaSS_ST_EUlSS_E_NS1_11comp_targetILNS1_3genE8ELNS1_11target_archE1030ELNS1_3gpuE2ELNS1_3repE0EEENS1_30default_config_static_selectorELNS0_4arch9wavefront6targetE1EEEvT1_: ; @_ZN7rocprim17ROCPRIM_400000_NS6detail17trampoline_kernelINS0_14default_configENS1_20scan_config_selectorIsEEZZNS1_9scan_implILNS1_25lookback_scan_determinismE0ELb0ELb0ES3_N6thrust23THRUST_200600_302600_NS6detail15normal_iteratorINS9_10device_ptrIsEEEENS9_16discard_iteratorINS9_11use_defaultEEEsNS9_4plusIvEEsEEDaPvRmT3_T4_T5_mT6_P12ihipStream_tbENKUlT_T0_E_clISt17integral_constantIbLb1EESX_EEDaSS_ST_EUlSS_E_NS1_11comp_targetILNS1_3genE8ELNS1_11target_archE1030ELNS1_3gpuE2ELNS1_3repE0EEENS1_30default_config_static_selectorELNS0_4arch9wavefront6targetE1EEEvT1_
; %bb.0:
	.section	.rodata,"a",@progbits
	.p2align	6, 0x0
	.amdhsa_kernel _ZN7rocprim17ROCPRIM_400000_NS6detail17trampoline_kernelINS0_14default_configENS1_20scan_config_selectorIsEEZZNS1_9scan_implILNS1_25lookback_scan_determinismE0ELb0ELb0ES3_N6thrust23THRUST_200600_302600_NS6detail15normal_iteratorINS9_10device_ptrIsEEEENS9_16discard_iteratorINS9_11use_defaultEEEsNS9_4plusIvEEsEEDaPvRmT3_T4_T5_mT6_P12ihipStream_tbENKUlT_T0_E_clISt17integral_constantIbLb1EESX_EEDaSS_ST_EUlSS_E_NS1_11comp_targetILNS1_3genE8ELNS1_11target_archE1030ELNS1_3gpuE2ELNS1_3repE0EEENS1_30default_config_static_selectorELNS0_4arch9wavefront6targetE1EEEvT1_
		.amdhsa_group_segment_fixed_size 0
		.amdhsa_private_segment_fixed_size 0
		.amdhsa_kernarg_size 104
		.amdhsa_user_sgpr_count 6
		.amdhsa_user_sgpr_private_segment_buffer 1
		.amdhsa_user_sgpr_dispatch_ptr 0
		.amdhsa_user_sgpr_queue_ptr 0
		.amdhsa_user_sgpr_kernarg_segment_ptr 1
		.amdhsa_user_sgpr_dispatch_id 0
		.amdhsa_user_sgpr_flat_scratch_init 0
		.amdhsa_user_sgpr_kernarg_preload_length 0
		.amdhsa_user_sgpr_kernarg_preload_offset 0
		.amdhsa_user_sgpr_private_segment_size 0
		.amdhsa_uses_dynamic_stack 0
		.amdhsa_system_sgpr_private_segment_wavefront_offset 0
		.amdhsa_system_sgpr_workgroup_id_x 1
		.amdhsa_system_sgpr_workgroup_id_y 0
		.amdhsa_system_sgpr_workgroup_id_z 0
		.amdhsa_system_sgpr_workgroup_info 0
		.amdhsa_system_vgpr_workitem_id 0
		.amdhsa_next_free_vgpr 1
		.amdhsa_next_free_sgpr 0
		.amdhsa_accum_offset 4
		.amdhsa_reserve_vcc 0
		.amdhsa_reserve_flat_scratch 0
		.amdhsa_float_round_mode_32 0
		.amdhsa_float_round_mode_16_64 0
		.amdhsa_float_denorm_mode_32 3
		.amdhsa_float_denorm_mode_16_64 3
		.amdhsa_dx10_clamp 1
		.amdhsa_ieee_mode 1
		.amdhsa_fp16_overflow 0
		.amdhsa_tg_split 0
		.amdhsa_exception_fp_ieee_invalid_op 0
		.amdhsa_exception_fp_denorm_src 0
		.amdhsa_exception_fp_ieee_div_zero 0
		.amdhsa_exception_fp_ieee_overflow 0
		.amdhsa_exception_fp_ieee_underflow 0
		.amdhsa_exception_fp_ieee_inexact 0
		.amdhsa_exception_int_div_zero 0
	.end_amdhsa_kernel
	.section	.text._ZN7rocprim17ROCPRIM_400000_NS6detail17trampoline_kernelINS0_14default_configENS1_20scan_config_selectorIsEEZZNS1_9scan_implILNS1_25lookback_scan_determinismE0ELb0ELb0ES3_N6thrust23THRUST_200600_302600_NS6detail15normal_iteratorINS9_10device_ptrIsEEEENS9_16discard_iteratorINS9_11use_defaultEEEsNS9_4plusIvEEsEEDaPvRmT3_T4_T5_mT6_P12ihipStream_tbENKUlT_T0_E_clISt17integral_constantIbLb1EESX_EEDaSS_ST_EUlSS_E_NS1_11comp_targetILNS1_3genE8ELNS1_11target_archE1030ELNS1_3gpuE2ELNS1_3repE0EEENS1_30default_config_static_selectorELNS0_4arch9wavefront6targetE1EEEvT1_,"axG",@progbits,_ZN7rocprim17ROCPRIM_400000_NS6detail17trampoline_kernelINS0_14default_configENS1_20scan_config_selectorIsEEZZNS1_9scan_implILNS1_25lookback_scan_determinismE0ELb0ELb0ES3_N6thrust23THRUST_200600_302600_NS6detail15normal_iteratorINS9_10device_ptrIsEEEENS9_16discard_iteratorINS9_11use_defaultEEEsNS9_4plusIvEEsEEDaPvRmT3_T4_T5_mT6_P12ihipStream_tbENKUlT_T0_E_clISt17integral_constantIbLb1EESX_EEDaSS_ST_EUlSS_E_NS1_11comp_targetILNS1_3genE8ELNS1_11target_archE1030ELNS1_3gpuE2ELNS1_3repE0EEENS1_30default_config_static_selectorELNS0_4arch9wavefront6targetE1EEEvT1_,comdat
.Lfunc_end5896:
	.size	_ZN7rocprim17ROCPRIM_400000_NS6detail17trampoline_kernelINS0_14default_configENS1_20scan_config_selectorIsEEZZNS1_9scan_implILNS1_25lookback_scan_determinismE0ELb0ELb0ES3_N6thrust23THRUST_200600_302600_NS6detail15normal_iteratorINS9_10device_ptrIsEEEENS9_16discard_iteratorINS9_11use_defaultEEEsNS9_4plusIvEEsEEDaPvRmT3_T4_T5_mT6_P12ihipStream_tbENKUlT_T0_E_clISt17integral_constantIbLb1EESX_EEDaSS_ST_EUlSS_E_NS1_11comp_targetILNS1_3genE8ELNS1_11target_archE1030ELNS1_3gpuE2ELNS1_3repE0EEENS1_30default_config_static_selectorELNS0_4arch9wavefront6targetE1EEEvT1_, .Lfunc_end5896-_ZN7rocprim17ROCPRIM_400000_NS6detail17trampoline_kernelINS0_14default_configENS1_20scan_config_selectorIsEEZZNS1_9scan_implILNS1_25lookback_scan_determinismE0ELb0ELb0ES3_N6thrust23THRUST_200600_302600_NS6detail15normal_iteratorINS9_10device_ptrIsEEEENS9_16discard_iteratorINS9_11use_defaultEEEsNS9_4plusIvEEsEEDaPvRmT3_T4_T5_mT6_P12ihipStream_tbENKUlT_T0_E_clISt17integral_constantIbLb1EESX_EEDaSS_ST_EUlSS_E_NS1_11comp_targetILNS1_3genE8ELNS1_11target_archE1030ELNS1_3gpuE2ELNS1_3repE0EEENS1_30default_config_static_selectorELNS0_4arch9wavefront6targetE1EEEvT1_
                                        ; -- End function
	.section	.AMDGPU.csdata,"",@progbits
; Kernel info:
; codeLenInByte = 0
; NumSgprs: 4
; NumVgprs: 0
; NumAgprs: 0
; TotalNumVgprs: 0
; ScratchSize: 0
; MemoryBound: 0
; FloatMode: 240
; IeeeMode: 1
; LDSByteSize: 0 bytes/workgroup (compile time only)
; SGPRBlocks: 0
; VGPRBlocks: 0
; NumSGPRsForWavesPerEU: 4
; NumVGPRsForWavesPerEU: 1
; AccumOffset: 4
; Occupancy: 8
; WaveLimiterHint : 0
; COMPUTE_PGM_RSRC2:SCRATCH_EN: 0
; COMPUTE_PGM_RSRC2:USER_SGPR: 6
; COMPUTE_PGM_RSRC2:TRAP_HANDLER: 0
; COMPUTE_PGM_RSRC2:TGID_X_EN: 1
; COMPUTE_PGM_RSRC2:TGID_Y_EN: 0
; COMPUTE_PGM_RSRC2:TGID_Z_EN: 0
; COMPUTE_PGM_RSRC2:TIDIG_COMP_CNT: 0
; COMPUTE_PGM_RSRC3_GFX90A:ACCUM_OFFSET: 0
; COMPUTE_PGM_RSRC3_GFX90A:TG_SPLIT: 0
	.section	.text._ZN7rocprim17ROCPRIM_400000_NS6detail17trampoline_kernelINS0_14default_configENS1_20scan_config_selectorIsEEZZNS1_9scan_implILNS1_25lookback_scan_determinismE0ELb0ELb0ES3_N6thrust23THRUST_200600_302600_NS6detail15normal_iteratorINS9_10device_ptrIsEEEENS9_16discard_iteratorINS9_11use_defaultEEEsNS9_4plusIvEEsEEDaPvRmT3_T4_T5_mT6_P12ihipStream_tbENKUlT_T0_E_clISt17integral_constantIbLb1EESX_EEDaSS_ST_EUlSS_E0_NS1_11comp_targetILNS1_3genE0ELNS1_11target_archE4294967295ELNS1_3gpuE0ELNS1_3repE0EEENS1_30default_config_static_selectorELNS0_4arch9wavefront6targetE1EEEvT1_,"axG",@progbits,_ZN7rocprim17ROCPRIM_400000_NS6detail17trampoline_kernelINS0_14default_configENS1_20scan_config_selectorIsEEZZNS1_9scan_implILNS1_25lookback_scan_determinismE0ELb0ELb0ES3_N6thrust23THRUST_200600_302600_NS6detail15normal_iteratorINS9_10device_ptrIsEEEENS9_16discard_iteratorINS9_11use_defaultEEEsNS9_4plusIvEEsEEDaPvRmT3_T4_T5_mT6_P12ihipStream_tbENKUlT_T0_E_clISt17integral_constantIbLb1EESX_EEDaSS_ST_EUlSS_E0_NS1_11comp_targetILNS1_3genE0ELNS1_11target_archE4294967295ELNS1_3gpuE0ELNS1_3repE0EEENS1_30default_config_static_selectorELNS0_4arch9wavefront6targetE1EEEvT1_,comdat
	.protected	_ZN7rocprim17ROCPRIM_400000_NS6detail17trampoline_kernelINS0_14default_configENS1_20scan_config_selectorIsEEZZNS1_9scan_implILNS1_25lookback_scan_determinismE0ELb0ELb0ES3_N6thrust23THRUST_200600_302600_NS6detail15normal_iteratorINS9_10device_ptrIsEEEENS9_16discard_iteratorINS9_11use_defaultEEEsNS9_4plusIvEEsEEDaPvRmT3_T4_T5_mT6_P12ihipStream_tbENKUlT_T0_E_clISt17integral_constantIbLb1EESX_EEDaSS_ST_EUlSS_E0_NS1_11comp_targetILNS1_3genE0ELNS1_11target_archE4294967295ELNS1_3gpuE0ELNS1_3repE0EEENS1_30default_config_static_selectorELNS0_4arch9wavefront6targetE1EEEvT1_ ; -- Begin function _ZN7rocprim17ROCPRIM_400000_NS6detail17trampoline_kernelINS0_14default_configENS1_20scan_config_selectorIsEEZZNS1_9scan_implILNS1_25lookback_scan_determinismE0ELb0ELb0ES3_N6thrust23THRUST_200600_302600_NS6detail15normal_iteratorINS9_10device_ptrIsEEEENS9_16discard_iteratorINS9_11use_defaultEEEsNS9_4plusIvEEsEEDaPvRmT3_T4_T5_mT6_P12ihipStream_tbENKUlT_T0_E_clISt17integral_constantIbLb1EESX_EEDaSS_ST_EUlSS_E0_NS1_11comp_targetILNS1_3genE0ELNS1_11target_archE4294967295ELNS1_3gpuE0ELNS1_3repE0EEENS1_30default_config_static_selectorELNS0_4arch9wavefront6targetE1EEEvT1_
	.globl	_ZN7rocprim17ROCPRIM_400000_NS6detail17trampoline_kernelINS0_14default_configENS1_20scan_config_selectorIsEEZZNS1_9scan_implILNS1_25lookback_scan_determinismE0ELb0ELb0ES3_N6thrust23THRUST_200600_302600_NS6detail15normal_iteratorINS9_10device_ptrIsEEEENS9_16discard_iteratorINS9_11use_defaultEEEsNS9_4plusIvEEsEEDaPvRmT3_T4_T5_mT6_P12ihipStream_tbENKUlT_T0_E_clISt17integral_constantIbLb1EESX_EEDaSS_ST_EUlSS_E0_NS1_11comp_targetILNS1_3genE0ELNS1_11target_archE4294967295ELNS1_3gpuE0ELNS1_3repE0EEENS1_30default_config_static_selectorELNS0_4arch9wavefront6targetE1EEEvT1_
	.p2align	8
	.type	_ZN7rocprim17ROCPRIM_400000_NS6detail17trampoline_kernelINS0_14default_configENS1_20scan_config_selectorIsEEZZNS1_9scan_implILNS1_25lookback_scan_determinismE0ELb0ELb0ES3_N6thrust23THRUST_200600_302600_NS6detail15normal_iteratorINS9_10device_ptrIsEEEENS9_16discard_iteratorINS9_11use_defaultEEEsNS9_4plusIvEEsEEDaPvRmT3_T4_T5_mT6_P12ihipStream_tbENKUlT_T0_E_clISt17integral_constantIbLb1EESX_EEDaSS_ST_EUlSS_E0_NS1_11comp_targetILNS1_3genE0ELNS1_11target_archE4294967295ELNS1_3gpuE0ELNS1_3repE0EEENS1_30default_config_static_selectorELNS0_4arch9wavefront6targetE1EEEvT1_,@function
_ZN7rocprim17ROCPRIM_400000_NS6detail17trampoline_kernelINS0_14default_configENS1_20scan_config_selectorIsEEZZNS1_9scan_implILNS1_25lookback_scan_determinismE0ELb0ELb0ES3_N6thrust23THRUST_200600_302600_NS6detail15normal_iteratorINS9_10device_ptrIsEEEENS9_16discard_iteratorINS9_11use_defaultEEEsNS9_4plusIvEEsEEDaPvRmT3_T4_T5_mT6_P12ihipStream_tbENKUlT_T0_E_clISt17integral_constantIbLb1EESX_EEDaSS_ST_EUlSS_E0_NS1_11comp_targetILNS1_3genE0ELNS1_11target_archE4294967295ELNS1_3gpuE0ELNS1_3repE0EEENS1_30default_config_static_selectorELNS0_4arch9wavefront6targetE1EEEvT1_: ; @_ZN7rocprim17ROCPRIM_400000_NS6detail17trampoline_kernelINS0_14default_configENS1_20scan_config_selectorIsEEZZNS1_9scan_implILNS1_25lookback_scan_determinismE0ELb0ELb0ES3_N6thrust23THRUST_200600_302600_NS6detail15normal_iteratorINS9_10device_ptrIsEEEENS9_16discard_iteratorINS9_11use_defaultEEEsNS9_4plusIvEEsEEDaPvRmT3_T4_T5_mT6_P12ihipStream_tbENKUlT_T0_E_clISt17integral_constantIbLb1EESX_EEDaSS_ST_EUlSS_E0_NS1_11comp_targetILNS1_3genE0ELNS1_11target_archE4294967295ELNS1_3gpuE0ELNS1_3repE0EEENS1_30default_config_static_selectorELNS0_4arch9wavefront6targetE1EEEvT1_
; %bb.0:
	.section	.rodata,"a",@progbits
	.p2align	6, 0x0
	.amdhsa_kernel _ZN7rocprim17ROCPRIM_400000_NS6detail17trampoline_kernelINS0_14default_configENS1_20scan_config_selectorIsEEZZNS1_9scan_implILNS1_25lookback_scan_determinismE0ELb0ELb0ES3_N6thrust23THRUST_200600_302600_NS6detail15normal_iteratorINS9_10device_ptrIsEEEENS9_16discard_iteratorINS9_11use_defaultEEEsNS9_4plusIvEEsEEDaPvRmT3_T4_T5_mT6_P12ihipStream_tbENKUlT_T0_E_clISt17integral_constantIbLb1EESX_EEDaSS_ST_EUlSS_E0_NS1_11comp_targetILNS1_3genE0ELNS1_11target_archE4294967295ELNS1_3gpuE0ELNS1_3repE0EEENS1_30default_config_static_selectorELNS0_4arch9wavefront6targetE1EEEvT1_
		.amdhsa_group_segment_fixed_size 0
		.amdhsa_private_segment_fixed_size 0
		.amdhsa_kernarg_size 40
		.amdhsa_user_sgpr_count 6
		.amdhsa_user_sgpr_private_segment_buffer 1
		.amdhsa_user_sgpr_dispatch_ptr 0
		.amdhsa_user_sgpr_queue_ptr 0
		.amdhsa_user_sgpr_kernarg_segment_ptr 1
		.amdhsa_user_sgpr_dispatch_id 0
		.amdhsa_user_sgpr_flat_scratch_init 0
		.amdhsa_user_sgpr_kernarg_preload_length 0
		.amdhsa_user_sgpr_kernarg_preload_offset 0
		.amdhsa_user_sgpr_private_segment_size 0
		.amdhsa_uses_dynamic_stack 0
		.amdhsa_system_sgpr_private_segment_wavefront_offset 0
		.amdhsa_system_sgpr_workgroup_id_x 1
		.amdhsa_system_sgpr_workgroup_id_y 0
		.amdhsa_system_sgpr_workgroup_id_z 0
		.amdhsa_system_sgpr_workgroup_info 0
		.amdhsa_system_vgpr_workitem_id 0
		.amdhsa_next_free_vgpr 1
		.amdhsa_next_free_sgpr 0
		.amdhsa_accum_offset 4
		.amdhsa_reserve_vcc 0
		.amdhsa_reserve_flat_scratch 0
		.amdhsa_float_round_mode_32 0
		.amdhsa_float_round_mode_16_64 0
		.amdhsa_float_denorm_mode_32 3
		.amdhsa_float_denorm_mode_16_64 3
		.amdhsa_dx10_clamp 1
		.amdhsa_ieee_mode 1
		.amdhsa_fp16_overflow 0
		.amdhsa_tg_split 0
		.amdhsa_exception_fp_ieee_invalid_op 0
		.amdhsa_exception_fp_denorm_src 0
		.amdhsa_exception_fp_ieee_div_zero 0
		.amdhsa_exception_fp_ieee_overflow 0
		.amdhsa_exception_fp_ieee_underflow 0
		.amdhsa_exception_fp_ieee_inexact 0
		.amdhsa_exception_int_div_zero 0
	.end_amdhsa_kernel
	.section	.text._ZN7rocprim17ROCPRIM_400000_NS6detail17trampoline_kernelINS0_14default_configENS1_20scan_config_selectorIsEEZZNS1_9scan_implILNS1_25lookback_scan_determinismE0ELb0ELb0ES3_N6thrust23THRUST_200600_302600_NS6detail15normal_iteratorINS9_10device_ptrIsEEEENS9_16discard_iteratorINS9_11use_defaultEEEsNS9_4plusIvEEsEEDaPvRmT3_T4_T5_mT6_P12ihipStream_tbENKUlT_T0_E_clISt17integral_constantIbLb1EESX_EEDaSS_ST_EUlSS_E0_NS1_11comp_targetILNS1_3genE0ELNS1_11target_archE4294967295ELNS1_3gpuE0ELNS1_3repE0EEENS1_30default_config_static_selectorELNS0_4arch9wavefront6targetE1EEEvT1_,"axG",@progbits,_ZN7rocprim17ROCPRIM_400000_NS6detail17trampoline_kernelINS0_14default_configENS1_20scan_config_selectorIsEEZZNS1_9scan_implILNS1_25lookback_scan_determinismE0ELb0ELb0ES3_N6thrust23THRUST_200600_302600_NS6detail15normal_iteratorINS9_10device_ptrIsEEEENS9_16discard_iteratorINS9_11use_defaultEEEsNS9_4plusIvEEsEEDaPvRmT3_T4_T5_mT6_P12ihipStream_tbENKUlT_T0_E_clISt17integral_constantIbLb1EESX_EEDaSS_ST_EUlSS_E0_NS1_11comp_targetILNS1_3genE0ELNS1_11target_archE4294967295ELNS1_3gpuE0ELNS1_3repE0EEENS1_30default_config_static_selectorELNS0_4arch9wavefront6targetE1EEEvT1_,comdat
.Lfunc_end5897:
	.size	_ZN7rocprim17ROCPRIM_400000_NS6detail17trampoline_kernelINS0_14default_configENS1_20scan_config_selectorIsEEZZNS1_9scan_implILNS1_25lookback_scan_determinismE0ELb0ELb0ES3_N6thrust23THRUST_200600_302600_NS6detail15normal_iteratorINS9_10device_ptrIsEEEENS9_16discard_iteratorINS9_11use_defaultEEEsNS9_4plusIvEEsEEDaPvRmT3_T4_T5_mT6_P12ihipStream_tbENKUlT_T0_E_clISt17integral_constantIbLb1EESX_EEDaSS_ST_EUlSS_E0_NS1_11comp_targetILNS1_3genE0ELNS1_11target_archE4294967295ELNS1_3gpuE0ELNS1_3repE0EEENS1_30default_config_static_selectorELNS0_4arch9wavefront6targetE1EEEvT1_, .Lfunc_end5897-_ZN7rocprim17ROCPRIM_400000_NS6detail17trampoline_kernelINS0_14default_configENS1_20scan_config_selectorIsEEZZNS1_9scan_implILNS1_25lookback_scan_determinismE0ELb0ELb0ES3_N6thrust23THRUST_200600_302600_NS6detail15normal_iteratorINS9_10device_ptrIsEEEENS9_16discard_iteratorINS9_11use_defaultEEEsNS9_4plusIvEEsEEDaPvRmT3_T4_T5_mT6_P12ihipStream_tbENKUlT_T0_E_clISt17integral_constantIbLb1EESX_EEDaSS_ST_EUlSS_E0_NS1_11comp_targetILNS1_3genE0ELNS1_11target_archE4294967295ELNS1_3gpuE0ELNS1_3repE0EEENS1_30default_config_static_selectorELNS0_4arch9wavefront6targetE1EEEvT1_
                                        ; -- End function
	.section	.AMDGPU.csdata,"",@progbits
; Kernel info:
; codeLenInByte = 0
; NumSgprs: 4
; NumVgprs: 0
; NumAgprs: 0
; TotalNumVgprs: 0
; ScratchSize: 0
; MemoryBound: 0
; FloatMode: 240
; IeeeMode: 1
; LDSByteSize: 0 bytes/workgroup (compile time only)
; SGPRBlocks: 0
; VGPRBlocks: 0
; NumSGPRsForWavesPerEU: 4
; NumVGPRsForWavesPerEU: 1
; AccumOffset: 4
; Occupancy: 8
; WaveLimiterHint : 0
; COMPUTE_PGM_RSRC2:SCRATCH_EN: 0
; COMPUTE_PGM_RSRC2:USER_SGPR: 6
; COMPUTE_PGM_RSRC2:TRAP_HANDLER: 0
; COMPUTE_PGM_RSRC2:TGID_X_EN: 1
; COMPUTE_PGM_RSRC2:TGID_Y_EN: 0
; COMPUTE_PGM_RSRC2:TGID_Z_EN: 0
; COMPUTE_PGM_RSRC2:TIDIG_COMP_CNT: 0
; COMPUTE_PGM_RSRC3_GFX90A:ACCUM_OFFSET: 0
; COMPUTE_PGM_RSRC3_GFX90A:TG_SPLIT: 0
	.section	.text._ZN7rocprim17ROCPRIM_400000_NS6detail17trampoline_kernelINS0_14default_configENS1_20scan_config_selectorIsEEZZNS1_9scan_implILNS1_25lookback_scan_determinismE0ELb0ELb0ES3_N6thrust23THRUST_200600_302600_NS6detail15normal_iteratorINS9_10device_ptrIsEEEENS9_16discard_iteratorINS9_11use_defaultEEEsNS9_4plusIvEEsEEDaPvRmT3_T4_T5_mT6_P12ihipStream_tbENKUlT_T0_E_clISt17integral_constantIbLb1EESX_EEDaSS_ST_EUlSS_E0_NS1_11comp_targetILNS1_3genE5ELNS1_11target_archE942ELNS1_3gpuE9ELNS1_3repE0EEENS1_30default_config_static_selectorELNS0_4arch9wavefront6targetE1EEEvT1_,"axG",@progbits,_ZN7rocprim17ROCPRIM_400000_NS6detail17trampoline_kernelINS0_14default_configENS1_20scan_config_selectorIsEEZZNS1_9scan_implILNS1_25lookback_scan_determinismE0ELb0ELb0ES3_N6thrust23THRUST_200600_302600_NS6detail15normal_iteratorINS9_10device_ptrIsEEEENS9_16discard_iteratorINS9_11use_defaultEEEsNS9_4plusIvEEsEEDaPvRmT3_T4_T5_mT6_P12ihipStream_tbENKUlT_T0_E_clISt17integral_constantIbLb1EESX_EEDaSS_ST_EUlSS_E0_NS1_11comp_targetILNS1_3genE5ELNS1_11target_archE942ELNS1_3gpuE9ELNS1_3repE0EEENS1_30default_config_static_selectorELNS0_4arch9wavefront6targetE1EEEvT1_,comdat
	.protected	_ZN7rocprim17ROCPRIM_400000_NS6detail17trampoline_kernelINS0_14default_configENS1_20scan_config_selectorIsEEZZNS1_9scan_implILNS1_25lookback_scan_determinismE0ELb0ELb0ES3_N6thrust23THRUST_200600_302600_NS6detail15normal_iteratorINS9_10device_ptrIsEEEENS9_16discard_iteratorINS9_11use_defaultEEEsNS9_4plusIvEEsEEDaPvRmT3_T4_T5_mT6_P12ihipStream_tbENKUlT_T0_E_clISt17integral_constantIbLb1EESX_EEDaSS_ST_EUlSS_E0_NS1_11comp_targetILNS1_3genE5ELNS1_11target_archE942ELNS1_3gpuE9ELNS1_3repE0EEENS1_30default_config_static_selectorELNS0_4arch9wavefront6targetE1EEEvT1_ ; -- Begin function _ZN7rocprim17ROCPRIM_400000_NS6detail17trampoline_kernelINS0_14default_configENS1_20scan_config_selectorIsEEZZNS1_9scan_implILNS1_25lookback_scan_determinismE0ELb0ELb0ES3_N6thrust23THRUST_200600_302600_NS6detail15normal_iteratorINS9_10device_ptrIsEEEENS9_16discard_iteratorINS9_11use_defaultEEEsNS9_4plusIvEEsEEDaPvRmT3_T4_T5_mT6_P12ihipStream_tbENKUlT_T0_E_clISt17integral_constantIbLb1EESX_EEDaSS_ST_EUlSS_E0_NS1_11comp_targetILNS1_3genE5ELNS1_11target_archE942ELNS1_3gpuE9ELNS1_3repE0EEENS1_30default_config_static_selectorELNS0_4arch9wavefront6targetE1EEEvT1_
	.globl	_ZN7rocprim17ROCPRIM_400000_NS6detail17trampoline_kernelINS0_14default_configENS1_20scan_config_selectorIsEEZZNS1_9scan_implILNS1_25lookback_scan_determinismE0ELb0ELb0ES3_N6thrust23THRUST_200600_302600_NS6detail15normal_iteratorINS9_10device_ptrIsEEEENS9_16discard_iteratorINS9_11use_defaultEEEsNS9_4plusIvEEsEEDaPvRmT3_T4_T5_mT6_P12ihipStream_tbENKUlT_T0_E_clISt17integral_constantIbLb1EESX_EEDaSS_ST_EUlSS_E0_NS1_11comp_targetILNS1_3genE5ELNS1_11target_archE942ELNS1_3gpuE9ELNS1_3repE0EEENS1_30default_config_static_selectorELNS0_4arch9wavefront6targetE1EEEvT1_
	.p2align	8
	.type	_ZN7rocprim17ROCPRIM_400000_NS6detail17trampoline_kernelINS0_14default_configENS1_20scan_config_selectorIsEEZZNS1_9scan_implILNS1_25lookback_scan_determinismE0ELb0ELb0ES3_N6thrust23THRUST_200600_302600_NS6detail15normal_iteratorINS9_10device_ptrIsEEEENS9_16discard_iteratorINS9_11use_defaultEEEsNS9_4plusIvEEsEEDaPvRmT3_T4_T5_mT6_P12ihipStream_tbENKUlT_T0_E_clISt17integral_constantIbLb1EESX_EEDaSS_ST_EUlSS_E0_NS1_11comp_targetILNS1_3genE5ELNS1_11target_archE942ELNS1_3gpuE9ELNS1_3repE0EEENS1_30default_config_static_selectorELNS0_4arch9wavefront6targetE1EEEvT1_,@function
_ZN7rocprim17ROCPRIM_400000_NS6detail17trampoline_kernelINS0_14default_configENS1_20scan_config_selectorIsEEZZNS1_9scan_implILNS1_25lookback_scan_determinismE0ELb0ELb0ES3_N6thrust23THRUST_200600_302600_NS6detail15normal_iteratorINS9_10device_ptrIsEEEENS9_16discard_iteratorINS9_11use_defaultEEEsNS9_4plusIvEEsEEDaPvRmT3_T4_T5_mT6_P12ihipStream_tbENKUlT_T0_E_clISt17integral_constantIbLb1EESX_EEDaSS_ST_EUlSS_E0_NS1_11comp_targetILNS1_3genE5ELNS1_11target_archE942ELNS1_3gpuE9ELNS1_3repE0EEENS1_30default_config_static_selectorELNS0_4arch9wavefront6targetE1EEEvT1_: ; @_ZN7rocprim17ROCPRIM_400000_NS6detail17trampoline_kernelINS0_14default_configENS1_20scan_config_selectorIsEEZZNS1_9scan_implILNS1_25lookback_scan_determinismE0ELb0ELb0ES3_N6thrust23THRUST_200600_302600_NS6detail15normal_iteratorINS9_10device_ptrIsEEEENS9_16discard_iteratorINS9_11use_defaultEEEsNS9_4plusIvEEsEEDaPvRmT3_T4_T5_mT6_P12ihipStream_tbENKUlT_T0_E_clISt17integral_constantIbLb1EESX_EEDaSS_ST_EUlSS_E0_NS1_11comp_targetILNS1_3genE5ELNS1_11target_archE942ELNS1_3gpuE9ELNS1_3repE0EEENS1_30default_config_static_selectorELNS0_4arch9wavefront6targetE1EEEvT1_
; %bb.0:
	.section	.rodata,"a",@progbits
	.p2align	6, 0x0
	.amdhsa_kernel _ZN7rocprim17ROCPRIM_400000_NS6detail17trampoline_kernelINS0_14default_configENS1_20scan_config_selectorIsEEZZNS1_9scan_implILNS1_25lookback_scan_determinismE0ELb0ELb0ES3_N6thrust23THRUST_200600_302600_NS6detail15normal_iteratorINS9_10device_ptrIsEEEENS9_16discard_iteratorINS9_11use_defaultEEEsNS9_4plusIvEEsEEDaPvRmT3_T4_T5_mT6_P12ihipStream_tbENKUlT_T0_E_clISt17integral_constantIbLb1EESX_EEDaSS_ST_EUlSS_E0_NS1_11comp_targetILNS1_3genE5ELNS1_11target_archE942ELNS1_3gpuE9ELNS1_3repE0EEENS1_30default_config_static_selectorELNS0_4arch9wavefront6targetE1EEEvT1_
		.amdhsa_group_segment_fixed_size 0
		.amdhsa_private_segment_fixed_size 0
		.amdhsa_kernarg_size 40
		.amdhsa_user_sgpr_count 6
		.amdhsa_user_sgpr_private_segment_buffer 1
		.amdhsa_user_sgpr_dispatch_ptr 0
		.amdhsa_user_sgpr_queue_ptr 0
		.amdhsa_user_sgpr_kernarg_segment_ptr 1
		.amdhsa_user_sgpr_dispatch_id 0
		.amdhsa_user_sgpr_flat_scratch_init 0
		.amdhsa_user_sgpr_kernarg_preload_length 0
		.amdhsa_user_sgpr_kernarg_preload_offset 0
		.amdhsa_user_sgpr_private_segment_size 0
		.amdhsa_uses_dynamic_stack 0
		.amdhsa_system_sgpr_private_segment_wavefront_offset 0
		.amdhsa_system_sgpr_workgroup_id_x 1
		.amdhsa_system_sgpr_workgroup_id_y 0
		.amdhsa_system_sgpr_workgroup_id_z 0
		.amdhsa_system_sgpr_workgroup_info 0
		.amdhsa_system_vgpr_workitem_id 0
		.amdhsa_next_free_vgpr 1
		.amdhsa_next_free_sgpr 0
		.amdhsa_accum_offset 4
		.amdhsa_reserve_vcc 0
		.amdhsa_reserve_flat_scratch 0
		.amdhsa_float_round_mode_32 0
		.amdhsa_float_round_mode_16_64 0
		.amdhsa_float_denorm_mode_32 3
		.amdhsa_float_denorm_mode_16_64 3
		.amdhsa_dx10_clamp 1
		.amdhsa_ieee_mode 1
		.amdhsa_fp16_overflow 0
		.amdhsa_tg_split 0
		.amdhsa_exception_fp_ieee_invalid_op 0
		.amdhsa_exception_fp_denorm_src 0
		.amdhsa_exception_fp_ieee_div_zero 0
		.amdhsa_exception_fp_ieee_overflow 0
		.amdhsa_exception_fp_ieee_underflow 0
		.amdhsa_exception_fp_ieee_inexact 0
		.amdhsa_exception_int_div_zero 0
	.end_amdhsa_kernel
	.section	.text._ZN7rocprim17ROCPRIM_400000_NS6detail17trampoline_kernelINS0_14default_configENS1_20scan_config_selectorIsEEZZNS1_9scan_implILNS1_25lookback_scan_determinismE0ELb0ELb0ES3_N6thrust23THRUST_200600_302600_NS6detail15normal_iteratorINS9_10device_ptrIsEEEENS9_16discard_iteratorINS9_11use_defaultEEEsNS9_4plusIvEEsEEDaPvRmT3_T4_T5_mT6_P12ihipStream_tbENKUlT_T0_E_clISt17integral_constantIbLb1EESX_EEDaSS_ST_EUlSS_E0_NS1_11comp_targetILNS1_3genE5ELNS1_11target_archE942ELNS1_3gpuE9ELNS1_3repE0EEENS1_30default_config_static_selectorELNS0_4arch9wavefront6targetE1EEEvT1_,"axG",@progbits,_ZN7rocprim17ROCPRIM_400000_NS6detail17trampoline_kernelINS0_14default_configENS1_20scan_config_selectorIsEEZZNS1_9scan_implILNS1_25lookback_scan_determinismE0ELb0ELb0ES3_N6thrust23THRUST_200600_302600_NS6detail15normal_iteratorINS9_10device_ptrIsEEEENS9_16discard_iteratorINS9_11use_defaultEEEsNS9_4plusIvEEsEEDaPvRmT3_T4_T5_mT6_P12ihipStream_tbENKUlT_T0_E_clISt17integral_constantIbLb1EESX_EEDaSS_ST_EUlSS_E0_NS1_11comp_targetILNS1_3genE5ELNS1_11target_archE942ELNS1_3gpuE9ELNS1_3repE0EEENS1_30default_config_static_selectorELNS0_4arch9wavefront6targetE1EEEvT1_,comdat
.Lfunc_end5898:
	.size	_ZN7rocprim17ROCPRIM_400000_NS6detail17trampoline_kernelINS0_14default_configENS1_20scan_config_selectorIsEEZZNS1_9scan_implILNS1_25lookback_scan_determinismE0ELb0ELb0ES3_N6thrust23THRUST_200600_302600_NS6detail15normal_iteratorINS9_10device_ptrIsEEEENS9_16discard_iteratorINS9_11use_defaultEEEsNS9_4plusIvEEsEEDaPvRmT3_T4_T5_mT6_P12ihipStream_tbENKUlT_T0_E_clISt17integral_constantIbLb1EESX_EEDaSS_ST_EUlSS_E0_NS1_11comp_targetILNS1_3genE5ELNS1_11target_archE942ELNS1_3gpuE9ELNS1_3repE0EEENS1_30default_config_static_selectorELNS0_4arch9wavefront6targetE1EEEvT1_, .Lfunc_end5898-_ZN7rocprim17ROCPRIM_400000_NS6detail17trampoline_kernelINS0_14default_configENS1_20scan_config_selectorIsEEZZNS1_9scan_implILNS1_25lookback_scan_determinismE0ELb0ELb0ES3_N6thrust23THRUST_200600_302600_NS6detail15normal_iteratorINS9_10device_ptrIsEEEENS9_16discard_iteratorINS9_11use_defaultEEEsNS9_4plusIvEEsEEDaPvRmT3_T4_T5_mT6_P12ihipStream_tbENKUlT_T0_E_clISt17integral_constantIbLb1EESX_EEDaSS_ST_EUlSS_E0_NS1_11comp_targetILNS1_3genE5ELNS1_11target_archE942ELNS1_3gpuE9ELNS1_3repE0EEENS1_30default_config_static_selectorELNS0_4arch9wavefront6targetE1EEEvT1_
                                        ; -- End function
	.section	.AMDGPU.csdata,"",@progbits
; Kernel info:
; codeLenInByte = 0
; NumSgprs: 4
; NumVgprs: 0
; NumAgprs: 0
; TotalNumVgprs: 0
; ScratchSize: 0
; MemoryBound: 0
; FloatMode: 240
; IeeeMode: 1
; LDSByteSize: 0 bytes/workgroup (compile time only)
; SGPRBlocks: 0
; VGPRBlocks: 0
; NumSGPRsForWavesPerEU: 4
; NumVGPRsForWavesPerEU: 1
; AccumOffset: 4
; Occupancy: 8
; WaveLimiterHint : 0
; COMPUTE_PGM_RSRC2:SCRATCH_EN: 0
; COMPUTE_PGM_RSRC2:USER_SGPR: 6
; COMPUTE_PGM_RSRC2:TRAP_HANDLER: 0
; COMPUTE_PGM_RSRC2:TGID_X_EN: 1
; COMPUTE_PGM_RSRC2:TGID_Y_EN: 0
; COMPUTE_PGM_RSRC2:TGID_Z_EN: 0
; COMPUTE_PGM_RSRC2:TIDIG_COMP_CNT: 0
; COMPUTE_PGM_RSRC3_GFX90A:ACCUM_OFFSET: 0
; COMPUTE_PGM_RSRC3_GFX90A:TG_SPLIT: 0
	.section	.text._ZN7rocprim17ROCPRIM_400000_NS6detail17trampoline_kernelINS0_14default_configENS1_20scan_config_selectorIsEEZZNS1_9scan_implILNS1_25lookback_scan_determinismE0ELb0ELb0ES3_N6thrust23THRUST_200600_302600_NS6detail15normal_iteratorINS9_10device_ptrIsEEEENS9_16discard_iteratorINS9_11use_defaultEEEsNS9_4plusIvEEsEEDaPvRmT3_T4_T5_mT6_P12ihipStream_tbENKUlT_T0_E_clISt17integral_constantIbLb1EESX_EEDaSS_ST_EUlSS_E0_NS1_11comp_targetILNS1_3genE4ELNS1_11target_archE910ELNS1_3gpuE8ELNS1_3repE0EEENS1_30default_config_static_selectorELNS0_4arch9wavefront6targetE1EEEvT1_,"axG",@progbits,_ZN7rocprim17ROCPRIM_400000_NS6detail17trampoline_kernelINS0_14default_configENS1_20scan_config_selectorIsEEZZNS1_9scan_implILNS1_25lookback_scan_determinismE0ELb0ELb0ES3_N6thrust23THRUST_200600_302600_NS6detail15normal_iteratorINS9_10device_ptrIsEEEENS9_16discard_iteratorINS9_11use_defaultEEEsNS9_4plusIvEEsEEDaPvRmT3_T4_T5_mT6_P12ihipStream_tbENKUlT_T0_E_clISt17integral_constantIbLb1EESX_EEDaSS_ST_EUlSS_E0_NS1_11comp_targetILNS1_3genE4ELNS1_11target_archE910ELNS1_3gpuE8ELNS1_3repE0EEENS1_30default_config_static_selectorELNS0_4arch9wavefront6targetE1EEEvT1_,comdat
	.protected	_ZN7rocprim17ROCPRIM_400000_NS6detail17trampoline_kernelINS0_14default_configENS1_20scan_config_selectorIsEEZZNS1_9scan_implILNS1_25lookback_scan_determinismE0ELb0ELb0ES3_N6thrust23THRUST_200600_302600_NS6detail15normal_iteratorINS9_10device_ptrIsEEEENS9_16discard_iteratorINS9_11use_defaultEEEsNS9_4plusIvEEsEEDaPvRmT3_T4_T5_mT6_P12ihipStream_tbENKUlT_T0_E_clISt17integral_constantIbLb1EESX_EEDaSS_ST_EUlSS_E0_NS1_11comp_targetILNS1_3genE4ELNS1_11target_archE910ELNS1_3gpuE8ELNS1_3repE0EEENS1_30default_config_static_selectorELNS0_4arch9wavefront6targetE1EEEvT1_ ; -- Begin function _ZN7rocprim17ROCPRIM_400000_NS6detail17trampoline_kernelINS0_14default_configENS1_20scan_config_selectorIsEEZZNS1_9scan_implILNS1_25lookback_scan_determinismE0ELb0ELb0ES3_N6thrust23THRUST_200600_302600_NS6detail15normal_iteratorINS9_10device_ptrIsEEEENS9_16discard_iteratorINS9_11use_defaultEEEsNS9_4plusIvEEsEEDaPvRmT3_T4_T5_mT6_P12ihipStream_tbENKUlT_T0_E_clISt17integral_constantIbLb1EESX_EEDaSS_ST_EUlSS_E0_NS1_11comp_targetILNS1_3genE4ELNS1_11target_archE910ELNS1_3gpuE8ELNS1_3repE0EEENS1_30default_config_static_selectorELNS0_4arch9wavefront6targetE1EEEvT1_
	.globl	_ZN7rocprim17ROCPRIM_400000_NS6detail17trampoline_kernelINS0_14default_configENS1_20scan_config_selectorIsEEZZNS1_9scan_implILNS1_25lookback_scan_determinismE0ELb0ELb0ES3_N6thrust23THRUST_200600_302600_NS6detail15normal_iteratorINS9_10device_ptrIsEEEENS9_16discard_iteratorINS9_11use_defaultEEEsNS9_4plusIvEEsEEDaPvRmT3_T4_T5_mT6_P12ihipStream_tbENKUlT_T0_E_clISt17integral_constantIbLb1EESX_EEDaSS_ST_EUlSS_E0_NS1_11comp_targetILNS1_3genE4ELNS1_11target_archE910ELNS1_3gpuE8ELNS1_3repE0EEENS1_30default_config_static_selectorELNS0_4arch9wavefront6targetE1EEEvT1_
	.p2align	8
	.type	_ZN7rocprim17ROCPRIM_400000_NS6detail17trampoline_kernelINS0_14default_configENS1_20scan_config_selectorIsEEZZNS1_9scan_implILNS1_25lookback_scan_determinismE0ELb0ELb0ES3_N6thrust23THRUST_200600_302600_NS6detail15normal_iteratorINS9_10device_ptrIsEEEENS9_16discard_iteratorINS9_11use_defaultEEEsNS9_4plusIvEEsEEDaPvRmT3_T4_T5_mT6_P12ihipStream_tbENKUlT_T0_E_clISt17integral_constantIbLb1EESX_EEDaSS_ST_EUlSS_E0_NS1_11comp_targetILNS1_3genE4ELNS1_11target_archE910ELNS1_3gpuE8ELNS1_3repE0EEENS1_30default_config_static_selectorELNS0_4arch9wavefront6targetE1EEEvT1_,@function
_ZN7rocprim17ROCPRIM_400000_NS6detail17trampoline_kernelINS0_14default_configENS1_20scan_config_selectorIsEEZZNS1_9scan_implILNS1_25lookback_scan_determinismE0ELb0ELb0ES3_N6thrust23THRUST_200600_302600_NS6detail15normal_iteratorINS9_10device_ptrIsEEEENS9_16discard_iteratorINS9_11use_defaultEEEsNS9_4plusIvEEsEEDaPvRmT3_T4_T5_mT6_P12ihipStream_tbENKUlT_T0_E_clISt17integral_constantIbLb1EESX_EEDaSS_ST_EUlSS_E0_NS1_11comp_targetILNS1_3genE4ELNS1_11target_archE910ELNS1_3gpuE8ELNS1_3repE0EEENS1_30default_config_static_selectorELNS0_4arch9wavefront6targetE1EEEvT1_: ; @_ZN7rocprim17ROCPRIM_400000_NS6detail17trampoline_kernelINS0_14default_configENS1_20scan_config_selectorIsEEZZNS1_9scan_implILNS1_25lookback_scan_determinismE0ELb0ELb0ES3_N6thrust23THRUST_200600_302600_NS6detail15normal_iteratorINS9_10device_ptrIsEEEENS9_16discard_iteratorINS9_11use_defaultEEEsNS9_4plusIvEEsEEDaPvRmT3_T4_T5_mT6_P12ihipStream_tbENKUlT_T0_E_clISt17integral_constantIbLb1EESX_EEDaSS_ST_EUlSS_E0_NS1_11comp_targetILNS1_3genE4ELNS1_11target_archE910ELNS1_3gpuE8ELNS1_3repE0EEENS1_30default_config_static_selectorELNS0_4arch9wavefront6targetE1EEEvT1_
; %bb.0:
	s_load_dwordx4 s[0:3], s[4:5], 0x0
	v_mov_b32_e32 v1, 0
	s_waitcnt lgkmcnt(0)
	global_load_ushort v2, v1, s[0:1]
	v_cmp_gt_u32_e32 vcc, s2, v0
	v_lshlrev_b32_e32 v1, 1, v0
	s_waitcnt vmcnt(0)
	v_mov_b32_e32 v3, v2
	s_and_saveexec_b64 s[4:5], vcc
	s_cbranch_execz .LBB5899_2
; %bb.1:
	global_load_ushort v3, v1, s[0:1]
.LBB5899_2:
	s_or_b64 exec, exec, s[4:5]
	v_or_b32_e32 v4, 64, v0
	v_cmp_gt_u32_e32 vcc, s2, v4
	v_mov_b32_e32 v4, v2
	s_and_saveexec_b64 s[4:5], vcc
	s_cbranch_execz .LBB5899_4
; %bb.3:
	global_load_ushort v4, v1, s[0:1] offset:128
.LBB5899_4:
	s_or_b64 exec, exec, s[4:5]
	v_or_b32_e32 v5, 0x80, v0
	v_cmp_gt_u32_e32 vcc, s2, v5
	v_mov_b32_e32 v5, v2
	s_and_saveexec_b64 s[4:5], vcc
	s_cbranch_execz .LBB5899_6
; %bb.5:
	global_load_ushort v5, v1, s[0:1] offset:256
.LBB5899_6:
	;; [unrolled: 9-line block ×22, first 2 shown]
	s_or_b64 exec, exec, s[4:5]
	v_or_b32_e32 v26, 0x5c0, v0
	v_cmp_gt_u32_e32 vcc, s2, v26
	s_and_saveexec_b64 s[2:3], vcc
	s_cbranch_execz .LBB5899_48
; %bb.47:
	global_load_ushort v2, v1, s[0:1] offset:2944
.LBB5899_48:
	s_or_b64 exec, exec, s[2:3]
	s_waitcnt vmcnt(0)
	ds_write_b16 v1, v3
	ds_write_b16 v1, v4 offset:128
	ds_write_b16 v1, v5 offset:256
	;; [unrolled: 1-line block ×23, first 2 shown]
	v_mad_u32_u24 v6, v0, 46, v1
	s_waitcnt lgkmcnt(0)
	; wave barrier
	s_waitcnt lgkmcnt(0)
	ds_read_b128 v[2:5], v6
	ds_read_b128 v[10:13], v6 offset:16
	ds_read_b128 v[6:9], v6 offset:32
	v_mbcnt_lo_u32_b32 v37, -1, 0
	v_mbcnt_hi_u32_b32 v37, -1, v37
	s_waitcnt lgkmcnt(2)
	v_add_u16_sdwa v14, v2, v2 dst_sel:DWORD dst_unused:UNUSED_PAD src0_sel:WORD_1 src1_sel:DWORD
	v_add_u16_e32 v15, v14, v3
	v_add_u16_sdwa v17, v15, v3 dst_sel:DWORD dst_unused:UNUSED_PAD src0_sel:DWORD src1_sel:WORD_1
	v_add_u16_e32 v19, v17, v4
	v_add_u16_sdwa v21, v19, v4 dst_sel:DWORD dst_unused:UNUSED_PAD src0_sel:DWORD src1_sel:WORD_1
	;; [unrolled: 2-line block ×3, first 2 shown]
	s_waitcnt lgkmcnt(1)
	v_add_u16_e32 v16, v27, v10
	v_add_u16_sdwa v18, v16, v10 dst_sel:DWORD dst_unused:UNUSED_PAD src0_sel:DWORD src1_sel:WORD_1
	v_add_u16_e32 v20, v18, v11
	v_add_u16_sdwa v23, v20, v11 dst_sel:DWORD dst_unused:UNUSED_PAD src0_sel:DWORD src1_sel:WORD_1
	;; [unrolled: 2-line block ×4, first 2 shown]
	s_waitcnt lgkmcnt(0)
	v_add_u16_e32 v22, v33, v6
	v_add_u16_sdwa v25, v22, v6 dst_sel:DWORD dst_unused:UNUSED_PAD src0_sel:DWORD src1_sel:WORD_1
	v_add_u16_e32 v28, v25, v7
	v_add_u16_sdwa v30, v28, v7 dst_sel:DWORD dst_unused:UNUSED_PAD src0_sel:DWORD src1_sel:WORD_1
	;; [unrolled: 2-line block ×4, first 2 shown]
	v_and_b32_e32 v38, 15, v37
	v_cmp_ne_u32_e32 vcc, 0, v38
	v_mov_b32_dpp v39, v36 row_shr:1 row_mask:0xf bank_mask:0xf
	v_cndmask_b32_e32 v39, 0, v39, vcc
	v_add_u16_e32 v39, v39, v36
	v_cmp_lt_u32_e32 vcc, 1, v38
	s_nop 0
	v_mov_b32_dpp v40, v39 row_shr:2 row_mask:0xf bank_mask:0xf
	v_cndmask_b32_e32 v40, 0, v40, vcc
	v_add_u16_e32 v39, v39, v40
	v_cmp_lt_u32_e32 vcc, 3, v38
	; wave barrier
	s_nop 0
	v_mov_b32_dpp v40, v39 row_shr:4 row_mask:0xf bank_mask:0xf
	v_cndmask_b32_e32 v40, 0, v40, vcc
	v_add_u16_e32 v39, v39, v40
	v_cmp_lt_u32_e32 vcc, 7, v38
	s_nop 0
	v_mov_b32_dpp v40, v39 row_shr:8 row_mask:0xf bank_mask:0xf
	v_cndmask_b32_e32 v38, 0, v40, vcc
	v_add_u16_e32 v38, v39, v38
	v_and_b32_e32 v40, 16, v37
	v_cmp_ne_u32_e32 vcc, 0, v40
	v_mov_b32_dpp v39, v38 row_bcast:15 row_mask:0xf bank_mask:0xf
	v_cndmask_b32_e32 v39, 0, v39, vcc
	v_add_u16_e32 v38, v38, v39
	v_cmp_lt_u32_e32 vcc, 31, v37
	s_nop 0
	v_mov_b32_dpp v39, v38 row_bcast:31 row_mask:0xf bank_mask:0xf
	v_cndmask_b32_e32 v39, 0, v39, vcc
	v_add_u16_e32 v38, v38, v39
	v_cmp_eq_u32_e32 vcc, 63, v0
	s_and_saveexec_b64 s[0:1], vcc
	s_cbranch_execz .LBB5899_50
; %bb.49:
	v_mov_b32_e32 v39, 0
	ds_write_b16 v39, v38
.LBB5899_50:
	s_or_b64 exec, exec, s[0:1]
	v_add_u32_e32 v39, -1, v37
	v_and_b32_e32 v40, 64, v37
	v_cmp_lt_i32_e32 vcc, v39, v40
	v_cndmask_b32_e32 v37, v39, v37, vcc
	v_lshlrev_b32_e32 v37, 2, v37
	ds_bpermute_b32 v38, v37, v38
	v_mul_u32_u24_e32 v37, 46, v0
	v_cmp_ne_u32_e32 vcc, 0, v0
	s_waitcnt lgkmcnt(0)
	; wave barrier
	s_waitcnt lgkmcnt(0)
	s_and_saveexec_b64 s[0:1], vcc
	s_cbranch_execz .LBB5899_52
; %bb.51:
	v_add_u16_e32 v0, v2, v38
	v_add_u16_sdwa v14, v0, v2 dst_sel:DWORD dst_unused:UNUSED_PAD src0_sel:DWORD src1_sel:WORD_1
	v_add_u16_e32 v15, v14, v3
	v_add_u16_sdwa v17, v15, v3 dst_sel:DWORD dst_unused:UNUSED_PAD src0_sel:DWORD src1_sel:WORD_1
	;; [unrolled: 2-line block ×12, first 2 shown]
	v_mov_b32_e32 v2, v0
	;;#ASMSTART
	;;#ASMEND
.LBB5899_52:
	s_or_b64 exec, exec, s[0:1]
	s_mov_b32 s0, 0x5040100
	v_add_u32_e32 v6, v1, v37
	v_perm_b32 v5, v27, v24, s0
	v_perm_b32 v4, v21, v19, s0
	;; [unrolled: 1-line block ×4, first 2 shown]
	s_waitcnt lgkmcnt(0)
	; wave barrier
	ds_write_b128 v6, v[2:5]
	v_perm_b32 v3, v33, v31, s0
	v_perm_b32 v2, v29, v26, s0
	;; [unrolled: 1-line block ×4, first 2 shown]
	ds_write_b128 v6, v[0:3] offset:16
	v_perm_b32 v3, v36, v35, s0
	v_perm_b32 v2, v34, v32, s0
	;; [unrolled: 1-line block ×4, first 2 shown]
	ds_write_b128 v6, v[0:3] offset:32
	s_waitcnt lgkmcnt(0)
	; wave barrier
	s_waitcnt lgkmcnt(0)
	s_endpgm
	.section	.rodata,"a",@progbits
	.p2align	6, 0x0
	.amdhsa_kernel _ZN7rocprim17ROCPRIM_400000_NS6detail17trampoline_kernelINS0_14default_configENS1_20scan_config_selectorIsEEZZNS1_9scan_implILNS1_25lookback_scan_determinismE0ELb0ELb0ES3_N6thrust23THRUST_200600_302600_NS6detail15normal_iteratorINS9_10device_ptrIsEEEENS9_16discard_iteratorINS9_11use_defaultEEEsNS9_4plusIvEEsEEDaPvRmT3_T4_T5_mT6_P12ihipStream_tbENKUlT_T0_E_clISt17integral_constantIbLb1EESX_EEDaSS_ST_EUlSS_E0_NS1_11comp_targetILNS1_3genE4ELNS1_11target_archE910ELNS1_3gpuE8ELNS1_3repE0EEENS1_30default_config_static_selectorELNS0_4arch9wavefront6targetE1EEEvT1_
		.amdhsa_group_segment_fixed_size 3072
		.amdhsa_private_segment_fixed_size 0
		.amdhsa_kernarg_size 40
		.amdhsa_user_sgpr_count 6
		.amdhsa_user_sgpr_private_segment_buffer 1
		.amdhsa_user_sgpr_dispatch_ptr 0
		.amdhsa_user_sgpr_queue_ptr 0
		.amdhsa_user_sgpr_kernarg_segment_ptr 1
		.amdhsa_user_sgpr_dispatch_id 0
		.amdhsa_user_sgpr_flat_scratch_init 0
		.amdhsa_user_sgpr_kernarg_preload_length 0
		.amdhsa_user_sgpr_kernarg_preload_offset 0
		.amdhsa_user_sgpr_private_segment_size 0
		.amdhsa_uses_dynamic_stack 0
		.amdhsa_system_sgpr_private_segment_wavefront_offset 0
		.amdhsa_system_sgpr_workgroup_id_x 1
		.amdhsa_system_sgpr_workgroup_id_y 0
		.amdhsa_system_sgpr_workgroup_id_z 0
		.amdhsa_system_sgpr_workgroup_info 0
		.amdhsa_system_vgpr_workitem_id 0
		.amdhsa_next_free_vgpr 41
		.amdhsa_next_free_sgpr 6
		.amdhsa_accum_offset 44
		.amdhsa_reserve_vcc 1
		.amdhsa_reserve_flat_scratch 0
		.amdhsa_float_round_mode_32 0
		.amdhsa_float_round_mode_16_64 0
		.amdhsa_float_denorm_mode_32 3
		.amdhsa_float_denorm_mode_16_64 3
		.amdhsa_dx10_clamp 1
		.amdhsa_ieee_mode 1
		.amdhsa_fp16_overflow 0
		.amdhsa_tg_split 0
		.amdhsa_exception_fp_ieee_invalid_op 0
		.amdhsa_exception_fp_denorm_src 0
		.amdhsa_exception_fp_ieee_div_zero 0
		.amdhsa_exception_fp_ieee_overflow 0
		.amdhsa_exception_fp_ieee_underflow 0
		.amdhsa_exception_fp_ieee_inexact 0
		.amdhsa_exception_int_div_zero 0
	.end_amdhsa_kernel
	.section	.text._ZN7rocprim17ROCPRIM_400000_NS6detail17trampoline_kernelINS0_14default_configENS1_20scan_config_selectorIsEEZZNS1_9scan_implILNS1_25lookback_scan_determinismE0ELb0ELb0ES3_N6thrust23THRUST_200600_302600_NS6detail15normal_iteratorINS9_10device_ptrIsEEEENS9_16discard_iteratorINS9_11use_defaultEEEsNS9_4plusIvEEsEEDaPvRmT3_T4_T5_mT6_P12ihipStream_tbENKUlT_T0_E_clISt17integral_constantIbLb1EESX_EEDaSS_ST_EUlSS_E0_NS1_11comp_targetILNS1_3genE4ELNS1_11target_archE910ELNS1_3gpuE8ELNS1_3repE0EEENS1_30default_config_static_selectorELNS0_4arch9wavefront6targetE1EEEvT1_,"axG",@progbits,_ZN7rocprim17ROCPRIM_400000_NS6detail17trampoline_kernelINS0_14default_configENS1_20scan_config_selectorIsEEZZNS1_9scan_implILNS1_25lookback_scan_determinismE0ELb0ELb0ES3_N6thrust23THRUST_200600_302600_NS6detail15normal_iteratorINS9_10device_ptrIsEEEENS9_16discard_iteratorINS9_11use_defaultEEEsNS9_4plusIvEEsEEDaPvRmT3_T4_T5_mT6_P12ihipStream_tbENKUlT_T0_E_clISt17integral_constantIbLb1EESX_EEDaSS_ST_EUlSS_E0_NS1_11comp_targetILNS1_3genE4ELNS1_11target_archE910ELNS1_3gpuE8ELNS1_3repE0EEENS1_30default_config_static_selectorELNS0_4arch9wavefront6targetE1EEEvT1_,comdat
.Lfunc_end5899:
	.size	_ZN7rocprim17ROCPRIM_400000_NS6detail17trampoline_kernelINS0_14default_configENS1_20scan_config_selectorIsEEZZNS1_9scan_implILNS1_25lookback_scan_determinismE0ELb0ELb0ES3_N6thrust23THRUST_200600_302600_NS6detail15normal_iteratorINS9_10device_ptrIsEEEENS9_16discard_iteratorINS9_11use_defaultEEEsNS9_4plusIvEEsEEDaPvRmT3_T4_T5_mT6_P12ihipStream_tbENKUlT_T0_E_clISt17integral_constantIbLb1EESX_EEDaSS_ST_EUlSS_E0_NS1_11comp_targetILNS1_3genE4ELNS1_11target_archE910ELNS1_3gpuE8ELNS1_3repE0EEENS1_30default_config_static_selectorELNS0_4arch9wavefront6targetE1EEEvT1_, .Lfunc_end5899-_ZN7rocprim17ROCPRIM_400000_NS6detail17trampoline_kernelINS0_14default_configENS1_20scan_config_selectorIsEEZZNS1_9scan_implILNS1_25lookback_scan_determinismE0ELb0ELb0ES3_N6thrust23THRUST_200600_302600_NS6detail15normal_iteratorINS9_10device_ptrIsEEEENS9_16discard_iteratorINS9_11use_defaultEEEsNS9_4plusIvEEsEEDaPvRmT3_T4_T5_mT6_P12ihipStream_tbENKUlT_T0_E_clISt17integral_constantIbLb1EESX_EEDaSS_ST_EUlSS_E0_NS1_11comp_targetILNS1_3genE4ELNS1_11target_archE910ELNS1_3gpuE8ELNS1_3repE0EEENS1_30default_config_static_selectorELNS0_4arch9wavefront6targetE1EEEvT1_
                                        ; -- End function
	.section	.AMDGPU.csdata,"",@progbits
; Kernel info:
; codeLenInByte = 1808
; NumSgprs: 10
; NumVgprs: 41
; NumAgprs: 0
; TotalNumVgprs: 41
; ScratchSize: 0
; MemoryBound: 0
; FloatMode: 240
; IeeeMode: 1
; LDSByteSize: 3072 bytes/workgroup (compile time only)
; SGPRBlocks: 1
; VGPRBlocks: 5
; NumSGPRsForWavesPerEU: 10
; NumVGPRsForWavesPerEU: 41
; AccumOffset: 44
; Occupancy: 6
; WaveLimiterHint : 0
; COMPUTE_PGM_RSRC2:SCRATCH_EN: 0
; COMPUTE_PGM_RSRC2:USER_SGPR: 6
; COMPUTE_PGM_RSRC2:TRAP_HANDLER: 0
; COMPUTE_PGM_RSRC2:TGID_X_EN: 1
; COMPUTE_PGM_RSRC2:TGID_Y_EN: 0
; COMPUTE_PGM_RSRC2:TGID_Z_EN: 0
; COMPUTE_PGM_RSRC2:TIDIG_COMP_CNT: 0
; COMPUTE_PGM_RSRC3_GFX90A:ACCUM_OFFSET: 10
; COMPUTE_PGM_RSRC3_GFX90A:TG_SPLIT: 0
	.section	.text._ZN7rocprim17ROCPRIM_400000_NS6detail17trampoline_kernelINS0_14default_configENS1_20scan_config_selectorIsEEZZNS1_9scan_implILNS1_25lookback_scan_determinismE0ELb0ELb0ES3_N6thrust23THRUST_200600_302600_NS6detail15normal_iteratorINS9_10device_ptrIsEEEENS9_16discard_iteratorINS9_11use_defaultEEEsNS9_4plusIvEEsEEDaPvRmT3_T4_T5_mT6_P12ihipStream_tbENKUlT_T0_E_clISt17integral_constantIbLb1EESX_EEDaSS_ST_EUlSS_E0_NS1_11comp_targetILNS1_3genE3ELNS1_11target_archE908ELNS1_3gpuE7ELNS1_3repE0EEENS1_30default_config_static_selectorELNS0_4arch9wavefront6targetE1EEEvT1_,"axG",@progbits,_ZN7rocprim17ROCPRIM_400000_NS6detail17trampoline_kernelINS0_14default_configENS1_20scan_config_selectorIsEEZZNS1_9scan_implILNS1_25lookback_scan_determinismE0ELb0ELb0ES3_N6thrust23THRUST_200600_302600_NS6detail15normal_iteratorINS9_10device_ptrIsEEEENS9_16discard_iteratorINS9_11use_defaultEEEsNS9_4plusIvEEsEEDaPvRmT3_T4_T5_mT6_P12ihipStream_tbENKUlT_T0_E_clISt17integral_constantIbLb1EESX_EEDaSS_ST_EUlSS_E0_NS1_11comp_targetILNS1_3genE3ELNS1_11target_archE908ELNS1_3gpuE7ELNS1_3repE0EEENS1_30default_config_static_selectorELNS0_4arch9wavefront6targetE1EEEvT1_,comdat
	.protected	_ZN7rocprim17ROCPRIM_400000_NS6detail17trampoline_kernelINS0_14default_configENS1_20scan_config_selectorIsEEZZNS1_9scan_implILNS1_25lookback_scan_determinismE0ELb0ELb0ES3_N6thrust23THRUST_200600_302600_NS6detail15normal_iteratorINS9_10device_ptrIsEEEENS9_16discard_iteratorINS9_11use_defaultEEEsNS9_4plusIvEEsEEDaPvRmT3_T4_T5_mT6_P12ihipStream_tbENKUlT_T0_E_clISt17integral_constantIbLb1EESX_EEDaSS_ST_EUlSS_E0_NS1_11comp_targetILNS1_3genE3ELNS1_11target_archE908ELNS1_3gpuE7ELNS1_3repE0EEENS1_30default_config_static_selectorELNS0_4arch9wavefront6targetE1EEEvT1_ ; -- Begin function _ZN7rocprim17ROCPRIM_400000_NS6detail17trampoline_kernelINS0_14default_configENS1_20scan_config_selectorIsEEZZNS1_9scan_implILNS1_25lookback_scan_determinismE0ELb0ELb0ES3_N6thrust23THRUST_200600_302600_NS6detail15normal_iteratorINS9_10device_ptrIsEEEENS9_16discard_iteratorINS9_11use_defaultEEEsNS9_4plusIvEEsEEDaPvRmT3_T4_T5_mT6_P12ihipStream_tbENKUlT_T0_E_clISt17integral_constantIbLb1EESX_EEDaSS_ST_EUlSS_E0_NS1_11comp_targetILNS1_3genE3ELNS1_11target_archE908ELNS1_3gpuE7ELNS1_3repE0EEENS1_30default_config_static_selectorELNS0_4arch9wavefront6targetE1EEEvT1_
	.globl	_ZN7rocprim17ROCPRIM_400000_NS6detail17trampoline_kernelINS0_14default_configENS1_20scan_config_selectorIsEEZZNS1_9scan_implILNS1_25lookback_scan_determinismE0ELb0ELb0ES3_N6thrust23THRUST_200600_302600_NS6detail15normal_iteratorINS9_10device_ptrIsEEEENS9_16discard_iteratorINS9_11use_defaultEEEsNS9_4plusIvEEsEEDaPvRmT3_T4_T5_mT6_P12ihipStream_tbENKUlT_T0_E_clISt17integral_constantIbLb1EESX_EEDaSS_ST_EUlSS_E0_NS1_11comp_targetILNS1_3genE3ELNS1_11target_archE908ELNS1_3gpuE7ELNS1_3repE0EEENS1_30default_config_static_selectorELNS0_4arch9wavefront6targetE1EEEvT1_
	.p2align	8
	.type	_ZN7rocprim17ROCPRIM_400000_NS6detail17trampoline_kernelINS0_14default_configENS1_20scan_config_selectorIsEEZZNS1_9scan_implILNS1_25lookback_scan_determinismE0ELb0ELb0ES3_N6thrust23THRUST_200600_302600_NS6detail15normal_iteratorINS9_10device_ptrIsEEEENS9_16discard_iteratorINS9_11use_defaultEEEsNS9_4plusIvEEsEEDaPvRmT3_T4_T5_mT6_P12ihipStream_tbENKUlT_T0_E_clISt17integral_constantIbLb1EESX_EEDaSS_ST_EUlSS_E0_NS1_11comp_targetILNS1_3genE3ELNS1_11target_archE908ELNS1_3gpuE7ELNS1_3repE0EEENS1_30default_config_static_selectorELNS0_4arch9wavefront6targetE1EEEvT1_,@function
_ZN7rocprim17ROCPRIM_400000_NS6detail17trampoline_kernelINS0_14default_configENS1_20scan_config_selectorIsEEZZNS1_9scan_implILNS1_25lookback_scan_determinismE0ELb0ELb0ES3_N6thrust23THRUST_200600_302600_NS6detail15normal_iteratorINS9_10device_ptrIsEEEENS9_16discard_iteratorINS9_11use_defaultEEEsNS9_4plusIvEEsEEDaPvRmT3_T4_T5_mT6_P12ihipStream_tbENKUlT_T0_E_clISt17integral_constantIbLb1EESX_EEDaSS_ST_EUlSS_E0_NS1_11comp_targetILNS1_3genE3ELNS1_11target_archE908ELNS1_3gpuE7ELNS1_3repE0EEENS1_30default_config_static_selectorELNS0_4arch9wavefront6targetE1EEEvT1_: ; @_ZN7rocprim17ROCPRIM_400000_NS6detail17trampoline_kernelINS0_14default_configENS1_20scan_config_selectorIsEEZZNS1_9scan_implILNS1_25lookback_scan_determinismE0ELb0ELb0ES3_N6thrust23THRUST_200600_302600_NS6detail15normal_iteratorINS9_10device_ptrIsEEEENS9_16discard_iteratorINS9_11use_defaultEEEsNS9_4plusIvEEsEEDaPvRmT3_T4_T5_mT6_P12ihipStream_tbENKUlT_T0_E_clISt17integral_constantIbLb1EESX_EEDaSS_ST_EUlSS_E0_NS1_11comp_targetILNS1_3genE3ELNS1_11target_archE908ELNS1_3gpuE7ELNS1_3repE0EEENS1_30default_config_static_selectorELNS0_4arch9wavefront6targetE1EEEvT1_
; %bb.0:
	.section	.rodata,"a",@progbits
	.p2align	6, 0x0
	.amdhsa_kernel _ZN7rocprim17ROCPRIM_400000_NS6detail17trampoline_kernelINS0_14default_configENS1_20scan_config_selectorIsEEZZNS1_9scan_implILNS1_25lookback_scan_determinismE0ELb0ELb0ES3_N6thrust23THRUST_200600_302600_NS6detail15normal_iteratorINS9_10device_ptrIsEEEENS9_16discard_iteratorINS9_11use_defaultEEEsNS9_4plusIvEEsEEDaPvRmT3_T4_T5_mT6_P12ihipStream_tbENKUlT_T0_E_clISt17integral_constantIbLb1EESX_EEDaSS_ST_EUlSS_E0_NS1_11comp_targetILNS1_3genE3ELNS1_11target_archE908ELNS1_3gpuE7ELNS1_3repE0EEENS1_30default_config_static_selectorELNS0_4arch9wavefront6targetE1EEEvT1_
		.amdhsa_group_segment_fixed_size 0
		.amdhsa_private_segment_fixed_size 0
		.amdhsa_kernarg_size 40
		.amdhsa_user_sgpr_count 6
		.amdhsa_user_sgpr_private_segment_buffer 1
		.amdhsa_user_sgpr_dispatch_ptr 0
		.amdhsa_user_sgpr_queue_ptr 0
		.amdhsa_user_sgpr_kernarg_segment_ptr 1
		.amdhsa_user_sgpr_dispatch_id 0
		.amdhsa_user_sgpr_flat_scratch_init 0
		.amdhsa_user_sgpr_kernarg_preload_length 0
		.amdhsa_user_sgpr_kernarg_preload_offset 0
		.amdhsa_user_sgpr_private_segment_size 0
		.amdhsa_uses_dynamic_stack 0
		.amdhsa_system_sgpr_private_segment_wavefront_offset 0
		.amdhsa_system_sgpr_workgroup_id_x 1
		.amdhsa_system_sgpr_workgroup_id_y 0
		.amdhsa_system_sgpr_workgroup_id_z 0
		.amdhsa_system_sgpr_workgroup_info 0
		.amdhsa_system_vgpr_workitem_id 0
		.amdhsa_next_free_vgpr 1
		.amdhsa_next_free_sgpr 0
		.amdhsa_accum_offset 4
		.amdhsa_reserve_vcc 0
		.amdhsa_reserve_flat_scratch 0
		.amdhsa_float_round_mode_32 0
		.amdhsa_float_round_mode_16_64 0
		.amdhsa_float_denorm_mode_32 3
		.amdhsa_float_denorm_mode_16_64 3
		.amdhsa_dx10_clamp 1
		.amdhsa_ieee_mode 1
		.amdhsa_fp16_overflow 0
		.amdhsa_tg_split 0
		.amdhsa_exception_fp_ieee_invalid_op 0
		.amdhsa_exception_fp_denorm_src 0
		.amdhsa_exception_fp_ieee_div_zero 0
		.amdhsa_exception_fp_ieee_overflow 0
		.amdhsa_exception_fp_ieee_underflow 0
		.amdhsa_exception_fp_ieee_inexact 0
		.amdhsa_exception_int_div_zero 0
	.end_amdhsa_kernel
	.section	.text._ZN7rocprim17ROCPRIM_400000_NS6detail17trampoline_kernelINS0_14default_configENS1_20scan_config_selectorIsEEZZNS1_9scan_implILNS1_25lookback_scan_determinismE0ELb0ELb0ES3_N6thrust23THRUST_200600_302600_NS6detail15normal_iteratorINS9_10device_ptrIsEEEENS9_16discard_iteratorINS9_11use_defaultEEEsNS9_4plusIvEEsEEDaPvRmT3_T4_T5_mT6_P12ihipStream_tbENKUlT_T0_E_clISt17integral_constantIbLb1EESX_EEDaSS_ST_EUlSS_E0_NS1_11comp_targetILNS1_3genE3ELNS1_11target_archE908ELNS1_3gpuE7ELNS1_3repE0EEENS1_30default_config_static_selectorELNS0_4arch9wavefront6targetE1EEEvT1_,"axG",@progbits,_ZN7rocprim17ROCPRIM_400000_NS6detail17trampoline_kernelINS0_14default_configENS1_20scan_config_selectorIsEEZZNS1_9scan_implILNS1_25lookback_scan_determinismE0ELb0ELb0ES3_N6thrust23THRUST_200600_302600_NS6detail15normal_iteratorINS9_10device_ptrIsEEEENS9_16discard_iteratorINS9_11use_defaultEEEsNS9_4plusIvEEsEEDaPvRmT3_T4_T5_mT6_P12ihipStream_tbENKUlT_T0_E_clISt17integral_constantIbLb1EESX_EEDaSS_ST_EUlSS_E0_NS1_11comp_targetILNS1_3genE3ELNS1_11target_archE908ELNS1_3gpuE7ELNS1_3repE0EEENS1_30default_config_static_selectorELNS0_4arch9wavefront6targetE1EEEvT1_,comdat
.Lfunc_end5900:
	.size	_ZN7rocprim17ROCPRIM_400000_NS6detail17trampoline_kernelINS0_14default_configENS1_20scan_config_selectorIsEEZZNS1_9scan_implILNS1_25lookback_scan_determinismE0ELb0ELb0ES3_N6thrust23THRUST_200600_302600_NS6detail15normal_iteratorINS9_10device_ptrIsEEEENS9_16discard_iteratorINS9_11use_defaultEEEsNS9_4plusIvEEsEEDaPvRmT3_T4_T5_mT6_P12ihipStream_tbENKUlT_T0_E_clISt17integral_constantIbLb1EESX_EEDaSS_ST_EUlSS_E0_NS1_11comp_targetILNS1_3genE3ELNS1_11target_archE908ELNS1_3gpuE7ELNS1_3repE0EEENS1_30default_config_static_selectorELNS0_4arch9wavefront6targetE1EEEvT1_, .Lfunc_end5900-_ZN7rocprim17ROCPRIM_400000_NS6detail17trampoline_kernelINS0_14default_configENS1_20scan_config_selectorIsEEZZNS1_9scan_implILNS1_25lookback_scan_determinismE0ELb0ELb0ES3_N6thrust23THRUST_200600_302600_NS6detail15normal_iteratorINS9_10device_ptrIsEEEENS9_16discard_iteratorINS9_11use_defaultEEEsNS9_4plusIvEEsEEDaPvRmT3_T4_T5_mT6_P12ihipStream_tbENKUlT_T0_E_clISt17integral_constantIbLb1EESX_EEDaSS_ST_EUlSS_E0_NS1_11comp_targetILNS1_3genE3ELNS1_11target_archE908ELNS1_3gpuE7ELNS1_3repE0EEENS1_30default_config_static_selectorELNS0_4arch9wavefront6targetE1EEEvT1_
                                        ; -- End function
	.section	.AMDGPU.csdata,"",@progbits
; Kernel info:
; codeLenInByte = 0
; NumSgprs: 4
; NumVgprs: 0
; NumAgprs: 0
; TotalNumVgprs: 0
; ScratchSize: 0
; MemoryBound: 0
; FloatMode: 240
; IeeeMode: 1
; LDSByteSize: 0 bytes/workgroup (compile time only)
; SGPRBlocks: 0
; VGPRBlocks: 0
; NumSGPRsForWavesPerEU: 4
; NumVGPRsForWavesPerEU: 1
; AccumOffset: 4
; Occupancy: 8
; WaveLimiterHint : 0
; COMPUTE_PGM_RSRC2:SCRATCH_EN: 0
; COMPUTE_PGM_RSRC2:USER_SGPR: 6
; COMPUTE_PGM_RSRC2:TRAP_HANDLER: 0
; COMPUTE_PGM_RSRC2:TGID_X_EN: 1
; COMPUTE_PGM_RSRC2:TGID_Y_EN: 0
; COMPUTE_PGM_RSRC2:TGID_Z_EN: 0
; COMPUTE_PGM_RSRC2:TIDIG_COMP_CNT: 0
; COMPUTE_PGM_RSRC3_GFX90A:ACCUM_OFFSET: 0
; COMPUTE_PGM_RSRC3_GFX90A:TG_SPLIT: 0
	.section	.text._ZN7rocprim17ROCPRIM_400000_NS6detail17trampoline_kernelINS0_14default_configENS1_20scan_config_selectorIsEEZZNS1_9scan_implILNS1_25lookback_scan_determinismE0ELb0ELb0ES3_N6thrust23THRUST_200600_302600_NS6detail15normal_iteratorINS9_10device_ptrIsEEEENS9_16discard_iteratorINS9_11use_defaultEEEsNS9_4plusIvEEsEEDaPvRmT3_T4_T5_mT6_P12ihipStream_tbENKUlT_T0_E_clISt17integral_constantIbLb1EESX_EEDaSS_ST_EUlSS_E0_NS1_11comp_targetILNS1_3genE2ELNS1_11target_archE906ELNS1_3gpuE6ELNS1_3repE0EEENS1_30default_config_static_selectorELNS0_4arch9wavefront6targetE1EEEvT1_,"axG",@progbits,_ZN7rocprim17ROCPRIM_400000_NS6detail17trampoline_kernelINS0_14default_configENS1_20scan_config_selectorIsEEZZNS1_9scan_implILNS1_25lookback_scan_determinismE0ELb0ELb0ES3_N6thrust23THRUST_200600_302600_NS6detail15normal_iteratorINS9_10device_ptrIsEEEENS9_16discard_iteratorINS9_11use_defaultEEEsNS9_4plusIvEEsEEDaPvRmT3_T4_T5_mT6_P12ihipStream_tbENKUlT_T0_E_clISt17integral_constantIbLb1EESX_EEDaSS_ST_EUlSS_E0_NS1_11comp_targetILNS1_3genE2ELNS1_11target_archE906ELNS1_3gpuE6ELNS1_3repE0EEENS1_30default_config_static_selectorELNS0_4arch9wavefront6targetE1EEEvT1_,comdat
	.protected	_ZN7rocprim17ROCPRIM_400000_NS6detail17trampoline_kernelINS0_14default_configENS1_20scan_config_selectorIsEEZZNS1_9scan_implILNS1_25lookback_scan_determinismE0ELb0ELb0ES3_N6thrust23THRUST_200600_302600_NS6detail15normal_iteratorINS9_10device_ptrIsEEEENS9_16discard_iteratorINS9_11use_defaultEEEsNS9_4plusIvEEsEEDaPvRmT3_T4_T5_mT6_P12ihipStream_tbENKUlT_T0_E_clISt17integral_constantIbLb1EESX_EEDaSS_ST_EUlSS_E0_NS1_11comp_targetILNS1_3genE2ELNS1_11target_archE906ELNS1_3gpuE6ELNS1_3repE0EEENS1_30default_config_static_selectorELNS0_4arch9wavefront6targetE1EEEvT1_ ; -- Begin function _ZN7rocprim17ROCPRIM_400000_NS6detail17trampoline_kernelINS0_14default_configENS1_20scan_config_selectorIsEEZZNS1_9scan_implILNS1_25lookback_scan_determinismE0ELb0ELb0ES3_N6thrust23THRUST_200600_302600_NS6detail15normal_iteratorINS9_10device_ptrIsEEEENS9_16discard_iteratorINS9_11use_defaultEEEsNS9_4plusIvEEsEEDaPvRmT3_T4_T5_mT6_P12ihipStream_tbENKUlT_T0_E_clISt17integral_constantIbLb1EESX_EEDaSS_ST_EUlSS_E0_NS1_11comp_targetILNS1_3genE2ELNS1_11target_archE906ELNS1_3gpuE6ELNS1_3repE0EEENS1_30default_config_static_selectorELNS0_4arch9wavefront6targetE1EEEvT1_
	.globl	_ZN7rocprim17ROCPRIM_400000_NS6detail17trampoline_kernelINS0_14default_configENS1_20scan_config_selectorIsEEZZNS1_9scan_implILNS1_25lookback_scan_determinismE0ELb0ELb0ES3_N6thrust23THRUST_200600_302600_NS6detail15normal_iteratorINS9_10device_ptrIsEEEENS9_16discard_iteratorINS9_11use_defaultEEEsNS9_4plusIvEEsEEDaPvRmT3_T4_T5_mT6_P12ihipStream_tbENKUlT_T0_E_clISt17integral_constantIbLb1EESX_EEDaSS_ST_EUlSS_E0_NS1_11comp_targetILNS1_3genE2ELNS1_11target_archE906ELNS1_3gpuE6ELNS1_3repE0EEENS1_30default_config_static_selectorELNS0_4arch9wavefront6targetE1EEEvT1_
	.p2align	8
	.type	_ZN7rocprim17ROCPRIM_400000_NS6detail17trampoline_kernelINS0_14default_configENS1_20scan_config_selectorIsEEZZNS1_9scan_implILNS1_25lookback_scan_determinismE0ELb0ELb0ES3_N6thrust23THRUST_200600_302600_NS6detail15normal_iteratorINS9_10device_ptrIsEEEENS9_16discard_iteratorINS9_11use_defaultEEEsNS9_4plusIvEEsEEDaPvRmT3_T4_T5_mT6_P12ihipStream_tbENKUlT_T0_E_clISt17integral_constantIbLb1EESX_EEDaSS_ST_EUlSS_E0_NS1_11comp_targetILNS1_3genE2ELNS1_11target_archE906ELNS1_3gpuE6ELNS1_3repE0EEENS1_30default_config_static_selectorELNS0_4arch9wavefront6targetE1EEEvT1_,@function
_ZN7rocprim17ROCPRIM_400000_NS6detail17trampoline_kernelINS0_14default_configENS1_20scan_config_selectorIsEEZZNS1_9scan_implILNS1_25lookback_scan_determinismE0ELb0ELb0ES3_N6thrust23THRUST_200600_302600_NS6detail15normal_iteratorINS9_10device_ptrIsEEEENS9_16discard_iteratorINS9_11use_defaultEEEsNS9_4plusIvEEsEEDaPvRmT3_T4_T5_mT6_P12ihipStream_tbENKUlT_T0_E_clISt17integral_constantIbLb1EESX_EEDaSS_ST_EUlSS_E0_NS1_11comp_targetILNS1_3genE2ELNS1_11target_archE906ELNS1_3gpuE6ELNS1_3repE0EEENS1_30default_config_static_selectorELNS0_4arch9wavefront6targetE1EEEvT1_: ; @_ZN7rocprim17ROCPRIM_400000_NS6detail17trampoline_kernelINS0_14default_configENS1_20scan_config_selectorIsEEZZNS1_9scan_implILNS1_25lookback_scan_determinismE0ELb0ELb0ES3_N6thrust23THRUST_200600_302600_NS6detail15normal_iteratorINS9_10device_ptrIsEEEENS9_16discard_iteratorINS9_11use_defaultEEEsNS9_4plusIvEEsEEDaPvRmT3_T4_T5_mT6_P12ihipStream_tbENKUlT_T0_E_clISt17integral_constantIbLb1EESX_EEDaSS_ST_EUlSS_E0_NS1_11comp_targetILNS1_3genE2ELNS1_11target_archE906ELNS1_3gpuE6ELNS1_3repE0EEENS1_30default_config_static_selectorELNS0_4arch9wavefront6targetE1EEEvT1_
; %bb.0:
	.section	.rodata,"a",@progbits
	.p2align	6, 0x0
	.amdhsa_kernel _ZN7rocprim17ROCPRIM_400000_NS6detail17trampoline_kernelINS0_14default_configENS1_20scan_config_selectorIsEEZZNS1_9scan_implILNS1_25lookback_scan_determinismE0ELb0ELb0ES3_N6thrust23THRUST_200600_302600_NS6detail15normal_iteratorINS9_10device_ptrIsEEEENS9_16discard_iteratorINS9_11use_defaultEEEsNS9_4plusIvEEsEEDaPvRmT3_T4_T5_mT6_P12ihipStream_tbENKUlT_T0_E_clISt17integral_constantIbLb1EESX_EEDaSS_ST_EUlSS_E0_NS1_11comp_targetILNS1_3genE2ELNS1_11target_archE906ELNS1_3gpuE6ELNS1_3repE0EEENS1_30default_config_static_selectorELNS0_4arch9wavefront6targetE1EEEvT1_
		.amdhsa_group_segment_fixed_size 0
		.amdhsa_private_segment_fixed_size 0
		.amdhsa_kernarg_size 40
		.amdhsa_user_sgpr_count 6
		.amdhsa_user_sgpr_private_segment_buffer 1
		.amdhsa_user_sgpr_dispatch_ptr 0
		.amdhsa_user_sgpr_queue_ptr 0
		.amdhsa_user_sgpr_kernarg_segment_ptr 1
		.amdhsa_user_sgpr_dispatch_id 0
		.amdhsa_user_sgpr_flat_scratch_init 0
		.amdhsa_user_sgpr_kernarg_preload_length 0
		.amdhsa_user_sgpr_kernarg_preload_offset 0
		.amdhsa_user_sgpr_private_segment_size 0
		.amdhsa_uses_dynamic_stack 0
		.amdhsa_system_sgpr_private_segment_wavefront_offset 0
		.amdhsa_system_sgpr_workgroup_id_x 1
		.amdhsa_system_sgpr_workgroup_id_y 0
		.amdhsa_system_sgpr_workgroup_id_z 0
		.amdhsa_system_sgpr_workgroup_info 0
		.amdhsa_system_vgpr_workitem_id 0
		.amdhsa_next_free_vgpr 1
		.amdhsa_next_free_sgpr 0
		.amdhsa_accum_offset 4
		.amdhsa_reserve_vcc 0
		.amdhsa_reserve_flat_scratch 0
		.amdhsa_float_round_mode_32 0
		.amdhsa_float_round_mode_16_64 0
		.amdhsa_float_denorm_mode_32 3
		.amdhsa_float_denorm_mode_16_64 3
		.amdhsa_dx10_clamp 1
		.amdhsa_ieee_mode 1
		.amdhsa_fp16_overflow 0
		.amdhsa_tg_split 0
		.amdhsa_exception_fp_ieee_invalid_op 0
		.amdhsa_exception_fp_denorm_src 0
		.amdhsa_exception_fp_ieee_div_zero 0
		.amdhsa_exception_fp_ieee_overflow 0
		.amdhsa_exception_fp_ieee_underflow 0
		.amdhsa_exception_fp_ieee_inexact 0
		.amdhsa_exception_int_div_zero 0
	.end_amdhsa_kernel
	.section	.text._ZN7rocprim17ROCPRIM_400000_NS6detail17trampoline_kernelINS0_14default_configENS1_20scan_config_selectorIsEEZZNS1_9scan_implILNS1_25lookback_scan_determinismE0ELb0ELb0ES3_N6thrust23THRUST_200600_302600_NS6detail15normal_iteratorINS9_10device_ptrIsEEEENS9_16discard_iteratorINS9_11use_defaultEEEsNS9_4plusIvEEsEEDaPvRmT3_T4_T5_mT6_P12ihipStream_tbENKUlT_T0_E_clISt17integral_constantIbLb1EESX_EEDaSS_ST_EUlSS_E0_NS1_11comp_targetILNS1_3genE2ELNS1_11target_archE906ELNS1_3gpuE6ELNS1_3repE0EEENS1_30default_config_static_selectorELNS0_4arch9wavefront6targetE1EEEvT1_,"axG",@progbits,_ZN7rocprim17ROCPRIM_400000_NS6detail17trampoline_kernelINS0_14default_configENS1_20scan_config_selectorIsEEZZNS1_9scan_implILNS1_25lookback_scan_determinismE0ELb0ELb0ES3_N6thrust23THRUST_200600_302600_NS6detail15normal_iteratorINS9_10device_ptrIsEEEENS9_16discard_iteratorINS9_11use_defaultEEEsNS9_4plusIvEEsEEDaPvRmT3_T4_T5_mT6_P12ihipStream_tbENKUlT_T0_E_clISt17integral_constantIbLb1EESX_EEDaSS_ST_EUlSS_E0_NS1_11comp_targetILNS1_3genE2ELNS1_11target_archE906ELNS1_3gpuE6ELNS1_3repE0EEENS1_30default_config_static_selectorELNS0_4arch9wavefront6targetE1EEEvT1_,comdat
.Lfunc_end5901:
	.size	_ZN7rocprim17ROCPRIM_400000_NS6detail17trampoline_kernelINS0_14default_configENS1_20scan_config_selectorIsEEZZNS1_9scan_implILNS1_25lookback_scan_determinismE0ELb0ELb0ES3_N6thrust23THRUST_200600_302600_NS6detail15normal_iteratorINS9_10device_ptrIsEEEENS9_16discard_iteratorINS9_11use_defaultEEEsNS9_4plusIvEEsEEDaPvRmT3_T4_T5_mT6_P12ihipStream_tbENKUlT_T0_E_clISt17integral_constantIbLb1EESX_EEDaSS_ST_EUlSS_E0_NS1_11comp_targetILNS1_3genE2ELNS1_11target_archE906ELNS1_3gpuE6ELNS1_3repE0EEENS1_30default_config_static_selectorELNS0_4arch9wavefront6targetE1EEEvT1_, .Lfunc_end5901-_ZN7rocprim17ROCPRIM_400000_NS6detail17trampoline_kernelINS0_14default_configENS1_20scan_config_selectorIsEEZZNS1_9scan_implILNS1_25lookback_scan_determinismE0ELb0ELb0ES3_N6thrust23THRUST_200600_302600_NS6detail15normal_iteratorINS9_10device_ptrIsEEEENS9_16discard_iteratorINS9_11use_defaultEEEsNS9_4plusIvEEsEEDaPvRmT3_T4_T5_mT6_P12ihipStream_tbENKUlT_T0_E_clISt17integral_constantIbLb1EESX_EEDaSS_ST_EUlSS_E0_NS1_11comp_targetILNS1_3genE2ELNS1_11target_archE906ELNS1_3gpuE6ELNS1_3repE0EEENS1_30default_config_static_selectorELNS0_4arch9wavefront6targetE1EEEvT1_
                                        ; -- End function
	.section	.AMDGPU.csdata,"",@progbits
; Kernel info:
; codeLenInByte = 0
; NumSgprs: 4
; NumVgprs: 0
; NumAgprs: 0
; TotalNumVgprs: 0
; ScratchSize: 0
; MemoryBound: 0
; FloatMode: 240
; IeeeMode: 1
; LDSByteSize: 0 bytes/workgroup (compile time only)
; SGPRBlocks: 0
; VGPRBlocks: 0
; NumSGPRsForWavesPerEU: 4
; NumVGPRsForWavesPerEU: 1
; AccumOffset: 4
; Occupancy: 8
; WaveLimiterHint : 0
; COMPUTE_PGM_RSRC2:SCRATCH_EN: 0
; COMPUTE_PGM_RSRC2:USER_SGPR: 6
; COMPUTE_PGM_RSRC2:TRAP_HANDLER: 0
; COMPUTE_PGM_RSRC2:TGID_X_EN: 1
; COMPUTE_PGM_RSRC2:TGID_Y_EN: 0
; COMPUTE_PGM_RSRC2:TGID_Z_EN: 0
; COMPUTE_PGM_RSRC2:TIDIG_COMP_CNT: 0
; COMPUTE_PGM_RSRC3_GFX90A:ACCUM_OFFSET: 0
; COMPUTE_PGM_RSRC3_GFX90A:TG_SPLIT: 0
	.section	.text._ZN7rocprim17ROCPRIM_400000_NS6detail17trampoline_kernelINS0_14default_configENS1_20scan_config_selectorIsEEZZNS1_9scan_implILNS1_25lookback_scan_determinismE0ELb0ELb0ES3_N6thrust23THRUST_200600_302600_NS6detail15normal_iteratorINS9_10device_ptrIsEEEENS9_16discard_iteratorINS9_11use_defaultEEEsNS9_4plusIvEEsEEDaPvRmT3_T4_T5_mT6_P12ihipStream_tbENKUlT_T0_E_clISt17integral_constantIbLb1EESX_EEDaSS_ST_EUlSS_E0_NS1_11comp_targetILNS1_3genE10ELNS1_11target_archE1201ELNS1_3gpuE5ELNS1_3repE0EEENS1_30default_config_static_selectorELNS0_4arch9wavefront6targetE1EEEvT1_,"axG",@progbits,_ZN7rocprim17ROCPRIM_400000_NS6detail17trampoline_kernelINS0_14default_configENS1_20scan_config_selectorIsEEZZNS1_9scan_implILNS1_25lookback_scan_determinismE0ELb0ELb0ES3_N6thrust23THRUST_200600_302600_NS6detail15normal_iteratorINS9_10device_ptrIsEEEENS9_16discard_iteratorINS9_11use_defaultEEEsNS9_4plusIvEEsEEDaPvRmT3_T4_T5_mT6_P12ihipStream_tbENKUlT_T0_E_clISt17integral_constantIbLb1EESX_EEDaSS_ST_EUlSS_E0_NS1_11comp_targetILNS1_3genE10ELNS1_11target_archE1201ELNS1_3gpuE5ELNS1_3repE0EEENS1_30default_config_static_selectorELNS0_4arch9wavefront6targetE1EEEvT1_,comdat
	.protected	_ZN7rocprim17ROCPRIM_400000_NS6detail17trampoline_kernelINS0_14default_configENS1_20scan_config_selectorIsEEZZNS1_9scan_implILNS1_25lookback_scan_determinismE0ELb0ELb0ES3_N6thrust23THRUST_200600_302600_NS6detail15normal_iteratorINS9_10device_ptrIsEEEENS9_16discard_iteratorINS9_11use_defaultEEEsNS9_4plusIvEEsEEDaPvRmT3_T4_T5_mT6_P12ihipStream_tbENKUlT_T0_E_clISt17integral_constantIbLb1EESX_EEDaSS_ST_EUlSS_E0_NS1_11comp_targetILNS1_3genE10ELNS1_11target_archE1201ELNS1_3gpuE5ELNS1_3repE0EEENS1_30default_config_static_selectorELNS0_4arch9wavefront6targetE1EEEvT1_ ; -- Begin function _ZN7rocprim17ROCPRIM_400000_NS6detail17trampoline_kernelINS0_14default_configENS1_20scan_config_selectorIsEEZZNS1_9scan_implILNS1_25lookback_scan_determinismE0ELb0ELb0ES3_N6thrust23THRUST_200600_302600_NS6detail15normal_iteratorINS9_10device_ptrIsEEEENS9_16discard_iteratorINS9_11use_defaultEEEsNS9_4plusIvEEsEEDaPvRmT3_T4_T5_mT6_P12ihipStream_tbENKUlT_T0_E_clISt17integral_constantIbLb1EESX_EEDaSS_ST_EUlSS_E0_NS1_11comp_targetILNS1_3genE10ELNS1_11target_archE1201ELNS1_3gpuE5ELNS1_3repE0EEENS1_30default_config_static_selectorELNS0_4arch9wavefront6targetE1EEEvT1_
	.globl	_ZN7rocprim17ROCPRIM_400000_NS6detail17trampoline_kernelINS0_14default_configENS1_20scan_config_selectorIsEEZZNS1_9scan_implILNS1_25lookback_scan_determinismE0ELb0ELb0ES3_N6thrust23THRUST_200600_302600_NS6detail15normal_iteratorINS9_10device_ptrIsEEEENS9_16discard_iteratorINS9_11use_defaultEEEsNS9_4plusIvEEsEEDaPvRmT3_T4_T5_mT6_P12ihipStream_tbENKUlT_T0_E_clISt17integral_constantIbLb1EESX_EEDaSS_ST_EUlSS_E0_NS1_11comp_targetILNS1_3genE10ELNS1_11target_archE1201ELNS1_3gpuE5ELNS1_3repE0EEENS1_30default_config_static_selectorELNS0_4arch9wavefront6targetE1EEEvT1_
	.p2align	8
	.type	_ZN7rocprim17ROCPRIM_400000_NS6detail17trampoline_kernelINS0_14default_configENS1_20scan_config_selectorIsEEZZNS1_9scan_implILNS1_25lookback_scan_determinismE0ELb0ELb0ES3_N6thrust23THRUST_200600_302600_NS6detail15normal_iteratorINS9_10device_ptrIsEEEENS9_16discard_iteratorINS9_11use_defaultEEEsNS9_4plusIvEEsEEDaPvRmT3_T4_T5_mT6_P12ihipStream_tbENKUlT_T0_E_clISt17integral_constantIbLb1EESX_EEDaSS_ST_EUlSS_E0_NS1_11comp_targetILNS1_3genE10ELNS1_11target_archE1201ELNS1_3gpuE5ELNS1_3repE0EEENS1_30default_config_static_selectorELNS0_4arch9wavefront6targetE1EEEvT1_,@function
_ZN7rocprim17ROCPRIM_400000_NS6detail17trampoline_kernelINS0_14default_configENS1_20scan_config_selectorIsEEZZNS1_9scan_implILNS1_25lookback_scan_determinismE0ELb0ELb0ES3_N6thrust23THRUST_200600_302600_NS6detail15normal_iteratorINS9_10device_ptrIsEEEENS9_16discard_iteratorINS9_11use_defaultEEEsNS9_4plusIvEEsEEDaPvRmT3_T4_T5_mT6_P12ihipStream_tbENKUlT_T0_E_clISt17integral_constantIbLb1EESX_EEDaSS_ST_EUlSS_E0_NS1_11comp_targetILNS1_3genE10ELNS1_11target_archE1201ELNS1_3gpuE5ELNS1_3repE0EEENS1_30default_config_static_selectorELNS0_4arch9wavefront6targetE1EEEvT1_: ; @_ZN7rocprim17ROCPRIM_400000_NS6detail17trampoline_kernelINS0_14default_configENS1_20scan_config_selectorIsEEZZNS1_9scan_implILNS1_25lookback_scan_determinismE0ELb0ELb0ES3_N6thrust23THRUST_200600_302600_NS6detail15normal_iteratorINS9_10device_ptrIsEEEENS9_16discard_iteratorINS9_11use_defaultEEEsNS9_4plusIvEEsEEDaPvRmT3_T4_T5_mT6_P12ihipStream_tbENKUlT_T0_E_clISt17integral_constantIbLb1EESX_EEDaSS_ST_EUlSS_E0_NS1_11comp_targetILNS1_3genE10ELNS1_11target_archE1201ELNS1_3gpuE5ELNS1_3repE0EEENS1_30default_config_static_selectorELNS0_4arch9wavefront6targetE1EEEvT1_
; %bb.0:
	.section	.rodata,"a",@progbits
	.p2align	6, 0x0
	.amdhsa_kernel _ZN7rocprim17ROCPRIM_400000_NS6detail17trampoline_kernelINS0_14default_configENS1_20scan_config_selectorIsEEZZNS1_9scan_implILNS1_25lookback_scan_determinismE0ELb0ELb0ES3_N6thrust23THRUST_200600_302600_NS6detail15normal_iteratorINS9_10device_ptrIsEEEENS9_16discard_iteratorINS9_11use_defaultEEEsNS9_4plusIvEEsEEDaPvRmT3_T4_T5_mT6_P12ihipStream_tbENKUlT_T0_E_clISt17integral_constantIbLb1EESX_EEDaSS_ST_EUlSS_E0_NS1_11comp_targetILNS1_3genE10ELNS1_11target_archE1201ELNS1_3gpuE5ELNS1_3repE0EEENS1_30default_config_static_selectorELNS0_4arch9wavefront6targetE1EEEvT1_
		.amdhsa_group_segment_fixed_size 0
		.amdhsa_private_segment_fixed_size 0
		.amdhsa_kernarg_size 40
		.amdhsa_user_sgpr_count 6
		.amdhsa_user_sgpr_private_segment_buffer 1
		.amdhsa_user_sgpr_dispatch_ptr 0
		.amdhsa_user_sgpr_queue_ptr 0
		.amdhsa_user_sgpr_kernarg_segment_ptr 1
		.amdhsa_user_sgpr_dispatch_id 0
		.amdhsa_user_sgpr_flat_scratch_init 0
		.amdhsa_user_sgpr_kernarg_preload_length 0
		.amdhsa_user_sgpr_kernarg_preload_offset 0
		.amdhsa_user_sgpr_private_segment_size 0
		.amdhsa_uses_dynamic_stack 0
		.amdhsa_system_sgpr_private_segment_wavefront_offset 0
		.amdhsa_system_sgpr_workgroup_id_x 1
		.amdhsa_system_sgpr_workgroup_id_y 0
		.amdhsa_system_sgpr_workgroup_id_z 0
		.amdhsa_system_sgpr_workgroup_info 0
		.amdhsa_system_vgpr_workitem_id 0
		.amdhsa_next_free_vgpr 1
		.amdhsa_next_free_sgpr 0
		.amdhsa_accum_offset 4
		.amdhsa_reserve_vcc 0
		.amdhsa_reserve_flat_scratch 0
		.amdhsa_float_round_mode_32 0
		.amdhsa_float_round_mode_16_64 0
		.amdhsa_float_denorm_mode_32 3
		.amdhsa_float_denorm_mode_16_64 3
		.amdhsa_dx10_clamp 1
		.amdhsa_ieee_mode 1
		.amdhsa_fp16_overflow 0
		.amdhsa_tg_split 0
		.amdhsa_exception_fp_ieee_invalid_op 0
		.amdhsa_exception_fp_denorm_src 0
		.amdhsa_exception_fp_ieee_div_zero 0
		.amdhsa_exception_fp_ieee_overflow 0
		.amdhsa_exception_fp_ieee_underflow 0
		.amdhsa_exception_fp_ieee_inexact 0
		.amdhsa_exception_int_div_zero 0
	.end_amdhsa_kernel
	.section	.text._ZN7rocprim17ROCPRIM_400000_NS6detail17trampoline_kernelINS0_14default_configENS1_20scan_config_selectorIsEEZZNS1_9scan_implILNS1_25lookback_scan_determinismE0ELb0ELb0ES3_N6thrust23THRUST_200600_302600_NS6detail15normal_iteratorINS9_10device_ptrIsEEEENS9_16discard_iteratorINS9_11use_defaultEEEsNS9_4plusIvEEsEEDaPvRmT3_T4_T5_mT6_P12ihipStream_tbENKUlT_T0_E_clISt17integral_constantIbLb1EESX_EEDaSS_ST_EUlSS_E0_NS1_11comp_targetILNS1_3genE10ELNS1_11target_archE1201ELNS1_3gpuE5ELNS1_3repE0EEENS1_30default_config_static_selectorELNS0_4arch9wavefront6targetE1EEEvT1_,"axG",@progbits,_ZN7rocprim17ROCPRIM_400000_NS6detail17trampoline_kernelINS0_14default_configENS1_20scan_config_selectorIsEEZZNS1_9scan_implILNS1_25lookback_scan_determinismE0ELb0ELb0ES3_N6thrust23THRUST_200600_302600_NS6detail15normal_iteratorINS9_10device_ptrIsEEEENS9_16discard_iteratorINS9_11use_defaultEEEsNS9_4plusIvEEsEEDaPvRmT3_T4_T5_mT6_P12ihipStream_tbENKUlT_T0_E_clISt17integral_constantIbLb1EESX_EEDaSS_ST_EUlSS_E0_NS1_11comp_targetILNS1_3genE10ELNS1_11target_archE1201ELNS1_3gpuE5ELNS1_3repE0EEENS1_30default_config_static_selectorELNS0_4arch9wavefront6targetE1EEEvT1_,comdat
.Lfunc_end5902:
	.size	_ZN7rocprim17ROCPRIM_400000_NS6detail17trampoline_kernelINS0_14default_configENS1_20scan_config_selectorIsEEZZNS1_9scan_implILNS1_25lookback_scan_determinismE0ELb0ELb0ES3_N6thrust23THRUST_200600_302600_NS6detail15normal_iteratorINS9_10device_ptrIsEEEENS9_16discard_iteratorINS9_11use_defaultEEEsNS9_4plusIvEEsEEDaPvRmT3_T4_T5_mT6_P12ihipStream_tbENKUlT_T0_E_clISt17integral_constantIbLb1EESX_EEDaSS_ST_EUlSS_E0_NS1_11comp_targetILNS1_3genE10ELNS1_11target_archE1201ELNS1_3gpuE5ELNS1_3repE0EEENS1_30default_config_static_selectorELNS0_4arch9wavefront6targetE1EEEvT1_, .Lfunc_end5902-_ZN7rocprim17ROCPRIM_400000_NS6detail17trampoline_kernelINS0_14default_configENS1_20scan_config_selectorIsEEZZNS1_9scan_implILNS1_25lookback_scan_determinismE0ELb0ELb0ES3_N6thrust23THRUST_200600_302600_NS6detail15normal_iteratorINS9_10device_ptrIsEEEENS9_16discard_iteratorINS9_11use_defaultEEEsNS9_4plusIvEEsEEDaPvRmT3_T4_T5_mT6_P12ihipStream_tbENKUlT_T0_E_clISt17integral_constantIbLb1EESX_EEDaSS_ST_EUlSS_E0_NS1_11comp_targetILNS1_3genE10ELNS1_11target_archE1201ELNS1_3gpuE5ELNS1_3repE0EEENS1_30default_config_static_selectorELNS0_4arch9wavefront6targetE1EEEvT1_
                                        ; -- End function
	.section	.AMDGPU.csdata,"",@progbits
; Kernel info:
; codeLenInByte = 0
; NumSgprs: 4
; NumVgprs: 0
; NumAgprs: 0
; TotalNumVgprs: 0
; ScratchSize: 0
; MemoryBound: 0
; FloatMode: 240
; IeeeMode: 1
; LDSByteSize: 0 bytes/workgroup (compile time only)
; SGPRBlocks: 0
; VGPRBlocks: 0
; NumSGPRsForWavesPerEU: 4
; NumVGPRsForWavesPerEU: 1
; AccumOffset: 4
; Occupancy: 8
; WaveLimiterHint : 0
; COMPUTE_PGM_RSRC2:SCRATCH_EN: 0
; COMPUTE_PGM_RSRC2:USER_SGPR: 6
; COMPUTE_PGM_RSRC2:TRAP_HANDLER: 0
; COMPUTE_PGM_RSRC2:TGID_X_EN: 1
; COMPUTE_PGM_RSRC2:TGID_Y_EN: 0
; COMPUTE_PGM_RSRC2:TGID_Z_EN: 0
; COMPUTE_PGM_RSRC2:TIDIG_COMP_CNT: 0
; COMPUTE_PGM_RSRC3_GFX90A:ACCUM_OFFSET: 0
; COMPUTE_PGM_RSRC3_GFX90A:TG_SPLIT: 0
	.section	.text._ZN7rocprim17ROCPRIM_400000_NS6detail17trampoline_kernelINS0_14default_configENS1_20scan_config_selectorIsEEZZNS1_9scan_implILNS1_25lookback_scan_determinismE0ELb0ELb0ES3_N6thrust23THRUST_200600_302600_NS6detail15normal_iteratorINS9_10device_ptrIsEEEENS9_16discard_iteratorINS9_11use_defaultEEEsNS9_4plusIvEEsEEDaPvRmT3_T4_T5_mT6_P12ihipStream_tbENKUlT_T0_E_clISt17integral_constantIbLb1EESX_EEDaSS_ST_EUlSS_E0_NS1_11comp_targetILNS1_3genE10ELNS1_11target_archE1200ELNS1_3gpuE4ELNS1_3repE0EEENS1_30default_config_static_selectorELNS0_4arch9wavefront6targetE1EEEvT1_,"axG",@progbits,_ZN7rocprim17ROCPRIM_400000_NS6detail17trampoline_kernelINS0_14default_configENS1_20scan_config_selectorIsEEZZNS1_9scan_implILNS1_25lookback_scan_determinismE0ELb0ELb0ES3_N6thrust23THRUST_200600_302600_NS6detail15normal_iteratorINS9_10device_ptrIsEEEENS9_16discard_iteratorINS9_11use_defaultEEEsNS9_4plusIvEEsEEDaPvRmT3_T4_T5_mT6_P12ihipStream_tbENKUlT_T0_E_clISt17integral_constantIbLb1EESX_EEDaSS_ST_EUlSS_E0_NS1_11comp_targetILNS1_3genE10ELNS1_11target_archE1200ELNS1_3gpuE4ELNS1_3repE0EEENS1_30default_config_static_selectorELNS0_4arch9wavefront6targetE1EEEvT1_,comdat
	.protected	_ZN7rocprim17ROCPRIM_400000_NS6detail17trampoline_kernelINS0_14default_configENS1_20scan_config_selectorIsEEZZNS1_9scan_implILNS1_25lookback_scan_determinismE0ELb0ELb0ES3_N6thrust23THRUST_200600_302600_NS6detail15normal_iteratorINS9_10device_ptrIsEEEENS9_16discard_iteratorINS9_11use_defaultEEEsNS9_4plusIvEEsEEDaPvRmT3_T4_T5_mT6_P12ihipStream_tbENKUlT_T0_E_clISt17integral_constantIbLb1EESX_EEDaSS_ST_EUlSS_E0_NS1_11comp_targetILNS1_3genE10ELNS1_11target_archE1200ELNS1_3gpuE4ELNS1_3repE0EEENS1_30default_config_static_selectorELNS0_4arch9wavefront6targetE1EEEvT1_ ; -- Begin function _ZN7rocprim17ROCPRIM_400000_NS6detail17trampoline_kernelINS0_14default_configENS1_20scan_config_selectorIsEEZZNS1_9scan_implILNS1_25lookback_scan_determinismE0ELb0ELb0ES3_N6thrust23THRUST_200600_302600_NS6detail15normal_iteratorINS9_10device_ptrIsEEEENS9_16discard_iteratorINS9_11use_defaultEEEsNS9_4plusIvEEsEEDaPvRmT3_T4_T5_mT6_P12ihipStream_tbENKUlT_T0_E_clISt17integral_constantIbLb1EESX_EEDaSS_ST_EUlSS_E0_NS1_11comp_targetILNS1_3genE10ELNS1_11target_archE1200ELNS1_3gpuE4ELNS1_3repE0EEENS1_30default_config_static_selectorELNS0_4arch9wavefront6targetE1EEEvT1_
	.globl	_ZN7rocprim17ROCPRIM_400000_NS6detail17trampoline_kernelINS0_14default_configENS1_20scan_config_selectorIsEEZZNS1_9scan_implILNS1_25lookback_scan_determinismE0ELb0ELb0ES3_N6thrust23THRUST_200600_302600_NS6detail15normal_iteratorINS9_10device_ptrIsEEEENS9_16discard_iteratorINS9_11use_defaultEEEsNS9_4plusIvEEsEEDaPvRmT3_T4_T5_mT6_P12ihipStream_tbENKUlT_T0_E_clISt17integral_constantIbLb1EESX_EEDaSS_ST_EUlSS_E0_NS1_11comp_targetILNS1_3genE10ELNS1_11target_archE1200ELNS1_3gpuE4ELNS1_3repE0EEENS1_30default_config_static_selectorELNS0_4arch9wavefront6targetE1EEEvT1_
	.p2align	8
	.type	_ZN7rocprim17ROCPRIM_400000_NS6detail17trampoline_kernelINS0_14default_configENS1_20scan_config_selectorIsEEZZNS1_9scan_implILNS1_25lookback_scan_determinismE0ELb0ELb0ES3_N6thrust23THRUST_200600_302600_NS6detail15normal_iteratorINS9_10device_ptrIsEEEENS9_16discard_iteratorINS9_11use_defaultEEEsNS9_4plusIvEEsEEDaPvRmT3_T4_T5_mT6_P12ihipStream_tbENKUlT_T0_E_clISt17integral_constantIbLb1EESX_EEDaSS_ST_EUlSS_E0_NS1_11comp_targetILNS1_3genE10ELNS1_11target_archE1200ELNS1_3gpuE4ELNS1_3repE0EEENS1_30default_config_static_selectorELNS0_4arch9wavefront6targetE1EEEvT1_,@function
_ZN7rocprim17ROCPRIM_400000_NS6detail17trampoline_kernelINS0_14default_configENS1_20scan_config_selectorIsEEZZNS1_9scan_implILNS1_25lookback_scan_determinismE0ELb0ELb0ES3_N6thrust23THRUST_200600_302600_NS6detail15normal_iteratorINS9_10device_ptrIsEEEENS9_16discard_iteratorINS9_11use_defaultEEEsNS9_4plusIvEEsEEDaPvRmT3_T4_T5_mT6_P12ihipStream_tbENKUlT_T0_E_clISt17integral_constantIbLb1EESX_EEDaSS_ST_EUlSS_E0_NS1_11comp_targetILNS1_3genE10ELNS1_11target_archE1200ELNS1_3gpuE4ELNS1_3repE0EEENS1_30default_config_static_selectorELNS0_4arch9wavefront6targetE1EEEvT1_: ; @_ZN7rocprim17ROCPRIM_400000_NS6detail17trampoline_kernelINS0_14default_configENS1_20scan_config_selectorIsEEZZNS1_9scan_implILNS1_25lookback_scan_determinismE0ELb0ELb0ES3_N6thrust23THRUST_200600_302600_NS6detail15normal_iteratorINS9_10device_ptrIsEEEENS9_16discard_iteratorINS9_11use_defaultEEEsNS9_4plusIvEEsEEDaPvRmT3_T4_T5_mT6_P12ihipStream_tbENKUlT_T0_E_clISt17integral_constantIbLb1EESX_EEDaSS_ST_EUlSS_E0_NS1_11comp_targetILNS1_3genE10ELNS1_11target_archE1200ELNS1_3gpuE4ELNS1_3repE0EEENS1_30default_config_static_selectorELNS0_4arch9wavefront6targetE1EEEvT1_
; %bb.0:
	.section	.rodata,"a",@progbits
	.p2align	6, 0x0
	.amdhsa_kernel _ZN7rocprim17ROCPRIM_400000_NS6detail17trampoline_kernelINS0_14default_configENS1_20scan_config_selectorIsEEZZNS1_9scan_implILNS1_25lookback_scan_determinismE0ELb0ELb0ES3_N6thrust23THRUST_200600_302600_NS6detail15normal_iteratorINS9_10device_ptrIsEEEENS9_16discard_iteratorINS9_11use_defaultEEEsNS9_4plusIvEEsEEDaPvRmT3_T4_T5_mT6_P12ihipStream_tbENKUlT_T0_E_clISt17integral_constantIbLb1EESX_EEDaSS_ST_EUlSS_E0_NS1_11comp_targetILNS1_3genE10ELNS1_11target_archE1200ELNS1_3gpuE4ELNS1_3repE0EEENS1_30default_config_static_selectorELNS0_4arch9wavefront6targetE1EEEvT1_
		.amdhsa_group_segment_fixed_size 0
		.amdhsa_private_segment_fixed_size 0
		.amdhsa_kernarg_size 40
		.amdhsa_user_sgpr_count 6
		.amdhsa_user_sgpr_private_segment_buffer 1
		.amdhsa_user_sgpr_dispatch_ptr 0
		.amdhsa_user_sgpr_queue_ptr 0
		.amdhsa_user_sgpr_kernarg_segment_ptr 1
		.amdhsa_user_sgpr_dispatch_id 0
		.amdhsa_user_sgpr_flat_scratch_init 0
		.amdhsa_user_sgpr_kernarg_preload_length 0
		.amdhsa_user_sgpr_kernarg_preload_offset 0
		.amdhsa_user_sgpr_private_segment_size 0
		.amdhsa_uses_dynamic_stack 0
		.amdhsa_system_sgpr_private_segment_wavefront_offset 0
		.amdhsa_system_sgpr_workgroup_id_x 1
		.amdhsa_system_sgpr_workgroup_id_y 0
		.amdhsa_system_sgpr_workgroup_id_z 0
		.amdhsa_system_sgpr_workgroup_info 0
		.amdhsa_system_vgpr_workitem_id 0
		.amdhsa_next_free_vgpr 1
		.amdhsa_next_free_sgpr 0
		.amdhsa_accum_offset 4
		.amdhsa_reserve_vcc 0
		.amdhsa_reserve_flat_scratch 0
		.amdhsa_float_round_mode_32 0
		.amdhsa_float_round_mode_16_64 0
		.amdhsa_float_denorm_mode_32 3
		.amdhsa_float_denorm_mode_16_64 3
		.amdhsa_dx10_clamp 1
		.amdhsa_ieee_mode 1
		.amdhsa_fp16_overflow 0
		.amdhsa_tg_split 0
		.amdhsa_exception_fp_ieee_invalid_op 0
		.amdhsa_exception_fp_denorm_src 0
		.amdhsa_exception_fp_ieee_div_zero 0
		.amdhsa_exception_fp_ieee_overflow 0
		.amdhsa_exception_fp_ieee_underflow 0
		.amdhsa_exception_fp_ieee_inexact 0
		.amdhsa_exception_int_div_zero 0
	.end_amdhsa_kernel
	.section	.text._ZN7rocprim17ROCPRIM_400000_NS6detail17trampoline_kernelINS0_14default_configENS1_20scan_config_selectorIsEEZZNS1_9scan_implILNS1_25lookback_scan_determinismE0ELb0ELb0ES3_N6thrust23THRUST_200600_302600_NS6detail15normal_iteratorINS9_10device_ptrIsEEEENS9_16discard_iteratorINS9_11use_defaultEEEsNS9_4plusIvEEsEEDaPvRmT3_T4_T5_mT6_P12ihipStream_tbENKUlT_T0_E_clISt17integral_constantIbLb1EESX_EEDaSS_ST_EUlSS_E0_NS1_11comp_targetILNS1_3genE10ELNS1_11target_archE1200ELNS1_3gpuE4ELNS1_3repE0EEENS1_30default_config_static_selectorELNS0_4arch9wavefront6targetE1EEEvT1_,"axG",@progbits,_ZN7rocprim17ROCPRIM_400000_NS6detail17trampoline_kernelINS0_14default_configENS1_20scan_config_selectorIsEEZZNS1_9scan_implILNS1_25lookback_scan_determinismE0ELb0ELb0ES3_N6thrust23THRUST_200600_302600_NS6detail15normal_iteratorINS9_10device_ptrIsEEEENS9_16discard_iteratorINS9_11use_defaultEEEsNS9_4plusIvEEsEEDaPvRmT3_T4_T5_mT6_P12ihipStream_tbENKUlT_T0_E_clISt17integral_constantIbLb1EESX_EEDaSS_ST_EUlSS_E0_NS1_11comp_targetILNS1_3genE10ELNS1_11target_archE1200ELNS1_3gpuE4ELNS1_3repE0EEENS1_30default_config_static_selectorELNS0_4arch9wavefront6targetE1EEEvT1_,comdat
.Lfunc_end5903:
	.size	_ZN7rocprim17ROCPRIM_400000_NS6detail17trampoline_kernelINS0_14default_configENS1_20scan_config_selectorIsEEZZNS1_9scan_implILNS1_25lookback_scan_determinismE0ELb0ELb0ES3_N6thrust23THRUST_200600_302600_NS6detail15normal_iteratorINS9_10device_ptrIsEEEENS9_16discard_iteratorINS9_11use_defaultEEEsNS9_4plusIvEEsEEDaPvRmT3_T4_T5_mT6_P12ihipStream_tbENKUlT_T0_E_clISt17integral_constantIbLb1EESX_EEDaSS_ST_EUlSS_E0_NS1_11comp_targetILNS1_3genE10ELNS1_11target_archE1200ELNS1_3gpuE4ELNS1_3repE0EEENS1_30default_config_static_selectorELNS0_4arch9wavefront6targetE1EEEvT1_, .Lfunc_end5903-_ZN7rocprim17ROCPRIM_400000_NS6detail17trampoline_kernelINS0_14default_configENS1_20scan_config_selectorIsEEZZNS1_9scan_implILNS1_25lookback_scan_determinismE0ELb0ELb0ES3_N6thrust23THRUST_200600_302600_NS6detail15normal_iteratorINS9_10device_ptrIsEEEENS9_16discard_iteratorINS9_11use_defaultEEEsNS9_4plusIvEEsEEDaPvRmT3_T4_T5_mT6_P12ihipStream_tbENKUlT_T0_E_clISt17integral_constantIbLb1EESX_EEDaSS_ST_EUlSS_E0_NS1_11comp_targetILNS1_3genE10ELNS1_11target_archE1200ELNS1_3gpuE4ELNS1_3repE0EEENS1_30default_config_static_selectorELNS0_4arch9wavefront6targetE1EEEvT1_
                                        ; -- End function
	.section	.AMDGPU.csdata,"",@progbits
; Kernel info:
; codeLenInByte = 0
; NumSgprs: 4
; NumVgprs: 0
; NumAgprs: 0
; TotalNumVgprs: 0
; ScratchSize: 0
; MemoryBound: 0
; FloatMode: 240
; IeeeMode: 1
; LDSByteSize: 0 bytes/workgroup (compile time only)
; SGPRBlocks: 0
; VGPRBlocks: 0
; NumSGPRsForWavesPerEU: 4
; NumVGPRsForWavesPerEU: 1
; AccumOffset: 4
; Occupancy: 8
; WaveLimiterHint : 0
; COMPUTE_PGM_RSRC2:SCRATCH_EN: 0
; COMPUTE_PGM_RSRC2:USER_SGPR: 6
; COMPUTE_PGM_RSRC2:TRAP_HANDLER: 0
; COMPUTE_PGM_RSRC2:TGID_X_EN: 1
; COMPUTE_PGM_RSRC2:TGID_Y_EN: 0
; COMPUTE_PGM_RSRC2:TGID_Z_EN: 0
; COMPUTE_PGM_RSRC2:TIDIG_COMP_CNT: 0
; COMPUTE_PGM_RSRC3_GFX90A:ACCUM_OFFSET: 0
; COMPUTE_PGM_RSRC3_GFX90A:TG_SPLIT: 0
	.section	.text._ZN7rocprim17ROCPRIM_400000_NS6detail17trampoline_kernelINS0_14default_configENS1_20scan_config_selectorIsEEZZNS1_9scan_implILNS1_25lookback_scan_determinismE0ELb0ELb0ES3_N6thrust23THRUST_200600_302600_NS6detail15normal_iteratorINS9_10device_ptrIsEEEENS9_16discard_iteratorINS9_11use_defaultEEEsNS9_4plusIvEEsEEDaPvRmT3_T4_T5_mT6_P12ihipStream_tbENKUlT_T0_E_clISt17integral_constantIbLb1EESX_EEDaSS_ST_EUlSS_E0_NS1_11comp_targetILNS1_3genE9ELNS1_11target_archE1100ELNS1_3gpuE3ELNS1_3repE0EEENS1_30default_config_static_selectorELNS0_4arch9wavefront6targetE1EEEvT1_,"axG",@progbits,_ZN7rocprim17ROCPRIM_400000_NS6detail17trampoline_kernelINS0_14default_configENS1_20scan_config_selectorIsEEZZNS1_9scan_implILNS1_25lookback_scan_determinismE0ELb0ELb0ES3_N6thrust23THRUST_200600_302600_NS6detail15normal_iteratorINS9_10device_ptrIsEEEENS9_16discard_iteratorINS9_11use_defaultEEEsNS9_4plusIvEEsEEDaPvRmT3_T4_T5_mT6_P12ihipStream_tbENKUlT_T0_E_clISt17integral_constantIbLb1EESX_EEDaSS_ST_EUlSS_E0_NS1_11comp_targetILNS1_3genE9ELNS1_11target_archE1100ELNS1_3gpuE3ELNS1_3repE0EEENS1_30default_config_static_selectorELNS0_4arch9wavefront6targetE1EEEvT1_,comdat
	.protected	_ZN7rocprim17ROCPRIM_400000_NS6detail17trampoline_kernelINS0_14default_configENS1_20scan_config_selectorIsEEZZNS1_9scan_implILNS1_25lookback_scan_determinismE0ELb0ELb0ES3_N6thrust23THRUST_200600_302600_NS6detail15normal_iteratorINS9_10device_ptrIsEEEENS9_16discard_iteratorINS9_11use_defaultEEEsNS9_4plusIvEEsEEDaPvRmT3_T4_T5_mT6_P12ihipStream_tbENKUlT_T0_E_clISt17integral_constantIbLb1EESX_EEDaSS_ST_EUlSS_E0_NS1_11comp_targetILNS1_3genE9ELNS1_11target_archE1100ELNS1_3gpuE3ELNS1_3repE0EEENS1_30default_config_static_selectorELNS0_4arch9wavefront6targetE1EEEvT1_ ; -- Begin function _ZN7rocprim17ROCPRIM_400000_NS6detail17trampoline_kernelINS0_14default_configENS1_20scan_config_selectorIsEEZZNS1_9scan_implILNS1_25lookback_scan_determinismE0ELb0ELb0ES3_N6thrust23THRUST_200600_302600_NS6detail15normal_iteratorINS9_10device_ptrIsEEEENS9_16discard_iteratorINS9_11use_defaultEEEsNS9_4plusIvEEsEEDaPvRmT3_T4_T5_mT6_P12ihipStream_tbENKUlT_T0_E_clISt17integral_constantIbLb1EESX_EEDaSS_ST_EUlSS_E0_NS1_11comp_targetILNS1_3genE9ELNS1_11target_archE1100ELNS1_3gpuE3ELNS1_3repE0EEENS1_30default_config_static_selectorELNS0_4arch9wavefront6targetE1EEEvT1_
	.globl	_ZN7rocprim17ROCPRIM_400000_NS6detail17trampoline_kernelINS0_14default_configENS1_20scan_config_selectorIsEEZZNS1_9scan_implILNS1_25lookback_scan_determinismE0ELb0ELb0ES3_N6thrust23THRUST_200600_302600_NS6detail15normal_iteratorINS9_10device_ptrIsEEEENS9_16discard_iteratorINS9_11use_defaultEEEsNS9_4plusIvEEsEEDaPvRmT3_T4_T5_mT6_P12ihipStream_tbENKUlT_T0_E_clISt17integral_constantIbLb1EESX_EEDaSS_ST_EUlSS_E0_NS1_11comp_targetILNS1_3genE9ELNS1_11target_archE1100ELNS1_3gpuE3ELNS1_3repE0EEENS1_30default_config_static_selectorELNS0_4arch9wavefront6targetE1EEEvT1_
	.p2align	8
	.type	_ZN7rocprim17ROCPRIM_400000_NS6detail17trampoline_kernelINS0_14default_configENS1_20scan_config_selectorIsEEZZNS1_9scan_implILNS1_25lookback_scan_determinismE0ELb0ELb0ES3_N6thrust23THRUST_200600_302600_NS6detail15normal_iteratorINS9_10device_ptrIsEEEENS9_16discard_iteratorINS9_11use_defaultEEEsNS9_4plusIvEEsEEDaPvRmT3_T4_T5_mT6_P12ihipStream_tbENKUlT_T0_E_clISt17integral_constantIbLb1EESX_EEDaSS_ST_EUlSS_E0_NS1_11comp_targetILNS1_3genE9ELNS1_11target_archE1100ELNS1_3gpuE3ELNS1_3repE0EEENS1_30default_config_static_selectorELNS0_4arch9wavefront6targetE1EEEvT1_,@function
_ZN7rocprim17ROCPRIM_400000_NS6detail17trampoline_kernelINS0_14default_configENS1_20scan_config_selectorIsEEZZNS1_9scan_implILNS1_25lookback_scan_determinismE0ELb0ELb0ES3_N6thrust23THRUST_200600_302600_NS6detail15normal_iteratorINS9_10device_ptrIsEEEENS9_16discard_iteratorINS9_11use_defaultEEEsNS9_4plusIvEEsEEDaPvRmT3_T4_T5_mT6_P12ihipStream_tbENKUlT_T0_E_clISt17integral_constantIbLb1EESX_EEDaSS_ST_EUlSS_E0_NS1_11comp_targetILNS1_3genE9ELNS1_11target_archE1100ELNS1_3gpuE3ELNS1_3repE0EEENS1_30default_config_static_selectorELNS0_4arch9wavefront6targetE1EEEvT1_: ; @_ZN7rocprim17ROCPRIM_400000_NS6detail17trampoline_kernelINS0_14default_configENS1_20scan_config_selectorIsEEZZNS1_9scan_implILNS1_25lookback_scan_determinismE0ELb0ELb0ES3_N6thrust23THRUST_200600_302600_NS6detail15normal_iteratorINS9_10device_ptrIsEEEENS9_16discard_iteratorINS9_11use_defaultEEEsNS9_4plusIvEEsEEDaPvRmT3_T4_T5_mT6_P12ihipStream_tbENKUlT_T0_E_clISt17integral_constantIbLb1EESX_EEDaSS_ST_EUlSS_E0_NS1_11comp_targetILNS1_3genE9ELNS1_11target_archE1100ELNS1_3gpuE3ELNS1_3repE0EEENS1_30default_config_static_selectorELNS0_4arch9wavefront6targetE1EEEvT1_
; %bb.0:
	.section	.rodata,"a",@progbits
	.p2align	6, 0x0
	.amdhsa_kernel _ZN7rocprim17ROCPRIM_400000_NS6detail17trampoline_kernelINS0_14default_configENS1_20scan_config_selectorIsEEZZNS1_9scan_implILNS1_25lookback_scan_determinismE0ELb0ELb0ES3_N6thrust23THRUST_200600_302600_NS6detail15normal_iteratorINS9_10device_ptrIsEEEENS9_16discard_iteratorINS9_11use_defaultEEEsNS9_4plusIvEEsEEDaPvRmT3_T4_T5_mT6_P12ihipStream_tbENKUlT_T0_E_clISt17integral_constantIbLb1EESX_EEDaSS_ST_EUlSS_E0_NS1_11comp_targetILNS1_3genE9ELNS1_11target_archE1100ELNS1_3gpuE3ELNS1_3repE0EEENS1_30default_config_static_selectorELNS0_4arch9wavefront6targetE1EEEvT1_
		.amdhsa_group_segment_fixed_size 0
		.amdhsa_private_segment_fixed_size 0
		.amdhsa_kernarg_size 40
		.amdhsa_user_sgpr_count 6
		.amdhsa_user_sgpr_private_segment_buffer 1
		.amdhsa_user_sgpr_dispatch_ptr 0
		.amdhsa_user_sgpr_queue_ptr 0
		.amdhsa_user_sgpr_kernarg_segment_ptr 1
		.amdhsa_user_sgpr_dispatch_id 0
		.amdhsa_user_sgpr_flat_scratch_init 0
		.amdhsa_user_sgpr_kernarg_preload_length 0
		.amdhsa_user_sgpr_kernarg_preload_offset 0
		.amdhsa_user_sgpr_private_segment_size 0
		.amdhsa_uses_dynamic_stack 0
		.amdhsa_system_sgpr_private_segment_wavefront_offset 0
		.amdhsa_system_sgpr_workgroup_id_x 1
		.amdhsa_system_sgpr_workgroup_id_y 0
		.amdhsa_system_sgpr_workgroup_id_z 0
		.amdhsa_system_sgpr_workgroup_info 0
		.amdhsa_system_vgpr_workitem_id 0
		.amdhsa_next_free_vgpr 1
		.amdhsa_next_free_sgpr 0
		.amdhsa_accum_offset 4
		.amdhsa_reserve_vcc 0
		.amdhsa_reserve_flat_scratch 0
		.amdhsa_float_round_mode_32 0
		.amdhsa_float_round_mode_16_64 0
		.amdhsa_float_denorm_mode_32 3
		.amdhsa_float_denorm_mode_16_64 3
		.amdhsa_dx10_clamp 1
		.amdhsa_ieee_mode 1
		.amdhsa_fp16_overflow 0
		.amdhsa_tg_split 0
		.amdhsa_exception_fp_ieee_invalid_op 0
		.amdhsa_exception_fp_denorm_src 0
		.amdhsa_exception_fp_ieee_div_zero 0
		.amdhsa_exception_fp_ieee_overflow 0
		.amdhsa_exception_fp_ieee_underflow 0
		.amdhsa_exception_fp_ieee_inexact 0
		.amdhsa_exception_int_div_zero 0
	.end_amdhsa_kernel
	.section	.text._ZN7rocprim17ROCPRIM_400000_NS6detail17trampoline_kernelINS0_14default_configENS1_20scan_config_selectorIsEEZZNS1_9scan_implILNS1_25lookback_scan_determinismE0ELb0ELb0ES3_N6thrust23THRUST_200600_302600_NS6detail15normal_iteratorINS9_10device_ptrIsEEEENS9_16discard_iteratorINS9_11use_defaultEEEsNS9_4plusIvEEsEEDaPvRmT3_T4_T5_mT6_P12ihipStream_tbENKUlT_T0_E_clISt17integral_constantIbLb1EESX_EEDaSS_ST_EUlSS_E0_NS1_11comp_targetILNS1_3genE9ELNS1_11target_archE1100ELNS1_3gpuE3ELNS1_3repE0EEENS1_30default_config_static_selectorELNS0_4arch9wavefront6targetE1EEEvT1_,"axG",@progbits,_ZN7rocprim17ROCPRIM_400000_NS6detail17trampoline_kernelINS0_14default_configENS1_20scan_config_selectorIsEEZZNS1_9scan_implILNS1_25lookback_scan_determinismE0ELb0ELb0ES3_N6thrust23THRUST_200600_302600_NS6detail15normal_iteratorINS9_10device_ptrIsEEEENS9_16discard_iteratorINS9_11use_defaultEEEsNS9_4plusIvEEsEEDaPvRmT3_T4_T5_mT6_P12ihipStream_tbENKUlT_T0_E_clISt17integral_constantIbLb1EESX_EEDaSS_ST_EUlSS_E0_NS1_11comp_targetILNS1_3genE9ELNS1_11target_archE1100ELNS1_3gpuE3ELNS1_3repE0EEENS1_30default_config_static_selectorELNS0_4arch9wavefront6targetE1EEEvT1_,comdat
.Lfunc_end5904:
	.size	_ZN7rocprim17ROCPRIM_400000_NS6detail17trampoline_kernelINS0_14default_configENS1_20scan_config_selectorIsEEZZNS1_9scan_implILNS1_25lookback_scan_determinismE0ELb0ELb0ES3_N6thrust23THRUST_200600_302600_NS6detail15normal_iteratorINS9_10device_ptrIsEEEENS9_16discard_iteratorINS9_11use_defaultEEEsNS9_4plusIvEEsEEDaPvRmT3_T4_T5_mT6_P12ihipStream_tbENKUlT_T0_E_clISt17integral_constantIbLb1EESX_EEDaSS_ST_EUlSS_E0_NS1_11comp_targetILNS1_3genE9ELNS1_11target_archE1100ELNS1_3gpuE3ELNS1_3repE0EEENS1_30default_config_static_selectorELNS0_4arch9wavefront6targetE1EEEvT1_, .Lfunc_end5904-_ZN7rocprim17ROCPRIM_400000_NS6detail17trampoline_kernelINS0_14default_configENS1_20scan_config_selectorIsEEZZNS1_9scan_implILNS1_25lookback_scan_determinismE0ELb0ELb0ES3_N6thrust23THRUST_200600_302600_NS6detail15normal_iteratorINS9_10device_ptrIsEEEENS9_16discard_iteratorINS9_11use_defaultEEEsNS9_4plusIvEEsEEDaPvRmT3_T4_T5_mT6_P12ihipStream_tbENKUlT_T0_E_clISt17integral_constantIbLb1EESX_EEDaSS_ST_EUlSS_E0_NS1_11comp_targetILNS1_3genE9ELNS1_11target_archE1100ELNS1_3gpuE3ELNS1_3repE0EEENS1_30default_config_static_selectorELNS0_4arch9wavefront6targetE1EEEvT1_
                                        ; -- End function
	.section	.AMDGPU.csdata,"",@progbits
; Kernel info:
; codeLenInByte = 0
; NumSgprs: 4
; NumVgprs: 0
; NumAgprs: 0
; TotalNumVgprs: 0
; ScratchSize: 0
; MemoryBound: 0
; FloatMode: 240
; IeeeMode: 1
; LDSByteSize: 0 bytes/workgroup (compile time only)
; SGPRBlocks: 0
; VGPRBlocks: 0
; NumSGPRsForWavesPerEU: 4
; NumVGPRsForWavesPerEU: 1
; AccumOffset: 4
; Occupancy: 8
; WaveLimiterHint : 0
; COMPUTE_PGM_RSRC2:SCRATCH_EN: 0
; COMPUTE_PGM_RSRC2:USER_SGPR: 6
; COMPUTE_PGM_RSRC2:TRAP_HANDLER: 0
; COMPUTE_PGM_RSRC2:TGID_X_EN: 1
; COMPUTE_PGM_RSRC2:TGID_Y_EN: 0
; COMPUTE_PGM_RSRC2:TGID_Z_EN: 0
; COMPUTE_PGM_RSRC2:TIDIG_COMP_CNT: 0
; COMPUTE_PGM_RSRC3_GFX90A:ACCUM_OFFSET: 0
; COMPUTE_PGM_RSRC3_GFX90A:TG_SPLIT: 0
	.section	.text._ZN7rocprim17ROCPRIM_400000_NS6detail17trampoline_kernelINS0_14default_configENS1_20scan_config_selectorIsEEZZNS1_9scan_implILNS1_25lookback_scan_determinismE0ELb0ELb0ES3_N6thrust23THRUST_200600_302600_NS6detail15normal_iteratorINS9_10device_ptrIsEEEENS9_16discard_iteratorINS9_11use_defaultEEEsNS9_4plusIvEEsEEDaPvRmT3_T4_T5_mT6_P12ihipStream_tbENKUlT_T0_E_clISt17integral_constantIbLb1EESX_EEDaSS_ST_EUlSS_E0_NS1_11comp_targetILNS1_3genE8ELNS1_11target_archE1030ELNS1_3gpuE2ELNS1_3repE0EEENS1_30default_config_static_selectorELNS0_4arch9wavefront6targetE1EEEvT1_,"axG",@progbits,_ZN7rocprim17ROCPRIM_400000_NS6detail17trampoline_kernelINS0_14default_configENS1_20scan_config_selectorIsEEZZNS1_9scan_implILNS1_25lookback_scan_determinismE0ELb0ELb0ES3_N6thrust23THRUST_200600_302600_NS6detail15normal_iteratorINS9_10device_ptrIsEEEENS9_16discard_iteratorINS9_11use_defaultEEEsNS9_4plusIvEEsEEDaPvRmT3_T4_T5_mT6_P12ihipStream_tbENKUlT_T0_E_clISt17integral_constantIbLb1EESX_EEDaSS_ST_EUlSS_E0_NS1_11comp_targetILNS1_3genE8ELNS1_11target_archE1030ELNS1_3gpuE2ELNS1_3repE0EEENS1_30default_config_static_selectorELNS0_4arch9wavefront6targetE1EEEvT1_,comdat
	.protected	_ZN7rocprim17ROCPRIM_400000_NS6detail17trampoline_kernelINS0_14default_configENS1_20scan_config_selectorIsEEZZNS1_9scan_implILNS1_25lookback_scan_determinismE0ELb0ELb0ES3_N6thrust23THRUST_200600_302600_NS6detail15normal_iteratorINS9_10device_ptrIsEEEENS9_16discard_iteratorINS9_11use_defaultEEEsNS9_4plusIvEEsEEDaPvRmT3_T4_T5_mT6_P12ihipStream_tbENKUlT_T0_E_clISt17integral_constantIbLb1EESX_EEDaSS_ST_EUlSS_E0_NS1_11comp_targetILNS1_3genE8ELNS1_11target_archE1030ELNS1_3gpuE2ELNS1_3repE0EEENS1_30default_config_static_selectorELNS0_4arch9wavefront6targetE1EEEvT1_ ; -- Begin function _ZN7rocprim17ROCPRIM_400000_NS6detail17trampoline_kernelINS0_14default_configENS1_20scan_config_selectorIsEEZZNS1_9scan_implILNS1_25lookback_scan_determinismE0ELb0ELb0ES3_N6thrust23THRUST_200600_302600_NS6detail15normal_iteratorINS9_10device_ptrIsEEEENS9_16discard_iteratorINS9_11use_defaultEEEsNS9_4plusIvEEsEEDaPvRmT3_T4_T5_mT6_P12ihipStream_tbENKUlT_T0_E_clISt17integral_constantIbLb1EESX_EEDaSS_ST_EUlSS_E0_NS1_11comp_targetILNS1_3genE8ELNS1_11target_archE1030ELNS1_3gpuE2ELNS1_3repE0EEENS1_30default_config_static_selectorELNS0_4arch9wavefront6targetE1EEEvT1_
	.globl	_ZN7rocprim17ROCPRIM_400000_NS6detail17trampoline_kernelINS0_14default_configENS1_20scan_config_selectorIsEEZZNS1_9scan_implILNS1_25lookback_scan_determinismE0ELb0ELb0ES3_N6thrust23THRUST_200600_302600_NS6detail15normal_iteratorINS9_10device_ptrIsEEEENS9_16discard_iteratorINS9_11use_defaultEEEsNS9_4plusIvEEsEEDaPvRmT3_T4_T5_mT6_P12ihipStream_tbENKUlT_T0_E_clISt17integral_constantIbLb1EESX_EEDaSS_ST_EUlSS_E0_NS1_11comp_targetILNS1_3genE8ELNS1_11target_archE1030ELNS1_3gpuE2ELNS1_3repE0EEENS1_30default_config_static_selectorELNS0_4arch9wavefront6targetE1EEEvT1_
	.p2align	8
	.type	_ZN7rocprim17ROCPRIM_400000_NS6detail17trampoline_kernelINS0_14default_configENS1_20scan_config_selectorIsEEZZNS1_9scan_implILNS1_25lookback_scan_determinismE0ELb0ELb0ES3_N6thrust23THRUST_200600_302600_NS6detail15normal_iteratorINS9_10device_ptrIsEEEENS9_16discard_iteratorINS9_11use_defaultEEEsNS9_4plusIvEEsEEDaPvRmT3_T4_T5_mT6_P12ihipStream_tbENKUlT_T0_E_clISt17integral_constantIbLb1EESX_EEDaSS_ST_EUlSS_E0_NS1_11comp_targetILNS1_3genE8ELNS1_11target_archE1030ELNS1_3gpuE2ELNS1_3repE0EEENS1_30default_config_static_selectorELNS0_4arch9wavefront6targetE1EEEvT1_,@function
_ZN7rocprim17ROCPRIM_400000_NS6detail17trampoline_kernelINS0_14default_configENS1_20scan_config_selectorIsEEZZNS1_9scan_implILNS1_25lookback_scan_determinismE0ELb0ELb0ES3_N6thrust23THRUST_200600_302600_NS6detail15normal_iteratorINS9_10device_ptrIsEEEENS9_16discard_iteratorINS9_11use_defaultEEEsNS9_4plusIvEEsEEDaPvRmT3_T4_T5_mT6_P12ihipStream_tbENKUlT_T0_E_clISt17integral_constantIbLb1EESX_EEDaSS_ST_EUlSS_E0_NS1_11comp_targetILNS1_3genE8ELNS1_11target_archE1030ELNS1_3gpuE2ELNS1_3repE0EEENS1_30default_config_static_selectorELNS0_4arch9wavefront6targetE1EEEvT1_: ; @_ZN7rocprim17ROCPRIM_400000_NS6detail17trampoline_kernelINS0_14default_configENS1_20scan_config_selectorIsEEZZNS1_9scan_implILNS1_25lookback_scan_determinismE0ELb0ELb0ES3_N6thrust23THRUST_200600_302600_NS6detail15normal_iteratorINS9_10device_ptrIsEEEENS9_16discard_iteratorINS9_11use_defaultEEEsNS9_4plusIvEEsEEDaPvRmT3_T4_T5_mT6_P12ihipStream_tbENKUlT_T0_E_clISt17integral_constantIbLb1EESX_EEDaSS_ST_EUlSS_E0_NS1_11comp_targetILNS1_3genE8ELNS1_11target_archE1030ELNS1_3gpuE2ELNS1_3repE0EEENS1_30default_config_static_selectorELNS0_4arch9wavefront6targetE1EEEvT1_
; %bb.0:
	.section	.rodata,"a",@progbits
	.p2align	6, 0x0
	.amdhsa_kernel _ZN7rocprim17ROCPRIM_400000_NS6detail17trampoline_kernelINS0_14default_configENS1_20scan_config_selectorIsEEZZNS1_9scan_implILNS1_25lookback_scan_determinismE0ELb0ELb0ES3_N6thrust23THRUST_200600_302600_NS6detail15normal_iteratorINS9_10device_ptrIsEEEENS9_16discard_iteratorINS9_11use_defaultEEEsNS9_4plusIvEEsEEDaPvRmT3_T4_T5_mT6_P12ihipStream_tbENKUlT_T0_E_clISt17integral_constantIbLb1EESX_EEDaSS_ST_EUlSS_E0_NS1_11comp_targetILNS1_3genE8ELNS1_11target_archE1030ELNS1_3gpuE2ELNS1_3repE0EEENS1_30default_config_static_selectorELNS0_4arch9wavefront6targetE1EEEvT1_
		.amdhsa_group_segment_fixed_size 0
		.amdhsa_private_segment_fixed_size 0
		.amdhsa_kernarg_size 40
		.amdhsa_user_sgpr_count 6
		.amdhsa_user_sgpr_private_segment_buffer 1
		.amdhsa_user_sgpr_dispatch_ptr 0
		.amdhsa_user_sgpr_queue_ptr 0
		.amdhsa_user_sgpr_kernarg_segment_ptr 1
		.amdhsa_user_sgpr_dispatch_id 0
		.amdhsa_user_sgpr_flat_scratch_init 0
		.amdhsa_user_sgpr_kernarg_preload_length 0
		.amdhsa_user_sgpr_kernarg_preload_offset 0
		.amdhsa_user_sgpr_private_segment_size 0
		.amdhsa_uses_dynamic_stack 0
		.amdhsa_system_sgpr_private_segment_wavefront_offset 0
		.amdhsa_system_sgpr_workgroup_id_x 1
		.amdhsa_system_sgpr_workgroup_id_y 0
		.amdhsa_system_sgpr_workgroup_id_z 0
		.amdhsa_system_sgpr_workgroup_info 0
		.amdhsa_system_vgpr_workitem_id 0
		.amdhsa_next_free_vgpr 1
		.amdhsa_next_free_sgpr 0
		.amdhsa_accum_offset 4
		.amdhsa_reserve_vcc 0
		.amdhsa_reserve_flat_scratch 0
		.amdhsa_float_round_mode_32 0
		.amdhsa_float_round_mode_16_64 0
		.amdhsa_float_denorm_mode_32 3
		.amdhsa_float_denorm_mode_16_64 3
		.amdhsa_dx10_clamp 1
		.amdhsa_ieee_mode 1
		.amdhsa_fp16_overflow 0
		.amdhsa_tg_split 0
		.amdhsa_exception_fp_ieee_invalid_op 0
		.amdhsa_exception_fp_denorm_src 0
		.amdhsa_exception_fp_ieee_div_zero 0
		.amdhsa_exception_fp_ieee_overflow 0
		.amdhsa_exception_fp_ieee_underflow 0
		.amdhsa_exception_fp_ieee_inexact 0
		.amdhsa_exception_int_div_zero 0
	.end_amdhsa_kernel
	.section	.text._ZN7rocprim17ROCPRIM_400000_NS6detail17trampoline_kernelINS0_14default_configENS1_20scan_config_selectorIsEEZZNS1_9scan_implILNS1_25lookback_scan_determinismE0ELb0ELb0ES3_N6thrust23THRUST_200600_302600_NS6detail15normal_iteratorINS9_10device_ptrIsEEEENS9_16discard_iteratorINS9_11use_defaultEEEsNS9_4plusIvEEsEEDaPvRmT3_T4_T5_mT6_P12ihipStream_tbENKUlT_T0_E_clISt17integral_constantIbLb1EESX_EEDaSS_ST_EUlSS_E0_NS1_11comp_targetILNS1_3genE8ELNS1_11target_archE1030ELNS1_3gpuE2ELNS1_3repE0EEENS1_30default_config_static_selectorELNS0_4arch9wavefront6targetE1EEEvT1_,"axG",@progbits,_ZN7rocprim17ROCPRIM_400000_NS6detail17trampoline_kernelINS0_14default_configENS1_20scan_config_selectorIsEEZZNS1_9scan_implILNS1_25lookback_scan_determinismE0ELb0ELb0ES3_N6thrust23THRUST_200600_302600_NS6detail15normal_iteratorINS9_10device_ptrIsEEEENS9_16discard_iteratorINS9_11use_defaultEEEsNS9_4plusIvEEsEEDaPvRmT3_T4_T5_mT6_P12ihipStream_tbENKUlT_T0_E_clISt17integral_constantIbLb1EESX_EEDaSS_ST_EUlSS_E0_NS1_11comp_targetILNS1_3genE8ELNS1_11target_archE1030ELNS1_3gpuE2ELNS1_3repE0EEENS1_30default_config_static_selectorELNS0_4arch9wavefront6targetE1EEEvT1_,comdat
.Lfunc_end5905:
	.size	_ZN7rocprim17ROCPRIM_400000_NS6detail17trampoline_kernelINS0_14default_configENS1_20scan_config_selectorIsEEZZNS1_9scan_implILNS1_25lookback_scan_determinismE0ELb0ELb0ES3_N6thrust23THRUST_200600_302600_NS6detail15normal_iteratorINS9_10device_ptrIsEEEENS9_16discard_iteratorINS9_11use_defaultEEEsNS9_4plusIvEEsEEDaPvRmT3_T4_T5_mT6_P12ihipStream_tbENKUlT_T0_E_clISt17integral_constantIbLb1EESX_EEDaSS_ST_EUlSS_E0_NS1_11comp_targetILNS1_3genE8ELNS1_11target_archE1030ELNS1_3gpuE2ELNS1_3repE0EEENS1_30default_config_static_selectorELNS0_4arch9wavefront6targetE1EEEvT1_, .Lfunc_end5905-_ZN7rocprim17ROCPRIM_400000_NS6detail17trampoline_kernelINS0_14default_configENS1_20scan_config_selectorIsEEZZNS1_9scan_implILNS1_25lookback_scan_determinismE0ELb0ELb0ES3_N6thrust23THRUST_200600_302600_NS6detail15normal_iteratorINS9_10device_ptrIsEEEENS9_16discard_iteratorINS9_11use_defaultEEEsNS9_4plusIvEEsEEDaPvRmT3_T4_T5_mT6_P12ihipStream_tbENKUlT_T0_E_clISt17integral_constantIbLb1EESX_EEDaSS_ST_EUlSS_E0_NS1_11comp_targetILNS1_3genE8ELNS1_11target_archE1030ELNS1_3gpuE2ELNS1_3repE0EEENS1_30default_config_static_selectorELNS0_4arch9wavefront6targetE1EEEvT1_
                                        ; -- End function
	.section	.AMDGPU.csdata,"",@progbits
; Kernel info:
; codeLenInByte = 0
; NumSgprs: 4
; NumVgprs: 0
; NumAgprs: 0
; TotalNumVgprs: 0
; ScratchSize: 0
; MemoryBound: 0
; FloatMode: 240
; IeeeMode: 1
; LDSByteSize: 0 bytes/workgroup (compile time only)
; SGPRBlocks: 0
; VGPRBlocks: 0
; NumSGPRsForWavesPerEU: 4
; NumVGPRsForWavesPerEU: 1
; AccumOffset: 4
; Occupancy: 8
; WaveLimiterHint : 0
; COMPUTE_PGM_RSRC2:SCRATCH_EN: 0
; COMPUTE_PGM_RSRC2:USER_SGPR: 6
; COMPUTE_PGM_RSRC2:TRAP_HANDLER: 0
; COMPUTE_PGM_RSRC2:TGID_X_EN: 1
; COMPUTE_PGM_RSRC2:TGID_Y_EN: 0
; COMPUTE_PGM_RSRC2:TGID_Z_EN: 0
; COMPUTE_PGM_RSRC2:TIDIG_COMP_CNT: 0
; COMPUTE_PGM_RSRC3_GFX90A:ACCUM_OFFSET: 0
; COMPUTE_PGM_RSRC3_GFX90A:TG_SPLIT: 0
	.section	.text._ZN7rocprim17ROCPRIM_400000_NS6detail17trampoline_kernelINS0_14default_configENS1_20scan_config_selectorIsEEZZNS1_9scan_implILNS1_25lookback_scan_determinismE0ELb0ELb0ES3_N6thrust23THRUST_200600_302600_NS6detail15normal_iteratorINS9_10device_ptrIsEEEENS9_16discard_iteratorINS9_11use_defaultEEEsNS9_4plusIvEEsEEDaPvRmT3_T4_T5_mT6_P12ihipStream_tbENKUlT_T0_E_clISt17integral_constantIbLb1EESW_IbLb0EEEEDaSS_ST_EUlSS_E_NS1_11comp_targetILNS1_3genE0ELNS1_11target_archE4294967295ELNS1_3gpuE0ELNS1_3repE0EEENS1_30default_config_static_selectorELNS0_4arch9wavefront6targetE1EEEvT1_,"axG",@progbits,_ZN7rocprim17ROCPRIM_400000_NS6detail17trampoline_kernelINS0_14default_configENS1_20scan_config_selectorIsEEZZNS1_9scan_implILNS1_25lookback_scan_determinismE0ELb0ELb0ES3_N6thrust23THRUST_200600_302600_NS6detail15normal_iteratorINS9_10device_ptrIsEEEENS9_16discard_iteratorINS9_11use_defaultEEEsNS9_4plusIvEEsEEDaPvRmT3_T4_T5_mT6_P12ihipStream_tbENKUlT_T0_E_clISt17integral_constantIbLb1EESW_IbLb0EEEEDaSS_ST_EUlSS_E_NS1_11comp_targetILNS1_3genE0ELNS1_11target_archE4294967295ELNS1_3gpuE0ELNS1_3repE0EEENS1_30default_config_static_selectorELNS0_4arch9wavefront6targetE1EEEvT1_,comdat
	.protected	_ZN7rocprim17ROCPRIM_400000_NS6detail17trampoline_kernelINS0_14default_configENS1_20scan_config_selectorIsEEZZNS1_9scan_implILNS1_25lookback_scan_determinismE0ELb0ELb0ES3_N6thrust23THRUST_200600_302600_NS6detail15normal_iteratorINS9_10device_ptrIsEEEENS9_16discard_iteratorINS9_11use_defaultEEEsNS9_4plusIvEEsEEDaPvRmT3_T4_T5_mT6_P12ihipStream_tbENKUlT_T0_E_clISt17integral_constantIbLb1EESW_IbLb0EEEEDaSS_ST_EUlSS_E_NS1_11comp_targetILNS1_3genE0ELNS1_11target_archE4294967295ELNS1_3gpuE0ELNS1_3repE0EEENS1_30default_config_static_selectorELNS0_4arch9wavefront6targetE1EEEvT1_ ; -- Begin function _ZN7rocprim17ROCPRIM_400000_NS6detail17trampoline_kernelINS0_14default_configENS1_20scan_config_selectorIsEEZZNS1_9scan_implILNS1_25lookback_scan_determinismE0ELb0ELb0ES3_N6thrust23THRUST_200600_302600_NS6detail15normal_iteratorINS9_10device_ptrIsEEEENS9_16discard_iteratorINS9_11use_defaultEEEsNS9_4plusIvEEsEEDaPvRmT3_T4_T5_mT6_P12ihipStream_tbENKUlT_T0_E_clISt17integral_constantIbLb1EESW_IbLb0EEEEDaSS_ST_EUlSS_E_NS1_11comp_targetILNS1_3genE0ELNS1_11target_archE4294967295ELNS1_3gpuE0ELNS1_3repE0EEENS1_30default_config_static_selectorELNS0_4arch9wavefront6targetE1EEEvT1_
	.globl	_ZN7rocprim17ROCPRIM_400000_NS6detail17trampoline_kernelINS0_14default_configENS1_20scan_config_selectorIsEEZZNS1_9scan_implILNS1_25lookback_scan_determinismE0ELb0ELb0ES3_N6thrust23THRUST_200600_302600_NS6detail15normal_iteratorINS9_10device_ptrIsEEEENS9_16discard_iteratorINS9_11use_defaultEEEsNS9_4plusIvEEsEEDaPvRmT3_T4_T5_mT6_P12ihipStream_tbENKUlT_T0_E_clISt17integral_constantIbLb1EESW_IbLb0EEEEDaSS_ST_EUlSS_E_NS1_11comp_targetILNS1_3genE0ELNS1_11target_archE4294967295ELNS1_3gpuE0ELNS1_3repE0EEENS1_30default_config_static_selectorELNS0_4arch9wavefront6targetE1EEEvT1_
	.p2align	8
	.type	_ZN7rocprim17ROCPRIM_400000_NS6detail17trampoline_kernelINS0_14default_configENS1_20scan_config_selectorIsEEZZNS1_9scan_implILNS1_25lookback_scan_determinismE0ELb0ELb0ES3_N6thrust23THRUST_200600_302600_NS6detail15normal_iteratorINS9_10device_ptrIsEEEENS9_16discard_iteratorINS9_11use_defaultEEEsNS9_4plusIvEEsEEDaPvRmT3_T4_T5_mT6_P12ihipStream_tbENKUlT_T0_E_clISt17integral_constantIbLb1EESW_IbLb0EEEEDaSS_ST_EUlSS_E_NS1_11comp_targetILNS1_3genE0ELNS1_11target_archE4294967295ELNS1_3gpuE0ELNS1_3repE0EEENS1_30default_config_static_selectorELNS0_4arch9wavefront6targetE1EEEvT1_,@function
_ZN7rocprim17ROCPRIM_400000_NS6detail17trampoline_kernelINS0_14default_configENS1_20scan_config_selectorIsEEZZNS1_9scan_implILNS1_25lookback_scan_determinismE0ELb0ELb0ES3_N6thrust23THRUST_200600_302600_NS6detail15normal_iteratorINS9_10device_ptrIsEEEENS9_16discard_iteratorINS9_11use_defaultEEEsNS9_4plusIvEEsEEDaPvRmT3_T4_T5_mT6_P12ihipStream_tbENKUlT_T0_E_clISt17integral_constantIbLb1EESW_IbLb0EEEEDaSS_ST_EUlSS_E_NS1_11comp_targetILNS1_3genE0ELNS1_11target_archE4294967295ELNS1_3gpuE0ELNS1_3repE0EEENS1_30default_config_static_selectorELNS0_4arch9wavefront6targetE1EEEvT1_: ; @_ZN7rocprim17ROCPRIM_400000_NS6detail17trampoline_kernelINS0_14default_configENS1_20scan_config_selectorIsEEZZNS1_9scan_implILNS1_25lookback_scan_determinismE0ELb0ELb0ES3_N6thrust23THRUST_200600_302600_NS6detail15normal_iteratorINS9_10device_ptrIsEEEENS9_16discard_iteratorINS9_11use_defaultEEEsNS9_4plusIvEEsEEDaPvRmT3_T4_T5_mT6_P12ihipStream_tbENKUlT_T0_E_clISt17integral_constantIbLb1EESW_IbLb0EEEEDaSS_ST_EUlSS_E_NS1_11comp_targetILNS1_3genE0ELNS1_11target_archE4294967295ELNS1_3gpuE0ELNS1_3repE0EEENS1_30default_config_static_selectorELNS0_4arch9wavefront6targetE1EEEvT1_
; %bb.0:
	.section	.rodata,"a",@progbits
	.p2align	6, 0x0
	.amdhsa_kernel _ZN7rocprim17ROCPRIM_400000_NS6detail17trampoline_kernelINS0_14default_configENS1_20scan_config_selectorIsEEZZNS1_9scan_implILNS1_25lookback_scan_determinismE0ELb0ELb0ES3_N6thrust23THRUST_200600_302600_NS6detail15normal_iteratorINS9_10device_ptrIsEEEENS9_16discard_iteratorINS9_11use_defaultEEEsNS9_4plusIvEEsEEDaPvRmT3_T4_T5_mT6_P12ihipStream_tbENKUlT_T0_E_clISt17integral_constantIbLb1EESW_IbLb0EEEEDaSS_ST_EUlSS_E_NS1_11comp_targetILNS1_3genE0ELNS1_11target_archE4294967295ELNS1_3gpuE0ELNS1_3repE0EEENS1_30default_config_static_selectorELNS0_4arch9wavefront6targetE1EEEvT1_
		.amdhsa_group_segment_fixed_size 0
		.amdhsa_private_segment_fixed_size 0
		.amdhsa_kernarg_size 104
		.amdhsa_user_sgpr_count 6
		.amdhsa_user_sgpr_private_segment_buffer 1
		.amdhsa_user_sgpr_dispatch_ptr 0
		.amdhsa_user_sgpr_queue_ptr 0
		.amdhsa_user_sgpr_kernarg_segment_ptr 1
		.amdhsa_user_sgpr_dispatch_id 0
		.amdhsa_user_sgpr_flat_scratch_init 0
		.amdhsa_user_sgpr_kernarg_preload_length 0
		.amdhsa_user_sgpr_kernarg_preload_offset 0
		.amdhsa_user_sgpr_private_segment_size 0
		.amdhsa_uses_dynamic_stack 0
		.amdhsa_system_sgpr_private_segment_wavefront_offset 0
		.amdhsa_system_sgpr_workgroup_id_x 1
		.amdhsa_system_sgpr_workgroup_id_y 0
		.amdhsa_system_sgpr_workgroup_id_z 0
		.amdhsa_system_sgpr_workgroup_info 0
		.amdhsa_system_vgpr_workitem_id 0
		.amdhsa_next_free_vgpr 1
		.amdhsa_next_free_sgpr 0
		.amdhsa_accum_offset 4
		.amdhsa_reserve_vcc 0
		.amdhsa_reserve_flat_scratch 0
		.amdhsa_float_round_mode_32 0
		.amdhsa_float_round_mode_16_64 0
		.amdhsa_float_denorm_mode_32 3
		.amdhsa_float_denorm_mode_16_64 3
		.amdhsa_dx10_clamp 1
		.amdhsa_ieee_mode 1
		.amdhsa_fp16_overflow 0
		.amdhsa_tg_split 0
		.amdhsa_exception_fp_ieee_invalid_op 0
		.amdhsa_exception_fp_denorm_src 0
		.amdhsa_exception_fp_ieee_div_zero 0
		.amdhsa_exception_fp_ieee_overflow 0
		.amdhsa_exception_fp_ieee_underflow 0
		.amdhsa_exception_fp_ieee_inexact 0
		.amdhsa_exception_int_div_zero 0
	.end_amdhsa_kernel
	.section	.text._ZN7rocprim17ROCPRIM_400000_NS6detail17trampoline_kernelINS0_14default_configENS1_20scan_config_selectorIsEEZZNS1_9scan_implILNS1_25lookback_scan_determinismE0ELb0ELb0ES3_N6thrust23THRUST_200600_302600_NS6detail15normal_iteratorINS9_10device_ptrIsEEEENS9_16discard_iteratorINS9_11use_defaultEEEsNS9_4plusIvEEsEEDaPvRmT3_T4_T5_mT6_P12ihipStream_tbENKUlT_T0_E_clISt17integral_constantIbLb1EESW_IbLb0EEEEDaSS_ST_EUlSS_E_NS1_11comp_targetILNS1_3genE0ELNS1_11target_archE4294967295ELNS1_3gpuE0ELNS1_3repE0EEENS1_30default_config_static_selectorELNS0_4arch9wavefront6targetE1EEEvT1_,"axG",@progbits,_ZN7rocprim17ROCPRIM_400000_NS6detail17trampoline_kernelINS0_14default_configENS1_20scan_config_selectorIsEEZZNS1_9scan_implILNS1_25lookback_scan_determinismE0ELb0ELb0ES3_N6thrust23THRUST_200600_302600_NS6detail15normal_iteratorINS9_10device_ptrIsEEEENS9_16discard_iteratorINS9_11use_defaultEEEsNS9_4plusIvEEsEEDaPvRmT3_T4_T5_mT6_P12ihipStream_tbENKUlT_T0_E_clISt17integral_constantIbLb1EESW_IbLb0EEEEDaSS_ST_EUlSS_E_NS1_11comp_targetILNS1_3genE0ELNS1_11target_archE4294967295ELNS1_3gpuE0ELNS1_3repE0EEENS1_30default_config_static_selectorELNS0_4arch9wavefront6targetE1EEEvT1_,comdat
.Lfunc_end5906:
	.size	_ZN7rocprim17ROCPRIM_400000_NS6detail17trampoline_kernelINS0_14default_configENS1_20scan_config_selectorIsEEZZNS1_9scan_implILNS1_25lookback_scan_determinismE0ELb0ELb0ES3_N6thrust23THRUST_200600_302600_NS6detail15normal_iteratorINS9_10device_ptrIsEEEENS9_16discard_iteratorINS9_11use_defaultEEEsNS9_4plusIvEEsEEDaPvRmT3_T4_T5_mT6_P12ihipStream_tbENKUlT_T0_E_clISt17integral_constantIbLb1EESW_IbLb0EEEEDaSS_ST_EUlSS_E_NS1_11comp_targetILNS1_3genE0ELNS1_11target_archE4294967295ELNS1_3gpuE0ELNS1_3repE0EEENS1_30default_config_static_selectorELNS0_4arch9wavefront6targetE1EEEvT1_, .Lfunc_end5906-_ZN7rocprim17ROCPRIM_400000_NS6detail17trampoline_kernelINS0_14default_configENS1_20scan_config_selectorIsEEZZNS1_9scan_implILNS1_25lookback_scan_determinismE0ELb0ELb0ES3_N6thrust23THRUST_200600_302600_NS6detail15normal_iteratorINS9_10device_ptrIsEEEENS9_16discard_iteratorINS9_11use_defaultEEEsNS9_4plusIvEEsEEDaPvRmT3_T4_T5_mT6_P12ihipStream_tbENKUlT_T0_E_clISt17integral_constantIbLb1EESW_IbLb0EEEEDaSS_ST_EUlSS_E_NS1_11comp_targetILNS1_3genE0ELNS1_11target_archE4294967295ELNS1_3gpuE0ELNS1_3repE0EEENS1_30default_config_static_selectorELNS0_4arch9wavefront6targetE1EEEvT1_
                                        ; -- End function
	.section	.AMDGPU.csdata,"",@progbits
; Kernel info:
; codeLenInByte = 0
; NumSgprs: 4
; NumVgprs: 0
; NumAgprs: 0
; TotalNumVgprs: 0
; ScratchSize: 0
; MemoryBound: 0
; FloatMode: 240
; IeeeMode: 1
; LDSByteSize: 0 bytes/workgroup (compile time only)
; SGPRBlocks: 0
; VGPRBlocks: 0
; NumSGPRsForWavesPerEU: 4
; NumVGPRsForWavesPerEU: 1
; AccumOffset: 4
; Occupancy: 8
; WaveLimiterHint : 0
; COMPUTE_PGM_RSRC2:SCRATCH_EN: 0
; COMPUTE_PGM_RSRC2:USER_SGPR: 6
; COMPUTE_PGM_RSRC2:TRAP_HANDLER: 0
; COMPUTE_PGM_RSRC2:TGID_X_EN: 1
; COMPUTE_PGM_RSRC2:TGID_Y_EN: 0
; COMPUTE_PGM_RSRC2:TGID_Z_EN: 0
; COMPUTE_PGM_RSRC2:TIDIG_COMP_CNT: 0
; COMPUTE_PGM_RSRC3_GFX90A:ACCUM_OFFSET: 0
; COMPUTE_PGM_RSRC3_GFX90A:TG_SPLIT: 0
	.section	.text._ZN7rocprim17ROCPRIM_400000_NS6detail17trampoline_kernelINS0_14default_configENS1_20scan_config_selectorIsEEZZNS1_9scan_implILNS1_25lookback_scan_determinismE0ELb0ELb0ES3_N6thrust23THRUST_200600_302600_NS6detail15normal_iteratorINS9_10device_ptrIsEEEENS9_16discard_iteratorINS9_11use_defaultEEEsNS9_4plusIvEEsEEDaPvRmT3_T4_T5_mT6_P12ihipStream_tbENKUlT_T0_E_clISt17integral_constantIbLb1EESW_IbLb0EEEEDaSS_ST_EUlSS_E_NS1_11comp_targetILNS1_3genE5ELNS1_11target_archE942ELNS1_3gpuE9ELNS1_3repE0EEENS1_30default_config_static_selectorELNS0_4arch9wavefront6targetE1EEEvT1_,"axG",@progbits,_ZN7rocprim17ROCPRIM_400000_NS6detail17trampoline_kernelINS0_14default_configENS1_20scan_config_selectorIsEEZZNS1_9scan_implILNS1_25lookback_scan_determinismE0ELb0ELb0ES3_N6thrust23THRUST_200600_302600_NS6detail15normal_iteratorINS9_10device_ptrIsEEEENS9_16discard_iteratorINS9_11use_defaultEEEsNS9_4plusIvEEsEEDaPvRmT3_T4_T5_mT6_P12ihipStream_tbENKUlT_T0_E_clISt17integral_constantIbLb1EESW_IbLb0EEEEDaSS_ST_EUlSS_E_NS1_11comp_targetILNS1_3genE5ELNS1_11target_archE942ELNS1_3gpuE9ELNS1_3repE0EEENS1_30default_config_static_selectorELNS0_4arch9wavefront6targetE1EEEvT1_,comdat
	.protected	_ZN7rocprim17ROCPRIM_400000_NS6detail17trampoline_kernelINS0_14default_configENS1_20scan_config_selectorIsEEZZNS1_9scan_implILNS1_25lookback_scan_determinismE0ELb0ELb0ES3_N6thrust23THRUST_200600_302600_NS6detail15normal_iteratorINS9_10device_ptrIsEEEENS9_16discard_iteratorINS9_11use_defaultEEEsNS9_4plusIvEEsEEDaPvRmT3_T4_T5_mT6_P12ihipStream_tbENKUlT_T0_E_clISt17integral_constantIbLb1EESW_IbLb0EEEEDaSS_ST_EUlSS_E_NS1_11comp_targetILNS1_3genE5ELNS1_11target_archE942ELNS1_3gpuE9ELNS1_3repE0EEENS1_30default_config_static_selectorELNS0_4arch9wavefront6targetE1EEEvT1_ ; -- Begin function _ZN7rocprim17ROCPRIM_400000_NS6detail17trampoline_kernelINS0_14default_configENS1_20scan_config_selectorIsEEZZNS1_9scan_implILNS1_25lookback_scan_determinismE0ELb0ELb0ES3_N6thrust23THRUST_200600_302600_NS6detail15normal_iteratorINS9_10device_ptrIsEEEENS9_16discard_iteratorINS9_11use_defaultEEEsNS9_4plusIvEEsEEDaPvRmT3_T4_T5_mT6_P12ihipStream_tbENKUlT_T0_E_clISt17integral_constantIbLb1EESW_IbLb0EEEEDaSS_ST_EUlSS_E_NS1_11comp_targetILNS1_3genE5ELNS1_11target_archE942ELNS1_3gpuE9ELNS1_3repE0EEENS1_30default_config_static_selectorELNS0_4arch9wavefront6targetE1EEEvT1_
	.globl	_ZN7rocprim17ROCPRIM_400000_NS6detail17trampoline_kernelINS0_14default_configENS1_20scan_config_selectorIsEEZZNS1_9scan_implILNS1_25lookback_scan_determinismE0ELb0ELb0ES3_N6thrust23THRUST_200600_302600_NS6detail15normal_iteratorINS9_10device_ptrIsEEEENS9_16discard_iteratorINS9_11use_defaultEEEsNS9_4plusIvEEsEEDaPvRmT3_T4_T5_mT6_P12ihipStream_tbENKUlT_T0_E_clISt17integral_constantIbLb1EESW_IbLb0EEEEDaSS_ST_EUlSS_E_NS1_11comp_targetILNS1_3genE5ELNS1_11target_archE942ELNS1_3gpuE9ELNS1_3repE0EEENS1_30default_config_static_selectorELNS0_4arch9wavefront6targetE1EEEvT1_
	.p2align	8
	.type	_ZN7rocprim17ROCPRIM_400000_NS6detail17trampoline_kernelINS0_14default_configENS1_20scan_config_selectorIsEEZZNS1_9scan_implILNS1_25lookback_scan_determinismE0ELb0ELb0ES3_N6thrust23THRUST_200600_302600_NS6detail15normal_iteratorINS9_10device_ptrIsEEEENS9_16discard_iteratorINS9_11use_defaultEEEsNS9_4plusIvEEsEEDaPvRmT3_T4_T5_mT6_P12ihipStream_tbENKUlT_T0_E_clISt17integral_constantIbLb1EESW_IbLb0EEEEDaSS_ST_EUlSS_E_NS1_11comp_targetILNS1_3genE5ELNS1_11target_archE942ELNS1_3gpuE9ELNS1_3repE0EEENS1_30default_config_static_selectorELNS0_4arch9wavefront6targetE1EEEvT1_,@function
_ZN7rocprim17ROCPRIM_400000_NS6detail17trampoline_kernelINS0_14default_configENS1_20scan_config_selectorIsEEZZNS1_9scan_implILNS1_25lookback_scan_determinismE0ELb0ELb0ES3_N6thrust23THRUST_200600_302600_NS6detail15normal_iteratorINS9_10device_ptrIsEEEENS9_16discard_iteratorINS9_11use_defaultEEEsNS9_4plusIvEEsEEDaPvRmT3_T4_T5_mT6_P12ihipStream_tbENKUlT_T0_E_clISt17integral_constantIbLb1EESW_IbLb0EEEEDaSS_ST_EUlSS_E_NS1_11comp_targetILNS1_3genE5ELNS1_11target_archE942ELNS1_3gpuE9ELNS1_3repE0EEENS1_30default_config_static_selectorELNS0_4arch9wavefront6targetE1EEEvT1_: ; @_ZN7rocprim17ROCPRIM_400000_NS6detail17trampoline_kernelINS0_14default_configENS1_20scan_config_selectorIsEEZZNS1_9scan_implILNS1_25lookback_scan_determinismE0ELb0ELb0ES3_N6thrust23THRUST_200600_302600_NS6detail15normal_iteratorINS9_10device_ptrIsEEEENS9_16discard_iteratorINS9_11use_defaultEEEsNS9_4plusIvEEsEEDaPvRmT3_T4_T5_mT6_P12ihipStream_tbENKUlT_T0_E_clISt17integral_constantIbLb1EESW_IbLb0EEEEDaSS_ST_EUlSS_E_NS1_11comp_targetILNS1_3genE5ELNS1_11target_archE942ELNS1_3gpuE9ELNS1_3repE0EEENS1_30default_config_static_selectorELNS0_4arch9wavefront6targetE1EEEvT1_
; %bb.0:
	.section	.rodata,"a",@progbits
	.p2align	6, 0x0
	.amdhsa_kernel _ZN7rocprim17ROCPRIM_400000_NS6detail17trampoline_kernelINS0_14default_configENS1_20scan_config_selectorIsEEZZNS1_9scan_implILNS1_25lookback_scan_determinismE0ELb0ELb0ES3_N6thrust23THRUST_200600_302600_NS6detail15normal_iteratorINS9_10device_ptrIsEEEENS9_16discard_iteratorINS9_11use_defaultEEEsNS9_4plusIvEEsEEDaPvRmT3_T4_T5_mT6_P12ihipStream_tbENKUlT_T0_E_clISt17integral_constantIbLb1EESW_IbLb0EEEEDaSS_ST_EUlSS_E_NS1_11comp_targetILNS1_3genE5ELNS1_11target_archE942ELNS1_3gpuE9ELNS1_3repE0EEENS1_30default_config_static_selectorELNS0_4arch9wavefront6targetE1EEEvT1_
		.amdhsa_group_segment_fixed_size 0
		.amdhsa_private_segment_fixed_size 0
		.amdhsa_kernarg_size 104
		.amdhsa_user_sgpr_count 6
		.amdhsa_user_sgpr_private_segment_buffer 1
		.amdhsa_user_sgpr_dispatch_ptr 0
		.amdhsa_user_sgpr_queue_ptr 0
		.amdhsa_user_sgpr_kernarg_segment_ptr 1
		.amdhsa_user_sgpr_dispatch_id 0
		.amdhsa_user_sgpr_flat_scratch_init 0
		.amdhsa_user_sgpr_kernarg_preload_length 0
		.amdhsa_user_sgpr_kernarg_preload_offset 0
		.amdhsa_user_sgpr_private_segment_size 0
		.amdhsa_uses_dynamic_stack 0
		.amdhsa_system_sgpr_private_segment_wavefront_offset 0
		.amdhsa_system_sgpr_workgroup_id_x 1
		.amdhsa_system_sgpr_workgroup_id_y 0
		.amdhsa_system_sgpr_workgroup_id_z 0
		.amdhsa_system_sgpr_workgroup_info 0
		.amdhsa_system_vgpr_workitem_id 0
		.amdhsa_next_free_vgpr 1
		.amdhsa_next_free_sgpr 0
		.amdhsa_accum_offset 4
		.amdhsa_reserve_vcc 0
		.amdhsa_reserve_flat_scratch 0
		.amdhsa_float_round_mode_32 0
		.amdhsa_float_round_mode_16_64 0
		.amdhsa_float_denorm_mode_32 3
		.amdhsa_float_denorm_mode_16_64 3
		.amdhsa_dx10_clamp 1
		.amdhsa_ieee_mode 1
		.amdhsa_fp16_overflow 0
		.amdhsa_tg_split 0
		.amdhsa_exception_fp_ieee_invalid_op 0
		.amdhsa_exception_fp_denorm_src 0
		.amdhsa_exception_fp_ieee_div_zero 0
		.amdhsa_exception_fp_ieee_overflow 0
		.amdhsa_exception_fp_ieee_underflow 0
		.amdhsa_exception_fp_ieee_inexact 0
		.amdhsa_exception_int_div_zero 0
	.end_amdhsa_kernel
	.section	.text._ZN7rocprim17ROCPRIM_400000_NS6detail17trampoline_kernelINS0_14default_configENS1_20scan_config_selectorIsEEZZNS1_9scan_implILNS1_25lookback_scan_determinismE0ELb0ELb0ES3_N6thrust23THRUST_200600_302600_NS6detail15normal_iteratorINS9_10device_ptrIsEEEENS9_16discard_iteratorINS9_11use_defaultEEEsNS9_4plusIvEEsEEDaPvRmT3_T4_T5_mT6_P12ihipStream_tbENKUlT_T0_E_clISt17integral_constantIbLb1EESW_IbLb0EEEEDaSS_ST_EUlSS_E_NS1_11comp_targetILNS1_3genE5ELNS1_11target_archE942ELNS1_3gpuE9ELNS1_3repE0EEENS1_30default_config_static_selectorELNS0_4arch9wavefront6targetE1EEEvT1_,"axG",@progbits,_ZN7rocprim17ROCPRIM_400000_NS6detail17trampoline_kernelINS0_14default_configENS1_20scan_config_selectorIsEEZZNS1_9scan_implILNS1_25lookback_scan_determinismE0ELb0ELb0ES3_N6thrust23THRUST_200600_302600_NS6detail15normal_iteratorINS9_10device_ptrIsEEEENS9_16discard_iteratorINS9_11use_defaultEEEsNS9_4plusIvEEsEEDaPvRmT3_T4_T5_mT6_P12ihipStream_tbENKUlT_T0_E_clISt17integral_constantIbLb1EESW_IbLb0EEEEDaSS_ST_EUlSS_E_NS1_11comp_targetILNS1_3genE5ELNS1_11target_archE942ELNS1_3gpuE9ELNS1_3repE0EEENS1_30default_config_static_selectorELNS0_4arch9wavefront6targetE1EEEvT1_,comdat
.Lfunc_end5907:
	.size	_ZN7rocprim17ROCPRIM_400000_NS6detail17trampoline_kernelINS0_14default_configENS1_20scan_config_selectorIsEEZZNS1_9scan_implILNS1_25lookback_scan_determinismE0ELb0ELb0ES3_N6thrust23THRUST_200600_302600_NS6detail15normal_iteratorINS9_10device_ptrIsEEEENS9_16discard_iteratorINS9_11use_defaultEEEsNS9_4plusIvEEsEEDaPvRmT3_T4_T5_mT6_P12ihipStream_tbENKUlT_T0_E_clISt17integral_constantIbLb1EESW_IbLb0EEEEDaSS_ST_EUlSS_E_NS1_11comp_targetILNS1_3genE5ELNS1_11target_archE942ELNS1_3gpuE9ELNS1_3repE0EEENS1_30default_config_static_selectorELNS0_4arch9wavefront6targetE1EEEvT1_, .Lfunc_end5907-_ZN7rocprim17ROCPRIM_400000_NS6detail17trampoline_kernelINS0_14default_configENS1_20scan_config_selectorIsEEZZNS1_9scan_implILNS1_25lookback_scan_determinismE0ELb0ELb0ES3_N6thrust23THRUST_200600_302600_NS6detail15normal_iteratorINS9_10device_ptrIsEEEENS9_16discard_iteratorINS9_11use_defaultEEEsNS9_4plusIvEEsEEDaPvRmT3_T4_T5_mT6_P12ihipStream_tbENKUlT_T0_E_clISt17integral_constantIbLb1EESW_IbLb0EEEEDaSS_ST_EUlSS_E_NS1_11comp_targetILNS1_3genE5ELNS1_11target_archE942ELNS1_3gpuE9ELNS1_3repE0EEENS1_30default_config_static_selectorELNS0_4arch9wavefront6targetE1EEEvT1_
                                        ; -- End function
	.section	.AMDGPU.csdata,"",@progbits
; Kernel info:
; codeLenInByte = 0
; NumSgprs: 4
; NumVgprs: 0
; NumAgprs: 0
; TotalNumVgprs: 0
; ScratchSize: 0
; MemoryBound: 0
; FloatMode: 240
; IeeeMode: 1
; LDSByteSize: 0 bytes/workgroup (compile time only)
; SGPRBlocks: 0
; VGPRBlocks: 0
; NumSGPRsForWavesPerEU: 4
; NumVGPRsForWavesPerEU: 1
; AccumOffset: 4
; Occupancy: 8
; WaveLimiterHint : 0
; COMPUTE_PGM_RSRC2:SCRATCH_EN: 0
; COMPUTE_PGM_RSRC2:USER_SGPR: 6
; COMPUTE_PGM_RSRC2:TRAP_HANDLER: 0
; COMPUTE_PGM_RSRC2:TGID_X_EN: 1
; COMPUTE_PGM_RSRC2:TGID_Y_EN: 0
; COMPUTE_PGM_RSRC2:TGID_Z_EN: 0
; COMPUTE_PGM_RSRC2:TIDIG_COMP_CNT: 0
; COMPUTE_PGM_RSRC3_GFX90A:ACCUM_OFFSET: 0
; COMPUTE_PGM_RSRC3_GFX90A:TG_SPLIT: 0
	.section	.text._ZN7rocprim17ROCPRIM_400000_NS6detail17trampoline_kernelINS0_14default_configENS1_20scan_config_selectorIsEEZZNS1_9scan_implILNS1_25lookback_scan_determinismE0ELb0ELb0ES3_N6thrust23THRUST_200600_302600_NS6detail15normal_iteratorINS9_10device_ptrIsEEEENS9_16discard_iteratorINS9_11use_defaultEEEsNS9_4plusIvEEsEEDaPvRmT3_T4_T5_mT6_P12ihipStream_tbENKUlT_T0_E_clISt17integral_constantIbLb1EESW_IbLb0EEEEDaSS_ST_EUlSS_E_NS1_11comp_targetILNS1_3genE4ELNS1_11target_archE910ELNS1_3gpuE8ELNS1_3repE0EEENS1_30default_config_static_selectorELNS0_4arch9wavefront6targetE1EEEvT1_,"axG",@progbits,_ZN7rocprim17ROCPRIM_400000_NS6detail17trampoline_kernelINS0_14default_configENS1_20scan_config_selectorIsEEZZNS1_9scan_implILNS1_25lookback_scan_determinismE0ELb0ELb0ES3_N6thrust23THRUST_200600_302600_NS6detail15normal_iteratorINS9_10device_ptrIsEEEENS9_16discard_iteratorINS9_11use_defaultEEEsNS9_4plusIvEEsEEDaPvRmT3_T4_T5_mT6_P12ihipStream_tbENKUlT_T0_E_clISt17integral_constantIbLb1EESW_IbLb0EEEEDaSS_ST_EUlSS_E_NS1_11comp_targetILNS1_3genE4ELNS1_11target_archE910ELNS1_3gpuE8ELNS1_3repE0EEENS1_30default_config_static_selectorELNS0_4arch9wavefront6targetE1EEEvT1_,comdat
	.protected	_ZN7rocprim17ROCPRIM_400000_NS6detail17trampoline_kernelINS0_14default_configENS1_20scan_config_selectorIsEEZZNS1_9scan_implILNS1_25lookback_scan_determinismE0ELb0ELb0ES3_N6thrust23THRUST_200600_302600_NS6detail15normal_iteratorINS9_10device_ptrIsEEEENS9_16discard_iteratorINS9_11use_defaultEEEsNS9_4plusIvEEsEEDaPvRmT3_T4_T5_mT6_P12ihipStream_tbENKUlT_T0_E_clISt17integral_constantIbLb1EESW_IbLb0EEEEDaSS_ST_EUlSS_E_NS1_11comp_targetILNS1_3genE4ELNS1_11target_archE910ELNS1_3gpuE8ELNS1_3repE0EEENS1_30default_config_static_selectorELNS0_4arch9wavefront6targetE1EEEvT1_ ; -- Begin function _ZN7rocprim17ROCPRIM_400000_NS6detail17trampoline_kernelINS0_14default_configENS1_20scan_config_selectorIsEEZZNS1_9scan_implILNS1_25lookback_scan_determinismE0ELb0ELb0ES3_N6thrust23THRUST_200600_302600_NS6detail15normal_iteratorINS9_10device_ptrIsEEEENS9_16discard_iteratorINS9_11use_defaultEEEsNS9_4plusIvEEsEEDaPvRmT3_T4_T5_mT6_P12ihipStream_tbENKUlT_T0_E_clISt17integral_constantIbLb1EESW_IbLb0EEEEDaSS_ST_EUlSS_E_NS1_11comp_targetILNS1_3genE4ELNS1_11target_archE910ELNS1_3gpuE8ELNS1_3repE0EEENS1_30default_config_static_selectorELNS0_4arch9wavefront6targetE1EEEvT1_
	.globl	_ZN7rocprim17ROCPRIM_400000_NS6detail17trampoline_kernelINS0_14default_configENS1_20scan_config_selectorIsEEZZNS1_9scan_implILNS1_25lookback_scan_determinismE0ELb0ELb0ES3_N6thrust23THRUST_200600_302600_NS6detail15normal_iteratorINS9_10device_ptrIsEEEENS9_16discard_iteratorINS9_11use_defaultEEEsNS9_4plusIvEEsEEDaPvRmT3_T4_T5_mT6_P12ihipStream_tbENKUlT_T0_E_clISt17integral_constantIbLb1EESW_IbLb0EEEEDaSS_ST_EUlSS_E_NS1_11comp_targetILNS1_3genE4ELNS1_11target_archE910ELNS1_3gpuE8ELNS1_3repE0EEENS1_30default_config_static_selectorELNS0_4arch9wavefront6targetE1EEEvT1_
	.p2align	8
	.type	_ZN7rocprim17ROCPRIM_400000_NS6detail17trampoline_kernelINS0_14default_configENS1_20scan_config_selectorIsEEZZNS1_9scan_implILNS1_25lookback_scan_determinismE0ELb0ELb0ES3_N6thrust23THRUST_200600_302600_NS6detail15normal_iteratorINS9_10device_ptrIsEEEENS9_16discard_iteratorINS9_11use_defaultEEEsNS9_4plusIvEEsEEDaPvRmT3_T4_T5_mT6_P12ihipStream_tbENKUlT_T0_E_clISt17integral_constantIbLb1EESW_IbLb0EEEEDaSS_ST_EUlSS_E_NS1_11comp_targetILNS1_3genE4ELNS1_11target_archE910ELNS1_3gpuE8ELNS1_3repE0EEENS1_30default_config_static_selectorELNS0_4arch9wavefront6targetE1EEEvT1_,@function
_ZN7rocprim17ROCPRIM_400000_NS6detail17trampoline_kernelINS0_14default_configENS1_20scan_config_selectorIsEEZZNS1_9scan_implILNS1_25lookback_scan_determinismE0ELb0ELb0ES3_N6thrust23THRUST_200600_302600_NS6detail15normal_iteratorINS9_10device_ptrIsEEEENS9_16discard_iteratorINS9_11use_defaultEEEsNS9_4plusIvEEsEEDaPvRmT3_T4_T5_mT6_P12ihipStream_tbENKUlT_T0_E_clISt17integral_constantIbLb1EESW_IbLb0EEEEDaSS_ST_EUlSS_E_NS1_11comp_targetILNS1_3genE4ELNS1_11target_archE910ELNS1_3gpuE8ELNS1_3repE0EEENS1_30default_config_static_selectorELNS0_4arch9wavefront6targetE1EEEvT1_: ; @_ZN7rocprim17ROCPRIM_400000_NS6detail17trampoline_kernelINS0_14default_configENS1_20scan_config_selectorIsEEZZNS1_9scan_implILNS1_25lookback_scan_determinismE0ELb0ELb0ES3_N6thrust23THRUST_200600_302600_NS6detail15normal_iteratorINS9_10device_ptrIsEEEENS9_16discard_iteratorINS9_11use_defaultEEEsNS9_4plusIvEEsEEDaPvRmT3_T4_T5_mT6_P12ihipStream_tbENKUlT_T0_E_clISt17integral_constantIbLb1EESW_IbLb0EEEEDaSS_ST_EUlSS_E_NS1_11comp_targetILNS1_3genE4ELNS1_11target_archE910ELNS1_3gpuE8ELNS1_3repE0EEENS1_30default_config_static_selectorELNS0_4arch9wavefront6targetE1EEEvT1_
; %bb.0:
	s_load_dwordx4 s[0:3], s[4:5], 0x0
	s_load_dwordx2 s[8:9], s[4:5], 0x20
	s_load_dword s7, s[4:5], 0x38
	s_waitcnt lgkmcnt(0)
	s_lshl_b64 s[2:3], s[2:3], 1
	s_add_u32 s2, s0, s2
	s_addc_u32 s3, s1, s3
	s_add_i32 s7, s7, -1
	s_mul_i32 s10, s7, 0x600
	s_sub_u32 s16, s8, s10
	s_subb_u32 s17, s9, 0
	s_mul_i32 s0, s6, 0x600
	s_mov_b32 s1, 0
	s_cmp_lg_u32 s6, s7
	s_cselect_b64 s[12:13], -1, 0
	s_lshl_b64 s[0:1], s[0:1], 1
	s_add_u32 s0, s2, s0
	s_addc_u32 s1, s3, s1
	s_mov_b64 s[2:3], -1
	s_and_b64 vcc, exec, s[12:13]
	s_cbranch_vccz .LBB5908_2
; %bb.1:
	v_lshlrev_b32_e32 v1, 1, v0
	v_mov_b32_e32 v3, s1
	v_add_co_u32_e32 v2, vcc, s0, v1
	v_addc_co_u32_e32 v3, vcc, 0, v3, vcc
	flat_load_ushort v4, v[2:3]
	flat_load_ushort v5, v[2:3] offset:128
	flat_load_ushort v6, v[2:3] offset:256
	;; [unrolled: 1-line block ×23, first 2 shown]
	s_mov_b64 s[2:3], 0
	s_waitcnt vmcnt(0) lgkmcnt(0)
	ds_write_b16 v1, v4
	ds_write_b16 v1, v5 offset:128
	ds_write_b16 v1, v6 offset:256
	;; [unrolled: 1-line block ×23, first 2 shown]
	s_waitcnt lgkmcnt(0)
	; wave barrier
.LBB5908_2:
	s_load_dwordx2 s[14:15], s[4:5], 0x30
	s_andn2_b64 vcc, exec, s[2:3]
	s_cbranch_vccnz .LBB5908_52
; %bb.3:
	v_pk_mov_b32 v[2:3], s[0:1], s[0:1] op_sel:[0,1]
	flat_load_ushort v1, v[2:3]
	v_cmp_gt_u32_e32 vcc, s16, v0
	s_waitcnt vmcnt(0) lgkmcnt(0)
	v_mov_b32_e32 v2, v1
	s_and_saveexec_b64 s[2:3], vcc
	s_cbranch_execz .LBB5908_5
; %bb.4:
	v_lshlrev_b32_e32 v2, 1, v0
	v_mov_b32_e32 v3, s1
	v_add_co_u32_e32 v2, vcc, s0, v2
	v_addc_co_u32_e32 v3, vcc, 0, v3, vcc
	flat_load_ushort v2, v[2:3]
.LBB5908_5:
	s_or_b64 exec, exec, s[2:3]
	v_or_b32_e32 v3, 64, v0
	v_cmp_gt_u32_e32 vcc, s16, v3
	v_mov_b32_e32 v3, v1
	s_and_saveexec_b64 s[2:3], vcc
	s_cbranch_execz .LBB5908_7
; %bb.6:
	v_lshlrev_b32_e32 v3, 1, v0
	v_mov_b32_e32 v5, s1
	v_add_co_u32_e32 v4, vcc, s0, v3
	v_addc_co_u32_e32 v5, vcc, 0, v5, vcc
	flat_load_ushort v3, v[4:5] offset:128
.LBB5908_7:
	s_or_b64 exec, exec, s[2:3]
	v_or_b32_e32 v4, 0x80, v0
	v_cmp_gt_u32_e32 vcc, s16, v4
	v_mov_b32_e32 v4, v1
	s_and_saveexec_b64 s[2:3], vcc
	s_cbranch_execz .LBB5908_9
; %bb.8:
	v_lshlrev_b32_e32 v4, 1, v0
	v_mov_b32_e32 v5, s1
	v_add_co_u32_e32 v4, vcc, s0, v4
	v_addc_co_u32_e32 v5, vcc, 0, v5, vcc
	flat_load_ushort v4, v[4:5] offset:256
.LBB5908_9:
	;; [unrolled: 13-line block ×22, first 2 shown]
	s_or_b64 exec, exec, s[2:3]
	v_or_b32_e32 v25, 0x5c0, v0
	v_cmp_gt_u32_e32 vcc, s16, v25
	s_and_saveexec_b64 s[2:3], vcc
	s_cbranch_execz .LBB5908_51
; %bb.50:
	v_lshlrev_b32_e32 v1, 1, v0
	v_mov_b32_e32 v25, s1
	v_add_co_u32_e32 v26, vcc, s0, v1
	v_addc_co_u32_e32 v27, vcc, 0, v25, vcc
	flat_load_ushort v1, v[26:27] offset:2944
.LBB5908_51:
	s_or_b64 exec, exec, s[2:3]
	v_lshlrev_b32_e32 v25, 1, v0
	s_waitcnt vmcnt(0) lgkmcnt(0)
	ds_write_b16 v25, v2
	ds_write_b16 v25, v3 offset:128
	ds_write_b16 v25, v4 offset:256
	;; [unrolled: 1-line block ×23, first 2 shown]
	s_waitcnt lgkmcnt(0)
	; wave barrier
.LBB5908_52:
	v_mul_u32_u24_e32 v20, 24, v0
	v_lshlrev_b32_e32 v1, 1, v20
	s_waitcnt lgkmcnt(0)
	ds_read_b128 v[10:13], v1
	ds_read_b128 v[6:9], v1 offset:16
	ds_read_b128 v[2:5], v1 offset:32
	s_cmp_lg_u32 s6, 0
	v_mbcnt_lo_u32_b32 v21, -1, 0
	v_cmp_eq_u32_e32 vcc, 63, v0
	s_waitcnt lgkmcnt(0)
	; wave barrier
	s_waitcnt lgkmcnt(0)
	s_cbranch_scc0 .LBB5908_79
; %bb.53:
	v_add_u16_sdwa v14, v10, v10 dst_sel:DWORD dst_unused:UNUSED_PAD src0_sel:WORD_1 src1_sel:DWORD
	v_add_u16_e32 v14, v14, v11
	v_add_u16_sdwa v14, v14, v11 dst_sel:DWORD dst_unused:UNUSED_PAD src0_sel:DWORD src1_sel:WORD_1
	v_add_u16_e32 v14, v14, v12
	v_add_u16_sdwa v14, v14, v12 dst_sel:DWORD dst_unused:UNUSED_PAD src0_sel:DWORD src1_sel:WORD_1
	;; [unrolled: 2-line block ×10, first 2 shown]
	v_add_u16_e32 v14, v14, v5
	v_mbcnt_hi_u32_b32 v15, -1, v21
	v_add_u16_sdwa v14, v14, v5 dst_sel:DWORD dst_unused:UNUSED_PAD src0_sel:DWORD src1_sel:WORD_1
	v_and_b32_e32 v16, 15, v15
	v_cmp_ne_u32_e64 s[0:1], 0, v16
	v_mov_b32_dpp v17, v14 row_shr:1 row_mask:0xf bank_mask:0xf
	v_cndmask_b32_e64 v17, 0, v17, s[0:1]
	v_add_u16_e32 v14, v17, v14
	v_cmp_lt_u32_e64 s[0:1], 1, v16
	s_nop 0
	v_mov_b32_dpp v17, v14 row_shr:2 row_mask:0xf bank_mask:0xf
	v_cndmask_b32_e64 v17, 0, v17, s[0:1]
	v_add_u16_e32 v14, v14, v17
	v_cmp_lt_u32_e64 s[0:1], 3, v16
	s_nop 0
	;; [unrolled: 5-line block ×3, first 2 shown]
	v_mov_b32_dpp v17, v14 row_shr:8 row_mask:0xf bank_mask:0xf
	v_cndmask_b32_e64 v16, 0, v17, s[0:1]
	v_add_u16_e32 v14, v14, v16
	v_and_b32_e32 v17, 16, v15
	v_cmp_ne_u32_e64 s[0:1], 0, v17
	v_mov_b32_dpp v16, v14 row_bcast:15 row_mask:0xf bank_mask:0xf
	v_cndmask_b32_e64 v16, 0, v16, s[0:1]
	v_add_u16_e32 v14, v14, v16
	v_cmp_lt_u32_e64 s[0:1], 31, v15
	s_nop 0
	v_mov_b32_dpp v16, v14 row_bcast:31 row_mask:0xf bank_mask:0xf
	v_cndmask_b32_e64 v16, 0, v16, s[0:1]
	v_add_u16_e32 v14, v14, v16
	s_and_saveexec_b64 s[0:1], vcc
	s_cbranch_execz .LBB5908_55
; %bb.54:
	v_mov_b32_e32 v16, 0
	ds_write_b16 v16, v14
.LBB5908_55:
	s_or_b64 exec, exec, s[0:1]
	v_add_u32_e32 v16, -1, v15
	v_and_b32_e32 v17, 64, v15
	v_cmp_lt_i32_e32 vcc, v16, v17
	v_cndmask_b32_e32 v16, v16, v15, vcc
	v_lshlrev_b32_e32 v16, 2, v16
	ds_bpermute_b32 v22, v16, v14
	v_cmp_gt_u32_e32 vcc, 64, v0
	s_waitcnt lgkmcnt(0)
	; wave barrier
	s_waitcnt lgkmcnt(0)
	s_and_saveexec_b64 s[10:11], vcc
	s_cbranch_execz .LBB5908_78
; %bb.56:
	v_mov_b32_e32 v19, 0
	ds_read_u16 v23, v19
	s_mov_b32 s9, 0
	v_cmp_eq_u32_e64 s[0:1], 0, v15
	s_and_saveexec_b64 s[2:3], s[0:1]
	s_cbranch_execz .LBB5908_58
; %bb.57:
	s_add_i32 s8, s6, 64
	s_lshl_b64 s[8:9], s[8:9], 2
	s_add_u32 s8, s14, s8
	s_waitcnt lgkmcnt(0)
	v_or_b32_e32 v14, 0x10000, v23
	s_addc_u32 s9, s15, s9
	global_store_dword v19, v14, s[8:9]
.LBB5908_58:
	s_or_b64 exec, exec, s[2:3]
	v_xad_u32 v14, v15, -1, s6
	v_add_u32_e32 v18, 64, v14
	v_lshlrev_b64 v[16:17], 2, v[18:19]
	v_mov_b32_e32 v18, s15
	v_add_co_u32_e32 v16, vcc, s14, v16
	v_addc_co_u32_e32 v17, vcc, v18, v17, vcc
	global_load_dword v18, v[16:17], off glc
	s_waitcnt vmcnt(0)
	v_lshrrev_b32_e32 v27, 16, v18
	v_cmp_eq_u16_sdwa s[8:9], v27, v19 src0_sel:BYTE_0 src1_sel:DWORD
	s_and_saveexec_b64 s[2:3], s[8:9]
	s_cbranch_execz .LBB5908_64
; %bb.59:
	s_mov_b32 s7, 1
	s_mov_b64 s[8:9], 0
	v_mov_b32_e32 v19, 0
.LBB5908_60:                            ; =>This Loop Header: Depth=1
                                        ;     Child Loop BB5908_61 Depth 2
	s_max_u32 s18, s7, 1
.LBB5908_61:                            ;   Parent Loop BB5908_60 Depth=1
                                        ; =>  This Inner Loop Header: Depth=2
	s_add_i32 s18, s18, -1
	s_cmp_eq_u32 s18, 0
	s_sleep 1
	s_cbranch_scc0 .LBB5908_61
; %bb.62:                               ;   in Loop: Header=BB5908_60 Depth=1
	global_load_dword v18, v[16:17], off glc
	s_cmp_lt_u32 s7, 32
	s_cselect_b64 s[18:19], -1, 0
	s_cmp_lg_u64 s[18:19], 0
	s_addc_u32 s7, s7, 0
	s_waitcnt vmcnt(0)
	v_lshrrev_b32_e32 v27, 16, v18
	v_cmp_ne_u16_sdwa s[18:19], v27, v19 src0_sel:BYTE_0 src1_sel:DWORD
	s_or_b64 s[8:9], s[18:19], s[8:9]
	s_andn2_b64 exec, exec, s[8:9]
	s_cbranch_execnz .LBB5908_60
; %bb.63:
	s_or_b64 exec, exec, s[8:9]
.LBB5908_64:
	s_or_b64 exec, exec, s[2:3]
	v_and_b32_e32 v25, 63, v15
	v_cmp_ne_u32_e32 vcc, 63, v25
	v_mov_b32_e32 v24, 2
	v_addc_co_u32_e32 v26, vcc, 0, v15, vcc
	v_cmp_eq_u16_sdwa s[2:3], v27, v24 src0_sel:BYTE_0 src1_sel:DWORD
	v_lshlrev_b64 v[16:17], v15, -1
	v_and_b32_e32 v29, 0xffff, v18
	v_lshlrev_b32_e32 v26, 2, v26
	v_and_b32_e32 v19, s3, v17
	ds_bpermute_b32 v30, v26, v29
	v_or_b32_e32 v19, 0x80000000, v19
	v_and_b32_e32 v28, s2, v16
	v_ffbl_b32_e32 v19, v19
	v_add_u32_e32 v19, 32, v19
	v_ffbl_b32_e32 v28, v28
	v_cmp_gt_u32_e64 s[2:3], 62, v25
	v_min_u32_e32 v19, v28, v19
	v_cndmask_b32_e64 v28, 0, 1, s[2:3]
	s_waitcnt lgkmcnt(0)
	v_add_u16_e32 v30, v30, v18
	v_cmp_lt_u32_e32 vcc, v25, v19
	v_lshlrev_b32_e32 v28, 1, v28
	v_cndmask_b32_e32 v31, v29, v30, vcc
	v_add_lshl_u32 v28, v28, v15, 2
	ds_bpermute_b32 v32, v28, v31
	v_cmp_gt_u32_e64 s[8:9], 60, v25
	v_cndmask_b32_e32 v33, v18, v30, vcc
	v_add_u32_e32 v29, 2, v25
	v_cndmask_b32_e64 v30, 0, 1, s[8:9]
	s_waitcnt lgkmcnt(0)
	v_add_u16_e32 v32, v33, v32
	v_cmp_gt_u32_e64 s[2:3], v29, v19
	v_lshlrev_b32_e32 v30, 2, v30
	v_cndmask_b32_e64 v34, v32, v31, s[2:3]
	v_add_lshl_u32 v30, v30, v15, 2
	ds_bpermute_b32 v35, v30, v34
	v_cmp_gt_u32_e64 s[8:9], 56, v25
	v_cndmask_b32_e64 v33, v32, v33, s[2:3]
	v_add_u32_e32 v31, 4, v25
	v_cndmask_b32_e64 v32, 0, 1, s[8:9]
	s_waitcnt lgkmcnt(0)
	v_add_u16_e32 v35, v33, v35
	v_cmp_gt_u32_e64 s[2:3], v31, v19
	v_lshlrev_b32_e32 v32, 3, v32
	v_cndmask_b32_e64 v34, v35, v34, s[2:3]
	v_add_lshl_u32 v32, v32, v15, 2
	ds_bpermute_b32 v36, v32, v34
	v_cndmask_b32_e64 v35, v35, v33, s[2:3]
	v_add_u32_e32 v33, 8, v25
	v_cmp_gt_u32_e64 s[2:3], v33, v19
	v_cmp_gt_u32_e64 s[8:9], 48, v25
	s_waitcnt lgkmcnt(0)
	v_add_u16_e32 v36, v35, v36
	v_cndmask_b32_e64 v37, v36, v34, s[2:3]
	v_cndmask_b32_e64 v34, 0, 1, s[8:9]
	v_lshlrev_b32_e32 v34, 4, v34
	v_add_lshl_u32 v34, v34, v15, 2
	ds_bpermute_b32 v38, v34, v37
	v_cndmask_b32_e64 v36, v36, v35, s[2:3]
	v_add_u32_e32 v35, 16, v25
	v_cmp_gt_u32_e64 s[2:3], v35, v19
	v_cmp_gt_u32_e64 s[8:9], 32, v25
	s_waitcnt lgkmcnt(0)
	v_add_u16_e32 v39, v36, v38
	v_cndmask_b32_e64 v38, v39, v37, s[2:3]
	v_cndmask_b32_e64 v37, 0, 1, s[8:9]
	v_lshlrev_b32_e32 v37, 5, v37
	v_add_lshl_u32 v37, v37, v15, 2
	ds_bpermute_b32 v15, v37, v38
	v_add_u32_e32 v38, 32, v25
	v_cndmask_b32_e64 v36, v39, v36, s[2:3]
	v_cmp_le_u32_e64 s[2:3], v38, v19
	s_waitcnt lgkmcnt(0)
	v_cndmask_b32_e64 v15, 0, v15, s[2:3]
	v_add_u16_e32 v15, v36, v15
	v_cndmask_b32_e32 v18, v18, v15, vcc
	v_mov_b32_e32 v15, 0
	s_branch .LBB5908_66
.LBB5908_65:                            ;   in Loop: Header=BB5908_66 Depth=1
	s_or_b64 exec, exec, s[2:3]
	v_cmp_eq_u16_sdwa s[2:3], v27, v24 src0_sel:BYTE_0 src1_sel:DWORD
	v_and_b32_e32 v40, 0xffff, v39
	v_and_b32_e32 v18, s3, v17
	ds_bpermute_b32 v41, v26, v40
	v_or_b32_e32 v18, 0x80000000, v18
	v_and_b32_e32 v19, s2, v16
	v_ffbl_b32_e32 v18, v18
	v_add_u32_e32 v18, 32, v18
	v_ffbl_b32_e32 v19, v19
	v_min_u32_e32 v18, v19, v18
	s_waitcnt lgkmcnt(0)
	v_add_u16_e32 v19, v41, v39
	v_cmp_lt_u32_e32 vcc, v25, v18
	v_cndmask_b32_e32 v40, v40, v19, vcc
	ds_bpermute_b32 v41, v28, v40
	v_cndmask_b32_e32 v19, v39, v19, vcc
	v_cmp_gt_u32_e64 s[2:3], v29, v18
	v_subrev_u32_e32 v14, 64, v14
	s_waitcnt lgkmcnt(0)
	v_add_u16_e32 v41, v19, v41
	v_cndmask_b32_e64 v40, v41, v40, s[2:3]
	ds_bpermute_b32 v42, v30, v40
	v_cndmask_b32_e64 v19, v41, v19, s[2:3]
	v_cmp_gt_u32_e64 s[2:3], v31, v18
	s_waitcnt lgkmcnt(0)
	v_add_u16_e32 v41, v19, v42
	v_cndmask_b32_e64 v40, v41, v40, s[2:3]
	ds_bpermute_b32 v42, v32, v40
	v_cndmask_b32_e64 v19, v41, v19, s[2:3]
	v_cmp_gt_u32_e64 s[2:3], v33, v18
	s_waitcnt lgkmcnt(0)
	v_add_u16_e32 v41, v19, v42
	v_cndmask_b32_e64 v40, v41, v40, s[2:3]
	ds_bpermute_b32 v42, v34, v40
	v_cndmask_b32_e64 v19, v41, v19, s[2:3]
	v_cmp_gt_u32_e64 s[2:3], v35, v18
	s_waitcnt lgkmcnt(0)
	v_add_u16_e32 v41, v19, v42
	v_cndmask_b32_e64 v40, v41, v40, s[2:3]
	ds_bpermute_b32 v40, v37, v40
	v_cndmask_b32_e64 v19, v41, v19, s[2:3]
	v_cmp_le_u32_e64 s[2:3], v38, v18
	s_waitcnt lgkmcnt(0)
	v_cndmask_b32_e64 v18, 0, v40, s[2:3]
	v_add_u16_e32 v18, v19, v18
	v_cndmask_b32_e32 v18, v39, v18, vcc
	v_add_u16_e32 v18, v18, v36
.LBB5908_66:                            ; =>This Loop Header: Depth=1
                                        ;     Child Loop BB5908_69 Depth 2
                                        ;       Child Loop BB5908_70 Depth 3
	v_cmp_ne_u16_sdwa s[2:3], v27, v24 src0_sel:BYTE_0 src1_sel:DWORD
	v_cndmask_b32_e64 v19, 0, 1, s[2:3]
	;;#ASMSTART
	;;#ASMEND
	v_cmp_ne_u32_e32 vcc, 0, v19
	s_cmp_lg_u64 vcc, exec
	v_mov_b32_e32 v36, v18
	s_cbranch_scc1 .LBB5908_73
; %bb.67:                               ;   in Loop: Header=BB5908_66 Depth=1
	v_lshlrev_b64 v[18:19], 2, v[14:15]
	v_mov_b32_e32 v27, s15
	v_add_co_u32_e32 v18, vcc, s14, v18
	v_addc_co_u32_e32 v19, vcc, v27, v19, vcc
	global_load_dword v39, v[18:19], off glc
	s_waitcnt vmcnt(0)
	v_lshrrev_b32_e32 v27, 16, v39
	v_cmp_eq_u16_sdwa s[8:9], v27, v15 src0_sel:BYTE_0 src1_sel:DWORD
	s_and_saveexec_b64 s[2:3], s[8:9]
	s_cbranch_execz .LBB5908_65
; %bb.68:                               ;   in Loop: Header=BB5908_66 Depth=1
	s_mov_b32 s7, 1
	s_mov_b64 s[8:9], 0
.LBB5908_69:                            ;   Parent Loop BB5908_66 Depth=1
                                        ; =>  This Loop Header: Depth=2
                                        ;       Child Loop BB5908_70 Depth 3
	s_max_u32 s18, s7, 1
.LBB5908_70:                            ;   Parent Loop BB5908_66 Depth=1
                                        ;     Parent Loop BB5908_69 Depth=2
                                        ; =>    This Inner Loop Header: Depth=3
	s_add_i32 s18, s18, -1
	s_cmp_eq_u32 s18, 0
	s_sleep 1
	s_cbranch_scc0 .LBB5908_70
; %bb.71:                               ;   in Loop: Header=BB5908_69 Depth=2
	global_load_dword v39, v[18:19], off glc
	s_cmp_lt_u32 s7, 32
	s_cselect_b64 s[18:19], -1, 0
	s_cmp_lg_u64 s[18:19], 0
	s_addc_u32 s7, s7, 0
	s_waitcnt vmcnt(0)
	v_lshrrev_b32_e32 v27, 16, v39
	v_cmp_ne_u16_sdwa s[18:19], v27, v15 src0_sel:BYTE_0 src1_sel:DWORD
	s_or_b64 s[8:9], s[18:19], s[8:9]
	s_andn2_b64 exec, exec, s[8:9]
	s_cbranch_execnz .LBB5908_69
; %bb.72:                               ;   in Loop: Header=BB5908_66 Depth=1
	s_or_b64 exec, exec, s[8:9]
	s_branch .LBB5908_65
.LBB5908_73:                            ;   in Loop: Header=BB5908_66 Depth=1
                                        ; implicit-def: $vgpr18
                                        ; implicit-def: $vgpr27
	s_cbranch_execz .LBB5908_66
; %bb.74:
	s_and_saveexec_b64 s[2:3], s[0:1]
	s_cbranch_execz .LBB5908_76
; %bb.75:
	s_add_i32 s0, s6, 64
	s_mov_b32 s1, 0
	s_lshl_b64 s[0:1], s[0:1], 2
	v_add_u16_e32 v14, v36, v23
	s_add_u32 s0, s14, s0
	v_or_b32_e32 v14, 0x20000, v14
	s_addc_u32 s1, s15, s1
	v_mov_b32_e32 v15, 0
	global_store_dword v15, v14, s[0:1]
.LBB5908_76:
	s_or_b64 exec, exec, s[2:3]
	v_cmp_eq_u32_e32 vcc, 0, v0
	s_and_b64 exec, exec, vcc
	s_cbranch_execz .LBB5908_78
; %bb.77:
	v_mov_b32_e32 v14, 0
	ds_write_b16 v14, v36
.LBB5908_78:
	s_or_b64 exec, exec, s[10:11]
	v_mov_b32_e32 v14, 0
	s_waitcnt lgkmcnt(0)
	; wave barrier
	s_waitcnt lgkmcnt(0)
	ds_read_u16 v14, v14
	v_cmp_ne_u32_e32 vcc, 0, v0
	v_cndmask_b32_e32 v15, 0, v22, vcc
	v_add_u16_e32 v15, v15, v10
	s_waitcnt lgkmcnt(0)
	v_add_u16_e32 v14, v15, v14
	v_add_u16_sdwa v15, v14, v10 dst_sel:DWORD dst_unused:UNUSED_PAD src0_sel:DWORD src1_sel:WORD_1
	v_add_u16_e32 v16, v15, v11
	v_add_u16_sdwa v17, v16, v11 dst_sel:DWORD dst_unused:UNUSED_PAD src0_sel:DWORD src1_sel:WORD_1
	;; [unrolled: 2-line block ×12, first 2 shown]
	s_load_dwordx8 s[4:11], s[4:5], 0x40
	s_branch .LBB5908_89
.LBB5908_79:
                                        ; implicit-def: $vgpr14
                                        ; implicit-def: $vgpr15
                                        ; implicit-def: $vgpr16
                                        ; implicit-def: $vgpr17
                                        ; implicit-def: $vgpr18
                                        ; implicit-def: $vgpr19
                                        ; implicit-def: $vgpr23
                                        ; implicit-def: $vgpr25
                                        ; implicit-def: $vgpr22
                                        ; implicit-def: $vgpr24
                                        ; implicit-def: $vgpr26
                                        ; implicit-def: $vgpr27
                                        ; implicit-def: $vgpr28
                                        ; implicit-def: $vgpr29
                                        ; implicit-def: $vgpr31
                                        ; implicit-def: $vgpr33
                                        ; implicit-def: $vgpr30
                                        ; implicit-def: $vgpr32
                                        ; implicit-def: $vgpr34
                                        ; implicit-def: $vgpr35
                                        ; implicit-def: $vgpr36
                                        ; implicit-def: $vgpr37
                                        ; implicit-def: $vgpr38
                                        ; implicit-def: $vgpr39
	s_load_dwordx8 s[4:11], s[4:5], 0x40
	s_cbranch_execz .LBB5908_89
; %bb.80:
	s_waitcnt lgkmcnt(0)
	s_cmp_lg_u64 s[8:9], 0
	s_cselect_b64 s[2:3], -1, 0
	v_cmp_eq_u32_e32 vcc, 0, v0
	v_cmp_ne_u32_e64 s[0:1], 0, v0
	s_and_b64 s[8:9], vcc, s[2:3]
	v_mov_b32_e32 v14, v10
	s_and_saveexec_b64 s[2:3], s[8:9]
	s_cbranch_execz .LBB5908_82
; %bb.81:
	v_mov_b32_e32 v14, 0
	global_load_ushort v14, v14, s[4:5]
	s_waitcnt vmcnt(0)
	v_add_u16_e32 v14, v14, v10
.LBB5908_82:
	s_or_b64 exec, exec, s[2:3]
	v_add_u16_sdwa v15, v14, v10 dst_sel:DWORD dst_unused:UNUSED_PAD src0_sel:DWORD src1_sel:WORD_1
	v_add_u16_e32 v16, v15, v11
	v_add_u16_sdwa v17, v16, v11 dst_sel:DWORD dst_unused:UNUSED_PAD src0_sel:DWORD src1_sel:WORD_1
	v_add_u16_e32 v18, v17, v12
	;; [unrolled: 2-line block ×11, first 2 shown]
	v_mbcnt_hi_u32_b32 v21, -1, v21
	v_add_u16_sdwa v39, v38, v5 dst_sel:DWORD dst_unused:UNUSED_PAD src0_sel:DWORD src1_sel:WORD_1
	v_and_b32_e32 v40, 15, v21
	v_cmp_ne_u32_e32 vcc, 0, v40
	v_mov_b32_dpp v41, v39 row_shr:1 row_mask:0xf bank_mask:0xf
	v_cndmask_b32_e32 v41, 0, v41, vcc
	v_add_u16_e32 v41, v39, v41
	v_cmp_lt_u32_e32 vcc, 1, v40
	s_nop 0
	v_mov_b32_dpp v42, v41 row_shr:2 row_mask:0xf bank_mask:0xf
	v_cndmask_b32_e32 v42, 0, v42, vcc
	v_add_u16_e32 v41, v41, v42
	v_cmp_lt_u32_e32 vcc, 3, v40
	s_nop 0
	v_mov_b32_dpp v42, v41 row_shr:4 row_mask:0xf bank_mask:0xf
	v_cndmask_b32_e32 v42, 0, v42, vcc
	v_add_u16_e32 v41, v41, v42
	v_cmp_lt_u32_e32 vcc, 7, v40
	s_nop 0
	v_mov_b32_dpp v42, v41 row_shr:8 row_mask:0xf bank_mask:0xf
	v_cndmask_b32_e32 v40, 0, v42, vcc
	v_add_u16_e32 v40, v41, v40
	v_and_b32_e32 v42, 16, v21
	v_cmp_ne_u32_e32 vcc, 0, v42
	v_mov_b32_dpp v41, v40 row_bcast:15 row_mask:0xf bank_mask:0xf
	v_cndmask_b32_e32 v41, 0, v41, vcc
	v_add_u16_e32 v40, v40, v41
	v_cmp_lt_u32_e32 vcc, 31, v21
	s_nop 0
	v_mov_b32_dpp v41, v40 row_bcast:31 row_mask:0xf bank_mask:0xf
	v_cndmask_b32_e32 v41, 0, v41, vcc
	v_add_u16_e32 v40, v40, v41
	v_cmp_eq_u32_e32 vcc, 63, v0
	s_and_saveexec_b64 s[2:3], vcc
	s_cbranch_execz .LBB5908_84
; %bb.83:
	v_mov_b32_e32 v41, 0
	ds_write_b16 v41, v40
.LBB5908_84:
	s_or_b64 exec, exec, s[2:3]
	v_add_u32_e32 v41, -1, v21
	v_and_b32_e32 v42, 64, v21
	v_cmp_lt_i32_e64 s[2:3], v41, v42
	v_cndmask_b32_e64 v21, v41, v21, s[2:3]
	v_lshlrev_b32_e32 v21, 2, v21
	ds_bpermute_b32 v21, v21, v40
	s_waitcnt lgkmcnt(0)
	; wave barrier
	s_waitcnt lgkmcnt(0)
	s_and_saveexec_b64 s[2:3], s[0:1]
	s_cbranch_execz .LBB5908_86
; %bb.85:
	v_add_u16_e32 v14, v14, v21
	v_add_u16_sdwa v15, v14, v10 dst_sel:DWORD dst_unused:UNUSED_PAD src0_sel:DWORD src1_sel:WORD_1
	v_add_u16_e32 v16, v15, v11
	v_add_u16_sdwa v17, v16, v11 dst_sel:DWORD dst_unused:UNUSED_PAD src0_sel:DWORD src1_sel:WORD_1
	;; [unrolled: 2-line block ×12, first 2 shown]
	;;#ASMSTART
	;;#ASMEND
.LBB5908_86:
	s_or_b64 exec, exec, s[2:3]
	s_and_saveexec_b64 s[0:1], vcc
	s_cbranch_execz .LBB5908_88
; %bb.87:
	s_mov_b32 s2, 0x20000
	v_mov_b32_e32 v2, 0
	v_or_b32_sdwa v3, v39, s2 dst_sel:DWORD dst_unused:UNUSED_PAD src0_sel:WORD_0 src1_sel:DWORD
	global_store_dword v2, v3, s[14:15] offset:256
.LBB5908_88:
	s_or_b64 exec, exec, s[0:1]
.LBB5908_89:
	s_mov_b32 s0, 0x5040100
	v_perm_b32 v5, v25, v23, s0
	v_perm_b32 v4, v19, v18, s0
	;; [unrolled: 1-line block ×4, first 2 shown]
	s_waitcnt lgkmcnt(0)
	; wave barrier
	s_waitcnt lgkmcnt(0)
	ds_write_b128 v1, v[2:5]
	v_perm_b32 v5, v33, v31, s0
	v_perm_b32 v4, v29, v28, s0
	;; [unrolled: 1-line block ×4, first 2 shown]
	ds_write_b128 v1, v[2:5] offset:16
	v_perm_b32 v5, v39, v38, s0
	v_perm_b32 v4, v37, v36, s0
	;; [unrolled: 1-line block ×4, first 2 shown]
	s_mov_b64 s[0:1], -1
	s_and_b64 vcc, exec, s[12:13]
	ds_write_b128 v1, v[2:5] offset:32
	s_waitcnt lgkmcnt(0)
	s_cbranch_vccz .LBB5908_91
; %bb.90:
	; wave barrier
	s_mov_b64 s[0:1], 0
.LBB5908_91:
	s_andn2_b64 vcc, exec, s[0:1]
	s_cbranch_vccnz .LBB5908_100
; %bb.92:
	v_cmp_lt_u64_e64 s[0:1], s[10:11], 2
	s_and_b64 vcc, exec, s[0:1]
	; wave barrier
	s_cbranch_vccnz .LBB5908_100
; %bb.93:
	s_add_u32 s0, s16, -1
	s_addc_u32 s1, s17, -1
	s_add_u32 s2, 0, 0xaaaa0000
	s_addc_u32 s3, 0, 42
	s_add_i32 s3, s3, 0xaaaaa80
	s_mul_hi_u32 s9, s2, 0xffffffe8
	s_sub_i32 s9, s9, s2
	s_mul_i32 s10, s3, 0xffffffe8
	s_mul_i32 s4, s2, 0xffffffe8
	s_add_i32 s9, s9, s10
	s_mul_hi_u32 s5, s3, s4
	s_mul_i32 s8, s3, s4
	s_mul_i32 s11, s2, s9
	s_mul_hi_u32 s4, s2, s4
	s_mul_hi_u32 s10, s2, s9
	s_add_u32 s4, s4, s11
	s_addc_u32 s10, 0, s10
	s_add_u32 s4, s4, s8
	s_mul_hi_u32 s11, s3, s9
	s_addc_u32 s4, s10, s5
	s_addc_u32 s5, s11, 0
	s_mul_i32 s8, s3, s9
	s_add_u32 s4, s4, s8
	v_mov_b32_e32 v2, s4
	s_addc_u32 s5, 0, s5
	v_add_co_u32_e32 v2, vcc, s2, v2
	s_cmp_lg_u64 vcc, 0
	s_addc_u32 s2, s3, s5
	v_readfirstlane_b32 s5, v2
	s_mul_i32 s4, s0, s2
	s_mul_hi_u32 s8, s0, s5
	s_mul_hi_u32 s3, s0, s2
	s_add_u32 s4, s8, s4
	s_addc_u32 s3, 0, s3
	s_mul_hi_u32 s9, s1, s5
	s_mul_i32 s5, s1, s5
	s_add_u32 s4, s4, s5
	s_mul_hi_u32 s8, s1, s2
	s_addc_u32 s3, s3, s9
	s_addc_u32 s4, s8, 0
	s_mul_i32 s2, s1, s2
	s_add_u32 s2, s3, s2
	s_addc_u32 s3, 0, s4
	s_add_u32 s4, s2, 1
	s_addc_u32 s5, s3, 0
	s_add_u32 s8, s2, 2
	s_mul_i32 s10, s3, 24
	s_mul_hi_u32 s11, s2, 24
	s_addc_u32 s9, s3, 0
	s_add_i32 s11, s11, s10
	s_mul_i32 s10, s2, 24
	v_mov_b32_e32 v2, s10
	v_sub_co_u32_e32 v2, vcc, s0, v2
	s_cmp_lg_u64 vcc, 0
	s_subb_u32 s10, s1, s11
	v_subrev_co_u32_e32 v3, vcc, 24, v2
	s_cmp_lg_u64 vcc, 0
	s_subb_u32 s11, s10, 0
	v_readfirstlane_b32 s12, v3
	s_cmp_gt_u32 s12, 23
	s_cselect_b32 s12, -1, 0
	s_cmp_eq_u32 s11, 0
	s_cselect_b32 s11, s12, -1
	s_cmp_lg_u32 s11, 0
	s_cselect_b32 s4, s8, s4
	v_readfirstlane_b32 s8, v2
	s_cselect_b32 s5, s9, s5
	s_cmp_gt_u32 s8, 23
	s_cselect_b32 s8, -1, 0
	s_cmp_eq_u32 s10, 0
	s_cselect_b32 s8, s8, -1
	s_cmp_lg_u32 s8, 0
	v_mov_b32_e32 v1, 0
	s_cselect_b32 s3, s5, s3
	s_cselect_b32 s2, s4, s2
	v_cmp_eq_u64_e32 vcc, s[2:3], v[0:1]
	s_and_saveexec_b64 s[2:3], vcc
	s_cbranch_execz .LBB5908_100
; %bb.94:
	v_lshlrev_b32_e32 v2, 1, v0
	v_mul_hi_u32_u24_e32 v1, 24, v0
	v_mov_b32_e32 v3, s1
	v_sub_co_u32_e32 v0, vcc, s0, v20
	v_subb_co_u32_e32 v1, vcc, v3, v1, vcc
	v_cmp_lt_i64_e32 vcc, 11, v[0:1]
	s_mov_b64 s[0:1], 0
	s_mov_b64 s[10:11], 0
	;; [unrolled: 1-line block ×4, first 2 shown]
                                        ; implicit-def: $vgpr3
                                        ; implicit-def: $vgpr4
                                        ; implicit-def: $vgpr5
	s_and_saveexec_b64 s[2:3], vcc
	s_xor_b64 s[2:3], exec, s[2:3]
	s_cbranch_execnz .LBB5908_101
; %bb.95:
	s_andn2_saveexec_b64 s[2:3], s[2:3]
	s_cbranch_execnz .LBB5908_146
.LBB5908_96:
	s_or_b64 exec, exec, s[2:3]
	s_and_saveexec_b64 s[2:3], s[10:11]
	s_cbranch_execnz .LBB5908_163
.LBB5908_97:
	s_or_b64 exec, exec, s[2:3]
	s_and_saveexec_b64 s[2:3], s[8:9]
	s_cbranch_execnz .LBB5908_164
.LBB5908_98:
	s_or_b64 exec, exec, s[2:3]
	s_and_saveexec_b64 s[2:3], s[4:5]
	s_xor_b64 s[2:3], exec, s[2:3]
	s_cbranch_execnz .LBB5908_165
.LBB5908_99:
	s_or_b64 exec, exec, s[2:3]
	s_and_b64 exec, exec, s[0:1]
	s_cbranch_execnz .LBB5908_166
.LBB5908_100:
	s_endpgm
.LBB5908_101:
	v_cmp_lt_i64_e32 vcc, 17, v[0:1]
                                        ; implicit-def: $vgpr3
                                        ; implicit-def: $vgpr4
                                        ; implicit-def: $vgpr5
	s_and_saveexec_b64 s[12:13], vcc
	s_xor_b64 s[12:13], exec, s[12:13]
	s_cbranch_execz .LBB5908_123
; %bb.102:
	v_cmp_lt_i64_e32 vcc, 20, v[0:1]
                                        ; implicit-def: $vgpr3
                                        ; implicit-def: $vgpr4
	s_and_saveexec_b64 s[14:15], vcc
	s_xor_b64 s[14:15], exec, s[14:15]
	s_cbranch_execz .LBB5908_112
; %bb.103:
	v_cmp_lt_i64_e32 vcc, 21, v[0:1]
	s_mov_b64 s[16:17], 0
                                        ; implicit-def: $vgpr3
	s_and_saveexec_b64 s[4:5], vcc
	s_xor_b64 s[4:5], exec, s[4:5]
	s_cbranch_execz .LBB5908_109
; %bb.104:
	v_cmp_lt_i64_e32 vcc, 22, v[0:1]
	s_and_saveexec_b64 s[16:17], vcc
	s_xor_b64 s[16:17], exec, s[16:17]
	s_cbranch_execz .LBB5908_106
; %bb.105:
	ds_read_u16 v3, v2 offset:2944
	v_mov_b32_e32 v4, 0
	s_waitcnt lgkmcnt(0)
	global_store_short v4, v3, s[6:7]
.LBB5908_106:
	s_or_saveexec_b64 s[16:17], s[16:17]
	s_mov_b64 s[18:19], 0
                                        ; implicit-def: $vgpr3
	s_xor_b64 exec, exec, s[16:17]
	s_cbranch_execz .LBB5908_108
; %bb.107:
	ds_read_u16 v3, v2 offset:2816
	s_mov_b64 s[18:19], exec
.LBB5908_108:
	s_or_b64 exec, exec, s[16:17]
	s_and_b64 s[16:17], s[18:19], exec
.LBB5908_109:
	s_or_saveexec_b64 s[4:5], s[4:5]
                                        ; implicit-def: $vgpr4
	s_xor_b64 exec, exec, s[4:5]
	s_cbranch_execz .LBB5908_111
; %bb.110:
	ds_read_u16 v4, v2 offset:2688
	s_mov_b64 s[8:9], exec
                                        ; implicit-def: $vgpr3
.LBB5908_111:
	s_or_b64 exec, exec, s[4:5]
	s_and_b64 s[4:5], s[16:17], exec
	s_and_b64 s[8:9], s[8:9], exec
.LBB5908_112:
	s_or_saveexec_b64 s[14:15], s[14:15]
                                        ; implicit-def: $vgpr5
	s_xor_b64 exec, exec, s[14:15]
	s_cbranch_execz .LBB5908_122
; %bb.113:
	v_cmp_lt_i64_e32 vcc, 18, v[0:1]
	s_mov_b64 s[16:17], 0
                                        ; implicit-def: $vgpr5
	s_and_saveexec_b64 s[10:11], vcc
	s_xor_b64 s[10:11], exec, s[10:11]
	s_cbranch_execz .LBB5908_119
; %bb.114:
	v_cmp_lt_i64_e32 vcc, 19, v[0:1]
                                        ; implicit-def: $vgpr5
	s_and_saveexec_b64 s[18:19], vcc
	s_xor_b64 s[18:19], exec, s[18:19]
	s_cbranch_execz .LBB5908_116
; %bb.115:
	ds_read_u16 v5, v2 offset:2560
	s_mov_b64 s[16:17], exec
.LBB5908_116:
	s_andn2_saveexec_b64 s[18:19], s[18:19]
	s_cbranch_execz .LBB5908_118
; %bb.117:
	s_waitcnt lgkmcnt(0)
	ds_read_u16 v3, v2 offset:2432
	v_mov_b32_e32 v4, 0
                                        ; implicit-def: $vgpr5
	s_waitcnt lgkmcnt(0)
	global_store_short v4, v3, s[6:7]
.LBB5908_118:
	s_or_b64 exec, exec, s[18:19]
	s_and_b64 s[16:17], s[16:17], exec
.LBB5908_119:
	s_andn2_saveexec_b64 s[10:11], s[10:11]
	s_cbranch_execz .LBB5908_121
; %bb.120:
	s_waitcnt lgkmcnt(0)
	ds_read_u16 v3, v2 offset:2304
	v_mov_b32_e32 v4, 0
                                        ; implicit-def: $vgpr5
	s_waitcnt lgkmcnt(0)
	global_store_short v4, v3, s[6:7]
.LBB5908_121:
	s_or_b64 exec, exec, s[10:11]
	s_and_b64 s[10:11], s[16:17], exec
                                        ; implicit-def: $vgpr3
                                        ; implicit-def: $vgpr4
.LBB5908_122:
	s_or_b64 exec, exec, s[14:15]
	s_and_b64 s[4:5], s[4:5], exec
	s_and_b64 s[8:9], s[8:9], exec
	;; [unrolled: 1-line block ×3, first 2 shown]
.LBB5908_123:
	s_andn2_saveexec_b64 s[12:13], s[12:13]
	s_cbranch_execz .LBB5908_145
; %bb.124:
	v_cmp_lt_i64_e32 vcc, 14, v[0:1]
	s_mov_b64 s[14:15], s[4:5]
                                        ; implicit-def: $vgpr3
	s_and_saveexec_b64 s[16:17], vcc
	s_xor_b64 s[16:17], exec, s[16:17]
	s_cbranch_execz .LBB5908_134
; %bb.125:
	v_cmp_lt_i64_e32 vcc, 15, v[0:1]
	s_and_saveexec_b64 s[14:15], vcc
	s_xor_b64 s[14:15], exec, s[14:15]
	s_cbranch_execz .LBB5908_131
; %bb.126:
	v_cmp_lt_i64_e32 vcc, 16, v[0:1]
	s_and_saveexec_b64 s[18:19], vcc
	s_xor_b64 s[18:19], exec, s[18:19]
	s_cbranch_execz .LBB5908_128
; %bb.127:
	s_waitcnt lgkmcnt(0)
	ds_read_u16 v3, v2 offset:2176
	v_mov_b32_e32 v4, 0
	s_waitcnt lgkmcnt(0)
	global_store_short v4, v3, s[6:7]
.LBB5908_128:
	s_andn2_saveexec_b64 s[18:19], s[18:19]
	s_cbranch_execz .LBB5908_130
; %bb.129:
	s_waitcnt lgkmcnt(0)
	ds_read_u16 v3, v2 offset:2048
	v_mov_b32_e32 v4, 0
	s_waitcnt lgkmcnt(0)
	global_store_short v4, v3, s[6:7]
.LBB5908_130:
	s_or_b64 exec, exec, s[18:19]
.LBB5908_131:
	s_or_saveexec_b64 s[14:15], s[14:15]
	s_mov_b64 s[18:19], s[4:5]
                                        ; implicit-def: $vgpr3
	s_xor_b64 exec, exec, s[14:15]
	s_cbranch_execz .LBB5908_133
; %bb.132:
	s_waitcnt lgkmcnt(0)
	ds_read_u16 v3, v2 offset:1920
	s_or_b64 s[18:19], s[4:5], exec
.LBB5908_133:
	s_or_b64 exec, exec, s[14:15]
	s_andn2_b64 s[14:15], s[4:5], exec
	s_and_b64 s[18:19], s[18:19], exec
	s_or_b64 s[14:15], s[14:15], s[18:19]
.LBB5908_134:
	s_or_saveexec_b64 s[16:17], s[16:17]
	s_mov_b64 s[18:19], s[8:9]
                                        ; implicit-def: $vgpr4
	s_xor_b64 exec, exec, s[16:17]
	s_cbranch_execz .LBB5908_144
; %bb.135:
	v_cmp_lt_i64_e32 vcc, 12, v[0:1]
	s_mov_b64 s[20:21], s[8:9]
	s_mov_b64 s[22:23], s[14:15]
                                        ; implicit-def: $vgpr3
                                        ; implicit-def: $vgpr4
	s_and_saveexec_b64 s[18:19], vcc
	s_xor_b64 s[18:19], exec, s[18:19]
	s_cbranch_execz .LBB5908_141
; %bb.136:
	v_cmp_lt_i64_e32 vcc, 13, v[0:1]
	s_mov_b64 s[20:21], s[14:15]
                                        ; implicit-def: $vgpr3
	s_and_saveexec_b64 s[22:23], vcc
	s_xor_b64 s[22:23], exec, s[22:23]
	s_cbranch_execz .LBB5908_138
; %bb.137:
	s_waitcnt lgkmcnt(0)
	ds_read_u16 v3, v2 offset:1792
	s_or_b64 s[20:21], s[14:15], exec
.LBB5908_138:
	s_or_saveexec_b64 s[22:23], s[22:23]
	s_mov_b64 s[24:25], s[8:9]
                                        ; implicit-def: $vgpr4
	s_xor_b64 exec, exec, s[22:23]
	s_cbranch_execz .LBB5908_140
; %bb.139:
	s_waitcnt lgkmcnt(0)
	ds_read_u16 v4, v2 offset:1664
	s_or_b64 s[24:25], s[8:9], exec
                                        ; implicit-def: $vgpr3
.LBB5908_140:
	s_or_b64 exec, exec, s[22:23]
	s_andn2_b64 s[22:23], s[14:15], exec
	s_and_b64 s[20:21], s[20:21], exec
	s_or_b64 s[22:23], s[22:23], s[20:21]
	s_andn2_b64 s[20:21], s[8:9], exec
	s_and_b64 s[24:25], s[24:25], exec
	s_or_b64 s[20:21], s[20:21], s[24:25]
.LBB5908_141:
	s_andn2_saveexec_b64 s[18:19], s[18:19]
	s_cbranch_execz .LBB5908_143
; %bb.142:
	s_waitcnt lgkmcnt(0)
	ds_read_u16 v4, v2 offset:1536
	s_or_b64 s[20:21], s[20:21], exec
                                        ; implicit-def: $vgpr3
.LBB5908_143:
	s_or_b64 exec, exec, s[18:19]
	s_andn2_b64 s[14:15], s[14:15], exec
	s_and_b64 s[18:19], s[22:23], exec
	s_or_b64 s[14:15], s[14:15], s[18:19]
	s_andn2_b64 s[18:19], s[8:9], exec
	s_and_b64 s[20:21], s[20:21], exec
	s_or_b64 s[18:19], s[18:19], s[20:21]
.LBB5908_144:
	s_or_b64 exec, exec, s[16:17]
	s_andn2_b64 s[4:5], s[4:5], exec
	s_and_b64 s[14:15], s[14:15], exec
	s_or_b64 s[4:5], s[4:5], s[14:15]
	s_andn2_b64 s[8:9], s[8:9], exec
	s_and_b64 s[14:15], s[18:19], exec
	s_or_b64 s[8:9], s[8:9], s[14:15]
                                        ; implicit-def: $vgpr5
.LBB5908_145:
	s_or_b64 exec, exec, s[12:13]
	s_and_b64 s[4:5], s[4:5], exec
	s_and_b64 s[8:9], s[8:9], exec
	;; [unrolled: 1-line block ×3, first 2 shown]
	s_andn2_saveexec_b64 s[2:3], s[2:3]
	s_cbranch_execz .LBB5908_96
.LBB5908_146:
	v_cmp_lt_i64_e32 vcc, 5, v[0:1]
	s_mov_b64 s[14:15], -1
	s_mov_b64 s[12:13], s[10:11]
	s_mov_b64 s[16:17], s[8:9]
	;; [unrolled: 1-line block ×3, first 2 shown]
                                        ; implicit-def: $vgpr3
                                        ; implicit-def: $vgpr4
                                        ; implicit-def: $vgpr5
	s_and_saveexec_b64 s[0:1], vcc
	s_cbranch_execz .LBB5908_162
; %bb.147:
	v_cmp_lt_i64_e32 vcc, 8, v[0:1]
	s_mov_b64 s[12:13], s[10:11]
                                        ; implicit-def: $vgpr5
	s_and_saveexec_b64 s[14:15], vcc
	s_xor_b64 s[14:15], exec, s[14:15]
	s_cbranch_execz .LBB5908_157
; %bb.148:
	v_cmp_lt_i64_e32 vcc, 9, v[0:1]
                                        ; implicit-def: $vgpr5
	s_and_saveexec_b64 s[12:13], vcc
	s_xor_b64 s[12:13], exec, s[12:13]
	s_cbranch_execz .LBB5908_154
; %bb.149:
	v_cmp_lt_i64_e32 vcc, 10, v[0:1]
                                        ; implicit-def: $vgpr5
	s_and_saveexec_b64 s[16:17], vcc
	s_xor_b64 s[16:17], exec, s[16:17]
	s_cbranch_execz .LBB5908_151
; %bb.150:
	s_waitcnt lgkmcnt(0)
	ds_read_u16 v5, v2 offset:1408
.LBB5908_151:
	s_andn2_saveexec_b64 s[16:17], s[16:17]
	s_cbranch_execz .LBB5908_153
; %bb.152:
	s_waitcnt lgkmcnt(0)
	ds_read_u16 v5, v2 offset:1280
.LBB5908_153:
	s_or_b64 exec, exec, s[16:17]
.LBB5908_154:
	s_andn2_saveexec_b64 s[12:13], s[12:13]
	s_cbranch_execz .LBB5908_156
; %bb.155:
	s_waitcnt lgkmcnt(0)
	ds_read_u16 v5, v2 offset:1152
.LBB5908_156:
	s_or_b64 exec, exec, s[12:13]
	s_or_b64 s[12:13], s[10:11], exec
.LBB5908_157:
	s_or_saveexec_b64 s[14:15], s[14:15]
	s_mov_b64 s[16:17], s[8:9]
	s_mov_b64 s[20:21], s[4:5]
                                        ; implicit-def: $vgpr3
                                        ; implicit-def: $vgpr4
	s_xor_b64 exec, exec, s[14:15]
	s_cbranch_execz .LBB5908_161
; %bb.158:
	s_waitcnt lgkmcnt(0)
	ds_read_u16 v3, v2 offset:768
	v_cmp_lt_i64_e32 vcc, 6, v[0:1]
	s_mov_b64 s[20:21], -1
	s_mov_b64 s[18:19], s[12:13]
	s_mov_b64 s[16:17], s[8:9]
                                        ; implicit-def: $vgpr4
                                        ; implicit-def: $vgpr5
	s_and_saveexec_b64 s[22:23], vcc
	s_cbranch_execz .LBB5908_160
; %bb.159:
	ds_read_u16 v4, v2 offset:896
	ds_read_u16 v5, v2 offset:1024
	v_cmp_lt_i64_e32 vcc, 7, v[0:1]
	s_andn2_b64 s[18:19], s[12:13], exec
	s_and_b64 s[24:25], vcc, exec
	s_xor_b64 s[20:21], exec, -1
	s_or_b64 s[16:17], s[8:9], exec
	s_or_b64 s[18:19], s[18:19], s[24:25]
                                        ; implicit-def: $vgpr3
.LBB5908_160:
	s_or_b64 exec, exec, s[22:23]
	s_andn2_b64 s[22:23], s[4:5], exec
	s_and_b64 s[20:21], s[20:21], exec
	s_or_b64 s[20:21], s[22:23], s[20:21]
	s_andn2_b64 s[22:23], s[8:9], exec
	s_and_b64 s[16:17], s[16:17], exec
	s_andn2_b64 s[12:13], s[12:13], exec
	s_and_b64 s[18:19], s[18:19], exec
	s_or_b64 s[16:17], s[22:23], s[16:17]
	s_or_b64 s[12:13], s[12:13], s[18:19]
.LBB5908_161:
	s_or_b64 exec, exec, s[14:15]
	s_andn2_b64 s[18:19], s[4:5], exec
	s_and_b64 s[20:21], s[20:21], exec
	s_or_b64 s[18:19], s[18:19], s[20:21]
	s_andn2_b64 s[20:21], s[8:9], exec
	s_and_b64 s[16:17], s[16:17], exec
	s_or_b64 s[16:17], s[20:21], s[16:17]
	s_andn2_b64 s[20:21], s[10:11], exec
	s_and_b64 s[12:13], s[12:13], exec
	s_xor_b64 s[14:15], exec, -1
	s_or_b64 s[12:13], s[20:21], s[12:13]
.LBB5908_162:
	s_or_b64 exec, exec, s[0:1]
	s_and_b64 s[0:1], s[14:15], exec
	s_andn2_b64 s[4:5], s[4:5], exec
	s_and_b64 s[14:15], s[18:19], exec
	s_or_b64 s[4:5], s[4:5], s[14:15]
	s_andn2_b64 s[8:9], s[8:9], exec
	s_and_b64 s[14:15], s[16:17], exec
	s_andn2_b64 s[10:11], s[10:11], exec
	s_and_b64 s[12:13], s[12:13], exec
	s_or_b64 s[8:9], s[8:9], s[14:15]
	s_or_b64 s[10:11], s[10:11], s[12:13]
	s_or_b64 exec, exec, s[2:3]
	s_and_saveexec_b64 s[2:3], s[10:11]
	s_cbranch_execz .LBB5908_97
.LBB5908_163:
	s_waitcnt lgkmcnt(0)
	v_mov_b32_e32 v3, 0
	s_andn2_b64 s[8:9], s[8:9], exec
	global_store_short v3, v5, s[6:7]
                                        ; implicit-def: $vgpr3
                                        ; implicit-def: $vgpr4
	s_or_b64 exec, exec, s[2:3]
	s_and_saveexec_b64 s[2:3], s[8:9]
	s_cbranch_execz .LBB5908_98
.LBB5908_164:
	s_waitcnt lgkmcnt(0)
	v_mov_b32_e32 v3, 0
	global_store_short v3, v4, s[6:7]
                                        ; implicit-def: $vgpr3
	s_or_b64 exec, exec, s[2:3]
	s_and_saveexec_b64 s[2:3], s[4:5]
	s_xor_b64 s[2:3], exec, s[2:3]
	s_cbranch_execz .LBB5908_99
.LBB5908_165:
	s_waitcnt lgkmcnt(0)
	v_mov_b32_e32 v4, 0
	global_store_short v4, v3, s[6:7]
	s_or_b64 exec, exec, s[2:3]
	s_and_b64 exec, exec, s[0:1]
	s_cbranch_execz .LBB5908_100
.LBB5908_166:
	v_cmp_lt_i64_e32 vcc, 2, v[0:1]
	s_and_saveexec_b64 s[0:1], vcc
	s_xor_b64 s[0:1], exec, s[0:1]
	s_cbranch_execz .LBB5908_176
; %bb.167:
	v_cmp_lt_i64_e32 vcc, 3, v[0:1]
	s_and_saveexec_b64 s[2:3], vcc
	s_xor_b64 s[2:3], exec, s[2:3]
	s_cbranch_execz .LBB5908_173
; %bb.168:
	v_cmp_lt_i64_e32 vcc, 4, v[0:1]
	s_and_saveexec_b64 s[4:5], vcc
	s_xor_b64 s[4:5], exec, s[4:5]
	s_cbranch_execz .LBB5908_170
; %bb.169:
	ds_read_u16 v0, v2 offset:640
	v_mov_b32_e32 v1, 0
                                        ; implicit-def: $vgpr2
	s_waitcnt lgkmcnt(0)
	global_store_short v1, v0, s[6:7]
.LBB5908_170:
	s_andn2_saveexec_b64 s[4:5], s[4:5]
	s_cbranch_execz .LBB5908_172
; %bb.171:
	ds_read_u16 v0, v2 offset:512
	v_mov_b32_e32 v1, 0
	s_waitcnt lgkmcnt(0)
	global_store_short v1, v0, s[6:7]
.LBB5908_172:
	s_or_b64 exec, exec, s[4:5]
                                        ; implicit-def: $vgpr2
.LBB5908_173:
	s_andn2_saveexec_b64 s[2:3], s[2:3]
	s_cbranch_execz .LBB5908_175
; %bb.174:
	ds_read_u16 v0, v2 offset:384
	v_mov_b32_e32 v1, 0
	s_waitcnt lgkmcnt(0)
	global_store_short v1, v0, s[6:7]
.LBB5908_175:
	s_or_b64 exec, exec, s[2:3]
                                        ; implicit-def: $vgpr0_vgpr1
                                        ; implicit-def: $vgpr2
.LBB5908_176:
	s_andn2_saveexec_b64 s[0:1], s[0:1]
	s_cbranch_execz .LBB5908_100
; %bb.177:
	v_cmp_lt_i64_e32 vcc, 1, v[0:1]
	s_and_saveexec_b64 s[0:1], vcc
	s_xor_b64 s[0:1], exec, s[0:1]
	s_cbranch_execz .LBB5908_179
; %bb.178:
	ds_read_u16 v0, v2 offset:256
	v_mov_b32_e32 v1, 0
                                        ; implicit-def: $vgpr2
	s_waitcnt lgkmcnt(0)
	global_store_short v1, v0, s[6:7]
                                        ; implicit-def: $vgpr0_vgpr1
.LBB5908_179:
	s_andn2_saveexec_b64 s[0:1], s[0:1]
	s_cbranch_execz .LBB5908_100
; %bb.180:
	v_cmp_ne_u64_e32 vcc, 1, v[0:1]
	s_and_saveexec_b64 s[0:1], vcc
	s_xor_b64 s[0:1], exec, s[0:1]
	s_cbranch_execz .LBB5908_182
; %bb.181:
	ds_read_u16 v0, v2
	v_mov_b32_e32 v1, 0
                                        ; implicit-def: $vgpr2
	s_waitcnt lgkmcnt(0)
	global_store_short v1, v0, s[6:7]
.LBB5908_182:
	s_andn2_saveexec_b64 s[0:1], s[0:1]
	s_cbranch_execz .LBB5908_100
; %bb.183:
	ds_read_u16 v0, v2 offset:128
	v_mov_b32_e32 v1, 0
	s_waitcnt lgkmcnt(0)
	global_store_short v1, v0, s[6:7]
	s_endpgm
	.section	.rodata,"a",@progbits
	.p2align	6, 0x0
	.amdhsa_kernel _ZN7rocprim17ROCPRIM_400000_NS6detail17trampoline_kernelINS0_14default_configENS1_20scan_config_selectorIsEEZZNS1_9scan_implILNS1_25lookback_scan_determinismE0ELb0ELb0ES3_N6thrust23THRUST_200600_302600_NS6detail15normal_iteratorINS9_10device_ptrIsEEEENS9_16discard_iteratorINS9_11use_defaultEEEsNS9_4plusIvEEsEEDaPvRmT3_T4_T5_mT6_P12ihipStream_tbENKUlT_T0_E_clISt17integral_constantIbLb1EESW_IbLb0EEEEDaSS_ST_EUlSS_E_NS1_11comp_targetILNS1_3genE4ELNS1_11target_archE910ELNS1_3gpuE8ELNS1_3repE0EEENS1_30default_config_static_selectorELNS0_4arch9wavefront6targetE1EEEvT1_
		.amdhsa_group_segment_fixed_size 3072
		.amdhsa_private_segment_fixed_size 0
		.amdhsa_kernarg_size 104
		.amdhsa_user_sgpr_count 6
		.amdhsa_user_sgpr_private_segment_buffer 1
		.amdhsa_user_sgpr_dispatch_ptr 0
		.amdhsa_user_sgpr_queue_ptr 0
		.amdhsa_user_sgpr_kernarg_segment_ptr 1
		.amdhsa_user_sgpr_dispatch_id 0
		.amdhsa_user_sgpr_flat_scratch_init 0
		.amdhsa_user_sgpr_kernarg_preload_length 0
		.amdhsa_user_sgpr_kernarg_preload_offset 0
		.amdhsa_user_sgpr_private_segment_size 0
		.amdhsa_uses_dynamic_stack 0
		.amdhsa_system_sgpr_private_segment_wavefront_offset 0
		.amdhsa_system_sgpr_workgroup_id_x 1
		.amdhsa_system_sgpr_workgroup_id_y 0
		.amdhsa_system_sgpr_workgroup_id_z 0
		.amdhsa_system_sgpr_workgroup_info 0
		.amdhsa_system_vgpr_workitem_id 0
		.amdhsa_next_free_vgpr 43
		.amdhsa_next_free_sgpr 26
		.amdhsa_accum_offset 44
		.amdhsa_reserve_vcc 1
		.amdhsa_reserve_flat_scratch 0
		.amdhsa_float_round_mode_32 0
		.amdhsa_float_round_mode_16_64 0
		.amdhsa_float_denorm_mode_32 3
		.amdhsa_float_denorm_mode_16_64 3
		.amdhsa_dx10_clamp 1
		.amdhsa_ieee_mode 1
		.amdhsa_fp16_overflow 0
		.amdhsa_tg_split 0
		.amdhsa_exception_fp_ieee_invalid_op 0
		.amdhsa_exception_fp_denorm_src 0
		.amdhsa_exception_fp_ieee_div_zero 0
		.amdhsa_exception_fp_ieee_overflow 0
		.amdhsa_exception_fp_ieee_underflow 0
		.amdhsa_exception_fp_ieee_inexact 0
		.amdhsa_exception_int_div_zero 0
	.end_amdhsa_kernel
	.section	.text._ZN7rocprim17ROCPRIM_400000_NS6detail17trampoline_kernelINS0_14default_configENS1_20scan_config_selectorIsEEZZNS1_9scan_implILNS1_25lookback_scan_determinismE0ELb0ELb0ES3_N6thrust23THRUST_200600_302600_NS6detail15normal_iteratorINS9_10device_ptrIsEEEENS9_16discard_iteratorINS9_11use_defaultEEEsNS9_4plusIvEEsEEDaPvRmT3_T4_T5_mT6_P12ihipStream_tbENKUlT_T0_E_clISt17integral_constantIbLb1EESW_IbLb0EEEEDaSS_ST_EUlSS_E_NS1_11comp_targetILNS1_3genE4ELNS1_11target_archE910ELNS1_3gpuE8ELNS1_3repE0EEENS1_30default_config_static_selectorELNS0_4arch9wavefront6targetE1EEEvT1_,"axG",@progbits,_ZN7rocprim17ROCPRIM_400000_NS6detail17trampoline_kernelINS0_14default_configENS1_20scan_config_selectorIsEEZZNS1_9scan_implILNS1_25lookback_scan_determinismE0ELb0ELb0ES3_N6thrust23THRUST_200600_302600_NS6detail15normal_iteratorINS9_10device_ptrIsEEEENS9_16discard_iteratorINS9_11use_defaultEEEsNS9_4plusIvEEsEEDaPvRmT3_T4_T5_mT6_P12ihipStream_tbENKUlT_T0_E_clISt17integral_constantIbLb1EESW_IbLb0EEEEDaSS_ST_EUlSS_E_NS1_11comp_targetILNS1_3genE4ELNS1_11target_archE910ELNS1_3gpuE8ELNS1_3repE0EEENS1_30default_config_static_selectorELNS0_4arch9wavefront6targetE1EEEvT1_,comdat
.Lfunc_end5908:
	.size	_ZN7rocprim17ROCPRIM_400000_NS6detail17trampoline_kernelINS0_14default_configENS1_20scan_config_selectorIsEEZZNS1_9scan_implILNS1_25lookback_scan_determinismE0ELb0ELb0ES3_N6thrust23THRUST_200600_302600_NS6detail15normal_iteratorINS9_10device_ptrIsEEEENS9_16discard_iteratorINS9_11use_defaultEEEsNS9_4plusIvEEsEEDaPvRmT3_T4_T5_mT6_P12ihipStream_tbENKUlT_T0_E_clISt17integral_constantIbLb1EESW_IbLb0EEEEDaSS_ST_EUlSS_E_NS1_11comp_targetILNS1_3genE4ELNS1_11target_archE910ELNS1_3gpuE8ELNS1_3repE0EEENS1_30default_config_static_selectorELNS0_4arch9wavefront6targetE1EEEvT1_, .Lfunc_end5908-_ZN7rocprim17ROCPRIM_400000_NS6detail17trampoline_kernelINS0_14default_configENS1_20scan_config_selectorIsEEZZNS1_9scan_implILNS1_25lookback_scan_determinismE0ELb0ELb0ES3_N6thrust23THRUST_200600_302600_NS6detail15normal_iteratorINS9_10device_ptrIsEEEENS9_16discard_iteratorINS9_11use_defaultEEEsNS9_4plusIvEEsEEDaPvRmT3_T4_T5_mT6_P12ihipStream_tbENKUlT_T0_E_clISt17integral_constantIbLb1EESW_IbLb0EEEEDaSS_ST_EUlSS_E_NS1_11comp_targetILNS1_3genE4ELNS1_11target_archE910ELNS1_3gpuE8ELNS1_3repE0EEENS1_30default_config_static_selectorELNS0_4arch9wavefront6targetE1EEEvT1_
                                        ; -- End function
	.section	.AMDGPU.csdata,"",@progbits
; Kernel info:
; codeLenInByte = 6652
; NumSgprs: 30
; NumVgprs: 43
; NumAgprs: 0
; TotalNumVgprs: 43
; ScratchSize: 0
; MemoryBound: 0
; FloatMode: 240
; IeeeMode: 1
; LDSByteSize: 3072 bytes/workgroup (compile time only)
; SGPRBlocks: 3
; VGPRBlocks: 5
; NumSGPRsForWavesPerEU: 30
; NumVGPRsForWavesPerEU: 43
; AccumOffset: 44
; Occupancy: 6
; WaveLimiterHint : 1
; COMPUTE_PGM_RSRC2:SCRATCH_EN: 0
; COMPUTE_PGM_RSRC2:USER_SGPR: 6
; COMPUTE_PGM_RSRC2:TRAP_HANDLER: 0
; COMPUTE_PGM_RSRC2:TGID_X_EN: 1
; COMPUTE_PGM_RSRC2:TGID_Y_EN: 0
; COMPUTE_PGM_RSRC2:TGID_Z_EN: 0
; COMPUTE_PGM_RSRC2:TIDIG_COMP_CNT: 0
; COMPUTE_PGM_RSRC3_GFX90A:ACCUM_OFFSET: 10
; COMPUTE_PGM_RSRC3_GFX90A:TG_SPLIT: 0
	.section	.text._ZN7rocprim17ROCPRIM_400000_NS6detail17trampoline_kernelINS0_14default_configENS1_20scan_config_selectorIsEEZZNS1_9scan_implILNS1_25lookback_scan_determinismE0ELb0ELb0ES3_N6thrust23THRUST_200600_302600_NS6detail15normal_iteratorINS9_10device_ptrIsEEEENS9_16discard_iteratorINS9_11use_defaultEEEsNS9_4plusIvEEsEEDaPvRmT3_T4_T5_mT6_P12ihipStream_tbENKUlT_T0_E_clISt17integral_constantIbLb1EESW_IbLb0EEEEDaSS_ST_EUlSS_E_NS1_11comp_targetILNS1_3genE3ELNS1_11target_archE908ELNS1_3gpuE7ELNS1_3repE0EEENS1_30default_config_static_selectorELNS0_4arch9wavefront6targetE1EEEvT1_,"axG",@progbits,_ZN7rocprim17ROCPRIM_400000_NS6detail17trampoline_kernelINS0_14default_configENS1_20scan_config_selectorIsEEZZNS1_9scan_implILNS1_25lookback_scan_determinismE0ELb0ELb0ES3_N6thrust23THRUST_200600_302600_NS6detail15normal_iteratorINS9_10device_ptrIsEEEENS9_16discard_iteratorINS9_11use_defaultEEEsNS9_4plusIvEEsEEDaPvRmT3_T4_T5_mT6_P12ihipStream_tbENKUlT_T0_E_clISt17integral_constantIbLb1EESW_IbLb0EEEEDaSS_ST_EUlSS_E_NS1_11comp_targetILNS1_3genE3ELNS1_11target_archE908ELNS1_3gpuE7ELNS1_3repE0EEENS1_30default_config_static_selectorELNS0_4arch9wavefront6targetE1EEEvT1_,comdat
	.protected	_ZN7rocprim17ROCPRIM_400000_NS6detail17trampoline_kernelINS0_14default_configENS1_20scan_config_selectorIsEEZZNS1_9scan_implILNS1_25lookback_scan_determinismE0ELb0ELb0ES3_N6thrust23THRUST_200600_302600_NS6detail15normal_iteratorINS9_10device_ptrIsEEEENS9_16discard_iteratorINS9_11use_defaultEEEsNS9_4plusIvEEsEEDaPvRmT3_T4_T5_mT6_P12ihipStream_tbENKUlT_T0_E_clISt17integral_constantIbLb1EESW_IbLb0EEEEDaSS_ST_EUlSS_E_NS1_11comp_targetILNS1_3genE3ELNS1_11target_archE908ELNS1_3gpuE7ELNS1_3repE0EEENS1_30default_config_static_selectorELNS0_4arch9wavefront6targetE1EEEvT1_ ; -- Begin function _ZN7rocprim17ROCPRIM_400000_NS6detail17trampoline_kernelINS0_14default_configENS1_20scan_config_selectorIsEEZZNS1_9scan_implILNS1_25lookback_scan_determinismE0ELb0ELb0ES3_N6thrust23THRUST_200600_302600_NS6detail15normal_iteratorINS9_10device_ptrIsEEEENS9_16discard_iteratorINS9_11use_defaultEEEsNS9_4plusIvEEsEEDaPvRmT3_T4_T5_mT6_P12ihipStream_tbENKUlT_T0_E_clISt17integral_constantIbLb1EESW_IbLb0EEEEDaSS_ST_EUlSS_E_NS1_11comp_targetILNS1_3genE3ELNS1_11target_archE908ELNS1_3gpuE7ELNS1_3repE0EEENS1_30default_config_static_selectorELNS0_4arch9wavefront6targetE1EEEvT1_
	.globl	_ZN7rocprim17ROCPRIM_400000_NS6detail17trampoline_kernelINS0_14default_configENS1_20scan_config_selectorIsEEZZNS1_9scan_implILNS1_25lookback_scan_determinismE0ELb0ELb0ES3_N6thrust23THRUST_200600_302600_NS6detail15normal_iteratorINS9_10device_ptrIsEEEENS9_16discard_iteratorINS9_11use_defaultEEEsNS9_4plusIvEEsEEDaPvRmT3_T4_T5_mT6_P12ihipStream_tbENKUlT_T0_E_clISt17integral_constantIbLb1EESW_IbLb0EEEEDaSS_ST_EUlSS_E_NS1_11comp_targetILNS1_3genE3ELNS1_11target_archE908ELNS1_3gpuE7ELNS1_3repE0EEENS1_30default_config_static_selectorELNS0_4arch9wavefront6targetE1EEEvT1_
	.p2align	8
	.type	_ZN7rocprim17ROCPRIM_400000_NS6detail17trampoline_kernelINS0_14default_configENS1_20scan_config_selectorIsEEZZNS1_9scan_implILNS1_25lookback_scan_determinismE0ELb0ELb0ES3_N6thrust23THRUST_200600_302600_NS6detail15normal_iteratorINS9_10device_ptrIsEEEENS9_16discard_iteratorINS9_11use_defaultEEEsNS9_4plusIvEEsEEDaPvRmT3_T4_T5_mT6_P12ihipStream_tbENKUlT_T0_E_clISt17integral_constantIbLb1EESW_IbLb0EEEEDaSS_ST_EUlSS_E_NS1_11comp_targetILNS1_3genE3ELNS1_11target_archE908ELNS1_3gpuE7ELNS1_3repE0EEENS1_30default_config_static_selectorELNS0_4arch9wavefront6targetE1EEEvT1_,@function
_ZN7rocprim17ROCPRIM_400000_NS6detail17trampoline_kernelINS0_14default_configENS1_20scan_config_selectorIsEEZZNS1_9scan_implILNS1_25lookback_scan_determinismE0ELb0ELb0ES3_N6thrust23THRUST_200600_302600_NS6detail15normal_iteratorINS9_10device_ptrIsEEEENS9_16discard_iteratorINS9_11use_defaultEEEsNS9_4plusIvEEsEEDaPvRmT3_T4_T5_mT6_P12ihipStream_tbENKUlT_T0_E_clISt17integral_constantIbLb1EESW_IbLb0EEEEDaSS_ST_EUlSS_E_NS1_11comp_targetILNS1_3genE3ELNS1_11target_archE908ELNS1_3gpuE7ELNS1_3repE0EEENS1_30default_config_static_selectorELNS0_4arch9wavefront6targetE1EEEvT1_: ; @_ZN7rocprim17ROCPRIM_400000_NS6detail17trampoline_kernelINS0_14default_configENS1_20scan_config_selectorIsEEZZNS1_9scan_implILNS1_25lookback_scan_determinismE0ELb0ELb0ES3_N6thrust23THRUST_200600_302600_NS6detail15normal_iteratorINS9_10device_ptrIsEEEENS9_16discard_iteratorINS9_11use_defaultEEEsNS9_4plusIvEEsEEDaPvRmT3_T4_T5_mT6_P12ihipStream_tbENKUlT_T0_E_clISt17integral_constantIbLb1EESW_IbLb0EEEEDaSS_ST_EUlSS_E_NS1_11comp_targetILNS1_3genE3ELNS1_11target_archE908ELNS1_3gpuE7ELNS1_3repE0EEENS1_30default_config_static_selectorELNS0_4arch9wavefront6targetE1EEEvT1_
; %bb.0:
	.section	.rodata,"a",@progbits
	.p2align	6, 0x0
	.amdhsa_kernel _ZN7rocprim17ROCPRIM_400000_NS6detail17trampoline_kernelINS0_14default_configENS1_20scan_config_selectorIsEEZZNS1_9scan_implILNS1_25lookback_scan_determinismE0ELb0ELb0ES3_N6thrust23THRUST_200600_302600_NS6detail15normal_iteratorINS9_10device_ptrIsEEEENS9_16discard_iteratorINS9_11use_defaultEEEsNS9_4plusIvEEsEEDaPvRmT3_T4_T5_mT6_P12ihipStream_tbENKUlT_T0_E_clISt17integral_constantIbLb1EESW_IbLb0EEEEDaSS_ST_EUlSS_E_NS1_11comp_targetILNS1_3genE3ELNS1_11target_archE908ELNS1_3gpuE7ELNS1_3repE0EEENS1_30default_config_static_selectorELNS0_4arch9wavefront6targetE1EEEvT1_
		.amdhsa_group_segment_fixed_size 0
		.amdhsa_private_segment_fixed_size 0
		.amdhsa_kernarg_size 104
		.amdhsa_user_sgpr_count 6
		.amdhsa_user_sgpr_private_segment_buffer 1
		.amdhsa_user_sgpr_dispatch_ptr 0
		.amdhsa_user_sgpr_queue_ptr 0
		.amdhsa_user_sgpr_kernarg_segment_ptr 1
		.amdhsa_user_sgpr_dispatch_id 0
		.amdhsa_user_sgpr_flat_scratch_init 0
		.amdhsa_user_sgpr_kernarg_preload_length 0
		.amdhsa_user_sgpr_kernarg_preload_offset 0
		.amdhsa_user_sgpr_private_segment_size 0
		.amdhsa_uses_dynamic_stack 0
		.amdhsa_system_sgpr_private_segment_wavefront_offset 0
		.amdhsa_system_sgpr_workgroup_id_x 1
		.amdhsa_system_sgpr_workgroup_id_y 0
		.amdhsa_system_sgpr_workgroup_id_z 0
		.amdhsa_system_sgpr_workgroup_info 0
		.amdhsa_system_vgpr_workitem_id 0
		.amdhsa_next_free_vgpr 1
		.amdhsa_next_free_sgpr 0
		.amdhsa_accum_offset 4
		.amdhsa_reserve_vcc 0
		.amdhsa_reserve_flat_scratch 0
		.amdhsa_float_round_mode_32 0
		.amdhsa_float_round_mode_16_64 0
		.amdhsa_float_denorm_mode_32 3
		.amdhsa_float_denorm_mode_16_64 3
		.amdhsa_dx10_clamp 1
		.amdhsa_ieee_mode 1
		.amdhsa_fp16_overflow 0
		.amdhsa_tg_split 0
		.amdhsa_exception_fp_ieee_invalid_op 0
		.amdhsa_exception_fp_denorm_src 0
		.amdhsa_exception_fp_ieee_div_zero 0
		.amdhsa_exception_fp_ieee_overflow 0
		.amdhsa_exception_fp_ieee_underflow 0
		.amdhsa_exception_fp_ieee_inexact 0
		.amdhsa_exception_int_div_zero 0
	.end_amdhsa_kernel
	.section	.text._ZN7rocprim17ROCPRIM_400000_NS6detail17trampoline_kernelINS0_14default_configENS1_20scan_config_selectorIsEEZZNS1_9scan_implILNS1_25lookback_scan_determinismE0ELb0ELb0ES3_N6thrust23THRUST_200600_302600_NS6detail15normal_iteratorINS9_10device_ptrIsEEEENS9_16discard_iteratorINS9_11use_defaultEEEsNS9_4plusIvEEsEEDaPvRmT3_T4_T5_mT6_P12ihipStream_tbENKUlT_T0_E_clISt17integral_constantIbLb1EESW_IbLb0EEEEDaSS_ST_EUlSS_E_NS1_11comp_targetILNS1_3genE3ELNS1_11target_archE908ELNS1_3gpuE7ELNS1_3repE0EEENS1_30default_config_static_selectorELNS0_4arch9wavefront6targetE1EEEvT1_,"axG",@progbits,_ZN7rocprim17ROCPRIM_400000_NS6detail17trampoline_kernelINS0_14default_configENS1_20scan_config_selectorIsEEZZNS1_9scan_implILNS1_25lookback_scan_determinismE0ELb0ELb0ES3_N6thrust23THRUST_200600_302600_NS6detail15normal_iteratorINS9_10device_ptrIsEEEENS9_16discard_iteratorINS9_11use_defaultEEEsNS9_4plusIvEEsEEDaPvRmT3_T4_T5_mT6_P12ihipStream_tbENKUlT_T0_E_clISt17integral_constantIbLb1EESW_IbLb0EEEEDaSS_ST_EUlSS_E_NS1_11comp_targetILNS1_3genE3ELNS1_11target_archE908ELNS1_3gpuE7ELNS1_3repE0EEENS1_30default_config_static_selectorELNS0_4arch9wavefront6targetE1EEEvT1_,comdat
.Lfunc_end5909:
	.size	_ZN7rocprim17ROCPRIM_400000_NS6detail17trampoline_kernelINS0_14default_configENS1_20scan_config_selectorIsEEZZNS1_9scan_implILNS1_25lookback_scan_determinismE0ELb0ELb0ES3_N6thrust23THRUST_200600_302600_NS6detail15normal_iteratorINS9_10device_ptrIsEEEENS9_16discard_iteratorINS9_11use_defaultEEEsNS9_4plusIvEEsEEDaPvRmT3_T4_T5_mT6_P12ihipStream_tbENKUlT_T0_E_clISt17integral_constantIbLb1EESW_IbLb0EEEEDaSS_ST_EUlSS_E_NS1_11comp_targetILNS1_3genE3ELNS1_11target_archE908ELNS1_3gpuE7ELNS1_3repE0EEENS1_30default_config_static_selectorELNS0_4arch9wavefront6targetE1EEEvT1_, .Lfunc_end5909-_ZN7rocprim17ROCPRIM_400000_NS6detail17trampoline_kernelINS0_14default_configENS1_20scan_config_selectorIsEEZZNS1_9scan_implILNS1_25lookback_scan_determinismE0ELb0ELb0ES3_N6thrust23THRUST_200600_302600_NS6detail15normal_iteratorINS9_10device_ptrIsEEEENS9_16discard_iteratorINS9_11use_defaultEEEsNS9_4plusIvEEsEEDaPvRmT3_T4_T5_mT6_P12ihipStream_tbENKUlT_T0_E_clISt17integral_constantIbLb1EESW_IbLb0EEEEDaSS_ST_EUlSS_E_NS1_11comp_targetILNS1_3genE3ELNS1_11target_archE908ELNS1_3gpuE7ELNS1_3repE0EEENS1_30default_config_static_selectorELNS0_4arch9wavefront6targetE1EEEvT1_
                                        ; -- End function
	.section	.AMDGPU.csdata,"",@progbits
; Kernel info:
; codeLenInByte = 0
; NumSgprs: 4
; NumVgprs: 0
; NumAgprs: 0
; TotalNumVgprs: 0
; ScratchSize: 0
; MemoryBound: 0
; FloatMode: 240
; IeeeMode: 1
; LDSByteSize: 0 bytes/workgroup (compile time only)
; SGPRBlocks: 0
; VGPRBlocks: 0
; NumSGPRsForWavesPerEU: 4
; NumVGPRsForWavesPerEU: 1
; AccumOffset: 4
; Occupancy: 8
; WaveLimiterHint : 0
; COMPUTE_PGM_RSRC2:SCRATCH_EN: 0
; COMPUTE_PGM_RSRC2:USER_SGPR: 6
; COMPUTE_PGM_RSRC2:TRAP_HANDLER: 0
; COMPUTE_PGM_RSRC2:TGID_X_EN: 1
; COMPUTE_PGM_RSRC2:TGID_Y_EN: 0
; COMPUTE_PGM_RSRC2:TGID_Z_EN: 0
; COMPUTE_PGM_RSRC2:TIDIG_COMP_CNT: 0
; COMPUTE_PGM_RSRC3_GFX90A:ACCUM_OFFSET: 0
; COMPUTE_PGM_RSRC3_GFX90A:TG_SPLIT: 0
	.section	.text._ZN7rocprim17ROCPRIM_400000_NS6detail17trampoline_kernelINS0_14default_configENS1_20scan_config_selectorIsEEZZNS1_9scan_implILNS1_25lookback_scan_determinismE0ELb0ELb0ES3_N6thrust23THRUST_200600_302600_NS6detail15normal_iteratorINS9_10device_ptrIsEEEENS9_16discard_iteratorINS9_11use_defaultEEEsNS9_4plusIvEEsEEDaPvRmT3_T4_T5_mT6_P12ihipStream_tbENKUlT_T0_E_clISt17integral_constantIbLb1EESW_IbLb0EEEEDaSS_ST_EUlSS_E_NS1_11comp_targetILNS1_3genE2ELNS1_11target_archE906ELNS1_3gpuE6ELNS1_3repE0EEENS1_30default_config_static_selectorELNS0_4arch9wavefront6targetE1EEEvT1_,"axG",@progbits,_ZN7rocprim17ROCPRIM_400000_NS6detail17trampoline_kernelINS0_14default_configENS1_20scan_config_selectorIsEEZZNS1_9scan_implILNS1_25lookback_scan_determinismE0ELb0ELb0ES3_N6thrust23THRUST_200600_302600_NS6detail15normal_iteratorINS9_10device_ptrIsEEEENS9_16discard_iteratorINS9_11use_defaultEEEsNS9_4plusIvEEsEEDaPvRmT3_T4_T5_mT6_P12ihipStream_tbENKUlT_T0_E_clISt17integral_constantIbLb1EESW_IbLb0EEEEDaSS_ST_EUlSS_E_NS1_11comp_targetILNS1_3genE2ELNS1_11target_archE906ELNS1_3gpuE6ELNS1_3repE0EEENS1_30default_config_static_selectorELNS0_4arch9wavefront6targetE1EEEvT1_,comdat
	.protected	_ZN7rocprim17ROCPRIM_400000_NS6detail17trampoline_kernelINS0_14default_configENS1_20scan_config_selectorIsEEZZNS1_9scan_implILNS1_25lookback_scan_determinismE0ELb0ELb0ES3_N6thrust23THRUST_200600_302600_NS6detail15normal_iteratorINS9_10device_ptrIsEEEENS9_16discard_iteratorINS9_11use_defaultEEEsNS9_4plusIvEEsEEDaPvRmT3_T4_T5_mT6_P12ihipStream_tbENKUlT_T0_E_clISt17integral_constantIbLb1EESW_IbLb0EEEEDaSS_ST_EUlSS_E_NS1_11comp_targetILNS1_3genE2ELNS1_11target_archE906ELNS1_3gpuE6ELNS1_3repE0EEENS1_30default_config_static_selectorELNS0_4arch9wavefront6targetE1EEEvT1_ ; -- Begin function _ZN7rocprim17ROCPRIM_400000_NS6detail17trampoline_kernelINS0_14default_configENS1_20scan_config_selectorIsEEZZNS1_9scan_implILNS1_25lookback_scan_determinismE0ELb0ELb0ES3_N6thrust23THRUST_200600_302600_NS6detail15normal_iteratorINS9_10device_ptrIsEEEENS9_16discard_iteratorINS9_11use_defaultEEEsNS9_4plusIvEEsEEDaPvRmT3_T4_T5_mT6_P12ihipStream_tbENKUlT_T0_E_clISt17integral_constantIbLb1EESW_IbLb0EEEEDaSS_ST_EUlSS_E_NS1_11comp_targetILNS1_3genE2ELNS1_11target_archE906ELNS1_3gpuE6ELNS1_3repE0EEENS1_30default_config_static_selectorELNS0_4arch9wavefront6targetE1EEEvT1_
	.globl	_ZN7rocprim17ROCPRIM_400000_NS6detail17trampoline_kernelINS0_14default_configENS1_20scan_config_selectorIsEEZZNS1_9scan_implILNS1_25lookback_scan_determinismE0ELb0ELb0ES3_N6thrust23THRUST_200600_302600_NS6detail15normal_iteratorINS9_10device_ptrIsEEEENS9_16discard_iteratorINS9_11use_defaultEEEsNS9_4plusIvEEsEEDaPvRmT3_T4_T5_mT6_P12ihipStream_tbENKUlT_T0_E_clISt17integral_constantIbLb1EESW_IbLb0EEEEDaSS_ST_EUlSS_E_NS1_11comp_targetILNS1_3genE2ELNS1_11target_archE906ELNS1_3gpuE6ELNS1_3repE0EEENS1_30default_config_static_selectorELNS0_4arch9wavefront6targetE1EEEvT1_
	.p2align	8
	.type	_ZN7rocprim17ROCPRIM_400000_NS6detail17trampoline_kernelINS0_14default_configENS1_20scan_config_selectorIsEEZZNS1_9scan_implILNS1_25lookback_scan_determinismE0ELb0ELb0ES3_N6thrust23THRUST_200600_302600_NS6detail15normal_iteratorINS9_10device_ptrIsEEEENS9_16discard_iteratorINS9_11use_defaultEEEsNS9_4plusIvEEsEEDaPvRmT3_T4_T5_mT6_P12ihipStream_tbENKUlT_T0_E_clISt17integral_constantIbLb1EESW_IbLb0EEEEDaSS_ST_EUlSS_E_NS1_11comp_targetILNS1_3genE2ELNS1_11target_archE906ELNS1_3gpuE6ELNS1_3repE0EEENS1_30default_config_static_selectorELNS0_4arch9wavefront6targetE1EEEvT1_,@function
_ZN7rocprim17ROCPRIM_400000_NS6detail17trampoline_kernelINS0_14default_configENS1_20scan_config_selectorIsEEZZNS1_9scan_implILNS1_25lookback_scan_determinismE0ELb0ELb0ES3_N6thrust23THRUST_200600_302600_NS6detail15normal_iteratorINS9_10device_ptrIsEEEENS9_16discard_iteratorINS9_11use_defaultEEEsNS9_4plusIvEEsEEDaPvRmT3_T4_T5_mT6_P12ihipStream_tbENKUlT_T0_E_clISt17integral_constantIbLb1EESW_IbLb0EEEEDaSS_ST_EUlSS_E_NS1_11comp_targetILNS1_3genE2ELNS1_11target_archE906ELNS1_3gpuE6ELNS1_3repE0EEENS1_30default_config_static_selectorELNS0_4arch9wavefront6targetE1EEEvT1_: ; @_ZN7rocprim17ROCPRIM_400000_NS6detail17trampoline_kernelINS0_14default_configENS1_20scan_config_selectorIsEEZZNS1_9scan_implILNS1_25lookback_scan_determinismE0ELb0ELb0ES3_N6thrust23THRUST_200600_302600_NS6detail15normal_iteratorINS9_10device_ptrIsEEEENS9_16discard_iteratorINS9_11use_defaultEEEsNS9_4plusIvEEsEEDaPvRmT3_T4_T5_mT6_P12ihipStream_tbENKUlT_T0_E_clISt17integral_constantIbLb1EESW_IbLb0EEEEDaSS_ST_EUlSS_E_NS1_11comp_targetILNS1_3genE2ELNS1_11target_archE906ELNS1_3gpuE6ELNS1_3repE0EEENS1_30default_config_static_selectorELNS0_4arch9wavefront6targetE1EEEvT1_
; %bb.0:
	.section	.rodata,"a",@progbits
	.p2align	6, 0x0
	.amdhsa_kernel _ZN7rocprim17ROCPRIM_400000_NS6detail17trampoline_kernelINS0_14default_configENS1_20scan_config_selectorIsEEZZNS1_9scan_implILNS1_25lookback_scan_determinismE0ELb0ELb0ES3_N6thrust23THRUST_200600_302600_NS6detail15normal_iteratorINS9_10device_ptrIsEEEENS9_16discard_iteratorINS9_11use_defaultEEEsNS9_4plusIvEEsEEDaPvRmT3_T4_T5_mT6_P12ihipStream_tbENKUlT_T0_E_clISt17integral_constantIbLb1EESW_IbLb0EEEEDaSS_ST_EUlSS_E_NS1_11comp_targetILNS1_3genE2ELNS1_11target_archE906ELNS1_3gpuE6ELNS1_3repE0EEENS1_30default_config_static_selectorELNS0_4arch9wavefront6targetE1EEEvT1_
		.amdhsa_group_segment_fixed_size 0
		.amdhsa_private_segment_fixed_size 0
		.amdhsa_kernarg_size 104
		.amdhsa_user_sgpr_count 6
		.amdhsa_user_sgpr_private_segment_buffer 1
		.amdhsa_user_sgpr_dispatch_ptr 0
		.amdhsa_user_sgpr_queue_ptr 0
		.amdhsa_user_sgpr_kernarg_segment_ptr 1
		.amdhsa_user_sgpr_dispatch_id 0
		.amdhsa_user_sgpr_flat_scratch_init 0
		.amdhsa_user_sgpr_kernarg_preload_length 0
		.amdhsa_user_sgpr_kernarg_preload_offset 0
		.amdhsa_user_sgpr_private_segment_size 0
		.amdhsa_uses_dynamic_stack 0
		.amdhsa_system_sgpr_private_segment_wavefront_offset 0
		.amdhsa_system_sgpr_workgroup_id_x 1
		.amdhsa_system_sgpr_workgroup_id_y 0
		.amdhsa_system_sgpr_workgroup_id_z 0
		.amdhsa_system_sgpr_workgroup_info 0
		.amdhsa_system_vgpr_workitem_id 0
		.amdhsa_next_free_vgpr 1
		.amdhsa_next_free_sgpr 0
		.amdhsa_accum_offset 4
		.amdhsa_reserve_vcc 0
		.amdhsa_reserve_flat_scratch 0
		.amdhsa_float_round_mode_32 0
		.amdhsa_float_round_mode_16_64 0
		.amdhsa_float_denorm_mode_32 3
		.amdhsa_float_denorm_mode_16_64 3
		.amdhsa_dx10_clamp 1
		.amdhsa_ieee_mode 1
		.amdhsa_fp16_overflow 0
		.amdhsa_tg_split 0
		.amdhsa_exception_fp_ieee_invalid_op 0
		.amdhsa_exception_fp_denorm_src 0
		.amdhsa_exception_fp_ieee_div_zero 0
		.amdhsa_exception_fp_ieee_overflow 0
		.amdhsa_exception_fp_ieee_underflow 0
		.amdhsa_exception_fp_ieee_inexact 0
		.amdhsa_exception_int_div_zero 0
	.end_amdhsa_kernel
	.section	.text._ZN7rocprim17ROCPRIM_400000_NS6detail17trampoline_kernelINS0_14default_configENS1_20scan_config_selectorIsEEZZNS1_9scan_implILNS1_25lookback_scan_determinismE0ELb0ELb0ES3_N6thrust23THRUST_200600_302600_NS6detail15normal_iteratorINS9_10device_ptrIsEEEENS9_16discard_iteratorINS9_11use_defaultEEEsNS9_4plusIvEEsEEDaPvRmT3_T4_T5_mT6_P12ihipStream_tbENKUlT_T0_E_clISt17integral_constantIbLb1EESW_IbLb0EEEEDaSS_ST_EUlSS_E_NS1_11comp_targetILNS1_3genE2ELNS1_11target_archE906ELNS1_3gpuE6ELNS1_3repE0EEENS1_30default_config_static_selectorELNS0_4arch9wavefront6targetE1EEEvT1_,"axG",@progbits,_ZN7rocprim17ROCPRIM_400000_NS6detail17trampoline_kernelINS0_14default_configENS1_20scan_config_selectorIsEEZZNS1_9scan_implILNS1_25lookback_scan_determinismE0ELb0ELb0ES3_N6thrust23THRUST_200600_302600_NS6detail15normal_iteratorINS9_10device_ptrIsEEEENS9_16discard_iteratorINS9_11use_defaultEEEsNS9_4plusIvEEsEEDaPvRmT3_T4_T5_mT6_P12ihipStream_tbENKUlT_T0_E_clISt17integral_constantIbLb1EESW_IbLb0EEEEDaSS_ST_EUlSS_E_NS1_11comp_targetILNS1_3genE2ELNS1_11target_archE906ELNS1_3gpuE6ELNS1_3repE0EEENS1_30default_config_static_selectorELNS0_4arch9wavefront6targetE1EEEvT1_,comdat
.Lfunc_end5910:
	.size	_ZN7rocprim17ROCPRIM_400000_NS6detail17trampoline_kernelINS0_14default_configENS1_20scan_config_selectorIsEEZZNS1_9scan_implILNS1_25lookback_scan_determinismE0ELb0ELb0ES3_N6thrust23THRUST_200600_302600_NS6detail15normal_iteratorINS9_10device_ptrIsEEEENS9_16discard_iteratorINS9_11use_defaultEEEsNS9_4plusIvEEsEEDaPvRmT3_T4_T5_mT6_P12ihipStream_tbENKUlT_T0_E_clISt17integral_constantIbLb1EESW_IbLb0EEEEDaSS_ST_EUlSS_E_NS1_11comp_targetILNS1_3genE2ELNS1_11target_archE906ELNS1_3gpuE6ELNS1_3repE0EEENS1_30default_config_static_selectorELNS0_4arch9wavefront6targetE1EEEvT1_, .Lfunc_end5910-_ZN7rocprim17ROCPRIM_400000_NS6detail17trampoline_kernelINS0_14default_configENS1_20scan_config_selectorIsEEZZNS1_9scan_implILNS1_25lookback_scan_determinismE0ELb0ELb0ES3_N6thrust23THRUST_200600_302600_NS6detail15normal_iteratorINS9_10device_ptrIsEEEENS9_16discard_iteratorINS9_11use_defaultEEEsNS9_4plusIvEEsEEDaPvRmT3_T4_T5_mT6_P12ihipStream_tbENKUlT_T0_E_clISt17integral_constantIbLb1EESW_IbLb0EEEEDaSS_ST_EUlSS_E_NS1_11comp_targetILNS1_3genE2ELNS1_11target_archE906ELNS1_3gpuE6ELNS1_3repE0EEENS1_30default_config_static_selectorELNS0_4arch9wavefront6targetE1EEEvT1_
                                        ; -- End function
	.section	.AMDGPU.csdata,"",@progbits
; Kernel info:
; codeLenInByte = 0
; NumSgprs: 4
; NumVgprs: 0
; NumAgprs: 0
; TotalNumVgprs: 0
; ScratchSize: 0
; MemoryBound: 0
; FloatMode: 240
; IeeeMode: 1
; LDSByteSize: 0 bytes/workgroup (compile time only)
; SGPRBlocks: 0
; VGPRBlocks: 0
; NumSGPRsForWavesPerEU: 4
; NumVGPRsForWavesPerEU: 1
; AccumOffset: 4
; Occupancy: 8
; WaveLimiterHint : 0
; COMPUTE_PGM_RSRC2:SCRATCH_EN: 0
; COMPUTE_PGM_RSRC2:USER_SGPR: 6
; COMPUTE_PGM_RSRC2:TRAP_HANDLER: 0
; COMPUTE_PGM_RSRC2:TGID_X_EN: 1
; COMPUTE_PGM_RSRC2:TGID_Y_EN: 0
; COMPUTE_PGM_RSRC2:TGID_Z_EN: 0
; COMPUTE_PGM_RSRC2:TIDIG_COMP_CNT: 0
; COMPUTE_PGM_RSRC3_GFX90A:ACCUM_OFFSET: 0
; COMPUTE_PGM_RSRC3_GFX90A:TG_SPLIT: 0
	.section	.text._ZN7rocprim17ROCPRIM_400000_NS6detail17trampoline_kernelINS0_14default_configENS1_20scan_config_selectorIsEEZZNS1_9scan_implILNS1_25lookback_scan_determinismE0ELb0ELb0ES3_N6thrust23THRUST_200600_302600_NS6detail15normal_iteratorINS9_10device_ptrIsEEEENS9_16discard_iteratorINS9_11use_defaultEEEsNS9_4plusIvEEsEEDaPvRmT3_T4_T5_mT6_P12ihipStream_tbENKUlT_T0_E_clISt17integral_constantIbLb1EESW_IbLb0EEEEDaSS_ST_EUlSS_E_NS1_11comp_targetILNS1_3genE10ELNS1_11target_archE1201ELNS1_3gpuE5ELNS1_3repE0EEENS1_30default_config_static_selectorELNS0_4arch9wavefront6targetE1EEEvT1_,"axG",@progbits,_ZN7rocprim17ROCPRIM_400000_NS6detail17trampoline_kernelINS0_14default_configENS1_20scan_config_selectorIsEEZZNS1_9scan_implILNS1_25lookback_scan_determinismE0ELb0ELb0ES3_N6thrust23THRUST_200600_302600_NS6detail15normal_iteratorINS9_10device_ptrIsEEEENS9_16discard_iteratorINS9_11use_defaultEEEsNS9_4plusIvEEsEEDaPvRmT3_T4_T5_mT6_P12ihipStream_tbENKUlT_T0_E_clISt17integral_constantIbLb1EESW_IbLb0EEEEDaSS_ST_EUlSS_E_NS1_11comp_targetILNS1_3genE10ELNS1_11target_archE1201ELNS1_3gpuE5ELNS1_3repE0EEENS1_30default_config_static_selectorELNS0_4arch9wavefront6targetE1EEEvT1_,comdat
	.protected	_ZN7rocprim17ROCPRIM_400000_NS6detail17trampoline_kernelINS0_14default_configENS1_20scan_config_selectorIsEEZZNS1_9scan_implILNS1_25lookback_scan_determinismE0ELb0ELb0ES3_N6thrust23THRUST_200600_302600_NS6detail15normal_iteratorINS9_10device_ptrIsEEEENS9_16discard_iteratorINS9_11use_defaultEEEsNS9_4plusIvEEsEEDaPvRmT3_T4_T5_mT6_P12ihipStream_tbENKUlT_T0_E_clISt17integral_constantIbLb1EESW_IbLb0EEEEDaSS_ST_EUlSS_E_NS1_11comp_targetILNS1_3genE10ELNS1_11target_archE1201ELNS1_3gpuE5ELNS1_3repE0EEENS1_30default_config_static_selectorELNS0_4arch9wavefront6targetE1EEEvT1_ ; -- Begin function _ZN7rocprim17ROCPRIM_400000_NS6detail17trampoline_kernelINS0_14default_configENS1_20scan_config_selectorIsEEZZNS1_9scan_implILNS1_25lookback_scan_determinismE0ELb0ELb0ES3_N6thrust23THRUST_200600_302600_NS6detail15normal_iteratorINS9_10device_ptrIsEEEENS9_16discard_iteratorINS9_11use_defaultEEEsNS9_4plusIvEEsEEDaPvRmT3_T4_T5_mT6_P12ihipStream_tbENKUlT_T0_E_clISt17integral_constantIbLb1EESW_IbLb0EEEEDaSS_ST_EUlSS_E_NS1_11comp_targetILNS1_3genE10ELNS1_11target_archE1201ELNS1_3gpuE5ELNS1_3repE0EEENS1_30default_config_static_selectorELNS0_4arch9wavefront6targetE1EEEvT1_
	.globl	_ZN7rocprim17ROCPRIM_400000_NS6detail17trampoline_kernelINS0_14default_configENS1_20scan_config_selectorIsEEZZNS1_9scan_implILNS1_25lookback_scan_determinismE0ELb0ELb0ES3_N6thrust23THRUST_200600_302600_NS6detail15normal_iteratorINS9_10device_ptrIsEEEENS9_16discard_iteratorINS9_11use_defaultEEEsNS9_4plusIvEEsEEDaPvRmT3_T4_T5_mT6_P12ihipStream_tbENKUlT_T0_E_clISt17integral_constantIbLb1EESW_IbLb0EEEEDaSS_ST_EUlSS_E_NS1_11comp_targetILNS1_3genE10ELNS1_11target_archE1201ELNS1_3gpuE5ELNS1_3repE0EEENS1_30default_config_static_selectorELNS0_4arch9wavefront6targetE1EEEvT1_
	.p2align	8
	.type	_ZN7rocprim17ROCPRIM_400000_NS6detail17trampoline_kernelINS0_14default_configENS1_20scan_config_selectorIsEEZZNS1_9scan_implILNS1_25lookback_scan_determinismE0ELb0ELb0ES3_N6thrust23THRUST_200600_302600_NS6detail15normal_iteratorINS9_10device_ptrIsEEEENS9_16discard_iteratorINS9_11use_defaultEEEsNS9_4plusIvEEsEEDaPvRmT3_T4_T5_mT6_P12ihipStream_tbENKUlT_T0_E_clISt17integral_constantIbLb1EESW_IbLb0EEEEDaSS_ST_EUlSS_E_NS1_11comp_targetILNS1_3genE10ELNS1_11target_archE1201ELNS1_3gpuE5ELNS1_3repE0EEENS1_30default_config_static_selectorELNS0_4arch9wavefront6targetE1EEEvT1_,@function
_ZN7rocprim17ROCPRIM_400000_NS6detail17trampoline_kernelINS0_14default_configENS1_20scan_config_selectorIsEEZZNS1_9scan_implILNS1_25lookback_scan_determinismE0ELb0ELb0ES3_N6thrust23THRUST_200600_302600_NS6detail15normal_iteratorINS9_10device_ptrIsEEEENS9_16discard_iteratorINS9_11use_defaultEEEsNS9_4plusIvEEsEEDaPvRmT3_T4_T5_mT6_P12ihipStream_tbENKUlT_T0_E_clISt17integral_constantIbLb1EESW_IbLb0EEEEDaSS_ST_EUlSS_E_NS1_11comp_targetILNS1_3genE10ELNS1_11target_archE1201ELNS1_3gpuE5ELNS1_3repE0EEENS1_30default_config_static_selectorELNS0_4arch9wavefront6targetE1EEEvT1_: ; @_ZN7rocprim17ROCPRIM_400000_NS6detail17trampoline_kernelINS0_14default_configENS1_20scan_config_selectorIsEEZZNS1_9scan_implILNS1_25lookback_scan_determinismE0ELb0ELb0ES3_N6thrust23THRUST_200600_302600_NS6detail15normal_iteratorINS9_10device_ptrIsEEEENS9_16discard_iteratorINS9_11use_defaultEEEsNS9_4plusIvEEsEEDaPvRmT3_T4_T5_mT6_P12ihipStream_tbENKUlT_T0_E_clISt17integral_constantIbLb1EESW_IbLb0EEEEDaSS_ST_EUlSS_E_NS1_11comp_targetILNS1_3genE10ELNS1_11target_archE1201ELNS1_3gpuE5ELNS1_3repE0EEENS1_30default_config_static_selectorELNS0_4arch9wavefront6targetE1EEEvT1_
; %bb.0:
	.section	.rodata,"a",@progbits
	.p2align	6, 0x0
	.amdhsa_kernel _ZN7rocprim17ROCPRIM_400000_NS6detail17trampoline_kernelINS0_14default_configENS1_20scan_config_selectorIsEEZZNS1_9scan_implILNS1_25lookback_scan_determinismE0ELb0ELb0ES3_N6thrust23THRUST_200600_302600_NS6detail15normal_iteratorINS9_10device_ptrIsEEEENS9_16discard_iteratorINS9_11use_defaultEEEsNS9_4plusIvEEsEEDaPvRmT3_T4_T5_mT6_P12ihipStream_tbENKUlT_T0_E_clISt17integral_constantIbLb1EESW_IbLb0EEEEDaSS_ST_EUlSS_E_NS1_11comp_targetILNS1_3genE10ELNS1_11target_archE1201ELNS1_3gpuE5ELNS1_3repE0EEENS1_30default_config_static_selectorELNS0_4arch9wavefront6targetE1EEEvT1_
		.amdhsa_group_segment_fixed_size 0
		.amdhsa_private_segment_fixed_size 0
		.amdhsa_kernarg_size 104
		.amdhsa_user_sgpr_count 6
		.amdhsa_user_sgpr_private_segment_buffer 1
		.amdhsa_user_sgpr_dispatch_ptr 0
		.amdhsa_user_sgpr_queue_ptr 0
		.amdhsa_user_sgpr_kernarg_segment_ptr 1
		.amdhsa_user_sgpr_dispatch_id 0
		.amdhsa_user_sgpr_flat_scratch_init 0
		.amdhsa_user_sgpr_kernarg_preload_length 0
		.amdhsa_user_sgpr_kernarg_preload_offset 0
		.amdhsa_user_sgpr_private_segment_size 0
		.amdhsa_uses_dynamic_stack 0
		.amdhsa_system_sgpr_private_segment_wavefront_offset 0
		.amdhsa_system_sgpr_workgroup_id_x 1
		.amdhsa_system_sgpr_workgroup_id_y 0
		.amdhsa_system_sgpr_workgroup_id_z 0
		.amdhsa_system_sgpr_workgroup_info 0
		.amdhsa_system_vgpr_workitem_id 0
		.amdhsa_next_free_vgpr 1
		.amdhsa_next_free_sgpr 0
		.amdhsa_accum_offset 4
		.amdhsa_reserve_vcc 0
		.amdhsa_reserve_flat_scratch 0
		.amdhsa_float_round_mode_32 0
		.amdhsa_float_round_mode_16_64 0
		.amdhsa_float_denorm_mode_32 3
		.amdhsa_float_denorm_mode_16_64 3
		.amdhsa_dx10_clamp 1
		.amdhsa_ieee_mode 1
		.amdhsa_fp16_overflow 0
		.amdhsa_tg_split 0
		.amdhsa_exception_fp_ieee_invalid_op 0
		.amdhsa_exception_fp_denorm_src 0
		.amdhsa_exception_fp_ieee_div_zero 0
		.amdhsa_exception_fp_ieee_overflow 0
		.amdhsa_exception_fp_ieee_underflow 0
		.amdhsa_exception_fp_ieee_inexact 0
		.amdhsa_exception_int_div_zero 0
	.end_amdhsa_kernel
	.section	.text._ZN7rocprim17ROCPRIM_400000_NS6detail17trampoline_kernelINS0_14default_configENS1_20scan_config_selectorIsEEZZNS1_9scan_implILNS1_25lookback_scan_determinismE0ELb0ELb0ES3_N6thrust23THRUST_200600_302600_NS6detail15normal_iteratorINS9_10device_ptrIsEEEENS9_16discard_iteratorINS9_11use_defaultEEEsNS9_4plusIvEEsEEDaPvRmT3_T4_T5_mT6_P12ihipStream_tbENKUlT_T0_E_clISt17integral_constantIbLb1EESW_IbLb0EEEEDaSS_ST_EUlSS_E_NS1_11comp_targetILNS1_3genE10ELNS1_11target_archE1201ELNS1_3gpuE5ELNS1_3repE0EEENS1_30default_config_static_selectorELNS0_4arch9wavefront6targetE1EEEvT1_,"axG",@progbits,_ZN7rocprim17ROCPRIM_400000_NS6detail17trampoline_kernelINS0_14default_configENS1_20scan_config_selectorIsEEZZNS1_9scan_implILNS1_25lookback_scan_determinismE0ELb0ELb0ES3_N6thrust23THRUST_200600_302600_NS6detail15normal_iteratorINS9_10device_ptrIsEEEENS9_16discard_iteratorINS9_11use_defaultEEEsNS9_4plusIvEEsEEDaPvRmT3_T4_T5_mT6_P12ihipStream_tbENKUlT_T0_E_clISt17integral_constantIbLb1EESW_IbLb0EEEEDaSS_ST_EUlSS_E_NS1_11comp_targetILNS1_3genE10ELNS1_11target_archE1201ELNS1_3gpuE5ELNS1_3repE0EEENS1_30default_config_static_selectorELNS0_4arch9wavefront6targetE1EEEvT1_,comdat
.Lfunc_end5911:
	.size	_ZN7rocprim17ROCPRIM_400000_NS6detail17trampoline_kernelINS0_14default_configENS1_20scan_config_selectorIsEEZZNS1_9scan_implILNS1_25lookback_scan_determinismE0ELb0ELb0ES3_N6thrust23THRUST_200600_302600_NS6detail15normal_iteratorINS9_10device_ptrIsEEEENS9_16discard_iteratorINS9_11use_defaultEEEsNS9_4plusIvEEsEEDaPvRmT3_T4_T5_mT6_P12ihipStream_tbENKUlT_T0_E_clISt17integral_constantIbLb1EESW_IbLb0EEEEDaSS_ST_EUlSS_E_NS1_11comp_targetILNS1_3genE10ELNS1_11target_archE1201ELNS1_3gpuE5ELNS1_3repE0EEENS1_30default_config_static_selectorELNS0_4arch9wavefront6targetE1EEEvT1_, .Lfunc_end5911-_ZN7rocprim17ROCPRIM_400000_NS6detail17trampoline_kernelINS0_14default_configENS1_20scan_config_selectorIsEEZZNS1_9scan_implILNS1_25lookback_scan_determinismE0ELb0ELb0ES3_N6thrust23THRUST_200600_302600_NS6detail15normal_iteratorINS9_10device_ptrIsEEEENS9_16discard_iteratorINS9_11use_defaultEEEsNS9_4plusIvEEsEEDaPvRmT3_T4_T5_mT6_P12ihipStream_tbENKUlT_T0_E_clISt17integral_constantIbLb1EESW_IbLb0EEEEDaSS_ST_EUlSS_E_NS1_11comp_targetILNS1_3genE10ELNS1_11target_archE1201ELNS1_3gpuE5ELNS1_3repE0EEENS1_30default_config_static_selectorELNS0_4arch9wavefront6targetE1EEEvT1_
                                        ; -- End function
	.section	.AMDGPU.csdata,"",@progbits
; Kernel info:
; codeLenInByte = 0
; NumSgprs: 4
; NumVgprs: 0
; NumAgprs: 0
; TotalNumVgprs: 0
; ScratchSize: 0
; MemoryBound: 0
; FloatMode: 240
; IeeeMode: 1
; LDSByteSize: 0 bytes/workgroup (compile time only)
; SGPRBlocks: 0
; VGPRBlocks: 0
; NumSGPRsForWavesPerEU: 4
; NumVGPRsForWavesPerEU: 1
; AccumOffset: 4
; Occupancy: 8
; WaveLimiterHint : 0
; COMPUTE_PGM_RSRC2:SCRATCH_EN: 0
; COMPUTE_PGM_RSRC2:USER_SGPR: 6
; COMPUTE_PGM_RSRC2:TRAP_HANDLER: 0
; COMPUTE_PGM_RSRC2:TGID_X_EN: 1
; COMPUTE_PGM_RSRC2:TGID_Y_EN: 0
; COMPUTE_PGM_RSRC2:TGID_Z_EN: 0
; COMPUTE_PGM_RSRC2:TIDIG_COMP_CNT: 0
; COMPUTE_PGM_RSRC3_GFX90A:ACCUM_OFFSET: 0
; COMPUTE_PGM_RSRC3_GFX90A:TG_SPLIT: 0
	.section	.text._ZN7rocprim17ROCPRIM_400000_NS6detail17trampoline_kernelINS0_14default_configENS1_20scan_config_selectorIsEEZZNS1_9scan_implILNS1_25lookback_scan_determinismE0ELb0ELb0ES3_N6thrust23THRUST_200600_302600_NS6detail15normal_iteratorINS9_10device_ptrIsEEEENS9_16discard_iteratorINS9_11use_defaultEEEsNS9_4plusIvEEsEEDaPvRmT3_T4_T5_mT6_P12ihipStream_tbENKUlT_T0_E_clISt17integral_constantIbLb1EESW_IbLb0EEEEDaSS_ST_EUlSS_E_NS1_11comp_targetILNS1_3genE10ELNS1_11target_archE1200ELNS1_3gpuE4ELNS1_3repE0EEENS1_30default_config_static_selectorELNS0_4arch9wavefront6targetE1EEEvT1_,"axG",@progbits,_ZN7rocprim17ROCPRIM_400000_NS6detail17trampoline_kernelINS0_14default_configENS1_20scan_config_selectorIsEEZZNS1_9scan_implILNS1_25lookback_scan_determinismE0ELb0ELb0ES3_N6thrust23THRUST_200600_302600_NS6detail15normal_iteratorINS9_10device_ptrIsEEEENS9_16discard_iteratorINS9_11use_defaultEEEsNS9_4plusIvEEsEEDaPvRmT3_T4_T5_mT6_P12ihipStream_tbENKUlT_T0_E_clISt17integral_constantIbLb1EESW_IbLb0EEEEDaSS_ST_EUlSS_E_NS1_11comp_targetILNS1_3genE10ELNS1_11target_archE1200ELNS1_3gpuE4ELNS1_3repE0EEENS1_30default_config_static_selectorELNS0_4arch9wavefront6targetE1EEEvT1_,comdat
	.protected	_ZN7rocprim17ROCPRIM_400000_NS6detail17trampoline_kernelINS0_14default_configENS1_20scan_config_selectorIsEEZZNS1_9scan_implILNS1_25lookback_scan_determinismE0ELb0ELb0ES3_N6thrust23THRUST_200600_302600_NS6detail15normal_iteratorINS9_10device_ptrIsEEEENS9_16discard_iteratorINS9_11use_defaultEEEsNS9_4plusIvEEsEEDaPvRmT3_T4_T5_mT6_P12ihipStream_tbENKUlT_T0_E_clISt17integral_constantIbLb1EESW_IbLb0EEEEDaSS_ST_EUlSS_E_NS1_11comp_targetILNS1_3genE10ELNS1_11target_archE1200ELNS1_3gpuE4ELNS1_3repE0EEENS1_30default_config_static_selectorELNS0_4arch9wavefront6targetE1EEEvT1_ ; -- Begin function _ZN7rocprim17ROCPRIM_400000_NS6detail17trampoline_kernelINS0_14default_configENS1_20scan_config_selectorIsEEZZNS1_9scan_implILNS1_25lookback_scan_determinismE0ELb0ELb0ES3_N6thrust23THRUST_200600_302600_NS6detail15normal_iteratorINS9_10device_ptrIsEEEENS9_16discard_iteratorINS9_11use_defaultEEEsNS9_4plusIvEEsEEDaPvRmT3_T4_T5_mT6_P12ihipStream_tbENKUlT_T0_E_clISt17integral_constantIbLb1EESW_IbLb0EEEEDaSS_ST_EUlSS_E_NS1_11comp_targetILNS1_3genE10ELNS1_11target_archE1200ELNS1_3gpuE4ELNS1_3repE0EEENS1_30default_config_static_selectorELNS0_4arch9wavefront6targetE1EEEvT1_
	.globl	_ZN7rocprim17ROCPRIM_400000_NS6detail17trampoline_kernelINS0_14default_configENS1_20scan_config_selectorIsEEZZNS1_9scan_implILNS1_25lookback_scan_determinismE0ELb0ELb0ES3_N6thrust23THRUST_200600_302600_NS6detail15normal_iteratorINS9_10device_ptrIsEEEENS9_16discard_iteratorINS9_11use_defaultEEEsNS9_4plusIvEEsEEDaPvRmT3_T4_T5_mT6_P12ihipStream_tbENKUlT_T0_E_clISt17integral_constantIbLb1EESW_IbLb0EEEEDaSS_ST_EUlSS_E_NS1_11comp_targetILNS1_3genE10ELNS1_11target_archE1200ELNS1_3gpuE4ELNS1_3repE0EEENS1_30default_config_static_selectorELNS0_4arch9wavefront6targetE1EEEvT1_
	.p2align	8
	.type	_ZN7rocprim17ROCPRIM_400000_NS6detail17trampoline_kernelINS0_14default_configENS1_20scan_config_selectorIsEEZZNS1_9scan_implILNS1_25lookback_scan_determinismE0ELb0ELb0ES3_N6thrust23THRUST_200600_302600_NS6detail15normal_iteratorINS9_10device_ptrIsEEEENS9_16discard_iteratorINS9_11use_defaultEEEsNS9_4plusIvEEsEEDaPvRmT3_T4_T5_mT6_P12ihipStream_tbENKUlT_T0_E_clISt17integral_constantIbLb1EESW_IbLb0EEEEDaSS_ST_EUlSS_E_NS1_11comp_targetILNS1_3genE10ELNS1_11target_archE1200ELNS1_3gpuE4ELNS1_3repE0EEENS1_30default_config_static_selectorELNS0_4arch9wavefront6targetE1EEEvT1_,@function
_ZN7rocprim17ROCPRIM_400000_NS6detail17trampoline_kernelINS0_14default_configENS1_20scan_config_selectorIsEEZZNS1_9scan_implILNS1_25lookback_scan_determinismE0ELb0ELb0ES3_N6thrust23THRUST_200600_302600_NS6detail15normal_iteratorINS9_10device_ptrIsEEEENS9_16discard_iteratorINS9_11use_defaultEEEsNS9_4plusIvEEsEEDaPvRmT3_T4_T5_mT6_P12ihipStream_tbENKUlT_T0_E_clISt17integral_constantIbLb1EESW_IbLb0EEEEDaSS_ST_EUlSS_E_NS1_11comp_targetILNS1_3genE10ELNS1_11target_archE1200ELNS1_3gpuE4ELNS1_3repE0EEENS1_30default_config_static_selectorELNS0_4arch9wavefront6targetE1EEEvT1_: ; @_ZN7rocprim17ROCPRIM_400000_NS6detail17trampoline_kernelINS0_14default_configENS1_20scan_config_selectorIsEEZZNS1_9scan_implILNS1_25lookback_scan_determinismE0ELb0ELb0ES3_N6thrust23THRUST_200600_302600_NS6detail15normal_iteratorINS9_10device_ptrIsEEEENS9_16discard_iteratorINS9_11use_defaultEEEsNS9_4plusIvEEsEEDaPvRmT3_T4_T5_mT6_P12ihipStream_tbENKUlT_T0_E_clISt17integral_constantIbLb1EESW_IbLb0EEEEDaSS_ST_EUlSS_E_NS1_11comp_targetILNS1_3genE10ELNS1_11target_archE1200ELNS1_3gpuE4ELNS1_3repE0EEENS1_30default_config_static_selectorELNS0_4arch9wavefront6targetE1EEEvT1_
; %bb.0:
	.section	.rodata,"a",@progbits
	.p2align	6, 0x0
	.amdhsa_kernel _ZN7rocprim17ROCPRIM_400000_NS6detail17trampoline_kernelINS0_14default_configENS1_20scan_config_selectorIsEEZZNS1_9scan_implILNS1_25lookback_scan_determinismE0ELb0ELb0ES3_N6thrust23THRUST_200600_302600_NS6detail15normal_iteratorINS9_10device_ptrIsEEEENS9_16discard_iteratorINS9_11use_defaultEEEsNS9_4plusIvEEsEEDaPvRmT3_T4_T5_mT6_P12ihipStream_tbENKUlT_T0_E_clISt17integral_constantIbLb1EESW_IbLb0EEEEDaSS_ST_EUlSS_E_NS1_11comp_targetILNS1_3genE10ELNS1_11target_archE1200ELNS1_3gpuE4ELNS1_3repE0EEENS1_30default_config_static_selectorELNS0_4arch9wavefront6targetE1EEEvT1_
		.amdhsa_group_segment_fixed_size 0
		.amdhsa_private_segment_fixed_size 0
		.amdhsa_kernarg_size 104
		.amdhsa_user_sgpr_count 6
		.amdhsa_user_sgpr_private_segment_buffer 1
		.amdhsa_user_sgpr_dispatch_ptr 0
		.amdhsa_user_sgpr_queue_ptr 0
		.amdhsa_user_sgpr_kernarg_segment_ptr 1
		.amdhsa_user_sgpr_dispatch_id 0
		.amdhsa_user_sgpr_flat_scratch_init 0
		.amdhsa_user_sgpr_kernarg_preload_length 0
		.amdhsa_user_sgpr_kernarg_preload_offset 0
		.amdhsa_user_sgpr_private_segment_size 0
		.amdhsa_uses_dynamic_stack 0
		.amdhsa_system_sgpr_private_segment_wavefront_offset 0
		.amdhsa_system_sgpr_workgroup_id_x 1
		.amdhsa_system_sgpr_workgroup_id_y 0
		.amdhsa_system_sgpr_workgroup_id_z 0
		.amdhsa_system_sgpr_workgroup_info 0
		.amdhsa_system_vgpr_workitem_id 0
		.amdhsa_next_free_vgpr 1
		.amdhsa_next_free_sgpr 0
		.amdhsa_accum_offset 4
		.amdhsa_reserve_vcc 0
		.amdhsa_reserve_flat_scratch 0
		.amdhsa_float_round_mode_32 0
		.amdhsa_float_round_mode_16_64 0
		.amdhsa_float_denorm_mode_32 3
		.amdhsa_float_denorm_mode_16_64 3
		.amdhsa_dx10_clamp 1
		.amdhsa_ieee_mode 1
		.amdhsa_fp16_overflow 0
		.amdhsa_tg_split 0
		.amdhsa_exception_fp_ieee_invalid_op 0
		.amdhsa_exception_fp_denorm_src 0
		.amdhsa_exception_fp_ieee_div_zero 0
		.amdhsa_exception_fp_ieee_overflow 0
		.amdhsa_exception_fp_ieee_underflow 0
		.amdhsa_exception_fp_ieee_inexact 0
		.amdhsa_exception_int_div_zero 0
	.end_amdhsa_kernel
	.section	.text._ZN7rocprim17ROCPRIM_400000_NS6detail17trampoline_kernelINS0_14default_configENS1_20scan_config_selectorIsEEZZNS1_9scan_implILNS1_25lookback_scan_determinismE0ELb0ELb0ES3_N6thrust23THRUST_200600_302600_NS6detail15normal_iteratorINS9_10device_ptrIsEEEENS9_16discard_iteratorINS9_11use_defaultEEEsNS9_4plusIvEEsEEDaPvRmT3_T4_T5_mT6_P12ihipStream_tbENKUlT_T0_E_clISt17integral_constantIbLb1EESW_IbLb0EEEEDaSS_ST_EUlSS_E_NS1_11comp_targetILNS1_3genE10ELNS1_11target_archE1200ELNS1_3gpuE4ELNS1_3repE0EEENS1_30default_config_static_selectorELNS0_4arch9wavefront6targetE1EEEvT1_,"axG",@progbits,_ZN7rocprim17ROCPRIM_400000_NS6detail17trampoline_kernelINS0_14default_configENS1_20scan_config_selectorIsEEZZNS1_9scan_implILNS1_25lookback_scan_determinismE0ELb0ELb0ES3_N6thrust23THRUST_200600_302600_NS6detail15normal_iteratorINS9_10device_ptrIsEEEENS9_16discard_iteratorINS9_11use_defaultEEEsNS9_4plusIvEEsEEDaPvRmT3_T4_T5_mT6_P12ihipStream_tbENKUlT_T0_E_clISt17integral_constantIbLb1EESW_IbLb0EEEEDaSS_ST_EUlSS_E_NS1_11comp_targetILNS1_3genE10ELNS1_11target_archE1200ELNS1_3gpuE4ELNS1_3repE0EEENS1_30default_config_static_selectorELNS0_4arch9wavefront6targetE1EEEvT1_,comdat
.Lfunc_end5912:
	.size	_ZN7rocprim17ROCPRIM_400000_NS6detail17trampoline_kernelINS0_14default_configENS1_20scan_config_selectorIsEEZZNS1_9scan_implILNS1_25lookback_scan_determinismE0ELb0ELb0ES3_N6thrust23THRUST_200600_302600_NS6detail15normal_iteratorINS9_10device_ptrIsEEEENS9_16discard_iteratorINS9_11use_defaultEEEsNS9_4plusIvEEsEEDaPvRmT3_T4_T5_mT6_P12ihipStream_tbENKUlT_T0_E_clISt17integral_constantIbLb1EESW_IbLb0EEEEDaSS_ST_EUlSS_E_NS1_11comp_targetILNS1_3genE10ELNS1_11target_archE1200ELNS1_3gpuE4ELNS1_3repE0EEENS1_30default_config_static_selectorELNS0_4arch9wavefront6targetE1EEEvT1_, .Lfunc_end5912-_ZN7rocprim17ROCPRIM_400000_NS6detail17trampoline_kernelINS0_14default_configENS1_20scan_config_selectorIsEEZZNS1_9scan_implILNS1_25lookback_scan_determinismE0ELb0ELb0ES3_N6thrust23THRUST_200600_302600_NS6detail15normal_iteratorINS9_10device_ptrIsEEEENS9_16discard_iteratorINS9_11use_defaultEEEsNS9_4plusIvEEsEEDaPvRmT3_T4_T5_mT6_P12ihipStream_tbENKUlT_T0_E_clISt17integral_constantIbLb1EESW_IbLb0EEEEDaSS_ST_EUlSS_E_NS1_11comp_targetILNS1_3genE10ELNS1_11target_archE1200ELNS1_3gpuE4ELNS1_3repE0EEENS1_30default_config_static_selectorELNS0_4arch9wavefront6targetE1EEEvT1_
                                        ; -- End function
	.section	.AMDGPU.csdata,"",@progbits
; Kernel info:
; codeLenInByte = 0
; NumSgprs: 4
; NumVgprs: 0
; NumAgprs: 0
; TotalNumVgprs: 0
; ScratchSize: 0
; MemoryBound: 0
; FloatMode: 240
; IeeeMode: 1
; LDSByteSize: 0 bytes/workgroup (compile time only)
; SGPRBlocks: 0
; VGPRBlocks: 0
; NumSGPRsForWavesPerEU: 4
; NumVGPRsForWavesPerEU: 1
; AccumOffset: 4
; Occupancy: 8
; WaveLimiterHint : 0
; COMPUTE_PGM_RSRC2:SCRATCH_EN: 0
; COMPUTE_PGM_RSRC2:USER_SGPR: 6
; COMPUTE_PGM_RSRC2:TRAP_HANDLER: 0
; COMPUTE_PGM_RSRC2:TGID_X_EN: 1
; COMPUTE_PGM_RSRC2:TGID_Y_EN: 0
; COMPUTE_PGM_RSRC2:TGID_Z_EN: 0
; COMPUTE_PGM_RSRC2:TIDIG_COMP_CNT: 0
; COMPUTE_PGM_RSRC3_GFX90A:ACCUM_OFFSET: 0
; COMPUTE_PGM_RSRC3_GFX90A:TG_SPLIT: 0
	.section	.text._ZN7rocprim17ROCPRIM_400000_NS6detail17trampoline_kernelINS0_14default_configENS1_20scan_config_selectorIsEEZZNS1_9scan_implILNS1_25lookback_scan_determinismE0ELb0ELb0ES3_N6thrust23THRUST_200600_302600_NS6detail15normal_iteratorINS9_10device_ptrIsEEEENS9_16discard_iteratorINS9_11use_defaultEEEsNS9_4plusIvEEsEEDaPvRmT3_T4_T5_mT6_P12ihipStream_tbENKUlT_T0_E_clISt17integral_constantIbLb1EESW_IbLb0EEEEDaSS_ST_EUlSS_E_NS1_11comp_targetILNS1_3genE9ELNS1_11target_archE1100ELNS1_3gpuE3ELNS1_3repE0EEENS1_30default_config_static_selectorELNS0_4arch9wavefront6targetE1EEEvT1_,"axG",@progbits,_ZN7rocprim17ROCPRIM_400000_NS6detail17trampoline_kernelINS0_14default_configENS1_20scan_config_selectorIsEEZZNS1_9scan_implILNS1_25lookback_scan_determinismE0ELb0ELb0ES3_N6thrust23THRUST_200600_302600_NS6detail15normal_iteratorINS9_10device_ptrIsEEEENS9_16discard_iteratorINS9_11use_defaultEEEsNS9_4plusIvEEsEEDaPvRmT3_T4_T5_mT6_P12ihipStream_tbENKUlT_T0_E_clISt17integral_constantIbLb1EESW_IbLb0EEEEDaSS_ST_EUlSS_E_NS1_11comp_targetILNS1_3genE9ELNS1_11target_archE1100ELNS1_3gpuE3ELNS1_3repE0EEENS1_30default_config_static_selectorELNS0_4arch9wavefront6targetE1EEEvT1_,comdat
	.protected	_ZN7rocprim17ROCPRIM_400000_NS6detail17trampoline_kernelINS0_14default_configENS1_20scan_config_selectorIsEEZZNS1_9scan_implILNS1_25lookback_scan_determinismE0ELb0ELb0ES3_N6thrust23THRUST_200600_302600_NS6detail15normal_iteratorINS9_10device_ptrIsEEEENS9_16discard_iteratorINS9_11use_defaultEEEsNS9_4plusIvEEsEEDaPvRmT3_T4_T5_mT6_P12ihipStream_tbENKUlT_T0_E_clISt17integral_constantIbLb1EESW_IbLb0EEEEDaSS_ST_EUlSS_E_NS1_11comp_targetILNS1_3genE9ELNS1_11target_archE1100ELNS1_3gpuE3ELNS1_3repE0EEENS1_30default_config_static_selectorELNS0_4arch9wavefront6targetE1EEEvT1_ ; -- Begin function _ZN7rocprim17ROCPRIM_400000_NS6detail17trampoline_kernelINS0_14default_configENS1_20scan_config_selectorIsEEZZNS1_9scan_implILNS1_25lookback_scan_determinismE0ELb0ELb0ES3_N6thrust23THRUST_200600_302600_NS6detail15normal_iteratorINS9_10device_ptrIsEEEENS9_16discard_iteratorINS9_11use_defaultEEEsNS9_4plusIvEEsEEDaPvRmT3_T4_T5_mT6_P12ihipStream_tbENKUlT_T0_E_clISt17integral_constantIbLb1EESW_IbLb0EEEEDaSS_ST_EUlSS_E_NS1_11comp_targetILNS1_3genE9ELNS1_11target_archE1100ELNS1_3gpuE3ELNS1_3repE0EEENS1_30default_config_static_selectorELNS0_4arch9wavefront6targetE1EEEvT1_
	.globl	_ZN7rocprim17ROCPRIM_400000_NS6detail17trampoline_kernelINS0_14default_configENS1_20scan_config_selectorIsEEZZNS1_9scan_implILNS1_25lookback_scan_determinismE0ELb0ELb0ES3_N6thrust23THRUST_200600_302600_NS6detail15normal_iteratorINS9_10device_ptrIsEEEENS9_16discard_iteratorINS9_11use_defaultEEEsNS9_4plusIvEEsEEDaPvRmT3_T4_T5_mT6_P12ihipStream_tbENKUlT_T0_E_clISt17integral_constantIbLb1EESW_IbLb0EEEEDaSS_ST_EUlSS_E_NS1_11comp_targetILNS1_3genE9ELNS1_11target_archE1100ELNS1_3gpuE3ELNS1_3repE0EEENS1_30default_config_static_selectorELNS0_4arch9wavefront6targetE1EEEvT1_
	.p2align	8
	.type	_ZN7rocprim17ROCPRIM_400000_NS6detail17trampoline_kernelINS0_14default_configENS1_20scan_config_selectorIsEEZZNS1_9scan_implILNS1_25lookback_scan_determinismE0ELb0ELb0ES3_N6thrust23THRUST_200600_302600_NS6detail15normal_iteratorINS9_10device_ptrIsEEEENS9_16discard_iteratorINS9_11use_defaultEEEsNS9_4plusIvEEsEEDaPvRmT3_T4_T5_mT6_P12ihipStream_tbENKUlT_T0_E_clISt17integral_constantIbLb1EESW_IbLb0EEEEDaSS_ST_EUlSS_E_NS1_11comp_targetILNS1_3genE9ELNS1_11target_archE1100ELNS1_3gpuE3ELNS1_3repE0EEENS1_30default_config_static_selectorELNS0_4arch9wavefront6targetE1EEEvT1_,@function
_ZN7rocprim17ROCPRIM_400000_NS6detail17trampoline_kernelINS0_14default_configENS1_20scan_config_selectorIsEEZZNS1_9scan_implILNS1_25lookback_scan_determinismE0ELb0ELb0ES3_N6thrust23THRUST_200600_302600_NS6detail15normal_iteratorINS9_10device_ptrIsEEEENS9_16discard_iteratorINS9_11use_defaultEEEsNS9_4plusIvEEsEEDaPvRmT3_T4_T5_mT6_P12ihipStream_tbENKUlT_T0_E_clISt17integral_constantIbLb1EESW_IbLb0EEEEDaSS_ST_EUlSS_E_NS1_11comp_targetILNS1_3genE9ELNS1_11target_archE1100ELNS1_3gpuE3ELNS1_3repE0EEENS1_30default_config_static_selectorELNS0_4arch9wavefront6targetE1EEEvT1_: ; @_ZN7rocprim17ROCPRIM_400000_NS6detail17trampoline_kernelINS0_14default_configENS1_20scan_config_selectorIsEEZZNS1_9scan_implILNS1_25lookback_scan_determinismE0ELb0ELb0ES3_N6thrust23THRUST_200600_302600_NS6detail15normal_iteratorINS9_10device_ptrIsEEEENS9_16discard_iteratorINS9_11use_defaultEEEsNS9_4plusIvEEsEEDaPvRmT3_T4_T5_mT6_P12ihipStream_tbENKUlT_T0_E_clISt17integral_constantIbLb1EESW_IbLb0EEEEDaSS_ST_EUlSS_E_NS1_11comp_targetILNS1_3genE9ELNS1_11target_archE1100ELNS1_3gpuE3ELNS1_3repE0EEENS1_30default_config_static_selectorELNS0_4arch9wavefront6targetE1EEEvT1_
; %bb.0:
	.section	.rodata,"a",@progbits
	.p2align	6, 0x0
	.amdhsa_kernel _ZN7rocprim17ROCPRIM_400000_NS6detail17trampoline_kernelINS0_14default_configENS1_20scan_config_selectorIsEEZZNS1_9scan_implILNS1_25lookback_scan_determinismE0ELb0ELb0ES3_N6thrust23THRUST_200600_302600_NS6detail15normal_iteratorINS9_10device_ptrIsEEEENS9_16discard_iteratorINS9_11use_defaultEEEsNS9_4plusIvEEsEEDaPvRmT3_T4_T5_mT6_P12ihipStream_tbENKUlT_T0_E_clISt17integral_constantIbLb1EESW_IbLb0EEEEDaSS_ST_EUlSS_E_NS1_11comp_targetILNS1_3genE9ELNS1_11target_archE1100ELNS1_3gpuE3ELNS1_3repE0EEENS1_30default_config_static_selectorELNS0_4arch9wavefront6targetE1EEEvT1_
		.amdhsa_group_segment_fixed_size 0
		.amdhsa_private_segment_fixed_size 0
		.amdhsa_kernarg_size 104
		.amdhsa_user_sgpr_count 6
		.amdhsa_user_sgpr_private_segment_buffer 1
		.amdhsa_user_sgpr_dispatch_ptr 0
		.amdhsa_user_sgpr_queue_ptr 0
		.amdhsa_user_sgpr_kernarg_segment_ptr 1
		.amdhsa_user_sgpr_dispatch_id 0
		.amdhsa_user_sgpr_flat_scratch_init 0
		.amdhsa_user_sgpr_kernarg_preload_length 0
		.amdhsa_user_sgpr_kernarg_preload_offset 0
		.amdhsa_user_sgpr_private_segment_size 0
		.amdhsa_uses_dynamic_stack 0
		.amdhsa_system_sgpr_private_segment_wavefront_offset 0
		.amdhsa_system_sgpr_workgroup_id_x 1
		.amdhsa_system_sgpr_workgroup_id_y 0
		.amdhsa_system_sgpr_workgroup_id_z 0
		.amdhsa_system_sgpr_workgroup_info 0
		.amdhsa_system_vgpr_workitem_id 0
		.amdhsa_next_free_vgpr 1
		.amdhsa_next_free_sgpr 0
		.amdhsa_accum_offset 4
		.amdhsa_reserve_vcc 0
		.amdhsa_reserve_flat_scratch 0
		.amdhsa_float_round_mode_32 0
		.amdhsa_float_round_mode_16_64 0
		.amdhsa_float_denorm_mode_32 3
		.amdhsa_float_denorm_mode_16_64 3
		.amdhsa_dx10_clamp 1
		.amdhsa_ieee_mode 1
		.amdhsa_fp16_overflow 0
		.amdhsa_tg_split 0
		.amdhsa_exception_fp_ieee_invalid_op 0
		.amdhsa_exception_fp_denorm_src 0
		.amdhsa_exception_fp_ieee_div_zero 0
		.amdhsa_exception_fp_ieee_overflow 0
		.amdhsa_exception_fp_ieee_underflow 0
		.amdhsa_exception_fp_ieee_inexact 0
		.amdhsa_exception_int_div_zero 0
	.end_amdhsa_kernel
	.section	.text._ZN7rocprim17ROCPRIM_400000_NS6detail17trampoline_kernelINS0_14default_configENS1_20scan_config_selectorIsEEZZNS1_9scan_implILNS1_25lookback_scan_determinismE0ELb0ELb0ES3_N6thrust23THRUST_200600_302600_NS6detail15normal_iteratorINS9_10device_ptrIsEEEENS9_16discard_iteratorINS9_11use_defaultEEEsNS9_4plusIvEEsEEDaPvRmT3_T4_T5_mT6_P12ihipStream_tbENKUlT_T0_E_clISt17integral_constantIbLb1EESW_IbLb0EEEEDaSS_ST_EUlSS_E_NS1_11comp_targetILNS1_3genE9ELNS1_11target_archE1100ELNS1_3gpuE3ELNS1_3repE0EEENS1_30default_config_static_selectorELNS0_4arch9wavefront6targetE1EEEvT1_,"axG",@progbits,_ZN7rocprim17ROCPRIM_400000_NS6detail17trampoline_kernelINS0_14default_configENS1_20scan_config_selectorIsEEZZNS1_9scan_implILNS1_25lookback_scan_determinismE0ELb0ELb0ES3_N6thrust23THRUST_200600_302600_NS6detail15normal_iteratorINS9_10device_ptrIsEEEENS9_16discard_iteratorINS9_11use_defaultEEEsNS9_4plusIvEEsEEDaPvRmT3_T4_T5_mT6_P12ihipStream_tbENKUlT_T0_E_clISt17integral_constantIbLb1EESW_IbLb0EEEEDaSS_ST_EUlSS_E_NS1_11comp_targetILNS1_3genE9ELNS1_11target_archE1100ELNS1_3gpuE3ELNS1_3repE0EEENS1_30default_config_static_selectorELNS0_4arch9wavefront6targetE1EEEvT1_,comdat
.Lfunc_end5913:
	.size	_ZN7rocprim17ROCPRIM_400000_NS6detail17trampoline_kernelINS0_14default_configENS1_20scan_config_selectorIsEEZZNS1_9scan_implILNS1_25lookback_scan_determinismE0ELb0ELb0ES3_N6thrust23THRUST_200600_302600_NS6detail15normal_iteratorINS9_10device_ptrIsEEEENS9_16discard_iteratorINS9_11use_defaultEEEsNS9_4plusIvEEsEEDaPvRmT3_T4_T5_mT6_P12ihipStream_tbENKUlT_T0_E_clISt17integral_constantIbLb1EESW_IbLb0EEEEDaSS_ST_EUlSS_E_NS1_11comp_targetILNS1_3genE9ELNS1_11target_archE1100ELNS1_3gpuE3ELNS1_3repE0EEENS1_30default_config_static_selectorELNS0_4arch9wavefront6targetE1EEEvT1_, .Lfunc_end5913-_ZN7rocprim17ROCPRIM_400000_NS6detail17trampoline_kernelINS0_14default_configENS1_20scan_config_selectorIsEEZZNS1_9scan_implILNS1_25lookback_scan_determinismE0ELb0ELb0ES3_N6thrust23THRUST_200600_302600_NS6detail15normal_iteratorINS9_10device_ptrIsEEEENS9_16discard_iteratorINS9_11use_defaultEEEsNS9_4plusIvEEsEEDaPvRmT3_T4_T5_mT6_P12ihipStream_tbENKUlT_T0_E_clISt17integral_constantIbLb1EESW_IbLb0EEEEDaSS_ST_EUlSS_E_NS1_11comp_targetILNS1_3genE9ELNS1_11target_archE1100ELNS1_3gpuE3ELNS1_3repE0EEENS1_30default_config_static_selectorELNS0_4arch9wavefront6targetE1EEEvT1_
                                        ; -- End function
	.section	.AMDGPU.csdata,"",@progbits
; Kernel info:
; codeLenInByte = 0
; NumSgprs: 4
; NumVgprs: 0
; NumAgprs: 0
; TotalNumVgprs: 0
; ScratchSize: 0
; MemoryBound: 0
; FloatMode: 240
; IeeeMode: 1
; LDSByteSize: 0 bytes/workgroup (compile time only)
; SGPRBlocks: 0
; VGPRBlocks: 0
; NumSGPRsForWavesPerEU: 4
; NumVGPRsForWavesPerEU: 1
; AccumOffset: 4
; Occupancy: 8
; WaveLimiterHint : 0
; COMPUTE_PGM_RSRC2:SCRATCH_EN: 0
; COMPUTE_PGM_RSRC2:USER_SGPR: 6
; COMPUTE_PGM_RSRC2:TRAP_HANDLER: 0
; COMPUTE_PGM_RSRC2:TGID_X_EN: 1
; COMPUTE_PGM_RSRC2:TGID_Y_EN: 0
; COMPUTE_PGM_RSRC2:TGID_Z_EN: 0
; COMPUTE_PGM_RSRC2:TIDIG_COMP_CNT: 0
; COMPUTE_PGM_RSRC3_GFX90A:ACCUM_OFFSET: 0
; COMPUTE_PGM_RSRC3_GFX90A:TG_SPLIT: 0
	.section	.text._ZN7rocprim17ROCPRIM_400000_NS6detail17trampoline_kernelINS0_14default_configENS1_20scan_config_selectorIsEEZZNS1_9scan_implILNS1_25lookback_scan_determinismE0ELb0ELb0ES3_N6thrust23THRUST_200600_302600_NS6detail15normal_iteratorINS9_10device_ptrIsEEEENS9_16discard_iteratorINS9_11use_defaultEEEsNS9_4plusIvEEsEEDaPvRmT3_T4_T5_mT6_P12ihipStream_tbENKUlT_T0_E_clISt17integral_constantIbLb1EESW_IbLb0EEEEDaSS_ST_EUlSS_E_NS1_11comp_targetILNS1_3genE8ELNS1_11target_archE1030ELNS1_3gpuE2ELNS1_3repE0EEENS1_30default_config_static_selectorELNS0_4arch9wavefront6targetE1EEEvT1_,"axG",@progbits,_ZN7rocprim17ROCPRIM_400000_NS6detail17trampoline_kernelINS0_14default_configENS1_20scan_config_selectorIsEEZZNS1_9scan_implILNS1_25lookback_scan_determinismE0ELb0ELb0ES3_N6thrust23THRUST_200600_302600_NS6detail15normal_iteratorINS9_10device_ptrIsEEEENS9_16discard_iteratorINS9_11use_defaultEEEsNS9_4plusIvEEsEEDaPvRmT3_T4_T5_mT6_P12ihipStream_tbENKUlT_T0_E_clISt17integral_constantIbLb1EESW_IbLb0EEEEDaSS_ST_EUlSS_E_NS1_11comp_targetILNS1_3genE8ELNS1_11target_archE1030ELNS1_3gpuE2ELNS1_3repE0EEENS1_30default_config_static_selectorELNS0_4arch9wavefront6targetE1EEEvT1_,comdat
	.protected	_ZN7rocprim17ROCPRIM_400000_NS6detail17trampoline_kernelINS0_14default_configENS1_20scan_config_selectorIsEEZZNS1_9scan_implILNS1_25lookback_scan_determinismE0ELb0ELb0ES3_N6thrust23THRUST_200600_302600_NS6detail15normal_iteratorINS9_10device_ptrIsEEEENS9_16discard_iteratorINS9_11use_defaultEEEsNS9_4plusIvEEsEEDaPvRmT3_T4_T5_mT6_P12ihipStream_tbENKUlT_T0_E_clISt17integral_constantIbLb1EESW_IbLb0EEEEDaSS_ST_EUlSS_E_NS1_11comp_targetILNS1_3genE8ELNS1_11target_archE1030ELNS1_3gpuE2ELNS1_3repE0EEENS1_30default_config_static_selectorELNS0_4arch9wavefront6targetE1EEEvT1_ ; -- Begin function _ZN7rocprim17ROCPRIM_400000_NS6detail17trampoline_kernelINS0_14default_configENS1_20scan_config_selectorIsEEZZNS1_9scan_implILNS1_25lookback_scan_determinismE0ELb0ELb0ES3_N6thrust23THRUST_200600_302600_NS6detail15normal_iteratorINS9_10device_ptrIsEEEENS9_16discard_iteratorINS9_11use_defaultEEEsNS9_4plusIvEEsEEDaPvRmT3_T4_T5_mT6_P12ihipStream_tbENKUlT_T0_E_clISt17integral_constantIbLb1EESW_IbLb0EEEEDaSS_ST_EUlSS_E_NS1_11comp_targetILNS1_3genE8ELNS1_11target_archE1030ELNS1_3gpuE2ELNS1_3repE0EEENS1_30default_config_static_selectorELNS0_4arch9wavefront6targetE1EEEvT1_
	.globl	_ZN7rocprim17ROCPRIM_400000_NS6detail17trampoline_kernelINS0_14default_configENS1_20scan_config_selectorIsEEZZNS1_9scan_implILNS1_25lookback_scan_determinismE0ELb0ELb0ES3_N6thrust23THRUST_200600_302600_NS6detail15normal_iteratorINS9_10device_ptrIsEEEENS9_16discard_iteratorINS9_11use_defaultEEEsNS9_4plusIvEEsEEDaPvRmT3_T4_T5_mT6_P12ihipStream_tbENKUlT_T0_E_clISt17integral_constantIbLb1EESW_IbLb0EEEEDaSS_ST_EUlSS_E_NS1_11comp_targetILNS1_3genE8ELNS1_11target_archE1030ELNS1_3gpuE2ELNS1_3repE0EEENS1_30default_config_static_selectorELNS0_4arch9wavefront6targetE1EEEvT1_
	.p2align	8
	.type	_ZN7rocprim17ROCPRIM_400000_NS6detail17trampoline_kernelINS0_14default_configENS1_20scan_config_selectorIsEEZZNS1_9scan_implILNS1_25lookback_scan_determinismE0ELb0ELb0ES3_N6thrust23THRUST_200600_302600_NS6detail15normal_iteratorINS9_10device_ptrIsEEEENS9_16discard_iteratorINS9_11use_defaultEEEsNS9_4plusIvEEsEEDaPvRmT3_T4_T5_mT6_P12ihipStream_tbENKUlT_T0_E_clISt17integral_constantIbLb1EESW_IbLb0EEEEDaSS_ST_EUlSS_E_NS1_11comp_targetILNS1_3genE8ELNS1_11target_archE1030ELNS1_3gpuE2ELNS1_3repE0EEENS1_30default_config_static_selectorELNS0_4arch9wavefront6targetE1EEEvT1_,@function
_ZN7rocprim17ROCPRIM_400000_NS6detail17trampoline_kernelINS0_14default_configENS1_20scan_config_selectorIsEEZZNS1_9scan_implILNS1_25lookback_scan_determinismE0ELb0ELb0ES3_N6thrust23THRUST_200600_302600_NS6detail15normal_iteratorINS9_10device_ptrIsEEEENS9_16discard_iteratorINS9_11use_defaultEEEsNS9_4plusIvEEsEEDaPvRmT3_T4_T5_mT6_P12ihipStream_tbENKUlT_T0_E_clISt17integral_constantIbLb1EESW_IbLb0EEEEDaSS_ST_EUlSS_E_NS1_11comp_targetILNS1_3genE8ELNS1_11target_archE1030ELNS1_3gpuE2ELNS1_3repE0EEENS1_30default_config_static_selectorELNS0_4arch9wavefront6targetE1EEEvT1_: ; @_ZN7rocprim17ROCPRIM_400000_NS6detail17trampoline_kernelINS0_14default_configENS1_20scan_config_selectorIsEEZZNS1_9scan_implILNS1_25lookback_scan_determinismE0ELb0ELb0ES3_N6thrust23THRUST_200600_302600_NS6detail15normal_iteratorINS9_10device_ptrIsEEEENS9_16discard_iteratorINS9_11use_defaultEEEsNS9_4plusIvEEsEEDaPvRmT3_T4_T5_mT6_P12ihipStream_tbENKUlT_T0_E_clISt17integral_constantIbLb1EESW_IbLb0EEEEDaSS_ST_EUlSS_E_NS1_11comp_targetILNS1_3genE8ELNS1_11target_archE1030ELNS1_3gpuE2ELNS1_3repE0EEENS1_30default_config_static_selectorELNS0_4arch9wavefront6targetE1EEEvT1_
; %bb.0:
	.section	.rodata,"a",@progbits
	.p2align	6, 0x0
	.amdhsa_kernel _ZN7rocprim17ROCPRIM_400000_NS6detail17trampoline_kernelINS0_14default_configENS1_20scan_config_selectorIsEEZZNS1_9scan_implILNS1_25lookback_scan_determinismE0ELb0ELb0ES3_N6thrust23THRUST_200600_302600_NS6detail15normal_iteratorINS9_10device_ptrIsEEEENS9_16discard_iteratorINS9_11use_defaultEEEsNS9_4plusIvEEsEEDaPvRmT3_T4_T5_mT6_P12ihipStream_tbENKUlT_T0_E_clISt17integral_constantIbLb1EESW_IbLb0EEEEDaSS_ST_EUlSS_E_NS1_11comp_targetILNS1_3genE8ELNS1_11target_archE1030ELNS1_3gpuE2ELNS1_3repE0EEENS1_30default_config_static_selectorELNS0_4arch9wavefront6targetE1EEEvT1_
		.amdhsa_group_segment_fixed_size 0
		.amdhsa_private_segment_fixed_size 0
		.amdhsa_kernarg_size 104
		.amdhsa_user_sgpr_count 6
		.amdhsa_user_sgpr_private_segment_buffer 1
		.amdhsa_user_sgpr_dispatch_ptr 0
		.amdhsa_user_sgpr_queue_ptr 0
		.amdhsa_user_sgpr_kernarg_segment_ptr 1
		.amdhsa_user_sgpr_dispatch_id 0
		.amdhsa_user_sgpr_flat_scratch_init 0
		.amdhsa_user_sgpr_kernarg_preload_length 0
		.amdhsa_user_sgpr_kernarg_preload_offset 0
		.amdhsa_user_sgpr_private_segment_size 0
		.amdhsa_uses_dynamic_stack 0
		.amdhsa_system_sgpr_private_segment_wavefront_offset 0
		.amdhsa_system_sgpr_workgroup_id_x 1
		.amdhsa_system_sgpr_workgroup_id_y 0
		.amdhsa_system_sgpr_workgroup_id_z 0
		.amdhsa_system_sgpr_workgroup_info 0
		.amdhsa_system_vgpr_workitem_id 0
		.amdhsa_next_free_vgpr 1
		.amdhsa_next_free_sgpr 0
		.amdhsa_accum_offset 4
		.amdhsa_reserve_vcc 0
		.amdhsa_reserve_flat_scratch 0
		.amdhsa_float_round_mode_32 0
		.amdhsa_float_round_mode_16_64 0
		.amdhsa_float_denorm_mode_32 3
		.amdhsa_float_denorm_mode_16_64 3
		.amdhsa_dx10_clamp 1
		.amdhsa_ieee_mode 1
		.amdhsa_fp16_overflow 0
		.amdhsa_tg_split 0
		.amdhsa_exception_fp_ieee_invalid_op 0
		.amdhsa_exception_fp_denorm_src 0
		.amdhsa_exception_fp_ieee_div_zero 0
		.amdhsa_exception_fp_ieee_overflow 0
		.amdhsa_exception_fp_ieee_underflow 0
		.amdhsa_exception_fp_ieee_inexact 0
		.amdhsa_exception_int_div_zero 0
	.end_amdhsa_kernel
	.section	.text._ZN7rocprim17ROCPRIM_400000_NS6detail17trampoline_kernelINS0_14default_configENS1_20scan_config_selectorIsEEZZNS1_9scan_implILNS1_25lookback_scan_determinismE0ELb0ELb0ES3_N6thrust23THRUST_200600_302600_NS6detail15normal_iteratorINS9_10device_ptrIsEEEENS9_16discard_iteratorINS9_11use_defaultEEEsNS9_4plusIvEEsEEDaPvRmT3_T4_T5_mT6_P12ihipStream_tbENKUlT_T0_E_clISt17integral_constantIbLb1EESW_IbLb0EEEEDaSS_ST_EUlSS_E_NS1_11comp_targetILNS1_3genE8ELNS1_11target_archE1030ELNS1_3gpuE2ELNS1_3repE0EEENS1_30default_config_static_selectorELNS0_4arch9wavefront6targetE1EEEvT1_,"axG",@progbits,_ZN7rocprim17ROCPRIM_400000_NS6detail17trampoline_kernelINS0_14default_configENS1_20scan_config_selectorIsEEZZNS1_9scan_implILNS1_25lookback_scan_determinismE0ELb0ELb0ES3_N6thrust23THRUST_200600_302600_NS6detail15normal_iteratorINS9_10device_ptrIsEEEENS9_16discard_iteratorINS9_11use_defaultEEEsNS9_4plusIvEEsEEDaPvRmT3_T4_T5_mT6_P12ihipStream_tbENKUlT_T0_E_clISt17integral_constantIbLb1EESW_IbLb0EEEEDaSS_ST_EUlSS_E_NS1_11comp_targetILNS1_3genE8ELNS1_11target_archE1030ELNS1_3gpuE2ELNS1_3repE0EEENS1_30default_config_static_selectorELNS0_4arch9wavefront6targetE1EEEvT1_,comdat
.Lfunc_end5914:
	.size	_ZN7rocprim17ROCPRIM_400000_NS6detail17trampoline_kernelINS0_14default_configENS1_20scan_config_selectorIsEEZZNS1_9scan_implILNS1_25lookback_scan_determinismE0ELb0ELb0ES3_N6thrust23THRUST_200600_302600_NS6detail15normal_iteratorINS9_10device_ptrIsEEEENS9_16discard_iteratorINS9_11use_defaultEEEsNS9_4plusIvEEsEEDaPvRmT3_T4_T5_mT6_P12ihipStream_tbENKUlT_T0_E_clISt17integral_constantIbLb1EESW_IbLb0EEEEDaSS_ST_EUlSS_E_NS1_11comp_targetILNS1_3genE8ELNS1_11target_archE1030ELNS1_3gpuE2ELNS1_3repE0EEENS1_30default_config_static_selectorELNS0_4arch9wavefront6targetE1EEEvT1_, .Lfunc_end5914-_ZN7rocprim17ROCPRIM_400000_NS6detail17trampoline_kernelINS0_14default_configENS1_20scan_config_selectorIsEEZZNS1_9scan_implILNS1_25lookback_scan_determinismE0ELb0ELb0ES3_N6thrust23THRUST_200600_302600_NS6detail15normal_iteratorINS9_10device_ptrIsEEEENS9_16discard_iteratorINS9_11use_defaultEEEsNS9_4plusIvEEsEEDaPvRmT3_T4_T5_mT6_P12ihipStream_tbENKUlT_T0_E_clISt17integral_constantIbLb1EESW_IbLb0EEEEDaSS_ST_EUlSS_E_NS1_11comp_targetILNS1_3genE8ELNS1_11target_archE1030ELNS1_3gpuE2ELNS1_3repE0EEENS1_30default_config_static_selectorELNS0_4arch9wavefront6targetE1EEEvT1_
                                        ; -- End function
	.section	.AMDGPU.csdata,"",@progbits
; Kernel info:
; codeLenInByte = 0
; NumSgprs: 4
; NumVgprs: 0
; NumAgprs: 0
; TotalNumVgprs: 0
; ScratchSize: 0
; MemoryBound: 0
; FloatMode: 240
; IeeeMode: 1
; LDSByteSize: 0 bytes/workgroup (compile time only)
; SGPRBlocks: 0
; VGPRBlocks: 0
; NumSGPRsForWavesPerEU: 4
; NumVGPRsForWavesPerEU: 1
; AccumOffset: 4
; Occupancy: 8
; WaveLimiterHint : 0
; COMPUTE_PGM_RSRC2:SCRATCH_EN: 0
; COMPUTE_PGM_RSRC2:USER_SGPR: 6
; COMPUTE_PGM_RSRC2:TRAP_HANDLER: 0
; COMPUTE_PGM_RSRC2:TGID_X_EN: 1
; COMPUTE_PGM_RSRC2:TGID_Y_EN: 0
; COMPUTE_PGM_RSRC2:TGID_Z_EN: 0
; COMPUTE_PGM_RSRC2:TIDIG_COMP_CNT: 0
; COMPUTE_PGM_RSRC3_GFX90A:ACCUM_OFFSET: 0
; COMPUTE_PGM_RSRC3_GFX90A:TG_SPLIT: 0
	.section	.text._ZN7rocprim17ROCPRIM_400000_NS6detail17trampoline_kernelINS0_14default_configENS1_20scan_config_selectorIsEEZZNS1_9scan_implILNS1_25lookback_scan_determinismE0ELb0ELb0ES3_N6thrust23THRUST_200600_302600_NS6detail15normal_iteratorINS9_10device_ptrIsEEEENS9_16discard_iteratorINS9_11use_defaultEEEsNS9_4plusIvEEsEEDaPvRmT3_T4_T5_mT6_P12ihipStream_tbENKUlT_T0_E_clISt17integral_constantIbLb1EESW_IbLb0EEEEDaSS_ST_EUlSS_E0_NS1_11comp_targetILNS1_3genE0ELNS1_11target_archE4294967295ELNS1_3gpuE0ELNS1_3repE0EEENS1_30default_config_static_selectorELNS0_4arch9wavefront6targetE1EEEvT1_,"axG",@progbits,_ZN7rocprim17ROCPRIM_400000_NS6detail17trampoline_kernelINS0_14default_configENS1_20scan_config_selectorIsEEZZNS1_9scan_implILNS1_25lookback_scan_determinismE0ELb0ELb0ES3_N6thrust23THRUST_200600_302600_NS6detail15normal_iteratorINS9_10device_ptrIsEEEENS9_16discard_iteratorINS9_11use_defaultEEEsNS9_4plusIvEEsEEDaPvRmT3_T4_T5_mT6_P12ihipStream_tbENKUlT_T0_E_clISt17integral_constantIbLb1EESW_IbLb0EEEEDaSS_ST_EUlSS_E0_NS1_11comp_targetILNS1_3genE0ELNS1_11target_archE4294967295ELNS1_3gpuE0ELNS1_3repE0EEENS1_30default_config_static_selectorELNS0_4arch9wavefront6targetE1EEEvT1_,comdat
	.protected	_ZN7rocprim17ROCPRIM_400000_NS6detail17trampoline_kernelINS0_14default_configENS1_20scan_config_selectorIsEEZZNS1_9scan_implILNS1_25lookback_scan_determinismE0ELb0ELb0ES3_N6thrust23THRUST_200600_302600_NS6detail15normal_iteratorINS9_10device_ptrIsEEEENS9_16discard_iteratorINS9_11use_defaultEEEsNS9_4plusIvEEsEEDaPvRmT3_T4_T5_mT6_P12ihipStream_tbENKUlT_T0_E_clISt17integral_constantIbLb1EESW_IbLb0EEEEDaSS_ST_EUlSS_E0_NS1_11comp_targetILNS1_3genE0ELNS1_11target_archE4294967295ELNS1_3gpuE0ELNS1_3repE0EEENS1_30default_config_static_selectorELNS0_4arch9wavefront6targetE1EEEvT1_ ; -- Begin function _ZN7rocprim17ROCPRIM_400000_NS6detail17trampoline_kernelINS0_14default_configENS1_20scan_config_selectorIsEEZZNS1_9scan_implILNS1_25lookback_scan_determinismE0ELb0ELb0ES3_N6thrust23THRUST_200600_302600_NS6detail15normal_iteratorINS9_10device_ptrIsEEEENS9_16discard_iteratorINS9_11use_defaultEEEsNS9_4plusIvEEsEEDaPvRmT3_T4_T5_mT6_P12ihipStream_tbENKUlT_T0_E_clISt17integral_constantIbLb1EESW_IbLb0EEEEDaSS_ST_EUlSS_E0_NS1_11comp_targetILNS1_3genE0ELNS1_11target_archE4294967295ELNS1_3gpuE0ELNS1_3repE0EEENS1_30default_config_static_selectorELNS0_4arch9wavefront6targetE1EEEvT1_
	.globl	_ZN7rocprim17ROCPRIM_400000_NS6detail17trampoline_kernelINS0_14default_configENS1_20scan_config_selectorIsEEZZNS1_9scan_implILNS1_25lookback_scan_determinismE0ELb0ELb0ES3_N6thrust23THRUST_200600_302600_NS6detail15normal_iteratorINS9_10device_ptrIsEEEENS9_16discard_iteratorINS9_11use_defaultEEEsNS9_4plusIvEEsEEDaPvRmT3_T4_T5_mT6_P12ihipStream_tbENKUlT_T0_E_clISt17integral_constantIbLb1EESW_IbLb0EEEEDaSS_ST_EUlSS_E0_NS1_11comp_targetILNS1_3genE0ELNS1_11target_archE4294967295ELNS1_3gpuE0ELNS1_3repE0EEENS1_30default_config_static_selectorELNS0_4arch9wavefront6targetE1EEEvT1_
	.p2align	8
	.type	_ZN7rocprim17ROCPRIM_400000_NS6detail17trampoline_kernelINS0_14default_configENS1_20scan_config_selectorIsEEZZNS1_9scan_implILNS1_25lookback_scan_determinismE0ELb0ELb0ES3_N6thrust23THRUST_200600_302600_NS6detail15normal_iteratorINS9_10device_ptrIsEEEENS9_16discard_iteratorINS9_11use_defaultEEEsNS9_4plusIvEEsEEDaPvRmT3_T4_T5_mT6_P12ihipStream_tbENKUlT_T0_E_clISt17integral_constantIbLb1EESW_IbLb0EEEEDaSS_ST_EUlSS_E0_NS1_11comp_targetILNS1_3genE0ELNS1_11target_archE4294967295ELNS1_3gpuE0ELNS1_3repE0EEENS1_30default_config_static_selectorELNS0_4arch9wavefront6targetE1EEEvT1_,@function
_ZN7rocprim17ROCPRIM_400000_NS6detail17trampoline_kernelINS0_14default_configENS1_20scan_config_selectorIsEEZZNS1_9scan_implILNS1_25lookback_scan_determinismE0ELb0ELb0ES3_N6thrust23THRUST_200600_302600_NS6detail15normal_iteratorINS9_10device_ptrIsEEEENS9_16discard_iteratorINS9_11use_defaultEEEsNS9_4plusIvEEsEEDaPvRmT3_T4_T5_mT6_P12ihipStream_tbENKUlT_T0_E_clISt17integral_constantIbLb1EESW_IbLb0EEEEDaSS_ST_EUlSS_E0_NS1_11comp_targetILNS1_3genE0ELNS1_11target_archE4294967295ELNS1_3gpuE0ELNS1_3repE0EEENS1_30default_config_static_selectorELNS0_4arch9wavefront6targetE1EEEvT1_: ; @_ZN7rocprim17ROCPRIM_400000_NS6detail17trampoline_kernelINS0_14default_configENS1_20scan_config_selectorIsEEZZNS1_9scan_implILNS1_25lookback_scan_determinismE0ELb0ELb0ES3_N6thrust23THRUST_200600_302600_NS6detail15normal_iteratorINS9_10device_ptrIsEEEENS9_16discard_iteratorINS9_11use_defaultEEEsNS9_4plusIvEEsEEDaPvRmT3_T4_T5_mT6_P12ihipStream_tbENKUlT_T0_E_clISt17integral_constantIbLb1EESW_IbLb0EEEEDaSS_ST_EUlSS_E0_NS1_11comp_targetILNS1_3genE0ELNS1_11target_archE4294967295ELNS1_3gpuE0ELNS1_3repE0EEENS1_30default_config_static_selectorELNS0_4arch9wavefront6targetE1EEEvT1_
; %bb.0:
	.section	.rodata,"a",@progbits
	.p2align	6, 0x0
	.amdhsa_kernel _ZN7rocprim17ROCPRIM_400000_NS6detail17trampoline_kernelINS0_14default_configENS1_20scan_config_selectorIsEEZZNS1_9scan_implILNS1_25lookback_scan_determinismE0ELb0ELb0ES3_N6thrust23THRUST_200600_302600_NS6detail15normal_iteratorINS9_10device_ptrIsEEEENS9_16discard_iteratorINS9_11use_defaultEEEsNS9_4plusIvEEsEEDaPvRmT3_T4_T5_mT6_P12ihipStream_tbENKUlT_T0_E_clISt17integral_constantIbLb1EESW_IbLb0EEEEDaSS_ST_EUlSS_E0_NS1_11comp_targetILNS1_3genE0ELNS1_11target_archE4294967295ELNS1_3gpuE0ELNS1_3repE0EEENS1_30default_config_static_selectorELNS0_4arch9wavefront6targetE1EEEvT1_
		.amdhsa_group_segment_fixed_size 0
		.amdhsa_private_segment_fixed_size 0
		.amdhsa_kernarg_size 40
		.amdhsa_user_sgpr_count 6
		.amdhsa_user_sgpr_private_segment_buffer 1
		.amdhsa_user_sgpr_dispatch_ptr 0
		.amdhsa_user_sgpr_queue_ptr 0
		.amdhsa_user_sgpr_kernarg_segment_ptr 1
		.amdhsa_user_sgpr_dispatch_id 0
		.amdhsa_user_sgpr_flat_scratch_init 0
		.amdhsa_user_sgpr_kernarg_preload_length 0
		.amdhsa_user_sgpr_kernarg_preload_offset 0
		.amdhsa_user_sgpr_private_segment_size 0
		.amdhsa_uses_dynamic_stack 0
		.amdhsa_system_sgpr_private_segment_wavefront_offset 0
		.amdhsa_system_sgpr_workgroup_id_x 1
		.amdhsa_system_sgpr_workgroup_id_y 0
		.amdhsa_system_sgpr_workgroup_id_z 0
		.amdhsa_system_sgpr_workgroup_info 0
		.amdhsa_system_vgpr_workitem_id 0
		.amdhsa_next_free_vgpr 1
		.amdhsa_next_free_sgpr 0
		.amdhsa_accum_offset 4
		.amdhsa_reserve_vcc 0
		.amdhsa_reserve_flat_scratch 0
		.amdhsa_float_round_mode_32 0
		.amdhsa_float_round_mode_16_64 0
		.amdhsa_float_denorm_mode_32 3
		.amdhsa_float_denorm_mode_16_64 3
		.amdhsa_dx10_clamp 1
		.amdhsa_ieee_mode 1
		.amdhsa_fp16_overflow 0
		.amdhsa_tg_split 0
		.amdhsa_exception_fp_ieee_invalid_op 0
		.amdhsa_exception_fp_denorm_src 0
		.amdhsa_exception_fp_ieee_div_zero 0
		.amdhsa_exception_fp_ieee_overflow 0
		.amdhsa_exception_fp_ieee_underflow 0
		.amdhsa_exception_fp_ieee_inexact 0
		.amdhsa_exception_int_div_zero 0
	.end_amdhsa_kernel
	.section	.text._ZN7rocprim17ROCPRIM_400000_NS6detail17trampoline_kernelINS0_14default_configENS1_20scan_config_selectorIsEEZZNS1_9scan_implILNS1_25lookback_scan_determinismE0ELb0ELb0ES3_N6thrust23THRUST_200600_302600_NS6detail15normal_iteratorINS9_10device_ptrIsEEEENS9_16discard_iteratorINS9_11use_defaultEEEsNS9_4plusIvEEsEEDaPvRmT3_T4_T5_mT6_P12ihipStream_tbENKUlT_T0_E_clISt17integral_constantIbLb1EESW_IbLb0EEEEDaSS_ST_EUlSS_E0_NS1_11comp_targetILNS1_3genE0ELNS1_11target_archE4294967295ELNS1_3gpuE0ELNS1_3repE0EEENS1_30default_config_static_selectorELNS0_4arch9wavefront6targetE1EEEvT1_,"axG",@progbits,_ZN7rocprim17ROCPRIM_400000_NS6detail17trampoline_kernelINS0_14default_configENS1_20scan_config_selectorIsEEZZNS1_9scan_implILNS1_25lookback_scan_determinismE0ELb0ELb0ES3_N6thrust23THRUST_200600_302600_NS6detail15normal_iteratorINS9_10device_ptrIsEEEENS9_16discard_iteratorINS9_11use_defaultEEEsNS9_4plusIvEEsEEDaPvRmT3_T4_T5_mT6_P12ihipStream_tbENKUlT_T0_E_clISt17integral_constantIbLb1EESW_IbLb0EEEEDaSS_ST_EUlSS_E0_NS1_11comp_targetILNS1_3genE0ELNS1_11target_archE4294967295ELNS1_3gpuE0ELNS1_3repE0EEENS1_30default_config_static_selectorELNS0_4arch9wavefront6targetE1EEEvT1_,comdat
.Lfunc_end5915:
	.size	_ZN7rocprim17ROCPRIM_400000_NS6detail17trampoline_kernelINS0_14default_configENS1_20scan_config_selectorIsEEZZNS1_9scan_implILNS1_25lookback_scan_determinismE0ELb0ELb0ES3_N6thrust23THRUST_200600_302600_NS6detail15normal_iteratorINS9_10device_ptrIsEEEENS9_16discard_iteratorINS9_11use_defaultEEEsNS9_4plusIvEEsEEDaPvRmT3_T4_T5_mT6_P12ihipStream_tbENKUlT_T0_E_clISt17integral_constantIbLb1EESW_IbLb0EEEEDaSS_ST_EUlSS_E0_NS1_11comp_targetILNS1_3genE0ELNS1_11target_archE4294967295ELNS1_3gpuE0ELNS1_3repE0EEENS1_30default_config_static_selectorELNS0_4arch9wavefront6targetE1EEEvT1_, .Lfunc_end5915-_ZN7rocprim17ROCPRIM_400000_NS6detail17trampoline_kernelINS0_14default_configENS1_20scan_config_selectorIsEEZZNS1_9scan_implILNS1_25lookback_scan_determinismE0ELb0ELb0ES3_N6thrust23THRUST_200600_302600_NS6detail15normal_iteratorINS9_10device_ptrIsEEEENS9_16discard_iteratorINS9_11use_defaultEEEsNS9_4plusIvEEsEEDaPvRmT3_T4_T5_mT6_P12ihipStream_tbENKUlT_T0_E_clISt17integral_constantIbLb1EESW_IbLb0EEEEDaSS_ST_EUlSS_E0_NS1_11comp_targetILNS1_3genE0ELNS1_11target_archE4294967295ELNS1_3gpuE0ELNS1_3repE0EEENS1_30default_config_static_selectorELNS0_4arch9wavefront6targetE1EEEvT1_
                                        ; -- End function
	.section	.AMDGPU.csdata,"",@progbits
; Kernel info:
; codeLenInByte = 0
; NumSgprs: 4
; NumVgprs: 0
; NumAgprs: 0
; TotalNumVgprs: 0
; ScratchSize: 0
; MemoryBound: 0
; FloatMode: 240
; IeeeMode: 1
; LDSByteSize: 0 bytes/workgroup (compile time only)
; SGPRBlocks: 0
; VGPRBlocks: 0
; NumSGPRsForWavesPerEU: 4
; NumVGPRsForWavesPerEU: 1
; AccumOffset: 4
; Occupancy: 8
; WaveLimiterHint : 0
; COMPUTE_PGM_RSRC2:SCRATCH_EN: 0
; COMPUTE_PGM_RSRC2:USER_SGPR: 6
; COMPUTE_PGM_RSRC2:TRAP_HANDLER: 0
; COMPUTE_PGM_RSRC2:TGID_X_EN: 1
; COMPUTE_PGM_RSRC2:TGID_Y_EN: 0
; COMPUTE_PGM_RSRC2:TGID_Z_EN: 0
; COMPUTE_PGM_RSRC2:TIDIG_COMP_CNT: 0
; COMPUTE_PGM_RSRC3_GFX90A:ACCUM_OFFSET: 0
; COMPUTE_PGM_RSRC3_GFX90A:TG_SPLIT: 0
	.section	.text._ZN7rocprim17ROCPRIM_400000_NS6detail17trampoline_kernelINS0_14default_configENS1_20scan_config_selectorIsEEZZNS1_9scan_implILNS1_25lookback_scan_determinismE0ELb0ELb0ES3_N6thrust23THRUST_200600_302600_NS6detail15normal_iteratorINS9_10device_ptrIsEEEENS9_16discard_iteratorINS9_11use_defaultEEEsNS9_4plusIvEEsEEDaPvRmT3_T4_T5_mT6_P12ihipStream_tbENKUlT_T0_E_clISt17integral_constantIbLb1EESW_IbLb0EEEEDaSS_ST_EUlSS_E0_NS1_11comp_targetILNS1_3genE5ELNS1_11target_archE942ELNS1_3gpuE9ELNS1_3repE0EEENS1_30default_config_static_selectorELNS0_4arch9wavefront6targetE1EEEvT1_,"axG",@progbits,_ZN7rocprim17ROCPRIM_400000_NS6detail17trampoline_kernelINS0_14default_configENS1_20scan_config_selectorIsEEZZNS1_9scan_implILNS1_25lookback_scan_determinismE0ELb0ELb0ES3_N6thrust23THRUST_200600_302600_NS6detail15normal_iteratorINS9_10device_ptrIsEEEENS9_16discard_iteratorINS9_11use_defaultEEEsNS9_4plusIvEEsEEDaPvRmT3_T4_T5_mT6_P12ihipStream_tbENKUlT_T0_E_clISt17integral_constantIbLb1EESW_IbLb0EEEEDaSS_ST_EUlSS_E0_NS1_11comp_targetILNS1_3genE5ELNS1_11target_archE942ELNS1_3gpuE9ELNS1_3repE0EEENS1_30default_config_static_selectorELNS0_4arch9wavefront6targetE1EEEvT1_,comdat
	.protected	_ZN7rocprim17ROCPRIM_400000_NS6detail17trampoline_kernelINS0_14default_configENS1_20scan_config_selectorIsEEZZNS1_9scan_implILNS1_25lookback_scan_determinismE0ELb0ELb0ES3_N6thrust23THRUST_200600_302600_NS6detail15normal_iteratorINS9_10device_ptrIsEEEENS9_16discard_iteratorINS9_11use_defaultEEEsNS9_4plusIvEEsEEDaPvRmT3_T4_T5_mT6_P12ihipStream_tbENKUlT_T0_E_clISt17integral_constantIbLb1EESW_IbLb0EEEEDaSS_ST_EUlSS_E0_NS1_11comp_targetILNS1_3genE5ELNS1_11target_archE942ELNS1_3gpuE9ELNS1_3repE0EEENS1_30default_config_static_selectorELNS0_4arch9wavefront6targetE1EEEvT1_ ; -- Begin function _ZN7rocprim17ROCPRIM_400000_NS6detail17trampoline_kernelINS0_14default_configENS1_20scan_config_selectorIsEEZZNS1_9scan_implILNS1_25lookback_scan_determinismE0ELb0ELb0ES3_N6thrust23THRUST_200600_302600_NS6detail15normal_iteratorINS9_10device_ptrIsEEEENS9_16discard_iteratorINS9_11use_defaultEEEsNS9_4plusIvEEsEEDaPvRmT3_T4_T5_mT6_P12ihipStream_tbENKUlT_T0_E_clISt17integral_constantIbLb1EESW_IbLb0EEEEDaSS_ST_EUlSS_E0_NS1_11comp_targetILNS1_3genE5ELNS1_11target_archE942ELNS1_3gpuE9ELNS1_3repE0EEENS1_30default_config_static_selectorELNS0_4arch9wavefront6targetE1EEEvT1_
	.globl	_ZN7rocprim17ROCPRIM_400000_NS6detail17trampoline_kernelINS0_14default_configENS1_20scan_config_selectorIsEEZZNS1_9scan_implILNS1_25lookback_scan_determinismE0ELb0ELb0ES3_N6thrust23THRUST_200600_302600_NS6detail15normal_iteratorINS9_10device_ptrIsEEEENS9_16discard_iteratorINS9_11use_defaultEEEsNS9_4plusIvEEsEEDaPvRmT3_T4_T5_mT6_P12ihipStream_tbENKUlT_T0_E_clISt17integral_constantIbLb1EESW_IbLb0EEEEDaSS_ST_EUlSS_E0_NS1_11comp_targetILNS1_3genE5ELNS1_11target_archE942ELNS1_3gpuE9ELNS1_3repE0EEENS1_30default_config_static_selectorELNS0_4arch9wavefront6targetE1EEEvT1_
	.p2align	8
	.type	_ZN7rocprim17ROCPRIM_400000_NS6detail17trampoline_kernelINS0_14default_configENS1_20scan_config_selectorIsEEZZNS1_9scan_implILNS1_25lookback_scan_determinismE0ELb0ELb0ES3_N6thrust23THRUST_200600_302600_NS6detail15normal_iteratorINS9_10device_ptrIsEEEENS9_16discard_iteratorINS9_11use_defaultEEEsNS9_4plusIvEEsEEDaPvRmT3_T4_T5_mT6_P12ihipStream_tbENKUlT_T0_E_clISt17integral_constantIbLb1EESW_IbLb0EEEEDaSS_ST_EUlSS_E0_NS1_11comp_targetILNS1_3genE5ELNS1_11target_archE942ELNS1_3gpuE9ELNS1_3repE0EEENS1_30default_config_static_selectorELNS0_4arch9wavefront6targetE1EEEvT1_,@function
_ZN7rocprim17ROCPRIM_400000_NS6detail17trampoline_kernelINS0_14default_configENS1_20scan_config_selectorIsEEZZNS1_9scan_implILNS1_25lookback_scan_determinismE0ELb0ELb0ES3_N6thrust23THRUST_200600_302600_NS6detail15normal_iteratorINS9_10device_ptrIsEEEENS9_16discard_iteratorINS9_11use_defaultEEEsNS9_4plusIvEEsEEDaPvRmT3_T4_T5_mT6_P12ihipStream_tbENKUlT_T0_E_clISt17integral_constantIbLb1EESW_IbLb0EEEEDaSS_ST_EUlSS_E0_NS1_11comp_targetILNS1_3genE5ELNS1_11target_archE942ELNS1_3gpuE9ELNS1_3repE0EEENS1_30default_config_static_selectorELNS0_4arch9wavefront6targetE1EEEvT1_: ; @_ZN7rocprim17ROCPRIM_400000_NS6detail17trampoline_kernelINS0_14default_configENS1_20scan_config_selectorIsEEZZNS1_9scan_implILNS1_25lookback_scan_determinismE0ELb0ELb0ES3_N6thrust23THRUST_200600_302600_NS6detail15normal_iteratorINS9_10device_ptrIsEEEENS9_16discard_iteratorINS9_11use_defaultEEEsNS9_4plusIvEEsEEDaPvRmT3_T4_T5_mT6_P12ihipStream_tbENKUlT_T0_E_clISt17integral_constantIbLb1EESW_IbLb0EEEEDaSS_ST_EUlSS_E0_NS1_11comp_targetILNS1_3genE5ELNS1_11target_archE942ELNS1_3gpuE9ELNS1_3repE0EEENS1_30default_config_static_selectorELNS0_4arch9wavefront6targetE1EEEvT1_
; %bb.0:
	.section	.rodata,"a",@progbits
	.p2align	6, 0x0
	.amdhsa_kernel _ZN7rocprim17ROCPRIM_400000_NS6detail17trampoline_kernelINS0_14default_configENS1_20scan_config_selectorIsEEZZNS1_9scan_implILNS1_25lookback_scan_determinismE0ELb0ELb0ES3_N6thrust23THRUST_200600_302600_NS6detail15normal_iteratorINS9_10device_ptrIsEEEENS9_16discard_iteratorINS9_11use_defaultEEEsNS9_4plusIvEEsEEDaPvRmT3_T4_T5_mT6_P12ihipStream_tbENKUlT_T0_E_clISt17integral_constantIbLb1EESW_IbLb0EEEEDaSS_ST_EUlSS_E0_NS1_11comp_targetILNS1_3genE5ELNS1_11target_archE942ELNS1_3gpuE9ELNS1_3repE0EEENS1_30default_config_static_selectorELNS0_4arch9wavefront6targetE1EEEvT1_
		.amdhsa_group_segment_fixed_size 0
		.amdhsa_private_segment_fixed_size 0
		.amdhsa_kernarg_size 40
		.amdhsa_user_sgpr_count 6
		.amdhsa_user_sgpr_private_segment_buffer 1
		.amdhsa_user_sgpr_dispatch_ptr 0
		.amdhsa_user_sgpr_queue_ptr 0
		.amdhsa_user_sgpr_kernarg_segment_ptr 1
		.amdhsa_user_sgpr_dispatch_id 0
		.amdhsa_user_sgpr_flat_scratch_init 0
		.amdhsa_user_sgpr_kernarg_preload_length 0
		.amdhsa_user_sgpr_kernarg_preload_offset 0
		.amdhsa_user_sgpr_private_segment_size 0
		.amdhsa_uses_dynamic_stack 0
		.amdhsa_system_sgpr_private_segment_wavefront_offset 0
		.amdhsa_system_sgpr_workgroup_id_x 1
		.amdhsa_system_sgpr_workgroup_id_y 0
		.amdhsa_system_sgpr_workgroup_id_z 0
		.amdhsa_system_sgpr_workgroup_info 0
		.amdhsa_system_vgpr_workitem_id 0
		.amdhsa_next_free_vgpr 1
		.amdhsa_next_free_sgpr 0
		.amdhsa_accum_offset 4
		.amdhsa_reserve_vcc 0
		.amdhsa_reserve_flat_scratch 0
		.amdhsa_float_round_mode_32 0
		.amdhsa_float_round_mode_16_64 0
		.amdhsa_float_denorm_mode_32 3
		.amdhsa_float_denorm_mode_16_64 3
		.amdhsa_dx10_clamp 1
		.amdhsa_ieee_mode 1
		.amdhsa_fp16_overflow 0
		.amdhsa_tg_split 0
		.amdhsa_exception_fp_ieee_invalid_op 0
		.amdhsa_exception_fp_denorm_src 0
		.amdhsa_exception_fp_ieee_div_zero 0
		.amdhsa_exception_fp_ieee_overflow 0
		.amdhsa_exception_fp_ieee_underflow 0
		.amdhsa_exception_fp_ieee_inexact 0
		.amdhsa_exception_int_div_zero 0
	.end_amdhsa_kernel
	.section	.text._ZN7rocprim17ROCPRIM_400000_NS6detail17trampoline_kernelINS0_14default_configENS1_20scan_config_selectorIsEEZZNS1_9scan_implILNS1_25lookback_scan_determinismE0ELb0ELb0ES3_N6thrust23THRUST_200600_302600_NS6detail15normal_iteratorINS9_10device_ptrIsEEEENS9_16discard_iteratorINS9_11use_defaultEEEsNS9_4plusIvEEsEEDaPvRmT3_T4_T5_mT6_P12ihipStream_tbENKUlT_T0_E_clISt17integral_constantIbLb1EESW_IbLb0EEEEDaSS_ST_EUlSS_E0_NS1_11comp_targetILNS1_3genE5ELNS1_11target_archE942ELNS1_3gpuE9ELNS1_3repE0EEENS1_30default_config_static_selectorELNS0_4arch9wavefront6targetE1EEEvT1_,"axG",@progbits,_ZN7rocprim17ROCPRIM_400000_NS6detail17trampoline_kernelINS0_14default_configENS1_20scan_config_selectorIsEEZZNS1_9scan_implILNS1_25lookback_scan_determinismE0ELb0ELb0ES3_N6thrust23THRUST_200600_302600_NS6detail15normal_iteratorINS9_10device_ptrIsEEEENS9_16discard_iteratorINS9_11use_defaultEEEsNS9_4plusIvEEsEEDaPvRmT3_T4_T5_mT6_P12ihipStream_tbENKUlT_T0_E_clISt17integral_constantIbLb1EESW_IbLb0EEEEDaSS_ST_EUlSS_E0_NS1_11comp_targetILNS1_3genE5ELNS1_11target_archE942ELNS1_3gpuE9ELNS1_3repE0EEENS1_30default_config_static_selectorELNS0_4arch9wavefront6targetE1EEEvT1_,comdat
.Lfunc_end5916:
	.size	_ZN7rocprim17ROCPRIM_400000_NS6detail17trampoline_kernelINS0_14default_configENS1_20scan_config_selectorIsEEZZNS1_9scan_implILNS1_25lookback_scan_determinismE0ELb0ELb0ES3_N6thrust23THRUST_200600_302600_NS6detail15normal_iteratorINS9_10device_ptrIsEEEENS9_16discard_iteratorINS9_11use_defaultEEEsNS9_4plusIvEEsEEDaPvRmT3_T4_T5_mT6_P12ihipStream_tbENKUlT_T0_E_clISt17integral_constantIbLb1EESW_IbLb0EEEEDaSS_ST_EUlSS_E0_NS1_11comp_targetILNS1_3genE5ELNS1_11target_archE942ELNS1_3gpuE9ELNS1_3repE0EEENS1_30default_config_static_selectorELNS0_4arch9wavefront6targetE1EEEvT1_, .Lfunc_end5916-_ZN7rocprim17ROCPRIM_400000_NS6detail17trampoline_kernelINS0_14default_configENS1_20scan_config_selectorIsEEZZNS1_9scan_implILNS1_25lookback_scan_determinismE0ELb0ELb0ES3_N6thrust23THRUST_200600_302600_NS6detail15normal_iteratorINS9_10device_ptrIsEEEENS9_16discard_iteratorINS9_11use_defaultEEEsNS9_4plusIvEEsEEDaPvRmT3_T4_T5_mT6_P12ihipStream_tbENKUlT_T0_E_clISt17integral_constantIbLb1EESW_IbLb0EEEEDaSS_ST_EUlSS_E0_NS1_11comp_targetILNS1_3genE5ELNS1_11target_archE942ELNS1_3gpuE9ELNS1_3repE0EEENS1_30default_config_static_selectorELNS0_4arch9wavefront6targetE1EEEvT1_
                                        ; -- End function
	.section	.AMDGPU.csdata,"",@progbits
; Kernel info:
; codeLenInByte = 0
; NumSgprs: 4
; NumVgprs: 0
; NumAgprs: 0
; TotalNumVgprs: 0
; ScratchSize: 0
; MemoryBound: 0
; FloatMode: 240
; IeeeMode: 1
; LDSByteSize: 0 bytes/workgroup (compile time only)
; SGPRBlocks: 0
; VGPRBlocks: 0
; NumSGPRsForWavesPerEU: 4
; NumVGPRsForWavesPerEU: 1
; AccumOffset: 4
; Occupancy: 8
; WaveLimiterHint : 0
; COMPUTE_PGM_RSRC2:SCRATCH_EN: 0
; COMPUTE_PGM_RSRC2:USER_SGPR: 6
; COMPUTE_PGM_RSRC2:TRAP_HANDLER: 0
; COMPUTE_PGM_RSRC2:TGID_X_EN: 1
; COMPUTE_PGM_RSRC2:TGID_Y_EN: 0
; COMPUTE_PGM_RSRC2:TGID_Z_EN: 0
; COMPUTE_PGM_RSRC2:TIDIG_COMP_CNT: 0
; COMPUTE_PGM_RSRC3_GFX90A:ACCUM_OFFSET: 0
; COMPUTE_PGM_RSRC3_GFX90A:TG_SPLIT: 0
	.section	.text._ZN7rocprim17ROCPRIM_400000_NS6detail17trampoline_kernelINS0_14default_configENS1_20scan_config_selectorIsEEZZNS1_9scan_implILNS1_25lookback_scan_determinismE0ELb0ELb0ES3_N6thrust23THRUST_200600_302600_NS6detail15normal_iteratorINS9_10device_ptrIsEEEENS9_16discard_iteratorINS9_11use_defaultEEEsNS9_4plusIvEEsEEDaPvRmT3_T4_T5_mT6_P12ihipStream_tbENKUlT_T0_E_clISt17integral_constantIbLb1EESW_IbLb0EEEEDaSS_ST_EUlSS_E0_NS1_11comp_targetILNS1_3genE4ELNS1_11target_archE910ELNS1_3gpuE8ELNS1_3repE0EEENS1_30default_config_static_selectorELNS0_4arch9wavefront6targetE1EEEvT1_,"axG",@progbits,_ZN7rocprim17ROCPRIM_400000_NS6detail17trampoline_kernelINS0_14default_configENS1_20scan_config_selectorIsEEZZNS1_9scan_implILNS1_25lookback_scan_determinismE0ELb0ELb0ES3_N6thrust23THRUST_200600_302600_NS6detail15normal_iteratorINS9_10device_ptrIsEEEENS9_16discard_iteratorINS9_11use_defaultEEEsNS9_4plusIvEEsEEDaPvRmT3_T4_T5_mT6_P12ihipStream_tbENKUlT_T0_E_clISt17integral_constantIbLb1EESW_IbLb0EEEEDaSS_ST_EUlSS_E0_NS1_11comp_targetILNS1_3genE4ELNS1_11target_archE910ELNS1_3gpuE8ELNS1_3repE0EEENS1_30default_config_static_selectorELNS0_4arch9wavefront6targetE1EEEvT1_,comdat
	.protected	_ZN7rocprim17ROCPRIM_400000_NS6detail17trampoline_kernelINS0_14default_configENS1_20scan_config_selectorIsEEZZNS1_9scan_implILNS1_25lookback_scan_determinismE0ELb0ELb0ES3_N6thrust23THRUST_200600_302600_NS6detail15normal_iteratorINS9_10device_ptrIsEEEENS9_16discard_iteratorINS9_11use_defaultEEEsNS9_4plusIvEEsEEDaPvRmT3_T4_T5_mT6_P12ihipStream_tbENKUlT_T0_E_clISt17integral_constantIbLb1EESW_IbLb0EEEEDaSS_ST_EUlSS_E0_NS1_11comp_targetILNS1_3genE4ELNS1_11target_archE910ELNS1_3gpuE8ELNS1_3repE0EEENS1_30default_config_static_selectorELNS0_4arch9wavefront6targetE1EEEvT1_ ; -- Begin function _ZN7rocprim17ROCPRIM_400000_NS6detail17trampoline_kernelINS0_14default_configENS1_20scan_config_selectorIsEEZZNS1_9scan_implILNS1_25lookback_scan_determinismE0ELb0ELb0ES3_N6thrust23THRUST_200600_302600_NS6detail15normal_iteratorINS9_10device_ptrIsEEEENS9_16discard_iteratorINS9_11use_defaultEEEsNS9_4plusIvEEsEEDaPvRmT3_T4_T5_mT6_P12ihipStream_tbENKUlT_T0_E_clISt17integral_constantIbLb1EESW_IbLb0EEEEDaSS_ST_EUlSS_E0_NS1_11comp_targetILNS1_3genE4ELNS1_11target_archE910ELNS1_3gpuE8ELNS1_3repE0EEENS1_30default_config_static_selectorELNS0_4arch9wavefront6targetE1EEEvT1_
	.globl	_ZN7rocprim17ROCPRIM_400000_NS6detail17trampoline_kernelINS0_14default_configENS1_20scan_config_selectorIsEEZZNS1_9scan_implILNS1_25lookback_scan_determinismE0ELb0ELb0ES3_N6thrust23THRUST_200600_302600_NS6detail15normal_iteratorINS9_10device_ptrIsEEEENS9_16discard_iteratorINS9_11use_defaultEEEsNS9_4plusIvEEsEEDaPvRmT3_T4_T5_mT6_P12ihipStream_tbENKUlT_T0_E_clISt17integral_constantIbLb1EESW_IbLb0EEEEDaSS_ST_EUlSS_E0_NS1_11comp_targetILNS1_3genE4ELNS1_11target_archE910ELNS1_3gpuE8ELNS1_3repE0EEENS1_30default_config_static_selectorELNS0_4arch9wavefront6targetE1EEEvT1_
	.p2align	8
	.type	_ZN7rocprim17ROCPRIM_400000_NS6detail17trampoline_kernelINS0_14default_configENS1_20scan_config_selectorIsEEZZNS1_9scan_implILNS1_25lookback_scan_determinismE0ELb0ELb0ES3_N6thrust23THRUST_200600_302600_NS6detail15normal_iteratorINS9_10device_ptrIsEEEENS9_16discard_iteratorINS9_11use_defaultEEEsNS9_4plusIvEEsEEDaPvRmT3_T4_T5_mT6_P12ihipStream_tbENKUlT_T0_E_clISt17integral_constantIbLb1EESW_IbLb0EEEEDaSS_ST_EUlSS_E0_NS1_11comp_targetILNS1_3genE4ELNS1_11target_archE910ELNS1_3gpuE8ELNS1_3repE0EEENS1_30default_config_static_selectorELNS0_4arch9wavefront6targetE1EEEvT1_,@function
_ZN7rocprim17ROCPRIM_400000_NS6detail17trampoline_kernelINS0_14default_configENS1_20scan_config_selectorIsEEZZNS1_9scan_implILNS1_25lookback_scan_determinismE0ELb0ELb0ES3_N6thrust23THRUST_200600_302600_NS6detail15normal_iteratorINS9_10device_ptrIsEEEENS9_16discard_iteratorINS9_11use_defaultEEEsNS9_4plusIvEEsEEDaPvRmT3_T4_T5_mT6_P12ihipStream_tbENKUlT_T0_E_clISt17integral_constantIbLb1EESW_IbLb0EEEEDaSS_ST_EUlSS_E0_NS1_11comp_targetILNS1_3genE4ELNS1_11target_archE910ELNS1_3gpuE8ELNS1_3repE0EEENS1_30default_config_static_selectorELNS0_4arch9wavefront6targetE1EEEvT1_: ; @_ZN7rocprim17ROCPRIM_400000_NS6detail17trampoline_kernelINS0_14default_configENS1_20scan_config_selectorIsEEZZNS1_9scan_implILNS1_25lookback_scan_determinismE0ELb0ELb0ES3_N6thrust23THRUST_200600_302600_NS6detail15normal_iteratorINS9_10device_ptrIsEEEENS9_16discard_iteratorINS9_11use_defaultEEEsNS9_4plusIvEEsEEDaPvRmT3_T4_T5_mT6_P12ihipStream_tbENKUlT_T0_E_clISt17integral_constantIbLb1EESW_IbLb0EEEEDaSS_ST_EUlSS_E0_NS1_11comp_targetILNS1_3genE4ELNS1_11target_archE910ELNS1_3gpuE8ELNS1_3repE0EEENS1_30default_config_static_selectorELNS0_4arch9wavefront6targetE1EEEvT1_
; %bb.0:
	s_load_dwordx4 s[0:3], s[4:5], 0x0
	v_mov_b32_e32 v1, 0
	s_waitcnt lgkmcnt(0)
	global_load_ushort v2, v1, s[0:1]
	v_cmp_gt_u32_e32 vcc, s2, v0
	v_lshlrev_b32_e32 v1, 1, v0
	s_waitcnt vmcnt(0)
	v_mov_b32_e32 v3, v2
	s_and_saveexec_b64 s[4:5], vcc
	s_cbranch_execz .LBB5917_2
; %bb.1:
	global_load_ushort v3, v1, s[0:1]
.LBB5917_2:
	s_or_b64 exec, exec, s[4:5]
	v_or_b32_e32 v4, 64, v0
	v_cmp_gt_u32_e32 vcc, s2, v4
	v_mov_b32_e32 v4, v2
	s_and_saveexec_b64 s[4:5], vcc
	s_cbranch_execz .LBB5917_4
; %bb.3:
	global_load_ushort v4, v1, s[0:1] offset:128
.LBB5917_4:
	s_or_b64 exec, exec, s[4:5]
	v_or_b32_e32 v5, 0x80, v0
	v_cmp_gt_u32_e32 vcc, s2, v5
	v_mov_b32_e32 v5, v2
	s_and_saveexec_b64 s[4:5], vcc
	s_cbranch_execz .LBB5917_6
; %bb.5:
	global_load_ushort v5, v1, s[0:1] offset:256
.LBB5917_6:
	;; [unrolled: 9-line block ×22, first 2 shown]
	s_or_b64 exec, exec, s[4:5]
	v_or_b32_e32 v26, 0x5c0, v0
	v_cmp_gt_u32_e32 vcc, s2, v26
	s_and_saveexec_b64 s[2:3], vcc
	s_cbranch_execz .LBB5917_48
; %bb.47:
	global_load_ushort v2, v1, s[0:1] offset:2944
.LBB5917_48:
	s_or_b64 exec, exec, s[2:3]
	s_waitcnt vmcnt(0)
	ds_write_b16 v1, v3
	ds_write_b16 v1, v4 offset:128
	ds_write_b16 v1, v5 offset:256
	ds_write_b16 v1, v6 offset:384
	ds_write_b16 v1, v7 offset:512
	ds_write_b16 v1, v8 offset:640
	ds_write_b16 v1, v9 offset:768
	ds_write_b16 v1, v10 offset:896
	ds_write_b16 v1, v11 offset:1024
	ds_write_b16 v1, v12 offset:1152
	ds_write_b16 v1, v13 offset:1280
	ds_write_b16 v1, v14 offset:1408
	ds_write_b16 v1, v15 offset:1536
	ds_write_b16 v1, v16 offset:1664
	ds_write_b16 v1, v17 offset:1792
	ds_write_b16 v1, v18 offset:1920
	ds_write_b16 v1, v19 offset:2048
	ds_write_b16 v1, v20 offset:2176
	ds_write_b16 v1, v21 offset:2304
	ds_write_b16 v1, v22 offset:2432
	ds_write_b16 v1, v23 offset:2560
	ds_write_b16 v1, v24 offset:2688
	ds_write_b16 v1, v25 offset:2816
	ds_write_b16 v1, v2 offset:2944
	v_mad_u32_u24 v6, v0, 46, v1
	s_waitcnt lgkmcnt(0)
	; wave barrier
	s_waitcnt lgkmcnt(0)
	ds_read_b128 v[2:5], v6
	ds_read_b128 v[10:13], v6 offset:16
	ds_read_b128 v[6:9], v6 offset:32
	v_mbcnt_lo_u32_b32 v37, -1, 0
	v_mbcnt_hi_u32_b32 v37, -1, v37
	s_waitcnt lgkmcnt(2)
	v_add_u16_sdwa v14, v2, v2 dst_sel:DWORD dst_unused:UNUSED_PAD src0_sel:WORD_1 src1_sel:DWORD
	v_add_u16_e32 v15, v14, v3
	v_add_u16_sdwa v17, v15, v3 dst_sel:DWORD dst_unused:UNUSED_PAD src0_sel:DWORD src1_sel:WORD_1
	v_add_u16_e32 v19, v17, v4
	v_add_u16_sdwa v21, v19, v4 dst_sel:DWORD dst_unused:UNUSED_PAD src0_sel:DWORD src1_sel:WORD_1
	;; [unrolled: 2-line block ×3, first 2 shown]
	s_waitcnt lgkmcnt(1)
	v_add_u16_e32 v16, v27, v10
	v_add_u16_sdwa v18, v16, v10 dst_sel:DWORD dst_unused:UNUSED_PAD src0_sel:DWORD src1_sel:WORD_1
	v_add_u16_e32 v20, v18, v11
	v_add_u16_sdwa v23, v20, v11 dst_sel:DWORD dst_unused:UNUSED_PAD src0_sel:DWORD src1_sel:WORD_1
	;; [unrolled: 2-line block ×4, first 2 shown]
	s_waitcnt lgkmcnt(0)
	v_add_u16_e32 v22, v33, v6
	v_add_u16_sdwa v25, v22, v6 dst_sel:DWORD dst_unused:UNUSED_PAD src0_sel:DWORD src1_sel:WORD_1
	v_add_u16_e32 v28, v25, v7
	v_add_u16_sdwa v30, v28, v7 dst_sel:DWORD dst_unused:UNUSED_PAD src0_sel:DWORD src1_sel:WORD_1
	;; [unrolled: 2-line block ×4, first 2 shown]
	v_and_b32_e32 v38, 15, v37
	v_cmp_ne_u32_e32 vcc, 0, v38
	v_mov_b32_dpp v39, v36 row_shr:1 row_mask:0xf bank_mask:0xf
	v_cndmask_b32_e32 v39, 0, v39, vcc
	v_add_u16_e32 v39, v39, v36
	v_cmp_lt_u32_e32 vcc, 1, v38
	s_nop 0
	v_mov_b32_dpp v40, v39 row_shr:2 row_mask:0xf bank_mask:0xf
	v_cndmask_b32_e32 v40, 0, v40, vcc
	v_add_u16_e32 v39, v39, v40
	v_cmp_lt_u32_e32 vcc, 3, v38
	; wave barrier
	s_nop 0
	v_mov_b32_dpp v40, v39 row_shr:4 row_mask:0xf bank_mask:0xf
	v_cndmask_b32_e32 v40, 0, v40, vcc
	v_add_u16_e32 v39, v39, v40
	v_cmp_lt_u32_e32 vcc, 7, v38
	s_nop 0
	v_mov_b32_dpp v40, v39 row_shr:8 row_mask:0xf bank_mask:0xf
	v_cndmask_b32_e32 v38, 0, v40, vcc
	v_add_u16_e32 v38, v39, v38
	v_and_b32_e32 v40, 16, v37
	v_cmp_ne_u32_e32 vcc, 0, v40
	v_mov_b32_dpp v39, v38 row_bcast:15 row_mask:0xf bank_mask:0xf
	v_cndmask_b32_e32 v39, 0, v39, vcc
	v_add_u16_e32 v38, v38, v39
	v_cmp_lt_u32_e32 vcc, 31, v37
	s_nop 0
	v_mov_b32_dpp v39, v38 row_bcast:31 row_mask:0xf bank_mask:0xf
	v_cndmask_b32_e32 v39, 0, v39, vcc
	v_add_u16_e32 v38, v38, v39
	v_cmp_eq_u32_e32 vcc, 63, v0
	s_and_saveexec_b64 s[0:1], vcc
	s_cbranch_execz .LBB5917_50
; %bb.49:
	v_mov_b32_e32 v39, 0
	ds_write_b16 v39, v38
.LBB5917_50:
	s_or_b64 exec, exec, s[0:1]
	v_add_u32_e32 v39, -1, v37
	v_and_b32_e32 v40, 64, v37
	v_cmp_lt_i32_e32 vcc, v39, v40
	v_cndmask_b32_e32 v37, v39, v37, vcc
	v_lshlrev_b32_e32 v37, 2, v37
	ds_bpermute_b32 v38, v37, v38
	v_mul_u32_u24_e32 v37, 46, v0
	v_cmp_ne_u32_e32 vcc, 0, v0
	s_waitcnt lgkmcnt(0)
	; wave barrier
	s_waitcnt lgkmcnt(0)
	s_and_saveexec_b64 s[0:1], vcc
	s_cbranch_execz .LBB5917_52
; %bb.51:
	v_add_u16_e32 v0, v2, v38
	v_add_u16_sdwa v14, v0, v2 dst_sel:DWORD dst_unused:UNUSED_PAD src0_sel:DWORD src1_sel:WORD_1
	v_add_u16_e32 v15, v14, v3
	v_add_u16_sdwa v17, v15, v3 dst_sel:DWORD dst_unused:UNUSED_PAD src0_sel:DWORD src1_sel:WORD_1
	;; [unrolled: 2-line block ×12, first 2 shown]
	v_mov_b32_e32 v2, v0
	;;#ASMSTART
	;;#ASMEND
.LBB5917_52:
	s_or_b64 exec, exec, s[0:1]
	s_mov_b32 s0, 0x5040100
	v_add_u32_e32 v6, v1, v37
	v_perm_b32 v5, v27, v24, s0
	v_perm_b32 v4, v21, v19, s0
	;; [unrolled: 1-line block ×4, first 2 shown]
	s_waitcnt lgkmcnt(0)
	; wave barrier
	ds_write_b128 v6, v[2:5]
	v_perm_b32 v3, v33, v31, s0
	v_perm_b32 v2, v29, v26, s0
	;; [unrolled: 1-line block ×4, first 2 shown]
	ds_write_b128 v6, v[0:3] offset:16
	v_perm_b32 v3, v36, v35, s0
	v_perm_b32 v2, v34, v32, s0
	;; [unrolled: 1-line block ×4, first 2 shown]
	ds_write_b128 v6, v[0:3] offset:32
	s_waitcnt lgkmcnt(0)
	; wave barrier
	s_waitcnt lgkmcnt(0)
	s_endpgm
	.section	.rodata,"a",@progbits
	.p2align	6, 0x0
	.amdhsa_kernel _ZN7rocprim17ROCPRIM_400000_NS6detail17trampoline_kernelINS0_14default_configENS1_20scan_config_selectorIsEEZZNS1_9scan_implILNS1_25lookback_scan_determinismE0ELb0ELb0ES3_N6thrust23THRUST_200600_302600_NS6detail15normal_iteratorINS9_10device_ptrIsEEEENS9_16discard_iteratorINS9_11use_defaultEEEsNS9_4plusIvEEsEEDaPvRmT3_T4_T5_mT6_P12ihipStream_tbENKUlT_T0_E_clISt17integral_constantIbLb1EESW_IbLb0EEEEDaSS_ST_EUlSS_E0_NS1_11comp_targetILNS1_3genE4ELNS1_11target_archE910ELNS1_3gpuE8ELNS1_3repE0EEENS1_30default_config_static_selectorELNS0_4arch9wavefront6targetE1EEEvT1_
		.amdhsa_group_segment_fixed_size 3072
		.amdhsa_private_segment_fixed_size 0
		.amdhsa_kernarg_size 40
		.amdhsa_user_sgpr_count 6
		.amdhsa_user_sgpr_private_segment_buffer 1
		.amdhsa_user_sgpr_dispatch_ptr 0
		.amdhsa_user_sgpr_queue_ptr 0
		.amdhsa_user_sgpr_kernarg_segment_ptr 1
		.amdhsa_user_sgpr_dispatch_id 0
		.amdhsa_user_sgpr_flat_scratch_init 0
		.amdhsa_user_sgpr_kernarg_preload_length 0
		.amdhsa_user_sgpr_kernarg_preload_offset 0
		.amdhsa_user_sgpr_private_segment_size 0
		.amdhsa_uses_dynamic_stack 0
		.amdhsa_system_sgpr_private_segment_wavefront_offset 0
		.amdhsa_system_sgpr_workgroup_id_x 1
		.amdhsa_system_sgpr_workgroup_id_y 0
		.amdhsa_system_sgpr_workgroup_id_z 0
		.amdhsa_system_sgpr_workgroup_info 0
		.amdhsa_system_vgpr_workitem_id 0
		.amdhsa_next_free_vgpr 41
		.amdhsa_next_free_sgpr 6
		.amdhsa_accum_offset 44
		.amdhsa_reserve_vcc 1
		.amdhsa_reserve_flat_scratch 0
		.amdhsa_float_round_mode_32 0
		.amdhsa_float_round_mode_16_64 0
		.amdhsa_float_denorm_mode_32 3
		.amdhsa_float_denorm_mode_16_64 3
		.amdhsa_dx10_clamp 1
		.amdhsa_ieee_mode 1
		.amdhsa_fp16_overflow 0
		.amdhsa_tg_split 0
		.amdhsa_exception_fp_ieee_invalid_op 0
		.amdhsa_exception_fp_denorm_src 0
		.amdhsa_exception_fp_ieee_div_zero 0
		.amdhsa_exception_fp_ieee_overflow 0
		.amdhsa_exception_fp_ieee_underflow 0
		.amdhsa_exception_fp_ieee_inexact 0
		.amdhsa_exception_int_div_zero 0
	.end_amdhsa_kernel
	.section	.text._ZN7rocprim17ROCPRIM_400000_NS6detail17trampoline_kernelINS0_14default_configENS1_20scan_config_selectorIsEEZZNS1_9scan_implILNS1_25lookback_scan_determinismE0ELb0ELb0ES3_N6thrust23THRUST_200600_302600_NS6detail15normal_iteratorINS9_10device_ptrIsEEEENS9_16discard_iteratorINS9_11use_defaultEEEsNS9_4plusIvEEsEEDaPvRmT3_T4_T5_mT6_P12ihipStream_tbENKUlT_T0_E_clISt17integral_constantIbLb1EESW_IbLb0EEEEDaSS_ST_EUlSS_E0_NS1_11comp_targetILNS1_3genE4ELNS1_11target_archE910ELNS1_3gpuE8ELNS1_3repE0EEENS1_30default_config_static_selectorELNS0_4arch9wavefront6targetE1EEEvT1_,"axG",@progbits,_ZN7rocprim17ROCPRIM_400000_NS6detail17trampoline_kernelINS0_14default_configENS1_20scan_config_selectorIsEEZZNS1_9scan_implILNS1_25lookback_scan_determinismE0ELb0ELb0ES3_N6thrust23THRUST_200600_302600_NS6detail15normal_iteratorINS9_10device_ptrIsEEEENS9_16discard_iteratorINS9_11use_defaultEEEsNS9_4plusIvEEsEEDaPvRmT3_T4_T5_mT6_P12ihipStream_tbENKUlT_T0_E_clISt17integral_constantIbLb1EESW_IbLb0EEEEDaSS_ST_EUlSS_E0_NS1_11comp_targetILNS1_3genE4ELNS1_11target_archE910ELNS1_3gpuE8ELNS1_3repE0EEENS1_30default_config_static_selectorELNS0_4arch9wavefront6targetE1EEEvT1_,comdat
.Lfunc_end5917:
	.size	_ZN7rocprim17ROCPRIM_400000_NS6detail17trampoline_kernelINS0_14default_configENS1_20scan_config_selectorIsEEZZNS1_9scan_implILNS1_25lookback_scan_determinismE0ELb0ELb0ES3_N6thrust23THRUST_200600_302600_NS6detail15normal_iteratorINS9_10device_ptrIsEEEENS9_16discard_iteratorINS9_11use_defaultEEEsNS9_4plusIvEEsEEDaPvRmT3_T4_T5_mT6_P12ihipStream_tbENKUlT_T0_E_clISt17integral_constantIbLb1EESW_IbLb0EEEEDaSS_ST_EUlSS_E0_NS1_11comp_targetILNS1_3genE4ELNS1_11target_archE910ELNS1_3gpuE8ELNS1_3repE0EEENS1_30default_config_static_selectorELNS0_4arch9wavefront6targetE1EEEvT1_, .Lfunc_end5917-_ZN7rocprim17ROCPRIM_400000_NS6detail17trampoline_kernelINS0_14default_configENS1_20scan_config_selectorIsEEZZNS1_9scan_implILNS1_25lookback_scan_determinismE0ELb0ELb0ES3_N6thrust23THRUST_200600_302600_NS6detail15normal_iteratorINS9_10device_ptrIsEEEENS9_16discard_iteratorINS9_11use_defaultEEEsNS9_4plusIvEEsEEDaPvRmT3_T4_T5_mT6_P12ihipStream_tbENKUlT_T0_E_clISt17integral_constantIbLb1EESW_IbLb0EEEEDaSS_ST_EUlSS_E0_NS1_11comp_targetILNS1_3genE4ELNS1_11target_archE910ELNS1_3gpuE8ELNS1_3repE0EEENS1_30default_config_static_selectorELNS0_4arch9wavefront6targetE1EEEvT1_
                                        ; -- End function
	.section	.AMDGPU.csdata,"",@progbits
; Kernel info:
; codeLenInByte = 1808
; NumSgprs: 10
; NumVgprs: 41
; NumAgprs: 0
; TotalNumVgprs: 41
; ScratchSize: 0
; MemoryBound: 0
; FloatMode: 240
; IeeeMode: 1
; LDSByteSize: 3072 bytes/workgroup (compile time only)
; SGPRBlocks: 1
; VGPRBlocks: 5
; NumSGPRsForWavesPerEU: 10
; NumVGPRsForWavesPerEU: 41
; AccumOffset: 44
; Occupancy: 6
; WaveLimiterHint : 0
; COMPUTE_PGM_RSRC2:SCRATCH_EN: 0
; COMPUTE_PGM_RSRC2:USER_SGPR: 6
; COMPUTE_PGM_RSRC2:TRAP_HANDLER: 0
; COMPUTE_PGM_RSRC2:TGID_X_EN: 1
; COMPUTE_PGM_RSRC2:TGID_Y_EN: 0
; COMPUTE_PGM_RSRC2:TGID_Z_EN: 0
; COMPUTE_PGM_RSRC2:TIDIG_COMP_CNT: 0
; COMPUTE_PGM_RSRC3_GFX90A:ACCUM_OFFSET: 10
; COMPUTE_PGM_RSRC3_GFX90A:TG_SPLIT: 0
	.section	.text._ZN7rocprim17ROCPRIM_400000_NS6detail17trampoline_kernelINS0_14default_configENS1_20scan_config_selectorIsEEZZNS1_9scan_implILNS1_25lookback_scan_determinismE0ELb0ELb0ES3_N6thrust23THRUST_200600_302600_NS6detail15normal_iteratorINS9_10device_ptrIsEEEENS9_16discard_iteratorINS9_11use_defaultEEEsNS9_4plusIvEEsEEDaPvRmT3_T4_T5_mT6_P12ihipStream_tbENKUlT_T0_E_clISt17integral_constantIbLb1EESW_IbLb0EEEEDaSS_ST_EUlSS_E0_NS1_11comp_targetILNS1_3genE3ELNS1_11target_archE908ELNS1_3gpuE7ELNS1_3repE0EEENS1_30default_config_static_selectorELNS0_4arch9wavefront6targetE1EEEvT1_,"axG",@progbits,_ZN7rocprim17ROCPRIM_400000_NS6detail17trampoline_kernelINS0_14default_configENS1_20scan_config_selectorIsEEZZNS1_9scan_implILNS1_25lookback_scan_determinismE0ELb0ELb0ES3_N6thrust23THRUST_200600_302600_NS6detail15normal_iteratorINS9_10device_ptrIsEEEENS9_16discard_iteratorINS9_11use_defaultEEEsNS9_4plusIvEEsEEDaPvRmT3_T4_T5_mT6_P12ihipStream_tbENKUlT_T0_E_clISt17integral_constantIbLb1EESW_IbLb0EEEEDaSS_ST_EUlSS_E0_NS1_11comp_targetILNS1_3genE3ELNS1_11target_archE908ELNS1_3gpuE7ELNS1_3repE0EEENS1_30default_config_static_selectorELNS0_4arch9wavefront6targetE1EEEvT1_,comdat
	.protected	_ZN7rocprim17ROCPRIM_400000_NS6detail17trampoline_kernelINS0_14default_configENS1_20scan_config_selectorIsEEZZNS1_9scan_implILNS1_25lookback_scan_determinismE0ELb0ELb0ES3_N6thrust23THRUST_200600_302600_NS6detail15normal_iteratorINS9_10device_ptrIsEEEENS9_16discard_iteratorINS9_11use_defaultEEEsNS9_4plusIvEEsEEDaPvRmT3_T4_T5_mT6_P12ihipStream_tbENKUlT_T0_E_clISt17integral_constantIbLb1EESW_IbLb0EEEEDaSS_ST_EUlSS_E0_NS1_11comp_targetILNS1_3genE3ELNS1_11target_archE908ELNS1_3gpuE7ELNS1_3repE0EEENS1_30default_config_static_selectorELNS0_4arch9wavefront6targetE1EEEvT1_ ; -- Begin function _ZN7rocprim17ROCPRIM_400000_NS6detail17trampoline_kernelINS0_14default_configENS1_20scan_config_selectorIsEEZZNS1_9scan_implILNS1_25lookback_scan_determinismE0ELb0ELb0ES3_N6thrust23THRUST_200600_302600_NS6detail15normal_iteratorINS9_10device_ptrIsEEEENS9_16discard_iteratorINS9_11use_defaultEEEsNS9_4plusIvEEsEEDaPvRmT3_T4_T5_mT6_P12ihipStream_tbENKUlT_T0_E_clISt17integral_constantIbLb1EESW_IbLb0EEEEDaSS_ST_EUlSS_E0_NS1_11comp_targetILNS1_3genE3ELNS1_11target_archE908ELNS1_3gpuE7ELNS1_3repE0EEENS1_30default_config_static_selectorELNS0_4arch9wavefront6targetE1EEEvT1_
	.globl	_ZN7rocprim17ROCPRIM_400000_NS6detail17trampoline_kernelINS0_14default_configENS1_20scan_config_selectorIsEEZZNS1_9scan_implILNS1_25lookback_scan_determinismE0ELb0ELb0ES3_N6thrust23THRUST_200600_302600_NS6detail15normal_iteratorINS9_10device_ptrIsEEEENS9_16discard_iteratorINS9_11use_defaultEEEsNS9_4plusIvEEsEEDaPvRmT3_T4_T5_mT6_P12ihipStream_tbENKUlT_T0_E_clISt17integral_constantIbLb1EESW_IbLb0EEEEDaSS_ST_EUlSS_E0_NS1_11comp_targetILNS1_3genE3ELNS1_11target_archE908ELNS1_3gpuE7ELNS1_3repE0EEENS1_30default_config_static_selectorELNS0_4arch9wavefront6targetE1EEEvT1_
	.p2align	8
	.type	_ZN7rocprim17ROCPRIM_400000_NS6detail17trampoline_kernelINS0_14default_configENS1_20scan_config_selectorIsEEZZNS1_9scan_implILNS1_25lookback_scan_determinismE0ELb0ELb0ES3_N6thrust23THRUST_200600_302600_NS6detail15normal_iteratorINS9_10device_ptrIsEEEENS9_16discard_iteratorINS9_11use_defaultEEEsNS9_4plusIvEEsEEDaPvRmT3_T4_T5_mT6_P12ihipStream_tbENKUlT_T0_E_clISt17integral_constantIbLb1EESW_IbLb0EEEEDaSS_ST_EUlSS_E0_NS1_11comp_targetILNS1_3genE3ELNS1_11target_archE908ELNS1_3gpuE7ELNS1_3repE0EEENS1_30default_config_static_selectorELNS0_4arch9wavefront6targetE1EEEvT1_,@function
_ZN7rocprim17ROCPRIM_400000_NS6detail17trampoline_kernelINS0_14default_configENS1_20scan_config_selectorIsEEZZNS1_9scan_implILNS1_25lookback_scan_determinismE0ELb0ELb0ES3_N6thrust23THRUST_200600_302600_NS6detail15normal_iteratorINS9_10device_ptrIsEEEENS9_16discard_iteratorINS9_11use_defaultEEEsNS9_4plusIvEEsEEDaPvRmT3_T4_T5_mT6_P12ihipStream_tbENKUlT_T0_E_clISt17integral_constantIbLb1EESW_IbLb0EEEEDaSS_ST_EUlSS_E0_NS1_11comp_targetILNS1_3genE3ELNS1_11target_archE908ELNS1_3gpuE7ELNS1_3repE0EEENS1_30default_config_static_selectorELNS0_4arch9wavefront6targetE1EEEvT1_: ; @_ZN7rocprim17ROCPRIM_400000_NS6detail17trampoline_kernelINS0_14default_configENS1_20scan_config_selectorIsEEZZNS1_9scan_implILNS1_25lookback_scan_determinismE0ELb0ELb0ES3_N6thrust23THRUST_200600_302600_NS6detail15normal_iteratorINS9_10device_ptrIsEEEENS9_16discard_iteratorINS9_11use_defaultEEEsNS9_4plusIvEEsEEDaPvRmT3_T4_T5_mT6_P12ihipStream_tbENKUlT_T0_E_clISt17integral_constantIbLb1EESW_IbLb0EEEEDaSS_ST_EUlSS_E0_NS1_11comp_targetILNS1_3genE3ELNS1_11target_archE908ELNS1_3gpuE7ELNS1_3repE0EEENS1_30default_config_static_selectorELNS0_4arch9wavefront6targetE1EEEvT1_
; %bb.0:
	.section	.rodata,"a",@progbits
	.p2align	6, 0x0
	.amdhsa_kernel _ZN7rocprim17ROCPRIM_400000_NS6detail17trampoline_kernelINS0_14default_configENS1_20scan_config_selectorIsEEZZNS1_9scan_implILNS1_25lookback_scan_determinismE0ELb0ELb0ES3_N6thrust23THRUST_200600_302600_NS6detail15normal_iteratorINS9_10device_ptrIsEEEENS9_16discard_iteratorINS9_11use_defaultEEEsNS9_4plusIvEEsEEDaPvRmT3_T4_T5_mT6_P12ihipStream_tbENKUlT_T0_E_clISt17integral_constantIbLb1EESW_IbLb0EEEEDaSS_ST_EUlSS_E0_NS1_11comp_targetILNS1_3genE3ELNS1_11target_archE908ELNS1_3gpuE7ELNS1_3repE0EEENS1_30default_config_static_selectorELNS0_4arch9wavefront6targetE1EEEvT1_
		.amdhsa_group_segment_fixed_size 0
		.amdhsa_private_segment_fixed_size 0
		.amdhsa_kernarg_size 40
		.amdhsa_user_sgpr_count 6
		.amdhsa_user_sgpr_private_segment_buffer 1
		.amdhsa_user_sgpr_dispatch_ptr 0
		.amdhsa_user_sgpr_queue_ptr 0
		.amdhsa_user_sgpr_kernarg_segment_ptr 1
		.amdhsa_user_sgpr_dispatch_id 0
		.amdhsa_user_sgpr_flat_scratch_init 0
		.amdhsa_user_sgpr_kernarg_preload_length 0
		.amdhsa_user_sgpr_kernarg_preload_offset 0
		.amdhsa_user_sgpr_private_segment_size 0
		.amdhsa_uses_dynamic_stack 0
		.amdhsa_system_sgpr_private_segment_wavefront_offset 0
		.amdhsa_system_sgpr_workgroup_id_x 1
		.amdhsa_system_sgpr_workgroup_id_y 0
		.amdhsa_system_sgpr_workgroup_id_z 0
		.amdhsa_system_sgpr_workgroup_info 0
		.amdhsa_system_vgpr_workitem_id 0
		.amdhsa_next_free_vgpr 1
		.amdhsa_next_free_sgpr 0
		.amdhsa_accum_offset 4
		.amdhsa_reserve_vcc 0
		.amdhsa_reserve_flat_scratch 0
		.amdhsa_float_round_mode_32 0
		.amdhsa_float_round_mode_16_64 0
		.amdhsa_float_denorm_mode_32 3
		.amdhsa_float_denorm_mode_16_64 3
		.amdhsa_dx10_clamp 1
		.amdhsa_ieee_mode 1
		.amdhsa_fp16_overflow 0
		.amdhsa_tg_split 0
		.amdhsa_exception_fp_ieee_invalid_op 0
		.amdhsa_exception_fp_denorm_src 0
		.amdhsa_exception_fp_ieee_div_zero 0
		.amdhsa_exception_fp_ieee_overflow 0
		.amdhsa_exception_fp_ieee_underflow 0
		.amdhsa_exception_fp_ieee_inexact 0
		.amdhsa_exception_int_div_zero 0
	.end_amdhsa_kernel
	.section	.text._ZN7rocprim17ROCPRIM_400000_NS6detail17trampoline_kernelINS0_14default_configENS1_20scan_config_selectorIsEEZZNS1_9scan_implILNS1_25lookback_scan_determinismE0ELb0ELb0ES3_N6thrust23THRUST_200600_302600_NS6detail15normal_iteratorINS9_10device_ptrIsEEEENS9_16discard_iteratorINS9_11use_defaultEEEsNS9_4plusIvEEsEEDaPvRmT3_T4_T5_mT6_P12ihipStream_tbENKUlT_T0_E_clISt17integral_constantIbLb1EESW_IbLb0EEEEDaSS_ST_EUlSS_E0_NS1_11comp_targetILNS1_3genE3ELNS1_11target_archE908ELNS1_3gpuE7ELNS1_3repE0EEENS1_30default_config_static_selectorELNS0_4arch9wavefront6targetE1EEEvT1_,"axG",@progbits,_ZN7rocprim17ROCPRIM_400000_NS6detail17trampoline_kernelINS0_14default_configENS1_20scan_config_selectorIsEEZZNS1_9scan_implILNS1_25lookback_scan_determinismE0ELb0ELb0ES3_N6thrust23THRUST_200600_302600_NS6detail15normal_iteratorINS9_10device_ptrIsEEEENS9_16discard_iteratorINS9_11use_defaultEEEsNS9_4plusIvEEsEEDaPvRmT3_T4_T5_mT6_P12ihipStream_tbENKUlT_T0_E_clISt17integral_constantIbLb1EESW_IbLb0EEEEDaSS_ST_EUlSS_E0_NS1_11comp_targetILNS1_3genE3ELNS1_11target_archE908ELNS1_3gpuE7ELNS1_3repE0EEENS1_30default_config_static_selectorELNS0_4arch9wavefront6targetE1EEEvT1_,comdat
.Lfunc_end5918:
	.size	_ZN7rocprim17ROCPRIM_400000_NS6detail17trampoline_kernelINS0_14default_configENS1_20scan_config_selectorIsEEZZNS1_9scan_implILNS1_25lookback_scan_determinismE0ELb0ELb0ES3_N6thrust23THRUST_200600_302600_NS6detail15normal_iteratorINS9_10device_ptrIsEEEENS9_16discard_iteratorINS9_11use_defaultEEEsNS9_4plusIvEEsEEDaPvRmT3_T4_T5_mT6_P12ihipStream_tbENKUlT_T0_E_clISt17integral_constantIbLb1EESW_IbLb0EEEEDaSS_ST_EUlSS_E0_NS1_11comp_targetILNS1_3genE3ELNS1_11target_archE908ELNS1_3gpuE7ELNS1_3repE0EEENS1_30default_config_static_selectorELNS0_4arch9wavefront6targetE1EEEvT1_, .Lfunc_end5918-_ZN7rocprim17ROCPRIM_400000_NS6detail17trampoline_kernelINS0_14default_configENS1_20scan_config_selectorIsEEZZNS1_9scan_implILNS1_25lookback_scan_determinismE0ELb0ELb0ES3_N6thrust23THRUST_200600_302600_NS6detail15normal_iteratorINS9_10device_ptrIsEEEENS9_16discard_iteratorINS9_11use_defaultEEEsNS9_4plusIvEEsEEDaPvRmT3_T4_T5_mT6_P12ihipStream_tbENKUlT_T0_E_clISt17integral_constantIbLb1EESW_IbLb0EEEEDaSS_ST_EUlSS_E0_NS1_11comp_targetILNS1_3genE3ELNS1_11target_archE908ELNS1_3gpuE7ELNS1_3repE0EEENS1_30default_config_static_selectorELNS0_4arch9wavefront6targetE1EEEvT1_
                                        ; -- End function
	.section	.AMDGPU.csdata,"",@progbits
; Kernel info:
; codeLenInByte = 0
; NumSgprs: 4
; NumVgprs: 0
; NumAgprs: 0
; TotalNumVgprs: 0
; ScratchSize: 0
; MemoryBound: 0
; FloatMode: 240
; IeeeMode: 1
; LDSByteSize: 0 bytes/workgroup (compile time only)
; SGPRBlocks: 0
; VGPRBlocks: 0
; NumSGPRsForWavesPerEU: 4
; NumVGPRsForWavesPerEU: 1
; AccumOffset: 4
; Occupancy: 8
; WaveLimiterHint : 0
; COMPUTE_PGM_RSRC2:SCRATCH_EN: 0
; COMPUTE_PGM_RSRC2:USER_SGPR: 6
; COMPUTE_PGM_RSRC2:TRAP_HANDLER: 0
; COMPUTE_PGM_RSRC2:TGID_X_EN: 1
; COMPUTE_PGM_RSRC2:TGID_Y_EN: 0
; COMPUTE_PGM_RSRC2:TGID_Z_EN: 0
; COMPUTE_PGM_RSRC2:TIDIG_COMP_CNT: 0
; COMPUTE_PGM_RSRC3_GFX90A:ACCUM_OFFSET: 0
; COMPUTE_PGM_RSRC3_GFX90A:TG_SPLIT: 0
	.section	.text._ZN7rocprim17ROCPRIM_400000_NS6detail17trampoline_kernelINS0_14default_configENS1_20scan_config_selectorIsEEZZNS1_9scan_implILNS1_25lookback_scan_determinismE0ELb0ELb0ES3_N6thrust23THRUST_200600_302600_NS6detail15normal_iteratorINS9_10device_ptrIsEEEENS9_16discard_iteratorINS9_11use_defaultEEEsNS9_4plusIvEEsEEDaPvRmT3_T4_T5_mT6_P12ihipStream_tbENKUlT_T0_E_clISt17integral_constantIbLb1EESW_IbLb0EEEEDaSS_ST_EUlSS_E0_NS1_11comp_targetILNS1_3genE2ELNS1_11target_archE906ELNS1_3gpuE6ELNS1_3repE0EEENS1_30default_config_static_selectorELNS0_4arch9wavefront6targetE1EEEvT1_,"axG",@progbits,_ZN7rocprim17ROCPRIM_400000_NS6detail17trampoline_kernelINS0_14default_configENS1_20scan_config_selectorIsEEZZNS1_9scan_implILNS1_25lookback_scan_determinismE0ELb0ELb0ES3_N6thrust23THRUST_200600_302600_NS6detail15normal_iteratorINS9_10device_ptrIsEEEENS9_16discard_iteratorINS9_11use_defaultEEEsNS9_4plusIvEEsEEDaPvRmT3_T4_T5_mT6_P12ihipStream_tbENKUlT_T0_E_clISt17integral_constantIbLb1EESW_IbLb0EEEEDaSS_ST_EUlSS_E0_NS1_11comp_targetILNS1_3genE2ELNS1_11target_archE906ELNS1_3gpuE6ELNS1_3repE0EEENS1_30default_config_static_selectorELNS0_4arch9wavefront6targetE1EEEvT1_,comdat
	.protected	_ZN7rocprim17ROCPRIM_400000_NS6detail17trampoline_kernelINS0_14default_configENS1_20scan_config_selectorIsEEZZNS1_9scan_implILNS1_25lookback_scan_determinismE0ELb0ELb0ES3_N6thrust23THRUST_200600_302600_NS6detail15normal_iteratorINS9_10device_ptrIsEEEENS9_16discard_iteratorINS9_11use_defaultEEEsNS9_4plusIvEEsEEDaPvRmT3_T4_T5_mT6_P12ihipStream_tbENKUlT_T0_E_clISt17integral_constantIbLb1EESW_IbLb0EEEEDaSS_ST_EUlSS_E0_NS1_11comp_targetILNS1_3genE2ELNS1_11target_archE906ELNS1_3gpuE6ELNS1_3repE0EEENS1_30default_config_static_selectorELNS0_4arch9wavefront6targetE1EEEvT1_ ; -- Begin function _ZN7rocprim17ROCPRIM_400000_NS6detail17trampoline_kernelINS0_14default_configENS1_20scan_config_selectorIsEEZZNS1_9scan_implILNS1_25lookback_scan_determinismE0ELb0ELb0ES3_N6thrust23THRUST_200600_302600_NS6detail15normal_iteratorINS9_10device_ptrIsEEEENS9_16discard_iteratorINS9_11use_defaultEEEsNS9_4plusIvEEsEEDaPvRmT3_T4_T5_mT6_P12ihipStream_tbENKUlT_T0_E_clISt17integral_constantIbLb1EESW_IbLb0EEEEDaSS_ST_EUlSS_E0_NS1_11comp_targetILNS1_3genE2ELNS1_11target_archE906ELNS1_3gpuE6ELNS1_3repE0EEENS1_30default_config_static_selectorELNS0_4arch9wavefront6targetE1EEEvT1_
	.globl	_ZN7rocprim17ROCPRIM_400000_NS6detail17trampoline_kernelINS0_14default_configENS1_20scan_config_selectorIsEEZZNS1_9scan_implILNS1_25lookback_scan_determinismE0ELb0ELb0ES3_N6thrust23THRUST_200600_302600_NS6detail15normal_iteratorINS9_10device_ptrIsEEEENS9_16discard_iteratorINS9_11use_defaultEEEsNS9_4plusIvEEsEEDaPvRmT3_T4_T5_mT6_P12ihipStream_tbENKUlT_T0_E_clISt17integral_constantIbLb1EESW_IbLb0EEEEDaSS_ST_EUlSS_E0_NS1_11comp_targetILNS1_3genE2ELNS1_11target_archE906ELNS1_3gpuE6ELNS1_3repE0EEENS1_30default_config_static_selectorELNS0_4arch9wavefront6targetE1EEEvT1_
	.p2align	8
	.type	_ZN7rocprim17ROCPRIM_400000_NS6detail17trampoline_kernelINS0_14default_configENS1_20scan_config_selectorIsEEZZNS1_9scan_implILNS1_25lookback_scan_determinismE0ELb0ELb0ES3_N6thrust23THRUST_200600_302600_NS6detail15normal_iteratorINS9_10device_ptrIsEEEENS9_16discard_iteratorINS9_11use_defaultEEEsNS9_4plusIvEEsEEDaPvRmT3_T4_T5_mT6_P12ihipStream_tbENKUlT_T0_E_clISt17integral_constantIbLb1EESW_IbLb0EEEEDaSS_ST_EUlSS_E0_NS1_11comp_targetILNS1_3genE2ELNS1_11target_archE906ELNS1_3gpuE6ELNS1_3repE0EEENS1_30default_config_static_selectorELNS0_4arch9wavefront6targetE1EEEvT1_,@function
_ZN7rocprim17ROCPRIM_400000_NS6detail17trampoline_kernelINS0_14default_configENS1_20scan_config_selectorIsEEZZNS1_9scan_implILNS1_25lookback_scan_determinismE0ELb0ELb0ES3_N6thrust23THRUST_200600_302600_NS6detail15normal_iteratorINS9_10device_ptrIsEEEENS9_16discard_iteratorINS9_11use_defaultEEEsNS9_4plusIvEEsEEDaPvRmT3_T4_T5_mT6_P12ihipStream_tbENKUlT_T0_E_clISt17integral_constantIbLb1EESW_IbLb0EEEEDaSS_ST_EUlSS_E0_NS1_11comp_targetILNS1_3genE2ELNS1_11target_archE906ELNS1_3gpuE6ELNS1_3repE0EEENS1_30default_config_static_selectorELNS0_4arch9wavefront6targetE1EEEvT1_: ; @_ZN7rocprim17ROCPRIM_400000_NS6detail17trampoline_kernelINS0_14default_configENS1_20scan_config_selectorIsEEZZNS1_9scan_implILNS1_25lookback_scan_determinismE0ELb0ELb0ES3_N6thrust23THRUST_200600_302600_NS6detail15normal_iteratorINS9_10device_ptrIsEEEENS9_16discard_iteratorINS9_11use_defaultEEEsNS9_4plusIvEEsEEDaPvRmT3_T4_T5_mT6_P12ihipStream_tbENKUlT_T0_E_clISt17integral_constantIbLb1EESW_IbLb0EEEEDaSS_ST_EUlSS_E0_NS1_11comp_targetILNS1_3genE2ELNS1_11target_archE906ELNS1_3gpuE6ELNS1_3repE0EEENS1_30default_config_static_selectorELNS0_4arch9wavefront6targetE1EEEvT1_
; %bb.0:
	.section	.rodata,"a",@progbits
	.p2align	6, 0x0
	.amdhsa_kernel _ZN7rocprim17ROCPRIM_400000_NS6detail17trampoline_kernelINS0_14default_configENS1_20scan_config_selectorIsEEZZNS1_9scan_implILNS1_25lookback_scan_determinismE0ELb0ELb0ES3_N6thrust23THRUST_200600_302600_NS6detail15normal_iteratorINS9_10device_ptrIsEEEENS9_16discard_iteratorINS9_11use_defaultEEEsNS9_4plusIvEEsEEDaPvRmT3_T4_T5_mT6_P12ihipStream_tbENKUlT_T0_E_clISt17integral_constantIbLb1EESW_IbLb0EEEEDaSS_ST_EUlSS_E0_NS1_11comp_targetILNS1_3genE2ELNS1_11target_archE906ELNS1_3gpuE6ELNS1_3repE0EEENS1_30default_config_static_selectorELNS0_4arch9wavefront6targetE1EEEvT1_
		.amdhsa_group_segment_fixed_size 0
		.amdhsa_private_segment_fixed_size 0
		.amdhsa_kernarg_size 40
		.amdhsa_user_sgpr_count 6
		.amdhsa_user_sgpr_private_segment_buffer 1
		.amdhsa_user_sgpr_dispatch_ptr 0
		.amdhsa_user_sgpr_queue_ptr 0
		.amdhsa_user_sgpr_kernarg_segment_ptr 1
		.amdhsa_user_sgpr_dispatch_id 0
		.amdhsa_user_sgpr_flat_scratch_init 0
		.amdhsa_user_sgpr_kernarg_preload_length 0
		.amdhsa_user_sgpr_kernarg_preload_offset 0
		.amdhsa_user_sgpr_private_segment_size 0
		.amdhsa_uses_dynamic_stack 0
		.amdhsa_system_sgpr_private_segment_wavefront_offset 0
		.amdhsa_system_sgpr_workgroup_id_x 1
		.amdhsa_system_sgpr_workgroup_id_y 0
		.amdhsa_system_sgpr_workgroup_id_z 0
		.amdhsa_system_sgpr_workgroup_info 0
		.amdhsa_system_vgpr_workitem_id 0
		.amdhsa_next_free_vgpr 1
		.amdhsa_next_free_sgpr 0
		.amdhsa_accum_offset 4
		.amdhsa_reserve_vcc 0
		.amdhsa_reserve_flat_scratch 0
		.amdhsa_float_round_mode_32 0
		.amdhsa_float_round_mode_16_64 0
		.amdhsa_float_denorm_mode_32 3
		.amdhsa_float_denorm_mode_16_64 3
		.amdhsa_dx10_clamp 1
		.amdhsa_ieee_mode 1
		.amdhsa_fp16_overflow 0
		.amdhsa_tg_split 0
		.amdhsa_exception_fp_ieee_invalid_op 0
		.amdhsa_exception_fp_denorm_src 0
		.amdhsa_exception_fp_ieee_div_zero 0
		.amdhsa_exception_fp_ieee_overflow 0
		.amdhsa_exception_fp_ieee_underflow 0
		.amdhsa_exception_fp_ieee_inexact 0
		.amdhsa_exception_int_div_zero 0
	.end_amdhsa_kernel
	.section	.text._ZN7rocprim17ROCPRIM_400000_NS6detail17trampoline_kernelINS0_14default_configENS1_20scan_config_selectorIsEEZZNS1_9scan_implILNS1_25lookback_scan_determinismE0ELb0ELb0ES3_N6thrust23THRUST_200600_302600_NS6detail15normal_iteratorINS9_10device_ptrIsEEEENS9_16discard_iteratorINS9_11use_defaultEEEsNS9_4plusIvEEsEEDaPvRmT3_T4_T5_mT6_P12ihipStream_tbENKUlT_T0_E_clISt17integral_constantIbLb1EESW_IbLb0EEEEDaSS_ST_EUlSS_E0_NS1_11comp_targetILNS1_3genE2ELNS1_11target_archE906ELNS1_3gpuE6ELNS1_3repE0EEENS1_30default_config_static_selectorELNS0_4arch9wavefront6targetE1EEEvT1_,"axG",@progbits,_ZN7rocprim17ROCPRIM_400000_NS6detail17trampoline_kernelINS0_14default_configENS1_20scan_config_selectorIsEEZZNS1_9scan_implILNS1_25lookback_scan_determinismE0ELb0ELb0ES3_N6thrust23THRUST_200600_302600_NS6detail15normal_iteratorINS9_10device_ptrIsEEEENS9_16discard_iteratorINS9_11use_defaultEEEsNS9_4plusIvEEsEEDaPvRmT3_T4_T5_mT6_P12ihipStream_tbENKUlT_T0_E_clISt17integral_constantIbLb1EESW_IbLb0EEEEDaSS_ST_EUlSS_E0_NS1_11comp_targetILNS1_3genE2ELNS1_11target_archE906ELNS1_3gpuE6ELNS1_3repE0EEENS1_30default_config_static_selectorELNS0_4arch9wavefront6targetE1EEEvT1_,comdat
.Lfunc_end5919:
	.size	_ZN7rocprim17ROCPRIM_400000_NS6detail17trampoline_kernelINS0_14default_configENS1_20scan_config_selectorIsEEZZNS1_9scan_implILNS1_25lookback_scan_determinismE0ELb0ELb0ES3_N6thrust23THRUST_200600_302600_NS6detail15normal_iteratorINS9_10device_ptrIsEEEENS9_16discard_iteratorINS9_11use_defaultEEEsNS9_4plusIvEEsEEDaPvRmT3_T4_T5_mT6_P12ihipStream_tbENKUlT_T0_E_clISt17integral_constantIbLb1EESW_IbLb0EEEEDaSS_ST_EUlSS_E0_NS1_11comp_targetILNS1_3genE2ELNS1_11target_archE906ELNS1_3gpuE6ELNS1_3repE0EEENS1_30default_config_static_selectorELNS0_4arch9wavefront6targetE1EEEvT1_, .Lfunc_end5919-_ZN7rocprim17ROCPRIM_400000_NS6detail17trampoline_kernelINS0_14default_configENS1_20scan_config_selectorIsEEZZNS1_9scan_implILNS1_25lookback_scan_determinismE0ELb0ELb0ES3_N6thrust23THRUST_200600_302600_NS6detail15normal_iteratorINS9_10device_ptrIsEEEENS9_16discard_iteratorINS9_11use_defaultEEEsNS9_4plusIvEEsEEDaPvRmT3_T4_T5_mT6_P12ihipStream_tbENKUlT_T0_E_clISt17integral_constantIbLb1EESW_IbLb0EEEEDaSS_ST_EUlSS_E0_NS1_11comp_targetILNS1_3genE2ELNS1_11target_archE906ELNS1_3gpuE6ELNS1_3repE0EEENS1_30default_config_static_selectorELNS0_4arch9wavefront6targetE1EEEvT1_
                                        ; -- End function
	.section	.AMDGPU.csdata,"",@progbits
; Kernel info:
; codeLenInByte = 0
; NumSgprs: 4
; NumVgprs: 0
; NumAgprs: 0
; TotalNumVgprs: 0
; ScratchSize: 0
; MemoryBound: 0
; FloatMode: 240
; IeeeMode: 1
; LDSByteSize: 0 bytes/workgroup (compile time only)
; SGPRBlocks: 0
; VGPRBlocks: 0
; NumSGPRsForWavesPerEU: 4
; NumVGPRsForWavesPerEU: 1
; AccumOffset: 4
; Occupancy: 8
; WaveLimiterHint : 0
; COMPUTE_PGM_RSRC2:SCRATCH_EN: 0
; COMPUTE_PGM_RSRC2:USER_SGPR: 6
; COMPUTE_PGM_RSRC2:TRAP_HANDLER: 0
; COMPUTE_PGM_RSRC2:TGID_X_EN: 1
; COMPUTE_PGM_RSRC2:TGID_Y_EN: 0
; COMPUTE_PGM_RSRC2:TGID_Z_EN: 0
; COMPUTE_PGM_RSRC2:TIDIG_COMP_CNT: 0
; COMPUTE_PGM_RSRC3_GFX90A:ACCUM_OFFSET: 0
; COMPUTE_PGM_RSRC3_GFX90A:TG_SPLIT: 0
	.section	.text._ZN7rocprim17ROCPRIM_400000_NS6detail17trampoline_kernelINS0_14default_configENS1_20scan_config_selectorIsEEZZNS1_9scan_implILNS1_25lookback_scan_determinismE0ELb0ELb0ES3_N6thrust23THRUST_200600_302600_NS6detail15normal_iteratorINS9_10device_ptrIsEEEENS9_16discard_iteratorINS9_11use_defaultEEEsNS9_4plusIvEEsEEDaPvRmT3_T4_T5_mT6_P12ihipStream_tbENKUlT_T0_E_clISt17integral_constantIbLb1EESW_IbLb0EEEEDaSS_ST_EUlSS_E0_NS1_11comp_targetILNS1_3genE10ELNS1_11target_archE1201ELNS1_3gpuE5ELNS1_3repE0EEENS1_30default_config_static_selectorELNS0_4arch9wavefront6targetE1EEEvT1_,"axG",@progbits,_ZN7rocprim17ROCPRIM_400000_NS6detail17trampoline_kernelINS0_14default_configENS1_20scan_config_selectorIsEEZZNS1_9scan_implILNS1_25lookback_scan_determinismE0ELb0ELb0ES3_N6thrust23THRUST_200600_302600_NS6detail15normal_iteratorINS9_10device_ptrIsEEEENS9_16discard_iteratorINS9_11use_defaultEEEsNS9_4plusIvEEsEEDaPvRmT3_T4_T5_mT6_P12ihipStream_tbENKUlT_T0_E_clISt17integral_constantIbLb1EESW_IbLb0EEEEDaSS_ST_EUlSS_E0_NS1_11comp_targetILNS1_3genE10ELNS1_11target_archE1201ELNS1_3gpuE5ELNS1_3repE0EEENS1_30default_config_static_selectorELNS0_4arch9wavefront6targetE1EEEvT1_,comdat
	.protected	_ZN7rocprim17ROCPRIM_400000_NS6detail17trampoline_kernelINS0_14default_configENS1_20scan_config_selectorIsEEZZNS1_9scan_implILNS1_25lookback_scan_determinismE0ELb0ELb0ES3_N6thrust23THRUST_200600_302600_NS6detail15normal_iteratorINS9_10device_ptrIsEEEENS9_16discard_iteratorINS9_11use_defaultEEEsNS9_4plusIvEEsEEDaPvRmT3_T4_T5_mT6_P12ihipStream_tbENKUlT_T0_E_clISt17integral_constantIbLb1EESW_IbLb0EEEEDaSS_ST_EUlSS_E0_NS1_11comp_targetILNS1_3genE10ELNS1_11target_archE1201ELNS1_3gpuE5ELNS1_3repE0EEENS1_30default_config_static_selectorELNS0_4arch9wavefront6targetE1EEEvT1_ ; -- Begin function _ZN7rocprim17ROCPRIM_400000_NS6detail17trampoline_kernelINS0_14default_configENS1_20scan_config_selectorIsEEZZNS1_9scan_implILNS1_25lookback_scan_determinismE0ELb0ELb0ES3_N6thrust23THRUST_200600_302600_NS6detail15normal_iteratorINS9_10device_ptrIsEEEENS9_16discard_iteratorINS9_11use_defaultEEEsNS9_4plusIvEEsEEDaPvRmT3_T4_T5_mT6_P12ihipStream_tbENKUlT_T0_E_clISt17integral_constantIbLb1EESW_IbLb0EEEEDaSS_ST_EUlSS_E0_NS1_11comp_targetILNS1_3genE10ELNS1_11target_archE1201ELNS1_3gpuE5ELNS1_3repE0EEENS1_30default_config_static_selectorELNS0_4arch9wavefront6targetE1EEEvT1_
	.globl	_ZN7rocprim17ROCPRIM_400000_NS6detail17trampoline_kernelINS0_14default_configENS1_20scan_config_selectorIsEEZZNS1_9scan_implILNS1_25lookback_scan_determinismE0ELb0ELb0ES3_N6thrust23THRUST_200600_302600_NS6detail15normal_iteratorINS9_10device_ptrIsEEEENS9_16discard_iteratorINS9_11use_defaultEEEsNS9_4plusIvEEsEEDaPvRmT3_T4_T5_mT6_P12ihipStream_tbENKUlT_T0_E_clISt17integral_constantIbLb1EESW_IbLb0EEEEDaSS_ST_EUlSS_E0_NS1_11comp_targetILNS1_3genE10ELNS1_11target_archE1201ELNS1_3gpuE5ELNS1_3repE0EEENS1_30default_config_static_selectorELNS0_4arch9wavefront6targetE1EEEvT1_
	.p2align	8
	.type	_ZN7rocprim17ROCPRIM_400000_NS6detail17trampoline_kernelINS0_14default_configENS1_20scan_config_selectorIsEEZZNS1_9scan_implILNS1_25lookback_scan_determinismE0ELb0ELb0ES3_N6thrust23THRUST_200600_302600_NS6detail15normal_iteratorINS9_10device_ptrIsEEEENS9_16discard_iteratorINS9_11use_defaultEEEsNS9_4plusIvEEsEEDaPvRmT3_T4_T5_mT6_P12ihipStream_tbENKUlT_T0_E_clISt17integral_constantIbLb1EESW_IbLb0EEEEDaSS_ST_EUlSS_E0_NS1_11comp_targetILNS1_3genE10ELNS1_11target_archE1201ELNS1_3gpuE5ELNS1_3repE0EEENS1_30default_config_static_selectorELNS0_4arch9wavefront6targetE1EEEvT1_,@function
_ZN7rocprim17ROCPRIM_400000_NS6detail17trampoline_kernelINS0_14default_configENS1_20scan_config_selectorIsEEZZNS1_9scan_implILNS1_25lookback_scan_determinismE0ELb0ELb0ES3_N6thrust23THRUST_200600_302600_NS6detail15normal_iteratorINS9_10device_ptrIsEEEENS9_16discard_iteratorINS9_11use_defaultEEEsNS9_4plusIvEEsEEDaPvRmT3_T4_T5_mT6_P12ihipStream_tbENKUlT_T0_E_clISt17integral_constantIbLb1EESW_IbLb0EEEEDaSS_ST_EUlSS_E0_NS1_11comp_targetILNS1_3genE10ELNS1_11target_archE1201ELNS1_3gpuE5ELNS1_3repE0EEENS1_30default_config_static_selectorELNS0_4arch9wavefront6targetE1EEEvT1_: ; @_ZN7rocprim17ROCPRIM_400000_NS6detail17trampoline_kernelINS0_14default_configENS1_20scan_config_selectorIsEEZZNS1_9scan_implILNS1_25lookback_scan_determinismE0ELb0ELb0ES3_N6thrust23THRUST_200600_302600_NS6detail15normal_iteratorINS9_10device_ptrIsEEEENS9_16discard_iteratorINS9_11use_defaultEEEsNS9_4plusIvEEsEEDaPvRmT3_T4_T5_mT6_P12ihipStream_tbENKUlT_T0_E_clISt17integral_constantIbLb1EESW_IbLb0EEEEDaSS_ST_EUlSS_E0_NS1_11comp_targetILNS1_3genE10ELNS1_11target_archE1201ELNS1_3gpuE5ELNS1_3repE0EEENS1_30default_config_static_selectorELNS0_4arch9wavefront6targetE1EEEvT1_
; %bb.0:
	.section	.rodata,"a",@progbits
	.p2align	6, 0x0
	.amdhsa_kernel _ZN7rocprim17ROCPRIM_400000_NS6detail17trampoline_kernelINS0_14default_configENS1_20scan_config_selectorIsEEZZNS1_9scan_implILNS1_25lookback_scan_determinismE0ELb0ELb0ES3_N6thrust23THRUST_200600_302600_NS6detail15normal_iteratorINS9_10device_ptrIsEEEENS9_16discard_iteratorINS9_11use_defaultEEEsNS9_4plusIvEEsEEDaPvRmT3_T4_T5_mT6_P12ihipStream_tbENKUlT_T0_E_clISt17integral_constantIbLb1EESW_IbLb0EEEEDaSS_ST_EUlSS_E0_NS1_11comp_targetILNS1_3genE10ELNS1_11target_archE1201ELNS1_3gpuE5ELNS1_3repE0EEENS1_30default_config_static_selectorELNS0_4arch9wavefront6targetE1EEEvT1_
		.amdhsa_group_segment_fixed_size 0
		.amdhsa_private_segment_fixed_size 0
		.amdhsa_kernarg_size 40
		.amdhsa_user_sgpr_count 6
		.amdhsa_user_sgpr_private_segment_buffer 1
		.amdhsa_user_sgpr_dispatch_ptr 0
		.amdhsa_user_sgpr_queue_ptr 0
		.amdhsa_user_sgpr_kernarg_segment_ptr 1
		.amdhsa_user_sgpr_dispatch_id 0
		.amdhsa_user_sgpr_flat_scratch_init 0
		.amdhsa_user_sgpr_kernarg_preload_length 0
		.amdhsa_user_sgpr_kernarg_preload_offset 0
		.amdhsa_user_sgpr_private_segment_size 0
		.amdhsa_uses_dynamic_stack 0
		.amdhsa_system_sgpr_private_segment_wavefront_offset 0
		.amdhsa_system_sgpr_workgroup_id_x 1
		.amdhsa_system_sgpr_workgroup_id_y 0
		.amdhsa_system_sgpr_workgroup_id_z 0
		.amdhsa_system_sgpr_workgroup_info 0
		.amdhsa_system_vgpr_workitem_id 0
		.amdhsa_next_free_vgpr 1
		.amdhsa_next_free_sgpr 0
		.amdhsa_accum_offset 4
		.amdhsa_reserve_vcc 0
		.amdhsa_reserve_flat_scratch 0
		.amdhsa_float_round_mode_32 0
		.amdhsa_float_round_mode_16_64 0
		.amdhsa_float_denorm_mode_32 3
		.amdhsa_float_denorm_mode_16_64 3
		.amdhsa_dx10_clamp 1
		.amdhsa_ieee_mode 1
		.amdhsa_fp16_overflow 0
		.amdhsa_tg_split 0
		.amdhsa_exception_fp_ieee_invalid_op 0
		.amdhsa_exception_fp_denorm_src 0
		.amdhsa_exception_fp_ieee_div_zero 0
		.amdhsa_exception_fp_ieee_overflow 0
		.amdhsa_exception_fp_ieee_underflow 0
		.amdhsa_exception_fp_ieee_inexact 0
		.amdhsa_exception_int_div_zero 0
	.end_amdhsa_kernel
	.section	.text._ZN7rocprim17ROCPRIM_400000_NS6detail17trampoline_kernelINS0_14default_configENS1_20scan_config_selectorIsEEZZNS1_9scan_implILNS1_25lookback_scan_determinismE0ELb0ELb0ES3_N6thrust23THRUST_200600_302600_NS6detail15normal_iteratorINS9_10device_ptrIsEEEENS9_16discard_iteratorINS9_11use_defaultEEEsNS9_4plusIvEEsEEDaPvRmT3_T4_T5_mT6_P12ihipStream_tbENKUlT_T0_E_clISt17integral_constantIbLb1EESW_IbLb0EEEEDaSS_ST_EUlSS_E0_NS1_11comp_targetILNS1_3genE10ELNS1_11target_archE1201ELNS1_3gpuE5ELNS1_3repE0EEENS1_30default_config_static_selectorELNS0_4arch9wavefront6targetE1EEEvT1_,"axG",@progbits,_ZN7rocprim17ROCPRIM_400000_NS6detail17trampoline_kernelINS0_14default_configENS1_20scan_config_selectorIsEEZZNS1_9scan_implILNS1_25lookback_scan_determinismE0ELb0ELb0ES3_N6thrust23THRUST_200600_302600_NS6detail15normal_iteratorINS9_10device_ptrIsEEEENS9_16discard_iteratorINS9_11use_defaultEEEsNS9_4plusIvEEsEEDaPvRmT3_T4_T5_mT6_P12ihipStream_tbENKUlT_T0_E_clISt17integral_constantIbLb1EESW_IbLb0EEEEDaSS_ST_EUlSS_E0_NS1_11comp_targetILNS1_3genE10ELNS1_11target_archE1201ELNS1_3gpuE5ELNS1_3repE0EEENS1_30default_config_static_selectorELNS0_4arch9wavefront6targetE1EEEvT1_,comdat
.Lfunc_end5920:
	.size	_ZN7rocprim17ROCPRIM_400000_NS6detail17trampoline_kernelINS0_14default_configENS1_20scan_config_selectorIsEEZZNS1_9scan_implILNS1_25lookback_scan_determinismE0ELb0ELb0ES3_N6thrust23THRUST_200600_302600_NS6detail15normal_iteratorINS9_10device_ptrIsEEEENS9_16discard_iteratorINS9_11use_defaultEEEsNS9_4plusIvEEsEEDaPvRmT3_T4_T5_mT6_P12ihipStream_tbENKUlT_T0_E_clISt17integral_constantIbLb1EESW_IbLb0EEEEDaSS_ST_EUlSS_E0_NS1_11comp_targetILNS1_3genE10ELNS1_11target_archE1201ELNS1_3gpuE5ELNS1_3repE0EEENS1_30default_config_static_selectorELNS0_4arch9wavefront6targetE1EEEvT1_, .Lfunc_end5920-_ZN7rocprim17ROCPRIM_400000_NS6detail17trampoline_kernelINS0_14default_configENS1_20scan_config_selectorIsEEZZNS1_9scan_implILNS1_25lookback_scan_determinismE0ELb0ELb0ES3_N6thrust23THRUST_200600_302600_NS6detail15normal_iteratorINS9_10device_ptrIsEEEENS9_16discard_iteratorINS9_11use_defaultEEEsNS9_4plusIvEEsEEDaPvRmT3_T4_T5_mT6_P12ihipStream_tbENKUlT_T0_E_clISt17integral_constantIbLb1EESW_IbLb0EEEEDaSS_ST_EUlSS_E0_NS1_11comp_targetILNS1_3genE10ELNS1_11target_archE1201ELNS1_3gpuE5ELNS1_3repE0EEENS1_30default_config_static_selectorELNS0_4arch9wavefront6targetE1EEEvT1_
                                        ; -- End function
	.section	.AMDGPU.csdata,"",@progbits
; Kernel info:
; codeLenInByte = 0
; NumSgprs: 4
; NumVgprs: 0
; NumAgprs: 0
; TotalNumVgprs: 0
; ScratchSize: 0
; MemoryBound: 0
; FloatMode: 240
; IeeeMode: 1
; LDSByteSize: 0 bytes/workgroup (compile time only)
; SGPRBlocks: 0
; VGPRBlocks: 0
; NumSGPRsForWavesPerEU: 4
; NumVGPRsForWavesPerEU: 1
; AccumOffset: 4
; Occupancy: 8
; WaveLimiterHint : 0
; COMPUTE_PGM_RSRC2:SCRATCH_EN: 0
; COMPUTE_PGM_RSRC2:USER_SGPR: 6
; COMPUTE_PGM_RSRC2:TRAP_HANDLER: 0
; COMPUTE_PGM_RSRC2:TGID_X_EN: 1
; COMPUTE_PGM_RSRC2:TGID_Y_EN: 0
; COMPUTE_PGM_RSRC2:TGID_Z_EN: 0
; COMPUTE_PGM_RSRC2:TIDIG_COMP_CNT: 0
; COMPUTE_PGM_RSRC3_GFX90A:ACCUM_OFFSET: 0
; COMPUTE_PGM_RSRC3_GFX90A:TG_SPLIT: 0
	.section	.text._ZN7rocprim17ROCPRIM_400000_NS6detail17trampoline_kernelINS0_14default_configENS1_20scan_config_selectorIsEEZZNS1_9scan_implILNS1_25lookback_scan_determinismE0ELb0ELb0ES3_N6thrust23THRUST_200600_302600_NS6detail15normal_iteratorINS9_10device_ptrIsEEEENS9_16discard_iteratorINS9_11use_defaultEEEsNS9_4plusIvEEsEEDaPvRmT3_T4_T5_mT6_P12ihipStream_tbENKUlT_T0_E_clISt17integral_constantIbLb1EESW_IbLb0EEEEDaSS_ST_EUlSS_E0_NS1_11comp_targetILNS1_3genE10ELNS1_11target_archE1200ELNS1_3gpuE4ELNS1_3repE0EEENS1_30default_config_static_selectorELNS0_4arch9wavefront6targetE1EEEvT1_,"axG",@progbits,_ZN7rocprim17ROCPRIM_400000_NS6detail17trampoline_kernelINS0_14default_configENS1_20scan_config_selectorIsEEZZNS1_9scan_implILNS1_25lookback_scan_determinismE0ELb0ELb0ES3_N6thrust23THRUST_200600_302600_NS6detail15normal_iteratorINS9_10device_ptrIsEEEENS9_16discard_iteratorINS9_11use_defaultEEEsNS9_4plusIvEEsEEDaPvRmT3_T4_T5_mT6_P12ihipStream_tbENKUlT_T0_E_clISt17integral_constantIbLb1EESW_IbLb0EEEEDaSS_ST_EUlSS_E0_NS1_11comp_targetILNS1_3genE10ELNS1_11target_archE1200ELNS1_3gpuE4ELNS1_3repE0EEENS1_30default_config_static_selectorELNS0_4arch9wavefront6targetE1EEEvT1_,comdat
	.protected	_ZN7rocprim17ROCPRIM_400000_NS6detail17trampoline_kernelINS0_14default_configENS1_20scan_config_selectorIsEEZZNS1_9scan_implILNS1_25lookback_scan_determinismE0ELb0ELb0ES3_N6thrust23THRUST_200600_302600_NS6detail15normal_iteratorINS9_10device_ptrIsEEEENS9_16discard_iteratorINS9_11use_defaultEEEsNS9_4plusIvEEsEEDaPvRmT3_T4_T5_mT6_P12ihipStream_tbENKUlT_T0_E_clISt17integral_constantIbLb1EESW_IbLb0EEEEDaSS_ST_EUlSS_E0_NS1_11comp_targetILNS1_3genE10ELNS1_11target_archE1200ELNS1_3gpuE4ELNS1_3repE0EEENS1_30default_config_static_selectorELNS0_4arch9wavefront6targetE1EEEvT1_ ; -- Begin function _ZN7rocprim17ROCPRIM_400000_NS6detail17trampoline_kernelINS0_14default_configENS1_20scan_config_selectorIsEEZZNS1_9scan_implILNS1_25lookback_scan_determinismE0ELb0ELb0ES3_N6thrust23THRUST_200600_302600_NS6detail15normal_iteratorINS9_10device_ptrIsEEEENS9_16discard_iteratorINS9_11use_defaultEEEsNS9_4plusIvEEsEEDaPvRmT3_T4_T5_mT6_P12ihipStream_tbENKUlT_T0_E_clISt17integral_constantIbLb1EESW_IbLb0EEEEDaSS_ST_EUlSS_E0_NS1_11comp_targetILNS1_3genE10ELNS1_11target_archE1200ELNS1_3gpuE4ELNS1_3repE0EEENS1_30default_config_static_selectorELNS0_4arch9wavefront6targetE1EEEvT1_
	.globl	_ZN7rocprim17ROCPRIM_400000_NS6detail17trampoline_kernelINS0_14default_configENS1_20scan_config_selectorIsEEZZNS1_9scan_implILNS1_25lookback_scan_determinismE0ELb0ELb0ES3_N6thrust23THRUST_200600_302600_NS6detail15normal_iteratorINS9_10device_ptrIsEEEENS9_16discard_iteratorINS9_11use_defaultEEEsNS9_4plusIvEEsEEDaPvRmT3_T4_T5_mT6_P12ihipStream_tbENKUlT_T0_E_clISt17integral_constantIbLb1EESW_IbLb0EEEEDaSS_ST_EUlSS_E0_NS1_11comp_targetILNS1_3genE10ELNS1_11target_archE1200ELNS1_3gpuE4ELNS1_3repE0EEENS1_30default_config_static_selectorELNS0_4arch9wavefront6targetE1EEEvT1_
	.p2align	8
	.type	_ZN7rocprim17ROCPRIM_400000_NS6detail17trampoline_kernelINS0_14default_configENS1_20scan_config_selectorIsEEZZNS1_9scan_implILNS1_25lookback_scan_determinismE0ELb0ELb0ES3_N6thrust23THRUST_200600_302600_NS6detail15normal_iteratorINS9_10device_ptrIsEEEENS9_16discard_iteratorINS9_11use_defaultEEEsNS9_4plusIvEEsEEDaPvRmT3_T4_T5_mT6_P12ihipStream_tbENKUlT_T0_E_clISt17integral_constantIbLb1EESW_IbLb0EEEEDaSS_ST_EUlSS_E0_NS1_11comp_targetILNS1_3genE10ELNS1_11target_archE1200ELNS1_3gpuE4ELNS1_3repE0EEENS1_30default_config_static_selectorELNS0_4arch9wavefront6targetE1EEEvT1_,@function
_ZN7rocprim17ROCPRIM_400000_NS6detail17trampoline_kernelINS0_14default_configENS1_20scan_config_selectorIsEEZZNS1_9scan_implILNS1_25lookback_scan_determinismE0ELb0ELb0ES3_N6thrust23THRUST_200600_302600_NS6detail15normal_iteratorINS9_10device_ptrIsEEEENS9_16discard_iteratorINS9_11use_defaultEEEsNS9_4plusIvEEsEEDaPvRmT3_T4_T5_mT6_P12ihipStream_tbENKUlT_T0_E_clISt17integral_constantIbLb1EESW_IbLb0EEEEDaSS_ST_EUlSS_E0_NS1_11comp_targetILNS1_3genE10ELNS1_11target_archE1200ELNS1_3gpuE4ELNS1_3repE0EEENS1_30default_config_static_selectorELNS0_4arch9wavefront6targetE1EEEvT1_: ; @_ZN7rocprim17ROCPRIM_400000_NS6detail17trampoline_kernelINS0_14default_configENS1_20scan_config_selectorIsEEZZNS1_9scan_implILNS1_25lookback_scan_determinismE0ELb0ELb0ES3_N6thrust23THRUST_200600_302600_NS6detail15normal_iteratorINS9_10device_ptrIsEEEENS9_16discard_iteratorINS9_11use_defaultEEEsNS9_4plusIvEEsEEDaPvRmT3_T4_T5_mT6_P12ihipStream_tbENKUlT_T0_E_clISt17integral_constantIbLb1EESW_IbLb0EEEEDaSS_ST_EUlSS_E0_NS1_11comp_targetILNS1_3genE10ELNS1_11target_archE1200ELNS1_3gpuE4ELNS1_3repE0EEENS1_30default_config_static_selectorELNS0_4arch9wavefront6targetE1EEEvT1_
; %bb.0:
	.section	.rodata,"a",@progbits
	.p2align	6, 0x0
	.amdhsa_kernel _ZN7rocprim17ROCPRIM_400000_NS6detail17trampoline_kernelINS0_14default_configENS1_20scan_config_selectorIsEEZZNS1_9scan_implILNS1_25lookback_scan_determinismE0ELb0ELb0ES3_N6thrust23THRUST_200600_302600_NS6detail15normal_iteratorINS9_10device_ptrIsEEEENS9_16discard_iteratorINS9_11use_defaultEEEsNS9_4plusIvEEsEEDaPvRmT3_T4_T5_mT6_P12ihipStream_tbENKUlT_T0_E_clISt17integral_constantIbLb1EESW_IbLb0EEEEDaSS_ST_EUlSS_E0_NS1_11comp_targetILNS1_3genE10ELNS1_11target_archE1200ELNS1_3gpuE4ELNS1_3repE0EEENS1_30default_config_static_selectorELNS0_4arch9wavefront6targetE1EEEvT1_
		.amdhsa_group_segment_fixed_size 0
		.amdhsa_private_segment_fixed_size 0
		.amdhsa_kernarg_size 40
		.amdhsa_user_sgpr_count 6
		.amdhsa_user_sgpr_private_segment_buffer 1
		.amdhsa_user_sgpr_dispatch_ptr 0
		.amdhsa_user_sgpr_queue_ptr 0
		.amdhsa_user_sgpr_kernarg_segment_ptr 1
		.amdhsa_user_sgpr_dispatch_id 0
		.amdhsa_user_sgpr_flat_scratch_init 0
		.amdhsa_user_sgpr_kernarg_preload_length 0
		.amdhsa_user_sgpr_kernarg_preload_offset 0
		.amdhsa_user_sgpr_private_segment_size 0
		.amdhsa_uses_dynamic_stack 0
		.amdhsa_system_sgpr_private_segment_wavefront_offset 0
		.amdhsa_system_sgpr_workgroup_id_x 1
		.amdhsa_system_sgpr_workgroup_id_y 0
		.amdhsa_system_sgpr_workgroup_id_z 0
		.amdhsa_system_sgpr_workgroup_info 0
		.amdhsa_system_vgpr_workitem_id 0
		.amdhsa_next_free_vgpr 1
		.amdhsa_next_free_sgpr 0
		.amdhsa_accum_offset 4
		.amdhsa_reserve_vcc 0
		.amdhsa_reserve_flat_scratch 0
		.amdhsa_float_round_mode_32 0
		.amdhsa_float_round_mode_16_64 0
		.amdhsa_float_denorm_mode_32 3
		.amdhsa_float_denorm_mode_16_64 3
		.amdhsa_dx10_clamp 1
		.amdhsa_ieee_mode 1
		.amdhsa_fp16_overflow 0
		.amdhsa_tg_split 0
		.amdhsa_exception_fp_ieee_invalid_op 0
		.amdhsa_exception_fp_denorm_src 0
		.amdhsa_exception_fp_ieee_div_zero 0
		.amdhsa_exception_fp_ieee_overflow 0
		.amdhsa_exception_fp_ieee_underflow 0
		.amdhsa_exception_fp_ieee_inexact 0
		.amdhsa_exception_int_div_zero 0
	.end_amdhsa_kernel
	.section	.text._ZN7rocprim17ROCPRIM_400000_NS6detail17trampoline_kernelINS0_14default_configENS1_20scan_config_selectorIsEEZZNS1_9scan_implILNS1_25lookback_scan_determinismE0ELb0ELb0ES3_N6thrust23THRUST_200600_302600_NS6detail15normal_iteratorINS9_10device_ptrIsEEEENS9_16discard_iteratorINS9_11use_defaultEEEsNS9_4plusIvEEsEEDaPvRmT3_T4_T5_mT6_P12ihipStream_tbENKUlT_T0_E_clISt17integral_constantIbLb1EESW_IbLb0EEEEDaSS_ST_EUlSS_E0_NS1_11comp_targetILNS1_3genE10ELNS1_11target_archE1200ELNS1_3gpuE4ELNS1_3repE0EEENS1_30default_config_static_selectorELNS0_4arch9wavefront6targetE1EEEvT1_,"axG",@progbits,_ZN7rocprim17ROCPRIM_400000_NS6detail17trampoline_kernelINS0_14default_configENS1_20scan_config_selectorIsEEZZNS1_9scan_implILNS1_25lookback_scan_determinismE0ELb0ELb0ES3_N6thrust23THRUST_200600_302600_NS6detail15normal_iteratorINS9_10device_ptrIsEEEENS9_16discard_iteratorINS9_11use_defaultEEEsNS9_4plusIvEEsEEDaPvRmT3_T4_T5_mT6_P12ihipStream_tbENKUlT_T0_E_clISt17integral_constantIbLb1EESW_IbLb0EEEEDaSS_ST_EUlSS_E0_NS1_11comp_targetILNS1_3genE10ELNS1_11target_archE1200ELNS1_3gpuE4ELNS1_3repE0EEENS1_30default_config_static_selectorELNS0_4arch9wavefront6targetE1EEEvT1_,comdat
.Lfunc_end5921:
	.size	_ZN7rocprim17ROCPRIM_400000_NS6detail17trampoline_kernelINS0_14default_configENS1_20scan_config_selectorIsEEZZNS1_9scan_implILNS1_25lookback_scan_determinismE0ELb0ELb0ES3_N6thrust23THRUST_200600_302600_NS6detail15normal_iteratorINS9_10device_ptrIsEEEENS9_16discard_iteratorINS9_11use_defaultEEEsNS9_4plusIvEEsEEDaPvRmT3_T4_T5_mT6_P12ihipStream_tbENKUlT_T0_E_clISt17integral_constantIbLb1EESW_IbLb0EEEEDaSS_ST_EUlSS_E0_NS1_11comp_targetILNS1_3genE10ELNS1_11target_archE1200ELNS1_3gpuE4ELNS1_3repE0EEENS1_30default_config_static_selectorELNS0_4arch9wavefront6targetE1EEEvT1_, .Lfunc_end5921-_ZN7rocprim17ROCPRIM_400000_NS6detail17trampoline_kernelINS0_14default_configENS1_20scan_config_selectorIsEEZZNS1_9scan_implILNS1_25lookback_scan_determinismE0ELb0ELb0ES3_N6thrust23THRUST_200600_302600_NS6detail15normal_iteratorINS9_10device_ptrIsEEEENS9_16discard_iteratorINS9_11use_defaultEEEsNS9_4plusIvEEsEEDaPvRmT3_T4_T5_mT6_P12ihipStream_tbENKUlT_T0_E_clISt17integral_constantIbLb1EESW_IbLb0EEEEDaSS_ST_EUlSS_E0_NS1_11comp_targetILNS1_3genE10ELNS1_11target_archE1200ELNS1_3gpuE4ELNS1_3repE0EEENS1_30default_config_static_selectorELNS0_4arch9wavefront6targetE1EEEvT1_
                                        ; -- End function
	.section	.AMDGPU.csdata,"",@progbits
; Kernel info:
; codeLenInByte = 0
; NumSgprs: 4
; NumVgprs: 0
; NumAgprs: 0
; TotalNumVgprs: 0
; ScratchSize: 0
; MemoryBound: 0
; FloatMode: 240
; IeeeMode: 1
; LDSByteSize: 0 bytes/workgroup (compile time only)
; SGPRBlocks: 0
; VGPRBlocks: 0
; NumSGPRsForWavesPerEU: 4
; NumVGPRsForWavesPerEU: 1
; AccumOffset: 4
; Occupancy: 8
; WaveLimiterHint : 0
; COMPUTE_PGM_RSRC2:SCRATCH_EN: 0
; COMPUTE_PGM_RSRC2:USER_SGPR: 6
; COMPUTE_PGM_RSRC2:TRAP_HANDLER: 0
; COMPUTE_PGM_RSRC2:TGID_X_EN: 1
; COMPUTE_PGM_RSRC2:TGID_Y_EN: 0
; COMPUTE_PGM_RSRC2:TGID_Z_EN: 0
; COMPUTE_PGM_RSRC2:TIDIG_COMP_CNT: 0
; COMPUTE_PGM_RSRC3_GFX90A:ACCUM_OFFSET: 0
; COMPUTE_PGM_RSRC3_GFX90A:TG_SPLIT: 0
	.section	.text._ZN7rocprim17ROCPRIM_400000_NS6detail17trampoline_kernelINS0_14default_configENS1_20scan_config_selectorIsEEZZNS1_9scan_implILNS1_25lookback_scan_determinismE0ELb0ELb0ES3_N6thrust23THRUST_200600_302600_NS6detail15normal_iteratorINS9_10device_ptrIsEEEENS9_16discard_iteratorINS9_11use_defaultEEEsNS9_4plusIvEEsEEDaPvRmT3_T4_T5_mT6_P12ihipStream_tbENKUlT_T0_E_clISt17integral_constantIbLb1EESW_IbLb0EEEEDaSS_ST_EUlSS_E0_NS1_11comp_targetILNS1_3genE9ELNS1_11target_archE1100ELNS1_3gpuE3ELNS1_3repE0EEENS1_30default_config_static_selectorELNS0_4arch9wavefront6targetE1EEEvT1_,"axG",@progbits,_ZN7rocprim17ROCPRIM_400000_NS6detail17trampoline_kernelINS0_14default_configENS1_20scan_config_selectorIsEEZZNS1_9scan_implILNS1_25lookback_scan_determinismE0ELb0ELb0ES3_N6thrust23THRUST_200600_302600_NS6detail15normal_iteratorINS9_10device_ptrIsEEEENS9_16discard_iteratorINS9_11use_defaultEEEsNS9_4plusIvEEsEEDaPvRmT3_T4_T5_mT6_P12ihipStream_tbENKUlT_T0_E_clISt17integral_constantIbLb1EESW_IbLb0EEEEDaSS_ST_EUlSS_E0_NS1_11comp_targetILNS1_3genE9ELNS1_11target_archE1100ELNS1_3gpuE3ELNS1_3repE0EEENS1_30default_config_static_selectorELNS0_4arch9wavefront6targetE1EEEvT1_,comdat
	.protected	_ZN7rocprim17ROCPRIM_400000_NS6detail17trampoline_kernelINS0_14default_configENS1_20scan_config_selectorIsEEZZNS1_9scan_implILNS1_25lookback_scan_determinismE0ELb0ELb0ES3_N6thrust23THRUST_200600_302600_NS6detail15normal_iteratorINS9_10device_ptrIsEEEENS9_16discard_iteratorINS9_11use_defaultEEEsNS9_4plusIvEEsEEDaPvRmT3_T4_T5_mT6_P12ihipStream_tbENKUlT_T0_E_clISt17integral_constantIbLb1EESW_IbLb0EEEEDaSS_ST_EUlSS_E0_NS1_11comp_targetILNS1_3genE9ELNS1_11target_archE1100ELNS1_3gpuE3ELNS1_3repE0EEENS1_30default_config_static_selectorELNS0_4arch9wavefront6targetE1EEEvT1_ ; -- Begin function _ZN7rocprim17ROCPRIM_400000_NS6detail17trampoline_kernelINS0_14default_configENS1_20scan_config_selectorIsEEZZNS1_9scan_implILNS1_25lookback_scan_determinismE0ELb0ELb0ES3_N6thrust23THRUST_200600_302600_NS6detail15normal_iteratorINS9_10device_ptrIsEEEENS9_16discard_iteratorINS9_11use_defaultEEEsNS9_4plusIvEEsEEDaPvRmT3_T4_T5_mT6_P12ihipStream_tbENKUlT_T0_E_clISt17integral_constantIbLb1EESW_IbLb0EEEEDaSS_ST_EUlSS_E0_NS1_11comp_targetILNS1_3genE9ELNS1_11target_archE1100ELNS1_3gpuE3ELNS1_3repE0EEENS1_30default_config_static_selectorELNS0_4arch9wavefront6targetE1EEEvT1_
	.globl	_ZN7rocprim17ROCPRIM_400000_NS6detail17trampoline_kernelINS0_14default_configENS1_20scan_config_selectorIsEEZZNS1_9scan_implILNS1_25lookback_scan_determinismE0ELb0ELb0ES3_N6thrust23THRUST_200600_302600_NS6detail15normal_iteratorINS9_10device_ptrIsEEEENS9_16discard_iteratorINS9_11use_defaultEEEsNS9_4plusIvEEsEEDaPvRmT3_T4_T5_mT6_P12ihipStream_tbENKUlT_T0_E_clISt17integral_constantIbLb1EESW_IbLb0EEEEDaSS_ST_EUlSS_E0_NS1_11comp_targetILNS1_3genE9ELNS1_11target_archE1100ELNS1_3gpuE3ELNS1_3repE0EEENS1_30default_config_static_selectorELNS0_4arch9wavefront6targetE1EEEvT1_
	.p2align	8
	.type	_ZN7rocprim17ROCPRIM_400000_NS6detail17trampoline_kernelINS0_14default_configENS1_20scan_config_selectorIsEEZZNS1_9scan_implILNS1_25lookback_scan_determinismE0ELb0ELb0ES3_N6thrust23THRUST_200600_302600_NS6detail15normal_iteratorINS9_10device_ptrIsEEEENS9_16discard_iteratorINS9_11use_defaultEEEsNS9_4plusIvEEsEEDaPvRmT3_T4_T5_mT6_P12ihipStream_tbENKUlT_T0_E_clISt17integral_constantIbLb1EESW_IbLb0EEEEDaSS_ST_EUlSS_E0_NS1_11comp_targetILNS1_3genE9ELNS1_11target_archE1100ELNS1_3gpuE3ELNS1_3repE0EEENS1_30default_config_static_selectorELNS0_4arch9wavefront6targetE1EEEvT1_,@function
_ZN7rocprim17ROCPRIM_400000_NS6detail17trampoline_kernelINS0_14default_configENS1_20scan_config_selectorIsEEZZNS1_9scan_implILNS1_25lookback_scan_determinismE0ELb0ELb0ES3_N6thrust23THRUST_200600_302600_NS6detail15normal_iteratorINS9_10device_ptrIsEEEENS9_16discard_iteratorINS9_11use_defaultEEEsNS9_4plusIvEEsEEDaPvRmT3_T4_T5_mT6_P12ihipStream_tbENKUlT_T0_E_clISt17integral_constantIbLb1EESW_IbLb0EEEEDaSS_ST_EUlSS_E0_NS1_11comp_targetILNS1_3genE9ELNS1_11target_archE1100ELNS1_3gpuE3ELNS1_3repE0EEENS1_30default_config_static_selectorELNS0_4arch9wavefront6targetE1EEEvT1_: ; @_ZN7rocprim17ROCPRIM_400000_NS6detail17trampoline_kernelINS0_14default_configENS1_20scan_config_selectorIsEEZZNS1_9scan_implILNS1_25lookback_scan_determinismE0ELb0ELb0ES3_N6thrust23THRUST_200600_302600_NS6detail15normal_iteratorINS9_10device_ptrIsEEEENS9_16discard_iteratorINS9_11use_defaultEEEsNS9_4plusIvEEsEEDaPvRmT3_T4_T5_mT6_P12ihipStream_tbENKUlT_T0_E_clISt17integral_constantIbLb1EESW_IbLb0EEEEDaSS_ST_EUlSS_E0_NS1_11comp_targetILNS1_3genE9ELNS1_11target_archE1100ELNS1_3gpuE3ELNS1_3repE0EEENS1_30default_config_static_selectorELNS0_4arch9wavefront6targetE1EEEvT1_
; %bb.0:
	.section	.rodata,"a",@progbits
	.p2align	6, 0x0
	.amdhsa_kernel _ZN7rocprim17ROCPRIM_400000_NS6detail17trampoline_kernelINS0_14default_configENS1_20scan_config_selectorIsEEZZNS1_9scan_implILNS1_25lookback_scan_determinismE0ELb0ELb0ES3_N6thrust23THRUST_200600_302600_NS6detail15normal_iteratorINS9_10device_ptrIsEEEENS9_16discard_iteratorINS9_11use_defaultEEEsNS9_4plusIvEEsEEDaPvRmT3_T4_T5_mT6_P12ihipStream_tbENKUlT_T0_E_clISt17integral_constantIbLb1EESW_IbLb0EEEEDaSS_ST_EUlSS_E0_NS1_11comp_targetILNS1_3genE9ELNS1_11target_archE1100ELNS1_3gpuE3ELNS1_3repE0EEENS1_30default_config_static_selectorELNS0_4arch9wavefront6targetE1EEEvT1_
		.amdhsa_group_segment_fixed_size 0
		.amdhsa_private_segment_fixed_size 0
		.amdhsa_kernarg_size 40
		.amdhsa_user_sgpr_count 6
		.amdhsa_user_sgpr_private_segment_buffer 1
		.amdhsa_user_sgpr_dispatch_ptr 0
		.amdhsa_user_sgpr_queue_ptr 0
		.amdhsa_user_sgpr_kernarg_segment_ptr 1
		.amdhsa_user_sgpr_dispatch_id 0
		.amdhsa_user_sgpr_flat_scratch_init 0
		.amdhsa_user_sgpr_kernarg_preload_length 0
		.amdhsa_user_sgpr_kernarg_preload_offset 0
		.amdhsa_user_sgpr_private_segment_size 0
		.amdhsa_uses_dynamic_stack 0
		.amdhsa_system_sgpr_private_segment_wavefront_offset 0
		.amdhsa_system_sgpr_workgroup_id_x 1
		.amdhsa_system_sgpr_workgroup_id_y 0
		.amdhsa_system_sgpr_workgroup_id_z 0
		.amdhsa_system_sgpr_workgroup_info 0
		.amdhsa_system_vgpr_workitem_id 0
		.amdhsa_next_free_vgpr 1
		.amdhsa_next_free_sgpr 0
		.amdhsa_accum_offset 4
		.amdhsa_reserve_vcc 0
		.amdhsa_reserve_flat_scratch 0
		.amdhsa_float_round_mode_32 0
		.amdhsa_float_round_mode_16_64 0
		.amdhsa_float_denorm_mode_32 3
		.amdhsa_float_denorm_mode_16_64 3
		.amdhsa_dx10_clamp 1
		.amdhsa_ieee_mode 1
		.amdhsa_fp16_overflow 0
		.amdhsa_tg_split 0
		.amdhsa_exception_fp_ieee_invalid_op 0
		.amdhsa_exception_fp_denorm_src 0
		.amdhsa_exception_fp_ieee_div_zero 0
		.amdhsa_exception_fp_ieee_overflow 0
		.amdhsa_exception_fp_ieee_underflow 0
		.amdhsa_exception_fp_ieee_inexact 0
		.amdhsa_exception_int_div_zero 0
	.end_amdhsa_kernel
	.section	.text._ZN7rocprim17ROCPRIM_400000_NS6detail17trampoline_kernelINS0_14default_configENS1_20scan_config_selectorIsEEZZNS1_9scan_implILNS1_25lookback_scan_determinismE0ELb0ELb0ES3_N6thrust23THRUST_200600_302600_NS6detail15normal_iteratorINS9_10device_ptrIsEEEENS9_16discard_iteratorINS9_11use_defaultEEEsNS9_4plusIvEEsEEDaPvRmT3_T4_T5_mT6_P12ihipStream_tbENKUlT_T0_E_clISt17integral_constantIbLb1EESW_IbLb0EEEEDaSS_ST_EUlSS_E0_NS1_11comp_targetILNS1_3genE9ELNS1_11target_archE1100ELNS1_3gpuE3ELNS1_3repE0EEENS1_30default_config_static_selectorELNS0_4arch9wavefront6targetE1EEEvT1_,"axG",@progbits,_ZN7rocprim17ROCPRIM_400000_NS6detail17trampoline_kernelINS0_14default_configENS1_20scan_config_selectorIsEEZZNS1_9scan_implILNS1_25lookback_scan_determinismE0ELb0ELb0ES3_N6thrust23THRUST_200600_302600_NS6detail15normal_iteratorINS9_10device_ptrIsEEEENS9_16discard_iteratorINS9_11use_defaultEEEsNS9_4plusIvEEsEEDaPvRmT3_T4_T5_mT6_P12ihipStream_tbENKUlT_T0_E_clISt17integral_constantIbLb1EESW_IbLb0EEEEDaSS_ST_EUlSS_E0_NS1_11comp_targetILNS1_3genE9ELNS1_11target_archE1100ELNS1_3gpuE3ELNS1_3repE0EEENS1_30default_config_static_selectorELNS0_4arch9wavefront6targetE1EEEvT1_,comdat
.Lfunc_end5922:
	.size	_ZN7rocprim17ROCPRIM_400000_NS6detail17trampoline_kernelINS0_14default_configENS1_20scan_config_selectorIsEEZZNS1_9scan_implILNS1_25lookback_scan_determinismE0ELb0ELb0ES3_N6thrust23THRUST_200600_302600_NS6detail15normal_iteratorINS9_10device_ptrIsEEEENS9_16discard_iteratorINS9_11use_defaultEEEsNS9_4plusIvEEsEEDaPvRmT3_T4_T5_mT6_P12ihipStream_tbENKUlT_T0_E_clISt17integral_constantIbLb1EESW_IbLb0EEEEDaSS_ST_EUlSS_E0_NS1_11comp_targetILNS1_3genE9ELNS1_11target_archE1100ELNS1_3gpuE3ELNS1_3repE0EEENS1_30default_config_static_selectorELNS0_4arch9wavefront6targetE1EEEvT1_, .Lfunc_end5922-_ZN7rocprim17ROCPRIM_400000_NS6detail17trampoline_kernelINS0_14default_configENS1_20scan_config_selectorIsEEZZNS1_9scan_implILNS1_25lookback_scan_determinismE0ELb0ELb0ES3_N6thrust23THRUST_200600_302600_NS6detail15normal_iteratorINS9_10device_ptrIsEEEENS9_16discard_iteratorINS9_11use_defaultEEEsNS9_4plusIvEEsEEDaPvRmT3_T4_T5_mT6_P12ihipStream_tbENKUlT_T0_E_clISt17integral_constantIbLb1EESW_IbLb0EEEEDaSS_ST_EUlSS_E0_NS1_11comp_targetILNS1_3genE9ELNS1_11target_archE1100ELNS1_3gpuE3ELNS1_3repE0EEENS1_30default_config_static_selectorELNS0_4arch9wavefront6targetE1EEEvT1_
                                        ; -- End function
	.section	.AMDGPU.csdata,"",@progbits
; Kernel info:
; codeLenInByte = 0
; NumSgprs: 4
; NumVgprs: 0
; NumAgprs: 0
; TotalNumVgprs: 0
; ScratchSize: 0
; MemoryBound: 0
; FloatMode: 240
; IeeeMode: 1
; LDSByteSize: 0 bytes/workgroup (compile time only)
; SGPRBlocks: 0
; VGPRBlocks: 0
; NumSGPRsForWavesPerEU: 4
; NumVGPRsForWavesPerEU: 1
; AccumOffset: 4
; Occupancy: 8
; WaveLimiterHint : 0
; COMPUTE_PGM_RSRC2:SCRATCH_EN: 0
; COMPUTE_PGM_RSRC2:USER_SGPR: 6
; COMPUTE_PGM_RSRC2:TRAP_HANDLER: 0
; COMPUTE_PGM_RSRC2:TGID_X_EN: 1
; COMPUTE_PGM_RSRC2:TGID_Y_EN: 0
; COMPUTE_PGM_RSRC2:TGID_Z_EN: 0
; COMPUTE_PGM_RSRC2:TIDIG_COMP_CNT: 0
; COMPUTE_PGM_RSRC3_GFX90A:ACCUM_OFFSET: 0
; COMPUTE_PGM_RSRC3_GFX90A:TG_SPLIT: 0
	.section	.text._ZN7rocprim17ROCPRIM_400000_NS6detail17trampoline_kernelINS0_14default_configENS1_20scan_config_selectorIsEEZZNS1_9scan_implILNS1_25lookback_scan_determinismE0ELb0ELb0ES3_N6thrust23THRUST_200600_302600_NS6detail15normal_iteratorINS9_10device_ptrIsEEEENS9_16discard_iteratorINS9_11use_defaultEEEsNS9_4plusIvEEsEEDaPvRmT3_T4_T5_mT6_P12ihipStream_tbENKUlT_T0_E_clISt17integral_constantIbLb1EESW_IbLb0EEEEDaSS_ST_EUlSS_E0_NS1_11comp_targetILNS1_3genE8ELNS1_11target_archE1030ELNS1_3gpuE2ELNS1_3repE0EEENS1_30default_config_static_selectorELNS0_4arch9wavefront6targetE1EEEvT1_,"axG",@progbits,_ZN7rocprim17ROCPRIM_400000_NS6detail17trampoline_kernelINS0_14default_configENS1_20scan_config_selectorIsEEZZNS1_9scan_implILNS1_25lookback_scan_determinismE0ELb0ELb0ES3_N6thrust23THRUST_200600_302600_NS6detail15normal_iteratorINS9_10device_ptrIsEEEENS9_16discard_iteratorINS9_11use_defaultEEEsNS9_4plusIvEEsEEDaPvRmT3_T4_T5_mT6_P12ihipStream_tbENKUlT_T0_E_clISt17integral_constantIbLb1EESW_IbLb0EEEEDaSS_ST_EUlSS_E0_NS1_11comp_targetILNS1_3genE8ELNS1_11target_archE1030ELNS1_3gpuE2ELNS1_3repE0EEENS1_30default_config_static_selectorELNS0_4arch9wavefront6targetE1EEEvT1_,comdat
	.protected	_ZN7rocprim17ROCPRIM_400000_NS6detail17trampoline_kernelINS0_14default_configENS1_20scan_config_selectorIsEEZZNS1_9scan_implILNS1_25lookback_scan_determinismE0ELb0ELb0ES3_N6thrust23THRUST_200600_302600_NS6detail15normal_iteratorINS9_10device_ptrIsEEEENS9_16discard_iteratorINS9_11use_defaultEEEsNS9_4plusIvEEsEEDaPvRmT3_T4_T5_mT6_P12ihipStream_tbENKUlT_T0_E_clISt17integral_constantIbLb1EESW_IbLb0EEEEDaSS_ST_EUlSS_E0_NS1_11comp_targetILNS1_3genE8ELNS1_11target_archE1030ELNS1_3gpuE2ELNS1_3repE0EEENS1_30default_config_static_selectorELNS0_4arch9wavefront6targetE1EEEvT1_ ; -- Begin function _ZN7rocprim17ROCPRIM_400000_NS6detail17trampoline_kernelINS0_14default_configENS1_20scan_config_selectorIsEEZZNS1_9scan_implILNS1_25lookback_scan_determinismE0ELb0ELb0ES3_N6thrust23THRUST_200600_302600_NS6detail15normal_iteratorINS9_10device_ptrIsEEEENS9_16discard_iteratorINS9_11use_defaultEEEsNS9_4plusIvEEsEEDaPvRmT3_T4_T5_mT6_P12ihipStream_tbENKUlT_T0_E_clISt17integral_constantIbLb1EESW_IbLb0EEEEDaSS_ST_EUlSS_E0_NS1_11comp_targetILNS1_3genE8ELNS1_11target_archE1030ELNS1_3gpuE2ELNS1_3repE0EEENS1_30default_config_static_selectorELNS0_4arch9wavefront6targetE1EEEvT1_
	.globl	_ZN7rocprim17ROCPRIM_400000_NS6detail17trampoline_kernelINS0_14default_configENS1_20scan_config_selectorIsEEZZNS1_9scan_implILNS1_25lookback_scan_determinismE0ELb0ELb0ES3_N6thrust23THRUST_200600_302600_NS6detail15normal_iteratorINS9_10device_ptrIsEEEENS9_16discard_iteratorINS9_11use_defaultEEEsNS9_4plusIvEEsEEDaPvRmT3_T4_T5_mT6_P12ihipStream_tbENKUlT_T0_E_clISt17integral_constantIbLb1EESW_IbLb0EEEEDaSS_ST_EUlSS_E0_NS1_11comp_targetILNS1_3genE8ELNS1_11target_archE1030ELNS1_3gpuE2ELNS1_3repE0EEENS1_30default_config_static_selectorELNS0_4arch9wavefront6targetE1EEEvT1_
	.p2align	8
	.type	_ZN7rocprim17ROCPRIM_400000_NS6detail17trampoline_kernelINS0_14default_configENS1_20scan_config_selectorIsEEZZNS1_9scan_implILNS1_25lookback_scan_determinismE0ELb0ELb0ES3_N6thrust23THRUST_200600_302600_NS6detail15normal_iteratorINS9_10device_ptrIsEEEENS9_16discard_iteratorINS9_11use_defaultEEEsNS9_4plusIvEEsEEDaPvRmT3_T4_T5_mT6_P12ihipStream_tbENKUlT_T0_E_clISt17integral_constantIbLb1EESW_IbLb0EEEEDaSS_ST_EUlSS_E0_NS1_11comp_targetILNS1_3genE8ELNS1_11target_archE1030ELNS1_3gpuE2ELNS1_3repE0EEENS1_30default_config_static_selectorELNS0_4arch9wavefront6targetE1EEEvT1_,@function
_ZN7rocprim17ROCPRIM_400000_NS6detail17trampoline_kernelINS0_14default_configENS1_20scan_config_selectorIsEEZZNS1_9scan_implILNS1_25lookback_scan_determinismE0ELb0ELb0ES3_N6thrust23THRUST_200600_302600_NS6detail15normal_iteratorINS9_10device_ptrIsEEEENS9_16discard_iteratorINS9_11use_defaultEEEsNS9_4plusIvEEsEEDaPvRmT3_T4_T5_mT6_P12ihipStream_tbENKUlT_T0_E_clISt17integral_constantIbLb1EESW_IbLb0EEEEDaSS_ST_EUlSS_E0_NS1_11comp_targetILNS1_3genE8ELNS1_11target_archE1030ELNS1_3gpuE2ELNS1_3repE0EEENS1_30default_config_static_selectorELNS0_4arch9wavefront6targetE1EEEvT1_: ; @_ZN7rocprim17ROCPRIM_400000_NS6detail17trampoline_kernelINS0_14default_configENS1_20scan_config_selectorIsEEZZNS1_9scan_implILNS1_25lookback_scan_determinismE0ELb0ELb0ES3_N6thrust23THRUST_200600_302600_NS6detail15normal_iteratorINS9_10device_ptrIsEEEENS9_16discard_iteratorINS9_11use_defaultEEEsNS9_4plusIvEEsEEDaPvRmT3_T4_T5_mT6_P12ihipStream_tbENKUlT_T0_E_clISt17integral_constantIbLb1EESW_IbLb0EEEEDaSS_ST_EUlSS_E0_NS1_11comp_targetILNS1_3genE8ELNS1_11target_archE1030ELNS1_3gpuE2ELNS1_3repE0EEENS1_30default_config_static_selectorELNS0_4arch9wavefront6targetE1EEEvT1_
; %bb.0:
	.section	.rodata,"a",@progbits
	.p2align	6, 0x0
	.amdhsa_kernel _ZN7rocprim17ROCPRIM_400000_NS6detail17trampoline_kernelINS0_14default_configENS1_20scan_config_selectorIsEEZZNS1_9scan_implILNS1_25lookback_scan_determinismE0ELb0ELb0ES3_N6thrust23THRUST_200600_302600_NS6detail15normal_iteratorINS9_10device_ptrIsEEEENS9_16discard_iteratorINS9_11use_defaultEEEsNS9_4plusIvEEsEEDaPvRmT3_T4_T5_mT6_P12ihipStream_tbENKUlT_T0_E_clISt17integral_constantIbLb1EESW_IbLb0EEEEDaSS_ST_EUlSS_E0_NS1_11comp_targetILNS1_3genE8ELNS1_11target_archE1030ELNS1_3gpuE2ELNS1_3repE0EEENS1_30default_config_static_selectorELNS0_4arch9wavefront6targetE1EEEvT1_
		.amdhsa_group_segment_fixed_size 0
		.amdhsa_private_segment_fixed_size 0
		.amdhsa_kernarg_size 40
		.amdhsa_user_sgpr_count 6
		.amdhsa_user_sgpr_private_segment_buffer 1
		.amdhsa_user_sgpr_dispatch_ptr 0
		.amdhsa_user_sgpr_queue_ptr 0
		.amdhsa_user_sgpr_kernarg_segment_ptr 1
		.amdhsa_user_sgpr_dispatch_id 0
		.amdhsa_user_sgpr_flat_scratch_init 0
		.amdhsa_user_sgpr_kernarg_preload_length 0
		.amdhsa_user_sgpr_kernarg_preload_offset 0
		.amdhsa_user_sgpr_private_segment_size 0
		.amdhsa_uses_dynamic_stack 0
		.amdhsa_system_sgpr_private_segment_wavefront_offset 0
		.amdhsa_system_sgpr_workgroup_id_x 1
		.amdhsa_system_sgpr_workgroup_id_y 0
		.amdhsa_system_sgpr_workgroup_id_z 0
		.amdhsa_system_sgpr_workgroup_info 0
		.amdhsa_system_vgpr_workitem_id 0
		.amdhsa_next_free_vgpr 1
		.amdhsa_next_free_sgpr 0
		.amdhsa_accum_offset 4
		.amdhsa_reserve_vcc 0
		.amdhsa_reserve_flat_scratch 0
		.amdhsa_float_round_mode_32 0
		.amdhsa_float_round_mode_16_64 0
		.amdhsa_float_denorm_mode_32 3
		.amdhsa_float_denorm_mode_16_64 3
		.amdhsa_dx10_clamp 1
		.amdhsa_ieee_mode 1
		.amdhsa_fp16_overflow 0
		.amdhsa_tg_split 0
		.amdhsa_exception_fp_ieee_invalid_op 0
		.amdhsa_exception_fp_denorm_src 0
		.amdhsa_exception_fp_ieee_div_zero 0
		.amdhsa_exception_fp_ieee_overflow 0
		.amdhsa_exception_fp_ieee_underflow 0
		.amdhsa_exception_fp_ieee_inexact 0
		.amdhsa_exception_int_div_zero 0
	.end_amdhsa_kernel
	.section	.text._ZN7rocprim17ROCPRIM_400000_NS6detail17trampoline_kernelINS0_14default_configENS1_20scan_config_selectorIsEEZZNS1_9scan_implILNS1_25lookback_scan_determinismE0ELb0ELb0ES3_N6thrust23THRUST_200600_302600_NS6detail15normal_iteratorINS9_10device_ptrIsEEEENS9_16discard_iteratorINS9_11use_defaultEEEsNS9_4plusIvEEsEEDaPvRmT3_T4_T5_mT6_P12ihipStream_tbENKUlT_T0_E_clISt17integral_constantIbLb1EESW_IbLb0EEEEDaSS_ST_EUlSS_E0_NS1_11comp_targetILNS1_3genE8ELNS1_11target_archE1030ELNS1_3gpuE2ELNS1_3repE0EEENS1_30default_config_static_selectorELNS0_4arch9wavefront6targetE1EEEvT1_,"axG",@progbits,_ZN7rocprim17ROCPRIM_400000_NS6detail17trampoline_kernelINS0_14default_configENS1_20scan_config_selectorIsEEZZNS1_9scan_implILNS1_25lookback_scan_determinismE0ELb0ELb0ES3_N6thrust23THRUST_200600_302600_NS6detail15normal_iteratorINS9_10device_ptrIsEEEENS9_16discard_iteratorINS9_11use_defaultEEEsNS9_4plusIvEEsEEDaPvRmT3_T4_T5_mT6_P12ihipStream_tbENKUlT_T0_E_clISt17integral_constantIbLb1EESW_IbLb0EEEEDaSS_ST_EUlSS_E0_NS1_11comp_targetILNS1_3genE8ELNS1_11target_archE1030ELNS1_3gpuE2ELNS1_3repE0EEENS1_30default_config_static_selectorELNS0_4arch9wavefront6targetE1EEEvT1_,comdat
.Lfunc_end5923:
	.size	_ZN7rocprim17ROCPRIM_400000_NS6detail17trampoline_kernelINS0_14default_configENS1_20scan_config_selectorIsEEZZNS1_9scan_implILNS1_25lookback_scan_determinismE0ELb0ELb0ES3_N6thrust23THRUST_200600_302600_NS6detail15normal_iteratorINS9_10device_ptrIsEEEENS9_16discard_iteratorINS9_11use_defaultEEEsNS9_4plusIvEEsEEDaPvRmT3_T4_T5_mT6_P12ihipStream_tbENKUlT_T0_E_clISt17integral_constantIbLb1EESW_IbLb0EEEEDaSS_ST_EUlSS_E0_NS1_11comp_targetILNS1_3genE8ELNS1_11target_archE1030ELNS1_3gpuE2ELNS1_3repE0EEENS1_30default_config_static_selectorELNS0_4arch9wavefront6targetE1EEEvT1_, .Lfunc_end5923-_ZN7rocprim17ROCPRIM_400000_NS6detail17trampoline_kernelINS0_14default_configENS1_20scan_config_selectorIsEEZZNS1_9scan_implILNS1_25lookback_scan_determinismE0ELb0ELb0ES3_N6thrust23THRUST_200600_302600_NS6detail15normal_iteratorINS9_10device_ptrIsEEEENS9_16discard_iteratorINS9_11use_defaultEEEsNS9_4plusIvEEsEEDaPvRmT3_T4_T5_mT6_P12ihipStream_tbENKUlT_T0_E_clISt17integral_constantIbLb1EESW_IbLb0EEEEDaSS_ST_EUlSS_E0_NS1_11comp_targetILNS1_3genE8ELNS1_11target_archE1030ELNS1_3gpuE2ELNS1_3repE0EEENS1_30default_config_static_selectorELNS0_4arch9wavefront6targetE1EEEvT1_
                                        ; -- End function
	.section	.AMDGPU.csdata,"",@progbits
; Kernel info:
; codeLenInByte = 0
; NumSgprs: 4
; NumVgprs: 0
; NumAgprs: 0
; TotalNumVgprs: 0
; ScratchSize: 0
; MemoryBound: 0
; FloatMode: 240
; IeeeMode: 1
; LDSByteSize: 0 bytes/workgroup (compile time only)
; SGPRBlocks: 0
; VGPRBlocks: 0
; NumSGPRsForWavesPerEU: 4
; NumVGPRsForWavesPerEU: 1
; AccumOffset: 4
; Occupancy: 8
; WaveLimiterHint : 0
; COMPUTE_PGM_RSRC2:SCRATCH_EN: 0
; COMPUTE_PGM_RSRC2:USER_SGPR: 6
; COMPUTE_PGM_RSRC2:TRAP_HANDLER: 0
; COMPUTE_PGM_RSRC2:TGID_X_EN: 1
; COMPUTE_PGM_RSRC2:TGID_Y_EN: 0
; COMPUTE_PGM_RSRC2:TGID_Z_EN: 0
; COMPUTE_PGM_RSRC2:TIDIG_COMP_CNT: 0
; COMPUTE_PGM_RSRC3_GFX90A:ACCUM_OFFSET: 0
; COMPUTE_PGM_RSRC3_GFX90A:TG_SPLIT: 0
	.section	.text._ZN7rocprim17ROCPRIM_400000_NS6detail17trampoline_kernelINS0_14default_configENS1_20scan_config_selectorIsEEZZNS1_9scan_implILNS1_25lookback_scan_determinismE0ELb0ELb0ES3_N6thrust23THRUST_200600_302600_NS6detail15normal_iteratorINS9_10device_ptrIsEEEENS9_16discard_iteratorINS9_11use_defaultEEEsNS9_4plusIvEEsEEDaPvRmT3_T4_T5_mT6_P12ihipStream_tbENKUlT_T0_E_clISt17integral_constantIbLb0EESW_IbLb1EEEEDaSS_ST_EUlSS_E_NS1_11comp_targetILNS1_3genE0ELNS1_11target_archE4294967295ELNS1_3gpuE0ELNS1_3repE0EEENS1_30default_config_static_selectorELNS0_4arch9wavefront6targetE1EEEvT1_,"axG",@progbits,_ZN7rocprim17ROCPRIM_400000_NS6detail17trampoline_kernelINS0_14default_configENS1_20scan_config_selectorIsEEZZNS1_9scan_implILNS1_25lookback_scan_determinismE0ELb0ELb0ES3_N6thrust23THRUST_200600_302600_NS6detail15normal_iteratorINS9_10device_ptrIsEEEENS9_16discard_iteratorINS9_11use_defaultEEEsNS9_4plusIvEEsEEDaPvRmT3_T4_T5_mT6_P12ihipStream_tbENKUlT_T0_E_clISt17integral_constantIbLb0EESW_IbLb1EEEEDaSS_ST_EUlSS_E_NS1_11comp_targetILNS1_3genE0ELNS1_11target_archE4294967295ELNS1_3gpuE0ELNS1_3repE0EEENS1_30default_config_static_selectorELNS0_4arch9wavefront6targetE1EEEvT1_,comdat
	.protected	_ZN7rocprim17ROCPRIM_400000_NS6detail17trampoline_kernelINS0_14default_configENS1_20scan_config_selectorIsEEZZNS1_9scan_implILNS1_25lookback_scan_determinismE0ELb0ELb0ES3_N6thrust23THRUST_200600_302600_NS6detail15normal_iteratorINS9_10device_ptrIsEEEENS9_16discard_iteratorINS9_11use_defaultEEEsNS9_4plusIvEEsEEDaPvRmT3_T4_T5_mT6_P12ihipStream_tbENKUlT_T0_E_clISt17integral_constantIbLb0EESW_IbLb1EEEEDaSS_ST_EUlSS_E_NS1_11comp_targetILNS1_3genE0ELNS1_11target_archE4294967295ELNS1_3gpuE0ELNS1_3repE0EEENS1_30default_config_static_selectorELNS0_4arch9wavefront6targetE1EEEvT1_ ; -- Begin function _ZN7rocprim17ROCPRIM_400000_NS6detail17trampoline_kernelINS0_14default_configENS1_20scan_config_selectorIsEEZZNS1_9scan_implILNS1_25lookback_scan_determinismE0ELb0ELb0ES3_N6thrust23THRUST_200600_302600_NS6detail15normal_iteratorINS9_10device_ptrIsEEEENS9_16discard_iteratorINS9_11use_defaultEEEsNS9_4plusIvEEsEEDaPvRmT3_T4_T5_mT6_P12ihipStream_tbENKUlT_T0_E_clISt17integral_constantIbLb0EESW_IbLb1EEEEDaSS_ST_EUlSS_E_NS1_11comp_targetILNS1_3genE0ELNS1_11target_archE4294967295ELNS1_3gpuE0ELNS1_3repE0EEENS1_30default_config_static_selectorELNS0_4arch9wavefront6targetE1EEEvT1_
	.globl	_ZN7rocprim17ROCPRIM_400000_NS6detail17trampoline_kernelINS0_14default_configENS1_20scan_config_selectorIsEEZZNS1_9scan_implILNS1_25lookback_scan_determinismE0ELb0ELb0ES3_N6thrust23THRUST_200600_302600_NS6detail15normal_iteratorINS9_10device_ptrIsEEEENS9_16discard_iteratorINS9_11use_defaultEEEsNS9_4plusIvEEsEEDaPvRmT3_T4_T5_mT6_P12ihipStream_tbENKUlT_T0_E_clISt17integral_constantIbLb0EESW_IbLb1EEEEDaSS_ST_EUlSS_E_NS1_11comp_targetILNS1_3genE0ELNS1_11target_archE4294967295ELNS1_3gpuE0ELNS1_3repE0EEENS1_30default_config_static_selectorELNS0_4arch9wavefront6targetE1EEEvT1_
	.p2align	8
	.type	_ZN7rocprim17ROCPRIM_400000_NS6detail17trampoline_kernelINS0_14default_configENS1_20scan_config_selectorIsEEZZNS1_9scan_implILNS1_25lookback_scan_determinismE0ELb0ELb0ES3_N6thrust23THRUST_200600_302600_NS6detail15normal_iteratorINS9_10device_ptrIsEEEENS9_16discard_iteratorINS9_11use_defaultEEEsNS9_4plusIvEEsEEDaPvRmT3_T4_T5_mT6_P12ihipStream_tbENKUlT_T0_E_clISt17integral_constantIbLb0EESW_IbLb1EEEEDaSS_ST_EUlSS_E_NS1_11comp_targetILNS1_3genE0ELNS1_11target_archE4294967295ELNS1_3gpuE0ELNS1_3repE0EEENS1_30default_config_static_selectorELNS0_4arch9wavefront6targetE1EEEvT1_,@function
_ZN7rocprim17ROCPRIM_400000_NS6detail17trampoline_kernelINS0_14default_configENS1_20scan_config_selectorIsEEZZNS1_9scan_implILNS1_25lookback_scan_determinismE0ELb0ELb0ES3_N6thrust23THRUST_200600_302600_NS6detail15normal_iteratorINS9_10device_ptrIsEEEENS9_16discard_iteratorINS9_11use_defaultEEEsNS9_4plusIvEEsEEDaPvRmT3_T4_T5_mT6_P12ihipStream_tbENKUlT_T0_E_clISt17integral_constantIbLb0EESW_IbLb1EEEEDaSS_ST_EUlSS_E_NS1_11comp_targetILNS1_3genE0ELNS1_11target_archE4294967295ELNS1_3gpuE0ELNS1_3repE0EEENS1_30default_config_static_selectorELNS0_4arch9wavefront6targetE1EEEvT1_: ; @_ZN7rocprim17ROCPRIM_400000_NS6detail17trampoline_kernelINS0_14default_configENS1_20scan_config_selectorIsEEZZNS1_9scan_implILNS1_25lookback_scan_determinismE0ELb0ELb0ES3_N6thrust23THRUST_200600_302600_NS6detail15normal_iteratorINS9_10device_ptrIsEEEENS9_16discard_iteratorINS9_11use_defaultEEEsNS9_4plusIvEEsEEDaPvRmT3_T4_T5_mT6_P12ihipStream_tbENKUlT_T0_E_clISt17integral_constantIbLb0EESW_IbLb1EEEEDaSS_ST_EUlSS_E_NS1_11comp_targetILNS1_3genE0ELNS1_11target_archE4294967295ELNS1_3gpuE0ELNS1_3repE0EEENS1_30default_config_static_selectorELNS0_4arch9wavefront6targetE1EEEvT1_
; %bb.0:
	.section	.rodata,"a",@progbits
	.p2align	6, 0x0
	.amdhsa_kernel _ZN7rocprim17ROCPRIM_400000_NS6detail17trampoline_kernelINS0_14default_configENS1_20scan_config_selectorIsEEZZNS1_9scan_implILNS1_25lookback_scan_determinismE0ELb0ELb0ES3_N6thrust23THRUST_200600_302600_NS6detail15normal_iteratorINS9_10device_ptrIsEEEENS9_16discard_iteratorINS9_11use_defaultEEEsNS9_4plusIvEEsEEDaPvRmT3_T4_T5_mT6_P12ihipStream_tbENKUlT_T0_E_clISt17integral_constantIbLb0EESW_IbLb1EEEEDaSS_ST_EUlSS_E_NS1_11comp_targetILNS1_3genE0ELNS1_11target_archE4294967295ELNS1_3gpuE0ELNS1_3repE0EEENS1_30default_config_static_selectorELNS0_4arch9wavefront6targetE1EEEvT1_
		.amdhsa_group_segment_fixed_size 0
		.amdhsa_private_segment_fixed_size 0
		.amdhsa_kernarg_size 104
		.amdhsa_user_sgpr_count 6
		.amdhsa_user_sgpr_private_segment_buffer 1
		.amdhsa_user_sgpr_dispatch_ptr 0
		.amdhsa_user_sgpr_queue_ptr 0
		.amdhsa_user_sgpr_kernarg_segment_ptr 1
		.amdhsa_user_sgpr_dispatch_id 0
		.amdhsa_user_sgpr_flat_scratch_init 0
		.amdhsa_user_sgpr_kernarg_preload_length 0
		.amdhsa_user_sgpr_kernarg_preload_offset 0
		.amdhsa_user_sgpr_private_segment_size 0
		.amdhsa_uses_dynamic_stack 0
		.amdhsa_system_sgpr_private_segment_wavefront_offset 0
		.amdhsa_system_sgpr_workgroup_id_x 1
		.amdhsa_system_sgpr_workgroup_id_y 0
		.amdhsa_system_sgpr_workgroup_id_z 0
		.amdhsa_system_sgpr_workgroup_info 0
		.amdhsa_system_vgpr_workitem_id 0
		.amdhsa_next_free_vgpr 1
		.amdhsa_next_free_sgpr 0
		.amdhsa_accum_offset 4
		.amdhsa_reserve_vcc 0
		.amdhsa_reserve_flat_scratch 0
		.amdhsa_float_round_mode_32 0
		.amdhsa_float_round_mode_16_64 0
		.amdhsa_float_denorm_mode_32 3
		.amdhsa_float_denorm_mode_16_64 3
		.amdhsa_dx10_clamp 1
		.amdhsa_ieee_mode 1
		.amdhsa_fp16_overflow 0
		.amdhsa_tg_split 0
		.amdhsa_exception_fp_ieee_invalid_op 0
		.amdhsa_exception_fp_denorm_src 0
		.amdhsa_exception_fp_ieee_div_zero 0
		.amdhsa_exception_fp_ieee_overflow 0
		.amdhsa_exception_fp_ieee_underflow 0
		.amdhsa_exception_fp_ieee_inexact 0
		.amdhsa_exception_int_div_zero 0
	.end_amdhsa_kernel
	.section	.text._ZN7rocprim17ROCPRIM_400000_NS6detail17trampoline_kernelINS0_14default_configENS1_20scan_config_selectorIsEEZZNS1_9scan_implILNS1_25lookback_scan_determinismE0ELb0ELb0ES3_N6thrust23THRUST_200600_302600_NS6detail15normal_iteratorINS9_10device_ptrIsEEEENS9_16discard_iteratorINS9_11use_defaultEEEsNS9_4plusIvEEsEEDaPvRmT3_T4_T5_mT6_P12ihipStream_tbENKUlT_T0_E_clISt17integral_constantIbLb0EESW_IbLb1EEEEDaSS_ST_EUlSS_E_NS1_11comp_targetILNS1_3genE0ELNS1_11target_archE4294967295ELNS1_3gpuE0ELNS1_3repE0EEENS1_30default_config_static_selectorELNS0_4arch9wavefront6targetE1EEEvT1_,"axG",@progbits,_ZN7rocprim17ROCPRIM_400000_NS6detail17trampoline_kernelINS0_14default_configENS1_20scan_config_selectorIsEEZZNS1_9scan_implILNS1_25lookback_scan_determinismE0ELb0ELb0ES3_N6thrust23THRUST_200600_302600_NS6detail15normal_iteratorINS9_10device_ptrIsEEEENS9_16discard_iteratorINS9_11use_defaultEEEsNS9_4plusIvEEsEEDaPvRmT3_T4_T5_mT6_P12ihipStream_tbENKUlT_T0_E_clISt17integral_constantIbLb0EESW_IbLb1EEEEDaSS_ST_EUlSS_E_NS1_11comp_targetILNS1_3genE0ELNS1_11target_archE4294967295ELNS1_3gpuE0ELNS1_3repE0EEENS1_30default_config_static_selectorELNS0_4arch9wavefront6targetE1EEEvT1_,comdat
.Lfunc_end5924:
	.size	_ZN7rocprim17ROCPRIM_400000_NS6detail17trampoline_kernelINS0_14default_configENS1_20scan_config_selectorIsEEZZNS1_9scan_implILNS1_25lookback_scan_determinismE0ELb0ELb0ES3_N6thrust23THRUST_200600_302600_NS6detail15normal_iteratorINS9_10device_ptrIsEEEENS9_16discard_iteratorINS9_11use_defaultEEEsNS9_4plusIvEEsEEDaPvRmT3_T4_T5_mT6_P12ihipStream_tbENKUlT_T0_E_clISt17integral_constantIbLb0EESW_IbLb1EEEEDaSS_ST_EUlSS_E_NS1_11comp_targetILNS1_3genE0ELNS1_11target_archE4294967295ELNS1_3gpuE0ELNS1_3repE0EEENS1_30default_config_static_selectorELNS0_4arch9wavefront6targetE1EEEvT1_, .Lfunc_end5924-_ZN7rocprim17ROCPRIM_400000_NS6detail17trampoline_kernelINS0_14default_configENS1_20scan_config_selectorIsEEZZNS1_9scan_implILNS1_25lookback_scan_determinismE0ELb0ELb0ES3_N6thrust23THRUST_200600_302600_NS6detail15normal_iteratorINS9_10device_ptrIsEEEENS9_16discard_iteratorINS9_11use_defaultEEEsNS9_4plusIvEEsEEDaPvRmT3_T4_T5_mT6_P12ihipStream_tbENKUlT_T0_E_clISt17integral_constantIbLb0EESW_IbLb1EEEEDaSS_ST_EUlSS_E_NS1_11comp_targetILNS1_3genE0ELNS1_11target_archE4294967295ELNS1_3gpuE0ELNS1_3repE0EEENS1_30default_config_static_selectorELNS0_4arch9wavefront6targetE1EEEvT1_
                                        ; -- End function
	.section	.AMDGPU.csdata,"",@progbits
; Kernel info:
; codeLenInByte = 0
; NumSgprs: 4
; NumVgprs: 0
; NumAgprs: 0
; TotalNumVgprs: 0
; ScratchSize: 0
; MemoryBound: 0
; FloatMode: 240
; IeeeMode: 1
; LDSByteSize: 0 bytes/workgroup (compile time only)
; SGPRBlocks: 0
; VGPRBlocks: 0
; NumSGPRsForWavesPerEU: 4
; NumVGPRsForWavesPerEU: 1
; AccumOffset: 4
; Occupancy: 8
; WaveLimiterHint : 0
; COMPUTE_PGM_RSRC2:SCRATCH_EN: 0
; COMPUTE_PGM_RSRC2:USER_SGPR: 6
; COMPUTE_PGM_RSRC2:TRAP_HANDLER: 0
; COMPUTE_PGM_RSRC2:TGID_X_EN: 1
; COMPUTE_PGM_RSRC2:TGID_Y_EN: 0
; COMPUTE_PGM_RSRC2:TGID_Z_EN: 0
; COMPUTE_PGM_RSRC2:TIDIG_COMP_CNT: 0
; COMPUTE_PGM_RSRC3_GFX90A:ACCUM_OFFSET: 0
; COMPUTE_PGM_RSRC3_GFX90A:TG_SPLIT: 0
	.section	.text._ZN7rocprim17ROCPRIM_400000_NS6detail17trampoline_kernelINS0_14default_configENS1_20scan_config_selectorIsEEZZNS1_9scan_implILNS1_25lookback_scan_determinismE0ELb0ELb0ES3_N6thrust23THRUST_200600_302600_NS6detail15normal_iteratorINS9_10device_ptrIsEEEENS9_16discard_iteratorINS9_11use_defaultEEEsNS9_4plusIvEEsEEDaPvRmT3_T4_T5_mT6_P12ihipStream_tbENKUlT_T0_E_clISt17integral_constantIbLb0EESW_IbLb1EEEEDaSS_ST_EUlSS_E_NS1_11comp_targetILNS1_3genE5ELNS1_11target_archE942ELNS1_3gpuE9ELNS1_3repE0EEENS1_30default_config_static_selectorELNS0_4arch9wavefront6targetE1EEEvT1_,"axG",@progbits,_ZN7rocprim17ROCPRIM_400000_NS6detail17trampoline_kernelINS0_14default_configENS1_20scan_config_selectorIsEEZZNS1_9scan_implILNS1_25lookback_scan_determinismE0ELb0ELb0ES3_N6thrust23THRUST_200600_302600_NS6detail15normal_iteratorINS9_10device_ptrIsEEEENS9_16discard_iteratorINS9_11use_defaultEEEsNS9_4plusIvEEsEEDaPvRmT3_T4_T5_mT6_P12ihipStream_tbENKUlT_T0_E_clISt17integral_constantIbLb0EESW_IbLb1EEEEDaSS_ST_EUlSS_E_NS1_11comp_targetILNS1_3genE5ELNS1_11target_archE942ELNS1_3gpuE9ELNS1_3repE0EEENS1_30default_config_static_selectorELNS0_4arch9wavefront6targetE1EEEvT1_,comdat
	.protected	_ZN7rocprim17ROCPRIM_400000_NS6detail17trampoline_kernelINS0_14default_configENS1_20scan_config_selectorIsEEZZNS1_9scan_implILNS1_25lookback_scan_determinismE0ELb0ELb0ES3_N6thrust23THRUST_200600_302600_NS6detail15normal_iteratorINS9_10device_ptrIsEEEENS9_16discard_iteratorINS9_11use_defaultEEEsNS9_4plusIvEEsEEDaPvRmT3_T4_T5_mT6_P12ihipStream_tbENKUlT_T0_E_clISt17integral_constantIbLb0EESW_IbLb1EEEEDaSS_ST_EUlSS_E_NS1_11comp_targetILNS1_3genE5ELNS1_11target_archE942ELNS1_3gpuE9ELNS1_3repE0EEENS1_30default_config_static_selectorELNS0_4arch9wavefront6targetE1EEEvT1_ ; -- Begin function _ZN7rocprim17ROCPRIM_400000_NS6detail17trampoline_kernelINS0_14default_configENS1_20scan_config_selectorIsEEZZNS1_9scan_implILNS1_25lookback_scan_determinismE0ELb0ELb0ES3_N6thrust23THRUST_200600_302600_NS6detail15normal_iteratorINS9_10device_ptrIsEEEENS9_16discard_iteratorINS9_11use_defaultEEEsNS9_4plusIvEEsEEDaPvRmT3_T4_T5_mT6_P12ihipStream_tbENKUlT_T0_E_clISt17integral_constantIbLb0EESW_IbLb1EEEEDaSS_ST_EUlSS_E_NS1_11comp_targetILNS1_3genE5ELNS1_11target_archE942ELNS1_3gpuE9ELNS1_3repE0EEENS1_30default_config_static_selectorELNS0_4arch9wavefront6targetE1EEEvT1_
	.globl	_ZN7rocprim17ROCPRIM_400000_NS6detail17trampoline_kernelINS0_14default_configENS1_20scan_config_selectorIsEEZZNS1_9scan_implILNS1_25lookback_scan_determinismE0ELb0ELb0ES3_N6thrust23THRUST_200600_302600_NS6detail15normal_iteratorINS9_10device_ptrIsEEEENS9_16discard_iteratorINS9_11use_defaultEEEsNS9_4plusIvEEsEEDaPvRmT3_T4_T5_mT6_P12ihipStream_tbENKUlT_T0_E_clISt17integral_constantIbLb0EESW_IbLb1EEEEDaSS_ST_EUlSS_E_NS1_11comp_targetILNS1_3genE5ELNS1_11target_archE942ELNS1_3gpuE9ELNS1_3repE0EEENS1_30default_config_static_selectorELNS0_4arch9wavefront6targetE1EEEvT1_
	.p2align	8
	.type	_ZN7rocprim17ROCPRIM_400000_NS6detail17trampoline_kernelINS0_14default_configENS1_20scan_config_selectorIsEEZZNS1_9scan_implILNS1_25lookback_scan_determinismE0ELb0ELb0ES3_N6thrust23THRUST_200600_302600_NS6detail15normal_iteratorINS9_10device_ptrIsEEEENS9_16discard_iteratorINS9_11use_defaultEEEsNS9_4plusIvEEsEEDaPvRmT3_T4_T5_mT6_P12ihipStream_tbENKUlT_T0_E_clISt17integral_constantIbLb0EESW_IbLb1EEEEDaSS_ST_EUlSS_E_NS1_11comp_targetILNS1_3genE5ELNS1_11target_archE942ELNS1_3gpuE9ELNS1_3repE0EEENS1_30default_config_static_selectorELNS0_4arch9wavefront6targetE1EEEvT1_,@function
_ZN7rocprim17ROCPRIM_400000_NS6detail17trampoline_kernelINS0_14default_configENS1_20scan_config_selectorIsEEZZNS1_9scan_implILNS1_25lookback_scan_determinismE0ELb0ELb0ES3_N6thrust23THRUST_200600_302600_NS6detail15normal_iteratorINS9_10device_ptrIsEEEENS9_16discard_iteratorINS9_11use_defaultEEEsNS9_4plusIvEEsEEDaPvRmT3_T4_T5_mT6_P12ihipStream_tbENKUlT_T0_E_clISt17integral_constantIbLb0EESW_IbLb1EEEEDaSS_ST_EUlSS_E_NS1_11comp_targetILNS1_3genE5ELNS1_11target_archE942ELNS1_3gpuE9ELNS1_3repE0EEENS1_30default_config_static_selectorELNS0_4arch9wavefront6targetE1EEEvT1_: ; @_ZN7rocprim17ROCPRIM_400000_NS6detail17trampoline_kernelINS0_14default_configENS1_20scan_config_selectorIsEEZZNS1_9scan_implILNS1_25lookback_scan_determinismE0ELb0ELb0ES3_N6thrust23THRUST_200600_302600_NS6detail15normal_iteratorINS9_10device_ptrIsEEEENS9_16discard_iteratorINS9_11use_defaultEEEsNS9_4plusIvEEsEEDaPvRmT3_T4_T5_mT6_P12ihipStream_tbENKUlT_T0_E_clISt17integral_constantIbLb0EESW_IbLb1EEEEDaSS_ST_EUlSS_E_NS1_11comp_targetILNS1_3genE5ELNS1_11target_archE942ELNS1_3gpuE9ELNS1_3repE0EEENS1_30default_config_static_selectorELNS0_4arch9wavefront6targetE1EEEvT1_
; %bb.0:
	.section	.rodata,"a",@progbits
	.p2align	6, 0x0
	.amdhsa_kernel _ZN7rocprim17ROCPRIM_400000_NS6detail17trampoline_kernelINS0_14default_configENS1_20scan_config_selectorIsEEZZNS1_9scan_implILNS1_25lookback_scan_determinismE0ELb0ELb0ES3_N6thrust23THRUST_200600_302600_NS6detail15normal_iteratorINS9_10device_ptrIsEEEENS9_16discard_iteratorINS9_11use_defaultEEEsNS9_4plusIvEEsEEDaPvRmT3_T4_T5_mT6_P12ihipStream_tbENKUlT_T0_E_clISt17integral_constantIbLb0EESW_IbLb1EEEEDaSS_ST_EUlSS_E_NS1_11comp_targetILNS1_3genE5ELNS1_11target_archE942ELNS1_3gpuE9ELNS1_3repE0EEENS1_30default_config_static_selectorELNS0_4arch9wavefront6targetE1EEEvT1_
		.amdhsa_group_segment_fixed_size 0
		.amdhsa_private_segment_fixed_size 0
		.amdhsa_kernarg_size 104
		.amdhsa_user_sgpr_count 6
		.amdhsa_user_sgpr_private_segment_buffer 1
		.amdhsa_user_sgpr_dispatch_ptr 0
		.amdhsa_user_sgpr_queue_ptr 0
		.amdhsa_user_sgpr_kernarg_segment_ptr 1
		.amdhsa_user_sgpr_dispatch_id 0
		.amdhsa_user_sgpr_flat_scratch_init 0
		.amdhsa_user_sgpr_kernarg_preload_length 0
		.amdhsa_user_sgpr_kernarg_preload_offset 0
		.amdhsa_user_sgpr_private_segment_size 0
		.amdhsa_uses_dynamic_stack 0
		.amdhsa_system_sgpr_private_segment_wavefront_offset 0
		.amdhsa_system_sgpr_workgroup_id_x 1
		.amdhsa_system_sgpr_workgroup_id_y 0
		.amdhsa_system_sgpr_workgroup_id_z 0
		.amdhsa_system_sgpr_workgroup_info 0
		.amdhsa_system_vgpr_workitem_id 0
		.amdhsa_next_free_vgpr 1
		.amdhsa_next_free_sgpr 0
		.amdhsa_accum_offset 4
		.amdhsa_reserve_vcc 0
		.amdhsa_reserve_flat_scratch 0
		.amdhsa_float_round_mode_32 0
		.amdhsa_float_round_mode_16_64 0
		.amdhsa_float_denorm_mode_32 3
		.amdhsa_float_denorm_mode_16_64 3
		.amdhsa_dx10_clamp 1
		.amdhsa_ieee_mode 1
		.amdhsa_fp16_overflow 0
		.amdhsa_tg_split 0
		.amdhsa_exception_fp_ieee_invalid_op 0
		.amdhsa_exception_fp_denorm_src 0
		.amdhsa_exception_fp_ieee_div_zero 0
		.amdhsa_exception_fp_ieee_overflow 0
		.amdhsa_exception_fp_ieee_underflow 0
		.amdhsa_exception_fp_ieee_inexact 0
		.amdhsa_exception_int_div_zero 0
	.end_amdhsa_kernel
	.section	.text._ZN7rocprim17ROCPRIM_400000_NS6detail17trampoline_kernelINS0_14default_configENS1_20scan_config_selectorIsEEZZNS1_9scan_implILNS1_25lookback_scan_determinismE0ELb0ELb0ES3_N6thrust23THRUST_200600_302600_NS6detail15normal_iteratorINS9_10device_ptrIsEEEENS9_16discard_iteratorINS9_11use_defaultEEEsNS9_4plusIvEEsEEDaPvRmT3_T4_T5_mT6_P12ihipStream_tbENKUlT_T0_E_clISt17integral_constantIbLb0EESW_IbLb1EEEEDaSS_ST_EUlSS_E_NS1_11comp_targetILNS1_3genE5ELNS1_11target_archE942ELNS1_3gpuE9ELNS1_3repE0EEENS1_30default_config_static_selectorELNS0_4arch9wavefront6targetE1EEEvT1_,"axG",@progbits,_ZN7rocprim17ROCPRIM_400000_NS6detail17trampoline_kernelINS0_14default_configENS1_20scan_config_selectorIsEEZZNS1_9scan_implILNS1_25lookback_scan_determinismE0ELb0ELb0ES3_N6thrust23THRUST_200600_302600_NS6detail15normal_iteratorINS9_10device_ptrIsEEEENS9_16discard_iteratorINS9_11use_defaultEEEsNS9_4plusIvEEsEEDaPvRmT3_T4_T5_mT6_P12ihipStream_tbENKUlT_T0_E_clISt17integral_constantIbLb0EESW_IbLb1EEEEDaSS_ST_EUlSS_E_NS1_11comp_targetILNS1_3genE5ELNS1_11target_archE942ELNS1_3gpuE9ELNS1_3repE0EEENS1_30default_config_static_selectorELNS0_4arch9wavefront6targetE1EEEvT1_,comdat
.Lfunc_end5925:
	.size	_ZN7rocprim17ROCPRIM_400000_NS6detail17trampoline_kernelINS0_14default_configENS1_20scan_config_selectorIsEEZZNS1_9scan_implILNS1_25lookback_scan_determinismE0ELb0ELb0ES3_N6thrust23THRUST_200600_302600_NS6detail15normal_iteratorINS9_10device_ptrIsEEEENS9_16discard_iteratorINS9_11use_defaultEEEsNS9_4plusIvEEsEEDaPvRmT3_T4_T5_mT6_P12ihipStream_tbENKUlT_T0_E_clISt17integral_constantIbLb0EESW_IbLb1EEEEDaSS_ST_EUlSS_E_NS1_11comp_targetILNS1_3genE5ELNS1_11target_archE942ELNS1_3gpuE9ELNS1_3repE0EEENS1_30default_config_static_selectorELNS0_4arch9wavefront6targetE1EEEvT1_, .Lfunc_end5925-_ZN7rocprim17ROCPRIM_400000_NS6detail17trampoline_kernelINS0_14default_configENS1_20scan_config_selectorIsEEZZNS1_9scan_implILNS1_25lookback_scan_determinismE0ELb0ELb0ES3_N6thrust23THRUST_200600_302600_NS6detail15normal_iteratorINS9_10device_ptrIsEEEENS9_16discard_iteratorINS9_11use_defaultEEEsNS9_4plusIvEEsEEDaPvRmT3_T4_T5_mT6_P12ihipStream_tbENKUlT_T0_E_clISt17integral_constantIbLb0EESW_IbLb1EEEEDaSS_ST_EUlSS_E_NS1_11comp_targetILNS1_3genE5ELNS1_11target_archE942ELNS1_3gpuE9ELNS1_3repE0EEENS1_30default_config_static_selectorELNS0_4arch9wavefront6targetE1EEEvT1_
                                        ; -- End function
	.section	.AMDGPU.csdata,"",@progbits
; Kernel info:
; codeLenInByte = 0
; NumSgprs: 4
; NumVgprs: 0
; NumAgprs: 0
; TotalNumVgprs: 0
; ScratchSize: 0
; MemoryBound: 0
; FloatMode: 240
; IeeeMode: 1
; LDSByteSize: 0 bytes/workgroup (compile time only)
; SGPRBlocks: 0
; VGPRBlocks: 0
; NumSGPRsForWavesPerEU: 4
; NumVGPRsForWavesPerEU: 1
; AccumOffset: 4
; Occupancy: 8
; WaveLimiterHint : 0
; COMPUTE_PGM_RSRC2:SCRATCH_EN: 0
; COMPUTE_PGM_RSRC2:USER_SGPR: 6
; COMPUTE_PGM_RSRC2:TRAP_HANDLER: 0
; COMPUTE_PGM_RSRC2:TGID_X_EN: 1
; COMPUTE_PGM_RSRC2:TGID_Y_EN: 0
; COMPUTE_PGM_RSRC2:TGID_Z_EN: 0
; COMPUTE_PGM_RSRC2:TIDIG_COMP_CNT: 0
; COMPUTE_PGM_RSRC3_GFX90A:ACCUM_OFFSET: 0
; COMPUTE_PGM_RSRC3_GFX90A:TG_SPLIT: 0
	.section	.text._ZN7rocprim17ROCPRIM_400000_NS6detail17trampoline_kernelINS0_14default_configENS1_20scan_config_selectorIsEEZZNS1_9scan_implILNS1_25lookback_scan_determinismE0ELb0ELb0ES3_N6thrust23THRUST_200600_302600_NS6detail15normal_iteratorINS9_10device_ptrIsEEEENS9_16discard_iteratorINS9_11use_defaultEEEsNS9_4plusIvEEsEEDaPvRmT3_T4_T5_mT6_P12ihipStream_tbENKUlT_T0_E_clISt17integral_constantIbLb0EESW_IbLb1EEEEDaSS_ST_EUlSS_E_NS1_11comp_targetILNS1_3genE4ELNS1_11target_archE910ELNS1_3gpuE8ELNS1_3repE0EEENS1_30default_config_static_selectorELNS0_4arch9wavefront6targetE1EEEvT1_,"axG",@progbits,_ZN7rocprim17ROCPRIM_400000_NS6detail17trampoline_kernelINS0_14default_configENS1_20scan_config_selectorIsEEZZNS1_9scan_implILNS1_25lookback_scan_determinismE0ELb0ELb0ES3_N6thrust23THRUST_200600_302600_NS6detail15normal_iteratorINS9_10device_ptrIsEEEENS9_16discard_iteratorINS9_11use_defaultEEEsNS9_4plusIvEEsEEDaPvRmT3_T4_T5_mT6_P12ihipStream_tbENKUlT_T0_E_clISt17integral_constantIbLb0EESW_IbLb1EEEEDaSS_ST_EUlSS_E_NS1_11comp_targetILNS1_3genE4ELNS1_11target_archE910ELNS1_3gpuE8ELNS1_3repE0EEENS1_30default_config_static_selectorELNS0_4arch9wavefront6targetE1EEEvT1_,comdat
	.protected	_ZN7rocprim17ROCPRIM_400000_NS6detail17trampoline_kernelINS0_14default_configENS1_20scan_config_selectorIsEEZZNS1_9scan_implILNS1_25lookback_scan_determinismE0ELb0ELb0ES3_N6thrust23THRUST_200600_302600_NS6detail15normal_iteratorINS9_10device_ptrIsEEEENS9_16discard_iteratorINS9_11use_defaultEEEsNS9_4plusIvEEsEEDaPvRmT3_T4_T5_mT6_P12ihipStream_tbENKUlT_T0_E_clISt17integral_constantIbLb0EESW_IbLb1EEEEDaSS_ST_EUlSS_E_NS1_11comp_targetILNS1_3genE4ELNS1_11target_archE910ELNS1_3gpuE8ELNS1_3repE0EEENS1_30default_config_static_selectorELNS0_4arch9wavefront6targetE1EEEvT1_ ; -- Begin function _ZN7rocprim17ROCPRIM_400000_NS6detail17trampoline_kernelINS0_14default_configENS1_20scan_config_selectorIsEEZZNS1_9scan_implILNS1_25lookback_scan_determinismE0ELb0ELb0ES3_N6thrust23THRUST_200600_302600_NS6detail15normal_iteratorINS9_10device_ptrIsEEEENS9_16discard_iteratorINS9_11use_defaultEEEsNS9_4plusIvEEsEEDaPvRmT3_T4_T5_mT6_P12ihipStream_tbENKUlT_T0_E_clISt17integral_constantIbLb0EESW_IbLb1EEEEDaSS_ST_EUlSS_E_NS1_11comp_targetILNS1_3genE4ELNS1_11target_archE910ELNS1_3gpuE8ELNS1_3repE0EEENS1_30default_config_static_selectorELNS0_4arch9wavefront6targetE1EEEvT1_
	.globl	_ZN7rocprim17ROCPRIM_400000_NS6detail17trampoline_kernelINS0_14default_configENS1_20scan_config_selectorIsEEZZNS1_9scan_implILNS1_25lookback_scan_determinismE0ELb0ELb0ES3_N6thrust23THRUST_200600_302600_NS6detail15normal_iteratorINS9_10device_ptrIsEEEENS9_16discard_iteratorINS9_11use_defaultEEEsNS9_4plusIvEEsEEDaPvRmT3_T4_T5_mT6_P12ihipStream_tbENKUlT_T0_E_clISt17integral_constantIbLb0EESW_IbLb1EEEEDaSS_ST_EUlSS_E_NS1_11comp_targetILNS1_3genE4ELNS1_11target_archE910ELNS1_3gpuE8ELNS1_3repE0EEENS1_30default_config_static_selectorELNS0_4arch9wavefront6targetE1EEEvT1_
	.p2align	8
	.type	_ZN7rocprim17ROCPRIM_400000_NS6detail17trampoline_kernelINS0_14default_configENS1_20scan_config_selectorIsEEZZNS1_9scan_implILNS1_25lookback_scan_determinismE0ELb0ELb0ES3_N6thrust23THRUST_200600_302600_NS6detail15normal_iteratorINS9_10device_ptrIsEEEENS9_16discard_iteratorINS9_11use_defaultEEEsNS9_4plusIvEEsEEDaPvRmT3_T4_T5_mT6_P12ihipStream_tbENKUlT_T0_E_clISt17integral_constantIbLb0EESW_IbLb1EEEEDaSS_ST_EUlSS_E_NS1_11comp_targetILNS1_3genE4ELNS1_11target_archE910ELNS1_3gpuE8ELNS1_3repE0EEENS1_30default_config_static_selectorELNS0_4arch9wavefront6targetE1EEEvT1_,@function
_ZN7rocprim17ROCPRIM_400000_NS6detail17trampoline_kernelINS0_14default_configENS1_20scan_config_selectorIsEEZZNS1_9scan_implILNS1_25lookback_scan_determinismE0ELb0ELb0ES3_N6thrust23THRUST_200600_302600_NS6detail15normal_iteratorINS9_10device_ptrIsEEEENS9_16discard_iteratorINS9_11use_defaultEEEsNS9_4plusIvEEsEEDaPvRmT3_T4_T5_mT6_P12ihipStream_tbENKUlT_T0_E_clISt17integral_constantIbLb0EESW_IbLb1EEEEDaSS_ST_EUlSS_E_NS1_11comp_targetILNS1_3genE4ELNS1_11target_archE910ELNS1_3gpuE8ELNS1_3repE0EEENS1_30default_config_static_selectorELNS0_4arch9wavefront6targetE1EEEvT1_: ; @_ZN7rocprim17ROCPRIM_400000_NS6detail17trampoline_kernelINS0_14default_configENS1_20scan_config_selectorIsEEZZNS1_9scan_implILNS1_25lookback_scan_determinismE0ELb0ELb0ES3_N6thrust23THRUST_200600_302600_NS6detail15normal_iteratorINS9_10device_ptrIsEEEENS9_16discard_iteratorINS9_11use_defaultEEEsNS9_4plusIvEEsEEDaPvRmT3_T4_T5_mT6_P12ihipStream_tbENKUlT_T0_E_clISt17integral_constantIbLb0EESW_IbLb1EEEEDaSS_ST_EUlSS_E_NS1_11comp_targetILNS1_3genE4ELNS1_11target_archE910ELNS1_3gpuE8ELNS1_3repE0EEENS1_30default_config_static_selectorELNS0_4arch9wavefront6targetE1EEEvT1_
; %bb.0:
	s_load_dwordx2 s[6:7], s[4:5], 0x20
	s_load_dwordx2 s[20:21], s[4:5], 0x30
	v_cmp_ne_u32_e64 s[0:1], 0, v0
	v_cmp_eq_u32_e64 s[2:3], 0, v0
	s_and_saveexec_b64 s[8:9], s[2:3]
	s_cbranch_execz .LBB5926_4
; %bb.1:
	s_mov_b64 s[12:13], exec
	v_mbcnt_lo_u32_b32 v1, s12, 0
	v_mbcnt_hi_u32_b32 v1, s13, v1
	v_cmp_eq_u32_e32 vcc, 0, v1
                                        ; implicit-def: $vgpr2
	s_and_saveexec_b64 s[10:11], vcc
	s_cbranch_execz .LBB5926_3
; %bb.2:
	s_load_dwordx2 s[14:15], s[4:5], 0x60
	s_bcnt1_i32_b64 s12, s[12:13]
	v_mov_b32_e32 v2, 0
	v_mov_b32_e32 v3, s12
	s_waitcnt lgkmcnt(0)
	global_atomic_add v2, v2, v3, s[14:15] glc
.LBB5926_3:
	s_or_b64 exec, exec, s[10:11]
	s_waitcnt vmcnt(0)
	v_readfirstlane_b32 s10, v2
	v_add_u32_e32 v1, s10, v1
	v_mov_b32_e32 v2, 0
	ds_write_b32 v2, v1
.LBB5926_4:
	s_or_b64 exec, exec, s[8:9]
	v_mov_b32_e32 v3, 0
	s_load_dwordx4 s[8:11], s[4:5], 0x0
	s_load_dword s22, s[4:5], 0x38
	s_load_dwordx8 s[12:19], s[4:5], 0x40
	s_waitcnt lgkmcnt(0)
	; wave barrier
	s_waitcnt lgkmcnt(0)
	ds_read_b32 v1, v3
	s_lshl_b64 s[4:5], s[10:11], 1
	s_add_u32 s4, s8, s4
	s_movk_i32 s8, 0x600
	s_addc_u32 s5, s9, s5
	s_waitcnt lgkmcnt(0)
	v_mul_lo_u32 v2, v1, s8
	s_add_i32 s8, s22, -1
	s_mul_i32 s9, s8, 0x600
	s_sub_u32 s24, s6, s9
	v_readfirstlane_b32 s26, v1
	s_subb_u32 s25, s7, 0
	v_lshlrev_b64 v[2:3], 1, v[2:3]
	s_cmp_lg_u32 s26, s8
	v_mov_b32_e32 v1, s5
	v_add_co_u32_e32 v2, vcc, s4, v2
	s_cselect_b64 s[10:11], -1, 0
	v_addc_co_u32_e32 v3, vcc, v1, v3, vcc
	s_mov_b64 s[4:5], -1
	s_and_b64 vcc, exec, s[10:11]
	s_waitcnt lgkmcnt(0)
	; wave barrier
	s_cbranch_vccz .LBB5926_6
; %bb.5:
	v_lshlrev_b32_e32 v1, 1, v0
	v_add_co_u32_e32 v4, vcc, v2, v1
	v_addc_co_u32_e32 v5, vcc, 0, v3, vcc
	flat_load_ushort v6, v[4:5]
	flat_load_ushort v7, v[4:5] offset:128
	flat_load_ushort v8, v[4:5] offset:256
	;; [unrolled: 1-line block ×23, first 2 shown]
	s_mov_b64 s[4:5], 0
	s_waitcnt vmcnt(0) lgkmcnt(0)
	ds_write_b16 v1, v6
	ds_write_b16 v1, v7 offset:128
	ds_write_b16 v1, v8 offset:256
	;; [unrolled: 1-line block ×23, first 2 shown]
	s_waitcnt lgkmcnt(0)
	; wave barrier
.LBB5926_6:
	s_andn2_b64 vcc, exec, s[4:5]
	s_cbranch_vccnz .LBB5926_56
; %bb.7:
	flat_load_ushort v1, v[2:3]
	v_cmp_gt_u32_e32 vcc, s24, v0
	s_waitcnt vmcnt(0) lgkmcnt(0)
	v_mov_b32_e32 v4, v1
	s_and_saveexec_b64 s[4:5], vcc
	s_cbranch_execz .LBB5926_9
; %bb.8:
	v_lshlrev_b32_e32 v4, 1, v0
	v_add_co_u32_e32 v4, vcc, v2, v4
	v_addc_co_u32_e32 v5, vcc, 0, v3, vcc
	flat_load_ushort v4, v[4:5]
.LBB5926_9:
	s_or_b64 exec, exec, s[4:5]
	v_or_b32_e32 v5, 64, v0
	v_cmp_gt_u32_e32 vcc, s24, v5
	v_mov_b32_e32 v5, v1
	s_and_saveexec_b64 s[4:5], vcc
	s_cbranch_execz .LBB5926_11
; %bb.10:
	v_lshlrev_b32_e32 v5, 1, v0
	v_add_co_u32_e32 v6, vcc, v2, v5
	v_addc_co_u32_e32 v7, vcc, 0, v3, vcc
	flat_load_ushort v5, v[6:7] offset:128
.LBB5926_11:
	s_or_b64 exec, exec, s[4:5]
	v_or_b32_e32 v6, 0x80, v0
	v_cmp_gt_u32_e32 vcc, s24, v6
	v_mov_b32_e32 v6, v1
	s_and_saveexec_b64 s[4:5], vcc
	s_cbranch_execz .LBB5926_13
; %bb.12:
	v_lshlrev_b32_e32 v6, 1, v0
	v_add_co_u32_e32 v6, vcc, v2, v6
	v_addc_co_u32_e32 v7, vcc, 0, v3, vcc
	flat_load_ushort v6, v[6:7] offset:256
.LBB5926_13:
	;; [unrolled: 12-line block ×22, first 2 shown]
	s_or_b64 exec, exec, s[4:5]
	v_or_b32_e32 v27, 0x5c0, v0
	v_cmp_gt_u32_e32 vcc, s24, v27
	s_and_saveexec_b64 s[4:5], vcc
	s_cbranch_execz .LBB5926_55
; %bb.54:
	v_lshlrev_b32_e32 v1, 1, v0
	v_add_co_u32_e32 v2, vcc, v2, v1
	v_addc_co_u32_e32 v3, vcc, 0, v3, vcc
	flat_load_ushort v1, v[2:3] offset:2944
.LBB5926_55:
	s_or_b64 exec, exec, s[4:5]
	v_lshlrev_b32_e32 v2, 1, v0
	s_waitcnt vmcnt(0) lgkmcnt(0)
	ds_write_b16 v2, v4
	ds_write_b16 v2, v5 offset:128
	ds_write_b16 v2, v6 offset:256
	;; [unrolled: 1-line block ×23, first 2 shown]
	s_waitcnt lgkmcnt(0)
	; wave barrier
.LBB5926_56:
	v_mul_u32_u24_e32 v20, 24, v0
	v_lshlrev_b32_e32 v1, 1, v20
	s_waitcnt lgkmcnt(0)
	ds_read_b128 v[10:13], v1
	ds_read_b128 v[6:9], v1 offset:16
	ds_read_b128 v[2:5], v1 offset:32
	s_cmp_lg_u32 s26, 0
	v_mbcnt_lo_u32_b32 v21, -1, 0
	v_cmp_eq_u32_e32 vcc, 63, v0
	s_waitcnt lgkmcnt(0)
	; wave barrier
	s_waitcnt lgkmcnt(0)
	s_cbranch_scc0 .LBB5926_79
; %bb.57:
	v_add_u16_sdwa v14, v10, v10 dst_sel:DWORD dst_unused:UNUSED_PAD src0_sel:WORD_1 src1_sel:DWORD
	v_add_u16_e32 v14, v14, v11
	v_add_u16_sdwa v14, v14, v11 dst_sel:DWORD dst_unused:UNUSED_PAD src0_sel:DWORD src1_sel:WORD_1
	v_add_u16_e32 v14, v14, v12
	v_add_u16_sdwa v14, v14, v12 dst_sel:DWORD dst_unused:UNUSED_PAD src0_sel:DWORD src1_sel:WORD_1
	;; [unrolled: 2-line block ×10, first 2 shown]
	v_add_u16_e32 v14, v14, v5
	v_mbcnt_hi_u32_b32 v15, -1, v21
	v_add_u16_sdwa v14, v14, v5 dst_sel:DWORD dst_unused:UNUSED_PAD src0_sel:DWORD src1_sel:WORD_1
	v_and_b32_e32 v16, 15, v15
	v_cmp_ne_u32_e64 s[4:5], 0, v16
	v_mov_b32_dpp v17, v14 row_shr:1 row_mask:0xf bank_mask:0xf
	v_cndmask_b32_e64 v17, 0, v17, s[4:5]
	v_add_u16_e32 v14, v17, v14
	v_cmp_lt_u32_e64 s[4:5], 1, v16
	s_nop 0
	v_mov_b32_dpp v17, v14 row_shr:2 row_mask:0xf bank_mask:0xf
	v_cndmask_b32_e64 v17, 0, v17, s[4:5]
	v_add_u16_e32 v14, v14, v17
	v_cmp_lt_u32_e64 s[4:5], 3, v16
	s_nop 0
	;; [unrolled: 5-line block ×3, first 2 shown]
	v_mov_b32_dpp v17, v14 row_shr:8 row_mask:0xf bank_mask:0xf
	v_cndmask_b32_e64 v16, 0, v17, s[4:5]
	v_add_u16_e32 v14, v14, v16
	v_and_b32_e32 v17, 16, v15
	v_cmp_ne_u32_e64 s[4:5], 0, v17
	v_mov_b32_dpp v16, v14 row_bcast:15 row_mask:0xf bank_mask:0xf
	v_cndmask_b32_e64 v16, 0, v16, s[4:5]
	v_add_u16_e32 v14, v14, v16
	v_cmp_lt_u32_e64 s[4:5], 31, v15
	s_nop 0
	v_mov_b32_dpp v16, v14 row_bcast:31 row_mask:0xf bank_mask:0xf
	v_cndmask_b32_e64 v16, 0, v16, s[4:5]
	v_add_u16_e32 v14, v14, v16
	s_and_saveexec_b64 s[4:5], vcc
	s_cbranch_execz .LBB5926_59
; %bb.58:
	v_mov_b32_e32 v16, 0
	ds_write_b16 v16, v14
.LBB5926_59:
	s_or_b64 exec, exec, s[4:5]
	v_add_u32_e32 v16, -1, v15
	v_and_b32_e32 v17, 64, v15
	v_cmp_lt_i32_e32 vcc, v16, v17
	v_cndmask_b32_e32 v16, v16, v15, vcc
	v_lshlrev_b32_e32 v16, 2, v16
	ds_bpermute_b32 v22, v16, v14
	v_cmp_gt_u32_e32 vcc, 64, v0
	s_waitcnt lgkmcnt(0)
	; wave barrier
	s_waitcnt lgkmcnt(0)
	s_and_saveexec_b64 s[22:23], vcc
	s_cbranch_execz .LBB5926_78
; %bb.60:
	v_mov_b32_e32 v17, 0
	ds_read_u16 v23, v17
	s_mov_b32 s9, 0
	v_cmp_eq_u32_e64 s[4:5], 0, v15
	s_and_saveexec_b64 s[6:7], s[4:5]
	s_cbranch_execz .LBB5926_62
; %bb.61:
	s_add_i32 s8, s26, 64
	s_lshl_b64 s[8:9], s[8:9], 2
	s_add_u32 s8, s20, s8
	s_waitcnt lgkmcnt(0)
	v_or_b32_e32 v14, 0x10000, v23
	s_addc_u32 s9, s21, s9
	global_store_dword v17, v14, s[8:9]
.LBB5926_62:
	s_or_b64 exec, exec, s[6:7]
	v_xad_u32 v14, v15, -1, s26
	v_add_u32_e32 v16, 64, v14
	v_lshlrev_b64 v[18:19], 2, v[16:17]
	v_mov_b32_e32 v16, s21
	v_add_co_u32_e32 v18, vcc, s20, v18
	v_addc_co_u32_e32 v19, vcc, v16, v19, vcc
	global_load_dword v36, v[18:19], off glc
	s_waitcnt vmcnt(0)
	v_lshrrev_b32_e32 v25, 16, v36
	v_cmp_eq_u16_sdwa s[8:9], v25, v17 src0_sel:BYTE_0 src1_sel:DWORD
	s_and_saveexec_b64 s[6:7], s[8:9]
	s_cbranch_execz .LBB5926_66
; %bb.63:
	s_mov_b64 s[8:9], 0
	v_mov_b32_e32 v16, 0
.LBB5926_64:                            ; =>This Inner Loop Header: Depth=1
	global_load_dword v36, v[18:19], off glc
	s_waitcnt vmcnt(0)
	v_lshrrev_b32_e32 v25, 16, v36
	v_cmp_ne_u16_sdwa s[28:29], v25, v16 src0_sel:BYTE_0 src1_sel:DWORD
	s_or_b64 s[8:9], s[28:29], s[8:9]
	s_andn2_b64 exec, exec, s[8:9]
	s_cbranch_execnz .LBB5926_64
; %bb.65:
	s_or_b64 exec, exec, s[8:9]
.LBB5926_66:
	s_or_b64 exec, exec, s[6:7]
	v_and_b32_e32 v26, 63, v15
	v_cmp_ne_u32_e32 vcc, 63, v26
	v_mov_b32_e32 v24, 2
	v_addc_co_u32_e32 v27, vcc, 0, v15, vcc
	v_cmp_eq_u16_sdwa s[6:7], v25, v24 src0_sel:BYTE_0 src1_sel:DWORD
	v_lshlrev_b64 v[16:17], v15, -1
	v_and_b32_e32 v28, 0xffff, v36
	v_lshlrev_b32_e32 v27, 2, v27
	v_and_b32_e32 v18, s7, v17
	ds_bpermute_b32 v29, v27, v28
	v_or_b32_e32 v18, 0x80000000, v18
	v_and_b32_e32 v19, s6, v16
	v_ffbl_b32_e32 v18, v18
	v_add_u32_e32 v18, 32, v18
	v_ffbl_b32_e32 v19, v19
	v_min_u32_e32 v18, v19, v18
	s_waitcnt lgkmcnt(0)
	v_add_u16_e32 v19, v29, v36
	v_cmp_lt_u32_e32 vcc, v26, v18
	v_cmp_gt_u32_e64 s[6:7], 62, v26
	v_cndmask_b32_e32 v30, v28, v19, vcc
	v_cndmask_b32_e64 v28, 0, 1, s[6:7]
	v_lshlrev_b32_e32 v28, 1, v28
	v_add_lshl_u32 v28, v28, v15, 2
	ds_bpermute_b32 v31, v28, v30
	v_cndmask_b32_e32 v19, v36, v19, vcc
	v_add_u32_e32 v29, 2, v26
	v_cmp_gt_u32_e64 s[6:7], v29, v18
	v_cmp_gt_u32_e64 s[8:9], 60, v26
	s_waitcnt lgkmcnt(0)
	v_add_u16_e32 v31, v19, v31
	v_cndmask_b32_e64 v32, v31, v30, s[6:7]
	v_cndmask_b32_e64 v30, 0, 1, s[8:9]
	v_lshlrev_b32_e32 v30, 2, v30
	v_add_lshl_u32 v30, v30, v15, 2
	ds_bpermute_b32 v33, v30, v32
	v_cndmask_b32_e64 v19, v31, v19, s[6:7]
	v_add_u32_e32 v31, 4, v26
	v_cmp_gt_u32_e64 s[6:7], v31, v18
	v_cmp_gt_u32_e64 s[8:9], 56, v26
	s_waitcnt lgkmcnt(0)
	v_add_u16_e32 v33, v19, v33
	v_cndmask_b32_e64 v34, v33, v32, s[6:7]
	v_cndmask_b32_e64 v32, 0, 1, s[8:9]
	v_lshlrev_b32_e32 v32, 3, v32
	v_add_lshl_u32 v32, v32, v15, 2
	ds_bpermute_b32 v35, v32, v34
	v_cndmask_b32_e64 v19, v33, v19, s[6:7]
	;; [unrolled: 11-line block ×3, first 2 shown]
	v_add_u32_e32 v35, 16, v26
	v_cmp_gt_u32_e64 s[6:7], v35, v18
	v_cmp_gt_u32_e64 s[8:9], 32, v26
	s_waitcnt lgkmcnt(0)
	v_add_u16_e32 v39, v19, v38
	v_cndmask_b32_e64 v38, v39, v37, s[6:7]
	v_cndmask_b32_e64 v37, 0, 1, s[8:9]
	v_lshlrev_b32_e32 v37, 5, v37
	v_add_lshl_u32 v37, v37, v15, 2
	ds_bpermute_b32 v15, v37, v38
	v_add_u32_e32 v38, 32, v26
	v_cndmask_b32_e64 v19, v39, v19, s[6:7]
	v_cmp_le_u32_e64 s[6:7], v38, v18
	s_waitcnt lgkmcnt(0)
	v_cndmask_b32_e64 v15, 0, v15, s[6:7]
	v_add_u16_e32 v15, v19, v15
	v_cndmask_b32_e32 v18, v36, v15, vcc
	v_mov_b32_e32 v15, 0
	s_branch .LBB5926_68
.LBB5926_67:                            ;   in Loop: Header=BB5926_68 Depth=1
	s_or_b64 exec, exec, s[6:7]
	v_cmp_eq_u16_sdwa s[6:7], v25, v24 src0_sel:BYTE_0 src1_sel:DWORD
	v_and_b32_e32 v40, 0xffff, v39
	v_and_b32_e32 v18, s7, v17
	ds_bpermute_b32 v41, v27, v40
	v_or_b32_e32 v18, 0x80000000, v18
	v_and_b32_e32 v19, s6, v16
	v_ffbl_b32_e32 v18, v18
	v_add_u32_e32 v18, 32, v18
	v_ffbl_b32_e32 v19, v19
	v_min_u32_e32 v18, v19, v18
	s_waitcnt lgkmcnt(0)
	v_add_u16_e32 v19, v41, v39
	v_cmp_lt_u32_e32 vcc, v26, v18
	v_cndmask_b32_e32 v40, v40, v19, vcc
	ds_bpermute_b32 v41, v28, v40
	v_cndmask_b32_e32 v19, v39, v19, vcc
	v_cmp_gt_u32_e64 s[6:7], v29, v18
	v_subrev_u32_e32 v14, 64, v14
	s_waitcnt lgkmcnt(0)
	v_add_u16_e32 v41, v19, v41
	v_cndmask_b32_e64 v40, v41, v40, s[6:7]
	ds_bpermute_b32 v42, v30, v40
	v_cndmask_b32_e64 v19, v41, v19, s[6:7]
	v_cmp_gt_u32_e64 s[6:7], v31, v18
	s_waitcnt lgkmcnt(0)
	v_add_u16_e32 v41, v19, v42
	v_cndmask_b32_e64 v40, v41, v40, s[6:7]
	ds_bpermute_b32 v42, v32, v40
	v_cndmask_b32_e64 v19, v41, v19, s[6:7]
	v_cmp_gt_u32_e64 s[6:7], v33, v18
	;; [unrolled: 6-line block ×3, first 2 shown]
	s_waitcnt lgkmcnt(0)
	v_add_u16_e32 v41, v19, v42
	v_cndmask_b32_e64 v40, v41, v40, s[6:7]
	ds_bpermute_b32 v40, v37, v40
	v_cndmask_b32_e64 v19, v41, v19, s[6:7]
	v_cmp_le_u32_e64 s[6:7], v38, v18
	s_waitcnt lgkmcnt(0)
	v_cndmask_b32_e64 v18, 0, v40, s[6:7]
	v_add_u16_e32 v18, v19, v18
	v_cndmask_b32_e32 v18, v39, v18, vcc
	v_add_u16_e32 v18, v18, v36
.LBB5926_68:                            ; =>This Loop Header: Depth=1
                                        ;     Child Loop BB5926_71 Depth 2
	v_cmp_ne_u16_sdwa s[6:7], v25, v24 src0_sel:BYTE_0 src1_sel:DWORD
	v_cndmask_b32_e64 v19, 0, 1, s[6:7]
	;;#ASMSTART
	;;#ASMEND
	v_cmp_ne_u32_e32 vcc, 0, v19
	s_cmp_lg_u64 vcc, exec
	v_mov_b32_e32 v36, v18
	s_cbranch_scc1 .LBB5926_73
; %bb.69:                               ;   in Loop: Header=BB5926_68 Depth=1
	v_lshlrev_b64 v[18:19], 2, v[14:15]
	v_mov_b32_e32 v25, s21
	v_add_co_u32_e32 v18, vcc, s20, v18
	v_addc_co_u32_e32 v19, vcc, v25, v19, vcc
	global_load_dword v39, v[18:19], off glc
	s_waitcnt vmcnt(0)
	v_lshrrev_b32_e32 v25, 16, v39
	v_cmp_eq_u16_sdwa s[8:9], v25, v15 src0_sel:BYTE_0 src1_sel:DWORD
	s_and_saveexec_b64 s[6:7], s[8:9]
	s_cbranch_execz .LBB5926_67
; %bb.70:                               ;   in Loop: Header=BB5926_68 Depth=1
	s_mov_b64 s[8:9], 0
.LBB5926_71:                            ;   Parent Loop BB5926_68 Depth=1
                                        ; =>  This Inner Loop Header: Depth=2
	global_load_dword v39, v[18:19], off glc
	s_waitcnt vmcnt(0)
	v_lshrrev_b32_e32 v25, 16, v39
	v_cmp_ne_u16_sdwa s[28:29], v25, v15 src0_sel:BYTE_0 src1_sel:DWORD
	s_or_b64 s[8:9], s[28:29], s[8:9]
	s_andn2_b64 exec, exec, s[8:9]
	s_cbranch_execnz .LBB5926_71
; %bb.72:                               ;   in Loop: Header=BB5926_68 Depth=1
	s_or_b64 exec, exec, s[8:9]
	s_branch .LBB5926_67
.LBB5926_73:                            ;   in Loop: Header=BB5926_68 Depth=1
                                        ; implicit-def: $vgpr18
                                        ; implicit-def: $vgpr25
	s_cbranch_execz .LBB5926_68
; %bb.74:
	s_and_saveexec_b64 s[6:7], s[4:5]
	s_cbranch_execz .LBB5926_76
; %bb.75:
	s_add_i32 s4, s26, 64
	s_mov_b32 s5, 0
	s_lshl_b64 s[4:5], s[4:5], 2
	v_add_u16_e32 v14, v36, v23
	s_add_u32 s4, s20, s4
	v_or_b32_e32 v14, 0x20000, v14
	s_addc_u32 s5, s21, s5
	v_mov_b32_e32 v15, 0
	global_store_dword v15, v14, s[4:5]
.LBB5926_76:
	s_or_b64 exec, exec, s[6:7]
	s_and_b64 exec, exec, s[2:3]
	s_cbranch_execz .LBB5926_78
; %bb.77:
	v_mov_b32_e32 v14, 0
	ds_write_b16 v14, v36
.LBB5926_78:
	s_or_b64 exec, exec, s[22:23]
	v_mov_b32_e32 v14, 0
	s_waitcnt lgkmcnt(0)
	; wave barrier
	s_waitcnt lgkmcnt(0)
	ds_read_u16 v14, v14
	v_cndmask_b32_e64 v15, v22, 0, s[2:3]
	v_add_u16_e32 v15, v15, v10
	s_waitcnt lgkmcnt(0)
	v_add_u16_e32 v14, v15, v14
	v_add_u16_sdwa v15, v14, v10 dst_sel:DWORD dst_unused:UNUSED_PAD src0_sel:DWORD src1_sel:WORD_1
	v_add_u16_e32 v16, v15, v11
	v_add_u16_sdwa v17, v16, v11 dst_sel:DWORD dst_unused:UNUSED_PAD src0_sel:DWORD src1_sel:WORD_1
	;; [unrolled: 2-line block ×12, first 2 shown]
	s_branch .LBB5926_89
.LBB5926_79:
                                        ; implicit-def: $vgpr14
                                        ; implicit-def: $vgpr15
                                        ; implicit-def: $vgpr16
                                        ; implicit-def: $vgpr17
                                        ; implicit-def: $vgpr18
                                        ; implicit-def: $vgpr19
                                        ; implicit-def: $vgpr23
                                        ; implicit-def: $vgpr25
                                        ; implicit-def: $vgpr22
                                        ; implicit-def: $vgpr24
                                        ; implicit-def: $vgpr26
                                        ; implicit-def: $vgpr27
                                        ; implicit-def: $vgpr28
                                        ; implicit-def: $vgpr29
                                        ; implicit-def: $vgpr31
                                        ; implicit-def: $vgpr33
                                        ; implicit-def: $vgpr30
                                        ; implicit-def: $vgpr32
                                        ; implicit-def: $vgpr34
                                        ; implicit-def: $vgpr35
                                        ; implicit-def: $vgpr36
                                        ; implicit-def: $vgpr37
                                        ; implicit-def: $vgpr38
                                        ; implicit-def: $vgpr39
	s_cbranch_execz .LBB5926_89
; %bb.80:
	s_cmp_lg_u64 s[16:17], 0
	s_cselect_b64 s[4:5], -1, 0
	s_and_b64 s[4:5], s[2:3], s[4:5]
	v_mov_b32_e32 v14, v10
	s_and_saveexec_b64 s[2:3], s[4:5]
	s_cbranch_execz .LBB5926_82
; %bb.81:
	v_mov_b32_e32 v14, 0
	global_load_ushort v14, v14, s[12:13]
	s_waitcnt vmcnt(0)
	v_add_u16_e32 v14, v14, v10
.LBB5926_82:
	s_or_b64 exec, exec, s[2:3]
	v_add_u16_sdwa v15, v14, v10 dst_sel:DWORD dst_unused:UNUSED_PAD src0_sel:DWORD src1_sel:WORD_1
	v_add_u16_e32 v16, v15, v11
	v_add_u16_sdwa v17, v16, v11 dst_sel:DWORD dst_unused:UNUSED_PAD src0_sel:DWORD src1_sel:WORD_1
	v_add_u16_e32 v18, v17, v12
	v_add_u16_sdwa v19, v18, v12 dst_sel:DWORD dst_unused:UNUSED_PAD src0_sel:DWORD src1_sel:WORD_1
	v_add_u16_e32 v23, v19, v13
	v_add_u16_sdwa v25, v23, v13 dst_sel:DWORD dst_unused:UNUSED_PAD src0_sel:DWORD src1_sel:WORD_1
	v_add_u16_e32 v22, v25, v6
	v_add_u16_sdwa v24, v22, v6 dst_sel:DWORD dst_unused:UNUSED_PAD src0_sel:DWORD src1_sel:WORD_1
	v_add_u16_e32 v26, v24, v7
	v_add_u16_sdwa v27, v26, v7 dst_sel:DWORD dst_unused:UNUSED_PAD src0_sel:DWORD src1_sel:WORD_1
	v_add_u16_e32 v28, v27, v8
	v_add_u16_sdwa v29, v28, v8 dst_sel:DWORD dst_unused:UNUSED_PAD src0_sel:DWORD src1_sel:WORD_1
	v_add_u16_e32 v31, v29, v9
	v_add_u16_sdwa v33, v31, v9 dst_sel:DWORD dst_unused:UNUSED_PAD src0_sel:DWORD src1_sel:WORD_1
	v_add_u16_e32 v30, v33, v2
	v_add_u16_sdwa v32, v30, v2 dst_sel:DWORD dst_unused:UNUSED_PAD src0_sel:DWORD src1_sel:WORD_1
	v_add_u16_e32 v34, v32, v3
	v_add_u16_sdwa v35, v34, v3 dst_sel:DWORD dst_unused:UNUSED_PAD src0_sel:DWORD src1_sel:WORD_1
	v_add_u16_e32 v36, v35, v4
	v_add_u16_sdwa v37, v36, v4 dst_sel:DWORD dst_unused:UNUSED_PAD src0_sel:DWORD src1_sel:WORD_1
	v_add_u16_e32 v38, v37, v5
	v_mbcnt_hi_u32_b32 v21, -1, v21
	v_add_u16_sdwa v39, v38, v5 dst_sel:DWORD dst_unused:UNUSED_PAD src0_sel:DWORD src1_sel:WORD_1
	v_and_b32_e32 v40, 15, v21
	v_cmp_ne_u32_e32 vcc, 0, v40
	v_mov_b32_dpp v41, v39 row_shr:1 row_mask:0xf bank_mask:0xf
	v_cndmask_b32_e32 v41, 0, v41, vcc
	v_add_u16_e32 v41, v39, v41
	v_cmp_lt_u32_e32 vcc, 1, v40
	s_nop 0
	v_mov_b32_dpp v42, v41 row_shr:2 row_mask:0xf bank_mask:0xf
	v_cndmask_b32_e32 v42, 0, v42, vcc
	v_add_u16_e32 v41, v41, v42
	v_cmp_lt_u32_e32 vcc, 3, v40
	s_nop 0
	;; [unrolled: 5-line block ×3, first 2 shown]
	v_mov_b32_dpp v42, v41 row_shr:8 row_mask:0xf bank_mask:0xf
	v_cndmask_b32_e32 v40, 0, v42, vcc
	v_add_u16_e32 v40, v41, v40
	v_and_b32_e32 v42, 16, v21
	v_cmp_ne_u32_e32 vcc, 0, v42
	v_mov_b32_dpp v41, v40 row_bcast:15 row_mask:0xf bank_mask:0xf
	v_cndmask_b32_e32 v41, 0, v41, vcc
	v_add_u16_e32 v40, v40, v41
	v_cmp_lt_u32_e32 vcc, 31, v21
	s_nop 0
	v_mov_b32_dpp v41, v40 row_bcast:31 row_mask:0xf bank_mask:0xf
	v_cndmask_b32_e32 v41, 0, v41, vcc
	v_add_u16_e32 v40, v40, v41
	v_cmp_eq_u32_e32 vcc, 63, v0
	s_and_saveexec_b64 s[2:3], vcc
	s_cbranch_execz .LBB5926_84
; %bb.83:
	v_mov_b32_e32 v41, 0
	ds_write_b16 v41, v40
.LBB5926_84:
	s_or_b64 exec, exec, s[2:3]
	v_add_u32_e32 v41, -1, v21
	v_and_b32_e32 v42, 64, v21
	v_cmp_lt_i32_e64 s[2:3], v41, v42
	v_cndmask_b32_e64 v21, v41, v21, s[2:3]
	v_lshlrev_b32_e32 v21, 2, v21
	ds_bpermute_b32 v21, v21, v40
	s_waitcnt lgkmcnt(0)
	; wave barrier
	s_waitcnt lgkmcnt(0)
	s_and_saveexec_b64 s[2:3], s[0:1]
	s_cbranch_execz .LBB5926_86
; %bb.85:
	v_add_u16_e32 v14, v14, v21
	v_add_u16_sdwa v15, v14, v10 dst_sel:DWORD dst_unused:UNUSED_PAD src0_sel:DWORD src1_sel:WORD_1
	v_add_u16_e32 v16, v15, v11
	v_add_u16_sdwa v17, v16, v11 dst_sel:DWORD dst_unused:UNUSED_PAD src0_sel:DWORD src1_sel:WORD_1
	;; [unrolled: 2-line block ×12, first 2 shown]
	;;#ASMSTART
	;;#ASMEND
.LBB5926_86:
	s_or_b64 exec, exec, s[2:3]
	s_and_saveexec_b64 s[0:1], vcc
	s_cbranch_execz .LBB5926_88
; %bb.87:
	s_mov_b32 s2, 0x20000
	v_mov_b32_e32 v2, 0
	v_or_b32_sdwa v3, v39, s2 dst_sel:DWORD dst_unused:UNUSED_PAD src0_sel:WORD_0 src1_sel:DWORD
	global_store_dword v2, v3, s[20:21] offset:256
.LBB5926_88:
	s_or_b64 exec, exec, s[0:1]
.LBB5926_89:
	s_mov_b32 s0, 0x5040100
	v_perm_b32 v5, v25, v23, s0
	v_perm_b32 v4, v19, v18, s0
	;; [unrolled: 1-line block ×4, first 2 shown]
	s_waitcnt lgkmcnt(0)
	; wave barrier
	ds_write_b128 v1, v[2:5]
	v_perm_b32 v5, v33, v31, s0
	v_perm_b32 v4, v29, v28, s0
	v_perm_b32 v3, v27, v26, s0
	v_perm_b32 v2, v24, v22, s0
	ds_write_b128 v1, v[2:5] offset:16
	v_perm_b32 v5, v39, v38, s0
	v_perm_b32 v4, v37, v36, s0
	v_perm_b32 v3, v35, v34, s0
	v_perm_b32 v2, v32, v30, s0
	s_mov_b64 s[0:1], -1
	s_and_b64 vcc, exec, s[10:11]
	ds_write_b128 v1, v[2:5] offset:32
	s_waitcnt lgkmcnt(0)
	s_cbranch_vccz .LBB5926_91
; %bb.90:
	; wave barrier
	s_mov_b64 s[0:1], 0
.LBB5926_91:
	s_andn2_b64 vcc, exec, s[0:1]
	s_cbranch_vccnz .LBB5926_100
; %bb.92:
	v_cmp_lt_u64_e64 s[0:1], s[18:19], 2
	s_and_b64 vcc, exec, s[0:1]
	; wave barrier
	s_cbranch_vccnz .LBB5926_100
; %bb.93:
	s_add_u32 s0, s24, -1
	s_addc_u32 s1, s25, -1
	s_add_u32 s2, 0, 0xaaaa0000
	s_addc_u32 s3, 0, 42
	s_add_i32 s3, s3, 0xaaaaa80
	s_mul_hi_u32 s7, s2, 0xffffffe8
	s_sub_i32 s7, s7, s2
	s_mul_i32 s8, s3, 0xffffffe8
	s_mul_i32 s4, s2, 0xffffffe8
	s_add_i32 s7, s7, s8
	s_mul_hi_u32 s5, s3, s4
	s_mul_i32 s6, s3, s4
	s_mul_i32 s9, s2, s7
	s_mul_hi_u32 s4, s2, s4
	s_mul_hi_u32 s8, s2, s7
	s_add_u32 s4, s4, s9
	s_addc_u32 s8, 0, s8
	s_add_u32 s4, s4, s6
	s_mul_hi_u32 s9, s3, s7
	s_addc_u32 s4, s8, s5
	s_addc_u32 s5, s9, 0
	s_mul_i32 s6, s3, s7
	s_add_u32 s4, s4, s6
	v_mov_b32_e32 v2, s4
	s_addc_u32 s5, 0, s5
	v_add_co_u32_e32 v2, vcc, s2, v2
	s_cmp_lg_u64 vcc, 0
	s_addc_u32 s2, s3, s5
	v_readfirstlane_b32 s5, v2
	s_mul_i32 s4, s0, s2
	s_mul_hi_u32 s6, s0, s5
	s_mul_hi_u32 s3, s0, s2
	s_add_u32 s4, s6, s4
	s_addc_u32 s3, 0, s3
	s_mul_hi_u32 s7, s1, s5
	s_mul_i32 s5, s1, s5
	s_add_u32 s4, s4, s5
	s_mul_hi_u32 s6, s1, s2
	s_addc_u32 s3, s3, s7
	s_addc_u32 s4, s6, 0
	s_mul_i32 s2, s1, s2
	s_add_u32 s2, s3, s2
	s_addc_u32 s3, 0, s4
	s_add_u32 s4, s2, 1
	s_addc_u32 s5, s3, 0
	s_add_u32 s6, s2, 2
	s_mul_i32 s8, s3, 24
	s_mul_hi_u32 s9, s2, 24
	s_addc_u32 s7, s3, 0
	s_add_i32 s9, s9, s8
	s_mul_i32 s8, s2, 24
	v_mov_b32_e32 v2, s8
	v_sub_co_u32_e32 v2, vcc, s0, v2
	s_cmp_lg_u64 vcc, 0
	s_subb_u32 s8, s1, s9
	v_subrev_co_u32_e32 v3, vcc, 24, v2
	s_cmp_lg_u64 vcc, 0
	s_subb_u32 s9, s8, 0
	v_readfirstlane_b32 s10, v3
	s_cmp_gt_u32 s10, 23
	s_cselect_b32 s10, -1, 0
	s_cmp_eq_u32 s9, 0
	s_cselect_b32 s9, s10, -1
	s_cmp_lg_u32 s9, 0
	s_cselect_b32 s4, s6, s4
	v_readfirstlane_b32 s6, v2
	s_cselect_b32 s5, s7, s5
	s_cmp_gt_u32 s6, 23
	s_cselect_b32 s6, -1, 0
	s_cmp_eq_u32 s8, 0
	s_cselect_b32 s6, s6, -1
	s_cmp_lg_u32 s6, 0
	v_mov_b32_e32 v1, 0
	s_cselect_b32 s3, s5, s3
	s_cselect_b32 s2, s4, s2
	v_cmp_eq_u64_e32 vcc, s[2:3], v[0:1]
	s_and_saveexec_b64 s[2:3], vcc
	s_cbranch_execz .LBB5926_100
; %bb.94:
	v_lshlrev_b32_e32 v2, 1, v0
	v_mul_hi_u32_u24_e32 v1, 24, v0
	v_mov_b32_e32 v3, s1
	v_sub_co_u32_e32 v0, vcc, s0, v20
	v_subb_co_u32_e32 v1, vcc, v3, v1, vcc
	v_cmp_lt_i64_e32 vcc, 11, v[0:1]
	s_mov_b64 s[0:1], 0
	s_mov_b64 s[8:9], 0
	;; [unrolled: 1-line block ×4, first 2 shown]
                                        ; implicit-def: $vgpr3
                                        ; implicit-def: $vgpr4
                                        ; implicit-def: $vgpr5
	s_and_saveexec_b64 s[2:3], vcc
	s_xor_b64 s[2:3], exec, s[2:3]
	s_cbranch_execnz .LBB5926_101
; %bb.95:
	s_andn2_saveexec_b64 s[2:3], s[2:3]
	s_cbranch_execnz .LBB5926_146
.LBB5926_96:
	s_or_b64 exec, exec, s[2:3]
	s_and_saveexec_b64 s[2:3], s[8:9]
	s_cbranch_execnz .LBB5926_163
.LBB5926_97:
	s_or_b64 exec, exec, s[2:3]
	s_and_saveexec_b64 s[2:3], s[6:7]
	s_cbranch_execnz .LBB5926_164
.LBB5926_98:
	s_or_b64 exec, exec, s[2:3]
	s_and_saveexec_b64 s[2:3], s[4:5]
	s_xor_b64 s[2:3], exec, s[2:3]
	s_cbranch_execnz .LBB5926_165
.LBB5926_99:
	s_or_b64 exec, exec, s[2:3]
	s_and_b64 exec, exec, s[0:1]
	s_cbranch_execnz .LBB5926_166
.LBB5926_100:
	s_endpgm
.LBB5926_101:
	v_cmp_lt_i64_e32 vcc, 17, v[0:1]
                                        ; implicit-def: $vgpr3
                                        ; implicit-def: $vgpr4
                                        ; implicit-def: $vgpr5
	s_and_saveexec_b64 s[10:11], vcc
	s_xor_b64 s[10:11], exec, s[10:11]
	s_cbranch_execz .LBB5926_123
; %bb.102:
	v_cmp_lt_i64_e32 vcc, 20, v[0:1]
                                        ; implicit-def: $vgpr3
                                        ; implicit-def: $vgpr4
	s_and_saveexec_b64 s[12:13], vcc
	s_xor_b64 s[12:13], exec, s[12:13]
	s_cbranch_execz .LBB5926_112
; %bb.103:
	v_cmp_lt_i64_e32 vcc, 21, v[0:1]
	s_mov_b64 s[16:17], 0
                                        ; implicit-def: $vgpr3
	s_and_saveexec_b64 s[4:5], vcc
	s_xor_b64 s[4:5], exec, s[4:5]
	s_cbranch_execz .LBB5926_109
; %bb.104:
	v_cmp_lt_i64_e32 vcc, 22, v[0:1]
	s_and_saveexec_b64 s[16:17], vcc
	s_xor_b64 s[16:17], exec, s[16:17]
	s_cbranch_execz .LBB5926_106
; %bb.105:
	ds_read_u16 v3, v2 offset:2944
	v_mov_b32_e32 v4, 0
	s_waitcnt lgkmcnt(0)
	global_store_short v4, v3, s[14:15]
.LBB5926_106:
	s_or_saveexec_b64 s[16:17], s[16:17]
	s_mov_b64 s[18:19], 0
                                        ; implicit-def: $vgpr3
	s_xor_b64 exec, exec, s[16:17]
	s_cbranch_execz .LBB5926_108
; %bb.107:
	ds_read_u16 v3, v2 offset:2816
	s_mov_b64 s[18:19], exec
.LBB5926_108:
	s_or_b64 exec, exec, s[16:17]
	s_and_b64 s[16:17], s[18:19], exec
.LBB5926_109:
	s_or_saveexec_b64 s[4:5], s[4:5]
                                        ; implicit-def: $vgpr4
	s_xor_b64 exec, exec, s[4:5]
	s_cbranch_execz .LBB5926_111
; %bb.110:
	ds_read_u16 v4, v2 offset:2688
	s_mov_b64 s[6:7], exec
                                        ; implicit-def: $vgpr3
.LBB5926_111:
	s_or_b64 exec, exec, s[4:5]
	s_and_b64 s[4:5], s[16:17], exec
	s_and_b64 s[6:7], s[6:7], exec
.LBB5926_112:
	s_or_saveexec_b64 s[12:13], s[12:13]
                                        ; implicit-def: $vgpr5
	s_xor_b64 exec, exec, s[12:13]
	s_cbranch_execz .LBB5926_122
; %bb.113:
	v_cmp_lt_i64_e32 vcc, 18, v[0:1]
	s_mov_b64 s[16:17], 0
                                        ; implicit-def: $vgpr5
	s_and_saveexec_b64 s[8:9], vcc
	s_xor_b64 s[8:9], exec, s[8:9]
	s_cbranch_execz .LBB5926_119
; %bb.114:
	v_cmp_lt_i64_e32 vcc, 19, v[0:1]
                                        ; implicit-def: $vgpr5
	s_and_saveexec_b64 s[18:19], vcc
	s_xor_b64 s[18:19], exec, s[18:19]
	s_cbranch_execz .LBB5926_116
; %bb.115:
	ds_read_u16 v5, v2 offset:2560
	s_mov_b64 s[16:17], exec
.LBB5926_116:
	s_andn2_saveexec_b64 s[18:19], s[18:19]
	s_cbranch_execz .LBB5926_118
; %bb.117:
	s_waitcnt lgkmcnt(0)
	ds_read_u16 v3, v2 offset:2432
	v_mov_b32_e32 v4, 0
                                        ; implicit-def: $vgpr5
	s_waitcnt lgkmcnt(0)
	global_store_short v4, v3, s[14:15]
.LBB5926_118:
	s_or_b64 exec, exec, s[18:19]
	s_and_b64 s[16:17], s[16:17], exec
.LBB5926_119:
	s_andn2_saveexec_b64 s[8:9], s[8:9]
	s_cbranch_execz .LBB5926_121
; %bb.120:
	s_waitcnt lgkmcnt(0)
	ds_read_u16 v3, v2 offset:2304
	v_mov_b32_e32 v4, 0
                                        ; implicit-def: $vgpr5
	s_waitcnt lgkmcnt(0)
	global_store_short v4, v3, s[14:15]
.LBB5926_121:
	s_or_b64 exec, exec, s[8:9]
	s_and_b64 s[8:9], s[16:17], exec
                                        ; implicit-def: $vgpr3
                                        ; implicit-def: $vgpr4
.LBB5926_122:
	s_or_b64 exec, exec, s[12:13]
	s_and_b64 s[4:5], s[4:5], exec
	s_and_b64 s[6:7], s[6:7], exec
	;; [unrolled: 1-line block ×3, first 2 shown]
.LBB5926_123:
	s_andn2_saveexec_b64 s[10:11], s[10:11]
	s_cbranch_execz .LBB5926_145
; %bb.124:
	v_cmp_lt_i64_e32 vcc, 14, v[0:1]
	s_mov_b64 s[12:13], s[4:5]
                                        ; implicit-def: $vgpr3
	s_and_saveexec_b64 s[16:17], vcc
	s_xor_b64 s[16:17], exec, s[16:17]
	s_cbranch_execz .LBB5926_134
; %bb.125:
	v_cmp_lt_i64_e32 vcc, 15, v[0:1]
	s_and_saveexec_b64 s[12:13], vcc
	s_xor_b64 s[12:13], exec, s[12:13]
	s_cbranch_execz .LBB5926_131
; %bb.126:
	v_cmp_lt_i64_e32 vcc, 16, v[0:1]
	s_and_saveexec_b64 s[18:19], vcc
	s_xor_b64 s[18:19], exec, s[18:19]
	s_cbranch_execz .LBB5926_128
; %bb.127:
	s_waitcnt lgkmcnt(0)
	ds_read_u16 v3, v2 offset:2176
	v_mov_b32_e32 v4, 0
	s_waitcnt lgkmcnt(0)
	global_store_short v4, v3, s[14:15]
.LBB5926_128:
	s_andn2_saveexec_b64 s[18:19], s[18:19]
	s_cbranch_execz .LBB5926_130
; %bb.129:
	s_waitcnt lgkmcnt(0)
	ds_read_u16 v3, v2 offset:2048
	v_mov_b32_e32 v4, 0
	s_waitcnt lgkmcnt(0)
	global_store_short v4, v3, s[14:15]
.LBB5926_130:
	s_or_b64 exec, exec, s[18:19]
.LBB5926_131:
	s_or_saveexec_b64 s[12:13], s[12:13]
	s_mov_b64 s[18:19], s[4:5]
                                        ; implicit-def: $vgpr3
	s_xor_b64 exec, exec, s[12:13]
	s_cbranch_execz .LBB5926_133
; %bb.132:
	s_waitcnt lgkmcnt(0)
	ds_read_u16 v3, v2 offset:1920
	s_or_b64 s[18:19], s[4:5], exec
.LBB5926_133:
	s_or_b64 exec, exec, s[12:13]
	s_andn2_b64 s[12:13], s[4:5], exec
	s_and_b64 s[18:19], s[18:19], exec
	s_or_b64 s[12:13], s[12:13], s[18:19]
.LBB5926_134:
	s_or_saveexec_b64 s[16:17], s[16:17]
	s_mov_b64 s[18:19], s[6:7]
                                        ; implicit-def: $vgpr4
	s_xor_b64 exec, exec, s[16:17]
	s_cbranch_execz .LBB5926_144
; %bb.135:
	v_cmp_lt_i64_e32 vcc, 12, v[0:1]
	s_mov_b64 s[20:21], s[6:7]
	s_mov_b64 s[22:23], s[12:13]
                                        ; implicit-def: $vgpr3
                                        ; implicit-def: $vgpr4
	s_and_saveexec_b64 s[18:19], vcc
	s_xor_b64 s[18:19], exec, s[18:19]
	s_cbranch_execz .LBB5926_141
; %bb.136:
	v_cmp_lt_i64_e32 vcc, 13, v[0:1]
	s_mov_b64 s[20:21], s[12:13]
                                        ; implicit-def: $vgpr3
	s_and_saveexec_b64 s[22:23], vcc
	s_xor_b64 s[22:23], exec, s[22:23]
	s_cbranch_execz .LBB5926_138
; %bb.137:
	s_waitcnt lgkmcnt(0)
	ds_read_u16 v3, v2 offset:1792
	s_or_b64 s[20:21], s[12:13], exec
.LBB5926_138:
	s_or_saveexec_b64 s[22:23], s[22:23]
	s_mov_b64 s[24:25], s[6:7]
                                        ; implicit-def: $vgpr4
	s_xor_b64 exec, exec, s[22:23]
	s_cbranch_execz .LBB5926_140
; %bb.139:
	s_waitcnt lgkmcnt(0)
	ds_read_u16 v4, v2 offset:1664
	s_or_b64 s[24:25], s[6:7], exec
                                        ; implicit-def: $vgpr3
.LBB5926_140:
	s_or_b64 exec, exec, s[22:23]
	s_andn2_b64 s[22:23], s[12:13], exec
	s_and_b64 s[20:21], s[20:21], exec
	s_or_b64 s[22:23], s[22:23], s[20:21]
	s_andn2_b64 s[20:21], s[6:7], exec
	s_and_b64 s[24:25], s[24:25], exec
	s_or_b64 s[20:21], s[20:21], s[24:25]
.LBB5926_141:
	s_andn2_saveexec_b64 s[18:19], s[18:19]
	s_cbranch_execz .LBB5926_143
; %bb.142:
	s_waitcnt lgkmcnt(0)
	ds_read_u16 v4, v2 offset:1536
	s_or_b64 s[20:21], s[20:21], exec
                                        ; implicit-def: $vgpr3
.LBB5926_143:
	s_or_b64 exec, exec, s[18:19]
	s_andn2_b64 s[12:13], s[12:13], exec
	s_and_b64 s[18:19], s[22:23], exec
	s_or_b64 s[12:13], s[12:13], s[18:19]
	s_andn2_b64 s[18:19], s[6:7], exec
	s_and_b64 s[20:21], s[20:21], exec
	s_or_b64 s[18:19], s[18:19], s[20:21]
.LBB5926_144:
	s_or_b64 exec, exec, s[16:17]
	s_andn2_b64 s[4:5], s[4:5], exec
	s_and_b64 s[12:13], s[12:13], exec
	s_or_b64 s[4:5], s[4:5], s[12:13]
	s_andn2_b64 s[6:7], s[6:7], exec
	s_and_b64 s[12:13], s[18:19], exec
	s_or_b64 s[6:7], s[6:7], s[12:13]
                                        ; implicit-def: $vgpr5
.LBB5926_145:
	s_or_b64 exec, exec, s[10:11]
	s_and_b64 s[4:5], s[4:5], exec
	s_and_b64 s[6:7], s[6:7], exec
	;; [unrolled: 1-line block ×3, first 2 shown]
	s_andn2_saveexec_b64 s[2:3], s[2:3]
	s_cbranch_execz .LBB5926_96
.LBB5926_146:
	v_cmp_lt_i64_e32 vcc, 5, v[0:1]
	s_mov_b64 s[12:13], -1
	s_mov_b64 s[10:11], s[8:9]
	s_mov_b64 s[16:17], s[6:7]
	;; [unrolled: 1-line block ×3, first 2 shown]
                                        ; implicit-def: $vgpr3
                                        ; implicit-def: $vgpr4
                                        ; implicit-def: $vgpr5
	s_and_saveexec_b64 s[0:1], vcc
	s_cbranch_execz .LBB5926_162
; %bb.147:
	v_cmp_lt_i64_e32 vcc, 8, v[0:1]
	s_mov_b64 s[10:11], s[8:9]
                                        ; implicit-def: $vgpr5
	s_and_saveexec_b64 s[12:13], vcc
	s_xor_b64 s[12:13], exec, s[12:13]
	s_cbranch_execz .LBB5926_157
; %bb.148:
	v_cmp_lt_i64_e32 vcc, 9, v[0:1]
                                        ; implicit-def: $vgpr5
	s_and_saveexec_b64 s[10:11], vcc
	s_xor_b64 s[10:11], exec, s[10:11]
	s_cbranch_execz .LBB5926_154
; %bb.149:
	v_cmp_lt_i64_e32 vcc, 10, v[0:1]
                                        ; implicit-def: $vgpr5
	s_and_saveexec_b64 s[16:17], vcc
	s_xor_b64 s[16:17], exec, s[16:17]
	s_cbranch_execz .LBB5926_151
; %bb.150:
	s_waitcnt lgkmcnt(0)
	ds_read_u16 v5, v2 offset:1408
.LBB5926_151:
	s_andn2_saveexec_b64 s[16:17], s[16:17]
	s_cbranch_execz .LBB5926_153
; %bb.152:
	s_waitcnt lgkmcnt(0)
	ds_read_u16 v5, v2 offset:1280
.LBB5926_153:
	s_or_b64 exec, exec, s[16:17]
.LBB5926_154:
	s_andn2_saveexec_b64 s[10:11], s[10:11]
	s_cbranch_execz .LBB5926_156
; %bb.155:
	s_waitcnt lgkmcnt(0)
	ds_read_u16 v5, v2 offset:1152
.LBB5926_156:
	s_or_b64 exec, exec, s[10:11]
	s_or_b64 s[10:11], s[8:9], exec
.LBB5926_157:
	s_or_saveexec_b64 s[12:13], s[12:13]
	s_mov_b64 s[16:17], s[6:7]
	s_mov_b64 s[20:21], s[4:5]
                                        ; implicit-def: $vgpr3
                                        ; implicit-def: $vgpr4
	s_xor_b64 exec, exec, s[12:13]
	s_cbranch_execz .LBB5926_161
; %bb.158:
	s_waitcnt lgkmcnt(0)
	ds_read_u16 v3, v2 offset:768
	v_cmp_lt_i64_e32 vcc, 6, v[0:1]
	s_mov_b64 s[20:21], -1
	s_mov_b64 s[18:19], s[10:11]
	s_mov_b64 s[16:17], s[6:7]
                                        ; implicit-def: $vgpr4
                                        ; implicit-def: $vgpr5
	s_and_saveexec_b64 s[22:23], vcc
	s_cbranch_execz .LBB5926_160
; %bb.159:
	ds_read_u16 v4, v2 offset:896
	ds_read_u16 v5, v2 offset:1024
	v_cmp_lt_i64_e32 vcc, 7, v[0:1]
	s_andn2_b64 s[18:19], s[10:11], exec
	s_and_b64 s[24:25], vcc, exec
	s_xor_b64 s[20:21], exec, -1
	s_or_b64 s[16:17], s[6:7], exec
	s_or_b64 s[18:19], s[18:19], s[24:25]
                                        ; implicit-def: $vgpr3
.LBB5926_160:
	s_or_b64 exec, exec, s[22:23]
	s_andn2_b64 s[22:23], s[4:5], exec
	s_and_b64 s[20:21], s[20:21], exec
	s_or_b64 s[20:21], s[22:23], s[20:21]
	s_andn2_b64 s[22:23], s[6:7], exec
	s_and_b64 s[16:17], s[16:17], exec
	s_andn2_b64 s[10:11], s[10:11], exec
	s_and_b64 s[18:19], s[18:19], exec
	s_or_b64 s[16:17], s[22:23], s[16:17]
	s_or_b64 s[10:11], s[10:11], s[18:19]
.LBB5926_161:
	s_or_b64 exec, exec, s[12:13]
	s_andn2_b64 s[18:19], s[4:5], exec
	s_and_b64 s[20:21], s[20:21], exec
	s_or_b64 s[18:19], s[18:19], s[20:21]
	s_andn2_b64 s[20:21], s[6:7], exec
	s_and_b64 s[16:17], s[16:17], exec
	s_or_b64 s[16:17], s[20:21], s[16:17]
	s_andn2_b64 s[20:21], s[8:9], exec
	s_and_b64 s[10:11], s[10:11], exec
	s_xor_b64 s[12:13], exec, -1
	s_or_b64 s[10:11], s[20:21], s[10:11]
.LBB5926_162:
	s_or_b64 exec, exec, s[0:1]
	s_and_b64 s[0:1], s[12:13], exec
	s_andn2_b64 s[4:5], s[4:5], exec
	s_and_b64 s[12:13], s[18:19], exec
	s_or_b64 s[4:5], s[4:5], s[12:13]
	s_andn2_b64 s[6:7], s[6:7], exec
	s_and_b64 s[12:13], s[16:17], exec
	s_andn2_b64 s[8:9], s[8:9], exec
	s_and_b64 s[10:11], s[10:11], exec
	s_or_b64 s[6:7], s[6:7], s[12:13]
	s_or_b64 s[8:9], s[8:9], s[10:11]
	s_or_b64 exec, exec, s[2:3]
	s_and_saveexec_b64 s[2:3], s[8:9]
	s_cbranch_execz .LBB5926_97
.LBB5926_163:
	s_waitcnt lgkmcnt(0)
	v_mov_b32_e32 v3, 0
	s_andn2_b64 s[6:7], s[6:7], exec
	global_store_short v3, v5, s[14:15]
                                        ; implicit-def: $vgpr3
                                        ; implicit-def: $vgpr4
	s_or_b64 exec, exec, s[2:3]
	s_and_saveexec_b64 s[2:3], s[6:7]
	s_cbranch_execz .LBB5926_98
.LBB5926_164:
	s_waitcnt lgkmcnt(0)
	v_mov_b32_e32 v3, 0
	global_store_short v3, v4, s[14:15]
                                        ; implicit-def: $vgpr3
	s_or_b64 exec, exec, s[2:3]
	s_and_saveexec_b64 s[2:3], s[4:5]
	s_xor_b64 s[2:3], exec, s[2:3]
	s_cbranch_execz .LBB5926_99
.LBB5926_165:
	s_waitcnt lgkmcnt(0)
	v_mov_b32_e32 v4, 0
	global_store_short v4, v3, s[14:15]
	s_or_b64 exec, exec, s[2:3]
	s_and_b64 exec, exec, s[0:1]
	s_cbranch_execz .LBB5926_100
.LBB5926_166:
	v_cmp_lt_i64_e32 vcc, 2, v[0:1]
	s_and_saveexec_b64 s[0:1], vcc
	s_xor_b64 s[0:1], exec, s[0:1]
	s_cbranch_execz .LBB5926_176
; %bb.167:
	v_cmp_lt_i64_e32 vcc, 3, v[0:1]
	s_and_saveexec_b64 s[2:3], vcc
	s_xor_b64 s[2:3], exec, s[2:3]
	s_cbranch_execz .LBB5926_173
; %bb.168:
	;; [unrolled: 5-line block ×3, first 2 shown]
	ds_read_u16 v0, v2 offset:640
	v_mov_b32_e32 v1, 0
                                        ; implicit-def: $vgpr2
	s_waitcnt lgkmcnt(0)
	global_store_short v1, v0, s[14:15]
.LBB5926_170:
	s_andn2_saveexec_b64 s[4:5], s[4:5]
	s_cbranch_execz .LBB5926_172
; %bb.171:
	ds_read_u16 v0, v2 offset:512
	v_mov_b32_e32 v1, 0
	s_waitcnt lgkmcnt(0)
	global_store_short v1, v0, s[14:15]
.LBB5926_172:
	s_or_b64 exec, exec, s[4:5]
                                        ; implicit-def: $vgpr2
.LBB5926_173:
	s_andn2_saveexec_b64 s[2:3], s[2:3]
	s_cbranch_execz .LBB5926_175
; %bb.174:
	ds_read_u16 v0, v2 offset:384
	v_mov_b32_e32 v1, 0
	s_waitcnt lgkmcnt(0)
	global_store_short v1, v0, s[14:15]
.LBB5926_175:
	s_or_b64 exec, exec, s[2:3]
                                        ; implicit-def: $vgpr0_vgpr1
                                        ; implicit-def: $vgpr2
.LBB5926_176:
	s_andn2_saveexec_b64 s[0:1], s[0:1]
	s_cbranch_execz .LBB5926_100
; %bb.177:
	v_cmp_lt_i64_e32 vcc, 1, v[0:1]
	s_and_saveexec_b64 s[0:1], vcc
	s_xor_b64 s[0:1], exec, s[0:1]
	s_cbranch_execz .LBB5926_179
; %bb.178:
	ds_read_u16 v0, v2 offset:256
	v_mov_b32_e32 v1, 0
                                        ; implicit-def: $vgpr2
	s_waitcnt lgkmcnt(0)
	global_store_short v1, v0, s[14:15]
                                        ; implicit-def: $vgpr0_vgpr1
.LBB5926_179:
	s_andn2_saveexec_b64 s[0:1], s[0:1]
	s_cbranch_execz .LBB5926_100
; %bb.180:
	v_cmp_ne_u64_e32 vcc, 1, v[0:1]
	s_and_saveexec_b64 s[0:1], vcc
	s_xor_b64 s[0:1], exec, s[0:1]
	s_cbranch_execz .LBB5926_182
; %bb.181:
	ds_read_u16 v0, v2
	v_mov_b32_e32 v1, 0
                                        ; implicit-def: $vgpr2
	s_waitcnt lgkmcnt(0)
	global_store_short v1, v0, s[14:15]
.LBB5926_182:
	s_andn2_saveexec_b64 s[0:1], s[0:1]
	s_cbranch_execz .LBB5926_100
; %bb.183:
	ds_read_u16 v0, v2 offset:128
	v_mov_b32_e32 v1, 0
	s_waitcnt lgkmcnt(0)
	global_store_short v1, v0, s[14:15]
	s_endpgm
	.section	.rodata,"a",@progbits
	.p2align	6, 0x0
	.amdhsa_kernel _ZN7rocprim17ROCPRIM_400000_NS6detail17trampoline_kernelINS0_14default_configENS1_20scan_config_selectorIsEEZZNS1_9scan_implILNS1_25lookback_scan_determinismE0ELb0ELb0ES3_N6thrust23THRUST_200600_302600_NS6detail15normal_iteratorINS9_10device_ptrIsEEEENS9_16discard_iteratorINS9_11use_defaultEEEsNS9_4plusIvEEsEEDaPvRmT3_T4_T5_mT6_P12ihipStream_tbENKUlT_T0_E_clISt17integral_constantIbLb0EESW_IbLb1EEEEDaSS_ST_EUlSS_E_NS1_11comp_targetILNS1_3genE4ELNS1_11target_archE910ELNS1_3gpuE8ELNS1_3repE0EEENS1_30default_config_static_selectorELNS0_4arch9wavefront6targetE1EEEvT1_
		.amdhsa_group_segment_fixed_size 3072
		.amdhsa_private_segment_fixed_size 0
		.amdhsa_kernarg_size 104
		.amdhsa_user_sgpr_count 6
		.amdhsa_user_sgpr_private_segment_buffer 1
		.amdhsa_user_sgpr_dispatch_ptr 0
		.amdhsa_user_sgpr_queue_ptr 0
		.amdhsa_user_sgpr_kernarg_segment_ptr 1
		.amdhsa_user_sgpr_dispatch_id 0
		.amdhsa_user_sgpr_flat_scratch_init 0
		.amdhsa_user_sgpr_kernarg_preload_length 0
		.amdhsa_user_sgpr_kernarg_preload_offset 0
		.amdhsa_user_sgpr_private_segment_size 0
		.amdhsa_uses_dynamic_stack 0
		.amdhsa_system_sgpr_private_segment_wavefront_offset 0
		.amdhsa_system_sgpr_workgroup_id_x 1
		.amdhsa_system_sgpr_workgroup_id_y 0
		.amdhsa_system_sgpr_workgroup_id_z 0
		.amdhsa_system_sgpr_workgroup_info 0
		.amdhsa_system_vgpr_workitem_id 0
		.amdhsa_next_free_vgpr 43
		.amdhsa_next_free_sgpr 30
		.amdhsa_accum_offset 44
		.amdhsa_reserve_vcc 1
		.amdhsa_reserve_flat_scratch 0
		.amdhsa_float_round_mode_32 0
		.amdhsa_float_round_mode_16_64 0
		.amdhsa_float_denorm_mode_32 3
		.amdhsa_float_denorm_mode_16_64 3
		.amdhsa_dx10_clamp 1
		.amdhsa_ieee_mode 1
		.amdhsa_fp16_overflow 0
		.amdhsa_tg_split 0
		.amdhsa_exception_fp_ieee_invalid_op 0
		.amdhsa_exception_fp_denorm_src 0
		.amdhsa_exception_fp_ieee_div_zero 0
		.amdhsa_exception_fp_ieee_overflow 0
		.amdhsa_exception_fp_ieee_underflow 0
		.amdhsa_exception_fp_ieee_inexact 0
		.amdhsa_exception_int_div_zero 0
	.end_amdhsa_kernel
	.section	.text._ZN7rocprim17ROCPRIM_400000_NS6detail17trampoline_kernelINS0_14default_configENS1_20scan_config_selectorIsEEZZNS1_9scan_implILNS1_25lookback_scan_determinismE0ELb0ELb0ES3_N6thrust23THRUST_200600_302600_NS6detail15normal_iteratorINS9_10device_ptrIsEEEENS9_16discard_iteratorINS9_11use_defaultEEEsNS9_4plusIvEEsEEDaPvRmT3_T4_T5_mT6_P12ihipStream_tbENKUlT_T0_E_clISt17integral_constantIbLb0EESW_IbLb1EEEEDaSS_ST_EUlSS_E_NS1_11comp_targetILNS1_3genE4ELNS1_11target_archE910ELNS1_3gpuE8ELNS1_3repE0EEENS1_30default_config_static_selectorELNS0_4arch9wavefront6targetE1EEEvT1_,"axG",@progbits,_ZN7rocprim17ROCPRIM_400000_NS6detail17trampoline_kernelINS0_14default_configENS1_20scan_config_selectorIsEEZZNS1_9scan_implILNS1_25lookback_scan_determinismE0ELb0ELb0ES3_N6thrust23THRUST_200600_302600_NS6detail15normal_iteratorINS9_10device_ptrIsEEEENS9_16discard_iteratorINS9_11use_defaultEEEsNS9_4plusIvEEsEEDaPvRmT3_T4_T5_mT6_P12ihipStream_tbENKUlT_T0_E_clISt17integral_constantIbLb0EESW_IbLb1EEEEDaSS_ST_EUlSS_E_NS1_11comp_targetILNS1_3genE4ELNS1_11target_archE910ELNS1_3gpuE8ELNS1_3repE0EEENS1_30default_config_static_selectorELNS0_4arch9wavefront6targetE1EEEvT1_,comdat
.Lfunc_end5926:
	.size	_ZN7rocprim17ROCPRIM_400000_NS6detail17trampoline_kernelINS0_14default_configENS1_20scan_config_selectorIsEEZZNS1_9scan_implILNS1_25lookback_scan_determinismE0ELb0ELb0ES3_N6thrust23THRUST_200600_302600_NS6detail15normal_iteratorINS9_10device_ptrIsEEEENS9_16discard_iteratorINS9_11use_defaultEEEsNS9_4plusIvEEsEEDaPvRmT3_T4_T5_mT6_P12ihipStream_tbENKUlT_T0_E_clISt17integral_constantIbLb0EESW_IbLb1EEEEDaSS_ST_EUlSS_E_NS1_11comp_targetILNS1_3genE4ELNS1_11target_archE910ELNS1_3gpuE8ELNS1_3repE0EEENS1_30default_config_static_selectorELNS0_4arch9wavefront6targetE1EEEvT1_, .Lfunc_end5926-_ZN7rocprim17ROCPRIM_400000_NS6detail17trampoline_kernelINS0_14default_configENS1_20scan_config_selectorIsEEZZNS1_9scan_implILNS1_25lookback_scan_determinismE0ELb0ELb0ES3_N6thrust23THRUST_200600_302600_NS6detail15normal_iteratorINS9_10device_ptrIsEEEENS9_16discard_iteratorINS9_11use_defaultEEEsNS9_4plusIvEEsEEDaPvRmT3_T4_T5_mT6_P12ihipStream_tbENKUlT_T0_E_clISt17integral_constantIbLb0EESW_IbLb1EEEEDaSS_ST_EUlSS_E_NS1_11comp_targetILNS1_3genE4ELNS1_11target_archE910ELNS1_3gpuE8ELNS1_3repE0EEENS1_30default_config_static_selectorELNS0_4arch9wavefront6targetE1EEEvT1_
                                        ; -- End function
	.section	.AMDGPU.csdata,"",@progbits
; Kernel info:
; codeLenInByte = 6588
; NumSgprs: 34
; NumVgprs: 43
; NumAgprs: 0
; TotalNumVgprs: 43
; ScratchSize: 0
; MemoryBound: 0
; FloatMode: 240
; IeeeMode: 1
; LDSByteSize: 3072 bytes/workgroup (compile time only)
; SGPRBlocks: 4
; VGPRBlocks: 5
; NumSGPRsForWavesPerEU: 34
; NumVGPRsForWavesPerEU: 43
; AccumOffset: 44
; Occupancy: 6
; WaveLimiterHint : 1
; COMPUTE_PGM_RSRC2:SCRATCH_EN: 0
; COMPUTE_PGM_RSRC2:USER_SGPR: 6
; COMPUTE_PGM_RSRC2:TRAP_HANDLER: 0
; COMPUTE_PGM_RSRC2:TGID_X_EN: 1
; COMPUTE_PGM_RSRC2:TGID_Y_EN: 0
; COMPUTE_PGM_RSRC2:TGID_Z_EN: 0
; COMPUTE_PGM_RSRC2:TIDIG_COMP_CNT: 0
; COMPUTE_PGM_RSRC3_GFX90A:ACCUM_OFFSET: 10
; COMPUTE_PGM_RSRC3_GFX90A:TG_SPLIT: 0
	.section	.text._ZN7rocprim17ROCPRIM_400000_NS6detail17trampoline_kernelINS0_14default_configENS1_20scan_config_selectorIsEEZZNS1_9scan_implILNS1_25lookback_scan_determinismE0ELb0ELb0ES3_N6thrust23THRUST_200600_302600_NS6detail15normal_iteratorINS9_10device_ptrIsEEEENS9_16discard_iteratorINS9_11use_defaultEEEsNS9_4plusIvEEsEEDaPvRmT3_T4_T5_mT6_P12ihipStream_tbENKUlT_T0_E_clISt17integral_constantIbLb0EESW_IbLb1EEEEDaSS_ST_EUlSS_E_NS1_11comp_targetILNS1_3genE3ELNS1_11target_archE908ELNS1_3gpuE7ELNS1_3repE0EEENS1_30default_config_static_selectorELNS0_4arch9wavefront6targetE1EEEvT1_,"axG",@progbits,_ZN7rocprim17ROCPRIM_400000_NS6detail17trampoline_kernelINS0_14default_configENS1_20scan_config_selectorIsEEZZNS1_9scan_implILNS1_25lookback_scan_determinismE0ELb0ELb0ES3_N6thrust23THRUST_200600_302600_NS6detail15normal_iteratorINS9_10device_ptrIsEEEENS9_16discard_iteratorINS9_11use_defaultEEEsNS9_4plusIvEEsEEDaPvRmT3_T4_T5_mT6_P12ihipStream_tbENKUlT_T0_E_clISt17integral_constantIbLb0EESW_IbLb1EEEEDaSS_ST_EUlSS_E_NS1_11comp_targetILNS1_3genE3ELNS1_11target_archE908ELNS1_3gpuE7ELNS1_3repE0EEENS1_30default_config_static_selectorELNS0_4arch9wavefront6targetE1EEEvT1_,comdat
	.protected	_ZN7rocprim17ROCPRIM_400000_NS6detail17trampoline_kernelINS0_14default_configENS1_20scan_config_selectorIsEEZZNS1_9scan_implILNS1_25lookback_scan_determinismE0ELb0ELb0ES3_N6thrust23THRUST_200600_302600_NS6detail15normal_iteratorINS9_10device_ptrIsEEEENS9_16discard_iteratorINS9_11use_defaultEEEsNS9_4plusIvEEsEEDaPvRmT3_T4_T5_mT6_P12ihipStream_tbENKUlT_T0_E_clISt17integral_constantIbLb0EESW_IbLb1EEEEDaSS_ST_EUlSS_E_NS1_11comp_targetILNS1_3genE3ELNS1_11target_archE908ELNS1_3gpuE7ELNS1_3repE0EEENS1_30default_config_static_selectorELNS0_4arch9wavefront6targetE1EEEvT1_ ; -- Begin function _ZN7rocprim17ROCPRIM_400000_NS6detail17trampoline_kernelINS0_14default_configENS1_20scan_config_selectorIsEEZZNS1_9scan_implILNS1_25lookback_scan_determinismE0ELb0ELb0ES3_N6thrust23THRUST_200600_302600_NS6detail15normal_iteratorINS9_10device_ptrIsEEEENS9_16discard_iteratorINS9_11use_defaultEEEsNS9_4plusIvEEsEEDaPvRmT3_T4_T5_mT6_P12ihipStream_tbENKUlT_T0_E_clISt17integral_constantIbLb0EESW_IbLb1EEEEDaSS_ST_EUlSS_E_NS1_11comp_targetILNS1_3genE3ELNS1_11target_archE908ELNS1_3gpuE7ELNS1_3repE0EEENS1_30default_config_static_selectorELNS0_4arch9wavefront6targetE1EEEvT1_
	.globl	_ZN7rocprim17ROCPRIM_400000_NS6detail17trampoline_kernelINS0_14default_configENS1_20scan_config_selectorIsEEZZNS1_9scan_implILNS1_25lookback_scan_determinismE0ELb0ELb0ES3_N6thrust23THRUST_200600_302600_NS6detail15normal_iteratorINS9_10device_ptrIsEEEENS9_16discard_iteratorINS9_11use_defaultEEEsNS9_4plusIvEEsEEDaPvRmT3_T4_T5_mT6_P12ihipStream_tbENKUlT_T0_E_clISt17integral_constantIbLb0EESW_IbLb1EEEEDaSS_ST_EUlSS_E_NS1_11comp_targetILNS1_3genE3ELNS1_11target_archE908ELNS1_3gpuE7ELNS1_3repE0EEENS1_30default_config_static_selectorELNS0_4arch9wavefront6targetE1EEEvT1_
	.p2align	8
	.type	_ZN7rocprim17ROCPRIM_400000_NS6detail17trampoline_kernelINS0_14default_configENS1_20scan_config_selectorIsEEZZNS1_9scan_implILNS1_25lookback_scan_determinismE0ELb0ELb0ES3_N6thrust23THRUST_200600_302600_NS6detail15normal_iteratorINS9_10device_ptrIsEEEENS9_16discard_iteratorINS9_11use_defaultEEEsNS9_4plusIvEEsEEDaPvRmT3_T4_T5_mT6_P12ihipStream_tbENKUlT_T0_E_clISt17integral_constantIbLb0EESW_IbLb1EEEEDaSS_ST_EUlSS_E_NS1_11comp_targetILNS1_3genE3ELNS1_11target_archE908ELNS1_3gpuE7ELNS1_3repE0EEENS1_30default_config_static_selectorELNS0_4arch9wavefront6targetE1EEEvT1_,@function
_ZN7rocprim17ROCPRIM_400000_NS6detail17trampoline_kernelINS0_14default_configENS1_20scan_config_selectorIsEEZZNS1_9scan_implILNS1_25lookback_scan_determinismE0ELb0ELb0ES3_N6thrust23THRUST_200600_302600_NS6detail15normal_iteratorINS9_10device_ptrIsEEEENS9_16discard_iteratorINS9_11use_defaultEEEsNS9_4plusIvEEsEEDaPvRmT3_T4_T5_mT6_P12ihipStream_tbENKUlT_T0_E_clISt17integral_constantIbLb0EESW_IbLb1EEEEDaSS_ST_EUlSS_E_NS1_11comp_targetILNS1_3genE3ELNS1_11target_archE908ELNS1_3gpuE7ELNS1_3repE0EEENS1_30default_config_static_selectorELNS0_4arch9wavefront6targetE1EEEvT1_: ; @_ZN7rocprim17ROCPRIM_400000_NS6detail17trampoline_kernelINS0_14default_configENS1_20scan_config_selectorIsEEZZNS1_9scan_implILNS1_25lookback_scan_determinismE0ELb0ELb0ES3_N6thrust23THRUST_200600_302600_NS6detail15normal_iteratorINS9_10device_ptrIsEEEENS9_16discard_iteratorINS9_11use_defaultEEEsNS9_4plusIvEEsEEDaPvRmT3_T4_T5_mT6_P12ihipStream_tbENKUlT_T0_E_clISt17integral_constantIbLb0EESW_IbLb1EEEEDaSS_ST_EUlSS_E_NS1_11comp_targetILNS1_3genE3ELNS1_11target_archE908ELNS1_3gpuE7ELNS1_3repE0EEENS1_30default_config_static_selectorELNS0_4arch9wavefront6targetE1EEEvT1_
; %bb.0:
	.section	.rodata,"a",@progbits
	.p2align	6, 0x0
	.amdhsa_kernel _ZN7rocprim17ROCPRIM_400000_NS6detail17trampoline_kernelINS0_14default_configENS1_20scan_config_selectorIsEEZZNS1_9scan_implILNS1_25lookback_scan_determinismE0ELb0ELb0ES3_N6thrust23THRUST_200600_302600_NS6detail15normal_iteratorINS9_10device_ptrIsEEEENS9_16discard_iteratorINS9_11use_defaultEEEsNS9_4plusIvEEsEEDaPvRmT3_T4_T5_mT6_P12ihipStream_tbENKUlT_T0_E_clISt17integral_constantIbLb0EESW_IbLb1EEEEDaSS_ST_EUlSS_E_NS1_11comp_targetILNS1_3genE3ELNS1_11target_archE908ELNS1_3gpuE7ELNS1_3repE0EEENS1_30default_config_static_selectorELNS0_4arch9wavefront6targetE1EEEvT1_
		.amdhsa_group_segment_fixed_size 0
		.amdhsa_private_segment_fixed_size 0
		.amdhsa_kernarg_size 104
		.amdhsa_user_sgpr_count 6
		.amdhsa_user_sgpr_private_segment_buffer 1
		.amdhsa_user_sgpr_dispatch_ptr 0
		.amdhsa_user_sgpr_queue_ptr 0
		.amdhsa_user_sgpr_kernarg_segment_ptr 1
		.amdhsa_user_sgpr_dispatch_id 0
		.amdhsa_user_sgpr_flat_scratch_init 0
		.amdhsa_user_sgpr_kernarg_preload_length 0
		.amdhsa_user_sgpr_kernarg_preload_offset 0
		.amdhsa_user_sgpr_private_segment_size 0
		.amdhsa_uses_dynamic_stack 0
		.amdhsa_system_sgpr_private_segment_wavefront_offset 0
		.amdhsa_system_sgpr_workgroup_id_x 1
		.amdhsa_system_sgpr_workgroup_id_y 0
		.amdhsa_system_sgpr_workgroup_id_z 0
		.amdhsa_system_sgpr_workgroup_info 0
		.amdhsa_system_vgpr_workitem_id 0
		.amdhsa_next_free_vgpr 1
		.amdhsa_next_free_sgpr 0
		.amdhsa_accum_offset 4
		.amdhsa_reserve_vcc 0
		.amdhsa_reserve_flat_scratch 0
		.amdhsa_float_round_mode_32 0
		.amdhsa_float_round_mode_16_64 0
		.amdhsa_float_denorm_mode_32 3
		.amdhsa_float_denorm_mode_16_64 3
		.amdhsa_dx10_clamp 1
		.amdhsa_ieee_mode 1
		.amdhsa_fp16_overflow 0
		.amdhsa_tg_split 0
		.amdhsa_exception_fp_ieee_invalid_op 0
		.amdhsa_exception_fp_denorm_src 0
		.amdhsa_exception_fp_ieee_div_zero 0
		.amdhsa_exception_fp_ieee_overflow 0
		.amdhsa_exception_fp_ieee_underflow 0
		.amdhsa_exception_fp_ieee_inexact 0
		.amdhsa_exception_int_div_zero 0
	.end_amdhsa_kernel
	.section	.text._ZN7rocprim17ROCPRIM_400000_NS6detail17trampoline_kernelINS0_14default_configENS1_20scan_config_selectorIsEEZZNS1_9scan_implILNS1_25lookback_scan_determinismE0ELb0ELb0ES3_N6thrust23THRUST_200600_302600_NS6detail15normal_iteratorINS9_10device_ptrIsEEEENS9_16discard_iteratorINS9_11use_defaultEEEsNS9_4plusIvEEsEEDaPvRmT3_T4_T5_mT6_P12ihipStream_tbENKUlT_T0_E_clISt17integral_constantIbLb0EESW_IbLb1EEEEDaSS_ST_EUlSS_E_NS1_11comp_targetILNS1_3genE3ELNS1_11target_archE908ELNS1_3gpuE7ELNS1_3repE0EEENS1_30default_config_static_selectorELNS0_4arch9wavefront6targetE1EEEvT1_,"axG",@progbits,_ZN7rocprim17ROCPRIM_400000_NS6detail17trampoline_kernelINS0_14default_configENS1_20scan_config_selectorIsEEZZNS1_9scan_implILNS1_25lookback_scan_determinismE0ELb0ELb0ES3_N6thrust23THRUST_200600_302600_NS6detail15normal_iteratorINS9_10device_ptrIsEEEENS9_16discard_iteratorINS9_11use_defaultEEEsNS9_4plusIvEEsEEDaPvRmT3_T4_T5_mT6_P12ihipStream_tbENKUlT_T0_E_clISt17integral_constantIbLb0EESW_IbLb1EEEEDaSS_ST_EUlSS_E_NS1_11comp_targetILNS1_3genE3ELNS1_11target_archE908ELNS1_3gpuE7ELNS1_3repE0EEENS1_30default_config_static_selectorELNS0_4arch9wavefront6targetE1EEEvT1_,comdat
.Lfunc_end5927:
	.size	_ZN7rocprim17ROCPRIM_400000_NS6detail17trampoline_kernelINS0_14default_configENS1_20scan_config_selectorIsEEZZNS1_9scan_implILNS1_25lookback_scan_determinismE0ELb0ELb0ES3_N6thrust23THRUST_200600_302600_NS6detail15normal_iteratorINS9_10device_ptrIsEEEENS9_16discard_iteratorINS9_11use_defaultEEEsNS9_4plusIvEEsEEDaPvRmT3_T4_T5_mT6_P12ihipStream_tbENKUlT_T0_E_clISt17integral_constantIbLb0EESW_IbLb1EEEEDaSS_ST_EUlSS_E_NS1_11comp_targetILNS1_3genE3ELNS1_11target_archE908ELNS1_3gpuE7ELNS1_3repE0EEENS1_30default_config_static_selectorELNS0_4arch9wavefront6targetE1EEEvT1_, .Lfunc_end5927-_ZN7rocprim17ROCPRIM_400000_NS6detail17trampoline_kernelINS0_14default_configENS1_20scan_config_selectorIsEEZZNS1_9scan_implILNS1_25lookback_scan_determinismE0ELb0ELb0ES3_N6thrust23THRUST_200600_302600_NS6detail15normal_iteratorINS9_10device_ptrIsEEEENS9_16discard_iteratorINS9_11use_defaultEEEsNS9_4plusIvEEsEEDaPvRmT3_T4_T5_mT6_P12ihipStream_tbENKUlT_T0_E_clISt17integral_constantIbLb0EESW_IbLb1EEEEDaSS_ST_EUlSS_E_NS1_11comp_targetILNS1_3genE3ELNS1_11target_archE908ELNS1_3gpuE7ELNS1_3repE0EEENS1_30default_config_static_selectorELNS0_4arch9wavefront6targetE1EEEvT1_
                                        ; -- End function
	.section	.AMDGPU.csdata,"",@progbits
; Kernel info:
; codeLenInByte = 0
; NumSgprs: 4
; NumVgprs: 0
; NumAgprs: 0
; TotalNumVgprs: 0
; ScratchSize: 0
; MemoryBound: 0
; FloatMode: 240
; IeeeMode: 1
; LDSByteSize: 0 bytes/workgroup (compile time only)
; SGPRBlocks: 0
; VGPRBlocks: 0
; NumSGPRsForWavesPerEU: 4
; NumVGPRsForWavesPerEU: 1
; AccumOffset: 4
; Occupancy: 8
; WaveLimiterHint : 0
; COMPUTE_PGM_RSRC2:SCRATCH_EN: 0
; COMPUTE_PGM_RSRC2:USER_SGPR: 6
; COMPUTE_PGM_RSRC2:TRAP_HANDLER: 0
; COMPUTE_PGM_RSRC2:TGID_X_EN: 1
; COMPUTE_PGM_RSRC2:TGID_Y_EN: 0
; COMPUTE_PGM_RSRC2:TGID_Z_EN: 0
; COMPUTE_PGM_RSRC2:TIDIG_COMP_CNT: 0
; COMPUTE_PGM_RSRC3_GFX90A:ACCUM_OFFSET: 0
; COMPUTE_PGM_RSRC3_GFX90A:TG_SPLIT: 0
	.section	.text._ZN7rocprim17ROCPRIM_400000_NS6detail17trampoline_kernelINS0_14default_configENS1_20scan_config_selectorIsEEZZNS1_9scan_implILNS1_25lookback_scan_determinismE0ELb0ELb0ES3_N6thrust23THRUST_200600_302600_NS6detail15normal_iteratorINS9_10device_ptrIsEEEENS9_16discard_iteratorINS9_11use_defaultEEEsNS9_4plusIvEEsEEDaPvRmT3_T4_T5_mT6_P12ihipStream_tbENKUlT_T0_E_clISt17integral_constantIbLb0EESW_IbLb1EEEEDaSS_ST_EUlSS_E_NS1_11comp_targetILNS1_3genE2ELNS1_11target_archE906ELNS1_3gpuE6ELNS1_3repE0EEENS1_30default_config_static_selectorELNS0_4arch9wavefront6targetE1EEEvT1_,"axG",@progbits,_ZN7rocprim17ROCPRIM_400000_NS6detail17trampoline_kernelINS0_14default_configENS1_20scan_config_selectorIsEEZZNS1_9scan_implILNS1_25lookback_scan_determinismE0ELb0ELb0ES3_N6thrust23THRUST_200600_302600_NS6detail15normal_iteratorINS9_10device_ptrIsEEEENS9_16discard_iteratorINS9_11use_defaultEEEsNS9_4plusIvEEsEEDaPvRmT3_T4_T5_mT6_P12ihipStream_tbENKUlT_T0_E_clISt17integral_constantIbLb0EESW_IbLb1EEEEDaSS_ST_EUlSS_E_NS1_11comp_targetILNS1_3genE2ELNS1_11target_archE906ELNS1_3gpuE6ELNS1_3repE0EEENS1_30default_config_static_selectorELNS0_4arch9wavefront6targetE1EEEvT1_,comdat
	.protected	_ZN7rocprim17ROCPRIM_400000_NS6detail17trampoline_kernelINS0_14default_configENS1_20scan_config_selectorIsEEZZNS1_9scan_implILNS1_25lookback_scan_determinismE0ELb0ELb0ES3_N6thrust23THRUST_200600_302600_NS6detail15normal_iteratorINS9_10device_ptrIsEEEENS9_16discard_iteratorINS9_11use_defaultEEEsNS9_4plusIvEEsEEDaPvRmT3_T4_T5_mT6_P12ihipStream_tbENKUlT_T0_E_clISt17integral_constantIbLb0EESW_IbLb1EEEEDaSS_ST_EUlSS_E_NS1_11comp_targetILNS1_3genE2ELNS1_11target_archE906ELNS1_3gpuE6ELNS1_3repE0EEENS1_30default_config_static_selectorELNS0_4arch9wavefront6targetE1EEEvT1_ ; -- Begin function _ZN7rocprim17ROCPRIM_400000_NS6detail17trampoline_kernelINS0_14default_configENS1_20scan_config_selectorIsEEZZNS1_9scan_implILNS1_25lookback_scan_determinismE0ELb0ELb0ES3_N6thrust23THRUST_200600_302600_NS6detail15normal_iteratorINS9_10device_ptrIsEEEENS9_16discard_iteratorINS9_11use_defaultEEEsNS9_4plusIvEEsEEDaPvRmT3_T4_T5_mT6_P12ihipStream_tbENKUlT_T0_E_clISt17integral_constantIbLb0EESW_IbLb1EEEEDaSS_ST_EUlSS_E_NS1_11comp_targetILNS1_3genE2ELNS1_11target_archE906ELNS1_3gpuE6ELNS1_3repE0EEENS1_30default_config_static_selectorELNS0_4arch9wavefront6targetE1EEEvT1_
	.globl	_ZN7rocprim17ROCPRIM_400000_NS6detail17trampoline_kernelINS0_14default_configENS1_20scan_config_selectorIsEEZZNS1_9scan_implILNS1_25lookback_scan_determinismE0ELb0ELb0ES3_N6thrust23THRUST_200600_302600_NS6detail15normal_iteratorINS9_10device_ptrIsEEEENS9_16discard_iteratorINS9_11use_defaultEEEsNS9_4plusIvEEsEEDaPvRmT3_T4_T5_mT6_P12ihipStream_tbENKUlT_T0_E_clISt17integral_constantIbLb0EESW_IbLb1EEEEDaSS_ST_EUlSS_E_NS1_11comp_targetILNS1_3genE2ELNS1_11target_archE906ELNS1_3gpuE6ELNS1_3repE0EEENS1_30default_config_static_selectorELNS0_4arch9wavefront6targetE1EEEvT1_
	.p2align	8
	.type	_ZN7rocprim17ROCPRIM_400000_NS6detail17trampoline_kernelINS0_14default_configENS1_20scan_config_selectorIsEEZZNS1_9scan_implILNS1_25lookback_scan_determinismE0ELb0ELb0ES3_N6thrust23THRUST_200600_302600_NS6detail15normal_iteratorINS9_10device_ptrIsEEEENS9_16discard_iteratorINS9_11use_defaultEEEsNS9_4plusIvEEsEEDaPvRmT3_T4_T5_mT6_P12ihipStream_tbENKUlT_T0_E_clISt17integral_constantIbLb0EESW_IbLb1EEEEDaSS_ST_EUlSS_E_NS1_11comp_targetILNS1_3genE2ELNS1_11target_archE906ELNS1_3gpuE6ELNS1_3repE0EEENS1_30default_config_static_selectorELNS0_4arch9wavefront6targetE1EEEvT1_,@function
_ZN7rocprim17ROCPRIM_400000_NS6detail17trampoline_kernelINS0_14default_configENS1_20scan_config_selectorIsEEZZNS1_9scan_implILNS1_25lookback_scan_determinismE0ELb0ELb0ES3_N6thrust23THRUST_200600_302600_NS6detail15normal_iteratorINS9_10device_ptrIsEEEENS9_16discard_iteratorINS9_11use_defaultEEEsNS9_4plusIvEEsEEDaPvRmT3_T4_T5_mT6_P12ihipStream_tbENKUlT_T0_E_clISt17integral_constantIbLb0EESW_IbLb1EEEEDaSS_ST_EUlSS_E_NS1_11comp_targetILNS1_3genE2ELNS1_11target_archE906ELNS1_3gpuE6ELNS1_3repE0EEENS1_30default_config_static_selectorELNS0_4arch9wavefront6targetE1EEEvT1_: ; @_ZN7rocprim17ROCPRIM_400000_NS6detail17trampoline_kernelINS0_14default_configENS1_20scan_config_selectorIsEEZZNS1_9scan_implILNS1_25lookback_scan_determinismE0ELb0ELb0ES3_N6thrust23THRUST_200600_302600_NS6detail15normal_iteratorINS9_10device_ptrIsEEEENS9_16discard_iteratorINS9_11use_defaultEEEsNS9_4plusIvEEsEEDaPvRmT3_T4_T5_mT6_P12ihipStream_tbENKUlT_T0_E_clISt17integral_constantIbLb0EESW_IbLb1EEEEDaSS_ST_EUlSS_E_NS1_11comp_targetILNS1_3genE2ELNS1_11target_archE906ELNS1_3gpuE6ELNS1_3repE0EEENS1_30default_config_static_selectorELNS0_4arch9wavefront6targetE1EEEvT1_
; %bb.0:
	.section	.rodata,"a",@progbits
	.p2align	6, 0x0
	.amdhsa_kernel _ZN7rocprim17ROCPRIM_400000_NS6detail17trampoline_kernelINS0_14default_configENS1_20scan_config_selectorIsEEZZNS1_9scan_implILNS1_25lookback_scan_determinismE0ELb0ELb0ES3_N6thrust23THRUST_200600_302600_NS6detail15normal_iteratorINS9_10device_ptrIsEEEENS9_16discard_iteratorINS9_11use_defaultEEEsNS9_4plusIvEEsEEDaPvRmT3_T4_T5_mT6_P12ihipStream_tbENKUlT_T0_E_clISt17integral_constantIbLb0EESW_IbLb1EEEEDaSS_ST_EUlSS_E_NS1_11comp_targetILNS1_3genE2ELNS1_11target_archE906ELNS1_3gpuE6ELNS1_3repE0EEENS1_30default_config_static_selectorELNS0_4arch9wavefront6targetE1EEEvT1_
		.amdhsa_group_segment_fixed_size 0
		.amdhsa_private_segment_fixed_size 0
		.amdhsa_kernarg_size 104
		.amdhsa_user_sgpr_count 6
		.amdhsa_user_sgpr_private_segment_buffer 1
		.amdhsa_user_sgpr_dispatch_ptr 0
		.amdhsa_user_sgpr_queue_ptr 0
		.amdhsa_user_sgpr_kernarg_segment_ptr 1
		.amdhsa_user_sgpr_dispatch_id 0
		.amdhsa_user_sgpr_flat_scratch_init 0
		.amdhsa_user_sgpr_kernarg_preload_length 0
		.amdhsa_user_sgpr_kernarg_preload_offset 0
		.amdhsa_user_sgpr_private_segment_size 0
		.amdhsa_uses_dynamic_stack 0
		.amdhsa_system_sgpr_private_segment_wavefront_offset 0
		.amdhsa_system_sgpr_workgroup_id_x 1
		.amdhsa_system_sgpr_workgroup_id_y 0
		.amdhsa_system_sgpr_workgroup_id_z 0
		.amdhsa_system_sgpr_workgroup_info 0
		.amdhsa_system_vgpr_workitem_id 0
		.amdhsa_next_free_vgpr 1
		.amdhsa_next_free_sgpr 0
		.amdhsa_accum_offset 4
		.amdhsa_reserve_vcc 0
		.amdhsa_reserve_flat_scratch 0
		.amdhsa_float_round_mode_32 0
		.amdhsa_float_round_mode_16_64 0
		.amdhsa_float_denorm_mode_32 3
		.amdhsa_float_denorm_mode_16_64 3
		.amdhsa_dx10_clamp 1
		.amdhsa_ieee_mode 1
		.amdhsa_fp16_overflow 0
		.amdhsa_tg_split 0
		.amdhsa_exception_fp_ieee_invalid_op 0
		.amdhsa_exception_fp_denorm_src 0
		.amdhsa_exception_fp_ieee_div_zero 0
		.amdhsa_exception_fp_ieee_overflow 0
		.amdhsa_exception_fp_ieee_underflow 0
		.amdhsa_exception_fp_ieee_inexact 0
		.amdhsa_exception_int_div_zero 0
	.end_amdhsa_kernel
	.section	.text._ZN7rocprim17ROCPRIM_400000_NS6detail17trampoline_kernelINS0_14default_configENS1_20scan_config_selectorIsEEZZNS1_9scan_implILNS1_25lookback_scan_determinismE0ELb0ELb0ES3_N6thrust23THRUST_200600_302600_NS6detail15normal_iteratorINS9_10device_ptrIsEEEENS9_16discard_iteratorINS9_11use_defaultEEEsNS9_4plusIvEEsEEDaPvRmT3_T4_T5_mT6_P12ihipStream_tbENKUlT_T0_E_clISt17integral_constantIbLb0EESW_IbLb1EEEEDaSS_ST_EUlSS_E_NS1_11comp_targetILNS1_3genE2ELNS1_11target_archE906ELNS1_3gpuE6ELNS1_3repE0EEENS1_30default_config_static_selectorELNS0_4arch9wavefront6targetE1EEEvT1_,"axG",@progbits,_ZN7rocprim17ROCPRIM_400000_NS6detail17trampoline_kernelINS0_14default_configENS1_20scan_config_selectorIsEEZZNS1_9scan_implILNS1_25lookback_scan_determinismE0ELb0ELb0ES3_N6thrust23THRUST_200600_302600_NS6detail15normal_iteratorINS9_10device_ptrIsEEEENS9_16discard_iteratorINS9_11use_defaultEEEsNS9_4plusIvEEsEEDaPvRmT3_T4_T5_mT6_P12ihipStream_tbENKUlT_T0_E_clISt17integral_constantIbLb0EESW_IbLb1EEEEDaSS_ST_EUlSS_E_NS1_11comp_targetILNS1_3genE2ELNS1_11target_archE906ELNS1_3gpuE6ELNS1_3repE0EEENS1_30default_config_static_selectorELNS0_4arch9wavefront6targetE1EEEvT1_,comdat
.Lfunc_end5928:
	.size	_ZN7rocprim17ROCPRIM_400000_NS6detail17trampoline_kernelINS0_14default_configENS1_20scan_config_selectorIsEEZZNS1_9scan_implILNS1_25lookback_scan_determinismE0ELb0ELb0ES3_N6thrust23THRUST_200600_302600_NS6detail15normal_iteratorINS9_10device_ptrIsEEEENS9_16discard_iteratorINS9_11use_defaultEEEsNS9_4plusIvEEsEEDaPvRmT3_T4_T5_mT6_P12ihipStream_tbENKUlT_T0_E_clISt17integral_constantIbLb0EESW_IbLb1EEEEDaSS_ST_EUlSS_E_NS1_11comp_targetILNS1_3genE2ELNS1_11target_archE906ELNS1_3gpuE6ELNS1_3repE0EEENS1_30default_config_static_selectorELNS0_4arch9wavefront6targetE1EEEvT1_, .Lfunc_end5928-_ZN7rocprim17ROCPRIM_400000_NS6detail17trampoline_kernelINS0_14default_configENS1_20scan_config_selectorIsEEZZNS1_9scan_implILNS1_25lookback_scan_determinismE0ELb0ELb0ES3_N6thrust23THRUST_200600_302600_NS6detail15normal_iteratorINS9_10device_ptrIsEEEENS9_16discard_iteratorINS9_11use_defaultEEEsNS9_4plusIvEEsEEDaPvRmT3_T4_T5_mT6_P12ihipStream_tbENKUlT_T0_E_clISt17integral_constantIbLb0EESW_IbLb1EEEEDaSS_ST_EUlSS_E_NS1_11comp_targetILNS1_3genE2ELNS1_11target_archE906ELNS1_3gpuE6ELNS1_3repE0EEENS1_30default_config_static_selectorELNS0_4arch9wavefront6targetE1EEEvT1_
                                        ; -- End function
	.section	.AMDGPU.csdata,"",@progbits
; Kernel info:
; codeLenInByte = 0
; NumSgprs: 4
; NumVgprs: 0
; NumAgprs: 0
; TotalNumVgprs: 0
; ScratchSize: 0
; MemoryBound: 0
; FloatMode: 240
; IeeeMode: 1
; LDSByteSize: 0 bytes/workgroup (compile time only)
; SGPRBlocks: 0
; VGPRBlocks: 0
; NumSGPRsForWavesPerEU: 4
; NumVGPRsForWavesPerEU: 1
; AccumOffset: 4
; Occupancy: 8
; WaveLimiterHint : 0
; COMPUTE_PGM_RSRC2:SCRATCH_EN: 0
; COMPUTE_PGM_RSRC2:USER_SGPR: 6
; COMPUTE_PGM_RSRC2:TRAP_HANDLER: 0
; COMPUTE_PGM_RSRC2:TGID_X_EN: 1
; COMPUTE_PGM_RSRC2:TGID_Y_EN: 0
; COMPUTE_PGM_RSRC2:TGID_Z_EN: 0
; COMPUTE_PGM_RSRC2:TIDIG_COMP_CNT: 0
; COMPUTE_PGM_RSRC3_GFX90A:ACCUM_OFFSET: 0
; COMPUTE_PGM_RSRC3_GFX90A:TG_SPLIT: 0
	.section	.text._ZN7rocprim17ROCPRIM_400000_NS6detail17trampoline_kernelINS0_14default_configENS1_20scan_config_selectorIsEEZZNS1_9scan_implILNS1_25lookback_scan_determinismE0ELb0ELb0ES3_N6thrust23THRUST_200600_302600_NS6detail15normal_iteratorINS9_10device_ptrIsEEEENS9_16discard_iteratorINS9_11use_defaultEEEsNS9_4plusIvEEsEEDaPvRmT3_T4_T5_mT6_P12ihipStream_tbENKUlT_T0_E_clISt17integral_constantIbLb0EESW_IbLb1EEEEDaSS_ST_EUlSS_E_NS1_11comp_targetILNS1_3genE10ELNS1_11target_archE1201ELNS1_3gpuE5ELNS1_3repE0EEENS1_30default_config_static_selectorELNS0_4arch9wavefront6targetE1EEEvT1_,"axG",@progbits,_ZN7rocprim17ROCPRIM_400000_NS6detail17trampoline_kernelINS0_14default_configENS1_20scan_config_selectorIsEEZZNS1_9scan_implILNS1_25lookback_scan_determinismE0ELb0ELb0ES3_N6thrust23THRUST_200600_302600_NS6detail15normal_iteratorINS9_10device_ptrIsEEEENS9_16discard_iteratorINS9_11use_defaultEEEsNS9_4plusIvEEsEEDaPvRmT3_T4_T5_mT6_P12ihipStream_tbENKUlT_T0_E_clISt17integral_constantIbLb0EESW_IbLb1EEEEDaSS_ST_EUlSS_E_NS1_11comp_targetILNS1_3genE10ELNS1_11target_archE1201ELNS1_3gpuE5ELNS1_3repE0EEENS1_30default_config_static_selectorELNS0_4arch9wavefront6targetE1EEEvT1_,comdat
	.protected	_ZN7rocprim17ROCPRIM_400000_NS6detail17trampoline_kernelINS0_14default_configENS1_20scan_config_selectorIsEEZZNS1_9scan_implILNS1_25lookback_scan_determinismE0ELb0ELb0ES3_N6thrust23THRUST_200600_302600_NS6detail15normal_iteratorINS9_10device_ptrIsEEEENS9_16discard_iteratorINS9_11use_defaultEEEsNS9_4plusIvEEsEEDaPvRmT3_T4_T5_mT6_P12ihipStream_tbENKUlT_T0_E_clISt17integral_constantIbLb0EESW_IbLb1EEEEDaSS_ST_EUlSS_E_NS1_11comp_targetILNS1_3genE10ELNS1_11target_archE1201ELNS1_3gpuE5ELNS1_3repE0EEENS1_30default_config_static_selectorELNS0_4arch9wavefront6targetE1EEEvT1_ ; -- Begin function _ZN7rocprim17ROCPRIM_400000_NS6detail17trampoline_kernelINS0_14default_configENS1_20scan_config_selectorIsEEZZNS1_9scan_implILNS1_25lookback_scan_determinismE0ELb0ELb0ES3_N6thrust23THRUST_200600_302600_NS6detail15normal_iteratorINS9_10device_ptrIsEEEENS9_16discard_iteratorINS9_11use_defaultEEEsNS9_4plusIvEEsEEDaPvRmT3_T4_T5_mT6_P12ihipStream_tbENKUlT_T0_E_clISt17integral_constantIbLb0EESW_IbLb1EEEEDaSS_ST_EUlSS_E_NS1_11comp_targetILNS1_3genE10ELNS1_11target_archE1201ELNS1_3gpuE5ELNS1_3repE0EEENS1_30default_config_static_selectorELNS0_4arch9wavefront6targetE1EEEvT1_
	.globl	_ZN7rocprim17ROCPRIM_400000_NS6detail17trampoline_kernelINS0_14default_configENS1_20scan_config_selectorIsEEZZNS1_9scan_implILNS1_25lookback_scan_determinismE0ELb0ELb0ES3_N6thrust23THRUST_200600_302600_NS6detail15normal_iteratorINS9_10device_ptrIsEEEENS9_16discard_iteratorINS9_11use_defaultEEEsNS9_4plusIvEEsEEDaPvRmT3_T4_T5_mT6_P12ihipStream_tbENKUlT_T0_E_clISt17integral_constantIbLb0EESW_IbLb1EEEEDaSS_ST_EUlSS_E_NS1_11comp_targetILNS1_3genE10ELNS1_11target_archE1201ELNS1_3gpuE5ELNS1_3repE0EEENS1_30default_config_static_selectorELNS0_4arch9wavefront6targetE1EEEvT1_
	.p2align	8
	.type	_ZN7rocprim17ROCPRIM_400000_NS6detail17trampoline_kernelINS0_14default_configENS1_20scan_config_selectorIsEEZZNS1_9scan_implILNS1_25lookback_scan_determinismE0ELb0ELb0ES3_N6thrust23THRUST_200600_302600_NS6detail15normal_iteratorINS9_10device_ptrIsEEEENS9_16discard_iteratorINS9_11use_defaultEEEsNS9_4plusIvEEsEEDaPvRmT3_T4_T5_mT6_P12ihipStream_tbENKUlT_T0_E_clISt17integral_constantIbLb0EESW_IbLb1EEEEDaSS_ST_EUlSS_E_NS1_11comp_targetILNS1_3genE10ELNS1_11target_archE1201ELNS1_3gpuE5ELNS1_3repE0EEENS1_30default_config_static_selectorELNS0_4arch9wavefront6targetE1EEEvT1_,@function
_ZN7rocprim17ROCPRIM_400000_NS6detail17trampoline_kernelINS0_14default_configENS1_20scan_config_selectorIsEEZZNS1_9scan_implILNS1_25lookback_scan_determinismE0ELb0ELb0ES3_N6thrust23THRUST_200600_302600_NS6detail15normal_iteratorINS9_10device_ptrIsEEEENS9_16discard_iteratorINS9_11use_defaultEEEsNS9_4plusIvEEsEEDaPvRmT3_T4_T5_mT6_P12ihipStream_tbENKUlT_T0_E_clISt17integral_constantIbLb0EESW_IbLb1EEEEDaSS_ST_EUlSS_E_NS1_11comp_targetILNS1_3genE10ELNS1_11target_archE1201ELNS1_3gpuE5ELNS1_3repE0EEENS1_30default_config_static_selectorELNS0_4arch9wavefront6targetE1EEEvT1_: ; @_ZN7rocprim17ROCPRIM_400000_NS6detail17trampoline_kernelINS0_14default_configENS1_20scan_config_selectorIsEEZZNS1_9scan_implILNS1_25lookback_scan_determinismE0ELb0ELb0ES3_N6thrust23THRUST_200600_302600_NS6detail15normal_iteratorINS9_10device_ptrIsEEEENS9_16discard_iteratorINS9_11use_defaultEEEsNS9_4plusIvEEsEEDaPvRmT3_T4_T5_mT6_P12ihipStream_tbENKUlT_T0_E_clISt17integral_constantIbLb0EESW_IbLb1EEEEDaSS_ST_EUlSS_E_NS1_11comp_targetILNS1_3genE10ELNS1_11target_archE1201ELNS1_3gpuE5ELNS1_3repE0EEENS1_30default_config_static_selectorELNS0_4arch9wavefront6targetE1EEEvT1_
; %bb.0:
	.section	.rodata,"a",@progbits
	.p2align	6, 0x0
	.amdhsa_kernel _ZN7rocprim17ROCPRIM_400000_NS6detail17trampoline_kernelINS0_14default_configENS1_20scan_config_selectorIsEEZZNS1_9scan_implILNS1_25lookback_scan_determinismE0ELb0ELb0ES3_N6thrust23THRUST_200600_302600_NS6detail15normal_iteratorINS9_10device_ptrIsEEEENS9_16discard_iteratorINS9_11use_defaultEEEsNS9_4plusIvEEsEEDaPvRmT3_T4_T5_mT6_P12ihipStream_tbENKUlT_T0_E_clISt17integral_constantIbLb0EESW_IbLb1EEEEDaSS_ST_EUlSS_E_NS1_11comp_targetILNS1_3genE10ELNS1_11target_archE1201ELNS1_3gpuE5ELNS1_3repE0EEENS1_30default_config_static_selectorELNS0_4arch9wavefront6targetE1EEEvT1_
		.amdhsa_group_segment_fixed_size 0
		.amdhsa_private_segment_fixed_size 0
		.amdhsa_kernarg_size 104
		.amdhsa_user_sgpr_count 6
		.amdhsa_user_sgpr_private_segment_buffer 1
		.amdhsa_user_sgpr_dispatch_ptr 0
		.amdhsa_user_sgpr_queue_ptr 0
		.amdhsa_user_sgpr_kernarg_segment_ptr 1
		.amdhsa_user_sgpr_dispatch_id 0
		.amdhsa_user_sgpr_flat_scratch_init 0
		.amdhsa_user_sgpr_kernarg_preload_length 0
		.amdhsa_user_sgpr_kernarg_preload_offset 0
		.amdhsa_user_sgpr_private_segment_size 0
		.amdhsa_uses_dynamic_stack 0
		.amdhsa_system_sgpr_private_segment_wavefront_offset 0
		.amdhsa_system_sgpr_workgroup_id_x 1
		.amdhsa_system_sgpr_workgroup_id_y 0
		.amdhsa_system_sgpr_workgroup_id_z 0
		.amdhsa_system_sgpr_workgroup_info 0
		.amdhsa_system_vgpr_workitem_id 0
		.amdhsa_next_free_vgpr 1
		.amdhsa_next_free_sgpr 0
		.amdhsa_accum_offset 4
		.amdhsa_reserve_vcc 0
		.amdhsa_reserve_flat_scratch 0
		.amdhsa_float_round_mode_32 0
		.amdhsa_float_round_mode_16_64 0
		.amdhsa_float_denorm_mode_32 3
		.amdhsa_float_denorm_mode_16_64 3
		.amdhsa_dx10_clamp 1
		.amdhsa_ieee_mode 1
		.amdhsa_fp16_overflow 0
		.amdhsa_tg_split 0
		.amdhsa_exception_fp_ieee_invalid_op 0
		.amdhsa_exception_fp_denorm_src 0
		.amdhsa_exception_fp_ieee_div_zero 0
		.amdhsa_exception_fp_ieee_overflow 0
		.amdhsa_exception_fp_ieee_underflow 0
		.amdhsa_exception_fp_ieee_inexact 0
		.amdhsa_exception_int_div_zero 0
	.end_amdhsa_kernel
	.section	.text._ZN7rocprim17ROCPRIM_400000_NS6detail17trampoline_kernelINS0_14default_configENS1_20scan_config_selectorIsEEZZNS1_9scan_implILNS1_25lookback_scan_determinismE0ELb0ELb0ES3_N6thrust23THRUST_200600_302600_NS6detail15normal_iteratorINS9_10device_ptrIsEEEENS9_16discard_iteratorINS9_11use_defaultEEEsNS9_4plusIvEEsEEDaPvRmT3_T4_T5_mT6_P12ihipStream_tbENKUlT_T0_E_clISt17integral_constantIbLb0EESW_IbLb1EEEEDaSS_ST_EUlSS_E_NS1_11comp_targetILNS1_3genE10ELNS1_11target_archE1201ELNS1_3gpuE5ELNS1_3repE0EEENS1_30default_config_static_selectorELNS0_4arch9wavefront6targetE1EEEvT1_,"axG",@progbits,_ZN7rocprim17ROCPRIM_400000_NS6detail17trampoline_kernelINS0_14default_configENS1_20scan_config_selectorIsEEZZNS1_9scan_implILNS1_25lookback_scan_determinismE0ELb0ELb0ES3_N6thrust23THRUST_200600_302600_NS6detail15normal_iteratorINS9_10device_ptrIsEEEENS9_16discard_iteratorINS9_11use_defaultEEEsNS9_4plusIvEEsEEDaPvRmT3_T4_T5_mT6_P12ihipStream_tbENKUlT_T0_E_clISt17integral_constantIbLb0EESW_IbLb1EEEEDaSS_ST_EUlSS_E_NS1_11comp_targetILNS1_3genE10ELNS1_11target_archE1201ELNS1_3gpuE5ELNS1_3repE0EEENS1_30default_config_static_selectorELNS0_4arch9wavefront6targetE1EEEvT1_,comdat
.Lfunc_end5929:
	.size	_ZN7rocprim17ROCPRIM_400000_NS6detail17trampoline_kernelINS0_14default_configENS1_20scan_config_selectorIsEEZZNS1_9scan_implILNS1_25lookback_scan_determinismE0ELb0ELb0ES3_N6thrust23THRUST_200600_302600_NS6detail15normal_iteratorINS9_10device_ptrIsEEEENS9_16discard_iteratorINS9_11use_defaultEEEsNS9_4plusIvEEsEEDaPvRmT3_T4_T5_mT6_P12ihipStream_tbENKUlT_T0_E_clISt17integral_constantIbLb0EESW_IbLb1EEEEDaSS_ST_EUlSS_E_NS1_11comp_targetILNS1_3genE10ELNS1_11target_archE1201ELNS1_3gpuE5ELNS1_3repE0EEENS1_30default_config_static_selectorELNS0_4arch9wavefront6targetE1EEEvT1_, .Lfunc_end5929-_ZN7rocprim17ROCPRIM_400000_NS6detail17trampoline_kernelINS0_14default_configENS1_20scan_config_selectorIsEEZZNS1_9scan_implILNS1_25lookback_scan_determinismE0ELb0ELb0ES3_N6thrust23THRUST_200600_302600_NS6detail15normal_iteratorINS9_10device_ptrIsEEEENS9_16discard_iteratorINS9_11use_defaultEEEsNS9_4plusIvEEsEEDaPvRmT3_T4_T5_mT6_P12ihipStream_tbENKUlT_T0_E_clISt17integral_constantIbLb0EESW_IbLb1EEEEDaSS_ST_EUlSS_E_NS1_11comp_targetILNS1_3genE10ELNS1_11target_archE1201ELNS1_3gpuE5ELNS1_3repE0EEENS1_30default_config_static_selectorELNS0_4arch9wavefront6targetE1EEEvT1_
                                        ; -- End function
	.section	.AMDGPU.csdata,"",@progbits
; Kernel info:
; codeLenInByte = 0
; NumSgprs: 4
; NumVgprs: 0
; NumAgprs: 0
; TotalNumVgprs: 0
; ScratchSize: 0
; MemoryBound: 0
; FloatMode: 240
; IeeeMode: 1
; LDSByteSize: 0 bytes/workgroup (compile time only)
; SGPRBlocks: 0
; VGPRBlocks: 0
; NumSGPRsForWavesPerEU: 4
; NumVGPRsForWavesPerEU: 1
; AccumOffset: 4
; Occupancy: 8
; WaveLimiterHint : 0
; COMPUTE_PGM_RSRC2:SCRATCH_EN: 0
; COMPUTE_PGM_RSRC2:USER_SGPR: 6
; COMPUTE_PGM_RSRC2:TRAP_HANDLER: 0
; COMPUTE_PGM_RSRC2:TGID_X_EN: 1
; COMPUTE_PGM_RSRC2:TGID_Y_EN: 0
; COMPUTE_PGM_RSRC2:TGID_Z_EN: 0
; COMPUTE_PGM_RSRC2:TIDIG_COMP_CNT: 0
; COMPUTE_PGM_RSRC3_GFX90A:ACCUM_OFFSET: 0
; COMPUTE_PGM_RSRC3_GFX90A:TG_SPLIT: 0
	.section	.text._ZN7rocprim17ROCPRIM_400000_NS6detail17trampoline_kernelINS0_14default_configENS1_20scan_config_selectorIsEEZZNS1_9scan_implILNS1_25lookback_scan_determinismE0ELb0ELb0ES3_N6thrust23THRUST_200600_302600_NS6detail15normal_iteratorINS9_10device_ptrIsEEEENS9_16discard_iteratorINS9_11use_defaultEEEsNS9_4plusIvEEsEEDaPvRmT3_T4_T5_mT6_P12ihipStream_tbENKUlT_T0_E_clISt17integral_constantIbLb0EESW_IbLb1EEEEDaSS_ST_EUlSS_E_NS1_11comp_targetILNS1_3genE10ELNS1_11target_archE1200ELNS1_3gpuE4ELNS1_3repE0EEENS1_30default_config_static_selectorELNS0_4arch9wavefront6targetE1EEEvT1_,"axG",@progbits,_ZN7rocprim17ROCPRIM_400000_NS6detail17trampoline_kernelINS0_14default_configENS1_20scan_config_selectorIsEEZZNS1_9scan_implILNS1_25lookback_scan_determinismE0ELb0ELb0ES3_N6thrust23THRUST_200600_302600_NS6detail15normal_iteratorINS9_10device_ptrIsEEEENS9_16discard_iteratorINS9_11use_defaultEEEsNS9_4plusIvEEsEEDaPvRmT3_T4_T5_mT6_P12ihipStream_tbENKUlT_T0_E_clISt17integral_constantIbLb0EESW_IbLb1EEEEDaSS_ST_EUlSS_E_NS1_11comp_targetILNS1_3genE10ELNS1_11target_archE1200ELNS1_3gpuE4ELNS1_3repE0EEENS1_30default_config_static_selectorELNS0_4arch9wavefront6targetE1EEEvT1_,comdat
	.protected	_ZN7rocprim17ROCPRIM_400000_NS6detail17trampoline_kernelINS0_14default_configENS1_20scan_config_selectorIsEEZZNS1_9scan_implILNS1_25lookback_scan_determinismE0ELb0ELb0ES3_N6thrust23THRUST_200600_302600_NS6detail15normal_iteratorINS9_10device_ptrIsEEEENS9_16discard_iteratorINS9_11use_defaultEEEsNS9_4plusIvEEsEEDaPvRmT3_T4_T5_mT6_P12ihipStream_tbENKUlT_T0_E_clISt17integral_constantIbLb0EESW_IbLb1EEEEDaSS_ST_EUlSS_E_NS1_11comp_targetILNS1_3genE10ELNS1_11target_archE1200ELNS1_3gpuE4ELNS1_3repE0EEENS1_30default_config_static_selectorELNS0_4arch9wavefront6targetE1EEEvT1_ ; -- Begin function _ZN7rocprim17ROCPRIM_400000_NS6detail17trampoline_kernelINS0_14default_configENS1_20scan_config_selectorIsEEZZNS1_9scan_implILNS1_25lookback_scan_determinismE0ELb0ELb0ES3_N6thrust23THRUST_200600_302600_NS6detail15normal_iteratorINS9_10device_ptrIsEEEENS9_16discard_iteratorINS9_11use_defaultEEEsNS9_4plusIvEEsEEDaPvRmT3_T4_T5_mT6_P12ihipStream_tbENKUlT_T0_E_clISt17integral_constantIbLb0EESW_IbLb1EEEEDaSS_ST_EUlSS_E_NS1_11comp_targetILNS1_3genE10ELNS1_11target_archE1200ELNS1_3gpuE4ELNS1_3repE0EEENS1_30default_config_static_selectorELNS0_4arch9wavefront6targetE1EEEvT1_
	.globl	_ZN7rocprim17ROCPRIM_400000_NS6detail17trampoline_kernelINS0_14default_configENS1_20scan_config_selectorIsEEZZNS1_9scan_implILNS1_25lookback_scan_determinismE0ELb0ELb0ES3_N6thrust23THRUST_200600_302600_NS6detail15normal_iteratorINS9_10device_ptrIsEEEENS9_16discard_iteratorINS9_11use_defaultEEEsNS9_4plusIvEEsEEDaPvRmT3_T4_T5_mT6_P12ihipStream_tbENKUlT_T0_E_clISt17integral_constantIbLb0EESW_IbLb1EEEEDaSS_ST_EUlSS_E_NS1_11comp_targetILNS1_3genE10ELNS1_11target_archE1200ELNS1_3gpuE4ELNS1_3repE0EEENS1_30default_config_static_selectorELNS0_4arch9wavefront6targetE1EEEvT1_
	.p2align	8
	.type	_ZN7rocprim17ROCPRIM_400000_NS6detail17trampoline_kernelINS0_14default_configENS1_20scan_config_selectorIsEEZZNS1_9scan_implILNS1_25lookback_scan_determinismE0ELb0ELb0ES3_N6thrust23THRUST_200600_302600_NS6detail15normal_iteratorINS9_10device_ptrIsEEEENS9_16discard_iteratorINS9_11use_defaultEEEsNS9_4plusIvEEsEEDaPvRmT3_T4_T5_mT6_P12ihipStream_tbENKUlT_T0_E_clISt17integral_constantIbLb0EESW_IbLb1EEEEDaSS_ST_EUlSS_E_NS1_11comp_targetILNS1_3genE10ELNS1_11target_archE1200ELNS1_3gpuE4ELNS1_3repE0EEENS1_30default_config_static_selectorELNS0_4arch9wavefront6targetE1EEEvT1_,@function
_ZN7rocprim17ROCPRIM_400000_NS6detail17trampoline_kernelINS0_14default_configENS1_20scan_config_selectorIsEEZZNS1_9scan_implILNS1_25lookback_scan_determinismE0ELb0ELb0ES3_N6thrust23THRUST_200600_302600_NS6detail15normal_iteratorINS9_10device_ptrIsEEEENS9_16discard_iteratorINS9_11use_defaultEEEsNS9_4plusIvEEsEEDaPvRmT3_T4_T5_mT6_P12ihipStream_tbENKUlT_T0_E_clISt17integral_constantIbLb0EESW_IbLb1EEEEDaSS_ST_EUlSS_E_NS1_11comp_targetILNS1_3genE10ELNS1_11target_archE1200ELNS1_3gpuE4ELNS1_3repE0EEENS1_30default_config_static_selectorELNS0_4arch9wavefront6targetE1EEEvT1_: ; @_ZN7rocprim17ROCPRIM_400000_NS6detail17trampoline_kernelINS0_14default_configENS1_20scan_config_selectorIsEEZZNS1_9scan_implILNS1_25lookback_scan_determinismE0ELb0ELb0ES3_N6thrust23THRUST_200600_302600_NS6detail15normal_iteratorINS9_10device_ptrIsEEEENS9_16discard_iteratorINS9_11use_defaultEEEsNS9_4plusIvEEsEEDaPvRmT3_T4_T5_mT6_P12ihipStream_tbENKUlT_T0_E_clISt17integral_constantIbLb0EESW_IbLb1EEEEDaSS_ST_EUlSS_E_NS1_11comp_targetILNS1_3genE10ELNS1_11target_archE1200ELNS1_3gpuE4ELNS1_3repE0EEENS1_30default_config_static_selectorELNS0_4arch9wavefront6targetE1EEEvT1_
; %bb.0:
	.section	.rodata,"a",@progbits
	.p2align	6, 0x0
	.amdhsa_kernel _ZN7rocprim17ROCPRIM_400000_NS6detail17trampoline_kernelINS0_14default_configENS1_20scan_config_selectorIsEEZZNS1_9scan_implILNS1_25lookback_scan_determinismE0ELb0ELb0ES3_N6thrust23THRUST_200600_302600_NS6detail15normal_iteratorINS9_10device_ptrIsEEEENS9_16discard_iteratorINS9_11use_defaultEEEsNS9_4plusIvEEsEEDaPvRmT3_T4_T5_mT6_P12ihipStream_tbENKUlT_T0_E_clISt17integral_constantIbLb0EESW_IbLb1EEEEDaSS_ST_EUlSS_E_NS1_11comp_targetILNS1_3genE10ELNS1_11target_archE1200ELNS1_3gpuE4ELNS1_3repE0EEENS1_30default_config_static_selectorELNS0_4arch9wavefront6targetE1EEEvT1_
		.amdhsa_group_segment_fixed_size 0
		.amdhsa_private_segment_fixed_size 0
		.amdhsa_kernarg_size 104
		.amdhsa_user_sgpr_count 6
		.amdhsa_user_sgpr_private_segment_buffer 1
		.amdhsa_user_sgpr_dispatch_ptr 0
		.amdhsa_user_sgpr_queue_ptr 0
		.amdhsa_user_sgpr_kernarg_segment_ptr 1
		.amdhsa_user_sgpr_dispatch_id 0
		.amdhsa_user_sgpr_flat_scratch_init 0
		.amdhsa_user_sgpr_kernarg_preload_length 0
		.amdhsa_user_sgpr_kernarg_preload_offset 0
		.amdhsa_user_sgpr_private_segment_size 0
		.amdhsa_uses_dynamic_stack 0
		.amdhsa_system_sgpr_private_segment_wavefront_offset 0
		.amdhsa_system_sgpr_workgroup_id_x 1
		.amdhsa_system_sgpr_workgroup_id_y 0
		.amdhsa_system_sgpr_workgroup_id_z 0
		.amdhsa_system_sgpr_workgroup_info 0
		.amdhsa_system_vgpr_workitem_id 0
		.amdhsa_next_free_vgpr 1
		.amdhsa_next_free_sgpr 0
		.amdhsa_accum_offset 4
		.amdhsa_reserve_vcc 0
		.amdhsa_reserve_flat_scratch 0
		.amdhsa_float_round_mode_32 0
		.amdhsa_float_round_mode_16_64 0
		.amdhsa_float_denorm_mode_32 3
		.amdhsa_float_denorm_mode_16_64 3
		.amdhsa_dx10_clamp 1
		.amdhsa_ieee_mode 1
		.amdhsa_fp16_overflow 0
		.amdhsa_tg_split 0
		.amdhsa_exception_fp_ieee_invalid_op 0
		.amdhsa_exception_fp_denorm_src 0
		.amdhsa_exception_fp_ieee_div_zero 0
		.amdhsa_exception_fp_ieee_overflow 0
		.amdhsa_exception_fp_ieee_underflow 0
		.amdhsa_exception_fp_ieee_inexact 0
		.amdhsa_exception_int_div_zero 0
	.end_amdhsa_kernel
	.section	.text._ZN7rocprim17ROCPRIM_400000_NS6detail17trampoline_kernelINS0_14default_configENS1_20scan_config_selectorIsEEZZNS1_9scan_implILNS1_25lookback_scan_determinismE0ELb0ELb0ES3_N6thrust23THRUST_200600_302600_NS6detail15normal_iteratorINS9_10device_ptrIsEEEENS9_16discard_iteratorINS9_11use_defaultEEEsNS9_4plusIvEEsEEDaPvRmT3_T4_T5_mT6_P12ihipStream_tbENKUlT_T0_E_clISt17integral_constantIbLb0EESW_IbLb1EEEEDaSS_ST_EUlSS_E_NS1_11comp_targetILNS1_3genE10ELNS1_11target_archE1200ELNS1_3gpuE4ELNS1_3repE0EEENS1_30default_config_static_selectorELNS0_4arch9wavefront6targetE1EEEvT1_,"axG",@progbits,_ZN7rocprim17ROCPRIM_400000_NS6detail17trampoline_kernelINS0_14default_configENS1_20scan_config_selectorIsEEZZNS1_9scan_implILNS1_25lookback_scan_determinismE0ELb0ELb0ES3_N6thrust23THRUST_200600_302600_NS6detail15normal_iteratorINS9_10device_ptrIsEEEENS9_16discard_iteratorINS9_11use_defaultEEEsNS9_4plusIvEEsEEDaPvRmT3_T4_T5_mT6_P12ihipStream_tbENKUlT_T0_E_clISt17integral_constantIbLb0EESW_IbLb1EEEEDaSS_ST_EUlSS_E_NS1_11comp_targetILNS1_3genE10ELNS1_11target_archE1200ELNS1_3gpuE4ELNS1_3repE0EEENS1_30default_config_static_selectorELNS0_4arch9wavefront6targetE1EEEvT1_,comdat
.Lfunc_end5930:
	.size	_ZN7rocprim17ROCPRIM_400000_NS6detail17trampoline_kernelINS0_14default_configENS1_20scan_config_selectorIsEEZZNS1_9scan_implILNS1_25lookback_scan_determinismE0ELb0ELb0ES3_N6thrust23THRUST_200600_302600_NS6detail15normal_iteratorINS9_10device_ptrIsEEEENS9_16discard_iteratorINS9_11use_defaultEEEsNS9_4plusIvEEsEEDaPvRmT3_T4_T5_mT6_P12ihipStream_tbENKUlT_T0_E_clISt17integral_constantIbLb0EESW_IbLb1EEEEDaSS_ST_EUlSS_E_NS1_11comp_targetILNS1_3genE10ELNS1_11target_archE1200ELNS1_3gpuE4ELNS1_3repE0EEENS1_30default_config_static_selectorELNS0_4arch9wavefront6targetE1EEEvT1_, .Lfunc_end5930-_ZN7rocprim17ROCPRIM_400000_NS6detail17trampoline_kernelINS0_14default_configENS1_20scan_config_selectorIsEEZZNS1_9scan_implILNS1_25lookback_scan_determinismE0ELb0ELb0ES3_N6thrust23THRUST_200600_302600_NS6detail15normal_iteratorINS9_10device_ptrIsEEEENS9_16discard_iteratorINS9_11use_defaultEEEsNS9_4plusIvEEsEEDaPvRmT3_T4_T5_mT6_P12ihipStream_tbENKUlT_T0_E_clISt17integral_constantIbLb0EESW_IbLb1EEEEDaSS_ST_EUlSS_E_NS1_11comp_targetILNS1_3genE10ELNS1_11target_archE1200ELNS1_3gpuE4ELNS1_3repE0EEENS1_30default_config_static_selectorELNS0_4arch9wavefront6targetE1EEEvT1_
                                        ; -- End function
	.section	.AMDGPU.csdata,"",@progbits
; Kernel info:
; codeLenInByte = 0
; NumSgprs: 4
; NumVgprs: 0
; NumAgprs: 0
; TotalNumVgprs: 0
; ScratchSize: 0
; MemoryBound: 0
; FloatMode: 240
; IeeeMode: 1
; LDSByteSize: 0 bytes/workgroup (compile time only)
; SGPRBlocks: 0
; VGPRBlocks: 0
; NumSGPRsForWavesPerEU: 4
; NumVGPRsForWavesPerEU: 1
; AccumOffset: 4
; Occupancy: 8
; WaveLimiterHint : 0
; COMPUTE_PGM_RSRC2:SCRATCH_EN: 0
; COMPUTE_PGM_RSRC2:USER_SGPR: 6
; COMPUTE_PGM_RSRC2:TRAP_HANDLER: 0
; COMPUTE_PGM_RSRC2:TGID_X_EN: 1
; COMPUTE_PGM_RSRC2:TGID_Y_EN: 0
; COMPUTE_PGM_RSRC2:TGID_Z_EN: 0
; COMPUTE_PGM_RSRC2:TIDIG_COMP_CNT: 0
; COMPUTE_PGM_RSRC3_GFX90A:ACCUM_OFFSET: 0
; COMPUTE_PGM_RSRC3_GFX90A:TG_SPLIT: 0
	.section	.text._ZN7rocprim17ROCPRIM_400000_NS6detail17trampoline_kernelINS0_14default_configENS1_20scan_config_selectorIsEEZZNS1_9scan_implILNS1_25lookback_scan_determinismE0ELb0ELb0ES3_N6thrust23THRUST_200600_302600_NS6detail15normal_iteratorINS9_10device_ptrIsEEEENS9_16discard_iteratorINS9_11use_defaultEEEsNS9_4plusIvEEsEEDaPvRmT3_T4_T5_mT6_P12ihipStream_tbENKUlT_T0_E_clISt17integral_constantIbLb0EESW_IbLb1EEEEDaSS_ST_EUlSS_E_NS1_11comp_targetILNS1_3genE9ELNS1_11target_archE1100ELNS1_3gpuE3ELNS1_3repE0EEENS1_30default_config_static_selectorELNS0_4arch9wavefront6targetE1EEEvT1_,"axG",@progbits,_ZN7rocprim17ROCPRIM_400000_NS6detail17trampoline_kernelINS0_14default_configENS1_20scan_config_selectorIsEEZZNS1_9scan_implILNS1_25lookback_scan_determinismE0ELb0ELb0ES3_N6thrust23THRUST_200600_302600_NS6detail15normal_iteratorINS9_10device_ptrIsEEEENS9_16discard_iteratorINS9_11use_defaultEEEsNS9_4plusIvEEsEEDaPvRmT3_T4_T5_mT6_P12ihipStream_tbENKUlT_T0_E_clISt17integral_constantIbLb0EESW_IbLb1EEEEDaSS_ST_EUlSS_E_NS1_11comp_targetILNS1_3genE9ELNS1_11target_archE1100ELNS1_3gpuE3ELNS1_3repE0EEENS1_30default_config_static_selectorELNS0_4arch9wavefront6targetE1EEEvT1_,comdat
	.protected	_ZN7rocprim17ROCPRIM_400000_NS6detail17trampoline_kernelINS0_14default_configENS1_20scan_config_selectorIsEEZZNS1_9scan_implILNS1_25lookback_scan_determinismE0ELb0ELb0ES3_N6thrust23THRUST_200600_302600_NS6detail15normal_iteratorINS9_10device_ptrIsEEEENS9_16discard_iteratorINS9_11use_defaultEEEsNS9_4plusIvEEsEEDaPvRmT3_T4_T5_mT6_P12ihipStream_tbENKUlT_T0_E_clISt17integral_constantIbLb0EESW_IbLb1EEEEDaSS_ST_EUlSS_E_NS1_11comp_targetILNS1_3genE9ELNS1_11target_archE1100ELNS1_3gpuE3ELNS1_3repE0EEENS1_30default_config_static_selectorELNS0_4arch9wavefront6targetE1EEEvT1_ ; -- Begin function _ZN7rocprim17ROCPRIM_400000_NS6detail17trampoline_kernelINS0_14default_configENS1_20scan_config_selectorIsEEZZNS1_9scan_implILNS1_25lookback_scan_determinismE0ELb0ELb0ES3_N6thrust23THRUST_200600_302600_NS6detail15normal_iteratorINS9_10device_ptrIsEEEENS9_16discard_iteratorINS9_11use_defaultEEEsNS9_4plusIvEEsEEDaPvRmT3_T4_T5_mT6_P12ihipStream_tbENKUlT_T0_E_clISt17integral_constantIbLb0EESW_IbLb1EEEEDaSS_ST_EUlSS_E_NS1_11comp_targetILNS1_3genE9ELNS1_11target_archE1100ELNS1_3gpuE3ELNS1_3repE0EEENS1_30default_config_static_selectorELNS0_4arch9wavefront6targetE1EEEvT1_
	.globl	_ZN7rocprim17ROCPRIM_400000_NS6detail17trampoline_kernelINS0_14default_configENS1_20scan_config_selectorIsEEZZNS1_9scan_implILNS1_25lookback_scan_determinismE0ELb0ELb0ES3_N6thrust23THRUST_200600_302600_NS6detail15normal_iteratorINS9_10device_ptrIsEEEENS9_16discard_iteratorINS9_11use_defaultEEEsNS9_4plusIvEEsEEDaPvRmT3_T4_T5_mT6_P12ihipStream_tbENKUlT_T0_E_clISt17integral_constantIbLb0EESW_IbLb1EEEEDaSS_ST_EUlSS_E_NS1_11comp_targetILNS1_3genE9ELNS1_11target_archE1100ELNS1_3gpuE3ELNS1_3repE0EEENS1_30default_config_static_selectorELNS0_4arch9wavefront6targetE1EEEvT1_
	.p2align	8
	.type	_ZN7rocprim17ROCPRIM_400000_NS6detail17trampoline_kernelINS0_14default_configENS1_20scan_config_selectorIsEEZZNS1_9scan_implILNS1_25lookback_scan_determinismE0ELb0ELb0ES3_N6thrust23THRUST_200600_302600_NS6detail15normal_iteratorINS9_10device_ptrIsEEEENS9_16discard_iteratorINS9_11use_defaultEEEsNS9_4plusIvEEsEEDaPvRmT3_T4_T5_mT6_P12ihipStream_tbENKUlT_T0_E_clISt17integral_constantIbLb0EESW_IbLb1EEEEDaSS_ST_EUlSS_E_NS1_11comp_targetILNS1_3genE9ELNS1_11target_archE1100ELNS1_3gpuE3ELNS1_3repE0EEENS1_30default_config_static_selectorELNS0_4arch9wavefront6targetE1EEEvT1_,@function
_ZN7rocprim17ROCPRIM_400000_NS6detail17trampoline_kernelINS0_14default_configENS1_20scan_config_selectorIsEEZZNS1_9scan_implILNS1_25lookback_scan_determinismE0ELb0ELb0ES3_N6thrust23THRUST_200600_302600_NS6detail15normal_iteratorINS9_10device_ptrIsEEEENS9_16discard_iteratorINS9_11use_defaultEEEsNS9_4plusIvEEsEEDaPvRmT3_T4_T5_mT6_P12ihipStream_tbENKUlT_T0_E_clISt17integral_constantIbLb0EESW_IbLb1EEEEDaSS_ST_EUlSS_E_NS1_11comp_targetILNS1_3genE9ELNS1_11target_archE1100ELNS1_3gpuE3ELNS1_3repE0EEENS1_30default_config_static_selectorELNS0_4arch9wavefront6targetE1EEEvT1_: ; @_ZN7rocprim17ROCPRIM_400000_NS6detail17trampoline_kernelINS0_14default_configENS1_20scan_config_selectorIsEEZZNS1_9scan_implILNS1_25lookback_scan_determinismE0ELb0ELb0ES3_N6thrust23THRUST_200600_302600_NS6detail15normal_iteratorINS9_10device_ptrIsEEEENS9_16discard_iteratorINS9_11use_defaultEEEsNS9_4plusIvEEsEEDaPvRmT3_T4_T5_mT6_P12ihipStream_tbENKUlT_T0_E_clISt17integral_constantIbLb0EESW_IbLb1EEEEDaSS_ST_EUlSS_E_NS1_11comp_targetILNS1_3genE9ELNS1_11target_archE1100ELNS1_3gpuE3ELNS1_3repE0EEENS1_30default_config_static_selectorELNS0_4arch9wavefront6targetE1EEEvT1_
; %bb.0:
	.section	.rodata,"a",@progbits
	.p2align	6, 0x0
	.amdhsa_kernel _ZN7rocprim17ROCPRIM_400000_NS6detail17trampoline_kernelINS0_14default_configENS1_20scan_config_selectorIsEEZZNS1_9scan_implILNS1_25lookback_scan_determinismE0ELb0ELb0ES3_N6thrust23THRUST_200600_302600_NS6detail15normal_iteratorINS9_10device_ptrIsEEEENS9_16discard_iteratorINS9_11use_defaultEEEsNS9_4plusIvEEsEEDaPvRmT3_T4_T5_mT6_P12ihipStream_tbENKUlT_T0_E_clISt17integral_constantIbLb0EESW_IbLb1EEEEDaSS_ST_EUlSS_E_NS1_11comp_targetILNS1_3genE9ELNS1_11target_archE1100ELNS1_3gpuE3ELNS1_3repE0EEENS1_30default_config_static_selectorELNS0_4arch9wavefront6targetE1EEEvT1_
		.amdhsa_group_segment_fixed_size 0
		.amdhsa_private_segment_fixed_size 0
		.amdhsa_kernarg_size 104
		.amdhsa_user_sgpr_count 6
		.amdhsa_user_sgpr_private_segment_buffer 1
		.amdhsa_user_sgpr_dispatch_ptr 0
		.amdhsa_user_sgpr_queue_ptr 0
		.amdhsa_user_sgpr_kernarg_segment_ptr 1
		.amdhsa_user_sgpr_dispatch_id 0
		.amdhsa_user_sgpr_flat_scratch_init 0
		.amdhsa_user_sgpr_kernarg_preload_length 0
		.amdhsa_user_sgpr_kernarg_preload_offset 0
		.amdhsa_user_sgpr_private_segment_size 0
		.amdhsa_uses_dynamic_stack 0
		.amdhsa_system_sgpr_private_segment_wavefront_offset 0
		.amdhsa_system_sgpr_workgroup_id_x 1
		.amdhsa_system_sgpr_workgroup_id_y 0
		.amdhsa_system_sgpr_workgroup_id_z 0
		.amdhsa_system_sgpr_workgroup_info 0
		.amdhsa_system_vgpr_workitem_id 0
		.amdhsa_next_free_vgpr 1
		.amdhsa_next_free_sgpr 0
		.amdhsa_accum_offset 4
		.amdhsa_reserve_vcc 0
		.amdhsa_reserve_flat_scratch 0
		.amdhsa_float_round_mode_32 0
		.amdhsa_float_round_mode_16_64 0
		.amdhsa_float_denorm_mode_32 3
		.amdhsa_float_denorm_mode_16_64 3
		.amdhsa_dx10_clamp 1
		.amdhsa_ieee_mode 1
		.amdhsa_fp16_overflow 0
		.amdhsa_tg_split 0
		.amdhsa_exception_fp_ieee_invalid_op 0
		.amdhsa_exception_fp_denorm_src 0
		.amdhsa_exception_fp_ieee_div_zero 0
		.amdhsa_exception_fp_ieee_overflow 0
		.amdhsa_exception_fp_ieee_underflow 0
		.amdhsa_exception_fp_ieee_inexact 0
		.amdhsa_exception_int_div_zero 0
	.end_amdhsa_kernel
	.section	.text._ZN7rocprim17ROCPRIM_400000_NS6detail17trampoline_kernelINS0_14default_configENS1_20scan_config_selectorIsEEZZNS1_9scan_implILNS1_25lookback_scan_determinismE0ELb0ELb0ES3_N6thrust23THRUST_200600_302600_NS6detail15normal_iteratorINS9_10device_ptrIsEEEENS9_16discard_iteratorINS9_11use_defaultEEEsNS9_4plusIvEEsEEDaPvRmT3_T4_T5_mT6_P12ihipStream_tbENKUlT_T0_E_clISt17integral_constantIbLb0EESW_IbLb1EEEEDaSS_ST_EUlSS_E_NS1_11comp_targetILNS1_3genE9ELNS1_11target_archE1100ELNS1_3gpuE3ELNS1_3repE0EEENS1_30default_config_static_selectorELNS0_4arch9wavefront6targetE1EEEvT1_,"axG",@progbits,_ZN7rocprim17ROCPRIM_400000_NS6detail17trampoline_kernelINS0_14default_configENS1_20scan_config_selectorIsEEZZNS1_9scan_implILNS1_25lookback_scan_determinismE0ELb0ELb0ES3_N6thrust23THRUST_200600_302600_NS6detail15normal_iteratorINS9_10device_ptrIsEEEENS9_16discard_iteratorINS9_11use_defaultEEEsNS9_4plusIvEEsEEDaPvRmT3_T4_T5_mT6_P12ihipStream_tbENKUlT_T0_E_clISt17integral_constantIbLb0EESW_IbLb1EEEEDaSS_ST_EUlSS_E_NS1_11comp_targetILNS1_3genE9ELNS1_11target_archE1100ELNS1_3gpuE3ELNS1_3repE0EEENS1_30default_config_static_selectorELNS0_4arch9wavefront6targetE1EEEvT1_,comdat
.Lfunc_end5931:
	.size	_ZN7rocprim17ROCPRIM_400000_NS6detail17trampoline_kernelINS0_14default_configENS1_20scan_config_selectorIsEEZZNS1_9scan_implILNS1_25lookback_scan_determinismE0ELb0ELb0ES3_N6thrust23THRUST_200600_302600_NS6detail15normal_iteratorINS9_10device_ptrIsEEEENS9_16discard_iteratorINS9_11use_defaultEEEsNS9_4plusIvEEsEEDaPvRmT3_T4_T5_mT6_P12ihipStream_tbENKUlT_T0_E_clISt17integral_constantIbLb0EESW_IbLb1EEEEDaSS_ST_EUlSS_E_NS1_11comp_targetILNS1_3genE9ELNS1_11target_archE1100ELNS1_3gpuE3ELNS1_3repE0EEENS1_30default_config_static_selectorELNS0_4arch9wavefront6targetE1EEEvT1_, .Lfunc_end5931-_ZN7rocprim17ROCPRIM_400000_NS6detail17trampoline_kernelINS0_14default_configENS1_20scan_config_selectorIsEEZZNS1_9scan_implILNS1_25lookback_scan_determinismE0ELb0ELb0ES3_N6thrust23THRUST_200600_302600_NS6detail15normal_iteratorINS9_10device_ptrIsEEEENS9_16discard_iteratorINS9_11use_defaultEEEsNS9_4plusIvEEsEEDaPvRmT3_T4_T5_mT6_P12ihipStream_tbENKUlT_T0_E_clISt17integral_constantIbLb0EESW_IbLb1EEEEDaSS_ST_EUlSS_E_NS1_11comp_targetILNS1_3genE9ELNS1_11target_archE1100ELNS1_3gpuE3ELNS1_3repE0EEENS1_30default_config_static_selectorELNS0_4arch9wavefront6targetE1EEEvT1_
                                        ; -- End function
	.section	.AMDGPU.csdata,"",@progbits
; Kernel info:
; codeLenInByte = 0
; NumSgprs: 4
; NumVgprs: 0
; NumAgprs: 0
; TotalNumVgprs: 0
; ScratchSize: 0
; MemoryBound: 0
; FloatMode: 240
; IeeeMode: 1
; LDSByteSize: 0 bytes/workgroup (compile time only)
; SGPRBlocks: 0
; VGPRBlocks: 0
; NumSGPRsForWavesPerEU: 4
; NumVGPRsForWavesPerEU: 1
; AccumOffset: 4
; Occupancy: 8
; WaveLimiterHint : 0
; COMPUTE_PGM_RSRC2:SCRATCH_EN: 0
; COMPUTE_PGM_RSRC2:USER_SGPR: 6
; COMPUTE_PGM_RSRC2:TRAP_HANDLER: 0
; COMPUTE_PGM_RSRC2:TGID_X_EN: 1
; COMPUTE_PGM_RSRC2:TGID_Y_EN: 0
; COMPUTE_PGM_RSRC2:TGID_Z_EN: 0
; COMPUTE_PGM_RSRC2:TIDIG_COMP_CNT: 0
; COMPUTE_PGM_RSRC3_GFX90A:ACCUM_OFFSET: 0
; COMPUTE_PGM_RSRC3_GFX90A:TG_SPLIT: 0
	.section	.text._ZN7rocprim17ROCPRIM_400000_NS6detail17trampoline_kernelINS0_14default_configENS1_20scan_config_selectorIsEEZZNS1_9scan_implILNS1_25lookback_scan_determinismE0ELb0ELb0ES3_N6thrust23THRUST_200600_302600_NS6detail15normal_iteratorINS9_10device_ptrIsEEEENS9_16discard_iteratorINS9_11use_defaultEEEsNS9_4plusIvEEsEEDaPvRmT3_T4_T5_mT6_P12ihipStream_tbENKUlT_T0_E_clISt17integral_constantIbLb0EESW_IbLb1EEEEDaSS_ST_EUlSS_E_NS1_11comp_targetILNS1_3genE8ELNS1_11target_archE1030ELNS1_3gpuE2ELNS1_3repE0EEENS1_30default_config_static_selectorELNS0_4arch9wavefront6targetE1EEEvT1_,"axG",@progbits,_ZN7rocprim17ROCPRIM_400000_NS6detail17trampoline_kernelINS0_14default_configENS1_20scan_config_selectorIsEEZZNS1_9scan_implILNS1_25lookback_scan_determinismE0ELb0ELb0ES3_N6thrust23THRUST_200600_302600_NS6detail15normal_iteratorINS9_10device_ptrIsEEEENS9_16discard_iteratorINS9_11use_defaultEEEsNS9_4plusIvEEsEEDaPvRmT3_T4_T5_mT6_P12ihipStream_tbENKUlT_T0_E_clISt17integral_constantIbLb0EESW_IbLb1EEEEDaSS_ST_EUlSS_E_NS1_11comp_targetILNS1_3genE8ELNS1_11target_archE1030ELNS1_3gpuE2ELNS1_3repE0EEENS1_30default_config_static_selectorELNS0_4arch9wavefront6targetE1EEEvT1_,comdat
	.protected	_ZN7rocprim17ROCPRIM_400000_NS6detail17trampoline_kernelINS0_14default_configENS1_20scan_config_selectorIsEEZZNS1_9scan_implILNS1_25lookback_scan_determinismE0ELb0ELb0ES3_N6thrust23THRUST_200600_302600_NS6detail15normal_iteratorINS9_10device_ptrIsEEEENS9_16discard_iteratorINS9_11use_defaultEEEsNS9_4plusIvEEsEEDaPvRmT3_T4_T5_mT6_P12ihipStream_tbENKUlT_T0_E_clISt17integral_constantIbLb0EESW_IbLb1EEEEDaSS_ST_EUlSS_E_NS1_11comp_targetILNS1_3genE8ELNS1_11target_archE1030ELNS1_3gpuE2ELNS1_3repE0EEENS1_30default_config_static_selectorELNS0_4arch9wavefront6targetE1EEEvT1_ ; -- Begin function _ZN7rocprim17ROCPRIM_400000_NS6detail17trampoline_kernelINS0_14default_configENS1_20scan_config_selectorIsEEZZNS1_9scan_implILNS1_25lookback_scan_determinismE0ELb0ELb0ES3_N6thrust23THRUST_200600_302600_NS6detail15normal_iteratorINS9_10device_ptrIsEEEENS9_16discard_iteratorINS9_11use_defaultEEEsNS9_4plusIvEEsEEDaPvRmT3_T4_T5_mT6_P12ihipStream_tbENKUlT_T0_E_clISt17integral_constantIbLb0EESW_IbLb1EEEEDaSS_ST_EUlSS_E_NS1_11comp_targetILNS1_3genE8ELNS1_11target_archE1030ELNS1_3gpuE2ELNS1_3repE0EEENS1_30default_config_static_selectorELNS0_4arch9wavefront6targetE1EEEvT1_
	.globl	_ZN7rocprim17ROCPRIM_400000_NS6detail17trampoline_kernelINS0_14default_configENS1_20scan_config_selectorIsEEZZNS1_9scan_implILNS1_25lookback_scan_determinismE0ELb0ELb0ES3_N6thrust23THRUST_200600_302600_NS6detail15normal_iteratorINS9_10device_ptrIsEEEENS9_16discard_iteratorINS9_11use_defaultEEEsNS9_4plusIvEEsEEDaPvRmT3_T4_T5_mT6_P12ihipStream_tbENKUlT_T0_E_clISt17integral_constantIbLb0EESW_IbLb1EEEEDaSS_ST_EUlSS_E_NS1_11comp_targetILNS1_3genE8ELNS1_11target_archE1030ELNS1_3gpuE2ELNS1_3repE0EEENS1_30default_config_static_selectorELNS0_4arch9wavefront6targetE1EEEvT1_
	.p2align	8
	.type	_ZN7rocprim17ROCPRIM_400000_NS6detail17trampoline_kernelINS0_14default_configENS1_20scan_config_selectorIsEEZZNS1_9scan_implILNS1_25lookback_scan_determinismE0ELb0ELb0ES3_N6thrust23THRUST_200600_302600_NS6detail15normal_iteratorINS9_10device_ptrIsEEEENS9_16discard_iteratorINS9_11use_defaultEEEsNS9_4plusIvEEsEEDaPvRmT3_T4_T5_mT6_P12ihipStream_tbENKUlT_T0_E_clISt17integral_constantIbLb0EESW_IbLb1EEEEDaSS_ST_EUlSS_E_NS1_11comp_targetILNS1_3genE8ELNS1_11target_archE1030ELNS1_3gpuE2ELNS1_3repE0EEENS1_30default_config_static_selectorELNS0_4arch9wavefront6targetE1EEEvT1_,@function
_ZN7rocprim17ROCPRIM_400000_NS6detail17trampoline_kernelINS0_14default_configENS1_20scan_config_selectorIsEEZZNS1_9scan_implILNS1_25lookback_scan_determinismE0ELb0ELb0ES3_N6thrust23THRUST_200600_302600_NS6detail15normal_iteratorINS9_10device_ptrIsEEEENS9_16discard_iteratorINS9_11use_defaultEEEsNS9_4plusIvEEsEEDaPvRmT3_T4_T5_mT6_P12ihipStream_tbENKUlT_T0_E_clISt17integral_constantIbLb0EESW_IbLb1EEEEDaSS_ST_EUlSS_E_NS1_11comp_targetILNS1_3genE8ELNS1_11target_archE1030ELNS1_3gpuE2ELNS1_3repE0EEENS1_30default_config_static_selectorELNS0_4arch9wavefront6targetE1EEEvT1_: ; @_ZN7rocprim17ROCPRIM_400000_NS6detail17trampoline_kernelINS0_14default_configENS1_20scan_config_selectorIsEEZZNS1_9scan_implILNS1_25lookback_scan_determinismE0ELb0ELb0ES3_N6thrust23THRUST_200600_302600_NS6detail15normal_iteratorINS9_10device_ptrIsEEEENS9_16discard_iteratorINS9_11use_defaultEEEsNS9_4plusIvEEsEEDaPvRmT3_T4_T5_mT6_P12ihipStream_tbENKUlT_T0_E_clISt17integral_constantIbLb0EESW_IbLb1EEEEDaSS_ST_EUlSS_E_NS1_11comp_targetILNS1_3genE8ELNS1_11target_archE1030ELNS1_3gpuE2ELNS1_3repE0EEENS1_30default_config_static_selectorELNS0_4arch9wavefront6targetE1EEEvT1_
; %bb.0:
	.section	.rodata,"a",@progbits
	.p2align	6, 0x0
	.amdhsa_kernel _ZN7rocprim17ROCPRIM_400000_NS6detail17trampoline_kernelINS0_14default_configENS1_20scan_config_selectorIsEEZZNS1_9scan_implILNS1_25lookback_scan_determinismE0ELb0ELb0ES3_N6thrust23THRUST_200600_302600_NS6detail15normal_iteratorINS9_10device_ptrIsEEEENS9_16discard_iteratorINS9_11use_defaultEEEsNS9_4plusIvEEsEEDaPvRmT3_T4_T5_mT6_P12ihipStream_tbENKUlT_T0_E_clISt17integral_constantIbLb0EESW_IbLb1EEEEDaSS_ST_EUlSS_E_NS1_11comp_targetILNS1_3genE8ELNS1_11target_archE1030ELNS1_3gpuE2ELNS1_3repE0EEENS1_30default_config_static_selectorELNS0_4arch9wavefront6targetE1EEEvT1_
		.amdhsa_group_segment_fixed_size 0
		.amdhsa_private_segment_fixed_size 0
		.amdhsa_kernarg_size 104
		.amdhsa_user_sgpr_count 6
		.amdhsa_user_sgpr_private_segment_buffer 1
		.amdhsa_user_sgpr_dispatch_ptr 0
		.amdhsa_user_sgpr_queue_ptr 0
		.amdhsa_user_sgpr_kernarg_segment_ptr 1
		.amdhsa_user_sgpr_dispatch_id 0
		.amdhsa_user_sgpr_flat_scratch_init 0
		.amdhsa_user_sgpr_kernarg_preload_length 0
		.amdhsa_user_sgpr_kernarg_preload_offset 0
		.amdhsa_user_sgpr_private_segment_size 0
		.amdhsa_uses_dynamic_stack 0
		.amdhsa_system_sgpr_private_segment_wavefront_offset 0
		.amdhsa_system_sgpr_workgroup_id_x 1
		.amdhsa_system_sgpr_workgroup_id_y 0
		.amdhsa_system_sgpr_workgroup_id_z 0
		.amdhsa_system_sgpr_workgroup_info 0
		.amdhsa_system_vgpr_workitem_id 0
		.amdhsa_next_free_vgpr 1
		.amdhsa_next_free_sgpr 0
		.amdhsa_accum_offset 4
		.amdhsa_reserve_vcc 0
		.amdhsa_reserve_flat_scratch 0
		.amdhsa_float_round_mode_32 0
		.amdhsa_float_round_mode_16_64 0
		.amdhsa_float_denorm_mode_32 3
		.amdhsa_float_denorm_mode_16_64 3
		.amdhsa_dx10_clamp 1
		.amdhsa_ieee_mode 1
		.amdhsa_fp16_overflow 0
		.amdhsa_tg_split 0
		.amdhsa_exception_fp_ieee_invalid_op 0
		.amdhsa_exception_fp_denorm_src 0
		.amdhsa_exception_fp_ieee_div_zero 0
		.amdhsa_exception_fp_ieee_overflow 0
		.amdhsa_exception_fp_ieee_underflow 0
		.amdhsa_exception_fp_ieee_inexact 0
		.amdhsa_exception_int_div_zero 0
	.end_amdhsa_kernel
	.section	.text._ZN7rocprim17ROCPRIM_400000_NS6detail17trampoline_kernelINS0_14default_configENS1_20scan_config_selectorIsEEZZNS1_9scan_implILNS1_25lookback_scan_determinismE0ELb0ELb0ES3_N6thrust23THRUST_200600_302600_NS6detail15normal_iteratorINS9_10device_ptrIsEEEENS9_16discard_iteratorINS9_11use_defaultEEEsNS9_4plusIvEEsEEDaPvRmT3_T4_T5_mT6_P12ihipStream_tbENKUlT_T0_E_clISt17integral_constantIbLb0EESW_IbLb1EEEEDaSS_ST_EUlSS_E_NS1_11comp_targetILNS1_3genE8ELNS1_11target_archE1030ELNS1_3gpuE2ELNS1_3repE0EEENS1_30default_config_static_selectorELNS0_4arch9wavefront6targetE1EEEvT1_,"axG",@progbits,_ZN7rocprim17ROCPRIM_400000_NS6detail17trampoline_kernelINS0_14default_configENS1_20scan_config_selectorIsEEZZNS1_9scan_implILNS1_25lookback_scan_determinismE0ELb0ELb0ES3_N6thrust23THRUST_200600_302600_NS6detail15normal_iteratorINS9_10device_ptrIsEEEENS9_16discard_iteratorINS9_11use_defaultEEEsNS9_4plusIvEEsEEDaPvRmT3_T4_T5_mT6_P12ihipStream_tbENKUlT_T0_E_clISt17integral_constantIbLb0EESW_IbLb1EEEEDaSS_ST_EUlSS_E_NS1_11comp_targetILNS1_3genE8ELNS1_11target_archE1030ELNS1_3gpuE2ELNS1_3repE0EEENS1_30default_config_static_selectorELNS0_4arch9wavefront6targetE1EEEvT1_,comdat
.Lfunc_end5932:
	.size	_ZN7rocprim17ROCPRIM_400000_NS6detail17trampoline_kernelINS0_14default_configENS1_20scan_config_selectorIsEEZZNS1_9scan_implILNS1_25lookback_scan_determinismE0ELb0ELb0ES3_N6thrust23THRUST_200600_302600_NS6detail15normal_iteratorINS9_10device_ptrIsEEEENS9_16discard_iteratorINS9_11use_defaultEEEsNS9_4plusIvEEsEEDaPvRmT3_T4_T5_mT6_P12ihipStream_tbENKUlT_T0_E_clISt17integral_constantIbLb0EESW_IbLb1EEEEDaSS_ST_EUlSS_E_NS1_11comp_targetILNS1_3genE8ELNS1_11target_archE1030ELNS1_3gpuE2ELNS1_3repE0EEENS1_30default_config_static_selectorELNS0_4arch9wavefront6targetE1EEEvT1_, .Lfunc_end5932-_ZN7rocprim17ROCPRIM_400000_NS6detail17trampoline_kernelINS0_14default_configENS1_20scan_config_selectorIsEEZZNS1_9scan_implILNS1_25lookback_scan_determinismE0ELb0ELb0ES3_N6thrust23THRUST_200600_302600_NS6detail15normal_iteratorINS9_10device_ptrIsEEEENS9_16discard_iteratorINS9_11use_defaultEEEsNS9_4plusIvEEsEEDaPvRmT3_T4_T5_mT6_P12ihipStream_tbENKUlT_T0_E_clISt17integral_constantIbLb0EESW_IbLb1EEEEDaSS_ST_EUlSS_E_NS1_11comp_targetILNS1_3genE8ELNS1_11target_archE1030ELNS1_3gpuE2ELNS1_3repE0EEENS1_30default_config_static_selectorELNS0_4arch9wavefront6targetE1EEEvT1_
                                        ; -- End function
	.section	.AMDGPU.csdata,"",@progbits
; Kernel info:
; codeLenInByte = 0
; NumSgprs: 4
; NumVgprs: 0
; NumAgprs: 0
; TotalNumVgprs: 0
; ScratchSize: 0
; MemoryBound: 0
; FloatMode: 240
; IeeeMode: 1
; LDSByteSize: 0 bytes/workgroup (compile time only)
; SGPRBlocks: 0
; VGPRBlocks: 0
; NumSGPRsForWavesPerEU: 4
; NumVGPRsForWavesPerEU: 1
; AccumOffset: 4
; Occupancy: 8
; WaveLimiterHint : 0
; COMPUTE_PGM_RSRC2:SCRATCH_EN: 0
; COMPUTE_PGM_RSRC2:USER_SGPR: 6
; COMPUTE_PGM_RSRC2:TRAP_HANDLER: 0
; COMPUTE_PGM_RSRC2:TGID_X_EN: 1
; COMPUTE_PGM_RSRC2:TGID_Y_EN: 0
; COMPUTE_PGM_RSRC2:TGID_Z_EN: 0
; COMPUTE_PGM_RSRC2:TIDIG_COMP_CNT: 0
; COMPUTE_PGM_RSRC3_GFX90A:ACCUM_OFFSET: 0
; COMPUTE_PGM_RSRC3_GFX90A:TG_SPLIT: 0
	.section	.text._ZN7rocprim17ROCPRIM_400000_NS6detail17trampoline_kernelINS0_14default_configENS1_20scan_config_selectorIsEEZZNS1_9scan_implILNS1_25lookback_scan_determinismE0ELb0ELb0ES3_N6thrust23THRUST_200600_302600_NS6detail15normal_iteratorINS9_10device_ptrIsEEEENS9_16discard_iteratorINS9_11use_defaultEEEsNS9_4plusIvEEsEEDaPvRmT3_T4_T5_mT6_P12ihipStream_tbENKUlT_T0_E_clISt17integral_constantIbLb0EESW_IbLb1EEEEDaSS_ST_EUlSS_E0_NS1_11comp_targetILNS1_3genE0ELNS1_11target_archE4294967295ELNS1_3gpuE0ELNS1_3repE0EEENS1_30default_config_static_selectorELNS0_4arch9wavefront6targetE1EEEvT1_,"axG",@progbits,_ZN7rocprim17ROCPRIM_400000_NS6detail17trampoline_kernelINS0_14default_configENS1_20scan_config_selectorIsEEZZNS1_9scan_implILNS1_25lookback_scan_determinismE0ELb0ELb0ES3_N6thrust23THRUST_200600_302600_NS6detail15normal_iteratorINS9_10device_ptrIsEEEENS9_16discard_iteratorINS9_11use_defaultEEEsNS9_4plusIvEEsEEDaPvRmT3_T4_T5_mT6_P12ihipStream_tbENKUlT_T0_E_clISt17integral_constantIbLb0EESW_IbLb1EEEEDaSS_ST_EUlSS_E0_NS1_11comp_targetILNS1_3genE0ELNS1_11target_archE4294967295ELNS1_3gpuE0ELNS1_3repE0EEENS1_30default_config_static_selectorELNS0_4arch9wavefront6targetE1EEEvT1_,comdat
	.protected	_ZN7rocprim17ROCPRIM_400000_NS6detail17trampoline_kernelINS0_14default_configENS1_20scan_config_selectorIsEEZZNS1_9scan_implILNS1_25lookback_scan_determinismE0ELb0ELb0ES3_N6thrust23THRUST_200600_302600_NS6detail15normal_iteratorINS9_10device_ptrIsEEEENS9_16discard_iteratorINS9_11use_defaultEEEsNS9_4plusIvEEsEEDaPvRmT3_T4_T5_mT6_P12ihipStream_tbENKUlT_T0_E_clISt17integral_constantIbLb0EESW_IbLb1EEEEDaSS_ST_EUlSS_E0_NS1_11comp_targetILNS1_3genE0ELNS1_11target_archE4294967295ELNS1_3gpuE0ELNS1_3repE0EEENS1_30default_config_static_selectorELNS0_4arch9wavefront6targetE1EEEvT1_ ; -- Begin function _ZN7rocprim17ROCPRIM_400000_NS6detail17trampoline_kernelINS0_14default_configENS1_20scan_config_selectorIsEEZZNS1_9scan_implILNS1_25lookback_scan_determinismE0ELb0ELb0ES3_N6thrust23THRUST_200600_302600_NS6detail15normal_iteratorINS9_10device_ptrIsEEEENS9_16discard_iteratorINS9_11use_defaultEEEsNS9_4plusIvEEsEEDaPvRmT3_T4_T5_mT6_P12ihipStream_tbENKUlT_T0_E_clISt17integral_constantIbLb0EESW_IbLb1EEEEDaSS_ST_EUlSS_E0_NS1_11comp_targetILNS1_3genE0ELNS1_11target_archE4294967295ELNS1_3gpuE0ELNS1_3repE0EEENS1_30default_config_static_selectorELNS0_4arch9wavefront6targetE1EEEvT1_
	.globl	_ZN7rocprim17ROCPRIM_400000_NS6detail17trampoline_kernelINS0_14default_configENS1_20scan_config_selectorIsEEZZNS1_9scan_implILNS1_25lookback_scan_determinismE0ELb0ELb0ES3_N6thrust23THRUST_200600_302600_NS6detail15normal_iteratorINS9_10device_ptrIsEEEENS9_16discard_iteratorINS9_11use_defaultEEEsNS9_4plusIvEEsEEDaPvRmT3_T4_T5_mT6_P12ihipStream_tbENKUlT_T0_E_clISt17integral_constantIbLb0EESW_IbLb1EEEEDaSS_ST_EUlSS_E0_NS1_11comp_targetILNS1_3genE0ELNS1_11target_archE4294967295ELNS1_3gpuE0ELNS1_3repE0EEENS1_30default_config_static_selectorELNS0_4arch9wavefront6targetE1EEEvT1_
	.p2align	8
	.type	_ZN7rocprim17ROCPRIM_400000_NS6detail17trampoline_kernelINS0_14default_configENS1_20scan_config_selectorIsEEZZNS1_9scan_implILNS1_25lookback_scan_determinismE0ELb0ELb0ES3_N6thrust23THRUST_200600_302600_NS6detail15normal_iteratorINS9_10device_ptrIsEEEENS9_16discard_iteratorINS9_11use_defaultEEEsNS9_4plusIvEEsEEDaPvRmT3_T4_T5_mT6_P12ihipStream_tbENKUlT_T0_E_clISt17integral_constantIbLb0EESW_IbLb1EEEEDaSS_ST_EUlSS_E0_NS1_11comp_targetILNS1_3genE0ELNS1_11target_archE4294967295ELNS1_3gpuE0ELNS1_3repE0EEENS1_30default_config_static_selectorELNS0_4arch9wavefront6targetE1EEEvT1_,@function
_ZN7rocprim17ROCPRIM_400000_NS6detail17trampoline_kernelINS0_14default_configENS1_20scan_config_selectorIsEEZZNS1_9scan_implILNS1_25lookback_scan_determinismE0ELb0ELb0ES3_N6thrust23THRUST_200600_302600_NS6detail15normal_iteratorINS9_10device_ptrIsEEEENS9_16discard_iteratorINS9_11use_defaultEEEsNS9_4plusIvEEsEEDaPvRmT3_T4_T5_mT6_P12ihipStream_tbENKUlT_T0_E_clISt17integral_constantIbLb0EESW_IbLb1EEEEDaSS_ST_EUlSS_E0_NS1_11comp_targetILNS1_3genE0ELNS1_11target_archE4294967295ELNS1_3gpuE0ELNS1_3repE0EEENS1_30default_config_static_selectorELNS0_4arch9wavefront6targetE1EEEvT1_: ; @_ZN7rocprim17ROCPRIM_400000_NS6detail17trampoline_kernelINS0_14default_configENS1_20scan_config_selectorIsEEZZNS1_9scan_implILNS1_25lookback_scan_determinismE0ELb0ELb0ES3_N6thrust23THRUST_200600_302600_NS6detail15normal_iteratorINS9_10device_ptrIsEEEENS9_16discard_iteratorINS9_11use_defaultEEEsNS9_4plusIvEEsEEDaPvRmT3_T4_T5_mT6_P12ihipStream_tbENKUlT_T0_E_clISt17integral_constantIbLb0EESW_IbLb1EEEEDaSS_ST_EUlSS_E0_NS1_11comp_targetILNS1_3genE0ELNS1_11target_archE4294967295ELNS1_3gpuE0ELNS1_3repE0EEENS1_30default_config_static_selectorELNS0_4arch9wavefront6targetE1EEEvT1_
; %bb.0:
	.section	.rodata,"a",@progbits
	.p2align	6, 0x0
	.amdhsa_kernel _ZN7rocprim17ROCPRIM_400000_NS6detail17trampoline_kernelINS0_14default_configENS1_20scan_config_selectorIsEEZZNS1_9scan_implILNS1_25lookback_scan_determinismE0ELb0ELb0ES3_N6thrust23THRUST_200600_302600_NS6detail15normal_iteratorINS9_10device_ptrIsEEEENS9_16discard_iteratorINS9_11use_defaultEEEsNS9_4plusIvEEsEEDaPvRmT3_T4_T5_mT6_P12ihipStream_tbENKUlT_T0_E_clISt17integral_constantIbLb0EESW_IbLb1EEEEDaSS_ST_EUlSS_E0_NS1_11comp_targetILNS1_3genE0ELNS1_11target_archE4294967295ELNS1_3gpuE0ELNS1_3repE0EEENS1_30default_config_static_selectorELNS0_4arch9wavefront6targetE1EEEvT1_
		.amdhsa_group_segment_fixed_size 0
		.amdhsa_private_segment_fixed_size 0
		.amdhsa_kernarg_size 40
		.amdhsa_user_sgpr_count 6
		.amdhsa_user_sgpr_private_segment_buffer 1
		.amdhsa_user_sgpr_dispatch_ptr 0
		.amdhsa_user_sgpr_queue_ptr 0
		.amdhsa_user_sgpr_kernarg_segment_ptr 1
		.amdhsa_user_sgpr_dispatch_id 0
		.amdhsa_user_sgpr_flat_scratch_init 0
		.amdhsa_user_sgpr_kernarg_preload_length 0
		.amdhsa_user_sgpr_kernarg_preload_offset 0
		.amdhsa_user_sgpr_private_segment_size 0
		.amdhsa_uses_dynamic_stack 0
		.amdhsa_system_sgpr_private_segment_wavefront_offset 0
		.amdhsa_system_sgpr_workgroup_id_x 1
		.amdhsa_system_sgpr_workgroup_id_y 0
		.amdhsa_system_sgpr_workgroup_id_z 0
		.amdhsa_system_sgpr_workgroup_info 0
		.amdhsa_system_vgpr_workitem_id 0
		.amdhsa_next_free_vgpr 1
		.amdhsa_next_free_sgpr 0
		.amdhsa_accum_offset 4
		.amdhsa_reserve_vcc 0
		.amdhsa_reserve_flat_scratch 0
		.amdhsa_float_round_mode_32 0
		.amdhsa_float_round_mode_16_64 0
		.amdhsa_float_denorm_mode_32 3
		.amdhsa_float_denorm_mode_16_64 3
		.amdhsa_dx10_clamp 1
		.amdhsa_ieee_mode 1
		.amdhsa_fp16_overflow 0
		.amdhsa_tg_split 0
		.amdhsa_exception_fp_ieee_invalid_op 0
		.amdhsa_exception_fp_denorm_src 0
		.amdhsa_exception_fp_ieee_div_zero 0
		.amdhsa_exception_fp_ieee_overflow 0
		.amdhsa_exception_fp_ieee_underflow 0
		.amdhsa_exception_fp_ieee_inexact 0
		.amdhsa_exception_int_div_zero 0
	.end_amdhsa_kernel
	.section	.text._ZN7rocprim17ROCPRIM_400000_NS6detail17trampoline_kernelINS0_14default_configENS1_20scan_config_selectorIsEEZZNS1_9scan_implILNS1_25lookback_scan_determinismE0ELb0ELb0ES3_N6thrust23THRUST_200600_302600_NS6detail15normal_iteratorINS9_10device_ptrIsEEEENS9_16discard_iteratorINS9_11use_defaultEEEsNS9_4plusIvEEsEEDaPvRmT3_T4_T5_mT6_P12ihipStream_tbENKUlT_T0_E_clISt17integral_constantIbLb0EESW_IbLb1EEEEDaSS_ST_EUlSS_E0_NS1_11comp_targetILNS1_3genE0ELNS1_11target_archE4294967295ELNS1_3gpuE0ELNS1_3repE0EEENS1_30default_config_static_selectorELNS0_4arch9wavefront6targetE1EEEvT1_,"axG",@progbits,_ZN7rocprim17ROCPRIM_400000_NS6detail17trampoline_kernelINS0_14default_configENS1_20scan_config_selectorIsEEZZNS1_9scan_implILNS1_25lookback_scan_determinismE0ELb0ELb0ES3_N6thrust23THRUST_200600_302600_NS6detail15normal_iteratorINS9_10device_ptrIsEEEENS9_16discard_iteratorINS9_11use_defaultEEEsNS9_4plusIvEEsEEDaPvRmT3_T4_T5_mT6_P12ihipStream_tbENKUlT_T0_E_clISt17integral_constantIbLb0EESW_IbLb1EEEEDaSS_ST_EUlSS_E0_NS1_11comp_targetILNS1_3genE0ELNS1_11target_archE4294967295ELNS1_3gpuE0ELNS1_3repE0EEENS1_30default_config_static_selectorELNS0_4arch9wavefront6targetE1EEEvT1_,comdat
.Lfunc_end5933:
	.size	_ZN7rocprim17ROCPRIM_400000_NS6detail17trampoline_kernelINS0_14default_configENS1_20scan_config_selectorIsEEZZNS1_9scan_implILNS1_25lookback_scan_determinismE0ELb0ELb0ES3_N6thrust23THRUST_200600_302600_NS6detail15normal_iteratorINS9_10device_ptrIsEEEENS9_16discard_iteratorINS9_11use_defaultEEEsNS9_4plusIvEEsEEDaPvRmT3_T4_T5_mT6_P12ihipStream_tbENKUlT_T0_E_clISt17integral_constantIbLb0EESW_IbLb1EEEEDaSS_ST_EUlSS_E0_NS1_11comp_targetILNS1_3genE0ELNS1_11target_archE4294967295ELNS1_3gpuE0ELNS1_3repE0EEENS1_30default_config_static_selectorELNS0_4arch9wavefront6targetE1EEEvT1_, .Lfunc_end5933-_ZN7rocprim17ROCPRIM_400000_NS6detail17trampoline_kernelINS0_14default_configENS1_20scan_config_selectorIsEEZZNS1_9scan_implILNS1_25lookback_scan_determinismE0ELb0ELb0ES3_N6thrust23THRUST_200600_302600_NS6detail15normal_iteratorINS9_10device_ptrIsEEEENS9_16discard_iteratorINS9_11use_defaultEEEsNS9_4plusIvEEsEEDaPvRmT3_T4_T5_mT6_P12ihipStream_tbENKUlT_T0_E_clISt17integral_constantIbLb0EESW_IbLb1EEEEDaSS_ST_EUlSS_E0_NS1_11comp_targetILNS1_3genE0ELNS1_11target_archE4294967295ELNS1_3gpuE0ELNS1_3repE0EEENS1_30default_config_static_selectorELNS0_4arch9wavefront6targetE1EEEvT1_
                                        ; -- End function
	.section	.AMDGPU.csdata,"",@progbits
; Kernel info:
; codeLenInByte = 0
; NumSgprs: 4
; NumVgprs: 0
; NumAgprs: 0
; TotalNumVgprs: 0
; ScratchSize: 0
; MemoryBound: 0
; FloatMode: 240
; IeeeMode: 1
; LDSByteSize: 0 bytes/workgroup (compile time only)
; SGPRBlocks: 0
; VGPRBlocks: 0
; NumSGPRsForWavesPerEU: 4
; NumVGPRsForWavesPerEU: 1
; AccumOffset: 4
; Occupancy: 8
; WaveLimiterHint : 0
; COMPUTE_PGM_RSRC2:SCRATCH_EN: 0
; COMPUTE_PGM_RSRC2:USER_SGPR: 6
; COMPUTE_PGM_RSRC2:TRAP_HANDLER: 0
; COMPUTE_PGM_RSRC2:TGID_X_EN: 1
; COMPUTE_PGM_RSRC2:TGID_Y_EN: 0
; COMPUTE_PGM_RSRC2:TGID_Z_EN: 0
; COMPUTE_PGM_RSRC2:TIDIG_COMP_CNT: 0
; COMPUTE_PGM_RSRC3_GFX90A:ACCUM_OFFSET: 0
; COMPUTE_PGM_RSRC3_GFX90A:TG_SPLIT: 0
	.section	.text._ZN7rocprim17ROCPRIM_400000_NS6detail17trampoline_kernelINS0_14default_configENS1_20scan_config_selectorIsEEZZNS1_9scan_implILNS1_25lookback_scan_determinismE0ELb0ELb0ES3_N6thrust23THRUST_200600_302600_NS6detail15normal_iteratorINS9_10device_ptrIsEEEENS9_16discard_iteratorINS9_11use_defaultEEEsNS9_4plusIvEEsEEDaPvRmT3_T4_T5_mT6_P12ihipStream_tbENKUlT_T0_E_clISt17integral_constantIbLb0EESW_IbLb1EEEEDaSS_ST_EUlSS_E0_NS1_11comp_targetILNS1_3genE5ELNS1_11target_archE942ELNS1_3gpuE9ELNS1_3repE0EEENS1_30default_config_static_selectorELNS0_4arch9wavefront6targetE1EEEvT1_,"axG",@progbits,_ZN7rocprim17ROCPRIM_400000_NS6detail17trampoline_kernelINS0_14default_configENS1_20scan_config_selectorIsEEZZNS1_9scan_implILNS1_25lookback_scan_determinismE0ELb0ELb0ES3_N6thrust23THRUST_200600_302600_NS6detail15normal_iteratorINS9_10device_ptrIsEEEENS9_16discard_iteratorINS9_11use_defaultEEEsNS9_4plusIvEEsEEDaPvRmT3_T4_T5_mT6_P12ihipStream_tbENKUlT_T0_E_clISt17integral_constantIbLb0EESW_IbLb1EEEEDaSS_ST_EUlSS_E0_NS1_11comp_targetILNS1_3genE5ELNS1_11target_archE942ELNS1_3gpuE9ELNS1_3repE0EEENS1_30default_config_static_selectorELNS0_4arch9wavefront6targetE1EEEvT1_,comdat
	.protected	_ZN7rocprim17ROCPRIM_400000_NS6detail17trampoline_kernelINS0_14default_configENS1_20scan_config_selectorIsEEZZNS1_9scan_implILNS1_25lookback_scan_determinismE0ELb0ELb0ES3_N6thrust23THRUST_200600_302600_NS6detail15normal_iteratorINS9_10device_ptrIsEEEENS9_16discard_iteratorINS9_11use_defaultEEEsNS9_4plusIvEEsEEDaPvRmT3_T4_T5_mT6_P12ihipStream_tbENKUlT_T0_E_clISt17integral_constantIbLb0EESW_IbLb1EEEEDaSS_ST_EUlSS_E0_NS1_11comp_targetILNS1_3genE5ELNS1_11target_archE942ELNS1_3gpuE9ELNS1_3repE0EEENS1_30default_config_static_selectorELNS0_4arch9wavefront6targetE1EEEvT1_ ; -- Begin function _ZN7rocprim17ROCPRIM_400000_NS6detail17trampoline_kernelINS0_14default_configENS1_20scan_config_selectorIsEEZZNS1_9scan_implILNS1_25lookback_scan_determinismE0ELb0ELb0ES3_N6thrust23THRUST_200600_302600_NS6detail15normal_iteratorINS9_10device_ptrIsEEEENS9_16discard_iteratorINS9_11use_defaultEEEsNS9_4plusIvEEsEEDaPvRmT3_T4_T5_mT6_P12ihipStream_tbENKUlT_T0_E_clISt17integral_constantIbLb0EESW_IbLb1EEEEDaSS_ST_EUlSS_E0_NS1_11comp_targetILNS1_3genE5ELNS1_11target_archE942ELNS1_3gpuE9ELNS1_3repE0EEENS1_30default_config_static_selectorELNS0_4arch9wavefront6targetE1EEEvT1_
	.globl	_ZN7rocprim17ROCPRIM_400000_NS6detail17trampoline_kernelINS0_14default_configENS1_20scan_config_selectorIsEEZZNS1_9scan_implILNS1_25lookback_scan_determinismE0ELb0ELb0ES3_N6thrust23THRUST_200600_302600_NS6detail15normal_iteratorINS9_10device_ptrIsEEEENS9_16discard_iteratorINS9_11use_defaultEEEsNS9_4plusIvEEsEEDaPvRmT3_T4_T5_mT6_P12ihipStream_tbENKUlT_T0_E_clISt17integral_constantIbLb0EESW_IbLb1EEEEDaSS_ST_EUlSS_E0_NS1_11comp_targetILNS1_3genE5ELNS1_11target_archE942ELNS1_3gpuE9ELNS1_3repE0EEENS1_30default_config_static_selectorELNS0_4arch9wavefront6targetE1EEEvT1_
	.p2align	8
	.type	_ZN7rocprim17ROCPRIM_400000_NS6detail17trampoline_kernelINS0_14default_configENS1_20scan_config_selectorIsEEZZNS1_9scan_implILNS1_25lookback_scan_determinismE0ELb0ELb0ES3_N6thrust23THRUST_200600_302600_NS6detail15normal_iteratorINS9_10device_ptrIsEEEENS9_16discard_iteratorINS9_11use_defaultEEEsNS9_4plusIvEEsEEDaPvRmT3_T4_T5_mT6_P12ihipStream_tbENKUlT_T0_E_clISt17integral_constantIbLb0EESW_IbLb1EEEEDaSS_ST_EUlSS_E0_NS1_11comp_targetILNS1_3genE5ELNS1_11target_archE942ELNS1_3gpuE9ELNS1_3repE0EEENS1_30default_config_static_selectorELNS0_4arch9wavefront6targetE1EEEvT1_,@function
_ZN7rocprim17ROCPRIM_400000_NS6detail17trampoline_kernelINS0_14default_configENS1_20scan_config_selectorIsEEZZNS1_9scan_implILNS1_25lookback_scan_determinismE0ELb0ELb0ES3_N6thrust23THRUST_200600_302600_NS6detail15normal_iteratorINS9_10device_ptrIsEEEENS9_16discard_iteratorINS9_11use_defaultEEEsNS9_4plusIvEEsEEDaPvRmT3_T4_T5_mT6_P12ihipStream_tbENKUlT_T0_E_clISt17integral_constantIbLb0EESW_IbLb1EEEEDaSS_ST_EUlSS_E0_NS1_11comp_targetILNS1_3genE5ELNS1_11target_archE942ELNS1_3gpuE9ELNS1_3repE0EEENS1_30default_config_static_selectorELNS0_4arch9wavefront6targetE1EEEvT1_: ; @_ZN7rocprim17ROCPRIM_400000_NS6detail17trampoline_kernelINS0_14default_configENS1_20scan_config_selectorIsEEZZNS1_9scan_implILNS1_25lookback_scan_determinismE0ELb0ELb0ES3_N6thrust23THRUST_200600_302600_NS6detail15normal_iteratorINS9_10device_ptrIsEEEENS9_16discard_iteratorINS9_11use_defaultEEEsNS9_4plusIvEEsEEDaPvRmT3_T4_T5_mT6_P12ihipStream_tbENKUlT_T0_E_clISt17integral_constantIbLb0EESW_IbLb1EEEEDaSS_ST_EUlSS_E0_NS1_11comp_targetILNS1_3genE5ELNS1_11target_archE942ELNS1_3gpuE9ELNS1_3repE0EEENS1_30default_config_static_selectorELNS0_4arch9wavefront6targetE1EEEvT1_
; %bb.0:
	.section	.rodata,"a",@progbits
	.p2align	6, 0x0
	.amdhsa_kernel _ZN7rocprim17ROCPRIM_400000_NS6detail17trampoline_kernelINS0_14default_configENS1_20scan_config_selectorIsEEZZNS1_9scan_implILNS1_25lookback_scan_determinismE0ELb0ELb0ES3_N6thrust23THRUST_200600_302600_NS6detail15normal_iteratorINS9_10device_ptrIsEEEENS9_16discard_iteratorINS9_11use_defaultEEEsNS9_4plusIvEEsEEDaPvRmT3_T4_T5_mT6_P12ihipStream_tbENKUlT_T0_E_clISt17integral_constantIbLb0EESW_IbLb1EEEEDaSS_ST_EUlSS_E0_NS1_11comp_targetILNS1_3genE5ELNS1_11target_archE942ELNS1_3gpuE9ELNS1_3repE0EEENS1_30default_config_static_selectorELNS0_4arch9wavefront6targetE1EEEvT1_
		.amdhsa_group_segment_fixed_size 0
		.amdhsa_private_segment_fixed_size 0
		.amdhsa_kernarg_size 40
		.amdhsa_user_sgpr_count 6
		.amdhsa_user_sgpr_private_segment_buffer 1
		.amdhsa_user_sgpr_dispatch_ptr 0
		.amdhsa_user_sgpr_queue_ptr 0
		.amdhsa_user_sgpr_kernarg_segment_ptr 1
		.amdhsa_user_sgpr_dispatch_id 0
		.amdhsa_user_sgpr_flat_scratch_init 0
		.amdhsa_user_sgpr_kernarg_preload_length 0
		.amdhsa_user_sgpr_kernarg_preload_offset 0
		.amdhsa_user_sgpr_private_segment_size 0
		.amdhsa_uses_dynamic_stack 0
		.amdhsa_system_sgpr_private_segment_wavefront_offset 0
		.amdhsa_system_sgpr_workgroup_id_x 1
		.amdhsa_system_sgpr_workgroup_id_y 0
		.amdhsa_system_sgpr_workgroup_id_z 0
		.amdhsa_system_sgpr_workgroup_info 0
		.amdhsa_system_vgpr_workitem_id 0
		.amdhsa_next_free_vgpr 1
		.amdhsa_next_free_sgpr 0
		.amdhsa_accum_offset 4
		.amdhsa_reserve_vcc 0
		.amdhsa_reserve_flat_scratch 0
		.amdhsa_float_round_mode_32 0
		.amdhsa_float_round_mode_16_64 0
		.amdhsa_float_denorm_mode_32 3
		.amdhsa_float_denorm_mode_16_64 3
		.amdhsa_dx10_clamp 1
		.amdhsa_ieee_mode 1
		.amdhsa_fp16_overflow 0
		.amdhsa_tg_split 0
		.amdhsa_exception_fp_ieee_invalid_op 0
		.amdhsa_exception_fp_denorm_src 0
		.amdhsa_exception_fp_ieee_div_zero 0
		.amdhsa_exception_fp_ieee_overflow 0
		.amdhsa_exception_fp_ieee_underflow 0
		.amdhsa_exception_fp_ieee_inexact 0
		.amdhsa_exception_int_div_zero 0
	.end_amdhsa_kernel
	.section	.text._ZN7rocprim17ROCPRIM_400000_NS6detail17trampoline_kernelINS0_14default_configENS1_20scan_config_selectorIsEEZZNS1_9scan_implILNS1_25lookback_scan_determinismE0ELb0ELb0ES3_N6thrust23THRUST_200600_302600_NS6detail15normal_iteratorINS9_10device_ptrIsEEEENS9_16discard_iteratorINS9_11use_defaultEEEsNS9_4plusIvEEsEEDaPvRmT3_T4_T5_mT6_P12ihipStream_tbENKUlT_T0_E_clISt17integral_constantIbLb0EESW_IbLb1EEEEDaSS_ST_EUlSS_E0_NS1_11comp_targetILNS1_3genE5ELNS1_11target_archE942ELNS1_3gpuE9ELNS1_3repE0EEENS1_30default_config_static_selectorELNS0_4arch9wavefront6targetE1EEEvT1_,"axG",@progbits,_ZN7rocprim17ROCPRIM_400000_NS6detail17trampoline_kernelINS0_14default_configENS1_20scan_config_selectorIsEEZZNS1_9scan_implILNS1_25lookback_scan_determinismE0ELb0ELb0ES3_N6thrust23THRUST_200600_302600_NS6detail15normal_iteratorINS9_10device_ptrIsEEEENS9_16discard_iteratorINS9_11use_defaultEEEsNS9_4plusIvEEsEEDaPvRmT3_T4_T5_mT6_P12ihipStream_tbENKUlT_T0_E_clISt17integral_constantIbLb0EESW_IbLb1EEEEDaSS_ST_EUlSS_E0_NS1_11comp_targetILNS1_3genE5ELNS1_11target_archE942ELNS1_3gpuE9ELNS1_3repE0EEENS1_30default_config_static_selectorELNS0_4arch9wavefront6targetE1EEEvT1_,comdat
.Lfunc_end5934:
	.size	_ZN7rocprim17ROCPRIM_400000_NS6detail17trampoline_kernelINS0_14default_configENS1_20scan_config_selectorIsEEZZNS1_9scan_implILNS1_25lookback_scan_determinismE0ELb0ELb0ES3_N6thrust23THRUST_200600_302600_NS6detail15normal_iteratorINS9_10device_ptrIsEEEENS9_16discard_iteratorINS9_11use_defaultEEEsNS9_4plusIvEEsEEDaPvRmT3_T4_T5_mT6_P12ihipStream_tbENKUlT_T0_E_clISt17integral_constantIbLb0EESW_IbLb1EEEEDaSS_ST_EUlSS_E0_NS1_11comp_targetILNS1_3genE5ELNS1_11target_archE942ELNS1_3gpuE9ELNS1_3repE0EEENS1_30default_config_static_selectorELNS0_4arch9wavefront6targetE1EEEvT1_, .Lfunc_end5934-_ZN7rocprim17ROCPRIM_400000_NS6detail17trampoline_kernelINS0_14default_configENS1_20scan_config_selectorIsEEZZNS1_9scan_implILNS1_25lookback_scan_determinismE0ELb0ELb0ES3_N6thrust23THRUST_200600_302600_NS6detail15normal_iteratorINS9_10device_ptrIsEEEENS9_16discard_iteratorINS9_11use_defaultEEEsNS9_4plusIvEEsEEDaPvRmT3_T4_T5_mT6_P12ihipStream_tbENKUlT_T0_E_clISt17integral_constantIbLb0EESW_IbLb1EEEEDaSS_ST_EUlSS_E0_NS1_11comp_targetILNS1_3genE5ELNS1_11target_archE942ELNS1_3gpuE9ELNS1_3repE0EEENS1_30default_config_static_selectorELNS0_4arch9wavefront6targetE1EEEvT1_
                                        ; -- End function
	.section	.AMDGPU.csdata,"",@progbits
; Kernel info:
; codeLenInByte = 0
; NumSgprs: 4
; NumVgprs: 0
; NumAgprs: 0
; TotalNumVgprs: 0
; ScratchSize: 0
; MemoryBound: 0
; FloatMode: 240
; IeeeMode: 1
; LDSByteSize: 0 bytes/workgroup (compile time only)
; SGPRBlocks: 0
; VGPRBlocks: 0
; NumSGPRsForWavesPerEU: 4
; NumVGPRsForWavesPerEU: 1
; AccumOffset: 4
; Occupancy: 8
; WaveLimiterHint : 0
; COMPUTE_PGM_RSRC2:SCRATCH_EN: 0
; COMPUTE_PGM_RSRC2:USER_SGPR: 6
; COMPUTE_PGM_RSRC2:TRAP_HANDLER: 0
; COMPUTE_PGM_RSRC2:TGID_X_EN: 1
; COMPUTE_PGM_RSRC2:TGID_Y_EN: 0
; COMPUTE_PGM_RSRC2:TGID_Z_EN: 0
; COMPUTE_PGM_RSRC2:TIDIG_COMP_CNT: 0
; COMPUTE_PGM_RSRC3_GFX90A:ACCUM_OFFSET: 0
; COMPUTE_PGM_RSRC3_GFX90A:TG_SPLIT: 0
	.section	.text._ZN7rocprim17ROCPRIM_400000_NS6detail17trampoline_kernelINS0_14default_configENS1_20scan_config_selectorIsEEZZNS1_9scan_implILNS1_25lookback_scan_determinismE0ELb0ELb0ES3_N6thrust23THRUST_200600_302600_NS6detail15normal_iteratorINS9_10device_ptrIsEEEENS9_16discard_iteratorINS9_11use_defaultEEEsNS9_4plusIvEEsEEDaPvRmT3_T4_T5_mT6_P12ihipStream_tbENKUlT_T0_E_clISt17integral_constantIbLb0EESW_IbLb1EEEEDaSS_ST_EUlSS_E0_NS1_11comp_targetILNS1_3genE4ELNS1_11target_archE910ELNS1_3gpuE8ELNS1_3repE0EEENS1_30default_config_static_selectorELNS0_4arch9wavefront6targetE1EEEvT1_,"axG",@progbits,_ZN7rocprim17ROCPRIM_400000_NS6detail17trampoline_kernelINS0_14default_configENS1_20scan_config_selectorIsEEZZNS1_9scan_implILNS1_25lookback_scan_determinismE0ELb0ELb0ES3_N6thrust23THRUST_200600_302600_NS6detail15normal_iteratorINS9_10device_ptrIsEEEENS9_16discard_iteratorINS9_11use_defaultEEEsNS9_4plusIvEEsEEDaPvRmT3_T4_T5_mT6_P12ihipStream_tbENKUlT_T0_E_clISt17integral_constantIbLb0EESW_IbLb1EEEEDaSS_ST_EUlSS_E0_NS1_11comp_targetILNS1_3genE4ELNS1_11target_archE910ELNS1_3gpuE8ELNS1_3repE0EEENS1_30default_config_static_selectorELNS0_4arch9wavefront6targetE1EEEvT1_,comdat
	.protected	_ZN7rocprim17ROCPRIM_400000_NS6detail17trampoline_kernelINS0_14default_configENS1_20scan_config_selectorIsEEZZNS1_9scan_implILNS1_25lookback_scan_determinismE0ELb0ELb0ES3_N6thrust23THRUST_200600_302600_NS6detail15normal_iteratorINS9_10device_ptrIsEEEENS9_16discard_iteratorINS9_11use_defaultEEEsNS9_4plusIvEEsEEDaPvRmT3_T4_T5_mT6_P12ihipStream_tbENKUlT_T0_E_clISt17integral_constantIbLb0EESW_IbLb1EEEEDaSS_ST_EUlSS_E0_NS1_11comp_targetILNS1_3genE4ELNS1_11target_archE910ELNS1_3gpuE8ELNS1_3repE0EEENS1_30default_config_static_selectorELNS0_4arch9wavefront6targetE1EEEvT1_ ; -- Begin function _ZN7rocprim17ROCPRIM_400000_NS6detail17trampoline_kernelINS0_14default_configENS1_20scan_config_selectorIsEEZZNS1_9scan_implILNS1_25lookback_scan_determinismE0ELb0ELb0ES3_N6thrust23THRUST_200600_302600_NS6detail15normal_iteratorINS9_10device_ptrIsEEEENS9_16discard_iteratorINS9_11use_defaultEEEsNS9_4plusIvEEsEEDaPvRmT3_T4_T5_mT6_P12ihipStream_tbENKUlT_T0_E_clISt17integral_constantIbLb0EESW_IbLb1EEEEDaSS_ST_EUlSS_E0_NS1_11comp_targetILNS1_3genE4ELNS1_11target_archE910ELNS1_3gpuE8ELNS1_3repE0EEENS1_30default_config_static_selectorELNS0_4arch9wavefront6targetE1EEEvT1_
	.globl	_ZN7rocprim17ROCPRIM_400000_NS6detail17trampoline_kernelINS0_14default_configENS1_20scan_config_selectorIsEEZZNS1_9scan_implILNS1_25lookback_scan_determinismE0ELb0ELb0ES3_N6thrust23THRUST_200600_302600_NS6detail15normal_iteratorINS9_10device_ptrIsEEEENS9_16discard_iteratorINS9_11use_defaultEEEsNS9_4plusIvEEsEEDaPvRmT3_T4_T5_mT6_P12ihipStream_tbENKUlT_T0_E_clISt17integral_constantIbLb0EESW_IbLb1EEEEDaSS_ST_EUlSS_E0_NS1_11comp_targetILNS1_3genE4ELNS1_11target_archE910ELNS1_3gpuE8ELNS1_3repE0EEENS1_30default_config_static_selectorELNS0_4arch9wavefront6targetE1EEEvT1_
	.p2align	8
	.type	_ZN7rocprim17ROCPRIM_400000_NS6detail17trampoline_kernelINS0_14default_configENS1_20scan_config_selectorIsEEZZNS1_9scan_implILNS1_25lookback_scan_determinismE0ELb0ELb0ES3_N6thrust23THRUST_200600_302600_NS6detail15normal_iteratorINS9_10device_ptrIsEEEENS9_16discard_iteratorINS9_11use_defaultEEEsNS9_4plusIvEEsEEDaPvRmT3_T4_T5_mT6_P12ihipStream_tbENKUlT_T0_E_clISt17integral_constantIbLb0EESW_IbLb1EEEEDaSS_ST_EUlSS_E0_NS1_11comp_targetILNS1_3genE4ELNS1_11target_archE910ELNS1_3gpuE8ELNS1_3repE0EEENS1_30default_config_static_selectorELNS0_4arch9wavefront6targetE1EEEvT1_,@function
_ZN7rocprim17ROCPRIM_400000_NS6detail17trampoline_kernelINS0_14default_configENS1_20scan_config_selectorIsEEZZNS1_9scan_implILNS1_25lookback_scan_determinismE0ELb0ELb0ES3_N6thrust23THRUST_200600_302600_NS6detail15normal_iteratorINS9_10device_ptrIsEEEENS9_16discard_iteratorINS9_11use_defaultEEEsNS9_4plusIvEEsEEDaPvRmT3_T4_T5_mT6_P12ihipStream_tbENKUlT_T0_E_clISt17integral_constantIbLb0EESW_IbLb1EEEEDaSS_ST_EUlSS_E0_NS1_11comp_targetILNS1_3genE4ELNS1_11target_archE910ELNS1_3gpuE8ELNS1_3repE0EEENS1_30default_config_static_selectorELNS0_4arch9wavefront6targetE1EEEvT1_: ; @_ZN7rocprim17ROCPRIM_400000_NS6detail17trampoline_kernelINS0_14default_configENS1_20scan_config_selectorIsEEZZNS1_9scan_implILNS1_25lookback_scan_determinismE0ELb0ELb0ES3_N6thrust23THRUST_200600_302600_NS6detail15normal_iteratorINS9_10device_ptrIsEEEENS9_16discard_iteratorINS9_11use_defaultEEEsNS9_4plusIvEEsEEDaPvRmT3_T4_T5_mT6_P12ihipStream_tbENKUlT_T0_E_clISt17integral_constantIbLb0EESW_IbLb1EEEEDaSS_ST_EUlSS_E0_NS1_11comp_targetILNS1_3genE4ELNS1_11target_archE910ELNS1_3gpuE8ELNS1_3repE0EEENS1_30default_config_static_selectorELNS0_4arch9wavefront6targetE1EEEvT1_
; %bb.0:
	s_load_dwordx4 s[0:3], s[4:5], 0x0
	v_mov_b32_e32 v1, 0
	s_waitcnt lgkmcnt(0)
	global_load_ushort v2, v1, s[0:1]
	v_cmp_gt_u32_e32 vcc, s2, v0
	v_lshlrev_b32_e32 v1, 1, v0
	s_waitcnt vmcnt(0)
	v_mov_b32_e32 v3, v2
	s_and_saveexec_b64 s[4:5], vcc
	s_cbranch_execz .LBB5935_2
; %bb.1:
	global_load_ushort v3, v1, s[0:1]
.LBB5935_2:
	s_or_b64 exec, exec, s[4:5]
	v_or_b32_e32 v4, 64, v0
	v_cmp_gt_u32_e32 vcc, s2, v4
	v_mov_b32_e32 v4, v2
	s_and_saveexec_b64 s[4:5], vcc
	s_cbranch_execz .LBB5935_4
; %bb.3:
	global_load_ushort v4, v1, s[0:1] offset:128
.LBB5935_4:
	s_or_b64 exec, exec, s[4:5]
	v_or_b32_e32 v5, 0x80, v0
	v_cmp_gt_u32_e32 vcc, s2, v5
	v_mov_b32_e32 v5, v2
	s_and_saveexec_b64 s[4:5], vcc
	s_cbranch_execz .LBB5935_6
; %bb.5:
	global_load_ushort v5, v1, s[0:1] offset:256
.LBB5935_6:
	;; [unrolled: 9-line block ×22, first 2 shown]
	s_or_b64 exec, exec, s[4:5]
	v_or_b32_e32 v26, 0x5c0, v0
	v_cmp_gt_u32_e32 vcc, s2, v26
	s_and_saveexec_b64 s[2:3], vcc
	s_cbranch_execz .LBB5935_48
; %bb.47:
	global_load_ushort v2, v1, s[0:1] offset:2944
.LBB5935_48:
	s_or_b64 exec, exec, s[2:3]
	s_waitcnt vmcnt(0)
	ds_write_b16 v1, v3
	ds_write_b16 v1, v4 offset:128
	ds_write_b16 v1, v5 offset:256
	;; [unrolled: 1-line block ×23, first 2 shown]
	v_mad_u32_u24 v6, v0, 46, v1
	s_waitcnt lgkmcnt(0)
	; wave barrier
	s_waitcnt lgkmcnt(0)
	ds_read_b128 v[2:5], v6
	ds_read_b128 v[10:13], v6 offset:16
	ds_read_b128 v[6:9], v6 offset:32
	v_mbcnt_lo_u32_b32 v37, -1, 0
	v_mbcnt_hi_u32_b32 v37, -1, v37
	s_waitcnt lgkmcnt(2)
	v_add_u16_sdwa v14, v2, v2 dst_sel:DWORD dst_unused:UNUSED_PAD src0_sel:WORD_1 src1_sel:DWORD
	v_add_u16_e32 v15, v14, v3
	v_add_u16_sdwa v17, v15, v3 dst_sel:DWORD dst_unused:UNUSED_PAD src0_sel:DWORD src1_sel:WORD_1
	v_add_u16_e32 v19, v17, v4
	v_add_u16_sdwa v21, v19, v4 dst_sel:DWORD dst_unused:UNUSED_PAD src0_sel:DWORD src1_sel:WORD_1
	v_add_u16_e32 v24, v21, v5
	v_add_u16_sdwa v27, v24, v5 dst_sel:DWORD dst_unused:UNUSED_PAD src0_sel:DWORD src1_sel:WORD_1
	s_waitcnt lgkmcnt(1)
	v_add_u16_e32 v16, v27, v10
	v_add_u16_sdwa v18, v16, v10 dst_sel:DWORD dst_unused:UNUSED_PAD src0_sel:DWORD src1_sel:WORD_1
	v_add_u16_e32 v20, v18, v11
	v_add_u16_sdwa v23, v20, v11 dst_sel:DWORD dst_unused:UNUSED_PAD src0_sel:DWORD src1_sel:WORD_1
	;; [unrolled: 2-line block ×4, first 2 shown]
	s_waitcnt lgkmcnt(0)
	v_add_u16_e32 v22, v33, v6
	v_add_u16_sdwa v25, v22, v6 dst_sel:DWORD dst_unused:UNUSED_PAD src0_sel:DWORD src1_sel:WORD_1
	v_add_u16_e32 v28, v25, v7
	v_add_u16_sdwa v30, v28, v7 dst_sel:DWORD dst_unused:UNUSED_PAD src0_sel:DWORD src1_sel:WORD_1
	;; [unrolled: 2-line block ×4, first 2 shown]
	v_and_b32_e32 v38, 15, v37
	v_cmp_ne_u32_e32 vcc, 0, v38
	v_mov_b32_dpp v39, v36 row_shr:1 row_mask:0xf bank_mask:0xf
	v_cndmask_b32_e32 v39, 0, v39, vcc
	v_add_u16_e32 v39, v39, v36
	v_cmp_lt_u32_e32 vcc, 1, v38
	s_nop 0
	v_mov_b32_dpp v40, v39 row_shr:2 row_mask:0xf bank_mask:0xf
	v_cndmask_b32_e32 v40, 0, v40, vcc
	v_add_u16_e32 v39, v39, v40
	v_cmp_lt_u32_e32 vcc, 3, v38
	; wave barrier
	s_nop 0
	v_mov_b32_dpp v40, v39 row_shr:4 row_mask:0xf bank_mask:0xf
	v_cndmask_b32_e32 v40, 0, v40, vcc
	v_add_u16_e32 v39, v39, v40
	v_cmp_lt_u32_e32 vcc, 7, v38
	s_nop 0
	v_mov_b32_dpp v40, v39 row_shr:8 row_mask:0xf bank_mask:0xf
	v_cndmask_b32_e32 v38, 0, v40, vcc
	v_add_u16_e32 v38, v39, v38
	v_and_b32_e32 v40, 16, v37
	v_cmp_ne_u32_e32 vcc, 0, v40
	v_mov_b32_dpp v39, v38 row_bcast:15 row_mask:0xf bank_mask:0xf
	v_cndmask_b32_e32 v39, 0, v39, vcc
	v_add_u16_e32 v38, v38, v39
	v_cmp_lt_u32_e32 vcc, 31, v37
	s_nop 0
	v_mov_b32_dpp v39, v38 row_bcast:31 row_mask:0xf bank_mask:0xf
	v_cndmask_b32_e32 v39, 0, v39, vcc
	v_add_u16_e32 v38, v38, v39
	v_cmp_eq_u32_e32 vcc, 63, v0
	s_and_saveexec_b64 s[0:1], vcc
	s_cbranch_execz .LBB5935_50
; %bb.49:
	v_mov_b32_e32 v39, 0
	ds_write_b16 v39, v38
.LBB5935_50:
	s_or_b64 exec, exec, s[0:1]
	v_add_u32_e32 v39, -1, v37
	v_and_b32_e32 v40, 64, v37
	v_cmp_lt_i32_e32 vcc, v39, v40
	v_cndmask_b32_e32 v37, v39, v37, vcc
	v_lshlrev_b32_e32 v37, 2, v37
	ds_bpermute_b32 v38, v37, v38
	v_mul_u32_u24_e32 v37, 46, v0
	v_cmp_ne_u32_e32 vcc, 0, v0
	s_waitcnt lgkmcnt(0)
	; wave barrier
	s_waitcnt lgkmcnt(0)
	s_and_saveexec_b64 s[0:1], vcc
	s_cbranch_execz .LBB5935_52
; %bb.51:
	v_add_u16_e32 v0, v2, v38
	v_add_u16_sdwa v14, v0, v2 dst_sel:DWORD dst_unused:UNUSED_PAD src0_sel:DWORD src1_sel:WORD_1
	v_add_u16_e32 v15, v14, v3
	v_add_u16_sdwa v17, v15, v3 dst_sel:DWORD dst_unused:UNUSED_PAD src0_sel:DWORD src1_sel:WORD_1
	;; [unrolled: 2-line block ×12, first 2 shown]
	v_mov_b32_e32 v2, v0
	;;#ASMSTART
	;;#ASMEND
.LBB5935_52:
	s_or_b64 exec, exec, s[0:1]
	s_mov_b32 s0, 0x5040100
	v_add_u32_e32 v6, v1, v37
	v_perm_b32 v5, v27, v24, s0
	v_perm_b32 v4, v21, v19, s0
	;; [unrolled: 1-line block ×4, first 2 shown]
	s_waitcnt lgkmcnt(0)
	; wave barrier
	ds_write_b128 v6, v[2:5]
	v_perm_b32 v3, v33, v31, s0
	v_perm_b32 v2, v29, v26, s0
	;; [unrolled: 1-line block ×4, first 2 shown]
	ds_write_b128 v6, v[0:3] offset:16
	v_perm_b32 v3, v36, v35, s0
	v_perm_b32 v2, v34, v32, s0
	;; [unrolled: 1-line block ×4, first 2 shown]
	ds_write_b128 v6, v[0:3] offset:32
	s_waitcnt lgkmcnt(0)
	; wave barrier
	s_waitcnt lgkmcnt(0)
	s_endpgm
	.section	.rodata,"a",@progbits
	.p2align	6, 0x0
	.amdhsa_kernel _ZN7rocprim17ROCPRIM_400000_NS6detail17trampoline_kernelINS0_14default_configENS1_20scan_config_selectorIsEEZZNS1_9scan_implILNS1_25lookback_scan_determinismE0ELb0ELb0ES3_N6thrust23THRUST_200600_302600_NS6detail15normal_iteratorINS9_10device_ptrIsEEEENS9_16discard_iteratorINS9_11use_defaultEEEsNS9_4plusIvEEsEEDaPvRmT3_T4_T5_mT6_P12ihipStream_tbENKUlT_T0_E_clISt17integral_constantIbLb0EESW_IbLb1EEEEDaSS_ST_EUlSS_E0_NS1_11comp_targetILNS1_3genE4ELNS1_11target_archE910ELNS1_3gpuE8ELNS1_3repE0EEENS1_30default_config_static_selectorELNS0_4arch9wavefront6targetE1EEEvT1_
		.amdhsa_group_segment_fixed_size 3072
		.amdhsa_private_segment_fixed_size 0
		.amdhsa_kernarg_size 40
		.amdhsa_user_sgpr_count 6
		.amdhsa_user_sgpr_private_segment_buffer 1
		.amdhsa_user_sgpr_dispatch_ptr 0
		.amdhsa_user_sgpr_queue_ptr 0
		.amdhsa_user_sgpr_kernarg_segment_ptr 1
		.amdhsa_user_sgpr_dispatch_id 0
		.amdhsa_user_sgpr_flat_scratch_init 0
		.amdhsa_user_sgpr_kernarg_preload_length 0
		.amdhsa_user_sgpr_kernarg_preload_offset 0
		.amdhsa_user_sgpr_private_segment_size 0
		.amdhsa_uses_dynamic_stack 0
		.amdhsa_system_sgpr_private_segment_wavefront_offset 0
		.amdhsa_system_sgpr_workgroup_id_x 1
		.amdhsa_system_sgpr_workgroup_id_y 0
		.amdhsa_system_sgpr_workgroup_id_z 0
		.amdhsa_system_sgpr_workgroup_info 0
		.amdhsa_system_vgpr_workitem_id 0
		.amdhsa_next_free_vgpr 41
		.amdhsa_next_free_sgpr 6
		.amdhsa_accum_offset 44
		.amdhsa_reserve_vcc 1
		.amdhsa_reserve_flat_scratch 0
		.amdhsa_float_round_mode_32 0
		.amdhsa_float_round_mode_16_64 0
		.amdhsa_float_denorm_mode_32 3
		.amdhsa_float_denorm_mode_16_64 3
		.amdhsa_dx10_clamp 1
		.amdhsa_ieee_mode 1
		.amdhsa_fp16_overflow 0
		.amdhsa_tg_split 0
		.amdhsa_exception_fp_ieee_invalid_op 0
		.amdhsa_exception_fp_denorm_src 0
		.amdhsa_exception_fp_ieee_div_zero 0
		.amdhsa_exception_fp_ieee_overflow 0
		.amdhsa_exception_fp_ieee_underflow 0
		.amdhsa_exception_fp_ieee_inexact 0
		.amdhsa_exception_int_div_zero 0
	.end_amdhsa_kernel
	.section	.text._ZN7rocprim17ROCPRIM_400000_NS6detail17trampoline_kernelINS0_14default_configENS1_20scan_config_selectorIsEEZZNS1_9scan_implILNS1_25lookback_scan_determinismE0ELb0ELb0ES3_N6thrust23THRUST_200600_302600_NS6detail15normal_iteratorINS9_10device_ptrIsEEEENS9_16discard_iteratorINS9_11use_defaultEEEsNS9_4plusIvEEsEEDaPvRmT3_T4_T5_mT6_P12ihipStream_tbENKUlT_T0_E_clISt17integral_constantIbLb0EESW_IbLb1EEEEDaSS_ST_EUlSS_E0_NS1_11comp_targetILNS1_3genE4ELNS1_11target_archE910ELNS1_3gpuE8ELNS1_3repE0EEENS1_30default_config_static_selectorELNS0_4arch9wavefront6targetE1EEEvT1_,"axG",@progbits,_ZN7rocprim17ROCPRIM_400000_NS6detail17trampoline_kernelINS0_14default_configENS1_20scan_config_selectorIsEEZZNS1_9scan_implILNS1_25lookback_scan_determinismE0ELb0ELb0ES3_N6thrust23THRUST_200600_302600_NS6detail15normal_iteratorINS9_10device_ptrIsEEEENS9_16discard_iteratorINS9_11use_defaultEEEsNS9_4plusIvEEsEEDaPvRmT3_T4_T5_mT6_P12ihipStream_tbENKUlT_T0_E_clISt17integral_constantIbLb0EESW_IbLb1EEEEDaSS_ST_EUlSS_E0_NS1_11comp_targetILNS1_3genE4ELNS1_11target_archE910ELNS1_3gpuE8ELNS1_3repE0EEENS1_30default_config_static_selectorELNS0_4arch9wavefront6targetE1EEEvT1_,comdat
.Lfunc_end5935:
	.size	_ZN7rocprim17ROCPRIM_400000_NS6detail17trampoline_kernelINS0_14default_configENS1_20scan_config_selectorIsEEZZNS1_9scan_implILNS1_25lookback_scan_determinismE0ELb0ELb0ES3_N6thrust23THRUST_200600_302600_NS6detail15normal_iteratorINS9_10device_ptrIsEEEENS9_16discard_iteratorINS9_11use_defaultEEEsNS9_4plusIvEEsEEDaPvRmT3_T4_T5_mT6_P12ihipStream_tbENKUlT_T0_E_clISt17integral_constantIbLb0EESW_IbLb1EEEEDaSS_ST_EUlSS_E0_NS1_11comp_targetILNS1_3genE4ELNS1_11target_archE910ELNS1_3gpuE8ELNS1_3repE0EEENS1_30default_config_static_selectorELNS0_4arch9wavefront6targetE1EEEvT1_, .Lfunc_end5935-_ZN7rocprim17ROCPRIM_400000_NS6detail17trampoline_kernelINS0_14default_configENS1_20scan_config_selectorIsEEZZNS1_9scan_implILNS1_25lookback_scan_determinismE0ELb0ELb0ES3_N6thrust23THRUST_200600_302600_NS6detail15normal_iteratorINS9_10device_ptrIsEEEENS9_16discard_iteratorINS9_11use_defaultEEEsNS9_4plusIvEEsEEDaPvRmT3_T4_T5_mT6_P12ihipStream_tbENKUlT_T0_E_clISt17integral_constantIbLb0EESW_IbLb1EEEEDaSS_ST_EUlSS_E0_NS1_11comp_targetILNS1_3genE4ELNS1_11target_archE910ELNS1_3gpuE8ELNS1_3repE0EEENS1_30default_config_static_selectorELNS0_4arch9wavefront6targetE1EEEvT1_
                                        ; -- End function
	.section	.AMDGPU.csdata,"",@progbits
; Kernel info:
; codeLenInByte = 1808
; NumSgprs: 10
; NumVgprs: 41
; NumAgprs: 0
; TotalNumVgprs: 41
; ScratchSize: 0
; MemoryBound: 0
; FloatMode: 240
; IeeeMode: 1
; LDSByteSize: 3072 bytes/workgroup (compile time only)
; SGPRBlocks: 1
; VGPRBlocks: 5
; NumSGPRsForWavesPerEU: 10
; NumVGPRsForWavesPerEU: 41
; AccumOffset: 44
; Occupancy: 6
; WaveLimiterHint : 0
; COMPUTE_PGM_RSRC2:SCRATCH_EN: 0
; COMPUTE_PGM_RSRC2:USER_SGPR: 6
; COMPUTE_PGM_RSRC2:TRAP_HANDLER: 0
; COMPUTE_PGM_RSRC2:TGID_X_EN: 1
; COMPUTE_PGM_RSRC2:TGID_Y_EN: 0
; COMPUTE_PGM_RSRC2:TGID_Z_EN: 0
; COMPUTE_PGM_RSRC2:TIDIG_COMP_CNT: 0
; COMPUTE_PGM_RSRC3_GFX90A:ACCUM_OFFSET: 10
; COMPUTE_PGM_RSRC3_GFX90A:TG_SPLIT: 0
	.section	.text._ZN7rocprim17ROCPRIM_400000_NS6detail17trampoline_kernelINS0_14default_configENS1_20scan_config_selectorIsEEZZNS1_9scan_implILNS1_25lookback_scan_determinismE0ELb0ELb0ES3_N6thrust23THRUST_200600_302600_NS6detail15normal_iteratorINS9_10device_ptrIsEEEENS9_16discard_iteratorINS9_11use_defaultEEEsNS9_4plusIvEEsEEDaPvRmT3_T4_T5_mT6_P12ihipStream_tbENKUlT_T0_E_clISt17integral_constantIbLb0EESW_IbLb1EEEEDaSS_ST_EUlSS_E0_NS1_11comp_targetILNS1_3genE3ELNS1_11target_archE908ELNS1_3gpuE7ELNS1_3repE0EEENS1_30default_config_static_selectorELNS0_4arch9wavefront6targetE1EEEvT1_,"axG",@progbits,_ZN7rocprim17ROCPRIM_400000_NS6detail17trampoline_kernelINS0_14default_configENS1_20scan_config_selectorIsEEZZNS1_9scan_implILNS1_25lookback_scan_determinismE0ELb0ELb0ES3_N6thrust23THRUST_200600_302600_NS6detail15normal_iteratorINS9_10device_ptrIsEEEENS9_16discard_iteratorINS9_11use_defaultEEEsNS9_4plusIvEEsEEDaPvRmT3_T4_T5_mT6_P12ihipStream_tbENKUlT_T0_E_clISt17integral_constantIbLb0EESW_IbLb1EEEEDaSS_ST_EUlSS_E0_NS1_11comp_targetILNS1_3genE3ELNS1_11target_archE908ELNS1_3gpuE7ELNS1_3repE0EEENS1_30default_config_static_selectorELNS0_4arch9wavefront6targetE1EEEvT1_,comdat
	.protected	_ZN7rocprim17ROCPRIM_400000_NS6detail17trampoline_kernelINS0_14default_configENS1_20scan_config_selectorIsEEZZNS1_9scan_implILNS1_25lookback_scan_determinismE0ELb0ELb0ES3_N6thrust23THRUST_200600_302600_NS6detail15normal_iteratorINS9_10device_ptrIsEEEENS9_16discard_iteratorINS9_11use_defaultEEEsNS9_4plusIvEEsEEDaPvRmT3_T4_T5_mT6_P12ihipStream_tbENKUlT_T0_E_clISt17integral_constantIbLb0EESW_IbLb1EEEEDaSS_ST_EUlSS_E0_NS1_11comp_targetILNS1_3genE3ELNS1_11target_archE908ELNS1_3gpuE7ELNS1_3repE0EEENS1_30default_config_static_selectorELNS0_4arch9wavefront6targetE1EEEvT1_ ; -- Begin function _ZN7rocprim17ROCPRIM_400000_NS6detail17trampoline_kernelINS0_14default_configENS1_20scan_config_selectorIsEEZZNS1_9scan_implILNS1_25lookback_scan_determinismE0ELb0ELb0ES3_N6thrust23THRUST_200600_302600_NS6detail15normal_iteratorINS9_10device_ptrIsEEEENS9_16discard_iteratorINS9_11use_defaultEEEsNS9_4plusIvEEsEEDaPvRmT3_T4_T5_mT6_P12ihipStream_tbENKUlT_T0_E_clISt17integral_constantIbLb0EESW_IbLb1EEEEDaSS_ST_EUlSS_E0_NS1_11comp_targetILNS1_3genE3ELNS1_11target_archE908ELNS1_3gpuE7ELNS1_3repE0EEENS1_30default_config_static_selectorELNS0_4arch9wavefront6targetE1EEEvT1_
	.globl	_ZN7rocprim17ROCPRIM_400000_NS6detail17trampoline_kernelINS0_14default_configENS1_20scan_config_selectorIsEEZZNS1_9scan_implILNS1_25lookback_scan_determinismE0ELb0ELb0ES3_N6thrust23THRUST_200600_302600_NS6detail15normal_iteratorINS9_10device_ptrIsEEEENS9_16discard_iteratorINS9_11use_defaultEEEsNS9_4plusIvEEsEEDaPvRmT3_T4_T5_mT6_P12ihipStream_tbENKUlT_T0_E_clISt17integral_constantIbLb0EESW_IbLb1EEEEDaSS_ST_EUlSS_E0_NS1_11comp_targetILNS1_3genE3ELNS1_11target_archE908ELNS1_3gpuE7ELNS1_3repE0EEENS1_30default_config_static_selectorELNS0_4arch9wavefront6targetE1EEEvT1_
	.p2align	8
	.type	_ZN7rocprim17ROCPRIM_400000_NS6detail17trampoline_kernelINS0_14default_configENS1_20scan_config_selectorIsEEZZNS1_9scan_implILNS1_25lookback_scan_determinismE0ELb0ELb0ES3_N6thrust23THRUST_200600_302600_NS6detail15normal_iteratorINS9_10device_ptrIsEEEENS9_16discard_iteratorINS9_11use_defaultEEEsNS9_4plusIvEEsEEDaPvRmT3_T4_T5_mT6_P12ihipStream_tbENKUlT_T0_E_clISt17integral_constantIbLb0EESW_IbLb1EEEEDaSS_ST_EUlSS_E0_NS1_11comp_targetILNS1_3genE3ELNS1_11target_archE908ELNS1_3gpuE7ELNS1_3repE0EEENS1_30default_config_static_selectorELNS0_4arch9wavefront6targetE1EEEvT1_,@function
_ZN7rocprim17ROCPRIM_400000_NS6detail17trampoline_kernelINS0_14default_configENS1_20scan_config_selectorIsEEZZNS1_9scan_implILNS1_25lookback_scan_determinismE0ELb0ELb0ES3_N6thrust23THRUST_200600_302600_NS6detail15normal_iteratorINS9_10device_ptrIsEEEENS9_16discard_iteratorINS9_11use_defaultEEEsNS9_4plusIvEEsEEDaPvRmT3_T4_T5_mT6_P12ihipStream_tbENKUlT_T0_E_clISt17integral_constantIbLb0EESW_IbLb1EEEEDaSS_ST_EUlSS_E0_NS1_11comp_targetILNS1_3genE3ELNS1_11target_archE908ELNS1_3gpuE7ELNS1_3repE0EEENS1_30default_config_static_selectorELNS0_4arch9wavefront6targetE1EEEvT1_: ; @_ZN7rocprim17ROCPRIM_400000_NS6detail17trampoline_kernelINS0_14default_configENS1_20scan_config_selectorIsEEZZNS1_9scan_implILNS1_25lookback_scan_determinismE0ELb0ELb0ES3_N6thrust23THRUST_200600_302600_NS6detail15normal_iteratorINS9_10device_ptrIsEEEENS9_16discard_iteratorINS9_11use_defaultEEEsNS9_4plusIvEEsEEDaPvRmT3_T4_T5_mT6_P12ihipStream_tbENKUlT_T0_E_clISt17integral_constantIbLb0EESW_IbLb1EEEEDaSS_ST_EUlSS_E0_NS1_11comp_targetILNS1_3genE3ELNS1_11target_archE908ELNS1_3gpuE7ELNS1_3repE0EEENS1_30default_config_static_selectorELNS0_4arch9wavefront6targetE1EEEvT1_
; %bb.0:
	.section	.rodata,"a",@progbits
	.p2align	6, 0x0
	.amdhsa_kernel _ZN7rocprim17ROCPRIM_400000_NS6detail17trampoline_kernelINS0_14default_configENS1_20scan_config_selectorIsEEZZNS1_9scan_implILNS1_25lookback_scan_determinismE0ELb0ELb0ES3_N6thrust23THRUST_200600_302600_NS6detail15normal_iteratorINS9_10device_ptrIsEEEENS9_16discard_iteratorINS9_11use_defaultEEEsNS9_4plusIvEEsEEDaPvRmT3_T4_T5_mT6_P12ihipStream_tbENKUlT_T0_E_clISt17integral_constantIbLb0EESW_IbLb1EEEEDaSS_ST_EUlSS_E0_NS1_11comp_targetILNS1_3genE3ELNS1_11target_archE908ELNS1_3gpuE7ELNS1_3repE0EEENS1_30default_config_static_selectorELNS0_4arch9wavefront6targetE1EEEvT1_
		.amdhsa_group_segment_fixed_size 0
		.amdhsa_private_segment_fixed_size 0
		.amdhsa_kernarg_size 40
		.amdhsa_user_sgpr_count 6
		.amdhsa_user_sgpr_private_segment_buffer 1
		.amdhsa_user_sgpr_dispatch_ptr 0
		.amdhsa_user_sgpr_queue_ptr 0
		.amdhsa_user_sgpr_kernarg_segment_ptr 1
		.amdhsa_user_sgpr_dispatch_id 0
		.amdhsa_user_sgpr_flat_scratch_init 0
		.amdhsa_user_sgpr_kernarg_preload_length 0
		.amdhsa_user_sgpr_kernarg_preload_offset 0
		.amdhsa_user_sgpr_private_segment_size 0
		.amdhsa_uses_dynamic_stack 0
		.amdhsa_system_sgpr_private_segment_wavefront_offset 0
		.amdhsa_system_sgpr_workgroup_id_x 1
		.amdhsa_system_sgpr_workgroup_id_y 0
		.amdhsa_system_sgpr_workgroup_id_z 0
		.amdhsa_system_sgpr_workgroup_info 0
		.amdhsa_system_vgpr_workitem_id 0
		.amdhsa_next_free_vgpr 1
		.amdhsa_next_free_sgpr 0
		.amdhsa_accum_offset 4
		.amdhsa_reserve_vcc 0
		.amdhsa_reserve_flat_scratch 0
		.amdhsa_float_round_mode_32 0
		.amdhsa_float_round_mode_16_64 0
		.amdhsa_float_denorm_mode_32 3
		.amdhsa_float_denorm_mode_16_64 3
		.amdhsa_dx10_clamp 1
		.amdhsa_ieee_mode 1
		.amdhsa_fp16_overflow 0
		.amdhsa_tg_split 0
		.amdhsa_exception_fp_ieee_invalid_op 0
		.amdhsa_exception_fp_denorm_src 0
		.amdhsa_exception_fp_ieee_div_zero 0
		.amdhsa_exception_fp_ieee_overflow 0
		.amdhsa_exception_fp_ieee_underflow 0
		.amdhsa_exception_fp_ieee_inexact 0
		.amdhsa_exception_int_div_zero 0
	.end_amdhsa_kernel
	.section	.text._ZN7rocprim17ROCPRIM_400000_NS6detail17trampoline_kernelINS0_14default_configENS1_20scan_config_selectorIsEEZZNS1_9scan_implILNS1_25lookback_scan_determinismE0ELb0ELb0ES3_N6thrust23THRUST_200600_302600_NS6detail15normal_iteratorINS9_10device_ptrIsEEEENS9_16discard_iteratorINS9_11use_defaultEEEsNS9_4plusIvEEsEEDaPvRmT3_T4_T5_mT6_P12ihipStream_tbENKUlT_T0_E_clISt17integral_constantIbLb0EESW_IbLb1EEEEDaSS_ST_EUlSS_E0_NS1_11comp_targetILNS1_3genE3ELNS1_11target_archE908ELNS1_3gpuE7ELNS1_3repE0EEENS1_30default_config_static_selectorELNS0_4arch9wavefront6targetE1EEEvT1_,"axG",@progbits,_ZN7rocprim17ROCPRIM_400000_NS6detail17trampoline_kernelINS0_14default_configENS1_20scan_config_selectorIsEEZZNS1_9scan_implILNS1_25lookback_scan_determinismE0ELb0ELb0ES3_N6thrust23THRUST_200600_302600_NS6detail15normal_iteratorINS9_10device_ptrIsEEEENS9_16discard_iteratorINS9_11use_defaultEEEsNS9_4plusIvEEsEEDaPvRmT3_T4_T5_mT6_P12ihipStream_tbENKUlT_T0_E_clISt17integral_constantIbLb0EESW_IbLb1EEEEDaSS_ST_EUlSS_E0_NS1_11comp_targetILNS1_3genE3ELNS1_11target_archE908ELNS1_3gpuE7ELNS1_3repE0EEENS1_30default_config_static_selectorELNS0_4arch9wavefront6targetE1EEEvT1_,comdat
.Lfunc_end5936:
	.size	_ZN7rocprim17ROCPRIM_400000_NS6detail17trampoline_kernelINS0_14default_configENS1_20scan_config_selectorIsEEZZNS1_9scan_implILNS1_25lookback_scan_determinismE0ELb0ELb0ES3_N6thrust23THRUST_200600_302600_NS6detail15normal_iteratorINS9_10device_ptrIsEEEENS9_16discard_iteratorINS9_11use_defaultEEEsNS9_4plusIvEEsEEDaPvRmT3_T4_T5_mT6_P12ihipStream_tbENKUlT_T0_E_clISt17integral_constantIbLb0EESW_IbLb1EEEEDaSS_ST_EUlSS_E0_NS1_11comp_targetILNS1_3genE3ELNS1_11target_archE908ELNS1_3gpuE7ELNS1_3repE0EEENS1_30default_config_static_selectorELNS0_4arch9wavefront6targetE1EEEvT1_, .Lfunc_end5936-_ZN7rocprim17ROCPRIM_400000_NS6detail17trampoline_kernelINS0_14default_configENS1_20scan_config_selectorIsEEZZNS1_9scan_implILNS1_25lookback_scan_determinismE0ELb0ELb0ES3_N6thrust23THRUST_200600_302600_NS6detail15normal_iteratorINS9_10device_ptrIsEEEENS9_16discard_iteratorINS9_11use_defaultEEEsNS9_4plusIvEEsEEDaPvRmT3_T4_T5_mT6_P12ihipStream_tbENKUlT_T0_E_clISt17integral_constantIbLb0EESW_IbLb1EEEEDaSS_ST_EUlSS_E0_NS1_11comp_targetILNS1_3genE3ELNS1_11target_archE908ELNS1_3gpuE7ELNS1_3repE0EEENS1_30default_config_static_selectorELNS0_4arch9wavefront6targetE1EEEvT1_
                                        ; -- End function
	.section	.AMDGPU.csdata,"",@progbits
; Kernel info:
; codeLenInByte = 0
; NumSgprs: 4
; NumVgprs: 0
; NumAgprs: 0
; TotalNumVgprs: 0
; ScratchSize: 0
; MemoryBound: 0
; FloatMode: 240
; IeeeMode: 1
; LDSByteSize: 0 bytes/workgroup (compile time only)
; SGPRBlocks: 0
; VGPRBlocks: 0
; NumSGPRsForWavesPerEU: 4
; NumVGPRsForWavesPerEU: 1
; AccumOffset: 4
; Occupancy: 8
; WaveLimiterHint : 0
; COMPUTE_PGM_RSRC2:SCRATCH_EN: 0
; COMPUTE_PGM_RSRC2:USER_SGPR: 6
; COMPUTE_PGM_RSRC2:TRAP_HANDLER: 0
; COMPUTE_PGM_RSRC2:TGID_X_EN: 1
; COMPUTE_PGM_RSRC2:TGID_Y_EN: 0
; COMPUTE_PGM_RSRC2:TGID_Z_EN: 0
; COMPUTE_PGM_RSRC2:TIDIG_COMP_CNT: 0
; COMPUTE_PGM_RSRC3_GFX90A:ACCUM_OFFSET: 0
; COMPUTE_PGM_RSRC3_GFX90A:TG_SPLIT: 0
	.section	.text._ZN7rocprim17ROCPRIM_400000_NS6detail17trampoline_kernelINS0_14default_configENS1_20scan_config_selectorIsEEZZNS1_9scan_implILNS1_25lookback_scan_determinismE0ELb0ELb0ES3_N6thrust23THRUST_200600_302600_NS6detail15normal_iteratorINS9_10device_ptrIsEEEENS9_16discard_iteratorINS9_11use_defaultEEEsNS9_4plusIvEEsEEDaPvRmT3_T4_T5_mT6_P12ihipStream_tbENKUlT_T0_E_clISt17integral_constantIbLb0EESW_IbLb1EEEEDaSS_ST_EUlSS_E0_NS1_11comp_targetILNS1_3genE2ELNS1_11target_archE906ELNS1_3gpuE6ELNS1_3repE0EEENS1_30default_config_static_selectorELNS0_4arch9wavefront6targetE1EEEvT1_,"axG",@progbits,_ZN7rocprim17ROCPRIM_400000_NS6detail17trampoline_kernelINS0_14default_configENS1_20scan_config_selectorIsEEZZNS1_9scan_implILNS1_25lookback_scan_determinismE0ELb0ELb0ES3_N6thrust23THRUST_200600_302600_NS6detail15normal_iteratorINS9_10device_ptrIsEEEENS9_16discard_iteratorINS9_11use_defaultEEEsNS9_4plusIvEEsEEDaPvRmT3_T4_T5_mT6_P12ihipStream_tbENKUlT_T0_E_clISt17integral_constantIbLb0EESW_IbLb1EEEEDaSS_ST_EUlSS_E0_NS1_11comp_targetILNS1_3genE2ELNS1_11target_archE906ELNS1_3gpuE6ELNS1_3repE0EEENS1_30default_config_static_selectorELNS0_4arch9wavefront6targetE1EEEvT1_,comdat
	.protected	_ZN7rocprim17ROCPRIM_400000_NS6detail17trampoline_kernelINS0_14default_configENS1_20scan_config_selectorIsEEZZNS1_9scan_implILNS1_25lookback_scan_determinismE0ELb0ELb0ES3_N6thrust23THRUST_200600_302600_NS6detail15normal_iteratorINS9_10device_ptrIsEEEENS9_16discard_iteratorINS9_11use_defaultEEEsNS9_4plusIvEEsEEDaPvRmT3_T4_T5_mT6_P12ihipStream_tbENKUlT_T0_E_clISt17integral_constantIbLb0EESW_IbLb1EEEEDaSS_ST_EUlSS_E0_NS1_11comp_targetILNS1_3genE2ELNS1_11target_archE906ELNS1_3gpuE6ELNS1_3repE0EEENS1_30default_config_static_selectorELNS0_4arch9wavefront6targetE1EEEvT1_ ; -- Begin function _ZN7rocprim17ROCPRIM_400000_NS6detail17trampoline_kernelINS0_14default_configENS1_20scan_config_selectorIsEEZZNS1_9scan_implILNS1_25lookback_scan_determinismE0ELb0ELb0ES3_N6thrust23THRUST_200600_302600_NS6detail15normal_iteratorINS9_10device_ptrIsEEEENS9_16discard_iteratorINS9_11use_defaultEEEsNS9_4plusIvEEsEEDaPvRmT3_T4_T5_mT6_P12ihipStream_tbENKUlT_T0_E_clISt17integral_constantIbLb0EESW_IbLb1EEEEDaSS_ST_EUlSS_E0_NS1_11comp_targetILNS1_3genE2ELNS1_11target_archE906ELNS1_3gpuE6ELNS1_3repE0EEENS1_30default_config_static_selectorELNS0_4arch9wavefront6targetE1EEEvT1_
	.globl	_ZN7rocprim17ROCPRIM_400000_NS6detail17trampoline_kernelINS0_14default_configENS1_20scan_config_selectorIsEEZZNS1_9scan_implILNS1_25lookback_scan_determinismE0ELb0ELb0ES3_N6thrust23THRUST_200600_302600_NS6detail15normal_iteratorINS9_10device_ptrIsEEEENS9_16discard_iteratorINS9_11use_defaultEEEsNS9_4plusIvEEsEEDaPvRmT3_T4_T5_mT6_P12ihipStream_tbENKUlT_T0_E_clISt17integral_constantIbLb0EESW_IbLb1EEEEDaSS_ST_EUlSS_E0_NS1_11comp_targetILNS1_3genE2ELNS1_11target_archE906ELNS1_3gpuE6ELNS1_3repE0EEENS1_30default_config_static_selectorELNS0_4arch9wavefront6targetE1EEEvT1_
	.p2align	8
	.type	_ZN7rocprim17ROCPRIM_400000_NS6detail17trampoline_kernelINS0_14default_configENS1_20scan_config_selectorIsEEZZNS1_9scan_implILNS1_25lookback_scan_determinismE0ELb0ELb0ES3_N6thrust23THRUST_200600_302600_NS6detail15normal_iteratorINS9_10device_ptrIsEEEENS9_16discard_iteratorINS9_11use_defaultEEEsNS9_4plusIvEEsEEDaPvRmT3_T4_T5_mT6_P12ihipStream_tbENKUlT_T0_E_clISt17integral_constantIbLb0EESW_IbLb1EEEEDaSS_ST_EUlSS_E0_NS1_11comp_targetILNS1_3genE2ELNS1_11target_archE906ELNS1_3gpuE6ELNS1_3repE0EEENS1_30default_config_static_selectorELNS0_4arch9wavefront6targetE1EEEvT1_,@function
_ZN7rocprim17ROCPRIM_400000_NS6detail17trampoline_kernelINS0_14default_configENS1_20scan_config_selectorIsEEZZNS1_9scan_implILNS1_25lookback_scan_determinismE0ELb0ELb0ES3_N6thrust23THRUST_200600_302600_NS6detail15normal_iteratorINS9_10device_ptrIsEEEENS9_16discard_iteratorINS9_11use_defaultEEEsNS9_4plusIvEEsEEDaPvRmT3_T4_T5_mT6_P12ihipStream_tbENKUlT_T0_E_clISt17integral_constantIbLb0EESW_IbLb1EEEEDaSS_ST_EUlSS_E0_NS1_11comp_targetILNS1_3genE2ELNS1_11target_archE906ELNS1_3gpuE6ELNS1_3repE0EEENS1_30default_config_static_selectorELNS0_4arch9wavefront6targetE1EEEvT1_: ; @_ZN7rocprim17ROCPRIM_400000_NS6detail17trampoline_kernelINS0_14default_configENS1_20scan_config_selectorIsEEZZNS1_9scan_implILNS1_25lookback_scan_determinismE0ELb0ELb0ES3_N6thrust23THRUST_200600_302600_NS6detail15normal_iteratorINS9_10device_ptrIsEEEENS9_16discard_iteratorINS9_11use_defaultEEEsNS9_4plusIvEEsEEDaPvRmT3_T4_T5_mT6_P12ihipStream_tbENKUlT_T0_E_clISt17integral_constantIbLb0EESW_IbLb1EEEEDaSS_ST_EUlSS_E0_NS1_11comp_targetILNS1_3genE2ELNS1_11target_archE906ELNS1_3gpuE6ELNS1_3repE0EEENS1_30default_config_static_selectorELNS0_4arch9wavefront6targetE1EEEvT1_
; %bb.0:
	.section	.rodata,"a",@progbits
	.p2align	6, 0x0
	.amdhsa_kernel _ZN7rocprim17ROCPRIM_400000_NS6detail17trampoline_kernelINS0_14default_configENS1_20scan_config_selectorIsEEZZNS1_9scan_implILNS1_25lookback_scan_determinismE0ELb0ELb0ES3_N6thrust23THRUST_200600_302600_NS6detail15normal_iteratorINS9_10device_ptrIsEEEENS9_16discard_iteratorINS9_11use_defaultEEEsNS9_4plusIvEEsEEDaPvRmT3_T4_T5_mT6_P12ihipStream_tbENKUlT_T0_E_clISt17integral_constantIbLb0EESW_IbLb1EEEEDaSS_ST_EUlSS_E0_NS1_11comp_targetILNS1_3genE2ELNS1_11target_archE906ELNS1_3gpuE6ELNS1_3repE0EEENS1_30default_config_static_selectorELNS0_4arch9wavefront6targetE1EEEvT1_
		.amdhsa_group_segment_fixed_size 0
		.amdhsa_private_segment_fixed_size 0
		.amdhsa_kernarg_size 40
		.amdhsa_user_sgpr_count 6
		.amdhsa_user_sgpr_private_segment_buffer 1
		.amdhsa_user_sgpr_dispatch_ptr 0
		.amdhsa_user_sgpr_queue_ptr 0
		.amdhsa_user_sgpr_kernarg_segment_ptr 1
		.amdhsa_user_sgpr_dispatch_id 0
		.amdhsa_user_sgpr_flat_scratch_init 0
		.amdhsa_user_sgpr_kernarg_preload_length 0
		.amdhsa_user_sgpr_kernarg_preload_offset 0
		.amdhsa_user_sgpr_private_segment_size 0
		.amdhsa_uses_dynamic_stack 0
		.amdhsa_system_sgpr_private_segment_wavefront_offset 0
		.amdhsa_system_sgpr_workgroup_id_x 1
		.amdhsa_system_sgpr_workgroup_id_y 0
		.amdhsa_system_sgpr_workgroup_id_z 0
		.amdhsa_system_sgpr_workgroup_info 0
		.amdhsa_system_vgpr_workitem_id 0
		.amdhsa_next_free_vgpr 1
		.amdhsa_next_free_sgpr 0
		.amdhsa_accum_offset 4
		.amdhsa_reserve_vcc 0
		.amdhsa_reserve_flat_scratch 0
		.amdhsa_float_round_mode_32 0
		.amdhsa_float_round_mode_16_64 0
		.amdhsa_float_denorm_mode_32 3
		.amdhsa_float_denorm_mode_16_64 3
		.amdhsa_dx10_clamp 1
		.amdhsa_ieee_mode 1
		.amdhsa_fp16_overflow 0
		.amdhsa_tg_split 0
		.amdhsa_exception_fp_ieee_invalid_op 0
		.amdhsa_exception_fp_denorm_src 0
		.amdhsa_exception_fp_ieee_div_zero 0
		.amdhsa_exception_fp_ieee_overflow 0
		.amdhsa_exception_fp_ieee_underflow 0
		.amdhsa_exception_fp_ieee_inexact 0
		.amdhsa_exception_int_div_zero 0
	.end_amdhsa_kernel
	.section	.text._ZN7rocprim17ROCPRIM_400000_NS6detail17trampoline_kernelINS0_14default_configENS1_20scan_config_selectorIsEEZZNS1_9scan_implILNS1_25lookback_scan_determinismE0ELb0ELb0ES3_N6thrust23THRUST_200600_302600_NS6detail15normal_iteratorINS9_10device_ptrIsEEEENS9_16discard_iteratorINS9_11use_defaultEEEsNS9_4plusIvEEsEEDaPvRmT3_T4_T5_mT6_P12ihipStream_tbENKUlT_T0_E_clISt17integral_constantIbLb0EESW_IbLb1EEEEDaSS_ST_EUlSS_E0_NS1_11comp_targetILNS1_3genE2ELNS1_11target_archE906ELNS1_3gpuE6ELNS1_3repE0EEENS1_30default_config_static_selectorELNS0_4arch9wavefront6targetE1EEEvT1_,"axG",@progbits,_ZN7rocprim17ROCPRIM_400000_NS6detail17trampoline_kernelINS0_14default_configENS1_20scan_config_selectorIsEEZZNS1_9scan_implILNS1_25lookback_scan_determinismE0ELb0ELb0ES3_N6thrust23THRUST_200600_302600_NS6detail15normal_iteratorINS9_10device_ptrIsEEEENS9_16discard_iteratorINS9_11use_defaultEEEsNS9_4plusIvEEsEEDaPvRmT3_T4_T5_mT6_P12ihipStream_tbENKUlT_T0_E_clISt17integral_constantIbLb0EESW_IbLb1EEEEDaSS_ST_EUlSS_E0_NS1_11comp_targetILNS1_3genE2ELNS1_11target_archE906ELNS1_3gpuE6ELNS1_3repE0EEENS1_30default_config_static_selectorELNS0_4arch9wavefront6targetE1EEEvT1_,comdat
.Lfunc_end5937:
	.size	_ZN7rocprim17ROCPRIM_400000_NS6detail17trampoline_kernelINS0_14default_configENS1_20scan_config_selectorIsEEZZNS1_9scan_implILNS1_25lookback_scan_determinismE0ELb0ELb0ES3_N6thrust23THRUST_200600_302600_NS6detail15normal_iteratorINS9_10device_ptrIsEEEENS9_16discard_iteratorINS9_11use_defaultEEEsNS9_4plusIvEEsEEDaPvRmT3_T4_T5_mT6_P12ihipStream_tbENKUlT_T0_E_clISt17integral_constantIbLb0EESW_IbLb1EEEEDaSS_ST_EUlSS_E0_NS1_11comp_targetILNS1_3genE2ELNS1_11target_archE906ELNS1_3gpuE6ELNS1_3repE0EEENS1_30default_config_static_selectorELNS0_4arch9wavefront6targetE1EEEvT1_, .Lfunc_end5937-_ZN7rocprim17ROCPRIM_400000_NS6detail17trampoline_kernelINS0_14default_configENS1_20scan_config_selectorIsEEZZNS1_9scan_implILNS1_25lookback_scan_determinismE0ELb0ELb0ES3_N6thrust23THRUST_200600_302600_NS6detail15normal_iteratorINS9_10device_ptrIsEEEENS9_16discard_iteratorINS9_11use_defaultEEEsNS9_4plusIvEEsEEDaPvRmT3_T4_T5_mT6_P12ihipStream_tbENKUlT_T0_E_clISt17integral_constantIbLb0EESW_IbLb1EEEEDaSS_ST_EUlSS_E0_NS1_11comp_targetILNS1_3genE2ELNS1_11target_archE906ELNS1_3gpuE6ELNS1_3repE0EEENS1_30default_config_static_selectorELNS0_4arch9wavefront6targetE1EEEvT1_
                                        ; -- End function
	.section	.AMDGPU.csdata,"",@progbits
; Kernel info:
; codeLenInByte = 0
; NumSgprs: 4
; NumVgprs: 0
; NumAgprs: 0
; TotalNumVgprs: 0
; ScratchSize: 0
; MemoryBound: 0
; FloatMode: 240
; IeeeMode: 1
; LDSByteSize: 0 bytes/workgroup (compile time only)
; SGPRBlocks: 0
; VGPRBlocks: 0
; NumSGPRsForWavesPerEU: 4
; NumVGPRsForWavesPerEU: 1
; AccumOffset: 4
; Occupancy: 8
; WaveLimiterHint : 0
; COMPUTE_PGM_RSRC2:SCRATCH_EN: 0
; COMPUTE_PGM_RSRC2:USER_SGPR: 6
; COMPUTE_PGM_RSRC2:TRAP_HANDLER: 0
; COMPUTE_PGM_RSRC2:TGID_X_EN: 1
; COMPUTE_PGM_RSRC2:TGID_Y_EN: 0
; COMPUTE_PGM_RSRC2:TGID_Z_EN: 0
; COMPUTE_PGM_RSRC2:TIDIG_COMP_CNT: 0
; COMPUTE_PGM_RSRC3_GFX90A:ACCUM_OFFSET: 0
; COMPUTE_PGM_RSRC3_GFX90A:TG_SPLIT: 0
	.section	.text._ZN7rocprim17ROCPRIM_400000_NS6detail17trampoline_kernelINS0_14default_configENS1_20scan_config_selectorIsEEZZNS1_9scan_implILNS1_25lookback_scan_determinismE0ELb0ELb0ES3_N6thrust23THRUST_200600_302600_NS6detail15normal_iteratorINS9_10device_ptrIsEEEENS9_16discard_iteratorINS9_11use_defaultEEEsNS9_4plusIvEEsEEDaPvRmT3_T4_T5_mT6_P12ihipStream_tbENKUlT_T0_E_clISt17integral_constantIbLb0EESW_IbLb1EEEEDaSS_ST_EUlSS_E0_NS1_11comp_targetILNS1_3genE10ELNS1_11target_archE1201ELNS1_3gpuE5ELNS1_3repE0EEENS1_30default_config_static_selectorELNS0_4arch9wavefront6targetE1EEEvT1_,"axG",@progbits,_ZN7rocprim17ROCPRIM_400000_NS6detail17trampoline_kernelINS0_14default_configENS1_20scan_config_selectorIsEEZZNS1_9scan_implILNS1_25lookback_scan_determinismE0ELb0ELb0ES3_N6thrust23THRUST_200600_302600_NS6detail15normal_iteratorINS9_10device_ptrIsEEEENS9_16discard_iteratorINS9_11use_defaultEEEsNS9_4plusIvEEsEEDaPvRmT3_T4_T5_mT6_P12ihipStream_tbENKUlT_T0_E_clISt17integral_constantIbLb0EESW_IbLb1EEEEDaSS_ST_EUlSS_E0_NS1_11comp_targetILNS1_3genE10ELNS1_11target_archE1201ELNS1_3gpuE5ELNS1_3repE0EEENS1_30default_config_static_selectorELNS0_4arch9wavefront6targetE1EEEvT1_,comdat
	.protected	_ZN7rocprim17ROCPRIM_400000_NS6detail17trampoline_kernelINS0_14default_configENS1_20scan_config_selectorIsEEZZNS1_9scan_implILNS1_25lookback_scan_determinismE0ELb0ELb0ES3_N6thrust23THRUST_200600_302600_NS6detail15normal_iteratorINS9_10device_ptrIsEEEENS9_16discard_iteratorINS9_11use_defaultEEEsNS9_4plusIvEEsEEDaPvRmT3_T4_T5_mT6_P12ihipStream_tbENKUlT_T0_E_clISt17integral_constantIbLb0EESW_IbLb1EEEEDaSS_ST_EUlSS_E0_NS1_11comp_targetILNS1_3genE10ELNS1_11target_archE1201ELNS1_3gpuE5ELNS1_3repE0EEENS1_30default_config_static_selectorELNS0_4arch9wavefront6targetE1EEEvT1_ ; -- Begin function _ZN7rocprim17ROCPRIM_400000_NS6detail17trampoline_kernelINS0_14default_configENS1_20scan_config_selectorIsEEZZNS1_9scan_implILNS1_25lookback_scan_determinismE0ELb0ELb0ES3_N6thrust23THRUST_200600_302600_NS6detail15normal_iteratorINS9_10device_ptrIsEEEENS9_16discard_iteratorINS9_11use_defaultEEEsNS9_4plusIvEEsEEDaPvRmT3_T4_T5_mT6_P12ihipStream_tbENKUlT_T0_E_clISt17integral_constantIbLb0EESW_IbLb1EEEEDaSS_ST_EUlSS_E0_NS1_11comp_targetILNS1_3genE10ELNS1_11target_archE1201ELNS1_3gpuE5ELNS1_3repE0EEENS1_30default_config_static_selectorELNS0_4arch9wavefront6targetE1EEEvT1_
	.globl	_ZN7rocprim17ROCPRIM_400000_NS6detail17trampoline_kernelINS0_14default_configENS1_20scan_config_selectorIsEEZZNS1_9scan_implILNS1_25lookback_scan_determinismE0ELb0ELb0ES3_N6thrust23THRUST_200600_302600_NS6detail15normal_iteratorINS9_10device_ptrIsEEEENS9_16discard_iteratorINS9_11use_defaultEEEsNS9_4plusIvEEsEEDaPvRmT3_T4_T5_mT6_P12ihipStream_tbENKUlT_T0_E_clISt17integral_constantIbLb0EESW_IbLb1EEEEDaSS_ST_EUlSS_E0_NS1_11comp_targetILNS1_3genE10ELNS1_11target_archE1201ELNS1_3gpuE5ELNS1_3repE0EEENS1_30default_config_static_selectorELNS0_4arch9wavefront6targetE1EEEvT1_
	.p2align	8
	.type	_ZN7rocprim17ROCPRIM_400000_NS6detail17trampoline_kernelINS0_14default_configENS1_20scan_config_selectorIsEEZZNS1_9scan_implILNS1_25lookback_scan_determinismE0ELb0ELb0ES3_N6thrust23THRUST_200600_302600_NS6detail15normal_iteratorINS9_10device_ptrIsEEEENS9_16discard_iteratorINS9_11use_defaultEEEsNS9_4plusIvEEsEEDaPvRmT3_T4_T5_mT6_P12ihipStream_tbENKUlT_T0_E_clISt17integral_constantIbLb0EESW_IbLb1EEEEDaSS_ST_EUlSS_E0_NS1_11comp_targetILNS1_3genE10ELNS1_11target_archE1201ELNS1_3gpuE5ELNS1_3repE0EEENS1_30default_config_static_selectorELNS0_4arch9wavefront6targetE1EEEvT1_,@function
_ZN7rocprim17ROCPRIM_400000_NS6detail17trampoline_kernelINS0_14default_configENS1_20scan_config_selectorIsEEZZNS1_9scan_implILNS1_25lookback_scan_determinismE0ELb0ELb0ES3_N6thrust23THRUST_200600_302600_NS6detail15normal_iteratorINS9_10device_ptrIsEEEENS9_16discard_iteratorINS9_11use_defaultEEEsNS9_4plusIvEEsEEDaPvRmT3_T4_T5_mT6_P12ihipStream_tbENKUlT_T0_E_clISt17integral_constantIbLb0EESW_IbLb1EEEEDaSS_ST_EUlSS_E0_NS1_11comp_targetILNS1_3genE10ELNS1_11target_archE1201ELNS1_3gpuE5ELNS1_3repE0EEENS1_30default_config_static_selectorELNS0_4arch9wavefront6targetE1EEEvT1_: ; @_ZN7rocprim17ROCPRIM_400000_NS6detail17trampoline_kernelINS0_14default_configENS1_20scan_config_selectorIsEEZZNS1_9scan_implILNS1_25lookback_scan_determinismE0ELb0ELb0ES3_N6thrust23THRUST_200600_302600_NS6detail15normal_iteratorINS9_10device_ptrIsEEEENS9_16discard_iteratorINS9_11use_defaultEEEsNS9_4plusIvEEsEEDaPvRmT3_T4_T5_mT6_P12ihipStream_tbENKUlT_T0_E_clISt17integral_constantIbLb0EESW_IbLb1EEEEDaSS_ST_EUlSS_E0_NS1_11comp_targetILNS1_3genE10ELNS1_11target_archE1201ELNS1_3gpuE5ELNS1_3repE0EEENS1_30default_config_static_selectorELNS0_4arch9wavefront6targetE1EEEvT1_
; %bb.0:
	.section	.rodata,"a",@progbits
	.p2align	6, 0x0
	.amdhsa_kernel _ZN7rocprim17ROCPRIM_400000_NS6detail17trampoline_kernelINS0_14default_configENS1_20scan_config_selectorIsEEZZNS1_9scan_implILNS1_25lookback_scan_determinismE0ELb0ELb0ES3_N6thrust23THRUST_200600_302600_NS6detail15normal_iteratorINS9_10device_ptrIsEEEENS9_16discard_iteratorINS9_11use_defaultEEEsNS9_4plusIvEEsEEDaPvRmT3_T4_T5_mT6_P12ihipStream_tbENKUlT_T0_E_clISt17integral_constantIbLb0EESW_IbLb1EEEEDaSS_ST_EUlSS_E0_NS1_11comp_targetILNS1_3genE10ELNS1_11target_archE1201ELNS1_3gpuE5ELNS1_3repE0EEENS1_30default_config_static_selectorELNS0_4arch9wavefront6targetE1EEEvT1_
		.amdhsa_group_segment_fixed_size 0
		.amdhsa_private_segment_fixed_size 0
		.amdhsa_kernarg_size 40
		.amdhsa_user_sgpr_count 6
		.amdhsa_user_sgpr_private_segment_buffer 1
		.amdhsa_user_sgpr_dispatch_ptr 0
		.amdhsa_user_sgpr_queue_ptr 0
		.amdhsa_user_sgpr_kernarg_segment_ptr 1
		.amdhsa_user_sgpr_dispatch_id 0
		.amdhsa_user_sgpr_flat_scratch_init 0
		.amdhsa_user_sgpr_kernarg_preload_length 0
		.amdhsa_user_sgpr_kernarg_preload_offset 0
		.amdhsa_user_sgpr_private_segment_size 0
		.amdhsa_uses_dynamic_stack 0
		.amdhsa_system_sgpr_private_segment_wavefront_offset 0
		.amdhsa_system_sgpr_workgroup_id_x 1
		.amdhsa_system_sgpr_workgroup_id_y 0
		.amdhsa_system_sgpr_workgroup_id_z 0
		.amdhsa_system_sgpr_workgroup_info 0
		.amdhsa_system_vgpr_workitem_id 0
		.amdhsa_next_free_vgpr 1
		.amdhsa_next_free_sgpr 0
		.amdhsa_accum_offset 4
		.amdhsa_reserve_vcc 0
		.amdhsa_reserve_flat_scratch 0
		.amdhsa_float_round_mode_32 0
		.amdhsa_float_round_mode_16_64 0
		.amdhsa_float_denorm_mode_32 3
		.amdhsa_float_denorm_mode_16_64 3
		.amdhsa_dx10_clamp 1
		.amdhsa_ieee_mode 1
		.amdhsa_fp16_overflow 0
		.amdhsa_tg_split 0
		.amdhsa_exception_fp_ieee_invalid_op 0
		.amdhsa_exception_fp_denorm_src 0
		.amdhsa_exception_fp_ieee_div_zero 0
		.amdhsa_exception_fp_ieee_overflow 0
		.amdhsa_exception_fp_ieee_underflow 0
		.amdhsa_exception_fp_ieee_inexact 0
		.amdhsa_exception_int_div_zero 0
	.end_amdhsa_kernel
	.section	.text._ZN7rocprim17ROCPRIM_400000_NS6detail17trampoline_kernelINS0_14default_configENS1_20scan_config_selectorIsEEZZNS1_9scan_implILNS1_25lookback_scan_determinismE0ELb0ELb0ES3_N6thrust23THRUST_200600_302600_NS6detail15normal_iteratorINS9_10device_ptrIsEEEENS9_16discard_iteratorINS9_11use_defaultEEEsNS9_4plusIvEEsEEDaPvRmT3_T4_T5_mT6_P12ihipStream_tbENKUlT_T0_E_clISt17integral_constantIbLb0EESW_IbLb1EEEEDaSS_ST_EUlSS_E0_NS1_11comp_targetILNS1_3genE10ELNS1_11target_archE1201ELNS1_3gpuE5ELNS1_3repE0EEENS1_30default_config_static_selectorELNS0_4arch9wavefront6targetE1EEEvT1_,"axG",@progbits,_ZN7rocprim17ROCPRIM_400000_NS6detail17trampoline_kernelINS0_14default_configENS1_20scan_config_selectorIsEEZZNS1_9scan_implILNS1_25lookback_scan_determinismE0ELb0ELb0ES3_N6thrust23THRUST_200600_302600_NS6detail15normal_iteratorINS9_10device_ptrIsEEEENS9_16discard_iteratorINS9_11use_defaultEEEsNS9_4plusIvEEsEEDaPvRmT3_T4_T5_mT6_P12ihipStream_tbENKUlT_T0_E_clISt17integral_constantIbLb0EESW_IbLb1EEEEDaSS_ST_EUlSS_E0_NS1_11comp_targetILNS1_3genE10ELNS1_11target_archE1201ELNS1_3gpuE5ELNS1_3repE0EEENS1_30default_config_static_selectorELNS0_4arch9wavefront6targetE1EEEvT1_,comdat
.Lfunc_end5938:
	.size	_ZN7rocprim17ROCPRIM_400000_NS6detail17trampoline_kernelINS0_14default_configENS1_20scan_config_selectorIsEEZZNS1_9scan_implILNS1_25lookback_scan_determinismE0ELb0ELb0ES3_N6thrust23THRUST_200600_302600_NS6detail15normal_iteratorINS9_10device_ptrIsEEEENS9_16discard_iteratorINS9_11use_defaultEEEsNS9_4plusIvEEsEEDaPvRmT3_T4_T5_mT6_P12ihipStream_tbENKUlT_T0_E_clISt17integral_constantIbLb0EESW_IbLb1EEEEDaSS_ST_EUlSS_E0_NS1_11comp_targetILNS1_3genE10ELNS1_11target_archE1201ELNS1_3gpuE5ELNS1_3repE0EEENS1_30default_config_static_selectorELNS0_4arch9wavefront6targetE1EEEvT1_, .Lfunc_end5938-_ZN7rocprim17ROCPRIM_400000_NS6detail17trampoline_kernelINS0_14default_configENS1_20scan_config_selectorIsEEZZNS1_9scan_implILNS1_25lookback_scan_determinismE0ELb0ELb0ES3_N6thrust23THRUST_200600_302600_NS6detail15normal_iteratorINS9_10device_ptrIsEEEENS9_16discard_iteratorINS9_11use_defaultEEEsNS9_4plusIvEEsEEDaPvRmT3_T4_T5_mT6_P12ihipStream_tbENKUlT_T0_E_clISt17integral_constantIbLb0EESW_IbLb1EEEEDaSS_ST_EUlSS_E0_NS1_11comp_targetILNS1_3genE10ELNS1_11target_archE1201ELNS1_3gpuE5ELNS1_3repE0EEENS1_30default_config_static_selectorELNS0_4arch9wavefront6targetE1EEEvT1_
                                        ; -- End function
	.section	.AMDGPU.csdata,"",@progbits
; Kernel info:
; codeLenInByte = 0
; NumSgprs: 4
; NumVgprs: 0
; NumAgprs: 0
; TotalNumVgprs: 0
; ScratchSize: 0
; MemoryBound: 0
; FloatMode: 240
; IeeeMode: 1
; LDSByteSize: 0 bytes/workgroup (compile time only)
; SGPRBlocks: 0
; VGPRBlocks: 0
; NumSGPRsForWavesPerEU: 4
; NumVGPRsForWavesPerEU: 1
; AccumOffset: 4
; Occupancy: 8
; WaveLimiterHint : 0
; COMPUTE_PGM_RSRC2:SCRATCH_EN: 0
; COMPUTE_PGM_RSRC2:USER_SGPR: 6
; COMPUTE_PGM_RSRC2:TRAP_HANDLER: 0
; COMPUTE_PGM_RSRC2:TGID_X_EN: 1
; COMPUTE_PGM_RSRC2:TGID_Y_EN: 0
; COMPUTE_PGM_RSRC2:TGID_Z_EN: 0
; COMPUTE_PGM_RSRC2:TIDIG_COMP_CNT: 0
; COMPUTE_PGM_RSRC3_GFX90A:ACCUM_OFFSET: 0
; COMPUTE_PGM_RSRC3_GFX90A:TG_SPLIT: 0
	.section	.text._ZN7rocprim17ROCPRIM_400000_NS6detail17trampoline_kernelINS0_14default_configENS1_20scan_config_selectorIsEEZZNS1_9scan_implILNS1_25lookback_scan_determinismE0ELb0ELb0ES3_N6thrust23THRUST_200600_302600_NS6detail15normal_iteratorINS9_10device_ptrIsEEEENS9_16discard_iteratorINS9_11use_defaultEEEsNS9_4plusIvEEsEEDaPvRmT3_T4_T5_mT6_P12ihipStream_tbENKUlT_T0_E_clISt17integral_constantIbLb0EESW_IbLb1EEEEDaSS_ST_EUlSS_E0_NS1_11comp_targetILNS1_3genE10ELNS1_11target_archE1200ELNS1_3gpuE4ELNS1_3repE0EEENS1_30default_config_static_selectorELNS0_4arch9wavefront6targetE1EEEvT1_,"axG",@progbits,_ZN7rocprim17ROCPRIM_400000_NS6detail17trampoline_kernelINS0_14default_configENS1_20scan_config_selectorIsEEZZNS1_9scan_implILNS1_25lookback_scan_determinismE0ELb0ELb0ES3_N6thrust23THRUST_200600_302600_NS6detail15normal_iteratorINS9_10device_ptrIsEEEENS9_16discard_iteratorINS9_11use_defaultEEEsNS9_4plusIvEEsEEDaPvRmT3_T4_T5_mT6_P12ihipStream_tbENKUlT_T0_E_clISt17integral_constantIbLb0EESW_IbLb1EEEEDaSS_ST_EUlSS_E0_NS1_11comp_targetILNS1_3genE10ELNS1_11target_archE1200ELNS1_3gpuE4ELNS1_3repE0EEENS1_30default_config_static_selectorELNS0_4arch9wavefront6targetE1EEEvT1_,comdat
	.protected	_ZN7rocprim17ROCPRIM_400000_NS6detail17trampoline_kernelINS0_14default_configENS1_20scan_config_selectorIsEEZZNS1_9scan_implILNS1_25lookback_scan_determinismE0ELb0ELb0ES3_N6thrust23THRUST_200600_302600_NS6detail15normal_iteratorINS9_10device_ptrIsEEEENS9_16discard_iteratorINS9_11use_defaultEEEsNS9_4plusIvEEsEEDaPvRmT3_T4_T5_mT6_P12ihipStream_tbENKUlT_T0_E_clISt17integral_constantIbLb0EESW_IbLb1EEEEDaSS_ST_EUlSS_E0_NS1_11comp_targetILNS1_3genE10ELNS1_11target_archE1200ELNS1_3gpuE4ELNS1_3repE0EEENS1_30default_config_static_selectorELNS0_4arch9wavefront6targetE1EEEvT1_ ; -- Begin function _ZN7rocprim17ROCPRIM_400000_NS6detail17trampoline_kernelINS0_14default_configENS1_20scan_config_selectorIsEEZZNS1_9scan_implILNS1_25lookback_scan_determinismE0ELb0ELb0ES3_N6thrust23THRUST_200600_302600_NS6detail15normal_iteratorINS9_10device_ptrIsEEEENS9_16discard_iteratorINS9_11use_defaultEEEsNS9_4plusIvEEsEEDaPvRmT3_T4_T5_mT6_P12ihipStream_tbENKUlT_T0_E_clISt17integral_constantIbLb0EESW_IbLb1EEEEDaSS_ST_EUlSS_E0_NS1_11comp_targetILNS1_3genE10ELNS1_11target_archE1200ELNS1_3gpuE4ELNS1_3repE0EEENS1_30default_config_static_selectorELNS0_4arch9wavefront6targetE1EEEvT1_
	.globl	_ZN7rocprim17ROCPRIM_400000_NS6detail17trampoline_kernelINS0_14default_configENS1_20scan_config_selectorIsEEZZNS1_9scan_implILNS1_25lookback_scan_determinismE0ELb0ELb0ES3_N6thrust23THRUST_200600_302600_NS6detail15normal_iteratorINS9_10device_ptrIsEEEENS9_16discard_iteratorINS9_11use_defaultEEEsNS9_4plusIvEEsEEDaPvRmT3_T4_T5_mT6_P12ihipStream_tbENKUlT_T0_E_clISt17integral_constantIbLb0EESW_IbLb1EEEEDaSS_ST_EUlSS_E0_NS1_11comp_targetILNS1_3genE10ELNS1_11target_archE1200ELNS1_3gpuE4ELNS1_3repE0EEENS1_30default_config_static_selectorELNS0_4arch9wavefront6targetE1EEEvT1_
	.p2align	8
	.type	_ZN7rocprim17ROCPRIM_400000_NS6detail17trampoline_kernelINS0_14default_configENS1_20scan_config_selectorIsEEZZNS1_9scan_implILNS1_25lookback_scan_determinismE0ELb0ELb0ES3_N6thrust23THRUST_200600_302600_NS6detail15normal_iteratorINS9_10device_ptrIsEEEENS9_16discard_iteratorINS9_11use_defaultEEEsNS9_4plusIvEEsEEDaPvRmT3_T4_T5_mT6_P12ihipStream_tbENKUlT_T0_E_clISt17integral_constantIbLb0EESW_IbLb1EEEEDaSS_ST_EUlSS_E0_NS1_11comp_targetILNS1_3genE10ELNS1_11target_archE1200ELNS1_3gpuE4ELNS1_3repE0EEENS1_30default_config_static_selectorELNS0_4arch9wavefront6targetE1EEEvT1_,@function
_ZN7rocprim17ROCPRIM_400000_NS6detail17trampoline_kernelINS0_14default_configENS1_20scan_config_selectorIsEEZZNS1_9scan_implILNS1_25lookback_scan_determinismE0ELb0ELb0ES3_N6thrust23THRUST_200600_302600_NS6detail15normal_iteratorINS9_10device_ptrIsEEEENS9_16discard_iteratorINS9_11use_defaultEEEsNS9_4plusIvEEsEEDaPvRmT3_T4_T5_mT6_P12ihipStream_tbENKUlT_T0_E_clISt17integral_constantIbLb0EESW_IbLb1EEEEDaSS_ST_EUlSS_E0_NS1_11comp_targetILNS1_3genE10ELNS1_11target_archE1200ELNS1_3gpuE4ELNS1_3repE0EEENS1_30default_config_static_selectorELNS0_4arch9wavefront6targetE1EEEvT1_: ; @_ZN7rocprim17ROCPRIM_400000_NS6detail17trampoline_kernelINS0_14default_configENS1_20scan_config_selectorIsEEZZNS1_9scan_implILNS1_25lookback_scan_determinismE0ELb0ELb0ES3_N6thrust23THRUST_200600_302600_NS6detail15normal_iteratorINS9_10device_ptrIsEEEENS9_16discard_iteratorINS9_11use_defaultEEEsNS9_4plusIvEEsEEDaPvRmT3_T4_T5_mT6_P12ihipStream_tbENKUlT_T0_E_clISt17integral_constantIbLb0EESW_IbLb1EEEEDaSS_ST_EUlSS_E0_NS1_11comp_targetILNS1_3genE10ELNS1_11target_archE1200ELNS1_3gpuE4ELNS1_3repE0EEENS1_30default_config_static_selectorELNS0_4arch9wavefront6targetE1EEEvT1_
; %bb.0:
	.section	.rodata,"a",@progbits
	.p2align	6, 0x0
	.amdhsa_kernel _ZN7rocprim17ROCPRIM_400000_NS6detail17trampoline_kernelINS0_14default_configENS1_20scan_config_selectorIsEEZZNS1_9scan_implILNS1_25lookback_scan_determinismE0ELb0ELb0ES3_N6thrust23THRUST_200600_302600_NS6detail15normal_iteratorINS9_10device_ptrIsEEEENS9_16discard_iteratorINS9_11use_defaultEEEsNS9_4plusIvEEsEEDaPvRmT3_T4_T5_mT6_P12ihipStream_tbENKUlT_T0_E_clISt17integral_constantIbLb0EESW_IbLb1EEEEDaSS_ST_EUlSS_E0_NS1_11comp_targetILNS1_3genE10ELNS1_11target_archE1200ELNS1_3gpuE4ELNS1_3repE0EEENS1_30default_config_static_selectorELNS0_4arch9wavefront6targetE1EEEvT1_
		.amdhsa_group_segment_fixed_size 0
		.amdhsa_private_segment_fixed_size 0
		.amdhsa_kernarg_size 40
		.amdhsa_user_sgpr_count 6
		.amdhsa_user_sgpr_private_segment_buffer 1
		.amdhsa_user_sgpr_dispatch_ptr 0
		.amdhsa_user_sgpr_queue_ptr 0
		.amdhsa_user_sgpr_kernarg_segment_ptr 1
		.amdhsa_user_sgpr_dispatch_id 0
		.amdhsa_user_sgpr_flat_scratch_init 0
		.amdhsa_user_sgpr_kernarg_preload_length 0
		.amdhsa_user_sgpr_kernarg_preload_offset 0
		.amdhsa_user_sgpr_private_segment_size 0
		.amdhsa_uses_dynamic_stack 0
		.amdhsa_system_sgpr_private_segment_wavefront_offset 0
		.amdhsa_system_sgpr_workgroup_id_x 1
		.amdhsa_system_sgpr_workgroup_id_y 0
		.amdhsa_system_sgpr_workgroup_id_z 0
		.amdhsa_system_sgpr_workgroup_info 0
		.amdhsa_system_vgpr_workitem_id 0
		.amdhsa_next_free_vgpr 1
		.amdhsa_next_free_sgpr 0
		.amdhsa_accum_offset 4
		.amdhsa_reserve_vcc 0
		.amdhsa_reserve_flat_scratch 0
		.amdhsa_float_round_mode_32 0
		.amdhsa_float_round_mode_16_64 0
		.amdhsa_float_denorm_mode_32 3
		.amdhsa_float_denorm_mode_16_64 3
		.amdhsa_dx10_clamp 1
		.amdhsa_ieee_mode 1
		.amdhsa_fp16_overflow 0
		.amdhsa_tg_split 0
		.amdhsa_exception_fp_ieee_invalid_op 0
		.amdhsa_exception_fp_denorm_src 0
		.amdhsa_exception_fp_ieee_div_zero 0
		.amdhsa_exception_fp_ieee_overflow 0
		.amdhsa_exception_fp_ieee_underflow 0
		.amdhsa_exception_fp_ieee_inexact 0
		.amdhsa_exception_int_div_zero 0
	.end_amdhsa_kernel
	.section	.text._ZN7rocprim17ROCPRIM_400000_NS6detail17trampoline_kernelINS0_14default_configENS1_20scan_config_selectorIsEEZZNS1_9scan_implILNS1_25lookback_scan_determinismE0ELb0ELb0ES3_N6thrust23THRUST_200600_302600_NS6detail15normal_iteratorINS9_10device_ptrIsEEEENS9_16discard_iteratorINS9_11use_defaultEEEsNS9_4plusIvEEsEEDaPvRmT3_T4_T5_mT6_P12ihipStream_tbENKUlT_T0_E_clISt17integral_constantIbLb0EESW_IbLb1EEEEDaSS_ST_EUlSS_E0_NS1_11comp_targetILNS1_3genE10ELNS1_11target_archE1200ELNS1_3gpuE4ELNS1_3repE0EEENS1_30default_config_static_selectorELNS0_4arch9wavefront6targetE1EEEvT1_,"axG",@progbits,_ZN7rocprim17ROCPRIM_400000_NS6detail17trampoline_kernelINS0_14default_configENS1_20scan_config_selectorIsEEZZNS1_9scan_implILNS1_25lookback_scan_determinismE0ELb0ELb0ES3_N6thrust23THRUST_200600_302600_NS6detail15normal_iteratorINS9_10device_ptrIsEEEENS9_16discard_iteratorINS9_11use_defaultEEEsNS9_4plusIvEEsEEDaPvRmT3_T4_T5_mT6_P12ihipStream_tbENKUlT_T0_E_clISt17integral_constantIbLb0EESW_IbLb1EEEEDaSS_ST_EUlSS_E0_NS1_11comp_targetILNS1_3genE10ELNS1_11target_archE1200ELNS1_3gpuE4ELNS1_3repE0EEENS1_30default_config_static_selectorELNS0_4arch9wavefront6targetE1EEEvT1_,comdat
.Lfunc_end5939:
	.size	_ZN7rocprim17ROCPRIM_400000_NS6detail17trampoline_kernelINS0_14default_configENS1_20scan_config_selectorIsEEZZNS1_9scan_implILNS1_25lookback_scan_determinismE0ELb0ELb0ES3_N6thrust23THRUST_200600_302600_NS6detail15normal_iteratorINS9_10device_ptrIsEEEENS9_16discard_iteratorINS9_11use_defaultEEEsNS9_4plusIvEEsEEDaPvRmT3_T4_T5_mT6_P12ihipStream_tbENKUlT_T0_E_clISt17integral_constantIbLb0EESW_IbLb1EEEEDaSS_ST_EUlSS_E0_NS1_11comp_targetILNS1_3genE10ELNS1_11target_archE1200ELNS1_3gpuE4ELNS1_3repE0EEENS1_30default_config_static_selectorELNS0_4arch9wavefront6targetE1EEEvT1_, .Lfunc_end5939-_ZN7rocprim17ROCPRIM_400000_NS6detail17trampoline_kernelINS0_14default_configENS1_20scan_config_selectorIsEEZZNS1_9scan_implILNS1_25lookback_scan_determinismE0ELb0ELb0ES3_N6thrust23THRUST_200600_302600_NS6detail15normal_iteratorINS9_10device_ptrIsEEEENS9_16discard_iteratorINS9_11use_defaultEEEsNS9_4plusIvEEsEEDaPvRmT3_T4_T5_mT6_P12ihipStream_tbENKUlT_T0_E_clISt17integral_constantIbLb0EESW_IbLb1EEEEDaSS_ST_EUlSS_E0_NS1_11comp_targetILNS1_3genE10ELNS1_11target_archE1200ELNS1_3gpuE4ELNS1_3repE0EEENS1_30default_config_static_selectorELNS0_4arch9wavefront6targetE1EEEvT1_
                                        ; -- End function
	.section	.AMDGPU.csdata,"",@progbits
; Kernel info:
; codeLenInByte = 0
; NumSgprs: 4
; NumVgprs: 0
; NumAgprs: 0
; TotalNumVgprs: 0
; ScratchSize: 0
; MemoryBound: 0
; FloatMode: 240
; IeeeMode: 1
; LDSByteSize: 0 bytes/workgroup (compile time only)
; SGPRBlocks: 0
; VGPRBlocks: 0
; NumSGPRsForWavesPerEU: 4
; NumVGPRsForWavesPerEU: 1
; AccumOffset: 4
; Occupancy: 8
; WaveLimiterHint : 0
; COMPUTE_PGM_RSRC2:SCRATCH_EN: 0
; COMPUTE_PGM_RSRC2:USER_SGPR: 6
; COMPUTE_PGM_RSRC2:TRAP_HANDLER: 0
; COMPUTE_PGM_RSRC2:TGID_X_EN: 1
; COMPUTE_PGM_RSRC2:TGID_Y_EN: 0
; COMPUTE_PGM_RSRC2:TGID_Z_EN: 0
; COMPUTE_PGM_RSRC2:TIDIG_COMP_CNT: 0
; COMPUTE_PGM_RSRC3_GFX90A:ACCUM_OFFSET: 0
; COMPUTE_PGM_RSRC3_GFX90A:TG_SPLIT: 0
	.section	.text._ZN7rocprim17ROCPRIM_400000_NS6detail17trampoline_kernelINS0_14default_configENS1_20scan_config_selectorIsEEZZNS1_9scan_implILNS1_25lookback_scan_determinismE0ELb0ELb0ES3_N6thrust23THRUST_200600_302600_NS6detail15normal_iteratorINS9_10device_ptrIsEEEENS9_16discard_iteratorINS9_11use_defaultEEEsNS9_4plusIvEEsEEDaPvRmT3_T4_T5_mT6_P12ihipStream_tbENKUlT_T0_E_clISt17integral_constantIbLb0EESW_IbLb1EEEEDaSS_ST_EUlSS_E0_NS1_11comp_targetILNS1_3genE9ELNS1_11target_archE1100ELNS1_3gpuE3ELNS1_3repE0EEENS1_30default_config_static_selectorELNS0_4arch9wavefront6targetE1EEEvT1_,"axG",@progbits,_ZN7rocprim17ROCPRIM_400000_NS6detail17trampoline_kernelINS0_14default_configENS1_20scan_config_selectorIsEEZZNS1_9scan_implILNS1_25lookback_scan_determinismE0ELb0ELb0ES3_N6thrust23THRUST_200600_302600_NS6detail15normal_iteratorINS9_10device_ptrIsEEEENS9_16discard_iteratorINS9_11use_defaultEEEsNS9_4plusIvEEsEEDaPvRmT3_T4_T5_mT6_P12ihipStream_tbENKUlT_T0_E_clISt17integral_constantIbLb0EESW_IbLb1EEEEDaSS_ST_EUlSS_E0_NS1_11comp_targetILNS1_3genE9ELNS1_11target_archE1100ELNS1_3gpuE3ELNS1_3repE0EEENS1_30default_config_static_selectorELNS0_4arch9wavefront6targetE1EEEvT1_,comdat
	.protected	_ZN7rocprim17ROCPRIM_400000_NS6detail17trampoline_kernelINS0_14default_configENS1_20scan_config_selectorIsEEZZNS1_9scan_implILNS1_25lookback_scan_determinismE0ELb0ELb0ES3_N6thrust23THRUST_200600_302600_NS6detail15normal_iteratorINS9_10device_ptrIsEEEENS9_16discard_iteratorINS9_11use_defaultEEEsNS9_4plusIvEEsEEDaPvRmT3_T4_T5_mT6_P12ihipStream_tbENKUlT_T0_E_clISt17integral_constantIbLb0EESW_IbLb1EEEEDaSS_ST_EUlSS_E0_NS1_11comp_targetILNS1_3genE9ELNS1_11target_archE1100ELNS1_3gpuE3ELNS1_3repE0EEENS1_30default_config_static_selectorELNS0_4arch9wavefront6targetE1EEEvT1_ ; -- Begin function _ZN7rocprim17ROCPRIM_400000_NS6detail17trampoline_kernelINS0_14default_configENS1_20scan_config_selectorIsEEZZNS1_9scan_implILNS1_25lookback_scan_determinismE0ELb0ELb0ES3_N6thrust23THRUST_200600_302600_NS6detail15normal_iteratorINS9_10device_ptrIsEEEENS9_16discard_iteratorINS9_11use_defaultEEEsNS9_4plusIvEEsEEDaPvRmT3_T4_T5_mT6_P12ihipStream_tbENKUlT_T0_E_clISt17integral_constantIbLb0EESW_IbLb1EEEEDaSS_ST_EUlSS_E0_NS1_11comp_targetILNS1_3genE9ELNS1_11target_archE1100ELNS1_3gpuE3ELNS1_3repE0EEENS1_30default_config_static_selectorELNS0_4arch9wavefront6targetE1EEEvT1_
	.globl	_ZN7rocprim17ROCPRIM_400000_NS6detail17trampoline_kernelINS0_14default_configENS1_20scan_config_selectorIsEEZZNS1_9scan_implILNS1_25lookback_scan_determinismE0ELb0ELb0ES3_N6thrust23THRUST_200600_302600_NS6detail15normal_iteratorINS9_10device_ptrIsEEEENS9_16discard_iteratorINS9_11use_defaultEEEsNS9_4plusIvEEsEEDaPvRmT3_T4_T5_mT6_P12ihipStream_tbENKUlT_T0_E_clISt17integral_constantIbLb0EESW_IbLb1EEEEDaSS_ST_EUlSS_E0_NS1_11comp_targetILNS1_3genE9ELNS1_11target_archE1100ELNS1_3gpuE3ELNS1_3repE0EEENS1_30default_config_static_selectorELNS0_4arch9wavefront6targetE1EEEvT1_
	.p2align	8
	.type	_ZN7rocprim17ROCPRIM_400000_NS6detail17trampoline_kernelINS0_14default_configENS1_20scan_config_selectorIsEEZZNS1_9scan_implILNS1_25lookback_scan_determinismE0ELb0ELb0ES3_N6thrust23THRUST_200600_302600_NS6detail15normal_iteratorINS9_10device_ptrIsEEEENS9_16discard_iteratorINS9_11use_defaultEEEsNS9_4plusIvEEsEEDaPvRmT3_T4_T5_mT6_P12ihipStream_tbENKUlT_T0_E_clISt17integral_constantIbLb0EESW_IbLb1EEEEDaSS_ST_EUlSS_E0_NS1_11comp_targetILNS1_3genE9ELNS1_11target_archE1100ELNS1_3gpuE3ELNS1_3repE0EEENS1_30default_config_static_selectorELNS0_4arch9wavefront6targetE1EEEvT1_,@function
_ZN7rocprim17ROCPRIM_400000_NS6detail17trampoline_kernelINS0_14default_configENS1_20scan_config_selectorIsEEZZNS1_9scan_implILNS1_25lookback_scan_determinismE0ELb0ELb0ES3_N6thrust23THRUST_200600_302600_NS6detail15normal_iteratorINS9_10device_ptrIsEEEENS9_16discard_iteratorINS9_11use_defaultEEEsNS9_4plusIvEEsEEDaPvRmT3_T4_T5_mT6_P12ihipStream_tbENKUlT_T0_E_clISt17integral_constantIbLb0EESW_IbLb1EEEEDaSS_ST_EUlSS_E0_NS1_11comp_targetILNS1_3genE9ELNS1_11target_archE1100ELNS1_3gpuE3ELNS1_3repE0EEENS1_30default_config_static_selectorELNS0_4arch9wavefront6targetE1EEEvT1_: ; @_ZN7rocprim17ROCPRIM_400000_NS6detail17trampoline_kernelINS0_14default_configENS1_20scan_config_selectorIsEEZZNS1_9scan_implILNS1_25lookback_scan_determinismE0ELb0ELb0ES3_N6thrust23THRUST_200600_302600_NS6detail15normal_iteratorINS9_10device_ptrIsEEEENS9_16discard_iteratorINS9_11use_defaultEEEsNS9_4plusIvEEsEEDaPvRmT3_T4_T5_mT6_P12ihipStream_tbENKUlT_T0_E_clISt17integral_constantIbLb0EESW_IbLb1EEEEDaSS_ST_EUlSS_E0_NS1_11comp_targetILNS1_3genE9ELNS1_11target_archE1100ELNS1_3gpuE3ELNS1_3repE0EEENS1_30default_config_static_selectorELNS0_4arch9wavefront6targetE1EEEvT1_
; %bb.0:
	.section	.rodata,"a",@progbits
	.p2align	6, 0x0
	.amdhsa_kernel _ZN7rocprim17ROCPRIM_400000_NS6detail17trampoline_kernelINS0_14default_configENS1_20scan_config_selectorIsEEZZNS1_9scan_implILNS1_25lookback_scan_determinismE0ELb0ELb0ES3_N6thrust23THRUST_200600_302600_NS6detail15normal_iteratorINS9_10device_ptrIsEEEENS9_16discard_iteratorINS9_11use_defaultEEEsNS9_4plusIvEEsEEDaPvRmT3_T4_T5_mT6_P12ihipStream_tbENKUlT_T0_E_clISt17integral_constantIbLb0EESW_IbLb1EEEEDaSS_ST_EUlSS_E0_NS1_11comp_targetILNS1_3genE9ELNS1_11target_archE1100ELNS1_3gpuE3ELNS1_3repE0EEENS1_30default_config_static_selectorELNS0_4arch9wavefront6targetE1EEEvT1_
		.amdhsa_group_segment_fixed_size 0
		.amdhsa_private_segment_fixed_size 0
		.amdhsa_kernarg_size 40
		.amdhsa_user_sgpr_count 6
		.amdhsa_user_sgpr_private_segment_buffer 1
		.amdhsa_user_sgpr_dispatch_ptr 0
		.amdhsa_user_sgpr_queue_ptr 0
		.amdhsa_user_sgpr_kernarg_segment_ptr 1
		.amdhsa_user_sgpr_dispatch_id 0
		.amdhsa_user_sgpr_flat_scratch_init 0
		.amdhsa_user_sgpr_kernarg_preload_length 0
		.amdhsa_user_sgpr_kernarg_preload_offset 0
		.amdhsa_user_sgpr_private_segment_size 0
		.amdhsa_uses_dynamic_stack 0
		.amdhsa_system_sgpr_private_segment_wavefront_offset 0
		.amdhsa_system_sgpr_workgroup_id_x 1
		.amdhsa_system_sgpr_workgroup_id_y 0
		.amdhsa_system_sgpr_workgroup_id_z 0
		.amdhsa_system_sgpr_workgroup_info 0
		.amdhsa_system_vgpr_workitem_id 0
		.amdhsa_next_free_vgpr 1
		.amdhsa_next_free_sgpr 0
		.amdhsa_accum_offset 4
		.amdhsa_reserve_vcc 0
		.amdhsa_reserve_flat_scratch 0
		.amdhsa_float_round_mode_32 0
		.amdhsa_float_round_mode_16_64 0
		.amdhsa_float_denorm_mode_32 3
		.amdhsa_float_denorm_mode_16_64 3
		.amdhsa_dx10_clamp 1
		.amdhsa_ieee_mode 1
		.amdhsa_fp16_overflow 0
		.amdhsa_tg_split 0
		.amdhsa_exception_fp_ieee_invalid_op 0
		.amdhsa_exception_fp_denorm_src 0
		.amdhsa_exception_fp_ieee_div_zero 0
		.amdhsa_exception_fp_ieee_overflow 0
		.amdhsa_exception_fp_ieee_underflow 0
		.amdhsa_exception_fp_ieee_inexact 0
		.amdhsa_exception_int_div_zero 0
	.end_amdhsa_kernel
	.section	.text._ZN7rocprim17ROCPRIM_400000_NS6detail17trampoline_kernelINS0_14default_configENS1_20scan_config_selectorIsEEZZNS1_9scan_implILNS1_25lookback_scan_determinismE0ELb0ELb0ES3_N6thrust23THRUST_200600_302600_NS6detail15normal_iteratorINS9_10device_ptrIsEEEENS9_16discard_iteratorINS9_11use_defaultEEEsNS9_4plusIvEEsEEDaPvRmT3_T4_T5_mT6_P12ihipStream_tbENKUlT_T0_E_clISt17integral_constantIbLb0EESW_IbLb1EEEEDaSS_ST_EUlSS_E0_NS1_11comp_targetILNS1_3genE9ELNS1_11target_archE1100ELNS1_3gpuE3ELNS1_3repE0EEENS1_30default_config_static_selectorELNS0_4arch9wavefront6targetE1EEEvT1_,"axG",@progbits,_ZN7rocprim17ROCPRIM_400000_NS6detail17trampoline_kernelINS0_14default_configENS1_20scan_config_selectorIsEEZZNS1_9scan_implILNS1_25lookback_scan_determinismE0ELb0ELb0ES3_N6thrust23THRUST_200600_302600_NS6detail15normal_iteratorINS9_10device_ptrIsEEEENS9_16discard_iteratorINS9_11use_defaultEEEsNS9_4plusIvEEsEEDaPvRmT3_T4_T5_mT6_P12ihipStream_tbENKUlT_T0_E_clISt17integral_constantIbLb0EESW_IbLb1EEEEDaSS_ST_EUlSS_E0_NS1_11comp_targetILNS1_3genE9ELNS1_11target_archE1100ELNS1_3gpuE3ELNS1_3repE0EEENS1_30default_config_static_selectorELNS0_4arch9wavefront6targetE1EEEvT1_,comdat
.Lfunc_end5940:
	.size	_ZN7rocprim17ROCPRIM_400000_NS6detail17trampoline_kernelINS0_14default_configENS1_20scan_config_selectorIsEEZZNS1_9scan_implILNS1_25lookback_scan_determinismE0ELb0ELb0ES3_N6thrust23THRUST_200600_302600_NS6detail15normal_iteratorINS9_10device_ptrIsEEEENS9_16discard_iteratorINS9_11use_defaultEEEsNS9_4plusIvEEsEEDaPvRmT3_T4_T5_mT6_P12ihipStream_tbENKUlT_T0_E_clISt17integral_constantIbLb0EESW_IbLb1EEEEDaSS_ST_EUlSS_E0_NS1_11comp_targetILNS1_3genE9ELNS1_11target_archE1100ELNS1_3gpuE3ELNS1_3repE0EEENS1_30default_config_static_selectorELNS0_4arch9wavefront6targetE1EEEvT1_, .Lfunc_end5940-_ZN7rocprim17ROCPRIM_400000_NS6detail17trampoline_kernelINS0_14default_configENS1_20scan_config_selectorIsEEZZNS1_9scan_implILNS1_25lookback_scan_determinismE0ELb0ELb0ES3_N6thrust23THRUST_200600_302600_NS6detail15normal_iteratorINS9_10device_ptrIsEEEENS9_16discard_iteratorINS9_11use_defaultEEEsNS9_4plusIvEEsEEDaPvRmT3_T4_T5_mT6_P12ihipStream_tbENKUlT_T0_E_clISt17integral_constantIbLb0EESW_IbLb1EEEEDaSS_ST_EUlSS_E0_NS1_11comp_targetILNS1_3genE9ELNS1_11target_archE1100ELNS1_3gpuE3ELNS1_3repE0EEENS1_30default_config_static_selectorELNS0_4arch9wavefront6targetE1EEEvT1_
                                        ; -- End function
	.section	.AMDGPU.csdata,"",@progbits
; Kernel info:
; codeLenInByte = 0
; NumSgprs: 4
; NumVgprs: 0
; NumAgprs: 0
; TotalNumVgprs: 0
; ScratchSize: 0
; MemoryBound: 0
; FloatMode: 240
; IeeeMode: 1
; LDSByteSize: 0 bytes/workgroup (compile time only)
; SGPRBlocks: 0
; VGPRBlocks: 0
; NumSGPRsForWavesPerEU: 4
; NumVGPRsForWavesPerEU: 1
; AccumOffset: 4
; Occupancy: 8
; WaveLimiterHint : 0
; COMPUTE_PGM_RSRC2:SCRATCH_EN: 0
; COMPUTE_PGM_RSRC2:USER_SGPR: 6
; COMPUTE_PGM_RSRC2:TRAP_HANDLER: 0
; COMPUTE_PGM_RSRC2:TGID_X_EN: 1
; COMPUTE_PGM_RSRC2:TGID_Y_EN: 0
; COMPUTE_PGM_RSRC2:TGID_Z_EN: 0
; COMPUTE_PGM_RSRC2:TIDIG_COMP_CNT: 0
; COMPUTE_PGM_RSRC3_GFX90A:ACCUM_OFFSET: 0
; COMPUTE_PGM_RSRC3_GFX90A:TG_SPLIT: 0
	.section	.text._ZN7rocprim17ROCPRIM_400000_NS6detail17trampoline_kernelINS0_14default_configENS1_20scan_config_selectorIsEEZZNS1_9scan_implILNS1_25lookback_scan_determinismE0ELb0ELb0ES3_N6thrust23THRUST_200600_302600_NS6detail15normal_iteratorINS9_10device_ptrIsEEEENS9_16discard_iteratorINS9_11use_defaultEEEsNS9_4plusIvEEsEEDaPvRmT3_T4_T5_mT6_P12ihipStream_tbENKUlT_T0_E_clISt17integral_constantIbLb0EESW_IbLb1EEEEDaSS_ST_EUlSS_E0_NS1_11comp_targetILNS1_3genE8ELNS1_11target_archE1030ELNS1_3gpuE2ELNS1_3repE0EEENS1_30default_config_static_selectorELNS0_4arch9wavefront6targetE1EEEvT1_,"axG",@progbits,_ZN7rocprim17ROCPRIM_400000_NS6detail17trampoline_kernelINS0_14default_configENS1_20scan_config_selectorIsEEZZNS1_9scan_implILNS1_25lookback_scan_determinismE0ELb0ELb0ES3_N6thrust23THRUST_200600_302600_NS6detail15normal_iteratorINS9_10device_ptrIsEEEENS9_16discard_iteratorINS9_11use_defaultEEEsNS9_4plusIvEEsEEDaPvRmT3_T4_T5_mT6_P12ihipStream_tbENKUlT_T0_E_clISt17integral_constantIbLb0EESW_IbLb1EEEEDaSS_ST_EUlSS_E0_NS1_11comp_targetILNS1_3genE8ELNS1_11target_archE1030ELNS1_3gpuE2ELNS1_3repE0EEENS1_30default_config_static_selectorELNS0_4arch9wavefront6targetE1EEEvT1_,comdat
	.protected	_ZN7rocprim17ROCPRIM_400000_NS6detail17trampoline_kernelINS0_14default_configENS1_20scan_config_selectorIsEEZZNS1_9scan_implILNS1_25lookback_scan_determinismE0ELb0ELb0ES3_N6thrust23THRUST_200600_302600_NS6detail15normal_iteratorINS9_10device_ptrIsEEEENS9_16discard_iteratorINS9_11use_defaultEEEsNS9_4plusIvEEsEEDaPvRmT3_T4_T5_mT6_P12ihipStream_tbENKUlT_T0_E_clISt17integral_constantIbLb0EESW_IbLb1EEEEDaSS_ST_EUlSS_E0_NS1_11comp_targetILNS1_3genE8ELNS1_11target_archE1030ELNS1_3gpuE2ELNS1_3repE0EEENS1_30default_config_static_selectorELNS0_4arch9wavefront6targetE1EEEvT1_ ; -- Begin function _ZN7rocprim17ROCPRIM_400000_NS6detail17trampoline_kernelINS0_14default_configENS1_20scan_config_selectorIsEEZZNS1_9scan_implILNS1_25lookback_scan_determinismE0ELb0ELb0ES3_N6thrust23THRUST_200600_302600_NS6detail15normal_iteratorINS9_10device_ptrIsEEEENS9_16discard_iteratorINS9_11use_defaultEEEsNS9_4plusIvEEsEEDaPvRmT3_T4_T5_mT6_P12ihipStream_tbENKUlT_T0_E_clISt17integral_constantIbLb0EESW_IbLb1EEEEDaSS_ST_EUlSS_E0_NS1_11comp_targetILNS1_3genE8ELNS1_11target_archE1030ELNS1_3gpuE2ELNS1_3repE0EEENS1_30default_config_static_selectorELNS0_4arch9wavefront6targetE1EEEvT1_
	.globl	_ZN7rocprim17ROCPRIM_400000_NS6detail17trampoline_kernelINS0_14default_configENS1_20scan_config_selectorIsEEZZNS1_9scan_implILNS1_25lookback_scan_determinismE0ELb0ELb0ES3_N6thrust23THRUST_200600_302600_NS6detail15normal_iteratorINS9_10device_ptrIsEEEENS9_16discard_iteratorINS9_11use_defaultEEEsNS9_4plusIvEEsEEDaPvRmT3_T4_T5_mT6_P12ihipStream_tbENKUlT_T0_E_clISt17integral_constantIbLb0EESW_IbLb1EEEEDaSS_ST_EUlSS_E0_NS1_11comp_targetILNS1_3genE8ELNS1_11target_archE1030ELNS1_3gpuE2ELNS1_3repE0EEENS1_30default_config_static_selectorELNS0_4arch9wavefront6targetE1EEEvT1_
	.p2align	8
	.type	_ZN7rocprim17ROCPRIM_400000_NS6detail17trampoline_kernelINS0_14default_configENS1_20scan_config_selectorIsEEZZNS1_9scan_implILNS1_25lookback_scan_determinismE0ELb0ELb0ES3_N6thrust23THRUST_200600_302600_NS6detail15normal_iteratorINS9_10device_ptrIsEEEENS9_16discard_iteratorINS9_11use_defaultEEEsNS9_4plusIvEEsEEDaPvRmT3_T4_T5_mT6_P12ihipStream_tbENKUlT_T0_E_clISt17integral_constantIbLb0EESW_IbLb1EEEEDaSS_ST_EUlSS_E0_NS1_11comp_targetILNS1_3genE8ELNS1_11target_archE1030ELNS1_3gpuE2ELNS1_3repE0EEENS1_30default_config_static_selectorELNS0_4arch9wavefront6targetE1EEEvT1_,@function
_ZN7rocprim17ROCPRIM_400000_NS6detail17trampoline_kernelINS0_14default_configENS1_20scan_config_selectorIsEEZZNS1_9scan_implILNS1_25lookback_scan_determinismE0ELb0ELb0ES3_N6thrust23THRUST_200600_302600_NS6detail15normal_iteratorINS9_10device_ptrIsEEEENS9_16discard_iteratorINS9_11use_defaultEEEsNS9_4plusIvEEsEEDaPvRmT3_T4_T5_mT6_P12ihipStream_tbENKUlT_T0_E_clISt17integral_constantIbLb0EESW_IbLb1EEEEDaSS_ST_EUlSS_E0_NS1_11comp_targetILNS1_3genE8ELNS1_11target_archE1030ELNS1_3gpuE2ELNS1_3repE0EEENS1_30default_config_static_selectorELNS0_4arch9wavefront6targetE1EEEvT1_: ; @_ZN7rocprim17ROCPRIM_400000_NS6detail17trampoline_kernelINS0_14default_configENS1_20scan_config_selectorIsEEZZNS1_9scan_implILNS1_25lookback_scan_determinismE0ELb0ELb0ES3_N6thrust23THRUST_200600_302600_NS6detail15normal_iteratorINS9_10device_ptrIsEEEENS9_16discard_iteratorINS9_11use_defaultEEEsNS9_4plusIvEEsEEDaPvRmT3_T4_T5_mT6_P12ihipStream_tbENKUlT_T0_E_clISt17integral_constantIbLb0EESW_IbLb1EEEEDaSS_ST_EUlSS_E0_NS1_11comp_targetILNS1_3genE8ELNS1_11target_archE1030ELNS1_3gpuE2ELNS1_3repE0EEENS1_30default_config_static_selectorELNS0_4arch9wavefront6targetE1EEEvT1_
; %bb.0:
	.section	.rodata,"a",@progbits
	.p2align	6, 0x0
	.amdhsa_kernel _ZN7rocprim17ROCPRIM_400000_NS6detail17trampoline_kernelINS0_14default_configENS1_20scan_config_selectorIsEEZZNS1_9scan_implILNS1_25lookback_scan_determinismE0ELb0ELb0ES3_N6thrust23THRUST_200600_302600_NS6detail15normal_iteratorINS9_10device_ptrIsEEEENS9_16discard_iteratorINS9_11use_defaultEEEsNS9_4plusIvEEsEEDaPvRmT3_T4_T5_mT6_P12ihipStream_tbENKUlT_T0_E_clISt17integral_constantIbLb0EESW_IbLb1EEEEDaSS_ST_EUlSS_E0_NS1_11comp_targetILNS1_3genE8ELNS1_11target_archE1030ELNS1_3gpuE2ELNS1_3repE0EEENS1_30default_config_static_selectorELNS0_4arch9wavefront6targetE1EEEvT1_
		.amdhsa_group_segment_fixed_size 0
		.amdhsa_private_segment_fixed_size 0
		.amdhsa_kernarg_size 40
		.amdhsa_user_sgpr_count 6
		.amdhsa_user_sgpr_private_segment_buffer 1
		.amdhsa_user_sgpr_dispatch_ptr 0
		.amdhsa_user_sgpr_queue_ptr 0
		.amdhsa_user_sgpr_kernarg_segment_ptr 1
		.amdhsa_user_sgpr_dispatch_id 0
		.amdhsa_user_sgpr_flat_scratch_init 0
		.amdhsa_user_sgpr_kernarg_preload_length 0
		.amdhsa_user_sgpr_kernarg_preload_offset 0
		.amdhsa_user_sgpr_private_segment_size 0
		.amdhsa_uses_dynamic_stack 0
		.amdhsa_system_sgpr_private_segment_wavefront_offset 0
		.amdhsa_system_sgpr_workgroup_id_x 1
		.amdhsa_system_sgpr_workgroup_id_y 0
		.amdhsa_system_sgpr_workgroup_id_z 0
		.amdhsa_system_sgpr_workgroup_info 0
		.amdhsa_system_vgpr_workitem_id 0
		.amdhsa_next_free_vgpr 1
		.amdhsa_next_free_sgpr 0
		.amdhsa_accum_offset 4
		.amdhsa_reserve_vcc 0
		.amdhsa_reserve_flat_scratch 0
		.amdhsa_float_round_mode_32 0
		.amdhsa_float_round_mode_16_64 0
		.amdhsa_float_denorm_mode_32 3
		.amdhsa_float_denorm_mode_16_64 3
		.amdhsa_dx10_clamp 1
		.amdhsa_ieee_mode 1
		.amdhsa_fp16_overflow 0
		.amdhsa_tg_split 0
		.amdhsa_exception_fp_ieee_invalid_op 0
		.amdhsa_exception_fp_denorm_src 0
		.amdhsa_exception_fp_ieee_div_zero 0
		.amdhsa_exception_fp_ieee_overflow 0
		.amdhsa_exception_fp_ieee_underflow 0
		.amdhsa_exception_fp_ieee_inexact 0
		.amdhsa_exception_int_div_zero 0
	.end_amdhsa_kernel
	.section	.text._ZN7rocprim17ROCPRIM_400000_NS6detail17trampoline_kernelINS0_14default_configENS1_20scan_config_selectorIsEEZZNS1_9scan_implILNS1_25lookback_scan_determinismE0ELb0ELb0ES3_N6thrust23THRUST_200600_302600_NS6detail15normal_iteratorINS9_10device_ptrIsEEEENS9_16discard_iteratorINS9_11use_defaultEEEsNS9_4plusIvEEsEEDaPvRmT3_T4_T5_mT6_P12ihipStream_tbENKUlT_T0_E_clISt17integral_constantIbLb0EESW_IbLb1EEEEDaSS_ST_EUlSS_E0_NS1_11comp_targetILNS1_3genE8ELNS1_11target_archE1030ELNS1_3gpuE2ELNS1_3repE0EEENS1_30default_config_static_selectorELNS0_4arch9wavefront6targetE1EEEvT1_,"axG",@progbits,_ZN7rocprim17ROCPRIM_400000_NS6detail17trampoline_kernelINS0_14default_configENS1_20scan_config_selectorIsEEZZNS1_9scan_implILNS1_25lookback_scan_determinismE0ELb0ELb0ES3_N6thrust23THRUST_200600_302600_NS6detail15normal_iteratorINS9_10device_ptrIsEEEENS9_16discard_iteratorINS9_11use_defaultEEEsNS9_4plusIvEEsEEDaPvRmT3_T4_T5_mT6_P12ihipStream_tbENKUlT_T0_E_clISt17integral_constantIbLb0EESW_IbLb1EEEEDaSS_ST_EUlSS_E0_NS1_11comp_targetILNS1_3genE8ELNS1_11target_archE1030ELNS1_3gpuE2ELNS1_3repE0EEENS1_30default_config_static_selectorELNS0_4arch9wavefront6targetE1EEEvT1_,comdat
.Lfunc_end5941:
	.size	_ZN7rocprim17ROCPRIM_400000_NS6detail17trampoline_kernelINS0_14default_configENS1_20scan_config_selectorIsEEZZNS1_9scan_implILNS1_25lookback_scan_determinismE0ELb0ELb0ES3_N6thrust23THRUST_200600_302600_NS6detail15normal_iteratorINS9_10device_ptrIsEEEENS9_16discard_iteratorINS9_11use_defaultEEEsNS9_4plusIvEEsEEDaPvRmT3_T4_T5_mT6_P12ihipStream_tbENKUlT_T0_E_clISt17integral_constantIbLb0EESW_IbLb1EEEEDaSS_ST_EUlSS_E0_NS1_11comp_targetILNS1_3genE8ELNS1_11target_archE1030ELNS1_3gpuE2ELNS1_3repE0EEENS1_30default_config_static_selectorELNS0_4arch9wavefront6targetE1EEEvT1_, .Lfunc_end5941-_ZN7rocprim17ROCPRIM_400000_NS6detail17trampoline_kernelINS0_14default_configENS1_20scan_config_selectorIsEEZZNS1_9scan_implILNS1_25lookback_scan_determinismE0ELb0ELb0ES3_N6thrust23THRUST_200600_302600_NS6detail15normal_iteratorINS9_10device_ptrIsEEEENS9_16discard_iteratorINS9_11use_defaultEEEsNS9_4plusIvEEsEEDaPvRmT3_T4_T5_mT6_P12ihipStream_tbENKUlT_T0_E_clISt17integral_constantIbLb0EESW_IbLb1EEEEDaSS_ST_EUlSS_E0_NS1_11comp_targetILNS1_3genE8ELNS1_11target_archE1030ELNS1_3gpuE2ELNS1_3repE0EEENS1_30default_config_static_selectorELNS0_4arch9wavefront6targetE1EEEvT1_
                                        ; -- End function
	.section	.AMDGPU.csdata,"",@progbits
; Kernel info:
; codeLenInByte = 0
; NumSgprs: 4
; NumVgprs: 0
; NumAgprs: 0
; TotalNumVgprs: 0
; ScratchSize: 0
; MemoryBound: 0
; FloatMode: 240
; IeeeMode: 1
; LDSByteSize: 0 bytes/workgroup (compile time only)
; SGPRBlocks: 0
; VGPRBlocks: 0
; NumSGPRsForWavesPerEU: 4
; NumVGPRsForWavesPerEU: 1
; AccumOffset: 4
; Occupancy: 8
; WaveLimiterHint : 0
; COMPUTE_PGM_RSRC2:SCRATCH_EN: 0
; COMPUTE_PGM_RSRC2:USER_SGPR: 6
; COMPUTE_PGM_RSRC2:TRAP_HANDLER: 0
; COMPUTE_PGM_RSRC2:TGID_X_EN: 1
; COMPUTE_PGM_RSRC2:TGID_Y_EN: 0
; COMPUTE_PGM_RSRC2:TGID_Z_EN: 0
; COMPUTE_PGM_RSRC2:TIDIG_COMP_CNT: 0
; COMPUTE_PGM_RSRC3_GFX90A:ACCUM_OFFSET: 0
; COMPUTE_PGM_RSRC3_GFX90A:TG_SPLIT: 0
	.section	.text._ZN7rocprim17ROCPRIM_400000_NS6detail17trampoline_kernelINS0_14default_configENS1_20scan_config_selectorIsEEZZNS1_9scan_implILNS1_25lookback_scan_determinismE0ELb1ELb1ES3_N6thrust23THRUST_200600_302600_NS6detail15normal_iteratorINS9_10device_ptrIsEEEENS9_16discard_iteratorINS9_11use_defaultEEEsNS9_4plusIvEEsEEDaPvRmT3_T4_T5_mT6_P12ihipStream_tbENKUlT_T0_E_clISt17integral_constantIbLb0EESX_EEDaSS_ST_EUlSS_E_NS1_11comp_targetILNS1_3genE0ELNS1_11target_archE4294967295ELNS1_3gpuE0ELNS1_3repE0EEENS1_30default_config_static_selectorELNS0_4arch9wavefront6targetE1EEEvT1_,"axG",@progbits,_ZN7rocprim17ROCPRIM_400000_NS6detail17trampoline_kernelINS0_14default_configENS1_20scan_config_selectorIsEEZZNS1_9scan_implILNS1_25lookback_scan_determinismE0ELb1ELb1ES3_N6thrust23THRUST_200600_302600_NS6detail15normal_iteratorINS9_10device_ptrIsEEEENS9_16discard_iteratorINS9_11use_defaultEEEsNS9_4plusIvEEsEEDaPvRmT3_T4_T5_mT6_P12ihipStream_tbENKUlT_T0_E_clISt17integral_constantIbLb0EESX_EEDaSS_ST_EUlSS_E_NS1_11comp_targetILNS1_3genE0ELNS1_11target_archE4294967295ELNS1_3gpuE0ELNS1_3repE0EEENS1_30default_config_static_selectorELNS0_4arch9wavefront6targetE1EEEvT1_,comdat
	.protected	_ZN7rocprim17ROCPRIM_400000_NS6detail17trampoline_kernelINS0_14default_configENS1_20scan_config_selectorIsEEZZNS1_9scan_implILNS1_25lookback_scan_determinismE0ELb1ELb1ES3_N6thrust23THRUST_200600_302600_NS6detail15normal_iteratorINS9_10device_ptrIsEEEENS9_16discard_iteratorINS9_11use_defaultEEEsNS9_4plusIvEEsEEDaPvRmT3_T4_T5_mT6_P12ihipStream_tbENKUlT_T0_E_clISt17integral_constantIbLb0EESX_EEDaSS_ST_EUlSS_E_NS1_11comp_targetILNS1_3genE0ELNS1_11target_archE4294967295ELNS1_3gpuE0ELNS1_3repE0EEENS1_30default_config_static_selectorELNS0_4arch9wavefront6targetE1EEEvT1_ ; -- Begin function _ZN7rocprim17ROCPRIM_400000_NS6detail17trampoline_kernelINS0_14default_configENS1_20scan_config_selectorIsEEZZNS1_9scan_implILNS1_25lookback_scan_determinismE0ELb1ELb1ES3_N6thrust23THRUST_200600_302600_NS6detail15normal_iteratorINS9_10device_ptrIsEEEENS9_16discard_iteratorINS9_11use_defaultEEEsNS9_4plusIvEEsEEDaPvRmT3_T4_T5_mT6_P12ihipStream_tbENKUlT_T0_E_clISt17integral_constantIbLb0EESX_EEDaSS_ST_EUlSS_E_NS1_11comp_targetILNS1_3genE0ELNS1_11target_archE4294967295ELNS1_3gpuE0ELNS1_3repE0EEENS1_30default_config_static_selectorELNS0_4arch9wavefront6targetE1EEEvT1_
	.globl	_ZN7rocprim17ROCPRIM_400000_NS6detail17trampoline_kernelINS0_14default_configENS1_20scan_config_selectorIsEEZZNS1_9scan_implILNS1_25lookback_scan_determinismE0ELb1ELb1ES3_N6thrust23THRUST_200600_302600_NS6detail15normal_iteratorINS9_10device_ptrIsEEEENS9_16discard_iteratorINS9_11use_defaultEEEsNS9_4plusIvEEsEEDaPvRmT3_T4_T5_mT6_P12ihipStream_tbENKUlT_T0_E_clISt17integral_constantIbLb0EESX_EEDaSS_ST_EUlSS_E_NS1_11comp_targetILNS1_3genE0ELNS1_11target_archE4294967295ELNS1_3gpuE0ELNS1_3repE0EEENS1_30default_config_static_selectorELNS0_4arch9wavefront6targetE1EEEvT1_
	.p2align	8
	.type	_ZN7rocprim17ROCPRIM_400000_NS6detail17trampoline_kernelINS0_14default_configENS1_20scan_config_selectorIsEEZZNS1_9scan_implILNS1_25lookback_scan_determinismE0ELb1ELb1ES3_N6thrust23THRUST_200600_302600_NS6detail15normal_iteratorINS9_10device_ptrIsEEEENS9_16discard_iteratorINS9_11use_defaultEEEsNS9_4plusIvEEsEEDaPvRmT3_T4_T5_mT6_P12ihipStream_tbENKUlT_T0_E_clISt17integral_constantIbLb0EESX_EEDaSS_ST_EUlSS_E_NS1_11comp_targetILNS1_3genE0ELNS1_11target_archE4294967295ELNS1_3gpuE0ELNS1_3repE0EEENS1_30default_config_static_selectorELNS0_4arch9wavefront6targetE1EEEvT1_,@function
_ZN7rocprim17ROCPRIM_400000_NS6detail17trampoline_kernelINS0_14default_configENS1_20scan_config_selectorIsEEZZNS1_9scan_implILNS1_25lookback_scan_determinismE0ELb1ELb1ES3_N6thrust23THRUST_200600_302600_NS6detail15normal_iteratorINS9_10device_ptrIsEEEENS9_16discard_iteratorINS9_11use_defaultEEEsNS9_4plusIvEEsEEDaPvRmT3_T4_T5_mT6_P12ihipStream_tbENKUlT_T0_E_clISt17integral_constantIbLb0EESX_EEDaSS_ST_EUlSS_E_NS1_11comp_targetILNS1_3genE0ELNS1_11target_archE4294967295ELNS1_3gpuE0ELNS1_3repE0EEENS1_30default_config_static_selectorELNS0_4arch9wavefront6targetE1EEEvT1_: ; @_ZN7rocprim17ROCPRIM_400000_NS6detail17trampoline_kernelINS0_14default_configENS1_20scan_config_selectorIsEEZZNS1_9scan_implILNS1_25lookback_scan_determinismE0ELb1ELb1ES3_N6thrust23THRUST_200600_302600_NS6detail15normal_iteratorINS9_10device_ptrIsEEEENS9_16discard_iteratorINS9_11use_defaultEEEsNS9_4plusIvEEsEEDaPvRmT3_T4_T5_mT6_P12ihipStream_tbENKUlT_T0_E_clISt17integral_constantIbLb0EESX_EEDaSS_ST_EUlSS_E_NS1_11comp_targetILNS1_3genE0ELNS1_11target_archE4294967295ELNS1_3gpuE0ELNS1_3repE0EEENS1_30default_config_static_selectorELNS0_4arch9wavefront6targetE1EEEvT1_
; %bb.0:
	.section	.rodata,"a",@progbits
	.p2align	6, 0x0
	.amdhsa_kernel _ZN7rocprim17ROCPRIM_400000_NS6detail17trampoline_kernelINS0_14default_configENS1_20scan_config_selectorIsEEZZNS1_9scan_implILNS1_25lookback_scan_determinismE0ELb1ELb1ES3_N6thrust23THRUST_200600_302600_NS6detail15normal_iteratorINS9_10device_ptrIsEEEENS9_16discard_iteratorINS9_11use_defaultEEEsNS9_4plusIvEEsEEDaPvRmT3_T4_T5_mT6_P12ihipStream_tbENKUlT_T0_E_clISt17integral_constantIbLb0EESX_EEDaSS_ST_EUlSS_E_NS1_11comp_targetILNS1_3genE0ELNS1_11target_archE4294967295ELNS1_3gpuE0ELNS1_3repE0EEENS1_30default_config_static_selectorELNS0_4arch9wavefront6targetE1EEEvT1_
		.amdhsa_group_segment_fixed_size 0
		.amdhsa_private_segment_fixed_size 0
		.amdhsa_kernarg_size 104
		.amdhsa_user_sgpr_count 6
		.amdhsa_user_sgpr_private_segment_buffer 1
		.amdhsa_user_sgpr_dispatch_ptr 0
		.amdhsa_user_sgpr_queue_ptr 0
		.amdhsa_user_sgpr_kernarg_segment_ptr 1
		.amdhsa_user_sgpr_dispatch_id 0
		.amdhsa_user_sgpr_flat_scratch_init 0
		.amdhsa_user_sgpr_kernarg_preload_length 0
		.amdhsa_user_sgpr_kernarg_preload_offset 0
		.amdhsa_user_sgpr_private_segment_size 0
		.amdhsa_uses_dynamic_stack 0
		.amdhsa_system_sgpr_private_segment_wavefront_offset 0
		.amdhsa_system_sgpr_workgroup_id_x 1
		.amdhsa_system_sgpr_workgroup_id_y 0
		.amdhsa_system_sgpr_workgroup_id_z 0
		.amdhsa_system_sgpr_workgroup_info 0
		.amdhsa_system_vgpr_workitem_id 0
		.amdhsa_next_free_vgpr 1
		.amdhsa_next_free_sgpr 0
		.amdhsa_accum_offset 4
		.amdhsa_reserve_vcc 0
		.amdhsa_reserve_flat_scratch 0
		.amdhsa_float_round_mode_32 0
		.amdhsa_float_round_mode_16_64 0
		.amdhsa_float_denorm_mode_32 3
		.amdhsa_float_denorm_mode_16_64 3
		.amdhsa_dx10_clamp 1
		.amdhsa_ieee_mode 1
		.amdhsa_fp16_overflow 0
		.amdhsa_tg_split 0
		.amdhsa_exception_fp_ieee_invalid_op 0
		.amdhsa_exception_fp_denorm_src 0
		.amdhsa_exception_fp_ieee_div_zero 0
		.amdhsa_exception_fp_ieee_overflow 0
		.amdhsa_exception_fp_ieee_underflow 0
		.amdhsa_exception_fp_ieee_inexact 0
		.amdhsa_exception_int_div_zero 0
	.end_amdhsa_kernel
	.section	.text._ZN7rocprim17ROCPRIM_400000_NS6detail17trampoline_kernelINS0_14default_configENS1_20scan_config_selectorIsEEZZNS1_9scan_implILNS1_25lookback_scan_determinismE0ELb1ELb1ES3_N6thrust23THRUST_200600_302600_NS6detail15normal_iteratorINS9_10device_ptrIsEEEENS9_16discard_iteratorINS9_11use_defaultEEEsNS9_4plusIvEEsEEDaPvRmT3_T4_T5_mT6_P12ihipStream_tbENKUlT_T0_E_clISt17integral_constantIbLb0EESX_EEDaSS_ST_EUlSS_E_NS1_11comp_targetILNS1_3genE0ELNS1_11target_archE4294967295ELNS1_3gpuE0ELNS1_3repE0EEENS1_30default_config_static_selectorELNS0_4arch9wavefront6targetE1EEEvT1_,"axG",@progbits,_ZN7rocprim17ROCPRIM_400000_NS6detail17trampoline_kernelINS0_14default_configENS1_20scan_config_selectorIsEEZZNS1_9scan_implILNS1_25lookback_scan_determinismE0ELb1ELb1ES3_N6thrust23THRUST_200600_302600_NS6detail15normal_iteratorINS9_10device_ptrIsEEEENS9_16discard_iteratorINS9_11use_defaultEEEsNS9_4plusIvEEsEEDaPvRmT3_T4_T5_mT6_P12ihipStream_tbENKUlT_T0_E_clISt17integral_constantIbLb0EESX_EEDaSS_ST_EUlSS_E_NS1_11comp_targetILNS1_3genE0ELNS1_11target_archE4294967295ELNS1_3gpuE0ELNS1_3repE0EEENS1_30default_config_static_selectorELNS0_4arch9wavefront6targetE1EEEvT1_,comdat
.Lfunc_end5942:
	.size	_ZN7rocprim17ROCPRIM_400000_NS6detail17trampoline_kernelINS0_14default_configENS1_20scan_config_selectorIsEEZZNS1_9scan_implILNS1_25lookback_scan_determinismE0ELb1ELb1ES3_N6thrust23THRUST_200600_302600_NS6detail15normal_iteratorINS9_10device_ptrIsEEEENS9_16discard_iteratorINS9_11use_defaultEEEsNS9_4plusIvEEsEEDaPvRmT3_T4_T5_mT6_P12ihipStream_tbENKUlT_T0_E_clISt17integral_constantIbLb0EESX_EEDaSS_ST_EUlSS_E_NS1_11comp_targetILNS1_3genE0ELNS1_11target_archE4294967295ELNS1_3gpuE0ELNS1_3repE0EEENS1_30default_config_static_selectorELNS0_4arch9wavefront6targetE1EEEvT1_, .Lfunc_end5942-_ZN7rocprim17ROCPRIM_400000_NS6detail17trampoline_kernelINS0_14default_configENS1_20scan_config_selectorIsEEZZNS1_9scan_implILNS1_25lookback_scan_determinismE0ELb1ELb1ES3_N6thrust23THRUST_200600_302600_NS6detail15normal_iteratorINS9_10device_ptrIsEEEENS9_16discard_iteratorINS9_11use_defaultEEEsNS9_4plusIvEEsEEDaPvRmT3_T4_T5_mT6_P12ihipStream_tbENKUlT_T0_E_clISt17integral_constantIbLb0EESX_EEDaSS_ST_EUlSS_E_NS1_11comp_targetILNS1_3genE0ELNS1_11target_archE4294967295ELNS1_3gpuE0ELNS1_3repE0EEENS1_30default_config_static_selectorELNS0_4arch9wavefront6targetE1EEEvT1_
                                        ; -- End function
	.section	.AMDGPU.csdata,"",@progbits
; Kernel info:
; codeLenInByte = 0
; NumSgprs: 4
; NumVgprs: 0
; NumAgprs: 0
; TotalNumVgprs: 0
; ScratchSize: 0
; MemoryBound: 0
; FloatMode: 240
; IeeeMode: 1
; LDSByteSize: 0 bytes/workgroup (compile time only)
; SGPRBlocks: 0
; VGPRBlocks: 0
; NumSGPRsForWavesPerEU: 4
; NumVGPRsForWavesPerEU: 1
; AccumOffset: 4
; Occupancy: 8
; WaveLimiterHint : 0
; COMPUTE_PGM_RSRC2:SCRATCH_EN: 0
; COMPUTE_PGM_RSRC2:USER_SGPR: 6
; COMPUTE_PGM_RSRC2:TRAP_HANDLER: 0
; COMPUTE_PGM_RSRC2:TGID_X_EN: 1
; COMPUTE_PGM_RSRC2:TGID_Y_EN: 0
; COMPUTE_PGM_RSRC2:TGID_Z_EN: 0
; COMPUTE_PGM_RSRC2:TIDIG_COMP_CNT: 0
; COMPUTE_PGM_RSRC3_GFX90A:ACCUM_OFFSET: 0
; COMPUTE_PGM_RSRC3_GFX90A:TG_SPLIT: 0
	.section	.text._ZN7rocprim17ROCPRIM_400000_NS6detail17trampoline_kernelINS0_14default_configENS1_20scan_config_selectorIsEEZZNS1_9scan_implILNS1_25lookback_scan_determinismE0ELb1ELb1ES3_N6thrust23THRUST_200600_302600_NS6detail15normal_iteratorINS9_10device_ptrIsEEEENS9_16discard_iteratorINS9_11use_defaultEEEsNS9_4plusIvEEsEEDaPvRmT3_T4_T5_mT6_P12ihipStream_tbENKUlT_T0_E_clISt17integral_constantIbLb0EESX_EEDaSS_ST_EUlSS_E_NS1_11comp_targetILNS1_3genE5ELNS1_11target_archE942ELNS1_3gpuE9ELNS1_3repE0EEENS1_30default_config_static_selectorELNS0_4arch9wavefront6targetE1EEEvT1_,"axG",@progbits,_ZN7rocprim17ROCPRIM_400000_NS6detail17trampoline_kernelINS0_14default_configENS1_20scan_config_selectorIsEEZZNS1_9scan_implILNS1_25lookback_scan_determinismE0ELb1ELb1ES3_N6thrust23THRUST_200600_302600_NS6detail15normal_iteratorINS9_10device_ptrIsEEEENS9_16discard_iteratorINS9_11use_defaultEEEsNS9_4plusIvEEsEEDaPvRmT3_T4_T5_mT6_P12ihipStream_tbENKUlT_T0_E_clISt17integral_constantIbLb0EESX_EEDaSS_ST_EUlSS_E_NS1_11comp_targetILNS1_3genE5ELNS1_11target_archE942ELNS1_3gpuE9ELNS1_3repE0EEENS1_30default_config_static_selectorELNS0_4arch9wavefront6targetE1EEEvT1_,comdat
	.protected	_ZN7rocprim17ROCPRIM_400000_NS6detail17trampoline_kernelINS0_14default_configENS1_20scan_config_selectorIsEEZZNS1_9scan_implILNS1_25lookback_scan_determinismE0ELb1ELb1ES3_N6thrust23THRUST_200600_302600_NS6detail15normal_iteratorINS9_10device_ptrIsEEEENS9_16discard_iteratorINS9_11use_defaultEEEsNS9_4plusIvEEsEEDaPvRmT3_T4_T5_mT6_P12ihipStream_tbENKUlT_T0_E_clISt17integral_constantIbLb0EESX_EEDaSS_ST_EUlSS_E_NS1_11comp_targetILNS1_3genE5ELNS1_11target_archE942ELNS1_3gpuE9ELNS1_3repE0EEENS1_30default_config_static_selectorELNS0_4arch9wavefront6targetE1EEEvT1_ ; -- Begin function _ZN7rocprim17ROCPRIM_400000_NS6detail17trampoline_kernelINS0_14default_configENS1_20scan_config_selectorIsEEZZNS1_9scan_implILNS1_25lookback_scan_determinismE0ELb1ELb1ES3_N6thrust23THRUST_200600_302600_NS6detail15normal_iteratorINS9_10device_ptrIsEEEENS9_16discard_iteratorINS9_11use_defaultEEEsNS9_4plusIvEEsEEDaPvRmT3_T4_T5_mT6_P12ihipStream_tbENKUlT_T0_E_clISt17integral_constantIbLb0EESX_EEDaSS_ST_EUlSS_E_NS1_11comp_targetILNS1_3genE5ELNS1_11target_archE942ELNS1_3gpuE9ELNS1_3repE0EEENS1_30default_config_static_selectorELNS0_4arch9wavefront6targetE1EEEvT1_
	.globl	_ZN7rocprim17ROCPRIM_400000_NS6detail17trampoline_kernelINS0_14default_configENS1_20scan_config_selectorIsEEZZNS1_9scan_implILNS1_25lookback_scan_determinismE0ELb1ELb1ES3_N6thrust23THRUST_200600_302600_NS6detail15normal_iteratorINS9_10device_ptrIsEEEENS9_16discard_iteratorINS9_11use_defaultEEEsNS9_4plusIvEEsEEDaPvRmT3_T4_T5_mT6_P12ihipStream_tbENKUlT_T0_E_clISt17integral_constantIbLb0EESX_EEDaSS_ST_EUlSS_E_NS1_11comp_targetILNS1_3genE5ELNS1_11target_archE942ELNS1_3gpuE9ELNS1_3repE0EEENS1_30default_config_static_selectorELNS0_4arch9wavefront6targetE1EEEvT1_
	.p2align	8
	.type	_ZN7rocprim17ROCPRIM_400000_NS6detail17trampoline_kernelINS0_14default_configENS1_20scan_config_selectorIsEEZZNS1_9scan_implILNS1_25lookback_scan_determinismE0ELb1ELb1ES3_N6thrust23THRUST_200600_302600_NS6detail15normal_iteratorINS9_10device_ptrIsEEEENS9_16discard_iteratorINS9_11use_defaultEEEsNS9_4plusIvEEsEEDaPvRmT3_T4_T5_mT6_P12ihipStream_tbENKUlT_T0_E_clISt17integral_constantIbLb0EESX_EEDaSS_ST_EUlSS_E_NS1_11comp_targetILNS1_3genE5ELNS1_11target_archE942ELNS1_3gpuE9ELNS1_3repE0EEENS1_30default_config_static_selectorELNS0_4arch9wavefront6targetE1EEEvT1_,@function
_ZN7rocprim17ROCPRIM_400000_NS6detail17trampoline_kernelINS0_14default_configENS1_20scan_config_selectorIsEEZZNS1_9scan_implILNS1_25lookback_scan_determinismE0ELb1ELb1ES3_N6thrust23THRUST_200600_302600_NS6detail15normal_iteratorINS9_10device_ptrIsEEEENS9_16discard_iteratorINS9_11use_defaultEEEsNS9_4plusIvEEsEEDaPvRmT3_T4_T5_mT6_P12ihipStream_tbENKUlT_T0_E_clISt17integral_constantIbLb0EESX_EEDaSS_ST_EUlSS_E_NS1_11comp_targetILNS1_3genE5ELNS1_11target_archE942ELNS1_3gpuE9ELNS1_3repE0EEENS1_30default_config_static_selectorELNS0_4arch9wavefront6targetE1EEEvT1_: ; @_ZN7rocprim17ROCPRIM_400000_NS6detail17trampoline_kernelINS0_14default_configENS1_20scan_config_selectorIsEEZZNS1_9scan_implILNS1_25lookback_scan_determinismE0ELb1ELb1ES3_N6thrust23THRUST_200600_302600_NS6detail15normal_iteratorINS9_10device_ptrIsEEEENS9_16discard_iteratorINS9_11use_defaultEEEsNS9_4plusIvEEsEEDaPvRmT3_T4_T5_mT6_P12ihipStream_tbENKUlT_T0_E_clISt17integral_constantIbLb0EESX_EEDaSS_ST_EUlSS_E_NS1_11comp_targetILNS1_3genE5ELNS1_11target_archE942ELNS1_3gpuE9ELNS1_3repE0EEENS1_30default_config_static_selectorELNS0_4arch9wavefront6targetE1EEEvT1_
; %bb.0:
	.section	.rodata,"a",@progbits
	.p2align	6, 0x0
	.amdhsa_kernel _ZN7rocprim17ROCPRIM_400000_NS6detail17trampoline_kernelINS0_14default_configENS1_20scan_config_selectorIsEEZZNS1_9scan_implILNS1_25lookback_scan_determinismE0ELb1ELb1ES3_N6thrust23THRUST_200600_302600_NS6detail15normal_iteratorINS9_10device_ptrIsEEEENS9_16discard_iteratorINS9_11use_defaultEEEsNS9_4plusIvEEsEEDaPvRmT3_T4_T5_mT6_P12ihipStream_tbENKUlT_T0_E_clISt17integral_constantIbLb0EESX_EEDaSS_ST_EUlSS_E_NS1_11comp_targetILNS1_3genE5ELNS1_11target_archE942ELNS1_3gpuE9ELNS1_3repE0EEENS1_30default_config_static_selectorELNS0_4arch9wavefront6targetE1EEEvT1_
		.amdhsa_group_segment_fixed_size 0
		.amdhsa_private_segment_fixed_size 0
		.amdhsa_kernarg_size 104
		.amdhsa_user_sgpr_count 6
		.amdhsa_user_sgpr_private_segment_buffer 1
		.amdhsa_user_sgpr_dispatch_ptr 0
		.amdhsa_user_sgpr_queue_ptr 0
		.amdhsa_user_sgpr_kernarg_segment_ptr 1
		.amdhsa_user_sgpr_dispatch_id 0
		.amdhsa_user_sgpr_flat_scratch_init 0
		.amdhsa_user_sgpr_kernarg_preload_length 0
		.amdhsa_user_sgpr_kernarg_preload_offset 0
		.amdhsa_user_sgpr_private_segment_size 0
		.amdhsa_uses_dynamic_stack 0
		.amdhsa_system_sgpr_private_segment_wavefront_offset 0
		.amdhsa_system_sgpr_workgroup_id_x 1
		.amdhsa_system_sgpr_workgroup_id_y 0
		.amdhsa_system_sgpr_workgroup_id_z 0
		.amdhsa_system_sgpr_workgroup_info 0
		.amdhsa_system_vgpr_workitem_id 0
		.amdhsa_next_free_vgpr 1
		.amdhsa_next_free_sgpr 0
		.amdhsa_accum_offset 4
		.amdhsa_reserve_vcc 0
		.amdhsa_reserve_flat_scratch 0
		.amdhsa_float_round_mode_32 0
		.amdhsa_float_round_mode_16_64 0
		.amdhsa_float_denorm_mode_32 3
		.amdhsa_float_denorm_mode_16_64 3
		.amdhsa_dx10_clamp 1
		.amdhsa_ieee_mode 1
		.amdhsa_fp16_overflow 0
		.amdhsa_tg_split 0
		.amdhsa_exception_fp_ieee_invalid_op 0
		.amdhsa_exception_fp_denorm_src 0
		.amdhsa_exception_fp_ieee_div_zero 0
		.amdhsa_exception_fp_ieee_overflow 0
		.amdhsa_exception_fp_ieee_underflow 0
		.amdhsa_exception_fp_ieee_inexact 0
		.amdhsa_exception_int_div_zero 0
	.end_amdhsa_kernel
	.section	.text._ZN7rocprim17ROCPRIM_400000_NS6detail17trampoline_kernelINS0_14default_configENS1_20scan_config_selectorIsEEZZNS1_9scan_implILNS1_25lookback_scan_determinismE0ELb1ELb1ES3_N6thrust23THRUST_200600_302600_NS6detail15normal_iteratorINS9_10device_ptrIsEEEENS9_16discard_iteratorINS9_11use_defaultEEEsNS9_4plusIvEEsEEDaPvRmT3_T4_T5_mT6_P12ihipStream_tbENKUlT_T0_E_clISt17integral_constantIbLb0EESX_EEDaSS_ST_EUlSS_E_NS1_11comp_targetILNS1_3genE5ELNS1_11target_archE942ELNS1_3gpuE9ELNS1_3repE0EEENS1_30default_config_static_selectorELNS0_4arch9wavefront6targetE1EEEvT1_,"axG",@progbits,_ZN7rocprim17ROCPRIM_400000_NS6detail17trampoline_kernelINS0_14default_configENS1_20scan_config_selectorIsEEZZNS1_9scan_implILNS1_25lookback_scan_determinismE0ELb1ELb1ES3_N6thrust23THRUST_200600_302600_NS6detail15normal_iteratorINS9_10device_ptrIsEEEENS9_16discard_iteratorINS9_11use_defaultEEEsNS9_4plusIvEEsEEDaPvRmT3_T4_T5_mT6_P12ihipStream_tbENKUlT_T0_E_clISt17integral_constantIbLb0EESX_EEDaSS_ST_EUlSS_E_NS1_11comp_targetILNS1_3genE5ELNS1_11target_archE942ELNS1_3gpuE9ELNS1_3repE0EEENS1_30default_config_static_selectorELNS0_4arch9wavefront6targetE1EEEvT1_,comdat
.Lfunc_end5943:
	.size	_ZN7rocprim17ROCPRIM_400000_NS6detail17trampoline_kernelINS0_14default_configENS1_20scan_config_selectorIsEEZZNS1_9scan_implILNS1_25lookback_scan_determinismE0ELb1ELb1ES3_N6thrust23THRUST_200600_302600_NS6detail15normal_iteratorINS9_10device_ptrIsEEEENS9_16discard_iteratorINS9_11use_defaultEEEsNS9_4plusIvEEsEEDaPvRmT3_T4_T5_mT6_P12ihipStream_tbENKUlT_T0_E_clISt17integral_constantIbLb0EESX_EEDaSS_ST_EUlSS_E_NS1_11comp_targetILNS1_3genE5ELNS1_11target_archE942ELNS1_3gpuE9ELNS1_3repE0EEENS1_30default_config_static_selectorELNS0_4arch9wavefront6targetE1EEEvT1_, .Lfunc_end5943-_ZN7rocprim17ROCPRIM_400000_NS6detail17trampoline_kernelINS0_14default_configENS1_20scan_config_selectorIsEEZZNS1_9scan_implILNS1_25lookback_scan_determinismE0ELb1ELb1ES3_N6thrust23THRUST_200600_302600_NS6detail15normal_iteratorINS9_10device_ptrIsEEEENS9_16discard_iteratorINS9_11use_defaultEEEsNS9_4plusIvEEsEEDaPvRmT3_T4_T5_mT6_P12ihipStream_tbENKUlT_T0_E_clISt17integral_constantIbLb0EESX_EEDaSS_ST_EUlSS_E_NS1_11comp_targetILNS1_3genE5ELNS1_11target_archE942ELNS1_3gpuE9ELNS1_3repE0EEENS1_30default_config_static_selectorELNS0_4arch9wavefront6targetE1EEEvT1_
                                        ; -- End function
	.section	.AMDGPU.csdata,"",@progbits
; Kernel info:
; codeLenInByte = 0
; NumSgprs: 4
; NumVgprs: 0
; NumAgprs: 0
; TotalNumVgprs: 0
; ScratchSize: 0
; MemoryBound: 0
; FloatMode: 240
; IeeeMode: 1
; LDSByteSize: 0 bytes/workgroup (compile time only)
; SGPRBlocks: 0
; VGPRBlocks: 0
; NumSGPRsForWavesPerEU: 4
; NumVGPRsForWavesPerEU: 1
; AccumOffset: 4
; Occupancy: 8
; WaveLimiterHint : 0
; COMPUTE_PGM_RSRC2:SCRATCH_EN: 0
; COMPUTE_PGM_RSRC2:USER_SGPR: 6
; COMPUTE_PGM_RSRC2:TRAP_HANDLER: 0
; COMPUTE_PGM_RSRC2:TGID_X_EN: 1
; COMPUTE_PGM_RSRC2:TGID_Y_EN: 0
; COMPUTE_PGM_RSRC2:TGID_Z_EN: 0
; COMPUTE_PGM_RSRC2:TIDIG_COMP_CNT: 0
; COMPUTE_PGM_RSRC3_GFX90A:ACCUM_OFFSET: 0
; COMPUTE_PGM_RSRC3_GFX90A:TG_SPLIT: 0
	.section	.text._ZN7rocprim17ROCPRIM_400000_NS6detail17trampoline_kernelINS0_14default_configENS1_20scan_config_selectorIsEEZZNS1_9scan_implILNS1_25lookback_scan_determinismE0ELb1ELb1ES3_N6thrust23THRUST_200600_302600_NS6detail15normal_iteratorINS9_10device_ptrIsEEEENS9_16discard_iteratorINS9_11use_defaultEEEsNS9_4plusIvEEsEEDaPvRmT3_T4_T5_mT6_P12ihipStream_tbENKUlT_T0_E_clISt17integral_constantIbLb0EESX_EEDaSS_ST_EUlSS_E_NS1_11comp_targetILNS1_3genE4ELNS1_11target_archE910ELNS1_3gpuE8ELNS1_3repE0EEENS1_30default_config_static_selectorELNS0_4arch9wavefront6targetE1EEEvT1_,"axG",@progbits,_ZN7rocprim17ROCPRIM_400000_NS6detail17trampoline_kernelINS0_14default_configENS1_20scan_config_selectorIsEEZZNS1_9scan_implILNS1_25lookback_scan_determinismE0ELb1ELb1ES3_N6thrust23THRUST_200600_302600_NS6detail15normal_iteratorINS9_10device_ptrIsEEEENS9_16discard_iteratorINS9_11use_defaultEEEsNS9_4plusIvEEsEEDaPvRmT3_T4_T5_mT6_P12ihipStream_tbENKUlT_T0_E_clISt17integral_constantIbLb0EESX_EEDaSS_ST_EUlSS_E_NS1_11comp_targetILNS1_3genE4ELNS1_11target_archE910ELNS1_3gpuE8ELNS1_3repE0EEENS1_30default_config_static_selectorELNS0_4arch9wavefront6targetE1EEEvT1_,comdat
	.protected	_ZN7rocprim17ROCPRIM_400000_NS6detail17trampoline_kernelINS0_14default_configENS1_20scan_config_selectorIsEEZZNS1_9scan_implILNS1_25lookback_scan_determinismE0ELb1ELb1ES3_N6thrust23THRUST_200600_302600_NS6detail15normal_iteratorINS9_10device_ptrIsEEEENS9_16discard_iteratorINS9_11use_defaultEEEsNS9_4plusIvEEsEEDaPvRmT3_T4_T5_mT6_P12ihipStream_tbENKUlT_T0_E_clISt17integral_constantIbLb0EESX_EEDaSS_ST_EUlSS_E_NS1_11comp_targetILNS1_3genE4ELNS1_11target_archE910ELNS1_3gpuE8ELNS1_3repE0EEENS1_30default_config_static_selectorELNS0_4arch9wavefront6targetE1EEEvT1_ ; -- Begin function _ZN7rocprim17ROCPRIM_400000_NS6detail17trampoline_kernelINS0_14default_configENS1_20scan_config_selectorIsEEZZNS1_9scan_implILNS1_25lookback_scan_determinismE0ELb1ELb1ES3_N6thrust23THRUST_200600_302600_NS6detail15normal_iteratorINS9_10device_ptrIsEEEENS9_16discard_iteratorINS9_11use_defaultEEEsNS9_4plusIvEEsEEDaPvRmT3_T4_T5_mT6_P12ihipStream_tbENKUlT_T0_E_clISt17integral_constantIbLb0EESX_EEDaSS_ST_EUlSS_E_NS1_11comp_targetILNS1_3genE4ELNS1_11target_archE910ELNS1_3gpuE8ELNS1_3repE0EEENS1_30default_config_static_selectorELNS0_4arch9wavefront6targetE1EEEvT1_
	.globl	_ZN7rocprim17ROCPRIM_400000_NS6detail17trampoline_kernelINS0_14default_configENS1_20scan_config_selectorIsEEZZNS1_9scan_implILNS1_25lookback_scan_determinismE0ELb1ELb1ES3_N6thrust23THRUST_200600_302600_NS6detail15normal_iteratorINS9_10device_ptrIsEEEENS9_16discard_iteratorINS9_11use_defaultEEEsNS9_4plusIvEEsEEDaPvRmT3_T4_T5_mT6_P12ihipStream_tbENKUlT_T0_E_clISt17integral_constantIbLb0EESX_EEDaSS_ST_EUlSS_E_NS1_11comp_targetILNS1_3genE4ELNS1_11target_archE910ELNS1_3gpuE8ELNS1_3repE0EEENS1_30default_config_static_selectorELNS0_4arch9wavefront6targetE1EEEvT1_
	.p2align	8
	.type	_ZN7rocprim17ROCPRIM_400000_NS6detail17trampoline_kernelINS0_14default_configENS1_20scan_config_selectorIsEEZZNS1_9scan_implILNS1_25lookback_scan_determinismE0ELb1ELb1ES3_N6thrust23THRUST_200600_302600_NS6detail15normal_iteratorINS9_10device_ptrIsEEEENS9_16discard_iteratorINS9_11use_defaultEEEsNS9_4plusIvEEsEEDaPvRmT3_T4_T5_mT6_P12ihipStream_tbENKUlT_T0_E_clISt17integral_constantIbLb0EESX_EEDaSS_ST_EUlSS_E_NS1_11comp_targetILNS1_3genE4ELNS1_11target_archE910ELNS1_3gpuE8ELNS1_3repE0EEENS1_30default_config_static_selectorELNS0_4arch9wavefront6targetE1EEEvT1_,@function
_ZN7rocprim17ROCPRIM_400000_NS6detail17trampoline_kernelINS0_14default_configENS1_20scan_config_selectorIsEEZZNS1_9scan_implILNS1_25lookback_scan_determinismE0ELb1ELb1ES3_N6thrust23THRUST_200600_302600_NS6detail15normal_iteratorINS9_10device_ptrIsEEEENS9_16discard_iteratorINS9_11use_defaultEEEsNS9_4plusIvEEsEEDaPvRmT3_T4_T5_mT6_P12ihipStream_tbENKUlT_T0_E_clISt17integral_constantIbLb0EESX_EEDaSS_ST_EUlSS_E_NS1_11comp_targetILNS1_3genE4ELNS1_11target_archE910ELNS1_3gpuE8ELNS1_3repE0EEENS1_30default_config_static_selectorELNS0_4arch9wavefront6targetE1EEEvT1_: ; @_ZN7rocprim17ROCPRIM_400000_NS6detail17trampoline_kernelINS0_14default_configENS1_20scan_config_selectorIsEEZZNS1_9scan_implILNS1_25lookback_scan_determinismE0ELb1ELb1ES3_N6thrust23THRUST_200600_302600_NS6detail15normal_iteratorINS9_10device_ptrIsEEEENS9_16discard_iteratorINS9_11use_defaultEEEsNS9_4plusIvEEsEEDaPvRmT3_T4_T5_mT6_P12ihipStream_tbENKUlT_T0_E_clISt17integral_constantIbLb0EESX_EEDaSS_ST_EUlSS_E_NS1_11comp_targetILNS1_3genE4ELNS1_11target_archE910ELNS1_3gpuE8ELNS1_3repE0EEENS1_30default_config_static_selectorELNS0_4arch9wavefront6targetE1EEEvT1_
; %bb.0:
	s_load_dwordx4 s[0:3], s[4:5], 0x0
	s_load_dwordx2 s[8:9], s[4:5], 0x20
	s_load_dword s7, s[4:5], 0x38
	s_waitcnt lgkmcnt(0)
	s_lshl_b64 s[2:3], s[2:3], 1
	s_add_u32 s21, s0, s2
	s_addc_u32 s22, s1, s3
	s_add_i32 s2, s7, -1
	s_mul_i32 s3, s2, 0x600
	s_sub_u32 s7, s8, s3
	s_subb_u32 s20, s9, 0
	s_mul_i32 s0, s6, 0x600
	s_mov_b32 s1, 0
	s_cmp_lg_u32 s6, s2
	s_cselect_b64 s[16:17], -1, 0
	s_lshl_b64 s[0:1], s[0:1], 1
	s_add_u32 s0, s21, s0
	s_addc_u32 s1, s22, s1
	s_mov_b64 s[2:3], -1
	s_and_b64 vcc, exec, s[16:17]
	s_cbranch_vccz .LBB5944_2
; %bb.1:
	v_lshlrev_b32_e32 v1, 1, v0
	v_mov_b32_e32 v3, s1
	v_add_co_u32_e32 v2, vcc, s0, v1
	v_addc_co_u32_e32 v3, vcc, 0, v3, vcc
	flat_load_ushort v4, v[2:3]
	flat_load_ushort v5, v[2:3] offset:128
	flat_load_ushort v6, v[2:3] offset:256
	;; [unrolled: 1-line block ×23, first 2 shown]
	s_mov_b64 s[2:3], 0
	s_waitcnt vmcnt(0) lgkmcnt(0)
	ds_write_b16 v1, v4
	ds_write_b16 v1, v5 offset:128
	ds_write_b16 v1, v6 offset:256
	;; [unrolled: 1-line block ×23, first 2 shown]
	s_waitcnt lgkmcnt(0)
	; wave barrier
.LBB5944_2:
	s_load_dwordx2 s[18:19], s[4:5], 0x30
	s_andn2_b64 vcc, exec, s[2:3]
	s_cbranch_vccnz .LBB5944_52
; %bb.3:
	v_pk_mov_b32 v[2:3], s[0:1], s[0:1] op_sel:[0,1]
	flat_load_ushort v1, v[2:3]
	v_cmp_gt_u32_e32 vcc, s7, v0
	s_waitcnt vmcnt(0) lgkmcnt(0)
	v_mov_b32_e32 v2, v1
	s_and_saveexec_b64 s[2:3], vcc
	s_cbranch_execz .LBB5944_5
; %bb.4:
	v_lshlrev_b32_e32 v2, 1, v0
	v_mov_b32_e32 v3, s1
	v_add_co_u32_e32 v2, vcc, s0, v2
	v_addc_co_u32_e32 v3, vcc, 0, v3, vcc
	flat_load_ushort v2, v[2:3]
.LBB5944_5:
	s_or_b64 exec, exec, s[2:3]
	v_or_b32_e32 v3, 64, v0
	v_cmp_gt_u32_e32 vcc, s7, v3
	v_mov_b32_e32 v3, v1
	s_and_saveexec_b64 s[2:3], vcc
	s_cbranch_execz .LBB5944_7
; %bb.6:
	v_lshlrev_b32_e32 v3, 1, v0
	v_mov_b32_e32 v5, s1
	v_add_co_u32_e32 v4, vcc, s0, v3
	v_addc_co_u32_e32 v5, vcc, 0, v5, vcc
	flat_load_ushort v3, v[4:5] offset:128
.LBB5944_7:
	s_or_b64 exec, exec, s[2:3]
	v_or_b32_e32 v4, 0x80, v0
	v_cmp_gt_u32_e32 vcc, s7, v4
	v_mov_b32_e32 v4, v1
	s_and_saveexec_b64 s[2:3], vcc
	s_cbranch_execz .LBB5944_9
; %bb.8:
	v_lshlrev_b32_e32 v4, 1, v0
	v_mov_b32_e32 v5, s1
	v_add_co_u32_e32 v4, vcc, s0, v4
	v_addc_co_u32_e32 v5, vcc, 0, v5, vcc
	flat_load_ushort v4, v[4:5] offset:256
.LBB5944_9:
	;; [unrolled: 13-line block ×22, first 2 shown]
	s_or_b64 exec, exec, s[2:3]
	v_or_b32_e32 v25, 0x5c0, v0
	v_cmp_gt_u32_e32 vcc, s7, v25
	s_and_saveexec_b64 s[2:3], vcc
	s_cbranch_execz .LBB5944_51
; %bb.50:
	v_lshlrev_b32_e32 v1, 1, v0
	v_mov_b32_e32 v25, s1
	v_add_co_u32_e32 v26, vcc, s0, v1
	v_addc_co_u32_e32 v27, vcc, 0, v25, vcc
	flat_load_ushort v1, v[26:27] offset:2944
.LBB5944_51:
	s_or_b64 exec, exec, s[2:3]
	v_lshlrev_b32_e32 v25, 1, v0
	s_waitcnt vmcnt(0) lgkmcnt(0)
	ds_write_b16 v25, v2
	ds_write_b16 v25, v3 offset:128
	ds_write_b16 v25, v4 offset:256
	ds_write_b16 v25, v5 offset:384
	ds_write_b16 v25, v6 offset:512
	ds_write_b16 v25, v7 offset:640
	ds_write_b16 v25, v8 offset:768
	ds_write_b16 v25, v9 offset:896
	ds_write_b16 v25, v10 offset:1024
	ds_write_b16 v25, v11 offset:1152
	ds_write_b16 v25, v12 offset:1280
	ds_write_b16 v25, v13 offset:1408
	ds_write_b16 v25, v14 offset:1536
	ds_write_b16 v25, v15 offset:1664
	ds_write_b16 v25, v16 offset:1792
	ds_write_b16 v25, v17 offset:1920
	ds_write_b16 v25, v18 offset:2048
	ds_write_b16 v25, v19 offset:2176
	ds_write_b16 v25, v20 offset:2304
	ds_write_b16 v25, v21 offset:2432
	ds_write_b16 v25, v22 offset:2560
	ds_write_b16 v25, v23 offset:2688
	ds_write_b16 v25, v24 offset:2816
	ds_write_b16 v25, v1 offset:2944
	s_waitcnt lgkmcnt(0)
	; wave barrier
.LBB5944_52:
	v_mul_u32_u24_e32 v20, 24, v0
	v_lshlrev_b32_e32 v1, 1, v20
	s_waitcnt lgkmcnt(0)
	ds_read_b128 v[10:13], v1
	ds_read_b128 v[6:9], v1 offset:16
	ds_read_b128 v[2:5], v1 offset:32
	s_cmp_lg_u32 s6, 0
	v_mbcnt_lo_u32_b32 v21, -1, 0
	s_waitcnt lgkmcnt(2)
	v_add_u16_sdwa v14, v10, v10 dst_sel:DWORD dst_unused:UNUSED_PAD src0_sel:WORD_1 src1_sel:DWORD
	v_add_u16_e32 v22, v14, v11
	v_cmp_eq_u32_e32 vcc, 63, v0
	s_waitcnt lgkmcnt(0)
	; wave barrier
	s_waitcnt lgkmcnt(0)
	s_cbranch_scc0 .LBB5944_75
; %bb.53:
	v_add_u16_sdwa v14, v22, v11 dst_sel:DWORD dst_unused:UNUSED_PAD src0_sel:DWORD src1_sel:WORD_1
	v_add_u16_e32 v14, v14, v12
	v_add_u16_sdwa v14, v14, v12 dst_sel:DWORD dst_unused:UNUSED_PAD src0_sel:DWORD src1_sel:WORD_1
	v_add_u16_e32 v14, v14, v13
	;; [unrolled: 2-line block ×10, first 2 shown]
	v_mbcnt_hi_u32_b32 v15, -1, v21
	v_add_u16_sdwa v14, v14, v5 dst_sel:DWORD dst_unused:UNUSED_PAD src0_sel:DWORD src1_sel:WORD_1
	v_and_b32_e32 v16, 15, v15
	v_cmp_ne_u32_e64 s[0:1], 0, v16
	v_mov_b32_dpp v17, v14 row_shr:1 row_mask:0xf bank_mask:0xf
	v_cndmask_b32_e64 v17, 0, v17, s[0:1]
	v_add_u16_e32 v14, v17, v14
	v_cmp_lt_u32_e64 s[0:1], 1, v16
	s_nop 0
	v_mov_b32_dpp v17, v14 row_shr:2 row_mask:0xf bank_mask:0xf
	v_cndmask_b32_e64 v17, 0, v17, s[0:1]
	v_add_u16_e32 v14, v14, v17
	v_cmp_lt_u32_e64 s[0:1], 3, v16
	s_nop 0
	;; [unrolled: 5-line block ×3, first 2 shown]
	v_mov_b32_dpp v17, v14 row_shr:8 row_mask:0xf bank_mask:0xf
	v_cndmask_b32_e64 v16, 0, v17, s[0:1]
	v_add_u16_e32 v14, v14, v16
	v_and_b32_e32 v17, 16, v15
	v_cmp_ne_u32_e64 s[0:1], 0, v17
	v_mov_b32_dpp v16, v14 row_bcast:15 row_mask:0xf bank_mask:0xf
	v_cndmask_b32_e64 v16, 0, v16, s[0:1]
	v_add_u16_e32 v14, v14, v16
	v_cmp_lt_u32_e64 s[0:1], 31, v15
	s_nop 0
	v_mov_b32_dpp v16, v14 row_bcast:31 row_mask:0xf bank_mask:0xf
	v_cndmask_b32_e64 v16, 0, v16, s[0:1]
	v_add_u16_e32 v14, v14, v16
	s_and_saveexec_b64 s[0:1], vcc
	s_cbranch_execz .LBB5944_55
; %bb.54:
	v_mov_b32_e32 v16, 0
	ds_write_b16 v16, v14
.LBB5944_55:
	s_or_b64 exec, exec, s[0:1]
	v_add_u32_e32 v16, -1, v15
	v_and_b32_e32 v17, 64, v15
	v_cmp_lt_i32_e32 vcc, v16, v17
	v_cndmask_b32_e32 v16, v16, v15, vcc
	v_lshlrev_b32_e32 v16, 2, v16
	ds_bpermute_b32 v23, v16, v14
	v_cmp_gt_u32_e32 vcc, 64, v0
	s_waitcnt lgkmcnt(0)
	; wave barrier
	s_waitcnt lgkmcnt(0)
	s_and_saveexec_b64 s[10:11], vcc
	s_cbranch_execz .LBB5944_74
; %bb.56:
	v_mov_b32_e32 v17, 0
	ds_read_u16 v24, v17
	s_mov_b32 s9, 0
	v_cmp_eq_u32_e64 s[0:1], 0, v15
	s_and_saveexec_b64 s[2:3], s[0:1]
	s_cbranch_execz .LBB5944_58
; %bb.57:
	s_add_i32 s8, s6, 64
	s_lshl_b64 s[8:9], s[8:9], 2
	s_add_u32 s8, s18, s8
	s_waitcnt lgkmcnt(0)
	v_or_b32_e32 v14, 0x10000, v24
	s_addc_u32 s9, s19, s9
	global_store_dword v17, v14, s[8:9]
.LBB5944_58:
	s_or_b64 exec, exec, s[2:3]
	v_xad_u32 v14, v15, -1, s6
	v_add_u32_e32 v16, 64, v14
	v_lshlrev_b64 v[18:19], 2, v[16:17]
	v_mov_b32_e32 v16, s19
	v_add_co_u32_e32 v18, vcc, s18, v18
	v_addc_co_u32_e32 v19, vcc, v16, v19, vcc
	global_load_dword v37, v[18:19], off glc
	s_waitcnt vmcnt(0)
	v_lshrrev_b32_e32 v26, 16, v37
	v_cmp_eq_u16_sdwa s[8:9], v26, v17 src0_sel:BYTE_0 src1_sel:DWORD
	s_and_saveexec_b64 s[2:3], s[8:9]
	s_cbranch_execz .LBB5944_62
; %bb.59:
	s_mov_b64 s[8:9], 0
	v_mov_b32_e32 v16, 0
.LBB5944_60:                            ; =>This Inner Loop Header: Depth=1
	global_load_dword v37, v[18:19], off glc
	s_waitcnt vmcnt(0)
	v_lshrrev_b32_e32 v26, 16, v37
	v_cmp_ne_u16_sdwa s[12:13], v26, v16 src0_sel:BYTE_0 src1_sel:DWORD
	s_or_b64 s[8:9], s[12:13], s[8:9]
	s_andn2_b64 exec, exec, s[8:9]
	s_cbranch_execnz .LBB5944_60
; %bb.61:
	s_or_b64 exec, exec, s[8:9]
.LBB5944_62:
	s_or_b64 exec, exec, s[2:3]
	v_and_b32_e32 v27, 63, v15
	v_cmp_ne_u32_e32 vcc, 63, v27
	v_mov_b32_e32 v25, 2
	v_addc_co_u32_e32 v28, vcc, 0, v15, vcc
	v_cmp_eq_u16_sdwa s[2:3], v26, v25 src0_sel:BYTE_0 src1_sel:DWORD
	v_lshlrev_b64 v[16:17], v15, -1
	v_and_b32_e32 v29, 0xffff, v37
	v_lshlrev_b32_e32 v28, 2, v28
	v_and_b32_e32 v18, s3, v17
	ds_bpermute_b32 v30, v28, v29
	v_or_b32_e32 v18, 0x80000000, v18
	v_and_b32_e32 v19, s2, v16
	v_ffbl_b32_e32 v18, v18
	v_add_u32_e32 v18, 32, v18
	v_ffbl_b32_e32 v19, v19
	v_min_u32_e32 v18, v19, v18
	s_waitcnt lgkmcnt(0)
	v_add_u16_e32 v19, v30, v37
	v_cmp_lt_u32_e32 vcc, v27, v18
	v_cmp_gt_u32_e64 s[2:3], 62, v27
	v_cndmask_b32_e32 v31, v29, v19, vcc
	v_cndmask_b32_e64 v29, 0, 1, s[2:3]
	v_lshlrev_b32_e32 v29, 1, v29
	v_add_lshl_u32 v29, v29, v15, 2
	ds_bpermute_b32 v32, v29, v31
	v_cndmask_b32_e32 v19, v37, v19, vcc
	v_add_u32_e32 v30, 2, v27
	v_cmp_gt_u32_e64 s[2:3], v30, v18
	v_cmp_gt_u32_e64 s[8:9], 60, v27
	s_waitcnt lgkmcnt(0)
	v_add_u16_e32 v32, v19, v32
	v_cndmask_b32_e64 v33, v32, v31, s[2:3]
	v_cndmask_b32_e64 v31, 0, 1, s[8:9]
	v_lshlrev_b32_e32 v31, 2, v31
	v_add_lshl_u32 v31, v31, v15, 2
	ds_bpermute_b32 v34, v31, v33
	v_cndmask_b32_e64 v19, v32, v19, s[2:3]
	v_add_u32_e32 v32, 4, v27
	v_cmp_gt_u32_e64 s[2:3], v32, v18
	v_cmp_gt_u32_e64 s[8:9], 56, v27
	s_waitcnt lgkmcnt(0)
	v_add_u16_e32 v34, v19, v34
	v_cndmask_b32_e64 v35, v34, v33, s[2:3]
	v_cndmask_b32_e64 v33, 0, 1, s[8:9]
	v_lshlrev_b32_e32 v33, 3, v33
	v_add_lshl_u32 v33, v33, v15, 2
	ds_bpermute_b32 v36, v33, v35
	v_cndmask_b32_e64 v19, v34, v19, s[2:3]
	;; [unrolled: 11-line block ×3, first 2 shown]
	v_add_u32_e32 v36, 16, v27
	v_cmp_gt_u32_e64 s[2:3], v36, v18
	v_cmp_gt_u32_e64 s[8:9], 32, v27
	s_waitcnt lgkmcnt(0)
	v_add_u16_e32 v40, v19, v39
	v_cndmask_b32_e64 v39, v40, v38, s[2:3]
	v_cndmask_b32_e64 v38, 0, 1, s[8:9]
	v_lshlrev_b32_e32 v38, 5, v38
	v_add_lshl_u32 v38, v38, v15, 2
	ds_bpermute_b32 v15, v38, v39
	v_add_u32_e32 v39, 32, v27
	v_cndmask_b32_e64 v19, v40, v19, s[2:3]
	v_cmp_le_u32_e64 s[2:3], v39, v18
	s_waitcnt lgkmcnt(0)
	v_cndmask_b32_e64 v15, 0, v15, s[2:3]
	v_add_u16_e32 v15, v19, v15
	v_cndmask_b32_e32 v18, v37, v15, vcc
	v_mov_b32_e32 v15, 0
	s_branch .LBB5944_64
.LBB5944_63:                            ;   in Loop: Header=BB5944_64 Depth=1
	s_or_b64 exec, exec, s[2:3]
	v_cmp_eq_u16_sdwa s[2:3], v26, v25 src0_sel:BYTE_0 src1_sel:DWORD
	v_and_b32_e32 v41, 0xffff, v40
	v_and_b32_e32 v18, s3, v17
	ds_bpermute_b32 v42, v28, v41
	v_or_b32_e32 v18, 0x80000000, v18
	v_and_b32_e32 v19, s2, v16
	v_ffbl_b32_e32 v18, v18
	v_add_u32_e32 v18, 32, v18
	v_ffbl_b32_e32 v19, v19
	v_min_u32_e32 v18, v19, v18
	s_waitcnt lgkmcnt(0)
	v_add_u16_e32 v19, v42, v40
	v_cmp_lt_u32_e32 vcc, v27, v18
	v_cndmask_b32_e32 v41, v41, v19, vcc
	ds_bpermute_b32 v42, v29, v41
	v_cndmask_b32_e32 v19, v40, v19, vcc
	v_cmp_gt_u32_e64 s[2:3], v30, v18
	v_subrev_u32_e32 v14, 64, v14
	s_waitcnt lgkmcnt(0)
	v_add_u16_e32 v42, v19, v42
	v_cndmask_b32_e64 v41, v42, v41, s[2:3]
	ds_bpermute_b32 v43, v31, v41
	v_cndmask_b32_e64 v19, v42, v19, s[2:3]
	v_cmp_gt_u32_e64 s[2:3], v32, v18
	s_waitcnt lgkmcnt(0)
	v_add_u16_e32 v42, v19, v43
	v_cndmask_b32_e64 v41, v42, v41, s[2:3]
	ds_bpermute_b32 v43, v33, v41
	v_cndmask_b32_e64 v19, v42, v19, s[2:3]
	v_cmp_gt_u32_e64 s[2:3], v34, v18
	;; [unrolled: 6-line block ×3, first 2 shown]
	s_waitcnt lgkmcnt(0)
	v_add_u16_e32 v42, v19, v43
	v_cndmask_b32_e64 v41, v42, v41, s[2:3]
	ds_bpermute_b32 v41, v38, v41
	v_cndmask_b32_e64 v19, v42, v19, s[2:3]
	v_cmp_le_u32_e64 s[2:3], v39, v18
	s_waitcnt lgkmcnt(0)
	v_cndmask_b32_e64 v18, 0, v41, s[2:3]
	v_add_u16_e32 v18, v19, v18
	v_cndmask_b32_e32 v18, v40, v18, vcc
	v_add_u16_e32 v18, v18, v37
.LBB5944_64:                            ; =>This Loop Header: Depth=1
                                        ;     Child Loop BB5944_67 Depth 2
	v_cmp_ne_u16_sdwa s[2:3], v26, v25 src0_sel:BYTE_0 src1_sel:DWORD
	v_cndmask_b32_e64 v19, 0, 1, s[2:3]
	;;#ASMSTART
	;;#ASMEND
	v_cmp_ne_u32_e32 vcc, 0, v19
	s_cmp_lg_u64 vcc, exec
	v_mov_b32_e32 v37, v18
	s_cbranch_scc1 .LBB5944_69
; %bb.65:                               ;   in Loop: Header=BB5944_64 Depth=1
	v_lshlrev_b64 v[18:19], 2, v[14:15]
	v_mov_b32_e32 v26, s19
	v_add_co_u32_e32 v18, vcc, s18, v18
	v_addc_co_u32_e32 v19, vcc, v26, v19, vcc
	global_load_dword v40, v[18:19], off glc
	s_waitcnt vmcnt(0)
	v_lshrrev_b32_e32 v26, 16, v40
	v_cmp_eq_u16_sdwa s[8:9], v26, v15 src0_sel:BYTE_0 src1_sel:DWORD
	s_and_saveexec_b64 s[2:3], s[8:9]
	s_cbranch_execz .LBB5944_63
; %bb.66:                               ;   in Loop: Header=BB5944_64 Depth=1
	s_mov_b64 s[8:9], 0
.LBB5944_67:                            ;   Parent Loop BB5944_64 Depth=1
                                        ; =>  This Inner Loop Header: Depth=2
	global_load_dword v40, v[18:19], off glc
	s_waitcnt vmcnt(0)
	v_lshrrev_b32_e32 v26, 16, v40
	v_cmp_ne_u16_sdwa s[12:13], v26, v15 src0_sel:BYTE_0 src1_sel:DWORD
	s_or_b64 s[8:9], s[12:13], s[8:9]
	s_andn2_b64 exec, exec, s[8:9]
	s_cbranch_execnz .LBB5944_67
; %bb.68:                               ;   in Loop: Header=BB5944_64 Depth=1
	s_or_b64 exec, exec, s[8:9]
	s_branch .LBB5944_63
.LBB5944_69:                            ;   in Loop: Header=BB5944_64 Depth=1
                                        ; implicit-def: $vgpr18
                                        ; implicit-def: $vgpr26
	s_cbranch_execz .LBB5944_64
; %bb.70:
	s_and_saveexec_b64 s[2:3], s[0:1]
	s_cbranch_execz .LBB5944_72
; %bb.71:
	s_add_i32 s0, s6, 64
	s_mov_b32 s1, 0
	s_lshl_b64 s[0:1], s[0:1], 2
	v_add_u16_e32 v14, v37, v24
	s_add_u32 s0, s18, s0
	v_or_b32_e32 v14, 0x20000, v14
	s_addc_u32 s1, s19, s1
	v_mov_b32_e32 v15, 0
	global_store_dword v15, v14, s[0:1]
.LBB5944_72:
	s_or_b64 exec, exec, s[2:3]
	v_cmp_eq_u32_e32 vcc, 0, v0
	s_and_b64 exec, exec, vcc
	s_cbranch_execz .LBB5944_74
; %bb.73:
	v_mov_b32_e32 v14, 0
	ds_write_b16 v14, v37
.LBB5944_74:
	s_or_b64 exec, exec, s[10:11]
	v_mov_b32_e32 v14, 0
	s_waitcnt lgkmcnt(0)
	; wave barrier
	s_waitcnt lgkmcnt(0)
	ds_read_u16 v14, v14
	v_cmp_ne_u32_e32 vcc, 0, v0
	v_cndmask_b32_e32 v15, 0, v23, vcc
	s_waitcnt lgkmcnt(0)
	v_add_u16_e32 v15, v14, v15
	s_load_dwordx8 s[8:15], s[4:5], 0x40
	s_branch .LBB5944_83
.LBB5944_75:
                                        ; implicit-def: $vgpr15
	s_load_dwordx8 s[8:15], s[4:5], 0x40
	s_cbranch_execz .LBB5944_83
; %bb.76:
	s_load_dword s0, s[4:5], 0x28
	s_waitcnt lgkmcnt(0)
	s_cmp_eq_u64 s[12:13], 0
	v_mov_b32_e32 v14, s0
	s_cbranch_scc1 .LBB5944_78
; %bb.77:
	v_mov_b32_e32 v15, s22
	v_add_co_u32_e64 v14, vcc, -2, s21
	v_addc_co_u32_e32 v15, vcc, -1, v15, vcc
	v_mov_b32_e32 v16, 0
	flat_load_ushort v17, v[14:15]
	global_load_ushort v18, v16, s[8:9]
	s_waitcnt vmcnt(0) lgkmcnt(0)
	v_add_u16_e32 v14, v18, v17
.LBB5944_78:
	v_add_u16_sdwa v15, v22, v11 dst_sel:DWORD dst_unused:UNUSED_PAD src0_sel:DWORD src1_sel:WORD_1
	v_add_u16_e32 v15, v15, v12
	v_add_u16_sdwa v15, v15, v12 dst_sel:DWORD dst_unused:UNUSED_PAD src0_sel:DWORD src1_sel:WORD_1
	v_add_u16_e32 v15, v15, v13
	;; [unrolled: 2-line block ×10, first 2 shown]
	v_add_u16_sdwa v16, v15, v5 dst_sel:DWORD dst_unused:UNUSED_PAD src0_sel:DWORD src1_sel:WORD_1
	v_mbcnt_hi_u32_b32 v15, -1, v21
	v_and_b32_e32 v17, 15, v15
	v_mov_b32_dpp v18, v16 row_shr:1 row_mask:0xf bank_mask:0xf
	v_cmp_ne_u32_e32 vcc, 0, v17
	v_cndmask_b32_e32 v18, 0, v18, vcc
	v_add_u16_e32 v16, v18, v16
	v_cmp_lt_u32_e32 vcc, 1, v17
	s_nop 0
	v_mov_b32_dpp v18, v16 row_shr:2 row_mask:0xf bank_mask:0xf
	v_cndmask_b32_e32 v18, 0, v18, vcc
	v_add_u16_e32 v16, v16, v18
	v_cmp_lt_u32_e32 vcc, 3, v17
	s_nop 0
	v_mov_b32_dpp v18, v16 row_shr:4 row_mask:0xf bank_mask:0xf
	;; [unrolled: 5-line block ×3, first 2 shown]
	v_cndmask_b32_e32 v17, 0, v18, vcc
	v_add_u16_e32 v16, v16, v17
	v_and_b32_e32 v18, 16, v15
	v_cmp_ne_u32_e32 vcc, 0, v18
	v_mov_b32_dpp v17, v16 row_bcast:15 row_mask:0xf bank_mask:0xf
	v_cndmask_b32_e32 v17, 0, v17, vcc
	v_add_u16_e32 v16, v16, v17
	v_cmp_lt_u32_e32 vcc, 31, v15
	s_nop 0
	v_mov_b32_dpp v17, v16 row_bcast:31 row_mask:0xf bank_mask:0xf
	v_cndmask_b32_e32 v17, 0, v17, vcc
	v_add_u16_e32 v16, v16, v17
	v_cmp_eq_u32_e32 vcc, 63, v0
	s_and_saveexec_b64 s[0:1], vcc
	s_cbranch_execz .LBB5944_80
; %bb.79:
	v_mov_b32_e32 v17, 0
	ds_write_b16 v17, v16
.LBB5944_80:
	s_or_b64 exec, exec, s[0:1]
	v_add_u32_e32 v17, -1, v15
	v_and_b32_e32 v18, 64, v15
	v_cmp_lt_i32_e32 vcc, v17, v18
	v_cndmask_b32_e32 v17, v17, v15, vcc
	v_add_u16_e32 v16, v16, v14
	v_lshlrev_b32_e32 v17, 2, v17
	ds_bpermute_b32 v16, v17, v16
	v_cmp_eq_u32_e32 vcc, 0, v15
	v_cmp_eq_u32_e64 s[0:1], 0, v0
	s_or_b64 vcc, s[0:1], vcc
	s_waitcnt lgkmcnt(0)
	v_cndmask_b32_e32 v15, v16, v14, vcc
	; wave barrier
	s_and_saveexec_b64 s[2:3], s[0:1]
	s_cbranch_execz .LBB5944_82
; %bb.81:
	v_mov_b32_e32 v15, 0
	ds_read_u16 v16, v15
	s_waitcnt lgkmcnt(0)
	v_add_u16_e32 v16, v16, v14
	v_or_b32_e32 v16, 0x20000, v16
	global_store_dword v15, v16, s[18:19] offset:256
	v_mov_b32_e32 v15, v14
.LBB5944_82:
	s_or_b64 exec, exec, s[2:3]
.LBB5944_83:
	v_add_u16_e32 v14, v15, v10
	v_add_u16_sdwa v10, v14, v10 dst_sel:DWORD dst_unused:UNUSED_PAD src0_sel:DWORD src1_sel:WORD_1
	v_add_u16_e32 v16, v10, v11
	v_add_u16_sdwa v11, v16, v11 dst_sel:DWORD dst_unused:UNUSED_PAD src0_sel:DWORD src1_sel:WORD_1
	;; [unrolled: 2-line block ×11, first 2 shown]
	s_mov_b32 s0, 0x5040100
	v_add_u16_e32 v30, v29, v5
	v_perm_b32 v3, v16, v10, s0
	v_perm_b32 v4, v17, v11, s0
	;; [unrolled: 1-line block ×4, first 2 shown]
	s_waitcnt lgkmcnt(0)
	; wave barrier
	s_waitcnt lgkmcnt(0)
	ds_write_b128 v1, v[2:5]
	v_perm_b32 v2, v19, v13, s0
	v_perm_b32 v3, v21, v6, s0
	;; [unrolled: 1-line block ×4, first 2 shown]
	ds_write_b128 v1, v[2:5] offset:16
	v_perm_b32 v2, v24, v9, s0
	v_perm_b32 v3, v26, v25, s0
	;; [unrolled: 1-line block ×4, first 2 shown]
	s_mov_b64 s[0:1], -1
	s_and_b64 vcc, exec, s[16:17]
	ds_write_b128 v1, v[2:5] offset:32
	s_waitcnt lgkmcnt(0)
	s_cbranch_vccz .LBB5944_85
; %bb.84:
	; wave barrier
	s_mov_b64 s[0:1], 0
.LBB5944_85:
	s_andn2_b64 vcc, exec, s[0:1]
	s_cbranch_vccnz .LBB5944_94
; %bb.86:
	v_cmp_lt_u64_e64 s[0:1], s[14:15], 2
	s_and_b64 vcc, exec, s[0:1]
	; wave barrier
	s_cbranch_vccnz .LBB5944_94
; %bb.87:
	s_add_u32 s0, s7, -1
	s_addc_u32 s1, s20, -1
	s_add_u32 s2, 0, 0xaaaa0000
	s_addc_u32 s3, 0, 42
	s_add_i32 s3, s3, 0xaaaaa80
	s_mul_hi_u32 s7, s2, 0xffffffe8
	s_sub_i32 s7, s7, s2
	s_mul_i32 s8, s3, 0xffffffe8
	s_mul_i32 s4, s2, 0xffffffe8
	s_add_i32 s7, s7, s8
	s_mul_hi_u32 s5, s3, s4
	s_mul_i32 s6, s3, s4
	s_mul_i32 s9, s2, s7
	s_mul_hi_u32 s4, s2, s4
	s_mul_hi_u32 s8, s2, s7
	s_add_u32 s4, s4, s9
	s_addc_u32 s8, 0, s8
	s_add_u32 s4, s4, s6
	s_mul_hi_u32 s9, s3, s7
	s_addc_u32 s4, s8, s5
	s_addc_u32 s5, s9, 0
	s_mul_i32 s6, s3, s7
	s_add_u32 s4, s4, s6
	v_mov_b32_e32 v2, s4
	s_addc_u32 s5, 0, s5
	v_add_co_u32_e32 v2, vcc, s2, v2
	s_cmp_lg_u64 vcc, 0
	s_addc_u32 s2, s3, s5
	v_readfirstlane_b32 s5, v2
	s_mul_i32 s4, s0, s2
	s_mul_hi_u32 s6, s0, s5
	s_mul_hi_u32 s3, s0, s2
	s_add_u32 s4, s6, s4
	s_addc_u32 s3, 0, s3
	s_mul_hi_u32 s7, s1, s5
	s_mul_i32 s5, s1, s5
	s_add_u32 s4, s4, s5
	s_mul_hi_u32 s6, s1, s2
	s_addc_u32 s3, s3, s7
	s_addc_u32 s4, s6, 0
	s_mul_i32 s2, s1, s2
	s_add_u32 s2, s3, s2
	s_addc_u32 s3, 0, s4
	s_add_u32 s4, s2, 1
	s_addc_u32 s5, s3, 0
	s_add_u32 s6, s2, 2
	s_mul_i32 s8, s3, 24
	s_mul_hi_u32 s9, s2, 24
	s_addc_u32 s7, s3, 0
	s_add_i32 s9, s9, s8
	s_mul_i32 s8, s2, 24
	v_mov_b32_e32 v2, s8
	v_sub_co_u32_e32 v2, vcc, s0, v2
	s_cmp_lg_u64 vcc, 0
	s_subb_u32 s8, s1, s9
	v_subrev_co_u32_e32 v3, vcc, 24, v2
	s_cmp_lg_u64 vcc, 0
	s_subb_u32 s9, s8, 0
	v_readfirstlane_b32 s12, v3
	s_cmp_gt_u32 s12, 23
	s_cselect_b32 s12, -1, 0
	s_cmp_eq_u32 s9, 0
	s_cselect_b32 s9, s12, -1
	s_cmp_lg_u32 s9, 0
	s_cselect_b32 s4, s6, s4
	v_readfirstlane_b32 s6, v2
	s_cselect_b32 s5, s7, s5
	s_cmp_gt_u32 s6, 23
	s_cselect_b32 s6, -1, 0
	s_cmp_eq_u32 s8, 0
	s_cselect_b32 s6, s6, -1
	s_cmp_lg_u32 s6, 0
	v_mov_b32_e32 v1, 0
	s_cselect_b32 s3, s5, s3
	s_cselect_b32 s2, s4, s2
	v_cmp_eq_u64_e32 vcc, s[2:3], v[0:1]
	s_and_saveexec_b64 s[2:3], vcc
	s_cbranch_execz .LBB5944_94
; %bb.88:
	v_lshlrev_b32_e32 v2, 1, v0
	v_mul_hi_u32_u24_e32 v1, 24, v0
	v_mov_b32_e32 v3, s1
	v_sub_co_u32_e32 v0, vcc, s0, v20
	v_subb_co_u32_e32 v1, vcc, v3, v1, vcc
	v_cmp_lt_i64_e32 vcc, 11, v[0:1]
	s_mov_b64 s[0:1], 0
	s_mov_b64 s[8:9], 0
	;; [unrolled: 1-line block ×4, first 2 shown]
                                        ; implicit-def: $vgpr3
                                        ; implicit-def: $vgpr4
                                        ; implicit-def: $vgpr5
	s_and_saveexec_b64 s[2:3], vcc
	s_xor_b64 s[2:3], exec, s[2:3]
	s_cbranch_execnz .LBB5944_95
; %bb.89:
	s_andn2_saveexec_b64 s[2:3], s[2:3]
	s_cbranch_execnz .LBB5944_140
.LBB5944_90:
	s_or_b64 exec, exec, s[2:3]
	s_and_saveexec_b64 s[2:3], s[8:9]
	s_cbranch_execnz .LBB5944_157
.LBB5944_91:
	s_or_b64 exec, exec, s[2:3]
	s_and_saveexec_b64 s[2:3], s[6:7]
	s_cbranch_execnz .LBB5944_158
.LBB5944_92:
	s_or_b64 exec, exec, s[2:3]
	s_and_saveexec_b64 s[2:3], s[4:5]
	s_xor_b64 s[2:3], exec, s[2:3]
	s_cbranch_execnz .LBB5944_159
.LBB5944_93:
	s_or_b64 exec, exec, s[2:3]
	s_and_b64 exec, exec, s[0:1]
	s_cbranch_execnz .LBB5944_160
.LBB5944_94:
	s_endpgm
.LBB5944_95:
	v_cmp_lt_i64_e32 vcc, 17, v[0:1]
                                        ; implicit-def: $vgpr3
                                        ; implicit-def: $vgpr4
                                        ; implicit-def: $vgpr5
	s_and_saveexec_b64 s[12:13], vcc
	s_xor_b64 s[12:13], exec, s[12:13]
	s_cbranch_execz .LBB5944_117
; %bb.96:
	v_cmp_lt_i64_e32 vcc, 20, v[0:1]
                                        ; implicit-def: $vgpr3
                                        ; implicit-def: $vgpr4
	s_and_saveexec_b64 s[14:15], vcc
	s_xor_b64 s[14:15], exec, s[14:15]
	s_cbranch_execz .LBB5944_106
; %bb.97:
	v_cmp_lt_i64_e32 vcc, 21, v[0:1]
	s_mov_b64 s[16:17], 0
                                        ; implicit-def: $vgpr3
	s_and_saveexec_b64 s[4:5], vcc
	s_xor_b64 s[4:5], exec, s[4:5]
	s_cbranch_execz .LBB5944_103
; %bb.98:
	v_cmp_lt_i64_e32 vcc, 22, v[0:1]
	s_and_saveexec_b64 s[16:17], vcc
	s_xor_b64 s[16:17], exec, s[16:17]
	s_cbranch_execz .LBB5944_100
; %bb.99:
	ds_read_u16 v3, v2 offset:2944
	v_mov_b32_e32 v4, 0
	s_waitcnt lgkmcnt(0)
	global_store_short v4, v3, s[10:11]
.LBB5944_100:
	s_or_saveexec_b64 s[16:17], s[16:17]
	s_mov_b64 s[18:19], 0
                                        ; implicit-def: $vgpr3
	s_xor_b64 exec, exec, s[16:17]
	s_cbranch_execz .LBB5944_102
; %bb.101:
	ds_read_u16 v3, v2 offset:2816
	s_mov_b64 s[18:19], exec
.LBB5944_102:
	s_or_b64 exec, exec, s[16:17]
	s_and_b64 s[16:17], s[18:19], exec
.LBB5944_103:
	s_or_saveexec_b64 s[4:5], s[4:5]
                                        ; implicit-def: $vgpr4
	s_xor_b64 exec, exec, s[4:5]
	s_cbranch_execz .LBB5944_105
; %bb.104:
	ds_read_u16 v4, v2 offset:2688
	s_mov_b64 s[6:7], exec
                                        ; implicit-def: $vgpr3
.LBB5944_105:
	s_or_b64 exec, exec, s[4:5]
	s_and_b64 s[4:5], s[16:17], exec
	s_and_b64 s[6:7], s[6:7], exec
.LBB5944_106:
	s_or_saveexec_b64 s[14:15], s[14:15]
                                        ; implicit-def: $vgpr5
	s_xor_b64 exec, exec, s[14:15]
	s_cbranch_execz .LBB5944_116
; %bb.107:
	v_cmp_lt_i64_e32 vcc, 18, v[0:1]
	s_mov_b64 s[16:17], 0
                                        ; implicit-def: $vgpr5
	s_and_saveexec_b64 s[8:9], vcc
	s_xor_b64 s[8:9], exec, s[8:9]
	s_cbranch_execz .LBB5944_113
; %bb.108:
	v_cmp_lt_i64_e32 vcc, 19, v[0:1]
                                        ; implicit-def: $vgpr5
	s_and_saveexec_b64 s[18:19], vcc
	s_xor_b64 s[18:19], exec, s[18:19]
	s_cbranch_execz .LBB5944_110
; %bb.109:
	ds_read_u16 v5, v2 offset:2560
	s_mov_b64 s[16:17], exec
.LBB5944_110:
	s_andn2_saveexec_b64 s[18:19], s[18:19]
	s_cbranch_execz .LBB5944_112
; %bb.111:
	s_waitcnt lgkmcnt(0)
	ds_read_u16 v3, v2 offset:2432
	v_mov_b32_e32 v4, 0
                                        ; implicit-def: $vgpr5
	s_waitcnt lgkmcnt(0)
	global_store_short v4, v3, s[10:11]
.LBB5944_112:
	s_or_b64 exec, exec, s[18:19]
	s_and_b64 s[16:17], s[16:17], exec
.LBB5944_113:
	s_andn2_saveexec_b64 s[8:9], s[8:9]
	s_cbranch_execz .LBB5944_115
; %bb.114:
	s_waitcnt lgkmcnt(0)
	ds_read_u16 v3, v2 offset:2304
	v_mov_b32_e32 v4, 0
                                        ; implicit-def: $vgpr5
	s_waitcnt lgkmcnt(0)
	global_store_short v4, v3, s[10:11]
.LBB5944_115:
	s_or_b64 exec, exec, s[8:9]
	s_and_b64 s[8:9], s[16:17], exec
                                        ; implicit-def: $vgpr3
                                        ; implicit-def: $vgpr4
.LBB5944_116:
	s_or_b64 exec, exec, s[14:15]
	s_and_b64 s[4:5], s[4:5], exec
	s_and_b64 s[6:7], s[6:7], exec
	;; [unrolled: 1-line block ×3, first 2 shown]
.LBB5944_117:
	s_andn2_saveexec_b64 s[12:13], s[12:13]
	s_cbranch_execz .LBB5944_139
; %bb.118:
	v_cmp_lt_i64_e32 vcc, 14, v[0:1]
	s_mov_b64 s[14:15], s[4:5]
                                        ; implicit-def: $vgpr3
	s_and_saveexec_b64 s[16:17], vcc
	s_xor_b64 s[16:17], exec, s[16:17]
	s_cbranch_execz .LBB5944_128
; %bb.119:
	v_cmp_lt_i64_e32 vcc, 15, v[0:1]
	s_and_saveexec_b64 s[14:15], vcc
	s_xor_b64 s[14:15], exec, s[14:15]
	s_cbranch_execz .LBB5944_125
; %bb.120:
	v_cmp_lt_i64_e32 vcc, 16, v[0:1]
	s_and_saveexec_b64 s[18:19], vcc
	s_xor_b64 s[18:19], exec, s[18:19]
	s_cbranch_execz .LBB5944_122
; %bb.121:
	s_waitcnt lgkmcnt(0)
	ds_read_u16 v3, v2 offset:2176
	v_mov_b32_e32 v4, 0
	s_waitcnt lgkmcnt(0)
	global_store_short v4, v3, s[10:11]
.LBB5944_122:
	s_andn2_saveexec_b64 s[18:19], s[18:19]
	s_cbranch_execz .LBB5944_124
; %bb.123:
	s_waitcnt lgkmcnt(0)
	ds_read_u16 v3, v2 offset:2048
	v_mov_b32_e32 v4, 0
	s_waitcnt lgkmcnt(0)
	global_store_short v4, v3, s[10:11]
.LBB5944_124:
	s_or_b64 exec, exec, s[18:19]
.LBB5944_125:
	s_or_saveexec_b64 s[14:15], s[14:15]
	s_mov_b64 s[18:19], s[4:5]
                                        ; implicit-def: $vgpr3
	s_xor_b64 exec, exec, s[14:15]
	s_cbranch_execz .LBB5944_127
; %bb.126:
	s_waitcnt lgkmcnt(0)
	ds_read_u16 v3, v2 offset:1920
	s_or_b64 s[18:19], s[4:5], exec
.LBB5944_127:
	s_or_b64 exec, exec, s[14:15]
	s_andn2_b64 s[14:15], s[4:5], exec
	s_and_b64 s[18:19], s[18:19], exec
	s_or_b64 s[14:15], s[14:15], s[18:19]
.LBB5944_128:
	s_or_saveexec_b64 s[16:17], s[16:17]
	s_mov_b64 s[18:19], s[6:7]
                                        ; implicit-def: $vgpr4
	s_xor_b64 exec, exec, s[16:17]
	s_cbranch_execz .LBB5944_138
; %bb.129:
	v_cmp_lt_i64_e32 vcc, 12, v[0:1]
	s_mov_b64 s[20:21], s[6:7]
	s_mov_b64 s[22:23], s[14:15]
                                        ; implicit-def: $vgpr3
                                        ; implicit-def: $vgpr4
	s_and_saveexec_b64 s[18:19], vcc
	s_xor_b64 s[18:19], exec, s[18:19]
	s_cbranch_execz .LBB5944_135
; %bb.130:
	v_cmp_lt_i64_e32 vcc, 13, v[0:1]
	s_mov_b64 s[20:21], s[14:15]
                                        ; implicit-def: $vgpr3
	s_and_saveexec_b64 s[22:23], vcc
	s_xor_b64 s[22:23], exec, s[22:23]
	s_cbranch_execz .LBB5944_132
; %bb.131:
	s_waitcnt lgkmcnt(0)
	ds_read_u16 v3, v2 offset:1792
	s_or_b64 s[20:21], s[14:15], exec
.LBB5944_132:
	s_or_saveexec_b64 s[22:23], s[22:23]
	s_mov_b64 s[24:25], s[6:7]
                                        ; implicit-def: $vgpr4
	s_xor_b64 exec, exec, s[22:23]
	s_cbranch_execz .LBB5944_134
; %bb.133:
	s_waitcnt lgkmcnt(0)
	ds_read_u16 v4, v2 offset:1664
	s_or_b64 s[24:25], s[6:7], exec
                                        ; implicit-def: $vgpr3
.LBB5944_134:
	s_or_b64 exec, exec, s[22:23]
	s_andn2_b64 s[22:23], s[14:15], exec
	s_and_b64 s[20:21], s[20:21], exec
	s_or_b64 s[22:23], s[22:23], s[20:21]
	s_andn2_b64 s[20:21], s[6:7], exec
	s_and_b64 s[24:25], s[24:25], exec
	s_or_b64 s[20:21], s[20:21], s[24:25]
.LBB5944_135:
	s_andn2_saveexec_b64 s[18:19], s[18:19]
	s_cbranch_execz .LBB5944_137
; %bb.136:
	s_waitcnt lgkmcnt(0)
	ds_read_u16 v4, v2 offset:1536
	s_or_b64 s[20:21], s[20:21], exec
                                        ; implicit-def: $vgpr3
.LBB5944_137:
	s_or_b64 exec, exec, s[18:19]
	s_andn2_b64 s[14:15], s[14:15], exec
	s_and_b64 s[18:19], s[22:23], exec
	s_or_b64 s[14:15], s[14:15], s[18:19]
	s_andn2_b64 s[18:19], s[6:7], exec
	s_and_b64 s[20:21], s[20:21], exec
	s_or_b64 s[18:19], s[18:19], s[20:21]
.LBB5944_138:
	s_or_b64 exec, exec, s[16:17]
	s_andn2_b64 s[4:5], s[4:5], exec
	s_and_b64 s[14:15], s[14:15], exec
	s_or_b64 s[4:5], s[4:5], s[14:15]
	s_andn2_b64 s[6:7], s[6:7], exec
	s_and_b64 s[14:15], s[18:19], exec
	s_or_b64 s[6:7], s[6:7], s[14:15]
                                        ; implicit-def: $vgpr5
.LBB5944_139:
	s_or_b64 exec, exec, s[12:13]
	s_and_b64 s[4:5], s[4:5], exec
	s_and_b64 s[6:7], s[6:7], exec
	;; [unrolled: 1-line block ×3, first 2 shown]
	s_andn2_saveexec_b64 s[2:3], s[2:3]
	s_cbranch_execz .LBB5944_90
.LBB5944_140:
	v_cmp_lt_i64_e32 vcc, 5, v[0:1]
	s_mov_b64 s[14:15], -1
	s_mov_b64 s[12:13], s[8:9]
	s_mov_b64 s[16:17], s[6:7]
	;; [unrolled: 1-line block ×3, first 2 shown]
                                        ; implicit-def: $vgpr3
                                        ; implicit-def: $vgpr4
                                        ; implicit-def: $vgpr5
	s_and_saveexec_b64 s[0:1], vcc
	s_cbranch_execz .LBB5944_156
; %bb.141:
	v_cmp_lt_i64_e32 vcc, 8, v[0:1]
	s_mov_b64 s[12:13], s[8:9]
                                        ; implicit-def: $vgpr5
	s_and_saveexec_b64 s[14:15], vcc
	s_xor_b64 s[14:15], exec, s[14:15]
	s_cbranch_execz .LBB5944_151
; %bb.142:
	v_cmp_lt_i64_e32 vcc, 9, v[0:1]
                                        ; implicit-def: $vgpr5
	s_and_saveexec_b64 s[12:13], vcc
	s_xor_b64 s[12:13], exec, s[12:13]
	s_cbranch_execz .LBB5944_148
; %bb.143:
	v_cmp_lt_i64_e32 vcc, 10, v[0:1]
                                        ; implicit-def: $vgpr5
	s_and_saveexec_b64 s[16:17], vcc
	s_xor_b64 s[16:17], exec, s[16:17]
	s_cbranch_execz .LBB5944_145
; %bb.144:
	s_waitcnt lgkmcnt(0)
	ds_read_u16 v5, v2 offset:1408
.LBB5944_145:
	s_andn2_saveexec_b64 s[16:17], s[16:17]
	s_cbranch_execz .LBB5944_147
; %bb.146:
	s_waitcnt lgkmcnt(0)
	ds_read_u16 v5, v2 offset:1280
.LBB5944_147:
	s_or_b64 exec, exec, s[16:17]
.LBB5944_148:
	s_andn2_saveexec_b64 s[12:13], s[12:13]
	s_cbranch_execz .LBB5944_150
; %bb.149:
	s_waitcnt lgkmcnt(0)
	ds_read_u16 v5, v2 offset:1152
.LBB5944_150:
	s_or_b64 exec, exec, s[12:13]
	s_or_b64 s[12:13], s[8:9], exec
.LBB5944_151:
	s_or_saveexec_b64 s[14:15], s[14:15]
	s_mov_b64 s[16:17], s[6:7]
	s_mov_b64 s[20:21], s[4:5]
                                        ; implicit-def: $vgpr3
                                        ; implicit-def: $vgpr4
	s_xor_b64 exec, exec, s[14:15]
	s_cbranch_execz .LBB5944_155
; %bb.152:
	s_waitcnt lgkmcnt(0)
	ds_read_u16 v3, v2 offset:768
	v_cmp_lt_i64_e32 vcc, 6, v[0:1]
	s_mov_b64 s[20:21], -1
	s_mov_b64 s[18:19], s[12:13]
	s_mov_b64 s[16:17], s[6:7]
                                        ; implicit-def: $vgpr4
                                        ; implicit-def: $vgpr5
	s_and_saveexec_b64 s[22:23], vcc
	s_cbranch_execz .LBB5944_154
; %bb.153:
	ds_read_u16 v4, v2 offset:896
	ds_read_u16 v5, v2 offset:1024
	v_cmp_lt_i64_e32 vcc, 7, v[0:1]
	s_andn2_b64 s[18:19], s[12:13], exec
	s_and_b64 s[24:25], vcc, exec
	s_xor_b64 s[20:21], exec, -1
	s_or_b64 s[16:17], s[6:7], exec
	s_or_b64 s[18:19], s[18:19], s[24:25]
                                        ; implicit-def: $vgpr3
.LBB5944_154:
	s_or_b64 exec, exec, s[22:23]
	s_andn2_b64 s[22:23], s[4:5], exec
	s_and_b64 s[20:21], s[20:21], exec
	s_or_b64 s[20:21], s[22:23], s[20:21]
	s_andn2_b64 s[22:23], s[6:7], exec
	s_and_b64 s[16:17], s[16:17], exec
	s_andn2_b64 s[12:13], s[12:13], exec
	s_and_b64 s[18:19], s[18:19], exec
	s_or_b64 s[16:17], s[22:23], s[16:17]
	s_or_b64 s[12:13], s[12:13], s[18:19]
.LBB5944_155:
	s_or_b64 exec, exec, s[14:15]
	s_andn2_b64 s[18:19], s[4:5], exec
	s_and_b64 s[20:21], s[20:21], exec
	s_or_b64 s[18:19], s[18:19], s[20:21]
	s_andn2_b64 s[20:21], s[6:7], exec
	s_and_b64 s[16:17], s[16:17], exec
	s_or_b64 s[16:17], s[20:21], s[16:17]
	s_andn2_b64 s[20:21], s[8:9], exec
	s_and_b64 s[12:13], s[12:13], exec
	s_xor_b64 s[14:15], exec, -1
	s_or_b64 s[12:13], s[20:21], s[12:13]
.LBB5944_156:
	s_or_b64 exec, exec, s[0:1]
	s_and_b64 s[0:1], s[14:15], exec
	s_andn2_b64 s[4:5], s[4:5], exec
	s_and_b64 s[14:15], s[18:19], exec
	s_or_b64 s[4:5], s[4:5], s[14:15]
	s_andn2_b64 s[6:7], s[6:7], exec
	s_and_b64 s[14:15], s[16:17], exec
	s_andn2_b64 s[8:9], s[8:9], exec
	s_and_b64 s[12:13], s[12:13], exec
	s_or_b64 s[6:7], s[6:7], s[14:15]
	s_or_b64 s[8:9], s[8:9], s[12:13]
	s_or_b64 exec, exec, s[2:3]
	s_and_saveexec_b64 s[2:3], s[8:9]
	s_cbranch_execz .LBB5944_91
.LBB5944_157:
	s_waitcnt lgkmcnt(0)
	v_mov_b32_e32 v3, 0
	s_andn2_b64 s[6:7], s[6:7], exec
	global_store_short v3, v5, s[10:11]
                                        ; implicit-def: $vgpr3
                                        ; implicit-def: $vgpr4
	s_or_b64 exec, exec, s[2:3]
	s_and_saveexec_b64 s[2:3], s[6:7]
	s_cbranch_execz .LBB5944_92
.LBB5944_158:
	s_waitcnt lgkmcnt(0)
	v_mov_b32_e32 v3, 0
	global_store_short v3, v4, s[10:11]
                                        ; implicit-def: $vgpr3
	s_or_b64 exec, exec, s[2:3]
	s_and_saveexec_b64 s[2:3], s[4:5]
	s_xor_b64 s[2:3], exec, s[2:3]
	s_cbranch_execz .LBB5944_93
.LBB5944_159:
	s_waitcnt lgkmcnt(0)
	v_mov_b32_e32 v4, 0
	global_store_short v4, v3, s[10:11]
	s_or_b64 exec, exec, s[2:3]
	s_and_b64 exec, exec, s[0:1]
	s_cbranch_execz .LBB5944_94
.LBB5944_160:
	v_cmp_lt_i64_e32 vcc, 2, v[0:1]
	s_and_saveexec_b64 s[0:1], vcc
	s_xor_b64 s[0:1], exec, s[0:1]
	s_cbranch_execz .LBB5944_170
; %bb.161:
	v_cmp_lt_i64_e32 vcc, 3, v[0:1]
	s_and_saveexec_b64 s[2:3], vcc
	s_xor_b64 s[2:3], exec, s[2:3]
	s_cbranch_execz .LBB5944_167
; %bb.162:
	;; [unrolled: 5-line block ×3, first 2 shown]
	ds_read_u16 v0, v2 offset:640
	v_mov_b32_e32 v1, 0
                                        ; implicit-def: $vgpr2
	s_waitcnt lgkmcnt(0)
	global_store_short v1, v0, s[10:11]
.LBB5944_164:
	s_andn2_saveexec_b64 s[4:5], s[4:5]
	s_cbranch_execz .LBB5944_166
; %bb.165:
	ds_read_u16 v0, v2 offset:512
	v_mov_b32_e32 v1, 0
	s_waitcnt lgkmcnt(0)
	global_store_short v1, v0, s[10:11]
.LBB5944_166:
	s_or_b64 exec, exec, s[4:5]
                                        ; implicit-def: $vgpr2
.LBB5944_167:
	s_andn2_saveexec_b64 s[2:3], s[2:3]
	s_cbranch_execz .LBB5944_169
; %bb.168:
	ds_read_u16 v0, v2 offset:384
	v_mov_b32_e32 v1, 0
	s_waitcnt lgkmcnt(0)
	global_store_short v1, v0, s[10:11]
.LBB5944_169:
	s_or_b64 exec, exec, s[2:3]
                                        ; implicit-def: $vgpr0_vgpr1
                                        ; implicit-def: $vgpr2
.LBB5944_170:
	s_andn2_saveexec_b64 s[0:1], s[0:1]
	s_cbranch_execz .LBB5944_94
; %bb.171:
	v_cmp_lt_i64_e32 vcc, 1, v[0:1]
	s_and_saveexec_b64 s[0:1], vcc
	s_xor_b64 s[0:1], exec, s[0:1]
	s_cbranch_execz .LBB5944_173
; %bb.172:
	ds_read_u16 v0, v2 offset:256
	v_mov_b32_e32 v1, 0
                                        ; implicit-def: $vgpr2
	s_waitcnt lgkmcnt(0)
	global_store_short v1, v0, s[10:11]
                                        ; implicit-def: $vgpr0_vgpr1
.LBB5944_173:
	s_andn2_saveexec_b64 s[0:1], s[0:1]
	s_cbranch_execz .LBB5944_94
; %bb.174:
	v_cmp_ne_u64_e32 vcc, 1, v[0:1]
	s_and_saveexec_b64 s[0:1], vcc
	s_xor_b64 s[0:1], exec, s[0:1]
	s_cbranch_execz .LBB5944_176
; %bb.175:
	ds_read_u16 v0, v2
	v_mov_b32_e32 v1, 0
                                        ; implicit-def: $vgpr2
	s_waitcnt lgkmcnt(0)
	global_store_short v1, v0, s[10:11]
.LBB5944_176:
	s_andn2_saveexec_b64 s[0:1], s[0:1]
	s_cbranch_execz .LBB5944_94
; %bb.177:
	ds_read_u16 v0, v2 offset:128
	v_mov_b32_e32 v1, 0
	s_waitcnt lgkmcnt(0)
	global_store_short v1, v0, s[10:11]
	s_endpgm
	.section	.rodata,"a",@progbits
	.p2align	6, 0x0
	.amdhsa_kernel _ZN7rocprim17ROCPRIM_400000_NS6detail17trampoline_kernelINS0_14default_configENS1_20scan_config_selectorIsEEZZNS1_9scan_implILNS1_25lookback_scan_determinismE0ELb1ELb1ES3_N6thrust23THRUST_200600_302600_NS6detail15normal_iteratorINS9_10device_ptrIsEEEENS9_16discard_iteratorINS9_11use_defaultEEEsNS9_4plusIvEEsEEDaPvRmT3_T4_T5_mT6_P12ihipStream_tbENKUlT_T0_E_clISt17integral_constantIbLb0EESX_EEDaSS_ST_EUlSS_E_NS1_11comp_targetILNS1_3genE4ELNS1_11target_archE910ELNS1_3gpuE8ELNS1_3repE0EEENS1_30default_config_static_selectorELNS0_4arch9wavefront6targetE1EEEvT1_
		.amdhsa_group_segment_fixed_size 3072
		.amdhsa_private_segment_fixed_size 0
		.amdhsa_kernarg_size 104
		.amdhsa_user_sgpr_count 6
		.amdhsa_user_sgpr_private_segment_buffer 1
		.amdhsa_user_sgpr_dispatch_ptr 0
		.amdhsa_user_sgpr_queue_ptr 0
		.amdhsa_user_sgpr_kernarg_segment_ptr 1
		.amdhsa_user_sgpr_dispatch_id 0
		.amdhsa_user_sgpr_flat_scratch_init 0
		.amdhsa_user_sgpr_kernarg_preload_length 0
		.amdhsa_user_sgpr_kernarg_preload_offset 0
		.amdhsa_user_sgpr_private_segment_size 0
		.amdhsa_uses_dynamic_stack 0
		.amdhsa_system_sgpr_private_segment_wavefront_offset 0
		.amdhsa_system_sgpr_workgroup_id_x 1
		.amdhsa_system_sgpr_workgroup_id_y 0
		.amdhsa_system_sgpr_workgroup_id_z 0
		.amdhsa_system_sgpr_workgroup_info 0
		.amdhsa_system_vgpr_workitem_id 0
		.amdhsa_next_free_vgpr 44
		.amdhsa_next_free_sgpr 26
		.amdhsa_accum_offset 44
		.amdhsa_reserve_vcc 1
		.amdhsa_reserve_flat_scratch 0
		.amdhsa_float_round_mode_32 0
		.amdhsa_float_round_mode_16_64 0
		.amdhsa_float_denorm_mode_32 3
		.amdhsa_float_denorm_mode_16_64 3
		.amdhsa_dx10_clamp 1
		.amdhsa_ieee_mode 1
		.amdhsa_fp16_overflow 0
		.amdhsa_tg_split 0
		.amdhsa_exception_fp_ieee_invalid_op 0
		.amdhsa_exception_fp_denorm_src 0
		.amdhsa_exception_fp_ieee_div_zero 0
		.amdhsa_exception_fp_ieee_overflow 0
		.amdhsa_exception_fp_ieee_underflow 0
		.amdhsa_exception_fp_ieee_inexact 0
		.amdhsa_exception_int_div_zero 0
	.end_amdhsa_kernel
	.section	.text._ZN7rocprim17ROCPRIM_400000_NS6detail17trampoline_kernelINS0_14default_configENS1_20scan_config_selectorIsEEZZNS1_9scan_implILNS1_25lookback_scan_determinismE0ELb1ELb1ES3_N6thrust23THRUST_200600_302600_NS6detail15normal_iteratorINS9_10device_ptrIsEEEENS9_16discard_iteratorINS9_11use_defaultEEEsNS9_4plusIvEEsEEDaPvRmT3_T4_T5_mT6_P12ihipStream_tbENKUlT_T0_E_clISt17integral_constantIbLb0EESX_EEDaSS_ST_EUlSS_E_NS1_11comp_targetILNS1_3genE4ELNS1_11target_archE910ELNS1_3gpuE8ELNS1_3repE0EEENS1_30default_config_static_selectorELNS0_4arch9wavefront6targetE1EEEvT1_,"axG",@progbits,_ZN7rocprim17ROCPRIM_400000_NS6detail17trampoline_kernelINS0_14default_configENS1_20scan_config_selectorIsEEZZNS1_9scan_implILNS1_25lookback_scan_determinismE0ELb1ELb1ES3_N6thrust23THRUST_200600_302600_NS6detail15normal_iteratorINS9_10device_ptrIsEEEENS9_16discard_iteratorINS9_11use_defaultEEEsNS9_4plusIvEEsEEDaPvRmT3_T4_T5_mT6_P12ihipStream_tbENKUlT_T0_E_clISt17integral_constantIbLb0EESX_EEDaSS_ST_EUlSS_E_NS1_11comp_targetILNS1_3genE4ELNS1_11target_archE910ELNS1_3gpuE8ELNS1_3repE0EEENS1_30default_config_static_selectorELNS0_4arch9wavefront6targetE1EEEvT1_,comdat
.Lfunc_end5944:
	.size	_ZN7rocprim17ROCPRIM_400000_NS6detail17trampoline_kernelINS0_14default_configENS1_20scan_config_selectorIsEEZZNS1_9scan_implILNS1_25lookback_scan_determinismE0ELb1ELb1ES3_N6thrust23THRUST_200600_302600_NS6detail15normal_iteratorINS9_10device_ptrIsEEEENS9_16discard_iteratorINS9_11use_defaultEEEsNS9_4plusIvEEsEEDaPvRmT3_T4_T5_mT6_P12ihipStream_tbENKUlT_T0_E_clISt17integral_constantIbLb0EESX_EEDaSS_ST_EUlSS_E_NS1_11comp_targetILNS1_3genE4ELNS1_11target_archE910ELNS1_3gpuE8ELNS1_3repE0EEENS1_30default_config_static_selectorELNS0_4arch9wavefront6targetE1EEEvT1_, .Lfunc_end5944-_ZN7rocprim17ROCPRIM_400000_NS6detail17trampoline_kernelINS0_14default_configENS1_20scan_config_selectorIsEEZZNS1_9scan_implILNS1_25lookback_scan_determinismE0ELb1ELb1ES3_N6thrust23THRUST_200600_302600_NS6detail15normal_iteratorINS9_10device_ptrIsEEEENS9_16discard_iteratorINS9_11use_defaultEEEsNS9_4plusIvEEsEEDaPvRmT3_T4_T5_mT6_P12ihipStream_tbENKUlT_T0_E_clISt17integral_constantIbLb0EESX_EEDaSS_ST_EUlSS_E_NS1_11comp_targetILNS1_3genE4ELNS1_11target_archE910ELNS1_3gpuE8ELNS1_3repE0EEENS1_30default_config_static_selectorELNS0_4arch9wavefront6targetE1EEEvT1_
                                        ; -- End function
	.section	.AMDGPU.csdata,"",@progbits
; Kernel info:
; codeLenInByte = 6428
; NumSgprs: 30
; NumVgprs: 44
; NumAgprs: 0
; TotalNumVgprs: 44
; ScratchSize: 0
; MemoryBound: 0
; FloatMode: 240
; IeeeMode: 1
; LDSByteSize: 3072 bytes/workgroup (compile time only)
; SGPRBlocks: 3
; VGPRBlocks: 5
; NumSGPRsForWavesPerEU: 30
; NumVGPRsForWavesPerEU: 44
; AccumOffset: 44
; Occupancy: 6
; WaveLimiterHint : 1
; COMPUTE_PGM_RSRC2:SCRATCH_EN: 0
; COMPUTE_PGM_RSRC2:USER_SGPR: 6
; COMPUTE_PGM_RSRC2:TRAP_HANDLER: 0
; COMPUTE_PGM_RSRC2:TGID_X_EN: 1
; COMPUTE_PGM_RSRC2:TGID_Y_EN: 0
; COMPUTE_PGM_RSRC2:TGID_Z_EN: 0
; COMPUTE_PGM_RSRC2:TIDIG_COMP_CNT: 0
; COMPUTE_PGM_RSRC3_GFX90A:ACCUM_OFFSET: 10
; COMPUTE_PGM_RSRC3_GFX90A:TG_SPLIT: 0
	.section	.text._ZN7rocprim17ROCPRIM_400000_NS6detail17trampoline_kernelINS0_14default_configENS1_20scan_config_selectorIsEEZZNS1_9scan_implILNS1_25lookback_scan_determinismE0ELb1ELb1ES3_N6thrust23THRUST_200600_302600_NS6detail15normal_iteratorINS9_10device_ptrIsEEEENS9_16discard_iteratorINS9_11use_defaultEEEsNS9_4plusIvEEsEEDaPvRmT3_T4_T5_mT6_P12ihipStream_tbENKUlT_T0_E_clISt17integral_constantIbLb0EESX_EEDaSS_ST_EUlSS_E_NS1_11comp_targetILNS1_3genE3ELNS1_11target_archE908ELNS1_3gpuE7ELNS1_3repE0EEENS1_30default_config_static_selectorELNS0_4arch9wavefront6targetE1EEEvT1_,"axG",@progbits,_ZN7rocprim17ROCPRIM_400000_NS6detail17trampoline_kernelINS0_14default_configENS1_20scan_config_selectorIsEEZZNS1_9scan_implILNS1_25lookback_scan_determinismE0ELb1ELb1ES3_N6thrust23THRUST_200600_302600_NS6detail15normal_iteratorINS9_10device_ptrIsEEEENS9_16discard_iteratorINS9_11use_defaultEEEsNS9_4plusIvEEsEEDaPvRmT3_T4_T5_mT6_P12ihipStream_tbENKUlT_T0_E_clISt17integral_constantIbLb0EESX_EEDaSS_ST_EUlSS_E_NS1_11comp_targetILNS1_3genE3ELNS1_11target_archE908ELNS1_3gpuE7ELNS1_3repE0EEENS1_30default_config_static_selectorELNS0_4arch9wavefront6targetE1EEEvT1_,comdat
	.protected	_ZN7rocprim17ROCPRIM_400000_NS6detail17trampoline_kernelINS0_14default_configENS1_20scan_config_selectorIsEEZZNS1_9scan_implILNS1_25lookback_scan_determinismE0ELb1ELb1ES3_N6thrust23THRUST_200600_302600_NS6detail15normal_iteratorINS9_10device_ptrIsEEEENS9_16discard_iteratorINS9_11use_defaultEEEsNS9_4plusIvEEsEEDaPvRmT3_T4_T5_mT6_P12ihipStream_tbENKUlT_T0_E_clISt17integral_constantIbLb0EESX_EEDaSS_ST_EUlSS_E_NS1_11comp_targetILNS1_3genE3ELNS1_11target_archE908ELNS1_3gpuE7ELNS1_3repE0EEENS1_30default_config_static_selectorELNS0_4arch9wavefront6targetE1EEEvT1_ ; -- Begin function _ZN7rocprim17ROCPRIM_400000_NS6detail17trampoline_kernelINS0_14default_configENS1_20scan_config_selectorIsEEZZNS1_9scan_implILNS1_25lookback_scan_determinismE0ELb1ELb1ES3_N6thrust23THRUST_200600_302600_NS6detail15normal_iteratorINS9_10device_ptrIsEEEENS9_16discard_iteratorINS9_11use_defaultEEEsNS9_4plusIvEEsEEDaPvRmT3_T4_T5_mT6_P12ihipStream_tbENKUlT_T0_E_clISt17integral_constantIbLb0EESX_EEDaSS_ST_EUlSS_E_NS1_11comp_targetILNS1_3genE3ELNS1_11target_archE908ELNS1_3gpuE7ELNS1_3repE0EEENS1_30default_config_static_selectorELNS0_4arch9wavefront6targetE1EEEvT1_
	.globl	_ZN7rocprim17ROCPRIM_400000_NS6detail17trampoline_kernelINS0_14default_configENS1_20scan_config_selectorIsEEZZNS1_9scan_implILNS1_25lookback_scan_determinismE0ELb1ELb1ES3_N6thrust23THRUST_200600_302600_NS6detail15normal_iteratorINS9_10device_ptrIsEEEENS9_16discard_iteratorINS9_11use_defaultEEEsNS9_4plusIvEEsEEDaPvRmT3_T4_T5_mT6_P12ihipStream_tbENKUlT_T0_E_clISt17integral_constantIbLb0EESX_EEDaSS_ST_EUlSS_E_NS1_11comp_targetILNS1_3genE3ELNS1_11target_archE908ELNS1_3gpuE7ELNS1_3repE0EEENS1_30default_config_static_selectorELNS0_4arch9wavefront6targetE1EEEvT1_
	.p2align	8
	.type	_ZN7rocprim17ROCPRIM_400000_NS6detail17trampoline_kernelINS0_14default_configENS1_20scan_config_selectorIsEEZZNS1_9scan_implILNS1_25lookback_scan_determinismE0ELb1ELb1ES3_N6thrust23THRUST_200600_302600_NS6detail15normal_iteratorINS9_10device_ptrIsEEEENS9_16discard_iteratorINS9_11use_defaultEEEsNS9_4plusIvEEsEEDaPvRmT3_T4_T5_mT6_P12ihipStream_tbENKUlT_T0_E_clISt17integral_constantIbLb0EESX_EEDaSS_ST_EUlSS_E_NS1_11comp_targetILNS1_3genE3ELNS1_11target_archE908ELNS1_3gpuE7ELNS1_3repE0EEENS1_30default_config_static_selectorELNS0_4arch9wavefront6targetE1EEEvT1_,@function
_ZN7rocprim17ROCPRIM_400000_NS6detail17trampoline_kernelINS0_14default_configENS1_20scan_config_selectorIsEEZZNS1_9scan_implILNS1_25lookback_scan_determinismE0ELb1ELb1ES3_N6thrust23THRUST_200600_302600_NS6detail15normal_iteratorINS9_10device_ptrIsEEEENS9_16discard_iteratorINS9_11use_defaultEEEsNS9_4plusIvEEsEEDaPvRmT3_T4_T5_mT6_P12ihipStream_tbENKUlT_T0_E_clISt17integral_constantIbLb0EESX_EEDaSS_ST_EUlSS_E_NS1_11comp_targetILNS1_3genE3ELNS1_11target_archE908ELNS1_3gpuE7ELNS1_3repE0EEENS1_30default_config_static_selectorELNS0_4arch9wavefront6targetE1EEEvT1_: ; @_ZN7rocprim17ROCPRIM_400000_NS6detail17trampoline_kernelINS0_14default_configENS1_20scan_config_selectorIsEEZZNS1_9scan_implILNS1_25lookback_scan_determinismE0ELb1ELb1ES3_N6thrust23THRUST_200600_302600_NS6detail15normal_iteratorINS9_10device_ptrIsEEEENS9_16discard_iteratorINS9_11use_defaultEEEsNS9_4plusIvEEsEEDaPvRmT3_T4_T5_mT6_P12ihipStream_tbENKUlT_T0_E_clISt17integral_constantIbLb0EESX_EEDaSS_ST_EUlSS_E_NS1_11comp_targetILNS1_3genE3ELNS1_11target_archE908ELNS1_3gpuE7ELNS1_3repE0EEENS1_30default_config_static_selectorELNS0_4arch9wavefront6targetE1EEEvT1_
; %bb.0:
	.section	.rodata,"a",@progbits
	.p2align	6, 0x0
	.amdhsa_kernel _ZN7rocprim17ROCPRIM_400000_NS6detail17trampoline_kernelINS0_14default_configENS1_20scan_config_selectorIsEEZZNS1_9scan_implILNS1_25lookback_scan_determinismE0ELb1ELb1ES3_N6thrust23THRUST_200600_302600_NS6detail15normal_iteratorINS9_10device_ptrIsEEEENS9_16discard_iteratorINS9_11use_defaultEEEsNS9_4plusIvEEsEEDaPvRmT3_T4_T5_mT6_P12ihipStream_tbENKUlT_T0_E_clISt17integral_constantIbLb0EESX_EEDaSS_ST_EUlSS_E_NS1_11comp_targetILNS1_3genE3ELNS1_11target_archE908ELNS1_3gpuE7ELNS1_3repE0EEENS1_30default_config_static_selectorELNS0_4arch9wavefront6targetE1EEEvT1_
		.amdhsa_group_segment_fixed_size 0
		.amdhsa_private_segment_fixed_size 0
		.amdhsa_kernarg_size 104
		.amdhsa_user_sgpr_count 6
		.amdhsa_user_sgpr_private_segment_buffer 1
		.amdhsa_user_sgpr_dispatch_ptr 0
		.amdhsa_user_sgpr_queue_ptr 0
		.amdhsa_user_sgpr_kernarg_segment_ptr 1
		.amdhsa_user_sgpr_dispatch_id 0
		.amdhsa_user_sgpr_flat_scratch_init 0
		.amdhsa_user_sgpr_kernarg_preload_length 0
		.amdhsa_user_sgpr_kernarg_preload_offset 0
		.amdhsa_user_sgpr_private_segment_size 0
		.amdhsa_uses_dynamic_stack 0
		.amdhsa_system_sgpr_private_segment_wavefront_offset 0
		.amdhsa_system_sgpr_workgroup_id_x 1
		.amdhsa_system_sgpr_workgroup_id_y 0
		.amdhsa_system_sgpr_workgroup_id_z 0
		.amdhsa_system_sgpr_workgroup_info 0
		.amdhsa_system_vgpr_workitem_id 0
		.amdhsa_next_free_vgpr 1
		.amdhsa_next_free_sgpr 0
		.amdhsa_accum_offset 4
		.amdhsa_reserve_vcc 0
		.amdhsa_reserve_flat_scratch 0
		.amdhsa_float_round_mode_32 0
		.amdhsa_float_round_mode_16_64 0
		.amdhsa_float_denorm_mode_32 3
		.amdhsa_float_denorm_mode_16_64 3
		.amdhsa_dx10_clamp 1
		.amdhsa_ieee_mode 1
		.amdhsa_fp16_overflow 0
		.amdhsa_tg_split 0
		.amdhsa_exception_fp_ieee_invalid_op 0
		.amdhsa_exception_fp_denorm_src 0
		.amdhsa_exception_fp_ieee_div_zero 0
		.amdhsa_exception_fp_ieee_overflow 0
		.amdhsa_exception_fp_ieee_underflow 0
		.amdhsa_exception_fp_ieee_inexact 0
		.amdhsa_exception_int_div_zero 0
	.end_amdhsa_kernel
	.section	.text._ZN7rocprim17ROCPRIM_400000_NS6detail17trampoline_kernelINS0_14default_configENS1_20scan_config_selectorIsEEZZNS1_9scan_implILNS1_25lookback_scan_determinismE0ELb1ELb1ES3_N6thrust23THRUST_200600_302600_NS6detail15normal_iteratorINS9_10device_ptrIsEEEENS9_16discard_iteratorINS9_11use_defaultEEEsNS9_4plusIvEEsEEDaPvRmT3_T4_T5_mT6_P12ihipStream_tbENKUlT_T0_E_clISt17integral_constantIbLb0EESX_EEDaSS_ST_EUlSS_E_NS1_11comp_targetILNS1_3genE3ELNS1_11target_archE908ELNS1_3gpuE7ELNS1_3repE0EEENS1_30default_config_static_selectorELNS0_4arch9wavefront6targetE1EEEvT1_,"axG",@progbits,_ZN7rocprim17ROCPRIM_400000_NS6detail17trampoline_kernelINS0_14default_configENS1_20scan_config_selectorIsEEZZNS1_9scan_implILNS1_25lookback_scan_determinismE0ELb1ELb1ES3_N6thrust23THRUST_200600_302600_NS6detail15normal_iteratorINS9_10device_ptrIsEEEENS9_16discard_iteratorINS9_11use_defaultEEEsNS9_4plusIvEEsEEDaPvRmT3_T4_T5_mT6_P12ihipStream_tbENKUlT_T0_E_clISt17integral_constantIbLb0EESX_EEDaSS_ST_EUlSS_E_NS1_11comp_targetILNS1_3genE3ELNS1_11target_archE908ELNS1_3gpuE7ELNS1_3repE0EEENS1_30default_config_static_selectorELNS0_4arch9wavefront6targetE1EEEvT1_,comdat
.Lfunc_end5945:
	.size	_ZN7rocprim17ROCPRIM_400000_NS6detail17trampoline_kernelINS0_14default_configENS1_20scan_config_selectorIsEEZZNS1_9scan_implILNS1_25lookback_scan_determinismE0ELb1ELb1ES3_N6thrust23THRUST_200600_302600_NS6detail15normal_iteratorINS9_10device_ptrIsEEEENS9_16discard_iteratorINS9_11use_defaultEEEsNS9_4plusIvEEsEEDaPvRmT3_T4_T5_mT6_P12ihipStream_tbENKUlT_T0_E_clISt17integral_constantIbLb0EESX_EEDaSS_ST_EUlSS_E_NS1_11comp_targetILNS1_3genE3ELNS1_11target_archE908ELNS1_3gpuE7ELNS1_3repE0EEENS1_30default_config_static_selectorELNS0_4arch9wavefront6targetE1EEEvT1_, .Lfunc_end5945-_ZN7rocprim17ROCPRIM_400000_NS6detail17trampoline_kernelINS0_14default_configENS1_20scan_config_selectorIsEEZZNS1_9scan_implILNS1_25lookback_scan_determinismE0ELb1ELb1ES3_N6thrust23THRUST_200600_302600_NS6detail15normal_iteratorINS9_10device_ptrIsEEEENS9_16discard_iteratorINS9_11use_defaultEEEsNS9_4plusIvEEsEEDaPvRmT3_T4_T5_mT6_P12ihipStream_tbENKUlT_T0_E_clISt17integral_constantIbLb0EESX_EEDaSS_ST_EUlSS_E_NS1_11comp_targetILNS1_3genE3ELNS1_11target_archE908ELNS1_3gpuE7ELNS1_3repE0EEENS1_30default_config_static_selectorELNS0_4arch9wavefront6targetE1EEEvT1_
                                        ; -- End function
	.section	.AMDGPU.csdata,"",@progbits
; Kernel info:
; codeLenInByte = 0
; NumSgprs: 4
; NumVgprs: 0
; NumAgprs: 0
; TotalNumVgprs: 0
; ScratchSize: 0
; MemoryBound: 0
; FloatMode: 240
; IeeeMode: 1
; LDSByteSize: 0 bytes/workgroup (compile time only)
; SGPRBlocks: 0
; VGPRBlocks: 0
; NumSGPRsForWavesPerEU: 4
; NumVGPRsForWavesPerEU: 1
; AccumOffset: 4
; Occupancy: 8
; WaveLimiterHint : 0
; COMPUTE_PGM_RSRC2:SCRATCH_EN: 0
; COMPUTE_PGM_RSRC2:USER_SGPR: 6
; COMPUTE_PGM_RSRC2:TRAP_HANDLER: 0
; COMPUTE_PGM_RSRC2:TGID_X_EN: 1
; COMPUTE_PGM_RSRC2:TGID_Y_EN: 0
; COMPUTE_PGM_RSRC2:TGID_Z_EN: 0
; COMPUTE_PGM_RSRC2:TIDIG_COMP_CNT: 0
; COMPUTE_PGM_RSRC3_GFX90A:ACCUM_OFFSET: 0
; COMPUTE_PGM_RSRC3_GFX90A:TG_SPLIT: 0
	.section	.text._ZN7rocprim17ROCPRIM_400000_NS6detail17trampoline_kernelINS0_14default_configENS1_20scan_config_selectorIsEEZZNS1_9scan_implILNS1_25lookback_scan_determinismE0ELb1ELb1ES3_N6thrust23THRUST_200600_302600_NS6detail15normal_iteratorINS9_10device_ptrIsEEEENS9_16discard_iteratorINS9_11use_defaultEEEsNS9_4plusIvEEsEEDaPvRmT3_T4_T5_mT6_P12ihipStream_tbENKUlT_T0_E_clISt17integral_constantIbLb0EESX_EEDaSS_ST_EUlSS_E_NS1_11comp_targetILNS1_3genE2ELNS1_11target_archE906ELNS1_3gpuE6ELNS1_3repE0EEENS1_30default_config_static_selectorELNS0_4arch9wavefront6targetE1EEEvT1_,"axG",@progbits,_ZN7rocprim17ROCPRIM_400000_NS6detail17trampoline_kernelINS0_14default_configENS1_20scan_config_selectorIsEEZZNS1_9scan_implILNS1_25lookback_scan_determinismE0ELb1ELb1ES3_N6thrust23THRUST_200600_302600_NS6detail15normal_iteratorINS9_10device_ptrIsEEEENS9_16discard_iteratorINS9_11use_defaultEEEsNS9_4plusIvEEsEEDaPvRmT3_T4_T5_mT6_P12ihipStream_tbENKUlT_T0_E_clISt17integral_constantIbLb0EESX_EEDaSS_ST_EUlSS_E_NS1_11comp_targetILNS1_3genE2ELNS1_11target_archE906ELNS1_3gpuE6ELNS1_3repE0EEENS1_30default_config_static_selectorELNS0_4arch9wavefront6targetE1EEEvT1_,comdat
	.protected	_ZN7rocprim17ROCPRIM_400000_NS6detail17trampoline_kernelINS0_14default_configENS1_20scan_config_selectorIsEEZZNS1_9scan_implILNS1_25lookback_scan_determinismE0ELb1ELb1ES3_N6thrust23THRUST_200600_302600_NS6detail15normal_iteratorINS9_10device_ptrIsEEEENS9_16discard_iteratorINS9_11use_defaultEEEsNS9_4plusIvEEsEEDaPvRmT3_T4_T5_mT6_P12ihipStream_tbENKUlT_T0_E_clISt17integral_constantIbLb0EESX_EEDaSS_ST_EUlSS_E_NS1_11comp_targetILNS1_3genE2ELNS1_11target_archE906ELNS1_3gpuE6ELNS1_3repE0EEENS1_30default_config_static_selectorELNS0_4arch9wavefront6targetE1EEEvT1_ ; -- Begin function _ZN7rocprim17ROCPRIM_400000_NS6detail17trampoline_kernelINS0_14default_configENS1_20scan_config_selectorIsEEZZNS1_9scan_implILNS1_25lookback_scan_determinismE0ELb1ELb1ES3_N6thrust23THRUST_200600_302600_NS6detail15normal_iteratorINS9_10device_ptrIsEEEENS9_16discard_iteratorINS9_11use_defaultEEEsNS9_4plusIvEEsEEDaPvRmT3_T4_T5_mT6_P12ihipStream_tbENKUlT_T0_E_clISt17integral_constantIbLb0EESX_EEDaSS_ST_EUlSS_E_NS1_11comp_targetILNS1_3genE2ELNS1_11target_archE906ELNS1_3gpuE6ELNS1_3repE0EEENS1_30default_config_static_selectorELNS0_4arch9wavefront6targetE1EEEvT1_
	.globl	_ZN7rocprim17ROCPRIM_400000_NS6detail17trampoline_kernelINS0_14default_configENS1_20scan_config_selectorIsEEZZNS1_9scan_implILNS1_25lookback_scan_determinismE0ELb1ELb1ES3_N6thrust23THRUST_200600_302600_NS6detail15normal_iteratorINS9_10device_ptrIsEEEENS9_16discard_iteratorINS9_11use_defaultEEEsNS9_4plusIvEEsEEDaPvRmT3_T4_T5_mT6_P12ihipStream_tbENKUlT_T0_E_clISt17integral_constantIbLb0EESX_EEDaSS_ST_EUlSS_E_NS1_11comp_targetILNS1_3genE2ELNS1_11target_archE906ELNS1_3gpuE6ELNS1_3repE0EEENS1_30default_config_static_selectorELNS0_4arch9wavefront6targetE1EEEvT1_
	.p2align	8
	.type	_ZN7rocprim17ROCPRIM_400000_NS6detail17trampoline_kernelINS0_14default_configENS1_20scan_config_selectorIsEEZZNS1_9scan_implILNS1_25lookback_scan_determinismE0ELb1ELb1ES3_N6thrust23THRUST_200600_302600_NS6detail15normal_iteratorINS9_10device_ptrIsEEEENS9_16discard_iteratorINS9_11use_defaultEEEsNS9_4plusIvEEsEEDaPvRmT3_T4_T5_mT6_P12ihipStream_tbENKUlT_T0_E_clISt17integral_constantIbLb0EESX_EEDaSS_ST_EUlSS_E_NS1_11comp_targetILNS1_3genE2ELNS1_11target_archE906ELNS1_3gpuE6ELNS1_3repE0EEENS1_30default_config_static_selectorELNS0_4arch9wavefront6targetE1EEEvT1_,@function
_ZN7rocprim17ROCPRIM_400000_NS6detail17trampoline_kernelINS0_14default_configENS1_20scan_config_selectorIsEEZZNS1_9scan_implILNS1_25lookback_scan_determinismE0ELb1ELb1ES3_N6thrust23THRUST_200600_302600_NS6detail15normal_iteratorINS9_10device_ptrIsEEEENS9_16discard_iteratorINS9_11use_defaultEEEsNS9_4plusIvEEsEEDaPvRmT3_T4_T5_mT6_P12ihipStream_tbENKUlT_T0_E_clISt17integral_constantIbLb0EESX_EEDaSS_ST_EUlSS_E_NS1_11comp_targetILNS1_3genE2ELNS1_11target_archE906ELNS1_3gpuE6ELNS1_3repE0EEENS1_30default_config_static_selectorELNS0_4arch9wavefront6targetE1EEEvT1_: ; @_ZN7rocprim17ROCPRIM_400000_NS6detail17trampoline_kernelINS0_14default_configENS1_20scan_config_selectorIsEEZZNS1_9scan_implILNS1_25lookback_scan_determinismE0ELb1ELb1ES3_N6thrust23THRUST_200600_302600_NS6detail15normal_iteratorINS9_10device_ptrIsEEEENS9_16discard_iteratorINS9_11use_defaultEEEsNS9_4plusIvEEsEEDaPvRmT3_T4_T5_mT6_P12ihipStream_tbENKUlT_T0_E_clISt17integral_constantIbLb0EESX_EEDaSS_ST_EUlSS_E_NS1_11comp_targetILNS1_3genE2ELNS1_11target_archE906ELNS1_3gpuE6ELNS1_3repE0EEENS1_30default_config_static_selectorELNS0_4arch9wavefront6targetE1EEEvT1_
; %bb.0:
	.section	.rodata,"a",@progbits
	.p2align	6, 0x0
	.amdhsa_kernel _ZN7rocprim17ROCPRIM_400000_NS6detail17trampoline_kernelINS0_14default_configENS1_20scan_config_selectorIsEEZZNS1_9scan_implILNS1_25lookback_scan_determinismE0ELb1ELb1ES3_N6thrust23THRUST_200600_302600_NS6detail15normal_iteratorINS9_10device_ptrIsEEEENS9_16discard_iteratorINS9_11use_defaultEEEsNS9_4plusIvEEsEEDaPvRmT3_T4_T5_mT6_P12ihipStream_tbENKUlT_T0_E_clISt17integral_constantIbLb0EESX_EEDaSS_ST_EUlSS_E_NS1_11comp_targetILNS1_3genE2ELNS1_11target_archE906ELNS1_3gpuE6ELNS1_3repE0EEENS1_30default_config_static_selectorELNS0_4arch9wavefront6targetE1EEEvT1_
		.amdhsa_group_segment_fixed_size 0
		.amdhsa_private_segment_fixed_size 0
		.amdhsa_kernarg_size 104
		.amdhsa_user_sgpr_count 6
		.amdhsa_user_sgpr_private_segment_buffer 1
		.amdhsa_user_sgpr_dispatch_ptr 0
		.amdhsa_user_sgpr_queue_ptr 0
		.amdhsa_user_sgpr_kernarg_segment_ptr 1
		.amdhsa_user_sgpr_dispatch_id 0
		.amdhsa_user_sgpr_flat_scratch_init 0
		.amdhsa_user_sgpr_kernarg_preload_length 0
		.amdhsa_user_sgpr_kernarg_preload_offset 0
		.amdhsa_user_sgpr_private_segment_size 0
		.amdhsa_uses_dynamic_stack 0
		.amdhsa_system_sgpr_private_segment_wavefront_offset 0
		.amdhsa_system_sgpr_workgroup_id_x 1
		.amdhsa_system_sgpr_workgroup_id_y 0
		.amdhsa_system_sgpr_workgroup_id_z 0
		.amdhsa_system_sgpr_workgroup_info 0
		.amdhsa_system_vgpr_workitem_id 0
		.amdhsa_next_free_vgpr 1
		.amdhsa_next_free_sgpr 0
		.amdhsa_accum_offset 4
		.amdhsa_reserve_vcc 0
		.amdhsa_reserve_flat_scratch 0
		.amdhsa_float_round_mode_32 0
		.amdhsa_float_round_mode_16_64 0
		.amdhsa_float_denorm_mode_32 3
		.amdhsa_float_denorm_mode_16_64 3
		.amdhsa_dx10_clamp 1
		.amdhsa_ieee_mode 1
		.amdhsa_fp16_overflow 0
		.amdhsa_tg_split 0
		.amdhsa_exception_fp_ieee_invalid_op 0
		.amdhsa_exception_fp_denorm_src 0
		.amdhsa_exception_fp_ieee_div_zero 0
		.amdhsa_exception_fp_ieee_overflow 0
		.amdhsa_exception_fp_ieee_underflow 0
		.amdhsa_exception_fp_ieee_inexact 0
		.amdhsa_exception_int_div_zero 0
	.end_amdhsa_kernel
	.section	.text._ZN7rocprim17ROCPRIM_400000_NS6detail17trampoline_kernelINS0_14default_configENS1_20scan_config_selectorIsEEZZNS1_9scan_implILNS1_25lookback_scan_determinismE0ELb1ELb1ES3_N6thrust23THRUST_200600_302600_NS6detail15normal_iteratorINS9_10device_ptrIsEEEENS9_16discard_iteratorINS9_11use_defaultEEEsNS9_4plusIvEEsEEDaPvRmT3_T4_T5_mT6_P12ihipStream_tbENKUlT_T0_E_clISt17integral_constantIbLb0EESX_EEDaSS_ST_EUlSS_E_NS1_11comp_targetILNS1_3genE2ELNS1_11target_archE906ELNS1_3gpuE6ELNS1_3repE0EEENS1_30default_config_static_selectorELNS0_4arch9wavefront6targetE1EEEvT1_,"axG",@progbits,_ZN7rocprim17ROCPRIM_400000_NS6detail17trampoline_kernelINS0_14default_configENS1_20scan_config_selectorIsEEZZNS1_9scan_implILNS1_25lookback_scan_determinismE0ELb1ELb1ES3_N6thrust23THRUST_200600_302600_NS6detail15normal_iteratorINS9_10device_ptrIsEEEENS9_16discard_iteratorINS9_11use_defaultEEEsNS9_4plusIvEEsEEDaPvRmT3_T4_T5_mT6_P12ihipStream_tbENKUlT_T0_E_clISt17integral_constantIbLb0EESX_EEDaSS_ST_EUlSS_E_NS1_11comp_targetILNS1_3genE2ELNS1_11target_archE906ELNS1_3gpuE6ELNS1_3repE0EEENS1_30default_config_static_selectorELNS0_4arch9wavefront6targetE1EEEvT1_,comdat
.Lfunc_end5946:
	.size	_ZN7rocprim17ROCPRIM_400000_NS6detail17trampoline_kernelINS0_14default_configENS1_20scan_config_selectorIsEEZZNS1_9scan_implILNS1_25lookback_scan_determinismE0ELb1ELb1ES3_N6thrust23THRUST_200600_302600_NS6detail15normal_iteratorINS9_10device_ptrIsEEEENS9_16discard_iteratorINS9_11use_defaultEEEsNS9_4plusIvEEsEEDaPvRmT3_T4_T5_mT6_P12ihipStream_tbENKUlT_T0_E_clISt17integral_constantIbLb0EESX_EEDaSS_ST_EUlSS_E_NS1_11comp_targetILNS1_3genE2ELNS1_11target_archE906ELNS1_3gpuE6ELNS1_3repE0EEENS1_30default_config_static_selectorELNS0_4arch9wavefront6targetE1EEEvT1_, .Lfunc_end5946-_ZN7rocprim17ROCPRIM_400000_NS6detail17trampoline_kernelINS0_14default_configENS1_20scan_config_selectorIsEEZZNS1_9scan_implILNS1_25lookback_scan_determinismE0ELb1ELb1ES3_N6thrust23THRUST_200600_302600_NS6detail15normal_iteratorINS9_10device_ptrIsEEEENS9_16discard_iteratorINS9_11use_defaultEEEsNS9_4plusIvEEsEEDaPvRmT3_T4_T5_mT6_P12ihipStream_tbENKUlT_T0_E_clISt17integral_constantIbLb0EESX_EEDaSS_ST_EUlSS_E_NS1_11comp_targetILNS1_3genE2ELNS1_11target_archE906ELNS1_3gpuE6ELNS1_3repE0EEENS1_30default_config_static_selectorELNS0_4arch9wavefront6targetE1EEEvT1_
                                        ; -- End function
	.section	.AMDGPU.csdata,"",@progbits
; Kernel info:
; codeLenInByte = 0
; NumSgprs: 4
; NumVgprs: 0
; NumAgprs: 0
; TotalNumVgprs: 0
; ScratchSize: 0
; MemoryBound: 0
; FloatMode: 240
; IeeeMode: 1
; LDSByteSize: 0 bytes/workgroup (compile time only)
; SGPRBlocks: 0
; VGPRBlocks: 0
; NumSGPRsForWavesPerEU: 4
; NumVGPRsForWavesPerEU: 1
; AccumOffset: 4
; Occupancy: 8
; WaveLimiterHint : 0
; COMPUTE_PGM_RSRC2:SCRATCH_EN: 0
; COMPUTE_PGM_RSRC2:USER_SGPR: 6
; COMPUTE_PGM_RSRC2:TRAP_HANDLER: 0
; COMPUTE_PGM_RSRC2:TGID_X_EN: 1
; COMPUTE_PGM_RSRC2:TGID_Y_EN: 0
; COMPUTE_PGM_RSRC2:TGID_Z_EN: 0
; COMPUTE_PGM_RSRC2:TIDIG_COMP_CNT: 0
; COMPUTE_PGM_RSRC3_GFX90A:ACCUM_OFFSET: 0
; COMPUTE_PGM_RSRC3_GFX90A:TG_SPLIT: 0
	.section	.text._ZN7rocprim17ROCPRIM_400000_NS6detail17trampoline_kernelINS0_14default_configENS1_20scan_config_selectorIsEEZZNS1_9scan_implILNS1_25lookback_scan_determinismE0ELb1ELb1ES3_N6thrust23THRUST_200600_302600_NS6detail15normal_iteratorINS9_10device_ptrIsEEEENS9_16discard_iteratorINS9_11use_defaultEEEsNS9_4plusIvEEsEEDaPvRmT3_T4_T5_mT6_P12ihipStream_tbENKUlT_T0_E_clISt17integral_constantIbLb0EESX_EEDaSS_ST_EUlSS_E_NS1_11comp_targetILNS1_3genE10ELNS1_11target_archE1201ELNS1_3gpuE5ELNS1_3repE0EEENS1_30default_config_static_selectorELNS0_4arch9wavefront6targetE1EEEvT1_,"axG",@progbits,_ZN7rocprim17ROCPRIM_400000_NS6detail17trampoline_kernelINS0_14default_configENS1_20scan_config_selectorIsEEZZNS1_9scan_implILNS1_25lookback_scan_determinismE0ELb1ELb1ES3_N6thrust23THRUST_200600_302600_NS6detail15normal_iteratorINS9_10device_ptrIsEEEENS9_16discard_iteratorINS9_11use_defaultEEEsNS9_4plusIvEEsEEDaPvRmT3_T4_T5_mT6_P12ihipStream_tbENKUlT_T0_E_clISt17integral_constantIbLb0EESX_EEDaSS_ST_EUlSS_E_NS1_11comp_targetILNS1_3genE10ELNS1_11target_archE1201ELNS1_3gpuE5ELNS1_3repE0EEENS1_30default_config_static_selectorELNS0_4arch9wavefront6targetE1EEEvT1_,comdat
	.protected	_ZN7rocprim17ROCPRIM_400000_NS6detail17trampoline_kernelINS0_14default_configENS1_20scan_config_selectorIsEEZZNS1_9scan_implILNS1_25lookback_scan_determinismE0ELb1ELb1ES3_N6thrust23THRUST_200600_302600_NS6detail15normal_iteratorINS9_10device_ptrIsEEEENS9_16discard_iteratorINS9_11use_defaultEEEsNS9_4plusIvEEsEEDaPvRmT3_T4_T5_mT6_P12ihipStream_tbENKUlT_T0_E_clISt17integral_constantIbLb0EESX_EEDaSS_ST_EUlSS_E_NS1_11comp_targetILNS1_3genE10ELNS1_11target_archE1201ELNS1_3gpuE5ELNS1_3repE0EEENS1_30default_config_static_selectorELNS0_4arch9wavefront6targetE1EEEvT1_ ; -- Begin function _ZN7rocprim17ROCPRIM_400000_NS6detail17trampoline_kernelINS0_14default_configENS1_20scan_config_selectorIsEEZZNS1_9scan_implILNS1_25lookback_scan_determinismE0ELb1ELb1ES3_N6thrust23THRUST_200600_302600_NS6detail15normal_iteratorINS9_10device_ptrIsEEEENS9_16discard_iteratorINS9_11use_defaultEEEsNS9_4plusIvEEsEEDaPvRmT3_T4_T5_mT6_P12ihipStream_tbENKUlT_T0_E_clISt17integral_constantIbLb0EESX_EEDaSS_ST_EUlSS_E_NS1_11comp_targetILNS1_3genE10ELNS1_11target_archE1201ELNS1_3gpuE5ELNS1_3repE0EEENS1_30default_config_static_selectorELNS0_4arch9wavefront6targetE1EEEvT1_
	.globl	_ZN7rocprim17ROCPRIM_400000_NS6detail17trampoline_kernelINS0_14default_configENS1_20scan_config_selectorIsEEZZNS1_9scan_implILNS1_25lookback_scan_determinismE0ELb1ELb1ES3_N6thrust23THRUST_200600_302600_NS6detail15normal_iteratorINS9_10device_ptrIsEEEENS9_16discard_iteratorINS9_11use_defaultEEEsNS9_4plusIvEEsEEDaPvRmT3_T4_T5_mT6_P12ihipStream_tbENKUlT_T0_E_clISt17integral_constantIbLb0EESX_EEDaSS_ST_EUlSS_E_NS1_11comp_targetILNS1_3genE10ELNS1_11target_archE1201ELNS1_3gpuE5ELNS1_3repE0EEENS1_30default_config_static_selectorELNS0_4arch9wavefront6targetE1EEEvT1_
	.p2align	8
	.type	_ZN7rocprim17ROCPRIM_400000_NS6detail17trampoline_kernelINS0_14default_configENS1_20scan_config_selectorIsEEZZNS1_9scan_implILNS1_25lookback_scan_determinismE0ELb1ELb1ES3_N6thrust23THRUST_200600_302600_NS6detail15normal_iteratorINS9_10device_ptrIsEEEENS9_16discard_iteratorINS9_11use_defaultEEEsNS9_4plusIvEEsEEDaPvRmT3_T4_T5_mT6_P12ihipStream_tbENKUlT_T0_E_clISt17integral_constantIbLb0EESX_EEDaSS_ST_EUlSS_E_NS1_11comp_targetILNS1_3genE10ELNS1_11target_archE1201ELNS1_3gpuE5ELNS1_3repE0EEENS1_30default_config_static_selectorELNS0_4arch9wavefront6targetE1EEEvT1_,@function
_ZN7rocprim17ROCPRIM_400000_NS6detail17trampoline_kernelINS0_14default_configENS1_20scan_config_selectorIsEEZZNS1_9scan_implILNS1_25lookback_scan_determinismE0ELb1ELb1ES3_N6thrust23THRUST_200600_302600_NS6detail15normal_iteratorINS9_10device_ptrIsEEEENS9_16discard_iteratorINS9_11use_defaultEEEsNS9_4plusIvEEsEEDaPvRmT3_T4_T5_mT6_P12ihipStream_tbENKUlT_T0_E_clISt17integral_constantIbLb0EESX_EEDaSS_ST_EUlSS_E_NS1_11comp_targetILNS1_3genE10ELNS1_11target_archE1201ELNS1_3gpuE5ELNS1_3repE0EEENS1_30default_config_static_selectorELNS0_4arch9wavefront6targetE1EEEvT1_: ; @_ZN7rocprim17ROCPRIM_400000_NS6detail17trampoline_kernelINS0_14default_configENS1_20scan_config_selectorIsEEZZNS1_9scan_implILNS1_25lookback_scan_determinismE0ELb1ELb1ES3_N6thrust23THRUST_200600_302600_NS6detail15normal_iteratorINS9_10device_ptrIsEEEENS9_16discard_iteratorINS9_11use_defaultEEEsNS9_4plusIvEEsEEDaPvRmT3_T4_T5_mT6_P12ihipStream_tbENKUlT_T0_E_clISt17integral_constantIbLb0EESX_EEDaSS_ST_EUlSS_E_NS1_11comp_targetILNS1_3genE10ELNS1_11target_archE1201ELNS1_3gpuE5ELNS1_3repE0EEENS1_30default_config_static_selectorELNS0_4arch9wavefront6targetE1EEEvT1_
; %bb.0:
	.section	.rodata,"a",@progbits
	.p2align	6, 0x0
	.amdhsa_kernel _ZN7rocprim17ROCPRIM_400000_NS6detail17trampoline_kernelINS0_14default_configENS1_20scan_config_selectorIsEEZZNS1_9scan_implILNS1_25lookback_scan_determinismE0ELb1ELb1ES3_N6thrust23THRUST_200600_302600_NS6detail15normal_iteratorINS9_10device_ptrIsEEEENS9_16discard_iteratorINS9_11use_defaultEEEsNS9_4plusIvEEsEEDaPvRmT3_T4_T5_mT6_P12ihipStream_tbENKUlT_T0_E_clISt17integral_constantIbLb0EESX_EEDaSS_ST_EUlSS_E_NS1_11comp_targetILNS1_3genE10ELNS1_11target_archE1201ELNS1_3gpuE5ELNS1_3repE0EEENS1_30default_config_static_selectorELNS0_4arch9wavefront6targetE1EEEvT1_
		.amdhsa_group_segment_fixed_size 0
		.amdhsa_private_segment_fixed_size 0
		.amdhsa_kernarg_size 104
		.amdhsa_user_sgpr_count 6
		.amdhsa_user_sgpr_private_segment_buffer 1
		.amdhsa_user_sgpr_dispatch_ptr 0
		.amdhsa_user_sgpr_queue_ptr 0
		.amdhsa_user_sgpr_kernarg_segment_ptr 1
		.amdhsa_user_sgpr_dispatch_id 0
		.amdhsa_user_sgpr_flat_scratch_init 0
		.amdhsa_user_sgpr_kernarg_preload_length 0
		.amdhsa_user_sgpr_kernarg_preload_offset 0
		.amdhsa_user_sgpr_private_segment_size 0
		.amdhsa_uses_dynamic_stack 0
		.amdhsa_system_sgpr_private_segment_wavefront_offset 0
		.amdhsa_system_sgpr_workgroup_id_x 1
		.amdhsa_system_sgpr_workgroup_id_y 0
		.amdhsa_system_sgpr_workgroup_id_z 0
		.amdhsa_system_sgpr_workgroup_info 0
		.amdhsa_system_vgpr_workitem_id 0
		.amdhsa_next_free_vgpr 1
		.amdhsa_next_free_sgpr 0
		.amdhsa_accum_offset 4
		.amdhsa_reserve_vcc 0
		.amdhsa_reserve_flat_scratch 0
		.amdhsa_float_round_mode_32 0
		.amdhsa_float_round_mode_16_64 0
		.amdhsa_float_denorm_mode_32 3
		.amdhsa_float_denorm_mode_16_64 3
		.amdhsa_dx10_clamp 1
		.amdhsa_ieee_mode 1
		.amdhsa_fp16_overflow 0
		.amdhsa_tg_split 0
		.amdhsa_exception_fp_ieee_invalid_op 0
		.amdhsa_exception_fp_denorm_src 0
		.amdhsa_exception_fp_ieee_div_zero 0
		.amdhsa_exception_fp_ieee_overflow 0
		.amdhsa_exception_fp_ieee_underflow 0
		.amdhsa_exception_fp_ieee_inexact 0
		.amdhsa_exception_int_div_zero 0
	.end_amdhsa_kernel
	.section	.text._ZN7rocprim17ROCPRIM_400000_NS6detail17trampoline_kernelINS0_14default_configENS1_20scan_config_selectorIsEEZZNS1_9scan_implILNS1_25lookback_scan_determinismE0ELb1ELb1ES3_N6thrust23THRUST_200600_302600_NS6detail15normal_iteratorINS9_10device_ptrIsEEEENS9_16discard_iteratorINS9_11use_defaultEEEsNS9_4plusIvEEsEEDaPvRmT3_T4_T5_mT6_P12ihipStream_tbENKUlT_T0_E_clISt17integral_constantIbLb0EESX_EEDaSS_ST_EUlSS_E_NS1_11comp_targetILNS1_3genE10ELNS1_11target_archE1201ELNS1_3gpuE5ELNS1_3repE0EEENS1_30default_config_static_selectorELNS0_4arch9wavefront6targetE1EEEvT1_,"axG",@progbits,_ZN7rocprim17ROCPRIM_400000_NS6detail17trampoline_kernelINS0_14default_configENS1_20scan_config_selectorIsEEZZNS1_9scan_implILNS1_25lookback_scan_determinismE0ELb1ELb1ES3_N6thrust23THRUST_200600_302600_NS6detail15normal_iteratorINS9_10device_ptrIsEEEENS9_16discard_iteratorINS9_11use_defaultEEEsNS9_4plusIvEEsEEDaPvRmT3_T4_T5_mT6_P12ihipStream_tbENKUlT_T0_E_clISt17integral_constantIbLb0EESX_EEDaSS_ST_EUlSS_E_NS1_11comp_targetILNS1_3genE10ELNS1_11target_archE1201ELNS1_3gpuE5ELNS1_3repE0EEENS1_30default_config_static_selectorELNS0_4arch9wavefront6targetE1EEEvT1_,comdat
.Lfunc_end5947:
	.size	_ZN7rocprim17ROCPRIM_400000_NS6detail17trampoline_kernelINS0_14default_configENS1_20scan_config_selectorIsEEZZNS1_9scan_implILNS1_25lookback_scan_determinismE0ELb1ELb1ES3_N6thrust23THRUST_200600_302600_NS6detail15normal_iteratorINS9_10device_ptrIsEEEENS9_16discard_iteratorINS9_11use_defaultEEEsNS9_4plusIvEEsEEDaPvRmT3_T4_T5_mT6_P12ihipStream_tbENKUlT_T0_E_clISt17integral_constantIbLb0EESX_EEDaSS_ST_EUlSS_E_NS1_11comp_targetILNS1_3genE10ELNS1_11target_archE1201ELNS1_3gpuE5ELNS1_3repE0EEENS1_30default_config_static_selectorELNS0_4arch9wavefront6targetE1EEEvT1_, .Lfunc_end5947-_ZN7rocprim17ROCPRIM_400000_NS6detail17trampoline_kernelINS0_14default_configENS1_20scan_config_selectorIsEEZZNS1_9scan_implILNS1_25lookback_scan_determinismE0ELb1ELb1ES3_N6thrust23THRUST_200600_302600_NS6detail15normal_iteratorINS9_10device_ptrIsEEEENS9_16discard_iteratorINS9_11use_defaultEEEsNS9_4plusIvEEsEEDaPvRmT3_T4_T5_mT6_P12ihipStream_tbENKUlT_T0_E_clISt17integral_constantIbLb0EESX_EEDaSS_ST_EUlSS_E_NS1_11comp_targetILNS1_3genE10ELNS1_11target_archE1201ELNS1_3gpuE5ELNS1_3repE0EEENS1_30default_config_static_selectorELNS0_4arch9wavefront6targetE1EEEvT1_
                                        ; -- End function
	.section	.AMDGPU.csdata,"",@progbits
; Kernel info:
; codeLenInByte = 0
; NumSgprs: 4
; NumVgprs: 0
; NumAgprs: 0
; TotalNumVgprs: 0
; ScratchSize: 0
; MemoryBound: 0
; FloatMode: 240
; IeeeMode: 1
; LDSByteSize: 0 bytes/workgroup (compile time only)
; SGPRBlocks: 0
; VGPRBlocks: 0
; NumSGPRsForWavesPerEU: 4
; NumVGPRsForWavesPerEU: 1
; AccumOffset: 4
; Occupancy: 8
; WaveLimiterHint : 0
; COMPUTE_PGM_RSRC2:SCRATCH_EN: 0
; COMPUTE_PGM_RSRC2:USER_SGPR: 6
; COMPUTE_PGM_RSRC2:TRAP_HANDLER: 0
; COMPUTE_PGM_RSRC2:TGID_X_EN: 1
; COMPUTE_PGM_RSRC2:TGID_Y_EN: 0
; COMPUTE_PGM_RSRC2:TGID_Z_EN: 0
; COMPUTE_PGM_RSRC2:TIDIG_COMP_CNT: 0
; COMPUTE_PGM_RSRC3_GFX90A:ACCUM_OFFSET: 0
; COMPUTE_PGM_RSRC3_GFX90A:TG_SPLIT: 0
	.section	.text._ZN7rocprim17ROCPRIM_400000_NS6detail17trampoline_kernelINS0_14default_configENS1_20scan_config_selectorIsEEZZNS1_9scan_implILNS1_25lookback_scan_determinismE0ELb1ELb1ES3_N6thrust23THRUST_200600_302600_NS6detail15normal_iteratorINS9_10device_ptrIsEEEENS9_16discard_iteratorINS9_11use_defaultEEEsNS9_4plusIvEEsEEDaPvRmT3_T4_T5_mT6_P12ihipStream_tbENKUlT_T0_E_clISt17integral_constantIbLb0EESX_EEDaSS_ST_EUlSS_E_NS1_11comp_targetILNS1_3genE10ELNS1_11target_archE1200ELNS1_3gpuE4ELNS1_3repE0EEENS1_30default_config_static_selectorELNS0_4arch9wavefront6targetE1EEEvT1_,"axG",@progbits,_ZN7rocprim17ROCPRIM_400000_NS6detail17trampoline_kernelINS0_14default_configENS1_20scan_config_selectorIsEEZZNS1_9scan_implILNS1_25lookback_scan_determinismE0ELb1ELb1ES3_N6thrust23THRUST_200600_302600_NS6detail15normal_iteratorINS9_10device_ptrIsEEEENS9_16discard_iteratorINS9_11use_defaultEEEsNS9_4plusIvEEsEEDaPvRmT3_T4_T5_mT6_P12ihipStream_tbENKUlT_T0_E_clISt17integral_constantIbLb0EESX_EEDaSS_ST_EUlSS_E_NS1_11comp_targetILNS1_3genE10ELNS1_11target_archE1200ELNS1_3gpuE4ELNS1_3repE0EEENS1_30default_config_static_selectorELNS0_4arch9wavefront6targetE1EEEvT1_,comdat
	.protected	_ZN7rocprim17ROCPRIM_400000_NS6detail17trampoline_kernelINS0_14default_configENS1_20scan_config_selectorIsEEZZNS1_9scan_implILNS1_25lookback_scan_determinismE0ELb1ELb1ES3_N6thrust23THRUST_200600_302600_NS6detail15normal_iteratorINS9_10device_ptrIsEEEENS9_16discard_iteratorINS9_11use_defaultEEEsNS9_4plusIvEEsEEDaPvRmT3_T4_T5_mT6_P12ihipStream_tbENKUlT_T0_E_clISt17integral_constantIbLb0EESX_EEDaSS_ST_EUlSS_E_NS1_11comp_targetILNS1_3genE10ELNS1_11target_archE1200ELNS1_3gpuE4ELNS1_3repE0EEENS1_30default_config_static_selectorELNS0_4arch9wavefront6targetE1EEEvT1_ ; -- Begin function _ZN7rocprim17ROCPRIM_400000_NS6detail17trampoline_kernelINS0_14default_configENS1_20scan_config_selectorIsEEZZNS1_9scan_implILNS1_25lookback_scan_determinismE0ELb1ELb1ES3_N6thrust23THRUST_200600_302600_NS6detail15normal_iteratorINS9_10device_ptrIsEEEENS9_16discard_iteratorINS9_11use_defaultEEEsNS9_4plusIvEEsEEDaPvRmT3_T4_T5_mT6_P12ihipStream_tbENKUlT_T0_E_clISt17integral_constantIbLb0EESX_EEDaSS_ST_EUlSS_E_NS1_11comp_targetILNS1_3genE10ELNS1_11target_archE1200ELNS1_3gpuE4ELNS1_3repE0EEENS1_30default_config_static_selectorELNS0_4arch9wavefront6targetE1EEEvT1_
	.globl	_ZN7rocprim17ROCPRIM_400000_NS6detail17trampoline_kernelINS0_14default_configENS1_20scan_config_selectorIsEEZZNS1_9scan_implILNS1_25lookback_scan_determinismE0ELb1ELb1ES3_N6thrust23THRUST_200600_302600_NS6detail15normal_iteratorINS9_10device_ptrIsEEEENS9_16discard_iteratorINS9_11use_defaultEEEsNS9_4plusIvEEsEEDaPvRmT3_T4_T5_mT6_P12ihipStream_tbENKUlT_T0_E_clISt17integral_constantIbLb0EESX_EEDaSS_ST_EUlSS_E_NS1_11comp_targetILNS1_3genE10ELNS1_11target_archE1200ELNS1_3gpuE4ELNS1_3repE0EEENS1_30default_config_static_selectorELNS0_4arch9wavefront6targetE1EEEvT1_
	.p2align	8
	.type	_ZN7rocprim17ROCPRIM_400000_NS6detail17trampoline_kernelINS0_14default_configENS1_20scan_config_selectorIsEEZZNS1_9scan_implILNS1_25lookback_scan_determinismE0ELb1ELb1ES3_N6thrust23THRUST_200600_302600_NS6detail15normal_iteratorINS9_10device_ptrIsEEEENS9_16discard_iteratorINS9_11use_defaultEEEsNS9_4plusIvEEsEEDaPvRmT3_T4_T5_mT6_P12ihipStream_tbENKUlT_T0_E_clISt17integral_constantIbLb0EESX_EEDaSS_ST_EUlSS_E_NS1_11comp_targetILNS1_3genE10ELNS1_11target_archE1200ELNS1_3gpuE4ELNS1_3repE0EEENS1_30default_config_static_selectorELNS0_4arch9wavefront6targetE1EEEvT1_,@function
_ZN7rocprim17ROCPRIM_400000_NS6detail17trampoline_kernelINS0_14default_configENS1_20scan_config_selectorIsEEZZNS1_9scan_implILNS1_25lookback_scan_determinismE0ELb1ELb1ES3_N6thrust23THRUST_200600_302600_NS6detail15normal_iteratorINS9_10device_ptrIsEEEENS9_16discard_iteratorINS9_11use_defaultEEEsNS9_4plusIvEEsEEDaPvRmT3_T4_T5_mT6_P12ihipStream_tbENKUlT_T0_E_clISt17integral_constantIbLb0EESX_EEDaSS_ST_EUlSS_E_NS1_11comp_targetILNS1_3genE10ELNS1_11target_archE1200ELNS1_3gpuE4ELNS1_3repE0EEENS1_30default_config_static_selectorELNS0_4arch9wavefront6targetE1EEEvT1_: ; @_ZN7rocprim17ROCPRIM_400000_NS6detail17trampoline_kernelINS0_14default_configENS1_20scan_config_selectorIsEEZZNS1_9scan_implILNS1_25lookback_scan_determinismE0ELb1ELb1ES3_N6thrust23THRUST_200600_302600_NS6detail15normal_iteratorINS9_10device_ptrIsEEEENS9_16discard_iteratorINS9_11use_defaultEEEsNS9_4plusIvEEsEEDaPvRmT3_T4_T5_mT6_P12ihipStream_tbENKUlT_T0_E_clISt17integral_constantIbLb0EESX_EEDaSS_ST_EUlSS_E_NS1_11comp_targetILNS1_3genE10ELNS1_11target_archE1200ELNS1_3gpuE4ELNS1_3repE0EEENS1_30default_config_static_selectorELNS0_4arch9wavefront6targetE1EEEvT1_
; %bb.0:
	.section	.rodata,"a",@progbits
	.p2align	6, 0x0
	.amdhsa_kernel _ZN7rocprim17ROCPRIM_400000_NS6detail17trampoline_kernelINS0_14default_configENS1_20scan_config_selectorIsEEZZNS1_9scan_implILNS1_25lookback_scan_determinismE0ELb1ELb1ES3_N6thrust23THRUST_200600_302600_NS6detail15normal_iteratorINS9_10device_ptrIsEEEENS9_16discard_iteratorINS9_11use_defaultEEEsNS9_4plusIvEEsEEDaPvRmT3_T4_T5_mT6_P12ihipStream_tbENKUlT_T0_E_clISt17integral_constantIbLb0EESX_EEDaSS_ST_EUlSS_E_NS1_11comp_targetILNS1_3genE10ELNS1_11target_archE1200ELNS1_3gpuE4ELNS1_3repE0EEENS1_30default_config_static_selectorELNS0_4arch9wavefront6targetE1EEEvT1_
		.amdhsa_group_segment_fixed_size 0
		.amdhsa_private_segment_fixed_size 0
		.amdhsa_kernarg_size 104
		.amdhsa_user_sgpr_count 6
		.amdhsa_user_sgpr_private_segment_buffer 1
		.amdhsa_user_sgpr_dispatch_ptr 0
		.amdhsa_user_sgpr_queue_ptr 0
		.amdhsa_user_sgpr_kernarg_segment_ptr 1
		.amdhsa_user_sgpr_dispatch_id 0
		.amdhsa_user_sgpr_flat_scratch_init 0
		.amdhsa_user_sgpr_kernarg_preload_length 0
		.amdhsa_user_sgpr_kernarg_preload_offset 0
		.amdhsa_user_sgpr_private_segment_size 0
		.amdhsa_uses_dynamic_stack 0
		.amdhsa_system_sgpr_private_segment_wavefront_offset 0
		.amdhsa_system_sgpr_workgroup_id_x 1
		.amdhsa_system_sgpr_workgroup_id_y 0
		.amdhsa_system_sgpr_workgroup_id_z 0
		.amdhsa_system_sgpr_workgroup_info 0
		.amdhsa_system_vgpr_workitem_id 0
		.amdhsa_next_free_vgpr 1
		.amdhsa_next_free_sgpr 0
		.amdhsa_accum_offset 4
		.amdhsa_reserve_vcc 0
		.amdhsa_reserve_flat_scratch 0
		.amdhsa_float_round_mode_32 0
		.amdhsa_float_round_mode_16_64 0
		.amdhsa_float_denorm_mode_32 3
		.amdhsa_float_denorm_mode_16_64 3
		.amdhsa_dx10_clamp 1
		.amdhsa_ieee_mode 1
		.amdhsa_fp16_overflow 0
		.amdhsa_tg_split 0
		.amdhsa_exception_fp_ieee_invalid_op 0
		.amdhsa_exception_fp_denorm_src 0
		.amdhsa_exception_fp_ieee_div_zero 0
		.amdhsa_exception_fp_ieee_overflow 0
		.amdhsa_exception_fp_ieee_underflow 0
		.amdhsa_exception_fp_ieee_inexact 0
		.amdhsa_exception_int_div_zero 0
	.end_amdhsa_kernel
	.section	.text._ZN7rocprim17ROCPRIM_400000_NS6detail17trampoline_kernelINS0_14default_configENS1_20scan_config_selectorIsEEZZNS1_9scan_implILNS1_25lookback_scan_determinismE0ELb1ELb1ES3_N6thrust23THRUST_200600_302600_NS6detail15normal_iteratorINS9_10device_ptrIsEEEENS9_16discard_iteratorINS9_11use_defaultEEEsNS9_4plusIvEEsEEDaPvRmT3_T4_T5_mT6_P12ihipStream_tbENKUlT_T0_E_clISt17integral_constantIbLb0EESX_EEDaSS_ST_EUlSS_E_NS1_11comp_targetILNS1_3genE10ELNS1_11target_archE1200ELNS1_3gpuE4ELNS1_3repE0EEENS1_30default_config_static_selectorELNS0_4arch9wavefront6targetE1EEEvT1_,"axG",@progbits,_ZN7rocprim17ROCPRIM_400000_NS6detail17trampoline_kernelINS0_14default_configENS1_20scan_config_selectorIsEEZZNS1_9scan_implILNS1_25lookback_scan_determinismE0ELb1ELb1ES3_N6thrust23THRUST_200600_302600_NS6detail15normal_iteratorINS9_10device_ptrIsEEEENS9_16discard_iteratorINS9_11use_defaultEEEsNS9_4plusIvEEsEEDaPvRmT3_T4_T5_mT6_P12ihipStream_tbENKUlT_T0_E_clISt17integral_constantIbLb0EESX_EEDaSS_ST_EUlSS_E_NS1_11comp_targetILNS1_3genE10ELNS1_11target_archE1200ELNS1_3gpuE4ELNS1_3repE0EEENS1_30default_config_static_selectorELNS0_4arch9wavefront6targetE1EEEvT1_,comdat
.Lfunc_end5948:
	.size	_ZN7rocprim17ROCPRIM_400000_NS6detail17trampoline_kernelINS0_14default_configENS1_20scan_config_selectorIsEEZZNS1_9scan_implILNS1_25lookback_scan_determinismE0ELb1ELb1ES3_N6thrust23THRUST_200600_302600_NS6detail15normal_iteratorINS9_10device_ptrIsEEEENS9_16discard_iteratorINS9_11use_defaultEEEsNS9_4plusIvEEsEEDaPvRmT3_T4_T5_mT6_P12ihipStream_tbENKUlT_T0_E_clISt17integral_constantIbLb0EESX_EEDaSS_ST_EUlSS_E_NS1_11comp_targetILNS1_3genE10ELNS1_11target_archE1200ELNS1_3gpuE4ELNS1_3repE0EEENS1_30default_config_static_selectorELNS0_4arch9wavefront6targetE1EEEvT1_, .Lfunc_end5948-_ZN7rocprim17ROCPRIM_400000_NS6detail17trampoline_kernelINS0_14default_configENS1_20scan_config_selectorIsEEZZNS1_9scan_implILNS1_25lookback_scan_determinismE0ELb1ELb1ES3_N6thrust23THRUST_200600_302600_NS6detail15normal_iteratorINS9_10device_ptrIsEEEENS9_16discard_iteratorINS9_11use_defaultEEEsNS9_4plusIvEEsEEDaPvRmT3_T4_T5_mT6_P12ihipStream_tbENKUlT_T0_E_clISt17integral_constantIbLb0EESX_EEDaSS_ST_EUlSS_E_NS1_11comp_targetILNS1_3genE10ELNS1_11target_archE1200ELNS1_3gpuE4ELNS1_3repE0EEENS1_30default_config_static_selectorELNS0_4arch9wavefront6targetE1EEEvT1_
                                        ; -- End function
	.section	.AMDGPU.csdata,"",@progbits
; Kernel info:
; codeLenInByte = 0
; NumSgprs: 4
; NumVgprs: 0
; NumAgprs: 0
; TotalNumVgprs: 0
; ScratchSize: 0
; MemoryBound: 0
; FloatMode: 240
; IeeeMode: 1
; LDSByteSize: 0 bytes/workgroup (compile time only)
; SGPRBlocks: 0
; VGPRBlocks: 0
; NumSGPRsForWavesPerEU: 4
; NumVGPRsForWavesPerEU: 1
; AccumOffset: 4
; Occupancy: 8
; WaveLimiterHint : 0
; COMPUTE_PGM_RSRC2:SCRATCH_EN: 0
; COMPUTE_PGM_RSRC2:USER_SGPR: 6
; COMPUTE_PGM_RSRC2:TRAP_HANDLER: 0
; COMPUTE_PGM_RSRC2:TGID_X_EN: 1
; COMPUTE_PGM_RSRC2:TGID_Y_EN: 0
; COMPUTE_PGM_RSRC2:TGID_Z_EN: 0
; COMPUTE_PGM_RSRC2:TIDIG_COMP_CNT: 0
; COMPUTE_PGM_RSRC3_GFX90A:ACCUM_OFFSET: 0
; COMPUTE_PGM_RSRC3_GFX90A:TG_SPLIT: 0
	.section	.text._ZN7rocprim17ROCPRIM_400000_NS6detail17trampoline_kernelINS0_14default_configENS1_20scan_config_selectorIsEEZZNS1_9scan_implILNS1_25lookback_scan_determinismE0ELb1ELb1ES3_N6thrust23THRUST_200600_302600_NS6detail15normal_iteratorINS9_10device_ptrIsEEEENS9_16discard_iteratorINS9_11use_defaultEEEsNS9_4plusIvEEsEEDaPvRmT3_T4_T5_mT6_P12ihipStream_tbENKUlT_T0_E_clISt17integral_constantIbLb0EESX_EEDaSS_ST_EUlSS_E_NS1_11comp_targetILNS1_3genE9ELNS1_11target_archE1100ELNS1_3gpuE3ELNS1_3repE0EEENS1_30default_config_static_selectorELNS0_4arch9wavefront6targetE1EEEvT1_,"axG",@progbits,_ZN7rocprim17ROCPRIM_400000_NS6detail17trampoline_kernelINS0_14default_configENS1_20scan_config_selectorIsEEZZNS1_9scan_implILNS1_25lookback_scan_determinismE0ELb1ELb1ES3_N6thrust23THRUST_200600_302600_NS6detail15normal_iteratorINS9_10device_ptrIsEEEENS9_16discard_iteratorINS9_11use_defaultEEEsNS9_4plusIvEEsEEDaPvRmT3_T4_T5_mT6_P12ihipStream_tbENKUlT_T0_E_clISt17integral_constantIbLb0EESX_EEDaSS_ST_EUlSS_E_NS1_11comp_targetILNS1_3genE9ELNS1_11target_archE1100ELNS1_3gpuE3ELNS1_3repE0EEENS1_30default_config_static_selectorELNS0_4arch9wavefront6targetE1EEEvT1_,comdat
	.protected	_ZN7rocprim17ROCPRIM_400000_NS6detail17trampoline_kernelINS0_14default_configENS1_20scan_config_selectorIsEEZZNS1_9scan_implILNS1_25lookback_scan_determinismE0ELb1ELb1ES3_N6thrust23THRUST_200600_302600_NS6detail15normal_iteratorINS9_10device_ptrIsEEEENS9_16discard_iteratorINS9_11use_defaultEEEsNS9_4plusIvEEsEEDaPvRmT3_T4_T5_mT6_P12ihipStream_tbENKUlT_T0_E_clISt17integral_constantIbLb0EESX_EEDaSS_ST_EUlSS_E_NS1_11comp_targetILNS1_3genE9ELNS1_11target_archE1100ELNS1_3gpuE3ELNS1_3repE0EEENS1_30default_config_static_selectorELNS0_4arch9wavefront6targetE1EEEvT1_ ; -- Begin function _ZN7rocprim17ROCPRIM_400000_NS6detail17trampoline_kernelINS0_14default_configENS1_20scan_config_selectorIsEEZZNS1_9scan_implILNS1_25lookback_scan_determinismE0ELb1ELb1ES3_N6thrust23THRUST_200600_302600_NS6detail15normal_iteratorINS9_10device_ptrIsEEEENS9_16discard_iteratorINS9_11use_defaultEEEsNS9_4plusIvEEsEEDaPvRmT3_T4_T5_mT6_P12ihipStream_tbENKUlT_T0_E_clISt17integral_constantIbLb0EESX_EEDaSS_ST_EUlSS_E_NS1_11comp_targetILNS1_3genE9ELNS1_11target_archE1100ELNS1_3gpuE3ELNS1_3repE0EEENS1_30default_config_static_selectorELNS0_4arch9wavefront6targetE1EEEvT1_
	.globl	_ZN7rocprim17ROCPRIM_400000_NS6detail17trampoline_kernelINS0_14default_configENS1_20scan_config_selectorIsEEZZNS1_9scan_implILNS1_25lookback_scan_determinismE0ELb1ELb1ES3_N6thrust23THRUST_200600_302600_NS6detail15normal_iteratorINS9_10device_ptrIsEEEENS9_16discard_iteratorINS9_11use_defaultEEEsNS9_4plusIvEEsEEDaPvRmT3_T4_T5_mT6_P12ihipStream_tbENKUlT_T0_E_clISt17integral_constantIbLb0EESX_EEDaSS_ST_EUlSS_E_NS1_11comp_targetILNS1_3genE9ELNS1_11target_archE1100ELNS1_3gpuE3ELNS1_3repE0EEENS1_30default_config_static_selectorELNS0_4arch9wavefront6targetE1EEEvT1_
	.p2align	8
	.type	_ZN7rocprim17ROCPRIM_400000_NS6detail17trampoline_kernelINS0_14default_configENS1_20scan_config_selectorIsEEZZNS1_9scan_implILNS1_25lookback_scan_determinismE0ELb1ELb1ES3_N6thrust23THRUST_200600_302600_NS6detail15normal_iteratorINS9_10device_ptrIsEEEENS9_16discard_iteratorINS9_11use_defaultEEEsNS9_4plusIvEEsEEDaPvRmT3_T4_T5_mT6_P12ihipStream_tbENKUlT_T0_E_clISt17integral_constantIbLb0EESX_EEDaSS_ST_EUlSS_E_NS1_11comp_targetILNS1_3genE9ELNS1_11target_archE1100ELNS1_3gpuE3ELNS1_3repE0EEENS1_30default_config_static_selectorELNS0_4arch9wavefront6targetE1EEEvT1_,@function
_ZN7rocprim17ROCPRIM_400000_NS6detail17trampoline_kernelINS0_14default_configENS1_20scan_config_selectorIsEEZZNS1_9scan_implILNS1_25lookback_scan_determinismE0ELb1ELb1ES3_N6thrust23THRUST_200600_302600_NS6detail15normal_iteratorINS9_10device_ptrIsEEEENS9_16discard_iteratorINS9_11use_defaultEEEsNS9_4plusIvEEsEEDaPvRmT3_T4_T5_mT6_P12ihipStream_tbENKUlT_T0_E_clISt17integral_constantIbLb0EESX_EEDaSS_ST_EUlSS_E_NS1_11comp_targetILNS1_3genE9ELNS1_11target_archE1100ELNS1_3gpuE3ELNS1_3repE0EEENS1_30default_config_static_selectorELNS0_4arch9wavefront6targetE1EEEvT1_: ; @_ZN7rocprim17ROCPRIM_400000_NS6detail17trampoline_kernelINS0_14default_configENS1_20scan_config_selectorIsEEZZNS1_9scan_implILNS1_25lookback_scan_determinismE0ELb1ELb1ES3_N6thrust23THRUST_200600_302600_NS6detail15normal_iteratorINS9_10device_ptrIsEEEENS9_16discard_iteratorINS9_11use_defaultEEEsNS9_4plusIvEEsEEDaPvRmT3_T4_T5_mT6_P12ihipStream_tbENKUlT_T0_E_clISt17integral_constantIbLb0EESX_EEDaSS_ST_EUlSS_E_NS1_11comp_targetILNS1_3genE9ELNS1_11target_archE1100ELNS1_3gpuE3ELNS1_3repE0EEENS1_30default_config_static_selectorELNS0_4arch9wavefront6targetE1EEEvT1_
; %bb.0:
	.section	.rodata,"a",@progbits
	.p2align	6, 0x0
	.amdhsa_kernel _ZN7rocprim17ROCPRIM_400000_NS6detail17trampoline_kernelINS0_14default_configENS1_20scan_config_selectorIsEEZZNS1_9scan_implILNS1_25lookback_scan_determinismE0ELb1ELb1ES3_N6thrust23THRUST_200600_302600_NS6detail15normal_iteratorINS9_10device_ptrIsEEEENS9_16discard_iteratorINS9_11use_defaultEEEsNS9_4plusIvEEsEEDaPvRmT3_T4_T5_mT6_P12ihipStream_tbENKUlT_T0_E_clISt17integral_constantIbLb0EESX_EEDaSS_ST_EUlSS_E_NS1_11comp_targetILNS1_3genE9ELNS1_11target_archE1100ELNS1_3gpuE3ELNS1_3repE0EEENS1_30default_config_static_selectorELNS0_4arch9wavefront6targetE1EEEvT1_
		.amdhsa_group_segment_fixed_size 0
		.amdhsa_private_segment_fixed_size 0
		.amdhsa_kernarg_size 104
		.amdhsa_user_sgpr_count 6
		.amdhsa_user_sgpr_private_segment_buffer 1
		.amdhsa_user_sgpr_dispatch_ptr 0
		.amdhsa_user_sgpr_queue_ptr 0
		.amdhsa_user_sgpr_kernarg_segment_ptr 1
		.amdhsa_user_sgpr_dispatch_id 0
		.amdhsa_user_sgpr_flat_scratch_init 0
		.amdhsa_user_sgpr_kernarg_preload_length 0
		.amdhsa_user_sgpr_kernarg_preload_offset 0
		.amdhsa_user_sgpr_private_segment_size 0
		.amdhsa_uses_dynamic_stack 0
		.amdhsa_system_sgpr_private_segment_wavefront_offset 0
		.amdhsa_system_sgpr_workgroup_id_x 1
		.amdhsa_system_sgpr_workgroup_id_y 0
		.amdhsa_system_sgpr_workgroup_id_z 0
		.amdhsa_system_sgpr_workgroup_info 0
		.amdhsa_system_vgpr_workitem_id 0
		.amdhsa_next_free_vgpr 1
		.amdhsa_next_free_sgpr 0
		.amdhsa_accum_offset 4
		.amdhsa_reserve_vcc 0
		.amdhsa_reserve_flat_scratch 0
		.amdhsa_float_round_mode_32 0
		.amdhsa_float_round_mode_16_64 0
		.amdhsa_float_denorm_mode_32 3
		.amdhsa_float_denorm_mode_16_64 3
		.amdhsa_dx10_clamp 1
		.amdhsa_ieee_mode 1
		.amdhsa_fp16_overflow 0
		.amdhsa_tg_split 0
		.amdhsa_exception_fp_ieee_invalid_op 0
		.amdhsa_exception_fp_denorm_src 0
		.amdhsa_exception_fp_ieee_div_zero 0
		.amdhsa_exception_fp_ieee_overflow 0
		.amdhsa_exception_fp_ieee_underflow 0
		.amdhsa_exception_fp_ieee_inexact 0
		.amdhsa_exception_int_div_zero 0
	.end_amdhsa_kernel
	.section	.text._ZN7rocprim17ROCPRIM_400000_NS6detail17trampoline_kernelINS0_14default_configENS1_20scan_config_selectorIsEEZZNS1_9scan_implILNS1_25lookback_scan_determinismE0ELb1ELb1ES3_N6thrust23THRUST_200600_302600_NS6detail15normal_iteratorINS9_10device_ptrIsEEEENS9_16discard_iteratorINS9_11use_defaultEEEsNS9_4plusIvEEsEEDaPvRmT3_T4_T5_mT6_P12ihipStream_tbENKUlT_T0_E_clISt17integral_constantIbLb0EESX_EEDaSS_ST_EUlSS_E_NS1_11comp_targetILNS1_3genE9ELNS1_11target_archE1100ELNS1_3gpuE3ELNS1_3repE0EEENS1_30default_config_static_selectorELNS0_4arch9wavefront6targetE1EEEvT1_,"axG",@progbits,_ZN7rocprim17ROCPRIM_400000_NS6detail17trampoline_kernelINS0_14default_configENS1_20scan_config_selectorIsEEZZNS1_9scan_implILNS1_25lookback_scan_determinismE0ELb1ELb1ES3_N6thrust23THRUST_200600_302600_NS6detail15normal_iteratorINS9_10device_ptrIsEEEENS9_16discard_iteratorINS9_11use_defaultEEEsNS9_4plusIvEEsEEDaPvRmT3_T4_T5_mT6_P12ihipStream_tbENKUlT_T0_E_clISt17integral_constantIbLb0EESX_EEDaSS_ST_EUlSS_E_NS1_11comp_targetILNS1_3genE9ELNS1_11target_archE1100ELNS1_3gpuE3ELNS1_3repE0EEENS1_30default_config_static_selectorELNS0_4arch9wavefront6targetE1EEEvT1_,comdat
.Lfunc_end5949:
	.size	_ZN7rocprim17ROCPRIM_400000_NS6detail17trampoline_kernelINS0_14default_configENS1_20scan_config_selectorIsEEZZNS1_9scan_implILNS1_25lookback_scan_determinismE0ELb1ELb1ES3_N6thrust23THRUST_200600_302600_NS6detail15normal_iteratorINS9_10device_ptrIsEEEENS9_16discard_iteratorINS9_11use_defaultEEEsNS9_4plusIvEEsEEDaPvRmT3_T4_T5_mT6_P12ihipStream_tbENKUlT_T0_E_clISt17integral_constantIbLb0EESX_EEDaSS_ST_EUlSS_E_NS1_11comp_targetILNS1_3genE9ELNS1_11target_archE1100ELNS1_3gpuE3ELNS1_3repE0EEENS1_30default_config_static_selectorELNS0_4arch9wavefront6targetE1EEEvT1_, .Lfunc_end5949-_ZN7rocprim17ROCPRIM_400000_NS6detail17trampoline_kernelINS0_14default_configENS1_20scan_config_selectorIsEEZZNS1_9scan_implILNS1_25lookback_scan_determinismE0ELb1ELb1ES3_N6thrust23THRUST_200600_302600_NS6detail15normal_iteratorINS9_10device_ptrIsEEEENS9_16discard_iteratorINS9_11use_defaultEEEsNS9_4plusIvEEsEEDaPvRmT3_T4_T5_mT6_P12ihipStream_tbENKUlT_T0_E_clISt17integral_constantIbLb0EESX_EEDaSS_ST_EUlSS_E_NS1_11comp_targetILNS1_3genE9ELNS1_11target_archE1100ELNS1_3gpuE3ELNS1_3repE0EEENS1_30default_config_static_selectorELNS0_4arch9wavefront6targetE1EEEvT1_
                                        ; -- End function
	.section	.AMDGPU.csdata,"",@progbits
; Kernel info:
; codeLenInByte = 0
; NumSgprs: 4
; NumVgprs: 0
; NumAgprs: 0
; TotalNumVgprs: 0
; ScratchSize: 0
; MemoryBound: 0
; FloatMode: 240
; IeeeMode: 1
; LDSByteSize: 0 bytes/workgroup (compile time only)
; SGPRBlocks: 0
; VGPRBlocks: 0
; NumSGPRsForWavesPerEU: 4
; NumVGPRsForWavesPerEU: 1
; AccumOffset: 4
; Occupancy: 8
; WaveLimiterHint : 0
; COMPUTE_PGM_RSRC2:SCRATCH_EN: 0
; COMPUTE_PGM_RSRC2:USER_SGPR: 6
; COMPUTE_PGM_RSRC2:TRAP_HANDLER: 0
; COMPUTE_PGM_RSRC2:TGID_X_EN: 1
; COMPUTE_PGM_RSRC2:TGID_Y_EN: 0
; COMPUTE_PGM_RSRC2:TGID_Z_EN: 0
; COMPUTE_PGM_RSRC2:TIDIG_COMP_CNT: 0
; COMPUTE_PGM_RSRC3_GFX90A:ACCUM_OFFSET: 0
; COMPUTE_PGM_RSRC3_GFX90A:TG_SPLIT: 0
	.section	.text._ZN7rocprim17ROCPRIM_400000_NS6detail17trampoline_kernelINS0_14default_configENS1_20scan_config_selectorIsEEZZNS1_9scan_implILNS1_25lookback_scan_determinismE0ELb1ELb1ES3_N6thrust23THRUST_200600_302600_NS6detail15normal_iteratorINS9_10device_ptrIsEEEENS9_16discard_iteratorINS9_11use_defaultEEEsNS9_4plusIvEEsEEDaPvRmT3_T4_T5_mT6_P12ihipStream_tbENKUlT_T0_E_clISt17integral_constantIbLb0EESX_EEDaSS_ST_EUlSS_E_NS1_11comp_targetILNS1_3genE8ELNS1_11target_archE1030ELNS1_3gpuE2ELNS1_3repE0EEENS1_30default_config_static_selectorELNS0_4arch9wavefront6targetE1EEEvT1_,"axG",@progbits,_ZN7rocprim17ROCPRIM_400000_NS6detail17trampoline_kernelINS0_14default_configENS1_20scan_config_selectorIsEEZZNS1_9scan_implILNS1_25lookback_scan_determinismE0ELb1ELb1ES3_N6thrust23THRUST_200600_302600_NS6detail15normal_iteratorINS9_10device_ptrIsEEEENS9_16discard_iteratorINS9_11use_defaultEEEsNS9_4plusIvEEsEEDaPvRmT3_T4_T5_mT6_P12ihipStream_tbENKUlT_T0_E_clISt17integral_constantIbLb0EESX_EEDaSS_ST_EUlSS_E_NS1_11comp_targetILNS1_3genE8ELNS1_11target_archE1030ELNS1_3gpuE2ELNS1_3repE0EEENS1_30default_config_static_selectorELNS0_4arch9wavefront6targetE1EEEvT1_,comdat
	.protected	_ZN7rocprim17ROCPRIM_400000_NS6detail17trampoline_kernelINS0_14default_configENS1_20scan_config_selectorIsEEZZNS1_9scan_implILNS1_25lookback_scan_determinismE0ELb1ELb1ES3_N6thrust23THRUST_200600_302600_NS6detail15normal_iteratorINS9_10device_ptrIsEEEENS9_16discard_iteratorINS9_11use_defaultEEEsNS9_4plusIvEEsEEDaPvRmT3_T4_T5_mT6_P12ihipStream_tbENKUlT_T0_E_clISt17integral_constantIbLb0EESX_EEDaSS_ST_EUlSS_E_NS1_11comp_targetILNS1_3genE8ELNS1_11target_archE1030ELNS1_3gpuE2ELNS1_3repE0EEENS1_30default_config_static_selectorELNS0_4arch9wavefront6targetE1EEEvT1_ ; -- Begin function _ZN7rocprim17ROCPRIM_400000_NS6detail17trampoline_kernelINS0_14default_configENS1_20scan_config_selectorIsEEZZNS1_9scan_implILNS1_25lookback_scan_determinismE0ELb1ELb1ES3_N6thrust23THRUST_200600_302600_NS6detail15normal_iteratorINS9_10device_ptrIsEEEENS9_16discard_iteratorINS9_11use_defaultEEEsNS9_4plusIvEEsEEDaPvRmT3_T4_T5_mT6_P12ihipStream_tbENKUlT_T0_E_clISt17integral_constantIbLb0EESX_EEDaSS_ST_EUlSS_E_NS1_11comp_targetILNS1_3genE8ELNS1_11target_archE1030ELNS1_3gpuE2ELNS1_3repE0EEENS1_30default_config_static_selectorELNS0_4arch9wavefront6targetE1EEEvT1_
	.globl	_ZN7rocprim17ROCPRIM_400000_NS6detail17trampoline_kernelINS0_14default_configENS1_20scan_config_selectorIsEEZZNS1_9scan_implILNS1_25lookback_scan_determinismE0ELb1ELb1ES3_N6thrust23THRUST_200600_302600_NS6detail15normal_iteratorINS9_10device_ptrIsEEEENS9_16discard_iteratorINS9_11use_defaultEEEsNS9_4plusIvEEsEEDaPvRmT3_T4_T5_mT6_P12ihipStream_tbENKUlT_T0_E_clISt17integral_constantIbLb0EESX_EEDaSS_ST_EUlSS_E_NS1_11comp_targetILNS1_3genE8ELNS1_11target_archE1030ELNS1_3gpuE2ELNS1_3repE0EEENS1_30default_config_static_selectorELNS0_4arch9wavefront6targetE1EEEvT1_
	.p2align	8
	.type	_ZN7rocprim17ROCPRIM_400000_NS6detail17trampoline_kernelINS0_14default_configENS1_20scan_config_selectorIsEEZZNS1_9scan_implILNS1_25lookback_scan_determinismE0ELb1ELb1ES3_N6thrust23THRUST_200600_302600_NS6detail15normal_iteratorINS9_10device_ptrIsEEEENS9_16discard_iteratorINS9_11use_defaultEEEsNS9_4plusIvEEsEEDaPvRmT3_T4_T5_mT6_P12ihipStream_tbENKUlT_T0_E_clISt17integral_constantIbLb0EESX_EEDaSS_ST_EUlSS_E_NS1_11comp_targetILNS1_3genE8ELNS1_11target_archE1030ELNS1_3gpuE2ELNS1_3repE0EEENS1_30default_config_static_selectorELNS0_4arch9wavefront6targetE1EEEvT1_,@function
_ZN7rocprim17ROCPRIM_400000_NS6detail17trampoline_kernelINS0_14default_configENS1_20scan_config_selectorIsEEZZNS1_9scan_implILNS1_25lookback_scan_determinismE0ELb1ELb1ES3_N6thrust23THRUST_200600_302600_NS6detail15normal_iteratorINS9_10device_ptrIsEEEENS9_16discard_iteratorINS9_11use_defaultEEEsNS9_4plusIvEEsEEDaPvRmT3_T4_T5_mT6_P12ihipStream_tbENKUlT_T0_E_clISt17integral_constantIbLb0EESX_EEDaSS_ST_EUlSS_E_NS1_11comp_targetILNS1_3genE8ELNS1_11target_archE1030ELNS1_3gpuE2ELNS1_3repE0EEENS1_30default_config_static_selectorELNS0_4arch9wavefront6targetE1EEEvT1_: ; @_ZN7rocprim17ROCPRIM_400000_NS6detail17trampoline_kernelINS0_14default_configENS1_20scan_config_selectorIsEEZZNS1_9scan_implILNS1_25lookback_scan_determinismE0ELb1ELb1ES3_N6thrust23THRUST_200600_302600_NS6detail15normal_iteratorINS9_10device_ptrIsEEEENS9_16discard_iteratorINS9_11use_defaultEEEsNS9_4plusIvEEsEEDaPvRmT3_T4_T5_mT6_P12ihipStream_tbENKUlT_T0_E_clISt17integral_constantIbLb0EESX_EEDaSS_ST_EUlSS_E_NS1_11comp_targetILNS1_3genE8ELNS1_11target_archE1030ELNS1_3gpuE2ELNS1_3repE0EEENS1_30default_config_static_selectorELNS0_4arch9wavefront6targetE1EEEvT1_
; %bb.0:
	.section	.rodata,"a",@progbits
	.p2align	6, 0x0
	.amdhsa_kernel _ZN7rocprim17ROCPRIM_400000_NS6detail17trampoline_kernelINS0_14default_configENS1_20scan_config_selectorIsEEZZNS1_9scan_implILNS1_25lookback_scan_determinismE0ELb1ELb1ES3_N6thrust23THRUST_200600_302600_NS6detail15normal_iteratorINS9_10device_ptrIsEEEENS9_16discard_iteratorINS9_11use_defaultEEEsNS9_4plusIvEEsEEDaPvRmT3_T4_T5_mT6_P12ihipStream_tbENKUlT_T0_E_clISt17integral_constantIbLb0EESX_EEDaSS_ST_EUlSS_E_NS1_11comp_targetILNS1_3genE8ELNS1_11target_archE1030ELNS1_3gpuE2ELNS1_3repE0EEENS1_30default_config_static_selectorELNS0_4arch9wavefront6targetE1EEEvT1_
		.amdhsa_group_segment_fixed_size 0
		.amdhsa_private_segment_fixed_size 0
		.amdhsa_kernarg_size 104
		.amdhsa_user_sgpr_count 6
		.amdhsa_user_sgpr_private_segment_buffer 1
		.amdhsa_user_sgpr_dispatch_ptr 0
		.amdhsa_user_sgpr_queue_ptr 0
		.amdhsa_user_sgpr_kernarg_segment_ptr 1
		.amdhsa_user_sgpr_dispatch_id 0
		.amdhsa_user_sgpr_flat_scratch_init 0
		.amdhsa_user_sgpr_kernarg_preload_length 0
		.amdhsa_user_sgpr_kernarg_preload_offset 0
		.amdhsa_user_sgpr_private_segment_size 0
		.amdhsa_uses_dynamic_stack 0
		.amdhsa_system_sgpr_private_segment_wavefront_offset 0
		.amdhsa_system_sgpr_workgroup_id_x 1
		.amdhsa_system_sgpr_workgroup_id_y 0
		.amdhsa_system_sgpr_workgroup_id_z 0
		.amdhsa_system_sgpr_workgroup_info 0
		.amdhsa_system_vgpr_workitem_id 0
		.amdhsa_next_free_vgpr 1
		.amdhsa_next_free_sgpr 0
		.amdhsa_accum_offset 4
		.amdhsa_reserve_vcc 0
		.amdhsa_reserve_flat_scratch 0
		.amdhsa_float_round_mode_32 0
		.amdhsa_float_round_mode_16_64 0
		.amdhsa_float_denorm_mode_32 3
		.amdhsa_float_denorm_mode_16_64 3
		.amdhsa_dx10_clamp 1
		.amdhsa_ieee_mode 1
		.amdhsa_fp16_overflow 0
		.amdhsa_tg_split 0
		.amdhsa_exception_fp_ieee_invalid_op 0
		.amdhsa_exception_fp_denorm_src 0
		.amdhsa_exception_fp_ieee_div_zero 0
		.amdhsa_exception_fp_ieee_overflow 0
		.amdhsa_exception_fp_ieee_underflow 0
		.amdhsa_exception_fp_ieee_inexact 0
		.amdhsa_exception_int_div_zero 0
	.end_amdhsa_kernel
	.section	.text._ZN7rocprim17ROCPRIM_400000_NS6detail17trampoline_kernelINS0_14default_configENS1_20scan_config_selectorIsEEZZNS1_9scan_implILNS1_25lookback_scan_determinismE0ELb1ELb1ES3_N6thrust23THRUST_200600_302600_NS6detail15normal_iteratorINS9_10device_ptrIsEEEENS9_16discard_iteratorINS9_11use_defaultEEEsNS9_4plusIvEEsEEDaPvRmT3_T4_T5_mT6_P12ihipStream_tbENKUlT_T0_E_clISt17integral_constantIbLb0EESX_EEDaSS_ST_EUlSS_E_NS1_11comp_targetILNS1_3genE8ELNS1_11target_archE1030ELNS1_3gpuE2ELNS1_3repE0EEENS1_30default_config_static_selectorELNS0_4arch9wavefront6targetE1EEEvT1_,"axG",@progbits,_ZN7rocprim17ROCPRIM_400000_NS6detail17trampoline_kernelINS0_14default_configENS1_20scan_config_selectorIsEEZZNS1_9scan_implILNS1_25lookback_scan_determinismE0ELb1ELb1ES3_N6thrust23THRUST_200600_302600_NS6detail15normal_iteratorINS9_10device_ptrIsEEEENS9_16discard_iteratorINS9_11use_defaultEEEsNS9_4plusIvEEsEEDaPvRmT3_T4_T5_mT6_P12ihipStream_tbENKUlT_T0_E_clISt17integral_constantIbLb0EESX_EEDaSS_ST_EUlSS_E_NS1_11comp_targetILNS1_3genE8ELNS1_11target_archE1030ELNS1_3gpuE2ELNS1_3repE0EEENS1_30default_config_static_selectorELNS0_4arch9wavefront6targetE1EEEvT1_,comdat
.Lfunc_end5950:
	.size	_ZN7rocprim17ROCPRIM_400000_NS6detail17trampoline_kernelINS0_14default_configENS1_20scan_config_selectorIsEEZZNS1_9scan_implILNS1_25lookback_scan_determinismE0ELb1ELb1ES3_N6thrust23THRUST_200600_302600_NS6detail15normal_iteratorINS9_10device_ptrIsEEEENS9_16discard_iteratorINS9_11use_defaultEEEsNS9_4plusIvEEsEEDaPvRmT3_T4_T5_mT6_P12ihipStream_tbENKUlT_T0_E_clISt17integral_constantIbLb0EESX_EEDaSS_ST_EUlSS_E_NS1_11comp_targetILNS1_3genE8ELNS1_11target_archE1030ELNS1_3gpuE2ELNS1_3repE0EEENS1_30default_config_static_selectorELNS0_4arch9wavefront6targetE1EEEvT1_, .Lfunc_end5950-_ZN7rocprim17ROCPRIM_400000_NS6detail17trampoline_kernelINS0_14default_configENS1_20scan_config_selectorIsEEZZNS1_9scan_implILNS1_25lookback_scan_determinismE0ELb1ELb1ES3_N6thrust23THRUST_200600_302600_NS6detail15normal_iteratorINS9_10device_ptrIsEEEENS9_16discard_iteratorINS9_11use_defaultEEEsNS9_4plusIvEEsEEDaPvRmT3_T4_T5_mT6_P12ihipStream_tbENKUlT_T0_E_clISt17integral_constantIbLb0EESX_EEDaSS_ST_EUlSS_E_NS1_11comp_targetILNS1_3genE8ELNS1_11target_archE1030ELNS1_3gpuE2ELNS1_3repE0EEENS1_30default_config_static_selectorELNS0_4arch9wavefront6targetE1EEEvT1_
                                        ; -- End function
	.section	.AMDGPU.csdata,"",@progbits
; Kernel info:
; codeLenInByte = 0
; NumSgprs: 4
; NumVgprs: 0
; NumAgprs: 0
; TotalNumVgprs: 0
; ScratchSize: 0
; MemoryBound: 0
; FloatMode: 240
; IeeeMode: 1
; LDSByteSize: 0 bytes/workgroup (compile time only)
; SGPRBlocks: 0
; VGPRBlocks: 0
; NumSGPRsForWavesPerEU: 4
; NumVGPRsForWavesPerEU: 1
; AccumOffset: 4
; Occupancy: 8
; WaveLimiterHint : 0
; COMPUTE_PGM_RSRC2:SCRATCH_EN: 0
; COMPUTE_PGM_RSRC2:USER_SGPR: 6
; COMPUTE_PGM_RSRC2:TRAP_HANDLER: 0
; COMPUTE_PGM_RSRC2:TGID_X_EN: 1
; COMPUTE_PGM_RSRC2:TGID_Y_EN: 0
; COMPUTE_PGM_RSRC2:TGID_Z_EN: 0
; COMPUTE_PGM_RSRC2:TIDIG_COMP_CNT: 0
; COMPUTE_PGM_RSRC3_GFX90A:ACCUM_OFFSET: 0
; COMPUTE_PGM_RSRC3_GFX90A:TG_SPLIT: 0
	.section	.text._ZN7rocprim17ROCPRIM_400000_NS6detail17trampoline_kernelINS0_14default_configENS1_20scan_config_selectorIsEEZZNS1_9scan_implILNS1_25lookback_scan_determinismE0ELb1ELb1ES3_N6thrust23THRUST_200600_302600_NS6detail15normal_iteratorINS9_10device_ptrIsEEEENS9_16discard_iteratorINS9_11use_defaultEEEsNS9_4plusIvEEsEEDaPvRmT3_T4_T5_mT6_P12ihipStream_tbENKUlT_T0_E_clISt17integral_constantIbLb0EESX_EEDaSS_ST_EUlSS_E0_NS1_11comp_targetILNS1_3genE0ELNS1_11target_archE4294967295ELNS1_3gpuE0ELNS1_3repE0EEENS1_30default_config_static_selectorELNS0_4arch9wavefront6targetE1EEEvT1_,"axG",@progbits,_ZN7rocprim17ROCPRIM_400000_NS6detail17trampoline_kernelINS0_14default_configENS1_20scan_config_selectorIsEEZZNS1_9scan_implILNS1_25lookback_scan_determinismE0ELb1ELb1ES3_N6thrust23THRUST_200600_302600_NS6detail15normal_iteratorINS9_10device_ptrIsEEEENS9_16discard_iteratorINS9_11use_defaultEEEsNS9_4plusIvEEsEEDaPvRmT3_T4_T5_mT6_P12ihipStream_tbENKUlT_T0_E_clISt17integral_constantIbLb0EESX_EEDaSS_ST_EUlSS_E0_NS1_11comp_targetILNS1_3genE0ELNS1_11target_archE4294967295ELNS1_3gpuE0ELNS1_3repE0EEENS1_30default_config_static_selectorELNS0_4arch9wavefront6targetE1EEEvT1_,comdat
	.protected	_ZN7rocprim17ROCPRIM_400000_NS6detail17trampoline_kernelINS0_14default_configENS1_20scan_config_selectorIsEEZZNS1_9scan_implILNS1_25lookback_scan_determinismE0ELb1ELb1ES3_N6thrust23THRUST_200600_302600_NS6detail15normal_iteratorINS9_10device_ptrIsEEEENS9_16discard_iteratorINS9_11use_defaultEEEsNS9_4plusIvEEsEEDaPvRmT3_T4_T5_mT6_P12ihipStream_tbENKUlT_T0_E_clISt17integral_constantIbLb0EESX_EEDaSS_ST_EUlSS_E0_NS1_11comp_targetILNS1_3genE0ELNS1_11target_archE4294967295ELNS1_3gpuE0ELNS1_3repE0EEENS1_30default_config_static_selectorELNS0_4arch9wavefront6targetE1EEEvT1_ ; -- Begin function _ZN7rocprim17ROCPRIM_400000_NS6detail17trampoline_kernelINS0_14default_configENS1_20scan_config_selectorIsEEZZNS1_9scan_implILNS1_25lookback_scan_determinismE0ELb1ELb1ES3_N6thrust23THRUST_200600_302600_NS6detail15normal_iteratorINS9_10device_ptrIsEEEENS9_16discard_iteratorINS9_11use_defaultEEEsNS9_4plusIvEEsEEDaPvRmT3_T4_T5_mT6_P12ihipStream_tbENKUlT_T0_E_clISt17integral_constantIbLb0EESX_EEDaSS_ST_EUlSS_E0_NS1_11comp_targetILNS1_3genE0ELNS1_11target_archE4294967295ELNS1_3gpuE0ELNS1_3repE0EEENS1_30default_config_static_selectorELNS0_4arch9wavefront6targetE1EEEvT1_
	.globl	_ZN7rocprim17ROCPRIM_400000_NS6detail17trampoline_kernelINS0_14default_configENS1_20scan_config_selectorIsEEZZNS1_9scan_implILNS1_25lookback_scan_determinismE0ELb1ELb1ES3_N6thrust23THRUST_200600_302600_NS6detail15normal_iteratorINS9_10device_ptrIsEEEENS9_16discard_iteratorINS9_11use_defaultEEEsNS9_4plusIvEEsEEDaPvRmT3_T4_T5_mT6_P12ihipStream_tbENKUlT_T0_E_clISt17integral_constantIbLb0EESX_EEDaSS_ST_EUlSS_E0_NS1_11comp_targetILNS1_3genE0ELNS1_11target_archE4294967295ELNS1_3gpuE0ELNS1_3repE0EEENS1_30default_config_static_selectorELNS0_4arch9wavefront6targetE1EEEvT1_
	.p2align	8
	.type	_ZN7rocprim17ROCPRIM_400000_NS6detail17trampoline_kernelINS0_14default_configENS1_20scan_config_selectorIsEEZZNS1_9scan_implILNS1_25lookback_scan_determinismE0ELb1ELb1ES3_N6thrust23THRUST_200600_302600_NS6detail15normal_iteratorINS9_10device_ptrIsEEEENS9_16discard_iteratorINS9_11use_defaultEEEsNS9_4plusIvEEsEEDaPvRmT3_T4_T5_mT6_P12ihipStream_tbENKUlT_T0_E_clISt17integral_constantIbLb0EESX_EEDaSS_ST_EUlSS_E0_NS1_11comp_targetILNS1_3genE0ELNS1_11target_archE4294967295ELNS1_3gpuE0ELNS1_3repE0EEENS1_30default_config_static_selectorELNS0_4arch9wavefront6targetE1EEEvT1_,@function
_ZN7rocprim17ROCPRIM_400000_NS6detail17trampoline_kernelINS0_14default_configENS1_20scan_config_selectorIsEEZZNS1_9scan_implILNS1_25lookback_scan_determinismE0ELb1ELb1ES3_N6thrust23THRUST_200600_302600_NS6detail15normal_iteratorINS9_10device_ptrIsEEEENS9_16discard_iteratorINS9_11use_defaultEEEsNS9_4plusIvEEsEEDaPvRmT3_T4_T5_mT6_P12ihipStream_tbENKUlT_T0_E_clISt17integral_constantIbLb0EESX_EEDaSS_ST_EUlSS_E0_NS1_11comp_targetILNS1_3genE0ELNS1_11target_archE4294967295ELNS1_3gpuE0ELNS1_3repE0EEENS1_30default_config_static_selectorELNS0_4arch9wavefront6targetE1EEEvT1_: ; @_ZN7rocprim17ROCPRIM_400000_NS6detail17trampoline_kernelINS0_14default_configENS1_20scan_config_selectorIsEEZZNS1_9scan_implILNS1_25lookback_scan_determinismE0ELb1ELb1ES3_N6thrust23THRUST_200600_302600_NS6detail15normal_iteratorINS9_10device_ptrIsEEEENS9_16discard_iteratorINS9_11use_defaultEEEsNS9_4plusIvEEsEEDaPvRmT3_T4_T5_mT6_P12ihipStream_tbENKUlT_T0_E_clISt17integral_constantIbLb0EESX_EEDaSS_ST_EUlSS_E0_NS1_11comp_targetILNS1_3genE0ELNS1_11target_archE4294967295ELNS1_3gpuE0ELNS1_3repE0EEENS1_30default_config_static_selectorELNS0_4arch9wavefront6targetE1EEEvT1_
; %bb.0:
	.section	.rodata,"a",@progbits
	.p2align	6, 0x0
	.amdhsa_kernel _ZN7rocprim17ROCPRIM_400000_NS6detail17trampoline_kernelINS0_14default_configENS1_20scan_config_selectorIsEEZZNS1_9scan_implILNS1_25lookback_scan_determinismE0ELb1ELb1ES3_N6thrust23THRUST_200600_302600_NS6detail15normal_iteratorINS9_10device_ptrIsEEEENS9_16discard_iteratorINS9_11use_defaultEEEsNS9_4plusIvEEsEEDaPvRmT3_T4_T5_mT6_P12ihipStream_tbENKUlT_T0_E_clISt17integral_constantIbLb0EESX_EEDaSS_ST_EUlSS_E0_NS1_11comp_targetILNS1_3genE0ELNS1_11target_archE4294967295ELNS1_3gpuE0ELNS1_3repE0EEENS1_30default_config_static_selectorELNS0_4arch9wavefront6targetE1EEEvT1_
		.amdhsa_group_segment_fixed_size 0
		.amdhsa_private_segment_fixed_size 0
		.amdhsa_kernarg_size 40
		.amdhsa_user_sgpr_count 6
		.amdhsa_user_sgpr_private_segment_buffer 1
		.amdhsa_user_sgpr_dispatch_ptr 0
		.amdhsa_user_sgpr_queue_ptr 0
		.amdhsa_user_sgpr_kernarg_segment_ptr 1
		.amdhsa_user_sgpr_dispatch_id 0
		.amdhsa_user_sgpr_flat_scratch_init 0
		.amdhsa_user_sgpr_kernarg_preload_length 0
		.amdhsa_user_sgpr_kernarg_preload_offset 0
		.amdhsa_user_sgpr_private_segment_size 0
		.amdhsa_uses_dynamic_stack 0
		.amdhsa_system_sgpr_private_segment_wavefront_offset 0
		.amdhsa_system_sgpr_workgroup_id_x 1
		.amdhsa_system_sgpr_workgroup_id_y 0
		.amdhsa_system_sgpr_workgroup_id_z 0
		.amdhsa_system_sgpr_workgroup_info 0
		.amdhsa_system_vgpr_workitem_id 0
		.amdhsa_next_free_vgpr 1
		.amdhsa_next_free_sgpr 0
		.amdhsa_accum_offset 4
		.amdhsa_reserve_vcc 0
		.amdhsa_reserve_flat_scratch 0
		.amdhsa_float_round_mode_32 0
		.amdhsa_float_round_mode_16_64 0
		.amdhsa_float_denorm_mode_32 3
		.amdhsa_float_denorm_mode_16_64 3
		.amdhsa_dx10_clamp 1
		.amdhsa_ieee_mode 1
		.amdhsa_fp16_overflow 0
		.amdhsa_tg_split 0
		.amdhsa_exception_fp_ieee_invalid_op 0
		.amdhsa_exception_fp_denorm_src 0
		.amdhsa_exception_fp_ieee_div_zero 0
		.amdhsa_exception_fp_ieee_overflow 0
		.amdhsa_exception_fp_ieee_underflow 0
		.amdhsa_exception_fp_ieee_inexact 0
		.amdhsa_exception_int_div_zero 0
	.end_amdhsa_kernel
	.section	.text._ZN7rocprim17ROCPRIM_400000_NS6detail17trampoline_kernelINS0_14default_configENS1_20scan_config_selectorIsEEZZNS1_9scan_implILNS1_25lookback_scan_determinismE0ELb1ELb1ES3_N6thrust23THRUST_200600_302600_NS6detail15normal_iteratorINS9_10device_ptrIsEEEENS9_16discard_iteratorINS9_11use_defaultEEEsNS9_4plusIvEEsEEDaPvRmT3_T4_T5_mT6_P12ihipStream_tbENKUlT_T0_E_clISt17integral_constantIbLb0EESX_EEDaSS_ST_EUlSS_E0_NS1_11comp_targetILNS1_3genE0ELNS1_11target_archE4294967295ELNS1_3gpuE0ELNS1_3repE0EEENS1_30default_config_static_selectorELNS0_4arch9wavefront6targetE1EEEvT1_,"axG",@progbits,_ZN7rocprim17ROCPRIM_400000_NS6detail17trampoline_kernelINS0_14default_configENS1_20scan_config_selectorIsEEZZNS1_9scan_implILNS1_25lookback_scan_determinismE0ELb1ELb1ES3_N6thrust23THRUST_200600_302600_NS6detail15normal_iteratorINS9_10device_ptrIsEEEENS9_16discard_iteratorINS9_11use_defaultEEEsNS9_4plusIvEEsEEDaPvRmT3_T4_T5_mT6_P12ihipStream_tbENKUlT_T0_E_clISt17integral_constantIbLb0EESX_EEDaSS_ST_EUlSS_E0_NS1_11comp_targetILNS1_3genE0ELNS1_11target_archE4294967295ELNS1_3gpuE0ELNS1_3repE0EEENS1_30default_config_static_selectorELNS0_4arch9wavefront6targetE1EEEvT1_,comdat
.Lfunc_end5951:
	.size	_ZN7rocprim17ROCPRIM_400000_NS6detail17trampoline_kernelINS0_14default_configENS1_20scan_config_selectorIsEEZZNS1_9scan_implILNS1_25lookback_scan_determinismE0ELb1ELb1ES3_N6thrust23THRUST_200600_302600_NS6detail15normal_iteratorINS9_10device_ptrIsEEEENS9_16discard_iteratorINS9_11use_defaultEEEsNS9_4plusIvEEsEEDaPvRmT3_T4_T5_mT6_P12ihipStream_tbENKUlT_T0_E_clISt17integral_constantIbLb0EESX_EEDaSS_ST_EUlSS_E0_NS1_11comp_targetILNS1_3genE0ELNS1_11target_archE4294967295ELNS1_3gpuE0ELNS1_3repE0EEENS1_30default_config_static_selectorELNS0_4arch9wavefront6targetE1EEEvT1_, .Lfunc_end5951-_ZN7rocprim17ROCPRIM_400000_NS6detail17trampoline_kernelINS0_14default_configENS1_20scan_config_selectorIsEEZZNS1_9scan_implILNS1_25lookback_scan_determinismE0ELb1ELb1ES3_N6thrust23THRUST_200600_302600_NS6detail15normal_iteratorINS9_10device_ptrIsEEEENS9_16discard_iteratorINS9_11use_defaultEEEsNS9_4plusIvEEsEEDaPvRmT3_T4_T5_mT6_P12ihipStream_tbENKUlT_T0_E_clISt17integral_constantIbLb0EESX_EEDaSS_ST_EUlSS_E0_NS1_11comp_targetILNS1_3genE0ELNS1_11target_archE4294967295ELNS1_3gpuE0ELNS1_3repE0EEENS1_30default_config_static_selectorELNS0_4arch9wavefront6targetE1EEEvT1_
                                        ; -- End function
	.section	.AMDGPU.csdata,"",@progbits
; Kernel info:
; codeLenInByte = 0
; NumSgprs: 4
; NumVgprs: 0
; NumAgprs: 0
; TotalNumVgprs: 0
; ScratchSize: 0
; MemoryBound: 0
; FloatMode: 240
; IeeeMode: 1
; LDSByteSize: 0 bytes/workgroup (compile time only)
; SGPRBlocks: 0
; VGPRBlocks: 0
; NumSGPRsForWavesPerEU: 4
; NumVGPRsForWavesPerEU: 1
; AccumOffset: 4
; Occupancy: 8
; WaveLimiterHint : 0
; COMPUTE_PGM_RSRC2:SCRATCH_EN: 0
; COMPUTE_PGM_RSRC2:USER_SGPR: 6
; COMPUTE_PGM_RSRC2:TRAP_HANDLER: 0
; COMPUTE_PGM_RSRC2:TGID_X_EN: 1
; COMPUTE_PGM_RSRC2:TGID_Y_EN: 0
; COMPUTE_PGM_RSRC2:TGID_Z_EN: 0
; COMPUTE_PGM_RSRC2:TIDIG_COMP_CNT: 0
; COMPUTE_PGM_RSRC3_GFX90A:ACCUM_OFFSET: 0
; COMPUTE_PGM_RSRC3_GFX90A:TG_SPLIT: 0
	.section	.text._ZN7rocprim17ROCPRIM_400000_NS6detail17trampoline_kernelINS0_14default_configENS1_20scan_config_selectorIsEEZZNS1_9scan_implILNS1_25lookback_scan_determinismE0ELb1ELb1ES3_N6thrust23THRUST_200600_302600_NS6detail15normal_iteratorINS9_10device_ptrIsEEEENS9_16discard_iteratorINS9_11use_defaultEEEsNS9_4plusIvEEsEEDaPvRmT3_T4_T5_mT6_P12ihipStream_tbENKUlT_T0_E_clISt17integral_constantIbLb0EESX_EEDaSS_ST_EUlSS_E0_NS1_11comp_targetILNS1_3genE5ELNS1_11target_archE942ELNS1_3gpuE9ELNS1_3repE0EEENS1_30default_config_static_selectorELNS0_4arch9wavefront6targetE1EEEvT1_,"axG",@progbits,_ZN7rocprim17ROCPRIM_400000_NS6detail17trampoline_kernelINS0_14default_configENS1_20scan_config_selectorIsEEZZNS1_9scan_implILNS1_25lookback_scan_determinismE0ELb1ELb1ES3_N6thrust23THRUST_200600_302600_NS6detail15normal_iteratorINS9_10device_ptrIsEEEENS9_16discard_iteratorINS9_11use_defaultEEEsNS9_4plusIvEEsEEDaPvRmT3_T4_T5_mT6_P12ihipStream_tbENKUlT_T0_E_clISt17integral_constantIbLb0EESX_EEDaSS_ST_EUlSS_E0_NS1_11comp_targetILNS1_3genE5ELNS1_11target_archE942ELNS1_3gpuE9ELNS1_3repE0EEENS1_30default_config_static_selectorELNS0_4arch9wavefront6targetE1EEEvT1_,comdat
	.protected	_ZN7rocprim17ROCPRIM_400000_NS6detail17trampoline_kernelINS0_14default_configENS1_20scan_config_selectorIsEEZZNS1_9scan_implILNS1_25lookback_scan_determinismE0ELb1ELb1ES3_N6thrust23THRUST_200600_302600_NS6detail15normal_iteratorINS9_10device_ptrIsEEEENS9_16discard_iteratorINS9_11use_defaultEEEsNS9_4plusIvEEsEEDaPvRmT3_T4_T5_mT6_P12ihipStream_tbENKUlT_T0_E_clISt17integral_constantIbLb0EESX_EEDaSS_ST_EUlSS_E0_NS1_11comp_targetILNS1_3genE5ELNS1_11target_archE942ELNS1_3gpuE9ELNS1_3repE0EEENS1_30default_config_static_selectorELNS0_4arch9wavefront6targetE1EEEvT1_ ; -- Begin function _ZN7rocprim17ROCPRIM_400000_NS6detail17trampoline_kernelINS0_14default_configENS1_20scan_config_selectorIsEEZZNS1_9scan_implILNS1_25lookback_scan_determinismE0ELb1ELb1ES3_N6thrust23THRUST_200600_302600_NS6detail15normal_iteratorINS9_10device_ptrIsEEEENS9_16discard_iteratorINS9_11use_defaultEEEsNS9_4plusIvEEsEEDaPvRmT3_T4_T5_mT6_P12ihipStream_tbENKUlT_T0_E_clISt17integral_constantIbLb0EESX_EEDaSS_ST_EUlSS_E0_NS1_11comp_targetILNS1_3genE5ELNS1_11target_archE942ELNS1_3gpuE9ELNS1_3repE0EEENS1_30default_config_static_selectorELNS0_4arch9wavefront6targetE1EEEvT1_
	.globl	_ZN7rocprim17ROCPRIM_400000_NS6detail17trampoline_kernelINS0_14default_configENS1_20scan_config_selectorIsEEZZNS1_9scan_implILNS1_25lookback_scan_determinismE0ELb1ELb1ES3_N6thrust23THRUST_200600_302600_NS6detail15normal_iteratorINS9_10device_ptrIsEEEENS9_16discard_iteratorINS9_11use_defaultEEEsNS9_4plusIvEEsEEDaPvRmT3_T4_T5_mT6_P12ihipStream_tbENKUlT_T0_E_clISt17integral_constantIbLb0EESX_EEDaSS_ST_EUlSS_E0_NS1_11comp_targetILNS1_3genE5ELNS1_11target_archE942ELNS1_3gpuE9ELNS1_3repE0EEENS1_30default_config_static_selectorELNS0_4arch9wavefront6targetE1EEEvT1_
	.p2align	8
	.type	_ZN7rocprim17ROCPRIM_400000_NS6detail17trampoline_kernelINS0_14default_configENS1_20scan_config_selectorIsEEZZNS1_9scan_implILNS1_25lookback_scan_determinismE0ELb1ELb1ES3_N6thrust23THRUST_200600_302600_NS6detail15normal_iteratorINS9_10device_ptrIsEEEENS9_16discard_iteratorINS9_11use_defaultEEEsNS9_4plusIvEEsEEDaPvRmT3_T4_T5_mT6_P12ihipStream_tbENKUlT_T0_E_clISt17integral_constantIbLb0EESX_EEDaSS_ST_EUlSS_E0_NS1_11comp_targetILNS1_3genE5ELNS1_11target_archE942ELNS1_3gpuE9ELNS1_3repE0EEENS1_30default_config_static_selectorELNS0_4arch9wavefront6targetE1EEEvT1_,@function
_ZN7rocprim17ROCPRIM_400000_NS6detail17trampoline_kernelINS0_14default_configENS1_20scan_config_selectorIsEEZZNS1_9scan_implILNS1_25lookback_scan_determinismE0ELb1ELb1ES3_N6thrust23THRUST_200600_302600_NS6detail15normal_iteratorINS9_10device_ptrIsEEEENS9_16discard_iteratorINS9_11use_defaultEEEsNS9_4plusIvEEsEEDaPvRmT3_T4_T5_mT6_P12ihipStream_tbENKUlT_T0_E_clISt17integral_constantIbLb0EESX_EEDaSS_ST_EUlSS_E0_NS1_11comp_targetILNS1_3genE5ELNS1_11target_archE942ELNS1_3gpuE9ELNS1_3repE0EEENS1_30default_config_static_selectorELNS0_4arch9wavefront6targetE1EEEvT1_: ; @_ZN7rocprim17ROCPRIM_400000_NS6detail17trampoline_kernelINS0_14default_configENS1_20scan_config_selectorIsEEZZNS1_9scan_implILNS1_25lookback_scan_determinismE0ELb1ELb1ES3_N6thrust23THRUST_200600_302600_NS6detail15normal_iteratorINS9_10device_ptrIsEEEENS9_16discard_iteratorINS9_11use_defaultEEEsNS9_4plusIvEEsEEDaPvRmT3_T4_T5_mT6_P12ihipStream_tbENKUlT_T0_E_clISt17integral_constantIbLb0EESX_EEDaSS_ST_EUlSS_E0_NS1_11comp_targetILNS1_3genE5ELNS1_11target_archE942ELNS1_3gpuE9ELNS1_3repE0EEENS1_30default_config_static_selectorELNS0_4arch9wavefront6targetE1EEEvT1_
; %bb.0:
	.section	.rodata,"a",@progbits
	.p2align	6, 0x0
	.amdhsa_kernel _ZN7rocprim17ROCPRIM_400000_NS6detail17trampoline_kernelINS0_14default_configENS1_20scan_config_selectorIsEEZZNS1_9scan_implILNS1_25lookback_scan_determinismE0ELb1ELb1ES3_N6thrust23THRUST_200600_302600_NS6detail15normal_iteratorINS9_10device_ptrIsEEEENS9_16discard_iteratorINS9_11use_defaultEEEsNS9_4plusIvEEsEEDaPvRmT3_T4_T5_mT6_P12ihipStream_tbENKUlT_T0_E_clISt17integral_constantIbLb0EESX_EEDaSS_ST_EUlSS_E0_NS1_11comp_targetILNS1_3genE5ELNS1_11target_archE942ELNS1_3gpuE9ELNS1_3repE0EEENS1_30default_config_static_selectorELNS0_4arch9wavefront6targetE1EEEvT1_
		.amdhsa_group_segment_fixed_size 0
		.amdhsa_private_segment_fixed_size 0
		.amdhsa_kernarg_size 40
		.amdhsa_user_sgpr_count 6
		.amdhsa_user_sgpr_private_segment_buffer 1
		.amdhsa_user_sgpr_dispatch_ptr 0
		.amdhsa_user_sgpr_queue_ptr 0
		.amdhsa_user_sgpr_kernarg_segment_ptr 1
		.amdhsa_user_sgpr_dispatch_id 0
		.amdhsa_user_sgpr_flat_scratch_init 0
		.amdhsa_user_sgpr_kernarg_preload_length 0
		.amdhsa_user_sgpr_kernarg_preload_offset 0
		.amdhsa_user_sgpr_private_segment_size 0
		.amdhsa_uses_dynamic_stack 0
		.amdhsa_system_sgpr_private_segment_wavefront_offset 0
		.amdhsa_system_sgpr_workgroup_id_x 1
		.amdhsa_system_sgpr_workgroup_id_y 0
		.amdhsa_system_sgpr_workgroup_id_z 0
		.amdhsa_system_sgpr_workgroup_info 0
		.amdhsa_system_vgpr_workitem_id 0
		.amdhsa_next_free_vgpr 1
		.amdhsa_next_free_sgpr 0
		.amdhsa_accum_offset 4
		.amdhsa_reserve_vcc 0
		.amdhsa_reserve_flat_scratch 0
		.amdhsa_float_round_mode_32 0
		.amdhsa_float_round_mode_16_64 0
		.amdhsa_float_denorm_mode_32 3
		.amdhsa_float_denorm_mode_16_64 3
		.amdhsa_dx10_clamp 1
		.amdhsa_ieee_mode 1
		.amdhsa_fp16_overflow 0
		.amdhsa_tg_split 0
		.amdhsa_exception_fp_ieee_invalid_op 0
		.amdhsa_exception_fp_denorm_src 0
		.amdhsa_exception_fp_ieee_div_zero 0
		.amdhsa_exception_fp_ieee_overflow 0
		.amdhsa_exception_fp_ieee_underflow 0
		.amdhsa_exception_fp_ieee_inexact 0
		.amdhsa_exception_int_div_zero 0
	.end_amdhsa_kernel
	.section	.text._ZN7rocprim17ROCPRIM_400000_NS6detail17trampoline_kernelINS0_14default_configENS1_20scan_config_selectorIsEEZZNS1_9scan_implILNS1_25lookback_scan_determinismE0ELb1ELb1ES3_N6thrust23THRUST_200600_302600_NS6detail15normal_iteratorINS9_10device_ptrIsEEEENS9_16discard_iteratorINS9_11use_defaultEEEsNS9_4plusIvEEsEEDaPvRmT3_T4_T5_mT6_P12ihipStream_tbENKUlT_T0_E_clISt17integral_constantIbLb0EESX_EEDaSS_ST_EUlSS_E0_NS1_11comp_targetILNS1_3genE5ELNS1_11target_archE942ELNS1_3gpuE9ELNS1_3repE0EEENS1_30default_config_static_selectorELNS0_4arch9wavefront6targetE1EEEvT1_,"axG",@progbits,_ZN7rocprim17ROCPRIM_400000_NS6detail17trampoline_kernelINS0_14default_configENS1_20scan_config_selectorIsEEZZNS1_9scan_implILNS1_25lookback_scan_determinismE0ELb1ELb1ES3_N6thrust23THRUST_200600_302600_NS6detail15normal_iteratorINS9_10device_ptrIsEEEENS9_16discard_iteratorINS9_11use_defaultEEEsNS9_4plusIvEEsEEDaPvRmT3_T4_T5_mT6_P12ihipStream_tbENKUlT_T0_E_clISt17integral_constantIbLb0EESX_EEDaSS_ST_EUlSS_E0_NS1_11comp_targetILNS1_3genE5ELNS1_11target_archE942ELNS1_3gpuE9ELNS1_3repE0EEENS1_30default_config_static_selectorELNS0_4arch9wavefront6targetE1EEEvT1_,comdat
.Lfunc_end5952:
	.size	_ZN7rocprim17ROCPRIM_400000_NS6detail17trampoline_kernelINS0_14default_configENS1_20scan_config_selectorIsEEZZNS1_9scan_implILNS1_25lookback_scan_determinismE0ELb1ELb1ES3_N6thrust23THRUST_200600_302600_NS6detail15normal_iteratorINS9_10device_ptrIsEEEENS9_16discard_iteratorINS9_11use_defaultEEEsNS9_4plusIvEEsEEDaPvRmT3_T4_T5_mT6_P12ihipStream_tbENKUlT_T0_E_clISt17integral_constantIbLb0EESX_EEDaSS_ST_EUlSS_E0_NS1_11comp_targetILNS1_3genE5ELNS1_11target_archE942ELNS1_3gpuE9ELNS1_3repE0EEENS1_30default_config_static_selectorELNS0_4arch9wavefront6targetE1EEEvT1_, .Lfunc_end5952-_ZN7rocprim17ROCPRIM_400000_NS6detail17trampoline_kernelINS0_14default_configENS1_20scan_config_selectorIsEEZZNS1_9scan_implILNS1_25lookback_scan_determinismE0ELb1ELb1ES3_N6thrust23THRUST_200600_302600_NS6detail15normal_iteratorINS9_10device_ptrIsEEEENS9_16discard_iteratorINS9_11use_defaultEEEsNS9_4plusIvEEsEEDaPvRmT3_T4_T5_mT6_P12ihipStream_tbENKUlT_T0_E_clISt17integral_constantIbLb0EESX_EEDaSS_ST_EUlSS_E0_NS1_11comp_targetILNS1_3genE5ELNS1_11target_archE942ELNS1_3gpuE9ELNS1_3repE0EEENS1_30default_config_static_selectorELNS0_4arch9wavefront6targetE1EEEvT1_
                                        ; -- End function
	.section	.AMDGPU.csdata,"",@progbits
; Kernel info:
; codeLenInByte = 0
; NumSgprs: 4
; NumVgprs: 0
; NumAgprs: 0
; TotalNumVgprs: 0
; ScratchSize: 0
; MemoryBound: 0
; FloatMode: 240
; IeeeMode: 1
; LDSByteSize: 0 bytes/workgroup (compile time only)
; SGPRBlocks: 0
; VGPRBlocks: 0
; NumSGPRsForWavesPerEU: 4
; NumVGPRsForWavesPerEU: 1
; AccumOffset: 4
; Occupancy: 8
; WaveLimiterHint : 0
; COMPUTE_PGM_RSRC2:SCRATCH_EN: 0
; COMPUTE_PGM_RSRC2:USER_SGPR: 6
; COMPUTE_PGM_RSRC2:TRAP_HANDLER: 0
; COMPUTE_PGM_RSRC2:TGID_X_EN: 1
; COMPUTE_PGM_RSRC2:TGID_Y_EN: 0
; COMPUTE_PGM_RSRC2:TGID_Z_EN: 0
; COMPUTE_PGM_RSRC2:TIDIG_COMP_CNT: 0
; COMPUTE_PGM_RSRC3_GFX90A:ACCUM_OFFSET: 0
; COMPUTE_PGM_RSRC3_GFX90A:TG_SPLIT: 0
	.section	.text._ZN7rocprim17ROCPRIM_400000_NS6detail17trampoline_kernelINS0_14default_configENS1_20scan_config_selectorIsEEZZNS1_9scan_implILNS1_25lookback_scan_determinismE0ELb1ELb1ES3_N6thrust23THRUST_200600_302600_NS6detail15normal_iteratorINS9_10device_ptrIsEEEENS9_16discard_iteratorINS9_11use_defaultEEEsNS9_4plusIvEEsEEDaPvRmT3_T4_T5_mT6_P12ihipStream_tbENKUlT_T0_E_clISt17integral_constantIbLb0EESX_EEDaSS_ST_EUlSS_E0_NS1_11comp_targetILNS1_3genE4ELNS1_11target_archE910ELNS1_3gpuE8ELNS1_3repE0EEENS1_30default_config_static_selectorELNS0_4arch9wavefront6targetE1EEEvT1_,"axG",@progbits,_ZN7rocprim17ROCPRIM_400000_NS6detail17trampoline_kernelINS0_14default_configENS1_20scan_config_selectorIsEEZZNS1_9scan_implILNS1_25lookback_scan_determinismE0ELb1ELb1ES3_N6thrust23THRUST_200600_302600_NS6detail15normal_iteratorINS9_10device_ptrIsEEEENS9_16discard_iteratorINS9_11use_defaultEEEsNS9_4plusIvEEsEEDaPvRmT3_T4_T5_mT6_P12ihipStream_tbENKUlT_T0_E_clISt17integral_constantIbLb0EESX_EEDaSS_ST_EUlSS_E0_NS1_11comp_targetILNS1_3genE4ELNS1_11target_archE910ELNS1_3gpuE8ELNS1_3repE0EEENS1_30default_config_static_selectorELNS0_4arch9wavefront6targetE1EEEvT1_,comdat
	.protected	_ZN7rocprim17ROCPRIM_400000_NS6detail17trampoline_kernelINS0_14default_configENS1_20scan_config_selectorIsEEZZNS1_9scan_implILNS1_25lookback_scan_determinismE0ELb1ELb1ES3_N6thrust23THRUST_200600_302600_NS6detail15normal_iteratorINS9_10device_ptrIsEEEENS9_16discard_iteratorINS9_11use_defaultEEEsNS9_4plusIvEEsEEDaPvRmT3_T4_T5_mT6_P12ihipStream_tbENKUlT_T0_E_clISt17integral_constantIbLb0EESX_EEDaSS_ST_EUlSS_E0_NS1_11comp_targetILNS1_3genE4ELNS1_11target_archE910ELNS1_3gpuE8ELNS1_3repE0EEENS1_30default_config_static_selectorELNS0_4arch9wavefront6targetE1EEEvT1_ ; -- Begin function _ZN7rocprim17ROCPRIM_400000_NS6detail17trampoline_kernelINS0_14default_configENS1_20scan_config_selectorIsEEZZNS1_9scan_implILNS1_25lookback_scan_determinismE0ELb1ELb1ES3_N6thrust23THRUST_200600_302600_NS6detail15normal_iteratorINS9_10device_ptrIsEEEENS9_16discard_iteratorINS9_11use_defaultEEEsNS9_4plusIvEEsEEDaPvRmT3_T4_T5_mT6_P12ihipStream_tbENKUlT_T0_E_clISt17integral_constantIbLb0EESX_EEDaSS_ST_EUlSS_E0_NS1_11comp_targetILNS1_3genE4ELNS1_11target_archE910ELNS1_3gpuE8ELNS1_3repE0EEENS1_30default_config_static_selectorELNS0_4arch9wavefront6targetE1EEEvT1_
	.globl	_ZN7rocprim17ROCPRIM_400000_NS6detail17trampoline_kernelINS0_14default_configENS1_20scan_config_selectorIsEEZZNS1_9scan_implILNS1_25lookback_scan_determinismE0ELb1ELb1ES3_N6thrust23THRUST_200600_302600_NS6detail15normal_iteratorINS9_10device_ptrIsEEEENS9_16discard_iteratorINS9_11use_defaultEEEsNS9_4plusIvEEsEEDaPvRmT3_T4_T5_mT6_P12ihipStream_tbENKUlT_T0_E_clISt17integral_constantIbLb0EESX_EEDaSS_ST_EUlSS_E0_NS1_11comp_targetILNS1_3genE4ELNS1_11target_archE910ELNS1_3gpuE8ELNS1_3repE0EEENS1_30default_config_static_selectorELNS0_4arch9wavefront6targetE1EEEvT1_
	.p2align	8
	.type	_ZN7rocprim17ROCPRIM_400000_NS6detail17trampoline_kernelINS0_14default_configENS1_20scan_config_selectorIsEEZZNS1_9scan_implILNS1_25lookback_scan_determinismE0ELb1ELb1ES3_N6thrust23THRUST_200600_302600_NS6detail15normal_iteratorINS9_10device_ptrIsEEEENS9_16discard_iteratorINS9_11use_defaultEEEsNS9_4plusIvEEsEEDaPvRmT3_T4_T5_mT6_P12ihipStream_tbENKUlT_T0_E_clISt17integral_constantIbLb0EESX_EEDaSS_ST_EUlSS_E0_NS1_11comp_targetILNS1_3genE4ELNS1_11target_archE910ELNS1_3gpuE8ELNS1_3repE0EEENS1_30default_config_static_selectorELNS0_4arch9wavefront6targetE1EEEvT1_,@function
_ZN7rocprim17ROCPRIM_400000_NS6detail17trampoline_kernelINS0_14default_configENS1_20scan_config_selectorIsEEZZNS1_9scan_implILNS1_25lookback_scan_determinismE0ELb1ELb1ES3_N6thrust23THRUST_200600_302600_NS6detail15normal_iteratorINS9_10device_ptrIsEEEENS9_16discard_iteratorINS9_11use_defaultEEEsNS9_4plusIvEEsEEDaPvRmT3_T4_T5_mT6_P12ihipStream_tbENKUlT_T0_E_clISt17integral_constantIbLb0EESX_EEDaSS_ST_EUlSS_E0_NS1_11comp_targetILNS1_3genE4ELNS1_11target_archE910ELNS1_3gpuE8ELNS1_3repE0EEENS1_30default_config_static_selectorELNS0_4arch9wavefront6targetE1EEEvT1_: ; @_ZN7rocprim17ROCPRIM_400000_NS6detail17trampoline_kernelINS0_14default_configENS1_20scan_config_selectorIsEEZZNS1_9scan_implILNS1_25lookback_scan_determinismE0ELb1ELb1ES3_N6thrust23THRUST_200600_302600_NS6detail15normal_iteratorINS9_10device_ptrIsEEEENS9_16discard_iteratorINS9_11use_defaultEEEsNS9_4plusIvEEsEEDaPvRmT3_T4_T5_mT6_P12ihipStream_tbENKUlT_T0_E_clISt17integral_constantIbLb0EESX_EEDaSS_ST_EUlSS_E0_NS1_11comp_targetILNS1_3genE4ELNS1_11target_archE910ELNS1_3gpuE8ELNS1_3repE0EEENS1_30default_config_static_selectorELNS0_4arch9wavefront6targetE1EEEvT1_
; %bb.0:
	s_load_dwordx4 s[0:3], s[4:5], 0x0
	v_mov_b32_e32 v1, 0
	s_waitcnt lgkmcnt(0)
	global_load_ushort v2, v1, s[0:1]
	v_cmp_gt_u32_e32 vcc, s2, v0
	v_lshlrev_b32_e32 v1, 1, v0
	s_waitcnt vmcnt(0)
	v_mov_b32_e32 v3, v2
	s_and_saveexec_b64 s[6:7], vcc
	s_cbranch_execz .LBB5953_2
; %bb.1:
	global_load_ushort v3, v1, s[0:1]
.LBB5953_2:
	s_or_b64 exec, exec, s[6:7]
	v_or_b32_e32 v4, 64, v0
	v_cmp_gt_u32_e32 vcc, s2, v4
	v_mov_b32_e32 v4, v2
	s_and_saveexec_b64 s[6:7], vcc
	s_cbranch_execz .LBB5953_4
; %bb.3:
	global_load_ushort v4, v1, s[0:1] offset:128
.LBB5953_4:
	s_or_b64 exec, exec, s[6:7]
	v_or_b32_e32 v5, 0x80, v0
	v_cmp_gt_u32_e32 vcc, s2, v5
	v_mov_b32_e32 v5, v2
	s_and_saveexec_b64 s[6:7], vcc
	s_cbranch_execz .LBB5953_6
; %bb.5:
	global_load_ushort v5, v1, s[0:1] offset:256
.LBB5953_6:
	;; [unrolled: 9-line block ×22, first 2 shown]
	s_or_b64 exec, exec, s[6:7]
	s_load_dword s4, s[4:5], 0x10
	v_or_b32_e32 v26, 0x5c0, v0
	v_cmp_gt_u32_e32 vcc, s2, v26
	s_and_saveexec_b64 s[2:3], vcc
	s_cbranch_execz .LBB5953_48
; %bb.47:
	global_load_ushort v2, v1, s[0:1] offset:2944
.LBB5953_48:
	s_or_b64 exec, exec, s[2:3]
	s_waitcnt vmcnt(0)
	ds_write_b16 v1, v3
	ds_write_b16 v1, v4 offset:128
	ds_write_b16 v1, v5 offset:256
	;; [unrolled: 1-line block ×23, first 2 shown]
	v_mad_u32_u24 v2, v0, 46, v1
	s_waitcnt lgkmcnt(0)
	; wave barrier
	s_waitcnt lgkmcnt(0)
	ds_read_b128 v[10:13], v2
	ds_read_b128 v[6:9], v2 offset:16
	ds_read_b128 v[2:5], v2 offset:32
	v_mul_u32_u24_e32 v14, 46, v0
	s_waitcnt lgkmcnt(0)
	v_add_u16_sdwa v15, v10, v10 dst_sel:DWORD dst_unused:UNUSED_PAD src0_sel:WORD_1 src1_sel:DWORD
	v_add_u16_e32 v15, v15, v11
	v_add_u16_sdwa v15, v15, v11 dst_sel:DWORD dst_unused:UNUSED_PAD src0_sel:DWORD src1_sel:WORD_1
	v_add_u16_e32 v15, v15, v12
	v_add_u16_sdwa v15, v15, v12 dst_sel:DWORD dst_unused:UNUSED_PAD src0_sel:DWORD src1_sel:WORD_1
	;; [unrolled: 2-line block ×11, first 2 shown]
	v_mbcnt_lo_u32_b32 v15, -1, 0
	v_mbcnt_hi_u32_b32 v15, -1, v15
	v_and_b32_e32 v17, 15, v15
	v_mov_b32_dpp v18, v16 row_shr:1 row_mask:0xf bank_mask:0xf
	v_cmp_ne_u32_e32 vcc, 0, v17
	v_cndmask_b32_e32 v18, 0, v18, vcc
	v_add_u16_e32 v16, v18, v16
	v_cmp_lt_u32_e32 vcc, 1, v17
	; wave barrier
	s_nop 0
	v_mov_b32_dpp v18, v16 row_shr:2 row_mask:0xf bank_mask:0xf
	v_cndmask_b32_e32 v18, 0, v18, vcc
	v_add_u16_e32 v16, v16, v18
	v_cmp_lt_u32_e32 vcc, 3, v17
	s_nop 0
	v_mov_b32_dpp v18, v16 row_shr:4 row_mask:0xf bank_mask:0xf
	v_cndmask_b32_e32 v18, 0, v18, vcc
	v_add_u16_e32 v16, v16, v18
	v_cmp_lt_u32_e32 vcc, 7, v17
	s_nop 0
	v_mov_b32_dpp v18, v16 row_shr:8 row_mask:0xf bank_mask:0xf
	v_cndmask_b32_e32 v17, 0, v18, vcc
	v_add_u16_e32 v16, v16, v17
	v_and_b32_e32 v18, 16, v15
	v_cmp_ne_u32_e32 vcc, 0, v18
	v_mov_b32_dpp v17, v16 row_bcast:15 row_mask:0xf bank_mask:0xf
	v_cndmask_b32_e32 v17, 0, v17, vcc
	v_add_u16_e32 v16, v16, v17
	v_cmp_lt_u32_e32 vcc, 31, v15
	s_nop 0
	v_mov_b32_dpp v17, v16 row_bcast:31 row_mask:0xf bank_mask:0xf
	v_cndmask_b32_e32 v17, 0, v17, vcc
	v_add_u16_e32 v16, v16, v17
	v_cmp_eq_u32_e32 vcc, 63, v0
	s_and_saveexec_b64 s[0:1], vcc
	s_cbranch_execz .LBB5953_50
; %bb.49:
	v_mov_b32_e32 v17, 0
	ds_write_b16 v17, v16
.LBB5953_50:
	s_or_b64 exec, exec, s[0:1]
	v_add_u32_e32 v17, -1, v15
	v_and_b32_e32 v18, 64, v15
	v_cmp_lt_i32_e32 vcc, v17, v18
	v_cndmask_b32_e32 v17, v17, v15, vcc
	v_add_u16_e32 v16, s4, v16
	v_lshlrev_b32_e32 v17, 2, v17
	ds_bpermute_b32 v16, v17, v16
	v_cmp_eq_u32_e32 vcc, 0, v15
	v_cmp_eq_u32_e64 s[0:1], 0, v0
	v_mov_b32_e32 v0, s4
	s_or_b64 vcc, s[0:1], vcc
	s_waitcnt lgkmcnt(0)
	v_cndmask_b32_e32 v0, v16, v0, vcc
	v_add_u16_e32 v15, v0, v10
	v_add_u16_sdwa v10, v15, v10 dst_sel:DWORD dst_unused:UNUSED_PAD src0_sel:DWORD src1_sel:WORD_1
	v_add_u16_e32 v16, v10, v11
	v_add_u16_sdwa v11, v16, v11 dst_sel:DWORD dst_unused:UNUSED_PAD src0_sel:DWORD src1_sel:WORD_1
	;; [unrolled: 2-line block ×10, first 2 shown]
	v_add_u16_e32 v27, v26, v4
	s_mov_b32 s0, 0x5040100
	v_add_u16_sdwa v4, v27, v4 dst_sel:DWORD dst_unused:UNUSED_PAD src0_sel:DWORD src1_sel:WORD_1
	v_add_u32_e32 v14, v1, v14
	v_perm_b32 v0, v15, v0, s0
	v_perm_b32 v1, v16, v10, s0
	;; [unrolled: 1-line block ×4, first 2 shown]
	s_waitcnt lgkmcnt(0)
	; wave barrier
	v_add_u16_e32 v5, v4, v5
	s_waitcnt lgkmcnt(0)
	; wave barrier
	ds_write_b128 v14, v[0:3]
	v_perm_b32 v0, v19, v13, s0
	v_perm_b32 v1, v20, v6, s0
	;; [unrolled: 1-line block ×4, first 2 shown]
	ds_write_b128 v14, v[0:3] offset:16
	v_perm_b32 v0, v23, v9, s0
	v_perm_b32 v1, v25, v24, s0
	;; [unrolled: 1-line block ×4, first 2 shown]
	ds_write_b128 v14, v[0:3] offset:32
	s_waitcnt lgkmcnt(0)
	; wave barrier
	s_waitcnt lgkmcnt(0)
	s_endpgm
	.section	.rodata,"a",@progbits
	.p2align	6, 0x0
	.amdhsa_kernel _ZN7rocprim17ROCPRIM_400000_NS6detail17trampoline_kernelINS0_14default_configENS1_20scan_config_selectorIsEEZZNS1_9scan_implILNS1_25lookback_scan_determinismE0ELb1ELb1ES3_N6thrust23THRUST_200600_302600_NS6detail15normal_iteratorINS9_10device_ptrIsEEEENS9_16discard_iteratorINS9_11use_defaultEEEsNS9_4plusIvEEsEEDaPvRmT3_T4_T5_mT6_P12ihipStream_tbENKUlT_T0_E_clISt17integral_constantIbLb0EESX_EEDaSS_ST_EUlSS_E0_NS1_11comp_targetILNS1_3genE4ELNS1_11target_archE910ELNS1_3gpuE8ELNS1_3repE0EEENS1_30default_config_static_selectorELNS0_4arch9wavefront6targetE1EEEvT1_
		.amdhsa_group_segment_fixed_size 3072
		.amdhsa_private_segment_fixed_size 0
		.amdhsa_kernarg_size 40
		.amdhsa_user_sgpr_count 6
		.amdhsa_user_sgpr_private_segment_buffer 1
		.amdhsa_user_sgpr_dispatch_ptr 0
		.amdhsa_user_sgpr_queue_ptr 0
		.amdhsa_user_sgpr_kernarg_segment_ptr 1
		.amdhsa_user_sgpr_dispatch_id 0
		.amdhsa_user_sgpr_flat_scratch_init 0
		.amdhsa_user_sgpr_kernarg_preload_length 0
		.amdhsa_user_sgpr_kernarg_preload_offset 0
		.amdhsa_user_sgpr_private_segment_size 0
		.amdhsa_uses_dynamic_stack 0
		.amdhsa_system_sgpr_private_segment_wavefront_offset 0
		.amdhsa_system_sgpr_workgroup_id_x 1
		.amdhsa_system_sgpr_workgroup_id_y 0
		.amdhsa_system_sgpr_workgroup_id_z 0
		.amdhsa_system_sgpr_workgroup_info 0
		.amdhsa_system_vgpr_workitem_id 0
		.amdhsa_next_free_vgpr 28
		.amdhsa_next_free_sgpr 8
		.amdhsa_accum_offset 28
		.amdhsa_reserve_vcc 1
		.amdhsa_reserve_flat_scratch 0
		.amdhsa_float_round_mode_32 0
		.amdhsa_float_round_mode_16_64 0
		.amdhsa_float_denorm_mode_32 3
		.amdhsa_float_denorm_mode_16_64 3
		.amdhsa_dx10_clamp 1
		.amdhsa_ieee_mode 1
		.amdhsa_fp16_overflow 0
		.amdhsa_tg_split 0
		.amdhsa_exception_fp_ieee_invalid_op 0
		.amdhsa_exception_fp_denorm_src 0
		.amdhsa_exception_fp_ieee_div_zero 0
		.amdhsa_exception_fp_ieee_overflow 0
		.amdhsa_exception_fp_ieee_underflow 0
		.amdhsa_exception_fp_ieee_inexact 0
		.amdhsa_exception_int_div_zero 0
	.end_amdhsa_kernel
	.section	.text._ZN7rocprim17ROCPRIM_400000_NS6detail17trampoline_kernelINS0_14default_configENS1_20scan_config_selectorIsEEZZNS1_9scan_implILNS1_25lookback_scan_determinismE0ELb1ELb1ES3_N6thrust23THRUST_200600_302600_NS6detail15normal_iteratorINS9_10device_ptrIsEEEENS9_16discard_iteratorINS9_11use_defaultEEEsNS9_4plusIvEEsEEDaPvRmT3_T4_T5_mT6_P12ihipStream_tbENKUlT_T0_E_clISt17integral_constantIbLb0EESX_EEDaSS_ST_EUlSS_E0_NS1_11comp_targetILNS1_3genE4ELNS1_11target_archE910ELNS1_3gpuE8ELNS1_3repE0EEENS1_30default_config_static_selectorELNS0_4arch9wavefront6targetE1EEEvT1_,"axG",@progbits,_ZN7rocprim17ROCPRIM_400000_NS6detail17trampoline_kernelINS0_14default_configENS1_20scan_config_selectorIsEEZZNS1_9scan_implILNS1_25lookback_scan_determinismE0ELb1ELb1ES3_N6thrust23THRUST_200600_302600_NS6detail15normal_iteratorINS9_10device_ptrIsEEEENS9_16discard_iteratorINS9_11use_defaultEEEsNS9_4plusIvEEsEEDaPvRmT3_T4_T5_mT6_P12ihipStream_tbENKUlT_T0_E_clISt17integral_constantIbLb0EESX_EEDaSS_ST_EUlSS_E0_NS1_11comp_targetILNS1_3genE4ELNS1_11target_archE910ELNS1_3gpuE8ELNS1_3repE0EEENS1_30default_config_static_selectorELNS0_4arch9wavefront6targetE1EEEvT1_,comdat
.Lfunc_end5953:
	.size	_ZN7rocprim17ROCPRIM_400000_NS6detail17trampoline_kernelINS0_14default_configENS1_20scan_config_selectorIsEEZZNS1_9scan_implILNS1_25lookback_scan_determinismE0ELb1ELb1ES3_N6thrust23THRUST_200600_302600_NS6detail15normal_iteratorINS9_10device_ptrIsEEEENS9_16discard_iteratorINS9_11use_defaultEEEsNS9_4plusIvEEsEEDaPvRmT3_T4_T5_mT6_P12ihipStream_tbENKUlT_T0_E_clISt17integral_constantIbLb0EESX_EEDaSS_ST_EUlSS_E0_NS1_11comp_targetILNS1_3genE4ELNS1_11target_archE910ELNS1_3gpuE8ELNS1_3repE0EEENS1_30default_config_static_selectorELNS0_4arch9wavefront6targetE1EEEvT1_, .Lfunc_end5953-_ZN7rocprim17ROCPRIM_400000_NS6detail17trampoline_kernelINS0_14default_configENS1_20scan_config_selectorIsEEZZNS1_9scan_implILNS1_25lookback_scan_determinismE0ELb1ELb1ES3_N6thrust23THRUST_200600_302600_NS6detail15normal_iteratorINS9_10device_ptrIsEEEENS9_16discard_iteratorINS9_11use_defaultEEEsNS9_4plusIvEEsEEDaPvRmT3_T4_T5_mT6_P12ihipStream_tbENKUlT_T0_E_clISt17integral_constantIbLb0EESX_EEDaSS_ST_EUlSS_E0_NS1_11comp_targetILNS1_3genE4ELNS1_11target_archE910ELNS1_3gpuE8ELNS1_3repE0EEENS1_30default_config_static_selectorELNS0_4arch9wavefront6targetE1EEEvT1_
                                        ; -- End function
	.section	.AMDGPU.csdata,"",@progbits
; Kernel info:
; codeLenInByte = 1808
; NumSgprs: 12
; NumVgprs: 28
; NumAgprs: 0
; TotalNumVgprs: 28
; ScratchSize: 0
; MemoryBound: 0
; FloatMode: 240
; IeeeMode: 1
; LDSByteSize: 3072 bytes/workgroup (compile time only)
; SGPRBlocks: 1
; VGPRBlocks: 3
; NumSGPRsForWavesPerEU: 12
; NumVGPRsForWavesPerEU: 28
; AccumOffset: 28
; Occupancy: 6
; WaveLimiterHint : 0
; COMPUTE_PGM_RSRC2:SCRATCH_EN: 0
; COMPUTE_PGM_RSRC2:USER_SGPR: 6
; COMPUTE_PGM_RSRC2:TRAP_HANDLER: 0
; COMPUTE_PGM_RSRC2:TGID_X_EN: 1
; COMPUTE_PGM_RSRC2:TGID_Y_EN: 0
; COMPUTE_PGM_RSRC2:TGID_Z_EN: 0
; COMPUTE_PGM_RSRC2:TIDIG_COMP_CNT: 0
; COMPUTE_PGM_RSRC3_GFX90A:ACCUM_OFFSET: 6
; COMPUTE_PGM_RSRC3_GFX90A:TG_SPLIT: 0
	.section	.text._ZN7rocprim17ROCPRIM_400000_NS6detail17trampoline_kernelINS0_14default_configENS1_20scan_config_selectorIsEEZZNS1_9scan_implILNS1_25lookback_scan_determinismE0ELb1ELb1ES3_N6thrust23THRUST_200600_302600_NS6detail15normal_iteratorINS9_10device_ptrIsEEEENS9_16discard_iteratorINS9_11use_defaultEEEsNS9_4plusIvEEsEEDaPvRmT3_T4_T5_mT6_P12ihipStream_tbENKUlT_T0_E_clISt17integral_constantIbLb0EESX_EEDaSS_ST_EUlSS_E0_NS1_11comp_targetILNS1_3genE3ELNS1_11target_archE908ELNS1_3gpuE7ELNS1_3repE0EEENS1_30default_config_static_selectorELNS0_4arch9wavefront6targetE1EEEvT1_,"axG",@progbits,_ZN7rocprim17ROCPRIM_400000_NS6detail17trampoline_kernelINS0_14default_configENS1_20scan_config_selectorIsEEZZNS1_9scan_implILNS1_25lookback_scan_determinismE0ELb1ELb1ES3_N6thrust23THRUST_200600_302600_NS6detail15normal_iteratorINS9_10device_ptrIsEEEENS9_16discard_iteratorINS9_11use_defaultEEEsNS9_4plusIvEEsEEDaPvRmT3_T4_T5_mT6_P12ihipStream_tbENKUlT_T0_E_clISt17integral_constantIbLb0EESX_EEDaSS_ST_EUlSS_E0_NS1_11comp_targetILNS1_3genE3ELNS1_11target_archE908ELNS1_3gpuE7ELNS1_3repE0EEENS1_30default_config_static_selectorELNS0_4arch9wavefront6targetE1EEEvT1_,comdat
	.protected	_ZN7rocprim17ROCPRIM_400000_NS6detail17trampoline_kernelINS0_14default_configENS1_20scan_config_selectorIsEEZZNS1_9scan_implILNS1_25lookback_scan_determinismE0ELb1ELb1ES3_N6thrust23THRUST_200600_302600_NS6detail15normal_iteratorINS9_10device_ptrIsEEEENS9_16discard_iteratorINS9_11use_defaultEEEsNS9_4plusIvEEsEEDaPvRmT3_T4_T5_mT6_P12ihipStream_tbENKUlT_T0_E_clISt17integral_constantIbLb0EESX_EEDaSS_ST_EUlSS_E0_NS1_11comp_targetILNS1_3genE3ELNS1_11target_archE908ELNS1_3gpuE7ELNS1_3repE0EEENS1_30default_config_static_selectorELNS0_4arch9wavefront6targetE1EEEvT1_ ; -- Begin function _ZN7rocprim17ROCPRIM_400000_NS6detail17trampoline_kernelINS0_14default_configENS1_20scan_config_selectorIsEEZZNS1_9scan_implILNS1_25lookback_scan_determinismE0ELb1ELb1ES3_N6thrust23THRUST_200600_302600_NS6detail15normal_iteratorINS9_10device_ptrIsEEEENS9_16discard_iteratorINS9_11use_defaultEEEsNS9_4plusIvEEsEEDaPvRmT3_T4_T5_mT6_P12ihipStream_tbENKUlT_T0_E_clISt17integral_constantIbLb0EESX_EEDaSS_ST_EUlSS_E0_NS1_11comp_targetILNS1_3genE3ELNS1_11target_archE908ELNS1_3gpuE7ELNS1_3repE0EEENS1_30default_config_static_selectorELNS0_4arch9wavefront6targetE1EEEvT1_
	.globl	_ZN7rocprim17ROCPRIM_400000_NS6detail17trampoline_kernelINS0_14default_configENS1_20scan_config_selectorIsEEZZNS1_9scan_implILNS1_25lookback_scan_determinismE0ELb1ELb1ES3_N6thrust23THRUST_200600_302600_NS6detail15normal_iteratorINS9_10device_ptrIsEEEENS9_16discard_iteratorINS9_11use_defaultEEEsNS9_4plusIvEEsEEDaPvRmT3_T4_T5_mT6_P12ihipStream_tbENKUlT_T0_E_clISt17integral_constantIbLb0EESX_EEDaSS_ST_EUlSS_E0_NS1_11comp_targetILNS1_3genE3ELNS1_11target_archE908ELNS1_3gpuE7ELNS1_3repE0EEENS1_30default_config_static_selectorELNS0_4arch9wavefront6targetE1EEEvT1_
	.p2align	8
	.type	_ZN7rocprim17ROCPRIM_400000_NS6detail17trampoline_kernelINS0_14default_configENS1_20scan_config_selectorIsEEZZNS1_9scan_implILNS1_25lookback_scan_determinismE0ELb1ELb1ES3_N6thrust23THRUST_200600_302600_NS6detail15normal_iteratorINS9_10device_ptrIsEEEENS9_16discard_iteratorINS9_11use_defaultEEEsNS9_4plusIvEEsEEDaPvRmT3_T4_T5_mT6_P12ihipStream_tbENKUlT_T0_E_clISt17integral_constantIbLb0EESX_EEDaSS_ST_EUlSS_E0_NS1_11comp_targetILNS1_3genE3ELNS1_11target_archE908ELNS1_3gpuE7ELNS1_3repE0EEENS1_30default_config_static_selectorELNS0_4arch9wavefront6targetE1EEEvT1_,@function
_ZN7rocprim17ROCPRIM_400000_NS6detail17trampoline_kernelINS0_14default_configENS1_20scan_config_selectorIsEEZZNS1_9scan_implILNS1_25lookback_scan_determinismE0ELb1ELb1ES3_N6thrust23THRUST_200600_302600_NS6detail15normal_iteratorINS9_10device_ptrIsEEEENS9_16discard_iteratorINS9_11use_defaultEEEsNS9_4plusIvEEsEEDaPvRmT3_T4_T5_mT6_P12ihipStream_tbENKUlT_T0_E_clISt17integral_constantIbLb0EESX_EEDaSS_ST_EUlSS_E0_NS1_11comp_targetILNS1_3genE3ELNS1_11target_archE908ELNS1_3gpuE7ELNS1_3repE0EEENS1_30default_config_static_selectorELNS0_4arch9wavefront6targetE1EEEvT1_: ; @_ZN7rocprim17ROCPRIM_400000_NS6detail17trampoline_kernelINS0_14default_configENS1_20scan_config_selectorIsEEZZNS1_9scan_implILNS1_25lookback_scan_determinismE0ELb1ELb1ES3_N6thrust23THRUST_200600_302600_NS6detail15normal_iteratorINS9_10device_ptrIsEEEENS9_16discard_iteratorINS9_11use_defaultEEEsNS9_4plusIvEEsEEDaPvRmT3_T4_T5_mT6_P12ihipStream_tbENKUlT_T0_E_clISt17integral_constantIbLb0EESX_EEDaSS_ST_EUlSS_E0_NS1_11comp_targetILNS1_3genE3ELNS1_11target_archE908ELNS1_3gpuE7ELNS1_3repE0EEENS1_30default_config_static_selectorELNS0_4arch9wavefront6targetE1EEEvT1_
; %bb.0:
	.section	.rodata,"a",@progbits
	.p2align	6, 0x0
	.amdhsa_kernel _ZN7rocprim17ROCPRIM_400000_NS6detail17trampoline_kernelINS0_14default_configENS1_20scan_config_selectorIsEEZZNS1_9scan_implILNS1_25lookback_scan_determinismE0ELb1ELb1ES3_N6thrust23THRUST_200600_302600_NS6detail15normal_iteratorINS9_10device_ptrIsEEEENS9_16discard_iteratorINS9_11use_defaultEEEsNS9_4plusIvEEsEEDaPvRmT3_T4_T5_mT6_P12ihipStream_tbENKUlT_T0_E_clISt17integral_constantIbLb0EESX_EEDaSS_ST_EUlSS_E0_NS1_11comp_targetILNS1_3genE3ELNS1_11target_archE908ELNS1_3gpuE7ELNS1_3repE0EEENS1_30default_config_static_selectorELNS0_4arch9wavefront6targetE1EEEvT1_
		.amdhsa_group_segment_fixed_size 0
		.amdhsa_private_segment_fixed_size 0
		.amdhsa_kernarg_size 40
		.amdhsa_user_sgpr_count 6
		.amdhsa_user_sgpr_private_segment_buffer 1
		.amdhsa_user_sgpr_dispatch_ptr 0
		.amdhsa_user_sgpr_queue_ptr 0
		.amdhsa_user_sgpr_kernarg_segment_ptr 1
		.amdhsa_user_sgpr_dispatch_id 0
		.amdhsa_user_sgpr_flat_scratch_init 0
		.amdhsa_user_sgpr_kernarg_preload_length 0
		.amdhsa_user_sgpr_kernarg_preload_offset 0
		.amdhsa_user_sgpr_private_segment_size 0
		.amdhsa_uses_dynamic_stack 0
		.amdhsa_system_sgpr_private_segment_wavefront_offset 0
		.amdhsa_system_sgpr_workgroup_id_x 1
		.amdhsa_system_sgpr_workgroup_id_y 0
		.amdhsa_system_sgpr_workgroup_id_z 0
		.amdhsa_system_sgpr_workgroup_info 0
		.amdhsa_system_vgpr_workitem_id 0
		.amdhsa_next_free_vgpr 1
		.amdhsa_next_free_sgpr 0
		.amdhsa_accum_offset 4
		.amdhsa_reserve_vcc 0
		.amdhsa_reserve_flat_scratch 0
		.amdhsa_float_round_mode_32 0
		.amdhsa_float_round_mode_16_64 0
		.amdhsa_float_denorm_mode_32 3
		.amdhsa_float_denorm_mode_16_64 3
		.amdhsa_dx10_clamp 1
		.amdhsa_ieee_mode 1
		.amdhsa_fp16_overflow 0
		.amdhsa_tg_split 0
		.amdhsa_exception_fp_ieee_invalid_op 0
		.amdhsa_exception_fp_denorm_src 0
		.amdhsa_exception_fp_ieee_div_zero 0
		.amdhsa_exception_fp_ieee_overflow 0
		.amdhsa_exception_fp_ieee_underflow 0
		.amdhsa_exception_fp_ieee_inexact 0
		.amdhsa_exception_int_div_zero 0
	.end_amdhsa_kernel
	.section	.text._ZN7rocprim17ROCPRIM_400000_NS6detail17trampoline_kernelINS0_14default_configENS1_20scan_config_selectorIsEEZZNS1_9scan_implILNS1_25lookback_scan_determinismE0ELb1ELb1ES3_N6thrust23THRUST_200600_302600_NS6detail15normal_iteratorINS9_10device_ptrIsEEEENS9_16discard_iteratorINS9_11use_defaultEEEsNS9_4plusIvEEsEEDaPvRmT3_T4_T5_mT6_P12ihipStream_tbENKUlT_T0_E_clISt17integral_constantIbLb0EESX_EEDaSS_ST_EUlSS_E0_NS1_11comp_targetILNS1_3genE3ELNS1_11target_archE908ELNS1_3gpuE7ELNS1_3repE0EEENS1_30default_config_static_selectorELNS0_4arch9wavefront6targetE1EEEvT1_,"axG",@progbits,_ZN7rocprim17ROCPRIM_400000_NS6detail17trampoline_kernelINS0_14default_configENS1_20scan_config_selectorIsEEZZNS1_9scan_implILNS1_25lookback_scan_determinismE0ELb1ELb1ES3_N6thrust23THRUST_200600_302600_NS6detail15normal_iteratorINS9_10device_ptrIsEEEENS9_16discard_iteratorINS9_11use_defaultEEEsNS9_4plusIvEEsEEDaPvRmT3_T4_T5_mT6_P12ihipStream_tbENKUlT_T0_E_clISt17integral_constantIbLb0EESX_EEDaSS_ST_EUlSS_E0_NS1_11comp_targetILNS1_3genE3ELNS1_11target_archE908ELNS1_3gpuE7ELNS1_3repE0EEENS1_30default_config_static_selectorELNS0_4arch9wavefront6targetE1EEEvT1_,comdat
.Lfunc_end5954:
	.size	_ZN7rocprim17ROCPRIM_400000_NS6detail17trampoline_kernelINS0_14default_configENS1_20scan_config_selectorIsEEZZNS1_9scan_implILNS1_25lookback_scan_determinismE0ELb1ELb1ES3_N6thrust23THRUST_200600_302600_NS6detail15normal_iteratorINS9_10device_ptrIsEEEENS9_16discard_iteratorINS9_11use_defaultEEEsNS9_4plusIvEEsEEDaPvRmT3_T4_T5_mT6_P12ihipStream_tbENKUlT_T0_E_clISt17integral_constantIbLb0EESX_EEDaSS_ST_EUlSS_E0_NS1_11comp_targetILNS1_3genE3ELNS1_11target_archE908ELNS1_3gpuE7ELNS1_3repE0EEENS1_30default_config_static_selectorELNS0_4arch9wavefront6targetE1EEEvT1_, .Lfunc_end5954-_ZN7rocprim17ROCPRIM_400000_NS6detail17trampoline_kernelINS0_14default_configENS1_20scan_config_selectorIsEEZZNS1_9scan_implILNS1_25lookback_scan_determinismE0ELb1ELb1ES3_N6thrust23THRUST_200600_302600_NS6detail15normal_iteratorINS9_10device_ptrIsEEEENS9_16discard_iteratorINS9_11use_defaultEEEsNS9_4plusIvEEsEEDaPvRmT3_T4_T5_mT6_P12ihipStream_tbENKUlT_T0_E_clISt17integral_constantIbLb0EESX_EEDaSS_ST_EUlSS_E0_NS1_11comp_targetILNS1_3genE3ELNS1_11target_archE908ELNS1_3gpuE7ELNS1_3repE0EEENS1_30default_config_static_selectorELNS0_4arch9wavefront6targetE1EEEvT1_
                                        ; -- End function
	.section	.AMDGPU.csdata,"",@progbits
; Kernel info:
; codeLenInByte = 0
; NumSgprs: 4
; NumVgprs: 0
; NumAgprs: 0
; TotalNumVgprs: 0
; ScratchSize: 0
; MemoryBound: 0
; FloatMode: 240
; IeeeMode: 1
; LDSByteSize: 0 bytes/workgroup (compile time only)
; SGPRBlocks: 0
; VGPRBlocks: 0
; NumSGPRsForWavesPerEU: 4
; NumVGPRsForWavesPerEU: 1
; AccumOffset: 4
; Occupancy: 8
; WaveLimiterHint : 0
; COMPUTE_PGM_RSRC2:SCRATCH_EN: 0
; COMPUTE_PGM_RSRC2:USER_SGPR: 6
; COMPUTE_PGM_RSRC2:TRAP_HANDLER: 0
; COMPUTE_PGM_RSRC2:TGID_X_EN: 1
; COMPUTE_PGM_RSRC2:TGID_Y_EN: 0
; COMPUTE_PGM_RSRC2:TGID_Z_EN: 0
; COMPUTE_PGM_RSRC2:TIDIG_COMP_CNT: 0
; COMPUTE_PGM_RSRC3_GFX90A:ACCUM_OFFSET: 0
; COMPUTE_PGM_RSRC3_GFX90A:TG_SPLIT: 0
	.section	.text._ZN7rocprim17ROCPRIM_400000_NS6detail17trampoline_kernelINS0_14default_configENS1_20scan_config_selectorIsEEZZNS1_9scan_implILNS1_25lookback_scan_determinismE0ELb1ELb1ES3_N6thrust23THRUST_200600_302600_NS6detail15normal_iteratorINS9_10device_ptrIsEEEENS9_16discard_iteratorINS9_11use_defaultEEEsNS9_4plusIvEEsEEDaPvRmT3_T4_T5_mT6_P12ihipStream_tbENKUlT_T0_E_clISt17integral_constantIbLb0EESX_EEDaSS_ST_EUlSS_E0_NS1_11comp_targetILNS1_3genE2ELNS1_11target_archE906ELNS1_3gpuE6ELNS1_3repE0EEENS1_30default_config_static_selectorELNS0_4arch9wavefront6targetE1EEEvT1_,"axG",@progbits,_ZN7rocprim17ROCPRIM_400000_NS6detail17trampoline_kernelINS0_14default_configENS1_20scan_config_selectorIsEEZZNS1_9scan_implILNS1_25lookback_scan_determinismE0ELb1ELb1ES3_N6thrust23THRUST_200600_302600_NS6detail15normal_iteratorINS9_10device_ptrIsEEEENS9_16discard_iteratorINS9_11use_defaultEEEsNS9_4plusIvEEsEEDaPvRmT3_T4_T5_mT6_P12ihipStream_tbENKUlT_T0_E_clISt17integral_constantIbLb0EESX_EEDaSS_ST_EUlSS_E0_NS1_11comp_targetILNS1_3genE2ELNS1_11target_archE906ELNS1_3gpuE6ELNS1_3repE0EEENS1_30default_config_static_selectorELNS0_4arch9wavefront6targetE1EEEvT1_,comdat
	.protected	_ZN7rocprim17ROCPRIM_400000_NS6detail17trampoline_kernelINS0_14default_configENS1_20scan_config_selectorIsEEZZNS1_9scan_implILNS1_25lookback_scan_determinismE0ELb1ELb1ES3_N6thrust23THRUST_200600_302600_NS6detail15normal_iteratorINS9_10device_ptrIsEEEENS9_16discard_iteratorINS9_11use_defaultEEEsNS9_4plusIvEEsEEDaPvRmT3_T4_T5_mT6_P12ihipStream_tbENKUlT_T0_E_clISt17integral_constantIbLb0EESX_EEDaSS_ST_EUlSS_E0_NS1_11comp_targetILNS1_3genE2ELNS1_11target_archE906ELNS1_3gpuE6ELNS1_3repE0EEENS1_30default_config_static_selectorELNS0_4arch9wavefront6targetE1EEEvT1_ ; -- Begin function _ZN7rocprim17ROCPRIM_400000_NS6detail17trampoline_kernelINS0_14default_configENS1_20scan_config_selectorIsEEZZNS1_9scan_implILNS1_25lookback_scan_determinismE0ELb1ELb1ES3_N6thrust23THRUST_200600_302600_NS6detail15normal_iteratorINS9_10device_ptrIsEEEENS9_16discard_iteratorINS9_11use_defaultEEEsNS9_4plusIvEEsEEDaPvRmT3_T4_T5_mT6_P12ihipStream_tbENKUlT_T0_E_clISt17integral_constantIbLb0EESX_EEDaSS_ST_EUlSS_E0_NS1_11comp_targetILNS1_3genE2ELNS1_11target_archE906ELNS1_3gpuE6ELNS1_3repE0EEENS1_30default_config_static_selectorELNS0_4arch9wavefront6targetE1EEEvT1_
	.globl	_ZN7rocprim17ROCPRIM_400000_NS6detail17trampoline_kernelINS0_14default_configENS1_20scan_config_selectorIsEEZZNS1_9scan_implILNS1_25lookback_scan_determinismE0ELb1ELb1ES3_N6thrust23THRUST_200600_302600_NS6detail15normal_iteratorINS9_10device_ptrIsEEEENS9_16discard_iteratorINS9_11use_defaultEEEsNS9_4plusIvEEsEEDaPvRmT3_T4_T5_mT6_P12ihipStream_tbENKUlT_T0_E_clISt17integral_constantIbLb0EESX_EEDaSS_ST_EUlSS_E0_NS1_11comp_targetILNS1_3genE2ELNS1_11target_archE906ELNS1_3gpuE6ELNS1_3repE0EEENS1_30default_config_static_selectorELNS0_4arch9wavefront6targetE1EEEvT1_
	.p2align	8
	.type	_ZN7rocprim17ROCPRIM_400000_NS6detail17trampoline_kernelINS0_14default_configENS1_20scan_config_selectorIsEEZZNS1_9scan_implILNS1_25lookback_scan_determinismE0ELb1ELb1ES3_N6thrust23THRUST_200600_302600_NS6detail15normal_iteratorINS9_10device_ptrIsEEEENS9_16discard_iteratorINS9_11use_defaultEEEsNS9_4plusIvEEsEEDaPvRmT3_T4_T5_mT6_P12ihipStream_tbENKUlT_T0_E_clISt17integral_constantIbLb0EESX_EEDaSS_ST_EUlSS_E0_NS1_11comp_targetILNS1_3genE2ELNS1_11target_archE906ELNS1_3gpuE6ELNS1_3repE0EEENS1_30default_config_static_selectorELNS0_4arch9wavefront6targetE1EEEvT1_,@function
_ZN7rocprim17ROCPRIM_400000_NS6detail17trampoline_kernelINS0_14default_configENS1_20scan_config_selectorIsEEZZNS1_9scan_implILNS1_25lookback_scan_determinismE0ELb1ELb1ES3_N6thrust23THRUST_200600_302600_NS6detail15normal_iteratorINS9_10device_ptrIsEEEENS9_16discard_iteratorINS9_11use_defaultEEEsNS9_4plusIvEEsEEDaPvRmT3_T4_T5_mT6_P12ihipStream_tbENKUlT_T0_E_clISt17integral_constantIbLb0EESX_EEDaSS_ST_EUlSS_E0_NS1_11comp_targetILNS1_3genE2ELNS1_11target_archE906ELNS1_3gpuE6ELNS1_3repE0EEENS1_30default_config_static_selectorELNS0_4arch9wavefront6targetE1EEEvT1_: ; @_ZN7rocprim17ROCPRIM_400000_NS6detail17trampoline_kernelINS0_14default_configENS1_20scan_config_selectorIsEEZZNS1_9scan_implILNS1_25lookback_scan_determinismE0ELb1ELb1ES3_N6thrust23THRUST_200600_302600_NS6detail15normal_iteratorINS9_10device_ptrIsEEEENS9_16discard_iteratorINS9_11use_defaultEEEsNS9_4plusIvEEsEEDaPvRmT3_T4_T5_mT6_P12ihipStream_tbENKUlT_T0_E_clISt17integral_constantIbLb0EESX_EEDaSS_ST_EUlSS_E0_NS1_11comp_targetILNS1_3genE2ELNS1_11target_archE906ELNS1_3gpuE6ELNS1_3repE0EEENS1_30default_config_static_selectorELNS0_4arch9wavefront6targetE1EEEvT1_
; %bb.0:
	.section	.rodata,"a",@progbits
	.p2align	6, 0x0
	.amdhsa_kernel _ZN7rocprim17ROCPRIM_400000_NS6detail17trampoline_kernelINS0_14default_configENS1_20scan_config_selectorIsEEZZNS1_9scan_implILNS1_25lookback_scan_determinismE0ELb1ELb1ES3_N6thrust23THRUST_200600_302600_NS6detail15normal_iteratorINS9_10device_ptrIsEEEENS9_16discard_iteratorINS9_11use_defaultEEEsNS9_4plusIvEEsEEDaPvRmT3_T4_T5_mT6_P12ihipStream_tbENKUlT_T0_E_clISt17integral_constantIbLb0EESX_EEDaSS_ST_EUlSS_E0_NS1_11comp_targetILNS1_3genE2ELNS1_11target_archE906ELNS1_3gpuE6ELNS1_3repE0EEENS1_30default_config_static_selectorELNS0_4arch9wavefront6targetE1EEEvT1_
		.amdhsa_group_segment_fixed_size 0
		.amdhsa_private_segment_fixed_size 0
		.amdhsa_kernarg_size 40
		.amdhsa_user_sgpr_count 6
		.amdhsa_user_sgpr_private_segment_buffer 1
		.amdhsa_user_sgpr_dispatch_ptr 0
		.amdhsa_user_sgpr_queue_ptr 0
		.amdhsa_user_sgpr_kernarg_segment_ptr 1
		.amdhsa_user_sgpr_dispatch_id 0
		.amdhsa_user_sgpr_flat_scratch_init 0
		.amdhsa_user_sgpr_kernarg_preload_length 0
		.amdhsa_user_sgpr_kernarg_preload_offset 0
		.amdhsa_user_sgpr_private_segment_size 0
		.amdhsa_uses_dynamic_stack 0
		.amdhsa_system_sgpr_private_segment_wavefront_offset 0
		.amdhsa_system_sgpr_workgroup_id_x 1
		.amdhsa_system_sgpr_workgroup_id_y 0
		.amdhsa_system_sgpr_workgroup_id_z 0
		.amdhsa_system_sgpr_workgroup_info 0
		.amdhsa_system_vgpr_workitem_id 0
		.amdhsa_next_free_vgpr 1
		.amdhsa_next_free_sgpr 0
		.amdhsa_accum_offset 4
		.amdhsa_reserve_vcc 0
		.amdhsa_reserve_flat_scratch 0
		.amdhsa_float_round_mode_32 0
		.amdhsa_float_round_mode_16_64 0
		.amdhsa_float_denorm_mode_32 3
		.amdhsa_float_denorm_mode_16_64 3
		.amdhsa_dx10_clamp 1
		.amdhsa_ieee_mode 1
		.amdhsa_fp16_overflow 0
		.amdhsa_tg_split 0
		.amdhsa_exception_fp_ieee_invalid_op 0
		.amdhsa_exception_fp_denorm_src 0
		.amdhsa_exception_fp_ieee_div_zero 0
		.amdhsa_exception_fp_ieee_overflow 0
		.amdhsa_exception_fp_ieee_underflow 0
		.amdhsa_exception_fp_ieee_inexact 0
		.amdhsa_exception_int_div_zero 0
	.end_amdhsa_kernel
	.section	.text._ZN7rocprim17ROCPRIM_400000_NS6detail17trampoline_kernelINS0_14default_configENS1_20scan_config_selectorIsEEZZNS1_9scan_implILNS1_25lookback_scan_determinismE0ELb1ELb1ES3_N6thrust23THRUST_200600_302600_NS6detail15normal_iteratorINS9_10device_ptrIsEEEENS9_16discard_iteratorINS9_11use_defaultEEEsNS9_4plusIvEEsEEDaPvRmT3_T4_T5_mT6_P12ihipStream_tbENKUlT_T0_E_clISt17integral_constantIbLb0EESX_EEDaSS_ST_EUlSS_E0_NS1_11comp_targetILNS1_3genE2ELNS1_11target_archE906ELNS1_3gpuE6ELNS1_3repE0EEENS1_30default_config_static_selectorELNS0_4arch9wavefront6targetE1EEEvT1_,"axG",@progbits,_ZN7rocprim17ROCPRIM_400000_NS6detail17trampoline_kernelINS0_14default_configENS1_20scan_config_selectorIsEEZZNS1_9scan_implILNS1_25lookback_scan_determinismE0ELb1ELb1ES3_N6thrust23THRUST_200600_302600_NS6detail15normal_iteratorINS9_10device_ptrIsEEEENS9_16discard_iteratorINS9_11use_defaultEEEsNS9_4plusIvEEsEEDaPvRmT3_T4_T5_mT6_P12ihipStream_tbENKUlT_T0_E_clISt17integral_constantIbLb0EESX_EEDaSS_ST_EUlSS_E0_NS1_11comp_targetILNS1_3genE2ELNS1_11target_archE906ELNS1_3gpuE6ELNS1_3repE0EEENS1_30default_config_static_selectorELNS0_4arch9wavefront6targetE1EEEvT1_,comdat
.Lfunc_end5955:
	.size	_ZN7rocprim17ROCPRIM_400000_NS6detail17trampoline_kernelINS0_14default_configENS1_20scan_config_selectorIsEEZZNS1_9scan_implILNS1_25lookback_scan_determinismE0ELb1ELb1ES3_N6thrust23THRUST_200600_302600_NS6detail15normal_iteratorINS9_10device_ptrIsEEEENS9_16discard_iteratorINS9_11use_defaultEEEsNS9_4plusIvEEsEEDaPvRmT3_T4_T5_mT6_P12ihipStream_tbENKUlT_T0_E_clISt17integral_constantIbLb0EESX_EEDaSS_ST_EUlSS_E0_NS1_11comp_targetILNS1_3genE2ELNS1_11target_archE906ELNS1_3gpuE6ELNS1_3repE0EEENS1_30default_config_static_selectorELNS0_4arch9wavefront6targetE1EEEvT1_, .Lfunc_end5955-_ZN7rocprim17ROCPRIM_400000_NS6detail17trampoline_kernelINS0_14default_configENS1_20scan_config_selectorIsEEZZNS1_9scan_implILNS1_25lookback_scan_determinismE0ELb1ELb1ES3_N6thrust23THRUST_200600_302600_NS6detail15normal_iteratorINS9_10device_ptrIsEEEENS9_16discard_iteratorINS9_11use_defaultEEEsNS9_4plusIvEEsEEDaPvRmT3_T4_T5_mT6_P12ihipStream_tbENKUlT_T0_E_clISt17integral_constantIbLb0EESX_EEDaSS_ST_EUlSS_E0_NS1_11comp_targetILNS1_3genE2ELNS1_11target_archE906ELNS1_3gpuE6ELNS1_3repE0EEENS1_30default_config_static_selectorELNS0_4arch9wavefront6targetE1EEEvT1_
                                        ; -- End function
	.section	.AMDGPU.csdata,"",@progbits
; Kernel info:
; codeLenInByte = 0
; NumSgprs: 4
; NumVgprs: 0
; NumAgprs: 0
; TotalNumVgprs: 0
; ScratchSize: 0
; MemoryBound: 0
; FloatMode: 240
; IeeeMode: 1
; LDSByteSize: 0 bytes/workgroup (compile time only)
; SGPRBlocks: 0
; VGPRBlocks: 0
; NumSGPRsForWavesPerEU: 4
; NumVGPRsForWavesPerEU: 1
; AccumOffset: 4
; Occupancy: 8
; WaveLimiterHint : 0
; COMPUTE_PGM_RSRC2:SCRATCH_EN: 0
; COMPUTE_PGM_RSRC2:USER_SGPR: 6
; COMPUTE_PGM_RSRC2:TRAP_HANDLER: 0
; COMPUTE_PGM_RSRC2:TGID_X_EN: 1
; COMPUTE_PGM_RSRC2:TGID_Y_EN: 0
; COMPUTE_PGM_RSRC2:TGID_Z_EN: 0
; COMPUTE_PGM_RSRC2:TIDIG_COMP_CNT: 0
; COMPUTE_PGM_RSRC3_GFX90A:ACCUM_OFFSET: 0
; COMPUTE_PGM_RSRC3_GFX90A:TG_SPLIT: 0
	.section	.text._ZN7rocprim17ROCPRIM_400000_NS6detail17trampoline_kernelINS0_14default_configENS1_20scan_config_selectorIsEEZZNS1_9scan_implILNS1_25lookback_scan_determinismE0ELb1ELb1ES3_N6thrust23THRUST_200600_302600_NS6detail15normal_iteratorINS9_10device_ptrIsEEEENS9_16discard_iteratorINS9_11use_defaultEEEsNS9_4plusIvEEsEEDaPvRmT3_T4_T5_mT6_P12ihipStream_tbENKUlT_T0_E_clISt17integral_constantIbLb0EESX_EEDaSS_ST_EUlSS_E0_NS1_11comp_targetILNS1_3genE10ELNS1_11target_archE1201ELNS1_3gpuE5ELNS1_3repE0EEENS1_30default_config_static_selectorELNS0_4arch9wavefront6targetE1EEEvT1_,"axG",@progbits,_ZN7rocprim17ROCPRIM_400000_NS6detail17trampoline_kernelINS0_14default_configENS1_20scan_config_selectorIsEEZZNS1_9scan_implILNS1_25lookback_scan_determinismE0ELb1ELb1ES3_N6thrust23THRUST_200600_302600_NS6detail15normal_iteratorINS9_10device_ptrIsEEEENS9_16discard_iteratorINS9_11use_defaultEEEsNS9_4plusIvEEsEEDaPvRmT3_T4_T5_mT6_P12ihipStream_tbENKUlT_T0_E_clISt17integral_constantIbLb0EESX_EEDaSS_ST_EUlSS_E0_NS1_11comp_targetILNS1_3genE10ELNS1_11target_archE1201ELNS1_3gpuE5ELNS1_3repE0EEENS1_30default_config_static_selectorELNS0_4arch9wavefront6targetE1EEEvT1_,comdat
	.protected	_ZN7rocprim17ROCPRIM_400000_NS6detail17trampoline_kernelINS0_14default_configENS1_20scan_config_selectorIsEEZZNS1_9scan_implILNS1_25lookback_scan_determinismE0ELb1ELb1ES3_N6thrust23THRUST_200600_302600_NS6detail15normal_iteratorINS9_10device_ptrIsEEEENS9_16discard_iteratorINS9_11use_defaultEEEsNS9_4plusIvEEsEEDaPvRmT3_T4_T5_mT6_P12ihipStream_tbENKUlT_T0_E_clISt17integral_constantIbLb0EESX_EEDaSS_ST_EUlSS_E0_NS1_11comp_targetILNS1_3genE10ELNS1_11target_archE1201ELNS1_3gpuE5ELNS1_3repE0EEENS1_30default_config_static_selectorELNS0_4arch9wavefront6targetE1EEEvT1_ ; -- Begin function _ZN7rocprim17ROCPRIM_400000_NS6detail17trampoline_kernelINS0_14default_configENS1_20scan_config_selectorIsEEZZNS1_9scan_implILNS1_25lookback_scan_determinismE0ELb1ELb1ES3_N6thrust23THRUST_200600_302600_NS6detail15normal_iteratorINS9_10device_ptrIsEEEENS9_16discard_iteratorINS9_11use_defaultEEEsNS9_4plusIvEEsEEDaPvRmT3_T4_T5_mT6_P12ihipStream_tbENKUlT_T0_E_clISt17integral_constantIbLb0EESX_EEDaSS_ST_EUlSS_E0_NS1_11comp_targetILNS1_3genE10ELNS1_11target_archE1201ELNS1_3gpuE5ELNS1_3repE0EEENS1_30default_config_static_selectorELNS0_4arch9wavefront6targetE1EEEvT1_
	.globl	_ZN7rocprim17ROCPRIM_400000_NS6detail17trampoline_kernelINS0_14default_configENS1_20scan_config_selectorIsEEZZNS1_9scan_implILNS1_25lookback_scan_determinismE0ELb1ELb1ES3_N6thrust23THRUST_200600_302600_NS6detail15normal_iteratorINS9_10device_ptrIsEEEENS9_16discard_iteratorINS9_11use_defaultEEEsNS9_4plusIvEEsEEDaPvRmT3_T4_T5_mT6_P12ihipStream_tbENKUlT_T0_E_clISt17integral_constantIbLb0EESX_EEDaSS_ST_EUlSS_E0_NS1_11comp_targetILNS1_3genE10ELNS1_11target_archE1201ELNS1_3gpuE5ELNS1_3repE0EEENS1_30default_config_static_selectorELNS0_4arch9wavefront6targetE1EEEvT1_
	.p2align	8
	.type	_ZN7rocprim17ROCPRIM_400000_NS6detail17trampoline_kernelINS0_14default_configENS1_20scan_config_selectorIsEEZZNS1_9scan_implILNS1_25lookback_scan_determinismE0ELb1ELb1ES3_N6thrust23THRUST_200600_302600_NS6detail15normal_iteratorINS9_10device_ptrIsEEEENS9_16discard_iteratorINS9_11use_defaultEEEsNS9_4plusIvEEsEEDaPvRmT3_T4_T5_mT6_P12ihipStream_tbENKUlT_T0_E_clISt17integral_constantIbLb0EESX_EEDaSS_ST_EUlSS_E0_NS1_11comp_targetILNS1_3genE10ELNS1_11target_archE1201ELNS1_3gpuE5ELNS1_3repE0EEENS1_30default_config_static_selectorELNS0_4arch9wavefront6targetE1EEEvT1_,@function
_ZN7rocprim17ROCPRIM_400000_NS6detail17trampoline_kernelINS0_14default_configENS1_20scan_config_selectorIsEEZZNS1_9scan_implILNS1_25lookback_scan_determinismE0ELb1ELb1ES3_N6thrust23THRUST_200600_302600_NS6detail15normal_iteratorINS9_10device_ptrIsEEEENS9_16discard_iteratorINS9_11use_defaultEEEsNS9_4plusIvEEsEEDaPvRmT3_T4_T5_mT6_P12ihipStream_tbENKUlT_T0_E_clISt17integral_constantIbLb0EESX_EEDaSS_ST_EUlSS_E0_NS1_11comp_targetILNS1_3genE10ELNS1_11target_archE1201ELNS1_3gpuE5ELNS1_3repE0EEENS1_30default_config_static_selectorELNS0_4arch9wavefront6targetE1EEEvT1_: ; @_ZN7rocprim17ROCPRIM_400000_NS6detail17trampoline_kernelINS0_14default_configENS1_20scan_config_selectorIsEEZZNS1_9scan_implILNS1_25lookback_scan_determinismE0ELb1ELb1ES3_N6thrust23THRUST_200600_302600_NS6detail15normal_iteratorINS9_10device_ptrIsEEEENS9_16discard_iteratorINS9_11use_defaultEEEsNS9_4plusIvEEsEEDaPvRmT3_T4_T5_mT6_P12ihipStream_tbENKUlT_T0_E_clISt17integral_constantIbLb0EESX_EEDaSS_ST_EUlSS_E0_NS1_11comp_targetILNS1_3genE10ELNS1_11target_archE1201ELNS1_3gpuE5ELNS1_3repE0EEENS1_30default_config_static_selectorELNS0_4arch9wavefront6targetE1EEEvT1_
; %bb.0:
	.section	.rodata,"a",@progbits
	.p2align	6, 0x0
	.amdhsa_kernel _ZN7rocprim17ROCPRIM_400000_NS6detail17trampoline_kernelINS0_14default_configENS1_20scan_config_selectorIsEEZZNS1_9scan_implILNS1_25lookback_scan_determinismE0ELb1ELb1ES3_N6thrust23THRUST_200600_302600_NS6detail15normal_iteratorINS9_10device_ptrIsEEEENS9_16discard_iteratorINS9_11use_defaultEEEsNS9_4plusIvEEsEEDaPvRmT3_T4_T5_mT6_P12ihipStream_tbENKUlT_T0_E_clISt17integral_constantIbLb0EESX_EEDaSS_ST_EUlSS_E0_NS1_11comp_targetILNS1_3genE10ELNS1_11target_archE1201ELNS1_3gpuE5ELNS1_3repE0EEENS1_30default_config_static_selectorELNS0_4arch9wavefront6targetE1EEEvT1_
		.amdhsa_group_segment_fixed_size 0
		.amdhsa_private_segment_fixed_size 0
		.amdhsa_kernarg_size 40
		.amdhsa_user_sgpr_count 6
		.amdhsa_user_sgpr_private_segment_buffer 1
		.amdhsa_user_sgpr_dispatch_ptr 0
		.amdhsa_user_sgpr_queue_ptr 0
		.amdhsa_user_sgpr_kernarg_segment_ptr 1
		.amdhsa_user_sgpr_dispatch_id 0
		.amdhsa_user_sgpr_flat_scratch_init 0
		.amdhsa_user_sgpr_kernarg_preload_length 0
		.amdhsa_user_sgpr_kernarg_preload_offset 0
		.amdhsa_user_sgpr_private_segment_size 0
		.amdhsa_uses_dynamic_stack 0
		.amdhsa_system_sgpr_private_segment_wavefront_offset 0
		.amdhsa_system_sgpr_workgroup_id_x 1
		.amdhsa_system_sgpr_workgroup_id_y 0
		.amdhsa_system_sgpr_workgroup_id_z 0
		.amdhsa_system_sgpr_workgroup_info 0
		.amdhsa_system_vgpr_workitem_id 0
		.amdhsa_next_free_vgpr 1
		.amdhsa_next_free_sgpr 0
		.amdhsa_accum_offset 4
		.amdhsa_reserve_vcc 0
		.amdhsa_reserve_flat_scratch 0
		.amdhsa_float_round_mode_32 0
		.amdhsa_float_round_mode_16_64 0
		.amdhsa_float_denorm_mode_32 3
		.amdhsa_float_denorm_mode_16_64 3
		.amdhsa_dx10_clamp 1
		.amdhsa_ieee_mode 1
		.amdhsa_fp16_overflow 0
		.amdhsa_tg_split 0
		.amdhsa_exception_fp_ieee_invalid_op 0
		.amdhsa_exception_fp_denorm_src 0
		.amdhsa_exception_fp_ieee_div_zero 0
		.amdhsa_exception_fp_ieee_overflow 0
		.amdhsa_exception_fp_ieee_underflow 0
		.amdhsa_exception_fp_ieee_inexact 0
		.amdhsa_exception_int_div_zero 0
	.end_amdhsa_kernel
	.section	.text._ZN7rocprim17ROCPRIM_400000_NS6detail17trampoline_kernelINS0_14default_configENS1_20scan_config_selectorIsEEZZNS1_9scan_implILNS1_25lookback_scan_determinismE0ELb1ELb1ES3_N6thrust23THRUST_200600_302600_NS6detail15normal_iteratorINS9_10device_ptrIsEEEENS9_16discard_iteratorINS9_11use_defaultEEEsNS9_4plusIvEEsEEDaPvRmT3_T4_T5_mT6_P12ihipStream_tbENKUlT_T0_E_clISt17integral_constantIbLb0EESX_EEDaSS_ST_EUlSS_E0_NS1_11comp_targetILNS1_3genE10ELNS1_11target_archE1201ELNS1_3gpuE5ELNS1_3repE0EEENS1_30default_config_static_selectorELNS0_4arch9wavefront6targetE1EEEvT1_,"axG",@progbits,_ZN7rocprim17ROCPRIM_400000_NS6detail17trampoline_kernelINS0_14default_configENS1_20scan_config_selectorIsEEZZNS1_9scan_implILNS1_25lookback_scan_determinismE0ELb1ELb1ES3_N6thrust23THRUST_200600_302600_NS6detail15normal_iteratorINS9_10device_ptrIsEEEENS9_16discard_iteratorINS9_11use_defaultEEEsNS9_4plusIvEEsEEDaPvRmT3_T4_T5_mT6_P12ihipStream_tbENKUlT_T0_E_clISt17integral_constantIbLb0EESX_EEDaSS_ST_EUlSS_E0_NS1_11comp_targetILNS1_3genE10ELNS1_11target_archE1201ELNS1_3gpuE5ELNS1_3repE0EEENS1_30default_config_static_selectorELNS0_4arch9wavefront6targetE1EEEvT1_,comdat
.Lfunc_end5956:
	.size	_ZN7rocprim17ROCPRIM_400000_NS6detail17trampoline_kernelINS0_14default_configENS1_20scan_config_selectorIsEEZZNS1_9scan_implILNS1_25lookback_scan_determinismE0ELb1ELb1ES3_N6thrust23THRUST_200600_302600_NS6detail15normal_iteratorINS9_10device_ptrIsEEEENS9_16discard_iteratorINS9_11use_defaultEEEsNS9_4plusIvEEsEEDaPvRmT3_T4_T5_mT6_P12ihipStream_tbENKUlT_T0_E_clISt17integral_constantIbLb0EESX_EEDaSS_ST_EUlSS_E0_NS1_11comp_targetILNS1_3genE10ELNS1_11target_archE1201ELNS1_3gpuE5ELNS1_3repE0EEENS1_30default_config_static_selectorELNS0_4arch9wavefront6targetE1EEEvT1_, .Lfunc_end5956-_ZN7rocprim17ROCPRIM_400000_NS6detail17trampoline_kernelINS0_14default_configENS1_20scan_config_selectorIsEEZZNS1_9scan_implILNS1_25lookback_scan_determinismE0ELb1ELb1ES3_N6thrust23THRUST_200600_302600_NS6detail15normal_iteratorINS9_10device_ptrIsEEEENS9_16discard_iteratorINS9_11use_defaultEEEsNS9_4plusIvEEsEEDaPvRmT3_T4_T5_mT6_P12ihipStream_tbENKUlT_T0_E_clISt17integral_constantIbLb0EESX_EEDaSS_ST_EUlSS_E0_NS1_11comp_targetILNS1_3genE10ELNS1_11target_archE1201ELNS1_3gpuE5ELNS1_3repE0EEENS1_30default_config_static_selectorELNS0_4arch9wavefront6targetE1EEEvT1_
                                        ; -- End function
	.section	.AMDGPU.csdata,"",@progbits
; Kernel info:
; codeLenInByte = 0
; NumSgprs: 4
; NumVgprs: 0
; NumAgprs: 0
; TotalNumVgprs: 0
; ScratchSize: 0
; MemoryBound: 0
; FloatMode: 240
; IeeeMode: 1
; LDSByteSize: 0 bytes/workgroup (compile time only)
; SGPRBlocks: 0
; VGPRBlocks: 0
; NumSGPRsForWavesPerEU: 4
; NumVGPRsForWavesPerEU: 1
; AccumOffset: 4
; Occupancy: 8
; WaveLimiterHint : 0
; COMPUTE_PGM_RSRC2:SCRATCH_EN: 0
; COMPUTE_PGM_RSRC2:USER_SGPR: 6
; COMPUTE_PGM_RSRC2:TRAP_HANDLER: 0
; COMPUTE_PGM_RSRC2:TGID_X_EN: 1
; COMPUTE_PGM_RSRC2:TGID_Y_EN: 0
; COMPUTE_PGM_RSRC2:TGID_Z_EN: 0
; COMPUTE_PGM_RSRC2:TIDIG_COMP_CNT: 0
; COMPUTE_PGM_RSRC3_GFX90A:ACCUM_OFFSET: 0
; COMPUTE_PGM_RSRC3_GFX90A:TG_SPLIT: 0
	.section	.text._ZN7rocprim17ROCPRIM_400000_NS6detail17trampoline_kernelINS0_14default_configENS1_20scan_config_selectorIsEEZZNS1_9scan_implILNS1_25lookback_scan_determinismE0ELb1ELb1ES3_N6thrust23THRUST_200600_302600_NS6detail15normal_iteratorINS9_10device_ptrIsEEEENS9_16discard_iteratorINS9_11use_defaultEEEsNS9_4plusIvEEsEEDaPvRmT3_T4_T5_mT6_P12ihipStream_tbENKUlT_T0_E_clISt17integral_constantIbLb0EESX_EEDaSS_ST_EUlSS_E0_NS1_11comp_targetILNS1_3genE10ELNS1_11target_archE1200ELNS1_3gpuE4ELNS1_3repE0EEENS1_30default_config_static_selectorELNS0_4arch9wavefront6targetE1EEEvT1_,"axG",@progbits,_ZN7rocprim17ROCPRIM_400000_NS6detail17trampoline_kernelINS0_14default_configENS1_20scan_config_selectorIsEEZZNS1_9scan_implILNS1_25lookback_scan_determinismE0ELb1ELb1ES3_N6thrust23THRUST_200600_302600_NS6detail15normal_iteratorINS9_10device_ptrIsEEEENS9_16discard_iteratorINS9_11use_defaultEEEsNS9_4plusIvEEsEEDaPvRmT3_T4_T5_mT6_P12ihipStream_tbENKUlT_T0_E_clISt17integral_constantIbLb0EESX_EEDaSS_ST_EUlSS_E0_NS1_11comp_targetILNS1_3genE10ELNS1_11target_archE1200ELNS1_3gpuE4ELNS1_3repE0EEENS1_30default_config_static_selectorELNS0_4arch9wavefront6targetE1EEEvT1_,comdat
	.protected	_ZN7rocprim17ROCPRIM_400000_NS6detail17trampoline_kernelINS0_14default_configENS1_20scan_config_selectorIsEEZZNS1_9scan_implILNS1_25lookback_scan_determinismE0ELb1ELb1ES3_N6thrust23THRUST_200600_302600_NS6detail15normal_iteratorINS9_10device_ptrIsEEEENS9_16discard_iteratorINS9_11use_defaultEEEsNS9_4plusIvEEsEEDaPvRmT3_T4_T5_mT6_P12ihipStream_tbENKUlT_T0_E_clISt17integral_constantIbLb0EESX_EEDaSS_ST_EUlSS_E0_NS1_11comp_targetILNS1_3genE10ELNS1_11target_archE1200ELNS1_3gpuE4ELNS1_3repE0EEENS1_30default_config_static_selectorELNS0_4arch9wavefront6targetE1EEEvT1_ ; -- Begin function _ZN7rocprim17ROCPRIM_400000_NS6detail17trampoline_kernelINS0_14default_configENS1_20scan_config_selectorIsEEZZNS1_9scan_implILNS1_25lookback_scan_determinismE0ELb1ELb1ES3_N6thrust23THRUST_200600_302600_NS6detail15normal_iteratorINS9_10device_ptrIsEEEENS9_16discard_iteratorINS9_11use_defaultEEEsNS9_4plusIvEEsEEDaPvRmT3_T4_T5_mT6_P12ihipStream_tbENKUlT_T0_E_clISt17integral_constantIbLb0EESX_EEDaSS_ST_EUlSS_E0_NS1_11comp_targetILNS1_3genE10ELNS1_11target_archE1200ELNS1_3gpuE4ELNS1_3repE0EEENS1_30default_config_static_selectorELNS0_4arch9wavefront6targetE1EEEvT1_
	.globl	_ZN7rocprim17ROCPRIM_400000_NS6detail17trampoline_kernelINS0_14default_configENS1_20scan_config_selectorIsEEZZNS1_9scan_implILNS1_25lookback_scan_determinismE0ELb1ELb1ES3_N6thrust23THRUST_200600_302600_NS6detail15normal_iteratorINS9_10device_ptrIsEEEENS9_16discard_iteratorINS9_11use_defaultEEEsNS9_4plusIvEEsEEDaPvRmT3_T4_T5_mT6_P12ihipStream_tbENKUlT_T0_E_clISt17integral_constantIbLb0EESX_EEDaSS_ST_EUlSS_E0_NS1_11comp_targetILNS1_3genE10ELNS1_11target_archE1200ELNS1_3gpuE4ELNS1_3repE0EEENS1_30default_config_static_selectorELNS0_4arch9wavefront6targetE1EEEvT1_
	.p2align	8
	.type	_ZN7rocprim17ROCPRIM_400000_NS6detail17trampoline_kernelINS0_14default_configENS1_20scan_config_selectorIsEEZZNS1_9scan_implILNS1_25lookback_scan_determinismE0ELb1ELb1ES3_N6thrust23THRUST_200600_302600_NS6detail15normal_iteratorINS9_10device_ptrIsEEEENS9_16discard_iteratorINS9_11use_defaultEEEsNS9_4plusIvEEsEEDaPvRmT3_T4_T5_mT6_P12ihipStream_tbENKUlT_T0_E_clISt17integral_constantIbLb0EESX_EEDaSS_ST_EUlSS_E0_NS1_11comp_targetILNS1_3genE10ELNS1_11target_archE1200ELNS1_3gpuE4ELNS1_3repE0EEENS1_30default_config_static_selectorELNS0_4arch9wavefront6targetE1EEEvT1_,@function
_ZN7rocprim17ROCPRIM_400000_NS6detail17trampoline_kernelINS0_14default_configENS1_20scan_config_selectorIsEEZZNS1_9scan_implILNS1_25lookback_scan_determinismE0ELb1ELb1ES3_N6thrust23THRUST_200600_302600_NS6detail15normal_iteratorINS9_10device_ptrIsEEEENS9_16discard_iteratorINS9_11use_defaultEEEsNS9_4plusIvEEsEEDaPvRmT3_T4_T5_mT6_P12ihipStream_tbENKUlT_T0_E_clISt17integral_constantIbLb0EESX_EEDaSS_ST_EUlSS_E0_NS1_11comp_targetILNS1_3genE10ELNS1_11target_archE1200ELNS1_3gpuE4ELNS1_3repE0EEENS1_30default_config_static_selectorELNS0_4arch9wavefront6targetE1EEEvT1_: ; @_ZN7rocprim17ROCPRIM_400000_NS6detail17trampoline_kernelINS0_14default_configENS1_20scan_config_selectorIsEEZZNS1_9scan_implILNS1_25lookback_scan_determinismE0ELb1ELb1ES3_N6thrust23THRUST_200600_302600_NS6detail15normal_iteratorINS9_10device_ptrIsEEEENS9_16discard_iteratorINS9_11use_defaultEEEsNS9_4plusIvEEsEEDaPvRmT3_T4_T5_mT6_P12ihipStream_tbENKUlT_T0_E_clISt17integral_constantIbLb0EESX_EEDaSS_ST_EUlSS_E0_NS1_11comp_targetILNS1_3genE10ELNS1_11target_archE1200ELNS1_3gpuE4ELNS1_3repE0EEENS1_30default_config_static_selectorELNS0_4arch9wavefront6targetE1EEEvT1_
; %bb.0:
	.section	.rodata,"a",@progbits
	.p2align	6, 0x0
	.amdhsa_kernel _ZN7rocprim17ROCPRIM_400000_NS6detail17trampoline_kernelINS0_14default_configENS1_20scan_config_selectorIsEEZZNS1_9scan_implILNS1_25lookback_scan_determinismE0ELb1ELb1ES3_N6thrust23THRUST_200600_302600_NS6detail15normal_iteratorINS9_10device_ptrIsEEEENS9_16discard_iteratorINS9_11use_defaultEEEsNS9_4plusIvEEsEEDaPvRmT3_T4_T5_mT6_P12ihipStream_tbENKUlT_T0_E_clISt17integral_constantIbLb0EESX_EEDaSS_ST_EUlSS_E0_NS1_11comp_targetILNS1_3genE10ELNS1_11target_archE1200ELNS1_3gpuE4ELNS1_3repE0EEENS1_30default_config_static_selectorELNS0_4arch9wavefront6targetE1EEEvT1_
		.amdhsa_group_segment_fixed_size 0
		.amdhsa_private_segment_fixed_size 0
		.amdhsa_kernarg_size 40
		.amdhsa_user_sgpr_count 6
		.amdhsa_user_sgpr_private_segment_buffer 1
		.amdhsa_user_sgpr_dispatch_ptr 0
		.amdhsa_user_sgpr_queue_ptr 0
		.amdhsa_user_sgpr_kernarg_segment_ptr 1
		.amdhsa_user_sgpr_dispatch_id 0
		.amdhsa_user_sgpr_flat_scratch_init 0
		.amdhsa_user_sgpr_kernarg_preload_length 0
		.amdhsa_user_sgpr_kernarg_preload_offset 0
		.amdhsa_user_sgpr_private_segment_size 0
		.amdhsa_uses_dynamic_stack 0
		.amdhsa_system_sgpr_private_segment_wavefront_offset 0
		.amdhsa_system_sgpr_workgroup_id_x 1
		.amdhsa_system_sgpr_workgroup_id_y 0
		.amdhsa_system_sgpr_workgroup_id_z 0
		.amdhsa_system_sgpr_workgroup_info 0
		.amdhsa_system_vgpr_workitem_id 0
		.amdhsa_next_free_vgpr 1
		.amdhsa_next_free_sgpr 0
		.amdhsa_accum_offset 4
		.amdhsa_reserve_vcc 0
		.amdhsa_reserve_flat_scratch 0
		.amdhsa_float_round_mode_32 0
		.amdhsa_float_round_mode_16_64 0
		.amdhsa_float_denorm_mode_32 3
		.amdhsa_float_denorm_mode_16_64 3
		.amdhsa_dx10_clamp 1
		.amdhsa_ieee_mode 1
		.amdhsa_fp16_overflow 0
		.amdhsa_tg_split 0
		.amdhsa_exception_fp_ieee_invalid_op 0
		.amdhsa_exception_fp_denorm_src 0
		.amdhsa_exception_fp_ieee_div_zero 0
		.amdhsa_exception_fp_ieee_overflow 0
		.amdhsa_exception_fp_ieee_underflow 0
		.amdhsa_exception_fp_ieee_inexact 0
		.amdhsa_exception_int_div_zero 0
	.end_amdhsa_kernel
	.section	.text._ZN7rocprim17ROCPRIM_400000_NS6detail17trampoline_kernelINS0_14default_configENS1_20scan_config_selectorIsEEZZNS1_9scan_implILNS1_25lookback_scan_determinismE0ELb1ELb1ES3_N6thrust23THRUST_200600_302600_NS6detail15normal_iteratorINS9_10device_ptrIsEEEENS9_16discard_iteratorINS9_11use_defaultEEEsNS9_4plusIvEEsEEDaPvRmT3_T4_T5_mT6_P12ihipStream_tbENKUlT_T0_E_clISt17integral_constantIbLb0EESX_EEDaSS_ST_EUlSS_E0_NS1_11comp_targetILNS1_3genE10ELNS1_11target_archE1200ELNS1_3gpuE4ELNS1_3repE0EEENS1_30default_config_static_selectorELNS0_4arch9wavefront6targetE1EEEvT1_,"axG",@progbits,_ZN7rocprim17ROCPRIM_400000_NS6detail17trampoline_kernelINS0_14default_configENS1_20scan_config_selectorIsEEZZNS1_9scan_implILNS1_25lookback_scan_determinismE0ELb1ELb1ES3_N6thrust23THRUST_200600_302600_NS6detail15normal_iteratorINS9_10device_ptrIsEEEENS9_16discard_iteratorINS9_11use_defaultEEEsNS9_4plusIvEEsEEDaPvRmT3_T4_T5_mT6_P12ihipStream_tbENKUlT_T0_E_clISt17integral_constantIbLb0EESX_EEDaSS_ST_EUlSS_E0_NS1_11comp_targetILNS1_3genE10ELNS1_11target_archE1200ELNS1_3gpuE4ELNS1_3repE0EEENS1_30default_config_static_selectorELNS0_4arch9wavefront6targetE1EEEvT1_,comdat
.Lfunc_end5957:
	.size	_ZN7rocprim17ROCPRIM_400000_NS6detail17trampoline_kernelINS0_14default_configENS1_20scan_config_selectorIsEEZZNS1_9scan_implILNS1_25lookback_scan_determinismE0ELb1ELb1ES3_N6thrust23THRUST_200600_302600_NS6detail15normal_iteratorINS9_10device_ptrIsEEEENS9_16discard_iteratorINS9_11use_defaultEEEsNS9_4plusIvEEsEEDaPvRmT3_T4_T5_mT6_P12ihipStream_tbENKUlT_T0_E_clISt17integral_constantIbLb0EESX_EEDaSS_ST_EUlSS_E0_NS1_11comp_targetILNS1_3genE10ELNS1_11target_archE1200ELNS1_3gpuE4ELNS1_3repE0EEENS1_30default_config_static_selectorELNS0_4arch9wavefront6targetE1EEEvT1_, .Lfunc_end5957-_ZN7rocprim17ROCPRIM_400000_NS6detail17trampoline_kernelINS0_14default_configENS1_20scan_config_selectorIsEEZZNS1_9scan_implILNS1_25lookback_scan_determinismE0ELb1ELb1ES3_N6thrust23THRUST_200600_302600_NS6detail15normal_iteratorINS9_10device_ptrIsEEEENS9_16discard_iteratorINS9_11use_defaultEEEsNS9_4plusIvEEsEEDaPvRmT3_T4_T5_mT6_P12ihipStream_tbENKUlT_T0_E_clISt17integral_constantIbLb0EESX_EEDaSS_ST_EUlSS_E0_NS1_11comp_targetILNS1_3genE10ELNS1_11target_archE1200ELNS1_3gpuE4ELNS1_3repE0EEENS1_30default_config_static_selectorELNS0_4arch9wavefront6targetE1EEEvT1_
                                        ; -- End function
	.section	.AMDGPU.csdata,"",@progbits
; Kernel info:
; codeLenInByte = 0
; NumSgprs: 4
; NumVgprs: 0
; NumAgprs: 0
; TotalNumVgprs: 0
; ScratchSize: 0
; MemoryBound: 0
; FloatMode: 240
; IeeeMode: 1
; LDSByteSize: 0 bytes/workgroup (compile time only)
; SGPRBlocks: 0
; VGPRBlocks: 0
; NumSGPRsForWavesPerEU: 4
; NumVGPRsForWavesPerEU: 1
; AccumOffset: 4
; Occupancy: 8
; WaveLimiterHint : 0
; COMPUTE_PGM_RSRC2:SCRATCH_EN: 0
; COMPUTE_PGM_RSRC2:USER_SGPR: 6
; COMPUTE_PGM_RSRC2:TRAP_HANDLER: 0
; COMPUTE_PGM_RSRC2:TGID_X_EN: 1
; COMPUTE_PGM_RSRC2:TGID_Y_EN: 0
; COMPUTE_PGM_RSRC2:TGID_Z_EN: 0
; COMPUTE_PGM_RSRC2:TIDIG_COMP_CNT: 0
; COMPUTE_PGM_RSRC3_GFX90A:ACCUM_OFFSET: 0
; COMPUTE_PGM_RSRC3_GFX90A:TG_SPLIT: 0
	.section	.text._ZN7rocprim17ROCPRIM_400000_NS6detail17trampoline_kernelINS0_14default_configENS1_20scan_config_selectorIsEEZZNS1_9scan_implILNS1_25lookback_scan_determinismE0ELb1ELb1ES3_N6thrust23THRUST_200600_302600_NS6detail15normal_iteratorINS9_10device_ptrIsEEEENS9_16discard_iteratorINS9_11use_defaultEEEsNS9_4plusIvEEsEEDaPvRmT3_T4_T5_mT6_P12ihipStream_tbENKUlT_T0_E_clISt17integral_constantIbLb0EESX_EEDaSS_ST_EUlSS_E0_NS1_11comp_targetILNS1_3genE9ELNS1_11target_archE1100ELNS1_3gpuE3ELNS1_3repE0EEENS1_30default_config_static_selectorELNS0_4arch9wavefront6targetE1EEEvT1_,"axG",@progbits,_ZN7rocprim17ROCPRIM_400000_NS6detail17trampoline_kernelINS0_14default_configENS1_20scan_config_selectorIsEEZZNS1_9scan_implILNS1_25lookback_scan_determinismE0ELb1ELb1ES3_N6thrust23THRUST_200600_302600_NS6detail15normal_iteratorINS9_10device_ptrIsEEEENS9_16discard_iteratorINS9_11use_defaultEEEsNS9_4plusIvEEsEEDaPvRmT3_T4_T5_mT6_P12ihipStream_tbENKUlT_T0_E_clISt17integral_constantIbLb0EESX_EEDaSS_ST_EUlSS_E0_NS1_11comp_targetILNS1_3genE9ELNS1_11target_archE1100ELNS1_3gpuE3ELNS1_3repE0EEENS1_30default_config_static_selectorELNS0_4arch9wavefront6targetE1EEEvT1_,comdat
	.protected	_ZN7rocprim17ROCPRIM_400000_NS6detail17trampoline_kernelINS0_14default_configENS1_20scan_config_selectorIsEEZZNS1_9scan_implILNS1_25lookback_scan_determinismE0ELb1ELb1ES3_N6thrust23THRUST_200600_302600_NS6detail15normal_iteratorINS9_10device_ptrIsEEEENS9_16discard_iteratorINS9_11use_defaultEEEsNS9_4plusIvEEsEEDaPvRmT3_T4_T5_mT6_P12ihipStream_tbENKUlT_T0_E_clISt17integral_constantIbLb0EESX_EEDaSS_ST_EUlSS_E0_NS1_11comp_targetILNS1_3genE9ELNS1_11target_archE1100ELNS1_3gpuE3ELNS1_3repE0EEENS1_30default_config_static_selectorELNS0_4arch9wavefront6targetE1EEEvT1_ ; -- Begin function _ZN7rocprim17ROCPRIM_400000_NS6detail17trampoline_kernelINS0_14default_configENS1_20scan_config_selectorIsEEZZNS1_9scan_implILNS1_25lookback_scan_determinismE0ELb1ELb1ES3_N6thrust23THRUST_200600_302600_NS6detail15normal_iteratorINS9_10device_ptrIsEEEENS9_16discard_iteratorINS9_11use_defaultEEEsNS9_4plusIvEEsEEDaPvRmT3_T4_T5_mT6_P12ihipStream_tbENKUlT_T0_E_clISt17integral_constantIbLb0EESX_EEDaSS_ST_EUlSS_E0_NS1_11comp_targetILNS1_3genE9ELNS1_11target_archE1100ELNS1_3gpuE3ELNS1_3repE0EEENS1_30default_config_static_selectorELNS0_4arch9wavefront6targetE1EEEvT1_
	.globl	_ZN7rocprim17ROCPRIM_400000_NS6detail17trampoline_kernelINS0_14default_configENS1_20scan_config_selectorIsEEZZNS1_9scan_implILNS1_25lookback_scan_determinismE0ELb1ELb1ES3_N6thrust23THRUST_200600_302600_NS6detail15normal_iteratorINS9_10device_ptrIsEEEENS9_16discard_iteratorINS9_11use_defaultEEEsNS9_4plusIvEEsEEDaPvRmT3_T4_T5_mT6_P12ihipStream_tbENKUlT_T0_E_clISt17integral_constantIbLb0EESX_EEDaSS_ST_EUlSS_E0_NS1_11comp_targetILNS1_3genE9ELNS1_11target_archE1100ELNS1_3gpuE3ELNS1_3repE0EEENS1_30default_config_static_selectorELNS0_4arch9wavefront6targetE1EEEvT1_
	.p2align	8
	.type	_ZN7rocprim17ROCPRIM_400000_NS6detail17trampoline_kernelINS0_14default_configENS1_20scan_config_selectorIsEEZZNS1_9scan_implILNS1_25lookback_scan_determinismE0ELb1ELb1ES3_N6thrust23THRUST_200600_302600_NS6detail15normal_iteratorINS9_10device_ptrIsEEEENS9_16discard_iteratorINS9_11use_defaultEEEsNS9_4plusIvEEsEEDaPvRmT3_T4_T5_mT6_P12ihipStream_tbENKUlT_T0_E_clISt17integral_constantIbLb0EESX_EEDaSS_ST_EUlSS_E0_NS1_11comp_targetILNS1_3genE9ELNS1_11target_archE1100ELNS1_3gpuE3ELNS1_3repE0EEENS1_30default_config_static_selectorELNS0_4arch9wavefront6targetE1EEEvT1_,@function
_ZN7rocprim17ROCPRIM_400000_NS6detail17trampoline_kernelINS0_14default_configENS1_20scan_config_selectorIsEEZZNS1_9scan_implILNS1_25lookback_scan_determinismE0ELb1ELb1ES3_N6thrust23THRUST_200600_302600_NS6detail15normal_iteratorINS9_10device_ptrIsEEEENS9_16discard_iteratorINS9_11use_defaultEEEsNS9_4plusIvEEsEEDaPvRmT3_T4_T5_mT6_P12ihipStream_tbENKUlT_T0_E_clISt17integral_constantIbLb0EESX_EEDaSS_ST_EUlSS_E0_NS1_11comp_targetILNS1_3genE9ELNS1_11target_archE1100ELNS1_3gpuE3ELNS1_3repE0EEENS1_30default_config_static_selectorELNS0_4arch9wavefront6targetE1EEEvT1_: ; @_ZN7rocprim17ROCPRIM_400000_NS6detail17trampoline_kernelINS0_14default_configENS1_20scan_config_selectorIsEEZZNS1_9scan_implILNS1_25lookback_scan_determinismE0ELb1ELb1ES3_N6thrust23THRUST_200600_302600_NS6detail15normal_iteratorINS9_10device_ptrIsEEEENS9_16discard_iteratorINS9_11use_defaultEEEsNS9_4plusIvEEsEEDaPvRmT3_T4_T5_mT6_P12ihipStream_tbENKUlT_T0_E_clISt17integral_constantIbLb0EESX_EEDaSS_ST_EUlSS_E0_NS1_11comp_targetILNS1_3genE9ELNS1_11target_archE1100ELNS1_3gpuE3ELNS1_3repE0EEENS1_30default_config_static_selectorELNS0_4arch9wavefront6targetE1EEEvT1_
; %bb.0:
	.section	.rodata,"a",@progbits
	.p2align	6, 0x0
	.amdhsa_kernel _ZN7rocprim17ROCPRIM_400000_NS6detail17trampoline_kernelINS0_14default_configENS1_20scan_config_selectorIsEEZZNS1_9scan_implILNS1_25lookback_scan_determinismE0ELb1ELb1ES3_N6thrust23THRUST_200600_302600_NS6detail15normal_iteratorINS9_10device_ptrIsEEEENS9_16discard_iteratorINS9_11use_defaultEEEsNS9_4plusIvEEsEEDaPvRmT3_T4_T5_mT6_P12ihipStream_tbENKUlT_T0_E_clISt17integral_constantIbLb0EESX_EEDaSS_ST_EUlSS_E0_NS1_11comp_targetILNS1_3genE9ELNS1_11target_archE1100ELNS1_3gpuE3ELNS1_3repE0EEENS1_30default_config_static_selectorELNS0_4arch9wavefront6targetE1EEEvT1_
		.amdhsa_group_segment_fixed_size 0
		.amdhsa_private_segment_fixed_size 0
		.amdhsa_kernarg_size 40
		.amdhsa_user_sgpr_count 6
		.amdhsa_user_sgpr_private_segment_buffer 1
		.amdhsa_user_sgpr_dispatch_ptr 0
		.amdhsa_user_sgpr_queue_ptr 0
		.amdhsa_user_sgpr_kernarg_segment_ptr 1
		.amdhsa_user_sgpr_dispatch_id 0
		.amdhsa_user_sgpr_flat_scratch_init 0
		.amdhsa_user_sgpr_kernarg_preload_length 0
		.amdhsa_user_sgpr_kernarg_preload_offset 0
		.amdhsa_user_sgpr_private_segment_size 0
		.amdhsa_uses_dynamic_stack 0
		.amdhsa_system_sgpr_private_segment_wavefront_offset 0
		.amdhsa_system_sgpr_workgroup_id_x 1
		.amdhsa_system_sgpr_workgroup_id_y 0
		.amdhsa_system_sgpr_workgroup_id_z 0
		.amdhsa_system_sgpr_workgroup_info 0
		.amdhsa_system_vgpr_workitem_id 0
		.amdhsa_next_free_vgpr 1
		.amdhsa_next_free_sgpr 0
		.amdhsa_accum_offset 4
		.amdhsa_reserve_vcc 0
		.amdhsa_reserve_flat_scratch 0
		.amdhsa_float_round_mode_32 0
		.amdhsa_float_round_mode_16_64 0
		.amdhsa_float_denorm_mode_32 3
		.amdhsa_float_denorm_mode_16_64 3
		.amdhsa_dx10_clamp 1
		.amdhsa_ieee_mode 1
		.amdhsa_fp16_overflow 0
		.amdhsa_tg_split 0
		.amdhsa_exception_fp_ieee_invalid_op 0
		.amdhsa_exception_fp_denorm_src 0
		.amdhsa_exception_fp_ieee_div_zero 0
		.amdhsa_exception_fp_ieee_overflow 0
		.amdhsa_exception_fp_ieee_underflow 0
		.amdhsa_exception_fp_ieee_inexact 0
		.amdhsa_exception_int_div_zero 0
	.end_amdhsa_kernel
	.section	.text._ZN7rocprim17ROCPRIM_400000_NS6detail17trampoline_kernelINS0_14default_configENS1_20scan_config_selectorIsEEZZNS1_9scan_implILNS1_25lookback_scan_determinismE0ELb1ELb1ES3_N6thrust23THRUST_200600_302600_NS6detail15normal_iteratorINS9_10device_ptrIsEEEENS9_16discard_iteratorINS9_11use_defaultEEEsNS9_4plusIvEEsEEDaPvRmT3_T4_T5_mT6_P12ihipStream_tbENKUlT_T0_E_clISt17integral_constantIbLb0EESX_EEDaSS_ST_EUlSS_E0_NS1_11comp_targetILNS1_3genE9ELNS1_11target_archE1100ELNS1_3gpuE3ELNS1_3repE0EEENS1_30default_config_static_selectorELNS0_4arch9wavefront6targetE1EEEvT1_,"axG",@progbits,_ZN7rocprim17ROCPRIM_400000_NS6detail17trampoline_kernelINS0_14default_configENS1_20scan_config_selectorIsEEZZNS1_9scan_implILNS1_25lookback_scan_determinismE0ELb1ELb1ES3_N6thrust23THRUST_200600_302600_NS6detail15normal_iteratorINS9_10device_ptrIsEEEENS9_16discard_iteratorINS9_11use_defaultEEEsNS9_4plusIvEEsEEDaPvRmT3_T4_T5_mT6_P12ihipStream_tbENKUlT_T0_E_clISt17integral_constantIbLb0EESX_EEDaSS_ST_EUlSS_E0_NS1_11comp_targetILNS1_3genE9ELNS1_11target_archE1100ELNS1_3gpuE3ELNS1_3repE0EEENS1_30default_config_static_selectorELNS0_4arch9wavefront6targetE1EEEvT1_,comdat
.Lfunc_end5958:
	.size	_ZN7rocprim17ROCPRIM_400000_NS6detail17trampoline_kernelINS0_14default_configENS1_20scan_config_selectorIsEEZZNS1_9scan_implILNS1_25lookback_scan_determinismE0ELb1ELb1ES3_N6thrust23THRUST_200600_302600_NS6detail15normal_iteratorINS9_10device_ptrIsEEEENS9_16discard_iteratorINS9_11use_defaultEEEsNS9_4plusIvEEsEEDaPvRmT3_T4_T5_mT6_P12ihipStream_tbENKUlT_T0_E_clISt17integral_constantIbLb0EESX_EEDaSS_ST_EUlSS_E0_NS1_11comp_targetILNS1_3genE9ELNS1_11target_archE1100ELNS1_3gpuE3ELNS1_3repE0EEENS1_30default_config_static_selectorELNS0_4arch9wavefront6targetE1EEEvT1_, .Lfunc_end5958-_ZN7rocprim17ROCPRIM_400000_NS6detail17trampoline_kernelINS0_14default_configENS1_20scan_config_selectorIsEEZZNS1_9scan_implILNS1_25lookback_scan_determinismE0ELb1ELb1ES3_N6thrust23THRUST_200600_302600_NS6detail15normal_iteratorINS9_10device_ptrIsEEEENS9_16discard_iteratorINS9_11use_defaultEEEsNS9_4plusIvEEsEEDaPvRmT3_T4_T5_mT6_P12ihipStream_tbENKUlT_T0_E_clISt17integral_constantIbLb0EESX_EEDaSS_ST_EUlSS_E0_NS1_11comp_targetILNS1_3genE9ELNS1_11target_archE1100ELNS1_3gpuE3ELNS1_3repE0EEENS1_30default_config_static_selectorELNS0_4arch9wavefront6targetE1EEEvT1_
                                        ; -- End function
	.section	.AMDGPU.csdata,"",@progbits
; Kernel info:
; codeLenInByte = 0
; NumSgprs: 4
; NumVgprs: 0
; NumAgprs: 0
; TotalNumVgprs: 0
; ScratchSize: 0
; MemoryBound: 0
; FloatMode: 240
; IeeeMode: 1
; LDSByteSize: 0 bytes/workgroup (compile time only)
; SGPRBlocks: 0
; VGPRBlocks: 0
; NumSGPRsForWavesPerEU: 4
; NumVGPRsForWavesPerEU: 1
; AccumOffset: 4
; Occupancy: 8
; WaveLimiterHint : 0
; COMPUTE_PGM_RSRC2:SCRATCH_EN: 0
; COMPUTE_PGM_RSRC2:USER_SGPR: 6
; COMPUTE_PGM_RSRC2:TRAP_HANDLER: 0
; COMPUTE_PGM_RSRC2:TGID_X_EN: 1
; COMPUTE_PGM_RSRC2:TGID_Y_EN: 0
; COMPUTE_PGM_RSRC2:TGID_Z_EN: 0
; COMPUTE_PGM_RSRC2:TIDIG_COMP_CNT: 0
; COMPUTE_PGM_RSRC3_GFX90A:ACCUM_OFFSET: 0
; COMPUTE_PGM_RSRC3_GFX90A:TG_SPLIT: 0
	.section	.text._ZN7rocprim17ROCPRIM_400000_NS6detail17trampoline_kernelINS0_14default_configENS1_20scan_config_selectorIsEEZZNS1_9scan_implILNS1_25lookback_scan_determinismE0ELb1ELb1ES3_N6thrust23THRUST_200600_302600_NS6detail15normal_iteratorINS9_10device_ptrIsEEEENS9_16discard_iteratorINS9_11use_defaultEEEsNS9_4plusIvEEsEEDaPvRmT3_T4_T5_mT6_P12ihipStream_tbENKUlT_T0_E_clISt17integral_constantIbLb0EESX_EEDaSS_ST_EUlSS_E0_NS1_11comp_targetILNS1_3genE8ELNS1_11target_archE1030ELNS1_3gpuE2ELNS1_3repE0EEENS1_30default_config_static_selectorELNS0_4arch9wavefront6targetE1EEEvT1_,"axG",@progbits,_ZN7rocprim17ROCPRIM_400000_NS6detail17trampoline_kernelINS0_14default_configENS1_20scan_config_selectorIsEEZZNS1_9scan_implILNS1_25lookback_scan_determinismE0ELb1ELb1ES3_N6thrust23THRUST_200600_302600_NS6detail15normal_iteratorINS9_10device_ptrIsEEEENS9_16discard_iteratorINS9_11use_defaultEEEsNS9_4plusIvEEsEEDaPvRmT3_T4_T5_mT6_P12ihipStream_tbENKUlT_T0_E_clISt17integral_constantIbLb0EESX_EEDaSS_ST_EUlSS_E0_NS1_11comp_targetILNS1_3genE8ELNS1_11target_archE1030ELNS1_3gpuE2ELNS1_3repE0EEENS1_30default_config_static_selectorELNS0_4arch9wavefront6targetE1EEEvT1_,comdat
	.protected	_ZN7rocprim17ROCPRIM_400000_NS6detail17trampoline_kernelINS0_14default_configENS1_20scan_config_selectorIsEEZZNS1_9scan_implILNS1_25lookback_scan_determinismE0ELb1ELb1ES3_N6thrust23THRUST_200600_302600_NS6detail15normal_iteratorINS9_10device_ptrIsEEEENS9_16discard_iteratorINS9_11use_defaultEEEsNS9_4plusIvEEsEEDaPvRmT3_T4_T5_mT6_P12ihipStream_tbENKUlT_T0_E_clISt17integral_constantIbLb0EESX_EEDaSS_ST_EUlSS_E0_NS1_11comp_targetILNS1_3genE8ELNS1_11target_archE1030ELNS1_3gpuE2ELNS1_3repE0EEENS1_30default_config_static_selectorELNS0_4arch9wavefront6targetE1EEEvT1_ ; -- Begin function _ZN7rocprim17ROCPRIM_400000_NS6detail17trampoline_kernelINS0_14default_configENS1_20scan_config_selectorIsEEZZNS1_9scan_implILNS1_25lookback_scan_determinismE0ELb1ELb1ES3_N6thrust23THRUST_200600_302600_NS6detail15normal_iteratorINS9_10device_ptrIsEEEENS9_16discard_iteratorINS9_11use_defaultEEEsNS9_4plusIvEEsEEDaPvRmT3_T4_T5_mT6_P12ihipStream_tbENKUlT_T0_E_clISt17integral_constantIbLb0EESX_EEDaSS_ST_EUlSS_E0_NS1_11comp_targetILNS1_3genE8ELNS1_11target_archE1030ELNS1_3gpuE2ELNS1_3repE0EEENS1_30default_config_static_selectorELNS0_4arch9wavefront6targetE1EEEvT1_
	.globl	_ZN7rocprim17ROCPRIM_400000_NS6detail17trampoline_kernelINS0_14default_configENS1_20scan_config_selectorIsEEZZNS1_9scan_implILNS1_25lookback_scan_determinismE0ELb1ELb1ES3_N6thrust23THRUST_200600_302600_NS6detail15normal_iteratorINS9_10device_ptrIsEEEENS9_16discard_iteratorINS9_11use_defaultEEEsNS9_4plusIvEEsEEDaPvRmT3_T4_T5_mT6_P12ihipStream_tbENKUlT_T0_E_clISt17integral_constantIbLb0EESX_EEDaSS_ST_EUlSS_E0_NS1_11comp_targetILNS1_3genE8ELNS1_11target_archE1030ELNS1_3gpuE2ELNS1_3repE0EEENS1_30default_config_static_selectorELNS0_4arch9wavefront6targetE1EEEvT1_
	.p2align	8
	.type	_ZN7rocprim17ROCPRIM_400000_NS6detail17trampoline_kernelINS0_14default_configENS1_20scan_config_selectorIsEEZZNS1_9scan_implILNS1_25lookback_scan_determinismE0ELb1ELb1ES3_N6thrust23THRUST_200600_302600_NS6detail15normal_iteratorINS9_10device_ptrIsEEEENS9_16discard_iteratorINS9_11use_defaultEEEsNS9_4plusIvEEsEEDaPvRmT3_T4_T5_mT6_P12ihipStream_tbENKUlT_T0_E_clISt17integral_constantIbLb0EESX_EEDaSS_ST_EUlSS_E0_NS1_11comp_targetILNS1_3genE8ELNS1_11target_archE1030ELNS1_3gpuE2ELNS1_3repE0EEENS1_30default_config_static_selectorELNS0_4arch9wavefront6targetE1EEEvT1_,@function
_ZN7rocprim17ROCPRIM_400000_NS6detail17trampoline_kernelINS0_14default_configENS1_20scan_config_selectorIsEEZZNS1_9scan_implILNS1_25lookback_scan_determinismE0ELb1ELb1ES3_N6thrust23THRUST_200600_302600_NS6detail15normal_iteratorINS9_10device_ptrIsEEEENS9_16discard_iteratorINS9_11use_defaultEEEsNS9_4plusIvEEsEEDaPvRmT3_T4_T5_mT6_P12ihipStream_tbENKUlT_T0_E_clISt17integral_constantIbLb0EESX_EEDaSS_ST_EUlSS_E0_NS1_11comp_targetILNS1_3genE8ELNS1_11target_archE1030ELNS1_3gpuE2ELNS1_3repE0EEENS1_30default_config_static_selectorELNS0_4arch9wavefront6targetE1EEEvT1_: ; @_ZN7rocprim17ROCPRIM_400000_NS6detail17trampoline_kernelINS0_14default_configENS1_20scan_config_selectorIsEEZZNS1_9scan_implILNS1_25lookback_scan_determinismE0ELb1ELb1ES3_N6thrust23THRUST_200600_302600_NS6detail15normal_iteratorINS9_10device_ptrIsEEEENS9_16discard_iteratorINS9_11use_defaultEEEsNS9_4plusIvEEsEEDaPvRmT3_T4_T5_mT6_P12ihipStream_tbENKUlT_T0_E_clISt17integral_constantIbLb0EESX_EEDaSS_ST_EUlSS_E0_NS1_11comp_targetILNS1_3genE8ELNS1_11target_archE1030ELNS1_3gpuE2ELNS1_3repE0EEENS1_30default_config_static_selectorELNS0_4arch9wavefront6targetE1EEEvT1_
; %bb.0:
	.section	.rodata,"a",@progbits
	.p2align	6, 0x0
	.amdhsa_kernel _ZN7rocprim17ROCPRIM_400000_NS6detail17trampoline_kernelINS0_14default_configENS1_20scan_config_selectorIsEEZZNS1_9scan_implILNS1_25lookback_scan_determinismE0ELb1ELb1ES3_N6thrust23THRUST_200600_302600_NS6detail15normal_iteratorINS9_10device_ptrIsEEEENS9_16discard_iteratorINS9_11use_defaultEEEsNS9_4plusIvEEsEEDaPvRmT3_T4_T5_mT6_P12ihipStream_tbENKUlT_T0_E_clISt17integral_constantIbLb0EESX_EEDaSS_ST_EUlSS_E0_NS1_11comp_targetILNS1_3genE8ELNS1_11target_archE1030ELNS1_3gpuE2ELNS1_3repE0EEENS1_30default_config_static_selectorELNS0_4arch9wavefront6targetE1EEEvT1_
		.amdhsa_group_segment_fixed_size 0
		.amdhsa_private_segment_fixed_size 0
		.amdhsa_kernarg_size 40
		.amdhsa_user_sgpr_count 6
		.amdhsa_user_sgpr_private_segment_buffer 1
		.amdhsa_user_sgpr_dispatch_ptr 0
		.amdhsa_user_sgpr_queue_ptr 0
		.amdhsa_user_sgpr_kernarg_segment_ptr 1
		.amdhsa_user_sgpr_dispatch_id 0
		.amdhsa_user_sgpr_flat_scratch_init 0
		.amdhsa_user_sgpr_kernarg_preload_length 0
		.amdhsa_user_sgpr_kernarg_preload_offset 0
		.amdhsa_user_sgpr_private_segment_size 0
		.amdhsa_uses_dynamic_stack 0
		.amdhsa_system_sgpr_private_segment_wavefront_offset 0
		.amdhsa_system_sgpr_workgroup_id_x 1
		.amdhsa_system_sgpr_workgroup_id_y 0
		.amdhsa_system_sgpr_workgroup_id_z 0
		.amdhsa_system_sgpr_workgroup_info 0
		.amdhsa_system_vgpr_workitem_id 0
		.amdhsa_next_free_vgpr 1
		.amdhsa_next_free_sgpr 0
		.amdhsa_accum_offset 4
		.amdhsa_reserve_vcc 0
		.amdhsa_reserve_flat_scratch 0
		.amdhsa_float_round_mode_32 0
		.amdhsa_float_round_mode_16_64 0
		.amdhsa_float_denorm_mode_32 3
		.amdhsa_float_denorm_mode_16_64 3
		.amdhsa_dx10_clamp 1
		.amdhsa_ieee_mode 1
		.amdhsa_fp16_overflow 0
		.amdhsa_tg_split 0
		.amdhsa_exception_fp_ieee_invalid_op 0
		.amdhsa_exception_fp_denorm_src 0
		.amdhsa_exception_fp_ieee_div_zero 0
		.amdhsa_exception_fp_ieee_overflow 0
		.amdhsa_exception_fp_ieee_underflow 0
		.amdhsa_exception_fp_ieee_inexact 0
		.amdhsa_exception_int_div_zero 0
	.end_amdhsa_kernel
	.section	.text._ZN7rocprim17ROCPRIM_400000_NS6detail17trampoline_kernelINS0_14default_configENS1_20scan_config_selectorIsEEZZNS1_9scan_implILNS1_25lookback_scan_determinismE0ELb1ELb1ES3_N6thrust23THRUST_200600_302600_NS6detail15normal_iteratorINS9_10device_ptrIsEEEENS9_16discard_iteratorINS9_11use_defaultEEEsNS9_4plusIvEEsEEDaPvRmT3_T4_T5_mT6_P12ihipStream_tbENKUlT_T0_E_clISt17integral_constantIbLb0EESX_EEDaSS_ST_EUlSS_E0_NS1_11comp_targetILNS1_3genE8ELNS1_11target_archE1030ELNS1_3gpuE2ELNS1_3repE0EEENS1_30default_config_static_selectorELNS0_4arch9wavefront6targetE1EEEvT1_,"axG",@progbits,_ZN7rocprim17ROCPRIM_400000_NS6detail17trampoline_kernelINS0_14default_configENS1_20scan_config_selectorIsEEZZNS1_9scan_implILNS1_25lookback_scan_determinismE0ELb1ELb1ES3_N6thrust23THRUST_200600_302600_NS6detail15normal_iteratorINS9_10device_ptrIsEEEENS9_16discard_iteratorINS9_11use_defaultEEEsNS9_4plusIvEEsEEDaPvRmT3_T4_T5_mT6_P12ihipStream_tbENKUlT_T0_E_clISt17integral_constantIbLb0EESX_EEDaSS_ST_EUlSS_E0_NS1_11comp_targetILNS1_3genE8ELNS1_11target_archE1030ELNS1_3gpuE2ELNS1_3repE0EEENS1_30default_config_static_selectorELNS0_4arch9wavefront6targetE1EEEvT1_,comdat
.Lfunc_end5959:
	.size	_ZN7rocprim17ROCPRIM_400000_NS6detail17trampoline_kernelINS0_14default_configENS1_20scan_config_selectorIsEEZZNS1_9scan_implILNS1_25lookback_scan_determinismE0ELb1ELb1ES3_N6thrust23THRUST_200600_302600_NS6detail15normal_iteratorINS9_10device_ptrIsEEEENS9_16discard_iteratorINS9_11use_defaultEEEsNS9_4plusIvEEsEEDaPvRmT3_T4_T5_mT6_P12ihipStream_tbENKUlT_T0_E_clISt17integral_constantIbLb0EESX_EEDaSS_ST_EUlSS_E0_NS1_11comp_targetILNS1_3genE8ELNS1_11target_archE1030ELNS1_3gpuE2ELNS1_3repE0EEENS1_30default_config_static_selectorELNS0_4arch9wavefront6targetE1EEEvT1_, .Lfunc_end5959-_ZN7rocprim17ROCPRIM_400000_NS6detail17trampoline_kernelINS0_14default_configENS1_20scan_config_selectorIsEEZZNS1_9scan_implILNS1_25lookback_scan_determinismE0ELb1ELb1ES3_N6thrust23THRUST_200600_302600_NS6detail15normal_iteratorINS9_10device_ptrIsEEEENS9_16discard_iteratorINS9_11use_defaultEEEsNS9_4plusIvEEsEEDaPvRmT3_T4_T5_mT6_P12ihipStream_tbENKUlT_T0_E_clISt17integral_constantIbLb0EESX_EEDaSS_ST_EUlSS_E0_NS1_11comp_targetILNS1_3genE8ELNS1_11target_archE1030ELNS1_3gpuE2ELNS1_3repE0EEENS1_30default_config_static_selectorELNS0_4arch9wavefront6targetE1EEEvT1_
                                        ; -- End function
	.section	.AMDGPU.csdata,"",@progbits
; Kernel info:
; codeLenInByte = 0
; NumSgprs: 4
; NumVgprs: 0
; NumAgprs: 0
; TotalNumVgprs: 0
; ScratchSize: 0
; MemoryBound: 0
; FloatMode: 240
; IeeeMode: 1
; LDSByteSize: 0 bytes/workgroup (compile time only)
; SGPRBlocks: 0
; VGPRBlocks: 0
; NumSGPRsForWavesPerEU: 4
; NumVGPRsForWavesPerEU: 1
; AccumOffset: 4
; Occupancy: 8
; WaveLimiterHint : 0
; COMPUTE_PGM_RSRC2:SCRATCH_EN: 0
; COMPUTE_PGM_RSRC2:USER_SGPR: 6
; COMPUTE_PGM_RSRC2:TRAP_HANDLER: 0
; COMPUTE_PGM_RSRC2:TGID_X_EN: 1
; COMPUTE_PGM_RSRC2:TGID_Y_EN: 0
; COMPUTE_PGM_RSRC2:TGID_Z_EN: 0
; COMPUTE_PGM_RSRC2:TIDIG_COMP_CNT: 0
; COMPUTE_PGM_RSRC3_GFX90A:ACCUM_OFFSET: 0
; COMPUTE_PGM_RSRC3_GFX90A:TG_SPLIT: 0
	.section	.text._ZN7rocprim17ROCPRIM_400000_NS6detail17trampoline_kernelINS0_14default_configENS1_20scan_config_selectorIsEEZZNS1_9scan_implILNS1_25lookback_scan_determinismE0ELb1ELb1ES3_N6thrust23THRUST_200600_302600_NS6detail15normal_iteratorINS9_10device_ptrIsEEEENS9_16discard_iteratorINS9_11use_defaultEEEsNS9_4plusIvEEsEEDaPvRmT3_T4_T5_mT6_P12ihipStream_tbENKUlT_T0_E_clISt17integral_constantIbLb1EESX_EEDaSS_ST_EUlSS_E_NS1_11comp_targetILNS1_3genE0ELNS1_11target_archE4294967295ELNS1_3gpuE0ELNS1_3repE0EEENS1_30default_config_static_selectorELNS0_4arch9wavefront6targetE1EEEvT1_,"axG",@progbits,_ZN7rocprim17ROCPRIM_400000_NS6detail17trampoline_kernelINS0_14default_configENS1_20scan_config_selectorIsEEZZNS1_9scan_implILNS1_25lookback_scan_determinismE0ELb1ELb1ES3_N6thrust23THRUST_200600_302600_NS6detail15normal_iteratorINS9_10device_ptrIsEEEENS9_16discard_iteratorINS9_11use_defaultEEEsNS9_4plusIvEEsEEDaPvRmT3_T4_T5_mT6_P12ihipStream_tbENKUlT_T0_E_clISt17integral_constantIbLb1EESX_EEDaSS_ST_EUlSS_E_NS1_11comp_targetILNS1_3genE0ELNS1_11target_archE4294967295ELNS1_3gpuE0ELNS1_3repE0EEENS1_30default_config_static_selectorELNS0_4arch9wavefront6targetE1EEEvT1_,comdat
	.protected	_ZN7rocprim17ROCPRIM_400000_NS6detail17trampoline_kernelINS0_14default_configENS1_20scan_config_selectorIsEEZZNS1_9scan_implILNS1_25lookback_scan_determinismE0ELb1ELb1ES3_N6thrust23THRUST_200600_302600_NS6detail15normal_iteratorINS9_10device_ptrIsEEEENS9_16discard_iteratorINS9_11use_defaultEEEsNS9_4plusIvEEsEEDaPvRmT3_T4_T5_mT6_P12ihipStream_tbENKUlT_T0_E_clISt17integral_constantIbLb1EESX_EEDaSS_ST_EUlSS_E_NS1_11comp_targetILNS1_3genE0ELNS1_11target_archE4294967295ELNS1_3gpuE0ELNS1_3repE0EEENS1_30default_config_static_selectorELNS0_4arch9wavefront6targetE1EEEvT1_ ; -- Begin function _ZN7rocprim17ROCPRIM_400000_NS6detail17trampoline_kernelINS0_14default_configENS1_20scan_config_selectorIsEEZZNS1_9scan_implILNS1_25lookback_scan_determinismE0ELb1ELb1ES3_N6thrust23THRUST_200600_302600_NS6detail15normal_iteratorINS9_10device_ptrIsEEEENS9_16discard_iteratorINS9_11use_defaultEEEsNS9_4plusIvEEsEEDaPvRmT3_T4_T5_mT6_P12ihipStream_tbENKUlT_T0_E_clISt17integral_constantIbLb1EESX_EEDaSS_ST_EUlSS_E_NS1_11comp_targetILNS1_3genE0ELNS1_11target_archE4294967295ELNS1_3gpuE0ELNS1_3repE0EEENS1_30default_config_static_selectorELNS0_4arch9wavefront6targetE1EEEvT1_
	.globl	_ZN7rocprim17ROCPRIM_400000_NS6detail17trampoline_kernelINS0_14default_configENS1_20scan_config_selectorIsEEZZNS1_9scan_implILNS1_25lookback_scan_determinismE0ELb1ELb1ES3_N6thrust23THRUST_200600_302600_NS6detail15normal_iteratorINS9_10device_ptrIsEEEENS9_16discard_iteratorINS9_11use_defaultEEEsNS9_4plusIvEEsEEDaPvRmT3_T4_T5_mT6_P12ihipStream_tbENKUlT_T0_E_clISt17integral_constantIbLb1EESX_EEDaSS_ST_EUlSS_E_NS1_11comp_targetILNS1_3genE0ELNS1_11target_archE4294967295ELNS1_3gpuE0ELNS1_3repE0EEENS1_30default_config_static_selectorELNS0_4arch9wavefront6targetE1EEEvT1_
	.p2align	8
	.type	_ZN7rocprim17ROCPRIM_400000_NS6detail17trampoline_kernelINS0_14default_configENS1_20scan_config_selectorIsEEZZNS1_9scan_implILNS1_25lookback_scan_determinismE0ELb1ELb1ES3_N6thrust23THRUST_200600_302600_NS6detail15normal_iteratorINS9_10device_ptrIsEEEENS9_16discard_iteratorINS9_11use_defaultEEEsNS9_4plusIvEEsEEDaPvRmT3_T4_T5_mT6_P12ihipStream_tbENKUlT_T0_E_clISt17integral_constantIbLb1EESX_EEDaSS_ST_EUlSS_E_NS1_11comp_targetILNS1_3genE0ELNS1_11target_archE4294967295ELNS1_3gpuE0ELNS1_3repE0EEENS1_30default_config_static_selectorELNS0_4arch9wavefront6targetE1EEEvT1_,@function
_ZN7rocprim17ROCPRIM_400000_NS6detail17trampoline_kernelINS0_14default_configENS1_20scan_config_selectorIsEEZZNS1_9scan_implILNS1_25lookback_scan_determinismE0ELb1ELb1ES3_N6thrust23THRUST_200600_302600_NS6detail15normal_iteratorINS9_10device_ptrIsEEEENS9_16discard_iteratorINS9_11use_defaultEEEsNS9_4plusIvEEsEEDaPvRmT3_T4_T5_mT6_P12ihipStream_tbENKUlT_T0_E_clISt17integral_constantIbLb1EESX_EEDaSS_ST_EUlSS_E_NS1_11comp_targetILNS1_3genE0ELNS1_11target_archE4294967295ELNS1_3gpuE0ELNS1_3repE0EEENS1_30default_config_static_selectorELNS0_4arch9wavefront6targetE1EEEvT1_: ; @_ZN7rocprim17ROCPRIM_400000_NS6detail17trampoline_kernelINS0_14default_configENS1_20scan_config_selectorIsEEZZNS1_9scan_implILNS1_25lookback_scan_determinismE0ELb1ELb1ES3_N6thrust23THRUST_200600_302600_NS6detail15normal_iteratorINS9_10device_ptrIsEEEENS9_16discard_iteratorINS9_11use_defaultEEEsNS9_4plusIvEEsEEDaPvRmT3_T4_T5_mT6_P12ihipStream_tbENKUlT_T0_E_clISt17integral_constantIbLb1EESX_EEDaSS_ST_EUlSS_E_NS1_11comp_targetILNS1_3genE0ELNS1_11target_archE4294967295ELNS1_3gpuE0ELNS1_3repE0EEENS1_30default_config_static_selectorELNS0_4arch9wavefront6targetE1EEEvT1_
; %bb.0:
	.section	.rodata,"a",@progbits
	.p2align	6, 0x0
	.amdhsa_kernel _ZN7rocprim17ROCPRIM_400000_NS6detail17trampoline_kernelINS0_14default_configENS1_20scan_config_selectorIsEEZZNS1_9scan_implILNS1_25lookback_scan_determinismE0ELb1ELb1ES3_N6thrust23THRUST_200600_302600_NS6detail15normal_iteratorINS9_10device_ptrIsEEEENS9_16discard_iteratorINS9_11use_defaultEEEsNS9_4plusIvEEsEEDaPvRmT3_T4_T5_mT6_P12ihipStream_tbENKUlT_T0_E_clISt17integral_constantIbLb1EESX_EEDaSS_ST_EUlSS_E_NS1_11comp_targetILNS1_3genE0ELNS1_11target_archE4294967295ELNS1_3gpuE0ELNS1_3repE0EEENS1_30default_config_static_selectorELNS0_4arch9wavefront6targetE1EEEvT1_
		.amdhsa_group_segment_fixed_size 0
		.amdhsa_private_segment_fixed_size 0
		.amdhsa_kernarg_size 104
		.amdhsa_user_sgpr_count 6
		.amdhsa_user_sgpr_private_segment_buffer 1
		.amdhsa_user_sgpr_dispatch_ptr 0
		.amdhsa_user_sgpr_queue_ptr 0
		.amdhsa_user_sgpr_kernarg_segment_ptr 1
		.amdhsa_user_sgpr_dispatch_id 0
		.amdhsa_user_sgpr_flat_scratch_init 0
		.amdhsa_user_sgpr_kernarg_preload_length 0
		.amdhsa_user_sgpr_kernarg_preload_offset 0
		.amdhsa_user_sgpr_private_segment_size 0
		.amdhsa_uses_dynamic_stack 0
		.amdhsa_system_sgpr_private_segment_wavefront_offset 0
		.amdhsa_system_sgpr_workgroup_id_x 1
		.amdhsa_system_sgpr_workgroup_id_y 0
		.amdhsa_system_sgpr_workgroup_id_z 0
		.amdhsa_system_sgpr_workgroup_info 0
		.amdhsa_system_vgpr_workitem_id 0
		.amdhsa_next_free_vgpr 1
		.amdhsa_next_free_sgpr 0
		.amdhsa_accum_offset 4
		.amdhsa_reserve_vcc 0
		.amdhsa_reserve_flat_scratch 0
		.amdhsa_float_round_mode_32 0
		.amdhsa_float_round_mode_16_64 0
		.amdhsa_float_denorm_mode_32 3
		.amdhsa_float_denorm_mode_16_64 3
		.amdhsa_dx10_clamp 1
		.amdhsa_ieee_mode 1
		.amdhsa_fp16_overflow 0
		.amdhsa_tg_split 0
		.amdhsa_exception_fp_ieee_invalid_op 0
		.amdhsa_exception_fp_denorm_src 0
		.amdhsa_exception_fp_ieee_div_zero 0
		.amdhsa_exception_fp_ieee_overflow 0
		.amdhsa_exception_fp_ieee_underflow 0
		.amdhsa_exception_fp_ieee_inexact 0
		.amdhsa_exception_int_div_zero 0
	.end_amdhsa_kernel
	.section	.text._ZN7rocprim17ROCPRIM_400000_NS6detail17trampoline_kernelINS0_14default_configENS1_20scan_config_selectorIsEEZZNS1_9scan_implILNS1_25lookback_scan_determinismE0ELb1ELb1ES3_N6thrust23THRUST_200600_302600_NS6detail15normal_iteratorINS9_10device_ptrIsEEEENS9_16discard_iteratorINS9_11use_defaultEEEsNS9_4plusIvEEsEEDaPvRmT3_T4_T5_mT6_P12ihipStream_tbENKUlT_T0_E_clISt17integral_constantIbLb1EESX_EEDaSS_ST_EUlSS_E_NS1_11comp_targetILNS1_3genE0ELNS1_11target_archE4294967295ELNS1_3gpuE0ELNS1_3repE0EEENS1_30default_config_static_selectorELNS0_4arch9wavefront6targetE1EEEvT1_,"axG",@progbits,_ZN7rocprim17ROCPRIM_400000_NS6detail17trampoline_kernelINS0_14default_configENS1_20scan_config_selectorIsEEZZNS1_9scan_implILNS1_25lookback_scan_determinismE0ELb1ELb1ES3_N6thrust23THRUST_200600_302600_NS6detail15normal_iteratorINS9_10device_ptrIsEEEENS9_16discard_iteratorINS9_11use_defaultEEEsNS9_4plusIvEEsEEDaPvRmT3_T4_T5_mT6_P12ihipStream_tbENKUlT_T0_E_clISt17integral_constantIbLb1EESX_EEDaSS_ST_EUlSS_E_NS1_11comp_targetILNS1_3genE0ELNS1_11target_archE4294967295ELNS1_3gpuE0ELNS1_3repE0EEENS1_30default_config_static_selectorELNS0_4arch9wavefront6targetE1EEEvT1_,comdat
.Lfunc_end5960:
	.size	_ZN7rocprim17ROCPRIM_400000_NS6detail17trampoline_kernelINS0_14default_configENS1_20scan_config_selectorIsEEZZNS1_9scan_implILNS1_25lookback_scan_determinismE0ELb1ELb1ES3_N6thrust23THRUST_200600_302600_NS6detail15normal_iteratorINS9_10device_ptrIsEEEENS9_16discard_iteratorINS9_11use_defaultEEEsNS9_4plusIvEEsEEDaPvRmT3_T4_T5_mT6_P12ihipStream_tbENKUlT_T0_E_clISt17integral_constantIbLb1EESX_EEDaSS_ST_EUlSS_E_NS1_11comp_targetILNS1_3genE0ELNS1_11target_archE4294967295ELNS1_3gpuE0ELNS1_3repE0EEENS1_30default_config_static_selectorELNS0_4arch9wavefront6targetE1EEEvT1_, .Lfunc_end5960-_ZN7rocprim17ROCPRIM_400000_NS6detail17trampoline_kernelINS0_14default_configENS1_20scan_config_selectorIsEEZZNS1_9scan_implILNS1_25lookback_scan_determinismE0ELb1ELb1ES3_N6thrust23THRUST_200600_302600_NS6detail15normal_iteratorINS9_10device_ptrIsEEEENS9_16discard_iteratorINS9_11use_defaultEEEsNS9_4plusIvEEsEEDaPvRmT3_T4_T5_mT6_P12ihipStream_tbENKUlT_T0_E_clISt17integral_constantIbLb1EESX_EEDaSS_ST_EUlSS_E_NS1_11comp_targetILNS1_3genE0ELNS1_11target_archE4294967295ELNS1_3gpuE0ELNS1_3repE0EEENS1_30default_config_static_selectorELNS0_4arch9wavefront6targetE1EEEvT1_
                                        ; -- End function
	.section	.AMDGPU.csdata,"",@progbits
; Kernel info:
; codeLenInByte = 0
; NumSgprs: 4
; NumVgprs: 0
; NumAgprs: 0
; TotalNumVgprs: 0
; ScratchSize: 0
; MemoryBound: 0
; FloatMode: 240
; IeeeMode: 1
; LDSByteSize: 0 bytes/workgroup (compile time only)
; SGPRBlocks: 0
; VGPRBlocks: 0
; NumSGPRsForWavesPerEU: 4
; NumVGPRsForWavesPerEU: 1
; AccumOffset: 4
; Occupancy: 8
; WaveLimiterHint : 0
; COMPUTE_PGM_RSRC2:SCRATCH_EN: 0
; COMPUTE_PGM_RSRC2:USER_SGPR: 6
; COMPUTE_PGM_RSRC2:TRAP_HANDLER: 0
; COMPUTE_PGM_RSRC2:TGID_X_EN: 1
; COMPUTE_PGM_RSRC2:TGID_Y_EN: 0
; COMPUTE_PGM_RSRC2:TGID_Z_EN: 0
; COMPUTE_PGM_RSRC2:TIDIG_COMP_CNT: 0
; COMPUTE_PGM_RSRC3_GFX90A:ACCUM_OFFSET: 0
; COMPUTE_PGM_RSRC3_GFX90A:TG_SPLIT: 0
	.section	.text._ZN7rocprim17ROCPRIM_400000_NS6detail17trampoline_kernelINS0_14default_configENS1_20scan_config_selectorIsEEZZNS1_9scan_implILNS1_25lookback_scan_determinismE0ELb1ELb1ES3_N6thrust23THRUST_200600_302600_NS6detail15normal_iteratorINS9_10device_ptrIsEEEENS9_16discard_iteratorINS9_11use_defaultEEEsNS9_4plusIvEEsEEDaPvRmT3_T4_T5_mT6_P12ihipStream_tbENKUlT_T0_E_clISt17integral_constantIbLb1EESX_EEDaSS_ST_EUlSS_E_NS1_11comp_targetILNS1_3genE5ELNS1_11target_archE942ELNS1_3gpuE9ELNS1_3repE0EEENS1_30default_config_static_selectorELNS0_4arch9wavefront6targetE1EEEvT1_,"axG",@progbits,_ZN7rocprim17ROCPRIM_400000_NS6detail17trampoline_kernelINS0_14default_configENS1_20scan_config_selectorIsEEZZNS1_9scan_implILNS1_25lookback_scan_determinismE0ELb1ELb1ES3_N6thrust23THRUST_200600_302600_NS6detail15normal_iteratorINS9_10device_ptrIsEEEENS9_16discard_iteratorINS9_11use_defaultEEEsNS9_4plusIvEEsEEDaPvRmT3_T4_T5_mT6_P12ihipStream_tbENKUlT_T0_E_clISt17integral_constantIbLb1EESX_EEDaSS_ST_EUlSS_E_NS1_11comp_targetILNS1_3genE5ELNS1_11target_archE942ELNS1_3gpuE9ELNS1_3repE0EEENS1_30default_config_static_selectorELNS0_4arch9wavefront6targetE1EEEvT1_,comdat
	.protected	_ZN7rocprim17ROCPRIM_400000_NS6detail17trampoline_kernelINS0_14default_configENS1_20scan_config_selectorIsEEZZNS1_9scan_implILNS1_25lookback_scan_determinismE0ELb1ELb1ES3_N6thrust23THRUST_200600_302600_NS6detail15normal_iteratorINS9_10device_ptrIsEEEENS9_16discard_iteratorINS9_11use_defaultEEEsNS9_4plusIvEEsEEDaPvRmT3_T4_T5_mT6_P12ihipStream_tbENKUlT_T0_E_clISt17integral_constantIbLb1EESX_EEDaSS_ST_EUlSS_E_NS1_11comp_targetILNS1_3genE5ELNS1_11target_archE942ELNS1_3gpuE9ELNS1_3repE0EEENS1_30default_config_static_selectorELNS0_4arch9wavefront6targetE1EEEvT1_ ; -- Begin function _ZN7rocprim17ROCPRIM_400000_NS6detail17trampoline_kernelINS0_14default_configENS1_20scan_config_selectorIsEEZZNS1_9scan_implILNS1_25lookback_scan_determinismE0ELb1ELb1ES3_N6thrust23THRUST_200600_302600_NS6detail15normal_iteratorINS9_10device_ptrIsEEEENS9_16discard_iteratorINS9_11use_defaultEEEsNS9_4plusIvEEsEEDaPvRmT3_T4_T5_mT6_P12ihipStream_tbENKUlT_T0_E_clISt17integral_constantIbLb1EESX_EEDaSS_ST_EUlSS_E_NS1_11comp_targetILNS1_3genE5ELNS1_11target_archE942ELNS1_3gpuE9ELNS1_3repE0EEENS1_30default_config_static_selectorELNS0_4arch9wavefront6targetE1EEEvT1_
	.globl	_ZN7rocprim17ROCPRIM_400000_NS6detail17trampoline_kernelINS0_14default_configENS1_20scan_config_selectorIsEEZZNS1_9scan_implILNS1_25lookback_scan_determinismE0ELb1ELb1ES3_N6thrust23THRUST_200600_302600_NS6detail15normal_iteratorINS9_10device_ptrIsEEEENS9_16discard_iteratorINS9_11use_defaultEEEsNS9_4plusIvEEsEEDaPvRmT3_T4_T5_mT6_P12ihipStream_tbENKUlT_T0_E_clISt17integral_constantIbLb1EESX_EEDaSS_ST_EUlSS_E_NS1_11comp_targetILNS1_3genE5ELNS1_11target_archE942ELNS1_3gpuE9ELNS1_3repE0EEENS1_30default_config_static_selectorELNS0_4arch9wavefront6targetE1EEEvT1_
	.p2align	8
	.type	_ZN7rocprim17ROCPRIM_400000_NS6detail17trampoline_kernelINS0_14default_configENS1_20scan_config_selectorIsEEZZNS1_9scan_implILNS1_25lookback_scan_determinismE0ELb1ELb1ES3_N6thrust23THRUST_200600_302600_NS6detail15normal_iteratorINS9_10device_ptrIsEEEENS9_16discard_iteratorINS9_11use_defaultEEEsNS9_4plusIvEEsEEDaPvRmT3_T4_T5_mT6_P12ihipStream_tbENKUlT_T0_E_clISt17integral_constantIbLb1EESX_EEDaSS_ST_EUlSS_E_NS1_11comp_targetILNS1_3genE5ELNS1_11target_archE942ELNS1_3gpuE9ELNS1_3repE0EEENS1_30default_config_static_selectorELNS0_4arch9wavefront6targetE1EEEvT1_,@function
_ZN7rocprim17ROCPRIM_400000_NS6detail17trampoline_kernelINS0_14default_configENS1_20scan_config_selectorIsEEZZNS1_9scan_implILNS1_25lookback_scan_determinismE0ELb1ELb1ES3_N6thrust23THRUST_200600_302600_NS6detail15normal_iteratorINS9_10device_ptrIsEEEENS9_16discard_iteratorINS9_11use_defaultEEEsNS9_4plusIvEEsEEDaPvRmT3_T4_T5_mT6_P12ihipStream_tbENKUlT_T0_E_clISt17integral_constantIbLb1EESX_EEDaSS_ST_EUlSS_E_NS1_11comp_targetILNS1_3genE5ELNS1_11target_archE942ELNS1_3gpuE9ELNS1_3repE0EEENS1_30default_config_static_selectorELNS0_4arch9wavefront6targetE1EEEvT1_: ; @_ZN7rocprim17ROCPRIM_400000_NS6detail17trampoline_kernelINS0_14default_configENS1_20scan_config_selectorIsEEZZNS1_9scan_implILNS1_25lookback_scan_determinismE0ELb1ELb1ES3_N6thrust23THRUST_200600_302600_NS6detail15normal_iteratorINS9_10device_ptrIsEEEENS9_16discard_iteratorINS9_11use_defaultEEEsNS9_4plusIvEEsEEDaPvRmT3_T4_T5_mT6_P12ihipStream_tbENKUlT_T0_E_clISt17integral_constantIbLb1EESX_EEDaSS_ST_EUlSS_E_NS1_11comp_targetILNS1_3genE5ELNS1_11target_archE942ELNS1_3gpuE9ELNS1_3repE0EEENS1_30default_config_static_selectorELNS0_4arch9wavefront6targetE1EEEvT1_
; %bb.0:
	.section	.rodata,"a",@progbits
	.p2align	6, 0x0
	.amdhsa_kernel _ZN7rocprim17ROCPRIM_400000_NS6detail17trampoline_kernelINS0_14default_configENS1_20scan_config_selectorIsEEZZNS1_9scan_implILNS1_25lookback_scan_determinismE0ELb1ELb1ES3_N6thrust23THRUST_200600_302600_NS6detail15normal_iteratorINS9_10device_ptrIsEEEENS9_16discard_iteratorINS9_11use_defaultEEEsNS9_4plusIvEEsEEDaPvRmT3_T4_T5_mT6_P12ihipStream_tbENKUlT_T0_E_clISt17integral_constantIbLb1EESX_EEDaSS_ST_EUlSS_E_NS1_11comp_targetILNS1_3genE5ELNS1_11target_archE942ELNS1_3gpuE9ELNS1_3repE0EEENS1_30default_config_static_selectorELNS0_4arch9wavefront6targetE1EEEvT1_
		.amdhsa_group_segment_fixed_size 0
		.amdhsa_private_segment_fixed_size 0
		.amdhsa_kernarg_size 104
		.amdhsa_user_sgpr_count 6
		.amdhsa_user_sgpr_private_segment_buffer 1
		.amdhsa_user_sgpr_dispatch_ptr 0
		.amdhsa_user_sgpr_queue_ptr 0
		.amdhsa_user_sgpr_kernarg_segment_ptr 1
		.amdhsa_user_sgpr_dispatch_id 0
		.amdhsa_user_sgpr_flat_scratch_init 0
		.amdhsa_user_sgpr_kernarg_preload_length 0
		.amdhsa_user_sgpr_kernarg_preload_offset 0
		.amdhsa_user_sgpr_private_segment_size 0
		.amdhsa_uses_dynamic_stack 0
		.amdhsa_system_sgpr_private_segment_wavefront_offset 0
		.amdhsa_system_sgpr_workgroup_id_x 1
		.amdhsa_system_sgpr_workgroup_id_y 0
		.amdhsa_system_sgpr_workgroup_id_z 0
		.amdhsa_system_sgpr_workgroup_info 0
		.amdhsa_system_vgpr_workitem_id 0
		.amdhsa_next_free_vgpr 1
		.amdhsa_next_free_sgpr 0
		.amdhsa_accum_offset 4
		.amdhsa_reserve_vcc 0
		.amdhsa_reserve_flat_scratch 0
		.amdhsa_float_round_mode_32 0
		.amdhsa_float_round_mode_16_64 0
		.amdhsa_float_denorm_mode_32 3
		.amdhsa_float_denorm_mode_16_64 3
		.amdhsa_dx10_clamp 1
		.amdhsa_ieee_mode 1
		.amdhsa_fp16_overflow 0
		.amdhsa_tg_split 0
		.amdhsa_exception_fp_ieee_invalid_op 0
		.amdhsa_exception_fp_denorm_src 0
		.amdhsa_exception_fp_ieee_div_zero 0
		.amdhsa_exception_fp_ieee_overflow 0
		.amdhsa_exception_fp_ieee_underflow 0
		.amdhsa_exception_fp_ieee_inexact 0
		.amdhsa_exception_int_div_zero 0
	.end_amdhsa_kernel
	.section	.text._ZN7rocprim17ROCPRIM_400000_NS6detail17trampoline_kernelINS0_14default_configENS1_20scan_config_selectorIsEEZZNS1_9scan_implILNS1_25lookback_scan_determinismE0ELb1ELb1ES3_N6thrust23THRUST_200600_302600_NS6detail15normal_iteratorINS9_10device_ptrIsEEEENS9_16discard_iteratorINS9_11use_defaultEEEsNS9_4plusIvEEsEEDaPvRmT3_T4_T5_mT6_P12ihipStream_tbENKUlT_T0_E_clISt17integral_constantIbLb1EESX_EEDaSS_ST_EUlSS_E_NS1_11comp_targetILNS1_3genE5ELNS1_11target_archE942ELNS1_3gpuE9ELNS1_3repE0EEENS1_30default_config_static_selectorELNS0_4arch9wavefront6targetE1EEEvT1_,"axG",@progbits,_ZN7rocprim17ROCPRIM_400000_NS6detail17trampoline_kernelINS0_14default_configENS1_20scan_config_selectorIsEEZZNS1_9scan_implILNS1_25lookback_scan_determinismE0ELb1ELb1ES3_N6thrust23THRUST_200600_302600_NS6detail15normal_iteratorINS9_10device_ptrIsEEEENS9_16discard_iteratorINS9_11use_defaultEEEsNS9_4plusIvEEsEEDaPvRmT3_T4_T5_mT6_P12ihipStream_tbENKUlT_T0_E_clISt17integral_constantIbLb1EESX_EEDaSS_ST_EUlSS_E_NS1_11comp_targetILNS1_3genE5ELNS1_11target_archE942ELNS1_3gpuE9ELNS1_3repE0EEENS1_30default_config_static_selectorELNS0_4arch9wavefront6targetE1EEEvT1_,comdat
.Lfunc_end5961:
	.size	_ZN7rocprim17ROCPRIM_400000_NS6detail17trampoline_kernelINS0_14default_configENS1_20scan_config_selectorIsEEZZNS1_9scan_implILNS1_25lookback_scan_determinismE0ELb1ELb1ES3_N6thrust23THRUST_200600_302600_NS6detail15normal_iteratorINS9_10device_ptrIsEEEENS9_16discard_iteratorINS9_11use_defaultEEEsNS9_4plusIvEEsEEDaPvRmT3_T4_T5_mT6_P12ihipStream_tbENKUlT_T0_E_clISt17integral_constantIbLb1EESX_EEDaSS_ST_EUlSS_E_NS1_11comp_targetILNS1_3genE5ELNS1_11target_archE942ELNS1_3gpuE9ELNS1_3repE0EEENS1_30default_config_static_selectorELNS0_4arch9wavefront6targetE1EEEvT1_, .Lfunc_end5961-_ZN7rocprim17ROCPRIM_400000_NS6detail17trampoline_kernelINS0_14default_configENS1_20scan_config_selectorIsEEZZNS1_9scan_implILNS1_25lookback_scan_determinismE0ELb1ELb1ES3_N6thrust23THRUST_200600_302600_NS6detail15normal_iteratorINS9_10device_ptrIsEEEENS9_16discard_iteratorINS9_11use_defaultEEEsNS9_4plusIvEEsEEDaPvRmT3_T4_T5_mT6_P12ihipStream_tbENKUlT_T0_E_clISt17integral_constantIbLb1EESX_EEDaSS_ST_EUlSS_E_NS1_11comp_targetILNS1_3genE5ELNS1_11target_archE942ELNS1_3gpuE9ELNS1_3repE0EEENS1_30default_config_static_selectorELNS0_4arch9wavefront6targetE1EEEvT1_
                                        ; -- End function
	.section	.AMDGPU.csdata,"",@progbits
; Kernel info:
; codeLenInByte = 0
; NumSgprs: 4
; NumVgprs: 0
; NumAgprs: 0
; TotalNumVgprs: 0
; ScratchSize: 0
; MemoryBound: 0
; FloatMode: 240
; IeeeMode: 1
; LDSByteSize: 0 bytes/workgroup (compile time only)
; SGPRBlocks: 0
; VGPRBlocks: 0
; NumSGPRsForWavesPerEU: 4
; NumVGPRsForWavesPerEU: 1
; AccumOffset: 4
; Occupancy: 8
; WaveLimiterHint : 0
; COMPUTE_PGM_RSRC2:SCRATCH_EN: 0
; COMPUTE_PGM_RSRC2:USER_SGPR: 6
; COMPUTE_PGM_RSRC2:TRAP_HANDLER: 0
; COMPUTE_PGM_RSRC2:TGID_X_EN: 1
; COMPUTE_PGM_RSRC2:TGID_Y_EN: 0
; COMPUTE_PGM_RSRC2:TGID_Z_EN: 0
; COMPUTE_PGM_RSRC2:TIDIG_COMP_CNT: 0
; COMPUTE_PGM_RSRC3_GFX90A:ACCUM_OFFSET: 0
; COMPUTE_PGM_RSRC3_GFX90A:TG_SPLIT: 0
	.section	.text._ZN7rocprim17ROCPRIM_400000_NS6detail17trampoline_kernelINS0_14default_configENS1_20scan_config_selectorIsEEZZNS1_9scan_implILNS1_25lookback_scan_determinismE0ELb1ELb1ES3_N6thrust23THRUST_200600_302600_NS6detail15normal_iteratorINS9_10device_ptrIsEEEENS9_16discard_iteratorINS9_11use_defaultEEEsNS9_4plusIvEEsEEDaPvRmT3_T4_T5_mT6_P12ihipStream_tbENKUlT_T0_E_clISt17integral_constantIbLb1EESX_EEDaSS_ST_EUlSS_E_NS1_11comp_targetILNS1_3genE4ELNS1_11target_archE910ELNS1_3gpuE8ELNS1_3repE0EEENS1_30default_config_static_selectorELNS0_4arch9wavefront6targetE1EEEvT1_,"axG",@progbits,_ZN7rocprim17ROCPRIM_400000_NS6detail17trampoline_kernelINS0_14default_configENS1_20scan_config_selectorIsEEZZNS1_9scan_implILNS1_25lookback_scan_determinismE0ELb1ELb1ES3_N6thrust23THRUST_200600_302600_NS6detail15normal_iteratorINS9_10device_ptrIsEEEENS9_16discard_iteratorINS9_11use_defaultEEEsNS9_4plusIvEEsEEDaPvRmT3_T4_T5_mT6_P12ihipStream_tbENKUlT_T0_E_clISt17integral_constantIbLb1EESX_EEDaSS_ST_EUlSS_E_NS1_11comp_targetILNS1_3genE4ELNS1_11target_archE910ELNS1_3gpuE8ELNS1_3repE0EEENS1_30default_config_static_selectorELNS0_4arch9wavefront6targetE1EEEvT1_,comdat
	.protected	_ZN7rocprim17ROCPRIM_400000_NS6detail17trampoline_kernelINS0_14default_configENS1_20scan_config_selectorIsEEZZNS1_9scan_implILNS1_25lookback_scan_determinismE0ELb1ELb1ES3_N6thrust23THRUST_200600_302600_NS6detail15normal_iteratorINS9_10device_ptrIsEEEENS9_16discard_iteratorINS9_11use_defaultEEEsNS9_4plusIvEEsEEDaPvRmT3_T4_T5_mT6_P12ihipStream_tbENKUlT_T0_E_clISt17integral_constantIbLb1EESX_EEDaSS_ST_EUlSS_E_NS1_11comp_targetILNS1_3genE4ELNS1_11target_archE910ELNS1_3gpuE8ELNS1_3repE0EEENS1_30default_config_static_selectorELNS0_4arch9wavefront6targetE1EEEvT1_ ; -- Begin function _ZN7rocprim17ROCPRIM_400000_NS6detail17trampoline_kernelINS0_14default_configENS1_20scan_config_selectorIsEEZZNS1_9scan_implILNS1_25lookback_scan_determinismE0ELb1ELb1ES3_N6thrust23THRUST_200600_302600_NS6detail15normal_iteratorINS9_10device_ptrIsEEEENS9_16discard_iteratorINS9_11use_defaultEEEsNS9_4plusIvEEsEEDaPvRmT3_T4_T5_mT6_P12ihipStream_tbENKUlT_T0_E_clISt17integral_constantIbLb1EESX_EEDaSS_ST_EUlSS_E_NS1_11comp_targetILNS1_3genE4ELNS1_11target_archE910ELNS1_3gpuE8ELNS1_3repE0EEENS1_30default_config_static_selectorELNS0_4arch9wavefront6targetE1EEEvT1_
	.globl	_ZN7rocprim17ROCPRIM_400000_NS6detail17trampoline_kernelINS0_14default_configENS1_20scan_config_selectorIsEEZZNS1_9scan_implILNS1_25lookback_scan_determinismE0ELb1ELb1ES3_N6thrust23THRUST_200600_302600_NS6detail15normal_iteratorINS9_10device_ptrIsEEEENS9_16discard_iteratorINS9_11use_defaultEEEsNS9_4plusIvEEsEEDaPvRmT3_T4_T5_mT6_P12ihipStream_tbENKUlT_T0_E_clISt17integral_constantIbLb1EESX_EEDaSS_ST_EUlSS_E_NS1_11comp_targetILNS1_3genE4ELNS1_11target_archE910ELNS1_3gpuE8ELNS1_3repE0EEENS1_30default_config_static_selectorELNS0_4arch9wavefront6targetE1EEEvT1_
	.p2align	8
	.type	_ZN7rocprim17ROCPRIM_400000_NS6detail17trampoline_kernelINS0_14default_configENS1_20scan_config_selectorIsEEZZNS1_9scan_implILNS1_25lookback_scan_determinismE0ELb1ELb1ES3_N6thrust23THRUST_200600_302600_NS6detail15normal_iteratorINS9_10device_ptrIsEEEENS9_16discard_iteratorINS9_11use_defaultEEEsNS9_4plusIvEEsEEDaPvRmT3_T4_T5_mT6_P12ihipStream_tbENKUlT_T0_E_clISt17integral_constantIbLb1EESX_EEDaSS_ST_EUlSS_E_NS1_11comp_targetILNS1_3genE4ELNS1_11target_archE910ELNS1_3gpuE8ELNS1_3repE0EEENS1_30default_config_static_selectorELNS0_4arch9wavefront6targetE1EEEvT1_,@function
_ZN7rocprim17ROCPRIM_400000_NS6detail17trampoline_kernelINS0_14default_configENS1_20scan_config_selectorIsEEZZNS1_9scan_implILNS1_25lookback_scan_determinismE0ELb1ELb1ES3_N6thrust23THRUST_200600_302600_NS6detail15normal_iteratorINS9_10device_ptrIsEEEENS9_16discard_iteratorINS9_11use_defaultEEEsNS9_4plusIvEEsEEDaPvRmT3_T4_T5_mT6_P12ihipStream_tbENKUlT_T0_E_clISt17integral_constantIbLb1EESX_EEDaSS_ST_EUlSS_E_NS1_11comp_targetILNS1_3genE4ELNS1_11target_archE910ELNS1_3gpuE8ELNS1_3repE0EEENS1_30default_config_static_selectorELNS0_4arch9wavefront6targetE1EEEvT1_: ; @_ZN7rocprim17ROCPRIM_400000_NS6detail17trampoline_kernelINS0_14default_configENS1_20scan_config_selectorIsEEZZNS1_9scan_implILNS1_25lookback_scan_determinismE0ELb1ELb1ES3_N6thrust23THRUST_200600_302600_NS6detail15normal_iteratorINS9_10device_ptrIsEEEENS9_16discard_iteratorINS9_11use_defaultEEEsNS9_4plusIvEEsEEDaPvRmT3_T4_T5_mT6_P12ihipStream_tbENKUlT_T0_E_clISt17integral_constantIbLb1EESX_EEDaSS_ST_EUlSS_E_NS1_11comp_targetILNS1_3genE4ELNS1_11target_archE910ELNS1_3gpuE8ELNS1_3repE0EEENS1_30default_config_static_selectorELNS0_4arch9wavefront6targetE1EEEvT1_
; %bb.0:
	s_load_dwordx2 s[2:3], s[4:5], 0x20
	s_load_dword s24, s[4:5], 0x28
	s_load_dwordx2 s[20:21], s[4:5], 0x30
	v_cmp_eq_u32_e64 s[0:1], 0, v0
	s_and_saveexec_b64 s[6:7], s[0:1]
	s_cbranch_execz .LBB5962_4
; %bb.1:
	s_mov_b64 s[10:11], exec
	v_mbcnt_lo_u32_b32 v1, s10, 0
	v_mbcnt_hi_u32_b32 v1, s11, v1
	v_cmp_eq_u32_e32 vcc, 0, v1
                                        ; implicit-def: $vgpr2
	s_and_saveexec_b64 s[8:9], vcc
	s_cbranch_execz .LBB5962_3
; %bb.2:
	s_load_dwordx2 s[12:13], s[4:5], 0x60
	s_bcnt1_i32_b64 s10, s[10:11]
	v_mov_b32_e32 v2, 0
	v_mov_b32_e32 v3, s10
	s_waitcnt lgkmcnt(0)
	global_atomic_add v2, v2, v3, s[12:13] glc
.LBB5962_3:
	s_or_b64 exec, exec, s[8:9]
	s_waitcnt vmcnt(0)
	v_readfirstlane_b32 s8, v2
	v_add_u32_e32 v1, s8, v1
	v_mov_b32_e32 v2, 0
	ds_write_b32 v2, v1
.LBB5962_4:
	s_or_b64 exec, exec, s[6:7]
	v_mov_b32_e32 v3, 0
	s_load_dwordx4 s[16:19], s[4:5], 0x0
	s_load_dword s6, s[4:5], 0x38
	s_load_dwordx8 s[8:15], s[4:5], 0x40
	s_waitcnt lgkmcnt(0)
	; wave barrier
	s_waitcnt lgkmcnt(0)
	ds_read_b32 v1, v3
	s_lshl_b64 s[4:5], s[18:19], 1
	s_add_u32 s25, s16, s4
	s_movk_i32 s4, 0x600
	s_addc_u32 s26, s17, s5
	s_waitcnt lgkmcnt(0)
	v_mul_lo_u32 v2, v1, s4
	s_add_i32 s4, s6, -1
	s_mul_i32 s5, s4, 0x600
	s_sub_u32 s22, s2, s5
	v_readfirstlane_b32 s27, v1
	s_subb_u32 s23, s3, 0
	v_lshlrev_b64 v[2:3], 1, v[2:3]
	s_cmp_lg_u32 s27, s4
	v_mov_b32_e32 v1, s26
	v_add_co_u32_e32 v2, vcc, s25, v2
	s_cselect_b64 s[16:17], -1, 0
	v_addc_co_u32_e32 v3, vcc, v1, v3, vcc
	s_mov_b64 s[2:3], -1
	s_and_b64 vcc, exec, s[16:17]
	s_waitcnt lgkmcnt(0)
	; wave barrier
	s_cbranch_vccz .LBB5962_6
; %bb.5:
	v_lshlrev_b32_e32 v1, 1, v0
	v_add_co_u32_e32 v4, vcc, v2, v1
	v_addc_co_u32_e32 v5, vcc, 0, v3, vcc
	flat_load_ushort v6, v[4:5]
	flat_load_ushort v7, v[4:5] offset:128
	flat_load_ushort v8, v[4:5] offset:256
	;; [unrolled: 1-line block ×23, first 2 shown]
	s_mov_b64 s[2:3], 0
	s_waitcnt vmcnt(0) lgkmcnt(0)
	ds_write_b16 v1, v6
	ds_write_b16 v1, v7 offset:128
	ds_write_b16 v1, v8 offset:256
	ds_write_b16 v1, v9 offset:384
	ds_write_b16 v1, v10 offset:512
	ds_write_b16 v1, v11 offset:640
	ds_write_b16 v1, v12 offset:768
	ds_write_b16 v1, v13 offset:896
	ds_write_b16 v1, v14 offset:1024
	ds_write_b16 v1, v15 offset:1152
	ds_write_b16 v1, v16 offset:1280
	ds_write_b16 v1, v17 offset:1408
	ds_write_b16 v1, v18 offset:1536
	ds_write_b16 v1, v19 offset:1664
	ds_write_b16 v1, v20 offset:1792
	ds_write_b16 v1, v21 offset:1920
	ds_write_b16 v1, v22 offset:2048
	ds_write_b16 v1, v23 offset:2176
	ds_write_b16 v1, v24 offset:2304
	ds_write_b16 v1, v25 offset:2432
	ds_write_b16 v1, v26 offset:2560
	ds_write_b16 v1, v27 offset:2688
	ds_write_b16 v1, v28 offset:2816
	ds_write_b16 v1, v29 offset:2944
	s_waitcnt lgkmcnt(0)
	; wave barrier
.LBB5962_6:
	s_andn2_b64 vcc, exec, s[2:3]
	s_cbranch_vccnz .LBB5962_56
; %bb.7:
	flat_load_ushort v1, v[2:3]
	v_cmp_gt_u32_e32 vcc, s22, v0
	s_waitcnt vmcnt(0) lgkmcnt(0)
	v_mov_b32_e32 v4, v1
	s_and_saveexec_b64 s[2:3], vcc
	s_cbranch_execz .LBB5962_9
; %bb.8:
	v_lshlrev_b32_e32 v4, 1, v0
	v_add_co_u32_e32 v4, vcc, v2, v4
	v_addc_co_u32_e32 v5, vcc, 0, v3, vcc
	flat_load_ushort v4, v[4:5]
.LBB5962_9:
	s_or_b64 exec, exec, s[2:3]
	v_or_b32_e32 v5, 64, v0
	v_cmp_gt_u32_e32 vcc, s22, v5
	v_mov_b32_e32 v5, v1
	s_and_saveexec_b64 s[2:3], vcc
	s_cbranch_execz .LBB5962_11
; %bb.10:
	v_lshlrev_b32_e32 v5, 1, v0
	v_add_co_u32_e32 v6, vcc, v2, v5
	v_addc_co_u32_e32 v7, vcc, 0, v3, vcc
	flat_load_ushort v5, v[6:7] offset:128
.LBB5962_11:
	s_or_b64 exec, exec, s[2:3]
	v_or_b32_e32 v6, 0x80, v0
	v_cmp_gt_u32_e32 vcc, s22, v6
	v_mov_b32_e32 v6, v1
	s_and_saveexec_b64 s[2:3], vcc
	s_cbranch_execz .LBB5962_13
; %bb.12:
	v_lshlrev_b32_e32 v6, 1, v0
	v_add_co_u32_e32 v6, vcc, v2, v6
	v_addc_co_u32_e32 v7, vcc, 0, v3, vcc
	flat_load_ushort v6, v[6:7] offset:256
.LBB5962_13:
	;; [unrolled: 12-line block ×22, first 2 shown]
	s_or_b64 exec, exec, s[2:3]
	v_or_b32_e32 v27, 0x5c0, v0
	v_cmp_gt_u32_e32 vcc, s22, v27
	s_and_saveexec_b64 s[2:3], vcc
	s_cbranch_execz .LBB5962_55
; %bb.54:
	v_lshlrev_b32_e32 v1, 1, v0
	v_add_co_u32_e32 v2, vcc, v2, v1
	v_addc_co_u32_e32 v3, vcc, 0, v3, vcc
	flat_load_ushort v1, v[2:3] offset:2944
.LBB5962_55:
	s_or_b64 exec, exec, s[2:3]
	v_lshlrev_b32_e32 v2, 1, v0
	s_waitcnt vmcnt(0) lgkmcnt(0)
	ds_write_b16 v2, v4
	ds_write_b16 v2, v5 offset:128
	ds_write_b16 v2, v6 offset:256
	;; [unrolled: 1-line block ×23, first 2 shown]
	s_waitcnt lgkmcnt(0)
	; wave barrier
.LBB5962_56:
	v_mul_u32_u24_e32 v20, 24, v0
	v_lshlrev_b32_e32 v1, 1, v20
	s_waitcnt lgkmcnt(0)
	ds_read_b128 v[10:13], v1
	ds_read_b128 v[6:9], v1 offset:16
	ds_read_b128 v[2:5], v1 offset:32
	s_cmp_lg_u32 s27, 0
	v_mbcnt_lo_u32_b32 v21, -1, 0
	s_waitcnt lgkmcnt(2)
	v_add_u16_sdwa v14, v10, v10 dst_sel:DWORD dst_unused:UNUSED_PAD src0_sel:WORD_1 src1_sel:DWORD
	v_add_u16_e32 v22, v14, v11
	v_cmp_eq_u32_e32 vcc, 63, v0
	s_waitcnt lgkmcnt(0)
	; wave barrier
	s_waitcnt lgkmcnt(0)
	s_cbranch_scc0 .LBB5962_83
; %bb.57:
	v_add_u16_sdwa v14, v22, v11 dst_sel:DWORD dst_unused:UNUSED_PAD src0_sel:DWORD src1_sel:WORD_1
	v_add_u16_e32 v14, v14, v12
	v_add_u16_sdwa v14, v14, v12 dst_sel:DWORD dst_unused:UNUSED_PAD src0_sel:DWORD src1_sel:WORD_1
	v_add_u16_e32 v14, v14, v13
	;; [unrolled: 2-line block ×10, first 2 shown]
	v_mbcnt_hi_u32_b32 v15, -1, v21
	v_add_u16_sdwa v14, v14, v5 dst_sel:DWORD dst_unused:UNUSED_PAD src0_sel:DWORD src1_sel:WORD_1
	v_and_b32_e32 v16, 15, v15
	v_cmp_ne_u32_e64 s[2:3], 0, v16
	v_mov_b32_dpp v17, v14 row_shr:1 row_mask:0xf bank_mask:0xf
	v_cndmask_b32_e64 v17, 0, v17, s[2:3]
	v_add_u16_e32 v14, v17, v14
	v_cmp_lt_u32_e64 s[2:3], 1, v16
	s_nop 0
	v_mov_b32_dpp v17, v14 row_shr:2 row_mask:0xf bank_mask:0xf
	v_cndmask_b32_e64 v17, 0, v17, s[2:3]
	v_add_u16_e32 v14, v14, v17
	v_cmp_lt_u32_e64 s[2:3], 3, v16
	s_nop 0
	;; [unrolled: 5-line block ×3, first 2 shown]
	v_mov_b32_dpp v17, v14 row_shr:8 row_mask:0xf bank_mask:0xf
	v_cndmask_b32_e64 v16, 0, v17, s[2:3]
	v_add_u16_e32 v14, v14, v16
	v_and_b32_e32 v17, 16, v15
	v_cmp_ne_u32_e64 s[2:3], 0, v17
	v_mov_b32_dpp v16, v14 row_bcast:15 row_mask:0xf bank_mask:0xf
	v_cndmask_b32_e64 v16, 0, v16, s[2:3]
	v_add_u16_e32 v14, v14, v16
	v_cmp_lt_u32_e64 s[2:3], 31, v15
	s_nop 0
	v_mov_b32_dpp v16, v14 row_bcast:31 row_mask:0xf bank_mask:0xf
	v_cndmask_b32_e64 v16, 0, v16, s[2:3]
	v_add_u16_e32 v14, v14, v16
	s_and_saveexec_b64 s[2:3], vcc
	s_cbranch_execz .LBB5962_59
; %bb.58:
	v_mov_b32_e32 v16, 0
	ds_write_b16 v16, v14
.LBB5962_59:
	s_or_b64 exec, exec, s[2:3]
	v_add_u32_e32 v16, -1, v15
	v_and_b32_e32 v17, 64, v15
	v_cmp_lt_i32_e32 vcc, v16, v17
	v_cndmask_b32_e32 v16, v16, v15, vcc
	v_lshlrev_b32_e32 v16, 2, v16
	ds_bpermute_b32 v23, v16, v14
	v_cmp_gt_u32_e32 vcc, 64, v0
	s_waitcnt lgkmcnt(0)
	; wave barrier
	s_waitcnt lgkmcnt(0)
	s_and_saveexec_b64 s[18:19], vcc
	s_cbranch_execz .LBB5962_82
; %bb.60:
	v_mov_b32_e32 v19, 0
	ds_read_u16 v24, v19
	s_mov_b32 s7, 0
	v_cmp_eq_u32_e64 s[2:3], 0, v15
	s_and_saveexec_b64 s[4:5], s[2:3]
	s_cbranch_execz .LBB5962_62
; %bb.61:
	s_add_i32 s6, s27, 64
	s_lshl_b64 s[6:7], s[6:7], 2
	s_add_u32 s6, s20, s6
	s_waitcnt lgkmcnt(0)
	v_or_b32_e32 v14, 0x10000, v24
	s_addc_u32 s7, s21, s7
	global_store_dword v19, v14, s[6:7]
.LBB5962_62:
	s_or_b64 exec, exec, s[4:5]
	v_xad_u32 v14, v15, -1, s27
	v_add_u32_e32 v18, 64, v14
	v_lshlrev_b64 v[16:17], 2, v[18:19]
	v_mov_b32_e32 v18, s21
	v_add_co_u32_e32 v16, vcc, s20, v16
	v_addc_co_u32_e32 v17, vcc, v18, v17, vcc
	global_load_dword v18, v[16:17], off glc
	s_waitcnt vmcnt(0)
	v_lshrrev_b32_e32 v28, 16, v18
	v_cmp_eq_u16_sdwa s[6:7], v28, v19 src0_sel:BYTE_0 src1_sel:DWORD
	s_and_saveexec_b64 s[4:5], s[6:7]
	s_cbranch_execz .LBB5962_68
; %bb.63:
	s_mov_b32 s28, 1
	s_mov_b64 s[6:7], 0
	v_mov_b32_e32 v19, 0
.LBB5962_64:                            ; =>This Loop Header: Depth=1
                                        ;     Child Loop BB5962_65 Depth 2
	s_max_u32 s29, s28, 1
.LBB5962_65:                            ;   Parent Loop BB5962_64 Depth=1
                                        ; =>  This Inner Loop Header: Depth=2
	s_add_i32 s29, s29, -1
	s_cmp_eq_u32 s29, 0
	s_sleep 1
	s_cbranch_scc0 .LBB5962_65
; %bb.66:                               ;   in Loop: Header=BB5962_64 Depth=1
	global_load_dword v18, v[16:17], off glc
	s_cmp_lt_u32 s28, 32
	s_cselect_b64 s[30:31], -1, 0
	s_cmp_lg_u64 s[30:31], 0
	s_addc_u32 s28, s28, 0
	s_waitcnt vmcnt(0)
	v_lshrrev_b32_e32 v28, 16, v18
	v_cmp_ne_u16_sdwa s[30:31], v28, v19 src0_sel:BYTE_0 src1_sel:DWORD
	s_or_b64 s[6:7], s[30:31], s[6:7]
	s_andn2_b64 exec, exec, s[6:7]
	s_cbranch_execnz .LBB5962_64
; %bb.67:
	s_or_b64 exec, exec, s[6:7]
.LBB5962_68:
	s_or_b64 exec, exec, s[4:5]
	v_and_b32_e32 v26, 63, v15
	v_cmp_ne_u32_e32 vcc, 63, v26
	v_mov_b32_e32 v25, 2
	v_addc_co_u32_e32 v27, vcc, 0, v15, vcc
	v_cmp_eq_u16_sdwa s[4:5], v28, v25 src0_sel:BYTE_0 src1_sel:DWORD
	v_lshlrev_b64 v[16:17], v15, -1
	v_and_b32_e32 v30, 0xffff, v18
	v_lshlrev_b32_e32 v27, 2, v27
	v_and_b32_e32 v19, s5, v17
	ds_bpermute_b32 v31, v27, v30
	v_or_b32_e32 v19, 0x80000000, v19
	v_and_b32_e32 v29, s4, v16
	v_ffbl_b32_e32 v19, v19
	v_add_u32_e32 v19, 32, v19
	v_ffbl_b32_e32 v29, v29
	v_cmp_gt_u32_e64 s[4:5], 62, v26
	v_min_u32_e32 v19, v29, v19
	v_cndmask_b32_e64 v29, 0, 1, s[4:5]
	s_waitcnt lgkmcnt(0)
	v_add_u16_e32 v31, v31, v18
	v_cmp_lt_u32_e32 vcc, v26, v19
	v_lshlrev_b32_e32 v29, 1, v29
	v_cndmask_b32_e32 v32, v30, v31, vcc
	v_add_lshl_u32 v29, v29, v15, 2
	ds_bpermute_b32 v33, v29, v32
	v_cmp_gt_u32_e64 s[6:7], 60, v26
	v_cndmask_b32_e32 v34, v18, v31, vcc
	v_add_u32_e32 v30, 2, v26
	v_cndmask_b32_e64 v31, 0, 1, s[6:7]
	s_waitcnt lgkmcnt(0)
	v_add_u16_e32 v33, v34, v33
	v_cmp_gt_u32_e64 s[4:5], v30, v19
	v_lshlrev_b32_e32 v31, 2, v31
	v_cndmask_b32_e64 v35, v33, v32, s[4:5]
	v_add_lshl_u32 v31, v31, v15, 2
	ds_bpermute_b32 v36, v31, v35
	v_cmp_gt_u32_e64 s[6:7], 56, v26
	v_cndmask_b32_e64 v34, v33, v34, s[4:5]
	v_add_u32_e32 v32, 4, v26
	v_cndmask_b32_e64 v33, 0, 1, s[6:7]
	s_waitcnt lgkmcnt(0)
	v_add_u16_e32 v36, v34, v36
	v_cmp_gt_u32_e64 s[4:5], v32, v19
	v_lshlrev_b32_e32 v33, 3, v33
	v_cndmask_b32_e64 v35, v36, v35, s[4:5]
	v_add_lshl_u32 v33, v33, v15, 2
	ds_bpermute_b32 v37, v33, v35
	v_cndmask_b32_e64 v36, v36, v34, s[4:5]
	v_add_u32_e32 v34, 8, v26
	v_cmp_gt_u32_e64 s[4:5], v34, v19
	v_cmp_gt_u32_e64 s[6:7], 48, v26
	s_waitcnt lgkmcnt(0)
	v_add_u16_e32 v37, v36, v37
	v_cndmask_b32_e64 v38, v37, v35, s[4:5]
	v_cndmask_b32_e64 v35, 0, 1, s[6:7]
	v_lshlrev_b32_e32 v35, 4, v35
	v_add_lshl_u32 v35, v35, v15, 2
	ds_bpermute_b32 v39, v35, v38
	v_cndmask_b32_e64 v37, v37, v36, s[4:5]
	v_add_u32_e32 v36, 16, v26
	v_cmp_gt_u32_e64 s[4:5], v36, v19
	v_cmp_gt_u32_e64 s[6:7], 32, v26
	s_waitcnt lgkmcnt(0)
	v_add_u16_e32 v40, v37, v39
	v_cndmask_b32_e64 v39, v40, v38, s[4:5]
	v_cndmask_b32_e64 v38, 0, 1, s[6:7]
	v_lshlrev_b32_e32 v38, 5, v38
	v_add_lshl_u32 v38, v38, v15, 2
	ds_bpermute_b32 v15, v38, v39
	v_add_u32_e32 v39, 32, v26
	v_cndmask_b32_e64 v37, v40, v37, s[4:5]
	v_cmp_le_u32_e64 s[4:5], v39, v19
	s_waitcnt lgkmcnt(0)
	v_cndmask_b32_e64 v15, 0, v15, s[4:5]
	v_add_u16_e32 v15, v37, v15
	v_cndmask_b32_e32 v18, v18, v15, vcc
	v_mov_b32_e32 v15, 0
	s_branch .LBB5962_70
.LBB5962_69:                            ;   in Loop: Header=BB5962_70 Depth=1
	s_or_b64 exec, exec, s[4:5]
	v_cmp_eq_u16_sdwa s[4:5], v28, v25 src0_sel:BYTE_0 src1_sel:DWORD
	v_and_b32_e32 v41, 0xffff, v40
	v_and_b32_e32 v18, s5, v17
	ds_bpermute_b32 v42, v27, v41
	v_or_b32_e32 v18, 0x80000000, v18
	v_and_b32_e32 v19, s4, v16
	v_ffbl_b32_e32 v18, v18
	v_add_u32_e32 v18, 32, v18
	v_ffbl_b32_e32 v19, v19
	v_min_u32_e32 v18, v19, v18
	s_waitcnt lgkmcnt(0)
	v_add_u16_e32 v19, v42, v40
	v_cmp_lt_u32_e32 vcc, v26, v18
	v_cndmask_b32_e32 v41, v41, v19, vcc
	ds_bpermute_b32 v42, v29, v41
	v_cndmask_b32_e32 v19, v40, v19, vcc
	v_cmp_gt_u32_e64 s[4:5], v30, v18
	v_subrev_u32_e32 v14, 64, v14
	s_waitcnt lgkmcnt(0)
	v_add_u16_e32 v42, v19, v42
	v_cndmask_b32_e64 v41, v42, v41, s[4:5]
	ds_bpermute_b32 v43, v31, v41
	v_cndmask_b32_e64 v19, v42, v19, s[4:5]
	v_cmp_gt_u32_e64 s[4:5], v32, v18
	s_waitcnt lgkmcnt(0)
	v_add_u16_e32 v42, v19, v43
	v_cndmask_b32_e64 v41, v42, v41, s[4:5]
	ds_bpermute_b32 v43, v33, v41
	v_cndmask_b32_e64 v19, v42, v19, s[4:5]
	v_cmp_gt_u32_e64 s[4:5], v34, v18
	;; [unrolled: 6-line block ×3, first 2 shown]
	s_waitcnt lgkmcnt(0)
	v_add_u16_e32 v42, v19, v43
	v_cndmask_b32_e64 v41, v42, v41, s[4:5]
	ds_bpermute_b32 v41, v38, v41
	v_cndmask_b32_e64 v19, v42, v19, s[4:5]
	v_cmp_le_u32_e64 s[4:5], v39, v18
	s_waitcnt lgkmcnt(0)
	v_cndmask_b32_e64 v18, 0, v41, s[4:5]
	v_add_u16_e32 v18, v19, v18
	v_cndmask_b32_e32 v18, v40, v18, vcc
	v_add_u16_e32 v18, v18, v37
.LBB5962_70:                            ; =>This Loop Header: Depth=1
                                        ;     Child Loop BB5962_73 Depth 2
                                        ;       Child Loop BB5962_74 Depth 3
	v_cmp_ne_u16_sdwa s[4:5], v28, v25 src0_sel:BYTE_0 src1_sel:DWORD
	v_cndmask_b32_e64 v19, 0, 1, s[4:5]
	;;#ASMSTART
	;;#ASMEND
	v_cmp_ne_u32_e32 vcc, 0, v19
	s_cmp_lg_u64 vcc, exec
	v_mov_b32_e32 v37, v18
	s_cbranch_scc1 .LBB5962_77
; %bb.71:                               ;   in Loop: Header=BB5962_70 Depth=1
	v_lshlrev_b64 v[18:19], 2, v[14:15]
	v_mov_b32_e32 v28, s21
	v_add_co_u32_e32 v18, vcc, s20, v18
	v_addc_co_u32_e32 v19, vcc, v28, v19, vcc
	global_load_dword v40, v[18:19], off glc
	s_waitcnt vmcnt(0)
	v_lshrrev_b32_e32 v28, 16, v40
	v_cmp_eq_u16_sdwa s[6:7], v28, v15 src0_sel:BYTE_0 src1_sel:DWORD
	s_and_saveexec_b64 s[4:5], s[6:7]
	s_cbranch_execz .LBB5962_69
; %bb.72:                               ;   in Loop: Header=BB5962_70 Depth=1
	s_mov_b32 s28, 1
	s_mov_b64 s[6:7], 0
.LBB5962_73:                            ;   Parent Loop BB5962_70 Depth=1
                                        ; =>  This Loop Header: Depth=2
                                        ;       Child Loop BB5962_74 Depth 3
	s_max_u32 s29, s28, 1
.LBB5962_74:                            ;   Parent Loop BB5962_70 Depth=1
                                        ;     Parent Loop BB5962_73 Depth=2
                                        ; =>    This Inner Loop Header: Depth=3
	s_add_i32 s29, s29, -1
	s_cmp_eq_u32 s29, 0
	s_sleep 1
	s_cbranch_scc0 .LBB5962_74
; %bb.75:                               ;   in Loop: Header=BB5962_73 Depth=2
	global_load_dword v40, v[18:19], off glc
	s_cmp_lt_u32 s28, 32
	s_cselect_b64 s[30:31], -1, 0
	s_cmp_lg_u64 s[30:31], 0
	s_addc_u32 s28, s28, 0
	s_waitcnt vmcnt(0)
	v_lshrrev_b32_e32 v28, 16, v40
	v_cmp_ne_u16_sdwa s[30:31], v28, v15 src0_sel:BYTE_0 src1_sel:DWORD
	s_or_b64 s[6:7], s[30:31], s[6:7]
	s_andn2_b64 exec, exec, s[6:7]
	s_cbranch_execnz .LBB5962_73
; %bb.76:                               ;   in Loop: Header=BB5962_70 Depth=1
	s_or_b64 exec, exec, s[6:7]
	s_branch .LBB5962_69
.LBB5962_77:                            ;   in Loop: Header=BB5962_70 Depth=1
                                        ; implicit-def: $vgpr18
                                        ; implicit-def: $vgpr28
	s_cbranch_execz .LBB5962_70
; %bb.78:
	s_and_saveexec_b64 s[4:5], s[2:3]
	s_cbranch_execz .LBB5962_80
; %bb.79:
	s_add_i32 s2, s27, 64
	s_mov_b32 s3, 0
	s_lshl_b64 s[2:3], s[2:3], 2
	v_add_u16_e32 v14, v37, v24
	s_add_u32 s2, s20, s2
	v_or_b32_e32 v14, 0x20000, v14
	s_addc_u32 s3, s21, s3
	v_mov_b32_e32 v15, 0
	global_store_dword v15, v14, s[2:3]
.LBB5962_80:
	s_or_b64 exec, exec, s[4:5]
	s_and_b64 exec, exec, s[0:1]
	s_cbranch_execz .LBB5962_82
; %bb.81:
	v_mov_b32_e32 v14, 0
	ds_write_b16 v14, v37
.LBB5962_82:
	s_or_b64 exec, exec, s[18:19]
	v_mov_b32_e32 v14, 0
	s_waitcnt lgkmcnt(0)
	; wave barrier
	s_waitcnt lgkmcnt(0)
	ds_read_u16 v14, v14
	v_cndmask_b32_e64 v15, v23, 0, s[0:1]
	s_waitcnt lgkmcnt(0)
	v_add_u16_e32 v15, v14, v15
	s_branch .LBB5962_91
.LBB5962_83:
                                        ; implicit-def: $vgpr15
	s_cbranch_execz .LBB5962_91
; %bb.84:
	s_cmp_eq_u64 s[12:13], 0
	v_mov_b32_e32 v14, s24
	s_cbranch_scc1 .LBB5962_86
; %bb.85:
	v_mov_b32_e32 v15, s26
	v_add_co_u32_e64 v14, vcc, -2, s25
	v_addc_co_u32_e32 v15, vcc, -1, v15, vcc
	v_mov_b32_e32 v16, 0
	flat_load_ushort v17, v[14:15]
	global_load_ushort v18, v16, s[8:9]
	s_waitcnt vmcnt(0) lgkmcnt(0)
	v_add_u16_e32 v14, v18, v17
.LBB5962_86:
	v_add_u16_sdwa v15, v22, v11 dst_sel:DWORD dst_unused:UNUSED_PAD src0_sel:DWORD src1_sel:WORD_1
	v_add_u16_e32 v15, v15, v12
	v_add_u16_sdwa v15, v15, v12 dst_sel:DWORD dst_unused:UNUSED_PAD src0_sel:DWORD src1_sel:WORD_1
	v_add_u16_e32 v15, v15, v13
	v_add_u16_sdwa v15, v15, v13 dst_sel:DWORD dst_unused:UNUSED_PAD src0_sel:DWORD src1_sel:WORD_1
	v_add_u16_e32 v15, v15, v6
	v_add_u16_sdwa v15, v15, v6 dst_sel:DWORD dst_unused:UNUSED_PAD src0_sel:DWORD src1_sel:WORD_1
	v_add_u16_e32 v15, v15, v7
	v_add_u16_sdwa v15, v15, v7 dst_sel:DWORD dst_unused:UNUSED_PAD src0_sel:DWORD src1_sel:WORD_1
	v_add_u16_e32 v15, v15, v8
	v_add_u16_sdwa v15, v15, v8 dst_sel:DWORD dst_unused:UNUSED_PAD src0_sel:DWORD src1_sel:WORD_1
	v_add_u16_e32 v15, v15, v9
	v_add_u16_sdwa v15, v15, v9 dst_sel:DWORD dst_unused:UNUSED_PAD src0_sel:DWORD src1_sel:WORD_1
	v_add_u16_e32 v15, v15, v2
	v_add_u16_sdwa v15, v15, v2 dst_sel:DWORD dst_unused:UNUSED_PAD src0_sel:DWORD src1_sel:WORD_1
	v_add_u16_e32 v15, v15, v3
	v_add_u16_sdwa v15, v15, v3 dst_sel:DWORD dst_unused:UNUSED_PAD src0_sel:DWORD src1_sel:WORD_1
	v_add_u16_e32 v15, v15, v4
	v_add_u16_sdwa v15, v15, v4 dst_sel:DWORD dst_unused:UNUSED_PAD src0_sel:DWORD src1_sel:WORD_1
	v_add_u16_e32 v15, v15, v5
	v_add_u16_sdwa v16, v15, v5 dst_sel:DWORD dst_unused:UNUSED_PAD src0_sel:DWORD src1_sel:WORD_1
	v_mbcnt_hi_u32_b32 v15, -1, v21
	v_and_b32_e32 v17, 15, v15
	v_mov_b32_dpp v18, v16 row_shr:1 row_mask:0xf bank_mask:0xf
	v_cmp_ne_u32_e32 vcc, 0, v17
	v_cndmask_b32_e32 v18, 0, v18, vcc
	v_add_u16_e32 v16, v18, v16
	v_cmp_lt_u32_e32 vcc, 1, v17
	s_nop 0
	v_mov_b32_dpp v18, v16 row_shr:2 row_mask:0xf bank_mask:0xf
	v_cndmask_b32_e32 v18, 0, v18, vcc
	v_add_u16_e32 v16, v16, v18
	v_cmp_lt_u32_e32 vcc, 3, v17
	s_nop 0
	v_mov_b32_dpp v18, v16 row_shr:4 row_mask:0xf bank_mask:0xf
	;; [unrolled: 5-line block ×3, first 2 shown]
	v_cndmask_b32_e32 v17, 0, v18, vcc
	v_add_u16_e32 v16, v16, v17
	v_and_b32_e32 v18, 16, v15
	v_cmp_ne_u32_e32 vcc, 0, v18
	v_mov_b32_dpp v17, v16 row_bcast:15 row_mask:0xf bank_mask:0xf
	v_cndmask_b32_e32 v17, 0, v17, vcc
	v_add_u16_e32 v16, v16, v17
	v_cmp_lt_u32_e32 vcc, 31, v15
	s_nop 0
	v_mov_b32_dpp v17, v16 row_bcast:31 row_mask:0xf bank_mask:0xf
	v_cndmask_b32_e32 v17, 0, v17, vcc
	v_add_u16_e32 v16, v16, v17
	v_cmp_eq_u32_e32 vcc, 63, v0
	s_and_saveexec_b64 s[2:3], vcc
	s_cbranch_execz .LBB5962_88
; %bb.87:
	v_mov_b32_e32 v17, 0
	ds_write_b16 v17, v16
.LBB5962_88:
	s_or_b64 exec, exec, s[2:3]
	v_add_u32_e32 v17, -1, v15
	v_and_b32_e32 v18, 64, v15
	v_cmp_lt_i32_e32 vcc, v17, v18
	v_cndmask_b32_e32 v17, v17, v15, vcc
	v_add_u16_e32 v16, v16, v14
	v_lshlrev_b32_e32 v17, 2, v17
	ds_bpermute_b32 v16, v17, v16
	v_cmp_eq_u32_e32 vcc, 0, v15
	s_or_b64 vcc, s[0:1], vcc
	s_waitcnt lgkmcnt(0)
	; wave barrier
	s_waitcnt lgkmcnt(0)
	v_cndmask_b32_e32 v15, v16, v14, vcc
	s_and_saveexec_b64 s[2:3], s[0:1]
	s_cbranch_execz .LBB5962_90
; %bb.89:
	v_mov_b32_e32 v15, 0
	ds_read_u16 v16, v15
	s_waitcnt lgkmcnt(0)
	v_add_u16_e32 v16, v16, v14
	v_or_b32_e32 v16, 0x20000, v16
	global_store_dword v15, v16, s[20:21] offset:256
	v_mov_b32_e32 v15, v14
.LBB5962_90:
	s_or_b64 exec, exec, s[2:3]
.LBB5962_91:
	v_add_u16_e32 v14, v15, v10
	v_add_u16_sdwa v10, v14, v10 dst_sel:DWORD dst_unused:UNUSED_PAD src0_sel:DWORD src1_sel:WORD_1
	v_add_u16_e32 v16, v10, v11
	v_add_u16_sdwa v11, v16, v11 dst_sel:DWORD dst_unused:UNUSED_PAD src0_sel:DWORD src1_sel:WORD_1
	;; [unrolled: 2-line block ×11, first 2 shown]
	s_mov_b32 s0, 0x5040100
	v_add_u16_e32 v30, v29, v5
	v_perm_b32 v3, v16, v10, s0
	v_perm_b32 v4, v17, v11, s0
	v_perm_b32 v5, v18, v12, s0
	v_perm_b32 v2, v14, v15, s0
	s_waitcnt lgkmcnt(0)
	; wave barrier
	ds_write_b128 v1, v[2:5]
	v_perm_b32 v2, v19, v13, s0
	v_perm_b32 v3, v21, v6, s0
	;; [unrolled: 1-line block ×4, first 2 shown]
	ds_write_b128 v1, v[2:5] offset:16
	v_perm_b32 v2, v24, v9, s0
	v_perm_b32 v3, v26, v25, s0
	;; [unrolled: 1-line block ×4, first 2 shown]
	s_mov_b64 s[0:1], -1
	s_and_b64 vcc, exec, s[16:17]
	ds_write_b128 v1, v[2:5] offset:32
	s_waitcnt lgkmcnt(0)
	s_cbranch_vccz .LBB5962_93
; %bb.92:
	; wave barrier
	s_mov_b64 s[0:1], 0
.LBB5962_93:
	s_andn2_b64 vcc, exec, s[0:1]
	s_cbranch_vccnz .LBB5962_102
; %bb.94:
	v_cmp_lt_u64_e64 s[0:1], s[14:15], 2
	s_and_b64 vcc, exec, s[0:1]
	; wave barrier
	s_cbranch_vccnz .LBB5962_102
; %bb.95:
	s_add_u32 s0, s22, -1
	s_addc_u32 s1, s23, -1
	s_add_u32 s2, 0, 0xaaaa0000
	s_addc_u32 s3, 0, 42
	s_add_i32 s3, s3, 0xaaaaa80
	s_mul_hi_u32 s7, s2, 0xffffffe8
	s_sub_i32 s7, s7, s2
	s_mul_i32 s8, s3, 0xffffffe8
	s_mul_i32 s4, s2, 0xffffffe8
	s_add_i32 s7, s7, s8
	s_mul_hi_u32 s5, s3, s4
	s_mul_i32 s6, s3, s4
	s_mul_i32 s9, s2, s7
	s_mul_hi_u32 s4, s2, s4
	s_mul_hi_u32 s8, s2, s7
	s_add_u32 s4, s4, s9
	s_addc_u32 s8, 0, s8
	s_add_u32 s4, s4, s6
	s_mul_hi_u32 s9, s3, s7
	s_addc_u32 s4, s8, s5
	s_addc_u32 s5, s9, 0
	s_mul_i32 s6, s3, s7
	s_add_u32 s4, s4, s6
	v_mov_b32_e32 v2, s4
	s_addc_u32 s5, 0, s5
	v_add_co_u32_e32 v2, vcc, s2, v2
	s_cmp_lg_u64 vcc, 0
	s_addc_u32 s2, s3, s5
	v_readfirstlane_b32 s5, v2
	s_mul_i32 s4, s0, s2
	s_mul_hi_u32 s6, s0, s5
	s_mul_hi_u32 s3, s0, s2
	s_add_u32 s4, s6, s4
	s_addc_u32 s3, 0, s3
	s_mul_hi_u32 s7, s1, s5
	s_mul_i32 s5, s1, s5
	s_add_u32 s4, s4, s5
	s_mul_hi_u32 s6, s1, s2
	s_addc_u32 s3, s3, s7
	s_addc_u32 s4, s6, 0
	s_mul_i32 s2, s1, s2
	s_add_u32 s2, s3, s2
	s_addc_u32 s3, 0, s4
	s_add_u32 s4, s2, 1
	s_addc_u32 s5, s3, 0
	s_add_u32 s6, s2, 2
	s_mul_i32 s8, s3, 24
	s_mul_hi_u32 s9, s2, 24
	s_addc_u32 s7, s3, 0
	s_add_i32 s9, s9, s8
	s_mul_i32 s8, s2, 24
	v_mov_b32_e32 v2, s8
	v_sub_co_u32_e32 v2, vcc, s0, v2
	s_cmp_lg_u64 vcc, 0
	s_subb_u32 s8, s1, s9
	v_subrev_co_u32_e32 v3, vcc, 24, v2
	s_cmp_lg_u64 vcc, 0
	s_subb_u32 s9, s8, 0
	v_readfirstlane_b32 s12, v3
	s_cmp_gt_u32 s12, 23
	s_cselect_b32 s12, -1, 0
	s_cmp_eq_u32 s9, 0
	s_cselect_b32 s9, s12, -1
	s_cmp_lg_u32 s9, 0
	s_cselect_b32 s4, s6, s4
	v_readfirstlane_b32 s6, v2
	s_cselect_b32 s5, s7, s5
	s_cmp_gt_u32 s6, 23
	s_cselect_b32 s6, -1, 0
	s_cmp_eq_u32 s8, 0
	s_cselect_b32 s6, s6, -1
	s_cmp_lg_u32 s6, 0
	v_mov_b32_e32 v1, 0
	s_cselect_b32 s3, s5, s3
	s_cselect_b32 s2, s4, s2
	v_cmp_eq_u64_e32 vcc, s[2:3], v[0:1]
	s_and_saveexec_b64 s[2:3], vcc
	s_cbranch_execz .LBB5962_102
; %bb.96:
	v_lshlrev_b32_e32 v2, 1, v0
	v_mul_hi_u32_u24_e32 v1, 24, v0
	v_mov_b32_e32 v3, s1
	v_sub_co_u32_e32 v0, vcc, s0, v20
	v_subb_co_u32_e32 v1, vcc, v3, v1, vcc
	v_cmp_lt_i64_e32 vcc, 11, v[0:1]
	s_mov_b64 s[0:1], 0
	s_mov_b64 s[8:9], 0
	;; [unrolled: 1-line block ×4, first 2 shown]
                                        ; implicit-def: $vgpr3
                                        ; implicit-def: $vgpr4
                                        ; implicit-def: $vgpr5
	s_and_saveexec_b64 s[2:3], vcc
	s_xor_b64 s[2:3], exec, s[2:3]
	s_cbranch_execnz .LBB5962_103
; %bb.97:
	s_andn2_saveexec_b64 s[2:3], s[2:3]
	s_cbranch_execnz .LBB5962_148
.LBB5962_98:
	s_or_b64 exec, exec, s[2:3]
	s_and_saveexec_b64 s[2:3], s[8:9]
	s_cbranch_execnz .LBB5962_165
.LBB5962_99:
	s_or_b64 exec, exec, s[2:3]
	s_and_saveexec_b64 s[2:3], s[6:7]
	s_cbranch_execnz .LBB5962_166
.LBB5962_100:
	s_or_b64 exec, exec, s[2:3]
	s_and_saveexec_b64 s[2:3], s[4:5]
	s_xor_b64 s[2:3], exec, s[2:3]
	s_cbranch_execnz .LBB5962_167
.LBB5962_101:
	s_or_b64 exec, exec, s[2:3]
	s_and_b64 exec, exec, s[0:1]
	s_cbranch_execnz .LBB5962_168
.LBB5962_102:
	s_endpgm
.LBB5962_103:
	v_cmp_lt_i64_e32 vcc, 17, v[0:1]
                                        ; implicit-def: $vgpr3
                                        ; implicit-def: $vgpr4
                                        ; implicit-def: $vgpr5
	s_and_saveexec_b64 s[12:13], vcc
	s_xor_b64 s[12:13], exec, s[12:13]
	s_cbranch_execz .LBB5962_125
; %bb.104:
	v_cmp_lt_i64_e32 vcc, 20, v[0:1]
                                        ; implicit-def: $vgpr3
                                        ; implicit-def: $vgpr4
	s_and_saveexec_b64 s[14:15], vcc
	s_xor_b64 s[14:15], exec, s[14:15]
	s_cbranch_execz .LBB5962_114
; %bb.105:
	v_cmp_lt_i64_e32 vcc, 21, v[0:1]
	s_mov_b64 s[16:17], 0
                                        ; implicit-def: $vgpr3
	s_and_saveexec_b64 s[4:5], vcc
	s_xor_b64 s[4:5], exec, s[4:5]
	s_cbranch_execz .LBB5962_111
; %bb.106:
	v_cmp_lt_i64_e32 vcc, 22, v[0:1]
	s_and_saveexec_b64 s[16:17], vcc
	s_xor_b64 s[16:17], exec, s[16:17]
	s_cbranch_execz .LBB5962_108
; %bb.107:
	ds_read_u16 v3, v2 offset:2944
	v_mov_b32_e32 v4, 0
	s_waitcnt lgkmcnt(0)
	global_store_short v4, v3, s[10:11]
.LBB5962_108:
	s_or_saveexec_b64 s[16:17], s[16:17]
	s_mov_b64 s[18:19], 0
                                        ; implicit-def: $vgpr3
	s_xor_b64 exec, exec, s[16:17]
	s_cbranch_execz .LBB5962_110
; %bb.109:
	ds_read_u16 v3, v2 offset:2816
	s_mov_b64 s[18:19], exec
.LBB5962_110:
	s_or_b64 exec, exec, s[16:17]
	s_and_b64 s[16:17], s[18:19], exec
.LBB5962_111:
	s_or_saveexec_b64 s[4:5], s[4:5]
                                        ; implicit-def: $vgpr4
	s_xor_b64 exec, exec, s[4:5]
	s_cbranch_execz .LBB5962_113
; %bb.112:
	ds_read_u16 v4, v2 offset:2688
	s_mov_b64 s[6:7], exec
                                        ; implicit-def: $vgpr3
.LBB5962_113:
	s_or_b64 exec, exec, s[4:5]
	s_and_b64 s[4:5], s[16:17], exec
	s_and_b64 s[6:7], s[6:7], exec
.LBB5962_114:
	s_or_saveexec_b64 s[14:15], s[14:15]
                                        ; implicit-def: $vgpr5
	s_xor_b64 exec, exec, s[14:15]
	s_cbranch_execz .LBB5962_124
; %bb.115:
	v_cmp_lt_i64_e32 vcc, 18, v[0:1]
	s_mov_b64 s[16:17], 0
                                        ; implicit-def: $vgpr5
	s_and_saveexec_b64 s[8:9], vcc
	s_xor_b64 s[8:9], exec, s[8:9]
	s_cbranch_execz .LBB5962_121
; %bb.116:
	v_cmp_lt_i64_e32 vcc, 19, v[0:1]
                                        ; implicit-def: $vgpr5
	s_and_saveexec_b64 s[18:19], vcc
	s_xor_b64 s[18:19], exec, s[18:19]
	s_cbranch_execz .LBB5962_118
; %bb.117:
	ds_read_u16 v5, v2 offset:2560
	s_mov_b64 s[16:17], exec
.LBB5962_118:
	s_andn2_saveexec_b64 s[18:19], s[18:19]
	s_cbranch_execz .LBB5962_120
; %bb.119:
	s_waitcnt lgkmcnt(0)
	ds_read_u16 v3, v2 offset:2432
	v_mov_b32_e32 v4, 0
                                        ; implicit-def: $vgpr5
	s_waitcnt lgkmcnt(0)
	global_store_short v4, v3, s[10:11]
.LBB5962_120:
	s_or_b64 exec, exec, s[18:19]
	s_and_b64 s[16:17], s[16:17], exec
.LBB5962_121:
	s_andn2_saveexec_b64 s[8:9], s[8:9]
	s_cbranch_execz .LBB5962_123
; %bb.122:
	s_waitcnt lgkmcnt(0)
	ds_read_u16 v3, v2 offset:2304
	v_mov_b32_e32 v4, 0
                                        ; implicit-def: $vgpr5
	s_waitcnt lgkmcnt(0)
	global_store_short v4, v3, s[10:11]
.LBB5962_123:
	s_or_b64 exec, exec, s[8:9]
	s_and_b64 s[8:9], s[16:17], exec
                                        ; implicit-def: $vgpr3
                                        ; implicit-def: $vgpr4
.LBB5962_124:
	s_or_b64 exec, exec, s[14:15]
	s_and_b64 s[4:5], s[4:5], exec
	s_and_b64 s[6:7], s[6:7], exec
	;; [unrolled: 1-line block ×3, first 2 shown]
.LBB5962_125:
	s_andn2_saveexec_b64 s[12:13], s[12:13]
	s_cbranch_execz .LBB5962_147
; %bb.126:
	v_cmp_lt_i64_e32 vcc, 14, v[0:1]
	s_mov_b64 s[14:15], s[4:5]
                                        ; implicit-def: $vgpr3
	s_and_saveexec_b64 s[16:17], vcc
	s_xor_b64 s[16:17], exec, s[16:17]
	s_cbranch_execz .LBB5962_136
; %bb.127:
	v_cmp_lt_i64_e32 vcc, 15, v[0:1]
	s_and_saveexec_b64 s[14:15], vcc
	s_xor_b64 s[14:15], exec, s[14:15]
	s_cbranch_execz .LBB5962_133
; %bb.128:
	v_cmp_lt_i64_e32 vcc, 16, v[0:1]
	s_and_saveexec_b64 s[18:19], vcc
	s_xor_b64 s[18:19], exec, s[18:19]
	s_cbranch_execz .LBB5962_130
; %bb.129:
	s_waitcnt lgkmcnt(0)
	ds_read_u16 v3, v2 offset:2176
	v_mov_b32_e32 v4, 0
	s_waitcnt lgkmcnt(0)
	global_store_short v4, v3, s[10:11]
.LBB5962_130:
	s_andn2_saveexec_b64 s[18:19], s[18:19]
	s_cbranch_execz .LBB5962_132
; %bb.131:
	s_waitcnt lgkmcnt(0)
	ds_read_u16 v3, v2 offset:2048
	v_mov_b32_e32 v4, 0
	s_waitcnt lgkmcnt(0)
	global_store_short v4, v3, s[10:11]
.LBB5962_132:
	s_or_b64 exec, exec, s[18:19]
.LBB5962_133:
	s_or_saveexec_b64 s[14:15], s[14:15]
	s_mov_b64 s[18:19], s[4:5]
                                        ; implicit-def: $vgpr3
	s_xor_b64 exec, exec, s[14:15]
	s_cbranch_execz .LBB5962_135
; %bb.134:
	s_waitcnt lgkmcnt(0)
	ds_read_u16 v3, v2 offset:1920
	s_or_b64 s[18:19], s[4:5], exec
.LBB5962_135:
	s_or_b64 exec, exec, s[14:15]
	s_andn2_b64 s[14:15], s[4:5], exec
	s_and_b64 s[18:19], s[18:19], exec
	s_or_b64 s[14:15], s[14:15], s[18:19]
.LBB5962_136:
	s_or_saveexec_b64 s[16:17], s[16:17]
	s_mov_b64 s[18:19], s[6:7]
                                        ; implicit-def: $vgpr4
	s_xor_b64 exec, exec, s[16:17]
	s_cbranch_execz .LBB5962_146
; %bb.137:
	v_cmp_lt_i64_e32 vcc, 12, v[0:1]
	s_mov_b64 s[20:21], s[6:7]
	s_mov_b64 s[22:23], s[14:15]
                                        ; implicit-def: $vgpr3
                                        ; implicit-def: $vgpr4
	s_and_saveexec_b64 s[18:19], vcc
	s_xor_b64 s[18:19], exec, s[18:19]
	s_cbranch_execz .LBB5962_143
; %bb.138:
	v_cmp_lt_i64_e32 vcc, 13, v[0:1]
	s_mov_b64 s[20:21], s[14:15]
                                        ; implicit-def: $vgpr3
	s_and_saveexec_b64 s[22:23], vcc
	s_xor_b64 s[22:23], exec, s[22:23]
	s_cbranch_execz .LBB5962_140
; %bb.139:
	s_waitcnt lgkmcnt(0)
	ds_read_u16 v3, v2 offset:1792
	s_or_b64 s[20:21], s[14:15], exec
.LBB5962_140:
	s_or_saveexec_b64 s[22:23], s[22:23]
	s_mov_b64 s[24:25], s[6:7]
                                        ; implicit-def: $vgpr4
	s_xor_b64 exec, exec, s[22:23]
	s_cbranch_execz .LBB5962_142
; %bb.141:
	s_waitcnt lgkmcnt(0)
	ds_read_u16 v4, v2 offset:1664
	s_or_b64 s[24:25], s[6:7], exec
                                        ; implicit-def: $vgpr3
.LBB5962_142:
	s_or_b64 exec, exec, s[22:23]
	s_andn2_b64 s[22:23], s[14:15], exec
	s_and_b64 s[20:21], s[20:21], exec
	s_or_b64 s[22:23], s[22:23], s[20:21]
	s_andn2_b64 s[20:21], s[6:7], exec
	s_and_b64 s[24:25], s[24:25], exec
	s_or_b64 s[20:21], s[20:21], s[24:25]
.LBB5962_143:
	s_andn2_saveexec_b64 s[18:19], s[18:19]
	s_cbranch_execz .LBB5962_145
; %bb.144:
	s_waitcnt lgkmcnt(0)
	ds_read_u16 v4, v2 offset:1536
	s_or_b64 s[20:21], s[20:21], exec
                                        ; implicit-def: $vgpr3
.LBB5962_145:
	s_or_b64 exec, exec, s[18:19]
	s_andn2_b64 s[14:15], s[14:15], exec
	s_and_b64 s[18:19], s[22:23], exec
	s_or_b64 s[14:15], s[14:15], s[18:19]
	s_andn2_b64 s[18:19], s[6:7], exec
	s_and_b64 s[20:21], s[20:21], exec
	s_or_b64 s[18:19], s[18:19], s[20:21]
.LBB5962_146:
	s_or_b64 exec, exec, s[16:17]
	s_andn2_b64 s[4:5], s[4:5], exec
	s_and_b64 s[14:15], s[14:15], exec
	s_or_b64 s[4:5], s[4:5], s[14:15]
	s_andn2_b64 s[6:7], s[6:7], exec
	s_and_b64 s[14:15], s[18:19], exec
	s_or_b64 s[6:7], s[6:7], s[14:15]
                                        ; implicit-def: $vgpr5
.LBB5962_147:
	s_or_b64 exec, exec, s[12:13]
	s_and_b64 s[4:5], s[4:5], exec
	s_and_b64 s[6:7], s[6:7], exec
	;; [unrolled: 1-line block ×3, first 2 shown]
	s_andn2_saveexec_b64 s[2:3], s[2:3]
	s_cbranch_execz .LBB5962_98
.LBB5962_148:
	v_cmp_lt_i64_e32 vcc, 5, v[0:1]
	s_mov_b64 s[14:15], -1
	s_mov_b64 s[12:13], s[8:9]
	s_mov_b64 s[16:17], s[6:7]
	;; [unrolled: 1-line block ×3, first 2 shown]
                                        ; implicit-def: $vgpr3
                                        ; implicit-def: $vgpr4
                                        ; implicit-def: $vgpr5
	s_and_saveexec_b64 s[0:1], vcc
	s_cbranch_execz .LBB5962_164
; %bb.149:
	v_cmp_lt_i64_e32 vcc, 8, v[0:1]
	s_mov_b64 s[12:13], s[8:9]
                                        ; implicit-def: $vgpr5
	s_and_saveexec_b64 s[14:15], vcc
	s_xor_b64 s[14:15], exec, s[14:15]
	s_cbranch_execz .LBB5962_159
; %bb.150:
	v_cmp_lt_i64_e32 vcc, 9, v[0:1]
                                        ; implicit-def: $vgpr5
	s_and_saveexec_b64 s[12:13], vcc
	s_xor_b64 s[12:13], exec, s[12:13]
	s_cbranch_execz .LBB5962_156
; %bb.151:
	v_cmp_lt_i64_e32 vcc, 10, v[0:1]
                                        ; implicit-def: $vgpr5
	s_and_saveexec_b64 s[16:17], vcc
	s_xor_b64 s[16:17], exec, s[16:17]
	s_cbranch_execz .LBB5962_153
; %bb.152:
	s_waitcnt lgkmcnt(0)
	ds_read_u16 v5, v2 offset:1408
.LBB5962_153:
	s_andn2_saveexec_b64 s[16:17], s[16:17]
	s_cbranch_execz .LBB5962_155
; %bb.154:
	s_waitcnt lgkmcnt(0)
	ds_read_u16 v5, v2 offset:1280
.LBB5962_155:
	s_or_b64 exec, exec, s[16:17]
.LBB5962_156:
	s_andn2_saveexec_b64 s[12:13], s[12:13]
	s_cbranch_execz .LBB5962_158
; %bb.157:
	s_waitcnt lgkmcnt(0)
	ds_read_u16 v5, v2 offset:1152
.LBB5962_158:
	s_or_b64 exec, exec, s[12:13]
	s_or_b64 s[12:13], s[8:9], exec
.LBB5962_159:
	s_or_saveexec_b64 s[14:15], s[14:15]
	s_mov_b64 s[16:17], s[6:7]
	s_mov_b64 s[20:21], s[4:5]
                                        ; implicit-def: $vgpr3
                                        ; implicit-def: $vgpr4
	s_xor_b64 exec, exec, s[14:15]
	s_cbranch_execz .LBB5962_163
; %bb.160:
	s_waitcnt lgkmcnt(0)
	ds_read_u16 v3, v2 offset:768
	v_cmp_lt_i64_e32 vcc, 6, v[0:1]
	s_mov_b64 s[20:21], -1
	s_mov_b64 s[18:19], s[12:13]
	s_mov_b64 s[16:17], s[6:7]
                                        ; implicit-def: $vgpr4
                                        ; implicit-def: $vgpr5
	s_and_saveexec_b64 s[22:23], vcc
	s_cbranch_execz .LBB5962_162
; %bb.161:
	ds_read_u16 v4, v2 offset:896
	ds_read_u16 v5, v2 offset:1024
	v_cmp_lt_i64_e32 vcc, 7, v[0:1]
	s_andn2_b64 s[18:19], s[12:13], exec
	s_and_b64 s[24:25], vcc, exec
	s_xor_b64 s[20:21], exec, -1
	s_or_b64 s[16:17], s[6:7], exec
	s_or_b64 s[18:19], s[18:19], s[24:25]
                                        ; implicit-def: $vgpr3
.LBB5962_162:
	s_or_b64 exec, exec, s[22:23]
	s_andn2_b64 s[22:23], s[4:5], exec
	s_and_b64 s[20:21], s[20:21], exec
	s_or_b64 s[20:21], s[22:23], s[20:21]
	s_andn2_b64 s[22:23], s[6:7], exec
	s_and_b64 s[16:17], s[16:17], exec
	s_andn2_b64 s[12:13], s[12:13], exec
	s_and_b64 s[18:19], s[18:19], exec
	s_or_b64 s[16:17], s[22:23], s[16:17]
	s_or_b64 s[12:13], s[12:13], s[18:19]
.LBB5962_163:
	s_or_b64 exec, exec, s[14:15]
	s_andn2_b64 s[18:19], s[4:5], exec
	s_and_b64 s[20:21], s[20:21], exec
	s_or_b64 s[18:19], s[18:19], s[20:21]
	s_andn2_b64 s[20:21], s[6:7], exec
	s_and_b64 s[16:17], s[16:17], exec
	s_or_b64 s[16:17], s[20:21], s[16:17]
	s_andn2_b64 s[20:21], s[8:9], exec
	s_and_b64 s[12:13], s[12:13], exec
	s_xor_b64 s[14:15], exec, -1
	s_or_b64 s[12:13], s[20:21], s[12:13]
.LBB5962_164:
	s_or_b64 exec, exec, s[0:1]
	s_and_b64 s[0:1], s[14:15], exec
	s_andn2_b64 s[4:5], s[4:5], exec
	s_and_b64 s[14:15], s[18:19], exec
	s_or_b64 s[4:5], s[4:5], s[14:15]
	s_andn2_b64 s[6:7], s[6:7], exec
	s_and_b64 s[14:15], s[16:17], exec
	s_andn2_b64 s[8:9], s[8:9], exec
	s_and_b64 s[12:13], s[12:13], exec
	s_or_b64 s[6:7], s[6:7], s[14:15]
	s_or_b64 s[8:9], s[8:9], s[12:13]
	s_or_b64 exec, exec, s[2:3]
	s_and_saveexec_b64 s[2:3], s[8:9]
	s_cbranch_execz .LBB5962_99
.LBB5962_165:
	s_waitcnt lgkmcnt(0)
	v_mov_b32_e32 v3, 0
	s_andn2_b64 s[6:7], s[6:7], exec
	global_store_short v3, v5, s[10:11]
                                        ; implicit-def: $vgpr3
                                        ; implicit-def: $vgpr4
	s_or_b64 exec, exec, s[2:3]
	s_and_saveexec_b64 s[2:3], s[6:7]
	s_cbranch_execz .LBB5962_100
.LBB5962_166:
	s_waitcnt lgkmcnt(0)
	v_mov_b32_e32 v3, 0
	global_store_short v3, v4, s[10:11]
                                        ; implicit-def: $vgpr3
	s_or_b64 exec, exec, s[2:3]
	s_and_saveexec_b64 s[2:3], s[4:5]
	s_xor_b64 s[2:3], exec, s[2:3]
	s_cbranch_execz .LBB5962_101
.LBB5962_167:
	s_waitcnt lgkmcnt(0)
	v_mov_b32_e32 v4, 0
	global_store_short v4, v3, s[10:11]
	s_or_b64 exec, exec, s[2:3]
	s_and_b64 exec, exec, s[0:1]
	s_cbranch_execz .LBB5962_102
.LBB5962_168:
	v_cmp_lt_i64_e32 vcc, 2, v[0:1]
	s_and_saveexec_b64 s[0:1], vcc
	s_xor_b64 s[0:1], exec, s[0:1]
	s_cbranch_execz .LBB5962_178
; %bb.169:
	v_cmp_lt_i64_e32 vcc, 3, v[0:1]
	s_and_saveexec_b64 s[2:3], vcc
	s_xor_b64 s[2:3], exec, s[2:3]
	s_cbranch_execz .LBB5962_175
; %bb.170:
	;; [unrolled: 5-line block ×3, first 2 shown]
	ds_read_u16 v0, v2 offset:640
	v_mov_b32_e32 v1, 0
                                        ; implicit-def: $vgpr2
	s_waitcnt lgkmcnt(0)
	global_store_short v1, v0, s[10:11]
.LBB5962_172:
	s_andn2_saveexec_b64 s[4:5], s[4:5]
	s_cbranch_execz .LBB5962_174
; %bb.173:
	ds_read_u16 v0, v2 offset:512
	v_mov_b32_e32 v1, 0
	s_waitcnt lgkmcnt(0)
	global_store_short v1, v0, s[10:11]
.LBB5962_174:
	s_or_b64 exec, exec, s[4:5]
                                        ; implicit-def: $vgpr2
.LBB5962_175:
	s_andn2_saveexec_b64 s[2:3], s[2:3]
	s_cbranch_execz .LBB5962_177
; %bb.176:
	ds_read_u16 v0, v2 offset:384
	v_mov_b32_e32 v1, 0
	s_waitcnt lgkmcnt(0)
	global_store_short v1, v0, s[10:11]
.LBB5962_177:
	s_or_b64 exec, exec, s[2:3]
                                        ; implicit-def: $vgpr0_vgpr1
                                        ; implicit-def: $vgpr2
.LBB5962_178:
	s_andn2_saveexec_b64 s[0:1], s[0:1]
	s_cbranch_execz .LBB5962_102
; %bb.179:
	v_cmp_lt_i64_e32 vcc, 1, v[0:1]
	s_and_saveexec_b64 s[0:1], vcc
	s_xor_b64 s[0:1], exec, s[0:1]
	s_cbranch_execz .LBB5962_181
; %bb.180:
	ds_read_u16 v0, v2 offset:256
	v_mov_b32_e32 v1, 0
                                        ; implicit-def: $vgpr2
	s_waitcnt lgkmcnt(0)
	global_store_short v1, v0, s[10:11]
                                        ; implicit-def: $vgpr0_vgpr1
.LBB5962_181:
	s_andn2_saveexec_b64 s[0:1], s[0:1]
	s_cbranch_execz .LBB5962_102
; %bb.182:
	v_cmp_ne_u64_e32 vcc, 1, v[0:1]
	s_and_saveexec_b64 s[0:1], vcc
	s_xor_b64 s[0:1], exec, s[0:1]
	s_cbranch_execz .LBB5962_184
; %bb.183:
	ds_read_u16 v0, v2
	v_mov_b32_e32 v1, 0
                                        ; implicit-def: $vgpr2
	s_waitcnt lgkmcnt(0)
	global_store_short v1, v0, s[10:11]
.LBB5962_184:
	s_andn2_saveexec_b64 s[0:1], s[0:1]
	s_cbranch_execz .LBB5962_102
; %bb.185:
	ds_read_u16 v0, v2 offset:128
	v_mov_b32_e32 v1, 0
	s_waitcnt lgkmcnt(0)
	global_store_short v1, v0, s[10:11]
	s_endpgm
	.section	.rodata,"a",@progbits
	.p2align	6, 0x0
	.amdhsa_kernel _ZN7rocprim17ROCPRIM_400000_NS6detail17trampoline_kernelINS0_14default_configENS1_20scan_config_selectorIsEEZZNS1_9scan_implILNS1_25lookback_scan_determinismE0ELb1ELb1ES3_N6thrust23THRUST_200600_302600_NS6detail15normal_iteratorINS9_10device_ptrIsEEEENS9_16discard_iteratorINS9_11use_defaultEEEsNS9_4plusIvEEsEEDaPvRmT3_T4_T5_mT6_P12ihipStream_tbENKUlT_T0_E_clISt17integral_constantIbLb1EESX_EEDaSS_ST_EUlSS_E_NS1_11comp_targetILNS1_3genE4ELNS1_11target_archE910ELNS1_3gpuE8ELNS1_3repE0EEENS1_30default_config_static_selectorELNS0_4arch9wavefront6targetE1EEEvT1_
		.amdhsa_group_segment_fixed_size 3072
		.amdhsa_private_segment_fixed_size 0
		.amdhsa_kernarg_size 104
		.amdhsa_user_sgpr_count 6
		.amdhsa_user_sgpr_private_segment_buffer 1
		.amdhsa_user_sgpr_dispatch_ptr 0
		.amdhsa_user_sgpr_queue_ptr 0
		.amdhsa_user_sgpr_kernarg_segment_ptr 1
		.amdhsa_user_sgpr_dispatch_id 0
		.amdhsa_user_sgpr_flat_scratch_init 0
		.amdhsa_user_sgpr_kernarg_preload_length 0
		.amdhsa_user_sgpr_kernarg_preload_offset 0
		.amdhsa_user_sgpr_private_segment_size 0
		.amdhsa_uses_dynamic_stack 0
		.amdhsa_system_sgpr_private_segment_wavefront_offset 0
		.amdhsa_system_sgpr_workgroup_id_x 1
		.amdhsa_system_sgpr_workgroup_id_y 0
		.amdhsa_system_sgpr_workgroup_id_z 0
		.amdhsa_system_sgpr_workgroup_info 0
		.amdhsa_system_vgpr_workitem_id 0
		.amdhsa_next_free_vgpr 44
		.amdhsa_next_free_sgpr 32
		.amdhsa_accum_offset 44
		.amdhsa_reserve_vcc 1
		.amdhsa_reserve_flat_scratch 0
		.amdhsa_float_round_mode_32 0
		.amdhsa_float_round_mode_16_64 0
		.amdhsa_float_denorm_mode_32 3
		.amdhsa_float_denorm_mode_16_64 3
		.amdhsa_dx10_clamp 1
		.amdhsa_ieee_mode 1
		.amdhsa_fp16_overflow 0
		.amdhsa_tg_split 0
		.amdhsa_exception_fp_ieee_invalid_op 0
		.amdhsa_exception_fp_denorm_src 0
		.amdhsa_exception_fp_ieee_div_zero 0
		.amdhsa_exception_fp_ieee_overflow 0
		.amdhsa_exception_fp_ieee_underflow 0
		.amdhsa_exception_fp_ieee_inexact 0
		.amdhsa_exception_int_div_zero 0
	.end_amdhsa_kernel
	.section	.text._ZN7rocprim17ROCPRIM_400000_NS6detail17trampoline_kernelINS0_14default_configENS1_20scan_config_selectorIsEEZZNS1_9scan_implILNS1_25lookback_scan_determinismE0ELb1ELb1ES3_N6thrust23THRUST_200600_302600_NS6detail15normal_iteratorINS9_10device_ptrIsEEEENS9_16discard_iteratorINS9_11use_defaultEEEsNS9_4plusIvEEsEEDaPvRmT3_T4_T5_mT6_P12ihipStream_tbENKUlT_T0_E_clISt17integral_constantIbLb1EESX_EEDaSS_ST_EUlSS_E_NS1_11comp_targetILNS1_3genE4ELNS1_11target_archE910ELNS1_3gpuE8ELNS1_3repE0EEENS1_30default_config_static_selectorELNS0_4arch9wavefront6targetE1EEEvT1_,"axG",@progbits,_ZN7rocprim17ROCPRIM_400000_NS6detail17trampoline_kernelINS0_14default_configENS1_20scan_config_selectorIsEEZZNS1_9scan_implILNS1_25lookback_scan_determinismE0ELb1ELb1ES3_N6thrust23THRUST_200600_302600_NS6detail15normal_iteratorINS9_10device_ptrIsEEEENS9_16discard_iteratorINS9_11use_defaultEEEsNS9_4plusIvEEsEEDaPvRmT3_T4_T5_mT6_P12ihipStream_tbENKUlT_T0_E_clISt17integral_constantIbLb1EESX_EEDaSS_ST_EUlSS_E_NS1_11comp_targetILNS1_3genE4ELNS1_11target_archE910ELNS1_3gpuE8ELNS1_3repE0EEENS1_30default_config_static_selectorELNS0_4arch9wavefront6targetE1EEEvT1_,comdat
.Lfunc_end5962:
	.size	_ZN7rocprim17ROCPRIM_400000_NS6detail17trampoline_kernelINS0_14default_configENS1_20scan_config_selectorIsEEZZNS1_9scan_implILNS1_25lookback_scan_determinismE0ELb1ELb1ES3_N6thrust23THRUST_200600_302600_NS6detail15normal_iteratorINS9_10device_ptrIsEEEENS9_16discard_iteratorINS9_11use_defaultEEEsNS9_4plusIvEEsEEDaPvRmT3_T4_T5_mT6_P12ihipStream_tbENKUlT_T0_E_clISt17integral_constantIbLb1EESX_EEDaSS_ST_EUlSS_E_NS1_11comp_targetILNS1_3genE4ELNS1_11target_archE910ELNS1_3gpuE8ELNS1_3repE0EEENS1_30default_config_static_selectorELNS0_4arch9wavefront6targetE1EEEvT1_, .Lfunc_end5962-_ZN7rocprim17ROCPRIM_400000_NS6detail17trampoline_kernelINS0_14default_configENS1_20scan_config_selectorIsEEZZNS1_9scan_implILNS1_25lookback_scan_determinismE0ELb1ELb1ES3_N6thrust23THRUST_200600_302600_NS6detail15normal_iteratorINS9_10device_ptrIsEEEENS9_16discard_iteratorINS9_11use_defaultEEEsNS9_4plusIvEEsEEDaPvRmT3_T4_T5_mT6_P12ihipStream_tbENKUlT_T0_E_clISt17integral_constantIbLb1EESX_EEDaSS_ST_EUlSS_E_NS1_11comp_targetILNS1_3genE4ELNS1_11target_archE910ELNS1_3gpuE8ELNS1_3repE0EEENS1_30default_config_static_selectorELNS0_4arch9wavefront6targetE1EEEvT1_
                                        ; -- End function
	.section	.AMDGPU.csdata,"",@progbits
; Kernel info:
; codeLenInByte = 6524
; NumSgprs: 36
; NumVgprs: 44
; NumAgprs: 0
; TotalNumVgprs: 44
; ScratchSize: 0
; MemoryBound: 0
; FloatMode: 240
; IeeeMode: 1
; LDSByteSize: 3072 bytes/workgroup (compile time only)
; SGPRBlocks: 4
; VGPRBlocks: 5
; NumSGPRsForWavesPerEU: 36
; NumVGPRsForWavesPerEU: 44
; AccumOffset: 44
; Occupancy: 6
; WaveLimiterHint : 1
; COMPUTE_PGM_RSRC2:SCRATCH_EN: 0
; COMPUTE_PGM_RSRC2:USER_SGPR: 6
; COMPUTE_PGM_RSRC2:TRAP_HANDLER: 0
; COMPUTE_PGM_RSRC2:TGID_X_EN: 1
; COMPUTE_PGM_RSRC2:TGID_Y_EN: 0
; COMPUTE_PGM_RSRC2:TGID_Z_EN: 0
; COMPUTE_PGM_RSRC2:TIDIG_COMP_CNT: 0
; COMPUTE_PGM_RSRC3_GFX90A:ACCUM_OFFSET: 10
; COMPUTE_PGM_RSRC3_GFX90A:TG_SPLIT: 0
	.section	.text._ZN7rocprim17ROCPRIM_400000_NS6detail17trampoline_kernelINS0_14default_configENS1_20scan_config_selectorIsEEZZNS1_9scan_implILNS1_25lookback_scan_determinismE0ELb1ELb1ES3_N6thrust23THRUST_200600_302600_NS6detail15normal_iteratorINS9_10device_ptrIsEEEENS9_16discard_iteratorINS9_11use_defaultEEEsNS9_4plusIvEEsEEDaPvRmT3_T4_T5_mT6_P12ihipStream_tbENKUlT_T0_E_clISt17integral_constantIbLb1EESX_EEDaSS_ST_EUlSS_E_NS1_11comp_targetILNS1_3genE3ELNS1_11target_archE908ELNS1_3gpuE7ELNS1_3repE0EEENS1_30default_config_static_selectorELNS0_4arch9wavefront6targetE1EEEvT1_,"axG",@progbits,_ZN7rocprim17ROCPRIM_400000_NS6detail17trampoline_kernelINS0_14default_configENS1_20scan_config_selectorIsEEZZNS1_9scan_implILNS1_25lookback_scan_determinismE0ELb1ELb1ES3_N6thrust23THRUST_200600_302600_NS6detail15normal_iteratorINS9_10device_ptrIsEEEENS9_16discard_iteratorINS9_11use_defaultEEEsNS9_4plusIvEEsEEDaPvRmT3_T4_T5_mT6_P12ihipStream_tbENKUlT_T0_E_clISt17integral_constantIbLb1EESX_EEDaSS_ST_EUlSS_E_NS1_11comp_targetILNS1_3genE3ELNS1_11target_archE908ELNS1_3gpuE7ELNS1_3repE0EEENS1_30default_config_static_selectorELNS0_4arch9wavefront6targetE1EEEvT1_,comdat
	.protected	_ZN7rocprim17ROCPRIM_400000_NS6detail17trampoline_kernelINS0_14default_configENS1_20scan_config_selectorIsEEZZNS1_9scan_implILNS1_25lookback_scan_determinismE0ELb1ELb1ES3_N6thrust23THRUST_200600_302600_NS6detail15normal_iteratorINS9_10device_ptrIsEEEENS9_16discard_iteratorINS9_11use_defaultEEEsNS9_4plusIvEEsEEDaPvRmT3_T4_T5_mT6_P12ihipStream_tbENKUlT_T0_E_clISt17integral_constantIbLb1EESX_EEDaSS_ST_EUlSS_E_NS1_11comp_targetILNS1_3genE3ELNS1_11target_archE908ELNS1_3gpuE7ELNS1_3repE0EEENS1_30default_config_static_selectorELNS0_4arch9wavefront6targetE1EEEvT1_ ; -- Begin function _ZN7rocprim17ROCPRIM_400000_NS6detail17trampoline_kernelINS0_14default_configENS1_20scan_config_selectorIsEEZZNS1_9scan_implILNS1_25lookback_scan_determinismE0ELb1ELb1ES3_N6thrust23THRUST_200600_302600_NS6detail15normal_iteratorINS9_10device_ptrIsEEEENS9_16discard_iteratorINS9_11use_defaultEEEsNS9_4plusIvEEsEEDaPvRmT3_T4_T5_mT6_P12ihipStream_tbENKUlT_T0_E_clISt17integral_constantIbLb1EESX_EEDaSS_ST_EUlSS_E_NS1_11comp_targetILNS1_3genE3ELNS1_11target_archE908ELNS1_3gpuE7ELNS1_3repE0EEENS1_30default_config_static_selectorELNS0_4arch9wavefront6targetE1EEEvT1_
	.globl	_ZN7rocprim17ROCPRIM_400000_NS6detail17trampoline_kernelINS0_14default_configENS1_20scan_config_selectorIsEEZZNS1_9scan_implILNS1_25lookback_scan_determinismE0ELb1ELb1ES3_N6thrust23THRUST_200600_302600_NS6detail15normal_iteratorINS9_10device_ptrIsEEEENS9_16discard_iteratorINS9_11use_defaultEEEsNS9_4plusIvEEsEEDaPvRmT3_T4_T5_mT6_P12ihipStream_tbENKUlT_T0_E_clISt17integral_constantIbLb1EESX_EEDaSS_ST_EUlSS_E_NS1_11comp_targetILNS1_3genE3ELNS1_11target_archE908ELNS1_3gpuE7ELNS1_3repE0EEENS1_30default_config_static_selectorELNS0_4arch9wavefront6targetE1EEEvT1_
	.p2align	8
	.type	_ZN7rocprim17ROCPRIM_400000_NS6detail17trampoline_kernelINS0_14default_configENS1_20scan_config_selectorIsEEZZNS1_9scan_implILNS1_25lookback_scan_determinismE0ELb1ELb1ES3_N6thrust23THRUST_200600_302600_NS6detail15normal_iteratorINS9_10device_ptrIsEEEENS9_16discard_iteratorINS9_11use_defaultEEEsNS9_4plusIvEEsEEDaPvRmT3_T4_T5_mT6_P12ihipStream_tbENKUlT_T0_E_clISt17integral_constantIbLb1EESX_EEDaSS_ST_EUlSS_E_NS1_11comp_targetILNS1_3genE3ELNS1_11target_archE908ELNS1_3gpuE7ELNS1_3repE0EEENS1_30default_config_static_selectorELNS0_4arch9wavefront6targetE1EEEvT1_,@function
_ZN7rocprim17ROCPRIM_400000_NS6detail17trampoline_kernelINS0_14default_configENS1_20scan_config_selectorIsEEZZNS1_9scan_implILNS1_25lookback_scan_determinismE0ELb1ELb1ES3_N6thrust23THRUST_200600_302600_NS6detail15normal_iteratorINS9_10device_ptrIsEEEENS9_16discard_iteratorINS9_11use_defaultEEEsNS9_4plusIvEEsEEDaPvRmT3_T4_T5_mT6_P12ihipStream_tbENKUlT_T0_E_clISt17integral_constantIbLb1EESX_EEDaSS_ST_EUlSS_E_NS1_11comp_targetILNS1_3genE3ELNS1_11target_archE908ELNS1_3gpuE7ELNS1_3repE0EEENS1_30default_config_static_selectorELNS0_4arch9wavefront6targetE1EEEvT1_: ; @_ZN7rocprim17ROCPRIM_400000_NS6detail17trampoline_kernelINS0_14default_configENS1_20scan_config_selectorIsEEZZNS1_9scan_implILNS1_25lookback_scan_determinismE0ELb1ELb1ES3_N6thrust23THRUST_200600_302600_NS6detail15normal_iteratorINS9_10device_ptrIsEEEENS9_16discard_iteratorINS9_11use_defaultEEEsNS9_4plusIvEEsEEDaPvRmT3_T4_T5_mT6_P12ihipStream_tbENKUlT_T0_E_clISt17integral_constantIbLb1EESX_EEDaSS_ST_EUlSS_E_NS1_11comp_targetILNS1_3genE3ELNS1_11target_archE908ELNS1_3gpuE7ELNS1_3repE0EEENS1_30default_config_static_selectorELNS0_4arch9wavefront6targetE1EEEvT1_
; %bb.0:
	.section	.rodata,"a",@progbits
	.p2align	6, 0x0
	.amdhsa_kernel _ZN7rocprim17ROCPRIM_400000_NS6detail17trampoline_kernelINS0_14default_configENS1_20scan_config_selectorIsEEZZNS1_9scan_implILNS1_25lookback_scan_determinismE0ELb1ELb1ES3_N6thrust23THRUST_200600_302600_NS6detail15normal_iteratorINS9_10device_ptrIsEEEENS9_16discard_iteratorINS9_11use_defaultEEEsNS9_4plusIvEEsEEDaPvRmT3_T4_T5_mT6_P12ihipStream_tbENKUlT_T0_E_clISt17integral_constantIbLb1EESX_EEDaSS_ST_EUlSS_E_NS1_11comp_targetILNS1_3genE3ELNS1_11target_archE908ELNS1_3gpuE7ELNS1_3repE0EEENS1_30default_config_static_selectorELNS0_4arch9wavefront6targetE1EEEvT1_
		.amdhsa_group_segment_fixed_size 0
		.amdhsa_private_segment_fixed_size 0
		.amdhsa_kernarg_size 104
		.amdhsa_user_sgpr_count 6
		.amdhsa_user_sgpr_private_segment_buffer 1
		.amdhsa_user_sgpr_dispatch_ptr 0
		.amdhsa_user_sgpr_queue_ptr 0
		.amdhsa_user_sgpr_kernarg_segment_ptr 1
		.amdhsa_user_sgpr_dispatch_id 0
		.amdhsa_user_sgpr_flat_scratch_init 0
		.amdhsa_user_sgpr_kernarg_preload_length 0
		.amdhsa_user_sgpr_kernarg_preload_offset 0
		.amdhsa_user_sgpr_private_segment_size 0
		.amdhsa_uses_dynamic_stack 0
		.amdhsa_system_sgpr_private_segment_wavefront_offset 0
		.amdhsa_system_sgpr_workgroup_id_x 1
		.amdhsa_system_sgpr_workgroup_id_y 0
		.amdhsa_system_sgpr_workgroup_id_z 0
		.amdhsa_system_sgpr_workgroup_info 0
		.amdhsa_system_vgpr_workitem_id 0
		.amdhsa_next_free_vgpr 1
		.amdhsa_next_free_sgpr 0
		.amdhsa_accum_offset 4
		.amdhsa_reserve_vcc 0
		.amdhsa_reserve_flat_scratch 0
		.amdhsa_float_round_mode_32 0
		.amdhsa_float_round_mode_16_64 0
		.amdhsa_float_denorm_mode_32 3
		.amdhsa_float_denorm_mode_16_64 3
		.amdhsa_dx10_clamp 1
		.amdhsa_ieee_mode 1
		.amdhsa_fp16_overflow 0
		.amdhsa_tg_split 0
		.amdhsa_exception_fp_ieee_invalid_op 0
		.amdhsa_exception_fp_denorm_src 0
		.amdhsa_exception_fp_ieee_div_zero 0
		.amdhsa_exception_fp_ieee_overflow 0
		.amdhsa_exception_fp_ieee_underflow 0
		.amdhsa_exception_fp_ieee_inexact 0
		.amdhsa_exception_int_div_zero 0
	.end_amdhsa_kernel
	.section	.text._ZN7rocprim17ROCPRIM_400000_NS6detail17trampoline_kernelINS0_14default_configENS1_20scan_config_selectorIsEEZZNS1_9scan_implILNS1_25lookback_scan_determinismE0ELb1ELb1ES3_N6thrust23THRUST_200600_302600_NS6detail15normal_iteratorINS9_10device_ptrIsEEEENS9_16discard_iteratorINS9_11use_defaultEEEsNS9_4plusIvEEsEEDaPvRmT3_T4_T5_mT6_P12ihipStream_tbENKUlT_T0_E_clISt17integral_constantIbLb1EESX_EEDaSS_ST_EUlSS_E_NS1_11comp_targetILNS1_3genE3ELNS1_11target_archE908ELNS1_3gpuE7ELNS1_3repE0EEENS1_30default_config_static_selectorELNS0_4arch9wavefront6targetE1EEEvT1_,"axG",@progbits,_ZN7rocprim17ROCPRIM_400000_NS6detail17trampoline_kernelINS0_14default_configENS1_20scan_config_selectorIsEEZZNS1_9scan_implILNS1_25lookback_scan_determinismE0ELb1ELb1ES3_N6thrust23THRUST_200600_302600_NS6detail15normal_iteratorINS9_10device_ptrIsEEEENS9_16discard_iteratorINS9_11use_defaultEEEsNS9_4plusIvEEsEEDaPvRmT3_T4_T5_mT6_P12ihipStream_tbENKUlT_T0_E_clISt17integral_constantIbLb1EESX_EEDaSS_ST_EUlSS_E_NS1_11comp_targetILNS1_3genE3ELNS1_11target_archE908ELNS1_3gpuE7ELNS1_3repE0EEENS1_30default_config_static_selectorELNS0_4arch9wavefront6targetE1EEEvT1_,comdat
.Lfunc_end5963:
	.size	_ZN7rocprim17ROCPRIM_400000_NS6detail17trampoline_kernelINS0_14default_configENS1_20scan_config_selectorIsEEZZNS1_9scan_implILNS1_25lookback_scan_determinismE0ELb1ELb1ES3_N6thrust23THRUST_200600_302600_NS6detail15normal_iteratorINS9_10device_ptrIsEEEENS9_16discard_iteratorINS9_11use_defaultEEEsNS9_4plusIvEEsEEDaPvRmT3_T4_T5_mT6_P12ihipStream_tbENKUlT_T0_E_clISt17integral_constantIbLb1EESX_EEDaSS_ST_EUlSS_E_NS1_11comp_targetILNS1_3genE3ELNS1_11target_archE908ELNS1_3gpuE7ELNS1_3repE0EEENS1_30default_config_static_selectorELNS0_4arch9wavefront6targetE1EEEvT1_, .Lfunc_end5963-_ZN7rocprim17ROCPRIM_400000_NS6detail17trampoline_kernelINS0_14default_configENS1_20scan_config_selectorIsEEZZNS1_9scan_implILNS1_25lookback_scan_determinismE0ELb1ELb1ES3_N6thrust23THRUST_200600_302600_NS6detail15normal_iteratorINS9_10device_ptrIsEEEENS9_16discard_iteratorINS9_11use_defaultEEEsNS9_4plusIvEEsEEDaPvRmT3_T4_T5_mT6_P12ihipStream_tbENKUlT_T0_E_clISt17integral_constantIbLb1EESX_EEDaSS_ST_EUlSS_E_NS1_11comp_targetILNS1_3genE3ELNS1_11target_archE908ELNS1_3gpuE7ELNS1_3repE0EEENS1_30default_config_static_selectorELNS0_4arch9wavefront6targetE1EEEvT1_
                                        ; -- End function
	.section	.AMDGPU.csdata,"",@progbits
; Kernel info:
; codeLenInByte = 0
; NumSgprs: 4
; NumVgprs: 0
; NumAgprs: 0
; TotalNumVgprs: 0
; ScratchSize: 0
; MemoryBound: 0
; FloatMode: 240
; IeeeMode: 1
; LDSByteSize: 0 bytes/workgroup (compile time only)
; SGPRBlocks: 0
; VGPRBlocks: 0
; NumSGPRsForWavesPerEU: 4
; NumVGPRsForWavesPerEU: 1
; AccumOffset: 4
; Occupancy: 8
; WaveLimiterHint : 0
; COMPUTE_PGM_RSRC2:SCRATCH_EN: 0
; COMPUTE_PGM_RSRC2:USER_SGPR: 6
; COMPUTE_PGM_RSRC2:TRAP_HANDLER: 0
; COMPUTE_PGM_RSRC2:TGID_X_EN: 1
; COMPUTE_PGM_RSRC2:TGID_Y_EN: 0
; COMPUTE_PGM_RSRC2:TGID_Z_EN: 0
; COMPUTE_PGM_RSRC2:TIDIG_COMP_CNT: 0
; COMPUTE_PGM_RSRC3_GFX90A:ACCUM_OFFSET: 0
; COMPUTE_PGM_RSRC3_GFX90A:TG_SPLIT: 0
	.section	.text._ZN7rocprim17ROCPRIM_400000_NS6detail17trampoline_kernelINS0_14default_configENS1_20scan_config_selectorIsEEZZNS1_9scan_implILNS1_25lookback_scan_determinismE0ELb1ELb1ES3_N6thrust23THRUST_200600_302600_NS6detail15normal_iteratorINS9_10device_ptrIsEEEENS9_16discard_iteratorINS9_11use_defaultEEEsNS9_4plusIvEEsEEDaPvRmT3_T4_T5_mT6_P12ihipStream_tbENKUlT_T0_E_clISt17integral_constantIbLb1EESX_EEDaSS_ST_EUlSS_E_NS1_11comp_targetILNS1_3genE2ELNS1_11target_archE906ELNS1_3gpuE6ELNS1_3repE0EEENS1_30default_config_static_selectorELNS0_4arch9wavefront6targetE1EEEvT1_,"axG",@progbits,_ZN7rocprim17ROCPRIM_400000_NS6detail17trampoline_kernelINS0_14default_configENS1_20scan_config_selectorIsEEZZNS1_9scan_implILNS1_25lookback_scan_determinismE0ELb1ELb1ES3_N6thrust23THRUST_200600_302600_NS6detail15normal_iteratorINS9_10device_ptrIsEEEENS9_16discard_iteratorINS9_11use_defaultEEEsNS9_4plusIvEEsEEDaPvRmT3_T4_T5_mT6_P12ihipStream_tbENKUlT_T0_E_clISt17integral_constantIbLb1EESX_EEDaSS_ST_EUlSS_E_NS1_11comp_targetILNS1_3genE2ELNS1_11target_archE906ELNS1_3gpuE6ELNS1_3repE0EEENS1_30default_config_static_selectorELNS0_4arch9wavefront6targetE1EEEvT1_,comdat
	.protected	_ZN7rocprim17ROCPRIM_400000_NS6detail17trampoline_kernelINS0_14default_configENS1_20scan_config_selectorIsEEZZNS1_9scan_implILNS1_25lookback_scan_determinismE0ELb1ELb1ES3_N6thrust23THRUST_200600_302600_NS6detail15normal_iteratorINS9_10device_ptrIsEEEENS9_16discard_iteratorINS9_11use_defaultEEEsNS9_4plusIvEEsEEDaPvRmT3_T4_T5_mT6_P12ihipStream_tbENKUlT_T0_E_clISt17integral_constantIbLb1EESX_EEDaSS_ST_EUlSS_E_NS1_11comp_targetILNS1_3genE2ELNS1_11target_archE906ELNS1_3gpuE6ELNS1_3repE0EEENS1_30default_config_static_selectorELNS0_4arch9wavefront6targetE1EEEvT1_ ; -- Begin function _ZN7rocprim17ROCPRIM_400000_NS6detail17trampoline_kernelINS0_14default_configENS1_20scan_config_selectorIsEEZZNS1_9scan_implILNS1_25lookback_scan_determinismE0ELb1ELb1ES3_N6thrust23THRUST_200600_302600_NS6detail15normal_iteratorINS9_10device_ptrIsEEEENS9_16discard_iteratorINS9_11use_defaultEEEsNS9_4plusIvEEsEEDaPvRmT3_T4_T5_mT6_P12ihipStream_tbENKUlT_T0_E_clISt17integral_constantIbLb1EESX_EEDaSS_ST_EUlSS_E_NS1_11comp_targetILNS1_3genE2ELNS1_11target_archE906ELNS1_3gpuE6ELNS1_3repE0EEENS1_30default_config_static_selectorELNS0_4arch9wavefront6targetE1EEEvT1_
	.globl	_ZN7rocprim17ROCPRIM_400000_NS6detail17trampoline_kernelINS0_14default_configENS1_20scan_config_selectorIsEEZZNS1_9scan_implILNS1_25lookback_scan_determinismE0ELb1ELb1ES3_N6thrust23THRUST_200600_302600_NS6detail15normal_iteratorINS9_10device_ptrIsEEEENS9_16discard_iteratorINS9_11use_defaultEEEsNS9_4plusIvEEsEEDaPvRmT3_T4_T5_mT6_P12ihipStream_tbENKUlT_T0_E_clISt17integral_constantIbLb1EESX_EEDaSS_ST_EUlSS_E_NS1_11comp_targetILNS1_3genE2ELNS1_11target_archE906ELNS1_3gpuE6ELNS1_3repE0EEENS1_30default_config_static_selectorELNS0_4arch9wavefront6targetE1EEEvT1_
	.p2align	8
	.type	_ZN7rocprim17ROCPRIM_400000_NS6detail17trampoline_kernelINS0_14default_configENS1_20scan_config_selectorIsEEZZNS1_9scan_implILNS1_25lookback_scan_determinismE0ELb1ELb1ES3_N6thrust23THRUST_200600_302600_NS6detail15normal_iteratorINS9_10device_ptrIsEEEENS9_16discard_iteratorINS9_11use_defaultEEEsNS9_4plusIvEEsEEDaPvRmT3_T4_T5_mT6_P12ihipStream_tbENKUlT_T0_E_clISt17integral_constantIbLb1EESX_EEDaSS_ST_EUlSS_E_NS1_11comp_targetILNS1_3genE2ELNS1_11target_archE906ELNS1_3gpuE6ELNS1_3repE0EEENS1_30default_config_static_selectorELNS0_4arch9wavefront6targetE1EEEvT1_,@function
_ZN7rocprim17ROCPRIM_400000_NS6detail17trampoline_kernelINS0_14default_configENS1_20scan_config_selectorIsEEZZNS1_9scan_implILNS1_25lookback_scan_determinismE0ELb1ELb1ES3_N6thrust23THRUST_200600_302600_NS6detail15normal_iteratorINS9_10device_ptrIsEEEENS9_16discard_iteratorINS9_11use_defaultEEEsNS9_4plusIvEEsEEDaPvRmT3_T4_T5_mT6_P12ihipStream_tbENKUlT_T0_E_clISt17integral_constantIbLb1EESX_EEDaSS_ST_EUlSS_E_NS1_11comp_targetILNS1_3genE2ELNS1_11target_archE906ELNS1_3gpuE6ELNS1_3repE0EEENS1_30default_config_static_selectorELNS0_4arch9wavefront6targetE1EEEvT1_: ; @_ZN7rocprim17ROCPRIM_400000_NS6detail17trampoline_kernelINS0_14default_configENS1_20scan_config_selectorIsEEZZNS1_9scan_implILNS1_25lookback_scan_determinismE0ELb1ELb1ES3_N6thrust23THRUST_200600_302600_NS6detail15normal_iteratorINS9_10device_ptrIsEEEENS9_16discard_iteratorINS9_11use_defaultEEEsNS9_4plusIvEEsEEDaPvRmT3_T4_T5_mT6_P12ihipStream_tbENKUlT_T0_E_clISt17integral_constantIbLb1EESX_EEDaSS_ST_EUlSS_E_NS1_11comp_targetILNS1_3genE2ELNS1_11target_archE906ELNS1_3gpuE6ELNS1_3repE0EEENS1_30default_config_static_selectorELNS0_4arch9wavefront6targetE1EEEvT1_
; %bb.0:
	.section	.rodata,"a",@progbits
	.p2align	6, 0x0
	.amdhsa_kernel _ZN7rocprim17ROCPRIM_400000_NS6detail17trampoline_kernelINS0_14default_configENS1_20scan_config_selectorIsEEZZNS1_9scan_implILNS1_25lookback_scan_determinismE0ELb1ELb1ES3_N6thrust23THRUST_200600_302600_NS6detail15normal_iteratorINS9_10device_ptrIsEEEENS9_16discard_iteratorINS9_11use_defaultEEEsNS9_4plusIvEEsEEDaPvRmT3_T4_T5_mT6_P12ihipStream_tbENKUlT_T0_E_clISt17integral_constantIbLb1EESX_EEDaSS_ST_EUlSS_E_NS1_11comp_targetILNS1_3genE2ELNS1_11target_archE906ELNS1_3gpuE6ELNS1_3repE0EEENS1_30default_config_static_selectorELNS0_4arch9wavefront6targetE1EEEvT1_
		.amdhsa_group_segment_fixed_size 0
		.amdhsa_private_segment_fixed_size 0
		.amdhsa_kernarg_size 104
		.amdhsa_user_sgpr_count 6
		.amdhsa_user_sgpr_private_segment_buffer 1
		.amdhsa_user_sgpr_dispatch_ptr 0
		.amdhsa_user_sgpr_queue_ptr 0
		.amdhsa_user_sgpr_kernarg_segment_ptr 1
		.amdhsa_user_sgpr_dispatch_id 0
		.amdhsa_user_sgpr_flat_scratch_init 0
		.amdhsa_user_sgpr_kernarg_preload_length 0
		.amdhsa_user_sgpr_kernarg_preload_offset 0
		.amdhsa_user_sgpr_private_segment_size 0
		.amdhsa_uses_dynamic_stack 0
		.amdhsa_system_sgpr_private_segment_wavefront_offset 0
		.amdhsa_system_sgpr_workgroup_id_x 1
		.amdhsa_system_sgpr_workgroup_id_y 0
		.amdhsa_system_sgpr_workgroup_id_z 0
		.amdhsa_system_sgpr_workgroup_info 0
		.amdhsa_system_vgpr_workitem_id 0
		.amdhsa_next_free_vgpr 1
		.amdhsa_next_free_sgpr 0
		.amdhsa_accum_offset 4
		.amdhsa_reserve_vcc 0
		.amdhsa_reserve_flat_scratch 0
		.amdhsa_float_round_mode_32 0
		.amdhsa_float_round_mode_16_64 0
		.amdhsa_float_denorm_mode_32 3
		.amdhsa_float_denorm_mode_16_64 3
		.amdhsa_dx10_clamp 1
		.amdhsa_ieee_mode 1
		.amdhsa_fp16_overflow 0
		.amdhsa_tg_split 0
		.amdhsa_exception_fp_ieee_invalid_op 0
		.amdhsa_exception_fp_denorm_src 0
		.amdhsa_exception_fp_ieee_div_zero 0
		.amdhsa_exception_fp_ieee_overflow 0
		.amdhsa_exception_fp_ieee_underflow 0
		.amdhsa_exception_fp_ieee_inexact 0
		.amdhsa_exception_int_div_zero 0
	.end_amdhsa_kernel
	.section	.text._ZN7rocprim17ROCPRIM_400000_NS6detail17trampoline_kernelINS0_14default_configENS1_20scan_config_selectorIsEEZZNS1_9scan_implILNS1_25lookback_scan_determinismE0ELb1ELb1ES3_N6thrust23THRUST_200600_302600_NS6detail15normal_iteratorINS9_10device_ptrIsEEEENS9_16discard_iteratorINS9_11use_defaultEEEsNS9_4plusIvEEsEEDaPvRmT3_T4_T5_mT6_P12ihipStream_tbENKUlT_T0_E_clISt17integral_constantIbLb1EESX_EEDaSS_ST_EUlSS_E_NS1_11comp_targetILNS1_3genE2ELNS1_11target_archE906ELNS1_3gpuE6ELNS1_3repE0EEENS1_30default_config_static_selectorELNS0_4arch9wavefront6targetE1EEEvT1_,"axG",@progbits,_ZN7rocprim17ROCPRIM_400000_NS6detail17trampoline_kernelINS0_14default_configENS1_20scan_config_selectorIsEEZZNS1_9scan_implILNS1_25lookback_scan_determinismE0ELb1ELb1ES3_N6thrust23THRUST_200600_302600_NS6detail15normal_iteratorINS9_10device_ptrIsEEEENS9_16discard_iteratorINS9_11use_defaultEEEsNS9_4plusIvEEsEEDaPvRmT3_T4_T5_mT6_P12ihipStream_tbENKUlT_T0_E_clISt17integral_constantIbLb1EESX_EEDaSS_ST_EUlSS_E_NS1_11comp_targetILNS1_3genE2ELNS1_11target_archE906ELNS1_3gpuE6ELNS1_3repE0EEENS1_30default_config_static_selectorELNS0_4arch9wavefront6targetE1EEEvT1_,comdat
.Lfunc_end5964:
	.size	_ZN7rocprim17ROCPRIM_400000_NS6detail17trampoline_kernelINS0_14default_configENS1_20scan_config_selectorIsEEZZNS1_9scan_implILNS1_25lookback_scan_determinismE0ELb1ELb1ES3_N6thrust23THRUST_200600_302600_NS6detail15normal_iteratorINS9_10device_ptrIsEEEENS9_16discard_iteratorINS9_11use_defaultEEEsNS9_4plusIvEEsEEDaPvRmT3_T4_T5_mT6_P12ihipStream_tbENKUlT_T0_E_clISt17integral_constantIbLb1EESX_EEDaSS_ST_EUlSS_E_NS1_11comp_targetILNS1_3genE2ELNS1_11target_archE906ELNS1_3gpuE6ELNS1_3repE0EEENS1_30default_config_static_selectorELNS0_4arch9wavefront6targetE1EEEvT1_, .Lfunc_end5964-_ZN7rocprim17ROCPRIM_400000_NS6detail17trampoline_kernelINS0_14default_configENS1_20scan_config_selectorIsEEZZNS1_9scan_implILNS1_25lookback_scan_determinismE0ELb1ELb1ES3_N6thrust23THRUST_200600_302600_NS6detail15normal_iteratorINS9_10device_ptrIsEEEENS9_16discard_iteratorINS9_11use_defaultEEEsNS9_4plusIvEEsEEDaPvRmT3_T4_T5_mT6_P12ihipStream_tbENKUlT_T0_E_clISt17integral_constantIbLb1EESX_EEDaSS_ST_EUlSS_E_NS1_11comp_targetILNS1_3genE2ELNS1_11target_archE906ELNS1_3gpuE6ELNS1_3repE0EEENS1_30default_config_static_selectorELNS0_4arch9wavefront6targetE1EEEvT1_
                                        ; -- End function
	.section	.AMDGPU.csdata,"",@progbits
; Kernel info:
; codeLenInByte = 0
; NumSgprs: 4
; NumVgprs: 0
; NumAgprs: 0
; TotalNumVgprs: 0
; ScratchSize: 0
; MemoryBound: 0
; FloatMode: 240
; IeeeMode: 1
; LDSByteSize: 0 bytes/workgroup (compile time only)
; SGPRBlocks: 0
; VGPRBlocks: 0
; NumSGPRsForWavesPerEU: 4
; NumVGPRsForWavesPerEU: 1
; AccumOffset: 4
; Occupancy: 8
; WaveLimiterHint : 0
; COMPUTE_PGM_RSRC2:SCRATCH_EN: 0
; COMPUTE_PGM_RSRC2:USER_SGPR: 6
; COMPUTE_PGM_RSRC2:TRAP_HANDLER: 0
; COMPUTE_PGM_RSRC2:TGID_X_EN: 1
; COMPUTE_PGM_RSRC2:TGID_Y_EN: 0
; COMPUTE_PGM_RSRC2:TGID_Z_EN: 0
; COMPUTE_PGM_RSRC2:TIDIG_COMP_CNT: 0
; COMPUTE_PGM_RSRC3_GFX90A:ACCUM_OFFSET: 0
; COMPUTE_PGM_RSRC3_GFX90A:TG_SPLIT: 0
	.section	.text._ZN7rocprim17ROCPRIM_400000_NS6detail17trampoline_kernelINS0_14default_configENS1_20scan_config_selectorIsEEZZNS1_9scan_implILNS1_25lookback_scan_determinismE0ELb1ELb1ES3_N6thrust23THRUST_200600_302600_NS6detail15normal_iteratorINS9_10device_ptrIsEEEENS9_16discard_iteratorINS9_11use_defaultEEEsNS9_4plusIvEEsEEDaPvRmT3_T4_T5_mT6_P12ihipStream_tbENKUlT_T0_E_clISt17integral_constantIbLb1EESX_EEDaSS_ST_EUlSS_E_NS1_11comp_targetILNS1_3genE10ELNS1_11target_archE1201ELNS1_3gpuE5ELNS1_3repE0EEENS1_30default_config_static_selectorELNS0_4arch9wavefront6targetE1EEEvT1_,"axG",@progbits,_ZN7rocprim17ROCPRIM_400000_NS6detail17trampoline_kernelINS0_14default_configENS1_20scan_config_selectorIsEEZZNS1_9scan_implILNS1_25lookback_scan_determinismE0ELb1ELb1ES3_N6thrust23THRUST_200600_302600_NS6detail15normal_iteratorINS9_10device_ptrIsEEEENS9_16discard_iteratorINS9_11use_defaultEEEsNS9_4plusIvEEsEEDaPvRmT3_T4_T5_mT6_P12ihipStream_tbENKUlT_T0_E_clISt17integral_constantIbLb1EESX_EEDaSS_ST_EUlSS_E_NS1_11comp_targetILNS1_3genE10ELNS1_11target_archE1201ELNS1_3gpuE5ELNS1_3repE0EEENS1_30default_config_static_selectorELNS0_4arch9wavefront6targetE1EEEvT1_,comdat
	.protected	_ZN7rocprim17ROCPRIM_400000_NS6detail17trampoline_kernelINS0_14default_configENS1_20scan_config_selectorIsEEZZNS1_9scan_implILNS1_25lookback_scan_determinismE0ELb1ELb1ES3_N6thrust23THRUST_200600_302600_NS6detail15normal_iteratorINS9_10device_ptrIsEEEENS9_16discard_iteratorINS9_11use_defaultEEEsNS9_4plusIvEEsEEDaPvRmT3_T4_T5_mT6_P12ihipStream_tbENKUlT_T0_E_clISt17integral_constantIbLb1EESX_EEDaSS_ST_EUlSS_E_NS1_11comp_targetILNS1_3genE10ELNS1_11target_archE1201ELNS1_3gpuE5ELNS1_3repE0EEENS1_30default_config_static_selectorELNS0_4arch9wavefront6targetE1EEEvT1_ ; -- Begin function _ZN7rocprim17ROCPRIM_400000_NS6detail17trampoline_kernelINS0_14default_configENS1_20scan_config_selectorIsEEZZNS1_9scan_implILNS1_25lookback_scan_determinismE0ELb1ELb1ES3_N6thrust23THRUST_200600_302600_NS6detail15normal_iteratorINS9_10device_ptrIsEEEENS9_16discard_iteratorINS9_11use_defaultEEEsNS9_4plusIvEEsEEDaPvRmT3_T4_T5_mT6_P12ihipStream_tbENKUlT_T0_E_clISt17integral_constantIbLb1EESX_EEDaSS_ST_EUlSS_E_NS1_11comp_targetILNS1_3genE10ELNS1_11target_archE1201ELNS1_3gpuE5ELNS1_3repE0EEENS1_30default_config_static_selectorELNS0_4arch9wavefront6targetE1EEEvT1_
	.globl	_ZN7rocprim17ROCPRIM_400000_NS6detail17trampoline_kernelINS0_14default_configENS1_20scan_config_selectorIsEEZZNS1_9scan_implILNS1_25lookback_scan_determinismE0ELb1ELb1ES3_N6thrust23THRUST_200600_302600_NS6detail15normal_iteratorINS9_10device_ptrIsEEEENS9_16discard_iteratorINS9_11use_defaultEEEsNS9_4plusIvEEsEEDaPvRmT3_T4_T5_mT6_P12ihipStream_tbENKUlT_T0_E_clISt17integral_constantIbLb1EESX_EEDaSS_ST_EUlSS_E_NS1_11comp_targetILNS1_3genE10ELNS1_11target_archE1201ELNS1_3gpuE5ELNS1_3repE0EEENS1_30default_config_static_selectorELNS0_4arch9wavefront6targetE1EEEvT1_
	.p2align	8
	.type	_ZN7rocprim17ROCPRIM_400000_NS6detail17trampoline_kernelINS0_14default_configENS1_20scan_config_selectorIsEEZZNS1_9scan_implILNS1_25lookback_scan_determinismE0ELb1ELb1ES3_N6thrust23THRUST_200600_302600_NS6detail15normal_iteratorINS9_10device_ptrIsEEEENS9_16discard_iteratorINS9_11use_defaultEEEsNS9_4plusIvEEsEEDaPvRmT3_T4_T5_mT6_P12ihipStream_tbENKUlT_T0_E_clISt17integral_constantIbLb1EESX_EEDaSS_ST_EUlSS_E_NS1_11comp_targetILNS1_3genE10ELNS1_11target_archE1201ELNS1_3gpuE5ELNS1_3repE0EEENS1_30default_config_static_selectorELNS0_4arch9wavefront6targetE1EEEvT1_,@function
_ZN7rocprim17ROCPRIM_400000_NS6detail17trampoline_kernelINS0_14default_configENS1_20scan_config_selectorIsEEZZNS1_9scan_implILNS1_25lookback_scan_determinismE0ELb1ELb1ES3_N6thrust23THRUST_200600_302600_NS6detail15normal_iteratorINS9_10device_ptrIsEEEENS9_16discard_iteratorINS9_11use_defaultEEEsNS9_4plusIvEEsEEDaPvRmT3_T4_T5_mT6_P12ihipStream_tbENKUlT_T0_E_clISt17integral_constantIbLb1EESX_EEDaSS_ST_EUlSS_E_NS1_11comp_targetILNS1_3genE10ELNS1_11target_archE1201ELNS1_3gpuE5ELNS1_3repE0EEENS1_30default_config_static_selectorELNS0_4arch9wavefront6targetE1EEEvT1_: ; @_ZN7rocprim17ROCPRIM_400000_NS6detail17trampoline_kernelINS0_14default_configENS1_20scan_config_selectorIsEEZZNS1_9scan_implILNS1_25lookback_scan_determinismE0ELb1ELb1ES3_N6thrust23THRUST_200600_302600_NS6detail15normal_iteratorINS9_10device_ptrIsEEEENS9_16discard_iteratorINS9_11use_defaultEEEsNS9_4plusIvEEsEEDaPvRmT3_T4_T5_mT6_P12ihipStream_tbENKUlT_T0_E_clISt17integral_constantIbLb1EESX_EEDaSS_ST_EUlSS_E_NS1_11comp_targetILNS1_3genE10ELNS1_11target_archE1201ELNS1_3gpuE5ELNS1_3repE0EEENS1_30default_config_static_selectorELNS0_4arch9wavefront6targetE1EEEvT1_
; %bb.0:
	.section	.rodata,"a",@progbits
	.p2align	6, 0x0
	.amdhsa_kernel _ZN7rocprim17ROCPRIM_400000_NS6detail17trampoline_kernelINS0_14default_configENS1_20scan_config_selectorIsEEZZNS1_9scan_implILNS1_25lookback_scan_determinismE0ELb1ELb1ES3_N6thrust23THRUST_200600_302600_NS6detail15normal_iteratorINS9_10device_ptrIsEEEENS9_16discard_iteratorINS9_11use_defaultEEEsNS9_4plusIvEEsEEDaPvRmT3_T4_T5_mT6_P12ihipStream_tbENKUlT_T0_E_clISt17integral_constantIbLb1EESX_EEDaSS_ST_EUlSS_E_NS1_11comp_targetILNS1_3genE10ELNS1_11target_archE1201ELNS1_3gpuE5ELNS1_3repE0EEENS1_30default_config_static_selectorELNS0_4arch9wavefront6targetE1EEEvT1_
		.amdhsa_group_segment_fixed_size 0
		.amdhsa_private_segment_fixed_size 0
		.amdhsa_kernarg_size 104
		.amdhsa_user_sgpr_count 6
		.amdhsa_user_sgpr_private_segment_buffer 1
		.amdhsa_user_sgpr_dispatch_ptr 0
		.amdhsa_user_sgpr_queue_ptr 0
		.amdhsa_user_sgpr_kernarg_segment_ptr 1
		.amdhsa_user_sgpr_dispatch_id 0
		.amdhsa_user_sgpr_flat_scratch_init 0
		.amdhsa_user_sgpr_kernarg_preload_length 0
		.amdhsa_user_sgpr_kernarg_preload_offset 0
		.amdhsa_user_sgpr_private_segment_size 0
		.amdhsa_uses_dynamic_stack 0
		.amdhsa_system_sgpr_private_segment_wavefront_offset 0
		.amdhsa_system_sgpr_workgroup_id_x 1
		.amdhsa_system_sgpr_workgroup_id_y 0
		.amdhsa_system_sgpr_workgroup_id_z 0
		.amdhsa_system_sgpr_workgroup_info 0
		.amdhsa_system_vgpr_workitem_id 0
		.amdhsa_next_free_vgpr 1
		.amdhsa_next_free_sgpr 0
		.amdhsa_accum_offset 4
		.amdhsa_reserve_vcc 0
		.amdhsa_reserve_flat_scratch 0
		.amdhsa_float_round_mode_32 0
		.amdhsa_float_round_mode_16_64 0
		.amdhsa_float_denorm_mode_32 3
		.amdhsa_float_denorm_mode_16_64 3
		.amdhsa_dx10_clamp 1
		.amdhsa_ieee_mode 1
		.amdhsa_fp16_overflow 0
		.amdhsa_tg_split 0
		.amdhsa_exception_fp_ieee_invalid_op 0
		.amdhsa_exception_fp_denorm_src 0
		.amdhsa_exception_fp_ieee_div_zero 0
		.amdhsa_exception_fp_ieee_overflow 0
		.amdhsa_exception_fp_ieee_underflow 0
		.amdhsa_exception_fp_ieee_inexact 0
		.amdhsa_exception_int_div_zero 0
	.end_amdhsa_kernel
	.section	.text._ZN7rocprim17ROCPRIM_400000_NS6detail17trampoline_kernelINS0_14default_configENS1_20scan_config_selectorIsEEZZNS1_9scan_implILNS1_25lookback_scan_determinismE0ELb1ELb1ES3_N6thrust23THRUST_200600_302600_NS6detail15normal_iteratorINS9_10device_ptrIsEEEENS9_16discard_iteratorINS9_11use_defaultEEEsNS9_4plusIvEEsEEDaPvRmT3_T4_T5_mT6_P12ihipStream_tbENKUlT_T0_E_clISt17integral_constantIbLb1EESX_EEDaSS_ST_EUlSS_E_NS1_11comp_targetILNS1_3genE10ELNS1_11target_archE1201ELNS1_3gpuE5ELNS1_3repE0EEENS1_30default_config_static_selectorELNS0_4arch9wavefront6targetE1EEEvT1_,"axG",@progbits,_ZN7rocprim17ROCPRIM_400000_NS6detail17trampoline_kernelINS0_14default_configENS1_20scan_config_selectorIsEEZZNS1_9scan_implILNS1_25lookback_scan_determinismE0ELb1ELb1ES3_N6thrust23THRUST_200600_302600_NS6detail15normal_iteratorINS9_10device_ptrIsEEEENS9_16discard_iteratorINS9_11use_defaultEEEsNS9_4plusIvEEsEEDaPvRmT3_T4_T5_mT6_P12ihipStream_tbENKUlT_T0_E_clISt17integral_constantIbLb1EESX_EEDaSS_ST_EUlSS_E_NS1_11comp_targetILNS1_3genE10ELNS1_11target_archE1201ELNS1_3gpuE5ELNS1_3repE0EEENS1_30default_config_static_selectorELNS0_4arch9wavefront6targetE1EEEvT1_,comdat
.Lfunc_end5965:
	.size	_ZN7rocprim17ROCPRIM_400000_NS6detail17trampoline_kernelINS0_14default_configENS1_20scan_config_selectorIsEEZZNS1_9scan_implILNS1_25lookback_scan_determinismE0ELb1ELb1ES3_N6thrust23THRUST_200600_302600_NS6detail15normal_iteratorINS9_10device_ptrIsEEEENS9_16discard_iteratorINS9_11use_defaultEEEsNS9_4plusIvEEsEEDaPvRmT3_T4_T5_mT6_P12ihipStream_tbENKUlT_T0_E_clISt17integral_constantIbLb1EESX_EEDaSS_ST_EUlSS_E_NS1_11comp_targetILNS1_3genE10ELNS1_11target_archE1201ELNS1_3gpuE5ELNS1_3repE0EEENS1_30default_config_static_selectorELNS0_4arch9wavefront6targetE1EEEvT1_, .Lfunc_end5965-_ZN7rocprim17ROCPRIM_400000_NS6detail17trampoline_kernelINS0_14default_configENS1_20scan_config_selectorIsEEZZNS1_9scan_implILNS1_25lookback_scan_determinismE0ELb1ELb1ES3_N6thrust23THRUST_200600_302600_NS6detail15normal_iteratorINS9_10device_ptrIsEEEENS9_16discard_iteratorINS9_11use_defaultEEEsNS9_4plusIvEEsEEDaPvRmT3_T4_T5_mT6_P12ihipStream_tbENKUlT_T0_E_clISt17integral_constantIbLb1EESX_EEDaSS_ST_EUlSS_E_NS1_11comp_targetILNS1_3genE10ELNS1_11target_archE1201ELNS1_3gpuE5ELNS1_3repE0EEENS1_30default_config_static_selectorELNS0_4arch9wavefront6targetE1EEEvT1_
                                        ; -- End function
	.section	.AMDGPU.csdata,"",@progbits
; Kernel info:
; codeLenInByte = 0
; NumSgprs: 4
; NumVgprs: 0
; NumAgprs: 0
; TotalNumVgprs: 0
; ScratchSize: 0
; MemoryBound: 0
; FloatMode: 240
; IeeeMode: 1
; LDSByteSize: 0 bytes/workgroup (compile time only)
; SGPRBlocks: 0
; VGPRBlocks: 0
; NumSGPRsForWavesPerEU: 4
; NumVGPRsForWavesPerEU: 1
; AccumOffset: 4
; Occupancy: 8
; WaveLimiterHint : 0
; COMPUTE_PGM_RSRC2:SCRATCH_EN: 0
; COMPUTE_PGM_RSRC2:USER_SGPR: 6
; COMPUTE_PGM_RSRC2:TRAP_HANDLER: 0
; COMPUTE_PGM_RSRC2:TGID_X_EN: 1
; COMPUTE_PGM_RSRC2:TGID_Y_EN: 0
; COMPUTE_PGM_RSRC2:TGID_Z_EN: 0
; COMPUTE_PGM_RSRC2:TIDIG_COMP_CNT: 0
; COMPUTE_PGM_RSRC3_GFX90A:ACCUM_OFFSET: 0
; COMPUTE_PGM_RSRC3_GFX90A:TG_SPLIT: 0
	.section	.text._ZN7rocprim17ROCPRIM_400000_NS6detail17trampoline_kernelINS0_14default_configENS1_20scan_config_selectorIsEEZZNS1_9scan_implILNS1_25lookback_scan_determinismE0ELb1ELb1ES3_N6thrust23THRUST_200600_302600_NS6detail15normal_iteratorINS9_10device_ptrIsEEEENS9_16discard_iteratorINS9_11use_defaultEEEsNS9_4plusIvEEsEEDaPvRmT3_T4_T5_mT6_P12ihipStream_tbENKUlT_T0_E_clISt17integral_constantIbLb1EESX_EEDaSS_ST_EUlSS_E_NS1_11comp_targetILNS1_3genE10ELNS1_11target_archE1200ELNS1_3gpuE4ELNS1_3repE0EEENS1_30default_config_static_selectorELNS0_4arch9wavefront6targetE1EEEvT1_,"axG",@progbits,_ZN7rocprim17ROCPRIM_400000_NS6detail17trampoline_kernelINS0_14default_configENS1_20scan_config_selectorIsEEZZNS1_9scan_implILNS1_25lookback_scan_determinismE0ELb1ELb1ES3_N6thrust23THRUST_200600_302600_NS6detail15normal_iteratorINS9_10device_ptrIsEEEENS9_16discard_iteratorINS9_11use_defaultEEEsNS9_4plusIvEEsEEDaPvRmT3_T4_T5_mT6_P12ihipStream_tbENKUlT_T0_E_clISt17integral_constantIbLb1EESX_EEDaSS_ST_EUlSS_E_NS1_11comp_targetILNS1_3genE10ELNS1_11target_archE1200ELNS1_3gpuE4ELNS1_3repE0EEENS1_30default_config_static_selectorELNS0_4arch9wavefront6targetE1EEEvT1_,comdat
	.protected	_ZN7rocprim17ROCPRIM_400000_NS6detail17trampoline_kernelINS0_14default_configENS1_20scan_config_selectorIsEEZZNS1_9scan_implILNS1_25lookback_scan_determinismE0ELb1ELb1ES3_N6thrust23THRUST_200600_302600_NS6detail15normal_iteratorINS9_10device_ptrIsEEEENS9_16discard_iteratorINS9_11use_defaultEEEsNS9_4plusIvEEsEEDaPvRmT3_T4_T5_mT6_P12ihipStream_tbENKUlT_T0_E_clISt17integral_constantIbLb1EESX_EEDaSS_ST_EUlSS_E_NS1_11comp_targetILNS1_3genE10ELNS1_11target_archE1200ELNS1_3gpuE4ELNS1_3repE0EEENS1_30default_config_static_selectorELNS0_4arch9wavefront6targetE1EEEvT1_ ; -- Begin function _ZN7rocprim17ROCPRIM_400000_NS6detail17trampoline_kernelINS0_14default_configENS1_20scan_config_selectorIsEEZZNS1_9scan_implILNS1_25lookback_scan_determinismE0ELb1ELb1ES3_N6thrust23THRUST_200600_302600_NS6detail15normal_iteratorINS9_10device_ptrIsEEEENS9_16discard_iteratorINS9_11use_defaultEEEsNS9_4plusIvEEsEEDaPvRmT3_T4_T5_mT6_P12ihipStream_tbENKUlT_T0_E_clISt17integral_constantIbLb1EESX_EEDaSS_ST_EUlSS_E_NS1_11comp_targetILNS1_3genE10ELNS1_11target_archE1200ELNS1_3gpuE4ELNS1_3repE0EEENS1_30default_config_static_selectorELNS0_4arch9wavefront6targetE1EEEvT1_
	.globl	_ZN7rocprim17ROCPRIM_400000_NS6detail17trampoline_kernelINS0_14default_configENS1_20scan_config_selectorIsEEZZNS1_9scan_implILNS1_25lookback_scan_determinismE0ELb1ELb1ES3_N6thrust23THRUST_200600_302600_NS6detail15normal_iteratorINS9_10device_ptrIsEEEENS9_16discard_iteratorINS9_11use_defaultEEEsNS9_4plusIvEEsEEDaPvRmT3_T4_T5_mT6_P12ihipStream_tbENKUlT_T0_E_clISt17integral_constantIbLb1EESX_EEDaSS_ST_EUlSS_E_NS1_11comp_targetILNS1_3genE10ELNS1_11target_archE1200ELNS1_3gpuE4ELNS1_3repE0EEENS1_30default_config_static_selectorELNS0_4arch9wavefront6targetE1EEEvT1_
	.p2align	8
	.type	_ZN7rocprim17ROCPRIM_400000_NS6detail17trampoline_kernelINS0_14default_configENS1_20scan_config_selectorIsEEZZNS1_9scan_implILNS1_25lookback_scan_determinismE0ELb1ELb1ES3_N6thrust23THRUST_200600_302600_NS6detail15normal_iteratorINS9_10device_ptrIsEEEENS9_16discard_iteratorINS9_11use_defaultEEEsNS9_4plusIvEEsEEDaPvRmT3_T4_T5_mT6_P12ihipStream_tbENKUlT_T0_E_clISt17integral_constantIbLb1EESX_EEDaSS_ST_EUlSS_E_NS1_11comp_targetILNS1_3genE10ELNS1_11target_archE1200ELNS1_3gpuE4ELNS1_3repE0EEENS1_30default_config_static_selectorELNS0_4arch9wavefront6targetE1EEEvT1_,@function
_ZN7rocprim17ROCPRIM_400000_NS6detail17trampoline_kernelINS0_14default_configENS1_20scan_config_selectorIsEEZZNS1_9scan_implILNS1_25lookback_scan_determinismE0ELb1ELb1ES3_N6thrust23THRUST_200600_302600_NS6detail15normal_iteratorINS9_10device_ptrIsEEEENS9_16discard_iteratorINS9_11use_defaultEEEsNS9_4plusIvEEsEEDaPvRmT3_T4_T5_mT6_P12ihipStream_tbENKUlT_T0_E_clISt17integral_constantIbLb1EESX_EEDaSS_ST_EUlSS_E_NS1_11comp_targetILNS1_3genE10ELNS1_11target_archE1200ELNS1_3gpuE4ELNS1_3repE0EEENS1_30default_config_static_selectorELNS0_4arch9wavefront6targetE1EEEvT1_: ; @_ZN7rocprim17ROCPRIM_400000_NS6detail17trampoline_kernelINS0_14default_configENS1_20scan_config_selectorIsEEZZNS1_9scan_implILNS1_25lookback_scan_determinismE0ELb1ELb1ES3_N6thrust23THRUST_200600_302600_NS6detail15normal_iteratorINS9_10device_ptrIsEEEENS9_16discard_iteratorINS9_11use_defaultEEEsNS9_4plusIvEEsEEDaPvRmT3_T4_T5_mT6_P12ihipStream_tbENKUlT_T0_E_clISt17integral_constantIbLb1EESX_EEDaSS_ST_EUlSS_E_NS1_11comp_targetILNS1_3genE10ELNS1_11target_archE1200ELNS1_3gpuE4ELNS1_3repE0EEENS1_30default_config_static_selectorELNS0_4arch9wavefront6targetE1EEEvT1_
; %bb.0:
	.section	.rodata,"a",@progbits
	.p2align	6, 0x0
	.amdhsa_kernel _ZN7rocprim17ROCPRIM_400000_NS6detail17trampoline_kernelINS0_14default_configENS1_20scan_config_selectorIsEEZZNS1_9scan_implILNS1_25lookback_scan_determinismE0ELb1ELb1ES3_N6thrust23THRUST_200600_302600_NS6detail15normal_iteratorINS9_10device_ptrIsEEEENS9_16discard_iteratorINS9_11use_defaultEEEsNS9_4plusIvEEsEEDaPvRmT3_T4_T5_mT6_P12ihipStream_tbENKUlT_T0_E_clISt17integral_constantIbLb1EESX_EEDaSS_ST_EUlSS_E_NS1_11comp_targetILNS1_3genE10ELNS1_11target_archE1200ELNS1_3gpuE4ELNS1_3repE0EEENS1_30default_config_static_selectorELNS0_4arch9wavefront6targetE1EEEvT1_
		.amdhsa_group_segment_fixed_size 0
		.amdhsa_private_segment_fixed_size 0
		.amdhsa_kernarg_size 104
		.amdhsa_user_sgpr_count 6
		.amdhsa_user_sgpr_private_segment_buffer 1
		.amdhsa_user_sgpr_dispatch_ptr 0
		.amdhsa_user_sgpr_queue_ptr 0
		.amdhsa_user_sgpr_kernarg_segment_ptr 1
		.amdhsa_user_sgpr_dispatch_id 0
		.amdhsa_user_sgpr_flat_scratch_init 0
		.amdhsa_user_sgpr_kernarg_preload_length 0
		.amdhsa_user_sgpr_kernarg_preload_offset 0
		.amdhsa_user_sgpr_private_segment_size 0
		.amdhsa_uses_dynamic_stack 0
		.amdhsa_system_sgpr_private_segment_wavefront_offset 0
		.amdhsa_system_sgpr_workgroup_id_x 1
		.amdhsa_system_sgpr_workgroup_id_y 0
		.amdhsa_system_sgpr_workgroup_id_z 0
		.amdhsa_system_sgpr_workgroup_info 0
		.amdhsa_system_vgpr_workitem_id 0
		.amdhsa_next_free_vgpr 1
		.amdhsa_next_free_sgpr 0
		.amdhsa_accum_offset 4
		.amdhsa_reserve_vcc 0
		.amdhsa_reserve_flat_scratch 0
		.amdhsa_float_round_mode_32 0
		.amdhsa_float_round_mode_16_64 0
		.amdhsa_float_denorm_mode_32 3
		.amdhsa_float_denorm_mode_16_64 3
		.amdhsa_dx10_clamp 1
		.amdhsa_ieee_mode 1
		.amdhsa_fp16_overflow 0
		.amdhsa_tg_split 0
		.amdhsa_exception_fp_ieee_invalid_op 0
		.amdhsa_exception_fp_denorm_src 0
		.amdhsa_exception_fp_ieee_div_zero 0
		.amdhsa_exception_fp_ieee_overflow 0
		.amdhsa_exception_fp_ieee_underflow 0
		.amdhsa_exception_fp_ieee_inexact 0
		.amdhsa_exception_int_div_zero 0
	.end_amdhsa_kernel
	.section	.text._ZN7rocprim17ROCPRIM_400000_NS6detail17trampoline_kernelINS0_14default_configENS1_20scan_config_selectorIsEEZZNS1_9scan_implILNS1_25lookback_scan_determinismE0ELb1ELb1ES3_N6thrust23THRUST_200600_302600_NS6detail15normal_iteratorINS9_10device_ptrIsEEEENS9_16discard_iteratorINS9_11use_defaultEEEsNS9_4plusIvEEsEEDaPvRmT3_T4_T5_mT6_P12ihipStream_tbENKUlT_T0_E_clISt17integral_constantIbLb1EESX_EEDaSS_ST_EUlSS_E_NS1_11comp_targetILNS1_3genE10ELNS1_11target_archE1200ELNS1_3gpuE4ELNS1_3repE0EEENS1_30default_config_static_selectorELNS0_4arch9wavefront6targetE1EEEvT1_,"axG",@progbits,_ZN7rocprim17ROCPRIM_400000_NS6detail17trampoline_kernelINS0_14default_configENS1_20scan_config_selectorIsEEZZNS1_9scan_implILNS1_25lookback_scan_determinismE0ELb1ELb1ES3_N6thrust23THRUST_200600_302600_NS6detail15normal_iteratorINS9_10device_ptrIsEEEENS9_16discard_iteratorINS9_11use_defaultEEEsNS9_4plusIvEEsEEDaPvRmT3_T4_T5_mT6_P12ihipStream_tbENKUlT_T0_E_clISt17integral_constantIbLb1EESX_EEDaSS_ST_EUlSS_E_NS1_11comp_targetILNS1_3genE10ELNS1_11target_archE1200ELNS1_3gpuE4ELNS1_3repE0EEENS1_30default_config_static_selectorELNS0_4arch9wavefront6targetE1EEEvT1_,comdat
.Lfunc_end5966:
	.size	_ZN7rocprim17ROCPRIM_400000_NS6detail17trampoline_kernelINS0_14default_configENS1_20scan_config_selectorIsEEZZNS1_9scan_implILNS1_25lookback_scan_determinismE0ELb1ELb1ES3_N6thrust23THRUST_200600_302600_NS6detail15normal_iteratorINS9_10device_ptrIsEEEENS9_16discard_iteratorINS9_11use_defaultEEEsNS9_4plusIvEEsEEDaPvRmT3_T4_T5_mT6_P12ihipStream_tbENKUlT_T0_E_clISt17integral_constantIbLb1EESX_EEDaSS_ST_EUlSS_E_NS1_11comp_targetILNS1_3genE10ELNS1_11target_archE1200ELNS1_3gpuE4ELNS1_3repE0EEENS1_30default_config_static_selectorELNS0_4arch9wavefront6targetE1EEEvT1_, .Lfunc_end5966-_ZN7rocprim17ROCPRIM_400000_NS6detail17trampoline_kernelINS0_14default_configENS1_20scan_config_selectorIsEEZZNS1_9scan_implILNS1_25lookback_scan_determinismE0ELb1ELb1ES3_N6thrust23THRUST_200600_302600_NS6detail15normal_iteratorINS9_10device_ptrIsEEEENS9_16discard_iteratorINS9_11use_defaultEEEsNS9_4plusIvEEsEEDaPvRmT3_T4_T5_mT6_P12ihipStream_tbENKUlT_T0_E_clISt17integral_constantIbLb1EESX_EEDaSS_ST_EUlSS_E_NS1_11comp_targetILNS1_3genE10ELNS1_11target_archE1200ELNS1_3gpuE4ELNS1_3repE0EEENS1_30default_config_static_selectorELNS0_4arch9wavefront6targetE1EEEvT1_
                                        ; -- End function
	.section	.AMDGPU.csdata,"",@progbits
; Kernel info:
; codeLenInByte = 0
; NumSgprs: 4
; NumVgprs: 0
; NumAgprs: 0
; TotalNumVgprs: 0
; ScratchSize: 0
; MemoryBound: 0
; FloatMode: 240
; IeeeMode: 1
; LDSByteSize: 0 bytes/workgroup (compile time only)
; SGPRBlocks: 0
; VGPRBlocks: 0
; NumSGPRsForWavesPerEU: 4
; NumVGPRsForWavesPerEU: 1
; AccumOffset: 4
; Occupancy: 8
; WaveLimiterHint : 0
; COMPUTE_PGM_RSRC2:SCRATCH_EN: 0
; COMPUTE_PGM_RSRC2:USER_SGPR: 6
; COMPUTE_PGM_RSRC2:TRAP_HANDLER: 0
; COMPUTE_PGM_RSRC2:TGID_X_EN: 1
; COMPUTE_PGM_RSRC2:TGID_Y_EN: 0
; COMPUTE_PGM_RSRC2:TGID_Z_EN: 0
; COMPUTE_PGM_RSRC2:TIDIG_COMP_CNT: 0
; COMPUTE_PGM_RSRC3_GFX90A:ACCUM_OFFSET: 0
; COMPUTE_PGM_RSRC3_GFX90A:TG_SPLIT: 0
	.section	.text._ZN7rocprim17ROCPRIM_400000_NS6detail17trampoline_kernelINS0_14default_configENS1_20scan_config_selectorIsEEZZNS1_9scan_implILNS1_25lookback_scan_determinismE0ELb1ELb1ES3_N6thrust23THRUST_200600_302600_NS6detail15normal_iteratorINS9_10device_ptrIsEEEENS9_16discard_iteratorINS9_11use_defaultEEEsNS9_4plusIvEEsEEDaPvRmT3_T4_T5_mT6_P12ihipStream_tbENKUlT_T0_E_clISt17integral_constantIbLb1EESX_EEDaSS_ST_EUlSS_E_NS1_11comp_targetILNS1_3genE9ELNS1_11target_archE1100ELNS1_3gpuE3ELNS1_3repE0EEENS1_30default_config_static_selectorELNS0_4arch9wavefront6targetE1EEEvT1_,"axG",@progbits,_ZN7rocprim17ROCPRIM_400000_NS6detail17trampoline_kernelINS0_14default_configENS1_20scan_config_selectorIsEEZZNS1_9scan_implILNS1_25lookback_scan_determinismE0ELb1ELb1ES3_N6thrust23THRUST_200600_302600_NS6detail15normal_iteratorINS9_10device_ptrIsEEEENS9_16discard_iteratorINS9_11use_defaultEEEsNS9_4plusIvEEsEEDaPvRmT3_T4_T5_mT6_P12ihipStream_tbENKUlT_T0_E_clISt17integral_constantIbLb1EESX_EEDaSS_ST_EUlSS_E_NS1_11comp_targetILNS1_3genE9ELNS1_11target_archE1100ELNS1_3gpuE3ELNS1_3repE0EEENS1_30default_config_static_selectorELNS0_4arch9wavefront6targetE1EEEvT1_,comdat
	.protected	_ZN7rocprim17ROCPRIM_400000_NS6detail17trampoline_kernelINS0_14default_configENS1_20scan_config_selectorIsEEZZNS1_9scan_implILNS1_25lookback_scan_determinismE0ELb1ELb1ES3_N6thrust23THRUST_200600_302600_NS6detail15normal_iteratorINS9_10device_ptrIsEEEENS9_16discard_iteratorINS9_11use_defaultEEEsNS9_4plusIvEEsEEDaPvRmT3_T4_T5_mT6_P12ihipStream_tbENKUlT_T0_E_clISt17integral_constantIbLb1EESX_EEDaSS_ST_EUlSS_E_NS1_11comp_targetILNS1_3genE9ELNS1_11target_archE1100ELNS1_3gpuE3ELNS1_3repE0EEENS1_30default_config_static_selectorELNS0_4arch9wavefront6targetE1EEEvT1_ ; -- Begin function _ZN7rocprim17ROCPRIM_400000_NS6detail17trampoline_kernelINS0_14default_configENS1_20scan_config_selectorIsEEZZNS1_9scan_implILNS1_25lookback_scan_determinismE0ELb1ELb1ES3_N6thrust23THRUST_200600_302600_NS6detail15normal_iteratorINS9_10device_ptrIsEEEENS9_16discard_iteratorINS9_11use_defaultEEEsNS9_4plusIvEEsEEDaPvRmT3_T4_T5_mT6_P12ihipStream_tbENKUlT_T0_E_clISt17integral_constantIbLb1EESX_EEDaSS_ST_EUlSS_E_NS1_11comp_targetILNS1_3genE9ELNS1_11target_archE1100ELNS1_3gpuE3ELNS1_3repE0EEENS1_30default_config_static_selectorELNS0_4arch9wavefront6targetE1EEEvT1_
	.globl	_ZN7rocprim17ROCPRIM_400000_NS6detail17trampoline_kernelINS0_14default_configENS1_20scan_config_selectorIsEEZZNS1_9scan_implILNS1_25lookback_scan_determinismE0ELb1ELb1ES3_N6thrust23THRUST_200600_302600_NS6detail15normal_iteratorINS9_10device_ptrIsEEEENS9_16discard_iteratorINS9_11use_defaultEEEsNS9_4plusIvEEsEEDaPvRmT3_T4_T5_mT6_P12ihipStream_tbENKUlT_T0_E_clISt17integral_constantIbLb1EESX_EEDaSS_ST_EUlSS_E_NS1_11comp_targetILNS1_3genE9ELNS1_11target_archE1100ELNS1_3gpuE3ELNS1_3repE0EEENS1_30default_config_static_selectorELNS0_4arch9wavefront6targetE1EEEvT1_
	.p2align	8
	.type	_ZN7rocprim17ROCPRIM_400000_NS6detail17trampoline_kernelINS0_14default_configENS1_20scan_config_selectorIsEEZZNS1_9scan_implILNS1_25lookback_scan_determinismE0ELb1ELb1ES3_N6thrust23THRUST_200600_302600_NS6detail15normal_iteratorINS9_10device_ptrIsEEEENS9_16discard_iteratorINS9_11use_defaultEEEsNS9_4plusIvEEsEEDaPvRmT3_T4_T5_mT6_P12ihipStream_tbENKUlT_T0_E_clISt17integral_constantIbLb1EESX_EEDaSS_ST_EUlSS_E_NS1_11comp_targetILNS1_3genE9ELNS1_11target_archE1100ELNS1_3gpuE3ELNS1_3repE0EEENS1_30default_config_static_selectorELNS0_4arch9wavefront6targetE1EEEvT1_,@function
_ZN7rocprim17ROCPRIM_400000_NS6detail17trampoline_kernelINS0_14default_configENS1_20scan_config_selectorIsEEZZNS1_9scan_implILNS1_25lookback_scan_determinismE0ELb1ELb1ES3_N6thrust23THRUST_200600_302600_NS6detail15normal_iteratorINS9_10device_ptrIsEEEENS9_16discard_iteratorINS9_11use_defaultEEEsNS9_4plusIvEEsEEDaPvRmT3_T4_T5_mT6_P12ihipStream_tbENKUlT_T0_E_clISt17integral_constantIbLb1EESX_EEDaSS_ST_EUlSS_E_NS1_11comp_targetILNS1_3genE9ELNS1_11target_archE1100ELNS1_3gpuE3ELNS1_3repE0EEENS1_30default_config_static_selectorELNS0_4arch9wavefront6targetE1EEEvT1_: ; @_ZN7rocprim17ROCPRIM_400000_NS6detail17trampoline_kernelINS0_14default_configENS1_20scan_config_selectorIsEEZZNS1_9scan_implILNS1_25lookback_scan_determinismE0ELb1ELb1ES3_N6thrust23THRUST_200600_302600_NS6detail15normal_iteratorINS9_10device_ptrIsEEEENS9_16discard_iteratorINS9_11use_defaultEEEsNS9_4plusIvEEsEEDaPvRmT3_T4_T5_mT6_P12ihipStream_tbENKUlT_T0_E_clISt17integral_constantIbLb1EESX_EEDaSS_ST_EUlSS_E_NS1_11comp_targetILNS1_3genE9ELNS1_11target_archE1100ELNS1_3gpuE3ELNS1_3repE0EEENS1_30default_config_static_selectorELNS0_4arch9wavefront6targetE1EEEvT1_
; %bb.0:
	.section	.rodata,"a",@progbits
	.p2align	6, 0x0
	.amdhsa_kernel _ZN7rocprim17ROCPRIM_400000_NS6detail17trampoline_kernelINS0_14default_configENS1_20scan_config_selectorIsEEZZNS1_9scan_implILNS1_25lookback_scan_determinismE0ELb1ELb1ES3_N6thrust23THRUST_200600_302600_NS6detail15normal_iteratorINS9_10device_ptrIsEEEENS9_16discard_iteratorINS9_11use_defaultEEEsNS9_4plusIvEEsEEDaPvRmT3_T4_T5_mT6_P12ihipStream_tbENKUlT_T0_E_clISt17integral_constantIbLb1EESX_EEDaSS_ST_EUlSS_E_NS1_11comp_targetILNS1_3genE9ELNS1_11target_archE1100ELNS1_3gpuE3ELNS1_3repE0EEENS1_30default_config_static_selectorELNS0_4arch9wavefront6targetE1EEEvT1_
		.amdhsa_group_segment_fixed_size 0
		.amdhsa_private_segment_fixed_size 0
		.amdhsa_kernarg_size 104
		.amdhsa_user_sgpr_count 6
		.amdhsa_user_sgpr_private_segment_buffer 1
		.amdhsa_user_sgpr_dispatch_ptr 0
		.amdhsa_user_sgpr_queue_ptr 0
		.amdhsa_user_sgpr_kernarg_segment_ptr 1
		.amdhsa_user_sgpr_dispatch_id 0
		.amdhsa_user_sgpr_flat_scratch_init 0
		.amdhsa_user_sgpr_kernarg_preload_length 0
		.amdhsa_user_sgpr_kernarg_preload_offset 0
		.amdhsa_user_sgpr_private_segment_size 0
		.amdhsa_uses_dynamic_stack 0
		.amdhsa_system_sgpr_private_segment_wavefront_offset 0
		.amdhsa_system_sgpr_workgroup_id_x 1
		.amdhsa_system_sgpr_workgroup_id_y 0
		.amdhsa_system_sgpr_workgroup_id_z 0
		.amdhsa_system_sgpr_workgroup_info 0
		.amdhsa_system_vgpr_workitem_id 0
		.amdhsa_next_free_vgpr 1
		.amdhsa_next_free_sgpr 0
		.amdhsa_accum_offset 4
		.amdhsa_reserve_vcc 0
		.amdhsa_reserve_flat_scratch 0
		.amdhsa_float_round_mode_32 0
		.amdhsa_float_round_mode_16_64 0
		.amdhsa_float_denorm_mode_32 3
		.amdhsa_float_denorm_mode_16_64 3
		.amdhsa_dx10_clamp 1
		.amdhsa_ieee_mode 1
		.amdhsa_fp16_overflow 0
		.amdhsa_tg_split 0
		.amdhsa_exception_fp_ieee_invalid_op 0
		.amdhsa_exception_fp_denorm_src 0
		.amdhsa_exception_fp_ieee_div_zero 0
		.amdhsa_exception_fp_ieee_overflow 0
		.amdhsa_exception_fp_ieee_underflow 0
		.amdhsa_exception_fp_ieee_inexact 0
		.amdhsa_exception_int_div_zero 0
	.end_amdhsa_kernel
	.section	.text._ZN7rocprim17ROCPRIM_400000_NS6detail17trampoline_kernelINS0_14default_configENS1_20scan_config_selectorIsEEZZNS1_9scan_implILNS1_25lookback_scan_determinismE0ELb1ELb1ES3_N6thrust23THRUST_200600_302600_NS6detail15normal_iteratorINS9_10device_ptrIsEEEENS9_16discard_iteratorINS9_11use_defaultEEEsNS9_4plusIvEEsEEDaPvRmT3_T4_T5_mT6_P12ihipStream_tbENKUlT_T0_E_clISt17integral_constantIbLb1EESX_EEDaSS_ST_EUlSS_E_NS1_11comp_targetILNS1_3genE9ELNS1_11target_archE1100ELNS1_3gpuE3ELNS1_3repE0EEENS1_30default_config_static_selectorELNS0_4arch9wavefront6targetE1EEEvT1_,"axG",@progbits,_ZN7rocprim17ROCPRIM_400000_NS6detail17trampoline_kernelINS0_14default_configENS1_20scan_config_selectorIsEEZZNS1_9scan_implILNS1_25lookback_scan_determinismE0ELb1ELb1ES3_N6thrust23THRUST_200600_302600_NS6detail15normal_iteratorINS9_10device_ptrIsEEEENS9_16discard_iteratorINS9_11use_defaultEEEsNS9_4plusIvEEsEEDaPvRmT3_T4_T5_mT6_P12ihipStream_tbENKUlT_T0_E_clISt17integral_constantIbLb1EESX_EEDaSS_ST_EUlSS_E_NS1_11comp_targetILNS1_3genE9ELNS1_11target_archE1100ELNS1_3gpuE3ELNS1_3repE0EEENS1_30default_config_static_selectorELNS0_4arch9wavefront6targetE1EEEvT1_,comdat
.Lfunc_end5967:
	.size	_ZN7rocprim17ROCPRIM_400000_NS6detail17trampoline_kernelINS0_14default_configENS1_20scan_config_selectorIsEEZZNS1_9scan_implILNS1_25lookback_scan_determinismE0ELb1ELb1ES3_N6thrust23THRUST_200600_302600_NS6detail15normal_iteratorINS9_10device_ptrIsEEEENS9_16discard_iteratorINS9_11use_defaultEEEsNS9_4plusIvEEsEEDaPvRmT3_T4_T5_mT6_P12ihipStream_tbENKUlT_T0_E_clISt17integral_constantIbLb1EESX_EEDaSS_ST_EUlSS_E_NS1_11comp_targetILNS1_3genE9ELNS1_11target_archE1100ELNS1_3gpuE3ELNS1_3repE0EEENS1_30default_config_static_selectorELNS0_4arch9wavefront6targetE1EEEvT1_, .Lfunc_end5967-_ZN7rocprim17ROCPRIM_400000_NS6detail17trampoline_kernelINS0_14default_configENS1_20scan_config_selectorIsEEZZNS1_9scan_implILNS1_25lookback_scan_determinismE0ELb1ELb1ES3_N6thrust23THRUST_200600_302600_NS6detail15normal_iteratorINS9_10device_ptrIsEEEENS9_16discard_iteratorINS9_11use_defaultEEEsNS9_4plusIvEEsEEDaPvRmT3_T4_T5_mT6_P12ihipStream_tbENKUlT_T0_E_clISt17integral_constantIbLb1EESX_EEDaSS_ST_EUlSS_E_NS1_11comp_targetILNS1_3genE9ELNS1_11target_archE1100ELNS1_3gpuE3ELNS1_3repE0EEENS1_30default_config_static_selectorELNS0_4arch9wavefront6targetE1EEEvT1_
                                        ; -- End function
	.section	.AMDGPU.csdata,"",@progbits
; Kernel info:
; codeLenInByte = 0
; NumSgprs: 4
; NumVgprs: 0
; NumAgprs: 0
; TotalNumVgprs: 0
; ScratchSize: 0
; MemoryBound: 0
; FloatMode: 240
; IeeeMode: 1
; LDSByteSize: 0 bytes/workgroup (compile time only)
; SGPRBlocks: 0
; VGPRBlocks: 0
; NumSGPRsForWavesPerEU: 4
; NumVGPRsForWavesPerEU: 1
; AccumOffset: 4
; Occupancy: 8
; WaveLimiterHint : 0
; COMPUTE_PGM_RSRC2:SCRATCH_EN: 0
; COMPUTE_PGM_RSRC2:USER_SGPR: 6
; COMPUTE_PGM_RSRC2:TRAP_HANDLER: 0
; COMPUTE_PGM_RSRC2:TGID_X_EN: 1
; COMPUTE_PGM_RSRC2:TGID_Y_EN: 0
; COMPUTE_PGM_RSRC2:TGID_Z_EN: 0
; COMPUTE_PGM_RSRC2:TIDIG_COMP_CNT: 0
; COMPUTE_PGM_RSRC3_GFX90A:ACCUM_OFFSET: 0
; COMPUTE_PGM_RSRC3_GFX90A:TG_SPLIT: 0
	.section	.text._ZN7rocprim17ROCPRIM_400000_NS6detail17trampoline_kernelINS0_14default_configENS1_20scan_config_selectorIsEEZZNS1_9scan_implILNS1_25lookback_scan_determinismE0ELb1ELb1ES3_N6thrust23THRUST_200600_302600_NS6detail15normal_iteratorINS9_10device_ptrIsEEEENS9_16discard_iteratorINS9_11use_defaultEEEsNS9_4plusIvEEsEEDaPvRmT3_T4_T5_mT6_P12ihipStream_tbENKUlT_T0_E_clISt17integral_constantIbLb1EESX_EEDaSS_ST_EUlSS_E_NS1_11comp_targetILNS1_3genE8ELNS1_11target_archE1030ELNS1_3gpuE2ELNS1_3repE0EEENS1_30default_config_static_selectorELNS0_4arch9wavefront6targetE1EEEvT1_,"axG",@progbits,_ZN7rocprim17ROCPRIM_400000_NS6detail17trampoline_kernelINS0_14default_configENS1_20scan_config_selectorIsEEZZNS1_9scan_implILNS1_25lookback_scan_determinismE0ELb1ELb1ES3_N6thrust23THRUST_200600_302600_NS6detail15normal_iteratorINS9_10device_ptrIsEEEENS9_16discard_iteratorINS9_11use_defaultEEEsNS9_4plusIvEEsEEDaPvRmT3_T4_T5_mT6_P12ihipStream_tbENKUlT_T0_E_clISt17integral_constantIbLb1EESX_EEDaSS_ST_EUlSS_E_NS1_11comp_targetILNS1_3genE8ELNS1_11target_archE1030ELNS1_3gpuE2ELNS1_3repE0EEENS1_30default_config_static_selectorELNS0_4arch9wavefront6targetE1EEEvT1_,comdat
	.protected	_ZN7rocprim17ROCPRIM_400000_NS6detail17trampoline_kernelINS0_14default_configENS1_20scan_config_selectorIsEEZZNS1_9scan_implILNS1_25lookback_scan_determinismE0ELb1ELb1ES3_N6thrust23THRUST_200600_302600_NS6detail15normal_iteratorINS9_10device_ptrIsEEEENS9_16discard_iteratorINS9_11use_defaultEEEsNS9_4plusIvEEsEEDaPvRmT3_T4_T5_mT6_P12ihipStream_tbENKUlT_T0_E_clISt17integral_constantIbLb1EESX_EEDaSS_ST_EUlSS_E_NS1_11comp_targetILNS1_3genE8ELNS1_11target_archE1030ELNS1_3gpuE2ELNS1_3repE0EEENS1_30default_config_static_selectorELNS0_4arch9wavefront6targetE1EEEvT1_ ; -- Begin function _ZN7rocprim17ROCPRIM_400000_NS6detail17trampoline_kernelINS0_14default_configENS1_20scan_config_selectorIsEEZZNS1_9scan_implILNS1_25lookback_scan_determinismE0ELb1ELb1ES3_N6thrust23THRUST_200600_302600_NS6detail15normal_iteratorINS9_10device_ptrIsEEEENS9_16discard_iteratorINS9_11use_defaultEEEsNS9_4plusIvEEsEEDaPvRmT3_T4_T5_mT6_P12ihipStream_tbENKUlT_T0_E_clISt17integral_constantIbLb1EESX_EEDaSS_ST_EUlSS_E_NS1_11comp_targetILNS1_3genE8ELNS1_11target_archE1030ELNS1_3gpuE2ELNS1_3repE0EEENS1_30default_config_static_selectorELNS0_4arch9wavefront6targetE1EEEvT1_
	.globl	_ZN7rocprim17ROCPRIM_400000_NS6detail17trampoline_kernelINS0_14default_configENS1_20scan_config_selectorIsEEZZNS1_9scan_implILNS1_25lookback_scan_determinismE0ELb1ELb1ES3_N6thrust23THRUST_200600_302600_NS6detail15normal_iteratorINS9_10device_ptrIsEEEENS9_16discard_iteratorINS9_11use_defaultEEEsNS9_4plusIvEEsEEDaPvRmT3_T4_T5_mT6_P12ihipStream_tbENKUlT_T0_E_clISt17integral_constantIbLb1EESX_EEDaSS_ST_EUlSS_E_NS1_11comp_targetILNS1_3genE8ELNS1_11target_archE1030ELNS1_3gpuE2ELNS1_3repE0EEENS1_30default_config_static_selectorELNS0_4arch9wavefront6targetE1EEEvT1_
	.p2align	8
	.type	_ZN7rocprim17ROCPRIM_400000_NS6detail17trampoline_kernelINS0_14default_configENS1_20scan_config_selectorIsEEZZNS1_9scan_implILNS1_25lookback_scan_determinismE0ELb1ELb1ES3_N6thrust23THRUST_200600_302600_NS6detail15normal_iteratorINS9_10device_ptrIsEEEENS9_16discard_iteratorINS9_11use_defaultEEEsNS9_4plusIvEEsEEDaPvRmT3_T4_T5_mT6_P12ihipStream_tbENKUlT_T0_E_clISt17integral_constantIbLb1EESX_EEDaSS_ST_EUlSS_E_NS1_11comp_targetILNS1_3genE8ELNS1_11target_archE1030ELNS1_3gpuE2ELNS1_3repE0EEENS1_30default_config_static_selectorELNS0_4arch9wavefront6targetE1EEEvT1_,@function
_ZN7rocprim17ROCPRIM_400000_NS6detail17trampoline_kernelINS0_14default_configENS1_20scan_config_selectorIsEEZZNS1_9scan_implILNS1_25lookback_scan_determinismE0ELb1ELb1ES3_N6thrust23THRUST_200600_302600_NS6detail15normal_iteratorINS9_10device_ptrIsEEEENS9_16discard_iteratorINS9_11use_defaultEEEsNS9_4plusIvEEsEEDaPvRmT3_T4_T5_mT6_P12ihipStream_tbENKUlT_T0_E_clISt17integral_constantIbLb1EESX_EEDaSS_ST_EUlSS_E_NS1_11comp_targetILNS1_3genE8ELNS1_11target_archE1030ELNS1_3gpuE2ELNS1_3repE0EEENS1_30default_config_static_selectorELNS0_4arch9wavefront6targetE1EEEvT1_: ; @_ZN7rocprim17ROCPRIM_400000_NS6detail17trampoline_kernelINS0_14default_configENS1_20scan_config_selectorIsEEZZNS1_9scan_implILNS1_25lookback_scan_determinismE0ELb1ELb1ES3_N6thrust23THRUST_200600_302600_NS6detail15normal_iteratorINS9_10device_ptrIsEEEENS9_16discard_iteratorINS9_11use_defaultEEEsNS9_4plusIvEEsEEDaPvRmT3_T4_T5_mT6_P12ihipStream_tbENKUlT_T0_E_clISt17integral_constantIbLb1EESX_EEDaSS_ST_EUlSS_E_NS1_11comp_targetILNS1_3genE8ELNS1_11target_archE1030ELNS1_3gpuE2ELNS1_3repE0EEENS1_30default_config_static_selectorELNS0_4arch9wavefront6targetE1EEEvT1_
; %bb.0:
	.section	.rodata,"a",@progbits
	.p2align	6, 0x0
	.amdhsa_kernel _ZN7rocprim17ROCPRIM_400000_NS6detail17trampoline_kernelINS0_14default_configENS1_20scan_config_selectorIsEEZZNS1_9scan_implILNS1_25lookback_scan_determinismE0ELb1ELb1ES3_N6thrust23THRUST_200600_302600_NS6detail15normal_iteratorINS9_10device_ptrIsEEEENS9_16discard_iteratorINS9_11use_defaultEEEsNS9_4plusIvEEsEEDaPvRmT3_T4_T5_mT6_P12ihipStream_tbENKUlT_T0_E_clISt17integral_constantIbLb1EESX_EEDaSS_ST_EUlSS_E_NS1_11comp_targetILNS1_3genE8ELNS1_11target_archE1030ELNS1_3gpuE2ELNS1_3repE0EEENS1_30default_config_static_selectorELNS0_4arch9wavefront6targetE1EEEvT1_
		.amdhsa_group_segment_fixed_size 0
		.amdhsa_private_segment_fixed_size 0
		.amdhsa_kernarg_size 104
		.amdhsa_user_sgpr_count 6
		.amdhsa_user_sgpr_private_segment_buffer 1
		.amdhsa_user_sgpr_dispatch_ptr 0
		.amdhsa_user_sgpr_queue_ptr 0
		.amdhsa_user_sgpr_kernarg_segment_ptr 1
		.amdhsa_user_sgpr_dispatch_id 0
		.amdhsa_user_sgpr_flat_scratch_init 0
		.amdhsa_user_sgpr_kernarg_preload_length 0
		.amdhsa_user_sgpr_kernarg_preload_offset 0
		.amdhsa_user_sgpr_private_segment_size 0
		.amdhsa_uses_dynamic_stack 0
		.amdhsa_system_sgpr_private_segment_wavefront_offset 0
		.amdhsa_system_sgpr_workgroup_id_x 1
		.amdhsa_system_sgpr_workgroup_id_y 0
		.amdhsa_system_sgpr_workgroup_id_z 0
		.amdhsa_system_sgpr_workgroup_info 0
		.amdhsa_system_vgpr_workitem_id 0
		.amdhsa_next_free_vgpr 1
		.amdhsa_next_free_sgpr 0
		.amdhsa_accum_offset 4
		.amdhsa_reserve_vcc 0
		.amdhsa_reserve_flat_scratch 0
		.amdhsa_float_round_mode_32 0
		.amdhsa_float_round_mode_16_64 0
		.amdhsa_float_denorm_mode_32 3
		.amdhsa_float_denorm_mode_16_64 3
		.amdhsa_dx10_clamp 1
		.amdhsa_ieee_mode 1
		.amdhsa_fp16_overflow 0
		.amdhsa_tg_split 0
		.amdhsa_exception_fp_ieee_invalid_op 0
		.amdhsa_exception_fp_denorm_src 0
		.amdhsa_exception_fp_ieee_div_zero 0
		.amdhsa_exception_fp_ieee_overflow 0
		.amdhsa_exception_fp_ieee_underflow 0
		.amdhsa_exception_fp_ieee_inexact 0
		.amdhsa_exception_int_div_zero 0
	.end_amdhsa_kernel
	.section	.text._ZN7rocprim17ROCPRIM_400000_NS6detail17trampoline_kernelINS0_14default_configENS1_20scan_config_selectorIsEEZZNS1_9scan_implILNS1_25lookback_scan_determinismE0ELb1ELb1ES3_N6thrust23THRUST_200600_302600_NS6detail15normal_iteratorINS9_10device_ptrIsEEEENS9_16discard_iteratorINS9_11use_defaultEEEsNS9_4plusIvEEsEEDaPvRmT3_T4_T5_mT6_P12ihipStream_tbENKUlT_T0_E_clISt17integral_constantIbLb1EESX_EEDaSS_ST_EUlSS_E_NS1_11comp_targetILNS1_3genE8ELNS1_11target_archE1030ELNS1_3gpuE2ELNS1_3repE0EEENS1_30default_config_static_selectorELNS0_4arch9wavefront6targetE1EEEvT1_,"axG",@progbits,_ZN7rocprim17ROCPRIM_400000_NS6detail17trampoline_kernelINS0_14default_configENS1_20scan_config_selectorIsEEZZNS1_9scan_implILNS1_25lookback_scan_determinismE0ELb1ELb1ES3_N6thrust23THRUST_200600_302600_NS6detail15normal_iteratorINS9_10device_ptrIsEEEENS9_16discard_iteratorINS9_11use_defaultEEEsNS9_4plusIvEEsEEDaPvRmT3_T4_T5_mT6_P12ihipStream_tbENKUlT_T0_E_clISt17integral_constantIbLb1EESX_EEDaSS_ST_EUlSS_E_NS1_11comp_targetILNS1_3genE8ELNS1_11target_archE1030ELNS1_3gpuE2ELNS1_3repE0EEENS1_30default_config_static_selectorELNS0_4arch9wavefront6targetE1EEEvT1_,comdat
.Lfunc_end5968:
	.size	_ZN7rocprim17ROCPRIM_400000_NS6detail17trampoline_kernelINS0_14default_configENS1_20scan_config_selectorIsEEZZNS1_9scan_implILNS1_25lookback_scan_determinismE0ELb1ELb1ES3_N6thrust23THRUST_200600_302600_NS6detail15normal_iteratorINS9_10device_ptrIsEEEENS9_16discard_iteratorINS9_11use_defaultEEEsNS9_4plusIvEEsEEDaPvRmT3_T4_T5_mT6_P12ihipStream_tbENKUlT_T0_E_clISt17integral_constantIbLb1EESX_EEDaSS_ST_EUlSS_E_NS1_11comp_targetILNS1_3genE8ELNS1_11target_archE1030ELNS1_3gpuE2ELNS1_3repE0EEENS1_30default_config_static_selectorELNS0_4arch9wavefront6targetE1EEEvT1_, .Lfunc_end5968-_ZN7rocprim17ROCPRIM_400000_NS6detail17trampoline_kernelINS0_14default_configENS1_20scan_config_selectorIsEEZZNS1_9scan_implILNS1_25lookback_scan_determinismE0ELb1ELb1ES3_N6thrust23THRUST_200600_302600_NS6detail15normal_iteratorINS9_10device_ptrIsEEEENS9_16discard_iteratorINS9_11use_defaultEEEsNS9_4plusIvEEsEEDaPvRmT3_T4_T5_mT6_P12ihipStream_tbENKUlT_T0_E_clISt17integral_constantIbLb1EESX_EEDaSS_ST_EUlSS_E_NS1_11comp_targetILNS1_3genE8ELNS1_11target_archE1030ELNS1_3gpuE2ELNS1_3repE0EEENS1_30default_config_static_selectorELNS0_4arch9wavefront6targetE1EEEvT1_
                                        ; -- End function
	.section	.AMDGPU.csdata,"",@progbits
; Kernel info:
; codeLenInByte = 0
; NumSgprs: 4
; NumVgprs: 0
; NumAgprs: 0
; TotalNumVgprs: 0
; ScratchSize: 0
; MemoryBound: 0
; FloatMode: 240
; IeeeMode: 1
; LDSByteSize: 0 bytes/workgroup (compile time only)
; SGPRBlocks: 0
; VGPRBlocks: 0
; NumSGPRsForWavesPerEU: 4
; NumVGPRsForWavesPerEU: 1
; AccumOffset: 4
; Occupancy: 8
; WaveLimiterHint : 0
; COMPUTE_PGM_RSRC2:SCRATCH_EN: 0
; COMPUTE_PGM_RSRC2:USER_SGPR: 6
; COMPUTE_PGM_RSRC2:TRAP_HANDLER: 0
; COMPUTE_PGM_RSRC2:TGID_X_EN: 1
; COMPUTE_PGM_RSRC2:TGID_Y_EN: 0
; COMPUTE_PGM_RSRC2:TGID_Z_EN: 0
; COMPUTE_PGM_RSRC2:TIDIG_COMP_CNT: 0
; COMPUTE_PGM_RSRC3_GFX90A:ACCUM_OFFSET: 0
; COMPUTE_PGM_RSRC3_GFX90A:TG_SPLIT: 0
	.section	.text._ZN7rocprim17ROCPRIM_400000_NS6detail17trampoline_kernelINS0_14default_configENS1_20scan_config_selectorIsEEZZNS1_9scan_implILNS1_25lookback_scan_determinismE0ELb1ELb1ES3_N6thrust23THRUST_200600_302600_NS6detail15normal_iteratorINS9_10device_ptrIsEEEENS9_16discard_iteratorINS9_11use_defaultEEEsNS9_4plusIvEEsEEDaPvRmT3_T4_T5_mT6_P12ihipStream_tbENKUlT_T0_E_clISt17integral_constantIbLb1EESX_EEDaSS_ST_EUlSS_E0_NS1_11comp_targetILNS1_3genE0ELNS1_11target_archE4294967295ELNS1_3gpuE0ELNS1_3repE0EEENS1_30default_config_static_selectorELNS0_4arch9wavefront6targetE1EEEvT1_,"axG",@progbits,_ZN7rocprim17ROCPRIM_400000_NS6detail17trampoline_kernelINS0_14default_configENS1_20scan_config_selectorIsEEZZNS1_9scan_implILNS1_25lookback_scan_determinismE0ELb1ELb1ES3_N6thrust23THRUST_200600_302600_NS6detail15normal_iteratorINS9_10device_ptrIsEEEENS9_16discard_iteratorINS9_11use_defaultEEEsNS9_4plusIvEEsEEDaPvRmT3_T4_T5_mT6_P12ihipStream_tbENKUlT_T0_E_clISt17integral_constantIbLb1EESX_EEDaSS_ST_EUlSS_E0_NS1_11comp_targetILNS1_3genE0ELNS1_11target_archE4294967295ELNS1_3gpuE0ELNS1_3repE0EEENS1_30default_config_static_selectorELNS0_4arch9wavefront6targetE1EEEvT1_,comdat
	.protected	_ZN7rocprim17ROCPRIM_400000_NS6detail17trampoline_kernelINS0_14default_configENS1_20scan_config_selectorIsEEZZNS1_9scan_implILNS1_25lookback_scan_determinismE0ELb1ELb1ES3_N6thrust23THRUST_200600_302600_NS6detail15normal_iteratorINS9_10device_ptrIsEEEENS9_16discard_iteratorINS9_11use_defaultEEEsNS9_4plusIvEEsEEDaPvRmT3_T4_T5_mT6_P12ihipStream_tbENKUlT_T0_E_clISt17integral_constantIbLb1EESX_EEDaSS_ST_EUlSS_E0_NS1_11comp_targetILNS1_3genE0ELNS1_11target_archE4294967295ELNS1_3gpuE0ELNS1_3repE0EEENS1_30default_config_static_selectorELNS0_4arch9wavefront6targetE1EEEvT1_ ; -- Begin function _ZN7rocprim17ROCPRIM_400000_NS6detail17trampoline_kernelINS0_14default_configENS1_20scan_config_selectorIsEEZZNS1_9scan_implILNS1_25lookback_scan_determinismE0ELb1ELb1ES3_N6thrust23THRUST_200600_302600_NS6detail15normal_iteratorINS9_10device_ptrIsEEEENS9_16discard_iteratorINS9_11use_defaultEEEsNS9_4plusIvEEsEEDaPvRmT3_T4_T5_mT6_P12ihipStream_tbENKUlT_T0_E_clISt17integral_constantIbLb1EESX_EEDaSS_ST_EUlSS_E0_NS1_11comp_targetILNS1_3genE0ELNS1_11target_archE4294967295ELNS1_3gpuE0ELNS1_3repE0EEENS1_30default_config_static_selectorELNS0_4arch9wavefront6targetE1EEEvT1_
	.globl	_ZN7rocprim17ROCPRIM_400000_NS6detail17trampoline_kernelINS0_14default_configENS1_20scan_config_selectorIsEEZZNS1_9scan_implILNS1_25lookback_scan_determinismE0ELb1ELb1ES3_N6thrust23THRUST_200600_302600_NS6detail15normal_iteratorINS9_10device_ptrIsEEEENS9_16discard_iteratorINS9_11use_defaultEEEsNS9_4plusIvEEsEEDaPvRmT3_T4_T5_mT6_P12ihipStream_tbENKUlT_T0_E_clISt17integral_constantIbLb1EESX_EEDaSS_ST_EUlSS_E0_NS1_11comp_targetILNS1_3genE0ELNS1_11target_archE4294967295ELNS1_3gpuE0ELNS1_3repE0EEENS1_30default_config_static_selectorELNS0_4arch9wavefront6targetE1EEEvT1_
	.p2align	8
	.type	_ZN7rocprim17ROCPRIM_400000_NS6detail17trampoline_kernelINS0_14default_configENS1_20scan_config_selectorIsEEZZNS1_9scan_implILNS1_25lookback_scan_determinismE0ELb1ELb1ES3_N6thrust23THRUST_200600_302600_NS6detail15normal_iteratorINS9_10device_ptrIsEEEENS9_16discard_iteratorINS9_11use_defaultEEEsNS9_4plusIvEEsEEDaPvRmT3_T4_T5_mT6_P12ihipStream_tbENKUlT_T0_E_clISt17integral_constantIbLb1EESX_EEDaSS_ST_EUlSS_E0_NS1_11comp_targetILNS1_3genE0ELNS1_11target_archE4294967295ELNS1_3gpuE0ELNS1_3repE0EEENS1_30default_config_static_selectorELNS0_4arch9wavefront6targetE1EEEvT1_,@function
_ZN7rocprim17ROCPRIM_400000_NS6detail17trampoline_kernelINS0_14default_configENS1_20scan_config_selectorIsEEZZNS1_9scan_implILNS1_25lookback_scan_determinismE0ELb1ELb1ES3_N6thrust23THRUST_200600_302600_NS6detail15normal_iteratorINS9_10device_ptrIsEEEENS9_16discard_iteratorINS9_11use_defaultEEEsNS9_4plusIvEEsEEDaPvRmT3_T4_T5_mT6_P12ihipStream_tbENKUlT_T0_E_clISt17integral_constantIbLb1EESX_EEDaSS_ST_EUlSS_E0_NS1_11comp_targetILNS1_3genE0ELNS1_11target_archE4294967295ELNS1_3gpuE0ELNS1_3repE0EEENS1_30default_config_static_selectorELNS0_4arch9wavefront6targetE1EEEvT1_: ; @_ZN7rocprim17ROCPRIM_400000_NS6detail17trampoline_kernelINS0_14default_configENS1_20scan_config_selectorIsEEZZNS1_9scan_implILNS1_25lookback_scan_determinismE0ELb1ELb1ES3_N6thrust23THRUST_200600_302600_NS6detail15normal_iteratorINS9_10device_ptrIsEEEENS9_16discard_iteratorINS9_11use_defaultEEEsNS9_4plusIvEEsEEDaPvRmT3_T4_T5_mT6_P12ihipStream_tbENKUlT_T0_E_clISt17integral_constantIbLb1EESX_EEDaSS_ST_EUlSS_E0_NS1_11comp_targetILNS1_3genE0ELNS1_11target_archE4294967295ELNS1_3gpuE0ELNS1_3repE0EEENS1_30default_config_static_selectorELNS0_4arch9wavefront6targetE1EEEvT1_
; %bb.0:
	.section	.rodata,"a",@progbits
	.p2align	6, 0x0
	.amdhsa_kernel _ZN7rocprim17ROCPRIM_400000_NS6detail17trampoline_kernelINS0_14default_configENS1_20scan_config_selectorIsEEZZNS1_9scan_implILNS1_25lookback_scan_determinismE0ELb1ELb1ES3_N6thrust23THRUST_200600_302600_NS6detail15normal_iteratorINS9_10device_ptrIsEEEENS9_16discard_iteratorINS9_11use_defaultEEEsNS9_4plusIvEEsEEDaPvRmT3_T4_T5_mT6_P12ihipStream_tbENKUlT_T0_E_clISt17integral_constantIbLb1EESX_EEDaSS_ST_EUlSS_E0_NS1_11comp_targetILNS1_3genE0ELNS1_11target_archE4294967295ELNS1_3gpuE0ELNS1_3repE0EEENS1_30default_config_static_selectorELNS0_4arch9wavefront6targetE1EEEvT1_
		.amdhsa_group_segment_fixed_size 0
		.amdhsa_private_segment_fixed_size 0
		.amdhsa_kernarg_size 40
		.amdhsa_user_sgpr_count 6
		.amdhsa_user_sgpr_private_segment_buffer 1
		.amdhsa_user_sgpr_dispatch_ptr 0
		.amdhsa_user_sgpr_queue_ptr 0
		.amdhsa_user_sgpr_kernarg_segment_ptr 1
		.amdhsa_user_sgpr_dispatch_id 0
		.amdhsa_user_sgpr_flat_scratch_init 0
		.amdhsa_user_sgpr_kernarg_preload_length 0
		.amdhsa_user_sgpr_kernarg_preload_offset 0
		.amdhsa_user_sgpr_private_segment_size 0
		.amdhsa_uses_dynamic_stack 0
		.amdhsa_system_sgpr_private_segment_wavefront_offset 0
		.amdhsa_system_sgpr_workgroup_id_x 1
		.amdhsa_system_sgpr_workgroup_id_y 0
		.amdhsa_system_sgpr_workgroup_id_z 0
		.amdhsa_system_sgpr_workgroup_info 0
		.amdhsa_system_vgpr_workitem_id 0
		.amdhsa_next_free_vgpr 1
		.amdhsa_next_free_sgpr 0
		.amdhsa_accum_offset 4
		.amdhsa_reserve_vcc 0
		.amdhsa_reserve_flat_scratch 0
		.amdhsa_float_round_mode_32 0
		.amdhsa_float_round_mode_16_64 0
		.amdhsa_float_denorm_mode_32 3
		.amdhsa_float_denorm_mode_16_64 3
		.amdhsa_dx10_clamp 1
		.amdhsa_ieee_mode 1
		.amdhsa_fp16_overflow 0
		.amdhsa_tg_split 0
		.amdhsa_exception_fp_ieee_invalid_op 0
		.amdhsa_exception_fp_denorm_src 0
		.amdhsa_exception_fp_ieee_div_zero 0
		.amdhsa_exception_fp_ieee_overflow 0
		.amdhsa_exception_fp_ieee_underflow 0
		.amdhsa_exception_fp_ieee_inexact 0
		.amdhsa_exception_int_div_zero 0
	.end_amdhsa_kernel
	.section	.text._ZN7rocprim17ROCPRIM_400000_NS6detail17trampoline_kernelINS0_14default_configENS1_20scan_config_selectorIsEEZZNS1_9scan_implILNS1_25lookback_scan_determinismE0ELb1ELb1ES3_N6thrust23THRUST_200600_302600_NS6detail15normal_iteratorINS9_10device_ptrIsEEEENS9_16discard_iteratorINS9_11use_defaultEEEsNS9_4plusIvEEsEEDaPvRmT3_T4_T5_mT6_P12ihipStream_tbENKUlT_T0_E_clISt17integral_constantIbLb1EESX_EEDaSS_ST_EUlSS_E0_NS1_11comp_targetILNS1_3genE0ELNS1_11target_archE4294967295ELNS1_3gpuE0ELNS1_3repE0EEENS1_30default_config_static_selectorELNS0_4arch9wavefront6targetE1EEEvT1_,"axG",@progbits,_ZN7rocprim17ROCPRIM_400000_NS6detail17trampoline_kernelINS0_14default_configENS1_20scan_config_selectorIsEEZZNS1_9scan_implILNS1_25lookback_scan_determinismE0ELb1ELb1ES3_N6thrust23THRUST_200600_302600_NS6detail15normal_iteratorINS9_10device_ptrIsEEEENS9_16discard_iteratorINS9_11use_defaultEEEsNS9_4plusIvEEsEEDaPvRmT3_T4_T5_mT6_P12ihipStream_tbENKUlT_T0_E_clISt17integral_constantIbLb1EESX_EEDaSS_ST_EUlSS_E0_NS1_11comp_targetILNS1_3genE0ELNS1_11target_archE4294967295ELNS1_3gpuE0ELNS1_3repE0EEENS1_30default_config_static_selectorELNS0_4arch9wavefront6targetE1EEEvT1_,comdat
.Lfunc_end5969:
	.size	_ZN7rocprim17ROCPRIM_400000_NS6detail17trampoline_kernelINS0_14default_configENS1_20scan_config_selectorIsEEZZNS1_9scan_implILNS1_25lookback_scan_determinismE0ELb1ELb1ES3_N6thrust23THRUST_200600_302600_NS6detail15normal_iteratorINS9_10device_ptrIsEEEENS9_16discard_iteratorINS9_11use_defaultEEEsNS9_4plusIvEEsEEDaPvRmT3_T4_T5_mT6_P12ihipStream_tbENKUlT_T0_E_clISt17integral_constantIbLb1EESX_EEDaSS_ST_EUlSS_E0_NS1_11comp_targetILNS1_3genE0ELNS1_11target_archE4294967295ELNS1_3gpuE0ELNS1_3repE0EEENS1_30default_config_static_selectorELNS0_4arch9wavefront6targetE1EEEvT1_, .Lfunc_end5969-_ZN7rocprim17ROCPRIM_400000_NS6detail17trampoline_kernelINS0_14default_configENS1_20scan_config_selectorIsEEZZNS1_9scan_implILNS1_25lookback_scan_determinismE0ELb1ELb1ES3_N6thrust23THRUST_200600_302600_NS6detail15normal_iteratorINS9_10device_ptrIsEEEENS9_16discard_iteratorINS9_11use_defaultEEEsNS9_4plusIvEEsEEDaPvRmT3_T4_T5_mT6_P12ihipStream_tbENKUlT_T0_E_clISt17integral_constantIbLb1EESX_EEDaSS_ST_EUlSS_E0_NS1_11comp_targetILNS1_3genE0ELNS1_11target_archE4294967295ELNS1_3gpuE0ELNS1_3repE0EEENS1_30default_config_static_selectorELNS0_4arch9wavefront6targetE1EEEvT1_
                                        ; -- End function
	.section	.AMDGPU.csdata,"",@progbits
; Kernel info:
; codeLenInByte = 0
; NumSgprs: 4
; NumVgprs: 0
; NumAgprs: 0
; TotalNumVgprs: 0
; ScratchSize: 0
; MemoryBound: 0
; FloatMode: 240
; IeeeMode: 1
; LDSByteSize: 0 bytes/workgroup (compile time only)
; SGPRBlocks: 0
; VGPRBlocks: 0
; NumSGPRsForWavesPerEU: 4
; NumVGPRsForWavesPerEU: 1
; AccumOffset: 4
; Occupancy: 8
; WaveLimiterHint : 0
; COMPUTE_PGM_RSRC2:SCRATCH_EN: 0
; COMPUTE_PGM_RSRC2:USER_SGPR: 6
; COMPUTE_PGM_RSRC2:TRAP_HANDLER: 0
; COMPUTE_PGM_RSRC2:TGID_X_EN: 1
; COMPUTE_PGM_RSRC2:TGID_Y_EN: 0
; COMPUTE_PGM_RSRC2:TGID_Z_EN: 0
; COMPUTE_PGM_RSRC2:TIDIG_COMP_CNT: 0
; COMPUTE_PGM_RSRC3_GFX90A:ACCUM_OFFSET: 0
; COMPUTE_PGM_RSRC3_GFX90A:TG_SPLIT: 0
	.section	.text._ZN7rocprim17ROCPRIM_400000_NS6detail17trampoline_kernelINS0_14default_configENS1_20scan_config_selectorIsEEZZNS1_9scan_implILNS1_25lookback_scan_determinismE0ELb1ELb1ES3_N6thrust23THRUST_200600_302600_NS6detail15normal_iteratorINS9_10device_ptrIsEEEENS9_16discard_iteratorINS9_11use_defaultEEEsNS9_4plusIvEEsEEDaPvRmT3_T4_T5_mT6_P12ihipStream_tbENKUlT_T0_E_clISt17integral_constantIbLb1EESX_EEDaSS_ST_EUlSS_E0_NS1_11comp_targetILNS1_3genE5ELNS1_11target_archE942ELNS1_3gpuE9ELNS1_3repE0EEENS1_30default_config_static_selectorELNS0_4arch9wavefront6targetE1EEEvT1_,"axG",@progbits,_ZN7rocprim17ROCPRIM_400000_NS6detail17trampoline_kernelINS0_14default_configENS1_20scan_config_selectorIsEEZZNS1_9scan_implILNS1_25lookback_scan_determinismE0ELb1ELb1ES3_N6thrust23THRUST_200600_302600_NS6detail15normal_iteratorINS9_10device_ptrIsEEEENS9_16discard_iteratorINS9_11use_defaultEEEsNS9_4plusIvEEsEEDaPvRmT3_T4_T5_mT6_P12ihipStream_tbENKUlT_T0_E_clISt17integral_constantIbLb1EESX_EEDaSS_ST_EUlSS_E0_NS1_11comp_targetILNS1_3genE5ELNS1_11target_archE942ELNS1_3gpuE9ELNS1_3repE0EEENS1_30default_config_static_selectorELNS0_4arch9wavefront6targetE1EEEvT1_,comdat
	.protected	_ZN7rocprim17ROCPRIM_400000_NS6detail17trampoline_kernelINS0_14default_configENS1_20scan_config_selectorIsEEZZNS1_9scan_implILNS1_25lookback_scan_determinismE0ELb1ELb1ES3_N6thrust23THRUST_200600_302600_NS6detail15normal_iteratorINS9_10device_ptrIsEEEENS9_16discard_iteratorINS9_11use_defaultEEEsNS9_4plusIvEEsEEDaPvRmT3_T4_T5_mT6_P12ihipStream_tbENKUlT_T0_E_clISt17integral_constantIbLb1EESX_EEDaSS_ST_EUlSS_E0_NS1_11comp_targetILNS1_3genE5ELNS1_11target_archE942ELNS1_3gpuE9ELNS1_3repE0EEENS1_30default_config_static_selectorELNS0_4arch9wavefront6targetE1EEEvT1_ ; -- Begin function _ZN7rocprim17ROCPRIM_400000_NS6detail17trampoline_kernelINS0_14default_configENS1_20scan_config_selectorIsEEZZNS1_9scan_implILNS1_25lookback_scan_determinismE0ELb1ELb1ES3_N6thrust23THRUST_200600_302600_NS6detail15normal_iteratorINS9_10device_ptrIsEEEENS9_16discard_iteratorINS9_11use_defaultEEEsNS9_4plusIvEEsEEDaPvRmT3_T4_T5_mT6_P12ihipStream_tbENKUlT_T0_E_clISt17integral_constantIbLb1EESX_EEDaSS_ST_EUlSS_E0_NS1_11comp_targetILNS1_3genE5ELNS1_11target_archE942ELNS1_3gpuE9ELNS1_3repE0EEENS1_30default_config_static_selectorELNS0_4arch9wavefront6targetE1EEEvT1_
	.globl	_ZN7rocprim17ROCPRIM_400000_NS6detail17trampoline_kernelINS0_14default_configENS1_20scan_config_selectorIsEEZZNS1_9scan_implILNS1_25lookback_scan_determinismE0ELb1ELb1ES3_N6thrust23THRUST_200600_302600_NS6detail15normal_iteratorINS9_10device_ptrIsEEEENS9_16discard_iteratorINS9_11use_defaultEEEsNS9_4plusIvEEsEEDaPvRmT3_T4_T5_mT6_P12ihipStream_tbENKUlT_T0_E_clISt17integral_constantIbLb1EESX_EEDaSS_ST_EUlSS_E0_NS1_11comp_targetILNS1_3genE5ELNS1_11target_archE942ELNS1_3gpuE9ELNS1_3repE0EEENS1_30default_config_static_selectorELNS0_4arch9wavefront6targetE1EEEvT1_
	.p2align	8
	.type	_ZN7rocprim17ROCPRIM_400000_NS6detail17trampoline_kernelINS0_14default_configENS1_20scan_config_selectorIsEEZZNS1_9scan_implILNS1_25lookback_scan_determinismE0ELb1ELb1ES3_N6thrust23THRUST_200600_302600_NS6detail15normal_iteratorINS9_10device_ptrIsEEEENS9_16discard_iteratorINS9_11use_defaultEEEsNS9_4plusIvEEsEEDaPvRmT3_T4_T5_mT6_P12ihipStream_tbENKUlT_T0_E_clISt17integral_constantIbLb1EESX_EEDaSS_ST_EUlSS_E0_NS1_11comp_targetILNS1_3genE5ELNS1_11target_archE942ELNS1_3gpuE9ELNS1_3repE0EEENS1_30default_config_static_selectorELNS0_4arch9wavefront6targetE1EEEvT1_,@function
_ZN7rocprim17ROCPRIM_400000_NS6detail17trampoline_kernelINS0_14default_configENS1_20scan_config_selectorIsEEZZNS1_9scan_implILNS1_25lookback_scan_determinismE0ELb1ELb1ES3_N6thrust23THRUST_200600_302600_NS6detail15normal_iteratorINS9_10device_ptrIsEEEENS9_16discard_iteratorINS9_11use_defaultEEEsNS9_4plusIvEEsEEDaPvRmT3_T4_T5_mT6_P12ihipStream_tbENKUlT_T0_E_clISt17integral_constantIbLb1EESX_EEDaSS_ST_EUlSS_E0_NS1_11comp_targetILNS1_3genE5ELNS1_11target_archE942ELNS1_3gpuE9ELNS1_3repE0EEENS1_30default_config_static_selectorELNS0_4arch9wavefront6targetE1EEEvT1_: ; @_ZN7rocprim17ROCPRIM_400000_NS6detail17trampoline_kernelINS0_14default_configENS1_20scan_config_selectorIsEEZZNS1_9scan_implILNS1_25lookback_scan_determinismE0ELb1ELb1ES3_N6thrust23THRUST_200600_302600_NS6detail15normal_iteratorINS9_10device_ptrIsEEEENS9_16discard_iteratorINS9_11use_defaultEEEsNS9_4plusIvEEsEEDaPvRmT3_T4_T5_mT6_P12ihipStream_tbENKUlT_T0_E_clISt17integral_constantIbLb1EESX_EEDaSS_ST_EUlSS_E0_NS1_11comp_targetILNS1_3genE5ELNS1_11target_archE942ELNS1_3gpuE9ELNS1_3repE0EEENS1_30default_config_static_selectorELNS0_4arch9wavefront6targetE1EEEvT1_
; %bb.0:
	.section	.rodata,"a",@progbits
	.p2align	6, 0x0
	.amdhsa_kernel _ZN7rocprim17ROCPRIM_400000_NS6detail17trampoline_kernelINS0_14default_configENS1_20scan_config_selectorIsEEZZNS1_9scan_implILNS1_25lookback_scan_determinismE0ELb1ELb1ES3_N6thrust23THRUST_200600_302600_NS6detail15normal_iteratorINS9_10device_ptrIsEEEENS9_16discard_iteratorINS9_11use_defaultEEEsNS9_4plusIvEEsEEDaPvRmT3_T4_T5_mT6_P12ihipStream_tbENKUlT_T0_E_clISt17integral_constantIbLb1EESX_EEDaSS_ST_EUlSS_E0_NS1_11comp_targetILNS1_3genE5ELNS1_11target_archE942ELNS1_3gpuE9ELNS1_3repE0EEENS1_30default_config_static_selectorELNS0_4arch9wavefront6targetE1EEEvT1_
		.amdhsa_group_segment_fixed_size 0
		.amdhsa_private_segment_fixed_size 0
		.amdhsa_kernarg_size 40
		.amdhsa_user_sgpr_count 6
		.amdhsa_user_sgpr_private_segment_buffer 1
		.amdhsa_user_sgpr_dispatch_ptr 0
		.amdhsa_user_sgpr_queue_ptr 0
		.amdhsa_user_sgpr_kernarg_segment_ptr 1
		.amdhsa_user_sgpr_dispatch_id 0
		.amdhsa_user_sgpr_flat_scratch_init 0
		.amdhsa_user_sgpr_kernarg_preload_length 0
		.amdhsa_user_sgpr_kernarg_preload_offset 0
		.amdhsa_user_sgpr_private_segment_size 0
		.amdhsa_uses_dynamic_stack 0
		.amdhsa_system_sgpr_private_segment_wavefront_offset 0
		.amdhsa_system_sgpr_workgroup_id_x 1
		.amdhsa_system_sgpr_workgroup_id_y 0
		.amdhsa_system_sgpr_workgroup_id_z 0
		.amdhsa_system_sgpr_workgroup_info 0
		.amdhsa_system_vgpr_workitem_id 0
		.amdhsa_next_free_vgpr 1
		.amdhsa_next_free_sgpr 0
		.amdhsa_accum_offset 4
		.amdhsa_reserve_vcc 0
		.amdhsa_reserve_flat_scratch 0
		.amdhsa_float_round_mode_32 0
		.amdhsa_float_round_mode_16_64 0
		.amdhsa_float_denorm_mode_32 3
		.amdhsa_float_denorm_mode_16_64 3
		.amdhsa_dx10_clamp 1
		.amdhsa_ieee_mode 1
		.amdhsa_fp16_overflow 0
		.amdhsa_tg_split 0
		.amdhsa_exception_fp_ieee_invalid_op 0
		.amdhsa_exception_fp_denorm_src 0
		.amdhsa_exception_fp_ieee_div_zero 0
		.amdhsa_exception_fp_ieee_overflow 0
		.amdhsa_exception_fp_ieee_underflow 0
		.amdhsa_exception_fp_ieee_inexact 0
		.amdhsa_exception_int_div_zero 0
	.end_amdhsa_kernel
	.section	.text._ZN7rocprim17ROCPRIM_400000_NS6detail17trampoline_kernelINS0_14default_configENS1_20scan_config_selectorIsEEZZNS1_9scan_implILNS1_25lookback_scan_determinismE0ELb1ELb1ES3_N6thrust23THRUST_200600_302600_NS6detail15normal_iteratorINS9_10device_ptrIsEEEENS9_16discard_iteratorINS9_11use_defaultEEEsNS9_4plusIvEEsEEDaPvRmT3_T4_T5_mT6_P12ihipStream_tbENKUlT_T0_E_clISt17integral_constantIbLb1EESX_EEDaSS_ST_EUlSS_E0_NS1_11comp_targetILNS1_3genE5ELNS1_11target_archE942ELNS1_3gpuE9ELNS1_3repE0EEENS1_30default_config_static_selectorELNS0_4arch9wavefront6targetE1EEEvT1_,"axG",@progbits,_ZN7rocprim17ROCPRIM_400000_NS6detail17trampoline_kernelINS0_14default_configENS1_20scan_config_selectorIsEEZZNS1_9scan_implILNS1_25lookback_scan_determinismE0ELb1ELb1ES3_N6thrust23THRUST_200600_302600_NS6detail15normal_iteratorINS9_10device_ptrIsEEEENS9_16discard_iteratorINS9_11use_defaultEEEsNS9_4plusIvEEsEEDaPvRmT3_T4_T5_mT6_P12ihipStream_tbENKUlT_T0_E_clISt17integral_constantIbLb1EESX_EEDaSS_ST_EUlSS_E0_NS1_11comp_targetILNS1_3genE5ELNS1_11target_archE942ELNS1_3gpuE9ELNS1_3repE0EEENS1_30default_config_static_selectorELNS0_4arch9wavefront6targetE1EEEvT1_,comdat
.Lfunc_end5970:
	.size	_ZN7rocprim17ROCPRIM_400000_NS6detail17trampoline_kernelINS0_14default_configENS1_20scan_config_selectorIsEEZZNS1_9scan_implILNS1_25lookback_scan_determinismE0ELb1ELb1ES3_N6thrust23THRUST_200600_302600_NS6detail15normal_iteratorINS9_10device_ptrIsEEEENS9_16discard_iteratorINS9_11use_defaultEEEsNS9_4plusIvEEsEEDaPvRmT3_T4_T5_mT6_P12ihipStream_tbENKUlT_T0_E_clISt17integral_constantIbLb1EESX_EEDaSS_ST_EUlSS_E0_NS1_11comp_targetILNS1_3genE5ELNS1_11target_archE942ELNS1_3gpuE9ELNS1_3repE0EEENS1_30default_config_static_selectorELNS0_4arch9wavefront6targetE1EEEvT1_, .Lfunc_end5970-_ZN7rocprim17ROCPRIM_400000_NS6detail17trampoline_kernelINS0_14default_configENS1_20scan_config_selectorIsEEZZNS1_9scan_implILNS1_25lookback_scan_determinismE0ELb1ELb1ES3_N6thrust23THRUST_200600_302600_NS6detail15normal_iteratorINS9_10device_ptrIsEEEENS9_16discard_iteratorINS9_11use_defaultEEEsNS9_4plusIvEEsEEDaPvRmT3_T4_T5_mT6_P12ihipStream_tbENKUlT_T0_E_clISt17integral_constantIbLb1EESX_EEDaSS_ST_EUlSS_E0_NS1_11comp_targetILNS1_3genE5ELNS1_11target_archE942ELNS1_3gpuE9ELNS1_3repE0EEENS1_30default_config_static_selectorELNS0_4arch9wavefront6targetE1EEEvT1_
                                        ; -- End function
	.section	.AMDGPU.csdata,"",@progbits
; Kernel info:
; codeLenInByte = 0
; NumSgprs: 4
; NumVgprs: 0
; NumAgprs: 0
; TotalNumVgprs: 0
; ScratchSize: 0
; MemoryBound: 0
; FloatMode: 240
; IeeeMode: 1
; LDSByteSize: 0 bytes/workgroup (compile time only)
; SGPRBlocks: 0
; VGPRBlocks: 0
; NumSGPRsForWavesPerEU: 4
; NumVGPRsForWavesPerEU: 1
; AccumOffset: 4
; Occupancy: 8
; WaveLimiterHint : 0
; COMPUTE_PGM_RSRC2:SCRATCH_EN: 0
; COMPUTE_PGM_RSRC2:USER_SGPR: 6
; COMPUTE_PGM_RSRC2:TRAP_HANDLER: 0
; COMPUTE_PGM_RSRC2:TGID_X_EN: 1
; COMPUTE_PGM_RSRC2:TGID_Y_EN: 0
; COMPUTE_PGM_RSRC2:TGID_Z_EN: 0
; COMPUTE_PGM_RSRC2:TIDIG_COMP_CNT: 0
; COMPUTE_PGM_RSRC3_GFX90A:ACCUM_OFFSET: 0
; COMPUTE_PGM_RSRC3_GFX90A:TG_SPLIT: 0
	.section	.text._ZN7rocprim17ROCPRIM_400000_NS6detail17trampoline_kernelINS0_14default_configENS1_20scan_config_selectorIsEEZZNS1_9scan_implILNS1_25lookback_scan_determinismE0ELb1ELb1ES3_N6thrust23THRUST_200600_302600_NS6detail15normal_iteratorINS9_10device_ptrIsEEEENS9_16discard_iteratorINS9_11use_defaultEEEsNS9_4plusIvEEsEEDaPvRmT3_T4_T5_mT6_P12ihipStream_tbENKUlT_T0_E_clISt17integral_constantIbLb1EESX_EEDaSS_ST_EUlSS_E0_NS1_11comp_targetILNS1_3genE4ELNS1_11target_archE910ELNS1_3gpuE8ELNS1_3repE0EEENS1_30default_config_static_selectorELNS0_4arch9wavefront6targetE1EEEvT1_,"axG",@progbits,_ZN7rocprim17ROCPRIM_400000_NS6detail17trampoline_kernelINS0_14default_configENS1_20scan_config_selectorIsEEZZNS1_9scan_implILNS1_25lookback_scan_determinismE0ELb1ELb1ES3_N6thrust23THRUST_200600_302600_NS6detail15normal_iteratorINS9_10device_ptrIsEEEENS9_16discard_iteratorINS9_11use_defaultEEEsNS9_4plusIvEEsEEDaPvRmT3_T4_T5_mT6_P12ihipStream_tbENKUlT_T0_E_clISt17integral_constantIbLb1EESX_EEDaSS_ST_EUlSS_E0_NS1_11comp_targetILNS1_3genE4ELNS1_11target_archE910ELNS1_3gpuE8ELNS1_3repE0EEENS1_30default_config_static_selectorELNS0_4arch9wavefront6targetE1EEEvT1_,comdat
	.protected	_ZN7rocprim17ROCPRIM_400000_NS6detail17trampoline_kernelINS0_14default_configENS1_20scan_config_selectorIsEEZZNS1_9scan_implILNS1_25lookback_scan_determinismE0ELb1ELb1ES3_N6thrust23THRUST_200600_302600_NS6detail15normal_iteratorINS9_10device_ptrIsEEEENS9_16discard_iteratorINS9_11use_defaultEEEsNS9_4plusIvEEsEEDaPvRmT3_T4_T5_mT6_P12ihipStream_tbENKUlT_T0_E_clISt17integral_constantIbLb1EESX_EEDaSS_ST_EUlSS_E0_NS1_11comp_targetILNS1_3genE4ELNS1_11target_archE910ELNS1_3gpuE8ELNS1_3repE0EEENS1_30default_config_static_selectorELNS0_4arch9wavefront6targetE1EEEvT1_ ; -- Begin function _ZN7rocprim17ROCPRIM_400000_NS6detail17trampoline_kernelINS0_14default_configENS1_20scan_config_selectorIsEEZZNS1_9scan_implILNS1_25lookback_scan_determinismE0ELb1ELb1ES3_N6thrust23THRUST_200600_302600_NS6detail15normal_iteratorINS9_10device_ptrIsEEEENS9_16discard_iteratorINS9_11use_defaultEEEsNS9_4plusIvEEsEEDaPvRmT3_T4_T5_mT6_P12ihipStream_tbENKUlT_T0_E_clISt17integral_constantIbLb1EESX_EEDaSS_ST_EUlSS_E0_NS1_11comp_targetILNS1_3genE4ELNS1_11target_archE910ELNS1_3gpuE8ELNS1_3repE0EEENS1_30default_config_static_selectorELNS0_4arch9wavefront6targetE1EEEvT1_
	.globl	_ZN7rocprim17ROCPRIM_400000_NS6detail17trampoline_kernelINS0_14default_configENS1_20scan_config_selectorIsEEZZNS1_9scan_implILNS1_25lookback_scan_determinismE0ELb1ELb1ES3_N6thrust23THRUST_200600_302600_NS6detail15normal_iteratorINS9_10device_ptrIsEEEENS9_16discard_iteratorINS9_11use_defaultEEEsNS9_4plusIvEEsEEDaPvRmT3_T4_T5_mT6_P12ihipStream_tbENKUlT_T0_E_clISt17integral_constantIbLb1EESX_EEDaSS_ST_EUlSS_E0_NS1_11comp_targetILNS1_3genE4ELNS1_11target_archE910ELNS1_3gpuE8ELNS1_3repE0EEENS1_30default_config_static_selectorELNS0_4arch9wavefront6targetE1EEEvT1_
	.p2align	8
	.type	_ZN7rocprim17ROCPRIM_400000_NS6detail17trampoline_kernelINS0_14default_configENS1_20scan_config_selectorIsEEZZNS1_9scan_implILNS1_25lookback_scan_determinismE0ELb1ELb1ES3_N6thrust23THRUST_200600_302600_NS6detail15normal_iteratorINS9_10device_ptrIsEEEENS9_16discard_iteratorINS9_11use_defaultEEEsNS9_4plusIvEEsEEDaPvRmT3_T4_T5_mT6_P12ihipStream_tbENKUlT_T0_E_clISt17integral_constantIbLb1EESX_EEDaSS_ST_EUlSS_E0_NS1_11comp_targetILNS1_3genE4ELNS1_11target_archE910ELNS1_3gpuE8ELNS1_3repE0EEENS1_30default_config_static_selectorELNS0_4arch9wavefront6targetE1EEEvT1_,@function
_ZN7rocprim17ROCPRIM_400000_NS6detail17trampoline_kernelINS0_14default_configENS1_20scan_config_selectorIsEEZZNS1_9scan_implILNS1_25lookback_scan_determinismE0ELb1ELb1ES3_N6thrust23THRUST_200600_302600_NS6detail15normal_iteratorINS9_10device_ptrIsEEEENS9_16discard_iteratorINS9_11use_defaultEEEsNS9_4plusIvEEsEEDaPvRmT3_T4_T5_mT6_P12ihipStream_tbENKUlT_T0_E_clISt17integral_constantIbLb1EESX_EEDaSS_ST_EUlSS_E0_NS1_11comp_targetILNS1_3genE4ELNS1_11target_archE910ELNS1_3gpuE8ELNS1_3repE0EEENS1_30default_config_static_selectorELNS0_4arch9wavefront6targetE1EEEvT1_: ; @_ZN7rocprim17ROCPRIM_400000_NS6detail17trampoline_kernelINS0_14default_configENS1_20scan_config_selectorIsEEZZNS1_9scan_implILNS1_25lookback_scan_determinismE0ELb1ELb1ES3_N6thrust23THRUST_200600_302600_NS6detail15normal_iteratorINS9_10device_ptrIsEEEENS9_16discard_iteratorINS9_11use_defaultEEEsNS9_4plusIvEEsEEDaPvRmT3_T4_T5_mT6_P12ihipStream_tbENKUlT_T0_E_clISt17integral_constantIbLb1EESX_EEDaSS_ST_EUlSS_E0_NS1_11comp_targetILNS1_3genE4ELNS1_11target_archE910ELNS1_3gpuE8ELNS1_3repE0EEENS1_30default_config_static_selectorELNS0_4arch9wavefront6targetE1EEEvT1_
; %bb.0:
	s_load_dwordx4 s[0:3], s[4:5], 0x0
	v_mov_b32_e32 v1, 0
	s_waitcnt lgkmcnt(0)
	global_load_ushort v2, v1, s[0:1]
	v_cmp_gt_u32_e32 vcc, s2, v0
	v_lshlrev_b32_e32 v1, 1, v0
	s_waitcnt vmcnt(0)
	v_mov_b32_e32 v3, v2
	s_and_saveexec_b64 s[6:7], vcc
	s_cbranch_execz .LBB5971_2
; %bb.1:
	global_load_ushort v3, v1, s[0:1]
.LBB5971_2:
	s_or_b64 exec, exec, s[6:7]
	v_or_b32_e32 v4, 64, v0
	v_cmp_gt_u32_e32 vcc, s2, v4
	v_mov_b32_e32 v4, v2
	s_and_saveexec_b64 s[6:7], vcc
	s_cbranch_execz .LBB5971_4
; %bb.3:
	global_load_ushort v4, v1, s[0:1] offset:128
.LBB5971_4:
	s_or_b64 exec, exec, s[6:7]
	v_or_b32_e32 v5, 0x80, v0
	v_cmp_gt_u32_e32 vcc, s2, v5
	v_mov_b32_e32 v5, v2
	s_and_saveexec_b64 s[6:7], vcc
	s_cbranch_execz .LBB5971_6
; %bb.5:
	global_load_ushort v5, v1, s[0:1] offset:256
.LBB5971_6:
	;; [unrolled: 9-line block ×22, first 2 shown]
	s_or_b64 exec, exec, s[6:7]
	s_load_dword s4, s[4:5], 0x10
	v_or_b32_e32 v26, 0x5c0, v0
	v_cmp_gt_u32_e32 vcc, s2, v26
	s_and_saveexec_b64 s[2:3], vcc
	s_cbranch_execz .LBB5971_48
; %bb.47:
	global_load_ushort v2, v1, s[0:1] offset:2944
.LBB5971_48:
	s_or_b64 exec, exec, s[2:3]
	s_waitcnt vmcnt(0)
	ds_write_b16 v1, v3
	ds_write_b16 v1, v4 offset:128
	ds_write_b16 v1, v5 offset:256
	;; [unrolled: 1-line block ×23, first 2 shown]
	v_mad_u32_u24 v2, v0, 46, v1
	s_waitcnt lgkmcnt(0)
	; wave barrier
	s_waitcnt lgkmcnt(0)
	ds_read_b128 v[10:13], v2
	ds_read_b128 v[6:9], v2 offset:16
	ds_read_b128 v[2:5], v2 offset:32
	v_mul_u32_u24_e32 v14, 46, v0
	s_waitcnt lgkmcnt(0)
	v_add_u16_sdwa v15, v10, v10 dst_sel:DWORD dst_unused:UNUSED_PAD src0_sel:WORD_1 src1_sel:DWORD
	v_add_u16_e32 v15, v15, v11
	v_add_u16_sdwa v15, v15, v11 dst_sel:DWORD dst_unused:UNUSED_PAD src0_sel:DWORD src1_sel:WORD_1
	v_add_u16_e32 v15, v15, v12
	v_add_u16_sdwa v15, v15, v12 dst_sel:DWORD dst_unused:UNUSED_PAD src0_sel:DWORD src1_sel:WORD_1
	;; [unrolled: 2-line block ×11, first 2 shown]
	v_mbcnt_lo_u32_b32 v15, -1, 0
	v_mbcnt_hi_u32_b32 v15, -1, v15
	v_and_b32_e32 v17, 15, v15
	v_mov_b32_dpp v18, v16 row_shr:1 row_mask:0xf bank_mask:0xf
	v_cmp_ne_u32_e32 vcc, 0, v17
	v_cndmask_b32_e32 v18, 0, v18, vcc
	v_add_u16_e32 v16, v18, v16
	v_cmp_lt_u32_e32 vcc, 1, v17
	; wave barrier
	s_nop 0
	v_mov_b32_dpp v18, v16 row_shr:2 row_mask:0xf bank_mask:0xf
	v_cndmask_b32_e32 v18, 0, v18, vcc
	v_add_u16_e32 v16, v16, v18
	v_cmp_lt_u32_e32 vcc, 3, v17
	s_nop 0
	v_mov_b32_dpp v18, v16 row_shr:4 row_mask:0xf bank_mask:0xf
	v_cndmask_b32_e32 v18, 0, v18, vcc
	v_add_u16_e32 v16, v16, v18
	v_cmp_lt_u32_e32 vcc, 7, v17
	s_nop 0
	v_mov_b32_dpp v18, v16 row_shr:8 row_mask:0xf bank_mask:0xf
	v_cndmask_b32_e32 v17, 0, v18, vcc
	v_add_u16_e32 v16, v16, v17
	v_and_b32_e32 v18, 16, v15
	v_cmp_ne_u32_e32 vcc, 0, v18
	v_mov_b32_dpp v17, v16 row_bcast:15 row_mask:0xf bank_mask:0xf
	v_cndmask_b32_e32 v17, 0, v17, vcc
	v_add_u16_e32 v16, v16, v17
	v_cmp_lt_u32_e32 vcc, 31, v15
	s_nop 0
	v_mov_b32_dpp v17, v16 row_bcast:31 row_mask:0xf bank_mask:0xf
	v_cndmask_b32_e32 v17, 0, v17, vcc
	v_add_u16_e32 v16, v16, v17
	v_cmp_eq_u32_e32 vcc, 63, v0
	s_and_saveexec_b64 s[0:1], vcc
	s_cbranch_execz .LBB5971_50
; %bb.49:
	v_mov_b32_e32 v17, 0
	ds_write_b16 v17, v16
.LBB5971_50:
	s_or_b64 exec, exec, s[0:1]
	v_add_u32_e32 v17, -1, v15
	v_and_b32_e32 v18, 64, v15
	v_cmp_lt_i32_e32 vcc, v17, v18
	v_cndmask_b32_e32 v17, v17, v15, vcc
	v_add_u16_e32 v16, s4, v16
	v_lshlrev_b32_e32 v17, 2, v17
	ds_bpermute_b32 v16, v17, v16
	v_cmp_eq_u32_e32 vcc, 0, v15
	v_cmp_eq_u32_e64 s[0:1], 0, v0
	v_mov_b32_e32 v0, s4
	s_or_b64 vcc, s[0:1], vcc
	s_waitcnt lgkmcnt(0)
	v_cndmask_b32_e32 v0, v16, v0, vcc
	v_add_u16_e32 v15, v0, v10
	v_add_u16_sdwa v10, v15, v10 dst_sel:DWORD dst_unused:UNUSED_PAD src0_sel:DWORD src1_sel:WORD_1
	v_add_u16_e32 v16, v10, v11
	v_add_u16_sdwa v11, v16, v11 dst_sel:DWORD dst_unused:UNUSED_PAD src0_sel:DWORD src1_sel:WORD_1
	;; [unrolled: 2-line block ×10, first 2 shown]
	v_add_u16_e32 v27, v26, v4
	s_mov_b32 s0, 0x5040100
	v_add_u16_sdwa v4, v27, v4 dst_sel:DWORD dst_unused:UNUSED_PAD src0_sel:DWORD src1_sel:WORD_1
	v_add_u32_e32 v14, v1, v14
	v_perm_b32 v0, v15, v0, s0
	v_perm_b32 v1, v16, v10, s0
	v_perm_b32 v2, v17, v11, s0
	v_perm_b32 v3, v18, v12, s0
	s_waitcnt lgkmcnt(0)
	; wave barrier
	v_add_u16_e32 v5, v4, v5
	s_waitcnt lgkmcnt(0)
	; wave barrier
	ds_write_b128 v14, v[0:3]
	v_perm_b32 v0, v19, v13, s0
	v_perm_b32 v1, v20, v6, s0
	;; [unrolled: 1-line block ×4, first 2 shown]
	ds_write_b128 v14, v[0:3] offset:16
	v_perm_b32 v0, v23, v9, s0
	v_perm_b32 v1, v25, v24, s0
	;; [unrolled: 1-line block ×4, first 2 shown]
	ds_write_b128 v14, v[0:3] offset:32
	s_waitcnt lgkmcnt(0)
	; wave barrier
	s_waitcnt lgkmcnt(0)
	s_endpgm
	.section	.rodata,"a",@progbits
	.p2align	6, 0x0
	.amdhsa_kernel _ZN7rocprim17ROCPRIM_400000_NS6detail17trampoline_kernelINS0_14default_configENS1_20scan_config_selectorIsEEZZNS1_9scan_implILNS1_25lookback_scan_determinismE0ELb1ELb1ES3_N6thrust23THRUST_200600_302600_NS6detail15normal_iteratorINS9_10device_ptrIsEEEENS9_16discard_iteratorINS9_11use_defaultEEEsNS9_4plusIvEEsEEDaPvRmT3_T4_T5_mT6_P12ihipStream_tbENKUlT_T0_E_clISt17integral_constantIbLb1EESX_EEDaSS_ST_EUlSS_E0_NS1_11comp_targetILNS1_3genE4ELNS1_11target_archE910ELNS1_3gpuE8ELNS1_3repE0EEENS1_30default_config_static_selectorELNS0_4arch9wavefront6targetE1EEEvT1_
		.amdhsa_group_segment_fixed_size 3072
		.amdhsa_private_segment_fixed_size 0
		.amdhsa_kernarg_size 40
		.amdhsa_user_sgpr_count 6
		.amdhsa_user_sgpr_private_segment_buffer 1
		.amdhsa_user_sgpr_dispatch_ptr 0
		.amdhsa_user_sgpr_queue_ptr 0
		.amdhsa_user_sgpr_kernarg_segment_ptr 1
		.amdhsa_user_sgpr_dispatch_id 0
		.amdhsa_user_sgpr_flat_scratch_init 0
		.amdhsa_user_sgpr_kernarg_preload_length 0
		.amdhsa_user_sgpr_kernarg_preload_offset 0
		.amdhsa_user_sgpr_private_segment_size 0
		.amdhsa_uses_dynamic_stack 0
		.amdhsa_system_sgpr_private_segment_wavefront_offset 0
		.amdhsa_system_sgpr_workgroup_id_x 1
		.amdhsa_system_sgpr_workgroup_id_y 0
		.amdhsa_system_sgpr_workgroup_id_z 0
		.amdhsa_system_sgpr_workgroup_info 0
		.amdhsa_system_vgpr_workitem_id 0
		.amdhsa_next_free_vgpr 28
		.amdhsa_next_free_sgpr 8
		.amdhsa_accum_offset 28
		.amdhsa_reserve_vcc 1
		.amdhsa_reserve_flat_scratch 0
		.amdhsa_float_round_mode_32 0
		.amdhsa_float_round_mode_16_64 0
		.amdhsa_float_denorm_mode_32 3
		.amdhsa_float_denorm_mode_16_64 3
		.amdhsa_dx10_clamp 1
		.amdhsa_ieee_mode 1
		.amdhsa_fp16_overflow 0
		.amdhsa_tg_split 0
		.amdhsa_exception_fp_ieee_invalid_op 0
		.amdhsa_exception_fp_denorm_src 0
		.amdhsa_exception_fp_ieee_div_zero 0
		.amdhsa_exception_fp_ieee_overflow 0
		.amdhsa_exception_fp_ieee_underflow 0
		.amdhsa_exception_fp_ieee_inexact 0
		.amdhsa_exception_int_div_zero 0
	.end_amdhsa_kernel
	.section	.text._ZN7rocprim17ROCPRIM_400000_NS6detail17trampoline_kernelINS0_14default_configENS1_20scan_config_selectorIsEEZZNS1_9scan_implILNS1_25lookback_scan_determinismE0ELb1ELb1ES3_N6thrust23THRUST_200600_302600_NS6detail15normal_iteratorINS9_10device_ptrIsEEEENS9_16discard_iteratorINS9_11use_defaultEEEsNS9_4plusIvEEsEEDaPvRmT3_T4_T5_mT6_P12ihipStream_tbENKUlT_T0_E_clISt17integral_constantIbLb1EESX_EEDaSS_ST_EUlSS_E0_NS1_11comp_targetILNS1_3genE4ELNS1_11target_archE910ELNS1_3gpuE8ELNS1_3repE0EEENS1_30default_config_static_selectorELNS0_4arch9wavefront6targetE1EEEvT1_,"axG",@progbits,_ZN7rocprim17ROCPRIM_400000_NS6detail17trampoline_kernelINS0_14default_configENS1_20scan_config_selectorIsEEZZNS1_9scan_implILNS1_25lookback_scan_determinismE0ELb1ELb1ES3_N6thrust23THRUST_200600_302600_NS6detail15normal_iteratorINS9_10device_ptrIsEEEENS9_16discard_iteratorINS9_11use_defaultEEEsNS9_4plusIvEEsEEDaPvRmT3_T4_T5_mT6_P12ihipStream_tbENKUlT_T0_E_clISt17integral_constantIbLb1EESX_EEDaSS_ST_EUlSS_E0_NS1_11comp_targetILNS1_3genE4ELNS1_11target_archE910ELNS1_3gpuE8ELNS1_3repE0EEENS1_30default_config_static_selectorELNS0_4arch9wavefront6targetE1EEEvT1_,comdat
.Lfunc_end5971:
	.size	_ZN7rocprim17ROCPRIM_400000_NS6detail17trampoline_kernelINS0_14default_configENS1_20scan_config_selectorIsEEZZNS1_9scan_implILNS1_25lookback_scan_determinismE0ELb1ELb1ES3_N6thrust23THRUST_200600_302600_NS6detail15normal_iteratorINS9_10device_ptrIsEEEENS9_16discard_iteratorINS9_11use_defaultEEEsNS9_4plusIvEEsEEDaPvRmT3_T4_T5_mT6_P12ihipStream_tbENKUlT_T0_E_clISt17integral_constantIbLb1EESX_EEDaSS_ST_EUlSS_E0_NS1_11comp_targetILNS1_3genE4ELNS1_11target_archE910ELNS1_3gpuE8ELNS1_3repE0EEENS1_30default_config_static_selectorELNS0_4arch9wavefront6targetE1EEEvT1_, .Lfunc_end5971-_ZN7rocprim17ROCPRIM_400000_NS6detail17trampoline_kernelINS0_14default_configENS1_20scan_config_selectorIsEEZZNS1_9scan_implILNS1_25lookback_scan_determinismE0ELb1ELb1ES3_N6thrust23THRUST_200600_302600_NS6detail15normal_iteratorINS9_10device_ptrIsEEEENS9_16discard_iteratorINS9_11use_defaultEEEsNS9_4plusIvEEsEEDaPvRmT3_T4_T5_mT6_P12ihipStream_tbENKUlT_T0_E_clISt17integral_constantIbLb1EESX_EEDaSS_ST_EUlSS_E0_NS1_11comp_targetILNS1_3genE4ELNS1_11target_archE910ELNS1_3gpuE8ELNS1_3repE0EEENS1_30default_config_static_selectorELNS0_4arch9wavefront6targetE1EEEvT1_
                                        ; -- End function
	.section	.AMDGPU.csdata,"",@progbits
; Kernel info:
; codeLenInByte = 1808
; NumSgprs: 12
; NumVgprs: 28
; NumAgprs: 0
; TotalNumVgprs: 28
; ScratchSize: 0
; MemoryBound: 0
; FloatMode: 240
; IeeeMode: 1
; LDSByteSize: 3072 bytes/workgroup (compile time only)
; SGPRBlocks: 1
; VGPRBlocks: 3
; NumSGPRsForWavesPerEU: 12
; NumVGPRsForWavesPerEU: 28
; AccumOffset: 28
; Occupancy: 6
; WaveLimiterHint : 0
; COMPUTE_PGM_RSRC2:SCRATCH_EN: 0
; COMPUTE_PGM_RSRC2:USER_SGPR: 6
; COMPUTE_PGM_RSRC2:TRAP_HANDLER: 0
; COMPUTE_PGM_RSRC2:TGID_X_EN: 1
; COMPUTE_PGM_RSRC2:TGID_Y_EN: 0
; COMPUTE_PGM_RSRC2:TGID_Z_EN: 0
; COMPUTE_PGM_RSRC2:TIDIG_COMP_CNT: 0
; COMPUTE_PGM_RSRC3_GFX90A:ACCUM_OFFSET: 6
; COMPUTE_PGM_RSRC3_GFX90A:TG_SPLIT: 0
	.section	.text._ZN7rocprim17ROCPRIM_400000_NS6detail17trampoline_kernelINS0_14default_configENS1_20scan_config_selectorIsEEZZNS1_9scan_implILNS1_25lookback_scan_determinismE0ELb1ELb1ES3_N6thrust23THRUST_200600_302600_NS6detail15normal_iteratorINS9_10device_ptrIsEEEENS9_16discard_iteratorINS9_11use_defaultEEEsNS9_4plusIvEEsEEDaPvRmT3_T4_T5_mT6_P12ihipStream_tbENKUlT_T0_E_clISt17integral_constantIbLb1EESX_EEDaSS_ST_EUlSS_E0_NS1_11comp_targetILNS1_3genE3ELNS1_11target_archE908ELNS1_3gpuE7ELNS1_3repE0EEENS1_30default_config_static_selectorELNS0_4arch9wavefront6targetE1EEEvT1_,"axG",@progbits,_ZN7rocprim17ROCPRIM_400000_NS6detail17trampoline_kernelINS0_14default_configENS1_20scan_config_selectorIsEEZZNS1_9scan_implILNS1_25lookback_scan_determinismE0ELb1ELb1ES3_N6thrust23THRUST_200600_302600_NS6detail15normal_iteratorINS9_10device_ptrIsEEEENS9_16discard_iteratorINS9_11use_defaultEEEsNS9_4plusIvEEsEEDaPvRmT3_T4_T5_mT6_P12ihipStream_tbENKUlT_T0_E_clISt17integral_constantIbLb1EESX_EEDaSS_ST_EUlSS_E0_NS1_11comp_targetILNS1_3genE3ELNS1_11target_archE908ELNS1_3gpuE7ELNS1_3repE0EEENS1_30default_config_static_selectorELNS0_4arch9wavefront6targetE1EEEvT1_,comdat
	.protected	_ZN7rocprim17ROCPRIM_400000_NS6detail17trampoline_kernelINS0_14default_configENS1_20scan_config_selectorIsEEZZNS1_9scan_implILNS1_25lookback_scan_determinismE0ELb1ELb1ES3_N6thrust23THRUST_200600_302600_NS6detail15normal_iteratorINS9_10device_ptrIsEEEENS9_16discard_iteratorINS9_11use_defaultEEEsNS9_4plusIvEEsEEDaPvRmT3_T4_T5_mT6_P12ihipStream_tbENKUlT_T0_E_clISt17integral_constantIbLb1EESX_EEDaSS_ST_EUlSS_E0_NS1_11comp_targetILNS1_3genE3ELNS1_11target_archE908ELNS1_3gpuE7ELNS1_3repE0EEENS1_30default_config_static_selectorELNS0_4arch9wavefront6targetE1EEEvT1_ ; -- Begin function _ZN7rocprim17ROCPRIM_400000_NS6detail17trampoline_kernelINS0_14default_configENS1_20scan_config_selectorIsEEZZNS1_9scan_implILNS1_25lookback_scan_determinismE0ELb1ELb1ES3_N6thrust23THRUST_200600_302600_NS6detail15normal_iteratorINS9_10device_ptrIsEEEENS9_16discard_iteratorINS9_11use_defaultEEEsNS9_4plusIvEEsEEDaPvRmT3_T4_T5_mT6_P12ihipStream_tbENKUlT_T0_E_clISt17integral_constantIbLb1EESX_EEDaSS_ST_EUlSS_E0_NS1_11comp_targetILNS1_3genE3ELNS1_11target_archE908ELNS1_3gpuE7ELNS1_3repE0EEENS1_30default_config_static_selectorELNS0_4arch9wavefront6targetE1EEEvT1_
	.globl	_ZN7rocprim17ROCPRIM_400000_NS6detail17trampoline_kernelINS0_14default_configENS1_20scan_config_selectorIsEEZZNS1_9scan_implILNS1_25lookback_scan_determinismE0ELb1ELb1ES3_N6thrust23THRUST_200600_302600_NS6detail15normal_iteratorINS9_10device_ptrIsEEEENS9_16discard_iteratorINS9_11use_defaultEEEsNS9_4plusIvEEsEEDaPvRmT3_T4_T5_mT6_P12ihipStream_tbENKUlT_T0_E_clISt17integral_constantIbLb1EESX_EEDaSS_ST_EUlSS_E0_NS1_11comp_targetILNS1_3genE3ELNS1_11target_archE908ELNS1_3gpuE7ELNS1_3repE0EEENS1_30default_config_static_selectorELNS0_4arch9wavefront6targetE1EEEvT1_
	.p2align	8
	.type	_ZN7rocprim17ROCPRIM_400000_NS6detail17trampoline_kernelINS0_14default_configENS1_20scan_config_selectorIsEEZZNS1_9scan_implILNS1_25lookback_scan_determinismE0ELb1ELb1ES3_N6thrust23THRUST_200600_302600_NS6detail15normal_iteratorINS9_10device_ptrIsEEEENS9_16discard_iteratorINS9_11use_defaultEEEsNS9_4plusIvEEsEEDaPvRmT3_T4_T5_mT6_P12ihipStream_tbENKUlT_T0_E_clISt17integral_constantIbLb1EESX_EEDaSS_ST_EUlSS_E0_NS1_11comp_targetILNS1_3genE3ELNS1_11target_archE908ELNS1_3gpuE7ELNS1_3repE0EEENS1_30default_config_static_selectorELNS0_4arch9wavefront6targetE1EEEvT1_,@function
_ZN7rocprim17ROCPRIM_400000_NS6detail17trampoline_kernelINS0_14default_configENS1_20scan_config_selectorIsEEZZNS1_9scan_implILNS1_25lookback_scan_determinismE0ELb1ELb1ES3_N6thrust23THRUST_200600_302600_NS6detail15normal_iteratorINS9_10device_ptrIsEEEENS9_16discard_iteratorINS9_11use_defaultEEEsNS9_4plusIvEEsEEDaPvRmT3_T4_T5_mT6_P12ihipStream_tbENKUlT_T0_E_clISt17integral_constantIbLb1EESX_EEDaSS_ST_EUlSS_E0_NS1_11comp_targetILNS1_3genE3ELNS1_11target_archE908ELNS1_3gpuE7ELNS1_3repE0EEENS1_30default_config_static_selectorELNS0_4arch9wavefront6targetE1EEEvT1_: ; @_ZN7rocprim17ROCPRIM_400000_NS6detail17trampoline_kernelINS0_14default_configENS1_20scan_config_selectorIsEEZZNS1_9scan_implILNS1_25lookback_scan_determinismE0ELb1ELb1ES3_N6thrust23THRUST_200600_302600_NS6detail15normal_iteratorINS9_10device_ptrIsEEEENS9_16discard_iteratorINS9_11use_defaultEEEsNS9_4plusIvEEsEEDaPvRmT3_T4_T5_mT6_P12ihipStream_tbENKUlT_T0_E_clISt17integral_constantIbLb1EESX_EEDaSS_ST_EUlSS_E0_NS1_11comp_targetILNS1_3genE3ELNS1_11target_archE908ELNS1_3gpuE7ELNS1_3repE0EEENS1_30default_config_static_selectorELNS0_4arch9wavefront6targetE1EEEvT1_
; %bb.0:
	.section	.rodata,"a",@progbits
	.p2align	6, 0x0
	.amdhsa_kernel _ZN7rocprim17ROCPRIM_400000_NS6detail17trampoline_kernelINS0_14default_configENS1_20scan_config_selectorIsEEZZNS1_9scan_implILNS1_25lookback_scan_determinismE0ELb1ELb1ES3_N6thrust23THRUST_200600_302600_NS6detail15normal_iteratorINS9_10device_ptrIsEEEENS9_16discard_iteratorINS9_11use_defaultEEEsNS9_4plusIvEEsEEDaPvRmT3_T4_T5_mT6_P12ihipStream_tbENKUlT_T0_E_clISt17integral_constantIbLb1EESX_EEDaSS_ST_EUlSS_E0_NS1_11comp_targetILNS1_3genE3ELNS1_11target_archE908ELNS1_3gpuE7ELNS1_3repE0EEENS1_30default_config_static_selectorELNS0_4arch9wavefront6targetE1EEEvT1_
		.amdhsa_group_segment_fixed_size 0
		.amdhsa_private_segment_fixed_size 0
		.amdhsa_kernarg_size 40
		.amdhsa_user_sgpr_count 6
		.amdhsa_user_sgpr_private_segment_buffer 1
		.amdhsa_user_sgpr_dispatch_ptr 0
		.amdhsa_user_sgpr_queue_ptr 0
		.amdhsa_user_sgpr_kernarg_segment_ptr 1
		.amdhsa_user_sgpr_dispatch_id 0
		.amdhsa_user_sgpr_flat_scratch_init 0
		.amdhsa_user_sgpr_kernarg_preload_length 0
		.amdhsa_user_sgpr_kernarg_preload_offset 0
		.amdhsa_user_sgpr_private_segment_size 0
		.amdhsa_uses_dynamic_stack 0
		.amdhsa_system_sgpr_private_segment_wavefront_offset 0
		.amdhsa_system_sgpr_workgroup_id_x 1
		.amdhsa_system_sgpr_workgroup_id_y 0
		.amdhsa_system_sgpr_workgroup_id_z 0
		.amdhsa_system_sgpr_workgroup_info 0
		.amdhsa_system_vgpr_workitem_id 0
		.amdhsa_next_free_vgpr 1
		.amdhsa_next_free_sgpr 0
		.amdhsa_accum_offset 4
		.amdhsa_reserve_vcc 0
		.amdhsa_reserve_flat_scratch 0
		.amdhsa_float_round_mode_32 0
		.amdhsa_float_round_mode_16_64 0
		.amdhsa_float_denorm_mode_32 3
		.amdhsa_float_denorm_mode_16_64 3
		.amdhsa_dx10_clamp 1
		.amdhsa_ieee_mode 1
		.amdhsa_fp16_overflow 0
		.amdhsa_tg_split 0
		.amdhsa_exception_fp_ieee_invalid_op 0
		.amdhsa_exception_fp_denorm_src 0
		.amdhsa_exception_fp_ieee_div_zero 0
		.amdhsa_exception_fp_ieee_overflow 0
		.amdhsa_exception_fp_ieee_underflow 0
		.amdhsa_exception_fp_ieee_inexact 0
		.amdhsa_exception_int_div_zero 0
	.end_amdhsa_kernel
	.section	.text._ZN7rocprim17ROCPRIM_400000_NS6detail17trampoline_kernelINS0_14default_configENS1_20scan_config_selectorIsEEZZNS1_9scan_implILNS1_25lookback_scan_determinismE0ELb1ELb1ES3_N6thrust23THRUST_200600_302600_NS6detail15normal_iteratorINS9_10device_ptrIsEEEENS9_16discard_iteratorINS9_11use_defaultEEEsNS9_4plusIvEEsEEDaPvRmT3_T4_T5_mT6_P12ihipStream_tbENKUlT_T0_E_clISt17integral_constantIbLb1EESX_EEDaSS_ST_EUlSS_E0_NS1_11comp_targetILNS1_3genE3ELNS1_11target_archE908ELNS1_3gpuE7ELNS1_3repE0EEENS1_30default_config_static_selectorELNS0_4arch9wavefront6targetE1EEEvT1_,"axG",@progbits,_ZN7rocprim17ROCPRIM_400000_NS6detail17trampoline_kernelINS0_14default_configENS1_20scan_config_selectorIsEEZZNS1_9scan_implILNS1_25lookback_scan_determinismE0ELb1ELb1ES3_N6thrust23THRUST_200600_302600_NS6detail15normal_iteratorINS9_10device_ptrIsEEEENS9_16discard_iteratorINS9_11use_defaultEEEsNS9_4plusIvEEsEEDaPvRmT3_T4_T5_mT6_P12ihipStream_tbENKUlT_T0_E_clISt17integral_constantIbLb1EESX_EEDaSS_ST_EUlSS_E0_NS1_11comp_targetILNS1_3genE3ELNS1_11target_archE908ELNS1_3gpuE7ELNS1_3repE0EEENS1_30default_config_static_selectorELNS0_4arch9wavefront6targetE1EEEvT1_,comdat
.Lfunc_end5972:
	.size	_ZN7rocprim17ROCPRIM_400000_NS6detail17trampoline_kernelINS0_14default_configENS1_20scan_config_selectorIsEEZZNS1_9scan_implILNS1_25lookback_scan_determinismE0ELb1ELb1ES3_N6thrust23THRUST_200600_302600_NS6detail15normal_iteratorINS9_10device_ptrIsEEEENS9_16discard_iteratorINS9_11use_defaultEEEsNS9_4plusIvEEsEEDaPvRmT3_T4_T5_mT6_P12ihipStream_tbENKUlT_T0_E_clISt17integral_constantIbLb1EESX_EEDaSS_ST_EUlSS_E0_NS1_11comp_targetILNS1_3genE3ELNS1_11target_archE908ELNS1_3gpuE7ELNS1_3repE0EEENS1_30default_config_static_selectorELNS0_4arch9wavefront6targetE1EEEvT1_, .Lfunc_end5972-_ZN7rocprim17ROCPRIM_400000_NS6detail17trampoline_kernelINS0_14default_configENS1_20scan_config_selectorIsEEZZNS1_9scan_implILNS1_25lookback_scan_determinismE0ELb1ELb1ES3_N6thrust23THRUST_200600_302600_NS6detail15normal_iteratorINS9_10device_ptrIsEEEENS9_16discard_iteratorINS9_11use_defaultEEEsNS9_4plusIvEEsEEDaPvRmT3_T4_T5_mT6_P12ihipStream_tbENKUlT_T0_E_clISt17integral_constantIbLb1EESX_EEDaSS_ST_EUlSS_E0_NS1_11comp_targetILNS1_3genE3ELNS1_11target_archE908ELNS1_3gpuE7ELNS1_3repE0EEENS1_30default_config_static_selectorELNS0_4arch9wavefront6targetE1EEEvT1_
                                        ; -- End function
	.section	.AMDGPU.csdata,"",@progbits
; Kernel info:
; codeLenInByte = 0
; NumSgprs: 4
; NumVgprs: 0
; NumAgprs: 0
; TotalNumVgprs: 0
; ScratchSize: 0
; MemoryBound: 0
; FloatMode: 240
; IeeeMode: 1
; LDSByteSize: 0 bytes/workgroup (compile time only)
; SGPRBlocks: 0
; VGPRBlocks: 0
; NumSGPRsForWavesPerEU: 4
; NumVGPRsForWavesPerEU: 1
; AccumOffset: 4
; Occupancy: 8
; WaveLimiterHint : 0
; COMPUTE_PGM_RSRC2:SCRATCH_EN: 0
; COMPUTE_PGM_RSRC2:USER_SGPR: 6
; COMPUTE_PGM_RSRC2:TRAP_HANDLER: 0
; COMPUTE_PGM_RSRC2:TGID_X_EN: 1
; COMPUTE_PGM_RSRC2:TGID_Y_EN: 0
; COMPUTE_PGM_RSRC2:TGID_Z_EN: 0
; COMPUTE_PGM_RSRC2:TIDIG_COMP_CNT: 0
; COMPUTE_PGM_RSRC3_GFX90A:ACCUM_OFFSET: 0
; COMPUTE_PGM_RSRC3_GFX90A:TG_SPLIT: 0
	.section	.text._ZN7rocprim17ROCPRIM_400000_NS6detail17trampoline_kernelINS0_14default_configENS1_20scan_config_selectorIsEEZZNS1_9scan_implILNS1_25lookback_scan_determinismE0ELb1ELb1ES3_N6thrust23THRUST_200600_302600_NS6detail15normal_iteratorINS9_10device_ptrIsEEEENS9_16discard_iteratorINS9_11use_defaultEEEsNS9_4plusIvEEsEEDaPvRmT3_T4_T5_mT6_P12ihipStream_tbENKUlT_T0_E_clISt17integral_constantIbLb1EESX_EEDaSS_ST_EUlSS_E0_NS1_11comp_targetILNS1_3genE2ELNS1_11target_archE906ELNS1_3gpuE6ELNS1_3repE0EEENS1_30default_config_static_selectorELNS0_4arch9wavefront6targetE1EEEvT1_,"axG",@progbits,_ZN7rocprim17ROCPRIM_400000_NS6detail17trampoline_kernelINS0_14default_configENS1_20scan_config_selectorIsEEZZNS1_9scan_implILNS1_25lookback_scan_determinismE0ELb1ELb1ES3_N6thrust23THRUST_200600_302600_NS6detail15normal_iteratorINS9_10device_ptrIsEEEENS9_16discard_iteratorINS9_11use_defaultEEEsNS9_4plusIvEEsEEDaPvRmT3_T4_T5_mT6_P12ihipStream_tbENKUlT_T0_E_clISt17integral_constantIbLb1EESX_EEDaSS_ST_EUlSS_E0_NS1_11comp_targetILNS1_3genE2ELNS1_11target_archE906ELNS1_3gpuE6ELNS1_3repE0EEENS1_30default_config_static_selectorELNS0_4arch9wavefront6targetE1EEEvT1_,comdat
	.protected	_ZN7rocprim17ROCPRIM_400000_NS6detail17trampoline_kernelINS0_14default_configENS1_20scan_config_selectorIsEEZZNS1_9scan_implILNS1_25lookback_scan_determinismE0ELb1ELb1ES3_N6thrust23THRUST_200600_302600_NS6detail15normal_iteratorINS9_10device_ptrIsEEEENS9_16discard_iteratorINS9_11use_defaultEEEsNS9_4plusIvEEsEEDaPvRmT3_T4_T5_mT6_P12ihipStream_tbENKUlT_T0_E_clISt17integral_constantIbLb1EESX_EEDaSS_ST_EUlSS_E0_NS1_11comp_targetILNS1_3genE2ELNS1_11target_archE906ELNS1_3gpuE6ELNS1_3repE0EEENS1_30default_config_static_selectorELNS0_4arch9wavefront6targetE1EEEvT1_ ; -- Begin function _ZN7rocprim17ROCPRIM_400000_NS6detail17trampoline_kernelINS0_14default_configENS1_20scan_config_selectorIsEEZZNS1_9scan_implILNS1_25lookback_scan_determinismE0ELb1ELb1ES3_N6thrust23THRUST_200600_302600_NS6detail15normal_iteratorINS9_10device_ptrIsEEEENS9_16discard_iteratorINS9_11use_defaultEEEsNS9_4plusIvEEsEEDaPvRmT3_T4_T5_mT6_P12ihipStream_tbENKUlT_T0_E_clISt17integral_constantIbLb1EESX_EEDaSS_ST_EUlSS_E0_NS1_11comp_targetILNS1_3genE2ELNS1_11target_archE906ELNS1_3gpuE6ELNS1_3repE0EEENS1_30default_config_static_selectorELNS0_4arch9wavefront6targetE1EEEvT1_
	.globl	_ZN7rocprim17ROCPRIM_400000_NS6detail17trampoline_kernelINS0_14default_configENS1_20scan_config_selectorIsEEZZNS1_9scan_implILNS1_25lookback_scan_determinismE0ELb1ELb1ES3_N6thrust23THRUST_200600_302600_NS6detail15normal_iteratorINS9_10device_ptrIsEEEENS9_16discard_iteratorINS9_11use_defaultEEEsNS9_4plusIvEEsEEDaPvRmT3_T4_T5_mT6_P12ihipStream_tbENKUlT_T0_E_clISt17integral_constantIbLb1EESX_EEDaSS_ST_EUlSS_E0_NS1_11comp_targetILNS1_3genE2ELNS1_11target_archE906ELNS1_3gpuE6ELNS1_3repE0EEENS1_30default_config_static_selectorELNS0_4arch9wavefront6targetE1EEEvT1_
	.p2align	8
	.type	_ZN7rocprim17ROCPRIM_400000_NS6detail17trampoline_kernelINS0_14default_configENS1_20scan_config_selectorIsEEZZNS1_9scan_implILNS1_25lookback_scan_determinismE0ELb1ELb1ES3_N6thrust23THRUST_200600_302600_NS6detail15normal_iteratorINS9_10device_ptrIsEEEENS9_16discard_iteratorINS9_11use_defaultEEEsNS9_4plusIvEEsEEDaPvRmT3_T4_T5_mT6_P12ihipStream_tbENKUlT_T0_E_clISt17integral_constantIbLb1EESX_EEDaSS_ST_EUlSS_E0_NS1_11comp_targetILNS1_3genE2ELNS1_11target_archE906ELNS1_3gpuE6ELNS1_3repE0EEENS1_30default_config_static_selectorELNS0_4arch9wavefront6targetE1EEEvT1_,@function
_ZN7rocprim17ROCPRIM_400000_NS6detail17trampoline_kernelINS0_14default_configENS1_20scan_config_selectorIsEEZZNS1_9scan_implILNS1_25lookback_scan_determinismE0ELb1ELb1ES3_N6thrust23THRUST_200600_302600_NS6detail15normal_iteratorINS9_10device_ptrIsEEEENS9_16discard_iteratorINS9_11use_defaultEEEsNS9_4plusIvEEsEEDaPvRmT3_T4_T5_mT6_P12ihipStream_tbENKUlT_T0_E_clISt17integral_constantIbLb1EESX_EEDaSS_ST_EUlSS_E0_NS1_11comp_targetILNS1_3genE2ELNS1_11target_archE906ELNS1_3gpuE6ELNS1_3repE0EEENS1_30default_config_static_selectorELNS0_4arch9wavefront6targetE1EEEvT1_: ; @_ZN7rocprim17ROCPRIM_400000_NS6detail17trampoline_kernelINS0_14default_configENS1_20scan_config_selectorIsEEZZNS1_9scan_implILNS1_25lookback_scan_determinismE0ELb1ELb1ES3_N6thrust23THRUST_200600_302600_NS6detail15normal_iteratorINS9_10device_ptrIsEEEENS9_16discard_iteratorINS9_11use_defaultEEEsNS9_4plusIvEEsEEDaPvRmT3_T4_T5_mT6_P12ihipStream_tbENKUlT_T0_E_clISt17integral_constantIbLb1EESX_EEDaSS_ST_EUlSS_E0_NS1_11comp_targetILNS1_3genE2ELNS1_11target_archE906ELNS1_3gpuE6ELNS1_3repE0EEENS1_30default_config_static_selectorELNS0_4arch9wavefront6targetE1EEEvT1_
; %bb.0:
	.section	.rodata,"a",@progbits
	.p2align	6, 0x0
	.amdhsa_kernel _ZN7rocprim17ROCPRIM_400000_NS6detail17trampoline_kernelINS0_14default_configENS1_20scan_config_selectorIsEEZZNS1_9scan_implILNS1_25lookback_scan_determinismE0ELb1ELb1ES3_N6thrust23THRUST_200600_302600_NS6detail15normal_iteratorINS9_10device_ptrIsEEEENS9_16discard_iteratorINS9_11use_defaultEEEsNS9_4plusIvEEsEEDaPvRmT3_T4_T5_mT6_P12ihipStream_tbENKUlT_T0_E_clISt17integral_constantIbLb1EESX_EEDaSS_ST_EUlSS_E0_NS1_11comp_targetILNS1_3genE2ELNS1_11target_archE906ELNS1_3gpuE6ELNS1_3repE0EEENS1_30default_config_static_selectorELNS0_4arch9wavefront6targetE1EEEvT1_
		.amdhsa_group_segment_fixed_size 0
		.amdhsa_private_segment_fixed_size 0
		.amdhsa_kernarg_size 40
		.amdhsa_user_sgpr_count 6
		.amdhsa_user_sgpr_private_segment_buffer 1
		.amdhsa_user_sgpr_dispatch_ptr 0
		.amdhsa_user_sgpr_queue_ptr 0
		.amdhsa_user_sgpr_kernarg_segment_ptr 1
		.amdhsa_user_sgpr_dispatch_id 0
		.amdhsa_user_sgpr_flat_scratch_init 0
		.amdhsa_user_sgpr_kernarg_preload_length 0
		.amdhsa_user_sgpr_kernarg_preload_offset 0
		.amdhsa_user_sgpr_private_segment_size 0
		.amdhsa_uses_dynamic_stack 0
		.amdhsa_system_sgpr_private_segment_wavefront_offset 0
		.amdhsa_system_sgpr_workgroup_id_x 1
		.amdhsa_system_sgpr_workgroup_id_y 0
		.amdhsa_system_sgpr_workgroup_id_z 0
		.amdhsa_system_sgpr_workgroup_info 0
		.amdhsa_system_vgpr_workitem_id 0
		.amdhsa_next_free_vgpr 1
		.amdhsa_next_free_sgpr 0
		.amdhsa_accum_offset 4
		.amdhsa_reserve_vcc 0
		.amdhsa_reserve_flat_scratch 0
		.amdhsa_float_round_mode_32 0
		.amdhsa_float_round_mode_16_64 0
		.amdhsa_float_denorm_mode_32 3
		.amdhsa_float_denorm_mode_16_64 3
		.amdhsa_dx10_clamp 1
		.amdhsa_ieee_mode 1
		.amdhsa_fp16_overflow 0
		.amdhsa_tg_split 0
		.amdhsa_exception_fp_ieee_invalid_op 0
		.amdhsa_exception_fp_denorm_src 0
		.amdhsa_exception_fp_ieee_div_zero 0
		.amdhsa_exception_fp_ieee_overflow 0
		.amdhsa_exception_fp_ieee_underflow 0
		.amdhsa_exception_fp_ieee_inexact 0
		.amdhsa_exception_int_div_zero 0
	.end_amdhsa_kernel
	.section	.text._ZN7rocprim17ROCPRIM_400000_NS6detail17trampoline_kernelINS0_14default_configENS1_20scan_config_selectorIsEEZZNS1_9scan_implILNS1_25lookback_scan_determinismE0ELb1ELb1ES3_N6thrust23THRUST_200600_302600_NS6detail15normal_iteratorINS9_10device_ptrIsEEEENS9_16discard_iteratorINS9_11use_defaultEEEsNS9_4plusIvEEsEEDaPvRmT3_T4_T5_mT6_P12ihipStream_tbENKUlT_T0_E_clISt17integral_constantIbLb1EESX_EEDaSS_ST_EUlSS_E0_NS1_11comp_targetILNS1_3genE2ELNS1_11target_archE906ELNS1_3gpuE6ELNS1_3repE0EEENS1_30default_config_static_selectorELNS0_4arch9wavefront6targetE1EEEvT1_,"axG",@progbits,_ZN7rocprim17ROCPRIM_400000_NS6detail17trampoline_kernelINS0_14default_configENS1_20scan_config_selectorIsEEZZNS1_9scan_implILNS1_25lookback_scan_determinismE0ELb1ELb1ES3_N6thrust23THRUST_200600_302600_NS6detail15normal_iteratorINS9_10device_ptrIsEEEENS9_16discard_iteratorINS9_11use_defaultEEEsNS9_4plusIvEEsEEDaPvRmT3_T4_T5_mT6_P12ihipStream_tbENKUlT_T0_E_clISt17integral_constantIbLb1EESX_EEDaSS_ST_EUlSS_E0_NS1_11comp_targetILNS1_3genE2ELNS1_11target_archE906ELNS1_3gpuE6ELNS1_3repE0EEENS1_30default_config_static_selectorELNS0_4arch9wavefront6targetE1EEEvT1_,comdat
.Lfunc_end5973:
	.size	_ZN7rocprim17ROCPRIM_400000_NS6detail17trampoline_kernelINS0_14default_configENS1_20scan_config_selectorIsEEZZNS1_9scan_implILNS1_25lookback_scan_determinismE0ELb1ELb1ES3_N6thrust23THRUST_200600_302600_NS6detail15normal_iteratorINS9_10device_ptrIsEEEENS9_16discard_iteratorINS9_11use_defaultEEEsNS9_4plusIvEEsEEDaPvRmT3_T4_T5_mT6_P12ihipStream_tbENKUlT_T0_E_clISt17integral_constantIbLb1EESX_EEDaSS_ST_EUlSS_E0_NS1_11comp_targetILNS1_3genE2ELNS1_11target_archE906ELNS1_3gpuE6ELNS1_3repE0EEENS1_30default_config_static_selectorELNS0_4arch9wavefront6targetE1EEEvT1_, .Lfunc_end5973-_ZN7rocprim17ROCPRIM_400000_NS6detail17trampoline_kernelINS0_14default_configENS1_20scan_config_selectorIsEEZZNS1_9scan_implILNS1_25lookback_scan_determinismE0ELb1ELb1ES3_N6thrust23THRUST_200600_302600_NS6detail15normal_iteratorINS9_10device_ptrIsEEEENS9_16discard_iteratorINS9_11use_defaultEEEsNS9_4plusIvEEsEEDaPvRmT3_T4_T5_mT6_P12ihipStream_tbENKUlT_T0_E_clISt17integral_constantIbLb1EESX_EEDaSS_ST_EUlSS_E0_NS1_11comp_targetILNS1_3genE2ELNS1_11target_archE906ELNS1_3gpuE6ELNS1_3repE0EEENS1_30default_config_static_selectorELNS0_4arch9wavefront6targetE1EEEvT1_
                                        ; -- End function
	.section	.AMDGPU.csdata,"",@progbits
; Kernel info:
; codeLenInByte = 0
; NumSgprs: 4
; NumVgprs: 0
; NumAgprs: 0
; TotalNumVgprs: 0
; ScratchSize: 0
; MemoryBound: 0
; FloatMode: 240
; IeeeMode: 1
; LDSByteSize: 0 bytes/workgroup (compile time only)
; SGPRBlocks: 0
; VGPRBlocks: 0
; NumSGPRsForWavesPerEU: 4
; NumVGPRsForWavesPerEU: 1
; AccumOffset: 4
; Occupancy: 8
; WaveLimiterHint : 0
; COMPUTE_PGM_RSRC2:SCRATCH_EN: 0
; COMPUTE_PGM_RSRC2:USER_SGPR: 6
; COMPUTE_PGM_RSRC2:TRAP_HANDLER: 0
; COMPUTE_PGM_RSRC2:TGID_X_EN: 1
; COMPUTE_PGM_RSRC2:TGID_Y_EN: 0
; COMPUTE_PGM_RSRC2:TGID_Z_EN: 0
; COMPUTE_PGM_RSRC2:TIDIG_COMP_CNT: 0
; COMPUTE_PGM_RSRC3_GFX90A:ACCUM_OFFSET: 0
; COMPUTE_PGM_RSRC3_GFX90A:TG_SPLIT: 0
	.section	.text._ZN7rocprim17ROCPRIM_400000_NS6detail17trampoline_kernelINS0_14default_configENS1_20scan_config_selectorIsEEZZNS1_9scan_implILNS1_25lookback_scan_determinismE0ELb1ELb1ES3_N6thrust23THRUST_200600_302600_NS6detail15normal_iteratorINS9_10device_ptrIsEEEENS9_16discard_iteratorINS9_11use_defaultEEEsNS9_4plusIvEEsEEDaPvRmT3_T4_T5_mT6_P12ihipStream_tbENKUlT_T0_E_clISt17integral_constantIbLb1EESX_EEDaSS_ST_EUlSS_E0_NS1_11comp_targetILNS1_3genE10ELNS1_11target_archE1201ELNS1_3gpuE5ELNS1_3repE0EEENS1_30default_config_static_selectorELNS0_4arch9wavefront6targetE1EEEvT1_,"axG",@progbits,_ZN7rocprim17ROCPRIM_400000_NS6detail17trampoline_kernelINS0_14default_configENS1_20scan_config_selectorIsEEZZNS1_9scan_implILNS1_25lookback_scan_determinismE0ELb1ELb1ES3_N6thrust23THRUST_200600_302600_NS6detail15normal_iteratorINS9_10device_ptrIsEEEENS9_16discard_iteratorINS9_11use_defaultEEEsNS9_4plusIvEEsEEDaPvRmT3_T4_T5_mT6_P12ihipStream_tbENKUlT_T0_E_clISt17integral_constantIbLb1EESX_EEDaSS_ST_EUlSS_E0_NS1_11comp_targetILNS1_3genE10ELNS1_11target_archE1201ELNS1_3gpuE5ELNS1_3repE0EEENS1_30default_config_static_selectorELNS0_4arch9wavefront6targetE1EEEvT1_,comdat
	.protected	_ZN7rocprim17ROCPRIM_400000_NS6detail17trampoline_kernelINS0_14default_configENS1_20scan_config_selectorIsEEZZNS1_9scan_implILNS1_25lookback_scan_determinismE0ELb1ELb1ES3_N6thrust23THRUST_200600_302600_NS6detail15normal_iteratorINS9_10device_ptrIsEEEENS9_16discard_iteratorINS9_11use_defaultEEEsNS9_4plusIvEEsEEDaPvRmT3_T4_T5_mT6_P12ihipStream_tbENKUlT_T0_E_clISt17integral_constantIbLb1EESX_EEDaSS_ST_EUlSS_E0_NS1_11comp_targetILNS1_3genE10ELNS1_11target_archE1201ELNS1_3gpuE5ELNS1_3repE0EEENS1_30default_config_static_selectorELNS0_4arch9wavefront6targetE1EEEvT1_ ; -- Begin function _ZN7rocprim17ROCPRIM_400000_NS6detail17trampoline_kernelINS0_14default_configENS1_20scan_config_selectorIsEEZZNS1_9scan_implILNS1_25lookback_scan_determinismE0ELb1ELb1ES3_N6thrust23THRUST_200600_302600_NS6detail15normal_iteratorINS9_10device_ptrIsEEEENS9_16discard_iteratorINS9_11use_defaultEEEsNS9_4plusIvEEsEEDaPvRmT3_T4_T5_mT6_P12ihipStream_tbENKUlT_T0_E_clISt17integral_constantIbLb1EESX_EEDaSS_ST_EUlSS_E0_NS1_11comp_targetILNS1_3genE10ELNS1_11target_archE1201ELNS1_3gpuE5ELNS1_3repE0EEENS1_30default_config_static_selectorELNS0_4arch9wavefront6targetE1EEEvT1_
	.globl	_ZN7rocprim17ROCPRIM_400000_NS6detail17trampoline_kernelINS0_14default_configENS1_20scan_config_selectorIsEEZZNS1_9scan_implILNS1_25lookback_scan_determinismE0ELb1ELb1ES3_N6thrust23THRUST_200600_302600_NS6detail15normal_iteratorINS9_10device_ptrIsEEEENS9_16discard_iteratorINS9_11use_defaultEEEsNS9_4plusIvEEsEEDaPvRmT3_T4_T5_mT6_P12ihipStream_tbENKUlT_T0_E_clISt17integral_constantIbLb1EESX_EEDaSS_ST_EUlSS_E0_NS1_11comp_targetILNS1_3genE10ELNS1_11target_archE1201ELNS1_3gpuE5ELNS1_3repE0EEENS1_30default_config_static_selectorELNS0_4arch9wavefront6targetE1EEEvT1_
	.p2align	8
	.type	_ZN7rocprim17ROCPRIM_400000_NS6detail17trampoline_kernelINS0_14default_configENS1_20scan_config_selectorIsEEZZNS1_9scan_implILNS1_25lookback_scan_determinismE0ELb1ELb1ES3_N6thrust23THRUST_200600_302600_NS6detail15normal_iteratorINS9_10device_ptrIsEEEENS9_16discard_iteratorINS9_11use_defaultEEEsNS9_4plusIvEEsEEDaPvRmT3_T4_T5_mT6_P12ihipStream_tbENKUlT_T0_E_clISt17integral_constantIbLb1EESX_EEDaSS_ST_EUlSS_E0_NS1_11comp_targetILNS1_3genE10ELNS1_11target_archE1201ELNS1_3gpuE5ELNS1_3repE0EEENS1_30default_config_static_selectorELNS0_4arch9wavefront6targetE1EEEvT1_,@function
_ZN7rocprim17ROCPRIM_400000_NS6detail17trampoline_kernelINS0_14default_configENS1_20scan_config_selectorIsEEZZNS1_9scan_implILNS1_25lookback_scan_determinismE0ELb1ELb1ES3_N6thrust23THRUST_200600_302600_NS6detail15normal_iteratorINS9_10device_ptrIsEEEENS9_16discard_iteratorINS9_11use_defaultEEEsNS9_4plusIvEEsEEDaPvRmT3_T4_T5_mT6_P12ihipStream_tbENKUlT_T0_E_clISt17integral_constantIbLb1EESX_EEDaSS_ST_EUlSS_E0_NS1_11comp_targetILNS1_3genE10ELNS1_11target_archE1201ELNS1_3gpuE5ELNS1_3repE0EEENS1_30default_config_static_selectorELNS0_4arch9wavefront6targetE1EEEvT1_: ; @_ZN7rocprim17ROCPRIM_400000_NS6detail17trampoline_kernelINS0_14default_configENS1_20scan_config_selectorIsEEZZNS1_9scan_implILNS1_25lookback_scan_determinismE0ELb1ELb1ES3_N6thrust23THRUST_200600_302600_NS6detail15normal_iteratorINS9_10device_ptrIsEEEENS9_16discard_iteratorINS9_11use_defaultEEEsNS9_4plusIvEEsEEDaPvRmT3_T4_T5_mT6_P12ihipStream_tbENKUlT_T0_E_clISt17integral_constantIbLb1EESX_EEDaSS_ST_EUlSS_E0_NS1_11comp_targetILNS1_3genE10ELNS1_11target_archE1201ELNS1_3gpuE5ELNS1_3repE0EEENS1_30default_config_static_selectorELNS0_4arch9wavefront6targetE1EEEvT1_
; %bb.0:
	.section	.rodata,"a",@progbits
	.p2align	6, 0x0
	.amdhsa_kernel _ZN7rocprim17ROCPRIM_400000_NS6detail17trampoline_kernelINS0_14default_configENS1_20scan_config_selectorIsEEZZNS1_9scan_implILNS1_25lookback_scan_determinismE0ELb1ELb1ES3_N6thrust23THRUST_200600_302600_NS6detail15normal_iteratorINS9_10device_ptrIsEEEENS9_16discard_iteratorINS9_11use_defaultEEEsNS9_4plusIvEEsEEDaPvRmT3_T4_T5_mT6_P12ihipStream_tbENKUlT_T0_E_clISt17integral_constantIbLb1EESX_EEDaSS_ST_EUlSS_E0_NS1_11comp_targetILNS1_3genE10ELNS1_11target_archE1201ELNS1_3gpuE5ELNS1_3repE0EEENS1_30default_config_static_selectorELNS0_4arch9wavefront6targetE1EEEvT1_
		.amdhsa_group_segment_fixed_size 0
		.amdhsa_private_segment_fixed_size 0
		.amdhsa_kernarg_size 40
		.amdhsa_user_sgpr_count 6
		.amdhsa_user_sgpr_private_segment_buffer 1
		.amdhsa_user_sgpr_dispatch_ptr 0
		.amdhsa_user_sgpr_queue_ptr 0
		.amdhsa_user_sgpr_kernarg_segment_ptr 1
		.amdhsa_user_sgpr_dispatch_id 0
		.amdhsa_user_sgpr_flat_scratch_init 0
		.amdhsa_user_sgpr_kernarg_preload_length 0
		.amdhsa_user_sgpr_kernarg_preload_offset 0
		.amdhsa_user_sgpr_private_segment_size 0
		.amdhsa_uses_dynamic_stack 0
		.amdhsa_system_sgpr_private_segment_wavefront_offset 0
		.amdhsa_system_sgpr_workgroup_id_x 1
		.amdhsa_system_sgpr_workgroup_id_y 0
		.amdhsa_system_sgpr_workgroup_id_z 0
		.amdhsa_system_sgpr_workgroup_info 0
		.amdhsa_system_vgpr_workitem_id 0
		.amdhsa_next_free_vgpr 1
		.amdhsa_next_free_sgpr 0
		.amdhsa_accum_offset 4
		.amdhsa_reserve_vcc 0
		.amdhsa_reserve_flat_scratch 0
		.amdhsa_float_round_mode_32 0
		.amdhsa_float_round_mode_16_64 0
		.amdhsa_float_denorm_mode_32 3
		.amdhsa_float_denorm_mode_16_64 3
		.amdhsa_dx10_clamp 1
		.amdhsa_ieee_mode 1
		.amdhsa_fp16_overflow 0
		.amdhsa_tg_split 0
		.amdhsa_exception_fp_ieee_invalid_op 0
		.amdhsa_exception_fp_denorm_src 0
		.amdhsa_exception_fp_ieee_div_zero 0
		.amdhsa_exception_fp_ieee_overflow 0
		.amdhsa_exception_fp_ieee_underflow 0
		.amdhsa_exception_fp_ieee_inexact 0
		.amdhsa_exception_int_div_zero 0
	.end_amdhsa_kernel
	.section	.text._ZN7rocprim17ROCPRIM_400000_NS6detail17trampoline_kernelINS0_14default_configENS1_20scan_config_selectorIsEEZZNS1_9scan_implILNS1_25lookback_scan_determinismE0ELb1ELb1ES3_N6thrust23THRUST_200600_302600_NS6detail15normal_iteratorINS9_10device_ptrIsEEEENS9_16discard_iteratorINS9_11use_defaultEEEsNS9_4plusIvEEsEEDaPvRmT3_T4_T5_mT6_P12ihipStream_tbENKUlT_T0_E_clISt17integral_constantIbLb1EESX_EEDaSS_ST_EUlSS_E0_NS1_11comp_targetILNS1_3genE10ELNS1_11target_archE1201ELNS1_3gpuE5ELNS1_3repE0EEENS1_30default_config_static_selectorELNS0_4arch9wavefront6targetE1EEEvT1_,"axG",@progbits,_ZN7rocprim17ROCPRIM_400000_NS6detail17trampoline_kernelINS0_14default_configENS1_20scan_config_selectorIsEEZZNS1_9scan_implILNS1_25lookback_scan_determinismE0ELb1ELb1ES3_N6thrust23THRUST_200600_302600_NS6detail15normal_iteratorINS9_10device_ptrIsEEEENS9_16discard_iteratorINS9_11use_defaultEEEsNS9_4plusIvEEsEEDaPvRmT3_T4_T5_mT6_P12ihipStream_tbENKUlT_T0_E_clISt17integral_constantIbLb1EESX_EEDaSS_ST_EUlSS_E0_NS1_11comp_targetILNS1_3genE10ELNS1_11target_archE1201ELNS1_3gpuE5ELNS1_3repE0EEENS1_30default_config_static_selectorELNS0_4arch9wavefront6targetE1EEEvT1_,comdat
.Lfunc_end5974:
	.size	_ZN7rocprim17ROCPRIM_400000_NS6detail17trampoline_kernelINS0_14default_configENS1_20scan_config_selectorIsEEZZNS1_9scan_implILNS1_25lookback_scan_determinismE0ELb1ELb1ES3_N6thrust23THRUST_200600_302600_NS6detail15normal_iteratorINS9_10device_ptrIsEEEENS9_16discard_iteratorINS9_11use_defaultEEEsNS9_4plusIvEEsEEDaPvRmT3_T4_T5_mT6_P12ihipStream_tbENKUlT_T0_E_clISt17integral_constantIbLb1EESX_EEDaSS_ST_EUlSS_E0_NS1_11comp_targetILNS1_3genE10ELNS1_11target_archE1201ELNS1_3gpuE5ELNS1_3repE0EEENS1_30default_config_static_selectorELNS0_4arch9wavefront6targetE1EEEvT1_, .Lfunc_end5974-_ZN7rocprim17ROCPRIM_400000_NS6detail17trampoline_kernelINS0_14default_configENS1_20scan_config_selectorIsEEZZNS1_9scan_implILNS1_25lookback_scan_determinismE0ELb1ELb1ES3_N6thrust23THRUST_200600_302600_NS6detail15normal_iteratorINS9_10device_ptrIsEEEENS9_16discard_iteratorINS9_11use_defaultEEEsNS9_4plusIvEEsEEDaPvRmT3_T4_T5_mT6_P12ihipStream_tbENKUlT_T0_E_clISt17integral_constantIbLb1EESX_EEDaSS_ST_EUlSS_E0_NS1_11comp_targetILNS1_3genE10ELNS1_11target_archE1201ELNS1_3gpuE5ELNS1_3repE0EEENS1_30default_config_static_selectorELNS0_4arch9wavefront6targetE1EEEvT1_
                                        ; -- End function
	.section	.AMDGPU.csdata,"",@progbits
; Kernel info:
; codeLenInByte = 0
; NumSgprs: 4
; NumVgprs: 0
; NumAgprs: 0
; TotalNumVgprs: 0
; ScratchSize: 0
; MemoryBound: 0
; FloatMode: 240
; IeeeMode: 1
; LDSByteSize: 0 bytes/workgroup (compile time only)
; SGPRBlocks: 0
; VGPRBlocks: 0
; NumSGPRsForWavesPerEU: 4
; NumVGPRsForWavesPerEU: 1
; AccumOffset: 4
; Occupancy: 8
; WaveLimiterHint : 0
; COMPUTE_PGM_RSRC2:SCRATCH_EN: 0
; COMPUTE_PGM_RSRC2:USER_SGPR: 6
; COMPUTE_PGM_RSRC2:TRAP_HANDLER: 0
; COMPUTE_PGM_RSRC2:TGID_X_EN: 1
; COMPUTE_PGM_RSRC2:TGID_Y_EN: 0
; COMPUTE_PGM_RSRC2:TGID_Z_EN: 0
; COMPUTE_PGM_RSRC2:TIDIG_COMP_CNT: 0
; COMPUTE_PGM_RSRC3_GFX90A:ACCUM_OFFSET: 0
; COMPUTE_PGM_RSRC3_GFX90A:TG_SPLIT: 0
	.section	.text._ZN7rocprim17ROCPRIM_400000_NS6detail17trampoline_kernelINS0_14default_configENS1_20scan_config_selectorIsEEZZNS1_9scan_implILNS1_25lookback_scan_determinismE0ELb1ELb1ES3_N6thrust23THRUST_200600_302600_NS6detail15normal_iteratorINS9_10device_ptrIsEEEENS9_16discard_iteratorINS9_11use_defaultEEEsNS9_4plusIvEEsEEDaPvRmT3_T4_T5_mT6_P12ihipStream_tbENKUlT_T0_E_clISt17integral_constantIbLb1EESX_EEDaSS_ST_EUlSS_E0_NS1_11comp_targetILNS1_3genE10ELNS1_11target_archE1200ELNS1_3gpuE4ELNS1_3repE0EEENS1_30default_config_static_selectorELNS0_4arch9wavefront6targetE1EEEvT1_,"axG",@progbits,_ZN7rocprim17ROCPRIM_400000_NS6detail17trampoline_kernelINS0_14default_configENS1_20scan_config_selectorIsEEZZNS1_9scan_implILNS1_25lookback_scan_determinismE0ELb1ELb1ES3_N6thrust23THRUST_200600_302600_NS6detail15normal_iteratorINS9_10device_ptrIsEEEENS9_16discard_iteratorINS9_11use_defaultEEEsNS9_4plusIvEEsEEDaPvRmT3_T4_T5_mT6_P12ihipStream_tbENKUlT_T0_E_clISt17integral_constantIbLb1EESX_EEDaSS_ST_EUlSS_E0_NS1_11comp_targetILNS1_3genE10ELNS1_11target_archE1200ELNS1_3gpuE4ELNS1_3repE0EEENS1_30default_config_static_selectorELNS0_4arch9wavefront6targetE1EEEvT1_,comdat
	.protected	_ZN7rocprim17ROCPRIM_400000_NS6detail17trampoline_kernelINS0_14default_configENS1_20scan_config_selectorIsEEZZNS1_9scan_implILNS1_25lookback_scan_determinismE0ELb1ELb1ES3_N6thrust23THRUST_200600_302600_NS6detail15normal_iteratorINS9_10device_ptrIsEEEENS9_16discard_iteratorINS9_11use_defaultEEEsNS9_4plusIvEEsEEDaPvRmT3_T4_T5_mT6_P12ihipStream_tbENKUlT_T0_E_clISt17integral_constantIbLb1EESX_EEDaSS_ST_EUlSS_E0_NS1_11comp_targetILNS1_3genE10ELNS1_11target_archE1200ELNS1_3gpuE4ELNS1_3repE0EEENS1_30default_config_static_selectorELNS0_4arch9wavefront6targetE1EEEvT1_ ; -- Begin function _ZN7rocprim17ROCPRIM_400000_NS6detail17trampoline_kernelINS0_14default_configENS1_20scan_config_selectorIsEEZZNS1_9scan_implILNS1_25lookback_scan_determinismE0ELb1ELb1ES3_N6thrust23THRUST_200600_302600_NS6detail15normal_iteratorINS9_10device_ptrIsEEEENS9_16discard_iteratorINS9_11use_defaultEEEsNS9_4plusIvEEsEEDaPvRmT3_T4_T5_mT6_P12ihipStream_tbENKUlT_T0_E_clISt17integral_constantIbLb1EESX_EEDaSS_ST_EUlSS_E0_NS1_11comp_targetILNS1_3genE10ELNS1_11target_archE1200ELNS1_3gpuE4ELNS1_3repE0EEENS1_30default_config_static_selectorELNS0_4arch9wavefront6targetE1EEEvT1_
	.globl	_ZN7rocprim17ROCPRIM_400000_NS6detail17trampoline_kernelINS0_14default_configENS1_20scan_config_selectorIsEEZZNS1_9scan_implILNS1_25lookback_scan_determinismE0ELb1ELb1ES3_N6thrust23THRUST_200600_302600_NS6detail15normal_iteratorINS9_10device_ptrIsEEEENS9_16discard_iteratorINS9_11use_defaultEEEsNS9_4plusIvEEsEEDaPvRmT3_T4_T5_mT6_P12ihipStream_tbENKUlT_T0_E_clISt17integral_constantIbLb1EESX_EEDaSS_ST_EUlSS_E0_NS1_11comp_targetILNS1_3genE10ELNS1_11target_archE1200ELNS1_3gpuE4ELNS1_3repE0EEENS1_30default_config_static_selectorELNS0_4arch9wavefront6targetE1EEEvT1_
	.p2align	8
	.type	_ZN7rocprim17ROCPRIM_400000_NS6detail17trampoline_kernelINS0_14default_configENS1_20scan_config_selectorIsEEZZNS1_9scan_implILNS1_25lookback_scan_determinismE0ELb1ELb1ES3_N6thrust23THRUST_200600_302600_NS6detail15normal_iteratorINS9_10device_ptrIsEEEENS9_16discard_iteratorINS9_11use_defaultEEEsNS9_4plusIvEEsEEDaPvRmT3_T4_T5_mT6_P12ihipStream_tbENKUlT_T0_E_clISt17integral_constantIbLb1EESX_EEDaSS_ST_EUlSS_E0_NS1_11comp_targetILNS1_3genE10ELNS1_11target_archE1200ELNS1_3gpuE4ELNS1_3repE0EEENS1_30default_config_static_selectorELNS0_4arch9wavefront6targetE1EEEvT1_,@function
_ZN7rocprim17ROCPRIM_400000_NS6detail17trampoline_kernelINS0_14default_configENS1_20scan_config_selectorIsEEZZNS1_9scan_implILNS1_25lookback_scan_determinismE0ELb1ELb1ES3_N6thrust23THRUST_200600_302600_NS6detail15normal_iteratorINS9_10device_ptrIsEEEENS9_16discard_iteratorINS9_11use_defaultEEEsNS9_4plusIvEEsEEDaPvRmT3_T4_T5_mT6_P12ihipStream_tbENKUlT_T0_E_clISt17integral_constantIbLb1EESX_EEDaSS_ST_EUlSS_E0_NS1_11comp_targetILNS1_3genE10ELNS1_11target_archE1200ELNS1_3gpuE4ELNS1_3repE0EEENS1_30default_config_static_selectorELNS0_4arch9wavefront6targetE1EEEvT1_: ; @_ZN7rocprim17ROCPRIM_400000_NS6detail17trampoline_kernelINS0_14default_configENS1_20scan_config_selectorIsEEZZNS1_9scan_implILNS1_25lookback_scan_determinismE0ELb1ELb1ES3_N6thrust23THRUST_200600_302600_NS6detail15normal_iteratorINS9_10device_ptrIsEEEENS9_16discard_iteratorINS9_11use_defaultEEEsNS9_4plusIvEEsEEDaPvRmT3_T4_T5_mT6_P12ihipStream_tbENKUlT_T0_E_clISt17integral_constantIbLb1EESX_EEDaSS_ST_EUlSS_E0_NS1_11comp_targetILNS1_3genE10ELNS1_11target_archE1200ELNS1_3gpuE4ELNS1_3repE0EEENS1_30default_config_static_selectorELNS0_4arch9wavefront6targetE1EEEvT1_
; %bb.0:
	.section	.rodata,"a",@progbits
	.p2align	6, 0x0
	.amdhsa_kernel _ZN7rocprim17ROCPRIM_400000_NS6detail17trampoline_kernelINS0_14default_configENS1_20scan_config_selectorIsEEZZNS1_9scan_implILNS1_25lookback_scan_determinismE0ELb1ELb1ES3_N6thrust23THRUST_200600_302600_NS6detail15normal_iteratorINS9_10device_ptrIsEEEENS9_16discard_iteratorINS9_11use_defaultEEEsNS9_4plusIvEEsEEDaPvRmT3_T4_T5_mT6_P12ihipStream_tbENKUlT_T0_E_clISt17integral_constantIbLb1EESX_EEDaSS_ST_EUlSS_E0_NS1_11comp_targetILNS1_3genE10ELNS1_11target_archE1200ELNS1_3gpuE4ELNS1_3repE0EEENS1_30default_config_static_selectorELNS0_4arch9wavefront6targetE1EEEvT1_
		.amdhsa_group_segment_fixed_size 0
		.amdhsa_private_segment_fixed_size 0
		.amdhsa_kernarg_size 40
		.amdhsa_user_sgpr_count 6
		.amdhsa_user_sgpr_private_segment_buffer 1
		.amdhsa_user_sgpr_dispatch_ptr 0
		.amdhsa_user_sgpr_queue_ptr 0
		.amdhsa_user_sgpr_kernarg_segment_ptr 1
		.amdhsa_user_sgpr_dispatch_id 0
		.amdhsa_user_sgpr_flat_scratch_init 0
		.amdhsa_user_sgpr_kernarg_preload_length 0
		.amdhsa_user_sgpr_kernarg_preload_offset 0
		.amdhsa_user_sgpr_private_segment_size 0
		.amdhsa_uses_dynamic_stack 0
		.amdhsa_system_sgpr_private_segment_wavefront_offset 0
		.amdhsa_system_sgpr_workgroup_id_x 1
		.amdhsa_system_sgpr_workgroup_id_y 0
		.amdhsa_system_sgpr_workgroup_id_z 0
		.amdhsa_system_sgpr_workgroup_info 0
		.amdhsa_system_vgpr_workitem_id 0
		.amdhsa_next_free_vgpr 1
		.amdhsa_next_free_sgpr 0
		.amdhsa_accum_offset 4
		.amdhsa_reserve_vcc 0
		.amdhsa_reserve_flat_scratch 0
		.amdhsa_float_round_mode_32 0
		.amdhsa_float_round_mode_16_64 0
		.amdhsa_float_denorm_mode_32 3
		.amdhsa_float_denorm_mode_16_64 3
		.amdhsa_dx10_clamp 1
		.amdhsa_ieee_mode 1
		.amdhsa_fp16_overflow 0
		.amdhsa_tg_split 0
		.amdhsa_exception_fp_ieee_invalid_op 0
		.amdhsa_exception_fp_denorm_src 0
		.amdhsa_exception_fp_ieee_div_zero 0
		.amdhsa_exception_fp_ieee_overflow 0
		.amdhsa_exception_fp_ieee_underflow 0
		.amdhsa_exception_fp_ieee_inexact 0
		.amdhsa_exception_int_div_zero 0
	.end_amdhsa_kernel
	.section	.text._ZN7rocprim17ROCPRIM_400000_NS6detail17trampoline_kernelINS0_14default_configENS1_20scan_config_selectorIsEEZZNS1_9scan_implILNS1_25lookback_scan_determinismE0ELb1ELb1ES3_N6thrust23THRUST_200600_302600_NS6detail15normal_iteratorINS9_10device_ptrIsEEEENS9_16discard_iteratorINS9_11use_defaultEEEsNS9_4plusIvEEsEEDaPvRmT3_T4_T5_mT6_P12ihipStream_tbENKUlT_T0_E_clISt17integral_constantIbLb1EESX_EEDaSS_ST_EUlSS_E0_NS1_11comp_targetILNS1_3genE10ELNS1_11target_archE1200ELNS1_3gpuE4ELNS1_3repE0EEENS1_30default_config_static_selectorELNS0_4arch9wavefront6targetE1EEEvT1_,"axG",@progbits,_ZN7rocprim17ROCPRIM_400000_NS6detail17trampoline_kernelINS0_14default_configENS1_20scan_config_selectorIsEEZZNS1_9scan_implILNS1_25lookback_scan_determinismE0ELb1ELb1ES3_N6thrust23THRUST_200600_302600_NS6detail15normal_iteratorINS9_10device_ptrIsEEEENS9_16discard_iteratorINS9_11use_defaultEEEsNS9_4plusIvEEsEEDaPvRmT3_T4_T5_mT6_P12ihipStream_tbENKUlT_T0_E_clISt17integral_constantIbLb1EESX_EEDaSS_ST_EUlSS_E0_NS1_11comp_targetILNS1_3genE10ELNS1_11target_archE1200ELNS1_3gpuE4ELNS1_3repE0EEENS1_30default_config_static_selectorELNS0_4arch9wavefront6targetE1EEEvT1_,comdat
.Lfunc_end5975:
	.size	_ZN7rocprim17ROCPRIM_400000_NS6detail17trampoline_kernelINS0_14default_configENS1_20scan_config_selectorIsEEZZNS1_9scan_implILNS1_25lookback_scan_determinismE0ELb1ELb1ES3_N6thrust23THRUST_200600_302600_NS6detail15normal_iteratorINS9_10device_ptrIsEEEENS9_16discard_iteratorINS9_11use_defaultEEEsNS9_4plusIvEEsEEDaPvRmT3_T4_T5_mT6_P12ihipStream_tbENKUlT_T0_E_clISt17integral_constantIbLb1EESX_EEDaSS_ST_EUlSS_E0_NS1_11comp_targetILNS1_3genE10ELNS1_11target_archE1200ELNS1_3gpuE4ELNS1_3repE0EEENS1_30default_config_static_selectorELNS0_4arch9wavefront6targetE1EEEvT1_, .Lfunc_end5975-_ZN7rocprim17ROCPRIM_400000_NS6detail17trampoline_kernelINS0_14default_configENS1_20scan_config_selectorIsEEZZNS1_9scan_implILNS1_25lookback_scan_determinismE0ELb1ELb1ES3_N6thrust23THRUST_200600_302600_NS6detail15normal_iteratorINS9_10device_ptrIsEEEENS9_16discard_iteratorINS9_11use_defaultEEEsNS9_4plusIvEEsEEDaPvRmT3_T4_T5_mT6_P12ihipStream_tbENKUlT_T0_E_clISt17integral_constantIbLb1EESX_EEDaSS_ST_EUlSS_E0_NS1_11comp_targetILNS1_3genE10ELNS1_11target_archE1200ELNS1_3gpuE4ELNS1_3repE0EEENS1_30default_config_static_selectorELNS0_4arch9wavefront6targetE1EEEvT1_
                                        ; -- End function
	.section	.AMDGPU.csdata,"",@progbits
; Kernel info:
; codeLenInByte = 0
; NumSgprs: 4
; NumVgprs: 0
; NumAgprs: 0
; TotalNumVgprs: 0
; ScratchSize: 0
; MemoryBound: 0
; FloatMode: 240
; IeeeMode: 1
; LDSByteSize: 0 bytes/workgroup (compile time only)
; SGPRBlocks: 0
; VGPRBlocks: 0
; NumSGPRsForWavesPerEU: 4
; NumVGPRsForWavesPerEU: 1
; AccumOffset: 4
; Occupancy: 8
; WaveLimiterHint : 0
; COMPUTE_PGM_RSRC2:SCRATCH_EN: 0
; COMPUTE_PGM_RSRC2:USER_SGPR: 6
; COMPUTE_PGM_RSRC2:TRAP_HANDLER: 0
; COMPUTE_PGM_RSRC2:TGID_X_EN: 1
; COMPUTE_PGM_RSRC2:TGID_Y_EN: 0
; COMPUTE_PGM_RSRC2:TGID_Z_EN: 0
; COMPUTE_PGM_RSRC2:TIDIG_COMP_CNT: 0
; COMPUTE_PGM_RSRC3_GFX90A:ACCUM_OFFSET: 0
; COMPUTE_PGM_RSRC3_GFX90A:TG_SPLIT: 0
	.section	.text._ZN7rocprim17ROCPRIM_400000_NS6detail17trampoline_kernelINS0_14default_configENS1_20scan_config_selectorIsEEZZNS1_9scan_implILNS1_25lookback_scan_determinismE0ELb1ELb1ES3_N6thrust23THRUST_200600_302600_NS6detail15normal_iteratorINS9_10device_ptrIsEEEENS9_16discard_iteratorINS9_11use_defaultEEEsNS9_4plusIvEEsEEDaPvRmT3_T4_T5_mT6_P12ihipStream_tbENKUlT_T0_E_clISt17integral_constantIbLb1EESX_EEDaSS_ST_EUlSS_E0_NS1_11comp_targetILNS1_3genE9ELNS1_11target_archE1100ELNS1_3gpuE3ELNS1_3repE0EEENS1_30default_config_static_selectorELNS0_4arch9wavefront6targetE1EEEvT1_,"axG",@progbits,_ZN7rocprim17ROCPRIM_400000_NS6detail17trampoline_kernelINS0_14default_configENS1_20scan_config_selectorIsEEZZNS1_9scan_implILNS1_25lookback_scan_determinismE0ELb1ELb1ES3_N6thrust23THRUST_200600_302600_NS6detail15normal_iteratorINS9_10device_ptrIsEEEENS9_16discard_iteratorINS9_11use_defaultEEEsNS9_4plusIvEEsEEDaPvRmT3_T4_T5_mT6_P12ihipStream_tbENKUlT_T0_E_clISt17integral_constantIbLb1EESX_EEDaSS_ST_EUlSS_E0_NS1_11comp_targetILNS1_3genE9ELNS1_11target_archE1100ELNS1_3gpuE3ELNS1_3repE0EEENS1_30default_config_static_selectorELNS0_4arch9wavefront6targetE1EEEvT1_,comdat
	.protected	_ZN7rocprim17ROCPRIM_400000_NS6detail17trampoline_kernelINS0_14default_configENS1_20scan_config_selectorIsEEZZNS1_9scan_implILNS1_25lookback_scan_determinismE0ELb1ELb1ES3_N6thrust23THRUST_200600_302600_NS6detail15normal_iteratorINS9_10device_ptrIsEEEENS9_16discard_iteratorINS9_11use_defaultEEEsNS9_4plusIvEEsEEDaPvRmT3_T4_T5_mT6_P12ihipStream_tbENKUlT_T0_E_clISt17integral_constantIbLb1EESX_EEDaSS_ST_EUlSS_E0_NS1_11comp_targetILNS1_3genE9ELNS1_11target_archE1100ELNS1_3gpuE3ELNS1_3repE0EEENS1_30default_config_static_selectorELNS0_4arch9wavefront6targetE1EEEvT1_ ; -- Begin function _ZN7rocprim17ROCPRIM_400000_NS6detail17trampoline_kernelINS0_14default_configENS1_20scan_config_selectorIsEEZZNS1_9scan_implILNS1_25lookback_scan_determinismE0ELb1ELb1ES3_N6thrust23THRUST_200600_302600_NS6detail15normal_iteratorINS9_10device_ptrIsEEEENS9_16discard_iteratorINS9_11use_defaultEEEsNS9_4plusIvEEsEEDaPvRmT3_T4_T5_mT6_P12ihipStream_tbENKUlT_T0_E_clISt17integral_constantIbLb1EESX_EEDaSS_ST_EUlSS_E0_NS1_11comp_targetILNS1_3genE9ELNS1_11target_archE1100ELNS1_3gpuE3ELNS1_3repE0EEENS1_30default_config_static_selectorELNS0_4arch9wavefront6targetE1EEEvT1_
	.globl	_ZN7rocprim17ROCPRIM_400000_NS6detail17trampoline_kernelINS0_14default_configENS1_20scan_config_selectorIsEEZZNS1_9scan_implILNS1_25lookback_scan_determinismE0ELb1ELb1ES3_N6thrust23THRUST_200600_302600_NS6detail15normal_iteratorINS9_10device_ptrIsEEEENS9_16discard_iteratorINS9_11use_defaultEEEsNS9_4plusIvEEsEEDaPvRmT3_T4_T5_mT6_P12ihipStream_tbENKUlT_T0_E_clISt17integral_constantIbLb1EESX_EEDaSS_ST_EUlSS_E0_NS1_11comp_targetILNS1_3genE9ELNS1_11target_archE1100ELNS1_3gpuE3ELNS1_3repE0EEENS1_30default_config_static_selectorELNS0_4arch9wavefront6targetE1EEEvT1_
	.p2align	8
	.type	_ZN7rocprim17ROCPRIM_400000_NS6detail17trampoline_kernelINS0_14default_configENS1_20scan_config_selectorIsEEZZNS1_9scan_implILNS1_25lookback_scan_determinismE0ELb1ELb1ES3_N6thrust23THRUST_200600_302600_NS6detail15normal_iteratorINS9_10device_ptrIsEEEENS9_16discard_iteratorINS9_11use_defaultEEEsNS9_4plusIvEEsEEDaPvRmT3_T4_T5_mT6_P12ihipStream_tbENKUlT_T0_E_clISt17integral_constantIbLb1EESX_EEDaSS_ST_EUlSS_E0_NS1_11comp_targetILNS1_3genE9ELNS1_11target_archE1100ELNS1_3gpuE3ELNS1_3repE0EEENS1_30default_config_static_selectorELNS0_4arch9wavefront6targetE1EEEvT1_,@function
_ZN7rocprim17ROCPRIM_400000_NS6detail17trampoline_kernelINS0_14default_configENS1_20scan_config_selectorIsEEZZNS1_9scan_implILNS1_25lookback_scan_determinismE0ELb1ELb1ES3_N6thrust23THRUST_200600_302600_NS6detail15normal_iteratorINS9_10device_ptrIsEEEENS9_16discard_iteratorINS9_11use_defaultEEEsNS9_4plusIvEEsEEDaPvRmT3_T4_T5_mT6_P12ihipStream_tbENKUlT_T0_E_clISt17integral_constantIbLb1EESX_EEDaSS_ST_EUlSS_E0_NS1_11comp_targetILNS1_3genE9ELNS1_11target_archE1100ELNS1_3gpuE3ELNS1_3repE0EEENS1_30default_config_static_selectorELNS0_4arch9wavefront6targetE1EEEvT1_: ; @_ZN7rocprim17ROCPRIM_400000_NS6detail17trampoline_kernelINS0_14default_configENS1_20scan_config_selectorIsEEZZNS1_9scan_implILNS1_25lookback_scan_determinismE0ELb1ELb1ES3_N6thrust23THRUST_200600_302600_NS6detail15normal_iteratorINS9_10device_ptrIsEEEENS9_16discard_iteratorINS9_11use_defaultEEEsNS9_4plusIvEEsEEDaPvRmT3_T4_T5_mT6_P12ihipStream_tbENKUlT_T0_E_clISt17integral_constantIbLb1EESX_EEDaSS_ST_EUlSS_E0_NS1_11comp_targetILNS1_3genE9ELNS1_11target_archE1100ELNS1_3gpuE3ELNS1_3repE0EEENS1_30default_config_static_selectorELNS0_4arch9wavefront6targetE1EEEvT1_
; %bb.0:
	.section	.rodata,"a",@progbits
	.p2align	6, 0x0
	.amdhsa_kernel _ZN7rocprim17ROCPRIM_400000_NS6detail17trampoline_kernelINS0_14default_configENS1_20scan_config_selectorIsEEZZNS1_9scan_implILNS1_25lookback_scan_determinismE0ELb1ELb1ES3_N6thrust23THRUST_200600_302600_NS6detail15normal_iteratorINS9_10device_ptrIsEEEENS9_16discard_iteratorINS9_11use_defaultEEEsNS9_4plusIvEEsEEDaPvRmT3_T4_T5_mT6_P12ihipStream_tbENKUlT_T0_E_clISt17integral_constantIbLb1EESX_EEDaSS_ST_EUlSS_E0_NS1_11comp_targetILNS1_3genE9ELNS1_11target_archE1100ELNS1_3gpuE3ELNS1_3repE0EEENS1_30default_config_static_selectorELNS0_4arch9wavefront6targetE1EEEvT1_
		.amdhsa_group_segment_fixed_size 0
		.amdhsa_private_segment_fixed_size 0
		.amdhsa_kernarg_size 40
		.amdhsa_user_sgpr_count 6
		.amdhsa_user_sgpr_private_segment_buffer 1
		.amdhsa_user_sgpr_dispatch_ptr 0
		.amdhsa_user_sgpr_queue_ptr 0
		.amdhsa_user_sgpr_kernarg_segment_ptr 1
		.amdhsa_user_sgpr_dispatch_id 0
		.amdhsa_user_sgpr_flat_scratch_init 0
		.amdhsa_user_sgpr_kernarg_preload_length 0
		.amdhsa_user_sgpr_kernarg_preload_offset 0
		.amdhsa_user_sgpr_private_segment_size 0
		.amdhsa_uses_dynamic_stack 0
		.amdhsa_system_sgpr_private_segment_wavefront_offset 0
		.amdhsa_system_sgpr_workgroup_id_x 1
		.amdhsa_system_sgpr_workgroup_id_y 0
		.amdhsa_system_sgpr_workgroup_id_z 0
		.amdhsa_system_sgpr_workgroup_info 0
		.amdhsa_system_vgpr_workitem_id 0
		.amdhsa_next_free_vgpr 1
		.amdhsa_next_free_sgpr 0
		.amdhsa_accum_offset 4
		.amdhsa_reserve_vcc 0
		.amdhsa_reserve_flat_scratch 0
		.amdhsa_float_round_mode_32 0
		.amdhsa_float_round_mode_16_64 0
		.amdhsa_float_denorm_mode_32 3
		.amdhsa_float_denorm_mode_16_64 3
		.amdhsa_dx10_clamp 1
		.amdhsa_ieee_mode 1
		.amdhsa_fp16_overflow 0
		.amdhsa_tg_split 0
		.amdhsa_exception_fp_ieee_invalid_op 0
		.amdhsa_exception_fp_denorm_src 0
		.amdhsa_exception_fp_ieee_div_zero 0
		.amdhsa_exception_fp_ieee_overflow 0
		.amdhsa_exception_fp_ieee_underflow 0
		.amdhsa_exception_fp_ieee_inexact 0
		.amdhsa_exception_int_div_zero 0
	.end_amdhsa_kernel
	.section	.text._ZN7rocprim17ROCPRIM_400000_NS6detail17trampoline_kernelINS0_14default_configENS1_20scan_config_selectorIsEEZZNS1_9scan_implILNS1_25lookback_scan_determinismE0ELb1ELb1ES3_N6thrust23THRUST_200600_302600_NS6detail15normal_iteratorINS9_10device_ptrIsEEEENS9_16discard_iteratorINS9_11use_defaultEEEsNS9_4plusIvEEsEEDaPvRmT3_T4_T5_mT6_P12ihipStream_tbENKUlT_T0_E_clISt17integral_constantIbLb1EESX_EEDaSS_ST_EUlSS_E0_NS1_11comp_targetILNS1_3genE9ELNS1_11target_archE1100ELNS1_3gpuE3ELNS1_3repE0EEENS1_30default_config_static_selectorELNS0_4arch9wavefront6targetE1EEEvT1_,"axG",@progbits,_ZN7rocprim17ROCPRIM_400000_NS6detail17trampoline_kernelINS0_14default_configENS1_20scan_config_selectorIsEEZZNS1_9scan_implILNS1_25lookback_scan_determinismE0ELb1ELb1ES3_N6thrust23THRUST_200600_302600_NS6detail15normal_iteratorINS9_10device_ptrIsEEEENS9_16discard_iteratorINS9_11use_defaultEEEsNS9_4plusIvEEsEEDaPvRmT3_T4_T5_mT6_P12ihipStream_tbENKUlT_T0_E_clISt17integral_constantIbLb1EESX_EEDaSS_ST_EUlSS_E0_NS1_11comp_targetILNS1_3genE9ELNS1_11target_archE1100ELNS1_3gpuE3ELNS1_3repE0EEENS1_30default_config_static_selectorELNS0_4arch9wavefront6targetE1EEEvT1_,comdat
.Lfunc_end5976:
	.size	_ZN7rocprim17ROCPRIM_400000_NS6detail17trampoline_kernelINS0_14default_configENS1_20scan_config_selectorIsEEZZNS1_9scan_implILNS1_25lookback_scan_determinismE0ELb1ELb1ES3_N6thrust23THRUST_200600_302600_NS6detail15normal_iteratorINS9_10device_ptrIsEEEENS9_16discard_iteratorINS9_11use_defaultEEEsNS9_4plusIvEEsEEDaPvRmT3_T4_T5_mT6_P12ihipStream_tbENKUlT_T0_E_clISt17integral_constantIbLb1EESX_EEDaSS_ST_EUlSS_E0_NS1_11comp_targetILNS1_3genE9ELNS1_11target_archE1100ELNS1_3gpuE3ELNS1_3repE0EEENS1_30default_config_static_selectorELNS0_4arch9wavefront6targetE1EEEvT1_, .Lfunc_end5976-_ZN7rocprim17ROCPRIM_400000_NS6detail17trampoline_kernelINS0_14default_configENS1_20scan_config_selectorIsEEZZNS1_9scan_implILNS1_25lookback_scan_determinismE0ELb1ELb1ES3_N6thrust23THRUST_200600_302600_NS6detail15normal_iteratorINS9_10device_ptrIsEEEENS9_16discard_iteratorINS9_11use_defaultEEEsNS9_4plusIvEEsEEDaPvRmT3_T4_T5_mT6_P12ihipStream_tbENKUlT_T0_E_clISt17integral_constantIbLb1EESX_EEDaSS_ST_EUlSS_E0_NS1_11comp_targetILNS1_3genE9ELNS1_11target_archE1100ELNS1_3gpuE3ELNS1_3repE0EEENS1_30default_config_static_selectorELNS0_4arch9wavefront6targetE1EEEvT1_
                                        ; -- End function
	.section	.AMDGPU.csdata,"",@progbits
; Kernel info:
; codeLenInByte = 0
; NumSgprs: 4
; NumVgprs: 0
; NumAgprs: 0
; TotalNumVgprs: 0
; ScratchSize: 0
; MemoryBound: 0
; FloatMode: 240
; IeeeMode: 1
; LDSByteSize: 0 bytes/workgroup (compile time only)
; SGPRBlocks: 0
; VGPRBlocks: 0
; NumSGPRsForWavesPerEU: 4
; NumVGPRsForWavesPerEU: 1
; AccumOffset: 4
; Occupancy: 8
; WaveLimiterHint : 0
; COMPUTE_PGM_RSRC2:SCRATCH_EN: 0
; COMPUTE_PGM_RSRC2:USER_SGPR: 6
; COMPUTE_PGM_RSRC2:TRAP_HANDLER: 0
; COMPUTE_PGM_RSRC2:TGID_X_EN: 1
; COMPUTE_PGM_RSRC2:TGID_Y_EN: 0
; COMPUTE_PGM_RSRC2:TGID_Z_EN: 0
; COMPUTE_PGM_RSRC2:TIDIG_COMP_CNT: 0
; COMPUTE_PGM_RSRC3_GFX90A:ACCUM_OFFSET: 0
; COMPUTE_PGM_RSRC3_GFX90A:TG_SPLIT: 0
	.section	.text._ZN7rocprim17ROCPRIM_400000_NS6detail17trampoline_kernelINS0_14default_configENS1_20scan_config_selectorIsEEZZNS1_9scan_implILNS1_25lookback_scan_determinismE0ELb1ELb1ES3_N6thrust23THRUST_200600_302600_NS6detail15normal_iteratorINS9_10device_ptrIsEEEENS9_16discard_iteratorINS9_11use_defaultEEEsNS9_4plusIvEEsEEDaPvRmT3_T4_T5_mT6_P12ihipStream_tbENKUlT_T0_E_clISt17integral_constantIbLb1EESX_EEDaSS_ST_EUlSS_E0_NS1_11comp_targetILNS1_3genE8ELNS1_11target_archE1030ELNS1_3gpuE2ELNS1_3repE0EEENS1_30default_config_static_selectorELNS0_4arch9wavefront6targetE1EEEvT1_,"axG",@progbits,_ZN7rocprim17ROCPRIM_400000_NS6detail17trampoline_kernelINS0_14default_configENS1_20scan_config_selectorIsEEZZNS1_9scan_implILNS1_25lookback_scan_determinismE0ELb1ELb1ES3_N6thrust23THRUST_200600_302600_NS6detail15normal_iteratorINS9_10device_ptrIsEEEENS9_16discard_iteratorINS9_11use_defaultEEEsNS9_4plusIvEEsEEDaPvRmT3_T4_T5_mT6_P12ihipStream_tbENKUlT_T0_E_clISt17integral_constantIbLb1EESX_EEDaSS_ST_EUlSS_E0_NS1_11comp_targetILNS1_3genE8ELNS1_11target_archE1030ELNS1_3gpuE2ELNS1_3repE0EEENS1_30default_config_static_selectorELNS0_4arch9wavefront6targetE1EEEvT1_,comdat
	.protected	_ZN7rocprim17ROCPRIM_400000_NS6detail17trampoline_kernelINS0_14default_configENS1_20scan_config_selectorIsEEZZNS1_9scan_implILNS1_25lookback_scan_determinismE0ELb1ELb1ES3_N6thrust23THRUST_200600_302600_NS6detail15normal_iteratorINS9_10device_ptrIsEEEENS9_16discard_iteratorINS9_11use_defaultEEEsNS9_4plusIvEEsEEDaPvRmT3_T4_T5_mT6_P12ihipStream_tbENKUlT_T0_E_clISt17integral_constantIbLb1EESX_EEDaSS_ST_EUlSS_E0_NS1_11comp_targetILNS1_3genE8ELNS1_11target_archE1030ELNS1_3gpuE2ELNS1_3repE0EEENS1_30default_config_static_selectorELNS0_4arch9wavefront6targetE1EEEvT1_ ; -- Begin function _ZN7rocprim17ROCPRIM_400000_NS6detail17trampoline_kernelINS0_14default_configENS1_20scan_config_selectorIsEEZZNS1_9scan_implILNS1_25lookback_scan_determinismE0ELb1ELb1ES3_N6thrust23THRUST_200600_302600_NS6detail15normal_iteratorINS9_10device_ptrIsEEEENS9_16discard_iteratorINS9_11use_defaultEEEsNS9_4plusIvEEsEEDaPvRmT3_T4_T5_mT6_P12ihipStream_tbENKUlT_T0_E_clISt17integral_constantIbLb1EESX_EEDaSS_ST_EUlSS_E0_NS1_11comp_targetILNS1_3genE8ELNS1_11target_archE1030ELNS1_3gpuE2ELNS1_3repE0EEENS1_30default_config_static_selectorELNS0_4arch9wavefront6targetE1EEEvT1_
	.globl	_ZN7rocprim17ROCPRIM_400000_NS6detail17trampoline_kernelINS0_14default_configENS1_20scan_config_selectorIsEEZZNS1_9scan_implILNS1_25lookback_scan_determinismE0ELb1ELb1ES3_N6thrust23THRUST_200600_302600_NS6detail15normal_iteratorINS9_10device_ptrIsEEEENS9_16discard_iteratorINS9_11use_defaultEEEsNS9_4plusIvEEsEEDaPvRmT3_T4_T5_mT6_P12ihipStream_tbENKUlT_T0_E_clISt17integral_constantIbLb1EESX_EEDaSS_ST_EUlSS_E0_NS1_11comp_targetILNS1_3genE8ELNS1_11target_archE1030ELNS1_3gpuE2ELNS1_3repE0EEENS1_30default_config_static_selectorELNS0_4arch9wavefront6targetE1EEEvT1_
	.p2align	8
	.type	_ZN7rocprim17ROCPRIM_400000_NS6detail17trampoline_kernelINS0_14default_configENS1_20scan_config_selectorIsEEZZNS1_9scan_implILNS1_25lookback_scan_determinismE0ELb1ELb1ES3_N6thrust23THRUST_200600_302600_NS6detail15normal_iteratorINS9_10device_ptrIsEEEENS9_16discard_iteratorINS9_11use_defaultEEEsNS9_4plusIvEEsEEDaPvRmT3_T4_T5_mT6_P12ihipStream_tbENKUlT_T0_E_clISt17integral_constantIbLb1EESX_EEDaSS_ST_EUlSS_E0_NS1_11comp_targetILNS1_3genE8ELNS1_11target_archE1030ELNS1_3gpuE2ELNS1_3repE0EEENS1_30default_config_static_selectorELNS0_4arch9wavefront6targetE1EEEvT1_,@function
_ZN7rocprim17ROCPRIM_400000_NS6detail17trampoline_kernelINS0_14default_configENS1_20scan_config_selectorIsEEZZNS1_9scan_implILNS1_25lookback_scan_determinismE0ELb1ELb1ES3_N6thrust23THRUST_200600_302600_NS6detail15normal_iteratorINS9_10device_ptrIsEEEENS9_16discard_iteratorINS9_11use_defaultEEEsNS9_4plusIvEEsEEDaPvRmT3_T4_T5_mT6_P12ihipStream_tbENKUlT_T0_E_clISt17integral_constantIbLb1EESX_EEDaSS_ST_EUlSS_E0_NS1_11comp_targetILNS1_3genE8ELNS1_11target_archE1030ELNS1_3gpuE2ELNS1_3repE0EEENS1_30default_config_static_selectorELNS0_4arch9wavefront6targetE1EEEvT1_: ; @_ZN7rocprim17ROCPRIM_400000_NS6detail17trampoline_kernelINS0_14default_configENS1_20scan_config_selectorIsEEZZNS1_9scan_implILNS1_25lookback_scan_determinismE0ELb1ELb1ES3_N6thrust23THRUST_200600_302600_NS6detail15normal_iteratorINS9_10device_ptrIsEEEENS9_16discard_iteratorINS9_11use_defaultEEEsNS9_4plusIvEEsEEDaPvRmT3_T4_T5_mT6_P12ihipStream_tbENKUlT_T0_E_clISt17integral_constantIbLb1EESX_EEDaSS_ST_EUlSS_E0_NS1_11comp_targetILNS1_3genE8ELNS1_11target_archE1030ELNS1_3gpuE2ELNS1_3repE0EEENS1_30default_config_static_selectorELNS0_4arch9wavefront6targetE1EEEvT1_
; %bb.0:
	.section	.rodata,"a",@progbits
	.p2align	6, 0x0
	.amdhsa_kernel _ZN7rocprim17ROCPRIM_400000_NS6detail17trampoline_kernelINS0_14default_configENS1_20scan_config_selectorIsEEZZNS1_9scan_implILNS1_25lookback_scan_determinismE0ELb1ELb1ES3_N6thrust23THRUST_200600_302600_NS6detail15normal_iteratorINS9_10device_ptrIsEEEENS9_16discard_iteratorINS9_11use_defaultEEEsNS9_4plusIvEEsEEDaPvRmT3_T4_T5_mT6_P12ihipStream_tbENKUlT_T0_E_clISt17integral_constantIbLb1EESX_EEDaSS_ST_EUlSS_E0_NS1_11comp_targetILNS1_3genE8ELNS1_11target_archE1030ELNS1_3gpuE2ELNS1_3repE0EEENS1_30default_config_static_selectorELNS0_4arch9wavefront6targetE1EEEvT1_
		.amdhsa_group_segment_fixed_size 0
		.amdhsa_private_segment_fixed_size 0
		.amdhsa_kernarg_size 40
		.amdhsa_user_sgpr_count 6
		.amdhsa_user_sgpr_private_segment_buffer 1
		.amdhsa_user_sgpr_dispatch_ptr 0
		.amdhsa_user_sgpr_queue_ptr 0
		.amdhsa_user_sgpr_kernarg_segment_ptr 1
		.amdhsa_user_sgpr_dispatch_id 0
		.amdhsa_user_sgpr_flat_scratch_init 0
		.amdhsa_user_sgpr_kernarg_preload_length 0
		.amdhsa_user_sgpr_kernarg_preload_offset 0
		.amdhsa_user_sgpr_private_segment_size 0
		.amdhsa_uses_dynamic_stack 0
		.amdhsa_system_sgpr_private_segment_wavefront_offset 0
		.amdhsa_system_sgpr_workgroup_id_x 1
		.amdhsa_system_sgpr_workgroup_id_y 0
		.amdhsa_system_sgpr_workgroup_id_z 0
		.amdhsa_system_sgpr_workgroup_info 0
		.amdhsa_system_vgpr_workitem_id 0
		.amdhsa_next_free_vgpr 1
		.amdhsa_next_free_sgpr 0
		.amdhsa_accum_offset 4
		.amdhsa_reserve_vcc 0
		.amdhsa_reserve_flat_scratch 0
		.amdhsa_float_round_mode_32 0
		.amdhsa_float_round_mode_16_64 0
		.amdhsa_float_denorm_mode_32 3
		.amdhsa_float_denorm_mode_16_64 3
		.amdhsa_dx10_clamp 1
		.amdhsa_ieee_mode 1
		.amdhsa_fp16_overflow 0
		.amdhsa_tg_split 0
		.amdhsa_exception_fp_ieee_invalid_op 0
		.amdhsa_exception_fp_denorm_src 0
		.amdhsa_exception_fp_ieee_div_zero 0
		.amdhsa_exception_fp_ieee_overflow 0
		.amdhsa_exception_fp_ieee_underflow 0
		.amdhsa_exception_fp_ieee_inexact 0
		.amdhsa_exception_int_div_zero 0
	.end_amdhsa_kernel
	.section	.text._ZN7rocprim17ROCPRIM_400000_NS6detail17trampoline_kernelINS0_14default_configENS1_20scan_config_selectorIsEEZZNS1_9scan_implILNS1_25lookback_scan_determinismE0ELb1ELb1ES3_N6thrust23THRUST_200600_302600_NS6detail15normal_iteratorINS9_10device_ptrIsEEEENS9_16discard_iteratorINS9_11use_defaultEEEsNS9_4plusIvEEsEEDaPvRmT3_T4_T5_mT6_P12ihipStream_tbENKUlT_T0_E_clISt17integral_constantIbLb1EESX_EEDaSS_ST_EUlSS_E0_NS1_11comp_targetILNS1_3genE8ELNS1_11target_archE1030ELNS1_3gpuE2ELNS1_3repE0EEENS1_30default_config_static_selectorELNS0_4arch9wavefront6targetE1EEEvT1_,"axG",@progbits,_ZN7rocprim17ROCPRIM_400000_NS6detail17trampoline_kernelINS0_14default_configENS1_20scan_config_selectorIsEEZZNS1_9scan_implILNS1_25lookback_scan_determinismE0ELb1ELb1ES3_N6thrust23THRUST_200600_302600_NS6detail15normal_iteratorINS9_10device_ptrIsEEEENS9_16discard_iteratorINS9_11use_defaultEEEsNS9_4plusIvEEsEEDaPvRmT3_T4_T5_mT6_P12ihipStream_tbENKUlT_T0_E_clISt17integral_constantIbLb1EESX_EEDaSS_ST_EUlSS_E0_NS1_11comp_targetILNS1_3genE8ELNS1_11target_archE1030ELNS1_3gpuE2ELNS1_3repE0EEENS1_30default_config_static_selectorELNS0_4arch9wavefront6targetE1EEEvT1_,comdat
.Lfunc_end5977:
	.size	_ZN7rocprim17ROCPRIM_400000_NS6detail17trampoline_kernelINS0_14default_configENS1_20scan_config_selectorIsEEZZNS1_9scan_implILNS1_25lookback_scan_determinismE0ELb1ELb1ES3_N6thrust23THRUST_200600_302600_NS6detail15normal_iteratorINS9_10device_ptrIsEEEENS9_16discard_iteratorINS9_11use_defaultEEEsNS9_4plusIvEEsEEDaPvRmT3_T4_T5_mT6_P12ihipStream_tbENKUlT_T0_E_clISt17integral_constantIbLb1EESX_EEDaSS_ST_EUlSS_E0_NS1_11comp_targetILNS1_3genE8ELNS1_11target_archE1030ELNS1_3gpuE2ELNS1_3repE0EEENS1_30default_config_static_selectorELNS0_4arch9wavefront6targetE1EEEvT1_, .Lfunc_end5977-_ZN7rocprim17ROCPRIM_400000_NS6detail17trampoline_kernelINS0_14default_configENS1_20scan_config_selectorIsEEZZNS1_9scan_implILNS1_25lookback_scan_determinismE0ELb1ELb1ES3_N6thrust23THRUST_200600_302600_NS6detail15normal_iteratorINS9_10device_ptrIsEEEENS9_16discard_iteratorINS9_11use_defaultEEEsNS9_4plusIvEEsEEDaPvRmT3_T4_T5_mT6_P12ihipStream_tbENKUlT_T0_E_clISt17integral_constantIbLb1EESX_EEDaSS_ST_EUlSS_E0_NS1_11comp_targetILNS1_3genE8ELNS1_11target_archE1030ELNS1_3gpuE2ELNS1_3repE0EEENS1_30default_config_static_selectorELNS0_4arch9wavefront6targetE1EEEvT1_
                                        ; -- End function
	.section	.AMDGPU.csdata,"",@progbits
; Kernel info:
; codeLenInByte = 0
; NumSgprs: 4
; NumVgprs: 0
; NumAgprs: 0
; TotalNumVgprs: 0
; ScratchSize: 0
; MemoryBound: 0
; FloatMode: 240
; IeeeMode: 1
; LDSByteSize: 0 bytes/workgroup (compile time only)
; SGPRBlocks: 0
; VGPRBlocks: 0
; NumSGPRsForWavesPerEU: 4
; NumVGPRsForWavesPerEU: 1
; AccumOffset: 4
; Occupancy: 8
; WaveLimiterHint : 0
; COMPUTE_PGM_RSRC2:SCRATCH_EN: 0
; COMPUTE_PGM_RSRC2:USER_SGPR: 6
; COMPUTE_PGM_RSRC2:TRAP_HANDLER: 0
; COMPUTE_PGM_RSRC2:TGID_X_EN: 1
; COMPUTE_PGM_RSRC2:TGID_Y_EN: 0
; COMPUTE_PGM_RSRC2:TGID_Z_EN: 0
; COMPUTE_PGM_RSRC2:TIDIG_COMP_CNT: 0
; COMPUTE_PGM_RSRC3_GFX90A:ACCUM_OFFSET: 0
; COMPUTE_PGM_RSRC3_GFX90A:TG_SPLIT: 0
	.section	.text._ZN7rocprim17ROCPRIM_400000_NS6detail17trampoline_kernelINS0_14default_configENS1_20scan_config_selectorIsEEZZNS1_9scan_implILNS1_25lookback_scan_determinismE0ELb1ELb1ES3_N6thrust23THRUST_200600_302600_NS6detail15normal_iteratorINS9_10device_ptrIsEEEENS9_16discard_iteratorINS9_11use_defaultEEEsNS9_4plusIvEEsEEDaPvRmT3_T4_T5_mT6_P12ihipStream_tbENKUlT_T0_E_clISt17integral_constantIbLb1EESW_IbLb0EEEEDaSS_ST_EUlSS_E_NS1_11comp_targetILNS1_3genE0ELNS1_11target_archE4294967295ELNS1_3gpuE0ELNS1_3repE0EEENS1_30default_config_static_selectorELNS0_4arch9wavefront6targetE1EEEvT1_,"axG",@progbits,_ZN7rocprim17ROCPRIM_400000_NS6detail17trampoline_kernelINS0_14default_configENS1_20scan_config_selectorIsEEZZNS1_9scan_implILNS1_25lookback_scan_determinismE0ELb1ELb1ES3_N6thrust23THRUST_200600_302600_NS6detail15normal_iteratorINS9_10device_ptrIsEEEENS9_16discard_iteratorINS9_11use_defaultEEEsNS9_4plusIvEEsEEDaPvRmT3_T4_T5_mT6_P12ihipStream_tbENKUlT_T0_E_clISt17integral_constantIbLb1EESW_IbLb0EEEEDaSS_ST_EUlSS_E_NS1_11comp_targetILNS1_3genE0ELNS1_11target_archE4294967295ELNS1_3gpuE0ELNS1_3repE0EEENS1_30default_config_static_selectorELNS0_4arch9wavefront6targetE1EEEvT1_,comdat
	.protected	_ZN7rocprim17ROCPRIM_400000_NS6detail17trampoline_kernelINS0_14default_configENS1_20scan_config_selectorIsEEZZNS1_9scan_implILNS1_25lookback_scan_determinismE0ELb1ELb1ES3_N6thrust23THRUST_200600_302600_NS6detail15normal_iteratorINS9_10device_ptrIsEEEENS9_16discard_iteratorINS9_11use_defaultEEEsNS9_4plusIvEEsEEDaPvRmT3_T4_T5_mT6_P12ihipStream_tbENKUlT_T0_E_clISt17integral_constantIbLb1EESW_IbLb0EEEEDaSS_ST_EUlSS_E_NS1_11comp_targetILNS1_3genE0ELNS1_11target_archE4294967295ELNS1_3gpuE0ELNS1_3repE0EEENS1_30default_config_static_selectorELNS0_4arch9wavefront6targetE1EEEvT1_ ; -- Begin function _ZN7rocprim17ROCPRIM_400000_NS6detail17trampoline_kernelINS0_14default_configENS1_20scan_config_selectorIsEEZZNS1_9scan_implILNS1_25lookback_scan_determinismE0ELb1ELb1ES3_N6thrust23THRUST_200600_302600_NS6detail15normal_iteratorINS9_10device_ptrIsEEEENS9_16discard_iteratorINS9_11use_defaultEEEsNS9_4plusIvEEsEEDaPvRmT3_T4_T5_mT6_P12ihipStream_tbENKUlT_T0_E_clISt17integral_constantIbLb1EESW_IbLb0EEEEDaSS_ST_EUlSS_E_NS1_11comp_targetILNS1_3genE0ELNS1_11target_archE4294967295ELNS1_3gpuE0ELNS1_3repE0EEENS1_30default_config_static_selectorELNS0_4arch9wavefront6targetE1EEEvT1_
	.globl	_ZN7rocprim17ROCPRIM_400000_NS6detail17trampoline_kernelINS0_14default_configENS1_20scan_config_selectorIsEEZZNS1_9scan_implILNS1_25lookback_scan_determinismE0ELb1ELb1ES3_N6thrust23THRUST_200600_302600_NS6detail15normal_iteratorINS9_10device_ptrIsEEEENS9_16discard_iteratorINS9_11use_defaultEEEsNS9_4plusIvEEsEEDaPvRmT3_T4_T5_mT6_P12ihipStream_tbENKUlT_T0_E_clISt17integral_constantIbLb1EESW_IbLb0EEEEDaSS_ST_EUlSS_E_NS1_11comp_targetILNS1_3genE0ELNS1_11target_archE4294967295ELNS1_3gpuE0ELNS1_3repE0EEENS1_30default_config_static_selectorELNS0_4arch9wavefront6targetE1EEEvT1_
	.p2align	8
	.type	_ZN7rocprim17ROCPRIM_400000_NS6detail17trampoline_kernelINS0_14default_configENS1_20scan_config_selectorIsEEZZNS1_9scan_implILNS1_25lookback_scan_determinismE0ELb1ELb1ES3_N6thrust23THRUST_200600_302600_NS6detail15normal_iteratorINS9_10device_ptrIsEEEENS9_16discard_iteratorINS9_11use_defaultEEEsNS9_4plusIvEEsEEDaPvRmT3_T4_T5_mT6_P12ihipStream_tbENKUlT_T0_E_clISt17integral_constantIbLb1EESW_IbLb0EEEEDaSS_ST_EUlSS_E_NS1_11comp_targetILNS1_3genE0ELNS1_11target_archE4294967295ELNS1_3gpuE0ELNS1_3repE0EEENS1_30default_config_static_selectorELNS0_4arch9wavefront6targetE1EEEvT1_,@function
_ZN7rocprim17ROCPRIM_400000_NS6detail17trampoline_kernelINS0_14default_configENS1_20scan_config_selectorIsEEZZNS1_9scan_implILNS1_25lookback_scan_determinismE0ELb1ELb1ES3_N6thrust23THRUST_200600_302600_NS6detail15normal_iteratorINS9_10device_ptrIsEEEENS9_16discard_iteratorINS9_11use_defaultEEEsNS9_4plusIvEEsEEDaPvRmT3_T4_T5_mT6_P12ihipStream_tbENKUlT_T0_E_clISt17integral_constantIbLb1EESW_IbLb0EEEEDaSS_ST_EUlSS_E_NS1_11comp_targetILNS1_3genE0ELNS1_11target_archE4294967295ELNS1_3gpuE0ELNS1_3repE0EEENS1_30default_config_static_selectorELNS0_4arch9wavefront6targetE1EEEvT1_: ; @_ZN7rocprim17ROCPRIM_400000_NS6detail17trampoline_kernelINS0_14default_configENS1_20scan_config_selectorIsEEZZNS1_9scan_implILNS1_25lookback_scan_determinismE0ELb1ELb1ES3_N6thrust23THRUST_200600_302600_NS6detail15normal_iteratorINS9_10device_ptrIsEEEENS9_16discard_iteratorINS9_11use_defaultEEEsNS9_4plusIvEEsEEDaPvRmT3_T4_T5_mT6_P12ihipStream_tbENKUlT_T0_E_clISt17integral_constantIbLb1EESW_IbLb0EEEEDaSS_ST_EUlSS_E_NS1_11comp_targetILNS1_3genE0ELNS1_11target_archE4294967295ELNS1_3gpuE0ELNS1_3repE0EEENS1_30default_config_static_selectorELNS0_4arch9wavefront6targetE1EEEvT1_
; %bb.0:
	.section	.rodata,"a",@progbits
	.p2align	6, 0x0
	.amdhsa_kernel _ZN7rocprim17ROCPRIM_400000_NS6detail17trampoline_kernelINS0_14default_configENS1_20scan_config_selectorIsEEZZNS1_9scan_implILNS1_25lookback_scan_determinismE0ELb1ELb1ES3_N6thrust23THRUST_200600_302600_NS6detail15normal_iteratorINS9_10device_ptrIsEEEENS9_16discard_iteratorINS9_11use_defaultEEEsNS9_4plusIvEEsEEDaPvRmT3_T4_T5_mT6_P12ihipStream_tbENKUlT_T0_E_clISt17integral_constantIbLb1EESW_IbLb0EEEEDaSS_ST_EUlSS_E_NS1_11comp_targetILNS1_3genE0ELNS1_11target_archE4294967295ELNS1_3gpuE0ELNS1_3repE0EEENS1_30default_config_static_selectorELNS0_4arch9wavefront6targetE1EEEvT1_
		.amdhsa_group_segment_fixed_size 0
		.amdhsa_private_segment_fixed_size 0
		.amdhsa_kernarg_size 104
		.amdhsa_user_sgpr_count 6
		.amdhsa_user_sgpr_private_segment_buffer 1
		.amdhsa_user_sgpr_dispatch_ptr 0
		.amdhsa_user_sgpr_queue_ptr 0
		.amdhsa_user_sgpr_kernarg_segment_ptr 1
		.amdhsa_user_sgpr_dispatch_id 0
		.amdhsa_user_sgpr_flat_scratch_init 0
		.amdhsa_user_sgpr_kernarg_preload_length 0
		.amdhsa_user_sgpr_kernarg_preload_offset 0
		.amdhsa_user_sgpr_private_segment_size 0
		.amdhsa_uses_dynamic_stack 0
		.amdhsa_system_sgpr_private_segment_wavefront_offset 0
		.amdhsa_system_sgpr_workgroup_id_x 1
		.amdhsa_system_sgpr_workgroup_id_y 0
		.amdhsa_system_sgpr_workgroup_id_z 0
		.amdhsa_system_sgpr_workgroup_info 0
		.amdhsa_system_vgpr_workitem_id 0
		.amdhsa_next_free_vgpr 1
		.amdhsa_next_free_sgpr 0
		.amdhsa_accum_offset 4
		.amdhsa_reserve_vcc 0
		.amdhsa_reserve_flat_scratch 0
		.amdhsa_float_round_mode_32 0
		.amdhsa_float_round_mode_16_64 0
		.amdhsa_float_denorm_mode_32 3
		.amdhsa_float_denorm_mode_16_64 3
		.amdhsa_dx10_clamp 1
		.amdhsa_ieee_mode 1
		.amdhsa_fp16_overflow 0
		.amdhsa_tg_split 0
		.amdhsa_exception_fp_ieee_invalid_op 0
		.amdhsa_exception_fp_denorm_src 0
		.amdhsa_exception_fp_ieee_div_zero 0
		.amdhsa_exception_fp_ieee_overflow 0
		.amdhsa_exception_fp_ieee_underflow 0
		.amdhsa_exception_fp_ieee_inexact 0
		.amdhsa_exception_int_div_zero 0
	.end_amdhsa_kernel
	.section	.text._ZN7rocprim17ROCPRIM_400000_NS6detail17trampoline_kernelINS0_14default_configENS1_20scan_config_selectorIsEEZZNS1_9scan_implILNS1_25lookback_scan_determinismE0ELb1ELb1ES3_N6thrust23THRUST_200600_302600_NS6detail15normal_iteratorINS9_10device_ptrIsEEEENS9_16discard_iteratorINS9_11use_defaultEEEsNS9_4plusIvEEsEEDaPvRmT3_T4_T5_mT6_P12ihipStream_tbENKUlT_T0_E_clISt17integral_constantIbLb1EESW_IbLb0EEEEDaSS_ST_EUlSS_E_NS1_11comp_targetILNS1_3genE0ELNS1_11target_archE4294967295ELNS1_3gpuE0ELNS1_3repE0EEENS1_30default_config_static_selectorELNS0_4arch9wavefront6targetE1EEEvT1_,"axG",@progbits,_ZN7rocprim17ROCPRIM_400000_NS6detail17trampoline_kernelINS0_14default_configENS1_20scan_config_selectorIsEEZZNS1_9scan_implILNS1_25lookback_scan_determinismE0ELb1ELb1ES3_N6thrust23THRUST_200600_302600_NS6detail15normal_iteratorINS9_10device_ptrIsEEEENS9_16discard_iteratorINS9_11use_defaultEEEsNS9_4plusIvEEsEEDaPvRmT3_T4_T5_mT6_P12ihipStream_tbENKUlT_T0_E_clISt17integral_constantIbLb1EESW_IbLb0EEEEDaSS_ST_EUlSS_E_NS1_11comp_targetILNS1_3genE0ELNS1_11target_archE4294967295ELNS1_3gpuE0ELNS1_3repE0EEENS1_30default_config_static_selectorELNS0_4arch9wavefront6targetE1EEEvT1_,comdat
.Lfunc_end5978:
	.size	_ZN7rocprim17ROCPRIM_400000_NS6detail17trampoline_kernelINS0_14default_configENS1_20scan_config_selectorIsEEZZNS1_9scan_implILNS1_25lookback_scan_determinismE0ELb1ELb1ES3_N6thrust23THRUST_200600_302600_NS6detail15normal_iteratorINS9_10device_ptrIsEEEENS9_16discard_iteratorINS9_11use_defaultEEEsNS9_4plusIvEEsEEDaPvRmT3_T4_T5_mT6_P12ihipStream_tbENKUlT_T0_E_clISt17integral_constantIbLb1EESW_IbLb0EEEEDaSS_ST_EUlSS_E_NS1_11comp_targetILNS1_3genE0ELNS1_11target_archE4294967295ELNS1_3gpuE0ELNS1_3repE0EEENS1_30default_config_static_selectorELNS0_4arch9wavefront6targetE1EEEvT1_, .Lfunc_end5978-_ZN7rocprim17ROCPRIM_400000_NS6detail17trampoline_kernelINS0_14default_configENS1_20scan_config_selectorIsEEZZNS1_9scan_implILNS1_25lookback_scan_determinismE0ELb1ELb1ES3_N6thrust23THRUST_200600_302600_NS6detail15normal_iteratorINS9_10device_ptrIsEEEENS9_16discard_iteratorINS9_11use_defaultEEEsNS9_4plusIvEEsEEDaPvRmT3_T4_T5_mT6_P12ihipStream_tbENKUlT_T0_E_clISt17integral_constantIbLb1EESW_IbLb0EEEEDaSS_ST_EUlSS_E_NS1_11comp_targetILNS1_3genE0ELNS1_11target_archE4294967295ELNS1_3gpuE0ELNS1_3repE0EEENS1_30default_config_static_selectorELNS0_4arch9wavefront6targetE1EEEvT1_
                                        ; -- End function
	.section	.AMDGPU.csdata,"",@progbits
; Kernel info:
; codeLenInByte = 0
; NumSgprs: 4
; NumVgprs: 0
; NumAgprs: 0
; TotalNumVgprs: 0
; ScratchSize: 0
; MemoryBound: 0
; FloatMode: 240
; IeeeMode: 1
; LDSByteSize: 0 bytes/workgroup (compile time only)
; SGPRBlocks: 0
; VGPRBlocks: 0
; NumSGPRsForWavesPerEU: 4
; NumVGPRsForWavesPerEU: 1
; AccumOffset: 4
; Occupancy: 8
; WaveLimiterHint : 0
; COMPUTE_PGM_RSRC2:SCRATCH_EN: 0
; COMPUTE_PGM_RSRC2:USER_SGPR: 6
; COMPUTE_PGM_RSRC2:TRAP_HANDLER: 0
; COMPUTE_PGM_RSRC2:TGID_X_EN: 1
; COMPUTE_PGM_RSRC2:TGID_Y_EN: 0
; COMPUTE_PGM_RSRC2:TGID_Z_EN: 0
; COMPUTE_PGM_RSRC2:TIDIG_COMP_CNT: 0
; COMPUTE_PGM_RSRC3_GFX90A:ACCUM_OFFSET: 0
; COMPUTE_PGM_RSRC3_GFX90A:TG_SPLIT: 0
	.section	.text._ZN7rocprim17ROCPRIM_400000_NS6detail17trampoline_kernelINS0_14default_configENS1_20scan_config_selectorIsEEZZNS1_9scan_implILNS1_25lookback_scan_determinismE0ELb1ELb1ES3_N6thrust23THRUST_200600_302600_NS6detail15normal_iteratorINS9_10device_ptrIsEEEENS9_16discard_iteratorINS9_11use_defaultEEEsNS9_4plusIvEEsEEDaPvRmT3_T4_T5_mT6_P12ihipStream_tbENKUlT_T0_E_clISt17integral_constantIbLb1EESW_IbLb0EEEEDaSS_ST_EUlSS_E_NS1_11comp_targetILNS1_3genE5ELNS1_11target_archE942ELNS1_3gpuE9ELNS1_3repE0EEENS1_30default_config_static_selectorELNS0_4arch9wavefront6targetE1EEEvT1_,"axG",@progbits,_ZN7rocprim17ROCPRIM_400000_NS6detail17trampoline_kernelINS0_14default_configENS1_20scan_config_selectorIsEEZZNS1_9scan_implILNS1_25lookback_scan_determinismE0ELb1ELb1ES3_N6thrust23THRUST_200600_302600_NS6detail15normal_iteratorINS9_10device_ptrIsEEEENS9_16discard_iteratorINS9_11use_defaultEEEsNS9_4plusIvEEsEEDaPvRmT3_T4_T5_mT6_P12ihipStream_tbENKUlT_T0_E_clISt17integral_constantIbLb1EESW_IbLb0EEEEDaSS_ST_EUlSS_E_NS1_11comp_targetILNS1_3genE5ELNS1_11target_archE942ELNS1_3gpuE9ELNS1_3repE0EEENS1_30default_config_static_selectorELNS0_4arch9wavefront6targetE1EEEvT1_,comdat
	.protected	_ZN7rocprim17ROCPRIM_400000_NS6detail17trampoline_kernelINS0_14default_configENS1_20scan_config_selectorIsEEZZNS1_9scan_implILNS1_25lookback_scan_determinismE0ELb1ELb1ES3_N6thrust23THRUST_200600_302600_NS6detail15normal_iteratorINS9_10device_ptrIsEEEENS9_16discard_iteratorINS9_11use_defaultEEEsNS9_4plusIvEEsEEDaPvRmT3_T4_T5_mT6_P12ihipStream_tbENKUlT_T0_E_clISt17integral_constantIbLb1EESW_IbLb0EEEEDaSS_ST_EUlSS_E_NS1_11comp_targetILNS1_3genE5ELNS1_11target_archE942ELNS1_3gpuE9ELNS1_3repE0EEENS1_30default_config_static_selectorELNS0_4arch9wavefront6targetE1EEEvT1_ ; -- Begin function _ZN7rocprim17ROCPRIM_400000_NS6detail17trampoline_kernelINS0_14default_configENS1_20scan_config_selectorIsEEZZNS1_9scan_implILNS1_25lookback_scan_determinismE0ELb1ELb1ES3_N6thrust23THRUST_200600_302600_NS6detail15normal_iteratorINS9_10device_ptrIsEEEENS9_16discard_iteratorINS9_11use_defaultEEEsNS9_4plusIvEEsEEDaPvRmT3_T4_T5_mT6_P12ihipStream_tbENKUlT_T0_E_clISt17integral_constantIbLb1EESW_IbLb0EEEEDaSS_ST_EUlSS_E_NS1_11comp_targetILNS1_3genE5ELNS1_11target_archE942ELNS1_3gpuE9ELNS1_3repE0EEENS1_30default_config_static_selectorELNS0_4arch9wavefront6targetE1EEEvT1_
	.globl	_ZN7rocprim17ROCPRIM_400000_NS6detail17trampoline_kernelINS0_14default_configENS1_20scan_config_selectorIsEEZZNS1_9scan_implILNS1_25lookback_scan_determinismE0ELb1ELb1ES3_N6thrust23THRUST_200600_302600_NS6detail15normal_iteratorINS9_10device_ptrIsEEEENS9_16discard_iteratorINS9_11use_defaultEEEsNS9_4plusIvEEsEEDaPvRmT3_T4_T5_mT6_P12ihipStream_tbENKUlT_T0_E_clISt17integral_constantIbLb1EESW_IbLb0EEEEDaSS_ST_EUlSS_E_NS1_11comp_targetILNS1_3genE5ELNS1_11target_archE942ELNS1_3gpuE9ELNS1_3repE0EEENS1_30default_config_static_selectorELNS0_4arch9wavefront6targetE1EEEvT1_
	.p2align	8
	.type	_ZN7rocprim17ROCPRIM_400000_NS6detail17trampoline_kernelINS0_14default_configENS1_20scan_config_selectorIsEEZZNS1_9scan_implILNS1_25lookback_scan_determinismE0ELb1ELb1ES3_N6thrust23THRUST_200600_302600_NS6detail15normal_iteratorINS9_10device_ptrIsEEEENS9_16discard_iteratorINS9_11use_defaultEEEsNS9_4plusIvEEsEEDaPvRmT3_T4_T5_mT6_P12ihipStream_tbENKUlT_T0_E_clISt17integral_constantIbLb1EESW_IbLb0EEEEDaSS_ST_EUlSS_E_NS1_11comp_targetILNS1_3genE5ELNS1_11target_archE942ELNS1_3gpuE9ELNS1_3repE0EEENS1_30default_config_static_selectorELNS0_4arch9wavefront6targetE1EEEvT1_,@function
_ZN7rocprim17ROCPRIM_400000_NS6detail17trampoline_kernelINS0_14default_configENS1_20scan_config_selectorIsEEZZNS1_9scan_implILNS1_25lookback_scan_determinismE0ELb1ELb1ES3_N6thrust23THRUST_200600_302600_NS6detail15normal_iteratorINS9_10device_ptrIsEEEENS9_16discard_iteratorINS9_11use_defaultEEEsNS9_4plusIvEEsEEDaPvRmT3_T4_T5_mT6_P12ihipStream_tbENKUlT_T0_E_clISt17integral_constantIbLb1EESW_IbLb0EEEEDaSS_ST_EUlSS_E_NS1_11comp_targetILNS1_3genE5ELNS1_11target_archE942ELNS1_3gpuE9ELNS1_3repE0EEENS1_30default_config_static_selectorELNS0_4arch9wavefront6targetE1EEEvT1_: ; @_ZN7rocprim17ROCPRIM_400000_NS6detail17trampoline_kernelINS0_14default_configENS1_20scan_config_selectorIsEEZZNS1_9scan_implILNS1_25lookback_scan_determinismE0ELb1ELb1ES3_N6thrust23THRUST_200600_302600_NS6detail15normal_iteratorINS9_10device_ptrIsEEEENS9_16discard_iteratorINS9_11use_defaultEEEsNS9_4plusIvEEsEEDaPvRmT3_T4_T5_mT6_P12ihipStream_tbENKUlT_T0_E_clISt17integral_constantIbLb1EESW_IbLb0EEEEDaSS_ST_EUlSS_E_NS1_11comp_targetILNS1_3genE5ELNS1_11target_archE942ELNS1_3gpuE9ELNS1_3repE0EEENS1_30default_config_static_selectorELNS0_4arch9wavefront6targetE1EEEvT1_
; %bb.0:
	.section	.rodata,"a",@progbits
	.p2align	6, 0x0
	.amdhsa_kernel _ZN7rocprim17ROCPRIM_400000_NS6detail17trampoline_kernelINS0_14default_configENS1_20scan_config_selectorIsEEZZNS1_9scan_implILNS1_25lookback_scan_determinismE0ELb1ELb1ES3_N6thrust23THRUST_200600_302600_NS6detail15normal_iteratorINS9_10device_ptrIsEEEENS9_16discard_iteratorINS9_11use_defaultEEEsNS9_4plusIvEEsEEDaPvRmT3_T4_T5_mT6_P12ihipStream_tbENKUlT_T0_E_clISt17integral_constantIbLb1EESW_IbLb0EEEEDaSS_ST_EUlSS_E_NS1_11comp_targetILNS1_3genE5ELNS1_11target_archE942ELNS1_3gpuE9ELNS1_3repE0EEENS1_30default_config_static_selectorELNS0_4arch9wavefront6targetE1EEEvT1_
		.amdhsa_group_segment_fixed_size 0
		.amdhsa_private_segment_fixed_size 0
		.amdhsa_kernarg_size 104
		.amdhsa_user_sgpr_count 6
		.amdhsa_user_sgpr_private_segment_buffer 1
		.amdhsa_user_sgpr_dispatch_ptr 0
		.amdhsa_user_sgpr_queue_ptr 0
		.amdhsa_user_sgpr_kernarg_segment_ptr 1
		.amdhsa_user_sgpr_dispatch_id 0
		.amdhsa_user_sgpr_flat_scratch_init 0
		.amdhsa_user_sgpr_kernarg_preload_length 0
		.amdhsa_user_sgpr_kernarg_preload_offset 0
		.amdhsa_user_sgpr_private_segment_size 0
		.amdhsa_uses_dynamic_stack 0
		.amdhsa_system_sgpr_private_segment_wavefront_offset 0
		.amdhsa_system_sgpr_workgroup_id_x 1
		.amdhsa_system_sgpr_workgroup_id_y 0
		.amdhsa_system_sgpr_workgroup_id_z 0
		.amdhsa_system_sgpr_workgroup_info 0
		.amdhsa_system_vgpr_workitem_id 0
		.amdhsa_next_free_vgpr 1
		.amdhsa_next_free_sgpr 0
		.amdhsa_accum_offset 4
		.amdhsa_reserve_vcc 0
		.amdhsa_reserve_flat_scratch 0
		.amdhsa_float_round_mode_32 0
		.amdhsa_float_round_mode_16_64 0
		.amdhsa_float_denorm_mode_32 3
		.amdhsa_float_denorm_mode_16_64 3
		.amdhsa_dx10_clamp 1
		.amdhsa_ieee_mode 1
		.amdhsa_fp16_overflow 0
		.amdhsa_tg_split 0
		.amdhsa_exception_fp_ieee_invalid_op 0
		.amdhsa_exception_fp_denorm_src 0
		.amdhsa_exception_fp_ieee_div_zero 0
		.amdhsa_exception_fp_ieee_overflow 0
		.amdhsa_exception_fp_ieee_underflow 0
		.amdhsa_exception_fp_ieee_inexact 0
		.amdhsa_exception_int_div_zero 0
	.end_amdhsa_kernel
	.section	.text._ZN7rocprim17ROCPRIM_400000_NS6detail17trampoline_kernelINS0_14default_configENS1_20scan_config_selectorIsEEZZNS1_9scan_implILNS1_25lookback_scan_determinismE0ELb1ELb1ES3_N6thrust23THRUST_200600_302600_NS6detail15normal_iteratorINS9_10device_ptrIsEEEENS9_16discard_iteratorINS9_11use_defaultEEEsNS9_4plusIvEEsEEDaPvRmT3_T4_T5_mT6_P12ihipStream_tbENKUlT_T0_E_clISt17integral_constantIbLb1EESW_IbLb0EEEEDaSS_ST_EUlSS_E_NS1_11comp_targetILNS1_3genE5ELNS1_11target_archE942ELNS1_3gpuE9ELNS1_3repE0EEENS1_30default_config_static_selectorELNS0_4arch9wavefront6targetE1EEEvT1_,"axG",@progbits,_ZN7rocprim17ROCPRIM_400000_NS6detail17trampoline_kernelINS0_14default_configENS1_20scan_config_selectorIsEEZZNS1_9scan_implILNS1_25lookback_scan_determinismE0ELb1ELb1ES3_N6thrust23THRUST_200600_302600_NS6detail15normal_iteratorINS9_10device_ptrIsEEEENS9_16discard_iteratorINS9_11use_defaultEEEsNS9_4plusIvEEsEEDaPvRmT3_T4_T5_mT6_P12ihipStream_tbENKUlT_T0_E_clISt17integral_constantIbLb1EESW_IbLb0EEEEDaSS_ST_EUlSS_E_NS1_11comp_targetILNS1_3genE5ELNS1_11target_archE942ELNS1_3gpuE9ELNS1_3repE0EEENS1_30default_config_static_selectorELNS0_4arch9wavefront6targetE1EEEvT1_,comdat
.Lfunc_end5979:
	.size	_ZN7rocprim17ROCPRIM_400000_NS6detail17trampoline_kernelINS0_14default_configENS1_20scan_config_selectorIsEEZZNS1_9scan_implILNS1_25lookback_scan_determinismE0ELb1ELb1ES3_N6thrust23THRUST_200600_302600_NS6detail15normal_iteratorINS9_10device_ptrIsEEEENS9_16discard_iteratorINS9_11use_defaultEEEsNS9_4plusIvEEsEEDaPvRmT3_T4_T5_mT6_P12ihipStream_tbENKUlT_T0_E_clISt17integral_constantIbLb1EESW_IbLb0EEEEDaSS_ST_EUlSS_E_NS1_11comp_targetILNS1_3genE5ELNS1_11target_archE942ELNS1_3gpuE9ELNS1_3repE0EEENS1_30default_config_static_selectorELNS0_4arch9wavefront6targetE1EEEvT1_, .Lfunc_end5979-_ZN7rocprim17ROCPRIM_400000_NS6detail17trampoline_kernelINS0_14default_configENS1_20scan_config_selectorIsEEZZNS1_9scan_implILNS1_25lookback_scan_determinismE0ELb1ELb1ES3_N6thrust23THRUST_200600_302600_NS6detail15normal_iteratorINS9_10device_ptrIsEEEENS9_16discard_iteratorINS9_11use_defaultEEEsNS9_4plusIvEEsEEDaPvRmT3_T4_T5_mT6_P12ihipStream_tbENKUlT_T0_E_clISt17integral_constantIbLb1EESW_IbLb0EEEEDaSS_ST_EUlSS_E_NS1_11comp_targetILNS1_3genE5ELNS1_11target_archE942ELNS1_3gpuE9ELNS1_3repE0EEENS1_30default_config_static_selectorELNS0_4arch9wavefront6targetE1EEEvT1_
                                        ; -- End function
	.section	.AMDGPU.csdata,"",@progbits
; Kernel info:
; codeLenInByte = 0
; NumSgprs: 4
; NumVgprs: 0
; NumAgprs: 0
; TotalNumVgprs: 0
; ScratchSize: 0
; MemoryBound: 0
; FloatMode: 240
; IeeeMode: 1
; LDSByteSize: 0 bytes/workgroup (compile time only)
; SGPRBlocks: 0
; VGPRBlocks: 0
; NumSGPRsForWavesPerEU: 4
; NumVGPRsForWavesPerEU: 1
; AccumOffset: 4
; Occupancy: 8
; WaveLimiterHint : 0
; COMPUTE_PGM_RSRC2:SCRATCH_EN: 0
; COMPUTE_PGM_RSRC2:USER_SGPR: 6
; COMPUTE_PGM_RSRC2:TRAP_HANDLER: 0
; COMPUTE_PGM_RSRC2:TGID_X_EN: 1
; COMPUTE_PGM_RSRC2:TGID_Y_EN: 0
; COMPUTE_PGM_RSRC2:TGID_Z_EN: 0
; COMPUTE_PGM_RSRC2:TIDIG_COMP_CNT: 0
; COMPUTE_PGM_RSRC3_GFX90A:ACCUM_OFFSET: 0
; COMPUTE_PGM_RSRC3_GFX90A:TG_SPLIT: 0
	.section	.text._ZN7rocprim17ROCPRIM_400000_NS6detail17trampoline_kernelINS0_14default_configENS1_20scan_config_selectorIsEEZZNS1_9scan_implILNS1_25lookback_scan_determinismE0ELb1ELb1ES3_N6thrust23THRUST_200600_302600_NS6detail15normal_iteratorINS9_10device_ptrIsEEEENS9_16discard_iteratorINS9_11use_defaultEEEsNS9_4plusIvEEsEEDaPvRmT3_T4_T5_mT6_P12ihipStream_tbENKUlT_T0_E_clISt17integral_constantIbLb1EESW_IbLb0EEEEDaSS_ST_EUlSS_E_NS1_11comp_targetILNS1_3genE4ELNS1_11target_archE910ELNS1_3gpuE8ELNS1_3repE0EEENS1_30default_config_static_selectorELNS0_4arch9wavefront6targetE1EEEvT1_,"axG",@progbits,_ZN7rocprim17ROCPRIM_400000_NS6detail17trampoline_kernelINS0_14default_configENS1_20scan_config_selectorIsEEZZNS1_9scan_implILNS1_25lookback_scan_determinismE0ELb1ELb1ES3_N6thrust23THRUST_200600_302600_NS6detail15normal_iteratorINS9_10device_ptrIsEEEENS9_16discard_iteratorINS9_11use_defaultEEEsNS9_4plusIvEEsEEDaPvRmT3_T4_T5_mT6_P12ihipStream_tbENKUlT_T0_E_clISt17integral_constantIbLb1EESW_IbLb0EEEEDaSS_ST_EUlSS_E_NS1_11comp_targetILNS1_3genE4ELNS1_11target_archE910ELNS1_3gpuE8ELNS1_3repE0EEENS1_30default_config_static_selectorELNS0_4arch9wavefront6targetE1EEEvT1_,comdat
	.protected	_ZN7rocprim17ROCPRIM_400000_NS6detail17trampoline_kernelINS0_14default_configENS1_20scan_config_selectorIsEEZZNS1_9scan_implILNS1_25lookback_scan_determinismE0ELb1ELb1ES3_N6thrust23THRUST_200600_302600_NS6detail15normal_iteratorINS9_10device_ptrIsEEEENS9_16discard_iteratorINS9_11use_defaultEEEsNS9_4plusIvEEsEEDaPvRmT3_T4_T5_mT6_P12ihipStream_tbENKUlT_T0_E_clISt17integral_constantIbLb1EESW_IbLb0EEEEDaSS_ST_EUlSS_E_NS1_11comp_targetILNS1_3genE4ELNS1_11target_archE910ELNS1_3gpuE8ELNS1_3repE0EEENS1_30default_config_static_selectorELNS0_4arch9wavefront6targetE1EEEvT1_ ; -- Begin function _ZN7rocprim17ROCPRIM_400000_NS6detail17trampoline_kernelINS0_14default_configENS1_20scan_config_selectorIsEEZZNS1_9scan_implILNS1_25lookback_scan_determinismE0ELb1ELb1ES3_N6thrust23THRUST_200600_302600_NS6detail15normal_iteratorINS9_10device_ptrIsEEEENS9_16discard_iteratorINS9_11use_defaultEEEsNS9_4plusIvEEsEEDaPvRmT3_T4_T5_mT6_P12ihipStream_tbENKUlT_T0_E_clISt17integral_constantIbLb1EESW_IbLb0EEEEDaSS_ST_EUlSS_E_NS1_11comp_targetILNS1_3genE4ELNS1_11target_archE910ELNS1_3gpuE8ELNS1_3repE0EEENS1_30default_config_static_selectorELNS0_4arch9wavefront6targetE1EEEvT1_
	.globl	_ZN7rocprim17ROCPRIM_400000_NS6detail17trampoline_kernelINS0_14default_configENS1_20scan_config_selectorIsEEZZNS1_9scan_implILNS1_25lookback_scan_determinismE0ELb1ELb1ES3_N6thrust23THRUST_200600_302600_NS6detail15normal_iteratorINS9_10device_ptrIsEEEENS9_16discard_iteratorINS9_11use_defaultEEEsNS9_4plusIvEEsEEDaPvRmT3_T4_T5_mT6_P12ihipStream_tbENKUlT_T0_E_clISt17integral_constantIbLb1EESW_IbLb0EEEEDaSS_ST_EUlSS_E_NS1_11comp_targetILNS1_3genE4ELNS1_11target_archE910ELNS1_3gpuE8ELNS1_3repE0EEENS1_30default_config_static_selectorELNS0_4arch9wavefront6targetE1EEEvT1_
	.p2align	8
	.type	_ZN7rocprim17ROCPRIM_400000_NS6detail17trampoline_kernelINS0_14default_configENS1_20scan_config_selectorIsEEZZNS1_9scan_implILNS1_25lookback_scan_determinismE0ELb1ELb1ES3_N6thrust23THRUST_200600_302600_NS6detail15normal_iteratorINS9_10device_ptrIsEEEENS9_16discard_iteratorINS9_11use_defaultEEEsNS9_4plusIvEEsEEDaPvRmT3_T4_T5_mT6_P12ihipStream_tbENKUlT_T0_E_clISt17integral_constantIbLb1EESW_IbLb0EEEEDaSS_ST_EUlSS_E_NS1_11comp_targetILNS1_3genE4ELNS1_11target_archE910ELNS1_3gpuE8ELNS1_3repE0EEENS1_30default_config_static_selectorELNS0_4arch9wavefront6targetE1EEEvT1_,@function
_ZN7rocprim17ROCPRIM_400000_NS6detail17trampoline_kernelINS0_14default_configENS1_20scan_config_selectorIsEEZZNS1_9scan_implILNS1_25lookback_scan_determinismE0ELb1ELb1ES3_N6thrust23THRUST_200600_302600_NS6detail15normal_iteratorINS9_10device_ptrIsEEEENS9_16discard_iteratorINS9_11use_defaultEEEsNS9_4plusIvEEsEEDaPvRmT3_T4_T5_mT6_P12ihipStream_tbENKUlT_T0_E_clISt17integral_constantIbLb1EESW_IbLb0EEEEDaSS_ST_EUlSS_E_NS1_11comp_targetILNS1_3genE4ELNS1_11target_archE910ELNS1_3gpuE8ELNS1_3repE0EEENS1_30default_config_static_selectorELNS0_4arch9wavefront6targetE1EEEvT1_: ; @_ZN7rocprim17ROCPRIM_400000_NS6detail17trampoline_kernelINS0_14default_configENS1_20scan_config_selectorIsEEZZNS1_9scan_implILNS1_25lookback_scan_determinismE0ELb1ELb1ES3_N6thrust23THRUST_200600_302600_NS6detail15normal_iteratorINS9_10device_ptrIsEEEENS9_16discard_iteratorINS9_11use_defaultEEEsNS9_4plusIvEEsEEDaPvRmT3_T4_T5_mT6_P12ihipStream_tbENKUlT_T0_E_clISt17integral_constantIbLb1EESW_IbLb0EEEEDaSS_ST_EUlSS_E_NS1_11comp_targetILNS1_3genE4ELNS1_11target_archE910ELNS1_3gpuE8ELNS1_3repE0EEENS1_30default_config_static_selectorELNS0_4arch9wavefront6targetE1EEEvT1_
; %bb.0:
	s_load_dwordx4 s[0:3], s[4:5], 0x0
	s_load_dwordx2 s[8:9], s[4:5], 0x20
	s_load_dword s7, s[4:5], 0x38
	s_waitcnt lgkmcnt(0)
	s_lshl_b64 s[2:3], s[2:3], 1
	s_add_u32 s21, s0, s2
	s_addc_u32 s22, s1, s3
	s_add_i32 s2, s7, -1
	s_mul_i32 s3, s2, 0x600
	s_sub_u32 s7, s8, s3
	s_subb_u32 s20, s9, 0
	s_mul_i32 s0, s6, 0x600
	s_mov_b32 s1, 0
	s_cmp_lg_u32 s6, s2
	s_cselect_b64 s[16:17], -1, 0
	s_lshl_b64 s[0:1], s[0:1], 1
	s_add_u32 s0, s21, s0
	s_addc_u32 s1, s22, s1
	s_mov_b64 s[2:3], -1
	s_and_b64 vcc, exec, s[16:17]
	s_cbranch_vccz .LBB5980_2
; %bb.1:
	v_lshlrev_b32_e32 v1, 1, v0
	v_mov_b32_e32 v3, s1
	v_add_co_u32_e32 v2, vcc, s0, v1
	v_addc_co_u32_e32 v3, vcc, 0, v3, vcc
	flat_load_ushort v4, v[2:3]
	flat_load_ushort v5, v[2:3] offset:128
	flat_load_ushort v6, v[2:3] offset:256
	;; [unrolled: 1-line block ×23, first 2 shown]
	s_mov_b64 s[2:3], 0
	s_waitcnt vmcnt(0) lgkmcnt(0)
	ds_write_b16 v1, v4
	ds_write_b16 v1, v5 offset:128
	ds_write_b16 v1, v6 offset:256
	ds_write_b16 v1, v7 offset:384
	ds_write_b16 v1, v8 offset:512
	ds_write_b16 v1, v9 offset:640
	ds_write_b16 v1, v10 offset:768
	ds_write_b16 v1, v11 offset:896
	ds_write_b16 v1, v12 offset:1024
	ds_write_b16 v1, v13 offset:1152
	ds_write_b16 v1, v14 offset:1280
	ds_write_b16 v1, v15 offset:1408
	ds_write_b16 v1, v16 offset:1536
	ds_write_b16 v1, v17 offset:1664
	ds_write_b16 v1, v18 offset:1792
	ds_write_b16 v1, v19 offset:1920
	ds_write_b16 v1, v20 offset:2048
	ds_write_b16 v1, v21 offset:2176
	ds_write_b16 v1, v22 offset:2304
	ds_write_b16 v1, v23 offset:2432
	ds_write_b16 v1, v24 offset:2560
	ds_write_b16 v1, v25 offset:2688
	ds_write_b16 v1, v26 offset:2816
	ds_write_b16 v1, v27 offset:2944
	s_waitcnt lgkmcnt(0)
	; wave barrier
.LBB5980_2:
	s_load_dwordx2 s[18:19], s[4:5], 0x30
	s_andn2_b64 vcc, exec, s[2:3]
	s_cbranch_vccnz .LBB5980_52
; %bb.3:
	v_pk_mov_b32 v[2:3], s[0:1], s[0:1] op_sel:[0,1]
	flat_load_ushort v1, v[2:3]
	v_cmp_gt_u32_e32 vcc, s7, v0
	s_waitcnt vmcnt(0) lgkmcnt(0)
	v_mov_b32_e32 v2, v1
	s_and_saveexec_b64 s[2:3], vcc
	s_cbranch_execz .LBB5980_5
; %bb.4:
	v_lshlrev_b32_e32 v2, 1, v0
	v_mov_b32_e32 v3, s1
	v_add_co_u32_e32 v2, vcc, s0, v2
	v_addc_co_u32_e32 v3, vcc, 0, v3, vcc
	flat_load_ushort v2, v[2:3]
.LBB5980_5:
	s_or_b64 exec, exec, s[2:3]
	v_or_b32_e32 v3, 64, v0
	v_cmp_gt_u32_e32 vcc, s7, v3
	v_mov_b32_e32 v3, v1
	s_and_saveexec_b64 s[2:3], vcc
	s_cbranch_execz .LBB5980_7
; %bb.6:
	v_lshlrev_b32_e32 v3, 1, v0
	v_mov_b32_e32 v5, s1
	v_add_co_u32_e32 v4, vcc, s0, v3
	v_addc_co_u32_e32 v5, vcc, 0, v5, vcc
	flat_load_ushort v3, v[4:5] offset:128
.LBB5980_7:
	s_or_b64 exec, exec, s[2:3]
	v_or_b32_e32 v4, 0x80, v0
	v_cmp_gt_u32_e32 vcc, s7, v4
	v_mov_b32_e32 v4, v1
	s_and_saveexec_b64 s[2:3], vcc
	s_cbranch_execz .LBB5980_9
; %bb.8:
	v_lshlrev_b32_e32 v4, 1, v0
	v_mov_b32_e32 v5, s1
	v_add_co_u32_e32 v4, vcc, s0, v4
	v_addc_co_u32_e32 v5, vcc, 0, v5, vcc
	flat_load_ushort v4, v[4:5] offset:256
.LBB5980_9:
	;; [unrolled: 13-line block ×22, first 2 shown]
	s_or_b64 exec, exec, s[2:3]
	v_or_b32_e32 v25, 0x5c0, v0
	v_cmp_gt_u32_e32 vcc, s7, v25
	s_and_saveexec_b64 s[2:3], vcc
	s_cbranch_execz .LBB5980_51
; %bb.50:
	v_lshlrev_b32_e32 v1, 1, v0
	v_mov_b32_e32 v25, s1
	v_add_co_u32_e32 v26, vcc, s0, v1
	v_addc_co_u32_e32 v27, vcc, 0, v25, vcc
	flat_load_ushort v1, v[26:27] offset:2944
.LBB5980_51:
	s_or_b64 exec, exec, s[2:3]
	v_lshlrev_b32_e32 v25, 1, v0
	s_waitcnt vmcnt(0) lgkmcnt(0)
	ds_write_b16 v25, v2
	ds_write_b16 v25, v3 offset:128
	ds_write_b16 v25, v4 offset:256
	;; [unrolled: 1-line block ×23, first 2 shown]
	s_waitcnt lgkmcnt(0)
	; wave barrier
.LBB5980_52:
	v_mul_u32_u24_e32 v20, 24, v0
	v_lshlrev_b32_e32 v1, 1, v20
	s_waitcnt lgkmcnt(0)
	ds_read_b128 v[10:13], v1
	ds_read_b128 v[6:9], v1 offset:16
	ds_read_b128 v[2:5], v1 offset:32
	s_cmp_lg_u32 s6, 0
	v_mbcnt_lo_u32_b32 v21, -1, 0
	s_waitcnt lgkmcnt(2)
	v_add_u16_sdwa v14, v10, v10 dst_sel:DWORD dst_unused:UNUSED_PAD src0_sel:WORD_1 src1_sel:DWORD
	v_add_u16_e32 v22, v14, v11
	v_cmp_eq_u32_e32 vcc, 63, v0
	s_waitcnt lgkmcnt(0)
	; wave barrier
	s_waitcnt lgkmcnt(0)
	s_cbranch_scc0 .LBB5980_79
; %bb.53:
	v_add_u16_sdwa v14, v22, v11 dst_sel:DWORD dst_unused:UNUSED_PAD src0_sel:DWORD src1_sel:WORD_1
	v_add_u16_e32 v14, v14, v12
	v_add_u16_sdwa v14, v14, v12 dst_sel:DWORD dst_unused:UNUSED_PAD src0_sel:DWORD src1_sel:WORD_1
	v_add_u16_e32 v14, v14, v13
	;; [unrolled: 2-line block ×10, first 2 shown]
	v_mbcnt_hi_u32_b32 v15, -1, v21
	v_add_u16_sdwa v14, v14, v5 dst_sel:DWORD dst_unused:UNUSED_PAD src0_sel:DWORD src1_sel:WORD_1
	v_and_b32_e32 v16, 15, v15
	v_cmp_ne_u32_e64 s[0:1], 0, v16
	v_mov_b32_dpp v17, v14 row_shr:1 row_mask:0xf bank_mask:0xf
	v_cndmask_b32_e64 v17, 0, v17, s[0:1]
	v_add_u16_e32 v14, v17, v14
	v_cmp_lt_u32_e64 s[0:1], 1, v16
	s_nop 0
	v_mov_b32_dpp v17, v14 row_shr:2 row_mask:0xf bank_mask:0xf
	v_cndmask_b32_e64 v17, 0, v17, s[0:1]
	v_add_u16_e32 v14, v14, v17
	v_cmp_lt_u32_e64 s[0:1], 3, v16
	s_nop 0
	v_mov_b32_dpp v17, v14 row_shr:4 row_mask:0xf bank_mask:0xf
	v_cndmask_b32_e64 v17, 0, v17, s[0:1]
	v_add_u16_e32 v14, v14, v17
	v_cmp_lt_u32_e64 s[0:1], 7, v16
	s_nop 0
	v_mov_b32_dpp v17, v14 row_shr:8 row_mask:0xf bank_mask:0xf
	v_cndmask_b32_e64 v16, 0, v17, s[0:1]
	v_add_u16_e32 v14, v14, v16
	v_and_b32_e32 v17, 16, v15
	v_cmp_ne_u32_e64 s[0:1], 0, v17
	v_mov_b32_dpp v16, v14 row_bcast:15 row_mask:0xf bank_mask:0xf
	v_cndmask_b32_e64 v16, 0, v16, s[0:1]
	v_add_u16_e32 v14, v14, v16
	v_cmp_lt_u32_e64 s[0:1], 31, v15
	s_nop 0
	v_mov_b32_dpp v16, v14 row_bcast:31 row_mask:0xf bank_mask:0xf
	v_cndmask_b32_e64 v16, 0, v16, s[0:1]
	v_add_u16_e32 v14, v14, v16
	s_and_saveexec_b64 s[0:1], vcc
	s_cbranch_execz .LBB5980_55
; %bb.54:
	v_mov_b32_e32 v16, 0
	ds_write_b16 v16, v14
.LBB5980_55:
	s_or_b64 exec, exec, s[0:1]
	v_add_u32_e32 v16, -1, v15
	v_and_b32_e32 v17, 64, v15
	v_cmp_lt_i32_e32 vcc, v16, v17
	v_cndmask_b32_e32 v16, v16, v15, vcc
	v_lshlrev_b32_e32 v16, 2, v16
	ds_bpermute_b32 v23, v16, v14
	v_cmp_gt_u32_e32 vcc, 64, v0
	s_waitcnt lgkmcnt(0)
	; wave barrier
	s_waitcnt lgkmcnt(0)
	s_and_saveexec_b64 s[10:11], vcc
	s_cbranch_execz .LBB5980_78
; %bb.56:
	v_mov_b32_e32 v19, 0
	ds_read_u16 v24, v19
	s_mov_b32 s9, 0
	v_cmp_eq_u32_e64 s[0:1], 0, v15
	s_and_saveexec_b64 s[2:3], s[0:1]
	s_cbranch_execz .LBB5980_58
; %bb.57:
	s_add_i32 s8, s6, 64
	s_lshl_b64 s[8:9], s[8:9], 2
	s_add_u32 s8, s18, s8
	s_waitcnt lgkmcnt(0)
	v_or_b32_e32 v14, 0x10000, v24
	s_addc_u32 s9, s19, s9
	global_store_dword v19, v14, s[8:9]
.LBB5980_58:
	s_or_b64 exec, exec, s[2:3]
	v_xad_u32 v14, v15, -1, s6
	v_add_u32_e32 v18, 64, v14
	v_lshlrev_b64 v[16:17], 2, v[18:19]
	v_mov_b32_e32 v18, s19
	v_add_co_u32_e32 v16, vcc, s18, v16
	v_addc_co_u32_e32 v17, vcc, v18, v17, vcc
	global_load_dword v18, v[16:17], off glc
	s_waitcnt vmcnt(0)
	v_lshrrev_b32_e32 v28, 16, v18
	v_cmp_eq_u16_sdwa s[8:9], v28, v19 src0_sel:BYTE_0 src1_sel:DWORD
	s_and_saveexec_b64 s[2:3], s[8:9]
	s_cbranch_execz .LBB5980_64
; %bb.59:
	s_mov_b32 s12, 1
	s_mov_b64 s[8:9], 0
	v_mov_b32_e32 v19, 0
.LBB5980_60:                            ; =>This Loop Header: Depth=1
                                        ;     Child Loop BB5980_61 Depth 2
	s_max_u32 s13, s12, 1
.LBB5980_61:                            ;   Parent Loop BB5980_60 Depth=1
                                        ; =>  This Inner Loop Header: Depth=2
	s_add_i32 s13, s13, -1
	s_cmp_eq_u32 s13, 0
	s_sleep 1
	s_cbranch_scc0 .LBB5980_61
; %bb.62:                               ;   in Loop: Header=BB5980_60 Depth=1
	global_load_dword v18, v[16:17], off glc
	s_cmp_lt_u32 s12, 32
	s_cselect_b64 s[14:15], -1, 0
	s_cmp_lg_u64 s[14:15], 0
	s_addc_u32 s12, s12, 0
	s_waitcnt vmcnt(0)
	v_lshrrev_b32_e32 v28, 16, v18
	v_cmp_ne_u16_sdwa s[14:15], v28, v19 src0_sel:BYTE_0 src1_sel:DWORD
	s_or_b64 s[8:9], s[14:15], s[8:9]
	s_andn2_b64 exec, exec, s[8:9]
	s_cbranch_execnz .LBB5980_60
; %bb.63:
	s_or_b64 exec, exec, s[8:9]
.LBB5980_64:
	s_or_b64 exec, exec, s[2:3]
	v_and_b32_e32 v26, 63, v15
	v_cmp_ne_u32_e32 vcc, 63, v26
	v_mov_b32_e32 v25, 2
	v_addc_co_u32_e32 v27, vcc, 0, v15, vcc
	v_cmp_eq_u16_sdwa s[2:3], v28, v25 src0_sel:BYTE_0 src1_sel:DWORD
	v_lshlrev_b64 v[16:17], v15, -1
	v_and_b32_e32 v30, 0xffff, v18
	v_lshlrev_b32_e32 v27, 2, v27
	v_and_b32_e32 v19, s3, v17
	ds_bpermute_b32 v31, v27, v30
	v_or_b32_e32 v19, 0x80000000, v19
	v_and_b32_e32 v29, s2, v16
	v_ffbl_b32_e32 v19, v19
	v_add_u32_e32 v19, 32, v19
	v_ffbl_b32_e32 v29, v29
	v_cmp_gt_u32_e64 s[2:3], 62, v26
	v_min_u32_e32 v19, v29, v19
	v_cndmask_b32_e64 v29, 0, 1, s[2:3]
	s_waitcnt lgkmcnt(0)
	v_add_u16_e32 v31, v31, v18
	v_cmp_lt_u32_e32 vcc, v26, v19
	v_lshlrev_b32_e32 v29, 1, v29
	v_cndmask_b32_e32 v32, v30, v31, vcc
	v_add_lshl_u32 v29, v29, v15, 2
	ds_bpermute_b32 v33, v29, v32
	v_cmp_gt_u32_e64 s[8:9], 60, v26
	v_cndmask_b32_e32 v34, v18, v31, vcc
	v_add_u32_e32 v30, 2, v26
	v_cndmask_b32_e64 v31, 0, 1, s[8:9]
	s_waitcnt lgkmcnt(0)
	v_add_u16_e32 v33, v34, v33
	v_cmp_gt_u32_e64 s[2:3], v30, v19
	v_lshlrev_b32_e32 v31, 2, v31
	v_cndmask_b32_e64 v35, v33, v32, s[2:3]
	v_add_lshl_u32 v31, v31, v15, 2
	ds_bpermute_b32 v36, v31, v35
	v_cmp_gt_u32_e64 s[8:9], 56, v26
	v_cndmask_b32_e64 v34, v33, v34, s[2:3]
	v_add_u32_e32 v32, 4, v26
	v_cndmask_b32_e64 v33, 0, 1, s[8:9]
	s_waitcnt lgkmcnt(0)
	v_add_u16_e32 v36, v34, v36
	v_cmp_gt_u32_e64 s[2:3], v32, v19
	v_lshlrev_b32_e32 v33, 3, v33
	v_cndmask_b32_e64 v35, v36, v35, s[2:3]
	v_add_lshl_u32 v33, v33, v15, 2
	ds_bpermute_b32 v37, v33, v35
	v_cndmask_b32_e64 v36, v36, v34, s[2:3]
	v_add_u32_e32 v34, 8, v26
	v_cmp_gt_u32_e64 s[2:3], v34, v19
	v_cmp_gt_u32_e64 s[8:9], 48, v26
	s_waitcnt lgkmcnt(0)
	v_add_u16_e32 v37, v36, v37
	v_cndmask_b32_e64 v38, v37, v35, s[2:3]
	v_cndmask_b32_e64 v35, 0, 1, s[8:9]
	v_lshlrev_b32_e32 v35, 4, v35
	v_add_lshl_u32 v35, v35, v15, 2
	ds_bpermute_b32 v39, v35, v38
	v_cndmask_b32_e64 v37, v37, v36, s[2:3]
	v_add_u32_e32 v36, 16, v26
	v_cmp_gt_u32_e64 s[2:3], v36, v19
	v_cmp_gt_u32_e64 s[8:9], 32, v26
	s_waitcnt lgkmcnt(0)
	v_add_u16_e32 v40, v37, v39
	v_cndmask_b32_e64 v39, v40, v38, s[2:3]
	v_cndmask_b32_e64 v38, 0, 1, s[8:9]
	v_lshlrev_b32_e32 v38, 5, v38
	v_add_lshl_u32 v38, v38, v15, 2
	ds_bpermute_b32 v15, v38, v39
	v_add_u32_e32 v39, 32, v26
	v_cndmask_b32_e64 v37, v40, v37, s[2:3]
	v_cmp_le_u32_e64 s[2:3], v39, v19
	s_waitcnt lgkmcnt(0)
	v_cndmask_b32_e64 v15, 0, v15, s[2:3]
	v_add_u16_e32 v15, v37, v15
	v_cndmask_b32_e32 v18, v18, v15, vcc
	v_mov_b32_e32 v15, 0
	s_branch .LBB5980_66
.LBB5980_65:                            ;   in Loop: Header=BB5980_66 Depth=1
	s_or_b64 exec, exec, s[2:3]
	v_cmp_eq_u16_sdwa s[2:3], v28, v25 src0_sel:BYTE_0 src1_sel:DWORD
	v_and_b32_e32 v41, 0xffff, v40
	v_and_b32_e32 v18, s3, v17
	ds_bpermute_b32 v42, v27, v41
	v_or_b32_e32 v18, 0x80000000, v18
	v_and_b32_e32 v19, s2, v16
	v_ffbl_b32_e32 v18, v18
	v_add_u32_e32 v18, 32, v18
	v_ffbl_b32_e32 v19, v19
	v_min_u32_e32 v18, v19, v18
	s_waitcnt lgkmcnt(0)
	v_add_u16_e32 v19, v42, v40
	v_cmp_lt_u32_e32 vcc, v26, v18
	v_cndmask_b32_e32 v41, v41, v19, vcc
	ds_bpermute_b32 v42, v29, v41
	v_cndmask_b32_e32 v19, v40, v19, vcc
	v_cmp_gt_u32_e64 s[2:3], v30, v18
	v_subrev_u32_e32 v14, 64, v14
	s_waitcnt lgkmcnt(0)
	v_add_u16_e32 v42, v19, v42
	v_cndmask_b32_e64 v41, v42, v41, s[2:3]
	ds_bpermute_b32 v43, v31, v41
	v_cndmask_b32_e64 v19, v42, v19, s[2:3]
	v_cmp_gt_u32_e64 s[2:3], v32, v18
	s_waitcnt lgkmcnt(0)
	v_add_u16_e32 v42, v19, v43
	v_cndmask_b32_e64 v41, v42, v41, s[2:3]
	ds_bpermute_b32 v43, v33, v41
	v_cndmask_b32_e64 v19, v42, v19, s[2:3]
	v_cmp_gt_u32_e64 s[2:3], v34, v18
	;; [unrolled: 6-line block ×3, first 2 shown]
	s_waitcnt lgkmcnt(0)
	v_add_u16_e32 v42, v19, v43
	v_cndmask_b32_e64 v41, v42, v41, s[2:3]
	ds_bpermute_b32 v41, v38, v41
	v_cndmask_b32_e64 v19, v42, v19, s[2:3]
	v_cmp_le_u32_e64 s[2:3], v39, v18
	s_waitcnt lgkmcnt(0)
	v_cndmask_b32_e64 v18, 0, v41, s[2:3]
	v_add_u16_e32 v18, v19, v18
	v_cndmask_b32_e32 v18, v40, v18, vcc
	v_add_u16_e32 v18, v18, v37
.LBB5980_66:                            ; =>This Loop Header: Depth=1
                                        ;     Child Loop BB5980_69 Depth 2
                                        ;       Child Loop BB5980_70 Depth 3
	v_cmp_ne_u16_sdwa s[2:3], v28, v25 src0_sel:BYTE_0 src1_sel:DWORD
	v_cndmask_b32_e64 v19, 0, 1, s[2:3]
	;;#ASMSTART
	;;#ASMEND
	v_cmp_ne_u32_e32 vcc, 0, v19
	s_cmp_lg_u64 vcc, exec
	v_mov_b32_e32 v37, v18
	s_cbranch_scc1 .LBB5980_73
; %bb.67:                               ;   in Loop: Header=BB5980_66 Depth=1
	v_lshlrev_b64 v[18:19], 2, v[14:15]
	v_mov_b32_e32 v28, s19
	v_add_co_u32_e32 v18, vcc, s18, v18
	v_addc_co_u32_e32 v19, vcc, v28, v19, vcc
	global_load_dword v40, v[18:19], off glc
	s_waitcnt vmcnt(0)
	v_lshrrev_b32_e32 v28, 16, v40
	v_cmp_eq_u16_sdwa s[8:9], v28, v15 src0_sel:BYTE_0 src1_sel:DWORD
	s_and_saveexec_b64 s[2:3], s[8:9]
	s_cbranch_execz .LBB5980_65
; %bb.68:                               ;   in Loop: Header=BB5980_66 Depth=1
	s_mov_b32 s12, 1
	s_mov_b64 s[8:9], 0
.LBB5980_69:                            ;   Parent Loop BB5980_66 Depth=1
                                        ; =>  This Loop Header: Depth=2
                                        ;       Child Loop BB5980_70 Depth 3
	s_max_u32 s13, s12, 1
.LBB5980_70:                            ;   Parent Loop BB5980_66 Depth=1
                                        ;     Parent Loop BB5980_69 Depth=2
                                        ; =>    This Inner Loop Header: Depth=3
	s_add_i32 s13, s13, -1
	s_cmp_eq_u32 s13, 0
	s_sleep 1
	s_cbranch_scc0 .LBB5980_70
; %bb.71:                               ;   in Loop: Header=BB5980_69 Depth=2
	global_load_dword v40, v[18:19], off glc
	s_cmp_lt_u32 s12, 32
	s_cselect_b64 s[14:15], -1, 0
	s_cmp_lg_u64 s[14:15], 0
	s_addc_u32 s12, s12, 0
	s_waitcnt vmcnt(0)
	v_lshrrev_b32_e32 v28, 16, v40
	v_cmp_ne_u16_sdwa s[14:15], v28, v15 src0_sel:BYTE_0 src1_sel:DWORD
	s_or_b64 s[8:9], s[14:15], s[8:9]
	s_andn2_b64 exec, exec, s[8:9]
	s_cbranch_execnz .LBB5980_69
; %bb.72:                               ;   in Loop: Header=BB5980_66 Depth=1
	s_or_b64 exec, exec, s[8:9]
	s_branch .LBB5980_65
.LBB5980_73:                            ;   in Loop: Header=BB5980_66 Depth=1
                                        ; implicit-def: $vgpr18
                                        ; implicit-def: $vgpr28
	s_cbranch_execz .LBB5980_66
; %bb.74:
	s_and_saveexec_b64 s[2:3], s[0:1]
	s_cbranch_execz .LBB5980_76
; %bb.75:
	s_add_i32 s0, s6, 64
	s_mov_b32 s1, 0
	s_lshl_b64 s[0:1], s[0:1], 2
	v_add_u16_e32 v14, v37, v24
	s_add_u32 s0, s18, s0
	v_or_b32_e32 v14, 0x20000, v14
	s_addc_u32 s1, s19, s1
	v_mov_b32_e32 v15, 0
	global_store_dword v15, v14, s[0:1]
.LBB5980_76:
	s_or_b64 exec, exec, s[2:3]
	v_cmp_eq_u32_e32 vcc, 0, v0
	s_and_b64 exec, exec, vcc
	s_cbranch_execz .LBB5980_78
; %bb.77:
	v_mov_b32_e32 v14, 0
	ds_write_b16 v14, v37
.LBB5980_78:
	s_or_b64 exec, exec, s[10:11]
	v_mov_b32_e32 v14, 0
	s_waitcnt lgkmcnt(0)
	; wave barrier
	s_waitcnt lgkmcnt(0)
	ds_read_u16 v14, v14
	v_cmp_ne_u32_e32 vcc, 0, v0
	v_cndmask_b32_e32 v15, 0, v23, vcc
	s_waitcnt lgkmcnt(0)
	v_add_u16_e32 v15, v14, v15
	s_load_dwordx8 s[8:15], s[4:5], 0x40
	s_branch .LBB5980_87
.LBB5980_79:
                                        ; implicit-def: $vgpr15
	s_load_dwordx8 s[8:15], s[4:5], 0x40
	s_cbranch_execz .LBB5980_87
; %bb.80:
	s_load_dword s0, s[4:5], 0x28
	s_waitcnt lgkmcnt(0)
	s_cmp_eq_u64 s[12:13], 0
	v_mov_b32_e32 v14, s0
	s_cbranch_scc1 .LBB5980_82
; %bb.81:
	v_mov_b32_e32 v15, s22
	v_add_co_u32_e64 v14, vcc, -2, s21
	v_addc_co_u32_e32 v15, vcc, -1, v15, vcc
	v_mov_b32_e32 v16, 0
	flat_load_ushort v17, v[14:15]
	global_load_ushort v18, v16, s[8:9]
	s_waitcnt vmcnt(0) lgkmcnt(0)
	v_add_u16_e32 v14, v18, v17
.LBB5980_82:
	v_add_u16_sdwa v15, v22, v11 dst_sel:DWORD dst_unused:UNUSED_PAD src0_sel:DWORD src1_sel:WORD_1
	v_add_u16_e32 v15, v15, v12
	v_add_u16_sdwa v15, v15, v12 dst_sel:DWORD dst_unused:UNUSED_PAD src0_sel:DWORD src1_sel:WORD_1
	v_add_u16_e32 v15, v15, v13
	;; [unrolled: 2-line block ×10, first 2 shown]
	v_add_u16_sdwa v16, v15, v5 dst_sel:DWORD dst_unused:UNUSED_PAD src0_sel:DWORD src1_sel:WORD_1
	v_mbcnt_hi_u32_b32 v15, -1, v21
	v_and_b32_e32 v17, 15, v15
	v_mov_b32_dpp v18, v16 row_shr:1 row_mask:0xf bank_mask:0xf
	v_cmp_ne_u32_e32 vcc, 0, v17
	v_cndmask_b32_e32 v18, 0, v18, vcc
	v_add_u16_e32 v16, v18, v16
	v_cmp_lt_u32_e32 vcc, 1, v17
	s_nop 0
	v_mov_b32_dpp v18, v16 row_shr:2 row_mask:0xf bank_mask:0xf
	v_cndmask_b32_e32 v18, 0, v18, vcc
	v_add_u16_e32 v16, v16, v18
	v_cmp_lt_u32_e32 vcc, 3, v17
	s_nop 0
	v_mov_b32_dpp v18, v16 row_shr:4 row_mask:0xf bank_mask:0xf
	;; [unrolled: 5-line block ×3, first 2 shown]
	v_cndmask_b32_e32 v17, 0, v18, vcc
	v_add_u16_e32 v16, v16, v17
	v_and_b32_e32 v18, 16, v15
	v_cmp_ne_u32_e32 vcc, 0, v18
	v_mov_b32_dpp v17, v16 row_bcast:15 row_mask:0xf bank_mask:0xf
	v_cndmask_b32_e32 v17, 0, v17, vcc
	v_add_u16_e32 v16, v16, v17
	v_cmp_lt_u32_e32 vcc, 31, v15
	s_nop 0
	v_mov_b32_dpp v17, v16 row_bcast:31 row_mask:0xf bank_mask:0xf
	v_cndmask_b32_e32 v17, 0, v17, vcc
	v_add_u16_e32 v16, v16, v17
	v_cmp_eq_u32_e32 vcc, 63, v0
	s_and_saveexec_b64 s[0:1], vcc
	s_cbranch_execz .LBB5980_84
; %bb.83:
	v_mov_b32_e32 v17, 0
	ds_write_b16 v17, v16
.LBB5980_84:
	s_or_b64 exec, exec, s[0:1]
	v_add_u32_e32 v17, -1, v15
	v_and_b32_e32 v18, 64, v15
	v_cmp_lt_i32_e32 vcc, v17, v18
	v_cndmask_b32_e32 v17, v17, v15, vcc
	v_add_u16_e32 v16, v16, v14
	v_lshlrev_b32_e32 v17, 2, v17
	ds_bpermute_b32 v16, v17, v16
	v_cmp_eq_u32_e32 vcc, 0, v15
	v_cmp_eq_u32_e64 s[0:1], 0, v0
	s_or_b64 vcc, s[0:1], vcc
	s_waitcnt lgkmcnt(0)
	v_cndmask_b32_e32 v15, v16, v14, vcc
	; wave barrier
	s_and_saveexec_b64 s[2:3], s[0:1]
	s_cbranch_execz .LBB5980_86
; %bb.85:
	v_mov_b32_e32 v15, 0
	ds_read_u16 v16, v15
	s_waitcnt lgkmcnt(0)
	v_add_u16_e32 v16, v16, v14
	v_or_b32_e32 v16, 0x20000, v16
	global_store_dword v15, v16, s[18:19] offset:256
	v_mov_b32_e32 v15, v14
.LBB5980_86:
	s_or_b64 exec, exec, s[2:3]
.LBB5980_87:
	v_add_u16_e32 v14, v15, v10
	v_add_u16_sdwa v10, v14, v10 dst_sel:DWORD dst_unused:UNUSED_PAD src0_sel:DWORD src1_sel:WORD_1
	v_add_u16_e32 v16, v10, v11
	v_add_u16_sdwa v11, v16, v11 dst_sel:DWORD dst_unused:UNUSED_PAD src0_sel:DWORD src1_sel:WORD_1
	;; [unrolled: 2-line block ×11, first 2 shown]
	s_mov_b32 s0, 0x5040100
	v_add_u16_e32 v30, v29, v5
	v_perm_b32 v3, v16, v10, s0
	v_perm_b32 v4, v17, v11, s0
	;; [unrolled: 1-line block ×4, first 2 shown]
	s_waitcnt lgkmcnt(0)
	; wave barrier
	s_waitcnt lgkmcnt(0)
	ds_write_b128 v1, v[2:5]
	v_perm_b32 v2, v19, v13, s0
	v_perm_b32 v3, v21, v6, s0
	;; [unrolled: 1-line block ×4, first 2 shown]
	ds_write_b128 v1, v[2:5] offset:16
	v_perm_b32 v2, v24, v9, s0
	v_perm_b32 v3, v26, v25, s0
	;; [unrolled: 1-line block ×4, first 2 shown]
	s_mov_b64 s[0:1], -1
	s_and_b64 vcc, exec, s[16:17]
	ds_write_b128 v1, v[2:5] offset:32
	s_waitcnt lgkmcnt(0)
	s_cbranch_vccz .LBB5980_89
; %bb.88:
	; wave barrier
	s_mov_b64 s[0:1], 0
.LBB5980_89:
	s_andn2_b64 vcc, exec, s[0:1]
	s_cbranch_vccnz .LBB5980_98
; %bb.90:
	v_cmp_lt_u64_e64 s[0:1], s[14:15], 2
	s_and_b64 vcc, exec, s[0:1]
	; wave barrier
	s_cbranch_vccnz .LBB5980_98
; %bb.91:
	s_add_u32 s0, s7, -1
	s_addc_u32 s1, s20, -1
	s_add_u32 s2, 0, 0xaaaa0000
	s_addc_u32 s3, 0, 42
	s_add_i32 s3, s3, 0xaaaaa80
	s_mul_hi_u32 s7, s2, 0xffffffe8
	s_sub_i32 s7, s7, s2
	s_mul_i32 s8, s3, 0xffffffe8
	s_mul_i32 s4, s2, 0xffffffe8
	s_add_i32 s7, s7, s8
	s_mul_hi_u32 s5, s3, s4
	s_mul_i32 s6, s3, s4
	s_mul_i32 s9, s2, s7
	s_mul_hi_u32 s4, s2, s4
	s_mul_hi_u32 s8, s2, s7
	s_add_u32 s4, s4, s9
	s_addc_u32 s8, 0, s8
	s_add_u32 s4, s4, s6
	s_mul_hi_u32 s9, s3, s7
	s_addc_u32 s4, s8, s5
	s_addc_u32 s5, s9, 0
	s_mul_i32 s6, s3, s7
	s_add_u32 s4, s4, s6
	v_mov_b32_e32 v2, s4
	s_addc_u32 s5, 0, s5
	v_add_co_u32_e32 v2, vcc, s2, v2
	s_cmp_lg_u64 vcc, 0
	s_addc_u32 s2, s3, s5
	v_readfirstlane_b32 s5, v2
	s_mul_i32 s4, s0, s2
	s_mul_hi_u32 s6, s0, s5
	s_mul_hi_u32 s3, s0, s2
	s_add_u32 s4, s6, s4
	s_addc_u32 s3, 0, s3
	s_mul_hi_u32 s7, s1, s5
	s_mul_i32 s5, s1, s5
	s_add_u32 s4, s4, s5
	s_mul_hi_u32 s6, s1, s2
	s_addc_u32 s3, s3, s7
	s_addc_u32 s4, s6, 0
	s_mul_i32 s2, s1, s2
	s_add_u32 s2, s3, s2
	s_addc_u32 s3, 0, s4
	s_add_u32 s4, s2, 1
	s_addc_u32 s5, s3, 0
	s_add_u32 s6, s2, 2
	s_mul_i32 s8, s3, 24
	s_mul_hi_u32 s9, s2, 24
	s_addc_u32 s7, s3, 0
	s_add_i32 s9, s9, s8
	s_mul_i32 s8, s2, 24
	v_mov_b32_e32 v2, s8
	v_sub_co_u32_e32 v2, vcc, s0, v2
	s_cmp_lg_u64 vcc, 0
	s_subb_u32 s8, s1, s9
	v_subrev_co_u32_e32 v3, vcc, 24, v2
	s_cmp_lg_u64 vcc, 0
	s_subb_u32 s9, s8, 0
	v_readfirstlane_b32 s12, v3
	s_cmp_gt_u32 s12, 23
	s_cselect_b32 s12, -1, 0
	s_cmp_eq_u32 s9, 0
	s_cselect_b32 s9, s12, -1
	s_cmp_lg_u32 s9, 0
	s_cselect_b32 s4, s6, s4
	v_readfirstlane_b32 s6, v2
	s_cselect_b32 s5, s7, s5
	s_cmp_gt_u32 s6, 23
	s_cselect_b32 s6, -1, 0
	s_cmp_eq_u32 s8, 0
	s_cselect_b32 s6, s6, -1
	s_cmp_lg_u32 s6, 0
	v_mov_b32_e32 v1, 0
	s_cselect_b32 s3, s5, s3
	s_cselect_b32 s2, s4, s2
	v_cmp_eq_u64_e32 vcc, s[2:3], v[0:1]
	s_and_saveexec_b64 s[2:3], vcc
	s_cbranch_execz .LBB5980_98
; %bb.92:
	v_lshlrev_b32_e32 v2, 1, v0
	v_mul_hi_u32_u24_e32 v1, 24, v0
	v_mov_b32_e32 v3, s1
	v_sub_co_u32_e32 v0, vcc, s0, v20
	v_subb_co_u32_e32 v1, vcc, v3, v1, vcc
	v_cmp_lt_i64_e32 vcc, 11, v[0:1]
	s_mov_b64 s[0:1], 0
	s_mov_b64 s[8:9], 0
	;; [unrolled: 1-line block ×4, first 2 shown]
                                        ; implicit-def: $vgpr3
                                        ; implicit-def: $vgpr4
                                        ; implicit-def: $vgpr5
	s_and_saveexec_b64 s[2:3], vcc
	s_xor_b64 s[2:3], exec, s[2:3]
	s_cbranch_execnz .LBB5980_99
; %bb.93:
	s_andn2_saveexec_b64 s[2:3], s[2:3]
	s_cbranch_execnz .LBB5980_144
.LBB5980_94:
	s_or_b64 exec, exec, s[2:3]
	s_and_saveexec_b64 s[2:3], s[8:9]
	s_cbranch_execnz .LBB5980_161
.LBB5980_95:
	s_or_b64 exec, exec, s[2:3]
	s_and_saveexec_b64 s[2:3], s[6:7]
	s_cbranch_execnz .LBB5980_162
.LBB5980_96:
	s_or_b64 exec, exec, s[2:3]
	s_and_saveexec_b64 s[2:3], s[4:5]
	s_xor_b64 s[2:3], exec, s[2:3]
	s_cbranch_execnz .LBB5980_163
.LBB5980_97:
	s_or_b64 exec, exec, s[2:3]
	s_and_b64 exec, exec, s[0:1]
	s_cbranch_execnz .LBB5980_164
.LBB5980_98:
	s_endpgm
.LBB5980_99:
	v_cmp_lt_i64_e32 vcc, 17, v[0:1]
                                        ; implicit-def: $vgpr3
                                        ; implicit-def: $vgpr4
                                        ; implicit-def: $vgpr5
	s_and_saveexec_b64 s[12:13], vcc
	s_xor_b64 s[12:13], exec, s[12:13]
	s_cbranch_execz .LBB5980_121
; %bb.100:
	v_cmp_lt_i64_e32 vcc, 20, v[0:1]
                                        ; implicit-def: $vgpr3
                                        ; implicit-def: $vgpr4
	s_and_saveexec_b64 s[14:15], vcc
	s_xor_b64 s[14:15], exec, s[14:15]
	s_cbranch_execz .LBB5980_110
; %bb.101:
	v_cmp_lt_i64_e32 vcc, 21, v[0:1]
	s_mov_b64 s[16:17], 0
                                        ; implicit-def: $vgpr3
	s_and_saveexec_b64 s[4:5], vcc
	s_xor_b64 s[4:5], exec, s[4:5]
	s_cbranch_execz .LBB5980_107
; %bb.102:
	v_cmp_lt_i64_e32 vcc, 22, v[0:1]
	s_and_saveexec_b64 s[16:17], vcc
	s_xor_b64 s[16:17], exec, s[16:17]
	s_cbranch_execz .LBB5980_104
; %bb.103:
	ds_read_u16 v3, v2 offset:2944
	v_mov_b32_e32 v4, 0
	s_waitcnt lgkmcnt(0)
	global_store_short v4, v3, s[10:11]
.LBB5980_104:
	s_or_saveexec_b64 s[16:17], s[16:17]
	s_mov_b64 s[18:19], 0
                                        ; implicit-def: $vgpr3
	s_xor_b64 exec, exec, s[16:17]
	s_cbranch_execz .LBB5980_106
; %bb.105:
	ds_read_u16 v3, v2 offset:2816
	s_mov_b64 s[18:19], exec
.LBB5980_106:
	s_or_b64 exec, exec, s[16:17]
	s_and_b64 s[16:17], s[18:19], exec
.LBB5980_107:
	s_or_saveexec_b64 s[4:5], s[4:5]
                                        ; implicit-def: $vgpr4
	s_xor_b64 exec, exec, s[4:5]
	s_cbranch_execz .LBB5980_109
; %bb.108:
	ds_read_u16 v4, v2 offset:2688
	s_mov_b64 s[6:7], exec
                                        ; implicit-def: $vgpr3
.LBB5980_109:
	s_or_b64 exec, exec, s[4:5]
	s_and_b64 s[4:5], s[16:17], exec
	s_and_b64 s[6:7], s[6:7], exec
.LBB5980_110:
	s_or_saveexec_b64 s[14:15], s[14:15]
                                        ; implicit-def: $vgpr5
	s_xor_b64 exec, exec, s[14:15]
	s_cbranch_execz .LBB5980_120
; %bb.111:
	v_cmp_lt_i64_e32 vcc, 18, v[0:1]
	s_mov_b64 s[16:17], 0
                                        ; implicit-def: $vgpr5
	s_and_saveexec_b64 s[8:9], vcc
	s_xor_b64 s[8:9], exec, s[8:9]
	s_cbranch_execz .LBB5980_117
; %bb.112:
	v_cmp_lt_i64_e32 vcc, 19, v[0:1]
                                        ; implicit-def: $vgpr5
	s_and_saveexec_b64 s[18:19], vcc
	s_xor_b64 s[18:19], exec, s[18:19]
	s_cbranch_execz .LBB5980_114
; %bb.113:
	ds_read_u16 v5, v2 offset:2560
	s_mov_b64 s[16:17], exec
.LBB5980_114:
	s_andn2_saveexec_b64 s[18:19], s[18:19]
	s_cbranch_execz .LBB5980_116
; %bb.115:
	s_waitcnt lgkmcnt(0)
	ds_read_u16 v3, v2 offset:2432
	v_mov_b32_e32 v4, 0
                                        ; implicit-def: $vgpr5
	s_waitcnt lgkmcnt(0)
	global_store_short v4, v3, s[10:11]
.LBB5980_116:
	s_or_b64 exec, exec, s[18:19]
	s_and_b64 s[16:17], s[16:17], exec
.LBB5980_117:
	s_andn2_saveexec_b64 s[8:9], s[8:9]
	s_cbranch_execz .LBB5980_119
; %bb.118:
	s_waitcnt lgkmcnt(0)
	ds_read_u16 v3, v2 offset:2304
	v_mov_b32_e32 v4, 0
                                        ; implicit-def: $vgpr5
	s_waitcnt lgkmcnt(0)
	global_store_short v4, v3, s[10:11]
.LBB5980_119:
	s_or_b64 exec, exec, s[8:9]
	s_and_b64 s[8:9], s[16:17], exec
                                        ; implicit-def: $vgpr3
                                        ; implicit-def: $vgpr4
.LBB5980_120:
	s_or_b64 exec, exec, s[14:15]
	s_and_b64 s[4:5], s[4:5], exec
	s_and_b64 s[6:7], s[6:7], exec
	;; [unrolled: 1-line block ×3, first 2 shown]
.LBB5980_121:
	s_andn2_saveexec_b64 s[12:13], s[12:13]
	s_cbranch_execz .LBB5980_143
; %bb.122:
	v_cmp_lt_i64_e32 vcc, 14, v[0:1]
	s_mov_b64 s[14:15], s[4:5]
                                        ; implicit-def: $vgpr3
	s_and_saveexec_b64 s[16:17], vcc
	s_xor_b64 s[16:17], exec, s[16:17]
	s_cbranch_execz .LBB5980_132
; %bb.123:
	v_cmp_lt_i64_e32 vcc, 15, v[0:1]
	s_and_saveexec_b64 s[14:15], vcc
	s_xor_b64 s[14:15], exec, s[14:15]
	s_cbranch_execz .LBB5980_129
; %bb.124:
	v_cmp_lt_i64_e32 vcc, 16, v[0:1]
	s_and_saveexec_b64 s[18:19], vcc
	s_xor_b64 s[18:19], exec, s[18:19]
	s_cbranch_execz .LBB5980_126
; %bb.125:
	s_waitcnt lgkmcnt(0)
	ds_read_u16 v3, v2 offset:2176
	v_mov_b32_e32 v4, 0
	s_waitcnt lgkmcnt(0)
	global_store_short v4, v3, s[10:11]
.LBB5980_126:
	s_andn2_saveexec_b64 s[18:19], s[18:19]
	s_cbranch_execz .LBB5980_128
; %bb.127:
	s_waitcnt lgkmcnt(0)
	ds_read_u16 v3, v2 offset:2048
	v_mov_b32_e32 v4, 0
	s_waitcnt lgkmcnt(0)
	global_store_short v4, v3, s[10:11]
.LBB5980_128:
	s_or_b64 exec, exec, s[18:19]
.LBB5980_129:
	s_or_saveexec_b64 s[14:15], s[14:15]
	s_mov_b64 s[18:19], s[4:5]
                                        ; implicit-def: $vgpr3
	s_xor_b64 exec, exec, s[14:15]
	s_cbranch_execz .LBB5980_131
; %bb.130:
	s_waitcnt lgkmcnt(0)
	ds_read_u16 v3, v2 offset:1920
	s_or_b64 s[18:19], s[4:5], exec
.LBB5980_131:
	s_or_b64 exec, exec, s[14:15]
	s_andn2_b64 s[14:15], s[4:5], exec
	s_and_b64 s[18:19], s[18:19], exec
	s_or_b64 s[14:15], s[14:15], s[18:19]
.LBB5980_132:
	s_or_saveexec_b64 s[16:17], s[16:17]
	s_mov_b64 s[18:19], s[6:7]
                                        ; implicit-def: $vgpr4
	s_xor_b64 exec, exec, s[16:17]
	s_cbranch_execz .LBB5980_142
; %bb.133:
	v_cmp_lt_i64_e32 vcc, 12, v[0:1]
	s_mov_b64 s[20:21], s[6:7]
	s_mov_b64 s[22:23], s[14:15]
                                        ; implicit-def: $vgpr3
                                        ; implicit-def: $vgpr4
	s_and_saveexec_b64 s[18:19], vcc
	s_xor_b64 s[18:19], exec, s[18:19]
	s_cbranch_execz .LBB5980_139
; %bb.134:
	v_cmp_lt_i64_e32 vcc, 13, v[0:1]
	s_mov_b64 s[20:21], s[14:15]
                                        ; implicit-def: $vgpr3
	s_and_saveexec_b64 s[22:23], vcc
	s_xor_b64 s[22:23], exec, s[22:23]
	s_cbranch_execz .LBB5980_136
; %bb.135:
	s_waitcnt lgkmcnt(0)
	ds_read_u16 v3, v2 offset:1792
	s_or_b64 s[20:21], s[14:15], exec
.LBB5980_136:
	s_or_saveexec_b64 s[22:23], s[22:23]
	s_mov_b64 s[24:25], s[6:7]
                                        ; implicit-def: $vgpr4
	s_xor_b64 exec, exec, s[22:23]
	s_cbranch_execz .LBB5980_138
; %bb.137:
	s_waitcnt lgkmcnt(0)
	ds_read_u16 v4, v2 offset:1664
	s_or_b64 s[24:25], s[6:7], exec
                                        ; implicit-def: $vgpr3
.LBB5980_138:
	s_or_b64 exec, exec, s[22:23]
	s_andn2_b64 s[22:23], s[14:15], exec
	s_and_b64 s[20:21], s[20:21], exec
	s_or_b64 s[22:23], s[22:23], s[20:21]
	s_andn2_b64 s[20:21], s[6:7], exec
	s_and_b64 s[24:25], s[24:25], exec
	s_or_b64 s[20:21], s[20:21], s[24:25]
.LBB5980_139:
	s_andn2_saveexec_b64 s[18:19], s[18:19]
	s_cbranch_execz .LBB5980_141
; %bb.140:
	s_waitcnt lgkmcnt(0)
	ds_read_u16 v4, v2 offset:1536
	s_or_b64 s[20:21], s[20:21], exec
                                        ; implicit-def: $vgpr3
.LBB5980_141:
	s_or_b64 exec, exec, s[18:19]
	s_andn2_b64 s[14:15], s[14:15], exec
	s_and_b64 s[18:19], s[22:23], exec
	s_or_b64 s[14:15], s[14:15], s[18:19]
	s_andn2_b64 s[18:19], s[6:7], exec
	s_and_b64 s[20:21], s[20:21], exec
	s_or_b64 s[18:19], s[18:19], s[20:21]
.LBB5980_142:
	s_or_b64 exec, exec, s[16:17]
	s_andn2_b64 s[4:5], s[4:5], exec
	s_and_b64 s[14:15], s[14:15], exec
	s_or_b64 s[4:5], s[4:5], s[14:15]
	s_andn2_b64 s[6:7], s[6:7], exec
	s_and_b64 s[14:15], s[18:19], exec
	s_or_b64 s[6:7], s[6:7], s[14:15]
                                        ; implicit-def: $vgpr5
.LBB5980_143:
	s_or_b64 exec, exec, s[12:13]
	s_and_b64 s[4:5], s[4:5], exec
	s_and_b64 s[6:7], s[6:7], exec
	;; [unrolled: 1-line block ×3, first 2 shown]
	s_andn2_saveexec_b64 s[2:3], s[2:3]
	s_cbranch_execz .LBB5980_94
.LBB5980_144:
	v_cmp_lt_i64_e32 vcc, 5, v[0:1]
	s_mov_b64 s[14:15], -1
	s_mov_b64 s[12:13], s[8:9]
	s_mov_b64 s[16:17], s[6:7]
	;; [unrolled: 1-line block ×3, first 2 shown]
                                        ; implicit-def: $vgpr3
                                        ; implicit-def: $vgpr4
                                        ; implicit-def: $vgpr5
	s_and_saveexec_b64 s[0:1], vcc
	s_cbranch_execz .LBB5980_160
; %bb.145:
	v_cmp_lt_i64_e32 vcc, 8, v[0:1]
	s_mov_b64 s[12:13], s[8:9]
                                        ; implicit-def: $vgpr5
	s_and_saveexec_b64 s[14:15], vcc
	s_xor_b64 s[14:15], exec, s[14:15]
	s_cbranch_execz .LBB5980_155
; %bb.146:
	v_cmp_lt_i64_e32 vcc, 9, v[0:1]
                                        ; implicit-def: $vgpr5
	s_and_saveexec_b64 s[12:13], vcc
	s_xor_b64 s[12:13], exec, s[12:13]
	s_cbranch_execz .LBB5980_152
; %bb.147:
	v_cmp_lt_i64_e32 vcc, 10, v[0:1]
                                        ; implicit-def: $vgpr5
	s_and_saveexec_b64 s[16:17], vcc
	s_xor_b64 s[16:17], exec, s[16:17]
	s_cbranch_execz .LBB5980_149
; %bb.148:
	s_waitcnt lgkmcnt(0)
	ds_read_u16 v5, v2 offset:1408
.LBB5980_149:
	s_andn2_saveexec_b64 s[16:17], s[16:17]
	s_cbranch_execz .LBB5980_151
; %bb.150:
	s_waitcnt lgkmcnt(0)
	ds_read_u16 v5, v2 offset:1280
.LBB5980_151:
	s_or_b64 exec, exec, s[16:17]
.LBB5980_152:
	s_andn2_saveexec_b64 s[12:13], s[12:13]
	s_cbranch_execz .LBB5980_154
; %bb.153:
	s_waitcnt lgkmcnt(0)
	ds_read_u16 v5, v2 offset:1152
.LBB5980_154:
	s_or_b64 exec, exec, s[12:13]
	s_or_b64 s[12:13], s[8:9], exec
.LBB5980_155:
	s_or_saveexec_b64 s[14:15], s[14:15]
	s_mov_b64 s[16:17], s[6:7]
	s_mov_b64 s[20:21], s[4:5]
                                        ; implicit-def: $vgpr3
                                        ; implicit-def: $vgpr4
	s_xor_b64 exec, exec, s[14:15]
	s_cbranch_execz .LBB5980_159
; %bb.156:
	s_waitcnt lgkmcnt(0)
	ds_read_u16 v3, v2 offset:768
	v_cmp_lt_i64_e32 vcc, 6, v[0:1]
	s_mov_b64 s[20:21], -1
	s_mov_b64 s[18:19], s[12:13]
	s_mov_b64 s[16:17], s[6:7]
                                        ; implicit-def: $vgpr4
                                        ; implicit-def: $vgpr5
	s_and_saveexec_b64 s[22:23], vcc
	s_cbranch_execz .LBB5980_158
; %bb.157:
	ds_read_u16 v4, v2 offset:896
	ds_read_u16 v5, v2 offset:1024
	v_cmp_lt_i64_e32 vcc, 7, v[0:1]
	s_andn2_b64 s[18:19], s[12:13], exec
	s_and_b64 s[24:25], vcc, exec
	s_xor_b64 s[20:21], exec, -1
	s_or_b64 s[16:17], s[6:7], exec
	s_or_b64 s[18:19], s[18:19], s[24:25]
                                        ; implicit-def: $vgpr3
.LBB5980_158:
	s_or_b64 exec, exec, s[22:23]
	s_andn2_b64 s[22:23], s[4:5], exec
	s_and_b64 s[20:21], s[20:21], exec
	s_or_b64 s[20:21], s[22:23], s[20:21]
	s_andn2_b64 s[22:23], s[6:7], exec
	s_and_b64 s[16:17], s[16:17], exec
	s_andn2_b64 s[12:13], s[12:13], exec
	s_and_b64 s[18:19], s[18:19], exec
	s_or_b64 s[16:17], s[22:23], s[16:17]
	s_or_b64 s[12:13], s[12:13], s[18:19]
.LBB5980_159:
	s_or_b64 exec, exec, s[14:15]
	s_andn2_b64 s[18:19], s[4:5], exec
	s_and_b64 s[20:21], s[20:21], exec
	s_or_b64 s[18:19], s[18:19], s[20:21]
	s_andn2_b64 s[20:21], s[6:7], exec
	s_and_b64 s[16:17], s[16:17], exec
	s_or_b64 s[16:17], s[20:21], s[16:17]
	s_andn2_b64 s[20:21], s[8:9], exec
	s_and_b64 s[12:13], s[12:13], exec
	s_xor_b64 s[14:15], exec, -1
	s_or_b64 s[12:13], s[20:21], s[12:13]
.LBB5980_160:
	s_or_b64 exec, exec, s[0:1]
	s_and_b64 s[0:1], s[14:15], exec
	s_andn2_b64 s[4:5], s[4:5], exec
	s_and_b64 s[14:15], s[18:19], exec
	s_or_b64 s[4:5], s[4:5], s[14:15]
	s_andn2_b64 s[6:7], s[6:7], exec
	s_and_b64 s[14:15], s[16:17], exec
	s_andn2_b64 s[8:9], s[8:9], exec
	s_and_b64 s[12:13], s[12:13], exec
	s_or_b64 s[6:7], s[6:7], s[14:15]
	s_or_b64 s[8:9], s[8:9], s[12:13]
	s_or_b64 exec, exec, s[2:3]
	s_and_saveexec_b64 s[2:3], s[8:9]
	s_cbranch_execz .LBB5980_95
.LBB5980_161:
	s_waitcnt lgkmcnt(0)
	v_mov_b32_e32 v3, 0
	s_andn2_b64 s[6:7], s[6:7], exec
	global_store_short v3, v5, s[10:11]
                                        ; implicit-def: $vgpr3
                                        ; implicit-def: $vgpr4
	s_or_b64 exec, exec, s[2:3]
	s_and_saveexec_b64 s[2:3], s[6:7]
	s_cbranch_execz .LBB5980_96
.LBB5980_162:
	s_waitcnt lgkmcnt(0)
	v_mov_b32_e32 v3, 0
	global_store_short v3, v4, s[10:11]
                                        ; implicit-def: $vgpr3
	s_or_b64 exec, exec, s[2:3]
	s_and_saveexec_b64 s[2:3], s[4:5]
	s_xor_b64 s[2:3], exec, s[2:3]
	s_cbranch_execz .LBB5980_97
.LBB5980_163:
	s_waitcnt lgkmcnt(0)
	v_mov_b32_e32 v4, 0
	global_store_short v4, v3, s[10:11]
	s_or_b64 exec, exec, s[2:3]
	s_and_b64 exec, exec, s[0:1]
	s_cbranch_execz .LBB5980_98
.LBB5980_164:
	v_cmp_lt_i64_e32 vcc, 2, v[0:1]
	s_and_saveexec_b64 s[0:1], vcc
	s_xor_b64 s[0:1], exec, s[0:1]
	s_cbranch_execz .LBB5980_174
; %bb.165:
	v_cmp_lt_i64_e32 vcc, 3, v[0:1]
	s_and_saveexec_b64 s[2:3], vcc
	s_xor_b64 s[2:3], exec, s[2:3]
	s_cbranch_execz .LBB5980_171
; %bb.166:
	;; [unrolled: 5-line block ×3, first 2 shown]
	ds_read_u16 v0, v2 offset:640
	v_mov_b32_e32 v1, 0
                                        ; implicit-def: $vgpr2
	s_waitcnt lgkmcnt(0)
	global_store_short v1, v0, s[10:11]
.LBB5980_168:
	s_andn2_saveexec_b64 s[4:5], s[4:5]
	s_cbranch_execz .LBB5980_170
; %bb.169:
	ds_read_u16 v0, v2 offset:512
	v_mov_b32_e32 v1, 0
	s_waitcnt lgkmcnt(0)
	global_store_short v1, v0, s[10:11]
.LBB5980_170:
	s_or_b64 exec, exec, s[4:5]
                                        ; implicit-def: $vgpr2
.LBB5980_171:
	s_andn2_saveexec_b64 s[2:3], s[2:3]
	s_cbranch_execz .LBB5980_173
; %bb.172:
	ds_read_u16 v0, v2 offset:384
	v_mov_b32_e32 v1, 0
	s_waitcnt lgkmcnt(0)
	global_store_short v1, v0, s[10:11]
.LBB5980_173:
	s_or_b64 exec, exec, s[2:3]
                                        ; implicit-def: $vgpr0_vgpr1
                                        ; implicit-def: $vgpr2
.LBB5980_174:
	s_andn2_saveexec_b64 s[0:1], s[0:1]
	s_cbranch_execz .LBB5980_98
; %bb.175:
	v_cmp_lt_i64_e32 vcc, 1, v[0:1]
	s_and_saveexec_b64 s[0:1], vcc
	s_xor_b64 s[0:1], exec, s[0:1]
	s_cbranch_execz .LBB5980_177
; %bb.176:
	ds_read_u16 v0, v2 offset:256
	v_mov_b32_e32 v1, 0
                                        ; implicit-def: $vgpr2
	s_waitcnt lgkmcnt(0)
	global_store_short v1, v0, s[10:11]
                                        ; implicit-def: $vgpr0_vgpr1
.LBB5980_177:
	s_andn2_saveexec_b64 s[0:1], s[0:1]
	s_cbranch_execz .LBB5980_98
; %bb.178:
	v_cmp_ne_u64_e32 vcc, 1, v[0:1]
	s_and_saveexec_b64 s[0:1], vcc
	s_xor_b64 s[0:1], exec, s[0:1]
	s_cbranch_execz .LBB5980_180
; %bb.179:
	ds_read_u16 v0, v2
	v_mov_b32_e32 v1, 0
                                        ; implicit-def: $vgpr2
	s_waitcnt lgkmcnt(0)
	global_store_short v1, v0, s[10:11]
.LBB5980_180:
	s_andn2_saveexec_b64 s[0:1], s[0:1]
	s_cbranch_execz .LBB5980_98
; %bb.181:
	ds_read_u16 v0, v2 offset:128
	v_mov_b32_e32 v1, 0
	s_waitcnt lgkmcnt(0)
	global_store_short v1, v0, s[10:11]
	s_endpgm
	.section	.rodata,"a",@progbits
	.p2align	6, 0x0
	.amdhsa_kernel _ZN7rocprim17ROCPRIM_400000_NS6detail17trampoline_kernelINS0_14default_configENS1_20scan_config_selectorIsEEZZNS1_9scan_implILNS1_25lookback_scan_determinismE0ELb1ELb1ES3_N6thrust23THRUST_200600_302600_NS6detail15normal_iteratorINS9_10device_ptrIsEEEENS9_16discard_iteratorINS9_11use_defaultEEEsNS9_4plusIvEEsEEDaPvRmT3_T4_T5_mT6_P12ihipStream_tbENKUlT_T0_E_clISt17integral_constantIbLb1EESW_IbLb0EEEEDaSS_ST_EUlSS_E_NS1_11comp_targetILNS1_3genE4ELNS1_11target_archE910ELNS1_3gpuE8ELNS1_3repE0EEENS1_30default_config_static_selectorELNS0_4arch9wavefront6targetE1EEEvT1_
		.amdhsa_group_segment_fixed_size 3072
		.amdhsa_private_segment_fixed_size 0
		.amdhsa_kernarg_size 104
		.amdhsa_user_sgpr_count 6
		.amdhsa_user_sgpr_private_segment_buffer 1
		.amdhsa_user_sgpr_dispatch_ptr 0
		.amdhsa_user_sgpr_queue_ptr 0
		.amdhsa_user_sgpr_kernarg_segment_ptr 1
		.amdhsa_user_sgpr_dispatch_id 0
		.amdhsa_user_sgpr_flat_scratch_init 0
		.amdhsa_user_sgpr_kernarg_preload_length 0
		.amdhsa_user_sgpr_kernarg_preload_offset 0
		.amdhsa_user_sgpr_private_segment_size 0
		.amdhsa_uses_dynamic_stack 0
		.amdhsa_system_sgpr_private_segment_wavefront_offset 0
		.amdhsa_system_sgpr_workgroup_id_x 1
		.amdhsa_system_sgpr_workgroup_id_y 0
		.amdhsa_system_sgpr_workgroup_id_z 0
		.amdhsa_system_sgpr_workgroup_info 0
		.amdhsa_system_vgpr_workitem_id 0
		.amdhsa_next_free_vgpr 44
		.amdhsa_next_free_sgpr 26
		.amdhsa_accum_offset 44
		.amdhsa_reserve_vcc 1
		.amdhsa_reserve_flat_scratch 0
		.amdhsa_float_round_mode_32 0
		.amdhsa_float_round_mode_16_64 0
		.amdhsa_float_denorm_mode_32 3
		.amdhsa_float_denorm_mode_16_64 3
		.amdhsa_dx10_clamp 1
		.amdhsa_ieee_mode 1
		.amdhsa_fp16_overflow 0
		.amdhsa_tg_split 0
		.amdhsa_exception_fp_ieee_invalid_op 0
		.amdhsa_exception_fp_denorm_src 0
		.amdhsa_exception_fp_ieee_div_zero 0
		.amdhsa_exception_fp_ieee_overflow 0
		.amdhsa_exception_fp_ieee_underflow 0
		.amdhsa_exception_fp_ieee_inexact 0
		.amdhsa_exception_int_div_zero 0
	.end_amdhsa_kernel
	.section	.text._ZN7rocprim17ROCPRIM_400000_NS6detail17trampoline_kernelINS0_14default_configENS1_20scan_config_selectorIsEEZZNS1_9scan_implILNS1_25lookback_scan_determinismE0ELb1ELb1ES3_N6thrust23THRUST_200600_302600_NS6detail15normal_iteratorINS9_10device_ptrIsEEEENS9_16discard_iteratorINS9_11use_defaultEEEsNS9_4plusIvEEsEEDaPvRmT3_T4_T5_mT6_P12ihipStream_tbENKUlT_T0_E_clISt17integral_constantIbLb1EESW_IbLb0EEEEDaSS_ST_EUlSS_E_NS1_11comp_targetILNS1_3genE4ELNS1_11target_archE910ELNS1_3gpuE8ELNS1_3repE0EEENS1_30default_config_static_selectorELNS0_4arch9wavefront6targetE1EEEvT1_,"axG",@progbits,_ZN7rocprim17ROCPRIM_400000_NS6detail17trampoline_kernelINS0_14default_configENS1_20scan_config_selectorIsEEZZNS1_9scan_implILNS1_25lookback_scan_determinismE0ELb1ELb1ES3_N6thrust23THRUST_200600_302600_NS6detail15normal_iteratorINS9_10device_ptrIsEEEENS9_16discard_iteratorINS9_11use_defaultEEEsNS9_4plusIvEEsEEDaPvRmT3_T4_T5_mT6_P12ihipStream_tbENKUlT_T0_E_clISt17integral_constantIbLb1EESW_IbLb0EEEEDaSS_ST_EUlSS_E_NS1_11comp_targetILNS1_3genE4ELNS1_11target_archE910ELNS1_3gpuE8ELNS1_3repE0EEENS1_30default_config_static_selectorELNS0_4arch9wavefront6targetE1EEEvT1_,comdat
.Lfunc_end5980:
	.size	_ZN7rocprim17ROCPRIM_400000_NS6detail17trampoline_kernelINS0_14default_configENS1_20scan_config_selectorIsEEZZNS1_9scan_implILNS1_25lookback_scan_determinismE0ELb1ELb1ES3_N6thrust23THRUST_200600_302600_NS6detail15normal_iteratorINS9_10device_ptrIsEEEENS9_16discard_iteratorINS9_11use_defaultEEEsNS9_4plusIvEEsEEDaPvRmT3_T4_T5_mT6_P12ihipStream_tbENKUlT_T0_E_clISt17integral_constantIbLb1EESW_IbLb0EEEEDaSS_ST_EUlSS_E_NS1_11comp_targetILNS1_3genE4ELNS1_11target_archE910ELNS1_3gpuE8ELNS1_3repE0EEENS1_30default_config_static_selectorELNS0_4arch9wavefront6targetE1EEEvT1_, .Lfunc_end5980-_ZN7rocprim17ROCPRIM_400000_NS6detail17trampoline_kernelINS0_14default_configENS1_20scan_config_selectorIsEEZZNS1_9scan_implILNS1_25lookback_scan_determinismE0ELb1ELb1ES3_N6thrust23THRUST_200600_302600_NS6detail15normal_iteratorINS9_10device_ptrIsEEEENS9_16discard_iteratorINS9_11use_defaultEEEsNS9_4plusIvEEsEEDaPvRmT3_T4_T5_mT6_P12ihipStream_tbENKUlT_T0_E_clISt17integral_constantIbLb1EESW_IbLb0EEEEDaSS_ST_EUlSS_E_NS1_11comp_targetILNS1_3genE4ELNS1_11target_archE910ELNS1_3gpuE8ELNS1_3repE0EEENS1_30default_config_static_selectorELNS0_4arch9wavefront6targetE1EEEvT1_
                                        ; -- End function
	.section	.AMDGPU.csdata,"",@progbits
; Kernel info:
; codeLenInByte = 6508
; NumSgprs: 30
; NumVgprs: 44
; NumAgprs: 0
; TotalNumVgprs: 44
; ScratchSize: 0
; MemoryBound: 0
; FloatMode: 240
; IeeeMode: 1
; LDSByteSize: 3072 bytes/workgroup (compile time only)
; SGPRBlocks: 3
; VGPRBlocks: 5
; NumSGPRsForWavesPerEU: 30
; NumVGPRsForWavesPerEU: 44
; AccumOffset: 44
; Occupancy: 6
; WaveLimiterHint : 1
; COMPUTE_PGM_RSRC2:SCRATCH_EN: 0
; COMPUTE_PGM_RSRC2:USER_SGPR: 6
; COMPUTE_PGM_RSRC2:TRAP_HANDLER: 0
; COMPUTE_PGM_RSRC2:TGID_X_EN: 1
; COMPUTE_PGM_RSRC2:TGID_Y_EN: 0
; COMPUTE_PGM_RSRC2:TGID_Z_EN: 0
; COMPUTE_PGM_RSRC2:TIDIG_COMP_CNT: 0
; COMPUTE_PGM_RSRC3_GFX90A:ACCUM_OFFSET: 10
; COMPUTE_PGM_RSRC3_GFX90A:TG_SPLIT: 0
	.section	.text._ZN7rocprim17ROCPRIM_400000_NS6detail17trampoline_kernelINS0_14default_configENS1_20scan_config_selectorIsEEZZNS1_9scan_implILNS1_25lookback_scan_determinismE0ELb1ELb1ES3_N6thrust23THRUST_200600_302600_NS6detail15normal_iteratorINS9_10device_ptrIsEEEENS9_16discard_iteratorINS9_11use_defaultEEEsNS9_4plusIvEEsEEDaPvRmT3_T4_T5_mT6_P12ihipStream_tbENKUlT_T0_E_clISt17integral_constantIbLb1EESW_IbLb0EEEEDaSS_ST_EUlSS_E_NS1_11comp_targetILNS1_3genE3ELNS1_11target_archE908ELNS1_3gpuE7ELNS1_3repE0EEENS1_30default_config_static_selectorELNS0_4arch9wavefront6targetE1EEEvT1_,"axG",@progbits,_ZN7rocprim17ROCPRIM_400000_NS6detail17trampoline_kernelINS0_14default_configENS1_20scan_config_selectorIsEEZZNS1_9scan_implILNS1_25lookback_scan_determinismE0ELb1ELb1ES3_N6thrust23THRUST_200600_302600_NS6detail15normal_iteratorINS9_10device_ptrIsEEEENS9_16discard_iteratorINS9_11use_defaultEEEsNS9_4plusIvEEsEEDaPvRmT3_T4_T5_mT6_P12ihipStream_tbENKUlT_T0_E_clISt17integral_constantIbLb1EESW_IbLb0EEEEDaSS_ST_EUlSS_E_NS1_11comp_targetILNS1_3genE3ELNS1_11target_archE908ELNS1_3gpuE7ELNS1_3repE0EEENS1_30default_config_static_selectorELNS0_4arch9wavefront6targetE1EEEvT1_,comdat
	.protected	_ZN7rocprim17ROCPRIM_400000_NS6detail17trampoline_kernelINS0_14default_configENS1_20scan_config_selectorIsEEZZNS1_9scan_implILNS1_25lookback_scan_determinismE0ELb1ELb1ES3_N6thrust23THRUST_200600_302600_NS6detail15normal_iteratorINS9_10device_ptrIsEEEENS9_16discard_iteratorINS9_11use_defaultEEEsNS9_4plusIvEEsEEDaPvRmT3_T4_T5_mT6_P12ihipStream_tbENKUlT_T0_E_clISt17integral_constantIbLb1EESW_IbLb0EEEEDaSS_ST_EUlSS_E_NS1_11comp_targetILNS1_3genE3ELNS1_11target_archE908ELNS1_3gpuE7ELNS1_3repE0EEENS1_30default_config_static_selectorELNS0_4arch9wavefront6targetE1EEEvT1_ ; -- Begin function _ZN7rocprim17ROCPRIM_400000_NS6detail17trampoline_kernelINS0_14default_configENS1_20scan_config_selectorIsEEZZNS1_9scan_implILNS1_25lookback_scan_determinismE0ELb1ELb1ES3_N6thrust23THRUST_200600_302600_NS6detail15normal_iteratorINS9_10device_ptrIsEEEENS9_16discard_iteratorINS9_11use_defaultEEEsNS9_4plusIvEEsEEDaPvRmT3_T4_T5_mT6_P12ihipStream_tbENKUlT_T0_E_clISt17integral_constantIbLb1EESW_IbLb0EEEEDaSS_ST_EUlSS_E_NS1_11comp_targetILNS1_3genE3ELNS1_11target_archE908ELNS1_3gpuE7ELNS1_3repE0EEENS1_30default_config_static_selectorELNS0_4arch9wavefront6targetE1EEEvT1_
	.globl	_ZN7rocprim17ROCPRIM_400000_NS6detail17trampoline_kernelINS0_14default_configENS1_20scan_config_selectorIsEEZZNS1_9scan_implILNS1_25lookback_scan_determinismE0ELb1ELb1ES3_N6thrust23THRUST_200600_302600_NS6detail15normal_iteratorINS9_10device_ptrIsEEEENS9_16discard_iteratorINS9_11use_defaultEEEsNS9_4plusIvEEsEEDaPvRmT3_T4_T5_mT6_P12ihipStream_tbENKUlT_T0_E_clISt17integral_constantIbLb1EESW_IbLb0EEEEDaSS_ST_EUlSS_E_NS1_11comp_targetILNS1_3genE3ELNS1_11target_archE908ELNS1_3gpuE7ELNS1_3repE0EEENS1_30default_config_static_selectorELNS0_4arch9wavefront6targetE1EEEvT1_
	.p2align	8
	.type	_ZN7rocprim17ROCPRIM_400000_NS6detail17trampoline_kernelINS0_14default_configENS1_20scan_config_selectorIsEEZZNS1_9scan_implILNS1_25lookback_scan_determinismE0ELb1ELb1ES3_N6thrust23THRUST_200600_302600_NS6detail15normal_iteratorINS9_10device_ptrIsEEEENS9_16discard_iteratorINS9_11use_defaultEEEsNS9_4plusIvEEsEEDaPvRmT3_T4_T5_mT6_P12ihipStream_tbENKUlT_T0_E_clISt17integral_constantIbLb1EESW_IbLb0EEEEDaSS_ST_EUlSS_E_NS1_11comp_targetILNS1_3genE3ELNS1_11target_archE908ELNS1_3gpuE7ELNS1_3repE0EEENS1_30default_config_static_selectorELNS0_4arch9wavefront6targetE1EEEvT1_,@function
_ZN7rocprim17ROCPRIM_400000_NS6detail17trampoline_kernelINS0_14default_configENS1_20scan_config_selectorIsEEZZNS1_9scan_implILNS1_25lookback_scan_determinismE0ELb1ELb1ES3_N6thrust23THRUST_200600_302600_NS6detail15normal_iteratorINS9_10device_ptrIsEEEENS9_16discard_iteratorINS9_11use_defaultEEEsNS9_4plusIvEEsEEDaPvRmT3_T4_T5_mT6_P12ihipStream_tbENKUlT_T0_E_clISt17integral_constantIbLb1EESW_IbLb0EEEEDaSS_ST_EUlSS_E_NS1_11comp_targetILNS1_3genE3ELNS1_11target_archE908ELNS1_3gpuE7ELNS1_3repE0EEENS1_30default_config_static_selectorELNS0_4arch9wavefront6targetE1EEEvT1_: ; @_ZN7rocprim17ROCPRIM_400000_NS6detail17trampoline_kernelINS0_14default_configENS1_20scan_config_selectorIsEEZZNS1_9scan_implILNS1_25lookback_scan_determinismE0ELb1ELb1ES3_N6thrust23THRUST_200600_302600_NS6detail15normal_iteratorINS9_10device_ptrIsEEEENS9_16discard_iteratorINS9_11use_defaultEEEsNS9_4plusIvEEsEEDaPvRmT3_T4_T5_mT6_P12ihipStream_tbENKUlT_T0_E_clISt17integral_constantIbLb1EESW_IbLb0EEEEDaSS_ST_EUlSS_E_NS1_11comp_targetILNS1_3genE3ELNS1_11target_archE908ELNS1_3gpuE7ELNS1_3repE0EEENS1_30default_config_static_selectorELNS0_4arch9wavefront6targetE1EEEvT1_
; %bb.0:
	.section	.rodata,"a",@progbits
	.p2align	6, 0x0
	.amdhsa_kernel _ZN7rocprim17ROCPRIM_400000_NS6detail17trampoline_kernelINS0_14default_configENS1_20scan_config_selectorIsEEZZNS1_9scan_implILNS1_25lookback_scan_determinismE0ELb1ELb1ES3_N6thrust23THRUST_200600_302600_NS6detail15normal_iteratorINS9_10device_ptrIsEEEENS9_16discard_iteratorINS9_11use_defaultEEEsNS9_4plusIvEEsEEDaPvRmT3_T4_T5_mT6_P12ihipStream_tbENKUlT_T0_E_clISt17integral_constantIbLb1EESW_IbLb0EEEEDaSS_ST_EUlSS_E_NS1_11comp_targetILNS1_3genE3ELNS1_11target_archE908ELNS1_3gpuE7ELNS1_3repE0EEENS1_30default_config_static_selectorELNS0_4arch9wavefront6targetE1EEEvT1_
		.amdhsa_group_segment_fixed_size 0
		.amdhsa_private_segment_fixed_size 0
		.amdhsa_kernarg_size 104
		.amdhsa_user_sgpr_count 6
		.amdhsa_user_sgpr_private_segment_buffer 1
		.amdhsa_user_sgpr_dispatch_ptr 0
		.amdhsa_user_sgpr_queue_ptr 0
		.amdhsa_user_sgpr_kernarg_segment_ptr 1
		.amdhsa_user_sgpr_dispatch_id 0
		.amdhsa_user_sgpr_flat_scratch_init 0
		.amdhsa_user_sgpr_kernarg_preload_length 0
		.amdhsa_user_sgpr_kernarg_preload_offset 0
		.amdhsa_user_sgpr_private_segment_size 0
		.amdhsa_uses_dynamic_stack 0
		.amdhsa_system_sgpr_private_segment_wavefront_offset 0
		.amdhsa_system_sgpr_workgroup_id_x 1
		.amdhsa_system_sgpr_workgroup_id_y 0
		.amdhsa_system_sgpr_workgroup_id_z 0
		.amdhsa_system_sgpr_workgroup_info 0
		.amdhsa_system_vgpr_workitem_id 0
		.amdhsa_next_free_vgpr 1
		.amdhsa_next_free_sgpr 0
		.amdhsa_accum_offset 4
		.amdhsa_reserve_vcc 0
		.amdhsa_reserve_flat_scratch 0
		.amdhsa_float_round_mode_32 0
		.amdhsa_float_round_mode_16_64 0
		.amdhsa_float_denorm_mode_32 3
		.amdhsa_float_denorm_mode_16_64 3
		.amdhsa_dx10_clamp 1
		.amdhsa_ieee_mode 1
		.amdhsa_fp16_overflow 0
		.amdhsa_tg_split 0
		.amdhsa_exception_fp_ieee_invalid_op 0
		.amdhsa_exception_fp_denorm_src 0
		.amdhsa_exception_fp_ieee_div_zero 0
		.amdhsa_exception_fp_ieee_overflow 0
		.amdhsa_exception_fp_ieee_underflow 0
		.amdhsa_exception_fp_ieee_inexact 0
		.amdhsa_exception_int_div_zero 0
	.end_amdhsa_kernel
	.section	.text._ZN7rocprim17ROCPRIM_400000_NS6detail17trampoline_kernelINS0_14default_configENS1_20scan_config_selectorIsEEZZNS1_9scan_implILNS1_25lookback_scan_determinismE0ELb1ELb1ES3_N6thrust23THRUST_200600_302600_NS6detail15normal_iteratorINS9_10device_ptrIsEEEENS9_16discard_iteratorINS9_11use_defaultEEEsNS9_4plusIvEEsEEDaPvRmT3_T4_T5_mT6_P12ihipStream_tbENKUlT_T0_E_clISt17integral_constantIbLb1EESW_IbLb0EEEEDaSS_ST_EUlSS_E_NS1_11comp_targetILNS1_3genE3ELNS1_11target_archE908ELNS1_3gpuE7ELNS1_3repE0EEENS1_30default_config_static_selectorELNS0_4arch9wavefront6targetE1EEEvT1_,"axG",@progbits,_ZN7rocprim17ROCPRIM_400000_NS6detail17trampoline_kernelINS0_14default_configENS1_20scan_config_selectorIsEEZZNS1_9scan_implILNS1_25lookback_scan_determinismE0ELb1ELb1ES3_N6thrust23THRUST_200600_302600_NS6detail15normal_iteratorINS9_10device_ptrIsEEEENS9_16discard_iteratorINS9_11use_defaultEEEsNS9_4plusIvEEsEEDaPvRmT3_T4_T5_mT6_P12ihipStream_tbENKUlT_T0_E_clISt17integral_constantIbLb1EESW_IbLb0EEEEDaSS_ST_EUlSS_E_NS1_11comp_targetILNS1_3genE3ELNS1_11target_archE908ELNS1_3gpuE7ELNS1_3repE0EEENS1_30default_config_static_selectorELNS0_4arch9wavefront6targetE1EEEvT1_,comdat
.Lfunc_end5981:
	.size	_ZN7rocprim17ROCPRIM_400000_NS6detail17trampoline_kernelINS0_14default_configENS1_20scan_config_selectorIsEEZZNS1_9scan_implILNS1_25lookback_scan_determinismE0ELb1ELb1ES3_N6thrust23THRUST_200600_302600_NS6detail15normal_iteratorINS9_10device_ptrIsEEEENS9_16discard_iteratorINS9_11use_defaultEEEsNS9_4plusIvEEsEEDaPvRmT3_T4_T5_mT6_P12ihipStream_tbENKUlT_T0_E_clISt17integral_constantIbLb1EESW_IbLb0EEEEDaSS_ST_EUlSS_E_NS1_11comp_targetILNS1_3genE3ELNS1_11target_archE908ELNS1_3gpuE7ELNS1_3repE0EEENS1_30default_config_static_selectorELNS0_4arch9wavefront6targetE1EEEvT1_, .Lfunc_end5981-_ZN7rocprim17ROCPRIM_400000_NS6detail17trampoline_kernelINS0_14default_configENS1_20scan_config_selectorIsEEZZNS1_9scan_implILNS1_25lookback_scan_determinismE0ELb1ELb1ES3_N6thrust23THRUST_200600_302600_NS6detail15normal_iteratorINS9_10device_ptrIsEEEENS9_16discard_iteratorINS9_11use_defaultEEEsNS9_4plusIvEEsEEDaPvRmT3_T4_T5_mT6_P12ihipStream_tbENKUlT_T0_E_clISt17integral_constantIbLb1EESW_IbLb0EEEEDaSS_ST_EUlSS_E_NS1_11comp_targetILNS1_3genE3ELNS1_11target_archE908ELNS1_3gpuE7ELNS1_3repE0EEENS1_30default_config_static_selectorELNS0_4arch9wavefront6targetE1EEEvT1_
                                        ; -- End function
	.section	.AMDGPU.csdata,"",@progbits
; Kernel info:
; codeLenInByte = 0
; NumSgprs: 4
; NumVgprs: 0
; NumAgprs: 0
; TotalNumVgprs: 0
; ScratchSize: 0
; MemoryBound: 0
; FloatMode: 240
; IeeeMode: 1
; LDSByteSize: 0 bytes/workgroup (compile time only)
; SGPRBlocks: 0
; VGPRBlocks: 0
; NumSGPRsForWavesPerEU: 4
; NumVGPRsForWavesPerEU: 1
; AccumOffset: 4
; Occupancy: 8
; WaveLimiterHint : 0
; COMPUTE_PGM_RSRC2:SCRATCH_EN: 0
; COMPUTE_PGM_RSRC2:USER_SGPR: 6
; COMPUTE_PGM_RSRC2:TRAP_HANDLER: 0
; COMPUTE_PGM_RSRC2:TGID_X_EN: 1
; COMPUTE_PGM_RSRC2:TGID_Y_EN: 0
; COMPUTE_PGM_RSRC2:TGID_Z_EN: 0
; COMPUTE_PGM_RSRC2:TIDIG_COMP_CNT: 0
; COMPUTE_PGM_RSRC3_GFX90A:ACCUM_OFFSET: 0
; COMPUTE_PGM_RSRC3_GFX90A:TG_SPLIT: 0
	.section	.text._ZN7rocprim17ROCPRIM_400000_NS6detail17trampoline_kernelINS0_14default_configENS1_20scan_config_selectorIsEEZZNS1_9scan_implILNS1_25lookback_scan_determinismE0ELb1ELb1ES3_N6thrust23THRUST_200600_302600_NS6detail15normal_iteratorINS9_10device_ptrIsEEEENS9_16discard_iteratorINS9_11use_defaultEEEsNS9_4plusIvEEsEEDaPvRmT3_T4_T5_mT6_P12ihipStream_tbENKUlT_T0_E_clISt17integral_constantIbLb1EESW_IbLb0EEEEDaSS_ST_EUlSS_E_NS1_11comp_targetILNS1_3genE2ELNS1_11target_archE906ELNS1_3gpuE6ELNS1_3repE0EEENS1_30default_config_static_selectorELNS0_4arch9wavefront6targetE1EEEvT1_,"axG",@progbits,_ZN7rocprim17ROCPRIM_400000_NS6detail17trampoline_kernelINS0_14default_configENS1_20scan_config_selectorIsEEZZNS1_9scan_implILNS1_25lookback_scan_determinismE0ELb1ELb1ES3_N6thrust23THRUST_200600_302600_NS6detail15normal_iteratorINS9_10device_ptrIsEEEENS9_16discard_iteratorINS9_11use_defaultEEEsNS9_4plusIvEEsEEDaPvRmT3_T4_T5_mT6_P12ihipStream_tbENKUlT_T0_E_clISt17integral_constantIbLb1EESW_IbLb0EEEEDaSS_ST_EUlSS_E_NS1_11comp_targetILNS1_3genE2ELNS1_11target_archE906ELNS1_3gpuE6ELNS1_3repE0EEENS1_30default_config_static_selectorELNS0_4arch9wavefront6targetE1EEEvT1_,comdat
	.protected	_ZN7rocprim17ROCPRIM_400000_NS6detail17trampoline_kernelINS0_14default_configENS1_20scan_config_selectorIsEEZZNS1_9scan_implILNS1_25lookback_scan_determinismE0ELb1ELb1ES3_N6thrust23THRUST_200600_302600_NS6detail15normal_iteratorINS9_10device_ptrIsEEEENS9_16discard_iteratorINS9_11use_defaultEEEsNS9_4plusIvEEsEEDaPvRmT3_T4_T5_mT6_P12ihipStream_tbENKUlT_T0_E_clISt17integral_constantIbLb1EESW_IbLb0EEEEDaSS_ST_EUlSS_E_NS1_11comp_targetILNS1_3genE2ELNS1_11target_archE906ELNS1_3gpuE6ELNS1_3repE0EEENS1_30default_config_static_selectorELNS0_4arch9wavefront6targetE1EEEvT1_ ; -- Begin function _ZN7rocprim17ROCPRIM_400000_NS6detail17trampoline_kernelINS0_14default_configENS1_20scan_config_selectorIsEEZZNS1_9scan_implILNS1_25lookback_scan_determinismE0ELb1ELb1ES3_N6thrust23THRUST_200600_302600_NS6detail15normal_iteratorINS9_10device_ptrIsEEEENS9_16discard_iteratorINS9_11use_defaultEEEsNS9_4plusIvEEsEEDaPvRmT3_T4_T5_mT6_P12ihipStream_tbENKUlT_T0_E_clISt17integral_constantIbLb1EESW_IbLb0EEEEDaSS_ST_EUlSS_E_NS1_11comp_targetILNS1_3genE2ELNS1_11target_archE906ELNS1_3gpuE6ELNS1_3repE0EEENS1_30default_config_static_selectorELNS0_4arch9wavefront6targetE1EEEvT1_
	.globl	_ZN7rocprim17ROCPRIM_400000_NS6detail17trampoline_kernelINS0_14default_configENS1_20scan_config_selectorIsEEZZNS1_9scan_implILNS1_25lookback_scan_determinismE0ELb1ELb1ES3_N6thrust23THRUST_200600_302600_NS6detail15normal_iteratorINS9_10device_ptrIsEEEENS9_16discard_iteratorINS9_11use_defaultEEEsNS9_4plusIvEEsEEDaPvRmT3_T4_T5_mT6_P12ihipStream_tbENKUlT_T0_E_clISt17integral_constantIbLb1EESW_IbLb0EEEEDaSS_ST_EUlSS_E_NS1_11comp_targetILNS1_3genE2ELNS1_11target_archE906ELNS1_3gpuE6ELNS1_3repE0EEENS1_30default_config_static_selectorELNS0_4arch9wavefront6targetE1EEEvT1_
	.p2align	8
	.type	_ZN7rocprim17ROCPRIM_400000_NS6detail17trampoline_kernelINS0_14default_configENS1_20scan_config_selectorIsEEZZNS1_9scan_implILNS1_25lookback_scan_determinismE0ELb1ELb1ES3_N6thrust23THRUST_200600_302600_NS6detail15normal_iteratorINS9_10device_ptrIsEEEENS9_16discard_iteratorINS9_11use_defaultEEEsNS9_4plusIvEEsEEDaPvRmT3_T4_T5_mT6_P12ihipStream_tbENKUlT_T0_E_clISt17integral_constantIbLb1EESW_IbLb0EEEEDaSS_ST_EUlSS_E_NS1_11comp_targetILNS1_3genE2ELNS1_11target_archE906ELNS1_3gpuE6ELNS1_3repE0EEENS1_30default_config_static_selectorELNS0_4arch9wavefront6targetE1EEEvT1_,@function
_ZN7rocprim17ROCPRIM_400000_NS6detail17trampoline_kernelINS0_14default_configENS1_20scan_config_selectorIsEEZZNS1_9scan_implILNS1_25lookback_scan_determinismE0ELb1ELb1ES3_N6thrust23THRUST_200600_302600_NS6detail15normal_iteratorINS9_10device_ptrIsEEEENS9_16discard_iteratorINS9_11use_defaultEEEsNS9_4plusIvEEsEEDaPvRmT3_T4_T5_mT6_P12ihipStream_tbENKUlT_T0_E_clISt17integral_constantIbLb1EESW_IbLb0EEEEDaSS_ST_EUlSS_E_NS1_11comp_targetILNS1_3genE2ELNS1_11target_archE906ELNS1_3gpuE6ELNS1_3repE0EEENS1_30default_config_static_selectorELNS0_4arch9wavefront6targetE1EEEvT1_: ; @_ZN7rocprim17ROCPRIM_400000_NS6detail17trampoline_kernelINS0_14default_configENS1_20scan_config_selectorIsEEZZNS1_9scan_implILNS1_25lookback_scan_determinismE0ELb1ELb1ES3_N6thrust23THRUST_200600_302600_NS6detail15normal_iteratorINS9_10device_ptrIsEEEENS9_16discard_iteratorINS9_11use_defaultEEEsNS9_4plusIvEEsEEDaPvRmT3_T4_T5_mT6_P12ihipStream_tbENKUlT_T0_E_clISt17integral_constantIbLb1EESW_IbLb0EEEEDaSS_ST_EUlSS_E_NS1_11comp_targetILNS1_3genE2ELNS1_11target_archE906ELNS1_3gpuE6ELNS1_3repE0EEENS1_30default_config_static_selectorELNS0_4arch9wavefront6targetE1EEEvT1_
; %bb.0:
	.section	.rodata,"a",@progbits
	.p2align	6, 0x0
	.amdhsa_kernel _ZN7rocprim17ROCPRIM_400000_NS6detail17trampoline_kernelINS0_14default_configENS1_20scan_config_selectorIsEEZZNS1_9scan_implILNS1_25lookback_scan_determinismE0ELb1ELb1ES3_N6thrust23THRUST_200600_302600_NS6detail15normal_iteratorINS9_10device_ptrIsEEEENS9_16discard_iteratorINS9_11use_defaultEEEsNS9_4plusIvEEsEEDaPvRmT3_T4_T5_mT6_P12ihipStream_tbENKUlT_T0_E_clISt17integral_constantIbLb1EESW_IbLb0EEEEDaSS_ST_EUlSS_E_NS1_11comp_targetILNS1_3genE2ELNS1_11target_archE906ELNS1_3gpuE6ELNS1_3repE0EEENS1_30default_config_static_selectorELNS0_4arch9wavefront6targetE1EEEvT1_
		.amdhsa_group_segment_fixed_size 0
		.amdhsa_private_segment_fixed_size 0
		.amdhsa_kernarg_size 104
		.amdhsa_user_sgpr_count 6
		.amdhsa_user_sgpr_private_segment_buffer 1
		.amdhsa_user_sgpr_dispatch_ptr 0
		.amdhsa_user_sgpr_queue_ptr 0
		.amdhsa_user_sgpr_kernarg_segment_ptr 1
		.amdhsa_user_sgpr_dispatch_id 0
		.amdhsa_user_sgpr_flat_scratch_init 0
		.amdhsa_user_sgpr_kernarg_preload_length 0
		.amdhsa_user_sgpr_kernarg_preload_offset 0
		.amdhsa_user_sgpr_private_segment_size 0
		.amdhsa_uses_dynamic_stack 0
		.amdhsa_system_sgpr_private_segment_wavefront_offset 0
		.amdhsa_system_sgpr_workgroup_id_x 1
		.amdhsa_system_sgpr_workgroup_id_y 0
		.amdhsa_system_sgpr_workgroup_id_z 0
		.amdhsa_system_sgpr_workgroup_info 0
		.amdhsa_system_vgpr_workitem_id 0
		.amdhsa_next_free_vgpr 1
		.amdhsa_next_free_sgpr 0
		.amdhsa_accum_offset 4
		.amdhsa_reserve_vcc 0
		.amdhsa_reserve_flat_scratch 0
		.amdhsa_float_round_mode_32 0
		.amdhsa_float_round_mode_16_64 0
		.amdhsa_float_denorm_mode_32 3
		.amdhsa_float_denorm_mode_16_64 3
		.amdhsa_dx10_clamp 1
		.amdhsa_ieee_mode 1
		.amdhsa_fp16_overflow 0
		.amdhsa_tg_split 0
		.amdhsa_exception_fp_ieee_invalid_op 0
		.amdhsa_exception_fp_denorm_src 0
		.amdhsa_exception_fp_ieee_div_zero 0
		.amdhsa_exception_fp_ieee_overflow 0
		.amdhsa_exception_fp_ieee_underflow 0
		.amdhsa_exception_fp_ieee_inexact 0
		.amdhsa_exception_int_div_zero 0
	.end_amdhsa_kernel
	.section	.text._ZN7rocprim17ROCPRIM_400000_NS6detail17trampoline_kernelINS0_14default_configENS1_20scan_config_selectorIsEEZZNS1_9scan_implILNS1_25lookback_scan_determinismE0ELb1ELb1ES3_N6thrust23THRUST_200600_302600_NS6detail15normal_iteratorINS9_10device_ptrIsEEEENS9_16discard_iteratorINS9_11use_defaultEEEsNS9_4plusIvEEsEEDaPvRmT3_T4_T5_mT6_P12ihipStream_tbENKUlT_T0_E_clISt17integral_constantIbLb1EESW_IbLb0EEEEDaSS_ST_EUlSS_E_NS1_11comp_targetILNS1_3genE2ELNS1_11target_archE906ELNS1_3gpuE6ELNS1_3repE0EEENS1_30default_config_static_selectorELNS0_4arch9wavefront6targetE1EEEvT1_,"axG",@progbits,_ZN7rocprim17ROCPRIM_400000_NS6detail17trampoline_kernelINS0_14default_configENS1_20scan_config_selectorIsEEZZNS1_9scan_implILNS1_25lookback_scan_determinismE0ELb1ELb1ES3_N6thrust23THRUST_200600_302600_NS6detail15normal_iteratorINS9_10device_ptrIsEEEENS9_16discard_iteratorINS9_11use_defaultEEEsNS9_4plusIvEEsEEDaPvRmT3_T4_T5_mT6_P12ihipStream_tbENKUlT_T0_E_clISt17integral_constantIbLb1EESW_IbLb0EEEEDaSS_ST_EUlSS_E_NS1_11comp_targetILNS1_3genE2ELNS1_11target_archE906ELNS1_3gpuE6ELNS1_3repE0EEENS1_30default_config_static_selectorELNS0_4arch9wavefront6targetE1EEEvT1_,comdat
.Lfunc_end5982:
	.size	_ZN7rocprim17ROCPRIM_400000_NS6detail17trampoline_kernelINS0_14default_configENS1_20scan_config_selectorIsEEZZNS1_9scan_implILNS1_25lookback_scan_determinismE0ELb1ELb1ES3_N6thrust23THRUST_200600_302600_NS6detail15normal_iteratorINS9_10device_ptrIsEEEENS9_16discard_iteratorINS9_11use_defaultEEEsNS9_4plusIvEEsEEDaPvRmT3_T4_T5_mT6_P12ihipStream_tbENKUlT_T0_E_clISt17integral_constantIbLb1EESW_IbLb0EEEEDaSS_ST_EUlSS_E_NS1_11comp_targetILNS1_3genE2ELNS1_11target_archE906ELNS1_3gpuE6ELNS1_3repE0EEENS1_30default_config_static_selectorELNS0_4arch9wavefront6targetE1EEEvT1_, .Lfunc_end5982-_ZN7rocprim17ROCPRIM_400000_NS6detail17trampoline_kernelINS0_14default_configENS1_20scan_config_selectorIsEEZZNS1_9scan_implILNS1_25lookback_scan_determinismE0ELb1ELb1ES3_N6thrust23THRUST_200600_302600_NS6detail15normal_iteratorINS9_10device_ptrIsEEEENS9_16discard_iteratorINS9_11use_defaultEEEsNS9_4plusIvEEsEEDaPvRmT3_T4_T5_mT6_P12ihipStream_tbENKUlT_T0_E_clISt17integral_constantIbLb1EESW_IbLb0EEEEDaSS_ST_EUlSS_E_NS1_11comp_targetILNS1_3genE2ELNS1_11target_archE906ELNS1_3gpuE6ELNS1_3repE0EEENS1_30default_config_static_selectorELNS0_4arch9wavefront6targetE1EEEvT1_
                                        ; -- End function
	.section	.AMDGPU.csdata,"",@progbits
; Kernel info:
; codeLenInByte = 0
; NumSgprs: 4
; NumVgprs: 0
; NumAgprs: 0
; TotalNumVgprs: 0
; ScratchSize: 0
; MemoryBound: 0
; FloatMode: 240
; IeeeMode: 1
; LDSByteSize: 0 bytes/workgroup (compile time only)
; SGPRBlocks: 0
; VGPRBlocks: 0
; NumSGPRsForWavesPerEU: 4
; NumVGPRsForWavesPerEU: 1
; AccumOffset: 4
; Occupancy: 8
; WaveLimiterHint : 0
; COMPUTE_PGM_RSRC2:SCRATCH_EN: 0
; COMPUTE_PGM_RSRC2:USER_SGPR: 6
; COMPUTE_PGM_RSRC2:TRAP_HANDLER: 0
; COMPUTE_PGM_RSRC2:TGID_X_EN: 1
; COMPUTE_PGM_RSRC2:TGID_Y_EN: 0
; COMPUTE_PGM_RSRC2:TGID_Z_EN: 0
; COMPUTE_PGM_RSRC2:TIDIG_COMP_CNT: 0
; COMPUTE_PGM_RSRC3_GFX90A:ACCUM_OFFSET: 0
; COMPUTE_PGM_RSRC3_GFX90A:TG_SPLIT: 0
	.section	.text._ZN7rocprim17ROCPRIM_400000_NS6detail17trampoline_kernelINS0_14default_configENS1_20scan_config_selectorIsEEZZNS1_9scan_implILNS1_25lookback_scan_determinismE0ELb1ELb1ES3_N6thrust23THRUST_200600_302600_NS6detail15normal_iteratorINS9_10device_ptrIsEEEENS9_16discard_iteratorINS9_11use_defaultEEEsNS9_4plusIvEEsEEDaPvRmT3_T4_T5_mT6_P12ihipStream_tbENKUlT_T0_E_clISt17integral_constantIbLb1EESW_IbLb0EEEEDaSS_ST_EUlSS_E_NS1_11comp_targetILNS1_3genE10ELNS1_11target_archE1201ELNS1_3gpuE5ELNS1_3repE0EEENS1_30default_config_static_selectorELNS0_4arch9wavefront6targetE1EEEvT1_,"axG",@progbits,_ZN7rocprim17ROCPRIM_400000_NS6detail17trampoline_kernelINS0_14default_configENS1_20scan_config_selectorIsEEZZNS1_9scan_implILNS1_25lookback_scan_determinismE0ELb1ELb1ES3_N6thrust23THRUST_200600_302600_NS6detail15normal_iteratorINS9_10device_ptrIsEEEENS9_16discard_iteratorINS9_11use_defaultEEEsNS9_4plusIvEEsEEDaPvRmT3_T4_T5_mT6_P12ihipStream_tbENKUlT_T0_E_clISt17integral_constantIbLb1EESW_IbLb0EEEEDaSS_ST_EUlSS_E_NS1_11comp_targetILNS1_3genE10ELNS1_11target_archE1201ELNS1_3gpuE5ELNS1_3repE0EEENS1_30default_config_static_selectorELNS0_4arch9wavefront6targetE1EEEvT1_,comdat
	.protected	_ZN7rocprim17ROCPRIM_400000_NS6detail17trampoline_kernelINS0_14default_configENS1_20scan_config_selectorIsEEZZNS1_9scan_implILNS1_25lookback_scan_determinismE0ELb1ELb1ES3_N6thrust23THRUST_200600_302600_NS6detail15normal_iteratorINS9_10device_ptrIsEEEENS9_16discard_iteratorINS9_11use_defaultEEEsNS9_4plusIvEEsEEDaPvRmT3_T4_T5_mT6_P12ihipStream_tbENKUlT_T0_E_clISt17integral_constantIbLb1EESW_IbLb0EEEEDaSS_ST_EUlSS_E_NS1_11comp_targetILNS1_3genE10ELNS1_11target_archE1201ELNS1_3gpuE5ELNS1_3repE0EEENS1_30default_config_static_selectorELNS0_4arch9wavefront6targetE1EEEvT1_ ; -- Begin function _ZN7rocprim17ROCPRIM_400000_NS6detail17trampoline_kernelINS0_14default_configENS1_20scan_config_selectorIsEEZZNS1_9scan_implILNS1_25lookback_scan_determinismE0ELb1ELb1ES3_N6thrust23THRUST_200600_302600_NS6detail15normal_iteratorINS9_10device_ptrIsEEEENS9_16discard_iteratorINS9_11use_defaultEEEsNS9_4plusIvEEsEEDaPvRmT3_T4_T5_mT6_P12ihipStream_tbENKUlT_T0_E_clISt17integral_constantIbLb1EESW_IbLb0EEEEDaSS_ST_EUlSS_E_NS1_11comp_targetILNS1_3genE10ELNS1_11target_archE1201ELNS1_3gpuE5ELNS1_3repE0EEENS1_30default_config_static_selectorELNS0_4arch9wavefront6targetE1EEEvT1_
	.globl	_ZN7rocprim17ROCPRIM_400000_NS6detail17trampoline_kernelINS0_14default_configENS1_20scan_config_selectorIsEEZZNS1_9scan_implILNS1_25lookback_scan_determinismE0ELb1ELb1ES3_N6thrust23THRUST_200600_302600_NS6detail15normal_iteratorINS9_10device_ptrIsEEEENS9_16discard_iteratorINS9_11use_defaultEEEsNS9_4plusIvEEsEEDaPvRmT3_T4_T5_mT6_P12ihipStream_tbENKUlT_T0_E_clISt17integral_constantIbLb1EESW_IbLb0EEEEDaSS_ST_EUlSS_E_NS1_11comp_targetILNS1_3genE10ELNS1_11target_archE1201ELNS1_3gpuE5ELNS1_3repE0EEENS1_30default_config_static_selectorELNS0_4arch9wavefront6targetE1EEEvT1_
	.p2align	8
	.type	_ZN7rocprim17ROCPRIM_400000_NS6detail17trampoline_kernelINS0_14default_configENS1_20scan_config_selectorIsEEZZNS1_9scan_implILNS1_25lookback_scan_determinismE0ELb1ELb1ES3_N6thrust23THRUST_200600_302600_NS6detail15normal_iteratorINS9_10device_ptrIsEEEENS9_16discard_iteratorINS9_11use_defaultEEEsNS9_4plusIvEEsEEDaPvRmT3_T4_T5_mT6_P12ihipStream_tbENKUlT_T0_E_clISt17integral_constantIbLb1EESW_IbLb0EEEEDaSS_ST_EUlSS_E_NS1_11comp_targetILNS1_3genE10ELNS1_11target_archE1201ELNS1_3gpuE5ELNS1_3repE0EEENS1_30default_config_static_selectorELNS0_4arch9wavefront6targetE1EEEvT1_,@function
_ZN7rocprim17ROCPRIM_400000_NS6detail17trampoline_kernelINS0_14default_configENS1_20scan_config_selectorIsEEZZNS1_9scan_implILNS1_25lookback_scan_determinismE0ELb1ELb1ES3_N6thrust23THRUST_200600_302600_NS6detail15normal_iteratorINS9_10device_ptrIsEEEENS9_16discard_iteratorINS9_11use_defaultEEEsNS9_4plusIvEEsEEDaPvRmT3_T4_T5_mT6_P12ihipStream_tbENKUlT_T0_E_clISt17integral_constantIbLb1EESW_IbLb0EEEEDaSS_ST_EUlSS_E_NS1_11comp_targetILNS1_3genE10ELNS1_11target_archE1201ELNS1_3gpuE5ELNS1_3repE0EEENS1_30default_config_static_selectorELNS0_4arch9wavefront6targetE1EEEvT1_: ; @_ZN7rocprim17ROCPRIM_400000_NS6detail17trampoline_kernelINS0_14default_configENS1_20scan_config_selectorIsEEZZNS1_9scan_implILNS1_25lookback_scan_determinismE0ELb1ELb1ES3_N6thrust23THRUST_200600_302600_NS6detail15normal_iteratorINS9_10device_ptrIsEEEENS9_16discard_iteratorINS9_11use_defaultEEEsNS9_4plusIvEEsEEDaPvRmT3_T4_T5_mT6_P12ihipStream_tbENKUlT_T0_E_clISt17integral_constantIbLb1EESW_IbLb0EEEEDaSS_ST_EUlSS_E_NS1_11comp_targetILNS1_3genE10ELNS1_11target_archE1201ELNS1_3gpuE5ELNS1_3repE0EEENS1_30default_config_static_selectorELNS0_4arch9wavefront6targetE1EEEvT1_
; %bb.0:
	.section	.rodata,"a",@progbits
	.p2align	6, 0x0
	.amdhsa_kernel _ZN7rocprim17ROCPRIM_400000_NS6detail17trampoline_kernelINS0_14default_configENS1_20scan_config_selectorIsEEZZNS1_9scan_implILNS1_25lookback_scan_determinismE0ELb1ELb1ES3_N6thrust23THRUST_200600_302600_NS6detail15normal_iteratorINS9_10device_ptrIsEEEENS9_16discard_iteratorINS9_11use_defaultEEEsNS9_4plusIvEEsEEDaPvRmT3_T4_T5_mT6_P12ihipStream_tbENKUlT_T0_E_clISt17integral_constantIbLb1EESW_IbLb0EEEEDaSS_ST_EUlSS_E_NS1_11comp_targetILNS1_3genE10ELNS1_11target_archE1201ELNS1_3gpuE5ELNS1_3repE0EEENS1_30default_config_static_selectorELNS0_4arch9wavefront6targetE1EEEvT1_
		.amdhsa_group_segment_fixed_size 0
		.amdhsa_private_segment_fixed_size 0
		.amdhsa_kernarg_size 104
		.amdhsa_user_sgpr_count 6
		.amdhsa_user_sgpr_private_segment_buffer 1
		.amdhsa_user_sgpr_dispatch_ptr 0
		.amdhsa_user_sgpr_queue_ptr 0
		.amdhsa_user_sgpr_kernarg_segment_ptr 1
		.amdhsa_user_sgpr_dispatch_id 0
		.amdhsa_user_sgpr_flat_scratch_init 0
		.amdhsa_user_sgpr_kernarg_preload_length 0
		.amdhsa_user_sgpr_kernarg_preload_offset 0
		.amdhsa_user_sgpr_private_segment_size 0
		.amdhsa_uses_dynamic_stack 0
		.amdhsa_system_sgpr_private_segment_wavefront_offset 0
		.amdhsa_system_sgpr_workgroup_id_x 1
		.amdhsa_system_sgpr_workgroup_id_y 0
		.amdhsa_system_sgpr_workgroup_id_z 0
		.amdhsa_system_sgpr_workgroup_info 0
		.amdhsa_system_vgpr_workitem_id 0
		.amdhsa_next_free_vgpr 1
		.amdhsa_next_free_sgpr 0
		.amdhsa_accum_offset 4
		.amdhsa_reserve_vcc 0
		.amdhsa_reserve_flat_scratch 0
		.amdhsa_float_round_mode_32 0
		.amdhsa_float_round_mode_16_64 0
		.amdhsa_float_denorm_mode_32 3
		.amdhsa_float_denorm_mode_16_64 3
		.amdhsa_dx10_clamp 1
		.amdhsa_ieee_mode 1
		.amdhsa_fp16_overflow 0
		.amdhsa_tg_split 0
		.amdhsa_exception_fp_ieee_invalid_op 0
		.amdhsa_exception_fp_denorm_src 0
		.amdhsa_exception_fp_ieee_div_zero 0
		.amdhsa_exception_fp_ieee_overflow 0
		.amdhsa_exception_fp_ieee_underflow 0
		.amdhsa_exception_fp_ieee_inexact 0
		.amdhsa_exception_int_div_zero 0
	.end_amdhsa_kernel
	.section	.text._ZN7rocprim17ROCPRIM_400000_NS6detail17trampoline_kernelINS0_14default_configENS1_20scan_config_selectorIsEEZZNS1_9scan_implILNS1_25lookback_scan_determinismE0ELb1ELb1ES3_N6thrust23THRUST_200600_302600_NS6detail15normal_iteratorINS9_10device_ptrIsEEEENS9_16discard_iteratorINS9_11use_defaultEEEsNS9_4plusIvEEsEEDaPvRmT3_T4_T5_mT6_P12ihipStream_tbENKUlT_T0_E_clISt17integral_constantIbLb1EESW_IbLb0EEEEDaSS_ST_EUlSS_E_NS1_11comp_targetILNS1_3genE10ELNS1_11target_archE1201ELNS1_3gpuE5ELNS1_3repE0EEENS1_30default_config_static_selectorELNS0_4arch9wavefront6targetE1EEEvT1_,"axG",@progbits,_ZN7rocprim17ROCPRIM_400000_NS6detail17trampoline_kernelINS0_14default_configENS1_20scan_config_selectorIsEEZZNS1_9scan_implILNS1_25lookback_scan_determinismE0ELb1ELb1ES3_N6thrust23THRUST_200600_302600_NS6detail15normal_iteratorINS9_10device_ptrIsEEEENS9_16discard_iteratorINS9_11use_defaultEEEsNS9_4plusIvEEsEEDaPvRmT3_T4_T5_mT6_P12ihipStream_tbENKUlT_T0_E_clISt17integral_constantIbLb1EESW_IbLb0EEEEDaSS_ST_EUlSS_E_NS1_11comp_targetILNS1_3genE10ELNS1_11target_archE1201ELNS1_3gpuE5ELNS1_3repE0EEENS1_30default_config_static_selectorELNS0_4arch9wavefront6targetE1EEEvT1_,comdat
.Lfunc_end5983:
	.size	_ZN7rocprim17ROCPRIM_400000_NS6detail17trampoline_kernelINS0_14default_configENS1_20scan_config_selectorIsEEZZNS1_9scan_implILNS1_25lookback_scan_determinismE0ELb1ELb1ES3_N6thrust23THRUST_200600_302600_NS6detail15normal_iteratorINS9_10device_ptrIsEEEENS9_16discard_iteratorINS9_11use_defaultEEEsNS9_4plusIvEEsEEDaPvRmT3_T4_T5_mT6_P12ihipStream_tbENKUlT_T0_E_clISt17integral_constantIbLb1EESW_IbLb0EEEEDaSS_ST_EUlSS_E_NS1_11comp_targetILNS1_3genE10ELNS1_11target_archE1201ELNS1_3gpuE5ELNS1_3repE0EEENS1_30default_config_static_selectorELNS0_4arch9wavefront6targetE1EEEvT1_, .Lfunc_end5983-_ZN7rocprim17ROCPRIM_400000_NS6detail17trampoline_kernelINS0_14default_configENS1_20scan_config_selectorIsEEZZNS1_9scan_implILNS1_25lookback_scan_determinismE0ELb1ELb1ES3_N6thrust23THRUST_200600_302600_NS6detail15normal_iteratorINS9_10device_ptrIsEEEENS9_16discard_iteratorINS9_11use_defaultEEEsNS9_4plusIvEEsEEDaPvRmT3_T4_T5_mT6_P12ihipStream_tbENKUlT_T0_E_clISt17integral_constantIbLb1EESW_IbLb0EEEEDaSS_ST_EUlSS_E_NS1_11comp_targetILNS1_3genE10ELNS1_11target_archE1201ELNS1_3gpuE5ELNS1_3repE0EEENS1_30default_config_static_selectorELNS0_4arch9wavefront6targetE1EEEvT1_
                                        ; -- End function
	.section	.AMDGPU.csdata,"",@progbits
; Kernel info:
; codeLenInByte = 0
; NumSgprs: 4
; NumVgprs: 0
; NumAgprs: 0
; TotalNumVgprs: 0
; ScratchSize: 0
; MemoryBound: 0
; FloatMode: 240
; IeeeMode: 1
; LDSByteSize: 0 bytes/workgroup (compile time only)
; SGPRBlocks: 0
; VGPRBlocks: 0
; NumSGPRsForWavesPerEU: 4
; NumVGPRsForWavesPerEU: 1
; AccumOffset: 4
; Occupancy: 8
; WaveLimiterHint : 0
; COMPUTE_PGM_RSRC2:SCRATCH_EN: 0
; COMPUTE_PGM_RSRC2:USER_SGPR: 6
; COMPUTE_PGM_RSRC2:TRAP_HANDLER: 0
; COMPUTE_PGM_RSRC2:TGID_X_EN: 1
; COMPUTE_PGM_RSRC2:TGID_Y_EN: 0
; COMPUTE_PGM_RSRC2:TGID_Z_EN: 0
; COMPUTE_PGM_RSRC2:TIDIG_COMP_CNT: 0
; COMPUTE_PGM_RSRC3_GFX90A:ACCUM_OFFSET: 0
; COMPUTE_PGM_RSRC3_GFX90A:TG_SPLIT: 0
	.section	.text._ZN7rocprim17ROCPRIM_400000_NS6detail17trampoline_kernelINS0_14default_configENS1_20scan_config_selectorIsEEZZNS1_9scan_implILNS1_25lookback_scan_determinismE0ELb1ELb1ES3_N6thrust23THRUST_200600_302600_NS6detail15normal_iteratorINS9_10device_ptrIsEEEENS9_16discard_iteratorINS9_11use_defaultEEEsNS9_4plusIvEEsEEDaPvRmT3_T4_T5_mT6_P12ihipStream_tbENKUlT_T0_E_clISt17integral_constantIbLb1EESW_IbLb0EEEEDaSS_ST_EUlSS_E_NS1_11comp_targetILNS1_3genE10ELNS1_11target_archE1200ELNS1_3gpuE4ELNS1_3repE0EEENS1_30default_config_static_selectorELNS0_4arch9wavefront6targetE1EEEvT1_,"axG",@progbits,_ZN7rocprim17ROCPRIM_400000_NS6detail17trampoline_kernelINS0_14default_configENS1_20scan_config_selectorIsEEZZNS1_9scan_implILNS1_25lookback_scan_determinismE0ELb1ELb1ES3_N6thrust23THRUST_200600_302600_NS6detail15normal_iteratorINS9_10device_ptrIsEEEENS9_16discard_iteratorINS9_11use_defaultEEEsNS9_4plusIvEEsEEDaPvRmT3_T4_T5_mT6_P12ihipStream_tbENKUlT_T0_E_clISt17integral_constantIbLb1EESW_IbLb0EEEEDaSS_ST_EUlSS_E_NS1_11comp_targetILNS1_3genE10ELNS1_11target_archE1200ELNS1_3gpuE4ELNS1_3repE0EEENS1_30default_config_static_selectorELNS0_4arch9wavefront6targetE1EEEvT1_,comdat
	.protected	_ZN7rocprim17ROCPRIM_400000_NS6detail17trampoline_kernelINS0_14default_configENS1_20scan_config_selectorIsEEZZNS1_9scan_implILNS1_25lookback_scan_determinismE0ELb1ELb1ES3_N6thrust23THRUST_200600_302600_NS6detail15normal_iteratorINS9_10device_ptrIsEEEENS9_16discard_iteratorINS9_11use_defaultEEEsNS9_4plusIvEEsEEDaPvRmT3_T4_T5_mT6_P12ihipStream_tbENKUlT_T0_E_clISt17integral_constantIbLb1EESW_IbLb0EEEEDaSS_ST_EUlSS_E_NS1_11comp_targetILNS1_3genE10ELNS1_11target_archE1200ELNS1_3gpuE4ELNS1_3repE0EEENS1_30default_config_static_selectorELNS0_4arch9wavefront6targetE1EEEvT1_ ; -- Begin function _ZN7rocprim17ROCPRIM_400000_NS6detail17trampoline_kernelINS0_14default_configENS1_20scan_config_selectorIsEEZZNS1_9scan_implILNS1_25lookback_scan_determinismE0ELb1ELb1ES3_N6thrust23THRUST_200600_302600_NS6detail15normal_iteratorINS9_10device_ptrIsEEEENS9_16discard_iteratorINS9_11use_defaultEEEsNS9_4plusIvEEsEEDaPvRmT3_T4_T5_mT6_P12ihipStream_tbENKUlT_T0_E_clISt17integral_constantIbLb1EESW_IbLb0EEEEDaSS_ST_EUlSS_E_NS1_11comp_targetILNS1_3genE10ELNS1_11target_archE1200ELNS1_3gpuE4ELNS1_3repE0EEENS1_30default_config_static_selectorELNS0_4arch9wavefront6targetE1EEEvT1_
	.globl	_ZN7rocprim17ROCPRIM_400000_NS6detail17trampoline_kernelINS0_14default_configENS1_20scan_config_selectorIsEEZZNS1_9scan_implILNS1_25lookback_scan_determinismE0ELb1ELb1ES3_N6thrust23THRUST_200600_302600_NS6detail15normal_iteratorINS9_10device_ptrIsEEEENS9_16discard_iteratorINS9_11use_defaultEEEsNS9_4plusIvEEsEEDaPvRmT3_T4_T5_mT6_P12ihipStream_tbENKUlT_T0_E_clISt17integral_constantIbLb1EESW_IbLb0EEEEDaSS_ST_EUlSS_E_NS1_11comp_targetILNS1_3genE10ELNS1_11target_archE1200ELNS1_3gpuE4ELNS1_3repE0EEENS1_30default_config_static_selectorELNS0_4arch9wavefront6targetE1EEEvT1_
	.p2align	8
	.type	_ZN7rocprim17ROCPRIM_400000_NS6detail17trampoline_kernelINS0_14default_configENS1_20scan_config_selectorIsEEZZNS1_9scan_implILNS1_25lookback_scan_determinismE0ELb1ELb1ES3_N6thrust23THRUST_200600_302600_NS6detail15normal_iteratorINS9_10device_ptrIsEEEENS9_16discard_iteratorINS9_11use_defaultEEEsNS9_4plusIvEEsEEDaPvRmT3_T4_T5_mT6_P12ihipStream_tbENKUlT_T0_E_clISt17integral_constantIbLb1EESW_IbLb0EEEEDaSS_ST_EUlSS_E_NS1_11comp_targetILNS1_3genE10ELNS1_11target_archE1200ELNS1_3gpuE4ELNS1_3repE0EEENS1_30default_config_static_selectorELNS0_4arch9wavefront6targetE1EEEvT1_,@function
_ZN7rocprim17ROCPRIM_400000_NS6detail17trampoline_kernelINS0_14default_configENS1_20scan_config_selectorIsEEZZNS1_9scan_implILNS1_25lookback_scan_determinismE0ELb1ELb1ES3_N6thrust23THRUST_200600_302600_NS6detail15normal_iteratorINS9_10device_ptrIsEEEENS9_16discard_iteratorINS9_11use_defaultEEEsNS9_4plusIvEEsEEDaPvRmT3_T4_T5_mT6_P12ihipStream_tbENKUlT_T0_E_clISt17integral_constantIbLb1EESW_IbLb0EEEEDaSS_ST_EUlSS_E_NS1_11comp_targetILNS1_3genE10ELNS1_11target_archE1200ELNS1_3gpuE4ELNS1_3repE0EEENS1_30default_config_static_selectorELNS0_4arch9wavefront6targetE1EEEvT1_: ; @_ZN7rocprim17ROCPRIM_400000_NS6detail17trampoline_kernelINS0_14default_configENS1_20scan_config_selectorIsEEZZNS1_9scan_implILNS1_25lookback_scan_determinismE0ELb1ELb1ES3_N6thrust23THRUST_200600_302600_NS6detail15normal_iteratorINS9_10device_ptrIsEEEENS9_16discard_iteratorINS9_11use_defaultEEEsNS9_4plusIvEEsEEDaPvRmT3_T4_T5_mT6_P12ihipStream_tbENKUlT_T0_E_clISt17integral_constantIbLb1EESW_IbLb0EEEEDaSS_ST_EUlSS_E_NS1_11comp_targetILNS1_3genE10ELNS1_11target_archE1200ELNS1_3gpuE4ELNS1_3repE0EEENS1_30default_config_static_selectorELNS0_4arch9wavefront6targetE1EEEvT1_
; %bb.0:
	.section	.rodata,"a",@progbits
	.p2align	6, 0x0
	.amdhsa_kernel _ZN7rocprim17ROCPRIM_400000_NS6detail17trampoline_kernelINS0_14default_configENS1_20scan_config_selectorIsEEZZNS1_9scan_implILNS1_25lookback_scan_determinismE0ELb1ELb1ES3_N6thrust23THRUST_200600_302600_NS6detail15normal_iteratorINS9_10device_ptrIsEEEENS9_16discard_iteratorINS9_11use_defaultEEEsNS9_4plusIvEEsEEDaPvRmT3_T4_T5_mT6_P12ihipStream_tbENKUlT_T0_E_clISt17integral_constantIbLb1EESW_IbLb0EEEEDaSS_ST_EUlSS_E_NS1_11comp_targetILNS1_3genE10ELNS1_11target_archE1200ELNS1_3gpuE4ELNS1_3repE0EEENS1_30default_config_static_selectorELNS0_4arch9wavefront6targetE1EEEvT1_
		.amdhsa_group_segment_fixed_size 0
		.amdhsa_private_segment_fixed_size 0
		.amdhsa_kernarg_size 104
		.amdhsa_user_sgpr_count 6
		.amdhsa_user_sgpr_private_segment_buffer 1
		.amdhsa_user_sgpr_dispatch_ptr 0
		.amdhsa_user_sgpr_queue_ptr 0
		.amdhsa_user_sgpr_kernarg_segment_ptr 1
		.amdhsa_user_sgpr_dispatch_id 0
		.amdhsa_user_sgpr_flat_scratch_init 0
		.amdhsa_user_sgpr_kernarg_preload_length 0
		.amdhsa_user_sgpr_kernarg_preload_offset 0
		.amdhsa_user_sgpr_private_segment_size 0
		.amdhsa_uses_dynamic_stack 0
		.amdhsa_system_sgpr_private_segment_wavefront_offset 0
		.amdhsa_system_sgpr_workgroup_id_x 1
		.amdhsa_system_sgpr_workgroup_id_y 0
		.amdhsa_system_sgpr_workgroup_id_z 0
		.amdhsa_system_sgpr_workgroup_info 0
		.amdhsa_system_vgpr_workitem_id 0
		.amdhsa_next_free_vgpr 1
		.amdhsa_next_free_sgpr 0
		.amdhsa_accum_offset 4
		.amdhsa_reserve_vcc 0
		.amdhsa_reserve_flat_scratch 0
		.amdhsa_float_round_mode_32 0
		.amdhsa_float_round_mode_16_64 0
		.amdhsa_float_denorm_mode_32 3
		.amdhsa_float_denorm_mode_16_64 3
		.amdhsa_dx10_clamp 1
		.amdhsa_ieee_mode 1
		.amdhsa_fp16_overflow 0
		.amdhsa_tg_split 0
		.amdhsa_exception_fp_ieee_invalid_op 0
		.amdhsa_exception_fp_denorm_src 0
		.amdhsa_exception_fp_ieee_div_zero 0
		.amdhsa_exception_fp_ieee_overflow 0
		.amdhsa_exception_fp_ieee_underflow 0
		.amdhsa_exception_fp_ieee_inexact 0
		.amdhsa_exception_int_div_zero 0
	.end_amdhsa_kernel
	.section	.text._ZN7rocprim17ROCPRIM_400000_NS6detail17trampoline_kernelINS0_14default_configENS1_20scan_config_selectorIsEEZZNS1_9scan_implILNS1_25lookback_scan_determinismE0ELb1ELb1ES3_N6thrust23THRUST_200600_302600_NS6detail15normal_iteratorINS9_10device_ptrIsEEEENS9_16discard_iteratorINS9_11use_defaultEEEsNS9_4plusIvEEsEEDaPvRmT3_T4_T5_mT6_P12ihipStream_tbENKUlT_T0_E_clISt17integral_constantIbLb1EESW_IbLb0EEEEDaSS_ST_EUlSS_E_NS1_11comp_targetILNS1_3genE10ELNS1_11target_archE1200ELNS1_3gpuE4ELNS1_3repE0EEENS1_30default_config_static_selectorELNS0_4arch9wavefront6targetE1EEEvT1_,"axG",@progbits,_ZN7rocprim17ROCPRIM_400000_NS6detail17trampoline_kernelINS0_14default_configENS1_20scan_config_selectorIsEEZZNS1_9scan_implILNS1_25lookback_scan_determinismE0ELb1ELb1ES3_N6thrust23THRUST_200600_302600_NS6detail15normal_iteratorINS9_10device_ptrIsEEEENS9_16discard_iteratorINS9_11use_defaultEEEsNS9_4plusIvEEsEEDaPvRmT3_T4_T5_mT6_P12ihipStream_tbENKUlT_T0_E_clISt17integral_constantIbLb1EESW_IbLb0EEEEDaSS_ST_EUlSS_E_NS1_11comp_targetILNS1_3genE10ELNS1_11target_archE1200ELNS1_3gpuE4ELNS1_3repE0EEENS1_30default_config_static_selectorELNS0_4arch9wavefront6targetE1EEEvT1_,comdat
.Lfunc_end5984:
	.size	_ZN7rocprim17ROCPRIM_400000_NS6detail17trampoline_kernelINS0_14default_configENS1_20scan_config_selectorIsEEZZNS1_9scan_implILNS1_25lookback_scan_determinismE0ELb1ELb1ES3_N6thrust23THRUST_200600_302600_NS6detail15normal_iteratorINS9_10device_ptrIsEEEENS9_16discard_iteratorINS9_11use_defaultEEEsNS9_4plusIvEEsEEDaPvRmT3_T4_T5_mT6_P12ihipStream_tbENKUlT_T0_E_clISt17integral_constantIbLb1EESW_IbLb0EEEEDaSS_ST_EUlSS_E_NS1_11comp_targetILNS1_3genE10ELNS1_11target_archE1200ELNS1_3gpuE4ELNS1_3repE0EEENS1_30default_config_static_selectorELNS0_4arch9wavefront6targetE1EEEvT1_, .Lfunc_end5984-_ZN7rocprim17ROCPRIM_400000_NS6detail17trampoline_kernelINS0_14default_configENS1_20scan_config_selectorIsEEZZNS1_9scan_implILNS1_25lookback_scan_determinismE0ELb1ELb1ES3_N6thrust23THRUST_200600_302600_NS6detail15normal_iteratorINS9_10device_ptrIsEEEENS9_16discard_iteratorINS9_11use_defaultEEEsNS9_4plusIvEEsEEDaPvRmT3_T4_T5_mT6_P12ihipStream_tbENKUlT_T0_E_clISt17integral_constantIbLb1EESW_IbLb0EEEEDaSS_ST_EUlSS_E_NS1_11comp_targetILNS1_3genE10ELNS1_11target_archE1200ELNS1_3gpuE4ELNS1_3repE0EEENS1_30default_config_static_selectorELNS0_4arch9wavefront6targetE1EEEvT1_
                                        ; -- End function
	.section	.AMDGPU.csdata,"",@progbits
; Kernel info:
; codeLenInByte = 0
; NumSgprs: 4
; NumVgprs: 0
; NumAgprs: 0
; TotalNumVgprs: 0
; ScratchSize: 0
; MemoryBound: 0
; FloatMode: 240
; IeeeMode: 1
; LDSByteSize: 0 bytes/workgroup (compile time only)
; SGPRBlocks: 0
; VGPRBlocks: 0
; NumSGPRsForWavesPerEU: 4
; NumVGPRsForWavesPerEU: 1
; AccumOffset: 4
; Occupancy: 8
; WaveLimiterHint : 0
; COMPUTE_PGM_RSRC2:SCRATCH_EN: 0
; COMPUTE_PGM_RSRC2:USER_SGPR: 6
; COMPUTE_PGM_RSRC2:TRAP_HANDLER: 0
; COMPUTE_PGM_RSRC2:TGID_X_EN: 1
; COMPUTE_PGM_RSRC2:TGID_Y_EN: 0
; COMPUTE_PGM_RSRC2:TGID_Z_EN: 0
; COMPUTE_PGM_RSRC2:TIDIG_COMP_CNT: 0
; COMPUTE_PGM_RSRC3_GFX90A:ACCUM_OFFSET: 0
; COMPUTE_PGM_RSRC3_GFX90A:TG_SPLIT: 0
	.section	.text._ZN7rocprim17ROCPRIM_400000_NS6detail17trampoline_kernelINS0_14default_configENS1_20scan_config_selectorIsEEZZNS1_9scan_implILNS1_25lookback_scan_determinismE0ELb1ELb1ES3_N6thrust23THRUST_200600_302600_NS6detail15normal_iteratorINS9_10device_ptrIsEEEENS9_16discard_iteratorINS9_11use_defaultEEEsNS9_4plusIvEEsEEDaPvRmT3_T4_T5_mT6_P12ihipStream_tbENKUlT_T0_E_clISt17integral_constantIbLb1EESW_IbLb0EEEEDaSS_ST_EUlSS_E_NS1_11comp_targetILNS1_3genE9ELNS1_11target_archE1100ELNS1_3gpuE3ELNS1_3repE0EEENS1_30default_config_static_selectorELNS0_4arch9wavefront6targetE1EEEvT1_,"axG",@progbits,_ZN7rocprim17ROCPRIM_400000_NS6detail17trampoline_kernelINS0_14default_configENS1_20scan_config_selectorIsEEZZNS1_9scan_implILNS1_25lookback_scan_determinismE0ELb1ELb1ES3_N6thrust23THRUST_200600_302600_NS6detail15normal_iteratorINS9_10device_ptrIsEEEENS9_16discard_iteratorINS9_11use_defaultEEEsNS9_4plusIvEEsEEDaPvRmT3_T4_T5_mT6_P12ihipStream_tbENKUlT_T0_E_clISt17integral_constantIbLb1EESW_IbLb0EEEEDaSS_ST_EUlSS_E_NS1_11comp_targetILNS1_3genE9ELNS1_11target_archE1100ELNS1_3gpuE3ELNS1_3repE0EEENS1_30default_config_static_selectorELNS0_4arch9wavefront6targetE1EEEvT1_,comdat
	.protected	_ZN7rocprim17ROCPRIM_400000_NS6detail17trampoline_kernelINS0_14default_configENS1_20scan_config_selectorIsEEZZNS1_9scan_implILNS1_25lookback_scan_determinismE0ELb1ELb1ES3_N6thrust23THRUST_200600_302600_NS6detail15normal_iteratorINS9_10device_ptrIsEEEENS9_16discard_iteratorINS9_11use_defaultEEEsNS9_4plusIvEEsEEDaPvRmT3_T4_T5_mT6_P12ihipStream_tbENKUlT_T0_E_clISt17integral_constantIbLb1EESW_IbLb0EEEEDaSS_ST_EUlSS_E_NS1_11comp_targetILNS1_3genE9ELNS1_11target_archE1100ELNS1_3gpuE3ELNS1_3repE0EEENS1_30default_config_static_selectorELNS0_4arch9wavefront6targetE1EEEvT1_ ; -- Begin function _ZN7rocprim17ROCPRIM_400000_NS6detail17trampoline_kernelINS0_14default_configENS1_20scan_config_selectorIsEEZZNS1_9scan_implILNS1_25lookback_scan_determinismE0ELb1ELb1ES3_N6thrust23THRUST_200600_302600_NS6detail15normal_iteratorINS9_10device_ptrIsEEEENS9_16discard_iteratorINS9_11use_defaultEEEsNS9_4plusIvEEsEEDaPvRmT3_T4_T5_mT6_P12ihipStream_tbENKUlT_T0_E_clISt17integral_constantIbLb1EESW_IbLb0EEEEDaSS_ST_EUlSS_E_NS1_11comp_targetILNS1_3genE9ELNS1_11target_archE1100ELNS1_3gpuE3ELNS1_3repE0EEENS1_30default_config_static_selectorELNS0_4arch9wavefront6targetE1EEEvT1_
	.globl	_ZN7rocprim17ROCPRIM_400000_NS6detail17trampoline_kernelINS0_14default_configENS1_20scan_config_selectorIsEEZZNS1_9scan_implILNS1_25lookback_scan_determinismE0ELb1ELb1ES3_N6thrust23THRUST_200600_302600_NS6detail15normal_iteratorINS9_10device_ptrIsEEEENS9_16discard_iteratorINS9_11use_defaultEEEsNS9_4plusIvEEsEEDaPvRmT3_T4_T5_mT6_P12ihipStream_tbENKUlT_T0_E_clISt17integral_constantIbLb1EESW_IbLb0EEEEDaSS_ST_EUlSS_E_NS1_11comp_targetILNS1_3genE9ELNS1_11target_archE1100ELNS1_3gpuE3ELNS1_3repE0EEENS1_30default_config_static_selectorELNS0_4arch9wavefront6targetE1EEEvT1_
	.p2align	8
	.type	_ZN7rocprim17ROCPRIM_400000_NS6detail17trampoline_kernelINS0_14default_configENS1_20scan_config_selectorIsEEZZNS1_9scan_implILNS1_25lookback_scan_determinismE0ELb1ELb1ES3_N6thrust23THRUST_200600_302600_NS6detail15normal_iteratorINS9_10device_ptrIsEEEENS9_16discard_iteratorINS9_11use_defaultEEEsNS9_4plusIvEEsEEDaPvRmT3_T4_T5_mT6_P12ihipStream_tbENKUlT_T0_E_clISt17integral_constantIbLb1EESW_IbLb0EEEEDaSS_ST_EUlSS_E_NS1_11comp_targetILNS1_3genE9ELNS1_11target_archE1100ELNS1_3gpuE3ELNS1_3repE0EEENS1_30default_config_static_selectorELNS0_4arch9wavefront6targetE1EEEvT1_,@function
_ZN7rocprim17ROCPRIM_400000_NS6detail17trampoline_kernelINS0_14default_configENS1_20scan_config_selectorIsEEZZNS1_9scan_implILNS1_25lookback_scan_determinismE0ELb1ELb1ES3_N6thrust23THRUST_200600_302600_NS6detail15normal_iteratorINS9_10device_ptrIsEEEENS9_16discard_iteratorINS9_11use_defaultEEEsNS9_4plusIvEEsEEDaPvRmT3_T4_T5_mT6_P12ihipStream_tbENKUlT_T0_E_clISt17integral_constantIbLb1EESW_IbLb0EEEEDaSS_ST_EUlSS_E_NS1_11comp_targetILNS1_3genE9ELNS1_11target_archE1100ELNS1_3gpuE3ELNS1_3repE0EEENS1_30default_config_static_selectorELNS0_4arch9wavefront6targetE1EEEvT1_: ; @_ZN7rocprim17ROCPRIM_400000_NS6detail17trampoline_kernelINS0_14default_configENS1_20scan_config_selectorIsEEZZNS1_9scan_implILNS1_25lookback_scan_determinismE0ELb1ELb1ES3_N6thrust23THRUST_200600_302600_NS6detail15normal_iteratorINS9_10device_ptrIsEEEENS9_16discard_iteratorINS9_11use_defaultEEEsNS9_4plusIvEEsEEDaPvRmT3_T4_T5_mT6_P12ihipStream_tbENKUlT_T0_E_clISt17integral_constantIbLb1EESW_IbLb0EEEEDaSS_ST_EUlSS_E_NS1_11comp_targetILNS1_3genE9ELNS1_11target_archE1100ELNS1_3gpuE3ELNS1_3repE0EEENS1_30default_config_static_selectorELNS0_4arch9wavefront6targetE1EEEvT1_
; %bb.0:
	.section	.rodata,"a",@progbits
	.p2align	6, 0x0
	.amdhsa_kernel _ZN7rocprim17ROCPRIM_400000_NS6detail17trampoline_kernelINS0_14default_configENS1_20scan_config_selectorIsEEZZNS1_9scan_implILNS1_25lookback_scan_determinismE0ELb1ELb1ES3_N6thrust23THRUST_200600_302600_NS6detail15normal_iteratorINS9_10device_ptrIsEEEENS9_16discard_iteratorINS9_11use_defaultEEEsNS9_4plusIvEEsEEDaPvRmT3_T4_T5_mT6_P12ihipStream_tbENKUlT_T0_E_clISt17integral_constantIbLb1EESW_IbLb0EEEEDaSS_ST_EUlSS_E_NS1_11comp_targetILNS1_3genE9ELNS1_11target_archE1100ELNS1_3gpuE3ELNS1_3repE0EEENS1_30default_config_static_selectorELNS0_4arch9wavefront6targetE1EEEvT1_
		.amdhsa_group_segment_fixed_size 0
		.amdhsa_private_segment_fixed_size 0
		.amdhsa_kernarg_size 104
		.amdhsa_user_sgpr_count 6
		.amdhsa_user_sgpr_private_segment_buffer 1
		.amdhsa_user_sgpr_dispatch_ptr 0
		.amdhsa_user_sgpr_queue_ptr 0
		.amdhsa_user_sgpr_kernarg_segment_ptr 1
		.amdhsa_user_sgpr_dispatch_id 0
		.amdhsa_user_sgpr_flat_scratch_init 0
		.amdhsa_user_sgpr_kernarg_preload_length 0
		.amdhsa_user_sgpr_kernarg_preload_offset 0
		.amdhsa_user_sgpr_private_segment_size 0
		.amdhsa_uses_dynamic_stack 0
		.amdhsa_system_sgpr_private_segment_wavefront_offset 0
		.amdhsa_system_sgpr_workgroup_id_x 1
		.amdhsa_system_sgpr_workgroup_id_y 0
		.amdhsa_system_sgpr_workgroup_id_z 0
		.amdhsa_system_sgpr_workgroup_info 0
		.amdhsa_system_vgpr_workitem_id 0
		.amdhsa_next_free_vgpr 1
		.amdhsa_next_free_sgpr 0
		.amdhsa_accum_offset 4
		.amdhsa_reserve_vcc 0
		.amdhsa_reserve_flat_scratch 0
		.amdhsa_float_round_mode_32 0
		.amdhsa_float_round_mode_16_64 0
		.amdhsa_float_denorm_mode_32 3
		.amdhsa_float_denorm_mode_16_64 3
		.amdhsa_dx10_clamp 1
		.amdhsa_ieee_mode 1
		.amdhsa_fp16_overflow 0
		.amdhsa_tg_split 0
		.amdhsa_exception_fp_ieee_invalid_op 0
		.amdhsa_exception_fp_denorm_src 0
		.amdhsa_exception_fp_ieee_div_zero 0
		.amdhsa_exception_fp_ieee_overflow 0
		.amdhsa_exception_fp_ieee_underflow 0
		.amdhsa_exception_fp_ieee_inexact 0
		.amdhsa_exception_int_div_zero 0
	.end_amdhsa_kernel
	.section	.text._ZN7rocprim17ROCPRIM_400000_NS6detail17trampoline_kernelINS0_14default_configENS1_20scan_config_selectorIsEEZZNS1_9scan_implILNS1_25lookback_scan_determinismE0ELb1ELb1ES3_N6thrust23THRUST_200600_302600_NS6detail15normal_iteratorINS9_10device_ptrIsEEEENS9_16discard_iteratorINS9_11use_defaultEEEsNS9_4plusIvEEsEEDaPvRmT3_T4_T5_mT6_P12ihipStream_tbENKUlT_T0_E_clISt17integral_constantIbLb1EESW_IbLb0EEEEDaSS_ST_EUlSS_E_NS1_11comp_targetILNS1_3genE9ELNS1_11target_archE1100ELNS1_3gpuE3ELNS1_3repE0EEENS1_30default_config_static_selectorELNS0_4arch9wavefront6targetE1EEEvT1_,"axG",@progbits,_ZN7rocprim17ROCPRIM_400000_NS6detail17trampoline_kernelINS0_14default_configENS1_20scan_config_selectorIsEEZZNS1_9scan_implILNS1_25lookback_scan_determinismE0ELb1ELb1ES3_N6thrust23THRUST_200600_302600_NS6detail15normal_iteratorINS9_10device_ptrIsEEEENS9_16discard_iteratorINS9_11use_defaultEEEsNS9_4plusIvEEsEEDaPvRmT3_T4_T5_mT6_P12ihipStream_tbENKUlT_T0_E_clISt17integral_constantIbLb1EESW_IbLb0EEEEDaSS_ST_EUlSS_E_NS1_11comp_targetILNS1_3genE9ELNS1_11target_archE1100ELNS1_3gpuE3ELNS1_3repE0EEENS1_30default_config_static_selectorELNS0_4arch9wavefront6targetE1EEEvT1_,comdat
.Lfunc_end5985:
	.size	_ZN7rocprim17ROCPRIM_400000_NS6detail17trampoline_kernelINS0_14default_configENS1_20scan_config_selectorIsEEZZNS1_9scan_implILNS1_25lookback_scan_determinismE0ELb1ELb1ES3_N6thrust23THRUST_200600_302600_NS6detail15normal_iteratorINS9_10device_ptrIsEEEENS9_16discard_iteratorINS9_11use_defaultEEEsNS9_4plusIvEEsEEDaPvRmT3_T4_T5_mT6_P12ihipStream_tbENKUlT_T0_E_clISt17integral_constantIbLb1EESW_IbLb0EEEEDaSS_ST_EUlSS_E_NS1_11comp_targetILNS1_3genE9ELNS1_11target_archE1100ELNS1_3gpuE3ELNS1_3repE0EEENS1_30default_config_static_selectorELNS0_4arch9wavefront6targetE1EEEvT1_, .Lfunc_end5985-_ZN7rocprim17ROCPRIM_400000_NS6detail17trampoline_kernelINS0_14default_configENS1_20scan_config_selectorIsEEZZNS1_9scan_implILNS1_25lookback_scan_determinismE0ELb1ELb1ES3_N6thrust23THRUST_200600_302600_NS6detail15normal_iteratorINS9_10device_ptrIsEEEENS9_16discard_iteratorINS9_11use_defaultEEEsNS9_4plusIvEEsEEDaPvRmT3_T4_T5_mT6_P12ihipStream_tbENKUlT_T0_E_clISt17integral_constantIbLb1EESW_IbLb0EEEEDaSS_ST_EUlSS_E_NS1_11comp_targetILNS1_3genE9ELNS1_11target_archE1100ELNS1_3gpuE3ELNS1_3repE0EEENS1_30default_config_static_selectorELNS0_4arch9wavefront6targetE1EEEvT1_
                                        ; -- End function
	.section	.AMDGPU.csdata,"",@progbits
; Kernel info:
; codeLenInByte = 0
; NumSgprs: 4
; NumVgprs: 0
; NumAgprs: 0
; TotalNumVgprs: 0
; ScratchSize: 0
; MemoryBound: 0
; FloatMode: 240
; IeeeMode: 1
; LDSByteSize: 0 bytes/workgroup (compile time only)
; SGPRBlocks: 0
; VGPRBlocks: 0
; NumSGPRsForWavesPerEU: 4
; NumVGPRsForWavesPerEU: 1
; AccumOffset: 4
; Occupancy: 8
; WaveLimiterHint : 0
; COMPUTE_PGM_RSRC2:SCRATCH_EN: 0
; COMPUTE_PGM_RSRC2:USER_SGPR: 6
; COMPUTE_PGM_RSRC2:TRAP_HANDLER: 0
; COMPUTE_PGM_RSRC2:TGID_X_EN: 1
; COMPUTE_PGM_RSRC2:TGID_Y_EN: 0
; COMPUTE_PGM_RSRC2:TGID_Z_EN: 0
; COMPUTE_PGM_RSRC2:TIDIG_COMP_CNT: 0
; COMPUTE_PGM_RSRC3_GFX90A:ACCUM_OFFSET: 0
; COMPUTE_PGM_RSRC3_GFX90A:TG_SPLIT: 0
	.section	.text._ZN7rocprim17ROCPRIM_400000_NS6detail17trampoline_kernelINS0_14default_configENS1_20scan_config_selectorIsEEZZNS1_9scan_implILNS1_25lookback_scan_determinismE0ELb1ELb1ES3_N6thrust23THRUST_200600_302600_NS6detail15normal_iteratorINS9_10device_ptrIsEEEENS9_16discard_iteratorINS9_11use_defaultEEEsNS9_4plusIvEEsEEDaPvRmT3_T4_T5_mT6_P12ihipStream_tbENKUlT_T0_E_clISt17integral_constantIbLb1EESW_IbLb0EEEEDaSS_ST_EUlSS_E_NS1_11comp_targetILNS1_3genE8ELNS1_11target_archE1030ELNS1_3gpuE2ELNS1_3repE0EEENS1_30default_config_static_selectorELNS0_4arch9wavefront6targetE1EEEvT1_,"axG",@progbits,_ZN7rocprim17ROCPRIM_400000_NS6detail17trampoline_kernelINS0_14default_configENS1_20scan_config_selectorIsEEZZNS1_9scan_implILNS1_25lookback_scan_determinismE0ELb1ELb1ES3_N6thrust23THRUST_200600_302600_NS6detail15normal_iteratorINS9_10device_ptrIsEEEENS9_16discard_iteratorINS9_11use_defaultEEEsNS9_4plusIvEEsEEDaPvRmT3_T4_T5_mT6_P12ihipStream_tbENKUlT_T0_E_clISt17integral_constantIbLb1EESW_IbLb0EEEEDaSS_ST_EUlSS_E_NS1_11comp_targetILNS1_3genE8ELNS1_11target_archE1030ELNS1_3gpuE2ELNS1_3repE0EEENS1_30default_config_static_selectorELNS0_4arch9wavefront6targetE1EEEvT1_,comdat
	.protected	_ZN7rocprim17ROCPRIM_400000_NS6detail17trampoline_kernelINS0_14default_configENS1_20scan_config_selectorIsEEZZNS1_9scan_implILNS1_25lookback_scan_determinismE0ELb1ELb1ES3_N6thrust23THRUST_200600_302600_NS6detail15normal_iteratorINS9_10device_ptrIsEEEENS9_16discard_iteratorINS9_11use_defaultEEEsNS9_4plusIvEEsEEDaPvRmT3_T4_T5_mT6_P12ihipStream_tbENKUlT_T0_E_clISt17integral_constantIbLb1EESW_IbLb0EEEEDaSS_ST_EUlSS_E_NS1_11comp_targetILNS1_3genE8ELNS1_11target_archE1030ELNS1_3gpuE2ELNS1_3repE0EEENS1_30default_config_static_selectorELNS0_4arch9wavefront6targetE1EEEvT1_ ; -- Begin function _ZN7rocprim17ROCPRIM_400000_NS6detail17trampoline_kernelINS0_14default_configENS1_20scan_config_selectorIsEEZZNS1_9scan_implILNS1_25lookback_scan_determinismE0ELb1ELb1ES3_N6thrust23THRUST_200600_302600_NS6detail15normal_iteratorINS9_10device_ptrIsEEEENS9_16discard_iteratorINS9_11use_defaultEEEsNS9_4plusIvEEsEEDaPvRmT3_T4_T5_mT6_P12ihipStream_tbENKUlT_T0_E_clISt17integral_constantIbLb1EESW_IbLb0EEEEDaSS_ST_EUlSS_E_NS1_11comp_targetILNS1_3genE8ELNS1_11target_archE1030ELNS1_3gpuE2ELNS1_3repE0EEENS1_30default_config_static_selectorELNS0_4arch9wavefront6targetE1EEEvT1_
	.globl	_ZN7rocprim17ROCPRIM_400000_NS6detail17trampoline_kernelINS0_14default_configENS1_20scan_config_selectorIsEEZZNS1_9scan_implILNS1_25lookback_scan_determinismE0ELb1ELb1ES3_N6thrust23THRUST_200600_302600_NS6detail15normal_iteratorINS9_10device_ptrIsEEEENS9_16discard_iteratorINS9_11use_defaultEEEsNS9_4plusIvEEsEEDaPvRmT3_T4_T5_mT6_P12ihipStream_tbENKUlT_T0_E_clISt17integral_constantIbLb1EESW_IbLb0EEEEDaSS_ST_EUlSS_E_NS1_11comp_targetILNS1_3genE8ELNS1_11target_archE1030ELNS1_3gpuE2ELNS1_3repE0EEENS1_30default_config_static_selectorELNS0_4arch9wavefront6targetE1EEEvT1_
	.p2align	8
	.type	_ZN7rocprim17ROCPRIM_400000_NS6detail17trampoline_kernelINS0_14default_configENS1_20scan_config_selectorIsEEZZNS1_9scan_implILNS1_25lookback_scan_determinismE0ELb1ELb1ES3_N6thrust23THRUST_200600_302600_NS6detail15normal_iteratorINS9_10device_ptrIsEEEENS9_16discard_iteratorINS9_11use_defaultEEEsNS9_4plusIvEEsEEDaPvRmT3_T4_T5_mT6_P12ihipStream_tbENKUlT_T0_E_clISt17integral_constantIbLb1EESW_IbLb0EEEEDaSS_ST_EUlSS_E_NS1_11comp_targetILNS1_3genE8ELNS1_11target_archE1030ELNS1_3gpuE2ELNS1_3repE0EEENS1_30default_config_static_selectorELNS0_4arch9wavefront6targetE1EEEvT1_,@function
_ZN7rocprim17ROCPRIM_400000_NS6detail17trampoline_kernelINS0_14default_configENS1_20scan_config_selectorIsEEZZNS1_9scan_implILNS1_25lookback_scan_determinismE0ELb1ELb1ES3_N6thrust23THRUST_200600_302600_NS6detail15normal_iteratorINS9_10device_ptrIsEEEENS9_16discard_iteratorINS9_11use_defaultEEEsNS9_4plusIvEEsEEDaPvRmT3_T4_T5_mT6_P12ihipStream_tbENKUlT_T0_E_clISt17integral_constantIbLb1EESW_IbLb0EEEEDaSS_ST_EUlSS_E_NS1_11comp_targetILNS1_3genE8ELNS1_11target_archE1030ELNS1_3gpuE2ELNS1_3repE0EEENS1_30default_config_static_selectorELNS0_4arch9wavefront6targetE1EEEvT1_: ; @_ZN7rocprim17ROCPRIM_400000_NS6detail17trampoline_kernelINS0_14default_configENS1_20scan_config_selectorIsEEZZNS1_9scan_implILNS1_25lookback_scan_determinismE0ELb1ELb1ES3_N6thrust23THRUST_200600_302600_NS6detail15normal_iteratorINS9_10device_ptrIsEEEENS9_16discard_iteratorINS9_11use_defaultEEEsNS9_4plusIvEEsEEDaPvRmT3_T4_T5_mT6_P12ihipStream_tbENKUlT_T0_E_clISt17integral_constantIbLb1EESW_IbLb0EEEEDaSS_ST_EUlSS_E_NS1_11comp_targetILNS1_3genE8ELNS1_11target_archE1030ELNS1_3gpuE2ELNS1_3repE0EEENS1_30default_config_static_selectorELNS0_4arch9wavefront6targetE1EEEvT1_
; %bb.0:
	.section	.rodata,"a",@progbits
	.p2align	6, 0x0
	.amdhsa_kernel _ZN7rocprim17ROCPRIM_400000_NS6detail17trampoline_kernelINS0_14default_configENS1_20scan_config_selectorIsEEZZNS1_9scan_implILNS1_25lookback_scan_determinismE0ELb1ELb1ES3_N6thrust23THRUST_200600_302600_NS6detail15normal_iteratorINS9_10device_ptrIsEEEENS9_16discard_iteratorINS9_11use_defaultEEEsNS9_4plusIvEEsEEDaPvRmT3_T4_T5_mT6_P12ihipStream_tbENKUlT_T0_E_clISt17integral_constantIbLb1EESW_IbLb0EEEEDaSS_ST_EUlSS_E_NS1_11comp_targetILNS1_3genE8ELNS1_11target_archE1030ELNS1_3gpuE2ELNS1_3repE0EEENS1_30default_config_static_selectorELNS0_4arch9wavefront6targetE1EEEvT1_
		.amdhsa_group_segment_fixed_size 0
		.amdhsa_private_segment_fixed_size 0
		.amdhsa_kernarg_size 104
		.amdhsa_user_sgpr_count 6
		.amdhsa_user_sgpr_private_segment_buffer 1
		.amdhsa_user_sgpr_dispatch_ptr 0
		.amdhsa_user_sgpr_queue_ptr 0
		.amdhsa_user_sgpr_kernarg_segment_ptr 1
		.amdhsa_user_sgpr_dispatch_id 0
		.amdhsa_user_sgpr_flat_scratch_init 0
		.amdhsa_user_sgpr_kernarg_preload_length 0
		.amdhsa_user_sgpr_kernarg_preload_offset 0
		.amdhsa_user_sgpr_private_segment_size 0
		.amdhsa_uses_dynamic_stack 0
		.amdhsa_system_sgpr_private_segment_wavefront_offset 0
		.amdhsa_system_sgpr_workgroup_id_x 1
		.amdhsa_system_sgpr_workgroup_id_y 0
		.amdhsa_system_sgpr_workgroup_id_z 0
		.amdhsa_system_sgpr_workgroup_info 0
		.amdhsa_system_vgpr_workitem_id 0
		.amdhsa_next_free_vgpr 1
		.amdhsa_next_free_sgpr 0
		.amdhsa_accum_offset 4
		.amdhsa_reserve_vcc 0
		.amdhsa_reserve_flat_scratch 0
		.amdhsa_float_round_mode_32 0
		.amdhsa_float_round_mode_16_64 0
		.amdhsa_float_denorm_mode_32 3
		.amdhsa_float_denorm_mode_16_64 3
		.amdhsa_dx10_clamp 1
		.amdhsa_ieee_mode 1
		.amdhsa_fp16_overflow 0
		.amdhsa_tg_split 0
		.amdhsa_exception_fp_ieee_invalid_op 0
		.amdhsa_exception_fp_denorm_src 0
		.amdhsa_exception_fp_ieee_div_zero 0
		.amdhsa_exception_fp_ieee_overflow 0
		.amdhsa_exception_fp_ieee_underflow 0
		.amdhsa_exception_fp_ieee_inexact 0
		.amdhsa_exception_int_div_zero 0
	.end_amdhsa_kernel
	.section	.text._ZN7rocprim17ROCPRIM_400000_NS6detail17trampoline_kernelINS0_14default_configENS1_20scan_config_selectorIsEEZZNS1_9scan_implILNS1_25lookback_scan_determinismE0ELb1ELb1ES3_N6thrust23THRUST_200600_302600_NS6detail15normal_iteratorINS9_10device_ptrIsEEEENS9_16discard_iteratorINS9_11use_defaultEEEsNS9_4plusIvEEsEEDaPvRmT3_T4_T5_mT6_P12ihipStream_tbENKUlT_T0_E_clISt17integral_constantIbLb1EESW_IbLb0EEEEDaSS_ST_EUlSS_E_NS1_11comp_targetILNS1_3genE8ELNS1_11target_archE1030ELNS1_3gpuE2ELNS1_3repE0EEENS1_30default_config_static_selectorELNS0_4arch9wavefront6targetE1EEEvT1_,"axG",@progbits,_ZN7rocprim17ROCPRIM_400000_NS6detail17trampoline_kernelINS0_14default_configENS1_20scan_config_selectorIsEEZZNS1_9scan_implILNS1_25lookback_scan_determinismE0ELb1ELb1ES3_N6thrust23THRUST_200600_302600_NS6detail15normal_iteratorINS9_10device_ptrIsEEEENS9_16discard_iteratorINS9_11use_defaultEEEsNS9_4plusIvEEsEEDaPvRmT3_T4_T5_mT6_P12ihipStream_tbENKUlT_T0_E_clISt17integral_constantIbLb1EESW_IbLb0EEEEDaSS_ST_EUlSS_E_NS1_11comp_targetILNS1_3genE8ELNS1_11target_archE1030ELNS1_3gpuE2ELNS1_3repE0EEENS1_30default_config_static_selectorELNS0_4arch9wavefront6targetE1EEEvT1_,comdat
.Lfunc_end5986:
	.size	_ZN7rocprim17ROCPRIM_400000_NS6detail17trampoline_kernelINS0_14default_configENS1_20scan_config_selectorIsEEZZNS1_9scan_implILNS1_25lookback_scan_determinismE0ELb1ELb1ES3_N6thrust23THRUST_200600_302600_NS6detail15normal_iteratorINS9_10device_ptrIsEEEENS9_16discard_iteratorINS9_11use_defaultEEEsNS9_4plusIvEEsEEDaPvRmT3_T4_T5_mT6_P12ihipStream_tbENKUlT_T0_E_clISt17integral_constantIbLb1EESW_IbLb0EEEEDaSS_ST_EUlSS_E_NS1_11comp_targetILNS1_3genE8ELNS1_11target_archE1030ELNS1_3gpuE2ELNS1_3repE0EEENS1_30default_config_static_selectorELNS0_4arch9wavefront6targetE1EEEvT1_, .Lfunc_end5986-_ZN7rocprim17ROCPRIM_400000_NS6detail17trampoline_kernelINS0_14default_configENS1_20scan_config_selectorIsEEZZNS1_9scan_implILNS1_25lookback_scan_determinismE0ELb1ELb1ES3_N6thrust23THRUST_200600_302600_NS6detail15normal_iteratorINS9_10device_ptrIsEEEENS9_16discard_iteratorINS9_11use_defaultEEEsNS9_4plusIvEEsEEDaPvRmT3_T4_T5_mT6_P12ihipStream_tbENKUlT_T0_E_clISt17integral_constantIbLb1EESW_IbLb0EEEEDaSS_ST_EUlSS_E_NS1_11comp_targetILNS1_3genE8ELNS1_11target_archE1030ELNS1_3gpuE2ELNS1_3repE0EEENS1_30default_config_static_selectorELNS0_4arch9wavefront6targetE1EEEvT1_
                                        ; -- End function
	.section	.AMDGPU.csdata,"",@progbits
; Kernel info:
; codeLenInByte = 0
; NumSgprs: 4
; NumVgprs: 0
; NumAgprs: 0
; TotalNumVgprs: 0
; ScratchSize: 0
; MemoryBound: 0
; FloatMode: 240
; IeeeMode: 1
; LDSByteSize: 0 bytes/workgroup (compile time only)
; SGPRBlocks: 0
; VGPRBlocks: 0
; NumSGPRsForWavesPerEU: 4
; NumVGPRsForWavesPerEU: 1
; AccumOffset: 4
; Occupancy: 8
; WaveLimiterHint : 0
; COMPUTE_PGM_RSRC2:SCRATCH_EN: 0
; COMPUTE_PGM_RSRC2:USER_SGPR: 6
; COMPUTE_PGM_RSRC2:TRAP_HANDLER: 0
; COMPUTE_PGM_RSRC2:TGID_X_EN: 1
; COMPUTE_PGM_RSRC2:TGID_Y_EN: 0
; COMPUTE_PGM_RSRC2:TGID_Z_EN: 0
; COMPUTE_PGM_RSRC2:TIDIG_COMP_CNT: 0
; COMPUTE_PGM_RSRC3_GFX90A:ACCUM_OFFSET: 0
; COMPUTE_PGM_RSRC3_GFX90A:TG_SPLIT: 0
	.section	.text._ZN7rocprim17ROCPRIM_400000_NS6detail17trampoline_kernelINS0_14default_configENS1_20scan_config_selectorIsEEZZNS1_9scan_implILNS1_25lookback_scan_determinismE0ELb1ELb1ES3_N6thrust23THRUST_200600_302600_NS6detail15normal_iteratorINS9_10device_ptrIsEEEENS9_16discard_iteratorINS9_11use_defaultEEEsNS9_4plusIvEEsEEDaPvRmT3_T4_T5_mT6_P12ihipStream_tbENKUlT_T0_E_clISt17integral_constantIbLb1EESW_IbLb0EEEEDaSS_ST_EUlSS_E0_NS1_11comp_targetILNS1_3genE0ELNS1_11target_archE4294967295ELNS1_3gpuE0ELNS1_3repE0EEENS1_30default_config_static_selectorELNS0_4arch9wavefront6targetE1EEEvT1_,"axG",@progbits,_ZN7rocprim17ROCPRIM_400000_NS6detail17trampoline_kernelINS0_14default_configENS1_20scan_config_selectorIsEEZZNS1_9scan_implILNS1_25lookback_scan_determinismE0ELb1ELb1ES3_N6thrust23THRUST_200600_302600_NS6detail15normal_iteratorINS9_10device_ptrIsEEEENS9_16discard_iteratorINS9_11use_defaultEEEsNS9_4plusIvEEsEEDaPvRmT3_T4_T5_mT6_P12ihipStream_tbENKUlT_T0_E_clISt17integral_constantIbLb1EESW_IbLb0EEEEDaSS_ST_EUlSS_E0_NS1_11comp_targetILNS1_3genE0ELNS1_11target_archE4294967295ELNS1_3gpuE0ELNS1_3repE0EEENS1_30default_config_static_selectorELNS0_4arch9wavefront6targetE1EEEvT1_,comdat
	.protected	_ZN7rocprim17ROCPRIM_400000_NS6detail17trampoline_kernelINS0_14default_configENS1_20scan_config_selectorIsEEZZNS1_9scan_implILNS1_25lookback_scan_determinismE0ELb1ELb1ES3_N6thrust23THRUST_200600_302600_NS6detail15normal_iteratorINS9_10device_ptrIsEEEENS9_16discard_iteratorINS9_11use_defaultEEEsNS9_4plusIvEEsEEDaPvRmT3_T4_T5_mT6_P12ihipStream_tbENKUlT_T0_E_clISt17integral_constantIbLb1EESW_IbLb0EEEEDaSS_ST_EUlSS_E0_NS1_11comp_targetILNS1_3genE0ELNS1_11target_archE4294967295ELNS1_3gpuE0ELNS1_3repE0EEENS1_30default_config_static_selectorELNS0_4arch9wavefront6targetE1EEEvT1_ ; -- Begin function _ZN7rocprim17ROCPRIM_400000_NS6detail17trampoline_kernelINS0_14default_configENS1_20scan_config_selectorIsEEZZNS1_9scan_implILNS1_25lookback_scan_determinismE0ELb1ELb1ES3_N6thrust23THRUST_200600_302600_NS6detail15normal_iteratorINS9_10device_ptrIsEEEENS9_16discard_iteratorINS9_11use_defaultEEEsNS9_4plusIvEEsEEDaPvRmT3_T4_T5_mT6_P12ihipStream_tbENKUlT_T0_E_clISt17integral_constantIbLb1EESW_IbLb0EEEEDaSS_ST_EUlSS_E0_NS1_11comp_targetILNS1_3genE0ELNS1_11target_archE4294967295ELNS1_3gpuE0ELNS1_3repE0EEENS1_30default_config_static_selectorELNS0_4arch9wavefront6targetE1EEEvT1_
	.globl	_ZN7rocprim17ROCPRIM_400000_NS6detail17trampoline_kernelINS0_14default_configENS1_20scan_config_selectorIsEEZZNS1_9scan_implILNS1_25lookback_scan_determinismE0ELb1ELb1ES3_N6thrust23THRUST_200600_302600_NS6detail15normal_iteratorINS9_10device_ptrIsEEEENS9_16discard_iteratorINS9_11use_defaultEEEsNS9_4plusIvEEsEEDaPvRmT3_T4_T5_mT6_P12ihipStream_tbENKUlT_T0_E_clISt17integral_constantIbLb1EESW_IbLb0EEEEDaSS_ST_EUlSS_E0_NS1_11comp_targetILNS1_3genE0ELNS1_11target_archE4294967295ELNS1_3gpuE0ELNS1_3repE0EEENS1_30default_config_static_selectorELNS0_4arch9wavefront6targetE1EEEvT1_
	.p2align	8
	.type	_ZN7rocprim17ROCPRIM_400000_NS6detail17trampoline_kernelINS0_14default_configENS1_20scan_config_selectorIsEEZZNS1_9scan_implILNS1_25lookback_scan_determinismE0ELb1ELb1ES3_N6thrust23THRUST_200600_302600_NS6detail15normal_iteratorINS9_10device_ptrIsEEEENS9_16discard_iteratorINS9_11use_defaultEEEsNS9_4plusIvEEsEEDaPvRmT3_T4_T5_mT6_P12ihipStream_tbENKUlT_T0_E_clISt17integral_constantIbLb1EESW_IbLb0EEEEDaSS_ST_EUlSS_E0_NS1_11comp_targetILNS1_3genE0ELNS1_11target_archE4294967295ELNS1_3gpuE0ELNS1_3repE0EEENS1_30default_config_static_selectorELNS0_4arch9wavefront6targetE1EEEvT1_,@function
_ZN7rocprim17ROCPRIM_400000_NS6detail17trampoline_kernelINS0_14default_configENS1_20scan_config_selectorIsEEZZNS1_9scan_implILNS1_25lookback_scan_determinismE0ELb1ELb1ES3_N6thrust23THRUST_200600_302600_NS6detail15normal_iteratorINS9_10device_ptrIsEEEENS9_16discard_iteratorINS9_11use_defaultEEEsNS9_4plusIvEEsEEDaPvRmT3_T4_T5_mT6_P12ihipStream_tbENKUlT_T0_E_clISt17integral_constantIbLb1EESW_IbLb0EEEEDaSS_ST_EUlSS_E0_NS1_11comp_targetILNS1_3genE0ELNS1_11target_archE4294967295ELNS1_3gpuE0ELNS1_3repE0EEENS1_30default_config_static_selectorELNS0_4arch9wavefront6targetE1EEEvT1_: ; @_ZN7rocprim17ROCPRIM_400000_NS6detail17trampoline_kernelINS0_14default_configENS1_20scan_config_selectorIsEEZZNS1_9scan_implILNS1_25lookback_scan_determinismE0ELb1ELb1ES3_N6thrust23THRUST_200600_302600_NS6detail15normal_iteratorINS9_10device_ptrIsEEEENS9_16discard_iteratorINS9_11use_defaultEEEsNS9_4plusIvEEsEEDaPvRmT3_T4_T5_mT6_P12ihipStream_tbENKUlT_T0_E_clISt17integral_constantIbLb1EESW_IbLb0EEEEDaSS_ST_EUlSS_E0_NS1_11comp_targetILNS1_3genE0ELNS1_11target_archE4294967295ELNS1_3gpuE0ELNS1_3repE0EEENS1_30default_config_static_selectorELNS0_4arch9wavefront6targetE1EEEvT1_
; %bb.0:
	.section	.rodata,"a",@progbits
	.p2align	6, 0x0
	.amdhsa_kernel _ZN7rocprim17ROCPRIM_400000_NS6detail17trampoline_kernelINS0_14default_configENS1_20scan_config_selectorIsEEZZNS1_9scan_implILNS1_25lookback_scan_determinismE0ELb1ELb1ES3_N6thrust23THRUST_200600_302600_NS6detail15normal_iteratorINS9_10device_ptrIsEEEENS9_16discard_iteratorINS9_11use_defaultEEEsNS9_4plusIvEEsEEDaPvRmT3_T4_T5_mT6_P12ihipStream_tbENKUlT_T0_E_clISt17integral_constantIbLb1EESW_IbLb0EEEEDaSS_ST_EUlSS_E0_NS1_11comp_targetILNS1_3genE0ELNS1_11target_archE4294967295ELNS1_3gpuE0ELNS1_3repE0EEENS1_30default_config_static_selectorELNS0_4arch9wavefront6targetE1EEEvT1_
		.amdhsa_group_segment_fixed_size 0
		.amdhsa_private_segment_fixed_size 0
		.amdhsa_kernarg_size 40
		.amdhsa_user_sgpr_count 6
		.amdhsa_user_sgpr_private_segment_buffer 1
		.amdhsa_user_sgpr_dispatch_ptr 0
		.amdhsa_user_sgpr_queue_ptr 0
		.amdhsa_user_sgpr_kernarg_segment_ptr 1
		.amdhsa_user_sgpr_dispatch_id 0
		.amdhsa_user_sgpr_flat_scratch_init 0
		.amdhsa_user_sgpr_kernarg_preload_length 0
		.amdhsa_user_sgpr_kernarg_preload_offset 0
		.amdhsa_user_sgpr_private_segment_size 0
		.amdhsa_uses_dynamic_stack 0
		.amdhsa_system_sgpr_private_segment_wavefront_offset 0
		.amdhsa_system_sgpr_workgroup_id_x 1
		.amdhsa_system_sgpr_workgroup_id_y 0
		.amdhsa_system_sgpr_workgroup_id_z 0
		.amdhsa_system_sgpr_workgroup_info 0
		.amdhsa_system_vgpr_workitem_id 0
		.amdhsa_next_free_vgpr 1
		.amdhsa_next_free_sgpr 0
		.amdhsa_accum_offset 4
		.amdhsa_reserve_vcc 0
		.amdhsa_reserve_flat_scratch 0
		.amdhsa_float_round_mode_32 0
		.amdhsa_float_round_mode_16_64 0
		.amdhsa_float_denorm_mode_32 3
		.amdhsa_float_denorm_mode_16_64 3
		.amdhsa_dx10_clamp 1
		.amdhsa_ieee_mode 1
		.amdhsa_fp16_overflow 0
		.amdhsa_tg_split 0
		.amdhsa_exception_fp_ieee_invalid_op 0
		.amdhsa_exception_fp_denorm_src 0
		.amdhsa_exception_fp_ieee_div_zero 0
		.amdhsa_exception_fp_ieee_overflow 0
		.amdhsa_exception_fp_ieee_underflow 0
		.amdhsa_exception_fp_ieee_inexact 0
		.amdhsa_exception_int_div_zero 0
	.end_amdhsa_kernel
	.section	.text._ZN7rocprim17ROCPRIM_400000_NS6detail17trampoline_kernelINS0_14default_configENS1_20scan_config_selectorIsEEZZNS1_9scan_implILNS1_25lookback_scan_determinismE0ELb1ELb1ES3_N6thrust23THRUST_200600_302600_NS6detail15normal_iteratorINS9_10device_ptrIsEEEENS9_16discard_iteratorINS9_11use_defaultEEEsNS9_4plusIvEEsEEDaPvRmT3_T4_T5_mT6_P12ihipStream_tbENKUlT_T0_E_clISt17integral_constantIbLb1EESW_IbLb0EEEEDaSS_ST_EUlSS_E0_NS1_11comp_targetILNS1_3genE0ELNS1_11target_archE4294967295ELNS1_3gpuE0ELNS1_3repE0EEENS1_30default_config_static_selectorELNS0_4arch9wavefront6targetE1EEEvT1_,"axG",@progbits,_ZN7rocprim17ROCPRIM_400000_NS6detail17trampoline_kernelINS0_14default_configENS1_20scan_config_selectorIsEEZZNS1_9scan_implILNS1_25lookback_scan_determinismE0ELb1ELb1ES3_N6thrust23THRUST_200600_302600_NS6detail15normal_iteratorINS9_10device_ptrIsEEEENS9_16discard_iteratorINS9_11use_defaultEEEsNS9_4plusIvEEsEEDaPvRmT3_T4_T5_mT6_P12ihipStream_tbENKUlT_T0_E_clISt17integral_constantIbLb1EESW_IbLb0EEEEDaSS_ST_EUlSS_E0_NS1_11comp_targetILNS1_3genE0ELNS1_11target_archE4294967295ELNS1_3gpuE0ELNS1_3repE0EEENS1_30default_config_static_selectorELNS0_4arch9wavefront6targetE1EEEvT1_,comdat
.Lfunc_end5987:
	.size	_ZN7rocprim17ROCPRIM_400000_NS6detail17trampoline_kernelINS0_14default_configENS1_20scan_config_selectorIsEEZZNS1_9scan_implILNS1_25lookback_scan_determinismE0ELb1ELb1ES3_N6thrust23THRUST_200600_302600_NS6detail15normal_iteratorINS9_10device_ptrIsEEEENS9_16discard_iteratorINS9_11use_defaultEEEsNS9_4plusIvEEsEEDaPvRmT3_T4_T5_mT6_P12ihipStream_tbENKUlT_T0_E_clISt17integral_constantIbLb1EESW_IbLb0EEEEDaSS_ST_EUlSS_E0_NS1_11comp_targetILNS1_3genE0ELNS1_11target_archE4294967295ELNS1_3gpuE0ELNS1_3repE0EEENS1_30default_config_static_selectorELNS0_4arch9wavefront6targetE1EEEvT1_, .Lfunc_end5987-_ZN7rocprim17ROCPRIM_400000_NS6detail17trampoline_kernelINS0_14default_configENS1_20scan_config_selectorIsEEZZNS1_9scan_implILNS1_25lookback_scan_determinismE0ELb1ELb1ES3_N6thrust23THRUST_200600_302600_NS6detail15normal_iteratorINS9_10device_ptrIsEEEENS9_16discard_iteratorINS9_11use_defaultEEEsNS9_4plusIvEEsEEDaPvRmT3_T4_T5_mT6_P12ihipStream_tbENKUlT_T0_E_clISt17integral_constantIbLb1EESW_IbLb0EEEEDaSS_ST_EUlSS_E0_NS1_11comp_targetILNS1_3genE0ELNS1_11target_archE4294967295ELNS1_3gpuE0ELNS1_3repE0EEENS1_30default_config_static_selectorELNS0_4arch9wavefront6targetE1EEEvT1_
                                        ; -- End function
	.section	.AMDGPU.csdata,"",@progbits
; Kernel info:
; codeLenInByte = 0
; NumSgprs: 4
; NumVgprs: 0
; NumAgprs: 0
; TotalNumVgprs: 0
; ScratchSize: 0
; MemoryBound: 0
; FloatMode: 240
; IeeeMode: 1
; LDSByteSize: 0 bytes/workgroup (compile time only)
; SGPRBlocks: 0
; VGPRBlocks: 0
; NumSGPRsForWavesPerEU: 4
; NumVGPRsForWavesPerEU: 1
; AccumOffset: 4
; Occupancy: 8
; WaveLimiterHint : 0
; COMPUTE_PGM_RSRC2:SCRATCH_EN: 0
; COMPUTE_PGM_RSRC2:USER_SGPR: 6
; COMPUTE_PGM_RSRC2:TRAP_HANDLER: 0
; COMPUTE_PGM_RSRC2:TGID_X_EN: 1
; COMPUTE_PGM_RSRC2:TGID_Y_EN: 0
; COMPUTE_PGM_RSRC2:TGID_Z_EN: 0
; COMPUTE_PGM_RSRC2:TIDIG_COMP_CNT: 0
; COMPUTE_PGM_RSRC3_GFX90A:ACCUM_OFFSET: 0
; COMPUTE_PGM_RSRC3_GFX90A:TG_SPLIT: 0
	.section	.text._ZN7rocprim17ROCPRIM_400000_NS6detail17trampoline_kernelINS0_14default_configENS1_20scan_config_selectorIsEEZZNS1_9scan_implILNS1_25lookback_scan_determinismE0ELb1ELb1ES3_N6thrust23THRUST_200600_302600_NS6detail15normal_iteratorINS9_10device_ptrIsEEEENS9_16discard_iteratorINS9_11use_defaultEEEsNS9_4plusIvEEsEEDaPvRmT3_T4_T5_mT6_P12ihipStream_tbENKUlT_T0_E_clISt17integral_constantIbLb1EESW_IbLb0EEEEDaSS_ST_EUlSS_E0_NS1_11comp_targetILNS1_3genE5ELNS1_11target_archE942ELNS1_3gpuE9ELNS1_3repE0EEENS1_30default_config_static_selectorELNS0_4arch9wavefront6targetE1EEEvT1_,"axG",@progbits,_ZN7rocprim17ROCPRIM_400000_NS6detail17trampoline_kernelINS0_14default_configENS1_20scan_config_selectorIsEEZZNS1_9scan_implILNS1_25lookback_scan_determinismE0ELb1ELb1ES3_N6thrust23THRUST_200600_302600_NS6detail15normal_iteratorINS9_10device_ptrIsEEEENS9_16discard_iteratorINS9_11use_defaultEEEsNS9_4plusIvEEsEEDaPvRmT3_T4_T5_mT6_P12ihipStream_tbENKUlT_T0_E_clISt17integral_constantIbLb1EESW_IbLb0EEEEDaSS_ST_EUlSS_E0_NS1_11comp_targetILNS1_3genE5ELNS1_11target_archE942ELNS1_3gpuE9ELNS1_3repE0EEENS1_30default_config_static_selectorELNS0_4arch9wavefront6targetE1EEEvT1_,comdat
	.protected	_ZN7rocprim17ROCPRIM_400000_NS6detail17trampoline_kernelINS0_14default_configENS1_20scan_config_selectorIsEEZZNS1_9scan_implILNS1_25lookback_scan_determinismE0ELb1ELb1ES3_N6thrust23THRUST_200600_302600_NS6detail15normal_iteratorINS9_10device_ptrIsEEEENS9_16discard_iteratorINS9_11use_defaultEEEsNS9_4plusIvEEsEEDaPvRmT3_T4_T5_mT6_P12ihipStream_tbENKUlT_T0_E_clISt17integral_constantIbLb1EESW_IbLb0EEEEDaSS_ST_EUlSS_E0_NS1_11comp_targetILNS1_3genE5ELNS1_11target_archE942ELNS1_3gpuE9ELNS1_3repE0EEENS1_30default_config_static_selectorELNS0_4arch9wavefront6targetE1EEEvT1_ ; -- Begin function _ZN7rocprim17ROCPRIM_400000_NS6detail17trampoline_kernelINS0_14default_configENS1_20scan_config_selectorIsEEZZNS1_9scan_implILNS1_25lookback_scan_determinismE0ELb1ELb1ES3_N6thrust23THRUST_200600_302600_NS6detail15normal_iteratorINS9_10device_ptrIsEEEENS9_16discard_iteratorINS9_11use_defaultEEEsNS9_4plusIvEEsEEDaPvRmT3_T4_T5_mT6_P12ihipStream_tbENKUlT_T0_E_clISt17integral_constantIbLb1EESW_IbLb0EEEEDaSS_ST_EUlSS_E0_NS1_11comp_targetILNS1_3genE5ELNS1_11target_archE942ELNS1_3gpuE9ELNS1_3repE0EEENS1_30default_config_static_selectorELNS0_4arch9wavefront6targetE1EEEvT1_
	.globl	_ZN7rocprim17ROCPRIM_400000_NS6detail17trampoline_kernelINS0_14default_configENS1_20scan_config_selectorIsEEZZNS1_9scan_implILNS1_25lookback_scan_determinismE0ELb1ELb1ES3_N6thrust23THRUST_200600_302600_NS6detail15normal_iteratorINS9_10device_ptrIsEEEENS9_16discard_iteratorINS9_11use_defaultEEEsNS9_4plusIvEEsEEDaPvRmT3_T4_T5_mT6_P12ihipStream_tbENKUlT_T0_E_clISt17integral_constantIbLb1EESW_IbLb0EEEEDaSS_ST_EUlSS_E0_NS1_11comp_targetILNS1_3genE5ELNS1_11target_archE942ELNS1_3gpuE9ELNS1_3repE0EEENS1_30default_config_static_selectorELNS0_4arch9wavefront6targetE1EEEvT1_
	.p2align	8
	.type	_ZN7rocprim17ROCPRIM_400000_NS6detail17trampoline_kernelINS0_14default_configENS1_20scan_config_selectorIsEEZZNS1_9scan_implILNS1_25lookback_scan_determinismE0ELb1ELb1ES3_N6thrust23THRUST_200600_302600_NS6detail15normal_iteratorINS9_10device_ptrIsEEEENS9_16discard_iteratorINS9_11use_defaultEEEsNS9_4plusIvEEsEEDaPvRmT3_T4_T5_mT6_P12ihipStream_tbENKUlT_T0_E_clISt17integral_constantIbLb1EESW_IbLb0EEEEDaSS_ST_EUlSS_E0_NS1_11comp_targetILNS1_3genE5ELNS1_11target_archE942ELNS1_3gpuE9ELNS1_3repE0EEENS1_30default_config_static_selectorELNS0_4arch9wavefront6targetE1EEEvT1_,@function
_ZN7rocprim17ROCPRIM_400000_NS6detail17trampoline_kernelINS0_14default_configENS1_20scan_config_selectorIsEEZZNS1_9scan_implILNS1_25lookback_scan_determinismE0ELb1ELb1ES3_N6thrust23THRUST_200600_302600_NS6detail15normal_iteratorINS9_10device_ptrIsEEEENS9_16discard_iteratorINS9_11use_defaultEEEsNS9_4plusIvEEsEEDaPvRmT3_T4_T5_mT6_P12ihipStream_tbENKUlT_T0_E_clISt17integral_constantIbLb1EESW_IbLb0EEEEDaSS_ST_EUlSS_E0_NS1_11comp_targetILNS1_3genE5ELNS1_11target_archE942ELNS1_3gpuE9ELNS1_3repE0EEENS1_30default_config_static_selectorELNS0_4arch9wavefront6targetE1EEEvT1_: ; @_ZN7rocprim17ROCPRIM_400000_NS6detail17trampoline_kernelINS0_14default_configENS1_20scan_config_selectorIsEEZZNS1_9scan_implILNS1_25lookback_scan_determinismE0ELb1ELb1ES3_N6thrust23THRUST_200600_302600_NS6detail15normal_iteratorINS9_10device_ptrIsEEEENS9_16discard_iteratorINS9_11use_defaultEEEsNS9_4plusIvEEsEEDaPvRmT3_T4_T5_mT6_P12ihipStream_tbENKUlT_T0_E_clISt17integral_constantIbLb1EESW_IbLb0EEEEDaSS_ST_EUlSS_E0_NS1_11comp_targetILNS1_3genE5ELNS1_11target_archE942ELNS1_3gpuE9ELNS1_3repE0EEENS1_30default_config_static_selectorELNS0_4arch9wavefront6targetE1EEEvT1_
; %bb.0:
	.section	.rodata,"a",@progbits
	.p2align	6, 0x0
	.amdhsa_kernel _ZN7rocprim17ROCPRIM_400000_NS6detail17trampoline_kernelINS0_14default_configENS1_20scan_config_selectorIsEEZZNS1_9scan_implILNS1_25lookback_scan_determinismE0ELb1ELb1ES3_N6thrust23THRUST_200600_302600_NS6detail15normal_iteratorINS9_10device_ptrIsEEEENS9_16discard_iteratorINS9_11use_defaultEEEsNS9_4plusIvEEsEEDaPvRmT3_T4_T5_mT6_P12ihipStream_tbENKUlT_T0_E_clISt17integral_constantIbLb1EESW_IbLb0EEEEDaSS_ST_EUlSS_E0_NS1_11comp_targetILNS1_3genE5ELNS1_11target_archE942ELNS1_3gpuE9ELNS1_3repE0EEENS1_30default_config_static_selectorELNS0_4arch9wavefront6targetE1EEEvT1_
		.amdhsa_group_segment_fixed_size 0
		.amdhsa_private_segment_fixed_size 0
		.amdhsa_kernarg_size 40
		.amdhsa_user_sgpr_count 6
		.amdhsa_user_sgpr_private_segment_buffer 1
		.amdhsa_user_sgpr_dispatch_ptr 0
		.amdhsa_user_sgpr_queue_ptr 0
		.amdhsa_user_sgpr_kernarg_segment_ptr 1
		.amdhsa_user_sgpr_dispatch_id 0
		.amdhsa_user_sgpr_flat_scratch_init 0
		.amdhsa_user_sgpr_kernarg_preload_length 0
		.amdhsa_user_sgpr_kernarg_preload_offset 0
		.amdhsa_user_sgpr_private_segment_size 0
		.amdhsa_uses_dynamic_stack 0
		.amdhsa_system_sgpr_private_segment_wavefront_offset 0
		.amdhsa_system_sgpr_workgroup_id_x 1
		.amdhsa_system_sgpr_workgroup_id_y 0
		.amdhsa_system_sgpr_workgroup_id_z 0
		.amdhsa_system_sgpr_workgroup_info 0
		.amdhsa_system_vgpr_workitem_id 0
		.amdhsa_next_free_vgpr 1
		.amdhsa_next_free_sgpr 0
		.amdhsa_accum_offset 4
		.amdhsa_reserve_vcc 0
		.amdhsa_reserve_flat_scratch 0
		.amdhsa_float_round_mode_32 0
		.amdhsa_float_round_mode_16_64 0
		.amdhsa_float_denorm_mode_32 3
		.amdhsa_float_denorm_mode_16_64 3
		.amdhsa_dx10_clamp 1
		.amdhsa_ieee_mode 1
		.amdhsa_fp16_overflow 0
		.amdhsa_tg_split 0
		.amdhsa_exception_fp_ieee_invalid_op 0
		.amdhsa_exception_fp_denorm_src 0
		.amdhsa_exception_fp_ieee_div_zero 0
		.amdhsa_exception_fp_ieee_overflow 0
		.amdhsa_exception_fp_ieee_underflow 0
		.amdhsa_exception_fp_ieee_inexact 0
		.amdhsa_exception_int_div_zero 0
	.end_amdhsa_kernel
	.section	.text._ZN7rocprim17ROCPRIM_400000_NS6detail17trampoline_kernelINS0_14default_configENS1_20scan_config_selectorIsEEZZNS1_9scan_implILNS1_25lookback_scan_determinismE0ELb1ELb1ES3_N6thrust23THRUST_200600_302600_NS6detail15normal_iteratorINS9_10device_ptrIsEEEENS9_16discard_iteratorINS9_11use_defaultEEEsNS9_4plusIvEEsEEDaPvRmT3_T4_T5_mT6_P12ihipStream_tbENKUlT_T0_E_clISt17integral_constantIbLb1EESW_IbLb0EEEEDaSS_ST_EUlSS_E0_NS1_11comp_targetILNS1_3genE5ELNS1_11target_archE942ELNS1_3gpuE9ELNS1_3repE0EEENS1_30default_config_static_selectorELNS0_4arch9wavefront6targetE1EEEvT1_,"axG",@progbits,_ZN7rocprim17ROCPRIM_400000_NS6detail17trampoline_kernelINS0_14default_configENS1_20scan_config_selectorIsEEZZNS1_9scan_implILNS1_25lookback_scan_determinismE0ELb1ELb1ES3_N6thrust23THRUST_200600_302600_NS6detail15normal_iteratorINS9_10device_ptrIsEEEENS9_16discard_iteratorINS9_11use_defaultEEEsNS9_4plusIvEEsEEDaPvRmT3_T4_T5_mT6_P12ihipStream_tbENKUlT_T0_E_clISt17integral_constantIbLb1EESW_IbLb0EEEEDaSS_ST_EUlSS_E0_NS1_11comp_targetILNS1_3genE5ELNS1_11target_archE942ELNS1_3gpuE9ELNS1_3repE0EEENS1_30default_config_static_selectorELNS0_4arch9wavefront6targetE1EEEvT1_,comdat
.Lfunc_end5988:
	.size	_ZN7rocprim17ROCPRIM_400000_NS6detail17trampoline_kernelINS0_14default_configENS1_20scan_config_selectorIsEEZZNS1_9scan_implILNS1_25lookback_scan_determinismE0ELb1ELb1ES3_N6thrust23THRUST_200600_302600_NS6detail15normal_iteratorINS9_10device_ptrIsEEEENS9_16discard_iteratorINS9_11use_defaultEEEsNS9_4plusIvEEsEEDaPvRmT3_T4_T5_mT6_P12ihipStream_tbENKUlT_T0_E_clISt17integral_constantIbLb1EESW_IbLb0EEEEDaSS_ST_EUlSS_E0_NS1_11comp_targetILNS1_3genE5ELNS1_11target_archE942ELNS1_3gpuE9ELNS1_3repE0EEENS1_30default_config_static_selectorELNS0_4arch9wavefront6targetE1EEEvT1_, .Lfunc_end5988-_ZN7rocprim17ROCPRIM_400000_NS6detail17trampoline_kernelINS0_14default_configENS1_20scan_config_selectorIsEEZZNS1_9scan_implILNS1_25lookback_scan_determinismE0ELb1ELb1ES3_N6thrust23THRUST_200600_302600_NS6detail15normal_iteratorINS9_10device_ptrIsEEEENS9_16discard_iteratorINS9_11use_defaultEEEsNS9_4plusIvEEsEEDaPvRmT3_T4_T5_mT6_P12ihipStream_tbENKUlT_T0_E_clISt17integral_constantIbLb1EESW_IbLb0EEEEDaSS_ST_EUlSS_E0_NS1_11comp_targetILNS1_3genE5ELNS1_11target_archE942ELNS1_3gpuE9ELNS1_3repE0EEENS1_30default_config_static_selectorELNS0_4arch9wavefront6targetE1EEEvT1_
                                        ; -- End function
	.section	.AMDGPU.csdata,"",@progbits
; Kernel info:
; codeLenInByte = 0
; NumSgprs: 4
; NumVgprs: 0
; NumAgprs: 0
; TotalNumVgprs: 0
; ScratchSize: 0
; MemoryBound: 0
; FloatMode: 240
; IeeeMode: 1
; LDSByteSize: 0 bytes/workgroup (compile time only)
; SGPRBlocks: 0
; VGPRBlocks: 0
; NumSGPRsForWavesPerEU: 4
; NumVGPRsForWavesPerEU: 1
; AccumOffset: 4
; Occupancy: 8
; WaveLimiterHint : 0
; COMPUTE_PGM_RSRC2:SCRATCH_EN: 0
; COMPUTE_PGM_RSRC2:USER_SGPR: 6
; COMPUTE_PGM_RSRC2:TRAP_HANDLER: 0
; COMPUTE_PGM_RSRC2:TGID_X_EN: 1
; COMPUTE_PGM_RSRC2:TGID_Y_EN: 0
; COMPUTE_PGM_RSRC2:TGID_Z_EN: 0
; COMPUTE_PGM_RSRC2:TIDIG_COMP_CNT: 0
; COMPUTE_PGM_RSRC3_GFX90A:ACCUM_OFFSET: 0
; COMPUTE_PGM_RSRC3_GFX90A:TG_SPLIT: 0
	.section	.text._ZN7rocprim17ROCPRIM_400000_NS6detail17trampoline_kernelINS0_14default_configENS1_20scan_config_selectorIsEEZZNS1_9scan_implILNS1_25lookback_scan_determinismE0ELb1ELb1ES3_N6thrust23THRUST_200600_302600_NS6detail15normal_iteratorINS9_10device_ptrIsEEEENS9_16discard_iteratorINS9_11use_defaultEEEsNS9_4plusIvEEsEEDaPvRmT3_T4_T5_mT6_P12ihipStream_tbENKUlT_T0_E_clISt17integral_constantIbLb1EESW_IbLb0EEEEDaSS_ST_EUlSS_E0_NS1_11comp_targetILNS1_3genE4ELNS1_11target_archE910ELNS1_3gpuE8ELNS1_3repE0EEENS1_30default_config_static_selectorELNS0_4arch9wavefront6targetE1EEEvT1_,"axG",@progbits,_ZN7rocprim17ROCPRIM_400000_NS6detail17trampoline_kernelINS0_14default_configENS1_20scan_config_selectorIsEEZZNS1_9scan_implILNS1_25lookback_scan_determinismE0ELb1ELb1ES3_N6thrust23THRUST_200600_302600_NS6detail15normal_iteratorINS9_10device_ptrIsEEEENS9_16discard_iteratorINS9_11use_defaultEEEsNS9_4plusIvEEsEEDaPvRmT3_T4_T5_mT6_P12ihipStream_tbENKUlT_T0_E_clISt17integral_constantIbLb1EESW_IbLb0EEEEDaSS_ST_EUlSS_E0_NS1_11comp_targetILNS1_3genE4ELNS1_11target_archE910ELNS1_3gpuE8ELNS1_3repE0EEENS1_30default_config_static_selectorELNS0_4arch9wavefront6targetE1EEEvT1_,comdat
	.protected	_ZN7rocprim17ROCPRIM_400000_NS6detail17trampoline_kernelINS0_14default_configENS1_20scan_config_selectorIsEEZZNS1_9scan_implILNS1_25lookback_scan_determinismE0ELb1ELb1ES3_N6thrust23THRUST_200600_302600_NS6detail15normal_iteratorINS9_10device_ptrIsEEEENS9_16discard_iteratorINS9_11use_defaultEEEsNS9_4plusIvEEsEEDaPvRmT3_T4_T5_mT6_P12ihipStream_tbENKUlT_T0_E_clISt17integral_constantIbLb1EESW_IbLb0EEEEDaSS_ST_EUlSS_E0_NS1_11comp_targetILNS1_3genE4ELNS1_11target_archE910ELNS1_3gpuE8ELNS1_3repE0EEENS1_30default_config_static_selectorELNS0_4arch9wavefront6targetE1EEEvT1_ ; -- Begin function _ZN7rocprim17ROCPRIM_400000_NS6detail17trampoline_kernelINS0_14default_configENS1_20scan_config_selectorIsEEZZNS1_9scan_implILNS1_25lookback_scan_determinismE0ELb1ELb1ES3_N6thrust23THRUST_200600_302600_NS6detail15normal_iteratorINS9_10device_ptrIsEEEENS9_16discard_iteratorINS9_11use_defaultEEEsNS9_4plusIvEEsEEDaPvRmT3_T4_T5_mT6_P12ihipStream_tbENKUlT_T0_E_clISt17integral_constantIbLb1EESW_IbLb0EEEEDaSS_ST_EUlSS_E0_NS1_11comp_targetILNS1_3genE4ELNS1_11target_archE910ELNS1_3gpuE8ELNS1_3repE0EEENS1_30default_config_static_selectorELNS0_4arch9wavefront6targetE1EEEvT1_
	.globl	_ZN7rocprim17ROCPRIM_400000_NS6detail17trampoline_kernelINS0_14default_configENS1_20scan_config_selectorIsEEZZNS1_9scan_implILNS1_25lookback_scan_determinismE0ELb1ELb1ES3_N6thrust23THRUST_200600_302600_NS6detail15normal_iteratorINS9_10device_ptrIsEEEENS9_16discard_iteratorINS9_11use_defaultEEEsNS9_4plusIvEEsEEDaPvRmT3_T4_T5_mT6_P12ihipStream_tbENKUlT_T0_E_clISt17integral_constantIbLb1EESW_IbLb0EEEEDaSS_ST_EUlSS_E0_NS1_11comp_targetILNS1_3genE4ELNS1_11target_archE910ELNS1_3gpuE8ELNS1_3repE0EEENS1_30default_config_static_selectorELNS0_4arch9wavefront6targetE1EEEvT1_
	.p2align	8
	.type	_ZN7rocprim17ROCPRIM_400000_NS6detail17trampoline_kernelINS0_14default_configENS1_20scan_config_selectorIsEEZZNS1_9scan_implILNS1_25lookback_scan_determinismE0ELb1ELb1ES3_N6thrust23THRUST_200600_302600_NS6detail15normal_iteratorINS9_10device_ptrIsEEEENS9_16discard_iteratorINS9_11use_defaultEEEsNS9_4plusIvEEsEEDaPvRmT3_T4_T5_mT6_P12ihipStream_tbENKUlT_T0_E_clISt17integral_constantIbLb1EESW_IbLb0EEEEDaSS_ST_EUlSS_E0_NS1_11comp_targetILNS1_3genE4ELNS1_11target_archE910ELNS1_3gpuE8ELNS1_3repE0EEENS1_30default_config_static_selectorELNS0_4arch9wavefront6targetE1EEEvT1_,@function
_ZN7rocprim17ROCPRIM_400000_NS6detail17trampoline_kernelINS0_14default_configENS1_20scan_config_selectorIsEEZZNS1_9scan_implILNS1_25lookback_scan_determinismE0ELb1ELb1ES3_N6thrust23THRUST_200600_302600_NS6detail15normal_iteratorINS9_10device_ptrIsEEEENS9_16discard_iteratorINS9_11use_defaultEEEsNS9_4plusIvEEsEEDaPvRmT3_T4_T5_mT6_P12ihipStream_tbENKUlT_T0_E_clISt17integral_constantIbLb1EESW_IbLb0EEEEDaSS_ST_EUlSS_E0_NS1_11comp_targetILNS1_3genE4ELNS1_11target_archE910ELNS1_3gpuE8ELNS1_3repE0EEENS1_30default_config_static_selectorELNS0_4arch9wavefront6targetE1EEEvT1_: ; @_ZN7rocprim17ROCPRIM_400000_NS6detail17trampoline_kernelINS0_14default_configENS1_20scan_config_selectorIsEEZZNS1_9scan_implILNS1_25lookback_scan_determinismE0ELb1ELb1ES3_N6thrust23THRUST_200600_302600_NS6detail15normal_iteratorINS9_10device_ptrIsEEEENS9_16discard_iteratorINS9_11use_defaultEEEsNS9_4plusIvEEsEEDaPvRmT3_T4_T5_mT6_P12ihipStream_tbENKUlT_T0_E_clISt17integral_constantIbLb1EESW_IbLb0EEEEDaSS_ST_EUlSS_E0_NS1_11comp_targetILNS1_3genE4ELNS1_11target_archE910ELNS1_3gpuE8ELNS1_3repE0EEENS1_30default_config_static_selectorELNS0_4arch9wavefront6targetE1EEEvT1_
; %bb.0:
	s_load_dwordx4 s[0:3], s[4:5], 0x0
	v_mov_b32_e32 v1, 0
	s_waitcnt lgkmcnt(0)
	global_load_ushort v2, v1, s[0:1]
	v_cmp_gt_u32_e32 vcc, s2, v0
	v_lshlrev_b32_e32 v1, 1, v0
	s_waitcnt vmcnt(0)
	v_mov_b32_e32 v3, v2
	s_and_saveexec_b64 s[6:7], vcc
	s_cbranch_execz .LBB5989_2
; %bb.1:
	global_load_ushort v3, v1, s[0:1]
.LBB5989_2:
	s_or_b64 exec, exec, s[6:7]
	v_or_b32_e32 v4, 64, v0
	v_cmp_gt_u32_e32 vcc, s2, v4
	v_mov_b32_e32 v4, v2
	s_and_saveexec_b64 s[6:7], vcc
	s_cbranch_execz .LBB5989_4
; %bb.3:
	global_load_ushort v4, v1, s[0:1] offset:128
.LBB5989_4:
	s_or_b64 exec, exec, s[6:7]
	v_or_b32_e32 v5, 0x80, v0
	v_cmp_gt_u32_e32 vcc, s2, v5
	v_mov_b32_e32 v5, v2
	s_and_saveexec_b64 s[6:7], vcc
	s_cbranch_execz .LBB5989_6
; %bb.5:
	global_load_ushort v5, v1, s[0:1] offset:256
.LBB5989_6:
	;; [unrolled: 9-line block ×22, first 2 shown]
	s_or_b64 exec, exec, s[6:7]
	s_load_dword s4, s[4:5], 0x10
	v_or_b32_e32 v26, 0x5c0, v0
	v_cmp_gt_u32_e32 vcc, s2, v26
	s_and_saveexec_b64 s[2:3], vcc
	s_cbranch_execz .LBB5989_48
; %bb.47:
	global_load_ushort v2, v1, s[0:1] offset:2944
.LBB5989_48:
	s_or_b64 exec, exec, s[2:3]
	s_waitcnt vmcnt(0)
	ds_write_b16 v1, v3
	ds_write_b16 v1, v4 offset:128
	ds_write_b16 v1, v5 offset:256
	;; [unrolled: 1-line block ×23, first 2 shown]
	v_mad_u32_u24 v2, v0, 46, v1
	s_waitcnt lgkmcnt(0)
	; wave barrier
	s_waitcnt lgkmcnt(0)
	ds_read_b128 v[10:13], v2
	ds_read_b128 v[6:9], v2 offset:16
	ds_read_b128 v[2:5], v2 offset:32
	v_mul_u32_u24_e32 v14, 46, v0
	s_waitcnt lgkmcnt(0)
	v_add_u16_sdwa v15, v10, v10 dst_sel:DWORD dst_unused:UNUSED_PAD src0_sel:WORD_1 src1_sel:DWORD
	v_add_u16_e32 v15, v15, v11
	v_add_u16_sdwa v15, v15, v11 dst_sel:DWORD dst_unused:UNUSED_PAD src0_sel:DWORD src1_sel:WORD_1
	v_add_u16_e32 v15, v15, v12
	v_add_u16_sdwa v15, v15, v12 dst_sel:DWORD dst_unused:UNUSED_PAD src0_sel:DWORD src1_sel:WORD_1
	;; [unrolled: 2-line block ×11, first 2 shown]
	v_mbcnt_lo_u32_b32 v15, -1, 0
	v_mbcnt_hi_u32_b32 v15, -1, v15
	v_and_b32_e32 v17, 15, v15
	v_mov_b32_dpp v18, v16 row_shr:1 row_mask:0xf bank_mask:0xf
	v_cmp_ne_u32_e32 vcc, 0, v17
	v_cndmask_b32_e32 v18, 0, v18, vcc
	v_add_u16_e32 v16, v18, v16
	v_cmp_lt_u32_e32 vcc, 1, v17
	; wave barrier
	s_nop 0
	v_mov_b32_dpp v18, v16 row_shr:2 row_mask:0xf bank_mask:0xf
	v_cndmask_b32_e32 v18, 0, v18, vcc
	v_add_u16_e32 v16, v16, v18
	v_cmp_lt_u32_e32 vcc, 3, v17
	s_nop 0
	v_mov_b32_dpp v18, v16 row_shr:4 row_mask:0xf bank_mask:0xf
	v_cndmask_b32_e32 v18, 0, v18, vcc
	v_add_u16_e32 v16, v16, v18
	v_cmp_lt_u32_e32 vcc, 7, v17
	s_nop 0
	v_mov_b32_dpp v18, v16 row_shr:8 row_mask:0xf bank_mask:0xf
	v_cndmask_b32_e32 v17, 0, v18, vcc
	v_add_u16_e32 v16, v16, v17
	v_and_b32_e32 v18, 16, v15
	v_cmp_ne_u32_e32 vcc, 0, v18
	v_mov_b32_dpp v17, v16 row_bcast:15 row_mask:0xf bank_mask:0xf
	v_cndmask_b32_e32 v17, 0, v17, vcc
	v_add_u16_e32 v16, v16, v17
	v_cmp_lt_u32_e32 vcc, 31, v15
	s_nop 0
	v_mov_b32_dpp v17, v16 row_bcast:31 row_mask:0xf bank_mask:0xf
	v_cndmask_b32_e32 v17, 0, v17, vcc
	v_add_u16_e32 v16, v16, v17
	v_cmp_eq_u32_e32 vcc, 63, v0
	s_and_saveexec_b64 s[0:1], vcc
	s_cbranch_execz .LBB5989_50
; %bb.49:
	v_mov_b32_e32 v17, 0
	ds_write_b16 v17, v16
.LBB5989_50:
	s_or_b64 exec, exec, s[0:1]
	v_add_u32_e32 v17, -1, v15
	v_and_b32_e32 v18, 64, v15
	v_cmp_lt_i32_e32 vcc, v17, v18
	v_cndmask_b32_e32 v17, v17, v15, vcc
	v_add_u16_e32 v16, s4, v16
	v_lshlrev_b32_e32 v17, 2, v17
	ds_bpermute_b32 v16, v17, v16
	v_cmp_eq_u32_e32 vcc, 0, v15
	v_cmp_eq_u32_e64 s[0:1], 0, v0
	v_mov_b32_e32 v0, s4
	s_or_b64 vcc, s[0:1], vcc
	s_waitcnt lgkmcnt(0)
	v_cndmask_b32_e32 v0, v16, v0, vcc
	v_add_u16_e32 v15, v0, v10
	v_add_u16_sdwa v10, v15, v10 dst_sel:DWORD dst_unused:UNUSED_PAD src0_sel:DWORD src1_sel:WORD_1
	v_add_u16_e32 v16, v10, v11
	v_add_u16_sdwa v11, v16, v11 dst_sel:DWORD dst_unused:UNUSED_PAD src0_sel:DWORD src1_sel:WORD_1
	;; [unrolled: 2-line block ×10, first 2 shown]
	v_add_u16_e32 v27, v26, v4
	s_mov_b32 s0, 0x5040100
	v_add_u16_sdwa v4, v27, v4 dst_sel:DWORD dst_unused:UNUSED_PAD src0_sel:DWORD src1_sel:WORD_1
	v_add_u32_e32 v14, v1, v14
	v_perm_b32 v0, v15, v0, s0
	v_perm_b32 v1, v16, v10, s0
	;; [unrolled: 1-line block ×4, first 2 shown]
	s_waitcnt lgkmcnt(0)
	; wave barrier
	v_add_u16_e32 v5, v4, v5
	s_waitcnt lgkmcnt(0)
	; wave barrier
	ds_write_b128 v14, v[0:3]
	v_perm_b32 v0, v19, v13, s0
	v_perm_b32 v1, v20, v6, s0
	;; [unrolled: 1-line block ×4, first 2 shown]
	ds_write_b128 v14, v[0:3] offset:16
	v_perm_b32 v0, v23, v9, s0
	v_perm_b32 v1, v25, v24, s0
	;; [unrolled: 1-line block ×4, first 2 shown]
	ds_write_b128 v14, v[0:3] offset:32
	s_waitcnt lgkmcnt(0)
	; wave barrier
	s_waitcnt lgkmcnt(0)
	s_endpgm
	.section	.rodata,"a",@progbits
	.p2align	6, 0x0
	.amdhsa_kernel _ZN7rocprim17ROCPRIM_400000_NS6detail17trampoline_kernelINS0_14default_configENS1_20scan_config_selectorIsEEZZNS1_9scan_implILNS1_25lookback_scan_determinismE0ELb1ELb1ES3_N6thrust23THRUST_200600_302600_NS6detail15normal_iteratorINS9_10device_ptrIsEEEENS9_16discard_iteratorINS9_11use_defaultEEEsNS9_4plusIvEEsEEDaPvRmT3_T4_T5_mT6_P12ihipStream_tbENKUlT_T0_E_clISt17integral_constantIbLb1EESW_IbLb0EEEEDaSS_ST_EUlSS_E0_NS1_11comp_targetILNS1_3genE4ELNS1_11target_archE910ELNS1_3gpuE8ELNS1_3repE0EEENS1_30default_config_static_selectorELNS0_4arch9wavefront6targetE1EEEvT1_
		.amdhsa_group_segment_fixed_size 3072
		.amdhsa_private_segment_fixed_size 0
		.amdhsa_kernarg_size 40
		.amdhsa_user_sgpr_count 6
		.amdhsa_user_sgpr_private_segment_buffer 1
		.amdhsa_user_sgpr_dispatch_ptr 0
		.amdhsa_user_sgpr_queue_ptr 0
		.amdhsa_user_sgpr_kernarg_segment_ptr 1
		.amdhsa_user_sgpr_dispatch_id 0
		.amdhsa_user_sgpr_flat_scratch_init 0
		.amdhsa_user_sgpr_kernarg_preload_length 0
		.amdhsa_user_sgpr_kernarg_preload_offset 0
		.amdhsa_user_sgpr_private_segment_size 0
		.amdhsa_uses_dynamic_stack 0
		.amdhsa_system_sgpr_private_segment_wavefront_offset 0
		.amdhsa_system_sgpr_workgroup_id_x 1
		.amdhsa_system_sgpr_workgroup_id_y 0
		.amdhsa_system_sgpr_workgroup_id_z 0
		.amdhsa_system_sgpr_workgroup_info 0
		.amdhsa_system_vgpr_workitem_id 0
		.amdhsa_next_free_vgpr 28
		.amdhsa_next_free_sgpr 8
		.amdhsa_accum_offset 28
		.amdhsa_reserve_vcc 1
		.amdhsa_reserve_flat_scratch 0
		.amdhsa_float_round_mode_32 0
		.amdhsa_float_round_mode_16_64 0
		.amdhsa_float_denorm_mode_32 3
		.amdhsa_float_denorm_mode_16_64 3
		.amdhsa_dx10_clamp 1
		.amdhsa_ieee_mode 1
		.amdhsa_fp16_overflow 0
		.amdhsa_tg_split 0
		.amdhsa_exception_fp_ieee_invalid_op 0
		.amdhsa_exception_fp_denorm_src 0
		.amdhsa_exception_fp_ieee_div_zero 0
		.amdhsa_exception_fp_ieee_overflow 0
		.amdhsa_exception_fp_ieee_underflow 0
		.amdhsa_exception_fp_ieee_inexact 0
		.amdhsa_exception_int_div_zero 0
	.end_amdhsa_kernel
	.section	.text._ZN7rocprim17ROCPRIM_400000_NS6detail17trampoline_kernelINS0_14default_configENS1_20scan_config_selectorIsEEZZNS1_9scan_implILNS1_25lookback_scan_determinismE0ELb1ELb1ES3_N6thrust23THRUST_200600_302600_NS6detail15normal_iteratorINS9_10device_ptrIsEEEENS9_16discard_iteratorINS9_11use_defaultEEEsNS9_4plusIvEEsEEDaPvRmT3_T4_T5_mT6_P12ihipStream_tbENKUlT_T0_E_clISt17integral_constantIbLb1EESW_IbLb0EEEEDaSS_ST_EUlSS_E0_NS1_11comp_targetILNS1_3genE4ELNS1_11target_archE910ELNS1_3gpuE8ELNS1_3repE0EEENS1_30default_config_static_selectorELNS0_4arch9wavefront6targetE1EEEvT1_,"axG",@progbits,_ZN7rocprim17ROCPRIM_400000_NS6detail17trampoline_kernelINS0_14default_configENS1_20scan_config_selectorIsEEZZNS1_9scan_implILNS1_25lookback_scan_determinismE0ELb1ELb1ES3_N6thrust23THRUST_200600_302600_NS6detail15normal_iteratorINS9_10device_ptrIsEEEENS9_16discard_iteratorINS9_11use_defaultEEEsNS9_4plusIvEEsEEDaPvRmT3_T4_T5_mT6_P12ihipStream_tbENKUlT_T0_E_clISt17integral_constantIbLb1EESW_IbLb0EEEEDaSS_ST_EUlSS_E0_NS1_11comp_targetILNS1_3genE4ELNS1_11target_archE910ELNS1_3gpuE8ELNS1_3repE0EEENS1_30default_config_static_selectorELNS0_4arch9wavefront6targetE1EEEvT1_,comdat
.Lfunc_end5989:
	.size	_ZN7rocprim17ROCPRIM_400000_NS6detail17trampoline_kernelINS0_14default_configENS1_20scan_config_selectorIsEEZZNS1_9scan_implILNS1_25lookback_scan_determinismE0ELb1ELb1ES3_N6thrust23THRUST_200600_302600_NS6detail15normal_iteratorINS9_10device_ptrIsEEEENS9_16discard_iteratorINS9_11use_defaultEEEsNS9_4plusIvEEsEEDaPvRmT3_T4_T5_mT6_P12ihipStream_tbENKUlT_T0_E_clISt17integral_constantIbLb1EESW_IbLb0EEEEDaSS_ST_EUlSS_E0_NS1_11comp_targetILNS1_3genE4ELNS1_11target_archE910ELNS1_3gpuE8ELNS1_3repE0EEENS1_30default_config_static_selectorELNS0_4arch9wavefront6targetE1EEEvT1_, .Lfunc_end5989-_ZN7rocprim17ROCPRIM_400000_NS6detail17trampoline_kernelINS0_14default_configENS1_20scan_config_selectorIsEEZZNS1_9scan_implILNS1_25lookback_scan_determinismE0ELb1ELb1ES3_N6thrust23THRUST_200600_302600_NS6detail15normal_iteratorINS9_10device_ptrIsEEEENS9_16discard_iteratorINS9_11use_defaultEEEsNS9_4plusIvEEsEEDaPvRmT3_T4_T5_mT6_P12ihipStream_tbENKUlT_T0_E_clISt17integral_constantIbLb1EESW_IbLb0EEEEDaSS_ST_EUlSS_E0_NS1_11comp_targetILNS1_3genE4ELNS1_11target_archE910ELNS1_3gpuE8ELNS1_3repE0EEENS1_30default_config_static_selectorELNS0_4arch9wavefront6targetE1EEEvT1_
                                        ; -- End function
	.section	.AMDGPU.csdata,"",@progbits
; Kernel info:
; codeLenInByte = 1808
; NumSgprs: 12
; NumVgprs: 28
; NumAgprs: 0
; TotalNumVgprs: 28
; ScratchSize: 0
; MemoryBound: 0
; FloatMode: 240
; IeeeMode: 1
; LDSByteSize: 3072 bytes/workgroup (compile time only)
; SGPRBlocks: 1
; VGPRBlocks: 3
; NumSGPRsForWavesPerEU: 12
; NumVGPRsForWavesPerEU: 28
; AccumOffset: 28
; Occupancy: 6
; WaveLimiterHint : 0
; COMPUTE_PGM_RSRC2:SCRATCH_EN: 0
; COMPUTE_PGM_RSRC2:USER_SGPR: 6
; COMPUTE_PGM_RSRC2:TRAP_HANDLER: 0
; COMPUTE_PGM_RSRC2:TGID_X_EN: 1
; COMPUTE_PGM_RSRC2:TGID_Y_EN: 0
; COMPUTE_PGM_RSRC2:TGID_Z_EN: 0
; COMPUTE_PGM_RSRC2:TIDIG_COMP_CNT: 0
; COMPUTE_PGM_RSRC3_GFX90A:ACCUM_OFFSET: 6
; COMPUTE_PGM_RSRC3_GFX90A:TG_SPLIT: 0
	.section	.text._ZN7rocprim17ROCPRIM_400000_NS6detail17trampoline_kernelINS0_14default_configENS1_20scan_config_selectorIsEEZZNS1_9scan_implILNS1_25lookback_scan_determinismE0ELb1ELb1ES3_N6thrust23THRUST_200600_302600_NS6detail15normal_iteratorINS9_10device_ptrIsEEEENS9_16discard_iteratorINS9_11use_defaultEEEsNS9_4plusIvEEsEEDaPvRmT3_T4_T5_mT6_P12ihipStream_tbENKUlT_T0_E_clISt17integral_constantIbLb1EESW_IbLb0EEEEDaSS_ST_EUlSS_E0_NS1_11comp_targetILNS1_3genE3ELNS1_11target_archE908ELNS1_3gpuE7ELNS1_3repE0EEENS1_30default_config_static_selectorELNS0_4arch9wavefront6targetE1EEEvT1_,"axG",@progbits,_ZN7rocprim17ROCPRIM_400000_NS6detail17trampoline_kernelINS0_14default_configENS1_20scan_config_selectorIsEEZZNS1_9scan_implILNS1_25lookback_scan_determinismE0ELb1ELb1ES3_N6thrust23THRUST_200600_302600_NS6detail15normal_iteratorINS9_10device_ptrIsEEEENS9_16discard_iteratorINS9_11use_defaultEEEsNS9_4plusIvEEsEEDaPvRmT3_T4_T5_mT6_P12ihipStream_tbENKUlT_T0_E_clISt17integral_constantIbLb1EESW_IbLb0EEEEDaSS_ST_EUlSS_E0_NS1_11comp_targetILNS1_3genE3ELNS1_11target_archE908ELNS1_3gpuE7ELNS1_3repE0EEENS1_30default_config_static_selectorELNS0_4arch9wavefront6targetE1EEEvT1_,comdat
	.protected	_ZN7rocprim17ROCPRIM_400000_NS6detail17trampoline_kernelINS0_14default_configENS1_20scan_config_selectorIsEEZZNS1_9scan_implILNS1_25lookback_scan_determinismE0ELb1ELb1ES3_N6thrust23THRUST_200600_302600_NS6detail15normal_iteratorINS9_10device_ptrIsEEEENS9_16discard_iteratorINS9_11use_defaultEEEsNS9_4plusIvEEsEEDaPvRmT3_T4_T5_mT6_P12ihipStream_tbENKUlT_T0_E_clISt17integral_constantIbLb1EESW_IbLb0EEEEDaSS_ST_EUlSS_E0_NS1_11comp_targetILNS1_3genE3ELNS1_11target_archE908ELNS1_3gpuE7ELNS1_3repE0EEENS1_30default_config_static_selectorELNS0_4arch9wavefront6targetE1EEEvT1_ ; -- Begin function _ZN7rocprim17ROCPRIM_400000_NS6detail17trampoline_kernelINS0_14default_configENS1_20scan_config_selectorIsEEZZNS1_9scan_implILNS1_25lookback_scan_determinismE0ELb1ELb1ES3_N6thrust23THRUST_200600_302600_NS6detail15normal_iteratorINS9_10device_ptrIsEEEENS9_16discard_iteratorINS9_11use_defaultEEEsNS9_4plusIvEEsEEDaPvRmT3_T4_T5_mT6_P12ihipStream_tbENKUlT_T0_E_clISt17integral_constantIbLb1EESW_IbLb0EEEEDaSS_ST_EUlSS_E0_NS1_11comp_targetILNS1_3genE3ELNS1_11target_archE908ELNS1_3gpuE7ELNS1_3repE0EEENS1_30default_config_static_selectorELNS0_4arch9wavefront6targetE1EEEvT1_
	.globl	_ZN7rocprim17ROCPRIM_400000_NS6detail17trampoline_kernelINS0_14default_configENS1_20scan_config_selectorIsEEZZNS1_9scan_implILNS1_25lookback_scan_determinismE0ELb1ELb1ES3_N6thrust23THRUST_200600_302600_NS6detail15normal_iteratorINS9_10device_ptrIsEEEENS9_16discard_iteratorINS9_11use_defaultEEEsNS9_4plusIvEEsEEDaPvRmT3_T4_T5_mT6_P12ihipStream_tbENKUlT_T0_E_clISt17integral_constantIbLb1EESW_IbLb0EEEEDaSS_ST_EUlSS_E0_NS1_11comp_targetILNS1_3genE3ELNS1_11target_archE908ELNS1_3gpuE7ELNS1_3repE0EEENS1_30default_config_static_selectorELNS0_4arch9wavefront6targetE1EEEvT1_
	.p2align	8
	.type	_ZN7rocprim17ROCPRIM_400000_NS6detail17trampoline_kernelINS0_14default_configENS1_20scan_config_selectorIsEEZZNS1_9scan_implILNS1_25lookback_scan_determinismE0ELb1ELb1ES3_N6thrust23THRUST_200600_302600_NS6detail15normal_iteratorINS9_10device_ptrIsEEEENS9_16discard_iteratorINS9_11use_defaultEEEsNS9_4plusIvEEsEEDaPvRmT3_T4_T5_mT6_P12ihipStream_tbENKUlT_T0_E_clISt17integral_constantIbLb1EESW_IbLb0EEEEDaSS_ST_EUlSS_E0_NS1_11comp_targetILNS1_3genE3ELNS1_11target_archE908ELNS1_3gpuE7ELNS1_3repE0EEENS1_30default_config_static_selectorELNS0_4arch9wavefront6targetE1EEEvT1_,@function
_ZN7rocprim17ROCPRIM_400000_NS6detail17trampoline_kernelINS0_14default_configENS1_20scan_config_selectorIsEEZZNS1_9scan_implILNS1_25lookback_scan_determinismE0ELb1ELb1ES3_N6thrust23THRUST_200600_302600_NS6detail15normal_iteratorINS9_10device_ptrIsEEEENS9_16discard_iteratorINS9_11use_defaultEEEsNS9_4plusIvEEsEEDaPvRmT3_T4_T5_mT6_P12ihipStream_tbENKUlT_T0_E_clISt17integral_constantIbLb1EESW_IbLb0EEEEDaSS_ST_EUlSS_E0_NS1_11comp_targetILNS1_3genE3ELNS1_11target_archE908ELNS1_3gpuE7ELNS1_3repE0EEENS1_30default_config_static_selectorELNS0_4arch9wavefront6targetE1EEEvT1_: ; @_ZN7rocprim17ROCPRIM_400000_NS6detail17trampoline_kernelINS0_14default_configENS1_20scan_config_selectorIsEEZZNS1_9scan_implILNS1_25lookback_scan_determinismE0ELb1ELb1ES3_N6thrust23THRUST_200600_302600_NS6detail15normal_iteratorINS9_10device_ptrIsEEEENS9_16discard_iteratorINS9_11use_defaultEEEsNS9_4plusIvEEsEEDaPvRmT3_T4_T5_mT6_P12ihipStream_tbENKUlT_T0_E_clISt17integral_constantIbLb1EESW_IbLb0EEEEDaSS_ST_EUlSS_E0_NS1_11comp_targetILNS1_3genE3ELNS1_11target_archE908ELNS1_3gpuE7ELNS1_3repE0EEENS1_30default_config_static_selectorELNS0_4arch9wavefront6targetE1EEEvT1_
; %bb.0:
	.section	.rodata,"a",@progbits
	.p2align	6, 0x0
	.amdhsa_kernel _ZN7rocprim17ROCPRIM_400000_NS6detail17trampoline_kernelINS0_14default_configENS1_20scan_config_selectorIsEEZZNS1_9scan_implILNS1_25lookback_scan_determinismE0ELb1ELb1ES3_N6thrust23THRUST_200600_302600_NS6detail15normal_iteratorINS9_10device_ptrIsEEEENS9_16discard_iteratorINS9_11use_defaultEEEsNS9_4plusIvEEsEEDaPvRmT3_T4_T5_mT6_P12ihipStream_tbENKUlT_T0_E_clISt17integral_constantIbLb1EESW_IbLb0EEEEDaSS_ST_EUlSS_E0_NS1_11comp_targetILNS1_3genE3ELNS1_11target_archE908ELNS1_3gpuE7ELNS1_3repE0EEENS1_30default_config_static_selectorELNS0_4arch9wavefront6targetE1EEEvT1_
		.amdhsa_group_segment_fixed_size 0
		.amdhsa_private_segment_fixed_size 0
		.amdhsa_kernarg_size 40
		.amdhsa_user_sgpr_count 6
		.amdhsa_user_sgpr_private_segment_buffer 1
		.amdhsa_user_sgpr_dispatch_ptr 0
		.amdhsa_user_sgpr_queue_ptr 0
		.amdhsa_user_sgpr_kernarg_segment_ptr 1
		.amdhsa_user_sgpr_dispatch_id 0
		.amdhsa_user_sgpr_flat_scratch_init 0
		.amdhsa_user_sgpr_kernarg_preload_length 0
		.amdhsa_user_sgpr_kernarg_preload_offset 0
		.amdhsa_user_sgpr_private_segment_size 0
		.amdhsa_uses_dynamic_stack 0
		.amdhsa_system_sgpr_private_segment_wavefront_offset 0
		.amdhsa_system_sgpr_workgroup_id_x 1
		.amdhsa_system_sgpr_workgroup_id_y 0
		.amdhsa_system_sgpr_workgroup_id_z 0
		.amdhsa_system_sgpr_workgroup_info 0
		.amdhsa_system_vgpr_workitem_id 0
		.amdhsa_next_free_vgpr 1
		.amdhsa_next_free_sgpr 0
		.amdhsa_accum_offset 4
		.amdhsa_reserve_vcc 0
		.amdhsa_reserve_flat_scratch 0
		.amdhsa_float_round_mode_32 0
		.amdhsa_float_round_mode_16_64 0
		.amdhsa_float_denorm_mode_32 3
		.amdhsa_float_denorm_mode_16_64 3
		.amdhsa_dx10_clamp 1
		.amdhsa_ieee_mode 1
		.amdhsa_fp16_overflow 0
		.amdhsa_tg_split 0
		.amdhsa_exception_fp_ieee_invalid_op 0
		.amdhsa_exception_fp_denorm_src 0
		.amdhsa_exception_fp_ieee_div_zero 0
		.amdhsa_exception_fp_ieee_overflow 0
		.amdhsa_exception_fp_ieee_underflow 0
		.amdhsa_exception_fp_ieee_inexact 0
		.amdhsa_exception_int_div_zero 0
	.end_amdhsa_kernel
	.section	.text._ZN7rocprim17ROCPRIM_400000_NS6detail17trampoline_kernelINS0_14default_configENS1_20scan_config_selectorIsEEZZNS1_9scan_implILNS1_25lookback_scan_determinismE0ELb1ELb1ES3_N6thrust23THRUST_200600_302600_NS6detail15normal_iteratorINS9_10device_ptrIsEEEENS9_16discard_iteratorINS9_11use_defaultEEEsNS9_4plusIvEEsEEDaPvRmT3_T4_T5_mT6_P12ihipStream_tbENKUlT_T0_E_clISt17integral_constantIbLb1EESW_IbLb0EEEEDaSS_ST_EUlSS_E0_NS1_11comp_targetILNS1_3genE3ELNS1_11target_archE908ELNS1_3gpuE7ELNS1_3repE0EEENS1_30default_config_static_selectorELNS0_4arch9wavefront6targetE1EEEvT1_,"axG",@progbits,_ZN7rocprim17ROCPRIM_400000_NS6detail17trampoline_kernelINS0_14default_configENS1_20scan_config_selectorIsEEZZNS1_9scan_implILNS1_25lookback_scan_determinismE0ELb1ELb1ES3_N6thrust23THRUST_200600_302600_NS6detail15normal_iteratorINS9_10device_ptrIsEEEENS9_16discard_iteratorINS9_11use_defaultEEEsNS9_4plusIvEEsEEDaPvRmT3_T4_T5_mT6_P12ihipStream_tbENKUlT_T0_E_clISt17integral_constantIbLb1EESW_IbLb0EEEEDaSS_ST_EUlSS_E0_NS1_11comp_targetILNS1_3genE3ELNS1_11target_archE908ELNS1_3gpuE7ELNS1_3repE0EEENS1_30default_config_static_selectorELNS0_4arch9wavefront6targetE1EEEvT1_,comdat
.Lfunc_end5990:
	.size	_ZN7rocprim17ROCPRIM_400000_NS6detail17trampoline_kernelINS0_14default_configENS1_20scan_config_selectorIsEEZZNS1_9scan_implILNS1_25lookback_scan_determinismE0ELb1ELb1ES3_N6thrust23THRUST_200600_302600_NS6detail15normal_iteratorINS9_10device_ptrIsEEEENS9_16discard_iteratorINS9_11use_defaultEEEsNS9_4plusIvEEsEEDaPvRmT3_T4_T5_mT6_P12ihipStream_tbENKUlT_T0_E_clISt17integral_constantIbLb1EESW_IbLb0EEEEDaSS_ST_EUlSS_E0_NS1_11comp_targetILNS1_3genE3ELNS1_11target_archE908ELNS1_3gpuE7ELNS1_3repE0EEENS1_30default_config_static_selectorELNS0_4arch9wavefront6targetE1EEEvT1_, .Lfunc_end5990-_ZN7rocprim17ROCPRIM_400000_NS6detail17trampoline_kernelINS0_14default_configENS1_20scan_config_selectorIsEEZZNS1_9scan_implILNS1_25lookback_scan_determinismE0ELb1ELb1ES3_N6thrust23THRUST_200600_302600_NS6detail15normal_iteratorINS9_10device_ptrIsEEEENS9_16discard_iteratorINS9_11use_defaultEEEsNS9_4plusIvEEsEEDaPvRmT3_T4_T5_mT6_P12ihipStream_tbENKUlT_T0_E_clISt17integral_constantIbLb1EESW_IbLb0EEEEDaSS_ST_EUlSS_E0_NS1_11comp_targetILNS1_3genE3ELNS1_11target_archE908ELNS1_3gpuE7ELNS1_3repE0EEENS1_30default_config_static_selectorELNS0_4arch9wavefront6targetE1EEEvT1_
                                        ; -- End function
	.section	.AMDGPU.csdata,"",@progbits
; Kernel info:
; codeLenInByte = 0
; NumSgprs: 4
; NumVgprs: 0
; NumAgprs: 0
; TotalNumVgprs: 0
; ScratchSize: 0
; MemoryBound: 0
; FloatMode: 240
; IeeeMode: 1
; LDSByteSize: 0 bytes/workgroup (compile time only)
; SGPRBlocks: 0
; VGPRBlocks: 0
; NumSGPRsForWavesPerEU: 4
; NumVGPRsForWavesPerEU: 1
; AccumOffset: 4
; Occupancy: 8
; WaveLimiterHint : 0
; COMPUTE_PGM_RSRC2:SCRATCH_EN: 0
; COMPUTE_PGM_RSRC2:USER_SGPR: 6
; COMPUTE_PGM_RSRC2:TRAP_HANDLER: 0
; COMPUTE_PGM_RSRC2:TGID_X_EN: 1
; COMPUTE_PGM_RSRC2:TGID_Y_EN: 0
; COMPUTE_PGM_RSRC2:TGID_Z_EN: 0
; COMPUTE_PGM_RSRC2:TIDIG_COMP_CNT: 0
; COMPUTE_PGM_RSRC3_GFX90A:ACCUM_OFFSET: 0
; COMPUTE_PGM_RSRC3_GFX90A:TG_SPLIT: 0
	.section	.text._ZN7rocprim17ROCPRIM_400000_NS6detail17trampoline_kernelINS0_14default_configENS1_20scan_config_selectorIsEEZZNS1_9scan_implILNS1_25lookback_scan_determinismE0ELb1ELb1ES3_N6thrust23THRUST_200600_302600_NS6detail15normal_iteratorINS9_10device_ptrIsEEEENS9_16discard_iteratorINS9_11use_defaultEEEsNS9_4plusIvEEsEEDaPvRmT3_T4_T5_mT6_P12ihipStream_tbENKUlT_T0_E_clISt17integral_constantIbLb1EESW_IbLb0EEEEDaSS_ST_EUlSS_E0_NS1_11comp_targetILNS1_3genE2ELNS1_11target_archE906ELNS1_3gpuE6ELNS1_3repE0EEENS1_30default_config_static_selectorELNS0_4arch9wavefront6targetE1EEEvT1_,"axG",@progbits,_ZN7rocprim17ROCPRIM_400000_NS6detail17trampoline_kernelINS0_14default_configENS1_20scan_config_selectorIsEEZZNS1_9scan_implILNS1_25lookback_scan_determinismE0ELb1ELb1ES3_N6thrust23THRUST_200600_302600_NS6detail15normal_iteratorINS9_10device_ptrIsEEEENS9_16discard_iteratorINS9_11use_defaultEEEsNS9_4plusIvEEsEEDaPvRmT3_T4_T5_mT6_P12ihipStream_tbENKUlT_T0_E_clISt17integral_constantIbLb1EESW_IbLb0EEEEDaSS_ST_EUlSS_E0_NS1_11comp_targetILNS1_3genE2ELNS1_11target_archE906ELNS1_3gpuE6ELNS1_3repE0EEENS1_30default_config_static_selectorELNS0_4arch9wavefront6targetE1EEEvT1_,comdat
	.protected	_ZN7rocprim17ROCPRIM_400000_NS6detail17trampoline_kernelINS0_14default_configENS1_20scan_config_selectorIsEEZZNS1_9scan_implILNS1_25lookback_scan_determinismE0ELb1ELb1ES3_N6thrust23THRUST_200600_302600_NS6detail15normal_iteratorINS9_10device_ptrIsEEEENS9_16discard_iteratorINS9_11use_defaultEEEsNS9_4plusIvEEsEEDaPvRmT3_T4_T5_mT6_P12ihipStream_tbENKUlT_T0_E_clISt17integral_constantIbLb1EESW_IbLb0EEEEDaSS_ST_EUlSS_E0_NS1_11comp_targetILNS1_3genE2ELNS1_11target_archE906ELNS1_3gpuE6ELNS1_3repE0EEENS1_30default_config_static_selectorELNS0_4arch9wavefront6targetE1EEEvT1_ ; -- Begin function _ZN7rocprim17ROCPRIM_400000_NS6detail17trampoline_kernelINS0_14default_configENS1_20scan_config_selectorIsEEZZNS1_9scan_implILNS1_25lookback_scan_determinismE0ELb1ELb1ES3_N6thrust23THRUST_200600_302600_NS6detail15normal_iteratorINS9_10device_ptrIsEEEENS9_16discard_iteratorINS9_11use_defaultEEEsNS9_4plusIvEEsEEDaPvRmT3_T4_T5_mT6_P12ihipStream_tbENKUlT_T0_E_clISt17integral_constantIbLb1EESW_IbLb0EEEEDaSS_ST_EUlSS_E0_NS1_11comp_targetILNS1_3genE2ELNS1_11target_archE906ELNS1_3gpuE6ELNS1_3repE0EEENS1_30default_config_static_selectorELNS0_4arch9wavefront6targetE1EEEvT1_
	.globl	_ZN7rocprim17ROCPRIM_400000_NS6detail17trampoline_kernelINS0_14default_configENS1_20scan_config_selectorIsEEZZNS1_9scan_implILNS1_25lookback_scan_determinismE0ELb1ELb1ES3_N6thrust23THRUST_200600_302600_NS6detail15normal_iteratorINS9_10device_ptrIsEEEENS9_16discard_iteratorINS9_11use_defaultEEEsNS9_4plusIvEEsEEDaPvRmT3_T4_T5_mT6_P12ihipStream_tbENKUlT_T0_E_clISt17integral_constantIbLb1EESW_IbLb0EEEEDaSS_ST_EUlSS_E0_NS1_11comp_targetILNS1_3genE2ELNS1_11target_archE906ELNS1_3gpuE6ELNS1_3repE0EEENS1_30default_config_static_selectorELNS0_4arch9wavefront6targetE1EEEvT1_
	.p2align	8
	.type	_ZN7rocprim17ROCPRIM_400000_NS6detail17trampoline_kernelINS0_14default_configENS1_20scan_config_selectorIsEEZZNS1_9scan_implILNS1_25lookback_scan_determinismE0ELb1ELb1ES3_N6thrust23THRUST_200600_302600_NS6detail15normal_iteratorINS9_10device_ptrIsEEEENS9_16discard_iteratorINS9_11use_defaultEEEsNS9_4plusIvEEsEEDaPvRmT3_T4_T5_mT6_P12ihipStream_tbENKUlT_T0_E_clISt17integral_constantIbLb1EESW_IbLb0EEEEDaSS_ST_EUlSS_E0_NS1_11comp_targetILNS1_3genE2ELNS1_11target_archE906ELNS1_3gpuE6ELNS1_3repE0EEENS1_30default_config_static_selectorELNS0_4arch9wavefront6targetE1EEEvT1_,@function
_ZN7rocprim17ROCPRIM_400000_NS6detail17trampoline_kernelINS0_14default_configENS1_20scan_config_selectorIsEEZZNS1_9scan_implILNS1_25lookback_scan_determinismE0ELb1ELb1ES3_N6thrust23THRUST_200600_302600_NS6detail15normal_iteratorINS9_10device_ptrIsEEEENS9_16discard_iteratorINS9_11use_defaultEEEsNS9_4plusIvEEsEEDaPvRmT3_T4_T5_mT6_P12ihipStream_tbENKUlT_T0_E_clISt17integral_constantIbLb1EESW_IbLb0EEEEDaSS_ST_EUlSS_E0_NS1_11comp_targetILNS1_3genE2ELNS1_11target_archE906ELNS1_3gpuE6ELNS1_3repE0EEENS1_30default_config_static_selectorELNS0_4arch9wavefront6targetE1EEEvT1_: ; @_ZN7rocprim17ROCPRIM_400000_NS6detail17trampoline_kernelINS0_14default_configENS1_20scan_config_selectorIsEEZZNS1_9scan_implILNS1_25lookback_scan_determinismE0ELb1ELb1ES3_N6thrust23THRUST_200600_302600_NS6detail15normal_iteratorINS9_10device_ptrIsEEEENS9_16discard_iteratorINS9_11use_defaultEEEsNS9_4plusIvEEsEEDaPvRmT3_T4_T5_mT6_P12ihipStream_tbENKUlT_T0_E_clISt17integral_constantIbLb1EESW_IbLb0EEEEDaSS_ST_EUlSS_E0_NS1_11comp_targetILNS1_3genE2ELNS1_11target_archE906ELNS1_3gpuE6ELNS1_3repE0EEENS1_30default_config_static_selectorELNS0_4arch9wavefront6targetE1EEEvT1_
; %bb.0:
	.section	.rodata,"a",@progbits
	.p2align	6, 0x0
	.amdhsa_kernel _ZN7rocprim17ROCPRIM_400000_NS6detail17trampoline_kernelINS0_14default_configENS1_20scan_config_selectorIsEEZZNS1_9scan_implILNS1_25lookback_scan_determinismE0ELb1ELb1ES3_N6thrust23THRUST_200600_302600_NS6detail15normal_iteratorINS9_10device_ptrIsEEEENS9_16discard_iteratorINS9_11use_defaultEEEsNS9_4plusIvEEsEEDaPvRmT3_T4_T5_mT6_P12ihipStream_tbENKUlT_T0_E_clISt17integral_constantIbLb1EESW_IbLb0EEEEDaSS_ST_EUlSS_E0_NS1_11comp_targetILNS1_3genE2ELNS1_11target_archE906ELNS1_3gpuE6ELNS1_3repE0EEENS1_30default_config_static_selectorELNS0_4arch9wavefront6targetE1EEEvT1_
		.amdhsa_group_segment_fixed_size 0
		.amdhsa_private_segment_fixed_size 0
		.amdhsa_kernarg_size 40
		.amdhsa_user_sgpr_count 6
		.amdhsa_user_sgpr_private_segment_buffer 1
		.amdhsa_user_sgpr_dispatch_ptr 0
		.amdhsa_user_sgpr_queue_ptr 0
		.amdhsa_user_sgpr_kernarg_segment_ptr 1
		.amdhsa_user_sgpr_dispatch_id 0
		.amdhsa_user_sgpr_flat_scratch_init 0
		.amdhsa_user_sgpr_kernarg_preload_length 0
		.amdhsa_user_sgpr_kernarg_preload_offset 0
		.amdhsa_user_sgpr_private_segment_size 0
		.amdhsa_uses_dynamic_stack 0
		.amdhsa_system_sgpr_private_segment_wavefront_offset 0
		.amdhsa_system_sgpr_workgroup_id_x 1
		.amdhsa_system_sgpr_workgroup_id_y 0
		.amdhsa_system_sgpr_workgroup_id_z 0
		.amdhsa_system_sgpr_workgroup_info 0
		.amdhsa_system_vgpr_workitem_id 0
		.amdhsa_next_free_vgpr 1
		.amdhsa_next_free_sgpr 0
		.amdhsa_accum_offset 4
		.amdhsa_reserve_vcc 0
		.amdhsa_reserve_flat_scratch 0
		.amdhsa_float_round_mode_32 0
		.amdhsa_float_round_mode_16_64 0
		.amdhsa_float_denorm_mode_32 3
		.amdhsa_float_denorm_mode_16_64 3
		.amdhsa_dx10_clamp 1
		.amdhsa_ieee_mode 1
		.amdhsa_fp16_overflow 0
		.amdhsa_tg_split 0
		.amdhsa_exception_fp_ieee_invalid_op 0
		.amdhsa_exception_fp_denorm_src 0
		.amdhsa_exception_fp_ieee_div_zero 0
		.amdhsa_exception_fp_ieee_overflow 0
		.amdhsa_exception_fp_ieee_underflow 0
		.amdhsa_exception_fp_ieee_inexact 0
		.amdhsa_exception_int_div_zero 0
	.end_amdhsa_kernel
	.section	.text._ZN7rocprim17ROCPRIM_400000_NS6detail17trampoline_kernelINS0_14default_configENS1_20scan_config_selectorIsEEZZNS1_9scan_implILNS1_25lookback_scan_determinismE0ELb1ELb1ES3_N6thrust23THRUST_200600_302600_NS6detail15normal_iteratorINS9_10device_ptrIsEEEENS9_16discard_iteratorINS9_11use_defaultEEEsNS9_4plusIvEEsEEDaPvRmT3_T4_T5_mT6_P12ihipStream_tbENKUlT_T0_E_clISt17integral_constantIbLb1EESW_IbLb0EEEEDaSS_ST_EUlSS_E0_NS1_11comp_targetILNS1_3genE2ELNS1_11target_archE906ELNS1_3gpuE6ELNS1_3repE0EEENS1_30default_config_static_selectorELNS0_4arch9wavefront6targetE1EEEvT1_,"axG",@progbits,_ZN7rocprim17ROCPRIM_400000_NS6detail17trampoline_kernelINS0_14default_configENS1_20scan_config_selectorIsEEZZNS1_9scan_implILNS1_25lookback_scan_determinismE0ELb1ELb1ES3_N6thrust23THRUST_200600_302600_NS6detail15normal_iteratorINS9_10device_ptrIsEEEENS9_16discard_iteratorINS9_11use_defaultEEEsNS9_4plusIvEEsEEDaPvRmT3_T4_T5_mT6_P12ihipStream_tbENKUlT_T0_E_clISt17integral_constantIbLb1EESW_IbLb0EEEEDaSS_ST_EUlSS_E0_NS1_11comp_targetILNS1_3genE2ELNS1_11target_archE906ELNS1_3gpuE6ELNS1_3repE0EEENS1_30default_config_static_selectorELNS0_4arch9wavefront6targetE1EEEvT1_,comdat
.Lfunc_end5991:
	.size	_ZN7rocprim17ROCPRIM_400000_NS6detail17trampoline_kernelINS0_14default_configENS1_20scan_config_selectorIsEEZZNS1_9scan_implILNS1_25lookback_scan_determinismE0ELb1ELb1ES3_N6thrust23THRUST_200600_302600_NS6detail15normal_iteratorINS9_10device_ptrIsEEEENS9_16discard_iteratorINS9_11use_defaultEEEsNS9_4plusIvEEsEEDaPvRmT3_T4_T5_mT6_P12ihipStream_tbENKUlT_T0_E_clISt17integral_constantIbLb1EESW_IbLb0EEEEDaSS_ST_EUlSS_E0_NS1_11comp_targetILNS1_3genE2ELNS1_11target_archE906ELNS1_3gpuE6ELNS1_3repE0EEENS1_30default_config_static_selectorELNS0_4arch9wavefront6targetE1EEEvT1_, .Lfunc_end5991-_ZN7rocprim17ROCPRIM_400000_NS6detail17trampoline_kernelINS0_14default_configENS1_20scan_config_selectorIsEEZZNS1_9scan_implILNS1_25lookback_scan_determinismE0ELb1ELb1ES3_N6thrust23THRUST_200600_302600_NS6detail15normal_iteratorINS9_10device_ptrIsEEEENS9_16discard_iteratorINS9_11use_defaultEEEsNS9_4plusIvEEsEEDaPvRmT3_T4_T5_mT6_P12ihipStream_tbENKUlT_T0_E_clISt17integral_constantIbLb1EESW_IbLb0EEEEDaSS_ST_EUlSS_E0_NS1_11comp_targetILNS1_3genE2ELNS1_11target_archE906ELNS1_3gpuE6ELNS1_3repE0EEENS1_30default_config_static_selectorELNS0_4arch9wavefront6targetE1EEEvT1_
                                        ; -- End function
	.section	.AMDGPU.csdata,"",@progbits
; Kernel info:
; codeLenInByte = 0
; NumSgprs: 4
; NumVgprs: 0
; NumAgprs: 0
; TotalNumVgprs: 0
; ScratchSize: 0
; MemoryBound: 0
; FloatMode: 240
; IeeeMode: 1
; LDSByteSize: 0 bytes/workgroup (compile time only)
; SGPRBlocks: 0
; VGPRBlocks: 0
; NumSGPRsForWavesPerEU: 4
; NumVGPRsForWavesPerEU: 1
; AccumOffset: 4
; Occupancy: 8
; WaveLimiterHint : 0
; COMPUTE_PGM_RSRC2:SCRATCH_EN: 0
; COMPUTE_PGM_RSRC2:USER_SGPR: 6
; COMPUTE_PGM_RSRC2:TRAP_HANDLER: 0
; COMPUTE_PGM_RSRC2:TGID_X_EN: 1
; COMPUTE_PGM_RSRC2:TGID_Y_EN: 0
; COMPUTE_PGM_RSRC2:TGID_Z_EN: 0
; COMPUTE_PGM_RSRC2:TIDIG_COMP_CNT: 0
; COMPUTE_PGM_RSRC3_GFX90A:ACCUM_OFFSET: 0
; COMPUTE_PGM_RSRC3_GFX90A:TG_SPLIT: 0
	.section	.text._ZN7rocprim17ROCPRIM_400000_NS6detail17trampoline_kernelINS0_14default_configENS1_20scan_config_selectorIsEEZZNS1_9scan_implILNS1_25lookback_scan_determinismE0ELb1ELb1ES3_N6thrust23THRUST_200600_302600_NS6detail15normal_iteratorINS9_10device_ptrIsEEEENS9_16discard_iteratorINS9_11use_defaultEEEsNS9_4plusIvEEsEEDaPvRmT3_T4_T5_mT6_P12ihipStream_tbENKUlT_T0_E_clISt17integral_constantIbLb1EESW_IbLb0EEEEDaSS_ST_EUlSS_E0_NS1_11comp_targetILNS1_3genE10ELNS1_11target_archE1201ELNS1_3gpuE5ELNS1_3repE0EEENS1_30default_config_static_selectorELNS0_4arch9wavefront6targetE1EEEvT1_,"axG",@progbits,_ZN7rocprim17ROCPRIM_400000_NS6detail17trampoline_kernelINS0_14default_configENS1_20scan_config_selectorIsEEZZNS1_9scan_implILNS1_25lookback_scan_determinismE0ELb1ELb1ES3_N6thrust23THRUST_200600_302600_NS6detail15normal_iteratorINS9_10device_ptrIsEEEENS9_16discard_iteratorINS9_11use_defaultEEEsNS9_4plusIvEEsEEDaPvRmT3_T4_T5_mT6_P12ihipStream_tbENKUlT_T0_E_clISt17integral_constantIbLb1EESW_IbLb0EEEEDaSS_ST_EUlSS_E0_NS1_11comp_targetILNS1_3genE10ELNS1_11target_archE1201ELNS1_3gpuE5ELNS1_3repE0EEENS1_30default_config_static_selectorELNS0_4arch9wavefront6targetE1EEEvT1_,comdat
	.protected	_ZN7rocprim17ROCPRIM_400000_NS6detail17trampoline_kernelINS0_14default_configENS1_20scan_config_selectorIsEEZZNS1_9scan_implILNS1_25lookback_scan_determinismE0ELb1ELb1ES3_N6thrust23THRUST_200600_302600_NS6detail15normal_iteratorINS9_10device_ptrIsEEEENS9_16discard_iteratorINS9_11use_defaultEEEsNS9_4plusIvEEsEEDaPvRmT3_T4_T5_mT6_P12ihipStream_tbENKUlT_T0_E_clISt17integral_constantIbLb1EESW_IbLb0EEEEDaSS_ST_EUlSS_E0_NS1_11comp_targetILNS1_3genE10ELNS1_11target_archE1201ELNS1_3gpuE5ELNS1_3repE0EEENS1_30default_config_static_selectorELNS0_4arch9wavefront6targetE1EEEvT1_ ; -- Begin function _ZN7rocprim17ROCPRIM_400000_NS6detail17trampoline_kernelINS0_14default_configENS1_20scan_config_selectorIsEEZZNS1_9scan_implILNS1_25lookback_scan_determinismE0ELb1ELb1ES3_N6thrust23THRUST_200600_302600_NS6detail15normal_iteratorINS9_10device_ptrIsEEEENS9_16discard_iteratorINS9_11use_defaultEEEsNS9_4plusIvEEsEEDaPvRmT3_T4_T5_mT6_P12ihipStream_tbENKUlT_T0_E_clISt17integral_constantIbLb1EESW_IbLb0EEEEDaSS_ST_EUlSS_E0_NS1_11comp_targetILNS1_3genE10ELNS1_11target_archE1201ELNS1_3gpuE5ELNS1_3repE0EEENS1_30default_config_static_selectorELNS0_4arch9wavefront6targetE1EEEvT1_
	.globl	_ZN7rocprim17ROCPRIM_400000_NS6detail17trampoline_kernelINS0_14default_configENS1_20scan_config_selectorIsEEZZNS1_9scan_implILNS1_25lookback_scan_determinismE0ELb1ELb1ES3_N6thrust23THRUST_200600_302600_NS6detail15normal_iteratorINS9_10device_ptrIsEEEENS9_16discard_iteratorINS9_11use_defaultEEEsNS9_4plusIvEEsEEDaPvRmT3_T4_T5_mT6_P12ihipStream_tbENKUlT_T0_E_clISt17integral_constantIbLb1EESW_IbLb0EEEEDaSS_ST_EUlSS_E0_NS1_11comp_targetILNS1_3genE10ELNS1_11target_archE1201ELNS1_3gpuE5ELNS1_3repE0EEENS1_30default_config_static_selectorELNS0_4arch9wavefront6targetE1EEEvT1_
	.p2align	8
	.type	_ZN7rocprim17ROCPRIM_400000_NS6detail17trampoline_kernelINS0_14default_configENS1_20scan_config_selectorIsEEZZNS1_9scan_implILNS1_25lookback_scan_determinismE0ELb1ELb1ES3_N6thrust23THRUST_200600_302600_NS6detail15normal_iteratorINS9_10device_ptrIsEEEENS9_16discard_iteratorINS9_11use_defaultEEEsNS9_4plusIvEEsEEDaPvRmT3_T4_T5_mT6_P12ihipStream_tbENKUlT_T0_E_clISt17integral_constantIbLb1EESW_IbLb0EEEEDaSS_ST_EUlSS_E0_NS1_11comp_targetILNS1_3genE10ELNS1_11target_archE1201ELNS1_3gpuE5ELNS1_3repE0EEENS1_30default_config_static_selectorELNS0_4arch9wavefront6targetE1EEEvT1_,@function
_ZN7rocprim17ROCPRIM_400000_NS6detail17trampoline_kernelINS0_14default_configENS1_20scan_config_selectorIsEEZZNS1_9scan_implILNS1_25lookback_scan_determinismE0ELb1ELb1ES3_N6thrust23THRUST_200600_302600_NS6detail15normal_iteratorINS9_10device_ptrIsEEEENS9_16discard_iteratorINS9_11use_defaultEEEsNS9_4plusIvEEsEEDaPvRmT3_T4_T5_mT6_P12ihipStream_tbENKUlT_T0_E_clISt17integral_constantIbLb1EESW_IbLb0EEEEDaSS_ST_EUlSS_E0_NS1_11comp_targetILNS1_3genE10ELNS1_11target_archE1201ELNS1_3gpuE5ELNS1_3repE0EEENS1_30default_config_static_selectorELNS0_4arch9wavefront6targetE1EEEvT1_: ; @_ZN7rocprim17ROCPRIM_400000_NS6detail17trampoline_kernelINS0_14default_configENS1_20scan_config_selectorIsEEZZNS1_9scan_implILNS1_25lookback_scan_determinismE0ELb1ELb1ES3_N6thrust23THRUST_200600_302600_NS6detail15normal_iteratorINS9_10device_ptrIsEEEENS9_16discard_iteratorINS9_11use_defaultEEEsNS9_4plusIvEEsEEDaPvRmT3_T4_T5_mT6_P12ihipStream_tbENKUlT_T0_E_clISt17integral_constantIbLb1EESW_IbLb0EEEEDaSS_ST_EUlSS_E0_NS1_11comp_targetILNS1_3genE10ELNS1_11target_archE1201ELNS1_3gpuE5ELNS1_3repE0EEENS1_30default_config_static_selectorELNS0_4arch9wavefront6targetE1EEEvT1_
; %bb.0:
	.section	.rodata,"a",@progbits
	.p2align	6, 0x0
	.amdhsa_kernel _ZN7rocprim17ROCPRIM_400000_NS6detail17trampoline_kernelINS0_14default_configENS1_20scan_config_selectorIsEEZZNS1_9scan_implILNS1_25lookback_scan_determinismE0ELb1ELb1ES3_N6thrust23THRUST_200600_302600_NS6detail15normal_iteratorINS9_10device_ptrIsEEEENS9_16discard_iteratorINS9_11use_defaultEEEsNS9_4plusIvEEsEEDaPvRmT3_T4_T5_mT6_P12ihipStream_tbENKUlT_T0_E_clISt17integral_constantIbLb1EESW_IbLb0EEEEDaSS_ST_EUlSS_E0_NS1_11comp_targetILNS1_3genE10ELNS1_11target_archE1201ELNS1_3gpuE5ELNS1_3repE0EEENS1_30default_config_static_selectorELNS0_4arch9wavefront6targetE1EEEvT1_
		.amdhsa_group_segment_fixed_size 0
		.amdhsa_private_segment_fixed_size 0
		.amdhsa_kernarg_size 40
		.amdhsa_user_sgpr_count 6
		.amdhsa_user_sgpr_private_segment_buffer 1
		.amdhsa_user_sgpr_dispatch_ptr 0
		.amdhsa_user_sgpr_queue_ptr 0
		.amdhsa_user_sgpr_kernarg_segment_ptr 1
		.amdhsa_user_sgpr_dispatch_id 0
		.amdhsa_user_sgpr_flat_scratch_init 0
		.amdhsa_user_sgpr_kernarg_preload_length 0
		.amdhsa_user_sgpr_kernarg_preload_offset 0
		.amdhsa_user_sgpr_private_segment_size 0
		.amdhsa_uses_dynamic_stack 0
		.amdhsa_system_sgpr_private_segment_wavefront_offset 0
		.amdhsa_system_sgpr_workgroup_id_x 1
		.amdhsa_system_sgpr_workgroup_id_y 0
		.amdhsa_system_sgpr_workgroup_id_z 0
		.amdhsa_system_sgpr_workgroup_info 0
		.amdhsa_system_vgpr_workitem_id 0
		.amdhsa_next_free_vgpr 1
		.amdhsa_next_free_sgpr 0
		.amdhsa_accum_offset 4
		.amdhsa_reserve_vcc 0
		.amdhsa_reserve_flat_scratch 0
		.amdhsa_float_round_mode_32 0
		.amdhsa_float_round_mode_16_64 0
		.amdhsa_float_denorm_mode_32 3
		.amdhsa_float_denorm_mode_16_64 3
		.amdhsa_dx10_clamp 1
		.amdhsa_ieee_mode 1
		.amdhsa_fp16_overflow 0
		.amdhsa_tg_split 0
		.amdhsa_exception_fp_ieee_invalid_op 0
		.amdhsa_exception_fp_denorm_src 0
		.amdhsa_exception_fp_ieee_div_zero 0
		.amdhsa_exception_fp_ieee_overflow 0
		.amdhsa_exception_fp_ieee_underflow 0
		.amdhsa_exception_fp_ieee_inexact 0
		.amdhsa_exception_int_div_zero 0
	.end_amdhsa_kernel
	.section	.text._ZN7rocprim17ROCPRIM_400000_NS6detail17trampoline_kernelINS0_14default_configENS1_20scan_config_selectorIsEEZZNS1_9scan_implILNS1_25lookback_scan_determinismE0ELb1ELb1ES3_N6thrust23THRUST_200600_302600_NS6detail15normal_iteratorINS9_10device_ptrIsEEEENS9_16discard_iteratorINS9_11use_defaultEEEsNS9_4plusIvEEsEEDaPvRmT3_T4_T5_mT6_P12ihipStream_tbENKUlT_T0_E_clISt17integral_constantIbLb1EESW_IbLb0EEEEDaSS_ST_EUlSS_E0_NS1_11comp_targetILNS1_3genE10ELNS1_11target_archE1201ELNS1_3gpuE5ELNS1_3repE0EEENS1_30default_config_static_selectorELNS0_4arch9wavefront6targetE1EEEvT1_,"axG",@progbits,_ZN7rocprim17ROCPRIM_400000_NS6detail17trampoline_kernelINS0_14default_configENS1_20scan_config_selectorIsEEZZNS1_9scan_implILNS1_25lookback_scan_determinismE0ELb1ELb1ES3_N6thrust23THRUST_200600_302600_NS6detail15normal_iteratorINS9_10device_ptrIsEEEENS9_16discard_iteratorINS9_11use_defaultEEEsNS9_4plusIvEEsEEDaPvRmT3_T4_T5_mT6_P12ihipStream_tbENKUlT_T0_E_clISt17integral_constantIbLb1EESW_IbLb0EEEEDaSS_ST_EUlSS_E0_NS1_11comp_targetILNS1_3genE10ELNS1_11target_archE1201ELNS1_3gpuE5ELNS1_3repE0EEENS1_30default_config_static_selectorELNS0_4arch9wavefront6targetE1EEEvT1_,comdat
.Lfunc_end5992:
	.size	_ZN7rocprim17ROCPRIM_400000_NS6detail17trampoline_kernelINS0_14default_configENS1_20scan_config_selectorIsEEZZNS1_9scan_implILNS1_25lookback_scan_determinismE0ELb1ELb1ES3_N6thrust23THRUST_200600_302600_NS6detail15normal_iteratorINS9_10device_ptrIsEEEENS9_16discard_iteratorINS9_11use_defaultEEEsNS9_4plusIvEEsEEDaPvRmT3_T4_T5_mT6_P12ihipStream_tbENKUlT_T0_E_clISt17integral_constantIbLb1EESW_IbLb0EEEEDaSS_ST_EUlSS_E0_NS1_11comp_targetILNS1_3genE10ELNS1_11target_archE1201ELNS1_3gpuE5ELNS1_3repE0EEENS1_30default_config_static_selectorELNS0_4arch9wavefront6targetE1EEEvT1_, .Lfunc_end5992-_ZN7rocprim17ROCPRIM_400000_NS6detail17trampoline_kernelINS0_14default_configENS1_20scan_config_selectorIsEEZZNS1_9scan_implILNS1_25lookback_scan_determinismE0ELb1ELb1ES3_N6thrust23THRUST_200600_302600_NS6detail15normal_iteratorINS9_10device_ptrIsEEEENS9_16discard_iteratorINS9_11use_defaultEEEsNS9_4plusIvEEsEEDaPvRmT3_T4_T5_mT6_P12ihipStream_tbENKUlT_T0_E_clISt17integral_constantIbLb1EESW_IbLb0EEEEDaSS_ST_EUlSS_E0_NS1_11comp_targetILNS1_3genE10ELNS1_11target_archE1201ELNS1_3gpuE5ELNS1_3repE0EEENS1_30default_config_static_selectorELNS0_4arch9wavefront6targetE1EEEvT1_
                                        ; -- End function
	.section	.AMDGPU.csdata,"",@progbits
; Kernel info:
; codeLenInByte = 0
; NumSgprs: 4
; NumVgprs: 0
; NumAgprs: 0
; TotalNumVgprs: 0
; ScratchSize: 0
; MemoryBound: 0
; FloatMode: 240
; IeeeMode: 1
; LDSByteSize: 0 bytes/workgroup (compile time only)
; SGPRBlocks: 0
; VGPRBlocks: 0
; NumSGPRsForWavesPerEU: 4
; NumVGPRsForWavesPerEU: 1
; AccumOffset: 4
; Occupancy: 8
; WaveLimiterHint : 0
; COMPUTE_PGM_RSRC2:SCRATCH_EN: 0
; COMPUTE_PGM_RSRC2:USER_SGPR: 6
; COMPUTE_PGM_RSRC2:TRAP_HANDLER: 0
; COMPUTE_PGM_RSRC2:TGID_X_EN: 1
; COMPUTE_PGM_RSRC2:TGID_Y_EN: 0
; COMPUTE_PGM_RSRC2:TGID_Z_EN: 0
; COMPUTE_PGM_RSRC2:TIDIG_COMP_CNT: 0
; COMPUTE_PGM_RSRC3_GFX90A:ACCUM_OFFSET: 0
; COMPUTE_PGM_RSRC3_GFX90A:TG_SPLIT: 0
	.section	.text._ZN7rocprim17ROCPRIM_400000_NS6detail17trampoline_kernelINS0_14default_configENS1_20scan_config_selectorIsEEZZNS1_9scan_implILNS1_25lookback_scan_determinismE0ELb1ELb1ES3_N6thrust23THRUST_200600_302600_NS6detail15normal_iteratorINS9_10device_ptrIsEEEENS9_16discard_iteratorINS9_11use_defaultEEEsNS9_4plusIvEEsEEDaPvRmT3_T4_T5_mT6_P12ihipStream_tbENKUlT_T0_E_clISt17integral_constantIbLb1EESW_IbLb0EEEEDaSS_ST_EUlSS_E0_NS1_11comp_targetILNS1_3genE10ELNS1_11target_archE1200ELNS1_3gpuE4ELNS1_3repE0EEENS1_30default_config_static_selectorELNS0_4arch9wavefront6targetE1EEEvT1_,"axG",@progbits,_ZN7rocprim17ROCPRIM_400000_NS6detail17trampoline_kernelINS0_14default_configENS1_20scan_config_selectorIsEEZZNS1_9scan_implILNS1_25lookback_scan_determinismE0ELb1ELb1ES3_N6thrust23THRUST_200600_302600_NS6detail15normal_iteratorINS9_10device_ptrIsEEEENS9_16discard_iteratorINS9_11use_defaultEEEsNS9_4plusIvEEsEEDaPvRmT3_T4_T5_mT6_P12ihipStream_tbENKUlT_T0_E_clISt17integral_constantIbLb1EESW_IbLb0EEEEDaSS_ST_EUlSS_E0_NS1_11comp_targetILNS1_3genE10ELNS1_11target_archE1200ELNS1_3gpuE4ELNS1_3repE0EEENS1_30default_config_static_selectorELNS0_4arch9wavefront6targetE1EEEvT1_,comdat
	.protected	_ZN7rocprim17ROCPRIM_400000_NS6detail17trampoline_kernelINS0_14default_configENS1_20scan_config_selectorIsEEZZNS1_9scan_implILNS1_25lookback_scan_determinismE0ELb1ELb1ES3_N6thrust23THRUST_200600_302600_NS6detail15normal_iteratorINS9_10device_ptrIsEEEENS9_16discard_iteratorINS9_11use_defaultEEEsNS9_4plusIvEEsEEDaPvRmT3_T4_T5_mT6_P12ihipStream_tbENKUlT_T0_E_clISt17integral_constantIbLb1EESW_IbLb0EEEEDaSS_ST_EUlSS_E0_NS1_11comp_targetILNS1_3genE10ELNS1_11target_archE1200ELNS1_3gpuE4ELNS1_3repE0EEENS1_30default_config_static_selectorELNS0_4arch9wavefront6targetE1EEEvT1_ ; -- Begin function _ZN7rocprim17ROCPRIM_400000_NS6detail17trampoline_kernelINS0_14default_configENS1_20scan_config_selectorIsEEZZNS1_9scan_implILNS1_25lookback_scan_determinismE0ELb1ELb1ES3_N6thrust23THRUST_200600_302600_NS6detail15normal_iteratorINS9_10device_ptrIsEEEENS9_16discard_iteratorINS9_11use_defaultEEEsNS9_4plusIvEEsEEDaPvRmT3_T4_T5_mT6_P12ihipStream_tbENKUlT_T0_E_clISt17integral_constantIbLb1EESW_IbLb0EEEEDaSS_ST_EUlSS_E0_NS1_11comp_targetILNS1_3genE10ELNS1_11target_archE1200ELNS1_3gpuE4ELNS1_3repE0EEENS1_30default_config_static_selectorELNS0_4arch9wavefront6targetE1EEEvT1_
	.globl	_ZN7rocprim17ROCPRIM_400000_NS6detail17trampoline_kernelINS0_14default_configENS1_20scan_config_selectorIsEEZZNS1_9scan_implILNS1_25lookback_scan_determinismE0ELb1ELb1ES3_N6thrust23THRUST_200600_302600_NS6detail15normal_iteratorINS9_10device_ptrIsEEEENS9_16discard_iteratorINS9_11use_defaultEEEsNS9_4plusIvEEsEEDaPvRmT3_T4_T5_mT6_P12ihipStream_tbENKUlT_T0_E_clISt17integral_constantIbLb1EESW_IbLb0EEEEDaSS_ST_EUlSS_E0_NS1_11comp_targetILNS1_3genE10ELNS1_11target_archE1200ELNS1_3gpuE4ELNS1_3repE0EEENS1_30default_config_static_selectorELNS0_4arch9wavefront6targetE1EEEvT1_
	.p2align	8
	.type	_ZN7rocprim17ROCPRIM_400000_NS6detail17trampoline_kernelINS0_14default_configENS1_20scan_config_selectorIsEEZZNS1_9scan_implILNS1_25lookback_scan_determinismE0ELb1ELb1ES3_N6thrust23THRUST_200600_302600_NS6detail15normal_iteratorINS9_10device_ptrIsEEEENS9_16discard_iteratorINS9_11use_defaultEEEsNS9_4plusIvEEsEEDaPvRmT3_T4_T5_mT6_P12ihipStream_tbENKUlT_T0_E_clISt17integral_constantIbLb1EESW_IbLb0EEEEDaSS_ST_EUlSS_E0_NS1_11comp_targetILNS1_3genE10ELNS1_11target_archE1200ELNS1_3gpuE4ELNS1_3repE0EEENS1_30default_config_static_selectorELNS0_4arch9wavefront6targetE1EEEvT1_,@function
_ZN7rocprim17ROCPRIM_400000_NS6detail17trampoline_kernelINS0_14default_configENS1_20scan_config_selectorIsEEZZNS1_9scan_implILNS1_25lookback_scan_determinismE0ELb1ELb1ES3_N6thrust23THRUST_200600_302600_NS6detail15normal_iteratorINS9_10device_ptrIsEEEENS9_16discard_iteratorINS9_11use_defaultEEEsNS9_4plusIvEEsEEDaPvRmT3_T4_T5_mT6_P12ihipStream_tbENKUlT_T0_E_clISt17integral_constantIbLb1EESW_IbLb0EEEEDaSS_ST_EUlSS_E0_NS1_11comp_targetILNS1_3genE10ELNS1_11target_archE1200ELNS1_3gpuE4ELNS1_3repE0EEENS1_30default_config_static_selectorELNS0_4arch9wavefront6targetE1EEEvT1_: ; @_ZN7rocprim17ROCPRIM_400000_NS6detail17trampoline_kernelINS0_14default_configENS1_20scan_config_selectorIsEEZZNS1_9scan_implILNS1_25lookback_scan_determinismE0ELb1ELb1ES3_N6thrust23THRUST_200600_302600_NS6detail15normal_iteratorINS9_10device_ptrIsEEEENS9_16discard_iteratorINS9_11use_defaultEEEsNS9_4plusIvEEsEEDaPvRmT3_T4_T5_mT6_P12ihipStream_tbENKUlT_T0_E_clISt17integral_constantIbLb1EESW_IbLb0EEEEDaSS_ST_EUlSS_E0_NS1_11comp_targetILNS1_3genE10ELNS1_11target_archE1200ELNS1_3gpuE4ELNS1_3repE0EEENS1_30default_config_static_selectorELNS0_4arch9wavefront6targetE1EEEvT1_
; %bb.0:
	.section	.rodata,"a",@progbits
	.p2align	6, 0x0
	.amdhsa_kernel _ZN7rocprim17ROCPRIM_400000_NS6detail17trampoline_kernelINS0_14default_configENS1_20scan_config_selectorIsEEZZNS1_9scan_implILNS1_25lookback_scan_determinismE0ELb1ELb1ES3_N6thrust23THRUST_200600_302600_NS6detail15normal_iteratorINS9_10device_ptrIsEEEENS9_16discard_iteratorINS9_11use_defaultEEEsNS9_4plusIvEEsEEDaPvRmT3_T4_T5_mT6_P12ihipStream_tbENKUlT_T0_E_clISt17integral_constantIbLb1EESW_IbLb0EEEEDaSS_ST_EUlSS_E0_NS1_11comp_targetILNS1_3genE10ELNS1_11target_archE1200ELNS1_3gpuE4ELNS1_3repE0EEENS1_30default_config_static_selectorELNS0_4arch9wavefront6targetE1EEEvT1_
		.amdhsa_group_segment_fixed_size 0
		.amdhsa_private_segment_fixed_size 0
		.amdhsa_kernarg_size 40
		.amdhsa_user_sgpr_count 6
		.amdhsa_user_sgpr_private_segment_buffer 1
		.amdhsa_user_sgpr_dispatch_ptr 0
		.amdhsa_user_sgpr_queue_ptr 0
		.amdhsa_user_sgpr_kernarg_segment_ptr 1
		.amdhsa_user_sgpr_dispatch_id 0
		.amdhsa_user_sgpr_flat_scratch_init 0
		.amdhsa_user_sgpr_kernarg_preload_length 0
		.amdhsa_user_sgpr_kernarg_preload_offset 0
		.amdhsa_user_sgpr_private_segment_size 0
		.amdhsa_uses_dynamic_stack 0
		.amdhsa_system_sgpr_private_segment_wavefront_offset 0
		.amdhsa_system_sgpr_workgroup_id_x 1
		.amdhsa_system_sgpr_workgroup_id_y 0
		.amdhsa_system_sgpr_workgroup_id_z 0
		.amdhsa_system_sgpr_workgroup_info 0
		.amdhsa_system_vgpr_workitem_id 0
		.amdhsa_next_free_vgpr 1
		.amdhsa_next_free_sgpr 0
		.amdhsa_accum_offset 4
		.amdhsa_reserve_vcc 0
		.amdhsa_reserve_flat_scratch 0
		.amdhsa_float_round_mode_32 0
		.amdhsa_float_round_mode_16_64 0
		.amdhsa_float_denorm_mode_32 3
		.amdhsa_float_denorm_mode_16_64 3
		.amdhsa_dx10_clamp 1
		.amdhsa_ieee_mode 1
		.amdhsa_fp16_overflow 0
		.amdhsa_tg_split 0
		.amdhsa_exception_fp_ieee_invalid_op 0
		.amdhsa_exception_fp_denorm_src 0
		.amdhsa_exception_fp_ieee_div_zero 0
		.amdhsa_exception_fp_ieee_overflow 0
		.amdhsa_exception_fp_ieee_underflow 0
		.amdhsa_exception_fp_ieee_inexact 0
		.amdhsa_exception_int_div_zero 0
	.end_amdhsa_kernel
	.section	.text._ZN7rocprim17ROCPRIM_400000_NS6detail17trampoline_kernelINS0_14default_configENS1_20scan_config_selectorIsEEZZNS1_9scan_implILNS1_25lookback_scan_determinismE0ELb1ELb1ES3_N6thrust23THRUST_200600_302600_NS6detail15normal_iteratorINS9_10device_ptrIsEEEENS9_16discard_iteratorINS9_11use_defaultEEEsNS9_4plusIvEEsEEDaPvRmT3_T4_T5_mT6_P12ihipStream_tbENKUlT_T0_E_clISt17integral_constantIbLb1EESW_IbLb0EEEEDaSS_ST_EUlSS_E0_NS1_11comp_targetILNS1_3genE10ELNS1_11target_archE1200ELNS1_3gpuE4ELNS1_3repE0EEENS1_30default_config_static_selectorELNS0_4arch9wavefront6targetE1EEEvT1_,"axG",@progbits,_ZN7rocprim17ROCPRIM_400000_NS6detail17trampoline_kernelINS0_14default_configENS1_20scan_config_selectorIsEEZZNS1_9scan_implILNS1_25lookback_scan_determinismE0ELb1ELb1ES3_N6thrust23THRUST_200600_302600_NS6detail15normal_iteratorINS9_10device_ptrIsEEEENS9_16discard_iteratorINS9_11use_defaultEEEsNS9_4plusIvEEsEEDaPvRmT3_T4_T5_mT6_P12ihipStream_tbENKUlT_T0_E_clISt17integral_constantIbLb1EESW_IbLb0EEEEDaSS_ST_EUlSS_E0_NS1_11comp_targetILNS1_3genE10ELNS1_11target_archE1200ELNS1_3gpuE4ELNS1_3repE0EEENS1_30default_config_static_selectorELNS0_4arch9wavefront6targetE1EEEvT1_,comdat
.Lfunc_end5993:
	.size	_ZN7rocprim17ROCPRIM_400000_NS6detail17trampoline_kernelINS0_14default_configENS1_20scan_config_selectorIsEEZZNS1_9scan_implILNS1_25lookback_scan_determinismE0ELb1ELb1ES3_N6thrust23THRUST_200600_302600_NS6detail15normal_iteratorINS9_10device_ptrIsEEEENS9_16discard_iteratorINS9_11use_defaultEEEsNS9_4plusIvEEsEEDaPvRmT3_T4_T5_mT6_P12ihipStream_tbENKUlT_T0_E_clISt17integral_constantIbLb1EESW_IbLb0EEEEDaSS_ST_EUlSS_E0_NS1_11comp_targetILNS1_3genE10ELNS1_11target_archE1200ELNS1_3gpuE4ELNS1_3repE0EEENS1_30default_config_static_selectorELNS0_4arch9wavefront6targetE1EEEvT1_, .Lfunc_end5993-_ZN7rocprim17ROCPRIM_400000_NS6detail17trampoline_kernelINS0_14default_configENS1_20scan_config_selectorIsEEZZNS1_9scan_implILNS1_25lookback_scan_determinismE0ELb1ELb1ES3_N6thrust23THRUST_200600_302600_NS6detail15normal_iteratorINS9_10device_ptrIsEEEENS9_16discard_iteratorINS9_11use_defaultEEEsNS9_4plusIvEEsEEDaPvRmT3_T4_T5_mT6_P12ihipStream_tbENKUlT_T0_E_clISt17integral_constantIbLb1EESW_IbLb0EEEEDaSS_ST_EUlSS_E0_NS1_11comp_targetILNS1_3genE10ELNS1_11target_archE1200ELNS1_3gpuE4ELNS1_3repE0EEENS1_30default_config_static_selectorELNS0_4arch9wavefront6targetE1EEEvT1_
                                        ; -- End function
	.section	.AMDGPU.csdata,"",@progbits
; Kernel info:
; codeLenInByte = 0
; NumSgprs: 4
; NumVgprs: 0
; NumAgprs: 0
; TotalNumVgprs: 0
; ScratchSize: 0
; MemoryBound: 0
; FloatMode: 240
; IeeeMode: 1
; LDSByteSize: 0 bytes/workgroup (compile time only)
; SGPRBlocks: 0
; VGPRBlocks: 0
; NumSGPRsForWavesPerEU: 4
; NumVGPRsForWavesPerEU: 1
; AccumOffset: 4
; Occupancy: 8
; WaveLimiterHint : 0
; COMPUTE_PGM_RSRC2:SCRATCH_EN: 0
; COMPUTE_PGM_RSRC2:USER_SGPR: 6
; COMPUTE_PGM_RSRC2:TRAP_HANDLER: 0
; COMPUTE_PGM_RSRC2:TGID_X_EN: 1
; COMPUTE_PGM_RSRC2:TGID_Y_EN: 0
; COMPUTE_PGM_RSRC2:TGID_Z_EN: 0
; COMPUTE_PGM_RSRC2:TIDIG_COMP_CNT: 0
; COMPUTE_PGM_RSRC3_GFX90A:ACCUM_OFFSET: 0
; COMPUTE_PGM_RSRC3_GFX90A:TG_SPLIT: 0
	.section	.text._ZN7rocprim17ROCPRIM_400000_NS6detail17trampoline_kernelINS0_14default_configENS1_20scan_config_selectorIsEEZZNS1_9scan_implILNS1_25lookback_scan_determinismE0ELb1ELb1ES3_N6thrust23THRUST_200600_302600_NS6detail15normal_iteratorINS9_10device_ptrIsEEEENS9_16discard_iteratorINS9_11use_defaultEEEsNS9_4plusIvEEsEEDaPvRmT3_T4_T5_mT6_P12ihipStream_tbENKUlT_T0_E_clISt17integral_constantIbLb1EESW_IbLb0EEEEDaSS_ST_EUlSS_E0_NS1_11comp_targetILNS1_3genE9ELNS1_11target_archE1100ELNS1_3gpuE3ELNS1_3repE0EEENS1_30default_config_static_selectorELNS0_4arch9wavefront6targetE1EEEvT1_,"axG",@progbits,_ZN7rocprim17ROCPRIM_400000_NS6detail17trampoline_kernelINS0_14default_configENS1_20scan_config_selectorIsEEZZNS1_9scan_implILNS1_25lookback_scan_determinismE0ELb1ELb1ES3_N6thrust23THRUST_200600_302600_NS6detail15normal_iteratorINS9_10device_ptrIsEEEENS9_16discard_iteratorINS9_11use_defaultEEEsNS9_4plusIvEEsEEDaPvRmT3_T4_T5_mT6_P12ihipStream_tbENKUlT_T0_E_clISt17integral_constantIbLb1EESW_IbLb0EEEEDaSS_ST_EUlSS_E0_NS1_11comp_targetILNS1_3genE9ELNS1_11target_archE1100ELNS1_3gpuE3ELNS1_3repE0EEENS1_30default_config_static_selectorELNS0_4arch9wavefront6targetE1EEEvT1_,comdat
	.protected	_ZN7rocprim17ROCPRIM_400000_NS6detail17trampoline_kernelINS0_14default_configENS1_20scan_config_selectorIsEEZZNS1_9scan_implILNS1_25lookback_scan_determinismE0ELb1ELb1ES3_N6thrust23THRUST_200600_302600_NS6detail15normal_iteratorINS9_10device_ptrIsEEEENS9_16discard_iteratorINS9_11use_defaultEEEsNS9_4plusIvEEsEEDaPvRmT3_T4_T5_mT6_P12ihipStream_tbENKUlT_T0_E_clISt17integral_constantIbLb1EESW_IbLb0EEEEDaSS_ST_EUlSS_E0_NS1_11comp_targetILNS1_3genE9ELNS1_11target_archE1100ELNS1_3gpuE3ELNS1_3repE0EEENS1_30default_config_static_selectorELNS0_4arch9wavefront6targetE1EEEvT1_ ; -- Begin function _ZN7rocprim17ROCPRIM_400000_NS6detail17trampoline_kernelINS0_14default_configENS1_20scan_config_selectorIsEEZZNS1_9scan_implILNS1_25lookback_scan_determinismE0ELb1ELb1ES3_N6thrust23THRUST_200600_302600_NS6detail15normal_iteratorINS9_10device_ptrIsEEEENS9_16discard_iteratorINS9_11use_defaultEEEsNS9_4plusIvEEsEEDaPvRmT3_T4_T5_mT6_P12ihipStream_tbENKUlT_T0_E_clISt17integral_constantIbLb1EESW_IbLb0EEEEDaSS_ST_EUlSS_E0_NS1_11comp_targetILNS1_3genE9ELNS1_11target_archE1100ELNS1_3gpuE3ELNS1_3repE0EEENS1_30default_config_static_selectorELNS0_4arch9wavefront6targetE1EEEvT1_
	.globl	_ZN7rocprim17ROCPRIM_400000_NS6detail17trampoline_kernelINS0_14default_configENS1_20scan_config_selectorIsEEZZNS1_9scan_implILNS1_25lookback_scan_determinismE0ELb1ELb1ES3_N6thrust23THRUST_200600_302600_NS6detail15normal_iteratorINS9_10device_ptrIsEEEENS9_16discard_iteratorINS9_11use_defaultEEEsNS9_4plusIvEEsEEDaPvRmT3_T4_T5_mT6_P12ihipStream_tbENKUlT_T0_E_clISt17integral_constantIbLb1EESW_IbLb0EEEEDaSS_ST_EUlSS_E0_NS1_11comp_targetILNS1_3genE9ELNS1_11target_archE1100ELNS1_3gpuE3ELNS1_3repE0EEENS1_30default_config_static_selectorELNS0_4arch9wavefront6targetE1EEEvT1_
	.p2align	8
	.type	_ZN7rocprim17ROCPRIM_400000_NS6detail17trampoline_kernelINS0_14default_configENS1_20scan_config_selectorIsEEZZNS1_9scan_implILNS1_25lookback_scan_determinismE0ELb1ELb1ES3_N6thrust23THRUST_200600_302600_NS6detail15normal_iteratorINS9_10device_ptrIsEEEENS9_16discard_iteratorINS9_11use_defaultEEEsNS9_4plusIvEEsEEDaPvRmT3_T4_T5_mT6_P12ihipStream_tbENKUlT_T0_E_clISt17integral_constantIbLb1EESW_IbLb0EEEEDaSS_ST_EUlSS_E0_NS1_11comp_targetILNS1_3genE9ELNS1_11target_archE1100ELNS1_3gpuE3ELNS1_3repE0EEENS1_30default_config_static_selectorELNS0_4arch9wavefront6targetE1EEEvT1_,@function
_ZN7rocprim17ROCPRIM_400000_NS6detail17trampoline_kernelINS0_14default_configENS1_20scan_config_selectorIsEEZZNS1_9scan_implILNS1_25lookback_scan_determinismE0ELb1ELb1ES3_N6thrust23THRUST_200600_302600_NS6detail15normal_iteratorINS9_10device_ptrIsEEEENS9_16discard_iteratorINS9_11use_defaultEEEsNS9_4plusIvEEsEEDaPvRmT3_T4_T5_mT6_P12ihipStream_tbENKUlT_T0_E_clISt17integral_constantIbLb1EESW_IbLb0EEEEDaSS_ST_EUlSS_E0_NS1_11comp_targetILNS1_3genE9ELNS1_11target_archE1100ELNS1_3gpuE3ELNS1_3repE0EEENS1_30default_config_static_selectorELNS0_4arch9wavefront6targetE1EEEvT1_: ; @_ZN7rocprim17ROCPRIM_400000_NS6detail17trampoline_kernelINS0_14default_configENS1_20scan_config_selectorIsEEZZNS1_9scan_implILNS1_25lookback_scan_determinismE0ELb1ELb1ES3_N6thrust23THRUST_200600_302600_NS6detail15normal_iteratorINS9_10device_ptrIsEEEENS9_16discard_iteratorINS9_11use_defaultEEEsNS9_4plusIvEEsEEDaPvRmT3_T4_T5_mT6_P12ihipStream_tbENKUlT_T0_E_clISt17integral_constantIbLb1EESW_IbLb0EEEEDaSS_ST_EUlSS_E0_NS1_11comp_targetILNS1_3genE9ELNS1_11target_archE1100ELNS1_3gpuE3ELNS1_3repE0EEENS1_30default_config_static_selectorELNS0_4arch9wavefront6targetE1EEEvT1_
; %bb.0:
	.section	.rodata,"a",@progbits
	.p2align	6, 0x0
	.amdhsa_kernel _ZN7rocprim17ROCPRIM_400000_NS6detail17trampoline_kernelINS0_14default_configENS1_20scan_config_selectorIsEEZZNS1_9scan_implILNS1_25lookback_scan_determinismE0ELb1ELb1ES3_N6thrust23THRUST_200600_302600_NS6detail15normal_iteratorINS9_10device_ptrIsEEEENS9_16discard_iteratorINS9_11use_defaultEEEsNS9_4plusIvEEsEEDaPvRmT3_T4_T5_mT6_P12ihipStream_tbENKUlT_T0_E_clISt17integral_constantIbLb1EESW_IbLb0EEEEDaSS_ST_EUlSS_E0_NS1_11comp_targetILNS1_3genE9ELNS1_11target_archE1100ELNS1_3gpuE3ELNS1_3repE0EEENS1_30default_config_static_selectorELNS0_4arch9wavefront6targetE1EEEvT1_
		.amdhsa_group_segment_fixed_size 0
		.amdhsa_private_segment_fixed_size 0
		.amdhsa_kernarg_size 40
		.amdhsa_user_sgpr_count 6
		.amdhsa_user_sgpr_private_segment_buffer 1
		.amdhsa_user_sgpr_dispatch_ptr 0
		.amdhsa_user_sgpr_queue_ptr 0
		.amdhsa_user_sgpr_kernarg_segment_ptr 1
		.amdhsa_user_sgpr_dispatch_id 0
		.amdhsa_user_sgpr_flat_scratch_init 0
		.amdhsa_user_sgpr_kernarg_preload_length 0
		.amdhsa_user_sgpr_kernarg_preload_offset 0
		.amdhsa_user_sgpr_private_segment_size 0
		.amdhsa_uses_dynamic_stack 0
		.amdhsa_system_sgpr_private_segment_wavefront_offset 0
		.amdhsa_system_sgpr_workgroup_id_x 1
		.amdhsa_system_sgpr_workgroup_id_y 0
		.amdhsa_system_sgpr_workgroup_id_z 0
		.amdhsa_system_sgpr_workgroup_info 0
		.amdhsa_system_vgpr_workitem_id 0
		.amdhsa_next_free_vgpr 1
		.amdhsa_next_free_sgpr 0
		.amdhsa_accum_offset 4
		.amdhsa_reserve_vcc 0
		.amdhsa_reserve_flat_scratch 0
		.amdhsa_float_round_mode_32 0
		.amdhsa_float_round_mode_16_64 0
		.amdhsa_float_denorm_mode_32 3
		.amdhsa_float_denorm_mode_16_64 3
		.amdhsa_dx10_clamp 1
		.amdhsa_ieee_mode 1
		.amdhsa_fp16_overflow 0
		.amdhsa_tg_split 0
		.amdhsa_exception_fp_ieee_invalid_op 0
		.amdhsa_exception_fp_denorm_src 0
		.amdhsa_exception_fp_ieee_div_zero 0
		.amdhsa_exception_fp_ieee_overflow 0
		.amdhsa_exception_fp_ieee_underflow 0
		.amdhsa_exception_fp_ieee_inexact 0
		.amdhsa_exception_int_div_zero 0
	.end_amdhsa_kernel
	.section	.text._ZN7rocprim17ROCPRIM_400000_NS6detail17trampoline_kernelINS0_14default_configENS1_20scan_config_selectorIsEEZZNS1_9scan_implILNS1_25lookback_scan_determinismE0ELb1ELb1ES3_N6thrust23THRUST_200600_302600_NS6detail15normal_iteratorINS9_10device_ptrIsEEEENS9_16discard_iteratorINS9_11use_defaultEEEsNS9_4plusIvEEsEEDaPvRmT3_T4_T5_mT6_P12ihipStream_tbENKUlT_T0_E_clISt17integral_constantIbLb1EESW_IbLb0EEEEDaSS_ST_EUlSS_E0_NS1_11comp_targetILNS1_3genE9ELNS1_11target_archE1100ELNS1_3gpuE3ELNS1_3repE0EEENS1_30default_config_static_selectorELNS0_4arch9wavefront6targetE1EEEvT1_,"axG",@progbits,_ZN7rocprim17ROCPRIM_400000_NS6detail17trampoline_kernelINS0_14default_configENS1_20scan_config_selectorIsEEZZNS1_9scan_implILNS1_25lookback_scan_determinismE0ELb1ELb1ES3_N6thrust23THRUST_200600_302600_NS6detail15normal_iteratorINS9_10device_ptrIsEEEENS9_16discard_iteratorINS9_11use_defaultEEEsNS9_4plusIvEEsEEDaPvRmT3_T4_T5_mT6_P12ihipStream_tbENKUlT_T0_E_clISt17integral_constantIbLb1EESW_IbLb0EEEEDaSS_ST_EUlSS_E0_NS1_11comp_targetILNS1_3genE9ELNS1_11target_archE1100ELNS1_3gpuE3ELNS1_3repE0EEENS1_30default_config_static_selectorELNS0_4arch9wavefront6targetE1EEEvT1_,comdat
.Lfunc_end5994:
	.size	_ZN7rocprim17ROCPRIM_400000_NS6detail17trampoline_kernelINS0_14default_configENS1_20scan_config_selectorIsEEZZNS1_9scan_implILNS1_25lookback_scan_determinismE0ELb1ELb1ES3_N6thrust23THRUST_200600_302600_NS6detail15normal_iteratorINS9_10device_ptrIsEEEENS9_16discard_iteratorINS9_11use_defaultEEEsNS9_4plusIvEEsEEDaPvRmT3_T4_T5_mT6_P12ihipStream_tbENKUlT_T0_E_clISt17integral_constantIbLb1EESW_IbLb0EEEEDaSS_ST_EUlSS_E0_NS1_11comp_targetILNS1_3genE9ELNS1_11target_archE1100ELNS1_3gpuE3ELNS1_3repE0EEENS1_30default_config_static_selectorELNS0_4arch9wavefront6targetE1EEEvT1_, .Lfunc_end5994-_ZN7rocprim17ROCPRIM_400000_NS6detail17trampoline_kernelINS0_14default_configENS1_20scan_config_selectorIsEEZZNS1_9scan_implILNS1_25lookback_scan_determinismE0ELb1ELb1ES3_N6thrust23THRUST_200600_302600_NS6detail15normal_iteratorINS9_10device_ptrIsEEEENS9_16discard_iteratorINS9_11use_defaultEEEsNS9_4plusIvEEsEEDaPvRmT3_T4_T5_mT6_P12ihipStream_tbENKUlT_T0_E_clISt17integral_constantIbLb1EESW_IbLb0EEEEDaSS_ST_EUlSS_E0_NS1_11comp_targetILNS1_3genE9ELNS1_11target_archE1100ELNS1_3gpuE3ELNS1_3repE0EEENS1_30default_config_static_selectorELNS0_4arch9wavefront6targetE1EEEvT1_
                                        ; -- End function
	.section	.AMDGPU.csdata,"",@progbits
; Kernel info:
; codeLenInByte = 0
; NumSgprs: 4
; NumVgprs: 0
; NumAgprs: 0
; TotalNumVgprs: 0
; ScratchSize: 0
; MemoryBound: 0
; FloatMode: 240
; IeeeMode: 1
; LDSByteSize: 0 bytes/workgroup (compile time only)
; SGPRBlocks: 0
; VGPRBlocks: 0
; NumSGPRsForWavesPerEU: 4
; NumVGPRsForWavesPerEU: 1
; AccumOffset: 4
; Occupancy: 8
; WaveLimiterHint : 0
; COMPUTE_PGM_RSRC2:SCRATCH_EN: 0
; COMPUTE_PGM_RSRC2:USER_SGPR: 6
; COMPUTE_PGM_RSRC2:TRAP_HANDLER: 0
; COMPUTE_PGM_RSRC2:TGID_X_EN: 1
; COMPUTE_PGM_RSRC2:TGID_Y_EN: 0
; COMPUTE_PGM_RSRC2:TGID_Z_EN: 0
; COMPUTE_PGM_RSRC2:TIDIG_COMP_CNT: 0
; COMPUTE_PGM_RSRC3_GFX90A:ACCUM_OFFSET: 0
; COMPUTE_PGM_RSRC3_GFX90A:TG_SPLIT: 0
	.section	.text._ZN7rocprim17ROCPRIM_400000_NS6detail17trampoline_kernelINS0_14default_configENS1_20scan_config_selectorIsEEZZNS1_9scan_implILNS1_25lookback_scan_determinismE0ELb1ELb1ES3_N6thrust23THRUST_200600_302600_NS6detail15normal_iteratorINS9_10device_ptrIsEEEENS9_16discard_iteratorINS9_11use_defaultEEEsNS9_4plusIvEEsEEDaPvRmT3_T4_T5_mT6_P12ihipStream_tbENKUlT_T0_E_clISt17integral_constantIbLb1EESW_IbLb0EEEEDaSS_ST_EUlSS_E0_NS1_11comp_targetILNS1_3genE8ELNS1_11target_archE1030ELNS1_3gpuE2ELNS1_3repE0EEENS1_30default_config_static_selectorELNS0_4arch9wavefront6targetE1EEEvT1_,"axG",@progbits,_ZN7rocprim17ROCPRIM_400000_NS6detail17trampoline_kernelINS0_14default_configENS1_20scan_config_selectorIsEEZZNS1_9scan_implILNS1_25lookback_scan_determinismE0ELb1ELb1ES3_N6thrust23THRUST_200600_302600_NS6detail15normal_iteratorINS9_10device_ptrIsEEEENS9_16discard_iteratorINS9_11use_defaultEEEsNS9_4plusIvEEsEEDaPvRmT3_T4_T5_mT6_P12ihipStream_tbENKUlT_T0_E_clISt17integral_constantIbLb1EESW_IbLb0EEEEDaSS_ST_EUlSS_E0_NS1_11comp_targetILNS1_3genE8ELNS1_11target_archE1030ELNS1_3gpuE2ELNS1_3repE0EEENS1_30default_config_static_selectorELNS0_4arch9wavefront6targetE1EEEvT1_,comdat
	.protected	_ZN7rocprim17ROCPRIM_400000_NS6detail17trampoline_kernelINS0_14default_configENS1_20scan_config_selectorIsEEZZNS1_9scan_implILNS1_25lookback_scan_determinismE0ELb1ELb1ES3_N6thrust23THRUST_200600_302600_NS6detail15normal_iteratorINS9_10device_ptrIsEEEENS9_16discard_iteratorINS9_11use_defaultEEEsNS9_4plusIvEEsEEDaPvRmT3_T4_T5_mT6_P12ihipStream_tbENKUlT_T0_E_clISt17integral_constantIbLb1EESW_IbLb0EEEEDaSS_ST_EUlSS_E0_NS1_11comp_targetILNS1_3genE8ELNS1_11target_archE1030ELNS1_3gpuE2ELNS1_3repE0EEENS1_30default_config_static_selectorELNS0_4arch9wavefront6targetE1EEEvT1_ ; -- Begin function _ZN7rocprim17ROCPRIM_400000_NS6detail17trampoline_kernelINS0_14default_configENS1_20scan_config_selectorIsEEZZNS1_9scan_implILNS1_25lookback_scan_determinismE0ELb1ELb1ES3_N6thrust23THRUST_200600_302600_NS6detail15normal_iteratorINS9_10device_ptrIsEEEENS9_16discard_iteratorINS9_11use_defaultEEEsNS9_4plusIvEEsEEDaPvRmT3_T4_T5_mT6_P12ihipStream_tbENKUlT_T0_E_clISt17integral_constantIbLb1EESW_IbLb0EEEEDaSS_ST_EUlSS_E0_NS1_11comp_targetILNS1_3genE8ELNS1_11target_archE1030ELNS1_3gpuE2ELNS1_3repE0EEENS1_30default_config_static_selectorELNS0_4arch9wavefront6targetE1EEEvT1_
	.globl	_ZN7rocprim17ROCPRIM_400000_NS6detail17trampoline_kernelINS0_14default_configENS1_20scan_config_selectorIsEEZZNS1_9scan_implILNS1_25lookback_scan_determinismE0ELb1ELb1ES3_N6thrust23THRUST_200600_302600_NS6detail15normal_iteratorINS9_10device_ptrIsEEEENS9_16discard_iteratorINS9_11use_defaultEEEsNS9_4plusIvEEsEEDaPvRmT3_T4_T5_mT6_P12ihipStream_tbENKUlT_T0_E_clISt17integral_constantIbLb1EESW_IbLb0EEEEDaSS_ST_EUlSS_E0_NS1_11comp_targetILNS1_3genE8ELNS1_11target_archE1030ELNS1_3gpuE2ELNS1_3repE0EEENS1_30default_config_static_selectorELNS0_4arch9wavefront6targetE1EEEvT1_
	.p2align	8
	.type	_ZN7rocprim17ROCPRIM_400000_NS6detail17trampoline_kernelINS0_14default_configENS1_20scan_config_selectorIsEEZZNS1_9scan_implILNS1_25lookback_scan_determinismE0ELb1ELb1ES3_N6thrust23THRUST_200600_302600_NS6detail15normal_iteratorINS9_10device_ptrIsEEEENS9_16discard_iteratorINS9_11use_defaultEEEsNS9_4plusIvEEsEEDaPvRmT3_T4_T5_mT6_P12ihipStream_tbENKUlT_T0_E_clISt17integral_constantIbLb1EESW_IbLb0EEEEDaSS_ST_EUlSS_E0_NS1_11comp_targetILNS1_3genE8ELNS1_11target_archE1030ELNS1_3gpuE2ELNS1_3repE0EEENS1_30default_config_static_selectorELNS0_4arch9wavefront6targetE1EEEvT1_,@function
_ZN7rocprim17ROCPRIM_400000_NS6detail17trampoline_kernelINS0_14default_configENS1_20scan_config_selectorIsEEZZNS1_9scan_implILNS1_25lookback_scan_determinismE0ELb1ELb1ES3_N6thrust23THRUST_200600_302600_NS6detail15normal_iteratorINS9_10device_ptrIsEEEENS9_16discard_iteratorINS9_11use_defaultEEEsNS9_4plusIvEEsEEDaPvRmT3_T4_T5_mT6_P12ihipStream_tbENKUlT_T0_E_clISt17integral_constantIbLb1EESW_IbLb0EEEEDaSS_ST_EUlSS_E0_NS1_11comp_targetILNS1_3genE8ELNS1_11target_archE1030ELNS1_3gpuE2ELNS1_3repE0EEENS1_30default_config_static_selectorELNS0_4arch9wavefront6targetE1EEEvT1_: ; @_ZN7rocprim17ROCPRIM_400000_NS6detail17trampoline_kernelINS0_14default_configENS1_20scan_config_selectorIsEEZZNS1_9scan_implILNS1_25lookback_scan_determinismE0ELb1ELb1ES3_N6thrust23THRUST_200600_302600_NS6detail15normal_iteratorINS9_10device_ptrIsEEEENS9_16discard_iteratorINS9_11use_defaultEEEsNS9_4plusIvEEsEEDaPvRmT3_T4_T5_mT6_P12ihipStream_tbENKUlT_T0_E_clISt17integral_constantIbLb1EESW_IbLb0EEEEDaSS_ST_EUlSS_E0_NS1_11comp_targetILNS1_3genE8ELNS1_11target_archE1030ELNS1_3gpuE2ELNS1_3repE0EEENS1_30default_config_static_selectorELNS0_4arch9wavefront6targetE1EEEvT1_
; %bb.0:
	.section	.rodata,"a",@progbits
	.p2align	6, 0x0
	.amdhsa_kernel _ZN7rocprim17ROCPRIM_400000_NS6detail17trampoline_kernelINS0_14default_configENS1_20scan_config_selectorIsEEZZNS1_9scan_implILNS1_25lookback_scan_determinismE0ELb1ELb1ES3_N6thrust23THRUST_200600_302600_NS6detail15normal_iteratorINS9_10device_ptrIsEEEENS9_16discard_iteratorINS9_11use_defaultEEEsNS9_4plusIvEEsEEDaPvRmT3_T4_T5_mT6_P12ihipStream_tbENKUlT_T0_E_clISt17integral_constantIbLb1EESW_IbLb0EEEEDaSS_ST_EUlSS_E0_NS1_11comp_targetILNS1_3genE8ELNS1_11target_archE1030ELNS1_3gpuE2ELNS1_3repE0EEENS1_30default_config_static_selectorELNS0_4arch9wavefront6targetE1EEEvT1_
		.amdhsa_group_segment_fixed_size 0
		.amdhsa_private_segment_fixed_size 0
		.amdhsa_kernarg_size 40
		.amdhsa_user_sgpr_count 6
		.amdhsa_user_sgpr_private_segment_buffer 1
		.amdhsa_user_sgpr_dispatch_ptr 0
		.amdhsa_user_sgpr_queue_ptr 0
		.amdhsa_user_sgpr_kernarg_segment_ptr 1
		.amdhsa_user_sgpr_dispatch_id 0
		.amdhsa_user_sgpr_flat_scratch_init 0
		.amdhsa_user_sgpr_kernarg_preload_length 0
		.amdhsa_user_sgpr_kernarg_preload_offset 0
		.amdhsa_user_sgpr_private_segment_size 0
		.amdhsa_uses_dynamic_stack 0
		.amdhsa_system_sgpr_private_segment_wavefront_offset 0
		.amdhsa_system_sgpr_workgroup_id_x 1
		.amdhsa_system_sgpr_workgroup_id_y 0
		.amdhsa_system_sgpr_workgroup_id_z 0
		.amdhsa_system_sgpr_workgroup_info 0
		.amdhsa_system_vgpr_workitem_id 0
		.amdhsa_next_free_vgpr 1
		.amdhsa_next_free_sgpr 0
		.amdhsa_accum_offset 4
		.amdhsa_reserve_vcc 0
		.amdhsa_reserve_flat_scratch 0
		.amdhsa_float_round_mode_32 0
		.amdhsa_float_round_mode_16_64 0
		.amdhsa_float_denorm_mode_32 3
		.amdhsa_float_denorm_mode_16_64 3
		.amdhsa_dx10_clamp 1
		.amdhsa_ieee_mode 1
		.amdhsa_fp16_overflow 0
		.amdhsa_tg_split 0
		.amdhsa_exception_fp_ieee_invalid_op 0
		.amdhsa_exception_fp_denorm_src 0
		.amdhsa_exception_fp_ieee_div_zero 0
		.amdhsa_exception_fp_ieee_overflow 0
		.amdhsa_exception_fp_ieee_underflow 0
		.amdhsa_exception_fp_ieee_inexact 0
		.amdhsa_exception_int_div_zero 0
	.end_amdhsa_kernel
	.section	.text._ZN7rocprim17ROCPRIM_400000_NS6detail17trampoline_kernelINS0_14default_configENS1_20scan_config_selectorIsEEZZNS1_9scan_implILNS1_25lookback_scan_determinismE0ELb1ELb1ES3_N6thrust23THRUST_200600_302600_NS6detail15normal_iteratorINS9_10device_ptrIsEEEENS9_16discard_iteratorINS9_11use_defaultEEEsNS9_4plusIvEEsEEDaPvRmT3_T4_T5_mT6_P12ihipStream_tbENKUlT_T0_E_clISt17integral_constantIbLb1EESW_IbLb0EEEEDaSS_ST_EUlSS_E0_NS1_11comp_targetILNS1_3genE8ELNS1_11target_archE1030ELNS1_3gpuE2ELNS1_3repE0EEENS1_30default_config_static_selectorELNS0_4arch9wavefront6targetE1EEEvT1_,"axG",@progbits,_ZN7rocprim17ROCPRIM_400000_NS6detail17trampoline_kernelINS0_14default_configENS1_20scan_config_selectorIsEEZZNS1_9scan_implILNS1_25lookback_scan_determinismE0ELb1ELb1ES3_N6thrust23THRUST_200600_302600_NS6detail15normal_iteratorINS9_10device_ptrIsEEEENS9_16discard_iteratorINS9_11use_defaultEEEsNS9_4plusIvEEsEEDaPvRmT3_T4_T5_mT6_P12ihipStream_tbENKUlT_T0_E_clISt17integral_constantIbLb1EESW_IbLb0EEEEDaSS_ST_EUlSS_E0_NS1_11comp_targetILNS1_3genE8ELNS1_11target_archE1030ELNS1_3gpuE2ELNS1_3repE0EEENS1_30default_config_static_selectorELNS0_4arch9wavefront6targetE1EEEvT1_,comdat
.Lfunc_end5995:
	.size	_ZN7rocprim17ROCPRIM_400000_NS6detail17trampoline_kernelINS0_14default_configENS1_20scan_config_selectorIsEEZZNS1_9scan_implILNS1_25lookback_scan_determinismE0ELb1ELb1ES3_N6thrust23THRUST_200600_302600_NS6detail15normal_iteratorINS9_10device_ptrIsEEEENS9_16discard_iteratorINS9_11use_defaultEEEsNS9_4plusIvEEsEEDaPvRmT3_T4_T5_mT6_P12ihipStream_tbENKUlT_T0_E_clISt17integral_constantIbLb1EESW_IbLb0EEEEDaSS_ST_EUlSS_E0_NS1_11comp_targetILNS1_3genE8ELNS1_11target_archE1030ELNS1_3gpuE2ELNS1_3repE0EEENS1_30default_config_static_selectorELNS0_4arch9wavefront6targetE1EEEvT1_, .Lfunc_end5995-_ZN7rocprim17ROCPRIM_400000_NS6detail17trampoline_kernelINS0_14default_configENS1_20scan_config_selectorIsEEZZNS1_9scan_implILNS1_25lookback_scan_determinismE0ELb1ELb1ES3_N6thrust23THRUST_200600_302600_NS6detail15normal_iteratorINS9_10device_ptrIsEEEENS9_16discard_iteratorINS9_11use_defaultEEEsNS9_4plusIvEEsEEDaPvRmT3_T4_T5_mT6_P12ihipStream_tbENKUlT_T0_E_clISt17integral_constantIbLb1EESW_IbLb0EEEEDaSS_ST_EUlSS_E0_NS1_11comp_targetILNS1_3genE8ELNS1_11target_archE1030ELNS1_3gpuE2ELNS1_3repE0EEENS1_30default_config_static_selectorELNS0_4arch9wavefront6targetE1EEEvT1_
                                        ; -- End function
	.section	.AMDGPU.csdata,"",@progbits
; Kernel info:
; codeLenInByte = 0
; NumSgprs: 4
; NumVgprs: 0
; NumAgprs: 0
; TotalNumVgprs: 0
; ScratchSize: 0
; MemoryBound: 0
; FloatMode: 240
; IeeeMode: 1
; LDSByteSize: 0 bytes/workgroup (compile time only)
; SGPRBlocks: 0
; VGPRBlocks: 0
; NumSGPRsForWavesPerEU: 4
; NumVGPRsForWavesPerEU: 1
; AccumOffset: 4
; Occupancy: 8
; WaveLimiterHint : 0
; COMPUTE_PGM_RSRC2:SCRATCH_EN: 0
; COMPUTE_PGM_RSRC2:USER_SGPR: 6
; COMPUTE_PGM_RSRC2:TRAP_HANDLER: 0
; COMPUTE_PGM_RSRC2:TGID_X_EN: 1
; COMPUTE_PGM_RSRC2:TGID_Y_EN: 0
; COMPUTE_PGM_RSRC2:TGID_Z_EN: 0
; COMPUTE_PGM_RSRC2:TIDIG_COMP_CNT: 0
; COMPUTE_PGM_RSRC3_GFX90A:ACCUM_OFFSET: 0
; COMPUTE_PGM_RSRC3_GFX90A:TG_SPLIT: 0
	.section	.text._ZN7rocprim17ROCPRIM_400000_NS6detail17trampoline_kernelINS0_14default_configENS1_20scan_config_selectorIsEEZZNS1_9scan_implILNS1_25lookback_scan_determinismE0ELb1ELb1ES3_N6thrust23THRUST_200600_302600_NS6detail15normal_iteratorINS9_10device_ptrIsEEEENS9_16discard_iteratorINS9_11use_defaultEEEsNS9_4plusIvEEsEEDaPvRmT3_T4_T5_mT6_P12ihipStream_tbENKUlT_T0_E_clISt17integral_constantIbLb0EESW_IbLb1EEEEDaSS_ST_EUlSS_E_NS1_11comp_targetILNS1_3genE0ELNS1_11target_archE4294967295ELNS1_3gpuE0ELNS1_3repE0EEENS1_30default_config_static_selectorELNS0_4arch9wavefront6targetE1EEEvT1_,"axG",@progbits,_ZN7rocprim17ROCPRIM_400000_NS6detail17trampoline_kernelINS0_14default_configENS1_20scan_config_selectorIsEEZZNS1_9scan_implILNS1_25lookback_scan_determinismE0ELb1ELb1ES3_N6thrust23THRUST_200600_302600_NS6detail15normal_iteratorINS9_10device_ptrIsEEEENS9_16discard_iteratorINS9_11use_defaultEEEsNS9_4plusIvEEsEEDaPvRmT3_T4_T5_mT6_P12ihipStream_tbENKUlT_T0_E_clISt17integral_constantIbLb0EESW_IbLb1EEEEDaSS_ST_EUlSS_E_NS1_11comp_targetILNS1_3genE0ELNS1_11target_archE4294967295ELNS1_3gpuE0ELNS1_3repE0EEENS1_30default_config_static_selectorELNS0_4arch9wavefront6targetE1EEEvT1_,comdat
	.protected	_ZN7rocprim17ROCPRIM_400000_NS6detail17trampoline_kernelINS0_14default_configENS1_20scan_config_selectorIsEEZZNS1_9scan_implILNS1_25lookback_scan_determinismE0ELb1ELb1ES3_N6thrust23THRUST_200600_302600_NS6detail15normal_iteratorINS9_10device_ptrIsEEEENS9_16discard_iteratorINS9_11use_defaultEEEsNS9_4plusIvEEsEEDaPvRmT3_T4_T5_mT6_P12ihipStream_tbENKUlT_T0_E_clISt17integral_constantIbLb0EESW_IbLb1EEEEDaSS_ST_EUlSS_E_NS1_11comp_targetILNS1_3genE0ELNS1_11target_archE4294967295ELNS1_3gpuE0ELNS1_3repE0EEENS1_30default_config_static_selectorELNS0_4arch9wavefront6targetE1EEEvT1_ ; -- Begin function _ZN7rocprim17ROCPRIM_400000_NS6detail17trampoline_kernelINS0_14default_configENS1_20scan_config_selectorIsEEZZNS1_9scan_implILNS1_25lookback_scan_determinismE0ELb1ELb1ES3_N6thrust23THRUST_200600_302600_NS6detail15normal_iteratorINS9_10device_ptrIsEEEENS9_16discard_iteratorINS9_11use_defaultEEEsNS9_4plusIvEEsEEDaPvRmT3_T4_T5_mT6_P12ihipStream_tbENKUlT_T0_E_clISt17integral_constantIbLb0EESW_IbLb1EEEEDaSS_ST_EUlSS_E_NS1_11comp_targetILNS1_3genE0ELNS1_11target_archE4294967295ELNS1_3gpuE0ELNS1_3repE0EEENS1_30default_config_static_selectorELNS0_4arch9wavefront6targetE1EEEvT1_
	.globl	_ZN7rocprim17ROCPRIM_400000_NS6detail17trampoline_kernelINS0_14default_configENS1_20scan_config_selectorIsEEZZNS1_9scan_implILNS1_25lookback_scan_determinismE0ELb1ELb1ES3_N6thrust23THRUST_200600_302600_NS6detail15normal_iteratorINS9_10device_ptrIsEEEENS9_16discard_iteratorINS9_11use_defaultEEEsNS9_4plusIvEEsEEDaPvRmT3_T4_T5_mT6_P12ihipStream_tbENKUlT_T0_E_clISt17integral_constantIbLb0EESW_IbLb1EEEEDaSS_ST_EUlSS_E_NS1_11comp_targetILNS1_3genE0ELNS1_11target_archE4294967295ELNS1_3gpuE0ELNS1_3repE0EEENS1_30default_config_static_selectorELNS0_4arch9wavefront6targetE1EEEvT1_
	.p2align	8
	.type	_ZN7rocprim17ROCPRIM_400000_NS6detail17trampoline_kernelINS0_14default_configENS1_20scan_config_selectorIsEEZZNS1_9scan_implILNS1_25lookback_scan_determinismE0ELb1ELb1ES3_N6thrust23THRUST_200600_302600_NS6detail15normal_iteratorINS9_10device_ptrIsEEEENS9_16discard_iteratorINS9_11use_defaultEEEsNS9_4plusIvEEsEEDaPvRmT3_T4_T5_mT6_P12ihipStream_tbENKUlT_T0_E_clISt17integral_constantIbLb0EESW_IbLb1EEEEDaSS_ST_EUlSS_E_NS1_11comp_targetILNS1_3genE0ELNS1_11target_archE4294967295ELNS1_3gpuE0ELNS1_3repE0EEENS1_30default_config_static_selectorELNS0_4arch9wavefront6targetE1EEEvT1_,@function
_ZN7rocprim17ROCPRIM_400000_NS6detail17trampoline_kernelINS0_14default_configENS1_20scan_config_selectorIsEEZZNS1_9scan_implILNS1_25lookback_scan_determinismE0ELb1ELb1ES3_N6thrust23THRUST_200600_302600_NS6detail15normal_iteratorINS9_10device_ptrIsEEEENS9_16discard_iteratorINS9_11use_defaultEEEsNS9_4plusIvEEsEEDaPvRmT3_T4_T5_mT6_P12ihipStream_tbENKUlT_T0_E_clISt17integral_constantIbLb0EESW_IbLb1EEEEDaSS_ST_EUlSS_E_NS1_11comp_targetILNS1_3genE0ELNS1_11target_archE4294967295ELNS1_3gpuE0ELNS1_3repE0EEENS1_30default_config_static_selectorELNS0_4arch9wavefront6targetE1EEEvT1_: ; @_ZN7rocprim17ROCPRIM_400000_NS6detail17trampoline_kernelINS0_14default_configENS1_20scan_config_selectorIsEEZZNS1_9scan_implILNS1_25lookback_scan_determinismE0ELb1ELb1ES3_N6thrust23THRUST_200600_302600_NS6detail15normal_iteratorINS9_10device_ptrIsEEEENS9_16discard_iteratorINS9_11use_defaultEEEsNS9_4plusIvEEsEEDaPvRmT3_T4_T5_mT6_P12ihipStream_tbENKUlT_T0_E_clISt17integral_constantIbLb0EESW_IbLb1EEEEDaSS_ST_EUlSS_E_NS1_11comp_targetILNS1_3genE0ELNS1_11target_archE4294967295ELNS1_3gpuE0ELNS1_3repE0EEENS1_30default_config_static_selectorELNS0_4arch9wavefront6targetE1EEEvT1_
; %bb.0:
	.section	.rodata,"a",@progbits
	.p2align	6, 0x0
	.amdhsa_kernel _ZN7rocprim17ROCPRIM_400000_NS6detail17trampoline_kernelINS0_14default_configENS1_20scan_config_selectorIsEEZZNS1_9scan_implILNS1_25lookback_scan_determinismE0ELb1ELb1ES3_N6thrust23THRUST_200600_302600_NS6detail15normal_iteratorINS9_10device_ptrIsEEEENS9_16discard_iteratorINS9_11use_defaultEEEsNS9_4plusIvEEsEEDaPvRmT3_T4_T5_mT6_P12ihipStream_tbENKUlT_T0_E_clISt17integral_constantIbLb0EESW_IbLb1EEEEDaSS_ST_EUlSS_E_NS1_11comp_targetILNS1_3genE0ELNS1_11target_archE4294967295ELNS1_3gpuE0ELNS1_3repE0EEENS1_30default_config_static_selectorELNS0_4arch9wavefront6targetE1EEEvT1_
		.amdhsa_group_segment_fixed_size 0
		.amdhsa_private_segment_fixed_size 0
		.amdhsa_kernarg_size 104
		.amdhsa_user_sgpr_count 6
		.amdhsa_user_sgpr_private_segment_buffer 1
		.amdhsa_user_sgpr_dispatch_ptr 0
		.amdhsa_user_sgpr_queue_ptr 0
		.amdhsa_user_sgpr_kernarg_segment_ptr 1
		.amdhsa_user_sgpr_dispatch_id 0
		.amdhsa_user_sgpr_flat_scratch_init 0
		.amdhsa_user_sgpr_kernarg_preload_length 0
		.amdhsa_user_sgpr_kernarg_preload_offset 0
		.amdhsa_user_sgpr_private_segment_size 0
		.amdhsa_uses_dynamic_stack 0
		.amdhsa_system_sgpr_private_segment_wavefront_offset 0
		.amdhsa_system_sgpr_workgroup_id_x 1
		.amdhsa_system_sgpr_workgroup_id_y 0
		.amdhsa_system_sgpr_workgroup_id_z 0
		.amdhsa_system_sgpr_workgroup_info 0
		.amdhsa_system_vgpr_workitem_id 0
		.amdhsa_next_free_vgpr 1
		.amdhsa_next_free_sgpr 0
		.amdhsa_accum_offset 4
		.amdhsa_reserve_vcc 0
		.amdhsa_reserve_flat_scratch 0
		.amdhsa_float_round_mode_32 0
		.amdhsa_float_round_mode_16_64 0
		.amdhsa_float_denorm_mode_32 3
		.amdhsa_float_denorm_mode_16_64 3
		.amdhsa_dx10_clamp 1
		.amdhsa_ieee_mode 1
		.amdhsa_fp16_overflow 0
		.amdhsa_tg_split 0
		.amdhsa_exception_fp_ieee_invalid_op 0
		.amdhsa_exception_fp_denorm_src 0
		.amdhsa_exception_fp_ieee_div_zero 0
		.amdhsa_exception_fp_ieee_overflow 0
		.amdhsa_exception_fp_ieee_underflow 0
		.amdhsa_exception_fp_ieee_inexact 0
		.amdhsa_exception_int_div_zero 0
	.end_amdhsa_kernel
	.section	.text._ZN7rocprim17ROCPRIM_400000_NS6detail17trampoline_kernelINS0_14default_configENS1_20scan_config_selectorIsEEZZNS1_9scan_implILNS1_25lookback_scan_determinismE0ELb1ELb1ES3_N6thrust23THRUST_200600_302600_NS6detail15normal_iteratorINS9_10device_ptrIsEEEENS9_16discard_iteratorINS9_11use_defaultEEEsNS9_4plusIvEEsEEDaPvRmT3_T4_T5_mT6_P12ihipStream_tbENKUlT_T0_E_clISt17integral_constantIbLb0EESW_IbLb1EEEEDaSS_ST_EUlSS_E_NS1_11comp_targetILNS1_3genE0ELNS1_11target_archE4294967295ELNS1_3gpuE0ELNS1_3repE0EEENS1_30default_config_static_selectorELNS0_4arch9wavefront6targetE1EEEvT1_,"axG",@progbits,_ZN7rocprim17ROCPRIM_400000_NS6detail17trampoline_kernelINS0_14default_configENS1_20scan_config_selectorIsEEZZNS1_9scan_implILNS1_25lookback_scan_determinismE0ELb1ELb1ES3_N6thrust23THRUST_200600_302600_NS6detail15normal_iteratorINS9_10device_ptrIsEEEENS9_16discard_iteratorINS9_11use_defaultEEEsNS9_4plusIvEEsEEDaPvRmT3_T4_T5_mT6_P12ihipStream_tbENKUlT_T0_E_clISt17integral_constantIbLb0EESW_IbLb1EEEEDaSS_ST_EUlSS_E_NS1_11comp_targetILNS1_3genE0ELNS1_11target_archE4294967295ELNS1_3gpuE0ELNS1_3repE0EEENS1_30default_config_static_selectorELNS0_4arch9wavefront6targetE1EEEvT1_,comdat
.Lfunc_end5996:
	.size	_ZN7rocprim17ROCPRIM_400000_NS6detail17trampoline_kernelINS0_14default_configENS1_20scan_config_selectorIsEEZZNS1_9scan_implILNS1_25lookback_scan_determinismE0ELb1ELb1ES3_N6thrust23THRUST_200600_302600_NS6detail15normal_iteratorINS9_10device_ptrIsEEEENS9_16discard_iteratorINS9_11use_defaultEEEsNS9_4plusIvEEsEEDaPvRmT3_T4_T5_mT6_P12ihipStream_tbENKUlT_T0_E_clISt17integral_constantIbLb0EESW_IbLb1EEEEDaSS_ST_EUlSS_E_NS1_11comp_targetILNS1_3genE0ELNS1_11target_archE4294967295ELNS1_3gpuE0ELNS1_3repE0EEENS1_30default_config_static_selectorELNS0_4arch9wavefront6targetE1EEEvT1_, .Lfunc_end5996-_ZN7rocprim17ROCPRIM_400000_NS6detail17trampoline_kernelINS0_14default_configENS1_20scan_config_selectorIsEEZZNS1_9scan_implILNS1_25lookback_scan_determinismE0ELb1ELb1ES3_N6thrust23THRUST_200600_302600_NS6detail15normal_iteratorINS9_10device_ptrIsEEEENS9_16discard_iteratorINS9_11use_defaultEEEsNS9_4plusIvEEsEEDaPvRmT3_T4_T5_mT6_P12ihipStream_tbENKUlT_T0_E_clISt17integral_constantIbLb0EESW_IbLb1EEEEDaSS_ST_EUlSS_E_NS1_11comp_targetILNS1_3genE0ELNS1_11target_archE4294967295ELNS1_3gpuE0ELNS1_3repE0EEENS1_30default_config_static_selectorELNS0_4arch9wavefront6targetE1EEEvT1_
                                        ; -- End function
	.section	.AMDGPU.csdata,"",@progbits
; Kernel info:
; codeLenInByte = 0
; NumSgprs: 4
; NumVgprs: 0
; NumAgprs: 0
; TotalNumVgprs: 0
; ScratchSize: 0
; MemoryBound: 0
; FloatMode: 240
; IeeeMode: 1
; LDSByteSize: 0 bytes/workgroup (compile time only)
; SGPRBlocks: 0
; VGPRBlocks: 0
; NumSGPRsForWavesPerEU: 4
; NumVGPRsForWavesPerEU: 1
; AccumOffset: 4
; Occupancy: 8
; WaveLimiterHint : 0
; COMPUTE_PGM_RSRC2:SCRATCH_EN: 0
; COMPUTE_PGM_RSRC2:USER_SGPR: 6
; COMPUTE_PGM_RSRC2:TRAP_HANDLER: 0
; COMPUTE_PGM_RSRC2:TGID_X_EN: 1
; COMPUTE_PGM_RSRC2:TGID_Y_EN: 0
; COMPUTE_PGM_RSRC2:TGID_Z_EN: 0
; COMPUTE_PGM_RSRC2:TIDIG_COMP_CNT: 0
; COMPUTE_PGM_RSRC3_GFX90A:ACCUM_OFFSET: 0
; COMPUTE_PGM_RSRC3_GFX90A:TG_SPLIT: 0
	.section	.text._ZN7rocprim17ROCPRIM_400000_NS6detail17trampoline_kernelINS0_14default_configENS1_20scan_config_selectorIsEEZZNS1_9scan_implILNS1_25lookback_scan_determinismE0ELb1ELb1ES3_N6thrust23THRUST_200600_302600_NS6detail15normal_iteratorINS9_10device_ptrIsEEEENS9_16discard_iteratorINS9_11use_defaultEEEsNS9_4plusIvEEsEEDaPvRmT3_T4_T5_mT6_P12ihipStream_tbENKUlT_T0_E_clISt17integral_constantIbLb0EESW_IbLb1EEEEDaSS_ST_EUlSS_E_NS1_11comp_targetILNS1_3genE5ELNS1_11target_archE942ELNS1_3gpuE9ELNS1_3repE0EEENS1_30default_config_static_selectorELNS0_4arch9wavefront6targetE1EEEvT1_,"axG",@progbits,_ZN7rocprim17ROCPRIM_400000_NS6detail17trampoline_kernelINS0_14default_configENS1_20scan_config_selectorIsEEZZNS1_9scan_implILNS1_25lookback_scan_determinismE0ELb1ELb1ES3_N6thrust23THRUST_200600_302600_NS6detail15normal_iteratorINS9_10device_ptrIsEEEENS9_16discard_iteratorINS9_11use_defaultEEEsNS9_4plusIvEEsEEDaPvRmT3_T4_T5_mT6_P12ihipStream_tbENKUlT_T0_E_clISt17integral_constantIbLb0EESW_IbLb1EEEEDaSS_ST_EUlSS_E_NS1_11comp_targetILNS1_3genE5ELNS1_11target_archE942ELNS1_3gpuE9ELNS1_3repE0EEENS1_30default_config_static_selectorELNS0_4arch9wavefront6targetE1EEEvT1_,comdat
	.protected	_ZN7rocprim17ROCPRIM_400000_NS6detail17trampoline_kernelINS0_14default_configENS1_20scan_config_selectorIsEEZZNS1_9scan_implILNS1_25lookback_scan_determinismE0ELb1ELb1ES3_N6thrust23THRUST_200600_302600_NS6detail15normal_iteratorINS9_10device_ptrIsEEEENS9_16discard_iteratorINS9_11use_defaultEEEsNS9_4plusIvEEsEEDaPvRmT3_T4_T5_mT6_P12ihipStream_tbENKUlT_T0_E_clISt17integral_constantIbLb0EESW_IbLb1EEEEDaSS_ST_EUlSS_E_NS1_11comp_targetILNS1_3genE5ELNS1_11target_archE942ELNS1_3gpuE9ELNS1_3repE0EEENS1_30default_config_static_selectorELNS0_4arch9wavefront6targetE1EEEvT1_ ; -- Begin function _ZN7rocprim17ROCPRIM_400000_NS6detail17trampoline_kernelINS0_14default_configENS1_20scan_config_selectorIsEEZZNS1_9scan_implILNS1_25lookback_scan_determinismE0ELb1ELb1ES3_N6thrust23THRUST_200600_302600_NS6detail15normal_iteratorINS9_10device_ptrIsEEEENS9_16discard_iteratorINS9_11use_defaultEEEsNS9_4plusIvEEsEEDaPvRmT3_T4_T5_mT6_P12ihipStream_tbENKUlT_T0_E_clISt17integral_constantIbLb0EESW_IbLb1EEEEDaSS_ST_EUlSS_E_NS1_11comp_targetILNS1_3genE5ELNS1_11target_archE942ELNS1_3gpuE9ELNS1_3repE0EEENS1_30default_config_static_selectorELNS0_4arch9wavefront6targetE1EEEvT1_
	.globl	_ZN7rocprim17ROCPRIM_400000_NS6detail17trampoline_kernelINS0_14default_configENS1_20scan_config_selectorIsEEZZNS1_9scan_implILNS1_25lookback_scan_determinismE0ELb1ELb1ES3_N6thrust23THRUST_200600_302600_NS6detail15normal_iteratorINS9_10device_ptrIsEEEENS9_16discard_iteratorINS9_11use_defaultEEEsNS9_4plusIvEEsEEDaPvRmT3_T4_T5_mT6_P12ihipStream_tbENKUlT_T0_E_clISt17integral_constantIbLb0EESW_IbLb1EEEEDaSS_ST_EUlSS_E_NS1_11comp_targetILNS1_3genE5ELNS1_11target_archE942ELNS1_3gpuE9ELNS1_3repE0EEENS1_30default_config_static_selectorELNS0_4arch9wavefront6targetE1EEEvT1_
	.p2align	8
	.type	_ZN7rocprim17ROCPRIM_400000_NS6detail17trampoline_kernelINS0_14default_configENS1_20scan_config_selectorIsEEZZNS1_9scan_implILNS1_25lookback_scan_determinismE0ELb1ELb1ES3_N6thrust23THRUST_200600_302600_NS6detail15normal_iteratorINS9_10device_ptrIsEEEENS9_16discard_iteratorINS9_11use_defaultEEEsNS9_4plusIvEEsEEDaPvRmT3_T4_T5_mT6_P12ihipStream_tbENKUlT_T0_E_clISt17integral_constantIbLb0EESW_IbLb1EEEEDaSS_ST_EUlSS_E_NS1_11comp_targetILNS1_3genE5ELNS1_11target_archE942ELNS1_3gpuE9ELNS1_3repE0EEENS1_30default_config_static_selectorELNS0_4arch9wavefront6targetE1EEEvT1_,@function
_ZN7rocprim17ROCPRIM_400000_NS6detail17trampoline_kernelINS0_14default_configENS1_20scan_config_selectorIsEEZZNS1_9scan_implILNS1_25lookback_scan_determinismE0ELb1ELb1ES3_N6thrust23THRUST_200600_302600_NS6detail15normal_iteratorINS9_10device_ptrIsEEEENS9_16discard_iteratorINS9_11use_defaultEEEsNS9_4plusIvEEsEEDaPvRmT3_T4_T5_mT6_P12ihipStream_tbENKUlT_T0_E_clISt17integral_constantIbLb0EESW_IbLb1EEEEDaSS_ST_EUlSS_E_NS1_11comp_targetILNS1_3genE5ELNS1_11target_archE942ELNS1_3gpuE9ELNS1_3repE0EEENS1_30default_config_static_selectorELNS0_4arch9wavefront6targetE1EEEvT1_: ; @_ZN7rocprim17ROCPRIM_400000_NS6detail17trampoline_kernelINS0_14default_configENS1_20scan_config_selectorIsEEZZNS1_9scan_implILNS1_25lookback_scan_determinismE0ELb1ELb1ES3_N6thrust23THRUST_200600_302600_NS6detail15normal_iteratorINS9_10device_ptrIsEEEENS9_16discard_iteratorINS9_11use_defaultEEEsNS9_4plusIvEEsEEDaPvRmT3_T4_T5_mT6_P12ihipStream_tbENKUlT_T0_E_clISt17integral_constantIbLb0EESW_IbLb1EEEEDaSS_ST_EUlSS_E_NS1_11comp_targetILNS1_3genE5ELNS1_11target_archE942ELNS1_3gpuE9ELNS1_3repE0EEENS1_30default_config_static_selectorELNS0_4arch9wavefront6targetE1EEEvT1_
; %bb.0:
	.section	.rodata,"a",@progbits
	.p2align	6, 0x0
	.amdhsa_kernel _ZN7rocprim17ROCPRIM_400000_NS6detail17trampoline_kernelINS0_14default_configENS1_20scan_config_selectorIsEEZZNS1_9scan_implILNS1_25lookback_scan_determinismE0ELb1ELb1ES3_N6thrust23THRUST_200600_302600_NS6detail15normal_iteratorINS9_10device_ptrIsEEEENS9_16discard_iteratorINS9_11use_defaultEEEsNS9_4plusIvEEsEEDaPvRmT3_T4_T5_mT6_P12ihipStream_tbENKUlT_T0_E_clISt17integral_constantIbLb0EESW_IbLb1EEEEDaSS_ST_EUlSS_E_NS1_11comp_targetILNS1_3genE5ELNS1_11target_archE942ELNS1_3gpuE9ELNS1_3repE0EEENS1_30default_config_static_selectorELNS0_4arch9wavefront6targetE1EEEvT1_
		.amdhsa_group_segment_fixed_size 0
		.amdhsa_private_segment_fixed_size 0
		.amdhsa_kernarg_size 104
		.amdhsa_user_sgpr_count 6
		.amdhsa_user_sgpr_private_segment_buffer 1
		.amdhsa_user_sgpr_dispatch_ptr 0
		.amdhsa_user_sgpr_queue_ptr 0
		.amdhsa_user_sgpr_kernarg_segment_ptr 1
		.amdhsa_user_sgpr_dispatch_id 0
		.amdhsa_user_sgpr_flat_scratch_init 0
		.amdhsa_user_sgpr_kernarg_preload_length 0
		.amdhsa_user_sgpr_kernarg_preload_offset 0
		.amdhsa_user_sgpr_private_segment_size 0
		.amdhsa_uses_dynamic_stack 0
		.amdhsa_system_sgpr_private_segment_wavefront_offset 0
		.amdhsa_system_sgpr_workgroup_id_x 1
		.amdhsa_system_sgpr_workgroup_id_y 0
		.amdhsa_system_sgpr_workgroup_id_z 0
		.amdhsa_system_sgpr_workgroup_info 0
		.amdhsa_system_vgpr_workitem_id 0
		.amdhsa_next_free_vgpr 1
		.amdhsa_next_free_sgpr 0
		.amdhsa_accum_offset 4
		.amdhsa_reserve_vcc 0
		.amdhsa_reserve_flat_scratch 0
		.amdhsa_float_round_mode_32 0
		.amdhsa_float_round_mode_16_64 0
		.amdhsa_float_denorm_mode_32 3
		.amdhsa_float_denorm_mode_16_64 3
		.amdhsa_dx10_clamp 1
		.amdhsa_ieee_mode 1
		.amdhsa_fp16_overflow 0
		.amdhsa_tg_split 0
		.amdhsa_exception_fp_ieee_invalid_op 0
		.amdhsa_exception_fp_denorm_src 0
		.amdhsa_exception_fp_ieee_div_zero 0
		.amdhsa_exception_fp_ieee_overflow 0
		.amdhsa_exception_fp_ieee_underflow 0
		.amdhsa_exception_fp_ieee_inexact 0
		.amdhsa_exception_int_div_zero 0
	.end_amdhsa_kernel
	.section	.text._ZN7rocprim17ROCPRIM_400000_NS6detail17trampoline_kernelINS0_14default_configENS1_20scan_config_selectorIsEEZZNS1_9scan_implILNS1_25lookback_scan_determinismE0ELb1ELb1ES3_N6thrust23THRUST_200600_302600_NS6detail15normal_iteratorINS9_10device_ptrIsEEEENS9_16discard_iteratorINS9_11use_defaultEEEsNS9_4plusIvEEsEEDaPvRmT3_T4_T5_mT6_P12ihipStream_tbENKUlT_T0_E_clISt17integral_constantIbLb0EESW_IbLb1EEEEDaSS_ST_EUlSS_E_NS1_11comp_targetILNS1_3genE5ELNS1_11target_archE942ELNS1_3gpuE9ELNS1_3repE0EEENS1_30default_config_static_selectorELNS0_4arch9wavefront6targetE1EEEvT1_,"axG",@progbits,_ZN7rocprim17ROCPRIM_400000_NS6detail17trampoline_kernelINS0_14default_configENS1_20scan_config_selectorIsEEZZNS1_9scan_implILNS1_25lookback_scan_determinismE0ELb1ELb1ES3_N6thrust23THRUST_200600_302600_NS6detail15normal_iteratorINS9_10device_ptrIsEEEENS9_16discard_iteratorINS9_11use_defaultEEEsNS9_4plusIvEEsEEDaPvRmT3_T4_T5_mT6_P12ihipStream_tbENKUlT_T0_E_clISt17integral_constantIbLb0EESW_IbLb1EEEEDaSS_ST_EUlSS_E_NS1_11comp_targetILNS1_3genE5ELNS1_11target_archE942ELNS1_3gpuE9ELNS1_3repE0EEENS1_30default_config_static_selectorELNS0_4arch9wavefront6targetE1EEEvT1_,comdat
.Lfunc_end5997:
	.size	_ZN7rocprim17ROCPRIM_400000_NS6detail17trampoline_kernelINS0_14default_configENS1_20scan_config_selectorIsEEZZNS1_9scan_implILNS1_25lookback_scan_determinismE0ELb1ELb1ES3_N6thrust23THRUST_200600_302600_NS6detail15normal_iteratorINS9_10device_ptrIsEEEENS9_16discard_iteratorINS9_11use_defaultEEEsNS9_4plusIvEEsEEDaPvRmT3_T4_T5_mT6_P12ihipStream_tbENKUlT_T0_E_clISt17integral_constantIbLb0EESW_IbLb1EEEEDaSS_ST_EUlSS_E_NS1_11comp_targetILNS1_3genE5ELNS1_11target_archE942ELNS1_3gpuE9ELNS1_3repE0EEENS1_30default_config_static_selectorELNS0_4arch9wavefront6targetE1EEEvT1_, .Lfunc_end5997-_ZN7rocprim17ROCPRIM_400000_NS6detail17trampoline_kernelINS0_14default_configENS1_20scan_config_selectorIsEEZZNS1_9scan_implILNS1_25lookback_scan_determinismE0ELb1ELb1ES3_N6thrust23THRUST_200600_302600_NS6detail15normal_iteratorINS9_10device_ptrIsEEEENS9_16discard_iteratorINS9_11use_defaultEEEsNS9_4plusIvEEsEEDaPvRmT3_T4_T5_mT6_P12ihipStream_tbENKUlT_T0_E_clISt17integral_constantIbLb0EESW_IbLb1EEEEDaSS_ST_EUlSS_E_NS1_11comp_targetILNS1_3genE5ELNS1_11target_archE942ELNS1_3gpuE9ELNS1_3repE0EEENS1_30default_config_static_selectorELNS0_4arch9wavefront6targetE1EEEvT1_
                                        ; -- End function
	.section	.AMDGPU.csdata,"",@progbits
; Kernel info:
; codeLenInByte = 0
; NumSgprs: 4
; NumVgprs: 0
; NumAgprs: 0
; TotalNumVgprs: 0
; ScratchSize: 0
; MemoryBound: 0
; FloatMode: 240
; IeeeMode: 1
; LDSByteSize: 0 bytes/workgroup (compile time only)
; SGPRBlocks: 0
; VGPRBlocks: 0
; NumSGPRsForWavesPerEU: 4
; NumVGPRsForWavesPerEU: 1
; AccumOffset: 4
; Occupancy: 8
; WaveLimiterHint : 0
; COMPUTE_PGM_RSRC2:SCRATCH_EN: 0
; COMPUTE_PGM_RSRC2:USER_SGPR: 6
; COMPUTE_PGM_RSRC2:TRAP_HANDLER: 0
; COMPUTE_PGM_RSRC2:TGID_X_EN: 1
; COMPUTE_PGM_RSRC2:TGID_Y_EN: 0
; COMPUTE_PGM_RSRC2:TGID_Z_EN: 0
; COMPUTE_PGM_RSRC2:TIDIG_COMP_CNT: 0
; COMPUTE_PGM_RSRC3_GFX90A:ACCUM_OFFSET: 0
; COMPUTE_PGM_RSRC3_GFX90A:TG_SPLIT: 0
	.section	.text._ZN7rocprim17ROCPRIM_400000_NS6detail17trampoline_kernelINS0_14default_configENS1_20scan_config_selectorIsEEZZNS1_9scan_implILNS1_25lookback_scan_determinismE0ELb1ELb1ES3_N6thrust23THRUST_200600_302600_NS6detail15normal_iteratorINS9_10device_ptrIsEEEENS9_16discard_iteratorINS9_11use_defaultEEEsNS9_4plusIvEEsEEDaPvRmT3_T4_T5_mT6_P12ihipStream_tbENKUlT_T0_E_clISt17integral_constantIbLb0EESW_IbLb1EEEEDaSS_ST_EUlSS_E_NS1_11comp_targetILNS1_3genE4ELNS1_11target_archE910ELNS1_3gpuE8ELNS1_3repE0EEENS1_30default_config_static_selectorELNS0_4arch9wavefront6targetE1EEEvT1_,"axG",@progbits,_ZN7rocprim17ROCPRIM_400000_NS6detail17trampoline_kernelINS0_14default_configENS1_20scan_config_selectorIsEEZZNS1_9scan_implILNS1_25lookback_scan_determinismE0ELb1ELb1ES3_N6thrust23THRUST_200600_302600_NS6detail15normal_iteratorINS9_10device_ptrIsEEEENS9_16discard_iteratorINS9_11use_defaultEEEsNS9_4plusIvEEsEEDaPvRmT3_T4_T5_mT6_P12ihipStream_tbENKUlT_T0_E_clISt17integral_constantIbLb0EESW_IbLb1EEEEDaSS_ST_EUlSS_E_NS1_11comp_targetILNS1_3genE4ELNS1_11target_archE910ELNS1_3gpuE8ELNS1_3repE0EEENS1_30default_config_static_selectorELNS0_4arch9wavefront6targetE1EEEvT1_,comdat
	.protected	_ZN7rocprim17ROCPRIM_400000_NS6detail17trampoline_kernelINS0_14default_configENS1_20scan_config_selectorIsEEZZNS1_9scan_implILNS1_25lookback_scan_determinismE0ELb1ELb1ES3_N6thrust23THRUST_200600_302600_NS6detail15normal_iteratorINS9_10device_ptrIsEEEENS9_16discard_iteratorINS9_11use_defaultEEEsNS9_4plusIvEEsEEDaPvRmT3_T4_T5_mT6_P12ihipStream_tbENKUlT_T0_E_clISt17integral_constantIbLb0EESW_IbLb1EEEEDaSS_ST_EUlSS_E_NS1_11comp_targetILNS1_3genE4ELNS1_11target_archE910ELNS1_3gpuE8ELNS1_3repE0EEENS1_30default_config_static_selectorELNS0_4arch9wavefront6targetE1EEEvT1_ ; -- Begin function _ZN7rocprim17ROCPRIM_400000_NS6detail17trampoline_kernelINS0_14default_configENS1_20scan_config_selectorIsEEZZNS1_9scan_implILNS1_25lookback_scan_determinismE0ELb1ELb1ES3_N6thrust23THRUST_200600_302600_NS6detail15normal_iteratorINS9_10device_ptrIsEEEENS9_16discard_iteratorINS9_11use_defaultEEEsNS9_4plusIvEEsEEDaPvRmT3_T4_T5_mT6_P12ihipStream_tbENKUlT_T0_E_clISt17integral_constantIbLb0EESW_IbLb1EEEEDaSS_ST_EUlSS_E_NS1_11comp_targetILNS1_3genE4ELNS1_11target_archE910ELNS1_3gpuE8ELNS1_3repE0EEENS1_30default_config_static_selectorELNS0_4arch9wavefront6targetE1EEEvT1_
	.globl	_ZN7rocprim17ROCPRIM_400000_NS6detail17trampoline_kernelINS0_14default_configENS1_20scan_config_selectorIsEEZZNS1_9scan_implILNS1_25lookback_scan_determinismE0ELb1ELb1ES3_N6thrust23THRUST_200600_302600_NS6detail15normal_iteratorINS9_10device_ptrIsEEEENS9_16discard_iteratorINS9_11use_defaultEEEsNS9_4plusIvEEsEEDaPvRmT3_T4_T5_mT6_P12ihipStream_tbENKUlT_T0_E_clISt17integral_constantIbLb0EESW_IbLb1EEEEDaSS_ST_EUlSS_E_NS1_11comp_targetILNS1_3genE4ELNS1_11target_archE910ELNS1_3gpuE8ELNS1_3repE0EEENS1_30default_config_static_selectorELNS0_4arch9wavefront6targetE1EEEvT1_
	.p2align	8
	.type	_ZN7rocprim17ROCPRIM_400000_NS6detail17trampoline_kernelINS0_14default_configENS1_20scan_config_selectorIsEEZZNS1_9scan_implILNS1_25lookback_scan_determinismE0ELb1ELb1ES3_N6thrust23THRUST_200600_302600_NS6detail15normal_iteratorINS9_10device_ptrIsEEEENS9_16discard_iteratorINS9_11use_defaultEEEsNS9_4plusIvEEsEEDaPvRmT3_T4_T5_mT6_P12ihipStream_tbENKUlT_T0_E_clISt17integral_constantIbLb0EESW_IbLb1EEEEDaSS_ST_EUlSS_E_NS1_11comp_targetILNS1_3genE4ELNS1_11target_archE910ELNS1_3gpuE8ELNS1_3repE0EEENS1_30default_config_static_selectorELNS0_4arch9wavefront6targetE1EEEvT1_,@function
_ZN7rocprim17ROCPRIM_400000_NS6detail17trampoline_kernelINS0_14default_configENS1_20scan_config_selectorIsEEZZNS1_9scan_implILNS1_25lookback_scan_determinismE0ELb1ELb1ES3_N6thrust23THRUST_200600_302600_NS6detail15normal_iteratorINS9_10device_ptrIsEEEENS9_16discard_iteratorINS9_11use_defaultEEEsNS9_4plusIvEEsEEDaPvRmT3_T4_T5_mT6_P12ihipStream_tbENKUlT_T0_E_clISt17integral_constantIbLb0EESW_IbLb1EEEEDaSS_ST_EUlSS_E_NS1_11comp_targetILNS1_3genE4ELNS1_11target_archE910ELNS1_3gpuE8ELNS1_3repE0EEENS1_30default_config_static_selectorELNS0_4arch9wavefront6targetE1EEEvT1_: ; @_ZN7rocprim17ROCPRIM_400000_NS6detail17trampoline_kernelINS0_14default_configENS1_20scan_config_selectorIsEEZZNS1_9scan_implILNS1_25lookback_scan_determinismE0ELb1ELb1ES3_N6thrust23THRUST_200600_302600_NS6detail15normal_iteratorINS9_10device_ptrIsEEEENS9_16discard_iteratorINS9_11use_defaultEEEsNS9_4plusIvEEsEEDaPvRmT3_T4_T5_mT6_P12ihipStream_tbENKUlT_T0_E_clISt17integral_constantIbLb0EESW_IbLb1EEEEDaSS_ST_EUlSS_E_NS1_11comp_targetILNS1_3genE4ELNS1_11target_archE910ELNS1_3gpuE8ELNS1_3repE0EEENS1_30default_config_static_selectorELNS0_4arch9wavefront6targetE1EEEvT1_
; %bb.0:
	s_load_dwordx2 s[2:3], s[4:5], 0x20
	s_load_dword s24, s[4:5], 0x28
	s_load_dwordx2 s[20:21], s[4:5], 0x30
	v_cmp_eq_u32_e64 s[0:1], 0, v0
	s_and_saveexec_b64 s[6:7], s[0:1]
	s_cbranch_execz .LBB5998_4
; %bb.1:
	s_mov_b64 s[10:11], exec
	v_mbcnt_lo_u32_b32 v1, s10, 0
	v_mbcnt_hi_u32_b32 v1, s11, v1
	v_cmp_eq_u32_e32 vcc, 0, v1
                                        ; implicit-def: $vgpr2
	s_and_saveexec_b64 s[8:9], vcc
	s_cbranch_execz .LBB5998_3
; %bb.2:
	s_load_dwordx2 s[12:13], s[4:5], 0x60
	s_bcnt1_i32_b64 s10, s[10:11]
	v_mov_b32_e32 v2, 0
	v_mov_b32_e32 v3, s10
	s_waitcnt lgkmcnt(0)
	global_atomic_add v2, v2, v3, s[12:13] glc
.LBB5998_3:
	s_or_b64 exec, exec, s[8:9]
	s_waitcnt vmcnt(0)
	v_readfirstlane_b32 s8, v2
	v_add_u32_e32 v1, s8, v1
	v_mov_b32_e32 v2, 0
	ds_write_b32 v2, v1
.LBB5998_4:
	s_or_b64 exec, exec, s[6:7]
	v_mov_b32_e32 v3, 0
	s_load_dwordx4 s[16:19], s[4:5], 0x0
	s_load_dword s6, s[4:5], 0x38
	s_load_dwordx8 s[8:15], s[4:5], 0x40
	s_waitcnt lgkmcnt(0)
	; wave barrier
	s_waitcnt lgkmcnt(0)
	ds_read_b32 v1, v3
	s_lshl_b64 s[4:5], s[18:19], 1
	s_add_u32 s25, s16, s4
	s_movk_i32 s4, 0x600
	s_addc_u32 s26, s17, s5
	s_waitcnt lgkmcnt(0)
	v_mul_lo_u32 v2, v1, s4
	s_add_i32 s4, s6, -1
	s_mul_i32 s5, s4, 0x600
	s_sub_u32 s22, s2, s5
	v_readfirstlane_b32 s27, v1
	s_subb_u32 s23, s3, 0
	v_lshlrev_b64 v[2:3], 1, v[2:3]
	s_cmp_lg_u32 s27, s4
	v_mov_b32_e32 v1, s26
	v_add_co_u32_e32 v2, vcc, s25, v2
	s_cselect_b64 s[16:17], -1, 0
	v_addc_co_u32_e32 v3, vcc, v1, v3, vcc
	s_mov_b64 s[2:3], -1
	s_and_b64 vcc, exec, s[16:17]
	s_waitcnt lgkmcnt(0)
	; wave barrier
	s_cbranch_vccz .LBB5998_6
; %bb.5:
	v_lshlrev_b32_e32 v1, 1, v0
	v_add_co_u32_e32 v4, vcc, v2, v1
	v_addc_co_u32_e32 v5, vcc, 0, v3, vcc
	flat_load_ushort v6, v[4:5]
	flat_load_ushort v7, v[4:5] offset:128
	flat_load_ushort v8, v[4:5] offset:256
	;; [unrolled: 1-line block ×23, first 2 shown]
	s_mov_b64 s[2:3], 0
	s_waitcnt vmcnt(0) lgkmcnt(0)
	ds_write_b16 v1, v6
	ds_write_b16 v1, v7 offset:128
	ds_write_b16 v1, v8 offset:256
	;; [unrolled: 1-line block ×23, first 2 shown]
	s_waitcnt lgkmcnt(0)
	; wave barrier
.LBB5998_6:
	s_andn2_b64 vcc, exec, s[2:3]
	s_cbranch_vccnz .LBB5998_56
; %bb.7:
	flat_load_ushort v1, v[2:3]
	v_cmp_gt_u32_e32 vcc, s22, v0
	s_waitcnt vmcnt(0) lgkmcnt(0)
	v_mov_b32_e32 v4, v1
	s_and_saveexec_b64 s[2:3], vcc
	s_cbranch_execz .LBB5998_9
; %bb.8:
	v_lshlrev_b32_e32 v4, 1, v0
	v_add_co_u32_e32 v4, vcc, v2, v4
	v_addc_co_u32_e32 v5, vcc, 0, v3, vcc
	flat_load_ushort v4, v[4:5]
.LBB5998_9:
	s_or_b64 exec, exec, s[2:3]
	v_or_b32_e32 v5, 64, v0
	v_cmp_gt_u32_e32 vcc, s22, v5
	v_mov_b32_e32 v5, v1
	s_and_saveexec_b64 s[2:3], vcc
	s_cbranch_execz .LBB5998_11
; %bb.10:
	v_lshlrev_b32_e32 v5, 1, v0
	v_add_co_u32_e32 v6, vcc, v2, v5
	v_addc_co_u32_e32 v7, vcc, 0, v3, vcc
	flat_load_ushort v5, v[6:7] offset:128
.LBB5998_11:
	s_or_b64 exec, exec, s[2:3]
	v_or_b32_e32 v6, 0x80, v0
	v_cmp_gt_u32_e32 vcc, s22, v6
	v_mov_b32_e32 v6, v1
	s_and_saveexec_b64 s[2:3], vcc
	s_cbranch_execz .LBB5998_13
; %bb.12:
	v_lshlrev_b32_e32 v6, 1, v0
	v_add_co_u32_e32 v6, vcc, v2, v6
	v_addc_co_u32_e32 v7, vcc, 0, v3, vcc
	flat_load_ushort v6, v[6:7] offset:256
.LBB5998_13:
	;; [unrolled: 12-line block ×22, first 2 shown]
	s_or_b64 exec, exec, s[2:3]
	v_or_b32_e32 v27, 0x5c0, v0
	v_cmp_gt_u32_e32 vcc, s22, v27
	s_and_saveexec_b64 s[2:3], vcc
	s_cbranch_execz .LBB5998_55
; %bb.54:
	v_lshlrev_b32_e32 v1, 1, v0
	v_add_co_u32_e32 v2, vcc, v2, v1
	v_addc_co_u32_e32 v3, vcc, 0, v3, vcc
	flat_load_ushort v1, v[2:3] offset:2944
.LBB5998_55:
	s_or_b64 exec, exec, s[2:3]
	v_lshlrev_b32_e32 v2, 1, v0
	s_waitcnt vmcnt(0) lgkmcnt(0)
	ds_write_b16 v2, v4
	ds_write_b16 v2, v5 offset:128
	ds_write_b16 v2, v6 offset:256
	;; [unrolled: 1-line block ×23, first 2 shown]
	s_waitcnt lgkmcnt(0)
	; wave barrier
.LBB5998_56:
	v_mul_u32_u24_e32 v20, 24, v0
	v_lshlrev_b32_e32 v1, 1, v20
	s_waitcnt lgkmcnt(0)
	ds_read_b128 v[10:13], v1
	ds_read_b128 v[6:9], v1 offset:16
	ds_read_b128 v[2:5], v1 offset:32
	s_cmp_lg_u32 s27, 0
	v_mbcnt_lo_u32_b32 v21, -1, 0
	s_waitcnt lgkmcnt(2)
	v_add_u16_sdwa v14, v10, v10 dst_sel:DWORD dst_unused:UNUSED_PAD src0_sel:WORD_1 src1_sel:DWORD
	v_add_u16_e32 v22, v14, v11
	v_cmp_eq_u32_e32 vcc, 63, v0
	s_waitcnt lgkmcnt(0)
	; wave barrier
	s_waitcnt lgkmcnt(0)
	s_cbranch_scc0 .LBB5998_79
; %bb.57:
	v_add_u16_sdwa v14, v22, v11 dst_sel:DWORD dst_unused:UNUSED_PAD src0_sel:DWORD src1_sel:WORD_1
	v_add_u16_e32 v14, v14, v12
	v_add_u16_sdwa v14, v14, v12 dst_sel:DWORD dst_unused:UNUSED_PAD src0_sel:DWORD src1_sel:WORD_1
	v_add_u16_e32 v14, v14, v13
	;; [unrolled: 2-line block ×10, first 2 shown]
	v_mbcnt_hi_u32_b32 v15, -1, v21
	v_add_u16_sdwa v14, v14, v5 dst_sel:DWORD dst_unused:UNUSED_PAD src0_sel:DWORD src1_sel:WORD_1
	v_and_b32_e32 v16, 15, v15
	v_cmp_ne_u32_e64 s[2:3], 0, v16
	v_mov_b32_dpp v17, v14 row_shr:1 row_mask:0xf bank_mask:0xf
	v_cndmask_b32_e64 v17, 0, v17, s[2:3]
	v_add_u16_e32 v14, v17, v14
	v_cmp_lt_u32_e64 s[2:3], 1, v16
	s_nop 0
	v_mov_b32_dpp v17, v14 row_shr:2 row_mask:0xf bank_mask:0xf
	v_cndmask_b32_e64 v17, 0, v17, s[2:3]
	v_add_u16_e32 v14, v14, v17
	v_cmp_lt_u32_e64 s[2:3], 3, v16
	s_nop 0
	;; [unrolled: 5-line block ×3, first 2 shown]
	v_mov_b32_dpp v17, v14 row_shr:8 row_mask:0xf bank_mask:0xf
	v_cndmask_b32_e64 v16, 0, v17, s[2:3]
	v_add_u16_e32 v14, v14, v16
	v_and_b32_e32 v17, 16, v15
	v_cmp_ne_u32_e64 s[2:3], 0, v17
	v_mov_b32_dpp v16, v14 row_bcast:15 row_mask:0xf bank_mask:0xf
	v_cndmask_b32_e64 v16, 0, v16, s[2:3]
	v_add_u16_e32 v14, v14, v16
	v_cmp_lt_u32_e64 s[2:3], 31, v15
	s_nop 0
	v_mov_b32_dpp v16, v14 row_bcast:31 row_mask:0xf bank_mask:0xf
	v_cndmask_b32_e64 v16, 0, v16, s[2:3]
	v_add_u16_e32 v14, v14, v16
	s_and_saveexec_b64 s[2:3], vcc
	s_cbranch_execz .LBB5998_59
; %bb.58:
	v_mov_b32_e32 v16, 0
	ds_write_b16 v16, v14
.LBB5998_59:
	s_or_b64 exec, exec, s[2:3]
	v_add_u32_e32 v16, -1, v15
	v_and_b32_e32 v17, 64, v15
	v_cmp_lt_i32_e32 vcc, v16, v17
	v_cndmask_b32_e32 v16, v16, v15, vcc
	v_lshlrev_b32_e32 v16, 2, v16
	ds_bpermute_b32 v23, v16, v14
	v_cmp_gt_u32_e32 vcc, 64, v0
	s_waitcnt lgkmcnt(0)
	; wave barrier
	s_waitcnt lgkmcnt(0)
	s_and_saveexec_b64 s[18:19], vcc
	s_cbranch_execz .LBB5998_78
; %bb.60:
	v_mov_b32_e32 v17, 0
	ds_read_u16 v24, v17
	s_mov_b32 s7, 0
	v_cmp_eq_u32_e64 s[2:3], 0, v15
	s_and_saveexec_b64 s[4:5], s[2:3]
	s_cbranch_execz .LBB5998_62
; %bb.61:
	s_add_i32 s6, s27, 64
	s_lshl_b64 s[6:7], s[6:7], 2
	s_add_u32 s6, s20, s6
	s_waitcnt lgkmcnt(0)
	v_or_b32_e32 v14, 0x10000, v24
	s_addc_u32 s7, s21, s7
	global_store_dword v17, v14, s[6:7]
.LBB5998_62:
	s_or_b64 exec, exec, s[4:5]
	v_xad_u32 v14, v15, -1, s27
	v_add_u32_e32 v16, 64, v14
	v_lshlrev_b64 v[18:19], 2, v[16:17]
	v_mov_b32_e32 v16, s21
	v_add_co_u32_e32 v18, vcc, s20, v18
	v_addc_co_u32_e32 v19, vcc, v16, v19, vcc
	global_load_dword v37, v[18:19], off glc
	s_waitcnt vmcnt(0)
	v_lshrrev_b32_e32 v26, 16, v37
	v_cmp_eq_u16_sdwa s[6:7], v26, v17 src0_sel:BYTE_0 src1_sel:DWORD
	s_and_saveexec_b64 s[4:5], s[6:7]
	s_cbranch_execz .LBB5998_66
; %bb.63:
	s_mov_b64 s[6:7], 0
	v_mov_b32_e32 v16, 0
.LBB5998_64:                            ; =>This Inner Loop Header: Depth=1
	global_load_dword v37, v[18:19], off glc
	s_waitcnt vmcnt(0)
	v_lshrrev_b32_e32 v26, 16, v37
	v_cmp_ne_u16_sdwa s[28:29], v26, v16 src0_sel:BYTE_0 src1_sel:DWORD
	s_or_b64 s[6:7], s[28:29], s[6:7]
	s_andn2_b64 exec, exec, s[6:7]
	s_cbranch_execnz .LBB5998_64
; %bb.65:
	s_or_b64 exec, exec, s[6:7]
.LBB5998_66:
	s_or_b64 exec, exec, s[4:5]
	v_and_b32_e32 v27, 63, v15
	v_cmp_ne_u32_e32 vcc, 63, v27
	v_mov_b32_e32 v25, 2
	v_addc_co_u32_e32 v28, vcc, 0, v15, vcc
	v_cmp_eq_u16_sdwa s[4:5], v26, v25 src0_sel:BYTE_0 src1_sel:DWORD
	v_lshlrev_b64 v[16:17], v15, -1
	v_and_b32_e32 v29, 0xffff, v37
	v_lshlrev_b32_e32 v28, 2, v28
	v_and_b32_e32 v18, s5, v17
	ds_bpermute_b32 v30, v28, v29
	v_or_b32_e32 v18, 0x80000000, v18
	v_and_b32_e32 v19, s4, v16
	v_ffbl_b32_e32 v18, v18
	v_add_u32_e32 v18, 32, v18
	v_ffbl_b32_e32 v19, v19
	v_min_u32_e32 v18, v19, v18
	s_waitcnt lgkmcnt(0)
	v_add_u16_e32 v19, v30, v37
	v_cmp_lt_u32_e32 vcc, v27, v18
	v_cmp_gt_u32_e64 s[4:5], 62, v27
	v_cndmask_b32_e32 v31, v29, v19, vcc
	v_cndmask_b32_e64 v29, 0, 1, s[4:5]
	v_lshlrev_b32_e32 v29, 1, v29
	v_add_lshl_u32 v29, v29, v15, 2
	ds_bpermute_b32 v32, v29, v31
	v_cndmask_b32_e32 v19, v37, v19, vcc
	v_add_u32_e32 v30, 2, v27
	v_cmp_gt_u32_e64 s[4:5], v30, v18
	v_cmp_gt_u32_e64 s[6:7], 60, v27
	s_waitcnt lgkmcnt(0)
	v_add_u16_e32 v32, v19, v32
	v_cndmask_b32_e64 v33, v32, v31, s[4:5]
	v_cndmask_b32_e64 v31, 0, 1, s[6:7]
	v_lshlrev_b32_e32 v31, 2, v31
	v_add_lshl_u32 v31, v31, v15, 2
	ds_bpermute_b32 v34, v31, v33
	v_cndmask_b32_e64 v19, v32, v19, s[4:5]
	v_add_u32_e32 v32, 4, v27
	v_cmp_gt_u32_e64 s[4:5], v32, v18
	v_cmp_gt_u32_e64 s[6:7], 56, v27
	s_waitcnt lgkmcnt(0)
	v_add_u16_e32 v34, v19, v34
	v_cndmask_b32_e64 v35, v34, v33, s[4:5]
	v_cndmask_b32_e64 v33, 0, 1, s[6:7]
	v_lshlrev_b32_e32 v33, 3, v33
	v_add_lshl_u32 v33, v33, v15, 2
	ds_bpermute_b32 v36, v33, v35
	v_cndmask_b32_e64 v19, v34, v19, s[4:5]
	;; [unrolled: 11-line block ×3, first 2 shown]
	v_add_u32_e32 v36, 16, v27
	v_cmp_gt_u32_e64 s[4:5], v36, v18
	v_cmp_gt_u32_e64 s[6:7], 32, v27
	s_waitcnt lgkmcnt(0)
	v_add_u16_e32 v40, v19, v39
	v_cndmask_b32_e64 v39, v40, v38, s[4:5]
	v_cndmask_b32_e64 v38, 0, 1, s[6:7]
	v_lshlrev_b32_e32 v38, 5, v38
	v_add_lshl_u32 v38, v38, v15, 2
	ds_bpermute_b32 v15, v38, v39
	v_add_u32_e32 v39, 32, v27
	v_cndmask_b32_e64 v19, v40, v19, s[4:5]
	v_cmp_le_u32_e64 s[4:5], v39, v18
	s_waitcnt lgkmcnt(0)
	v_cndmask_b32_e64 v15, 0, v15, s[4:5]
	v_add_u16_e32 v15, v19, v15
	v_cndmask_b32_e32 v18, v37, v15, vcc
	v_mov_b32_e32 v15, 0
	s_branch .LBB5998_68
.LBB5998_67:                            ;   in Loop: Header=BB5998_68 Depth=1
	s_or_b64 exec, exec, s[4:5]
	v_cmp_eq_u16_sdwa s[4:5], v26, v25 src0_sel:BYTE_0 src1_sel:DWORD
	v_and_b32_e32 v41, 0xffff, v40
	v_and_b32_e32 v18, s5, v17
	ds_bpermute_b32 v42, v28, v41
	v_or_b32_e32 v18, 0x80000000, v18
	v_and_b32_e32 v19, s4, v16
	v_ffbl_b32_e32 v18, v18
	v_add_u32_e32 v18, 32, v18
	v_ffbl_b32_e32 v19, v19
	v_min_u32_e32 v18, v19, v18
	s_waitcnt lgkmcnt(0)
	v_add_u16_e32 v19, v42, v40
	v_cmp_lt_u32_e32 vcc, v27, v18
	v_cndmask_b32_e32 v41, v41, v19, vcc
	ds_bpermute_b32 v42, v29, v41
	v_cndmask_b32_e32 v19, v40, v19, vcc
	v_cmp_gt_u32_e64 s[4:5], v30, v18
	v_subrev_u32_e32 v14, 64, v14
	s_waitcnt lgkmcnt(0)
	v_add_u16_e32 v42, v19, v42
	v_cndmask_b32_e64 v41, v42, v41, s[4:5]
	ds_bpermute_b32 v43, v31, v41
	v_cndmask_b32_e64 v19, v42, v19, s[4:5]
	v_cmp_gt_u32_e64 s[4:5], v32, v18
	s_waitcnt lgkmcnt(0)
	v_add_u16_e32 v42, v19, v43
	v_cndmask_b32_e64 v41, v42, v41, s[4:5]
	ds_bpermute_b32 v43, v33, v41
	v_cndmask_b32_e64 v19, v42, v19, s[4:5]
	v_cmp_gt_u32_e64 s[4:5], v34, v18
	;; [unrolled: 6-line block ×3, first 2 shown]
	s_waitcnt lgkmcnt(0)
	v_add_u16_e32 v42, v19, v43
	v_cndmask_b32_e64 v41, v42, v41, s[4:5]
	ds_bpermute_b32 v41, v38, v41
	v_cndmask_b32_e64 v19, v42, v19, s[4:5]
	v_cmp_le_u32_e64 s[4:5], v39, v18
	s_waitcnt lgkmcnt(0)
	v_cndmask_b32_e64 v18, 0, v41, s[4:5]
	v_add_u16_e32 v18, v19, v18
	v_cndmask_b32_e32 v18, v40, v18, vcc
	v_add_u16_e32 v18, v18, v37
.LBB5998_68:                            ; =>This Loop Header: Depth=1
                                        ;     Child Loop BB5998_71 Depth 2
	v_cmp_ne_u16_sdwa s[4:5], v26, v25 src0_sel:BYTE_0 src1_sel:DWORD
	v_cndmask_b32_e64 v19, 0, 1, s[4:5]
	;;#ASMSTART
	;;#ASMEND
	v_cmp_ne_u32_e32 vcc, 0, v19
	s_cmp_lg_u64 vcc, exec
	v_mov_b32_e32 v37, v18
	s_cbranch_scc1 .LBB5998_73
; %bb.69:                               ;   in Loop: Header=BB5998_68 Depth=1
	v_lshlrev_b64 v[18:19], 2, v[14:15]
	v_mov_b32_e32 v26, s21
	v_add_co_u32_e32 v18, vcc, s20, v18
	v_addc_co_u32_e32 v19, vcc, v26, v19, vcc
	global_load_dword v40, v[18:19], off glc
	s_waitcnt vmcnt(0)
	v_lshrrev_b32_e32 v26, 16, v40
	v_cmp_eq_u16_sdwa s[6:7], v26, v15 src0_sel:BYTE_0 src1_sel:DWORD
	s_and_saveexec_b64 s[4:5], s[6:7]
	s_cbranch_execz .LBB5998_67
; %bb.70:                               ;   in Loop: Header=BB5998_68 Depth=1
	s_mov_b64 s[6:7], 0
.LBB5998_71:                            ;   Parent Loop BB5998_68 Depth=1
                                        ; =>  This Inner Loop Header: Depth=2
	global_load_dword v40, v[18:19], off glc
	s_waitcnt vmcnt(0)
	v_lshrrev_b32_e32 v26, 16, v40
	v_cmp_ne_u16_sdwa s[28:29], v26, v15 src0_sel:BYTE_0 src1_sel:DWORD
	s_or_b64 s[6:7], s[28:29], s[6:7]
	s_andn2_b64 exec, exec, s[6:7]
	s_cbranch_execnz .LBB5998_71
; %bb.72:                               ;   in Loop: Header=BB5998_68 Depth=1
	s_or_b64 exec, exec, s[6:7]
	s_branch .LBB5998_67
.LBB5998_73:                            ;   in Loop: Header=BB5998_68 Depth=1
                                        ; implicit-def: $vgpr18
                                        ; implicit-def: $vgpr26
	s_cbranch_execz .LBB5998_68
; %bb.74:
	s_and_saveexec_b64 s[4:5], s[2:3]
	s_cbranch_execz .LBB5998_76
; %bb.75:
	s_add_i32 s2, s27, 64
	s_mov_b32 s3, 0
	s_lshl_b64 s[2:3], s[2:3], 2
	v_add_u16_e32 v14, v37, v24
	s_add_u32 s2, s20, s2
	v_or_b32_e32 v14, 0x20000, v14
	s_addc_u32 s3, s21, s3
	v_mov_b32_e32 v15, 0
	global_store_dword v15, v14, s[2:3]
.LBB5998_76:
	s_or_b64 exec, exec, s[4:5]
	s_and_b64 exec, exec, s[0:1]
	s_cbranch_execz .LBB5998_78
; %bb.77:
	v_mov_b32_e32 v14, 0
	ds_write_b16 v14, v37
.LBB5998_78:
	s_or_b64 exec, exec, s[18:19]
	v_mov_b32_e32 v14, 0
	s_waitcnt lgkmcnt(0)
	; wave barrier
	s_waitcnt lgkmcnt(0)
	ds_read_u16 v14, v14
	v_cndmask_b32_e64 v15, v23, 0, s[0:1]
	s_waitcnt lgkmcnt(0)
	v_add_u16_e32 v15, v14, v15
	s_branch .LBB5998_87
.LBB5998_79:
                                        ; implicit-def: $vgpr15
	s_cbranch_execz .LBB5998_87
; %bb.80:
	s_cmp_eq_u64 s[12:13], 0
	v_mov_b32_e32 v14, s24
	s_cbranch_scc1 .LBB5998_82
; %bb.81:
	v_mov_b32_e32 v15, s26
	v_add_co_u32_e64 v14, vcc, -2, s25
	v_addc_co_u32_e32 v15, vcc, -1, v15, vcc
	v_mov_b32_e32 v16, 0
	flat_load_ushort v17, v[14:15]
	global_load_ushort v18, v16, s[8:9]
	s_waitcnt vmcnt(0) lgkmcnt(0)
	v_add_u16_e32 v14, v18, v17
.LBB5998_82:
	v_add_u16_sdwa v15, v22, v11 dst_sel:DWORD dst_unused:UNUSED_PAD src0_sel:DWORD src1_sel:WORD_1
	v_add_u16_e32 v15, v15, v12
	v_add_u16_sdwa v15, v15, v12 dst_sel:DWORD dst_unused:UNUSED_PAD src0_sel:DWORD src1_sel:WORD_1
	v_add_u16_e32 v15, v15, v13
	v_add_u16_sdwa v15, v15, v13 dst_sel:DWORD dst_unused:UNUSED_PAD src0_sel:DWORD src1_sel:WORD_1
	v_add_u16_e32 v15, v15, v6
	v_add_u16_sdwa v15, v15, v6 dst_sel:DWORD dst_unused:UNUSED_PAD src0_sel:DWORD src1_sel:WORD_1
	v_add_u16_e32 v15, v15, v7
	v_add_u16_sdwa v15, v15, v7 dst_sel:DWORD dst_unused:UNUSED_PAD src0_sel:DWORD src1_sel:WORD_1
	v_add_u16_e32 v15, v15, v8
	v_add_u16_sdwa v15, v15, v8 dst_sel:DWORD dst_unused:UNUSED_PAD src0_sel:DWORD src1_sel:WORD_1
	v_add_u16_e32 v15, v15, v9
	v_add_u16_sdwa v15, v15, v9 dst_sel:DWORD dst_unused:UNUSED_PAD src0_sel:DWORD src1_sel:WORD_1
	v_add_u16_e32 v15, v15, v2
	v_add_u16_sdwa v15, v15, v2 dst_sel:DWORD dst_unused:UNUSED_PAD src0_sel:DWORD src1_sel:WORD_1
	v_add_u16_e32 v15, v15, v3
	v_add_u16_sdwa v15, v15, v3 dst_sel:DWORD dst_unused:UNUSED_PAD src0_sel:DWORD src1_sel:WORD_1
	v_add_u16_e32 v15, v15, v4
	v_add_u16_sdwa v15, v15, v4 dst_sel:DWORD dst_unused:UNUSED_PAD src0_sel:DWORD src1_sel:WORD_1
	v_add_u16_e32 v15, v15, v5
	v_add_u16_sdwa v16, v15, v5 dst_sel:DWORD dst_unused:UNUSED_PAD src0_sel:DWORD src1_sel:WORD_1
	v_mbcnt_hi_u32_b32 v15, -1, v21
	v_and_b32_e32 v17, 15, v15
	v_mov_b32_dpp v18, v16 row_shr:1 row_mask:0xf bank_mask:0xf
	v_cmp_ne_u32_e32 vcc, 0, v17
	v_cndmask_b32_e32 v18, 0, v18, vcc
	v_add_u16_e32 v16, v18, v16
	v_cmp_lt_u32_e32 vcc, 1, v17
	s_nop 0
	v_mov_b32_dpp v18, v16 row_shr:2 row_mask:0xf bank_mask:0xf
	v_cndmask_b32_e32 v18, 0, v18, vcc
	v_add_u16_e32 v16, v16, v18
	v_cmp_lt_u32_e32 vcc, 3, v17
	s_nop 0
	v_mov_b32_dpp v18, v16 row_shr:4 row_mask:0xf bank_mask:0xf
	;; [unrolled: 5-line block ×3, first 2 shown]
	v_cndmask_b32_e32 v17, 0, v18, vcc
	v_add_u16_e32 v16, v16, v17
	v_and_b32_e32 v18, 16, v15
	v_cmp_ne_u32_e32 vcc, 0, v18
	v_mov_b32_dpp v17, v16 row_bcast:15 row_mask:0xf bank_mask:0xf
	v_cndmask_b32_e32 v17, 0, v17, vcc
	v_add_u16_e32 v16, v16, v17
	v_cmp_lt_u32_e32 vcc, 31, v15
	s_nop 0
	v_mov_b32_dpp v17, v16 row_bcast:31 row_mask:0xf bank_mask:0xf
	v_cndmask_b32_e32 v17, 0, v17, vcc
	v_add_u16_e32 v16, v16, v17
	v_cmp_eq_u32_e32 vcc, 63, v0
	s_and_saveexec_b64 s[2:3], vcc
	s_cbranch_execz .LBB5998_84
; %bb.83:
	v_mov_b32_e32 v17, 0
	ds_write_b16 v17, v16
.LBB5998_84:
	s_or_b64 exec, exec, s[2:3]
	v_add_u32_e32 v17, -1, v15
	v_and_b32_e32 v18, 64, v15
	v_cmp_lt_i32_e32 vcc, v17, v18
	v_cndmask_b32_e32 v17, v17, v15, vcc
	v_add_u16_e32 v16, v16, v14
	v_lshlrev_b32_e32 v17, 2, v17
	ds_bpermute_b32 v16, v17, v16
	v_cmp_eq_u32_e32 vcc, 0, v15
	s_or_b64 vcc, s[0:1], vcc
	s_waitcnt lgkmcnt(0)
	; wave barrier
	s_waitcnt lgkmcnt(0)
	v_cndmask_b32_e32 v15, v16, v14, vcc
	s_and_saveexec_b64 s[2:3], s[0:1]
	s_cbranch_execz .LBB5998_86
; %bb.85:
	v_mov_b32_e32 v15, 0
	ds_read_u16 v16, v15
	s_waitcnt lgkmcnt(0)
	v_add_u16_e32 v16, v16, v14
	v_or_b32_e32 v16, 0x20000, v16
	global_store_dword v15, v16, s[20:21] offset:256
	v_mov_b32_e32 v15, v14
.LBB5998_86:
	s_or_b64 exec, exec, s[2:3]
.LBB5998_87:
	v_add_u16_e32 v14, v15, v10
	v_add_u16_sdwa v10, v14, v10 dst_sel:DWORD dst_unused:UNUSED_PAD src0_sel:DWORD src1_sel:WORD_1
	v_add_u16_e32 v16, v10, v11
	v_add_u16_sdwa v11, v16, v11 dst_sel:DWORD dst_unused:UNUSED_PAD src0_sel:DWORD src1_sel:WORD_1
	;; [unrolled: 2-line block ×11, first 2 shown]
	s_mov_b32 s0, 0x5040100
	v_add_u16_e32 v30, v29, v5
	v_perm_b32 v3, v16, v10, s0
	v_perm_b32 v4, v17, v11, s0
	;; [unrolled: 1-line block ×4, first 2 shown]
	s_waitcnt lgkmcnt(0)
	; wave barrier
	ds_write_b128 v1, v[2:5]
	v_perm_b32 v2, v19, v13, s0
	v_perm_b32 v3, v21, v6, s0
	;; [unrolled: 1-line block ×4, first 2 shown]
	ds_write_b128 v1, v[2:5] offset:16
	v_perm_b32 v2, v24, v9, s0
	v_perm_b32 v3, v26, v25, s0
	v_perm_b32 v4, v28, v27, s0
	v_perm_b32 v5, v30, v29, s0
	s_mov_b64 s[0:1], -1
	s_and_b64 vcc, exec, s[16:17]
	ds_write_b128 v1, v[2:5] offset:32
	s_waitcnt lgkmcnt(0)
	s_cbranch_vccz .LBB5998_89
; %bb.88:
	; wave barrier
	s_mov_b64 s[0:1], 0
.LBB5998_89:
	s_andn2_b64 vcc, exec, s[0:1]
	s_cbranch_vccnz .LBB5998_98
; %bb.90:
	v_cmp_lt_u64_e64 s[0:1], s[14:15], 2
	s_and_b64 vcc, exec, s[0:1]
	; wave barrier
	s_cbranch_vccnz .LBB5998_98
; %bb.91:
	s_add_u32 s0, s22, -1
	s_addc_u32 s1, s23, -1
	s_add_u32 s2, 0, 0xaaaa0000
	s_addc_u32 s3, 0, 42
	s_add_i32 s3, s3, 0xaaaaa80
	s_mul_hi_u32 s7, s2, 0xffffffe8
	s_sub_i32 s7, s7, s2
	s_mul_i32 s8, s3, 0xffffffe8
	s_mul_i32 s4, s2, 0xffffffe8
	s_add_i32 s7, s7, s8
	s_mul_hi_u32 s5, s3, s4
	s_mul_i32 s6, s3, s4
	s_mul_i32 s9, s2, s7
	s_mul_hi_u32 s4, s2, s4
	s_mul_hi_u32 s8, s2, s7
	s_add_u32 s4, s4, s9
	s_addc_u32 s8, 0, s8
	s_add_u32 s4, s4, s6
	s_mul_hi_u32 s9, s3, s7
	s_addc_u32 s4, s8, s5
	s_addc_u32 s5, s9, 0
	s_mul_i32 s6, s3, s7
	s_add_u32 s4, s4, s6
	v_mov_b32_e32 v2, s4
	s_addc_u32 s5, 0, s5
	v_add_co_u32_e32 v2, vcc, s2, v2
	s_cmp_lg_u64 vcc, 0
	s_addc_u32 s2, s3, s5
	v_readfirstlane_b32 s5, v2
	s_mul_i32 s4, s0, s2
	s_mul_hi_u32 s6, s0, s5
	s_mul_hi_u32 s3, s0, s2
	s_add_u32 s4, s6, s4
	s_addc_u32 s3, 0, s3
	s_mul_hi_u32 s7, s1, s5
	s_mul_i32 s5, s1, s5
	s_add_u32 s4, s4, s5
	s_mul_hi_u32 s6, s1, s2
	s_addc_u32 s3, s3, s7
	s_addc_u32 s4, s6, 0
	s_mul_i32 s2, s1, s2
	s_add_u32 s2, s3, s2
	s_addc_u32 s3, 0, s4
	s_add_u32 s4, s2, 1
	s_addc_u32 s5, s3, 0
	s_add_u32 s6, s2, 2
	s_mul_i32 s8, s3, 24
	s_mul_hi_u32 s9, s2, 24
	s_addc_u32 s7, s3, 0
	s_add_i32 s9, s9, s8
	s_mul_i32 s8, s2, 24
	v_mov_b32_e32 v2, s8
	v_sub_co_u32_e32 v2, vcc, s0, v2
	s_cmp_lg_u64 vcc, 0
	s_subb_u32 s8, s1, s9
	v_subrev_co_u32_e32 v3, vcc, 24, v2
	s_cmp_lg_u64 vcc, 0
	s_subb_u32 s9, s8, 0
	v_readfirstlane_b32 s12, v3
	s_cmp_gt_u32 s12, 23
	s_cselect_b32 s12, -1, 0
	s_cmp_eq_u32 s9, 0
	s_cselect_b32 s9, s12, -1
	s_cmp_lg_u32 s9, 0
	s_cselect_b32 s4, s6, s4
	v_readfirstlane_b32 s6, v2
	s_cselect_b32 s5, s7, s5
	s_cmp_gt_u32 s6, 23
	s_cselect_b32 s6, -1, 0
	s_cmp_eq_u32 s8, 0
	s_cselect_b32 s6, s6, -1
	s_cmp_lg_u32 s6, 0
	v_mov_b32_e32 v1, 0
	s_cselect_b32 s3, s5, s3
	s_cselect_b32 s2, s4, s2
	v_cmp_eq_u64_e32 vcc, s[2:3], v[0:1]
	s_and_saveexec_b64 s[2:3], vcc
	s_cbranch_execz .LBB5998_98
; %bb.92:
	v_lshlrev_b32_e32 v2, 1, v0
	v_mul_hi_u32_u24_e32 v1, 24, v0
	v_mov_b32_e32 v3, s1
	v_sub_co_u32_e32 v0, vcc, s0, v20
	v_subb_co_u32_e32 v1, vcc, v3, v1, vcc
	v_cmp_lt_i64_e32 vcc, 11, v[0:1]
	s_mov_b64 s[0:1], 0
	s_mov_b64 s[8:9], 0
	;; [unrolled: 1-line block ×4, first 2 shown]
                                        ; implicit-def: $vgpr3
                                        ; implicit-def: $vgpr4
                                        ; implicit-def: $vgpr5
	s_and_saveexec_b64 s[2:3], vcc
	s_xor_b64 s[2:3], exec, s[2:3]
	s_cbranch_execnz .LBB5998_99
; %bb.93:
	s_andn2_saveexec_b64 s[2:3], s[2:3]
	s_cbranch_execnz .LBB5998_144
.LBB5998_94:
	s_or_b64 exec, exec, s[2:3]
	s_and_saveexec_b64 s[2:3], s[8:9]
	s_cbranch_execnz .LBB5998_161
.LBB5998_95:
	s_or_b64 exec, exec, s[2:3]
	s_and_saveexec_b64 s[2:3], s[6:7]
	s_cbranch_execnz .LBB5998_162
.LBB5998_96:
	s_or_b64 exec, exec, s[2:3]
	s_and_saveexec_b64 s[2:3], s[4:5]
	s_xor_b64 s[2:3], exec, s[2:3]
	s_cbranch_execnz .LBB5998_163
.LBB5998_97:
	s_or_b64 exec, exec, s[2:3]
	s_and_b64 exec, exec, s[0:1]
	s_cbranch_execnz .LBB5998_164
.LBB5998_98:
	s_endpgm
.LBB5998_99:
	v_cmp_lt_i64_e32 vcc, 17, v[0:1]
                                        ; implicit-def: $vgpr3
                                        ; implicit-def: $vgpr4
                                        ; implicit-def: $vgpr5
	s_and_saveexec_b64 s[12:13], vcc
	s_xor_b64 s[12:13], exec, s[12:13]
	s_cbranch_execz .LBB5998_121
; %bb.100:
	v_cmp_lt_i64_e32 vcc, 20, v[0:1]
                                        ; implicit-def: $vgpr3
                                        ; implicit-def: $vgpr4
	s_and_saveexec_b64 s[14:15], vcc
	s_xor_b64 s[14:15], exec, s[14:15]
	s_cbranch_execz .LBB5998_110
; %bb.101:
	v_cmp_lt_i64_e32 vcc, 21, v[0:1]
	s_mov_b64 s[16:17], 0
                                        ; implicit-def: $vgpr3
	s_and_saveexec_b64 s[4:5], vcc
	s_xor_b64 s[4:5], exec, s[4:5]
	s_cbranch_execz .LBB5998_107
; %bb.102:
	v_cmp_lt_i64_e32 vcc, 22, v[0:1]
	s_and_saveexec_b64 s[16:17], vcc
	s_xor_b64 s[16:17], exec, s[16:17]
	s_cbranch_execz .LBB5998_104
; %bb.103:
	ds_read_u16 v3, v2 offset:2944
	v_mov_b32_e32 v4, 0
	s_waitcnt lgkmcnt(0)
	global_store_short v4, v3, s[10:11]
.LBB5998_104:
	s_or_saveexec_b64 s[16:17], s[16:17]
	s_mov_b64 s[18:19], 0
                                        ; implicit-def: $vgpr3
	s_xor_b64 exec, exec, s[16:17]
	s_cbranch_execz .LBB5998_106
; %bb.105:
	ds_read_u16 v3, v2 offset:2816
	s_mov_b64 s[18:19], exec
.LBB5998_106:
	s_or_b64 exec, exec, s[16:17]
	s_and_b64 s[16:17], s[18:19], exec
.LBB5998_107:
	s_or_saveexec_b64 s[4:5], s[4:5]
                                        ; implicit-def: $vgpr4
	s_xor_b64 exec, exec, s[4:5]
	s_cbranch_execz .LBB5998_109
; %bb.108:
	ds_read_u16 v4, v2 offset:2688
	s_mov_b64 s[6:7], exec
                                        ; implicit-def: $vgpr3
.LBB5998_109:
	s_or_b64 exec, exec, s[4:5]
	s_and_b64 s[4:5], s[16:17], exec
	s_and_b64 s[6:7], s[6:7], exec
.LBB5998_110:
	s_or_saveexec_b64 s[14:15], s[14:15]
                                        ; implicit-def: $vgpr5
	s_xor_b64 exec, exec, s[14:15]
	s_cbranch_execz .LBB5998_120
; %bb.111:
	v_cmp_lt_i64_e32 vcc, 18, v[0:1]
	s_mov_b64 s[16:17], 0
                                        ; implicit-def: $vgpr5
	s_and_saveexec_b64 s[8:9], vcc
	s_xor_b64 s[8:9], exec, s[8:9]
	s_cbranch_execz .LBB5998_117
; %bb.112:
	v_cmp_lt_i64_e32 vcc, 19, v[0:1]
                                        ; implicit-def: $vgpr5
	s_and_saveexec_b64 s[18:19], vcc
	s_xor_b64 s[18:19], exec, s[18:19]
	s_cbranch_execz .LBB5998_114
; %bb.113:
	ds_read_u16 v5, v2 offset:2560
	s_mov_b64 s[16:17], exec
.LBB5998_114:
	s_andn2_saveexec_b64 s[18:19], s[18:19]
	s_cbranch_execz .LBB5998_116
; %bb.115:
	s_waitcnt lgkmcnt(0)
	ds_read_u16 v3, v2 offset:2432
	v_mov_b32_e32 v4, 0
                                        ; implicit-def: $vgpr5
	s_waitcnt lgkmcnt(0)
	global_store_short v4, v3, s[10:11]
.LBB5998_116:
	s_or_b64 exec, exec, s[18:19]
	s_and_b64 s[16:17], s[16:17], exec
.LBB5998_117:
	s_andn2_saveexec_b64 s[8:9], s[8:9]
	s_cbranch_execz .LBB5998_119
; %bb.118:
	s_waitcnt lgkmcnt(0)
	ds_read_u16 v3, v2 offset:2304
	v_mov_b32_e32 v4, 0
                                        ; implicit-def: $vgpr5
	s_waitcnt lgkmcnt(0)
	global_store_short v4, v3, s[10:11]
.LBB5998_119:
	s_or_b64 exec, exec, s[8:9]
	s_and_b64 s[8:9], s[16:17], exec
                                        ; implicit-def: $vgpr3
                                        ; implicit-def: $vgpr4
.LBB5998_120:
	s_or_b64 exec, exec, s[14:15]
	s_and_b64 s[4:5], s[4:5], exec
	s_and_b64 s[6:7], s[6:7], exec
	;; [unrolled: 1-line block ×3, first 2 shown]
.LBB5998_121:
	s_andn2_saveexec_b64 s[12:13], s[12:13]
	s_cbranch_execz .LBB5998_143
; %bb.122:
	v_cmp_lt_i64_e32 vcc, 14, v[0:1]
	s_mov_b64 s[14:15], s[4:5]
                                        ; implicit-def: $vgpr3
	s_and_saveexec_b64 s[16:17], vcc
	s_xor_b64 s[16:17], exec, s[16:17]
	s_cbranch_execz .LBB5998_132
; %bb.123:
	v_cmp_lt_i64_e32 vcc, 15, v[0:1]
	s_and_saveexec_b64 s[14:15], vcc
	s_xor_b64 s[14:15], exec, s[14:15]
	s_cbranch_execz .LBB5998_129
; %bb.124:
	v_cmp_lt_i64_e32 vcc, 16, v[0:1]
	s_and_saveexec_b64 s[18:19], vcc
	s_xor_b64 s[18:19], exec, s[18:19]
	s_cbranch_execz .LBB5998_126
; %bb.125:
	s_waitcnt lgkmcnt(0)
	ds_read_u16 v3, v2 offset:2176
	v_mov_b32_e32 v4, 0
	s_waitcnt lgkmcnt(0)
	global_store_short v4, v3, s[10:11]
.LBB5998_126:
	s_andn2_saveexec_b64 s[18:19], s[18:19]
	s_cbranch_execz .LBB5998_128
; %bb.127:
	s_waitcnt lgkmcnt(0)
	ds_read_u16 v3, v2 offset:2048
	v_mov_b32_e32 v4, 0
	s_waitcnt lgkmcnt(0)
	global_store_short v4, v3, s[10:11]
.LBB5998_128:
	s_or_b64 exec, exec, s[18:19]
.LBB5998_129:
	s_or_saveexec_b64 s[14:15], s[14:15]
	s_mov_b64 s[18:19], s[4:5]
                                        ; implicit-def: $vgpr3
	s_xor_b64 exec, exec, s[14:15]
	s_cbranch_execz .LBB5998_131
; %bb.130:
	s_waitcnt lgkmcnt(0)
	ds_read_u16 v3, v2 offset:1920
	s_or_b64 s[18:19], s[4:5], exec
.LBB5998_131:
	s_or_b64 exec, exec, s[14:15]
	s_andn2_b64 s[14:15], s[4:5], exec
	s_and_b64 s[18:19], s[18:19], exec
	s_or_b64 s[14:15], s[14:15], s[18:19]
.LBB5998_132:
	s_or_saveexec_b64 s[16:17], s[16:17]
	s_mov_b64 s[18:19], s[6:7]
                                        ; implicit-def: $vgpr4
	s_xor_b64 exec, exec, s[16:17]
	s_cbranch_execz .LBB5998_142
; %bb.133:
	v_cmp_lt_i64_e32 vcc, 12, v[0:1]
	s_mov_b64 s[20:21], s[6:7]
	s_mov_b64 s[22:23], s[14:15]
                                        ; implicit-def: $vgpr3
                                        ; implicit-def: $vgpr4
	s_and_saveexec_b64 s[18:19], vcc
	s_xor_b64 s[18:19], exec, s[18:19]
	s_cbranch_execz .LBB5998_139
; %bb.134:
	v_cmp_lt_i64_e32 vcc, 13, v[0:1]
	s_mov_b64 s[20:21], s[14:15]
                                        ; implicit-def: $vgpr3
	s_and_saveexec_b64 s[22:23], vcc
	s_xor_b64 s[22:23], exec, s[22:23]
	s_cbranch_execz .LBB5998_136
; %bb.135:
	s_waitcnt lgkmcnt(0)
	ds_read_u16 v3, v2 offset:1792
	s_or_b64 s[20:21], s[14:15], exec
.LBB5998_136:
	s_or_saveexec_b64 s[22:23], s[22:23]
	s_mov_b64 s[24:25], s[6:7]
                                        ; implicit-def: $vgpr4
	s_xor_b64 exec, exec, s[22:23]
	s_cbranch_execz .LBB5998_138
; %bb.137:
	s_waitcnt lgkmcnt(0)
	ds_read_u16 v4, v2 offset:1664
	s_or_b64 s[24:25], s[6:7], exec
                                        ; implicit-def: $vgpr3
.LBB5998_138:
	s_or_b64 exec, exec, s[22:23]
	s_andn2_b64 s[22:23], s[14:15], exec
	s_and_b64 s[20:21], s[20:21], exec
	s_or_b64 s[22:23], s[22:23], s[20:21]
	s_andn2_b64 s[20:21], s[6:7], exec
	s_and_b64 s[24:25], s[24:25], exec
	s_or_b64 s[20:21], s[20:21], s[24:25]
.LBB5998_139:
	s_andn2_saveexec_b64 s[18:19], s[18:19]
	s_cbranch_execz .LBB5998_141
; %bb.140:
	s_waitcnt lgkmcnt(0)
	ds_read_u16 v4, v2 offset:1536
	s_or_b64 s[20:21], s[20:21], exec
                                        ; implicit-def: $vgpr3
.LBB5998_141:
	s_or_b64 exec, exec, s[18:19]
	s_andn2_b64 s[14:15], s[14:15], exec
	s_and_b64 s[18:19], s[22:23], exec
	s_or_b64 s[14:15], s[14:15], s[18:19]
	s_andn2_b64 s[18:19], s[6:7], exec
	s_and_b64 s[20:21], s[20:21], exec
	s_or_b64 s[18:19], s[18:19], s[20:21]
.LBB5998_142:
	s_or_b64 exec, exec, s[16:17]
	s_andn2_b64 s[4:5], s[4:5], exec
	s_and_b64 s[14:15], s[14:15], exec
	s_or_b64 s[4:5], s[4:5], s[14:15]
	s_andn2_b64 s[6:7], s[6:7], exec
	s_and_b64 s[14:15], s[18:19], exec
	s_or_b64 s[6:7], s[6:7], s[14:15]
                                        ; implicit-def: $vgpr5
.LBB5998_143:
	s_or_b64 exec, exec, s[12:13]
	s_and_b64 s[4:5], s[4:5], exec
	s_and_b64 s[6:7], s[6:7], exec
	;; [unrolled: 1-line block ×3, first 2 shown]
	s_andn2_saveexec_b64 s[2:3], s[2:3]
	s_cbranch_execz .LBB5998_94
.LBB5998_144:
	v_cmp_lt_i64_e32 vcc, 5, v[0:1]
	s_mov_b64 s[14:15], -1
	s_mov_b64 s[12:13], s[8:9]
	s_mov_b64 s[16:17], s[6:7]
	;; [unrolled: 1-line block ×3, first 2 shown]
                                        ; implicit-def: $vgpr3
                                        ; implicit-def: $vgpr4
                                        ; implicit-def: $vgpr5
	s_and_saveexec_b64 s[0:1], vcc
	s_cbranch_execz .LBB5998_160
; %bb.145:
	v_cmp_lt_i64_e32 vcc, 8, v[0:1]
	s_mov_b64 s[12:13], s[8:9]
                                        ; implicit-def: $vgpr5
	s_and_saveexec_b64 s[14:15], vcc
	s_xor_b64 s[14:15], exec, s[14:15]
	s_cbranch_execz .LBB5998_155
; %bb.146:
	v_cmp_lt_i64_e32 vcc, 9, v[0:1]
                                        ; implicit-def: $vgpr5
	s_and_saveexec_b64 s[12:13], vcc
	s_xor_b64 s[12:13], exec, s[12:13]
	s_cbranch_execz .LBB5998_152
; %bb.147:
	v_cmp_lt_i64_e32 vcc, 10, v[0:1]
                                        ; implicit-def: $vgpr5
	s_and_saveexec_b64 s[16:17], vcc
	s_xor_b64 s[16:17], exec, s[16:17]
	s_cbranch_execz .LBB5998_149
; %bb.148:
	s_waitcnt lgkmcnt(0)
	ds_read_u16 v5, v2 offset:1408
.LBB5998_149:
	s_andn2_saveexec_b64 s[16:17], s[16:17]
	s_cbranch_execz .LBB5998_151
; %bb.150:
	s_waitcnt lgkmcnt(0)
	ds_read_u16 v5, v2 offset:1280
.LBB5998_151:
	s_or_b64 exec, exec, s[16:17]
.LBB5998_152:
	s_andn2_saveexec_b64 s[12:13], s[12:13]
	s_cbranch_execz .LBB5998_154
; %bb.153:
	s_waitcnt lgkmcnt(0)
	ds_read_u16 v5, v2 offset:1152
.LBB5998_154:
	s_or_b64 exec, exec, s[12:13]
	s_or_b64 s[12:13], s[8:9], exec
.LBB5998_155:
	s_or_saveexec_b64 s[14:15], s[14:15]
	s_mov_b64 s[16:17], s[6:7]
	s_mov_b64 s[20:21], s[4:5]
                                        ; implicit-def: $vgpr3
                                        ; implicit-def: $vgpr4
	s_xor_b64 exec, exec, s[14:15]
	s_cbranch_execz .LBB5998_159
; %bb.156:
	s_waitcnt lgkmcnt(0)
	ds_read_u16 v3, v2 offset:768
	v_cmp_lt_i64_e32 vcc, 6, v[0:1]
	s_mov_b64 s[20:21], -1
	s_mov_b64 s[18:19], s[12:13]
	s_mov_b64 s[16:17], s[6:7]
                                        ; implicit-def: $vgpr4
                                        ; implicit-def: $vgpr5
	s_and_saveexec_b64 s[22:23], vcc
	s_cbranch_execz .LBB5998_158
; %bb.157:
	ds_read_u16 v4, v2 offset:896
	ds_read_u16 v5, v2 offset:1024
	v_cmp_lt_i64_e32 vcc, 7, v[0:1]
	s_andn2_b64 s[18:19], s[12:13], exec
	s_and_b64 s[24:25], vcc, exec
	s_xor_b64 s[20:21], exec, -1
	s_or_b64 s[16:17], s[6:7], exec
	s_or_b64 s[18:19], s[18:19], s[24:25]
                                        ; implicit-def: $vgpr3
.LBB5998_158:
	s_or_b64 exec, exec, s[22:23]
	s_andn2_b64 s[22:23], s[4:5], exec
	s_and_b64 s[20:21], s[20:21], exec
	s_or_b64 s[20:21], s[22:23], s[20:21]
	s_andn2_b64 s[22:23], s[6:7], exec
	s_and_b64 s[16:17], s[16:17], exec
	s_andn2_b64 s[12:13], s[12:13], exec
	s_and_b64 s[18:19], s[18:19], exec
	s_or_b64 s[16:17], s[22:23], s[16:17]
	s_or_b64 s[12:13], s[12:13], s[18:19]
.LBB5998_159:
	s_or_b64 exec, exec, s[14:15]
	s_andn2_b64 s[18:19], s[4:5], exec
	s_and_b64 s[20:21], s[20:21], exec
	s_or_b64 s[18:19], s[18:19], s[20:21]
	s_andn2_b64 s[20:21], s[6:7], exec
	s_and_b64 s[16:17], s[16:17], exec
	s_or_b64 s[16:17], s[20:21], s[16:17]
	s_andn2_b64 s[20:21], s[8:9], exec
	s_and_b64 s[12:13], s[12:13], exec
	s_xor_b64 s[14:15], exec, -1
	s_or_b64 s[12:13], s[20:21], s[12:13]
.LBB5998_160:
	s_or_b64 exec, exec, s[0:1]
	s_and_b64 s[0:1], s[14:15], exec
	s_andn2_b64 s[4:5], s[4:5], exec
	s_and_b64 s[14:15], s[18:19], exec
	s_or_b64 s[4:5], s[4:5], s[14:15]
	s_andn2_b64 s[6:7], s[6:7], exec
	s_and_b64 s[14:15], s[16:17], exec
	s_andn2_b64 s[8:9], s[8:9], exec
	s_and_b64 s[12:13], s[12:13], exec
	s_or_b64 s[6:7], s[6:7], s[14:15]
	s_or_b64 s[8:9], s[8:9], s[12:13]
	s_or_b64 exec, exec, s[2:3]
	s_and_saveexec_b64 s[2:3], s[8:9]
	s_cbranch_execz .LBB5998_95
.LBB5998_161:
	s_waitcnt lgkmcnt(0)
	v_mov_b32_e32 v3, 0
	s_andn2_b64 s[6:7], s[6:7], exec
	global_store_short v3, v5, s[10:11]
                                        ; implicit-def: $vgpr3
                                        ; implicit-def: $vgpr4
	s_or_b64 exec, exec, s[2:3]
	s_and_saveexec_b64 s[2:3], s[6:7]
	s_cbranch_execz .LBB5998_96
.LBB5998_162:
	s_waitcnt lgkmcnt(0)
	v_mov_b32_e32 v3, 0
	global_store_short v3, v4, s[10:11]
                                        ; implicit-def: $vgpr3
	s_or_b64 exec, exec, s[2:3]
	s_and_saveexec_b64 s[2:3], s[4:5]
	s_xor_b64 s[2:3], exec, s[2:3]
	s_cbranch_execz .LBB5998_97
.LBB5998_163:
	s_waitcnt lgkmcnt(0)
	v_mov_b32_e32 v4, 0
	global_store_short v4, v3, s[10:11]
	s_or_b64 exec, exec, s[2:3]
	s_and_b64 exec, exec, s[0:1]
	s_cbranch_execz .LBB5998_98
.LBB5998_164:
	v_cmp_lt_i64_e32 vcc, 2, v[0:1]
	s_and_saveexec_b64 s[0:1], vcc
	s_xor_b64 s[0:1], exec, s[0:1]
	s_cbranch_execz .LBB5998_174
; %bb.165:
	v_cmp_lt_i64_e32 vcc, 3, v[0:1]
	s_and_saveexec_b64 s[2:3], vcc
	s_xor_b64 s[2:3], exec, s[2:3]
	s_cbranch_execz .LBB5998_171
; %bb.166:
	;; [unrolled: 5-line block ×3, first 2 shown]
	ds_read_u16 v0, v2 offset:640
	v_mov_b32_e32 v1, 0
                                        ; implicit-def: $vgpr2
	s_waitcnt lgkmcnt(0)
	global_store_short v1, v0, s[10:11]
.LBB5998_168:
	s_andn2_saveexec_b64 s[4:5], s[4:5]
	s_cbranch_execz .LBB5998_170
; %bb.169:
	ds_read_u16 v0, v2 offset:512
	v_mov_b32_e32 v1, 0
	s_waitcnt lgkmcnt(0)
	global_store_short v1, v0, s[10:11]
.LBB5998_170:
	s_or_b64 exec, exec, s[4:5]
                                        ; implicit-def: $vgpr2
.LBB5998_171:
	s_andn2_saveexec_b64 s[2:3], s[2:3]
	s_cbranch_execz .LBB5998_173
; %bb.172:
	ds_read_u16 v0, v2 offset:384
	v_mov_b32_e32 v1, 0
	s_waitcnt lgkmcnt(0)
	global_store_short v1, v0, s[10:11]
.LBB5998_173:
	s_or_b64 exec, exec, s[2:3]
                                        ; implicit-def: $vgpr0_vgpr1
                                        ; implicit-def: $vgpr2
.LBB5998_174:
	s_andn2_saveexec_b64 s[0:1], s[0:1]
	s_cbranch_execz .LBB5998_98
; %bb.175:
	v_cmp_lt_i64_e32 vcc, 1, v[0:1]
	s_and_saveexec_b64 s[0:1], vcc
	s_xor_b64 s[0:1], exec, s[0:1]
	s_cbranch_execz .LBB5998_177
; %bb.176:
	ds_read_u16 v0, v2 offset:256
	v_mov_b32_e32 v1, 0
                                        ; implicit-def: $vgpr2
	s_waitcnt lgkmcnt(0)
	global_store_short v1, v0, s[10:11]
                                        ; implicit-def: $vgpr0_vgpr1
.LBB5998_177:
	s_andn2_saveexec_b64 s[0:1], s[0:1]
	s_cbranch_execz .LBB5998_98
; %bb.178:
	v_cmp_ne_u64_e32 vcc, 1, v[0:1]
	s_and_saveexec_b64 s[0:1], vcc
	s_xor_b64 s[0:1], exec, s[0:1]
	s_cbranch_execz .LBB5998_180
; %bb.179:
	ds_read_u16 v0, v2
	v_mov_b32_e32 v1, 0
                                        ; implicit-def: $vgpr2
	s_waitcnt lgkmcnt(0)
	global_store_short v1, v0, s[10:11]
.LBB5998_180:
	s_andn2_saveexec_b64 s[0:1], s[0:1]
	s_cbranch_execz .LBB5998_98
; %bb.181:
	ds_read_u16 v0, v2 offset:128
	v_mov_b32_e32 v1, 0
	s_waitcnt lgkmcnt(0)
	global_store_short v1, v0, s[10:11]
	s_endpgm
	.section	.rodata,"a",@progbits
	.p2align	6, 0x0
	.amdhsa_kernel _ZN7rocprim17ROCPRIM_400000_NS6detail17trampoline_kernelINS0_14default_configENS1_20scan_config_selectorIsEEZZNS1_9scan_implILNS1_25lookback_scan_determinismE0ELb1ELb1ES3_N6thrust23THRUST_200600_302600_NS6detail15normal_iteratorINS9_10device_ptrIsEEEENS9_16discard_iteratorINS9_11use_defaultEEEsNS9_4plusIvEEsEEDaPvRmT3_T4_T5_mT6_P12ihipStream_tbENKUlT_T0_E_clISt17integral_constantIbLb0EESW_IbLb1EEEEDaSS_ST_EUlSS_E_NS1_11comp_targetILNS1_3genE4ELNS1_11target_archE910ELNS1_3gpuE8ELNS1_3repE0EEENS1_30default_config_static_selectorELNS0_4arch9wavefront6targetE1EEEvT1_
		.amdhsa_group_segment_fixed_size 3072
		.amdhsa_private_segment_fixed_size 0
		.amdhsa_kernarg_size 104
		.amdhsa_user_sgpr_count 6
		.amdhsa_user_sgpr_private_segment_buffer 1
		.amdhsa_user_sgpr_dispatch_ptr 0
		.amdhsa_user_sgpr_queue_ptr 0
		.amdhsa_user_sgpr_kernarg_segment_ptr 1
		.amdhsa_user_sgpr_dispatch_id 0
		.amdhsa_user_sgpr_flat_scratch_init 0
		.amdhsa_user_sgpr_kernarg_preload_length 0
		.amdhsa_user_sgpr_kernarg_preload_offset 0
		.amdhsa_user_sgpr_private_segment_size 0
		.amdhsa_uses_dynamic_stack 0
		.amdhsa_system_sgpr_private_segment_wavefront_offset 0
		.amdhsa_system_sgpr_workgroup_id_x 1
		.amdhsa_system_sgpr_workgroup_id_y 0
		.amdhsa_system_sgpr_workgroup_id_z 0
		.amdhsa_system_sgpr_workgroup_info 0
		.amdhsa_system_vgpr_workitem_id 0
		.amdhsa_next_free_vgpr 44
		.amdhsa_next_free_sgpr 30
		.amdhsa_accum_offset 44
		.amdhsa_reserve_vcc 1
		.amdhsa_reserve_flat_scratch 0
		.amdhsa_float_round_mode_32 0
		.amdhsa_float_round_mode_16_64 0
		.amdhsa_float_denorm_mode_32 3
		.amdhsa_float_denorm_mode_16_64 3
		.amdhsa_dx10_clamp 1
		.amdhsa_ieee_mode 1
		.amdhsa_fp16_overflow 0
		.amdhsa_tg_split 0
		.amdhsa_exception_fp_ieee_invalid_op 0
		.amdhsa_exception_fp_denorm_src 0
		.amdhsa_exception_fp_ieee_div_zero 0
		.amdhsa_exception_fp_ieee_overflow 0
		.amdhsa_exception_fp_ieee_underflow 0
		.amdhsa_exception_fp_ieee_inexact 0
		.amdhsa_exception_int_div_zero 0
	.end_amdhsa_kernel
	.section	.text._ZN7rocprim17ROCPRIM_400000_NS6detail17trampoline_kernelINS0_14default_configENS1_20scan_config_selectorIsEEZZNS1_9scan_implILNS1_25lookback_scan_determinismE0ELb1ELb1ES3_N6thrust23THRUST_200600_302600_NS6detail15normal_iteratorINS9_10device_ptrIsEEEENS9_16discard_iteratorINS9_11use_defaultEEEsNS9_4plusIvEEsEEDaPvRmT3_T4_T5_mT6_P12ihipStream_tbENKUlT_T0_E_clISt17integral_constantIbLb0EESW_IbLb1EEEEDaSS_ST_EUlSS_E_NS1_11comp_targetILNS1_3genE4ELNS1_11target_archE910ELNS1_3gpuE8ELNS1_3repE0EEENS1_30default_config_static_selectorELNS0_4arch9wavefront6targetE1EEEvT1_,"axG",@progbits,_ZN7rocprim17ROCPRIM_400000_NS6detail17trampoline_kernelINS0_14default_configENS1_20scan_config_selectorIsEEZZNS1_9scan_implILNS1_25lookback_scan_determinismE0ELb1ELb1ES3_N6thrust23THRUST_200600_302600_NS6detail15normal_iteratorINS9_10device_ptrIsEEEENS9_16discard_iteratorINS9_11use_defaultEEEsNS9_4plusIvEEsEEDaPvRmT3_T4_T5_mT6_P12ihipStream_tbENKUlT_T0_E_clISt17integral_constantIbLb0EESW_IbLb1EEEEDaSS_ST_EUlSS_E_NS1_11comp_targetILNS1_3genE4ELNS1_11target_archE910ELNS1_3gpuE8ELNS1_3repE0EEENS1_30default_config_static_selectorELNS0_4arch9wavefront6targetE1EEEvT1_,comdat
.Lfunc_end5998:
	.size	_ZN7rocprim17ROCPRIM_400000_NS6detail17trampoline_kernelINS0_14default_configENS1_20scan_config_selectorIsEEZZNS1_9scan_implILNS1_25lookback_scan_determinismE0ELb1ELb1ES3_N6thrust23THRUST_200600_302600_NS6detail15normal_iteratorINS9_10device_ptrIsEEEENS9_16discard_iteratorINS9_11use_defaultEEEsNS9_4plusIvEEsEEDaPvRmT3_T4_T5_mT6_P12ihipStream_tbENKUlT_T0_E_clISt17integral_constantIbLb0EESW_IbLb1EEEEDaSS_ST_EUlSS_E_NS1_11comp_targetILNS1_3genE4ELNS1_11target_archE910ELNS1_3gpuE8ELNS1_3repE0EEENS1_30default_config_static_selectorELNS0_4arch9wavefront6targetE1EEEvT1_, .Lfunc_end5998-_ZN7rocprim17ROCPRIM_400000_NS6detail17trampoline_kernelINS0_14default_configENS1_20scan_config_selectorIsEEZZNS1_9scan_implILNS1_25lookback_scan_determinismE0ELb1ELb1ES3_N6thrust23THRUST_200600_302600_NS6detail15normal_iteratorINS9_10device_ptrIsEEEENS9_16discard_iteratorINS9_11use_defaultEEEsNS9_4plusIvEEsEEDaPvRmT3_T4_T5_mT6_P12ihipStream_tbENKUlT_T0_E_clISt17integral_constantIbLb0EESW_IbLb1EEEEDaSS_ST_EUlSS_E_NS1_11comp_targetILNS1_3genE4ELNS1_11target_archE910ELNS1_3gpuE8ELNS1_3repE0EEENS1_30default_config_static_selectorELNS0_4arch9wavefront6targetE1EEEvT1_
                                        ; -- End function
	.section	.AMDGPU.csdata,"",@progbits
; Kernel info:
; codeLenInByte = 6444
; NumSgprs: 34
; NumVgprs: 44
; NumAgprs: 0
; TotalNumVgprs: 44
; ScratchSize: 0
; MemoryBound: 0
; FloatMode: 240
; IeeeMode: 1
; LDSByteSize: 3072 bytes/workgroup (compile time only)
; SGPRBlocks: 4
; VGPRBlocks: 5
; NumSGPRsForWavesPerEU: 34
; NumVGPRsForWavesPerEU: 44
; AccumOffset: 44
; Occupancy: 6
; WaveLimiterHint : 1
; COMPUTE_PGM_RSRC2:SCRATCH_EN: 0
; COMPUTE_PGM_RSRC2:USER_SGPR: 6
; COMPUTE_PGM_RSRC2:TRAP_HANDLER: 0
; COMPUTE_PGM_RSRC2:TGID_X_EN: 1
; COMPUTE_PGM_RSRC2:TGID_Y_EN: 0
; COMPUTE_PGM_RSRC2:TGID_Z_EN: 0
; COMPUTE_PGM_RSRC2:TIDIG_COMP_CNT: 0
; COMPUTE_PGM_RSRC3_GFX90A:ACCUM_OFFSET: 10
; COMPUTE_PGM_RSRC3_GFX90A:TG_SPLIT: 0
	.section	.text._ZN7rocprim17ROCPRIM_400000_NS6detail17trampoline_kernelINS0_14default_configENS1_20scan_config_selectorIsEEZZNS1_9scan_implILNS1_25lookback_scan_determinismE0ELb1ELb1ES3_N6thrust23THRUST_200600_302600_NS6detail15normal_iteratorINS9_10device_ptrIsEEEENS9_16discard_iteratorINS9_11use_defaultEEEsNS9_4plusIvEEsEEDaPvRmT3_T4_T5_mT6_P12ihipStream_tbENKUlT_T0_E_clISt17integral_constantIbLb0EESW_IbLb1EEEEDaSS_ST_EUlSS_E_NS1_11comp_targetILNS1_3genE3ELNS1_11target_archE908ELNS1_3gpuE7ELNS1_3repE0EEENS1_30default_config_static_selectorELNS0_4arch9wavefront6targetE1EEEvT1_,"axG",@progbits,_ZN7rocprim17ROCPRIM_400000_NS6detail17trampoline_kernelINS0_14default_configENS1_20scan_config_selectorIsEEZZNS1_9scan_implILNS1_25lookback_scan_determinismE0ELb1ELb1ES3_N6thrust23THRUST_200600_302600_NS6detail15normal_iteratorINS9_10device_ptrIsEEEENS9_16discard_iteratorINS9_11use_defaultEEEsNS9_4plusIvEEsEEDaPvRmT3_T4_T5_mT6_P12ihipStream_tbENKUlT_T0_E_clISt17integral_constantIbLb0EESW_IbLb1EEEEDaSS_ST_EUlSS_E_NS1_11comp_targetILNS1_3genE3ELNS1_11target_archE908ELNS1_3gpuE7ELNS1_3repE0EEENS1_30default_config_static_selectorELNS0_4arch9wavefront6targetE1EEEvT1_,comdat
	.protected	_ZN7rocprim17ROCPRIM_400000_NS6detail17trampoline_kernelINS0_14default_configENS1_20scan_config_selectorIsEEZZNS1_9scan_implILNS1_25lookback_scan_determinismE0ELb1ELb1ES3_N6thrust23THRUST_200600_302600_NS6detail15normal_iteratorINS9_10device_ptrIsEEEENS9_16discard_iteratorINS9_11use_defaultEEEsNS9_4plusIvEEsEEDaPvRmT3_T4_T5_mT6_P12ihipStream_tbENKUlT_T0_E_clISt17integral_constantIbLb0EESW_IbLb1EEEEDaSS_ST_EUlSS_E_NS1_11comp_targetILNS1_3genE3ELNS1_11target_archE908ELNS1_3gpuE7ELNS1_3repE0EEENS1_30default_config_static_selectorELNS0_4arch9wavefront6targetE1EEEvT1_ ; -- Begin function _ZN7rocprim17ROCPRIM_400000_NS6detail17trampoline_kernelINS0_14default_configENS1_20scan_config_selectorIsEEZZNS1_9scan_implILNS1_25lookback_scan_determinismE0ELb1ELb1ES3_N6thrust23THRUST_200600_302600_NS6detail15normal_iteratorINS9_10device_ptrIsEEEENS9_16discard_iteratorINS9_11use_defaultEEEsNS9_4plusIvEEsEEDaPvRmT3_T4_T5_mT6_P12ihipStream_tbENKUlT_T0_E_clISt17integral_constantIbLb0EESW_IbLb1EEEEDaSS_ST_EUlSS_E_NS1_11comp_targetILNS1_3genE3ELNS1_11target_archE908ELNS1_3gpuE7ELNS1_3repE0EEENS1_30default_config_static_selectorELNS0_4arch9wavefront6targetE1EEEvT1_
	.globl	_ZN7rocprim17ROCPRIM_400000_NS6detail17trampoline_kernelINS0_14default_configENS1_20scan_config_selectorIsEEZZNS1_9scan_implILNS1_25lookback_scan_determinismE0ELb1ELb1ES3_N6thrust23THRUST_200600_302600_NS6detail15normal_iteratorINS9_10device_ptrIsEEEENS9_16discard_iteratorINS9_11use_defaultEEEsNS9_4plusIvEEsEEDaPvRmT3_T4_T5_mT6_P12ihipStream_tbENKUlT_T0_E_clISt17integral_constantIbLb0EESW_IbLb1EEEEDaSS_ST_EUlSS_E_NS1_11comp_targetILNS1_3genE3ELNS1_11target_archE908ELNS1_3gpuE7ELNS1_3repE0EEENS1_30default_config_static_selectorELNS0_4arch9wavefront6targetE1EEEvT1_
	.p2align	8
	.type	_ZN7rocprim17ROCPRIM_400000_NS6detail17trampoline_kernelINS0_14default_configENS1_20scan_config_selectorIsEEZZNS1_9scan_implILNS1_25lookback_scan_determinismE0ELb1ELb1ES3_N6thrust23THRUST_200600_302600_NS6detail15normal_iteratorINS9_10device_ptrIsEEEENS9_16discard_iteratorINS9_11use_defaultEEEsNS9_4plusIvEEsEEDaPvRmT3_T4_T5_mT6_P12ihipStream_tbENKUlT_T0_E_clISt17integral_constantIbLb0EESW_IbLb1EEEEDaSS_ST_EUlSS_E_NS1_11comp_targetILNS1_3genE3ELNS1_11target_archE908ELNS1_3gpuE7ELNS1_3repE0EEENS1_30default_config_static_selectorELNS0_4arch9wavefront6targetE1EEEvT1_,@function
_ZN7rocprim17ROCPRIM_400000_NS6detail17trampoline_kernelINS0_14default_configENS1_20scan_config_selectorIsEEZZNS1_9scan_implILNS1_25lookback_scan_determinismE0ELb1ELb1ES3_N6thrust23THRUST_200600_302600_NS6detail15normal_iteratorINS9_10device_ptrIsEEEENS9_16discard_iteratorINS9_11use_defaultEEEsNS9_4plusIvEEsEEDaPvRmT3_T4_T5_mT6_P12ihipStream_tbENKUlT_T0_E_clISt17integral_constantIbLb0EESW_IbLb1EEEEDaSS_ST_EUlSS_E_NS1_11comp_targetILNS1_3genE3ELNS1_11target_archE908ELNS1_3gpuE7ELNS1_3repE0EEENS1_30default_config_static_selectorELNS0_4arch9wavefront6targetE1EEEvT1_: ; @_ZN7rocprim17ROCPRIM_400000_NS6detail17trampoline_kernelINS0_14default_configENS1_20scan_config_selectorIsEEZZNS1_9scan_implILNS1_25lookback_scan_determinismE0ELb1ELb1ES3_N6thrust23THRUST_200600_302600_NS6detail15normal_iteratorINS9_10device_ptrIsEEEENS9_16discard_iteratorINS9_11use_defaultEEEsNS9_4plusIvEEsEEDaPvRmT3_T4_T5_mT6_P12ihipStream_tbENKUlT_T0_E_clISt17integral_constantIbLb0EESW_IbLb1EEEEDaSS_ST_EUlSS_E_NS1_11comp_targetILNS1_3genE3ELNS1_11target_archE908ELNS1_3gpuE7ELNS1_3repE0EEENS1_30default_config_static_selectorELNS0_4arch9wavefront6targetE1EEEvT1_
; %bb.0:
	.section	.rodata,"a",@progbits
	.p2align	6, 0x0
	.amdhsa_kernel _ZN7rocprim17ROCPRIM_400000_NS6detail17trampoline_kernelINS0_14default_configENS1_20scan_config_selectorIsEEZZNS1_9scan_implILNS1_25lookback_scan_determinismE0ELb1ELb1ES3_N6thrust23THRUST_200600_302600_NS6detail15normal_iteratorINS9_10device_ptrIsEEEENS9_16discard_iteratorINS9_11use_defaultEEEsNS9_4plusIvEEsEEDaPvRmT3_T4_T5_mT6_P12ihipStream_tbENKUlT_T0_E_clISt17integral_constantIbLb0EESW_IbLb1EEEEDaSS_ST_EUlSS_E_NS1_11comp_targetILNS1_3genE3ELNS1_11target_archE908ELNS1_3gpuE7ELNS1_3repE0EEENS1_30default_config_static_selectorELNS0_4arch9wavefront6targetE1EEEvT1_
		.amdhsa_group_segment_fixed_size 0
		.amdhsa_private_segment_fixed_size 0
		.amdhsa_kernarg_size 104
		.amdhsa_user_sgpr_count 6
		.amdhsa_user_sgpr_private_segment_buffer 1
		.amdhsa_user_sgpr_dispatch_ptr 0
		.amdhsa_user_sgpr_queue_ptr 0
		.amdhsa_user_sgpr_kernarg_segment_ptr 1
		.amdhsa_user_sgpr_dispatch_id 0
		.amdhsa_user_sgpr_flat_scratch_init 0
		.amdhsa_user_sgpr_kernarg_preload_length 0
		.amdhsa_user_sgpr_kernarg_preload_offset 0
		.amdhsa_user_sgpr_private_segment_size 0
		.amdhsa_uses_dynamic_stack 0
		.amdhsa_system_sgpr_private_segment_wavefront_offset 0
		.amdhsa_system_sgpr_workgroup_id_x 1
		.amdhsa_system_sgpr_workgroup_id_y 0
		.amdhsa_system_sgpr_workgroup_id_z 0
		.amdhsa_system_sgpr_workgroup_info 0
		.amdhsa_system_vgpr_workitem_id 0
		.amdhsa_next_free_vgpr 1
		.amdhsa_next_free_sgpr 0
		.amdhsa_accum_offset 4
		.amdhsa_reserve_vcc 0
		.amdhsa_reserve_flat_scratch 0
		.amdhsa_float_round_mode_32 0
		.amdhsa_float_round_mode_16_64 0
		.amdhsa_float_denorm_mode_32 3
		.amdhsa_float_denorm_mode_16_64 3
		.amdhsa_dx10_clamp 1
		.amdhsa_ieee_mode 1
		.amdhsa_fp16_overflow 0
		.amdhsa_tg_split 0
		.amdhsa_exception_fp_ieee_invalid_op 0
		.amdhsa_exception_fp_denorm_src 0
		.amdhsa_exception_fp_ieee_div_zero 0
		.amdhsa_exception_fp_ieee_overflow 0
		.amdhsa_exception_fp_ieee_underflow 0
		.amdhsa_exception_fp_ieee_inexact 0
		.amdhsa_exception_int_div_zero 0
	.end_amdhsa_kernel
	.section	.text._ZN7rocprim17ROCPRIM_400000_NS6detail17trampoline_kernelINS0_14default_configENS1_20scan_config_selectorIsEEZZNS1_9scan_implILNS1_25lookback_scan_determinismE0ELb1ELb1ES3_N6thrust23THRUST_200600_302600_NS6detail15normal_iteratorINS9_10device_ptrIsEEEENS9_16discard_iteratorINS9_11use_defaultEEEsNS9_4plusIvEEsEEDaPvRmT3_T4_T5_mT6_P12ihipStream_tbENKUlT_T0_E_clISt17integral_constantIbLb0EESW_IbLb1EEEEDaSS_ST_EUlSS_E_NS1_11comp_targetILNS1_3genE3ELNS1_11target_archE908ELNS1_3gpuE7ELNS1_3repE0EEENS1_30default_config_static_selectorELNS0_4arch9wavefront6targetE1EEEvT1_,"axG",@progbits,_ZN7rocprim17ROCPRIM_400000_NS6detail17trampoline_kernelINS0_14default_configENS1_20scan_config_selectorIsEEZZNS1_9scan_implILNS1_25lookback_scan_determinismE0ELb1ELb1ES3_N6thrust23THRUST_200600_302600_NS6detail15normal_iteratorINS9_10device_ptrIsEEEENS9_16discard_iteratorINS9_11use_defaultEEEsNS9_4plusIvEEsEEDaPvRmT3_T4_T5_mT6_P12ihipStream_tbENKUlT_T0_E_clISt17integral_constantIbLb0EESW_IbLb1EEEEDaSS_ST_EUlSS_E_NS1_11comp_targetILNS1_3genE3ELNS1_11target_archE908ELNS1_3gpuE7ELNS1_3repE0EEENS1_30default_config_static_selectorELNS0_4arch9wavefront6targetE1EEEvT1_,comdat
.Lfunc_end5999:
	.size	_ZN7rocprim17ROCPRIM_400000_NS6detail17trampoline_kernelINS0_14default_configENS1_20scan_config_selectorIsEEZZNS1_9scan_implILNS1_25lookback_scan_determinismE0ELb1ELb1ES3_N6thrust23THRUST_200600_302600_NS6detail15normal_iteratorINS9_10device_ptrIsEEEENS9_16discard_iteratorINS9_11use_defaultEEEsNS9_4plusIvEEsEEDaPvRmT3_T4_T5_mT6_P12ihipStream_tbENKUlT_T0_E_clISt17integral_constantIbLb0EESW_IbLb1EEEEDaSS_ST_EUlSS_E_NS1_11comp_targetILNS1_3genE3ELNS1_11target_archE908ELNS1_3gpuE7ELNS1_3repE0EEENS1_30default_config_static_selectorELNS0_4arch9wavefront6targetE1EEEvT1_, .Lfunc_end5999-_ZN7rocprim17ROCPRIM_400000_NS6detail17trampoline_kernelINS0_14default_configENS1_20scan_config_selectorIsEEZZNS1_9scan_implILNS1_25lookback_scan_determinismE0ELb1ELb1ES3_N6thrust23THRUST_200600_302600_NS6detail15normal_iteratorINS9_10device_ptrIsEEEENS9_16discard_iteratorINS9_11use_defaultEEEsNS9_4plusIvEEsEEDaPvRmT3_T4_T5_mT6_P12ihipStream_tbENKUlT_T0_E_clISt17integral_constantIbLb0EESW_IbLb1EEEEDaSS_ST_EUlSS_E_NS1_11comp_targetILNS1_3genE3ELNS1_11target_archE908ELNS1_3gpuE7ELNS1_3repE0EEENS1_30default_config_static_selectorELNS0_4arch9wavefront6targetE1EEEvT1_
                                        ; -- End function
	.section	.AMDGPU.csdata,"",@progbits
; Kernel info:
; codeLenInByte = 0
; NumSgprs: 4
; NumVgprs: 0
; NumAgprs: 0
; TotalNumVgprs: 0
; ScratchSize: 0
; MemoryBound: 0
; FloatMode: 240
; IeeeMode: 1
; LDSByteSize: 0 bytes/workgroup (compile time only)
; SGPRBlocks: 0
; VGPRBlocks: 0
; NumSGPRsForWavesPerEU: 4
; NumVGPRsForWavesPerEU: 1
; AccumOffset: 4
; Occupancy: 8
; WaveLimiterHint : 0
; COMPUTE_PGM_RSRC2:SCRATCH_EN: 0
; COMPUTE_PGM_RSRC2:USER_SGPR: 6
; COMPUTE_PGM_RSRC2:TRAP_HANDLER: 0
; COMPUTE_PGM_RSRC2:TGID_X_EN: 1
; COMPUTE_PGM_RSRC2:TGID_Y_EN: 0
; COMPUTE_PGM_RSRC2:TGID_Z_EN: 0
; COMPUTE_PGM_RSRC2:TIDIG_COMP_CNT: 0
; COMPUTE_PGM_RSRC3_GFX90A:ACCUM_OFFSET: 0
; COMPUTE_PGM_RSRC3_GFX90A:TG_SPLIT: 0
	.section	.text._ZN7rocprim17ROCPRIM_400000_NS6detail17trampoline_kernelINS0_14default_configENS1_20scan_config_selectorIsEEZZNS1_9scan_implILNS1_25lookback_scan_determinismE0ELb1ELb1ES3_N6thrust23THRUST_200600_302600_NS6detail15normal_iteratorINS9_10device_ptrIsEEEENS9_16discard_iteratorINS9_11use_defaultEEEsNS9_4plusIvEEsEEDaPvRmT3_T4_T5_mT6_P12ihipStream_tbENKUlT_T0_E_clISt17integral_constantIbLb0EESW_IbLb1EEEEDaSS_ST_EUlSS_E_NS1_11comp_targetILNS1_3genE2ELNS1_11target_archE906ELNS1_3gpuE6ELNS1_3repE0EEENS1_30default_config_static_selectorELNS0_4arch9wavefront6targetE1EEEvT1_,"axG",@progbits,_ZN7rocprim17ROCPRIM_400000_NS6detail17trampoline_kernelINS0_14default_configENS1_20scan_config_selectorIsEEZZNS1_9scan_implILNS1_25lookback_scan_determinismE0ELb1ELb1ES3_N6thrust23THRUST_200600_302600_NS6detail15normal_iteratorINS9_10device_ptrIsEEEENS9_16discard_iteratorINS9_11use_defaultEEEsNS9_4plusIvEEsEEDaPvRmT3_T4_T5_mT6_P12ihipStream_tbENKUlT_T0_E_clISt17integral_constantIbLb0EESW_IbLb1EEEEDaSS_ST_EUlSS_E_NS1_11comp_targetILNS1_3genE2ELNS1_11target_archE906ELNS1_3gpuE6ELNS1_3repE0EEENS1_30default_config_static_selectorELNS0_4arch9wavefront6targetE1EEEvT1_,comdat
	.protected	_ZN7rocprim17ROCPRIM_400000_NS6detail17trampoline_kernelINS0_14default_configENS1_20scan_config_selectorIsEEZZNS1_9scan_implILNS1_25lookback_scan_determinismE0ELb1ELb1ES3_N6thrust23THRUST_200600_302600_NS6detail15normal_iteratorINS9_10device_ptrIsEEEENS9_16discard_iteratorINS9_11use_defaultEEEsNS9_4plusIvEEsEEDaPvRmT3_T4_T5_mT6_P12ihipStream_tbENKUlT_T0_E_clISt17integral_constantIbLb0EESW_IbLb1EEEEDaSS_ST_EUlSS_E_NS1_11comp_targetILNS1_3genE2ELNS1_11target_archE906ELNS1_3gpuE6ELNS1_3repE0EEENS1_30default_config_static_selectorELNS0_4arch9wavefront6targetE1EEEvT1_ ; -- Begin function _ZN7rocprim17ROCPRIM_400000_NS6detail17trampoline_kernelINS0_14default_configENS1_20scan_config_selectorIsEEZZNS1_9scan_implILNS1_25lookback_scan_determinismE0ELb1ELb1ES3_N6thrust23THRUST_200600_302600_NS6detail15normal_iteratorINS9_10device_ptrIsEEEENS9_16discard_iteratorINS9_11use_defaultEEEsNS9_4plusIvEEsEEDaPvRmT3_T4_T5_mT6_P12ihipStream_tbENKUlT_T0_E_clISt17integral_constantIbLb0EESW_IbLb1EEEEDaSS_ST_EUlSS_E_NS1_11comp_targetILNS1_3genE2ELNS1_11target_archE906ELNS1_3gpuE6ELNS1_3repE0EEENS1_30default_config_static_selectorELNS0_4arch9wavefront6targetE1EEEvT1_
	.globl	_ZN7rocprim17ROCPRIM_400000_NS6detail17trampoline_kernelINS0_14default_configENS1_20scan_config_selectorIsEEZZNS1_9scan_implILNS1_25lookback_scan_determinismE0ELb1ELb1ES3_N6thrust23THRUST_200600_302600_NS6detail15normal_iteratorINS9_10device_ptrIsEEEENS9_16discard_iteratorINS9_11use_defaultEEEsNS9_4plusIvEEsEEDaPvRmT3_T4_T5_mT6_P12ihipStream_tbENKUlT_T0_E_clISt17integral_constantIbLb0EESW_IbLb1EEEEDaSS_ST_EUlSS_E_NS1_11comp_targetILNS1_3genE2ELNS1_11target_archE906ELNS1_3gpuE6ELNS1_3repE0EEENS1_30default_config_static_selectorELNS0_4arch9wavefront6targetE1EEEvT1_
	.p2align	8
	.type	_ZN7rocprim17ROCPRIM_400000_NS6detail17trampoline_kernelINS0_14default_configENS1_20scan_config_selectorIsEEZZNS1_9scan_implILNS1_25lookback_scan_determinismE0ELb1ELb1ES3_N6thrust23THRUST_200600_302600_NS6detail15normal_iteratorINS9_10device_ptrIsEEEENS9_16discard_iteratorINS9_11use_defaultEEEsNS9_4plusIvEEsEEDaPvRmT3_T4_T5_mT6_P12ihipStream_tbENKUlT_T0_E_clISt17integral_constantIbLb0EESW_IbLb1EEEEDaSS_ST_EUlSS_E_NS1_11comp_targetILNS1_3genE2ELNS1_11target_archE906ELNS1_3gpuE6ELNS1_3repE0EEENS1_30default_config_static_selectorELNS0_4arch9wavefront6targetE1EEEvT1_,@function
_ZN7rocprim17ROCPRIM_400000_NS6detail17trampoline_kernelINS0_14default_configENS1_20scan_config_selectorIsEEZZNS1_9scan_implILNS1_25lookback_scan_determinismE0ELb1ELb1ES3_N6thrust23THRUST_200600_302600_NS6detail15normal_iteratorINS9_10device_ptrIsEEEENS9_16discard_iteratorINS9_11use_defaultEEEsNS9_4plusIvEEsEEDaPvRmT3_T4_T5_mT6_P12ihipStream_tbENKUlT_T0_E_clISt17integral_constantIbLb0EESW_IbLb1EEEEDaSS_ST_EUlSS_E_NS1_11comp_targetILNS1_3genE2ELNS1_11target_archE906ELNS1_3gpuE6ELNS1_3repE0EEENS1_30default_config_static_selectorELNS0_4arch9wavefront6targetE1EEEvT1_: ; @_ZN7rocprim17ROCPRIM_400000_NS6detail17trampoline_kernelINS0_14default_configENS1_20scan_config_selectorIsEEZZNS1_9scan_implILNS1_25lookback_scan_determinismE0ELb1ELb1ES3_N6thrust23THRUST_200600_302600_NS6detail15normal_iteratorINS9_10device_ptrIsEEEENS9_16discard_iteratorINS9_11use_defaultEEEsNS9_4plusIvEEsEEDaPvRmT3_T4_T5_mT6_P12ihipStream_tbENKUlT_T0_E_clISt17integral_constantIbLb0EESW_IbLb1EEEEDaSS_ST_EUlSS_E_NS1_11comp_targetILNS1_3genE2ELNS1_11target_archE906ELNS1_3gpuE6ELNS1_3repE0EEENS1_30default_config_static_selectorELNS0_4arch9wavefront6targetE1EEEvT1_
; %bb.0:
	.section	.rodata,"a",@progbits
	.p2align	6, 0x0
	.amdhsa_kernel _ZN7rocprim17ROCPRIM_400000_NS6detail17trampoline_kernelINS0_14default_configENS1_20scan_config_selectorIsEEZZNS1_9scan_implILNS1_25lookback_scan_determinismE0ELb1ELb1ES3_N6thrust23THRUST_200600_302600_NS6detail15normal_iteratorINS9_10device_ptrIsEEEENS9_16discard_iteratorINS9_11use_defaultEEEsNS9_4plusIvEEsEEDaPvRmT3_T4_T5_mT6_P12ihipStream_tbENKUlT_T0_E_clISt17integral_constantIbLb0EESW_IbLb1EEEEDaSS_ST_EUlSS_E_NS1_11comp_targetILNS1_3genE2ELNS1_11target_archE906ELNS1_3gpuE6ELNS1_3repE0EEENS1_30default_config_static_selectorELNS0_4arch9wavefront6targetE1EEEvT1_
		.amdhsa_group_segment_fixed_size 0
		.amdhsa_private_segment_fixed_size 0
		.amdhsa_kernarg_size 104
		.amdhsa_user_sgpr_count 6
		.amdhsa_user_sgpr_private_segment_buffer 1
		.amdhsa_user_sgpr_dispatch_ptr 0
		.amdhsa_user_sgpr_queue_ptr 0
		.amdhsa_user_sgpr_kernarg_segment_ptr 1
		.amdhsa_user_sgpr_dispatch_id 0
		.amdhsa_user_sgpr_flat_scratch_init 0
		.amdhsa_user_sgpr_kernarg_preload_length 0
		.amdhsa_user_sgpr_kernarg_preload_offset 0
		.amdhsa_user_sgpr_private_segment_size 0
		.amdhsa_uses_dynamic_stack 0
		.amdhsa_system_sgpr_private_segment_wavefront_offset 0
		.amdhsa_system_sgpr_workgroup_id_x 1
		.amdhsa_system_sgpr_workgroup_id_y 0
		.amdhsa_system_sgpr_workgroup_id_z 0
		.amdhsa_system_sgpr_workgroup_info 0
		.amdhsa_system_vgpr_workitem_id 0
		.amdhsa_next_free_vgpr 1
		.amdhsa_next_free_sgpr 0
		.amdhsa_accum_offset 4
		.amdhsa_reserve_vcc 0
		.amdhsa_reserve_flat_scratch 0
		.amdhsa_float_round_mode_32 0
		.amdhsa_float_round_mode_16_64 0
		.amdhsa_float_denorm_mode_32 3
		.amdhsa_float_denorm_mode_16_64 3
		.amdhsa_dx10_clamp 1
		.amdhsa_ieee_mode 1
		.amdhsa_fp16_overflow 0
		.amdhsa_tg_split 0
		.amdhsa_exception_fp_ieee_invalid_op 0
		.amdhsa_exception_fp_denorm_src 0
		.amdhsa_exception_fp_ieee_div_zero 0
		.amdhsa_exception_fp_ieee_overflow 0
		.amdhsa_exception_fp_ieee_underflow 0
		.amdhsa_exception_fp_ieee_inexact 0
		.amdhsa_exception_int_div_zero 0
	.end_amdhsa_kernel
	.section	.text._ZN7rocprim17ROCPRIM_400000_NS6detail17trampoline_kernelINS0_14default_configENS1_20scan_config_selectorIsEEZZNS1_9scan_implILNS1_25lookback_scan_determinismE0ELb1ELb1ES3_N6thrust23THRUST_200600_302600_NS6detail15normal_iteratorINS9_10device_ptrIsEEEENS9_16discard_iteratorINS9_11use_defaultEEEsNS9_4plusIvEEsEEDaPvRmT3_T4_T5_mT6_P12ihipStream_tbENKUlT_T0_E_clISt17integral_constantIbLb0EESW_IbLb1EEEEDaSS_ST_EUlSS_E_NS1_11comp_targetILNS1_3genE2ELNS1_11target_archE906ELNS1_3gpuE6ELNS1_3repE0EEENS1_30default_config_static_selectorELNS0_4arch9wavefront6targetE1EEEvT1_,"axG",@progbits,_ZN7rocprim17ROCPRIM_400000_NS6detail17trampoline_kernelINS0_14default_configENS1_20scan_config_selectorIsEEZZNS1_9scan_implILNS1_25lookback_scan_determinismE0ELb1ELb1ES3_N6thrust23THRUST_200600_302600_NS6detail15normal_iteratorINS9_10device_ptrIsEEEENS9_16discard_iteratorINS9_11use_defaultEEEsNS9_4plusIvEEsEEDaPvRmT3_T4_T5_mT6_P12ihipStream_tbENKUlT_T0_E_clISt17integral_constantIbLb0EESW_IbLb1EEEEDaSS_ST_EUlSS_E_NS1_11comp_targetILNS1_3genE2ELNS1_11target_archE906ELNS1_3gpuE6ELNS1_3repE0EEENS1_30default_config_static_selectorELNS0_4arch9wavefront6targetE1EEEvT1_,comdat
.Lfunc_end6000:
	.size	_ZN7rocprim17ROCPRIM_400000_NS6detail17trampoline_kernelINS0_14default_configENS1_20scan_config_selectorIsEEZZNS1_9scan_implILNS1_25lookback_scan_determinismE0ELb1ELb1ES3_N6thrust23THRUST_200600_302600_NS6detail15normal_iteratorINS9_10device_ptrIsEEEENS9_16discard_iteratorINS9_11use_defaultEEEsNS9_4plusIvEEsEEDaPvRmT3_T4_T5_mT6_P12ihipStream_tbENKUlT_T0_E_clISt17integral_constantIbLb0EESW_IbLb1EEEEDaSS_ST_EUlSS_E_NS1_11comp_targetILNS1_3genE2ELNS1_11target_archE906ELNS1_3gpuE6ELNS1_3repE0EEENS1_30default_config_static_selectorELNS0_4arch9wavefront6targetE1EEEvT1_, .Lfunc_end6000-_ZN7rocprim17ROCPRIM_400000_NS6detail17trampoline_kernelINS0_14default_configENS1_20scan_config_selectorIsEEZZNS1_9scan_implILNS1_25lookback_scan_determinismE0ELb1ELb1ES3_N6thrust23THRUST_200600_302600_NS6detail15normal_iteratorINS9_10device_ptrIsEEEENS9_16discard_iteratorINS9_11use_defaultEEEsNS9_4plusIvEEsEEDaPvRmT3_T4_T5_mT6_P12ihipStream_tbENKUlT_T0_E_clISt17integral_constantIbLb0EESW_IbLb1EEEEDaSS_ST_EUlSS_E_NS1_11comp_targetILNS1_3genE2ELNS1_11target_archE906ELNS1_3gpuE6ELNS1_3repE0EEENS1_30default_config_static_selectorELNS0_4arch9wavefront6targetE1EEEvT1_
                                        ; -- End function
	.section	.AMDGPU.csdata,"",@progbits
; Kernel info:
; codeLenInByte = 0
; NumSgprs: 4
; NumVgprs: 0
; NumAgprs: 0
; TotalNumVgprs: 0
; ScratchSize: 0
; MemoryBound: 0
; FloatMode: 240
; IeeeMode: 1
; LDSByteSize: 0 bytes/workgroup (compile time only)
; SGPRBlocks: 0
; VGPRBlocks: 0
; NumSGPRsForWavesPerEU: 4
; NumVGPRsForWavesPerEU: 1
; AccumOffset: 4
; Occupancy: 8
; WaveLimiterHint : 0
; COMPUTE_PGM_RSRC2:SCRATCH_EN: 0
; COMPUTE_PGM_RSRC2:USER_SGPR: 6
; COMPUTE_PGM_RSRC2:TRAP_HANDLER: 0
; COMPUTE_PGM_RSRC2:TGID_X_EN: 1
; COMPUTE_PGM_RSRC2:TGID_Y_EN: 0
; COMPUTE_PGM_RSRC2:TGID_Z_EN: 0
; COMPUTE_PGM_RSRC2:TIDIG_COMP_CNT: 0
; COMPUTE_PGM_RSRC3_GFX90A:ACCUM_OFFSET: 0
; COMPUTE_PGM_RSRC3_GFX90A:TG_SPLIT: 0
	.section	.text._ZN7rocprim17ROCPRIM_400000_NS6detail17trampoline_kernelINS0_14default_configENS1_20scan_config_selectorIsEEZZNS1_9scan_implILNS1_25lookback_scan_determinismE0ELb1ELb1ES3_N6thrust23THRUST_200600_302600_NS6detail15normal_iteratorINS9_10device_ptrIsEEEENS9_16discard_iteratorINS9_11use_defaultEEEsNS9_4plusIvEEsEEDaPvRmT3_T4_T5_mT6_P12ihipStream_tbENKUlT_T0_E_clISt17integral_constantIbLb0EESW_IbLb1EEEEDaSS_ST_EUlSS_E_NS1_11comp_targetILNS1_3genE10ELNS1_11target_archE1201ELNS1_3gpuE5ELNS1_3repE0EEENS1_30default_config_static_selectorELNS0_4arch9wavefront6targetE1EEEvT1_,"axG",@progbits,_ZN7rocprim17ROCPRIM_400000_NS6detail17trampoline_kernelINS0_14default_configENS1_20scan_config_selectorIsEEZZNS1_9scan_implILNS1_25lookback_scan_determinismE0ELb1ELb1ES3_N6thrust23THRUST_200600_302600_NS6detail15normal_iteratorINS9_10device_ptrIsEEEENS9_16discard_iteratorINS9_11use_defaultEEEsNS9_4plusIvEEsEEDaPvRmT3_T4_T5_mT6_P12ihipStream_tbENKUlT_T0_E_clISt17integral_constantIbLb0EESW_IbLb1EEEEDaSS_ST_EUlSS_E_NS1_11comp_targetILNS1_3genE10ELNS1_11target_archE1201ELNS1_3gpuE5ELNS1_3repE0EEENS1_30default_config_static_selectorELNS0_4arch9wavefront6targetE1EEEvT1_,comdat
	.protected	_ZN7rocprim17ROCPRIM_400000_NS6detail17trampoline_kernelINS0_14default_configENS1_20scan_config_selectorIsEEZZNS1_9scan_implILNS1_25lookback_scan_determinismE0ELb1ELb1ES3_N6thrust23THRUST_200600_302600_NS6detail15normal_iteratorINS9_10device_ptrIsEEEENS9_16discard_iteratorINS9_11use_defaultEEEsNS9_4plusIvEEsEEDaPvRmT3_T4_T5_mT6_P12ihipStream_tbENKUlT_T0_E_clISt17integral_constantIbLb0EESW_IbLb1EEEEDaSS_ST_EUlSS_E_NS1_11comp_targetILNS1_3genE10ELNS1_11target_archE1201ELNS1_3gpuE5ELNS1_3repE0EEENS1_30default_config_static_selectorELNS0_4arch9wavefront6targetE1EEEvT1_ ; -- Begin function _ZN7rocprim17ROCPRIM_400000_NS6detail17trampoline_kernelINS0_14default_configENS1_20scan_config_selectorIsEEZZNS1_9scan_implILNS1_25lookback_scan_determinismE0ELb1ELb1ES3_N6thrust23THRUST_200600_302600_NS6detail15normal_iteratorINS9_10device_ptrIsEEEENS9_16discard_iteratorINS9_11use_defaultEEEsNS9_4plusIvEEsEEDaPvRmT3_T4_T5_mT6_P12ihipStream_tbENKUlT_T0_E_clISt17integral_constantIbLb0EESW_IbLb1EEEEDaSS_ST_EUlSS_E_NS1_11comp_targetILNS1_3genE10ELNS1_11target_archE1201ELNS1_3gpuE5ELNS1_3repE0EEENS1_30default_config_static_selectorELNS0_4arch9wavefront6targetE1EEEvT1_
	.globl	_ZN7rocprim17ROCPRIM_400000_NS6detail17trampoline_kernelINS0_14default_configENS1_20scan_config_selectorIsEEZZNS1_9scan_implILNS1_25lookback_scan_determinismE0ELb1ELb1ES3_N6thrust23THRUST_200600_302600_NS6detail15normal_iteratorINS9_10device_ptrIsEEEENS9_16discard_iteratorINS9_11use_defaultEEEsNS9_4plusIvEEsEEDaPvRmT3_T4_T5_mT6_P12ihipStream_tbENKUlT_T0_E_clISt17integral_constantIbLb0EESW_IbLb1EEEEDaSS_ST_EUlSS_E_NS1_11comp_targetILNS1_3genE10ELNS1_11target_archE1201ELNS1_3gpuE5ELNS1_3repE0EEENS1_30default_config_static_selectorELNS0_4arch9wavefront6targetE1EEEvT1_
	.p2align	8
	.type	_ZN7rocprim17ROCPRIM_400000_NS6detail17trampoline_kernelINS0_14default_configENS1_20scan_config_selectorIsEEZZNS1_9scan_implILNS1_25lookback_scan_determinismE0ELb1ELb1ES3_N6thrust23THRUST_200600_302600_NS6detail15normal_iteratorINS9_10device_ptrIsEEEENS9_16discard_iteratorINS9_11use_defaultEEEsNS9_4plusIvEEsEEDaPvRmT3_T4_T5_mT6_P12ihipStream_tbENKUlT_T0_E_clISt17integral_constantIbLb0EESW_IbLb1EEEEDaSS_ST_EUlSS_E_NS1_11comp_targetILNS1_3genE10ELNS1_11target_archE1201ELNS1_3gpuE5ELNS1_3repE0EEENS1_30default_config_static_selectorELNS0_4arch9wavefront6targetE1EEEvT1_,@function
_ZN7rocprim17ROCPRIM_400000_NS6detail17trampoline_kernelINS0_14default_configENS1_20scan_config_selectorIsEEZZNS1_9scan_implILNS1_25lookback_scan_determinismE0ELb1ELb1ES3_N6thrust23THRUST_200600_302600_NS6detail15normal_iteratorINS9_10device_ptrIsEEEENS9_16discard_iteratorINS9_11use_defaultEEEsNS9_4plusIvEEsEEDaPvRmT3_T4_T5_mT6_P12ihipStream_tbENKUlT_T0_E_clISt17integral_constantIbLb0EESW_IbLb1EEEEDaSS_ST_EUlSS_E_NS1_11comp_targetILNS1_3genE10ELNS1_11target_archE1201ELNS1_3gpuE5ELNS1_3repE0EEENS1_30default_config_static_selectorELNS0_4arch9wavefront6targetE1EEEvT1_: ; @_ZN7rocprim17ROCPRIM_400000_NS6detail17trampoline_kernelINS0_14default_configENS1_20scan_config_selectorIsEEZZNS1_9scan_implILNS1_25lookback_scan_determinismE0ELb1ELb1ES3_N6thrust23THRUST_200600_302600_NS6detail15normal_iteratorINS9_10device_ptrIsEEEENS9_16discard_iteratorINS9_11use_defaultEEEsNS9_4plusIvEEsEEDaPvRmT3_T4_T5_mT6_P12ihipStream_tbENKUlT_T0_E_clISt17integral_constantIbLb0EESW_IbLb1EEEEDaSS_ST_EUlSS_E_NS1_11comp_targetILNS1_3genE10ELNS1_11target_archE1201ELNS1_3gpuE5ELNS1_3repE0EEENS1_30default_config_static_selectorELNS0_4arch9wavefront6targetE1EEEvT1_
; %bb.0:
	.section	.rodata,"a",@progbits
	.p2align	6, 0x0
	.amdhsa_kernel _ZN7rocprim17ROCPRIM_400000_NS6detail17trampoline_kernelINS0_14default_configENS1_20scan_config_selectorIsEEZZNS1_9scan_implILNS1_25lookback_scan_determinismE0ELb1ELb1ES3_N6thrust23THRUST_200600_302600_NS6detail15normal_iteratorINS9_10device_ptrIsEEEENS9_16discard_iteratorINS9_11use_defaultEEEsNS9_4plusIvEEsEEDaPvRmT3_T4_T5_mT6_P12ihipStream_tbENKUlT_T0_E_clISt17integral_constantIbLb0EESW_IbLb1EEEEDaSS_ST_EUlSS_E_NS1_11comp_targetILNS1_3genE10ELNS1_11target_archE1201ELNS1_3gpuE5ELNS1_3repE0EEENS1_30default_config_static_selectorELNS0_4arch9wavefront6targetE1EEEvT1_
		.amdhsa_group_segment_fixed_size 0
		.amdhsa_private_segment_fixed_size 0
		.amdhsa_kernarg_size 104
		.amdhsa_user_sgpr_count 6
		.amdhsa_user_sgpr_private_segment_buffer 1
		.amdhsa_user_sgpr_dispatch_ptr 0
		.amdhsa_user_sgpr_queue_ptr 0
		.amdhsa_user_sgpr_kernarg_segment_ptr 1
		.amdhsa_user_sgpr_dispatch_id 0
		.amdhsa_user_sgpr_flat_scratch_init 0
		.amdhsa_user_sgpr_kernarg_preload_length 0
		.amdhsa_user_sgpr_kernarg_preload_offset 0
		.amdhsa_user_sgpr_private_segment_size 0
		.amdhsa_uses_dynamic_stack 0
		.amdhsa_system_sgpr_private_segment_wavefront_offset 0
		.amdhsa_system_sgpr_workgroup_id_x 1
		.amdhsa_system_sgpr_workgroup_id_y 0
		.amdhsa_system_sgpr_workgroup_id_z 0
		.amdhsa_system_sgpr_workgroup_info 0
		.amdhsa_system_vgpr_workitem_id 0
		.amdhsa_next_free_vgpr 1
		.amdhsa_next_free_sgpr 0
		.amdhsa_accum_offset 4
		.amdhsa_reserve_vcc 0
		.amdhsa_reserve_flat_scratch 0
		.amdhsa_float_round_mode_32 0
		.amdhsa_float_round_mode_16_64 0
		.amdhsa_float_denorm_mode_32 3
		.amdhsa_float_denorm_mode_16_64 3
		.amdhsa_dx10_clamp 1
		.amdhsa_ieee_mode 1
		.amdhsa_fp16_overflow 0
		.amdhsa_tg_split 0
		.amdhsa_exception_fp_ieee_invalid_op 0
		.amdhsa_exception_fp_denorm_src 0
		.amdhsa_exception_fp_ieee_div_zero 0
		.amdhsa_exception_fp_ieee_overflow 0
		.amdhsa_exception_fp_ieee_underflow 0
		.amdhsa_exception_fp_ieee_inexact 0
		.amdhsa_exception_int_div_zero 0
	.end_amdhsa_kernel
	.section	.text._ZN7rocprim17ROCPRIM_400000_NS6detail17trampoline_kernelINS0_14default_configENS1_20scan_config_selectorIsEEZZNS1_9scan_implILNS1_25lookback_scan_determinismE0ELb1ELb1ES3_N6thrust23THRUST_200600_302600_NS6detail15normal_iteratorINS9_10device_ptrIsEEEENS9_16discard_iteratorINS9_11use_defaultEEEsNS9_4plusIvEEsEEDaPvRmT3_T4_T5_mT6_P12ihipStream_tbENKUlT_T0_E_clISt17integral_constantIbLb0EESW_IbLb1EEEEDaSS_ST_EUlSS_E_NS1_11comp_targetILNS1_3genE10ELNS1_11target_archE1201ELNS1_3gpuE5ELNS1_3repE0EEENS1_30default_config_static_selectorELNS0_4arch9wavefront6targetE1EEEvT1_,"axG",@progbits,_ZN7rocprim17ROCPRIM_400000_NS6detail17trampoline_kernelINS0_14default_configENS1_20scan_config_selectorIsEEZZNS1_9scan_implILNS1_25lookback_scan_determinismE0ELb1ELb1ES3_N6thrust23THRUST_200600_302600_NS6detail15normal_iteratorINS9_10device_ptrIsEEEENS9_16discard_iteratorINS9_11use_defaultEEEsNS9_4plusIvEEsEEDaPvRmT3_T4_T5_mT6_P12ihipStream_tbENKUlT_T0_E_clISt17integral_constantIbLb0EESW_IbLb1EEEEDaSS_ST_EUlSS_E_NS1_11comp_targetILNS1_3genE10ELNS1_11target_archE1201ELNS1_3gpuE5ELNS1_3repE0EEENS1_30default_config_static_selectorELNS0_4arch9wavefront6targetE1EEEvT1_,comdat
.Lfunc_end6001:
	.size	_ZN7rocprim17ROCPRIM_400000_NS6detail17trampoline_kernelINS0_14default_configENS1_20scan_config_selectorIsEEZZNS1_9scan_implILNS1_25lookback_scan_determinismE0ELb1ELb1ES3_N6thrust23THRUST_200600_302600_NS6detail15normal_iteratorINS9_10device_ptrIsEEEENS9_16discard_iteratorINS9_11use_defaultEEEsNS9_4plusIvEEsEEDaPvRmT3_T4_T5_mT6_P12ihipStream_tbENKUlT_T0_E_clISt17integral_constantIbLb0EESW_IbLb1EEEEDaSS_ST_EUlSS_E_NS1_11comp_targetILNS1_3genE10ELNS1_11target_archE1201ELNS1_3gpuE5ELNS1_3repE0EEENS1_30default_config_static_selectorELNS0_4arch9wavefront6targetE1EEEvT1_, .Lfunc_end6001-_ZN7rocprim17ROCPRIM_400000_NS6detail17trampoline_kernelINS0_14default_configENS1_20scan_config_selectorIsEEZZNS1_9scan_implILNS1_25lookback_scan_determinismE0ELb1ELb1ES3_N6thrust23THRUST_200600_302600_NS6detail15normal_iteratorINS9_10device_ptrIsEEEENS9_16discard_iteratorINS9_11use_defaultEEEsNS9_4plusIvEEsEEDaPvRmT3_T4_T5_mT6_P12ihipStream_tbENKUlT_T0_E_clISt17integral_constantIbLb0EESW_IbLb1EEEEDaSS_ST_EUlSS_E_NS1_11comp_targetILNS1_3genE10ELNS1_11target_archE1201ELNS1_3gpuE5ELNS1_3repE0EEENS1_30default_config_static_selectorELNS0_4arch9wavefront6targetE1EEEvT1_
                                        ; -- End function
	.section	.AMDGPU.csdata,"",@progbits
; Kernel info:
; codeLenInByte = 0
; NumSgprs: 4
; NumVgprs: 0
; NumAgprs: 0
; TotalNumVgprs: 0
; ScratchSize: 0
; MemoryBound: 0
; FloatMode: 240
; IeeeMode: 1
; LDSByteSize: 0 bytes/workgroup (compile time only)
; SGPRBlocks: 0
; VGPRBlocks: 0
; NumSGPRsForWavesPerEU: 4
; NumVGPRsForWavesPerEU: 1
; AccumOffset: 4
; Occupancy: 8
; WaveLimiterHint : 0
; COMPUTE_PGM_RSRC2:SCRATCH_EN: 0
; COMPUTE_PGM_RSRC2:USER_SGPR: 6
; COMPUTE_PGM_RSRC2:TRAP_HANDLER: 0
; COMPUTE_PGM_RSRC2:TGID_X_EN: 1
; COMPUTE_PGM_RSRC2:TGID_Y_EN: 0
; COMPUTE_PGM_RSRC2:TGID_Z_EN: 0
; COMPUTE_PGM_RSRC2:TIDIG_COMP_CNT: 0
; COMPUTE_PGM_RSRC3_GFX90A:ACCUM_OFFSET: 0
; COMPUTE_PGM_RSRC3_GFX90A:TG_SPLIT: 0
	.section	.text._ZN7rocprim17ROCPRIM_400000_NS6detail17trampoline_kernelINS0_14default_configENS1_20scan_config_selectorIsEEZZNS1_9scan_implILNS1_25lookback_scan_determinismE0ELb1ELb1ES3_N6thrust23THRUST_200600_302600_NS6detail15normal_iteratorINS9_10device_ptrIsEEEENS9_16discard_iteratorINS9_11use_defaultEEEsNS9_4plusIvEEsEEDaPvRmT3_T4_T5_mT6_P12ihipStream_tbENKUlT_T0_E_clISt17integral_constantIbLb0EESW_IbLb1EEEEDaSS_ST_EUlSS_E_NS1_11comp_targetILNS1_3genE10ELNS1_11target_archE1200ELNS1_3gpuE4ELNS1_3repE0EEENS1_30default_config_static_selectorELNS0_4arch9wavefront6targetE1EEEvT1_,"axG",@progbits,_ZN7rocprim17ROCPRIM_400000_NS6detail17trampoline_kernelINS0_14default_configENS1_20scan_config_selectorIsEEZZNS1_9scan_implILNS1_25lookback_scan_determinismE0ELb1ELb1ES3_N6thrust23THRUST_200600_302600_NS6detail15normal_iteratorINS9_10device_ptrIsEEEENS9_16discard_iteratorINS9_11use_defaultEEEsNS9_4plusIvEEsEEDaPvRmT3_T4_T5_mT6_P12ihipStream_tbENKUlT_T0_E_clISt17integral_constantIbLb0EESW_IbLb1EEEEDaSS_ST_EUlSS_E_NS1_11comp_targetILNS1_3genE10ELNS1_11target_archE1200ELNS1_3gpuE4ELNS1_3repE0EEENS1_30default_config_static_selectorELNS0_4arch9wavefront6targetE1EEEvT1_,comdat
	.protected	_ZN7rocprim17ROCPRIM_400000_NS6detail17trampoline_kernelINS0_14default_configENS1_20scan_config_selectorIsEEZZNS1_9scan_implILNS1_25lookback_scan_determinismE0ELb1ELb1ES3_N6thrust23THRUST_200600_302600_NS6detail15normal_iteratorINS9_10device_ptrIsEEEENS9_16discard_iteratorINS9_11use_defaultEEEsNS9_4plusIvEEsEEDaPvRmT3_T4_T5_mT6_P12ihipStream_tbENKUlT_T0_E_clISt17integral_constantIbLb0EESW_IbLb1EEEEDaSS_ST_EUlSS_E_NS1_11comp_targetILNS1_3genE10ELNS1_11target_archE1200ELNS1_3gpuE4ELNS1_3repE0EEENS1_30default_config_static_selectorELNS0_4arch9wavefront6targetE1EEEvT1_ ; -- Begin function _ZN7rocprim17ROCPRIM_400000_NS6detail17trampoline_kernelINS0_14default_configENS1_20scan_config_selectorIsEEZZNS1_9scan_implILNS1_25lookback_scan_determinismE0ELb1ELb1ES3_N6thrust23THRUST_200600_302600_NS6detail15normal_iteratorINS9_10device_ptrIsEEEENS9_16discard_iteratorINS9_11use_defaultEEEsNS9_4plusIvEEsEEDaPvRmT3_T4_T5_mT6_P12ihipStream_tbENKUlT_T0_E_clISt17integral_constantIbLb0EESW_IbLb1EEEEDaSS_ST_EUlSS_E_NS1_11comp_targetILNS1_3genE10ELNS1_11target_archE1200ELNS1_3gpuE4ELNS1_3repE0EEENS1_30default_config_static_selectorELNS0_4arch9wavefront6targetE1EEEvT1_
	.globl	_ZN7rocprim17ROCPRIM_400000_NS6detail17trampoline_kernelINS0_14default_configENS1_20scan_config_selectorIsEEZZNS1_9scan_implILNS1_25lookback_scan_determinismE0ELb1ELb1ES3_N6thrust23THRUST_200600_302600_NS6detail15normal_iteratorINS9_10device_ptrIsEEEENS9_16discard_iteratorINS9_11use_defaultEEEsNS9_4plusIvEEsEEDaPvRmT3_T4_T5_mT6_P12ihipStream_tbENKUlT_T0_E_clISt17integral_constantIbLb0EESW_IbLb1EEEEDaSS_ST_EUlSS_E_NS1_11comp_targetILNS1_3genE10ELNS1_11target_archE1200ELNS1_3gpuE4ELNS1_3repE0EEENS1_30default_config_static_selectorELNS0_4arch9wavefront6targetE1EEEvT1_
	.p2align	8
	.type	_ZN7rocprim17ROCPRIM_400000_NS6detail17trampoline_kernelINS0_14default_configENS1_20scan_config_selectorIsEEZZNS1_9scan_implILNS1_25lookback_scan_determinismE0ELb1ELb1ES3_N6thrust23THRUST_200600_302600_NS6detail15normal_iteratorINS9_10device_ptrIsEEEENS9_16discard_iteratorINS9_11use_defaultEEEsNS9_4plusIvEEsEEDaPvRmT3_T4_T5_mT6_P12ihipStream_tbENKUlT_T0_E_clISt17integral_constantIbLb0EESW_IbLb1EEEEDaSS_ST_EUlSS_E_NS1_11comp_targetILNS1_3genE10ELNS1_11target_archE1200ELNS1_3gpuE4ELNS1_3repE0EEENS1_30default_config_static_selectorELNS0_4arch9wavefront6targetE1EEEvT1_,@function
_ZN7rocprim17ROCPRIM_400000_NS6detail17trampoline_kernelINS0_14default_configENS1_20scan_config_selectorIsEEZZNS1_9scan_implILNS1_25lookback_scan_determinismE0ELb1ELb1ES3_N6thrust23THRUST_200600_302600_NS6detail15normal_iteratorINS9_10device_ptrIsEEEENS9_16discard_iteratorINS9_11use_defaultEEEsNS9_4plusIvEEsEEDaPvRmT3_T4_T5_mT6_P12ihipStream_tbENKUlT_T0_E_clISt17integral_constantIbLb0EESW_IbLb1EEEEDaSS_ST_EUlSS_E_NS1_11comp_targetILNS1_3genE10ELNS1_11target_archE1200ELNS1_3gpuE4ELNS1_3repE0EEENS1_30default_config_static_selectorELNS0_4arch9wavefront6targetE1EEEvT1_: ; @_ZN7rocprim17ROCPRIM_400000_NS6detail17trampoline_kernelINS0_14default_configENS1_20scan_config_selectorIsEEZZNS1_9scan_implILNS1_25lookback_scan_determinismE0ELb1ELb1ES3_N6thrust23THRUST_200600_302600_NS6detail15normal_iteratorINS9_10device_ptrIsEEEENS9_16discard_iteratorINS9_11use_defaultEEEsNS9_4plusIvEEsEEDaPvRmT3_T4_T5_mT6_P12ihipStream_tbENKUlT_T0_E_clISt17integral_constantIbLb0EESW_IbLb1EEEEDaSS_ST_EUlSS_E_NS1_11comp_targetILNS1_3genE10ELNS1_11target_archE1200ELNS1_3gpuE4ELNS1_3repE0EEENS1_30default_config_static_selectorELNS0_4arch9wavefront6targetE1EEEvT1_
; %bb.0:
	.section	.rodata,"a",@progbits
	.p2align	6, 0x0
	.amdhsa_kernel _ZN7rocprim17ROCPRIM_400000_NS6detail17trampoline_kernelINS0_14default_configENS1_20scan_config_selectorIsEEZZNS1_9scan_implILNS1_25lookback_scan_determinismE0ELb1ELb1ES3_N6thrust23THRUST_200600_302600_NS6detail15normal_iteratorINS9_10device_ptrIsEEEENS9_16discard_iteratorINS9_11use_defaultEEEsNS9_4plusIvEEsEEDaPvRmT3_T4_T5_mT6_P12ihipStream_tbENKUlT_T0_E_clISt17integral_constantIbLb0EESW_IbLb1EEEEDaSS_ST_EUlSS_E_NS1_11comp_targetILNS1_3genE10ELNS1_11target_archE1200ELNS1_3gpuE4ELNS1_3repE0EEENS1_30default_config_static_selectorELNS0_4arch9wavefront6targetE1EEEvT1_
		.amdhsa_group_segment_fixed_size 0
		.amdhsa_private_segment_fixed_size 0
		.amdhsa_kernarg_size 104
		.amdhsa_user_sgpr_count 6
		.amdhsa_user_sgpr_private_segment_buffer 1
		.amdhsa_user_sgpr_dispatch_ptr 0
		.amdhsa_user_sgpr_queue_ptr 0
		.amdhsa_user_sgpr_kernarg_segment_ptr 1
		.amdhsa_user_sgpr_dispatch_id 0
		.amdhsa_user_sgpr_flat_scratch_init 0
		.amdhsa_user_sgpr_kernarg_preload_length 0
		.amdhsa_user_sgpr_kernarg_preload_offset 0
		.amdhsa_user_sgpr_private_segment_size 0
		.amdhsa_uses_dynamic_stack 0
		.amdhsa_system_sgpr_private_segment_wavefront_offset 0
		.amdhsa_system_sgpr_workgroup_id_x 1
		.amdhsa_system_sgpr_workgroup_id_y 0
		.amdhsa_system_sgpr_workgroup_id_z 0
		.amdhsa_system_sgpr_workgroup_info 0
		.amdhsa_system_vgpr_workitem_id 0
		.amdhsa_next_free_vgpr 1
		.amdhsa_next_free_sgpr 0
		.amdhsa_accum_offset 4
		.amdhsa_reserve_vcc 0
		.amdhsa_reserve_flat_scratch 0
		.amdhsa_float_round_mode_32 0
		.amdhsa_float_round_mode_16_64 0
		.amdhsa_float_denorm_mode_32 3
		.amdhsa_float_denorm_mode_16_64 3
		.amdhsa_dx10_clamp 1
		.amdhsa_ieee_mode 1
		.amdhsa_fp16_overflow 0
		.amdhsa_tg_split 0
		.amdhsa_exception_fp_ieee_invalid_op 0
		.amdhsa_exception_fp_denorm_src 0
		.amdhsa_exception_fp_ieee_div_zero 0
		.amdhsa_exception_fp_ieee_overflow 0
		.amdhsa_exception_fp_ieee_underflow 0
		.amdhsa_exception_fp_ieee_inexact 0
		.amdhsa_exception_int_div_zero 0
	.end_amdhsa_kernel
	.section	.text._ZN7rocprim17ROCPRIM_400000_NS6detail17trampoline_kernelINS0_14default_configENS1_20scan_config_selectorIsEEZZNS1_9scan_implILNS1_25lookback_scan_determinismE0ELb1ELb1ES3_N6thrust23THRUST_200600_302600_NS6detail15normal_iteratorINS9_10device_ptrIsEEEENS9_16discard_iteratorINS9_11use_defaultEEEsNS9_4plusIvEEsEEDaPvRmT3_T4_T5_mT6_P12ihipStream_tbENKUlT_T0_E_clISt17integral_constantIbLb0EESW_IbLb1EEEEDaSS_ST_EUlSS_E_NS1_11comp_targetILNS1_3genE10ELNS1_11target_archE1200ELNS1_3gpuE4ELNS1_3repE0EEENS1_30default_config_static_selectorELNS0_4arch9wavefront6targetE1EEEvT1_,"axG",@progbits,_ZN7rocprim17ROCPRIM_400000_NS6detail17trampoline_kernelINS0_14default_configENS1_20scan_config_selectorIsEEZZNS1_9scan_implILNS1_25lookback_scan_determinismE0ELb1ELb1ES3_N6thrust23THRUST_200600_302600_NS6detail15normal_iteratorINS9_10device_ptrIsEEEENS9_16discard_iteratorINS9_11use_defaultEEEsNS9_4plusIvEEsEEDaPvRmT3_T4_T5_mT6_P12ihipStream_tbENKUlT_T0_E_clISt17integral_constantIbLb0EESW_IbLb1EEEEDaSS_ST_EUlSS_E_NS1_11comp_targetILNS1_3genE10ELNS1_11target_archE1200ELNS1_3gpuE4ELNS1_3repE0EEENS1_30default_config_static_selectorELNS0_4arch9wavefront6targetE1EEEvT1_,comdat
.Lfunc_end6002:
	.size	_ZN7rocprim17ROCPRIM_400000_NS6detail17trampoline_kernelINS0_14default_configENS1_20scan_config_selectorIsEEZZNS1_9scan_implILNS1_25lookback_scan_determinismE0ELb1ELb1ES3_N6thrust23THRUST_200600_302600_NS6detail15normal_iteratorINS9_10device_ptrIsEEEENS9_16discard_iteratorINS9_11use_defaultEEEsNS9_4plusIvEEsEEDaPvRmT3_T4_T5_mT6_P12ihipStream_tbENKUlT_T0_E_clISt17integral_constantIbLb0EESW_IbLb1EEEEDaSS_ST_EUlSS_E_NS1_11comp_targetILNS1_3genE10ELNS1_11target_archE1200ELNS1_3gpuE4ELNS1_3repE0EEENS1_30default_config_static_selectorELNS0_4arch9wavefront6targetE1EEEvT1_, .Lfunc_end6002-_ZN7rocprim17ROCPRIM_400000_NS6detail17trampoline_kernelINS0_14default_configENS1_20scan_config_selectorIsEEZZNS1_9scan_implILNS1_25lookback_scan_determinismE0ELb1ELb1ES3_N6thrust23THRUST_200600_302600_NS6detail15normal_iteratorINS9_10device_ptrIsEEEENS9_16discard_iteratorINS9_11use_defaultEEEsNS9_4plusIvEEsEEDaPvRmT3_T4_T5_mT6_P12ihipStream_tbENKUlT_T0_E_clISt17integral_constantIbLb0EESW_IbLb1EEEEDaSS_ST_EUlSS_E_NS1_11comp_targetILNS1_3genE10ELNS1_11target_archE1200ELNS1_3gpuE4ELNS1_3repE0EEENS1_30default_config_static_selectorELNS0_4arch9wavefront6targetE1EEEvT1_
                                        ; -- End function
	.section	.AMDGPU.csdata,"",@progbits
; Kernel info:
; codeLenInByte = 0
; NumSgprs: 4
; NumVgprs: 0
; NumAgprs: 0
; TotalNumVgprs: 0
; ScratchSize: 0
; MemoryBound: 0
; FloatMode: 240
; IeeeMode: 1
; LDSByteSize: 0 bytes/workgroup (compile time only)
; SGPRBlocks: 0
; VGPRBlocks: 0
; NumSGPRsForWavesPerEU: 4
; NumVGPRsForWavesPerEU: 1
; AccumOffset: 4
; Occupancy: 8
; WaveLimiterHint : 0
; COMPUTE_PGM_RSRC2:SCRATCH_EN: 0
; COMPUTE_PGM_RSRC2:USER_SGPR: 6
; COMPUTE_PGM_RSRC2:TRAP_HANDLER: 0
; COMPUTE_PGM_RSRC2:TGID_X_EN: 1
; COMPUTE_PGM_RSRC2:TGID_Y_EN: 0
; COMPUTE_PGM_RSRC2:TGID_Z_EN: 0
; COMPUTE_PGM_RSRC2:TIDIG_COMP_CNT: 0
; COMPUTE_PGM_RSRC3_GFX90A:ACCUM_OFFSET: 0
; COMPUTE_PGM_RSRC3_GFX90A:TG_SPLIT: 0
	.section	.text._ZN7rocprim17ROCPRIM_400000_NS6detail17trampoline_kernelINS0_14default_configENS1_20scan_config_selectorIsEEZZNS1_9scan_implILNS1_25lookback_scan_determinismE0ELb1ELb1ES3_N6thrust23THRUST_200600_302600_NS6detail15normal_iteratorINS9_10device_ptrIsEEEENS9_16discard_iteratorINS9_11use_defaultEEEsNS9_4plusIvEEsEEDaPvRmT3_T4_T5_mT6_P12ihipStream_tbENKUlT_T0_E_clISt17integral_constantIbLb0EESW_IbLb1EEEEDaSS_ST_EUlSS_E_NS1_11comp_targetILNS1_3genE9ELNS1_11target_archE1100ELNS1_3gpuE3ELNS1_3repE0EEENS1_30default_config_static_selectorELNS0_4arch9wavefront6targetE1EEEvT1_,"axG",@progbits,_ZN7rocprim17ROCPRIM_400000_NS6detail17trampoline_kernelINS0_14default_configENS1_20scan_config_selectorIsEEZZNS1_9scan_implILNS1_25lookback_scan_determinismE0ELb1ELb1ES3_N6thrust23THRUST_200600_302600_NS6detail15normal_iteratorINS9_10device_ptrIsEEEENS9_16discard_iteratorINS9_11use_defaultEEEsNS9_4plusIvEEsEEDaPvRmT3_T4_T5_mT6_P12ihipStream_tbENKUlT_T0_E_clISt17integral_constantIbLb0EESW_IbLb1EEEEDaSS_ST_EUlSS_E_NS1_11comp_targetILNS1_3genE9ELNS1_11target_archE1100ELNS1_3gpuE3ELNS1_3repE0EEENS1_30default_config_static_selectorELNS0_4arch9wavefront6targetE1EEEvT1_,comdat
	.protected	_ZN7rocprim17ROCPRIM_400000_NS6detail17trampoline_kernelINS0_14default_configENS1_20scan_config_selectorIsEEZZNS1_9scan_implILNS1_25lookback_scan_determinismE0ELb1ELb1ES3_N6thrust23THRUST_200600_302600_NS6detail15normal_iteratorINS9_10device_ptrIsEEEENS9_16discard_iteratorINS9_11use_defaultEEEsNS9_4plusIvEEsEEDaPvRmT3_T4_T5_mT6_P12ihipStream_tbENKUlT_T0_E_clISt17integral_constantIbLb0EESW_IbLb1EEEEDaSS_ST_EUlSS_E_NS1_11comp_targetILNS1_3genE9ELNS1_11target_archE1100ELNS1_3gpuE3ELNS1_3repE0EEENS1_30default_config_static_selectorELNS0_4arch9wavefront6targetE1EEEvT1_ ; -- Begin function _ZN7rocprim17ROCPRIM_400000_NS6detail17trampoline_kernelINS0_14default_configENS1_20scan_config_selectorIsEEZZNS1_9scan_implILNS1_25lookback_scan_determinismE0ELb1ELb1ES3_N6thrust23THRUST_200600_302600_NS6detail15normal_iteratorINS9_10device_ptrIsEEEENS9_16discard_iteratorINS9_11use_defaultEEEsNS9_4plusIvEEsEEDaPvRmT3_T4_T5_mT6_P12ihipStream_tbENKUlT_T0_E_clISt17integral_constantIbLb0EESW_IbLb1EEEEDaSS_ST_EUlSS_E_NS1_11comp_targetILNS1_3genE9ELNS1_11target_archE1100ELNS1_3gpuE3ELNS1_3repE0EEENS1_30default_config_static_selectorELNS0_4arch9wavefront6targetE1EEEvT1_
	.globl	_ZN7rocprim17ROCPRIM_400000_NS6detail17trampoline_kernelINS0_14default_configENS1_20scan_config_selectorIsEEZZNS1_9scan_implILNS1_25lookback_scan_determinismE0ELb1ELb1ES3_N6thrust23THRUST_200600_302600_NS6detail15normal_iteratorINS9_10device_ptrIsEEEENS9_16discard_iteratorINS9_11use_defaultEEEsNS9_4plusIvEEsEEDaPvRmT3_T4_T5_mT6_P12ihipStream_tbENKUlT_T0_E_clISt17integral_constantIbLb0EESW_IbLb1EEEEDaSS_ST_EUlSS_E_NS1_11comp_targetILNS1_3genE9ELNS1_11target_archE1100ELNS1_3gpuE3ELNS1_3repE0EEENS1_30default_config_static_selectorELNS0_4arch9wavefront6targetE1EEEvT1_
	.p2align	8
	.type	_ZN7rocprim17ROCPRIM_400000_NS6detail17trampoline_kernelINS0_14default_configENS1_20scan_config_selectorIsEEZZNS1_9scan_implILNS1_25lookback_scan_determinismE0ELb1ELb1ES3_N6thrust23THRUST_200600_302600_NS6detail15normal_iteratorINS9_10device_ptrIsEEEENS9_16discard_iteratorINS9_11use_defaultEEEsNS9_4plusIvEEsEEDaPvRmT3_T4_T5_mT6_P12ihipStream_tbENKUlT_T0_E_clISt17integral_constantIbLb0EESW_IbLb1EEEEDaSS_ST_EUlSS_E_NS1_11comp_targetILNS1_3genE9ELNS1_11target_archE1100ELNS1_3gpuE3ELNS1_3repE0EEENS1_30default_config_static_selectorELNS0_4arch9wavefront6targetE1EEEvT1_,@function
_ZN7rocprim17ROCPRIM_400000_NS6detail17trampoline_kernelINS0_14default_configENS1_20scan_config_selectorIsEEZZNS1_9scan_implILNS1_25lookback_scan_determinismE0ELb1ELb1ES3_N6thrust23THRUST_200600_302600_NS6detail15normal_iteratorINS9_10device_ptrIsEEEENS9_16discard_iteratorINS9_11use_defaultEEEsNS9_4plusIvEEsEEDaPvRmT3_T4_T5_mT6_P12ihipStream_tbENKUlT_T0_E_clISt17integral_constantIbLb0EESW_IbLb1EEEEDaSS_ST_EUlSS_E_NS1_11comp_targetILNS1_3genE9ELNS1_11target_archE1100ELNS1_3gpuE3ELNS1_3repE0EEENS1_30default_config_static_selectorELNS0_4arch9wavefront6targetE1EEEvT1_: ; @_ZN7rocprim17ROCPRIM_400000_NS6detail17trampoline_kernelINS0_14default_configENS1_20scan_config_selectorIsEEZZNS1_9scan_implILNS1_25lookback_scan_determinismE0ELb1ELb1ES3_N6thrust23THRUST_200600_302600_NS6detail15normal_iteratorINS9_10device_ptrIsEEEENS9_16discard_iteratorINS9_11use_defaultEEEsNS9_4plusIvEEsEEDaPvRmT3_T4_T5_mT6_P12ihipStream_tbENKUlT_T0_E_clISt17integral_constantIbLb0EESW_IbLb1EEEEDaSS_ST_EUlSS_E_NS1_11comp_targetILNS1_3genE9ELNS1_11target_archE1100ELNS1_3gpuE3ELNS1_3repE0EEENS1_30default_config_static_selectorELNS0_4arch9wavefront6targetE1EEEvT1_
; %bb.0:
	.section	.rodata,"a",@progbits
	.p2align	6, 0x0
	.amdhsa_kernel _ZN7rocprim17ROCPRIM_400000_NS6detail17trampoline_kernelINS0_14default_configENS1_20scan_config_selectorIsEEZZNS1_9scan_implILNS1_25lookback_scan_determinismE0ELb1ELb1ES3_N6thrust23THRUST_200600_302600_NS6detail15normal_iteratorINS9_10device_ptrIsEEEENS9_16discard_iteratorINS9_11use_defaultEEEsNS9_4plusIvEEsEEDaPvRmT3_T4_T5_mT6_P12ihipStream_tbENKUlT_T0_E_clISt17integral_constantIbLb0EESW_IbLb1EEEEDaSS_ST_EUlSS_E_NS1_11comp_targetILNS1_3genE9ELNS1_11target_archE1100ELNS1_3gpuE3ELNS1_3repE0EEENS1_30default_config_static_selectorELNS0_4arch9wavefront6targetE1EEEvT1_
		.amdhsa_group_segment_fixed_size 0
		.amdhsa_private_segment_fixed_size 0
		.amdhsa_kernarg_size 104
		.amdhsa_user_sgpr_count 6
		.amdhsa_user_sgpr_private_segment_buffer 1
		.amdhsa_user_sgpr_dispatch_ptr 0
		.amdhsa_user_sgpr_queue_ptr 0
		.amdhsa_user_sgpr_kernarg_segment_ptr 1
		.amdhsa_user_sgpr_dispatch_id 0
		.amdhsa_user_sgpr_flat_scratch_init 0
		.amdhsa_user_sgpr_kernarg_preload_length 0
		.amdhsa_user_sgpr_kernarg_preload_offset 0
		.amdhsa_user_sgpr_private_segment_size 0
		.amdhsa_uses_dynamic_stack 0
		.amdhsa_system_sgpr_private_segment_wavefront_offset 0
		.amdhsa_system_sgpr_workgroup_id_x 1
		.amdhsa_system_sgpr_workgroup_id_y 0
		.amdhsa_system_sgpr_workgroup_id_z 0
		.amdhsa_system_sgpr_workgroup_info 0
		.amdhsa_system_vgpr_workitem_id 0
		.amdhsa_next_free_vgpr 1
		.amdhsa_next_free_sgpr 0
		.amdhsa_accum_offset 4
		.amdhsa_reserve_vcc 0
		.amdhsa_reserve_flat_scratch 0
		.amdhsa_float_round_mode_32 0
		.amdhsa_float_round_mode_16_64 0
		.amdhsa_float_denorm_mode_32 3
		.amdhsa_float_denorm_mode_16_64 3
		.amdhsa_dx10_clamp 1
		.amdhsa_ieee_mode 1
		.amdhsa_fp16_overflow 0
		.amdhsa_tg_split 0
		.amdhsa_exception_fp_ieee_invalid_op 0
		.amdhsa_exception_fp_denorm_src 0
		.amdhsa_exception_fp_ieee_div_zero 0
		.amdhsa_exception_fp_ieee_overflow 0
		.amdhsa_exception_fp_ieee_underflow 0
		.amdhsa_exception_fp_ieee_inexact 0
		.amdhsa_exception_int_div_zero 0
	.end_amdhsa_kernel
	.section	.text._ZN7rocprim17ROCPRIM_400000_NS6detail17trampoline_kernelINS0_14default_configENS1_20scan_config_selectorIsEEZZNS1_9scan_implILNS1_25lookback_scan_determinismE0ELb1ELb1ES3_N6thrust23THRUST_200600_302600_NS6detail15normal_iteratorINS9_10device_ptrIsEEEENS9_16discard_iteratorINS9_11use_defaultEEEsNS9_4plusIvEEsEEDaPvRmT3_T4_T5_mT6_P12ihipStream_tbENKUlT_T0_E_clISt17integral_constantIbLb0EESW_IbLb1EEEEDaSS_ST_EUlSS_E_NS1_11comp_targetILNS1_3genE9ELNS1_11target_archE1100ELNS1_3gpuE3ELNS1_3repE0EEENS1_30default_config_static_selectorELNS0_4arch9wavefront6targetE1EEEvT1_,"axG",@progbits,_ZN7rocprim17ROCPRIM_400000_NS6detail17trampoline_kernelINS0_14default_configENS1_20scan_config_selectorIsEEZZNS1_9scan_implILNS1_25lookback_scan_determinismE0ELb1ELb1ES3_N6thrust23THRUST_200600_302600_NS6detail15normal_iteratorINS9_10device_ptrIsEEEENS9_16discard_iteratorINS9_11use_defaultEEEsNS9_4plusIvEEsEEDaPvRmT3_T4_T5_mT6_P12ihipStream_tbENKUlT_T0_E_clISt17integral_constantIbLb0EESW_IbLb1EEEEDaSS_ST_EUlSS_E_NS1_11comp_targetILNS1_3genE9ELNS1_11target_archE1100ELNS1_3gpuE3ELNS1_3repE0EEENS1_30default_config_static_selectorELNS0_4arch9wavefront6targetE1EEEvT1_,comdat
.Lfunc_end6003:
	.size	_ZN7rocprim17ROCPRIM_400000_NS6detail17trampoline_kernelINS0_14default_configENS1_20scan_config_selectorIsEEZZNS1_9scan_implILNS1_25lookback_scan_determinismE0ELb1ELb1ES3_N6thrust23THRUST_200600_302600_NS6detail15normal_iteratorINS9_10device_ptrIsEEEENS9_16discard_iteratorINS9_11use_defaultEEEsNS9_4plusIvEEsEEDaPvRmT3_T4_T5_mT6_P12ihipStream_tbENKUlT_T0_E_clISt17integral_constantIbLb0EESW_IbLb1EEEEDaSS_ST_EUlSS_E_NS1_11comp_targetILNS1_3genE9ELNS1_11target_archE1100ELNS1_3gpuE3ELNS1_3repE0EEENS1_30default_config_static_selectorELNS0_4arch9wavefront6targetE1EEEvT1_, .Lfunc_end6003-_ZN7rocprim17ROCPRIM_400000_NS6detail17trampoline_kernelINS0_14default_configENS1_20scan_config_selectorIsEEZZNS1_9scan_implILNS1_25lookback_scan_determinismE0ELb1ELb1ES3_N6thrust23THRUST_200600_302600_NS6detail15normal_iteratorINS9_10device_ptrIsEEEENS9_16discard_iteratorINS9_11use_defaultEEEsNS9_4plusIvEEsEEDaPvRmT3_T4_T5_mT6_P12ihipStream_tbENKUlT_T0_E_clISt17integral_constantIbLb0EESW_IbLb1EEEEDaSS_ST_EUlSS_E_NS1_11comp_targetILNS1_3genE9ELNS1_11target_archE1100ELNS1_3gpuE3ELNS1_3repE0EEENS1_30default_config_static_selectorELNS0_4arch9wavefront6targetE1EEEvT1_
                                        ; -- End function
	.section	.AMDGPU.csdata,"",@progbits
; Kernel info:
; codeLenInByte = 0
; NumSgprs: 4
; NumVgprs: 0
; NumAgprs: 0
; TotalNumVgprs: 0
; ScratchSize: 0
; MemoryBound: 0
; FloatMode: 240
; IeeeMode: 1
; LDSByteSize: 0 bytes/workgroup (compile time only)
; SGPRBlocks: 0
; VGPRBlocks: 0
; NumSGPRsForWavesPerEU: 4
; NumVGPRsForWavesPerEU: 1
; AccumOffset: 4
; Occupancy: 8
; WaveLimiterHint : 0
; COMPUTE_PGM_RSRC2:SCRATCH_EN: 0
; COMPUTE_PGM_RSRC2:USER_SGPR: 6
; COMPUTE_PGM_RSRC2:TRAP_HANDLER: 0
; COMPUTE_PGM_RSRC2:TGID_X_EN: 1
; COMPUTE_PGM_RSRC2:TGID_Y_EN: 0
; COMPUTE_PGM_RSRC2:TGID_Z_EN: 0
; COMPUTE_PGM_RSRC2:TIDIG_COMP_CNT: 0
; COMPUTE_PGM_RSRC3_GFX90A:ACCUM_OFFSET: 0
; COMPUTE_PGM_RSRC3_GFX90A:TG_SPLIT: 0
	.section	.text._ZN7rocprim17ROCPRIM_400000_NS6detail17trampoline_kernelINS0_14default_configENS1_20scan_config_selectorIsEEZZNS1_9scan_implILNS1_25lookback_scan_determinismE0ELb1ELb1ES3_N6thrust23THRUST_200600_302600_NS6detail15normal_iteratorINS9_10device_ptrIsEEEENS9_16discard_iteratorINS9_11use_defaultEEEsNS9_4plusIvEEsEEDaPvRmT3_T4_T5_mT6_P12ihipStream_tbENKUlT_T0_E_clISt17integral_constantIbLb0EESW_IbLb1EEEEDaSS_ST_EUlSS_E_NS1_11comp_targetILNS1_3genE8ELNS1_11target_archE1030ELNS1_3gpuE2ELNS1_3repE0EEENS1_30default_config_static_selectorELNS0_4arch9wavefront6targetE1EEEvT1_,"axG",@progbits,_ZN7rocprim17ROCPRIM_400000_NS6detail17trampoline_kernelINS0_14default_configENS1_20scan_config_selectorIsEEZZNS1_9scan_implILNS1_25lookback_scan_determinismE0ELb1ELb1ES3_N6thrust23THRUST_200600_302600_NS6detail15normal_iteratorINS9_10device_ptrIsEEEENS9_16discard_iteratorINS9_11use_defaultEEEsNS9_4plusIvEEsEEDaPvRmT3_T4_T5_mT6_P12ihipStream_tbENKUlT_T0_E_clISt17integral_constantIbLb0EESW_IbLb1EEEEDaSS_ST_EUlSS_E_NS1_11comp_targetILNS1_3genE8ELNS1_11target_archE1030ELNS1_3gpuE2ELNS1_3repE0EEENS1_30default_config_static_selectorELNS0_4arch9wavefront6targetE1EEEvT1_,comdat
	.protected	_ZN7rocprim17ROCPRIM_400000_NS6detail17trampoline_kernelINS0_14default_configENS1_20scan_config_selectorIsEEZZNS1_9scan_implILNS1_25lookback_scan_determinismE0ELb1ELb1ES3_N6thrust23THRUST_200600_302600_NS6detail15normal_iteratorINS9_10device_ptrIsEEEENS9_16discard_iteratorINS9_11use_defaultEEEsNS9_4plusIvEEsEEDaPvRmT3_T4_T5_mT6_P12ihipStream_tbENKUlT_T0_E_clISt17integral_constantIbLb0EESW_IbLb1EEEEDaSS_ST_EUlSS_E_NS1_11comp_targetILNS1_3genE8ELNS1_11target_archE1030ELNS1_3gpuE2ELNS1_3repE0EEENS1_30default_config_static_selectorELNS0_4arch9wavefront6targetE1EEEvT1_ ; -- Begin function _ZN7rocprim17ROCPRIM_400000_NS6detail17trampoline_kernelINS0_14default_configENS1_20scan_config_selectorIsEEZZNS1_9scan_implILNS1_25lookback_scan_determinismE0ELb1ELb1ES3_N6thrust23THRUST_200600_302600_NS6detail15normal_iteratorINS9_10device_ptrIsEEEENS9_16discard_iteratorINS9_11use_defaultEEEsNS9_4plusIvEEsEEDaPvRmT3_T4_T5_mT6_P12ihipStream_tbENKUlT_T0_E_clISt17integral_constantIbLb0EESW_IbLb1EEEEDaSS_ST_EUlSS_E_NS1_11comp_targetILNS1_3genE8ELNS1_11target_archE1030ELNS1_3gpuE2ELNS1_3repE0EEENS1_30default_config_static_selectorELNS0_4arch9wavefront6targetE1EEEvT1_
	.globl	_ZN7rocprim17ROCPRIM_400000_NS6detail17trampoline_kernelINS0_14default_configENS1_20scan_config_selectorIsEEZZNS1_9scan_implILNS1_25lookback_scan_determinismE0ELb1ELb1ES3_N6thrust23THRUST_200600_302600_NS6detail15normal_iteratorINS9_10device_ptrIsEEEENS9_16discard_iteratorINS9_11use_defaultEEEsNS9_4plusIvEEsEEDaPvRmT3_T4_T5_mT6_P12ihipStream_tbENKUlT_T0_E_clISt17integral_constantIbLb0EESW_IbLb1EEEEDaSS_ST_EUlSS_E_NS1_11comp_targetILNS1_3genE8ELNS1_11target_archE1030ELNS1_3gpuE2ELNS1_3repE0EEENS1_30default_config_static_selectorELNS0_4arch9wavefront6targetE1EEEvT1_
	.p2align	8
	.type	_ZN7rocprim17ROCPRIM_400000_NS6detail17trampoline_kernelINS0_14default_configENS1_20scan_config_selectorIsEEZZNS1_9scan_implILNS1_25lookback_scan_determinismE0ELb1ELb1ES3_N6thrust23THRUST_200600_302600_NS6detail15normal_iteratorINS9_10device_ptrIsEEEENS9_16discard_iteratorINS9_11use_defaultEEEsNS9_4plusIvEEsEEDaPvRmT3_T4_T5_mT6_P12ihipStream_tbENKUlT_T0_E_clISt17integral_constantIbLb0EESW_IbLb1EEEEDaSS_ST_EUlSS_E_NS1_11comp_targetILNS1_3genE8ELNS1_11target_archE1030ELNS1_3gpuE2ELNS1_3repE0EEENS1_30default_config_static_selectorELNS0_4arch9wavefront6targetE1EEEvT1_,@function
_ZN7rocprim17ROCPRIM_400000_NS6detail17trampoline_kernelINS0_14default_configENS1_20scan_config_selectorIsEEZZNS1_9scan_implILNS1_25lookback_scan_determinismE0ELb1ELb1ES3_N6thrust23THRUST_200600_302600_NS6detail15normal_iteratorINS9_10device_ptrIsEEEENS9_16discard_iteratorINS9_11use_defaultEEEsNS9_4plusIvEEsEEDaPvRmT3_T4_T5_mT6_P12ihipStream_tbENKUlT_T0_E_clISt17integral_constantIbLb0EESW_IbLb1EEEEDaSS_ST_EUlSS_E_NS1_11comp_targetILNS1_3genE8ELNS1_11target_archE1030ELNS1_3gpuE2ELNS1_3repE0EEENS1_30default_config_static_selectorELNS0_4arch9wavefront6targetE1EEEvT1_: ; @_ZN7rocprim17ROCPRIM_400000_NS6detail17trampoline_kernelINS0_14default_configENS1_20scan_config_selectorIsEEZZNS1_9scan_implILNS1_25lookback_scan_determinismE0ELb1ELb1ES3_N6thrust23THRUST_200600_302600_NS6detail15normal_iteratorINS9_10device_ptrIsEEEENS9_16discard_iteratorINS9_11use_defaultEEEsNS9_4plusIvEEsEEDaPvRmT3_T4_T5_mT6_P12ihipStream_tbENKUlT_T0_E_clISt17integral_constantIbLb0EESW_IbLb1EEEEDaSS_ST_EUlSS_E_NS1_11comp_targetILNS1_3genE8ELNS1_11target_archE1030ELNS1_3gpuE2ELNS1_3repE0EEENS1_30default_config_static_selectorELNS0_4arch9wavefront6targetE1EEEvT1_
; %bb.0:
	.section	.rodata,"a",@progbits
	.p2align	6, 0x0
	.amdhsa_kernel _ZN7rocprim17ROCPRIM_400000_NS6detail17trampoline_kernelINS0_14default_configENS1_20scan_config_selectorIsEEZZNS1_9scan_implILNS1_25lookback_scan_determinismE0ELb1ELb1ES3_N6thrust23THRUST_200600_302600_NS6detail15normal_iteratorINS9_10device_ptrIsEEEENS9_16discard_iteratorINS9_11use_defaultEEEsNS9_4plusIvEEsEEDaPvRmT3_T4_T5_mT6_P12ihipStream_tbENKUlT_T0_E_clISt17integral_constantIbLb0EESW_IbLb1EEEEDaSS_ST_EUlSS_E_NS1_11comp_targetILNS1_3genE8ELNS1_11target_archE1030ELNS1_3gpuE2ELNS1_3repE0EEENS1_30default_config_static_selectorELNS0_4arch9wavefront6targetE1EEEvT1_
		.amdhsa_group_segment_fixed_size 0
		.amdhsa_private_segment_fixed_size 0
		.amdhsa_kernarg_size 104
		.amdhsa_user_sgpr_count 6
		.amdhsa_user_sgpr_private_segment_buffer 1
		.amdhsa_user_sgpr_dispatch_ptr 0
		.amdhsa_user_sgpr_queue_ptr 0
		.amdhsa_user_sgpr_kernarg_segment_ptr 1
		.amdhsa_user_sgpr_dispatch_id 0
		.amdhsa_user_sgpr_flat_scratch_init 0
		.amdhsa_user_sgpr_kernarg_preload_length 0
		.amdhsa_user_sgpr_kernarg_preload_offset 0
		.amdhsa_user_sgpr_private_segment_size 0
		.amdhsa_uses_dynamic_stack 0
		.amdhsa_system_sgpr_private_segment_wavefront_offset 0
		.amdhsa_system_sgpr_workgroup_id_x 1
		.amdhsa_system_sgpr_workgroup_id_y 0
		.amdhsa_system_sgpr_workgroup_id_z 0
		.amdhsa_system_sgpr_workgroup_info 0
		.amdhsa_system_vgpr_workitem_id 0
		.amdhsa_next_free_vgpr 1
		.amdhsa_next_free_sgpr 0
		.amdhsa_accum_offset 4
		.amdhsa_reserve_vcc 0
		.amdhsa_reserve_flat_scratch 0
		.amdhsa_float_round_mode_32 0
		.amdhsa_float_round_mode_16_64 0
		.amdhsa_float_denorm_mode_32 3
		.amdhsa_float_denorm_mode_16_64 3
		.amdhsa_dx10_clamp 1
		.amdhsa_ieee_mode 1
		.amdhsa_fp16_overflow 0
		.amdhsa_tg_split 0
		.amdhsa_exception_fp_ieee_invalid_op 0
		.amdhsa_exception_fp_denorm_src 0
		.amdhsa_exception_fp_ieee_div_zero 0
		.amdhsa_exception_fp_ieee_overflow 0
		.amdhsa_exception_fp_ieee_underflow 0
		.amdhsa_exception_fp_ieee_inexact 0
		.amdhsa_exception_int_div_zero 0
	.end_amdhsa_kernel
	.section	.text._ZN7rocprim17ROCPRIM_400000_NS6detail17trampoline_kernelINS0_14default_configENS1_20scan_config_selectorIsEEZZNS1_9scan_implILNS1_25lookback_scan_determinismE0ELb1ELb1ES3_N6thrust23THRUST_200600_302600_NS6detail15normal_iteratorINS9_10device_ptrIsEEEENS9_16discard_iteratorINS9_11use_defaultEEEsNS9_4plusIvEEsEEDaPvRmT3_T4_T5_mT6_P12ihipStream_tbENKUlT_T0_E_clISt17integral_constantIbLb0EESW_IbLb1EEEEDaSS_ST_EUlSS_E_NS1_11comp_targetILNS1_3genE8ELNS1_11target_archE1030ELNS1_3gpuE2ELNS1_3repE0EEENS1_30default_config_static_selectorELNS0_4arch9wavefront6targetE1EEEvT1_,"axG",@progbits,_ZN7rocprim17ROCPRIM_400000_NS6detail17trampoline_kernelINS0_14default_configENS1_20scan_config_selectorIsEEZZNS1_9scan_implILNS1_25lookback_scan_determinismE0ELb1ELb1ES3_N6thrust23THRUST_200600_302600_NS6detail15normal_iteratorINS9_10device_ptrIsEEEENS9_16discard_iteratorINS9_11use_defaultEEEsNS9_4plusIvEEsEEDaPvRmT3_T4_T5_mT6_P12ihipStream_tbENKUlT_T0_E_clISt17integral_constantIbLb0EESW_IbLb1EEEEDaSS_ST_EUlSS_E_NS1_11comp_targetILNS1_3genE8ELNS1_11target_archE1030ELNS1_3gpuE2ELNS1_3repE0EEENS1_30default_config_static_selectorELNS0_4arch9wavefront6targetE1EEEvT1_,comdat
.Lfunc_end6004:
	.size	_ZN7rocprim17ROCPRIM_400000_NS6detail17trampoline_kernelINS0_14default_configENS1_20scan_config_selectorIsEEZZNS1_9scan_implILNS1_25lookback_scan_determinismE0ELb1ELb1ES3_N6thrust23THRUST_200600_302600_NS6detail15normal_iteratorINS9_10device_ptrIsEEEENS9_16discard_iteratorINS9_11use_defaultEEEsNS9_4plusIvEEsEEDaPvRmT3_T4_T5_mT6_P12ihipStream_tbENKUlT_T0_E_clISt17integral_constantIbLb0EESW_IbLb1EEEEDaSS_ST_EUlSS_E_NS1_11comp_targetILNS1_3genE8ELNS1_11target_archE1030ELNS1_3gpuE2ELNS1_3repE0EEENS1_30default_config_static_selectorELNS0_4arch9wavefront6targetE1EEEvT1_, .Lfunc_end6004-_ZN7rocprim17ROCPRIM_400000_NS6detail17trampoline_kernelINS0_14default_configENS1_20scan_config_selectorIsEEZZNS1_9scan_implILNS1_25lookback_scan_determinismE0ELb1ELb1ES3_N6thrust23THRUST_200600_302600_NS6detail15normal_iteratorINS9_10device_ptrIsEEEENS9_16discard_iteratorINS9_11use_defaultEEEsNS9_4plusIvEEsEEDaPvRmT3_T4_T5_mT6_P12ihipStream_tbENKUlT_T0_E_clISt17integral_constantIbLb0EESW_IbLb1EEEEDaSS_ST_EUlSS_E_NS1_11comp_targetILNS1_3genE8ELNS1_11target_archE1030ELNS1_3gpuE2ELNS1_3repE0EEENS1_30default_config_static_selectorELNS0_4arch9wavefront6targetE1EEEvT1_
                                        ; -- End function
	.section	.AMDGPU.csdata,"",@progbits
; Kernel info:
; codeLenInByte = 0
; NumSgprs: 4
; NumVgprs: 0
; NumAgprs: 0
; TotalNumVgprs: 0
; ScratchSize: 0
; MemoryBound: 0
; FloatMode: 240
; IeeeMode: 1
; LDSByteSize: 0 bytes/workgroup (compile time only)
; SGPRBlocks: 0
; VGPRBlocks: 0
; NumSGPRsForWavesPerEU: 4
; NumVGPRsForWavesPerEU: 1
; AccumOffset: 4
; Occupancy: 8
; WaveLimiterHint : 0
; COMPUTE_PGM_RSRC2:SCRATCH_EN: 0
; COMPUTE_PGM_RSRC2:USER_SGPR: 6
; COMPUTE_PGM_RSRC2:TRAP_HANDLER: 0
; COMPUTE_PGM_RSRC2:TGID_X_EN: 1
; COMPUTE_PGM_RSRC2:TGID_Y_EN: 0
; COMPUTE_PGM_RSRC2:TGID_Z_EN: 0
; COMPUTE_PGM_RSRC2:TIDIG_COMP_CNT: 0
; COMPUTE_PGM_RSRC3_GFX90A:ACCUM_OFFSET: 0
; COMPUTE_PGM_RSRC3_GFX90A:TG_SPLIT: 0
	.section	.text._ZN7rocprim17ROCPRIM_400000_NS6detail17trampoline_kernelINS0_14default_configENS1_20scan_config_selectorIsEEZZNS1_9scan_implILNS1_25lookback_scan_determinismE0ELb1ELb1ES3_N6thrust23THRUST_200600_302600_NS6detail15normal_iteratorINS9_10device_ptrIsEEEENS9_16discard_iteratorINS9_11use_defaultEEEsNS9_4plusIvEEsEEDaPvRmT3_T4_T5_mT6_P12ihipStream_tbENKUlT_T0_E_clISt17integral_constantIbLb0EESW_IbLb1EEEEDaSS_ST_EUlSS_E0_NS1_11comp_targetILNS1_3genE0ELNS1_11target_archE4294967295ELNS1_3gpuE0ELNS1_3repE0EEENS1_30default_config_static_selectorELNS0_4arch9wavefront6targetE1EEEvT1_,"axG",@progbits,_ZN7rocprim17ROCPRIM_400000_NS6detail17trampoline_kernelINS0_14default_configENS1_20scan_config_selectorIsEEZZNS1_9scan_implILNS1_25lookback_scan_determinismE0ELb1ELb1ES3_N6thrust23THRUST_200600_302600_NS6detail15normal_iteratorINS9_10device_ptrIsEEEENS9_16discard_iteratorINS9_11use_defaultEEEsNS9_4plusIvEEsEEDaPvRmT3_T4_T5_mT6_P12ihipStream_tbENKUlT_T0_E_clISt17integral_constantIbLb0EESW_IbLb1EEEEDaSS_ST_EUlSS_E0_NS1_11comp_targetILNS1_3genE0ELNS1_11target_archE4294967295ELNS1_3gpuE0ELNS1_3repE0EEENS1_30default_config_static_selectorELNS0_4arch9wavefront6targetE1EEEvT1_,comdat
	.protected	_ZN7rocprim17ROCPRIM_400000_NS6detail17trampoline_kernelINS0_14default_configENS1_20scan_config_selectorIsEEZZNS1_9scan_implILNS1_25lookback_scan_determinismE0ELb1ELb1ES3_N6thrust23THRUST_200600_302600_NS6detail15normal_iteratorINS9_10device_ptrIsEEEENS9_16discard_iteratorINS9_11use_defaultEEEsNS9_4plusIvEEsEEDaPvRmT3_T4_T5_mT6_P12ihipStream_tbENKUlT_T0_E_clISt17integral_constantIbLb0EESW_IbLb1EEEEDaSS_ST_EUlSS_E0_NS1_11comp_targetILNS1_3genE0ELNS1_11target_archE4294967295ELNS1_3gpuE0ELNS1_3repE0EEENS1_30default_config_static_selectorELNS0_4arch9wavefront6targetE1EEEvT1_ ; -- Begin function _ZN7rocprim17ROCPRIM_400000_NS6detail17trampoline_kernelINS0_14default_configENS1_20scan_config_selectorIsEEZZNS1_9scan_implILNS1_25lookback_scan_determinismE0ELb1ELb1ES3_N6thrust23THRUST_200600_302600_NS6detail15normal_iteratorINS9_10device_ptrIsEEEENS9_16discard_iteratorINS9_11use_defaultEEEsNS9_4plusIvEEsEEDaPvRmT3_T4_T5_mT6_P12ihipStream_tbENKUlT_T0_E_clISt17integral_constantIbLb0EESW_IbLb1EEEEDaSS_ST_EUlSS_E0_NS1_11comp_targetILNS1_3genE0ELNS1_11target_archE4294967295ELNS1_3gpuE0ELNS1_3repE0EEENS1_30default_config_static_selectorELNS0_4arch9wavefront6targetE1EEEvT1_
	.globl	_ZN7rocprim17ROCPRIM_400000_NS6detail17trampoline_kernelINS0_14default_configENS1_20scan_config_selectorIsEEZZNS1_9scan_implILNS1_25lookback_scan_determinismE0ELb1ELb1ES3_N6thrust23THRUST_200600_302600_NS6detail15normal_iteratorINS9_10device_ptrIsEEEENS9_16discard_iteratorINS9_11use_defaultEEEsNS9_4plusIvEEsEEDaPvRmT3_T4_T5_mT6_P12ihipStream_tbENKUlT_T0_E_clISt17integral_constantIbLb0EESW_IbLb1EEEEDaSS_ST_EUlSS_E0_NS1_11comp_targetILNS1_3genE0ELNS1_11target_archE4294967295ELNS1_3gpuE0ELNS1_3repE0EEENS1_30default_config_static_selectorELNS0_4arch9wavefront6targetE1EEEvT1_
	.p2align	8
	.type	_ZN7rocprim17ROCPRIM_400000_NS6detail17trampoline_kernelINS0_14default_configENS1_20scan_config_selectorIsEEZZNS1_9scan_implILNS1_25lookback_scan_determinismE0ELb1ELb1ES3_N6thrust23THRUST_200600_302600_NS6detail15normal_iteratorINS9_10device_ptrIsEEEENS9_16discard_iteratorINS9_11use_defaultEEEsNS9_4plusIvEEsEEDaPvRmT3_T4_T5_mT6_P12ihipStream_tbENKUlT_T0_E_clISt17integral_constantIbLb0EESW_IbLb1EEEEDaSS_ST_EUlSS_E0_NS1_11comp_targetILNS1_3genE0ELNS1_11target_archE4294967295ELNS1_3gpuE0ELNS1_3repE0EEENS1_30default_config_static_selectorELNS0_4arch9wavefront6targetE1EEEvT1_,@function
_ZN7rocprim17ROCPRIM_400000_NS6detail17trampoline_kernelINS0_14default_configENS1_20scan_config_selectorIsEEZZNS1_9scan_implILNS1_25lookback_scan_determinismE0ELb1ELb1ES3_N6thrust23THRUST_200600_302600_NS6detail15normal_iteratorINS9_10device_ptrIsEEEENS9_16discard_iteratorINS9_11use_defaultEEEsNS9_4plusIvEEsEEDaPvRmT3_T4_T5_mT6_P12ihipStream_tbENKUlT_T0_E_clISt17integral_constantIbLb0EESW_IbLb1EEEEDaSS_ST_EUlSS_E0_NS1_11comp_targetILNS1_3genE0ELNS1_11target_archE4294967295ELNS1_3gpuE0ELNS1_3repE0EEENS1_30default_config_static_selectorELNS0_4arch9wavefront6targetE1EEEvT1_: ; @_ZN7rocprim17ROCPRIM_400000_NS6detail17trampoline_kernelINS0_14default_configENS1_20scan_config_selectorIsEEZZNS1_9scan_implILNS1_25lookback_scan_determinismE0ELb1ELb1ES3_N6thrust23THRUST_200600_302600_NS6detail15normal_iteratorINS9_10device_ptrIsEEEENS9_16discard_iteratorINS9_11use_defaultEEEsNS9_4plusIvEEsEEDaPvRmT3_T4_T5_mT6_P12ihipStream_tbENKUlT_T0_E_clISt17integral_constantIbLb0EESW_IbLb1EEEEDaSS_ST_EUlSS_E0_NS1_11comp_targetILNS1_3genE0ELNS1_11target_archE4294967295ELNS1_3gpuE0ELNS1_3repE0EEENS1_30default_config_static_selectorELNS0_4arch9wavefront6targetE1EEEvT1_
; %bb.0:
	.section	.rodata,"a",@progbits
	.p2align	6, 0x0
	.amdhsa_kernel _ZN7rocprim17ROCPRIM_400000_NS6detail17trampoline_kernelINS0_14default_configENS1_20scan_config_selectorIsEEZZNS1_9scan_implILNS1_25lookback_scan_determinismE0ELb1ELb1ES3_N6thrust23THRUST_200600_302600_NS6detail15normal_iteratorINS9_10device_ptrIsEEEENS9_16discard_iteratorINS9_11use_defaultEEEsNS9_4plusIvEEsEEDaPvRmT3_T4_T5_mT6_P12ihipStream_tbENKUlT_T0_E_clISt17integral_constantIbLb0EESW_IbLb1EEEEDaSS_ST_EUlSS_E0_NS1_11comp_targetILNS1_3genE0ELNS1_11target_archE4294967295ELNS1_3gpuE0ELNS1_3repE0EEENS1_30default_config_static_selectorELNS0_4arch9wavefront6targetE1EEEvT1_
		.amdhsa_group_segment_fixed_size 0
		.amdhsa_private_segment_fixed_size 0
		.amdhsa_kernarg_size 40
		.amdhsa_user_sgpr_count 6
		.amdhsa_user_sgpr_private_segment_buffer 1
		.amdhsa_user_sgpr_dispatch_ptr 0
		.amdhsa_user_sgpr_queue_ptr 0
		.amdhsa_user_sgpr_kernarg_segment_ptr 1
		.amdhsa_user_sgpr_dispatch_id 0
		.amdhsa_user_sgpr_flat_scratch_init 0
		.amdhsa_user_sgpr_kernarg_preload_length 0
		.amdhsa_user_sgpr_kernarg_preload_offset 0
		.amdhsa_user_sgpr_private_segment_size 0
		.amdhsa_uses_dynamic_stack 0
		.amdhsa_system_sgpr_private_segment_wavefront_offset 0
		.amdhsa_system_sgpr_workgroup_id_x 1
		.amdhsa_system_sgpr_workgroup_id_y 0
		.amdhsa_system_sgpr_workgroup_id_z 0
		.amdhsa_system_sgpr_workgroup_info 0
		.amdhsa_system_vgpr_workitem_id 0
		.amdhsa_next_free_vgpr 1
		.amdhsa_next_free_sgpr 0
		.amdhsa_accum_offset 4
		.amdhsa_reserve_vcc 0
		.amdhsa_reserve_flat_scratch 0
		.amdhsa_float_round_mode_32 0
		.amdhsa_float_round_mode_16_64 0
		.amdhsa_float_denorm_mode_32 3
		.amdhsa_float_denorm_mode_16_64 3
		.amdhsa_dx10_clamp 1
		.amdhsa_ieee_mode 1
		.amdhsa_fp16_overflow 0
		.amdhsa_tg_split 0
		.amdhsa_exception_fp_ieee_invalid_op 0
		.amdhsa_exception_fp_denorm_src 0
		.amdhsa_exception_fp_ieee_div_zero 0
		.amdhsa_exception_fp_ieee_overflow 0
		.amdhsa_exception_fp_ieee_underflow 0
		.amdhsa_exception_fp_ieee_inexact 0
		.amdhsa_exception_int_div_zero 0
	.end_amdhsa_kernel
	.section	.text._ZN7rocprim17ROCPRIM_400000_NS6detail17trampoline_kernelINS0_14default_configENS1_20scan_config_selectorIsEEZZNS1_9scan_implILNS1_25lookback_scan_determinismE0ELb1ELb1ES3_N6thrust23THRUST_200600_302600_NS6detail15normal_iteratorINS9_10device_ptrIsEEEENS9_16discard_iteratorINS9_11use_defaultEEEsNS9_4plusIvEEsEEDaPvRmT3_T4_T5_mT6_P12ihipStream_tbENKUlT_T0_E_clISt17integral_constantIbLb0EESW_IbLb1EEEEDaSS_ST_EUlSS_E0_NS1_11comp_targetILNS1_3genE0ELNS1_11target_archE4294967295ELNS1_3gpuE0ELNS1_3repE0EEENS1_30default_config_static_selectorELNS0_4arch9wavefront6targetE1EEEvT1_,"axG",@progbits,_ZN7rocprim17ROCPRIM_400000_NS6detail17trampoline_kernelINS0_14default_configENS1_20scan_config_selectorIsEEZZNS1_9scan_implILNS1_25lookback_scan_determinismE0ELb1ELb1ES3_N6thrust23THRUST_200600_302600_NS6detail15normal_iteratorINS9_10device_ptrIsEEEENS9_16discard_iteratorINS9_11use_defaultEEEsNS9_4plusIvEEsEEDaPvRmT3_T4_T5_mT6_P12ihipStream_tbENKUlT_T0_E_clISt17integral_constantIbLb0EESW_IbLb1EEEEDaSS_ST_EUlSS_E0_NS1_11comp_targetILNS1_3genE0ELNS1_11target_archE4294967295ELNS1_3gpuE0ELNS1_3repE0EEENS1_30default_config_static_selectorELNS0_4arch9wavefront6targetE1EEEvT1_,comdat
.Lfunc_end6005:
	.size	_ZN7rocprim17ROCPRIM_400000_NS6detail17trampoline_kernelINS0_14default_configENS1_20scan_config_selectorIsEEZZNS1_9scan_implILNS1_25lookback_scan_determinismE0ELb1ELb1ES3_N6thrust23THRUST_200600_302600_NS6detail15normal_iteratorINS9_10device_ptrIsEEEENS9_16discard_iteratorINS9_11use_defaultEEEsNS9_4plusIvEEsEEDaPvRmT3_T4_T5_mT6_P12ihipStream_tbENKUlT_T0_E_clISt17integral_constantIbLb0EESW_IbLb1EEEEDaSS_ST_EUlSS_E0_NS1_11comp_targetILNS1_3genE0ELNS1_11target_archE4294967295ELNS1_3gpuE0ELNS1_3repE0EEENS1_30default_config_static_selectorELNS0_4arch9wavefront6targetE1EEEvT1_, .Lfunc_end6005-_ZN7rocprim17ROCPRIM_400000_NS6detail17trampoline_kernelINS0_14default_configENS1_20scan_config_selectorIsEEZZNS1_9scan_implILNS1_25lookback_scan_determinismE0ELb1ELb1ES3_N6thrust23THRUST_200600_302600_NS6detail15normal_iteratorINS9_10device_ptrIsEEEENS9_16discard_iteratorINS9_11use_defaultEEEsNS9_4plusIvEEsEEDaPvRmT3_T4_T5_mT6_P12ihipStream_tbENKUlT_T0_E_clISt17integral_constantIbLb0EESW_IbLb1EEEEDaSS_ST_EUlSS_E0_NS1_11comp_targetILNS1_3genE0ELNS1_11target_archE4294967295ELNS1_3gpuE0ELNS1_3repE0EEENS1_30default_config_static_selectorELNS0_4arch9wavefront6targetE1EEEvT1_
                                        ; -- End function
	.section	.AMDGPU.csdata,"",@progbits
; Kernel info:
; codeLenInByte = 0
; NumSgprs: 4
; NumVgprs: 0
; NumAgprs: 0
; TotalNumVgprs: 0
; ScratchSize: 0
; MemoryBound: 0
; FloatMode: 240
; IeeeMode: 1
; LDSByteSize: 0 bytes/workgroup (compile time only)
; SGPRBlocks: 0
; VGPRBlocks: 0
; NumSGPRsForWavesPerEU: 4
; NumVGPRsForWavesPerEU: 1
; AccumOffset: 4
; Occupancy: 8
; WaveLimiterHint : 0
; COMPUTE_PGM_RSRC2:SCRATCH_EN: 0
; COMPUTE_PGM_RSRC2:USER_SGPR: 6
; COMPUTE_PGM_RSRC2:TRAP_HANDLER: 0
; COMPUTE_PGM_RSRC2:TGID_X_EN: 1
; COMPUTE_PGM_RSRC2:TGID_Y_EN: 0
; COMPUTE_PGM_RSRC2:TGID_Z_EN: 0
; COMPUTE_PGM_RSRC2:TIDIG_COMP_CNT: 0
; COMPUTE_PGM_RSRC3_GFX90A:ACCUM_OFFSET: 0
; COMPUTE_PGM_RSRC3_GFX90A:TG_SPLIT: 0
	.section	.text._ZN7rocprim17ROCPRIM_400000_NS6detail17trampoline_kernelINS0_14default_configENS1_20scan_config_selectorIsEEZZNS1_9scan_implILNS1_25lookback_scan_determinismE0ELb1ELb1ES3_N6thrust23THRUST_200600_302600_NS6detail15normal_iteratorINS9_10device_ptrIsEEEENS9_16discard_iteratorINS9_11use_defaultEEEsNS9_4plusIvEEsEEDaPvRmT3_T4_T5_mT6_P12ihipStream_tbENKUlT_T0_E_clISt17integral_constantIbLb0EESW_IbLb1EEEEDaSS_ST_EUlSS_E0_NS1_11comp_targetILNS1_3genE5ELNS1_11target_archE942ELNS1_3gpuE9ELNS1_3repE0EEENS1_30default_config_static_selectorELNS0_4arch9wavefront6targetE1EEEvT1_,"axG",@progbits,_ZN7rocprim17ROCPRIM_400000_NS6detail17trampoline_kernelINS0_14default_configENS1_20scan_config_selectorIsEEZZNS1_9scan_implILNS1_25lookback_scan_determinismE0ELb1ELb1ES3_N6thrust23THRUST_200600_302600_NS6detail15normal_iteratorINS9_10device_ptrIsEEEENS9_16discard_iteratorINS9_11use_defaultEEEsNS9_4plusIvEEsEEDaPvRmT3_T4_T5_mT6_P12ihipStream_tbENKUlT_T0_E_clISt17integral_constantIbLb0EESW_IbLb1EEEEDaSS_ST_EUlSS_E0_NS1_11comp_targetILNS1_3genE5ELNS1_11target_archE942ELNS1_3gpuE9ELNS1_3repE0EEENS1_30default_config_static_selectorELNS0_4arch9wavefront6targetE1EEEvT1_,comdat
	.protected	_ZN7rocprim17ROCPRIM_400000_NS6detail17trampoline_kernelINS0_14default_configENS1_20scan_config_selectorIsEEZZNS1_9scan_implILNS1_25lookback_scan_determinismE0ELb1ELb1ES3_N6thrust23THRUST_200600_302600_NS6detail15normal_iteratorINS9_10device_ptrIsEEEENS9_16discard_iteratorINS9_11use_defaultEEEsNS9_4plusIvEEsEEDaPvRmT3_T4_T5_mT6_P12ihipStream_tbENKUlT_T0_E_clISt17integral_constantIbLb0EESW_IbLb1EEEEDaSS_ST_EUlSS_E0_NS1_11comp_targetILNS1_3genE5ELNS1_11target_archE942ELNS1_3gpuE9ELNS1_3repE0EEENS1_30default_config_static_selectorELNS0_4arch9wavefront6targetE1EEEvT1_ ; -- Begin function _ZN7rocprim17ROCPRIM_400000_NS6detail17trampoline_kernelINS0_14default_configENS1_20scan_config_selectorIsEEZZNS1_9scan_implILNS1_25lookback_scan_determinismE0ELb1ELb1ES3_N6thrust23THRUST_200600_302600_NS6detail15normal_iteratorINS9_10device_ptrIsEEEENS9_16discard_iteratorINS9_11use_defaultEEEsNS9_4plusIvEEsEEDaPvRmT3_T4_T5_mT6_P12ihipStream_tbENKUlT_T0_E_clISt17integral_constantIbLb0EESW_IbLb1EEEEDaSS_ST_EUlSS_E0_NS1_11comp_targetILNS1_3genE5ELNS1_11target_archE942ELNS1_3gpuE9ELNS1_3repE0EEENS1_30default_config_static_selectorELNS0_4arch9wavefront6targetE1EEEvT1_
	.globl	_ZN7rocprim17ROCPRIM_400000_NS6detail17trampoline_kernelINS0_14default_configENS1_20scan_config_selectorIsEEZZNS1_9scan_implILNS1_25lookback_scan_determinismE0ELb1ELb1ES3_N6thrust23THRUST_200600_302600_NS6detail15normal_iteratorINS9_10device_ptrIsEEEENS9_16discard_iteratorINS9_11use_defaultEEEsNS9_4plusIvEEsEEDaPvRmT3_T4_T5_mT6_P12ihipStream_tbENKUlT_T0_E_clISt17integral_constantIbLb0EESW_IbLb1EEEEDaSS_ST_EUlSS_E0_NS1_11comp_targetILNS1_3genE5ELNS1_11target_archE942ELNS1_3gpuE9ELNS1_3repE0EEENS1_30default_config_static_selectorELNS0_4arch9wavefront6targetE1EEEvT1_
	.p2align	8
	.type	_ZN7rocprim17ROCPRIM_400000_NS6detail17trampoline_kernelINS0_14default_configENS1_20scan_config_selectorIsEEZZNS1_9scan_implILNS1_25lookback_scan_determinismE0ELb1ELb1ES3_N6thrust23THRUST_200600_302600_NS6detail15normal_iteratorINS9_10device_ptrIsEEEENS9_16discard_iteratorINS9_11use_defaultEEEsNS9_4plusIvEEsEEDaPvRmT3_T4_T5_mT6_P12ihipStream_tbENKUlT_T0_E_clISt17integral_constantIbLb0EESW_IbLb1EEEEDaSS_ST_EUlSS_E0_NS1_11comp_targetILNS1_3genE5ELNS1_11target_archE942ELNS1_3gpuE9ELNS1_3repE0EEENS1_30default_config_static_selectorELNS0_4arch9wavefront6targetE1EEEvT1_,@function
_ZN7rocprim17ROCPRIM_400000_NS6detail17trampoline_kernelINS0_14default_configENS1_20scan_config_selectorIsEEZZNS1_9scan_implILNS1_25lookback_scan_determinismE0ELb1ELb1ES3_N6thrust23THRUST_200600_302600_NS6detail15normal_iteratorINS9_10device_ptrIsEEEENS9_16discard_iteratorINS9_11use_defaultEEEsNS9_4plusIvEEsEEDaPvRmT3_T4_T5_mT6_P12ihipStream_tbENKUlT_T0_E_clISt17integral_constantIbLb0EESW_IbLb1EEEEDaSS_ST_EUlSS_E0_NS1_11comp_targetILNS1_3genE5ELNS1_11target_archE942ELNS1_3gpuE9ELNS1_3repE0EEENS1_30default_config_static_selectorELNS0_4arch9wavefront6targetE1EEEvT1_: ; @_ZN7rocprim17ROCPRIM_400000_NS6detail17trampoline_kernelINS0_14default_configENS1_20scan_config_selectorIsEEZZNS1_9scan_implILNS1_25lookback_scan_determinismE0ELb1ELb1ES3_N6thrust23THRUST_200600_302600_NS6detail15normal_iteratorINS9_10device_ptrIsEEEENS9_16discard_iteratorINS9_11use_defaultEEEsNS9_4plusIvEEsEEDaPvRmT3_T4_T5_mT6_P12ihipStream_tbENKUlT_T0_E_clISt17integral_constantIbLb0EESW_IbLb1EEEEDaSS_ST_EUlSS_E0_NS1_11comp_targetILNS1_3genE5ELNS1_11target_archE942ELNS1_3gpuE9ELNS1_3repE0EEENS1_30default_config_static_selectorELNS0_4arch9wavefront6targetE1EEEvT1_
; %bb.0:
	.section	.rodata,"a",@progbits
	.p2align	6, 0x0
	.amdhsa_kernel _ZN7rocprim17ROCPRIM_400000_NS6detail17trampoline_kernelINS0_14default_configENS1_20scan_config_selectorIsEEZZNS1_9scan_implILNS1_25lookback_scan_determinismE0ELb1ELb1ES3_N6thrust23THRUST_200600_302600_NS6detail15normal_iteratorINS9_10device_ptrIsEEEENS9_16discard_iteratorINS9_11use_defaultEEEsNS9_4plusIvEEsEEDaPvRmT3_T4_T5_mT6_P12ihipStream_tbENKUlT_T0_E_clISt17integral_constantIbLb0EESW_IbLb1EEEEDaSS_ST_EUlSS_E0_NS1_11comp_targetILNS1_3genE5ELNS1_11target_archE942ELNS1_3gpuE9ELNS1_3repE0EEENS1_30default_config_static_selectorELNS0_4arch9wavefront6targetE1EEEvT1_
		.amdhsa_group_segment_fixed_size 0
		.amdhsa_private_segment_fixed_size 0
		.amdhsa_kernarg_size 40
		.amdhsa_user_sgpr_count 6
		.amdhsa_user_sgpr_private_segment_buffer 1
		.amdhsa_user_sgpr_dispatch_ptr 0
		.amdhsa_user_sgpr_queue_ptr 0
		.amdhsa_user_sgpr_kernarg_segment_ptr 1
		.amdhsa_user_sgpr_dispatch_id 0
		.amdhsa_user_sgpr_flat_scratch_init 0
		.amdhsa_user_sgpr_kernarg_preload_length 0
		.amdhsa_user_sgpr_kernarg_preload_offset 0
		.amdhsa_user_sgpr_private_segment_size 0
		.amdhsa_uses_dynamic_stack 0
		.amdhsa_system_sgpr_private_segment_wavefront_offset 0
		.amdhsa_system_sgpr_workgroup_id_x 1
		.amdhsa_system_sgpr_workgroup_id_y 0
		.amdhsa_system_sgpr_workgroup_id_z 0
		.amdhsa_system_sgpr_workgroup_info 0
		.amdhsa_system_vgpr_workitem_id 0
		.amdhsa_next_free_vgpr 1
		.amdhsa_next_free_sgpr 0
		.amdhsa_accum_offset 4
		.amdhsa_reserve_vcc 0
		.amdhsa_reserve_flat_scratch 0
		.amdhsa_float_round_mode_32 0
		.amdhsa_float_round_mode_16_64 0
		.amdhsa_float_denorm_mode_32 3
		.amdhsa_float_denorm_mode_16_64 3
		.amdhsa_dx10_clamp 1
		.amdhsa_ieee_mode 1
		.amdhsa_fp16_overflow 0
		.amdhsa_tg_split 0
		.amdhsa_exception_fp_ieee_invalid_op 0
		.amdhsa_exception_fp_denorm_src 0
		.amdhsa_exception_fp_ieee_div_zero 0
		.amdhsa_exception_fp_ieee_overflow 0
		.amdhsa_exception_fp_ieee_underflow 0
		.amdhsa_exception_fp_ieee_inexact 0
		.amdhsa_exception_int_div_zero 0
	.end_amdhsa_kernel
	.section	.text._ZN7rocprim17ROCPRIM_400000_NS6detail17trampoline_kernelINS0_14default_configENS1_20scan_config_selectorIsEEZZNS1_9scan_implILNS1_25lookback_scan_determinismE0ELb1ELb1ES3_N6thrust23THRUST_200600_302600_NS6detail15normal_iteratorINS9_10device_ptrIsEEEENS9_16discard_iteratorINS9_11use_defaultEEEsNS9_4plusIvEEsEEDaPvRmT3_T4_T5_mT6_P12ihipStream_tbENKUlT_T0_E_clISt17integral_constantIbLb0EESW_IbLb1EEEEDaSS_ST_EUlSS_E0_NS1_11comp_targetILNS1_3genE5ELNS1_11target_archE942ELNS1_3gpuE9ELNS1_3repE0EEENS1_30default_config_static_selectorELNS0_4arch9wavefront6targetE1EEEvT1_,"axG",@progbits,_ZN7rocprim17ROCPRIM_400000_NS6detail17trampoline_kernelINS0_14default_configENS1_20scan_config_selectorIsEEZZNS1_9scan_implILNS1_25lookback_scan_determinismE0ELb1ELb1ES3_N6thrust23THRUST_200600_302600_NS6detail15normal_iteratorINS9_10device_ptrIsEEEENS9_16discard_iteratorINS9_11use_defaultEEEsNS9_4plusIvEEsEEDaPvRmT3_T4_T5_mT6_P12ihipStream_tbENKUlT_T0_E_clISt17integral_constantIbLb0EESW_IbLb1EEEEDaSS_ST_EUlSS_E0_NS1_11comp_targetILNS1_3genE5ELNS1_11target_archE942ELNS1_3gpuE9ELNS1_3repE0EEENS1_30default_config_static_selectorELNS0_4arch9wavefront6targetE1EEEvT1_,comdat
.Lfunc_end6006:
	.size	_ZN7rocprim17ROCPRIM_400000_NS6detail17trampoline_kernelINS0_14default_configENS1_20scan_config_selectorIsEEZZNS1_9scan_implILNS1_25lookback_scan_determinismE0ELb1ELb1ES3_N6thrust23THRUST_200600_302600_NS6detail15normal_iteratorINS9_10device_ptrIsEEEENS9_16discard_iteratorINS9_11use_defaultEEEsNS9_4plusIvEEsEEDaPvRmT3_T4_T5_mT6_P12ihipStream_tbENKUlT_T0_E_clISt17integral_constantIbLb0EESW_IbLb1EEEEDaSS_ST_EUlSS_E0_NS1_11comp_targetILNS1_3genE5ELNS1_11target_archE942ELNS1_3gpuE9ELNS1_3repE0EEENS1_30default_config_static_selectorELNS0_4arch9wavefront6targetE1EEEvT1_, .Lfunc_end6006-_ZN7rocprim17ROCPRIM_400000_NS6detail17trampoline_kernelINS0_14default_configENS1_20scan_config_selectorIsEEZZNS1_9scan_implILNS1_25lookback_scan_determinismE0ELb1ELb1ES3_N6thrust23THRUST_200600_302600_NS6detail15normal_iteratorINS9_10device_ptrIsEEEENS9_16discard_iteratorINS9_11use_defaultEEEsNS9_4plusIvEEsEEDaPvRmT3_T4_T5_mT6_P12ihipStream_tbENKUlT_T0_E_clISt17integral_constantIbLb0EESW_IbLb1EEEEDaSS_ST_EUlSS_E0_NS1_11comp_targetILNS1_3genE5ELNS1_11target_archE942ELNS1_3gpuE9ELNS1_3repE0EEENS1_30default_config_static_selectorELNS0_4arch9wavefront6targetE1EEEvT1_
                                        ; -- End function
	.section	.AMDGPU.csdata,"",@progbits
; Kernel info:
; codeLenInByte = 0
; NumSgprs: 4
; NumVgprs: 0
; NumAgprs: 0
; TotalNumVgprs: 0
; ScratchSize: 0
; MemoryBound: 0
; FloatMode: 240
; IeeeMode: 1
; LDSByteSize: 0 bytes/workgroup (compile time only)
; SGPRBlocks: 0
; VGPRBlocks: 0
; NumSGPRsForWavesPerEU: 4
; NumVGPRsForWavesPerEU: 1
; AccumOffset: 4
; Occupancy: 8
; WaveLimiterHint : 0
; COMPUTE_PGM_RSRC2:SCRATCH_EN: 0
; COMPUTE_PGM_RSRC2:USER_SGPR: 6
; COMPUTE_PGM_RSRC2:TRAP_HANDLER: 0
; COMPUTE_PGM_RSRC2:TGID_X_EN: 1
; COMPUTE_PGM_RSRC2:TGID_Y_EN: 0
; COMPUTE_PGM_RSRC2:TGID_Z_EN: 0
; COMPUTE_PGM_RSRC2:TIDIG_COMP_CNT: 0
; COMPUTE_PGM_RSRC3_GFX90A:ACCUM_OFFSET: 0
; COMPUTE_PGM_RSRC3_GFX90A:TG_SPLIT: 0
	.section	.text._ZN7rocprim17ROCPRIM_400000_NS6detail17trampoline_kernelINS0_14default_configENS1_20scan_config_selectorIsEEZZNS1_9scan_implILNS1_25lookback_scan_determinismE0ELb1ELb1ES3_N6thrust23THRUST_200600_302600_NS6detail15normal_iteratorINS9_10device_ptrIsEEEENS9_16discard_iteratorINS9_11use_defaultEEEsNS9_4plusIvEEsEEDaPvRmT3_T4_T5_mT6_P12ihipStream_tbENKUlT_T0_E_clISt17integral_constantIbLb0EESW_IbLb1EEEEDaSS_ST_EUlSS_E0_NS1_11comp_targetILNS1_3genE4ELNS1_11target_archE910ELNS1_3gpuE8ELNS1_3repE0EEENS1_30default_config_static_selectorELNS0_4arch9wavefront6targetE1EEEvT1_,"axG",@progbits,_ZN7rocprim17ROCPRIM_400000_NS6detail17trampoline_kernelINS0_14default_configENS1_20scan_config_selectorIsEEZZNS1_9scan_implILNS1_25lookback_scan_determinismE0ELb1ELb1ES3_N6thrust23THRUST_200600_302600_NS6detail15normal_iteratorINS9_10device_ptrIsEEEENS9_16discard_iteratorINS9_11use_defaultEEEsNS9_4plusIvEEsEEDaPvRmT3_T4_T5_mT6_P12ihipStream_tbENKUlT_T0_E_clISt17integral_constantIbLb0EESW_IbLb1EEEEDaSS_ST_EUlSS_E0_NS1_11comp_targetILNS1_3genE4ELNS1_11target_archE910ELNS1_3gpuE8ELNS1_3repE0EEENS1_30default_config_static_selectorELNS0_4arch9wavefront6targetE1EEEvT1_,comdat
	.protected	_ZN7rocprim17ROCPRIM_400000_NS6detail17trampoline_kernelINS0_14default_configENS1_20scan_config_selectorIsEEZZNS1_9scan_implILNS1_25lookback_scan_determinismE0ELb1ELb1ES3_N6thrust23THRUST_200600_302600_NS6detail15normal_iteratorINS9_10device_ptrIsEEEENS9_16discard_iteratorINS9_11use_defaultEEEsNS9_4plusIvEEsEEDaPvRmT3_T4_T5_mT6_P12ihipStream_tbENKUlT_T0_E_clISt17integral_constantIbLb0EESW_IbLb1EEEEDaSS_ST_EUlSS_E0_NS1_11comp_targetILNS1_3genE4ELNS1_11target_archE910ELNS1_3gpuE8ELNS1_3repE0EEENS1_30default_config_static_selectorELNS0_4arch9wavefront6targetE1EEEvT1_ ; -- Begin function _ZN7rocprim17ROCPRIM_400000_NS6detail17trampoline_kernelINS0_14default_configENS1_20scan_config_selectorIsEEZZNS1_9scan_implILNS1_25lookback_scan_determinismE0ELb1ELb1ES3_N6thrust23THRUST_200600_302600_NS6detail15normal_iteratorINS9_10device_ptrIsEEEENS9_16discard_iteratorINS9_11use_defaultEEEsNS9_4plusIvEEsEEDaPvRmT3_T4_T5_mT6_P12ihipStream_tbENKUlT_T0_E_clISt17integral_constantIbLb0EESW_IbLb1EEEEDaSS_ST_EUlSS_E0_NS1_11comp_targetILNS1_3genE4ELNS1_11target_archE910ELNS1_3gpuE8ELNS1_3repE0EEENS1_30default_config_static_selectorELNS0_4arch9wavefront6targetE1EEEvT1_
	.globl	_ZN7rocprim17ROCPRIM_400000_NS6detail17trampoline_kernelINS0_14default_configENS1_20scan_config_selectorIsEEZZNS1_9scan_implILNS1_25lookback_scan_determinismE0ELb1ELb1ES3_N6thrust23THRUST_200600_302600_NS6detail15normal_iteratorINS9_10device_ptrIsEEEENS9_16discard_iteratorINS9_11use_defaultEEEsNS9_4plusIvEEsEEDaPvRmT3_T4_T5_mT6_P12ihipStream_tbENKUlT_T0_E_clISt17integral_constantIbLb0EESW_IbLb1EEEEDaSS_ST_EUlSS_E0_NS1_11comp_targetILNS1_3genE4ELNS1_11target_archE910ELNS1_3gpuE8ELNS1_3repE0EEENS1_30default_config_static_selectorELNS0_4arch9wavefront6targetE1EEEvT1_
	.p2align	8
	.type	_ZN7rocprim17ROCPRIM_400000_NS6detail17trampoline_kernelINS0_14default_configENS1_20scan_config_selectorIsEEZZNS1_9scan_implILNS1_25lookback_scan_determinismE0ELb1ELb1ES3_N6thrust23THRUST_200600_302600_NS6detail15normal_iteratorINS9_10device_ptrIsEEEENS9_16discard_iteratorINS9_11use_defaultEEEsNS9_4plusIvEEsEEDaPvRmT3_T4_T5_mT6_P12ihipStream_tbENKUlT_T0_E_clISt17integral_constantIbLb0EESW_IbLb1EEEEDaSS_ST_EUlSS_E0_NS1_11comp_targetILNS1_3genE4ELNS1_11target_archE910ELNS1_3gpuE8ELNS1_3repE0EEENS1_30default_config_static_selectorELNS0_4arch9wavefront6targetE1EEEvT1_,@function
_ZN7rocprim17ROCPRIM_400000_NS6detail17trampoline_kernelINS0_14default_configENS1_20scan_config_selectorIsEEZZNS1_9scan_implILNS1_25lookback_scan_determinismE0ELb1ELb1ES3_N6thrust23THRUST_200600_302600_NS6detail15normal_iteratorINS9_10device_ptrIsEEEENS9_16discard_iteratorINS9_11use_defaultEEEsNS9_4plusIvEEsEEDaPvRmT3_T4_T5_mT6_P12ihipStream_tbENKUlT_T0_E_clISt17integral_constantIbLb0EESW_IbLb1EEEEDaSS_ST_EUlSS_E0_NS1_11comp_targetILNS1_3genE4ELNS1_11target_archE910ELNS1_3gpuE8ELNS1_3repE0EEENS1_30default_config_static_selectorELNS0_4arch9wavefront6targetE1EEEvT1_: ; @_ZN7rocprim17ROCPRIM_400000_NS6detail17trampoline_kernelINS0_14default_configENS1_20scan_config_selectorIsEEZZNS1_9scan_implILNS1_25lookback_scan_determinismE0ELb1ELb1ES3_N6thrust23THRUST_200600_302600_NS6detail15normal_iteratorINS9_10device_ptrIsEEEENS9_16discard_iteratorINS9_11use_defaultEEEsNS9_4plusIvEEsEEDaPvRmT3_T4_T5_mT6_P12ihipStream_tbENKUlT_T0_E_clISt17integral_constantIbLb0EESW_IbLb1EEEEDaSS_ST_EUlSS_E0_NS1_11comp_targetILNS1_3genE4ELNS1_11target_archE910ELNS1_3gpuE8ELNS1_3repE0EEENS1_30default_config_static_selectorELNS0_4arch9wavefront6targetE1EEEvT1_
; %bb.0:
	s_load_dwordx4 s[0:3], s[4:5], 0x0
	v_mov_b32_e32 v1, 0
	s_waitcnt lgkmcnt(0)
	global_load_ushort v2, v1, s[0:1]
	v_cmp_gt_u32_e32 vcc, s2, v0
	v_lshlrev_b32_e32 v1, 1, v0
	s_waitcnt vmcnt(0)
	v_mov_b32_e32 v3, v2
	s_and_saveexec_b64 s[6:7], vcc
	s_cbranch_execz .LBB6007_2
; %bb.1:
	global_load_ushort v3, v1, s[0:1]
.LBB6007_2:
	s_or_b64 exec, exec, s[6:7]
	v_or_b32_e32 v4, 64, v0
	v_cmp_gt_u32_e32 vcc, s2, v4
	v_mov_b32_e32 v4, v2
	s_and_saveexec_b64 s[6:7], vcc
	s_cbranch_execz .LBB6007_4
; %bb.3:
	global_load_ushort v4, v1, s[0:1] offset:128
.LBB6007_4:
	s_or_b64 exec, exec, s[6:7]
	v_or_b32_e32 v5, 0x80, v0
	v_cmp_gt_u32_e32 vcc, s2, v5
	v_mov_b32_e32 v5, v2
	s_and_saveexec_b64 s[6:7], vcc
	s_cbranch_execz .LBB6007_6
; %bb.5:
	global_load_ushort v5, v1, s[0:1] offset:256
.LBB6007_6:
	;; [unrolled: 9-line block ×22, first 2 shown]
	s_or_b64 exec, exec, s[6:7]
	s_load_dword s4, s[4:5], 0x10
	v_or_b32_e32 v26, 0x5c0, v0
	v_cmp_gt_u32_e32 vcc, s2, v26
	s_and_saveexec_b64 s[2:3], vcc
	s_cbranch_execz .LBB6007_48
; %bb.47:
	global_load_ushort v2, v1, s[0:1] offset:2944
.LBB6007_48:
	s_or_b64 exec, exec, s[2:3]
	s_waitcnt vmcnt(0)
	ds_write_b16 v1, v3
	ds_write_b16 v1, v4 offset:128
	ds_write_b16 v1, v5 offset:256
	;; [unrolled: 1-line block ×23, first 2 shown]
	v_mad_u32_u24 v2, v0, 46, v1
	s_waitcnt lgkmcnt(0)
	; wave barrier
	s_waitcnt lgkmcnt(0)
	ds_read_b128 v[10:13], v2
	ds_read_b128 v[6:9], v2 offset:16
	ds_read_b128 v[2:5], v2 offset:32
	v_mul_u32_u24_e32 v14, 46, v0
	s_waitcnt lgkmcnt(0)
	v_add_u16_sdwa v15, v10, v10 dst_sel:DWORD dst_unused:UNUSED_PAD src0_sel:WORD_1 src1_sel:DWORD
	v_add_u16_e32 v15, v15, v11
	v_add_u16_sdwa v15, v15, v11 dst_sel:DWORD dst_unused:UNUSED_PAD src0_sel:DWORD src1_sel:WORD_1
	v_add_u16_e32 v15, v15, v12
	v_add_u16_sdwa v15, v15, v12 dst_sel:DWORD dst_unused:UNUSED_PAD src0_sel:DWORD src1_sel:WORD_1
	;; [unrolled: 2-line block ×11, first 2 shown]
	v_mbcnt_lo_u32_b32 v15, -1, 0
	v_mbcnt_hi_u32_b32 v15, -1, v15
	v_and_b32_e32 v17, 15, v15
	v_mov_b32_dpp v18, v16 row_shr:1 row_mask:0xf bank_mask:0xf
	v_cmp_ne_u32_e32 vcc, 0, v17
	v_cndmask_b32_e32 v18, 0, v18, vcc
	v_add_u16_e32 v16, v18, v16
	v_cmp_lt_u32_e32 vcc, 1, v17
	; wave barrier
	s_nop 0
	v_mov_b32_dpp v18, v16 row_shr:2 row_mask:0xf bank_mask:0xf
	v_cndmask_b32_e32 v18, 0, v18, vcc
	v_add_u16_e32 v16, v16, v18
	v_cmp_lt_u32_e32 vcc, 3, v17
	s_nop 0
	v_mov_b32_dpp v18, v16 row_shr:4 row_mask:0xf bank_mask:0xf
	v_cndmask_b32_e32 v18, 0, v18, vcc
	v_add_u16_e32 v16, v16, v18
	v_cmp_lt_u32_e32 vcc, 7, v17
	s_nop 0
	v_mov_b32_dpp v18, v16 row_shr:8 row_mask:0xf bank_mask:0xf
	v_cndmask_b32_e32 v17, 0, v18, vcc
	v_add_u16_e32 v16, v16, v17
	v_and_b32_e32 v18, 16, v15
	v_cmp_ne_u32_e32 vcc, 0, v18
	v_mov_b32_dpp v17, v16 row_bcast:15 row_mask:0xf bank_mask:0xf
	v_cndmask_b32_e32 v17, 0, v17, vcc
	v_add_u16_e32 v16, v16, v17
	v_cmp_lt_u32_e32 vcc, 31, v15
	s_nop 0
	v_mov_b32_dpp v17, v16 row_bcast:31 row_mask:0xf bank_mask:0xf
	v_cndmask_b32_e32 v17, 0, v17, vcc
	v_add_u16_e32 v16, v16, v17
	v_cmp_eq_u32_e32 vcc, 63, v0
	s_and_saveexec_b64 s[0:1], vcc
	s_cbranch_execz .LBB6007_50
; %bb.49:
	v_mov_b32_e32 v17, 0
	ds_write_b16 v17, v16
.LBB6007_50:
	s_or_b64 exec, exec, s[0:1]
	v_add_u32_e32 v17, -1, v15
	v_and_b32_e32 v18, 64, v15
	v_cmp_lt_i32_e32 vcc, v17, v18
	v_cndmask_b32_e32 v17, v17, v15, vcc
	v_add_u16_e32 v16, s4, v16
	v_lshlrev_b32_e32 v17, 2, v17
	ds_bpermute_b32 v16, v17, v16
	v_cmp_eq_u32_e32 vcc, 0, v15
	v_cmp_eq_u32_e64 s[0:1], 0, v0
	v_mov_b32_e32 v0, s4
	s_or_b64 vcc, s[0:1], vcc
	s_waitcnt lgkmcnt(0)
	v_cndmask_b32_e32 v0, v16, v0, vcc
	v_add_u16_e32 v15, v0, v10
	v_add_u16_sdwa v10, v15, v10 dst_sel:DWORD dst_unused:UNUSED_PAD src0_sel:DWORD src1_sel:WORD_1
	v_add_u16_e32 v16, v10, v11
	v_add_u16_sdwa v11, v16, v11 dst_sel:DWORD dst_unused:UNUSED_PAD src0_sel:DWORD src1_sel:WORD_1
	v_add_u16_e32 v17, v11, v12
	v_add_u16_sdwa v12, v17, v12 dst_sel:DWORD dst_unused:UNUSED_PAD src0_sel:DWORD src1_sel:WORD_1
	v_add_u16_e32 v18, v12, v13
	v_add_u16_sdwa v13, v18, v13 dst_sel:DWORD dst_unused:UNUSED_PAD src0_sel:DWORD src1_sel:WORD_1
	v_add_u16_e32 v19, v13, v6
	v_add_u16_sdwa v6, v19, v6 dst_sel:DWORD dst_unused:UNUSED_PAD src0_sel:DWORD src1_sel:WORD_1
	v_add_u16_e32 v20, v6, v7
	v_add_u16_sdwa v7, v20, v7 dst_sel:DWORD dst_unused:UNUSED_PAD src0_sel:DWORD src1_sel:WORD_1
	v_add_u16_e32 v21, v7, v8
	v_add_u16_sdwa v8, v21, v8 dst_sel:DWORD dst_unused:UNUSED_PAD src0_sel:DWORD src1_sel:WORD_1
	v_add_u16_e32 v22, v8, v9
	v_add_u16_sdwa v9, v22, v9 dst_sel:DWORD dst_unused:UNUSED_PAD src0_sel:DWORD src1_sel:WORD_1
	v_add_u16_e32 v23, v9, v2
	v_add_u16_sdwa v24, v23, v2 dst_sel:DWORD dst_unused:UNUSED_PAD src0_sel:DWORD src1_sel:WORD_1
	v_add_u16_e32 v25, v24, v3
	v_add_u16_sdwa v26, v25, v3 dst_sel:DWORD dst_unused:UNUSED_PAD src0_sel:DWORD src1_sel:WORD_1
	v_add_u16_e32 v27, v26, v4
	s_mov_b32 s0, 0x5040100
	v_add_u16_sdwa v4, v27, v4 dst_sel:DWORD dst_unused:UNUSED_PAD src0_sel:DWORD src1_sel:WORD_1
	v_add_u32_e32 v14, v1, v14
	v_perm_b32 v0, v15, v0, s0
	v_perm_b32 v1, v16, v10, s0
	;; [unrolled: 1-line block ×4, first 2 shown]
	s_waitcnt lgkmcnt(0)
	; wave barrier
	v_add_u16_e32 v5, v4, v5
	s_waitcnt lgkmcnt(0)
	; wave barrier
	ds_write_b128 v14, v[0:3]
	v_perm_b32 v0, v19, v13, s0
	v_perm_b32 v1, v20, v6, s0
	;; [unrolled: 1-line block ×4, first 2 shown]
	ds_write_b128 v14, v[0:3] offset:16
	v_perm_b32 v0, v23, v9, s0
	v_perm_b32 v1, v25, v24, s0
	;; [unrolled: 1-line block ×4, first 2 shown]
	ds_write_b128 v14, v[0:3] offset:32
	s_waitcnt lgkmcnt(0)
	; wave barrier
	s_waitcnt lgkmcnt(0)
	s_endpgm
	.section	.rodata,"a",@progbits
	.p2align	6, 0x0
	.amdhsa_kernel _ZN7rocprim17ROCPRIM_400000_NS6detail17trampoline_kernelINS0_14default_configENS1_20scan_config_selectorIsEEZZNS1_9scan_implILNS1_25lookback_scan_determinismE0ELb1ELb1ES3_N6thrust23THRUST_200600_302600_NS6detail15normal_iteratorINS9_10device_ptrIsEEEENS9_16discard_iteratorINS9_11use_defaultEEEsNS9_4plusIvEEsEEDaPvRmT3_T4_T5_mT6_P12ihipStream_tbENKUlT_T0_E_clISt17integral_constantIbLb0EESW_IbLb1EEEEDaSS_ST_EUlSS_E0_NS1_11comp_targetILNS1_3genE4ELNS1_11target_archE910ELNS1_3gpuE8ELNS1_3repE0EEENS1_30default_config_static_selectorELNS0_4arch9wavefront6targetE1EEEvT1_
		.amdhsa_group_segment_fixed_size 3072
		.amdhsa_private_segment_fixed_size 0
		.amdhsa_kernarg_size 40
		.amdhsa_user_sgpr_count 6
		.amdhsa_user_sgpr_private_segment_buffer 1
		.amdhsa_user_sgpr_dispatch_ptr 0
		.amdhsa_user_sgpr_queue_ptr 0
		.amdhsa_user_sgpr_kernarg_segment_ptr 1
		.amdhsa_user_sgpr_dispatch_id 0
		.amdhsa_user_sgpr_flat_scratch_init 0
		.amdhsa_user_sgpr_kernarg_preload_length 0
		.amdhsa_user_sgpr_kernarg_preload_offset 0
		.amdhsa_user_sgpr_private_segment_size 0
		.amdhsa_uses_dynamic_stack 0
		.amdhsa_system_sgpr_private_segment_wavefront_offset 0
		.amdhsa_system_sgpr_workgroup_id_x 1
		.amdhsa_system_sgpr_workgroup_id_y 0
		.amdhsa_system_sgpr_workgroup_id_z 0
		.amdhsa_system_sgpr_workgroup_info 0
		.amdhsa_system_vgpr_workitem_id 0
		.amdhsa_next_free_vgpr 28
		.amdhsa_next_free_sgpr 8
		.amdhsa_accum_offset 28
		.amdhsa_reserve_vcc 1
		.amdhsa_reserve_flat_scratch 0
		.amdhsa_float_round_mode_32 0
		.amdhsa_float_round_mode_16_64 0
		.amdhsa_float_denorm_mode_32 3
		.amdhsa_float_denorm_mode_16_64 3
		.amdhsa_dx10_clamp 1
		.amdhsa_ieee_mode 1
		.amdhsa_fp16_overflow 0
		.amdhsa_tg_split 0
		.amdhsa_exception_fp_ieee_invalid_op 0
		.amdhsa_exception_fp_denorm_src 0
		.amdhsa_exception_fp_ieee_div_zero 0
		.amdhsa_exception_fp_ieee_overflow 0
		.amdhsa_exception_fp_ieee_underflow 0
		.amdhsa_exception_fp_ieee_inexact 0
		.amdhsa_exception_int_div_zero 0
	.end_amdhsa_kernel
	.section	.text._ZN7rocprim17ROCPRIM_400000_NS6detail17trampoline_kernelINS0_14default_configENS1_20scan_config_selectorIsEEZZNS1_9scan_implILNS1_25lookback_scan_determinismE0ELb1ELb1ES3_N6thrust23THRUST_200600_302600_NS6detail15normal_iteratorINS9_10device_ptrIsEEEENS9_16discard_iteratorINS9_11use_defaultEEEsNS9_4plusIvEEsEEDaPvRmT3_T4_T5_mT6_P12ihipStream_tbENKUlT_T0_E_clISt17integral_constantIbLb0EESW_IbLb1EEEEDaSS_ST_EUlSS_E0_NS1_11comp_targetILNS1_3genE4ELNS1_11target_archE910ELNS1_3gpuE8ELNS1_3repE0EEENS1_30default_config_static_selectorELNS0_4arch9wavefront6targetE1EEEvT1_,"axG",@progbits,_ZN7rocprim17ROCPRIM_400000_NS6detail17trampoline_kernelINS0_14default_configENS1_20scan_config_selectorIsEEZZNS1_9scan_implILNS1_25lookback_scan_determinismE0ELb1ELb1ES3_N6thrust23THRUST_200600_302600_NS6detail15normal_iteratorINS9_10device_ptrIsEEEENS9_16discard_iteratorINS9_11use_defaultEEEsNS9_4plusIvEEsEEDaPvRmT3_T4_T5_mT6_P12ihipStream_tbENKUlT_T0_E_clISt17integral_constantIbLb0EESW_IbLb1EEEEDaSS_ST_EUlSS_E0_NS1_11comp_targetILNS1_3genE4ELNS1_11target_archE910ELNS1_3gpuE8ELNS1_3repE0EEENS1_30default_config_static_selectorELNS0_4arch9wavefront6targetE1EEEvT1_,comdat
.Lfunc_end6007:
	.size	_ZN7rocprim17ROCPRIM_400000_NS6detail17trampoline_kernelINS0_14default_configENS1_20scan_config_selectorIsEEZZNS1_9scan_implILNS1_25lookback_scan_determinismE0ELb1ELb1ES3_N6thrust23THRUST_200600_302600_NS6detail15normal_iteratorINS9_10device_ptrIsEEEENS9_16discard_iteratorINS9_11use_defaultEEEsNS9_4plusIvEEsEEDaPvRmT3_T4_T5_mT6_P12ihipStream_tbENKUlT_T0_E_clISt17integral_constantIbLb0EESW_IbLb1EEEEDaSS_ST_EUlSS_E0_NS1_11comp_targetILNS1_3genE4ELNS1_11target_archE910ELNS1_3gpuE8ELNS1_3repE0EEENS1_30default_config_static_selectorELNS0_4arch9wavefront6targetE1EEEvT1_, .Lfunc_end6007-_ZN7rocprim17ROCPRIM_400000_NS6detail17trampoline_kernelINS0_14default_configENS1_20scan_config_selectorIsEEZZNS1_9scan_implILNS1_25lookback_scan_determinismE0ELb1ELb1ES3_N6thrust23THRUST_200600_302600_NS6detail15normal_iteratorINS9_10device_ptrIsEEEENS9_16discard_iteratorINS9_11use_defaultEEEsNS9_4plusIvEEsEEDaPvRmT3_T4_T5_mT6_P12ihipStream_tbENKUlT_T0_E_clISt17integral_constantIbLb0EESW_IbLb1EEEEDaSS_ST_EUlSS_E0_NS1_11comp_targetILNS1_3genE4ELNS1_11target_archE910ELNS1_3gpuE8ELNS1_3repE0EEENS1_30default_config_static_selectorELNS0_4arch9wavefront6targetE1EEEvT1_
                                        ; -- End function
	.section	.AMDGPU.csdata,"",@progbits
; Kernel info:
; codeLenInByte = 1808
; NumSgprs: 12
; NumVgprs: 28
; NumAgprs: 0
; TotalNumVgprs: 28
; ScratchSize: 0
; MemoryBound: 0
; FloatMode: 240
; IeeeMode: 1
; LDSByteSize: 3072 bytes/workgroup (compile time only)
; SGPRBlocks: 1
; VGPRBlocks: 3
; NumSGPRsForWavesPerEU: 12
; NumVGPRsForWavesPerEU: 28
; AccumOffset: 28
; Occupancy: 6
; WaveLimiterHint : 0
; COMPUTE_PGM_RSRC2:SCRATCH_EN: 0
; COMPUTE_PGM_RSRC2:USER_SGPR: 6
; COMPUTE_PGM_RSRC2:TRAP_HANDLER: 0
; COMPUTE_PGM_RSRC2:TGID_X_EN: 1
; COMPUTE_PGM_RSRC2:TGID_Y_EN: 0
; COMPUTE_PGM_RSRC2:TGID_Z_EN: 0
; COMPUTE_PGM_RSRC2:TIDIG_COMP_CNT: 0
; COMPUTE_PGM_RSRC3_GFX90A:ACCUM_OFFSET: 6
; COMPUTE_PGM_RSRC3_GFX90A:TG_SPLIT: 0
	.section	.text._ZN7rocprim17ROCPRIM_400000_NS6detail17trampoline_kernelINS0_14default_configENS1_20scan_config_selectorIsEEZZNS1_9scan_implILNS1_25lookback_scan_determinismE0ELb1ELb1ES3_N6thrust23THRUST_200600_302600_NS6detail15normal_iteratorINS9_10device_ptrIsEEEENS9_16discard_iteratorINS9_11use_defaultEEEsNS9_4plusIvEEsEEDaPvRmT3_T4_T5_mT6_P12ihipStream_tbENKUlT_T0_E_clISt17integral_constantIbLb0EESW_IbLb1EEEEDaSS_ST_EUlSS_E0_NS1_11comp_targetILNS1_3genE3ELNS1_11target_archE908ELNS1_3gpuE7ELNS1_3repE0EEENS1_30default_config_static_selectorELNS0_4arch9wavefront6targetE1EEEvT1_,"axG",@progbits,_ZN7rocprim17ROCPRIM_400000_NS6detail17trampoline_kernelINS0_14default_configENS1_20scan_config_selectorIsEEZZNS1_9scan_implILNS1_25lookback_scan_determinismE0ELb1ELb1ES3_N6thrust23THRUST_200600_302600_NS6detail15normal_iteratorINS9_10device_ptrIsEEEENS9_16discard_iteratorINS9_11use_defaultEEEsNS9_4plusIvEEsEEDaPvRmT3_T4_T5_mT6_P12ihipStream_tbENKUlT_T0_E_clISt17integral_constantIbLb0EESW_IbLb1EEEEDaSS_ST_EUlSS_E0_NS1_11comp_targetILNS1_3genE3ELNS1_11target_archE908ELNS1_3gpuE7ELNS1_3repE0EEENS1_30default_config_static_selectorELNS0_4arch9wavefront6targetE1EEEvT1_,comdat
	.protected	_ZN7rocprim17ROCPRIM_400000_NS6detail17trampoline_kernelINS0_14default_configENS1_20scan_config_selectorIsEEZZNS1_9scan_implILNS1_25lookback_scan_determinismE0ELb1ELb1ES3_N6thrust23THRUST_200600_302600_NS6detail15normal_iteratorINS9_10device_ptrIsEEEENS9_16discard_iteratorINS9_11use_defaultEEEsNS9_4plusIvEEsEEDaPvRmT3_T4_T5_mT6_P12ihipStream_tbENKUlT_T0_E_clISt17integral_constantIbLb0EESW_IbLb1EEEEDaSS_ST_EUlSS_E0_NS1_11comp_targetILNS1_3genE3ELNS1_11target_archE908ELNS1_3gpuE7ELNS1_3repE0EEENS1_30default_config_static_selectorELNS0_4arch9wavefront6targetE1EEEvT1_ ; -- Begin function _ZN7rocprim17ROCPRIM_400000_NS6detail17trampoline_kernelINS0_14default_configENS1_20scan_config_selectorIsEEZZNS1_9scan_implILNS1_25lookback_scan_determinismE0ELb1ELb1ES3_N6thrust23THRUST_200600_302600_NS6detail15normal_iteratorINS9_10device_ptrIsEEEENS9_16discard_iteratorINS9_11use_defaultEEEsNS9_4plusIvEEsEEDaPvRmT3_T4_T5_mT6_P12ihipStream_tbENKUlT_T0_E_clISt17integral_constantIbLb0EESW_IbLb1EEEEDaSS_ST_EUlSS_E0_NS1_11comp_targetILNS1_3genE3ELNS1_11target_archE908ELNS1_3gpuE7ELNS1_3repE0EEENS1_30default_config_static_selectorELNS0_4arch9wavefront6targetE1EEEvT1_
	.globl	_ZN7rocprim17ROCPRIM_400000_NS6detail17trampoline_kernelINS0_14default_configENS1_20scan_config_selectorIsEEZZNS1_9scan_implILNS1_25lookback_scan_determinismE0ELb1ELb1ES3_N6thrust23THRUST_200600_302600_NS6detail15normal_iteratorINS9_10device_ptrIsEEEENS9_16discard_iteratorINS9_11use_defaultEEEsNS9_4plusIvEEsEEDaPvRmT3_T4_T5_mT6_P12ihipStream_tbENKUlT_T0_E_clISt17integral_constantIbLb0EESW_IbLb1EEEEDaSS_ST_EUlSS_E0_NS1_11comp_targetILNS1_3genE3ELNS1_11target_archE908ELNS1_3gpuE7ELNS1_3repE0EEENS1_30default_config_static_selectorELNS0_4arch9wavefront6targetE1EEEvT1_
	.p2align	8
	.type	_ZN7rocprim17ROCPRIM_400000_NS6detail17trampoline_kernelINS0_14default_configENS1_20scan_config_selectorIsEEZZNS1_9scan_implILNS1_25lookback_scan_determinismE0ELb1ELb1ES3_N6thrust23THRUST_200600_302600_NS6detail15normal_iteratorINS9_10device_ptrIsEEEENS9_16discard_iteratorINS9_11use_defaultEEEsNS9_4plusIvEEsEEDaPvRmT3_T4_T5_mT6_P12ihipStream_tbENKUlT_T0_E_clISt17integral_constantIbLb0EESW_IbLb1EEEEDaSS_ST_EUlSS_E0_NS1_11comp_targetILNS1_3genE3ELNS1_11target_archE908ELNS1_3gpuE7ELNS1_3repE0EEENS1_30default_config_static_selectorELNS0_4arch9wavefront6targetE1EEEvT1_,@function
_ZN7rocprim17ROCPRIM_400000_NS6detail17trampoline_kernelINS0_14default_configENS1_20scan_config_selectorIsEEZZNS1_9scan_implILNS1_25lookback_scan_determinismE0ELb1ELb1ES3_N6thrust23THRUST_200600_302600_NS6detail15normal_iteratorINS9_10device_ptrIsEEEENS9_16discard_iteratorINS9_11use_defaultEEEsNS9_4plusIvEEsEEDaPvRmT3_T4_T5_mT6_P12ihipStream_tbENKUlT_T0_E_clISt17integral_constantIbLb0EESW_IbLb1EEEEDaSS_ST_EUlSS_E0_NS1_11comp_targetILNS1_3genE3ELNS1_11target_archE908ELNS1_3gpuE7ELNS1_3repE0EEENS1_30default_config_static_selectorELNS0_4arch9wavefront6targetE1EEEvT1_: ; @_ZN7rocprim17ROCPRIM_400000_NS6detail17trampoline_kernelINS0_14default_configENS1_20scan_config_selectorIsEEZZNS1_9scan_implILNS1_25lookback_scan_determinismE0ELb1ELb1ES3_N6thrust23THRUST_200600_302600_NS6detail15normal_iteratorINS9_10device_ptrIsEEEENS9_16discard_iteratorINS9_11use_defaultEEEsNS9_4plusIvEEsEEDaPvRmT3_T4_T5_mT6_P12ihipStream_tbENKUlT_T0_E_clISt17integral_constantIbLb0EESW_IbLb1EEEEDaSS_ST_EUlSS_E0_NS1_11comp_targetILNS1_3genE3ELNS1_11target_archE908ELNS1_3gpuE7ELNS1_3repE0EEENS1_30default_config_static_selectorELNS0_4arch9wavefront6targetE1EEEvT1_
; %bb.0:
	.section	.rodata,"a",@progbits
	.p2align	6, 0x0
	.amdhsa_kernel _ZN7rocprim17ROCPRIM_400000_NS6detail17trampoline_kernelINS0_14default_configENS1_20scan_config_selectorIsEEZZNS1_9scan_implILNS1_25lookback_scan_determinismE0ELb1ELb1ES3_N6thrust23THRUST_200600_302600_NS6detail15normal_iteratorINS9_10device_ptrIsEEEENS9_16discard_iteratorINS9_11use_defaultEEEsNS9_4plusIvEEsEEDaPvRmT3_T4_T5_mT6_P12ihipStream_tbENKUlT_T0_E_clISt17integral_constantIbLb0EESW_IbLb1EEEEDaSS_ST_EUlSS_E0_NS1_11comp_targetILNS1_3genE3ELNS1_11target_archE908ELNS1_3gpuE7ELNS1_3repE0EEENS1_30default_config_static_selectorELNS0_4arch9wavefront6targetE1EEEvT1_
		.amdhsa_group_segment_fixed_size 0
		.amdhsa_private_segment_fixed_size 0
		.amdhsa_kernarg_size 40
		.amdhsa_user_sgpr_count 6
		.amdhsa_user_sgpr_private_segment_buffer 1
		.amdhsa_user_sgpr_dispatch_ptr 0
		.amdhsa_user_sgpr_queue_ptr 0
		.amdhsa_user_sgpr_kernarg_segment_ptr 1
		.amdhsa_user_sgpr_dispatch_id 0
		.amdhsa_user_sgpr_flat_scratch_init 0
		.amdhsa_user_sgpr_kernarg_preload_length 0
		.amdhsa_user_sgpr_kernarg_preload_offset 0
		.amdhsa_user_sgpr_private_segment_size 0
		.amdhsa_uses_dynamic_stack 0
		.amdhsa_system_sgpr_private_segment_wavefront_offset 0
		.amdhsa_system_sgpr_workgroup_id_x 1
		.amdhsa_system_sgpr_workgroup_id_y 0
		.amdhsa_system_sgpr_workgroup_id_z 0
		.amdhsa_system_sgpr_workgroup_info 0
		.amdhsa_system_vgpr_workitem_id 0
		.amdhsa_next_free_vgpr 1
		.amdhsa_next_free_sgpr 0
		.amdhsa_accum_offset 4
		.amdhsa_reserve_vcc 0
		.amdhsa_reserve_flat_scratch 0
		.amdhsa_float_round_mode_32 0
		.amdhsa_float_round_mode_16_64 0
		.amdhsa_float_denorm_mode_32 3
		.amdhsa_float_denorm_mode_16_64 3
		.amdhsa_dx10_clamp 1
		.amdhsa_ieee_mode 1
		.amdhsa_fp16_overflow 0
		.amdhsa_tg_split 0
		.amdhsa_exception_fp_ieee_invalid_op 0
		.amdhsa_exception_fp_denorm_src 0
		.amdhsa_exception_fp_ieee_div_zero 0
		.amdhsa_exception_fp_ieee_overflow 0
		.amdhsa_exception_fp_ieee_underflow 0
		.amdhsa_exception_fp_ieee_inexact 0
		.amdhsa_exception_int_div_zero 0
	.end_amdhsa_kernel
	.section	.text._ZN7rocprim17ROCPRIM_400000_NS6detail17trampoline_kernelINS0_14default_configENS1_20scan_config_selectorIsEEZZNS1_9scan_implILNS1_25lookback_scan_determinismE0ELb1ELb1ES3_N6thrust23THRUST_200600_302600_NS6detail15normal_iteratorINS9_10device_ptrIsEEEENS9_16discard_iteratorINS9_11use_defaultEEEsNS9_4plusIvEEsEEDaPvRmT3_T4_T5_mT6_P12ihipStream_tbENKUlT_T0_E_clISt17integral_constantIbLb0EESW_IbLb1EEEEDaSS_ST_EUlSS_E0_NS1_11comp_targetILNS1_3genE3ELNS1_11target_archE908ELNS1_3gpuE7ELNS1_3repE0EEENS1_30default_config_static_selectorELNS0_4arch9wavefront6targetE1EEEvT1_,"axG",@progbits,_ZN7rocprim17ROCPRIM_400000_NS6detail17trampoline_kernelINS0_14default_configENS1_20scan_config_selectorIsEEZZNS1_9scan_implILNS1_25lookback_scan_determinismE0ELb1ELb1ES3_N6thrust23THRUST_200600_302600_NS6detail15normal_iteratorINS9_10device_ptrIsEEEENS9_16discard_iteratorINS9_11use_defaultEEEsNS9_4plusIvEEsEEDaPvRmT3_T4_T5_mT6_P12ihipStream_tbENKUlT_T0_E_clISt17integral_constantIbLb0EESW_IbLb1EEEEDaSS_ST_EUlSS_E0_NS1_11comp_targetILNS1_3genE3ELNS1_11target_archE908ELNS1_3gpuE7ELNS1_3repE0EEENS1_30default_config_static_selectorELNS0_4arch9wavefront6targetE1EEEvT1_,comdat
.Lfunc_end6008:
	.size	_ZN7rocprim17ROCPRIM_400000_NS6detail17trampoline_kernelINS0_14default_configENS1_20scan_config_selectorIsEEZZNS1_9scan_implILNS1_25lookback_scan_determinismE0ELb1ELb1ES3_N6thrust23THRUST_200600_302600_NS6detail15normal_iteratorINS9_10device_ptrIsEEEENS9_16discard_iteratorINS9_11use_defaultEEEsNS9_4plusIvEEsEEDaPvRmT3_T4_T5_mT6_P12ihipStream_tbENKUlT_T0_E_clISt17integral_constantIbLb0EESW_IbLb1EEEEDaSS_ST_EUlSS_E0_NS1_11comp_targetILNS1_3genE3ELNS1_11target_archE908ELNS1_3gpuE7ELNS1_3repE0EEENS1_30default_config_static_selectorELNS0_4arch9wavefront6targetE1EEEvT1_, .Lfunc_end6008-_ZN7rocprim17ROCPRIM_400000_NS6detail17trampoline_kernelINS0_14default_configENS1_20scan_config_selectorIsEEZZNS1_9scan_implILNS1_25lookback_scan_determinismE0ELb1ELb1ES3_N6thrust23THRUST_200600_302600_NS6detail15normal_iteratorINS9_10device_ptrIsEEEENS9_16discard_iteratorINS9_11use_defaultEEEsNS9_4plusIvEEsEEDaPvRmT3_T4_T5_mT6_P12ihipStream_tbENKUlT_T0_E_clISt17integral_constantIbLb0EESW_IbLb1EEEEDaSS_ST_EUlSS_E0_NS1_11comp_targetILNS1_3genE3ELNS1_11target_archE908ELNS1_3gpuE7ELNS1_3repE0EEENS1_30default_config_static_selectorELNS0_4arch9wavefront6targetE1EEEvT1_
                                        ; -- End function
	.section	.AMDGPU.csdata,"",@progbits
; Kernel info:
; codeLenInByte = 0
; NumSgprs: 4
; NumVgprs: 0
; NumAgprs: 0
; TotalNumVgprs: 0
; ScratchSize: 0
; MemoryBound: 0
; FloatMode: 240
; IeeeMode: 1
; LDSByteSize: 0 bytes/workgroup (compile time only)
; SGPRBlocks: 0
; VGPRBlocks: 0
; NumSGPRsForWavesPerEU: 4
; NumVGPRsForWavesPerEU: 1
; AccumOffset: 4
; Occupancy: 8
; WaveLimiterHint : 0
; COMPUTE_PGM_RSRC2:SCRATCH_EN: 0
; COMPUTE_PGM_RSRC2:USER_SGPR: 6
; COMPUTE_PGM_RSRC2:TRAP_HANDLER: 0
; COMPUTE_PGM_RSRC2:TGID_X_EN: 1
; COMPUTE_PGM_RSRC2:TGID_Y_EN: 0
; COMPUTE_PGM_RSRC2:TGID_Z_EN: 0
; COMPUTE_PGM_RSRC2:TIDIG_COMP_CNT: 0
; COMPUTE_PGM_RSRC3_GFX90A:ACCUM_OFFSET: 0
; COMPUTE_PGM_RSRC3_GFX90A:TG_SPLIT: 0
	.section	.text._ZN7rocprim17ROCPRIM_400000_NS6detail17trampoline_kernelINS0_14default_configENS1_20scan_config_selectorIsEEZZNS1_9scan_implILNS1_25lookback_scan_determinismE0ELb1ELb1ES3_N6thrust23THRUST_200600_302600_NS6detail15normal_iteratorINS9_10device_ptrIsEEEENS9_16discard_iteratorINS9_11use_defaultEEEsNS9_4plusIvEEsEEDaPvRmT3_T4_T5_mT6_P12ihipStream_tbENKUlT_T0_E_clISt17integral_constantIbLb0EESW_IbLb1EEEEDaSS_ST_EUlSS_E0_NS1_11comp_targetILNS1_3genE2ELNS1_11target_archE906ELNS1_3gpuE6ELNS1_3repE0EEENS1_30default_config_static_selectorELNS0_4arch9wavefront6targetE1EEEvT1_,"axG",@progbits,_ZN7rocprim17ROCPRIM_400000_NS6detail17trampoline_kernelINS0_14default_configENS1_20scan_config_selectorIsEEZZNS1_9scan_implILNS1_25lookback_scan_determinismE0ELb1ELb1ES3_N6thrust23THRUST_200600_302600_NS6detail15normal_iteratorINS9_10device_ptrIsEEEENS9_16discard_iteratorINS9_11use_defaultEEEsNS9_4plusIvEEsEEDaPvRmT3_T4_T5_mT6_P12ihipStream_tbENKUlT_T0_E_clISt17integral_constantIbLb0EESW_IbLb1EEEEDaSS_ST_EUlSS_E0_NS1_11comp_targetILNS1_3genE2ELNS1_11target_archE906ELNS1_3gpuE6ELNS1_3repE0EEENS1_30default_config_static_selectorELNS0_4arch9wavefront6targetE1EEEvT1_,comdat
	.protected	_ZN7rocprim17ROCPRIM_400000_NS6detail17trampoline_kernelINS0_14default_configENS1_20scan_config_selectorIsEEZZNS1_9scan_implILNS1_25lookback_scan_determinismE0ELb1ELb1ES3_N6thrust23THRUST_200600_302600_NS6detail15normal_iteratorINS9_10device_ptrIsEEEENS9_16discard_iteratorINS9_11use_defaultEEEsNS9_4plusIvEEsEEDaPvRmT3_T4_T5_mT6_P12ihipStream_tbENKUlT_T0_E_clISt17integral_constantIbLb0EESW_IbLb1EEEEDaSS_ST_EUlSS_E0_NS1_11comp_targetILNS1_3genE2ELNS1_11target_archE906ELNS1_3gpuE6ELNS1_3repE0EEENS1_30default_config_static_selectorELNS0_4arch9wavefront6targetE1EEEvT1_ ; -- Begin function _ZN7rocprim17ROCPRIM_400000_NS6detail17trampoline_kernelINS0_14default_configENS1_20scan_config_selectorIsEEZZNS1_9scan_implILNS1_25lookback_scan_determinismE0ELb1ELb1ES3_N6thrust23THRUST_200600_302600_NS6detail15normal_iteratorINS9_10device_ptrIsEEEENS9_16discard_iteratorINS9_11use_defaultEEEsNS9_4plusIvEEsEEDaPvRmT3_T4_T5_mT6_P12ihipStream_tbENKUlT_T0_E_clISt17integral_constantIbLb0EESW_IbLb1EEEEDaSS_ST_EUlSS_E0_NS1_11comp_targetILNS1_3genE2ELNS1_11target_archE906ELNS1_3gpuE6ELNS1_3repE0EEENS1_30default_config_static_selectorELNS0_4arch9wavefront6targetE1EEEvT1_
	.globl	_ZN7rocprim17ROCPRIM_400000_NS6detail17trampoline_kernelINS0_14default_configENS1_20scan_config_selectorIsEEZZNS1_9scan_implILNS1_25lookback_scan_determinismE0ELb1ELb1ES3_N6thrust23THRUST_200600_302600_NS6detail15normal_iteratorINS9_10device_ptrIsEEEENS9_16discard_iteratorINS9_11use_defaultEEEsNS9_4plusIvEEsEEDaPvRmT3_T4_T5_mT6_P12ihipStream_tbENKUlT_T0_E_clISt17integral_constantIbLb0EESW_IbLb1EEEEDaSS_ST_EUlSS_E0_NS1_11comp_targetILNS1_3genE2ELNS1_11target_archE906ELNS1_3gpuE6ELNS1_3repE0EEENS1_30default_config_static_selectorELNS0_4arch9wavefront6targetE1EEEvT1_
	.p2align	8
	.type	_ZN7rocprim17ROCPRIM_400000_NS6detail17trampoline_kernelINS0_14default_configENS1_20scan_config_selectorIsEEZZNS1_9scan_implILNS1_25lookback_scan_determinismE0ELb1ELb1ES3_N6thrust23THRUST_200600_302600_NS6detail15normal_iteratorINS9_10device_ptrIsEEEENS9_16discard_iteratorINS9_11use_defaultEEEsNS9_4plusIvEEsEEDaPvRmT3_T4_T5_mT6_P12ihipStream_tbENKUlT_T0_E_clISt17integral_constantIbLb0EESW_IbLb1EEEEDaSS_ST_EUlSS_E0_NS1_11comp_targetILNS1_3genE2ELNS1_11target_archE906ELNS1_3gpuE6ELNS1_3repE0EEENS1_30default_config_static_selectorELNS0_4arch9wavefront6targetE1EEEvT1_,@function
_ZN7rocprim17ROCPRIM_400000_NS6detail17trampoline_kernelINS0_14default_configENS1_20scan_config_selectorIsEEZZNS1_9scan_implILNS1_25lookback_scan_determinismE0ELb1ELb1ES3_N6thrust23THRUST_200600_302600_NS6detail15normal_iteratorINS9_10device_ptrIsEEEENS9_16discard_iteratorINS9_11use_defaultEEEsNS9_4plusIvEEsEEDaPvRmT3_T4_T5_mT6_P12ihipStream_tbENKUlT_T0_E_clISt17integral_constantIbLb0EESW_IbLb1EEEEDaSS_ST_EUlSS_E0_NS1_11comp_targetILNS1_3genE2ELNS1_11target_archE906ELNS1_3gpuE6ELNS1_3repE0EEENS1_30default_config_static_selectorELNS0_4arch9wavefront6targetE1EEEvT1_: ; @_ZN7rocprim17ROCPRIM_400000_NS6detail17trampoline_kernelINS0_14default_configENS1_20scan_config_selectorIsEEZZNS1_9scan_implILNS1_25lookback_scan_determinismE0ELb1ELb1ES3_N6thrust23THRUST_200600_302600_NS6detail15normal_iteratorINS9_10device_ptrIsEEEENS9_16discard_iteratorINS9_11use_defaultEEEsNS9_4plusIvEEsEEDaPvRmT3_T4_T5_mT6_P12ihipStream_tbENKUlT_T0_E_clISt17integral_constantIbLb0EESW_IbLb1EEEEDaSS_ST_EUlSS_E0_NS1_11comp_targetILNS1_3genE2ELNS1_11target_archE906ELNS1_3gpuE6ELNS1_3repE0EEENS1_30default_config_static_selectorELNS0_4arch9wavefront6targetE1EEEvT1_
; %bb.0:
	.section	.rodata,"a",@progbits
	.p2align	6, 0x0
	.amdhsa_kernel _ZN7rocprim17ROCPRIM_400000_NS6detail17trampoline_kernelINS0_14default_configENS1_20scan_config_selectorIsEEZZNS1_9scan_implILNS1_25lookback_scan_determinismE0ELb1ELb1ES3_N6thrust23THRUST_200600_302600_NS6detail15normal_iteratorINS9_10device_ptrIsEEEENS9_16discard_iteratorINS9_11use_defaultEEEsNS9_4plusIvEEsEEDaPvRmT3_T4_T5_mT6_P12ihipStream_tbENKUlT_T0_E_clISt17integral_constantIbLb0EESW_IbLb1EEEEDaSS_ST_EUlSS_E0_NS1_11comp_targetILNS1_3genE2ELNS1_11target_archE906ELNS1_3gpuE6ELNS1_3repE0EEENS1_30default_config_static_selectorELNS0_4arch9wavefront6targetE1EEEvT1_
		.amdhsa_group_segment_fixed_size 0
		.amdhsa_private_segment_fixed_size 0
		.amdhsa_kernarg_size 40
		.amdhsa_user_sgpr_count 6
		.amdhsa_user_sgpr_private_segment_buffer 1
		.amdhsa_user_sgpr_dispatch_ptr 0
		.amdhsa_user_sgpr_queue_ptr 0
		.amdhsa_user_sgpr_kernarg_segment_ptr 1
		.amdhsa_user_sgpr_dispatch_id 0
		.amdhsa_user_sgpr_flat_scratch_init 0
		.amdhsa_user_sgpr_kernarg_preload_length 0
		.amdhsa_user_sgpr_kernarg_preload_offset 0
		.amdhsa_user_sgpr_private_segment_size 0
		.amdhsa_uses_dynamic_stack 0
		.amdhsa_system_sgpr_private_segment_wavefront_offset 0
		.amdhsa_system_sgpr_workgroup_id_x 1
		.amdhsa_system_sgpr_workgroup_id_y 0
		.amdhsa_system_sgpr_workgroup_id_z 0
		.amdhsa_system_sgpr_workgroup_info 0
		.amdhsa_system_vgpr_workitem_id 0
		.amdhsa_next_free_vgpr 1
		.amdhsa_next_free_sgpr 0
		.amdhsa_accum_offset 4
		.amdhsa_reserve_vcc 0
		.amdhsa_reserve_flat_scratch 0
		.amdhsa_float_round_mode_32 0
		.amdhsa_float_round_mode_16_64 0
		.amdhsa_float_denorm_mode_32 3
		.amdhsa_float_denorm_mode_16_64 3
		.amdhsa_dx10_clamp 1
		.amdhsa_ieee_mode 1
		.amdhsa_fp16_overflow 0
		.amdhsa_tg_split 0
		.amdhsa_exception_fp_ieee_invalid_op 0
		.amdhsa_exception_fp_denorm_src 0
		.amdhsa_exception_fp_ieee_div_zero 0
		.amdhsa_exception_fp_ieee_overflow 0
		.amdhsa_exception_fp_ieee_underflow 0
		.amdhsa_exception_fp_ieee_inexact 0
		.amdhsa_exception_int_div_zero 0
	.end_amdhsa_kernel
	.section	.text._ZN7rocprim17ROCPRIM_400000_NS6detail17trampoline_kernelINS0_14default_configENS1_20scan_config_selectorIsEEZZNS1_9scan_implILNS1_25lookback_scan_determinismE0ELb1ELb1ES3_N6thrust23THRUST_200600_302600_NS6detail15normal_iteratorINS9_10device_ptrIsEEEENS9_16discard_iteratorINS9_11use_defaultEEEsNS9_4plusIvEEsEEDaPvRmT3_T4_T5_mT6_P12ihipStream_tbENKUlT_T0_E_clISt17integral_constantIbLb0EESW_IbLb1EEEEDaSS_ST_EUlSS_E0_NS1_11comp_targetILNS1_3genE2ELNS1_11target_archE906ELNS1_3gpuE6ELNS1_3repE0EEENS1_30default_config_static_selectorELNS0_4arch9wavefront6targetE1EEEvT1_,"axG",@progbits,_ZN7rocprim17ROCPRIM_400000_NS6detail17trampoline_kernelINS0_14default_configENS1_20scan_config_selectorIsEEZZNS1_9scan_implILNS1_25lookback_scan_determinismE0ELb1ELb1ES3_N6thrust23THRUST_200600_302600_NS6detail15normal_iteratorINS9_10device_ptrIsEEEENS9_16discard_iteratorINS9_11use_defaultEEEsNS9_4plusIvEEsEEDaPvRmT3_T4_T5_mT6_P12ihipStream_tbENKUlT_T0_E_clISt17integral_constantIbLb0EESW_IbLb1EEEEDaSS_ST_EUlSS_E0_NS1_11comp_targetILNS1_3genE2ELNS1_11target_archE906ELNS1_3gpuE6ELNS1_3repE0EEENS1_30default_config_static_selectorELNS0_4arch9wavefront6targetE1EEEvT1_,comdat
.Lfunc_end6009:
	.size	_ZN7rocprim17ROCPRIM_400000_NS6detail17trampoline_kernelINS0_14default_configENS1_20scan_config_selectorIsEEZZNS1_9scan_implILNS1_25lookback_scan_determinismE0ELb1ELb1ES3_N6thrust23THRUST_200600_302600_NS6detail15normal_iteratorINS9_10device_ptrIsEEEENS9_16discard_iteratorINS9_11use_defaultEEEsNS9_4plusIvEEsEEDaPvRmT3_T4_T5_mT6_P12ihipStream_tbENKUlT_T0_E_clISt17integral_constantIbLb0EESW_IbLb1EEEEDaSS_ST_EUlSS_E0_NS1_11comp_targetILNS1_3genE2ELNS1_11target_archE906ELNS1_3gpuE6ELNS1_3repE0EEENS1_30default_config_static_selectorELNS0_4arch9wavefront6targetE1EEEvT1_, .Lfunc_end6009-_ZN7rocprim17ROCPRIM_400000_NS6detail17trampoline_kernelINS0_14default_configENS1_20scan_config_selectorIsEEZZNS1_9scan_implILNS1_25lookback_scan_determinismE0ELb1ELb1ES3_N6thrust23THRUST_200600_302600_NS6detail15normal_iteratorINS9_10device_ptrIsEEEENS9_16discard_iteratorINS9_11use_defaultEEEsNS9_4plusIvEEsEEDaPvRmT3_T4_T5_mT6_P12ihipStream_tbENKUlT_T0_E_clISt17integral_constantIbLb0EESW_IbLb1EEEEDaSS_ST_EUlSS_E0_NS1_11comp_targetILNS1_3genE2ELNS1_11target_archE906ELNS1_3gpuE6ELNS1_3repE0EEENS1_30default_config_static_selectorELNS0_4arch9wavefront6targetE1EEEvT1_
                                        ; -- End function
	.section	.AMDGPU.csdata,"",@progbits
; Kernel info:
; codeLenInByte = 0
; NumSgprs: 4
; NumVgprs: 0
; NumAgprs: 0
; TotalNumVgprs: 0
; ScratchSize: 0
; MemoryBound: 0
; FloatMode: 240
; IeeeMode: 1
; LDSByteSize: 0 bytes/workgroup (compile time only)
; SGPRBlocks: 0
; VGPRBlocks: 0
; NumSGPRsForWavesPerEU: 4
; NumVGPRsForWavesPerEU: 1
; AccumOffset: 4
; Occupancy: 8
; WaveLimiterHint : 0
; COMPUTE_PGM_RSRC2:SCRATCH_EN: 0
; COMPUTE_PGM_RSRC2:USER_SGPR: 6
; COMPUTE_PGM_RSRC2:TRAP_HANDLER: 0
; COMPUTE_PGM_RSRC2:TGID_X_EN: 1
; COMPUTE_PGM_RSRC2:TGID_Y_EN: 0
; COMPUTE_PGM_RSRC2:TGID_Z_EN: 0
; COMPUTE_PGM_RSRC2:TIDIG_COMP_CNT: 0
; COMPUTE_PGM_RSRC3_GFX90A:ACCUM_OFFSET: 0
; COMPUTE_PGM_RSRC3_GFX90A:TG_SPLIT: 0
	.section	.text._ZN7rocprim17ROCPRIM_400000_NS6detail17trampoline_kernelINS0_14default_configENS1_20scan_config_selectorIsEEZZNS1_9scan_implILNS1_25lookback_scan_determinismE0ELb1ELb1ES3_N6thrust23THRUST_200600_302600_NS6detail15normal_iteratorINS9_10device_ptrIsEEEENS9_16discard_iteratorINS9_11use_defaultEEEsNS9_4plusIvEEsEEDaPvRmT3_T4_T5_mT6_P12ihipStream_tbENKUlT_T0_E_clISt17integral_constantIbLb0EESW_IbLb1EEEEDaSS_ST_EUlSS_E0_NS1_11comp_targetILNS1_3genE10ELNS1_11target_archE1201ELNS1_3gpuE5ELNS1_3repE0EEENS1_30default_config_static_selectorELNS0_4arch9wavefront6targetE1EEEvT1_,"axG",@progbits,_ZN7rocprim17ROCPRIM_400000_NS6detail17trampoline_kernelINS0_14default_configENS1_20scan_config_selectorIsEEZZNS1_9scan_implILNS1_25lookback_scan_determinismE0ELb1ELb1ES3_N6thrust23THRUST_200600_302600_NS6detail15normal_iteratorINS9_10device_ptrIsEEEENS9_16discard_iteratorINS9_11use_defaultEEEsNS9_4plusIvEEsEEDaPvRmT3_T4_T5_mT6_P12ihipStream_tbENKUlT_T0_E_clISt17integral_constantIbLb0EESW_IbLb1EEEEDaSS_ST_EUlSS_E0_NS1_11comp_targetILNS1_3genE10ELNS1_11target_archE1201ELNS1_3gpuE5ELNS1_3repE0EEENS1_30default_config_static_selectorELNS0_4arch9wavefront6targetE1EEEvT1_,comdat
	.protected	_ZN7rocprim17ROCPRIM_400000_NS6detail17trampoline_kernelINS0_14default_configENS1_20scan_config_selectorIsEEZZNS1_9scan_implILNS1_25lookback_scan_determinismE0ELb1ELb1ES3_N6thrust23THRUST_200600_302600_NS6detail15normal_iteratorINS9_10device_ptrIsEEEENS9_16discard_iteratorINS9_11use_defaultEEEsNS9_4plusIvEEsEEDaPvRmT3_T4_T5_mT6_P12ihipStream_tbENKUlT_T0_E_clISt17integral_constantIbLb0EESW_IbLb1EEEEDaSS_ST_EUlSS_E0_NS1_11comp_targetILNS1_3genE10ELNS1_11target_archE1201ELNS1_3gpuE5ELNS1_3repE0EEENS1_30default_config_static_selectorELNS0_4arch9wavefront6targetE1EEEvT1_ ; -- Begin function _ZN7rocprim17ROCPRIM_400000_NS6detail17trampoline_kernelINS0_14default_configENS1_20scan_config_selectorIsEEZZNS1_9scan_implILNS1_25lookback_scan_determinismE0ELb1ELb1ES3_N6thrust23THRUST_200600_302600_NS6detail15normal_iteratorINS9_10device_ptrIsEEEENS9_16discard_iteratorINS9_11use_defaultEEEsNS9_4plusIvEEsEEDaPvRmT3_T4_T5_mT6_P12ihipStream_tbENKUlT_T0_E_clISt17integral_constantIbLb0EESW_IbLb1EEEEDaSS_ST_EUlSS_E0_NS1_11comp_targetILNS1_3genE10ELNS1_11target_archE1201ELNS1_3gpuE5ELNS1_3repE0EEENS1_30default_config_static_selectorELNS0_4arch9wavefront6targetE1EEEvT1_
	.globl	_ZN7rocprim17ROCPRIM_400000_NS6detail17trampoline_kernelINS0_14default_configENS1_20scan_config_selectorIsEEZZNS1_9scan_implILNS1_25lookback_scan_determinismE0ELb1ELb1ES3_N6thrust23THRUST_200600_302600_NS6detail15normal_iteratorINS9_10device_ptrIsEEEENS9_16discard_iteratorINS9_11use_defaultEEEsNS9_4plusIvEEsEEDaPvRmT3_T4_T5_mT6_P12ihipStream_tbENKUlT_T0_E_clISt17integral_constantIbLb0EESW_IbLb1EEEEDaSS_ST_EUlSS_E0_NS1_11comp_targetILNS1_3genE10ELNS1_11target_archE1201ELNS1_3gpuE5ELNS1_3repE0EEENS1_30default_config_static_selectorELNS0_4arch9wavefront6targetE1EEEvT1_
	.p2align	8
	.type	_ZN7rocprim17ROCPRIM_400000_NS6detail17trampoline_kernelINS0_14default_configENS1_20scan_config_selectorIsEEZZNS1_9scan_implILNS1_25lookback_scan_determinismE0ELb1ELb1ES3_N6thrust23THRUST_200600_302600_NS6detail15normal_iteratorINS9_10device_ptrIsEEEENS9_16discard_iteratorINS9_11use_defaultEEEsNS9_4plusIvEEsEEDaPvRmT3_T4_T5_mT6_P12ihipStream_tbENKUlT_T0_E_clISt17integral_constantIbLb0EESW_IbLb1EEEEDaSS_ST_EUlSS_E0_NS1_11comp_targetILNS1_3genE10ELNS1_11target_archE1201ELNS1_3gpuE5ELNS1_3repE0EEENS1_30default_config_static_selectorELNS0_4arch9wavefront6targetE1EEEvT1_,@function
_ZN7rocprim17ROCPRIM_400000_NS6detail17trampoline_kernelINS0_14default_configENS1_20scan_config_selectorIsEEZZNS1_9scan_implILNS1_25lookback_scan_determinismE0ELb1ELb1ES3_N6thrust23THRUST_200600_302600_NS6detail15normal_iteratorINS9_10device_ptrIsEEEENS9_16discard_iteratorINS9_11use_defaultEEEsNS9_4plusIvEEsEEDaPvRmT3_T4_T5_mT6_P12ihipStream_tbENKUlT_T0_E_clISt17integral_constantIbLb0EESW_IbLb1EEEEDaSS_ST_EUlSS_E0_NS1_11comp_targetILNS1_3genE10ELNS1_11target_archE1201ELNS1_3gpuE5ELNS1_3repE0EEENS1_30default_config_static_selectorELNS0_4arch9wavefront6targetE1EEEvT1_: ; @_ZN7rocprim17ROCPRIM_400000_NS6detail17trampoline_kernelINS0_14default_configENS1_20scan_config_selectorIsEEZZNS1_9scan_implILNS1_25lookback_scan_determinismE0ELb1ELb1ES3_N6thrust23THRUST_200600_302600_NS6detail15normal_iteratorINS9_10device_ptrIsEEEENS9_16discard_iteratorINS9_11use_defaultEEEsNS9_4plusIvEEsEEDaPvRmT3_T4_T5_mT6_P12ihipStream_tbENKUlT_T0_E_clISt17integral_constantIbLb0EESW_IbLb1EEEEDaSS_ST_EUlSS_E0_NS1_11comp_targetILNS1_3genE10ELNS1_11target_archE1201ELNS1_3gpuE5ELNS1_3repE0EEENS1_30default_config_static_selectorELNS0_4arch9wavefront6targetE1EEEvT1_
; %bb.0:
	.section	.rodata,"a",@progbits
	.p2align	6, 0x0
	.amdhsa_kernel _ZN7rocprim17ROCPRIM_400000_NS6detail17trampoline_kernelINS0_14default_configENS1_20scan_config_selectorIsEEZZNS1_9scan_implILNS1_25lookback_scan_determinismE0ELb1ELb1ES3_N6thrust23THRUST_200600_302600_NS6detail15normal_iteratorINS9_10device_ptrIsEEEENS9_16discard_iteratorINS9_11use_defaultEEEsNS9_4plusIvEEsEEDaPvRmT3_T4_T5_mT6_P12ihipStream_tbENKUlT_T0_E_clISt17integral_constantIbLb0EESW_IbLb1EEEEDaSS_ST_EUlSS_E0_NS1_11comp_targetILNS1_3genE10ELNS1_11target_archE1201ELNS1_3gpuE5ELNS1_3repE0EEENS1_30default_config_static_selectorELNS0_4arch9wavefront6targetE1EEEvT1_
		.amdhsa_group_segment_fixed_size 0
		.amdhsa_private_segment_fixed_size 0
		.amdhsa_kernarg_size 40
		.amdhsa_user_sgpr_count 6
		.amdhsa_user_sgpr_private_segment_buffer 1
		.amdhsa_user_sgpr_dispatch_ptr 0
		.amdhsa_user_sgpr_queue_ptr 0
		.amdhsa_user_sgpr_kernarg_segment_ptr 1
		.amdhsa_user_sgpr_dispatch_id 0
		.amdhsa_user_sgpr_flat_scratch_init 0
		.amdhsa_user_sgpr_kernarg_preload_length 0
		.amdhsa_user_sgpr_kernarg_preload_offset 0
		.amdhsa_user_sgpr_private_segment_size 0
		.amdhsa_uses_dynamic_stack 0
		.amdhsa_system_sgpr_private_segment_wavefront_offset 0
		.amdhsa_system_sgpr_workgroup_id_x 1
		.amdhsa_system_sgpr_workgroup_id_y 0
		.amdhsa_system_sgpr_workgroup_id_z 0
		.amdhsa_system_sgpr_workgroup_info 0
		.amdhsa_system_vgpr_workitem_id 0
		.amdhsa_next_free_vgpr 1
		.amdhsa_next_free_sgpr 0
		.amdhsa_accum_offset 4
		.amdhsa_reserve_vcc 0
		.amdhsa_reserve_flat_scratch 0
		.amdhsa_float_round_mode_32 0
		.amdhsa_float_round_mode_16_64 0
		.amdhsa_float_denorm_mode_32 3
		.amdhsa_float_denorm_mode_16_64 3
		.amdhsa_dx10_clamp 1
		.amdhsa_ieee_mode 1
		.amdhsa_fp16_overflow 0
		.amdhsa_tg_split 0
		.amdhsa_exception_fp_ieee_invalid_op 0
		.amdhsa_exception_fp_denorm_src 0
		.amdhsa_exception_fp_ieee_div_zero 0
		.amdhsa_exception_fp_ieee_overflow 0
		.amdhsa_exception_fp_ieee_underflow 0
		.amdhsa_exception_fp_ieee_inexact 0
		.amdhsa_exception_int_div_zero 0
	.end_amdhsa_kernel
	.section	.text._ZN7rocprim17ROCPRIM_400000_NS6detail17trampoline_kernelINS0_14default_configENS1_20scan_config_selectorIsEEZZNS1_9scan_implILNS1_25lookback_scan_determinismE0ELb1ELb1ES3_N6thrust23THRUST_200600_302600_NS6detail15normal_iteratorINS9_10device_ptrIsEEEENS9_16discard_iteratorINS9_11use_defaultEEEsNS9_4plusIvEEsEEDaPvRmT3_T4_T5_mT6_P12ihipStream_tbENKUlT_T0_E_clISt17integral_constantIbLb0EESW_IbLb1EEEEDaSS_ST_EUlSS_E0_NS1_11comp_targetILNS1_3genE10ELNS1_11target_archE1201ELNS1_3gpuE5ELNS1_3repE0EEENS1_30default_config_static_selectorELNS0_4arch9wavefront6targetE1EEEvT1_,"axG",@progbits,_ZN7rocprim17ROCPRIM_400000_NS6detail17trampoline_kernelINS0_14default_configENS1_20scan_config_selectorIsEEZZNS1_9scan_implILNS1_25lookback_scan_determinismE0ELb1ELb1ES3_N6thrust23THRUST_200600_302600_NS6detail15normal_iteratorINS9_10device_ptrIsEEEENS9_16discard_iteratorINS9_11use_defaultEEEsNS9_4plusIvEEsEEDaPvRmT3_T4_T5_mT6_P12ihipStream_tbENKUlT_T0_E_clISt17integral_constantIbLb0EESW_IbLb1EEEEDaSS_ST_EUlSS_E0_NS1_11comp_targetILNS1_3genE10ELNS1_11target_archE1201ELNS1_3gpuE5ELNS1_3repE0EEENS1_30default_config_static_selectorELNS0_4arch9wavefront6targetE1EEEvT1_,comdat
.Lfunc_end6010:
	.size	_ZN7rocprim17ROCPRIM_400000_NS6detail17trampoline_kernelINS0_14default_configENS1_20scan_config_selectorIsEEZZNS1_9scan_implILNS1_25lookback_scan_determinismE0ELb1ELb1ES3_N6thrust23THRUST_200600_302600_NS6detail15normal_iteratorINS9_10device_ptrIsEEEENS9_16discard_iteratorINS9_11use_defaultEEEsNS9_4plusIvEEsEEDaPvRmT3_T4_T5_mT6_P12ihipStream_tbENKUlT_T0_E_clISt17integral_constantIbLb0EESW_IbLb1EEEEDaSS_ST_EUlSS_E0_NS1_11comp_targetILNS1_3genE10ELNS1_11target_archE1201ELNS1_3gpuE5ELNS1_3repE0EEENS1_30default_config_static_selectorELNS0_4arch9wavefront6targetE1EEEvT1_, .Lfunc_end6010-_ZN7rocprim17ROCPRIM_400000_NS6detail17trampoline_kernelINS0_14default_configENS1_20scan_config_selectorIsEEZZNS1_9scan_implILNS1_25lookback_scan_determinismE0ELb1ELb1ES3_N6thrust23THRUST_200600_302600_NS6detail15normal_iteratorINS9_10device_ptrIsEEEENS9_16discard_iteratorINS9_11use_defaultEEEsNS9_4plusIvEEsEEDaPvRmT3_T4_T5_mT6_P12ihipStream_tbENKUlT_T0_E_clISt17integral_constantIbLb0EESW_IbLb1EEEEDaSS_ST_EUlSS_E0_NS1_11comp_targetILNS1_3genE10ELNS1_11target_archE1201ELNS1_3gpuE5ELNS1_3repE0EEENS1_30default_config_static_selectorELNS0_4arch9wavefront6targetE1EEEvT1_
                                        ; -- End function
	.section	.AMDGPU.csdata,"",@progbits
; Kernel info:
; codeLenInByte = 0
; NumSgprs: 4
; NumVgprs: 0
; NumAgprs: 0
; TotalNumVgprs: 0
; ScratchSize: 0
; MemoryBound: 0
; FloatMode: 240
; IeeeMode: 1
; LDSByteSize: 0 bytes/workgroup (compile time only)
; SGPRBlocks: 0
; VGPRBlocks: 0
; NumSGPRsForWavesPerEU: 4
; NumVGPRsForWavesPerEU: 1
; AccumOffset: 4
; Occupancy: 8
; WaveLimiterHint : 0
; COMPUTE_PGM_RSRC2:SCRATCH_EN: 0
; COMPUTE_PGM_RSRC2:USER_SGPR: 6
; COMPUTE_PGM_RSRC2:TRAP_HANDLER: 0
; COMPUTE_PGM_RSRC2:TGID_X_EN: 1
; COMPUTE_PGM_RSRC2:TGID_Y_EN: 0
; COMPUTE_PGM_RSRC2:TGID_Z_EN: 0
; COMPUTE_PGM_RSRC2:TIDIG_COMP_CNT: 0
; COMPUTE_PGM_RSRC3_GFX90A:ACCUM_OFFSET: 0
; COMPUTE_PGM_RSRC3_GFX90A:TG_SPLIT: 0
	.section	.text._ZN7rocprim17ROCPRIM_400000_NS6detail17trampoline_kernelINS0_14default_configENS1_20scan_config_selectorIsEEZZNS1_9scan_implILNS1_25lookback_scan_determinismE0ELb1ELb1ES3_N6thrust23THRUST_200600_302600_NS6detail15normal_iteratorINS9_10device_ptrIsEEEENS9_16discard_iteratorINS9_11use_defaultEEEsNS9_4plusIvEEsEEDaPvRmT3_T4_T5_mT6_P12ihipStream_tbENKUlT_T0_E_clISt17integral_constantIbLb0EESW_IbLb1EEEEDaSS_ST_EUlSS_E0_NS1_11comp_targetILNS1_3genE10ELNS1_11target_archE1200ELNS1_3gpuE4ELNS1_3repE0EEENS1_30default_config_static_selectorELNS0_4arch9wavefront6targetE1EEEvT1_,"axG",@progbits,_ZN7rocprim17ROCPRIM_400000_NS6detail17trampoline_kernelINS0_14default_configENS1_20scan_config_selectorIsEEZZNS1_9scan_implILNS1_25lookback_scan_determinismE0ELb1ELb1ES3_N6thrust23THRUST_200600_302600_NS6detail15normal_iteratorINS9_10device_ptrIsEEEENS9_16discard_iteratorINS9_11use_defaultEEEsNS9_4plusIvEEsEEDaPvRmT3_T4_T5_mT6_P12ihipStream_tbENKUlT_T0_E_clISt17integral_constantIbLb0EESW_IbLb1EEEEDaSS_ST_EUlSS_E0_NS1_11comp_targetILNS1_3genE10ELNS1_11target_archE1200ELNS1_3gpuE4ELNS1_3repE0EEENS1_30default_config_static_selectorELNS0_4arch9wavefront6targetE1EEEvT1_,comdat
	.protected	_ZN7rocprim17ROCPRIM_400000_NS6detail17trampoline_kernelINS0_14default_configENS1_20scan_config_selectorIsEEZZNS1_9scan_implILNS1_25lookback_scan_determinismE0ELb1ELb1ES3_N6thrust23THRUST_200600_302600_NS6detail15normal_iteratorINS9_10device_ptrIsEEEENS9_16discard_iteratorINS9_11use_defaultEEEsNS9_4plusIvEEsEEDaPvRmT3_T4_T5_mT6_P12ihipStream_tbENKUlT_T0_E_clISt17integral_constantIbLb0EESW_IbLb1EEEEDaSS_ST_EUlSS_E0_NS1_11comp_targetILNS1_3genE10ELNS1_11target_archE1200ELNS1_3gpuE4ELNS1_3repE0EEENS1_30default_config_static_selectorELNS0_4arch9wavefront6targetE1EEEvT1_ ; -- Begin function _ZN7rocprim17ROCPRIM_400000_NS6detail17trampoline_kernelINS0_14default_configENS1_20scan_config_selectorIsEEZZNS1_9scan_implILNS1_25lookback_scan_determinismE0ELb1ELb1ES3_N6thrust23THRUST_200600_302600_NS6detail15normal_iteratorINS9_10device_ptrIsEEEENS9_16discard_iteratorINS9_11use_defaultEEEsNS9_4plusIvEEsEEDaPvRmT3_T4_T5_mT6_P12ihipStream_tbENKUlT_T0_E_clISt17integral_constantIbLb0EESW_IbLb1EEEEDaSS_ST_EUlSS_E0_NS1_11comp_targetILNS1_3genE10ELNS1_11target_archE1200ELNS1_3gpuE4ELNS1_3repE0EEENS1_30default_config_static_selectorELNS0_4arch9wavefront6targetE1EEEvT1_
	.globl	_ZN7rocprim17ROCPRIM_400000_NS6detail17trampoline_kernelINS0_14default_configENS1_20scan_config_selectorIsEEZZNS1_9scan_implILNS1_25lookback_scan_determinismE0ELb1ELb1ES3_N6thrust23THRUST_200600_302600_NS6detail15normal_iteratorINS9_10device_ptrIsEEEENS9_16discard_iteratorINS9_11use_defaultEEEsNS9_4plusIvEEsEEDaPvRmT3_T4_T5_mT6_P12ihipStream_tbENKUlT_T0_E_clISt17integral_constantIbLb0EESW_IbLb1EEEEDaSS_ST_EUlSS_E0_NS1_11comp_targetILNS1_3genE10ELNS1_11target_archE1200ELNS1_3gpuE4ELNS1_3repE0EEENS1_30default_config_static_selectorELNS0_4arch9wavefront6targetE1EEEvT1_
	.p2align	8
	.type	_ZN7rocprim17ROCPRIM_400000_NS6detail17trampoline_kernelINS0_14default_configENS1_20scan_config_selectorIsEEZZNS1_9scan_implILNS1_25lookback_scan_determinismE0ELb1ELb1ES3_N6thrust23THRUST_200600_302600_NS6detail15normal_iteratorINS9_10device_ptrIsEEEENS9_16discard_iteratorINS9_11use_defaultEEEsNS9_4plusIvEEsEEDaPvRmT3_T4_T5_mT6_P12ihipStream_tbENKUlT_T0_E_clISt17integral_constantIbLb0EESW_IbLb1EEEEDaSS_ST_EUlSS_E0_NS1_11comp_targetILNS1_3genE10ELNS1_11target_archE1200ELNS1_3gpuE4ELNS1_3repE0EEENS1_30default_config_static_selectorELNS0_4arch9wavefront6targetE1EEEvT1_,@function
_ZN7rocprim17ROCPRIM_400000_NS6detail17trampoline_kernelINS0_14default_configENS1_20scan_config_selectorIsEEZZNS1_9scan_implILNS1_25lookback_scan_determinismE0ELb1ELb1ES3_N6thrust23THRUST_200600_302600_NS6detail15normal_iteratorINS9_10device_ptrIsEEEENS9_16discard_iteratorINS9_11use_defaultEEEsNS9_4plusIvEEsEEDaPvRmT3_T4_T5_mT6_P12ihipStream_tbENKUlT_T0_E_clISt17integral_constantIbLb0EESW_IbLb1EEEEDaSS_ST_EUlSS_E0_NS1_11comp_targetILNS1_3genE10ELNS1_11target_archE1200ELNS1_3gpuE4ELNS1_3repE0EEENS1_30default_config_static_selectorELNS0_4arch9wavefront6targetE1EEEvT1_: ; @_ZN7rocprim17ROCPRIM_400000_NS6detail17trampoline_kernelINS0_14default_configENS1_20scan_config_selectorIsEEZZNS1_9scan_implILNS1_25lookback_scan_determinismE0ELb1ELb1ES3_N6thrust23THRUST_200600_302600_NS6detail15normal_iteratorINS9_10device_ptrIsEEEENS9_16discard_iteratorINS9_11use_defaultEEEsNS9_4plusIvEEsEEDaPvRmT3_T4_T5_mT6_P12ihipStream_tbENKUlT_T0_E_clISt17integral_constantIbLb0EESW_IbLb1EEEEDaSS_ST_EUlSS_E0_NS1_11comp_targetILNS1_3genE10ELNS1_11target_archE1200ELNS1_3gpuE4ELNS1_3repE0EEENS1_30default_config_static_selectorELNS0_4arch9wavefront6targetE1EEEvT1_
; %bb.0:
	.section	.rodata,"a",@progbits
	.p2align	6, 0x0
	.amdhsa_kernel _ZN7rocprim17ROCPRIM_400000_NS6detail17trampoline_kernelINS0_14default_configENS1_20scan_config_selectorIsEEZZNS1_9scan_implILNS1_25lookback_scan_determinismE0ELb1ELb1ES3_N6thrust23THRUST_200600_302600_NS6detail15normal_iteratorINS9_10device_ptrIsEEEENS9_16discard_iteratorINS9_11use_defaultEEEsNS9_4plusIvEEsEEDaPvRmT3_T4_T5_mT6_P12ihipStream_tbENKUlT_T0_E_clISt17integral_constantIbLb0EESW_IbLb1EEEEDaSS_ST_EUlSS_E0_NS1_11comp_targetILNS1_3genE10ELNS1_11target_archE1200ELNS1_3gpuE4ELNS1_3repE0EEENS1_30default_config_static_selectorELNS0_4arch9wavefront6targetE1EEEvT1_
		.amdhsa_group_segment_fixed_size 0
		.amdhsa_private_segment_fixed_size 0
		.amdhsa_kernarg_size 40
		.amdhsa_user_sgpr_count 6
		.amdhsa_user_sgpr_private_segment_buffer 1
		.amdhsa_user_sgpr_dispatch_ptr 0
		.amdhsa_user_sgpr_queue_ptr 0
		.amdhsa_user_sgpr_kernarg_segment_ptr 1
		.amdhsa_user_sgpr_dispatch_id 0
		.amdhsa_user_sgpr_flat_scratch_init 0
		.amdhsa_user_sgpr_kernarg_preload_length 0
		.amdhsa_user_sgpr_kernarg_preload_offset 0
		.amdhsa_user_sgpr_private_segment_size 0
		.amdhsa_uses_dynamic_stack 0
		.amdhsa_system_sgpr_private_segment_wavefront_offset 0
		.amdhsa_system_sgpr_workgroup_id_x 1
		.amdhsa_system_sgpr_workgroup_id_y 0
		.amdhsa_system_sgpr_workgroup_id_z 0
		.amdhsa_system_sgpr_workgroup_info 0
		.amdhsa_system_vgpr_workitem_id 0
		.amdhsa_next_free_vgpr 1
		.amdhsa_next_free_sgpr 0
		.amdhsa_accum_offset 4
		.amdhsa_reserve_vcc 0
		.amdhsa_reserve_flat_scratch 0
		.amdhsa_float_round_mode_32 0
		.amdhsa_float_round_mode_16_64 0
		.amdhsa_float_denorm_mode_32 3
		.amdhsa_float_denorm_mode_16_64 3
		.amdhsa_dx10_clamp 1
		.amdhsa_ieee_mode 1
		.amdhsa_fp16_overflow 0
		.amdhsa_tg_split 0
		.amdhsa_exception_fp_ieee_invalid_op 0
		.amdhsa_exception_fp_denorm_src 0
		.amdhsa_exception_fp_ieee_div_zero 0
		.amdhsa_exception_fp_ieee_overflow 0
		.amdhsa_exception_fp_ieee_underflow 0
		.amdhsa_exception_fp_ieee_inexact 0
		.amdhsa_exception_int_div_zero 0
	.end_amdhsa_kernel
	.section	.text._ZN7rocprim17ROCPRIM_400000_NS6detail17trampoline_kernelINS0_14default_configENS1_20scan_config_selectorIsEEZZNS1_9scan_implILNS1_25lookback_scan_determinismE0ELb1ELb1ES3_N6thrust23THRUST_200600_302600_NS6detail15normal_iteratorINS9_10device_ptrIsEEEENS9_16discard_iteratorINS9_11use_defaultEEEsNS9_4plusIvEEsEEDaPvRmT3_T4_T5_mT6_P12ihipStream_tbENKUlT_T0_E_clISt17integral_constantIbLb0EESW_IbLb1EEEEDaSS_ST_EUlSS_E0_NS1_11comp_targetILNS1_3genE10ELNS1_11target_archE1200ELNS1_3gpuE4ELNS1_3repE0EEENS1_30default_config_static_selectorELNS0_4arch9wavefront6targetE1EEEvT1_,"axG",@progbits,_ZN7rocprim17ROCPRIM_400000_NS6detail17trampoline_kernelINS0_14default_configENS1_20scan_config_selectorIsEEZZNS1_9scan_implILNS1_25lookback_scan_determinismE0ELb1ELb1ES3_N6thrust23THRUST_200600_302600_NS6detail15normal_iteratorINS9_10device_ptrIsEEEENS9_16discard_iteratorINS9_11use_defaultEEEsNS9_4plusIvEEsEEDaPvRmT3_T4_T5_mT6_P12ihipStream_tbENKUlT_T0_E_clISt17integral_constantIbLb0EESW_IbLb1EEEEDaSS_ST_EUlSS_E0_NS1_11comp_targetILNS1_3genE10ELNS1_11target_archE1200ELNS1_3gpuE4ELNS1_3repE0EEENS1_30default_config_static_selectorELNS0_4arch9wavefront6targetE1EEEvT1_,comdat
.Lfunc_end6011:
	.size	_ZN7rocprim17ROCPRIM_400000_NS6detail17trampoline_kernelINS0_14default_configENS1_20scan_config_selectorIsEEZZNS1_9scan_implILNS1_25lookback_scan_determinismE0ELb1ELb1ES3_N6thrust23THRUST_200600_302600_NS6detail15normal_iteratorINS9_10device_ptrIsEEEENS9_16discard_iteratorINS9_11use_defaultEEEsNS9_4plusIvEEsEEDaPvRmT3_T4_T5_mT6_P12ihipStream_tbENKUlT_T0_E_clISt17integral_constantIbLb0EESW_IbLb1EEEEDaSS_ST_EUlSS_E0_NS1_11comp_targetILNS1_3genE10ELNS1_11target_archE1200ELNS1_3gpuE4ELNS1_3repE0EEENS1_30default_config_static_selectorELNS0_4arch9wavefront6targetE1EEEvT1_, .Lfunc_end6011-_ZN7rocprim17ROCPRIM_400000_NS6detail17trampoline_kernelINS0_14default_configENS1_20scan_config_selectorIsEEZZNS1_9scan_implILNS1_25lookback_scan_determinismE0ELb1ELb1ES3_N6thrust23THRUST_200600_302600_NS6detail15normal_iteratorINS9_10device_ptrIsEEEENS9_16discard_iteratorINS9_11use_defaultEEEsNS9_4plusIvEEsEEDaPvRmT3_T4_T5_mT6_P12ihipStream_tbENKUlT_T0_E_clISt17integral_constantIbLb0EESW_IbLb1EEEEDaSS_ST_EUlSS_E0_NS1_11comp_targetILNS1_3genE10ELNS1_11target_archE1200ELNS1_3gpuE4ELNS1_3repE0EEENS1_30default_config_static_selectorELNS0_4arch9wavefront6targetE1EEEvT1_
                                        ; -- End function
	.section	.AMDGPU.csdata,"",@progbits
; Kernel info:
; codeLenInByte = 0
; NumSgprs: 4
; NumVgprs: 0
; NumAgprs: 0
; TotalNumVgprs: 0
; ScratchSize: 0
; MemoryBound: 0
; FloatMode: 240
; IeeeMode: 1
; LDSByteSize: 0 bytes/workgroup (compile time only)
; SGPRBlocks: 0
; VGPRBlocks: 0
; NumSGPRsForWavesPerEU: 4
; NumVGPRsForWavesPerEU: 1
; AccumOffset: 4
; Occupancy: 8
; WaveLimiterHint : 0
; COMPUTE_PGM_RSRC2:SCRATCH_EN: 0
; COMPUTE_PGM_RSRC2:USER_SGPR: 6
; COMPUTE_PGM_RSRC2:TRAP_HANDLER: 0
; COMPUTE_PGM_RSRC2:TGID_X_EN: 1
; COMPUTE_PGM_RSRC2:TGID_Y_EN: 0
; COMPUTE_PGM_RSRC2:TGID_Z_EN: 0
; COMPUTE_PGM_RSRC2:TIDIG_COMP_CNT: 0
; COMPUTE_PGM_RSRC3_GFX90A:ACCUM_OFFSET: 0
; COMPUTE_PGM_RSRC3_GFX90A:TG_SPLIT: 0
	.section	.text._ZN7rocprim17ROCPRIM_400000_NS6detail17trampoline_kernelINS0_14default_configENS1_20scan_config_selectorIsEEZZNS1_9scan_implILNS1_25lookback_scan_determinismE0ELb1ELb1ES3_N6thrust23THRUST_200600_302600_NS6detail15normal_iteratorINS9_10device_ptrIsEEEENS9_16discard_iteratorINS9_11use_defaultEEEsNS9_4plusIvEEsEEDaPvRmT3_T4_T5_mT6_P12ihipStream_tbENKUlT_T0_E_clISt17integral_constantIbLb0EESW_IbLb1EEEEDaSS_ST_EUlSS_E0_NS1_11comp_targetILNS1_3genE9ELNS1_11target_archE1100ELNS1_3gpuE3ELNS1_3repE0EEENS1_30default_config_static_selectorELNS0_4arch9wavefront6targetE1EEEvT1_,"axG",@progbits,_ZN7rocprim17ROCPRIM_400000_NS6detail17trampoline_kernelINS0_14default_configENS1_20scan_config_selectorIsEEZZNS1_9scan_implILNS1_25lookback_scan_determinismE0ELb1ELb1ES3_N6thrust23THRUST_200600_302600_NS6detail15normal_iteratorINS9_10device_ptrIsEEEENS9_16discard_iteratorINS9_11use_defaultEEEsNS9_4plusIvEEsEEDaPvRmT3_T4_T5_mT6_P12ihipStream_tbENKUlT_T0_E_clISt17integral_constantIbLb0EESW_IbLb1EEEEDaSS_ST_EUlSS_E0_NS1_11comp_targetILNS1_3genE9ELNS1_11target_archE1100ELNS1_3gpuE3ELNS1_3repE0EEENS1_30default_config_static_selectorELNS0_4arch9wavefront6targetE1EEEvT1_,comdat
	.protected	_ZN7rocprim17ROCPRIM_400000_NS6detail17trampoline_kernelINS0_14default_configENS1_20scan_config_selectorIsEEZZNS1_9scan_implILNS1_25lookback_scan_determinismE0ELb1ELb1ES3_N6thrust23THRUST_200600_302600_NS6detail15normal_iteratorINS9_10device_ptrIsEEEENS9_16discard_iteratorINS9_11use_defaultEEEsNS9_4plusIvEEsEEDaPvRmT3_T4_T5_mT6_P12ihipStream_tbENKUlT_T0_E_clISt17integral_constantIbLb0EESW_IbLb1EEEEDaSS_ST_EUlSS_E0_NS1_11comp_targetILNS1_3genE9ELNS1_11target_archE1100ELNS1_3gpuE3ELNS1_3repE0EEENS1_30default_config_static_selectorELNS0_4arch9wavefront6targetE1EEEvT1_ ; -- Begin function _ZN7rocprim17ROCPRIM_400000_NS6detail17trampoline_kernelINS0_14default_configENS1_20scan_config_selectorIsEEZZNS1_9scan_implILNS1_25lookback_scan_determinismE0ELb1ELb1ES3_N6thrust23THRUST_200600_302600_NS6detail15normal_iteratorINS9_10device_ptrIsEEEENS9_16discard_iteratorINS9_11use_defaultEEEsNS9_4plusIvEEsEEDaPvRmT3_T4_T5_mT6_P12ihipStream_tbENKUlT_T0_E_clISt17integral_constantIbLb0EESW_IbLb1EEEEDaSS_ST_EUlSS_E0_NS1_11comp_targetILNS1_3genE9ELNS1_11target_archE1100ELNS1_3gpuE3ELNS1_3repE0EEENS1_30default_config_static_selectorELNS0_4arch9wavefront6targetE1EEEvT1_
	.globl	_ZN7rocprim17ROCPRIM_400000_NS6detail17trampoline_kernelINS0_14default_configENS1_20scan_config_selectorIsEEZZNS1_9scan_implILNS1_25lookback_scan_determinismE0ELb1ELb1ES3_N6thrust23THRUST_200600_302600_NS6detail15normal_iteratorINS9_10device_ptrIsEEEENS9_16discard_iteratorINS9_11use_defaultEEEsNS9_4plusIvEEsEEDaPvRmT3_T4_T5_mT6_P12ihipStream_tbENKUlT_T0_E_clISt17integral_constantIbLb0EESW_IbLb1EEEEDaSS_ST_EUlSS_E0_NS1_11comp_targetILNS1_3genE9ELNS1_11target_archE1100ELNS1_3gpuE3ELNS1_3repE0EEENS1_30default_config_static_selectorELNS0_4arch9wavefront6targetE1EEEvT1_
	.p2align	8
	.type	_ZN7rocprim17ROCPRIM_400000_NS6detail17trampoline_kernelINS0_14default_configENS1_20scan_config_selectorIsEEZZNS1_9scan_implILNS1_25lookback_scan_determinismE0ELb1ELb1ES3_N6thrust23THRUST_200600_302600_NS6detail15normal_iteratorINS9_10device_ptrIsEEEENS9_16discard_iteratorINS9_11use_defaultEEEsNS9_4plusIvEEsEEDaPvRmT3_T4_T5_mT6_P12ihipStream_tbENKUlT_T0_E_clISt17integral_constantIbLb0EESW_IbLb1EEEEDaSS_ST_EUlSS_E0_NS1_11comp_targetILNS1_3genE9ELNS1_11target_archE1100ELNS1_3gpuE3ELNS1_3repE0EEENS1_30default_config_static_selectorELNS0_4arch9wavefront6targetE1EEEvT1_,@function
_ZN7rocprim17ROCPRIM_400000_NS6detail17trampoline_kernelINS0_14default_configENS1_20scan_config_selectorIsEEZZNS1_9scan_implILNS1_25lookback_scan_determinismE0ELb1ELb1ES3_N6thrust23THRUST_200600_302600_NS6detail15normal_iteratorINS9_10device_ptrIsEEEENS9_16discard_iteratorINS9_11use_defaultEEEsNS9_4plusIvEEsEEDaPvRmT3_T4_T5_mT6_P12ihipStream_tbENKUlT_T0_E_clISt17integral_constantIbLb0EESW_IbLb1EEEEDaSS_ST_EUlSS_E0_NS1_11comp_targetILNS1_3genE9ELNS1_11target_archE1100ELNS1_3gpuE3ELNS1_3repE0EEENS1_30default_config_static_selectorELNS0_4arch9wavefront6targetE1EEEvT1_: ; @_ZN7rocprim17ROCPRIM_400000_NS6detail17trampoline_kernelINS0_14default_configENS1_20scan_config_selectorIsEEZZNS1_9scan_implILNS1_25lookback_scan_determinismE0ELb1ELb1ES3_N6thrust23THRUST_200600_302600_NS6detail15normal_iteratorINS9_10device_ptrIsEEEENS9_16discard_iteratorINS9_11use_defaultEEEsNS9_4plusIvEEsEEDaPvRmT3_T4_T5_mT6_P12ihipStream_tbENKUlT_T0_E_clISt17integral_constantIbLb0EESW_IbLb1EEEEDaSS_ST_EUlSS_E0_NS1_11comp_targetILNS1_3genE9ELNS1_11target_archE1100ELNS1_3gpuE3ELNS1_3repE0EEENS1_30default_config_static_selectorELNS0_4arch9wavefront6targetE1EEEvT1_
; %bb.0:
	.section	.rodata,"a",@progbits
	.p2align	6, 0x0
	.amdhsa_kernel _ZN7rocprim17ROCPRIM_400000_NS6detail17trampoline_kernelINS0_14default_configENS1_20scan_config_selectorIsEEZZNS1_9scan_implILNS1_25lookback_scan_determinismE0ELb1ELb1ES3_N6thrust23THRUST_200600_302600_NS6detail15normal_iteratorINS9_10device_ptrIsEEEENS9_16discard_iteratorINS9_11use_defaultEEEsNS9_4plusIvEEsEEDaPvRmT3_T4_T5_mT6_P12ihipStream_tbENKUlT_T0_E_clISt17integral_constantIbLb0EESW_IbLb1EEEEDaSS_ST_EUlSS_E0_NS1_11comp_targetILNS1_3genE9ELNS1_11target_archE1100ELNS1_3gpuE3ELNS1_3repE0EEENS1_30default_config_static_selectorELNS0_4arch9wavefront6targetE1EEEvT1_
		.amdhsa_group_segment_fixed_size 0
		.amdhsa_private_segment_fixed_size 0
		.amdhsa_kernarg_size 40
		.amdhsa_user_sgpr_count 6
		.amdhsa_user_sgpr_private_segment_buffer 1
		.amdhsa_user_sgpr_dispatch_ptr 0
		.amdhsa_user_sgpr_queue_ptr 0
		.amdhsa_user_sgpr_kernarg_segment_ptr 1
		.amdhsa_user_sgpr_dispatch_id 0
		.amdhsa_user_sgpr_flat_scratch_init 0
		.amdhsa_user_sgpr_kernarg_preload_length 0
		.amdhsa_user_sgpr_kernarg_preload_offset 0
		.amdhsa_user_sgpr_private_segment_size 0
		.amdhsa_uses_dynamic_stack 0
		.amdhsa_system_sgpr_private_segment_wavefront_offset 0
		.amdhsa_system_sgpr_workgroup_id_x 1
		.amdhsa_system_sgpr_workgroup_id_y 0
		.amdhsa_system_sgpr_workgroup_id_z 0
		.amdhsa_system_sgpr_workgroup_info 0
		.amdhsa_system_vgpr_workitem_id 0
		.amdhsa_next_free_vgpr 1
		.amdhsa_next_free_sgpr 0
		.amdhsa_accum_offset 4
		.amdhsa_reserve_vcc 0
		.amdhsa_reserve_flat_scratch 0
		.amdhsa_float_round_mode_32 0
		.amdhsa_float_round_mode_16_64 0
		.amdhsa_float_denorm_mode_32 3
		.amdhsa_float_denorm_mode_16_64 3
		.amdhsa_dx10_clamp 1
		.amdhsa_ieee_mode 1
		.amdhsa_fp16_overflow 0
		.amdhsa_tg_split 0
		.amdhsa_exception_fp_ieee_invalid_op 0
		.amdhsa_exception_fp_denorm_src 0
		.amdhsa_exception_fp_ieee_div_zero 0
		.amdhsa_exception_fp_ieee_overflow 0
		.amdhsa_exception_fp_ieee_underflow 0
		.amdhsa_exception_fp_ieee_inexact 0
		.amdhsa_exception_int_div_zero 0
	.end_amdhsa_kernel
	.section	.text._ZN7rocprim17ROCPRIM_400000_NS6detail17trampoline_kernelINS0_14default_configENS1_20scan_config_selectorIsEEZZNS1_9scan_implILNS1_25lookback_scan_determinismE0ELb1ELb1ES3_N6thrust23THRUST_200600_302600_NS6detail15normal_iteratorINS9_10device_ptrIsEEEENS9_16discard_iteratorINS9_11use_defaultEEEsNS9_4plusIvEEsEEDaPvRmT3_T4_T5_mT6_P12ihipStream_tbENKUlT_T0_E_clISt17integral_constantIbLb0EESW_IbLb1EEEEDaSS_ST_EUlSS_E0_NS1_11comp_targetILNS1_3genE9ELNS1_11target_archE1100ELNS1_3gpuE3ELNS1_3repE0EEENS1_30default_config_static_selectorELNS0_4arch9wavefront6targetE1EEEvT1_,"axG",@progbits,_ZN7rocprim17ROCPRIM_400000_NS6detail17trampoline_kernelINS0_14default_configENS1_20scan_config_selectorIsEEZZNS1_9scan_implILNS1_25lookback_scan_determinismE0ELb1ELb1ES3_N6thrust23THRUST_200600_302600_NS6detail15normal_iteratorINS9_10device_ptrIsEEEENS9_16discard_iteratorINS9_11use_defaultEEEsNS9_4plusIvEEsEEDaPvRmT3_T4_T5_mT6_P12ihipStream_tbENKUlT_T0_E_clISt17integral_constantIbLb0EESW_IbLb1EEEEDaSS_ST_EUlSS_E0_NS1_11comp_targetILNS1_3genE9ELNS1_11target_archE1100ELNS1_3gpuE3ELNS1_3repE0EEENS1_30default_config_static_selectorELNS0_4arch9wavefront6targetE1EEEvT1_,comdat
.Lfunc_end6012:
	.size	_ZN7rocprim17ROCPRIM_400000_NS6detail17trampoline_kernelINS0_14default_configENS1_20scan_config_selectorIsEEZZNS1_9scan_implILNS1_25lookback_scan_determinismE0ELb1ELb1ES3_N6thrust23THRUST_200600_302600_NS6detail15normal_iteratorINS9_10device_ptrIsEEEENS9_16discard_iteratorINS9_11use_defaultEEEsNS9_4plusIvEEsEEDaPvRmT3_T4_T5_mT6_P12ihipStream_tbENKUlT_T0_E_clISt17integral_constantIbLb0EESW_IbLb1EEEEDaSS_ST_EUlSS_E0_NS1_11comp_targetILNS1_3genE9ELNS1_11target_archE1100ELNS1_3gpuE3ELNS1_3repE0EEENS1_30default_config_static_selectorELNS0_4arch9wavefront6targetE1EEEvT1_, .Lfunc_end6012-_ZN7rocprim17ROCPRIM_400000_NS6detail17trampoline_kernelINS0_14default_configENS1_20scan_config_selectorIsEEZZNS1_9scan_implILNS1_25lookback_scan_determinismE0ELb1ELb1ES3_N6thrust23THRUST_200600_302600_NS6detail15normal_iteratorINS9_10device_ptrIsEEEENS9_16discard_iteratorINS9_11use_defaultEEEsNS9_4plusIvEEsEEDaPvRmT3_T4_T5_mT6_P12ihipStream_tbENKUlT_T0_E_clISt17integral_constantIbLb0EESW_IbLb1EEEEDaSS_ST_EUlSS_E0_NS1_11comp_targetILNS1_3genE9ELNS1_11target_archE1100ELNS1_3gpuE3ELNS1_3repE0EEENS1_30default_config_static_selectorELNS0_4arch9wavefront6targetE1EEEvT1_
                                        ; -- End function
	.section	.AMDGPU.csdata,"",@progbits
; Kernel info:
; codeLenInByte = 0
; NumSgprs: 4
; NumVgprs: 0
; NumAgprs: 0
; TotalNumVgprs: 0
; ScratchSize: 0
; MemoryBound: 0
; FloatMode: 240
; IeeeMode: 1
; LDSByteSize: 0 bytes/workgroup (compile time only)
; SGPRBlocks: 0
; VGPRBlocks: 0
; NumSGPRsForWavesPerEU: 4
; NumVGPRsForWavesPerEU: 1
; AccumOffset: 4
; Occupancy: 8
; WaveLimiterHint : 0
; COMPUTE_PGM_RSRC2:SCRATCH_EN: 0
; COMPUTE_PGM_RSRC2:USER_SGPR: 6
; COMPUTE_PGM_RSRC2:TRAP_HANDLER: 0
; COMPUTE_PGM_RSRC2:TGID_X_EN: 1
; COMPUTE_PGM_RSRC2:TGID_Y_EN: 0
; COMPUTE_PGM_RSRC2:TGID_Z_EN: 0
; COMPUTE_PGM_RSRC2:TIDIG_COMP_CNT: 0
; COMPUTE_PGM_RSRC3_GFX90A:ACCUM_OFFSET: 0
; COMPUTE_PGM_RSRC3_GFX90A:TG_SPLIT: 0
	.section	.text._ZN7rocprim17ROCPRIM_400000_NS6detail17trampoline_kernelINS0_14default_configENS1_20scan_config_selectorIsEEZZNS1_9scan_implILNS1_25lookback_scan_determinismE0ELb1ELb1ES3_N6thrust23THRUST_200600_302600_NS6detail15normal_iteratorINS9_10device_ptrIsEEEENS9_16discard_iteratorINS9_11use_defaultEEEsNS9_4plusIvEEsEEDaPvRmT3_T4_T5_mT6_P12ihipStream_tbENKUlT_T0_E_clISt17integral_constantIbLb0EESW_IbLb1EEEEDaSS_ST_EUlSS_E0_NS1_11comp_targetILNS1_3genE8ELNS1_11target_archE1030ELNS1_3gpuE2ELNS1_3repE0EEENS1_30default_config_static_selectorELNS0_4arch9wavefront6targetE1EEEvT1_,"axG",@progbits,_ZN7rocprim17ROCPRIM_400000_NS6detail17trampoline_kernelINS0_14default_configENS1_20scan_config_selectorIsEEZZNS1_9scan_implILNS1_25lookback_scan_determinismE0ELb1ELb1ES3_N6thrust23THRUST_200600_302600_NS6detail15normal_iteratorINS9_10device_ptrIsEEEENS9_16discard_iteratorINS9_11use_defaultEEEsNS9_4plusIvEEsEEDaPvRmT3_T4_T5_mT6_P12ihipStream_tbENKUlT_T0_E_clISt17integral_constantIbLb0EESW_IbLb1EEEEDaSS_ST_EUlSS_E0_NS1_11comp_targetILNS1_3genE8ELNS1_11target_archE1030ELNS1_3gpuE2ELNS1_3repE0EEENS1_30default_config_static_selectorELNS0_4arch9wavefront6targetE1EEEvT1_,comdat
	.protected	_ZN7rocprim17ROCPRIM_400000_NS6detail17trampoline_kernelINS0_14default_configENS1_20scan_config_selectorIsEEZZNS1_9scan_implILNS1_25lookback_scan_determinismE0ELb1ELb1ES3_N6thrust23THRUST_200600_302600_NS6detail15normal_iteratorINS9_10device_ptrIsEEEENS9_16discard_iteratorINS9_11use_defaultEEEsNS9_4plusIvEEsEEDaPvRmT3_T4_T5_mT6_P12ihipStream_tbENKUlT_T0_E_clISt17integral_constantIbLb0EESW_IbLb1EEEEDaSS_ST_EUlSS_E0_NS1_11comp_targetILNS1_3genE8ELNS1_11target_archE1030ELNS1_3gpuE2ELNS1_3repE0EEENS1_30default_config_static_selectorELNS0_4arch9wavefront6targetE1EEEvT1_ ; -- Begin function _ZN7rocprim17ROCPRIM_400000_NS6detail17trampoline_kernelINS0_14default_configENS1_20scan_config_selectorIsEEZZNS1_9scan_implILNS1_25lookback_scan_determinismE0ELb1ELb1ES3_N6thrust23THRUST_200600_302600_NS6detail15normal_iteratorINS9_10device_ptrIsEEEENS9_16discard_iteratorINS9_11use_defaultEEEsNS9_4plusIvEEsEEDaPvRmT3_T4_T5_mT6_P12ihipStream_tbENKUlT_T0_E_clISt17integral_constantIbLb0EESW_IbLb1EEEEDaSS_ST_EUlSS_E0_NS1_11comp_targetILNS1_3genE8ELNS1_11target_archE1030ELNS1_3gpuE2ELNS1_3repE0EEENS1_30default_config_static_selectorELNS0_4arch9wavefront6targetE1EEEvT1_
	.globl	_ZN7rocprim17ROCPRIM_400000_NS6detail17trampoline_kernelINS0_14default_configENS1_20scan_config_selectorIsEEZZNS1_9scan_implILNS1_25lookback_scan_determinismE0ELb1ELb1ES3_N6thrust23THRUST_200600_302600_NS6detail15normal_iteratorINS9_10device_ptrIsEEEENS9_16discard_iteratorINS9_11use_defaultEEEsNS9_4plusIvEEsEEDaPvRmT3_T4_T5_mT6_P12ihipStream_tbENKUlT_T0_E_clISt17integral_constantIbLb0EESW_IbLb1EEEEDaSS_ST_EUlSS_E0_NS1_11comp_targetILNS1_3genE8ELNS1_11target_archE1030ELNS1_3gpuE2ELNS1_3repE0EEENS1_30default_config_static_selectorELNS0_4arch9wavefront6targetE1EEEvT1_
	.p2align	8
	.type	_ZN7rocprim17ROCPRIM_400000_NS6detail17trampoline_kernelINS0_14default_configENS1_20scan_config_selectorIsEEZZNS1_9scan_implILNS1_25lookback_scan_determinismE0ELb1ELb1ES3_N6thrust23THRUST_200600_302600_NS6detail15normal_iteratorINS9_10device_ptrIsEEEENS9_16discard_iteratorINS9_11use_defaultEEEsNS9_4plusIvEEsEEDaPvRmT3_T4_T5_mT6_P12ihipStream_tbENKUlT_T0_E_clISt17integral_constantIbLb0EESW_IbLb1EEEEDaSS_ST_EUlSS_E0_NS1_11comp_targetILNS1_3genE8ELNS1_11target_archE1030ELNS1_3gpuE2ELNS1_3repE0EEENS1_30default_config_static_selectorELNS0_4arch9wavefront6targetE1EEEvT1_,@function
_ZN7rocprim17ROCPRIM_400000_NS6detail17trampoline_kernelINS0_14default_configENS1_20scan_config_selectorIsEEZZNS1_9scan_implILNS1_25lookback_scan_determinismE0ELb1ELb1ES3_N6thrust23THRUST_200600_302600_NS6detail15normal_iteratorINS9_10device_ptrIsEEEENS9_16discard_iteratorINS9_11use_defaultEEEsNS9_4plusIvEEsEEDaPvRmT3_T4_T5_mT6_P12ihipStream_tbENKUlT_T0_E_clISt17integral_constantIbLb0EESW_IbLb1EEEEDaSS_ST_EUlSS_E0_NS1_11comp_targetILNS1_3genE8ELNS1_11target_archE1030ELNS1_3gpuE2ELNS1_3repE0EEENS1_30default_config_static_selectorELNS0_4arch9wavefront6targetE1EEEvT1_: ; @_ZN7rocprim17ROCPRIM_400000_NS6detail17trampoline_kernelINS0_14default_configENS1_20scan_config_selectorIsEEZZNS1_9scan_implILNS1_25lookback_scan_determinismE0ELb1ELb1ES3_N6thrust23THRUST_200600_302600_NS6detail15normal_iteratorINS9_10device_ptrIsEEEENS9_16discard_iteratorINS9_11use_defaultEEEsNS9_4plusIvEEsEEDaPvRmT3_T4_T5_mT6_P12ihipStream_tbENKUlT_T0_E_clISt17integral_constantIbLb0EESW_IbLb1EEEEDaSS_ST_EUlSS_E0_NS1_11comp_targetILNS1_3genE8ELNS1_11target_archE1030ELNS1_3gpuE2ELNS1_3repE0EEENS1_30default_config_static_selectorELNS0_4arch9wavefront6targetE1EEEvT1_
; %bb.0:
	.section	.rodata,"a",@progbits
	.p2align	6, 0x0
	.amdhsa_kernel _ZN7rocprim17ROCPRIM_400000_NS6detail17trampoline_kernelINS0_14default_configENS1_20scan_config_selectorIsEEZZNS1_9scan_implILNS1_25lookback_scan_determinismE0ELb1ELb1ES3_N6thrust23THRUST_200600_302600_NS6detail15normal_iteratorINS9_10device_ptrIsEEEENS9_16discard_iteratorINS9_11use_defaultEEEsNS9_4plusIvEEsEEDaPvRmT3_T4_T5_mT6_P12ihipStream_tbENKUlT_T0_E_clISt17integral_constantIbLb0EESW_IbLb1EEEEDaSS_ST_EUlSS_E0_NS1_11comp_targetILNS1_3genE8ELNS1_11target_archE1030ELNS1_3gpuE2ELNS1_3repE0EEENS1_30default_config_static_selectorELNS0_4arch9wavefront6targetE1EEEvT1_
		.amdhsa_group_segment_fixed_size 0
		.amdhsa_private_segment_fixed_size 0
		.amdhsa_kernarg_size 40
		.amdhsa_user_sgpr_count 6
		.amdhsa_user_sgpr_private_segment_buffer 1
		.amdhsa_user_sgpr_dispatch_ptr 0
		.amdhsa_user_sgpr_queue_ptr 0
		.amdhsa_user_sgpr_kernarg_segment_ptr 1
		.amdhsa_user_sgpr_dispatch_id 0
		.amdhsa_user_sgpr_flat_scratch_init 0
		.amdhsa_user_sgpr_kernarg_preload_length 0
		.amdhsa_user_sgpr_kernarg_preload_offset 0
		.amdhsa_user_sgpr_private_segment_size 0
		.amdhsa_uses_dynamic_stack 0
		.amdhsa_system_sgpr_private_segment_wavefront_offset 0
		.amdhsa_system_sgpr_workgroup_id_x 1
		.amdhsa_system_sgpr_workgroup_id_y 0
		.amdhsa_system_sgpr_workgroup_id_z 0
		.amdhsa_system_sgpr_workgroup_info 0
		.amdhsa_system_vgpr_workitem_id 0
		.amdhsa_next_free_vgpr 1
		.amdhsa_next_free_sgpr 0
		.amdhsa_accum_offset 4
		.amdhsa_reserve_vcc 0
		.amdhsa_reserve_flat_scratch 0
		.amdhsa_float_round_mode_32 0
		.amdhsa_float_round_mode_16_64 0
		.amdhsa_float_denorm_mode_32 3
		.amdhsa_float_denorm_mode_16_64 3
		.amdhsa_dx10_clamp 1
		.amdhsa_ieee_mode 1
		.amdhsa_fp16_overflow 0
		.amdhsa_tg_split 0
		.amdhsa_exception_fp_ieee_invalid_op 0
		.amdhsa_exception_fp_denorm_src 0
		.amdhsa_exception_fp_ieee_div_zero 0
		.amdhsa_exception_fp_ieee_overflow 0
		.amdhsa_exception_fp_ieee_underflow 0
		.amdhsa_exception_fp_ieee_inexact 0
		.amdhsa_exception_int_div_zero 0
	.end_amdhsa_kernel
	.section	.text._ZN7rocprim17ROCPRIM_400000_NS6detail17trampoline_kernelINS0_14default_configENS1_20scan_config_selectorIsEEZZNS1_9scan_implILNS1_25lookback_scan_determinismE0ELb1ELb1ES3_N6thrust23THRUST_200600_302600_NS6detail15normal_iteratorINS9_10device_ptrIsEEEENS9_16discard_iteratorINS9_11use_defaultEEEsNS9_4plusIvEEsEEDaPvRmT3_T4_T5_mT6_P12ihipStream_tbENKUlT_T0_E_clISt17integral_constantIbLb0EESW_IbLb1EEEEDaSS_ST_EUlSS_E0_NS1_11comp_targetILNS1_3genE8ELNS1_11target_archE1030ELNS1_3gpuE2ELNS1_3repE0EEENS1_30default_config_static_selectorELNS0_4arch9wavefront6targetE1EEEvT1_,"axG",@progbits,_ZN7rocprim17ROCPRIM_400000_NS6detail17trampoline_kernelINS0_14default_configENS1_20scan_config_selectorIsEEZZNS1_9scan_implILNS1_25lookback_scan_determinismE0ELb1ELb1ES3_N6thrust23THRUST_200600_302600_NS6detail15normal_iteratorINS9_10device_ptrIsEEEENS9_16discard_iteratorINS9_11use_defaultEEEsNS9_4plusIvEEsEEDaPvRmT3_T4_T5_mT6_P12ihipStream_tbENKUlT_T0_E_clISt17integral_constantIbLb0EESW_IbLb1EEEEDaSS_ST_EUlSS_E0_NS1_11comp_targetILNS1_3genE8ELNS1_11target_archE1030ELNS1_3gpuE2ELNS1_3repE0EEENS1_30default_config_static_selectorELNS0_4arch9wavefront6targetE1EEEvT1_,comdat
.Lfunc_end6013:
	.size	_ZN7rocprim17ROCPRIM_400000_NS6detail17trampoline_kernelINS0_14default_configENS1_20scan_config_selectorIsEEZZNS1_9scan_implILNS1_25lookback_scan_determinismE0ELb1ELb1ES3_N6thrust23THRUST_200600_302600_NS6detail15normal_iteratorINS9_10device_ptrIsEEEENS9_16discard_iteratorINS9_11use_defaultEEEsNS9_4plusIvEEsEEDaPvRmT3_T4_T5_mT6_P12ihipStream_tbENKUlT_T0_E_clISt17integral_constantIbLb0EESW_IbLb1EEEEDaSS_ST_EUlSS_E0_NS1_11comp_targetILNS1_3genE8ELNS1_11target_archE1030ELNS1_3gpuE2ELNS1_3repE0EEENS1_30default_config_static_selectorELNS0_4arch9wavefront6targetE1EEEvT1_, .Lfunc_end6013-_ZN7rocprim17ROCPRIM_400000_NS6detail17trampoline_kernelINS0_14default_configENS1_20scan_config_selectorIsEEZZNS1_9scan_implILNS1_25lookback_scan_determinismE0ELb1ELb1ES3_N6thrust23THRUST_200600_302600_NS6detail15normal_iteratorINS9_10device_ptrIsEEEENS9_16discard_iteratorINS9_11use_defaultEEEsNS9_4plusIvEEsEEDaPvRmT3_T4_T5_mT6_P12ihipStream_tbENKUlT_T0_E_clISt17integral_constantIbLb0EESW_IbLb1EEEEDaSS_ST_EUlSS_E0_NS1_11comp_targetILNS1_3genE8ELNS1_11target_archE1030ELNS1_3gpuE2ELNS1_3repE0EEENS1_30default_config_static_selectorELNS0_4arch9wavefront6targetE1EEEvT1_
                                        ; -- End function
	.section	.AMDGPU.csdata,"",@progbits
; Kernel info:
; codeLenInByte = 0
; NumSgprs: 4
; NumVgprs: 0
; NumAgprs: 0
; TotalNumVgprs: 0
; ScratchSize: 0
; MemoryBound: 0
; FloatMode: 240
; IeeeMode: 1
; LDSByteSize: 0 bytes/workgroup (compile time only)
; SGPRBlocks: 0
; VGPRBlocks: 0
; NumSGPRsForWavesPerEU: 4
; NumVGPRsForWavesPerEU: 1
; AccumOffset: 4
; Occupancy: 8
; WaveLimiterHint : 0
; COMPUTE_PGM_RSRC2:SCRATCH_EN: 0
; COMPUTE_PGM_RSRC2:USER_SGPR: 6
; COMPUTE_PGM_RSRC2:TRAP_HANDLER: 0
; COMPUTE_PGM_RSRC2:TGID_X_EN: 1
; COMPUTE_PGM_RSRC2:TGID_Y_EN: 0
; COMPUTE_PGM_RSRC2:TGID_Z_EN: 0
; COMPUTE_PGM_RSRC2:TIDIG_COMP_CNT: 0
; COMPUTE_PGM_RSRC3_GFX90A:ACCUM_OFFSET: 0
; COMPUTE_PGM_RSRC3_GFX90A:TG_SPLIT: 0
	.section	.text._ZN6thrust23THRUST_200600_302600_NS11hip_rocprim14__parallel_for6kernelILj256ENS1_20__uninitialized_fill7functorINS0_10device_ptrIfEEfEEmLj1EEEvT0_T1_SA_,"axG",@progbits,_ZN6thrust23THRUST_200600_302600_NS11hip_rocprim14__parallel_for6kernelILj256ENS1_20__uninitialized_fill7functorINS0_10device_ptrIfEEfEEmLj1EEEvT0_T1_SA_,comdat
	.protected	_ZN6thrust23THRUST_200600_302600_NS11hip_rocprim14__parallel_for6kernelILj256ENS1_20__uninitialized_fill7functorINS0_10device_ptrIfEEfEEmLj1EEEvT0_T1_SA_ ; -- Begin function _ZN6thrust23THRUST_200600_302600_NS11hip_rocprim14__parallel_for6kernelILj256ENS1_20__uninitialized_fill7functorINS0_10device_ptrIfEEfEEmLj1EEEvT0_T1_SA_
	.globl	_ZN6thrust23THRUST_200600_302600_NS11hip_rocprim14__parallel_for6kernelILj256ENS1_20__uninitialized_fill7functorINS0_10device_ptrIfEEfEEmLj1EEEvT0_T1_SA_
	.p2align	8
	.type	_ZN6thrust23THRUST_200600_302600_NS11hip_rocprim14__parallel_for6kernelILj256ENS1_20__uninitialized_fill7functorINS0_10device_ptrIfEEfEEmLj1EEEvT0_T1_SA_,@function
_ZN6thrust23THRUST_200600_302600_NS11hip_rocprim14__parallel_for6kernelILj256ENS1_20__uninitialized_fill7functorINS0_10device_ptrIfEEfEEmLj1EEEvT0_T1_SA_: ; @_ZN6thrust23THRUST_200600_302600_NS11hip_rocprim14__parallel_for6kernelILj256ENS1_20__uninitialized_fill7functorINS0_10device_ptrIfEEfEEmLj1EEEvT0_T1_SA_
; %bb.0:
	s_load_dwordx4 s[8:11], s[4:5], 0x10
	s_lshl_b32 s0, s6, 8
	v_mov_b32_e32 v2, 0x100
	v_mov_b32_e32 v3, 0
	s_waitcnt lgkmcnt(0)
	s_add_u32 s0, s0, s10
	s_addc_u32 s1, 0, s11
	s_sub_u32 s2, s8, s0
	s_subb_u32 s3, s9, s1
	v_cmp_lt_u64_e32 vcc, s[2:3], v[2:3]
	s_cbranch_vccz .LBB6014_2
; %bb.1:
	v_cmp_gt_u32_e32 vcc, s2, v0
	s_and_b64 s[2:3], vcc, exec
	s_cbranch_execz .LBB6014_3
	s_branch .LBB6014_4
.LBB6014_2:
	s_mov_b64 s[2:3], 0
.LBB6014_3:
	s_or_b64 s[2:3], s[2:3], exec
.LBB6014_4:
	s_and_saveexec_b64 s[6:7], s[2:3]
	s_cbranch_execnz .LBB6014_6
; %bb.5:
	s_endpgm
.LBB6014_6:
	s_load_dwordx2 s[2:3], s[4:5], 0x0
	s_load_dword s6, s[4:5], 0x8
	s_lshl_b64 s[0:1], s[0:1], 2
	v_mov_b32_e32 v1, 0
	v_lshlrev_b64 v[0:1], 2, v[0:1]
	s_waitcnt lgkmcnt(0)
	s_add_u32 s0, s2, s0
	s_addc_u32 s1, s3, s1
	v_mov_b32_e32 v2, s1
	v_add_co_u32_e32 v0, vcc, s0, v0
	v_addc_co_u32_e32 v1, vcc, v2, v1, vcc
	v_mov_b32_e32 v2, s6
	flat_store_dword v[0:1], v2
	s_endpgm
	.section	.rodata,"a",@progbits
	.p2align	6, 0x0
	.amdhsa_kernel _ZN6thrust23THRUST_200600_302600_NS11hip_rocprim14__parallel_for6kernelILj256ENS1_20__uninitialized_fill7functorINS0_10device_ptrIfEEfEEmLj1EEEvT0_T1_SA_
		.amdhsa_group_segment_fixed_size 0
		.amdhsa_private_segment_fixed_size 0
		.amdhsa_kernarg_size 32
		.amdhsa_user_sgpr_count 6
		.amdhsa_user_sgpr_private_segment_buffer 1
		.amdhsa_user_sgpr_dispatch_ptr 0
		.amdhsa_user_sgpr_queue_ptr 0
		.amdhsa_user_sgpr_kernarg_segment_ptr 1
		.amdhsa_user_sgpr_dispatch_id 0
		.amdhsa_user_sgpr_flat_scratch_init 0
		.amdhsa_user_sgpr_kernarg_preload_length 0
		.amdhsa_user_sgpr_kernarg_preload_offset 0
		.amdhsa_user_sgpr_private_segment_size 0
		.amdhsa_uses_dynamic_stack 0
		.amdhsa_system_sgpr_private_segment_wavefront_offset 0
		.amdhsa_system_sgpr_workgroup_id_x 1
		.amdhsa_system_sgpr_workgroup_id_y 0
		.amdhsa_system_sgpr_workgroup_id_z 0
		.amdhsa_system_sgpr_workgroup_info 0
		.amdhsa_system_vgpr_workitem_id 0
		.amdhsa_next_free_vgpr 4
		.amdhsa_next_free_sgpr 12
		.amdhsa_accum_offset 4
		.amdhsa_reserve_vcc 1
		.amdhsa_reserve_flat_scratch 0
		.amdhsa_float_round_mode_32 0
		.amdhsa_float_round_mode_16_64 0
		.amdhsa_float_denorm_mode_32 3
		.amdhsa_float_denorm_mode_16_64 3
		.amdhsa_dx10_clamp 1
		.amdhsa_ieee_mode 1
		.amdhsa_fp16_overflow 0
		.amdhsa_tg_split 0
		.amdhsa_exception_fp_ieee_invalid_op 0
		.amdhsa_exception_fp_denorm_src 0
		.amdhsa_exception_fp_ieee_div_zero 0
		.amdhsa_exception_fp_ieee_overflow 0
		.amdhsa_exception_fp_ieee_underflow 0
		.amdhsa_exception_fp_ieee_inexact 0
		.amdhsa_exception_int_div_zero 0
	.end_amdhsa_kernel
	.section	.text._ZN6thrust23THRUST_200600_302600_NS11hip_rocprim14__parallel_for6kernelILj256ENS1_20__uninitialized_fill7functorINS0_10device_ptrIfEEfEEmLj1EEEvT0_T1_SA_,"axG",@progbits,_ZN6thrust23THRUST_200600_302600_NS11hip_rocprim14__parallel_for6kernelILj256ENS1_20__uninitialized_fill7functorINS0_10device_ptrIfEEfEEmLj1EEEvT0_T1_SA_,comdat
.Lfunc_end6014:
	.size	_ZN6thrust23THRUST_200600_302600_NS11hip_rocprim14__parallel_for6kernelILj256ENS1_20__uninitialized_fill7functorINS0_10device_ptrIfEEfEEmLj1EEEvT0_T1_SA_, .Lfunc_end6014-_ZN6thrust23THRUST_200600_302600_NS11hip_rocprim14__parallel_for6kernelILj256ENS1_20__uninitialized_fill7functorINS0_10device_ptrIfEEfEEmLj1EEEvT0_T1_SA_
                                        ; -- End function
	.section	.AMDGPU.csdata,"",@progbits
; Kernel info:
; codeLenInByte = 160
; NumSgprs: 16
; NumVgprs: 4
; NumAgprs: 0
; TotalNumVgprs: 4
; ScratchSize: 0
; MemoryBound: 0
; FloatMode: 240
; IeeeMode: 1
; LDSByteSize: 0 bytes/workgroup (compile time only)
; SGPRBlocks: 1
; VGPRBlocks: 0
; NumSGPRsForWavesPerEU: 16
; NumVGPRsForWavesPerEU: 4
; AccumOffset: 4
; Occupancy: 8
; WaveLimiterHint : 0
; COMPUTE_PGM_RSRC2:SCRATCH_EN: 0
; COMPUTE_PGM_RSRC2:USER_SGPR: 6
; COMPUTE_PGM_RSRC2:TRAP_HANDLER: 0
; COMPUTE_PGM_RSRC2:TGID_X_EN: 1
; COMPUTE_PGM_RSRC2:TGID_Y_EN: 0
; COMPUTE_PGM_RSRC2:TGID_Z_EN: 0
; COMPUTE_PGM_RSRC2:TIDIG_COMP_CNT: 0
; COMPUTE_PGM_RSRC3_GFX90A:ACCUM_OFFSET: 0
; COMPUTE_PGM_RSRC3_GFX90A:TG_SPLIT: 0
	.section	.text._ZN7rocprim17ROCPRIM_400000_NS6detail17trampoline_kernelINS0_14default_configENS1_20scan_config_selectorIjEEZZNS1_9scan_implILNS1_25lookback_scan_determinismE0ELb0ELb0ES3_N6thrust23THRUST_200600_302600_NS6detail15normal_iteratorINS9_10device_ptrIjEEEENSB_INSC_IfEEEEjNS9_4plusIvEEjEEDaPvRmT3_T4_T5_mT6_P12ihipStream_tbENKUlT_T0_E_clISt17integral_constantIbLb0EESW_EEDaSR_SS_EUlSR_E_NS1_11comp_targetILNS1_3genE0ELNS1_11target_archE4294967295ELNS1_3gpuE0ELNS1_3repE0EEENS1_30default_config_static_selectorELNS0_4arch9wavefront6targetE1EEEvT1_,"axG",@progbits,_ZN7rocprim17ROCPRIM_400000_NS6detail17trampoline_kernelINS0_14default_configENS1_20scan_config_selectorIjEEZZNS1_9scan_implILNS1_25lookback_scan_determinismE0ELb0ELb0ES3_N6thrust23THRUST_200600_302600_NS6detail15normal_iteratorINS9_10device_ptrIjEEEENSB_INSC_IfEEEEjNS9_4plusIvEEjEEDaPvRmT3_T4_T5_mT6_P12ihipStream_tbENKUlT_T0_E_clISt17integral_constantIbLb0EESW_EEDaSR_SS_EUlSR_E_NS1_11comp_targetILNS1_3genE0ELNS1_11target_archE4294967295ELNS1_3gpuE0ELNS1_3repE0EEENS1_30default_config_static_selectorELNS0_4arch9wavefront6targetE1EEEvT1_,comdat
	.protected	_ZN7rocprim17ROCPRIM_400000_NS6detail17trampoline_kernelINS0_14default_configENS1_20scan_config_selectorIjEEZZNS1_9scan_implILNS1_25lookback_scan_determinismE0ELb0ELb0ES3_N6thrust23THRUST_200600_302600_NS6detail15normal_iteratorINS9_10device_ptrIjEEEENSB_INSC_IfEEEEjNS9_4plusIvEEjEEDaPvRmT3_T4_T5_mT6_P12ihipStream_tbENKUlT_T0_E_clISt17integral_constantIbLb0EESW_EEDaSR_SS_EUlSR_E_NS1_11comp_targetILNS1_3genE0ELNS1_11target_archE4294967295ELNS1_3gpuE0ELNS1_3repE0EEENS1_30default_config_static_selectorELNS0_4arch9wavefront6targetE1EEEvT1_ ; -- Begin function _ZN7rocprim17ROCPRIM_400000_NS6detail17trampoline_kernelINS0_14default_configENS1_20scan_config_selectorIjEEZZNS1_9scan_implILNS1_25lookback_scan_determinismE0ELb0ELb0ES3_N6thrust23THRUST_200600_302600_NS6detail15normal_iteratorINS9_10device_ptrIjEEEENSB_INSC_IfEEEEjNS9_4plusIvEEjEEDaPvRmT3_T4_T5_mT6_P12ihipStream_tbENKUlT_T0_E_clISt17integral_constantIbLb0EESW_EEDaSR_SS_EUlSR_E_NS1_11comp_targetILNS1_3genE0ELNS1_11target_archE4294967295ELNS1_3gpuE0ELNS1_3repE0EEENS1_30default_config_static_selectorELNS0_4arch9wavefront6targetE1EEEvT1_
	.globl	_ZN7rocprim17ROCPRIM_400000_NS6detail17trampoline_kernelINS0_14default_configENS1_20scan_config_selectorIjEEZZNS1_9scan_implILNS1_25lookback_scan_determinismE0ELb0ELb0ES3_N6thrust23THRUST_200600_302600_NS6detail15normal_iteratorINS9_10device_ptrIjEEEENSB_INSC_IfEEEEjNS9_4plusIvEEjEEDaPvRmT3_T4_T5_mT6_P12ihipStream_tbENKUlT_T0_E_clISt17integral_constantIbLb0EESW_EEDaSR_SS_EUlSR_E_NS1_11comp_targetILNS1_3genE0ELNS1_11target_archE4294967295ELNS1_3gpuE0ELNS1_3repE0EEENS1_30default_config_static_selectorELNS0_4arch9wavefront6targetE1EEEvT1_
	.p2align	8
	.type	_ZN7rocprim17ROCPRIM_400000_NS6detail17trampoline_kernelINS0_14default_configENS1_20scan_config_selectorIjEEZZNS1_9scan_implILNS1_25lookback_scan_determinismE0ELb0ELb0ES3_N6thrust23THRUST_200600_302600_NS6detail15normal_iteratorINS9_10device_ptrIjEEEENSB_INSC_IfEEEEjNS9_4plusIvEEjEEDaPvRmT3_T4_T5_mT6_P12ihipStream_tbENKUlT_T0_E_clISt17integral_constantIbLb0EESW_EEDaSR_SS_EUlSR_E_NS1_11comp_targetILNS1_3genE0ELNS1_11target_archE4294967295ELNS1_3gpuE0ELNS1_3repE0EEENS1_30default_config_static_selectorELNS0_4arch9wavefront6targetE1EEEvT1_,@function
_ZN7rocprim17ROCPRIM_400000_NS6detail17trampoline_kernelINS0_14default_configENS1_20scan_config_selectorIjEEZZNS1_9scan_implILNS1_25lookback_scan_determinismE0ELb0ELb0ES3_N6thrust23THRUST_200600_302600_NS6detail15normal_iteratorINS9_10device_ptrIjEEEENSB_INSC_IfEEEEjNS9_4plusIvEEjEEDaPvRmT3_T4_T5_mT6_P12ihipStream_tbENKUlT_T0_E_clISt17integral_constantIbLb0EESW_EEDaSR_SS_EUlSR_E_NS1_11comp_targetILNS1_3genE0ELNS1_11target_archE4294967295ELNS1_3gpuE0ELNS1_3repE0EEENS1_30default_config_static_selectorELNS0_4arch9wavefront6targetE1EEEvT1_: ; @_ZN7rocprim17ROCPRIM_400000_NS6detail17trampoline_kernelINS0_14default_configENS1_20scan_config_selectorIjEEZZNS1_9scan_implILNS1_25lookback_scan_determinismE0ELb0ELb0ES3_N6thrust23THRUST_200600_302600_NS6detail15normal_iteratorINS9_10device_ptrIjEEEENSB_INSC_IfEEEEjNS9_4plusIvEEjEEDaPvRmT3_T4_T5_mT6_P12ihipStream_tbENKUlT_T0_E_clISt17integral_constantIbLb0EESW_EEDaSR_SS_EUlSR_E_NS1_11comp_targetILNS1_3genE0ELNS1_11target_archE4294967295ELNS1_3gpuE0ELNS1_3repE0EEENS1_30default_config_static_selectorELNS0_4arch9wavefront6targetE1EEEvT1_
; %bb.0:
	.section	.rodata,"a",@progbits
	.p2align	6, 0x0
	.amdhsa_kernel _ZN7rocprim17ROCPRIM_400000_NS6detail17trampoline_kernelINS0_14default_configENS1_20scan_config_selectorIjEEZZNS1_9scan_implILNS1_25lookback_scan_determinismE0ELb0ELb0ES3_N6thrust23THRUST_200600_302600_NS6detail15normal_iteratorINS9_10device_ptrIjEEEENSB_INSC_IfEEEEjNS9_4plusIvEEjEEDaPvRmT3_T4_T5_mT6_P12ihipStream_tbENKUlT_T0_E_clISt17integral_constantIbLb0EESW_EEDaSR_SS_EUlSR_E_NS1_11comp_targetILNS1_3genE0ELNS1_11target_archE4294967295ELNS1_3gpuE0ELNS1_3repE0EEENS1_30default_config_static_selectorELNS0_4arch9wavefront6targetE1EEEvT1_
		.amdhsa_group_segment_fixed_size 0
		.amdhsa_private_segment_fixed_size 0
		.amdhsa_kernarg_size 96
		.amdhsa_user_sgpr_count 6
		.amdhsa_user_sgpr_private_segment_buffer 1
		.amdhsa_user_sgpr_dispatch_ptr 0
		.amdhsa_user_sgpr_queue_ptr 0
		.amdhsa_user_sgpr_kernarg_segment_ptr 1
		.amdhsa_user_sgpr_dispatch_id 0
		.amdhsa_user_sgpr_flat_scratch_init 0
		.amdhsa_user_sgpr_kernarg_preload_length 0
		.amdhsa_user_sgpr_kernarg_preload_offset 0
		.amdhsa_user_sgpr_private_segment_size 0
		.amdhsa_uses_dynamic_stack 0
		.amdhsa_system_sgpr_private_segment_wavefront_offset 0
		.amdhsa_system_sgpr_workgroup_id_x 1
		.amdhsa_system_sgpr_workgroup_id_y 0
		.amdhsa_system_sgpr_workgroup_id_z 0
		.amdhsa_system_sgpr_workgroup_info 0
		.amdhsa_system_vgpr_workitem_id 0
		.amdhsa_next_free_vgpr 1
		.amdhsa_next_free_sgpr 0
		.amdhsa_accum_offset 4
		.amdhsa_reserve_vcc 0
		.amdhsa_reserve_flat_scratch 0
		.amdhsa_float_round_mode_32 0
		.amdhsa_float_round_mode_16_64 0
		.amdhsa_float_denorm_mode_32 3
		.amdhsa_float_denorm_mode_16_64 3
		.amdhsa_dx10_clamp 1
		.amdhsa_ieee_mode 1
		.amdhsa_fp16_overflow 0
		.amdhsa_tg_split 0
		.amdhsa_exception_fp_ieee_invalid_op 0
		.amdhsa_exception_fp_denorm_src 0
		.amdhsa_exception_fp_ieee_div_zero 0
		.amdhsa_exception_fp_ieee_overflow 0
		.amdhsa_exception_fp_ieee_underflow 0
		.amdhsa_exception_fp_ieee_inexact 0
		.amdhsa_exception_int_div_zero 0
	.end_amdhsa_kernel
	.section	.text._ZN7rocprim17ROCPRIM_400000_NS6detail17trampoline_kernelINS0_14default_configENS1_20scan_config_selectorIjEEZZNS1_9scan_implILNS1_25lookback_scan_determinismE0ELb0ELb0ES3_N6thrust23THRUST_200600_302600_NS6detail15normal_iteratorINS9_10device_ptrIjEEEENSB_INSC_IfEEEEjNS9_4plusIvEEjEEDaPvRmT3_T4_T5_mT6_P12ihipStream_tbENKUlT_T0_E_clISt17integral_constantIbLb0EESW_EEDaSR_SS_EUlSR_E_NS1_11comp_targetILNS1_3genE0ELNS1_11target_archE4294967295ELNS1_3gpuE0ELNS1_3repE0EEENS1_30default_config_static_selectorELNS0_4arch9wavefront6targetE1EEEvT1_,"axG",@progbits,_ZN7rocprim17ROCPRIM_400000_NS6detail17trampoline_kernelINS0_14default_configENS1_20scan_config_selectorIjEEZZNS1_9scan_implILNS1_25lookback_scan_determinismE0ELb0ELb0ES3_N6thrust23THRUST_200600_302600_NS6detail15normal_iteratorINS9_10device_ptrIjEEEENSB_INSC_IfEEEEjNS9_4plusIvEEjEEDaPvRmT3_T4_T5_mT6_P12ihipStream_tbENKUlT_T0_E_clISt17integral_constantIbLb0EESW_EEDaSR_SS_EUlSR_E_NS1_11comp_targetILNS1_3genE0ELNS1_11target_archE4294967295ELNS1_3gpuE0ELNS1_3repE0EEENS1_30default_config_static_selectorELNS0_4arch9wavefront6targetE1EEEvT1_,comdat
.Lfunc_end6015:
	.size	_ZN7rocprim17ROCPRIM_400000_NS6detail17trampoline_kernelINS0_14default_configENS1_20scan_config_selectorIjEEZZNS1_9scan_implILNS1_25lookback_scan_determinismE0ELb0ELb0ES3_N6thrust23THRUST_200600_302600_NS6detail15normal_iteratorINS9_10device_ptrIjEEEENSB_INSC_IfEEEEjNS9_4plusIvEEjEEDaPvRmT3_T4_T5_mT6_P12ihipStream_tbENKUlT_T0_E_clISt17integral_constantIbLb0EESW_EEDaSR_SS_EUlSR_E_NS1_11comp_targetILNS1_3genE0ELNS1_11target_archE4294967295ELNS1_3gpuE0ELNS1_3repE0EEENS1_30default_config_static_selectorELNS0_4arch9wavefront6targetE1EEEvT1_, .Lfunc_end6015-_ZN7rocprim17ROCPRIM_400000_NS6detail17trampoline_kernelINS0_14default_configENS1_20scan_config_selectorIjEEZZNS1_9scan_implILNS1_25lookback_scan_determinismE0ELb0ELb0ES3_N6thrust23THRUST_200600_302600_NS6detail15normal_iteratorINS9_10device_ptrIjEEEENSB_INSC_IfEEEEjNS9_4plusIvEEjEEDaPvRmT3_T4_T5_mT6_P12ihipStream_tbENKUlT_T0_E_clISt17integral_constantIbLb0EESW_EEDaSR_SS_EUlSR_E_NS1_11comp_targetILNS1_3genE0ELNS1_11target_archE4294967295ELNS1_3gpuE0ELNS1_3repE0EEENS1_30default_config_static_selectorELNS0_4arch9wavefront6targetE1EEEvT1_
                                        ; -- End function
	.section	.AMDGPU.csdata,"",@progbits
; Kernel info:
; codeLenInByte = 0
; NumSgprs: 4
; NumVgprs: 0
; NumAgprs: 0
; TotalNumVgprs: 0
; ScratchSize: 0
; MemoryBound: 0
; FloatMode: 240
; IeeeMode: 1
; LDSByteSize: 0 bytes/workgroup (compile time only)
; SGPRBlocks: 0
; VGPRBlocks: 0
; NumSGPRsForWavesPerEU: 4
; NumVGPRsForWavesPerEU: 1
; AccumOffset: 4
; Occupancy: 8
; WaveLimiterHint : 0
; COMPUTE_PGM_RSRC2:SCRATCH_EN: 0
; COMPUTE_PGM_RSRC2:USER_SGPR: 6
; COMPUTE_PGM_RSRC2:TRAP_HANDLER: 0
; COMPUTE_PGM_RSRC2:TGID_X_EN: 1
; COMPUTE_PGM_RSRC2:TGID_Y_EN: 0
; COMPUTE_PGM_RSRC2:TGID_Z_EN: 0
; COMPUTE_PGM_RSRC2:TIDIG_COMP_CNT: 0
; COMPUTE_PGM_RSRC3_GFX90A:ACCUM_OFFSET: 0
; COMPUTE_PGM_RSRC3_GFX90A:TG_SPLIT: 0
	.section	.text._ZN7rocprim17ROCPRIM_400000_NS6detail17trampoline_kernelINS0_14default_configENS1_20scan_config_selectorIjEEZZNS1_9scan_implILNS1_25lookback_scan_determinismE0ELb0ELb0ES3_N6thrust23THRUST_200600_302600_NS6detail15normal_iteratorINS9_10device_ptrIjEEEENSB_INSC_IfEEEEjNS9_4plusIvEEjEEDaPvRmT3_T4_T5_mT6_P12ihipStream_tbENKUlT_T0_E_clISt17integral_constantIbLb0EESW_EEDaSR_SS_EUlSR_E_NS1_11comp_targetILNS1_3genE5ELNS1_11target_archE942ELNS1_3gpuE9ELNS1_3repE0EEENS1_30default_config_static_selectorELNS0_4arch9wavefront6targetE1EEEvT1_,"axG",@progbits,_ZN7rocprim17ROCPRIM_400000_NS6detail17trampoline_kernelINS0_14default_configENS1_20scan_config_selectorIjEEZZNS1_9scan_implILNS1_25lookback_scan_determinismE0ELb0ELb0ES3_N6thrust23THRUST_200600_302600_NS6detail15normal_iteratorINS9_10device_ptrIjEEEENSB_INSC_IfEEEEjNS9_4plusIvEEjEEDaPvRmT3_T4_T5_mT6_P12ihipStream_tbENKUlT_T0_E_clISt17integral_constantIbLb0EESW_EEDaSR_SS_EUlSR_E_NS1_11comp_targetILNS1_3genE5ELNS1_11target_archE942ELNS1_3gpuE9ELNS1_3repE0EEENS1_30default_config_static_selectorELNS0_4arch9wavefront6targetE1EEEvT1_,comdat
	.protected	_ZN7rocprim17ROCPRIM_400000_NS6detail17trampoline_kernelINS0_14default_configENS1_20scan_config_selectorIjEEZZNS1_9scan_implILNS1_25lookback_scan_determinismE0ELb0ELb0ES3_N6thrust23THRUST_200600_302600_NS6detail15normal_iteratorINS9_10device_ptrIjEEEENSB_INSC_IfEEEEjNS9_4plusIvEEjEEDaPvRmT3_T4_T5_mT6_P12ihipStream_tbENKUlT_T0_E_clISt17integral_constantIbLb0EESW_EEDaSR_SS_EUlSR_E_NS1_11comp_targetILNS1_3genE5ELNS1_11target_archE942ELNS1_3gpuE9ELNS1_3repE0EEENS1_30default_config_static_selectorELNS0_4arch9wavefront6targetE1EEEvT1_ ; -- Begin function _ZN7rocprim17ROCPRIM_400000_NS6detail17trampoline_kernelINS0_14default_configENS1_20scan_config_selectorIjEEZZNS1_9scan_implILNS1_25lookback_scan_determinismE0ELb0ELb0ES3_N6thrust23THRUST_200600_302600_NS6detail15normal_iteratorINS9_10device_ptrIjEEEENSB_INSC_IfEEEEjNS9_4plusIvEEjEEDaPvRmT3_T4_T5_mT6_P12ihipStream_tbENKUlT_T0_E_clISt17integral_constantIbLb0EESW_EEDaSR_SS_EUlSR_E_NS1_11comp_targetILNS1_3genE5ELNS1_11target_archE942ELNS1_3gpuE9ELNS1_3repE0EEENS1_30default_config_static_selectorELNS0_4arch9wavefront6targetE1EEEvT1_
	.globl	_ZN7rocprim17ROCPRIM_400000_NS6detail17trampoline_kernelINS0_14default_configENS1_20scan_config_selectorIjEEZZNS1_9scan_implILNS1_25lookback_scan_determinismE0ELb0ELb0ES3_N6thrust23THRUST_200600_302600_NS6detail15normal_iteratorINS9_10device_ptrIjEEEENSB_INSC_IfEEEEjNS9_4plusIvEEjEEDaPvRmT3_T4_T5_mT6_P12ihipStream_tbENKUlT_T0_E_clISt17integral_constantIbLb0EESW_EEDaSR_SS_EUlSR_E_NS1_11comp_targetILNS1_3genE5ELNS1_11target_archE942ELNS1_3gpuE9ELNS1_3repE0EEENS1_30default_config_static_selectorELNS0_4arch9wavefront6targetE1EEEvT1_
	.p2align	8
	.type	_ZN7rocprim17ROCPRIM_400000_NS6detail17trampoline_kernelINS0_14default_configENS1_20scan_config_selectorIjEEZZNS1_9scan_implILNS1_25lookback_scan_determinismE0ELb0ELb0ES3_N6thrust23THRUST_200600_302600_NS6detail15normal_iteratorINS9_10device_ptrIjEEEENSB_INSC_IfEEEEjNS9_4plusIvEEjEEDaPvRmT3_T4_T5_mT6_P12ihipStream_tbENKUlT_T0_E_clISt17integral_constantIbLb0EESW_EEDaSR_SS_EUlSR_E_NS1_11comp_targetILNS1_3genE5ELNS1_11target_archE942ELNS1_3gpuE9ELNS1_3repE0EEENS1_30default_config_static_selectorELNS0_4arch9wavefront6targetE1EEEvT1_,@function
_ZN7rocprim17ROCPRIM_400000_NS6detail17trampoline_kernelINS0_14default_configENS1_20scan_config_selectorIjEEZZNS1_9scan_implILNS1_25lookback_scan_determinismE0ELb0ELb0ES3_N6thrust23THRUST_200600_302600_NS6detail15normal_iteratorINS9_10device_ptrIjEEEENSB_INSC_IfEEEEjNS9_4plusIvEEjEEDaPvRmT3_T4_T5_mT6_P12ihipStream_tbENKUlT_T0_E_clISt17integral_constantIbLb0EESW_EEDaSR_SS_EUlSR_E_NS1_11comp_targetILNS1_3genE5ELNS1_11target_archE942ELNS1_3gpuE9ELNS1_3repE0EEENS1_30default_config_static_selectorELNS0_4arch9wavefront6targetE1EEEvT1_: ; @_ZN7rocprim17ROCPRIM_400000_NS6detail17trampoline_kernelINS0_14default_configENS1_20scan_config_selectorIjEEZZNS1_9scan_implILNS1_25lookback_scan_determinismE0ELb0ELb0ES3_N6thrust23THRUST_200600_302600_NS6detail15normal_iteratorINS9_10device_ptrIjEEEENSB_INSC_IfEEEEjNS9_4plusIvEEjEEDaPvRmT3_T4_T5_mT6_P12ihipStream_tbENKUlT_T0_E_clISt17integral_constantIbLb0EESW_EEDaSR_SS_EUlSR_E_NS1_11comp_targetILNS1_3genE5ELNS1_11target_archE942ELNS1_3gpuE9ELNS1_3repE0EEENS1_30default_config_static_selectorELNS0_4arch9wavefront6targetE1EEEvT1_
; %bb.0:
	.section	.rodata,"a",@progbits
	.p2align	6, 0x0
	.amdhsa_kernel _ZN7rocprim17ROCPRIM_400000_NS6detail17trampoline_kernelINS0_14default_configENS1_20scan_config_selectorIjEEZZNS1_9scan_implILNS1_25lookback_scan_determinismE0ELb0ELb0ES3_N6thrust23THRUST_200600_302600_NS6detail15normal_iteratorINS9_10device_ptrIjEEEENSB_INSC_IfEEEEjNS9_4plusIvEEjEEDaPvRmT3_T4_T5_mT6_P12ihipStream_tbENKUlT_T0_E_clISt17integral_constantIbLb0EESW_EEDaSR_SS_EUlSR_E_NS1_11comp_targetILNS1_3genE5ELNS1_11target_archE942ELNS1_3gpuE9ELNS1_3repE0EEENS1_30default_config_static_selectorELNS0_4arch9wavefront6targetE1EEEvT1_
		.amdhsa_group_segment_fixed_size 0
		.amdhsa_private_segment_fixed_size 0
		.amdhsa_kernarg_size 96
		.amdhsa_user_sgpr_count 6
		.amdhsa_user_sgpr_private_segment_buffer 1
		.amdhsa_user_sgpr_dispatch_ptr 0
		.amdhsa_user_sgpr_queue_ptr 0
		.amdhsa_user_sgpr_kernarg_segment_ptr 1
		.amdhsa_user_sgpr_dispatch_id 0
		.amdhsa_user_sgpr_flat_scratch_init 0
		.amdhsa_user_sgpr_kernarg_preload_length 0
		.amdhsa_user_sgpr_kernarg_preload_offset 0
		.amdhsa_user_sgpr_private_segment_size 0
		.amdhsa_uses_dynamic_stack 0
		.amdhsa_system_sgpr_private_segment_wavefront_offset 0
		.amdhsa_system_sgpr_workgroup_id_x 1
		.amdhsa_system_sgpr_workgroup_id_y 0
		.amdhsa_system_sgpr_workgroup_id_z 0
		.amdhsa_system_sgpr_workgroup_info 0
		.amdhsa_system_vgpr_workitem_id 0
		.amdhsa_next_free_vgpr 1
		.amdhsa_next_free_sgpr 0
		.amdhsa_accum_offset 4
		.amdhsa_reserve_vcc 0
		.amdhsa_reserve_flat_scratch 0
		.amdhsa_float_round_mode_32 0
		.amdhsa_float_round_mode_16_64 0
		.amdhsa_float_denorm_mode_32 3
		.amdhsa_float_denorm_mode_16_64 3
		.amdhsa_dx10_clamp 1
		.amdhsa_ieee_mode 1
		.amdhsa_fp16_overflow 0
		.amdhsa_tg_split 0
		.amdhsa_exception_fp_ieee_invalid_op 0
		.amdhsa_exception_fp_denorm_src 0
		.amdhsa_exception_fp_ieee_div_zero 0
		.amdhsa_exception_fp_ieee_overflow 0
		.amdhsa_exception_fp_ieee_underflow 0
		.amdhsa_exception_fp_ieee_inexact 0
		.amdhsa_exception_int_div_zero 0
	.end_amdhsa_kernel
	.section	.text._ZN7rocprim17ROCPRIM_400000_NS6detail17trampoline_kernelINS0_14default_configENS1_20scan_config_selectorIjEEZZNS1_9scan_implILNS1_25lookback_scan_determinismE0ELb0ELb0ES3_N6thrust23THRUST_200600_302600_NS6detail15normal_iteratorINS9_10device_ptrIjEEEENSB_INSC_IfEEEEjNS9_4plusIvEEjEEDaPvRmT3_T4_T5_mT6_P12ihipStream_tbENKUlT_T0_E_clISt17integral_constantIbLb0EESW_EEDaSR_SS_EUlSR_E_NS1_11comp_targetILNS1_3genE5ELNS1_11target_archE942ELNS1_3gpuE9ELNS1_3repE0EEENS1_30default_config_static_selectorELNS0_4arch9wavefront6targetE1EEEvT1_,"axG",@progbits,_ZN7rocprim17ROCPRIM_400000_NS6detail17trampoline_kernelINS0_14default_configENS1_20scan_config_selectorIjEEZZNS1_9scan_implILNS1_25lookback_scan_determinismE0ELb0ELb0ES3_N6thrust23THRUST_200600_302600_NS6detail15normal_iteratorINS9_10device_ptrIjEEEENSB_INSC_IfEEEEjNS9_4plusIvEEjEEDaPvRmT3_T4_T5_mT6_P12ihipStream_tbENKUlT_T0_E_clISt17integral_constantIbLb0EESW_EEDaSR_SS_EUlSR_E_NS1_11comp_targetILNS1_3genE5ELNS1_11target_archE942ELNS1_3gpuE9ELNS1_3repE0EEENS1_30default_config_static_selectorELNS0_4arch9wavefront6targetE1EEEvT1_,comdat
.Lfunc_end6016:
	.size	_ZN7rocprim17ROCPRIM_400000_NS6detail17trampoline_kernelINS0_14default_configENS1_20scan_config_selectorIjEEZZNS1_9scan_implILNS1_25lookback_scan_determinismE0ELb0ELb0ES3_N6thrust23THRUST_200600_302600_NS6detail15normal_iteratorINS9_10device_ptrIjEEEENSB_INSC_IfEEEEjNS9_4plusIvEEjEEDaPvRmT3_T4_T5_mT6_P12ihipStream_tbENKUlT_T0_E_clISt17integral_constantIbLb0EESW_EEDaSR_SS_EUlSR_E_NS1_11comp_targetILNS1_3genE5ELNS1_11target_archE942ELNS1_3gpuE9ELNS1_3repE0EEENS1_30default_config_static_selectorELNS0_4arch9wavefront6targetE1EEEvT1_, .Lfunc_end6016-_ZN7rocprim17ROCPRIM_400000_NS6detail17trampoline_kernelINS0_14default_configENS1_20scan_config_selectorIjEEZZNS1_9scan_implILNS1_25lookback_scan_determinismE0ELb0ELb0ES3_N6thrust23THRUST_200600_302600_NS6detail15normal_iteratorINS9_10device_ptrIjEEEENSB_INSC_IfEEEEjNS9_4plusIvEEjEEDaPvRmT3_T4_T5_mT6_P12ihipStream_tbENKUlT_T0_E_clISt17integral_constantIbLb0EESW_EEDaSR_SS_EUlSR_E_NS1_11comp_targetILNS1_3genE5ELNS1_11target_archE942ELNS1_3gpuE9ELNS1_3repE0EEENS1_30default_config_static_selectorELNS0_4arch9wavefront6targetE1EEEvT1_
                                        ; -- End function
	.section	.AMDGPU.csdata,"",@progbits
; Kernel info:
; codeLenInByte = 0
; NumSgprs: 4
; NumVgprs: 0
; NumAgprs: 0
; TotalNumVgprs: 0
; ScratchSize: 0
; MemoryBound: 0
; FloatMode: 240
; IeeeMode: 1
; LDSByteSize: 0 bytes/workgroup (compile time only)
; SGPRBlocks: 0
; VGPRBlocks: 0
; NumSGPRsForWavesPerEU: 4
; NumVGPRsForWavesPerEU: 1
; AccumOffset: 4
; Occupancy: 8
; WaveLimiterHint : 0
; COMPUTE_PGM_RSRC2:SCRATCH_EN: 0
; COMPUTE_PGM_RSRC2:USER_SGPR: 6
; COMPUTE_PGM_RSRC2:TRAP_HANDLER: 0
; COMPUTE_PGM_RSRC2:TGID_X_EN: 1
; COMPUTE_PGM_RSRC2:TGID_Y_EN: 0
; COMPUTE_PGM_RSRC2:TGID_Z_EN: 0
; COMPUTE_PGM_RSRC2:TIDIG_COMP_CNT: 0
; COMPUTE_PGM_RSRC3_GFX90A:ACCUM_OFFSET: 0
; COMPUTE_PGM_RSRC3_GFX90A:TG_SPLIT: 0
	.section	.text._ZN7rocprim17ROCPRIM_400000_NS6detail17trampoline_kernelINS0_14default_configENS1_20scan_config_selectorIjEEZZNS1_9scan_implILNS1_25lookback_scan_determinismE0ELb0ELb0ES3_N6thrust23THRUST_200600_302600_NS6detail15normal_iteratorINS9_10device_ptrIjEEEENSB_INSC_IfEEEEjNS9_4plusIvEEjEEDaPvRmT3_T4_T5_mT6_P12ihipStream_tbENKUlT_T0_E_clISt17integral_constantIbLb0EESW_EEDaSR_SS_EUlSR_E_NS1_11comp_targetILNS1_3genE4ELNS1_11target_archE910ELNS1_3gpuE8ELNS1_3repE0EEENS1_30default_config_static_selectorELNS0_4arch9wavefront6targetE1EEEvT1_,"axG",@progbits,_ZN7rocprim17ROCPRIM_400000_NS6detail17trampoline_kernelINS0_14default_configENS1_20scan_config_selectorIjEEZZNS1_9scan_implILNS1_25lookback_scan_determinismE0ELb0ELb0ES3_N6thrust23THRUST_200600_302600_NS6detail15normal_iteratorINS9_10device_ptrIjEEEENSB_INSC_IfEEEEjNS9_4plusIvEEjEEDaPvRmT3_T4_T5_mT6_P12ihipStream_tbENKUlT_T0_E_clISt17integral_constantIbLb0EESW_EEDaSR_SS_EUlSR_E_NS1_11comp_targetILNS1_3genE4ELNS1_11target_archE910ELNS1_3gpuE8ELNS1_3repE0EEENS1_30default_config_static_selectorELNS0_4arch9wavefront6targetE1EEEvT1_,comdat
	.protected	_ZN7rocprim17ROCPRIM_400000_NS6detail17trampoline_kernelINS0_14default_configENS1_20scan_config_selectorIjEEZZNS1_9scan_implILNS1_25lookback_scan_determinismE0ELb0ELb0ES3_N6thrust23THRUST_200600_302600_NS6detail15normal_iteratorINS9_10device_ptrIjEEEENSB_INSC_IfEEEEjNS9_4plusIvEEjEEDaPvRmT3_T4_T5_mT6_P12ihipStream_tbENKUlT_T0_E_clISt17integral_constantIbLb0EESW_EEDaSR_SS_EUlSR_E_NS1_11comp_targetILNS1_3genE4ELNS1_11target_archE910ELNS1_3gpuE8ELNS1_3repE0EEENS1_30default_config_static_selectorELNS0_4arch9wavefront6targetE1EEEvT1_ ; -- Begin function _ZN7rocprim17ROCPRIM_400000_NS6detail17trampoline_kernelINS0_14default_configENS1_20scan_config_selectorIjEEZZNS1_9scan_implILNS1_25lookback_scan_determinismE0ELb0ELb0ES3_N6thrust23THRUST_200600_302600_NS6detail15normal_iteratorINS9_10device_ptrIjEEEENSB_INSC_IfEEEEjNS9_4plusIvEEjEEDaPvRmT3_T4_T5_mT6_P12ihipStream_tbENKUlT_T0_E_clISt17integral_constantIbLb0EESW_EEDaSR_SS_EUlSR_E_NS1_11comp_targetILNS1_3genE4ELNS1_11target_archE910ELNS1_3gpuE8ELNS1_3repE0EEENS1_30default_config_static_selectorELNS0_4arch9wavefront6targetE1EEEvT1_
	.globl	_ZN7rocprim17ROCPRIM_400000_NS6detail17trampoline_kernelINS0_14default_configENS1_20scan_config_selectorIjEEZZNS1_9scan_implILNS1_25lookback_scan_determinismE0ELb0ELb0ES3_N6thrust23THRUST_200600_302600_NS6detail15normal_iteratorINS9_10device_ptrIjEEEENSB_INSC_IfEEEEjNS9_4plusIvEEjEEDaPvRmT3_T4_T5_mT6_P12ihipStream_tbENKUlT_T0_E_clISt17integral_constantIbLb0EESW_EEDaSR_SS_EUlSR_E_NS1_11comp_targetILNS1_3genE4ELNS1_11target_archE910ELNS1_3gpuE8ELNS1_3repE0EEENS1_30default_config_static_selectorELNS0_4arch9wavefront6targetE1EEEvT1_
	.p2align	8
	.type	_ZN7rocprim17ROCPRIM_400000_NS6detail17trampoline_kernelINS0_14default_configENS1_20scan_config_selectorIjEEZZNS1_9scan_implILNS1_25lookback_scan_determinismE0ELb0ELb0ES3_N6thrust23THRUST_200600_302600_NS6detail15normal_iteratorINS9_10device_ptrIjEEEENSB_INSC_IfEEEEjNS9_4plusIvEEjEEDaPvRmT3_T4_T5_mT6_P12ihipStream_tbENKUlT_T0_E_clISt17integral_constantIbLb0EESW_EEDaSR_SS_EUlSR_E_NS1_11comp_targetILNS1_3genE4ELNS1_11target_archE910ELNS1_3gpuE8ELNS1_3repE0EEENS1_30default_config_static_selectorELNS0_4arch9wavefront6targetE1EEEvT1_,@function
_ZN7rocprim17ROCPRIM_400000_NS6detail17trampoline_kernelINS0_14default_configENS1_20scan_config_selectorIjEEZZNS1_9scan_implILNS1_25lookback_scan_determinismE0ELb0ELb0ES3_N6thrust23THRUST_200600_302600_NS6detail15normal_iteratorINS9_10device_ptrIjEEEENSB_INSC_IfEEEEjNS9_4plusIvEEjEEDaPvRmT3_T4_T5_mT6_P12ihipStream_tbENKUlT_T0_E_clISt17integral_constantIbLb0EESW_EEDaSR_SS_EUlSR_E_NS1_11comp_targetILNS1_3genE4ELNS1_11target_archE910ELNS1_3gpuE8ELNS1_3repE0EEENS1_30default_config_static_selectorELNS0_4arch9wavefront6targetE1EEEvT1_: ; @_ZN7rocprim17ROCPRIM_400000_NS6detail17trampoline_kernelINS0_14default_configENS1_20scan_config_selectorIjEEZZNS1_9scan_implILNS1_25lookback_scan_determinismE0ELb0ELb0ES3_N6thrust23THRUST_200600_302600_NS6detail15normal_iteratorINS9_10device_ptrIjEEEENSB_INSC_IfEEEEjNS9_4plusIvEEjEEDaPvRmT3_T4_T5_mT6_P12ihipStream_tbENKUlT_T0_E_clISt17integral_constantIbLb0EESW_EEDaSR_SS_EUlSR_E_NS1_11comp_targetILNS1_3genE4ELNS1_11target_archE910ELNS1_3gpuE8ELNS1_3repE0EEENS1_30default_config_static_selectorELNS0_4arch9wavefront6targetE1EEEvT1_
; %bb.0:
	s_load_dwordx8 s[8:15], s[4:5], 0x0
	s_load_dword s1, s[4:5], 0x30
	s_mul_i32 s0, s6, 0x500
	v_lshlrev_b32_e32 v22, 2, v0
	s_waitcnt lgkmcnt(0)
	s_lshl_b64 s[16:17], s[10:11], 2
	s_add_u32 s2, s8, s16
	s_addc_u32 s3, s9, s17
	s_add_i32 s7, s1, -1
	s_mul_i32 s8, s7, 0x500
	s_sub_u32 s24, s14, s8
	s_subb_u32 s25, s15, 0
	s_mov_b32 s1, 0
	s_cmp_lg_u32 s6, s7
	s_cselect_b64 s[14:15], -1, 0
	s_lshl_b64 s[18:19], s[0:1], 2
	s_add_u32 s2, s2, s18
	s_addc_u32 s3, s3, s19
	s_mov_b64 s[0:1], -1
	s_and_b64 vcc, exec, s[14:15]
	s_cbranch_vccz .LBB6017_2
; %bb.1:
	v_mov_b32_e32 v1, s3
	v_add_co_u32_e32 v2, vcc, s2, v22
	v_addc_co_u32_e32 v3, vcc, 0, v1, vcc
	flat_load_dword v1, v[2:3]
	flat_load_dword v4, v[2:3] offset:512
	flat_load_dword v5, v[2:3] offset:1024
	;; [unrolled: 1-line block ×7, first 2 shown]
	v_add_co_u32_e32 v2, vcc, 0x1000, v2
	v_addc_co_u32_e32 v3, vcc, 0, v3, vcc
	flat_load_dword v11, v[2:3]
	flat_load_dword v12, v[2:3] offset:512
	s_mov_b64 s[0:1], 0
	s_waitcnt vmcnt(0) lgkmcnt(0)
	ds_write2st64_b32 v22, v1, v4 offset1:2
	ds_write2st64_b32 v22, v5, v6 offset0:4 offset1:6
	ds_write2st64_b32 v22, v7, v8 offset0:8 offset1:10
	ds_write2st64_b32 v22, v9, v10 offset0:12 offset1:14
	ds_write2st64_b32 v22, v11, v12 offset0:16 offset1:18
	s_waitcnt lgkmcnt(0)
	s_barrier
.LBB6017_2:
	s_load_dwordx2 s[20:21], s[4:5], 0x28
	s_andn2_b64 vcc, exec, s[0:1]
	v_cmp_gt_u32_e64 s[0:1], s24, v0
	s_cbranch_vccnz .LBB6017_24
; %bb.3:
	v_pk_mov_b32 v[2:3], s[2:3], s[2:3] op_sel:[0,1]
	flat_load_dword v1, v[2:3]
	s_waitcnt vmcnt(0) lgkmcnt(0)
	v_mov_b32_e32 v2, v1
	v_mov_b32_e32 v3, v1
	;; [unrolled: 1-line block ×9, first 2 shown]
	s_and_saveexec_b64 s[8:9], s[0:1]
	s_cbranch_execz .LBB6017_5
; %bb.4:
	v_mov_b32_e32 v11, s3
	v_add_co_u32_e32 v10, vcc, s2, v22
	v_addc_co_u32_e32 v11, vcc, 0, v11, vcc
	flat_load_dword v10, v[10:11]
.LBB6017_5:
	s_or_b64 exec, exec, s[8:9]
	v_or_b32_e32 v11, 0x80, v0
	v_cmp_gt_u32_e32 vcc, s24, v11
	s_and_saveexec_b64 s[0:1], vcc
	s_cbranch_execz .LBB6017_7
; %bb.6:
	v_mov_b32_e32 v1, s3
	v_add_co_u32_e32 v12, vcc, s2, v22
	v_addc_co_u32_e32 v13, vcc, 0, v1, vcc
	flat_load_dword v1, v[12:13] offset:512
.LBB6017_7:
	s_or_b64 exec, exec, s[0:1]
	v_or_b32_e32 v11, 0x100, v0
	v_cmp_gt_u32_e32 vcc, s24, v11
	s_and_saveexec_b64 s[0:1], vcc
	s_cbranch_execz .LBB6017_9
; %bb.8:
	v_mov_b32_e32 v2, s3
	v_add_co_u32_e32 v12, vcc, s2, v22
	v_addc_co_u32_e32 v13, vcc, 0, v2, vcc
	flat_load_dword v2, v[12:13] offset:1024
.LBB6017_9:
	;; [unrolled: 11-line block ×7, first 2 shown]
	s_or_b64 exec, exec, s[0:1]
	v_or_b32_e32 v11, 0x400, v0
	v_cmp_gt_u32_e32 vcc, s24, v11
	s_and_saveexec_b64 s[0:1], vcc
	s_cbranch_execz .LBB6017_21
; %bb.20:
	v_lshlrev_b32_e32 v8, 2, v11
	v_mov_b32_e32 v11, s3
	v_add_co_u32_e32 v12, vcc, s2, v8
	v_addc_co_u32_e32 v13, vcc, 0, v11, vcc
	flat_load_dword v8, v[12:13]
.LBB6017_21:
	s_or_b64 exec, exec, s[0:1]
	v_or_b32_e32 v11, 0x480, v0
	v_cmp_gt_u32_e32 vcc, s24, v11
	s_and_saveexec_b64 s[0:1], vcc
	s_cbranch_execz .LBB6017_23
; %bb.22:
	v_lshlrev_b32_e32 v9, 2, v11
	v_mov_b32_e32 v11, s3
	v_add_co_u32_e32 v12, vcc, s2, v9
	v_addc_co_u32_e32 v13, vcc, 0, v11, vcc
	flat_load_dword v9, v[12:13]
.LBB6017_23:
	s_or_b64 exec, exec, s[0:1]
	s_waitcnt vmcnt(0) lgkmcnt(0)
	ds_write2st64_b32 v22, v10, v1 offset1:2
	ds_write2st64_b32 v22, v2, v3 offset0:4 offset1:6
	ds_write2st64_b32 v22, v4, v5 offset0:8 offset1:10
	;; [unrolled: 1-line block ×4, first 2 shown]
	s_waitcnt lgkmcnt(0)
	s_barrier
.LBB6017_24:
	v_mul_u32_u24_e32 v23, 10, v0
	v_lshlrev_b32_e32 v1, 2, v23
	s_waitcnt lgkmcnt(0)
	ds_read2_b64 v[2:5], v1 offset1:1
	ds_read2_b64 v[16:19], v1 offset0:2 offset1:3
	ds_read_b64 v[20:21], v1 offset:32
	s_cmp_lg_u32 s6, 0
	v_lshrrev_b32_e32 v24, 5, v0
	v_cmp_gt_u32_e32 vcc, 64, v0
	s_waitcnt lgkmcnt(0)
	s_barrier
	s_cbranch_scc0 .LBB6017_49
; %bb.25:
	v_add_u32_e32 v6, v3, v2
	v_add3_u32 v6, v6, v4, v5
	v_add3_u32 v6, v6, v16, v17
	v_add3_u32 v6, v6, v18, v19
	v_add3_u32 v6, v6, v20, v21
	v_add_lshl_u32 v7, v24, v0, 2
	ds_write_b32 v7, v6
	s_waitcnt lgkmcnt(0)
	s_barrier
	s_and_saveexec_b64 s[2:3], vcc
	s_cbranch_execz .LBB6017_27
; %bb.26:
	v_lshlrev_b32_e32 v7, 1, v0
	v_lshrrev_b32_e32 v8, 4, v0
	v_add_lshl_u32 v7, v8, v7, 2
	ds_read2_b32 v[8:9], v7 offset1:1
	v_mbcnt_lo_u32_b32 v10, -1, 0
	v_mbcnt_hi_u32_b32 v10, -1, v10
	v_and_b32_e32 v11, 15, v10
	v_cmp_ne_u32_e64 s[0:1], 0, v11
	s_waitcnt lgkmcnt(0)
	v_add_u32_e32 v9, v9, v8
	; wave barrier
	s_nop 1
	v_mov_b32_dpp v12, v9 row_shr:1 row_mask:0xf bank_mask:0xf
	v_cndmask_b32_e64 v12, 0, v12, s[0:1]
	v_add_u32_e32 v9, v12, v9
	v_cmp_lt_u32_e64 s[0:1], 1, v11
	s_nop 0
	v_mov_b32_dpp v12, v9 row_shr:2 row_mask:0xf bank_mask:0xf
	v_cndmask_b32_e64 v12, 0, v12, s[0:1]
	v_add_u32_e32 v9, v9, v12
	v_cmp_lt_u32_e64 s[0:1], 3, v11
	;; [unrolled: 5-line block ×3, first 2 shown]
	s_nop 0
	v_mov_b32_dpp v12, v9 row_shr:8 row_mask:0xf bank_mask:0xf
	v_cndmask_b32_e64 v11, 0, v12, s[0:1]
	v_add_u32_e32 v9, v9, v11
	v_bfe_i32 v12, v10, 4, 1
	v_cmp_lt_u32_e64 s[0:1], 31, v10
	v_mov_b32_dpp v11, v9 row_bcast:15 row_mask:0xf bank_mask:0xf
	v_and_b32_e32 v11, v12, v11
	v_add_u32_e32 v9, v9, v11
	v_and_b32_e32 v12, 64, v10
	s_nop 0
	v_mov_b32_dpp v11, v9 row_bcast:31 row_mask:0xf bank_mask:0xf
	v_cndmask_b32_e64 v11, 0, v11, s[0:1]
	v_add_u32_e32 v9, v9, v11
	v_add_u32_e32 v11, -1, v10
	v_cmp_lt_i32_e64 s[0:1], v11, v12
	v_cndmask_b32_e64 v10, v11, v10, s[0:1]
	v_lshlrev_b32_e32 v10, 2, v10
	ds_bpermute_b32 v9, v10, v9
	v_cmp_eq_u32_e64 s[0:1], 0, v0
	s_waitcnt lgkmcnt(0)
	v_add_u32_e32 v8, v9, v8
	v_cndmask_b32_e64 v6, v8, v6, s[0:1]
	ds_write_b32 v7, v6
	; wave barrier
	ds_read_b32 v8, v7 offset:4
	s_waitcnt lgkmcnt(0)
	v_add_u32_e32 v6, v8, v6
	ds_write_b32 v7, v6 offset:4
.LBB6017_27:
	s_or_b64 exec, exec, s[2:3]
	v_cmp_eq_u32_e64 s[0:1], 0, v0
	v_cmp_ne_u32_e64 s[2:3], 0, v0
	v_mov_b32_e32 v25, 0
	s_waitcnt lgkmcnt(0)
	s_barrier
	s_and_saveexec_b64 s[8:9], s[2:3]
	s_cbranch_execz .LBB6017_29
; %bb.28:
	v_add_u32_e32 v6, -1, v0
	v_lshrrev_b32_e32 v7, 5, v6
	v_add_lshl_u32 v6, v7, v6, 2
	ds_read_b32 v25, v6
.LBB6017_29:
	s_or_b64 exec, exec, s[8:9]
	s_and_saveexec_b64 s[8:9], vcc
	s_cbranch_execz .LBB6017_48
; %bb.30:
	v_mov_b32_e32 v13, 0
	ds_read_b32 v6, v13 offset:520
	v_mbcnt_lo_u32_b32 v7, -1, 0
	v_mbcnt_hi_u32_b32 v9, -1, v7
	s_mov_b32 s23, 0
	v_cmp_eq_u32_e64 s[2:3], 0, v9
	s_and_saveexec_b64 s[10:11], s[2:3]
	s_cbranch_execz .LBB6017_32
; %bb.31:
	s_add_i32 s22, s6, 64
	s_lshl_b64 s[22:23], s[22:23], 3
	s_add_u32 s22, s20, s22
	v_mov_b32_e32 v7, 1
	s_addc_u32 s23, s21, s23
	s_waitcnt lgkmcnt(0)
	global_store_dwordx2 v13, v[6:7], s[22:23]
.LBB6017_32:
	s_or_b64 exec, exec, s[10:11]
	v_xad_u32 v8, v9, -1, s6
	v_add_u32_e32 v12, 64, v8
	v_lshlrev_b64 v[10:11], 3, v[12:13]
	v_mov_b32_e32 v7, s21
	v_add_co_u32_e32 v14, vcc, s20, v10
	v_addc_co_u32_e32 v15, vcc, v7, v11, vcc
	global_load_dwordx2 v[10:11], v[14:15], off glc
	s_waitcnt vmcnt(0)
	v_cmp_eq_u16_sdwa s[22:23], v11, v13 src0_sel:BYTE_0 src1_sel:DWORD
	s_and_saveexec_b64 s[10:11], s[22:23]
	s_cbranch_execz .LBB6017_36
; %bb.33:
	s_mov_b64 s[22:23], 0
	v_mov_b32_e32 v7, 0
.LBB6017_34:                            ; =>This Inner Loop Header: Depth=1
	global_load_dwordx2 v[10:11], v[14:15], off glc
	s_waitcnt vmcnt(0)
	v_cmp_ne_u16_sdwa s[26:27], v11, v7 src0_sel:BYTE_0 src1_sel:DWORD
	s_or_b64 s[22:23], s[26:27], s[22:23]
	s_andn2_b64 exec, exec, s[22:23]
	s_cbranch_execnz .LBB6017_34
; %bb.35:
	s_or_b64 exec, exec, s[22:23]
.LBB6017_36:
	s_or_b64 exec, exec, s[10:11]
	v_and_b32_e32 v26, 63, v9
	v_mov_b32_e32 v7, 2
	v_cmp_ne_u32_e32 vcc, 63, v26
	v_cmp_eq_u16_sdwa s[10:11], v11, v7 src0_sel:BYTE_0 src1_sel:DWORD
	v_lshlrev_b64 v[12:13], v9, -1
	v_addc_co_u32_e32 v27, vcc, 0, v9, vcc
	v_and_b32_e32 v14, s11, v13
	v_lshlrev_b32_e32 v27, 2, v27
	v_or_b32_e32 v14, 0x80000000, v14
	ds_bpermute_b32 v28, v27, v10
	v_and_b32_e32 v15, s10, v12
	v_ffbl_b32_e32 v14, v14
	v_add_u32_e32 v14, 32, v14
	v_ffbl_b32_e32 v15, v15
	v_min_u32_e32 v14, v15, v14
	v_cmp_lt_u32_e32 vcc, v26, v14
	s_waitcnt lgkmcnt(0)
	v_cndmask_b32_e32 v15, 0, v28, vcc
	v_cmp_gt_u32_e32 vcc, 62, v26
	v_add_u32_e32 v10, v15, v10
	v_cndmask_b32_e64 v15, 0, 1, vcc
	v_lshlrev_b32_e32 v15, 1, v15
	v_add_lshl_u32 v28, v15, v9, 2
	ds_bpermute_b32 v15, v28, v10
	v_add_u32_e32 v29, 2, v26
	v_cmp_le_u32_e32 vcc, v29, v14
	v_add_u32_e32 v31, 4, v26
	v_add_u32_e32 v33, 8, v26
	s_waitcnt lgkmcnt(0)
	v_cndmask_b32_e32 v15, 0, v15, vcc
	v_cmp_gt_u32_e32 vcc, 60, v26
	v_add_u32_e32 v10, v10, v15
	v_cndmask_b32_e64 v15, 0, 1, vcc
	v_lshlrev_b32_e32 v15, 2, v15
	v_add_lshl_u32 v30, v15, v9, 2
	ds_bpermute_b32 v15, v30, v10
	v_cmp_le_u32_e32 vcc, v31, v14
	v_add_u32_e32 v36, 16, v26
	v_add_u32_e32 v38, 32, v26
	s_waitcnt lgkmcnt(0)
	v_cndmask_b32_e32 v15, 0, v15, vcc
	v_cmp_gt_u32_e32 vcc, 56, v26
	v_add_u32_e32 v10, v10, v15
	v_cndmask_b32_e64 v15, 0, 1, vcc
	v_lshlrev_b32_e32 v15, 3, v15
	v_add_lshl_u32 v32, v15, v9, 2
	ds_bpermute_b32 v15, v32, v10
	v_cmp_le_u32_e32 vcc, v33, v14
	s_waitcnt lgkmcnt(0)
	v_cndmask_b32_e32 v15, 0, v15, vcc
	v_cmp_gt_u32_e32 vcc, 48, v26
	v_add_u32_e32 v10, v10, v15
	v_cndmask_b32_e64 v15, 0, 1, vcc
	v_lshlrev_b32_e32 v15, 4, v15
	v_add_lshl_u32 v35, v15, v9, 2
	ds_bpermute_b32 v15, v35, v10
	v_cmp_le_u32_e32 vcc, v36, v14
	;; [unrolled: 9-line block ×3, first 2 shown]
	s_waitcnt lgkmcnt(0)
	v_cndmask_b32_e32 v9, 0, v9, vcc
	v_add_u32_e32 v10, v10, v9
	v_mov_b32_e32 v9, 0
	s_branch .LBB6017_38
.LBB6017_37:                            ;   in Loop: Header=BB6017_38 Depth=1
	s_or_b64 exec, exec, s[10:11]
	v_cmp_eq_u16_sdwa s[10:11], v11, v7 src0_sel:BYTE_0 src1_sel:DWORD
	v_and_b32_e32 v14, s11, v13
	v_or_b32_e32 v14, 0x80000000, v14
	ds_bpermute_b32 v39, v27, v10
	v_and_b32_e32 v15, s10, v12
	v_ffbl_b32_e32 v14, v14
	v_add_u32_e32 v14, 32, v14
	v_ffbl_b32_e32 v15, v15
	v_min_u32_e32 v14, v15, v14
	v_cmp_lt_u32_e32 vcc, v26, v14
	s_waitcnt lgkmcnt(0)
	v_cndmask_b32_e32 v15, 0, v39, vcc
	v_add_u32_e32 v10, v15, v10
	ds_bpermute_b32 v15, v28, v10
	v_cmp_le_u32_e32 vcc, v29, v14
	v_subrev_u32_e32 v8, 64, v8
	s_waitcnt lgkmcnt(0)
	v_cndmask_b32_e32 v15, 0, v15, vcc
	v_add_u32_e32 v10, v10, v15
	ds_bpermute_b32 v15, v30, v10
	v_cmp_le_u32_e32 vcc, v31, v14
	s_waitcnt lgkmcnt(0)
	v_cndmask_b32_e32 v15, 0, v15, vcc
	v_add_u32_e32 v10, v10, v15
	ds_bpermute_b32 v15, v32, v10
	v_cmp_le_u32_e32 vcc, v33, v14
	;; [unrolled: 5-line block ×4, first 2 shown]
	s_waitcnt lgkmcnt(0)
	v_cndmask_b32_e32 v14, 0, v15, vcc
	v_add3_u32 v10, v14, v34, v10
.LBB6017_38:                            ; =>This Loop Header: Depth=1
                                        ;     Child Loop BB6017_41 Depth 2
	v_cmp_ne_u16_sdwa s[10:11], v11, v7 src0_sel:BYTE_0 src1_sel:DWORD
	v_cndmask_b32_e64 v11, 0, 1, s[10:11]
	;;#ASMSTART
	;;#ASMEND
	v_cmp_ne_u32_e32 vcc, 0, v11
	s_cmp_lg_u64 vcc, exec
	v_mov_b32_e32 v34, v10
	s_cbranch_scc1 .LBB6017_43
; %bb.39:                               ;   in Loop: Header=BB6017_38 Depth=1
	v_lshlrev_b64 v[10:11], 3, v[8:9]
	v_mov_b32_e32 v15, s21
	v_add_co_u32_e32 v14, vcc, s20, v10
	v_addc_co_u32_e32 v15, vcc, v15, v11, vcc
	global_load_dwordx2 v[10:11], v[14:15], off glc
	s_waitcnt vmcnt(0)
	v_cmp_eq_u16_sdwa s[22:23], v11, v9 src0_sel:BYTE_0 src1_sel:DWORD
	s_and_saveexec_b64 s[10:11], s[22:23]
	s_cbranch_execz .LBB6017_37
; %bb.40:                               ;   in Loop: Header=BB6017_38 Depth=1
	s_mov_b64 s[22:23], 0
.LBB6017_41:                            ;   Parent Loop BB6017_38 Depth=1
                                        ; =>  This Inner Loop Header: Depth=2
	global_load_dwordx2 v[10:11], v[14:15], off glc
	s_waitcnt vmcnt(0)
	v_cmp_ne_u16_sdwa s[26:27], v11, v9 src0_sel:BYTE_0 src1_sel:DWORD
	s_or_b64 s[22:23], s[26:27], s[22:23]
	s_andn2_b64 exec, exec, s[22:23]
	s_cbranch_execnz .LBB6017_41
; %bb.42:                               ;   in Loop: Header=BB6017_38 Depth=1
	s_or_b64 exec, exec, s[22:23]
	s_branch .LBB6017_37
.LBB6017_43:                            ;   in Loop: Header=BB6017_38 Depth=1
                                        ; implicit-def: $vgpr10
                                        ; implicit-def: $vgpr11
	s_cbranch_execz .LBB6017_38
; %bb.44:
	s_and_saveexec_b64 s[10:11], s[2:3]
	s_cbranch_execz .LBB6017_46
; %bb.45:
	s_add_i32 s2, s6, 64
	s_mov_b32 s3, 0
	s_lshl_b64 s[2:3], s[2:3], 3
	s_add_u32 s2, s20, s2
	v_add_u32_e32 v6, v34, v6
	v_mov_b32_e32 v7, 2
	s_addc_u32 s3, s21, s3
	v_mov_b32_e32 v8, 0
	global_store_dwordx2 v8, v[6:7], s[2:3]
.LBB6017_46:
	s_or_b64 exec, exec, s[10:11]
	s_and_b64 exec, exec, s[0:1]
	s_cbranch_execz .LBB6017_48
; %bb.47:
	v_mov_b32_e32 v6, 0
	ds_write_b32 v6, v34
.LBB6017_48:
	s_or_b64 exec, exec, s[8:9]
	v_mov_b32_e32 v6, 0
	s_waitcnt lgkmcnt(0)
	s_barrier
	ds_read_b32 v6, v6
	s_waitcnt lgkmcnt(0)
	v_add3_u32 v6, v25, v2, v6
	v_add_u32_e32 v7, v6, v3
	v_add_u32_e32 v8, v7, v4
	;; [unrolled: 1-line block ×9, first 2 shown]
	s_load_dwordx8 s[4:11], s[4:5], 0x38
	s_branch .LBB6017_61
.LBB6017_49:
                                        ; implicit-def: $vgpr6_vgpr7_vgpr8_vgpr9_vgpr10_vgpr11_vgpr12_vgpr13_vgpr14_vgpr15
	s_load_dwordx8 s[4:11], s[4:5], 0x38
	s_cbranch_execz .LBB6017_61
; %bb.50:
	s_waitcnt lgkmcnt(0)
	s_cmp_lg_u64 s[8:9], 0
	s_cselect_b64 s[2:3], -1, 0
	v_cmp_eq_u32_e64 s[0:1], 0, v0
	v_cmp_ne_u32_e32 vcc, 0, v0
	s_and_b64 s[8:9], s[0:1], s[2:3]
	v_mov_b32_e32 v12, v3
	v_mov_b32_e32 v13, v4
	;; [unrolled: 1-line block ×3, first 2 shown]
	s_and_saveexec_b64 s[2:3], s[8:9]
	s_cbranch_execz .LBB6017_52
; %bb.51:
	v_mov_b32_e32 v6, 0
	global_load_dword v6, v6, s[4:5]
	v_mov_b32_e32 v12, v3
	v_mov_b32_e32 v13, v4
	;; [unrolled: 1-line block ×3, first 2 shown]
	s_waitcnt vmcnt(0)
	v_add_u32_e32 v2, v6, v2
.LBB6017_52:
	s_or_b64 exec, exec, s[2:3]
	v_add_u32_e32 v3, v12, v2
	v_add_u32_e32 v4, v3, v13
	;; [unrolled: 1-line block ×9, first 2 shown]
	v_add_lshl_u32 v15, v24, v0, 2
	v_cmp_gt_u32_e64 s[2:3], 64, v0
	ds_write_b32 v15, v11
	s_waitcnt lgkmcnt(0)
	s_barrier
	s_and_saveexec_b64 s[4:5], s[2:3]
	s_cbranch_execz .LBB6017_54
; %bb.53:
	v_lshlrev_b32_e32 v15, 1, v0
	v_lshrrev_b32_e32 v24, 4, v0
	v_add_lshl_u32 v15, v24, v15, 2
	ds_read2_b32 v[24:25], v15 offset1:1
	v_mbcnt_lo_u32_b32 v26, -1, 0
	v_mbcnt_hi_u32_b32 v26, -1, v26
	v_and_b32_e32 v27, 15, v26
	v_cmp_ne_u32_e64 s[2:3], 0, v27
	s_waitcnt lgkmcnt(0)
	v_add_u32_e32 v25, v25, v24
	; wave barrier
	s_nop 1
	v_mov_b32_dpp v28, v25 row_shr:1 row_mask:0xf bank_mask:0xf
	v_cndmask_b32_e64 v28, 0, v28, s[2:3]
	v_add_u32_e32 v25, v28, v25
	v_cmp_lt_u32_e64 s[2:3], 1, v27
	s_nop 0
	v_mov_b32_dpp v28, v25 row_shr:2 row_mask:0xf bank_mask:0xf
	v_cndmask_b32_e64 v28, 0, v28, s[2:3]
	v_add_u32_e32 v25, v25, v28
	v_cmp_lt_u32_e64 s[2:3], 3, v27
	;; [unrolled: 5-line block ×3, first 2 shown]
	s_nop 0
	v_mov_b32_dpp v28, v25 row_shr:8 row_mask:0xf bank_mask:0xf
	v_cndmask_b32_e64 v27, 0, v28, s[2:3]
	v_add_u32_e32 v25, v25, v27
	v_bfe_i32 v28, v26, 4, 1
	v_cmp_lt_u32_e64 s[2:3], 31, v26
	v_mov_b32_dpp v27, v25 row_bcast:15 row_mask:0xf bank_mask:0xf
	v_and_b32_e32 v27, v28, v27
	v_add_u32_e32 v25, v25, v27
	v_and_b32_e32 v28, 64, v26
	s_nop 0
	v_mov_b32_dpp v27, v25 row_bcast:31 row_mask:0xf bank_mask:0xf
	v_cndmask_b32_e64 v27, 0, v27, s[2:3]
	v_add_u32_e32 v25, v25, v27
	v_add_u32_e32 v27, -1, v26
	v_cmp_lt_i32_e64 s[2:3], v27, v28
	v_cndmask_b32_e64 v26, v27, v26, s[2:3]
	v_lshlrev_b32_e32 v26, 2, v26
	ds_bpermute_b32 v25, v26, v25
	s_waitcnt lgkmcnt(0)
	v_add_u32_e32 v24, v25, v24
	v_cndmask_b32_e64 v24, v24, v11, s[0:1]
	ds_write_b32 v15, v24
	; wave barrier
	ds_read_b32 v25, v15 offset:4
	s_waitcnt lgkmcnt(0)
	v_add_u32_e32 v24, v25, v24
	ds_write_b32 v15, v24 offset:4
.LBB6017_54:
	s_or_b64 exec, exec, s[4:5]
	v_mov_b32_e32 v15, v11
	s_waitcnt lgkmcnt(0)
	s_barrier
	s_and_saveexec_b64 s[0:1], vcc
	s_cbranch_execz .LBB6017_56
; %bb.55:
	v_add_u32_e32 v15, -1, v0
	v_lshrrev_b32_e32 v24, 5, v15
	v_add_lshl_u32 v15, v24, v15, 2
	ds_read_b32 v15, v15
.LBB6017_56:
	s_or_b64 exec, exec, s[0:1]
	s_and_saveexec_b64 s[0:1], vcc
	s_cbranch_execz .LBB6017_58
; %bb.57:
	s_waitcnt lgkmcnt(0)
	v_add_u32_e32 v2, v15, v2
	v_add_u32_e32 v3, v2, v12
	;; [unrolled: 1-line block ×10, first 2 shown]
	;;#ASMSTART
	;;#ASMEND
.LBB6017_58:
	s_or_b64 exec, exec, s[0:1]
	s_movk_i32 s0, 0x7f
	v_cmp_eq_u32_e32 vcc, s0, v0
	s_and_saveexec_b64 s[0:1], vcc
	s_cbranch_execz .LBB6017_60
; %bb.59:
	v_mov_b32_e32 v14, 0
	v_mov_b32_e32 v13, 2
	;; [unrolled: 1-line block ×3, first 2 shown]
	global_store_dwordx2 v14, v[12:13], s[20:21] offset:512
.LBB6017_60:
	s_or_b64 exec, exec, s[0:1]
	s_waitcnt lgkmcnt(0)
	v_pk_mov_b32 v[14:15], v[10:11], v[10:11] op_sel:[0,1]
	v_pk_mov_b32 v[12:13], v[8:9], v[8:9] op_sel:[0,1]
	;; [unrolled: 1-line block ×5, first 2 shown]
.LBB6017_61:
	s_add_u32 s0, s12, s16
	s_addc_u32 s1, s13, s17
	s_add_u32 s2, s0, s18
	s_addc_u32 s3, s1, s19
	s_mov_b64 s[0:1], -1
	s_and_b64 vcc, exec, s[14:15]
	s_waitcnt lgkmcnt(0)
	s_barrier
	s_cbranch_vccz .LBB6017_63
; %bb.62:
	ds_write2_b64 v1, v[6:7], v[8:9] offset1:1
	ds_write2_b64 v1, v[10:11], v[12:13] offset0:2 offset1:3
	ds_write_b64 v1, v[14:15] offset:32
	s_waitcnt lgkmcnt(0)
	s_barrier
	ds_read2st64_b32 v[2:3], v22 offset1:2
	ds_read2st64_b32 v[4:5], v22 offset0:4 offset1:6
	ds_read2st64_b32 v[16:17], v22 offset0:8 offset1:10
	;; [unrolled: 1-line block ×4, first 2 shown]
	s_waitcnt lgkmcnt(4)
	v_cvt_f32_u32_e32 v2, v2
	v_cvt_f32_u32_e32 v3, v3
	v_mov_b32_e32 v25, s3
	v_add_co_u32_e32 v24, vcc, s2, v22
	s_waitcnt lgkmcnt(3)
	v_cvt_f32_u32_e32 v4, v4
	v_addc_co_u32_e32 v25, vcc, 0, v25, vcc
	v_cvt_f32_u32_e32 v5, v5
	flat_store_dword v[24:25], v2
	flat_store_dword v[24:25], v3 offset:512
	flat_store_dword v[24:25], v4 offset:1024
	;; [unrolled: 1-line block ×3, first 2 shown]
	s_waitcnt lgkmcnt(0)
	v_cvt_f32_u32_e32 v2, v16
	v_cvt_f32_u32_e32 v3, v17
	;; [unrolled: 1-line block ×4, first 2 shown]
	flat_store_dword v[24:25], v2 offset:2048
	flat_store_dword v[24:25], v3 offset:2560
	;; [unrolled: 1-line block ×4, first 2 shown]
	v_cvt_f32_u32_e32 v4, v20
	v_cvt_f32_u32_e32 v5, v21
	v_add_co_u32_e32 v2, vcc, 0x1000, v24
	v_addc_co_u32_e32 v3, vcc, 0, v25, vcc
	flat_store_dword v[2:3], v4
	flat_store_dword v[2:3], v5 offset:512
	s_mov_b64 s[0:1], 0
.LBB6017_63:
	s_andn2_b64 vcc, exec, s[0:1]
	s_cbranch_vccnz .LBB6017_119
; %bb.64:
	ds_write2_b64 v1, v[6:7], v[8:9] offset1:1
	ds_write2_b64 v1, v[10:11], v[12:13] offset0:2 offset1:3
	ds_write_b64 v1, v[14:15] offset:32
	s_waitcnt lgkmcnt(0)
	s_barrier
	ds_read2st64_b32 v[2:3], v22 offset1:2
	ds_read2st64_b32 v[6:7], v22 offset0:4 offset1:6
	ds_read2st64_b32 v[4:5], v22 offset0:8 offset1:10
	;; [unrolled: 1-line block ×4, first 2 shown]
	v_mov_b32_e32 v13, s3
	v_add_co_u32_e32 v12, vcc, s2, v22
	v_addc_co_u32_e32 v13, vcc, 0, v13, vcc
	v_mov_b32_e32 v1, 0
	v_cmp_gt_u32_e32 vcc, s24, v0
	s_and_saveexec_b64 s[0:1], vcc
	s_cbranch_execz .LBB6017_66
; %bb.65:
	s_waitcnt lgkmcnt(0)
	v_cvt_f32_u32_e32 v14, v2
	flat_store_dword v[12:13], v14
.LBB6017_66:
	s_or_b64 exec, exec, s[0:1]
	v_or_b32_e32 v14, 0x80, v0
	v_cmp_gt_u32_e32 vcc, s24, v14
	s_and_saveexec_b64 s[0:1], vcc
	s_cbranch_execz .LBB6017_68
; %bb.67:
	s_waitcnt lgkmcnt(0)
	v_cvt_f32_u32_e32 v14, v3
	flat_store_dword v[12:13], v14 offset:512
.LBB6017_68:
	s_or_b64 exec, exec, s[0:1]
	v_or_b32_e32 v14, 0x100, v0
	v_cmp_gt_u32_e32 vcc, s24, v14
	s_and_saveexec_b64 s[0:1], vcc
	s_cbranch_execz .LBB6017_70
; %bb.69:
	s_waitcnt lgkmcnt(0)
	v_cvt_f32_u32_e32 v14, v6
	flat_store_dword v[12:13], v14 offset:1024
.LBB6017_70:
	;; [unrolled: 10-line block ×7, first 2 shown]
	s_or_b64 exec, exec, s[0:1]
	v_or_b32_e32 v14, 0x400, v0
	v_cmp_gt_u32_e32 vcc, s24, v14
	s_and_saveexec_b64 s[0:1], vcc
	s_cbranch_execz .LBB6017_82
; %bb.81:
	s_waitcnt lgkmcnt(0)
	v_cvt_f32_u32_e32 v16, v10
	v_add_co_u32_e32 v14, vcc, 0x1000, v12
	v_addc_co_u32_e32 v15, vcc, 0, v13, vcc
	flat_store_dword v[14:15], v16
.LBB6017_82:
	s_or_b64 exec, exec, s[0:1]
	v_or_b32_e32 v14, 0x480, v0
	v_cmp_gt_u32_e32 vcc, s24, v14
	s_and_saveexec_b64 s[0:1], vcc
	s_cbranch_execz .LBB6017_84
; %bb.83:
	s_waitcnt lgkmcnt(0)
	v_cvt_f32_u32_e32 v14, v11
	v_add_co_u32_e32 v12, vcc, 0x1000, v12
	v_addc_co_u32_e32 v13, vcc, 0, v13, vcc
	flat_store_dword v[12:13], v14 offset:512
.LBB6017_84:
	s_or_b64 exec, exec, s[0:1]
	v_cmp_lt_u64_e64 s[0:1], s[10:11], 2
	s_and_b64 vcc, exec, s[0:1]
	s_cbranch_vccnz .LBB6017_119
; %bb.85:
	s_add_u32 s0, s24, -1
	s_addc_u32 s1, s25, -1
	s_add_u32 s2, 0, 0x99986000
	s_addc_u32 s3, 0, 0x59
	s_add_i32 s3, s3, 0x19999940
	s_mul_hi_u32 s9, s2, -10
	s_sub_i32 s9, s9, s2
	s_mul_i32 s10, s3, -10
	s_mul_i32 s4, s2, -10
	s_add_i32 s9, s9, s10
	s_mul_hi_u32 s5, s3, s4
	s_mul_i32 s8, s3, s4
	s_mul_i32 s11, s2, s9
	s_mul_hi_u32 s4, s2, s4
	s_mul_hi_u32 s10, s2, s9
	s_add_u32 s4, s4, s11
	s_addc_u32 s10, 0, s10
	s_add_u32 s4, s4, s8
	s_mul_hi_u32 s11, s3, s9
	s_addc_u32 s4, s10, s5
	s_addc_u32 s5, s11, 0
	s_mul_i32 s8, s3, s9
	s_add_u32 s4, s4, s8
	v_mov_b32_e32 v12, s4
	s_addc_u32 s5, 0, s5
	v_add_co_u32_e32 v12, vcc, s2, v12
	s_cmp_lg_u64 vcc, 0
	s_addc_u32 s2, s3, s5
	v_readfirstlane_b32 s5, v12
	s_mul_i32 s4, s0, s2
	s_mul_hi_u32 s8, s0, s5
	s_mul_hi_u32 s3, s0, s2
	s_add_u32 s4, s8, s4
	s_addc_u32 s3, 0, s3
	s_mul_hi_u32 s9, s1, s5
	s_mul_i32 s5, s1, s5
	s_add_u32 s4, s4, s5
	s_mul_hi_u32 s8, s1, s2
	s_addc_u32 s3, s3, s9
	s_addc_u32 s4, s8, 0
	s_mul_i32 s2, s1, s2
	s_add_u32 s2, s3, s2
	s_addc_u32 s3, 0, s4
	s_add_u32 s4, s2, 1
	s_addc_u32 s5, s3, 0
	s_add_u32 s8, s2, 2
	s_mul_i32 s10, s3, 10
	s_mul_hi_u32 s11, s2, 10
	s_addc_u32 s9, s3, 0
	s_add_i32 s11, s11, s10
	s_mul_i32 s10, s2, 10
	v_mov_b32_e32 v12, s10
	v_sub_co_u32_e32 v12, vcc, s0, v12
	s_cmp_lg_u64 vcc, 0
	s_subb_u32 s10, s1, s11
	v_subrev_co_u32_e32 v13, vcc, 10, v12
	s_cmp_lg_u64 vcc, 0
	s_subb_u32 s11, s10, 0
	v_readfirstlane_b32 s12, v13
	s_cmp_gt_u32 s12, 9
	s_cselect_b32 s12, -1, 0
	s_cmp_eq_u32 s11, 0
	s_cselect_b32 s11, s12, -1
	s_cmp_lg_u32 s11, 0
	s_cselect_b32 s4, s8, s4
	v_readfirstlane_b32 s8, v12
	s_cselect_b32 s5, s9, s5
	s_cmp_gt_u32 s8, 9
	s_cselect_b32 s8, -1, 0
	s_cmp_eq_u32 s10, 0
	s_cselect_b32 s8, s8, -1
	s_cmp_lg_u32 s8, 0
	s_cselect_b32 s3, s5, s3
	s_cselect_b32 s2, s4, s2
	v_cmp_eq_u64_e32 vcc, s[2:3], v[0:1]
	s_and_saveexec_b64 s[2:3], vcc
	s_cbranch_execz .LBB6017_119
; %bb.86:
	v_mul_hi_u32_u24_e32 v1, 10, v0
	v_mov_b32_e32 v12, s1
	v_sub_co_u32_e32 v0, vcc, s0, v23
	v_subb_co_u32_e32 v1, vcc, v12, v1, vcc
	v_cmp_lt_i64_e32 vcc, 4, v[0:1]
	s_and_saveexec_b64 s[0:1], vcc
	s_xor_b64 s[0:1], exec, s[0:1]
	s_cbranch_execz .LBB6017_104
; %bb.87:
	v_cmp_lt_i64_e32 vcc, 6, v[0:1]
	s_and_saveexec_b64 s[2:3], vcc
	s_xor_b64 s[2:3], exec, s[2:3]
	s_cbranch_execz .LBB6017_97
; %bb.88:
	;; [unrolled: 5-line block ×4, first 2 shown]
	v_mov_b32_e32 v0, 0
	s_waitcnt lgkmcnt(0)
	global_store_dword v0, v11, s[6:7]
                                        ; implicit-def: $vgpr10_vgpr11
.LBB6017_91:
	s_andn2_saveexec_b64 s[8:9], s[8:9]
	s_cbranch_execz .LBB6017_93
; %bb.92:
	v_mov_b32_e32 v0, 0
	s_waitcnt lgkmcnt(0)
	global_store_dword v0, v10, s[6:7]
.LBB6017_93:
	s_or_b64 exec, exec, s[8:9]
                                        ; implicit-def: $vgpr8_vgpr9
.LBB6017_94:
	s_andn2_saveexec_b64 s[4:5], s[4:5]
	s_cbranch_execz .LBB6017_96
; %bb.95:
	v_mov_b32_e32 v0, 0
	s_waitcnt lgkmcnt(0)
	global_store_dword v0, v9, s[6:7]
.LBB6017_96:
	s_or_b64 exec, exec, s[4:5]
                                        ; implicit-def: $vgpr4_vgpr5
                                        ; implicit-def: $vgpr0_vgpr1
                                        ; implicit-def: $vgpr8_vgpr9
.LBB6017_97:
	s_andn2_saveexec_b64 s[2:3], s[2:3]
	s_cbranch_execz .LBB6017_103
; %bb.98:
	v_cmp_lt_i64_e32 vcc, 5, v[0:1]
	s_and_saveexec_b64 s[4:5], vcc
	s_xor_b64 s[4:5], exec, s[4:5]
	s_cbranch_execz .LBB6017_100
; %bb.99:
	v_mov_b32_e32 v0, 0
	s_waitcnt lgkmcnt(0)
	global_store_dword v0, v8, s[6:7]
                                        ; implicit-def: $vgpr4_vgpr5
.LBB6017_100:
	s_andn2_saveexec_b64 s[4:5], s[4:5]
	s_cbranch_execz .LBB6017_102
; %bb.101:
	v_mov_b32_e32 v0, 0
	s_waitcnt lgkmcnt(0)
	global_store_dword v0, v5, s[6:7]
.LBB6017_102:
	s_or_b64 exec, exec, s[4:5]
.LBB6017_103:
	s_or_b64 exec, exec, s[2:3]
                                        ; implicit-def: $vgpr0_vgpr1
                                        ; implicit-def: $vgpr6_vgpr7
                                        ; implicit-def: $vgpr2_vgpr3
                                        ; implicit-def: $vgpr4_vgpr5
.LBB6017_104:
	s_andn2_saveexec_b64 s[0:1], s[0:1]
	s_cbranch_execz .LBB6017_119
; %bb.105:
	v_cmp_lt_i64_e32 vcc, 2, v[0:1]
	s_and_saveexec_b64 s[0:1], vcc
	s_xor_b64 s[0:1], exec, s[0:1]
	s_cbranch_execz .LBB6017_111
; %bb.106:
	v_cmp_lt_i64_e32 vcc, 3, v[0:1]
	s_and_saveexec_b64 s[2:3], vcc
	s_xor_b64 s[2:3], exec, s[2:3]
	s_cbranch_execz .LBB6017_108
; %bb.107:
	v_mov_b32_e32 v0, 0
	s_waitcnt lgkmcnt(0)
	global_store_dword v0, v4, s[6:7]
                                        ; implicit-def: $vgpr6_vgpr7
.LBB6017_108:
	s_andn2_saveexec_b64 s[2:3], s[2:3]
	s_cbranch_execz .LBB6017_110
; %bb.109:
	v_mov_b32_e32 v0, 0
	s_waitcnt lgkmcnt(0)
	global_store_dword v0, v7, s[6:7]
.LBB6017_110:
	s_or_b64 exec, exec, s[2:3]
                                        ; implicit-def: $vgpr0_vgpr1
                                        ; implicit-def: $vgpr6_vgpr7
                                        ; implicit-def: $vgpr2_vgpr3
.LBB6017_111:
	s_andn2_saveexec_b64 s[0:1], s[0:1]
	s_cbranch_execz .LBB6017_119
; %bb.112:
	v_cmp_lt_i64_e32 vcc, 1, v[0:1]
	s_and_saveexec_b64 s[0:1], vcc
	s_xor_b64 s[0:1], exec, s[0:1]
	s_cbranch_execz .LBB6017_114
; %bb.113:
	v_mov_b32_e32 v0, 0
	s_waitcnt lgkmcnt(0)
	global_store_dword v0, v6, s[6:7]
                                        ; implicit-def: $vgpr2_vgpr3
                                        ; implicit-def: $vgpr0_vgpr1
.LBB6017_114:
	s_andn2_saveexec_b64 s[0:1], s[0:1]
	s_cbranch_execz .LBB6017_119
; %bb.115:
	v_cmp_ne_u64_e32 vcc, 1, v[0:1]
	s_and_saveexec_b64 s[0:1], vcc
	s_xor_b64 s[0:1], exec, s[0:1]
	s_cbranch_execz .LBB6017_117
; %bb.116:
	v_mov_b32_e32 v0, 0
	s_waitcnt lgkmcnt(0)
	global_store_dword v0, v2, s[6:7]
                                        ; implicit-def: $vgpr2_vgpr3
.LBB6017_117:
	s_andn2_saveexec_b64 s[0:1], s[0:1]
	s_cbranch_execz .LBB6017_119
; %bb.118:
	v_mov_b32_e32 v0, 0
	s_waitcnt lgkmcnt(0)
	global_store_dword v0, v3, s[6:7]
.LBB6017_119:
	s_endpgm
	.section	.rodata,"a",@progbits
	.p2align	6, 0x0
	.amdhsa_kernel _ZN7rocprim17ROCPRIM_400000_NS6detail17trampoline_kernelINS0_14default_configENS1_20scan_config_selectorIjEEZZNS1_9scan_implILNS1_25lookback_scan_determinismE0ELb0ELb0ES3_N6thrust23THRUST_200600_302600_NS6detail15normal_iteratorINS9_10device_ptrIjEEEENSB_INSC_IfEEEEjNS9_4plusIvEEjEEDaPvRmT3_T4_T5_mT6_P12ihipStream_tbENKUlT_T0_E_clISt17integral_constantIbLb0EESW_EEDaSR_SS_EUlSR_E_NS1_11comp_targetILNS1_3genE4ELNS1_11target_archE910ELNS1_3gpuE8ELNS1_3repE0EEENS1_30default_config_static_selectorELNS0_4arch9wavefront6targetE1EEEvT1_
		.amdhsa_group_segment_fixed_size 5120
		.amdhsa_private_segment_fixed_size 0
		.amdhsa_kernarg_size 96
		.amdhsa_user_sgpr_count 6
		.amdhsa_user_sgpr_private_segment_buffer 1
		.amdhsa_user_sgpr_dispatch_ptr 0
		.amdhsa_user_sgpr_queue_ptr 0
		.amdhsa_user_sgpr_kernarg_segment_ptr 1
		.amdhsa_user_sgpr_dispatch_id 0
		.amdhsa_user_sgpr_flat_scratch_init 0
		.amdhsa_user_sgpr_kernarg_preload_length 0
		.amdhsa_user_sgpr_kernarg_preload_offset 0
		.amdhsa_user_sgpr_private_segment_size 0
		.amdhsa_uses_dynamic_stack 0
		.amdhsa_system_sgpr_private_segment_wavefront_offset 0
		.amdhsa_system_sgpr_workgroup_id_x 1
		.amdhsa_system_sgpr_workgroup_id_y 0
		.amdhsa_system_sgpr_workgroup_id_z 0
		.amdhsa_system_sgpr_workgroup_info 0
		.amdhsa_system_vgpr_workitem_id 0
		.amdhsa_next_free_vgpr 40
		.amdhsa_next_free_sgpr 28
		.amdhsa_accum_offset 40
		.amdhsa_reserve_vcc 1
		.amdhsa_reserve_flat_scratch 0
		.amdhsa_float_round_mode_32 0
		.amdhsa_float_round_mode_16_64 0
		.amdhsa_float_denorm_mode_32 3
		.amdhsa_float_denorm_mode_16_64 3
		.amdhsa_dx10_clamp 1
		.amdhsa_ieee_mode 1
		.amdhsa_fp16_overflow 0
		.amdhsa_tg_split 0
		.amdhsa_exception_fp_ieee_invalid_op 0
		.amdhsa_exception_fp_denorm_src 0
		.amdhsa_exception_fp_ieee_div_zero 0
		.amdhsa_exception_fp_ieee_overflow 0
		.amdhsa_exception_fp_ieee_underflow 0
		.amdhsa_exception_fp_ieee_inexact 0
		.amdhsa_exception_int_div_zero 0
	.end_amdhsa_kernel
	.section	.text._ZN7rocprim17ROCPRIM_400000_NS6detail17trampoline_kernelINS0_14default_configENS1_20scan_config_selectorIjEEZZNS1_9scan_implILNS1_25lookback_scan_determinismE0ELb0ELb0ES3_N6thrust23THRUST_200600_302600_NS6detail15normal_iteratorINS9_10device_ptrIjEEEENSB_INSC_IfEEEEjNS9_4plusIvEEjEEDaPvRmT3_T4_T5_mT6_P12ihipStream_tbENKUlT_T0_E_clISt17integral_constantIbLb0EESW_EEDaSR_SS_EUlSR_E_NS1_11comp_targetILNS1_3genE4ELNS1_11target_archE910ELNS1_3gpuE8ELNS1_3repE0EEENS1_30default_config_static_selectorELNS0_4arch9wavefront6targetE1EEEvT1_,"axG",@progbits,_ZN7rocprim17ROCPRIM_400000_NS6detail17trampoline_kernelINS0_14default_configENS1_20scan_config_selectorIjEEZZNS1_9scan_implILNS1_25lookback_scan_determinismE0ELb0ELb0ES3_N6thrust23THRUST_200600_302600_NS6detail15normal_iteratorINS9_10device_ptrIjEEEENSB_INSC_IfEEEEjNS9_4plusIvEEjEEDaPvRmT3_T4_T5_mT6_P12ihipStream_tbENKUlT_T0_E_clISt17integral_constantIbLb0EESW_EEDaSR_SS_EUlSR_E_NS1_11comp_targetILNS1_3genE4ELNS1_11target_archE910ELNS1_3gpuE8ELNS1_3repE0EEENS1_30default_config_static_selectorELNS0_4arch9wavefront6targetE1EEEvT1_,comdat
.Lfunc_end6017:
	.size	_ZN7rocprim17ROCPRIM_400000_NS6detail17trampoline_kernelINS0_14default_configENS1_20scan_config_selectorIjEEZZNS1_9scan_implILNS1_25lookback_scan_determinismE0ELb0ELb0ES3_N6thrust23THRUST_200600_302600_NS6detail15normal_iteratorINS9_10device_ptrIjEEEENSB_INSC_IfEEEEjNS9_4plusIvEEjEEDaPvRmT3_T4_T5_mT6_P12ihipStream_tbENKUlT_T0_E_clISt17integral_constantIbLb0EESW_EEDaSR_SS_EUlSR_E_NS1_11comp_targetILNS1_3genE4ELNS1_11target_archE910ELNS1_3gpuE8ELNS1_3repE0EEENS1_30default_config_static_selectorELNS0_4arch9wavefront6targetE1EEEvT1_, .Lfunc_end6017-_ZN7rocprim17ROCPRIM_400000_NS6detail17trampoline_kernelINS0_14default_configENS1_20scan_config_selectorIjEEZZNS1_9scan_implILNS1_25lookback_scan_determinismE0ELb0ELb0ES3_N6thrust23THRUST_200600_302600_NS6detail15normal_iteratorINS9_10device_ptrIjEEEENSB_INSC_IfEEEEjNS9_4plusIvEEjEEDaPvRmT3_T4_T5_mT6_P12ihipStream_tbENKUlT_T0_E_clISt17integral_constantIbLb0EESW_EEDaSR_SS_EUlSR_E_NS1_11comp_targetILNS1_3genE4ELNS1_11target_archE910ELNS1_3gpuE8ELNS1_3repE0EEENS1_30default_config_static_selectorELNS0_4arch9wavefront6targetE1EEEvT1_
                                        ; -- End function
	.section	.AMDGPU.csdata,"",@progbits
; Kernel info:
; codeLenInByte = 4608
; NumSgprs: 32
; NumVgprs: 40
; NumAgprs: 0
; TotalNumVgprs: 40
; ScratchSize: 0
; MemoryBound: 0
; FloatMode: 240
; IeeeMode: 1
; LDSByteSize: 5120 bytes/workgroup (compile time only)
; SGPRBlocks: 3
; VGPRBlocks: 4
; NumSGPRsForWavesPerEU: 32
; NumVGPRsForWavesPerEU: 40
; AccumOffset: 40
; Occupancy: 6
; WaveLimiterHint : 1
; COMPUTE_PGM_RSRC2:SCRATCH_EN: 0
; COMPUTE_PGM_RSRC2:USER_SGPR: 6
; COMPUTE_PGM_RSRC2:TRAP_HANDLER: 0
; COMPUTE_PGM_RSRC2:TGID_X_EN: 1
; COMPUTE_PGM_RSRC2:TGID_Y_EN: 0
; COMPUTE_PGM_RSRC2:TGID_Z_EN: 0
; COMPUTE_PGM_RSRC2:TIDIG_COMP_CNT: 0
; COMPUTE_PGM_RSRC3_GFX90A:ACCUM_OFFSET: 9
; COMPUTE_PGM_RSRC3_GFX90A:TG_SPLIT: 0
	.section	.text._ZN7rocprim17ROCPRIM_400000_NS6detail17trampoline_kernelINS0_14default_configENS1_20scan_config_selectorIjEEZZNS1_9scan_implILNS1_25lookback_scan_determinismE0ELb0ELb0ES3_N6thrust23THRUST_200600_302600_NS6detail15normal_iteratorINS9_10device_ptrIjEEEENSB_INSC_IfEEEEjNS9_4plusIvEEjEEDaPvRmT3_T4_T5_mT6_P12ihipStream_tbENKUlT_T0_E_clISt17integral_constantIbLb0EESW_EEDaSR_SS_EUlSR_E_NS1_11comp_targetILNS1_3genE3ELNS1_11target_archE908ELNS1_3gpuE7ELNS1_3repE0EEENS1_30default_config_static_selectorELNS0_4arch9wavefront6targetE1EEEvT1_,"axG",@progbits,_ZN7rocprim17ROCPRIM_400000_NS6detail17trampoline_kernelINS0_14default_configENS1_20scan_config_selectorIjEEZZNS1_9scan_implILNS1_25lookback_scan_determinismE0ELb0ELb0ES3_N6thrust23THRUST_200600_302600_NS6detail15normal_iteratorINS9_10device_ptrIjEEEENSB_INSC_IfEEEEjNS9_4plusIvEEjEEDaPvRmT3_T4_T5_mT6_P12ihipStream_tbENKUlT_T0_E_clISt17integral_constantIbLb0EESW_EEDaSR_SS_EUlSR_E_NS1_11comp_targetILNS1_3genE3ELNS1_11target_archE908ELNS1_3gpuE7ELNS1_3repE0EEENS1_30default_config_static_selectorELNS0_4arch9wavefront6targetE1EEEvT1_,comdat
	.protected	_ZN7rocprim17ROCPRIM_400000_NS6detail17trampoline_kernelINS0_14default_configENS1_20scan_config_selectorIjEEZZNS1_9scan_implILNS1_25lookback_scan_determinismE0ELb0ELb0ES3_N6thrust23THRUST_200600_302600_NS6detail15normal_iteratorINS9_10device_ptrIjEEEENSB_INSC_IfEEEEjNS9_4plusIvEEjEEDaPvRmT3_T4_T5_mT6_P12ihipStream_tbENKUlT_T0_E_clISt17integral_constantIbLb0EESW_EEDaSR_SS_EUlSR_E_NS1_11comp_targetILNS1_3genE3ELNS1_11target_archE908ELNS1_3gpuE7ELNS1_3repE0EEENS1_30default_config_static_selectorELNS0_4arch9wavefront6targetE1EEEvT1_ ; -- Begin function _ZN7rocprim17ROCPRIM_400000_NS6detail17trampoline_kernelINS0_14default_configENS1_20scan_config_selectorIjEEZZNS1_9scan_implILNS1_25lookback_scan_determinismE0ELb0ELb0ES3_N6thrust23THRUST_200600_302600_NS6detail15normal_iteratorINS9_10device_ptrIjEEEENSB_INSC_IfEEEEjNS9_4plusIvEEjEEDaPvRmT3_T4_T5_mT6_P12ihipStream_tbENKUlT_T0_E_clISt17integral_constantIbLb0EESW_EEDaSR_SS_EUlSR_E_NS1_11comp_targetILNS1_3genE3ELNS1_11target_archE908ELNS1_3gpuE7ELNS1_3repE0EEENS1_30default_config_static_selectorELNS0_4arch9wavefront6targetE1EEEvT1_
	.globl	_ZN7rocprim17ROCPRIM_400000_NS6detail17trampoline_kernelINS0_14default_configENS1_20scan_config_selectorIjEEZZNS1_9scan_implILNS1_25lookback_scan_determinismE0ELb0ELb0ES3_N6thrust23THRUST_200600_302600_NS6detail15normal_iteratorINS9_10device_ptrIjEEEENSB_INSC_IfEEEEjNS9_4plusIvEEjEEDaPvRmT3_T4_T5_mT6_P12ihipStream_tbENKUlT_T0_E_clISt17integral_constantIbLb0EESW_EEDaSR_SS_EUlSR_E_NS1_11comp_targetILNS1_3genE3ELNS1_11target_archE908ELNS1_3gpuE7ELNS1_3repE0EEENS1_30default_config_static_selectorELNS0_4arch9wavefront6targetE1EEEvT1_
	.p2align	8
	.type	_ZN7rocprim17ROCPRIM_400000_NS6detail17trampoline_kernelINS0_14default_configENS1_20scan_config_selectorIjEEZZNS1_9scan_implILNS1_25lookback_scan_determinismE0ELb0ELb0ES3_N6thrust23THRUST_200600_302600_NS6detail15normal_iteratorINS9_10device_ptrIjEEEENSB_INSC_IfEEEEjNS9_4plusIvEEjEEDaPvRmT3_T4_T5_mT6_P12ihipStream_tbENKUlT_T0_E_clISt17integral_constantIbLb0EESW_EEDaSR_SS_EUlSR_E_NS1_11comp_targetILNS1_3genE3ELNS1_11target_archE908ELNS1_3gpuE7ELNS1_3repE0EEENS1_30default_config_static_selectorELNS0_4arch9wavefront6targetE1EEEvT1_,@function
_ZN7rocprim17ROCPRIM_400000_NS6detail17trampoline_kernelINS0_14default_configENS1_20scan_config_selectorIjEEZZNS1_9scan_implILNS1_25lookback_scan_determinismE0ELb0ELb0ES3_N6thrust23THRUST_200600_302600_NS6detail15normal_iteratorINS9_10device_ptrIjEEEENSB_INSC_IfEEEEjNS9_4plusIvEEjEEDaPvRmT3_T4_T5_mT6_P12ihipStream_tbENKUlT_T0_E_clISt17integral_constantIbLb0EESW_EEDaSR_SS_EUlSR_E_NS1_11comp_targetILNS1_3genE3ELNS1_11target_archE908ELNS1_3gpuE7ELNS1_3repE0EEENS1_30default_config_static_selectorELNS0_4arch9wavefront6targetE1EEEvT1_: ; @_ZN7rocprim17ROCPRIM_400000_NS6detail17trampoline_kernelINS0_14default_configENS1_20scan_config_selectorIjEEZZNS1_9scan_implILNS1_25lookback_scan_determinismE0ELb0ELb0ES3_N6thrust23THRUST_200600_302600_NS6detail15normal_iteratorINS9_10device_ptrIjEEEENSB_INSC_IfEEEEjNS9_4plusIvEEjEEDaPvRmT3_T4_T5_mT6_P12ihipStream_tbENKUlT_T0_E_clISt17integral_constantIbLb0EESW_EEDaSR_SS_EUlSR_E_NS1_11comp_targetILNS1_3genE3ELNS1_11target_archE908ELNS1_3gpuE7ELNS1_3repE0EEENS1_30default_config_static_selectorELNS0_4arch9wavefront6targetE1EEEvT1_
; %bb.0:
	.section	.rodata,"a",@progbits
	.p2align	6, 0x0
	.amdhsa_kernel _ZN7rocprim17ROCPRIM_400000_NS6detail17trampoline_kernelINS0_14default_configENS1_20scan_config_selectorIjEEZZNS1_9scan_implILNS1_25lookback_scan_determinismE0ELb0ELb0ES3_N6thrust23THRUST_200600_302600_NS6detail15normal_iteratorINS9_10device_ptrIjEEEENSB_INSC_IfEEEEjNS9_4plusIvEEjEEDaPvRmT3_T4_T5_mT6_P12ihipStream_tbENKUlT_T0_E_clISt17integral_constantIbLb0EESW_EEDaSR_SS_EUlSR_E_NS1_11comp_targetILNS1_3genE3ELNS1_11target_archE908ELNS1_3gpuE7ELNS1_3repE0EEENS1_30default_config_static_selectorELNS0_4arch9wavefront6targetE1EEEvT1_
		.amdhsa_group_segment_fixed_size 0
		.amdhsa_private_segment_fixed_size 0
		.amdhsa_kernarg_size 96
		.amdhsa_user_sgpr_count 6
		.amdhsa_user_sgpr_private_segment_buffer 1
		.amdhsa_user_sgpr_dispatch_ptr 0
		.amdhsa_user_sgpr_queue_ptr 0
		.amdhsa_user_sgpr_kernarg_segment_ptr 1
		.amdhsa_user_sgpr_dispatch_id 0
		.amdhsa_user_sgpr_flat_scratch_init 0
		.amdhsa_user_sgpr_kernarg_preload_length 0
		.amdhsa_user_sgpr_kernarg_preload_offset 0
		.amdhsa_user_sgpr_private_segment_size 0
		.amdhsa_uses_dynamic_stack 0
		.amdhsa_system_sgpr_private_segment_wavefront_offset 0
		.amdhsa_system_sgpr_workgroup_id_x 1
		.amdhsa_system_sgpr_workgroup_id_y 0
		.amdhsa_system_sgpr_workgroup_id_z 0
		.amdhsa_system_sgpr_workgroup_info 0
		.amdhsa_system_vgpr_workitem_id 0
		.amdhsa_next_free_vgpr 1
		.amdhsa_next_free_sgpr 0
		.amdhsa_accum_offset 4
		.amdhsa_reserve_vcc 0
		.amdhsa_reserve_flat_scratch 0
		.amdhsa_float_round_mode_32 0
		.amdhsa_float_round_mode_16_64 0
		.amdhsa_float_denorm_mode_32 3
		.amdhsa_float_denorm_mode_16_64 3
		.amdhsa_dx10_clamp 1
		.amdhsa_ieee_mode 1
		.amdhsa_fp16_overflow 0
		.amdhsa_tg_split 0
		.amdhsa_exception_fp_ieee_invalid_op 0
		.amdhsa_exception_fp_denorm_src 0
		.amdhsa_exception_fp_ieee_div_zero 0
		.amdhsa_exception_fp_ieee_overflow 0
		.amdhsa_exception_fp_ieee_underflow 0
		.amdhsa_exception_fp_ieee_inexact 0
		.amdhsa_exception_int_div_zero 0
	.end_amdhsa_kernel
	.section	.text._ZN7rocprim17ROCPRIM_400000_NS6detail17trampoline_kernelINS0_14default_configENS1_20scan_config_selectorIjEEZZNS1_9scan_implILNS1_25lookback_scan_determinismE0ELb0ELb0ES3_N6thrust23THRUST_200600_302600_NS6detail15normal_iteratorINS9_10device_ptrIjEEEENSB_INSC_IfEEEEjNS9_4plusIvEEjEEDaPvRmT3_T4_T5_mT6_P12ihipStream_tbENKUlT_T0_E_clISt17integral_constantIbLb0EESW_EEDaSR_SS_EUlSR_E_NS1_11comp_targetILNS1_3genE3ELNS1_11target_archE908ELNS1_3gpuE7ELNS1_3repE0EEENS1_30default_config_static_selectorELNS0_4arch9wavefront6targetE1EEEvT1_,"axG",@progbits,_ZN7rocprim17ROCPRIM_400000_NS6detail17trampoline_kernelINS0_14default_configENS1_20scan_config_selectorIjEEZZNS1_9scan_implILNS1_25lookback_scan_determinismE0ELb0ELb0ES3_N6thrust23THRUST_200600_302600_NS6detail15normal_iteratorINS9_10device_ptrIjEEEENSB_INSC_IfEEEEjNS9_4plusIvEEjEEDaPvRmT3_T4_T5_mT6_P12ihipStream_tbENKUlT_T0_E_clISt17integral_constantIbLb0EESW_EEDaSR_SS_EUlSR_E_NS1_11comp_targetILNS1_3genE3ELNS1_11target_archE908ELNS1_3gpuE7ELNS1_3repE0EEENS1_30default_config_static_selectorELNS0_4arch9wavefront6targetE1EEEvT1_,comdat
.Lfunc_end6018:
	.size	_ZN7rocprim17ROCPRIM_400000_NS6detail17trampoline_kernelINS0_14default_configENS1_20scan_config_selectorIjEEZZNS1_9scan_implILNS1_25lookback_scan_determinismE0ELb0ELb0ES3_N6thrust23THRUST_200600_302600_NS6detail15normal_iteratorINS9_10device_ptrIjEEEENSB_INSC_IfEEEEjNS9_4plusIvEEjEEDaPvRmT3_T4_T5_mT6_P12ihipStream_tbENKUlT_T0_E_clISt17integral_constantIbLb0EESW_EEDaSR_SS_EUlSR_E_NS1_11comp_targetILNS1_3genE3ELNS1_11target_archE908ELNS1_3gpuE7ELNS1_3repE0EEENS1_30default_config_static_selectorELNS0_4arch9wavefront6targetE1EEEvT1_, .Lfunc_end6018-_ZN7rocprim17ROCPRIM_400000_NS6detail17trampoline_kernelINS0_14default_configENS1_20scan_config_selectorIjEEZZNS1_9scan_implILNS1_25lookback_scan_determinismE0ELb0ELb0ES3_N6thrust23THRUST_200600_302600_NS6detail15normal_iteratorINS9_10device_ptrIjEEEENSB_INSC_IfEEEEjNS9_4plusIvEEjEEDaPvRmT3_T4_T5_mT6_P12ihipStream_tbENKUlT_T0_E_clISt17integral_constantIbLb0EESW_EEDaSR_SS_EUlSR_E_NS1_11comp_targetILNS1_3genE3ELNS1_11target_archE908ELNS1_3gpuE7ELNS1_3repE0EEENS1_30default_config_static_selectorELNS0_4arch9wavefront6targetE1EEEvT1_
                                        ; -- End function
	.section	.AMDGPU.csdata,"",@progbits
; Kernel info:
; codeLenInByte = 0
; NumSgprs: 4
; NumVgprs: 0
; NumAgprs: 0
; TotalNumVgprs: 0
; ScratchSize: 0
; MemoryBound: 0
; FloatMode: 240
; IeeeMode: 1
; LDSByteSize: 0 bytes/workgroup (compile time only)
; SGPRBlocks: 0
; VGPRBlocks: 0
; NumSGPRsForWavesPerEU: 4
; NumVGPRsForWavesPerEU: 1
; AccumOffset: 4
; Occupancy: 8
; WaveLimiterHint : 0
; COMPUTE_PGM_RSRC2:SCRATCH_EN: 0
; COMPUTE_PGM_RSRC2:USER_SGPR: 6
; COMPUTE_PGM_RSRC2:TRAP_HANDLER: 0
; COMPUTE_PGM_RSRC2:TGID_X_EN: 1
; COMPUTE_PGM_RSRC2:TGID_Y_EN: 0
; COMPUTE_PGM_RSRC2:TGID_Z_EN: 0
; COMPUTE_PGM_RSRC2:TIDIG_COMP_CNT: 0
; COMPUTE_PGM_RSRC3_GFX90A:ACCUM_OFFSET: 0
; COMPUTE_PGM_RSRC3_GFX90A:TG_SPLIT: 0
	.section	.text._ZN7rocprim17ROCPRIM_400000_NS6detail17trampoline_kernelINS0_14default_configENS1_20scan_config_selectorIjEEZZNS1_9scan_implILNS1_25lookback_scan_determinismE0ELb0ELb0ES3_N6thrust23THRUST_200600_302600_NS6detail15normal_iteratorINS9_10device_ptrIjEEEENSB_INSC_IfEEEEjNS9_4plusIvEEjEEDaPvRmT3_T4_T5_mT6_P12ihipStream_tbENKUlT_T0_E_clISt17integral_constantIbLb0EESW_EEDaSR_SS_EUlSR_E_NS1_11comp_targetILNS1_3genE2ELNS1_11target_archE906ELNS1_3gpuE6ELNS1_3repE0EEENS1_30default_config_static_selectorELNS0_4arch9wavefront6targetE1EEEvT1_,"axG",@progbits,_ZN7rocprim17ROCPRIM_400000_NS6detail17trampoline_kernelINS0_14default_configENS1_20scan_config_selectorIjEEZZNS1_9scan_implILNS1_25lookback_scan_determinismE0ELb0ELb0ES3_N6thrust23THRUST_200600_302600_NS6detail15normal_iteratorINS9_10device_ptrIjEEEENSB_INSC_IfEEEEjNS9_4plusIvEEjEEDaPvRmT3_T4_T5_mT6_P12ihipStream_tbENKUlT_T0_E_clISt17integral_constantIbLb0EESW_EEDaSR_SS_EUlSR_E_NS1_11comp_targetILNS1_3genE2ELNS1_11target_archE906ELNS1_3gpuE6ELNS1_3repE0EEENS1_30default_config_static_selectorELNS0_4arch9wavefront6targetE1EEEvT1_,comdat
	.protected	_ZN7rocprim17ROCPRIM_400000_NS6detail17trampoline_kernelINS0_14default_configENS1_20scan_config_selectorIjEEZZNS1_9scan_implILNS1_25lookback_scan_determinismE0ELb0ELb0ES3_N6thrust23THRUST_200600_302600_NS6detail15normal_iteratorINS9_10device_ptrIjEEEENSB_INSC_IfEEEEjNS9_4plusIvEEjEEDaPvRmT3_T4_T5_mT6_P12ihipStream_tbENKUlT_T0_E_clISt17integral_constantIbLb0EESW_EEDaSR_SS_EUlSR_E_NS1_11comp_targetILNS1_3genE2ELNS1_11target_archE906ELNS1_3gpuE6ELNS1_3repE0EEENS1_30default_config_static_selectorELNS0_4arch9wavefront6targetE1EEEvT1_ ; -- Begin function _ZN7rocprim17ROCPRIM_400000_NS6detail17trampoline_kernelINS0_14default_configENS1_20scan_config_selectorIjEEZZNS1_9scan_implILNS1_25lookback_scan_determinismE0ELb0ELb0ES3_N6thrust23THRUST_200600_302600_NS6detail15normal_iteratorINS9_10device_ptrIjEEEENSB_INSC_IfEEEEjNS9_4plusIvEEjEEDaPvRmT3_T4_T5_mT6_P12ihipStream_tbENKUlT_T0_E_clISt17integral_constantIbLb0EESW_EEDaSR_SS_EUlSR_E_NS1_11comp_targetILNS1_3genE2ELNS1_11target_archE906ELNS1_3gpuE6ELNS1_3repE0EEENS1_30default_config_static_selectorELNS0_4arch9wavefront6targetE1EEEvT1_
	.globl	_ZN7rocprim17ROCPRIM_400000_NS6detail17trampoline_kernelINS0_14default_configENS1_20scan_config_selectorIjEEZZNS1_9scan_implILNS1_25lookback_scan_determinismE0ELb0ELb0ES3_N6thrust23THRUST_200600_302600_NS6detail15normal_iteratorINS9_10device_ptrIjEEEENSB_INSC_IfEEEEjNS9_4plusIvEEjEEDaPvRmT3_T4_T5_mT6_P12ihipStream_tbENKUlT_T0_E_clISt17integral_constantIbLb0EESW_EEDaSR_SS_EUlSR_E_NS1_11comp_targetILNS1_3genE2ELNS1_11target_archE906ELNS1_3gpuE6ELNS1_3repE0EEENS1_30default_config_static_selectorELNS0_4arch9wavefront6targetE1EEEvT1_
	.p2align	8
	.type	_ZN7rocprim17ROCPRIM_400000_NS6detail17trampoline_kernelINS0_14default_configENS1_20scan_config_selectorIjEEZZNS1_9scan_implILNS1_25lookback_scan_determinismE0ELb0ELb0ES3_N6thrust23THRUST_200600_302600_NS6detail15normal_iteratorINS9_10device_ptrIjEEEENSB_INSC_IfEEEEjNS9_4plusIvEEjEEDaPvRmT3_T4_T5_mT6_P12ihipStream_tbENKUlT_T0_E_clISt17integral_constantIbLb0EESW_EEDaSR_SS_EUlSR_E_NS1_11comp_targetILNS1_3genE2ELNS1_11target_archE906ELNS1_3gpuE6ELNS1_3repE0EEENS1_30default_config_static_selectorELNS0_4arch9wavefront6targetE1EEEvT1_,@function
_ZN7rocprim17ROCPRIM_400000_NS6detail17trampoline_kernelINS0_14default_configENS1_20scan_config_selectorIjEEZZNS1_9scan_implILNS1_25lookback_scan_determinismE0ELb0ELb0ES3_N6thrust23THRUST_200600_302600_NS6detail15normal_iteratorINS9_10device_ptrIjEEEENSB_INSC_IfEEEEjNS9_4plusIvEEjEEDaPvRmT3_T4_T5_mT6_P12ihipStream_tbENKUlT_T0_E_clISt17integral_constantIbLb0EESW_EEDaSR_SS_EUlSR_E_NS1_11comp_targetILNS1_3genE2ELNS1_11target_archE906ELNS1_3gpuE6ELNS1_3repE0EEENS1_30default_config_static_selectorELNS0_4arch9wavefront6targetE1EEEvT1_: ; @_ZN7rocprim17ROCPRIM_400000_NS6detail17trampoline_kernelINS0_14default_configENS1_20scan_config_selectorIjEEZZNS1_9scan_implILNS1_25lookback_scan_determinismE0ELb0ELb0ES3_N6thrust23THRUST_200600_302600_NS6detail15normal_iteratorINS9_10device_ptrIjEEEENSB_INSC_IfEEEEjNS9_4plusIvEEjEEDaPvRmT3_T4_T5_mT6_P12ihipStream_tbENKUlT_T0_E_clISt17integral_constantIbLb0EESW_EEDaSR_SS_EUlSR_E_NS1_11comp_targetILNS1_3genE2ELNS1_11target_archE906ELNS1_3gpuE6ELNS1_3repE0EEENS1_30default_config_static_selectorELNS0_4arch9wavefront6targetE1EEEvT1_
; %bb.0:
	.section	.rodata,"a",@progbits
	.p2align	6, 0x0
	.amdhsa_kernel _ZN7rocprim17ROCPRIM_400000_NS6detail17trampoline_kernelINS0_14default_configENS1_20scan_config_selectorIjEEZZNS1_9scan_implILNS1_25lookback_scan_determinismE0ELb0ELb0ES3_N6thrust23THRUST_200600_302600_NS6detail15normal_iteratorINS9_10device_ptrIjEEEENSB_INSC_IfEEEEjNS9_4plusIvEEjEEDaPvRmT3_T4_T5_mT6_P12ihipStream_tbENKUlT_T0_E_clISt17integral_constantIbLb0EESW_EEDaSR_SS_EUlSR_E_NS1_11comp_targetILNS1_3genE2ELNS1_11target_archE906ELNS1_3gpuE6ELNS1_3repE0EEENS1_30default_config_static_selectorELNS0_4arch9wavefront6targetE1EEEvT1_
		.amdhsa_group_segment_fixed_size 0
		.amdhsa_private_segment_fixed_size 0
		.amdhsa_kernarg_size 96
		.amdhsa_user_sgpr_count 6
		.amdhsa_user_sgpr_private_segment_buffer 1
		.amdhsa_user_sgpr_dispatch_ptr 0
		.amdhsa_user_sgpr_queue_ptr 0
		.amdhsa_user_sgpr_kernarg_segment_ptr 1
		.amdhsa_user_sgpr_dispatch_id 0
		.amdhsa_user_sgpr_flat_scratch_init 0
		.amdhsa_user_sgpr_kernarg_preload_length 0
		.amdhsa_user_sgpr_kernarg_preload_offset 0
		.amdhsa_user_sgpr_private_segment_size 0
		.amdhsa_uses_dynamic_stack 0
		.amdhsa_system_sgpr_private_segment_wavefront_offset 0
		.amdhsa_system_sgpr_workgroup_id_x 1
		.amdhsa_system_sgpr_workgroup_id_y 0
		.amdhsa_system_sgpr_workgroup_id_z 0
		.amdhsa_system_sgpr_workgroup_info 0
		.amdhsa_system_vgpr_workitem_id 0
		.amdhsa_next_free_vgpr 1
		.amdhsa_next_free_sgpr 0
		.amdhsa_accum_offset 4
		.amdhsa_reserve_vcc 0
		.amdhsa_reserve_flat_scratch 0
		.amdhsa_float_round_mode_32 0
		.amdhsa_float_round_mode_16_64 0
		.amdhsa_float_denorm_mode_32 3
		.amdhsa_float_denorm_mode_16_64 3
		.amdhsa_dx10_clamp 1
		.amdhsa_ieee_mode 1
		.amdhsa_fp16_overflow 0
		.amdhsa_tg_split 0
		.amdhsa_exception_fp_ieee_invalid_op 0
		.amdhsa_exception_fp_denorm_src 0
		.amdhsa_exception_fp_ieee_div_zero 0
		.amdhsa_exception_fp_ieee_overflow 0
		.amdhsa_exception_fp_ieee_underflow 0
		.amdhsa_exception_fp_ieee_inexact 0
		.amdhsa_exception_int_div_zero 0
	.end_amdhsa_kernel
	.section	.text._ZN7rocprim17ROCPRIM_400000_NS6detail17trampoline_kernelINS0_14default_configENS1_20scan_config_selectorIjEEZZNS1_9scan_implILNS1_25lookback_scan_determinismE0ELb0ELb0ES3_N6thrust23THRUST_200600_302600_NS6detail15normal_iteratorINS9_10device_ptrIjEEEENSB_INSC_IfEEEEjNS9_4plusIvEEjEEDaPvRmT3_T4_T5_mT6_P12ihipStream_tbENKUlT_T0_E_clISt17integral_constantIbLb0EESW_EEDaSR_SS_EUlSR_E_NS1_11comp_targetILNS1_3genE2ELNS1_11target_archE906ELNS1_3gpuE6ELNS1_3repE0EEENS1_30default_config_static_selectorELNS0_4arch9wavefront6targetE1EEEvT1_,"axG",@progbits,_ZN7rocprim17ROCPRIM_400000_NS6detail17trampoline_kernelINS0_14default_configENS1_20scan_config_selectorIjEEZZNS1_9scan_implILNS1_25lookback_scan_determinismE0ELb0ELb0ES3_N6thrust23THRUST_200600_302600_NS6detail15normal_iteratorINS9_10device_ptrIjEEEENSB_INSC_IfEEEEjNS9_4plusIvEEjEEDaPvRmT3_T4_T5_mT6_P12ihipStream_tbENKUlT_T0_E_clISt17integral_constantIbLb0EESW_EEDaSR_SS_EUlSR_E_NS1_11comp_targetILNS1_3genE2ELNS1_11target_archE906ELNS1_3gpuE6ELNS1_3repE0EEENS1_30default_config_static_selectorELNS0_4arch9wavefront6targetE1EEEvT1_,comdat
.Lfunc_end6019:
	.size	_ZN7rocprim17ROCPRIM_400000_NS6detail17trampoline_kernelINS0_14default_configENS1_20scan_config_selectorIjEEZZNS1_9scan_implILNS1_25lookback_scan_determinismE0ELb0ELb0ES3_N6thrust23THRUST_200600_302600_NS6detail15normal_iteratorINS9_10device_ptrIjEEEENSB_INSC_IfEEEEjNS9_4plusIvEEjEEDaPvRmT3_T4_T5_mT6_P12ihipStream_tbENKUlT_T0_E_clISt17integral_constantIbLb0EESW_EEDaSR_SS_EUlSR_E_NS1_11comp_targetILNS1_3genE2ELNS1_11target_archE906ELNS1_3gpuE6ELNS1_3repE0EEENS1_30default_config_static_selectorELNS0_4arch9wavefront6targetE1EEEvT1_, .Lfunc_end6019-_ZN7rocprim17ROCPRIM_400000_NS6detail17trampoline_kernelINS0_14default_configENS1_20scan_config_selectorIjEEZZNS1_9scan_implILNS1_25lookback_scan_determinismE0ELb0ELb0ES3_N6thrust23THRUST_200600_302600_NS6detail15normal_iteratorINS9_10device_ptrIjEEEENSB_INSC_IfEEEEjNS9_4plusIvEEjEEDaPvRmT3_T4_T5_mT6_P12ihipStream_tbENKUlT_T0_E_clISt17integral_constantIbLb0EESW_EEDaSR_SS_EUlSR_E_NS1_11comp_targetILNS1_3genE2ELNS1_11target_archE906ELNS1_3gpuE6ELNS1_3repE0EEENS1_30default_config_static_selectorELNS0_4arch9wavefront6targetE1EEEvT1_
                                        ; -- End function
	.section	.AMDGPU.csdata,"",@progbits
; Kernel info:
; codeLenInByte = 0
; NumSgprs: 4
; NumVgprs: 0
; NumAgprs: 0
; TotalNumVgprs: 0
; ScratchSize: 0
; MemoryBound: 0
; FloatMode: 240
; IeeeMode: 1
; LDSByteSize: 0 bytes/workgroup (compile time only)
; SGPRBlocks: 0
; VGPRBlocks: 0
; NumSGPRsForWavesPerEU: 4
; NumVGPRsForWavesPerEU: 1
; AccumOffset: 4
; Occupancy: 8
; WaveLimiterHint : 0
; COMPUTE_PGM_RSRC2:SCRATCH_EN: 0
; COMPUTE_PGM_RSRC2:USER_SGPR: 6
; COMPUTE_PGM_RSRC2:TRAP_HANDLER: 0
; COMPUTE_PGM_RSRC2:TGID_X_EN: 1
; COMPUTE_PGM_RSRC2:TGID_Y_EN: 0
; COMPUTE_PGM_RSRC2:TGID_Z_EN: 0
; COMPUTE_PGM_RSRC2:TIDIG_COMP_CNT: 0
; COMPUTE_PGM_RSRC3_GFX90A:ACCUM_OFFSET: 0
; COMPUTE_PGM_RSRC3_GFX90A:TG_SPLIT: 0
	.section	.text._ZN7rocprim17ROCPRIM_400000_NS6detail17trampoline_kernelINS0_14default_configENS1_20scan_config_selectorIjEEZZNS1_9scan_implILNS1_25lookback_scan_determinismE0ELb0ELb0ES3_N6thrust23THRUST_200600_302600_NS6detail15normal_iteratorINS9_10device_ptrIjEEEENSB_INSC_IfEEEEjNS9_4plusIvEEjEEDaPvRmT3_T4_T5_mT6_P12ihipStream_tbENKUlT_T0_E_clISt17integral_constantIbLb0EESW_EEDaSR_SS_EUlSR_E_NS1_11comp_targetILNS1_3genE10ELNS1_11target_archE1201ELNS1_3gpuE5ELNS1_3repE0EEENS1_30default_config_static_selectorELNS0_4arch9wavefront6targetE1EEEvT1_,"axG",@progbits,_ZN7rocprim17ROCPRIM_400000_NS6detail17trampoline_kernelINS0_14default_configENS1_20scan_config_selectorIjEEZZNS1_9scan_implILNS1_25lookback_scan_determinismE0ELb0ELb0ES3_N6thrust23THRUST_200600_302600_NS6detail15normal_iteratorINS9_10device_ptrIjEEEENSB_INSC_IfEEEEjNS9_4plusIvEEjEEDaPvRmT3_T4_T5_mT6_P12ihipStream_tbENKUlT_T0_E_clISt17integral_constantIbLb0EESW_EEDaSR_SS_EUlSR_E_NS1_11comp_targetILNS1_3genE10ELNS1_11target_archE1201ELNS1_3gpuE5ELNS1_3repE0EEENS1_30default_config_static_selectorELNS0_4arch9wavefront6targetE1EEEvT1_,comdat
	.protected	_ZN7rocprim17ROCPRIM_400000_NS6detail17trampoline_kernelINS0_14default_configENS1_20scan_config_selectorIjEEZZNS1_9scan_implILNS1_25lookback_scan_determinismE0ELb0ELb0ES3_N6thrust23THRUST_200600_302600_NS6detail15normal_iteratorINS9_10device_ptrIjEEEENSB_INSC_IfEEEEjNS9_4plusIvEEjEEDaPvRmT3_T4_T5_mT6_P12ihipStream_tbENKUlT_T0_E_clISt17integral_constantIbLb0EESW_EEDaSR_SS_EUlSR_E_NS1_11comp_targetILNS1_3genE10ELNS1_11target_archE1201ELNS1_3gpuE5ELNS1_3repE0EEENS1_30default_config_static_selectorELNS0_4arch9wavefront6targetE1EEEvT1_ ; -- Begin function _ZN7rocprim17ROCPRIM_400000_NS6detail17trampoline_kernelINS0_14default_configENS1_20scan_config_selectorIjEEZZNS1_9scan_implILNS1_25lookback_scan_determinismE0ELb0ELb0ES3_N6thrust23THRUST_200600_302600_NS6detail15normal_iteratorINS9_10device_ptrIjEEEENSB_INSC_IfEEEEjNS9_4plusIvEEjEEDaPvRmT3_T4_T5_mT6_P12ihipStream_tbENKUlT_T0_E_clISt17integral_constantIbLb0EESW_EEDaSR_SS_EUlSR_E_NS1_11comp_targetILNS1_3genE10ELNS1_11target_archE1201ELNS1_3gpuE5ELNS1_3repE0EEENS1_30default_config_static_selectorELNS0_4arch9wavefront6targetE1EEEvT1_
	.globl	_ZN7rocprim17ROCPRIM_400000_NS6detail17trampoline_kernelINS0_14default_configENS1_20scan_config_selectorIjEEZZNS1_9scan_implILNS1_25lookback_scan_determinismE0ELb0ELb0ES3_N6thrust23THRUST_200600_302600_NS6detail15normal_iteratorINS9_10device_ptrIjEEEENSB_INSC_IfEEEEjNS9_4plusIvEEjEEDaPvRmT3_T4_T5_mT6_P12ihipStream_tbENKUlT_T0_E_clISt17integral_constantIbLb0EESW_EEDaSR_SS_EUlSR_E_NS1_11comp_targetILNS1_3genE10ELNS1_11target_archE1201ELNS1_3gpuE5ELNS1_3repE0EEENS1_30default_config_static_selectorELNS0_4arch9wavefront6targetE1EEEvT1_
	.p2align	8
	.type	_ZN7rocprim17ROCPRIM_400000_NS6detail17trampoline_kernelINS0_14default_configENS1_20scan_config_selectorIjEEZZNS1_9scan_implILNS1_25lookback_scan_determinismE0ELb0ELb0ES3_N6thrust23THRUST_200600_302600_NS6detail15normal_iteratorINS9_10device_ptrIjEEEENSB_INSC_IfEEEEjNS9_4plusIvEEjEEDaPvRmT3_T4_T5_mT6_P12ihipStream_tbENKUlT_T0_E_clISt17integral_constantIbLb0EESW_EEDaSR_SS_EUlSR_E_NS1_11comp_targetILNS1_3genE10ELNS1_11target_archE1201ELNS1_3gpuE5ELNS1_3repE0EEENS1_30default_config_static_selectorELNS0_4arch9wavefront6targetE1EEEvT1_,@function
_ZN7rocprim17ROCPRIM_400000_NS6detail17trampoline_kernelINS0_14default_configENS1_20scan_config_selectorIjEEZZNS1_9scan_implILNS1_25lookback_scan_determinismE0ELb0ELb0ES3_N6thrust23THRUST_200600_302600_NS6detail15normal_iteratorINS9_10device_ptrIjEEEENSB_INSC_IfEEEEjNS9_4plusIvEEjEEDaPvRmT3_T4_T5_mT6_P12ihipStream_tbENKUlT_T0_E_clISt17integral_constantIbLb0EESW_EEDaSR_SS_EUlSR_E_NS1_11comp_targetILNS1_3genE10ELNS1_11target_archE1201ELNS1_3gpuE5ELNS1_3repE0EEENS1_30default_config_static_selectorELNS0_4arch9wavefront6targetE1EEEvT1_: ; @_ZN7rocprim17ROCPRIM_400000_NS6detail17trampoline_kernelINS0_14default_configENS1_20scan_config_selectorIjEEZZNS1_9scan_implILNS1_25lookback_scan_determinismE0ELb0ELb0ES3_N6thrust23THRUST_200600_302600_NS6detail15normal_iteratorINS9_10device_ptrIjEEEENSB_INSC_IfEEEEjNS9_4plusIvEEjEEDaPvRmT3_T4_T5_mT6_P12ihipStream_tbENKUlT_T0_E_clISt17integral_constantIbLb0EESW_EEDaSR_SS_EUlSR_E_NS1_11comp_targetILNS1_3genE10ELNS1_11target_archE1201ELNS1_3gpuE5ELNS1_3repE0EEENS1_30default_config_static_selectorELNS0_4arch9wavefront6targetE1EEEvT1_
; %bb.0:
	.section	.rodata,"a",@progbits
	.p2align	6, 0x0
	.amdhsa_kernel _ZN7rocprim17ROCPRIM_400000_NS6detail17trampoline_kernelINS0_14default_configENS1_20scan_config_selectorIjEEZZNS1_9scan_implILNS1_25lookback_scan_determinismE0ELb0ELb0ES3_N6thrust23THRUST_200600_302600_NS6detail15normal_iteratorINS9_10device_ptrIjEEEENSB_INSC_IfEEEEjNS9_4plusIvEEjEEDaPvRmT3_T4_T5_mT6_P12ihipStream_tbENKUlT_T0_E_clISt17integral_constantIbLb0EESW_EEDaSR_SS_EUlSR_E_NS1_11comp_targetILNS1_3genE10ELNS1_11target_archE1201ELNS1_3gpuE5ELNS1_3repE0EEENS1_30default_config_static_selectorELNS0_4arch9wavefront6targetE1EEEvT1_
		.amdhsa_group_segment_fixed_size 0
		.amdhsa_private_segment_fixed_size 0
		.amdhsa_kernarg_size 96
		.amdhsa_user_sgpr_count 6
		.amdhsa_user_sgpr_private_segment_buffer 1
		.amdhsa_user_sgpr_dispatch_ptr 0
		.amdhsa_user_sgpr_queue_ptr 0
		.amdhsa_user_sgpr_kernarg_segment_ptr 1
		.amdhsa_user_sgpr_dispatch_id 0
		.amdhsa_user_sgpr_flat_scratch_init 0
		.amdhsa_user_sgpr_kernarg_preload_length 0
		.amdhsa_user_sgpr_kernarg_preload_offset 0
		.amdhsa_user_sgpr_private_segment_size 0
		.amdhsa_uses_dynamic_stack 0
		.amdhsa_system_sgpr_private_segment_wavefront_offset 0
		.amdhsa_system_sgpr_workgroup_id_x 1
		.amdhsa_system_sgpr_workgroup_id_y 0
		.amdhsa_system_sgpr_workgroup_id_z 0
		.amdhsa_system_sgpr_workgroup_info 0
		.amdhsa_system_vgpr_workitem_id 0
		.amdhsa_next_free_vgpr 1
		.amdhsa_next_free_sgpr 0
		.amdhsa_accum_offset 4
		.amdhsa_reserve_vcc 0
		.amdhsa_reserve_flat_scratch 0
		.amdhsa_float_round_mode_32 0
		.amdhsa_float_round_mode_16_64 0
		.amdhsa_float_denorm_mode_32 3
		.amdhsa_float_denorm_mode_16_64 3
		.amdhsa_dx10_clamp 1
		.amdhsa_ieee_mode 1
		.amdhsa_fp16_overflow 0
		.amdhsa_tg_split 0
		.amdhsa_exception_fp_ieee_invalid_op 0
		.amdhsa_exception_fp_denorm_src 0
		.amdhsa_exception_fp_ieee_div_zero 0
		.amdhsa_exception_fp_ieee_overflow 0
		.amdhsa_exception_fp_ieee_underflow 0
		.amdhsa_exception_fp_ieee_inexact 0
		.amdhsa_exception_int_div_zero 0
	.end_amdhsa_kernel
	.section	.text._ZN7rocprim17ROCPRIM_400000_NS6detail17trampoline_kernelINS0_14default_configENS1_20scan_config_selectorIjEEZZNS1_9scan_implILNS1_25lookback_scan_determinismE0ELb0ELb0ES3_N6thrust23THRUST_200600_302600_NS6detail15normal_iteratorINS9_10device_ptrIjEEEENSB_INSC_IfEEEEjNS9_4plusIvEEjEEDaPvRmT3_T4_T5_mT6_P12ihipStream_tbENKUlT_T0_E_clISt17integral_constantIbLb0EESW_EEDaSR_SS_EUlSR_E_NS1_11comp_targetILNS1_3genE10ELNS1_11target_archE1201ELNS1_3gpuE5ELNS1_3repE0EEENS1_30default_config_static_selectorELNS0_4arch9wavefront6targetE1EEEvT1_,"axG",@progbits,_ZN7rocprim17ROCPRIM_400000_NS6detail17trampoline_kernelINS0_14default_configENS1_20scan_config_selectorIjEEZZNS1_9scan_implILNS1_25lookback_scan_determinismE0ELb0ELb0ES3_N6thrust23THRUST_200600_302600_NS6detail15normal_iteratorINS9_10device_ptrIjEEEENSB_INSC_IfEEEEjNS9_4plusIvEEjEEDaPvRmT3_T4_T5_mT6_P12ihipStream_tbENKUlT_T0_E_clISt17integral_constantIbLb0EESW_EEDaSR_SS_EUlSR_E_NS1_11comp_targetILNS1_3genE10ELNS1_11target_archE1201ELNS1_3gpuE5ELNS1_3repE0EEENS1_30default_config_static_selectorELNS0_4arch9wavefront6targetE1EEEvT1_,comdat
.Lfunc_end6020:
	.size	_ZN7rocprim17ROCPRIM_400000_NS6detail17trampoline_kernelINS0_14default_configENS1_20scan_config_selectorIjEEZZNS1_9scan_implILNS1_25lookback_scan_determinismE0ELb0ELb0ES3_N6thrust23THRUST_200600_302600_NS6detail15normal_iteratorINS9_10device_ptrIjEEEENSB_INSC_IfEEEEjNS9_4plusIvEEjEEDaPvRmT3_T4_T5_mT6_P12ihipStream_tbENKUlT_T0_E_clISt17integral_constantIbLb0EESW_EEDaSR_SS_EUlSR_E_NS1_11comp_targetILNS1_3genE10ELNS1_11target_archE1201ELNS1_3gpuE5ELNS1_3repE0EEENS1_30default_config_static_selectorELNS0_4arch9wavefront6targetE1EEEvT1_, .Lfunc_end6020-_ZN7rocprim17ROCPRIM_400000_NS6detail17trampoline_kernelINS0_14default_configENS1_20scan_config_selectorIjEEZZNS1_9scan_implILNS1_25lookback_scan_determinismE0ELb0ELb0ES3_N6thrust23THRUST_200600_302600_NS6detail15normal_iteratorINS9_10device_ptrIjEEEENSB_INSC_IfEEEEjNS9_4plusIvEEjEEDaPvRmT3_T4_T5_mT6_P12ihipStream_tbENKUlT_T0_E_clISt17integral_constantIbLb0EESW_EEDaSR_SS_EUlSR_E_NS1_11comp_targetILNS1_3genE10ELNS1_11target_archE1201ELNS1_3gpuE5ELNS1_3repE0EEENS1_30default_config_static_selectorELNS0_4arch9wavefront6targetE1EEEvT1_
                                        ; -- End function
	.section	.AMDGPU.csdata,"",@progbits
; Kernel info:
; codeLenInByte = 0
; NumSgprs: 4
; NumVgprs: 0
; NumAgprs: 0
; TotalNumVgprs: 0
; ScratchSize: 0
; MemoryBound: 0
; FloatMode: 240
; IeeeMode: 1
; LDSByteSize: 0 bytes/workgroup (compile time only)
; SGPRBlocks: 0
; VGPRBlocks: 0
; NumSGPRsForWavesPerEU: 4
; NumVGPRsForWavesPerEU: 1
; AccumOffset: 4
; Occupancy: 8
; WaveLimiterHint : 0
; COMPUTE_PGM_RSRC2:SCRATCH_EN: 0
; COMPUTE_PGM_RSRC2:USER_SGPR: 6
; COMPUTE_PGM_RSRC2:TRAP_HANDLER: 0
; COMPUTE_PGM_RSRC2:TGID_X_EN: 1
; COMPUTE_PGM_RSRC2:TGID_Y_EN: 0
; COMPUTE_PGM_RSRC2:TGID_Z_EN: 0
; COMPUTE_PGM_RSRC2:TIDIG_COMP_CNT: 0
; COMPUTE_PGM_RSRC3_GFX90A:ACCUM_OFFSET: 0
; COMPUTE_PGM_RSRC3_GFX90A:TG_SPLIT: 0
	.section	.text._ZN7rocprim17ROCPRIM_400000_NS6detail17trampoline_kernelINS0_14default_configENS1_20scan_config_selectorIjEEZZNS1_9scan_implILNS1_25lookback_scan_determinismE0ELb0ELb0ES3_N6thrust23THRUST_200600_302600_NS6detail15normal_iteratorINS9_10device_ptrIjEEEENSB_INSC_IfEEEEjNS9_4plusIvEEjEEDaPvRmT3_T4_T5_mT6_P12ihipStream_tbENKUlT_T0_E_clISt17integral_constantIbLb0EESW_EEDaSR_SS_EUlSR_E_NS1_11comp_targetILNS1_3genE10ELNS1_11target_archE1200ELNS1_3gpuE4ELNS1_3repE0EEENS1_30default_config_static_selectorELNS0_4arch9wavefront6targetE1EEEvT1_,"axG",@progbits,_ZN7rocprim17ROCPRIM_400000_NS6detail17trampoline_kernelINS0_14default_configENS1_20scan_config_selectorIjEEZZNS1_9scan_implILNS1_25lookback_scan_determinismE0ELb0ELb0ES3_N6thrust23THRUST_200600_302600_NS6detail15normal_iteratorINS9_10device_ptrIjEEEENSB_INSC_IfEEEEjNS9_4plusIvEEjEEDaPvRmT3_T4_T5_mT6_P12ihipStream_tbENKUlT_T0_E_clISt17integral_constantIbLb0EESW_EEDaSR_SS_EUlSR_E_NS1_11comp_targetILNS1_3genE10ELNS1_11target_archE1200ELNS1_3gpuE4ELNS1_3repE0EEENS1_30default_config_static_selectorELNS0_4arch9wavefront6targetE1EEEvT1_,comdat
	.protected	_ZN7rocprim17ROCPRIM_400000_NS6detail17trampoline_kernelINS0_14default_configENS1_20scan_config_selectorIjEEZZNS1_9scan_implILNS1_25lookback_scan_determinismE0ELb0ELb0ES3_N6thrust23THRUST_200600_302600_NS6detail15normal_iteratorINS9_10device_ptrIjEEEENSB_INSC_IfEEEEjNS9_4plusIvEEjEEDaPvRmT3_T4_T5_mT6_P12ihipStream_tbENKUlT_T0_E_clISt17integral_constantIbLb0EESW_EEDaSR_SS_EUlSR_E_NS1_11comp_targetILNS1_3genE10ELNS1_11target_archE1200ELNS1_3gpuE4ELNS1_3repE0EEENS1_30default_config_static_selectorELNS0_4arch9wavefront6targetE1EEEvT1_ ; -- Begin function _ZN7rocprim17ROCPRIM_400000_NS6detail17trampoline_kernelINS0_14default_configENS1_20scan_config_selectorIjEEZZNS1_9scan_implILNS1_25lookback_scan_determinismE0ELb0ELb0ES3_N6thrust23THRUST_200600_302600_NS6detail15normal_iteratorINS9_10device_ptrIjEEEENSB_INSC_IfEEEEjNS9_4plusIvEEjEEDaPvRmT3_T4_T5_mT6_P12ihipStream_tbENKUlT_T0_E_clISt17integral_constantIbLb0EESW_EEDaSR_SS_EUlSR_E_NS1_11comp_targetILNS1_3genE10ELNS1_11target_archE1200ELNS1_3gpuE4ELNS1_3repE0EEENS1_30default_config_static_selectorELNS0_4arch9wavefront6targetE1EEEvT1_
	.globl	_ZN7rocprim17ROCPRIM_400000_NS6detail17trampoline_kernelINS0_14default_configENS1_20scan_config_selectorIjEEZZNS1_9scan_implILNS1_25lookback_scan_determinismE0ELb0ELb0ES3_N6thrust23THRUST_200600_302600_NS6detail15normal_iteratorINS9_10device_ptrIjEEEENSB_INSC_IfEEEEjNS9_4plusIvEEjEEDaPvRmT3_T4_T5_mT6_P12ihipStream_tbENKUlT_T0_E_clISt17integral_constantIbLb0EESW_EEDaSR_SS_EUlSR_E_NS1_11comp_targetILNS1_3genE10ELNS1_11target_archE1200ELNS1_3gpuE4ELNS1_3repE0EEENS1_30default_config_static_selectorELNS0_4arch9wavefront6targetE1EEEvT1_
	.p2align	8
	.type	_ZN7rocprim17ROCPRIM_400000_NS6detail17trampoline_kernelINS0_14default_configENS1_20scan_config_selectorIjEEZZNS1_9scan_implILNS1_25lookback_scan_determinismE0ELb0ELb0ES3_N6thrust23THRUST_200600_302600_NS6detail15normal_iteratorINS9_10device_ptrIjEEEENSB_INSC_IfEEEEjNS9_4plusIvEEjEEDaPvRmT3_T4_T5_mT6_P12ihipStream_tbENKUlT_T0_E_clISt17integral_constantIbLb0EESW_EEDaSR_SS_EUlSR_E_NS1_11comp_targetILNS1_3genE10ELNS1_11target_archE1200ELNS1_3gpuE4ELNS1_3repE0EEENS1_30default_config_static_selectorELNS0_4arch9wavefront6targetE1EEEvT1_,@function
_ZN7rocprim17ROCPRIM_400000_NS6detail17trampoline_kernelINS0_14default_configENS1_20scan_config_selectorIjEEZZNS1_9scan_implILNS1_25lookback_scan_determinismE0ELb0ELb0ES3_N6thrust23THRUST_200600_302600_NS6detail15normal_iteratorINS9_10device_ptrIjEEEENSB_INSC_IfEEEEjNS9_4plusIvEEjEEDaPvRmT3_T4_T5_mT6_P12ihipStream_tbENKUlT_T0_E_clISt17integral_constantIbLb0EESW_EEDaSR_SS_EUlSR_E_NS1_11comp_targetILNS1_3genE10ELNS1_11target_archE1200ELNS1_3gpuE4ELNS1_3repE0EEENS1_30default_config_static_selectorELNS0_4arch9wavefront6targetE1EEEvT1_: ; @_ZN7rocprim17ROCPRIM_400000_NS6detail17trampoline_kernelINS0_14default_configENS1_20scan_config_selectorIjEEZZNS1_9scan_implILNS1_25lookback_scan_determinismE0ELb0ELb0ES3_N6thrust23THRUST_200600_302600_NS6detail15normal_iteratorINS9_10device_ptrIjEEEENSB_INSC_IfEEEEjNS9_4plusIvEEjEEDaPvRmT3_T4_T5_mT6_P12ihipStream_tbENKUlT_T0_E_clISt17integral_constantIbLb0EESW_EEDaSR_SS_EUlSR_E_NS1_11comp_targetILNS1_3genE10ELNS1_11target_archE1200ELNS1_3gpuE4ELNS1_3repE0EEENS1_30default_config_static_selectorELNS0_4arch9wavefront6targetE1EEEvT1_
; %bb.0:
	.section	.rodata,"a",@progbits
	.p2align	6, 0x0
	.amdhsa_kernel _ZN7rocprim17ROCPRIM_400000_NS6detail17trampoline_kernelINS0_14default_configENS1_20scan_config_selectorIjEEZZNS1_9scan_implILNS1_25lookback_scan_determinismE0ELb0ELb0ES3_N6thrust23THRUST_200600_302600_NS6detail15normal_iteratorINS9_10device_ptrIjEEEENSB_INSC_IfEEEEjNS9_4plusIvEEjEEDaPvRmT3_T4_T5_mT6_P12ihipStream_tbENKUlT_T0_E_clISt17integral_constantIbLb0EESW_EEDaSR_SS_EUlSR_E_NS1_11comp_targetILNS1_3genE10ELNS1_11target_archE1200ELNS1_3gpuE4ELNS1_3repE0EEENS1_30default_config_static_selectorELNS0_4arch9wavefront6targetE1EEEvT1_
		.amdhsa_group_segment_fixed_size 0
		.amdhsa_private_segment_fixed_size 0
		.amdhsa_kernarg_size 96
		.amdhsa_user_sgpr_count 6
		.amdhsa_user_sgpr_private_segment_buffer 1
		.amdhsa_user_sgpr_dispatch_ptr 0
		.amdhsa_user_sgpr_queue_ptr 0
		.amdhsa_user_sgpr_kernarg_segment_ptr 1
		.amdhsa_user_sgpr_dispatch_id 0
		.amdhsa_user_sgpr_flat_scratch_init 0
		.amdhsa_user_sgpr_kernarg_preload_length 0
		.amdhsa_user_sgpr_kernarg_preload_offset 0
		.amdhsa_user_sgpr_private_segment_size 0
		.amdhsa_uses_dynamic_stack 0
		.amdhsa_system_sgpr_private_segment_wavefront_offset 0
		.amdhsa_system_sgpr_workgroup_id_x 1
		.amdhsa_system_sgpr_workgroup_id_y 0
		.amdhsa_system_sgpr_workgroup_id_z 0
		.amdhsa_system_sgpr_workgroup_info 0
		.amdhsa_system_vgpr_workitem_id 0
		.amdhsa_next_free_vgpr 1
		.amdhsa_next_free_sgpr 0
		.amdhsa_accum_offset 4
		.amdhsa_reserve_vcc 0
		.amdhsa_reserve_flat_scratch 0
		.amdhsa_float_round_mode_32 0
		.amdhsa_float_round_mode_16_64 0
		.amdhsa_float_denorm_mode_32 3
		.amdhsa_float_denorm_mode_16_64 3
		.amdhsa_dx10_clamp 1
		.amdhsa_ieee_mode 1
		.amdhsa_fp16_overflow 0
		.amdhsa_tg_split 0
		.amdhsa_exception_fp_ieee_invalid_op 0
		.amdhsa_exception_fp_denorm_src 0
		.amdhsa_exception_fp_ieee_div_zero 0
		.amdhsa_exception_fp_ieee_overflow 0
		.amdhsa_exception_fp_ieee_underflow 0
		.amdhsa_exception_fp_ieee_inexact 0
		.amdhsa_exception_int_div_zero 0
	.end_amdhsa_kernel
	.section	.text._ZN7rocprim17ROCPRIM_400000_NS6detail17trampoline_kernelINS0_14default_configENS1_20scan_config_selectorIjEEZZNS1_9scan_implILNS1_25lookback_scan_determinismE0ELb0ELb0ES3_N6thrust23THRUST_200600_302600_NS6detail15normal_iteratorINS9_10device_ptrIjEEEENSB_INSC_IfEEEEjNS9_4plusIvEEjEEDaPvRmT3_T4_T5_mT6_P12ihipStream_tbENKUlT_T0_E_clISt17integral_constantIbLb0EESW_EEDaSR_SS_EUlSR_E_NS1_11comp_targetILNS1_3genE10ELNS1_11target_archE1200ELNS1_3gpuE4ELNS1_3repE0EEENS1_30default_config_static_selectorELNS0_4arch9wavefront6targetE1EEEvT1_,"axG",@progbits,_ZN7rocprim17ROCPRIM_400000_NS6detail17trampoline_kernelINS0_14default_configENS1_20scan_config_selectorIjEEZZNS1_9scan_implILNS1_25lookback_scan_determinismE0ELb0ELb0ES3_N6thrust23THRUST_200600_302600_NS6detail15normal_iteratorINS9_10device_ptrIjEEEENSB_INSC_IfEEEEjNS9_4plusIvEEjEEDaPvRmT3_T4_T5_mT6_P12ihipStream_tbENKUlT_T0_E_clISt17integral_constantIbLb0EESW_EEDaSR_SS_EUlSR_E_NS1_11comp_targetILNS1_3genE10ELNS1_11target_archE1200ELNS1_3gpuE4ELNS1_3repE0EEENS1_30default_config_static_selectorELNS0_4arch9wavefront6targetE1EEEvT1_,comdat
.Lfunc_end6021:
	.size	_ZN7rocprim17ROCPRIM_400000_NS6detail17trampoline_kernelINS0_14default_configENS1_20scan_config_selectorIjEEZZNS1_9scan_implILNS1_25lookback_scan_determinismE0ELb0ELb0ES3_N6thrust23THRUST_200600_302600_NS6detail15normal_iteratorINS9_10device_ptrIjEEEENSB_INSC_IfEEEEjNS9_4plusIvEEjEEDaPvRmT3_T4_T5_mT6_P12ihipStream_tbENKUlT_T0_E_clISt17integral_constantIbLb0EESW_EEDaSR_SS_EUlSR_E_NS1_11comp_targetILNS1_3genE10ELNS1_11target_archE1200ELNS1_3gpuE4ELNS1_3repE0EEENS1_30default_config_static_selectorELNS0_4arch9wavefront6targetE1EEEvT1_, .Lfunc_end6021-_ZN7rocprim17ROCPRIM_400000_NS6detail17trampoline_kernelINS0_14default_configENS1_20scan_config_selectorIjEEZZNS1_9scan_implILNS1_25lookback_scan_determinismE0ELb0ELb0ES3_N6thrust23THRUST_200600_302600_NS6detail15normal_iteratorINS9_10device_ptrIjEEEENSB_INSC_IfEEEEjNS9_4plusIvEEjEEDaPvRmT3_T4_T5_mT6_P12ihipStream_tbENKUlT_T0_E_clISt17integral_constantIbLb0EESW_EEDaSR_SS_EUlSR_E_NS1_11comp_targetILNS1_3genE10ELNS1_11target_archE1200ELNS1_3gpuE4ELNS1_3repE0EEENS1_30default_config_static_selectorELNS0_4arch9wavefront6targetE1EEEvT1_
                                        ; -- End function
	.section	.AMDGPU.csdata,"",@progbits
; Kernel info:
; codeLenInByte = 0
; NumSgprs: 4
; NumVgprs: 0
; NumAgprs: 0
; TotalNumVgprs: 0
; ScratchSize: 0
; MemoryBound: 0
; FloatMode: 240
; IeeeMode: 1
; LDSByteSize: 0 bytes/workgroup (compile time only)
; SGPRBlocks: 0
; VGPRBlocks: 0
; NumSGPRsForWavesPerEU: 4
; NumVGPRsForWavesPerEU: 1
; AccumOffset: 4
; Occupancy: 8
; WaveLimiterHint : 0
; COMPUTE_PGM_RSRC2:SCRATCH_EN: 0
; COMPUTE_PGM_RSRC2:USER_SGPR: 6
; COMPUTE_PGM_RSRC2:TRAP_HANDLER: 0
; COMPUTE_PGM_RSRC2:TGID_X_EN: 1
; COMPUTE_PGM_RSRC2:TGID_Y_EN: 0
; COMPUTE_PGM_RSRC2:TGID_Z_EN: 0
; COMPUTE_PGM_RSRC2:TIDIG_COMP_CNT: 0
; COMPUTE_PGM_RSRC3_GFX90A:ACCUM_OFFSET: 0
; COMPUTE_PGM_RSRC3_GFX90A:TG_SPLIT: 0
	.section	.text._ZN7rocprim17ROCPRIM_400000_NS6detail17trampoline_kernelINS0_14default_configENS1_20scan_config_selectorIjEEZZNS1_9scan_implILNS1_25lookback_scan_determinismE0ELb0ELb0ES3_N6thrust23THRUST_200600_302600_NS6detail15normal_iteratorINS9_10device_ptrIjEEEENSB_INSC_IfEEEEjNS9_4plusIvEEjEEDaPvRmT3_T4_T5_mT6_P12ihipStream_tbENKUlT_T0_E_clISt17integral_constantIbLb0EESW_EEDaSR_SS_EUlSR_E_NS1_11comp_targetILNS1_3genE9ELNS1_11target_archE1100ELNS1_3gpuE3ELNS1_3repE0EEENS1_30default_config_static_selectorELNS0_4arch9wavefront6targetE1EEEvT1_,"axG",@progbits,_ZN7rocprim17ROCPRIM_400000_NS6detail17trampoline_kernelINS0_14default_configENS1_20scan_config_selectorIjEEZZNS1_9scan_implILNS1_25lookback_scan_determinismE0ELb0ELb0ES3_N6thrust23THRUST_200600_302600_NS6detail15normal_iteratorINS9_10device_ptrIjEEEENSB_INSC_IfEEEEjNS9_4plusIvEEjEEDaPvRmT3_T4_T5_mT6_P12ihipStream_tbENKUlT_T0_E_clISt17integral_constantIbLb0EESW_EEDaSR_SS_EUlSR_E_NS1_11comp_targetILNS1_3genE9ELNS1_11target_archE1100ELNS1_3gpuE3ELNS1_3repE0EEENS1_30default_config_static_selectorELNS0_4arch9wavefront6targetE1EEEvT1_,comdat
	.protected	_ZN7rocprim17ROCPRIM_400000_NS6detail17trampoline_kernelINS0_14default_configENS1_20scan_config_selectorIjEEZZNS1_9scan_implILNS1_25lookback_scan_determinismE0ELb0ELb0ES3_N6thrust23THRUST_200600_302600_NS6detail15normal_iteratorINS9_10device_ptrIjEEEENSB_INSC_IfEEEEjNS9_4plusIvEEjEEDaPvRmT3_T4_T5_mT6_P12ihipStream_tbENKUlT_T0_E_clISt17integral_constantIbLb0EESW_EEDaSR_SS_EUlSR_E_NS1_11comp_targetILNS1_3genE9ELNS1_11target_archE1100ELNS1_3gpuE3ELNS1_3repE0EEENS1_30default_config_static_selectorELNS0_4arch9wavefront6targetE1EEEvT1_ ; -- Begin function _ZN7rocprim17ROCPRIM_400000_NS6detail17trampoline_kernelINS0_14default_configENS1_20scan_config_selectorIjEEZZNS1_9scan_implILNS1_25lookback_scan_determinismE0ELb0ELb0ES3_N6thrust23THRUST_200600_302600_NS6detail15normal_iteratorINS9_10device_ptrIjEEEENSB_INSC_IfEEEEjNS9_4plusIvEEjEEDaPvRmT3_T4_T5_mT6_P12ihipStream_tbENKUlT_T0_E_clISt17integral_constantIbLb0EESW_EEDaSR_SS_EUlSR_E_NS1_11comp_targetILNS1_3genE9ELNS1_11target_archE1100ELNS1_3gpuE3ELNS1_3repE0EEENS1_30default_config_static_selectorELNS0_4arch9wavefront6targetE1EEEvT1_
	.globl	_ZN7rocprim17ROCPRIM_400000_NS6detail17trampoline_kernelINS0_14default_configENS1_20scan_config_selectorIjEEZZNS1_9scan_implILNS1_25lookback_scan_determinismE0ELb0ELb0ES3_N6thrust23THRUST_200600_302600_NS6detail15normal_iteratorINS9_10device_ptrIjEEEENSB_INSC_IfEEEEjNS9_4plusIvEEjEEDaPvRmT3_T4_T5_mT6_P12ihipStream_tbENKUlT_T0_E_clISt17integral_constantIbLb0EESW_EEDaSR_SS_EUlSR_E_NS1_11comp_targetILNS1_3genE9ELNS1_11target_archE1100ELNS1_3gpuE3ELNS1_3repE0EEENS1_30default_config_static_selectorELNS0_4arch9wavefront6targetE1EEEvT1_
	.p2align	8
	.type	_ZN7rocprim17ROCPRIM_400000_NS6detail17trampoline_kernelINS0_14default_configENS1_20scan_config_selectorIjEEZZNS1_9scan_implILNS1_25lookback_scan_determinismE0ELb0ELb0ES3_N6thrust23THRUST_200600_302600_NS6detail15normal_iteratorINS9_10device_ptrIjEEEENSB_INSC_IfEEEEjNS9_4plusIvEEjEEDaPvRmT3_T4_T5_mT6_P12ihipStream_tbENKUlT_T0_E_clISt17integral_constantIbLb0EESW_EEDaSR_SS_EUlSR_E_NS1_11comp_targetILNS1_3genE9ELNS1_11target_archE1100ELNS1_3gpuE3ELNS1_3repE0EEENS1_30default_config_static_selectorELNS0_4arch9wavefront6targetE1EEEvT1_,@function
_ZN7rocprim17ROCPRIM_400000_NS6detail17trampoline_kernelINS0_14default_configENS1_20scan_config_selectorIjEEZZNS1_9scan_implILNS1_25lookback_scan_determinismE0ELb0ELb0ES3_N6thrust23THRUST_200600_302600_NS6detail15normal_iteratorINS9_10device_ptrIjEEEENSB_INSC_IfEEEEjNS9_4plusIvEEjEEDaPvRmT3_T4_T5_mT6_P12ihipStream_tbENKUlT_T0_E_clISt17integral_constantIbLb0EESW_EEDaSR_SS_EUlSR_E_NS1_11comp_targetILNS1_3genE9ELNS1_11target_archE1100ELNS1_3gpuE3ELNS1_3repE0EEENS1_30default_config_static_selectorELNS0_4arch9wavefront6targetE1EEEvT1_: ; @_ZN7rocprim17ROCPRIM_400000_NS6detail17trampoline_kernelINS0_14default_configENS1_20scan_config_selectorIjEEZZNS1_9scan_implILNS1_25lookback_scan_determinismE0ELb0ELb0ES3_N6thrust23THRUST_200600_302600_NS6detail15normal_iteratorINS9_10device_ptrIjEEEENSB_INSC_IfEEEEjNS9_4plusIvEEjEEDaPvRmT3_T4_T5_mT6_P12ihipStream_tbENKUlT_T0_E_clISt17integral_constantIbLb0EESW_EEDaSR_SS_EUlSR_E_NS1_11comp_targetILNS1_3genE9ELNS1_11target_archE1100ELNS1_3gpuE3ELNS1_3repE0EEENS1_30default_config_static_selectorELNS0_4arch9wavefront6targetE1EEEvT1_
; %bb.0:
	.section	.rodata,"a",@progbits
	.p2align	6, 0x0
	.amdhsa_kernel _ZN7rocprim17ROCPRIM_400000_NS6detail17trampoline_kernelINS0_14default_configENS1_20scan_config_selectorIjEEZZNS1_9scan_implILNS1_25lookback_scan_determinismE0ELb0ELb0ES3_N6thrust23THRUST_200600_302600_NS6detail15normal_iteratorINS9_10device_ptrIjEEEENSB_INSC_IfEEEEjNS9_4plusIvEEjEEDaPvRmT3_T4_T5_mT6_P12ihipStream_tbENKUlT_T0_E_clISt17integral_constantIbLb0EESW_EEDaSR_SS_EUlSR_E_NS1_11comp_targetILNS1_3genE9ELNS1_11target_archE1100ELNS1_3gpuE3ELNS1_3repE0EEENS1_30default_config_static_selectorELNS0_4arch9wavefront6targetE1EEEvT1_
		.amdhsa_group_segment_fixed_size 0
		.amdhsa_private_segment_fixed_size 0
		.amdhsa_kernarg_size 96
		.amdhsa_user_sgpr_count 6
		.amdhsa_user_sgpr_private_segment_buffer 1
		.amdhsa_user_sgpr_dispatch_ptr 0
		.amdhsa_user_sgpr_queue_ptr 0
		.amdhsa_user_sgpr_kernarg_segment_ptr 1
		.amdhsa_user_sgpr_dispatch_id 0
		.amdhsa_user_sgpr_flat_scratch_init 0
		.amdhsa_user_sgpr_kernarg_preload_length 0
		.amdhsa_user_sgpr_kernarg_preload_offset 0
		.amdhsa_user_sgpr_private_segment_size 0
		.amdhsa_uses_dynamic_stack 0
		.amdhsa_system_sgpr_private_segment_wavefront_offset 0
		.amdhsa_system_sgpr_workgroup_id_x 1
		.amdhsa_system_sgpr_workgroup_id_y 0
		.amdhsa_system_sgpr_workgroup_id_z 0
		.amdhsa_system_sgpr_workgroup_info 0
		.amdhsa_system_vgpr_workitem_id 0
		.amdhsa_next_free_vgpr 1
		.amdhsa_next_free_sgpr 0
		.amdhsa_accum_offset 4
		.amdhsa_reserve_vcc 0
		.amdhsa_reserve_flat_scratch 0
		.amdhsa_float_round_mode_32 0
		.amdhsa_float_round_mode_16_64 0
		.amdhsa_float_denorm_mode_32 3
		.amdhsa_float_denorm_mode_16_64 3
		.amdhsa_dx10_clamp 1
		.amdhsa_ieee_mode 1
		.amdhsa_fp16_overflow 0
		.amdhsa_tg_split 0
		.amdhsa_exception_fp_ieee_invalid_op 0
		.amdhsa_exception_fp_denorm_src 0
		.amdhsa_exception_fp_ieee_div_zero 0
		.amdhsa_exception_fp_ieee_overflow 0
		.amdhsa_exception_fp_ieee_underflow 0
		.amdhsa_exception_fp_ieee_inexact 0
		.amdhsa_exception_int_div_zero 0
	.end_amdhsa_kernel
	.section	.text._ZN7rocprim17ROCPRIM_400000_NS6detail17trampoline_kernelINS0_14default_configENS1_20scan_config_selectorIjEEZZNS1_9scan_implILNS1_25lookback_scan_determinismE0ELb0ELb0ES3_N6thrust23THRUST_200600_302600_NS6detail15normal_iteratorINS9_10device_ptrIjEEEENSB_INSC_IfEEEEjNS9_4plusIvEEjEEDaPvRmT3_T4_T5_mT6_P12ihipStream_tbENKUlT_T0_E_clISt17integral_constantIbLb0EESW_EEDaSR_SS_EUlSR_E_NS1_11comp_targetILNS1_3genE9ELNS1_11target_archE1100ELNS1_3gpuE3ELNS1_3repE0EEENS1_30default_config_static_selectorELNS0_4arch9wavefront6targetE1EEEvT1_,"axG",@progbits,_ZN7rocprim17ROCPRIM_400000_NS6detail17trampoline_kernelINS0_14default_configENS1_20scan_config_selectorIjEEZZNS1_9scan_implILNS1_25lookback_scan_determinismE0ELb0ELb0ES3_N6thrust23THRUST_200600_302600_NS6detail15normal_iteratorINS9_10device_ptrIjEEEENSB_INSC_IfEEEEjNS9_4plusIvEEjEEDaPvRmT3_T4_T5_mT6_P12ihipStream_tbENKUlT_T0_E_clISt17integral_constantIbLb0EESW_EEDaSR_SS_EUlSR_E_NS1_11comp_targetILNS1_3genE9ELNS1_11target_archE1100ELNS1_3gpuE3ELNS1_3repE0EEENS1_30default_config_static_selectorELNS0_4arch9wavefront6targetE1EEEvT1_,comdat
.Lfunc_end6022:
	.size	_ZN7rocprim17ROCPRIM_400000_NS6detail17trampoline_kernelINS0_14default_configENS1_20scan_config_selectorIjEEZZNS1_9scan_implILNS1_25lookback_scan_determinismE0ELb0ELb0ES3_N6thrust23THRUST_200600_302600_NS6detail15normal_iteratorINS9_10device_ptrIjEEEENSB_INSC_IfEEEEjNS9_4plusIvEEjEEDaPvRmT3_T4_T5_mT6_P12ihipStream_tbENKUlT_T0_E_clISt17integral_constantIbLb0EESW_EEDaSR_SS_EUlSR_E_NS1_11comp_targetILNS1_3genE9ELNS1_11target_archE1100ELNS1_3gpuE3ELNS1_3repE0EEENS1_30default_config_static_selectorELNS0_4arch9wavefront6targetE1EEEvT1_, .Lfunc_end6022-_ZN7rocprim17ROCPRIM_400000_NS6detail17trampoline_kernelINS0_14default_configENS1_20scan_config_selectorIjEEZZNS1_9scan_implILNS1_25lookback_scan_determinismE0ELb0ELb0ES3_N6thrust23THRUST_200600_302600_NS6detail15normal_iteratorINS9_10device_ptrIjEEEENSB_INSC_IfEEEEjNS9_4plusIvEEjEEDaPvRmT3_T4_T5_mT6_P12ihipStream_tbENKUlT_T0_E_clISt17integral_constantIbLb0EESW_EEDaSR_SS_EUlSR_E_NS1_11comp_targetILNS1_3genE9ELNS1_11target_archE1100ELNS1_3gpuE3ELNS1_3repE0EEENS1_30default_config_static_selectorELNS0_4arch9wavefront6targetE1EEEvT1_
                                        ; -- End function
	.section	.AMDGPU.csdata,"",@progbits
; Kernel info:
; codeLenInByte = 0
; NumSgprs: 4
; NumVgprs: 0
; NumAgprs: 0
; TotalNumVgprs: 0
; ScratchSize: 0
; MemoryBound: 0
; FloatMode: 240
; IeeeMode: 1
; LDSByteSize: 0 bytes/workgroup (compile time only)
; SGPRBlocks: 0
; VGPRBlocks: 0
; NumSGPRsForWavesPerEU: 4
; NumVGPRsForWavesPerEU: 1
; AccumOffset: 4
; Occupancy: 8
; WaveLimiterHint : 0
; COMPUTE_PGM_RSRC2:SCRATCH_EN: 0
; COMPUTE_PGM_RSRC2:USER_SGPR: 6
; COMPUTE_PGM_RSRC2:TRAP_HANDLER: 0
; COMPUTE_PGM_RSRC2:TGID_X_EN: 1
; COMPUTE_PGM_RSRC2:TGID_Y_EN: 0
; COMPUTE_PGM_RSRC2:TGID_Z_EN: 0
; COMPUTE_PGM_RSRC2:TIDIG_COMP_CNT: 0
; COMPUTE_PGM_RSRC3_GFX90A:ACCUM_OFFSET: 0
; COMPUTE_PGM_RSRC3_GFX90A:TG_SPLIT: 0
	.section	.text._ZN7rocprim17ROCPRIM_400000_NS6detail17trampoline_kernelINS0_14default_configENS1_20scan_config_selectorIjEEZZNS1_9scan_implILNS1_25lookback_scan_determinismE0ELb0ELb0ES3_N6thrust23THRUST_200600_302600_NS6detail15normal_iteratorINS9_10device_ptrIjEEEENSB_INSC_IfEEEEjNS9_4plusIvEEjEEDaPvRmT3_T4_T5_mT6_P12ihipStream_tbENKUlT_T0_E_clISt17integral_constantIbLb0EESW_EEDaSR_SS_EUlSR_E_NS1_11comp_targetILNS1_3genE8ELNS1_11target_archE1030ELNS1_3gpuE2ELNS1_3repE0EEENS1_30default_config_static_selectorELNS0_4arch9wavefront6targetE1EEEvT1_,"axG",@progbits,_ZN7rocprim17ROCPRIM_400000_NS6detail17trampoline_kernelINS0_14default_configENS1_20scan_config_selectorIjEEZZNS1_9scan_implILNS1_25lookback_scan_determinismE0ELb0ELb0ES3_N6thrust23THRUST_200600_302600_NS6detail15normal_iteratorINS9_10device_ptrIjEEEENSB_INSC_IfEEEEjNS9_4plusIvEEjEEDaPvRmT3_T4_T5_mT6_P12ihipStream_tbENKUlT_T0_E_clISt17integral_constantIbLb0EESW_EEDaSR_SS_EUlSR_E_NS1_11comp_targetILNS1_3genE8ELNS1_11target_archE1030ELNS1_3gpuE2ELNS1_3repE0EEENS1_30default_config_static_selectorELNS0_4arch9wavefront6targetE1EEEvT1_,comdat
	.protected	_ZN7rocprim17ROCPRIM_400000_NS6detail17trampoline_kernelINS0_14default_configENS1_20scan_config_selectorIjEEZZNS1_9scan_implILNS1_25lookback_scan_determinismE0ELb0ELb0ES3_N6thrust23THRUST_200600_302600_NS6detail15normal_iteratorINS9_10device_ptrIjEEEENSB_INSC_IfEEEEjNS9_4plusIvEEjEEDaPvRmT3_T4_T5_mT6_P12ihipStream_tbENKUlT_T0_E_clISt17integral_constantIbLb0EESW_EEDaSR_SS_EUlSR_E_NS1_11comp_targetILNS1_3genE8ELNS1_11target_archE1030ELNS1_3gpuE2ELNS1_3repE0EEENS1_30default_config_static_selectorELNS0_4arch9wavefront6targetE1EEEvT1_ ; -- Begin function _ZN7rocprim17ROCPRIM_400000_NS6detail17trampoline_kernelINS0_14default_configENS1_20scan_config_selectorIjEEZZNS1_9scan_implILNS1_25lookback_scan_determinismE0ELb0ELb0ES3_N6thrust23THRUST_200600_302600_NS6detail15normal_iteratorINS9_10device_ptrIjEEEENSB_INSC_IfEEEEjNS9_4plusIvEEjEEDaPvRmT3_T4_T5_mT6_P12ihipStream_tbENKUlT_T0_E_clISt17integral_constantIbLb0EESW_EEDaSR_SS_EUlSR_E_NS1_11comp_targetILNS1_3genE8ELNS1_11target_archE1030ELNS1_3gpuE2ELNS1_3repE0EEENS1_30default_config_static_selectorELNS0_4arch9wavefront6targetE1EEEvT1_
	.globl	_ZN7rocprim17ROCPRIM_400000_NS6detail17trampoline_kernelINS0_14default_configENS1_20scan_config_selectorIjEEZZNS1_9scan_implILNS1_25lookback_scan_determinismE0ELb0ELb0ES3_N6thrust23THRUST_200600_302600_NS6detail15normal_iteratorINS9_10device_ptrIjEEEENSB_INSC_IfEEEEjNS9_4plusIvEEjEEDaPvRmT3_T4_T5_mT6_P12ihipStream_tbENKUlT_T0_E_clISt17integral_constantIbLb0EESW_EEDaSR_SS_EUlSR_E_NS1_11comp_targetILNS1_3genE8ELNS1_11target_archE1030ELNS1_3gpuE2ELNS1_3repE0EEENS1_30default_config_static_selectorELNS0_4arch9wavefront6targetE1EEEvT1_
	.p2align	8
	.type	_ZN7rocprim17ROCPRIM_400000_NS6detail17trampoline_kernelINS0_14default_configENS1_20scan_config_selectorIjEEZZNS1_9scan_implILNS1_25lookback_scan_determinismE0ELb0ELb0ES3_N6thrust23THRUST_200600_302600_NS6detail15normal_iteratorINS9_10device_ptrIjEEEENSB_INSC_IfEEEEjNS9_4plusIvEEjEEDaPvRmT3_T4_T5_mT6_P12ihipStream_tbENKUlT_T0_E_clISt17integral_constantIbLb0EESW_EEDaSR_SS_EUlSR_E_NS1_11comp_targetILNS1_3genE8ELNS1_11target_archE1030ELNS1_3gpuE2ELNS1_3repE0EEENS1_30default_config_static_selectorELNS0_4arch9wavefront6targetE1EEEvT1_,@function
_ZN7rocprim17ROCPRIM_400000_NS6detail17trampoline_kernelINS0_14default_configENS1_20scan_config_selectorIjEEZZNS1_9scan_implILNS1_25lookback_scan_determinismE0ELb0ELb0ES3_N6thrust23THRUST_200600_302600_NS6detail15normal_iteratorINS9_10device_ptrIjEEEENSB_INSC_IfEEEEjNS9_4plusIvEEjEEDaPvRmT3_T4_T5_mT6_P12ihipStream_tbENKUlT_T0_E_clISt17integral_constantIbLb0EESW_EEDaSR_SS_EUlSR_E_NS1_11comp_targetILNS1_3genE8ELNS1_11target_archE1030ELNS1_3gpuE2ELNS1_3repE0EEENS1_30default_config_static_selectorELNS0_4arch9wavefront6targetE1EEEvT1_: ; @_ZN7rocprim17ROCPRIM_400000_NS6detail17trampoline_kernelINS0_14default_configENS1_20scan_config_selectorIjEEZZNS1_9scan_implILNS1_25lookback_scan_determinismE0ELb0ELb0ES3_N6thrust23THRUST_200600_302600_NS6detail15normal_iteratorINS9_10device_ptrIjEEEENSB_INSC_IfEEEEjNS9_4plusIvEEjEEDaPvRmT3_T4_T5_mT6_P12ihipStream_tbENKUlT_T0_E_clISt17integral_constantIbLb0EESW_EEDaSR_SS_EUlSR_E_NS1_11comp_targetILNS1_3genE8ELNS1_11target_archE1030ELNS1_3gpuE2ELNS1_3repE0EEENS1_30default_config_static_selectorELNS0_4arch9wavefront6targetE1EEEvT1_
; %bb.0:
	.section	.rodata,"a",@progbits
	.p2align	6, 0x0
	.amdhsa_kernel _ZN7rocprim17ROCPRIM_400000_NS6detail17trampoline_kernelINS0_14default_configENS1_20scan_config_selectorIjEEZZNS1_9scan_implILNS1_25lookback_scan_determinismE0ELb0ELb0ES3_N6thrust23THRUST_200600_302600_NS6detail15normal_iteratorINS9_10device_ptrIjEEEENSB_INSC_IfEEEEjNS9_4plusIvEEjEEDaPvRmT3_T4_T5_mT6_P12ihipStream_tbENKUlT_T0_E_clISt17integral_constantIbLb0EESW_EEDaSR_SS_EUlSR_E_NS1_11comp_targetILNS1_3genE8ELNS1_11target_archE1030ELNS1_3gpuE2ELNS1_3repE0EEENS1_30default_config_static_selectorELNS0_4arch9wavefront6targetE1EEEvT1_
		.amdhsa_group_segment_fixed_size 0
		.amdhsa_private_segment_fixed_size 0
		.amdhsa_kernarg_size 96
		.amdhsa_user_sgpr_count 6
		.amdhsa_user_sgpr_private_segment_buffer 1
		.amdhsa_user_sgpr_dispatch_ptr 0
		.amdhsa_user_sgpr_queue_ptr 0
		.amdhsa_user_sgpr_kernarg_segment_ptr 1
		.amdhsa_user_sgpr_dispatch_id 0
		.amdhsa_user_sgpr_flat_scratch_init 0
		.amdhsa_user_sgpr_kernarg_preload_length 0
		.amdhsa_user_sgpr_kernarg_preload_offset 0
		.amdhsa_user_sgpr_private_segment_size 0
		.amdhsa_uses_dynamic_stack 0
		.amdhsa_system_sgpr_private_segment_wavefront_offset 0
		.amdhsa_system_sgpr_workgroup_id_x 1
		.amdhsa_system_sgpr_workgroup_id_y 0
		.amdhsa_system_sgpr_workgroup_id_z 0
		.amdhsa_system_sgpr_workgroup_info 0
		.amdhsa_system_vgpr_workitem_id 0
		.amdhsa_next_free_vgpr 1
		.amdhsa_next_free_sgpr 0
		.amdhsa_accum_offset 4
		.amdhsa_reserve_vcc 0
		.amdhsa_reserve_flat_scratch 0
		.amdhsa_float_round_mode_32 0
		.amdhsa_float_round_mode_16_64 0
		.amdhsa_float_denorm_mode_32 3
		.amdhsa_float_denorm_mode_16_64 3
		.amdhsa_dx10_clamp 1
		.amdhsa_ieee_mode 1
		.amdhsa_fp16_overflow 0
		.amdhsa_tg_split 0
		.amdhsa_exception_fp_ieee_invalid_op 0
		.amdhsa_exception_fp_denorm_src 0
		.amdhsa_exception_fp_ieee_div_zero 0
		.amdhsa_exception_fp_ieee_overflow 0
		.amdhsa_exception_fp_ieee_underflow 0
		.amdhsa_exception_fp_ieee_inexact 0
		.amdhsa_exception_int_div_zero 0
	.end_amdhsa_kernel
	.section	.text._ZN7rocprim17ROCPRIM_400000_NS6detail17trampoline_kernelINS0_14default_configENS1_20scan_config_selectorIjEEZZNS1_9scan_implILNS1_25lookback_scan_determinismE0ELb0ELb0ES3_N6thrust23THRUST_200600_302600_NS6detail15normal_iteratorINS9_10device_ptrIjEEEENSB_INSC_IfEEEEjNS9_4plusIvEEjEEDaPvRmT3_T4_T5_mT6_P12ihipStream_tbENKUlT_T0_E_clISt17integral_constantIbLb0EESW_EEDaSR_SS_EUlSR_E_NS1_11comp_targetILNS1_3genE8ELNS1_11target_archE1030ELNS1_3gpuE2ELNS1_3repE0EEENS1_30default_config_static_selectorELNS0_4arch9wavefront6targetE1EEEvT1_,"axG",@progbits,_ZN7rocprim17ROCPRIM_400000_NS6detail17trampoline_kernelINS0_14default_configENS1_20scan_config_selectorIjEEZZNS1_9scan_implILNS1_25lookback_scan_determinismE0ELb0ELb0ES3_N6thrust23THRUST_200600_302600_NS6detail15normal_iteratorINS9_10device_ptrIjEEEENSB_INSC_IfEEEEjNS9_4plusIvEEjEEDaPvRmT3_T4_T5_mT6_P12ihipStream_tbENKUlT_T0_E_clISt17integral_constantIbLb0EESW_EEDaSR_SS_EUlSR_E_NS1_11comp_targetILNS1_3genE8ELNS1_11target_archE1030ELNS1_3gpuE2ELNS1_3repE0EEENS1_30default_config_static_selectorELNS0_4arch9wavefront6targetE1EEEvT1_,comdat
.Lfunc_end6023:
	.size	_ZN7rocprim17ROCPRIM_400000_NS6detail17trampoline_kernelINS0_14default_configENS1_20scan_config_selectorIjEEZZNS1_9scan_implILNS1_25lookback_scan_determinismE0ELb0ELb0ES3_N6thrust23THRUST_200600_302600_NS6detail15normal_iteratorINS9_10device_ptrIjEEEENSB_INSC_IfEEEEjNS9_4plusIvEEjEEDaPvRmT3_T4_T5_mT6_P12ihipStream_tbENKUlT_T0_E_clISt17integral_constantIbLb0EESW_EEDaSR_SS_EUlSR_E_NS1_11comp_targetILNS1_3genE8ELNS1_11target_archE1030ELNS1_3gpuE2ELNS1_3repE0EEENS1_30default_config_static_selectorELNS0_4arch9wavefront6targetE1EEEvT1_, .Lfunc_end6023-_ZN7rocprim17ROCPRIM_400000_NS6detail17trampoline_kernelINS0_14default_configENS1_20scan_config_selectorIjEEZZNS1_9scan_implILNS1_25lookback_scan_determinismE0ELb0ELb0ES3_N6thrust23THRUST_200600_302600_NS6detail15normal_iteratorINS9_10device_ptrIjEEEENSB_INSC_IfEEEEjNS9_4plusIvEEjEEDaPvRmT3_T4_T5_mT6_P12ihipStream_tbENKUlT_T0_E_clISt17integral_constantIbLb0EESW_EEDaSR_SS_EUlSR_E_NS1_11comp_targetILNS1_3genE8ELNS1_11target_archE1030ELNS1_3gpuE2ELNS1_3repE0EEENS1_30default_config_static_selectorELNS0_4arch9wavefront6targetE1EEEvT1_
                                        ; -- End function
	.section	.AMDGPU.csdata,"",@progbits
; Kernel info:
; codeLenInByte = 0
; NumSgprs: 4
; NumVgprs: 0
; NumAgprs: 0
; TotalNumVgprs: 0
; ScratchSize: 0
; MemoryBound: 0
; FloatMode: 240
; IeeeMode: 1
; LDSByteSize: 0 bytes/workgroup (compile time only)
; SGPRBlocks: 0
; VGPRBlocks: 0
; NumSGPRsForWavesPerEU: 4
; NumVGPRsForWavesPerEU: 1
; AccumOffset: 4
; Occupancy: 8
; WaveLimiterHint : 0
; COMPUTE_PGM_RSRC2:SCRATCH_EN: 0
; COMPUTE_PGM_RSRC2:USER_SGPR: 6
; COMPUTE_PGM_RSRC2:TRAP_HANDLER: 0
; COMPUTE_PGM_RSRC2:TGID_X_EN: 1
; COMPUTE_PGM_RSRC2:TGID_Y_EN: 0
; COMPUTE_PGM_RSRC2:TGID_Z_EN: 0
; COMPUTE_PGM_RSRC2:TIDIG_COMP_CNT: 0
; COMPUTE_PGM_RSRC3_GFX90A:ACCUM_OFFSET: 0
; COMPUTE_PGM_RSRC3_GFX90A:TG_SPLIT: 0
	.section	.text._ZN7rocprim17ROCPRIM_400000_NS6detail17trampoline_kernelINS0_14default_configENS1_20scan_config_selectorIjEEZZNS1_9scan_implILNS1_25lookback_scan_determinismE0ELb0ELb0ES3_N6thrust23THRUST_200600_302600_NS6detail15normal_iteratorINS9_10device_ptrIjEEEENSB_INSC_IfEEEEjNS9_4plusIvEEjEEDaPvRmT3_T4_T5_mT6_P12ihipStream_tbENKUlT_T0_E_clISt17integral_constantIbLb0EESW_EEDaSR_SS_EUlSR_E0_NS1_11comp_targetILNS1_3genE0ELNS1_11target_archE4294967295ELNS1_3gpuE0ELNS1_3repE0EEENS1_30default_config_static_selectorELNS0_4arch9wavefront6targetE1EEEvT1_,"axG",@progbits,_ZN7rocprim17ROCPRIM_400000_NS6detail17trampoline_kernelINS0_14default_configENS1_20scan_config_selectorIjEEZZNS1_9scan_implILNS1_25lookback_scan_determinismE0ELb0ELb0ES3_N6thrust23THRUST_200600_302600_NS6detail15normal_iteratorINS9_10device_ptrIjEEEENSB_INSC_IfEEEEjNS9_4plusIvEEjEEDaPvRmT3_T4_T5_mT6_P12ihipStream_tbENKUlT_T0_E_clISt17integral_constantIbLb0EESW_EEDaSR_SS_EUlSR_E0_NS1_11comp_targetILNS1_3genE0ELNS1_11target_archE4294967295ELNS1_3gpuE0ELNS1_3repE0EEENS1_30default_config_static_selectorELNS0_4arch9wavefront6targetE1EEEvT1_,comdat
	.protected	_ZN7rocprim17ROCPRIM_400000_NS6detail17trampoline_kernelINS0_14default_configENS1_20scan_config_selectorIjEEZZNS1_9scan_implILNS1_25lookback_scan_determinismE0ELb0ELb0ES3_N6thrust23THRUST_200600_302600_NS6detail15normal_iteratorINS9_10device_ptrIjEEEENSB_INSC_IfEEEEjNS9_4plusIvEEjEEDaPvRmT3_T4_T5_mT6_P12ihipStream_tbENKUlT_T0_E_clISt17integral_constantIbLb0EESW_EEDaSR_SS_EUlSR_E0_NS1_11comp_targetILNS1_3genE0ELNS1_11target_archE4294967295ELNS1_3gpuE0ELNS1_3repE0EEENS1_30default_config_static_selectorELNS0_4arch9wavefront6targetE1EEEvT1_ ; -- Begin function _ZN7rocprim17ROCPRIM_400000_NS6detail17trampoline_kernelINS0_14default_configENS1_20scan_config_selectorIjEEZZNS1_9scan_implILNS1_25lookback_scan_determinismE0ELb0ELb0ES3_N6thrust23THRUST_200600_302600_NS6detail15normal_iteratorINS9_10device_ptrIjEEEENSB_INSC_IfEEEEjNS9_4plusIvEEjEEDaPvRmT3_T4_T5_mT6_P12ihipStream_tbENKUlT_T0_E_clISt17integral_constantIbLb0EESW_EEDaSR_SS_EUlSR_E0_NS1_11comp_targetILNS1_3genE0ELNS1_11target_archE4294967295ELNS1_3gpuE0ELNS1_3repE0EEENS1_30default_config_static_selectorELNS0_4arch9wavefront6targetE1EEEvT1_
	.globl	_ZN7rocprim17ROCPRIM_400000_NS6detail17trampoline_kernelINS0_14default_configENS1_20scan_config_selectorIjEEZZNS1_9scan_implILNS1_25lookback_scan_determinismE0ELb0ELb0ES3_N6thrust23THRUST_200600_302600_NS6detail15normal_iteratorINS9_10device_ptrIjEEEENSB_INSC_IfEEEEjNS9_4plusIvEEjEEDaPvRmT3_T4_T5_mT6_P12ihipStream_tbENKUlT_T0_E_clISt17integral_constantIbLb0EESW_EEDaSR_SS_EUlSR_E0_NS1_11comp_targetILNS1_3genE0ELNS1_11target_archE4294967295ELNS1_3gpuE0ELNS1_3repE0EEENS1_30default_config_static_selectorELNS0_4arch9wavefront6targetE1EEEvT1_
	.p2align	8
	.type	_ZN7rocprim17ROCPRIM_400000_NS6detail17trampoline_kernelINS0_14default_configENS1_20scan_config_selectorIjEEZZNS1_9scan_implILNS1_25lookback_scan_determinismE0ELb0ELb0ES3_N6thrust23THRUST_200600_302600_NS6detail15normal_iteratorINS9_10device_ptrIjEEEENSB_INSC_IfEEEEjNS9_4plusIvEEjEEDaPvRmT3_T4_T5_mT6_P12ihipStream_tbENKUlT_T0_E_clISt17integral_constantIbLb0EESW_EEDaSR_SS_EUlSR_E0_NS1_11comp_targetILNS1_3genE0ELNS1_11target_archE4294967295ELNS1_3gpuE0ELNS1_3repE0EEENS1_30default_config_static_selectorELNS0_4arch9wavefront6targetE1EEEvT1_,@function
_ZN7rocprim17ROCPRIM_400000_NS6detail17trampoline_kernelINS0_14default_configENS1_20scan_config_selectorIjEEZZNS1_9scan_implILNS1_25lookback_scan_determinismE0ELb0ELb0ES3_N6thrust23THRUST_200600_302600_NS6detail15normal_iteratorINS9_10device_ptrIjEEEENSB_INSC_IfEEEEjNS9_4plusIvEEjEEDaPvRmT3_T4_T5_mT6_P12ihipStream_tbENKUlT_T0_E_clISt17integral_constantIbLb0EESW_EEDaSR_SS_EUlSR_E0_NS1_11comp_targetILNS1_3genE0ELNS1_11target_archE4294967295ELNS1_3gpuE0ELNS1_3repE0EEENS1_30default_config_static_selectorELNS0_4arch9wavefront6targetE1EEEvT1_: ; @_ZN7rocprim17ROCPRIM_400000_NS6detail17trampoline_kernelINS0_14default_configENS1_20scan_config_selectorIjEEZZNS1_9scan_implILNS1_25lookback_scan_determinismE0ELb0ELb0ES3_N6thrust23THRUST_200600_302600_NS6detail15normal_iteratorINS9_10device_ptrIjEEEENSB_INSC_IfEEEEjNS9_4plusIvEEjEEDaPvRmT3_T4_T5_mT6_P12ihipStream_tbENKUlT_T0_E_clISt17integral_constantIbLb0EESW_EEDaSR_SS_EUlSR_E0_NS1_11comp_targetILNS1_3genE0ELNS1_11target_archE4294967295ELNS1_3gpuE0ELNS1_3repE0EEENS1_30default_config_static_selectorELNS0_4arch9wavefront6targetE1EEEvT1_
; %bb.0:
	.section	.rodata,"a",@progbits
	.p2align	6, 0x0
	.amdhsa_kernel _ZN7rocprim17ROCPRIM_400000_NS6detail17trampoline_kernelINS0_14default_configENS1_20scan_config_selectorIjEEZZNS1_9scan_implILNS1_25lookback_scan_determinismE0ELb0ELb0ES3_N6thrust23THRUST_200600_302600_NS6detail15normal_iteratorINS9_10device_ptrIjEEEENSB_INSC_IfEEEEjNS9_4plusIvEEjEEDaPvRmT3_T4_T5_mT6_P12ihipStream_tbENKUlT_T0_E_clISt17integral_constantIbLb0EESW_EEDaSR_SS_EUlSR_E0_NS1_11comp_targetILNS1_3genE0ELNS1_11target_archE4294967295ELNS1_3gpuE0ELNS1_3repE0EEENS1_30default_config_static_selectorELNS0_4arch9wavefront6targetE1EEEvT1_
		.amdhsa_group_segment_fixed_size 0
		.amdhsa_private_segment_fixed_size 0
		.amdhsa_kernarg_size 32
		.amdhsa_user_sgpr_count 6
		.amdhsa_user_sgpr_private_segment_buffer 1
		.amdhsa_user_sgpr_dispatch_ptr 0
		.amdhsa_user_sgpr_queue_ptr 0
		.amdhsa_user_sgpr_kernarg_segment_ptr 1
		.amdhsa_user_sgpr_dispatch_id 0
		.amdhsa_user_sgpr_flat_scratch_init 0
		.amdhsa_user_sgpr_kernarg_preload_length 0
		.amdhsa_user_sgpr_kernarg_preload_offset 0
		.amdhsa_user_sgpr_private_segment_size 0
		.amdhsa_uses_dynamic_stack 0
		.amdhsa_system_sgpr_private_segment_wavefront_offset 0
		.amdhsa_system_sgpr_workgroup_id_x 1
		.amdhsa_system_sgpr_workgroup_id_y 0
		.amdhsa_system_sgpr_workgroup_id_z 0
		.amdhsa_system_sgpr_workgroup_info 0
		.amdhsa_system_vgpr_workitem_id 0
		.amdhsa_next_free_vgpr 1
		.amdhsa_next_free_sgpr 0
		.amdhsa_accum_offset 4
		.amdhsa_reserve_vcc 0
		.amdhsa_reserve_flat_scratch 0
		.amdhsa_float_round_mode_32 0
		.amdhsa_float_round_mode_16_64 0
		.amdhsa_float_denorm_mode_32 3
		.amdhsa_float_denorm_mode_16_64 3
		.amdhsa_dx10_clamp 1
		.amdhsa_ieee_mode 1
		.amdhsa_fp16_overflow 0
		.amdhsa_tg_split 0
		.amdhsa_exception_fp_ieee_invalid_op 0
		.amdhsa_exception_fp_denorm_src 0
		.amdhsa_exception_fp_ieee_div_zero 0
		.amdhsa_exception_fp_ieee_overflow 0
		.amdhsa_exception_fp_ieee_underflow 0
		.amdhsa_exception_fp_ieee_inexact 0
		.amdhsa_exception_int_div_zero 0
	.end_amdhsa_kernel
	.section	.text._ZN7rocprim17ROCPRIM_400000_NS6detail17trampoline_kernelINS0_14default_configENS1_20scan_config_selectorIjEEZZNS1_9scan_implILNS1_25lookback_scan_determinismE0ELb0ELb0ES3_N6thrust23THRUST_200600_302600_NS6detail15normal_iteratorINS9_10device_ptrIjEEEENSB_INSC_IfEEEEjNS9_4plusIvEEjEEDaPvRmT3_T4_T5_mT6_P12ihipStream_tbENKUlT_T0_E_clISt17integral_constantIbLb0EESW_EEDaSR_SS_EUlSR_E0_NS1_11comp_targetILNS1_3genE0ELNS1_11target_archE4294967295ELNS1_3gpuE0ELNS1_3repE0EEENS1_30default_config_static_selectorELNS0_4arch9wavefront6targetE1EEEvT1_,"axG",@progbits,_ZN7rocprim17ROCPRIM_400000_NS6detail17trampoline_kernelINS0_14default_configENS1_20scan_config_selectorIjEEZZNS1_9scan_implILNS1_25lookback_scan_determinismE0ELb0ELb0ES3_N6thrust23THRUST_200600_302600_NS6detail15normal_iteratorINS9_10device_ptrIjEEEENSB_INSC_IfEEEEjNS9_4plusIvEEjEEDaPvRmT3_T4_T5_mT6_P12ihipStream_tbENKUlT_T0_E_clISt17integral_constantIbLb0EESW_EEDaSR_SS_EUlSR_E0_NS1_11comp_targetILNS1_3genE0ELNS1_11target_archE4294967295ELNS1_3gpuE0ELNS1_3repE0EEENS1_30default_config_static_selectorELNS0_4arch9wavefront6targetE1EEEvT1_,comdat
.Lfunc_end6024:
	.size	_ZN7rocprim17ROCPRIM_400000_NS6detail17trampoline_kernelINS0_14default_configENS1_20scan_config_selectorIjEEZZNS1_9scan_implILNS1_25lookback_scan_determinismE0ELb0ELb0ES3_N6thrust23THRUST_200600_302600_NS6detail15normal_iteratorINS9_10device_ptrIjEEEENSB_INSC_IfEEEEjNS9_4plusIvEEjEEDaPvRmT3_T4_T5_mT6_P12ihipStream_tbENKUlT_T0_E_clISt17integral_constantIbLb0EESW_EEDaSR_SS_EUlSR_E0_NS1_11comp_targetILNS1_3genE0ELNS1_11target_archE4294967295ELNS1_3gpuE0ELNS1_3repE0EEENS1_30default_config_static_selectorELNS0_4arch9wavefront6targetE1EEEvT1_, .Lfunc_end6024-_ZN7rocprim17ROCPRIM_400000_NS6detail17trampoline_kernelINS0_14default_configENS1_20scan_config_selectorIjEEZZNS1_9scan_implILNS1_25lookback_scan_determinismE0ELb0ELb0ES3_N6thrust23THRUST_200600_302600_NS6detail15normal_iteratorINS9_10device_ptrIjEEEENSB_INSC_IfEEEEjNS9_4plusIvEEjEEDaPvRmT3_T4_T5_mT6_P12ihipStream_tbENKUlT_T0_E_clISt17integral_constantIbLb0EESW_EEDaSR_SS_EUlSR_E0_NS1_11comp_targetILNS1_3genE0ELNS1_11target_archE4294967295ELNS1_3gpuE0ELNS1_3repE0EEENS1_30default_config_static_selectorELNS0_4arch9wavefront6targetE1EEEvT1_
                                        ; -- End function
	.section	.AMDGPU.csdata,"",@progbits
; Kernel info:
; codeLenInByte = 0
; NumSgprs: 4
; NumVgprs: 0
; NumAgprs: 0
; TotalNumVgprs: 0
; ScratchSize: 0
; MemoryBound: 0
; FloatMode: 240
; IeeeMode: 1
; LDSByteSize: 0 bytes/workgroup (compile time only)
; SGPRBlocks: 0
; VGPRBlocks: 0
; NumSGPRsForWavesPerEU: 4
; NumVGPRsForWavesPerEU: 1
; AccumOffset: 4
; Occupancy: 8
; WaveLimiterHint : 0
; COMPUTE_PGM_RSRC2:SCRATCH_EN: 0
; COMPUTE_PGM_RSRC2:USER_SGPR: 6
; COMPUTE_PGM_RSRC2:TRAP_HANDLER: 0
; COMPUTE_PGM_RSRC2:TGID_X_EN: 1
; COMPUTE_PGM_RSRC2:TGID_Y_EN: 0
; COMPUTE_PGM_RSRC2:TGID_Z_EN: 0
; COMPUTE_PGM_RSRC2:TIDIG_COMP_CNT: 0
; COMPUTE_PGM_RSRC3_GFX90A:ACCUM_OFFSET: 0
; COMPUTE_PGM_RSRC3_GFX90A:TG_SPLIT: 0
	.section	.text._ZN7rocprim17ROCPRIM_400000_NS6detail17trampoline_kernelINS0_14default_configENS1_20scan_config_selectorIjEEZZNS1_9scan_implILNS1_25lookback_scan_determinismE0ELb0ELb0ES3_N6thrust23THRUST_200600_302600_NS6detail15normal_iteratorINS9_10device_ptrIjEEEENSB_INSC_IfEEEEjNS9_4plusIvEEjEEDaPvRmT3_T4_T5_mT6_P12ihipStream_tbENKUlT_T0_E_clISt17integral_constantIbLb0EESW_EEDaSR_SS_EUlSR_E0_NS1_11comp_targetILNS1_3genE5ELNS1_11target_archE942ELNS1_3gpuE9ELNS1_3repE0EEENS1_30default_config_static_selectorELNS0_4arch9wavefront6targetE1EEEvT1_,"axG",@progbits,_ZN7rocprim17ROCPRIM_400000_NS6detail17trampoline_kernelINS0_14default_configENS1_20scan_config_selectorIjEEZZNS1_9scan_implILNS1_25lookback_scan_determinismE0ELb0ELb0ES3_N6thrust23THRUST_200600_302600_NS6detail15normal_iteratorINS9_10device_ptrIjEEEENSB_INSC_IfEEEEjNS9_4plusIvEEjEEDaPvRmT3_T4_T5_mT6_P12ihipStream_tbENKUlT_T0_E_clISt17integral_constantIbLb0EESW_EEDaSR_SS_EUlSR_E0_NS1_11comp_targetILNS1_3genE5ELNS1_11target_archE942ELNS1_3gpuE9ELNS1_3repE0EEENS1_30default_config_static_selectorELNS0_4arch9wavefront6targetE1EEEvT1_,comdat
	.protected	_ZN7rocprim17ROCPRIM_400000_NS6detail17trampoline_kernelINS0_14default_configENS1_20scan_config_selectorIjEEZZNS1_9scan_implILNS1_25lookback_scan_determinismE0ELb0ELb0ES3_N6thrust23THRUST_200600_302600_NS6detail15normal_iteratorINS9_10device_ptrIjEEEENSB_INSC_IfEEEEjNS9_4plusIvEEjEEDaPvRmT3_T4_T5_mT6_P12ihipStream_tbENKUlT_T0_E_clISt17integral_constantIbLb0EESW_EEDaSR_SS_EUlSR_E0_NS1_11comp_targetILNS1_3genE5ELNS1_11target_archE942ELNS1_3gpuE9ELNS1_3repE0EEENS1_30default_config_static_selectorELNS0_4arch9wavefront6targetE1EEEvT1_ ; -- Begin function _ZN7rocprim17ROCPRIM_400000_NS6detail17trampoline_kernelINS0_14default_configENS1_20scan_config_selectorIjEEZZNS1_9scan_implILNS1_25lookback_scan_determinismE0ELb0ELb0ES3_N6thrust23THRUST_200600_302600_NS6detail15normal_iteratorINS9_10device_ptrIjEEEENSB_INSC_IfEEEEjNS9_4plusIvEEjEEDaPvRmT3_T4_T5_mT6_P12ihipStream_tbENKUlT_T0_E_clISt17integral_constantIbLb0EESW_EEDaSR_SS_EUlSR_E0_NS1_11comp_targetILNS1_3genE5ELNS1_11target_archE942ELNS1_3gpuE9ELNS1_3repE0EEENS1_30default_config_static_selectorELNS0_4arch9wavefront6targetE1EEEvT1_
	.globl	_ZN7rocprim17ROCPRIM_400000_NS6detail17trampoline_kernelINS0_14default_configENS1_20scan_config_selectorIjEEZZNS1_9scan_implILNS1_25lookback_scan_determinismE0ELb0ELb0ES3_N6thrust23THRUST_200600_302600_NS6detail15normal_iteratorINS9_10device_ptrIjEEEENSB_INSC_IfEEEEjNS9_4plusIvEEjEEDaPvRmT3_T4_T5_mT6_P12ihipStream_tbENKUlT_T0_E_clISt17integral_constantIbLb0EESW_EEDaSR_SS_EUlSR_E0_NS1_11comp_targetILNS1_3genE5ELNS1_11target_archE942ELNS1_3gpuE9ELNS1_3repE0EEENS1_30default_config_static_selectorELNS0_4arch9wavefront6targetE1EEEvT1_
	.p2align	8
	.type	_ZN7rocprim17ROCPRIM_400000_NS6detail17trampoline_kernelINS0_14default_configENS1_20scan_config_selectorIjEEZZNS1_9scan_implILNS1_25lookback_scan_determinismE0ELb0ELb0ES3_N6thrust23THRUST_200600_302600_NS6detail15normal_iteratorINS9_10device_ptrIjEEEENSB_INSC_IfEEEEjNS9_4plusIvEEjEEDaPvRmT3_T4_T5_mT6_P12ihipStream_tbENKUlT_T0_E_clISt17integral_constantIbLb0EESW_EEDaSR_SS_EUlSR_E0_NS1_11comp_targetILNS1_3genE5ELNS1_11target_archE942ELNS1_3gpuE9ELNS1_3repE0EEENS1_30default_config_static_selectorELNS0_4arch9wavefront6targetE1EEEvT1_,@function
_ZN7rocprim17ROCPRIM_400000_NS6detail17trampoline_kernelINS0_14default_configENS1_20scan_config_selectorIjEEZZNS1_9scan_implILNS1_25lookback_scan_determinismE0ELb0ELb0ES3_N6thrust23THRUST_200600_302600_NS6detail15normal_iteratorINS9_10device_ptrIjEEEENSB_INSC_IfEEEEjNS9_4plusIvEEjEEDaPvRmT3_T4_T5_mT6_P12ihipStream_tbENKUlT_T0_E_clISt17integral_constantIbLb0EESW_EEDaSR_SS_EUlSR_E0_NS1_11comp_targetILNS1_3genE5ELNS1_11target_archE942ELNS1_3gpuE9ELNS1_3repE0EEENS1_30default_config_static_selectorELNS0_4arch9wavefront6targetE1EEEvT1_: ; @_ZN7rocprim17ROCPRIM_400000_NS6detail17trampoline_kernelINS0_14default_configENS1_20scan_config_selectorIjEEZZNS1_9scan_implILNS1_25lookback_scan_determinismE0ELb0ELb0ES3_N6thrust23THRUST_200600_302600_NS6detail15normal_iteratorINS9_10device_ptrIjEEEENSB_INSC_IfEEEEjNS9_4plusIvEEjEEDaPvRmT3_T4_T5_mT6_P12ihipStream_tbENKUlT_T0_E_clISt17integral_constantIbLb0EESW_EEDaSR_SS_EUlSR_E0_NS1_11comp_targetILNS1_3genE5ELNS1_11target_archE942ELNS1_3gpuE9ELNS1_3repE0EEENS1_30default_config_static_selectorELNS0_4arch9wavefront6targetE1EEEvT1_
; %bb.0:
	.section	.rodata,"a",@progbits
	.p2align	6, 0x0
	.amdhsa_kernel _ZN7rocprim17ROCPRIM_400000_NS6detail17trampoline_kernelINS0_14default_configENS1_20scan_config_selectorIjEEZZNS1_9scan_implILNS1_25lookback_scan_determinismE0ELb0ELb0ES3_N6thrust23THRUST_200600_302600_NS6detail15normal_iteratorINS9_10device_ptrIjEEEENSB_INSC_IfEEEEjNS9_4plusIvEEjEEDaPvRmT3_T4_T5_mT6_P12ihipStream_tbENKUlT_T0_E_clISt17integral_constantIbLb0EESW_EEDaSR_SS_EUlSR_E0_NS1_11comp_targetILNS1_3genE5ELNS1_11target_archE942ELNS1_3gpuE9ELNS1_3repE0EEENS1_30default_config_static_selectorELNS0_4arch9wavefront6targetE1EEEvT1_
		.amdhsa_group_segment_fixed_size 0
		.amdhsa_private_segment_fixed_size 0
		.amdhsa_kernarg_size 32
		.amdhsa_user_sgpr_count 6
		.amdhsa_user_sgpr_private_segment_buffer 1
		.amdhsa_user_sgpr_dispatch_ptr 0
		.amdhsa_user_sgpr_queue_ptr 0
		.amdhsa_user_sgpr_kernarg_segment_ptr 1
		.amdhsa_user_sgpr_dispatch_id 0
		.amdhsa_user_sgpr_flat_scratch_init 0
		.amdhsa_user_sgpr_kernarg_preload_length 0
		.amdhsa_user_sgpr_kernarg_preload_offset 0
		.amdhsa_user_sgpr_private_segment_size 0
		.amdhsa_uses_dynamic_stack 0
		.amdhsa_system_sgpr_private_segment_wavefront_offset 0
		.amdhsa_system_sgpr_workgroup_id_x 1
		.amdhsa_system_sgpr_workgroup_id_y 0
		.amdhsa_system_sgpr_workgroup_id_z 0
		.amdhsa_system_sgpr_workgroup_info 0
		.amdhsa_system_vgpr_workitem_id 0
		.amdhsa_next_free_vgpr 1
		.amdhsa_next_free_sgpr 0
		.amdhsa_accum_offset 4
		.amdhsa_reserve_vcc 0
		.amdhsa_reserve_flat_scratch 0
		.amdhsa_float_round_mode_32 0
		.amdhsa_float_round_mode_16_64 0
		.amdhsa_float_denorm_mode_32 3
		.amdhsa_float_denorm_mode_16_64 3
		.amdhsa_dx10_clamp 1
		.amdhsa_ieee_mode 1
		.amdhsa_fp16_overflow 0
		.amdhsa_tg_split 0
		.amdhsa_exception_fp_ieee_invalid_op 0
		.amdhsa_exception_fp_denorm_src 0
		.amdhsa_exception_fp_ieee_div_zero 0
		.amdhsa_exception_fp_ieee_overflow 0
		.amdhsa_exception_fp_ieee_underflow 0
		.amdhsa_exception_fp_ieee_inexact 0
		.amdhsa_exception_int_div_zero 0
	.end_amdhsa_kernel
	.section	.text._ZN7rocprim17ROCPRIM_400000_NS6detail17trampoline_kernelINS0_14default_configENS1_20scan_config_selectorIjEEZZNS1_9scan_implILNS1_25lookback_scan_determinismE0ELb0ELb0ES3_N6thrust23THRUST_200600_302600_NS6detail15normal_iteratorINS9_10device_ptrIjEEEENSB_INSC_IfEEEEjNS9_4plusIvEEjEEDaPvRmT3_T4_T5_mT6_P12ihipStream_tbENKUlT_T0_E_clISt17integral_constantIbLb0EESW_EEDaSR_SS_EUlSR_E0_NS1_11comp_targetILNS1_3genE5ELNS1_11target_archE942ELNS1_3gpuE9ELNS1_3repE0EEENS1_30default_config_static_selectorELNS0_4arch9wavefront6targetE1EEEvT1_,"axG",@progbits,_ZN7rocprim17ROCPRIM_400000_NS6detail17trampoline_kernelINS0_14default_configENS1_20scan_config_selectorIjEEZZNS1_9scan_implILNS1_25lookback_scan_determinismE0ELb0ELb0ES3_N6thrust23THRUST_200600_302600_NS6detail15normal_iteratorINS9_10device_ptrIjEEEENSB_INSC_IfEEEEjNS9_4plusIvEEjEEDaPvRmT3_T4_T5_mT6_P12ihipStream_tbENKUlT_T0_E_clISt17integral_constantIbLb0EESW_EEDaSR_SS_EUlSR_E0_NS1_11comp_targetILNS1_3genE5ELNS1_11target_archE942ELNS1_3gpuE9ELNS1_3repE0EEENS1_30default_config_static_selectorELNS0_4arch9wavefront6targetE1EEEvT1_,comdat
.Lfunc_end6025:
	.size	_ZN7rocprim17ROCPRIM_400000_NS6detail17trampoline_kernelINS0_14default_configENS1_20scan_config_selectorIjEEZZNS1_9scan_implILNS1_25lookback_scan_determinismE0ELb0ELb0ES3_N6thrust23THRUST_200600_302600_NS6detail15normal_iteratorINS9_10device_ptrIjEEEENSB_INSC_IfEEEEjNS9_4plusIvEEjEEDaPvRmT3_T4_T5_mT6_P12ihipStream_tbENKUlT_T0_E_clISt17integral_constantIbLb0EESW_EEDaSR_SS_EUlSR_E0_NS1_11comp_targetILNS1_3genE5ELNS1_11target_archE942ELNS1_3gpuE9ELNS1_3repE0EEENS1_30default_config_static_selectorELNS0_4arch9wavefront6targetE1EEEvT1_, .Lfunc_end6025-_ZN7rocprim17ROCPRIM_400000_NS6detail17trampoline_kernelINS0_14default_configENS1_20scan_config_selectorIjEEZZNS1_9scan_implILNS1_25lookback_scan_determinismE0ELb0ELb0ES3_N6thrust23THRUST_200600_302600_NS6detail15normal_iteratorINS9_10device_ptrIjEEEENSB_INSC_IfEEEEjNS9_4plusIvEEjEEDaPvRmT3_T4_T5_mT6_P12ihipStream_tbENKUlT_T0_E_clISt17integral_constantIbLb0EESW_EEDaSR_SS_EUlSR_E0_NS1_11comp_targetILNS1_3genE5ELNS1_11target_archE942ELNS1_3gpuE9ELNS1_3repE0EEENS1_30default_config_static_selectorELNS0_4arch9wavefront6targetE1EEEvT1_
                                        ; -- End function
	.section	.AMDGPU.csdata,"",@progbits
; Kernel info:
; codeLenInByte = 0
; NumSgprs: 4
; NumVgprs: 0
; NumAgprs: 0
; TotalNumVgprs: 0
; ScratchSize: 0
; MemoryBound: 0
; FloatMode: 240
; IeeeMode: 1
; LDSByteSize: 0 bytes/workgroup (compile time only)
; SGPRBlocks: 0
; VGPRBlocks: 0
; NumSGPRsForWavesPerEU: 4
; NumVGPRsForWavesPerEU: 1
; AccumOffset: 4
; Occupancy: 8
; WaveLimiterHint : 0
; COMPUTE_PGM_RSRC2:SCRATCH_EN: 0
; COMPUTE_PGM_RSRC2:USER_SGPR: 6
; COMPUTE_PGM_RSRC2:TRAP_HANDLER: 0
; COMPUTE_PGM_RSRC2:TGID_X_EN: 1
; COMPUTE_PGM_RSRC2:TGID_Y_EN: 0
; COMPUTE_PGM_RSRC2:TGID_Z_EN: 0
; COMPUTE_PGM_RSRC2:TIDIG_COMP_CNT: 0
; COMPUTE_PGM_RSRC3_GFX90A:ACCUM_OFFSET: 0
; COMPUTE_PGM_RSRC3_GFX90A:TG_SPLIT: 0
	.section	.text._ZN7rocprim17ROCPRIM_400000_NS6detail17trampoline_kernelINS0_14default_configENS1_20scan_config_selectorIjEEZZNS1_9scan_implILNS1_25lookback_scan_determinismE0ELb0ELb0ES3_N6thrust23THRUST_200600_302600_NS6detail15normal_iteratorINS9_10device_ptrIjEEEENSB_INSC_IfEEEEjNS9_4plusIvEEjEEDaPvRmT3_T4_T5_mT6_P12ihipStream_tbENKUlT_T0_E_clISt17integral_constantIbLb0EESW_EEDaSR_SS_EUlSR_E0_NS1_11comp_targetILNS1_3genE4ELNS1_11target_archE910ELNS1_3gpuE8ELNS1_3repE0EEENS1_30default_config_static_selectorELNS0_4arch9wavefront6targetE1EEEvT1_,"axG",@progbits,_ZN7rocprim17ROCPRIM_400000_NS6detail17trampoline_kernelINS0_14default_configENS1_20scan_config_selectorIjEEZZNS1_9scan_implILNS1_25lookback_scan_determinismE0ELb0ELb0ES3_N6thrust23THRUST_200600_302600_NS6detail15normal_iteratorINS9_10device_ptrIjEEEENSB_INSC_IfEEEEjNS9_4plusIvEEjEEDaPvRmT3_T4_T5_mT6_P12ihipStream_tbENKUlT_T0_E_clISt17integral_constantIbLb0EESW_EEDaSR_SS_EUlSR_E0_NS1_11comp_targetILNS1_3genE4ELNS1_11target_archE910ELNS1_3gpuE8ELNS1_3repE0EEENS1_30default_config_static_selectorELNS0_4arch9wavefront6targetE1EEEvT1_,comdat
	.protected	_ZN7rocprim17ROCPRIM_400000_NS6detail17trampoline_kernelINS0_14default_configENS1_20scan_config_selectorIjEEZZNS1_9scan_implILNS1_25lookback_scan_determinismE0ELb0ELb0ES3_N6thrust23THRUST_200600_302600_NS6detail15normal_iteratorINS9_10device_ptrIjEEEENSB_INSC_IfEEEEjNS9_4plusIvEEjEEDaPvRmT3_T4_T5_mT6_P12ihipStream_tbENKUlT_T0_E_clISt17integral_constantIbLb0EESW_EEDaSR_SS_EUlSR_E0_NS1_11comp_targetILNS1_3genE4ELNS1_11target_archE910ELNS1_3gpuE8ELNS1_3repE0EEENS1_30default_config_static_selectorELNS0_4arch9wavefront6targetE1EEEvT1_ ; -- Begin function _ZN7rocprim17ROCPRIM_400000_NS6detail17trampoline_kernelINS0_14default_configENS1_20scan_config_selectorIjEEZZNS1_9scan_implILNS1_25lookback_scan_determinismE0ELb0ELb0ES3_N6thrust23THRUST_200600_302600_NS6detail15normal_iteratorINS9_10device_ptrIjEEEENSB_INSC_IfEEEEjNS9_4plusIvEEjEEDaPvRmT3_T4_T5_mT6_P12ihipStream_tbENKUlT_T0_E_clISt17integral_constantIbLb0EESW_EEDaSR_SS_EUlSR_E0_NS1_11comp_targetILNS1_3genE4ELNS1_11target_archE910ELNS1_3gpuE8ELNS1_3repE0EEENS1_30default_config_static_selectorELNS0_4arch9wavefront6targetE1EEEvT1_
	.globl	_ZN7rocprim17ROCPRIM_400000_NS6detail17trampoline_kernelINS0_14default_configENS1_20scan_config_selectorIjEEZZNS1_9scan_implILNS1_25lookback_scan_determinismE0ELb0ELb0ES3_N6thrust23THRUST_200600_302600_NS6detail15normal_iteratorINS9_10device_ptrIjEEEENSB_INSC_IfEEEEjNS9_4plusIvEEjEEDaPvRmT3_T4_T5_mT6_P12ihipStream_tbENKUlT_T0_E_clISt17integral_constantIbLb0EESW_EEDaSR_SS_EUlSR_E0_NS1_11comp_targetILNS1_3genE4ELNS1_11target_archE910ELNS1_3gpuE8ELNS1_3repE0EEENS1_30default_config_static_selectorELNS0_4arch9wavefront6targetE1EEEvT1_
	.p2align	8
	.type	_ZN7rocprim17ROCPRIM_400000_NS6detail17trampoline_kernelINS0_14default_configENS1_20scan_config_selectorIjEEZZNS1_9scan_implILNS1_25lookback_scan_determinismE0ELb0ELb0ES3_N6thrust23THRUST_200600_302600_NS6detail15normal_iteratorINS9_10device_ptrIjEEEENSB_INSC_IfEEEEjNS9_4plusIvEEjEEDaPvRmT3_T4_T5_mT6_P12ihipStream_tbENKUlT_T0_E_clISt17integral_constantIbLb0EESW_EEDaSR_SS_EUlSR_E0_NS1_11comp_targetILNS1_3genE4ELNS1_11target_archE910ELNS1_3gpuE8ELNS1_3repE0EEENS1_30default_config_static_selectorELNS0_4arch9wavefront6targetE1EEEvT1_,@function
_ZN7rocprim17ROCPRIM_400000_NS6detail17trampoline_kernelINS0_14default_configENS1_20scan_config_selectorIjEEZZNS1_9scan_implILNS1_25lookback_scan_determinismE0ELb0ELb0ES3_N6thrust23THRUST_200600_302600_NS6detail15normal_iteratorINS9_10device_ptrIjEEEENSB_INSC_IfEEEEjNS9_4plusIvEEjEEDaPvRmT3_T4_T5_mT6_P12ihipStream_tbENKUlT_T0_E_clISt17integral_constantIbLb0EESW_EEDaSR_SS_EUlSR_E0_NS1_11comp_targetILNS1_3genE4ELNS1_11target_archE910ELNS1_3gpuE8ELNS1_3repE0EEENS1_30default_config_static_selectorELNS0_4arch9wavefront6targetE1EEEvT1_: ; @_ZN7rocprim17ROCPRIM_400000_NS6detail17trampoline_kernelINS0_14default_configENS1_20scan_config_selectorIjEEZZNS1_9scan_implILNS1_25lookback_scan_determinismE0ELb0ELb0ES3_N6thrust23THRUST_200600_302600_NS6detail15normal_iteratorINS9_10device_ptrIjEEEENSB_INSC_IfEEEEjNS9_4plusIvEEjEEDaPvRmT3_T4_T5_mT6_P12ihipStream_tbENKUlT_T0_E_clISt17integral_constantIbLb0EESW_EEDaSR_SS_EUlSR_E0_NS1_11comp_targetILNS1_3genE4ELNS1_11target_archE910ELNS1_3gpuE8ELNS1_3repE0EEENS1_30default_config_static_selectorELNS0_4arch9wavefront6targetE1EEEvT1_
; %bb.0:
	s_load_dwordx4 s[20:23], s[4:5], 0x0
	v_lshlrev_b32_e32 v20, 2, v0
	s_waitcnt lgkmcnt(0)
	s_load_dword s23, s[20:21], 0x0
	v_cmp_gt_u32_e32 vcc, s22, v0
	s_waitcnt lgkmcnt(0)
	v_mov_b32_e32 v1, s23
	s_and_saveexec_b64 s[0:1], vcc
	s_cbranch_execz .LBB6026_2
; %bb.1:
	global_load_dword v1, v20, s[20:21]
.LBB6026_2:
	s_or_b64 exec, exec, s[0:1]
	v_or_b32_e32 v2, 0x80, v0
	v_cmp_gt_u32_e64 s[0:1], s22, v2
	v_mov_b32_e32 v2, s23
	s_and_saveexec_b64 s[2:3], s[0:1]
	s_cbranch_execz .LBB6026_4
; %bb.3:
	global_load_dword v2, v20, s[20:21] offset:512
.LBB6026_4:
	s_or_b64 exec, exec, s[2:3]
	v_or_b32_e32 v3, 0x100, v0
	v_cmp_gt_u32_e64 s[2:3], s22, v3
	v_mov_b32_e32 v3, s23
	s_and_saveexec_b64 s[6:7], s[2:3]
	s_cbranch_execz .LBB6026_6
; %bb.5:
	global_load_dword v3, v20, s[20:21] offset:1024
.LBB6026_6:
	;; [unrolled: 9-line block ×7, first 2 shown]
	s_or_b64 exec, exec, s[14:15]
	v_or_b32_e32 v10, 0x400, v0
	v_cmp_gt_u32_e64 s[14:15], s22, v10
	v_mov_b32_e32 v9, s23
	s_and_saveexec_b64 s[16:17], s[14:15]
	s_cbranch_execz .LBB6026_18
; %bb.17:
	v_lshlrev_b32_e32 v9, 2, v10
	global_load_dword v9, v9, s[20:21]
.LBB6026_18:
	s_or_b64 exec, exec, s[16:17]
	v_or_b32_e32 v11, 0x480, v0
	v_cmp_gt_u32_e64 s[16:17], s22, v11
	v_mov_b32_e32 v10, s23
	s_and_saveexec_b64 s[22:23], s[16:17]
	s_cbranch_execz .LBB6026_20
; %bb.19:
	v_lshlrev_b32_e32 v10, 2, v11
	global_load_dword v10, v10, s[20:21]
.LBB6026_20:
	s_or_b64 exec, exec, s[22:23]
	s_waitcnt vmcnt(0)
	ds_write2st64_b32 v20, v1, v2 offset1:2
	ds_write2st64_b32 v20, v3, v4 offset0:4 offset1:6
	ds_write2st64_b32 v20, v5, v6 offset0:8 offset1:10
	;; [unrolled: 1-line block ×4, first 2 shown]
	v_mad_u32_u24 v1, v0, 36, v20
	s_waitcnt lgkmcnt(0)
	s_barrier
	ds_read2_b64 v[6:9], v1 offset1:1
	ds_read2_b64 v[2:5], v1 offset0:2 offset1:3
	ds_read_b64 v[18:19], v1 offset:32
	v_lshrrev_b32_e32 v21, 3, v0
	v_and_b32_e32 v21, 12, v21
	s_waitcnt lgkmcnt(2)
	v_add_u32_e32 v1, v7, v6
	v_add_u32_e32 v14, v1, v8
	;; [unrolled: 1-line block ×3, first 2 shown]
	s_waitcnt lgkmcnt(1)
	v_add_u32_e32 v10, v15, v2
	v_add_u32_e32 v11, v10, v3
	;; [unrolled: 1-line block ×4, first 2 shown]
	s_waitcnt lgkmcnt(0)
	v_add_u32_e32 v16, v13, v18
	v_add_u32_e32 v17, v16, v19
	;; [unrolled: 1-line block ×3, first 2 shown]
	v_cmp_gt_u32_e64 s[20:21], 64, v0
	s_barrier
	ds_write_b32 v21, v17
	s_waitcnt lgkmcnt(0)
	s_barrier
	s_and_saveexec_b64 s[22:23], s[20:21]
	s_cbranch_execz .LBB6026_22
; %bb.21:
	v_lshlrev_b32_e32 v21, 1, v0
	v_lshrrev_b32_e32 v22, 4, v0
	v_add_lshl_u32 v21, v22, v21, 2
	ds_read2_b32 v[22:23], v21 offset1:1
	v_mbcnt_lo_u32_b32 v24, -1, 0
	v_mbcnt_hi_u32_b32 v24, -1, v24
	v_and_b32_e32 v25, 15, v24
	v_cmp_ne_u32_e64 s[20:21], 0, v25
	s_waitcnt lgkmcnt(0)
	v_add_u32_e32 v23, v23, v22
	; wave barrier
	s_nop 1
	v_mov_b32_dpp v26, v23 row_shr:1 row_mask:0xf bank_mask:0xf
	v_cndmask_b32_e64 v26, 0, v26, s[20:21]
	v_add_u32_e32 v23, v26, v23
	v_cmp_lt_u32_e64 s[20:21], 1, v25
	s_nop 0
	v_mov_b32_dpp v26, v23 row_shr:2 row_mask:0xf bank_mask:0xf
	v_cndmask_b32_e64 v26, 0, v26, s[20:21]
	v_add_u32_e32 v23, v23, v26
	v_cmp_lt_u32_e64 s[20:21], 3, v25
	;; [unrolled: 5-line block ×3, first 2 shown]
	s_nop 0
	v_mov_b32_dpp v26, v23 row_shr:8 row_mask:0xf bank_mask:0xf
	v_cndmask_b32_e64 v25, 0, v26, s[20:21]
	v_add_u32_e32 v23, v23, v25
	v_bfe_i32 v26, v24, 4, 1
	v_cmp_lt_u32_e64 s[20:21], 31, v24
	v_mov_b32_dpp v25, v23 row_bcast:15 row_mask:0xf bank_mask:0xf
	v_and_b32_e32 v25, v26, v25
	v_add_u32_e32 v23, v23, v25
	v_and_b32_e32 v26, 64, v24
	s_nop 0
	v_mov_b32_dpp v25, v23 row_bcast:31 row_mask:0xf bank_mask:0xf
	v_cndmask_b32_e64 v25, 0, v25, s[20:21]
	v_add_u32_e32 v23, v23, v25
	v_add_u32_e32 v25, -1, v24
	v_cmp_lt_i32_e64 s[20:21], v25, v26
	v_cndmask_b32_e64 v24, v25, v24, s[20:21]
	v_lshlrev_b32_e32 v24, 2, v24
	ds_bpermute_b32 v23, v24, v23
	v_cmp_eq_u32_e64 s[20:21], 0, v0
	s_waitcnt lgkmcnt(0)
	v_add_u32_e32 v22, v23, v22
	v_cndmask_b32_e64 v22, v22, v17, s[20:21]
	ds_write_b32 v21, v22
	; wave barrier
	ds_read_b32 v23, v21 offset:4
	s_waitcnt lgkmcnt(0)
	v_add_u32_e32 v22, v23, v22
	ds_write_b32 v21, v22 offset:4
.LBB6026_22:
	s_or_b64 exec, exec, s[22:23]
	s_load_dwordx2 s[20:21], s[4:5], 0x18
	v_cmp_ne_u32_e64 s[4:5], 0, v0
	v_mov_b32_e32 v22, v17
	s_waitcnt lgkmcnt(0)
	s_barrier
	s_and_saveexec_b64 s[22:23], s[4:5]
	s_cbranch_execz .LBB6026_24
; %bb.23:
	v_add_u32_e32 v21, -1, v0
	v_lshrrev_b32_e32 v22, 5, v21
	v_add_lshl_u32 v21, v22, v21, 2
	ds_read_b32 v22, v21
.LBB6026_24:
	s_or_b64 exec, exec, s[22:23]
	v_mul_u32_u24_e32 v21, 36, v0
	v_mov_b32_e32 v0, v6
	s_and_saveexec_b64 s[22:23], s[4:5]
	s_cbranch_execz .LBB6026_26
; %bb.25:
	s_waitcnt lgkmcnt(0)
	v_add_u32_e32 v0, v22, v6
	v_add_u32_e32 v1, v0, v7
	;; [unrolled: 1-line block ×10, first 2 shown]
	;;#ASMSTART
	;;#ASMEND
.LBB6026_26:
	s_or_b64 exec, exec, s[22:23]
	v_add_u32_e32 v2, v20, v21
	s_waitcnt lgkmcnt(0)
	s_barrier
	ds_write2_b64 v2, v[0:1], v[14:15] offset1:1
	ds_write2_b64 v2, v[10:11], v[12:13] offset0:2 offset1:3
	ds_write_b64 v2, v[16:17] offset:32
	s_waitcnt lgkmcnt(0)
	s_barrier
	ds_read2st64_b32 v[8:9], v20 offset0:2 offset1:4
	ds_read2st64_b32 v[6:7], v20 offset0:6 offset1:8
	;; [unrolled: 1-line block ×4, first 2 shown]
	ds_read_b32 v10, v20 offset:4608
	v_mov_b32_e32 v1, s21
	v_add_co_u32_e64 v0, s[4:5], s20, v20
	v_addc_co_u32_e64 v1, s[4:5], 0, v1, s[4:5]
	s_and_saveexec_b64 s[4:5], vcc
	s_cbranch_execnz .LBB6026_37
; %bb.27:
	s_or_b64 exec, exec, s[4:5]
	s_and_saveexec_b64 s[4:5], s[0:1]
	s_cbranch_execnz .LBB6026_38
.LBB6026_28:
	s_or_b64 exec, exec, s[4:5]
	s_and_saveexec_b64 s[0:1], s[2:3]
	s_cbranch_execnz .LBB6026_39
.LBB6026_29:
	s_or_b64 exec, exec, s[0:1]
	s_and_saveexec_b64 s[0:1], s[18:19]
	s_cbranch_execnz .LBB6026_40
.LBB6026_30:
	s_or_b64 exec, exec, s[0:1]
	s_and_saveexec_b64 s[0:1], s[6:7]
	s_cbranch_execnz .LBB6026_41
.LBB6026_31:
	s_or_b64 exec, exec, s[0:1]
	s_and_saveexec_b64 s[0:1], s[8:9]
	s_cbranch_execnz .LBB6026_42
.LBB6026_32:
	s_or_b64 exec, exec, s[0:1]
	s_and_saveexec_b64 s[0:1], s[10:11]
	s_cbranch_execnz .LBB6026_43
.LBB6026_33:
	s_or_b64 exec, exec, s[0:1]
	s_and_saveexec_b64 s[0:1], s[12:13]
	s_cbranch_execnz .LBB6026_44
.LBB6026_34:
	s_or_b64 exec, exec, s[0:1]
	s_and_saveexec_b64 s[0:1], s[14:15]
	s_cbranch_execnz .LBB6026_45
.LBB6026_35:
	s_or_b64 exec, exec, s[0:1]
	s_and_saveexec_b64 s[0:1], s[16:17]
	s_cbranch_execnz .LBB6026_46
.LBB6026_36:
	s_endpgm
.LBB6026_37:
	ds_read_b32 v11, v20
	s_waitcnt lgkmcnt(0)
	v_cvt_f32_u32_e32 v11, v11
	global_store_dword v[0:1], v11, off
	s_or_b64 exec, exec, s[4:5]
	s_and_saveexec_b64 s[4:5], s[0:1]
	s_cbranch_execz .LBB6026_28
.LBB6026_38:
	s_waitcnt lgkmcnt(4)
	v_cvt_f32_u32_e32 v8, v8
	global_store_dword v[0:1], v8, off offset:512
	s_or_b64 exec, exec, s[4:5]
	s_and_saveexec_b64 s[0:1], s[2:3]
	s_cbranch_execz .LBB6026_29
.LBB6026_39:
	s_waitcnt lgkmcnt(4)
	v_cvt_f32_u32_e32 v8, v9
	global_store_dword v[0:1], v8, off offset:1024
	s_or_b64 exec, exec, s[0:1]
	s_and_saveexec_b64 s[0:1], s[18:19]
	s_cbranch_execz .LBB6026_30
.LBB6026_40:
	s_waitcnt lgkmcnt(3)
	v_cvt_f32_u32_e32 v6, v6
	global_store_dword v[0:1], v6, off offset:1536
	s_or_b64 exec, exec, s[0:1]
	s_and_saveexec_b64 s[0:1], s[6:7]
	s_cbranch_execz .LBB6026_31
.LBB6026_41:
	s_waitcnt lgkmcnt(3)
	v_cvt_f32_u32_e32 v6, v7
	global_store_dword v[0:1], v6, off offset:2048
	s_or_b64 exec, exec, s[0:1]
	s_and_saveexec_b64 s[0:1], s[8:9]
	s_cbranch_execz .LBB6026_32
.LBB6026_42:
	s_waitcnt lgkmcnt(2)
	v_cvt_f32_u32_e32 v4, v4
	global_store_dword v[0:1], v4, off offset:2560
	s_or_b64 exec, exec, s[0:1]
	s_and_saveexec_b64 s[0:1], s[10:11]
	s_cbranch_execz .LBB6026_33
.LBB6026_43:
	s_waitcnt lgkmcnt(2)
	v_cvt_f32_u32_e32 v4, v5
	global_store_dword v[0:1], v4, off offset:3072
	s_or_b64 exec, exec, s[0:1]
	s_and_saveexec_b64 s[0:1], s[12:13]
	s_cbranch_execz .LBB6026_34
.LBB6026_44:
	s_waitcnt lgkmcnt(1)
	v_cvt_f32_u32_e32 v2, v2
	global_store_dword v[0:1], v2, off offset:3584
	s_or_b64 exec, exec, s[0:1]
	s_and_saveexec_b64 s[0:1], s[14:15]
	s_cbranch_execz .LBB6026_35
.LBB6026_45:
	s_waitcnt lgkmcnt(1)
	v_cvt_f32_u32_e32 v4, v3
	v_add_co_u32_e32 v2, vcc, 0x1000, v0
	v_addc_co_u32_e32 v3, vcc, 0, v1, vcc
	global_store_dword v[2:3], v4, off
	s_or_b64 exec, exec, s[0:1]
	s_and_saveexec_b64 s[0:1], s[16:17]
	s_cbranch_execz .LBB6026_36
.LBB6026_46:
	s_waitcnt lgkmcnt(0)
	v_cvt_f32_u32_e32 v2, v10
	v_add_co_u32_e32 v0, vcc, 0x1000, v0
	v_addc_co_u32_e32 v1, vcc, 0, v1, vcc
	global_store_dword v[0:1], v2, off offset:512
	s_endpgm
	.section	.rodata,"a",@progbits
	.p2align	6, 0x0
	.amdhsa_kernel _ZN7rocprim17ROCPRIM_400000_NS6detail17trampoline_kernelINS0_14default_configENS1_20scan_config_selectorIjEEZZNS1_9scan_implILNS1_25lookback_scan_determinismE0ELb0ELb0ES3_N6thrust23THRUST_200600_302600_NS6detail15normal_iteratorINS9_10device_ptrIjEEEENSB_INSC_IfEEEEjNS9_4plusIvEEjEEDaPvRmT3_T4_T5_mT6_P12ihipStream_tbENKUlT_T0_E_clISt17integral_constantIbLb0EESW_EEDaSR_SS_EUlSR_E0_NS1_11comp_targetILNS1_3genE4ELNS1_11target_archE910ELNS1_3gpuE8ELNS1_3repE0EEENS1_30default_config_static_selectorELNS0_4arch9wavefront6targetE1EEEvT1_
		.amdhsa_group_segment_fixed_size 5120
		.amdhsa_private_segment_fixed_size 0
		.amdhsa_kernarg_size 32
		.amdhsa_user_sgpr_count 6
		.amdhsa_user_sgpr_private_segment_buffer 1
		.amdhsa_user_sgpr_dispatch_ptr 0
		.amdhsa_user_sgpr_queue_ptr 0
		.amdhsa_user_sgpr_kernarg_segment_ptr 1
		.amdhsa_user_sgpr_dispatch_id 0
		.amdhsa_user_sgpr_flat_scratch_init 0
		.amdhsa_user_sgpr_kernarg_preload_length 0
		.amdhsa_user_sgpr_kernarg_preload_offset 0
		.amdhsa_user_sgpr_private_segment_size 0
		.amdhsa_uses_dynamic_stack 0
		.amdhsa_system_sgpr_private_segment_wavefront_offset 0
		.amdhsa_system_sgpr_workgroup_id_x 1
		.amdhsa_system_sgpr_workgroup_id_y 0
		.amdhsa_system_sgpr_workgroup_id_z 0
		.amdhsa_system_sgpr_workgroup_info 0
		.amdhsa_system_vgpr_workitem_id 0
		.amdhsa_next_free_vgpr 27
		.amdhsa_next_free_sgpr 24
		.amdhsa_accum_offset 28
		.amdhsa_reserve_vcc 1
		.amdhsa_reserve_flat_scratch 0
		.amdhsa_float_round_mode_32 0
		.amdhsa_float_round_mode_16_64 0
		.amdhsa_float_denorm_mode_32 3
		.amdhsa_float_denorm_mode_16_64 3
		.amdhsa_dx10_clamp 1
		.amdhsa_ieee_mode 1
		.amdhsa_fp16_overflow 0
		.amdhsa_tg_split 0
		.amdhsa_exception_fp_ieee_invalid_op 0
		.amdhsa_exception_fp_denorm_src 0
		.amdhsa_exception_fp_ieee_div_zero 0
		.amdhsa_exception_fp_ieee_overflow 0
		.amdhsa_exception_fp_ieee_underflow 0
		.amdhsa_exception_fp_ieee_inexact 0
		.amdhsa_exception_int_div_zero 0
	.end_amdhsa_kernel
	.section	.text._ZN7rocprim17ROCPRIM_400000_NS6detail17trampoline_kernelINS0_14default_configENS1_20scan_config_selectorIjEEZZNS1_9scan_implILNS1_25lookback_scan_determinismE0ELb0ELb0ES3_N6thrust23THRUST_200600_302600_NS6detail15normal_iteratorINS9_10device_ptrIjEEEENSB_INSC_IfEEEEjNS9_4plusIvEEjEEDaPvRmT3_T4_T5_mT6_P12ihipStream_tbENKUlT_T0_E_clISt17integral_constantIbLb0EESW_EEDaSR_SS_EUlSR_E0_NS1_11comp_targetILNS1_3genE4ELNS1_11target_archE910ELNS1_3gpuE8ELNS1_3repE0EEENS1_30default_config_static_selectorELNS0_4arch9wavefront6targetE1EEEvT1_,"axG",@progbits,_ZN7rocprim17ROCPRIM_400000_NS6detail17trampoline_kernelINS0_14default_configENS1_20scan_config_selectorIjEEZZNS1_9scan_implILNS1_25lookback_scan_determinismE0ELb0ELb0ES3_N6thrust23THRUST_200600_302600_NS6detail15normal_iteratorINS9_10device_ptrIjEEEENSB_INSC_IfEEEEjNS9_4plusIvEEjEEDaPvRmT3_T4_T5_mT6_P12ihipStream_tbENKUlT_T0_E_clISt17integral_constantIbLb0EESW_EEDaSR_SS_EUlSR_E0_NS1_11comp_targetILNS1_3genE4ELNS1_11target_archE910ELNS1_3gpuE8ELNS1_3repE0EEENS1_30default_config_static_selectorELNS0_4arch9wavefront6targetE1EEEvT1_,comdat
.Lfunc_end6026:
	.size	_ZN7rocprim17ROCPRIM_400000_NS6detail17trampoline_kernelINS0_14default_configENS1_20scan_config_selectorIjEEZZNS1_9scan_implILNS1_25lookback_scan_determinismE0ELb0ELb0ES3_N6thrust23THRUST_200600_302600_NS6detail15normal_iteratorINS9_10device_ptrIjEEEENSB_INSC_IfEEEEjNS9_4plusIvEEjEEDaPvRmT3_T4_T5_mT6_P12ihipStream_tbENKUlT_T0_E_clISt17integral_constantIbLb0EESW_EEDaSR_SS_EUlSR_E0_NS1_11comp_targetILNS1_3genE4ELNS1_11target_archE910ELNS1_3gpuE8ELNS1_3repE0EEENS1_30default_config_static_selectorELNS0_4arch9wavefront6targetE1EEEvT1_, .Lfunc_end6026-_ZN7rocprim17ROCPRIM_400000_NS6detail17trampoline_kernelINS0_14default_configENS1_20scan_config_selectorIjEEZZNS1_9scan_implILNS1_25lookback_scan_determinismE0ELb0ELb0ES3_N6thrust23THRUST_200600_302600_NS6detail15normal_iteratorINS9_10device_ptrIjEEEENSB_INSC_IfEEEEjNS9_4plusIvEEjEEDaPvRmT3_T4_T5_mT6_P12ihipStream_tbENKUlT_T0_E_clISt17integral_constantIbLb0EESW_EEDaSR_SS_EUlSR_E0_NS1_11comp_targetILNS1_3genE4ELNS1_11target_archE910ELNS1_3gpuE8ELNS1_3repE0EEENS1_30default_config_static_selectorELNS0_4arch9wavefront6targetE1EEEvT1_
                                        ; -- End function
	.section	.AMDGPU.csdata,"",@progbits
; Kernel info:
; codeLenInByte = 1592
; NumSgprs: 28
; NumVgprs: 27
; NumAgprs: 0
; TotalNumVgprs: 27
; ScratchSize: 0
; MemoryBound: 0
; FloatMode: 240
; IeeeMode: 1
; LDSByteSize: 5120 bytes/workgroup (compile time only)
; SGPRBlocks: 3
; VGPRBlocks: 3
; NumSGPRsForWavesPerEU: 28
; NumVGPRsForWavesPerEU: 27
; AccumOffset: 28
; Occupancy: 6
; WaveLimiterHint : 0
; COMPUTE_PGM_RSRC2:SCRATCH_EN: 0
; COMPUTE_PGM_RSRC2:USER_SGPR: 6
; COMPUTE_PGM_RSRC2:TRAP_HANDLER: 0
; COMPUTE_PGM_RSRC2:TGID_X_EN: 1
; COMPUTE_PGM_RSRC2:TGID_Y_EN: 0
; COMPUTE_PGM_RSRC2:TGID_Z_EN: 0
; COMPUTE_PGM_RSRC2:TIDIG_COMP_CNT: 0
; COMPUTE_PGM_RSRC3_GFX90A:ACCUM_OFFSET: 6
; COMPUTE_PGM_RSRC3_GFX90A:TG_SPLIT: 0
	.section	.text._ZN7rocprim17ROCPRIM_400000_NS6detail17trampoline_kernelINS0_14default_configENS1_20scan_config_selectorIjEEZZNS1_9scan_implILNS1_25lookback_scan_determinismE0ELb0ELb0ES3_N6thrust23THRUST_200600_302600_NS6detail15normal_iteratorINS9_10device_ptrIjEEEENSB_INSC_IfEEEEjNS9_4plusIvEEjEEDaPvRmT3_T4_T5_mT6_P12ihipStream_tbENKUlT_T0_E_clISt17integral_constantIbLb0EESW_EEDaSR_SS_EUlSR_E0_NS1_11comp_targetILNS1_3genE3ELNS1_11target_archE908ELNS1_3gpuE7ELNS1_3repE0EEENS1_30default_config_static_selectorELNS0_4arch9wavefront6targetE1EEEvT1_,"axG",@progbits,_ZN7rocprim17ROCPRIM_400000_NS6detail17trampoline_kernelINS0_14default_configENS1_20scan_config_selectorIjEEZZNS1_9scan_implILNS1_25lookback_scan_determinismE0ELb0ELb0ES3_N6thrust23THRUST_200600_302600_NS6detail15normal_iteratorINS9_10device_ptrIjEEEENSB_INSC_IfEEEEjNS9_4plusIvEEjEEDaPvRmT3_T4_T5_mT6_P12ihipStream_tbENKUlT_T0_E_clISt17integral_constantIbLb0EESW_EEDaSR_SS_EUlSR_E0_NS1_11comp_targetILNS1_3genE3ELNS1_11target_archE908ELNS1_3gpuE7ELNS1_3repE0EEENS1_30default_config_static_selectorELNS0_4arch9wavefront6targetE1EEEvT1_,comdat
	.protected	_ZN7rocprim17ROCPRIM_400000_NS6detail17trampoline_kernelINS0_14default_configENS1_20scan_config_selectorIjEEZZNS1_9scan_implILNS1_25lookback_scan_determinismE0ELb0ELb0ES3_N6thrust23THRUST_200600_302600_NS6detail15normal_iteratorINS9_10device_ptrIjEEEENSB_INSC_IfEEEEjNS9_4plusIvEEjEEDaPvRmT3_T4_T5_mT6_P12ihipStream_tbENKUlT_T0_E_clISt17integral_constantIbLb0EESW_EEDaSR_SS_EUlSR_E0_NS1_11comp_targetILNS1_3genE3ELNS1_11target_archE908ELNS1_3gpuE7ELNS1_3repE0EEENS1_30default_config_static_selectorELNS0_4arch9wavefront6targetE1EEEvT1_ ; -- Begin function _ZN7rocprim17ROCPRIM_400000_NS6detail17trampoline_kernelINS0_14default_configENS1_20scan_config_selectorIjEEZZNS1_9scan_implILNS1_25lookback_scan_determinismE0ELb0ELb0ES3_N6thrust23THRUST_200600_302600_NS6detail15normal_iteratorINS9_10device_ptrIjEEEENSB_INSC_IfEEEEjNS9_4plusIvEEjEEDaPvRmT3_T4_T5_mT6_P12ihipStream_tbENKUlT_T0_E_clISt17integral_constantIbLb0EESW_EEDaSR_SS_EUlSR_E0_NS1_11comp_targetILNS1_3genE3ELNS1_11target_archE908ELNS1_3gpuE7ELNS1_3repE0EEENS1_30default_config_static_selectorELNS0_4arch9wavefront6targetE1EEEvT1_
	.globl	_ZN7rocprim17ROCPRIM_400000_NS6detail17trampoline_kernelINS0_14default_configENS1_20scan_config_selectorIjEEZZNS1_9scan_implILNS1_25lookback_scan_determinismE0ELb0ELb0ES3_N6thrust23THRUST_200600_302600_NS6detail15normal_iteratorINS9_10device_ptrIjEEEENSB_INSC_IfEEEEjNS9_4plusIvEEjEEDaPvRmT3_T4_T5_mT6_P12ihipStream_tbENKUlT_T0_E_clISt17integral_constantIbLb0EESW_EEDaSR_SS_EUlSR_E0_NS1_11comp_targetILNS1_3genE3ELNS1_11target_archE908ELNS1_3gpuE7ELNS1_3repE0EEENS1_30default_config_static_selectorELNS0_4arch9wavefront6targetE1EEEvT1_
	.p2align	8
	.type	_ZN7rocprim17ROCPRIM_400000_NS6detail17trampoline_kernelINS0_14default_configENS1_20scan_config_selectorIjEEZZNS1_9scan_implILNS1_25lookback_scan_determinismE0ELb0ELb0ES3_N6thrust23THRUST_200600_302600_NS6detail15normal_iteratorINS9_10device_ptrIjEEEENSB_INSC_IfEEEEjNS9_4plusIvEEjEEDaPvRmT3_T4_T5_mT6_P12ihipStream_tbENKUlT_T0_E_clISt17integral_constantIbLb0EESW_EEDaSR_SS_EUlSR_E0_NS1_11comp_targetILNS1_3genE3ELNS1_11target_archE908ELNS1_3gpuE7ELNS1_3repE0EEENS1_30default_config_static_selectorELNS0_4arch9wavefront6targetE1EEEvT1_,@function
_ZN7rocprim17ROCPRIM_400000_NS6detail17trampoline_kernelINS0_14default_configENS1_20scan_config_selectorIjEEZZNS1_9scan_implILNS1_25lookback_scan_determinismE0ELb0ELb0ES3_N6thrust23THRUST_200600_302600_NS6detail15normal_iteratorINS9_10device_ptrIjEEEENSB_INSC_IfEEEEjNS9_4plusIvEEjEEDaPvRmT3_T4_T5_mT6_P12ihipStream_tbENKUlT_T0_E_clISt17integral_constantIbLb0EESW_EEDaSR_SS_EUlSR_E0_NS1_11comp_targetILNS1_3genE3ELNS1_11target_archE908ELNS1_3gpuE7ELNS1_3repE0EEENS1_30default_config_static_selectorELNS0_4arch9wavefront6targetE1EEEvT1_: ; @_ZN7rocprim17ROCPRIM_400000_NS6detail17trampoline_kernelINS0_14default_configENS1_20scan_config_selectorIjEEZZNS1_9scan_implILNS1_25lookback_scan_determinismE0ELb0ELb0ES3_N6thrust23THRUST_200600_302600_NS6detail15normal_iteratorINS9_10device_ptrIjEEEENSB_INSC_IfEEEEjNS9_4plusIvEEjEEDaPvRmT3_T4_T5_mT6_P12ihipStream_tbENKUlT_T0_E_clISt17integral_constantIbLb0EESW_EEDaSR_SS_EUlSR_E0_NS1_11comp_targetILNS1_3genE3ELNS1_11target_archE908ELNS1_3gpuE7ELNS1_3repE0EEENS1_30default_config_static_selectorELNS0_4arch9wavefront6targetE1EEEvT1_
; %bb.0:
	.section	.rodata,"a",@progbits
	.p2align	6, 0x0
	.amdhsa_kernel _ZN7rocprim17ROCPRIM_400000_NS6detail17trampoline_kernelINS0_14default_configENS1_20scan_config_selectorIjEEZZNS1_9scan_implILNS1_25lookback_scan_determinismE0ELb0ELb0ES3_N6thrust23THRUST_200600_302600_NS6detail15normal_iteratorINS9_10device_ptrIjEEEENSB_INSC_IfEEEEjNS9_4plusIvEEjEEDaPvRmT3_T4_T5_mT6_P12ihipStream_tbENKUlT_T0_E_clISt17integral_constantIbLb0EESW_EEDaSR_SS_EUlSR_E0_NS1_11comp_targetILNS1_3genE3ELNS1_11target_archE908ELNS1_3gpuE7ELNS1_3repE0EEENS1_30default_config_static_selectorELNS0_4arch9wavefront6targetE1EEEvT1_
		.amdhsa_group_segment_fixed_size 0
		.amdhsa_private_segment_fixed_size 0
		.amdhsa_kernarg_size 32
		.amdhsa_user_sgpr_count 6
		.amdhsa_user_sgpr_private_segment_buffer 1
		.amdhsa_user_sgpr_dispatch_ptr 0
		.amdhsa_user_sgpr_queue_ptr 0
		.amdhsa_user_sgpr_kernarg_segment_ptr 1
		.amdhsa_user_sgpr_dispatch_id 0
		.amdhsa_user_sgpr_flat_scratch_init 0
		.amdhsa_user_sgpr_kernarg_preload_length 0
		.amdhsa_user_sgpr_kernarg_preload_offset 0
		.amdhsa_user_sgpr_private_segment_size 0
		.amdhsa_uses_dynamic_stack 0
		.amdhsa_system_sgpr_private_segment_wavefront_offset 0
		.amdhsa_system_sgpr_workgroup_id_x 1
		.amdhsa_system_sgpr_workgroup_id_y 0
		.amdhsa_system_sgpr_workgroup_id_z 0
		.amdhsa_system_sgpr_workgroup_info 0
		.amdhsa_system_vgpr_workitem_id 0
		.amdhsa_next_free_vgpr 1
		.amdhsa_next_free_sgpr 0
		.amdhsa_accum_offset 4
		.amdhsa_reserve_vcc 0
		.amdhsa_reserve_flat_scratch 0
		.amdhsa_float_round_mode_32 0
		.amdhsa_float_round_mode_16_64 0
		.amdhsa_float_denorm_mode_32 3
		.amdhsa_float_denorm_mode_16_64 3
		.amdhsa_dx10_clamp 1
		.amdhsa_ieee_mode 1
		.amdhsa_fp16_overflow 0
		.amdhsa_tg_split 0
		.amdhsa_exception_fp_ieee_invalid_op 0
		.amdhsa_exception_fp_denorm_src 0
		.amdhsa_exception_fp_ieee_div_zero 0
		.amdhsa_exception_fp_ieee_overflow 0
		.amdhsa_exception_fp_ieee_underflow 0
		.amdhsa_exception_fp_ieee_inexact 0
		.amdhsa_exception_int_div_zero 0
	.end_amdhsa_kernel
	.section	.text._ZN7rocprim17ROCPRIM_400000_NS6detail17trampoline_kernelINS0_14default_configENS1_20scan_config_selectorIjEEZZNS1_9scan_implILNS1_25lookback_scan_determinismE0ELb0ELb0ES3_N6thrust23THRUST_200600_302600_NS6detail15normal_iteratorINS9_10device_ptrIjEEEENSB_INSC_IfEEEEjNS9_4plusIvEEjEEDaPvRmT3_T4_T5_mT6_P12ihipStream_tbENKUlT_T0_E_clISt17integral_constantIbLb0EESW_EEDaSR_SS_EUlSR_E0_NS1_11comp_targetILNS1_3genE3ELNS1_11target_archE908ELNS1_3gpuE7ELNS1_3repE0EEENS1_30default_config_static_selectorELNS0_4arch9wavefront6targetE1EEEvT1_,"axG",@progbits,_ZN7rocprim17ROCPRIM_400000_NS6detail17trampoline_kernelINS0_14default_configENS1_20scan_config_selectorIjEEZZNS1_9scan_implILNS1_25lookback_scan_determinismE0ELb0ELb0ES3_N6thrust23THRUST_200600_302600_NS6detail15normal_iteratorINS9_10device_ptrIjEEEENSB_INSC_IfEEEEjNS9_4plusIvEEjEEDaPvRmT3_T4_T5_mT6_P12ihipStream_tbENKUlT_T0_E_clISt17integral_constantIbLb0EESW_EEDaSR_SS_EUlSR_E0_NS1_11comp_targetILNS1_3genE3ELNS1_11target_archE908ELNS1_3gpuE7ELNS1_3repE0EEENS1_30default_config_static_selectorELNS0_4arch9wavefront6targetE1EEEvT1_,comdat
.Lfunc_end6027:
	.size	_ZN7rocprim17ROCPRIM_400000_NS6detail17trampoline_kernelINS0_14default_configENS1_20scan_config_selectorIjEEZZNS1_9scan_implILNS1_25lookback_scan_determinismE0ELb0ELb0ES3_N6thrust23THRUST_200600_302600_NS6detail15normal_iteratorINS9_10device_ptrIjEEEENSB_INSC_IfEEEEjNS9_4plusIvEEjEEDaPvRmT3_T4_T5_mT6_P12ihipStream_tbENKUlT_T0_E_clISt17integral_constantIbLb0EESW_EEDaSR_SS_EUlSR_E0_NS1_11comp_targetILNS1_3genE3ELNS1_11target_archE908ELNS1_3gpuE7ELNS1_3repE0EEENS1_30default_config_static_selectorELNS0_4arch9wavefront6targetE1EEEvT1_, .Lfunc_end6027-_ZN7rocprim17ROCPRIM_400000_NS6detail17trampoline_kernelINS0_14default_configENS1_20scan_config_selectorIjEEZZNS1_9scan_implILNS1_25lookback_scan_determinismE0ELb0ELb0ES3_N6thrust23THRUST_200600_302600_NS6detail15normal_iteratorINS9_10device_ptrIjEEEENSB_INSC_IfEEEEjNS9_4plusIvEEjEEDaPvRmT3_T4_T5_mT6_P12ihipStream_tbENKUlT_T0_E_clISt17integral_constantIbLb0EESW_EEDaSR_SS_EUlSR_E0_NS1_11comp_targetILNS1_3genE3ELNS1_11target_archE908ELNS1_3gpuE7ELNS1_3repE0EEENS1_30default_config_static_selectorELNS0_4arch9wavefront6targetE1EEEvT1_
                                        ; -- End function
	.section	.AMDGPU.csdata,"",@progbits
; Kernel info:
; codeLenInByte = 0
; NumSgprs: 4
; NumVgprs: 0
; NumAgprs: 0
; TotalNumVgprs: 0
; ScratchSize: 0
; MemoryBound: 0
; FloatMode: 240
; IeeeMode: 1
; LDSByteSize: 0 bytes/workgroup (compile time only)
; SGPRBlocks: 0
; VGPRBlocks: 0
; NumSGPRsForWavesPerEU: 4
; NumVGPRsForWavesPerEU: 1
; AccumOffset: 4
; Occupancy: 8
; WaveLimiterHint : 0
; COMPUTE_PGM_RSRC2:SCRATCH_EN: 0
; COMPUTE_PGM_RSRC2:USER_SGPR: 6
; COMPUTE_PGM_RSRC2:TRAP_HANDLER: 0
; COMPUTE_PGM_RSRC2:TGID_X_EN: 1
; COMPUTE_PGM_RSRC2:TGID_Y_EN: 0
; COMPUTE_PGM_RSRC2:TGID_Z_EN: 0
; COMPUTE_PGM_RSRC2:TIDIG_COMP_CNT: 0
; COMPUTE_PGM_RSRC3_GFX90A:ACCUM_OFFSET: 0
; COMPUTE_PGM_RSRC3_GFX90A:TG_SPLIT: 0
	.section	.text._ZN7rocprim17ROCPRIM_400000_NS6detail17trampoline_kernelINS0_14default_configENS1_20scan_config_selectorIjEEZZNS1_9scan_implILNS1_25lookback_scan_determinismE0ELb0ELb0ES3_N6thrust23THRUST_200600_302600_NS6detail15normal_iteratorINS9_10device_ptrIjEEEENSB_INSC_IfEEEEjNS9_4plusIvEEjEEDaPvRmT3_T4_T5_mT6_P12ihipStream_tbENKUlT_T0_E_clISt17integral_constantIbLb0EESW_EEDaSR_SS_EUlSR_E0_NS1_11comp_targetILNS1_3genE2ELNS1_11target_archE906ELNS1_3gpuE6ELNS1_3repE0EEENS1_30default_config_static_selectorELNS0_4arch9wavefront6targetE1EEEvT1_,"axG",@progbits,_ZN7rocprim17ROCPRIM_400000_NS6detail17trampoline_kernelINS0_14default_configENS1_20scan_config_selectorIjEEZZNS1_9scan_implILNS1_25lookback_scan_determinismE0ELb0ELb0ES3_N6thrust23THRUST_200600_302600_NS6detail15normal_iteratorINS9_10device_ptrIjEEEENSB_INSC_IfEEEEjNS9_4plusIvEEjEEDaPvRmT3_T4_T5_mT6_P12ihipStream_tbENKUlT_T0_E_clISt17integral_constantIbLb0EESW_EEDaSR_SS_EUlSR_E0_NS1_11comp_targetILNS1_3genE2ELNS1_11target_archE906ELNS1_3gpuE6ELNS1_3repE0EEENS1_30default_config_static_selectorELNS0_4arch9wavefront6targetE1EEEvT1_,comdat
	.protected	_ZN7rocprim17ROCPRIM_400000_NS6detail17trampoline_kernelINS0_14default_configENS1_20scan_config_selectorIjEEZZNS1_9scan_implILNS1_25lookback_scan_determinismE0ELb0ELb0ES3_N6thrust23THRUST_200600_302600_NS6detail15normal_iteratorINS9_10device_ptrIjEEEENSB_INSC_IfEEEEjNS9_4plusIvEEjEEDaPvRmT3_T4_T5_mT6_P12ihipStream_tbENKUlT_T0_E_clISt17integral_constantIbLb0EESW_EEDaSR_SS_EUlSR_E0_NS1_11comp_targetILNS1_3genE2ELNS1_11target_archE906ELNS1_3gpuE6ELNS1_3repE0EEENS1_30default_config_static_selectorELNS0_4arch9wavefront6targetE1EEEvT1_ ; -- Begin function _ZN7rocprim17ROCPRIM_400000_NS6detail17trampoline_kernelINS0_14default_configENS1_20scan_config_selectorIjEEZZNS1_9scan_implILNS1_25lookback_scan_determinismE0ELb0ELb0ES3_N6thrust23THRUST_200600_302600_NS6detail15normal_iteratorINS9_10device_ptrIjEEEENSB_INSC_IfEEEEjNS9_4plusIvEEjEEDaPvRmT3_T4_T5_mT6_P12ihipStream_tbENKUlT_T0_E_clISt17integral_constantIbLb0EESW_EEDaSR_SS_EUlSR_E0_NS1_11comp_targetILNS1_3genE2ELNS1_11target_archE906ELNS1_3gpuE6ELNS1_3repE0EEENS1_30default_config_static_selectorELNS0_4arch9wavefront6targetE1EEEvT1_
	.globl	_ZN7rocprim17ROCPRIM_400000_NS6detail17trampoline_kernelINS0_14default_configENS1_20scan_config_selectorIjEEZZNS1_9scan_implILNS1_25lookback_scan_determinismE0ELb0ELb0ES3_N6thrust23THRUST_200600_302600_NS6detail15normal_iteratorINS9_10device_ptrIjEEEENSB_INSC_IfEEEEjNS9_4plusIvEEjEEDaPvRmT3_T4_T5_mT6_P12ihipStream_tbENKUlT_T0_E_clISt17integral_constantIbLb0EESW_EEDaSR_SS_EUlSR_E0_NS1_11comp_targetILNS1_3genE2ELNS1_11target_archE906ELNS1_3gpuE6ELNS1_3repE0EEENS1_30default_config_static_selectorELNS0_4arch9wavefront6targetE1EEEvT1_
	.p2align	8
	.type	_ZN7rocprim17ROCPRIM_400000_NS6detail17trampoline_kernelINS0_14default_configENS1_20scan_config_selectorIjEEZZNS1_9scan_implILNS1_25lookback_scan_determinismE0ELb0ELb0ES3_N6thrust23THRUST_200600_302600_NS6detail15normal_iteratorINS9_10device_ptrIjEEEENSB_INSC_IfEEEEjNS9_4plusIvEEjEEDaPvRmT3_T4_T5_mT6_P12ihipStream_tbENKUlT_T0_E_clISt17integral_constantIbLb0EESW_EEDaSR_SS_EUlSR_E0_NS1_11comp_targetILNS1_3genE2ELNS1_11target_archE906ELNS1_3gpuE6ELNS1_3repE0EEENS1_30default_config_static_selectorELNS0_4arch9wavefront6targetE1EEEvT1_,@function
_ZN7rocprim17ROCPRIM_400000_NS6detail17trampoline_kernelINS0_14default_configENS1_20scan_config_selectorIjEEZZNS1_9scan_implILNS1_25lookback_scan_determinismE0ELb0ELb0ES3_N6thrust23THRUST_200600_302600_NS6detail15normal_iteratorINS9_10device_ptrIjEEEENSB_INSC_IfEEEEjNS9_4plusIvEEjEEDaPvRmT3_T4_T5_mT6_P12ihipStream_tbENKUlT_T0_E_clISt17integral_constantIbLb0EESW_EEDaSR_SS_EUlSR_E0_NS1_11comp_targetILNS1_3genE2ELNS1_11target_archE906ELNS1_3gpuE6ELNS1_3repE0EEENS1_30default_config_static_selectorELNS0_4arch9wavefront6targetE1EEEvT1_: ; @_ZN7rocprim17ROCPRIM_400000_NS6detail17trampoline_kernelINS0_14default_configENS1_20scan_config_selectorIjEEZZNS1_9scan_implILNS1_25lookback_scan_determinismE0ELb0ELb0ES3_N6thrust23THRUST_200600_302600_NS6detail15normal_iteratorINS9_10device_ptrIjEEEENSB_INSC_IfEEEEjNS9_4plusIvEEjEEDaPvRmT3_T4_T5_mT6_P12ihipStream_tbENKUlT_T0_E_clISt17integral_constantIbLb0EESW_EEDaSR_SS_EUlSR_E0_NS1_11comp_targetILNS1_3genE2ELNS1_11target_archE906ELNS1_3gpuE6ELNS1_3repE0EEENS1_30default_config_static_selectorELNS0_4arch9wavefront6targetE1EEEvT1_
; %bb.0:
	.section	.rodata,"a",@progbits
	.p2align	6, 0x0
	.amdhsa_kernel _ZN7rocprim17ROCPRIM_400000_NS6detail17trampoline_kernelINS0_14default_configENS1_20scan_config_selectorIjEEZZNS1_9scan_implILNS1_25lookback_scan_determinismE0ELb0ELb0ES3_N6thrust23THRUST_200600_302600_NS6detail15normal_iteratorINS9_10device_ptrIjEEEENSB_INSC_IfEEEEjNS9_4plusIvEEjEEDaPvRmT3_T4_T5_mT6_P12ihipStream_tbENKUlT_T0_E_clISt17integral_constantIbLb0EESW_EEDaSR_SS_EUlSR_E0_NS1_11comp_targetILNS1_3genE2ELNS1_11target_archE906ELNS1_3gpuE6ELNS1_3repE0EEENS1_30default_config_static_selectorELNS0_4arch9wavefront6targetE1EEEvT1_
		.amdhsa_group_segment_fixed_size 0
		.amdhsa_private_segment_fixed_size 0
		.amdhsa_kernarg_size 32
		.amdhsa_user_sgpr_count 6
		.amdhsa_user_sgpr_private_segment_buffer 1
		.amdhsa_user_sgpr_dispatch_ptr 0
		.amdhsa_user_sgpr_queue_ptr 0
		.amdhsa_user_sgpr_kernarg_segment_ptr 1
		.amdhsa_user_sgpr_dispatch_id 0
		.amdhsa_user_sgpr_flat_scratch_init 0
		.amdhsa_user_sgpr_kernarg_preload_length 0
		.amdhsa_user_sgpr_kernarg_preload_offset 0
		.amdhsa_user_sgpr_private_segment_size 0
		.amdhsa_uses_dynamic_stack 0
		.amdhsa_system_sgpr_private_segment_wavefront_offset 0
		.amdhsa_system_sgpr_workgroup_id_x 1
		.amdhsa_system_sgpr_workgroup_id_y 0
		.amdhsa_system_sgpr_workgroup_id_z 0
		.amdhsa_system_sgpr_workgroup_info 0
		.amdhsa_system_vgpr_workitem_id 0
		.amdhsa_next_free_vgpr 1
		.amdhsa_next_free_sgpr 0
		.amdhsa_accum_offset 4
		.amdhsa_reserve_vcc 0
		.amdhsa_reserve_flat_scratch 0
		.amdhsa_float_round_mode_32 0
		.amdhsa_float_round_mode_16_64 0
		.amdhsa_float_denorm_mode_32 3
		.amdhsa_float_denorm_mode_16_64 3
		.amdhsa_dx10_clamp 1
		.amdhsa_ieee_mode 1
		.amdhsa_fp16_overflow 0
		.amdhsa_tg_split 0
		.amdhsa_exception_fp_ieee_invalid_op 0
		.amdhsa_exception_fp_denorm_src 0
		.amdhsa_exception_fp_ieee_div_zero 0
		.amdhsa_exception_fp_ieee_overflow 0
		.amdhsa_exception_fp_ieee_underflow 0
		.amdhsa_exception_fp_ieee_inexact 0
		.amdhsa_exception_int_div_zero 0
	.end_amdhsa_kernel
	.section	.text._ZN7rocprim17ROCPRIM_400000_NS6detail17trampoline_kernelINS0_14default_configENS1_20scan_config_selectorIjEEZZNS1_9scan_implILNS1_25lookback_scan_determinismE0ELb0ELb0ES3_N6thrust23THRUST_200600_302600_NS6detail15normal_iteratorINS9_10device_ptrIjEEEENSB_INSC_IfEEEEjNS9_4plusIvEEjEEDaPvRmT3_T4_T5_mT6_P12ihipStream_tbENKUlT_T0_E_clISt17integral_constantIbLb0EESW_EEDaSR_SS_EUlSR_E0_NS1_11comp_targetILNS1_3genE2ELNS1_11target_archE906ELNS1_3gpuE6ELNS1_3repE0EEENS1_30default_config_static_selectorELNS0_4arch9wavefront6targetE1EEEvT1_,"axG",@progbits,_ZN7rocprim17ROCPRIM_400000_NS6detail17trampoline_kernelINS0_14default_configENS1_20scan_config_selectorIjEEZZNS1_9scan_implILNS1_25lookback_scan_determinismE0ELb0ELb0ES3_N6thrust23THRUST_200600_302600_NS6detail15normal_iteratorINS9_10device_ptrIjEEEENSB_INSC_IfEEEEjNS9_4plusIvEEjEEDaPvRmT3_T4_T5_mT6_P12ihipStream_tbENKUlT_T0_E_clISt17integral_constantIbLb0EESW_EEDaSR_SS_EUlSR_E0_NS1_11comp_targetILNS1_3genE2ELNS1_11target_archE906ELNS1_3gpuE6ELNS1_3repE0EEENS1_30default_config_static_selectorELNS0_4arch9wavefront6targetE1EEEvT1_,comdat
.Lfunc_end6028:
	.size	_ZN7rocprim17ROCPRIM_400000_NS6detail17trampoline_kernelINS0_14default_configENS1_20scan_config_selectorIjEEZZNS1_9scan_implILNS1_25lookback_scan_determinismE0ELb0ELb0ES3_N6thrust23THRUST_200600_302600_NS6detail15normal_iteratorINS9_10device_ptrIjEEEENSB_INSC_IfEEEEjNS9_4plusIvEEjEEDaPvRmT3_T4_T5_mT6_P12ihipStream_tbENKUlT_T0_E_clISt17integral_constantIbLb0EESW_EEDaSR_SS_EUlSR_E0_NS1_11comp_targetILNS1_3genE2ELNS1_11target_archE906ELNS1_3gpuE6ELNS1_3repE0EEENS1_30default_config_static_selectorELNS0_4arch9wavefront6targetE1EEEvT1_, .Lfunc_end6028-_ZN7rocprim17ROCPRIM_400000_NS6detail17trampoline_kernelINS0_14default_configENS1_20scan_config_selectorIjEEZZNS1_9scan_implILNS1_25lookback_scan_determinismE0ELb0ELb0ES3_N6thrust23THRUST_200600_302600_NS6detail15normal_iteratorINS9_10device_ptrIjEEEENSB_INSC_IfEEEEjNS9_4plusIvEEjEEDaPvRmT3_T4_T5_mT6_P12ihipStream_tbENKUlT_T0_E_clISt17integral_constantIbLb0EESW_EEDaSR_SS_EUlSR_E0_NS1_11comp_targetILNS1_3genE2ELNS1_11target_archE906ELNS1_3gpuE6ELNS1_3repE0EEENS1_30default_config_static_selectorELNS0_4arch9wavefront6targetE1EEEvT1_
                                        ; -- End function
	.section	.AMDGPU.csdata,"",@progbits
; Kernel info:
; codeLenInByte = 0
; NumSgprs: 4
; NumVgprs: 0
; NumAgprs: 0
; TotalNumVgprs: 0
; ScratchSize: 0
; MemoryBound: 0
; FloatMode: 240
; IeeeMode: 1
; LDSByteSize: 0 bytes/workgroup (compile time only)
; SGPRBlocks: 0
; VGPRBlocks: 0
; NumSGPRsForWavesPerEU: 4
; NumVGPRsForWavesPerEU: 1
; AccumOffset: 4
; Occupancy: 8
; WaveLimiterHint : 0
; COMPUTE_PGM_RSRC2:SCRATCH_EN: 0
; COMPUTE_PGM_RSRC2:USER_SGPR: 6
; COMPUTE_PGM_RSRC2:TRAP_HANDLER: 0
; COMPUTE_PGM_RSRC2:TGID_X_EN: 1
; COMPUTE_PGM_RSRC2:TGID_Y_EN: 0
; COMPUTE_PGM_RSRC2:TGID_Z_EN: 0
; COMPUTE_PGM_RSRC2:TIDIG_COMP_CNT: 0
; COMPUTE_PGM_RSRC3_GFX90A:ACCUM_OFFSET: 0
; COMPUTE_PGM_RSRC3_GFX90A:TG_SPLIT: 0
	.section	.text._ZN7rocprim17ROCPRIM_400000_NS6detail17trampoline_kernelINS0_14default_configENS1_20scan_config_selectorIjEEZZNS1_9scan_implILNS1_25lookback_scan_determinismE0ELb0ELb0ES3_N6thrust23THRUST_200600_302600_NS6detail15normal_iteratorINS9_10device_ptrIjEEEENSB_INSC_IfEEEEjNS9_4plusIvEEjEEDaPvRmT3_T4_T5_mT6_P12ihipStream_tbENKUlT_T0_E_clISt17integral_constantIbLb0EESW_EEDaSR_SS_EUlSR_E0_NS1_11comp_targetILNS1_3genE10ELNS1_11target_archE1201ELNS1_3gpuE5ELNS1_3repE0EEENS1_30default_config_static_selectorELNS0_4arch9wavefront6targetE1EEEvT1_,"axG",@progbits,_ZN7rocprim17ROCPRIM_400000_NS6detail17trampoline_kernelINS0_14default_configENS1_20scan_config_selectorIjEEZZNS1_9scan_implILNS1_25lookback_scan_determinismE0ELb0ELb0ES3_N6thrust23THRUST_200600_302600_NS6detail15normal_iteratorINS9_10device_ptrIjEEEENSB_INSC_IfEEEEjNS9_4plusIvEEjEEDaPvRmT3_T4_T5_mT6_P12ihipStream_tbENKUlT_T0_E_clISt17integral_constantIbLb0EESW_EEDaSR_SS_EUlSR_E0_NS1_11comp_targetILNS1_3genE10ELNS1_11target_archE1201ELNS1_3gpuE5ELNS1_3repE0EEENS1_30default_config_static_selectorELNS0_4arch9wavefront6targetE1EEEvT1_,comdat
	.protected	_ZN7rocprim17ROCPRIM_400000_NS6detail17trampoline_kernelINS0_14default_configENS1_20scan_config_selectorIjEEZZNS1_9scan_implILNS1_25lookback_scan_determinismE0ELb0ELb0ES3_N6thrust23THRUST_200600_302600_NS6detail15normal_iteratorINS9_10device_ptrIjEEEENSB_INSC_IfEEEEjNS9_4plusIvEEjEEDaPvRmT3_T4_T5_mT6_P12ihipStream_tbENKUlT_T0_E_clISt17integral_constantIbLb0EESW_EEDaSR_SS_EUlSR_E0_NS1_11comp_targetILNS1_3genE10ELNS1_11target_archE1201ELNS1_3gpuE5ELNS1_3repE0EEENS1_30default_config_static_selectorELNS0_4arch9wavefront6targetE1EEEvT1_ ; -- Begin function _ZN7rocprim17ROCPRIM_400000_NS6detail17trampoline_kernelINS0_14default_configENS1_20scan_config_selectorIjEEZZNS1_9scan_implILNS1_25lookback_scan_determinismE0ELb0ELb0ES3_N6thrust23THRUST_200600_302600_NS6detail15normal_iteratorINS9_10device_ptrIjEEEENSB_INSC_IfEEEEjNS9_4plusIvEEjEEDaPvRmT3_T4_T5_mT6_P12ihipStream_tbENKUlT_T0_E_clISt17integral_constantIbLb0EESW_EEDaSR_SS_EUlSR_E0_NS1_11comp_targetILNS1_3genE10ELNS1_11target_archE1201ELNS1_3gpuE5ELNS1_3repE0EEENS1_30default_config_static_selectorELNS0_4arch9wavefront6targetE1EEEvT1_
	.globl	_ZN7rocprim17ROCPRIM_400000_NS6detail17trampoline_kernelINS0_14default_configENS1_20scan_config_selectorIjEEZZNS1_9scan_implILNS1_25lookback_scan_determinismE0ELb0ELb0ES3_N6thrust23THRUST_200600_302600_NS6detail15normal_iteratorINS9_10device_ptrIjEEEENSB_INSC_IfEEEEjNS9_4plusIvEEjEEDaPvRmT3_T4_T5_mT6_P12ihipStream_tbENKUlT_T0_E_clISt17integral_constantIbLb0EESW_EEDaSR_SS_EUlSR_E0_NS1_11comp_targetILNS1_3genE10ELNS1_11target_archE1201ELNS1_3gpuE5ELNS1_3repE0EEENS1_30default_config_static_selectorELNS0_4arch9wavefront6targetE1EEEvT1_
	.p2align	8
	.type	_ZN7rocprim17ROCPRIM_400000_NS6detail17trampoline_kernelINS0_14default_configENS1_20scan_config_selectorIjEEZZNS1_9scan_implILNS1_25lookback_scan_determinismE0ELb0ELb0ES3_N6thrust23THRUST_200600_302600_NS6detail15normal_iteratorINS9_10device_ptrIjEEEENSB_INSC_IfEEEEjNS9_4plusIvEEjEEDaPvRmT3_T4_T5_mT6_P12ihipStream_tbENKUlT_T0_E_clISt17integral_constantIbLb0EESW_EEDaSR_SS_EUlSR_E0_NS1_11comp_targetILNS1_3genE10ELNS1_11target_archE1201ELNS1_3gpuE5ELNS1_3repE0EEENS1_30default_config_static_selectorELNS0_4arch9wavefront6targetE1EEEvT1_,@function
_ZN7rocprim17ROCPRIM_400000_NS6detail17trampoline_kernelINS0_14default_configENS1_20scan_config_selectorIjEEZZNS1_9scan_implILNS1_25lookback_scan_determinismE0ELb0ELb0ES3_N6thrust23THRUST_200600_302600_NS6detail15normal_iteratorINS9_10device_ptrIjEEEENSB_INSC_IfEEEEjNS9_4plusIvEEjEEDaPvRmT3_T4_T5_mT6_P12ihipStream_tbENKUlT_T0_E_clISt17integral_constantIbLb0EESW_EEDaSR_SS_EUlSR_E0_NS1_11comp_targetILNS1_3genE10ELNS1_11target_archE1201ELNS1_3gpuE5ELNS1_3repE0EEENS1_30default_config_static_selectorELNS0_4arch9wavefront6targetE1EEEvT1_: ; @_ZN7rocprim17ROCPRIM_400000_NS6detail17trampoline_kernelINS0_14default_configENS1_20scan_config_selectorIjEEZZNS1_9scan_implILNS1_25lookback_scan_determinismE0ELb0ELb0ES3_N6thrust23THRUST_200600_302600_NS6detail15normal_iteratorINS9_10device_ptrIjEEEENSB_INSC_IfEEEEjNS9_4plusIvEEjEEDaPvRmT3_T4_T5_mT6_P12ihipStream_tbENKUlT_T0_E_clISt17integral_constantIbLb0EESW_EEDaSR_SS_EUlSR_E0_NS1_11comp_targetILNS1_3genE10ELNS1_11target_archE1201ELNS1_3gpuE5ELNS1_3repE0EEENS1_30default_config_static_selectorELNS0_4arch9wavefront6targetE1EEEvT1_
; %bb.0:
	.section	.rodata,"a",@progbits
	.p2align	6, 0x0
	.amdhsa_kernel _ZN7rocprim17ROCPRIM_400000_NS6detail17trampoline_kernelINS0_14default_configENS1_20scan_config_selectorIjEEZZNS1_9scan_implILNS1_25lookback_scan_determinismE0ELb0ELb0ES3_N6thrust23THRUST_200600_302600_NS6detail15normal_iteratorINS9_10device_ptrIjEEEENSB_INSC_IfEEEEjNS9_4plusIvEEjEEDaPvRmT3_T4_T5_mT6_P12ihipStream_tbENKUlT_T0_E_clISt17integral_constantIbLb0EESW_EEDaSR_SS_EUlSR_E0_NS1_11comp_targetILNS1_3genE10ELNS1_11target_archE1201ELNS1_3gpuE5ELNS1_3repE0EEENS1_30default_config_static_selectorELNS0_4arch9wavefront6targetE1EEEvT1_
		.amdhsa_group_segment_fixed_size 0
		.amdhsa_private_segment_fixed_size 0
		.amdhsa_kernarg_size 32
		.amdhsa_user_sgpr_count 6
		.amdhsa_user_sgpr_private_segment_buffer 1
		.amdhsa_user_sgpr_dispatch_ptr 0
		.amdhsa_user_sgpr_queue_ptr 0
		.amdhsa_user_sgpr_kernarg_segment_ptr 1
		.amdhsa_user_sgpr_dispatch_id 0
		.amdhsa_user_sgpr_flat_scratch_init 0
		.amdhsa_user_sgpr_kernarg_preload_length 0
		.amdhsa_user_sgpr_kernarg_preload_offset 0
		.amdhsa_user_sgpr_private_segment_size 0
		.amdhsa_uses_dynamic_stack 0
		.amdhsa_system_sgpr_private_segment_wavefront_offset 0
		.amdhsa_system_sgpr_workgroup_id_x 1
		.amdhsa_system_sgpr_workgroup_id_y 0
		.amdhsa_system_sgpr_workgroup_id_z 0
		.amdhsa_system_sgpr_workgroup_info 0
		.amdhsa_system_vgpr_workitem_id 0
		.amdhsa_next_free_vgpr 1
		.amdhsa_next_free_sgpr 0
		.amdhsa_accum_offset 4
		.amdhsa_reserve_vcc 0
		.amdhsa_reserve_flat_scratch 0
		.amdhsa_float_round_mode_32 0
		.amdhsa_float_round_mode_16_64 0
		.amdhsa_float_denorm_mode_32 3
		.amdhsa_float_denorm_mode_16_64 3
		.amdhsa_dx10_clamp 1
		.amdhsa_ieee_mode 1
		.amdhsa_fp16_overflow 0
		.amdhsa_tg_split 0
		.amdhsa_exception_fp_ieee_invalid_op 0
		.amdhsa_exception_fp_denorm_src 0
		.amdhsa_exception_fp_ieee_div_zero 0
		.amdhsa_exception_fp_ieee_overflow 0
		.amdhsa_exception_fp_ieee_underflow 0
		.amdhsa_exception_fp_ieee_inexact 0
		.amdhsa_exception_int_div_zero 0
	.end_amdhsa_kernel
	.section	.text._ZN7rocprim17ROCPRIM_400000_NS6detail17trampoline_kernelINS0_14default_configENS1_20scan_config_selectorIjEEZZNS1_9scan_implILNS1_25lookback_scan_determinismE0ELb0ELb0ES3_N6thrust23THRUST_200600_302600_NS6detail15normal_iteratorINS9_10device_ptrIjEEEENSB_INSC_IfEEEEjNS9_4plusIvEEjEEDaPvRmT3_T4_T5_mT6_P12ihipStream_tbENKUlT_T0_E_clISt17integral_constantIbLb0EESW_EEDaSR_SS_EUlSR_E0_NS1_11comp_targetILNS1_3genE10ELNS1_11target_archE1201ELNS1_3gpuE5ELNS1_3repE0EEENS1_30default_config_static_selectorELNS0_4arch9wavefront6targetE1EEEvT1_,"axG",@progbits,_ZN7rocprim17ROCPRIM_400000_NS6detail17trampoline_kernelINS0_14default_configENS1_20scan_config_selectorIjEEZZNS1_9scan_implILNS1_25lookback_scan_determinismE0ELb0ELb0ES3_N6thrust23THRUST_200600_302600_NS6detail15normal_iteratorINS9_10device_ptrIjEEEENSB_INSC_IfEEEEjNS9_4plusIvEEjEEDaPvRmT3_T4_T5_mT6_P12ihipStream_tbENKUlT_T0_E_clISt17integral_constantIbLb0EESW_EEDaSR_SS_EUlSR_E0_NS1_11comp_targetILNS1_3genE10ELNS1_11target_archE1201ELNS1_3gpuE5ELNS1_3repE0EEENS1_30default_config_static_selectorELNS0_4arch9wavefront6targetE1EEEvT1_,comdat
.Lfunc_end6029:
	.size	_ZN7rocprim17ROCPRIM_400000_NS6detail17trampoline_kernelINS0_14default_configENS1_20scan_config_selectorIjEEZZNS1_9scan_implILNS1_25lookback_scan_determinismE0ELb0ELb0ES3_N6thrust23THRUST_200600_302600_NS6detail15normal_iteratorINS9_10device_ptrIjEEEENSB_INSC_IfEEEEjNS9_4plusIvEEjEEDaPvRmT3_T4_T5_mT6_P12ihipStream_tbENKUlT_T0_E_clISt17integral_constantIbLb0EESW_EEDaSR_SS_EUlSR_E0_NS1_11comp_targetILNS1_3genE10ELNS1_11target_archE1201ELNS1_3gpuE5ELNS1_3repE0EEENS1_30default_config_static_selectorELNS0_4arch9wavefront6targetE1EEEvT1_, .Lfunc_end6029-_ZN7rocprim17ROCPRIM_400000_NS6detail17trampoline_kernelINS0_14default_configENS1_20scan_config_selectorIjEEZZNS1_9scan_implILNS1_25lookback_scan_determinismE0ELb0ELb0ES3_N6thrust23THRUST_200600_302600_NS6detail15normal_iteratorINS9_10device_ptrIjEEEENSB_INSC_IfEEEEjNS9_4plusIvEEjEEDaPvRmT3_T4_T5_mT6_P12ihipStream_tbENKUlT_T0_E_clISt17integral_constantIbLb0EESW_EEDaSR_SS_EUlSR_E0_NS1_11comp_targetILNS1_3genE10ELNS1_11target_archE1201ELNS1_3gpuE5ELNS1_3repE0EEENS1_30default_config_static_selectorELNS0_4arch9wavefront6targetE1EEEvT1_
                                        ; -- End function
	.section	.AMDGPU.csdata,"",@progbits
; Kernel info:
; codeLenInByte = 0
; NumSgprs: 4
; NumVgprs: 0
; NumAgprs: 0
; TotalNumVgprs: 0
; ScratchSize: 0
; MemoryBound: 0
; FloatMode: 240
; IeeeMode: 1
; LDSByteSize: 0 bytes/workgroup (compile time only)
; SGPRBlocks: 0
; VGPRBlocks: 0
; NumSGPRsForWavesPerEU: 4
; NumVGPRsForWavesPerEU: 1
; AccumOffset: 4
; Occupancy: 8
; WaveLimiterHint : 0
; COMPUTE_PGM_RSRC2:SCRATCH_EN: 0
; COMPUTE_PGM_RSRC2:USER_SGPR: 6
; COMPUTE_PGM_RSRC2:TRAP_HANDLER: 0
; COMPUTE_PGM_RSRC2:TGID_X_EN: 1
; COMPUTE_PGM_RSRC2:TGID_Y_EN: 0
; COMPUTE_PGM_RSRC2:TGID_Z_EN: 0
; COMPUTE_PGM_RSRC2:TIDIG_COMP_CNT: 0
; COMPUTE_PGM_RSRC3_GFX90A:ACCUM_OFFSET: 0
; COMPUTE_PGM_RSRC3_GFX90A:TG_SPLIT: 0
	.section	.text._ZN7rocprim17ROCPRIM_400000_NS6detail17trampoline_kernelINS0_14default_configENS1_20scan_config_selectorIjEEZZNS1_9scan_implILNS1_25lookback_scan_determinismE0ELb0ELb0ES3_N6thrust23THRUST_200600_302600_NS6detail15normal_iteratorINS9_10device_ptrIjEEEENSB_INSC_IfEEEEjNS9_4plusIvEEjEEDaPvRmT3_T4_T5_mT6_P12ihipStream_tbENKUlT_T0_E_clISt17integral_constantIbLb0EESW_EEDaSR_SS_EUlSR_E0_NS1_11comp_targetILNS1_3genE10ELNS1_11target_archE1200ELNS1_3gpuE4ELNS1_3repE0EEENS1_30default_config_static_selectorELNS0_4arch9wavefront6targetE1EEEvT1_,"axG",@progbits,_ZN7rocprim17ROCPRIM_400000_NS6detail17trampoline_kernelINS0_14default_configENS1_20scan_config_selectorIjEEZZNS1_9scan_implILNS1_25lookback_scan_determinismE0ELb0ELb0ES3_N6thrust23THRUST_200600_302600_NS6detail15normal_iteratorINS9_10device_ptrIjEEEENSB_INSC_IfEEEEjNS9_4plusIvEEjEEDaPvRmT3_T4_T5_mT6_P12ihipStream_tbENKUlT_T0_E_clISt17integral_constantIbLb0EESW_EEDaSR_SS_EUlSR_E0_NS1_11comp_targetILNS1_3genE10ELNS1_11target_archE1200ELNS1_3gpuE4ELNS1_3repE0EEENS1_30default_config_static_selectorELNS0_4arch9wavefront6targetE1EEEvT1_,comdat
	.protected	_ZN7rocprim17ROCPRIM_400000_NS6detail17trampoline_kernelINS0_14default_configENS1_20scan_config_selectorIjEEZZNS1_9scan_implILNS1_25lookback_scan_determinismE0ELb0ELb0ES3_N6thrust23THRUST_200600_302600_NS6detail15normal_iteratorINS9_10device_ptrIjEEEENSB_INSC_IfEEEEjNS9_4plusIvEEjEEDaPvRmT3_T4_T5_mT6_P12ihipStream_tbENKUlT_T0_E_clISt17integral_constantIbLb0EESW_EEDaSR_SS_EUlSR_E0_NS1_11comp_targetILNS1_3genE10ELNS1_11target_archE1200ELNS1_3gpuE4ELNS1_3repE0EEENS1_30default_config_static_selectorELNS0_4arch9wavefront6targetE1EEEvT1_ ; -- Begin function _ZN7rocprim17ROCPRIM_400000_NS6detail17trampoline_kernelINS0_14default_configENS1_20scan_config_selectorIjEEZZNS1_9scan_implILNS1_25lookback_scan_determinismE0ELb0ELb0ES3_N6thrust23THRUST_200600_302600_NS6detail15normal_iteratorINS9_10device_ptrIjEEEENSB_INSC_IfEEEEjNS9_4plusIvEEjEEDaPvRmT3_T4_T5_mT6_P12ihipStream_tbENKUlT_T0_E_clISt17integral_constantIbLb0EESW_EEDaSR_SS_EUlSR_E0_NS1_11comp_targetILNS1_3genE10ELNS1_11target_archE1200ELNS1_3gpuE4ELNS1_3repE0EEENS1_30default_config_static_selectorELNS0_4arch9wavefront6targetE1EEEvT1_
	.globl	_ZN7rocprim17ROCPRIM_400000_NS6detail17trampoline_kernelINS0_14default_configENS1_20scan_config_selectorIjEEZZNS1_9scan_implILNS1_25lookback_scan_determinismE0ELb0ELb0ES3_N6thrust23THRUST_200600_302600_NS6detail15normal_iteratorINS9_10device_ptrIjEEEENSB_INSC_IfEEEEjNS9_4plusIvEEjEEDaPvRmT3_T4_T5_mT6_P12ihipStream_tbENKUlT_T0_E_clISt17integral_constantIbLb0EESW_EEDaSR_SS_EUlSR_E0_NS1_11comp_targetILNS1_3genE10ELNS1_11target_archE1200ELNS1_3gpuE4ELNS1_3repE0EEENS1_30default_config_static_selectorELNS0_4arch9wavefront6targetE1EEEvT1_
	.p2align	8
	.type	_ZN7rocprim17ROCPRIM_400000_NS6detail17trampoline_kernelINS0_14default_configENS1_20scan_config_selectorIjEEZZNS1_9scan_implILNS1_25lookback_scan_determinismE0ELb0ELb0ES3_N6thrust23THRUST_200600_302600_NS6detail15normal_iteratorINS9_10device_ptrIjEEEENSB_INSC_IfEEEEjNS9_4plusIvEEjEEDaPvRmT3_T4_T5_mT6_P12ihipStream_tbENKUlT_T0_E_clISt17integral_constantIbLb0EESW_EEDaSR_SS_EUlSR_E0_NS1_11comp_targetILNS1_3genE10ELNS1_11target_archE1200ELNS1_3gpuE4ELNS1_3repE0EEENS1_30default_config_static_selectorELNS0_4arch9wavefront6targetE1EEEvT1_,@function
_ZN7rocprim17ROCPRIM_400000_NS6detail17trampoline_kernelINS0_14default_configENS1_20scan_config_selectorIjEEZZNS1_9scan_implILNS1_25lookback_scan_determinismE0ELb0ELb0ES3_N6thrust23THRUST_200600_302600_NS6detail15normal_iteratorINS9_10device_ptrIjEEEENSB_INSC_IfEEEEjNS9_4plusIvEEjEEDaPvRmT3_T4_T5_mT6_P12ihipStream_tbENKUlT_T0_E_clISt17integral_constantIbLb0EESW_EEDaSR_SS_EUlSR_E0_NS1_11comp_targetILNS1_3genE10ELNS1_11target_archE1200ELNS1_3gpuE4ELNS1_3repE0EEENS1_30default_config_static_selectorELNS0_4arch9wavefront6targetE1EEEvT1_: ; @_ZN7rocprim17ROCPRIM_400000_NS6detail17trampoline_kernelINS0_14default_configENS1_20scan_config_selectorIjEEZZNS1_9scan_implILNS1_25lookback_scan_determinismE0ELb0ELb0ES3_N6thrust23THRUST_200600_302600_NS6detail15normal_iteratorINS9_10device_ptrIjEEEENSB_INSC_IfEEEEjNS9_4plusIvEEjEEDaPvRmT3_T4_T5_mT6_P12ihipStream_tbENKUlT_T0_E_clISt17integral_constantIbLb0EESW_EEDaSR_SS_EUlSR_E0_NS1_11comp_targetILNS1_3genE10ELNS1_11target_archE1200ELNS1_3gpuE4ELNS1_3repE0EEENS1_30default_config_static_selectorELNS0_4arch9wavefront6targetE1EEEvT1_
; %bb.0:
	.section	.rodata,"a",@progbits
	.p2align	6, 0x0
	.amdhsa_kernel _ZN7rocprim17ROCPRIM_400000_NS6detail17trampoline_kernelINS0_14default_configENS1_20scan_config_selectorIjEEZZNS1_9scan_implILNS1_25lookback_scan_determinismE0ELb0ELb0ES3_N6thrust23THRUST_200600_302600_NS6detail15normal_iteratorINS9_10device_ptrIjEEEENSB_INSC_IfEEEEjNS9_4plusIvEEjEEDaPvRmT3_T4_T5_mT6_P12ihipStream_tbENKUlT_T0_E_clISt17integral_constantIbLb0EESW_EEDaSR_SS_EUlSR_E0_NS1_11comp_targetILNS1_3genE10ELNS1_11target_archE1200ELNS1_3gpuE4ELNS1_3repE0EEENS1_30default_config_static_selectorELNS0_4arch9wavefront6targetE1EEEvT1_
		.amdhsa_group_segment_fixed_size 0
		.amdhsa_private_segment_fixed_size 0
		.amdhsa_kernarg_size 32
		.amdhsa_user_sgpr_count 6
		.amdhsa_user_sgpr_private_segment_buffer 1
		.amdhsa_user_sgpr_dispatch_ptr 0
		.amdhsa_user_sgpr_queue_ptr 0
		.amdhsa_user_sgpr_kernarg_segment_ptr 1
		.amdhsa_user_sgpr_dispatch_id 0
		.amdhsa_user_sgpr_flat_scratch_init 0
		.amdhsa_user_sgpr_kernarg_preload_length 0
		.amdhsa_user_sgpr_kernarg_preload_offset 0
		.amdhsa_user_sgpr_private_segment_size 0
		.amdhsa_uses_dynamic_stack 0
		.amdhsa_system_sgpr_private_segment_wavefront_offset 0
		.amdhsa_system_sgpr_workgroup_id_x 1
		.amdhsa_system_sgpr_workgroup_id_y 0
		.amdhsa_system_sgpr_workgroup_id_z 0
		.amdhsa_system_sgpr_workgroup_info 0
		.amdhsa_system_vgpr_workitem_id 0
		.amdhsa_next_free_vgpr 1
		.amdhsa_next_free_sgpr 0
		.amdhsa_accum_offset 4
		.amdhsa_reserve_vcc 0
		.amdhsa_reserve_flat_scratch 0
		.amdhsa_float_round_mode_32 0
		.amdhsa_float_round_mode_16_64 0
		.amdhsa_float_denorm_mode_32 3
		.amdhsa_float_denorm_mode_16_64 3
		.amdhsa_dx10_clamp 1
		.amdhsa_ieee_mode 1
		.amdhsa_fp16_overflow 0
		.amdhsa_tg_split 0
		.amdhsa_exception_fp_ieee_invalid_op 0
		.amdhsa_exception_fp_denorm_src 0
		.amdhsa_exception_fp_ieee_div_zero 0
		.amdhsa_exception_fp_ieee_overflow 0
		.amdhsa_exception_fp_ieee_underflow 0
		.amdhsa_exception_fp_ieee_inexact 0
		.amdhsa_exception_int_div_zero 0
	.end_amdhsa_kernel
	.section	.text._ZN7rocprim17ROCPRIM_400000_NS6detail17trampoline_kernelINS0_14default_configENS1_20scan_config_selectorIjEEZZNS1_9scan_implILNS1_25lookback_scan_determinismE0ELb0ELb0ES3_N6thrust23THRUST_200600_302600_NS6detail15normal_iteratorINS9_10device_ptrIjEEEENSB_INSC_IfEEEEjNS9_4plusIvEEjEEDaPvRmT3_T4_T5_mT6_P12ihipStream_tbENKUlT_T0_E_clISt17integral_constantIbLb0EESW_EEDaSR_SS_EUlSR_E0_NS1_11comp_targetILNS1_3genE10ELNS1_11target_archE1200ELNS1_3gpuE4ELNS1_3repE0EEENS1_30default_config_static_selectorELNS0_4arch9wavefront6targetE1EEEvT1_,"axG",@progbits,_ZN7rocprim17ROCPRIM_400000_NS6detail17trampoline_kernelINS0_14default_configENS1_20scan_config_selectorIjEEZZNS1_9scan_implILNS1_25lookback_scan_determinismE0ELb0ELb0ES3_N6thrust23THRUST_200600_302600_NS6detail15normal_iteratorINS9_10device_ptrIjEEEENSB_INSC_IfEEEEjNS9_4plusIvEEjEEDaPvRmT3_T4_T5_mT6_P12ihipStream_tbENKUlT_T0_E_clISt17integral_constantIbLb0EESW_EEDaSR_SS_EUlSR_E0_NS1_11comp_targetILNS1_3genE10ELNS1_11target_archE1200ELNS1_3gpuE4ELNS1_3repE0EEENS1_30default_config_static_selectorELNS0_4arch9wavefront6targetE1EEEvT1_,comdat
.Lfunc_end6030:
	.size	_ZN7rocprim17ROCPRIM_400000_NS6detail17trampoline_kernelINS0_14default_configENS1_20scan_config_selectorIjEEZZNS1_9scan_implILNS1_25lookback_scan_determinismE0ELb0ELb0ES3_N6thrust23THRUST_200600_302600_NS6detail15normal_iteratorINS9_10device_ptrIjEEEENSB_INSC_IfEEEEjNS9_4plusIvEEjEEDaPvRmT3_T4_T5_mT6_P12ihipStream_tbENKUlT_T0_E_clISt17integral_constantIbLb0EESW_EEDaSR_SS_EUlSR_E0_NS1_11comp_targetILNS1_3genE10ELNS1_11target_archE1200ELNS1_3gpuE4ELNS1_3repE0EEENS1_30default_config_static_selectorELNS0_4arch9wavefront6targetE1EEEvT1_, .Lfunc_end6030-_ZN7rocprim17ROCPRIM_400000_NS6detail17trampoline_kernelINS0_14default_configENS1_20scan_config_selectorIjEEZZNS1_9scan_implILNS1_25lookback_scan_determinismE0ELb0ELb0ES3_N6thrust23THRUST_200600_302600_NS6detail15normal_iteratorINS9_10device_ptrIjEEEENSB_INSC_IfEEEEjNS9_4plusIvEEjEEDaPvRmT3_T4_T5_mT6_P12ihipStream_tbENKUlT_T0_E_clISt17integral_constantIbLb0EESW_EEDaSR_SS_EUlSR_E0_NS1_11comp_targetILNS1_3genE10ELNS1_11target_archE1200ELNS1_3gpuE4ELNS1_3repE0EEENS1_30default_config_static_selectorELNS0_4arch9wavefront6targetE1EEEvT1_
                                        ; -- End function
	.section	.AMDGPU.csdata,"",@progbits
; Kernel info:
; codeLenInByte = 0
; NumSgprs: 4
; NumVgprs: 0
; NumAgprs: 0
; TotalNumVgprs: 0
; ScratchSize: 0
; MemoryBound: 0
; FloatMode: 240
; IeeeMode: 1
; LDSByteSize: 0 bytes/workgroup (compile time only)
; SGPRBlocks: 0
; VGPRBlocks: 0
; NumSGPRsForWavesPerEU: 4
; NumVGPRsForWavesPerEU: 1
; AccumOffset: 4
; Occupancy: 8
; WaveLimiterHint : 0
; COMPUTE_PGM_RSRC2:SCRATCH_EN: 0
; COMPUTE_PGM_RSRC2:USER_SGPR: 6
; COMPUTE_PGM_RSRC2:TRAP_HANDLER: 0
; COMPUTE_PGM_RSRC2:TGID_X_EN: 1
; COMPUTE_PGM_RSRC2:TGID_Y_EN: 0
; COMPUTE_PGM_RSRC2:TGID_Z_EN: 0
; COMPUTE_PGM_RSRC2:TIDIG_COMP_CNT: 0
; COMPUTE_PGM_RSRC3_GFX90A:ACCUM_OFFSET: 0
; COMPUTE_PGM_RSRC3_GFX90A:TG_SPLIT: 0
	.section	.text._ZN7rocprim17ROCPRIM_400000_NS6detail17trampoline_kernelINS0_14default_configENS1_20scan_config_selectorIjEEZZNS1_9scan_implILNS1_25lookback_scan_determinismE0ELb0ELb0ES3_N6thrust23THRUST_200600_302600_NS6detail15normal_iteratorINS9_10device_ptrIjEEEENSB_INSC_IfEEEEjNS9_4plusIvEEjEEDaPvRmT3_T4_T5_mT6_P12ihipStream_tbENKUlT_T0_E_clISt17integral_constantIbLb0EESW_EEDaSR_SS_EUlSR_E0_NS1_11comp_targetILNS1_3genE9ELNS1_11target_archE1100ELNS1_3gpuE3ELNS1_3repE0EEENS1_30default_config_static_selectorELNS0_4arch9wavefront6targetE1EEEvT1_,"axG",@progbits,_ZN7rocprim17ROCPRIM_400000_NS6detail17trampoline_kernelINS0_14default_configENS1_20scan_config_selectorIjEEZZNS1_9scan_implILNS1_25lookback_scan_determinismE0ELb0ELb0ES3_N6thrust23THRUST_200600_302600_NS6detail15normal_iteratorINS9_10device_ptrIjEEEENSB_INSC_IfEEEEjNS9_4plusIvEEjEEDaPvRmT3_T4_T5_mT6_P12ihipStream_tbENKUlT_T0_E_clISt17integral_constantIbLb0EESW_EEDaSR_SS_EUlSR_E0_NS1_11comp_targetILNS1_3genE9ELNS1_11target_archE1100ELNS1_3gpuE3ELNS1_3repE0EEENS1_30default_config_static_selectorELNS0_4arch9wavefront6targetE1EEEvT1_,comdat
	.protected	_ZN7rocprim17ROCPRIM_400000_NS6detail17trampoline_kernelINS0_14default_configENS1_20scan_config_selectorIjEEZZNS1_9scan_implILNS1_25lookback_scan_determinismE0ELb0ELb0ES3_N6thrust23THRUST_200600_302600_NS6detail15normal_iteratorINS9_10device_ptrIjEEEENSB_INSC_IfEEEEjNS9_4plusIvEEjEEDaPvRmT3_T4_T5_mT6_P12ihipStream_tbENKUlT_T0_E_clISt17integral_constantIbLb0EESW_EEDaSR_SS_EUlSR_E0_NS1_11comp_targetILNS1_3genE9ELNS1_11target_archE1100ELNS1_3gpuE3ELNS1_3repE0EEENS1_30default_config_static_selectorELNS0_4arch9wavefront6targetE1EEEvT1_ ; -- Begin function _ZN7rocprim17ROCPRIM_400000_NS6detail17trampoline_kernelINS0_14default_configENS1_20scan_config_selectorIjEEZZNS1_9scan_implILNS1_25lookback_scan_determinismE0ELb0ELb0ES3_N6thrust23THRUST_200600_302600_NS6detail15normal_iteratorINS9_10device_ptrIjEEEENSB_INSC_IfEEEEjNS9_4plusIvEEjEEDaPvRmT3_T4_T5_mT6_P12ihipStream_tbENKUlT_T0_E_clISt17integral_constantIbLb0EESW_EEDaSR_SS_EUlSR_E0_NS1_11comp_targetILNS1_3genE9ELNS1_11target_archE1100ELNS1_3gpuE3ELNS1_3repE0EEENS1_30default_config_static_selectorELNS0_4arch9wavefront6targetE1EEEvT1_
	.globl	_ZN7rocprim17ROCPRIM_400000_NS6detail17trampoline_kernelINS0_14default_configENS1_20scan_config_selectorIjEEZZNS1_9scan_implILNS1_25lookback_scan_determinismE0ELb0ELb0ES3_N6thrust23THRUST_200600_302600_NS6detail15normal_iteratorINS9_10device_ptrIjEEEENSB_INSC_IfEEEEjNS9_4plusIvEEjEEDaPvRmT3_T4_T5_mT6_P12ihipStream_tbENKUlT_T0_E_clISt17integral_constantIbLb0EESW_EEDaSR_SS_EUlSR_E0_NS1_11comp_targetILNS1_3genE9ELNS1_11target_archE1100ELNS1_3gpuE3ELNS1_3repE0EEENS1_30default_config_static_selectorELNS0_4arch9wavefront6targetE1EEEvT1_
	.p2align	8
	.type	_ZN7rocprim17ROCPRIM_400000_NS6detail17trampoline_kernelINS0_14default_configENS1_20scan_config_selectorIjEEZZNS1_9scan_implILNS1_25lookback_scan_determinismE0ELb0ELb0ES3_N6thrust23THRUST_200600_302600_NS6detail15normal_iteratorINS9_10device_ptrIjEEEENSB_INSC_IfEEEEjNS9_4plusIvEEjEEDaPvRmT3_T4_T5_mT6_P12ihipStream_tbENKUlT_T0_E_clISt17integral_constantIbLb0EESW_EEDaSR_SS_EUlSR_E0_NS1_11comp_targetILNS1_3genE9ELNS1_11target_archE1100ELNS1_3gpuE3ELNS1_3repE0EEENS1_30default_config_static_selectorELNS0_4arch9wavefront6targetE1EEEvT1_,@function
_ZN7rocprim17ROCPRIM_400000_NS6detail17trampoline_kernelINS0_14default_configENS1_20scan_config_selectorIjEEZZNS1_9scan_implILNS1_25lookback_scan_determinismE0ELb0ELb0ES3_N6thrust23THRUST_200600_302600_NS6detail15normal_iteratorINS9_10device_ptrIjEEEENSB_INSC_IfEEEEjNS9_4plusIvEEjEEDaPvRmT3_T4_T5_mT6_P12ihipStream_tbENKUlT_T0_E_clISt17integral_constantIbLb0EESW_EEDaSR_SS_EUlSR_E0_NS1_11comp_targetILNS1_3genE9ELNS1_11target_archE1100ELNS1_3gpuE3ELNS1_3repE0EEENS1_30default_config_static_selectorELNS0_4arch9wavefront6targetE1EEEvT1_: ; @_ZN7rocprim17ROCPRIM_400000_NS6detail17trampoline_kernelINS0_14default_configENS1_20scan_config_selectorIjEEZZNS1_9scan_implILNS1_25lookback_scan_determinismE0ELb0ELb0ES3_N6thrust23THRUST_200600_302600_NS6detail15normal_iteratorINS9_10device_ptrIjEEEENSB_INSC_IfEEEEjNS9_4plusIvEEjEEDaPvRmT3_T4_T5_mT6_P12ihipStream_tbENKUlT_T0_E_clISt17integral_constantIbLb0EESW_EEDaSR_SS_EUlSR_E0_NS1_11comp_targetILNS1_3genE9ELNS1_11target_archE1100ELNS1_3gpuE3ELNS1_3repE0EEENS1_30default_config_static_selectorELNS0_4arch9wavefront6targetE1EEEvT1_
; %bb.0:
	.section	.rodata,"a",@progbits
	.p2align	6, 0x0
	.amdhsa_kernel _ZN7rocprim17ROCPRIM_400000_NS6detail17trampoline_kernelINS0_14default_configENS1_20scan_config_selectorIjEEZZNS1_9scan_implILNS1_25lookback_scan_determinismE0ELb0ELb0ES3_N6thrust23THRUST_200600_302600_NS6detail15normal_iteratorINS9_10device_ptrIjEEEENSB_INSC_IfEEEEjNS9_4plusIvEEjEEDaPvRmT3_T4_T5_mT6_P12ihipStream_tbENKUlT_T0_E_clISt17integral_constantIbLb0EESW_EEDaSR_SS_EUlSR_E0_NS1_11comp_targetILNS1_3genE9ELNS1_11target_archE1100ELNS1_3gpuE3ELNS1_3repE0EEENS1_30default_config_static_selectorELNS0_4arch9wavefront6targetE1EEEvT1_
		.amdhsa_group_segment_fixed_size 0
		.amdhsa_private_segment_fixed_size 0
		.amdhsa_kernarg_size 32
		.amdhsa_user_sgpr_count 6
		.amdhsa_user_sgpr_private_segment_buffer 1
		.amdhsa_user_sgpr_dispatch_ptr 0
		.amdhsa_user_sgpr_queue_ptr 0
		.amdhsa_user_sgpr_kernarg_segment_ptr 1
		.amdhsa_user_sgpr_dispatch_id 0
		.amdhsa_user_sgpr_flat_scratch_init 0
		.amdhsa_user_sgpr_kernarg_preload_length 0
		.amdhsa_user_sgpr_kernarg_preload_offset 0
		.amdhsa_user_sgpr_private_segment_size 0
		.amdhsa_uses_dynamic_stack 0
		.amdhsa_system_sgpr_private_segment_wavefront_offset 0
		.amdhsa_system_sgpr_workgroup_id_x 1
		.amdhsa_system_sgpr_workgroup_id_y 0
		.amdhsa_system_sgpr_workgroup_id_z 0
		.amdhsa_system_sgpr_workgroup_info 0
		.amdhsa_system_vgpr_workitem_id 0
		.amdhsa_next_free_vgpr 1
		.amdhsa_next_free_sgpr 0
		.amdhsa_accum_offset 4
		.amdhsa_reserve_vcc 0
		.amdhsa_reserve_flat_scratch 0
		.amdhsa_float_round_mode_32 0
		.amdhsa_float_round_mode_16_64 0
		.amdhsa_float_denorm_mode_32 3
		.amdhsa_float_denorm_mode_16_64 3
		.amdhsa_dx10_clamp 1
		.amdhsa_ieee_mode 1
		.amdhsa_fp16_overflow 0
		.amdhsa_tg_split 0
		.amdhsa_exception_fp_ieee_invalid_op 0
		.amdhsa_exception_fp_denorm_src 0
		.amdhsa_exception_fp_ieee_div_zero 0
		.amdhsa_exception_fp_ieee_overflow 0
		.amdhsa_exception_fp_ieee_underflow 0
		.amdhsa_exception_fp_ieee_inexact 0
		.amdhsa_exception_int_div_zero 0
	.end_amdhsa_kernel
	.section	.text._ZN7rocprim17ROCPRIM_400000_NS6detail17trampoline_kernelINS0_14default_configENS1_20scan_config_selectorIjEEZZNS1_9scan_implILNS1_25lookback_scan_determinismE0ELb0ELb0ES3_N6thrust23THRUST_200600_302600_NS6detail15normal_iteratorINS9_10device_ptrIjEEEENSB_INSC_IfEEEEjNS9_4plusIvEEjEEDaPvRmT3_T4_T5_mT6_P12ihipStream_tbENKUlT_T0_E_clISt17integral_constantIbLb0EESW_EEDaSR_SS_EUlSR_E0_NS1_11comp_targetILNS1_3genE9ELNS1_11target_archE1100ELNS1_3gpuE3ELNS1_3repE0EEENS1_30default_config_static_selectorELNS0_4arch9wavefront6targetE1EEEvT1_,"axG",@progbits,_ZN7rocprim17ROCPRIM_400000_NS6detail17trampoline_kernelINS0_14default_configENS1_20scan_config_selectorIjEEZZNS1_9scan_implILNS1_25lookback_scan_determinismE0ELb0ELb0ES3_N6thrust23THRUST_200600_302600_NS6detail15normal_iteratorINS9_10device_ptrIjEEEENSB_INSC_IfEEEEjNS9_4plusIvEEjEEDaPvRmT3_T4_T5_mT6_P12ihipStream_tbENKUlT_T0_E_clISt17integral_constantIbLb0EESW_EEDaSR_SS_EUlSR_E0_NS1_11comp_targetILNS1_3genE9ELNS1_11target_archE1100ELNS1_3gpuE3ELNS1_3repE0EEENS1_30default_config_static_selectorELNS0_4arch9wavefront6targetE1EEEvT1_,comdat
.Lfunc_end6031:
	.size	_ZN7rocprim17ROCPRIM_400000_NS6detail17trampoline_kernelINS0_14default_configENS1_20scan_config_selectorIjEEZZNS1_9scan_implILNS1_25lookback_scan_determinismE0ELb0ELb0ES3_N6thrust23THRUST_200600_302600_NS6detail15normal_iteratorINS9_10device_ptrIjEEEENSB_INSC_IfEEEEjNS9_4plusIvEEjEEDaPvRmT3_T4_T5_mT6_P12ihipStream_tbENKUlT_T0_E_clISt17integral_constantIbLb0EESW_EEDaSR_SS_EUlSR_E0_NS1_11comp_targetILNS1_3genE9ELNS1_11target_archE1100ELNS1_3gpuE3ELNS1_3repE0EEENS1_30default_config_static_selectorELNS0_4arch9wavefront6targetE1EEEvT1_, .Lfunc_end6031-_ZN7rocprim17ROCPRIM_400000_NS6detail17trampoline_kernelINS0_14default_configENS1_20scan_config_selectorIjEEZZNS1_9scan_implILNS1_25lookback_scan_determinismE0ELb0ELb0ES3_N6thrust23THRUST_200600_302600_NS6detail15normal_iteratorINS9_10device_ptrIjEEEENSB_INSC_IfEEEEjNS9_4plusIvEEjEEDaPvRmT3_T4_T5_mT6_P12ihipStream_tbENKUlT_T0_E_clISt17integral_constantIbLb0EESW_EEDaSR_SS_EUlSR_E0_NS1_11comp_targetILNS1_3genE9ELNS1_11target_archE1100ELNS1_3gpuE3ELNS1_3repE0EEENS1_30default_config_static_selectorELNS0_4arch9wavefront6targetE1EEEvT1_
                                        ; -- End function
	.section	.AMDGPU.csdata,"",@progbits
; Kernel info:
; codeLenInByte = 0
; NumSgprs: 4
; NumVgprs: 0
; NumAgprs: 0
; TotalNumVgprs: 0
; ScratchSize: 0
; MemoryBound: 0
; FloatMode: 240
; IeeeMode: 1
; LDSByteSize: 0 bytes/workgroup (compile time only)
; SGPRBlocks: 0
; VGPRBlocks: 0
; NumSGPRsForWavesPerEU: 4
; NumVGPRsForWavesPerEU: 1
; AccumOffset: 4
; Occupancy: 8
; WaveLimiterHint : 0
; COMPUTE_PGM_RSRC2:SCRATCH_EN: 0
; COMPUTE_PGM_RSRC2:USER_SGPR: 6
; COMPUTE_PGM_RSRC2:TRAP_HANDLER: 0
; COMPUTE_PGM_RSRC2:TGID_X_EN: 1
; COMPUTE_PGM_RSRC2:TGID_Y_EN: 0
; COMPUTE_PGM_RSRC2:TGID_Z_EN: 0
; COMPUTE_PGM_RSRC2:TIDIG_COMP_CNT: 0
; COMPUTE_PGM_RSRC3_GFX90A:ACCUM_OFFSET: 0
; COMPUTE_PGM_RSRC3_GFX90A:TG_SPLIT: 0
	.section	.text._ZN7rocprim17ROCPRIM_400000_NS6detail17trampoline_kernelINS0_14default_configENS1_20scan_config_selectorIjEEZZNS1_9scan_implILNS1_25lookback_scan_determinismE0ELb0ELb0ES3_N6thrust23THRUST_200600_302600_NS6detail15normal_iteratorINS9_10device_ptrIjEEEENSB_INSC_IfEEEEjNS9_4plusIvEEjEEDaPvRmT3_T4_T5_mT6_P12ihipStream_tbENKUlT_T0_E_clISt17integral_constantIbLb0EESW_EEDaSR_SS_EUlSR_E0_NS1_11comp_targetILNS1_3genE8ELNS1_11target_archE1030ELNS1_3gpuE2ELNS1_3repE0EEENS1_30default_config_static_selectorELNS0_4arch9wavefront6targetE1EEEvT1_,"axG",@progbits,_ZN7rocprim17ROCPRIM_400000_NS6detail17trampoline_kernelINS0_14default_configENS1_20scan_config_selectorIjEEZZNS1_9scan_implILNS1_25lookback_scan_determinismE0ELb0ELb0ES3_N6thrust23THRUST_200600_302600_NS6detail15normal_iteratorINS9_10device_ptrIjEEEENSB_INSC_IfEEEEjNS9_4plusIvEEjEEDaPvRmT3_T4_T5_mT6_P12ihipStream_tbENKUlT_T0_E_clISt17integral_constantIbLb0EESW_EEDaSR_SS_EUlSR_E0_NS1_11comp_targetILNS1_3genE8ELNS1_11target_archE1030ELNS1_3gpuE2ELNS1_3repE0EEENS1_30default_config_static_selectorELNS0_4arch9wavefront6targetE1EEEvT1_,comdat
	.protected	_ZN7rocprim17ROCPRIM_400000_NS6detail17trampoline_kernelINS0_14default_configENS1_20scan_config_selectorIjEEZZNS1_9scan_implILNS1_25lookback_scan_determinismE0ELb0ELb0ES3_N6thrust23THRUST_200600_302600_NS6detail15normal_iteratorINS9_10device_ptrIjEEEENSB_INSC_IfEEEEjNS9_4plusIvEEjEEDaPvRmT3_T4_T5_mT6_P12ihipStream_tbENKUlT_T0_E_clISt17integral_constantIbLb0EESW_EEDaSR_SS_EUlSR_E0_NS1_11comp_targetILNS1_3genE8ELNS1_11target_archE1030ELNS1_3gpuE2ELNS1_3repE0EEENS1_30default_config_static_selectorELNS0_4arch9wavefront6targetE1EEEvT1_ ; -- Begin function _ZN7rocprim17ROCPRIM_400000_NS6detail17trampoline_kernelINS0_14default_configENS1_20scan_config_selectorIjEEZZNS1_9scan_implILNS1_25lookback_scan_determinismE0ELb0ELb0ES3_N6thrust23THRUST_200600_302600_NS6detail15normal_iteratorINS9_10device_ptrIjEEEENSB_INSC_IfEEEEjNS9_4plusIvEEjEEDaPvRmT3_T4_T5_mT6_P12ihipStream_tbENKUlT_T0_E_clISt17integral_constantIbLb0EESW_EEDaSR_SS_EUlSR_E0_NS1_11comp_targetILNS1_3genE8ELNS1_11target_archE1030ELNS1_3gpuE2ELNS1_3repE0EEENS1_30default_config_static_selectorELNS0_4arch9wavefront6targetE1EEEvT1_
	.globl	_ZN7rocprim17ROCPRIM_400000_NS6detail17trampoline_kernelINS0_14default_configENS1_20scan_config_selectorIjEEZZNS1_9scan_implILNS1_25lookback_scan_determinismE0ELb0ELb0ES3_N6thrust23THRUST_200600_302600_NS6detail15normal_iteratorINS9_10device_ptrIjEEEENSB_INSC_IfEEEEjNS9_4plusIvEEjEEDaPvRmT3_T4_T5_mT6_P12ihipStream_tbENKUlT_T0_E_clISt17integral_constantIbLb0EESW_EEDaSR_SS_EUlSR_E0_NS1_11comp_targetILNS1_3genE8ELNS1_11target_archE1030ELNS1_3gpuE2ELNS1_3repE0EEENS1_30default_config_static_selectorELNS0_4arch9wavefront6targetE1EEEvT1_
	.p2align	8
	.type	_ZN7rocprim17ROCPRIM_400000_NS6detail17trampoline_kernelINS0_14default_configENS1_20scan_config_selectorIjEEZZNS1_9scan_implILNS1_25lookback_scan_determinismE0ELb0ELb0ES3_N6thrust23THRUST_200600_302600_NS6detail15normal_iteratorINS9_10device_ptrIjEEEENSB_INSC_IfEEEEjNS9_4plusIvEEjEEDaPvRmT3_T4_T5_mT6_P12ihipStream_tbENKUlT_T0_E_clISt17integral_constantIbLb0EESW_EEDaSR_SS_EUlSR_E0_NS1_11comp_targetILNS1_3genE8ELNS1_11target_archE1030ELNS1_3gpuE2ELNS1_3repE0EEENS1_30default_config_static_selectorELNS0_4arch9wavefront6targetE1EEEvT1_,@function
_ZN7rocprim17ROCPRIM_400000_NS6detail17trampoline_kernelINS0_14default_configENS1_20scan_config_selectorIjEEZZNS1_9scan_implILNS1_25lookback_scan_determinismE0ELb0ELb0ES3_N6thrust23THRUST_200600_302600_NS6detail15normal_iteratorINS9_10device_ptrIjEEEENSB_INSC_IfEEEEjNS9_4plusIvEEjEEDaPvRmT3_T4_T5_mT6_P12ihipStream_tbENKUlT_T0_E_clISt17integral_constantIbLb0EESW_EEDaSR_SS_EUlSR_E0_NS1_11comp_targetILNS1_3genE8ELNS1_11target_archE1030ELNS1_3gpuE2ELNS1_3repE0EEENS1_30default_config_static_selectorELNS0_4arch9wavefront6targetE1EEEvT1_: ; @_ZN7rocprim17ROCPRIM_400000_NS6detail17trampoline_kernelINS0_14default_configENS1_20scan_config_selectorIjEEZZNS1_9scan_implILNS1_25lookback_scan_determinismE0ELb0ELb0ES3_N6thrust23THRUST_200600_302600_NS6detail15normal_iteratorINS9_10device_ptrIjEEEENSB_INSC_IfEEEEjNS9_4plusIvEEjEEDaPvRmT3_T4_T5_mT6_P12ihipStream_tbENKUlT_T0_E_clISt17integral_constantIbLb0EESW_EEDaSR_SS_EUlSR_E0_NS1_11comp_targetILNS1_3genE8ELNS1_11target_archE1030ELNS1_3gpuE2ELNS1_3repE0EEENS1_30default_config_static_selectorELNS0_4arch9wavefront6targetE1EEEvT1_
; %bb.0:
	.section	.rodata,"a",@progbits
	.p2align	6, 0x0
	.amdhsa_kernel _ZN7rocprim17ROCPRIM_400000_NS6detail17trampoline_kernelINS0_14default_configENS1_20scan_config_selectorIjEEZZNS1_9scan_implILNS1_25lookback_scan_determinismE0ELb0ELb0ES3_N6thrust23THRUST_200600_302600_NS6detail15normal_iteratorINS9_10device_ptrIjEEEENSB_INSC_IfEEEEjNS9_4plusIvEEjEEDaPvRmT3_T4_T5_mT6_P12ihipStream_tbENKUlT_T0_E_clISt17integral_constantIbLb0EESW_EEDaSR_SS_EUlSR_E0_NS1_11comp_targetILNS1_3genE8ELNS1_11target_archE1030ELNS1_3gpuE2ELNS1_3repE0EEENS1_30default_config_static_selectorELNS0_4arch9wavefront6targetE1EEEvT1_
		.amdhsa_group_segment_fixed_size 0
		.amdhsa_private_segment_fixed_size 0
		.amdhsa_kernarg_size 32
		.amdhsa_user_sgpr_count 6
		.amdhsa_user_sgpr_private_segment_buffer 1
		.amdhsa_user_sgpr_dispatch_ptr 0
		.amdhsa_user_sgpr_queue_ptr 0
		.amdhsa_user_sgpr_kernarg_segment_ptr 1
		.amdhsa_user_sgpr_dispatch_id 0
		.amdhsa_user_sgpr_flat_scratch_init 0
		.amdhsa_user_sgpr_kernarg_preload_length 0
		.amdhsa_user_sgpr_kernarg_preload_offset 0
		.amdhsa_user_sgpr_private_segment_size 0
		.amdhsa_uses_dynamic_stack 0
		.amdhsa_system_sgpr_private_segment_wavefront_offset 0
		.amdhsa_system_sgpr_workgroup_id_x 1
		.amdhsa_system_sgpr_workgroup_id_y 0
		.amdhsa_system_sgpr_workgroup_id_z 0
		.amdhsa_system_sgpr_workgroup_info 0
		.amdhsa_system_vgpr_workitem_id 0
		.amdhsa_next_free_vgpr 1
		.amdhsa_next_free_sgpr 0
		.amdhsa_accum_offset 4
		.amdhsa_reserve_vcc 0
		.amdhsa_reserve_flat_scratch 0
		.amdhsa_float_round_mode_32 0
		.amdhsa_float_round_mode_16_64 0
		.amdhsa_float_denorm_mode_32 3
		.amdhsa_float_denorm_mode_16_64 3
		.amdhsa_dx10_clamp 1
		.amdhsa_ieee_mode 1
		.amdhsa_fp16_overflow 0
		.amdhsa_tg_split 0
		.amdhsa_exception_fp_ieee_invalid_op 0
		.amdhsa_exception_fp_denorm_src 0
		.amdhsa_exception_fp_ieee_div_zero 0
		.amdhsa_exception_fp_ieee_overflow 0
		.amdhsa_exception_fp_ieee_underflow 0
		.amdhsa_exception_fp_ieee_inexact 0
		.amdhsa_exception_int_div_zero 0
	.end_amdhsa_kernel
	.section	.text._ZN7rocprim17ROCPRIM_400000_NS6detail17trampoline_kernelINS0_14default_configENS1_20scan_config_selectorIjEEZZNS1_9scan_implILNS1_25lookback_scan_determinismE0ELb0ELb0ES3_N6thrust23THRUST_200600_302600_NS6detail15normal_iteratorINS9_10device_ptrIjEEEENSB_INSC_IfEEEEjNS9_4plusIvEEjEEDaPvRmT3_T4_T5_mT6_P12ihipStream_tbENKUlT_T0_E_clISt17integral_constantIbLb0EESW_EEDaSR_SS_EUlSR_E0_NS1_11comp_targetILNS1_3genE8ELNS1_11target_archE1030ELNS1_3gpuE2ELNS1_3repE0EEENS1_30default_config_static_selectorELNS0_4arch9wavefront6targetE1EEEvT1_,"axG",@progbits,_ZN7rocprim17ROCPRIM_400000_NS6detail17trampoline_kernelINS0_14default_configENS1_20scan_config_selectorIjEEZZNS1_9scan_implILNS1_25lookback_scan_determinismE0ELb0ELb0ES3_N6thrust23THRUST_200600_302600_NS6detail15normal_iteratorINS9_10device_ptrIjEEEENSB_INSC_IfEEEEjNS9_4plusIvEEjEEDaPvRmT3_T4_T5_mT6_P12ihipStream_tbENKUlT_T0_E_clISt17integral_constantIbLb0EESW_EEDaSR_SS_EUlSR_E0_NS1_11comp_targetILNS1_3genE8ELNS1_11target_archE1030ELNS1_3gpuE2ELNS1_3repE0EEENS1_30default_config_static_selectorELNS0_4arch9wavefront6targetE1EEEvT1_,comdat
.Lfunc_end6032:
	.size	_ZN7rocprim17ROCPRIM_400000_NS6detail17trampoline_kernelINS0_14default_configENS1_20scan_config_selectorIjEEZZNS1_9scan_implILNS1_25lookback_scan_determinismE0ELb0ELb0ES3_N6thrust23THRUST_200600_302600_NS6detail15normal_iteratorINS9_10device_ptrIjEEEENSB_INSC_IfEEEEjNS9_4plusIvEEjEEDaPvRmT3_T4_T5_mT6_P12ihipStream_tbENKUlT_T0_E_clISt17integral_constantIbLb0EESW_EEDaSR_SS_EUlSR_E0_NS1_11comp_targetILNS1_3genE8ELNS1_11target_archE1030ELNS1_3gpuE2ELNS1_3repE0EEENS1_30default_config_static_selectorELNS0_4arch9wavefront6targetE1EEEvT1_, .Lfunc_end6032-_ZN7rocprim17ROCPRIM_400000_NS6detail17trampoline_kernelINS0_14default_configENS1_20scan_config_selectorIjEEZZNS1_9scan_implILNS1_25lookback_scan_determinismE0ELb0ELb0ES3_N6thrust23THRUST_200600_302600_NS6detail15normal_iteratorINS9_10device_ptrIjEEEENSB_INSC_IfEEEEjNS9_4plusIvEEjEEDaPvRmT3_T4_T5_mT6_P12ihipStream_tbENKUlT_T0_E_clISt17integral_constantIbLb0EESW_EEDaSR_SS_EUlSR_E0_NS1_11comp_targetILNS1_3genE8ELNS1_11target_archE1030ELNS1_3gpuE2ELNS1_3repE0EEENS1_30default_config_static_selectorELNS0_4arch9wavefront6targetE1EEEvT1_
                                        ; -- End function
	.section	.AMDGPU.csdata,"",@progbits
; Kernel info:
; codeLenInByte = 0
; NumSgprs: 4
; NumVgprs: 0
; NumAgprs: 0
; TotalNumVgprs: 0
; ScratchSize: 0
; MemoryBound: 0
; FloatMode: 240
; IeeeMode: 1
; LDSByteSize: 0 bytes/workgroup (compile time only)
; SGPRBlocks: 0
; VGPRBlocks: 0
; NumSGPRsForWavesPerEU: 4
; NumVGPRsForWavesPerEU: 1
; AccumOffset: 4
; Occupancy: 8
; WaveLimiterHint : 0
; COMPUTE_PGM_RSRC2:SCRATCH_EN: 0
; COMPUTE_PGM_RSRC2:USER_SGPR: 6
; COMPUTE_PGM_RSRC2:TRAP_HANDLER: 0
; COMPUTE_PGM_RSRC2:TGID_X_EN: 1
; COMPUTE_PGM_RSRC2:TGID_Y_EN: 0
; COMPUTE_PGM_RSRC2:TGID_Z_EN: 0
; COMPUTE_PGM_RSRC2:TIDIG_COMP_CNT: 0
; COMPUTE_PGM_RSRC3_GFX90A:ACCUM_OFFSET: 0
; COMPUTE_PGM_RSRC3_GFX90A:TG_SPLIT: 0
	.section	.text._ZN7rocprim17ROCPRIM_400000_NS6detail17trampoline_kernelINS0_14default_configENS1_20scan_config_selectorIjEEZZNS1_9scan_implILNS1_25lookback_scan_determinismE0ELb0ELb0ES3_N6thrust23THRUST_200600_302600_NS6detail15normal_iteratorINS9_10device_ptrIjEEEENSB_INSC_IfEEEEjNS9_4plusIvEEjEEDaPvRmT3_T4_T5_mT6_P12ihipStream_tbENKUlT_T0_E_clISt17integral_constantIbLb1EESW_EEDaSR_SS_EUlSR_E_NS1_11comp_targetILNS1_3genE0ELNS1_11target_archE4294967295ELNS1_3gpuE0ELNS1_3repE0EEENS1_30default_config_static_selectorELNS0_4arch9wavefront6targetE1EEEvT1_,"axG",@progbits,_ZN7rocprim17ROCPRIM_400000_NS6detail17trampoline_kernelINS0_14default_configENS1_20scan_config_selectorIjEEZZNS1_9scan_implILNS1_25lookback_scan_determinismE0ELb0ELb0ES3_N6thrust23THRUST_200600_302600_NS6detail15normal_iteratorINS9_10device_ptrIjEEEENSB_INSC_IfEEEEjNS9_4plusIvEEjEEDaPvRmT3_T4_T5_mT6_P12ihipStream_tbENKUlT_T0_E_clISt17integral_constantIbLb1EESW_EEDaSR_SS_EUlSR_E_NS1_11comp_targetILNS1_3genE0ELNS1_11target_archE4294967295ELNS1_3gpuE0ELNS1_3repE0EEENS1_30default_config_static_selectorELNS0_4arch9wavefront6targetE1EEEvT1_,comdat
	.protected	_ZN7rocprim17ROCPRIM_400000_NS6detail17trampoline_kernelINS0_14default_configENS1_20scan_config_selectorIjEEZZNS1_9scan_implILNS1_25lookback_scan_determinismE0ELb0ELb0ES3_N6thrust23THRUST_200600_302600_NS6detail15normal_iteratorINS9_10device_ptrIjEEEENSB_INSC_IfEEEEjNS9_4plusIvEEjEEDaPvRmT3_T4_T5_mT6_P12ihipStream_tbENKUlT_T0_E_clISt17integral_constantIbLb1EESW_EEDaSR_SS_EUlSR_E_NS1_11comp_targetILNS1_3genE0ELNS1_11target_archE4294967295ELNS1_3gpuE0ELNS1_3repE0EEENS1_30default_config_static_selectorELNS0_4arch9wavefront6targetE1EEEvT1_ ; -- Begin function _ZN7rocprim17ROCPRIM_400000_NS6detail17trampoline_kernelINS0_14default_configENS1_20scan_config_selectorIjEEZZNS1_9scan_implILNS1_25lookback_scan_determinismE0ELb0ELb0ES3_N6thrust23THRUST_200600_302600_NS6detail15normal_iteratorINS9_10device_ptrIjEEEENSB_INSC_IfEEEEjNS9_4plusIvEEjEEDaPvRmT3_T4_T5_mT6_P12ihipStream_tbENKUlT_T0_E_clISt17integral_constantIbLb1EESW_EEDaSR_SS_EUlSR_E_NS1_11comp_targetILNS1_3genE0ELNS1_11target_archE4294967295ELNS1_3gpuE0ELNS1_3repE0EEENS1_30default_config_static_selectorELNS0_4arch9wavefront6targetE1EEEvT1_
	.globl	_ZN7rocprim17ROCPRIM_400000_NS6detail17trampoline_kernelINS0_14default_configENS1_20scan_config_selectorIjEEZZNS1_9scan_implILNS1_25lookback_scan_determinismE0ELb0ELb0ES3_N6thrust23THRUST_200600_302600_NS6detail15normal_iteratorINS9_10device_ptrIjEEEENSB_INSC_IfEEEEjNS9_4plusIvEEjEEDaPvRmT3_T4_T5_mT6_P12ihipStream_tbENKUlT_T0_E_clISt17integral_constantIbLb1EESW_EEDaSR_SS_EUlSR_E_NS1_11comp_targetILNS1_3genE0ELNS1_11target_archE4294967295ELNS1_3gpuE0ELNS1_3repE0EEENS1_30default_config_static_selectorELNS0_4arch9wavefront6targetE1EEEvT1_
	.p2align	8
	.type	_ZN7rocprim17ROCPRIM_400000_NS6detail17trampoline_kernelINS0_14default_configENS1_20scan_config_selectorIjEEZZNS1_9scan_implILNS1_25lookback_scan_determinismE0ELb0ELb0ES3_N6thrust23THRUST_200600_302600_NS6detail15normal_iteratorINS9_10device_ptrIjEEEENSB_INSC_IfEEEEjNS9_4plusIvEEjEEDaPvRmT3_T4_T5_mT6_P12ihipStream_tbENKUlT_T0_E_clISt17integral_constantIbLb1EESW_EEDaSR_SS_EUlSR_E_NS1_11comp_targetILNS1_3genE0ELNS1_11target_archE4294967295ELNS1_3gpuE0ELNS1_3repE0EEENS1_30default_config_static_selectorELNS0_4arch9wavefront6targetE1EEEvT1_,@function
_ZN7rocprim17ROCPRIM_400000_NS6detail17trampoline_kernelINS0_14default_configENS1_20scan_config_selectorIjEEZZNS1_9scan_implILNS1_25lookback_scan_determinismE0ELb0ELb0ES3_N6thrust23THRUST_200600_302600_NS6detail15normal_iteratorINS9_10device_ptrIjEEEENSB_INSC_IfEEEEjNS9_4plusIvEEjEEDaPvRmT3_T4_T5_mT6_P12ihipStream_tbENKUlT_T0_E_clISt17integral_constantIbLb1EESW_EEDaSR_SS_EUlSR_E_NS1_11comp_targetILNS1_3genE0ELNS1_11target_archE4294967295ELNS1_3gpuE0ELNS1_3repE0EEENS1_30default_config_static_selectorELNS0_4arch9wavefront6targetE1EEEvT1_: ; @_ZN7rocprim17ROCPRIM_400000_NS6detail17trampoline_kernelINS0_14default_configENS1_20scan_config_selectorIjEEZZNS1_9scan_implILNS1_25lookback_scan_determinismE0ELb0ELb0ES3_N6thrust23THRUST_200600_302600_NS6detail15normal_iteratorINS9_10device_ptrIjEEEENSB_INSC_IfEEEEjNS9_4plusIvEEjEEDaPvRmT3_T4_T5_mT6_P12ihipStream_tbENKUlT_T0_E_clISt17integral_constantIbLb1EESW_EEDaSR_SS_EUlSR_E_NS1_11comp_targetILNS1_3genE0ELNS1_11target_archE4294967295ELNS1_3gpuE0ELNS1_3repE0EEENS1_30default_config_static_selectorELNS0_4arch9wavefront6targetE1EEEvT1_
; %bb.0:
	.section	.rodata,"a",@progbits
	.p2align	6, 0x0
	.amdhsa_kernel _ZN7rocprim17ROCPRIM_400000_NS6detail17trampoline_kernelINS0_14default_configENS1_20scan_config_selectorIjEEZZNS1_9scan_implILNS1_25lookback_scan_determinismE0ELb0ELb0ES3_N6thrust23THRUST_200600_302600_NS6detail15normal_iteratorINS9_10device_ptrIjEEEENSB_INSC_IfEEEEjNS9_4plusIvEEjEEDaPvRmT3_T4_T5_mT6_P12ihipStream_tbENKUlT_T0_E_clISt17integral_constantIbLb1EESW_EEDaSR_SS_EUlSR_E_NS1_11comp_targetILNS1_3genE0ELNS1_11target_archE4294967295ELNS1_3gpuE0ELNS1_3repE0EEENS1_30default_config_static_selectorELNS0_4arch9wavefront6targetE1EEEvT1_
		.amdhsa_group_segment_fixed_size 0
		.amdhsa_private_segment_fixed_size 0
		.amdhsa_kernarg_size 96
		.amdhsa_user_sgpr_count 6
		.amdhsa_user_sgpr_private_segment_buffer 1
		.amdhsa_user_sgpr_dispatch_ptr 0
		.amdhsa_user_sgpr_queue_ptr 0
		.amdhsa_user_sgpr_kernarg_segment_ptr 1
		.amdhsa_user_sgpr_dispatch_id 0
		.amdhsa_user_sgpr_flat_scratch_init 0
		.amdhsa_user_sgpr_kernarg_preload_length 0
		.amdhsa_user_sgpr_kernarg_preload_offset 0
		.amdhsa_user_sgpr_private_segment_size 0
		.amdhsa_uses_dynamic_stack 0
		.amdhsa_system_sgpr_private_segment_wavefront_offset 0
		.amdhsa_system_sgpr_workgroup_id_x 1
		.amdhsa_system_sgpr_workgroup_id_y 0
		.amdhsa_system_sgpr_workgroup_id_z 0
		.amdhsa_system_sgpr_workgroup_info 0
		.amdhsa_system_vgpr_workitem_id 0
		.amdhsa_next_free_vgpr 1
		.amdhsa_next_free_sgpr 0
		.amdhsa_accum_offset 4
		.amdhsa_reserve_vcc 0
		.amdhsa_reserve_flat_scratch 0
		.amdhsa_float_round_mode_32 0
		.amdhsa_float_round_mode_16_64 0
		.amdhsa_float_denorm_mode_32 3
		.amdhsa_float_denorm_mode_16_64 3
		.amdhsa_dx10_clamp 1
		.amdhsa_ieee_mode 1
		.amdhsa_fp16_overflow 0
		.amdhsa_tg_split 0
		.amdhsa_exception_fp_ieee_invalid_op 0
		.amdhsa_exception_fp_denorm_src 0
		.amdhsa_exception_fp_ieee_div_zero 0
		.amdhsa_exception_fp_ieee_overflow 0
		.amdhsa_exception_fp_ieee_underflow 0
		.amdhsa_exception_fp_ieee_inexact 0
		.amdhsa_exception_int_div_zero 0
	.end_amdhsa_kernel
	.section	.text._ZN7rocprim17ROCPRIM_400000_NS6detail17trampoline_kernelINS0_14default_configENS1_20scan_config_selectorIjEEZZNS1_9scan_implILNS1_25lookback_scan_determinismE0ELb0ELb0ES3_N6thrust23THRUST_200600_302600_NS6detail15normal_iteratorINS9_10device_ptrIjEEEENSB_INSC_IfEEEEjNS9_4plusIvEEjEEDaPvRmT3_T4_T5_mT6_P12ihipStream_tbENKUlT_T0_E_clISt17integral_constantIbLb1EESW_EEDaSR_SS_EUlSR_E_NS1_11comp_targetILNS1_3genE0ELNS1_11target_archE4294967295ELNS1_3gpuE0ELNS1_3repE0EEENS1_30default_config_static_selectorELNS0_4arch9wavefront6targetE1EEEvT1_,"axG",@progbits,_ZN7rocprim17ROCPRIM_400000_NS6detail17trampoline_kernelINS0_14default_configENS1_20scan_config_selectorIjEEZZNS1_9scan_implILNS1_25lookback_scan_determinismE0ELb0ELb0ES3_N6thrust23THRUST_200600_302600_NS6detail15normal_iteratorINS9_10device_ptrIjEEEENSB_INSC_IfEEEEjNS9_4plusIvEEjEEDaPvRmT3_T4_T5_mT6_P12ihipStream_tbENKUlT_T0_E_clISt17integral_constantIbLb1EESW_EEDaSR_SS_EUlSR_E_NS1_11comp_targetILNS1_3genE0ELNS1_11target_archE4294967295ELNS1_3gpuE0ELNS1_3repE0EEENS1_30default_config_static_selectorELNS0_4arch9wavefront6targetE1EEEvT1_,comdat
.Lfunc_end6033:
	.size	_ZN7rocprim17ROCPRIM_400000_NS6detail17trampoline_kernelINS0_14default_configENS1_20scan_config_selectorIjEEZZNS1_9scan_implILNS1_25lookback_scan_determinismE0ELb0ELb0ES3_N6thrust23THRUST_200600_302600_NS6detail15normal_iteratorINS9_10device_ptrIjEEEENSB_INSC_IfEEEEjNS9_4plusIvEEjEEDaPvRmT3_T4_T5_mT6_P12ihipStream_tbENKUlT_T0_E_clISt17integral_constantIbLb1EESW_EEDaSR_SS_EUlSR_E_NS1_11comp_targetILNS1_3genE0ELNS1_11target_archE4294967295ELNS1_3gpuE0ELNS1_3repE0EEENS1_30default_config_static_selectorELNS0_4arch9wavefront6targetE1EEEvT1_, .Lfunc_end6033-_ZN7rocprim17ROCPRIM_400000_NS6detail17trampoline_kernelINS0_14default_configENS1_20scan_config_selectorIjEEZZNS1_9scan_implILNS1_25lookback_scan_determinismE0ELb0ELb0ES3_N6thrust23THRUST_200600_302600_NS6detail15normal_iteratorINS9_10device_ptrIjEEEENSB_INSC_IfEEEEjNS9_4plusIvEEjEEDaPvRmT3_T4_T5_mT6_P12ihipStream_tbENKUlT_T0_E_clISt17integral_constantIbLb1EESW_EEDaSR_SS_EUlSR_E_NS1_11comp_targetILNS1_3genE0ELNS1_11target_archE4294967295ELNS1_3gpuE0ELNS1_3repE0EEENS1_30default_config_static_selectorELNS0_4arch9wavefront6targetE1EEEvT1_
                                        ; -- End function
	.section	.AMDGPU.csdata,"",@progbits
; Kernel info:
; codeLenInByte = 0
; NumSgprs: 4
; NumVgprs: 0
; NumAgprs: 0
; TotalNumVgprs: 0
; ScratchSize: 0
; MemoryBound: 0
; FloatMode: 240
; IeeeMode: 1
; LDSByteSize: 0 bytes/workgroup (compile time only)
; SGPRBlocks: 0
; VGPRBlocks: 0
; NumSGPRsForWavesPerEU: 4
; NumVGPRsForWavesPerEU: 1
; AccumOffset: 4
; Occupancy: 8
; WaveLimiterHint : 0
; COMPUTE_PGM_RSRC2:SCRATCH_EN: 0
; COMPUTE_PGM_RSRC2:USER_SGPR: 6
; COMPUTE_PGM_RSRC2:TRAP_HANDLER: 0
; COMPUTE_PGM_RSRC2:TGID_X_EN: 1
; COMPUTE_PGM_RSRC2:TGID_Y_EN: 0
; COMPUTE_PGM_RSRC2:TGID_Z_EN: 0
; COMPUTE_PGM_RSRC2:TIDIG_COMP_CNT: 0
; COMPUTE_PGM_RSRC3_GFX90A:ACCUM_OFFSET: 0
; COMPUTE_PGM_RSRC3_GFX90A:TG_SPLIT: 0
	.section	.text._ZN7rocprim17ROCPRIM_400000_NS6detail17trampoline_kernelINS0_14default_configENS1_20scan_config_selectorIjEEZZNS1_9scan_implILNS1_25lookback_scan_determinismE0ELb0ELb0ES3_N6thrust23THRUST_200600_302600_NS6detail15normal_iteratorINS9_10device_ptrIjEEEENSB_INSC_IfEEEEjNS9_4plusIvEEjEEDaPvRmT3_T4_T5_mT6_P12ihipStream_tbENKUlT_T0_E_clISt17integral_constantIbLb1EESW_EEDaSR_SS_EUlSR_E_NS1_11comp_targetILNS1_3genE5ELNS1_11target_archE942ELNS1_3gpuE9ELNS1_3repE0EEENS1_30default_config_static_selectorELNS0_4arch9wavefront6targetE1EEEvT1_,"axG",@progbits,_ZN7rocprim17ROCPRIM_400000_NS6detail17trampoline_kernelINS0_14default_configENS1_20scan_config_selectorIjEEZZNS1_9scan_implILNS1_25lookback_scan_determinismE0ELb0ELb0ES3_N6thrust23THRUST_200600_302600_NS6detail15normal_iteratorINS9_10device_ptrIjEEEENSB_INSC_IfEEEEjNS9_4plusIvEEjEEDaPvRmT3_T4_T5_mT6_P12ihipStream_tbENKUlT_T0_E_clISt17integral_constantIbLb1EESW_EEDaSR_SS_EUlSR_E_NS1_11comp_targetILNS1_3genE5ELNS1_11target_archE942ELNS1_3gpuE9ELNS1_3repE0EEENS1_30default_config_static_selectorELNS0_4arch9wavefront6targetE1EEEvT1_,comdat
	.protected	_ZN7rocprim17ROCPRIM_400000_NS6detail17trampoline_kernelINS0_14default_configENS1_20scan_config_selectorIjEEZZNS1_9scan_implILNS1_25lookback_scan_determinismE0ELb0ELb0ES3_N6thrust23THRUST_200600_302600_NS6detail15normal_iteratorINS9_10device_ptrIjEEEENSB_INSC_IfEEEEjNS9_4plusIvEEjEEDaPvRmT3_T4_T5_mT6_P12ihipStream_tbENKUlT_T0_E_clISt17integral_constantIbLb1EESW_EEDaSR_SS_EUlSR_E_NS1_11comp_targetILNS1_3genE5ELNS1_11target_archE942ELNS1_3gpuE9ELNS1_3repE0EEENS1_30default_config_static_selectorELNS0_4arch9wavefront6targetE1EEEvT1_ ; -- Begin function _ZN7rocprim17ROCPRIM_400000_NS6detail17trampoline_kernelINS0_14default_configENS1_20scan_config_selectorIjEEZZNS1_9scan_implILNS1_25lookback_scan_determinismE0ELb0ELb0ES3_N6thrust23THRUST_200600_302600_NS6detail15normal_iteratorINS9_10device_ptrIjEEEENSB_INSC_IfEEEEjNS9_4plusIvEEjEEDaPvRmT3_T4_T5_mT6_P12ihipStream_tbENKUlT_T0_E_clISt17integral_constantIbLb1EESW_EEDaSR_SS_EUlSR_E_NS1_11comp_targetILNS1_3genE5ELNS1_11target_archE942ELNS1_3gpuE9ELNS1_3repE0EEENS1_30default_config_static_selectorELNS0_4arch9wavefront6targetE1EEEvT1_
	.globl	_ZN7rocprim17ROCPRIM_400000_NS6detail17trampoline_kernelINS0_14default_configENS1_20scan_config_selectorIjEEZZNS1_9scan_implILNS1_25lookback_scan_determinismE0ELb0ELb0ES3_N6thrust23THRUST_200600_302600_NS6detail15normal_iteratorINS9_10device_ptrIjEEEENSB_INSC_IfEEEEjNS9_4plusIvEEjEEDaPvRmT3_T4_T5_mT6_P12ihipStream_tbENKUlT_T0_E_clISt17integral_constantIbLb1EESW_EEDaSR_SS_EUlSR_E_NS1_11comp_targetILNS1_3genE5ELNS1_11target_archE942ELNS1_3gpuE9ELNS1_3repE0EEENS1_30default_config_static_selectorELNS0_4arch9wavefront6targetE1EEEvT1_
	.p2align	8
	.type	_ZN7rocprim17ROCPRIM_400000_NS6detail17trampoline_kernelINS0_14default_configENS1_20scan_config_selectorIjEEZZNS1_9scan_implILNS1_25lookback_scan_determinismE0ELb0ELb0ES3_N6thrust23THRUST_200600_302600_NS6detail15normal_iteratorINS9_10device_ptrIjEEEENSB_INSC_IfEEEEjNS9_4plusIvEEjEEDaPvRmT3_T4_T5_mT6_P12ihipStream_tbENKUlT_T0_E_clISt17integral_constantIbLb1EESW_EEDaSR_SS_EUlSR_E_NS1_11comp_targetILNS1_3genE5ELNS1_11target_archE942ELNS1_3gpuE9ELNS1_3repE0EEENS1_30default_config_static_selectorELNS0_4arch9wavefront6targetE1EEEvT1_,@function
_ZN7rocprim17ROCPRIM_400000_NS6detail17trampoline_kernelINS0_14default_configENS1_20scan_config_selectorIjEEZZNS1_9scan_implILNS1_25lookback_scan_determinismE0ELb0ELb0ES3_N6thrust23THRUST_200600_302600_NS6detail15normal_iteratorINS9_10device_ptrIjEEEENSB_INSC_IfEEEEjNS9_4plusIvEEjEEDaPvRmT3_T4_T5_mT6_P12ihipStream_tbENKUlT_T0_E_clISt17integral_constantIbLb1EESW_EEDaSR_SS_EUlSR_E_NS1_11comp_targetILNS1_3genE5ELNS1_11target_archE942ELNS1_3gpuE9ELNS1_3repE0EEENS1_30default_config_static_selectorELNS0_4arch9wavefront6targetE1EEEvT1_: ; @_ZN7rocprim17ROCPRIM_400000_NS6detail17trampoline_kernelINS0_14default_configENS1_20scan_config_selectorIjEEZZNS1_9scan_implILNS1_25lookback_scan_determinismE0ELb0ELb0ES3_N6thrust23THRUST_200600_302600_NS6detail15normal_iteratorINS9_10device_ptrIjEEEENSB_INSC_IfEEEEjNS9_4plusIvEEjEEDaPvRmT3_T4_T5_mT6_P12ihipStream_tbENKUlT_T0_E_clISt17integral_constantIbLb1EESW_EEDaSR_SS_EUlSR_E_NS1_11comp_targetILNS1_3genE5ELNS1_11target_archE942ELNS1_3gpuE9ELNS1_3repE0EEENS1_30default_config_static_selectorELNS0_4arch9wavefront6targetE1EEEvT1_
; %bb.0:
	.section	.rodata,"a",@progbits
	.p2align	6, 0x0
	.amdhsa_kernel _ZN7rocprim17ROCPRIM_400000_NS6detail17trampoline_kernelINS0_14default_configENS1_20scan_config_selectorIjEEZZNS1_9scan_implILNS1_25lookback_scan_determinismE0ELb0ELb0ES3_N6thrust23THRUST_200600_302600_NS6detail15normal_iteratorINS9_10device_ptrIjEEEENSB_INSC_IfEEEEjNS9_4plusIvEEjEEDaPvRmT3_T4_T5_mT6_P12ihipStream_tbENKUlT_T0_E_clISt17integral_constantIbLb1EESW_EEDaSR_SS_EUlSR_E_NS1_11comp_targetILNS1_3genE5ELNS1_11target_archE942ELNS1_3gpuE9ELNS1_3repE0EEENS1_30default_config_static_selectorELNS0_4arch9wavefront6targetE1EEEvT1_
		.amdhsa_group_segment_fixed_size 0
		.amdhsa_private_segment_fixed_size 0
		.amdhsa_kernarg_size 96
		.amdhsa_user_sgpr_count 6
		.amdhsa_user_sgpr_private_segment_buffer 1
		.amdhsa_user_sgpr_dispatch_ptr 0
		.amdhsa_user_sgpr_queue_ptr 0
		.amdhsa_user_sgpr_kernarg_segment_ptr 1
		.amdhsa_user_sgpr_dispatch_id 0
		.amdhsa_user_sgpr_flat_scratch_init 0
		.amdhsa_user_sgpr_kernarg_preload_length 0
		.amdhsa_user_sgpr_kernarg_preload_offset 0
		.amdhsa_user_sgpr_private_segment_size 0
		.amdhsa_uses_dynamic_stack 0
		.amdhsa_system_sgpr_private_segment_wavefront_offset 0
		.amdhsa_system_sgpr_workgroup_id_x 1
		.amdhsa_system_sgpr_workgroup_id_y 0
		.amdhsa_system_sgpr_workgroup_id_z 0
		.amdhsa_system_sgpr_workgroup_info 0
		.amdhsa_system_vgpr_workitem_id 0
		.amdhsa_next_free_vgpr 1
		.amdhsa_next_free_sgpr 0
		.amdhsa_accum_offset 4
		.amdhsa_reserve_vcc 0
		.amdhsa_reserve_flat_scratch 0
		.amdhsa_float_round_mode_32 0
		.amdhsa_float_round_mode_16_64 0
		.amdhsa_float_denorm_mode_32 3
		.amdhsa_float_denorm_mode_16_64 3
		.amdhsa_dx10_clamp 1
		.amdhsa_ieee_mode 1
		.amdhsa_fp16_overflow 0
		.amdhsa_tg_split 0
		.amdhsa_exception_fp_ieee_invalid_op 0
		.amdhsa_exception_fp_denorm_src 0
		.amdhsa_exception_fp_ieee_div_zero 0
		.amdhsa_exception_fp_ieee_overflow 0
		.amdhsa_exception_fp_ieee_underflow 0
		.amdhsa_exception_fp_ieee_inexact 0
		.amdhsa_exception_int_div_zero 0
	.end_amdhsa_kernel
	.section	.text._ZN7rocprim17ROCPRIM_400000_NS6detail17trampoline_kernelINS0_14default_configENS1_20scan_config_selectorIjEEZZNS1_9scan_implILNS1_25lookback_scan_determinismE0ELb0ELb0ES3_N6thrust23THRUST_200600_302600_NS6detail15normal_iteratorINS9_10device_ptrIjEEEENSB_INSC_IfEEEEjNS9_4plusIvEEjEEDaPvRmT3_T4_T5_mT6_P12ihipStream_tbENKUlT_T0_E_clISt17integral_constantIbLb1EESW_EEDaSR_SS_EUlSR_E_NS1_11comp_targetILNS1_3genE5ELNS1_11target_archE942ELNS1_3gpuE9ELNS1_3repE0EEENS1_30default_config_static_selectorELNS0_4arch9wavefront6targetE1EEEvT1_,"axG",@progbits,_ZN7rocprim17ROCPRIM_400000_NS6detail17trampoline_kernelINS0_14default_configENS1_20scan_config_selectorIjEEZZNS1_9scan_implILNS1_25lookback_scan_determinismE0ELb0ELb0ES3_N6thrust23THRUST_200600_302600_NS6detail15normal_iteratorINS9_10device_ptrIjEEEENSB_INSC_IfEEEEjNS9_4plusIvEEjEEDaPvRmT3_T4_T5_mT6_P12ihipStream_tbENKUlT_T0_E_clISt17integral_constantIbLb1EESW_EEDaSR_SS_EUlSR_E_NS1_11comp_targetILNS1_3genE5ELNS1_11target_archE942ELNS1_3gpuE9ELNS1_3repE0EEENS1_30default_config_static_selectorELNS0_4arch9wavefront6targetE1EEEvT1_,comdat
.Lfunc_end6034:
	.size	_ZN7rocprim17ROCPRIM_400000_NS6detail17trampoline_kernelINS0_14default_configENS1_20scan_config_selectorIjEEZZNS1_9scan_implILNS1_25lookback_scan_determinismE0ELb0ELb0ES3_N6thrust23THRUST_200600_302600_NS6detail15normal_iteratorINS9_10device_ptrIjEEEENSB_INSC_IfEEEEjNS9_4plusIvEEjEEDaPvRmT3_T4_T5_mT6_P12ihipStream_tbENKUlT_T0_E_clISt17integral_constantIbLb1EESW_EEDaSR_SS_EUlSR_E_NS1_11comp_targetILNS1_3genE5ELNS1_11target_archE942ELNS1_3gpuE9ELNS1_3repE0EEENS1_30default_config_static_selectorELNS0_4arch9wavefront6targetE1EEEvT1_, .Lfunc_end6034-_ZN7rocprim17ROCPRIM_400000_NS6detail17trampoline_kernelINS0_14default_configENS1_20scan_config_selectorIjEEZZNS1_9scan_implILNS1_25lookback_scan_determinismE0ELb0ELb0ES3_N6thrust23THRUST_200600_302600_NS6detail15normal_iteratorINS9_10device_ptrIjEEEENSB_INSC_IfEEEEjNS9_4plusIvEEjEEDaPvRmT3_T4_T5_mT6_P12ihipStream_tbENKUlT_T0_E_clISt17integral_constantIbLb1EESW_EEDaSR_SS_EUlSR_E_NS1_11comp_targetILNS1_3genE5ELNS1_11target_archE942ELNS1_3gpuE9ELNS1_3repE0EEENS1_30default_config_static_selectorELNS0_4arch9wavefront6targetE1EEEvT1_
                                        ; -- End function
	.section	.AMDGPU.csdata,"",@progbits
; Kernel info:
; codeLenInByte = 0
; NumSgprs: 4
; NumVgprs: 0
; NumAgprs: 0
; TotalNumVgprs: 0
; ScratchSize: 0
; MemoryBound: 0
; FloatMode: 240
; IeeeMode: 1
; LDSByteSize: 0 bytes/workgroup (compile time only)
; SGPRBlocks: 0
; VGPRBlocks: 0
; NumSGPRsForWavesPerEU: 4
; NumVGPRsForWavesPerEU: 1
; AccumOffset: 4
; Occupancy: 8
; WaveLimiterHint : 0
; COMPUTE_PGM_RSRC2:SCRATCH_EN: 0
; COMPUTE_PGM_RSRC2:USER_SGPR: 6
; COMPUTE_PGM_RSRC2:TRAP_HANDLER: 0
; COMPUTE_PGM_RSRC2:TGID_X_EN: 1
; COMPUTE_PGM_RSRC2:TGID_Y_EN: 0
; COMPUTE_PGM_RSRC2:TGID_Z_EN: 0
; COMPUTE_PGM_RSRC2:TIDIG_COMP_CNT: 0
; COMPUTE_PGM_RSRC3_GFX90A:ACCUM_OFFSET: 0
; COMPUTE_PGM_RSRC3_GFX90A:TG_SPLIT: 0
	.section	.text._ZN7rocprim17ROCPRIM_400000_NS6detail17trampoline_kernelINS0_14default_configENS1_20scan_config_selectorIjEEZZNS1_9scan_implILNS1_25lookback_scan_determinismE0ELb0ELb0ES3_N6thrust23THRUST_200600_302600_NS6detail15normal_iteratorINS9_10device_ptrIjEEEENSB_INSC_IfEEEEjNS9_4plusIvEEjEEDaPvRmT3_T4_T5_mT6_P12ihipStream_tbENKUlT_T0_E_clISt17integral_constantIbLb1EESW_EEDaSR_SS_EUlSR_E_NS1_11comp_targetILNS1_3genE4ELNS1_11target_archE910ELNS1_3gpuE8ELNS1_3repE0EEENS1_30default_config_static_selectorELNS0_4arch9wavefront6targetE1EEEvT1_,"axG",@progbits,_ZN7rocprim17ROCPRIM_400000_NS6detail17trampoline_kernelINS0_14default_configENS1_20scan_config_selectorIjEEZZNS1_9scan_implILNS1_25lookback_scan_determinismE0ELb0ELb0ES3_N6thrust23THRUST_200600_302600_NS6detail15normal_iteratorINS9_10device_ptrIjEEEENSB_INSC_IfEEEEjNS9_4plusIvEEjEEDaPvRmT3_T4_T5_mT6_P12ihipStream_tbENKUlT_T0_E_clISt17integral_constantIbLb1EESW_EEDaSR_SS_EUlSR_E_NS1_11comp_targetILNS1_3genE4ELNS1_11target_archE910ELNS1_3gpuE8ELNS1_3repE0EEENS1_30default_config_static_selectorELNS0_4arch9wavefront6targetE1EEEvT1_,comdat
	.protected	_ZN7rocprim17ROCPRIM_400000_NS6detail17trampoline_kernelINS0_14default_configENS1_20scan_config_selectorIjEEZZNS1_9scan_implILNS1_25lookback_scan_determinismE0ELb0ELb0ES3_N6thrust23THRUST_200600_302600_NS6detail15normal_iteratorINS9_10device_ptrIjEEEENSB_INSC_IfEEEEjNS9_4plusIvEEjEEDaPvRmT3_T4_T5_mT6_P12ihipStream_tbENKUlT_T0_E_clISt17integral_constantIbLb1EESW_EEDaSR_SS_EUlSR_E_NS1_11comp_targetILNS1_3genE4ELNS1_11target_archE910ELNS1_3gpuE8ELNS1_3repE0EEENS1_30default_config_static_selectorELNS0_4arch9wavefront6targetE1EEEvT1_ ; -- Begin function _ZN7rocprim17ROCPRIM_400000_NS6detail17trampoline_kernelINS0_14default_configENS1_20scan_config_selectorIjEEZZNS1_9scan_implILNS1_25lookback_scan_determinismE0ELb0ELb0ES3_N6thrust23THRUST_200600_302600_NS6detail15normal_iteratorINS9_10device_ptrIjEEEENSB_INSC_IfEEEEjNS9_4plusIvEEjEEDaPvRmT3_T4_T5_mT6_P12ihipStream_tbENKUlT_T0_E_clISt17integral_constantIbLb1EESW_EEDaSR_SS_EUlSR_E_NS1_11comp_targetILNS1_3genE4ELNS1_11target_archE910ELNS1_3gpuE8ELNS1_3repE0EEENS1_30default_config_static_selectorELNS0_4arch9wavefront6targetE1EEEvT1_
	.globl	_ZN7rocprim17ROCPRIM_400000_NS6detail17trampoline_kernelINS0_14default_configENS1_20scan_config_selectorIjEEZZNS1_9scan_implILNS1_25lookback_scan_determinismE0ELb0ELb0ES3_N6thrust23THRUST_200600_302600_NS6detail15normal_iteratorINS9_10device_ptrIjEEEENSB_INSC_IfEEEEjNS9_4plusIvEEjEEDaPvRmT3_T4_T5_mT6_P12ihipStream_tbENKUlT_T0_E_clISt17integral_constantIbLb1EESW_EEDaSR_SS_EUlSR_E_NS1_11comp_targetILNS1_3genE4ELNS1_11target_archE910ELNS1_3gpuE8ELNS1_3repE0EEENS1_30default_config_static_selectorELNS0_4arch9wavefront6targetE1EEEvT1_
	.p2align	8
	.type	_ZN7rocprim17ROCPRIM_400000_NS6detail17trampoline_kernelINS0_14default_configENS1_20scan_config_selectorIjEEZZNS1_9scan_implILNS1_25lookback_scan_determinismE0ELb0ELb0ES3_N6thrust23THRUST_200600_302600_NS6detail15normal_iteratorINS9_10device_ptrIjEEEENSB_INSC_IfEEEEjNS9_4plusIvEEjEEDaPvRmT3_T4_T5_mT6_P12ihipStream_tbENKUlT_T0_E_clISt17integral_constantIbLb1EESW_EEDaSR_SS_EUlSR_E_NS1_11comp_targetILNS1_3genE4ELNS1_11target_archE910ELNS1_3gpuE8ELNS1_3repE0EEENS1_30default_config_static_selectorELNS0_4arch9wavefront6targetE1EEEvT1_,@function
_ZN7rocprim17ROCPRIM_400000_NS6detail17trampoline_kernelINS0_14default_configENS1_20scan_config_selectorIjEEZZNS1_9scan_implILNS1_25lookback_scan_determinismE0ELb0ELb0ES3_N6thrust23THRUST_200600_302600_NS6detail15normal_iteratorINS9_10device_ptrIjEEEENSB_INSC_IfEEEEjNS9_4plusIvEEjEEDaPvRmT3_T4_T5_mT6_P12ihipStream_tbENKUlT_T0_E_clISt17integral_constantIbLb1EESW_EEDaSR_SS_EUlSR_E_NS1_11comp_targetILNS1_3genE4ELNS1_11target_archE910ELNS1_3gpuE8ELNS1_3repE0EEENS1_30default_config_static_selectorELNS0_4arch9wavefront6targetE1EEEvT1_: ; @_ZN7rocprim17ROCPRIM_400000_NS6detail17trampoline_kernelINS0_14default_configENS1_20scan_config_selectorIjEEZZNS1_9scan_implILNS1_25lookback_scan_determinismE0ELb0ELb0ES3_N6thrust23THRUST_200600_302600_NS6detail15normal_iteratorINS9_10device_ptrIjEEEENSB_INSC_IfEEEEjNS9_4plusIvEEjEEDaPvRmT3_T4_T5_mT6_P12ihipStream_tbENKUlT_T0_E_clISt17integral_constantIbLb1EESW_EEDaSR_SS_EUlSR_E_NS1_11comp_targetILNS1_3genE4ELNS1_11target_archE910ELNS1_3gpuE8ELNS1_3repE0EEENS1_30default_config_static_selectorELNS0_4arch9wavefront6targetE1EEEvT1_
; %bb.0:
	s_load_dwordx2 s[6:7], s[4:5], 0x28
	v_cmp_ne_u32_e64 s[0:1], 0, v0
	v_cmp_eq_u32_e64 s[2:3], 0, v0
	s_and_saveexec_b64 s[8:9], s[2:3]
	s_cbranch_execz .LBB6035_4
; %bb.1:
	s_mov_b64 s[12:13], exec
	v_mbcnt_lo_u32_b32 v1, s12, 0
	v_mbcnt_hi_u32_b32 v1, s13, v1
	v_cmp_eq_u32_e32 vcc, 0, v1
                                        ; implicit-def: $vgpr2
	s_and_saveexec_b64 s[10:11], vcc
	s_cbranch_execz .LBB6035_3
; %bb.2:
	s_load_dwordx2 s[14:15], s[4:5], 0x58
	s_bcnt1_i32_b64 s12, s[12:13]
	v_mov_b32_e32 v2, 0
	v_mov_b32_e32 v3, s12
	s_waitcnt lgkmcnt(0)
	global_atomic_add v2, v2, v3, s[14:15] glc
.LBB6035_3:
	s_or_b64 exec, exec, s[10:11]
	s_waitcnt vmcnt(0)
	v_readfirstlane_b32 s10, v2
	v_add_u32_e32 v1, s10, v1
	v_mov_b32_e32 v2, 0
	ds_write_b32 v2, v1
.LBB6035_4:
	s_or_b64 exec, exec, s[8:9]
	s_load_dwordx8 s[16:23], s[4:5], 0x0
	s_load_dword s24, s[4:5], 0x30
	s_load_dwordx8 s[8:15], s[4:5], 0x38
	v_mov_b32_e32 v1, 0
	s_waitcnt lgkmcnt(0)
	s_barrier
	ds_read_b32 v1, v1
	s_lshl_b64 s[18:19], s[18:19], 2
	s_add_u32 s25, s16, s18
	s_addc_u32 s26, s17, s19
	s_add_i32 s16, s24, -1
	s_mul_i32 s17, s16, 0x500
	s_sub_u32 s30, s22, s17
	s_waitcnt lgkmcnt(0)
	v_readfirstlane_b32 s33, v1
	s_subb_u32 s31, s23, 0
	s_mul_i32 s4, s33, 0x500
	s_mov_b32 s5, 0
	s_cmp_lg_u32 s33, s16
	s_cselect_b64 s[16:17], -1, 0
	s_lshl_b64 s[22:23], s[4:5], 2
	s_add_u32 s24, s25, s22
	s_addc_u32 s25, s26, s23
	s_mov_b64 s[4:5], -1
	s_and_b64 vcc, exec, s[16:17]
	v_lshlrev_b32_e32 v22, 2, v0
	s_barrier
	s_cbranch_vccz .LBB6035_6
; %bb.5:
	v_mov_b32_e32 v1, s25
	v_add_co_u32_e32 v2, vcc, s24, v22
	v_addc_co_u32_e32 v3, vcc, 0, v1, vcc
	flat_load_dword v1, v[2:3]
	flat_load_dword v4, v[2:3] offset:512
	flat_load_dword v5, v[2:3] offset:1024
	;; [unrolled: 1-line block ×7, first 2 shown]
	v_add_co_u32_e32 v2, vcc, 0x1000, v2
	v_addc_co_u32_e32 v3, vcc, 0, v3, vcc
	flat_load_dword v11, v[2:3]
	flat_load_dword v12, v[2:3] offset:512
	s_mov_b64 s[4:5], 0
	s_waitcnt vmcnt(0) lgkmcnt(0)
	ds_write2st64_b32 v22, v1, v4 offset1:2
	ds_write2st64_b32 v22, v5, v6 offset0:4 offset1:6
	ds_write2st64_b32 v22, v7, v8 offset0:8 offset1:10
	;; [unrolled: 1-line block ×4, first 2 shown]
	s_waitcnt lgkmcnt(0)
	s_barrier
.LBB6035_6:
	s_andn2_b64 vcc, exec, s[4:5]
	v_cmp_gt_u32_e64 s[4:5], s30, v0
	s_cbranch_vccnz .LBB6035_28
; %bb.7:
	v_pk_mov_b32 v[2:3], s[24:25], s[24:25] op_sel:[0,1]
	flat_load_dword v1, v[2:3]
	s_waitcnt vmcnt(0) lgkmcnt(0)
	v_mov_b32_e32 v2, v1
	v_mov_b32_e32 v3, v1
	;; [unrolled: 1-line block ×9, first 2 shown]
	s_and_saveexec_b64 s[26:27], s[4:5]
	s_cbranch_execz .LBB6035_9
; %bb.8:
	v_mov_b32_e32 v11, s25
	v_add_co_u32_e32 v10, vcc, s24, v22
	v_addc_co_u32_e32 v11, vcc, 0, v11, vcc
	flat_load_dword v10, v[10:11]
.LBB6035_9:
	s_or_b64 exec, exec, s[26:27]
	v_or_b32_e32 v11, 0x80, v0
	v_cmp_gt_u32_e32 vcc, s30, v11
	s_and_saveexec_b64 s[4:5], vcc
	s_cbranch_execz .LBB6035_11
; %bb.10:
	v_mov_b32_e32 v1, s25
	v_add_co_u32_e32 v12, vcc, s24, v22
	v_addc_co_u32_e32 v13, vcc, 0, v1, vcc
	flat_load_dword v1, v[12:13] offset:512
.LBB6035_11:
	s_or_b64 exec, exec, s[4:5]
	v_or_b32_e32 v11, 0x100, v0
	v_cmp_gt_u32_e32 vcc, s30, v11
	s_and_saveexec_b64 s[4:5], vcc
	s_cbranch_execz .LBB6035_13
; %bb.12:
	v_mov_b32_e32 v2, s25
	v_add_co_u32_e32 v12, vcc, s24, v22
	v_addc_co_u32_e32 v13, vcc, 0, v2, vcc
	flat_load_dword v2, v[12:13] offset:1024
.LBB6035_13:
	;; [unrolled: 11-line block ×7, first 2 shown]
	s_or_b64 exec, exec, s[4:5]
	v_or_b32_e32 v11, 0x400, v0
	v_cmp_gt_u32_e32 vcc, s30, v11
	s_and_saveexec_b64 s[4:5], vcc
	s_cbranch_execz .LBB6035_25
; %bb.24:
	v_lshlrev_b32_e32 v8, 2, v11
	v_mov_b32_e32 v11, s25
	v_add_co_u32_e32 v12, vcc, s24, v8
	v_addc_co_u32_e32 v13, vcc, 0, v11, vcc
	flat_load_dword v8, v[12:13]
.LBB6035_25:
	s_or_b64 exec, exec, s[4:5]
	v_or_b32_e32 v11, 0x480, v0
	v_cmp_gt_u32_e32 vcc, s30, v11
	s_and_saveexec_b64 s[4:5], vcc
	s_cbranch_execz .LBB6035_27
; %bb.26:
	v_lshlrev_b32_e32 v9, 2, v11
	v_mov_b32_e32 v11, s25
	v_add_co_u32_e32 v12, vcc, s24, v9
	v_addc_co_u32_e32 v13, vcc, 0, v11, vcc
	flat_load_dword v9, v[12:13]
.LBB6035_27:
	s_or_b64 exec, exec, s[4:5]
	s_waitcnt vmcnt(0) lgkmcnt(0)
	ds_write2st64_b32 v22, v10, v1 offset1:2
	ds_write2st64_b32 v22, v2, v3 offset0:4 offset1:6
	ds_write2st64_b32 v22, v4, v5 offset0:8 offset1:10
	ds_write2st64_b32 v22, v6, v7 offset0:12 offset1:14
	ds_write2st64_b32 v22, v8, v9 offset0:16 offset1:18
	s_waitcnt lgkmcnt(0)
	s_barrier
.LBB6035_28:
	v_mul_u32_u24_e32 v23, 10, v0
	v_lshlrev_b32_e32 v1, 2, v23
	ds_read2_b64 v[2:5], v1 offset1:1
	ds_read2_b64 v[16:19], v1 offset0:2 offset1:3
	ds_read_b64 v[20:21], v1 offset:32
	s_cmp_lg_u32 s33, 0
	v_lshrrev_b32_e32 v24, 5, v0
	v_cmp_gt_u32_e32 vcc, 64, v0
	s_waitcnt lgkmcnt(0)
	s_barrier
	s_cbranch_scc0 .LBB6035_57
; %bb.29:
	v_add_u32_e32 v6, v3, v2
	v_add3_u32 v6, v6, v4, v5
	v_add3_u32 v6, v6, v16, v17
	;; [unrolled: 1-line block ×4, first 2 shown]
	v_add_lshl_u32 v7, v24, v0, 2
	ds_write_b32 v7, v6
	s_waitcnt lgkmcnt(0)
	s_barrier
	s_and_saveexec_b64 s[24:25], vcc
	s_cbranch_execz .LBB6035_31
; %bb.30:
	v_lshlrev_b32_e32 v7, 1, v0
	v_lshrrev_b32_e32 v8, 4, v0
	v_add_lshl_u32 v7, v8, v7, 2
	ds_read2_b32 v[8:9], v7 offset1:1
	v_mbcnt_lo_u32_b32 v10, -1, 0
	v_mbcnt_hi_u32_b32 v10, -1, v10
	v_and_b32_e32 v11, 15, v10
	v_cmp_ne_u32_e64 s[4:5], 0, v11
	s_waitcnt lgkmcnt(0)
	v_add_u32_e32 v9, v9, v8
	; wave barrier
	s_nop 1
	v_mov_b32_dpp v12, v9 row_shr:1 row_mask:0xf bank_mask:0xf
	v_cndmask_b32_e64 v12, 0, v12, s[4:5]
	v_add_u32_e32 v9, v12, v9
	v_cmp_lt_u32_e64 s[4:5], 1, v11
	s_nop 0
	v_mov_b32_dpp v12, v9 row_shr:2 row_mask:0xf bank_mask:0xf
	v_cndmask_b32_e64 v12, 0, v12, s[4:5]
	v_add_u32_e32 v9, v9, v12
	v_cmp_lt_u32_e64 s[4:5], 3, v11
	;; [unrolled: 5-line block ×3, first 2 shown]
	s_nop 0
	v_mov_b32_dpp v12, v9 row_shr:8 row_mask:0xf bank_mask:0xf
	v_cndmask_b32_e64 v11, 0, v12, s[4:5]
	v_add_u32_e32 v9, v9, v11
	v_bfe_i32 v12, v10, 4, 1
	v_cmp_lt_u32_e64 s[4:5], 31, v10
	v_mov_b32_dpp v11, v9 row_bcast:15 row_mask:0xf bank_mask:0xf
	v_and_b32_e32 v11, v12, v11
	v_add_u32_e32 v9, v9, v11
	v_and_b32_e32 v12, 64, v10
	s_nop 0
	v_mov_b32_dpp v11, v9 row_bcast:31 row_mask:0xf bank_mask:0xf
	v_cndmask_b32_e64 v11, 0, v11, s[4:5]
	v_add_u32_e32 v9, v9, v11
	v_add_u32_e32 v11, -1, v10
	v_cmp_lt_i32_e64 s[4:5], v11, v12
	v_cndmask_b32_e64 v10, v11, v10, s[4:5]
	v_lshlrev_b32_e32 v10, 2, v10
	ds_bpermute_b32 v9, v10, v9
	s_waitcnt lgkmcnt(0)
	v_add_u32_e32 v8, v9, v8
	v_cndmask_b32_e64 v6, v8, v6, s[2:3]
	ds_write_b32 v7, v6
	; wave barrier
	ds_read_b32 v8, v7 offset:4
	s_waitcnt lgkmcnt(0)
	v_add_u32_e32 v6, v8, v6
	ds_write_b32 v7, v6 offset:4
.LBB6035_31:
	s_or_b64 exec, exec, s[24:25]
	v_mov_b32_e32 v25, 0
	s_waitcnt lgkmcnt(0)
	s_barrier
	s_and_saveexec_b64 s[4:5], s[0:1]
	s_cbranch_execz .LBB6035_33
; %bb.32:
	v_add_u32_e32 v6, -1, v0
	v_lshrrev_b32_e32 v7, 5, v6
	v_add_lshl_u32 v6, v7, v6, 2
	ds_read_b32 v25, v6
.LBB6035_33:
	s_or_b64 exec, exec, s[4:5]
	s_and_saveexec_b64 s[24:25], vcc
	s_cbranch_execz .LBB6035_56
; %bb.34:
	v_mov_b32_e32 v15, 0
	ds_read_b32 v6, v15 offset:520
	v_mbcnt_lo_u32_b32 v7, -1, 0
	v_mbcnt_hi_u32_b32 v9, -1, v7
	s_mov_b32 s29, 0
	v_cmp_eq_u32_e64 s[4:5], 0, v9
	s_and_saveexec_b64 s[26:27], s[4:5]
	s_cbranch_execz .LBB6035_36
; %bb.35:
	s_add_i32 s28, s33, 64
	s_lshl_b64 s[28:29], s[28:29], 3
	s_add_u32 s28, s6, s28
	v_mov_b32_e32 v7, 1
	s_addc_u32 s29, s7, s29
	s_waitcnt lgkmcnt(0)
	global_store_dwordx2 v15, v[6:7], s[28:29]
.LBB6035_36:
	s_or_b64 exec, exec, s[26:27]
	v_xad_u32 v8, v9, -1, s33
	v_add_u32_e32 v14, 64, v8
	v_lshlrev_b64 v[10:11], 3, v[14:15]
	v_mov_b32_e32 v7, s7
	v_add_co_u32_e32 v10, vcc, s6, v10
	v_addc_co_u32_e32 v11, vcc, v7, v11, vcc
	global_load_dwordx2 v[12:13], v[10:11], off glc
	s_waitcnt vmcnt(0)
	v_cmp_eq_u16_sdwa s[28:29], v13, v15 src0_sel:BYTE_0 src1_sel:DWORD
	s_and_saveexec_b64 s[26:27], s[28:29]
	s_cbranch_execz .LBB6035_42
; %bb.37:
	s_mov_b32 s34, 1
	s_mov_b64 s[28:29], 0
	v_mov_b32_e32 v7, 0
.LBB6035_38:                            ; =>This Loop Header: Depth=1
                                        ;     Child Loop BB6035_39 Depth 2
	s_max_u32 s35, s34, 1
.LBB6035_39:                            ;   Parent Loop BB6035_38 Depth=1
                                        ; =>  This Inner Loop Header: Depth=2
	s_add_i32 s35, s35, -1
	s_cmp_eq_u32 s35, 0
	s_sleep 1
	s_cbranch_scc0 .LBB6035_39
; %bb.40:                               ;   in Loop: Header=BB6035_38 Depth=1
	global_load_dwordx2 v[12:13], v[10:11], off glc
	s_cmp_lt_u32 s34, 32
	s_cselect_b64 s[36:37], -1, 0
	s_cmp_lg_u64 s[36:37], 0
	s_addc_u32 s34, s34, 0
	s_waitcnt vmcnt(0)
	v_cmp_ne_u16_sdwa s[36:37], v13, v7 src0_sel:BYTE_0 src1_sel:DWORD
	s_or_b64 s[28:29], s[36:37], s[28:29]
	s_andn2_b64 exec, exec, s[28:29]
	s_cbranch_execnz .LBB6035_38
; %bb.41:
	s_or_b64 exec, exec, s[28:29]
.LBB6035_42:
	s_or_b64 exec, exec, s[26:27]
	v_and_b32_e32 v26, 63, v9
	v_mov_b32_e32 v7, 2
	v_cmp_ne_u32_e32 vcc, 63, v26
	v_cmp_eq_u16_sdwa s[26:27], v13, v7 src0_sel:BYTE_0 src1_sel:DWORD
	v_lshlrev_b64 v[10:11], v9, -1
	v_addc_co_u32_e32 v27, vcc, 0, v9, vcc
	v_and_b32_e32 v14, s27, v11
	v_lshlrev_b32_e32 v27, 2, v27
	v_or_b32_e32 v14, 0x80000000, v14
	ds_bpermute_b32 v28, v27, v12
	v_and_b32_e32 v15, s26, v10
	v_ffbl_b32_e32 v14, v14
	v_add_u32_e32 v14, 32, v14
	v_ffbl_b32_e32 v15, v15
	v_min_u32_e32 v14, v15, v14
	v_cmp_lt_u32_e32 vcc, v26, v14
	s_waitcnt lgkmcnt(0)
	v_cndmask_b32_e32 v15, 0, v28, vcc
	v_cmp_gt_u32_e32 vcc, 62, v26
	v_add_u32_e32 v12, v15, v12
	v_cndmask_b32_e64 v15, 0, 1, vcc
	v_lshlrev_b32_e32 v15, 1, v15
	v_add_lshl_u32 v28, v15, v9, 2
	ds_bpermute_b32 v15, v28, v12
	v_add_u32_e32 v29, 2, v26
	v_cmp_le_u32_e32 vcc, v29, v14
	v_add_u32_e32 v31, 4, v26
	v_add_u32_e32 v33, 8, v26
	s_waitcnt lgkmcnt(0)
	v_cndmask_b32_e32 v15, 0, v15, vcc
	v_cmp_gt_u32_e32 vcc, 60, v26
	v_add_u32_e32 v12, v12, v15
	v_cndmask_b32_e64 v15, 0, 1, vcc
	v_lshlrev_b32_e32 v15, 2, v15
	v_add_lshl_u32 v30, v15, v9, 2
	ds_bpermute_b32 v15, v30, v12
	v_cmp_le_u32_e32 vcc, v31, v14
	v_add_u32_e32 v36, 16, v26
	v_add_u32_e32 v38, 32, v26
	s_waitcnt lgkmcnt(0)
	v_cndmask_b32_e32 v15, 0, v15, vcc
	v_cmp_gt_u32_e32 vcc, 56, v26
	v_add_u32_e32 v12, v12, v15
	v_cndmask_b32_e64 v15, 0, 1, vcc
	v_lshlrev_b32_e32 v15, 3, v15
	v_add_lshl_u32 v32, v15, v9, 2
	ds_bpermute_b32 v15, v32, v12
	v_cmp_le_u32_e32 vcc, v33, v14
	s_waitcnt lgkmcnt(0)
	v_cndmask_b32_e32 v15, 0, v15, vcc
	v_cmp_gt_u32_e32 vcc, 48, v26
	v_add_u32_e32 v12, v12, v15
	v_cndmask_b32_e64 v15, 0, 1, vcc
	v_lshlrev_b32_e32 v15, 4, v15
	v_add_lshl_u32 v35, v15, v9, 2
	ds_bpermute_b32 v15, v35, v12
	v_cmp_le_u32_e32 vcc, v36, v14
	;; [unrolled: 9-line block ×3, first 2 shown]
	s_waitcnt lgkmcnt(0)
	v_cndmask_b32_e32 v9, 0, v9, vcc
	v_add_u32_e32 v12, v12, v9
	v_mov_b32_e32 v9, 0
	s_branch .LBB6035_44
.LBB6035_43:                            ;   in Loop: Header=BB6035_44 Depth=1
	s_or_b64 exec, exec, s[26:27]
	v_cmp_eq_u16_sdwa s[26:27], v13, v7 src0_sel:BYTE_0 src1_sel:DWORD
	v_and_b32_e32 v14, s27, v11
	v_or_b32_e32 v14, 0x80000000, v14
	ds_bpermute_b32 v39, v27, v12
	v_and_b32_e32 v15, s26, v10
	v_ffbl_b32_e32 v14, v14
	v_add_u32_e32 v14, 32, v14
	v_ffbl_b32_e32 v15, v15
	v_min_u32_e32 v14, v15, v14
	v_cmp_lt_u32_e32 vcc, v26, v14
	s_waitcnt lgkmcnt(0)
	v_cndmask_b32_e32 v15, 0, v39, vcc
	v_add_u32_e32 v12, v15, v12
	ds_bpermute_b32 v15, v28, v12
	v_cmp_le_u32_e32 vcc, v29, v14
	v_subrev_u32_e32 v8, 64, v8
	s_waitcnt lgkmcnt(0)
	v_cndmask_b32_e32 v15, 0, v15, vcc
	v_add_u32_e32 v12, v12, v15
	ds_bpermute_b32 v15, v30, v12
	v_cmp_le_u32_e32 vcc, v31, v14
	s_waitcnt lgkmcnt(0)
	v_cndmask_b32_e32 v15, 0, v15, vcc
	v_add_u32_e32 v12, v12, v15
	ds_bpermute_b32 v15, v32, v12
	v_cmp_le_u32_e32 vcc, v33, v14
	;; [unrolled: 5-line block ×4, first 2 shown]
	s_waitcnt lgkmcnt(0)
	v_cndmask_b32_e32 v14, 0, v15, vcc
	v_add3_u32 v12, v14, v34, v12
.LBB6035_44:                            ; =>This Loop Header: Depth=1
                                        ;     Child Loop BB6035_47 Depth 2
                                        ;       Child Loop BB6035_48 Depth 3
	v_cmp_ne_u16_sdwa s[26:27], v13, v7 src0_sel:BYTE_0 src1_sel:DWORD
	v_cndmask_b32_e64 v13, 0, 1, s[26:27]
	;;#ASMSTART
	;;#ASMEND
	v_cmp_ne_u32_e32 vcc, 0, v13
	s_cmp_lg_u64 vcc, exec
	v_mov_b32_e32 v34, v12
	s_cbranch_scc1 .LBB6035_51
; %bb.45:                               ;   in Loop: Header=BB6035_44 Depth=1
	v_lshlrev_b64 v[12:13], 3, v[8:9]
	v_mov_b32_e32 v15, s7
	v_add_co_u32_e32 v14, vcc, s6, v12
	v_addc_co_u32_e32 v15, vcc, v15, v13, vcc
	global_load_dwordx2 v[12:13], v[14:15], off glc
	s_waitcnt vmcnt(0)
	v_cmp_eq_u16_sdwa s[28:29], v13, v9 src0_sel:BYTE_0 src1_sel:DWORD
	s_and_saveexec_b64 s[26:27], s[28:29]
	s_cbranch_execz .LBB6035_43
; %bb.46:                               ;   in Loop: Header=BB6035_44 Depth=1
	s_mov_b32 s34, 1
	s_mov_b64 s[28:29], 0
.LBB6035_47:                            ;   Parent Loop BB6035_44 Depth=1
                                        ; =>  This Loop Header: Depth=2
                                        ;       Child Loop BB6035_48 Depth 3
	s_max_u32 s35, s34, 1
.LBB6035_48:                            ;   Parent Loop BB6035_44 Depth=1
                                        ;     Parent Loop BB6035_47 Depth=2
                                        ; =>    This Inner Loop Header: Depth=3
	s_add_i32 s35, s35, -1
	s_cmp_eq_u32 s35, 0
	s_sleep 1
	s_cbranch_scc0 .LBB6035_48
; %bb.49:                               ;   in Loop: Header=BB6035_47 Depth=2
	global_load_dwordx2 v[12:13], v[14:15], off glc
	s_cmp_lt_u32 s34, 32
	s_cselect_b64 s[36:37], -1, 0
	s_cmp_lg_u64 s[36:37], 0
	s_addc_u32 s34, s34, 0
	s_waitcnt vmcnt(0)
	v_cmp_ne_u16_sdwa s[36:37], v13, v9 src0_sel:BYTE_0 src1_sel:DWORD
	s_or_b64 s[28:29], s[36:37], s[28:29]
	s_andn2_b64 exec, exec, s[28:29]
	s_cbranch_execnz .LBB6035_47
; %bb.50:                               ;   in Loop: Header=BB6035_44 Depth=1
	s_or_b64 exec, exec, s[28:29]
	s_branch .LBB6035_43
.LBB6035_51:                            ;   in Loop: Header=BB6035_44 Depth=1
                                        ; implicit-def: $vgpr12
                                        ; implicit-def: $vgpr13
	s_cbranch_execz .LBB6035_44
; %bb.52:
	s_and_saveexec_b64 s[26:27], s[4:5]
	s_cbranch_execz .LBB6035_54
; %bb.53:
	s_add_i32 s4, s33, 64
	s_mov_b32 s5, 0
	s_lshl_b64 s[4:5], s[4:5], 3
	s_add_u32 s4, s6, s4
	v_add_u32_e32 v6, v34, v6
	v_mov_b32_e32 v7, 2
	s_addc_u32 s5, s7, s5
	v_mov_b32_e32 v8, 0
	global_store_dwordx2 v8, v[6:7], s[4:5]
.LBB6035_54:
	s_or_b64 exec, exec, s[26:27]
	s_and_b64 exec, exec, s[2:3]
	s_cbranch_execz .LBB6035_56
; %bb.55:
	v_mov_b32_e32 v6, 0
	ds_write_b32 v6, v34
.LBB6035_56:
	s_or_b64 exec, exec, s[24:25]
	v_mov_b32_e32 v6, 0
	s_waitcnt lgkmcnt(0)
	s_barrier
	ds_read_b32 v6, v6
	s_waitcnt lgkmcnt(0)
	v_add3_u32 v6, v25, v2, v6
	v_add_u32_e32 v7, v6, v3
	v_add_u32_e32 v8, v7, v4
	;; [unrolled: 1-line block ×9, first 2 shown]
	s_branch .LBB6035_69
.LBB6035_57:
                                        ; implicit-def: $vgpr6_vgpr7_vgpr8_vgpr9_vgpr10_vgpr11_vgpr12_vgpr13_vgpr14_vgpr15
	s_cbranch_execz .LBB6035_69
; %bb.58:
	s_cmp_lg_u64 s[12:13], 0
	s_cselect_b64 s[4:5], -1, 0
	s_and_b64 s[12:13], s[2:3], s[4:5]
	v_mov_b32_e32 v12, v3
	v_mov_b32_e32 v13, v4
	;; [unrolled: 1-line block ×3, first 2 shown]
	s_and_saveexec_b64 s[4:5], s[12:13]
	s_cbranch_execz .LBB6035_60
; %bb.59:
	v_mov_b32_e32 v6, 0
	global_load_dword v6, v6, s[8:9]
	v_mov_b32_e32 v12, v3
	v_mov_b32_e32 v13, v4
	;; [unrolled: 1-line block ×3, first 2 shown]
	s_waitcnt vmcnt(0)
	v_add_u32_e32 v2, v6, v2
.LBB6035_60:
	s_or_b64 exec, exec, s[4:5]
	v_add_u32_e32 v3, v12, v2
	v_add_u32_e32 v4, v3, v13
	;; [unrolled: 1-line block ×9, first 2 shown]
	v_add_lshl_u32 v15, v24, v0, 2
	v_cmp_gt_u32_e32 vcc, 64, v0
	ds_write_b32 v15, v11
	s_waitcnt lgkmcnt(0)
	s_barrier
	s_and_saveexec_b64 s[4:5], vcc
	s_cbranch_execz .LBB6035_62
; %bb.61:
	v_lshlrev_b32_e32 v15, 1, v0
	v_lshrrev_b32_e32 v24, 4, v0
	v_add_lshl_u32 v15, v24, v15, 2
	ds_read2_b32 v[24:25], v15 offset1:1
	v_mbcnt_lo_u32_b32 v26, -1, 0
	v_mbcnt_hi_u32_b32 v26, -1, v26
	v_and_b32_e32 v27, 15, v26
	v_cmp_ne_u32_e32 vcc, 0, v27
	s_waitcnt lgkmcnt(0)
	v_add_u32_e32 v25, v25, v24
	; wave barrier
	s_nop 1
	v_mov_b32_dpp v28, v25 row_shr:1 row_mask:0xf bank_mask:0xf
	v_cndmask_b32_e32 v28, 0, v28, vcc
	v_add_u32_e32 v25, v28, v25
	v_cmp_lt_u32_e32 vcc, 1, v27
	s_nop 0
	v_mov_b32_dpp v28, v25 row_shr:2 row_mask:0xf bank_mask:0xf
	v_cndmask_b32_e32 v28, 0, v28, vcc
	v_add_u32_e32 v25, v25, v28
	v_cmp_lt_u32_e32 vcc, 3, v27
	;; [unrolled: 5-line block ×3, first 2 shown]
	s_nop 0
	v_mov_b32_dpp v28, v25 row_shr:8 row_mask:0xf bank_mask:0xf
	v_cndmask_b32_e32 v27, 0, v28, vcc
	v_add_u32_e32 v25, v25, v27
	v_bfe_i32 v28, v26, 4, 1
	v_cmp_lt_u32_e32 vcc, 31, v26
	v_mov_b32_dpp v27, v25 row_bcast:15 row_mask:0xf bank_mask:0xf
	v_and_b32_e32 v27, v28, v27
	v_add_u32_e32 v25, v25, v27
	v_and_b32_e32 v28, 64, v26
	s_nop 0
	v_mov_b32_dpp v27, v25 row_bcast:31 row_mask:0xf bank_mask:0xf
	v_cndmask_b32_e32 v27, 0, v27, vcc
	v_add_u32_e32 v25, v25, v27
	v_add_u32_e32 v27, -1, v26
	v_cmp_lt_i32_e32 vcc, v27, v28
	v_cndmask_b32_e32 v26, v27, v26, vcc
	v_lshlrev_b32_e32 v26, 2, v26
	ds_bpermute_b32 v25, v26, v25
	s_waitcnt lgkmcnt(0)
	v_add_u32_e32 v24, v25, v24
	v_cndmask_b32_e64 v24, v24, v11, s[2:3]
	ds_write_b32 v15, v24
	; wave barrier
	ds_read_b32 v25, v15 offset:4
	s_waitcnt lgkmcnt(0)
	v_add_u32_e32 v24, v25, v24
	ds_write_b32 v15, v24 offset:4
.LBB6035_62:
	s_or_b64 exec, exec, s[4:5]
	v_mov_b32_e32 v15, v11
	s_waitcnt lgkmcnt(0)
	s_barrier
	s_and_saveexec_b64 s[2:3], s[0:1]
	s_cbranch_execz .LBB6035_64
; %bb.63:
	v_add_u32_e32 v15, -1, v0
	v_lshrrev_b32_e32 v24, 5, v15
	v_add_lshl_u32 v15, v24, v15, 2
	ds_read_b32 v15, v15
.LBB6035_64:
	s_or_b64 exec, exec, s[2:3]
	s_and_saveexec_b64 s[2:3], s[0:1]
	s_cbranch_execz .LBB6035_66
; %bb.65:
	s_waitcnt lgkmcnt(0)
	v_add_u32_e32 v2, v15, v2
	v_add_u32_e32 v3, v2, v12
	;; [unrolled: 1-line block ×10, first 2 shown]
	;;#ASMSTART
	;;#ASMEND
.LBB6035_66:
	s_or_b64 exec, exec, s[2:3]
	s_movk_i32 s0, 0x7f
	v_cmp_eq_u32_e32 vcc, s0, v0
	s_and_saveexec_b64 s[0:1], vcc
	s_cbranch_execz .LBB6035_68
; %bb.67:
	v_mov_b32_e32 v14, 0
	v_mov_b32_e32 v13, 2
	;; [unrolled: 1-line block ×3, first 2 shown]
	global_store_dwordx2 v14, v[12:13], s[6:7] offset:512
.LBB6035_68:
	s_or_b64 exec, exec, s[0:1]
	s_waitcnt lgkmcnt(0)
	v_pk_mov_b32 v[14:15], v[10:11], v[10:11] op_sel:[0,1]
	v_pk_mov_b32 v[12:13], v[8:9], v[8:9] op_sel:[0,1]
	;; [unrolled: 1-line block ×5, first 2 shown]
.LBB6035_69:
	s_add_u32 s0, s20, s18
	s_addc_u32 s1, s21, s19
	s_add_u32 s2, s0, s22
	s_addc_u32 s3, s1, s23
	s_mov_b64 s[0:1], -1
	s_and_b64 vcc, exec, s[16:17]
	s_barrier
	s_cbranch_vccz .LBB6035_71
; %bb.70:
	ds_write2_b64 v1, v[6:7], v[8:9] offset1:1
	ds_write2_b64 v1, v[10:11], v[12:13] offset0:2 offset1:3
	ds_write_b64 v1, v[14:15] offset:32
	s_waitcnt lgkmcnt(0)
	s_barrier
	ds_read2st64_b32 v[2:3], v22 offset1:2
	ds_read2st64_b32 v[4:5], v22 offset0:4 offset1:6
	ds_read2st64_b32 v[16:17], v22 offset0:8 offset1:10
	;; [unrolled: 1-line block ×4, first 2 shown]
	s_waitcnt lgkmcnt(4)
	v_cvt_f32_u32_e32 v2, v2
	v_cvt_f32_u32_e32 v3, v3
	v_mov_b32_e32 v25, s3
	v_add_co_u32_e32 v24, vcc, s2, v22
	s_waitcnt lgkmcnt(3)
	v_cvt_f32_u32_e32 v4, v4
	v_addc_co_u32_e32 v25, vcc, 0, v25, vcc
	v_cvt_f32_u32_e32 v5, v5
	flat_store_dword v[24:25], v2
	flat_store_dword v[24:25], v3 offset:512
	flat_store_dword v[24:25], v4 offset:1024
	;; [unrolled: 1-line block ×3, first 2 shown]
	s_waitcnt lgkmcnt(0)
	v_cvt_f32_u32_e32 v2, v16
	v_cvt_f32_u32_e32 v3, v17
	;; [unrolled: 1-line block ×4, first 2 shown]
	flat_store_dword v[24:25], v2 offset:2048
	flat_store_dword v[24:25], v3 offset:2560
	;; [unrolled: 1-line block ×4, first 2 shown]
	v_cvt_f32_u32_e32 v4, v20
	v_cvt_f32_u32_e32 v5, v21
	v_add_co_u32_e32 v2, vcc, 0x1000, v24
	v_addc_co_u32_e32 v3, vcc, 0, v25, vcc
	flat_store_dword v[2:3], v4
	flat_store_dword v[2:3], v5 offset:512
	s_mov_b64 s[0:1], 0
.LBB6035_71:
	s_andn2_b64 vcc, exec, s[0:1]
	s_cbranch_vccnz .LBB6035_127
; %bb.72:
	ds_write2_b64 v1, v[6:7], v[8:9] offset1:1
	ds_write2_b64 v1, v[10:11], v[12:13] offset0:2 offset1:3
	ds_write_b64 v1, v[14:15] offset:32
	s_waitcnt lgkmcnt(0)
	s_barrier
	ds_read2st64_b32 v[2:3], v22 offset1:2
	ds_read2st64_b32 v[6:7], v22 offset0:4 offset1:6
	ds_read2st64_b32 v[4:5], v22 offset0:8 offset1:10
	;; [unrolled: 1-line block ×4, first 2 shown]
	v_mov_b32_e32 v13, s3
	v_add_co_u32_e32 v12, vcc, s2, v22
	v_addc_co_u32_e32 v13, vcc, 0, v13, vcc
	v_mov_b32_e32 v1, 0
	v_cmp_gt_u32_e32 vcc, s30, v0
	s_and_saveexec_b64 s[0:1], vcc
	s_cbranch_execz .LBB6035_74
; %bb.73:
	s_waitcnt lgkmcnt(0)
	v_cvt_f32_u32_e32 v14, v2
	flat_store_dword v[12:13], v14
.LBB6035_74:
	s_or_b64 exec, exec, s[0:1]
	v_or_b32_e32 v14, 0x80, v0
	v_cmp_gt_u32_e32 vcc, s30, v14
	s_and_saveexec_b64 s[0:1], vcc
	s_cbranch_execz .LBB6035_76
; %bb.75:
	s_waitcnt lgkmcnt(0)
	v_cvt_f32_u32_e32 v14, v3
	flat_store_dword v[12:13], v14 offset:512
.LBB6035_76:
	s_or_b64 exec, exec, s[0:1]
	v_or_b32_e32 v14, 0x100, v0
	v_cmp_gt_u32_e32 vcc, s30, v14
	s_and_saveexec_b64 s[0:1], vcc
	s_cbranch_execz .LBB6035_78
; %bb.77:
	s_waitcnt lgkmcnt(0)
	v_cvt_f32_u32_e32 v14, v6
	flat_store_dword v[12:13], v14 offset:1024
.LBB6035_78:
	;; [unrolled: 10-line block ×7, first 2 shown]
	s_or_b64 exec, exec, s[0:1]
	v_or_b32_e32 v14, 0x400, v0
	v_cmp_gt_u32_e32 vcc, s30, v14
	s_and_saveexec_b64 s[0:1], vcc
	s_cbranch_execz .LBB6035_90
; %bb.89:
	s_waitcnt lgkmcnt(0)
	v_cvt_f32_u32_e32 v16, v10
	v_add_co_u32_e32 v14, vcc, 0x1000, v12
	v_addc_co_u32_e32 v15, vcc, 0, v13, vcc
	flat_store_dword v[14:15], v16
.LBB6035_90:
	s_or_b64 exec, exec, s[0:1]
	v_or_b32_e32 v14, 0x480, v0
	v_cmp_gt_u32_e32 vcc, s30, v14
	s_and_saveexec_b64 s[0:1], vcc
	s_cbranch_execz .LBB6035_92
; %bb.91:
	s_waitcnt lgkmcnt(0)
	v_cvt_f32_u32_e32 v14, v11
	v_add_co_u32_e32 v12, vcc, 0x1000, v12
	v_addc_co_u32_e32 v13, vcc, 0, v13, vcc
	flat_store_dword v[12:13], v14 offset:512
.LBB6035_92:
	s_or_b64 exec, exec, s[0:1]
	v_cmp_lt_u64_e64 s[0:1], s[14:15], 2
	s_and_b64 vcc, exec, s[0:1]
	s_cbranch_vccnz .LBB6035_127
; %bb.93:
	s_add_u32 s0, s30, -1
	s_addc_u32 s1, s31, -1
	s_add_u32 s2, 0, 0x99986000
	s_addc_u32 s3, 0, 0x59
	s_add_i32 s3, s3, 0x19999940
	s_mul_hi_u32 s7, s2, -10
	s_sub_i32 s7, s7, s2
	s_mul_i32 s8, s3, -10
	s_mul_i32 s4, s2, -10
	s_add_i32 s7, s7, s8
	s_mul_hi_u32 s5, s3, s4
	s_mul_i32 s6, s3, s4
	s_mul_i32 s9, s2, s7
	s_mul_hi_u32 s4, s2, s4
	s_mul_hi_u32 s8, s2, s7
	s_add_u32 s4, s4, s9
	s_addc_u32 s8, 0, s8
	s_add_u32 s4, s4, s6
	s_mul_hi_u32 s9, s3, s7
	s_addc_u32 s4, s8, s5
	s_addc_u32 s5, s9, 0
	s_mul_i32 s6, s3, s7
	s_add_u32 s4, s4, s6
	v_mov_b32_e32 v12, s4
	s_addc_u32 s5, 0, s5
	v_add_co_u32_e32 v12, vcc, s2, v12
	s_cmp_lg_u64 vcc, 0
	s_addc_u32 s2, s3, s5
	v_readfirstlane_b32 s5, v12
	s_mul_i32 s4, s0, s2
	s_mul_hi_u32 s6, s0, s5
	s_mul_hi_u32 s3, s0, s2
	s_add_u32 s4, s6, s4
	s_addc_u32 s3, 0, s3
	s_mul_hi_u32 s7, s1, s5
	s_mul_i32 s5, s1, s5
	s_add_u32 s4, s4, s5
	s_mul_hi_u32 s6, s1, s2
	s_addc_u32 s3, s3, s7
	s_addc_u32 s4, s6, 0
	s_mul_i32 s2, s1, s2
	s_add_u32 s2, s3, s2
	s_addc_u32 s3, 0, s4
	s_add_u32 s4, s2, 1
	s_addc_u32 s5, s3, 0
	s_add_u32 s6, s2, 2
	s_mul_i32 s8, s3, 10
	s_mul_hi_u32 s9, s2, 10
	s_addc_u32 s7, s3, 0
	s_add_i32 s9, s9, s8
	s_mul_i32 s8, s2, 10
	v_mov_b32_e32 v12, s8
	v_sub_co_u32_e32 v12, vcc, s0, v12
	s_cmp_lg_u64 vcc, 0
	s_subb_u32 s8, s1, s9
	v_subrev_co_u32_e32 v13, vcc, 10, v12
	s_cmp_lg_u64 vcc, 0
	s_subb_u32 s9, s8, 0
	v_readfirstlane_b32 s12, v13
	s_cmp_gt_u32 s12, 9
	s_cselect_b32 s12, -1, 0
	s_cmp_eq_u32 s9, 0
	s_cselect_b32 s9, s12, -1
	s_cmp_lg_u32 s9, 0
	s_cselect_b32 s4, s6, s4
	v_readfirstlane_b32 s6, v12
	s_cselect_b32 s5, s7, s5
	s_cmp_gt_u32 s6, 9
	s_cselect_b32 s6, -1, 0
	s_cmp_eq_u32 s8, 0
	s_cselect_b32 s6, s6, -1
	s_cmp_lg_u32 s6, 0
	s_cselect_b32 s3, s5, s3
	s_cselect_b32 s2, s4, s2
	v_cmp_eq_u64_e32 vcc, s[2:3], v[0:1]
	s_and_saveexec_b64 s[2:3], vcc
	s_cbranch_execz .LBB6035_127
; %bb.94:
	v_mul_hi_u32_u24_e32 v1, 10, v0
	v_mov_b32_e32 v12, s1
	v_sub_co_u32_e32 v0, vcc, s0, v23
	v_subb_co_u32_e32 v1, vcc, v12, v1, vcc
	v_cmp_lt_i64_e32 vcc, 4, v[0:1]
	s_and_saveexec_b64 s[0:1], vcc
	s_xor_b64 s[0:1], exec, s[0:1]
	s_cbranch_execz .LBB6035_112
; %bb.95:
	v_cmp_lt_i64_e32 vcc, 6, v[0:1]
	s_and_saveexec_b64 s[2:3], vcc
	s_xor_b64 s[2:3], exec, s[2:3]
	s_cbranch_execz .LBB6035_105
; %bb.96:
	;; [unrolled: 5-line block ×4, first 2 shown]
	v_mov_b32_e32 v0, 0
	s_waitcnt lgkmcnt(0)
	global_store_dword v0, v11, s[10:11]
                                        ; implicit-def: $vgpr10_vgpr11
.LBB6035_99:
	s_andn2_saveexec_b64 s[6:7], s[6:7]
	s_cbranch_execz .LBB6035_101
; %bb.100:
	v_mov_b32_e32 v0, 0
	s_waitcnt lgkmcnt(0)
	global_store_dword v0, v10, s[10:11]
.LBB6035_101:
	s_or_b64 exec, exec, s[6:7]
                                        ; implicit-def: $vgpr8_vgpr9
.LBB6035_102:
	s_andn2_saveexec_b64 s[4:5], s[4:5]
	s_cbranch_execz .LBB6035_104
; %bb.103:
	v_mov_b32_e32 v0, 0
	s_waitcnt lgkmcnt(0)
	global_store_dword v0, v9, s[10:11]
.LBB6035_104:
	s_or_b64 exec, exec, s[4:5]
                                        ; implicit-def: $vgpr4_vgpr5
                                        ; implicit-def: $vgpr0_vgpr1
                                        ; implicit-def: $vgpr8_vgpr9
.LBB6035_105:
	s_andn2_saveexec_b64 s[2:3], s[2:3]
	s_cbranch_execz .LBB6035_111
; %bb.106:
	v_cmp_lt_i64_e32 vcc, 5, v[0:1]
	s_and_saveexec_b64 s[4:5], vcc
	s_xor_b64 s[4:5], exec, s[4:5]
	s_cbranch_execz .LBB6035_108
; %bb.107:
	v_mov_b32_e32 v0, 0
	s_waitcnt lgkmcnt(0)
	global_store_dword v0, v8, s[10:11]
                                        ; implicit-def: $vgpr4_vgpr5
.LBB6035_108:
	s_andn2_saveexec_b64 s[4:5], s[4:5]
	s_cbranch_execz .LBB6035_110
; %bb.109:
	v_mov_b32_e32 v0, 0
	s_waitcnt lgkmcnt(0)
	global_store_dword v0, v5, s[10:11]
.LBB6035_110:
	s_or_b64 exec, exec, s[4:5]
.LBB6035_111:
	s_or_b64 exec, exec, s[2:3]
                                        ; implicit-def: $vgpr0_vgpr1
                                        ; implicit-def: $vgpr6_vgpr7
                                        ; implicit-def: $vgpr2_vgpr3
                                        ; implicit-def: $vgpr4_vgpr5
.LBB6035_112:
	s_andn2_saveexec_b64 s[0:1], s[0:1]
	s_cbranch_execz .LBB6035_127
; %bb.113:
	v_cmp_lt_i64_e32 vcc, 2, v[0:1]
	s_and_saveexec_b64 s[0:1], vcc
	s_xor_b64 s[0:1], exec, s[0:1]
	s_cbranch_execz .LBB6035_119
; %bb.114:
	v_cmp_lt_i64_e32 vcc, 3, v[0:1]
	s_and_saveexec_b64 s[2:3], vcc
	s_xor_b64 s[2:3], exec, s[2:3]
	s_cbranch_execz .LBB6035_116
; %bb.115:
	v_mov_b32_e32 v0, 0
	s_waitcnt lgkmcnt(0)
	global_store_dword v0, v4, s[10:11]
                                        ; implicit-def: $vgpr6_vgpr7
.LBB6035_116:
	s_andn2_saveexec_b64 s[2:3], s[2:3]
	s_cbranch_execz .LBB6035_118
; %bb.117:
	v_mov_b32_e32 v0, 0
	s_waitcnt lgkmcnt(0)
	global_store_dword v0, v7, s[10:11]
.LBB6035_118:
	s_or_b64 exec, exec, s[2:3]
                                        ; implicit-def: $vgpr0_vgpr1
                                        ; implicit-def: $vgpr6_vgpr7
                                        ; implicit-def: $vgpr2_vgpr3
.LBB6035_119:
	s_andn2_saveexec_b64 s[0:1], s[0:1]
	s_cbranch_execz .LBB6035_127
; %bb.120:
	v_cmp_lt_i64_e32 vcc, 1, v[0:1]
	s_and_saveexec_b64 s[0:1], vcc
	s_xor_b64 s[0:1], exec, s[0:1]
	s_cbranch_execz .LBB6035_122
; %bb.121:
	v_mov_b32_e32 v0, 0
	s_waitcnt lgkmcnt(0)
	global_store_dword v0, v6, s[10:11]
                                        ; implicit-def: $vgpr2_vgpr3
                                        ; implicit-def: $vgpr0_vgpr1
.LBB6035_122:
	s_andn2_saveexec_b64 s[0:1], s[0:1]
	s_cbranch_execz .LBB6035_127
; %bb.123:
	v_cmp_ne_u64_e32 vcc, 1, v[0:1]
	s_and_saveexec_b64 s[0:1], vcc
	s_xor_b64 s[0:1], exec, s[0:1]
	s_cbranch_execz .LBB6035_125
; %bb.124:
	v_mov_b32_e32 v0, 0
	s_waitcnt lgkmcnt(0)
	global_store_dword v0, v2, s[10:11]
                                        ; implicit-def: $vgpr2_vgpr3
.LBB6035_125:
	s_andn2_saveexec_b64 s[0:1], s[0:1]
	s_cbranch_execz .LBB6035_127
; %bb.126:
	v_mov_b32_e32 v0, 0
	s_waitcnt lgkmcnt(0)
	global_store_dword v0, v3, s[10:11]
.LBB6035_127:
	s_endpgm
	.section	.rodata,"a",@progbits
	.p2align	6, 0x0
	.amdhsa_kernel _ZN7rocprim17ROCPRIM_400000_NS6detail17trampoline_kernelINS0_14default_configENS1_20scan_config_selectorIjEEZZNS1_9scan_implILNS1_25lookback_scan_determinismE0ELb0ELb0ES3_N6thrust23THRUST_200600_302600_NS6detail15normal_iteratorINS9_10device_ptrIjEEEENSB_INSC_IfEEEEjNS9_4plusIvEEjEEDaPvRmT3_T4_T5_mT6_P12ihipStream_tbENKUlT_T0_E_clISt17integral_constantIbLb1EESW_EEDaSR_SS_EUlSR_E_NS1_11comp_targetILNS1_3genE4ELNS1_11target_archE910ELNS1_3gpuE8ELNS1_3repE0EEENS1_30default_config_static_selectorELNS0_4arch9wavefront6targetE1EEEvT1_
		.amdhsa_group_segment_fixed_size 5120
		.amdhsa_private_segment_fixed_size 0
		.amdhsa_kernarg_size 96
		.amdhsa_user_sgpr_count 6
		.amdhsa_user_sgpr_private_segment_buffer 1
		.amdhsa_user_sgpr_dispatch_ptr 0
		.amdhsa_user_sgpr_queue_ptr 0
		.amdhsa_user_sgpr_kernarg_segment_ptr 1
		.amdhsa_user_sgpr_dispatch_id 0
		.amdhsa_user_sgpr_flat_scratch_init 0
		.amdhsa_user_sgpr_kernarg_preload_length 0
		.amdhsa_user_sgpr_kernarg_preload_offset 0
		.amdhsa_user_sgpr_private_segment_size 0
		.amdhsa_uses_dynamic_stack 0
		.amdhsa_system_sgpr_private_segment_wavefront_offset 0
		.amdhsa_system_sgpr_workgroup_id_x 1
		.amdhsa_system_sgpr_workgroup_id_y 0
		.amdhsa_system_sgpr_workgroup_id_z 0
		.amdhsa_system_sgpr_workgroup_info 0
		.amdhsa_system_vgpr_workitem_id 0
		.amdhsa_next_free_vgpr 40
		.amdhsa_next_free_sgpr 38
		.amdhsa_accum_offset 40
		.amdhsa_reserve_vcc 1
		.amdhsa_reserve_flat_scratch 0
		.amdhsa_float_round_mode_32 0
		.amdhsa_float_round_mode_16_64 0
		.amdhsa_float_denorm_mode_32 3
		.amdhsa_float_denorm_mode_16_64 3
		.amdhsa_dx10_clamp 1
		.amdhsa_ieee_mode 1
		.amdhsa_fp16_overflow 0
		.amdhsa_tg_split 0
		.amdhsa_exception_fp_ieee_invalid_op 0
		.amdhsa_exception_fp_denorm_src 0
		.amdhsa_exception_fp_ieee_div_zero 0
		.amdhsa_exception_fp_ieee_overflow 0
		.amdhsa_exception_fp_ieee_underflow 0
		.amdhsa_exception_fp_ieee_inexact 0
		.amdhsa_exception_int_div_zero 0
	.end_amdhsa_kernel
	.section	.text._ZN7rocprim17ROCPRIM_400000_NS6detail17trampoline_kernelINS0_14default_configENS1_20scan_config_selectorIjEEZZNS1_9scan_implILNS1_25lookback_scan_determinismE0ELb0ELb0ES3_N6thrust23THRUST_200600_302600_NS6detail15normal_iteratorINS9_10device_ptrIjEEEENSB_INSC_IfEEEEjNS9_4plusIvEEjEEDaPvRmT3_T4_T5_mT6_P12ihipStream_tbENKUlT_T0_E_clISt17integral_constantIbLb1EESW_EEDaSR_SS_EUlSR_E_NS1_11comp_targetILNS1_3genE4ELNS1_11target_archE910ELNS1_3gpuE8ELNS1_3repE0EEENS1_30default_config_static_selectorELNS0_4arch9wavefront6targetE1EEEvT1_,"axG",@progbits,_ZN7rocprim17ROCPRIM_400000_NS6detail17trampoline_kernelINS0_14default_configENS1_20scan_config_selectorIjEEZZNS1_9scan_implILNS1_25lookback_scan_determinismE0ELb0ELb0ES3_N6thrust23THRUST_200600_302600_NS6detail15normal_iteratorINS9_10device_ptrIjEEEENSB_INSC_IfEEEEjNS9_4plusIvEEjEEDaPvRmT3_T4_T5_mT6_P12ihipStream_tbENKUlT_T0_E_clISt17integral_constantIbLb1EESW_EEDaSR_SS_EUlSR_E_NS1_11comp_targetILNS1_3genE4ELNS1_11target_archE910ELNS1_3gpuE8ELNS1_3repE0EEENS1_30default_config_static_selectorELNS0_4arch9wavefront6targetE1EEEvT1_,comdat
.Lfunc_end6035:
	.size	_ZN7rocprim17ROCPRIM_400000_NS6detail17trampoline_kernelINS0_14default_configENS1_20scan_config_selectorIjEEZZNS1_9scan_implILNS1_25lookback_scan_determinismE0ELb0ELb0ES3_N6thrust23THRUST_200600_302600_NS6detail15normal_iteratorINS9_10device_ptrIjEEEENSB_INSC_IfEEEEjNS9_4plusIvEEjEEDaPvRmT3_T4_T5_mT6_P12ihipStream_tbENKUlT_T0_E_clISt17integral_constantIbLb1EESW_EEDaSR_SS_EUlSR_E_NS1_11comp_targetILNS1_3genE4ELNS1_11target_archE910ELNS1_3gpuE8ELNS1_3repE0EEENS1_30default_config_static_selectorELNS0_4arch9wavefront6targetE1EEEvT1_, .Lfunc_end6035-_ZN7rocprim17ROCPRIM_400000_NS6detail17trampoline_kernelINS0_14default_configENS1_20scan_config_selectorIjEEZZNS1_9scan_implILNS1_25lookback_scan_determinismE0ELb0ELb0ES3_N6thrust23THRUST_200600_302600_NS6detail15normal_iteratorINS9_10device_ptrIjEEEENSB_INSC_IfEEEEjNS9_4plusIvEEjEEDaPvRmT3_T4_T5_mT6_P12ihipStream_tbENKUlT_T0_E_clISt17integral_constantIbLb1EESW_EEDaSR_SS_EUlSR_E_NS1_11comp_targetILNS1_3genE4ELNS1_11target_archE910ELNS1_3gpuE8ELNS1_3repE0EEENS1_30default_config_static_selectorELNS0_4arch9wavefront6targetE1EEEvT1_
                                        ; -- End function
	.section	.AMDGPU.csdata,"",@progbits
; Kernel info:
; codeLenInByte = 4728
; NumSgprs: 42
; NumVgprs: 40
; NumAgprs: 0
; TotalNumVgprs: 40
; ScratchSize: 0
; MemoryBound: 0
; FloatMode: 240
; IeeeMode: 1
; LDSByteSize: 5120 bytes/workgroup (compile time only)
; SGPRBlocks: 5
; VGPRBlocks: 4
; NumSGPRsForWavesPerEU: 42
; NumVGPRsForWavesPerEU: 40
; AccumOffset: 40
; Occupancy: 6
; WaveLimiterHint : 1
; COMPUTE_PGM_RSRC2:SCRATCH_EN: 0
; COMPUTE_PGM_RSRC2:USER_SGPR: 6
; COMPUTE_PGM_RSRC2:TRAP_HANDLER: 0
; COMPUTE_PGM_RSRC2:TGID_X_EN: 1
; COMPUTE_PGM_RSRC2:TGID_Y_EN: 0
; COMPUTE_PGM_RSRC2:TGID_Z_EN: 0
; COMPUTE_PGM_RSRC2:TIDIG_COMP_CNT: 0
; COMPUTE_PGM_RSRC3_GFX90A:ACCUM_OFFSET: 9
; COMPUTE_PGM_RSRC3_GFX90A:TG_SPLIT: 0
	.section	.text._ZN7rocprim17ROCPRIM_400000_NS6detail17trampoline_kernelINS0_14default_configENS1_20scan_config_selectorIjEEZZNS1_9scan_implILNS1_25lookback_scan_determinismE0ELb0ELb0ES3_N6thrust23THRUST_200600_302600_NS6detail15normal_iteratorINS9_10device_ptrIjEEEENSB_INSC_IfEEEEjNS9_4plusIvEEjEEDaPvRmT3_T4_T5_mT6_P12ihipStream_tbENKUlT_T0_E_clISt17integral_constantIbLb1EESW_EEDaSR_SS_EUlSR_E_NS1_11comp_targetILNS1_3genE3ELNS1_11target_archE908ELNS1_3gpuE7ELNS1_3repE0EEENS1_30default_config_static_selectorELNS0_4arch9wavefront6targetE1EEEvT1_,"axG",@progbits,_ZN7rocprim17ROCPRIM_400000_NS6detail17trampoline_kernelINS0_14default_configENS1_20scan_config_selectorIjEEZZNS1_9scan_implILNS1_25lookback_scan_determinismE0ELb0ELb0ES3_N6thrust23THRUST_200600_302600_NS6detail15normal_iteratorINS9_10device_ptrIjEEEENSB_INSC_IfEEEEjNS9_4plusIvEEjEEDaPvRmT3_T4_T5_mT6_P12ihipStream_tbENKUlT_T0_E_clISt17integral_constantIbLb1EESW_EEDaSR_SS_EUlSR_E_NS1_11comp_targetILNS1_3genE3ELNS1_11target_archE908ELNS1_3gpuE7ELNS1_3repE0EEENS1_30default_config_static_selectorELNS0_4arch9wavefront6targetE1EEEvT1_,comdat
	.protected	_ZN7rocprim17ROCPRIM_400000_NS6detail17trampoline_kernelINS0_14default_configENS1_20scan_config_selectorIjEEZZNS1_9scan_implILNS1_25lookback_scan_determinismE0ELb0ELb0ES3_N6thrust23THRUST_200600_302600_NS6detail15normal_iteratorINS9_10device_ptrIjEEEENSB_INSC_IfEEEEjNS9_4plusIvEEjEEDaPvRmT3_T4_T5_mT6_P12ihipStream_tbENKUlT_T0_E_clISt17integral_constantIbLb1EESW_EEDaSR_SS_EUlSR_E_NS1_11comp_targetILNS1_3genE3ELNS1_11target_archE908ELNS1_3gpuE7ELNS1_3repE0EEENS1_30default_config_static_selectorELNS0_4arch9wavefront6targetE1EEEvT1_ ; -- Begin function _ZN7rocprim17ROCPRIM_400000_NS6detail17trampoline_kernelINS0_14default_configENS1_20scan_config_selectorIjEEZZNS1_9scan_implILNS1_25lookback_scan_determinismE0ELb0ELb0ES3_N6thrust23THRUST_200600_302600_NS6detail15normal_iteratorINS9_10device_ptrIjEEEENSB_INSC_IfEEEEjNS9_4plusIvEEjEEDaPvRmT3_T4_T5_mT6_P12ihipStream_tbENKUlT_T0_E_clISt17integral_constantIbLb1EESW_EEDaSR_SS_EUlSR_E_NS1_11comp_targetILNS1_3genE3ELNS1_11target_archE908ELNS1_3gpuE7ELNS1_3repE0EEENS1_30default_config_static_selectorELNS0_4arch9wavefront6targetE1EEEvT1_
	.globl	_ZN7rocprim17ROCPRIM_400000_NS6detail17trampoline_kernelINS0_14default_configENS1_20scan_config_selectorIjEEZZNS1_9scan_implILNS1_25lookback_scan_determinismE0ELb0ELb0ES3_N6thrust23THRUST_200600_302600_NS6detail15normal_iteratorINS9_10device_ptrIjEEEENSB_INSC_IfEEEEjNS9_4plusIvEEjEEDaPvRmT3_T4_T5_mT6_P12ihipStream_tbENKUlT_T0_E_clISt17integral_constantIbLb1EESW_EEDaSR_SS_EUlSR_E_NS1_11comp_targetILNS1_3genE3ELNS1_11target_archE908ELNS1_3gpuE7ELNS1_3repE0EEENS1_30default_config_static_selectorELNS0_4arch9wavefront6targetE1EEEvT1_
	.p2align	8
	.type	_ZN7rocprim17ROCPRIM_400000_NS6detail17trampoline_kernelINS0_14default_configENS1_20scan_config_selectorIjEEZZNS1_9scan_implILNS1_25lookback_scan_determinismE0ELb0ELb0ES3_N6thrust23THRUST_200600_302600_NS6detail15normal_iteratorINS9_10device_ptrIjEEEENSB_INSC_IfEEEEjNS9_4plusIvEEjEEDaPvRmT3_T4_T5_mT6_P12ihipStream_tbENKUlT_T0_E_clISt17integral_constantIbLb1EESW_EEDaSR_SS_EUlSR_E_NS1_11comp_targetILNS1_3genE3ELNS1_11target_archE908ELNS1_3gpuE7ELNS1_3repE0EEENS1_30default_config_static_selectorELNS0_4arch9wavefront6targetE1EEEvT1_,@function
_ZN7rocprim17ROCPRIM_400000_NS6detail17trampoline_kernelINS0_14default_configENS1_20scan_config_selectorIjEEZZNS1_9scan_implILNS1_25lookback_scan_determinismE0ELb0ELb0ES3_N6thrust23THRUST_200600_302600_NS6detail15normal_iteratorINS9_10device_ptrIjEEEENSB_INSC_IfEEEEjNS9_4plusIvEEjEEDaPvRmT3_T4_T5_mT6_P12ihipStream_tbENKUlT_T0_E_clISt17integral_constantIbLb1EESW_EEDaSR_SS_EUlSR_E_NS1_11comp_targetILNS1_3genE3ELNS1_11target_archE908ELNS1_3gpuE7ELNS1_3repE0EEENS1_30default_config_static_selectorELNS0_4arch9wavefront6targetE1EEEvT1_: ; @_ZN7rocprim17ROCPRIM_400000_NS6detail17trampoline_kernelINS0_14default_configENS1_20scan_config_selectorIjEEZZNS1_9scan_implILNS1_25lookback_scan_determinismE0ELb0ELb0ES3_N6thrust23THRUST_200600_302600_NS6detail15normal_iteratorINS9_10device_ptrIjEEEENSB_INSC_IfEEEEjNS9_4plusIvEEjEEDaPvRmT3_T4_T5_mT6_P12ihipStream_tbENKUlT_T0_E_clISt17integral_constantIbLb1EESW_EEDaSR_SS_EUlSR_E_NS1_11comp_targetILNS1_3genE3ELNS1_11target_archE908ELNS1_3gpuE7ELNS1_3repE0EEENS1_30default_config_static_selectorELNS0_4arch9wavefront6targetE1EEEvT1_
; %bb.0:
	.section	.rodata,"a",@progbits
	.p2align	6, 0x0
	.amdhsa_kernel _ZN7rocprim17ROCPRIM_400000_NS6detail17trampoline_kernelINS0_14default_configENS1_20scan_config_selectorIjEEZZNS1_9scan_implILNS1_25lookback_scan_determinismE0ELb0ELb0ES3_N6thrust23THRUST_200600_302600_NS6detail15normal_iteratorINS9_10device_ptrIjEEEENSB_INSC_IfEEEEjNS9_4plusIvEEjEEDaPvRmT3_T4_T5_mT6_P12ihipStream_tbENKUlT_T0_E_clISt17integral_constantIbLb1EESW_EEDaSR_SS_EUlSR_E_NS1_11comp_targetILNS1_3genE3ELNS1_11target_archE908ELNS1_3gpuE7ELNS1_3repE0EEENS1_30default_config_static_selectorELNS0_4arch9wavefront6targetE1EEEvT1_
		.amdhsa_group_segment_fixed_size 0
		.amdhsa_private_segment_fixed_size 0
		.amdhsa_kernarg_size 96
		.amdhsa_user_sgpr_count 6
		.amdhsa_user_sgpr_private_segment_buffer 1
		.amdhsa_user_sgpr_dispatch_ptr 0
		.amdhsa_user_sgpr_queue_ptr 0
		.amdhsa_user_sgpr_kernarg_segment_ptr 1
		.amdhsa_user_sgpr_dispatch_id 0
		.amdhsa_user_sgpr_flat_scratch_init 0
		.amdhsa_user_sgpr_kernarg_preload_length 0
		.amdhsa_user_sgpr_kernarg_preload_offset 0
		.amdhsa_user_sgpr_private_segment_size 0
		.amdhsa_uses_dynamic_stack 0
		.amdhsa_system_sgpr_private_segment_wavefront_offset 0
		.amdhsa_system_sgpr_workgroup_id_x 1
		.amdhsa_system_sgpr_workgroup_id_y 0
		.amdhsa_system_sgpr_workgroup_id_z 0
		.amdhsa_system_sgpr_workgroup_info 0
		.amdhsa_system_vgpr_workitem_id 0
		.amdhsa_next_free_vgpr 1
		.amdhsa_next_free_sgpr 0
		.amdhsa_accum_offset 4
		.amdhsa_reserve_vcc 0
		.amdhsa_reserve_flat_scratch 0
		.amdhsa_float_round_mode_32 0
		.amdhsa_float_round_mode_16_64 0
		.amdhsa_float_denorm_mode_32 3
		.amdhsa_float_denorm_mode_16_64 3
		.amdhsa_dx10_clamp 1
		.amdhsa_ieee_mode 1
		.amdhsa_fp16_overflow 0
		.amdhsa_tg_split 0
		.amdhsa_exception_fp_ieee_invalid_op 0
		.amdhsa_exception_fp_denorm_src 0
		.amdhsa_exception_fp_ieee_div_zero 0
		.amdhsa_exception_fp_ieee_overflow 0
		.amdhsa_exception_fp_ieee_underflow 0
		.amdhsa_exception_fp_ieee_inexact 0
		.amdhsa_exception_int_div_zero 0
	.end_amdhsa_kernel
	.section	.text._ZN7rocprim17ROCPRIM_400000_NS6detail17trampoline_kernelINS0_14default_configENS1_20scan_config_selectorIjEEZZNS1_9scan_implILNS1_25lookback_scan_determinismE0ELb0ELb0ES3_N6thrust23THRUST_200600_302600_NS6detail15normal_iteratorINS9_10device_ptrIjEEEENSB_INSC_IfEEEEjNS9_4plusIvEEjEEDaPvRmT3_T4_T5_mT6_P12ihipStream_tbENKUlT_T0_E_clISt17integral_constantIbLb1EESW_EEDaSR_SS_EUlSR_E_NS1_11comp_targetILNS1_3genE3ELNS1_11target_archE908ELNS1_3gpuE7ELNS1_3repE0EEENS1_30default_config_static_selectorELNS0_4arch9wavefront6targetE1EEEvT1_,"axG",@progbits,_ZN7rocprim17ROCPRIM_400000_NS6detail17trampoline_kernelINS0_14default_configENS1_20scan_config_selectorIjEEZZNS1_9scan_implILNS1_25lookback_scan_determinismE0ELb0ELb0ES3_N6thrust23THRUST_200600_302600_NS6detail15normal_iteratorINS9_10device_ptrIjEEEENSB_INSC_IfEEEEjNS9_4plusIvEEjEEDaPvRmT3_T4_T5_mT6_P12ihipStream_tbENKUlT_T0_E_clISt17integral_constantIbLb1EESW_EEDaSR_SS_EUlSR_E_NS1_11comp_targetILNS1_3genE3ELNS1_11target_archE908ELNS1_3gpuE7ELNS1_3repE0EEENS1_30default_config_static_selectorELNS0_4arch9wavefront6targetE1EEEvT1_,comdat
.Lfunc_end6036:
	.size	_ZN7rocprim17ROCPRIM_400000_NS6detail17trampoline_kernelINS0_14default_configENS1_20scan_config_selectorIjEEZZNS1_9scan_implILNS1_25lookback_scan_determinismE0ELb0ELb0ES3_N6thrust23THRUST_200600_302600_NS6detail15normal_iteratorINS9_10device_ptrIjEEEENSB_INSC_IfEEEEjNS9_4plusIvEEjEEDaPvRmT3_T4_T5_mT6_P12ihipStream_tbENKUlT_T0_E_clISt17integral_constantIbLb1EESW_EEDaSR_SS_EUlSR_E_NS1_11comp_targetILNS1_3genE3ELNS1_11target_archE908ELNS1_3gpuE7ELNS1_3repE0EEENS1_30default_config_static_selectorELNS0_4arch9wavefront6targetE1EEEvT1_, .Lfunc_end6036-_ZN7rocprim17ROCPRIM_400000_NS6detail17trampoline_kernelINS0_14default_configENS1_20scan_config_selectorIjEEZZNS1_9scan_implILNS1_25lookback_scan_determinismE0ELb0ELb0ES3_N6thrust23THRUST_200600_302600_NS6detail15normal_iteratorINS9_10device_ptrIjEEEENSB_INSC_IfEEEEjNS9_4plusIvEEjEEDaPvRmT3_T4_T5_mT6_P12ihipStream_tbENKUlT_T0_E_clISt17integral_constantIbLb1EESW_EEDaSR_SS_EUlSR_E_NS1_11comp_targetILNS1_3genE3ELNS1_11target_archE908ELNS1_3gpuE7ELNS1_3repE0EEENS1_30default_config_static_selectorELNS0_4arch9wavefront6targetE1EEEvT1_
                                        ; -- End function
	.section	.AMDGPU.csdata,"",@progbits
; Kernel info:
; codeLenInByte = 0
; NumSgprs: 4
; NumVgprs: 0
; NumAgprs: 0
; TotalNumVgprs: 0
; ScratchSize: 0
; MemoryBound: 0
; FloatMode: 240
; IeeeMode: 1
; LDSByteSize: 0 bytes/workgroup (compile time only)
; SGPRBlocks: 0
; VGPRBlocks: 0
; NumSGPRsForWavesPerEU: 4
; NumVGPRsForWavesPerEU: 1
; AccumOffset: 4
; Occupancy: 8
; WaveLimiterHint : 0
; COMPUTE_PGM_RSRC2:SCRATCH_EN: 0
; COMPUTE_PGM_RSRC2:USER_SGPR: 6
; COMPUTE_PGM_RSRC2:TRAP_HANDLER: 0
; COMPUTE_PGM_RSRC2:TGID_X_EN: 1
; COMPUTE_PGM_RSRC2:TGID_Y_EN: 0
; COMPUTE_PGM_RSRC2:TGID_Z_EN: 0
; COMPUTE_PGM_RSRC2:TIDIG_COMP_CNT: 0
; COMPUTE_PGM_RSRC3_GFX90A:ACCUM_OFFSET: 0
; COMPUTE_PGM_RSRC3_GFX90A:TG_SPLIT: 0
	.section	.text._ZN7rocprim17ROCPRIM_400000_NS6detail17trampoline_kernelINS0_14default_configENS1_20scan_config_selectorIjEEZZNS1_9scan_implILNS1_25lookback_scan_determinismE0ELb0ELb0ES3_N6thrust23THRUST_200600_302600_NS6detail15normal_iteratorINS9_10device_ptrIjEEEENSB_INSC_IfEEEEjNS9_4plusIvEEjEEDaPvRmT3_T4_T5_mT6_P12ihipStream_tbENKUlT_T0_E_clISt17integral_constantIbLb1EESW_EEDaSR_SS_EUlSR_E_NS1_11comp_targetILNS1_3genE2ELNS1_11target_archE906ELNS1_3gpuE6ELNS1_3repE0EEENS1_30default_config_static_selectorELNS0_4arch9wavefront6targetE1EEEvT1_,"axG",@progbits,_ZN7rocprim17ROCPRIM_400000_NS6detail17trampoline_kernelINS0_14default_configENS1_20scan_config_selectorIjEEZZNS1_9scan_implILNS1_25lookback_scan_determinismE0ELb0ELb0ES3_N6thrust23THRUST_200600_302600_NS6detail15normal_iteratorINS9_10device_ptrIjEEEENSB_INSC_IfEEEEjNS9_4plusIvEEjEEDaPvRmT3_T4_T5_mT6_P12ihipStream_tbENKUlT_T0_E_clISt17integral_constantIbLb1EESW_EEDaSR_SS_EUlSR_E_NS1_11comp_targetILNS1_3genE2ELNS1_11target_archE906ELNS1_3gpuE6ELNS1_3repE0EEENS1_30default_config_static_selectorELNS0_4arch9wavefront6targetE1EEEvT1_,comdat
	.protected	_ZN7rocprim17ROCPRIM_400000_NS6detail17trampoline_kernelINS0_14default_configENS1_20scan_config_selectorIjEEZZNS1_9scan_implILNS1_25lookback_scan_determinismE0ELb0ELb0ES3_N6thrust23THRUST_200600_302600_NS6detail15normal_iteratorINS9_10device_ptrIjEEEENSB_INSC_IfEEEEjNS9_4plusIvEEjEEDaPvRmT3_T4_T5_mT6_P12ihipStream_tbENKUlT_T0_E_clISt17integral_constantIbLb1EESW_EEDaSR_SS_EUlSR_E_NS1_11comp_targetILNS1_3genE2ELNS1_11target_archE906ELNS1_3gpuE6ELNS1_3repE0EEENS1_30default_config_static_selectorELNS0_4arch9wavefront6targetE1EEEvT1_ ; -- Begin function _ZN7rocprim17ROCPRIM_400000_NS6detail17trampoline_kernelINS0_14default_configENS1_20scan_config_selectorIjEEZZNS1_9scan_implILNS1_25lookback_scan_determinismE0ELb0ELb0ES3_N6thrust23THRUST_200600_302600_NS6detail15normal_iteratorINS9_10device_ptrIjEEEENSB_INSC_IfEEEEjNS9_4plusIvEEjEEDaPvRmT3_T4_T5_mT6_P12ihipStream_tbENKUlT_T0_E_clISt17integral_constantIbLb1EESW_EEDaSR_SS_EUlSR_E_NS1_11comp_targetILNS1_3genE2ELNS1_11target_archE906ELNS1_3gpuE6ELNS1_3repE0EEENS1_30default_config_static_selectorELNS0_4arch9wavefront6targetE1EEEvT1_
	.globl	_ZN7rocprim17ROCPRIM_400000_NS6detail17trampoline_kernelINS0_14default_configENS1_20scan_config_selectorIjEEZZNS1_9scan_implILNS1_25lookback_scan_determinismE0ELb0ELb0ES3_N6thrust23THRUST_200600_302600_NS6detail15normal_iteratorINS9_10device_ptrIjEEEENSB_INSC_IfEEEEjNS9_4plusIvEEjEEDaPvRmT3_T4_T5_mT6_P12ihipStream_tbENKUlT_T0_E_clISt17integral_constantIbLb1EESW_EEDaSR_SS_EUlSR_E_NS1_11comp_targetILNS1_3genE2ELNS1_11target_archE906ELNS1_3gpuE6ELNS1_3repE0EEENS1_30default_config_static_selectorELNS0_4arch9wavefront6targetE1EEEvT1_
	.p2align	8
	.type	_ZN7rocprim17ROCPRIM_400000_NS6detail17trampoline_kernelINS0_14default_configENS1_20scan_config_selectorIjEEZZNS1_9scan_implILNS1_25lookback_scan_determinismE0ELb0ELb0ES3_N6thrust23THRUST_200600_302600_NS6detail15normal_iteratorINS9_10device_ptrIjEEEENSB_INSC_IfEEEEjNS9_4plusIvEEjEEDaPvRmT3_T4_T5_mT6_P12ihipStream_tbENKUlT_T0_E_clISt17integral_constantIbLb1EESW_EEDaSR_SS_EUlSR_E_NS1_11comp_targetILNS1_3genE2ELNS1_11target_archE906ELNS1_3gpuE6ELNS1_3repE0EEENS1_30default_config_static_selectorELNS0_4arch9wavefront6targetE1EEEvT1_,@function
_ZN7rocprim17ROCPRIM_400000_NS6detail17trampoline_kernelINS0_14default_configENS1_20scan_config_selectorIjEEZZNS1_9scan_implILNS1_25lookback_scan_determinismE0ELb0ELb0ES3_N6thrust23THRUST_200600_302600_NS6detail15normal_iteratorINS9_10device_ptrIjEEEENSB_INSC_IfEEEEjNS9_4plusIvEEjEEDaPvRmT3_T4_T5_mT6_P12ihipStream_tbENKUlT_T0_E_clISt17integral_constantIbLb1EESW_EEDaSR_SS_EUlSR_E_NS1_11comp_targetILNS1_3genE2ELNS1_11target_archE906ELNS1_3gpuE6ELNS1_3repE0EEENS1_30default_config_static_selectorELNS0_4arch9wavefront6targetE1EEEvT1_: ; @_ZN7rocprim17ROCPRIM_400000_NS6detail17trampoline_kernelINS0_14default_configENS1_20scan_config_selectorIjEEZZNS1_9scan_implILNS1_25lookback_scan_determinismE0ELb0ELb0ES3_N6thrust23THRUST_200600_302600_NS6detail15normal_iteratorINS9_10device_ptrIjEEEENSB_INSC_IfEEEEjNS9_4plusIvEEjEEDaPvRmT3_T4_T5_mT6_P12ihipStream_tbENKUlT_T0_E_clISt17integral_constantIbLb1EESW_EEDaSR_SS_EUlSR_E_NS1_11comp_targetILNS1_3genE2ELNS1_11target_archE906ELNS1_3gpuE6ELNS1_3repE0EEENS1_30default_config_static_selectorELNS0_4arch9wavefront6targetE1EEEvT1_
; %bb.0:
	.section	.rodata,"a",@progbits
	.p2align	6, 0x0
	.amdhsa_kernel _ZN7rocprim17ROCPRIM_400000_NS6detail17trampoline_kernelINS0_14default_configENS1_20scan_config_selectorIjEEZZNS1_9scan_implILNS1_25lookback_scan_determinismE0ELb0ELb0ES3_N6thrust23THRUST_200600_302600_NS6detail15normal_iteratorINS9_10device_ptrIjEEEENSB_INSC_IfEEEEjNS9_4plusIvEEjEEDaPvRmT3_T4_T5_mT6_P12ihipStream_tbENKUlT_T0_E_clISt17integral_constantIbLb1EESW_EEDaSR_SS_EUlSR_E_NS1_11comp_targetILNS1_3genE2ELNS1_11target_archE906ELNS1_3gpuE6ELNS1_3repE0EEENS1_30default_config_static_selectorELNS0_4arch9wavefront6targetE1EEEvT1_
		.amdhsa_group_segment_fixed_size 0
		.amdhsa_private_segment_fixed_size 0
		.amdhsa_kernarg_size 96
		.amdhsa_user_sgpr_count 6
		.amdhsa_user_sgpr_private_segment_buffer 1
		.amdhsa_user_sgpr_dispatch_ptr 0
		.amdhsa_user_sgpr_queue_ptr 0
		.amdhsa_user_sgpr_kernarg_segment_ptr 1
		.amdhsa_user_sgpr_dispatch_id 0
		.amdhsa_user_sgpr_flat_scratch_init 0
		.amdhsa_user_sgpr_kernarg_preload_length 0
		.amdhsa_user_sgpr_kernarg_preload_offset 0
		.amdhsa_user_sgpr_private_segment_size 0
		.amdhsa_uses_dynamic_stack 0
		.amdhsa_system_sgpr_private_segment_wavefront_offset 0
		.amdhsa_system_sgpr_workgroup_id_x 1
		.amdhsa_system_sgpr_workgroup_id_y 0
		.amdhsa_system_sgpr_workgroup_id_z 0
		.amdhsa_system_sgpr_workgroup_info 0
		.amdhsa_system_vgpr_workitem_id 0
		.amdhsa_next_free_vgpr 1
		.amdhsa_next_free_sgpr 0
		.amdhsa_accum_offset 4
		.amdhsa_reserve_vcc 0
		.amdhsa_reserve_flat_scratch 0
		.amdhsa_float_round_mode_32 0
		.amdhsa_float_round_mode_16_64 0
		.amdhsa_float_denorm_mode_32 3
		.amdhsa_float_denorm_mode_16_64 3
		.amdhsa_dx10_clamp 1
		.amdhsa_ieee_mode 1
		.amdhsa_fp16_overflow 0
		.amdhsa_tg_split 0
		.amdhsa_exception_fp_ieee_invalid_op 0
		.amdhsa_exception_fp_denorm_src 0
		.amdhsa_exception_fp_ieee_div_zero 0
		.amdhsa_exception_fp_ieee_overflow 0
		.amdhsa_exception_fp_ieee_underflow 0
		.amdhsa_exception_fp_ieee_inexact 0
		.amdhsa_exception_int_div_zero 0
	.end_amdhsa_kernel
	.section	.text._ZN7rocprim17ROCPRIM_400000_NS6detail17trampoline_kernelINS0_14default_configENS1_20scan_config_selectorIjEEZZNS1_9scan_implILNS1_25lookback_scan_determinismE0ELb0ELb0ES3_N6thrust23THRUST_200600_302600_NS6detail15normal_iteratorINS9_10device_ptrIjEEEENSB_INSC_IfEEEEjNS9_4plusIvEEjEEDaPvRmT3_T4_T5_mT6_P12ihipStream_tbENKUlT_T0_E_clISt17integral_constantIbLb1EESW_EEDaSR_SS_EUlSR_E_NS1_11comp_targetILNS1_3genE2ELNS1_11target_archE906ELNS1_3gpuE6ELNS1_3repE0EEENS1_30default_config_static_selectorELNS0_4arch9wavefront6targetE1EEEvT1_,"axG",@progbits,_ZN7rocprim17ROCPRIM_400000_NS6detail17trampoline_kernelINS0_14default_configENS1_20scan_config_selectorIjEEZZNS1_9scan_implILNS1_25lookback_scan_determinismE0ELb0ELb0ES3_N6thrust23THRUST_200600_302600_NS6detail15normal_iteratorINS9_10device_ptrIjEEEENSB_INSC_IfEEEEjNS9_4plusIvEEjEEDaPvRmT3_T4_T5_mT6_P12ihipStream_tbENKUlT_T0_E_clISt17integral_constantIbLb1EESW_EEDaSR_SS_EUlSR_E_NS1_11comp_targetILNS1_3genE2ELNS1_11target_archE906ELNS1_3gpuE6ELNS1_3repE0EEENS1_30default_config_static_selectorELNS0_4arch9wavefront6targetE1EEEvT1_,comdat
.Lfunc_end6037:
	.size	_ZN7rocprim17ROCPRIM_400000_NS6detail17trampoline_kernelINS0_14default_configENS1_20scan_config_selectorIjEEZZNS1_9scan_implILNS1_25lookback_scan_determinismE0ELb0ELb0ES3_N6thrust23THRUST_200600_302600_NS6detail15normal_iteratorINS9_10device_ptrIjEEEENSB_INSC_IfEEEEjNS9_4plusIvEEjEEDaPvRmT3_T4_T5_mT6_P12ihipStream_tbENKUlT_T0_E_clISt17integral_constantIbLb1EESW_EEDaSR_SS_EUlSR_E_NS1_11comp_targetILNS1_3genE2ELNS1_11target_archE906ELNS1_3gpuE6ELNS1_3repE0EEENS1_30default_config_static_selectorELNS0_4arch9wavefront6targetE1EEEvT1_, .Lfunc_end6037-_ZN7rocprim17ROCPRIM_400000_NS6detail17trampoline_kernelINS0_14default_configENS1_20scan_config_selectorIjEEZZNS1_9scan_implILNS1_25lookback_scan_determinismE0ELb0ELb0ES3_N6thrust23THRUST_200600_302600_NS6detail15normal_iteratorINS9_10device_ptrIjEEEENSB_INSC_IfEEEEjNS9_4plusIvEEjEEDaPvRmT3_T4_T5_mT6_P12ihipStream_tbENKUlT_T0_E_clISt17integral_constantIbLb1EESW_EEDaSR_SS_EUlSR_E_NS1_11comp_targetILNS1_3genE2ELNS1_11target_archE906ELNS1_3gpuE6ELNS1_3repE0EEENS1_30default_config_static_selectorELNS0_4arch9wavefront6targetE1EEEvT1_
                                        ; -- End function
	.section	.AMDGPU.csdata,"",@progbits
; Kernel info:
; codeLenInByte = 0
; NumSgprs: 4
; NumVgprs: 0
; NumAgprs: 0
; TotalNumVgprs: 0
; ScratchSize: 0
; MemoryBound: 0
; FloatMode: 240
; IeeeMode: 1
; LDSByteSize: 0 bytes/workgroup (compile time only)
; SGPRBlocks: 0
; VGPRBlocks: 0
; NumSGPRsForWavesPerEU: 4
; NumVGPRsForWavesPerEU: 1
; AccumOffset: 4
; Occupancy: 8
; WaveLimiterHint : 0
; COMPUTE_PGM_RSRC2:SCRATCH_EN: 0
; COMPUTE_PGM_RSRC2:USER_SGPR: 6
; COMPUTE_PGM_RSRC2:TRAP_HANDLER: 0
; COMPUTE_PGM_RSRC2:TGID_X_EN: 1
; COMPUTE_PGM_RSRC2:TGID_Y_EN: 0
; COMPUTE_PGM_RSRC2:TGID_Z_EN: 0
; COMPUTE_PGM_RSRC2:TIDIG_COMP_CNT: 0
; COMPUTE_PGM_RSRC3_GFX90A:ACCUM_OFFSET: 0
; COMPUTE_PGM_RSRC3_GFX90A:TG_SPLIT: 0
	.section	.text._ZN7rocprim17ROCPRIM_400000_NS6detail17trampoline_kernelINS0_14default_configENS1_20scan_config_selectorIjEEZZNS1_9scan_implILNS1_25lookback_scan_determinismE0ELb0ELb0ES3_N6thrust23THRUST_200600_302600_NS6detail15normal_iteratorINS9_10device_ptrIjEEEENSB_INSC_IfEEEEjNS9_4plusIvEEjEEDaPvRmT3_T4_T5_mT6_P12ihipStream_tbENKUlT_T0_E_clISt17integral_constantIbLb1EESW_EEDaSR_SS_EUlSR_E_NS1_11comp_targetILNS1_3genE10ELNS1_11target_archE1201ELNS1_3gpuE5ELNS1_3repE0EEENS1_30default_config_static_selectorELNS0_4arch9wavefront6targetE1EEEvT1_,"axG",@progbits,_ZN7rocprim17ROCPRIM_400000_NS6detail17trampoline_kernelINS0_14default_configENS1_20scan_config_selectorIjEEZZNS1_9scan_implILNS1_25lookback_scan_determinismE0ELb0ELb0ES3_N6thrust23THRUST_200600_302600_NS6detail15normal_iteratorINS9_10device_ptrIjEEEENSB_INSC_IfEEEEjNS9_4plusIvEEjEEDaPvRmT3_T4_T5_mT6_P12ihipStream_tbENKUlT_T0_E_clISt17integral_constantIbLb1EESW_EEDaSR_SS_EUlSR_E_NS1_11comp_targetILNS1_3genE10ELNS1_11target_archE1201ELNS1_3gpuE5ELNS1_3repE0EEENS1_30default_config_static_selectorELNS0_4arch9wavefront6targetE1EEEvT1_,comdat
	.protected	_ZN7rocprim17ROCPRIM_400000_NS6detail17trampoline_kernelINS0_14default_configENS1_20scan_config_selectorIjEEZZNS1_9scan_implILNS1_25lookback_scan_determinismE0ELb0ELb0ES3_N6thrust23THRUST_200600_302600_NS6detail15normal_iteratorINS9_10device_ptrIjEEEENSB_INSC_IfEEEEjNS9_4plusIvEEjEEDaPvRmT3_T4_T5_mT6_P12ihipStream_tbENKUlT_T0_E_clISt17integral_constantIbLb1EESW_EEDaSR_SS_EUlSR_E_NS1_11comp_targetILNS1_3genE10ELNS1_11target_archE1201ELNS1_3gpuE5ELNS1_3repE0EEENS1_30default_config_static_selectorELNS0_4arch9wavefront6targetE1EEEvT1_ ; -- Begin function _ZN7rocprim17ROCPRIM_400000_NS6detail17trampoline_kernelINS0_14default_configENS1_20scan_config_selectorIjEEZZNS1_9scan_implILNS1_25lookback_scan_determinismE0ELb0ELb0ES3_N6thrust23THRUST_200600_302600_NS6detail15normal_iteratorINS9_10device_ptrIjEEEENSB_INSC_IfEEEEjNS9_4plusIvEEjEEDaPvRmT3_T4_T5_mT6_P12ihipStream_tbENKUlT_T0_E_clISt17integral_constantIbLb1EESW_EEDaSR_SS_EUlSR_E_NS1_11comp_targetILNS1_3genE10ELNS1_11target_archE1201ELNS1_3gpuE5ELNS1_3repE0EEENS1_30default_config_static_selectorELNS0_4arch9wavefront6targetE1EEEvT1_
	.globl	_ZN7rocprim17ROCPRIM_400000_NS6detail17trampoline_kernelINS0_14default_configENS1_20scan_config_selectorIjEEZZNS1_9scan_implILNS1_25lookback_scan_determinismE0ELb0ELb0ES3_N6thrust23THRUST_200600_302600_NS6detail15normal_iteratorINS9_10device_ptrIjEEEENSB_INSC_IfEEEEjNS9_4plusIvEEjEEDaPvRmT3_T4_T5_mT6_P12ihipStream_tbENKUlT_T0_E_clISt17integral_constantIbLb1EESW_EEDaSR_SS_EUlSR_E_NS1_11comp_targetILNS1_3genE10ELNS1_11target_archE1201ELNS1_3gpuE5ELNS1_3repE0EEENS1_30default_config_static_selectorELNS0_4arch9wavefront6targetE1EEEvT1_
	.p2align	8
	.type	_ZN7rocprim17ROCPRIM_400000_NS6detail17trampoline_kernelINS0_14default_configENS1_20scan_config_selectorIjEEZZNS1_9scan_implILNS1_25lookback_scan_determinismE0ELb0ELb0ES3_N6thrust23THRUST_200600_302600_NS6detail15normal_iteratorINS9_10device_ptrIjEEEENSB_INSC_IfEEEEjNS9_4plusIvEEjEEDaPvRmT3_T4_T5_mT6_P12ihipStream_tbENKUlT_T0_E_clISt17integral_constantIbLb1EESW_EEDaSR_SS_EUlSR_E_NS1_11comp_targetILNS1_3genE10ELNS1_11target_archE1201ELNS1_3gpuE5ELNS1_3repE0EEENS1_30default_config_static_selectorELNS0_4arch9wavefront6targetE1EEEvT1_,@function
_ZN7rocprim17ROCPRIM_400000_NS6detail17trampoline_kernelINS0_14default_configENS1_20scan_config_selectorIjEEZZNS1_9scan_implILNS1_25lookback_scan_determinismE0ELb0ELb0ES3_N6thrust23THRUST_200600_302600_NS6detail15normal_iteratorINS9_10device_ptrIjEEEENSB_INSC_IfEEEEjNS9_4plusIvEEjEEDaPvRmT3_T4_T5_mT6_P12ihipStream_tbENKUlT_T0_E_clISt17integral_constantIbLb1EESW_EEDaSR_SS_EUlSR_E_NS1_11comp_targetILNS1_3genE10ELNS1_11target_archE1201ELNS1_3gpuE5ELNS1_3repE0EEENS1_30default_config_static_selectorELNS0_4arch9wavefront6targetE1EEEvT1_: ; @_ZN7rocprim17ROCPRIM_400000_NS6detail17trampoline_kernelINS0_14default_configENS1_20scan_config_selectorIjEEZZNS1_9scan_implILNS1_25lookback_scan_determinismE0ELb0ELb0ES3_N6thrust23THRUST_200600_302600_NS6detail15normal_iteratorINS9_10device_ptrIjEEEENSB_INSC_IfEEEEjNS9_4plusIvEEjEEDaPvRmT3_T4_T5_mT6_P12ihipStream_tbENKUlT_T0_E_clISt17integral_constantIbLb1EESW_EEDaSR_SS_EUlSR_E_NS1_11comp_targetILNS1_3genE10ELNS1_11target_archE1201ELNS1_3gpuE5ELNS1_3repE0EEENS1_30default_config_static_selectorELNS0_4arch9wavefront6targetE1EEEvT1_
; %bb.0:
	.section	.rodata,"a",@progbits
	.p2align	6, 0x0
	.amdhsa_kernel _ZN7rocprim17ROCPRIM_400000_NS6detail17trampoline_kernelINS0_14default_configENS1_20scan_config_selectorIjEEZZNS1_9scan_implILNS1_25lookback_scan_determinismE0ELb0ELb0ES3_N6thrust23THRUST_200600_302600_NS6detail15normal_iteratorINS9_10device_ptrIjEEEENSB_INSC_IfEEEEjNS9_4plusIvEEjEEDaPvRmT3_T4_T5_mT6_P12ihipStream_tbENKUlT_T0_E_clISt17integral_constantIbLb1EESW_EEDaSR_SS_EUlSR_E_NS1_11comp_targetILNS1_3genE10ELNS1_11target_archE1201ELNS1_3gpuE5ELNS1_3repE0EEENS1_30default_config_static_selectorELNS0_4arch9wavefront6targetE1EEEvT1_
		.amdhsa_group_segment_fixed_size 0
		.amdhsa_private_segment_fixed_size 0
		.amdhsa_kernarg_size 96
		.amdhsa_user_sgpr_count 6
		.amdhsa_user_sgpr_private_segment_buffer 1
		.amdhsa_user_sgpr_dispatch_ptr 0
		.amdhsa_user_sgpr_queue_ptr 0
		.amdhsa_user_sgpr_kernarg_segment_ptr 1
		.amdhsa_user_sgpr_dispatch_id 0
		.amdhsa_user_sgpr_flat_scratch_init 0
		.amdhsa_user_sgpr_kernarg_preload_length 0
		.amdhsa_user_sgpr_kernarg_preload_offset 0
		.amdhsa_user_sgpr_private_segment_size 0
		.amdhsa_uses_dynamic_stack 0
		.amdhsa_system_sgpr_private_segment_wavefront_offset 0
		.amdhsa_system_sgpr_workgroup_id_x 1
		.amdhsa_system_sgpr_workgroup_id_y 0
		.amdhsa_system_sgpr_workgroup_id_z 0
		.amdhsa_system_sgpr_workgroup_info 0
		.amdhsa_system_vgpr_workitem_id 0
		.amdhsa_next_free_vgpr 1
		.amdhsa_next_free_sgpr 0
		.amdhsa_accum_offset 4
		.amdhsa_reserve_vcc 0
		.amdhsa_reserve_flat_scratch 0
		.amdhsa_float_round_mode_32 0
		.amdhsa_float_round_mode_16_64 0
		.amdhsa_float_denorm_mode_32 3
		.amdhsa_float_denorm_mode_16_64 3
		.amdhsa_dx10_clamp 1
		.amdhsa_ieee_mode 1
		.amdhsa_fp16_overflow 0
		.amdhsa_tg_split 0
		.amdhsa_exception_fp_ieee_invalid_op 0
		.amdhsa_exception_fp_denorm_src 0
		.amdhsa_exception_fp_ieee_div_zero 0
		.amdhsa_exception_fp_ieee_overflow 0
		.amdhsa_exception_fp_ieee_underflow 0
		.amdhsa_exception_fp_ieee_inexact 0
		.amdhsa_exception_int_div_zero 0
	.end_amdhsa_kernel
	.section	.text._ZN7rocprim17ROCPRIM_400000_NS6detail17trampoline_kernelINS0_14default_configENS1_20scan_config_selectorIjEEZZNS1_9scan_implILNS1_25lookback_scan_determinismE0ELb0ELb0ES3_N6thrust23THRUST_200600_302600_NS6detail15normal_iteratorINS9_10device_ptrIjEEEENSB_INSC_IfEEEEjNS9_4plusIvEEjEEDaPvRmT3_T4_T5_mT6_P12ihipStream_tbENKUlT_T0_E_clISt17integral_constantIbLb1EESW_EEDaSR_SS_EUlSR_E_NS1_11comp_targetILNS1_3genE10ELNS1_11target_archE1201ELNS1_3gpuE5ELNS1_3repE0EEENS1_30default_config_static_selectorELNS0_4arch9wavefront6targetE1EEEvT1_,"axG",@progbits,_ZN7rocprim17ROCPRIM_400000_NS6detail17trampoline_kernelINS0_14default_configENS1_20scan_config_selectorIjEEZZNS1_9scan_implILNS1_25lookback_scan_determinismE0ELb0ELb0ES3_N6thrust23THRUST_200600_302600_NS6detail15normal_iteratorINS9_10device_ptrIjEEEENSB_INSC_IfEEEEjNS9_4plusIvEEjEEDaPvRmT3_T4_T5_mT6_P12ihipStream_tbENKUlT_T0_E_clISt17integral_constantIbLb1EESW_EEDaSR_SS_EUlSR_E_NS1_11comp_targetILNS1_3genE10ELNS1_11target_archE1201ELNS1_3gpuE5ELNS1_3repE0EEENS1_30default_config_static_selectorELNS0_4arch9wavefront6targetE1EEEvT1_,comdat
.Lfunc_end6038:
	.size	_ZN7rocprim17ROCPRIM_400000_NS6detail17trampoline_kernelINS0_14default_configENS1_20scan_config_selectorIjEEZZNS1_9scan_implILNS1_25lookback_scan_determinismE0ELb0ELb0ES3_N6thrust23THRUST_200600_302600_NS6detail15normal_iteratorINS9_10device_ptrIjEEEENSB_INSC_IfEEEEjNS9_4plusIvEEjEEDaPvRmT3_T4_T5_mT6_P12ihipStream_tbENKUlT_T0_E_clISt17integral_constantIbLb1EESW_EEDaSR_SS_EUlSR_E_NS1_11comp_targetILNS1_3genE10ELNS1_11target_archE1201ELNS1_3gpuE5ELNS1_3repE0EEENS1_30default_config_static_selectorELNS0_4arch9wavefront6targetE1EEEvT1_, .Lfunc_end6038-_ZN7rocprim17ROCPRIM_400000_NS6detail17trampoline_kernelINS0_14default_configENS1_20scan_config_selectorIjEEZZNS1_9scan_implILNS1_25lookback_scan_determinismE0ELb0ELb0ES3_N6thrust23THRUST_200600_302600_NS6detail15normal_iteratorINS9_10device_ptrIjEEEENSB_INSC_IfEEEEjNS9_4plusIvEEjEEDaPvRmT3_T4_T5_mT6_P12ihipStream_tbENKUlT_T0_E_clISt17integral_constantIbLb1EESW_EEDaSR_SS_EUlSR_E_NS1_11comp_targetILNS1_3genE10ELNS1_11target_archE1201ELNS1_3gpuE5ELNS1_3repE0EEENS1_30default_config_static_selectorELNS0_4arch9wavefront6targetE1EEEvT1_
                                        ; -- End function
	.section	.AMDGPU.csdata,"",@progbits
; Kernel info:
; codeLenInByte = 0
; NumSgprs: 4
; NumVgprs: 0
; NumAgprs: 0
; TotalNumVgprs: 0
; ScratchSize: 0
; MemoryBound: 0
; FloatMode: 240
; IeeeMode: 1
; LDSByteSize: 0 bytes/workgroup (compile time only)
; SGPRBlocks: 0
; VGPRBlocks: 0
; NumSGPRsForWavesPerEU: 4
; NumVGPRsForWavesPerEU: 1
; AccumOffset: 4
; Occupancy: 8
; WaveLimiterHint : 0
; COMPUTE_PGM_RSRC2:SCRATCH_EN: 0
; COMPUTE_PGM_RSRC2:USER_SGPR: 6
; COMPUTE_PGM_RSRC2:TRAP_HANDLER: 0
; COMPUTE_PGM_RSRC2:TGID_X_EN: 1
; COMPUTE_PGM_RSRC2:TGID_Y_EN: 0
; COMPUTE_PGM_RSRC2:TGID_Z_EN: 0
; COMPUTE_PGM_RSRC2:TIDIG_COMP_CNT: 0
; COMPUTE_PGM_RSRC3_GFX90A:ACCUM_OFFSET: 0
; COMPUTE_PGM_RSRC3_GFX90A:TG_SPLIT: 0
	.section	.text._ZN7rocprim17ROCPRIM_400000_NS6detail17trampoline_kernelINS0_14default_configENS1_20scan_config_selectorIjEEZZNS1_9scan_implILNS1_25lookback_scan_determinismE0ELb0ELb0ES3_N6thrust23THRUST_200600_302600_NS6detail15normal_iteratorINS9_10device_ptrIjEEEENSB_INSC_IfEEEEjNS9_4plusIvEEjEEDaPvRmT3_T4_T5_mT6_P12ihipStream_tbENKUlT_T0_E_clISt17integral_constantIbLb1EESW_EEDaSR_SS_EUlSR_E_NS1_11comp_targetILNS1_3genE10ELNS1_11target_archE1200ELNS1_3gpuE4ELNS1_3repE0EEENS1_30default_config_static_selectorELNS0_4arch9wavefront6targetE1EEEvT1_,"axG",@progbits,_ZN7rocprim17ROCPRIM_400000_NS6detail17trampoline_kernelINS0_14default_configENS1_20scan_config_selectorIjEEZZNS1_9scan_implILNS1_25lookback_scan_determinismE0ELb0ELb0ES3_N6thrust23THRUST_200600_302600_NS6detail15normal_iteratorINS9_10device_ptrIjEEEENSB_INSC_IfEEEEjNS9_4plusIvEEjEEDaPvRmT3_T4_T5_mT6_P12ihipStream_tbENKUlT_T0_E_clISt17integral_constantIbLb1EESW_EEDaSR_SS_EUlSR_E_NS1_11comp_targetILNS1_3genE10ELNS1_11target_archE1200ELNS1_3gpuE4ELNS1_3repE0EEENS1_30default_config_static_selectorELNS0_4arch9wavefront6targetE1EEEvT1_,comdat
	.protected	_ZN7rocprim17ROCPRIM_400000_NS6detail17trampoline_kernelINS0_14default_configENS1_20scan_config_selectorIjEEZZNS1_9scan_implILNS1_25lookback_scan_determinismE0ELb0ELb0ES3_N6thrust23THRUST_200600_302600_NS6detail15normal_iteratorINS9_10device_ptrIjEEEENSB_INSC_IfEEEEjNS9_4plusIvEEjEEDaPvRmT3_T4_T5_mT6_P12ihipStream_tbENKUlT_T0_E_clISt17integral_constantIbLb1EESW_EEDaSR_SS_EUlSR_E_NS1_11comp_targetILNS1_3genE10ELNS1_11target_archE1200ELNS1_3gpuE4ELNS1_3repE0EEENS1_30default_config_static_selectorELNS0_4arch9wavefront6targetE1EEEvT1_ ; -- Begin function _ZN7rocprim17ROCPRIM_400000_NS6detail17trampoline_kernelINS0_14default_configENS1_20scan_config_selectorIjEEZZNS1_9scan_implILNS1_25lookback_scan_determinismE0ELb0ELb0ES3_N6thrust23THRUST_200600_302600_NS6detail15normal_iteratorINS9_10device_ptrIjEEEENSB_INSC_IfEEEEjNS9_4plusIvEEjEEDaPvRmT3_T4_T5_mT6_P12ihipStream_tbENKUlT_T0_E_clISt17integral_constantIbLb1EESW_EEDaSR_SS_EUlSR_E_NS1_11comp_targetILNS1_3genE10ELNS1_11target_archE1200ELNS1_3gpuE4ELNS1_3repE0EEENS1_30default_config_static_selectorELNS0_4arch9wavefront6targetE1EEEvT1_
	.globl	_ZN7rocprim17ROCPRIM_400000_NS6detail17trampoline_kernelINS0_14default_configENS1_20scan_config_selectorIjEEZZNS1_9scan_implILNS1_25lookback_scan_determinismE0ELb0ELb0ES3_N6thrust23THRUST_200600_302600_NS6detail15normal_iteratorINS9_10device_ptrIjEEEENSB_INSC_IfEEEEjNS9_4plusIvEEjEEDaPvRmT3_T4_T5_mT6_P12ihipStream_tbENKUlT_T0_E_clISt17integral_constantIbLb1EESW_EEDaSR_SS_EUlSR_E_NS1_11comp_targetILNS1_3genE10ELNS1_11target_archE1200ELNS1_3gpuE4ELNS1_3repE0EEENS1_30default_config_static_selectorELNS0_4arch9wavefront6targetE1EEEvT1_
	.p2align	8
	.type	_ZN7rocprim17ROCPRIM_400000_NS6detail17trampoline_kernelINS0_14default_configENS1_20scan_config_selectorIjEEZZNS1_9scan_implILNS1_25lookback_scan_determinismE0ELb0ELb0ES3_N6thrust23THRUST_200600_302600_NS6detail15normal_iteratorINS9_10device_ptrIjEEEENSB_INSC_IfEEEEjNS9_4plusIvEEjEEDaPvRmT3_T4_T5_mT6_P12ihipStream_tbENKUlT_T0_E_clISt17integral_constantIbLb1EESW_EEDaSR_SS_EUlSR_E_NS1_11comp_targetILNS1_3genE10ELNS1_11target_archE1200ELNS1_3gpuE4ELNS1_3repE0EEENS1_30default_config_static_selectorELNS0_4arch9wavefront6targetE1EEEvT1_,@function
_ZN7rocprim17ROCPRIM_400000_NS6detail17trampoline_kernelINS0_14default_configENS1_20scan_config_selectorIjEEZZNS1_9scan_implILNS1_25lookback_scan_determinismE0ELb0ELb0ES3_N6thrust23THRUST_200600_302600_NS6detail15normal_iteratorINS9_10device_ptrIjEEEENSB_INSC_IfEEEEjNS9_4plusIvEEjEEDaPvRmT3_T4_T5_mT6_P12ihipStream_tbENKUlT_T0_E_clISt17integral_constantIbLb1EESW_EEDaSR_SS_EUlSR_E_NS1_11comp_targetILNS1_3genE10ELNS1_11target_archE1200ELNS1_3gpuE4ELNS1_3repE0EEENS1_30default_config_static_selectorELNS0_4arch9wavefront6targetE1EEEvT1_: ; @_ZN7rocprim17ROCPRIM_400000_NS6detail17trampoline_kernelINS0_14default_configENS1_20scan_config_selectorIjEEZZNS1_9scan_implILNS1_25lookback_scan_determinismE0ELb0ELb0ES3_N6thrust23THRUST_200600_302600_NS6detail15normal_iteratorINS9_10device_ptrIjEEEENSB_INSC_IfEEEEjNS9_4plusIvEEjEEDaPvRmT3_T4_T5_mT6_P12ihipStream_tbENKUlT_T0_E_clISt17integral_constantIbLb1EESW_EEDaSR_SS_EUlSR_E_NS1_11comp_targetILNS1_3genE10ELNS1_11target_archE1200ELNS1_3gpuE4ELNS1_3repE0EEENS1_30default_config_static_selectorELNS0_4arch9wavefront6targetE1EEEvT1_
; %bb.0:
	.section	.rodata,"a",@progbits
	.p2align	6, 0x0
	.amdhsa_kernel _ZN7rocprim17ROCPRIM_400000_NS6detail17trampoline_kernelINS0_14default_configENS1_20scan_config_selectorIjEEZZNS1_9scan_implILNS1_25lookback_scan_determinismE0ELb0ELb0ES3_N6thrust23THRUST_200600_302600_NS6detail15normal_iteratorINS9_10device_ptrIjEEEENSB_INSC_IfEEEEjNS9_4plusIvEEjEEDaPvRmT3_T4_T5_mT6_P12ihipStream_tbENKUlT_T0_E_clISt17integral_constantIbLb1EESW_EEDaSR_SS_EUlSR_E_NS1_11comp_targetILNS1_3genE10ELNS1_11target_archE1200ELNS1_3gpuE4ELNS1_3repE0EEENS1_30default_config_static_selectorELNS0_4arch9wavefront6targetE1EEEvT1_
		.amdhsa_group_segment_fixed_size 0
		.amdhsa_private_segment_fixed_size 0
		.amdhsa_kernarg_size 96
		.amdhsa_user_sgpr_count 6
		.amdhsa_user_sgpr_private_segment_buffer 1
		.amdhsa_user_sgpr_dispatch_ptr 0
		.amdhsa_user_sgpr_queue_ptr 0
		.amdhsa_user_sgpr_kernarg_segment_ptr 1
		.amdhsa_user_sgpr_dispatch_id 0
		.amdhsa_user_sgpr_flat_scratch_init 0
		.amdhsa_user_sgpr_kernarg_preload_length 0
		.amdhsa_user_sgpr_kernarg_preload_offset 0
		.amdhsa_user_sgpr_private_segment_size 0
		.amdhsa_uses_dynamic_stack 0
		.amdhsa_system_sgpr_private_segment_wavefront_offset 0
		.amdhsa_system_sgpr_workgroup_id_x 1
		.amdhsa_system_sgpr_workgroup_id_y 0
		.amdhsa_system_sgpr_workgroup_id_z 0
		.amdhsa_system_sgpr_workgroup_info 0
		.amdhsa_system_vgpr_workitem_id 0
		.amdhsa_next_free_vgpr 1
		.amdhsa_next_free_sgpr 0
		.amdhsa_accum_offset 4
		.amdhsa_reserve_vcc 0
		.amdhsa_reserve_flat_scratch 0
		.amdhsa_float_round_mode_32 0
		.amdhsa_float_round_mode_16_64 0
		.amdhsa_float_denorm_mode_32 3
		.amdhsa_float_denorm_mode_16_64 3
		.amdhsa_dx10_clamp 1
		.amdhsa_ieee_mode 1
		.amdhsa_fp16_overflow 0
		.amdhsa_tg_split 0
		.amdhsa_exception_fp_ieee_invalid_op 0
		.amdhsa_exception_fp_denorm_src 0
		.amdhsa_exception_fp_ieee_div_zero 0
		.amdhsa_exception_fp_ieee_overflow 0
		.amdhsa_exception_fp_ieee_underflow 0
		.amdhsa_exception_fp_ieee_inexact 0
		.amdhsa_exception_int_div_zero 0
	.end_amdhsa_kernel
	.section	.text._ZN7rocprim17ROCPRIM_400000_NS6detail17trampoline_kernelINS0_14default_configENS1_20scan_config_selectorIjEEZZNS1_9scan_implILNS1_25lookback_scan_determinismE0ELb0ELb0ES3_N6thrust23THRUST_200600_302600_NS6detail15normal_iteratorINS9_10device_ptrIjEEEENSB_INSC_IfEEEEjNS9_4plusIvEEjEEDaPvRmT3_T4_T5_mT6_P12ihipStream_tbENKUlT_T0_E_clISt17integral_constantIbLb1EESW_EEDaSR_SS_EUlSR_E_NS1_11comp_targetILNS1_3genE10ELNS1_11target_archE1200ELNS1_3gpuE4ELNS1_3repE0EEENS1_30default_config_static_selectorELNS0_4arch9wavefront6targetE1EEEvT1_,"axG",@progbits,_ZN7rocprim17ROCPRIM_400000_NS6detail17trampoline_kernelINS0_14default_configENS1_20scan_config_selectorIjEEZZNS1_9scan_implILNS1_25lookback_scan_determinismE0ELb0ELb0ES3_N6thrust23THRUST_200600_302600_NS6detail15normal_iteratorINS9_10device_ptrIjEEEENSB_INSC_IfEEEEjNS9_4plusIvEEjEEDaPvRmT3_T4_T5_mT6_P12ihipStream_tbENKUlT_T0_E_clISt17integral_constantIbLb1EESW_EEDaSR_SS_EUlSR_E_NS1_11comp_targetILNS1_3genE10ELNS1_11target_archE1200ELNS1_3gpuE4ELNS1_3repE0EEENS1_30default_config_static_selectorELNS0_4arch9wavefront6targetE1EEEvT1_,comdat
.Lfunc_end6039:
	.size	_ZN7rocprim17ROCPRIM_400000_NS6detail17trampoline_kernelINS0_14default_configENS1_20scan_config_selectorIjEEZZNS1_9scan_implILNS1_25lookback_scan_determinismE0ELb0ELb0ES3_N6thrust23THRUST_200600_302600_NS6detail15normal_iteratorINS9_10device_ptrIjEEEENSB_INSC_IfEEEEjNS9_4plusIvEEjEEDaPvRmT3_T4_T5_mT6_P12ihipStream_tbENKUlT_T0_E_clISt17integral_constantIbLb1EESW_EEDaSR_SS_EUlSR_E_NS1_11comp_targetILNS1_3genE10ELNS1_11target_archE1200ELNS1_3gpuE4ELNS1_3repE0EEENS1_30default_config_static_selectorELNS0_4arch9wavefront6targetE1EEEvT1_, .Lfunc_end6039-_ZN7rocprim17ROCPRIM_400000_NS6detail17trampoline_kernelINS0_14default_configENS1_20scan_config_selectorIjEEZZNS1_9scan_implILNS1_25lookback_scan_determinismE0ELb0ELb0ES3_N6thrust23THRUST_200600_302600_NS6detail15normal_iteratorINS9_10device_ptrIjEEEENSB_INSC_IfEEEEjNS9_4plusIvEEjEEDaPvRmT3_T4_T5_mT6_P12ihipStream_tbENKUlT_T0_E_clISt17integral_constantIbLb1EESW_EEDaSR_SS_EUlSR_E_NS1_11comp_targetILNS1_3genE10ELNS1_11target_archE1200ELNS1_3gpuE4ELNS1_3repE0EEENS1_30default_config_static_selectorELNS0_4arch9wavefront6targetE1EEEvT1_
                                        ; -- End function
	.section	.AMDGPU.csdata,"",@progbits
; Kernel info:
; codeLenInByte = 0
; NumSgprs: 4
; NumVgprs: 0
; NumAgprs: 0
; TotalNumVgprs: 0
; ScratchSize: 0
; MemoryBound: 0
; FloatMode: 240
; IeeeMode: 1
; LDSByteSize: 0 bytes/workgroup (compile time only)
; SGPRBlocks: 0
; VGPRBlocks: 0
; NumSGPRsForWavesPerEU: 4
; NumVGPRsForWavesPerEU: 1
; AccumOffset: 4
; Occupancy: 8
; WaveLimiterHint : 0
; COMPUTE_PGM_RSRC2:SCRATCH_EN: 0
; COMPUTE_PGM_RSRC2:USER_SGPR: 6
; COMPUTE_PGM_RSRC2:TRAP_HANDLER: 0
; COMPUTE_PGM_RSRC2:TGID_X_EN: 1
; COMPUTE_PGM_RSRC2:TGID_Y_EN: 0
; COMPUTE_PGM_RSRC2:TGID_Z_EN: 0
; COMPUTE_PGM_RSRC2:TIDIG_COMP_CNT: 0
; COMPUTE_PGM_RSRC3_GFX90A:ACCUM_OFFSET: 0
; COMPUTE_PGM_RSRC3_GFX90A:TG_SPLIT: 0
	.section	.text._ZN7rocprim17ROCPRIM_400000_NS6detail17trampoline_kernelINS0_14default_configENS1_20scan_config_selectorIjEEZZNS1_9scan_implILNS1_25lookback_scan_determinismE0ELb0ELb0ES3_N6thrust23THRUST_200600_302600_NS6detail15normal_iteratorINS9_10device_ptrIjEEEENSB_INSC_IfEEEEjNS9_4plusIvEEjEEDaPvRmT3_T4_T5_mT6_P12ihipStream_tbENKUlT_T0_E_clISt17integral_constantIbLb1EESW_EEDaSR_SS_EUlSR_E_NS1_11comp_targetILNS1_3genE9ELNS1_11target_archE1100ELNS1_3gpuE3ELNS1_3repE0EEENS1_30default_config_static_selectorELNS0_4arch9wavefront6targetE1EEEvT1_,"axG",@progbits,_ZN7rocprim17ROCPRIM_400000_NS6detail17trampoline_kernelINS0_14default_configENS1_20scan_config_selectorIjEEZZNS1_9scan_implILNS1_25lookback_scan_determinismE0ELb0ELb0ES3_N6thrust23THRUST_200600_302600_NS6detail15normal_iteratorINS9_10device_ptrIjEEEENSB_INSC_IfEEEEjNS9_4plusIvEEjEEDaPvRmT3_T4_T5_mT6_P12ihipStream_tbENKUlT_T0_E_clISt17integral_constantIbLb1EESW_EEDaSR_SS_EUlSR_E_NS1_11comp_targetILNS1_3genE9ELNS1_11target_archE1100ELNS1_3gpuE3ELNS1_3repE0EEENS1_30default_config_static_selectorELNS0_4arch9wavefront6targetE1EEEvT1_,comdat
	.protected	_ZN7rocprim17ROCPRIM_400000_NS6detail17trampoline_kernelINS0_14default_configENS1_20scan_config_selectorIjEEZZNS1_9scan_implILNS1_25lookback_scan_determinismE0ELb0ELb0ES3_N6thrust23THRUST_200600_302600_NS6detail15normal_iteratorINS9_10device_ptrIjEEEENSB_INSC_IfEEEEjNS9_4plusIvEEjEEDaPvRmT3_T4_T5_mT6_P12ihipStream_tbENKUlT_T0_E_clISt17integral_constantIbLb1EESW_EEDaSR_SS_EUlSR_E_NS1_11comp_targetILNS1_3genE9ELNS1_11target_archE1100ELNS1_3gpuE3ELNS1_3repE0EEENS1_30default_config_static_selectorELNS0_4arch9wavefront6targetE1EEEvT1_ ; -- Begin function _ZN7rocprim17ROCPRIM_400000_NS6detail17trampoline_kernelINS0_14default_configENS1_20scan_config_selectorIjEEZZNS1_9scan_implILNS1_25lookback_scan_determinismE0ELb0ELb0ES3_N6thrust23THRUST_200600_302600_NS6detail15normal_iteratorINS9_10device_ptrIjEEEENSB_INSC_IfEEEEjNS9_4plusIvEEjEEDaPvRmT3_T4_T5_mT6_P12ihipStream_tbENKUlT_T0_E_clISt17integral_constantIbLb1EESW_EEDaSR_SS_EUlSR_E_NS1_11comp_targetILNS1_3genE9ELNS1_11target_archE1100ELNS1_3gpuE3ELNS1_3repE0EEENS1_30default_config_static_selectorELNS0_4arch9wavefront6targetE1EEEvT1_
	.globl	_ZN7rocprim17ROCPRIM_400000_NS6detail17trampoline_kernelINS0_14default_configENS1_20scan_config_selectorIjEEZZNS1_9scan_implILNS1_25lookback_scan_determinismE0ELb0ELb0ES3_N6thrust23THRUST_200600_302600_NS6detail15normal_iteratorINS9_10device_ptrIjEEEENSB_INSC_IfEEEEjNS9_4plusIvEEjEEDaPvRmT3_T4_T5_mT6_P12ihipStream_tbENKUlT_T0_E_clISt17integral_constantIbLb1EESW_EEDaSR_SS_EUlSR_E_NS1_11comp_targetILNS1_3genE9ELNS1_11target_archE1100ELNS1_3gpuE3ELNS1_3repE0EEENS1_30default_config_static_selectorELNS0_4arch9wavefront6targetE1EEEvT1_
	.p2align	8
	.type	_ZN7rocprim17ROCPRIM_400000_NS6detail17trampoline_kernelINS0_14default_configENS1_20scan_config_selectorIjEEZZNS1_9scan_implILNS1_25lookback_scan_determinismE0ELb0ELb0ES3_N6thrust23THRUST_200600_302600_NS6detail15normal_iteratorINS9_10device_ptrIjEEEENSB_INSC_IfEEEEjNS9_4plusIvEEjEEDaPvRmT3_T4_T5_mT6_P12ihipStream_tbENKUlT_T0_E_clISt17integral_constantIbLb1EESW_EEDaSR_SS_EUlSR_E_NS1_11comp_targetILNS1_3genE9ELNS1_11target_archE1100ELNS1_3gpuE3ELNS1_3repE0EEENS1_30default_config_static_selectorELNS0_4arch9wavefront6targetE1EEEvT1_,@function
_ZN7rocprim17ROCPRIM_400000_NS6detail17trampoline_kernelINS0_14default_configENS1_20scan_config_selectorIjEEZZNS1_9scan_implILNS1_25lookback_scan_determinismE0ELb0ELb0ES3_N6thrust23THRUST_200600_302600_NS6detail15normal_iteratorINS9_10device_ptrIjEEEENSB_INSC_IfEEEEjNS9_4plusIvEEjEEDaPvRmT3_T4_T5_mT6_P12ihipStream_tbENKUlT_T0_E_clISt17integral_constantIbLb1EESW_EEDaSR_SS_EUlSR_E_NS1_11comp_targetILNS1_3genE9ELNS1_11target_archE1100ELNS1_3gpuE3ELNS1_3repE0EEENS1_30default_config_static_selectorELNS0_4arch9wavefront6targetE1EEEvT1_: ; @_ZN7rocprim17ROCPRIM_400000_NS6detail17trampoline_kernelINS0_14default_configENS1_20scan_config_selectorIjEEZZNS1_9scan_implILNS1_25lookback_scan_determinismE0ELb0ELb0ES3_N6thrust23THRUST_200600_302600_NS6detail15normal_iteratorINS9_10device_ptrIjEEEENSB_INSC_IfEEEEjNS9_4plusIvEEjEEDaPvRmT3_T4_T5_mT6_P12ihipStream_tbENKUlT_T0_E_clISt17integral_constantIbLb1EESW_EEDaSR_SS_EUlSR_E_NS1_11comp_targetILNS1_3genE9ELNS1_11target_archE1100ELNS1_3gpuE3ELNS1_3repE0EEENS1_30default_config_static_selectorELNS0_4arch9wavefront6targetE1EEEvT1_
; %bb.0:
	.section	.rodata,"a",@progbits
	.p2align	6, 0x0
	.amdhsa_kernel _ZN7rocprim17ROCPRIM_400000_NS6detail17trampoline_kernelINS0_14default_configENS1_20scan_config_selectorIjEEZZNS1_9scan_implILNS1_25lookback_scan_determinismE0ELb0ELb0ES3_N6thrust23THRUST_200600_302600_NS6detail15normal_iteratorINS9_10device_ptrIjEEEENSB_INSC_IfEEEEjNS9_4plusIvEEjEEDaPvRmT3_T4_T5_mT6_P12ihipStream_tbENKUlT_T0_E_clISt17integral_constantIbLb1EESW_EEDaSR_SS_EUlSR_E_NS1_11comp_targetILNS1_3genE9ELNS1_11target_archE1100ELNS1_3gpuE3ELNS1_3repE0EEENS1_30default_config_static_selectorELNS0_4arch9wavefront6targetE1EEEvT1_
		.amdhsa_group_segment_fixed_size 0
		.amdhsa_private_segment_fixed_size 0
		.amdhsa_kernarg_size 96
		.amdhsa_user_sgpr_count 6
		.amdhsa_user_sgpr_private_segment_buffer 1
		.amdhsa_user_sgpr_dispatch_ptr 0
		.amdhsa_user_sgpr_queue_ptr 0
		.amdhsa_user_sgpr_kernarg_segment_ptr 1
		.amdhsa_user_sgpr_dispatch_id 0
		.amdhsa_user_sgpr_flat_scratch_init 0
		.amdhsa_user_sgpr_kernarg_preload_length 0
		.amdhsa_user_sgpr_kernarg_preload_offset 0
		.amdhsa_user_sgpr_private_segment_size 0
		.amdhsa_uses_dynamic_stack 0
		.amdhsa_system_sgpr_private_segment_wavefront_offset 0
		.amdhsa_system_sgpr_workgroup_id_x 1
		.amdhsa_system_sgpr_workgroup_id_y 0
		.amdhsa_system_sgpr_workgroup_id_z 0
		.amdhsa_system_sgpr_workgroup_info 0
		.amdhsa_system_vgpr_workitem_id 0
		.amdhsa_next_free_vgpr 1
		.amdhsa_next_free_sgpr 0
		.amdhsa_accum_offset 4
		.amdhsa_reserve_vcc 0
		.amdhsa_reserve_flat_scratch 0
		.amdhsa_float_round_mode_32 0
		.amdhsa_float_round_mode_16_64 0
		.amdhsa_float_denorm_mode_32 3
		.amdhsa_float_denorm_mode_16_64 3
		.amdhsa_dx10_clamp 1
		.amdhsa_ieee_mode 1
		.amdhsa_fp16_overflow 0
		.amdhsa_tg_split 0
		.amdhsa_exception_fp_ieee_invalid_op 0
		.amdhsa_exception_fp_denorm_src 0
		.amdhsa_exception_fp_ieee_div_zero 0
		.amdhsa_exception_fp_ieee_overflow 0
		.amdhsa_exception_fp_ieee_underflow 0
		.amdhsa_exception_fp_ieee_inexact 0
		.amdhsa_exception_int_div_zero 0
	.end_amdhsa_kernel
	.section	.text._ZN7rocprim17ROCPRIM_400000_NS6detail17trampoline_kernelINS0_14default_configENS1_20scan_config_selectorIjEEZZNS1_9scan_implILNS1_25lookback_scan_determinismE0ELb0ELb0ES3_N6thrust23THRUST_200600_302600_NS6detail15normal_iteratorINS9_10device_ptrIjEEEENSB_INSC_IfEEEEjNS9_4plusIvEEjEEDaPvRmT3_T4_T5_mT6_P12ihipStream_tbENKUlT_T0_E_clISt17integral_constantIbLb1EESW_EEDaSR_SS_EUlSR_E_NS1_11comp_targetILNS1_3genE9ELNS1_11target_archE1100ELNS1_3gpuE3ELNS1_3repE0EEENS1_30default_config_static_selectorELNS0_4arch9wavefront6targetE1EEEvT1_,"axG",@progbits,_ZN7rocprim17ROCPRIM_400000_NS6detail17trampoline_kernelINS0_14default_configENS1_20scan_config_selectorIjEEZZNS1_9scan_implILNS1_25lookback_scan_determinismE0ELb0ELb0ES3_N6thrust23THRUST_200600_302600_NS6detail15normal_iteratorINS9_10device_ptrIjEEEENSB_INSC_IfEEEEjNS9_4plusIvEEjEEDaPvRmT3_T4_T5_mT6_P12ihipStream_tbENKUlT_T0_E_clISt17integral_constantIbLb1EESW_EEDaSR_SS_EUlSR_E_NS1_11comp_targetILNS1_3genE9ELNS1_11target_archE1100ELNS1_3gpuE3ELNS1_3repE0EEENS1_30default_config_static_selectorELNS0_4arch9wavefront6targetE1EEEvT1_,comdat
.Lfunc_end6040:
	.size	_ZN7rocprim17ROCPRIM_400000_NS6detail17trampoline_kernelINS0_14default_configENS1_20scan_config_selectorIjEEZZNS1_9scan_implILNS1_25lookback_scan_determinismE0ELb0ELb0ES3_N6thrust23THRUST_200600_302600_NS6detail15normal_iteratorINS9_10device_ptrIjEEEENSB_INSC_IfEEEEjNS9_4plusIvEEjEEDaPvRmT3_T4_T5_mT6_P12ihipStream_tbENKUlT_T0_E_clISt17integral_constantIbLb1EESW_EEDaSR_SS_EUlSR_E_NS1_11comp_targetILNS1_3genE9ELNS1_11target_archE1100ELNS1_3gpuE3ELNS1_3repE0EEENS1_30default_config_static_selectorELNS0_4arch9wavefront6targetE1EEEvT1_, .Lfunc_end6040-_ZN7rocprim17ROCPRIM_400000_NS6detail17trampoline_kernelINS0_14default_configENS1_20scan_config_selectorIjEEZZNS1_9scan_implILNS1_25lookback_scan_determinismE0ELb0ELb0ES3_N6thrust23THRUST_200600_302600_NS6detail15normal_iteratorINS9_10device_ptrIjEEEENSB_INSC_IfEEEEjNS9_4plusIvEEjEEDaPvRmT3_T4_T5_mT6_P12ihipStream_tbENKUlT_T0_E_clISt17integral_constantIbLb1EESW_EEDaSR_SS_EUlSR_E_NS1_11comp_targetILNS1_3genE9ELNS1_11target_archE1100ELNS1_3gpuE3ELNS1_3repE0EEENS1_30default_config_static_selectorELNS0_4arch9wavefront6targetE1EEEvT1_
                                        ; -- End function
	.section	.AMDGPU.csdata,"",@progbits
; Kernel info:
; codeLenInByte = 0
; NumSgprs: 4
; NumVgprs: 0
; NumAgprs: 0
; TotalNumVgprs: 0
; ScratchSize: 0
; MemoryBound: 0
; FloatMode: 240
; IeeeMode: 1
; LDSByteSize: 0 bytes/workgroup (compile time only)
; SGPRBlocks: 0
; VGPRBlocks: 0
; NumSGPRsForWavesPerEU: 4
; NumVGPRsForWavesPerEU: 1
; AccumOffset: 4
; Occupancy: 8
; WaveLimiterHint : 0
; COMPUTE_PGM_RSRC2:SCRATCH_EN: 0
; COMPUTE_PGM_RSRC2:USER_SGPR: 6
; COMPUTE_PGM_RSRC2:TRAP_HANDLER: 0
; COMPUTE_PGM_RSRC2:TGID_X_EN: 1
; COMPUTE_PGM_RSRC2:TGID_Y_EN: 0
; COMPUTE_PGM_RSRC2:TGID_Z_EN: 0
; COMPUTE_PGM_RSRC2:TIDIG_COMP_CNT: 0
; COMPUTE_PGM_RSRC3_GFX90A:ACCUM_OFFSET: 0
; COMPUTE_PGM_RSRC3_GFX90A:TG_SPLIT: 0
	.section	.text._ZN7rocprim17ROCPRIM_400000_NS6detail17trampoline_kernelINS0_14default_configENS1_20scan_config_selectorIjEEZZNS1_9scan_implILNS1_25lookback_scan_determinismE0ELb0ELb0ES3_N6thrust23THRUST_200600_302600_NS6detail15normal_iteratorINS9_10device_ptrIjEEEENSB_INSC_IfEEEEjNS9_4plusIvEEjEEDaPvRmT3_T4_T5_mT6_P12ihipStream_tbENKUlT_T0_E_clISt17integral_constantIbLb1EESW_EEDaSR_SS_EUlSR_E_NS1_11comp_targetILNS1_3genE8ELNS1_11target_archE1030ELNS1_3gpuE2ELNS1_3repE0EEENS1_30default_config_static_selectorELNS0_4arch9wavefront6targetE1EEEvT1_,"axG",@progbits,_ZN7rocprim17ROCPRIM_400000_NS6detail17trampoline_kernelINS0_14default_configENS1_20scan_config_selectorIjEEZZNS1_9scan_implILNS1_25lookback_scan_determinismE0ELb0ELb0ES3_N6thrust23THRUST_200600_302600_NS6detail15normal_iteratorINS9_10device_ptrIjEEEENSB_INSC_IfEEEEjNS9_4plusIvEEjEEDaPvRmT3_T4_T5_mT6_P12ihipStream_tbENKUlT_T0_E_clISt17integral_constantIbLb1EESW_EEDaSR_SS_EUlSR_E_NS1_11comp_targetILNS1_3genE8ELNS1_11target_archE1030ELNS1_3gpuE2ELNS1_3repE0EEENS1_30default_config_static_selectorELNS0_4arch9wavefront6targetE1EEEvT1_,comdat
	.protected	_ZN7rocprim17ROCPRIM_400000_NS6detail17trampoline_kernelINS0_14default_configENS1_20scan_config_selectorIjEEZZNS1_9scan_implILNS1_25lookback_scan_determinismE0ELb0ELb0ES3_N6thrust23THRUST_200600_302600_NS6detail15normal_iteratorINS9_10device_ptrIjEEEENSB_INSC_IfEEEEjNS9_4plusIvEEjEEDaPvRmT3_T4_T5_mT6_P12ihipStream_tbENKUlT_T0_E_clISt17integral_constantIbLb1EESW_EEDaSR_SS_EUlSR_E_NS1_11comp_targetILNS1_3genE8ELNS1_11target_archE1030ELNS1_3gpuE2ELNS1_3repE0EEENS1_30default_config_static_selectorELNS0_4arch9wavefront6targetE1EEEvT1_ ; -- Begin function _ZN7rocprim17ROCPRIM_400000_NS6detail17trampoline_kernelINS0_14default_configENS1_20scan_config_selectorIjEEZZNS1_9scan_implILNS1_25lookback_scan_determinismE0ELb0ELb0ES3_N6thrust23THRUST_200600_302600_NS6detail15normal_iteratorINS9_10device_ptrIjEEEENSB_INSC_IfEEEEjNS9_4plusIvEEjEEDaPvRmT3_T4_T5_mT6_P12ihipStream_tbENKUlT_T0_E_clISt17integral_constantIbLb1EESW_EEDaSR_SS_EUlSR_E_NS1_11comp_targetILNS1_3genE8ELNS1_11target_archE1030ELNS1_3gpuE2ELNS1_3repE0EEENS1_30default_config_static_selectorELNS0_4arch9wavefront6targetE1EEEvT1_
	.globl	_ZN7rocprim17ROCPRIM_400000_NS6detail17trampoline_kernelINS0_14default_configENS1_20scan_config_selectorIjEEZZNS1_9scan_implILNS1_25lookback_scan_determinismE0ELb0ELb0ES3_N6thrust23THRUST_200600_302600_NS6detail15normal_iteratorINS9_10device_ptrIjEEEENSB_INSC_IfEEEEjNS9_4plusIvEEjEEDaPvRmT3_T4_T5_mT6_P12ihipStream_tbENKUlT_T0_E_clISt17integral_constantIbLb1EESW_EEDaSR_SS_EUlSR_E_NS1_11comp_targetILNS1_3genE8ELNS1_11target_archE1030ELNS1_3gpuE2ELNS1_3repE0EEENS1_30default_config_static_selectorELNS0_4arch9wavefront6targetE1EEEvT1_
	.p2align	8
	.type	_ZN7rocprim17ROCPRIM_400000_NS6detail17trampoline_kernelINS0_14default_configENS1_20scan_config_selectorIjEEZZNS1_9scan_implILNS1_25lookback_scan_determinismE0ELb0ELb0ES3_N6thrust23THRUST_200600_302600_NS6detail15normal_iteratorINS9_10device_ptrIjEEEENSB_INSC_IfEEEEjNS9_4plusIvEEjEEDaPvRmT3_T4_T5_mT6_P12ihipStream_tbENKUlT_T0_E_clISt17integral_constantIbLb1EESW_EEDaSR_SS_EUlSR_E_NS1_11comp_targetILNS1_3genE8ELNS1_11target_archE1030ELNS1_3gpuE2ELNS1_3repE0EEENS1_30default_config_static_selectorELNS0_4arch9wavefront6targetE1EEEvT1_,@function
_ZN7rocprim17ROCPRIM_400000_NS6detail17trampoline_kernelINS0_14default_configENS1_20scan_config_selectorIjEEZZNS1_9scan_implILNS1_25lookback_scan_determinismE0ELb0ELb0ES3_N6thrust23THRUST_200600_302600_NS6detail15normal_iteratorINS9_10device_ptrIjEEEENSB_INSC_IfEEEEjNS9_4plusIvEEjEEDaPvRmT3_T4_T5_mT6_P12ihipStream_tbENKUlT_T0_E_clISt17integral_constantIbLb1EESW_EEDaSR_SS_EUlSR_E_NS1_11comp_targetILNS1_3genE8ELNS1_11target_archE1030ELNS1_3gpuE2ELNS1_3repE0EEENS1_30default_config_static_selectorELNS0_4arch9wavefront6targetE1EEEvT1_: ; @_ZN7rocprim17ROCPRIM_400000_NS6detail17trampoline_kernelINS0_14default_configENS1_20scan_config_selectorIjEEZZNS1_9scan_implILNS1_25lookback_scan_determinismE0ELb0ELb0ES3_N6thrust23THRUST_200600_302600_NS6detail15normal_iteratorINS9_10device_ptrIjEEEENSB_INSC_IfEEEEjNS9_4plusIvEEjEEDaPvRmT3_T4_T5_mT6_P12ihipStream_tbENKUlT_T0_E_clISt17integral_constantIbLb1EESW_EEDaSR_SS_EUlSR_E_NS1_11comp_targetILNS1_3genE8ELNS1_11target_archE1030ELNS1_3gpuE2ELNS1_3repE0EEENS1_30default_config_static_selectorELNS0_4arch9wavefront6targetE1EEEvT1_
; %bb.0:
	.section	.rodata,"a",@progbits
	.p2align	6, 0x0
	.amdhsa_kernel _ZN7rocprim17ROCPRIM_400000_NS6detail17trampoline_kernelINS0_14default_configENS1_20scan_config_selectorIjEEZZNS1_9scan_implILNS1_25lookback_scan_determinismE0ELb0ELb0ES3_N6thrust23THRUST_200600_302600_NS6detail15normal_iteratorINS9_10device_ptrIjEEEENSB_INSC_IfEEEEjNS9_4plusIvEEjEEDaPvRmT3_T4_T5_mT6_P12ihipStream_tbENKUlT_T0_E_clISt17integral_constantIbLb1EESW_EEDaSR_SS_EUlSR_E_NS1_11comp_targetILNS1_3genE8ELNS1_11target_archE1030ELNS1_3gpuE2ELNS1_3repE0EEENS1_30default_config_static_selectorELNS0_4arch9wavefront6targetE1EEEvT1_
		.amdhsa_group_segment_fixed_size 0
		.amdhsa_private_segment_fixed_size 0
		.amdhsa_kernarg_size 96
		.amdhsa_user_sgpr_count 6
		.amdhsa_user_sgpr_private_segment_buffer 1
		.amdhsa_user_sgpr_dispatch_ptr 0
		.amdhsa_user_sgpr_queue_ptr 0
		.amdhsa_user_sgpr_kernarg_segment_ptr 1
		.amdhsa_user_sgpr_dispatch_id 0
		.amdhsa_user_sgpr_flat_scratch_init 0
		.amdhsa_user_sgpr_kernarg_preload_length 0
		.amdhsa_user_sgpr_kernarg_preload_offset 0
		.amdhsa_user_sgpr_private_segment_size 0
		.amdhsa_uses_dynamic_stack 0
		.amdhsa_system_sgpr_private_segment_wavefront_offset 0
		.amdhsa_system_sgpr_workgroup_id_x 1
		.amdhsa_system_sgpr_workgroup_id_y 0
		.amdhsa_system_sgpr_workgroup_id_z 0
		.amdhsa_system_sgpr_workgroup_info 0
		.amdhsa_system_vgpr_workitem_id 0
		.amdhsa_next_free_vgpr 1
		.amdhsa_next_free_sgpr 0
		.amdhsa_accum_offset 4
		.amdhsa_reserve_vcc 0
		.amdhsa_reserve_flat_scratch 0
		.amdhsa_float_round_mode_32 0
		.amdhsa_float_round_mode_16_64 0
		.amdhsa_float_denorm_mode_32 3
		.amdhsa_float_denorm_mode_16_64 3
		.amdhsa_dx10_clamp 1
		.amdhsa_ieee_mode 1
		.amdhsa_fp16_overflow 0
		.amdhsa_tg_split 0
		.amdhsa_exception_fp_ieee_invalid_op 0
		.amdhsa_exception_fp_denorm_src 0
		.amdhsa_exception_fp_ieee_div_zero 0
		.amdhsa_exception_fp_ieee_overflow 0
		.amdhsa_exception_fp_ieee_underflow 0
		.amdhsa_exception_fp_ieee_inexact 0
		.amdhsa_exception_int_div_zero 0
	.end_amdhsa_kernel
	.section	.text._ZN7rocprim17ROCPRIM_400000_NS6detail17trampoline_kernelINS0_14default_configENS1_20scan_config_selectorIjEEZZNS1_9scan_implILNS1_25lookback_scan_determinismE0ELb0ELb0ES3_N6thrust23THRUST_200600_302600_NS6detail15normal_iteratorINS9_10device_ptrIjEEEENSB_INSC_IfEEEEjNS9_4plusIvEEjEEDaPvRmT3_T4_T5_mT6_P12ihipStream_tbENKUlT_T0_E_clISt17integral_constantIbLb1EESW_EEDaSR_SS_EUlSR_E_NS1_11comp_targetILNS1_3genE8ELNS1_11target_archE1030ELNS1_3gpuE2ELNS1_3repE0EEENS1_30default_config_static_selectorELNS0_4arch9wavefront6targetE1EEEvT1_,"axG",@progbits,_ZN7rocprim17ROCPRIM_400000_NS6detail17trampoline_kernelINS0_14default_configENS1_20scan_config_selectorIjEEZZNS1_9scan_implILNS1_25lookback_scan_determinismE0ELb0ELb0ES3_N6thrust23THRUST_200600_302600_NS6detail15normal_iteratorINS9_10device_ptrIjEEEENSB_INSC_IfEEEEjNS9_4plusIvEEjEEDaPvRmT3_T4_T5_mT6_P12ihipStream_tbENKUlT_T0_E_clISt17integral_constantIbLb1EESW_EEDaSR_SS_EUlSR_E_NS1_11comp_targetILNS1_3genE8ELNS1_11target_archE1030ELNS1_3gpuE2ELNS1_3repE0EEENS1_30default_config_static_selectorELNS0_4arch9wavefront6targetE1EEEvT1_,comdat
.Lfunc_end6041:
	.size	_ZN7rocprim17ROCPRIM_400000_NS6detail17trampoline_kernelINS0_14default_configENS1_20scan_config_selectorIjEEZZNS1_9scan_implILNS1_25lookback_scan_determinismE0ELb0ELb0ES3_N6thrust23THRUST_200600_302600_NS6detail15normal_iteratorINS9_10device_ptrIjEEEENSB_INSC_IfEEEEjNS9_4plusIvEEjEEDaPvRmT3_T4_T5_mT6_P12ihipStream_tbENKUlT_T0_E_clISt17integral_constantIbLb1EESW_EEDaSR_SS_EUlSR_E_NS1_11comp_targetILNS1_3genE8ELNS1_11target_archE1030ELNS1_3gpuE2ELNS1_3repE0EEENS1_30default_config_static_selectorELNS0_4arch9wavefront6targetE1EEEvT1_, .Lfunc_end6041-_ZN7rocprim17ROCPRIM_400000_NS6detail17trampoline_kernelINS0_14default_configENS1_20scan_config_selectorIjEEZZNS1_9scan_implILNS1_25lookback_scan_determinismE0ELb0ELb0ES3_N6thrust23THRUST_200600_302600_NS6detail15normal_iteratorINS9_10device_ptrIjEEEENSB_INSC_IfEEEEjNS9_4plusIvEEjEEDaPvRmT3_T4_T5_mT6_P12ihipStream_tbENKUlT_T0_E_clISt17integral_constantIbLb1EESW_EEDaSR_SS_EUlSR_E_NS1_11comp_targetILNS1_3genE8ELNS1_11target_archE1030ELNS1_3gpuE2ELNS1_3repE0EEENS1_30default_config_static_selectorELNS0_4arch9wavefront6targetE1EEEvT1_
                                        ; -- End function
	.section	.AMDGPU.csdata,"",@progbits
; Kernel info:
; codeLenInByte = 0
; NumSgprs: 4
; NumVgprs: 0
; NumAgprs: 0
; TotalNumVgprs: 0
; ScratchSize: 0
; MemoryBound: 0
; FloatMode: 240
; IeeeMode: 1
; LDSByteSize: 0 bytes/workgroup (compile time only)
; SGPRBlocks: 0
; VGPRBlocks: 0
; NumSGPRsForWavesPerEU: 4
; NumVGPRsForWavesPerEU: 1
; AccumOffset: 4
; Occupancy: 8
; WaveLimiterHint : 0
; COMPUTE_PGM_RSRC2:SCRATCH_EN: 0
; COMPUTE_PGM_RSRC2:USER_SGPR: 6
; COMPUTE_PGM_RSRC2:TRAP_HANDLER: 0
; COMPUTE_PGM_RSRC2:TGID_X_EN: 1
; COMPUTE_PGM_RSRC2:TGID_Y_EN: 0
; COMPUTE_PGM_RSRC2:TGID_Z_EN: 0
; COMPUTE_PGM_RSRC2:TIDIG_COMP_CNT: 0
; COMPUTE_PGM_RSRC3_GFX90A:ACCUM_OFFSET: 0
; COMPUTE_PGM_RSRC3_GFX90A:TG_SPLIT: 0
	.section	.text._ZN7rocprim17ROCPRIM_400000_NS6detail17trampoline_kernelINS0_14default_configENS1_20scan_config_selectorIjEEZZNS1_9scan_implILNS1_25lookback_scan_determinismE0ELb0ELb0ES3_N6thrust23THRUST_200600_302600_NS6detail15normal_iteratorINS9_10device_ptrIjEEEENSB_INSC_IfEEEEjNS9_4plusIvEEjEEDaPvRmT3_T4_T5_mT6_P12ihipStream_tbENKUlT_T0_E_clISt17integral_constantIbLb1EESW_EEDaSR_SS_EUlSR_E0_NS1_11comp_targetILNS1_3genE0ELNS1_11target_archE4294967295ELNS1_3gpuE0ELNS1_3repE0EEENS1_30default_config_static_selectorELNS0_4arch9wavefront6targetE1EEEvT1_,"axG",@progbits,_ZN7rocprim17ROCPRIM_400000_NS6detail17trampoline_kernelINS0_14default_configENS1_20scan_config_selectorIjEEZZNS1_9scan_implILNS1_25lookback_scan_determinismE0ELb0ELb0ES3_N6thrust23THRUST_200600_302600_NS6detail15normal_iteratorINS9_10device_ptrIjEEEENSB_INSC_IfEEEEjNS9_4plusIvEEjEEDaPvRmT3_T4_T5_mT6_P12ihipStream_tbENKUlT_T0_E_clISt17integral_constantIbLb1EESW_EEDaSR_SS_EUlSR_E0_NS1_11comp_targetILNS1_3genE0ELNS1_11target_archE4294967295ELNS1_3gpuE0ELNS1_3repE0EEENS1_30default_config_static_selectorELNS0_4arch9wavefront6targetE1EEEvT1_,comdat
	.protected	_ZN7rocprim17ROCPRIM_400000_NS6detail17trampoline_kernelINS0_14default_configENS1_20scan_config_selectorIjEEZZNS1_9scan_implILNS1_25lookback_scan_determinismE0ELb0ELb0ES3_N6thrust23THRUST_200600_302600_NS6detail15normal_iteratorINS9_10device_ptrIjEEEENSB_INSC_IfEEEEjNS9_4plusIvEEjEEDaPvRmT3_T4_T5_mT6_P12ihipStream_tbENKUlT_T0_E_clISt17integral_constantIbLb1EESW_EEDaSR_SS_EUlSR_E0_NS1_11comp_targetILNS1_3genE0ELNS1_11target_archE4294967295ELNS1_3gpuE0ELNS1_3repE0EEENS1_30default_config_static_selectorELNS0_4arch9wavefront6targetE1EEEvT1_ ; -- Begin function _ZN7rocprim17ROCPRIM_400000_NS6detail17trampoline_kernelINS0_14default_configENS1_20scan_config_selectorIjEEZZNS1_9scan_implILNS1_25lookback_scan_determinismE0ELb0ELb0ES3_N6thrust23THRUST_200600_302600_NS6detail15normal_iteratorINS9_10device_ptrIjEEEENSB_INSC_IfEEEEjNS9_4plusIvEEjEEDaPvRmT3_T4_T5_mT6_P12ihipStream_tbENKUlT_T0_E_clISt17integral_constantIbLb1EESW_EEDaSR_SS_EUlSR_E0_NS1_11comp_targetILNS1_3genE0ELNS1_11target_archE4294967295ELNS1_3gpuE0ELNS1_3repE0EEENS1_30default_config_static_selectorELNS0_4arch9wavefront6targetE1EEEvT1_
	.globl	_ZN7rocprim17ROCPRIM_400000_NS6detail17trampoline_kernelINS0_14default_configENS1_20scan_config_selectorIjEEZZNS1_9scan_implILNS1_25lookback_scan_determinismE0ELb0ELb0ES3_N6thrust23THRUST_200600_302600_NS6detail15normal_iteratorINS9_10device_ptrIjEEEENSB_INSC_IfEEEEjNS9_4plusIvEEjEEDaPvRmT3_T4_T5_mT6_P12ihipStream_tbENKUlT_T0_E_clISt17integral_constantIbLb1EESW_EEDaSR_SS_EUlSR_E0_NS1_11comp_targetILNS1_3genE0ELNS1_11target_archE4294967295ELNS1_3gpuE0ELNS1_3repE0EEENS1_30default_config_static_selectorELNS0_4arch9wavefront6targetE1EEEvT1_
	.p2align	8
	.type	_ZN7rocprim17ROCPRIM_400000_NS6detail17trampoline_kernelINS0_14default_configENS1_20scan_config_selectorIjEEZZNS1_9scan_implILNS1_25lookback_scan_determinismE0ELb0ELb0ES3_N6thrust23THRUST_200600_302600_NS6detail15normal_iteratorINS9_10device_ptrIjEEEENSB_INSC_IfEEEEjNS9_4plusIvEEjEEDaPvRmT3_T4_T5_mT6_P12ihipStream_tbENKUlT_T0_E_clISt17integral_constantIbLb1EESW_EEDaSR_SS_EUlSR_E0_NS1_11comp_targetILNS1_3genE0ELNS1_11target_archE4294967295ELNS1_3gpuE0ELNS1_3repE0EEENS1_30default_config_static_selectorELNS0_4arch9wavefront6targetE1EEEvT1_,@function
_ZN7rocprim17ROCPRIM_400000_NS6detail17trampoline_kernelINS0_14default_configENS1_20scan_config_selectorIjEEZZNS1_9scan_implILNS1_25lookback_scan_determinismE0ELb0ELb0ES3_N6thrust23THRUST_200600_302600_NS6detail15normal_iteratorINS9_10device_ptrIjEEEENSB_INSC_IfEEEEjNS9_4plusIvEEjEEDaPvRmT3_T4_T5_mT6_P12ihipStream_tbENKUlT_T0_E_clISt17integral_constantIbLb1EESW_EEDaSR_SS_EUlSR_E0_NS1_11comp_targetILNS1_3genE0ELNS1_11target_archE4294967295ELNS1_3gpuE0ELNS1_3repE0EEENS1_30default_config_static_selectorELNS0_4arch9wavefront6targetE1EEEvT1_: ; @_ZN7rocprim17ROCPRIM_400000_NS6detail17trampoline_kernelINS0_14default_configENS1_20scan_config_selectorIjEEZZNS1_9scan_implILNS1_25lookback_scan_determinismE0ELb0ELb0ES3_N6thrust23THRUST_200600_302600_NS6detail15normal_iteratorINS9_10device_ptrIjEEEENSB_INSC_IfEEEEjNS9_4plusIvEEjEEDaPvRmT3_T4_T5_mT6_P12ihipStream_tbENKUlT_T0_E_clISt17integral_constantIbLb1EESW_EEDaSR_SS_EUlSR_E0_NS1_11comp_targetILNS1_3genE0ELNS1_11target_archE4294967295ELNS1_3gpuE0ELNS1_3repE0EEENS1_30default_config_static_selectorELNS0_4arch9wavefront6targetE1EEEvT1_
; %bb.0:
	.section	.rodata,"a",@progbits
	.p2align	6, 0x0
	.amdhsa_kernel _ZN7rocprim17ROCPRIM_400000_NS6detail17trampoline_kernelINS0_14default_configENS1_20scan_config_selectorIjEEZZNS1_9scan_implILNS1_25lookback_scan_determinismE0ELb0ELb0ES3_N6thrust23THRUST_200600_302600_NS6detail15normal_iteratorINS9_10device_ptrIjEEEENSB_INSC_IfEEEEjNS9_4plusIvEEjEEDaPvRmT3_T4_T5_mT6_P12ihipStream_tbENKUlT_T0_E_clISt17integral_constantIbLb1EESW_EEDaSR_SS_EUlSR_E0_NS1_11comp_targetILNS1_3genE0ELNS1_11target_archE4294967295ELNS1_3gpuE0ELNS1_3repE0EEENS1_30default_config_static_selectorELNS0_4arch9wavefront6targetE1EEEvT1_
		.amdhsa_group_segment_fixed_size 0
		.amdhsa_private_segment_fixed_size 0
		.amdhsa_kernarg_size 32
		.amdhsa_user_sgpr_count 6
		.amdhsa_user_sgpr_private_segment_buffer 1
		.amdhsa_user_sgpr_dispatch_ptr 0
		.amdhsa_user_sgpr_queue_ptr 0
		.amdhsa_user_sgpr_kernarg_segment_ptr 1
		.amdhsa_user_sgpr_dispatch_id 0
		.amdhsa_user_sgpr_flat_scratch_init 0
		.amdhsa_user_sgpr_kernarg_preload_length 0
		.amdhsa_user_sgpr_kernarg_preload_offset 0
		.amdhsa_user_sgpr_private_segment_size 0
		.amdhsa_uses_dynamic_stack 0
		.amdhsa_system_sgpr_private_segment_wavefront_offset 0
		.amdhsa_system_sgpr_workgroup_id_x 1
		.amdhsa_system_sgpr_workgroup_id_y 0
		.amdhsa_system_sgpr_workgroup_id_z 0
		.amdhsa_system_sgpr_workgroup_info 0
		.amdhsa_system_vgpr_workitem_id 0
		.amdhsa_next_free_vgpr 1
		.amdhsa_next_free_sgpr 0
		.amdhsa_accum_offset 4
		.amdhsa_reserve_vcc 0
		.amdhsa_reserve_flat_scratch 0
		.amdhsa_float_round_mode_32 0
		.amdhsa_float_round_mode_16_64 0
		.amdhsa_float_denorm_mode_32 3
		.amdhsa_float_denorm_mode_16_64 3
		.amdhsa_dx10_clamp 1
		.amdhsa_ieee_mode 1
		.amdhsa_fp16_overflow 0
		.amdhsa_tg_split 0
		.amdhsa_exception_fp_ieee_invalid_op 0
		.amdhsa_exception_fp_denorm_src 0
		.amdhsa_exception_fp_ieee_div_zero 0
		.amdhsa_exception_fp_ieee_overflow 0
		.amdhsa_exception_fp_ieee_underflow 0
		.amdhsa_exception_fp_ieee_inexact 0
		.amdhsa_exception_int_div_zero 0
	.end_amdhsa_kernel
	.section	.text._ZN7rocprim17ROCPRIM_400000_NS6detail17trampoline_kernelINS0_14default_configENS1_20scan_config_selectorIjEEZZNS1_9scan_implILNS1_25lookback_scan_determinismE0ELb0ELb0ES3_N6thrust23THRUST_200600_302600_NS6detail15normal_iteratorINS9_10device_ptrIjEEEENSB_INSC_IfEEEEjNS9_4plusIvEEjEEDaPvRmT3_T4_T5_mT6_P12ihipStream_tbENKUlT_T0_E_clISt17integral_constantIbLb1EESW_EEDaSR_SS_EUlSR_E0_NS1_11comp_targetILNS1_3genE0ELNS1_11target_archE4294967295ELNS1_3gpuE0ELNS1_3repE0EEENS1_30default_config_static_selectorELNS0_4arch9wavefront6targetE1EEEvT1_,"axG",@progbits,_ZN7rocprim17ROCPRIM_400000_NS6detail17trampoline_kernelINS0_14default_configENS1_20scan_config_selectorIjEEZZNS1_9scan_implILNS1_25lookback_scan_determinismE0ELb0ELb0ES3_N6thrust23THRUST_200600_302600_NS6detail15normal_iteratorINS9_10device_ptrIjEEEENSB_INSC_IfEEEEjNS9_4plusIvEEjEEDaPvRmT3_T4_T5_mT6_P12ihipStream_tbENKUlT_T0_E_clISt17integral_constantIbLb1EESW_EEDaSR_SS_EUlSR_E0_NS1_11comp_targetILNS1_3genE0ELNS1_11target_archE4294967295ELNS1_3gpuE0ELNS1_3repE0EEENS1_30default_config_static_selectorELNS0_4arch9wavefront6targetE1EEEvT1_,comdat
.Lfunc_end6042:
	.size	_ZN7rocprim17ROCPRIM_400000_NS6detail17trampoline_kernelINS0_14default_configENS1_20scan_config_selectorIjEEZZNS1_9scan_implILNS1_25lookback_scan_determinismE0ELb0ELb0ES3_N6thrust23THRUST_200600_302600_NS6detail15normal_iteratorINS9_10device_ptrIjEEEENSB_INSC_IfEEEEjNS9_4plusIvEEjEEDaPvRmT3_T4_T5_mT6_P12ihipStream_tbENKUlT_T0_E_clISt17integral_constantIbLb1EESW_EEDaSR_SS_EUlSR_E0_NS1_11comp_targetILNS1_3genE0ELNS1_11target_archE4294967295ELNS1_3gpuE0ELNS1_3repE0EEENS1_30default_config_static_selectorELNS0_4arch9wavefront6targetE1EEEvT1_, .Lfunc_end6042-_ZN7rocprim17ROCPRIM_400000_NS6detail17trampoline_kernelINS0_14default_configENS1_20scan_config_selectorIjEEZZNS1_9scan_implILNS1_25lookback_scan_determinismE0ELb0ELb0ES3_N6thrust23THRUST_200600_302600_NS6detail15normal_iteratorINS9_10device_ptrIjEEEENSB_INSC_IfEEEEjNS9_4plusIvEEjEEDaPvRmT3_T4_T5_mT6_P12ihipStream_tbENKUlT_T0_E_clISt17integral_constantIbLb1EESW_EEDaSR_SS_EUlSR_E0_NS1_11comp_targetILNS1_3genE0ELNS1_11target_archE4294967295ELNS1_3gpuE0ELNS1_3repE0EEENS1_30default_config_static_selectorELNS0_4arch9wavefront6targetE1EEEvT1_
                                        ; -- End function
	.section	.AMDGPU.csdata,"",@progbits
; Kernel info:
; codeLenInByte = 0
; NumSgprs: 4
; NumVgprs: 0
; NumAgprs: 0
; TotalNumVgprs: 0
; ScratchSize: 0
; MemoryBound: 0
; FloatMode: 240
; IeeeMode: 1
; LDSByteSize: 0 bytes/workgroup (compile time only)
; SGPRBlocks: 0
; VGPRBlocks: 0
; NumSGPRsForWavesPerEU: 4
; NumVGPRsForWavesPerEU: 1
; AccumOffset: 4
; Occupancy: 8
; WaveLimiterHint : 0
; COMPUTE_PGM_RSRC2:SCRATCH_EN: 0
; COMPUTE_PGM_RSRC2:USER_SGPR: 6
; COMPUTE_PGM_RSRC2:TRAP_HANDLER: 0
; COMPUTE_PGM_RSRC2:TGID_X_EN: 1
; COMPUTE_PGM_RSRC2:TGID_Y_EN: 0
; COMPUTE_PGM_RSRC2:TGID_Z_EN: 0
; COMPUTE_PGM_RSRC2:TIDIG_COMP_CNT: 0
; COMPUTE_PGM_RSRC3_GFX90A:ACCUM_OFFSET: 0
; COMPUTE_PGM_RSRC3_GFX90A:TG_SPLIT: 0
	.section	.text._ZN7rocprim17ROCPRIM_400000_NS6detail17trampoline_kernelINS0_14default_configENS1_20scan_config_selectorIjEEZZNS1_9scan_implILNS1_25lookback_scan_determinismE0ELb0ELb0ES3_N6thrust23THRUST_200600_302600_NS6detail15normal_iteratorINS9_10device_ptrIjEEEENSB_INSC_IfEEEEjNS9_4plusIvEEjEEDaPvRmT3_T4_T5_mT6_P12ihipStream_tbENKUlT_T0_E_clISt17integral_constantIbLb1EESW_EEDaSR_SS_EUlSR_E0_NS1_11comp_targetILNS1_3genE5ELNS1_11target_archE942ELNS1_3gpuE9ELNS1_3repE0EEENS1_30default_config_static_selectorELNS0_4arch9wavefront6targetE1EEEvT1_,"axG",@progbits,_ZN7rocprim17ROCPRIM_400000_NS6detail17trampoline_kernelINS0_14default_configENS1_20scan_config_selectorIjEEZZNS1_9scan_implILNS1_25lookback_scan_determinismE0ELb0ELb0ES3_N6thrust23THRUST_200600_302600_NS6detail15normal_iteratorINS9_10device_ptrIjEEEENSB_INSC_IfEEEEjNS9_4plusIvEEjEEDaPvRmT3_T4_T5_mT6_P12ihipStream_tbENKUlT_T0_E_clISt17integral_constantIbLb1EESW_EEDaSR_SS_EUlSR_E0_NS1_11comp_targetILNS1_3genE5ELNS1_11target_archE942ELNS1_3gpuE9ELNS1_3repE0EEENS1_30default_config_static_selectorELNS0_4arch9wavefront6targetE1EEEvT1_,comdat
	.protected	_ZN7rocprim17ROCPRIM_400000_NS6detail17trampoline_kernelINS0_14default_configENS1_20scan_config_selectorIjEEZZNS1_9scan_implILNS1_25lookback_scan_determinismE0ELb0ELb0ES3_N6thrust23THRUST_200600_302600_NS6detail15normal_iteratorINS9_10device_ptrIjEEEENSB_INSC_IfEEEEjNS9_4plusIvEEjEEDaPvRmT3_T4_T5_mT6_P12ihipStream_tbENKUlT_T0_E_clISt17integral_constantIbLb1EESW_EEDaSR_SS_EUlSR_E0_NS1_11comp_targetILNS1_3genE5ELNS1_11target_archE942ELNS1_3gpuE9ELNS1_3repE0EEENS1_30default_config_static_selectorELNS0_4arch9wavefront6targetE1EEEvT1_ ; -- Begin function _ZN7rocprim17ROCPRIM_400000_NS6detail17trampoline_kernelINS0_14default_configENS1_20scan_config_selectorIjEEZZNS1_9scan_implILNS1_25lookback_scan_determinismE0ELb0ELb0ES3_N6thrust23THRUST_200600_302600_NS6detail15normal_iteratorINS9_10device_ptrIjEEEENSB_INSC_IfEEEEjNS9_4plusIvEEjEEDaPvRmT3_T4_T5_mT6_P12ihipStream_tbENKUlT_T0_E_clISt17integral_constantIbLb1EESW_EEDaSR_SS_EUlSR_E0_NS1_11comp_targetILNS1_3genE5ELNS1_11target_archE942ELNS1_3gpuE9ELNS1_3repE0EEENS1_30default_config_static_selectorELNS0_4arch9wavefront6targetE1EEEvT1_
	.globl	_ZN7rocprim17ROCPRIM_400000_NS6detail17trampoline_kernelINS0_14default_configENS1_20scan_config_selectorIjEEZZNS1_9scan_implILNS1_25lookback_scan_determinismE0ELb0ELb0ES3_N6thrust23THRUST_200600_302600_NS6detail15normal_iteratorINS9_10device_ptrIjEEEENSB_INSC_IfEEEEjNS9_4plusIvEEjEEDaPvRmT3_T4_T5_mT6_P12ihipStream_tbENKUlT_T0_E_clISt17integral_constantIbLb1EESW_EEDaSR_SS_EUlSR_E0_NS1_11comp_targetILNS1_3genE5ELNS1_11target_archE942ELNS1_3gpuE9ELNS1_3repE0EEENS1_30default_config_static_selectorELNS0_4arch9wavefront6targetE1EEEvT1_
	.p2align	8
	.type	_ZN7rocprim17ROCPRIM_400000_NS6detail17trampoline_kernelINS0_14default_configENS1_20scan_config_selectorIjEEZZNS1_9scan_implILNS1_25lookback_scan_determinismE0ELb0ELb0ES3_N6thrust23THRUST_200600_302600_NS6detail15normal_iteratorINS9_10device_ptrIjEEEENSB_INSC_IfEEEEjNS9_4plusIvEEjEEDaPvRmT3_T4_T5_mT6_P12ihipStream_tbENKUlT_T0_E_clISt17integral_constantIbLb1EESW_EEDaSR_SS_EUlSR_E0_NS1_11comp_targetILNS1_3genE5ELNS1_11target_archE942ELNS1_3gpuE9ELNS1_3repE0EEENS1_30default_config_static_selectorELNS0_4arch9wavefront6targetE1EEEvT1_,@function
_ZN7rocprim17ROCPRIM_400000_NS6detail17trampoline_kernelINS0_14default_configENS1_20scan_config_selectorIjEEZZNS1_9scan_implILNS1_25lookback_scan_determinismE0ELb0ELb0ES3_N6thrust23THRUST_200600_302600_NS6detail15normal_iteratorINS9_10device_ptrIjEEEENSB_INSC_IfEEEEjNS9_4plusIvEEjEEDaPvRmT3_T4_T5_mT6_P12ihipStream_tbENKUlT_T0_E_clISt17integral_constantIbLb1EESW_EEDaSR_SS_EUlSR_E0_NS1_11comp_targetILNS1_3genE5ELNS1_11target_archE942ELNS1_3gpuE9ELNS1_3repE0EEENS1_30default_config_static_selectorELNS0_4arch9wavefront6targetE1EEEvT1_: ; @_ZN7rocprim17ROCPRIM_400000_NS6detail17trampoline_kernelINS0_14default_configENS1_20scan_config_selectorIjEEZZNS1_9scan_implILNS1_25lookback_scan_determinismE0ELb0ELb0ES3_N6thrust23THRUST_200600_302600_NS6detail15normal_iteratorINS9_10device_ptrIjEEEENSB_INSC_IfEEEEjNS9_4plusIvEEjEEDaPvRmT3_T4_T5_mT6_P12ihipStream_tbENKUlT_T0_E_clISt17integral_constantIbLb1EESW_EEDaSR_SS_EUlSR_E0_NS1_11comp_targetILNS1_3genE5ELNS1_11target_archE942ELNS1_3gpuE9ELNS1_3repE0EEENS1_30default_config_static_selectorELNS0_4arch9wavefront6targetE1EEEvT1_
; %bb.0:
	.section	.rodata,"a",@progbits
	.p2align	6, 0x0
	.amdhsa_kernel _ZN7rocprim17ROCPRIM_400000_NS6detail17trampoline_kernelINS0_14default_configENS1_20scan_config_selectorIjEEZZNS1_9scan_implILNS1_25lookback_scan_determinismE0ELb0ELb0ES3_N6thrust23THRUST_200600_302600_NS6detail15normal_iteratorINS9_10device_ptrIjEEEENSB_INSC_IfEEEEjNS9_4plusIvEEjEEDaPvRmT3_T4_T5_mT6_P12ihipStream_tbENKUlT_T0_E_clISt17integral_constantIbLb1EESW_EEDaSR_SS_EUlSR_E0_NS1_11comp_targetILNS1_3genE5ELNS1_11target_archE942ELNS1_3gpuE9ELNS1_3repE0EEENS1_30default_config_static_selectorELNS0_4arch9wavefront6targetE1EEEvT1_
		.amdhsa_group_segment_fixed_size 0
		.amdhsa_private_segment_fixed_size 0
		.amdhsa_kernarg_size 32
		.amdhsa_user_sgpr_count 6
		.amdhsa_user_sgpr_private_segment_buffer 1
		.amdhsa_user_sgpr_dispatch_ptr 0
		.amdhsa_user_sgpr_queue_ptr 0
		.amdhsa_user_sgpr_kernarg_segment_ptr 1
		.amdhsa_user_sgpr_dispatch_id 0
		.amdhsa_user_sgpr_flat_scratch_init 0
		.amdhsa_user_sgpr_kernarg_preload_length 0
		.amdhsa_user_sgpr_kernarg_preload_offset 0
		.amdhsa_user_sgpr_private_segment_size 0
		.amdhsa_uses_dynamic_stack 0
		.amdhsa_system_sgpr_private_segment_wavefront_offset 0
		.amdhsa_system_sgpr_workgroup_id_x 1
		.amdhsa_system_sgpr_workgroup_id_y 0
		.amdhsa_system_sgpr_workgroup_id_z 0
		.amdhsa_system_sgpr_workgroup_info 0
		.amdhsa_system_vgpr_workitem_id 0
		.amdhsa_next_free_vgpr 1
		.amdhsa_next_free_sgpr 0
		.amdhsa_accum_offset 4
		.amdhsa_reserve_vcc 0
		.amdhsa_reserve_flat_scratch 0
		.amdhsa_float_round_mode_32 0
		.amdhsa_float_round_mode_16_64 0
		.amdhsa_float_denorm_mode_32 3
		.amdhsa_float_denorm_mode_16_64 3
		.amdhsa_dx10_clamp 1
		.amdhsa_ieee_mode 1
		.amdhsa_fp16_overflow 0
		.amdhsa_tg_split 0
		.amdhsa_exception_fp_ieee_invalid_op 0
		.amdhsa_exception_fp_denorm_src 0
		.amdhsa_exception_fp_ieee_div_zero 0
		.amdhsa_exception_fp_ieee_overflow 0
		.amdhsa_exception_fp_ieee_underflow 0
		.amdhsa_exception_fp_ieee_inexact 0
		.amdhsa_exception_int_div_zero 0
	.end_amdhsa_kernel
	.section	.text._ZN7rocprim17ROCPRIM_400000_NS6detail17trampoline_kernelINS0_14default_configENS1_20scan_config_selectorIjEEZZNS1_9scan_implILNS1_25lookback_scan_determinismE0ELb0ELb0ES3_N6thrust23THRUST_200600_302600_NS6detail15normal_iteratorINS9_10device_ptrIjEEEENSB_INSC_IfEEEEjNS9_4plusIvEEjEEDaPvRmT3_T4_T5_mT6_P12ihipStream_tbENKUlT_T0_E_clISt17integral_constantIbLb1EESW_EEDaSR_SS_EUlSR_E0_NS1_11comp_targetILNS1_3genE5ELNS1_11target_archE942ELNS1_3gpuE9ELNS1_3repE0EEENS1_30default_config_static_selectorELNS0_4arch9wavefront6targetE1EEEvT1_,"axG",@progbits,_ZN7rocprim17ROCPRIM_400000_NS6detail17trampoline_kernelINS0_14default_configENS1_20scan_config_selectorIjEEZZNS1_9scan_implILNS1_25lookback_scan_determinismE0ELb0ELb0ES3_N6thrust23THRUST_200600_302600_NS6detail15normal_iteratorINS9_10device_ptrIjEEEENSB_INSC_IfEEEEjNS9_4plusIvEEjEEDaPvRmT3_T4_T5_mT6_P12ihipStream_tbENKUlT_T0_E_clISt17integral_constantIbLb1EESW_EEDaSR_SS_EUlSR_E0_NS1_11comp_targetILNS1_3genE5ELNS1_11target_archE942ELNS1_3gpuE9ELNS1_3repE0EEENS1_30default_config_static_selectorELNS0_4arch9wavefront6targetE1EEEvT1_,comdat
.Lfunc_end6043:
	.size	_ZN7rocprim17ROCPRIM_400000_NS6detail17trampoline_kernelINS0_14default_configENS1_20scan_config_selectorIjEEZZNS1_9scan_implILNS1_25lookback_scan_determinismE0ELb0ELb0ES3_N6thrust23THRUST_200600_302600_NS6detail15normal_iteratorINS9_10device_ptrIjEEEENSB_INSC_IfEEEEjNS9_4plusIvEEjEEDaPvRmT3_T4_T5_mT6_P12ihipStream_tbENKUlT_T0_E_clISt17integral_constantIbLb1EESW_EEDaSR_SS_EUlSR_E0_NS1_11comp_targetILNS1_3genE5ELNS1_11target_archE942ELNS1_3gpuE9ELNS1_3repE0EEENS1_30default_config_static_selectorELNS0_4arch9wavefront6targetE1EEEvT1_, .Lfunc_end6043-_ZN7rocprim17ROCPRIM_400000_NS6detail17trampoline_kernelINS0_14default_configENS1_20scan_config_selectorIjEEZZNS1_9scan_implILNS1_25lookback_scan_determinismE0ELb0ELb0ES3_N6thrust23THRUST_200600_302600_NS6detail15normal_iteratorINS9_10device_ptrIjEEEENSB_INSC_IfEEEEjNS9_4plusIvEEjEEDaPvRmT3_T4_T5_mT6_P12ihipStream_tbENKUlT_T0_E_clISt17integral_constantIbLb1EESW_EEDaSR_SS_EUlSR_E0_NS1_11comp_targetILNS1_3genE5ELNS1_11target_archE942ELNS1_3gpuE9ELNS1_3repE0EEENS1_30default_config_static_selectorELNS0_4arch9wavefront6targetE1EEEvT1_
                                        ; -- End function
	.section	.AMDGPU.csdata,"",@progbits
; Kernel info:
; codeLenInByte = 0
; NumSgprs: 4
; NumVgprs: 0
; NumAgprs: 0
; TotalNumVgprs: 0
; ScratchSize: 0
; MemoryBound: 0
; FloatMode: 240
; IeeeMode: 1
; LDSByteSize: 0 bytes/workgroup (compile time only)
; SGPRBlocks: 0
; VGPRBlocks: 0
; NumSGPRsForWavesPerEU: 4
; NumVGPRsForWavesPerEU: 1
; AccumOffset: 4
; Occupancy: 8
; WaveLimiterHint : 0
; COMPUTE_PGM_RSRC2:SCRATCH_EN: 0
; COMPUTE_PGM_RSRC2:USER_SGPR: 6
; COMPUTE_PGM_RSRC2:TRAP_HANDLER: 0
; COMPUTE_PGM_RSRC2:TGID_X_EN: 1
; COMPUTE_PGM_RSRC2:TGID_Y_EN: 0
; COMPUTE_PGM_RSRC2:TGID_Z_EN: 0
; COMPUTE_PGM_RSRC2:TIDIG_COMP_CNT: 0
; COMPUTE_PGM_RSRC3_GFX90A:ACCUM_OFFSET: 0
; COMPUTE_PGM_RSRC3_GFX90A:TG_SPLIT: 0
	.section	.text._ZN7rocprim17ROCPRIM_400000_NS6detail17trampoline_kernelINS0_14default_configENS1_20scan_config_selectorIjEEZZNS1_9scan_implILNS1_25lookback_scan_determinismE0ELb0ELb0ES3_N6thrust23THRUST_200600_302600_NS6detail15normal_iteratorINS9_10device_ptrIjEEEENSB_INSC_IfEEEEjNS9_4plusIvEEjEEDaPvRmT3_T4_T5_mT6_P12ihipStream_tbENKUlT_T0_E_clISt17integral_constantIbLb1EESW_EEDaSR_SS_EUlSR_E0_NS1_11comp_targetILNS1_3genE4ELNS1_11target_archE910ELNS1_3gpuE8ELNS1_3repE0EEENS1_30default_config_static_selectorELNS0_4arch9wavefront6targetE1EEEvT1_,"axG",@progbits,_ZN7rocprim17ROCPRIM_400000_NS6detail17trampoline_kernelINS0_14default_configENS1_20scan_config_selectorIjEEZZNS1_9scan_implILNS1_25lookback_scan_determinismE0ELb0ELb0ES3_N6thrust23THRUST_200600_302600_NS6detail15normal_iteratorINS9_10device_ptrIjEEEENSB_INSC_IfEEEEjNS9_4plusIvEEjEEDaPvRmT3_T4_T5_mT6_P12ihipStream_tbENKUlT_T0_E_clISt17integral_constantIbLb1EESW_EEDaSR_SS_EUlSR_E0_NS1_11comp_targetILNS1_3genE4ELNS1_11target_archE910ELNS1_3gpuE8ELNS1_3repE0EEENS1_30default_config_static_selectorELNS0_4arch9wavefront6targetE1EEEvT1_,comdat
	.protected	_ZN7rocprim17ROCPRIM_400000_NS6detail17trampoline_kernelINS0_14default_configENS1_20scan_config_selectorIjEEZZNS1_9scan_implILNS1_25lookback_scan_determinismE0ELb0ELb0ES3_N6thrust23THRUST_200600_302600_NS6detail15normal_iteratorINS9_10device_ptrIjEEEENSB_INSC_IfEEEEjNS9_4plusIvEEjEEDaPvRmT3_T4_T5_mT6_P12ihipStream_tbENKUlT_T0_E_clISt17integral_constantIbLb1EESW_EEDaSR_SS_EUlSR_E0_NS1_11comp_targetILNS1_3genE4ELNS1_11target_archE910ELNS1_3gpuE8ELNS1_3repE0EEENS1_30default_config_static_selectorELNS0_4arch9wavefront6targetE1EEEvT1_ ; -- Begin function _ZN7rocprim17ROCPRIM_400000_NS6detail17trampoline_kernelINS0_14default_configENS1_20scan_config_selectorIjEEZZNS1_9scan_implILNS1_25lookback_scan_determinismE0ELb0ELb0ES3_N6thrust23THRUST_200600_302600_NS6detail15normal_iteratorINS9_10device_ptrIjEEEENSB_INSC_IfEEEEjNS9_4plusIvEEjEEDaPvRmT3_T4_T5_mT6_P12ihipStream_tbENKUlT_T0_E_clISt17integral_constantIbLb1EESW_EEDaSR_SS_EUlSR_E0_NS1_11comp_targetILNS1_3genE4ELNS1_11target_archE910ELNS1_3gpuE8ELNS1_3repE0EEENS1_30default_config_static_selectorELNS0_4arch9wavefront6targetE1EEEvT1_
	.globl	_ZN7rocprim17ROCPRIM_400000_NS6detail17trampoline_kernelINS0_14default_configENS1_20scan_config_selectorIjEEZZNS1_9scan_implILNS1_25lookback_scan_determinismE0ELb0ELb0ES3_N6thrust23THRUST_200600_302600_NS6detail15normal_iteratorINS9_10device_ptrIjEEEENSB_INSC_IfEEEEjNS9_4plusIvEEjEEDaPvRmT3_T4_T5_mT6_P12ihipStream_tbENKUlT_T0_E_clISt17integral_constantIbLb1EESW_EEDaSR_SS_EUlSR_E0_NS1_11comp_targetILNS1_3genE4ELNS1_11target_archE910ELNS1_3gpuE8ELNS1_3repE0EEENS1_30default_config_static_selectorELNS0_4arch9wavefront6targetE1EEEvT1_
	.p2align	8
	.type	_ZN7rocprim17ROCPRIM_400000_NS6detail17trampoline_kernelINS0_14default_configENS1_20scan_config_selectorIjEEZZNS1_9scan_implILNS1_25lookback_scan_determinismE0ELb0ELb0ES3_N6thrust23THRUST_200600_302600_NS6detail15normal_iteratorINS9_10device_ptrIjEEEENSB_INSC_IfEEEEjNS9_4plusIvEEjEEDaPvRmT3_T4_T5_mT6_P12ihipStream_tbENKUlT_T0_E_clISt17integral_constantIbLb1EESW_EEDaSR_SS_EUlSR_E0_NS1_11comp_targetILNS1_3genE4ELNS1_11target_archE910ELNS1_3gpuE8ELNS1_3repE0EEENS1_30default_config_static_selectorELNS0_4arch9wavefront6targetE1EEEvT1_,@function
_ZN7rocprim17ROCPRIM_400000_NS6detail17trampoline_kernelINS0_14default_configENS1_20scan_config_selectorIjEEZZNS1_9scan_implILNS1_25lookback_scan_determinismE0ELb0ELb0ES3_N6thrust23THRUST_200600_302600_NS6detail15normal_iteratorINS9_10device_ptrIjEEEENSB_INSC_IfEEEEjNS9_4plusIvEEjEEDaPvRmT3_T4_T5_mT6_P12ihipStream_tbENKUlT_T0_E_clISt17integral_constantIbLb1EESW_EEDaSR_SS_EUlSR_E0_NS1_11comp_targetILNS1_3genE4ELNS1_11target_archE910ELNS1_3gpuE8ELNS1_3repE0EEENS1_30default_config_static_selectorELNS0_4arch9wavefront6targetE1EEEvT1_: ; @_ZN7rocprim17ROCPRIM_400000_NS6detail17trampoline_kernelINS0_14default_configENS1_20scan_config_selectorIjEEZZNS1_9scan_implILNS1_25lookback_scan_determinismE0ELb0ELb0ES3_N6thrust23THRUST_200600_302600_NS6detail15normal_iteratorINS9_10device_ptrIjEEEENSB_INSC_IfEEEEjNS9_4plusIvEEjEEDaPvRmT3_T4_T5_mT6_P12ihipStream_tbENKUlT_T0_E_clISt17integral_constantIbLb1EESW_EEDaSR_SS_EUlSR_E0_NS1_11comp_targetILNS1_3genE4ELNS1_11target_archE910ELNS1_3gpuE8ELNS1_3repE0EEENS1_30default_config_static_selectorELNS0_4arch9wavefront6targetE1EEEvT1_
; %bb.0:
	s_load_dwordx4 s[20:23], s[4:5], 0x0
	v_lshlrev_b32_e32 v20, 2, v0
	s_waitcnt lgkmcnt(0)
	s_load_dword s23, s[20:21], 0x0
	v_cmp_gt_u32_e32 vcc, s22, v0
	s_waitcnt lgkmcnt(0)
	v_mov_b32_e32 v1, s23
	s_and_saveexec_b64 s[0:1], vcc
	s_cbranch_execz .LBB6044_2
; %bb.1:
	global_load_dword v1, v20, s[20:21]
.LBB6044_2:
	s_or_b64 exec, exec, s[0:1]
	v_or_b32_e32 v2, 0x80, v0
	v_cmp_gt_u32_e64 s[0:1], s22, v2
	v_mov_b32_e32 v2, s23
	s_and_saveexec_b64 s[2:3], s[0:1]
	s_cbranch_execz .LBB6044_4
; %bb.3:
	global_load_dword v2, v20, s[20:21] offset:512
.LBB6044_4:
	s_or_b64 exec, exec, s[2:3]
	v_or_b32_e32 v3, 0x100, v0
	v_cmp_gt_u32_e64 s[2:3], s22, v3
	v_mov_b32_e32 v3, s23
	s_and_saveexec_b64 s[6:7], s[2:3]
	s_cbranch_execz .LBB6044_6
; %bb.5:
	global_load_dword v3, v20, s[20:21] offset:1024
.LBB6044_6:
	;; [unrolled: 9-line block ×7, first 2 shown]
	s_or_b64 exec, exec, s[14:15]
	v_or_b32_e32 v10, 0x400, v0
	v_cmp_gt_u32_e64 s[14:15], s22, v10
	v_mov_b32_e32 v9, s23
	s_and_saveexec_b64 s[16:17], s[14:15]
	s_cbranch_execz .LBB6044_18
; %bb.17:
	v_lshlrev_b32_e32 v9, 2, v10
	global_load_dword v9, v9, s[20:21]
.LBB6044_18:
	s_or_b64 exec, exec, s[16:17]
	v_or_b32_e32 v11, 0x480, v0
	v_cmp_gt_u32_e64 s[16:17], s22, v11
	v_mov_b32_e32 v10, s23
	s_and_saveexec_b64 s[22:23], s[16:17]
	s_cbranch_execz .LBB6044_20
; %bb.19:
	v_lshlrev_b32_e32 v10, 2, v11
	global_load_dword v10, v10, s[20:21]
.LBB6044_20:
	s_or_b64 exec, exec, s[22:23]
	s_waitcnt vmcnt(0)
	ds_write2st64_b32 v20, v1, v2 offset1:2
	ds_write2st64_b32 v20, v3, v4 offset0:4 offset1:6
	ds_write2st64_b32 v20, v5, v6 offset0:8 offset1:10
	;; [unrolled: 1-line block ×4, first 2 shown]
	v_mad_u32_u24 v1, v0, 36, v20
	s_waitcnt lgkmcnt(0)
	s_barrier
	ds_read2_b64 v[6:9], v1 offset1:1
	ds_read2_b64 v[2:5], v1 offset0:2 offset1:3
	ds_read_b64 v[18:19], v1 offset:32
	v_lshrrev_b32_e32 v21, 3, v0
	v_and_b32_e32 v21, 12, v21
	s_waitcnt lgkmcnt(2)
	v_add_u32_e32 v1, v7, v6
	v_add_u32_e32 v14, v1, v8
	;; [unrolled: 1-line block ×3, first 2 shown]
	s_waitcnt lgkmcnt(1)
	v_add_u32_e32 v10, v15, v2
	v_add_u32_e32 v11, v10, v3
	;; [unrolled: 1-line block ×4, first 2 shown]
	s_waitcnt lgkmcnt(0)
	v_add_u32_e32 v16, v13, v18
	v_add_u32_e32 v17, v16, v19
	;; [unrolled: 1-line block ×3, first 2 shown]
	v_cmp_gt_u32_e64 s[20:21], 64, v0
	s_barrier
	ds_write_b32 v21, v17
	s_waitcnt lgkmcnt(0)
	s_barrier
	s_and_saveexec_b64 s[22:23], s[20:21]
	s_cbranch_execz .LBB6044_22
; %bb.21:
	v_lshlrev_b32_e32 v21, 1, v0
	v_lshrrev_b32_e32 v22, 4, v0
	v_add_lshl_u32 v21, v22, v21, 2
	ds_read2_b32 v[22:23], v21 offset1:1
	v_mbcnt_lo_u32_b32 v24, -1, 0
	v_mbcnt_hi_u32_b32 v24, -1, v24
	v_and_b32_e32 v25, 15, v24
	v_cmp_ne_u32_e64 s[20:21], 0, v25
	s_waitcnt lgkmcnt(0)
	v_add_u32_e32 v23, v23, v22
	; wave barrier
	s_nop 1
	v_mov_b32_dpp v26, v23 row_shr:1 row_mask:0xf bank_mask:0xf
	v_cndmask_b32_e64 v26, 0, v26, s[20:21]
	v_add_u32_e32 v23, v26, v23
	v_cmp_lt_u32_e64 s[20:21], 1, v25
	s_nop 0
	v_mov_b32_dpp v26, v23 row_shr:2 row_mask:0xf bank_mask:0xf
	v_cndmask_b32_e64 v26, 0, v26, s[20:21]
	v_add_u32_e32 v23, v23, v26
	v_cmp_lt_u32_e64 s[20:21], 3, v25
	;; [unrolled: 5-line block ×3, first 2 shown]
	s_nop 0
	v_mov_b32_dpp v26, v23 row_shr:8 row_mask:0xf bank_mask:0xf
	v_cndmask_b32_e64 v25, 0, v26, s[20:21]
	v_add_u32_e32 v23, v23, v25
	v_bfe_i32 v26, v24, 4, 1
	v_cmp_lt_u32_e64 s[20:21], 31, v24
	v_mov_b32_dpp v25, v23 row_bcast:15 row_mask:0xf bank_mask:0xf
	v_and_b32_e32 v25, v26, v25
	v_add_u32_e32 v23, v23, v25
	v_and_b32_e32 v26, 64, v24
	s_nop 0
	v_mov_b32_dpp v25, v23 row_bcast:31 row_mask:0xf bank_mask:0xf
	v_cndmask_b32_e64 v25, 0, v25, s[20:21]
	v_add_u32_e32 v23, v23, v25
	v_add_u32_e32 v25, -1, v24
	v_cmp_lt_i32_e64 s[20:21], v25, v26
	v_cndmask_b32_e64 v24, v25, v24, s[20:21]
	v_lshlrev_b32_e32 v24, 2, v24
	ds_bpermute_b32 v23, v24, v23
	v_cmp_eq_u32_e64 s[20:21], 0, v0
	s_waitcnt lgkmcnt(0)
	v_add_u32_e32 v22, v23, v22
	v_cndmask_b32_e64 v22, v22, v17, s[20:21]
	ds_write_b32 v21, v22
	; wave barrier
	ds_read_b32 v23, v21 offset:4
	s_waitcnt lgkmcnt(0)
	v_add_u32_e32 v22, v23, v22
	ds_write_b32 v21, v22 offset:4
.LBB6044_22:
	s_or_b64 exec, exec, s[22:23]
	s_load_dwordx2 s[20:21], s[4:5], 0x18
	v_cmp_ne_u32_e64 s[4:5], 0, v0
	v_mov_b32_e32 v22, v17
	s_waitcnt lgkmcnt(0)
	s_barrier
	s_and_saveexec_b64 s[22:23], s[4:5]
	s_cbranch_execz .LBB6044_24
; %bb.23:
	v_add_u32_e32 v21, -1, v0
	v_lshrrev_b32_e32 v22, 5, v21
	v_add_lshl_u32 v21, v22, v21, 2
	ds_read_b32 v22, v21
.LBB6044_24:
	s_or_b64 exec, exec, s[22:23]
	v_mul_u32_u24_e32 v21, 36, v0
	v_mov_b32_e32 v0, v6
	s_and_saveexec_b64 s[22:23], s[4:5]
	s_cbranch_execz .LBB6044_26
; %bb.25:
	s_waitcnt lgkmcnt(0)
	v_add_u32_e32 v0, v22, v6
	v_add_u32_e32 v1, v0, v7
	;; [unrolled: 1-line block ×10, first 2 shown]
	;;#ASMSTART
	;;#ASMEND
.LBB6044_26:
	s_or_b64 exec, exec, s[22:23]
	v_add_u32_e32 v2, v20, v21
	s_waitcnt lgkmcnt(0)
	s_barrier
	ds_write2_b64 v2, v[0:1], v[14:15] offset1:1
	ds_write2_b64 v2, v[10:11], v[12:13] offset0:2 offset1:3
	ds_write_b64 v2, v[16:17] offset:32
	s_waitcnt lgkmcnt(0)
	s_barrier
	ds_read2st64_b32 v[8:9], v20 offset0:2 offset1:4
	ds_read2st64_b32 v[6:7], v20 offset0:6 offset1:8
	;; [unrolled: 1-line block ×4, first 2 shown]
	ds_read_b32 v10, v20 offset:4608
	v_mov_b32_e32 v1, s21
	v_add_co_u32_e64 v0, s[4:5], s20, v20
	v_addc_co_u32_e64 v1, s[4:5], 0, v1, s[4:5]
	s_and_saveexec_b64 s[4:5], vcc
	s_cbranch_execnz .LBB6044_37
; %bb.27:
	s_or_b64 exec, exec, s[4:5]
	s_and_saveexec_b64 s[4:5], s[0:1]
	s_cbranch_execnz .LBB6044_38
.LBB6044_28:
	s_or_b64 exec, exec, s[4:5]
	s_and_saveexec_b64 s[0:1], s[2:3]
	s_cbranch_execnz .LBB6044_39
.LBB6044_29:
	s_or_b64 exec, exec, s[0:1]
	s_and_saveexec_b64 s[0:1], s[18:19]
	s_cbranch_execnz .LBB6044_40
.LBB6044_30:
	s_or_b64 exec, exec, s[0:1]
	s_and_saveexec_b64 s[0:1], s[6:7]
	s_cbranch_execnz .LBB6044_41
.LBB6044_31:
	s_or_b64 exec, exec, s[0:1]
	s_and_saveexec_b64 s[0:1], s[8:9]
	s_cbranch_execnz .LBB6044_42
.LBB6044_32:
	s_or_b64 exec, exec, s[0:1]
	s_and_saveexec_b64 s[0:1], s[10:11]
	s_cbranch_execnz .LBB6044_43
.LBB6044_33:
	s_or_b64 exec, exec, s[0:1]
	s_and_saveexec_b64 s[0:1], s[12:13]
	s_cbranch_execnz .LBB6044_44
.LBB6044_34:
	s_or_b64 exec, exec, s[0:1]
	s_and_saveexec_b64 s[0:1], s[14:15]
	s_cbranch_execnz .LBB6044_45
.LBB6044_35:
	s_or_b64 exec, exec, s[0:1]
	s_and_saveexec_b64 s[0:1], s[16:17]
	s_cbranch_execnz .LBB6044_46
.LBB6044_36:
	s_endpgm
.LBB6044_37:
	ds_read_b32 v11, v20
	s_waitcnt lgkmcnt(0)
	v_cvt_f32_u32_e32 v11, v11
	global_store_dword v[0:1], v11, off
	s_or_b64 exec, exec, s[4:5]
	s_and_saveexec_b64 s[4:5], s[0:1]
	s_cbranch_execz .LBB6044_28
.LBB6044_38:
	s_waitcnt lgkmcnt(4)
	v_cvt_f32_u32_e32 v8, v8
	global_store_dword v[0:1], v8, off offset:512
	s_or_b64 exec, exec, s[4:5]
	s_and_saveexec_b64 s[0:1], s[2:3]
	s_cbranch_execz .LBB6044_29
.LBB6044_39:
	s_waitcnt lgkmcnt(4)
	v_cvt_f32_u32_e32 v8, v9
	global_store_dword v[0:1], v8, off offset:1024
	s_or_b64 exec, exec, s[0:1]
	s_and_saveexec_b64 s[0:1], s[18:19]
	s_cbranch_execz .LBB6044_30
.LBB6044_40:
	s_waitcnt lgkmcnt(3)
	v_cvt_f32_u32_e32 v6, v6
	global_store_dword v[0:1], v6, off offset:1536
	s_or_b64 exec, exec, s[0:1]
	s_and_saveexec_b64 s[0:1], s[6:7]
	s_cbranch_execz .LBB6044_31
.LBB6044_41:
	s_waitcnt lgkmcnt(3)
	v_cvt_f32_u32_e32 v6, v7
	global_store_dword v[0:1], v6, off offset:2048
	s_or_b64 exec, exec, s[0:1]
	s_and_saveexec_b64 s[0:1], s[8:9]
	s_cbranch_execz .LBB6044_32
.LBB6044_42:
	s_waitcnt lgkmcnt(2)
	v_cvt_f32_u32_e32 v4, v4
	global_store_dword v[0:1], v4, off offset:2560
	s_or_b64 exec, exec, s[0:1]
	s_and_saveexec_b64 s[0:1], s[10:11]
	s_cbranch_execz .LBB6044_33
.LBB6044_43:
	s_waitcnt lgkmcnt(2)
	v_cvt_f32_u32_e32 v4, v5
	global_store_dword v[0:1], v4, off offset:3072
	s_or_b64 exec, exec, s[0:1]
	s_and_saveexec_b64 s[0:1], s[12:13]
	s_cbranch_execz .LBB6044_34
.LBB6044_44:
	s_waitcnt lgkmcnt(1)
	v_cvt_f32_u32_e32 v2, v2
	global_store_dword v[0:1], v2, off offset:3584
	s_or_b64 exec, exec, s[0:1]
	s_and_saveexec_b64 s[0:1], s[14:15]
	s_cbranch_execz .LBB6044_35
.LBB6044_45:
	s_waitcnt lgkmcnt(1)
	v_cvt_f32_u32_e32 v4, v3
	v_add_co_u32_e32 v2, vcc, 0x1000, v0
	v_addc_co_u32_e32 v3, vcc, 0, v1, vcc
	global_store_dword v[2:3], v4, off
	s_or_b64 exec, exec, s[0:1]
	s_and_saveexec_b64 s[0:1], s[16:17]
	s_cbranch_execz .LBB6044_36
.LBB6044_46:
	s_waitcnt lgkmcnt(0)
	v_cvt_f32_u32_e32 v2, v10
	v_add_co_u32_e32 v0, vcc, 0x1000, v0
	v_addc_co_u32_e32 v1, vcc, 0, v1, vcc
	global_store_dword v[0:1], v2, off offset:512
	s_endpgm
	.section	.rodata,"a",@progbits
	.p2align	6, 0x0
	.amdhsa_kernel _ZN7rocprim17ROCPRIM_400000_NS6detail17trampoline_kernelINS0_14default_configENS1_20scan_config_selectorIjEEZZNS1_9scan_implILNS1_25lookback_scan_determinismE0ELb0ELb0ES3_N6thrust23THRUST_200600_302600_NS6detail15normal_iteratorINS9_10device_ptrIjEEEENSB_INSC_IfEEEEjNS9_4plusIvEEjEEDaPvRmT3_T4_T5_mT6_P12ihipStream_tbENKUlT_T0_E_clISt17integral_constantIbLb1EESW_EEDaSR_SS_EUlSR_E0_NS1_11comp_targetILNS1_3genE4ELNS1_11target_archE910ELNS1_3gpuE8ELNS1_3repE0EEENS1_30default_config_static_selectorELNS0_4arch9wavefront6targetE1EEEvT1_
		.amdhsa_group_segment_fixed_size 5120
		.amdhsa_private_segment_fixed_size 0
		.amdhsa_kernarg_size 32
		.amdhsa_user_sgpr_count 6
		.amdhsa_user_sgpr_private_segment_buffer 1
		.amdhsa_user_sgpr_dispatch_ptr 0
		.amdhsa_user_sgpr_queue_ptr 0
		.amdhsa_user_sgpr_kernarg_segment_ptr 1
		.amdhsa_user_sgpr_dispatch_id 0
		.amdhsa_user_sgpr_flat_scratch_init 0
		.amdhsa_user_sgpr_kernarg_preload_length 0
		.amdhsa_user_sgpr_kernarg_preload_offset 0
		.amdhsa_user_sgpr_private_segment_size 0
		.amdhsa_uses_dynamic_stack 0
		.amdhsa_system_sgpr_private_segment_wavefront_offset 0
		.amdhsa_system_sgpr_workgroup_id_x 1
		.amdhsa_system_sgpr_workgroup_id_y 0
		.amdhsa_system_sgpr_workgroup_id_z 0
		.amdhsa_system_sgpr_workgroup_info 0
		.amdhsa_system_vgpr_workitem_id 0
		.amdhsa_next_free_vgpr 27
		.amdhsa_next_free_sgpr 24
		.amdhsa_accum_offset 28
		.amdhsa_reserve_vcc 1
		.amdhsa_reserve_flat_scratch 0
		.amdhsa_float_round_mode_32 0
		.amdhsa_float_round_mode_16_64 0
		.amdhsa_float_denorm_mode_32 3
		.amdhsa_float_denorm_mode_16_64 3
		.amdhsa_dx10_clamp 1
		.amdhsa_ieee_mode 1
		.amdhsa_fp16_overflow 0
		.amdhsa_tg_split 0
		.amdhsa_exception_fp_ieee_invalid_op 0
		.amdhsa_exception_fp_denorm_src 0
		.amdhsa_exception_fp_ieee_div_zero 0
		.amdhsa_exception_fp_ieee_overflow 0
		.amdhsa_exception_fp_ieee_underflow 0
		.amdhsa_exception_fp_ieee_inexact 0
		.amdhsa_exception_int_div_zero 0
	.end_amdhsa_kernel
	.section	.text._ZN7rocprim17ROCPRIM_400000_NS6detail17trampoline_kernelINS0_14default_configENS1_20scan_config_selectorIjEEZZNS1_9scan_implILNS1_25lookback_scan_determinismE0ELb0ELb0ES3_N6thrust23THRUST_200600_302600_NS6detail15normal_iteratorINS9_10device_ptrIjEEEENSB_INSC_IfEEEEjNS9_4plusIvEEjEEDaPvRmT3_T4_T5_mT6_P12ihipStream_tbENKUlT_T0_E_clISt17integral_constantIbLb1EESW_EEDaSR_SS_EUlSR_E0_NS1_11comp_targetILNS1_3genE4ELNS1_11target_archE910ELNS1_3gpuE8ELNS1_3repE0EEENS1_30default_config_static_selectorELNS0_4arch9wavefront6targetE1EEEvT1_,"axG",@progbits,_ZN7rocprim17ROCPRIM_400000_NS6detail17trampoline_kernelINS0_14default_configENS1_20scan_config_selectorIjEEZZNS1_9scan_implILNS1_25lookback_scan_determinismE0ELb0ELb0ES3_N6thrust23THRUST_200600_302600_NS6detail15normal_iteratorINS9_10device_ptrIjEEEENSB_INSC_IfEEEEjNS9_4plusIvEEjEEDaPvRmT3_T4_T5_mT6_P12ihipStream_tbENKUlT_T0_E_clISt17integral_constantIbLb1EESW_EEDaSR_SS_EUlSR_E0_NS1_11comp_targetILNS1_3genE4ELNS1_11target_archE910ELNS1_3gpuE8ELNS1_3repE0EEENS1_30default_config_static_selectorELNS0_4arch9wavefront6targetE1EEEvT1_,comdat
.Lfunc_end6044:
	.size	_ZN7rocprim17ROCPRIM_400000_NS6detail17trampoline_kernelINS0_14default_configENS1_20scan_config_selectorIjEEZZNS1_9scan_implILNS1_25lookback_scan_determinismE0ELb0ELb0ES3_N6thrust23THRUST_200600_302600_NS6detail15normal_iteratorINS9_10device_ptrIjEEEENSB_INSC_IfEEEEjNS9_4plusIvEEjEEDaPvRmT3_T4_T5_mT6_P12ihipStream_tbENKUlT_T0_E_clISt17integral_constantIbLb1EESW_EEDaSR_SS_EUlSR_E0_NS1_11comp_targetILNS1_3genE4ELNS1_11target_archE910ELNS1_3gpuE8ELNS1_3repE0EEENS1_30default_config_static_selectorELNS0_4arch9wavefront6targetE1EEEvT1_, .Lfunc_end6044-_ZN7rocprim17ROCPRIM_400000_NS6detail17trampoline_kernelINS0_14default_configENS1_20scan_config_selectorIjEEZZNS1_9scan_implILNS1_25lookback_scan_determinismE0ELb0ELb0ES3_N6thrust23THRUST_200600_302600_NS6detail15normal_iteratorINS9_10device_ptrIjEEEENSB_INSC_IfEEEEjNS9_4plusIvEEjEEDaPvRmT3_T4_T5_mT6_P12ihipStream_tbENKUlT_T0_E_clISt17integral_constantIbLb1EESW_EEDaSR_SS_EUlSR_E0_NS1_11comp_targetILNS1_3genE4ELNS1_11target_archE910ELNS1_3gpuE8ELNS1_3repE0EEENS1_30default_config_static_selectorELNS0_4arch9wavefront6targetE1EEEvT1_
                                        ; -- End function
	.section	.AMDGPU.csdata,"",@progbits
; Kernel info:
; codeLenInByte = 1592
; NumSgprs: 28
; NumVgprs: 27
; NumAgprs: 0
; TotalNumVgprs: 27
; ScratchSize: 0
; MemoryBound: 0
; FloatMode: 240
; IeeeMode: 1
; LDSByteSize: 5120 bytes/workgroup (compile time only)
; SGPRBlocks: 3
; VGPRBlocks: 3
; NumSGPRsForWavesPerEU: 28
; NumVGPRsForWavesPerEU: 27
; AccumOffset: 28
; Occupancy: 6
; WaveLimiterHint : 0
; COMPUTE_PGM_RSRC2:SCRATCH_EN: 0
; COMPUTE_PGM_RSRC2:USER_SGPR: 6
; COMPUTE_PGM_RSRC2:TRAP_HANDLER: 0
; COMPUTE_PGM_RSRC2:TGID_X_EN: 1
; COMPUTE_PGM_RSRC2:TGID_Y_EN: 0
; COMPUTE_PGM_RSRC2:TGID_Z_EN: 0
; COMPUTE_PGM_RSRC2:TIDIG_COMP_CNT: 0
; COMPUTE_PGM_RSRC3_GFX90A:ACCUM_OFFSET: 6
; COMPUTE_PGM_RSRC3_GFX90A:TG_SPLIT: 0
	.section	.text._ZN7rocprim17ROCPRIM_400000_NS6detail17trampoline_kernelINS0_14default_configENS1_20scan_config_selectorIjEEZZNS1_9scan_implILNS1_25lookback_scan_determinismE0ELb0ELb0ES3_N6thrust23THRUST_200600_302600_NS6detail15normal_iteratorINS9_10device_ptrIjEEEENSB_INSC_IfEEEEjNS9_4plusIvEEjEEDaPvRmT3_T4_T5_mT6_P12ihipStream_tbENKUlT_T0_E_clISt17integral_constantIbLb1EESW_EEDaSR_SS_EUlSR_E0_NS1_11comp_targetILNS1_3genE3ELNS1_11target_archE908ELNS1_3gpuE7ELNS1_3repE0EEENS1_30default_config_static_selectorELNS0_4arch9wavefront6targetE1EEEvT1_,"axG",@progbits,_ZN7rocprim17ROCPRIM_400000_NS6detail17trampoline_kernelINS0_14default_configENS1_20scan_config_selectorIjEEZZNS1_9scan_implILNS1_25lookback_scan_determinismE0ELb0ELb0ES3_N6thrust23THRUST_200600_302600_NS6detail15normal_iteratorINS9_10device_ptrIjEEEENSB_INSC_IfEEEEjNS9_4plusIvEEjEEDaPvRmT3_T4_T5_mT6_P12ihipStream_tbENKUlT_T0_E_clISt17integral_constantIbLb1EESW_EEDaSR_SS_EUlSR_E0_NS1_11comp_targetILNS1_3genE3ELNS1_11target_archE908ELNS1_3gpuE7ELNS1_3repE0EEENS1_30default_config_static_selectorELNS0_4arch9wavefront6targetE1EEEvT1_,comdat
	.protected	_ZN7rocprim17ROCPRIM_400000_NS6detail17trampoline_kernelINS0_14default_configENS1_20scan_config_selectorIjEEZZNS1_9scan_implILNS1_25lookback_scan_determinismE0ELb0ELb0ES3_N6thrust23THRUST_200600_302600_NS6detail15normal_iteratorINS9_10device_ptrIjEEEENSB_INSC_IfEEEEjNS9_4plusIvEEjEEDaPvRmT3_T4_T5_mT6_P12ihipStream_tbENKUlT_T0_E_clISt17integral_constantIbLb1EESW_EEDaSR_SS_EUlSR_E0_NS1_11comp_targetILNS1_3genE3ELNS1_11target_archE908ELNS1_3gpuE7ELNS1_3repE0EEENS1_30default_config_static_selectorELNS0_4arch9wavefront6targetE1EEEvT1_ ; -- Begin function _ZN7rocprim17ROCPRIM_400000_NS6detail17trampoline_kernelINS0_14default_configENS1_20scan_config_selectorIjEEZZNS1_9scan_implILNS1_25lookback_scan_determinismE0ELb0ELb0ES3_N6thrust23THRUST_200600_302600_NS6detail15normal_iteratorINS9_10device_ptrIjEEEENSB_INSC_IfEEEEjNS9_4plusIvEEjEEDaPvRmT3_T4_T5_mT6_P12ihipStream_tbENKUlT_T0_E_clISt17integral_constantIbLb1EESW_EEDaSR_SS_EUlSR_E0_NS1_11comp_targetILNS1_3genE3ELNS1_11target_archE908ELNS1_3gpuE7ELNS1_3repE0EEENS1_30default_config_static_selectorELNS0_4arch9wavefront6targetE1EEEvT1_
	.globl	_ZN7rocprim17ROCPRIM_400000_NS6detail17trampoline_kernelINS0_14default_configENS1_20scan_config_selectorIjEEZZNS1_9scan_implILNS1_25lookback_scan_determinismE0ELb0ELb0ES3_N6thrust23THRUST_200600_302600_NS6detail15normal_iteratorINS9_10device_ptrIjEEEENSB_INSC_IfEEEEjNS9_4plusIvEEjEEDaPvRmT3_T4_T5_mT6_P12ihipStream_tbENKUlT_T0_E_clISt17integral_constantIbLb1EESW_EEDaSR_SS_EUlSR_E0_NS1_11comp_targetILNS1_3genE3ELNS1_11target_archE908ELNS1_3gpuE7ELNS1_3repE0EEENS1_30default_config_static_selectorELNS0_4arch9wavefront6targetE1EEEvT1_
	.p2align	8
	.type	_ZN7rocprim17ROCPRIM_400000_NS6detail17trampoline_kernelINS0_14default_configENS1_20scan_config_selectorIjEEZZNS1_9scan_implILNS1_25lookback_scan_determinismE0ELb0ELb0ES3_N6thrust23THRUST_200600_302600_NS6detail15normal_iteratorINS9_10device_ptrIjEEEENSB_INSC_IfEEEEjNS9_4plusIvEEjEEDaPvRmT3_T4_T5_mT6_P12ihipStream_tbENKUlT_T0_E_clISt17integral_constantIbLb1EESW_EEDaSR_SS_EUlSR_E0_NS1_11comp_targetILNS1_3genE3ELNS1_11target_archE908ELNS1_3gpuE7ELNS1_3repE0EEENS1_30default_config_static_selectorELNS0_4arch9wavefront6targetE1EEEvT1_,@function
_ZN7rocprim17ROCPRIM_400000_NS6detail17trampoline_kernelINS0_14default_configENS1_20scan_config_selectorIjEEZZNS1_9scan_implILNS1_25lookback_scan_determinismE0ELb0ELb0ES3_N6thrust23THRUST_200600_302600_NS6detail15normal_iteratorINS9_10device_ptrIjEEEENSB_INSC_IfEEEEjNS9_4plusIvEEjEEDaPvRmT3_T4_T5_mT6_P12ihipStream_tbENKUlT_T0_E_clISt17integral_constantIbLb1EESW_EEDaSR_SS_EUlSR_E0_NS1_11comp_targetILNS1_3genE3ELNS1_11target_archE908ELNS1_3gpuE7ELNS1_3repE0EEENS1_30default_config_static_selectorELNS0_4arch9wavefront6targetE1EEEvT1_: ; @_ZN7rocprim17ROCPRIM_400000_NS6detail17trampoline_kernelINS0_14default_configENS1_20scan_config_selectorIjEEZZNS1_9scan_implILNS1_25lookback_scan_determinismE0ELb0ELb0ES3_N6thrust23THRUST_200600_302600_NS6detail15normal_iteratorINS9_10device_ptrIjEEEENSB_INSC_IfEEEEjNS9_4plusIvEEjEEDaPvRmT3_T4_T5_mT6_P12ihipStream_tbENKUlT_T0_E_clISt17integral_constantIbLb1EESW_EEDaSR_SS_EUlSR_E0_NS1_11comp_targetILNS1_3genE3ELNS1_11target_archE908ELNS1_3gpuE7ELNS1_3repE0EEENS1_30default_config_static_selectorELNS0_4arch9wavefront6targetE1EEEvT1_
; %bb.0:
	.section	.rodata,"a",@progbits
	.p2align	6, 0x0
	.amdhsa_kernel _ZN7rocprim17ROCPRIM_400000_NS6detail17trampoline_kernelINS0_14default_configENS1_20scan_config_selectorIjEEZZNS1_9scan_implILNS1_25lookback_scan_determinismE0ELb0ELb0ES3_N6thrust23THRUST_200600_302600_NS6detail15normal_iteratorINS9_10device_ptrIjEEEENSB_INSC_IfEEEEjNS9_4plusIvEEjEEDaPvRmT3_T4_T5_mT6_P12ihipStream_tbENKUlT_T0_E_clISt17integral_constantIbLb1EESW_EEDaSR_SS_EUlSR_E0_NS1_11comp_targetILNS1_3genE3ELNS1_11target_archE908ELNS1_3gpuE7ELNS1_3repE0EEENS1_30default_config_static_selectorELNS0_4arch9wavefront6targetE1EEEvT1_
		.amdhsa_group_segment_fixed_size 0
		.amdhsa_private_segment_fixed_size 0
		.amdhsa_kernarg_size 32
		.amdhsa_user_sgpr_count 6
		.amdhsa_user_sgpr_private_segment_buffer 1
		.amdhsa_user_sgpr_dispatch_ptr 0
		.amdhsa_user_sgpr_queue_ptr 0
		.amdhsa_user_sgpr_kernarg_segment_ptr 1
		.amdhsa_user_sgpr_dispatch_id 0
		.amdhsa_user_sgpr_flat_scratch_init 0
		.amdhsa_user_sgpr_kernarg_preload_length 0
		.amdhsa_user_sgpr_kernarg_preload_offset 0
		.amdhsa_user_sgpr_private_segment_size 0
		.amdhsa_uses_dynamic_stack 0
		.amdhsa_system_sgpr_private_segment_wavefront_offset 0
		.amdhsa_system_sgpr_workgroup_id_x 1
		.amdhsa_system_sgpr_workgroup_id_y 0
		.amdhsa_system_sgpr_workgroup_id_z 0
		.amdhsa_system_sgpr_workgroup_info 0
		.amdhsa_system_vgpr_workitem_id 0
		.amdhsa_next_free_vgpr 1
		.amdhsa_next_free_sgpr 0
		.amdhsa_accum_offset 4
		.amdhsa_reserve_vcc 0
		.amdhsa_reserve_flat_scratch 0
		.amdhsa_float_round_mode_32 0
		.amdhsa_float_round_mode_16_64 0
		.amdhsa_float_denorm_mode_32 3
		.amdhsa_float_denorm_mode_16_64 3
		.amdhsa_dx10_clamp 1
		.amdhsa_ieee_mode 1
		.amdhsa_fp16_overflow 0
		.amdhsa_tg_split 0
		.amdhsa_exception_fp_ieee_invalid_op 0
		.amdhsa_exception_fp_denorm_src 0
		.amdhsa_exception_fp_ieee_div_zero 0
		.amdhsa_exception_fp_ieee_overflow 0
		.amdhsa_exception_fp_ieee_underflow 0
		.amdhsa_exception_fp_ieee_inexact 0
		.amdhsa_exception_int_div_zero 0
	.end_amdhsa_kernel
	.section	.text._ZN7rocprim17ROCPRIM_400000_NS6detail17trampoline_kernelINS0_14default_configENS1_20scan_config_selectorIjEEZZNS1_9scan_implILNS1_25lookback_scan_determinismE0ELb0ELb0ES3_N6thrust23THRUST_200600_302600_NS6detail15normal_iteratorINS9_10device_ptrIjEEEENSB_INSC_IfEEEEjNS9_4plusIvEEjEEDaPvRmT3_T4_T5_mT6_P12ihipStream_tbENKUlT_T0_E_clISt17integral_constantIbLb1EESW_EEDaSR_SS_EUlSR_E0_NS1_11comp_targetILNS1_3genE3ELNS1_11target_archE908ELNS1_3gpuE7ELNS1_3repE0EEENS1_30default_config_static_selectorELNS0_4arch9wavefront6targetE1EEEvT1_,"axG",@progbits,_ZN7rocprim17ROCPRIM_400000_NS6detail17trampoline_kernelINS0_14default_configENS1_20scan_config_selectorIjEEZZNS1_9scan_implILNS1_25lookback_scan_determinismE0ELb0ELb0ES3_N6thrust23THRUST_200600_302600_NS6detail15normal_iteratorINS9_10device_ptrIjEEEENSB_INSC_IfEEEEjNS9_4plusIvEEjEEDaPvRmT3_T4_T5_mT6_P12ihipStream_tbENKUlT_T0_E_clISt17integral_constantIbLb1EESW_EEDaSR_SS_EUlSR_E0_NS1_11comp_targetILNS1_3genE3ELNS1_11target_archE908ELNS1_3gpuE7ELNS1_3repE0EEENS1_30default_config_static_selectorELNS0_4arch9wavefront6targetE1EEEvT1_,comdat
.Lfunc_end6045:
	.size	_ZN7rocprim17ROCPRIM_400000_NS6detail17trampoline_kernelINS0_14default_configENS1_20scan_config_selectorIjEEZZNS1_9scan_implILNS1_25lookback_scan_determinismE0ELb0ELb0ES3_N6thrust23THRUST_200600_302600_NS6detail15normal_iteratorINS9_10device_ptrIjEEEENSB_INSC_IfEEEEjNS9_4plusIvEEjEEDaPvRmT3_T4_T5_mT6_P12ihipStream_tbENKUlT_T0_E_clISt17integral_constantIbLb1EESW_EEDaSR_SS_EUlSR_E0_NS1_11comp_targetILNS1_3genE3ELNS1_11target_archE908ELNS1_3gpuE7ELNS1_3repE0EEENS1_30default_config_static_selectorELNS0_4arch9wavefront6targetE1EEEvT1_, .Lfunc_end6045-_ZN7rocprim17ROCPRIM_400000_NS6detail17trampoline_kernelINS0_14default_configENS1_20scan_config_selectorIjEEZZNS1_9scan_implILNS1_25lookback_scan_determinismE0ELb0ELb0ES3_N6thrust23THRUST_200600_302600_NS6detail15normal_iteratorINS9_10device_ptrIjEEEENSB_INSC_IfEEEEjNS9_4plusIvEEjEEDaPvRmT3_T4_T5_mT6_P12ihipStream_tbENKUlT_T0_E_clISt17integral_constantIbLb1EESW_EEDaSR_SS_EUlSR_E0_NS1_11comp_targetILNS1_3genE3ELNS1_11target_archE908ELNS1_3gpuE7ELNS1_3repE0EEENS1_30default_config_static_selectorELNS0_4arch9wavefront6targetE1EEEvT1_
                                        ; -- End function
	.section	.AMDGPU.csdata,"",@progbits
; Kernel info:
; codeLenInByte = 0
; NumSgprs: 4
; NumVgprs: 0
; NumAgprs: 0
; TotalNumVgprs: 0
; ScratchSize: 0
; MemoryBound: 0
; FloatMode: 240
; IeeeMode: 1
; LDSByteSize: 0 bytes/workgroup (compile time only)
; SGPRBlocks: 0
; VGPRBlocks: 0
; NumSGPRsForWavesPerEU: 4
; NumVGPRsForWavesPerEU: 1
; AccumOffset: 4
; Occupancy: 8
; WaveLimiterHint : 0
; COMPUTE_PGM_RSRC2:SCRATCH_EN: 0
; COMPUTE_PGM_RSRC2:USER_SGPR: 6
; COMPUTE_PGM_RSRC2:TRAP_HANDLER: 0
; COMPUTE_PGM_RSRC2:TGID_X_EN: 1
; COMPUTE_PGM_RSRC2:TGID_Y_EN: 0
; COMPUTE_PGM_RSRC2:TGID_Z_EN: 0
; COMPUTE_PGM_RSRC2:TIDIG_COMP_CNT: 0
; COMPUTE_PGM_RSRC3_GFX90A:ACCUM_OFFSET: 0
; COMPUTE_PGM_RSRC3_GFX90A:TG_SPLIT: 0
	.section	.text._ZN7rocprim17ROCPRIM_400000_NS6detail17trampoline_kernelINS0_14default_configENS1_20scan_config_selectorIjEEZZNS1_9scan_implILNS1_25lookback_scan_determinismE0ELb0ELb0ES3_N6thrust23THRUST_200600_302600_NS6detail15normal_iteratorINS9_10device_ptrIjEEEENSB_INSC_IfEEEEjNS9_4plusIvEEjEEDaPvRmT3_T4_T5_mT6_P12ihipStream_tbENKUlT_T0_E_clISt17integral_constantIbLb1EESW_EEDaSR_SS_EUlSR_E0_NS1_11comp_targetILNS1_3genE2ELNS1_11target_archE906ELNS1_3gpuE6ELNS1_3repE0EEENS1_30default_config_static_selectorELNS0_4arch9wavefront6targetE1EEEvT1_,"axG",@progbits,_ZN7rocprim17ROCPRIM_400000_NS6detail17trampoline_kernelINS0_14default_configENS1_20scan_config_selectorIjEEZZNS1_9scan_implILNS1_25lookback_scan_determinismE0ELb0ELb0ES3_N6thrust23THRUST_200600_302600_NS6detail15normal_iteratorINS9_10device_ptrIjEEEENSB_INSC_IfEEEEjNS9_4plusIvEEjEEDaPvRmT3_T4_T5_mT6_P12ihipStream_tbENKUlT_T0_E_clISt17integral_constantIbLb1EESW_EEDaSR_SS_EUlSR_E0_NS1_11comp_targetILNS1_3genE2ELNS1_11target_archE906ELNS1_3gpuE6ELNS1_3repE0EEENS1_30default_config_static_selectorELNS0_4arch9wavefront6targetE1EEEvT1_,comdat
	.protected	_ZN7rocprim17ROCPRIM_400000_NS6detail17trampoline_kernelINS0_14default_configENS1_20scan_config_selectorIjEEZZNS1_9scan_implILNS1_25lookback_scan_determinismE0ELb0ELb0ES3_N6thrust23THRUST_200600_302600_NS6detail15normal_iteratorINS9_10device_ptrIjEEEENSB_INSC_IfEEEEjNS9_4plusIvEEjEEDaPvRmT3_T4_T5_mT6_P12ihipStream_tbENKUlT_T0_E_clISt17integral_constantIbLb1EESW_EEDaSR_SS_EUlSR_E0_NS1_11comp_targetILNS1_3genE2ELNS1_11target_archE906ELNS1_3gpuE6ELNS1_3repE0EEENS1_30default_config_static_selectorELNS0_4arch9wavefront6targetE1EEEvT1_ ; -- Begin function _ZN7rocprim17ROCPRIM_400000_NS6detail17trampoline_kernelINS0_14default_configENS1_20scan_config_selectorIjEEZZNS1_9scan_implILNS1_25lookback_scan_determinismE0ELb0ELb0ES3_N6thrust23THRUST_200600_302600_NS6detail15normal_iteratorINS9_10device_ptrIjEEEENSB_INSC_IfEEEEjNS9_4plusIvEEjEEDaPvRmT3_T4_T5_mT6_P12ihipStream_tbENKUlT_T0_E_clISt17integral_constantIbLb1EESW_EEDaSR_SS_EUlSR_E0_NS1_11comp_targetILNS1_3genE2ELNS1_11target_archE906ELNS1_3gpuE6ELNS1_3repE0EEENS1_30default_config_static_selectorELNS0_4arch9wavefront6targetE1EEEvT1_
	.globl	_ZN7rocprim17ROCPRIM_400000_NS6detail17trampoline_kernelINS0_14default_configENS1_20scan_config_selectorIjEEZZNS1_9scan_implILNS1_25lookback_scan_determinismE0ELb0ELb0ES3_N6thrust23THRUST_200600_302600_NS6detail15normal_iteratorINS9_10device_ptrIjEEEENSB_INSC_IfEEEEjNS9_4plusIvEEjEEDaPvRmT3_T4_T5_mT6_P12ihipStream_tbENKUlT_T0_E_clISt17integral_constantIbLb1EESW_EEDaSR_SS_EUlSR_E0_NS1_11comp_targetILNS1_3genE2ELNS1_11target_archE906ELNS1_3gpuE6ELNS1_3repE0EEENS1_30default_config_static_selectorELNS0_4arch9wavefront6targetE1EEEvT1_
	.p2align	8
	.type	_ZN7rocprim17ROCPRIM_400000_NS6detail17trampoline_kernelINS0_14default_configENS1_20scan_config_selectorIjEEZZNS1_9scan_implILNS1_25lookback_scan_determinismE0ELb0ELb0ES3_N6thrust23THRUST_200600_302600_NS6detail15normal_iteratorINS9_10device_ptrIjEEEENSB_INSC_IfEEEEjNS9_4plusIvEEjEEDaPvRmT3_T4_T5_mT6_P12ihipStream_tbENKUlT_T0_E_clISt17integral_constantIbLb1EESW_EEDaSR_SS_EUlSR_E0_NS1_11comp_targetILNS1_3genE2ELNS1_11target_archE906ELNS1_3gpuE6ELNS1_3repE0EEENS1_30default_config_static_selectorELNS0_4arch9wavefront6targetE1EEEvT1_,@function
_ZN7rocprim17ROCPRIM_400000_NS6detail17trampoline_kernelINS0_14default_configENS1_20scan_config_selectorIjEEZZNS1_9scan_implILNS1_25lookback_scan_determinismE0ELb0ELb0ES3_N6thrust23THRUST_200600_302600_NS6detail15normal_iteratorINS9_10device_ptrIjEEEENSB_INSC_IfEEEEjNS9_4plusIvEEjEEDaPvRmT3_T4_T5_mT6_P12ihipStream_tbENKUlT_T0_E_clISt17integral_constantIbLb1EESW_EEDaSR_SS_EUlSR_E0_NS1_11comp_targetILNS1_3genE2ELNS1_11target_archE906ELNS1_3gpuE6ELNS1_3repE0EEENS1_30default_config_static_selectorELNS0_4arch9wavefront6targetE1EEEvT1_: ; @_ZN7rocprim17ROCPRIM_400000_NS6detail17trampoline_kernelINS0_14default_configENS1_20scan_config_selectorIjEEZZNS1_9scan_implILNS1_25lookback_scan_determinismE0ELb0ELb0ES3_N6thrust23THRUST_200600_302600_NS6detail15normal_iteratorINS9_10device_ptrIjEEEENSB_INSC_IfEEEEjNS9_4plusIvEEjEEDaPvRmT3_T4_T5_mT6_P12ihipStream_tbENKUlT_T0_E_clISt17integral_constantIbLb1EESW_EEDaSR_SS_EUlSR_E0_NS1_11comp_targetILNS1_3genE2ELNS1_11target_archE906ELNS1_3gpuE6ELNS1_3repE0EEENS1_30default_config_static_selectorELNS0_4arch9wavefront6targetE1EEEvT1_
; %bb.0:
	.section	.rodata,"a",@progbits
	.p2align	6, 0x0
	.amdhsa_kernel _ZN7rocprim17ROCPRIM_400000_NS6detail17trampoline_kernelINS0_14default_configENS1_20scan_config_selectorIjEEZZNS1_9scan_implILNS1_25lookback_scan_determinismE0ELb0ELb0ES3_N6thrust23THRUST_200600_302600_NS6detail15normal_iteratorINS9_10device_ptrIjEEEENSB_INSC_IfEEEEjNS9_4plusIvEEjEEDaPvRmT3_T4_T5_mT6_P12ihipStream_tbENKUlT_T0_E_clISt17integral_constantIbLb1EESW_EEDaSR_SS_EUlSR_E0_NS1_11comp_targetILNS1_3genE2ELNS1_11target_archE906ELNS1_3gpuE6ELNS1_3repE0EEENS1_30default_config_static_selectorELNS0_4arch9wavefront6targetE1EEEvT1_
		.amdhsa_group_segment_fixed_size 0
		.amdhsa_private_segment_fixed_size 0
		.amdhsa_kernarg_size 32
		.amdhsa_user_sgpr_count 6
		.amdhsa_user_sgpr_private_segment_buffer 1
		.amdhsa_user_sgpr_dispatch_ptr 0
		.amdhsa_user_sgpr_queue_ptr 0
		.amdhsa_user_sgpr_kernarg_segment_ptr 1
		.amdhsa_user_sgpr_dispatch_id 0
		.amdhsa_user_sgpr_flat_scratch_init 0
		.amdhsa_user_sgpr_kernarg_preload_length 0
		.amdhsa_user_sgpr_kernarg_preload_offset 0
		.amdhsa_user_sgpr_private_segment_size 0
		.amdhsa_uses_dynamic_stack 0
		.amdhsa_system_sgpr_private_segment_wavefront_offset 0
		.amdhsa_system_sgpr_workgroup_id_x 1
		.amdhsa_system_sgpr_workgroup_id_y 0
		.amdhsa_system_sgpr_workgroup_id_z 0
		.amdhsa_system_sgpr_workgroup_info 0
		.amdhsa_system_vgpr_workitem_id 0
		.amdhsa_next_free_vgpr 1
		.amdhsa_next_free_sgpr 0
		.amdhsa_accum_offset 4
		.amdhsa_reserve_vcc 0
		.amdhsa_reserve_flat_scratch 0
		.amdhsa_float_round_mode_32 0
		.amdhsa_float_round_mode_16_64 0
		.amdhsa_float_denorm_mode_32 3
		.amdhsa_float_denorm_mode_16_64 3
		.amdhsa_dx10_clamp 1
		.amdhsa_ieee_mode 1
		.amdhsa_fp16_overflow 0
		.amdhsa_tg_split 0
		.amdhsa_exception_fp_ieee_invalid_op 0
		.amdhsa_exception_fp_denorm_src 0
		.amdhsa_exception_fp_ieee_div_zero 0
		.amdhsa_exception_fp_ieee_overflow 0
		.amdhsa_exception_fp_ieee_underflow 0
		.amdhsa_exception_fp_ieee_inexact 0
		.amdhsa_exception_int_div_zero 0
	.end_amdhsa_kernel
	.section	.text._ZN7rocprim17ROCPRIM_400000_NS6detail17trampoline_kernelINS0_14default_configENS1_20scan_config_selectorIjEEZZNS1_9scan_implILNS1_25lookback_scan_determinismE0ELb0ELb0ES3_N6thrust23THRUST_200600_302600_NS6detail15normal_iteratorINS9_10device_ptrIjEEEENSB_INSC_IfEEEEjNS9_4plusIvEEjEEDaPvRmT3_T4_T5_mT6_P12ihipStream_tbENKUlT_T0_E_clISt17integral_constantIbLb1EESW_EEDaSR_SS_EUlSR_E0_NS1_11comp_targetILNS1_3genE2ELNS1_11target_archE906ELNS1_3gpuE6ELNS1_3repE0EEENS1_30default_config_static_selectorELNS0_4arch9wavefront6targetE1EEEvT1_,"axG",@progbits,_ZN7rocprim17ROCPRIM_400000_NS6detail17trampoline_kernelINS0_14default_configENS1_20scan_config_selectorIjEEZZNS1_9scan_implILNS1_25lookback_scan_determinismE0ELb0ELb0ES3_N6thrust23THRUST_200600_302600_NS6detail15normal_iteratorINS9_10device_ptrIjEEEENSB_INSC_IfEEEEjNS9_4plusIvEEjEEDaPvRmT3_T4_T5_mT6_P12ihipStream_tbENKUlT_T0_E_clISt17integral_constantIbLb1EESW_EEDaSR_SS_EUlSR_E0_NS1_11comp_targetILNS1_3genE2ELNS1_11target_archE906ELNS1_3gpuE6ELNS1_3repE0EEENS1_30default_config_static_selectorELNS0_4arch9wavefront6targetE1EEEvT1_,comdat
.Lfunc_end6046:
	.size	_ZN7rocprim17ROCPRIM_400000_NS6detail17trampoline_kernelINS0_14default_configENS1_20scan_config_selectorIjEEZZNS1_9scan_implILNS1_25lookback_scan_determinismE0ELb0ELb0ES3_N6thrust23THRUST_200600_302600_NS6detail15normal_iteratorINS9_10device_ptrIjEEEENSB_INSC_IfEEEEjNS9_4plusIvEEjEEDaPvRmT3_T4_T5_mT6_P12ihipStream_tbENKUlT_T0_E_clISt17integral_constantIbLb1EESW_EEDaSR_SS_EUlSR_E0_NS1_11comp_targetILNS1_3genE2ELNS1_11target_archE906ELNS1_3gpuE6ELNS1_3repE0EEENS1_30default_config_static_selectorELNS0_4arch9wavefront6targetE1EEEvT1_, .Lfunc_end6046-_ZN7rocprim17ROCPRIM_400000_NS6detail17trampoline_kernelINS0_14default_configENS1_20scan_config_selectorIjEEZZNS1_9scan_implILNS1_25lookback_scan_determinismE0ELb0ELb0ES3_N6thrust23THRUST_200600_302600_NS6detail15normal_iteratorINS9_10device_ptrIjEEEENSB_INSC_IfEEEEjNS9_4plusIvEEjEEDaPvRmT3_T4_T5_mT6_P12ihipStream_tbENKUlT_T0_E_clISt17integral_constantIbLb1EESW_EEDaSR_SS_EUlSR_E0_NS1_11comp_targetILNS1_3genE2ELNS1_11target_archE906ELNS1_3gpuE6ELNS1_3repE0EEENS1_30default_config_static_selectorELNS0_4arch9wavefront6targetE1EEEvT1_
                                        ; -- End function
	.section	.AMDGPU.csdata,"",@progbits
; Kernel info:
; codeLenInByte = 0
; NumSgprs: 4
; NumVgprs: 0
; NumAgprs: 0
; TotalNumVgprs: 0
; ScratchSize: 0
; MemoryBound: 0
; FloatMode: 240
; IeeeMode: 1
; LDSByteSize: 0 bytes/workgroup (compile time only)
; SGPRBlocks: 0
; VGPRBlocks: 0
; NumSGPRsForWavesPerEU: 4
; NumVGPRsForWavesPerEU: 1
; AccumOffset: 4
; Occupancy: 8
; WaveLimiterHint : 0
; COMPUTE_PGM_RSRC2:SCRATCH_EN: 0
; COMPUTE_PGM_RSRC2:USER_SGPR: 6
; COMPUTE_PGM_RSRC2:TRAP_HANDLER: 0
; COMPUTE_PGM_RSRC2:TGID_X_EN: 1
; COMPUTE_PGM_RSRC2:TGID_Y_EN: 0
; COMPUTE_PGM_RSRC2:TGID_Z_EN: 0
; COMPUTE_PGM_RSRC2:TIDIG_COMP_CNT: 0
; COMPUTE_PGM_RSRC3_GFX90A:ACCUM_OFFSET: 0
; COMPUTE_PGM_RSRC3_GFX90A:TG_SPLIT: 0
	.section	.text._ZN7rocprim17ROCPRIM_400000_NS6detail17trampoline_kernelINS0_14default_configENS1_20scan_config_selectorIjEEZZNS1_9scan_implILNS1_25lookback_scan_determinismE0ELb0ELb0ES3_N6thrust23THRUST_200600_302600_NS6detail15normal_iteratorINS9_10device_ptrIjEEEENSB_INSC_IfEEEEjNS9_4plusIvEEjEEDaPvRmT3_T4_T5_mT6_P12ihipStream_tbENKUlT_T0_E_clISt17integral_constantIbLb1EESW_EEDaSR_SS_EUlSR_E0_NS1_11comp_targetILNS1_3genE10ELNS1_11target_archE1201ELNS1_3gpuE5ELNS1_3repE0EEENS1_30default_config_static_selectorELNS0_4arch9wavefront6targetE1EEEvT1_,"axG",@progbits,_ZN7rocprim17ROCPRIM_400000_NS6detail17trampoline_kernelINS0_14default_configENS1_20scan_config_selectorIjEEZZNS1_9scan_implILNS1_25lookback_scan_determinismE0ELb0ELb0ES3_N6thrust23THRUST_200600_302600_NS6detail15normal_iteratorINS9_10device_ptrIjEEEENSB_INSC_IfEEEEjNS9_4plusIvEEjEEDaPvRmT3_T4_T5_mT6_P12ihipStream_tbENKUlT_T0_E_clISt17integral_constantIbLb1EESW_EEDaSR_SS_EUlSR_E0_NS1_11comp_targetILNS1_3genE10ELNS1_11target_archE1201ELNS1_3gpuE5ELNS1_3repE0EEENS1_30default_config_static_selectorELNS0_4arch9wavefront6targetE1EEEvT1_,comdat
	.protected	_ZN7rocprim17ROCPRIM_400000_NS6detail17trampoline_kernelINS0_14default_configENS1_20scan_config_selectorIjEEZZNS1_9scan_implILNS1_25lookback_scan_determinismE0ELb0ELb0ES3_N6thrust23THRUST_200600_302600_NS6detail15normal_iteratorINS9_10device_ptrIjEEEENSB_INSC_IfEEEEjNS9_4plusIvEEjEEDaPvRmT3_T4_T5_mT6_P12ihipStream_tbENKUlT_T0_E_clISt17integral_constantIbLb1EESW_EEDaSR_SS_EUlSR_E0_NS1_11comp_targetILNS1_3genE10ELNS1_11target_archE1201ELNS1_3gpuE5ELNS1_3repE0EEENS1_30default_config_static_selectorELNS0_4arch9wavefront6targetE1EEEvT1_ ; -- Begin function _ZN7rocprim17ROCPRIM_400000_NS6detail17trampoline_kernelINS0_14default_configENS1_20scan_config_selectorIjEEZZNS1_9scan_implILNS1_25lookback_scan_determinismE0ELb0ELb0ES3_N6thrust23THRUST_200600_302600_NS6detail15normal_iteratorINS9_10device_ptrIjEEEENSB_INSC_IfEEEEjNS9_4plusIvEEjEEDaPvRmT3_T4_T5_mT6_P12ihipStream_tbENKUlT_T0_E_clISt17integral_constantIbLb1EESW_EEDaSR_SS_EUlSR_E0_NS1_11comp_targetILNS1_3genE10ELNS1_11target_archE1201ELNS1_3gpuE5ELNS1_3repE0EEENS1_30default_config_static_selectorELNS0_4arch9wavefront6targetE1EEEvT1_
	.globl	_ZN7rocprim17ROCPRIM_400000_NS6detail17trampoline_kernelINS0_14default_configENS1_20scan_config_selectorIjEEZZNS1_9scan_implILNS1_25lookback_scan_determinismE0ELb0ELb0ES3_N6thrust23THRUST_200600_302600_NS6detail15normal_iteratorINS9_10device_ptrIjEEEENSB_INSC_IfEEEEjNS9_4plusIvEEjEEDaPvRmT3_T4_T5_mT6_P12ihipStream_tbENKUlT_T0_E_clISt17integral_constantIbLb1EESW_EEDaSR_SS_EUlSR_E0_NS1_11comp_targetILNS1_3genE10ELNS1_11target_archE1201ELNS1_3gpuE5ELNS1_3repE0EEENS1_30default_config_static_selectorELNS0_4arch9wavefront6targetE1EEEvT1_
	.p2align	8
	.type	_ZN7rocprim17ROCPRIM_400000_NS6detail17trampoline_kernelINS0_14default_configENS1_20scan_config_selectorIjEEZZNS1_9scan_implILNS1_25lookback_scan_determinismE0ELb0ELb0ES3_N6thrust23THRUST_200600_302600_NS6detail15normal_iteratorINS9_10device_ptrIjEEEENSB_INSC_IfEEEEjNS9_4plusIvEEjEEDaPvRmT3_T4_T5_mT6_P12ihipStream_tbENKUlT_T0_E_clISt17integral_constantIbLb1EESW_EEDaSR_SS_EUlSR_E0_NS1_11comp_targetILNS1_3genE10ELNS1_11target_archE1201ELNS1_3gpuE5ELNS1_3repE0EEENS1_30default_config_static_selectorELNS0_4arch9wavefront6targetE1EEEvT1_,@function
_ZN7rocprim17ROCPRIM_400000_NS6detail17trampoline_kernelINS0_14default_configENS1_20scan_config_selectorIjEEZZNS1_9scan_implILNS1_25lookback_scan_determinismE0ELb0ELb0ES3_N6thrust23THRUST_200600_302600_NS6detail15normal_iteratorINS9_10device_ptrIjEEEENSB_INSC_IfEEEEjNS9_4plusIvEEjEEDaPvRmT3_T4_T5_mT6_P12ihipStream_tbENKUlT_T0_E_clISt17integral_constantIbLb1EESW_EEDaSR_SS_EUlSR_E0_NS1_11comp_targetILNS1_3genE10ELNS1_11target_archE1201ELNS1_3gpuE5ELNS1_3repE0EEENS1_30default_config_static_selectorELNS0_4arch9wavefront6targetE1EEEvT1_: ; @_ZN7rocprim17ROCPRIM_400000_NS6detail17trampoline_kernelINS0_14default_configENS1_20scan_config_selectorIjEEZZNS1_9scan_implILNS1_25lookback_scan_determinismE0ELb0ELb0ES3_N6thrust23THRUST_200600_302600_NS6detail15normal_iteratorINS9_10device_ptrIjEEEENSB_INSC_IfEEEEjNS9_4plusIvEEjEEDaPvRmT3_T4_T5_mT6_P12ihipStream_tbENKUlT_T0_E_clISt17integral_constantIbLb1EESW_EEDaSR_SS_EUlSR_E0_NS1_11comp_targetILNS1_3genE10ELNS1_11target_archE1201ELNS1_3gpuE5ELNS1_3repE0EEENS1_30default_config_static_selectorELNS0_4arch9wavefront6targetE1EEEvT1_
; %bb.0:
	.section	.rodata,"a",@progbits
	.p2align	6, 0x0
	.amdhsa_kernel _ZN7rocprim17ROCPRIM_400000_NS6detail17trampoline_kernelINS0_14default_configENS1_20scan_config_selectorIjEEZZNS1_9scan_implILNS1_25lookback_scan_determinismE0ELb0ELb0ES3_N6thrust23THRUST_200600_302600_NS6detail15normal_iteratorINS9_10device_ptrIjEEEENSB_INSC_IfEEEEjNS9_4plusIvEEjEEDaPvRmT3_T4_T5_mT6_P12ihipStream_tbENKUlT_T0_E_clISt17integral_constantIbLb1EESW_EEDaSR_SS_EUlSR_E0_NS1_11comp_targetILNS1_3genE10ELNS1_11target_archE1201ELNS1_3gpuE5ELNS1_3repE0EEENS1_30default_config_static_selectorELNS0_4arch9wavefront6targetE1EEEvT1_
		.amdhsa_group_segment_fixed_size 0
		.amdhsa_private_segment_fixed_size 0
		.amdhsa_kernarg_size 32
		.amdhsa_user_sgpr_count 6
		.amdhsa_user_sgpr_private_segment_buffer 1
		.amdhsa_user_sgpr_dispatch_ptr 0
		.amdhsa_user_sgpr_queue_ptr 0
		.amdhsa_user_sgpr_kernarg_segment_ptr 1
		.amdhsa_user_sgpr_dispatch_id 0
		.amdhsa_user_sgpr_flat_scratch_init 0
		.amdhsa_user_sgpr_kernarg_preload_length 0
		.amdhsa_user_sgpr_kernarg_preload_offset 0
		.amdhsa_user_sgpr_private_segment_size 0
		.amdhsa_uses_dynamic_stack 0
		.amdhsa_system_sgpr_private_segment_wavefront_offset 0
		.amdhsa_system_sgpr_workgroup_id_x 1
		.amdhsa_system_sgpr_workgroup_id_y 0
		.amdhsa_system_sgpr_workgroup_id_z 0
		.amdhsa_system_sgpr_workgroup_info 0
		.amdhsa_system_vgpr_workitem_id 0
		.amdhsa_next_free_vgpr 1
		.amdhsa_next_free_sgpr 0
		.amdhsa_accum_offset 4
		.amdhsa_reserve_vcc 0
		.amdhsa_reserve_flat_scratch 0
		.amdhsa_float_round_mode_32 0
		.amdhsa_float_round_mode_16_64 0
		.amdhsa_float_denorm_mode_32 3
		.amdhsa_float_denorm_mode_16_64 3
		.amdhsa_dx10_clamp 1
		.amdhsa_ieee_mode 1
		.amdhsa_fp16_overflow 0
		.amdhsa_tg_split 0
		.amdhsa_exception_fp_ieee_invalid_op 0
		.amdhsa_exception_fp_denorm_src 0
		.amdhsa_exception_fp_ieee_div_zero 0
		.amdhsa_exception_fp_ieee_overflow 0
		.amdhsa_exception_fp_ieee_underflow 0
		.amdhsa_exception_fp_ieee_inexact 0
		.amdhsa_exception_int_div_zero 0
	.end_amdhsa_kernel
	.section	.text._ZN7rocprim17ROCPRIM_400000_NS6detail17trampoline_kernelINS0_14default_configENS1_20scan_config_selectorIjEEZZNS1_9scan_implILNS1_25lookback_scan_determinismE0ELb0ELb0ES3_N6thrust23THRUST_200600_302600_NS6detail15normal_iteratorINS9_10device_ptrIjEEEENSB_INSC_IfEEEEjNS9_4plusIvEEjEEDaPvRmT3_T4_T5_mT6_P12ihipStream_tbENKUlT_T0_E_clISt17integral_constantIbLb1EESW_EEDaSR_SS_EUlSR_E0_NS1_11comp_targetILNS1_3genE10ELNS1_11target_archE1201ELNS1_3gpuE5ELNS1_3repE0EEENS1_30default_config_static_selectorELNS0_4arch9wavefront6targetE1EEEvT1_,"axG",@progbits,_ZN7rocprim17ROCPRIM_400000_NS6detail17trampoline_kernelINS0_14default_configENS1_20scan_config_selectorIjEEZZNS1_9scan_implILNS1_25lookback_scan_determinismE0ELb0ELb0ES3_N6thrust23THRUST_200600_302600_NS6detail15normal_iteratorINS9_10device_ptrIjEEEENSB_INSC_IfEEEEjNS9_4plusIvEEjEEDaPvRmT3_T4_T5_mT6_P12ihipStream_tbENKUlT_T0_E_clISt17integral_constantIbLb1EESW_EEDaSR_SS_EUlSR_E0_NS1_11comp_targetILNS1_3genE10ELNS1_11target_archE1201ELNS1_3gpuE5ELNS1_3repE0EEENS1_30default_config_static_selectorELNS0_4arch9wavefront6targetE1EEEvT1_,comdat
.Lfunc_end6047:
	.size	_ZN7rocprim17ROCPRIM_400000_NS6detail17trampoline_kernelINS0_14default_configENS1_20scan_config_selectorIjEEZZNS1_9scan_implILNS1_25lookback_scan_determinismE0ELb0ELb0ES3_N6thrust23THRUST_200600_302600_NS6detail15normal_iteratorINS9_10device_ptrIjEEEENSB_INSC_IfEEEEjNS9_4plusIvEEjEEDaPvRmT3_T4_T5_mT6_P12ihipStream_tbENKUlT_T0_E_clISt17integral_constantIbLb1EESW_EEDaSR_SS_EUlSR_E0_NS1_11comp_targetILNS1_3genE10ELNS1_11target_archE1201ELNS1_3gpuE5ELNS1_3repE0EEENS1_30default_config_static_selectorELNS0_4arch9wavefront6targetE1EEEvT1_, .Lfunc_end6047-_ZN7rocprim17ROCPRIM_400000_NS6detail17trampoline_kernelINS0_14default_configENS1_20scan_config_selectorIjEEZZNS1_9scan_implILNS1_25lookback_scan_determinismE0ELb0ELb0ES3_N6thrust23THRUST_200600_302600_NS6detail15normal_iteratorINS9_10device_ptrIjEEEENSB_INSC_IfEEEEjNS9_4plusIvEEjEEDaPvRmT3_T4_T5_mT6_P12ihipStream_tbENKUlT_T0_E_clISt17integral_constantIbLb1EESW_EEDaSR_SS_EUlSR_E0_NS1_11comp_targetILNS1_3genE10ELNS1_11target_archE1201ELNS1_3gpuE5ELNS1_3repE0EEENS1_30default_config_static_selectorELNS0_4arch9wavefront6targetE1EEEvT1_
                                        ; -- End function
	.section	.AMDGPU.csdata,"",@progbits
; Kernel info:
; codeLenInByte = 0
; NumSgprs: 4
; NumVgprs: 0
; NumAgprs: 0
; TotalNumVgprs: 0
; ScratchSize: 0
; MemoryBound: 0
; FloatMode: 240
; IeeeMode: 1
; LDSByteSize: 0 bytes/workgroup (compile time only)
; SGPRBlocks: 0
; VGPRBlocks: 0
; NumSGPRsForWavesPerEU: 4
; NumVGPRsForWavesPerEU: 1
; AccumOffset: 4
; Occupancy: 8
; WaveLimiterHint : 0
; COMPUTE_PGM_RSRC2:SCRATCH_EN: 0
; COMPUTE_PGM_RSRC2:USER_SGPR: 6
; COMPUTE_PGM_RSRC2:TRAP_HANDLER: 0
; COMPUTE_PGM_RSRC2:TGID_X_EN: 1
; COMPUTE_PGM_RSRC2:TGID_Y_EN: 0
; COMPUTE_PGM_RSRC2:TGID_Z_EN: 0
; COMPUTE_PGM_RSRC2:TIDIG_COMP_CNT: 0
; COMPUTE_PGM_RSRC3_GFX90A:ACCUM_OFFSET: 0
; COMPUTE_PGM_RSRC3_GFX90A:TG_SPLIT: 0
	.section	.text._ZN7rocprim17ROCPRIM_400000_NS6detail17trampoline_kernelINS0_14default_configENS1_20scan_config_selectorIjEEZZNS1_9scan_implILNS1_25lookback_scan_determinismE0ELb0ELb0ES3_N6thrust23THRUST_200600_302600_NS6detail15normal_iteratorINS9_10device_ptrIjEEEENSB_INSC_IfEEEEjNS9_4plusIvEEjEEDaPvRmT3_T4_T5_mT6_P12ihipStream_tbENKUlT_T0_E_clISt17integral_constantIbLb1EESW_EEDaSR_SS_EUlSR_E0_NS1_11comp_targetILNS1_3genE10ELNS1_11target_archE1200ELNS1_3gpuE4ELNS1_3repE0EEENS1_30default_config_static_selectorELNS0_4arch9wavefront6targetE1EEEvT1_,"axG",@progbits,_ZN7rocprim17ROCPRIM_400000_NS6detail17trampoline_kernelINS0_14default_configENS1_20scan_config_selectorIjEEZZNS1_9scan_implILNS1_25lookback_scan_determinismE0ELb0ELb0ES3_N6thrust23THRUST_200600_302600_NS6detail15normal_iteratorINS9_10device_ptrIjEEEENSB_INSC_IfEEEEjNS9_4plusIvEEjEEDaPvRmT3_T4_T5_mT6_P12ihipStream_tbENKUlT_T0_E_clISt17integral_constantIbLb1EESW_EEDaSR_SS_EUlSR_E0_NS1_11comp_targetILNS1_3genE10ELNS1_11target_archE1200ELNS1_3gpuE4ELNS1_3repE0EEENS1_30default_config_static_selectorELNS0_4arch9wavefront6targetE1EEEvT1_,comdat
	.protected	_ZN7rocprim17ROCPRIM_400000_NS6detail17trampoline_kernelINS0_14default_configENS1_20scan_config_selectorIjEEZZNS1_9scan_implILNS1_25lookback_scan_determinismE0ELb0ELb0ES3_N6thrust23THRUST_200600_302600_NS6detail15normal_iteratorINS9_10device_ptrIjEEEENSB_INSC_IfEEEEjNS9_4plusIvEEjEEDaPvRmT3_T4_T5_mT6_P12ihipStream_tbENKUlT_T0_E_clISt17integral_constantIbLb1EESW_EEDaSR_SS_EUlSR_E0_NS1_11comp_targetILNS1_3genE10ELNS1_11target_archE1200ELNS1_3gpuE4ELNS1_3repE0EEENS1_30default_config_static_selectorELNS0_4arch9wavefront6targetE1EEEvT1_ ; -- Begin function _ZN7rocprim17ROCPRIM_400000_NS6detail17trampoline_kernelINS0_14default_configENS1_20scan_config_selectorIjEEZZNS1_9scan_implILNS1_25lookback_scan_determinismE0ELb0ELb0ES3_N6thrust23THRUST_200600_302600_NS6detail15normal_iteratorINS9_10device_ptrIjEEEENSB_INSC_IfEEEEjNS9_4plusIvEEjEEDaPvRmT3_T4_T5_mT6_P12ihipStream_tbENKUlT_T0_E_clISt17integral_constantIbLb1EESW_EEDaSR_SS_EUlSR_E0_NS1_11comp_targetILNS1_3genE10ELNS1_11target_archE1200ELNS1_3gpuE4ELNS1_3repE0EEENS1_30default_config_static_selectorELNS0_4arch9wavefront6targetE1EEEvT1_
	.globl	_ZN7rocprim17ROCPRIM_400000_NS6detail17trampoline_kernelINS0_14default_configENS1_20scan_config_selectorIjEEZZNS1_9scan_implILNS1_25lookback_scan_determinismE0ELb0ELb0ES3_N6thrust23THRUST_200600_302600_NS6detail15normal_iteratorINS9_10device_ptrIjEEEENSB_INSC_IfEEEEjNS9_4plusIvEEjEEDaPvRmT3_T4_T5_mT6_P12ihipStream_tbENKUlT_T0_E_clISt17integral_constantIbLb1EESW_EEDaSR_SS_EUlSR_E0_NS1_11comp_targetILNS1_3genE10ELNS1_11target_archE1200ELNS1_3gpuE4ELNS1_3repE0EEENS1_30default_config_static_selectorELNS0_4arch9wavefront6targetE1EEEvT1_
	.p2align	8
	.type	_ZN7rocprim17ROCPRIM_400000_NS6detail17trampoline_kernelINS0_14default_configENS1_20scan_config_selectorIjEEZZNS1_9scan_implILNS1_25lookback_scan_determinismE0ELb0ELb0ES3_N6thrust23THRUST_200600_302600_NS6detail15normal_iteratorINS9_10device_ptrIjEEEENSB_INSC_IfEEEEjNS9_4plusIvEEjEEDaPvRmT3_T4_T5_mT6_P12ihipStream_tbENKUlT_T0_E_clISt17integral_constantIbLb1EESW_EEDaSR_SS_EUlSR_E0_NS1_11comp_targetILNS1_3genE10ELNS1_11target_archE1200ELNS1_3gpuE4ELNS1_3repE0EEENS1_30default_config_static_selectorELNS0_4arch9wavefront6targetE1EEEvT1_,@function
_ZN7rocprim17ROCPRIM_400000_NS6detail17trampoline_kernelINS0_14default_configENS1_20scan_config_selectorIjEEZZNS1_9scan_implILNS1_25lookback_scan_determinismE0ELb0ELb0ES3_N6thrust23THRUST_200600_302600_NS6detail15normal_iteratorINS9_10device_ptrIjEEEENSB_INSC_IfEEEEjNS9_4plusIvEEjEEDaPvRmT3_T4_T5_mT6_P12ihipStream_tbENKUlT_T0_E_clISt17integral_constantIbLb1EESW_EEDaSR_SS_EUlSR_E0_NS1_11comp_targetILNS1_3genE10ELNS1_11target_archE1200ELNS1_3gpuE4ELNS1_3repE0EEENS1_30default_config_static_selectorELNS0_4arch9wavefront6targetE1EEEvT1_: ; @_ZN7rocprim17ROCPRIM_400000_NS6detail17trampoline_kernelINS0_14default_configENS1_20scan_config_selectorIjEEZZNS1_9scan_implILNS1_25lookback_scan_determinismE0ELb0ELb0ES3_N6thrust23THRUST_200600_302600_NS6detail15normal_iteratorINS9_10device_ptrIjEEEENSB_INSC_IfEEEEjNS9_4plusIvEEjEEDaPvRmT3_T4_T5_mT6_P12ihipStream_tbENKUlT_T0_E_clISt17integral_constantIbLb1EESW_EEDaSR_SS_EUlSR_E0_NS1_11comp_targetILNS1_3genE10ELNS1_11target_archE1200ELNS1_3gpuE4ELNS1_3repE0EEENS1_30default_config_static_selectorELNS0_4arch9wavefront6targetE1EEEvT1_
; %bb.0:
	.section	.rodata,"a",@progbits
	.p2align	6, 0x0
	.amdhsa_kernel _ZN7rocprim17ROCPRIM_400000_NS6detail17trampoline_kernelINS0_14default_configENS1_20scan_config_selectorIjEEZZNS1_9scan_implILNS1_25lookback_scan_determinismE0ELb0ELb0ES3_N6thrust23THRUST_200600_302600_NS6detail15normal_iteratorINS9_10device_ptrIjEEEENSB_INSC_IfEEEEjNS9_4plusIvEEjEEDaPvRmT3_T4_T5_mT6_P12ihipStream_tbENKUlT_T0_E_clISt17integral_constantIbLb1EESW_EEDaSR_SS_EUlSR_E0_NS1_11comp_targetILNS1_3genE10ELNS1_11target_archE1200ELNS1_3gpuE4ELNS1_3repE0EEENS1_30default_config_static_selectorELNS0_4arch9wavefront6targetE1EEEvT1_
		.amdhsa_group_segment_fixed_size 0
		.amdhsa_private_segment_fixed_size 0
		.amdhsa_kernarg_size 32
		.amdhsa_user_sgpr_count 6
		.amdhsa_user_sgpr_private_segment_buffer 1
		.amdhsa_user_sgpr_dispatch_ptr 0
		.amdhsa_user_sgpr_queue_ptr 0
		.amdhsa_user_sgpr_kernarg_segment_ptr 1
		.amdhsa_user_sgpr_dispatch_id 0
		.amdhsa_user_sgpr_flat_scratch_init 0
		.amdhsa_user_sgpr_kernarg_preload_length 0
		.amdhsa_user_sgpr_kernarg_preload_offset 0
		.amdhsa_user_sgpr_private_segment_size 0
		.amdhsa_uses_dynamic_stack 0
		.amdhsa_system_sgpr_private_segment_wavefront_offset 0
		.amdhsa_system_sgpr_workgroup_id_x 1
		.amdhsa_system_sgpr_workgroup_id_y 0
		.amdhsa_system_sgpr_workgroup_id_z 0
		.amdhsa_system_sgpr_workgroup_info 0
		.amdhsa_system_vgpr_workitem_id 0
		.amdhsa_next_free_vgpr 1
		.amdhsa_next_free_sgpr 0
		.amdhsa_accum_offset 4
		.amdhsa_reserve_vcc 0
		.amdhsa_reserve_flat_scratch 0
		.amdhsa_float_round_mode_32 0
		.amdhsa_float_round_mode_16_64 0
		.amdhsa_float_denorm_mode_32 3
		.amdhsa_float_denorm_mode_16_64 3
		.amdhsa_dx10_clamp 1
		.amdhsa_ieee_mode 1
		.amdhsa_fp16_overflow 0
		.amdhsa_tg_split 0
		.amdhsa_exception_fp_ieee_invalid_op 0
		.amdhsa_exception_fp_denorm_src 0
		.amdhsa_exception_fp_ieee_div_zero 0
		.amdhsa_exception_fp_ieee_overflow 0
		.amdhsa_exception_fp_ieee_underflow 0
		.amdhsa_exception_fp_ieee_inexact 0
		.amdhsa_exception_int_div_zero 0
	.end_amdhsa_kernel
	.section	.text._ZN7rocprim17ROCPRIM_400000_NS6detail17trampoline_kernelINS0_14default_configENS1_20scan_config_selectorIjEEZZNS1_9scan_implILNS1_25lookback_scan_determinismE0ELb0ELb0ES3_N6thrust23THRUST_200600_302600_NS6detail15normal_iteratorINS9_10device_ptrIjEEEENSB_INSC_IfEEEEjNS9_4plusIvEEjEEDaPvRmT3_T4_T5_mT6_P12ihipStream_tbENKUlT_T0_E_clISt17integral_constantIbLb1EESW_EEDaSR_SS_EUlSR_E0_NS1_11comp_targetILNS1_3genE10ELNS1_11target_archE1200ELNS1_3gpuE4ELNS1_3repE0EEENS1_30default_config_static_selectorELNS0_4arch9wavefront6targetE1EEEvT1_,"axG",@progbits,_ZN7rocprim17ROCPRIM_400000_NS6detail17trampoline_kernelINS0_14default_configENS1_20scan_config_selectorIjEEZZNS1_9scan_implILNS1_25lookback_scan_determinismE0ELb0ELb0ES3_N6thrust23THRUST_200600_302600_NS6detail15normal_iteratorINS9_10device_ptrIjEEEENSB_INSC_IfEEEEjNS9_4plusIvEEjEEDaPvRmT3_T4_T5_mT6_P12ihipStream_tbENKUlT_T0_E_clISt17integral_constantIbLb1EESW_EEDaSR_SS_EUlSR_E0_NS1_11comp_targetILNS1_3genE10ELNS1_11target_archE1200ELNS1_3gpuE4ELNS1_3repE0EEENS1_30default_config_static_selectorELNS0_4arch9wavefront6targetE1EEEvT1_,comdat
.Lfunc_end6048:
	.size	_ZN7rocprim17ROCPRIM_400000_NS6detail17trampoline_kernelINS0_14default_configENS1_20scan_config_selectorIjEEZZNS1_9scan_implILNS1_25lookback_scan_determinismE0ELb0ELb0ES3_N6thrust23THRUST_200600_302600_NS6detail15normal_iteratorINS9_10device_ptrIjEEEENSB_INSC_IfEEEEjNS9_4plusIvEEjEEDaPvRmT3_T4_T5_mT6_P12ihipStream_tbENKUlT_T0_E_clISt17integral_constantIbLb1EESW_EEDaSR_SS_EUlSR_E0_NS1_11comp_targetILNS1_3genE10ELNS1_11target_archE1200ELNS1_3gpuE4ELNS1_3repE0EEENS1_30default_config_static_selectorELNS0_4arch9wavefront6targetE1EEEvT1_, .Lfunc_end6048-_ZN7rocprim17ROCPRIM_400000_NS6detail17trampoline_kernelINS0_14default_configENS1_20scan_config_selectorIjEEZZNS1_9scan_implILNS1_25lookback_scan_determinismE0ELb0ELb0ES3_N6thrust23THRUST_200600_302600_NS6detail15normal_iteratorINS9_10device_ptrIjEEEENSB_INSC_IfEEEEjNS9_4plusIvEEjEEDaPvRmT3_T4_T5_mT6_P12ihipStream_tbENKUlT_T0_E_clISt17integral_constantIbLb1EESW_EEDaSR_SS_EUlSR_E0_NS1_11comp_targetILNS1_3genE10ELNS1_11target_archE1200ELNS1_3gpuE4ELNS1_3repE0EEENS1_30default_config_static_selectorELNS0_4arch9wavefront6targetE1EEEvT1_
                                        ; -- End function
	.section	.AMDGPU.csdata,"",@progbits
; Kernel info:
; codeLenInByte = 0
; NumSgprs: 4
; NumVgprs: 0
; NumAgprs: 0
; TotalNumVgprs: 0
; ScratchSize: 0
; MemoryBound: 0
; FloatMode: 240
; IeeeMode: 1
; LDSByteSize: 0 bytes/workgroup (compile time only)
; SGPRBlocks: 0
; VGPRBlocks: 0
; NumSGPRsForWavesPerEU: 4
; NumVGPRsForWavesPerEU: 1
; AccumOffset: 4
; Occupancy: 8
; WaveLimiterHint : 0
; COMPUTE_PGM_RSRC2:SCRATCH_EN: 0
; COMPUTE_PGM_RSRC2:USER_SGPR: 6
; COMPUTE_PGM_RSRC2:TRAP_HANDLER: 0
; COMPUTE_PGM_RSRC2:TGID_X_EN: 1
; COMPUTE_PGM_RSRC2:TGID_Y_EN: 0
; COMPUTE_PGM_RSRC2:TGID_Z_EN: 0
; COMPUTE_PGM_RSRC2:TIDIG_COMP_CNT: 0
; COMPUTE_PGM_RSRC3_GFX90A:ACCUM_OFFSET: 0
; COMPUTE_PGM_RSRC3_GFX90A:TG_SPLIT: 0
	.section	.text._ZN7rocprim17ROCPRIM_400000_NS6detail17trampoline_kernelINS0_14default_configENS1_20scan_config_selectorIjEEZZNS1_9scan_implILNS1_25lookback_scan_determinismE0ELb0ELb0ES3_N6thrust23THRUST_200600_302600_NS6detail15normal_iteratorINS9_10device_ptrIjEEEENSB_INSC_IfEEEEjNS9_4plusIvEEjEEDaPvRmT3_T4_T5_mT6_P12ihipStream_tbENKUlT_T0_E_clISt17integral_constantIbLb1EESW_EEDaSR_SS_EUlSR_E0_NS1_11comp_targetILNS1_3genE9ELNS1_11target_archE1100ELNS1_3gpuE3ELNS1_3repE0EEENS1_30default_config_static_selectorELNS0_4arch9wavefront6targetE1EEEvT1_,"axG",@progbits,_ZN7rocprim17ROCPRIM_400000_NS6detail17trampoline_kernelINS0_14default_configENS1_20scan_config_selectorIjEEZZNS1_9scan_implILNS1_25lookback_scan_determinismE0ELb0ELb0ES3_N6thrust23THRUST_200600_302600_NS6detail15normal_iteratorINS9_10device_ptrIjEEEENSB_INSC_IfEEEEjNS9_4plusIvEEjEEDaPvRmT3_T4_T5_mT6_P12ihipStream_tbENKUlT_T0_E_clISt17integral_constantIbLb1EESW_EEDaSR_SS_EUlSR_E0_NS1_11comp_targetILNS1_3genE9ELNS1_11target_archE1100ELNS1_3gpuE3ELNS1_3repE0EEENS1_30default_config_static_selectorELNS0_4arch9wavefront6targetE1EEEvT1_,comdat
	.protected	_ZN7rocprim17ROCPRIM_400000_NS6detail17trampoline_kernelINS0_14default_configENS1_20scan_config_selectorIjEEZZNS1_9scan_implILNS1_25lookback_scan_determinismE0ELb0ELb0ES3_N6thrust23THRUST_200600_302600_NS6detail15normal_iteratorINS9_10device_ptrIjEEEENSB_INSC_IfEEEEjNS9_4plusIvEEjEEDaPvRmT3_T4_T5_mT6_P12ihipStream_tbENKUlT_T0_E_clISt17integral_constantIbLb1EESW_EEDaSR_SS_EUlSR_E0_NS1_11comp_targetILNS1_3genE9ELNS1_11target_archE1100ELNS1_3gpuE3ELNS1_3repE0EEENS1_30default_config_static_selectorELNS0_4arch9wavefront6targetE1EEEvT1_ ; -- Begin function _ZN7rocprim17ROCPRIM_400000_NS6detail17trampoline_kernelINS0_14default_configENS1_20scan_config_selectorIjEEZZNS1_9scan_implILNS1_25lookback_scan_determinismE0ELb0ELb0ES3_N6thrust23THRUST_200600_302600_NS6detail15normal_iteratorINS9_10device_ptrIjEEEENSB_INSC_IfEEEEjNS9_4plusIvEEjEEDaPvRmT3_T4_T5_mT6_P12ihipStream_tbENKUlT_T0_E_clISt17integral_constantIbLb1EESW_EEDaSR_SS_EUlSR_E0_NS1_11comp_targetILNS1_3genE9ELNS1_11target_archE1100ELNS1_3gpuE3ELNS1_3repE0EEENS1_30default_config_static_selectorELNS0_4arch9wavefront6targetE1EEEvT1_
	.globl	_ZN7rocprim17ROCPRIM_400000_NS6detail17trampoline_kernelINS0_14default_configENS1_20scan_config_selectorIjEEZZNS1_9scan_implILNS1_25lookback_scan_determinismE0ELb0ELb0ES3_N6thrust23THRUST_200600_302600_NS6detail15normal_iteratorINS9_10device_ptrIjEEEENSB_INSC_IfEEEEjNS9_4plusIvEEjEEDaPvRmT3_T4_T5_mT6_P12ihipStream_tbENKUlT_T0_E_clISt17integral_constantIbLb1EESW_EEDaSR_SS_EUlSR_E0_NS1_11comp_targetILNS1_3genE9ELNS1_11target_archE1100ELNS1_3gpuE3ELNS1_3repE0EEENS1_30default_config_static_selectorELNS0_4arch9wavefront6targetE1EEEvT1_
	.p2align	8
	.type	_ZN7rocprim17ROCPRIM_400000_NS6detail17trampoline_kernelINS0_14default_configENS1_20scan_config_selectorIjEEZZNS1_9scan_implILNS1_25lookback_scan_determinismE0ELb0ELb0ES3_N6thrust23THRUST_200600_302600_NS6detail15normal_iteratorINS9_10device_ptrIjEEEENSB_INSC_IfEEEEjNS9_4plusIvEEjEEDaPvRmT3_T4_T5_mT6_P12ihipStream_tbENKUlT_T0_E_clISt17integral_constantIbLb1EESW_EEDaSR_SS_EUlSR_E0_NS1_11comp_targetILNS1_3genE9ELNS1_11target_archE1100ELNS1_3gpuE3ELNS1_3repE0EEENS1_30default_config_static_selectorELNS0_4arch9wavefront6targetE1EEEvT1_,@function
_ZN7rocprim17ROCPRIM_400000_NS6detail17trampoline_kernelINS0_14default_configENS1_20scan_config_selectorIjEEZZNS1_9scan_implILNS1_25lookback_scan_determinismE0ELb0ELb0ES3_N6thrust23THRUST_200600_302600_NS6detail15normal_iteratorINS9_10device_ptrIjEEEENSB_INSC_IfEEEEjNS9_4plusIvEEjEEDaPvRmT3_T4_T5_mT6_P12ihipStream_tbENKUlT_T0_E_clISt17integral_constantIbLb1EESW_EEDaSR_SS_EUlSR_E0_NS1_11comp_targetILNS1_3genE9ELNS1_11target_archE1100ELNS1_3gpuE3ELNS1_3repE0EEENS1_30default_config_static_selectorELNS0_4arch9wavefront6targetE1EEEvT1_: ; @_ZN7rocprim17ROCPRIM_400000_NS6detail17trampoline_kernelINS0_14default_configENS1_20scan_config_selectorIjEEZZNS1_9scan_implILNS1_25lookback_scan_determinismE0ELb0ELb0ES3_N6thrust23THRUST_200600_302600_NS6detail15normal_iteratorINS9_10device_ptrIjEEEENSB_INSC_IfEEEEjNS9_4plusIvEEjEEDaPvRmT3_T4_T5_mT6_P12ihipStream_tbENKUlT_T0_E_clISt17integral_constantIbLb1EESW_EEDaSR_SS_EUlSR_E0_NS1_11comp_targetILNS1_3genE9ELNS1_11target_archE1100ELNS1_3gpuE3ELNS1_3repE0EEENS1_30default_config_static_selectorELNS0_4arch9wavefront6targetE1EEEvT1_
; %bb.0:
	.section	.rodata,"a",@progbits
	.p2align	6, 0x0
	.amdhsa_kernel _ZN7rocprim17ROCPRIM_400000_NS6detail17trampoline_kernelINS0_14default_configENS1_20scan_config_selectorIjEEZZNS1_9scan_implILNS1_25lookback_scan_determinismE0ELb0ELb0ES3_N6thrust23THRUST_200600_302600_NS6detail15normal_iteratorINS9_10device_ptrIjEEEENSB_INSC_IfEEEEjNS9_4plusIvEEjEEDaPvRmT3_T4_T5_mT6_P12ihipStream_tbENKUlT_T0_E_clISt17integral_constantIbLb1EESW_EEDaSR_SS_EUlSR_E0_NS1_11comp_targetILNS1_3genE9ELNS1_11target_archE1100ELNS1_3gpuE3ELNS1_3repE0EEENS1_30default_config_static_selectorELNS0_4arch9wavefront6targetE1EEEvT1_
		.amdhsa_group_segment_fixed_size 0
		.amdhsa_private_segment_fixed_size 0
		.amdhsa_kernarg_size 32
		.amdhsa_user_sgpr_count 6
		.amdhsa_user_sgpr_private_segment_buffer 1
		.amdhsa_user_sgpr_dispatch_ptr 0
		.amdhsa_user_sgpr_queue_ptr 0
		.amdhsa_user_sgpr_kernarg_segment_ptr 1
		.amdhsa_user_sgpr_dispatch_id 0
		.amdhsa_user_sgpr_flat_scratch_init 0
		.amdhsa_user_sgpr_kernarg_preload_length 0
		.amdhsa_user_sgpr_kernarg_preload_offset 0
		.amdhsa_user_sgpr_private_segment_size 0
		.amdhsa_uses_dynamic_stack 0
		.amdhsa_system_sgpr_private_segment_wavefront_offset 0
		.amdhsa_system_sgpr_workgroup_id_x 1
		.amdhsa_system_sgpr_workgroup_id_y 0
		.amdhsa_system_sgpr_workgroup_id_z 0
		.amdhsa_system_sgpr_workgroup_info 0
		.amdhsa_system_vgpr_workitem_id 0
		.amdhsa_next_free_vgpr 1
		.amdhsa_next_free_sgpr 0
		.amdhsa_accum_offset 4
		.amdhsa_reserve_vcc 0
		.amdhsa_reserve_flat_scratch 0
		.amdhsa_float_round_mode_32 0
		.amdhsa_float_round_mode_16_64 0
		.amdhsa_float_denorm_mode_32 3
		.amdhsa_float_denorm_mode_16_64 3
		.amdhsa_dx10_clamp 1
		.amdhsa_ieee_mode 1
		.amdhsa_fp16_overflow 0
		.amdhsa_tg_split 0
		.amdhsa_exception_fp_ieee_invalid_op 0
		.amdhsa_exception_fp_denorm_src 0
		.amdhsa_exception_fp_ieee_div_zero 0
		.amdhsa_exception_fp_ieee_overflow 0
		.amdhsa_exception_fp_ieee_underflow 0
		.amdhsa_exception_fp_ieee_inexact 0
		.amdhsa_exception_int_div_zero 0
	.end_amdhsa_kernel
	.section	.text._ZN7rocprim17ROCPRIM_400000_NS6detail17trampoline_kernelINS0_14default_configENS1_20scan_config_selectorIjEEZZNS1_9scan_implILNS1_25lookback_scan_determinismE0ELb0ELb0ES3_N6thrust23THRUST_200600_302600_NS6detail15normal_iteratorINS9_10device_ptrIjEEEENSB_INSC_IfEEEEjNS9_4plusIvEEjEEDaPvRmT3_T4_T5_mT6_P12ihipStream_tbENKUlT_T0_E_clISt17integral_constantIbLb1EESW_EEDaSR_SS_EUlSR_E0_NS1_11comp_targetILNS1_3genE9ELNS1_11target_archE1100ELNS1_3gpuE3ELNS1_3repE0EEENS1_30default_config_static_selectorELNS0_4arch9wavefront6targetE1EEEvT1_,"axG",@progbits,_ZN7rocprim17ROCPRIM_400000_NS6detail17trampoline_kernelINS0_14default_configENS1_20scan_config_selectorIjEEZZNS1_9scan_implILNS1_25lookback_scan_determinismE0ELb0ELb0ES3_N6thrust23THRUST_200600_302600_NS6detail15normal_iteratorINS9_10device_ptrIjEEEENSB_INSC_IfEEEEjNS9_4plusIvEEjEEDaPvRmT3_T4_T5_mT6_P12ihipStream_tbENKUlT_T0_E_clISt17integral_constantIbLb1EESW_EEDaSR_SS_EUlSR_E0_NS1_11comp_targetILNS1_3genE9ELNS1_11target_archE1100ELNS1_3gpuE3ELNS1_3repE0EEENS1_30default_config_static_selectorELNS0_4arch9wavefront6targetE1EEEvT1_,comdat
.Lfunc_end6049:
	.size	_ZN7rocprim17ROCPRIM_400000_NS6detail17trampoline_kernelINS0_14default_configENS1_20scan_config_selectorIjEEZZNS1_9scan_implILNS1_25lookback_scan_determinismE0ELb0ELb0ES3_N6thrust23THRUST_200600_302600_NS6detail15normal_iteratorINS9_10device_ptrIjEEEENSB_INSC_IfEEEEjNS9_4plusIvEEjEEDaPvRmT3_T4_T5_mT6_P12ihipStream_tbENKUlT_T0_E_clISt17integral_constantIbLb1EESW_EEDaSR_SS_EUlSR_E0_NS1_11comp_targetILNS1_3genE9ELNS1_11target_archE1100ELNS1_3gpuE3ELNS1_3repE0EEENS1_30default_config_static_selectorELNS0_4arch9wavefront6targetE1EEEvT1_, .Lfunc_end6049-_ZN7rocprim17ROCPRIM_400000_NS6detail17trampoline_kernelINS0_14default_configENS1_20scan_config_selectorIjEEZZNS1_9scan_implILNS1_25lookback_scan_determinismE0ELb0ELb0ES3_N6thrust23THRUST_200600_302600_NS6detail15normal_iteratorINS9_10device_ptrIjEEEENSB_INSC_IfEEEEjNS9_4plusIvEEjEEDaPvRmT3_T4_T5_mT6_P12ihipStream_tbENKUlT_T0_E_clISt17integral_constantIbLb1EESW_EEDaSR_SS_EUlSR_E0_NS1_11comp_targetILNS1_3genE9ELNS1_11target_archE1100ELNS1_3gpuE3ELNS1_3repE0EEENS1_30default_config_static_selectorELNS0_4arch9wavefront6targetE1EEEvT1_
                                        ; -- End function
	.section	.AMDGPU.csdata,"",@progbits
; Kernel info:
; codeLenInByte = 0
; NumSgprs: 4
; NumVgprs: 0
; NumAgprs: 0
; TotalNumVgprs: 0
; ScratchSize: 0
; MemoryBound: 0
; FloatMode: 240
; IeeeMode: 1
; LDSByteSize: 0 bytes/workgroup (compile time only)
; SGPRBlocks: 0
; VGPRBlocks: 0
; NumSGPRsForWavesPerEU: 4
; NumVGPRsForWavesPerEU: 1
; AccumOffset: 4
; Occupancy: 8
; WaveLimiterHint : 0
; COMPUTE_PGM_RSRC2:SCRATCH_EN: 0
; COMPUTE_PGM_RSRC2:USER_SGPR: 6
; COMPUTE_PGM_RSRC2:TRAP_HANDLER: 0
; COMPUTE_PGM_RSRC2:TGID_X_EN: 1
; COMPUTE_PGM_RSRC2:TGID_Y_EN: 0
; COMPUTE_PGM_RSRC2:TGID_Z_EN: 0
; COMPUTE_PGM_RSRC2:TIDIG_COMP_CNT: 0
; COMPUTE_PGM_RSRC3_GFX90A:ACCUM_OFFSET: 0
; COMPUTE_PGM_RSRC3_GFX90A:TG_SPLIT: 0
	.section	.text._ZN7rocprim17ROCPRIM_400000_NS6detail17trampoline_kernelINS0_14default_configENS1_20scan_config_selectorIjEEZZNS1_9scan_implILNS1_25lookback_scan_determinismE0ELb0ELb0ES3_N6thrust23THRUST_200600_302600_NS6detail15normal_iteratorINS9_10device_ptrIjEEEENSB_INSC_IfEEEEjNS9_4plusIvEEjEEDaPvRmT3_T4_T5_mT6_P12ihipStream_tbENKUlT_T0_E_clISt17integral_constantIbLb1EESW_EEDaSR_SS_EUlSR_E0_NS1_11comp_targetILNS1_3genE8ELNS1_11target_archE1030ELNS1_3gpuE2ELNS1_3repE0EEENS1_30default_config_static_selectorELNS0_4arch9wavefront6targetE1EEEvT1_,"axG",@progbits,_ZN7rocprim17ROCPRIM_400000_NS6detail17trampoline_kernelINS0_14default_configENS1_20scan_config_selectorIjEEZZNS1_9scan_implILNS1_25lookback_scan_determinismE0ELb0ELb0ES3_N6thrust23THRUST_200600_302600_NS6detail15normal_iteratorINS9_10device_ptrIjEEEENSB_INSC_IfEEEEjNS9_4plusIvEEjEEDaPvRmT3_T4_T5_mT6_P12ihipStream_tbENKUlT_T0_E_clISt17integral_constantIbLb1EESW_EEDaSR_SS_EUlSR_E0_NS1_11comp_targetILNS1_3genE8ELNS1_11target_archE1030ELNS1_3gpuE2ELNS1_3repE0EEENS1_30default_config_static_selectorELNS0_4arch9wavefront6targetE1EEEvT1_,comdat
	.protected	_ZN7rocprim17ROCPRIM_400000_NS6detail17trampoline_kernelINS0_14default_configENS1_20scan_config_selectorIjEEZZNS1_9scan_implILNS1_25lookback_scan_determinismE0ELb0ELb0ES3_N6thrust23THRUST_200600_302600_NS6detail15normal_iteratorINS9_10device_ptrIjEEEENSB_INSC_IfEEEEjNS9_4plusIvEEjEEDaPvRmT3_T4_T5_mT6_P12ihipStream_tbENKUlT_T0_E_clISt17integral_constantIbLb1EESW_EEDaSR_SS_EUlSR_E0_NS1_11comp_targetILNS1_3genE8ELNS1_11target_archE1030ELNS1_3gpuE2ELNS1_3repE0EEENS1_30default_config_static_selectorELNS0_4arch9wavefront6targetE1EEEvT1_ ; -- Begin function _ZN7rocprim17ROCPRIM_400000_NS6detail17trampoline_kernelINS0_14default_configENS1_20scan_config_selectorIjEEZZNS1_9scan_implILNS1_25lookback_scan_determinismE0ELb0ELb0ES3_N6thrust23THRUST_200600_302600_NS6detail15normal_iteratorINS9_10device_ptrIjEEEENSB_INSC_IfEEEEjNS9_4plusIvEEjEEDaPvRmT3_T4_T5_mT6_P12ihipStream_tbENKUlT_T0_E_clISt17integral_constantIbLb1EESW_EEDaSR_SS_EUlSR_E0_NS1_11comp_targetILNS1_3genE8ELNS1_11target_archE1030ELNS1_3gpuE2ELNS1_3repE0EEENS1_30default_config_static_selectorELNS0_4arch9wavefront6targetE1EEEvT1_
	.globl	_ZN7rocprim17ROCPRIM_400000_NS6detail17trampoline_kernelINS0_14default_configENS1_20scan_config_selectorIjEEZZNS1_9scan_implILNS1_25lookback_scan_determinismE0ELb0ELb0ES3_N6thrust23THRUST_200600_302600_NS6detail15normal_iteratorINS9_10device_ptrIjEEEENSB_INSC_IfEEEEjNS9_4plusIvEEjEEDaPvRmT3_T4_T5_mT6_P12ihipStream_tbENKUlT_T0_E_clISt17integral_constantIbLb1EESW_EEDaSR_SS_EUlSR_E0_NS1_11comp_targetILNS1_3genE8ELNS1_11target_archE1030ELNS1_3gpuE2ELNS1_3repE0EEENS1_30default_config_static_selectorELNS0_4arch9wavefront6targetE1EEEvT1_
	.p2align	8
	.type	_ZN7rocprim17ROCPRIM_400000_NS6detail17trampoline_kernelINS0_14default_configENS1_20scan_config_selectorIjEEZZNS1_9scan_implILNS1_25lookback_scan_determinismE0ELb0ELb0ES3_N6thrust23THRUST_200600_302600_NS6detail15normal_iteratorINS9_10device_ptrIjEEEENSB_INSC_IfEEEEjNS9_4plusIvEEjEEDaPvRmT3_T4_T5_mT6_P12ihipStream_tbENKUlT_T0_E_clISt17integral_constantIbLb1EESW_EEDaSR_SS_EUlSR_E0_NS1_11comp_targetILNS1_3genE8ELNS1_11target_archE1030ELNS1_3gpuE2ELNS1_3repE0EEENS1_30default_config_static_selectorELNS0_4arch9wavefront6targetE1EEEvT1_,@function
_ZN7rocprim17ROCPRIM_400000_NS6detail17trampoline_kernelINS0_14default_configENS1_20scan_config_selectorIjEEZZNS1_9scan_implILNS1_25lookback_scan_determinismE0ELb0ELb0ES3_N6thrust23THRUST_200600_302600_NS6detail15normal_iteratorINS9_10device_ptrIjEEEENSB_INSC_IfEEEEjNS9_4plusIvEEjEEDaPvRmT3_T4_T5_mT6_P12ihipStream_tbENKUlT_T0_E_clISt17integral_constantIbLb1EESW_EEDaSR_SS_EUlSR_E0_NS1_11comp_targetILNS1_3genE8ELNS1_11target_archE1030ELNS1_3gpuE2ELNS1_3repE0EEENS1_30default_config_static_selectorELNS0_4arch9wavefront6targetE1EEEvT1_: ; @_ZN7rocprim17ROCPRIM_400000_NS6detail17trampoline_kernelINS0_14default_configENS1_20scan_config_selectorIjEEZZNS1_9scan_implILNS1_25lookback_scan_determinismE0ELb0ELb0ES3_N6thrust23THRUST_200600_302600_NS6detail15normal_iteratorINS9_10device_ptrIjEEEENSB_INSC_IfEEEEjNS9_4plusIvEEjEEDaPvRmT3_T4_T5_mT6_P12ihipStream_tbENKUlT_T0_E_clISt17integral_constantIbLb1EESW_EEDaSR_SS_EUlSR_E0_NS1_11comp_targetILNS1_3genE8ELNS1_11target_archE1030ELNS1_3gpuE2ELNS1_3repE0EEENS1_30default_config_static_selectorELNS0_4arch9wavefront6targetE1EEEvT1_
; %bb.0:
	.section	.rodata,"a",@progbits
	.p2align	6, 0x0
	.amdhsa_kernel _ZN7rocprim17ROCPRIM_400000_NS6detail17trampoline_kernelINS0_14default_configENS1_20scan_config_selectorIjEEZZNS1_9scan_implILNS1_25lookback_scan_determinismE0ELb0ELb0ES3_N6thrust23THRUST_200600_302600_NS6detail15normal_iteratorINS9_10device_ptrIjEEEENSB_INSC_IfEEEEjNS9_4plusIvEEjEEDaPvRmT3_T4_T5_mT6_P12ihipStream_tbENKUlT_T0_E_clISt17integral_constantIbLb1EESW_EEDaSR_SS_EUlSR_E0_NS1_11comp_targetILNS1_3genE8ELNS1_11target_archE1030ELNS1_3gpuE2ELNS1_3repE0EEENS1_30default_config_static_selectorELNS0_4arch9wavefront6targetE1EEEvT1_
		.amdhsa_group_segment_fixed_size 0
		.amdhsa_private_segment_fixed_size 0
		.amdhsa_kernarg_size 32
		.amdhsa_user_sgpr_count 6
		.amdhsa_user_sgpr_private_segment_buffer 1
		.amdhsa_user_sgpr_dispatch_ptr 0
		.amdhsa_user_sgpr_queue_ptr 0
		.amdhsa_user_sgpr_kernarg_segment_ptr 1
		.amdhsa_user_sgpr_dispatch_id 0
		.amdhsa_user_sgpr_flat_scratch_init 0
		.amdhsa_user_sgpr_kernarg_preload_length 0
		.amdhsa_user_sgpr_kernarg_preload_offset 0
		.amdhsa_user_sgpr_private_segment_size 0
		.amdhsa_uses_dynamic_stack 0
		.amdhsa_system_sgpr_private_segment_wavefront_offset 0
		.amdhsa_system_sgpr_workgroup_id_x 1
		.amdhsa_system_sgpr_workgroup_id_y 0
		.amdhsa_system_sgpr_workgroup_id_z 0
		.amdhsa_system_sgpr_workgroup_info 0
		.amdhsa_system_vgpr_workitem_id 0
		.amdhsa_next_free_vgpr 1
		.amdhsa_next_free_sgpr 0
		.amdhsa_accum_offset 4
		.amdhsa_reserve_vcc 0
		.amdhsa_reserve_flat_scratch 0
		.amdhsa_float_round_mode_32 0
		.amdhsa_float_round_mode_16_64 0
		.amdhsa_float_denorm_mode_32 3
		.amdhsa_float_denorm_mode_16_64 3
		.amdhsa_dx10_clamp 1
		.amdhsa_ieee_mode 1
		.amdhsa_fp16_overflow 0
		.amdhsa_tg_split 0
		.amdhsa_exception_fp_ieee_invalid_op 0
		.amdhsa_exception_fp_denorm_src 0
		.amdhsa_exception_fp_ieee_div_zero 0
		.amdhsa_exception_fp_ieee_overflow 0
		.amdhsa_exception_fp_ieee_underflow 0
		.amdhsa_exception_fp_ieee_inexact 0
		.amdhsa_exception_int_div_zero 0
	.end_amdhsa_kernel
	.section	.text._ZN7rocprim17ROCPRIM_400000_NS6detail17trampoline_kernelINS0_14default_configENS1_20scan_config_selectorIjEEZZNS1_9scan_implILNS1_25lookback_scan_determinismE0ELb0ELb0ES3_N6thrust23THRUST_200600_302600_NS6detail15normal_iteratorINS9_10device_ptrIjEEEENSB_INSC_IfEEEEjNS9_4plusIvEEjEEDaPvRmT3_T4_T5_mT6_P12ihipStream_tbENKUlT_T0_E_clISt17integral_constantIbLb1EESW_EEDaSR_SS_EUlSR_E0_NS1_11comp_targetILNS1_3genE8ELNS1_11target_archE1030ELNS1_3gpuE2ELNS1_3repE0EEENS1_30default_config_static_selectorELNS0_4arch9wavefront6targetE1EEEvT1_,"axG",@progbits,_ZN7rocprim17ROCPRIM_400000_NS6detail17trampoline_kernelINS0_14default_configENS1_20scan_config_selectorIjEEZZNS1_9scan_implILNS1_25lookback_scan_determinismE0ELb0ELb0ES3_N6thrust23THRUST_200600_302600_NS6detail15normal_iteratorINS9_10device_ptrIjEEEENSB_INSC_IfEEEEjNS9_4plusIvEEjEEDaPvRmT3_T4_T5_mT6_P12ihipStream_tbENKUlT_T0_E_clISt17integral_constantIbLb1EESW_EEDaSR_SS_EUlSR_E0_NS1_11comp_targetILNS1_3genE8ELNS1_11target_archE1030ELNS1_3gpuE2ELNS1_3repE0EEENS1_30default_config_static_selectorELNS0_4arch9wavefront6targetE1EEEvT1_,comdat
.Lfunc_end6050:
	.size	_ZN7rocprim17ROCPRIM_400000_NS6detail17trampoline_kernelINS0_14default_configENS1_20scan_config_selectorIjEEZZNS1_9scan_implILNS1_25lookback_scan_determinismE0ELb0ELb0ES3_N6thrust23THRUST_200600_302600_NS6detail15normal_iteratorINS9_10device_ptrIjEEEENSB_INSC_IfEEEEjNS9_4plusIvEEjEEDaPvRmT3_T4_T5_mT6_P12ihipStream_tbENKUlT_T0_E_clISt17integral_constantIbLb1EESW_EEDaSR_SS_EUlSR_E0_NS1_11comp_targetILNS1_3genE8ELNS1_11target_archE1030ELNS1_3gpuE2ELNS1_3repE0EEENS1_30default_config_static_selectorELNS0_4arch9wavefront6targetE1EEEvT1_, .Lfunc_end6050-_ZN7rocprim17ROCPRIM_400000_NS6detail17trampoline_kernelINS0_14default_configENS1_20scan_config_selectorIjEEZZNS1_9scan_implILNS1_25lookback_scan_determinismE0ELb0ELb0ES3_N6thrust23THRUST_200600_302600_NS6detail15normal_iteratorINS9_10device_ptrIjEEEENSB_INSC_IfEEEEjNS9_4plusIvEEjEEDaPvRmT3_T4_T5_mT6_P12ihipStream_tbENKUlT_T0_E_clISt17integral_constantIbLb1EESW_EEDaSR_SS_EUlSR_E0_NS1_11comp_targetILNS1_3genE8ELNS1_11target_archE1030ELNS1_3gpuE2ELNS1_3repE0EEENS1_30default_config_static_selectorELNS0_4arch9wavefront6targetE1EEEvT1_
                                        ; -- End function
	.section	.AMDGPU.csdata,"",@progbits
; Kernel info:
; codeLenInByte = 0
; NumSgprs: 4
; NumVgprs: 0
; NumAgprs: 0
; TotalNumVgprs: 0
; ScratchSize: 0
; MemoryBound: 0
; FloatMode: 240
; IeeeMode: 1
; LDSByteSize: 0 bytes/workgroup (compile time only)
; SGPRBlocks: 0
; VGPRBlocks: 0
; NumSGPRsForWavesPerEU: 4
; NumVGPRsForWavesPerEU: 1
; AccumOffset: 4
; Occupancy: 8
; WaveLimiterHint : 0
; COMPUTE_PGM_RSRC2:SCRATCH_EN: 0
; COMPUTE_PGM_RSRC2:USER_SGPR: 6
; COMPUTE_PGM_RSRC2:TRAP_HANDLER: 0
; COMPUTE_PGM_RSRC2:TGID_X_EN: 1
; COMPUTE_PGM_RSRC2:TGID_Y_EN: 0
; COMPUTE_PGM_RSRC2:TGID_Z_EN: 0
; COMPUTE_PGM_RSRC2:TIDIG_COMP_CNT: 0
; COMPUTE_PGM_RSRC3_GFX90A:ACCUM_OFFSET: 0
; COMPUTE_PGM_RSRC3_GFX90A:TG_SPLIT: 0
	.section	.text._ZN7rocprim17ROCPRIM_400000_NS6detail17trampoline_kernelINS0_14default_configENS1_20scan_config_selectorIjEEZZNS1_9scan_implILNS1_25lookback_scan_determinismE0ELb0ELb0ES3_N6thrust23THRUST_200600_302600_NS6detail15normal_iteratorINS9_10device_ptrIjEEEENSB_INSC_IfEEEEjNS9_4plusIvEEjEEDaPvRmT3_T4_T5_mT6_P12ihipStream_tbENKUlT_T0_E_clISt17integral_constantIbLb1EESV_IbLb0EEEEDaSR_SS_EUlSR_E_NS1_11comp_targetILNS1_3genE0ELNS1_11target_archE4294967295ELNS1_3gpuE0ELNS1_3repE0EEENS1_30default_config_static_selectorELNS0_4arch9wavefront6targetE1EEEvT1_,"axG",@progbits,_ZN7rocprim17ROCPRIM_400000_NS6detail17trampoline_kernelINS0_14default_configENS1_20scan_config_selectorIjEEZZNS1_9scan_implILNS1_25lookback_scan_determinismE0ELb0ELb0ES3_N6thrust23THRUST_200600_302600_NS6detail15normal_iteratorINS9_10device_ptrIjEEEENSB_INSC_IfEEEEjNS9_4plusIvEEjEEDaPvRmT3_T4_T5_mT6_P12ihipStream_tbENKUlT_T0_E_clISt17integral_constantIbLb1EESV_IbLb0EEEEDaSR_SS_EUlSR_E_NS1_11comp_targetILNS1_3genE0ELNS1_11target_archE4294967295ELNS1_3gpuE0ELNS1_3repE0EEENS1_30default_config_static_selectorELNS0_4arch9wavefront6targetE1EEEvT1_,comdat
	.protected	_ZN7rocprim17ROCPRIM_400000_NS6detail17trampoline_kernelINS0_14default_configENS1_20scan_config_selectorIjEEZZNS1_9scan_implILNS1_25lookback_scan_determinismE0ELb0ELb0ES3_N6thrust23THRUST_200600_302600_NS6detail15normal_iteratorINS9_10device_ptrIjEEEENSB_INSC_IfEEEEjNS9_4plusIvEEjEEDaPvRmT3_T4_T5_mT6_P12ihipStream_tbENKUlT_T0_E_clISt17integral_constantIbLb1EESV_IbLb0EEEEDaSR_SS_EUlSR_E_NS1_11comp_targetILNS1_3genE0ELNS1_11target_archE4294967295ELNS1_3gpuE0ELNS1_3repE0EEENS1_30default_config_static_selectorELNS0_4arch9wavefront6targetE1EEEvT1_ ; -- Begin function _ZN7rocprim17ROCPRIM_400000_NS6detail17trampoline_kernelINS0_14default_configENS1_20scan_config_selectorIjEEZZNS1_9scan_implILNS1_25lookback_scan_determinismE0ELb0ELb0ES3_N6thrust23THRUST_200600_302600_NS6detail15normal_iteratorINS9_10device_ptrIjEEEENSB_INSC_IfEEEEjNS9_4plusIvEEjEEDaPvRmT3_T4_T5_mT6_P12ihipStream_tbENKUlT_T0_E_clISt17integral_constantIbLb1EESV_IbLb0EEEEDaSR_SS_EUlSR_E_NS1_11comp_targetILNS1_3genE0ELNS1_11target_archE4294967295ELNS1_3gpuE0ELNS1_3repE0EEENS1_30default_config_static_selectorELNS0_4arch9wavefront6targetE1EEEvT1_
	.globl	_ZN7rocprim17ROCPRIM_400000_NS6detail17trampoline_kernelINS0_14default_configENS1_20scan_config_selectorIjEEZZNS1_9scan_implILNS1_25lookback_scan_determinismE0ELb0ELb0ES3_N6thrust23THRUST_200600_302600_NS6detail15normal_iteratorINS9_10device_ptrIjEEEENSB_INSC_IfEEEEjNS9_4plusIvEEjEEDaPvRmT3_T4_T5_mT6_P12ihipStream_tbENKUlT_T0_E_clISt17integral_constantIbLb1EESV_IbLb0EEEEDaSR_SS_EUlSR_E_NS1_11comp_targetILNS1_3genE0ELNS1_11target_archE4294967295ELNS1_3gpuE0ELNS1_3repE0EEENS1_30default_config_static_selectorELNS0_4arch9wavefront6targetE1EEEvT1_
	.p2align	8
	.type	_ZN7rocprim17ROCPRIM_400000_NS6detail17trampoline_kernelINS0_14default_configENS1_20scan_config_selectorIjEEZZNS1_9scan_implILNS1_25lookback_scan_determinismE0ELb0ELb0ES3_N6thrust23THRUST_200600_302600_NS6detail15normal_iteratorINS9_10device_ptrIjEEEENSB_INSC_IfEEEEjNS9_4plusIvEEjEEDaPvRmT3_T4_T5_mT6_P12ihipStream_tbENKUlT_T0_E_clISt17integral_constantIbLb1EESV_IbLb0EEEEDaSR_SS_EUlSR_E_NS1_11comp_targetILNS1_3genE0ELNS1_11target_archE4294967295ELNS1_3gpuE0ELNS1_3repE0EEENS1_30default_config_static_selectorELNS0_4arch9wavefront6targetE1EEEvT1_,@function
_ZN7rocprim17ROCPRIM_400000_NS6detail17trampoline_kernelINS0_14default_configENS1_20scan_config_selectorIjEEZZNS1_9scan_implILNS1_25lookback_scan_determinismE0ELb0ELb0ES3_N6thrust23THRUST_200600_302600_NS6detail15normal_iteratorINS9_10device_ptrIjEEEENSB_INSC_IfEEEEjNS9_4plusIvEEjEEDaPvRmT3_T4_T5_mT6_P12ihipStream_tbENKUlT_T0_E_clISt17integral_constantIbLb1EESV_IbLb0EEEEDaSR_SS_EUlSR_E_NS1_11comp_targetILNS1_3genE0ELNS1_11target_archE4294967295ELNS1_3gpuE0ELNS1_3repE0EEENS1_30default_config_static_selectorELNS0_4arch9wavefront6targetE1EEEvT1_: ; @_ZN7rocprim17ROCPRIM_400000_NS6detail17trampoline_kernelINS0_14default_configENS1_20scan_config_selectorIjEEZZNS1_9scan_implILNS1_25lookback_scan_determinismE0ELb0ELb0ES3_N6thrust23THRUST_200600_302600_NS6detail15normal_iteratorINS9_10device_ptrIjEEEENSB_INSC_IfEEEEjNS9_4plusIvEEjEEDaPvRmT3_T4_T5_mT6_P12ihipStream_tbENKUlT_T0_E_clISt17integral_constantIbLb1EESV_IbLb0EEEEDaSR_SS_EUlSR_E_NS1_11comp_targetILNS1_3genE0ELNS1_11target_archE4294967295ELNS1_3gpuE0ELNS1_3repE0EEENS1_30default_config_static_selectorELNS0_4arch9wavefront6targetE1EEEvT1_
; %bb.0:
	.section	.rodata,"a",@progbits
	.p2align	6, 0x0
	.amdhsa_kernel _ZN7rocprim17ROCPRIM_400000_NS6detail17trampoline_kernelINS0_14default_configENS1_20scan_config_selectorIjEEZZNS1_9scan_implILNS1_25lookback_scan_determinismE0ELb0ELb0ES3_N6thrust23THRUST_200600_302600_NS6detail15normal_iteratorINS9_10device_ptrIjEEEENSB_INSC_IfEEEEjNS9_4plusIvEEjEEDaPvRmT3_T4_T5_mT6_P12ihipStream_tbENKUlT_T0_E_clISt17integral_constantIbLb1EESV_IbLb0EEEEDaSR_SS_EUlSR_E_NS1_11comp_targetILNS1_3genE0ELNS1_11target_archE4294967295ELNS1_3gpuE0ELNS1_3repE0EEENS1_30default_config_static_selectorELNS0_4arch9wavefront6targetE1EEEvT1_
		.amdhsa_group_segment_fixed_size 0
		.amdhsa_private_segment_fixed_size 0
		.amdhsa_kernarg_size 96
		.amdhsa_user_sgpr_count 6
		.amdhsa_user_sgpr_private_segment_buffer 1
		.amdhsa_user_sgpr_dispatch_ptr 0
		.amdhsa_user_sgpr_queue_ptr 0
		.amdhsa_user_sgpr_kernarg_segment_ptr 1
		.amdhsa_user_sgpr_dispatch_id 0
		.amdhsa_user_sgpr_flat_scratch_init 0
		.amdhsa_user_sgpr_kernarg_preload_length 0
		.amdhsa_user_sgpr_kernarg_preload_offset 0
		.amdhsa_user_sgpr_private_segment_size 0
		.amdhsa_uses_dynamic_stack 0
		.amdhsa_system_sgpr_private_segment_wavefront_offset 0
		.amdhsa_system_sgpr_workgroup_id_x 1
		.amdhsa_system_sgpr_workgroup_id_y 0
		.amdhsa_system_sgpr_workgroup_id_z 0
		.amdhsa_system_sgpr_workgroup_info 0
		.amdhsa_system_vgpr_workitem_id 0
		.amdhsa_next_free_vgpr 1
		.amdhsa_next_free_sgpr 0
		.amdhsa_accum_offset 4
		.amdhsa_reserve_vcc 0
		.amdhsa_reserve_flat_scratch 0
		.amdhsa_float_round_mode_32 0
		.amdhsa_float_round_mode_16_64 0
		.amdhsa_float_denorm_mode_32 3
		.amdhsa_float_denorm_mode_16_64 3
		.amdhsa_dx10_clamp 1
		.amdhsa_ieee_mode 1
		.amdhsa_fp16_overflow 0
		.amdhsa_tg_split 0
		.amdhsa_exception_fp_ieee_invalid_op 0
		.amdhsa_exception_fp_denorm_src 0
		.amdhsa_exception_fp_ieee_div_zero 0
		.amdhsa_exception_fp_ieee_overflow 0
		.amdhsa_exception_fp_ieee_underflow 0
		.amdhsa_exception_fp_ieee_inexact 0
		.amdhsa_exception_int_div_zero 0
	.end_amdhsa_kernel
	.section	.text._ZN7rocprim17ROCPRIM_400000_NS6detail17trampoline_kernelINS0_14default_configENS1_20scan_config_selectorIjEEZZNS1_9scan_implILNS1_25lookback_scan_determinismE0ELb0ELb0ES3_N6thrust23THRUST_200600_302600_NS6detail15normal_iteratorINS9_10device_ptrIjEEEENSB_INSC_IfEEEEjNS9_4plusIvEEjEEDaPvRmT3_T4_T5_mT6_P12ihipStream_tbENKUlT_T0_E_clISt17integral_constantIbLb1EESV_IbLb0EEEEDaSR_SS_EUlSR_E_NS1_11comp_targetILNS1_3genE0ELNS1_11target_archE4294967295ELNS1_3gpuE0ELNS1_3repE0EEENS1_30default_config_static_selectorELNS0_4arch9wavefront6targetE1EEEvT1_,"axG",@progbits,_ZN7rocprim17ROCPRIM_400000_NS6detail17trampoline_kernelINS0_14default_configENS1_20scan_config_selectorIjEEZZNS1_9scan_implILNS1_25lookback_scan_determinismE0ELb0ELb0ES3_N6thrust23THRUST_200600_302600_NS6detail15normal_iteratorINS9_10device_ptrIjEEEENSB_INSC_IfEEEEjNS9_4plusIvEEjEEDaPvRmT3_T4_T5_mT6_P12ihipStream_tbENKUlT_T0_E_clISt17integral_constantIbLb1EESV_IbLb0EEEEDaSR_SS_EUlSR_E_NS1_11comp_targetILNS1_3genE0ELNS1_11target_archE4294967295ELNS1_3gpuE0ELNS1_3repE0EEENS1_30default_config_static_selectorELNS0_4arch9wavefront6targetE1EEEvT1_,comdat
.Lfunc_end6051:
	.size	_ZN7rocprim17ROCPRIM_400000_NS6detail17trampoline_kernelINS0_14default_configENS1_20scan_config_selectorIjEEZZNS1_9scan_implILNS1_25lookback_scan_determinismE0ELb0ELb0ES3_N6thrust23THRUST_200600_302600_NS6detail15normal_iteratorINS9_10device_ptrIjEEEENSB_INSC_IfEEEEjNS9_4plusIvEEjEEDaPvRmT3_T4_T5_mT6_P12ihipStream_tbENKUlT_T0_E_clISt17integral_constantIbLb1EESV_IbLb0EEEEDaSR_SS_EUlSR_E_NS1_11comp_targetILNS1_3genE0ELNS1_11target_archE4294967295ELNS1_3gpuE0ELNS1_3repE0EEENS1_30default_config_static_selectorELNS0_4arch9wavefront6targetE1EEEvT1_, .Lfunc_end6051-_ZN7rocprim17ROCPRIM_400000_NS6detail17trampoline_kernelINS0_14default_configENS1_20scan_config_selectorIjEEZZNS1_9scan_implILNS1_25lookback_scan_determinismE0ELb0ELb0ES3_N6thrust23THRUST_200600_302600_NS6detail15normal_iteratorINS9_10device_ptrIjEEEENSB_INSC_IfEEEEjNS9_4plusIvEEjEEDaPvRmT3_T4_T5_mT6_P12ihipStream_tbENKUlT_T0_E_clISt17integral_constantIbLb1EESV_IbLb0EEEEDaSR_SS_EUlSR_E_NS1_11comp_targetILNS1_3genE0ELNS1_11target_archE4294967295ELNS1_3gpuE0ELNS1_3repE0EEENS1_30default_config_static_selectorELNS0_4arch9wavefront6targetE1EEEvT1_
                                        ; -- End function
	.section	.AMDGPU.csdata,"",@progbits
; Kernel info:
; codeLenInByte = 0
; NumSgprs: 4
; NumVgprs: 0
; NumAgprs: 0
; TotalNumVgprs: 0
; ScratchSize: 0
; MemoryBound: 0
; FloatMode: 240
; IeeeMode: 1
; LDSByteSize: 0 bytes/workgroup (compile time only)
; SGPRBlocks: 0
; VGPRBlocks: 0
; NumSGPRsForWavesPerEU: 4
; NumVGPRsForWavesPerEU: 1
; AccumOffset: 4
; Occupancy: 8
; WaveLimiterHint : 0
; COMPUTE_PGM_RSRC2:SCRATCH_EN: 0
; COMPUTE_PGM_RSRC2:USER_SGPR: 6
; COMPUTE_PGM_RSRC2:TRAP_HANDLER: 0
; COMPUTE_PGM_RSRC2:TGID_X_EN: 1
; COMPUTE_PGM_RSRC2:TGID_Y_EN: 0
; COMPUTE_PGM_RSRC2:TGID_Z_EN: 0
; COMPUTE_PGM_RSRC2:TIDIG_COMP_CNT: 0
; COMPUTE_PGM_RSRC3_GFX90A:ACCUM_OFFSET: 0
; COMPUTE_PGM_RSRC3_GFX90A:TG_SPLIT: 0
	.section	.text._ZN7rocprim17ROCPRIM_400000_NS6detail17trampoline_kernelINS0_14default_configENS1_20scan_config_selectorIjEEZZNS1_9scan_implILNS1_25lookback_scan_determinismE0ELb0ELb0ES3_N6thrust23THRUST_200600_302600_NS6detail15normal_iteratorINS9_10device_ptrIjEEEENSB_INSC_IfEEEEjNS9_4plusIvEEjEEDaPvRmT3_T4_T5_mT6_P12ihipStream_tbENKUlT_T0_E_clISt17integral_constantIbLb1EESV_IbLb0EEEEDaSR_SS_EUlSR_E_NS1_11comp_targetILNS1_3genE5ELNS1_11target_archE942ELNS1_3gpuE9ELNS1_3repE0EEENS1_30default_config_static_selectorELNS0_4arch9wavefront6targetE1EEEvT1_,"axG",@progbits,_ZN7rocprim17ROCPRIM_400000_NS6detail17trampoline_kernelINS0_14default_configENS1_20scan_config_selectorIjEEZZNS1_9scan_implILNS1_25lookback_scan_determinismE0ELb0ELb0ES3_N6thrust23THRUST_200600_302600_NS6detail15normal_iteratorINS9_10device_ptrIjEEEENSB_INSC_IfEEEEjNS9_4plusIvEEjEEDaPvRmT3_T4_T5_mT6_P12ihipStream_tbENKUlT_T0_E_clISt17integral_constantIbLb1EESV_IbLb0EEEEDaSR_SS_EUlSR_E_NS1_11comp_targetILNS1_3genE5ELNS1_11target_archE942ELNS1_3gpuE9ELNS1_3repE0EEENS1_30default_config_static_selectorELNS0_4arch9wavefront6targetE1EEEvT1_,comdat
	.protected	_ZN7rocprim17ROCPRIM_400000_NS6detail17trampoline_kernelINS0_14default_configENS1_20scan_config_selectorIjEEZZNS1_9scan_implILNS1_25lookback_scan_determinismE0ELb0ELb0ES3_N6thrust23THRUST_200600_302600_NS6detail15normal_iteratorINS9_10device_ptrIjEEEENSB_INSC_IfEEEEjNS9_4plusIvEEjEEDaPvRmT3_T4_T5_mT6_P12ihipStream_tbENKUlT_T0_E_clISt17integral_constantIbLb1EESV_IbLb0EEEEDaSR_SS_EUlSR_E_NS1_11comp_targetILNS1_3genE5ELNS1_11target_archE942ELNS1_3gpuE9ELNS1_3repE0EEENS1_30default_config_static_selectorELNS0_4arch9wavefront6targetE1EEEvT1_ ; -- Begin function _ZN7rocprim17ROCPRIM_400000_NS6detail17trampoline_kernelINS0_14default_configENS1_20scan_config_selectorIjEEZZNS1_9scan_implILNS1_25lookback_scan_determinismE0ELb0ELb0ES3_N6thrust23THRUST_200600_302600_NS6detail15normal_iteratorINS9_10device_ptrIjEEEENSB_INSC_IfEEEEjNS9_4plusIvEEjEEDaPvRmT3_T4_T5_mT6_P12ihipStream_tbENKUlT_T0_E_clISt17integral_constantIbLb1EESV_IbLb0EEEEDaSR_SS_EUlSR_E_NS1_11comp_targetILNS1_3genE5ELNS1_11target_archE942ELNS1_3gpuE9ELNS1_3repE0EEENS1_30default_config_static_selectorELNS0_4arch9wavefront6targetE1EEEvT1_
	.globl	_ZN7rocprim17ROCPRIM_400000_NS6detail17trampoline_kernelINS0_14default_configENS1_20scan_config_selectorIjEEZZNS1_9scan_implILNS1_25lookback_scan_determinismE0ELb0ELb0ES3_N6thrust23THRUST_200600_302600_NS6detail15normal_iteratorINS9_10device_ptrIjEEEENSB_INSC_IfEEEEjNS9_4plusIvEEjEEDaPvRmT3_T4_T5_mT6_P12ihipStream_tbENKUlT_T0_E_clISt17integral_constantIbLb1EESV_IbLb0EEEEDaSR_SS_EUlSR_E_NS1_11comp_targetILNS1_3genE5ELNS1_11target_archE942ELNS1_3gpuE9ELNS1_3repE0EEENS1_30default_config_static_selectorELNS0_4arch9wavefront6targetE1EEEvT1_
	.p2align	8
	.type	_ZN7rocprim17ROCPRIM_400000_NS6detail17trampoline_kernelINS0_14default_configENS1_20scan_config_selectorIjEEZZNS1_9scan_implILNS1_25lookback_scan_determinismE0ELb0ELb0ES3_N6thrust23THRUST_200600_302600_NS6detail15normal_iteratorINS9_10device_ptrIjEEEENSB_INSC_IfEEEEjNS9_4plusIvEEjEEDaPvRmT3_T4_T5_mT6_P12ihipStream_tbENKUlT_T0_E_clISt17integral_constantIbLb1EESV_IbLb0EEEEDaSR_SS_EUlSR_E_NS1_11comp_targetILNS1_3genE5ELNS1_11target_archE942ELNS1_3gpuE9ELNS1_3repE0EEENS1_30default_config_static_selectorELNS0_4arch9wavefront6targetE1EEEvT1_,@function
_ZN7rocprim17ROCPRIM_400000_NS6detail17trampoline_kernelINS0_14default_configENS1_20scan_config_selectorIjEEZZNS1_9scan_implILNS1_25lookback_scan_determinismE0ELb0ELb0ES3_N6thrust23THRUST_200600_302600_NS6detail15normal_iteratorINS9_10device_ptrIjEEEENSB_INSC_IfEEEEjNS9_4plusIvEEjEEDaPvRmT3_T4_T5_mT6_P12ihipStream_tbENKUlT_T0_E_clISt17integral_constantIbLb1EESV_IbLb0EEEEDaSR_SS_EUlSR_E_NS1_11comp_targetILNS1_3genE5ELNS1_11target_archE942ELNS1_3gpuE9ELNS1_3repE0EEENS1_30default_config_static_selectorELNS0_4arch9wavefront6targetE1EEEvT1_: ; @_ZN7rocprim17ROCPRIM_400000_NS6detail17trampoline_kernelINS0_14default_configENS1_20scan_config_selectorIjEEZZNS1_9scan_implILNS1_25lookback_scan_determinismE0ELb0ELb0ES3_N6thrust23THRUST_200600_302600_NS6detail15normal_iteratorINS9_10device_ptrIjEEEENSB_INSC_IfEEEEjNS9_4plusIvEEjEEDaPvRmT3_T4_T5_mT6_P12ihipStream_tbENKUlT_T0_E_clISt17integral_constantIbLb1EESV_IbLb0EEEEDaSR_SS_EUlSR_E_NS1_11comp_targetILNS1_3genE5ELNS1_11target_archE942ELNS1_3gpuE9ELNS1_3repE0EEENS1_30default_config_static_selectorELNS0_4arch9wavefront6targetE1EEEvT1_
; %bb.0:
	.section	.rodata,"a",@progbits
	.p2align	6, 0x0
	.amdhsa_kernel _ZN7rocprim17ROCPRIM_400000_NS6detail17trampoline_kernelINS0_14default_configENS1_20scan_config_selectorIjEEZZNS1_9scan_implILNS1_25lookback_scan_determinismE0ELb0ELb0ES3_N6thrust23THRUST_200600_302600_NS6detail15normal_iteratorINS9_10device_ptrIjEEEENSB_INSC_IfEEEEjNS9_4plusIvEEjEEDaPvRmT3_T4_T5_mT6_P12ihipStream_tbENKUlT_T0_E_clISt17integral_constantIbLb1EESV_IbLb0EEEEDaSR_SS_EUlSR_E_NS1_11comp_targetILNS1_3genE5ELNS1_11target_archE942ELNS1_3gpuE9ELNS1_3repE0EEENS1_30default_config_static_selectorELNS0_4arch9wavefront6targetE1EEEvT1_
		.amdhsa_group_segment_fixed_size 0
		.amdhsa_private_segment_fixed_size 0
		.amdhsa_kernarg_size 96
		.amdhsa_user_sgpr_count 6
		.amdhsa_user_sgpr_private_segment_buffer 1
		.amdhsa_user_sgpr_dispatch_ptr 0
		.amdhsa_user_sgpr_queue_ptr 0
		.amdhsa_user_sgpr_kernarg_segment_ptr 1
		.amdhsa_user_sgpr_dispatch_id 0
		.amdhsa_user_sgpr_flat_scratch_init 0
		.amdhsa_user_sgpr_kernarg_preload_length 0
		.amdhsa_user_sgpr_kernarg_preload_offset 0
		.amdhsa_user_sgpr_private_segment_size 0
		.amdhsa_uses_dynamic_stack 0
		.amdhsa_system_sgpr_private_segment_wavefront_offset 0
		.amdhsa_system_sgpr_workgroup_id_x 1
		.amdhsa_system_sgpr_workgroup_id_y 0
		.amdhsa_system_sgpr_workgroup_id_z 0
		.amdhsa_system_sgpr_workgroup_info 0
		.amdhsa_system_vgpr_workitem_id 0
		.amdhsa_next_free_vgpr 1
		.amdhsa_next_free_sgpr 0
		.amdhsa_accum_offset 4
		.amdhsa_reserve_vcc 0
		.amdhsa_reserve_flat_scratch 0
		.amdhsa_float_round_mode_32 0
		.amdhsa_float_round_mode_16_64 0
		.amdhsa_float_denorm_mode_32 3
		.amdhsa_float_denorm_mode_16_64 3
		.amdhsa_dx10_clamp 1
		.amdhsa_ieee_mode 1
		.amdhsa_fp16_overflow 0
		.amdhsa_tg_split 0
		.amdhsa_exception_fp_ieee_invalid_op 0
		.amdhsa_exception_fp_denorm_src 0
		.amdhsa_exception_fp_ieee_div_zero 0
		.amdhsa_exception_fp_ieee_overflow 0
		.amdhsa_exception_fp_ieee_underflow 0
		.amdhsa_exception_fp_ieee_inexact 0
		.amdhsa_exception_int_div_zero 0
	.end_amdhsa_kernel
	.section	.text._ZN7rocprim17ROCPRIM_400000_NS6detail17trampoline_kernelINS0_14default_configENS1_20scan_config_selectorIjEEZZNS1_9scan_implILNS1_25lookback_scan_determinismE0ELb0ELb0ES3_N6thrust23THRUST_200600_302600_NS6detail15normal_iteratorINS9_10device_ptrIjEEEENSB_INSC_IfEEEEjNS9_4plusIvEEjEEDaPvRmT3_T4_T5_mT6_P12ihipStream_tbENKUlT_T0_E_clISt17integral_constantIbLb1EESV_IbLb0EEEEDaSR_SS_EUlSR_E_NS1_11comp_targetILNS1_3genE5ELNS1_11target_archE942ELNS1_3gpuE9ELNS1_3repE0EEENS1_30default_config_static_selectorELNS0_4arch9wavefront6targetE1EEEvT1_,"axG",@progbits,_ZN7rocprim17ROCPRIM_400000_NS6detail17trampoline_kernelINS0_14default_configENS1_20scan_config_selectorIjEEZZNS1_9scan_implILNS1_25lookback_scan_determinismE0ELb0ELb0ES3_N6thrust23THRUST_200600_302600_NS6detail15normal_iteratorINS9_10device_ptrIjEEEENSB_INSC_IfEEEEjNS9_4plusIvEEjEEDaPvRmT3_T4_T5_mT6_P12ihipStream_tbENKUlT_T0_E_clISt17integral_constantIbLb1EESV_IbLb0EEEEDaSR_SS_EUlSR_E_NS1_11comp_targetILNS1_3genE5ELNS1_11target_archE942ELNS1_3gpuE9ELNS1_3repE0EEENS1_30default_config_static_selectorELNS0_4arch9wavefront6targetE1EEEvT1_,comdat
.Lfunc_end6052:
	.size	_ZN7rocprim17ROCPRIM_400000_NS6detail17trampoline_kernelINS0_14default_configENS1_20scan_config_selectorIjEEZZNS1_9scan_implILNS1_25lookback_scan_determinismE0ELb0ELb0ES3_N6thrust23THRUST_200600_302600_NS6detail15normal_iteratorINS9_10device_ptrIjEEEENSB_INSC_IfEEEEjNS9_4plusIvEEjEEDaPvRmT3_T4_T5_mT6_P12ihipStream_tbENKUlT_T0_E_clISt17integral_constantIbLb1EESV_IbLb0EEEEDaSR_SS_EUlSR_E_NS1_11comp_targetILNS1_3genE5ELNS1_11target_archE942ELNS1_3gpuE9ELNS1_3repE0EEENS1_30default_config_static_selectorELNS0_4arch9wavefront6targetE1EEEvT1_, .Lfunc_end6052-_ZN7rocprim17ROCPRIM_400000_NS6detail17trampoline_kernelINS0_14default_configENS1_20scan_config_selectorIjEEZZNS1_9scan_implILNS1_25lookback_scan_determinismE0ELb0ELb0ES3_N6thrust23THRUST_200600_302600_NS6detail15normal_iteratorINS9_10device_ptrIjEEEENSB_INSC_IfEEEEjNS9_4plusIvEEjEEDaPvRmT3_T4_T5_mT6_P12ihipStream_tbENKUlT_T0_E_clISt17integral_constantIbLb1EESV_IbLb0EEEEDaSR_SS_EUlSR_E_NS1_11comp_targetILNS1_3genE5ELNS1_11target_archE942ELNS1_3gpuE9ELNS1_3repE0EEENS1_30default_config_static_selectorELNS0_4arch9wavefront6targetE1EEEvT1_
                                        ; -- End function
	.section	.AMDGPU.csdata,"",@progbits
; Kernel info:
; codeLenInByte = 0
; NumSgprs: 4
; NumVgprs: 0
; NumAgprs: 0
; TotalNumVgprs: 0
; ScratchSize: 0
; MemoryBound: 0
; FloatMode: 240
; IeeeMode: 1
; LDSByteSize: 0 bytes/workgroup (compile time only)
; SGPRBlocks: 0
; VGPRBlocks: 0
; NumSGPRsForWavesPerEU: 4
; NumVGPRsForWavesPerEU: 1
; AccumOffset: 4
; Occupancy: 8
; WaveLimiterHint : 0
; COMPUTE_PGM_RSRC2:SCRATCH_EN: 0
; COMPUTE_PGM_RSRC2:USER_SGPR: 6
; COMPUTE_PGM_RSRC2:TRAP_HANDLER: 0
; COMPUTE_PGM_RSRC2:TGID_X_EN: 1
; COMPUTE_PGM_RSRC2:TGID_Y_EN: 0
; COMPUTE_PGM_RSRC2:TGID_Z_EN: 0
; COMPUTE_PGM_RSRC2:TIDIG_COMP_CNT: 0
; COMPUTE_PGM_RSRC3_GFX90A:ACCUM_OFFSET: 0
; COMPUTE_PGM_RSRC3_GFX90A:TG_SPLIT: 0
	.section	.text._ZN7rocprim17ROCPRIM_400000_NS6detail17trampoline_kernelINS0_14default_configENS1_20scan_config_selectorIjEEZZNS1_9scan_implILNS1_25lookback_scan_determinismE0ELb0ELb0ES3_N6thrust23THRUST_200600_302600_NS6detail15normal_iteratorINS9_10device_ptrIjEEEENSB_INSC_IfEEEEjNS9_4plusIvEEjEEDaPvRmT3_T4_T5_mT6_P12ihipStream_tbENKUlT_T0_E_clISt17integral_constantIbLb1EESV_IbLb0EEEEDaSR_SS_EUlSR_E_NS1_11comp_targetILNS1_3genE4ELNS1_11target_archE910ELNS1_3gpuE8ELNS1_3repE0EEENS1_30default_config_static_selectorELNS0_4arch9wavefront6targetE1EEEvT1_,"axG",@progbits,_ZN7rocprim17ROCPRIM_400000_NS6detail17trampoline_kernelINS0_14default_configENS1_20scan_config_selectorIjEEZZNS1_9scan_implILNS1_25lookback_scan_determinismE0ELb0ELb0ES3_N6thrust23THRUST_200600_302600_NS6detail15normal_iteratorINS9_10device_ptrIjEEEENSB_INSC_IfEEEEjNS9_4plusIvEEjEEDaPvRmT3_T4_T5_mT6_P12ihipStream_tbENKUlT_T0_E_clISt17integral_constantIbLb1EESV_IbLb0EEEEDaSR_SS_EUlSR_E_NS1_11comp_targetILNS1_3genE4ELNS1_11target_archE910ELNS1_3gpuE8ELNS1_3repE0EEENS1_30default_config_static_selectorELNS0_4arch9wavefront6targetE1EEEvT1_,comdat
	.protected	_ZN7rocprim17ROCPRIM_400000_NS6detail17trampoline_kernelINS0_14default_configENS1_20scan_config_selectorIjEEZZNS1_9scan_implILNS1_25lookback_scan_determinismE0ELb0ELb0ES3_N6thrust23THRUST_200600_302600_NS6detail15normal_iteratorINS9_10device_ptrIjEEEENSB_INSC_IfEEEEjNS9_4plusIvEEjEEDaPvRmT3_T4_T5_mT6_P12ihipStream_tbENKUlT_T0_E_clISt17integral_constantIbLb1EESV_IbLb0EEEEDaSR_SS_EUlSR_E_NS1_11comp_targetILNS1_3genE4ELNS1_11target_archE910ELNS1_3gpuE8ELNS1_3repE0EEENS1_30default_config_static_selectorELNS0_4arch9wavefront6targetE1EEEvT1_ ; -- Begin function _ZN7rocprim17ROCPRIM_400000_NS6detail17trampoline_kernelINS0_14default_configENS1_20scan_config_selectorIjEEZZNS1_9scan_implILNS1_25lookback_scan_determinismE0ELb0ELb0ES3_N6thrust23THRUST_200600_302600_NS6detail15normal_iteratorINS9_10device_ptrIjEEEENSB_INSC_IfEEEEjNS9_4plusIvEEjEEDaPvRmT3_T4_T5_mT6_P12ihipStream_tbENKUlT_T0_E_clISt17integral_constantIbLb1EESV_IbLb0EEEEDaSR_SS_EUlSR_E_NS1_11comp_targetILNS1_3genE4ELNS1_11target_archE910ELNS1_3gpuE8ELNS1_3repE0EEENS1_30default_config_static_selectorELNS0_4arch9wavefront6targetE1EEEvT1_
	.globl	_ZN7rocprim17ROCPRIM_400000_NS6detail17trampoline_kernelINS0_14default_configENS1_20scan_config_selectorIjEEZZNS1_9scan_implILNS1_25lookback_scan_determinismE0ELb0ELb0ES3_N6thrust23THRUST_200600_302600_NS6detail15normal_iteratorINS9_10device_ptrIjEEEENSB_INSC_IfEEEEjNS9_4plusIvEEjEEDaPvRmT3_T4_T5_mT6_P12ihipStream_tbENKUlT_T0_E_clISt17integral_constantIbLb1EESV_IbLb0EEEEDaSR_SS_EUlSR_E_NS1_11comp_targetILNS1_3genE4ELNS1_11target_archE910ELNS1_3gpuE8ELNS1_3repE0EEENS1_30default_config_static_selectorELNS0_4arch9wavefront6targetE1EEEvT1_
	.p2align	8
	.type	_ZN7rocprim17ROCPRIM_400000_NS6detail17trampoline_kernelINS0_14default_configENS1_20scan_config_selectorIjEEZZNS1_9scan_implILNS1_25lookback_scan_determinismE0ELb0ELb0ES3_N6thrust23THRUST_200600_302600_NS6detail15normal_iteratorINS9_10device_ptrIjEEEENSB_INSC_IfEEEEjNS9_4plusIvEEjEEDaPvRmT3_T4_T5_mT6_P12ihipStream_tbENKUlT_T0_E_clISt17integral_constantIbLb1EESV_IbLb0EEEEDaSR_SS_EUlSR_E_NS1_11comp_targetILNS1_3genE4ELNS1_11target_archE910ELNS1_3gpuE8ELNS1_3repE0EEENS1_30default_config_static_selectorELNS0_4arch9wavefront6targetE1EEEvT1_,@function
_ZN7rocprim17ROCPRIM_400000_NS6detail17trampoline_kernelINS0_14default_configENS1_20scan_config_selectorIjEEZZNS1_9scan_implILNS1_25lookback_scan_determinismE0ELb0ELb0ES3_N6thrust23THRUST_200600_302600_NS6detail15normal_iteratorINS9_10device_ptrIjEEEENSB_INSC_IfEEEEjNS9_4plusIvEEjEEDaPvRmT3_T4_T5_mT6_P12ihipStream_tbENKUlT_T0_E_clISt17integral_constantIbLb1EESV_IbLb0EEEEDaSR_SS_EUlSR_E_NS1_11comp_targetILNS1_3genE4ELNS1_11target_archE910ELNS1_3gpuE8ELNS1_3repE0EEENS1_30default_config_static_selectorELNS0_4arch9wavefront6targetE1EEEvT1_: ; @_ZN7rocprim17ROCPRIM_400000_NS6detail17trampoline_kernelINS0_14default_configENS1_20scan_config_selectorIjEEZZNS1_9scan_implILNS1_25lookback_scan_determinismE0ELb0ELb0ES3_N6thrust23THRUST_200600_302600_NS6detail15normal_iteratorINS9_10device_ptrIjEEEENSB_INSC_IfEEEEjNS9_4plusIvEEjEEDaPvRmT3_T4_T5_mT6_P12ihipStream_tbENKUlT_T0_E_clISt17integral_constantIbLb1EESV_IbLb0EEEEDaSR_SS_EUlSR_E_NS1_11comp_targetILNS1_3genE4ELNS1_11target_archE910ELNS1_3gpuE8ELNS1_3repE0EEENS1_30default_config_static_selectorELNS0_4arch9wavefront6targetE1EEEvT1_
; %bb.0:
	s_load_dwordx8 s[8:15], s[4:5], 0x0
	s_load_dword s1, s[4:5], 0x30
	s_mul_i32 s0, s6, 0x500
	v_lshlrev_b32_e32 v22, 2, v0
	s_waitcnt lgkmcnt(0)
	s_lshl_b64 s[16:17], s[10:11], 2
	s_add_u32 s2, s8, s16
	s_addc_u32 s3, s9, s17
	s_add_i32 s7, s1, -1
	s_mul_i32 s8, s7, 0x500
	s_sub_u32 s24, s14, s8
	s_subb_u32 s25, s15, 0
	s_mov_b32 s1, 0
	s_cmp_lg_u32 s6, s7
	s_cselect_b64 s[14:15], -1, 0
	s_lshl_b64 s[18:19], s[0:1], 2
	s_add_u32 s2, s2, s18
	s_addc_u32 s3, s3, s19
	s_mov_b64 s[0:1], -1
	s_and_b64 vcc, exec, s[14:15]
	s_cbranch_vccz .LBB6053_2
; %bb.1:
	v_mov_b32_e32 v1, s3
	v_add_co_u32_e32 v2, vcc, s2, v22
	v_addc_co_u32_e32 v3, vcc, 0, v1, vcc
	flat_load_dword v1, v[2:3]
	flat_load_dword v4, v[2:3] offset:512
	flat_load_dword v5, v[2:3] offset:1024
	;; [unrolled: 1-line block ×7, first 2 shown]
	v_add_co_u32_e32 v2, vcc, 0x1000, v2
	v_addc_co_u32_e32 v3, vcc, 0, v3, vcc
	flat_load_dword v11, v[2:3]
	flat_load_dword v12, v[2:3] offset:512
	s_mov_b64 s[0:1], 0
	s_waitcnt vmcnt(0) lgkmcnt(0)
	ds_write2st64_b32 v22, v1, v4 offset1:2
	ds_write2st64_b32 v22, v5, v6 offset0:4 offset1:6
	ds_write2st64_b32 v22, v7, v8 offset0:8 offset1:10
	;; [unrolled: 1-line block ×4, first 2 shown]
	s_waitcnt lgkmcnt(0)
	s_barrier
.LBB6053_2:
	s_load_dwordx2 s[20:21], s[4:5], 0x28
	s_andn2_b64 vcc, exec, s[0:1]
	v_cmp_gt_u32_e64 s[0:1], s24, v0
	s_cbranch_vccnz .LBB6053_24
; %bb.3:
	v_pk_mov_b32 v[2:3], s[2:3], s[2:3] op_sel:[0,1]
	flat_load_dword v1, v[2:3]
	s_waitcnt vmcnt(0) lgkmcnt(0)
	v_mov_b32_e32 v2, v1
	v_mov_b32_e32 v3, v1
	;; [unrolled: 1-line block ×9, first 2 shown]
	s_and_saveexec_b64 s[8:9], s[0:1]
	s_cbranch_execz .LBB6053_5
; %bb.4:
	v_mov_b32_e32 v11, s3
	v_add_co_u32_e32 v10, vcc, s2, v22
	v_addc_co_u32_e32 v11, vcc, 0, v11, vcc
	flat_load_dword v10, v[10:11]
.LBB6053_5:
	s_or_b64 exec, exec, s[8:9]
	v_or_b32_e32 v11, 0x80, v0
	v_cmp_gt_u32_e32 vcc, s24, v11
	s_and_saveexec_b64 s[0:1], vcc
	s_cbranch_execz .LBB6053_7
; %bb.6:
	v_mov_b32_e32 v1, s3
	v_add_co_u32_e32 v12, vcc, s2, v22
	v_addc_co_u32_e32 v13, vcc, 0, v1, vcc
	flat_load_dword v1, v[12:13] offset:512
.LBB6053_7:
	s_or_b64 exec, exec, s[0:1]
	v_or_b32_e32 v11, 0x100, v0
	v_cmp_gt_u32_e32 vcc, s24, v11
	s_and_saveexec_b64 s[0:1], vcc
	s_cbranch_execz .LBB6053_9
; %bb.8:
	v_mov_b32_e32 v2, s3
	v_add_co_u32_e32 v12, vcc, s2, v22
	v_addc_co_u32_e32 v13, vcc, 0, v2, vcc
	flat_load_dword v2, v[12:13] offset:1024
.LBB6053_9:
	;; [unrolled: 11-line block ×7, first 2 shown]
	s_or_b64 exec, exec, s[0:1]
	v_or_b32_e32 v11, 0x400, v0
	v_cmp_gt_u32_e32 vcc, s24, v11
	s_and_saveexec_b64 s[0:1], vcc
	s_cbranch_execz .LBB6053_21
; %bb.20:
	v_lshlrev_b32_e32 v8, 2, v11
	v_mov_b32_e32 v11, s3
	v_add_co_u32_e32 v12, vcc, s2, v8
	v_addc_co_u32_e32 v13, vcc, 0, v11, vcc
	flat_load_dword v8, v[12:13]
.LBB6053_21:
	s_or_b64 exec, exec, s[0:1]
	v_or_b32_e32 v11, 0x480, v0
	v_cmp_gt_u32_e32 vcc, s24, v11
	s_and_saveexec_b64 s[0:1], vcc
	s_cbranch_execz .LBB6053_23
; %bb.22:
	v_lshlrev_b32_e32 v9, 2, v11
	v_mov_b32_e32 v11, s3
	v_add_co_u32_e32 v12, vcc, s2, v9
	v_addc_co_u32_e32 v13, vcc, 0, v11, vcc
	flat_load_dword v9, v[12:13]
.LBB6053_23:
	s_or_b64 exec, exec, s[0:1]
	s_waitcnt vmcnt(0) lgkmcnt(0)
	ds_write2st64_b32 v22, v10, v1 offset1:2
	ds_write2st64_b32 v22, v2, v3 offset0:4 offset1:6
	ds_write2st64_b32 v22, v4, v5 offset0:8 offset1:10
	ds_write2st64_b32 v22, v6, v7 offset0:12 offset1:14
	ds_write2st64_b32 v22, v8, v9 offset0:16 offset1:18
	s_waitcnt lgkmcnt(0)
	s_barrier
.LBB6053_24:
	v_mul_u32_u24_e32 v23, 10, v0
	v_lshlrev_b32_e32 v1, 2, v23
	s_waitcnt lgkmcnt(0)
	ds_read2_b64 v[2:5], v1 offset1:1
	ds_read2_b64 v[16:19], v1 offset0:2 offset1:3
	ds_read_b64 v[20:21], v1 offset:32
	s_cmp_lg_u32 s6, 0
	v_lshrrev_b32_e32 v24, 5, v0
	v_cmp_gt_u32_e32 vcc, 64, v0
	s_waitcnt lgkmcnt(0)
	s_barrier
	s_cbranch_scc0 .LBB6053_53
; %bb.25:
	v_add_u32_e32 v6, v3, v2
	v_add3_u32 v6, v6, v4, v5
	v_add3_u32 v6, v6, v16, v17
	;; [unrolled: 1-line block ×4, first 2 shown]
	v_add_lshl_u32 v7, v24, v0, 2
	ds_write_b32 v7, v6
	s_waitcnt lgkmcnt(0)
	s_barrier
	s_and_saveexec_b64 s[2:3], vcc
	s_cbranch_execz .LBB6053_27
; %bb.26:
	v_lshlrev_b32_e32 v7, 1, v0
	v_lshrrev_b32_e32 v8, 4, v0
	v_add_lshl_u32 v7, v8, v7, 2
	ds_read2_b32 v[8:9], v7 offset1:1
	v_mbcnt_lo_u32_b32 v10, -1, 0
	v_mbcnt_hi_u32_b32 v10, -1, v10
	v_and_b32_e32 v11, 15, v10
	v_cmp_ne_u32_e64 s[0:1], 0, v11
	s_waitcnt lgkmcnt(0)
	v_add_u32_e32 v9, v9, v8
	; wave barrier
	s_nop 1
	v_mov_b32_dpp v12, v9 row_shr:1 row_mask:0xf bank_mask:0xf
	v_cndmask_b32_e64 v12, 0, v12, s[0:1]
	v_add_u32_e32 v9, v12, v9
	v_cmp_lt_u32_e64 s[0:1], 1, v11
	s_nop 0
	v_mov_b32_dpp v12, v9 row_shr:2 row_mask:0xf bank_mask:0xf
	v_cndmask_b32_e64 v12, 0, v12, s[0:1]
	v_add_u32_e32 v9, v9, v12
	v_cmp_lt_u32_e64 s[0:1], 3, v11
	;; [unrolled: 5-line block ×3, first 2 shown]
	s_nop 0
	v_mov_b32_dpp v12, v9 row_shr:8 row_mask:0xf bank_mask:0xf
	v_cndmask_b32_e64 v11, 0, v12, s[0:1]
	v_add_u32_e32 v9, v9, v11
	v_bfe_i32 v12, v10, 4, 1
	v_cmp_lt_u32_e64 s[0:1], 31, v10
	v_mov_b32_dpp v11, v9 row_bcast:15 row_mask:0xf bank_mask:0xf
	v_and_b32_e32 v11, v12, v11
	v_add_u32_e32 v9, v9, v11
	v_and_b32_e32 v12, 64, v10
	s_nop 0
	v_mov_b32_dpp v11, v9 row_bcast:31 row_mask:0xf bank_mask:0xf
	v_cndmask_b32_e64 v11, 0, v11, s[0:1]
	v_add_u32_e32 v9, v9, v11
	v_add_u32_e32 v11, -1, v10
	v_cmp_lt_i32_e64 s[0:1], v11, v12
	v_cndmask_b32_e64 v10, v11, v10, s[0:1]
	v_lshlrev_b32_e32 v10, 2, v10
	ds_bpermute_b32 v9, v10, v9
	v_cmp_eq_u32_e64 s[0:1], 0, v0
	s_waitcnt lgkmcnt(0)
	v_add_u32_e32 v8, v9, v8
	v_cndmask_b32_e64 v6, v8, v6, s[0:1]
	ds_write_b32 v7, v6
	; wave barrier
	ds_read_b32 v8, v7 offset:4
	s_waitcnt lgkmcnt(0)
	v_add_u32_e32 v6, v8, v6
	ds_write_b32 v7, v6 offset:4
.LBB6053_27:
	s_or_b64 exec, exec, s[2:3]
	v_cmp_eq_u32_e64 s[0:1], 0, v0
	v_cmp_ne_u32_e64 s[2:3], 0, v0
	v_mov_b32_e32 v25, 0
	s_waitcnt lgkmcnt(0)
	s_barrier
	s_and_saveexec_b64 s[8:9], s[2:3]
	s_cbranch_execz .LBB6053_29
; %bb.28:
	v_add_u32_e32 v6, -1, v0
	v_lshrrev_b32_e32 v7, 5, v6
	v_add_lshl_u32 v6, v7, v6, 2
	ds_read_b32 v25, v6
.LBB6053_29:
	s_or_b64 exec, exec, s[8:9]
	s_and_saveexec_b64 s[8:9], vcc
	s_cbranch_execz .LBB6053_52
; %bb.30:
	v_mov_b32_e32 v15, 0
	ds_read_b32 v6, v15 offset:520
	v_mbcnt_lo_u32_b32 v7, -1, 0
	v_mbcnt_hi_u32_b32 v9, -1, v7
	s_mov_b32 s23, 0
	v_cmp_eq_u32_e64 s[2:3], 0, v9
	s_and_saveexec_b64 s[10:11], s[2:3]
	s_cbranch_execz .LBB6053_32
; %bb.31:
	s_add_i32 s22, s6, 64
	s_lshl_b64 s[22:23], s[22:23], 3
	s_add_u32 s22, s20, s22
	v_mov_b32_e32 v7, 1
	s_addc_u32 s23, s21, s23
	s_waitcnt lgkmcnt(0)
	global_store_dwordx2 v15, v[6:7], s[22:23]
.LBB6053_32:
	s_or_b64 exec, exec, s[10:11]
	v_xad_u32 v8, v9, -1, s6
	v_add_u32_e32 v14, 64, v8
	v_lshlrev_b64 v[10:11], 3, v[14:15]
	v_mov_b32_e32 v7, s21
	v_add_co_u32_e32 v10, vcc, s20, v10
	v_addc_co_u32_e32 v11, vcc, v7, v11, vcc
	global_load_dwordx2 v[12:13], v[10:11], off glc
	s_waitcnt vmcnt(0)
	v_cmp_eq_u16_sdwa s[22:23], v13, v15 src0_sel:BYTE_0 src1_sel:DWORD
	s_and_saveexec_b64 s[10:11], s[22:23]
	s_cbranch_execz .LBB6053_38
; %bb.33:
	s_mov_b32 s7, 1
	s_mov_b64 s[22:23], 0
	v_mov_b32_e32 v7, 0
.LBB6053_34:                            ; =>This Loop Header: Depth=1
                                        ;     Child Loop BB6053_35 Depth 2
	s_max_u32 s26, s7, 1
.LBB6053_35:                            ;   Parent Loop BB6053_34 Depth=1
                                        ; =>  This Inner Loop Header: Depth=2
	s_add_i32 s26, s26, -1
	s_cmp_eq_u32 s26, 0
	s_sleep 1
	s_cbranch_scc0 .LBB6053_35
; %bb.36:                               ;   in Loop: Header=BB6053_34 Depth=1
	global_load_dwordx2 v[12:13], v[10:11], off glc
	s_cmp_lt_u32 s7, 32
	s_cselect_b64 s[26:27], -1, 0
	s_cmp_lg_u64 s[26:27], 0
	s_addc_u32 s7, s7, 0
	s_waitcnt vmcnt(0)
	v_cmp_ne_u16_sdwa s[26:27], v13, v7 src0_sel:BYTE_0 src1_sel:DWORD
	s_or_b64 s[22:23], s[26:27], s[22:23]
	s_andn2_b64 exec, exec, s[22:23]
	s_cbranch_execnz .LBB6053_34
; %bb.37:
	s_or_b64 exec, exec, s[22:23]
.LBB6053_38:
	s_or_b64 exec, exec, s[10:11]
	v_and_b32_e32 v26, 63, v9
	v_mov_b32_e32 v7, 2
	v_cmp_ne_u32_e32 vcc, 63, v26
	v_cmp_eq_u16_sdwa s[10:11], v13, v7 src0_sel:BYTE_0 src1_sel:DWORD
	v_lshlrev_b64 v[10:11], v9, -1
	v_addc_co_u32_e32 v27, vcc, 0, v9, vcc
	v_and_b32_e32 v14, s11, v11
	v_lshlrev_b32_e32 v27, 2, v27
	v_or_b32_e32 v14, 0x80000000, v14
	ds_bpermute_b32 v28, v27, v12
	v_and_b32_e32 v15, s10, v10
	v_ffbl_b32_e32 v14, v14
	v_add_u32_e32 v14, 32, v14
	v_ffbl_b32_e32 v15, v15
	v_min_u32_e32 v14, v15, v14
	v_cmp_lt_u32_e32 vcc, v26, v14
	s_waitcnt lgkmcnt(0)
	v_cndmask_b32_e32 v15, 0, v28, vcc
	v_cmp_gt_u32_e32 vcc, 62, v26
	v_add_u32_e32 v12, v15, v12
	v_cndmask_b32_e64 v15, 0, 1, vcc
	v_lshlrev_b32_e32 v15, 1, v15
	v_add_lshl_u32 v28, v15, v9, 2
	ds_bpermute_b32 v15, v28, v12
	v_add_u32_e32 v29, 2, v26
	v_cmp_le_u32_e32 vcc, v29, v14
	v_add_u32_e32 v31, 4, v26
	v_add_u32_e32 v33, 8, v26
	s_waitcnt lgkmcnt(0)
	v_cndmask_b32_e32 v15, 0, v15, vcc
	v_cmp_gt_u32_e32 vcc, 60, v26
	v_add_u32_e32 v12, v12, v15
	v_cndmask_b32_e64 v15, 0, 1, vcc
	v_lshlrev_b32_e32 v15, 2, v15
	v_add_lshl_u32 v30, v15, v9, 2
	ds_bpermute_b32 v15, v30, v12
	v_cmp_le_u32_e32 vcc, v31, v14
	v_add_u32_e32 v36, 16, v26
	v_add_u32_e32 v38, 32, v26
	s_waitcnt lgkmcnt(0)
	v_cndmask_b32_e32 v15, 0, v15, vcc
	v_cmp_gt_u32_e32 vcc, 56, v26
	v_add_u32_e32 v12, v12, v15
	v_cndmask_b32_e64 v15, 0, 1, vcc
	v_lshlrev_b32_e32 v15, 3, v15
	v_add_lshl_u32 v32, v15, v9, 2
	ds_bpermute_b32 v15, v32, v12
	v_cmp_le_u32_e32 vcc, v33, v14
	s_waitcnt lgkmcnt(0)
	v_cndmask_b32_e32 v15, 0, v15, vcc
	v_cmp_gt_u32_e32 vcc, 48, v26
	v_add_u32_e32 v12, v12, v15
	v_cndmask_b32_e64 v15, 0, 1, vcc
	v_lshlrev_b32_e32 v15, 4, v15
	v_add_lshl_u32 v35, v15, v9, 2
	ds_bpermute_b32 v15, v35, v12
	v_cmp_le_u32_e32 vcc, v36, v14
	;; [unrolled: 9-line block ×3, first 2 shown]
	s_waitcnt lgkmcnt(0)
	v_cndmask_b32_e32 v9, 0, v9, vcc
	v_add_u32_e32 v12, v12, v9
	v_mov_b32_e32 v9, 0
	s_branch .LBB6053_40
.LBB6053_39:                            ;   in Loop: Header=BB6053_40 Depth=1
	s_or_b64 exec, exec, s[10:11]
	v_cmp_eq_u16_sdwa s[10:11], v13, v7 src0_sel:BYTE_0 src1_sel:DWORD
	v_and_b32_e32 v14, s11, v11
	v_or_b32_e32 v14, 0x80000000, v14
	ds_bpermute_b32 v39, v27, v12
	v_and_b32_e32 v15, s10, v10
	v_ffbl_b32_e32 v14, v14
	v_add_u32_e32 v14, 32, v14
	v_ffbl_b32_e32 v15, v15
	v_min_u32_e32 v14, v15, v14
	v_cmp_lt_u32_e32 vcc, v26, v14
	s_waitcnt lgkmcnt(0)
	v_cndmask_b32_e32 v15, 0, v39, vcc
	v_add_u32_e32 v12, v15, v12
	ds_bpermute_b32 v15, v28, v12
	v_cmp_le_u32_e32 vcc, v29, v14
	v_subrev_u32_e32 v8, 64, v8
	s_waitcnt lgkmcnt(0)
	v_cndmask_b32_e32 v15, 0, v15, vcc
	v_add_u32_e32 v12, v12, v15
	ds_bpermute_b32 v15, v30, v12
	v_cmp_le_u32_e32 vcc, v31, v14
	s_waitcnt lgkmcnt(0)
	v_cndmask_b32_e32 v15, 0, v15, vcc
	v_add_u32_e32 v12, v12, v15
	ds_bpermute_b32 v15, v32, v12
	v_cmp_le_u32_e32 vcc, v33, v14
	;; [unrolled: 5-line block ×4, first 2 shown]
	s_waitcnt lgkmcnt(0)
	v_cndmask_b32_e32 v14, 0, v15, vcc
	v_add3_u32 v12, v14, v34, v12
.LBB6053_40:                            ; =>This Loop Header: Depth=1
                                        ;     Child Loop BB6053_43 Depth 2
                                        ;       Child Loop BB6053_44 Depth 3
	v_cmp_ne_u16_sdwa s[10:11], v13, v7 src0_sel:BYTE_0 src1_sel:DWORD
	v_cndmask_b32_e64 v13, 0, 1, s[10:11]
	;;#ASMSTART
	;;#ASMEND
	v_cmp_ne_u32_e32 vcc, 0, v13
	s_cmp_lg_u64 vcc, exec
	v_mov_b32_e32 v34, v12
	s_cbranch_scc1 .LBB6053_47
; %bb.41:                               ;   in Loop: Header=BB6053_40 Depth=1
	v_lshlrev_b64 v[12:13], 3, v[8:9]
	v_mov_b32_e32 v15, s21
	v_add_co_u32_e32 v14, vcc, s20, v12
	v_addc_co_u32_e32 v15, vcc, v15, v13, vcc
	global_load_dwordx2 v[12:13], v[14:15], off glc
	s_waitcnt vmcnt(0)
	v_cmp_eq_u16_sdwa s[22:23], v13, v9 src0_sel:BYTE_0 src1_sel:DWORD
	s_and_saveexec_b64 s[10:11], s[22:23]
	s_cbranch_execz .LBB6053_39
; %bb.42:                               ;   in Loop: Header=BB6053_40 Depth=1
	s_mov_b32 s7, 1
	s_mov_b64 s[22:23], 0
.LBB6053_43:                            ;   Parent Loop BB6053_40 Depth=1
                                        ; =>  This Loop Header: Depth=2
                                        ;       Child Loop BB6053_44 Depth 3
	s_max_u32 s26, s7, 1
.LBB6053_44:                            ;   Parent Loop BB6053_40 Depth=1
                                        ;     Parent Loop BB6053_43 Depth=2
                                        ; =>    This Inner Loop Header: Depth=3
	s_add_i32 s26, s26, -1
	s_cmp_eq_u32 s26, 0
	s_sleep 1
	s_cbranch_scc0 .LBB6053_44
; %bb.45:                               ;   in Loop: Header=BB6053_43 Depth=2
	global_load_dwordx2 v[12:13], v[14:15], off glc
	s_cmp_lt_u32 s7, 32
	s_cselect_b64 s[26:27], -1, 0
	s_cmp_lg_u64 s[26:27], 0
	s_addc_u32 s7, s7, 0
	s_waitcnt vmcnt(0)
	v_cmp_ne_u16_sdwa s[26:27], v13, v9 src0_sel:BYTE_0 src1_sel:DWORD
	s_or_b64 s[22:23], s[26:27], s[22:23]
	s_andn2_b64 exec, exec, s[22:23]
	s_cbranch_execnz .LBB6053_43
; %bb.46:                               ;   in Loop: Header=BB6053_40 Depth=1
	s_or_b64 exec, exec, s[22:23]
	s_branch .LBB6053_39
.LBB6053_47:                            ;   in Loop: Header=BB6053_40 Depth=1
                                        ; implicit-def: $vgpr12
                                        ; implicit-def: $vgpr13
	s_cbranch_execz .LBB6053_40
; %bb.48:
	s_and_saveexec_b64 s[10:11], s[2:3]
	s_cbranch_execz .LBB6053_50
; %bb.49:
	s_add_i32 s2, s6, 64
	s_mov_b32 s3, 0
	s_lshl_b64 s[2:3], s[2:3], 3
	s_add_u32 s2, s20, s2
	v_add_u32_e32 v6, v34, v6
	v_mov_b32_e32 v7, 2
	s_addc_u32 s3, s21, s3
	v_mov_b32_e32 v8, 0
	global_store_dwordx2 v8, v[6:7], s[2:3]
.LBB6053_50:
	s_or_b64 exec, exec, s[10:11]
	s_and_b64 exec, exec, s[0:1]
	s_cbranch_execz .LBB6053_52
; %bb.51:
	v_mov_b32_e32 v6, 0
	ds_write_b32 v6, v34
.LBB6053_52:
	s_or_b64 exec, exec, s[8:9]
	v_mov_b32_e32 v6, 0
	s_waitcnt lgkmcnt(0)
	s_barrier
	ds_read_b32 v6, v6
	s_waitcnt lgkmcnt(0)
	v_add3_u32 v6, v25, v2, v6
	v_add_u32_e32 v7, v6, v3
	v_add_u32_e32 v8, v7, v4
	;; [unrolled: 1-line block ×9, first 2 shown]
	s_load_dwordx8 s[4:11], s[4:5], 0x38
	s_branch .LBB6053_65
.LBB6053_53:
                                        ; implicit-def: $vgpr6_vgpr7_vgpr8_vgpr9_vgpr10_vgpr11_vgpr12_vgpr13_vgpr14_vgpr15
	s_load_dwordx8 s[4:11], s[4:5], 0x38
	s_cbranch_execz .LBB6053_65
; %bb.54:
	s_waitcnt lgkmcnt(0)
	s_cmp_lg_u64 s[8:9], 0
	s_cselect_b64 s[2:3], -1, 0
	v_cmp_eq_u32_e64 s[0:1], 0, v0
	v_cmp_ne_u32_e32 vcc, 0, v0
	s_and_b64 s[8:9], s[0:1], s[2:3]
	v_mov_b32_e32 v12, v3
	v_mov_b32_e32 v13, v4
	;; [unrolled: 1-line block ×3, first 2 shown]
	s_and_saveexec_b64 s[2:3], s[8:9]
	s_cbranch_execz .LBB6053_56
; %bb.55:
	v_mov_b32_e32 v6, 0
	global_load_dword v6, v6, s[4:5]
	v_mov_b32_e32 v12, v3
	v_mov_b32_e32 v13, v4
	;; [unrolled: 1-line block ×3, first 2 shown]
	s_waitcnt vmcnt(0)
	v_add_u32_e32 v2, v6, v2
.LBB6053_56:
	s_or_b64 exec, exec, s[2:3]
	v_add_u32_e32 v3, v12, v2
	v_add_u32_e32 v4, v3, v13
	;; [unrolled: 1-line block ×9, first 2 shown]
	v_add_lshl_u32 v15, v24, v0, 2
	v_cmp_gt_u32_e64 s[2:3], 64, v0
	ds_write_b32 v15, v11
	s_waitcnt lgkmcnt(0)
	s_barrier
	s_and_saveexec_b64 s[4:5], s[2:3]
	s_cbranch_execz .LBB6053_58
; %bb.57:
	v_lshlrev_b32_e32 v15, 1, v0
	v_lshrrev_b32_e32 v24, 4, v0
	v_add_lshl_u32 v15, v24, v15, 2
	ds_read2_b32 v[24:25], v15 offset1:1
	v_mbcnt_lo_u32_b32 v26, -1, 0
	v_mbcnt_hi_u32_b32 v26, -1, v26
	v_and_b32_e32 v27, 15, v26
	v_cmp_ne_u32_e64 s[2:3], 0, v27
	s_waitcnt lgkmcnt(0)
	v_add_u32_e32 v25, v25, v24
	; wave barrier
	s_nop 1
	v_mov_b32_dpp v28, v25 row_shr:1 row_mask:0xf bank_mask:0xf
	v_cndmask_b32_e64 v28, 0, v28, s[2:3]
	v_add_u32_e32 v25, v28, v25
	v_cmp_lt_u32_e64 s[2:3], 1, v27
	s_nop 0
	v_mov_b32_dpp v28, v25 row_shr:2 row_mask:0xf bank_mask:0xf
	v_cndmask_b32_e64 v28, 0, v28, s[2:3]
	v_add_u32_e32 v25, v25, v28
	v_cmp_lt_u32_e64 s[2:3], 3, v27
	s_nop 0
	v_mov_b32_dpp v28, v25 row_shr:4 row_mask:0xf bank_mask:0xf
	v_cndmask_b32_e64 v28, 0, v28, s[2:3]
	v_add_u32_e32 v25, v25, v28
	v_cmp_lt_u32_e64 s[2:3], 7, v27
	s_nop 0
	v_mov_b32_dpp v28, v25 row_shr:8 row_mask:0xf bank_mask:0xf
	v_cndmask_b32_e64 v27, 0, v28, s[2:3]
	v_add_u32_e32 v25, v25, v27
	v_bfe_i32 v28, v26, 4, 1
	v_cmp_lt_u32_e64 s[2:3], 31, v26
	v_mov_b32_dpp v27, v25 row_bcast:15 row_mask:0xf bank_mask:0xf
	v_and_b32_e32 v27, v28, v27
	v_add_u32_e32 v25, v25, v27
	v_and_b32_e32 v28, 64, v26
	s_nop 0
	v_mov_b32_dpp v27, v25 row_bcast:31 row_mask:0xf bank_mask:0xf
	v_cndmask_b32_e64 v27, 0, v27, s[2:3]
	v_add_u32_e32 v25, v25, v27
	v_add_u32_e32 v27, -1, v26
	v_cmp_lt_i32_e64 s[2:3], v27, v28
	v_cndmask_b32_e64 v26, v27, v26, s[2:3]
	v_lshlrev_b32_e32 v26, 2, v26
	ds_bpermute_b32 v25, v26, v25
	s_waitcnt lgkmcnt(0)
	v_add_u32_e32 v24, v25, v24
	v_cndmask_b32_e64 v24, v24, v11, s[0:1]
	ds_write_b32 v15, v24
	; wave barrier
	ds_read_b32 v25, v15 offset:4
	s_waitcnt lgkmcnt(0)
	v_add_u32_e32 v24, v25, v24
	ds_write_b32 v15, v24 offset:4
.LBB6053_58:
	s_or_b64 exec, exec, s[4:5]
	v_mov_b32_e32 v15, v11
	s_waitcnt lgkmcnt(0)
	s_barrier
	s_and_saveexec_b64 s[0:1], vcc
	s_cbranch_execz .LBB6053_60
; %bb.59:
	v_add_u32_e32 v15, -1, v0
	v_lshrrev_b32_e32 v24, 5, v15
	v_add_lshl_u32 v15, v24, v15, 2
	ds_read_b32 v15, v15
.LBB6053_60:
	s_or_b64 exec, exec, s[0:1]
	s_and_saveexec_b64 s[0:1], vcc
	s_cbranch_execz .LBB6053_62
; %bb.61:
	s_waitcnt lgkmcnt(0)
	v_add_u32_e32 v2, v15, v2
	v_add_u32_e32 v3, v2, v12
	;; [unrolled: 1-line block ×10, first 2 shown]
	;;#ASMSTART
	;;#ASMEND
.LBB6053_62:
	s_or_b64 exec, exec, s[0:1]
	s_movk_i32 s0, 0x7f
	v_cmp_eq_u32_e32 vcc, s0, v0
	s_and_saveexec_b64 s[0:1], vcc
	s_cbranch_execz .LBB6053_64
; %bb.63:
	v_mov_b32_e32 v14, 0
	v_mov_b32_e32 v13, 2
	;; [unrolled: 1-line block ×3, first 2 shown]
	global_store_dwordx2 v14, v[12:13], s[20:21] offset:512
.LBB6053_64:
	s_or_b64 exec, exec, s[0:1]
	s_waitcnt lgkmcnt(0)
	v_pk_mov_b32 v[14:15], v[10:11], v[10:11] op_sel:[0,1]
	v_pk_mov_b32 v[12:13], v[8:9], v[8:9] op_sel:[0,1]
	;; [unrolled: 1-line block ×5, first 2 shown]
.LBB6053_65:
	s_add_u32 s0, s12, s16
	s_addc_u32 s1, s13, s17
	s_add_u32 s2, s0, s18
	s_addc_u32 s3, s1, s19
	s_mov_b64 s[0:1], -1
	s_and_b64 vcc, exec, s[14:15]
	s_waitcnt lgkmcnt(0)
	s_barrier
	s_cbranch_vccz .LBB6053_67
; %bb.66:
	ds_write2_b64 v1, v[6:7], v[8:9] offset1:1
	ds_write2_b64 v1, v[10:11], v[12:13] offset0:2 offset1:3
	ds_write_b64 v1, v[14:15] offset:32
	s_waitcnt lgkmcnt(0)
	s_barrier
	ds_read2st64_b32 v[2:3], v22 offset1:2
	ds_read2st64_b32 v[4:5], v22 offset0:4 offset1:6
	ds_read2st64_b32 v[16:17], v22 offset0:8 offset1:10
	;; [unrolled: 1-line block ×4, first 2 shown]
	s_waitcnt lgkmcnt(4)
	v_cvt_f32_u32_e32 v2, v2
	v_cvt_f32_u32_e32 v3, v3
	v_mov_b32_e32 v25, s3
	v_add_co_u32_e32 v24, vcc, s2, v22
	s_waitcnt lgkmcnt(3)
	v_cvt_f32_u32_e32 v4, v4
	v_addc_co_u32_e32 v25, vcc, 0, v25, vcc
	v_cvt_f32_u32_e32 v5, v5
	flat_store_dword v[24:25], v2
	flat_store_dword v[24:25], v3 offset:512
	flat_store_dword v[24:25], v4 offset:1024
	;; [unrolled: 1-line block ×3, first 2 shown]
	s_waitcnt lgkmcnt(0)
	v_cvt_f32_u32_e32 v2, v16
	v_cvt_f32_u32_e32 v3, v17
	;; [unrolled: 1-line block ×4, first 2 shown]
	flat_store_dword v[24:25], v2 offset:2048
	flat_store_dword v[24:25], v3 offset:2560
	;; [unrolled: 1-line block ×4, first 2 shown]
	v_cvt_f32_u32_e32 v4, v20
	v_cvt_f32_u32_e32 v5, v21
	v_add_co_u32_e32 v2, vcc, 0x1000, v24
	v_addc_co_u32_e32 v3, vcc, 0, v25, vcc
	flat_store_dword v[2:3], v4
	flat_store_dword v[2:3], v5 offset:512
	s_mov_b64 s[0:1], 0
.LBB6053_67:
	s_andn2_b64 vcc, exec, s[0:1]
	s_cbranch_vccnz .LBB6053_123
; %bb.68:
	ds_write2_b64 v1, v[6:7], v[8:9] offset1:1
	ds_write2_b64 v1, v[10:11], v[12:13] offset0:2 offset1:3
	ds_write_b64 v1, v[14:15] offset:32
	s_waitcnt lgkmcnt(0)
	s_barrier
	ds_read2st64_b32 v[2:3], v22 offset1:2
	ds_read2st64_b32 v[6:7], v22 offset0:4 offset1:6
	ds_read2st64_b32 v[4:5], v22 offset0:8 offset1:10
	;; [unrolled: 1-line block ×4, first 2 shown]
	v_mov_b32_e32 v13, s3
	v_add_co_u32_e32 v12, vcc, s2, v22
	v_addc_co_u32_e32 v13, vcc, 0, v13, vcc
	v_mov_b32_e32 v1, 0
	v_cmp_gt_u32_e32 vcc, s24, v0
	s_and_saveexec_b64 s[0:1], vcc
	s_cbranch_execz .LBB6053_70
; %bb.69:
	s_waitcnt lgkmcnt(0)
	v_cvt_f32_u32_e32 v14, v2
	flat_store_dword v[12:13], v14
.LBB6053_70:
	s_or_b64 exec, exec, s[0:1]
	v_or_b32_e32 v14, 0x80, v0
	v_cmp_gt_u32_e32 vcc, s24, v14
	s_and_saveexec_b64 s[0:1], vcc
	s_cbranch_execz .LBB6053_72
; %bb.71:
	s_waitcnt lgkmcnt(0)
	v_cvt_f32_u32_e32 v14, v3
	flat_store_dword v[12:13], v14 offset:512
.LBB6053_72:
	s_or_b64 exec, exec, s[0:1]
	v_or_b32_e32 v14, 0x100, v0
	v_cmp_gt_u32_e32 vcc, s24, v14
	s_and_saveexec_b64 s[0:1], vcc
	s_cbranch_execz .LBB6053_74
; %bb.73:
	s_waitcnt lgkmcnt(0)
	v_cvt_f32_u32_e32 v14, v6
	flat_store_dword v[12:13], v14 offset:1024
.LBB6053_74:
	;; [unrolled: 10-line block ×7, first 2 shown]
	s_or_b64 exec, exec, s[0:1]
	v_or_b32_e32 v14, 0x400, v0
	v_cmp_gt_u32_e32 vcc, s24, v14
	s_and_saveexec_b64 s[0:1], vcc
	s_cbranch_execz .LBB6053_86
; %bb.85:
	s_waitcnt lgkmcnt(0)
	v_cvt_f32_u32_e32 v16, v10
	v_add_co_u32_e32 v14, vcc, 0x1000, v12
	v_addc_co_u32_e32 v15, vcc, 0, v13, vcc
	flat_store_dword v[14:15], v16
.LBB6053_86:
	s_or_b64 exec, exec, s[0:1]
	v_or_b32_e32 v14, 0x480, v0
	v_cmp_gt_u32_e32 vcc, s24, v14
	s_and_saveexec_b64 s[0:1], vcc
	s_cbranch_execz .LBB6053_88
; %bb.87:
	s_waitcnt lgkmcnt(0)
	v_cvt_f32_u32_e32 v14, v11
	v_add_co_u32_e32 v12, vcc, 0x1000, v12
	v_addc_co_u32_e32 v13, vcc, 0, v13, vcc
	flat_store_dword v[12:13], v14 offset:512
.LBB6053_88:
	s_or_b64 exec, exec, s[0:1]
	v_cmp_lt_u64_e64 s[0:1], s[10:11], 2
	s_and_b64 vcc, exec, s[0:1]
	s_cbranch_vccnz .LBB6053_123
; %bb.89:
	s_add_u32 s0, s24, -1
	s_addc_u32 s1, s25, -1
	s_add_u32 s2, 0, 0x99986000
	s_addc_u32 s3, 0, 0x59
	s_add_i32 s3, s3, 0x19999940
	s_mul_hi_u32 s9, s2, -10
	s_sub_i32 s9, s9, s2
	s_mul_i32 s10, s3, -10
	s_mul_i32 s4, s2, -10
	s_add_i32 s9, s9, s10
	s_mul_hi_u32 s5, s3, s4
	s_mul_i32 s8, s3, s4
	s_mul_i32 s11, s2, s9
	s_mul_hi_u32 s4, s2, s4
	s_mul_hi_u32 s10, s2, s9
	s_add_u32 s4, s4, s11
	s_addc_u32 s10, 0, s10
	s_add_u32 s4, s4, s8
	s_mul_hi_u32 s11, s3, s9
	s_addc_u32 s4, s10, s5
	s_addc_u32 s5, s11, 0
	s_mul_i32 s8, s3, s9
	s_add_u32 s4, s4, s8
	v_mov_b32_e32 v12, s4
	s_addc_u32 s5, 0, s5
	v_add_co_u32_e32 v12, vcc, s2, v12
	s_cmp_lg_u64 vcc, 0
	s_addc_u32 s2, s3, s5
	v_readfirstlane_b32 s5, v12
	s_mul_i32 s4, s0, s2
	s_mul_hi_u32 s8, s0, s5
	s_mul_hi_u32 s3, s0, s2
	s_add_u32 s4, s8, s4
	s_addc_u32 s3, 0, s3
	s_mul_hi_u32 s9, s1, s5
	s_mul_i32 s5, s1, s5
	s_add_u32 s4, s4, s5
	s_mul_hi_u32 s8, s1, s2
	s_addc_u32 s3, s3, s9
	s_addc_u32 s4, s8, 0
	s_mul_i32 s2, s1, s2
	s_add_u32 s2, s3, s2
	s_addc_u32 s3, 0, s4
	s_add_u32 s4, s2, 1
	s_addc_u32 s5, s3, 0
	s_add_u32 s8, s2, 2
	s_mul_i32 s10, s3, 10
	s_mul_hi_u32 s11, s2, 10
	s_addc_u32 s9, s3, 0
	s_add_i32 s11, s11, s10
	s_mul_i32 s10, s2, 10
	v_mov_b32_e32 v12, s10
	v_sub_co_u32_e32 v12, vcc, s0, v12
	s_cmp_lg_u64 vcc, 0
	s_subb_u32 s10, s1, s11
	v_subrev_co_u32_e32 v13, vcc, 10, v12
	s_cmp_lg_u64 vcc, 0
	s_subb_u32 s11, s10, 0
	v_readfirstlane_b32 s12, v13
	s_cmp_gt_u32 s12, 9
	s_cselect_b32 s12, -1, 0
	s_cmp_eq_u32 s11, 0
	s_cselect_b32 s11, s12, -1
	s_cmp_lg_u32 s11, 0
	s_cselect_b32 s4, s8, s4
	v_readfirstlane_b32 s8, v12
	s_cselect_b32 s5, s9, s5
	s_cmp_gt_u32 s8, 9
	s_cselect_b32 s8, -1, 0
	s_cmp_eq_u32 s10, 0
	s_cselect_b32 s8, s8, -1
	s_cmp_lg_u32 s8, 0
	s_cselect_b32 s3, s5, s3
	s_cselect_b32 s2, s4, s2
	v_cmp_eq_u64_e32 vcc, s[2:3], v[0:1]
	s_and_saveexec_b64 s[2:3], vcc
	s_cbranch_execz .LBB6053_123
; %bb.90:
	v_mul_hi_u32_u24_e32 v1, 10, v0
	v_mov_b32_e32 v12, s1
	v_sub_co_u32_e32 v0, vcc, s0, v23
	v_subb_co_u32_e32 v1, vcc, v12, v1, vcc
	v_cmp_lt_i64_e32 vcc, 4, v[0:1]
	s_and_saveexec_b64 s[0:1], vcc
	s_xor_b64 s[0:1], exec, s[0:1]
	s_cbranch_execz .LBB6053_108
; %bb.91:
	v_cmp_lt_i64_e32 vcc, 6, v[0:1]
	s_and_saveexec_b64 s[2:3], vcc
	s_xor_b64 s[2:3], exec, s[2:3]
	s_cbranch_execz .LBB6053_101
; %bb.92:
	;; [unrolled: 5-line block ×4, first 2 shown]
	v_mov_b32_e32 v0, 0
	s_waitcnt lgkmcnt(0)
	global_store_dword v0, v11, s[6:7]
                                        ; implicit-def: $vgpr10_vgpr11
.LBB6053_95:
	s_andn2_saveexec_b64 s[8:9], s[8:9]
	s_cbranch_execz .LBB6053_97
; %bb.96:
	v_mov_b32_e32 v0, 0
	s_waitcnt lgkmcnt(0)
	global_store_dword v0, v10, s[6:7]
.LBB6053_97:
	s_or_b64 exec, exec, s[8:9]
                                        ; implicit-def: $vgpr8_vgpr9
.LBB6053_98:
	s_andn2_saveexec_b64 s[4:5], s[4:5]
	s_cbranch_execz .LBB6053_100
; %bb.99:
	v_mov_b32_e32 v0, 0
	s_waitcnt lgkmcnt(0)
	global_store_dword v0, v9, s[6:7]
.LBB6053_100:
	s_or_b64 exec, exec, s[4:5]
                                        ; implicit-def: $vgpr4_vgpr5
                                        ; implicit-def: $vgpr0_vgpr1
                                        ; implicit-def: $vgpr8_vgpr9
.LBB6053_101:
	s_andn2_saveexec_b64 s[2:3], s[2:3]
	s_cbranch_execz .LBB6053_107
; %bb.102:
	v_cmp_lt_i64_e32 vcc, 5, v[0:1]
	s_and_saveexec_b64 s[4:5], vcc
	s_xor_b64 s[4:5], exec, s[4:5]
	s_cbranch_execz .LBB6053_104
; %bb.103:
	v_mov_b32_e32 v0, 0
	s_waitcnt lgkmcnt(0)
	global_store_dword v0, v8, s[6:7]
                                        ; implicit-def: $vgpr4_vgpr5
.LBB6053_104:
	s_andn2_saveexec_b64 s[4:5], s[4:5]
	s_cbranch_execz .LBB6053_106
; %bb.105:
	v_mov_b32_e32 v0, 0
	s_waitcnt lgkmcnt(0)
	global_store_dword v0, v5, s[6:7]
.LBB6053_106:
	s_or_b64 exec, exec, s[4:5]
.LBB6053_107:
	s_or_b64 exec, exec, s[2:3]
                                        ; implicit-def: $vgpr0_vgpr1
                                        ; implicit-def: $vgpr6_vgpr7
                                        ; implicit-def: $vgpr2_vgpr3
                                        ; implicit-def: $vgpr4_vgpr5
.LBB6053_108:
	s_andn2_saveexec_b64 s[0:1], s[0:1]
	s_cbranch_execz .LBB6053_123
; %bb.109:
	v_cmp_lt_i64_e32 vcc, 2, v[0:1]
	s_and_saveexec_b64 s[0:1], vcc
	s_xor_b64 s[0:1], exec, s[0:1]
	s_cbranch_execz .LBB6053_115
; %bb.110:
	v_cmp_lt_i64_e32 vcc, 3, v[0:1]
	s_and_saveexec_b64 s[2:3], vcc
	s_xor_b64 s[2:3], exec, s[2:3]
	s_cbranch_execz .LBB6053_112
; %bb.111:
	v_mov_b32_e32 v0, 0
	s_waitcnt lgkmcnt(0)
	global_store_dword v0, v4, s[6:7]
                                        ; implicit-def: $vgpr6_vgpr7
.LBB6053_112:
	s_andn2_saveexec_b64 s[2:3], s[2:3]
	s_cbranch_execz .LBB6053_114
; %bb.113:
	v_mov_b32_e32 v0, 0
	s_waitcnt lgkmcnt(0)
	global_store_dword v0, v7, s[6:7]
.LBB6053_114:
	s_or_b64 exec, exec, s[2:3]
                                        ; implicit-def: $vgpr0_vgpr1
                                        ; implicit-def: $vgpr6_vgpr7
                                        ; implicit-def: $vgpr2_vgpr3
.LBB6053_115:
	s_andn2_saveexec_b64 s[0:1], s[0:1]
	s_cbranch_execz .LBB6053_123
; %bb.116:
	v_cmp_lt_i64_e32 vcc, 1, v[0:1]
	s_and_saveexec_b64 s[0:1], vcc
	s_xor_b64 s[0:1], exec, s[0:1]
	s_cbranch_execz .LBB6053_118
; %bb.117:
	v_mov_b32_e32 v0, 0
	s_waitcnt lgkmcnt(0)
	global_store_dword v0, v6, s[6:7]
                                        ; implicit-def: $vgpr2_vgpr3
                                        ; implicit-def: $vgpr0_vgpr1
.LBB6053_118:
	s_andn2_saveexec_b64 s[0:1], s[0:1]
	s_cbranch_execz .LBB6053_123
; %bb.119:
	v_cmp_ne_u64_e32 vcc, 1, v[0:1]
	s_and_saveexec_b64 s[0:1], vcc
	s_xor_b64 s[0:1], exec, s[0:1]
	s_cbranch_execz .LBB6053_121
; %bb.120:
	v_mov_b32_e32 v0, 0
	s_waitcnt lgkmcnt(0)
	global_store_dword v0, v2, s[6:7]
                                        ; implicit-def: $vgpr2_vgpr3
.LBB6053_121:
	s_andn2_saveexec_b64 s[0:1], s[0:1]
	s_cbranch_execz .LBB6053_123
; %bb.122:
	v_mov_b32_e32 v0, 0
	s_waitcnt lgkmcnt(0)
	global_store_dword v0, v3, s[6:7]
.LBB6053_123:
	s_endpgm
	.section	.rodata,"a",@progbits
	.p2align	6, 0x0
	.amdhsa_kernel _ZN7rocprim17ROCPRIM_400000_NS6detail17trampoline_kernelINS0_14default_configENS1_20scan_config_selectorIjEEZZNS1_9scan_implILNS1_25lookback_scan_determinismE0ELb0ELb0ES3_N6thrust23THRUST_200600_302600_NS6detail15normal_iteratorINS9_10device_ptrIjEEEENSB_INSC_IfEEEEjNS9_4plusIvEEjEEDaPvRmT3_T4_T5_mT6_P12ihipStream_tbENKUlT_T0_E_clISt17integral_constantIbLb1EESV_IbLb0EEEEDaSR_SS_EUlSR_E_NS1_11comp_targetILNS1_3genE4ELNS1_11target_archE910ELNS1_3gpuE8ELNS1_3repE0EEENS1_30default_config_static_selectorELNS0_4arch9wavefront6targetE1EEEvT1_
		.amdhsa_group_segment_fixed_size 5120
		.amdhsa_private_segment_fixed_size 0
		.amdhsa_kernarg_size 96
		.amdhsa_user_sgpr_count 6
		.amdhsa_user_sgpr_private_segment_buffer 1
		.amdhsa_user_sgpr_dispatch_ptr 0
		.amdhsa_user_sgpr_queue_ptr 0
		.amdhsa_user_sgpr_kernarg_segment_ptr 1
		.amdhsa_user_sgpr_dispatch_id 0
		.amdhsa_user_sgpr_flat_scratch_init 0
		.amdhsa_user_sgpr_kernarg_preload_length 0
		.amdhsa_user_sgpr_kernarg_preload_offset 0
		.amdhsa_user_sgpr_private_segment_size 0
		.amdhsa_uses_dynamic_stack 0
		.amdhsa_system_sgpr_private_segment_wavefront_offset 0
		.amdhsa_system_sgpr_workgroup_id_x 1
		.amdhsa_system_sgpr_workgroup_id_y 0
		.amdhsa_system_sgpr_workgroup_id_z 0
		.amdhsa_system_sgpr_workgroup_info 0
		.amdhsa_system_vgpr_workitem_id 0
		.amdhsa_next_free_vgpr 40
		.amdhsa_next_free_sgpr 28
		.amdhsa_accum_offset 40
		.amdhsa_reserve_vcc 1
		.amdhsa_reserve_flat_scratch 0
		.amdhsa_float_round_mode_32 0
		.amdhsa_float_round_mode_16_64 0
		.amdhsa_float_denorm_mode_32 3
		.amdhsa_float_denorm_mode_16_64 3
		.amdhsa_dx10_clamp 1
		.amdhsa_ieee_mode 1
		.amdhsa_fp16_overflow 0
		.amdhsa_tg_split 0
		.amdhsa_exception_fp_ieee_invalid_op 0
		.amdhsa_exception_fp_denorm_src 0
		.amdhsa_exception_fp_ieee_div_zero 0
		.amdhsa_exception_fp_ieee_overflow 0
		.amdhsa_exception_fp_ieee_underflow 0
		.amdhsa_exception_fp_ieee_inexact 0
		.amdhsa_exception_int_div_zero 0
	.end_amdhsa_kernel
	.section	.text._ZN7rocprim17ROCPRIM_400000_NS6detail17trampoline_kernelINS0_14default_configENS1_20scan_config_selectorIjEEZZNS1_9scan_implILNS1_25lookback_scan_determinismE0ELb0ELb0ES3_N6thrust23THRUST_200600_302600_NS6detail15normal_iteratorINS9_10device_ptrIjEEEENSB_INSC_IfEEEEjNS9_4plusIvEEjEEDaPvRmT3_T4_T5_mT6_P12ihipStream_tbENKUlT_T0_E_clISt17integral_constantIbLb1EESV_IbLb0EEEEDaSR_SS_EUlSR_E_NS1_11comp_targetILNS1_3genE4ELNS1_11target_archE910ELNS1_3gpuE8ELNS1_3repE0EEENS1_30default_config_static_selectorELNS0_4arch9wavefront6targetE1EEEvT1_,"axG",@progbits,_ZN7rocprim17ROCPRIM_400000_NS6detail17trampoline_kernelINS0_14default_configENS1_20scan_config_selectorIjEEZZNS1_9scan_implILNS1_25lookback_scan_determinismE0ELb0ELb0ES3_N6thrust23THRUST_200600_302600_NS6detail15normal_iteratorINS9_10device_ptrIjEEEENSB_INSC_IfEEEEjNS9_4plusIvEEjEEDaPvRmT3_T4_T5_mT6_P12ihipStream_tbENKUlT_T0_E_clISt17integral_constantIbLb1EESV_IbLb0EEEEDaSR_SS_EUlSR_E_NS1_11comp_targetILNS1_3genE4ELNS1_11target_archE910ELNS1_3gpuE8ELNS1_3repE0EEENS1_30default_config_static_selectorELNS0_4arch9wavefront6targetE1EEEvT1_,comdat
.Lfunc_end6053:
	.size	_ZN7rocprim17ROCPRIM_400000_NS6detail17trampoline_kernelINS0_14default_configENS1_20scan_config_selectorIjEEZZNS1_9scan_implILNS1_25lookback_scan_determinismE0ELb0ELb0ES3_N6thrust23THRUST_200600_302600_NS6detail15normal_iteratorINS9_10device_ptrIjEEEENSB_INSC_IfEEEEjNS9_4plusIvEEjEEDaPvRmT3_T4_T5_mT6_P12ihipStream_tbENKUlT_T0_E_clISt17integral_constantIbLb1EESV_IbLb0EEEEDaSR_SS_EUlSR_E_NS1_11comp_targetILNS1_3genE4ELNS1_11target_archE910ELNS1_3gpuE8ELNS1_3repE0EEENS1_30default_config_static_selectorELNS0_4arch9wavefront6targetE1EEEvT1_, .Lfunc_end6053-_ZN7rocprim17ROCPRIM_400000_NS6detail17trampoline_kernelINS0_14default_configENS1_20scan_config_selectorIjEEZZNS1_9scan_implILNS1_25lookback_scan_determinismE0ELb0ELb0ES3_N6thrust23THRUST_200600_302600_NS6detail15normal_iteratorINS9_10device_ptrIjEEEENSB_INSC_IfEEEEjNS9_4plusIvEEjEEDaPvRmT3_T4_T5_mT6_P12ihipStream_tbENKUlT_T0_E_clISt17integral_constantIbLb1EESV_IbLb0EEEEDaSR_SS_EUlSR_E_NS1_11comp_targetILNS1_3genE4ELNS1_11target_archE910ELNS1_3gpuE8ELNS1_3repE0EEENS1_30default_config_static_selectorELNS0_4arch9wavefront6targetE1EEEvT1_
                                        ; -- End function
	.section	.AMDGPU.csdata,"",@progbits
; Kernel info:
; codeLenInByte = 4688
; NumSgprs: 32
; NumVgprs: 40
; NumAgprs: 0
; TotalNumVgprs: 40
; ScratchSize: 0
; MemoryBound: 0
; FloatMode: 240
; IeeeMode: 1
; LDSByteSize: 5120 bytes/workgroup (compile time only)
; SGPRBlocks: 3
; VGPRBlocks: 4
; NumSGPRsForWavesPerEU: 32
; NumVGPRsForWavesPerEU: 40
; AccumOffset: 40
; Occupancy: 6
; WaveLimiterHint : 1
; COMPUTE_PGM_RSRC2:SCRATCH_EN: 0
; COMPUTE_PGM_RSRC2:USER_SGPR: 6
; COMPUTE_PGM_RSRC2:TRAP_HANDLER: 0
; COMPUTE_PGM_RSRC2:TGID_X_EN: 1
; COMPUTE_PGM_RSRC2:TGID_Y_EN: 0
; COMPUTE_PGM_RSRC2:TGID_Z_EN: 0
; COMPUTE_PGM_RSRC2:TIDIG_COMP_CNT: 0
; COMPUTE_PGM_RSRC3_GFX90A:ACCUM_OFFSET: 9
; COMPUTE_PGM_RSRC3_GFX90A:TG_SPLIT: 0
	.section	.text._ZN7rocprim17ROCPRIM_400000_NS6detail17trampoline_kernelINS0_14default_configENS1_20scan_config_selectorIjEEZZNS1_9scan_implILNS1_25lookback_scan_determinismE0ELb0ELb0ES3_N6thrust23THRUST_200600_302600_NS6detail15normal_iteratorINS9_10device_ptrIjEEEENSB_INSC_IfEEEEjNS9_4plusIvEEjEEDaPvRmT3_T4_T5_mT6_P12ihipStream_tbENKUlT_T0_E_clISt17integral_constantIbLb1EESV_IbLb0EEEEDaSR_SS_EUlSR_E_NS1_11comp_targetILNS1_3genE3ELNS1_11target_archE908ELNS1_3gpuE7ELNS1_3repE0EEENS1_30default_config_static_selectorELNS0_4arch9wavefront6targetE1EEEvT1_,"axG",@progbits,_ZN7rocprim17ROCPRIM_400000_NS6detail17trampoline_kernelINS0_14default_configENS1_20scan_config_selectorIjEEZZNS1_9scan_implILNS1_25lookback_scan_determinismE0ELb0ELb0ES3_N6thrust23THRUST_200600_302600_NS6detail15normal_iteratorINS9_10device_ptrIjEEEENSB_INSC_IfEEEEjNS9_4plusIvEEjEEDaPvRmT3_T4_T5_mT6_P12ihipStream_tbENKUlT_T0_E_clISt17integral_constantIbLb1EESV_IbLb0EEEEDaSR_SS_EUlSR_E_NS1_11comp_targetILNS1_3genE3ELNS1_11target_archE908ELNS1_3gpuE7ELNS1_3repE0EEENS1_30default_config_static_selectorELNS0_4arch9wavefront6targetE1EEEvT1_,comdat
	.protected	_ZN7rocprim17ROCPRIM_400000_NS6detail17trampoline_kernelINS0_14default_configENS1_20scan_config_selectorIjEEZZNS1_9scan_implILNS1_25lookback_scan_determinismE0ELb0ELb0ES3_N6thrust23THRUST_200600_302600_NS6detail15normal_iteratorINS9_10device_ptrIjEEEENSB_INSC_IfEEEEjNS9_4plusIvEEjEEDaPvRmT3_T4_T5_mT6_P12ihipStream_tbENKUlT_T0_E_clISt17integral_constantIbLb1EESV_IbLb0EEEEDaSR_SS_EUlSR_E_NS1_11comp_targetILNS1_3genE3ELNS1_11target_archE908ELNS1_3gpuE7ELNS1_3repE0EEENS1_30default_config_static_selectorELNS0_4arch9wavefront6targetE1EEEvT1_ ; -- Begin function _ZN7rocprim17ROCPRIM_400000_NS6detail17trampoline_kernelINS0_14default_configENS1_20scan_config_selectorIjEEZZNS1_9scan_implILNS1_25lookback_scan_determinismE0ELb0ELb0ES3_N6thrust23THRUST_200600_302600_NS6detail15normal_iteratorINS9_10device_ptrIjEEEENSB_INSC_IfEEEEjNS9_4plusIvEEjEEDaPvRmT3_T4_T5_mT6_P12ihipStream_tbENKUlT_T0_E_clISt17integral_constantIbLb1EESV_IbLb0EEEEDaSR_SS_EUlSR_E_NS1_11comp_targetILNS1_3genE3ELNS1_11target_archE908ELNS1_3gpuE7ELNS1_3repE0EEENS1_30default_config_static_selectorELNS0_4arch9wavefront6targetE1EEEvT1_
	.globl	_ZN7rocprim17ROCPRIM_400000_NS6detail17trampoline_kernelINS0_14default_configENS1_20scan_config_selectorIjEEZZNS1_9scan_implILNS1_25lookback_scan_determinismE0ELb0ELb0ES3_N6thrust23THRUST_200600_302600_NS6detail15normal_iteratorINS9_10device_ptrIjEEEENSB_INSC_IfEEEEjNS9_4plusIvEEjEEDaPvRmT3_T4_T5_mT6_P12ihipStream_tbENKUlT_T0_E_clISt17integral_constantIbLb1EESV_IbLb0EEEEDaSR_SS_EUlSR_E_NS1_11comp_targetILNS1_3genE3ELNS1_11target_archE908ELNS1_3gpuE7ELNS1_3repE0EEENS1_30default_config_static_selectorELNS0_4arch9wavefront6targetE1EEEvT1_
	.p2align	8
	.type	_ZN7rocprim17ROCPRIM_400000_NS6detail17trampoline_kernelINS0_14default_configENS1_20scan_config_selectorIjEEZZNS1_9scan_implILNS1_25lookback_scan_determinismE0ELb0ELb0ES3_N6thrust23THRUST_200600_302600_NS6detail15normal_iteratorINS9_10device_ptrIjEEEENSB_INSC_IfEEEEjNS9_4plusIvEEjEEDaPvRmT3_T4_T5_mT6_P12ihipStream_tbENKUlT_T0_E_clISt17integral_constantIbLb1EESV_IbLb0EEEEDaSR_SS_EUlSR_E_NS1_11comp_targetILNS1_3genE3ELNS1_11target_archE908ELNS1_3gpuE7ELNS1_3repE0EEENS1_30default_config_static_selectorELNS0_4arch9wavefront6targetE1EEEvT1_,@function
_ZN7rocprim17ROCPRIM_400000_NS6detail17trampoline_kernelINS0_14default_configENS1_20scan_config_selectorIjEEZZNS1_9scan_implILNS1_25lookback_scan_determinismE0ELb0ELb0ES3_N6thrust23THRUST_200600_302600_NS6detail15normal_iteratorINS9_10device_ptrIjEEEENSB_INSC_IfEEEEjNS9_4plusIvEEjEEDaPvRmT3_T4_T5_mT6_P12ihipStream_tbENKUlT_T0_E_clISt17integral_constantIbLb1EESV_IbLb0EEEEDaSR_SS_EUlSR_E_NS1_11comp_targetILNS1_3genE3ELNS1_11target_archE908ELNS1_3gpuE7ELNS1_3repE0EEENS1_30default_config_static_selectorELNS0_4arch9wavefront6targetE1EEEvT1_: ; @_ZN7rocprim17ROCPRIM_400000_NS6detail17trampoline_kernelINS0_14default_configENS1_20scan_config_selectorIjEEZZNS1_9scan_implILNS1_25lookback_scan_determinismE0ELb0ELb0ES3_N6thrust23THRUST_200600_302600_NS6detail15normal_iteratorINS9_10device_ptrIjEEEENSB_INSC_IfEEEEjNS9_4plusIvEEjEEDaPvRmT3_T4_T5_mT6_P12ihipStream_tbENKUlT_T0_E_clISt17integral_constantIbLb1EESV_IbLb0EEEEDaSR_SS_EUlSR_E_NS1_11comp_targetILNS1_3genE3ELNS1_11target_archE908ELNS1_3gpuE7ELNS1_3repE0EEENS1_30default_config_static_selectorELNS0_4arch9wavefront6targetE1EEEvT1_
; %bb.0:
	.section	.rodata,"a",@progbits
	.p2align	6, 0x0
	.amdhsa_kernel _ZN7rocprim17ROCPRIM_400000_NS6detail17trampoline_kernelINS0_14default_configENS1_20scan_config_selectorIjEEZZNS1_9scan_implILNS1_25lookback_scan_determinismE0ELb0ELb0ES3_N6thrust23THRUST_200600_302600_NS6detail15normal_iteratorINS9_10device_ptrIjEEEENSB_INSC_IfEEEEjNS9_4plusIvEEjEEDaPvRmT3_T4_T5_mT6_P12ihipStream_tbENKUlT_T0_E_clISt17integral_constantIbLb1EESV_IbLb0EEEEDaSR_SS_EUlSR_E_NS1_11comp_targetILNS1_3genE3ELNS1_11target_archE908ELNS1_3gpuE7ELNS1_3repE0EEENS1_30default_config_static_selectorELNS0_4arch9wavefront6targetE1EEEvT1_
		.amdhsa_group_segment_fixed_size 0
		.amdhsa_private_segment_fixed_size 0
		.amdhsa_kernarg_size 96
		.amdhsa_user_sgpr_count 6
		.amdhsa_user_sgpr_private_segment_buffer 1
		.amdhsa_user_sgpr_dispatch_ptr 0
		.amdhsa_user_sgpr_queue_ptr 0
		.amdhsa_user_sgpr_kernarg_segment_ptr 1
		.amdhsa_user_sgpr_dispatch_id 0
		.amdhsa_user_sgpr_flat_scratch_init 0
		.amdhsa_user_sgpr_kernarg_preload_length 0
		.amdhsa_user_sgpr_kernarg_preload_offset 0
		.amdhsa_user_sgpr_private_segment_size 0
		.amdhsa_uses_dynamic_stack 0
		.amdhsa_system_sgpr_private_segment_wavefront_offset 0
		.amdhsa_system_sgpr_workgroup_id_x 1
		.amdhsa_system_sgpr_workgroup_id_y 0
		.amdhsa_system_sgpr_workgroup_id_z 0
		.amdhsa_system_sgpr_workgroup_info 0
		.amdhsa_system_vgpr_workitem_id 0
		.amdhsa_next_free_vgpr 1
		.amdhsa_next_free_sgpr 0
		.amdhsa_accum_offset 4
		.amdhsa_reserve_vcc 0
		.amdhsa_reserve_flat_scratch 0
		.amdhsa_float_round_mode_32 0
		.amdhsa_float_round_mode_16_64 0
		.amdhsa_float_denorm_mode_32 3
		.amdhsa_float_denorm_mode_16_64 3
		.amdhsa_dx10_clamp 1
		.amdhsa_ieee_mode 1
		.amdhsa_fp16_overflow 0
		.amdhsa_tg_split 0
		.amdhsa_exception_fp_ieee_invalid_op 0
		.amdhsa_exception_fp_denorm_src 0
		.amdhsa_exception_fp_ieee_div_zero 0
		.amdhsa_exception_fp_ieee_overflow 0
		.amdhsa_exception_fp_ieee_underflow 0
		.amdhsa_exception_fp_ieee_inexact 0
		.amdhsa_exception_int_div_zero 0
	.end_amdhsa_kernel
	.section	.text._ZN7rocprim17ROCPRIM_400000_NS6detail17trampoline_kernelINS0_14default_configENS1_20scan_config_selectorIjEEZZNS1_9scan_implILNS1_25lookback_scan_determinismE0ELb0ELb0ES3_N6thrust23THRUST_200600_302600_NS6detail15normal_iteratorINS9_10device_ptrIjEEEENSB_INSC_IfEEEEjNS9_4plusIvEEjEEDaPvRmT3_T4_T5_mT6_P12ihipStream_tbENKUlT_T0_E_clISt17integral_constantIbLb1EESV_IbLb0EEEEDaSR_SS_EUlSR_E_NS1_11comp_targetILNS1_3genE3ELNS1_11target_archE908ELNS1_3gpuE7ELNS1_3repE0EEENS1_30default_config_static_selectorELNS0_4arch9wavefront6targetE1EEEvT1_,"axG",@progbits,_ZN7rocprim17ROCPRIM_400000_NS6detail17trampoline_kernelINS0_14default_configENS1_20scan_config_selectorIjEEZZNS1_9scan_implILNS1_25lookback_scan_determinismE0ELb0ELb0ES3_N6thrust23THRUST_200600_302600_NS6detail15normal_iteratorINS9_10device_ptrIjEEEENSB_INSC_IfEEEEjNS9_4plusIvEEjEEDaPvRmT3_T4_T5_mT6_P12ihipStream_tbENKUlT_T0_E_clISt17integral_constantIbLb1EESV_IbLb0EEEEDaSR_SS_EUlSR_E_NS1_11comp_targetILNS1_3genE3ELNS1_11target_archE908ELNS1_3gpuE7ELNS1_3repE0EEENS1_30default_config_static_selectorELNS0_4arch9wavefront6targetE1EEEvT1_,comdat
.Lfunc_end6054:
	.size	_ZN7rocprim17ROCPRIM_400000_NS6detail17trampoline_kernelINS0_14default_configENS1_20scan_config_selectorIjEEZZNS1_9scan_implILNS1_25lookback_scan_determinismE0ELb0ELb0ES3_N6thrust23THRUST_200600_302600_NS6detail15normal_iteratorINS9_10device_ptrIjEEEENSB_INSC_IfEEEEjNS9_4plusIvEEjEEDaPvRmT3_T4_T5_mT6_P12ihipStream_tbENKUlT_T0_E_clISt17integral_constantIbLb1EESV_IbLb0EEEEDaSR_SS_EUlSR_E_NS1_11comp_targetILNS1_3genE3ELNS1_11target_archE908ELNS1_3gpuE7ELNS1_3repE0EEENS1_30default_config_static_selectorELNS0_4arch9wavefront6targetE1EEEvT1_, .Lfunc_end6054-_ZN7rocprim17ROCPRIM_400000_NS6detail17trampoline_kernelINS0_14default_configENS1_20scan_config_selectorIjEEZZNS1_9scan_implILNS1_25lookback_scan_determinismE0ELb0ELb0ES3_N6thrust23THRUST_200600_302600_NS6detail15normal_iteratorINS9_10device_ptrIjEEEENSB_INSC_IfEEEEjNS9_4plusIvEEjEEDaPvRmT3_T4_T5_mT6_P12ihipStream_tbENKUlT_T0_E_clISt17integral_constantIbLb1EESV_IbLb0EEEEDaSR_SS_EUlSR_E_NS1_11comp_targetILNS1_3genE3ELNS1_11target_archE908ELNS1_3gpuE7ELNS1_3repE0EEENS1_30default_config_static_selectorELNS0_4arch9wavefront6targetE1EEEvT1_
                                        ; -- End function
	.section	.AMDGPU.csdata,"",@progbits
; Kernel info:
; codeLenInByte = 0
; NumSgprs: 4
; NumVgprs: 0
; NumAgprs: 0
; TotalNumVgprs: 0
; ScratchSize: 0
; MemoryBound: 0
; FloatMode: 240
; IeeeMode: 1
; LDSByteSize: 0 bytes/workgroup (compile time only)
; SGPRBlocks: 0
; VGPRBlocks: 0
; NumSGPRsForWavesPerEU: 4
; NumVGPRsForWavesPerEU: 1
; AccumOffset: 4
; Occupancy: 8
; WaveLimiterHint : 0
; COMPUTE_PGM_RSRC2:SCRATCH_EN: 0
; COMPUTE_PGM_RSRC2:USER_SGPR: 6
; COMPUTE_PGM_RSRC2:TRAP_HANDLER: 0
; COMPUTE_PGM_RSRC2:TGID_X_EN: 1
; COMPUTE_PGM_RSRC2:TGID_Y_EN: 0
; COMPUTE_PGM_RSRC2:TGID_Z_EN: 0
; COMPUTE_PGM_RSRC2:TIDIG_COMP_CNT: 0
; COMPUTE_PGM_RSRC3_GFX90A:ACCUM_OFFSET: 0
; COMPUTE_PGM_RSRC3_GFX90A:TG_SPLIT: 0
	.section	.text._ZN7rocprim17ROCPRIM_400000_NS6detail17trampoline_kernelINS0_14default_configENS1_20scan_config_selectorIjEEZZNS1_9scan_implILNS1_25lookback_scan_determinismE0ELb0ELb0ES3_N6thrust23THRUST_200600_302600_NS6detail15normal_iteratorINS9_10device_ptrIjEEEENSB_INSC_IfEEEEjNS9_4plusIvEEjEEDaPvRmT3_T4_T5_mT6_P12ihipStream_tbENKUlT_T0_E_clISt17integral_constantIbLb1EESV_IbLb0EEEEDaSR_SS_EUlSR_E_NS1_11comp_targetILNS1_3genE2ELNS1_11target_archE906ELNS1_3gpuE6ELNS1_3repE0EEENS1_30default_config_static_selectorELNS0_4arch9wavefront6targetE1EEEvT1_,"axG",@progbits,_ZN7rocprim17ROCPRIM_400000_NS6detail17trampoline_kernelINS0_14default_configENS1_20scan_config_selectorIjEEZZNS1_9scan_implILNS1_25lookback_scan_determinismE0ELb0ELb0ES3_N6thrust23THRUST_200600_302600_NS6detail15normal_iteratorINS9_10device_ptrIjEEEENSB_INSC_IfEEEEjNS9_4plusIvEEjEEDaPvRmT3_T4_T5_mT6_P12ihipStream_tbENKUlT_T0_E_clISt17integral_constantIbLb1EESV_IbLb0EEEEDaSR_SS_EUlSR_E_NS1_11comp_targetILNS1_3genE2ELNS1_11target_archE906ELNS1_3gpuE6ELNS1_3repE0EEENS1_30default_config_static_selectorELNS0_4arch9wavefront6targetE1EEEvT1_,comdat
	.protected	_ZN7rocprim17ROCPRIM_400000_NS6detail17trampoline_kernelINS0_14default_configENS1_20scan_config_selectorIjEEZZNS1_9scan_implILNS1_25lookback_scan_determinismE0ELb0ELb0ES3_N6thrust23THRUST_200600_302600_NS6detail15normal_iteratorINS9_10device_ptrIjEEEENSB_INSC_IfEEEEjNS9_4plusIvEEjEEDaPvRmT3_T4_T5_mT6_P12ihipStream_tbENKUlT_T0_E_clISt17integral_constantIbLb1EESV_IbLb0EEEEDaSR_SS_EUlSR_E_NS1_11comp_targetILNS1_3genE2ELNS1_11target_archE906ELNS1_3gpuE6ELNS1_3repE0EEENS1_30default_config_static_selectorELNS0_4arch9wavefront6targetE1EEEvT1_ ; -- Begin function _ZN7rocprim17ROCPRIM_400000_NS6detail17trampoline_kernelINS0_14default_configENS1_20scan_config_selectorIjEEZZNS1_9scan_implILNS1_25lookback_scan_determinismE0ELb0ELb0ES3_N6thrust23THRUST_200600_302600_NS6detail15normal_iteratorINS9_10device_ptrIjEEEENSB_INSC_IfEEEEjNS9_4plusIvEEjEEDaPvRmT3_T4_T5_mT6_P12ihipStream_tbENKUlT_T0_E_clISt17integral_constantIbLb1EESV_IbLb0EEEEDaSR_SS_EUlSR_E_NS1_11comp_targetILNS1_3genE2ELNS1_11target_archE906ELNS1_3gpuE6ELNS1_3repE0EEENS1_30default_config_static_selectorELNS0_4arch9wavefront6targetE1EEEvT1_
	.globl	_ZN7rocprim17ROCPRIM_400000_NS6detail17trampoline_kernelINS0_14default_configENS1_20scan_config_selectorIjEEZZNS1_9scan_implILNS1_25lookback_scan_determinismE0ELb0ELb0ES3_N6thrust23THRUST_200600_302600_NS6detail15normal_iteratorINS9_10device_ptrIjEEEENSB_INSC_IfEEEEjNS9_4plusIvEEjEEDaPvRmT3_T4_T5_mT6_P12ihipStream_tbENKUlT_T0_E_clISt17integral_constantIbLb1EESV_IbLb0EEEEDaSR_SS_EUlSR_E_NS1_11comp_targetILNS1_3genE2ELNS1_11target_archE906ELNS1_3gpuE6ELNS1_3repE0EEENS1_30default_config_static_selectorELNS0_4arch9wavefront6targetE1EEEvT1_
	.p2align	8
	.type	_ZN7rocprim17ROCPRIM_400000_NS6detail17trampoline_kernelINS0_14default_configENS1_20scan_config_selectorIjEEZZNS1_9scan_implILNS1_25lookback_scan_determinismE0ELb0ELb0ES3_N6thrust23THRUST_200600_302600_NS6detail15normal_iteratorINS9_10device_ptrIjEEEENSB_INSC_IfEEEEjNS9_4plusIvEEjEEDaPvRmT3_T4_T5_mT6_P12ihipStream_tbENKUlT_T0_E_clISt17integral_constantIbLb1EESV_IbLb0EEEEDaSR_SS_EUlSR_E_NS1_11comp_targetILNS1_3genE2ELNS1_11target_archE906ELNS1_3gpuE6ELNS1_3repE0EEENS1_30default_config_static_selectorELNS0_4arch9wavefront6targetE1EEEvT1_,@function
_ZN7rocprim17ROCPRIM_400000_NS6detail17trampoline_kernelINS0_14default_configENS1_20scan_config_selectorIjEEZZNS1_9scan_implILNS1_25lookback_scan_determinismE0ELb0ELb0ES3_N6thrust23THRUST_200600_302600_NS6detail15normal_iteratorINS9_10device_ptrIjEEEENSB_INSC_IfEEEEjNS9_4plusIvEEjEEDaPvRmT3_T4_T5_mT6_P12ihipStream_tbENKUlT_T0_E_clISt17integral_constantIbLb1EESV_IbLb0EEEEDaSR_SS_EUlSR_E_NS1_11comp_targetILNS1_3genE2ELNS1_11target_archE906ELNS1_3gpuE6ELNS1_3repE0EEENS1_30default_config_static_selectorELNS0_4arch9wavefront6targetE1EEEvT1_: ; @_ZN7rocprim17ROCPRIM_400000_NS6detail17trampoline_kernelINS0_14default_configENS1_20scan_config_selectorIjEEZZNS1_9scan_implILNS1_25lookback_scan_determinismE0ELb0ELb0ES3_N6thrust23THRUST_200600_302600_NS6detail15normal_iteratorINS9_10device_ptrIjEEEENSB_INSC_IfEEEEjNS9_4plusIvEEjEEDaPvRmT3_T4_T5_mT6_P12ihipStream_tbENKUlT_T0_E_clISt17integral_constantIbLb1EESV_IbLb0EEEEDaSR_SS_EUlSR_E_NS1_11comp_targetILNS1_3genE2ELNS1_11target_archE906ELNS1_3gpuE6ELNS1_3repE0EEENS1_30default_config_static_selectorELNS0_4arch9wavefront6targetE1EEEvT1_
; %bb.0:
	.section	.rodata,"a",@progbits
	.p2align	6, 0x0
	.amdhsa_kernel _ZN7rocprim17ROCPRIM_400000_NS6detail17trampoline_kernelINS0_14default_configENS1_20scan_config_selectorIjEEZZNS1_9scan_implILNS1_25lookback_scan_determinismE0ELb0ELb0ES3_N6thrust23THRUST_200600_302600_NS6detail15normal_iteratorINS9_10device_ptrIjEEEENSB_INSC_IfEEEEjNS9_4plusIvEEjEEDaPvRmT3_T4_T5_mT6_P12ihipStream_tbENKUlT_T0_E_clISt17integral_constantIbLb1EESV_IbLb0EEEEDaSR_SS_EUlSR_E_NS1_11comp_targetILNS1_3genE2ELNS1_11target_archE906ELNS1_3gpuE6ELNS1_3repE0EEENS1_30default_config_static_selectorELNS0_4arch9wavefront6targetE1EEEvT1_
		.amdhsa_group_segment_fixed_size 0
		.amdhsa_private_segment_fixed_size 0
		.amdhsa_kernarg_size 96
		.amdhsa_user_sgpr_count 6
		.amdhsa_user_sgpr_private_segment_buffer 1
		.amdhsa_user_sgpr_dispatch_ptr 0
		.amdhsa_user_sgpr_queue_ptr 0
		.amdhsa_user_sgpr_kernarg_segment_ptr 1
		.amdhsa_user_sgpr_dispatch_id 0
		.amdhsa_user_sgpr_flat_scratch_init 0
		.amdhsa_user_sgpr_kernarg_preload_length 0
		.amdhsa_user_sgpr_kernarg_preload_offset 0
		.amdhsa_user_sgpr_private_segment_size 0
		.amdhsa_uses_dynamic_stack 0
		.amdhsa_system_sgpr_private_segment_wavefront_offset 0
		.amdhsa_system_sgpr_workgroup_id_x 1
		.amdhsa_system_sgpr_workgroup_id_y 0
		.amdhsa_system_sgpr_workgroup_id_z 0
		.amdhsa_system_sgpr_workgroup_info 0
		.amdhsa_system_vgpr_workitem_id 0
		.amdhsa_next_free_vgpr 1
		.amdhsa_next_free_sgpr 0
		.amdhsa_accum_offset 4
		.amdhsa_reserve_vcc 0
		.amdhsa_reserve_flat_scratch 0
		.amdhsa_float_round_mode_32 0
		.amdhsa_float_round_mode_16_64 0
		.amdhsa_float_denorm_mode_32 3
		.amdhsa_float_denorm_mode_16_64 3
		.amdhsa_dx10_clamp 1
		.amdhsa_ieee_mode 1
		.amdhsa_fp16_overflow 0
		.amdhsa_tg_split 0
		.amdhsa_exception_fp_ieee_invalid_op 0
		.amdhsa_exception_fp_denorm_src 0
		.amdhsa_exception_fp_ieee_div_zero 0
		.amdhsa_exception_fp_ieee_overflow 0
		.amdhsa_exception_fp_ieee_underflow 0
		.amdhsa_exception_fp_ieee_inexact 0
		.amdhsa_exception_int_div_zero 0
	.end_amdhsa_kernel
	.section	.text._ZN7rocprim17ROCPRIM_400000_NS6detail17trampoline_kernelINS0_14default_configENS1_20scan_config_selectorIjEEZZNS1_9scan_implILNS1_25lookback_scan_determinismE0ELb0ELb0ES3_N6thrust23THRUST_200600_302600_NS6detail15normal_iteratorINS9_10device_ptrIjEEEENSB_INSC_IfEEEEjNS9_4plusIvEEjEEDaPvRmT3_T4_T5_mT6_P12ihipStream_tbENKUlT_T0_E_clISt17integral_constantIbLb1EESV_IbLb0EEEEDaSR_SS_EUlSR_E_NS1_11comp_targetILNS1_3genE2ELNS1_11target_archE906ELNS1_3gpuE6ELNS1_3repE0EEENS1_30default_config_static_selectorELNS0_4arch9wavefront6targetE1EEEvT1_,"axG",@progbits,_ZN7rocprim17ROCPRIM_400000_NS6detail17trampoline_kernelINS0_14default_configENS1_20scan_config_selectorIjEEZZNS1_9scan_implILNS1_25lookback_scan_determinismE0ELb0ELb0ES3_N6thrust23THRUST_200600_302600_NS6detail15normal_iteratorINS9_10device_ptrIjEEEENSB_INSC_IfEEEEjNS9_4plusIvEEjEEDaPvRmT3_T4_T5_mT6_P12ihipStream_tbENKUlT_T0_E_clISt17integral_constantIbLb1EESV_IbLb0EEEEDaSR_SS_EUlSR_E_NS1_11comp_targetILNS1_3genE2ELNS1_11target_archE906ELNS1_3gpuE6ELNS1_3repE0EEENS1_30default_config_static_selectorELNS0_4arch9wavefront6targetE1EEEvT1_,comdat
.Lfunc_end6055:
	.size	_ZN7rocprim17ROCPRIM_400000_NS6detail17trampoline_kernelINS0_14default_configENS1_20scan_config_selectorIjEEZZNS1_9scan_implILNS1_25lookback_scan_determinismE0ELb0ELb0ES3_N6thrust23THRUST_200600_302600_NS6detail15normal_iteratorINS9_10device_ptrIjEEEENSB_INSC_IfEEEEjNS9_4plusIvEEjEEDaPvRmT3_T4_T5_mT6_P12ihipStream_tbENKUlT_T0_E_clISt17integral_constantIbLb1EESV_IbLb0EEEEDaSR_SS_EUlSR_E_NS1_11comp_targetILNS1_3genE2ELNS1_11target_archE906ELNS1_3gpuE6ELNS1_3repE0EEENS1_30default_config_static_selectorELNS0_4arch9wavefront6targetE1EEEvT1_, .Lfunc_end6055-_ZN7rocprim17ROCPRIM_400000_NS6detail17trampoline_kernelINS0_14default_configENS1_20scan_config_selectorIjEEZZNS1_9scan_implILNS1_25lookback_scan_determinismE0ELb0ELb0ES3_N6thrust23THRUST_200600_302600_NS6detail15normal_iteratorINS9_10device_ptrIjEEEENSB_INSC_IfEEEEjNS9_4plusIvEEjEEDaPvRmT3_T4_T5_mT6_P12ihipStream_tbENKUlT_T0_E_clISt17integral_constantIbLb1EESV_IbLb0EEEEDaSR_SS_EUlSR_E_NS1_11comp_targetILNS1_3genE2ELNS1_11target_archE906ELNS1_3gpuE6ELNS1_3repE0EEENS1_30default_config_static_selectorELNS0_4arch9wavefront6targetE1EEEvT1_
                                        ; -- End function
	.section	.AMDGPU.csdata,"",@progbits
; Kernel info:
; codeLenInByte = 0
; NumSgprs: 4
; NumVgprs: 0
; NumAgprs: 0
; TotalNumVgprs: 0
; ScratchSize: 0
; MemoryBound: 0
; FloatMode: 240
; IeeeMode: 1
; LDSByteSize: 0 bytes/workgroup (compile time only)
; SGPRBlocks: 0
; VGPRBlocks: 0
; NumSGPRsForWavesPerEU: 4
; NumVGPRsForWavesPerEU: 1
; AccumOffset: 4
; Occupancy: 8
; WaveLimiterHint : 0
; COMPUTE_PGM_RSRC2:SCRATCH_EN: 0
; COMPUTE_PGM_RSRC2:USER_SGPR: 6
; COMPUTE_PGM_RSRC2:TRAP_HANDLER: 0
; COMPUTE_PGM_RSRC2:TGID_X_EN: 1
; COMPUTE_PGM_RSRC2:TGID_Y_EN: 0
; COMPUTE_PGM_RSRC2:TGID_Z_EN: 0
; COMPUTE_PGM_RSRC2:TIDIG_COMP_CNT: 0
; COMPUTE_PGM_RSRC3_GFX90A:ACCUM_OFFSET: 0
; COMPUTE_PGM_RSRC3_GFX90A:TG_SPLIT: 0
	.section	.text._ZN7rocprim17ROCPRIM_400000_NS6detail17trampoline_kernelINS0_14default_configENS1_20scan_config_selectorIjEEZZNS1_9scan_implILNS1_25lookback_scan_determinismE0ELb0ELb0ES3_N6thrust23THRUST_200600_302600_NS6detail15normal_iteratorINS9_10device_ptrIjEEEENSB_INSC_IfEEEEjNS9_4plusIvEEjEEDaPvRmT3_T4_T5_mT6_P12ihipStream_tbENKUlT_T0_E_clISt17integral_constantIbLb1EESV_IbLb0EEEEDaSR_SS_EUlSR_E_NS1_11comp_targetILNS1_3genE10ELNS1_11target_archE1201ELNS1_3gpuE5ELNS1_3repE0EEENS1_30default_config_static_selectorELNS0_4arch9wavefront6targetE1EEEvT1_,"axG",@progbits,_ZN7rocprim17ROCPRIM_400000_NS6detail17trampoline_kernelINS0_14default_configENS1_20scan_config_selectorIjEEZZNS1_9scan_implILNS1_25lookback_scan_determinismE0ELb0ELb0ES3_N6thrust23THRUST_200600_302600_NS6detail15normal_iteratorINS9_10device_ptrIjEEEENSB_INSC_IfEEEEjNS9_4plusIvEEjEEDaPvRmT3_T4_T5_mT6_P12ihipStream_tbENKUlT_T0_E_clISt17integral_constantIbLb1EESV_IbLb0EEEEDaSR_SS_EUlSR_E_NS1_11comp_targetILNS1_3genE10ELNS1_11target_archE1201ELNS1_3gpuE5ELNS1_3repE0EEENS1_30default_config_static_selectorELNS0_4arch9wavefront6targetE1EEEvT1_,comdat
	.protected	_ZN7rocprim17ROCPRIM_400000_NS6detail17trampoline_kernelINS0_14default_configENS1_20scan_config_selectorIjEEZZNS1_9scan_implILNS1_25lookback_scan_determinismE0ELb0ELb0ES3_N6thrust23THRUST_200600_302600_NS6detail15normal_iteratorINS9_10device_ptrIjEEEENSB_INSC_IfEEEEjNS9_4plusIvEEjEEDaPvRmT3_T4_T5_mT6_P12ihipStream_tbENKUlT_T0_E_clISt17integral_constantIbLb1EESV_IbLb0EEEEDaSR_SS_EUlSR_E_NS1_11comp_targetILNS1_3genE10ELNS1_11target_archE1201ELNS1_3gpuE5ELNS1_3repE0EEENS1_30default_config_static_selectorELNS0_4arch9wavefront6targetE1EEEvT1_ ; -- Begin function _ZN7rocprim17ROCPRIM_400000_NS6detail17trampoline_kernelINS0_14default_configENS1_20scan_config_selectorIjEEZZNS1_9scan_implILNS1_25lookback_scan_determinismE0ELb0ELb0ES3_N6thrust23THRUST_200600_302600_NS6detail15normal_iteratorINS9_10device_ptrIjEEEENSB_INSC_IfEEEEjNS9_4plusIvEEjEEDaPvRmT3_T4_T5_mT6_P12ihipStream_tbENKUlT_T0_E_clISt17integral_constantIbLb1EESV_IbLb0EEEEDaSR_SS_EUlSR_E_NS1_11comp_targetILNS1_3genE10ELNS1_11target_archE1201ELNS1_3gpuE5ELNS1_3repE0EEENS1_30default_config_static_selectorELNS0_4arch9wavefront6targetE1EEEvT1_
	.globl	_ZN7rocprim17ROCPRIM_400000_NS6detail17trampoline_kernelINS0_14default_configENS1_20scan_config_selectorIjEEZZNS1_9scan_implILNS1_25lookback_scan_determinismE0ELb0ELb0ES3_N6thrust23THRUST_200600_302600_NS6detail15normal_iteratorINS9_10device_ptrIjEEEENSB_INSC_IfEEEEjNS9_4plusIvEEjEEDaPvRmT3_T4_T5_mT6_P12ihipStream_tbENKUlT_T0_E_clISt17integral_constantIbLb1EESV_IbLb0EEEEDaSR_SS_EUlSR_E_NS1_11comp_targetILNS1_3genE10ELNS1_11target_archE1201ELNS1_3gpuE5ELNS1_3repE0EEENS1_30default_config_static_selectorELNS0_4arch9wavefront6targetE1EEEvT1_
	.p2align	8
	.type	_ZN7rocprim17ROCPRIM_400000_NS6detail17trampoline_kernelINS0_14default_configENS1_20scan_config_selectorIjEEZZNS1_9scan_implILNS1_25lookback_scan_determinismE0ELb0ELb0ES3_N6thrust23THRUST_200600_302600_NS6detail15normal_iteratorINS9_10device_ptrIjEEEENSB_INSC_IfEEEEjNS9_4plusIvEEjEEDaPvRmT3_T4_T5_mT6_P12ihipStream_tbENKUlT_T0_E_clISt17integral_constantIbLb1EESV_IbLb0EEEEDaSR_SS_EUlSR_E_NS1_11comp_targetILNS1_3genE10ELNS1_11target_archE1201ELNS1_3gpuE5ELNS1_3repE0EEENS1_30default_config_static_selectorELNS0_4arch9wavefront6targetE1EEEvT1_,@function
_ZN7rocprim17ROCPRIM_400000_NS6detail17trampoline_kernelINS0_14default_configENS1_20scan_config_selectorIjEEZZNS1_9scan_implILNS1_25lookback_scan_determinismE0ELb0ELb0ES3_N6thrust23THRUST_200600_302600_NS6detail15normal_iteratorINS9_10device_ptrIjEEEENSB_INSC_IfEEEEjNS9_4plusIvEEjEEDaPvRmT3_T4_T5_mT6_P12ihipStream_tbENKUlT_T0_E_clISt17integral_constantIbLb1EESV_IbLb0EEEEDaSR_SS_EUlSR_E_NS1_11comp_targetILNS1_3genE10ELNS1_11target_archE1201ELNS1_3gpuE5ELNS1_3repE0EEENS1_30default_config_static_selectorELNS0_4arch9wavefront6targetE1EEEvT1_: ; @_ZN7rocprim17ROCPRIM_400000_NS6detail17trampoline_kernelINS0_14default_configENS1_20scan_config_selectorIjEEZZNS1_9scan_implILNS1_25lookback_scan_determinismE0ELb0ELb0ES3_N6thrust23THRUST_200600_302600_NS6detail15normal_iteratorINS9_10device_ptrIjEEEENSB_INSC_IfEEEEjNS9_4plusIvEEjEEDaPvRmT3_T4_T5_mT6_P12ihipStream_tbENKUlT_T0_E_clISt17integral_constantIbLb1EESV_IbLb0EEEEDaSR_SS_EUlSR_E_NS1_11comp_targetILNS1_3genE10ELNS1_11target_archE1201ELNS1_3gpuE5ELNS1_3repE0EEENS1_30default_config_static_selectorELNS0_4arch9wavefront6targetE1EEEvT1_
; %bb.0:
	.section	.rodata,"a",@progbits
	.p2align	6, 0x0
	.amdhsa_kernel _ZN7rocprim17ROCPRIM_400000_NS6detail17trampoline_kernelINS0_14default_configENS1_20scan_config_selectorIjEEZZNS1_9scan_implILNS1_25lookback_scan_determinismE0ELb0ELb0ES3_N6thrust23THRUST_200600_302600_NS6detail15normal_iteratorINS9_10device_ptrIjEEEENSB_INSC_IfEEEEjNS9_4plusIvEEjEEDaPvRmT3_T4_T5_mT6_P12ihipStream_tbENKUlT_T0_E_clISt17integral_constantIbLb1EESV_IbLb0EEEEDaSR_SS_EUlSR_E_NS1_11comp_targetILNS1_3genE10ELNS1_11target_archE1201ELNS1_3gpuE5ELNS1_3repE0EEENS1_30default_config_static_selectorELNS0_4arch9wavefront6targetE1EEEvT1_
		.amdhsa_group_segment_fixed_size 0
		.amdhsa_private_segment_fixed_size 0
		.amdhsa_kernarg_size 96
		.amdhsa_user_sgpr_count 6
		.amdhsa_user_sgpr_private_segment_buffer 1
		.amdhsa_user_sgpr_dispatch_ptr 0
		.amdhsa_user_sgpr_queue_ptr 0
		.amdhsa_user_sgpr_kernarg_segment_ptr 1
		.amdhsa_user_sgpr_dispatch_id 0
		.amdhsa_user_sgpr_flat_scratch_init 0
		.amdhsa_user_sgpr_kernarg_preload_length 0
		.amdhsa_user_sgpr_kernarg_preload_offset 0
		.amdhsa_user_sgpr_private_segment_size 0
		.amdhsa_uses_dynamic_stack 0
		.amdhsa_system_sgpr_private_segment_wavefront_offset 0
		.amdhsa_system_sgpr_workgroup_id_x 1
		.amdhsa_system_sgpr_workgroup_id_y 0
		.amdhsa_system_sgpr_workgroup_id_z 0
		.amdhsa_system_sgpr_workgroup_info 0
		.amdhsa_system_vgpr_workitem_id 0
		.amdhsa_next_free_vgpr 1
		.amdhsa_next_free_sgpr 0
		.amdhsa_accum_offset 4
		.amdhsa_reserve_vcc 0
		.amdhsa_reserve_flat_scratch 0
		.amdhsa_float_round_mode_32 0
		.amdhsa_float_round_mode_16_64 0
		.amdhsa_float_denorm_mode_32 3
		.amdhsa_float_denorm_mode_16_64 3
		.amdhsa_dx10_clamp 1
		.amdhsa_ieee_mode 1
		.amdhsa_fp16_overflow 0
		.amdhsa_tg_split 0
		.amdhsa_exception_fp_ieee_invalid_op 0
		.amdhsa_exception_fp_denorm_src 0
		.amdhsa_exception_fp_ieee_div_zero 0
		.amdhsa_exception_fp_ieee_overflow 0
		.amdhsa_exception_fp_ieee_underflow 0
		.amdhsa_exception_fp_ieee_inexact 0
		.amdhsa_exception_int_div_zero 0
	.end_amdhsa_kernel
	.section	.text._ZN7rocprim17ROCPRIM_400000_NS6detail17trampoline_kernelINS0_14default_configENS1_20scan_config_selectorIjEEZZNS1_9scan_implILNS1_25lookback_scan_determinismE0ELb0ELb0ES3_N6thrust23THRUST_200600_302600_NS6detail15normal_iteratorINS9_10device_ptrIjEEEENSB_INSC_IfEEEEjNS9_4plusIvEEjEEDaPvRmT3_T4_T5_mT6_P12ihipStream_tbENKUlT_T0_E_clISt17integral_constantIbLb1EESV_IbLb0EEEEDaSR_SS_EUlSR_E_NS1_11comp_targetILNS1_3genE10ELNS1_11target_archE1201ELNS1_3gpuE5ELNS1_3repE0EEENS1_30default_config_static_selectorELNS0_4arch9wavefront6targetE1EEEvT1_,"axG",@progbits,_ZN7rocprim17ROCPRIM_400000_NS6detail17trampoline_kernelINS0_14default_configENS1_20scan_config_selectorIjEEZZNS1_9scan_implILNS1_25lookback_scan_determinismE0ELb0ELb0ES3_N6thrust23THRUST_200600_302600_NS6detail15normal_iteratorINS9_10device_ptrIjEEEENSB_INSC_IfEEEEjNS9_4plusIvEEjEEDaPvRmT3_T4_T5_mT6_P12ihipStream_tbENKUlT_T0_E_clISt17integral_constantIbLb1EESV_IbLb0EEEEDaSR_SS_EUlSR_E_NS1_11comp_targetILNS1_3genE10ELNS1_11target_archE1201ELNS1_3gpuE5ELNS1_3repE0EEENS1_30default_config_static_selectorELNS0_4arch9wavefront6targetE1EEEvT1_,comdat
.Lfunc_end6056:
	.size	_ZN7rocprim17ROCPRIM_400000_NS6detail17trampoline_kernelINS0_14default_configENS1_20scan_config_selectorIjEEZZNS1_9scan_implILNS1_25lookback_scan_determinismE0ELb0ELb0ES3_N6thrust23THRUST_200600_302600_NS6detail15normal_iteratorINS9_10device_ptrIjEEEENSB_INSC_IfEEEEjNS9_4plusIvEEjEEDaPvRmT3_T4_T5_mT6_P12ihipStream_tbENKUlT_T0_E_clISt17integral_constantIbLb1EESV_IbLb0EEEEDaSR_SS_EUlSR_E_NS1_11comp_targetILNS1_3genE10ELNS1_11target_archE1201ELNS1_3gpuE5ELNS1_3repE0EEENS1_30default_config_static_selectorELNS0_4arch9wavefront6targetE1EEEvT1_, .Lfunc_end6056-_ZN7rocprim17ROCPRIM_400000_NS6detail17trampoline_kernelINS0_14default_configENS1_20scan_config_selectorIjEEZZNS1_9scan_implILNS1_25lookback_scan_determinismE0ELb0ELb0ES3_N6thrust23THRUST_200600_302600_NS6detail15normal_iteratorINS9_10device_ptrIjEEEENSB_INSC_IfEEEEjNS9_4plusIvEEjEEDaPvRmT3_T4_T5_mT6_P12ihipStream_tbENKUlT_T0_E_clISt17integral_constantIbLb1EESV_IbLb0EEEEDaSR_SS_EUlSR_E_NS1_11comp_targetILNS1_3genE10ELNS1_11target_archE1201ELNS1_3gpuE5ELNS1_3repE0EEENS1_30default_config_static_selectorELNS0_4arch9wavefront6targetE1EEEvT1_
                                        ; -- End function
	.section	.AMDGPU.csdata,"",@progbits
; Kernel info:
; codeLenInByte = 0
; NumSgprs: 4
; NumVgprs: 0
; NumAgprs: 0
; TotalNumVgprs: 0
; ScratchSize: 0
; MemoryBound: 0
; FloatMode: 240
; IeeeMode: 1
; LDSByteSize: 0 bytes/workgroup (compile time only)
; SGPRBlocks: 0
; VGPRBlocks: 0
; NumSGPRsForWavesPerEU: 4
; NumVGPRsForWavesPerEU: 1
; AccumOffset: 4
; Occupancy: 8
; WaveLimiterHint : 0
; COMPUTE_PGM_RSRC2:SCRATCH_EN: 0
; COMPUTE_PGM_RSRC2:USER_SGPR: 6
; COMPUTE_PGM_RSRC2:TRAP_HANDLER: 0
; COMPUTE_PGM_RSRC2:TGID_X_EN: 1
; COMPUTE_PGM_RSRC2:TGID_Y_EN: 0
; COMPUTE_PGM_RSRC2:TGID_Z_EN: 0
; COMPUTE_PGM_RSRC2:TIDIG_COMP_CNT: 0
; COMPUTE_PGM_RSRC3_GFX90A:ACCUM_OFFSET: 0
; COMPUTE_PGM_RSRC3_GFX90A:TG_SPLIT: 0
	.section	.text._ZN7rocprim17ROCPRIM_400000_NS6detail17trampoline_kernelINS0_14default_configENS1_20scan_config_selectorIjEEZZNS1_9scan_implILNS1_25lookback_scan_determinismE0ELb0ELb0ES3_N6thrust23THRUST_200600_302600_NS6detail15normal_iteratorINS9_10device_ptrIjEEEENSB_INSC_IfEEEEjNS9_4plusIvEEjEEDaPvRmT3_T4_T5_mT6_P12ihipStream_tbENKUlT_T0_E_clISt17integral_constantIbLb1EESV_IbLb0EEEEDaSR_SS_EUlSR_E_NS1_11comp_targetILNS1_3genE10ELNS1_11target_archE1200ELNS1_3gpuE4ELNS1_3repE0EEENS1_30default_config_static_selectorELNS0_4arch9wavefront6targetE1EEEvT1_,"axG",@progbits,_ZN7rocprim17ROCPRIM_400000_NS6detail17trampoline_kernelINS0_14default_configENS1_20scan_config_selectorIjEEZZNS1_9scan_implILNS1_25lookback_scan_determinismE0ELb0ELb0ES3_N6thrust23THRUST_200600_302600_NS6detail15normal_iteratorINS9_10device_ptrIjEEEENSB_INSC_IfEEEEjNS9_4plusIvEEjEEDaPvRmT3_T4_T5_mT6_P12ihipStream_tbENKUlT_T0_E_clISt17integral_constantIbLb1EESV_IbLb0EEEEDaSR_SS_EUlSR_E_NS1_11comp_targetILNS1_3genE10ELNS1_11target_archE1200ELNS1_3gpuE4ELNS1_3repE0EEENS1_30default_config_static_selectorELNS0_4arch9wavefront6targetE1EEEvT1_,comdat
	.protected	_ZN7rocprim17ROCPRIM_400000_NS6detail17trampoline_kernelINS0_14default_configENS1_20scan_config_selectorIjEEZZNS1_9scan_implILNS1_25lookback_scan_determinismE0ELb0ELb0ES3_N6thrust23THRUST_200600_302600_NS6detail15normal_iteratorINS9_10device_ptrIjEEEENSB_INSC_IfEEEEjNS9_4plusIvEEjEEDaPvRmT3_T4_T5_mT6_P12ihipStream_tbENKUlT_T0_E_clISt17integral_constantIbLb1EESV_IbLb0EEEEDaSR_SS_EUlSR_E_NS1_11comp_targetILNS1_3genE10ELNS1_11target_archE1200ELNS1_3gpuE4ELNS1_3repE0EEENS1_30default_config_static_selectorELNS0_4arch9wavefront6targetE1EEEvT1_ ; -- Begin function _ZN7rocprim17ROCPRIM_400000_NS6detail17trampoline_kernelINS0_14default_configENS1_20scan_config_selectorIjEEZZNS1_9scan_implILNS1_25lookback_scan_determinismE0ELb0ELb0ES3_N6thrust23THRUST_200600_302600_NS6detail15normal_iteratorINS9_10device_ptrIjEEEENSB_INSC_IfEEEEjNS9_4plusIvEEjEEDaPvRmT3_T4_T5_mT6_P12ihipStream_tbENKUlT_T0_E_clISt17integral_constantIbLb1EESV_IbLb0EEEEDaSR_SS_EUlSR_E_NS1_11comp_targetILNS1_3genE10ELNS1_11target_archE1200ELNS1_3gpuE4ELNS1_3repE0EEENS1_30default_config_static_selectorELNS0_4arch9wavefront6targetE1EEEvT1_
	.globl	_ZN7rocprim17ROCPRIM_400000_NS6detail17trampoline_kernelINS0_14default_configENS1_20scan_config_selectorIjEEZZNS1_9scan_implILNS1_25lookback_scan_determinismE0ELb0ELb0ES3_N6thrust23THRUST_200600_302600_NS6detail15normal_iteratorINS9_10device_ptrIjEEEENSB_INSC_IfEEEEjNS9_4plusIvEEjEEDaPvRmT3_T4_T5_mT6_P12ihipStream_tbENKUlT_T0_E_clISt17integral_constantIbLb1EESV_IbLb0EEEEDaSR_SS_EUlSR_E_NS1_11comp_targetILNS1_3genE10ELNS1_11target_archE1200ELNS1_3gpuE4ELNS1_3repE0EEENS1_30default_config_static_selectorELNS0_4arch9wavefront6targetE1EEEvT1_
	.p2align	8
	.type	_ZN7rocprim17ROCPRIM_400000_NS6detail17trampoline_kernelINS0_14default_configENS1_20scan_config_selectorIjEEZZNS1_9scan_implILNS1_25lookback_scan_determinismE0ELb0ELb0ES3_N6thrust23THRUST_200600_302600_NS6detail15normal_iteratorINS9_10device_ptrIjEEEENSB_INSC_IfEEEEjNS9_4plusIvEEjEEDaPvRmT3_T4_T5_mT6_P12ihipStream_tbENKUlT_T0_E_clISt17integral_constantIbLb1EESV_IbLb0EEEEDaSR_SS_EUlSR_E_NS1_11comp_targetILNS1_3genE10ELNS1_11target_archE1200ELNS1_3gpuE4ELNS1_3repE0EEENS1_30default_config_static_selectorELNS0_4arch9wavefront6targetE1EEEvT1_,@function
_ZN7rocprim17ROCPRIM_400000_NS6detail17trampoline_kernelINS0_14default_configENS1_20scan_config_selectorIjEEZZNS1_9scan_implILNS1_25lookback_scan_determinismE0ELb0ELb0ES3_N6thrust23THRUST_200600_302600_NS6detail15normal_iteratorINS9_10device_ptrIjEEEENSB_INSC_IfEEEEjNS9_4plusIvEEjEEDaPvRmT3_T4_T5_mT6_P12ihipStream_tbENKUlT_T0_E_clISt17integral_constantIbLb1EESV_IbLb0EEEEDaSR_SS_EUlSR_E_NS1_11comp_targetILNS1_3genE10ELNS1_11target_archE1200ELNS1_3gpuE4ELNS1_3repE0EEENS1_30default_config_static_selectorELNS0_4arch9wavefront6targetE1EEEvT1_: ; @_ZN7rocprim17ROCPRIM_400000_NS6detail17trampoline_kernelINS0_14default_configENS1_20scan_config_selectorIjEEZZNS1_9scan_implILNS1_25lookback_scan_determinismE0ELb0ELb0ES3_N6thrust23THRUST_200600_302600_NS6detail15normal_iteratorINS9_10device_ptrIjEEEENSB_INSC_IfEEEEjNS9_4plusIvEEjEEDaPvRmT3_T4_T5_mT6_P12ihipStream_tbENKUlT_T0_E_clISt17integral_constantIbLb1EESV_IbLb0EEEEDaSR_SS_EUlSR_E_NS1_11comp_targetILNS1_3genE10ELNS1_11target_archE1200ELNS1_3gpuE4ELNS1_3repE0EEENS1_30default_config_static_selectorELNS0_4arch9wavefront6targetE1EEEvT1_
; %bb.0:
	.section	.rodata,"a",@progbits
	.p2align	6, 0x0
	.amdhsa_kernel _ZN7rocprim17ROCPRIM_400000_NS6detail17trampoline_kernelINS0_14default_configENS1_20scan_config_selectorIjEEZZNS1_9scan_implILNS1_25lookback_scan_determinismE0ELb0ELb0ES3_N6thrust23THRUST_200600_302600_NS6detail15normal_iteratorINS9_10device_ptrIjEEEENSB_INSC_IfEEEEjNS9_4plusIvEEjEEDaPvRmT3_T4_T5_mT6_P12ihipStream_tbENKUlT_T0_E_clISt17integral_constantIbLb1EESV_IbLb0EEEEDaSR_SS_EUlSR_E_NS1_11comp_targetILNS1_3genE10ELNS1_11target_archE1200ELNS1_3gpuE4ELNS1_3repE0EEENS1_30default_config_static_selectorELNS0_4arch9wavefront6targetE1EEEvT1_
		.amdhsa_group_segment_fixed_size 0
		.amdhsa_private_segment_fixed_size 0
		.amdhsa_kernarg_size 96
		.amdhsa_user_sgpr_count 6
		.amdhsa_user_sgpr_private_segment_buffer 1
		.amdhsa_user_sgpr_dispatch_ptr 0
		.amdhsa_user_sgpr_queue_ptr 0
		.amdhsa_user_sgpr_kernarg_segment_ptr 1
		.amdhsa_user_sgpr_dispatch_id 0
		.amdhsa_user_sgpr_flat_scratch_init 0
		.amdhsa_user_sgpr_kernarg_preload_length 0
		.amdhsa_user_sgpr_kernarg_preload_offset 0
		.amdhsa_user_sgpr_private_segment_size 0
		.amdhsa_uses_dynamic_stack 0
		.amdhsa_system_sgpr_private_segment_wavefront_offset 0
		.amdhsa_system_sgpr_workgroup_id_x 1
		.amdhsa_system_sgpr_workgroup_id_y 0
		.amdhsa_system_sgpr_workgroup_id_z 0
		.amdhsa_system_sgpr_workgroup_info 0
		.amdhsa_system_vgpr_workitem_id 0
		.amdhsa_next_free_vgpr 1
		.amdhsa_next_free_sgpr 0
		.amdhsa_accum_offset 4
		.amdhsa_reserve_vcc 0
		.amdhsa_reserve_flat_scratch 0
		.amdhsa_float_round_mode_32 0
		.amdhsa_float_round_mode_16_64 0
		.amdhsa_float_denorm_mode_32 3
		.amdhsa_float_denorm_mode_16_64 3
		.amdhsa_dx10_clamp 1
		.amdhsa_ieee_mode 1
		.amdhsa_fp16_overflow 0
		.amdhsa_tg_split 0
		.amdhsa_exception_fp_ieee_invalid_op 0
		.amdhsa_exception_fp_denorm_src 0
		.amdhsa_exception_fp_ieee_div_zero 0
		.amdhsa_exception_fp_ieee_overflow 0
		.amdhsa_exception_fp_ieee_underflow 0
		.amdhsa_exception_fp_ieee_inexact 0
		.amdhsa_exception_int_div_zero 0
	.end_amdhsa_kernel
	.section	.text._ZN7rocprim17ROCPRIM_400000_NS6detail17trampoline_kernelINS0_14default_configENS1_20scan_config_selectorIjEEZZNS1_9scan_implILNS1_25lookback_scan_determinismE0ELb0ELb0ES3_N6thrust23THRUST_200600_302600_NS6detail15normal_iteratorINS9_10device_ptrIjEEEENSB_INSC_IfEEEEjNS9_4plusIvEEjEEDaPvRmT3_T4_T5_mT6_P12ihipStream_tbENKUlT_T0_E_clISt17integral_constantIbLb1EESV_IbLb0EEEEDaSR_SS_EUlSR_E_NS1_11comp_targetILNS1_3genE10ELNS1_11target_archE1200ELNS1_3gpuE4ELNS1_3repE0EEENS1_30default_config_static_selectorELNS0_4arch9wavefront6targetE1EEEvT1_,"axG",@progbits,_ZN7rocprim17ROCPRIM_400000_NS6detail17trampoline_kernelINS0_14default_configENS1_20scan_config_selectorIjEEZZNS1_9scan_implILNS1_25lookback_scan_determinismE0ELb0ELb0ES3_N6thrust23THRUST_200600_302600_NS6detail15normal_iteratorINS9_10device_ptrIjEEEENSB_INSC_IfEEEEjNS9_4plusIvEEjEEDaPvRmT3_T4_T5_mT6_P12ihipStream_tbENKUlT_T0_E_clISt17integral_constantIbLb1EESV_IbLb0EEEEDaSR_SS_EUlSR_E_NS1_11comp_targetILNS1_3genE10ELNS1_11target_archE1200ELNS1_3gpuE4ELNS1_3repE0EEENS1_30default_config_static_selectorELNS0_4arch9wavefront6targetE1EEEvT1_,comdat
.Lfunc_end6057:
	.size	_ZN7rocprim17ROCPRIM_400000_NS6detail17trampoline_kernelINS0_14default_configENS1_20scan_config_selectorIjEEZZNS1_9scan_implILNS1_25lookback_scan_determinismE0ELb0ELb0ES3_N6thrust23THRUST_200600_302600_NS6detail15normal_iteratorINS9_10device_ptrIjEEEENSB_INSC_IfEEEEjNS9_4plusIvEEjEEDaPvRmT3_T4_T5_mT6_P12ihipStream_tbENKUlT_T0_E_clISt17integral_constantIbLb1EESV_IbLb0EEEEDaSR_SS_EUlSR_E_NS1_11comp_targetILNS1_3genE10ELNS1_11target_archE1200ELNS1_3gpuE4ELNS1_3repE0EEENS1_30default_config_static_selectorELNS0_4arch9wavefront6targetE1EEEvT1_, .Lfunc_end6057-_ZN7rocprim17ROCPRIM_400000_NS6detail17trampoline_kernelINS0_14default_configENS1_20scan_config_selectorIjEEZZNS1_9scan_implILNS1_25lookback_scan_determinismE0ELb0ELb0ES3_N6thrust23THRUST_200600_302600_NS6detail15normal_iteratorINS9_10device_ptrIjEEEENSB_INSC_IfEEEEjNS9_4plusIvEEjEEDaPvRmT3_T4_T5_mT6_P12ihipStream_tbENKUlT_T0_E_clISt17integral_constantIbLb1EESV_IbLb0EEEEDaSR_SS_EUlSR_E_NS1_11comp_targetILNS1_3genE10ELNS1_11target_archE1200ELNS1_3gpuE4ELNS1_3repE0EEENS1_30default_config_static_selectorELNS0_4arch9wavefront6targetE1EEEvT1_
                                        ; -- End function
	.section	.AMDGPU.csdata,"",@progbits
; Kernel info:
; codeLenInByte = 0
; NumSgprs: 4
; NumVgprs: 0
; NumAgprs: 0
; TotalNumVgprs: 0
; ScratchSize: 0
; MemoryBound: 0
; FloatMode: 240
; IeeeMode: 1
; LDSByteSize: 0 bytes/workgroup (compile time only)
; SGPRBlocks: 0
; VGPRBlocks: 0
; NumSGPRsForWavesPerEU: 4
; NumVGPRsForWavesPerEU: 1
; AccumOffset: 4
; Occupancy: 8
; WaveLimiterHint : 0
; COMPUTE_PGM_RSRC2:SCRATCH_EN: 0
; COMPUTE_PGM_RSRC2:USER_SGPR: 6
; COMPUTE_PGM_RSRC2:TRAP_HANDLER: 0
; COMPUTE_PGM_RSRC2:TGID_X_EN: 1
; COMPUTE_PGM_RSRC2:TGID_Y_EN: 0
; COMPUTE_PGM_RSRC2:TGID_Z_EN: 0
; COMPUTE_PGM_RSRC2:TIDIG_COMP_CNT: 0
; COMPUTE_PGM_RSRC3_GFX90A:ACCUM_OFFSET: 0
; COMPUTE_PGM_RSRC3_GFX90A:TG_SPLIT: 0
	.section	.text._ZN7rocprim17ROCPRIM_400000_NS6detail17trampoline_kernelINS0_14default_configENS1_20scan_config_selectorIjEEZZNS1_9scan_implILNS1_25lookback_scan_determinismE0ELb0ELb0ES3_N6thrust23THRUST_200600_302600_NS6detail15normal_iteratorINS9_10device_ptrIjEEEENSB_INSC_IfEEEEjNS9_4plusIvEEjEEDaPvRmT3_T4_T5_mT6_P12ihipStream_tbENKUlT_T0_E_clISt17integral_constantIbLb1EESV_IbLb0EEEEDaSR_SS_EUlSR_E_NS1_11comp_targetILNS1_3genE9ELNS1_11target_archE1100ELNS1_3gpuE3ELNS1_3repE0EEENS1_30default_config_static_selectorELNS0_4arch9wavefront6targetE1EEEvT1_,"axG",@progbits,_ZN7rocprim17ROCPRIM_400000_NS6detail17trampoline_kernelINS0_14default_configENS1_20scan_config_selectorIjEEZZNS1_9scan_implILNS1_25lookback_scan_determinismE0ELb0ELb0ES3_N6thrust23THRUST_200600_302600_NS6detail15normal_iteratorINS9_10device_ptrIjEEEENSB_INSC_IfEEEEjNS9_4plusIvEEjEEDaPvRmT3_T4_T5_mT6_P12ihipStream_tbENKUlT_T0_E_clISt17integral_constantIbLb1EESV_IbLb0EEEEDaSR_SS_EUlSR_E_NS1_11comp_targetILNS1_3genE9ELNS1_11target_archE1100ELNS1_3gpuE3ELNS1_3repE0EEENS1_30default_config_static_selectorELNS0_4arch9wavefront6targetE1EEEvT1_,comdat
	.protected	_ZN7rocprim17ROCPRIM_400000_NS6detail17trampoline_kernelINS0_14default_configENS1_20scan_config_selectorIjEEZZNS1_9scan_implILNS1_25lookback_scan_determinismE0ELb0ELb0ES3_N6thrust23THRUST_200600_302600_NS6detail15normal_iteratorINS9_10device_ptrIjEEEENSB_INSC_IfEEEEjNS9_4plusIvEEjEEDaPvRmT3_T4_T5_mT6_P12ihipStream_tbENKUlT_T0_E_clISt17integral_constantIbLb1EESV_IbLb0EEEEDaSR_SS_EUlSR_E_NS1_11comp_targetILNS1_3genE9ELNS1_11target_archE1100ELNS1_3gpuE3ELNS1_3repE0EEENS1_30default_config_static_selectorELNS0_4arch9wavefront6targetE1EEEvT1_ ; -- Begin function _ZN7rocprim17ROCPRIM_400000_NS6detail17trampoline_kernelINS0_14default_configENS1_20scan_config_selectorIjEEZZNS1_9scan_implILNS1_25lookback_scan_determinismE0ELb0ELb0ES3_N6thrust23THRUST_200600_302600_NS6detail15normal_iteratorINS9_10device_ptrIjEEEENSB_INSC_IfEEEEjNS9_4plusIvEEjEEDaPvRmT3_T4_T5_mT6_P12ihipStream_tbENKUlT_T0_E_clISt17integral_constantIbLb1EESV_IbLb0EEEEDaSR_SS_EUlSR_E_NS1_11comp_targetILNS1_3genE9ELNS1_11target_archE1100ELNS1_3gpuE3ELNS1_3repE0EEENS1_30default_config_static_selectorELNS0_4arch9wavefront6targetE1EEEvT1_
	.globl	_ZN7rocprim17ROCPRIM_400000_NS6detail17trampoline_kernelINS0_14default_configENS1_20scan_config_selectorIjEEZZNS1_9scan_implILNS1_25lookback_scan_determinismE0ELb0ELb0ES3_N6thrust23THRUST_200600_302600_NS6detail15normal_iteratorINS9_10device_ptrIjEEEENSB_INSC_IfEEEEjNS9_4plusIvEEjEEDaPvRmT3_T4_T5_mT6_P12ihipStream_tbENKUlT_T0_E_clISt17integral_constantIbLb1EESV_IbLb0EEEEDaSR_SS_EUlSR_E_NS1_11comp_targetILNS1_3genE9ELNS1_11target_archE1100ELNS1_3gpuE3ELNS1_3repE0EEENS1_30default_config_static_selectorELNS0_4arch9wavefront6targetE1EEEvT1_
	.p2align	8
	.type	_ZN7rocprim17ROCPRIM_400000_NS6detail17trampoline_kernelINS0_14default_configENS1_20scan_config_selectorIjEEZZNS1_9scan_implILNS1_25lookback_scan_determinismE0ELb0ELb0ES3_N6thrust23THRUST_200600_302600_NS6detail15normal_iteratorINS9_10device_ptrIjEEEENSB_INSC_IfEEEEjNS9_4plusIvEEjEEDaPvRmT3_T4_T5_mT6_P12ihipStream_tbENKUlT_T0_E_clISt17integral_constantIbLb1EESV_IbLb0EEEEDaSR_SS_EUlSR_E_NS1_11comp_targetILNS1_3genE9ELNS1_11target_archE1100ELNS1_3gpuE3ELNS1_3repE0EEENS1_30default_config_static_selectorELNS0_4arch9wavefront6targetE1EEEvT1_,@function
_ZN7rocprim17ROCPRIM_400000_NS6detail17trampoline_kernelINS0_14default_configENS1_20scan_config_selectorIjEEZZNS1_9scan_implILNS1_25lookback_scan_determinismE0ELb0ELb0ES3_N6thrust23THRUST_200600_302600_NS6detail15normal_iteratorINS9_10device_ptrIjEEEENSB_INSC_IfEEEEjNS9_4plusIvEEjEEDaPvRmT3_T4_T5_mT6_P12ihipStream_tbENKUlT_T0_E_clISt17integral_constantIbLb1EESV_IbLb0EEEEDaSR_SS_EUlSR_E_NS1_11comp_targetILNS1_3genE9ELNS1_11target_archE1100ELNS1_3gpuE3ELNS1_3repE0EEENS1_30default_config_static_selectorELNS0_4arch9wavefront6targetE1EEEvT1_: ; @_ZN7rocprim17ROCPRIM_400000_NS6detail17trampoline_kernelINS0_14default_configENS1_20scan_config_selectorIjEEZZNS1_9scan_implILNS1_25lookback_scan_determinismE0ELb0ELb0ES3_N6thrust23THRUST_200600_302600_NS6detail15normal_iteratorINS9_10device_ptrIjEEEENSB_INSC_IfEEEEjNS9_4plusIvEEjEEDaPvRmT3_T4_T5_mT6_P12ihipStream_tbENKUlT_T0_E_clISt17integral_constantIbLb1EESV_IbLb0EEEEDaSR_SS_EUlSR_E_NS1_11comp_targetILNS1_3genE9ELNS1_11target_archE1100ELNS1_3gpuE3ELNS1_3repE0EEENS1_30default_config_static_selectorELNS0_4arch9wavefront6targetE1EEEvT1_
; %bb.0:
	.section	.rodata,"a",@progbits
	.p2align	6, 0x0
	.amdhsa_kernel _ZN7rocprim17ROCPRIM_400000_NS6detail17trampoline_kernelINS0_14default_configENS1_20scan_config_selectorIjEEZZNS1_9scan_implILNS1_25lookback_scan_determinismE0ELb0ELb0ES3_N6thrust23THRUST_200600_302600_NS6detail15normal_iteratorINS9_10device_ptrIjEEEENSB_INSC_IfEEEEjNS9_4plusIvEEjEEDaPvRmT3_T4_T5_mT6_P12ihipStream_tbENKUlT_T0_E_clISt17integral_constantIbLb1EESV_IbLb0EEEEDaSR_SS_EUlSR_E_NS1_11comp_targetILNS1_3genE9ELNS1_11target_archE1100ELNS1_3gpuE3ELNS1_3repE0EEENS1_30default_config_static_selectorELNS0_4arch9wavefront6targetE1EEEvT1_
		.amdhsa_group_segment_fixed_size 0
		.amdhsa_private_segment_fixed_size 0
		.amdhsa_kernarg_size 96
		.amdhsa_user_sgpr_count 6
		.amdhsa_user_sgpr_private_segment_buffer 1
		.amdhsa_user_sgpr_dispatch_ptr 0
		.amdhsa_user_sgpr_queue_ptr 0
		.amdhsa_user_sgpr_kernarg_segment_ptr 1
		.amdhsa_user_sgpr_dispatch_id 0
		.amdhsa_user_sgpr_flat_scratch_init 0
		.amdhsa_user_sgpr_kernarg_preload_length 0
		.amdhsa_user_sgpr_kernarg_preload_offset 0
		.amdhsa_user_sgpr_private_segment_size 0
		.amdhsa_uses_dynamic_stack 0
		.amdhsa_system_sgpr_private_segment_wavefront_offset 0
		.amdhsa_system_sgpr_workgroup_id_x 1
		.amdhsa_system_sgpr_workgroup_id_y 0
		.amdhsa_system_sgpr_workgroup_id_z 0
		.amdhsa_system_sgpr_workgroup_info 0
		.amdhsa_system_vgpr_workitem_id 0
		.amdhsa_next_free_vgpr 1
		.amdhsa_next_free_sgpr 0
		.amdhsa_accum_offset 4
		.amdhsa_reserve_vcc 0
		.amdhsa_reserve_flat_scratch 0
		.amdhsa_float_round_mode_32 0
		.amdhsa_float_round_mode_16_64 0
		.amdhsa_float_denorm_mode_32 3
		.amdhsa_float_denorm_mode_16_64 3
		.amdhsa_dx10_clamp 1
		.amdhsa_ieee_mode 1
		.amdhsa_fp16_overflow 0
		.amdhsa_tg_split 0
		.amdhsa_exception_fp_ieee_invalid_op 0
		.amdhsa_exception_fp_denorm_src 0
		.amdhsa_exception_fp_ieee_div_zero 0
		.amdhsa_exception_fp_ieee_overflow 0
		.amdhsa_exception_fp_ieee_underflow 0
		.amdhsa_exception_fp_ieee_inexact 0
		.amdhsa_exception_int_div_zero 0
	.end_amdhsa_kernel
	.section	.text._ZN7rocprim17ROCPRIM_400000_NS6detail17trampoline_kernelINS0_14default_configENS1_20scan_config_selectorIjEEZZNS1_9scan_implILNS1_25lookback_scan_determinismE0ELb0ELb0ES3_N6thrust23THRUST_200600_302600_NS6detail15normal_iteratorINS9_10device_ptrIjEEEENSB_INSC_IfEEEEjNS9_4plusIvEEjEEDaPvRmT3_T4_T5_mT6_P12ihipStream_tbENKUlT_T0_E_clISt17integral_constantIbLb1EESV_IbLb0EEEEDaSR_SS_EUlSR_E_NS1_11comp_targetILNS1_3genE9ELNS1_11target_archE1100ELNS1_3gpuE3ELNS1_3repE0EEENS1_30default_config_static_selectorELNS0_4arch9wavefront6targetE1EEEvT1_,"axG",@progbits,_ZN7rocprim17ROCPRIM_400000_NS6detail17trampoline_kernelINS0_14default_configENS1_20scan_config_selectorIjEEZZNS1_9scan_implILNS1_25lookback_scan_determinismE0ELb0ELb0ES3_N6thrust23THRUST_200600_302600_NS6detail15normal_iteratorINS9_10device_ptrIjEEEENSB_INSC_IfEEEEjNS9_4plusIvEEjEEDaPvRmT3_T4_T5_mT6_P12ihipStream_tbENKUlT_T0_E_clISt17integral_constantIbLb1EESV_IbLb0EEEEDaSR_SS_EUlSR_E_NS1_11comp_targetILNS1_3genE9ELNS1_11target_archE1100ELNS1_3gpuE3ELNS1_3repE0EEENS1_30default_config_static_selectorELNS0_4arch9wavefront6targetE1EEEvT1_,comdat
.Lfunc_end6058:
	.size	_ZN7rocprim17ROCPRIM_400000_NS6detail17trampoline_kernelINS0_14default_configENS1_20scan_config_selectorIjEEZZNS1_9scan_implILNS1_25lookback_scan_determinismE0ELb0ELb0ES3_N6thrust23THRUST_200600_302600_NS6detail15normal_iteratorINS9_10device_ptrIjEEEENSB_INSC_IfEEEEjNS9_4plusIvEEjEEDaPvRmT3_T4_T5_mT6_P12ihipStream_tbENKUlT_T0_E_clISt17integral_constantIbLb1EESV_IbLb0EEEEDaSR_SS_EUlSR_E_NS1_11comp_targetILNS1_3genE9ELNS1_11target_archE1100ELNS1_3gpuE3ELNS1_3repE0EEENS1_30default_config_static_selectorELNS0_4arch9wavefront6targetE1EEEvT1_, .Lfunc_end6058-_ZN7rocprim17ROCPRIM_400000_NS6detail17trampoline_kernelINS0_14default_configENS1_20scan_config_selectorIjEEZZNS1_9scan_implILNS1_25lookback_scan_determinismE0ELb0ELb0ES3_N6thrust23THRUST_200600_302600_NS6detail15normal_iteratorINS9_10device_ptrIjEEEENSB_INSC_IfEEEEjNS9_4plusIvEEjEEDaPvRmT3_T4_T5_mT6_P12ihipStream_tbENKUlT_T0_E_clISt17integral_constantIbLb1EESV_IbLb0EEEEDaSR_SS_EUlSR_E_NS1_11comp_targetILNS1_3genE9ELNS1_11target_archE1100ELNS1_3gpuE3ELNS1_3repE0EEENS1_30default_config_static_selectorELNS0_4arch9wavefront6targetE1EEEvT1_
                                        ; -- End function
	.section	.AMDGPU.csdata,"",@progbits
; Kernel info:
; codeLenInByte = 0
; NumSgprs: 4
; NumVgprs: 0
; NumAgprs: 0
; TotalNumVgprs: 0
; ScratchSize: 0
; MemoryBound: 0
; FloatMode: 240
; IeeeMode: 1
; LDSByteSize: 0 bytes/workgroup (compile time only)
; SGPRBlocks: 0
; VGPRBlocks: 0
; NumSGPRsForWavesPerEU: 4
; NumVGPRsForWavesPerEU: 1
; AccumOffset: 4
; Occupancy: 8
; WaveLimiterHint : 0
; COMPUTE_PGM_RSRC2:SCRATCH_EN: 0
; COMPUTE_PGM_RSRC2:USER_SGPR: 6
; COMPUTE_PGM_RSRC2:TRAP_HANDLER: 0
; COMPUTE_PGM_RSRC2:TGID_X_EN: 1
; COMPUTE_PGM_RSRC2:TGID_Y_EN: 0
; COMPUTE_PGM_RSRC2:TGID_Z_EN: 0
; COMPUTE_PGM_RSRC2:TIDIG_COMP_CNT: 0
; COMPUTE_PGM_RSRC3_GFX90A:ACCUM_OFFSET: 0
; COMPUTE_PGM_RSRC3_GFX90A:TG_SPLIT: 0
	.section	.text._ZN7rocprim17ROCPRIM_400000_NS6detail17trampoline_kernelINS0_14default_configENS1_20scan_config_selectorIjEEZZNS1_9scan_implILNS1_25lookback_scan_determinismE0ELb0ELb0ES3_N6thrust23THRUST_200600_302600_NS6detail15normal_iteratorINS9_10device_ptrIjEEEENSB_INSC_IfEEEEjNS9_4plusIvEEjEEDaPvRmT3_T4_T5_mT6_P12ihipStream_tbENKUlT_T0_E_clISt17integral_constantIbLb1EESV_IbLb0EEEEDaSR_SS_EUlSR_E_NS1_11comp_targetILNS1_3genE8ELNS1_11target_archE1030ELNS1_3gpuE2ELNS1_3repE0EEENS1_30default_config_static_selectorELNS0_4arch9wavefront6targetE1EEEvT1_,"axG",@progbits,_ZN7rocprim17ROCPRIM_400000_NS6detail17trampoline_kernelINS0_14default_configENS1_20scan_config_selectorIjEEZZNS1_9scan_implILNS1_25lookback_scan_determinismE0ELb0ELb0ES3_N6thrust23THRUST_200600_302600_NS6detail15normal_iteratorINS9_10device_ptrIjEEEENSB_INSC_IfEEEEjNS9_4plusIvEEjEEDaPvRmT3_T4_T5_mT6_P12ihipStream_tbENKUlT_T0_E_clISt17integral_constantIbLb1EESV_IbLb0EEEEDaSR_SS_EUlSR_E_NS1_11comp_targetILNS1_3genE8ELNS1_11target_archE1030ELNS1_3gpuE2ELNS1_3repE0EEENS1_30default_config_static_selectorELNS0_4arch9wavefront6targetE1EEEvT1_,comdat
	.protected	_ZN7rocprim17ROCPRIM_400000_NS6detail17trampoline_kernelINS0_14default_configENS1_20scan_config_selectorIjEEZZNS1_9scan_implILNS1_25lookback_scan_determinismE0ELb0ELb0ES3_N6thrust23THRUST_200600_302600_NS6detail15normal_iteratorINS9_10device_ptrIjEEEENSB_INSC_IfEEEEjNS9_4plusIvEEjEEDaPvRmT3_T4_T5_mT6_P12ihipStream_tbENKUlT_T0_E_clISt17integral_constantIbLb1EESV_IbLb0EEEEDaSR_SS_EUlSR_E_NS1_11comp_targetILNS1_3genE8ELNS1_11target_archE1030ELNS1_3gpuE2ELNS1_3repE0EEENS1_30default_config_static_selectorELNS0_4arch9wavefront6targetE1EEEvT1_ ; -- Begin function _ZN7rocprim17ROCPRIM_400000_NS6detail17trampoline_kernelINS0_14default_configENS1_20scan_config_selectorIjEEZZNS1_9scan_implILNS1_25lookback_scan_determinismE0ELb0ELb0ES3_N6thrust23THRUST_200600_302600_NS6detail15normal_iteratorINS9_10device_ptrIjEEEENSB_INSC_IfEEEEjNS9_4plusIvEEjEEDaPvRmT3_T4_T5_mT6_P12ihipStream_tbENKUlT_T0_E_clISt17integral_constantIbLb1EESV_IbLb0EEEEDaSR_SS_EUlSR_E_NS1_11comp_targetILNS1_3genE8ELNS1_11target_archE1030ELNS1_3gpuE2ELNS1_3repE0EEENS1_30default_config_static_selectorELNS0_4arch9wavefront6targetE1EEEvT1_
	.globl	_ZN7rocprim17ROCPRIM_400000_NS6detail17trampoline_kernelINS0_14default_configENS1_20scan_config_selectorIjEEZZNS1_9scan_implILNS1_25lookback_scan_determinismE0ELb0ELb0ES3_N6thrust23THRUST_200600_302600_NS6detail15normal_iteratorINS9_10device_ptrIjEEEENSB_INSC_IfEEEEjNS9_4plusIvEEjEEDaPvRmT3_T4_T5_mT6_P12ihipStream_tbENKUlT_T0_E_clISt17integral_constantIbLb1EESV_IbLb0EEEEDaSR_SS_EUlSR_E_NS1_11comp_targetILNS1_3genE8ELNS1_11target_archE1030ELNS1_3gpuE2ELNS1_3repE0EEENS1_30default_config_static_selectorELNS0_4arch9wavefront6targetE1EEEvT1_
	.p2align	8
	.type	_ZN7rocprim17ROCPRIM_400000_NS6detail17trampoline_kernelINS0_14default_configENS1_20scan_config_selectorIjEEZZNS1_9scan_implILNS1_25lookback_scan_determinismE0ELb0ELb0ES3_N6thrust23THRUST_200600_302600_NS6detail15normal_iteratorINS9_10device_ptrIjEEEENSB_INSC_IfEEEEjNS9_4plusIvEEjEEDaPvRmT3_T4_T5_mT6_P12ihipStream_tbENKUlT_T0_E_clISt17integral_constantIbLb1EESV_IbLb0EEEEDaSR_SS_EUlSR_E_NS1_11comp_targetILNS1_3genE8ELNS1_11target_archE1030ELNS1_3gpuE2ELNS1_3repE0EEENS1_30default_config_static_selectorELNS0_4arch9wavefront6targetE1EEEvT1_,@function
_ZN7rocprim17ROCPRIM_400000_NS6detail17trampoline_kernelINS0_14default_configENS1_20scan_config_selectorIjEEZZNS1_9scan_implILNS1_25lookback_scan_determinismE0ELb0ELb0ES3_N6thrust23THRUST_200600_302600_NS6detail15normal_iteratorINS9_10device_ptrIjEEEENSB_INSC_IfEEEEjNS9_4plusIvEEjEEDaPvRmT3_T4_T5_mT6_P12ihipStream_tbENKUlT_T0_E_clISt17integral_constantIbLb1EESV_IbLb0EEEEDaSR_SS_EUlSR_E_NS1_11comp_targetILNS1_3genE8ELNS1_11target_archE1030ELNS1_3gpuE2ELNS1_3repE0EEENS1_30default_config_static_selectorELNS0_4arch9wavefront6targetE1EEEvT1_: ; @_ZN7rocprim17ROCPRIM_400000_NS6detail17trampoline_kernelINS0_14default_configENS1_20scan_config_selectorIjEEZZNS1_9scan_implILNS1_25lookback_scan_determinismE0ELb0ELb0ES3_N6thrust23THRUST_200600_302600_NS6detail15normal_iteratorINS9_10device_ptrIjEEEENSB_INSC_IfEEEEjNS9_4plusIvEEjEEDaPvRmT3_T4_T5_mT6_P12ihipStream_tbENKUlT_T0_E_clISt17integral_constantIbLb1EESV_IbLb0EEEEDaSR_SS_EUlSR_E_NS1_11comp_targetILNS1_3genE8ELNS1_11target_archE1030ELNS1_3gpuE2ELNS1_3repE0EEENS1_30default_config_static_selectorELNS0_4arch9wavefront6targetE1EEEvT1_
; %bb.0:
	.section	.rodata,"a",@progbits
	.p2align	6, 0x0
	.amdhsa_kernel _ZN7rocprim17ROCPRIM_400000_NS6detail17trampoline_kernelINS0_14default_configENS1_20scan_config_selectorIjEEZZNS1_9scan_implILNS1_25lookback_scan_determinismE0ELb0ELb0ES3_N6thrust23THRUST_200600_302600_NS6detail15normal_iteratorINS9_10device_ptrIjEEEENSB_INSC_IfEEEEjNS9_4plusIvEEjEEDaPvRmT3_T4_T5_mT6_P12ihipStream_tbENKUlT_T0_E_clISt17integral_constantIbLb1EESV_IbLb0EEEEDaSR_SS_EUlSR_E_NS1_11comp_targetILNS1_3genE8ELNS1_11target_archE1030ELNS1_3gpuE2ELNS1_3repE0EEENS1_30default_config_static_selectorELNS0_4arch9wavefront6targetE1EEEvT1_
		.amdhsa_group_segment_fixed_size 0
		.amdhsa_private_segment_fixed_size 0
		.amdhsa_kernarg_size 96
		.amdhsa_user_sgpr_count 6
		.amdhsa_user_sgpr_private_segment_buffer 1
		.amdhsa_user_sgpr_dispatch_ptr 0
		.amdhsa_user_sgpr_queue_ptr 0
		.amdhsa_user_sgpr_kernarg_segment_ptr 1
		.amdhsa_user_sgpr_dispatch_id 0
		.amdhsa_user_sgpr_flat_scratch_init 0
		.amdhsa_user_sgpr_kernarg_preload_length 0
		.amdhsa_user_sgpr_kernarg_preload_offset 0
		.amdhsa_user_sgpr_private_segment_size 0
		.amdhsa_uses_dynamic_stack 0
		.amdhsa_system_sgpr_private_segment_wavefront_offset 0
		.amdhsa_system_sgpr_workgroup_id_x 1
		.amdhsa_system_sgpr_workgroup_id_y 0
		.amdhsa_system_sgpr_workgroup_id_z 0
		.amdhsa_system_sgpr_workgroup_info 0
		.amdhsa_system_vgpr_workitem_id 0
		.amdhsa_next_free_vgpr 1
		.amdhsa_next_free_sgpr 0
		.amdhsa_accum_offset 4
		.amdhsa_reserve_vcc 0
		.amdhsa_reserve_flat_scratch 0
		.amdhsa_float_round_mode_32 0
		.amdhsa_float_round_mode_16_64 0
		.amdhsa_float_denorm_mode_32 3
		.amdhsa_float_denorm_mode_16_64 3
		.amdhsa_dx10_clamp 1
		.amdhsa_ieee_mode 1
		.amdhsa_fp16_overflow 0
		.amdhsa_tg_split 0
		.amdhsa_exception_fp_ieee_invalid_op 0
		.amdhsa_exception_fp_denorm_src 0
		.amdhsa_exception_fp_ieee_div_zero 0
		.amdhsa_exception_fp_ieee_overflow 0
		.amdhsa_exception_fp_ieee_underflow 0
		.amdhsa_exception_fp_ieee_inexact 0
		.amdhsa_exception_int_div_zero 0
	.end_amdhsa_kernel
	.section	.text._ZN7rocprim17ROCPRIM_400000_NS6detail17trampoline_kernelINS0_14default_configENS1_20scan_config_selectorIjEEZZNS1_9scan_implILNS1_25lookback_scan_determinismE0ELb0ELb0ES3_N6thrust23THRUST_200600_302600_NS6detail15normal_iteratorINS9_10device_ptrIjEEEENSB_INSC_IfEEEEjNS9_4plusIvEEjEEDaPvRmT3_T4_T5_mT6_P12ihipStream_tbENKUlT_T0_E_clISt17integral_constantIbLb1EESV_IbLb0EEEEDaSR_SS_EUlSR_E_NS1_11comp_targetILNS1_3genE8ELNS1_11target_archE1030ELNS1_3gpuE2ELNS1_3repE0EEENS1_30default_config_static_selectorELNS0_4arch9wavefront6targetE1EEEvT1_,"axG",@progbits,_ZN7rocprim17ROCPRIM_400000_NS6detail17trampoline_kernelINS0_14default_configENS1_20scan_config_selectorIjEEZZNS1_9scan_implILNS1_25lookback_scan_determinismE0ELb0ELb0ES3_N6thrust23THRUST_200600_302600_NS6detail15normal_iteratorINS9_10device_ptrIjEEEENSB_INSC_IfEEEEjNS9_4plusIvEEjEEDaPvRmT3_T4_T5_mT6_P12ihipStream_tbENKUlT_T0_E_clISt17integral_constantIbLb1EESV_IbLb0EEEEDaSR_SS_EUlSR_E_NS1_11comp_targetILNS1_3genE8ELNS1_11target_archE1030ELNS1_3gpuE2ELNS1_3repE0EEENS1_30default_config_static_selectorELNS0_4arch9wavefront6targetE1EEEvT1_,comdat
.Lfunc_end6059:
	.size	_ZN7rocprim17ROCPRIM_400000_NS6detail17trampoline_kernelINS0_14default_configENS1_20scan_config_selectorIjEEZZNS1_9scan_implILNS1_25lookback_scan_determinismE0ELb0ELb0ES3_N6thrust23THRUST_200600_302600_NS6detail15normal_iteratorINS9_10device_ptrIjEEEENSB_INSC_IfEEEEjNS9_4plusIvEEjEEDaPvRmT3_T4_T5_mT6_P12ihipStream_tbENKUlT_T0_E_clISt17integral_constantIbLb1EESV_IbLb0EEEEDaSR_SS_EUlSR_E_NS1_11comp_targetILNS1_3genE8ELNS1_11target_archE1030ELNS1_3gpuE2ELNS1_3repE0EEENS1_30default_config_static_selectorELNS0_4arch9wavefront6targetE1EEEvT1_, .Lfunc_end6059-_ZN7rocprim17ROCPRIM_400000_NS6detail17trampoline_kernelINS0_14default_configENS1_20scan_config_selectorIjEEZZNS1_9scan_implILNS1_25lookback_scan_determinismE0ELb0ELb0ES3_N6thrust23THRUST_200600_302600_NS6detail15normal_iteratorINS9_10device_ptrIjEEEENSB_INSC_IfEEEEjNS9_4plusIvEEjEEDaPvRmT3_T4_T5_mT6_P12ihipStream_tbENKUlT_T0_E_clISt17integral_constantIbLb1EESV_IbLb0EEEEDaSR_SS_EUlSR_E_NS1_11comp_targetILNS1_3genE8ELNS1_11target_archE1030ELNS1_3gpuE2ELNS1_3repE0EEENS1_30default_config_static_selectorELNS0_4arch9wavefront6targetE1EEEvT1_
                                        ; -- End function
	.section	.AMDGPU.csdata,"",@progbits
; Kernel info:
; codeLenInByte = 0
; NumSgprs: 4
; NumVgprs: 0
; NumAgprs: 0
; TotalNumVgprs: 0
; ScratchSize: 0
; MemoryBound: 0
; FloatMode: 240
; IeeeMode: 1
; LDSByteSize: 0 bytes/workgroup (compile time only)
; SGPRBlocks: 0
; VGPRBlocks: 0
; NumSGPRsForWavesPerEU: 4
; NumVGPRsForWavesPerEU: 1
; AccumOffset: 4
; Occupancy: 8
; WaveLimiterHint : 0
; COMPUTE_PGM_RSRC2:SCRATCH_EN: 0
; COMPUTE_PGM_RSRC2:USER_SGPR: 6
; COMPUTE_PGM_RSRC2:TRAP_HANDLER: 0
; COMPUTE_PGM_RSRC2:TGID_X_EN: 1
; COMPUTE_PGM_RSRC2:TGID_Y_EN: 0
; COMPUTE_PGM_RSRC2:TGID_Z_EN: 0
; COMPUTE_PGM_RSRC2:TIDIG_COMP_CNT: 0
; COMPUTE_PGM_RSRC3_GFX90A:ACCUM_OFFSET: 0
; COMPUTE_PGM_RSRC3_GFX90A:TG_SPLIT: 0
	.section	.text._ZN7rocprim17ROCPRIM_400000_NS6detail17trampoline_kernelINS0_14default_configENS1_20scan_config_selectorIjEEZZNS1_9scan_implILNS1_25lookback_scan_determinismE0ELb0ELb0ES3_N6thrust23THRUST_200600_302600_NS6detail15normal_iteratorINS9_10device_ptrIjEEEENSB_INSC_IfEEEEjNS9_4plusIvEEjEEDaPvRmT3_T4_T5_mT6_P12ihipStream_tbENKUlT_T0_E_clISt17integral_constantIbLb1EESV_IbLb0EEEEDaSR_SS_EUlSR_E0_NS1_11comp_targetILNS1_3genE0ELNS1_11target_archE4294967295ELNS1_3gpuE0ELNS1_3repE0EEENS1_30default_config_static_selectorELNS0_4arch9wavefront6targetE1EEEvT1_,"axG",@progbits,_ZN7rocprim17ROCPRIM_400000_NS6detail17trampoline_kernelINS0_14default_configENS1_20scan_config_selectorIjEEZZNS1_9scan_implILNS1_25lookback_scan_determinismE0ELb0ELb0ES3_N6thrust23THRUST_200600_302600_NS6detail15normal_iteratorINS9_10device_ptrIjEEEENSB_INSC_IfEEEEjNS9_4plusIvEEjEEDaPvRmT3_T4_T5_mT6_P12ihipStream_tbENKUlT_T0_E_clISt17integral_constantIbLb1EESV_IbLb0EEEEDaSR_SS_EUlSR_E0_NS1_11comp_targetILNS1_3genE0ELNS1_11target_archE4294967295ELNS1_3gpuE0ELNS1_3repE0EEENS1_30default_config_static_selectorELNS0_4arch9wavefront6targetE1EEEvT1_,comdat
	.protected	_ZN7rocprim17ROCPRIM_400000_NS6detail17trampoline_kernelINS0_14default_configENS1_20scan_config_selectorIjEEZZNS1_9scan_implILNS1_25lookback_scan_determinismE0ELb0ELb0ES3_N6thrust23THRUST_200600_302600_NS6detail15normal_iteratorINS9_10device_ptrIjEEEENSB_INSC_IfEEEEjNS9_4plusIvEEjEEDaPvRmT3_T4_T5_mT6_P12ihipStream_tbENKUlT_T0_E_clISt17integral_constantIbLb1EESV_IbLb0EEEEDaSR_SS_EUlSR_E0_NS1_11comp_targetILNS1_3genE0ELNS1_11target_archE4294967295ELNS1_3gpuE0ELNS1_3repE0EEENS1_30default_config_static_selectorELNS0_4arch9wavefront6targetE1EEEvT1_ ; -- Begin function _ZN7rocprim17ROCPRIM_400000_NS6detail17trampoline_kernelINS0_14default_configENS1_20scan_config_selectorIjEEZZNS1_9scan_implILNS1_25lookback_scan_determinismE0ELb0ELb0ES3_N6thrust23THRUST_200600_302600_NS6detail15normal_iteratorINS9_10device_ptrIjEEEENSB_INSC_IfEEEEjNS9_4plusIvEEjEEDaPvRmT3_T4_T5_mT6_P12ihipStream_tbENKUlT_T0_E_clISt17integral_constantIbLb1EESV_IbLb0EEEEDaSR_SS_EUlSR_E0_NS1_11comp_targetILNS1_3genE0ELNS1_11target_archE4294967295ELNS1_3gpuE0ELNS1_3repE0EEENS1_30default_config_static_selectorELNS0_4arch9wavefront6targetE1EEEvT1_
	.globl	_ZN7rocprim17ROCPRIM_400000_NS6detail17trampoline_kernelINS0_14default_configENS1_20scan_config_selectorIjEEZZNS1_9scan_implILNS1_25lookback_scan_determinismE0ELb0ELb0ES3_N6thrust23THRUST_200600_302600_NS6detail15normal_iteratorINS9_10device_ptrIjEEEENSB_INSC_IfEEEEjNS9_4plusIvEEjEEDaPvRmT3_T4_T5_mT6_P12ihipStream_tbENKUlT_T0_E_clISt17integral_constantIbLb1EESV_IbLb0EEEEDaSR_SS_EUlSR_E0_NS1_11comp_targetILNS1_3genE0ELNS1_11target_archE4294967295ELNS1_3gpuE0ELNS1_3repE0EEENS1_30default_config_static_selectorELNS0_4arch9wavefront6targetE1EEEvT1_
	.p2align	8
	.type	_ZN7rocprim17ROCPRIM_400000_NS6detail17trampoline_kernelINS0_14default_configENS1_20scan_config_selectorIjEEZZNS1_9scan_implILNS1_25lookback_scan_determinismE0ELb0ELb0ES3_N6thrust23THRUST_200600_302600_NS6detail15normal_iteratorINS9_10device_ptrIjEEEENSB_INSC_IfEEEEjNS9_4plusIvEEjEEDaPvRmT3_T4_T5_mT6_P12ihipStream_tbENKUlT_T0_E_clISt17integral_constantIbLb1EESV_IbLb0EEEEDaSR_SS_EUlSR_E0_NS1_11comp_targetILNS1_3genE0ELNS1_11target_archE4294967295ELNS1_3gpuE0ELNS1_3repE0EEENS1_30default_config_static_selectorELNS0_4arch9wavefront6targetE1EEEvT1_,@function
_ZN7rocprim17ROCPRIM_400000_NS6detail17trampoline_kernelINS0_14default_configENS1_20scan_config_selectorIjEEZZNS1_9scan_implILNS1_25lookback_scan_determinismE0ELb0ELb0ES3_N6thrust23THRUST_200600_302600_NS6detail15normal_iteratorINS9_10device_ptrIjEEEENSB_INSC_IfEEEEjNS9_4plusIvEEjEEDaPvRmT3_T4_T5_mT6_P12ihipStream_tbENKUlT_T0_E_clISt17integral_constantIbLb1EESV_IbLb0EEEEDaSR_SS_EUlSR_E0_NS1_11comp_targetILNS1_3genE0ELNS1_11target_archE4294967295ELNS1_3gpuE0ELNS1_3repE0EEENS1_30default_config_static_selectorELNS0_4arch9wavefront6targetE1EEEvT1_: ; @_ZN7rocprim17ROCPRIM_400000_NS6detail17trampoline_kernelINS0_14default_configENS1_20scan_config_selectorIjEEZZNS1_9scan_implILNS1_25lookback_scan_determinismE0ELb0ELb0ES3_N6thrust23THRUST_200600_302600_NS6detail15normal_iteratorINS9_10device_ptrIjEEEENSB_INSC_IfEEEEjNS9_4plusIvEEjEEDaPvRmT3_T4_T5_mT6_P12ihipStream_tbENKUlT_T0_E_clISt17integral_constantIbLb1EESV_IbLb0EEEEDaSR_SS_EUlSR_E0_NS1_11comp_targetILNS1_3genE0ELNS1_11target_archE4294967295ELNS1_3gpuE0ELNS1_3repE0EEENS1_30default_config_static_selectorELNS0_4arch9wavefront6targetE1EEEvT1_
; %bb.0:
	.section	.rodata,"a",@progbits
	.p2align	6, 0x0
	.amdhsa_kernel _ZN7rocprim17ROCPRIM_400000_NS6detail17trampoline_kernelINS0_14default_configENS1_20scan_config_selectorIjEEZZNS1_9scan_implILNS1_25lookback_scan_determinismE0ELb0ELb0ES3_N6thrust23THRUST_200600_302600_NS6detail15normal_iteratorINS9_10device_ptrIjEEEENSB_INSC_IfEEEEjNS9_4plusIvEEjEEDaPvRmT3_T4_T5_mT6_P12ihipStream_tbENKUlT_T0_E_clISt17integral_constantIbLb1EESV_IbLb0EEEEDaSR_SS_EUlSR_E0_NS1_11comp_targetILNS1_3genE0ELNS1_11target_archE4294967295ELNS1_3gpuE0ELNS1_3repE0EEENS1_30default_config_static_selectorELNS0_4arch9wavefront6targetE1EEEvT1_
		.amdhsa_group_segment_fixed_size 0
		.amdhsa_private_segment_fixed_size 0
		.amdhsa_kernarg_size 32
		.amdhsa_user_sgpr_count 6
		.amdhsa_user_sgpr_private_segment_buffer 1
		.amdhsa_user_sgpr_dispatch_ptr 0
		.amdhsa_user_sgpr_queue_ptr 0
		.amdhsa_user_sgpr_kernarg_segment_ptr 1
		.amdhsa_user_sgpr_dispatch_id 0
		.amdhsa_user_sgpr_flat_scratch_init 0
		.amdhsa_user_sgpr_kernarg_preload_length 0
		.amdhsa_user_sgpr_kernarg_preload_offset 0
		.amdhsa_user_sgpr_private_segment_size 0
		.amdhsa_uses_dynamic_stack 0
		.amdhsa_system_sgpr_private_segment_wavefront_offset 0
		.amdhsa_system_sgpr_workgroup_id_x 1
		.amdhsa_system_sgpr_workgroup_id_y 0
		.amdhsa_system_sgpr_workgroup_id_z 0
		.amdhsa_system_sgpr_workgroup_info 0
		.amdhsa_system_vgpr_workitem_id 0
		.amdhsa_next_free_vgpr 1
		.amdhsa_next_free_sgpr 0
		.amdhsa_accum_offset 4
		.amdhsa_reserve_vcc 0
		.amdhsa_reserve_flat_scratch 0
		.amdhsa_float_round_mode_32 0
		.amdhsa_float_round_mode_16_64 0
		.amdhsa_float_denorm_mode_32 3
		.amdhsa_float_denorm_mode_16_64 3
		.amdhsa_dx10_clamp 1
		.amdhsa_ieee_mode 1
		.amdhsa_fp16_overflow 0
		.amdhsa_tg_split 0
		.amdhsa_exception_fp_ieee_invalid_op 0
		.amdhsa_exception_fp_denorm_src 0
		.amdhsa_exception_fp_ieee_div_zero 0
		.amdhsa_exception_fp_ieee_overflow 0
		.amdhsa_exception_fp_ieee_underflow 0
		.amdhsa_exception_fp_ieee_inexact 0
		.amdhsa_exception_int_div_zero 0
	.end_amdhsa_kernel
	.section	.text._ZN7rocprim17ROCPRIM_400000_NS6detail17trampoline_kernelINS0_14default_configENS1_20scan_config_selectorIjEEZZNS1_9scan_implILNS1_25lookback_scan_determinismE0ELb0ELb0ES3_N6thrust23THRUST_200600_302600_NS6detail15normal_iteratorINS9_10device_ptrIjEEEENSB_INSC_IfEEEEjNS9_4plusIvEEjEEDaPvRmT3_T4_T5_mT6_P12ihipStream_tbENKUlT_T0_E_clISt17integral_constantIbLb1EESV_IbLb0EEEEDaSR_SS_EUlSR_E0_NS1_11comp_targetILNS1_3genE0ELNS1_11target_archE4294967295ELNS1_3gpuE0ELNS1_3repE0EEENS1_30default_config_static_selectorELNS0_4arch9wavefront6targetE1EEEvT1_,"axG",@progbits,_ZN7rocprim17ROCPRIM_400000_NS6detail17trampoline_kernelINS0_14default_configENS1_20scan_config_selectorIjEEZZNS1_9scan_implILNS1_25lookback_scan_determinismE0ELb0ELb0ES3_N6thrust23THRUST_200600_302600_NS6detail15normal_iteratorINS9_10device_ptrIjEEEENSB_INSC_IfEEEEjNS9_4plusIvEEjEEDaPvRmT3_T4_T5_mT6_P12ihipStream_tbENKUlT_T0_E_clISt17integral_constantIbLb1EESV_IbLb0EEEEDaSR_SS_EUlSR_E0_NS1_11comp_targetILNS1_3genE0ELNS1_11target_archE4294967295ELNS1_3gpuE0ELNS1_3repE0EEENS1_30default_config_static_selectorELNS0_4arch9wavefront6targetE1EEEvT1_,comdat
.Lfunc_end6060:
	.size	_ZN7rocprim17ROCPRIM_400000_NS6detail17trampoline_kernelINS0_14default_configENS1_20scan_config_selectorIjEEZZNS1_9scan_implILNS1_25lookback_scan_determinismE0ELb0ELb0ES3_N6thrust23THRUST_200600_302600_NS6detail15normal_iteratorINS9_10device_ptrIjEEEENSB_INSC_IfEEEEjNS9_4plusIvEEjEEDaPvRmT3_T4_T5_mT6_P12ihipStream_tbENKUlT_T0_E_clISt17integral_constantIbLb1EESV_IbLb0EEEEDaSR_SS_EUlSR_E0_NS1_11comp_targetILNS1_3genE0ELNS1_11target_archE4294967295ELNS1_3gpuE0ELNS1_3repE0EEENS1_30default_config_static_selectorELNS0_4arch9wavefront6targetE1EEEvT1_, .Lfunc_end6060-_ZN7rocprim17ROCPRIM_400000_NS6detail17trampoline_kernelINS0_14default_configENS1_20scan_config_selectorIjEEZZNS1_9scan_implILNS1_25lookback_scan_determinismE0ELb0ELb0ES3_N6thrust23THRUST_200600_302600_NS6detail15normal_iteratorINS9_10device_ptrIjEEEENSB_INSC_IfEEEEjNS9_4plusIvEEjEEDaPvRmT3_T4_T5_mT6_P12ihipStream_tbENKUlT_T0_E_clISt17integral_constantIbLb1EESV_IbLb0EEEEDaSR_SS_EUlSR_E0_NS1_11comp_targetILNS1_3genE0ELNS1_11target_archE4294967295ELNS1_3gpuE0ELNS1_3repE0EEENS1_30default_config_static_selectorELNS0_4arch9wavefront6targetE1EEEvT1_
                                        ; -- End function
	.section	.AMDGPU.csdata,"",@progbits
; Kernel info:
; codeLenInByte = 0
; NumSgprs: 4
; NumVgprs: 0
; NumAgprs: 0
; TotalNumVgprs: 0
; ScratchSize: 0
; MemoryBound: 0
; FloatMode: 240
; IeeeMode: 1
; LDSByteSize: 0 bytes/workgroup (compile time only)
; SGPRBlocks: 0
; VGPRBlocks: 0
; NumSGPRsForWavesPerEU: 4
; NumVGPRsForWavesPerEU: 1
; AccumOffset: 4
; Occupancy: 8
; WaveLimiterHint : 0
; COMPUTE_PGM_RSRC2:SCRATCH_EN: 0
; COMPUTE_PGM_RSRC2:USER_SGPR: 6
; COMPUTE_PGM_RSRC2:TRAP_HANDLER: 0
; COMPUTE_PGM_RSRC2:TGID_X_EN: 1
; COMPUTE_PGM_RSRC2:TGID_Y_EN: 0
; COMPUTE_PGM_RSRC2:TGID_Z_EN: 0
; COMPUTE_PGM_RSRC2:TIDIG_COMP_CNT: 0
; COMPUTE_PGM_RSRC3_GFX90A:ACCUM_OFFSET: 0
; COMPUTE_PGM_RSRC3_GFX90A:TG_SPLIT: 0
	.section	.text._ZN7rocprim17ROCPRIM_400000_NS6detail17trampoline_kernelINS0_14default_configENS1_20scan_config_selectorIjEEZZNS1_9scan_implILNS1_25lookback_scan_determinismE0ELb0ELb0ES3_N6thrust23THRUST_200600_302600_NS6detail15normal_iteratorINS9_10device_ptrIjEEEENSB_INSC_IfEEEEjNS9_4plusIvEEjEEDaPvRmT3_T4_T5_mT6_P12ihipStream_tbENKUlT_T0_E_clISt17integral_constantIbLb1EESV_IbLb0EEEEDaSR_SS_EUlSR_E0_NS1_11comp_targetILNS1_3genE5ELNS1_11target_archE942ELNS1_3gpuE9ELNS1_3repE0EEENS1_30default_config_static_selectorELNS0_4arch9wavefront6targetE1EEEvT1_,"axG",@progbits,_ZN7rocprim17ROCPRIM_400000_NS6detail17trampoline_kernelINS0_14default_configENS1_20scan_config_selectorIjEEZZNS1_9scan_implILNS1_25lookback_scan_determinismE0ELb0ELb0ES3_N6thrust23THRUST_200600_302600_NS6detail15normal_iteratorINS9_10device_ptrIjEEEENSB_INSC_IfEEEEjNS9_4plusIvEEjEEDaPvRmT3_T4_T5_mT6_P12ihipStream_tbENKUlT_T0_E_clISt17integral_constantIbLb1EESV_IbLb0EEEEDaSR_SS_EUlSR_E0_NS1_11comp_targetILNS1_3genE5ELNS1_11target_archE942ELNS1_3gpuE9ELNS1_3repE0EEENS1_30default_config_static_selectorELNS0_4arch9wavefront6targetE1EEEvT1_,comdat
	.protected	_ZN7rocprim17ROCPRIM_400000_NS6detail17trampoline_kernelINS0_14default_configENS1_20scan_config_selectorIjEEZZNS1_9scan_implILNS1_25lookback_scan_determinismE0ELb0ELb0ES3_N6thrust23THRUST_200600_302600_NS6detail15normal_iteratorINS9_10device_ptrIjEEEENSB_INSC_IfEEEEjNS9_4plusIvEEjEEDaPvRmT3_T4_T5_mT6_P12ihipStream_tbENKUlT_T0_E_clISt17integral_constantIbLb1EESV_IbLb0EEEEDaSR_SS_EUlSR_E0_NS1_11comp_targetILNS1_3genE5ELNS1_11target_archE942ELNS1_3gpuE9ELNS1_3repE0EEENS1_30default_config_static_selectorELNS0_4arch9wavefront6targetE1EEEvT1_ ; -- Begin function _ZN7rocprim17ROCPRIM_400000_NS6detail17trampoline_kernelINS0_14default_configENS1_20scan_config_selectorIjEEZZNS1_9scan_implILNS1_25lookback_scan_determinismE0ELb0ELb0ES3_N6thrust23THRUST_200600_302600_NS6detail15normal_iteratorINS9_10device_ptrIjEEEENSB_INSC_IfEEEEjNS9_4plusIvEEjEEDaPvRmT3_T4_T5_mT6_P12ihipStream_tbENKUlT_T0_E_clISt17integral_constantIbLb1EESV_IbLb0EEEEDaSR_SS_EUlSR_E0_NS1_11comp_targetILNS1_3genE5ELNS1_11target_archE942ELNS1_3gpuE9ELNS1_3repE0EEENS1_30default_config_static_selectorELNS0_4arch9wavefront6targetE1EEEvT1_
	.globl	_ZN7rocprim17ROCPRIM_400000_NS6detail17trampoline_kernelINS0_14default_configENS1_20scan_config_selectorIjEEZZNS1_9scan_implILNS1_25lookback_scan_determinismE0ELb0ELb0ES3_N6thrust23THRUST_200600_302600_NS6detail15normal_iteratorINS9_10device_ptrIjEEEENSB_INSC_IfEEEEjNS9_4plusIvEEjEEDaPvRmT3_T4_T5_mT6_P12ihipStream_tbENKUlT_T0_E_clISt17integral_constantIbLb1EESV_IbLb0EEEEDaSR_SS_EUlSR_E0_NS1_11comp_targetILNS1_3genE5ELNS1_11target_archE942ELNS1_3gpuE9ELNS1_3repE0EEENS1_30default_config_static_selectorELNS0_4arch9wavefront6targetE1EEEvT1_
	.p2align	8
	.type	_ZN7rocprim17ROCPRIM_400000_NS6detail17trampoline_kernelINS0_14default_configENS1_20scan_config_selectorIjEEZZNS1_9scan_implILNS1_25lookback_scan_determinismE0ELb0ELb0ES3_N6thrust23THRUST_200600_302600_NS6detail15normal_iteratorINS9_10device_ptrIjEEEENSB_INSC_IfEEEEjNS9_4plusIvEEjEEDaPvRmT3_T4_T5_mT6_P12ihipStream_tbENKUlT_T0_E_clISt17integral_constantIbLb1EESV_IbLb0EEEEDaSR_SS_EUlSR_E0_NS1_11comp_targetILNS1_3genE5ELNS1_11target_archE942ELNS1_3gpuE9ELNS1_3repE0EEENS1_30default_config_static_selectorELNS0_4arch9wavefront6targetE1EEEvT1_,@function
_ZN7rocprim17ROCPRIM_400000_NS6detail17trampoline_kernelINS0_14default_configENS1_20scan_config_selectorIjEEZZNS1_9scan_implILNS1_25lookback_scan_determinismE0ELb0ELb0ES3_N6thrust23THRUST_200600_302600_NS6detail15normal_iteratorINS9_10device_ptrIjEEEENSB_INSC_IfEEEEjNS9_4plusIvEEjEEDaPvRmT3_T4_T5_mT6_P12ihipStream_tbENKUlT_T0_E_clISt17integral_constantIbLb1EESV_IbLb0EEEEDaSR_SS_EUlSR_E0_NS1_11comp_targetILNS1_3genE5ELNS1_11target_archE942ELNS1_3gpuE9ELNS1_3repE0EEENS1_30default_config_static_selectorELNS0_4arch9wavefront6targetE1EEEvT1_: ; @_ZN7rocprim17ROCPRIM_400000_NS6detail17trampoline_kernelINS0_14default_configENS1_20scan_config_selectorIjEEZZNS1_9scan_implILNS1_25lookback_scan_determinismE0ELb0ELb0ES3_N6thrust23THRUST_200600_302600_NS6detail15normal_iteratorINS9_10device_ptrIjEEEENSB_INSC_IfEEEEjNS9_4plusIvEEjEEDaPvRmT3_T4_T5_mT6_P12ihipStream_tbENKUlT_T0_E_clISt17integral_constantIbLb1EESV_IbLb0EEEEDaSR_SS_EUlSR_E0_NS1_11comp_targetILNS1_3genE5ELNS1_11target_archE942ELNS1_3gpuE9ELNS1_3repE0EEENS1_30default_config_static_selectorELNS0_4arch9wavefront6targetE1EEEvT1_
; %bb.0:
	.section	.rodata,"a",@progbits
	.p2align	6, 0x0
	.amdhsa_kernel _ZN7rocprim17ROCPRIM_400000_NS6detail17trampoline_kernelINS0_14default_configENS1_20scan_config_selectorIjEEZZNS1_9scan_implILNS1_25lookback_scan_determinismE0ELb0ELb0ES3_N6thrust23THRUST_200600_302600_NS6detail15normal_iteratorINS9_10device_ptrIjEEEENSB_INSC_IfEEEEjNS9_4plusIvEEjEEDaPvRmT3_T4_T5_mT6_P12ihipStream_tbENKUlT_T0_E_clISt17integral_constantIbLb1EESV_IbLb0EEEEDaSR_SS_EUlSR_E0_NS1_11comp_targetILNS1_3genE5ELNS1_11target_archE942ELNS1_3gpuE9ELNS1_3repE0EEENS1_30default_config_static_selectorELNS0_4arch9wavefront6targetE1EEEvT1_
		.amdhsa_group_segment_fixed_size 0
		.amdhsa_private_segment_fixed_size 0
		.amdhsa_kernarg_size 32
		.amdhsa_user_sgpr_count 6
		.amdhsa_user_sgpr_private_segment_buffer 1
		.amdhsa_user_sgpr_dispatch_ptr 0
		.amdhsa_user_sgpr_queue_ptr 0
		.amdhsa_user_sgpr_kernarg_segment_ptr 1
		.amdhsa_user_sgpr_dispatch_id 0
		.amdhsa_user_sgpr_flat_scratch_init 0
		.amdhsa_user_sgpr_kernarg_preload_length 0
		.amdhsa_user_sgpr_kernarg_preload_offset 0
		.amdhsa_user_sgpr_private_segment_size 0
		.amdhsa_uses_dynamic_stack 0
		.amdhsa_system_sgpr_private_segment_wavefront_offset 0
		.amdhsa_system_sgpr_workgroup_id_x 1
		.amdhsa_system_sgpr_workgroup_id_y 0
		.amdhsa_system_sgpr_workgroup_id_z 0
		.amdhsa_system_sgpr_workgroup_info 0
		.amdhsa_system_vgpr_workitem_id 0
		.amdhsa_next_free_vgpr 1
		.amdhsa_next_free_sgpr 0
		.amdhsa_accum_offset 4
		.amdhsa_reserve_vcc 0
		.amdhsa_reserve_flat_scratch 0
		.amdhsa_float_round_mode_32 0
		.amdhsa_float_round_mode_16_64 0
		.amdhsa_float_denorm_mode_32 3
		.amdhsa_float_denorm_mode_16_64 3
		.amdhsa_dx10_clamp 1
		.amdhsa_ieee_mode 1
		.amdhsa_fp16_overflow 0
		.amdhsa_tg_split 0
		.amdhsa_exception_fp_ieee_invalid_op 0
		.amdhsa_exception_fp_denorm_src 0
		.amdhsa_exception_fp_ieee_div_zero 0
		.amdhsa_exception_fp_ieee_overflow 0
		.amdhsa_exception_fp_ieee_underflow 0
		.amdhsa_exception_fp_ieee_inexact 0
		.amdhsa_exception_int_div_zero 0
	.end_amdhsa_kernel
	.section	.text._ZN7rocprim17ROCPRIM_400000_NS6detail17trampoline_kernelINS0_14default_configENS1_20scan_config_selectorIjEEZZNS1_9scan_implILNS1_25lookback_scan_determinismE0ELb0ELb0ES3_N6thrust23THRUST_200600_302600_NS6detail15normal_iteratorINS9_10device_ptrIjEEEENSB_INSC_IfEEEEjNS9_4plusIvEEjEEDaPvRmT3_T4_T5_mT6_P12ihipStream_tbENKUlT_T0_E_clISt17integral_constantIbLb1EESV_IbLb0EEEEDaSR_SS_EUlSR_E0_NS1_11comp_targetILNS1_3genE5ELNS1_11target_archE942ELNS1_3gpuE9ELNS1_3repE0EEENS1_30default_config_static_selectorELNS0_4arch9wavefront6targetE1EEEvT1_,"axG",@progbits,_ZN7rocprim17ROCPRIM_400000_NS6detail17trampoline_kernelINS0_14default_configENS1_20scan_config_selectorIjEEZZNS1_9scan_implILNS1_25lookback_scan_determinismE0ELb0ELb0ES3_N6thrust23THRUST_200600_302600_NS6detail15normal_iteratorINS9_10device_ptrIjEEEENSB_INSC_IfEEEEjNS9_4plusIvEEjEEDaPvRmT3_T4_T5_mT6_P12ihipStream_tbENKUlT_T0_E_clISt17integral_constantIbLb1EESV_IbLb0EEEEDaSR_SS_EUlSR_E0_NS1_11comp_targetILNS1_3genE5ELNS1_11target_archE942ELNS1_3gpuE9ELNS1_3repE0EEENS1_30default_config_static_selectorELNS0_4arch9wavefront6targetE1EEEvT1_,comdat
.Lfunc_end6061:
	.size	_ZN7rocprim17ROCPRIM_400000_NS6detail17trampoline_kernelINS0_14default_configENS1_20scan_config_selectorIjEEZZNS1_9scan_implILNS1_25lookback_scan_determinismE0ELb0ELb0ES3_N6thrust23THRUST_200600_302600_NS6detail15normal_iteratorINS9_10device_ptrIjEEEENSB_INSC_IfEEEEjNS9_4plusIvEEjEEDaPvRmT3_T4_T5_mT6_P12ihipStream_tbENKUlT_T0_E_clISt17integral_constantIbLb1EESV_IbLb0EEEEDaSR_SS_EUlSR_E0_NS1_11comp_targetILNS1_3genE5ELNS1_11target_archE942ELNS1_3gpuE9ELNS1_3repE0EEENS1_30default_config_static_selectorELNS0_4arch9wavefront6targetE1EEEvT1_, .Lfunc_end6061-_ZN7rocprim17ROCPRIM_400000_NS6detail17trampoline_kernelINS0_14default_configENS1_20scan_config_selectorIjEEZZNS1_9scan_implILNS1_25lookback_scan_determinismE0ELb0ELb0ES3_N6thrust23THRUST_200600_302600_NS6detail15normal_iteratorINS9_10device_ptrIjEEEENSB_INSC_IfEEEEjNS9_4plusIvEEjEEDaPvRmT3_T4_T5_mT6_P12ihipStream_tbENKUlT_T0_E_clISt17integral_constantIbLb1EESV_IbLb0EEEEDaSR_SS_EUlSR_E0_NS1_11comp_targetILNS1_3genE5ELNS1_11target_archE942ELNS1_3gpuE9ELNS1_3repE0EEENS1_30default_config_static_selectorELNS0_4arch9wavefront6targetE1EEEvT1_
                                        ; -- End function
	.section	.AMDGPU.csdata,"",@progbits
; Kernel info:
; codeLenInByte = 0
; NumSgprs: 4
; NumVgprs: 0
; NumAgprs: 0
; TotalNumVgprs: 0
; ScratchSize: 0
; MemoryBound: 0
; FloatMode: 240
; IeeeMode: 1
; LDSByteSize: 0 bytes/workgroup (compile time only)
; SGPRBlocks: 0
; VGPRBlocks: 0
; NumSGPRsForWavesPerEU: 4
; NumVGPRsForWavesPerEU: 1
; AccumOffset: 4
; Occupancy: 8
; WaveLimiterHint : 0
; COMPUTE_PGM_RSRC2:SCRATCH_EN: 0
; COMPUTE_PGM_RSRC2:USER_SGPR: 6
; COMPUTE_PGM_RSRC2:TRAP_HANDLER: 0
; COMPUTE_PGM_RSRC2:TGID_X_EN: 1
; COMPUTE_PGM_RSRC2:TGID_Y_EN: 0
; COMPUTE_PGM_RSRC2:TGID_Z_EN: 0
; COMPUTE_PGM_RSRC2:TIDIG_COMP_CNT: 0
; COMPUTE_PGM_RSRC3_GFX90A:ACCUM_OFFSET: 0
; COMPUTE_PGM_RSRC3_GFX90A:TG_SPLIT: 0
	.section	.text._ZN7rocprim17ROCPRIM_400000_NS6detail17trampoline_kernelINS0_14default_configENS1_20scan_config_selectorIjEEZZNS1_9scan_implILNS1_25lookback_scan_determinismE0ELb0ELb0ES3_N6thrust23THRUST_200600_302600_NS6detail15normal_iteratorINS9_10device_ptrIjEEEENSB_INSC_IfEEEEjNS9_4plusIvEEjEEDaPvRmT3_T4_T5_mT6_P12ihipStream_tbENKUlT_T0_E_clISt17integral_constantIbLb1EESV_IbLb0EEEEDaSR_SS_EUlSR_E0_NS1_11comp_targetILNS1_3genE4ELNS1_11target_archE910ELNS1_3gpuE8ELNS1_3repE0EEENS1_30default_config_static_selectorELNS0_4arch9wavefront6targetE1EEEvT1_,"axG",@progbits,_ZN7rocprim17ROCPRIM_400000_NS6detail17trampoline_kernelINS0_14default_configENS1_20scan_config_selectorIjEEZZNS1_9scan_implILNS1_25lookback_scan_determinismE0ELb0ELb0ES3_N6thrust23THRUST_200600_302600_NS6detail15normal_iteratorINS9_10device_ptrIjEEEENSB_INSC_IfEEEEjNS9_4plusIvEEjEEDaPvRmT3_T4_T5_mT6_P12ihipStream_tbENKUlT_T0_E_clISt17integral_constantIbLb1EESV_IbLb0EEEEDaSR_SS_EUlSR_E0_NS1_11comp_targetILNS1_3genE4ELNS1_11target_archE910ELNS1_3gpuE8ELNS1_3repE0EEENS1_30default_config_static_selectorELNS0_4arch9wavefront6targetE1EEEvT1_,comdat
	.protected	_ZN7rocprim17ROCPRIM_400000_NS6detail17trampoline_kernelINS0_14default_configENS1_20scan_config_selectorIjEEZZNS1_9scan_implILNS1_25lookback_scan_determinismE0ELb0ELb0ES3_N6thrust23THRUST_200600_302600_NS6detail15normal_iteratorINS9_10device_ptrIjEEEENSB_INSC_IfEEEEjNS9_4plusIvEEjEEDaPvRmT3_T4_T5_mT6_P12ihipStream_tbENKUlT_T0_E_clISt17integral_constantIbLb1EESV_IbLb0EEEEDaSR_SS_EUlSR_E0_NS1_11comp_targetILNS1_3genE4ELNS1_11target_archE910ELNS1_3gpuE8ELNS1_3repE0EEENS1_30default_config_static_selectorELNS0_4arch9wavefront6targetE1EEEvT1_ ; -- Begin function _ZN7rocprim17ROCPRIM_400000_NS6detail17trampoline_kernelINS0_14default_configENS1_20scan_config_selectorIjEEZZNS1_9scan_implILNS1_25lookback_scan_determinismE0ELb0ELb0ES3_N6thrust23THRUST_200600_302600_NS6detail15normal_iteratorINS9_10device_ptrIjEEEENSB_INSC_IfEEEEjNS9_4plusIvEEjEEDaPvRmT3_T4_T5_mT6_P12ihipStream_tbENKUlT_T0_E_clISt17integral_constantIbLb1EESV_IbLb0EEEEDaSR_SS_EUlSR_E0_NS1_11comp_targetILNS1_3genE4ELNS1_11target_archE910ELNS1_3gpuE8ELNS1_3repE0EEENS1_30default_config_static_selectorELNS0_4arch9wavefront6targetE1EEEvT1_
	.globl	_ZN7rocprim17ROCPRIM_400000_NS6detail17trampoline_kernelINS0_14default_configENS1_20scan_config_selectorIjEEZZNS1_9scan_implILNS1_25lookback_scan_determinismE0ELb0ELb0ES3_N6thrust23THRUST_200600_302600_NS6detail15normal_iteratorINS9_10device_ptrIjEEEENSB_INSC_IfEEEEjNS9_4plusIvEEjEEDaPvRmT3_T4_T5_mT6_P12ihipStream_tbENKUlT_T0_E_clISt17integral_constantIbLb1EESV_IbLb0EEEEDaSR_SS_EUlSR_E0_NS1_11comp_targetILNS1_3genE4ELNS1_11target_archE910ELNS1_3gpuE8ELNS1_3repE0EEENS1_30default_config_static_selectorELNS0_4arch9wavefront6targetE1EEEvT1_
	.p2align	8
	.type	_ZN7rocprim17ROCPRIM_400000_NS6detail17trampoline_kernelINS0_14default_configENS1_20scan_config_selectorIjEEZZNS1_9scan_implILNS1_25lookback_scan_determinismE0ELb0ELb0ES3_N6thrust23THRUST_200600_302600_NS6detail15normal_iteratorINS9_10device_ptrIjEEEENSB_INSC_IfEEEEjNS9_4plusIvEEjEEDaPvRmT3_T4_T5_mT6_P12ihipStream_tbENKUlT_T0_E_clISt17integral_constantIbLb1EESV_IbLb0EEEEDaSR_SS_EUlSR_E0_NS1_11comp_targetILNS1_3genE4ELNS1_11target_archE910ELNS1_3gpuE8ELNS1_3repE0EEENS1_30default_config_static_selectorELNS0_4arch9wavefront6targetE1EEEvT1_,@function
_ZN7rocprim17ROCPRIM_400000_NS6detail17trampoline_kernelINS0_14default_configENS1_20scan_config_selectorIjEEZZNS1_9scan_implILNS1_25lookback_scan_determinismE0ELb0ELb0ES3_N6thrust23THRUST_200600_302600_NS6detail15normal_iteratorINS9_10device_ptrIjEEEENSB_INSC_IfEEEEjNS9_4plusIvEEjEEDaPvRmT3_T4_T5_mT6_P12ihipStream_tbENKUlT_T0_E_clISt17integral_constantIbLb1EESV_IbLb0EEEEDaSR_SS_EUlSR_E0_NS1_11comp_targetILNS1_3genE4ELNS1_11target_archE910ELNS1_3gpuE8ELNS1_3repE0EEENS1_30default_config_static_selectorELNS0_4arch9wavefront6targetE1EEEvT1_: ; @_ZN7rocprim17ROCPRIM_400000_NS6detail17trampoline_kernelINS0_14default_configENS1_20scan_config_selectorIjEEZZNS1_9scan_implILNS1_25lookback_scan_determinismE0ELb0ELb0ES3_N6thrust23THRUST_200600_302600_NS6detail15normal_iteratorINS9_10device_ptrIjEEEENSB_INSC_IfEEEEjNS9_4plusIvEEjEEDaPvRmT3_T4_T5_mT6_P12ihipStream_tbENKUlT_T0_E_clISt17integral_constantIbLb1EESV_IbLb0EEEEDaSR_SS_EUlSR_E0_NS1_11comp_targetILNS1_3genE4ELNS1_11target_archE910ELNS1_3gpuE8ELNS1_3repE0EEENS1_30default_config_static_selectorELNS0_4arch9wavefront6targetE1EEEvT1_
; %bb.0:
	s_load_dwordx4 s[20:23], s[4:5], 0x0
	v_lshlrev_b32_e32 v20, 2, v0
	s_waitcnt lgkmcnt(0)
	s_load_dword s23, s[20:21], 0x0
	v_cmp_gt_u32_e32 vcc, s22, v0
	s_waitcnt lgkmcnt(0)
	v_mov_b32_e32 v1, s23
	s_and_saveexec_b64 s[0:1], vcc
	s_cbranch_execz .LBB6062_2
; %bb.1:
	global_load_dword v1, v20, s[20:21]
.LBB6062_2:
	s_or_b64 exec, exec, s[0:1]
	v_or_b32_e32 v2, 0x80, v0
	v_cmp_gt_u32_e64 s[0:1], s22, v2
	v_mov_b32_e32 v2, s23
	s_and_saveexec_b64 s[2:3], s[0:1]
	s_cbranch_execz .LBB6062_4
; %bb.3:
	global_load_dword v2, v20, s[20:21] offset:512
.LBB6062_4:
	s_or_b64 exec, exec, s[2:3]
	v_or_b32_e32 v3, 0x100, v0
	v_cmp_gt_u32_e64 s[2:3], s22, v3
	v_mov_b32_e32 v3, s23
	s_and_saveexec_b64 s[6:7], s[2:3]
	s_cbranch_execz .LBB6062_6
; %bb.5:
	global_load_dword v3, v20, s[20:21] offset:1024
.LBB6062_6:
	;; [unrolled: 9-line block ×7, first 2 shown]
	s_or_b64 exec, exec, s[14:15]
	v_or_b32_e32 v10, 0x400, v0
	v_cmp_gt_u32_e64 s[14:15], s22, v10
	v_mov_b32_e32 v9, s23
	s_and_saveexec_b64 s[16:17], s[14:15]
	s_cbranch_execz .LBB6062_18
; %bb.17:
	v_lshlrev_b32_e32 v9, 2, v10
	global_load_dword v9, v9, s[20:21]
.LBB6062_18:
	s_or_b64 exec, exec, s[16:17]
	v_or_b32_e32 v11, 0x480, v0
	v_cmp_gt_u32_e64 s[16:17], s22, v11
	v_mov_b32_e32 v10, s23
	s_and_saveexec_b64 s[22:23], s[16:17]
	s_cbranch_execz .LBB6062_20
; %bb.19:
	v_lshlrev_b32_e32 v10, 2, v11
	global_load_dword v10, v10, s[20:21]
.LBB6062_20:
	s_or_b64 exec, exec, s[22:23]
	s_waitcnt vmcnt(0)
	ds_write2st64_b32 v20, v1, v2 offset1:2
	ds_write2st64_b32 v20, v3, v4 offset0:4 offset1:6
	ds_write2st64_b32 v20, v5, v6 offset0:8 offset1:10
	;; [unrolled: 1-line block ×4, first 2 shown]
	v_mad_u32_u24 v1, v0, 36, v20
	s_waitcnt lgkmcnt(0)
	s_barrier
	ds_read2_b64 v[6:9], v1 offset1:1
	ds_read2_b64 v[2:5], v1 offset0:2 offset1:3
	ds_read_b64 v[18:19], v1 offset:32
	v_lshrrev_b32_e32 v21, 3, v0
	v_and_b32_e32 v21, 12, v21
	s_waitcnt lgkmcnt(2)
	v_add_u32_e32 v1, v7, v6
	v_add_u32_e32 v14, v1, v8
	;; [unrolled: 1-line block ×3, first 2 shown]
	s_waitcnt lgkmcnt(1)
	v_add_u32_e32 v10, v15, v2
	v_add_u32_e32 v11, v10, v3
	;; [unrolled: 1-line block ×4, first 2 shown]
	s_waitcnt lgkmcnt(0)
	v_add_u32_e32 v16, v13, v18
	v_add_u32_e32 v17, v16, v19
	;; [unrolled: 1-line block ×3, first 2 shown]
	v_cmp_gt_u32_e64 s[20:21], 64, v0
	s_barrier
	ds_write_b32 v21, v17
	s_waitcnt lgkmcnt(0)
	s_barrier
	s_and_saveexec_b64 s[22:23], s[20:21]
	s_cbranch_execz .LBB6062_22
; %bb.21:
	v_lshlrev_b32_e32 v21, 1, v0
	v_lshrrev_b32_e32 v22, 4, v0
	v_add_lshl_u32 v21, v22, v21, 2
	ds_read2_b32 v[22:23], v21 offset1:1
	v_mbcnt_lo_u32_b32 v24, -1, 0
	v_mbcnt_hi_u32_b32 v24, -1, v24
	v_and_b32_e32 v25, 15, v24
	v_cmp_ne_u32_e64 s[20:21], 0, v25
	s_waitcnt lgkmcnt(0)
	v_add_u32_e32 v23, v23, v22
	; wave barrier
	s_nop 1
	v_mov_b32_dpp v26, v23 row_shr:1 row_mask:0xf bank_mask:0xf
	v_cndmask_b32_e64 v26, 0, v26, s[20:21]
	v_add_u32_e32 v23, v26, v23
	v_cmp_lt_u32_e64 s[20:21], 1, v25
	s_nop 0
	v_mov_b32_dpp v26, v23 row_shr:2 row_mask:0xf bank_mask:0xf
	v_cndmask_b32_e64 v26, 0, v26, s[20:21]
	v_add_u32_e32 v23, v23, v26
	v_cmp_lt_u32_e64 s[20:21], 3, v25
	;; [unrolled: 5-line block ×3, first 2 shown]
	s_nop 0
	v_mov_b32_dpp v26, v23 row_shr:8 row_mask:0xf bank_mask:0xf
	v_cndmask_b32_e64 v25, 0, v26, s[20:21]
	v_add_u32_e32 v23, v23, v25
	v_bfe_i32 v26, v24, 4, 1
	v_cmp_lt_u32_e64 s[20:21], 31, v24
	v_mov_b32_dpp v25, v23 row_bcast:15 row_mask:0xf bank_mask:0xf
	v_and_b32_e32 v25, v26, v25
	v_add_u32_e32 v23, v23, v25
	v_and_b32_e32 v26, 64, v24
	s_nop 0
	v_mov_b32_dpp v25, v23 row_bcast:31 row_mask:0xf bank_mask:0xf
	v_cndmask_b32_e64 v25, 0, v25, s[20:21]
	v_add_u32_e32 v23, v23, v25
	v_add_u32_e32 v25, -1, v24
	v_cmp_lt_i32_e64 s[20:21], v25, v26
	v_cndmask_b32_e64 v24, v25, v24, s[20:21]
	v_lshlrev_b32_e32 v24, 2, v24
	ds_bpermute_b32 v23, v24, v23
	v_cmp_eq_u32_e64 s[20:21], 0, v0
	s_waitcnt lgkmcnt(0)
	v_add_u32_e32 v22, v23, v22
	v_cndmask_b32_e64 v22, v22, v17, s[20:21]
	ds_write_b32 v21, v22
	; wave barrier
	ds_read_b32 v23, v21 offset:4
	s_waitcnt lgkmcnt(0)
	v_add_u32_e32 v22, v23, v22
	ds_write_b32 v21, v22 offset:4
.LBB6062_22:
	s_or_b64 exec, exec, s[22:23]
	s_load_dwordx2 s[20:21], s[4:5], 0x18
	v_cmp_ne_u32_e64 s[4:5], 0, v0
	v_mov_b32_e32 v22, v17
	s_waitcnt lgkmcnt(0)
	s_barrier
	s_and_saveexec_b64 s[22:23], s[4:5]
	s_cbranch_execz .LBB6062_24
; %bb.23:
	v_add_u32_e32 v21, -1, v0
	v_lshrrev_b32_e32 v22, 5, v21
	v_add_lshl_u32 v21, v22, v21, 2
	ds_read_b32 v22, v21
.LBB6062_24:
	s_or_b64 exec, exec, s[22:23]
	v_mul_u32_u24_e32 v21, 36, v0
	v_mov_b32_e32 v0, v6
	s_and_saveexec_b64 s[22:23], s[4:5]
	s_cbranch_execz .LBB6062_26
; %bb.25:
	s_waitcnt lgkmcnt(0)
	v_add_u32_e32 v0, v22, v6
	v_add_u32_e32 v1, v0, v7
	;; [unrolled: 1-line block ×10, first 2 shown]
	;;#ASMSTART
	;;#ASMEND
.LBB6062_26:
	s_or_b64 exec, exec, s[22:23]
	v_add_u32_e32 v2, v20, v21
	s_waitcnt lgkmcnt(0)
	s_barrier
	ds_write2_b64 v2, v[0:1], v[14:15] offset1:1
	ds_write2_b64 v2, v[10:11], v[12:13] offset0:2 offset1:3
	ds_write_b64 v2, v[16:17] offset:32
	s_waitcnt lgkmcnt(0)
	s_barrier
	ds_read2st64_b32 v[8:9], v20 offset0:2 offset1:4
	ds_read2st64_b32 v[6:7], v20 offset0:6 offset1:8
	;; [unrolled: 1-line block ×4, first 2 shown]
	ds_read_b32 v10, v20 offset:4608
	v_mov_b32_e32 v1, s21
	v_add_co_u32_e64 v0, s[4:5], s20, v20
	v_addc_co_u32_e64 v1, s[4:5], 0, v1, s[4:5]
	s_and_saveexec_b64 s[4:5], vcc
	s_cbranch_execnz .LBB6062_37
; %bb.27:
	s_or_b64 exec, exec, s[4:5]
	s_and_saveexec_b64 s[4:5], s[0:1]
	s_cbranch_execnz .LBB6062_38
.LBB6062_28:
	s_or_b64 exec, exec, s[4:5]
	s_and_saveexec_b64 s[0:1], s[2:3]
	s_cbranch_execnz .LBB6062_39
.LBB6062_29:
	s_or_b64 exec, exec, s[0:1]
	s_and_saveexec_b64 s[0:1], s[18:19]
	s_cbranch_execnz .LBB6062_40
.LBB6062_30:
	s_or_b64 exec, exec, s[0:1]
	s_and_saveexec_b64 s[0:1], s[6:7]
	s_cbranch_execnz .LBB6062_41
.LBB6062_31:
	s_or_b64 exec, exec, s[0:1]
	s_and_saveexec_b64 s[0:1], s[8:9]
	s_cbranch_execnz .LBB6062_42
.LBB6062_32:
	s_or_b64 exec, exec, s[0:1]
	s_and_saveexec_b64 s[0:1], s[10:11]
	s_cbranch_execnz .LBB6062_43
.LBB6062_33:
	s_or_b64 exec, exec, s[0:1]
	s_and_saveexec_b64 s[0:1], s[12:13]
	s_cbranch_execnz .LBB6062_44
.LBB6062_34:
	s_or_b64 exec, exec, s[0:1]
	s_and_saveexec_b64 s[0:1], s[14:15]
	s_cbranch_execnz .LBB6062_45
.LBB6062_35:
	s_or_b64 exec, exec, s[0:1]
	s_and_saveexec_b64 s[0:1], s[16:17]
	s_cbranch_execnz .LBB6062_46
.LBB6062_36:
	s_endpgm
.LBB6062_37:
	ds_read_b32 v11, v20
	s_waitcnt lgkmcnt(0)
	v_cvt_f32_u32_e32 v11, v11
	global_store_dword v[0:1], v11, off
	s_or_b64 exec, exec, s[4:5]
	s_and_saveexec_b64 s[4:5], s[0:1]
	s_cbranch_execz .LBB6062_28
.LBB6062_38:
	s_waitcnt lgkmcnt(4)
	v_cvt_f32_u32_e32 v8, v8
	global_store_dword v[0:1], v8, off offset:512
	s_or_b64 exec, exec, s[4:5]
	s_and_saveexec_b64 s[0:1], s[2:3]
	s_cbranch_execz .LBB6062_29
.LBB6062_39:
	s_waitcnt lgkmcnt(4)
	v_cvt_f32_u32_e32 v8, v9
	global_store_dword v[0:1], v8, off offset:1024
	s_or_b64 exec, exec, s[0:1]
	s_and_saveexec_b64 s[0:1], s[18:19]
	s_cbranch_execz .LBB6062_30
.LBB6062_40:
	s_waitcnt lgkmcnt(3)
	v_cvt_f32_u32_e32 v6, v6
	global_store_dword v[0:1], v6, off offset:1536
	s_or_b64 exec, exec, s[0:1]
	s_and_saveexec_b64 s[0:1], s[6:7]
	s_cbranch_execz .LBB6062_31
.LBB6062_41:
	s_waitcnt lgkmcnt(3)
	v_cvt_f32_u32_e32 v6, v7
	global_store_dword v[0:1], v6, off offset:2048
	s_or_b64 exec, exec, s[0:1]
	s_and_saveexec_b64 s[0:1], s[8:9]
	s_cbranch_execz .LBB6062_32
.LBB6062_42:
	s_waitcnt lgkmcnt(2)
	v_cvt_f32_u32_e32 v4, v4
	global_store_dword v[0:1], v4, off offset:2560
	s_or_b64 exec, exec, s[0:1]
	s_and_saveexec_b64 s[0:1], s[10:11]
	s_cbranch_execz .LBB6062_33
.LBB6062_43:
	s_waitcnt lgkmcnt(2)
	v_cvt_f32_u32_e32 v4, v5
	global_store_dword v[0:1], v4, off offset:3072
	s_or_b64 exec, exec, s[0:1]
	s_and_saveexec_b64 s[0:1], s[12:13]
	s_cbranch_execz .LBB6062_34
.LBB6062_44:
	s_waitcnt lgkmcnt(1)
	v_cvt_f32_u32_e32 v2, v2
	global_store_dword v[0:1], v2, off offset:3584
	s_or_b64 exec, exec, s[0:1]
	s_and_saveexec_b64 s[0:1], s[14:15]
	s_cbranch_execz .LBB6062_35
.LBB6062_45:
	s_waitcnt lgkmcnt(1)
	v_cvt_f32_u32_e32 v4, v3
	v_add_co_u32_e32 v2, vcc, 0x1000, v0
	v_addc_co_u32_e32 v3, vcc, 0, v1, vcc
	global_store_dword v[2:3], v4, off
	s_or_b64 exec, exec, s[0:1]
	s_and_saveexec_b64 s[0:1], s[16:17]
	s_cbranch_execz .LBB6062_36
.LBB6062_46:
	s_waitcnt lgkmcnt(0)
	v_cvt_f32_u32_e32 v2, v10
	v_add_co_u32_e32 v0, vcc, 0x1000, v0
	v_addc_co_u32_e32 v1, vcc, 0, v1, vcc
	global_store_dword v[0:1], v2, off offset:512
	s_endpgm
	.section	.rodata,"a",@progbits
	.p2align	6, 0x0
	.amdhsa_kernel _ZN7rocprim17ROCPRIM_400000_NS6detail17trampoline_kernelINS0_14default_configENS1_20scan_config_selectorIjEEZZNS1_9scan_implILNS1_25lookback_scan_determinismE0ELb0ELb0ES3_N6thrust23THRUST_200600_302600_NS6detail15normal_iteratorINS9_10device_ptrIjEEEENSB_INSC_IfEEEEjNS9_4plusIvEEjEEDaPvRmT3_T4_T5_mT6_P12ihipStream_tbENKUlT_T0_E_clISt17integral_constantIbLb1EESV_IbLb0EEEEDaSR_SS_EUlSR_E0_NS1_11comp_targetILNS1_3genE4ELNS1_11target_archE910ELNS1_3gpuE8ELNS1_3repE0EEENS1_30default_config_static_selectorELNS0_4arch9wavefront6targetE1EEEvT1_
		.amdhsa_group_segment_fixed_size 5120
		.amdhsa_private_segment_fixed_size 0
		.amdhsa_kernarg_size 32
		.amdhsa_user_sgpr_count 6
		.amdhsa_user_sgpr_private_segment_buffer 1
		.amdhsa_user_sgpr_dispatch_ptr 0
		.amdhsa_user_sgpr_queue_ptr 0
		.amdhsa_user_sgpr_kernarg_segment_ptr 1
		.amdhsa_user_sgpr_dispatch_id 0
		.amdhsa_user_sgpr_flat_scratch_init 0
		.amdhsa_user_sgpr_kernarg_preload_length 0
		.amdhsa_user_sgpr_kernarg_preload_offset 0
		.amdhsa_user_sgpr_private_segment_size 0
		.amdhsa_uses_dynamic_stack 0
		.amdhsa_system_sgpr_private_segment_wavefront_offset 0
		.amdhsa_system_sgpr_workgroup_id_x 1
		.amdhsa_system_sgpr_workgroup_id_y 0
		.amdhsa_system_sgpr_workgroup_id_z 0
		.amdhsa_system_sgpr_workgroup_info 0
		.amdhsa_system_vgpr_workitem_id 0
		.amdhsa_next_free_vgpr 27
		.amdhsa_next_free_sgpr 24
		.amdhsa_accum_offset 28
		.amdhsa_reserve_vcc 1
		.amdhsa_reserve_flat_scratch 0
		.amdhsa_float_round_mode_32 0
		.amdhsa_float_round_mode_16_64 0
		.amdhsa_float_denorm_mode_32 3
		.amdhsa_float_denorm_mode_16_64 3
		.amdhsa_dx10_clamp 1
		.amdhsa_ieee_mode 1
		.amdhsa_fp16_overflow 0
		.amdhsa_tg_split 0
		.amdhsa_exception_fp_ieee_invalid_op 0
		.amdhsa_exception_fp_denorm_src 0
		.amdhsa_exception_fp_ieee_div_zero 0
		.amdhsa_exception_fp_ieee_overflow 0
		.amdhsa_exception_fp_ieee_underflow 0
		.amdhsa_exception_fp_ieee_inexact 0
		.amdhsa_exception_int_div_zero 0
	.end_amdhsa_kernel
	.section	.text._ZN7rocprim17ROCPRIM_400000_NS6detail17trampoline_kernelINS0_14default_configENS1_20scan_config_selectorIjEEZZNS1_9scan_implILNS1_25lookback_scan_determinismE0ELb0ELb0ES3_N6thrust23THRUST_200600_302600_NS6detail15normal_iteratorINS9_10device_ptrIjEEEENSB_INSC_IfEEEEjNS9_4plusIvEEjEEDaPvRmT3_T4_T5_mT6_P12ihipStream_tbENKUlT_T0_E_clISt17integral_constantIbLb1EESV_IbLb0EEEEDaSR_SS_EUlSR_E0_NS1_11comp_targetILNS1_3genE4ELNS1_11target_archE910ELNS1_3gpuE8ELNS1_3repE0EEENS1_30default_config_static_selectorELNS0_4arch9wavefront6targetE1EEEvT1_,"axG",@progbits,_ZN7rocprim17ROCPRIM_400000_NS6detail17trampoline_kernelINS0_14default_configENS1_20scan_config_selectorIjEEZZNS1_9scan_implILNS1_25lookback_scan_determinismE0ELb0ELb0ES3_N6thrust23THRUST_200600_302600_NS6detail15normal_iteratorINS9_10device_ptrIjEEEENSB_INSC_IfEEEEjNS9_4plusIvEEjEEDaPvRmT3_T4_T5_mT6_P12ihipStream_tbENKUlT_T0_E_clISt17integral_constantIbLb1EESV_IbLb0EEEEDaSR_SS_EUlSR_E0_NS1_11comp_targetILNS1_3genE4ELNS1_11target_archE910ELNS1_3gpuE8ELNS1_3repE0EEENS1_30default_config_static_selectorELNS0_4arch9wavefront6targetE1EEEvT1_,comdat
.Lfunc_end6062:
	.size	_ZN7rocprim17ROCPRIM_400000_NS6detail17trampoline_kernelINS0_14default_configENS1_20scan_config_selectorIjEEZZNS1_9scan_implILNS1_25lookback_scan_determinismE0ELb0ELb0ES3_N6thrust23THRUST_200600_302600_NS6detail15normal_iteratorINS9_10device_ptrIjEEEENSB_INSC_IfEEEEjNS9_4plusIvEEjEEDaPvRmT3_T4_T5_mT6_P12ihipStream_tbENKUlT_T0_E_clISt17integral_constantIbLb1EESV_IbLb0EEEEDaSR_SS_EUlSR_E0_NS1_11comp_targetILNS1_3genE4ELNS1_11target_archE910ELNS1_3gpuE8ELNS1_3repE0EEENS1_30default_config_static_selectorELNS0_4arch9wavefront6targetE1EEEvT1_, .Lfunc_end6062-_ZN7rocprim17ROCPRIM_400000_NS6detail17trampoline_kernelINS0_14default_configENS1_20scan_config_selectorIjEEZZNS1_9scan_implILNS1_25lookback_scan_determinismE0ELb0ELb0ES3_N6thrust23THRUST_200600_302600_NS6detail15normal_iteratorINS9_10device_ptrIjEEEENSB_INSC_IfEEEEjNS9_4plusIvEEjEEDaPvRmT3_T4_T5_mT6_P12ihipStream_tbENKUlT_T0_E_clISt17integral_constantIbLb1EESV_IbLb0EEEEDaSR_SS_EUlSR_E0_NS1_11comp_targetILNS1_3genE4ELNS1_11target_archE910ELNS1_3gpuE8ELNS1_3repE0EEENS1_30default_config_static_selectorELNS0_4arch9wavefront6targetE1EEEvT1_
                                        ; -- End function
	.section	.AMDGPU.csdata,"",@progbits
; Kernel info:
; codeLenInByte = 1592
; NumSgprs: 28
; NumVgprs: 27
; NumAgprs: 0
; TotalNumVgprs: 27
; ScratchSize: 0
; MemoryBound: 0
; FloatMode: 240
; IeeeMode: 1
; LDSByteSize: 5120 bytes/workgroup (compile time only)
; SGPRBlocks: 3
; VGPRBlocks: 3
; NumSGPRsForWavesPerEU: 28
; NumVGPRsForWavesPerEU: 27
; AccumOffset: 28
; Occupancy: 6
; WaveLimiterHint : 0
; COMPUTE_PGM_RSRC2:SCRATCH_EN: 0
; COMPUTE_PGM_RSRC2:USER_SGPR: 6
; COMPUTE_PGM_RSRC2:TRAP_HANDLER: 0
; COMPUTE_PGM_RSRC2:TGID_X_EN: 1
; COMPUTE_PGM_RSRC2:TGID_Y_EN: 0
; COMPUTE_PGM_RSRC2:TGID_Z_EN: 0
; COMPUTE_PGM_RSRC2:TIDIG_COMP_CNT: 0
; COMPUTE_PGM_RSRC3_GFX90A:ACCUM_OFFSET: 6
; COMPUTE_PGM_RSRC3_GFX90A:TG_SPLIT: 0
	.section	.text._ZN7rocprim17ROCPRIM_400000_NS6detail17trampoline_kernelINS0_14default_configENS1_20scan_config_selectorIjEEZZNS1_9scan_implILNS1_25lookback_scan_determinismE0ELb0ELb0ES3_N6thrust23THRUST_200600_302600_NS6detail15normal_iteratorINS9_10device_ptrIjEEEENSB_INSC_IfEEEEjNS9_4plusIvEEjEEDaPvRmT3_T4_T5_mT6_P12ihipStream_tbENKUlT_T0_E_clISt17integral_constantIbLb1EESV_IbLb0EEEEDaSR_SS_EUlSR_E0_NS1_11comp_targetILNS1_3genE3ELNS1_11target_archE908ELNS1_3gpuE7ELNS1_3repE0EEENS1_30default_config_static_selectorELNS0_4arch9wavefront6targetE1EEEvT1_,"axG",@progbits,_ZN7rocprim17ROCPRIM_400000_NS6detail17trampoline_kernelINS0_14default_configENS1_20scan_config_selectorIjEEZZNS1_9scan_implILNS1_25lookback_scan_determinismE0ELb0ELb0ES3_N6thrust23THRUST_200600_302600_NS6detail15normal_iteratorINS9_10device_ptrIjEEEENSB_INSC_IfEEEEjNS9_4plusIvEEjEEDaPvRmT3_T4_T5_mT6_P12ihipStream_tbENKUlT_T0_E_clISt17integral_constantIbLb1EESV_IbLb0EEEEDaSR_SS_EUlSR_E0_NS1_11comp_targetILNS1_3genE3ELNS1_11target_archE908ELNS1_3gpuE7ELNS1_3repE0EEENS1_30default_config_static_selectorELNS0_4arch9wavefront6targetE1EEEvT1_,comdat
	.protected	_ZN7rocprim17ROCPRIM_400000_NS6detail17trampoline_kernelINS0_14default_configENS1_20scan_config_selectorIjEEZZNS1_9scan_implILNS1_25lookback_scan_determinismE0ELb0ELb0ES3_N6thrust23THRUST_200600_302600_NS6detail15normal_iteratorINS9_10device_ptrIjEEEENSB_INSC_IfEEEEjNS9_4plusIvEEjEEDaPvRmT3_T4_T5_mT6_P12ihipStream_tbENKUlT_T0_E_clISt17integral_constantIbLb1EESV_IbLb0EEEEDaSR_SS_EUlSR_E0_NS1_11comp_targetILNS1_3genE3ELNS1_11target_archE908ELNS1_3gpuE7ELNS1_3repE0EEENS1_30default_config_static_selectorELNS0_4arch9wavefront6targetE1EEEvT1_ ; -- Begin function _ZN7rocprim17ROCPRIM_400000_NS6detail17trampoline_kernelINS0_14default_configENS1_20scan_config_selectorIjEEZZNS1_9scan_implILNS1_25lookback_scan_determinismE0ELb0ELb0ES3_N6thrust23THRUST_200600_302600_NS6detail15normal_iteratorINS9_10device_ptrIjEEEENSB_INSC_IfEEEEjNS9_4plusIvEEjEEDaPvRmT3_T4_T5_mT6_P12ihipStream_tbENKUlT_T0_E_clISt17integral_constantIbLb1EESV_IbLb0EEEEDaSR_SS_EUlSR_E0_NS1_11comp_targetILNS1_3genE3ELNS1_11target_archE908ELNS1_3gpuE7ELNS1_3repE0EEENS1_30default_config_static_selectorELNS0_4arch9wavefront6targetE1EEEvT1_
	.globl	_ZN7rocprim17ROCPRIM_400000_NS6detail17trampoline_kernelINS0_14default_configENS1_20scan_config_selectorIjEEZZNS1_9scan_implILNS1_25lookback_scan_determinismE0ELb0ELb0ES3_N6thrust23THRUST_200600_302600_NS6detail15normal_iteratorINS9_10device_ptrIjEEEENSB_INSC_IfEEEEjNS9_4plusIvEEjEEDaPvRmT3_T4_T5_mT6_P12ihipStream_tbENKUlT_T0_E_clISt17integral_constantIbLb1EESV_IbLb0EEEEDaSR_SS_EUlSR_E0_NS1_11comp_targetILNS1_3genE3ELNS1_11target_archE908ELNS1_3gpuE7ELNS1_3repE0EEENS1_30default_config_static_selectorELNS0_4arch9wavefront6targetE1EEEvT1_
	.p2align	8
	.type	_ZN7rocprim17ROCPRIM_400000_NS6detail17trampoline_kernelINS0_14default_configENS1_20scan_config_selectorIjEEZZNS1_9scan_implILNS1_25lookback_scan_determinismE0ELb0ELb0ES3_N6thrust23THRUST_200600_302600_NS6detail15normal_iteratorINS9_10device_ptrIjEEEENSB_INSC_IfEEEEjNS9_4plusIvEEjEEDaPvRmT3_T4_T5_mT6_P12ihipStream_tbENKUlT_T0_E_clISt17integral_constantIbLb1EESV_IbLb0EEEEDaSR_SS_EUlSR_E0_NS1_11comp_targetILNS1_3genE3ELNS1_11target_archE908ELNS1_3gpuE7ELNS1_3repE0EEENS1_30default_config_static_selectorELNS0_4arch9wavefront6targetE1EEEvT1_,@function
_ZN7rocprim17ROCPRIM_400000_NS6detail17trampoline_kernelINS0_14default_configENS1_20scan_config_selectorIjEEZZNS1_9scan_implILNS1_25lookback_scan_determinismE0ELb0ELb0ES3_N6thrust23THRUST_200600_302600_NS6detail15normal_iteratorINS9_10device_ptrIjEEEENSB_INSC_IfEEEEjNS9_4plusIvEEjEEDaPvRmT3_T4_T5_mT6_P12ihipStream_tbENKUlT_T0_E_clISt17integral_constantIbLb1EESV_IbLb0EEEEDaSR_SS_EUlSR_E0_NS1_11comp_targetILNS1_3genE3ELNS1_11target_archE908ELNS1_3gpuE7ELNS1_3repE0EEENS1_30default_config_static_selectorELNS0_4arch9wavefront6targetE1EEEvT1_: ; @_ZN7rocprim17ROCPRIM_400000_NS6detail17trampoline_kernelINS0_14default_configENS1_20scan_config_selectorIjEEZZNS1_9scan_implILNS1_25lookback_scan_determinismE0ELb0ELb0ES3_N6thrust23THRUST_200600_302600_NS6detail15normal_iteratorINS9_10device_ptrIjEEEENSB_INSC_IfEEEEjNS9_4plusIvEEjEEDaPvRmT3_T4_T5_mT6_P12ihipStream_tbENKUlT_T0_E_clISt17integral_constantIbLb1EESV_IbLb0EEEEDaSR_SS_EUlSR_E0_NS1_11comp_targetILNS1_3genE3ELNS1_11target_archE908ELNS1_3gpuE7ELNS1_3repE0EEENS1_30default_config_static_selectorELNS0_4arch9wavefront6targetE1EEEvT1_
; %bb.0:
	.section	.rodata,"a",@progbits
	.p2align	6, 0x0
	.amdhsa_kernel _ZN7rocprim17ROCPRIM_400000_NS6detail17trampoline_kernelINS0_14default_configENS1_20scan_config_selectorIjEEZZNS1_9scan_implILNS1_25lookback_scan_determinismE0ELb0ELb0ES3_N6thrust23THRUST_200600_302600_NS6detail15normal_iteratorINS9_10device_ptrIjEEEENSB_INSC_IfEEEEjNS9_4plusIvEEjEEDaPvRmT3_T4_T5_mT6_P12ihipStream_tbENKUlT_T0_E_clISt17integral_constantIbLb1EESV_IbLb0EEEEDaSR_SS_EUlSR_E0_NS1_11comp_targetILNS1_3genE3ELNS1_11target_archE908ELNS1_3gpuE7ELNS1_3repE0EEENS1_30default_config_static_selectorELNS0_4arch9wavefront6targetE1EEEvT1_
		.amdhsa_group_segment_fixed_size 0
		.amdhsa_private_segment_fixed_size 0
		.amdhsa_kernarg_size 32
		.amdhsa_user_sgpr_count 6
		.amdhsa_user_sgpr_private_segment_buffer 1
		.amdhsa_user_sgpr_dispatch_ptr 0
		.amdhsa_user_sgpr_queue_ptr 0
		.amdhsa_user_sgpr_kernarg_segment_ptr 1
		.amdhsa_user_sgpr_dispatch_id 0
		.amdhsa_user_sgpr_flat_scratch_init 0
		.amdhsa_user_sgpr_kernarg_preload_length 0
		.amdhsa_user_sgpr_kernarg_preload_offset 0
		.amdhsa_user_sgpr_private_segment_size 0
		.amdhsa_uses_dynamic_stack 0
		.amdhsa_system_sgpr_private_segment_wavefront_offset 0
		.amdhsa_system_sgpr_workgroup_id_x 1
		.amdhsa_system_sgpr_workgroup_id_y 0
		.amdhsa_system_sgpr_workgroup_id_z 0
		.amdhsa_system_sgpr_workgroup_info 0
		.amdhsa_system_vgpr_workitem_id 0
		.amdhsa_next_free_vgpr 1
		.amdhsa_next_free_sgpr 0
		.amdhsa_accum_offset 4
		.amdhsa_reserve_vcc 0
		.amdhsa_reserve_flat_scratch 0
		.amdhsa_float_round_mode_32 0
		.amdhsa_float_round_mode_16_64 0
		.amdhsa_float_denorm_mode_32 3
		.amdhsa_float_denorm_mode_16_64 3
		.amdhsa_dx10_clamp 1
		.amdhsa_ieee_mode 1
		.amdhsa_fp16_overflow 0
		.amdhsa_tg_split 0
		.amdhsa_exception_fp_ieee_invalid_op 0
		.amdhsa_exception_fp_denorm_src 0
		.amdhsa_exception_fp_ieee_div_zero 0
		.amdhsa_exception_fp_ieee_overflow 0
		.amdhsa_exception_fp_ieee_underflow 0
		.amdhsa_exception_fp_ieee_inexact 0
		.amdhsa_exception_int_div_zero 0
	.end_amdhsa_kernel
	.section	.text._ZN7rocprim17ROCPRIM_400000_NS6detail17trampoline_kernelINS0_14default_configENS1_20scan_config_selectorIjEEZZNS1_9scan_implILNS1_25lookback_scan_determinismE0ELb0ELb0ES3_N6thrust23THRUST_200600_302600_NS6detail15normal_iteratorINS9_10device_ptrIjEEEENSB_INSC_IfEEEEjNS9_4plusIvEEjEEDaPvRmT3_T4_T5_mT6_P12ihipStream_tbENKUlT_T0_E_clISt17integral_constantIbLb1EESV_IbLb0EEEEDaSR_SS_EUlSR_E0_NS1_11comp_targetILNS1_3genE3ELNS1_11target_archE908ELNS1_3gpuE7ELNS1_3repE0EEENS1_30default_config_static_selectorELNS0_4arch9wavefront6targetE1EEEvT1_,"axG",@progbits,_ZN7rocprim17ROCPRIM_400000_NS6detail17trampoline_kernelINS0_14default_configENS1_20scan_config_selectorIjEEZZNS1_9scan_implILNS1_25lookback_scan_determinismE0ELb0ELb0ES3_N6thrust23THRUST_200600_302600_NS6detail15normal_iteratorINS9_10device_ptrIjEEEENSB_INSC_IfEEEEjNS9_4plusIvEEjEEDaPvRmT3_T4_T5_mT6_P12ihipStream_tbENKUlT_T0_E_clISt17integral_constantIbLb1EESV_IbLb0EEEEDaSR_SS_EUlSR_E0_NS1_11comp_targetILNS1_3genE3ELNS1_11target_archE908ELNS1_3gpuE7ELNS1_3repE0EEENS1_30default_config_static_selectorELNS0_4arch9wavefront6targetE1EEEvT1_,comdat
.Lfunc_end6063:
	.size	_ZN7rocprim17ROCPRIM_400000_NS6detail17trampoline_kernelINS0_14default_configENS1_20scan_config_selectorIjEEZZNS1_9scan_implILNS1_25lookback_scan_determinismE0ELb0ELb0ES3_N6thrust23THRUST_200600_302600_NS6detail15normal_iteratorINS9_10device_ptrIjEEEENSB_INSC_IfEEEEjNS9_4plusIvEEjEEDaPvRmT3_T4_T5_mT6_P12ihipStream_tbENKUlT_T0_E_clISt17integral_constantIbLb1EESV_IbLb0EEEEDaSR_SS_EUlSR_E0_NS1_11comp_targetILNS1_3genE3ELNS1_11target_archE908ELNS1_3gpuE7ELNS1_3repE0EEENS1_30default_config_static_selectorELNS0_4arch9wavefront6targetE1EEEvT1_, .Lfunc_end6063-_ZN7rocprim17ROCPRIM_400000_NS6detail17trampoline_kernelINS0_14default_configENS1_20scan_config_selectorIjEEZZNS1_9scan_implILNS1_25lookback_scan_determinismE0ELb0ELb0ES3_N6thrust23THRUST_200600_302600_NS6detail15normal_iteratorINS9_10device_ptrIjEEEENSB_INSC_IfEEEEjNS9_4plusIvEEjEEDaPvRmT3_T4_T5_mT6_P12ihipStream_tbENKUlT_T0_E_clISt17integral_constantIbLb1EESV_IbLb0EEEEDaSR_SS_EUlSR_E0_NS1_11comp_targetILNS1_3genE3ELNS1_11target_archE908ELNS1_3gpuE7ELNS1_3repE0EEENS1_30default_config_static_selectorELNS0_4arch9wavefront6targetE1EEEvT1_
                                        ; -- End function
	.section	.AMDGPU.csdata,"",@progbits
; Kernel info:
; codeLenInByte = 0
; NumSgprs: 4
; NumVgprs: 0
; NumAgprs: 0
; TotalNumVgprs: 0
; ScratchSize: 0
; MemoryBound: 0
; FloatMode: 240
; IeeeMode: 1
; LDSByteSize: 0 bytes/workgroup (compile time only)
; SGPRBlocks: 0
; VGPRBlocks: 0
; NumSGPRsForWavesPerEU: 4
; NumVGPRsForWavesPerEU: 1
; AccumOffset: 4
; Occupancy: 8
; WaveLimiterHint : 0
; COMPUTE_PGM_RSRC2:SCRATCH_EN: 0
; COMPUTE_PGM_RSRC2:USER_SGPR: 6
; COMPUTE_PGM_RSRC2:TRAP_HANDLER: 0
; COMPUTE_PGM_RSRC2:TGID_X_EN: 1
; COMPUTE_PGM_RSRC2:TGID_Y_EN: 0
; COMPUTE_PGM_RSRC2:TGID_Z_EN: 0
; COMPUTE_PGM_RSRC2:TIDIG_COMP_CNT: 0
; COMPUTE_PGM_RSRC3_GFX90A:ACCUM_OFFSET: 0
; COMPUTE_PGM_RSRC3_GFX90A:TG_SPLIT: 0
	.section	.text._ZN7rocprim17ROCPRIM_400000_NS6detail17trampoline_kernelINS0_14default_configENS1_20scan_config_selectorIjEEZZNS1_9scan_implILNS1_25lookback_scan_determinismE0ELb0ELb0ES3_N6thrust23THRUST_200600_302600_NS6detail15normal_iteratorINS9_10device_ptrIjEEEENSB_INSC_IfEEEEjNS9_4plusIvEEjEEDaPvRmT3_T4_T5_mT6_P12ihipStream_tbENKUlT_T0_E_clISt17integral_constantIbLb1EESV_IbLb0EEEEDaSR_SS_EUlSR_E0_NS1_11comp_targetILNS1_3genE2ELNS1_11target_archE906ELNS1_3gpuE6ELNS1_3repE0EEENS1_30default_config_static_selectorELNS0_4arch9wavefront6targetE1EEEvT1_,"axG",@progbits,_ZN7rocprim17ROCPRIM_400000_NS6detail17trampoline_kernelINS0_14default_configENS1_20scan_config_selectorIjEEZZNS1_9scan_implILNS1_25lookback_scan_determinismE0ELb0ELb0ES3_N6thrust23THRUST_200600_302600_NS6detail15normal_iteratorINS9_10device_ptrIjEEEENSB_INSC_IfEEEEjNS9_4plusIvEEjEEDaPvRmT3_T4_T5_mT6_P12ihipStream_tbENKUlT_T0_E_clISt17integral_constantIbLb1EESV_IbLb0EEEEDaSR_SS_EUlSR_E0_NS1_11comp_targetILNS1_3genE2ELNS1_11target_archE906ELNS1_3gpuE6ELNS1_3repE0EEENS1_30default_config_static_selectorELNS0_4arch9wavefront6targetE1EEEvT1_,comdat
	.protected	_ZN7rocprim17ROCPRIM_400000_NS6detail17trampoline_kernelINS0_14default_configENS1_20scan_config_selectorIjEEZZNS1_9scan_implILNS1_25lookback_scan_determinismE0ELb0ELb0ES3_N6thrust23THRUST_200600_302600_NS6detail15normal_iteratorINS9_10device_ptrIjEEEENSB_INSC_IfEEEEjNS9_4plusIvEEjEEDaPvRmT3_T4_T5_mT6_P12ihipStream_tbENKUlT_T0_E_clISt17integral_constantIbLb1EESV_IbLb0EEEEDaSR_SS_EUlSR_E0_NS1_11comp_targetILNS1_3genE2ELNS1_11target_archE906ELNS1_3gpuE6ELNS1_3repE0EEENS1_30default_config_static_selectorELNS0_4arch9wavefront6targetE1EEEvT1_ ; -- Begin function _ZN7rocprim17ROCPRIM_400000_NS6detail17trampoline_kernelINS0_14default_configENS1_20scan_config_selectorIjEEZZNS1_9scan_implILNS1_25lookback_scan_determinismE0ELb0ELb0ES3_N6thrust23THRUST_200600_302600_NS6detail15normal_iteratorINS9_10device_ptrIjEEEENSB_INSC_IfEEEEjNS9_4plusIvEEjEEDaPvRmT3_T4_T5_mT6_P12ihipStream_tbENKUlT_T0_E_clISt17integral_constantIbLb1EESV_IbLb0EEEEDaSR_SS_EUlSR_E0_NS1_11comp_targetILNS1_3genE2ELNS1_11target_archE906ELNS1_3gpuE6ELNS1_3repE0EEENS1_30default_config_static_selectorELNS0_4arch9wavefront6targetE1EEEvT1_
	.globl	_ZN7rocprim17ROCPRIM_400000_NS6detail17trampoline_kernelINS0_14default_configENS1_20scan_config_selectorIjEEZZNS1_9scan_implILNS1_25lookback_scan_determinismE0ELb0ELb0ES3_N6thrust23THRUST_200600_302600_NS6detail15normal_iteratorINS9_10device_ptrIjEEEENSB_INSC_IfEEEEjNS9_4plusIvEEjEEDaPvRmT3_T4_T5_mT6_P12ihipStream_tbENKUlT_T0_E_clISt17integral_constantIbLb1EESV_IbLb0EEEEDaSR_SS_EUlSR_E0_NS1_11comp_targetILNS1_3genE2ELNS1_11target_archE906ELNS1_3gpuE6ELNS1_3repE0EEENS1_30default_config_static_selectorELNS0_4arch9wavefront6targetE1EEEvT1_
	.p2align	8
	.type	_ZN7rocprim17ROCPRIM_400000_NS6detail17trampoline_kernelINS0_14default_configENS1_20scan_config_selectorIjEEZZNS1_9scan_implILNS1_25lookback_scan_determinismE0ELb0ELb0ES3_N6thrust23THRUST_200600_302600_NS6detail15normal_iteratorINS9_10device_ptrIjEEEENSB_INSC_IfEEEEjNS9_4plusIvEEjEEDaPvRmT3_T4_T5_mT6_P12ihipStream_tbENKUlT_T0_E_clISt17integral_constantIbLb1EESV_IbLb0EEEEDaSR_SS_EUlSR_E0_NS1_11comp_targetILNS1_3genE2ELNS1_11target_archE906ELNS1_3gpuE6ELNS1_3repE0EEENS1_30default_config_static_selectorELNS0_4arch9wavefront6targetE1EEEvT1_,@function
_ZN7rocprim17ROCPRIM_400000_NS6detail17trampoline_kernelINS0_14default_configENS1_20scan_config_selectorIjEEZZNS1_9scan_implILNS1_25lookback_scan_determinismE0ELb0ELb0ES3_N6thrust23THRUST_200600_302600_NS6detail15normal_iteratorINS9_10device_ptrIjEEEENSB_INSC_IfEEEEjNS9_4plusIvEEjEEDaPvRmT3_T4_T5_mT6_P12ihipStream_tbENKUlT_T0_E_clISt17integral_constantIbLb1EESV_IbLb0EEEEDaSR_SS_EUlSR_E0_NS1_11comp_targetILNS1_3genE2ELNS1_11target_archE906ELNS1_3gpuE6ELNS1_3repE0EEENS1_30default_config_static_selectorELNS0_4arch9wavefront6targetE1EEEvT1_: ; @_ZN7rocprim17ROCPRIM_400000_NS6detail17trampoline_kernelINS0_14default_configENS1_20scan_config_selectorIjEEZZNS1_9scan_implILNS1_25lookback_scan_determinismE0ELb0ELb0ES3_N6thrust23THRUST_200600_302600_NS6detail15normal_iteratorINS9_10device_ptrIjEEEENSB_INSC_IfEEEEjNS9_4plusIvEEjEEDaPvRmT3_T4_T5_mT6_P12ihipStream_tbENKUlT_T0_E_clISt17integral_constantIbLb1EESV_IbLb0EEEEDaSR_SS_EUlSR_E0_NS1_11comp_targetILNS1_3genE2ELNS1_11target_archE906ELNS1_3gpuE6ELNS1_3repE0EEENS1_30default_config_static_selectorELNS0_4arch9wavefront6targetE1EEEvT1_
; %bb.0:
	.section	.rodata,"a",@progbits
	.p2align	6, 0x0
	.amdhsa_kernel _ZN7rocprim17ROCPRIM_400000_NS6detail17trampoline_kernelINS0_14default_configENS1_20scan_config_selectorIjEEZZNS1_9scan_implILNS1_25lookback_scan_determinismE0ELb0ELb0ES3_N6thrust23THRUST_200600_302600_NS6detail15normal_iteratorINS9_10device_ptrIjEEEENSB_INSC_IfEEEEjNS9_4plusIvEEjEEDaPvRmT3_T4_T5_mT6_P12ihipStream_tbENKUlT_T0_E_clISt17integral_constantIbLb1EESV_IbLb0EEEEDaSR_SS_EUlSR_E0_NS1_11comp_targetILNS1_3genE2ELNS1_11target_archE906ELNS1_3gpuE6ELNS1_3repE0EEENS1_30default_config_static_selectorELNS0_4arch9wavefront6targetE1EEEvT1_
		.amdhsa_group_segment_fixed_size 0
		.amdhsa_private_segment_fixed_size 0
		.amdhsa_kernarg_size 32
		.amdhsa_user_sgpr_count 6
		.amdhsa_user_sgpr_private_segment_buffer 1
		.amdhsa_user_sgpr_dispatch_ptr 0
		.amdhsa_user_sgpr_queue_ptr 0
		.amdhsa_user_sgpr_kernarg_segment_ptr 1
		.amdhsa_user_sgpr_dispatch_id 0
		.amdhsa_user_sgpr_flat_scratch_init 0
		.amdhsa_user_sgpr_kernarg_preload_length 0
		.amdhsa_user_sgpr_kernarg_preload_offset 0
		.amdhsa_user_sgpr_private_segment_size 0
		.amdhsa_uses_dynamic_stack 0
		.amdhsa_system_sgpr_private_segment_wavefront_offset 0
		.amdhsa_system_sgpr_workgroup_id_x 1
		.amdhsa_system_sgpr_workgroup_id_y 0
		.amdhsa_system_sgpr_workgroup_id_z 0
		.amdhsa_system_sgpr_workgroup_info 0
		.amdhsa_system_vgpr_workitem_id 0
		.amdhsa_next_free_vgpr 1
		.amdhsa_next_free_sgpr 0
		.amdhsa_accum_offset 4
		.amdhsa_reserve_vcc 0
		.amdhsa_reserve_flat_scratch 0
		.amdhsa_float_round_mode_32 0
		.amdhsa_float_round_mode_16_64 0
		.amdhsa_float_denorm_mode_32 3
		.amdhsa_float_denorm_mode_16_64 3
		.amdhsa_dx10_clamp 1
		.amdhsa_ieee_mode 1
		.amdhsa_fp16_overflow 0
		.amdhsa_tg_split 0
		.amdhsa_exception_fp_ieee_invalid_op 0
		.amdhsa_exception_fp_denorm_src 0
		.amdhsa_exception_fp_ieee_div_zero 0
		.amdhsa_exception_fp_ieee_overflow 0
		.amdhsa_exception_fp_ieee_underflow 0
		.amdhsa_exception_fp_ieee_inexact 0
		.amdhsa_exception_int_div_zero 0
	.end_amdhsa_kernel
	.section	.text._ZN7rocprim17ROCPRIM_400000_NS6detail17trampoline_kernelINS0_14default_configENS1_20scan_config_selectorIjEEZZNS1_9scan_implILNS1_25lookback_scan_determinismE0ELb0ELb0ES3_N6thrust23THRUST_200600_302600_NS6detail15normal_iteratorINS9_10device_ptrIjEEEENSB_INSC_IfEEEEjNS9_4plusIvEEjEEDaPvRmT3_T4_T5_mT6_P12ihipStream_tbENKUlT_T0_E_clISt17integral_constantIbLb1EESV_IbLb0EEEEDaSR_SS_EUlSR_E0_NS1_11comp_targetILNS1_3genE2ELNS1_11target_archE906ELNS1_3gpuE6ELNS1_3repE0EEENS1_30default_config_static_selectorELNS0_4arch9wavefront6targetE1EEEvT1_,"axG",@progbits,_ZN7rocprim17ROCPRIM_400000_NS6detail17trampoline_kernelINS0_14default_configENS1_20scan_config_selectorIjEEZZNS1_9scan_implILNS1_25lookback_scan_determinismE0ELb0ELb0ES3_N6thrust23THRUST_200600_302600_NS6detail15normal_iteratorINS9_10device_ptrIjEEEENSB_INSC_IfEEEEjNS9_4plusIvEEjEEDaPvRmT3_T4_T5_mT6_P12ihipStream_tbENKUlT_T0_E_clISt17integral_constantIbLb1EESV_IbLb0EEEEDaSR_SS_EUlSR_E0_NS1_11comp_targetILNS1_3genE2ELNS1_11target_archE906ELNS1_3gpuE6ELNS1_3repE0EEENS1_30default_config_static_selectorELNS0_4arch9wavefront6targetE1EEEvT1_,comdat
.Lfunc_end6064:
	.size	_ZN7rocprim17ROCPRIM_400000_NS6detail17trampoline_kernelINS0_14default_configENS1_20scan_config_selectorIjEEZZNS1_9scan_implILNS1_25lookback_scan_determinismE0ELb0ELb0ES3_N6thrust23THRUST_200600_302600_NS6detail15normal_iteratorINS9_10device_ptrIjEEEENSB_INSC_IfEEEEjNS9_4plusIvEEjEEDaPvRmT3_T4_T5_mT6_P12ihipStream_tbENKUlT_T0_E_clISt17integral_constantIbLb1EESV_IbLb0EEEEDaSR_SS_EUlSR_E0_NS1_11comp_targetILNS1_3genE2ELNS1_11target_archE906ELNS1_3gpuE6ELNS1_3repE0EEENS1_30default_config_static_selectorELNS0_4arch9wavefront6targetE1EEEvT1_, .Lfunc_end6064-_ZN7rocprim17ROCPRIM_400000_NS6detail17trampoline_kernelINS0_14default_configENS1_20scan_config_selectorIjEEZZNS1_9scan_implILNS1_25lookback_scan_determinismE0ELb0ELb0ES3_N6thrust23THRUST_200600_302600_NS6detail15normal_iteratorINS9_10device_ptrIjEEEENSB_INSC_IfEEEEjNS9_4plusIvEEjEEDaPvRmT3_T4_T5_mT6_P12ihipStream_tbENKUlT_T0_E_clISt17integral_constantIbLb1EESV_IbLb0EEEEDaSR_SS_EUlSR_E0_NS1_11comp_targetILNS1_3genE2ELNS1_11target_archE906ELNS1_3gpuE6ELNS1_3repE0EEENS1_30default_config_static_selectorELNS0_4arch9wavefront6targetE1EEEvT1_
                                        ; -- End function
	.section	.AMDGPU.csdata,"",@progbits
; Kernel info:
; codeLenInByte = 0
; NumSgprs: 4
; NumVgprs: 0
; NumAgprs: 0
; TotalNumVgprs: 0
; ScratchSize: 0
; MemoryBound: 0
; FloatMode: 240
; IeeeMode: 1
; LDSByteSize: 0 bytes/workgroup (compile time only)
; SGPRBlocks: 0
; VGPRBlocks: 0
; NumSGPRsForWavesPerEU: 4
; NumVGPRsForWavesPerEU: 1
; AccumOffset: 4
; Occupancy: 8
; WaveLimiterHint : 0
; COMPUTE_PGM_RSRC2:SCRATCH_EN: 0
; COMPUTE_PGM_RSRC2:USER_SGPR: 6
; COMPUTE_PGM_RSRC2:TRAP_HANDLER: 0
; COMPUTE_PGM_RSRC2:TGID_X_EN: 1
; COMPUTE_PGM_RSRC2:TGID_Y_EN: 0
; COMPUTE_PGM_RSRC2:TGID_Z_EN: 0
; COMPUTE_PGM_RSRC2:TIDIG_COMP_CNT: 0
; COMPUTE_PGM_RSRC3_GFX90A:ACCUM_OFFSET: 0
; COMPUTE_PGM_RSRC3_GFX90A:TG_SPLIT: 0
	.section	.text._ZN7rocprim17ROCPRIM_400000_NS6detail17trampoline_kernelINS0_14default_configENS1_20scan_config_selectorIjEEZZNS1_9scan_implILNS1_25lookback_scan_determinismE0ELb0ELb0ES3_N6thrust23THRUST_200600_302600_NS6detail15normal_iteratorINS9_10device_ptrIjEEEENSB_INSC_IfEEEEjNS9_4plusIvEEjEEDaPvRmT3_T4_T5_mT6_P12ihipStream_tbENKUlT_T0_E_clISt17integral_constantIbLb1EESV_IbLb0EEEEDaSR_SS_EUlSR_E0_NS1_11comp_targetILNS1_3genE10ELNS1_11target_archE1201ELNS1_3gpuE5ELNS1_3repE0EEENS1_30default_config_static_selectorELNS0_4arch9wavefront6targetE1EEEvT1_,"axG",@progbits,_ZN7rocprim17ROCPRIM_400000_NS6detail17trampoline_kernelINS0_14default_configENS1_20scan_config_selectorIjEEZZNS1_9scan_implILNS1_25lookback_scan_determinismE0ELb0ELb0ES3_N6thrust23THRUST_200600_302600_NS6detail15normal_iteratorINS9_10device_ptrIjEEEENSB_INSC_IfEEEEjNS9_4plusIvEEjEEDaPvRmT3_T4_T5_mT6_P12ihipStream_tbENKUlT_T0_E_clISt17integral_constantIbLb1EESV_IbLb0EEEEDaSR_SS_EUlSR_E0_NS1_11comp_targetILNS1_3genE10ELNS1_11target_archE1201ELNS1_3gpuE5ELNS1_3repE0EEENS1_30default_config_static_selectorELNS0_4arch9wavefront6targetE1EEEvT1_,comdat
	.protected	_ZN7rocprim17ROCPRIM_400000_NS6detail17trampoline_kernelINS0_14default_configENS1_20scan_config_selectorIjEEZZNS1_9scan_implILNS1_25lookback_scan_determinismE0ELb0ELb0ES3_N6thrust23THRUST_200600_302600_NS6detail15normal_iteratorINS9_10device_ptrIjEEEENSB_INSC_IfEEEEjNS9_4plusIvEEjEEDaPvRmT3_T4_T5_mT6_P12ihipStream_tbENKUlT_T0_E_clISt17integral_constantIbLb1EESV_IbLb0EEEEDaSR_SS_EUlSR_E0_NS1_11comp_targetILNS1_3genE10ELNS1_11target_archE1201ELNS1_3gpuE5ELNS1_3repE0EEENS1_30default_config_static_selectorELNS0_4arch9wavefront6targetE1EEEvT1_ ; -- Begin function _ZN7rocprim17ROCPRIM_400000_NS6detail17trampoline_kernelINS0_14default_configENS1_20scan_config_selectorIjEEZZNS1_9scan_implILNS1_25lookback_scan_determinismE0ELb0ELb0ES3_N6thrust23THRUST_200600_302600_NS6detail15normal_iteratorINS9_10device_ptrIjEEEENSB_INSC_IfEEEEjNS9_4plusIvEEjEEDaPvRmT3_T4_T5_mT6_P12ihipStream_tbENKUlT_T0_E_clISt17integral_constantIbLb1EESV_IbLb0EEEEDaSR_SS_EUlSR_E0_NS1_11comp_targetILNS1_3genE10ELNS1_11target_archE1201ELNS1_3gpuE5ELNS1_3repE0EEENS1_30default_config_static_selectorELNS0_4arch9wavefront6targetE1EEEvT1_
	.globl	_ZN7rocprim17ROCPRIM_400000_NS6detail17trampoline_kernelINS0_14default_configENS1_20scan_config_selectorIjEEZZNS1_9scan_implILNS1_25lookback_scan_determinismE0ELb0ELb0ES3_N6thrust23THRUST_200600_302600_NS6detail15normal_iteratorINS9_10device_ptrIjEEEENSB_INSC_IfEEEEjNS9_4plusIvEEjEEDaPvRmT3_T4_T5_mT6_P12ihipStream_tbENKUlT_T0_E_clISt17integral_constantIbLb1EESV_IbLb0EEEEDaSR_SS_EUlSR_E0_NS1_11comp_targetILNS1_3genE10ELNS1_11target_archE1201ELNS1_3gpuE5ELNS1_3repE0EEENS1_30default_config_static_selectorELNS0_4arch9wavefront6targetE1EEEvT1_
	.p2align	8
	.type	_ZN7rocprim17ROCPRIM_400000_NS6detail17trampoline_kernelINS0_14default_configENS1_20scan_config_selectorIjEEZZNS1_9scan_implILNS1_25lookback_scan_determinismE0ELb0ELb0ES3_N6thrust23THRUST_200600_302600_NS6detail15normal_iteratorINS9_10device_ptrIjEEEENSB_INSC_IfEEEEjNS9_4plusIvEEjEEDaPvRmT3_T4_T5_mT6_P12ihipStream_tbENKUlT_T0_E_clISt17integral_constantIbLb1EESV_IbLb0EEEEDaSR_SS_EUlSR_E0_NS1_11comp_targetILNS1_3genE10ELNS1_11target_archE1201ELNS1_3gpuE5ELNS1_3repE0EEENS1_30default_config_static_selectorELNS0_4arch9wavefront6targetE1EEEvT1_,@function
_ZN7rocprim17ROCPRIM_400000_NS6detail17trampoline_kernelINS0_14default_configENS1_20scan_config_selectorIjEEZZNS1_9scan_implILNS1_25lookback_scan_determinismE0ELb0ELb0ES3_N6thrust23THRUST_200600_302600_NS6detail15normal_iteratorINS9_10device_ptrIjEEEENSB_INSC_IfEEEEjNS9_4plusIvEEjEEDaPvRmT3_T4_T5_mT6_P12ihipStream_tbENKUlT_T0_E_clISt17integral_constantIbLb1EESV_IbLb0EEEEDaSR_SS_EUlSR_E0_NS1_11comp_targetILNS1_3genE10ELNS1_11target_archE1201ELNS1_3gpuE5ELNS1_3repE0EEENS1_30default_config_static_selectorELNS0_4arch9wavefront6targetE1EEEvT1_: ; @_ZN7rocprim17ROCPRIM_400000_NS6detail17trampoline_kernelINS0_14default_configENS1_20scan_config_selectorIjEEZZNS1_9scan_implILNS1_25lookback_scan_determinismE0ELb0ELb0ES3_N6thrust23THRUST_200600_302600_NS6detail15normal_iteratorINS9_10device_ptrIjEEEENSB_INSC_IfEEEEjNS9_4plusIvEEjEEDaPvRmT3_T4_T5_mT6_P12ihipStream_tbENKUlT_T0_E_clISt17integral_constantIbLb1EESV_IbLb0EEEEDaSR_SS_EUlSR_E0_NS1_11comp_targetILNS1_3genE10ELNS1_11target_archE1201ELNS1_3gpuE5ELNS1_3repE0EEENS1_30default_config_static_selectorELNS0_4arch9wavefront6targetE1EEEvT1_
; %bb.0:
	.section	.rodata,"a",@progbits
	.p2align	6, 0x0
	.amdhsa_kernel _ZN7rocprim17ROCPRIM_400000_NS6detail17trampoline_kernelINS0_14default_configENS1_20scan_config_selectorIjEEZZNS1_9scan_implILNS1_25lookback_scan_determinismE0ELb0ELb0ES3_N6thrust23THRUST_200600_302600_NS6detail15normal_iteratorINS9_10device_ptrIjEEEENSB_INSC_IfEEEEjNS9_4plusIvEEjEEDaPvRmT3_T4_T5_mT6_P12ihipStream_tbENKUlT_T0_E_clISt17integral_constantIbLb1EESV_IbLb0EEEEDaSR_SS_EUlSR_E0_NS1_11comp_targetILNS1_3genE10ELNS1_11target_archE1201ELNS1_3gpuE5ELNS1_3repE0EEENS1_30default_config_static_selectorELNS0_4arch9wavefront6targetE1EEEvT1_
		.amdhsa_group_segment_fixed_size 0
		.amdhsa_private_segment_fixed_size 0
		.amdhsa_kernarg_size 32
		.amdhsa_user_sgpr_count 6
		.amdhsa_user_sgpr_private_segment_buffer 1
		.amdhsa_user_sgpr_dispatch_ptr 0
		.amdhsa_user_sgpr_queue_ptr 0
		.amdhsa_user_sgpr_kernarg_segment_ptr 1
		.amdhsa_user_sgpr_dispatch_id 0
		.amdhsa_user_sgpr_flat_scratch_init 0
		.amdhsa_user_sgpr_kernarg_preload_length 0
		.amdhsa_user_sgpr_kernarg_preload_offset 0
		.amdhsa_user_sgpr_private_segment_size 0
		.amdhsa_uses_dynamic_stack 0
		.amdhsa_system_sgpr_private_segment_wavefront_offset 0
		.amdhsa_system_sgpr_workgroup_id_x 1
		.amdhsa_system_sgpr_workgroup_id_y 0
		.amdhsa_system_sgpr_workgroup_id_z 0
		.amdhsa_system_sgpr_workgroup_info 0
		.amdhsa_system_vgpr_workitem_id 0
		.amdhsa_next_free_vgpr 1
		.amdhsa_next_free_sgpr 0
		.amdhsa_accum_offset 4
		.amdhsa_reserve_vcc 0
		.amdhsa_reserve_flat_scratch 0
		.amdhsa_float_round_mode_32 0
		.amdhsa_float_round_mode_16_64 0
		.amdhsa_float_denorm_mode_32 3
		.amdhsa_float_denorm_mode_16_64 3
		.amdhsa_dx10_clamp 1
		.amdhsa_ieee_mode 1
		.amdhsa_fp16_overflow 0
		.amdhsa_tg_split 0
		.amdhsa_exception_fp_ieee_invalid_op 0
		.amdhsa_exception_fp_denorm_src 0
		.amdhsa_exception_fp_ieee_div_zero 0
		.amdhsa_exception_fp_ieee_overflow 0
		.amdhsa_exception_fp_ieee_underflow 0
		.amdhsa_exception_fp_ieee_inexact 0
		.amdhsa_exception_int_div_zero 0
	.end_amdhsa_kernel
	.section	.text._ZN7rocprim17ROCPRIM_400000_NS6detail17trampoline_kernelINS0_14default_configENS1_20scan_config_selectorIjEEZZNS1_9scan_implILNS1_25lookback_scan_determinismE0ELb0ELb0ES3_N6thrust23THRUST_200600_302600_NS6detail15normal_iteratorINS9_10device_ptrIjEEEENSB_INSC_IfEEEEjNS9_4plusIvEEjEEDaPvRmT3_T4_T5_mT6_P12ihipStream_tbENKUlT_T0_E_clISt17integral_constantIbLb1EESV_IbLb0EEEEDaSR_SS_EUlSR_E0_NS1_11comp_targetILNS1_3genE10ELNS1_11target_archE1201ELNS1_3gpuE5ELNS1_3repE0EEENS1_30default_config_static_selectorELNS0_4arch9wavefront6targetE1EEEvT1_,"axG",@progbits,_ZN7rocprim17ROCPRIM_400000_NS6detail17trampoline_kernelINS0_14default_configENS1_20scan_config_selectorIjEEZZNS1_9scan_implILNS1_25lookback_scan_determinismE0ELb0ELb0ES3_N6thrust23THRUST_200600_302600_NS6detail15normal_iteratorINS9_10device_ptrIjEEEENSB_INSC_IfEEEEjNS9_4plusIvEEjEEDaPvRmT3_T4_T5_mT6_P12ihipStream_tbENKUlT_T0_E_clISt17integral_constantIbLb1EESV_IbLb0EEEEDaSR_SS_EUlSR_E0_NS1_11comp_targetILNS1_3genE10ELNS1_11target_archE1201ELNS1_3gpuE5ELNS1_3repE0EEENS1_30default_config_static_selectorELNS0_4arch9wavefront6targetE1EEEvT1_,comdat
.Lfunc_end6065:
	.size	_ZN7rocprim17ROCPRIM_400000_NS6detail17trampoline_kernelINS0_14default_configENS1_20scan_config_selectorIjEEZZNS1_9scan_implILNS1_25lookback_scan_determinismE0ELb0ELb0ES3_N6thrust23THRUST_200600_302600_NS6detail15normal_iteratorINS9_10device_ptrIjEEEENSB_INSC_IfEEEEjNS9_4plusIvEEjEEDaPvRmT3_T4_T5_mT6_P12ihipStream_tbENKUlT_T0_E_clISt17integral_constantIbLb1EESV_IbLb0EEEEDaSR_SS_EUlSR_E0_NS1_11comp_targetILNS1_3genE10ELNS1_11target_archE1201ELNS1_3gpuE5ELNS1_3repE0EEENS1_30default_config_static_selectorELNS0_4arch9wavefront6targetE1EEEvT1_, .Lfunc_end6065-_ZN7rocprim17ROCPRIM_400000_NS6detail17trampoline_kernelINS0_14default_configENS1_20scan_config_selectorIjEEZZNS1_9scan_implILNS1_25lookback_scan_determinismE0ELb0ELb0ES3_N6thrust23THRUST_200600_302600_NS6detail15normal_iteratorINS9_10device_ptrIjEEEENSB_INSC_IfEEEEjNS9_4plusIvEEjEEDaPvRmT3_T4_T5_mT6_P12ihipStream_tbENKUlT_T0_E_clISt17integral_constantIbLb1EESV_IbLb0EEEEDaSR_SS_EUlSR_E0_NS1_11comp_targetILNS1_3genE10ELNS1_11target_archE1201ELNS1_3gpuE5ELNS1_3repE0EEENS1_30default_config_static_selectorELNS0_4arch9wavefront6targetE1EEEvT1_
                                        ; -- End function
	.section	.AMDGPU.csdata,"",@progbits
; Kernel info:
; codeLenInByte = 0
; NumSgprs: 4
; NumVgprs: 0
; NumAgprs: 0
; TotalNumVgprs: 0
; ScratchSize: 0
; MemoryBound: 0
; FloatMode: 240
; IeeeMode: 1
; LDSByteSize: 0 bytes/workgroup (compile time only)
; SGPRBlocks: 0
; VGPRBlocks: 0
; NumSGPRsForWavesPerEU: 4
; NumVGPRsForWavesPerEU: 1
; AccumOffset: 4
; Occupancy: 8
; WaveLimiterHint : 0
; COMPUTE_PGM_RSRC2:SCRATCH_EN: 0
; COMPUTE_PGM_RSRC2:USER_SGPR: 6
; COMPUTE_PGM_RSRC2:TRAP_HANDLER: 0
; COMPUTE_PGM_RSRC2:TGID_X_EN: 1
; COMPUTE_PGM_RSRC2:TGID_Y_EN: 0
; COMPUTE_PGM_RSRC2:TGID_Z_EN: 0
; COMPUTE_PGM_RSRC2:TIDIG_COMP_CNT: 0
; COMPUTE_PGM_RSRC3_GFX90A:ACCUM_OFFSET: 0
; COMPUTE_PGM_RSRC3_GFX90A:TG_SPLIT: 0
	.section	.text._ZN7rocprim17ROCPRIM_400000_NS6detail17trampoline_kernelINS0_14default_configENS1_20scan_config_selectorIjEEZZNS1_9scan_implILNS1_25lookback_scan_determinismE0ELb0ELb0ES3_N6thrust23THRUST_200600_302600_NS6detail15normal_iteratorINS9_10device_ptrIjEEEENSB_INSC_IfEEEEjNS9_4plusIvEEjEEDaPvRmT3_T4_T5_mT6_P12ihipStream_tbENKUlT_T0_E_clISt17integral_constantIbLb1EESV_IbLb0EEEEDaSR_SS_EUlSR_E0_NS1_11comp_targetILNS1_3genE10ELNS1_11target_archE1200ELNS1_3gpuE4ELNS1_3repE0EEENS1_30default_config_static_selectorELNS0_4arch9wavefront6targetE1EEEvT1_,"axG",@progbits,_ZN7rocprim17ROCPRIM_400000_NS6detail17trampoline_kernelINS0_14default_configENS1_20scan_config_selectorIjEEZZNS1_9scan_implILNS1_25lookback_scan_determinismE0ELb0ELb0ES3_N6thrust23THRUST_200600_302600_NS6detail15normal_iteratorINS9_10device_ptrIjEEEENSB_INSC_IfEEEEjNS9_4plusIvEEjEEDaPvRmT3_T4_T5_mT6_P12ihipStream_tbENKUlT_T0_E_clISt17integral_constantIbLb1EESV_IbLb0EEEEDaSR_SS_EUlSR_E0_NS1_11comp_targetILNS1_3genE10ELNS1_11target_archE1200ELNS1_3gpuE4ELNS1_3repE0EEENS1_30default_config_static_selectorELNS0_4arch9wavefront6targetE1EEEvT1_,comdat
	.protected	_ZN7rocprim17ROCPRIM_400000_NS6detail17trampoline_kernelINS0_14default_configENS1_20scan_config_selectorIjEEZZNS1_9scan_implILNS1_25lookback_scan_determinismE0ELb0ELb0ES3_N6thrust23THRUST_200600_302600_NS6detail15normal_iteratorINS9_10device_ptrIjEEEENSB_INSC_IfEEEEjNS9_4plusIvEEjEEDaPvRmT3_T4_T5_mT6_P12ihipStream_tbENKUlT_T0_E_clISt17integral_constantIbLb1EESV_IbLb0EEEEDaSR_SS_EUlSR_E0_NS1_11comp_targetILNS1_3genE10ELNS1_11target_archE1200ELNS1_3gpuE4ELNS1_3repE0EEENS1_30default_config_static_selectorELNS0_4arch9wavefront6targetE1EEEvT1_ ; -- Begin function _ZN7rocprim17ROCPRIM_400000_NS6detail17trampoline_kernelINS0_14default_configENS1_20scan_config_selectorIjEEZZNS1_9scan_implILNS1_25lookback_scan_determinismE0ELb0ELb0ES3_N6thrust23THRUST_200600_302600_NS6detail15normal_iteratorINS9_10device_ptrIjEEEENSB_INSC_IfEEEEjNS9_4plusIvEEjEEDaPvRmT3_T4_T5_mT6_P12ihipStream_tbENKUlT_T0_E_clISt17integral_constantIbLb1EESV_IbLb0EEEEDaSR_SS_EUlSR_E0_NS1_11comp_targetILNS1_3genE10ELNS1_11target_archE1200ELNS1_3gpuE4ELNS1_3repE0EEENS1_30default_config_static_selectorELNS0_4arch9wavefront6targetE1EEEvT1_
	.globl	_ZN7rocprim17ROCPRIM_400000_NS6detail17trampoline_kernelINS0_14default_configENS1_20scan_config_selectorIjEEZZNS1_9scan_implILNS1_25lookback_scan_determinismE0ELb0ELb0ES3_N6thrust23THRUST_200600_302600_NS6detail15normal_iteratorINS9_10device_ptrIjEEEENSB_INSC_IfEEEEjNS9_4plusIvEEjEEDaPvRmT3_T4_T5_mT6_P12ihipStream_tbENKUlT_T0_E_clISt17integral_constantIbLb1EESV_IbLb0EEEEDaSR_SS_EUlSR_E0_NS1_11comp_targetILNS1_3genE10ELNS1_11target_archE1200ELNS1_3gpuE4ELNS1_3repE0EEENS1_30default_config_static_selectorELNS0_4arch9wavefront6targetE1EEEvT1_
	.p2align	8
	.type	_ZN7rocprim17ROCPRIM_400000_NS6detail17trampoline_kernelINS0_14default_configENS1_20scan_config_selectorIjEEZZNS1_9scan_implILNS1_25lookback_scan_determinismE0ELb0ELb0ES3_N6thrust23THRUST_200600_302600_NS6detail15normal_iteratorINS9_10device_ptrIjEEEENSB_INSC_IfEEEEjNS9_4plusIvEEjEEDaPvRmT3_T4_T5_mT6_P12ihipStream_tbENKUlT_T0_E_clISt17integral_constantIbLb1EESV_IbLb0EEEEDaSR_SS_EUlSR_E0_NS1_11comp_targetILNS1_3genE10ELNS1_11target_archE1200ELNS1_3gpuE4ELNS1_3repE0EEENS1_30default_config_static_selectorELNS0_4arch9wavefront6targetE1EEEvT1_,@function
_ZN7rocprim17ROCPRIM_400000_NS6detail17trampoline_kernelINS0_14default_configENS1_20scan_config_selectorIjEEZZNS1_9scan_implILNS1_25lookback_scan_determinismE0ELb0ELb0ES3_N6thrust23THRUST_200600_302600_NS6detail15normal_iteratorINS9_10device_ptrIjEEEENSB_INSC_IfEEEEjNS9_4plusIvEEjEEDaPvRmT3_T4_T5_mT6_P12ihipStream_tbENKUlT_T0_E_clISt17integral_constantIbLb1EESV_IbLb0EEEEDaSR_SS_EUlSR_E0_NS1_11comp_targetILNS1_3genE10ELNS1_11target_archE1200ELNS1_3gpuE4ELNS1_3repE0EEENS1_30default_config_static_selectorELNS0_4arch9wavefront6targetE1EEEvT1_: ; @_ZN7rocprim17ROCPRIM_400000_NS6detail17trampoline_kernelINS0_14default_configENS1_20scan_config_selectorIjEEZZNS1_9scan_implILNS1_25lookback_scan_determinismE0ELb0ELb0ES3_N6thrust23THRUST_200600_302600_NS6detail15normal_iteratorINS9_10device_ptrIjEEEENSB_INSC_IfEEEEjNS9_4plusIvEEjEEDaPvRmT3_T4_T5_mT6_P12ihipStream_tbENKUlT_T0_E_clISt17integral_constantIbLb1EESV_IbLb0EEEEDaSR_SS_EUlSR_E0_NS1_11comp_targetILNS1_3genE10ELNS1_11target_archE1200ELNS1_3gpuE4ELNS1_3repE0EEENS1_30default_config_static_selectorELNS0_4arch9wavefront6targetE1EEEvT1_
; %bb.0:
	.section	.rodata,"a",@progbits
	.p2align	6, 0x0
	.amdhsa_kernel _ZN7rocprim17ROCPRIM_400000_NS6detail17trampoline_kernelINS0_14default_configENS1_20scan_config_selectorIjEEZZNS1_9scan_implILNS1_25lookback_scan_determinismE0ELb0ELb0ES3_N6thrust23THRUST_200600_302600_NS6detail15normal_iteratorINS9_10device_ptrIjEEEENSB_INSC_IfEEEEjNS9_4plusIvEEjEEDaPvRmT3_T4_T5_mT6_P12ihipStream_tbENKUlT_T0_E_clISt17integral_constantIbLb1EESV_IbLb0EEEEDaSR_SS_EUlSR_E0_NS1_11comp_targetILNS1_3genE10ELNS1_11target_archE1200ELNS1_3gpuE4ELNS1_3repE0EEENS1_30default_config_static_selectorELNS0_4arch9wavefront6targetE1EEEvT1_
		.amdhsa_group_segment_fixed_size 0
		.amdhsa_private_segment_fixed_size 0
		.amdhsa_kernarg_size 32
		.amdhsa_user_sgpr_count 6
		.amdhsa_user_sgpr_private_segment_buffer 1
		.amdhsa_user_sgpr_dispatch_ptr 0
		.amdhsa_user_sgpr_queue_ptr 0
		.amdhsa_user_sgpr_kernarg_segment_ptr 1
		.amdhsa_user_sgpr_dispatch_id 0
		.amdhsa_user_sgpr_flat_scratch_init 0
		.amdhsa_user_sgpr_kernarg_preload_length 0
		.amdhsa_user_sgpr_kernarg_preload_offset 0
		.amdhsa_user_sgpr_private_segment_size 0
		.amdhsa_uses_dynamic_stack 0
		.amdhsa_system_sgpr_private_segment_wavefront_offset 0
		.amdhsa_system_sgpr_workgroup_id_x 1
		.amdhsa_system_sgpr_workgroup_id_y 0
		.amdhsa_system_sgpr_workgroup_id_z 0
		.amdhsa_system_sgpr_workgroup_info 0
		.amdhsa_system_vgpr_workitem_id 0
		.amdhsa_next_free_vgpr 1
		.amdhsa_next_free_sgpr 0
		.amdhsa_accum_offset 4
		.amdhsa_reserve_vcc 0
		.amdhsa_reserve_flat_scratch 0
		.amdhsa_float_round_mode_32 0
		.amdhsa_float_round_mode_16_64 0
		.amdhsa_float_denorm_mode_32 3
		.amdhsa_float_denorm_mode_16_64 3
		.amdhsa_dx10_clamp 1
		.amdhsa_ieee_mode 1
		.amdhsa_fp16_overflow 0
		.amdhsa_tg_split 0
		.amdhsa_exception_fp_ieee_invalid_op 0
		.amdhsa_exception_fp_denorm_src 0
		.amdhsa_exception_fp_ieee_div_zero 0
		.amdhsa_exception_fp_ieee_overflow 0
		.amdhsa_exception_fp_ieee_underflow 0
		.amdhsa_exception_fp_ieee_inexact 0
		.amdhsa_exception_int_div_zero 0
	.end_amdhsa_kernel
	.section	.text._ZN7rocprim17ROCPRIM_400000_NS6detail17trampoline_kernelINS0_14default_configENS1_20scan_config_selectorIjEEZZNS1_9scan_implILNS1_25lookback_scan_determinismE0ELb0ELb0ES3_N6thrust23THRUST_200600_302600_NS6detail15normal_iteratorINS9_10device_ptrIjEEEENSB_INSC_IfEEEEjNS9_4plusIvEEjEEDaPvRmT3_T4_T5_mT6_P12ihipStream_tbENKUlT_T0_E_clISt17integral_constantIbLb1EESV_IbLb0EEEEDaSR_SS_EUlSR_E0_NS1_11comp_targetILNS1_3genE10ELNS1_11target_archE1200ELNS1_3gpuE4ELNS1_3repE0EEENS1_30default_config_static_selectorELNS0_4arch9wavefront6targetE1EEEvT1_,"axG",@progbits,_ZN7rocprim17ROCPRIM_400000_NS6detail17trampoline_kernelINS0_14default_configENS1_20scan_config_selectorIjEEZZNS1_9scan_implILNS1_25lookback_scan_determinismE0ELb0ELb0ES3_N6thrust23THRUST_200600_302600_NS6detail15normal_iteratorINS9_10device_ptrIjEEEENSB_INSC_IfEEEEjNS9_4plusIvEEjEEDaPvRmT3_T4_T5_mT6_P12ihipStream_tbENKUlT_T0_E_clISt17integral_constantIbLb1EESV_IbLb0EEEEDaSR_SS_EUlSR_E0_NS1_11comp_targetILNS1_3genE10ELNS1_11target_archE1200ELNS1_3gpuE4ELNS1_3repE0EEENS1_30default_config_static_selectorELNS0_4arch9wavefront6targetE1EEEvT1_,comdat
.Lfunc_end6066:
	.size	_ZN7rocprim17ROCPRIM_400000_NS6detail17trampoline_kernelINS0_14default_configENS1_20scan_config_selectorIjEEZZNS1_9scan_implILNS1_25lookback_scan_determinismE0ELb0ELb0ES3_N6thrust23THRUST_200600_302600_NS6detail15normal_iteratorINS9_10device_ptrIjEEEENSB_INSC_IfEEEEjNS9_4plusIvEEjEEDaPvRmT3_T4_T5_mT6_P12ihipStream_tbENKUlT_T0_E_clISt17integral_constantIbLb1EESV_IbLb0EEEEDaSR_SS_EUlSR_E0_NS1_11comp_targetILNS1_3genE10ELNS1_11target_archE1200ELNS1_3gpuE4ELNS1_3repE0EEENS1_30default_config_static_selectorELNS0_4arch9wavefront6targetE1EEEvT1_, .Lfunc_end6066-_ZN7rocprim17ROCPRIM_400000_NS6detail17trampoline_kernelINS0_14default_configENS1_20scan_config_selectorIjEEZZNS1_9scan_implILNS1_25lookback_scan_determinismE0ELb0ELb0ES3_N6thrust23THRUST_200600_302600_NS6detail15normal_iteratorINS9_10device_ptrIjEEEENSB_INSC_IfEEEEjNS9_4plusIvEEjEEDaPvRmT3_T4_T5_mT6_P12ihipStream_tbENKUlT_T0_E_clISt17integral_constantIbLb1EESV_IbLb0EEEEDaSR_SS_EUlSR_E0_NS1_11comp_targetILNS1_3genE10ELNS1_11target_archE1200ELNS1_3gpuE4ELNS1_3repE0EEENS1_30default_config_static_selectorELNS0_4arch9wavefront6targetE1EEEvT1_
                                        ; -- End function
	.section	.AMDGPU.csdata,"",@progbits
; Kernel info:
; codeLenInByte = 0
; NumSgprs: 4
; NumVgprs: 0
; NumAgprs: 0
; TotalNumVgprs: 0
; ScratchSize: 0
; MemoryBound: 0
; FloatMode: 240
; IeeeMode: 1
; LDSByteSize: 0 bytes/workgroup (compile time only)
; SGPRBlocks: 0
; VGPRBlocks: 0
; NumSGPRsForWavesPerEU: 4
; NumVGPRsForWavesPerEU: 1
; AccumOffset: 4
; Occupancy: 8
; WaveLimiterHint : 0
; COMPUTE_PGM_RSRC2:SCRATCH_EN: 0
; COMPUTE_PGM_RSRC2:USER_SGPR: 6
; COMPUTE_PGM_RSRC2:TRAP_HANDLER: 0
; COMPUTE_PGM_RSRC2:TGID_X_EN: 1
; COMPUTE_PGM_RSRC2:TGID_Y_EN: 0
; COMPUTE_PGM_RSRC2:TGID_Z_EN: 0
; COMPUTE_PGM_RSRC2:TIDIG_COMP_CNT: 0
; COMPUTE_PGM_RSRC3_GFX90A:ACCUM_OFFSET: 0
; COMPUTE_PGM_RSRC3_GFX90A:TG_SPLIT: 0
	.section	.text._ZN7rocprim17ROCPRIM_400000_NS6detail17trampoline_kernelINS0_14default_configENS1_20scan_config_selectorIjEEZZNS1_9scan_implILNS1_25lookback_scan_determinismE0ELb0ELb0ES3_N6thrust23THRUST_200600_302600_NS6detail15normal_iteratorINS9_10device_ptrIjEEEENSB_INSC_IfEEEEjNS9_4plusIvEEjEEDaPvRmT3_T4_T5_mT6_P12ihipStream_tbENKUlT_T0_E_clISt17integral_constantIbLb1EESV_IbLb0EEEEDaSR_SS_EUlSR_E0_NS1_11comp_targetILNS1_3genE9ELNS1_11target_archE1100ELNS1_3gpuE3ELNS1_3repE0EEENS1_30default_config_static_selectorELNS0_4arch9wavefront6targetE1EEEvT1_,"axG",@progbits,_ZN7rocprim17ROCPRIM_400000_NS6detail17trampoline_kernelINS0_14default_configENS1_20scan_config_selectorIjEEZZNS1_9scan_implILNS1_25lookback_scan_determinismE0ELb0ELb0ES3_N6thrust23THRUST_200600_302600_NS6detail15normal_iteratorINS9_10device_ptrIjEEEENSB_INSC_IfEEEEjNS9_4plusIvEEjEEDaPvRmT3_T4_T5_mT6_P12ihipStream_tbENKUlT_T0_E_clISt17integral_constantIbLb1EESV_IbLb0EEEEDaSR_SS_EUlSR_E0_NS1_11comp_targetILNS1_3genE9ELNS1_11target_archE1100ELNS1_3gpuE3ELNS1_3repE0EEENS1_30default_config_static_selectorELNS0_4arch9wavefront6targetE1EEEvT1_,comdat
	.protected	_ZN7rocprim17ROCPRIM_400000_NS6detail17trampoline_kernelINS0_14default_configENS1_20scan_config_selectorIjEEZZNS1_9scan_implILNS1_25lookback_scan_determinismE0ELb0ELb0ES3_N6thrust23THRUST_200600_302600_NS6detail15normal_iteratorINS9_10device_ptrIjEEEENSB_INSC_IfEEEEjNS9_4plusIvEEjEEDaPvRmT3_T4_T5_mT6_P12ihipStream_tbENKUlT_T0_E_clISt17integral_constantIbLb1EESV_IbLb0EEEEDaSR_SS_EUlSR_E0_NS1_11comp_targetILNS1_3genE9ELNS1_11target_archE1100ELNS1_3gpuE3ELNS1_3repE0EEENS1_30default_config_static_selectorELNS0_4arch9wavefront6targetE1EEEvT1_ ; -- Begin function _ZN7rocprim17ROCPRIM_400000_NS6detail17trampoline_kernelINS0_14default_configENS1_20scan_config_selectorIjEEZZNS1_9scan_implILNS1_25lookback_scan_determinismE0ELb0ELb0ES3_N6thrust23THRUST_200600_302600_NS6detail15normal_iteratorINS9_10device_ptrIjEEEENSB_INSC_IfEEEEjNS9_4plusIvEEjEEDaPvRmT3_T4_T5_mT6_P12ihipStream_tbENKUlT_T0_E_clISt17integral_constantIbLb1EESV_IbLb0EEEEDaSR_SS_EUlSR_E0_NS1_11comp_targetILNS1_3genE9ELNS1_11target_archE1100ELNS1_3gpuE3ELNS1_3repE0EEENS1_30default_config_static_selectorELNS0_4arch9wavefront6targetE1EEEvT1_
	.globl	_ZN7rocprim17ROCPRIM_400000_NS6detail17trampoline_kernelINS0_14default_configENS1_20scan_config_selectorIjEEZZNS1_9scan_implILNS1_25lookback_scan_determinismE0ELb0ELb0ES3_N6thrust23THRUST_200600_302600_NS6detail15normal_iteratorINS9_10device_ptrIjEEEENSB_INSC_IfEEEEjNS9_4plusIvEEjEEDaPvRmT3_T4_T5_mT6_P12ihipStream_tbENKUlT_T0_E_clISt17integral_constantIbLb1EESV_IbLb0EEEEDaSR_SS_EUlSR_E0_NS1_11comp_targetILNS1_3genE9ELNS1_11target_archE1100ELNS1_3gpuE3ELNS1_3repE0EEENS1_30default_config_static_selectorELNS0_4arch9wavefront6targetE1EEEvT1_
	.p2align	8
	.type	_ZN7rocprim17ROCPRIM_400000_NS6detail17trampoline_kernelINS0_14default_configENS1_20scan_config_selectorIjEEZZNS1_9scan_implILNS1_25lookback_scan_determinismE0ELb0ELb0ES3_N6thrust23THRUST_200600_302600_NS6detail15normal_iteratorINS9_10device_ptrIjEEEENSB_INSC_IfEEEEjNS9_4plusIvEEjEEDaPvRmT3_T4_T5_mT6_P12ihipStream_tbENKUlT_T0_E_clISt17integral_constantIbLb1EESV_IbLb0EEEEDaSR_SS_EUlSR_E0_NS1_11comp_targetILNS1_3genE9ELNS1_11target_archE1100ELNS1_3gpuE3ELNS1_3repE0EEENS1_30default_config_static_selectorELNS0_4arch9wavefront6targetE1EEEvT1_,@function
_ZN7rocprim17ROCPRIM_400000_NS6detail17trampoline_kernelINS0_14default_configENS1_20scan_config_selectorIjEEZZNS1_9scan_implILNS1_25lookback_scan_determinismE0ELb0ELb0ES3_N6thrust23THRUST_200600_302600_NS6detail15normal_iteratorINS9_10device_ptrIjEEEENSB_INSC_IfEEEEjNS9_4plusIvEEjEEDaPvRmT3_T4_T5_mT6_P12ihipStream_tbENKUlT_T0_E_clISt17integral_constantIbLb1EESV_IbLb0EEEEDaSR_SS_EUlSR_E0_NS1_11comp_targetILNS1_3genE9ELNS1_11target_archE1100ELNS1_3gpuE3ELNS1_3repE0EEENS1_30default_config_static_selectorELNS0_4arch9wavefront6targetE1EEEvT1_: ; @_ZN7rocprim17ROCPRIM_400000_NS6detail17trampoline_kernelINS0_14default_configENS1_20scan_config_selectorIjEEZZNS1_9scan_implILNS1_25lookback_scan_determinismE0ELb0ELb0ES3_N6thrust23THRUST_200600_302600_NS6detail15normal_iteratorINS9_10device_ptrIjEEEENSB_INSC_IfEEEEjNS9_4plusIvEEjEEDaPvRmT3_T4_T5_mT6_P12ihipStream_tbENKUlT_T0_E_clISt17integral_constantIbLb1EESV_IbLb0EEEEDaSR_SS_EUlSR_E0_NS1_11comp_targetILNS1_3genE9ELNS1_11target_archE1100ELNS1_3gpuE3ELNS1_3repE0EEENS1_30default_config_static_selectorELNS0_4arch9wavefront6targetE1EEEvT1_
; %bb.0:
	.section	.rodata,"a",@progbits
	.p2align	6, 0x0
	.amdhsa_kernel _ZN7rocprim17ROCPRIM_400000_NS6detail17trampoline_kernelINS0_14default_configENS1_20scan_config_selectorIjEEZZNS1_9scan_implILNS1_25lookback_scan_determinismE0ELb0ELb0ES3_N6thrust23THRUST_200600_302600_NS6detail15normal_iteratorINS9_10device_ptrIjEEEENSB_INSC_IfEEEEjNS9_4plusIvEEjEEDaPvRmT3_T4_T5_mT6_P12ihipStream_tbENKUlT_T0_E_clISt17integral_constantIbLb1EESV_IbLb0EEEEDaSR_SS_EUlSR_E0_NS1_11comp_targetILNS1_3genE9ELNS1_11target_archE1100ELNS1_3gpuE3ELNS1_3repE0EEENS1_30default_config_static_selectorELNS0_4arch9wavefront6targetE1EEEvT1_
		.amdhsa_group_segment_fixed_size 0
		.amdhsa_private_segment_fixed_size 0
		.amdhsa_kernarg_size 32
		.amdhsa_user_sgpr_count 6
		.amdhsa_user_sgpr_private_segment_buffer 1
		.amdhsa_user_sgpr_dispatch_ptr 0
		.amdhsa_user_sgpr_queue_ptr 0
		.amdhsa_user_sgpr_kernarg_segment_ptr 1
		.amdhsa_user_sgpr_dispatch_id 0
		.amdhsa_user_sgpr_flat_scratch_init 0
		.amdhsa_user_sgpr_kernarg_preload_length 0
		.amdhsa_user_sgpr_kernarg_preload_offset 0
		.amdhsa_user_sgpr_private_segment_size 0
		.amdhsa_uses_dynamic_stack 0
		.amdhsa_system_sgpr_private_segment_wavefront_offset 0
		.amdhsa_system_sgpr_workgroup_id_x 1
		.amdhsa_system_sgpr_workgroup_id_y 0
		.amdhsa_system_sgpr_workgroup_id_z 0
		.amdhsa_system_sgpr_workgroup_info 0
		.amdhsa_system_vgpr_workitem_id 0
		.amdhsa_next_free_vgpr 1
		.amdhsa_next_free_sgpr 0
		.amdhsa_accum_offset 4
		.amdhsa_reserve_vcc 0
		.amdhsa_reserve_flat_scratch 0
		.amdhsa_float_round_mode_32 0
		.amdhsa_float_round_mode_16_64 0
		.amdhsa_float_denorm_mode_32 3
		.amdhsa_float_denorm_mode_16_64 3
		.amdhsa_dx10_clamp 1
		.amdhsa_ieee_mode 1
		.amdhsa_fp16_overflow 0
		.amdhsa_tg_split 0
		.amdhsa_exception_fp_ieee_invalid_op 0
		.amdhsa_exception_fp_denorm_src 0
		.amdhsa_exception_fp_ieee_div_zero 0
		.amdhsa_exception_fp_ieee_overflow 0
		.amdhsa_exception_fp_ieee_underflow 0
		.amdhsa_exception_fp_ieee_inexact 0
		.amdhsa_exception_int_div_zero 0
	.end_amdhsa_kernel
	.section	.text._ZN7rocprim17ROCPRIM_400000_NS6detail17trampoline_kernelINS0_14default_configENS1_20scan_config_selectorIjEEZZNS1_9scan_implILNS1_25lookback_scan_determinismE0ELb0ELb0ES3_N6thrust23THRUST_200600_302600_NS6detail15normal_iteratorINS9_10device_ptrIjEEEENSB_INSC_IfEEEEjNS9_4plusIvEEjEEDaPvRmT3_T4_T5_mT6_P12ihipStream_tbENKUlT_T0_E_clISt17integral_constantIbLb1EESV_IbLb0EEEEDaSR_SS_EUlSR_E0_NS1_11comp_targetILNS1_3genE9ELNS1_11target_archE1100ELNS1_3gpuE3ELNS1_3repE0EEENS1_30default_config_static_selectorELNS0_4arch9wavefront6targetE1EEEvT1_,"axG",@progbits,_ZN7rocprim17ROCPRIM_400000_NS6detail17trampoline_kernelINS0_14default_configENS1_20scan_config_selectorIjEEZZNS1_9scan_implILNS1_25lookback_scan_determinismE0ELb0ELb0ES3_N6thrust23THRUST_200600_302600_NS6detail15normal_iteratorINS9_10device_ptrIjEEEENSB_INSC_IfEEEEjNS9_4plusIvEEjEEDaPvRmT3_T4_T5_mT6_P12ihipStream_tbENKUlT_T0_E_clISt17integral_constantIbLb1EESV_IbLb0EEEEDaSR_SS_EUlSR_E0_NS1_11comp_targetILNS1_3genE9ELNS1_11target_archE1100ELNS1_3gpuE3ELNS1_3repE0EEENS1_30default_config_static_selectorELNS0_4arch9wavefront6targetE1EEEvT1_,comdat
.Lfunc_end6067:
	.size	_ZN7rocprim17ROCPRIM_400000_NS6detail17trampoline_kernelINS0_14default_configENS1_20scan_config_selectorIjEEZZNS1_9scan_implILNS1_25lookback_scan_determinismE0ELb0ELb0ES3_N6thrust23THRUST_200600_302600_NS6detail15normal_iteratorINS9_10device_ptrIjEEEENSB_INSC_IfEEEEjNS9_4plusIvEEjEEDaPvRmT3_T4_T5_mT6_P12ihipStream_tbENKUlT_T0_E_clISt17integral_constantIbLb1EESV_IbLb0EEEEDaSR_SS_EUlSR_E0_NS1_11comp_targetILNS1_3genE9ELNS1_11target_archE1100ELNS1_3gpuE3ELNS1_3repE0EEENS1_30default_config_static_selectorELNS0_4arch9wavefront6targetE1EEEvT1_, .Lfunc_end6067-_ZN7rocprim17ROCPRIM_400000_NS6detail17trampoline_kernelINS0_14default_configENS1_20scan_config_selectorIjEEZZNS1_9scan_implILNS1_25lookback_scan_determinismE0ELb0ELb0ES3_N6thrust23THRUST_200600_302600_NS6detail15normal_iteratorINS9_10device_ptrIjEEEENSB_INSC_IfEEEEjNS9_4plusIvEEjEEDaPvRmT3_T4_T5_mT6_P12ihipStream_tbENKUlT_T0_E_clISt17integral_constantIbLb1EESV_IbLb0EEEEDaSR_SS_EUlSR_E0_NS1_11comp_targetILNS1_3genE9ELNS1_11target_archE1100ELNS1_3gpuE3ELNS1_3repE0EEENS1_30default_config_static_selectorELNS0_4arch9wavefront6targetE1EEEvT1_
                                        ; -- End function
	.section	.AMDGPU.csdata,"",@progbits
; Kernel info:
; codeLenInByte = 0
; NumSgprs: 4
; NumVgprs: 0
; NumAgprs: 0
; TotalNumVgprs: 0
; ScratchSize: 0
; MemoryBound: 0
; FloatMode: 240
; IeeeMode: 1
; LDSByteSize: 0 bytes/workgroup (compile time only)
; SGPRBlocks: 0
; VGPRBlocks: 0
; NumSGPRsForWavesPerEU: 4
; NumVGPRsForWavesPerEU: 1
; AccumOffset: 4
; Occupancy: 8
; WaveLimiterHint : 0
; COMPUTE_PGM_RSRC2:SCRATCH_EN: 0
; COMPUTE_PGM_RSRC2:USER_SGPR: 6
; COMPUTE_PGM_RSRC2:TRAP_HANDLER: 0
; COMPUTE_PGM_RSRC2:TGID_X_EN: 1
; COMPUTE_PGM_RSRC2:TGID_Y_EN: 0
; COMPUTE_PGM_RSRC2:TGID_Z_EN: 0
; COMPUTE_PGM_RSRC2:TIDIG_COMP_CNT: 0
; COMPUTE_PGM_RSRC3_GFX90A:ACCUM_OFFSET: 0
; COMPUTE_PGM_RSRC3_GFX90A:TG_SPLIT: 0
	.section	.text._ZN7rocprim17ROCPRIM_400000_NS6detail17trampoline_kernelINS0_14default_configENS1_20scan_config_selectorIjEEZZNS1_9scan_implILNS1_25lookback_scan_determinismE0ELb0ELb0ES3_N6thrust23THRUST_200600_302600_NS6detail15normal_iteratorINS9_10device_ptrIjEEEENSB_INSC_IfEEEEjNS9_4plusIvEEjEEDaPvRmT3_T4_T5_mT6_P12ihipStream_tbENKUlT_T0_E_clISt17integral_constantIbLb1EESV_IbLb0EEEEDaSR_SS_EUlSR_E0_NS1_11comp_targetILNS1_3genE8ELNS1_11target_archE1030ELNS1_3gpuE2ELNS1_3repE0EEENS1_30default_config_static_selectorELNS0_4arch9wavefront6targetE1EEEvT1_,"axG",@progbits,_ZN7rocprim17ROCPRIM_400000_NS6detail17trampoline_kernelINS0_14default_configENS1_20scan_config_selectorIjEEZZNS1_9scan_implILNS1_25lookback_scan_determinismE0ELb0ELb0ES3_N6thrust23THRUST_200600_302600_NS6detail15normal_iteratorINS9_10device_ptrIjEEEENSB_INSC_IfEEEEjNS9_4plusIvEEjEEDaPvRmT3_T4_T5_mT6_P12ihipStream_tbENKUlT_T0_E_clISt17integral_constantIbLb1EESV_IbLb0EEEEDaSR_SS_EUlSR_E0_NS1_11comp_targetILNS1_3genE8ELNS1_11target_archE1030ELNS1_3gpuE2ELNS1_3repE0EEENS1_30default_config_static_selectorELNS0_4arch9wavefront6targetE1EEEvT1_,comdat
	.protected	_ZN7rocprim17ROCPRIM_400000_NS6detail17trampoline_kernelINS0_14default_configENS1_20scan_config_selectorIjEEZZNS1_9scan_implILNS1_25lookback_scan_determinismE0ELb0ELb0ES3_N6thrust23THRUST_200600_302600_NS6detail15normal_iteratorINS9_10device_ptrIjEEEENSB_INSC_IfEEEEjNS9_4plusIvEEjEEDaPvRmT3_T4_T5_mT6_P12ihipStream_tbENKUlT_T0_E_clISt17integral_constantIbLb1EESV_IbLb0EEEEDaSR_SS_EUlSR_E0_NS1_11comp_targetILNS1_3genE8ELNS1_11target_archE1030ELNS1_3gpuE2ELNS1_3repE0EEENS1_30default_config_static_selectorELNS0_4arch9wavefront6targetE1EEEvT1_ ; -- Begin function _ZN7rocprim17ROCPRIM_400000_NS6detail17trampoline_kernelINS0_14default_configENS1_20scan_config_selectorIjEEZZNS1_9scan_implILNS1_25lookback_scan_determinismE0ELb0ELb0ES3_N6thrust23THRUST_200600_302600_NS6detail15normal_iteratorINS9_10device_ptrIjEEEENSB_INSC_IfEEEEjNS9_4plusIvEEjEEDaPvRmT3_T4_T5_mT6_P12ihipStream_tbENKUlT_T0_E_clISt17integral_constantIbLb1EESV_IbLb0EEEEDaSR_SS_EUlSR_E0_NS1_11comp_targetILNS1_3genE8ELNS1_11target_archE1030ELNS1_3gpuE2ELNS1_3repE0EEENS1_30default_config_static_selectorELNS0_4arch9wavefront6targetE1EEEvT1_
	.globl	_ZN7rocprim17ROCPRIM_400000_NS6detail17trampoline_kernelINS0_14default_configENS1_20scan_config_selectorIjEEZZNS1_9scan_implILNS1_25lookback_scan_determinismE0ELb0ELb0ES3_N6thrust23THRUST_200600_302600_NS6detail15normal_iteratorINS9_10device_ptrIjEEEENSB_INSC_IfEEEEjNS9_4plusIvEEjEEDaPvRmT3_T4_T5_mT6_P12ihipStream_tbENKUlT_T0_E_clISt17integral_constantIbLb1EESV_IbLb0EEEEDaSR_SS_EUlSR_E0_NS1_11comp_targetILNS1_3genE8ELNS1_11target_archE1030ELNS1_3gpuE2ELNS1_3repE0EEENS1_30default_config_static_selectorELNS0_4arch9wavefront6targetE1EEEvT1_
	.p2align	8
	.type	_ZN7rocprim17ROCPRIM_400000_NS6detail17trampoline_kernelINS0_14default_configENS1_20scan_config_selectorIjEEZZNS1_9scan_implILNS1_25lookback_scan_determinismE0ELb0ELb0ES3_N6thrust23THRUST_200600_302600_NS6detail15normal_iteratorINS9_10device_ptrIjEEEENSB_INSC_IfEEEEjNS9_4plusIvEEjEEDaPvRmT3_T4_T5_mT6_P12ihipStream_tbENKUlT_T0_E_clISt17integral_constantIbLb1EESV_IbLb0EEEEDaSR_SS_EUlSR_E0_NS1_11comp_targetILNS1_3genE8ELNS1_11target_archE1030ELNS1_3gpuE2ELNS1_3repE0EEENS1_30default_config_static_selectorELNS0_4arch9wavefront6targetE1EEEvT1_,@function
_ZN7rocprim17ROCPRIM_400000_NS6detail17trampoline_kernelINS0_14default_configENS1_20scan_config_selectorIjEEZZNS1_9scan_implILNS1_25lookback_scan_determinismE0ELb0ELb0ES3_N6thrust23THRUST_200600_302600_NS6detail15normal_iteratorINS9_10device_ptrIjEEEENSB_INSC_IfEEEEjNS9_4plusIvEEjEEDaPvRmT3_T4_T5_mT6_P12ihipStream_tbENKUlT_T0_E_clISt17integral_constantIbLb1EESV_IbLb0EEEEDaSR_SS_EUlSR_E0_NS1_11comp_targetILNS1_3genE8ELNS1_11target_archE1030ELNS1_3gpuE2ELNS1_3repE0EEENS1_30default_config_static_selectorELNS0_4arch9wavefront6targetE1EEEvT1_: ; @_ZN7rocprim17ROCPRIM_400000_NS6detail17trampoline_kernelINS0_14default_configENS1_20scan_config_selectorIjEEZZNS1_9scan_implILNS1_25lookback_scan_determinismE0ELb0ELb0ES3_N6thrust23THRUST_200600_302600_NS6detail15normal_iteratorINS9_10device_ptrIjEEEENSB_INSC_IfEEEEjNS9_4plusIvEEjEEDaPvRmT3_T4_T5_mT6_P12ihipStream_tbENKUlT_T0_E_clISt17integral_constantIbLb1EESV_IbLb0EEEEDaSR_SS_EUlSR_E0_NS1_11comp_targetILNS1_3genE8ELNS1_11target_archE1030ELNS1_3gpuE2ELNS1_3repE0EEENS1_30default_config_static_selectorELNS0_4arch9wavefront6targetE1EEEvT1_
; %bb.0:
	.section	.rodata,"a",@progbits
	.p2align	6, 0x0
	.amdhsa_kernel _ZN7rocprim17ROCPRIM_400000_NS6detail17trampoline_kernelINS0_14default_configENS1_20scan_config_selectorIjEEZZNS1_9scan_implILNS1_25lookback_scan_determinismE0ELb0ELb0ES3_N6thrust23THRUST_200600_302600_NS6detail15normal_iteratorINS9_10device_ptrIjEEEENSB_INSC_IfEEEEjNS9_4plusIvEEjEEDaPvRmT3_T4_T5_mT6_P12ihipStream_tbENKUlT_T0_E_clISt17integral_constantIbLb1EESV_IbLb0EEEEDaSR_SS_EUlSR_E0_NS1_11comp_targetILNS1_3genE8ELNS1_11target_archE1030ELNS1_3gpuE2ELNS1_3repE0EEENS1_30default_config_static_selectorELNS0_4arch9wavefront6targetE1EEEvT1_
		.amdhsa_group_segment_fixed_size 0
		.amdhsa_private_segment_fixed_size 0
		.amdhsa_kernarg_size 32
		.amdhsa_user_sgpr_count 6
		.amdhsa_user_sgpr_private_segment_buffer 1
		.amdhsa_user_sgpr_dispatch_ptr 0
		.amdhsa_user_sgpr_queue_ptr 0
		.amdhsa_user_sgpr_kernarg_segment_ptr 1
		.amdhsa_user_sgpr_dispatch_id 0
		.amdhsa_user_sgpr_flat_scratch_init 0
		.amdhsa_user_sgpr_kernarg_preload_length 0
		.amdhsa_user_sgpr_kernarg_preload_offset 0
		.amdhsa_user_sgpr_private_segment_size 0
		.amdhsa_uses_dynamic_stack 0
		.amdhsa_system_sgpr_private_segment_wavefront_offset 0
		.amdhsa_system_sgpr_workgroup_id_x 1
		.amdhsa_system_sgpr_workgroup_id_y 0
		.amdhsa_system_sgpr_workgroup_id_z 0
		.amdhsa_system_sgpr_workgroup_info 0
		.amdhsa_system_vgpr_workitem_id 0
		.amdhsa_next_free_vgpr 1
		.amdhsa_next_free_sgpr 0
		.amdhsa_accum_offset 4
		.amdhsa_reserve_vcc 0
		.amdhsa_reserve_flat_scratch 0
		.amdhsa_float_round_mode_32 0
		.amdhsa_float_round_mode_16_64 0
		.amdhsa_float_denorm_mode_32 3
		.amdhsa_float_denorm_mode_16_64 3
		.amdhsa_dx10_clamp 1
		.amdhsa_ieee_mode 1
		.amdhsa_fp16_overflow 0
		.amdhsa_tg_split 0
		.amdhsa_exception_fp_ieee_invalid_op 0
		.amdhsa_exception_fp_denorm_src 0
		.amdhsa_exception_fp_ieee_div_zero 0
		.amdhsa_exception_fp_ieee_overflow 0
		.amdhsa_exception_fp_ieee_underflow 0
		.amdhsa_exception_fp_ieee_inexact 0
		.amdhsa_exception_int_div_zero 0
	.end_amdhsa_kernel
	.section	.text._ZN7rocprim17ROCPRIM_400000_NS6detail17trampoline_kernelINS0_14default_configENS1_20scan_config_selectorIjEEZZNS1_9scan_implILNS1_25lookback_scan_determinismE0ELb0ELb0ES3_N6thrust23THRUST_200600_302600_NS6detail15normal_iteratorINS9_10device_ptrIjEEEENSB_INSC_IfEEEEjNS9_4plusIvEEjEEDaPvRmT3_T4_T5_mT6_P12ihipStream_tbENKUlT_T0_E_clISt17integral_constantIbLb1EESV_IbLb0EEEEDaSR_SS_EUlSR_E0_NS1_11comp_targetILNS1_3genE8ELNS1_11target_archE1030ELNS1_3gpuE2ELNS1_3repE0EEENS1_30default_config_static_selectorELNS0_4arch9wavefront6targetE1EEEvT1_,"axG",@progbits,_ZN7rocprim17ROCPRIM_400000_NS6detail17trampoline_kernelINS0_14default_configENS1_20scan_config_selectorIjEEZZNS1_9scan_implILNS1_25lookback_scan_determinismE0ELb0ELb0ES3_N6thrust23THRUST_200600_302600_NS6detail15normal_iteratorINS9_10device_ptrIjEEEENSB_INSC_IfEEEEjNS9_4plusIvEEjEEDaPvRmT3_T4_T5_mT6_P12ihipStream_tbENKUlT_T0_E_clISt17integral_constantIbLb1EESV_IbLb0EEEEDaSR_SS_EUlSR_E0_NS1_11comp_targetILNS1_3genE8ELNS1_11target_archE1030ELNS1_3gpuE2ELNS1_3repE0EEENS1_30default_config_static_selectorELNS0_4arch9wavefront6targetE1EEEvT1_,comdat
.Lfunc_end6068:
	.size	_ZN7rocprim17ROCPRIM_400000_NS6detail17trampoline_kernelINS0_14default_configENS1_20scan_config_selectorIjEEZZNS1_9scan_implILNS1_25lookback_scan_determinismE0ELb0ELb0ES3_N6thrust23THRUST_200600_302600_NS6detail15normal_iteratorINS9_10device_ptrIjEEEENSB_INSC_IfEEEEjNS9_4plusIvEEjEEDaPvRmT3_T4_T5_mT6_P12ihipStream_tbENKUlT_T0_E_clISt17integral_constantIbLb1EESV_IbLb0EEEEDaSR_SS_EUlSR_E0_NS1_11comp_targetILNS1_3genE8ELNS1_11target_archE1030ELNS1_3gpuE2ELNS1_3repE0EEENS1_30default_config_static_selectorELNS0_4arch9wavefront6targetE1EEEvT1_, .Lfunc_end6068-_ZN7rocprim17ROCPRIM_400000_NS6detail17trampoline_kernelINS0_14default_configENS1_20scan_config_selectorIjEEZZNS1_9scan_implILNS1_25lookback_scan_determinismE0ELb0ELb0ES3_N6thrust23THRUST_200600_302600_NS6detail15normal_iteratorINS9_10device_ptrIjEEEENSB_INSC_IfEEEEjNS9_4plusIvEEjEEDaPvRmT3_T4_T5_mT6_P12ihipStream_tbENKUlT_T0_E_clISt17integral_constantIbLb1EESV_IbLb0EEEEDaSR_SS_EUlSR_E0_NS1_11comp_targetILNS1_3genE8ELNS1_11target_archE1030ELNS1_3gpuE2ELNS1_3repE0EEENS1_30default_config_static_selectorELNS0_4arch9wavefront6targetE1EEEvT1_
                                        ; -- End function
	.section	.AMDGPU.csdata,"",@progbits
; Kernel info:
; codeLenInByte = 0
; NumSgprs: 4
; NumVgprs: 0
; NumAgprs: 0
; TotalNumVgprs: 0
; ScratchSize: 0
; MemoryBound: 0
; FloatMode: 240
; IeeeMode: 1
; LDSByteSize: 0 bytes/workgroup (compile time only)
; SGPRBlocks: 0
; VGPRBlocks: 0
; NumSGPRsForWavesPerEU: 4
; NumVGPRsForWavesPerEU: 1
; AccumOffset: 4
; Occupancy: 8
; WaveLimiterHint : 0
; COMPUTE_PGM_RSRC2:SCRATCH_EN: 0
; COMPUTE_PGM_RSRC2:USER_SGPR: 6
; COMPUTE_PGM_RSRC2:TRAP_HANDLER: 0
; COMPUTE_PGM_RSRC2:TGID_X_EN: 1
; COMPUTE_PGM_RSRC2:TGID_Y_EN: 0
; COMPUTE_PGM_RSRC2:TGID_Z_EN: 0
; COMPUTE_PGM_RSRC2:TIDIG_COMP_CNT: 0
; COMPUTE_PGM_RSRC3_GFX90A:ACCUM_OFFSET: 0
; COMPUTE_PGM_RSRC3_GFX90A:TG_SPLIT: 0
	.section	.text._ZN7rocprim17ROCPRIM_400000_NS6detail17trampoline_kernelINS0_14default_configENS1_20scan_config_selectorIjEEZZNS1_9scan_implILNS1_25lookback_scan_determinismE0ELb0ELb0ES3_N6thrust23THRUST_200600_302600_NS6detail15normal_iteratorINS9_10device_ptrIjEEEENSB_INSC_IfEEEEjNS9_4plusIvEEjEEDaPvRmT3_T4_T5_mT6_P12ihipStream_tbENKUlT_T0_E_clISt17integral_constantIbLb0EESV_IbLb1EEEEDaSR_SS_EUlSR_E_NS1_11comp_targetILNS1_3genE0ELNS1_11target_archE4294967295ELNS1_3gpuE0ELNS1_3repE0EEENS1_30default_config_static_selectorELNS0_4arch9wavefront6targetE1EEEvT1_,"axG",@progbits,_ZN7rocprim17ROCPRIM_400000_NS6detail17trampoline_kernelINS0_14default_configENS1_20scan_config_selectorIjEEZZNS1_9scan_implILNS1_25lookback_scan_determinismE0ELb0ELb0ES3_N6thrust23THRUST_200600_302600_NS6detail15normal_iteratorINS9_10device_ptrIjEEEENSB_INSC_IfEEEEjNS9_4plusIvEEjEEDaPvRmT3_T4_T5_mT6_P12ihipStream_tbENKUlT_T0_E_clISt17integral_constantIbLb0EESV_IbLb1EEEEDaSR_SS_EUlSR_E_NS1_11comp_targetILNS1_3genE0ELNS1_11target_archE4294967295ELNS1_3gpuE0ELNS1_3repE0EEENS1_30default_config_static_selectorELNS0_4arch9wavefront6targetE1EEEvT1_,comdat
	.protected	_ZN7rocprim17ROCPRIM_400000_NS6detail17trampoline_kernelINS0_14default_configENS1_20scan_config_selectorIjEEZZNS1_9scan_implILNS1_25lookback_scan_determinismE0ELb0ELb0ES3_N6thrust23THRUST_200600_302600_NS6detail15normal_iteratorINS9_10device_ptrIjEEEENSB_INSC_IfEEEEjNS9_4plusIvEEjEEDaPvRmT3_T4_T5_mT6_P12ihipStream_tbENKUlT_T0_E_clISt17integral_constantIbLb0EESV_IbLb1EEEEDaSR_SS_EUlSR_E_NS1_11comp_targetILNS1_3genE0ELNS1_11target_archE4294967295ELNS1_3gpuE0ELNS1_3repE0EEENS1_30default_config_static_selectorELNS0_4arch9wavefront6targetE1EEEvT1_ ; -- Begin function _ZN7rocprim17ROCPRIM_400000_NS6detail17trampoline_kernelINS0_14default_configENS1_20scan_config_selectorIjEEZZNS1_9scan_implILNS1_25lookback_scan_determinismE0ELb0ELb0ES3_N6thrust23THRUST_200600_302600_NS6detail15normal_iteratorINS9_10device_ptrIjEEEENSB_INSC_IfEEEEjNS9_4plusIvEEjEEDaPvRmT3_T4_T5_mT6_P12ihipStream_tbENKUlT_T0_E_clISt17integral_constantIbLb0EESV_IbLb1EEEEDaSR_SS_EUlSR_E_NS1_11comp_targetILNS1_3genE0ELNS1_11target_archE4294967295ELNS1_3gpuE0ELNS1_3repE0EEENS1_30default_config_static_selectorELNS0_4arch9wavefront6targetE1EEEvT1_
	.globl	_ZN7rocprim17ROCPRIM_400000_NS6detail17trampoline_kernelINS0_14default_configENS1_20scan_config_selectorIjEEZZNS1_9scan_implILNS1_25lookback_scan_determinismE0ELb0ELb0ES3_N6thrust23THRUST_200600_302600_NS6detail15normal_iteratorINS9_10device_ptrIjEEEENSB_INSC_IfEEEEjNS9_4plusIvEEjEEDaPvRmT3_T4_T5_mT6_P12ihipStream_tbENKUlT_T0_E_clISt17integral_constantIbLb0EESV_IbLb1EEEEDaSR_SS_EUlSR_E_NS1_11comp_targetILNS1_3genE0ELNS1_11target_archE4294967295ELNS1_3gpuE0ELNS1_3repE0EEENS1_30default_config_static_selectorELNS0_4arch9wavefront6targetE1EEEvT1_
	.p2align	8
	.type	_ZN7rocprim17ROCPRIM_400000_NS6detail17trampoline_kernelINS0_14default_configENS1_20scan_config_selectorIjEEZZNS1_9scan_implILNS1_25lookback_scan_determinismE0ELb0ELb0ES3_N6thrust23THRUST_200600_302600_NS6detail15normal_iteratorINS9_10device_ptrIjEEEENSB_INSC_IfEEEEjNS9_4plusIvEEjEEDaPvRmT3_T4_T5_mT6_P12ihipStream_tbENKUlT_T0_E_clISt17integral_constantIbLb0EESV_IbLb1EEEEDaSR_SS_EUlSR_E_NS1_11comp_targetILNS1_3genE0ELNS1_11target_archE4294967295ELNS1_3gpuE0ELNS1_3repE0EEENS1_30default_config_static_selectorELNS0_4arch9wavefront6targetE1EEEvT1_,@function
_ZN7rocprim17ROCPRIM_400000_NS6detail17trampoline_kernelINS0_14default_configENS1_20scan_config_selectorIjEEZZNS1_9scan_implILNS1_25lookback_scan_determinismE0ELb0ELb0ES3_N6thrust23THRUST_200600_302600_NS6detail15normal_iteratorINS9_10device_ptrIjEEEENSB_INSC_IfEEEEjNS9_4plusIvEEjEEDaPvRmT3_T4_T5_mT6_P12ihipStream_tbENKUlT_T0_E_clISt17integral_constantIbLb0EESV_IbLb1EEEEDaSR_SS_EUlSR_E_NS1_11comp_targetILNS1_3genE0ELNS1_11target_archE4294967295ELNS1_3gpuE0ELNS1_3repE0EEENS1_30default_config_static_selectorELNS0_4arch9wavefront6targetE1EEEvT1_: ; @_ZN7rocprim17ROCPRIM_400000_NS6detail17trampoline_kernelINS0_14default_configENS1_20scan_config_selectorIjEEZZNS1_9scan_implILNS1_25lookback_scan_determinismE0ELb0ELb0ES3_N6thrust23THRUST_200600_302600_NS6detail15normal_iteratorINS9_10device_ptrIjEEEENSB_INSC_IfEEEEjNS9_4plusIvEEjEEDaPvRmT3_T4_T5_mT6_P12ihipStream_tbENKUlT_T0_E_clISt17integral_constantIbLb0EESV_IbLb1EEEEDaSR_SS_EUlSR_E_NS1_11comp_targetILNS1_3genE0ELNS1_11target_archE4294967295ELNS1_3gpuE0ELNS1_3repE0EEENS1_30default_config_static_selectorELNS0_4arch9wavefront6targetE1EEEvT1_
; %bb.0:
	.section	.rodata,"a",@progbits
	.p2align	6, 0x0
	.amdhsa_kernel _ZN7rocprim17ROCPRIM_400000_NS6detail17trampoline_kernelINS0_14default_configENS1_20scan_config_selectorIjEEZZNS1_9scan_implILNS1_25lookback_scan_determinismE0ELb0ELb0ES3_N6thrust23THRUST_200600_302600_NS6detail15normal_iteratorINS9_10device_ptrIjEEEENSB_INSC_IfEEEEjNS9_4plusIvEEjEEDaPvRmT3_T4_T5_mT6_P12ihipStream_tbENKUlT_T0_E_clISt17integral_constantIbLb0EESV_IbLb1EEEEDaSR_SS_EUlSR_E_NS1_11comp_targetILNS1_3genE0ELNS1_11target_archE4294967295ELNS1_3gpuE0ELNS1_3repE0EEENS1_30default_config_static_selectorELNS0_4arch9wavefront6targetE1EEEvT1_
		.amdhsa_group_segment_fixed_size 0
		.amdhsa_private_segment_fixed_size 0
		.amdhsa_kernarg_size 96
		.amdhsa_user_sgpr_count 6
		.amdhsa_user_sgpr_private_segment_buffer 1
		.amdhsa_user_sgpr_dispatch_ptr 0
		.amdhsa_user_sgpr_queue_ptr 0
		.amdhsa_user_sgpr_kernarg_segment_ptr 1
		.amdhsa_user_sgpr_dispatch_id 0
		.amdhsa_user_sgpr_flat_scratch_init 0
		.amdhsa_user_sgpr_kernarg_preload_length 0
		.amdhsa_user_sgpr_kernarg_preload_offset 0
		.amdhsa_user_sgpr_private_segment_size 0
		.amdhsa_uses_dynamic_stack 0
		.amdhsa_system_sgpr_private_segment_wavefront_offset 0
		.amdhsa_system_sgpr_workgroup_id_x 1
		.amdhsa_system_sgpr_workgroup_id_y 0
		.amdhsa_system_sgpr_workgroup_id_z 0
		.amdhsa_system_sgpr_workgroup_info 0
		.amdhsa_system_vgpr_workitem_id 0
		.amdhsa_next_free_vgpr 1
		.amdhsa_next_free_sgpr 0
		.amdhsa_accum_offset 4
		.amdhsa_reserve_vcc 0
		.amdhsa_reserve_flat_scratch 0
		.amdhsa_float_round_mode_32 0
		.amdhsa_float_round_mode_16_64 0
		.amdhsa_float_denorm_mode_32 3
		.amdhsa_float_denorm_mode_16_64 3
		.amdhsa_dx10_clamp 1
		.amdhsa_ieee_mode 1
		.amdhsa_fp16_overflow 0
		.amdhsa_tg_split 0
		.amdhsa_exception_fp_ieee_invalid_op 0
		.amdhsa_exception_fp_denorm_src 0
		.amdhsa_exception_fp_ieee_div_zero 0
		.amdhsa_exception_fp_ieee_overflow 0
		.amdhsa_exception_fp_ieee_underflow 0
		.amdhsa_exception_fp_ieee_inexact 0
		.amdhsa_exception_int_div_zero 0
	.end_amdhsa_kernel
	.section	.text._ZN7rocprim17ROCPRIM_400000_NS6detail17trampoline_kernelINS0_14default_configENS1_20scan_config_selectorIjEEZZNS1_9scan_implILNS1_25lookback_scan_determinismE0ELb0ELb0ES3_N6thrust23THRUST_200600_302600_NS6detail15normal_iteratorINS9_10device_ptrIjEEEENSB_INSC_IfEEEEjNS9_4plusIvEEjEEDaPvRmT3_T4_T5_mT6_P12ihipStream_tbENKUlT_T0_E_clISt17integral_constantIbLb0EESV_IbLb1EEEEDaSR_SS_EUlSR_E_NS1_11comp_targetILNS1_3genE0ELNS1_11target_archE4294967295ELNS1_3gpuE0ELNS1_3repE0EEENS1_30default_config_static_selectorELNS0_4arch9wavefront6targetE1EEEvT1_,"axG",@progbits,_ZN7rocprim17ROCPRIM_400000_NS6detail17trampoline_kernelINS0_14default_configENS1_20scan_config_selectorIjEEZZNS1_9scan_implILNS1_25lookback_scan_determinismE0ELb0ELb0ES3_N6thrust23THRUST_200600_302600_NS6detail15normal_iteratorINS9_10device_ptrIjEEEENSB_INSC_IfEEEEjNS9_4plusIvEEjEEDaPvRmT3_T4_T5_mT6_P12ihipStream_tbENKUlT_T0_E_clISt17integral_constantIbLb0EESV_IbLb1EEEEDaSR_SS_EUlSR_E_NS1_11comp_targetILNS1_3genE0ELNS1_11target_archE4294967295ELNS1_3gpuE0ELNS1_3repE0EEENS1_30default_config_static_selectorELNS0_4arch9wavefront6targetE1EEEvT1_,comdat
.Lfunc_end6069:
	.size	_ZN7rocprim17ROCPRIM_400000_NS6detail17trampoline_kernelINS0_14default_configENS1_20scan_config_selectorIjEEZZNS1_9scan_implILNS1_25lookback_scan_determinismE0ELb0ELb0ES3_N6thrust23THRUST_200600_302600_NS6detail15normal_iteratorINS9_10device_ptrIjEEEENSB_INSC_IfEEEEjNS9_4plusIvEEjEEDaPvRmT3_T4_T5_mT6_P12ihipStream_tbENKUlT_T0_E_clISt17integral_constantIbLb0EESV_IbLb1EEEEDaSR_SS_EUlSR_E_NS1_11comp_targetILNS1_3genE0ELNS1_11target_archE4294967295ELNS1_3gpuE0ELNS1_3repE0EEENS1_30default_config_static_selectorELNS0_4arch9wavefront6targetE1EEEvT1_, .Lfunc_end6069-_ZN7rocprim17ROCPRIM_400000_NS6detail17trampoline_kernelINS0_14default_configENS1_20scan_config_selectorIjEEZZNS1_9scan_implILNS1_25lookback_scan_determinismE0ELb0ELb0ES3_N6thrust23THRUST_200600_302600_NS6detail15normal_iteratorINS9_10device_ptrIjEEEENSB_INSC_IfEEEEjNS9_4plusIvEEjEEDaPvRmT3_T4_T5_mT6_P12ihipStream_tbENKUlT_T0_E_clISt17integral_constantIbLb0EESV_IbLb1EEEEDaSR_SS_EUlSR_E_NS1_11comp_targetILNS1_3genE0ELNS1_11target_archE4294967295ELNS1_3gpuE0ELNS1_3repE0EEENS1_30default_config_static_selectorELNS0_4arch9wavefront6targetE1EEEvT1_
                                        ; -- End function
	.section	.AMDGPU.csdata,"",@progbits
; Kernel info:
; codeLenInByte = 0
; NumSgprs: 4
; NumVgprs: 0
; NumAgprs: 0
; TotalNumVgprs: 0
; ScratchSize: 0
; MemoryBound: 0
; FloatMode: 240
; IeeeMode: 1
; LDSByteSize: 0 bytes/workgroup (compile time only)
; SGPRBlocks: 0
; VGPRBlocks: 0
; NumSGPRsForWavesPerEU: 4
; NumVGPRsForWavesPerEU: 1
; AccumOffset: 4
; Occupancy: 8
; WaveLimiterHint : 0
; COMPUTE_PGM_RSRC2:SCRATCH_EN: 0
; COMPUTE_PGM_RSRC2:USER_SGPR: 6
; COMPUTE_PGM_RSRC2:TRAP_HANDLER: 0
; COMPUTE_PGM_RSRC2:TGID_X_EN: 1
; COMPUTE_PGM_RSRC2:TGID_Y_EN: 0
; COMPUTE_PGM_RSRC2:TGID_Z_EN: 0
; COMPUTE_PGM_RSRC2:TIDIG_COMP_CNT: 0
; COMPUTE_PGM_RSRC3_GFX90A:ACCUM_OFFSET: 0
; COMPUTE_PGM_RSRC3_GFX90A:TG_SPLIT: 0
	.section	.text._ZN7rocprim17ROCPRIM_400000_NS6detail17trampoline_kernelINS0_14default_configENS1_20scan_config_selectorIjEEZZNS1_9scan_implILNS1_25lookback_scan_determinismE0ELb0ELb0ES3_N6thrust23THRUST_200600_302600_NS6detail15normal_iteratorINS9_10device_ptrIjEEEENSB_INSC_IfEEEEjNS9_4plusIvEEjEEDaPvRmT3_T4_T5_mT6_P12ihipStream_tbENKUlT_T0_E_clISt17integral_constantIbLb0EESV_IbLb1EEEEDaSR_SS_EUlSR_E_NS1_11comp_targetILNS1_3genE5ELNS1_11target_archE942ELNS1_3gpuE9ELNS1_3repE0EEENS1_30default_config_static_selectorELNS0_4arch9wavefront6targetE1EEEvT1_,"axG",@progbits,_ZN7rocprim17ROCPRIM_400000_NS6detail17trampoline_kernelINS0_14default_configENS1_20scan_config_selectorIjEEZZNS1_9scan_implILNS1_25lookback_scan_determinismE0ELb0ELb0ES3_N6thrust23THRUST_200600_302600_NS6detail15normal_iteratorINS9_10device_ptrIjEEEENSB_INSC_IfEEEEjNS9_4plusIvEEjEEDaPvRmT3_T4_T5_mT6_P12ihipStream_tbENKUlT_T0_E_clISt17integral_constantIbLb0EESV_IbLb1EEEEDaSR_SS_EUlSR_E_NS1_11comp_targetILNS1_3genE5ELNS1_11target_archE942ELNS1_3gpuE9ELNS1_3repE0EEENS1_30default_config_static_selectorELNS0_4arch9wavefront6targetE1EEEvT1_,comdat
	.protected	_ZN7rocprim17ROCPRIM_400000_NS6detail17trampoline_kernelINS0_14default_configENS1_20scan_config_selectorIjEEZZNS1_9scan_implILNS1_25lookback_scan_determinismE0ELb0ELb0ES3_N6thrust23THRUST_200600_302600_NS6detail15normal_iteratorINS9_10device_ptrIjEEEENSB_INSC_IfEEEEjNS9_4plusIvEEjEEDaPvRmT3_T4_T5_mT6_P12ihipStream_tbENKUlT_T0_E_clISt17integral_constantIbLb0EESV_IbLb1EEEEDaSR_SS_EUlSR_E_NS1_11comp_targetILNS1_3genE5ELNS1_11target_archE942ELNS1_3gpuE9ELNS1_3repE0EEENS1_30default_config_static_selectorELNS0_4arch9wavefront6targetE1EEEvT1_ ; -- Begin function _ZN7rocprim17ROCPRIM_400000_NS6detail17trampoline_kernelINS0_14default_configENS1_20scan_config_selectorIjEEZZNS1_9scan_implILNS1_25lookback_scan_determinismE0ELb0ELb0ES3_N6thrust23THRUST_200600_302600_NS6detail15normal_iteratorINS9_10device_ptrIjEEEENSB_INSC_IfEEEEjNS9_4plusIvEEjEEDaPvRmT3_T4_T5_mT6_P12ihipStream_tbENKUlT_T0_E_clISt17integral_constantIbLb0EESV_IbLb1EEEEDaSR_SS_EUlSR_E_NS1_11comp_targetILNS1_3genE5ELNS1_11target_archE942ELNS1_3gpuE9ELNS1_3repE0EEENS1_30default_config_static_selectorELNS0_4arch9wavefront6targetE1EEEvT1_
	.globl	_ZN7rocprim17ROCPRIM_400000_NS6detail17trampoline_kernelINS0_14default_configENS1_20scan_config_selectorIjEEZZNS1_9scan_implILNS1_25lookback_scan_determinismE0ELb0ELb0ES3_N6thrust23THRUST_200600_302600_NS6detail15normal_iteratorINS9_10device_ptrIjEEEENSB_INSC_IfEEEEjNS9_4plusIvEEjEEDaPvRmT3_T4_T5_mT6_P12ihipStream_tbENKUlT_T0_E_clISt17integral_constantIbLb0EESV_IbLb1EEEEDaSR_SS_EUlSR_E_NS1_11comp_targetILNS1_3genE5ELNS1_11target_archE942ELNS1_3gpuE9ELNS1_3repE0EEENS1_30default_config_static_selectorELNS0_4arch9wavefront6targetE1EEEvT1_
	.p2align	8
	.type	_ZN7rocprim17ROCPRIM_400000_NS6detail17trampoline_kernelINS0_14default_configENS1_20scan_config_selectorIjEEZZNS1_9scan_implILNS1_25lookback_scan_determinismE0ELb0ELb0ES3_N6thrust23THRUST_200600_302600_NS6detail15normal_iteratorINS9_10device_ptrIjEEEENSB_INSC_IfEEEEjNS9_4plusIvEEjEEDaPvRmT3_T4_T5_mT6_P12ihipStream_tbENKUlT_T0_E_clISt17integral_constantIbLb0EESV_IbLb1EEEEDaSR_SS_EUlSR_E_NS1_11comp_targetILNS1_3genE5ELNS1_11target_archE942ELNS1_3gpuE9ELNS1_3repE0EEENS1_30default_config_static_selectorELNS0_4arch9wavefront6targetE1EEEvT1_,@function
_ZN7rocprim17ROCPRIM_400000_NS6detail17trampoline_kernelINS0_14default_configENS1_20scan_config_selectorIjEEZZNS1_9scan_implILNS1_25lookback_scan_determinismE0ELb0ELb0ES3_N6thrust23THRUST_200600_302600_NS6detail15normal_iteratorINS9_10device_ptrIjEEEENSB_INSC_IfEEEEjNS9_4plusIvEEjEEDaPvRmT3_T4_T5_mT6_P12ihipStream_tbENKUlT_T0_E_clISt17integral_constantIbLb0EESV_IbLb1EEEEDaSR_SS_EUlSR_E_NS1_11comp_targetILNS1_3genE5ELNS1_11target_archE942ELNS1_3gpuE9ELNS1_3repE0EEENS1_30default_config_static_selectorELNS0_4arch9wavefront6targetE1EEEvT1_: ; @_ZN7rocprim17ROCPRIM_400000_NS6detail17trampoline_kernelINS0_14default_configENS1_20scan_config_selectorIjEEZZNS1_9scan_implILNS1_25lookback_scan_determinismE0ELb0ELb0ES3_N6thrust23THRUST_200600_302600_NS6detail15normal_iteratorINS9_10device_ptrIjEEEENSB_INSC_IfEEEEjNS9_4plusIvEEjEEDaPvRmT3_T4_T5_mT6_P12ihipStream_tbENKUlT_T0_E_clISt17integral_constantIbLb0EESV_IbLb1EEEEDaSR_SS_EUlSR_E_NS1_11comp_targetILNS1_3genE5ELNS1_11target_archE942ELNS1_3gpuE9ELNS1_3repE0EEENS1_30default_config_static_selectorELNS0_4arch9wavefront6targetE1EEEvT1_
; %bb.0:
	.section	.rodata,"a",@progbits
	.p2align	6, 0x0
	.amdhsa_kernel _ZN7rocprim17ROCPRIM_400000_NS6detail17trampoline_kernelINS0_14default_configENS1_20scan_config_selectorIjEEZZNS1_9scan_implILNS1_25lookback_scan_determinismE0ELb0ELb0ES3_N6thrust23THRUST_200600_302600_NS6detail15normal_iteratorINS9_10device_ptrIjEEEENSB_INSC_IfEEEEjNS9_4plusIvEEjEEDaPvRmT3_T4_T5_mT6_P12ihipStream_tbENKUlT_T0_E_clISt17integral_constantIbLb0EESV_IbLb1EEEEDaSR_SS_EUlSR_E_NS1_11comp_targetILNS1_3genE5ELNS1_11target_archE942ELNS1_3gpuE9ELNS1_3repE0EEENS1_30default_config_static_selectorELNS0_4arch9wavefront6targetE1EEEvT1_
		.amdhsa_group_segment_fixed_size 0
		.amdhsa_private_segment_fixed_size 0
		.amdhsa_kernarg_size 96
		.amdhsa_user_sgpr_count 6
		.amdhsa_user_sgpr_private_segment_buffer 1
		.amdhsa_user_sgpr_dispatch_ptr 0
		.amdhsa_user_sgpr_queue_ptr 0
		.amdhsa_user_sgpr_kernarg_segment_ptr 1
		.amdhsa_user_sgpr_dispatch_id 0
		.amdhsa_user_sgpr_flat_scratch_init 0
		.amdhsa_user_sgpr_kernarg_preload_length 0
		.amdhsa_user_sgpr_kernarg_preload_offset 0
		.amdhsa_user_sgpr_private_segment_size 0
		.amdhsa_uses_dynamic_stack 0
		.amdhsa_system_sgpr_private_segment_wavefront_offset 0
		.amdhsa_system_sgpr_workgroup_id_x 1
		.amdhsa_system_sgpr_workgroup_id_y 0
		.amdhsa_system_sgpr_workgroup_id_z 0
		.amdhsa_system_sgpr_workgroup_info 0
		.amdhsa_system_vgpr_workitem_id 0
		.amdhsa_next_free_vgpr 1
		.amdhsa_next_free_sgpr 0
		.amdhsa_accum_offset 4
		.amdhsa_reserve_vcc 0
		.amdhsa_reserve_flat_scratch 0
		.amdhsa_float_round_mode_32 0
		.amdhsa_float_round_mode_16_64 0
		.amdhsa_float_denorm_mode_32 3
		.amdhsa_float_denorm_mode_16_64 3
		.amdhsa_dx10_clamp 1
		.amdhsa_ieee_mode 1
		.amdhsa_fp16_overflow 0
		.amdhsa_tg_split 0
		.amdhsa_exception_fp_ieee_invalid_op 0
		.amdhsa_exception_fp_denorm_src 0
		.amdhsa_exception_fp_ieee_div_zero 0
		.amdhsa_exception_fp_ieee_overflow 0
		.amdhsa_exception_fp_ieee_underflow 0
		.amdhsa_exception_fp_ieee_inexact 0
		.amdhsa_exception_int_div_zero 0
	.end_amdhsa_kernel
	.section	.text._ZN7rocprim17ROCPRIM_400000_NS6detail17trampoline_kernelINS0_14default_configENS1_20scan_config_selectorIjEEZZNS1_9scan_implILNS1_25lookback_scan_determinismE0ELb0ELb0ES3_N6thrust23THRUST_200600_302600_NS6detail15normal_iteratorINS9_10device_ptrIjEEEENSB_INSC_IfEEEEjNS9_4plusIvEEjEEDaPvRmT3_T4_T5_mT6_P12ihipStream_tbENKUlT_T0_E_clISt17integral_constantIbLb0EESV_IbLb1EEEEDaSR_SS_EUlSR_E_NS1_11comp_targetILNS1_3genE5ELNS1_11target_archE942ELNS1_3gpuE9ELNS1_3repE0EEENS1_30default_config_static_selectorELNS0_4arch9wavefront6targetE1EEEvT1_,"axG",@progbits,_ZN7rocprim17ROCPRIM_400000_NS6detail17trampoline_kernelINS0_14default_configENS1_20scan_config_selectorIjEEZZNS1_9scan_implILNS1_25lookback_scan_determinismE0ELb0ELb0ES3_N6thrust23THRUST_200600_302600_NS6detail15normal_iteratorINS9_10device_ptrIjEEEENSB_INSC_IfEEEEjNS9_4plusIvEEjEEDaPvRmT3_T4_T5_mT6_P12ihipStream_tbENKUlT_T0_E_clISt17integral_constantIbLb0EESV_IbLb1EEEEDaSR_SS_EUlSR_E_NS1_11comp_targetILNS1_3genE5ELNS1_11target_archE942ELNS1_3gpuE9ELNS1_3repE0EEENS1_30default_config_static_selectorELNS0_4arch9wavefront6targetE1EEEvT1_,comdat
.Lfunc_end6070:
	.size	_ZN7rocprim17ROCPRIM_400000_NS6detail17trampoline_kernelINS0_14default_configENS1_20scan_config_selectorIjEEZZNS1_9scan_implILNS1_25lookback_scan_determinismE0ELb0ELb0ES3_N6thrust23THRUST_200600_302600_NS6detail15normal_iteratorINS9_10device_ptrIjEEEENSB_INSC_IfEEEEjNS9_4plusIvEEjEEDaPvRmT3_T4_T5_mT6_P12ihipStream_tbENKUlT_T0_E_clISt17integral_constantIbLb0EESV_IbLb1EEEEDaSR_SS_EUlSR_E_NS1_11comp_targetILNS1_3genE5ELNS1_11target_archE942ELNS1_3gpuE9ELNS1_3repE0EEENS1_30default_config_static_selectorELNS0_4arch9wavefront6targetE1EEEvT1_, .Lfunc_end6070-_ZN7rocprim17ROCPRIM_400000_NS6detail17trampoline_kernelINS0_14default_configENS1_20scan_config_selectorIjEEZZNS1_9scan_implILNS1_25lookback_scan_determinismE0ELb0ELb0ES3_N6thrust23THRUST_200600_302600_NS6detail15normal_iteratorINS9_10device_ptrIjEEEENSB_INSC_IfEEEEjNS9_4plusIvEEjEEDaPvRmT3_T4_T5_mT6_P12ihipStream_tbENKUlT_T0_E_clISt17integral_constantIbLb0EESV_IbLb1EEEEDaSR_SS_EUlSR_E_NS1_11comp_targetILNS1_3genE5ELNS1_11target_archE942ELNS1_3gpuE9ELNS1_3repE0EEENS1_30default_config_static_selectorELNS0_4arch9wavefront6targetE1EEEvT1_
                                        ; -- End function
	.section	.AMDGPU.csdata,"",@progbits
; Kernel info:
; codeLenInByte = 0
; NumSgprs: 4
; NumVgprs: 0
; NumAgprs: 0
; TotalNumVgprs: 0
; ScratchSize: 0
; MemoryBound: 0
; FloatMode: 240
; IeeeMode: 1
; LDSByteSize: 0 bytes/workgroup (compile time only)
; SGPRBlocks: 0
; VGPRBlocks: 0
; NumSGPRsForWavesPerEU: 4
; NumVGPRsForWavesPerEU: 1
; AccumOffset: 4
; Occupancy: 8
; WaveLimiterHint : 0
; COMPUTE_PGM_RSRC2:SCRATCH_EN: 0
; COMPUTE_PGM_RSRC2:USER_SGPR: 6
; COMPUTE_PGM_RSRC2:TRAP_HANDLER: 0
; COMPUTE_PGM_RSRC2:TGID_X_EN: 1
; COMPUTE_PGM_RSRC2:TGID_Y_EN: 0
; COMPUTE_PGM_RSRC2:TGID_Z_EN: 0
; COMPUTE_PGM_RSRC2:TIDIG_COMP_CNT: 0
; COMPUTE_PGM_RSRC3_GFX90A:ACCUM_OFFSET: 0
; COMPUTE_PGM_RSRC3_GFX90A:TG_SPLIT: 0
	.section	.text._ZN7rocprim17ROCPRIM_400000_NS6detail17trampoline_kernelINS0_14default_configENS1_20scan_config_selectorIjEEZZNS1_9scan_implILNS1_25lookback_scan_determinismE0ELb0ELb0ES3_N6thrust23THRUST_200600_302600_NS6detail15normal_iteratorINS9_10device_ptrIjEEEENSB_INSC_IfEEEEjNS9_4plusIvEEjEEDaPvRmT3_T4_T5_mT6_P12ihipStream_tbENKUlT_T0_E_clISt17integral_constantIbLb0EESV_IbLb1EEEEDaSR_SS_EUlSR_E_NS1_11comp_targetILNS1_3genE4ELNS1_11target_archE910ELNS1_3gpuE8ELNS1_3repE0EEENS1_30default_config_static_selectorELNS0_4arch9wavefront6targetE1EEEvT1_,"axG",@progbits,_ZN7rocprim17ROCPRIM_400000_NS6detail17trampoline_kernelINS0_14default_configENS1_20scan_config_selectorIjEEZZNS1_9scan_implILNS1_25lookback_scan_determinismE0ELb0ELb0ES3_N6thrust23THRUST_200600_302600_NS6detail15normal_iteratorINS9_10device_ptrIjEEEENSB_INSC_IfEEEEjNS9_4plusIvEEjEEDaPvRmT3_T4_T5_mT6_P12ihipStream_tbENKUlT_T0_E_clISt17integral_constantIbLb0EESV_IbLb1EEEEDaSR_SS_EUlSR_E_NS1_11comp_targetILNS1_3genE4ELNS1_11target_archE910ELNS1_3gpuE8ELNS1_3repE0EEENS1_30default_config_static_selectorELNS0_4arch9wavefront6targetE1EEEvT1_,comdat
	.protected	_ZN7rocprim17ROCPRIM_400000_NS6detail17trampoline_kernelINS0_14default_configENS1_20scan_config_selectorIjEEZZNS1_9scan_implILNS1_25lookback_scan_determinismE0ELb0ELb0ES3_N6thrust23THRUST_200600_302600_NS6detail15normal_iteratorINS9_10device_ptrIjEEEENSB_INSC_IfEEEEjNS9_4plusIvEEjEEDaPvRmT3_T4_T5_mT6_P12ihipStream_tbENKUlT_T0_E_clISt17integral_constantIbLb0EESV_IbLb1EEEEDaSR_SS_EUlSR_E_NS1_11comp_targetILNS1_3genE4ELNS1_11target_archE910ELNS1_3gpuE8ELNS1_3repE0EEENS1_30default_config_static_selectorELNS0_4arch9wavefront6targetE1EEEvT1_ ; -- Begin function _ZN7rocprim17ROCPRIM_400000_NS6detail17trampoline_kernelINS0_14default_configENS1_20scan_config_selectorIjEEZZNS1_9scan_implILNS1_25lookback_scan_determinismE0ELb0ELb0ES3_N6thrust23THRUST_200600_302600_NS6detail15normal_iteratorINS9_10device_ptrIjEEEENSB_INSC_IfEEEEjNS9_4plusIvEEjEEDaPvRmT3_T4_T5_mT6_P12ihipStream_tbENKUlT_T0_E_clISt17integral_constantIbLb0EESV_IbLb1EEEEDaSR_SS_EUlSR_E_NS1_11comp_targetILNS1_3genE4ELNS1_11target_archE910ELNS1_3gpuE8ELNS1_3repE0EEENS1_30default_config_static_selectorELNS0_4arch9wavefront6targetE1EEEvT1_
	.globl	_ZN7rocprim17ROCPRIM_400000_NS6detail17trampoline_kernelINS0_14default_configENS1_20scan_config_selectorIjEEZZNS1_9scan_implILNS1_25lookback_scan_determinismE0ELb0ELb0ES3_N6thrust23THRUST_200600_302600_NS6detail15normal_iteratorINS9_10device_ptrIjEEEENSB_INSC_IfEEEEjNS9_4plusIvEEjEEDaPvRmT3_T4_T5_mT6_P12ihipStream_tbENKUlT_T0_E_clISt17integral_constantIbLb0EESV_IbLb1EEEEDaSR_SS_EUlSR_E_NS1_11comp_targetILNS1_3genE4ELNS1_11target_archE910ELNS1_3gpuE8ELNS1_3repE0EEENS1_30default_config_static_selectorELNS0_4arch9wavefront6targetE1EEEvT1_
	.p2align	8
	.type	_ZN7rocprim17ROCPRIM_400000_NS6detail17trampoline_kernelINS0_14default_configENS1_20scan_config_selectorIjEEZZNS1_9scan_implILNS1_25lookback_scan_determinismE0ELb0ELb0ES3_N6thrust23THRUST_200600_302600_NS6detail15normal_iteratorINS9_10device_ptrIjEEEENSB_INSC_IfEEEEjNS9_4plusIvEEjEEDaPvRmT3_T4_T5_mT6_P12ihipStream_tbENKUlT_T0_E_clISt17integral_constantIbLb0EESV_IbLb1EEEEDaSR_SS_EUlSR_E_NS1_11comp_targetILNS1_3genE4ELNS1_11target_archE910ELNS1_3gpuE8ELNS1_3repE0EEENS1_30default_config_static_selectorELNS0_4arch9wavefront6targetE1EEEvT1_,@function
_ZN7rocprim17ROCPRIM_400000_NS6detail17trampoline_kernelINS0_14default_configENS1_20scan_config_selectorIjEEZZNS1_9scan_implILNS1_25lookback_scan_determinismE0ELb0ELb0ES3_N6thrust23THRUST_200600_302600_NS6detail15normal_iteratorINS9_10device_ptrIjEEEENSB_INSC_IfEEEEjNS9_4plusIvEEjEEDaPvRmT3_T4_T5_mT6_P12ihipStream_tbENKUlT_T0_E_clISt17integral_constantIbLb0EESV_IbLb1EEEEDaSR_SS_EUlSR_E_NS1_11comp_targetILNS1_3genE4ELNS1_11target_archE910ELNS1_3gpuE8ELNS1_3repE0EEENS1_30default_config_static_selectorELNS0_4arch9wavefront6targetE1EEEvT1_: ; @_ZN7rocprim17ROCPRIM_400000_NS6detail17trampoline_kernelINS0_14default_configENS1_20scan_config_selectorIjEEZZNS1_9scan_implILNS1_25lookback_scan_determinismE0ELb0ELb0ES3_N6thrust23THRUST_200600_302600_NS6detail15normal_iteratorINS9_10device_ptrIjEEEENSB_INSC_IfEEEEjNS9_4plusIvEEjEEDaPvRmT3_T4_T5_mT6_P12ihipStream_tbENKUlT_T0_E_clISt17integral_constantIbLb0EESV_IbLb1EEEEDaSR_SS_EUlSR_E_NS1_11comp_targetILNS1_3genE4ELNS1_11target_archE910ELNS1_3gpuE8ELNS1_3repE0EEENS1_30default_config_static_selectorELNS0_4arch9wavefront6targetE1EEEvT1_
; %bb.0:
	s_load_dwordx2 s[6:7], s[4:5], 0x28
	v_cmp_ne_u32_e64 s[0:1], 0, v0
	v_cmp_eq_u32_e64 s[2:3], 0, v0
	s_and_saveexec_b64 s[8:9], s[2:3]
	s_cbranch_execz .LBB6071_4
; %bb.1:
	s_mov_b64 s[12:13], exec
	v_mbcnt_lo_u32_b32 v1, s12, 0
	v_mbcnt_hi_u32_b32 v1, s13, v1
	v_cmp_eq_u32_e32 vcc, 0, v1
                                        ; implicit-def: $vgpr2
	s_and_saveexec_b64 s[10:11], vcc
	s_cbranch_execz .LBB6071_3
; %bb.2:
	s_load_dwordx2 s[14:15], s[4:5], 0x58
	s_bcnt1_i32_b64 s12, s[12:13]
	v_mov_b32_e32 v2, 0
	v_mov_b32_e32 v3, s12
	s_waitcnt lgkmcnt(0)
	global_atomic_add v2, v2, v3, s[14:15] glc
.LBB6071_3:
	s_or_b64 exec, exec, s[10:11]
	s_waitcnt vmcnt(0)
	v_readfirstlane_b32 s10, v2
	v_add_u32_e32 v1, s10, v1
	v_mov_b32_e32 v2, 0
	ds_write_b32 v2, v1
.LBB6071_4:
	s_or_b64 exec, exec, s[8:9]
	s_load_dwordx8 s[16:23], s[4:5], 0x0
	s_load_dword s24, s[4:5], 0x30
	s_load_dwordx8 s[8:15], s[4:5], 0x38
	v_mov_b32_e32 v1, 0
	s_waitcnt lgkmcnt(0)
	s_barrier
	ds_read_b32 v1, v1
	s_lshl_b64 s[18:19], s[18:19], 2
	s_add_u32 s25, s16, s18
	s_addc_u32 s26, s17, s19
	s_add_i32 s16, s24, -1
	s_mul_i32 s17, s16, 0x500
	s_sub_u32 s30, s22, s17
	s_waitcnt lgkmcnt(0)
	v_readfirstlane_b32 s33, v1
	s_subb_u32 s31, s23, 0
	s_mul_i32 s4, s33, 0x500
	s_mov_b32 s5, 0
	s_cmp_lg_u32 s33, s16
	s_cselect_b64 s[16:17], -1, 0
	s_lshl_b64 s[22:23], s[4:5], 2
	s_add_u32 s24, s25, s22
	s_addc_u32 s25, s26, s23
	s_mov_b64 s[4:5], -1
	s_and_b64 vcc, exec, s[16:17]
	v_lshlrev_b32_e32 v22, 2, v0
	s_barrier
	s_cbranch_vccz .LBB6071_6
; %bb.5:
	v_mov_b32_e32 v1, s25
	v_add_co_u32_e32 v2, vcc, s24, v22
	v_addc_co_u32_e32 v3, vcc, 0, v1, vcc
	flat_load_dword v1, v[2:3]
	flat_load_dword v4, v[2:3] offset:512
	flat_load_dword v5, v[2:3] offset:1024
	;; [unrolled: 1-line block ×7, first 2 shown]
	v_add_co_u32_e32 v2, vcc, 0x1000, v2
	v_addc_co_u32_e32 v3, vcc, 0, v3, vcc
	flat_load_dword v11, v[2:3]
	flat_load_dword v12, v[2:3] offset:512
	s_mov_b64 s[4:5], 0
	s_waitcnt vmcnt(0) lgkmcnt(0)
	ds_write2st64_b32 v22, v1, v4 offset1:2
	ds_write2st64_b32 v22, v5, v6 offset0:4 offset1:6
	ds_write2st64_b32 v22, v7, v8 offset0:8 offset1:10
	;; [unrolled: 1-line block ×4, first 2 shown]
	s_waitcnt lgkmcnt(0)
	s_barrier
.LBB6071_6:
	s_andn2_b64 vcc, exec, s[4:5]
	v_cmp_gt_u32_e64 s[4:5], s30, v0
	s_cbranch_vccnz .LBB6071_28
; %bb.7:
	v_pk_mov_b32 v[2:3], s[24:25], s[24:25] op_sel:[0,1]
	flat_load_dword v1, v[2:3]
	s_waitcnt vmcnt(0) lgkmcnt(0)
	v_mov_b32_e32 v2, v1
	v_mov_b32_e32 v3, v1
	;; [unrolled: 1-line block ×9, first 2 shown]
	s_and_saveexec_b64 s[26:27], s[4:5]
	s_cbranch_execz .LBB6071_9
; %bb.8:
	v_mov_b32_e32 v11, s25
	v_add_co_u32_e32 v10, vcc, s24, v22
	v_addc_co_u32_e32 v11, vcc, 0, v11, vcc
	flat_load_dword v10, v[10:11]
.LBB6071_9:
	s_or_b64 exec, exec, s[26:27]
	v_or_b32_e32 v11, 0x80, v0
	v_cmp_gt_u32_e32 vcc, s30, v11
	s_and_saveexec_b64 s[4:5], vcc
	s_cbranch_execz .LBB6071_11
; %bb.10:
	v_mov_b32_e32 v1, s25
	v_add_co_u32_e32 v12, vcc, s24, v22
	v_addc_co_u32_e32 v13, vcc, 0, v1, vcc
	flat_load_dword v1, v[12:13] offset:512
.LBB6071_11:
	s_or_b64 exec, exec, s[4:5]
	v_or_b32_e32 v11, 0x100, v0
	v_cmp_gt_u32_e32 vcc, s30, v11
	s_and_saveexec_b64 s[4:5], vcc
	s_cbranch_execz .LBB6071_13
; %bb.12:
	v_mov_b32_e32 v2, s25
	v_add_co_u32_e32 v12, vcc, s24, v22
	v_addc_co_u32_e32 v13, vcc, 0, v2, vcc
	flat_load_dword v2, v[12:13] offset:1024
.LBB6071_13:
	;; [unrolled: 11-line block ×7, first 2 shown]
	s_or_b64 exec, exec, s[4:5]
	v_or_b32_e32 v11, 0x400, v0
	v_cmp_gt_u32_e32 vcc, s30, v11
	s_and_saveexec_b64 s[4:5], vcc
	s_cbranch_execz .LBB6071_25
; %bb.24:
	v_lshlrev_b32_e32 v8, 2, v11
	v_mov_b32_e32 v11, s25
	v_add_co_u32_e32 v12, vcc, s24, v8
	v_addc_co_u32_e32 v13, vcc, 0, v11, vcc
	flat_load_dword v8, v[12:13]
.LBB6071_25:
	s_or_b64 exec, exec, s[4:5]
	v_or_b32_e32 v11, 0x480, v0
	v_cmp_gt_u32_e32 vcc, s30, v11
	s_and_saveexec_b64 s[4:5], vcc
	s_cbranch_execz .LBB6071_27
; %bb.26:
	v_lshlrev_b32_e32 v9, 2, v11
	v_mov_b32_e32 v11, s25
	v_add_co_u32_e32 v12, vcc, s24, v9
	v_addc_co_u32_e32 v13, vcc, 0, v11, vcc
	flat_load_dword v9, v[12:13]
.LBB6071_27:
	s_or_b64 exec, exec, s[4:5]
	s_waitcnt vmcnt(0) lgkmcnt(0)
	ds_write2st64_b32 v22, v10, v1 offset1:2
	ds_write2st64_b32 v22, v2, v3 offset0:4 offset1:6
	ds_write2st64_b32 v22, v4, v5 offset0:8 offset1:10
	;; [unrolled: 1-line block ×4, first 2 shown]
	s_waitcnt lgkmcnt(0)
	s_barrier
.LBB6071_28:
	v_mul_u32_u24_e32 v23, 10, v0
	v_lshlrev_b32_e32 v1, 2, v23
	ds_read2_b64 v[2:5], v1 offset1:1
	ds_read2_b64 v[16:19], v1 offset0:2 offset1:3
	ds_read_b64 v[20:21], v1 offset:32
	s_cmp_lg_u32 s33, 0
	v_lshrrev_b32_e32 v24, 5, v0
	v_cmp_gt_u32_e32 vcc, 64, v0
	s_waitcnt lgkmcnt(0)
	s_barrier
	s_cbranch_scc0 .LBB6071_53
; %bb.29:
	v_add_u32_e32 v6, v3, v2
	v_add3_u32 v6, v6, v4, v5
	v_add3_u32 v6, v6, v16, v17
	;; [unrolled: 1-line block ×4, first 2 shown]
	v_add_lshl_u32 v7, v24, v0, 2
	ds_write_b32 v7, v6
	s_waitcnt lgkmcnt(0)
	s_barrier
	s_and_saveexec_b64 s[24:25], vcc
	s_cbranch_execz .LBB6071_31
; %bb.30:
	v_lshlrev_b32_e32 v7, 1, v0
	v_lshrrev_b32_e32 v8, 4, v0
	v_add_lshl_u32 v7, v8, v7, 2
	ds_read2_b32 v[8:9], v7 offset1:1
	v_mbcnt_lo_u32_b32 v10, -1, 0
	v_mbcnt_hi_u32_b32 v10, -1, v10
	v_and_b32_e32 v11, 15, v10
	v_cmp_ne_u32_e64 s[4:5], 0, v11
	s_waitcnt lgkmcnt(0)
	v_add_u32_e32 v9, v9, v8
	; wave barrier
	s_nop 1
	v_mov_b32_dpp v12, v9 row_shr:1 row_mask:0xf bank_mask:0xf
	v_cndmask_b32_e64 v12, 0, v12, s[4:5]
	v_add_u32_e32 v9, v12, v9
	v_cmp_lt_u32_e64 s[4:5], 1, v11
	s_nop 0
	v_mov_b32_dpp v12, v9 row_shr:2 row_mask:0xf bank_mask:0xf
	v_cndmask_b32_e64 v12, 0, v12, s[4:5]
	v_add_u32_e32 v9, v9, v12
	v_cmp_lt_u32_e64 s[4:5], 3, v11
	;; [unrolled: 5-line block ×3, first 2 shown]
	s_nop 0
	v_mov_b32_dpp v12, v9 row_shr:8 row_mask:0xf bank_mask:0xf
	v_cndmask_b32_e64 v11, 0, v12, s[4:5]
	v_add_u32_e32 v9, v9, v11
	v_bfe_i32 v12, v10, 4, 1
	v_cmp_lt_u32_e64 s[4:5], 31, v10
	v_mov_b32_dpp v11, v9 row_bcast:15 row_mask:0xf bank_mask:0xf
	v_and_b32_e32 v11, v12, v11
	v_add_u32_e32 v9, v9, v11
	v_and_b32_e32 v12, 64, v10
	s_nop 0
	v_mov_b32_dpp v11, v9 row_bcast:31 row_mask:0xf bank_mask:0xf
	v_cndmask_b32_e64 v11, 0, v11, s[4:5]
	v_add_u32_e32 v9, v9, v11
	v_add_u32_e32 v11, -1, v10
	v_cmp_lt_i32_e64 s[4:5], v11, v12
	v_cndmask_b32_e64 v10, v11, v10, s[4:5]
	v_lshlrev_b32_e32 v10, 2, v10
	ds_bpermute_b32 v9, v10, v9
	s_waitcnt lgkmcnt(0)
	v_add_u32_e32 v8, v9, v8
	v_cndmask_b32_e64 v6, v8, v6, s[2:3]
	ds_write_b32 v7, v6
	; wave barrier
	ds_read_b32 v8, v7 offset:4
	s_waitcnt lgkmcnt(0)
	v_add_u32_e32 v6, v8, v6
	ds_write_b32 v7, v6 offset:4
.LBB6071_31:
	s_or_b64 exec, exec, s[24:25]
	v_mov_b32_e32 v25, 0
	s_waitcnt lgkmcnt(0)
	s_barrier
	s_and_saveexec_b64 s[4:5], s[0:1]
	s_cbranch_execz .LBB6071_33
; %bb.32:
	v_add_u32_e32 v6, -1, v0
	v_lshrrev_b32_e32 v7, 5, v6
	v_add_lshl_u32 v6, v7, v6, 2
	ds_read_b32 v25, v6
.LBB6071_33:
	s_or_b64 exec, exec, s[4:5]
	s_and_saveexec_b64 s[24:25], vcc
	s_cbranch_execz .LBB6071_52
; %bb.34:
	v_mov_b32_e32 v13, 0
	ds_read_b32 v6, v13 offset:520
	v_mbcnt_lo_u32_b32 v7, -1, 0
	v_mbcnt_hi_u32_b32 v9, -1, v7
	s_mov_b32 s29, 0
	v_cmp_eq_u32_e64 s[4:5], 0, v9
	s_and_saveexec_b64 s[26:27], s[4:5]
	s_cbranch_execz .LBB6071_36
; %bb.35:
	s_add_i32 s28, s33, 64
	s_lshl_b64 s[28:29], s[28:29], 3
	s_add_u32 s28, s6, s28
	v_mov_b32_e32 v7, 1
	s_addc_u32 s29, s7, s29
	s_waitcnt lgkmcnt(0)
	global_store_dwordx2 v13, v[6:7], s[28:29]
.LBB6071_36:
	s_or_b64 exec, exec, s[26:27]
	v_xad_u32 v8, v9, -1, s33
	v_add_u32_e32 v12, 64, v8
	v_lshlrev_b64 v[10:11], 3, v[12:13]
	v_mov_b32_e32 v7, s7
	v_add_co_u32_e32 v14, vcc, s6, v10
	v_addc_co_u32_e32 v15, vcc, v7, v11, vcc
	global_load_dwordx2 v[10:11], v[14:15], off glc
	s_waitcnt vmcnt(0)
	v_cmp_eq_u16_sdwa s[28:29], v11, v13 src0_sel:BYTE_0 src1_sel:DWORD
	s_and_saveexec_b64 s[26:27], s[28:29]
	s_cbranch_execz .LBB6071_40
; %bb.37:
	s_mov_b64 s[28:29], 0
	v_mov_b32_e32 v7, 0
.LBB6071_38:                            ; =>This Inner Loop Header: Depth=1
	global_load_dwordx2 v[10:11], v[14:15], off glc
	s_waitcnt vmcnt(0)
	v_cmp_ne_u16_sdwa s[34:35], v11, v7 src0_sel:BYTE_0 src1_sel:DWORD
	s_or_b64 s[28:29], s[34:35], s[28:29]
	s_andn2_b64 exec, exec, s[28:29]
	s_cbranch_execnz .LBB6071_38
; %bb.39:
	s_or_b64 exec, exec, s[28:29]
.LBB6071_40:
	s_or_b64 exec, exec, s[26:27]
	v_and_b32_e32 v26, 63, v9
	v_mov_b32_e32 v7, 2
	v_cmp_ne_u32_e32 vcc, 63, v26
	v_cmp_eq_u16_sdwa s[26:27], v11, v7 src0_sel:BYTE_0 src1_sel:DWORD
	v_lshlrev_b64 v[12:13], v9, -1
	v_addc_co_u32_e32 v27, vcc, 0, v9, vcc
	v_and_b32_e32 v14, s27, v13
	v_lshlrev_b32_e32 v27, 2, v27
	v_or_b32_e32 v14, 0x80000000, v14
	ds_bpermute_b32 v28, v27, v10
	v_and_b32_e32 v15, s26, v12
	v_ffbl_b32_e32 v14, v14
	v_add_u32_e32 v14, 32, v14
	v_ffbl_b32_e32 v15, v15
	v_min_u32_e32 v14, v15, v14
	v_cmp_lt_u32_e32 vcc, v26, v14
	s_waitcnt lgkmcnt(0)
	v_cndmask_b32_e32 v15, 0, v28, vcc
	v_cmp_gt_u32_e32 vcc, 62, v26
	v_add_u32_e32 v10, v15, v10
	v_cndmask_b32_e64 v15, 0, 1, vcc
	v_lshlrev_b32_e32 v15, 1, v15
	v_add_lshl_u32 v28, v15, v9, 2
	ds_bpermute_b32 v15, v28, v10
	v_add_u32_e32 v29, 2, v26
	v_cmp_le_u32_e32 vcc, v29, v14
	v_add_u32_e32 v31, 4, v26
	v_add_u32_e32 v33, 8, v26
	s_waitcnt lgkmcnt(0)
	v_cndmask_b32_e32 v15, 0, v15, vcc
	v_cmp_gt_u32_e32 vcc, 60, v26
	v_add_u32_e32 v10, v10, v15
	v_cndmask_b32_e64 v15, 0, 1, vcc
	v_lshlrev_b32_e32 v15, 2, v15
	v_add_lshl_u32 v30, v15, v9, 2
	ds_bpermute_b32 v15, v30, v10
	v_cmp_le_u32_e32 vcc, v31, v14
	v_add_u32_e32 v36, 16, v26
	v_add_u32_e32 v38, 32, v26
	s_waitcnt lgkmcnt(0)
	v_cndmask_b32_e32 v15, 0, v15, vcc
	v_cmp_gt_u32_e32 vcc, 56, v26
	v_add_u32_e32 v10, v10, v15
	v_cndmask_b32_e64 v15, 0, 1, vcc
	v_lshlrev_b32_e32 v15, 3, v15
	v_add_lshl_u32 v32, v15, v9, 2
	ds_bpermute_b32 v15, v32, v10
	v_cmp_le_u32_e32 vcc, v33, v14
	s_waitcnt lgkmcnt(0)
	v_cndmask_b32_e32 v15, 0, v15, vcc
	v_cmp_gt_u32_e32 vcc, 48, v26
	v_add_u32_e32 v10, v10, v15
	v_cndmask_b32_e64 v15, 0, 1, vcc
	v_lshlrev_b32_e32 v15, 4, v15
	v_add_lshl_u32 v35, v15, v9, 2
	ds_bpermute_b32 v15, v35, v10
	v_cmp_le_u32_e32 vcc, v36, v14
	s_waitcnt lgkmcnt(0)
	v_cndmask_b32_e32 v15, 0, v15, vcc
	v_cmp_gt_u32_e32 vcc, 32, v26
	v_add_u32_e32 v10, v10, v15
	v_cndmask_b32_e64 v15, 0, 1, vcc
	v_lshlrev_b32_e32 v15, 5, v15
	v_add_lshl_u32 v37, v15, v9, 2
	ds_bpermute_b32 v9, v37, v10
	v_cmp_le_u32_e32 vcc, v38, v14
	s_waitcnt lgkmcnt(0)
	v_cndmask_b32_e32 v9, 0, v9, vcc
	v_add_u32_e32 v10, v10, v9
	v_mov_b32_e32 v9, 0
	s_branch .LBB6071_42
.LBB6071_41:                            ;   in Loop: Header=BB6071_42 Depth=1
	s_or_b64 exec, exec, s[26:27]
	v_cmp_eq_u16_sdwa s[26:27], v11, v7 src0_sel:BYTE_0 src1_sel:DWORD
	v_and_b32_e32 v14, s27, v13
	v_or_b32_e32 v14, 0x80000000, v14
	ds_bpermute_b32 v39, v27, v10
	v_and_b32_e32 v15, s26, v12
	v_ffbl_b32_e32 v14, v14
	v_add_u32_e32 v14, 32, v14
	v_ffbl_b32_e32 v15, v15
	v_min_u32_e32 v14, v15, v14
	v_cmp_lt_u32_e32 vcc, v26, v14
	s_waitcnt lgkmcnt(0)
	v_cndmask_b32_e32 v15, 0, v39, vcc
	v_add_u32_e32 v10, v15, v10
	ds_bpermute_b32 v15, v28, v10
	v_cmp_le_u32_e32 vcc, v29, v14
	v_subrev_u32_e32 v8, 64, v8
	s_waitcnt lgkmcnt(0)
	v_cndmask_b32_e32 v15, 0, v15, vcc
	v_add_u32_e32 v10, v10, v15
	ds_bpermute_b32 v15, v30, v10
	v_cmp_le_u32_e32 vcc, v31, v14
	s_waitcnt lgkmcnt(0)
	v_cndmask_b32_e32 v15, 0, v15, vcc
	v_add_u32_e32 v10, v10, v15
	ds_bpermute_b32 v15, v32, v10
	v_cmp_le_u32_e32 vcc, v33, v14
	;; [unrolled: 5-line block ×4, first 2 shown]
	s_waitcnt lgkmcnt(0)
	v_cndmask_b32_e32 v14, 0, v15, vcc
	v_add3_u32 v10, v14, v34, v10
.LBB6071_42:                            ; =>This Loop Header: Depth=1
                                        ;     Child Loop BB6071_45 Depth 2
	v_cmp_ne_u16_sdwa s[26:27], v11, v7 src0_sel:BYTE_0 src1_sel:DWORD
	v_cndmask_b32_e64 v11, 0, 1, s[26:27]
	;;#ASMSTART
	;;#ASMEND
	v_cmp_ne_u32_e32 vcc, 0, v11
	s_cmp_lg_u64 vcc, exec
	v_mov_b32_e32 v34, v10
	s_cbranch_scc1 .LBB6071_47
; %bb.43:                               ;   in Loop: Header=BB6071_42 Depth=1
	v_lshlrev_b64 v[10:11], 3, v[8:9]
	v_mov_b32_e32 v15, s7
	v_add_co_u32_e32 v14, vcc, s6, v10
	v_addc_co_u32_e32 v15, vcc, v15, v11, vcc
	global_load_dwordx2 v[10:11], v[14:15], off glc
	s_waitcnt vmcnt(0)
	v_cmp_eq_u16_sdwa s[28:29], v11, v9 src0_sel:BYTE_0 src1_sel:DWORD
	s_and_saveexec_b64 s[26:27], s[28:29]
	s_cbranch_execz .LBB6071_41
; %bb.44:                               ;   in Loop: Header=BB6071_42 Depth=1
	s_mov_b64 s[28:29], 0
.LBB6071_45:                            ;   Parent Loop BB6071_42 Depth=1
                                        ; =>  This Inner Loop Header: Depth=2
	global_load_dwordx2 v[10:11], v[14:15], off glc
	s_waitcnt vmcnt(0)
	v_cmp_ne_u16_sdwa s[34:35], v11, v9 src0_sel:BYTE_0 src1_sel:DWORD
	s_or_b64 s[28:29], s[34:35], s[28:29]
	s_andn2_b64 exec, exec, s[28:29]
	s_cbranch_execnz .LBB6071_45
; %bb.46:                               ;   in Loop: Header=BB6071_42 Depth=1
	s_or_b64 exec, exec, s[28:29]
	s_branch .LBB6071_41
.LBB6071_47:                            ;   in Loop: Header=BB6071_42 Depth=1
                                        ; implicit-def: $vgpr10
                                        ; implicit-def: $vgpr11
	s_cbranch_execz .LBB6071_42
; %bb.48:
	s_and_saveexec_b64 s[26:27], s[4:5]
	s_cbranch_execz .LBB6071_50
; %bb.49:
	s_add_i32 s4, s33, 64
	s_mov_b32 s5, 0
	s_lshl_b64 s[4:5], s[4:5], 3
	s_add_u32 s4, s6, s4
	v_add_u32_e32 v6, v34, v6
	v_mov_b32_e32 v7, 2
	s_addc_u32 s5, s7, s5
	v_mov_b32_e32 v8, 0
	global_store_dwordx2 v8, v[6:7], s[4:5]
.LBB6071_50:
	s_or_b64 exec, exec, s[26:27]
	s_and_b64 exec, exec, s[2:3]
	s_cbranch_execz .LBB6071_52
; %bb.51:
	v_mov_b32_e32 v6, 0
	ds_write_b32 v6, v34
.LBB6071_52:
	s_or_b64 exec, exec, s[24:25]
	v_mov_b32_e32 v6, 0
	s_waitcnt lgkmcnt(0)
	s_barrier
	ds_read_b32 v6, v6
	s_waitcnt lgkmcnt(0)
	v_add3_u32 v6, v25, v2, v6
	v_add_u32_e32 v7, v6, v3
	v_add_u32_e32 v8, v7, v4
	;; [unrolled: 1-line block ×9, first 2 shown]
	s_branch .LBB6071_65
.LBB6071_53:
                                        ; implicit-def: $vgpr6_vgpr7_vgpr8_vgpr9_vgpr10_vgpr11_vgpr12_vgpr13_vgpr14_vgpr15
	s_cbranch_execz .LBB6071_65
; %bb.54:
	s_cmp_lg_u64 s[12:13], 0
	s_cselect_b64 s[4:5], -1, 0
	s_and_b64 s[12:13], s[2:3], s[4:5]
	v_mov_b32_e32 v12, v3
	v_mov_b32_e32 v13, v4
	;; [unrolled: 1-line block ×3, first 2 shown]
	s_and_saveexec_b64 s[4:5], s[12:13]
	s_cbranch_execz .LBB6071_56
; %bb.55:
	v_mov_b32_e32 v6, 0
	global_load_dword v6, v6, s[8:9]
	v_mov_b32_e32 v12, v3
	v_mov_b32_e32 v13, v4
	;; [unrolled: 1-line block ×3, first 2 shown]
	s_waitcnt vmcnt(0)
	v_add_u32_e32 v2, v6, v2
.LBB6071_56:
	s_or_b64 exec, exec, s[4:5]
	v_add_u32_e32 v3, v12, v2
	v_add_u32_e32 v4, v3, v13
	;; [unrolled: 1-line block ×9, first 2 shown]
	v_add_lshl_u32 v15, v24, v0, 2
	v_cmp_gt_u32_e32 vcc, 64, v0
	ds_write_b32 v15, v11
	s_waitcnt lgkmcnt(0)
	s_barrier
	s_and_saveexec_b64 s[4:5], vcc
	s_cbranch_execz .LBB6071_58
; %bb.57:
	v_lshlrev_b32_e32 v15, 1, v0
	v_lshrrev_b32_e32 v24, 4, v0
	v_add_lshl_u32 v15, v24, v15, 2
	ds_read2_b32 v[24:25], v15 offset1:1
	v_mbcnt_lo_u32_b32 v26, -1, 0
	v_mbcnt_hi_u32_b32 v26, -1, v26
	v_and_b32_e32 v27, 15, v26
	v_cmp_ne_u32_e32 vcc, 0, v27
	s_waitcnt lgkmcnt(0)
	v_add_u32_e32 v25, v25, v24
	; wave barrier
	s_nop 1
	v_mov_b32_dpp v28, v25 row_shr:1 row_mask:0xf bank_mask:0xf
	v_cndmask_b32_e32 v28, 0, v28, vcc
	v_add_u32_e32 v25, v28, v25
	v_cmp_lt_u32_e32 vcc, 1, v27
	s_nop 0
	v_mov_b32_dpp v28, v25 row_shr:2 row_mask:0xf bank_mask:0xf
	v_cndmask_b32_e32 v28, 0, v28, vcc
	v_add_u32_e32 v25, v25, v28
	v_cmp_lt_u32_e32 vcc, 3, v27
	s_nop 0
	v_mov_b32_dpp v28, v25 row_shr:4 row_mask:0xf bank_mask:0xf
	v_cndmask_b32_e32 v28, 0, v28, vcc
	v_add_u32_e32 v25, v25, v28
	v_cmp_lt_u32_e32 vcc, 7, v27
	s_nop 0
	v_mov_b32_dpp v28, v25 row_shr:8 row_mask:0xf bank_mask:0xf
	v_cndmask_b32_e32 v27, 0, v28, vcc
	v_add_u32_e32 v25, v25, v27
	v_bfe_i32 v28, v26, 4, 1
	v_cmp_lt_u32_e32 vcc, 31, v26
	v_mov_b32_dpp v27, v25 row_bcast:15 row_mask:0xf bank_mask:0xf
	v_and_b32_e32 v27, v28, v27
	v_add_u32_e32 v25, v25, v27
	v_and_b32_e32 v28, 64, v26
	s_nop 0
	v_mov_b32_dpp v27, v25 row_bcast:31 row_mask:0xf bank_mask:0xf
	v_cndmask_b32_e32 v27, 0, v27, vcc
	v_add_u32_e32 v25, v25, v27
	v_add_u32_e32 v27, -1, v26
	v_cmp_lt_i32_e32 vcc, v27, v28
	v_cndmask_b32_e32 v26, v27, v26, vcc
	v_lshlrev_b32_e32 v26, 2, v26
	ds_bpermute_b32 v25, v26, v25
	s_waitcnt lgkmcnt(0)
	v_add_u32_e32 v24, v25, v24
	v_cndmask_b32_e64 v24, v24, v11, s[2:3]
	ds_write_b32 v15, v24
	; wave barrier
	ds_read_b32 v25, v15 offset:4
	s_waitcnt lgkmcnt(0)
	v_add_u32_e32 v24, v25, v24
	ds_write_b32 v15, v24 offset:4
.LBB6071_58:
	s_or_b64 exec, exec, s[4:5]
	v_mov_b32_e32 v15, v11
	s_waitcnt lgkmcnt(0)
	s_barrier
	s_and_saveexec_b64 s[2:3], s[0:1]
	s_cbranch_execz .LBB6071_60
; %bb.59:
	v_add_u32_e32 v15, -1, v0
	v_lshrrev_b32_e32 v24, 5, v15
	v_add_lshl_u32 v15, v24, v15, 2
	ds_read_b32 v15, v15
.LBB6071_60:
	s_or_b64 exec, exec, s[2:3]
	s_and_saveexec_b64 s[2:3], s[0:1]
	s_cbranch_execz .LBB6071_62
; %bb.61:
	s_waitcnt lgkmcnt(0)
	v_add_u32_e32 v2, v15, v2
	v_add_u32_e32 v3, v2, v12
	;; [unrolled: 1-line block ×10, first 2 shown]
	;;#ASMSTART
	;;#ASMEND
.LBB6071_62:
	s_or_b64 exec, exec, s[2:3]
	s_movk_i32 s0, 0x7f
	v_cmp_eq_u32_e32 vcc, s0, v0
	s_and_saveexec_b64 s[0:1], vcc
	s_cbranch_execz .LBB6071_64
; %bb.63:
	v_mov_b32_e32 v14, 0
	v_mov_b32_e32 v13, 2
	;; [unrolled: 1-line block ×3, first 2 shown]
	global_store_dwordx2 v14, v[12:13], s[6:7] offset:512
.LBB6071_64:
	s_or_b64 exec, exec, s[0:1]
	s_waitcnt lgkmcnt(0)
	v_pk_mov_b32 v[14:15], v[10:11], v[10:11] op_sel:[0,1]
	v_pk_mov_b32 v[12:13], v[8:9], v[8:9] op_sel:[0,1]
	;; [unrolled: 1-line block ×5, first 2 shown]
.LBB6071_65:
	s_add_u32 s0, s20, s18
	s_addc_u32 s1, s21, s19
	s_add_u32 s2, s0, s22
	s_addc_u32 s3, s1, s23
	s_mov_b64 s[0:1], -1
	s_and_b64 vcc, exec, s[16:17]
	s_barrier
	s_cbranch_vccz .LBB6071_67
; %bb.66:
	ds_write2_b64 v1, v[6:7], v[8:9] offset1:1
	ds_write2_b64 v1, v[10:11], v[12:13] offset0:2 offset1:3
	ds_write_b64 v1, v[14:15] offset:32
	s_waitcnt lgkmcnt(0)
	s_barrier
	ds_read2st64_b32 v[2:3], v22 offset1:2
	ds_read2st64_b32 v[4:5], v22 offset0:4 offset1:6
	ds_read2st64_b32 v[16:17], v22 offset0:8 offset1:10
	;; [unrolled: 1-line block ×4, first 2 shown]
	s_waitcnt lgkmcnt(4)
	v_cvt_f32_u32_e32 v2, v2
	v_cvt_f32_u32_e32 v3, v3
	v_mov_b32_e32 v25, s3
	v_add_co_u32_e32 v24, vcc, s2, v22
	s_waitcnt lgkmcnt(3)
	v_cvt_f32_u32_e32 v4, v4
	v_addc_co_u32_e32 v25, vcc, 0, v25, vcc
	v_cvt_f32_u32_e32 v5, v5
	flat_store_dword v[24:25], v2
	flat_store_dword v[24:25], v3 offset:512
	flat_store_dword v[24:25], v4 offset:1024
	;; [unrolled: 1-line block ×3, first 2 shown]
	s_waitcnt lgkmcnt(0)
	v_cvt_f32_u32_e32 v2, v16
	v_cvt_f32_u32_e32 v3, v17
	;; [unrolled: 1-line block ×4, first 2 shown]
	flat_store_dword v[24:25], v2 offset:2048
	flat_store_dword v[24:25], v3 offset:2560
	;; [unrolled: 1-line block ×4, first 2 shown]
	v_cvt_f32_u32_e32 v4, v20
	v_cvt_f32_u32_e32 v5, v21
	v_add_co_u32_e32 v2, vcc, 0x1000, v24
	v_addc_co_u32_e32 v3, vcc, 0, v25, vcc
	flat_store_dword v[2:3], v4
	flat_store_dword v[2:3], v5 offset:512
	s_mov_b64 s[0:1], 0
.LBB6071_67:
	s_andn2_b64 vcc, exec, s[0:1]
	s_cbranch_vccnz .LBB6071_123
; %bb.68:
	ds_write2_b64 v1, v[6:7], v[8:9] offset1:1
	ds_write2_b64 v1, v[10:11], v[12:13] offset0:2 offset1:3
	ds_write_b64 v1, v[14:15] offset:32
	s_waitcnt lgkmcnt(0)
	s_barrier
	ds_read2st64_b32 v[2:3], v22 offset1:2
	ds_read2st64_b32 v[6:7], v22 offset0:4 offset1:6
	ds_read2st64_b32 v[4:5], v22 offset0:8 offset1:10
	;; [unrolled: 1-line block ×4, first 2 shown]
	v_mov_b32_e32 v13, s3
	v_add_co_u32_e32 v12, vcc, s2, v22
	v_addc_co_u32_e32 v13, vcc, 0, v13, vcc
	v_mov_b32_e32 v1, 0
	v_cmp_gt_u32_e32 vcc, s30, v0
	s_and_saveexec_b64 s[0:1], vcc
	s_cbranch_execz .LBB6071_70
; %bb.69:
	s_waitcnt lgkmcnt(0)
	v_cvt_f32_u32_e32 v14, v2
	flat_store_dword v[12:13], v14
.LBB6071_70:
	s_or_b64 exec, exec, s[0:1]
	v_or_b32_e32 v14, 0x80, v0
	v_cmp_gt_u32_e32 vcc, s30, v14
	s_and_saveexec_b64 s[0:1], vcc
	s_cbranch_execz .LBB6071_72
; %bb.71:
	s_waitcnt lgkmcnt(0)
	v_cvt_f32_u32_e32 v14, v3
	flat_store_dword v[12:13], v14 offset:512
.LBB6071_72:
	s_or_b64 exec, exec, s[0:1]
	v_or_b32_e32 v14, 0x100, v0
	v_cmp_gt_u32_e32 vcc, s30, v14
	s_and_saveexec_b64 s[0:1], vcc
	s_cbranch_execz .LBB6071_74
; %bb.73:
	s_waitcnt lgkmcnt(0)
	v_cvt_f32_u32_e32 v14, v6
	flat_store_dword v[12:13], v14 offset:1024
.LBB6071_74:
	;; [unrolled: 10-line block ×7, first 2 shown]
	s_or_b64 exec, exec, s[0:1]
	v_or_b32_e32 v14, 0x400, v0
	v_cmp_gt_u32_e32 vcc, s30, v14
	s_and_saveexec_b64 s[0:1], vcc
	s_cbranch_execz .LBB6071_86
; %bb.85:
	s_waitcnt lgkmcnt(0)
	v_cvt_f32_u32_e32 v16, v10
	v_add_co_u32_e32 v14, vcc, 0x1000, v12
	v_addc_co_u32_e32 v15, vcc, 0, v13, vcc
	flat_store_dword v[14:15], v16
.LBB6071_86:
	s_or_b64 exec, exec, s[0:1]
	v_or_b32_e32 v14, 0x480, v0
	v_cmp_gt_u32_e32 vcc, s30, v14
	s_and_saveexec_b64 s[0:1], vcc
	s_cbranch_execz .LBB6071_88
; %bb.87:
	s_waitcnt lgkmcnt(0)
	v_cvt_f32_u32_e32 v14, v11
	v_add_co_u32_e32 v12, vcc, 0x1000, v12
	v_addc_co_u32_e32 v13, vcc, 0, v13, vcc
	flat_store_dword v[12:13], v14 offset:512
.LBB6071_88:
	s_or_b64 exec, exec, s[0:1]
	v_cmp_lt_u64_e64 s[0:1], s[14:15], 2
	s_and_b64 vcc, exec, s[0:1]
	s_cbranch_vccnz .LBB6071_123
; %bb.89:
	s_add_u32 s0, s30, -1
	s_addc_u32 s1, s31, -1
	s_add_u32 s2, 0, 0x99986000
	s_addc_u32 s3, 0, 0x59
	s_add_i32 s3, s3, 0x19999940
	s_mul_hi_u32 s7, s2, -10
	s_sub_i32 s7, s7, s2
	s_mul_i32 s8, s3, -10
	s_mul_i32 s4, s2, -10
	s_add_i32 s7, s7, s8
	s_mul_hi_u32 s5, s3, s4
	s_mul_i32 s6, s3, s4
	s_mul_i32 s9, s2, s7
	s_mul_hi_u32 s4, s2, s4
	s_mul_hi_u32 s8, s2, s7
	s_add_u32 s4, s4, s9
	s_addc_u32 s8, 0, s8
	s_add_u32 s4, s4, s6
	s_mul_hi_u32 s9, s3, s7
	s_addc_u32 s4, s8, s5
	s_addc_u32 s5, s9, 0
	s_mul_i32 s6, s3, s7
	s_add_u32 s4, s4, s6
	v_mov_b32_e32 v12, s4
	s_addc_u32 s5, 0, s5
	v_add_co_u32_e32 v12, vcc, s2, v12
	s_cmp_lg_u64 vcc, 0
	s_addc_u32 s2, s3, s5
	v_readfirstlane_b32 s5, v12
	s_mul_i32 s4, s0, s2
	s_mul_hi_u32 s6, s0, s5
	s_mul_hi_u32 s3, s0, s2
	s_add_u32 s4, s6, s4
	s_addc_u32 s3, 0, s3
	s_mul_hi_u32 s7, s1, s5
	s_mul_i32 s5, s1, s5
	s_add_u32 s4, s4, s5
	s_mul_hi_u32 s6, s1, s2
	s_addc_u32 s3, s3, s7
	s_addc_u32 s4, s6, 0
	s_mul_i32 s2, s1, s2
	s_add_u32 s2, s3, s2
	s_addc_u32 s3, 0, s4
	s_add_u32 s4, s2, 1
	s_addc_u32 s5, s3, 0
	s_add_u32 s6, s2, 2
	s_mul_i32 s8, s3, 10
	s_mul_hi_u32 s9, s2, 10
	s_addc_u32 s7, s3, 0
	s_add_i32 s9, s9, s8
	s_mul_i32 s8, s2, 10
	v_mov_b32_e32 v12, s8
	v_sub_co_u32_e32 v12, vcc, s0, v12
	s_cmp_lg_u64 vcc, 0
	s_subb_u32 s8, s1, s9
	v_subrev_co_u32_e32 v13, vcc, 10, v12
	s_cmp_lg_u64 vcc, 0
	s_subb_u32 s9, s8, 0
	v_readfirstlane_b32 s12, v13
	s_cmp_gt_u32 s12, 9
	s_cselect_b32 s12, -1, 0
	s_cmp_eq_u32 s9, 0
	s_cselect_b32 s9, s12, -1
	s_cmp_lg_u32 s9, 0
	s_cselect_b32 s4, s6, s4
	v_readfirstlane_b32 s6, v12
	s_cselect_b32 s5, s7, s5
	s_cmp_gt_u32 s6, 9
	s_cselect_b32 s6, -1, 0
	s_cmp_eq_u32 s8, 0
	s_cselect_b32 s6, s6, -1
	s_cmp_lg_u32 s6, 0
	s_cselect_b32 s3, s5, s3
	s_cselect_b32 s2, s4, s2
	v_cmp_eq_u64_e32 vcc, s[2:3], v[0:1]
	s_and_saveexec_b64 s[2:3], vcc
	s_cbranch_execz .LBB6071_123
; %bb.90:
	v_mul_hi_u32_u24_e32 v1, 10, v0
	v_mov_b32_e32 v12, s1
	v_sub_co_u32_e32 v0, vcc, s0, v23
	v_subb_co_u32_e32 v1, vcc, v12, v1, vcc
	v_cmp_lt_i64_e32 vcc, 4, v[0:1]
	s_and_saveexec_b64 s[0:1], vcc
	s_xor_b64 s[0:1], exec, s[0:1]
	s_cbranch_execz .LBB6071_108
; %bb.91:
	v_cmp_lt_i64_e32 vcc, 6, v[0:1]
	s_and_saveexec_b64 s[2:3], vcc
	s_xor_b64 s[2:3], exec, s[2:3]
	s_cbranch_execz .LBB6071_101
; %bb.92:
	;; [unrolled: 5-line block ×4, first 2 shown]
	v_mov_b32_e32 v0, 0
	s_waitcnt lgkmcnt(0)
	global_store_dword v0, v11, s[10:11]
                                        ; implicit-def: $vgpr10_vgpr11
.LBB6071_95:
	s_andn2_saveexec_b64 s[6:7], s[6:7]
	s_cbranch_execz .LBB6071_97
; %bb.96:
	v_mov_b32_e32 v0, 0
	s_waitcnt lgkmcnt(0)
	global_store_dword v0, v10, s[10:11]
.LBB6071_97:
	s_or_b64 exec, exec, s[6:7]
                                        ; implicit-def: $vgpr8_vgpr9
.LBB6071_98:
	s_andn2_saveexec_b64 s[4:5], s[4:5]
	s_cbranch_execz .LBB6071_100
; %bb.99:
	v_mov_b32_e32 v0, 0
	s_waitcnt lgkmcnt(0)
	global_store_dword v0, v9, s[10:11]
.LBB6071_100:
	s_or_b64 exec, exec, s[4:5]
                                        ; implicit-def: $vgpr4_vgpr5
                                        ; implicit-def: $vgpr0_vgpr1
                                        ; implicit-def: $vgpr8_vgpr9
.LBB6071_101:
	s_andn2_saveexec_b64 s[2:3], s[2:3]
	s_cbranch_execz .LBB6071_107
; %bb.102:
	v_cmp_lt_i64_e32 vcc, 5, v[0:1]
	s_and_saveexec_b64 s[4:5], vcc
	s_xor_b64 s[4:5], exec, s[4:5]
	s_cbranch_execz .LBB6071_104
; %bb.103:
	v_mov_b32_e32 v0, 0
	s_waitcnt lgkmcnt(0)
	global_store_dword v0, v8, s[10:11]
                                        ; implicit-def: $vgpr4_vgpr5
.LBB6071_104:
	s_andn2_saveexec_b64 s[4:5], s[4:5]
	s_cbranch_execz .LBB6071_106
; %bb.105:
	v_mov_b32_e32 v0, 0
	s_waitcnt lgkmcnt(0)
	global_store_dword v0, v5, s[10:11]
.LBB6071_106:
	s_or_b64 exec, exec, s[4:5]
.LBB6071_107:
	s_or_b64 exec, exec, s[2:3]
                                        ; implicit-def: $vgpr0_vgpr1
                                        ; implicit-def: $vgpr6_vgpr7
                                        ; implicit-def: $vgpr2_vgpr3
                                        ; implicit-def: $vgpr4_vgpr5
.LBB6071_108:
	s_andn2_saveexec_b64 s[0:1], s[0:1]
	s_cbranch_execz .LBB6071_123
; %bb.109:
	v_cmp_lt_i64_e32 vcc, 2, v[0:1]
	s_and_saveexec_b64 s[0:1], vcc
	s_xor_b64 s[0:1], exec, s[0:1]
	s_cbranch_execz .LBB6071_115
; %bb.110:
	v_cmp_lt_i64_e32 vcc, 3, v[0:1]
	s_and_saveexec_b64 s[2:3], vcc
	s_xor_b64 s[2:3], exec, s[2:3]
	s_cbranch_execz .LBB6071_112
; %bb.111:
	v_mov_b32_e32 v0, 0
	s_waitcnt lgkmcnt(0)
	global_store_dword v0, v4, s[10:11]
                                        ; implicit-def: $vgpr6_vgpr7
.LBB6071_112:
	s_andn2_saveexec_b64 s[2:3], s[2:3]
	s_cbranch_execz .LBB6071_114
; %bb.113:
	v_mov_b32_e32 v0, 0
	s_waitcnt lgkmcnt(0)
	global_store_dword v0, v7, s[10:11]
.LBB6071_114:
	s_or_b64 exec, exec, s[2:3]
                                        ; implicit-def: $vgpr0_vgpr1
                                        ; implicit-def: $vgpr6_vgpr7
                                        ; implicit-def: $vgpr2_vgpr3
.LBB6071_115:
	s_andn2_saveexec_b64 s[0:1], s[0:1]
	s_cbranch_execz .LBB6071_123
; %bb.116:
	v_cmp_lt_i64_e32 vcc, 1, v[0:1]
	s_and_saveexec_b64 s[0:1], vcc
	s_xor_b64 s[0:1], exec, s[0:1]
	s_cbranch_execz .LBB6071_118
; %bb.117:
	v_mov_b32_e32 v0, 0
	s_waitcnt lgkmcnt(0)
	global_store_dword v0, v6, s[10:11]
                                        ; implicit-def: $vgpr2_vgpr3
                                        ; implicit-def: $vgpr0_vgpr1
.LBB6071_118:
	s_andn2_saveexec_b64 s[0:1], s[0:1]
	s_cbranch_execz .LBB6071_123
; %bb.119:
	v_cmp_ne_u64_e32 vcc, 1, v[0:1]
	s_and_saveexec_b64 s[0:1], vcc
	s_xor_b64 s[0:1], exec, s[0:1]
	s_cbranch_execz .LBB6071_121
; %bb.120:
	v_mov_b32_e32 v0, 0
	s_waitcnt lgkmcnt(0)
	global_store_dword v0, v2, s[10:11]
                                        ; implicit-def: $vgpr2_vgpr3
.LBB6071_121:
	s_andn2_saveexec_b64 s[0:1], s[0:1]
	s_cbranch_execz .LBB6071_123
; %bb.122:
	v_mov_b32_e32 v0, 0
	s_waitcnt lgkmcnt(0)
	global_store_dword v0, v3, s[10:11]
.LBB6071_123:
	s_endpgm
	.section	.rodata,"a",@progbits
	.p2align	6, 0x0
	.amdhsa_kernel _ZN7rocprim17ROCPRIM_400000_NS6detail17trampoline_kernelINS0_14default_configENS1_20scan_config_selectorIjEEZZNS1_9scan_implILNS1_25lookback_scan_determinismE0ELb0ELb0ES3_N6thrust23THRUST_200600_302600_NS6detail15normal_iteratorINS9_10device_ptrIjEEEENSB_INSC_IfEEEEjNS9_4plusIvEEjEEDaPvRmT3_T4_T5_mT6_P12ihipStream_tbENKUlT_T0_E_clISt17integral_constantIbLb0EESV_IbLb1EEEEDaSR_SS_EUlSR_E_NS1_11comp_targetILNS1_3genE4ELNS1_11target_archE910ELNS1_3gpuE8ELNS1_3repE0EEENS1_30default_config_static_selectorELNS0_4arch9wavefront6targetE1EEEvT1_
		.amdhsa_group_segment_fixed_size 5120
		.amdhsa_private_segment_fixed_size 0
		.amdhsa_kernarg_size 96
		.amdhsa_user_sgpr_count 6
		.amdhsa_user_sgpr_private_segment_buffer 1
		.amdhsa_user_sgpr_dispatch_ptr 0
		.amdhsa_user_sgpr_queue_ptr 0
		.amdhsa_user_sgpr_kernarg_segment_ptr 1
		.amdhsa_user_sgpr_dispatch_id 0
		.amdhsa_user_sgpr_flat_scratch_init 0
		.amdhsa_user_sgpr_kernarg_preload_length 0
		.amdhsa_user_sgpr_kernarg_preload_offset 0
		.amdhsa_user_sgpr_private_segment_size 0
		.amdhsa_uses_dynamic_stack 0
		.amdhsa_system_sgpr_private_segment_wavefront_offset 0
		.amdhsa_system_sgpr_workgroup_id_x 1
		.amdhsa_system_sgpr_workgroup_id_y 0
		.amdhsa_system_sgpr_workgroup_id_z 0
		.amdhsa_system_sgpr_workgroup_info 0
		.amdhsa_system_vgpr_workitem_id 0
		.amdhsa_next_free_vgpr 40
		.amdhsa_next_free_sgpr 36
		.amdhsa_accum_offset 40
		.amdhsa_reserve_vcc 1
		.amdhsa_reserve_flat_scratch 0
		.amdhsa_float_round_mode_32 0
		.amdhsa_float_round_mode_16_64 0
		.amdhsa_float_denorm_mode_32 3
		.amdhsa_float_denorm_mode_16_64 3
		.amdhsa_dx10_clamp 1
		.amdhsa_ieee_mode 1
		.amdhsa_fp16_overflow 0
		.amdhsa_tg_split 0
		.amdhsa_exception_fp_ieee_invalid_op 0
		.amdhsa_exception_fp_denorm_src 0
		.amdhsa_exception_fp_ieee_div_zero 0
		.amdhsa_exception_fp_ieee_overflow 0
		.amdhsa_exception_fp_ieee_underflow 0
		.amdhsa_exception_fp_ieee_inexact 0
		.amdhsa_exception_int_div_zero 0
	.end_amdhsa_kernel
	.section	.text._ZN7rocprim17ROCPRIM_400000_NS6detail17trampoline_kernelINS0_14default_configENS1_20scan_config_selectorIjEEZZNS1_9scan_implILNS1_25lookback_scan_determinismE0ELb0ELb0ES3_N6thrust23THRUST_200600_302600_NS6detail15normal_iteratorINS9_10device_ptrIjEEEENSB_INSC_IfEEEEjNS9_4plusIvEEjEEDaPvRmT3_T4_T5_mT6_P12ihipStream_tbENKUlT_T0_E_clISt17integral_constantIbLb0EESV_IbLb1EEEEDaSR_SS_EUlSR_E_NS1_11comp_targetILNS1_3genE4ELNS1_11target_archE910ELNS1_3gpuE8ELNS1_3repE0EEENS1_30default_config_static_selectorELNS0_4arch9wavefront6targetE1EEEvT1_,"axG",@progbits,_ZN7rocprim17ROCPRIM_400000_NS6detail17trampoline_kernelINS0_14default_configENS1_20scan_config_selectorIjEEZZNS1_9scan_implILNS1_25lookback_scan_determinismE0ELb0ELb0ES3_N6thrust23THRUST_200600_302600_NS6detail15normal_iteratorINS9_10device_ptrIjEEEENSB_INSC_IfEEEEjNS9_4plusIvEEjEEDaPvRmT3_T4_T5_mT6_P12ihipStream_tbENKUlT_T0_E_clISt17integral_constantIbLb0EESV_IbLb1EEEEDaSR_SS_EUlSR_E_NS1_11comp_targetILNS1_3genE4ELNS1_11target_archE910ELNS1_3gpuE8ELNS1_3repE0EEENS1_30default_config_static_selectorELNS0_4arch9wavefront6targetE1EEEvT1_,comdat
.Lfunc_end6071:
	.size	_ZN7rocprim17ROCPRIM_400000_NS6detail17trampoline_kernelINS0_14default_configENS1_20scan_config_selectorIjEEZZNS1_9scan_implILNS1_25lookback_scan_determinismE0ELb0ELb0ES3_N6thrust23THRUST_200600_302600_NS6detail15normal_iteratorINS9_10device_ptrIjEEEENSB_INSC_IfEEEEjNS9_4plusIvEEjEEDaPvRmT3_T4_T5_mT6_P12ihipStream_tbENKUlT_T0_E_clISt17integral_constantIbLb0EESV_IbLb1EEEEDaSR_SS_EUlSR_E_NS1_11comp_targetILNS1_3genE4ELNS1_11target_archE910ELNS1_3gpuE8ELNS1_3repE0EEENS1_30default_config_static_selectorELNS0_4arch9wavefront6targetE1EEEvT1_, .Lfunc_end6071-_ZN7rocprim17ROCPRIM_400000_NS6detail17trampoline_kernelINS0_14default_configENS1_20scan_config_selectorIjEEZZNS1_9scan_implILNS1_25lookback_scan_determinismE0ELb0ELb0ES3_N6thrust23THRUST_200600_302600_NS6detail15normal_iteratorINS9_10device_ptrIjEEEENSB_INSC_IfEEEEjNS9_4plusIvEEjEEDaPvRmT3_T4_T5_mT6_P12ihipStream_tbENKUlT_T0_E_clISt17integral_constantIbLb0EESV_IbLb1EEEEDaSR_SS_EUlSR_E_NS1_11comp_targetILNS1_3genE4ELNS1_11target_archE910ELNS1_3gpuE8ELNS1_3repE0EEENS1_30default_config_static_selectorELNS0_4arch9wavefront6targetE1EEEvT1_
                                        ; -- End function
	.section	.AMDGPU.csdata,"",@progbits
; Kernel info:
; codeLenInByte = 4648
; NumSgprs: 40
; NumVgprs: 40
; NumAgprs: 0
; TotalNumVgprs: 40
; ScratchSize: 0
; MemoryBound: 0
; FloatMode: 240
; IeeeMode: 1
; LDSByteSize: 5120 bytes/workgroup (compile time only)
; SGPRBlocks: 4
; VGPRBlocks: 4
; NumSGPRsForWavesPerEU: 40
; NumVGPRsForWavesPerEU: 40
; AccumOffset: 40
; Occupancy: 6
; WaveLimiterHint : 1
; COMPUTE_PGM_RSRC2:SCRATCH_EN: 0
; COMPUTE_PGM_RSRC2:USER_SGPR: 6
; COMPUTE_PGM_RSRC2:TRAP_HANDLER: 0
; COMPUTE_PGM_RSRC2:TGID_X_EN: 1
; COMPUTE_PGM_RSRC2:TGID_Y_EN: 0
; COMPUTE_PGM_RSRC2:TGID_Z_EN: 0
; COMPUTE_PGM_RSRC2:TIDIG_COMP_CNT: 0
; COMPUTE_PGM_RSRC3_GFX90A:ACCUM_OFFSET: 9
; COMPUTE_PGM_RSRC3_GFX90A:TG_SPLIT: 0
	.section	.text._ZN7rocprim17ROCPRIM_400000_NS6detail17trampoline_kernelINS0_14default_configENS1_20scan_config_selectorIjEEZZNS1_9scan_implILNS1_25lookback_scan_determinismE0ELb0ELb0ES3_N6thrust23THRUST_200600_302600_NS6detail15normal_iteratorINS9_10device_ptrIjEEEENSB_INSC_IfEEEEjNS9_4plusIvEEjEEDaPvRmT3_T4_T5_mT6_P12ihipStream_tbENKUlT_T0_E_clISt17integral_constantIbLb0EESV_IbLb1EEEEDaSR_SS_EUlSR_E_NS1_11comp_targetILNS1_3genE3ELNS1_11target_archE908ELNS1_3gpuE7ELNS1_3repE0EEENS1_30default_config_static_selectorELNS0_4arch9wavefront6targetE1EEEvT1_,"axG",@progbits,_ZN7rocprim17ROCPRIM_400000_NS6detail17trampoline_kernelINS0_14default_configENS1_20scan_config_selectorIjEEZZNS1_9scan_implILNS1_25lookback_scan_determinismE0ELb0ELb0ES3_N6thrust23THRUST_200600_302600_NS6detail15normal_iteratorINS9_10device_ptrIjEEEENSB_INSC_IfEEEEjNS9_4plusIvEEjEEDaPvRmT3_T4_T5_mT6_P12ihipStream_tbENKUlT_T0_E_clISt17integral_constantIbLb0EESV_IbLb1EEEEDaSR_SS_EUlSR_E_NS1_11comp_targetILNS1_3genE3ELNS1_11target_archE908ELNS1_3gpuE7ELNS1_3repE0EEENS1_30default_config_static_selectorELNS0_4arch9wavefront6targetE1EEEvT1_,comdat
	.protected	_ZN7rocprim17ROCPRIM_400000_NS6detail17trampoline_kernelINS0_14default_configENS1_20scan_config_selectorIjEEZZNS1_9scan_implILNS1_25lookback_scan_determinismE0ELb0ELb0ES3_N6thrust23THRUST_200600_302600_NS6detail15normal_iteratorINS9_10device_ptrIjEEEENSB_INSC_IfEEEEjNS9_4plusIvEEjEEDaPvRmT3_T4_T5_mT6_P12ihipStream_tbENKUlT_T0_E_clISt17integral_constantIbLb0EESV_IbLb1EEEEDaSR_SS_EUlSR_E_NS1_11comp_targetILNS1_3genE3ELNS1_11target_archE908ELNS1_3gpuE7ELNS1_3repE0EEENS1_30default_config_static_selectorELNS0_4arch9wavefront6targetE1EEEvT1_ ; -- Begin function _ZN7rocprim17ROCPRIM_400000_NS6detail17trampoline_kernelINS0_14default_configENS1_20scan_config_selectorIjEEZZNS1_9scan_implILNS1_25lookback_scan_determinismE0ELb0ELb0ES3_N6thrust23THRUST_200600_302600_NS6detail15normal_iteratorINS9_10device_ptrIjEEEENSB_INSC_IfEEEEjNS9_4plusIvEEjEEDaPvRmT3_T4_T5_mT6_P12ihipStream_tbENKUlT_T0_E_clISt17integral_constantIbLb0EESV_IbLb1EEEEDaSR_SS_EUlSR_E_NS1_11comp_targetILNS1_3genE3ELNS1_11target_archE908ELNS1_3gpuE7ELNS1_3repE0EEENS1_30default_config_static_selectorELNS0_4arch9wavefront6targetE1EEEvT1_
	.globl	_ZN7rocprim17ROCPRIM_400000_NS6detail17trampoline_kernelINS0_14default_configENS1_20scan_config_selectorIjEEZZNS1_9scan_implILNS1_25lookback_scan_determinismE0ELb0ELb0ES3_N6thrust23THRUST_200600_302600_NS6detail15normal_iteratorINS9_10device_ptrIjEEEENSB_INSC_IfEEEEjNS9_4plusIvEEjEEDaPvRmT3_T4_T5_mT6_P12ihipStream_tbENKUlT_T0_E_clISt17integral_constantIbLb0EESV_IbLb1EEEEDaSR_SS_EUlSR_E_NS1_11comp_targetILNS1_3genE3ELNS1_11target_archE908ELNS1_3gpuE7ELNS1_3repE0EEENS1_30default_config_static_selectorELNS0_4arch9wavefront6targetE1EEEvT1_
	.p2align	8
	.type	_ZN7rocprim17ROCPRIM_400000_NS6detail17trampoline_kernelINS0_14default_configENS1_20scan_config_selectorIjEEZZNS1_9scan_implILNS1_25lookback_scan_determinismE0ELb0ELb0ES3_N6thrust23THRUST_200600_302600_NS6detail15normal_iteratorINS9_10device_ptrIjEEEENSB_INSC_IfEEEEjNS9_4plusIvEEjEEDaPvRmT3_T4_T5_mT6_P12ihipStream_tbENKUlT_T0_E_clISt17integral_constantIbLb0EESV_IbLb1EEEEDaSR_SS_EUlSR_E_NS1_11comp_targetILNS1_3genE3ELNS1_11target_archE908ELNS1_3gpuE7ELNS1_3repE0EEENS1_30default_config_static_selectorELNS0_4arch9wavefront6targetE1EEEvT1_,@function
_ZN7rocprim17ROCPRIM_400000_NS6detail17trampoline_kernelINS0_14default_configENS1_20scan_config_selectorIjEEZZNS1_9scan_implILNS1_25lookback_scan_determinismE0ELb0ELb0ES3_N6thrust23THRUST_200600_302600_NS6detail15normal_iteratorINS9_10device_ptrIjEEEENSB_INSC_IfEEEEjNS9_4plusIvEEjEEDaPvRmT3_T4_T5_mT6_P12ihipStream_tbENKUlT_T0_E_clISt17integral_constantIbLb0EESV_IbLb1EEEEDaSR_SS_EUlSR_E_NS1_11comp_targetILNS1_3genE3ELNS1_11target_archE908ELNS1_3gpuE7ELNS1_3repE0EEENS1_30default_config_static_selectorELNS0_4arch9wavefront6targetE1EEEvT1_: ; @_ZN7rocprim17ROCPRIM_400000_NS6detail17trampoline_kernelINS0_14default_configENS1_20scan_config_selectorIjEEZZNS1_9scan_implILNS1_25lookback_scan_determinismE0ELb0ELb0ES3_N6thrust23THRUST_200600_302600_NS6detail15normal_iteratorINS9_10device_ptrIjEEEENSB_INSC_IfEEEEjNS9_4plusIvEEjEEDaPvRmT3_T4_T5_mT6_P12ihipStream_tbENKUlT_T0_E_clISt17integral_constantIbLb0EESV_IbLb1EEEEDaSR_SS_EUlSR_E_NS1_11comp_targetILNS1_3genE3ELNS1_11target_archE908ELNS1_3gpuE7ELNS1_3repE0EEENS1_30default_config_static_selectorELNS0_4arch9wavefront6targetE1EEEvT1_
; %bb.0:
	.section	.rodata,"a",@progbits
	.p2align	6, 0x0
	.amdhsa_kernel _ZN7rocprim17ROCPRIM_400000_NS6detail17trampoline_kernelINS0_14default_configENS1_20scan_config_selectorIjEEZZNS1_9scan_implILNS1_25lookback_scan_determinismE0ELb0ELb0ES3_N6thrust23THRUST_200600_302600_NS6detail15normal_iteratorINS9_10device_ptrIjEEEENSB_INSC_IfEEEEjNS9_4plusIvEEjEEDaPvRmT3_T4_T5_mT6_P12ihipStream_tbENKUlT_T0_E_clISt17integral_constantIbLb0EESV_IbLb1EEEEDaSR_SS_EUlSR_E_NS1_11comp_targetILNS1_3genE3ELNS1_11target_archE908ELNS1_3gpuE7ELNS1_3repE0EEENS1_30default_config_static_selectorELNS0_4arch9wavefront6targetE1EEEvT1_
		.amdhsa_group_segment_fixed_size 0
		.amdhsa_private_segment_fixed_size 0
		.amdhsa_kernarg_size 96
		.amdhsa_user_sgpr_count 6
		.amdhsa_user_sgpr_private_segment_buffer 1
		.amdhsa_user_sgpr_dispatch_ptr 0
		.amdhsa_user_sgpr_queue_ptr 0
		.amdhsa_user_sgpr_kernarg_segment_ptr 1
		.amdhsa_user_sgpr_dispatch_id 0
		.amdhsa_user_sgpr_flat_scratch_init 0
		.amdhsa_user_sgpr_kernarg_preload_length 0
		.amdhsa_user_sgpr_kernarg_preload_offset 0
		.amdhsa_user_sgpr_private_segment_size 0
		.amdhsa_uses_dynamic_stack 0
		.amdhsa_system_sgpr_private_segment_wavefront_offset 0
		.amdhsa_system_sgpr_workgroup_id_x 1
		.amdhsa_system_sgpr_workgroup_id_y 0
		.amdhsa_system_sgpr_workgroup_id_z 0
		.amdhsa_system_sgpr_workgroup_info 0
		.amdhsa_system_vgpr_workitem_id 0
		.amdhsa_next_free_vgpr 1
		.amdhsa_next_free_sgpr 0
		.amdhsa_accum_offset 4
		.amdhsa_reserve_vcc 0
		.amdhsa_reserve_flat_scratch 0
		.amdhsa_float_round_mode_32 0
		.amdhsa_float_round_mode_16_64 0
		.amdhsa_float_denorm_mode_32 3
		.amdhsa_float_denorm_mode_16_64 3
		.amdhsa_dx10_clamp 1
		.amdhsa_ieee_mode 1
		.amdhsa_fp16_overflow 0
		.amdhsa_tg_split 0
		.amdhsa_exception_fp_ieee_invalid_op 0
		.amdhsa_exception_fp_denorm_src 0
		.amdhsa_exception_fp_ieee_div_zero 0
		.amdhsa_exception_fp_ieee_overflow 0
		.amdhsa_exception_fp_ieee_underflow 0
		.amdhsa_exception_fp_ieee_inexact 0
		.amdhsa_exception_int_div_zero 0
	.end_amdhsa_kernel
	.section	.text._ZN7rocprim17ROCPRIM_400000_NS6detail17trampoline_kernelINS0_14default_configENS1_20scan_config_selectorIjEEZZNS1_9scan_implILNS1_25lookback_scan_determinismE0ELb0ELb0ES3_N6thrust23THRUST_200600_302600_NS6detail15normal_iteratorINS9_10device_ptrIjEEEENSB_INSC_IfEEEEjNS9_4plusIvEEjEEDaPvRmT3_T4_T5_mT6_P12ihipStream_tbENKUlT_T0_E_clISt17integral_constantIbLb0EESV_IbLb1EEEEDaSR_SS_EUlSR_E_NS1_11comp_targetILNS1_3genE3ELNS1_11target_archE908ELNS1_3gpuE7ELNS1_3repE0EEENS1_30default_config_static_selectorELNS0_4arch9wavefront6targetE1EEEvT1_,"axG",@progbits,_ZN7rocprim17ROCPRIM_400000_NS6detail17trampoline_kernelINS0_14default_configENS1_20scan_config_selectorIjEEZZNS1_9scan_implILNS1_25lookback_scan_determinismE0ELb0ELb0ES3_N6thrust23THRUST_200600_302600_NS6detail15normal_iteratorINS9_10device_ptrIjEEEENSB_INSC_IfEEEEjNS9_4plusIvEEjEEDaPvRmT3_T4_T5_mT6_P12ihipStream_tbENKUlT_T0_E_clISt17integral_constantIbLb0EESV_IbLb1EEEEDaSR_SS_EUlSR_E_NS1_11comp_targetILNS1_3genE3ELNS1_11target_archE908ELNS1_3gpuE7ELNS1_3repE0EEENS1_30default_config_static_selectorELNS0_4arch9wavefront6targetE1EEEvT1_,comdat
.Lfunc_end6072:
	.size	_ZN7rocprim17ROCPRIM_400000_NS6detail17trampoline_kernelINS0_14default_configENS1_20scan_config_selectorIjEEZZNS1_9scan_implILNS1_25lookback_scan_determinismE0ELb0ELb0ES3_N6thrust23THRUST_200600_302600_NS6detail15normal_iteratorINS9_10device_ptrIjEEEENSB_INSC_IfEEEEjNS9_4plusIvEEjEEDaPvRmT3_T4_T5_mT6_P12ihipStream_tbENKUlT_T0_E_clISt17integral_constantIbLb0EESV_IbLb1EEEEDaSR_SS_EUlSR_E_NS1_11comp_targetILNS1_3genE3ELNS1_11target_archE908ELNS1_3gpuE7ELNS1_3repE0EEENS1_30default_config_static_selectorELNS0_4arch9wavefront6targetE1EEEvT1_, .Lfunc_end6072-_ZN7rocprim17ROCPRIM_400000_NS6detail17trampoline_kernelINS0_14default_configENS1_20scan_config_selectorIjEEZZNS1_9scan_implILNS1_25lookback_scan_determinismE0ELb0ELb0ES3_N6thrust23THRUST_200600_302600_NS6detail15normal_iteratorINS9_10device_ptrIjEEEENSB_INSC_IfEEEEjNS9_4plusIvEEjEEDaPvRmT3_T4_T5_mT6_P12ihipStream_tbENKUlT_T0_E_clISt17integral_constantIbLb0EESV_IbLb1EEEEDaSR_SS_EUlSR_E_NS1_11comp_targetILNS1_3genE3ELNS1_11target_archE908ELNS1_3gpuE7ELNS1_3repE0EEENS1_30default_config_static_selectorELNS0_4arch9wavefront6targetE1EEEvT1_
                                        ; -- End function
	.section	.AMDGPU.csdata,"",@progbits
; Kernel info:
; codeLenInByte = 0
; NumSgprs: 4
; NumVgprs: 0
; NumAgprs: 0
; TotalNumVgprs: 0
; ScratchSize: 0
; MemoryBound: 0
; FloatMode: 240
; IeeeMode: 1
; LDSByteSize: 0 bytes/workgroup (compile time only)
; SGPRBlocks: 0
; VGPRBlocks: 0
; NumSGPRsForWavesPerEU: 4
; NumVGPRsForWavesPerEU: 1
; AccumOffset: 4
; Occupancy: 8
; WaveLimiterHint : 0
; COMPUTE_PGM_RSRC2:SCRATCH_EN: 0
; COMPUTE_PGM_RSRC2:USER_SGPR: 6
; COMPUTE_PGM_RSRC2:TRAP_HANDLER: 0
; COMPUTE_PGM_RSRC2:TGID_X_EN: 1
; COMPUTE_PGM_RSRC2:TGID_Y_EN: 0
; COMPUTE_PGM_RSRC2:TGID_Z_EN: 0
; COMPUTE_PGM_RSRC2:TIDIG_COMP_CNT: 0
; COMPUTE_PGM_RSRC3_GFX90A:ACCUM_OFFSET: 0
; COMPUTE_PGM_RSRC3_GFX90A:TG_SPLIT: 0
	.section	.text._ZN7rocprim17ROCPRIM_400000_NS6detail17trampoline_kernelINS0_14default_configENS1_20scan_config_selectorIjEEZZNS1_9scan_implILNS1_25lookback_scan_determinismE0ELb0ELb0ES3_N6thrust23THRUST_200600_302600_NS6detail15normal_iteratorINS9_10device_ptrIjEEEENSB_INSC_IfEEEEjNS9_4plusIvEEjEEDaPvRmT3_T4_T5_mT6_P12ihipStream_tbENKUlT_T0_E_clISt17integral_constantIbLb0EESV_IbLb1EEEEDaSR_SS_EUlSR_E_NS1_11comp_targetILNS1_3genE2ELNS1_11target_archE906ELNS1_3gpuE6ELNS1_3repE0EEENS1_30default_config_static_selectorELNS0_4arch9wavefront6targetE1EEEvT1_,"axG",@progbits,_ZN7rocprim17ROCPRIM_400000_NS6detail17trampoline_kernelINS0_14default_configENS1_20scan_config_selectorIjEEZZNS1_9scan_implILNS1_25lookback_scan_determinismE0ELb0ELb0ES3_N6thrust23THRUST_200600_302600_NS6detail15normal_iteratorINS9_10device_ptrIjEEEENSB_INSC_IfEEEEjNS9_4plusIvEEjEEDaPvRmT3_T4_T5_mT6_P12ihipStream_tbENKUlT_T0_E_clISt17integral_constantIbLb0EESV_IbLb1EEEEDaSR_SS_EUlSR_E_NS1_11comp_targetILNS1_3genE2ELNS1_11target_archE906ELNS1_3gpuE6ELNS1_3repE0EEENS1_30default_config_static_selectorELNS0_4arch9wavefront6targetE1EEEvT1_,comdat
	.protected	_ZN7rocprim17ROCPRIM_400000_NS6detail17trampoline_kernelINS0_14default_configENS1_20scan_config_selectorIjEEZZNS1_9scan_implILNS1_25lookback_scan_determinismE0ELb0ELb0ES3_N6thrust23THRUST_200600_302600_NS6detail15normal_iteratorINS9_10device_ptrIjEEEENSB_INSC_IfEEEEjNS9_4plusIvEEjEEDaPvRmT3_T4_T5_mT6_P12ihipStream_tbENKUlT_T0_E_clISt17integral_constantIbLb0EESV_IbLb1EEEEDaSR_SS_EUlSR_E_NS1_11comp_targetILNS1_3genE2ELNS1_11target_archE906ELNS1_3gpuE6ELNS1_3repE0EEENS1_30default_config_static_selectorELNS0_4arch9wavefront6targetE1EEEvT1_ ; -- Begin function _ZN7rocprim17ROCPRIM_400000_NS6detail17trampoline_kernelINS0_14default_configENS1_20scan_config_selectorIjEEZZNS1_9scan_implILNS1_25lookback_scan_determinismE0ELb0ELb0ES3_N6thrust23THRUST_200600_302600_NS6detail15normal_iteratorINS9_10device_ptrIjEEEENSB_INSC_IfEEEEjNS9_4plusIvEEjEEDaPvRmT3_T4_T5_mT6_P12ihipStream_tbENKUlT_T0_E_clISt17integral_constantIbLb0EESV_IbLb1EEEEDaSR_SS_EUlSR_E_NS1_11comp_targetILNS1_3genE2ELNS1_11target_archE906ELNS1_3gpuE6ELNS1_3repE0EEENS1_30default_config_static_selectorELNS0_4arch9wavefront6targetE1EEEvT1_
	.globl	_ZN7rocprim17ROCPRIM_400000_NS6detail17trampoline_kernelINS0_14default_configENS1_20scan_config_selectorIjEEZZNS1_9scan_implILNS1_25lookback_scan_determinismE0ELb0ELb0ES3_N6thrust23THRUST_200600_302600_NS6detail15normal_iteratorINS9_10device_ptrIjEEEENSB_INSC_IfEEEEjNS9_4plusIvEEjEEDaPvRmT3_T4_T5_mT6_P12ihipStream_tbENKUlT_T0_E_clISt17integral_constantIbLb0EESV_IbLb1EEEEDaSR_SS_EUlSR_E_NS1_11comp_targetILNS1_3genE2ELNS1_11target_archE906ELNS1_3gpuE6ELNS1_3repE0EEENS1_30default_config_static_selectorELNS0_4arch9wavefront6targetE1EEEvT1_
	.p2align	8
	.type	_ZN7rocprim17ROCPRIM_400000_NS6detail17trampoline_kernelINS0_14default_configENS1_20scan_config_selectorIjEEZZNS1_9scan_implILNS1_25lookback_scan_determinismE0ELb0ELb0ES3_N6thrust23THRUST_200600_302600_NS6detail15normal_iteratorINS9_10device_ptrIjEEEENSB_INSC_IfEEEEjNS9_4plusIvEEjEEDaPvRmT3_T4_T5_mT6_P12ihipStream_tbENKUlT_T0_E_clISt17integral_constantIbLb0EESV_IbLb1EEEEDaSR_SS_EUlSR_E_NS1_11comp_targetILNS1_3genE2ELNS1_11target_archE906ELNS1_3gpuE6ELNS1_3repE0EEENS1_30default_config_static_selectorELNS0_4arch9wavefront6targetE1EEEvT1_,@function
_ZN7rocprim17ROCPRIM_400000_NS6detail17trampoline_kernelINS0_14default_configENS1_20scan_config_selectorIjEEZZNS1_9scan_implILNS1_25lookback_scan_determinismE0ELb0ELb0ES3_N6thrust23THRUST_200600_302600_NS6detail15normal_iteratorINS9_10device_ptrIjEEEENSB_INSC_IfEEEEjNS9_4plusIvEEjEEDaPvRmT3_T4_T5_mT6_P12ihipStream_tbENKUlT_T0_E_clISt17integral_constantIbLb0EESV_IbLb1EEEEDaSR_SS_EUlSR_E_NS1_11comp_targetILNS1_3genE2ELNS1_11target_archE906ELNS1_3gpuE6ELNS1_3repE0EEENS1_30default_config_static_selectorELNS0_4arch9wavefront6targetE1EEEvT1_: ; @_ZN7rocprim17ROCPRIM_400000_NS6detail17trampoline_kernelINS0_14default_configENS1_20scan_config_selectorIjEEZZNS1_9scan_implILNS1_25lookback_scan_determinismE0ELb0ELb0ES3_N6thrust23THRUST_200600_302600_NS6detail15normal_iteratorINS9_10device_ptrIjEEEENSB_INSC_IfEEEEjNS9_4plusIvEEjEEDaPvRmT3_T4_T5_mT6_P12ihipStream_tbENKUlT_T0_E_clISt17integral_constantIbLb0EESV_IbLb1EEEEDaSR_SS_EUlSR_E_NS1_11comp_targetILNS1_3genE2ELNS1_11target_archE906ELNS1_3gpuE6ELNS1_3repE0EEENS1_30default_config_static_selectorELNS0_4arch9wavefront6targetE1EEEvT1_
; %bb.0:
	.section	.rodata,"a",@progbits
	.p2align	6, 0x0
	.amdhsa_kernel _ZN7rocprim17ROCPRIM_400000_NS6detail17trampoline_kernelINS0_14default_configENS1_20scan_config_selectorIjEEZZNS1_9scan_implILNS1_25lookback_scan_determinismE0ELb0ELb0ES3_N6thrust23THRUST_200600_302600_NS6detail15normal_iteratorINS9_10device_ptrIjEEEENSB_INSC_IfEEEEjNS9_4plusIvEEjEEDaPvRmT3_T4_T5_mT6_P12ihipStream_tbENKUlT_T0_E_clISt17integral_constantIbLb0EESV_IbLb1EEEEDaSR_SS_EUlSR_E_NS1_11comp_targetILNS1_3genE2ELNS1_11target_archE906ELNS1_3gpuE6ELNS1_3repE0EEENS1_30default_config_static_selectorELNS0_4arch9wavefront6targetE1EEEvT1_
		.amdhsa_group_segment_fixed_size 0
		.amdhsa_private_segment_fixed_size 0
		.amdhsa_kernarg_size 96
		.amdhsa_user_sgpr_count 6
		.amdhsa_user_sgpr_private_segment_buffer 1
		.amdhsa_user_sgpr_dispatch_ptr 0
		.amdhsa_user_sgpr_queue_ptr 0
		.amdhsa_user_sgpr_kernarg_segment_ptr 1
		.amdhsa_user_sgpr_dispatch_id 0
		.amdhsa_user_sgpr_flat_scratch_init 0
		.amdhsa_user_sgpr_kernarg_preload_length 0
		.amdhsa_user_sgpr_kernarg_preload_offset 0
		.amdhsa_user_sgpr_private_segment_size 0
		.amdhsa_uses_dynamic_stack 0
		.amdhsa_system_sgpr_private_segment_wavefront_offset 0
		.amdhsa_system_sgpr_workgroup_id_x 1
		.amdhsa_system_sgpr_workgroup_id_y 0
		.amdhsa_system_sgpr_workgroup_id_z 0
		.amdhsa_system_sgpr_workgroup_info 0
		.amdhsa_system_vgpr_workitem_id 0
		.amdhsa_next_free_vgpr 1
		.amdhsa_next_free_sgpr 0
		.amdhsa_accum_offset 4
		.amdhsa_reserve_vcc 0
		.amdhsa_reserve_flat_scratch 0
		.amdhsa_float_round_mode_32 0
		.amdhsa_float_round_mode_16_64 0
		.amdhsa_float_denorm_mode_32 3
		.amdhsa_float_denorm_mode_16_64 3
		.amdhsa_dx10_clamp 1
		.amdhsa_ieee_mode 1
		.amdhsa_fp16_overflow 0
		.amdhsa_tg_split 0
		.amdhsa_exception_fp_ieee_invalid_op 0
		.amdhsa_exception_fp_denorm_src 0
		.amdhsa_exception_fp_ieee_div_zero 0
		.amdhsa_exception_fp_ieee_overflow 0
		.amdhsa_exception_fp_ieee_underflow 0
		.amdhsa_exception_fp_ieee_inexact 0
		.amdhsa_exception_int_div_zero 0
	.end_amdhsa_kernel
	.section	.text._ZN7rocprim17ROCPRIM_400000_NS6detail17trampoline_kernelINS0_14default_configENS1_20scan_config_selectorIjEEZZNS1_9scan_implILNS1_25lookback_scan_determinismE0ELb0ELb0ES3_N6thrust23THRUST_200600_302600_NS6detail15normal_iteratorINS9_10device_ptrIjEEEENSB_INSC_IfEEEEjNS9_4plusIvEEjEEDaPvRmT3_T4_T5_mT6_P12ihipStream_tbENKUlT_T0_E_clISt17integral_constantIbLb0EESV_IbLb1EEEEDaSR_SS_EUlSR_E_NS1_11comp_targetILNS1_3genE2ELNS1_11target_archE906ELNS1_3gpuE6ELNS1_3repE0EEENS1_30default_config_static_selectorELNS0_4arch9wavefront6targetE1EEEvT1_,"axG",@progbits,_ZN7rocprim17ROCPRIM_400000_NS6detail17trampoline_kernelINS0_14default_configENS1_20scan_config_selectorIjEEZZNS1_9scan_implILNS1_25lookback_scan_determinismE0ELb0ELb0ES3_N6thrust23THRUST_200600_302600_NS6detail15normal_iteratorINS9_10device_ptrIjEEEENSB_INSC_IfEEEEjNS9_4plusIvEEjEEDaPvRmT3_T4_T5_mT6_P12ihipStream_tbENKUlT_T0_E_clISt17integral_constantIbLb0EESV_IbLb1EEEEDaSR_SS_EUlSR_E_NS1_11comp_targetILNS1_3genE2ELNS1_11target_archE906ELNS1_3gpuE6ELNS1_3repE0EEENS1_30default_config_static_selectorELNS0_4arch9wavefront6targetE1EEEvT1_,comdat
.Lfunc_end6073:
	.size	_ZN7rocprim17ROCPRIM_400000_NS6detail17trampoline_kernelINS0_14default_configENS1_20scan_config_selectorIjEEZZNS1_9scan_implILNS1_25lookback_scan_determinismE0ELb0ELb0ES3_N6thrust23THRUST_200600_302600_NS6detail15normal_iteratorINS9_10device_ptrIjEEEENSB_INSC_IfEEEEjNS9_4plusIvEEjEEDaPvRmT3_T4_T5_mT6_P12ihipStream_tbENKUlT_T0_E_clISt17integral_constantIbLb0EESV_IbLb1EEEEDaSR_SS_EUlSR_E_NS1_11comp_targetILNS1_3genE2ELNS1_11target_archE906ELNS1_3gpuE6ELNS1_3repE0EEENS1_30default_config_static_selectorELNS0_4arch9wavefront6targetE1EEEvT1_, .Lfunc_end6073-_ZN7rocprim17ROCPRIM_400000_NS6detail17trampoline_kernelINS0_14default_configENS1_20scan_config_selectorIjEEZZNS1_9scan_implILNS1_25lookback_scan_determinismE0ELb0ELb0ES3_N6thrust23THRUST_200600_302600_NS6detail15normal_iteratorINS9_10device_ptrIjEEEENSB_INSC_IfEEEEjNS9_4plusIvEEjEEDaPvRmT3_T4_T5_mT6_P12ihipStream_tbENKUlT_T0_E_clISt17integral_constantIbLb0EESV_IbLb1EEEEDaSR_SS_EUlSR_E_NS1_11comp_targetILNS1_3genE2ELNS1_11target_archE906ELNS1_3gpuE6ELNS1_3repE0EEENS1_30default_config_static_selectorELNS0_4arch9wavefront6targetE1EEEvT1_
                                        ; -- End function
	.section	.AMDGPU.csdata,"",@progbits
; Kernel info:
; codeLenInByte = 0
; NumSgprs: 4
; NumVgprs: 0
; NumAgprs: 0
; TotalNumVgprs: 0
; ScratchSize: 0
; MemoryBound: 0
; FloatMode: 240
; IeeeMode: 1
; LDSByteSize: 0 bytes/workgroup (compile time only)
; SGPRBlocks: 0
; VGPRBlocks: 0
; NumSGPRsForWavesPerEU: 4
; NumVGPRsForWavesPerEU: 1
; AccumOffset: 4
; Occupancy: 8
; WaveLimiterHint : 0
; COMPUTE_PGM_RSRC2:SCRATCH_EN: 0
; COMPUTE_PGM_RSRC2:USER_SGPR: 6
; COMPUTE_PGM_RSRC2:TRAP_HANDLER: 0
; COMPUTE_PGM_RSRC2:TGID_X_EN: 1
; COMPUTE_PGM_RSRC2:TGID_Y_EN: 0
; COMPUTE_PGM_RSRC2:TGID_Z_EN: 0
; COMPUTE_PGM_RSRC2:TIDIG_COMP_CNT: 0
; COMPUTE_PGM_RSRC3_GFX90A:ACCUM_OFFSET: 0
; COMPUTE_PGM_RSRC3_GFX90A:TG_SPLIT: 0
	.section	.text._ZN7rocprim17ROCPRIM_400000_NS6detail17trampoline_kernelINS0_14default_configENS1_20scan_config_selectorIjEEZZNS1_9scan_implILNS1_25lookback_scan_determinismE0ELb0ELb0ES3_N6thrust23THRUST_200600_302600_NS6detail15normal_iteratorINS9_10device_ptrIjEEEENSB_INSC_IfEEEEjNS9_4plusIvEEjEEDaPvRmT3_T4_T5_mT6_P12ihipStream_tbENKUlT_T0_E_clISt17integral_constantIbLb0EESV_IbLb1EEEEDaSR_SS_EUlSR_E_NS1_11comp_targetILNS1_3genE10ELNS1_11target_archE1201ELNS1_3gpuE5ELNS1_3repE0EEENS1_30default_config_static_selectorELNS0_4arch9wavefront6targetE1EEEvT1_,"axG",@progbits,_ZN7rocprim17ROCPRIM_400000_NS6detail17trampoline_kernelINS0_14default_configENS1_20scan_config_selectorIjEEZZNS1_9scan_implILNS1_25lookback_scan_determinismE0ELb0ELb0ES3_N6thrust23THRUST_200600_302600_NS6detail15normal_iteratorINS9_10device_ptrIjEEEENSB_INSC_IfEEEEjNS9_4plusIvEEjEEDaPvRmT3_T4_T5_mT6_P12ihipStream_tbENKUlT_T0_E_clISt17integral_constantIbLb0EESV_IbLb1EEEEDaSR_SS_EUlSR_E_NS1_11comp_targetILNS1_3genE10ELNS1_11target_archE1201ELNS1_3gpuE5ELNS1_3repE0EEENS1_30default_config_static_selectorELNS0_4arch9wavefront6targetE1EEEvT1_,comdat
	.protected	_ZN7rocprim17ROCPRIM_400000_NS6detail17trampoline_kernelINS0_14default_configENS1_20scan_config_selectorIjEEZZNS1_9scan_implILNS1_25lookback_scan_determinismE0ELb0ELb0ES3_N6thrust23THRUST_200600_302600_NS6detail15normal_iteratorINS9_10device_ptrIjEEEENSB_INSC_IfEEEEjNS9_4plusIvEEjEEDaPvRmT3_T4_T5_mT6_P12ihipStream_tbENKUlT_T0_E_clISt17integral_constantIbLb0EESV_IbLb1EEEEDaSR_SS_EUlSR_E_NS1_11comp_targetILNS1_3genE10ELNS1_11target_archE1201ELNS1_3gpuE5ELNS1_3repE0EEENS1_30default_config_static_selectorELNS0_4arch9wavefront6targetE1EEEvT1_ ; -- Begin function _ZN7rocprim17ROCPRIM_400000_NS6detail17trampoline_kernelINS0_14default_configENS1_20scan_config_selectorIjEEZZNS1_9scan_implILNS1_25lookback_scan_determinismE0ELb0ELb0ES3_N6thrust23THRUST_200600_302600_NS6detail15normal_iteratorINS9_10device_ptrIjEEEENSB_INSC_IfEEEEjNS9_4plusIvEEjEEDaPvRmT3_T4_T5_mT6_P12ihipStream_tbENKUlT_T0_E_clISt17integral_constantIbLb0EESV_IbLb1EEEEDaSR_SS_EUlSR_E_NS1_11comp_targetILNS1_3genE10ELNS1_11target_archE1201ELNS1_3gpuE5ELNS1_3repE0EEENS1_30default_config_static_selectorELNS0_4arch9wavefront6targetE1EEEvT1_
	.globl	_ZN7rocprim17ROCPRIM_400000_NS6detail17trampoline_kernelINS0_14default_configENS1_20scan_config_selectorIjEEZZNS1_9scan_implILNS1_25lookback_scan_determinismE0ELb0ELb0ES3_N6thrust23THRUST_200600_302600_NS6detail15normal_iteratorINS9_10device_ptrIjEEEENSB_INSC_IfEEEEjNS9_4plusIvEEjEEDaPvRmT3_T4_T5_mT6_P12ihipStream_tbENKUlT_T0_E_clISt17integral_constantIbLb0EESV_IbLb1EEEEDaSR_SS_EUlSR_E_NS1_11comp_targetILNS1_3genE10ELNS1_11target_archE1201ELNS1_3gpuE5ELNS1_3repE0EEENS1_30default_config_static_selectorELNS0_4arch9wavefront6targetE1EEEvT1_
	.p2align	8
	.type	_ZN7rocprim17ROCPRIM_400000_NS6detail17trampoline_kernelINS0_14default_configENS1_20scan_config_selectorIjEEZZNS1_9scan_implILNS1_25lookback_scan_determinismE0ELb0ELb0ES3_N6thrust23THRUST_200600_302600_NS6detail15normal_iteratorINS9_10device_ptrIjEEEENSB_INSC_IfEEEEjNS9_4plusIvEEjEEDaPvRmT3_T4_T5_mT6_P12ihipStream_tbENKUlT_T0_E_clISt17integral_constantIbLb0EESV_IbLb1EEEEDaSR_SS_EUlSR_E_NS1_11comp_targetILNS1_3genE10ELNS1_11target_archE1201ELNS1_3gpuE5ELNS1_3repE0EEENS1_30default_config_static_selectorELNS0_4arch9wavefront6targetE1EEEvT1_,@function
_ZN7rocprim17ROCPRIM_400000_NS6detail17trampoline_kernelINS0_14default_configENS1_20scan_config_selectorIjEEZZNS1_9scan_implILNS1_25lookback_scan_determinismE0ELb0ELb0ES3_N6thrust23THRUST_200600_302600_NS6detail15normal_iteratorINS9_10device_ptrIjEEEENSB_INSC_IfEEEEjNS9_4plusIvEEjEEDaPvRmT3_T4_T5_mT6_P12ihipStream_tbENKUlT_T0_E_clISt17integral_constantIbLb0EESV_IbLb1EEEEDaSR_SS_EUlSR_E_NS1_11comp_targetILNS1_3genE10ELNS1_11target_archE1201ELNS1_3gpuE5ELNS1_3repE0EEENS1_30default_config_static_selectorELNS0_4arch9wavefront6targetE1EEEvT1_: ; @_ZN7rocprim17ROCPRIM_400000_NS6detail17trampoline_kernelINS0_14default_configENS1_20scan_config_selectorIjEEZZNS1_9scan_implILNS1_25lookback_scan_determinismE0ELb0ELb0ES3_N6thrust23THRUST_200600_302600_NS6detail15normal_iteratorINS9_10device_ptrIjEEEENSB_INSC_IfEEEEjNS9_4plusIvEEjEEDaPvRmT3_T4_T5_mT6_P12ihipStream_tbENKUlT_T0_E_clISt17integral_constantIbLb0EESV_IbLb1EEEEDaSR_SS_EUlSR_E_NS1_11comp_targetILNS1_3genE10ELNS1_11target_archE1201ELNS1_3gpuE5ELNS1_3repE0EEENS1_30default_config_static_selectorELNS0_4arch9wavefront6targetE1EEEvT1_
; %bb.0:
	.section	.rodata,"a",@progbits
	.p2align	6, 0x0
	.amdhsa_kernel _ZN7rocprim17ROCPRIM_400000_NS6detail17trampoline_kernelINS0_14default_configENS1_20scan_config_selectorIjEEZZNS1_9scan_implILNS1_25lookback_scan_determinismE0ELb0ELb0ES3_N6thrust23THRUST_200600_302600_NS6detail15normal_iteratorINS9_10device_ptrIjEEEENSB_INSC_IfEEEEjNS9_4plusIvEEjEEDaPvRmT3_T4_T5_mT6_P12ihipStream_tbENKUlT_T0_E_clISt17integral_constantIbLb0EESV_IbLb1EEEEDaSR_SS_EUlSR_E_NS1_11comp_targetILNS1_3genE10ELNS1_11target_archE1201ELNS1_3gpuE5ELNS1_3repE0EEENS1_30default_config_static_selectorELNS0_4arch9wavefront6targetE1EEEvT1_
		.amdhsa_group_segment_fixed_size 0
		.amdhsa_private_segment_fixed_size 0
		.amdhsa_kernarg_size 96
		.amdhsa_user_sgpr_count 6
		.amdhsa_user_sgpr_private_segment_buffer 1
		.amdhsa_user_sgpr_dispatch_ptr 0
		.amdhsa_user_sgpr_queue_ptr 0
		.amdhsa_user_sgpr_kernarg_segment_ptr 1
		.amdhsa_user_sgpr_dispatch_id 0
		.amdhsa_user_sgpr_flat_scratch_init 0
		.amdhsa_user_sgpr_kernarg_preload_length 0
		.amdhsa_user_sgpr_kernarg_preload_offset 0
		.amdhsa_user_sgpr_private_segment_size 0
		.amdhsa_uses_dynamic_stack 0
		.amdhsa_system_sgpr_private_segment_wavefront_offset 0
		.amdhsa_system_sgpr_workgroup_id_x 1
		.amdhsa_system_sgpr_workgroup_id_y 0
		.amdhsa_system_sgpr_workgroup_id_z 0
		.amdhsa_system_sgpr_workgroup_info 0
		.amdhsa_system_vgpr_workitem_id 0
		.amdhsa_next_free_vgpr 1
		.amdhsa_next_free_sgpr 0
		.amdhsa_accum_offset 4
		.amdhsa_reserve_vcc 0
		.amdhsa_reserve_flat_scratch 0
		.amdhsa_float_round_mode_32 0
		.amdhsa_float_round_mode_16_64 0
		.amdhsa_float_denorm_mode_32 3
		.amdhsa_float_denorm_mode_16_64 3
		.amdhsa_dx10_clamp 1
		.amdhsa_ieee_mode 1
		.amdhsa_fp16_overflow 0
		.amdhsa_tg_split 0
		.amdhsa_exception_fp_ieee_invalid_op 0
		.amdhsa_exception_fp_denorm_src 0
		.amdhsa_exception_fp_ieee_div_zero 0
		.amdhsa_exception_fp_ieee_overflow 0
		.amdhsa_exception_fp_ieee_underflow 0
		.amdhsa_exception_fp_ieee_inexact 0
		.amdhsa_exception_int_div_zero 0
	.end_amdhsa_kernel
	.section	.text._ZN7rocprim17ROCPRIM_400000_NS6detail17trampoline_kernelINS0_14default_configENS1_20scan_config_selectorIjEEZZNS1_9scan_implILNS1_25lookback_scan_determinismE0ELb0ELb0ES3_N6thrust23THRUST_200600_302600_NS6detail15normal_iteratorINS9_10device_ptrIjEEEENSB_INSC_IfEEEEjNS9_4plusIvEEjEEDaPvRmT3_T4_T5_mT6_P12ihipStream_tbENKUlT_T0_E_clISt17integral_constantIbLb0EESV_IbLb1EEEEDaSR_SS_EUlSR_E_NS1_11comp_targetILNS1_3genE10ELNS1_11target_archE1201ELNS1_3gpuE5ELNS1_3repE0EEENS1_30default_config_static_selectorELNS0_4arch9wavefront6targetE1EEEvT1_,"axG",@progbits,_ZN7rocprim17ROCPRIM_400000_NS6detail17trampoline_kernelINS0_14default_configENS1_20scan_config_selectorIjEEZZNS1_9scan_implILNS1_25lookback_scan_determinismE0ELb0ELb0ES3_N6thrust23THRUST_200600_302600_NS6detail15normal_iteratorINS9_10device_ptrIjEEEENSB_INSC_IfEEEEjNS9_4plusIvEEjEEDaPvRmT3_T4_T5_mT6_P12ihipStream_tbENKUlT_T0_E_clISt17integral_constantIbLb0EESV_IbLb1EEEEDaSR_SS_EUlSR_E_NS1_11comp_targetILNS1_3genE10ELNS1_11target_archE1201ELNS1_3gpuE5ELNS1_3repE0EEENS1_30default_config_static_selectorELNS0_4arch9wavefront6targetE1EEEvT1_,comdat
.Lfunc_end6074:
	.size	_ZN7rocprim17ROCPRIM_400000_NS6detail17trampoline_kernelINS0_14default_configENS1_20scan_config_selectorIjEEZZNS1_9scan_implILNS1_25lookback_scan_determinismE0ELb0ELb0ES3_N6thrust23THRUST_200600_302600_NS6detail15normal_iteratorINS9_10device_ptrIjEEEENSB_INSC_IfEEEEjNS9_4plusIvEEjEEDaPvRmT3_T4_T5_mT6_P12ihipStream_tbENKUlT_T0_E_clISt17integral_constantIbLb0EESV_IbLb1EEEEDaSR_SS_EUlSR_E_NS1_11comp_targetILNS1_3genE10ELNS1_11target_archE1201ELNS1_3gpuE5ELNS1_3repE0EEENS1_30default_config_static_selectorELNS0_4arch9wavefront6targetE1EEEvT1_, .Lfunc_end6074-_ZN7rocprim17ROCPRIM_400000_NS6detail17trampoline_kernelINS0_14default_configENS1_20scan_config_selectorIjEEZZNS1_9scan_implILNS1_25lookback_scan_determinismE0ELb0ELb0ES3_N6thrust23THRUST_200600_302600_NS6detail15normal_iteratorINS9_10device_ptrIjEEEENSB_INSC_IfEEEEjNS9_4plusIvEEjEEDaPvRmT3_T4_T5_mT6_P12ihipStream_tbENKUlT_T0_E_clISt17integral_constantIbLb0EESV_IbLb1EEEEDaSR_SS_EUlSR_E_NS1_11comp_targetILNS1_3genE10ELNS1_11target_archE1201ELNS1_3gpuE5ELNS1_3repE0EEENS1_30default_config_static_selectorELNS0_4arch9wavefront6targetE1EEEvT1_
                                        ; -- End function
	.section	.AMDGPU.csdata,"",@progbits
; Kernel info:
; codeLenInByte = 0
; NumSgprs: 4
; NumVgprs: 0
; NumAgprs: 0
; TotalNumVgprs: 0
; ScratchSize: 0
; MemoryBound: 0
; FloatMode: 240
; IeeeMode: 1
; LDSByteSize: 0 bytes/workgroup (compile time only)
; SGPRBlocks: 0
; VGPRBlocks: 0
; NumSGPRsForWavesPerEU: 4
; NumVGPRsForWavesPerEU: 1
; AccumOffset: 4
; Occupancy: 8
; WaveLimiterHint : 0
; COMPUTE_PGM_RSRC2:SCRATCH_EN: 0
; COMPUTE_PGM_RSRC2:USER_SGPR: 6
; COMPUTE_PGM_RSRC2:TRAP_HANDLER: 0
; COMPUTE_PGM_RSRC2:TGID_X_EN: 1
; COMPUTE_PGM_RSRC2:TGID_Y_EN: 0
; COMPUTE_PGM_RSRC2:TGID_Z_EN: 0
; COMPUTE_PGM_RSRC2:TIDIG_COMP_CNT: 0
; COMPUTE_PGM_RSRC3_GFX90A:ACCUM_OFFSET: 0
; COMPUTE_PGM_RSRC3_GFX90A:TG_SPLIT: 0
	.section	.text._ZN7rocprim17ROCPRIM_400000_NS6detail17trampoline_kernelINS0_14default_configENS1_20scan_config_selectorIjEEZZNS1_9scan_implILNS1_25lookback_scan_determinismE0ELb0ELb0ES3_N6thrust23THRUST_200600_302600_NS6detail15normal_iteratorINS9_10device_ptrIjEEEENSB_INSC_IfEEEEjNS9_4plusIvEEjEEDaPvRmT3_T4_T5_mT6_P12ihipStream_tbENKUlT_T0_E_clISt17integral_constantIbLb0EESV_IbLb1EEEEDaSR_SS_EUlSR_E_NS1_11comp_targetILNS1_3genE10ELNS1_11target_archE1200ELNS1_3gpuE4ELNS1_3repE0EEENS1_30default_config_static_selectorELNS0_4arch9wavefront6targetE1EEEvT1_,"axG",@progbits,_ZN7rocprim17ROCPRIM_400000_NS6detail17trampoline_kernelINS0_14default_configENS1_20scan_config_selectorIjEEZZNS1_9scan_implILNS1_25lookback_scan_determinismE0ELb0ELb0ES3_N6thrust23THRUST_200600_302600_NS6detail15normal_iteratorINS9_10device_ptrIjEEEENSB_INSC_IfEEEEjNS9_4plusIvEEjEEDaPvRmT3_T4_T5_mT6_P12ihipStream_tbENKUlT_T0_E_clISt17integral_constantIbLb0EESV_IbLb1EEEEDaSR_SS_EUlSR_E_NS1_11comp_targetILNS1_3genE10ELNS1_11target_archE1200ELNS1_3gpuE4ELNS1_3repE0EEENS1_30default_config_static_selectorELNS0_4arch9wavefront6targetE1EEEvT1_,comdat
	.protected	_ZN7rocprim17ROCPRIM_400000_NS6detail17trampoline_kernelINS0_14default_configENS1_20scan_config_selectorIjEEZZNS1_9scan_implILNS1_25lookback_scan_determinismE0ELb0ELb0ES3_N6thrust23THRUST_200600_302600_NS6detail15normal_iteratorINS9_10device_ptrIjEEEENSB_INSC_IfEEEEjNS9_4plusIvEEjEEDaPvRmT3_T4_T5_mT6_P12ihipStream_tbENKUlT_T0_E_clISt17integral_constantIbLb0EESV_IbLb1EEEEDaSR_SS_EUlSR_E_NS1_11comp_targetILNS1_3genE10ELNS1_11target_archE1200ELNS1_3gpuE4ELNS1_3repE0EEENS1_30default_config_static_selectorELNS0_4arch9wavefront6targetE1EEEvT1_ ; -- Begin function _ZN7rocprim17ROCPRIM_400000_NS6detail17trampoline_kernelINS0_14default_configENS1_20scan_config_selectorIjEEZZNS1_9scan_implILNS1_25lookback_scan_determinismE0ELb0ELb0ES3_N6thrust23THRUST_200600_302600_NS6detail15normal_iteratorINS9_10device_ptrIjEEEENSB_INSC_IfEEEEjNS9_4plusIvEEjEEDaPvRmT3_T4_T5_mT6_P12ihipStream_tbENKUlT_T0_E_clISt17integral_constantIbLb0EESV_IbLb1EEEEDaSR_SS_EUlSR_E_NS1_11comp_targetILNS1_3genE10ELNS1_11target_archE1200ELNS1_3gpuE4ELNS1_3repE0EEENS1_30default_config_static_selectorELNS0_4arch9wavefront6targetE1EEEvT1_
	.globl	_ZN7rocprim17ROCPRIM_400000_NS6detail17trampoline_kernelINS0_14default_configENS1_20scan_config_selectorIjEEZZNS1_9scan_implILNS1_25lookback_scan_determinismE0ELb0ELb0ES3_N6thrust23THRUST_200600_302600_NS6detail15normal_iteratorINS9_10device_ptrIjEEEENSB_INSC_IfEEEEjNS9_4plusIvEEjEEDaPvRmT3_T4_T5_mT6_P12ihipStream_tbENKUlT_T0_E_clISt17integral_constantIbLb0EESV_IbLb1EEEEDaSR_SS_EUlSR_E_NS1_11comp_targetILNS1_3genE10ELNS1_11target_archE1200ELNS1_3gpuE4ELNS1_3repE0EEENS1_30default_config_static_selectorELNS0_4arch9wavefront6targetE1EEEvT1_
	.p2align	8
	.type	_ZN7rocprim17ROCPRIM_400000_NS6detail17trampoline_kernelINS0_14default_configENS1_20scan_config_selectorIjEEZZNS1_9scan_implILNS1_25lookback_scan_determinismE0ELb0ELb0ES3_N6thrust23THRUST_200600_302600_NS6detail15normal_iteratorINS9_10device_ptrIjEEEENSB_INSC_IfEEEEjNS9_4plusIvEEjEEDaPvRmT3_T4_T5_mT6_P12ihipStream_tbENKUlT_T0_E_clISt17integral_constantIbLb0EESV_IbLb1EEEEDaSR_SS_EUlSR_E_NS1_11comp_targetILNS1_3genE10ELNS1_11target_archE1200ELNS1_3gpuE4ELNS1_3repE0EEENS1_30default_config_static_selectorELNS0_4arch9wavefront6targetE1EEEvT1_,@function
_ZN7rocprim17ROCPRIM_400000_NS6detail17trampoline_kernelINS0_14default_configENS1_20scan_config_selectorIjEEZZNS1_9scan_implILNS1_25lookback_scan_determinismE0ELb0ELb0ES3_N6thrust23THRUST_200600_302600_NS6detail15normal_iteratorINS9_10device_ptrIjEEEENSB_INSC_IfEEEEjNS9_4plusIvEEjEEDaPvRmT3_T4_T5_mT6_P12ihipStream_tbENKUlT_T0_E_clISt17integral_constantIbLb0EESV_IbLb1EEEEDaSR_SS_EUlSR_E_NS1_11comp_targetILNS1_3genE10ELNS1_11target_archE1200ELNS1_3gpuE4ELNS1_3repE0EEENS1_30default_config_static_selectorELNS0_4arch9wavefront6targetE1EEEvT1_: ; @_ZN7rocprim17ROCPRIM_400000_NS6detail17trampoline_kernelINS0_14default_configENS1_20scan_config_selectorIjEEZZNS1_9scan_implILNS1_25lookback_scan_determinismE0ELb0ELb0ES3_N6thrust23THRUST_200600_302600_NS6detail15normal_iteratorINS9_10device_ptrIjEEEENSB_INSC_IfEEEEjNS9_4plusIvEEjEEDaPvRmT3_T4_T5_mT6_P12ihipStream_tbENKUlT_T0_E_clISt17integral_constantIbLb0EESV_IbLb1EEEEDaSR_SS_EUlSR_E_NS1_11comp_targetILNS1_3genE10ELNS1_11target_archE1200ELNS1_3gpuE4ELNS1_3repE0EEENS1_30default_config_static_selectorELNS0_4arch9wavefront6targetE1EEEvT1_
; %bb.0:
	.section	.rodata,"a",@progbits
	.p2align	6, 0x0
	.amdhsa_kernel _ZN7rocprim17ROCPRIM_400000_NS6detail17trampoline_kernelINS0_14default_configENS1_20scan_config_selectorIjEEZZNS1_9scan_implILNS1_25lookback_scan_determinismE0ELb0ELb0ES3_N6thrust23THRUST_200600_302600_NS6detail15normal_iteratorINS9_10device_ptrIjEEEENSB_INSC_IfEEEEjNS9_4plusIvEEjEEDaPvRmT3_T4_T5_mT6_P12ihipStream_tbENKUlT_T0_E_clISt17integral_constantIbLb0EESV_IbLb1EEEEDaSR_SS_EUlSR_E_NS1_11comp_targetILNS1_3genE10ELNS1_11target_archE1200ELNS1_3gpuE4ELNS1_3repE0EEENS1_30default_config_static_selectorELNS0_4arch9wavefront6targetE1EEEvT1_
		.amdhsa_group_segment_fixed_size 0
		.amdhsa_private_segment_fixed_size 0
		.amdhsa_kernarg_size 96
		.amdhsa_user_sgpr_count 6
		.amdhsa_user_sgpr_private_segment_buffer 1
		.amdhsa_user_sgpr_dispatch_ptr 0
		.amdhsa_user_sgpr_queue_ptr 0
		.amdhsa_user_sgpr_kernarg_segment_ptr 1
		.amdhsa_user_sgpr_dispatch_id 0
		.amdhsa_user_sgpr_flat_scratch_init 0
		.amdhsa_user_sgpr_kernarg_preload_length 0
		.amdhsa_user_sgpr_kernarg_preload_offset 0
		.amdhsa_user_sgpr_private_segment_size 0
		.amdhsa_uses_dynamic_stack 0
		.amdhsa_system_sgpr_private_segment_wavefront_offset 0
		.amdhsa_system_sgpr_workgroup_id_x 1
		.amdhsa_system_sgpr_workgroup_id_y 0
		.amdhsa_system_sgpr_workgroup_id_z 0
		.amdhsa_system_sgpr_workgroup_info 0
		.amdhsa_system_vgpr_workitem_id 0
		.amdhsa_next_free_vgpr 1
		.amdhsa_next_free_sgpr 0
		.amdhsa_accum_offset 4
		.amdhsa_reserve_vcc 0
		.amdhsa_reserve_flat_scratch 0
		.amdhsa_float_round_mode_32 0
		.amdhsa_float_round_mode_16_64 0
		.amdhsa_float_denorm_mode_32 3
		.amdhsa_float_denorm_mode_16_64 3
		.amdhsa_dx10_clamp 1
		.amdhsa_ieee_mode 1
		.amdhsa_fp16_overflow 0
		.amdhsa_tg_split 0
		.amdhsa_exception_fp_ieee_invalid_op 0
		.amdhsa_exception_fp_denorm_src 0
		.amdhsa_exception_fp_ieee_div_zero 0
		.amdhsa_exception_fp_ieee_overflow 0
		.amdhsa_exception_fp_ieee_underflow 0
		.amdhsa_exception_fp_ieee_inexact 0
		.amdhsa_exception_int_div_zero 0
	.end_amdhsa_kernel
	.section	.text._ZN7rocprim17ROCPRIM_400000_NS6detail17trampoline_kernelINS0_14default_configENS1_20scan_config_selectorIjEEZZNS1_9scan_implILNS1_25lookback_scan_determinismE0ELb0ELb0ES3_N6thrust23THRUST_200600_302600_NS6detail15normal_iteratorINS9_10device_ptrIjEEEENSB_INSC_IfEEEEjNS9_4plusIvEEjEEDaPvRmT3_T4_T5_mT6_P12ihipStream_tbENKUlT_T0_E_clISt17integral_constantIbLb0EESV_IbLb1EEEEDaSR_SS_EUlSR_E_NS1_11comp_targetILNS1_3genE10ELNS1_11target_archE1200ELNS1_3gpuE4ELNS1_3repE0EEENS1_30default_config_static_selectorELNS0_4arch9wavefront6targetE1EEEvT1_,"axG",@progbits,_ZN7rocprim17ROCPRIM_400000_NS6detail17trampoline_kernelINS0_14default_configENS1_20scan_config_selectorIjEEZZNS1_9scan_implILNS1_25lookback_scan_determinismE0ELb0ELb0ES3_N6thrust23THRUST_200600_302600_NS6detail15normal_iteratorINS9_10device_ptrIjEEEENSB_INSC_IfEEEEjNS9_4plusIvEEjEEDaPvRmT3_T4_T5_mT6_P12ihipStream_tbENKUlT_T0_E_clISt17integral_constantIbLb0EESV_IbLb1EEEEDaSR_SS_EUlSR_E_NS1_11comp_targetILNS1_3genE10ELNS1_11target_archE1200ELNS1_3gpuE4ELNS1_3repE0EEENS1_30default_config_static_selectorELNS0_4arch9wavefront6targetE1EEEvT1_,comdat
.Lfunc_end6075:
	.size	_ZN7rocprim17ROCPRIM_400000_NS6detail17trampoline_kernelINS0_14default_configENS1_20scan_config_selectorIjEEZZNS1_9scan_implILNS1_25lookback_scan_determinismE0ELb0ELb0ES3_N6thrust23THRUST_200600_302600_NS6detail15normal_iteratorINS9_10device_ptrIjEEEENSB_INSC_IfEEEEjNS9_4plusIvEEjEEDaPvRmT3_T4_T5_mT6_P12ihipStream_tbENKUlT_T0_E_clISt17integral_constantIbLb0EESV_IbLb1EEEEDaSR_SS_EUlSR_E_NS1_11comp_targetILNS1_3genE10ELNS1_11target_archE1200ELNS1_3gpuE4ELNS1_3repE0EEENS1_30default_config_static_selectorELNS0_4arch9wavefront6targetE1EEEvT1_, .Lfunc_end6075-_ZN7rocprim17ROCPRIM_400000_NS6detail17trampoline_kernelINS0_14default_configENS1_20scan_config_selectorIjEEZZNS1_9scan_implILNS1_25lookback_scan_determinismE0ELb0ELb0ES3_N6thrust23THRUST_200600_302600_NS6detail15normal_iteratorINS9_10device_ptrIjEEEENSB_INSC_IfEEEEjNS9_4plusIvEEjEEDaPvRmT3_T4_T5_mT6_P12ihipStream_tbENKUlT_T0_E_clISt17integral_constantIbLb0EESV_IbLb1EEEEDaSR_SS_EUlSR_E_NS1_11comp_targetILNS1_3genE10ELNS1_11target_archE1200ELNS1_3gpuE4ELNS1_3repE0EEENS1_30default_config_static_selectorELNS0_4arch9wavefront6targetE1EEEvT1_
                                        ; -- End function
	.section	.AMDGPU.csdata,"",@progbits
; Kernel info:
; codeLenInByte = 0
; NumSgprs: 4
; NumVgprs: 0
; NumAgprs: 0
; TotalNumVgprs: 0
; ScratchSize: 0
; MemoryBound: 0
; FloatMode: 240
; IeeeMode: 1
; LDSByteSize: 0 bytes/workgroup (compile time only)
; SGPRBlocks: 0
; VGPRBlocks: 0
; NumSGPRsForWavesPerEU: 4
; NumVGPRsForWavesPerEU: 1
; AccumOffset: 4
; Occupancy: 8
; WaveLimiterHint : 0
; COMPUTE_PGM_RSRC2:SCRATCH_EN: 0
; COMPUTE_PGM_RSRC2:USER_SGPR: 6
; COMPUTE_PGM_RSRC2:TRAP_HANDLER: 0
; COMPUTE_PGM_RSRC2:TGID_X_EN: 1
; COMPUTE_PGM_RSRC2:TGID_Y_EN: 0
; COMPUTE_PGM_RSRC2:TGID_Z_EN: 0
; COMPUTE_PGM_RSRC2:TIDIG_COMP_CNT: 0
; COMPUTE_PGM_RSRC3_GFX90A:ACCUM_OFFSET: 0
; COMPUTE_PGM_RSRC3_GFX90A:TG_SPLIT: 0
	.section	.text._ZN7rocprim17ROCPRIM_400000_NS6detail17trampoline_kernelINS0_14default_configENS1_20scan_config_selectorIjEEZZNS1_9scan_implILNS1_25lookback_scan_determinismE0ELb0ELb0ES3_N6thrust23THRUST_200600_302600_NS6detail15normal_iteratorINS9_10device_ptrIjEEEENSB_INSC_IfEEEEjNS9_4plusIvEEjEEDaPvRmT3_T4_T5_mT6_P12ihipStream_tbENKUlT_T0_E_clISt17integral_constantIbLb0EESV_IbLb1EEEEDaSR_SS_EUlSR_E_NS1_11comp_targetILNS1_3genE9ELNS1_11target_archE1100ELNS1_3gpuE3ELNS1_3repE0EEENS1_30default_config_static_selectorELNS0_4arch9wavefront6targetE1EEEvT1_,"axG",@progbits,_ZN7rocprim17ROCPRIM_400000_NS6detail17trampoline_kernelINS0_14default_configENS1_20scan_config_selectorIjEEZZNS1_9scan_implILNS1_25lookback_scan_determinismE0ELb0ELb0ES3_N6thrust23THRUST_200600_302600_NS6detail15normal_iteratorINS9_10device_ptrIjEEEENSB_INSC_IfEEEEjNS9_4plusIvEEjEEDaPvRmT3_T4_T5_mT6_P12ihipStream_tbENKUlT_T0_E_clISt17integral_constantIbLb0EESV_IbLb1EEEEDaSR_SS_EUlSR_E_NS1_11comp_targetILNS1_3genE9ELNS1_11target_archE1100ELNS1_3gpuE3ELNS1_3repE0EEENS1_30default_config_static_selectorELNS0_4arch9wavefront6targetE1EEEvT1_,comdat
	.protected	_ZN7rocprim17ROCPRIM_400000_NS6detail17trampoline_kernelINS0_14default_configENS1_20scan_config_selectorIjEEZZNS1_9scan_implILNS1_25lookback_scan_determinismE0ELb0ELb0ES3_N6thrust23THRUST_200600_302600_NS6detail15normal_iteratorINS9_10device_ptrIjEEEENSB_INSC_IfEEEEjNS9_4plusIvEEjEEDaPvRmT3_T4_T5_mT6_P12ihipStream_tbENKUlT_T0_E_clISt17integral_constantIbLb0EESV_IbLb1EEEEDaSR_SS_EUlSR_E_NS1_11comp_targetILNS1_3genE9ELNS1_11target_archE1100ELNS1_3gpuE3ELNS1_3repE0EEENS1_30default_config_static_selectorELNS0_4arch9wavefront6targetE1EEEvT1_ ; -- Begin function _ZN7rocprim17ROCPRIM_400000_NS6detail17trampoline_kernelINS0_14default_configENS1_20scan_config_selectorIjEEZZNS1_9scan_implILNS1_25lookback_scan_determinismE0ELb0ELb0ES3_N6thrust23THRUST_200600_302600_NS6detail15normal_iteratorINS9_10device_ptrIjEEEENSB_INSC_IfEEEEjNS9_4plusIvEEjEEDaPvRmT3_T4_T5_mT6_P12ihipStream_tbENKUlT_T0_E_clISt17integral_constantIbLb0EESV_IbLb1EEEEDaSR_SS_EUlSR_E_NS1_11comp_targetILNS1_3genE9ELNS1_11target_archE1100ELNS1_3gpuE3ELNS1_3repE0EEENS1_30default_config_static_selectorELNS0_4arch9wavefront6targetE1EEEvT1_
	.globl	_ZN7rocprim17ROCPRIM_400000_NS6detail17trampoline_kernelINS0_14default_configENS1_20scan_config_selectorIjEEZZNS1_9scan_implILNS1_25lookback_scan_determinismE0ELb0ELb0ES3_N6thrust23THRUST_200600_302600_NS6detail15normal_iteratorINS9_10device_ptrIjEEEENSB_INSC_IfEEEEjNS9_4plusIvEEjEEDaPvRmT3_T4_T5_mT6_P12ihipStream_tbENKUlT_T0_E_clISt17integral_constantIbLb0EESV_IbLb1EEEEDaSR_SS_EUlSR_E_NS1_11comp_targetILNS1_3genE9ELNS1_11target_archE1100ELNS1_3gpuE3ELNS1_3repE0EEENS1_30default_config_static_selectorELNS0_4arch9wavefront6targetE1EEEvT1_
	.p2align	8
	.type	_ZN7rocprim17ROCPRIM_400000_NS6detail17trampoline_kernelINS0_14default_configENS1_20scan_config_selectorIjEEZZNS1_9scan_implILNS1_25lookback_scan_determinismE0ELb0ELb0ES3_N6thrust23THRUST_200600_302600_NS6detail15normal_iteratorINS9_10device_ptrIjEEEENSB_INSC_IfEEEEjNS9_4plusIvEEjEEDaPvRmT3_T4_T5_mT6_P12ihipStream_tbENKUlT_T0_E_clISt17integral_constantIbLb0EESV_IbLb1EEEEDaSR_SS_EUlSR_E_NS1_11comp_targetILNS1_3genE9ELNS1_11target_archE1100ELNS1_3gpuE3ELNS1_3repE0EEENS1_30default_config_static_selectorELNS0_4arch9wavefront6targetE1EEEvT1_,@function
_ZN7rocprim17ROCPRIM_400000_NS6detail17trampoline_kernelINS0_14default_configENS1_20scan_config_selectorIjEEZZNS1_9scan_implILNS1_25lookback_scan_determinismE0ELb0ELb0ES3_N6thrust23THRUST_200600_302600_NS6detail15normal_iteratorINS9_10device_ptrIjEEEENSB_INSC_IfEEEEjNS9_4plusIvEEjEEDaPvRmT3_T4_T5_mT6_P12ihipStream_tbENKUlT_T0_E_clISt17integral_constantIbLb0EESV_IbLb1EEEEDaSR_SS_EUlSR_E_NS1_11comp_targetILNS1_3genE9ELNS1_11target_archE1100ELNS1_3gpuE3ELNS1_3repE0EEENS1_30default_config_static_selectorELNS0_4arch9wavefront6targetE1EEEvT1_: ; @_ZN7rocprim17ROCPRIM_400000_NS6detail17trampoline_kernelINS0_14default_configENS1_20scan_config_selectorIjEEZZNS1_9scan_implILNS1_25lookback_scan_determinismE0ELb0ELb0ES3_N6thrust23THRUST_200600_302600_NS6detail15normal_iteratorINS9_10device_ptrIjEEEENSB_INSC_IfEEEEjNS9_4plusIvEEjEEDaPvRmT3_T4_T5_mT6_P12ihipStream_tbENKUlT_T0_E_clISt17integral_constantIbLb0EESV_IbLb1EEEEDaSR_SS_EUlSR_E_NS1_11comp_targetILNS1_3genE9ELNS1_11target_archE1100ELNS1_3gpuE3ELNS1_3repE0EEENS1_30default_config_static_selectorELNS0_4arch9wavefront6targetE1EEEvT1_
; %bb.0:
	.section	.rodata,"a",@progbits
	.p2align	6, 0x0
	.amdhsa_kernel _ZN7rocprim17ROCPRIM_400000_NS6detail17trampoline_kernelINS0_14default_configENS1_20scan_config_selectorIjEEZZNS1_9scan_implILNS1_25lookback_scan_determinismE0ELb0ELb0ES3_N6thrust23THRUST_200600_302600_NS6detail15normal_iteratorINS9_10device_ptrIjEEEENSB_INSC_IfEEEEjNS9_4plusIvEEjEEDaPvRmT3_T4_T5_mT6_P12ihipStream_tbENKUlT_T0_E_clISt17integral_constantIbLb0EESV_IbLb1EEEEDaSR_SS_EUlSR_E_NS1_11comp_targetILNS1_3genE9ELNS1_11target_archE1100ELNS1_3gpuE3ELNS1_3repE0EEENS1_30default_config_static_selectorELNS0_4arch9wavefront6targetE1EEEvT1_
		.amdhsa_group_segment_fixed_size 0
		.amdhsa_private_segment_fixed_size 0
		.amdhsa_kernarg_size 96
		.amdhsa_user_sgpr_count 6
		.amdhsa_user_sgpr_private_segment_buffer 1
		.amdhsa_user_sgpr_dispatch_ptr 0
		.amdhsa_user_sgpr_queue_ptr 0
		.amdhsa_user_sgpr_kernarg_segment_ptr 1
		.amdhsa_user_sgpr_dispatch_id 0
		.amdhsa_user_sgpr_flat_scratch_init 0
		.amdhsa_user_sgpr_kernarg_preload_length 0
		.amdhsa_user_sgpr_kernarg_preload_offset 0
		.amdhsa_user_sgpr_private_segment_size 0
		.amdhsa_uses_dynamic_stack 0
		.amdhsa_system_sgpr_private_segment_wavefront_offset 0
		.amdhsa_system_sgpr_workgroup_id_x 1
		.amdhsa_system_sgpr_workgroup_id_y 0
		.amdhsa_system_sgpr_workgroup_id_z 0
		.amdhsa_system_sgpr_workgroup_info 0
		.amdhsa_system_vgpr_workitem_id 0
		.amdhsa_next_free_vgpr 1
		.amdhsa_next_free_sgpr 0
		.amdhsa_accum_offset 4
		.amdhsa_reserve_vcc 0
		.amdhsa_reserve_flat_scratch 0
		.amdhsa_float_round_mode_32 0
		.amdhsa_float_round_mode_16_64 0
		.amdhsa_float_denorm_mode_32 3
		.amdhsa_float_denorm_mode_16_64 3
		.amdhsa_dx10_clamp 1
		.amdhsa_ieee_mode 1
		.amdhsa_fp16_overflow 0
		.amdhsa_tg_split 0
		.amdhsa_exception_fp_ieee_invalid_op 0
		.amdhsa_exception_fp_denorm_src 0
		.amdhsa_exception_fp_ieee_div_zero 0
		.amdhsa_exception_fp_ieee_overflow 0
		.amdhsa_exception_fp_ieee_underflow 0
		.amdhsa_exception_fp_ieee_inexact 0
		.amdhsa_exception_int_div_zero 0
	.end_amdhsa_kernel
	.section	.text._ZN7rocprim17ROCPRIM_400000_NS6detail17trampoline_kernelINS0_14default_configENS1_20scan_config_selectorIjEEZZNS1_9scan_implILNS1_25lookback_scan_determinismE0ELb0ELb0ES3_N6thrust23THRUST_200600_302600_NS6detail15normal_iteratorINS9_10device_ptrIjEEEENSB_INSC_IfEEEEjNS9_4plusIvEEjEEDaPvRmT3_T4_T5_mT6_P12ihipStream_tbENKUlT_T0_E_clISt17integral_constantIbLb0EESV_IbLb1EEEEDaSR_SS_EUlSR_E_NS1_11comp_targetILNS1_3genE9ELNS1_11target_archE1100ELNS1_3gpuE3ELNS1_3repE0EEENS1_30default_config_static_selectorELNS0_4arch9wavefront6targetE1EEEvT1_,"axG",@progbits,_ZN7rocprim17ROCPRIM_400000_NS6detail17trampoline_kernelINS0_14default_configENS1_20scan_config_selectorIjEEZZNS1_9scan_implILNS1_25lookback_scan_determinismE0ELb0ELb0ES3_N6thrust23THRUST_200600_302600_NS6detail15normal_iteratorINS9_10device_ptrIjEEEENSB_INSC_IfEEEEjNS9_4plusIvEEjEEDaPvRmT3_T4_T5_mT6_P12ihipStream_tbENKUlT_T0_E_clISt17integral_constantIbLb0EESV_IbLb1EEEEDaSR_SS_EUlSR_E_NS1_11comp_targetILNS1_3genE9ELNS1_11target_archE1100ELNS1_3gpuE3ELNS1_3repE0EEENS1_30default_config_static_selectorELNS0_4arch9wavefront6targetE1EEEvT1_,comdat
.Lfunc_end6076:
	.size	_ZN7rocprim17ROCPRIM_400000_NS6detail17trampoline_kernelINS0_14default_configENS1_20scan_config_selectorIjEEZZNS1_9scan_implILNS1_25lookback_scan_determinismE0ELb0ELb0ES3_N6thrust23THRUST_200600_302600_NS6detail15normal_iteratorINS9_10device_ptrIjEEEENSB_INSC_IfEEEEjNS9_4plusIvEEjEEDaPvRmT3_T4_T5_mT6_P12ihipStream_tbENKUlT_T0_E_clISt17integral_constantIbLb0EESV_IbLb1EEEEDaSR_SS_EUlSR_E_NS1_11comp_targetILNS1_3genE9ELNS1_11target_archE1100ELNS1_3gpuE3ELNS1_3repE0EEENS1_30default_config_static_selectorELNS0_4arch9wavefront6targetE1EEEvT1_, .Lfunc_end6076-_ZN7rocprim17ROCPRIM_400000_NS6detail17trampoline_kernelINS0_14default_configENS1_20scan_config_selectorIjEEZZNS1_9scan_implILNS1_25lookback_scan_determinismE0ELb0ELb0ES3_N6thrust23THRUST_200600_302600_NS6detail15normal_iteratorINS9_10device_ptrIjEEEENSB_INSC_IfEEEEjNS9_4plusIvEEjEEDaPvRmT3_T4_T5_mT6_P12ihipStream_tbENKUlT_T0_E_clISt17integral_constantIbLb0EESV_IbLb1EEEEDaSR_SS_EUlSR_E_NS1_11comp_targetILNS1_3genE9ELNS1_11target_archE1100ELNS1_3gpuE3ELNS1_3repE0EEENS1_30default_config_static_selectorELNS0_4arch9wavefront6targetE1EEEvT1_
                                        ; -- End function
	.section	.AMDGPU.csdata,"",@progbits
; Kernel info:
; codeLenInByte = 0
; NumSgprs: 4
; NumVgprs: 0
; NumAgprs: 0
; TotalNumVgprs: 0
; ScratchSize: 0
; MemoryBound: 0
; FloatMode: 240
; IeeeMode: 1
; LDSByteSize: 0 bytes/workgroup (compile time only)
; SGPRBlocks: 0
; VGPRBlocks: 0
; NumSGPRsForWavesPerEU: 4
; NumVGPRsForWavesPerEU: 1
; AccumOffset: 4
; Occupancy: 8
; WaveLimiterHint : 0
; COMPUTE_PGM_RSRC2:SCRATCH_EN: 0
; COMPUTE_PGM_RSRC2:USER_SGPR: 6
; COMPUTE_PGM_RSRC2:TRAP_HANDLER: 0
; COMPUTE_PGM_RSRC2:TGID_X_EN: 1
; COMPUTE_PGM_RSRC2:TGID_Y_EN: 0
; COMPUTE_PGM_RSRC2:TGID_Z_EN: 0
; COMPUTE_PGM_RSRC2:TIDIG_COMP_CNT: 0
; COMPUTE_PGM_RSRC3_GFX90A:ACCUM_OFFSET: 0
; COMPUTE_PGM_RSRC3_GFX90A:TG_SPLIT: 0
	.section	.text._ZN7rocprim17ROCPRIM_400000_NS6detail17trampoline_kernelINS0_14default_configENS1_20scan_config_selectorIjEEZZNS1_9scan_implILNS1_25lookback_scan_determinismE0ELb0ELb0ES3_N6thrust23THRUST_200600_302600_NS6detail15normal_iteratorINS9_10device_ptrIjEEEENSB_INSC_IfEEEEjNS9_4plusIvEEjEEDaPvRmT3_T4_T5_mT6_P12ihipStream_tbENKUlT_T0_E_clISt17integral_constantIbLb0EESV_IbLb1EEEEDaSR_SS_EUlSR_E_NS1_11comp_targetILNS1_3genE8ELNS1_11target_archE1030ELNS1_3gpuE2ELNS1_3repE0EEENS1_30default_config_static_selectorELNS0_4arch9wavefront6targetE1EEEvT1_,"axG",@progbits,_ZN7rocprim17ROCPRIM_400000_NS6detail17trampoline_kernelINS0_14default_configENS1_20scan_config_selectorIjEEZZNS1_9scan_implILNS1_25lookback_scan_determinismE0ELb0ELb0ES3_N6thrust23THRUST_200600_302600_NS6detail15normal_iteratorINS9_10device_ptrIjEEEENSB_INSC_IfEEEEjNS9_4plusIvEEjEEDaPvRmT3_T4_T5_mT6_P12ihipStream_tbENKUlT_T0_E_clISt17integral_constantIbLb0EESV_IbLb1EEEEDaSR_SS_EUlSR_E_NS1_11comp_targetILNS1_3genE8ELNS1_11target_archE1030ELNS1_3gpuE2ELNS1_3repE0EEENS1_30default_config_static_selectorELNS0_4arch9wavefront6targetE1EEEvT1_,comdat
	.protected	_ZN7rocprim17ROCPRIM_400000_NS6detail17trampoline_kernelINS0_14default_configENS1_20scan_config_selectorIjEEZZNS1_9scan_implILNS1_25lookback_scan_determinismE0ELb0ELb0ES3_N6thrust23THRUST_200600_302600_NS6detail15normal_iteratorINS9_10device_ptrIjEEEENSB_INSC_IfEEEEjNS9_4plusIvEEjEEDaPvRmT3_T4_T5_mT6_P12ihipStream_tbENKUlT_T0_E_clISt17integral_constantIbLb0EESV_IbLb1EEEEDaSR_SS_EUlSR_E_NS1_11comp_targetILNS1_3genE8ELNS1_11target_archE1030ELNS1_3gpuE2ELNS1_3repE0EEENS1_30default_config_static_selectorELNS0_4arch9wavefront6targetE1EEEvT1_ ; -- Begin function _ZN7rocprim17ROCPRIM_400000_NS6detail17trampoline_kernelINS0_14default_configENS1_20scan_config_selectorIjEEZZNS1_9scan_implILNS1_25lookback_scan_determinismE0ELb0ELb0ES3_N6thrust23THRUST_200600_302600_NS6detail15normal_iteratorINS9_10device_ptrIjEEEENSB_INSC_IfEEEEjNS9_4plusIvEEjEEDaPvRmT3_T4_T5_mT6_P12ihipStream_tbENKUlT_T0_E_clISt17integral_constantIbLb0EESV_IbLb1EEEEDaSR_SS_EUlSR_E_NS1_11comp_targetILNS1_3genE8ELNS1_11target_archE1030ELNS1_3gpuE2ELNS1_3repE0EEENS1_30default_config_static_selectorELNS0_4arch9wavefront6targetE1EEEvT1_
	.globl	_ZN7rocprim17ROCPRIM_400000_NS6detail17trampoline_kernelINS0_14default_configENS1_20scan_config_selectorIjEEZZNS1_9scan_implILNS1_25lookback_scan_determinismE0ELb0ELb0ES3_N6thrust23THRUST_200600_302600_NS6detail15normal_iteratorINS9_10device_ptrIjEEEENSB_INSC_IfEEEEjNS9_4plusIvEEjEEDaPvRmT3_T4_T5_mT6_P12ihipStream_tbENKUlT_T0_E_clISt17integral_constantIbLb0EESV_IbLb1EEEEDaSR_SS_EUlSR_E_NS1_11comp_targetILNS1_3genE8ELNS1_11target_archE1030ELNS1_3gpuE2ELNS1_3repE0EEENS1_30default_config_static_selectorELNS0_4arch9wavefront6targetE1EEEvT1_
	.p2align	8
	.type	_ZN7rocprim17ROCPRIM_400000_NS6detail17trampoline_kernelINS0_14default_configENS1_20scan_config_selectorIjEEZZNS1_9scan_implILNS1_25lookback_scan_determinismE0ELb0ELb0ES3_N6thrust23THRUST_200600_302600_NS6detail15normal_iteratorINS9_10device_ptrIjEEEENSB_INSC_IfEEEEjNS9_4plusIvEEjEEDaPvRmT3_T4_T5_mT6_P12ihipStream_tbENKUlT_T0_E_clISt17integral_constantIbLb0EESV_IbLb1EEEEDaSR_SS_EUlSR_E_NS1_11comp_targetILNS1_3genE8ELNS1_11target_archE1030ELNS1_3gpuE2ELNS1_3repE0EEENS1_30default_config_static_selectorELNS0_4arch9wavefront6targetE1EEEvT1_,@function
_ZN7rocprim17ROCPRIM_400000_NS6detail17trampoline_kernelINS0_14default_configENS1_20scan_config_selectorIjEEZZNS1_9scan_implILNS1_25lookback_scan_determinismE0ELb0ELb0ES3_N6thrust23THRUST_200600_302600_NS6detail15normal_iteratorINS9_10device_ptrIjEEEENSB_INSC_IfEEEEjNS9_4plusIvEEjEEDaPvRmT3_T4_T5_mT6_P12ihipStream_tbENKUlT_T0_E_clISt17integral_constantIbLb0EESV_IbLb1EEEEDaSR_SS_EUlSR_E_NS1_11comp_targetILNS1_3genE8ELNS1_11target_archE1030ELNS1_3gpuE2ELNS1_3repE0EEENS1_30default_config_static_selectorELNS0_4arch9wavefront6targetE1EEEvT1_: ; @_ZN7rocprim17ROCPRIM_400000_NS6detail17trampoline_kernelINS0_14default_configENS1_20scan_config_selectorIjEEZZNS1_9scan_implILNS1_25lookback_scan_determinismE0ELb0ELb0ES3_N6thrust23THRUST_200600_302600_NS6detail15normal_iteratorINS9_10device_ptrIjEEEENSB_INSC_IfEEEEjNS9_4plusIvEEjEEDaPvRmT3_T4_T5_mT6_P12ihipStream_tbENKUlT_T0_E_clISt17integral_constantIbLb0EESV_IbLb1EEEEDaSR_SS_EUlSR_E_NS1_11comp_targetILNS1_3genE8ELNS1_11target_archE1030ELNS1_3gpuE2ELNS1_3repE0EEENS1_30default_config_static_selectorELNS0_4arch9wavefront6targetE1EEEvT1_
; %bb.0:
	.section	.rodata,"a",@progbits
	.p2align	6, 0x0
	.amdhsa_kernel _ZN7rocprim17ROCPRIM_400000_NS6detail17trampoline_kernelINS0_14default_configENS1_20scan_config_selectorIjEEZZNS1_9scan_implILNS1_25lookback_scan_determinismE0ELb0ELb0ES3_N6thrust23THRUST_200600_302600_NS6detail15normal_iteratorINS9_10device_ptrIjEEEENSB_INSC_IfEEEEjNS9_4plusIvEEjEEDaPvRmT3_T4_T5_mT6_P12ihipStream_tbENKUlT_T0_E_clISt17integral_constantIbLb0EESV_IbLb1EEEEDaSR_SS_EUlSR_E_NS1_11comp_targetILNS1_3genE8ELNS1_11target_archE1030ELNS1_3gpuE2ELNS1_3repE0EEENS1_30default_config_static_selectorELNS0_4arch9wavefront6targetE1EEEvT1_
		.amdhsa_group_segment_fixed_size 0
		.amdhsa_private_segment_fixed_size 0
		.amdhsa_kernarg_size 96
		.amdhsa_user_sgpr_count 6
		.amdhsa_user_sgpr_private_segment_buffer 1
		.amdhsa_user_sgpr_dispatch_ptr 0
		.amdhsa_user_sgpr_queue_ptr 0
		.amdhsa_user_sgpr_kernarg_segment_ptr 1
		.amdhsa_user_sgpr_dispatch_id 0
		.amdhsa_user_sgpr_flat_scratch_init 0
		.amdhsa_user_sgpr_kernarg_preload_length 0
		.amdhsa_user_sgpr_kernarg_preload_offset 0
		.amdhsa_user_sgpr_private_segment_size 0
		.amdhsa_uses_dynamic_stack 0
		.amdhsa_system_sgpr_private_segment_wavefront_offset 0
		.amdhsa_system_sgpr_workgroup_id_x 1
		.amdhsa_system_sgpr_workgroup_id_y 0
		.amdhsa_system_sgpr_workgroup_id_z 0
		.amdhsa_system_sgpr_workgroup_info 0
		.amdhsa_system_vgpr_workitem_id 0
		.amdhsa_next_free_vgpr 1
		.amdhsa_next_free_sgpr 0
		.amdhsa_accum_offset 4
		.amdhsa_reserve_vcc 0
		.amdhsa_reserve_flat_scratch 0
		.amdhsa_float_round_mode_32 0
		.amdhsa_float_round_mode_16_64 0
		.amdhsa_float_denorm_mode_32 3
		.amdhsa_float_denorm_mode_16_64 3
		.amdhsa_dx10_clamp 1
		.amdhsa_ieee_mode 1
		.amdhsa_fp16_overflow 0
		.amdhsa_tg_split 0
		.amdhsa_exception_fp_ieee_invalid_op 0
		.amdhsa_exception_fp_denorm_src 0
		.amdhsa_exception_fp_ieee_div_zero 0
		.amdhsa_exception_fp_ieee_overflow 0
		.amdhsa_exception_fp_ieee_underflow 0
		.amdhsa_exception_fp_ieee_inexact 0
		.amdhsa_exception_int_div_zero 0
	.end_amdhsa_kernel
	.section	.text._ZN7rocprim17ROCPRIM_400000_NS6detail17trampoline_kernelINS0_14default_configENS1_20scan_config_selectorIjEEZZNS1_9scan_implILNS1_25lookback_scan_determinismE0ELb0ELb0ES3_N6thrust23THRUST_200600_302600_NS6detail15normal_iteratorINS9_10device_ptrIjEEEENSB_INSC_IfEEEEjNS9_4plusIvEEjEEDaPvRmT3_T4_T5_mT6_P12ihipStream_tbENKUlT_T0_E_clISt17integral_constantIbLb0EESV_IbLb1EEEEDaSR_SS_EUlSR_E_NS1_11comp_targetILNS1_3genE8ELNS1_11target_archE1030ELNS1_3gpuE2ELNS1_3repE0EEENS1_30default_config_static_selectorELNS0_4arch9wavefront6targetE1EEEvT1_,"axG",@progbits,_ZN7rocprim17ROCPRIM_400000_NS6detail17trampoline_kernelINS0_14default_configENS1_20scan_config_selectorIjEEZZNS1_9scan_implILNS1_25lookback_scan_determinismE0ELb0ELb0ES3_N6thrust23THRUST_200600_302600_NS6detail15normal_iteratorINS9_10device_ptrIjEEEENSB_INSC_IfEEEEjNS9_4plusIvEEjEEDaPvRmT3_T4_T5_mT6_P12ihipStream_tbENKUlT_T0_E_clISt17integral_constantIbLb0EESV_IbLb1EEEEDaSR_SS_EUlSR_E_NS1_11comp_targetILNS1_3genE8ELNS1_11target_archE1030ELNS1_3gpuE2ELNS1_3repE0EEENS1_30default_config_static_selectorELNS0_4arch9wavefront6targetE1EEEvT1_,comdat
.Lfunc_end6077:
	.size	_ZN7rocprim17ROCPRIM_400000_NS6detail17trampoline_kernelINS0_14default_configENS1_20scan_config_selectorIjEEZZNS1_9scan_implILNS1_25lookback_scan_determinismE0ELb0ELb0ES3_N6thrust23THRUST_200600_302600_NS6detail15normal_iteratorINS9_10device_ptrIjEEEENSB_INSC_IfEEEEjNS9_4plusIvEEjEEDaPvRmT3_T4_T5_mT6_P12ihipStream_tbENKUlT_T0_E_clISt17integral_constantIbLb0EESV_IbLb1EEEEDaSR_SS_EUlSR_E_NS1_11comp_targetILNS1_3genE8ELNS1_11target_archE1030ELNS1_3gpuE2ELNS1_3repE0EEENS1_30default_config_static_selectorELNS0_4arch9wavefront6targetE1EEEvT1_, .Lfunc_end6077-_ZN7rocprim17ROCPRIM_400000_NS6detail17trampoline_kernelINS0_14default_configENS1_20scan_config_selectorIjEEZZNS1_9scan_implILNS1_25lookback_scan_determinismE0ELb0ELb0ES3_N6thrust23THRUST_200600_302600_NS6detail15normal_iteratorINS9_10device_ptrIjEEEENSB_INSC_IfEEEEjNS9_4plusIvEEjEEDaPvRmT3_T4_T5_mT6_P12ihipStream_tbENKUlT_T0_E_clISt17integral_constantIbLb0EESV_IbLb1EEEEDaSR_SS_EUlSR_E_NS1_11comp_targetILNS1_3genE8ELNS1_11target_archE1030ELNS1_3gpuE2ELNS1_3repE0EEENS1_30default_config_static_selectorELNS0_4arch9wavefront6targetE1EEEvT1_
                                        ; -- End function
	.section	.AMDGPU.csdata,"",@progbits
; Kernel info:
; codeLenInByte = 0
; NumSgprs: 4
; NumVgprs: 0
; NumAgprs: 0
; TotalNumVgprs: 0
; ScratchSize: 0
; MemoryBound: 0
; FloatMode: 240
; IeeeMode: 1
; LDSByteSize: 0 bytes/workgroup (compile time only)
; SGPRBlocks: 0
; VGPRBlocks: 0
; NumSGPRsForWavesPerEU: 4
; NumVGPRsForWavesPerEU: 1
; AccumOffset: 4
; Occupancy: 8
; WaveLimiterHint : 0
; COMPUTE_PGM_RSRC2:SCRATCH_EN: 0
; COMPUTE_PGM_RSRC2:USER_SGPR: 6
; COMPUTE_PGM_RSRC2:TRAP_HANDLER: 0
; COMPUTE_PGM_RSRC2:TGID_X_EN: 1
; COMPUTE_PGM_RSRC2:TGID_Y_EN: 0
; COMPUTE_PGM_RSRC2:TGID_Z_EN: 0
; COMPUTE_PGM_RSRC2:TIDIG_COMP_CNT: 0
; COMPUTE_PGM_RSRC3_GFX90A:ACCUM_OFFSET: 0
; COMPUTE_PGM_RSRC3_GFX90A:TG_SPLIT: 0
	.section	.text._ZN7rocprim17ROCPRIM_400000_NS6detail17trampoline_kernelINS0_14default_configENS1_20scan_config_selectorIjEEZZNS1_9scan_implILNS1_25lookback_scan_determinismE0ELb0ELb0ES3_N6thrust23THRUST_200600_302600_NS6detail15normal_iteratorINS9_10device_ptrIjEEEENSB_INSC_IfEEEEjNS9_4plusIvEEjEEDaPvRmT3_T4_T5_mT6_P12ihipStream_tbENKUlT_T0_E_clISt17integral_constantIbLb0EESV_IbLb1EEEEDaSR_SS_EUlSR_E0_NS1_11comp_targetILNS1_3genE0ELNS1_11target_archE4294967295ELNS1_3gpuE0ELNS1_3repE0EEENS1_30default_config_static_selectorELNS0_4arch9wavefront6targetE1EEEvT1_,"axG",@progbits,_ZN7rocprim17ROCPRIM_400000_NS6detail17trampoline_kernelINS0_14default_configENS1_20scan_config_selectorIjEEZZNS1_9scan_implILNS1_25lookback_scan_determinismE0ELb0ELb0ES3_N6thrust23THRUST_200600_302600_NS6detail15normal_iteratorINS9_10device_ptrIjEEEENSB_INSC_IfEEEEjNS9_4plusIvEEjEEDaPvRmT3_T4_T5_mT6_P12ihipStream_tbENKUlT_T0_E_clISt17integral_constantIbLb0EESV_IbLb1EEEEDaSR_SS_EUlSR_E0_NS1_11comp_targetILNS1_3genE0ELNS1_11target_archE4294967295ELNS1_3gpuE0ELNS1_3repE0EEENS1_30default_config_static_selectorELNS0_4arch9wavefront6targetE1EEEvT1_,comdat
	.protected	_ZN7rocprim17ROCPRIM_400000_NS6detail17trampoline_kernelINS0_14default_configENS1_20scan_config_selectorIjEEZZNS1_9scan_implILNS1_25lookback_scan_determinismE0ELb0ELb0ES3_N6thrust23THRUST_200600_302600_NS6detail15normal_iteratorINS9_10device_ptrIjEEEENSB_INSC_IfEEEEjNS9_4plusIvEEjEEDaPvRmT3_T4_T5_mT6_P12ihipStream_tbENKUlT_T0_E_clISt17integral_constantIbLb0EESV_IbLb1EEEEDaSR_SS_EUlSR_E0_NS1_11comp_targetILNS1_3genE0ELNS1_11target_archE4294967295ELNS1_3gpuE0ELNS1_3repE0EEENS1_30default_config_static_selectorELNS0_4arch9wavefront6targetE1EEEvT1_ ; -- Begin function _ZN7rocprim17ROCPRIM_400000_NS6detail17trampoline_kernelINS0_14default_configENS1_20scan_config_selectorIjEEZZNS1_9scan_implILNS1_25lookback_scan_determinismE0ELb0ELb0ES3_N6thrust23THRUST_200600_302600_NS6detail15normal_iteratorINS9_10device_ptrIjEEEENSB_INSC_IfEEEEjNS9_4plusIvEEjEEDaPvRmT3_T4_T5_mT6_P12ihipStream_tbENKUlT_T0_E_clISt17integral_constantIbLb0EESV_IbLb1EEEEDaSR_SS_EUlSR_E0_NS1_11comp_targetILNS1_3genE0ELNS1_11target_archE4294967295ELNS1_3gpuE0ELNS1_3repE0EEENS1_30default_config_static_selectorELNS0_4arch9wavefront6targetE1EEEvT1_
	.globl	_ZN7rocprim17ROCPRIM_400000_NS6detail17trampoline_kernelINS0_14default_configENS1_20scan_config_selectorIjEEZZNS1_9scan_implILNS1_25lookback_scan_determinismE0ELb0ELb0ES3_N6thrust23THRUST_200600_302600_NS6detail15normal_iteratorINS9_10device_ptrIjEEEENSB_INSC_IfEEEEjNS9_4plusIvEEjEEDaPvRmT3_T4_T5_mT6_P12ihipStream_tbENKUlT_T0_E_clISt17integral_constantIbLb0EESV_IbLb1EEEEDaSR_SS_EUlSR_E0_NS1_11comp_targetILNS1_3genE0ELNS1_11target_archE4294967295ELNS1_3gpuE0ELNS1_3repE0EEENS1_30default_config_static_selectorELNS0_4arch9wavefront6targetE1EEEvT1_
	.p2align	8
	.type	_ZN7rocprim17ROCPRIM_400000_NS6detail17trampoline_kernelINS0_14default_configENS1_20scan_config_selectorIjEEZZNS1_9scan_implILNS1_25lookback_scan_determinismE0ELb0ELb0ES3_N6thrust23THRUST_200600_302600_NS6detail15normal_iteratorINS9_10device_ptrIjEEEENSB_INSC_IfEEEEjNS9_4plusIvEEjEEDaPvRmT3_T4_T5_mT6_P12ihipStream_tbENKUlT_T0_E_clISt17integral_constantIbLb0EESV_IbLb1EEEEDaSR_SS_EUlSR_E0_NS1_11comp_targetILNS1_3genE0ELNS1_11target_archE4294967295ELNS1_3gpuE0ELNS1_3repE0EEENS1_30default_config_static_selectorELNS0_4arch9wavefront6targetE1EEEvT1_,@function
_ZN7rocprim17ROCPRIM_400000_NS6detail17trampoline_kernelINS0_14default_configENS1_20scan_config_selectorIjEEZZNS1_9scan_implILNS1_25lookback_scan_determinismE0ELb0ELb0ES3_N6thrust23THRUST_200600_302600_NS6detail15normal_iteratorINS9_10device_ptrIjEEEENSB_INSC_IfEEEEjNS9_4plusIvEEjEEDaPvRmT3_T4_T5_mT6_P12ihipStream_tbENKUlT_T0_E_clISt17integral_constantIbLb0EESV_IbLb1EEEEDaSR_SS_EUlSR_E0_NS1_11comp_targetILNS1_3genE0ELNS1_11target_archE4294967295ELNS1_3gpuE0ELNS1_3repE0EEENS1_30default_config_static_selectorELNS0_4arch9wavefront6targetE1EEEvT1_: ; @_ZN7rocprim17ROCPRIM_400000_NS6detail17trampoline_kernelINS0_14default_configENS1_20scan_config_selectorIjEEZZNS1_9scan_implILNS1_25lookback_scan_determinismE0ELb0ELb0ES3_N6thrust23THRUST_200600_302600_NS6detail15normal_iteratorINS9_10device_ptrIjEEEENSB_INSC_IfEEEEjNS9_4plusIvEEjEEDaPvRmT3_T4_T5_mT6_P12ihipStream_tbENKUlT_T0_E_clISt17integral_constantIbLb0EESV_IbLb1EEEEDaSR_SS_EUlSR_E0_NS1_11comp_targetILNS1_3genE0ELNS1_11target_archE4294967295ELNS1_3gpuE0ELNS1_3repE0EEENS1_30default_config_static_selectorELNS0_4arch9wavefront6targetE1EEEvT1_
; %bb.0:
	.section	.rodata,"a",@progbits
	.p2align	6, 0x0
	.amdhsa_kernel _ZN7rocprim17ROCPRIM_400000_NS6detail17trampoline_kernelINS0_14default_configENS1_20scan_config_selectorIjEEZZNS1_9scan_implILNS1_25lookback_scan_determinismE0ELb0ELb0ES3_N6thrust23THRUST_200600_302600_NS6detail15normal_iteratorINS9_10device_ptrIjEEEENSB_INSC_IfEEEEjNS9_4plusIvEEjEEDaPvRmT3_T4_T5_mT6_P12ihipStream_tbENKUlT_T0_E_clISt17integral_constantIbLb0EESV_IbLb1EEEEDaSR_SS_EUlSR_E0_NS1_11comp_targetILNS1_3genE0ELNS1_11target_archE4294967295ELNS1_3gpuE0ELNS1_3repE0EEENS1_30default_config_static_selectorELNS0_4arch9wavefront6targetE1EEEvT1_
		.amdhsa_group_segment_fixed_size 0
		.amdhsa_private_segment_fixed_size 0
		.amdhsa_kernarg_size 32
		.amdhsa_user_sgpr_count 6
		.amdhsa_user_sgpr_private_segment_buffer 1
		.amdhsa_user_sgpr_dispatch_ptr 0
		.amdhsa_user_sgpr_queue_ptr 0
		.amdhsa_user_sgpr_kernarg_segment_ptr 1
		.amdhsa_user_sgpr_dispatch_id 0
		.amdhsa_user_sgpr_flat_scratch_init 0
		.amdhsa_user_sgpr_kernarg_preload_length 0
		.amdhsa_user_sgpr_kernarg_preload_offset 0
		.amdhsa_user_sgpr_private_segment_size 0
		.amdhsa_uses_dynamic_stack 0
		.amdhsa_system_sgpr_private_segment_wavefront_offset 0
		.amdhsa_system_sgpr_workgroup_id_x 1
		.amdhsa_system_sgpr_workgroup_id_y 0
		.amdhsa_system_sgpr_workgroup_id_z 0
		.amdhsa_system_sgpr_workgroup_info 0
		.amdhsa_system_vgpr_workitem_id 0
		.amdhsa_next_free_vgpr 1
		.amdhsa_next_free_sgpr 0
		.amdhsa_accum_offset 4
		.amdhsa_reserve_vcc 0
		.amdhsa_reserve_flat_scratch 0
		.amdhsa_float_round_mode_32 0
		.amdhsa_float_round_mode_16_64 0
		.amdhsa_float_denorm_mode_32 3
		.amdhsa_float_denorm_mode_16_64 3
		.amdhsa_dx10_clamp 1
		.amdhsa_ieee_mode 1
		.amdhsa_fp16_overflow 0
		.amdhsa_tg_split 0
		.amdhsa_exception_fp_ieee_invalid_op 0
		.amdhsa_exception_fp_denorm_src 0
		.amdhsa_exception_fp_ieee_div_zero 0
		.amdhsa_exception_fp_ieee_overflow 0
		.amdhsa_exception_fp_ieee_underflow 0
		.amdhsa_exception_fp_ieee_inexact 0
		.amdhsa_exception_int_div_zero 0
	.end_amdhsa_kernel
	.section	.text._ZN7rocprim17ROCPRIM_400000_NS6detail17trampoline_kernelINS0_14default_configENS1_20scan_config_selectorIjEEZZNS1_9scan_implILNS1_25lookback_scan_determinismE0ELb0ELb0ES3_N6thrust23THRUST_200600_302600_NS6detail15normal_iteratorINS9_10device_ptrIjEEEENSB_INSC_IfEEEEjNS9_4plusIvEEjEEDaPvRmT3_T4_T5_mT6_P12ihipStream_tbENKUlT_T0_E_clISt17integral_constantIbLb0EESV_IbLb1EEEEDaSR_SS_EUlSR_E0_NS1_11comp_targetILNS1_3genE0ELNS1_11target_archE4294967295ELNS1_3gpuE0ELNS1_3repE0EEENS1_30default_config_static_selectorELNS0_4arch9wavefront6targetE1EEEvT1_,"axG",@progbits,_ZN7rocprim17ROCPRIM_400000_NS6detail17trampoline_kernelINS0_14default_configENS1_20scan_config_selectorIjEEZZNS1_9scan_implILNS1_25lookback_scan_determinismE0ELb0ELb0ES3_N6thrust23THRUST_200600_302600_NS6detail15normal_iteratorINS9_10device_ptrIjEEEENSB_INSC_IfEEEEjNS9_4plusIvEEjEEDaPvRmT3_T4_T5_mT6_P12ihipStream_tbENKUlT_T0_E_clISt17integral_constantIbLb0EESV_IbLb1EEEEDaSR_SS_EUlSR_E0_NS1_11comp_targetILNS1_3genE0ELNS1_11target_archE4294967295ELNS1_3gpuE0ELNS1_3repE0EEENS1_30default_config_static_selectorELNS0_4arch9wavefront6targetE1EEEvT1_,comdat
.Lfunc_end6078:
	.size	_ZN7rocprim17ROCPRIM_400000_NS6detail17trampoline_kernelINS0_14default_configENS1_20scan_config_selectorIjEEZZNS1_9scan_implILNS1_25lookback_scan_determinismE0ELb0ELb0ES3_N6thrust23THRUST_200600_302600_NS6detail15normal_iteratorINS9_10device_ptrIjEEEENSB_INSC_IfEEEEjNS9_4plusIvEEjEEDaPvRmT3_T4_T5_mT6_P12ihipStream_tbENKUlT_T0_E_clISt17integral_constantIbLb0EESV_IbLb1EEEEDaSR_SS_EUlSR_E0_NS1_11comp_targetILNS1_3genE0ELNS1_11target_archE4294967295ELNS1_3gpuE0ELNS1_3repE0EEENS1_30default_config_static_selectorELNS0_4arch9wavefront6targetE1EEEvT1_, .Lfunc_end6078-_ZN7rocprim17ROCPRIM_400000_NS6detail17trampoline_kernelINS0_14default_configENS1_20scan_config_selectorIjEEZZNS1_9scan_implILNS1_25lookback_scan_determinismE0ELb0ELb0ES3_N6thrust23THRUST_200600_302600_NS6detail15normal_iteratorINS9_10device_ptrIjEEEENSB_INSC_IfEEEEjNS9_4plusIvEEjEEDaPvRmT3_T4_T5_mT6_P12ihipStream_tbENKUlT_T0_E_clISt17integral_constantIbLb0EESV_IbLb1EEEEDaSR_SS_EUlSR_E0_NS1_11comp_targetILNS1_3genE0ELNS1_11target_archE4294967295ELNS1_3gpuE0ELNS1_3repE0EEENS1_30default_config_static_selectorELNS0_4arch9wavefront6targetE1EEEvT1_
                                        ; -- End function
	.section	.AMDGPU.csdata,"",@progbits
; Kernel info:
; codeLenInByte = 0
; NumSgprs: 4
; NumVgprs: 0
; NumAgprs: 0
; TotalNumVgprs: 0
; ScratchSize: 0
; MemoryBound: 0
; FloatMode: 240
; IeeeMode: 1
; LDSByteSize: 0 bytes/workgroup (compile time only)
; SGPRBlocks: 0
; VGPRBlocks: 0
; NumSGPRsForWavesPerEU: 4
; NumVGPRsForWavesPerEU: 1
; AccumOffset: 4
; Occupancy: 8
; WaveLimiterHint : 0
; COMPUTE_PGM_RSRC2:SCRATCH_EN: 0
; COMPUTE_PGM_RSRC2:USER_SGPR: 6
; COMPUTE_PGM_RSRC2:TRAP_HANDLER: 0
; COMPUTE_PGM_RSRC2:TGID_X_EN: 1
; COMPUTE_PGM_RSRC2:TGID_Y_EN: 0
; COMPUTE_PGM_RSRC2:TGID_Z_EN: 0
; COMPUTE_PGM_RSRC2:TIDIG_COMP_CNT: 0
; COMPUTE_PGM_RSRC3_GFX90A:ACCUM_OFFSET: 0
; COMPUTE_PGM_RSRC3_GFX90A:TG_SPLIT: 0
	.section	.text._ZN7rocprim17ROCPRIM_400000_NS6detail17trampoline_kernelINS0_14default_configENS1_20scan_config_selectorIjEEZZNS1_9scan_implILNS1_25lookback_scan_determinismE0ELb0ELb0ES3_N6thrust23THRUST_200600_302600_NS6detail15normal_iteratorINS9_10device_ptrIjEEEENSB_INSC_IfEEEEjNS9_4plusIvEEjEEDaPvRmT3_T4_T5_mT6_P12ihipStream_tbENKUlT_T0_E_clISt17integral_constantIbLb0EESV_IbLb1EEEEDaSR_SS_EUlSR_E0_NS1_11comp_targetILNS1_3genE5ELNS1_11target_archE942ELNS1_3gpuE9ELNS1_3repE0EEENS1_30default_config_static_selectorELNS0_4arch9wavefront6targetE1EEEvT1_,"axG",@progbits,_ZN7rocprim17ROCPRIM_400000_NS6detail17trampoline_kernelINS0_14default_configENS1_20scan_config_selectorIjEEZZNS1_9scan_implILNS1_25lookback_scan_determinismE0ELb0ELb0ES3_N6thrust23THRUST_200600_302600_NS6detail15normal_iteratorINS9_10device_ptrIjEEEENSB_INSC_IfEEEEjNS9_4plusIvEEjEEDaPvRmT3_T4_T5_mT6_P12ihipStream_tbENKUlT_T0_E_clISt17integral_constantIbLb0EESV_IbLb1EEEEDaSR_SS_EUlSR_E0_NS1_11comp_targetILNS1_3genE5ELNS1_11target_archE942ELNS1_3gpuE9ELNS1_3repE0EEENS1_30default_config_static_selectorELNS0_4arch9wavefront6targetE1EEEvT1_,comdat
	.protected	_ZN7rocprim17ROCPRIM_400000_NS6detail17trampoline_kernelINS0_14default_configENS1_20scan_config_selectorIjEEZZNS1_9scan_implILNS1_25lookback_scan_determinismE0ELb0ELb0ES3_N6thrust23THRUST_200600_302600_NS6detail15normal_iteratorINS9_10device_ptrIjEEEENSB_INSC_IfEEEEjNS9_4plusIvEEjEEDaPvRmT3_T4_T5_mT6_P12ihipStream_tbENKUlT_T0_E_clISt17integral_constantIbLb0EESV_IbLb1EEEEDaSR_SS_EUlSR_E0_NS1_11comp_targetILNS1_3genE5ELNS1_11target_archE942ELNS1_3gpuE9ELNS1_3repE0EEENS1_30default_config_static_selectorELNS0_4arch9wavefront6targetE1EEEvT1_ ; -- Begin function _ZN7rocprim17ROCPRIM_400000_NS6detail17trampoline_kernelINS0_14default_configENS1_20scan_config_selectorIjEEZZNS1_9scan_implILNS1_25lookback_scan_determinismE0ELb0ELb0ES3_N6thrust23THRUST_200600_302600_NS6detail15normal_iteratorINS9_10device_ptrIjEEEENSB_INSC_IfEEEEjNS9_4plusIvEEjEEDaPvRmT3_T4_T5_mT6_P12ihipStream_tbENKUlT_T0_E_clISt17integral_constantIbLb0EESV_IbLb1EEEEDaSR_SS_EUlSR_E0_NS1_11comp_targetILNS1_3genE5ELNS1_11target_archE942ELNS1_3gpuE9ELNS1_3repE0EEENS1_30default_config_static_selectorELNS0_4arch9wavefront6targetE1EEEvT1_
	.globl	_ZN7rocprim17ROCPRIM_400000_NS6detail17trampoline_kernelINS0_14default_configENS1_20scan_config_selectorIjEEZZNS1_9scan_implILNS1_25lookback_scan_determinismE0ELb0ELb0ES3_N6thrust23THRUST_200600_302600_NS6detail15normal_iteratorINS9_10device_ptrIjEEEENSB_INSC_IfEEEEjNS9_4plusIvEEjEEDaPvRmT3_T4_T5_mT6_P12ihipStream_tbENKUlT_T0_E_clISt17integral_constantIbLb0EESV_IbLb1EEEEDaSR_SS_EUlSR_E0_NS1_11comp_targetILNS1_3genE5ELNS1_11target_archE942ELNS1_3gpuE9ELNS1_3repE0EEENS1_30default_config_static_selectorELNS0_4arch9wavefront6targetE1EEEvT1_
	.p2align	8
	.type	_ZN7rocprim17ROCPRIM_400000_NS6detail17trampoline_kernelINS0_14default_configENS1_20scan_config_selectorIjEEZZNS1_9scan_implILNS1_25lookback_scan_determinismE0ELb0ELb0ES3_N6thrust23THRUST_200600_302600_NS6detail15normal_iteratorINS9_10device_ptrIjEEEENSB_INSC_IfEEEEjNS9_4plusIvEEjEEDaPvRmT3_T4_T5_mT6_P12ihipStream_tbENKUlT_T0_E_clISt17integral_constantIbLb0EESV_IbLb1EEEEDaSR_SS_EUlSR_E0_NS1_11comp_targetILNS1_3genE5ELNS1_11target_archE942ELNS1_3gpuE9ELNS1_3repE0EEENS1_30default_config_static_selectorELNS0_4arch9wavefront6targetE1EEEvT1_,@function
_ZN7rocprim17ROCPRIM_400000_NS6detail17trampoline_kernelINS0_14default_configENS1_20scan_config_selectorIjEEZZNS1_9scan_implILNS1_25lookback_scan_determinismE0ELb0ELb0ES3_N6thrust23THRUST_200600_302600_NS6detail15normal_iteratorINS9_10device_ptrIjEEEENSB_INSC_IfEEEEjNS9_4plusIvEEjEEDaPvRmT3_T4_T5_mT6_P12ihipStream_tbENKUlT_T0_E_clISt17integral_constantIbLb0EESV_IbLb1EEEEDaSR_SS_EUlSR_E0_NS1_11comp_targetILNS1_3genE5ELNS1_11target_archE942ELNS1_3gpuE9ELNS1_3repE0EEENS1_30default_config_static_selectorELNS0_4arch9wavefront6targetE1EEEvT1_: ; @_ZN7rocprim17ROCPRIM_400000_NS6detail17trampoline_kernelINS0_14default_configENS1_20scan_config_selectorIjEEZZNS1_9scan_implILNS1_25lookback_scan_determinismE0ELb0ELb0ES3_N6thrust23THRUST_200600_302600_NS6detail15normal_iteratorINS9_10device_ptrIjEEEENSB_INSC_IfEEEEjNS9_4plusIvEEjEEDaPvRmT3_T4_T5_mT6_P12ihipStream_tbENKUlT_T0_E_clISt17integral_constantIbLb0EESV_IbLb1EEEEDaSR_SS_EUlSR_E0_NS1_11comp_targetILNS1_3genE5ELNS1_11target_archE942ELNS1_3gpuE9ELNS1_3repE0EEENS1_30default_config_static_selectorELNS0_4arch9wavefront6targetE1EEEvT1_
; %bb.0:
	.section	.rodata,"a",@progbits
	.p2align	6, 0x0
	.amdhsa_kernel _ZN7rocprim17ROCPRIM_400000_NS6detail17trampoline_kernelINS0_14default_configENS1_20scan_config_selectorIjEEZZNS1_9scan_implILNS1_25lookback_scan_determinismE0ELb0ELb0ES3_N6thrust23THRUST_200600_302600_NS6detail15normal_iteratorINS9_10device_ptrIjEEEENSB_INSC_IfEEEEjNS9_4plusIvEEjEEDaPvRmT3_T4_T5_mT6_P12ihipStream_tbENKUlT_T0_E_clISt17integral_constantIbLb0EESV_IbLb1EEEEDaSR_SS_EUlSR_E0_NS1_11comp_targetILNS1_3genE5ELNS1_11target_archE942ELNS1_3gpuE9ELNS1_3repE0EEENS1_30default_config_static_selectorELNS0_4arch9wavefront6targetE1EEEvT1_
		.amdhsa_group_segment_fixed_size 0
		.amdhsa_private_segment_fixed_size 0
		.amdhsa_kernarg_size 32
		.amdhsa_user_sgpr_count 6
		.amdhsa_user_sgpr_private_segment_buffer 1
		.amdhsa_user_sgpr_dispatch_ptr 0
		.amdhsa_user_sgpr_queue_ptr 0
		.amdhsa_user_sgpr_kernarg_segment_ptr 1
		.amdhsa_user_sgpr_dispatch_id 0
		.amdhsa_user_sgpr_flat_scratch_init 0
		.amdhsa_user_sgpr_kernarg_preload_length 0
		.amdhsa_user_sgpr_kernarg_preload_offset 0
		.amdhsa_user_sgpr_private_segment_size 0
		.amdhsa_uses_dynamic_stack 0
		.amdhsa_system_sgpr_private_segment_wavefront_offset 0
		.amdhsa_system_sgpr_workgroup_id_x 1
		.amdhsa_system_sgpr_workgroup_id_y 0
		.amdhsa_system_sgpr_workgroup_id_z 0
		.amdhsa_system_sgpr_workgroup_info 0
		.amdhsa_system_vgpr_workitem_id 0
		.amdhsa_next_free_vgpr 1
		.amdhsa_next_free_sgpr 0
		.amdhsa_accum_offset 4
		.amdhsa_reserve_vcc 0
		.amdhsa_reserve_flat_scratch 0
		.amdhsa_float_round_mode_32 0
		.amdhsa_float_round_mode_16_64 0
		.amdhsa_float_denorm_mode_32 3
		.amdhsa_float_denorm_mode_16_64 3
		.amdhsa_dx10_clamp 1
		.amdhsa_ieee_mode 1
		.amdhsa_fp16_overflow 0
		.amdhsa_tg_split 0
		.amdhsa_exception_fp_ieee_invalid_op 0
		.amdhsa_exception_fp_denorm_src 0
		.amdhsa_exception_fp_ieee_div_zero 0
		.amdhsa_exception_fp_ieee_overflow 0
		.amdhsa_exception_fp_ieee_underflow 0
		.amdhsa_exception_fp_ieee_inexact 0
		.amdhsa_exception_int_div_zero 0
	.end_amdhsa_kernel
	.section	.text._ZN7rocprim17ROCPRIM_400000_NS6detail17trampoline_kernelINS0_14default_configENS1_20scan_config_selectorIjEEZZNS1_9scan_implILNS1_25lookback_scan_determinismE0ELb0ELb0ES3_N6thrust23THRUST_200600_302600_NS6detail15normal_iteratorINS9_10device_ptrIjEEEENSB_INSC_IfEEEEjNS9_4plusIvEEjEEDaPvRmT3_T4_T5_mT6_P12ihipStream_tbENKUlT_T0_E_clISt17integral_constantIbLb0EESV_IbLb1EEEEDaSR_SS_EUlSR_E0_NS1_11comp_targetILNS1_3genE5ELNS1_11target_archE942ELNS1_3gpuE9ELNS1_3repE0EEENS1_30default_config_static_selectorELNS0_4arch9wavefront6targetE1EEEvT1_,"axG",@progbits,_ZN7rocprim17ROCPRIM_400000_NS6detail17trampoline_kernelINS0_14default_configENS1_20scan_config_selectorIjEEZZNS1_9scan_implILNS1_25lookback_scan_determinismE0ELb0ELb0ES3_N6thrust23THRUST_200600_302600_NS6detail15normal_iteratorINS9_10device_ptrIjEEEENSB_INSC_IfEEEEjNS9_4plusIvEEjEEDaPvRmT3_T4_T5_mT6_P12ihipStream_tbENKUlT_T0_E_clISt17integral_constantIbLb0EESV_IbLb1EEEEDaSR_SS_EUlSR_E0_NS1_11comp_targetILNS1_3genE5ELNS1_11target_archE942ELNS1_3gpuE9ELNS1_3repE0EEENS1_30default_config_static_selectorELNS0_4arch9wavefront6targetE1EEEvT1_,comdat
.Lfunc_end6079:
	.size	_ZN7rocprim17ROCPRIM_400000_NS6detail17trampoline_kernelINS0_14default_configENS1_20scan_config_selectorIjEEZZNS1_9scan_implILNS1_25lookback_scan_determinismE0ELb0ELb0ES3_N6thrust23THRUST_200600_302600_NS6detail15normal_iteratorINS9_10device_ptrIjEEEENSB_INSC_IfEEEEjNS9_4plusIvEEjEEDaPvRmT3_T4_T5_mT6_P12ihipStream_tbENKUlT_T0_E_clISt17integral_constantIbLb0EESV_IbLb1EEEEDaSR_SS_EUlSR_E0_NS1_11comp_targetILNS1_3genE5ELNS1_11target_archE942ELNS1_3gpuE9ELNS1_3repE0EEENS1_30default_config_static_selectorELNS0_4arch9wavefront6targetE1EEEvT1_, .Lfunc_end6079-_ZN7rocprim17ROCPRIM_400000_NS6detail17trampoline_kernelINS0_14default_configENS1_20scan_config_selectorIjEEZZNS1_9scan_implILNS1_25lookback_scan_determinismE0ELb0ELb0ES3_N6thrust23THRUST_200600_302600_NS6detail15normal_iteratorINS9_10device_ptrIjEEEENSB_INSC_IfEEEEjNS9_4plusIvEEjEEDaPvRmT3_T4_T5_mT6_P12ihipStream_tbENKUlT_T0_E_clISt17integral_constantIbLb0EESV_IbLb1EEEEDaSR_SS_EUlSR_E0_NS1_11comp_targetILNS1_3genE5ELNS1_11target_archE942ELNS1_3gpuE9ELNS1_3repE0EEENS1_30default_config_static_selectorELNS0_4arch9wavefront6targetE1EEEvT1_
                                        ; -- End function
	.section	.AMDGPU.csdata,"",@progbits
; Kernel info:
; codeLenInByte = 0
; NumSgprs: 4
; NumVgprs: 0
; NumAgprs: 0
; TotalNumVgprs: 0
; ScratchSize: 0
; MemoryBound: 0
; FloatMode: 240
; IeeeMode: 1
; LDSByteSize: 0 bytes/workgroup (compile time only)
; SGPRBlocks: 0
; VGPRBlocks: 0
; NumSGPRsForWavesPerEU: 4
; NumVGPRsForWavesPerEU: 1
; AccumOffset: 4
; Occupancy: 8
; WaveLimiterHint : 0
; COMPUTE_PGM_RSRC2:SCRATCH_EN: 0
; COMPUTE_PGM_RSRC2:USER_SGPR: 6
; COMPUTE_PGM_RSRC2:TRAP_HANDLER: 0
; COMPUTE_PGM_RSRC2:TGID_X_EN: 1
; COMPUTE_PGM_RSRC2:TGID_Y_EN: 0
; COMPUTE_PGM_RSRC2:TGID_Z_EN: 0
; COMPUTE_PGM_RSRC2:TIDIG_COMP_CNT: 0
; COMPUTE_PGM_RSRC3_GFX90A:ACCUM_OFFSET: 0
; COMPUTE_PGM_RSRC3_GFX90A:TG_SPLIT: 0
	.section	.text._ZN7rocprim17ROCPRIM_400000_NS6detail17trampoline_kernelINS0_14default_configENS1_20scan_config_selectorIjEEZZNS1_9scan_implILNS1_25lookback_scan_determinismE0ELb0ELb0ES3_N6thrust23THRUST_200600_302600_NS6detail15normal_iteratorINS9_10device_ptrIjEEEENSB_INSC_IfEEEEjNS9_4plusIvEEjEEDaPvRmT3_T4_T5_mT6_P12ihipStream_tbENKUlT_T0_E_clISt17integral_constantIbLb0EESV_IbLb1EEEEDaSR_SS_EUlSR_E0_NS1_11comp_targetILNS1_3genE4ELNS1_11target_archE910ELNS1_3gpuE8ELNS1_3repE0EEENS1_30default_config_static_selectorELNS0_4arch9wavefront6targetE1EEEvT1_,"axG",@progbits,_ZN7rocprim17ROCPRIM_400000_NS6detail17trampoline_kernelINS0_14default_configENS1_20scan_config_selectorIjEEZZNS1_9scan_implILNS1_25lookback_scan_determinismE0ELb0ELb0ES3_N6thrust23THRUST_200600_302600_NS6detail15normal_iteratorINS9_10device_ptrIjEEEENSB_INSC_IfEEEEjNS9_4plusIvEEjEEDaPvRmT3_T4_T5_mT6_P12ihipStream_tbENKUlT_T0_E_clISt17integral_constantIbLb0EESV_IbLb1EEEEDaSR_SS_EUlSR_E0_NS1_11comp_targetILNS1_3genE4ELNS1_11target_archE910ELNS1_3gpuE8ELNS1_3repE0EEENS1_30default_config_static_selectorELNS0_4arch9wavefront6targetE1EEEvT1_,comdat
	.protected	_ZN7rocprim17ROCPRIM_400000_NS6detail17trampoline_kernelINS0_14default_configENS1_20scan_config_selectorIjEEZZNS1_9scan_implILNS1_25lookback_scan_determinismE0ELb0ELb0ES3_N6thrust23THRUST_200600_302600_NS6detail15normal_iteratorINS9_10device_ptrIjEEEENSB_INSC_IfEEEEjNS9_4plusIvEEjEEDaPvRmT3_T4_T5_mT6_P12ihipStream_tbENKUlT_T0_E_clISt17integral_constantIbLb0EESV_IbLb1EEEEDaSR_SS_EUlSR_E0_NS1_11comp_targetILNS1_3genE4ELNS1_11target_archE910ELNS1_3gpuE8ELNS1_3repE0EEENS1_30default_config_static_selectorELNS0_4arch9wavefront6targetE1EEEvT1_ ; -- Begin function _ZN7rocprim17ROCPRIM_400000_NS6detail17trampoline_kernelINS0_14default_configENS1_20scan_config_selectorIjEEZZNS1_9scan_implILNS1_25lookback_scan_determinismE0ELb0ELb0ES3_N6thrust23THRUST_200600_302600_NS6detail15normal_iteratorINS9_10device_ptrIjEEEENSB_INSC_IfEEEEjNS9_4plusIvEEjEEDaPvRmT3_T4_T5_mT6_P12ihipStream_tbENKUlT_T0_E_clISt17integral_constantIbLb0EESV_IbLb1EEEEDaSR_SS_EUlSR_E0_NS1_11comp_targetILNS1_3genE4ELNS1_11target_archE910ELNS1_3gpuE8ELNS1_3repE0EEENS1_30default_config_static_selectorELNS0_4arch9wavefront6targetE1EEEvT1_
	.globl	_ZN7rocprim17ROCPRIM_400000_NS6detail17trampoline_kernelINS0_14default_configENS1_20scan_config_selectorIjEEZZNS1_9scan_implILNS1_25lookback_scan_determinismE0ELb0ELb0ES3_N6thrust23THRUST_200600_302600_NS6detail15normal_iteratorINS9_10device_ptrIjEEEENSB_INSC_IfEEEEjNS9_4plusIvEEjEEDaPvRmT3_T4_T5_mT6_P12ihipStream_tbENKUlT_T0_E_clISt17integral_constantIbLb0EESV_IbLb1EEEEDaSR_SS_EUlSR_E0_NS1_11comp_targetILNS1_3genE4ELNS1_11target_archE910ELNS1_3gpuE8ELNS1_3repE0EEENS1_30default_config_static_selectorELNS0_4arch9wavefront6targetE1EEEvT1_
	.p2align	8
	.type	_ZN7rocprim17ROCPRIM_400000_NS6detail17trampoline_kernelINS0_14default_configENS1_20scan_config_selectorIjEEZZNS1_9scan_implILNS1_25lookback_scan_determinismE0ELb0ELb0ES3_N6thrust23THRUST_200600_302600_NS6detail15normal_iteratorINS9_10device_ptrIjEEEENSB_INSC_IfEEEEjNS9_4plusIvEEjEEDaPvRmT3_T4_T5_mT6_P12ihipStream_tbENKUlT_T0_E_clISt17integral_constantIbLb0EESV_IbLb1EEEEDaSR_SS_EUlSR_E0_NS1_11comp_targetILNS1_3genE4ELNS1_11target_archE910ELNS1_3gpuE8ELNS1_3repE0EEENS1_30default_config_static_selectorELNS0_4arch9wavefront6targetE1EEEvT1_,@function
_ZN7rocprim17ROCPRIM_400000_NS6detail17trampoline_kernelINS0_14default_configENS1_20scan_config_selectorIjEEZZNS1_9scan_implILNS1_25lookback_scan_determinismE0ELb0ELb0ES3_N6thrust23THRUST_200600_302600_NS6detail15normal_iteratorINS9_10device_ptrIjEEEENSB_INSC_IfEEEEjNS9_4plusIvEEjEEDaPvRmT3_T4_T5_mT6_P12ihipStream_tbENKUlT_T0_E_clISt17integral_constantIbLb0EESV_IbLb1EEEEDaSR_SS_EUlSR_E0_NS1_11comp_targetILNS1_3genE4ELNS1_11target_archE910ELNS1_3gpuE8ELNS1_3repE0EEENS1_30default_config_static_selectorELNS0_4arch9wavefront6targetE1EEEvT1_: ; @_ZN7rocprim17ROCPRIM_400000_NS6detail17trampoline_kernelINS0_14default_configENS1_20scan_config_selectorIjEEZZNS1_9scan_implILNS1_25lookback_scan_determinismE0ELb0ELb0ES3_N6thrust23THRUST_200600_302600_NS6detail15normal_iteratorINS9_10device_ptrIjEEEENSB_INSC_IfEEEEjNS9_4plusIvEEjEEDaPvRmT3_T4_T5_mT6_P12ihipStream_tbENKUlT_T0_E_clISt17integral_constantIbLb0EESV_IbLb1EEEEDaSR_SS_EUlSR_E0_NS1_11comp_targetILNS1_3genE4ELNS1_11target_archE910ELNS1_3gpuE8ELNS1_3repE0EEENS1_30default_config_static_selectorELNS0_4arch9wavefront6targetE1EEEvT1_
; %bb.0:
	s_load_dwordx4 s[20:23], s[4:5], 0x0
	v_lshlrev_b32_e32 v20, 2, v0
	s_waitcnt lgkmcnt(0)
	s_load_dword s23, s[20:21], 0x0
	v_cmp_gt_u32_e32 vcc, s22, v0
	s_waitcnt lgkmcnt(0)
	v_mov_b32_e32 v1, s23
	s_and_saveexec_b64 s[0:1], vcc
	s_cbranch_execz .LBB6080_2
; %bb.1:
	global_load_dword v1, v20, s[20:21]
.LBB6080_2:
	s_or_b64 exec, exec, s[0:1]
	v_or_b32_e32 v2, 0x80, v0
	v_cmp_gt_u32_e64 s[0:1], s22, v2
	v_mov_b32_e32 v2, s23
	s_and_saveexec_b64 s[2:3], s[0:1]
	s_cbranch_execz .LBB6080_4
; %bb.3:
	global_load_dword v2, v20, s[20:21] offset:512
.LBB6080_4:
	s_or_b64 exec, exec, s[2:3]
	v_or_b32_e32 v3, 0x100, v0
	v_cmp_gt_u32_e64 s[2:3], s22, v3
	v_mov_b32_e32 v3, s23
	s_and_saveexec_b64 s[6:7], s[2:3]
	s_cbranch_execz .LBB6080_6
; %bb.5:
	global_load_dword v3, v20, s[20:21] offset:1024
.LBB6080_6:
	;; [unrolled: 9-line block ×7, first 2 shown]
	s_or_b64 exec, exec, s[14:15]
	v_or_b32_e32 v10, 0x400, v0
	v_cmp_gt_u32_e64 s[14:15], s22, v10
	v_mov_b32_e32 v9, s23
	s_and_saveexec_b64 s[16:17], s[14:15]
	s_cbranch_execz .LBB6080_18
; %bb.17:
	v_lshlrev_b32_e32 v9, 2, v10
	global_load_dword v9, v9, s[20:21]
.LBB6080_18:
	s_or_b64 exec, exec, s[16:17]
	v_or_b32_e32 v11, 0x480, v0
	v_cmp_gt_u32_e64 s[16:17], s22, v11
	v_mov_b32_e32 v10, s23
	s_and_saveexec_b64 s[22:23], s[16:17]
	s_cbranch_execz .LBB6080_20
; %bb.19:
	v_lshlrev_b32_e32 v10, 2, v11
	global_load_dword v10, v10, s[20:21]
.LBB6080_20:
	s_or_b64 exec, exec, s[22:23]
	s_waitcnt vmcnt(0)
	ds_write2st64_b32 v20, v1, v2 offset1:2
	ds_write2st64_b32 v20, v3, v4 offset0:4 offset1:6
	ds_write2st64_b32 v20, v5, v6 offset0:8 offset1:10
	;; [unrolled: 1-line block ×4, first 2 shown]
	v_mad_u32_u24 v1, v0, 36, v20
	s_waitcnt lgkmcnt(0)
	s_barrier
	ds_read2_b64 v[6:9], v1 offset1:1
	ds_read2_b64 v[2:5], v1 offset0:2 offset1:3
	ds_read_b64 v[18:19], v1 offset:32
	v_lshrrev_b32_e32 v21, 3, v0
	v_and_b32_e32 v21, 12, v21
	s_waitcnt lgkmcnt(2)
	v_add_u32_e32 v1, v7, v6
	v_add_u32_e32 v14, v1, v8
	;; [unrolled: 1-line block ×3, first 2 shown]
	s_waitcnt lgkmcnt(1)
	v_add_u32_e32 v10, v15, v2
	v_add_u32_e32 v11, v10, v3
	;; [unrolled: 1-line block ×4, first 2 shown]
	s_waitcnt lgkmcnt(0)
	v_add_u32_e32 v16, v13, v18
	v_add_u32_e32 v17, v16, v19
	;; [unrolled: 1-line block ×3, first 2 shown]
	v_cmp_gt_u32_e64 s[20:21], 64, v0
	s_barrier
	ds_write_b32 v21, v17
	s_waitcnt lgkmcnt(0)
	s_barrier
	s_and_saveexec_b64 s[22:23], s[20:21]
	s_cbranch_execz .LBB6080_22
; %bb.21:
	v_lshlrev_b32_e32 v21, 1, v0
	v_lshrrev_b32_e32 v22, 4, v0
	v_add_lshl_u32 v21, v22, v21, 2
	ds_read2_b32 v[22:23], v21 offset1:1
	v_mbcnt_lo_u32_b32 v24, -1, 0
	v_mbcnt_hi_u32_b32 v24, -1, v24
	v_and_b32_e32 v25, 15, v24
	v_cmp_ne_u32_e64 s[20:21], 0, v25
	s_waitcnt lgkmcnt(0)
	v_add_u32_e32 v23, v23, v22
	; wave barrier
	s_nop 1
	v_mov_b32_dpp v26, v23 row_shr:1 row_mask:0xf bank_mask:0xf
	v_cndmask_b32_e64 v26, 0, v26, s[20:21]
	v_add_u32_e32 v23, v26, v23
	v_cmp_lt_u32_e64 s[20:21], 1, v25
	s_nop 0
	v_mov_b32_dpp v26, v23 row_shr:2 row_mask:0xf bank_mask:0xf
	v_cndmask_b32_e64 v26, 0, v26, s[20:21]
	v_add_u32_e32 v23, v23, v26
	v_cmp_lt_u32_e64 s[20:21], 3, v25
	;; [unrolled: 5-line block ×3, first 2 shown]
	s_nop 0
	v_mov_b32_dpp v26, v23 row_shr:8 row_mask:0xf bank_mask:0xf
	v_cndmask_b32_e64 v25, 0, v26, s[20:21]
	v_add_u32_e32 v23, v23, v25
	v_bfe_i32 v26, v24, 4, 1
	v_cmp_lt_u32_e64 s[20:21], 31, v24
	v_mov_b32_dpp v25, v23 row_bcast:15 row_mask:0xf bank_mask:0xf
	v_and_b32_e32 v25, v26, v25
	v_add_u32_e32 v23, v23, v25
	v_and_b32_e32 v26, 64, v24
	s_nop 0
	v_mov_b32_dpp v25, v23 row_bcast:31 row_mask:0xf bank_mask:0xf
	v_cndmask_b32_e64 v25, 0, v25, s[20:21]
	v_add_u32_e32 v23, v23, v25
	v_add_u32_e32 v25, -1, v24
	v_cmp_lt_i32_e64 s[20:21], v25, v26
	v_cndmask_b32_e64 v24, v25, v24, s[20:21]
	v_lshlrev_b32_e32 v24, 2, v24
	ds_bpermute_b32 v23, v24, v23
	v_cmp_eq_u32_e64 s[20:21], 0, v0
	s_waitcnt lgkmcnt(0)
	v_add_u32_e32 v22, v23, v22
	v_cndmask_b32_e64 v22, v22, v17, s[20:21]
	ds_write_b32 v21, v22
	; wave barrier
	ds_read_b32 v23, v21 offset:4
	s_waitcnt lgkmcnt(0)
	v_add_u32_e32 v22, v23, v22
	ds_write_b32 v21, v22 offset:4
.LBB6080_22:
	s_or_b64 exec, exec, s[22:23]
	s_load_dwordx2 s[20:21], s[4:5], 0x18
	v_cmp_ne_u32_e64 s[4:5], 0, v0
	v_mov_b32_e32 v22, v17
	s_waitcnt lgkmcnt(0)
	s_barrier
	s_and_saveexec_b64 s[22:23], s[4:5]
	s_cbranch_execz .LBB6080_24
; %bb.23:
	v_add_u32_e32 v21, -1, v0
	v_lshrrev_b32_e32 v22, 5, v21
	v_add_lshl_u32 v21, v22, v21, 2
	ds_read_b32 v22, v21
.LBB6080_24:
	s_or_b64 exec, exec, s[22:23]
	v_mul_u32_u24_e32 v21, 36, v0
	v_mov_b32_e32 v0, v6
	s_and_saveexec_b64 s[22:23], s[4:5]
	s_cbranch_execz .LBB6080_26
; %bb.25:
	s_waitcnt lgkmcnt(0)
	v_add_u32_e32 v0, v22, v6
	v_add_u32_e32 v1, v0, v7
	;; [unrolled: 1-line block ×10, first 2 shown]
	;;#ASMSTART
	;;#ASMEND
.LBB6080_26:
	s_or_b64 exec, exec, s[22:23]
	v_add_u32_e32 v2, v20, v21
	s_waitcnt lgkmcnt(0)
	s_barrier
	ds_write2_b64 v2, v[0:1], v[14:15] offset1:1
	ds_write2_b64 v2, v[10:11], v[12:13] offset0:2 offset1:3
	ds_write_b64 v2, v[16:17] offset:32
	s_waitcnt lgkmcnt(0)
	s_barrier
	ds_read2st64_b32 v[8:9], v20 offset0:2 offset1:4
	ds_read2st64_b32 v[6:7], v20 offset0:6 offset1:8
	;; [unrolled: 1-line block ×4, first 2 shown]
	ds_read_b32 v10, v20 offset:4608
	v_mov_b32_e32 v1, s21
	v_add_co_u32_e64 v0, s[4:5], s20, v20
	v_addc_co_u32_e64 v1, s[4:5], 0, v1, s[4:5]
	s_and_saveexec_b64 s[4:5], vcc
	s_cbranch_execnz .LBB6080_37
; %bb.27:
	s_or_b64 exec, exec, s[4:5]
	s_and_saveexec_b64 s[4:5], s[0:1]
	s_cbranch_execnz .LBB6080_38
.LBB6080_28:
	s_or_b64 exec, exec, s[4:5]
	s_and_saveexec_b64 s[0:1], s[2:3]
	s_cbranch_execnz .LBB6080_39
.LBB6080_29:
	s_or_b64 exec, exec, s[0:1]
	s_and_saveexec_b64 s[0:1], s[18:19]
	s_cbranch_execnz .LBB6080_40
.LBB6080_30:
	s_or_b64 exec, exec, s[0:1]
	s_and_saveexec_b64 s[0:1], s[6:7]
	s_cbranch_execnz .LBB6080_41
.LBB6080_31:
	s_or_b64 exec, exec, s[0:1]
	s_and_saveexec_b64 s[0:1], s[8:9]
	s_cbranch_execnz .LBB6080_42
.LBB6080_32:
	s_or_b64 exec, exec, s[0:1]
	s_and_saveexec_b64 s[0:1], s[10:11]
	s_cbranch_execnz .LBB6080_43
.LBB6080_33:
	s_or_b64 exec, exec, s[0:1]
	s_and_saveexec_b64 s[0:1], s[12:13]
	s_cbranch_execnz .LBB6080_44
.LBB6080_34:
	s_or_b64 exec, exec, s[0:1]
	s_and_saveexec_b64 s[0:1], s[14:15]
	s_cbranch_execnz .LBB6080_45
.LBB6080_35:
	s_or_b64 exec, exec, s[0:1]
	s_and_saveexec_b64 s[0:1], s[16:17]
	s_cbranch_execnz .LBB6080_46
.LBB6080_36:
	s_endpgm
.LBB6080_37:
	ds_read_b32 v11, v20
	s_waitcnt lgkmcnt(0)
	v_cvt_f32_u32_e32 v11, v11
	global_store_dword v[0:1], v11, off
	s_or_b64 exec, exec, s[4:5]
	s_and_saveexec_b64 s[4:5], s[0:1]
	s_cbranch_execz .LBB6080_28
.LBB6080_38:
	s_waitcnt lgkmcnt(4)
	v_cvt_f32_u32_e32 v8, v8
	global_store_dword v[0:1], v8, off offset:512
	s_or_b64 exec, exec, s[4:5]
	s_and_saveexec_b64 s[0:1], s[2:3]
	s_cbranch_execz .LBB6080_29
.LBB6080_39:
	s_waitcnt lgkmcnt(4)
	v_cvt_f32_u32_e32 v8, v9
	global_store_dword v[0:1], v8, off offset:1024
	s_or_b64 exec, exec, s[0:1]
	s_and_saveexec_b64 s[0:1], s[18:19]
	s_cbranch_execz .LBB6080_30
.LBB6080_40:
	s_waitcnt lgkmcnt(3)
	v_cvt_f32_u32_e32 v6, v6
	global_store_dword v[0:1], v6, off offset:1536
	s_or_b64 exec, exec, s[0:1]
	s_and_saveexec_b64 s[0:1], s[6:7]
	s_cbranch_execz .LBB6080_31
.LBB6080_41:
	s_waitcnt lgkmcnt(3)
	v_cvt_f32_u32_e32 v6, v7
	global_store_dword v[0:1], v6, off offset:2048
	s_or_b64 exec, exec, s[0:1]
	s_and_saveexec_b64 s[0:1], s[8:9]
	s_cbranch_execz .LBB6080_32
.LBB6080_42:
	s_waitcnt lgkmcnt(2)
	v_cvt_f32_u32_e32 v4, v4
	global_store_dword v[0:1], v4, off offset:2560
	s_or_b64 exec, exec, s[0:1]
	s_and_saveexec_b64 s[0:1], s[10:11]
	s_cbranch_execz .LBB6080_33
.LBB6080_43:
	s_waitcnt lgkmcnt(2)
	v_cvt_f32_u32_e32 v4, v5
	global_store_dword v[0:1], v4, off offset:3072
	s_or_b64 exec, exec, s[0:1]
	s_and_saveexec_b64 s[0:1], s[12:13]
	s_cbranch_execz .LBB6080_34
.LBB6080_44:
	s_waitcnt lgkmcnt(1)
	v_cvt_f32_u32_e32 v2, v2
	global_store_dword v[0:1], v2, off offset:3584
	s_or_b64 exec, exec, s[0:1]
	s_and_saveexec_b64 s[0:1], s[14:15]
	s_cbranch_execz .LBB6080_35
.LBB6080_45:
	s_waitcnt lgkmcnt(1)
	v_cvt_f32_u32_e32 v4, v3
	v_add_co_u32_e32 v2, vcc, 0x1000, v0
	v_addc_co_u32_e32 v3, vcc, 0, v1, vcc
	global_store_dword v[2:3], v4, off
	s_or_b64 exec, exec, s[0:1]
	s_and_saveexec_b64 s[0:1], s[16:17]
	s_cbranch_execz .LBB6080_36
.LBB6080_46:
	s_waitcnt lgkmcnt(0)
	v_cvt_f32_u32_e32 v2, v10
	v_add_co_u32_e32 v0, vcc, 0x1000, v0
	v_addc_co_u32_e32 v1, vcc, 0, v1, vcc
	global_store_dword v[0:1], v2, off offset:512
	s_endpgm
	.section	.rodata,"a",@progbits
	.p2align	6, 0x0
	.amdhsa_kernel _ZN7rocprim17ROCPRIM_400000_NS6detail17trampoline_kernelINS0_14default_configENS1_20scan_config_selectorIjEEZZNS1_9scan_implILNS1_25lookback_scan_determinismE0ELb0ELb0ES3_N6thrust23THRUST_200600_302600_NS6detail15normal_iteratorINS9_10device_ptrIjEEEENSB_INSC_IfEEEEjNS9_4plusIvEEjEEDaPvRmT3_T4_T5_mT6_P12ihipStream_tbENKUlT_T0_E_clISt17integral_constantIbLb0EESV_IbLb1EEEEDaSR_SS_EUlSR_E0_NS1_11comp_targetILNS1_3genE4ELNS1_11target_archE910ELNS1_3gpuE8ELNS1_3repE0EEENS1_30default_config_static_selectorELNS0_4arch9wavefront6targetE1EEEvT1_
		.amdhsa_group_segment_fixed_size 5120
		.amdhsa_private_segment_fixed_size 0
		.amdhsa_kernarg_size 32
		.amdhsa_user_sgpr_count 6
		.amdhsa_user_sgpr_private_segment_buffer 1
		.amdhsa_user_sgpr_dispatch_ptr 0
		.amdhsa_user_sgpr_queue_ptr 0
		.amdhsa_user_sgpr_kernarg_segment_ptr 1
		.amdhsa_user_sgpr_dispatch_id 0
		.amdhsa_user_sgpr_flat_scratch_init 0
		.amdhsa_user_sgpr_kernarg_preload_length 0
		.amdhsa_user_sgpr_kernarg_preload_offset 0
		.amdhsa_user_sgpr_private_segment_size 0
		.amdhsa_uses_dynamic_stack 0
		.amdhsa_system_sgpr_private_segment_wavefront_offset 0
		.amdhsa_system_sgpr_workgroup_id_x 1
		.amdhsa_system_sgpr_workgroup_id_y 0
		.amdhsa_system_sgpr_workgroup_id_z 0
		.amdhsa_system_sgpr_workgroup_info 0
		.amdhsa_system_vgpr_workitem_id 0
		.amdhsa_next_free_vgpr 27
		.amdhsa_next_free_sgpr 24
		.amdhsa_accum_offset 28
		.amdhsa_reserve_vcc 1
		.amdhsa_reserve_flat_scratch 0
		.amdhsa_float_round_mode_32 0
		.amdhsa_float_round_mode_16_64 0
		.amdhsa_float_denorm_mode_32 3
		.amdhsa_float_denorm_mode_16_64 3
		.amdhsa_dx10_clamp 1
		.amdhsa_ieee_mode 1
		.amdhsa_fp16_overflow 0
		.amdhsa_tg_split 0
		.amdhsa_exception_fp_ieee_invalid_op 0
		.amdhsa_exception_fp_denorm_src 0
		.amdhsa_exception_fp_ieee_div_zero 0
		.amdhsa_exception_fp_ieee_overflow 0
		.amdhsa_exception_fp_ieee_underflow 0
		.amdhsa_exception_fp_ieee_inexact 0
		.amdhsa_exception_int_div_zero 0
	.end_amdhsa_kernel
	.section	.text._ZN7rocprim17ROCPRIM_400000_NS6detail17trampoline_kernelINS0_14default_configENS1_20scan_config_selectorIjEEZZNS1_9scan_implILNS1_25lookback_scan_determinismE0ELb0ELb0ES3_N6thrust23THRUST_200600_302600_NS6detail15normal_iteratorINS9_10device_ptrIjEEEENSB_INSC_IfEEEEjNS9_4plusIvEEjEEDaPvRmT3_T4_T5_mT6_P12ihipStream_tbENKUlT_T0_E_clISt17integral_constantIbLb0EESV_IbLb1EEEEDaSR_SS_EUlSR_E0_NS1_11comp_targetILNS1_3genE4ELNS1_11target_archE910ELNS1_3gpuE8ELNS1_3repE0EEENS1_30default_config_static_selectorELNS0_4arch9wavefront6targetE1EEEvT1_,"axG",@progbits,_ZN7rocprim17ROCPRIM_400000_NS6detail17trampoline_kernelINS0_14default_configENS1_20scan_config_selectorIjEEZZNS1_9scan_implILNS1_25lookback_scan_determinismE0ELb0ELb0ES3_N6thrust23THRUST_200600_302600_NS6detail15normal_iteratorINS9_10device_ptrIjEEEENSB_INSC_IfEEEEjNS9_4plusIvEEjEEDaPvRmT3_T4_T5_mT6_P12ihipStream_tbENKUlT_T0_E_clISt17integral_constantIbLb0EESV_IbLb1EEEEDaSR_SS_EUlSR_E0_NS1_11comp_targetILNS1_3genE4ELNS1_11target_archE910ELNS1_3gpuE8ELNS1_3repE0EEENS1_30default_config_static_selectorELNS0_4arch9wavefront6targetE1EEEvT1_,comdat
.Lfunc_end6080:
	.size	_ZN7rocprim17ROCPRIM_400000_NS6detail17trampoline_kernelINS0_14default_configENS1_20scan_config_selectorIjEEZZNS1_9scan_implILNS1_25lookback_scan_determinismE0ELb0ELb0ES3_N6thrust23THRUST_200600_302600_NS6detail15normal_iteratorINS9_10device_ptrIjEEEENSB_INSC_IfEEEEjNS9_4plusIvEEjEEDaPvRmT3_T4_T5_mT6_P12ihipStream_tbENKUlT_T0_E_clISt17integral_constantIbLb0EESV_IbLb1EEEEDaSR_SS_EUlSR_E0_NS1_11comp_targetILNS1_3genE4ELNS1_11target_archE910ELNS1_3gpuE8ELNS1_3repE0EEENS1_30default_config_static_selectorELNS0_4arch9wavefront6targetE1EEEvT1_, .Lfunc_end6080-_ZN7rocprim17ROCPRIM_400000_NS6detail17trampoline_kernelINS0_14default_configENS1_20scan_config_selectorIjEEZZNS1_9scan_implILNS1_25lookback_scan_determinismE0ELb0ELb0ES3_N6thrust23THRUST_200600_302600_NS6detail15normal_iteratorINS9_10device_ptrIjEEEENSB_INSC_IfEEEEjNS9_4plusIvEEjEEDaPvRmT3_T4_T5_mT6_P12ihipStream_tbENKUlT_T0_E_clISt17integral_constantIbLb0EESV_IbLb1EEEEDaSR_SS_EUlSR_E0_NS1_11comp_targetILNS1_3genE4ELNS1_11target_archE910ELNS1_3gpuE8ELNS1_3repE0EEENS1_30default_config_static_selectorELNS0_4arch9wavefront6targetE1EEEvT1_
                                        ; -- End function
	.section	.AMDGPU.csdata,"",@progbits
; Kernel info:
; codeLenInByte = 1592
; NumSgprs: 28
; NumVgprs: 27
; NumAgprs: 0
; TotalNumVgprs: 27
; ScratchSize: 0
; MemoryBound: 0
; FloatMode: 240
; IeeeMode: 1
; LDSByteSize: 5120 bytes/workgroup (compile time only)
; SGPRBlocks: 3
; VGPRBlocks: 3
; NumSGPRsForWavesPerEU: 28
; NumVGPRsForWavesPerEU: 27
; AccumOffset: 28
; Occupancy: 6
; WaveLimiterHint : 0
; COMPUTE_PGM_RSRC2:SCRATCH_EN: 0
; COMPUTE_PGM_RSRC2:USER_SGPR: 6
; COMPUTE_PGM_RSRC2:TRAP_HANDLER: 0
; COMPUTE_PGM_RSRC2:TGID_X_EN: 1
; COMPUTE_PGM_RSRC2:TGID_Y_EN: 0
; COMPUTE_PGM_RSRC2:TGID_Z_EN: 0
; COMPUTE_PGM_RSRC2:TIDIG_COMP_CNT: 0
; COMPUTE_PGM_RSRC3_GFX90A:ACCUM_OFFSET: 6
; COMPUTE_PGM_RSRC3_GFX90A:TG_SPLIT: 0
	.section	.text._ZN7rocprim17ROCPRIM_400000_NS6detail17trampoline_kernelINS0_14default_configENS1_20scan_config_selectorIjEEZZNS1_9scan_implILNS1_25lookback_scan_determinismE0ELb0ELb0ES3_N6thrust23THRUST_200600_302600_NS6detail15normal_iteratorINS9_10device_ptrIjEEEENSB_INSC_IfEEEEjNS9_4plusIvEEjEEDaPvRmT3_T4_T5_mT6_P12ihipStream_tbENKUlT_T0_E_clISt17integral_constantIbLb0EESV_IbLb1EEEEDaSR_SS_EUlSR_E0_NS1_11comp_targetILNS1_3genE3ELNS1_11target_archE908ELNS1_3gpuE7ELNS1_3repE0EEENS1_30default_config_static_selectorELNS0_4arch9wavefront6targetE1EEEvT1_,"axG",@progbits,_ZN7rocprim17ROCPRIM_400000_NS6detail17trampoline_kernelINS0_14default_configENS1_20scan_config_selectorIjEEZZNS1_9scan_implILNS1_25lookback_scan_determinismE0ELb0ELb0ES3_N6thrust23THRUST_200600_302600_NS6detail15normal_iteratorINS9_10device_ptrIjEEEENSB_INSC_IfEEEEjNS9_4plusIvEEjEEDaPvRmT3_T4_T5_mT6_P12ihipStream_tbENKUlT_T0_E_clISt17integral_constantIbLb0EESV_IbLb1EEEEDaSR_SS_EUlSR_E0_NS1_11comp_targetILNS1_3genE3ELNS1_11target_archE908ELNS1_3gpuE7ELNS1_3repE0EEENS1_30default_config_static_selectorELNS0_4arch9wavefront6targetE1EEEvT1_,comdat
	.protected	_ZN7rocprim17ROCPRIM_400000_NS6detail17trampoline_kernelINS0_14default_configENS1_20scan_config_selectorIjEEZZNS1_9scan_implILNS1_25lookback_scan_determinismE0ELb0ELb0ES3_N6thrust23THRUST_200600_302600_NS6detail15normal_iteratorINS9_10device_ptrIjEEEENSB_INSC_IfEEEEjNS9_4plusIvEEjEEDaPvRmT3_T4_T5_mT6_P12ihipStream_tbENKUlT_T0_E_clISt17integral_constantIbLb0EESV_IbLb1EEEEDaSR_SS_EUlSR_E0_NS1_11comp_targetILNS1_3genE3ELNS1_11target_archE908ELNS1_3gpuE7ELNS1_3repE0EEENS1_30default_config_static_selectorELNS0_4arch9wavefront6targetE1EEEvT1_ ; -- Begin function _ZN7rocprim17ROCPRIM_400000_NS6detail17trampoline_kernelINS0_14default_configENS1_20scan_config_selectorIjEEZZNS1_9scan_implILNS1_25lookback_scan_determinismE0ELb0ELb0ES3_N6thrust23THRUST_200600_302600_NS6detail15normal_iteratorINS9_10device_ptrIjEEEENSB_INSC_IfEEEEjNS9_4plusIvEEjEEDaPvRmT3_T4_T5_mT6_P12ihipStream_tbENKUlT_T0_E_clISt17integral_constantIbLb0EESV_IbLb1EEEEDaSR_SS_EUlSR_E0_NS1_11comp_targetILNS1_3genE3ELNS1_11target_archE908ELNS1_3gpuE7ELNS1_3repE0EEENS1_30default_config_static_selectorELNS0_4arch9wavefront6targetE1EEEvT1_
	.globl	_ZN7rocprim17ROCPRIM_400000_NS6detail17trampoline_kernelINS0_14default_configENS1_20scan_config_selectorIjEEZZNS1_9scan_implILNS1_25lookback_scan_determinismE0ELb0ELb0ES3_N6thrust23THRUST_200600_302600_NS6detail15normal_iteratorINS9_10device_ptrIjEEEENSB_INSC_IfEEEEjNS9_4plusIvEEjEEDaPvRmT3_T4_T5_mT6_P12ihipStream_tbENKUlT_T0_E_clISt17integral_constantIbLb0EESV_IbLb1EEEEDaSR_SS_EUlSR_E0_NS1_11comp_targetILNS1_3genE3ELNS1_11target_archE908ELNS1_3gpuE7ELNS1_3repE0EEENS1_30default_config_static_selectorELNS0_4arch9wavefront6targetE1EEEvT1_
	.p2align	8
	.type	_ZN7rocprim17ROCPRIM_400000_NS6detail17trampoline_kernelINS0_14default_configENS1_20scan_config_selectorIjEEZZNS1_9scan_implILNS1_25lookback_scan_determinismE0ELb0ELb0ES3_N6thrust23THRUST_200600_302600_NS6detail15normal_iteratorINS9_10device_ptrIjEEEENSB_INSC_IfEEEEjNS9_4plusIvEEjEEDaPvRmT3_T4_T5_mT6_P12ihipStream_tbENKUlT_T0_E_clISt17integral_constantIbLb0EESV_IbLb1EEEEDaSR_SS_EUlSR_E0_NS1_11comp_targetILNS1_3genE3ELNS1_11target_archE908ELNS1_3gpuE7ELNS1_3repE0EEENS1_30default_config_static_selectorELNS0_4arch9wavefront6targetE1EEEvT1_,@function
_ZN7rocprim17ROCPRIM_400000_NS6detail17trampoline_kernelINS0_14default_configENS1_20scan_config_selectorIjEEZZNS1_9scan_implILNS1_25lookback_scan_determinismE0ELb0ELb0ES3_N6thrust23THRUST_200600_302600_NS6detail15normal_iteratorINS9_10device_ptrIjEEEENSB_INSC_IfEEEEjNS9_4plusIvEEjEEDaPvRmT3_T4_T5_mT6_P12ihipStream_tbENKUlT_T0_E_clISt17integral_constantIbLb0EESV_IbLb1EEEEDaSR_SS_EUlSR_E0_NS1_11comp_targetILNS1_3genE3ELNS1_11target_archE908ELNS1_3gpuE7ELNS1_3repE0EEENS1_30default_config_static_selectorELNS0_4arch9wavefront6targetE1EEEvT1_: ; @_ZN7rocprim17ROCPRIM_400000_NS6detail17trampoline_kernelINS0_14default_configENS1_20scan_config_selectorIjEEZZNS1_9scan_implILNS1_25lookback_scan_determinismE0ELb0ELb0ES3_N6thrust23THRUST_200600_302600_NS6detail15normal_iteratorINS9_10device_ptrIjEEEENSB_INSC_IfEEEEjNS9_4plusIvEEjEEDaPvRmT3_T4_T5_mT6_P12ihipStream_tbENKUlT_T0_E_clISt17integral_constantIbLb0EESV_IbLb1EEEEDaSR_SS_EUlSR_E0_NS1_11comp_targetILNS1_3genE3ELNS1_11target_archE908ELNS1_3gpuE7ELNS1_3repE0EEENS1_30default_config_static_selectorELNS0_4arch9wavefront6targetE1EEEvT1_
; %bb.0:
	.section	.rodata,"a",@progbits
	.p2align	6, 0x0
	.amdhsa_kernel _ZN7rocprim17ROCPRIM_400000_NS6detail17trampoline_kernelINS0_14default_configENS1_20scan_config_selectorIjEEZZNS1_9scan_implILNS1_25lookback_scan_determinismE0ELb0ELb0ES3_N6thrust23THRUST_200600_302600_NS6detail15normal_iteratorINS9_10device_ptrIjEEEENSB_INSC_IfEEEEjNS9_4plusIvEEjEEDaPvRmT3_T4_T5_mT6_P12ihipStream_tbENKUlT_T0_E_clISt17integral_constantIbLb0EESV_IbLb1EEEEDaSR_SS_EUlSR_E0_NS1_11comp_targetILNS1_3genE3ELNS1_11target_archE908ELNS1_3gpuE7ELNS1_3repE0EEENS1_30default_config_static_selectorELNS0_4arch9wavefront6targetE1EEEvT1_
		.amdhsa_group_segment_fixed_size 0
		.amdhsa_private_segment_fixed_size 0
		.amdhsa_kernarg_size 32
		.amdhsa_user_sgpr_count 6
		.amdhsa_user_sgpr_private_segment_buffer 1
		.amdhsa_user_sgpr_dispatch_ptr 0
		.amdhsa_user_sgpr_queue_ptr 0
		.amdhsa_user_sgpr_kernarg_segment_ptr 1
		.amdhsa_user_sgpr_dispatch_id 0
		.amdhsa_user_sgpr_flat_scratch_init 0
		.amdhsa_user_sgpr_kernarg_preload_length 0
		.amdhsa_user_sgpr_kernarg_preload_offset 0
		.amdhsa_user_sgpr_private_segment_size 0
		.amdhsa_uses_dynamic_stack 0
		.amdhsa_system_sgpr_private_segment_wavefront_offset 0
		.amdhsa_system_sgpr_workgroup_id_x 1
		.amdhsa_system_sgpr_workgroup_id_y 0
		.amdhsa_system_sgpr_workgroup_id_z 0
		.amdhsa_system_sgpr_workgroup_info 0
		.amdhsa_system_vgpr_workitem_id 0
		.amdhsa_next_free_vgpr 1
		.amdhsa_next_free_sgpr 0
		.amdhsa_accum_offset 4
		.amdhsa_reserve_vcc 0
		.amdhsa_reserve_flat_scratch 0
		.amdhsa_float_round_mode_32 0
		.amdhsa_float_round_mode_16_64 0
		.amdhsa_float_denorm_mode_32 3
		.amdhsa_float_denorm_mode_16_64 3
		.amdhsa_dx10_clamp 1
		.amdhsa_ieee_mode 1
		.amdhsa_fp16_overflow 0
		.amdhsa_tg_split 0
		.amdhsa_exception_fp_ieee_invalid_op 0
		.amdhsa_exception_fp_denorm_src 0
		.amdhsa_exception_fp_ieee_div_zero 0
		.amdhsa_exception_fp_ieee_overflow 0
		.amdhsa_exception_fp_ieee_underflow 0
		.amdhsa_exception_fp_ieee_inexact 0
		.amdhsa_exception_int_div_zero 0
	.end_amdhsa_kernel
	.section	.text._ZN7rocprim17ROCPRIM_400000_NS6detail17trampoline_kernelINS0_14default_configENS1_20scan_config_selectorIjEEZZNS1_9scan_implILNS1_25lookback_scan_determinismE0ELb0ELb0ES3_N6thrust23THRUST_200600_302600_NS6detail15normal_iteratorINS9_10device_ptrIjEEEENSB_INSC_IfEEEEjNS9_4plusIvEEjEEDaPvRmT3_T4_T5_mT6_P12ihipStream_tbENKUlT_T0_E_clISt17integral_constantIbLb0EESV_IbLb1EEEEDaSR_SS_EUlSR_E0_NS1_11comp_targetILNS1_3genE3ELNS1_11target_archE908ELNS1_3gpuE7ELNS1_3repE0EEENS1_30default_config_static_selectorELNS0_4arch9wavefront6targetE1EEEvT1_,"axG",@progbits,_ZN7rocprim17ROCPRIM_400000_NS6detail17trampoline_kernelINS0_14default_configENS1_20scan_config_selectorIjEEZZNS1_9scan_implILNS1_25lookback_scan_determinismE0ELb0ELb0ES3_N6thrust23THRUST_200600_302600_NS6detail15normal_iteratorINS9_10device_ptrIjEEEENSB_INSC_IfEEEEjNS9_4plusIvEEjEEDaPvRmT3_T4_T5_mT6_P12ihipStream_tbENKUlT_T0_E_clISt17integral_constantIbLb0EESV_IbLb1EEEEDaSR_SS_EUlSR_E0_NS1_11comp_targetILNS1_3genE3ELNS1_11target_archE908ELNS1_3gpuE7ELNS1_3repE0EEENS1_30default_config_static_selectorELNS0_4arch9wavefront6targetE1EEEvT1_,comdat
.Lfunc_end6081:
	.size	_ZN7rocprim17ROCPRIM_400000_NS6detail17trampoline_kernelINS0_14default_configENS1_20scan_config_selectorIjEEZZNS1_9scan_implILNS1_25lookback_scan_determinismE0ELb0ELb0ES3_N6thrust23THRUST_200600_302600_NS6detail15normal_iteratorINS9_10device_ptrIjEEEENSB_INSC_IfEEEEjNS9_4plusIvEEjEEDaPvRmT3_T4_T5_mT6_P12ihipStream_tbENKUlT_T0_E_clISt17integral_constantIbLb0EESV_IbLb1EEEEDaSR_SS_EUlSR_E0_NS1_11comp_targetILNS1_3genE3ELNS1_11target_archE908ELNS1_3gpuE7ELNS1_3repE0EEENS1_30default_config_static_selectorELNS0_4arch9wavefront6targetE1EEEvT1_, .Lfunc_end6081-_ZN7rocprim17ROCPRIM_400000_NS6detail17trampoline_kernelINS0_14default_configENS1_20scan_config_selectorIjEEZZNS1_9scan_implILNS1_25lookback_scan_determinismE0ELb0ELb0ES3_N6thrust23THRUST_200600_302600_NS6detail15normal_iteratorINS9_10device_ptrIjEEEENSB_INSC_IfEEEEjNS9_4plusIvEEjEEDaPvRmT3_T4_T5_mT6_P12ihipStream_tbENKUlT_T0_E_clISt17integral_constantIbLb0EESV_IbLb1EEEEDaSR_SS_EUlSR_E0_NS1_11comp_targetILNS1_3genE3ELNS1_11target_archE908ELNS1_3gpuE7ELNS1_3repE0EEENS1_30default_config_static_selectorELNS0_4arch9wavefront6targetE1EEEvT1_
                                        ; -- End function
	.section	.AMDGPU.csdata,"",@progbits
; Kernel info:
; codeLenInByte = 0
; NumSgprs: 4
; NumVgprs: 0
; NumAgprs: 0
; TotalNumVgprs: 0
; ScratchSize: 0
; MemoryBound: 0
; FloatMode: 240
; IeeeMode: 1
; LDSByteSize: 0 bytes/workgroup (compile time only)
; SGPRBlocks: 0
; VGPRBlocks: 0
; NumSGPRsForWavesPerEU: 4
; NumVGPRsForWavesPerEU: 1
; AccumOffset: 4
; Occupancy: 8
; WaveLimiterHint : 0
; COMPUTE_PGM_RSRC2:SCRATCH_EN: 0
; COMPUTE_PGM_RSRC2:USER_SGPR: 6
; COMPUTE_PGM_RSRC2:TRAP_HANDLER: 0
; COMPUTE_PGM_RSRC2:TGID_X_EN: 1
; COMPUTE_PGM_RSRC2:TGID_Y_EN: 0
; COMPUTE_PGM_RSRC2:TGID_Z_EN: 0
; COMPUTE_PGM_RSRC2:TIDIG_COMP_CNT: 0
; COMPUTE_PGM_RSRC3_GFX90A:ACCUM_OFFSET: 0
; COMPUTE_PGM_RSRC3_GFX90A:TG_SPLIT: 0
	.section	.text._ZN7rocprim17ROCPRIM_400000_NS6detail17trampoline_kernelINS0_14default_configENS1_20scan_config_selectorIjEEZZNS1_9scan_implILNS1_25lookback_scan_determinismE0ELb0ELb0ES3_N6thrust23THRUST_200600_302600_NS6detail15normal_iteratorINS9_10device_ptrIjEEEENSB_INSC_IfEEEEjNS9_4plusIvEEjEEDaPvRmT3_T4_T5_mT6_P12ihipStream_tbENKUlT_T0_E_clISt17integral_constantIbLb0EESV_IbLb1EEEEDaSR_SS_EUlSR_E0_NS1_11comp_targetILNS1_3genE2ELNS1_11target_archE906ELNS1_3gpuE6ELNS1_3repE0EEENS1_30default_config_static_selectorELNS0_4arch9wavefront6targetE1EEEvT1_,"axG",@progbits,_ZN7rocprim17ROCPRIM_400000_NS6detail17trampoline_kernelINS0_14default_configENS1_20scan_config_selectorIjEEZZNS1_9scan_implILNS1_25lookback_scan_determinismE0ELb0ELb0ES3_N6thrust23THRUST_200600_302600_NS6detail15normal_iteratorINS9_10device_ptrIjEEEENSB_INSC_IfEEEEjNS9_4plusIvEEjEEDaPvRmT3_T4_T5_mT6_P12ihipStream_tbENKUlT_T0_E_clISt17integral_constantIbLb0EESV_IbLb1EEEEDaSR_SS_EUlSR_E0_NS1_11comp_targetILNS1_3genE2ELNS1_11target_archE906ELNS1_3gpuE6ELNS1_3repE0EEENS1_30default_config_static_selectorELNS0_4arch9wavefront6targetE1EEEvT1_,comdat
	.protected	_ZN7rocprim17ROCPRIM_400000_NS6detail17trampoline_kernelINS0_14default_configENS1_20scan_config_selectorIjEEZZNS1_9scan_implILNS1_25lookback_scan_determinismE0ELb0ELb0ES3_N6thrust23THRUST_200600_302600_NS6detail15normal_iteratorINS9_10device_ptrIjEEEENSB_INSC_IfEEEEjNS9_4plusIvEEjEEDaPvRmT3_T4_T5_mT6_P12ihipStream_tbENKUlT_T0_E_clISt17integral_constantIbLb0EESV_IbLb1EEEEDaSR_SS_EUlSR_E0_NS1_11comp_targetILNS1_3genE2ELNS1_11target_archE906ELNS1_3gpuE6ELNS1_3repE0EEENS1_30default_config_static_selectorELNS0_4arch9wavefront6targetE1EEEvT1_ ; -- Begin function _ZN7rocprim17ROCPRIM_400000_NS6detail17trampoline_kernelINS0_14default_configENS1_20scan_config_selectorIjEEZZNS1_9scan_implILNS1_25lookback_scan_determinismE0ELb0ELb0ES3_N6thrust23THRUST_200600_302600_NS6detail15normal_iteratorINS9_10device_ptrIjEEEENSB_INSC_IfEEEEjNS9_4plusIvEEjEEDaPvRmT3_T4_T5_mT6_P12ihipStream_tbENKUlT_T0_E_clISt17integral_constantIbLb0EESV_IbLb1EEEEDaSR_SS_EUlSR_E0_NS1_11comp_targetILNS1_3genE2ELNS1_11target_archE906ELNS1_3gpuE6ELNS1_3repE0EEENS1_30default_config_static_selectorELNS0_4arch9wavefront6targetE1EEEvT1_
	.globl	_ZN7rocprim17ROCPRIM_400000_NS6detail17trampoline_kernelINS0_14default_configENS1_20scan_config_selectorIjEEZZNS1_9scan_implILNS1_25lookback_scan_determinismE0ELb0ELb0ES3_N6thrust23THRUST_200600_302600_NS6detail15normal_iteratorINS9_10device_ptrIjEEEENSB_INSC_IfEEEEjNS9_4plusIvEEjEEDaPvRmT3_T4_T5_mT6_P12ihipStream_tbENKUlT_T0_E_clISt17integral_constantIbLb0EESV_IbLb1EEEEDaSR_SS_EUlSR_E0_NS1_11comp_targetILNS1_3genE2ELNS1_11target_archE906ELNS1_3gpuE6ELNS1_3repE0EEENS1_30default_config_static_selectorELNS0_4arch9wavefront6targetE1EEEvT1_
	.p2align	8
	.type	_ZN7rocprim17ROCPRIM_400000_NS6detail17trampoline_kernelINS0_14default_configENS1_20scan_config_selectorIjEEZZNS1_9scan_implILNS1_25lookback_scan_determinismE0ELb0ELb0ES3_N6thrust23THRUST_200600_302600_NS6detail15normal_iteratorINS9_10device_ptrIjEEEENSB_INSC_IfEEEEjNS9_4plusIvEEjEEDaPvRmT3_T4_T5_mT6_P12ihipStream_tbENKUlT_T0_E_clISt17integral_constantIbLb0EESV_IbLb1EEEEDaSR_SS_EUlSR_E0_NS1_11comp_targetILNS1_3genE2ELNS1_11target_archE906ELNS1_3gpuE6ELNS1_3repE0EEENS1_30default_config_static_selectorELNS0_4arch9wavefront6targetE1EEEvT1_,@function
_ZN7rocprim17ROCPRIM_400000_NS6detail17trampoline_kernelINS0_14default_configENS1_20scan_config_selectorIjEEZZNS1_9scan_implILNS1_25lookback_scan_determinismE0ELb0ELb0ES3_N6thrust23THRUST_200600_302600_NS6detail15normal_iteratorINS9_10device_ptrIjEEEENSB_INSC_IfEEEEjNS9_4plusIvEEjEEDaPvRmT3_T4_T5_mT6_P12ihipStream_tbENKUlT_T0_E_clISt17integral_constantIbLb0EESV_IbLb1EEEEDaSR_SS_EUlSR_E0_NS1_11comp_targetILNS1_3genE2ELNS1_11target_archE906ELNS1_3gpuE6ELNS1_3repE0EEENS1_30default_config_static_selectorELNS0_4arch9wavefront6targetE1EEEvT1_: ; @_ZN7rocprim17ROCPRIM_400000_NS6detail17trampoline_kernelINS0_14default_configENS1_20scan_config_selectorIjEEZZNS1_9scan_implILNS1_25lookback_scan_determinismE0ELb0ELb0ES3_N6thrust23THRUST_200600_302600_NS6detail15normal_iteratorINS9_10device_ptrIjEEEENSB_INSC_IfEEEEjNS9_4plusIvEEjEEDaPvRmT3_T4_T5_mT6_P12ihipStream_tbENKUlT_T0_E_clISt17integral_constantIbLb0EESV_IbLb1EEEEDaSR_SS_EUlSR_E0_NS1_11comp_targetILNS1_3genE2ELNS1_11target_archE906ELNS1_3gpuE6ELNS1_3repE0EEENS1_30default_config_static_selectorELNS0_4arch9wavefront6targetE1EEEvT1_
; %bb.0:
	.section	.rodata,"a",@progbits
	.p2align	6, 0x0
	.amdhsa_kernel _ZN7rocprim17ROCPRIM_400000_NS6detail17trampoline_kernelINS0_14default_configENS1_20scan_config_selectorIjEEZZNS1_9scan_implILNS1_25lookback_scan_determinismE0ELb0ELb0ES3_N6thrust23THRUST_200600_302600_NS6detail15normal_iteratorINS9_10device_ptrIjEEEENSB_INSC_IfEEEEjNS9_4plusIvEEjEEDaPvRmT3_T4_T5_mT6_P12ihipStream_tbENKUlT_T0_E_clISt17integral_constantIbLb0EESV_IbLb1EEEEDaSR_SS_EUlSR_E0_NS1_11comp_targetILNS1_3genE2ELNS1_11target_archE906ELNS1_3gpuE6ELNS1_3repE0EEENS1_30default_config_static_selectorELNS0_4arch9wavefront6targetE1EEEvT1_
		.amdhsa_group_segment_fixed_size 0
		.amdhsa_private_segment_fixed_size 0
		.amdhsa_kernarg_size 32
		.amdhsa_user_sgpr_count 6
		.amdhsa_user_sgpr_private_segment_buffer 1
		.amdhsa_user_sgpr_dispatch_ptr 0
		.amdhsa_user_sgpr_queue_ptr 0
		.amdhsa_user_sgpr_kernarg_segment_ptr 1
		.amdhsa_user_sgpr_dispatch_id 0
		.amdhsa_user_sgpr_flat_scratch_init 0
		.amdhsa_user_sgpr_kernarg_preload_length 0
		.amdhsa_user_sgpr_kernarg_preload_offset 0
		.amdhsa_user_sgpr_private_segment_size 0
		.amdhsa_uses_dynamic_stack 0
		.amdhsa_system_sgpr_private_segment_wavefront_offset 0
		.amdhsa_system_sgpr_workgroup_id_x 1
		.amdhsa_system_sgpr_workgroup_id_y 0
		.amdhsa_system_sgpr_workgroup_id_z 0
		.amdhsa_system_sgpr_workgroup_info 0
		.amdhsa_system_vgpr_workitem_id 0
		.amdhsa_next_free_vgpr 1
		.amdhsa_next_free_sgpr 0
		.amdhsa_accum_offset 4
		.amdhsa_reserve_vcc 0
		.amdhsa_reserve_flat_scratch 0
		.amdhsa_float_round_mode_32 0
		.amdhsa_float_round_mode_16_64 0
		.amdhsa_float_denorm_mode_32 3
		.amdhsa_float_denorm_mode_16_64 3
		.amdhsa_dx10_clamp 1
		.amdhsa_ieee_mode 1
		.amdhsa_fp16_overflow 0
		.amdhsa_tg_split 0
		.amdhsa_exception_fp_ieee_invalid_op 0
		.amdhsa_exception_fp_denorm_src 0
		.amdhsa_exception_fp_ieee_div_zero 0
		.amdhsa_exception_fp_ieee_overflow 0
		.amdhsa_exception_fp_ieee_underflow 0
		.amdhsa_exception_fp_ieee_inexact 0
		.amdhsa_exception_int_div_zero 0
	.end_amdhsa_kernel
	.section	.text._ZN7rocprim17ROCPRIM_400000_NS6detail17trampoline_kernelINS0_14default_configENS1_20scan_config_selectorIjEEZZNS1_9scan_implILNS1_25lookback_scan_determinismE0ELb0ELb0ES3_N6thrust23THRUST_200600_302600_NS6detail15normal_iteratorINS9_10device_ptrIjEEEENSB_INSC_IfEEEEjNS9_4plusIvEEjEEDaPvRmT3_T4_T5_mT6_P12ihipStream_tbENKUlT_T0_E_clISt17integral_constantIbLb0EESV_IbLb1EEEEDaSR_SS_EUlSR_E0_NS1_11comp_targetILNS1_3genE2ELNS1_11target_archE906ELNS1_3gpuE6ELNS1_3repE0EEENS1_30default_config_static_selectorELNS0_4arch9wavefront6targetE1EEEvT1_,"axG",@progbits,_ZN7rocprim17ROCPRIM_400000_NS6detail17trampoline_kernelINS0_14default_configENS1_20scan_config_selectorIjEEZZNS1_9scan_implILNS1_25lookback_scan_determinismE0ELb0ELb0ES3_N6thrust23THRUST_200600_302600_NS6detail15normal_iteratorINS9_10device_ptrIjEEEENSB_INSC_IfEEEEjNS9_4plusIvEEjEEDaPvRmT3_T4_T5_mT6_P12ihipStream_tbENKUlT_T0_E_clISt17integral_constantIbLb0EESV_IbLb1EEEEDaSR_SS_EUlSR_E0_NS1_11comp_targetILNS1_3genE2ELNS1_11target_archE906ELNS1_3gpuE6ELNS1_3repE0EEENS1_30default_config_static_selectorELNS0_4arch9wavefront6targetE1EEEvT1_,comdat
.Lfunc_end6082:
	.size	_ZN7rocprim17ROCPRIM_400000_NS6detail17trampoline_kernelINS0_14default_configENS1_20scan_config_selectorIjEEZZNS1_9scan_implILNS1_25lookback_scan_determinismE0ELb0ELb0ES3_N6thrust23THRUST_200600_302600_NS6detail15normal_iteratorINS9_10device_ptrIjEEEENSB_INSC_IfEEEEjNS9_4plusIvEEjEEDaPvRmT3_T4_T5_mT6_P12ihipStream_tbENKUlT_T0_E_clISt17integral_constantIbLb0EESV_IbLb1EEEEDaSR_SS_EUlSR_E0_NS1_11comp_targetILNS1_3genE2ELNS1_11target_archE906ELNS1_3gpuE6ELNS1_3repE0EEENS1_30default_config_static_selectorELNS0_4arch9wavefront6targetE1EEEvT1_, .Lfunc_end6082-_ZN7rocprim17ROCPRIM_400000_NS6detail17trampoline_kernelINS0_14default_configENS1_20scan_config_selectorIjEEZZNS1_9scan_implILNS1_25lookback_scan_determinismE0ELb0ELb0ES3_N6thrust23THRUST_200600_302600_NS6detail15normal_iteratorINS9_10device_ptrIjEEEENSB_INSC_IfEEEEjNS9_4plusIvEEjEEDaPvRmT3_T4_T5_mT6_P12ihipStream_tbENKUlT_T0_E_clISt17integral_constantIbLb0EESV_IbLb1EEEEDaSR_SS_EUlSR_E0_NS1_11comp_targetILNS1_3genE2ELNS1_11target_archE906ELNS1_3gpuE6ELNS1_3repE0EEENS1_30default_config_static_selectorELNS0_4arch9wavefront6targetE1EEEvT1_
                                        ; -- End function
	.section	.AMDGPU.csdata,"",@progbits
; Kernel info:
; codeLenInByte = 0
; NumSgprs: 4
; NumVgprs: 0
; NumAgprs: 0
; TotalNumVgprs: 0
; ScratchSize: 0
; MemoryBound: 0
; FloatMode: 240
; IeeeMode: 1
; LDSByteSize: 0 bytes/workgroup (compile time only)
; SGPRBlocks: 0
; VGPRBlocks: 0
; NumSGPRsForWavesPerEU: 4
; NumVGPRsForWavesPerEU: 1
; AccumOffset: 4
; Occupancy: 8
; WaveLimiterHint : 0
; COMPUTE_PGM_RSRC2:SCRATCH_EN: 0
; COMPUTE_PGM_RSRC2:USER_SGPR: 6
; COMPUTE_PGM_RSRC2:TRAP_HANDLER: 0
; COMPUTE_PGM_RSRC2:TGID_X_EN: 1
; COMPUTE_PGM_RSRC2:TGID_Y_EN: 0
; COMPUTE_PGM_RSRC2:TGID_Z_EN: 0
; COMPUTE_PGM_RSRC2:TIDIG_COMP_CNT: 0
; COMPUTE_PGM_RSRC3_GFX90A:ACCUM_OFFSET: 0
; COMPUTE_PGM_RSRC3_GFX90A:TG_SPLIT: 0
	.section	.text._ZN7rocprim17ROCPRIM_400000_NS6detail17trampoline_kernelINS0_14default_configENS1_20scan_config_selectorIjEEZZNS1_9scan_implILNS1_25lookback_scan_determinismE0ELb0ELb0ES3_N6thrust23THRUST_200600_302600_NS6detail15normal_iteratorINS9_10device_ptrIjEEEENSB_INSC_IfEEEEjNS9_4plusIvEEjEEDaPvRmT3_T4_T5_mT6_P12ihipStream_tbENKUlT_T0_E_clISt17integral_constantIbLb0EESV_IbLb1EEEEDaSR_SS_EUlSR_E0_NS1_11comp_targetILNS1_3genE10ELNS1_11target_archE1201ELNS1_3gpuE5ELNS1_3repE0EEENS1_30default_config_static_selectorELNS0_4arch9wavefront6targetE1EEEvT1_,"axG",@progbits,_ZN7rocprim17ROCPRIM_400000_NS6detail17trampoline_kernelINS0_14default_configENS1_20scan_config_selectorIjEEZZNS1_9scan_implILNS1_25lookback_scan_determinismE0ELb0ELb0ES3_N6thrust23THRUST_200600_302600_NS6detail15normal_iteratorINS9_10device_ptrIjEEEENSB_INSC_IfEEEEjNS9_4plusIvEEjEEDaPvRmT3_T4_T5_mT6_P12ihipStream_tbENKUlT_T0_E_clISt17integral_constantIbLb0EESV_IbLb1EEEEDaSR_SS_EUlSR_E0_NS1_11comp_targetILNS1_3genE10ELNS1_11target_archE1201ELNS1_3gpuE5ELNS1_3repE0EEENS1_30default_config_static_selectorELNS0_4arch9wavefront6targetE1EEEvT1_,comdat
	.protected	_ZN7rocprim17ROCPRIM_400000_NS6detail17trampoline_kernelINS0_14default_configENS1_20scan_config_selectorIjEEZZNS1_9scan_implILNS1_25lookback_scan_determinismE0ELb0ELb0ES3_N6thrust23THRUST_200600_302600_NS6detail15normal_iteratorINS9_10device_ptrIjEEEENSB_INSC_IfEEEEjNS9_4plusIvEEjEEDaPvRmT3_T4_T5_mT6_P12ihipStream_tbENKUlT_T0_E_clISt17integral_constantIbLb0EESV_IbLb1EEEEDaSR_SS_EUlSR_E0_NS1_11comp_targetILNS1_3genE10ELNS1_11target_archE1201ELNS1_3gpuE5ELNS1_3repE0EEENS1_30default_config_static_selectorELNS0_4arch9wavefront6targetE1EEEvT1_ ; -- Begin function _ZN7rocprim17ROCPRIM_400000_NS6detail17trampoline_kernelINS0_14default_configENS1_20scan_config_selectorIjEEZZNS1_9scan_implILNS1_25lookback_scan_determinismE0ELb0ELb0ES3_N6thrust23THRUST_200600_302600_NS6detail15normal_iteratorINS9_10device_ptrIjEEEENSB_INSC_IfEEEEjNS9_4plusIvEEjEEDaPvRmT3_T4_T5_mT6_P12ihipStream_tbENKUlT_T0_E_clISt17integral_constantIbLb0EESV_IbLb1EEEEDaSR_SS_EUlSR_E0_NS1_11comp_targetILNS1_3genE10ELNS1_11target_archE1201ELNS1_3gpuE5ELNS1_3repE0EEENS1_30default_config_static_selectorELNS0_4arch9wavefront6targetE1EEEvT1_
	.globl	_ZN7rocprim17ROCPRIM_400000_NS6detail17trampoline_kernelINS0_14default_configENS1_20scan_config_selectorIjEEZZNS1_9scan_implILNS1_25lookback_scan_determinismE0ELb0ELb0ES3_N6thrust23THRUST_200600_302600_NS6detail15normal_iteratorINS9_10device_ptrIjEEEENSB_INSC_IfEEEEjNS9_4plusIvEEjEEDaPvRmT3_T4_T5_mT6_P12ihipStream_tbENKUlT_T0_E_clISt17integral_constantIbLb0EESV_IbLb1EEEEDaSR_SS_EUlSR_E0_NS1_11comp_targetILNS1_3genE10ELNS1_11target_archE1201ELNS1_3gpuE5ELNS1_3repE0EEENS1_30default_config_static_selectorELNS0_4arch9wavefront6targetE1EEEvT1_
	.p2align	8
	.type	_ZN7rocprim17ROCPRIM_400000_NS6detail17trampoline_kernelINS0_14default_configENS1_20scan_config_selectorIjEEZZNS1_9scan_implILNS1_25lookback_scan_determinismE0ELb0ELb0ES3_N6thrust23THRUST_200600_302600_NS6detail15normal_iteratorINS9_10device_ptrIjEEEENSB_INSC_IfEEEEjNS9_4plusIvEEjEEDaPvRmT3_T4_T5_mT6_P12ihipStream_tbENKUlT_T0_E_clISt17integral_constantIbLb0EESV_IbLb1EEEEDaSR_SS_EUlSR_E0_NS1_11comp_targetILNS1_3genE10ELNS1_11target_archE1201ELNS1_3gpuE5ELNS1_3repE0EEENS1_30default_config_static_selectorELNS0_4arch9wavefront6targetE1EEEvT1_,@function
_ZN7rocprim17ROCPRIM_400000_NS6detail17trampoline_kernelINS0_14default_configENS1_20scan_config_selectorIjEEZZNS1_9scan_implILNS1_25lookback_scan_determinismE0ELb0ELb0ES3_N6thrust23THRUST_200600_302600_NS6detail15normal_iteratorINS9_10device_ptrIjEEEENSB_INSC_IfEEEEjNS9_4plusIvEEjEEDaPvRmT3_T4_T5_mT6_P12ihipStream_tbENKUlT_T0_E_clISt17integral_constantIbLb0EESV_IbLb1EEEEDaSR_SS_EUlSR_E0_NS1_11comp_targetILNS1_3genE10ELNS1_11target_archE1201ELNS1_3gpuE5ELNS1_3repE0EEENS1_30default_config_static_selectorELNS0_4arch9wavefront6targetE1EEEvT1_: ; @_ZN7rocprim17ROCPRIM_400000_NS6detail17trampoline_kernelINS0_14default_configENS1_20scan_config_selectorIjEEZZNS1_9scan_implILNS1_25lookback_scan_determinismE0ELb0ELb0ES3_N6thrust23THRUST_200600_302600_NS6detail15normal_iteratorINS9_10device_ptrIjEEEENSB_INSC_IfEEEEjNS9_4plusIvEEjEEDaPvRmT3_T4_T5_mT6_P12ihipStream_tbENKUlT_T0_E_clISt17integral_constantIbLb0EESV_IbLb1EEEEDaSR_SS_EUlSR_E0_NS1_11comp_targetILNS1_3genE10ELNS1_11target_archE1201ELNS1_3gpuE5ELNS1_3repE0EEENS1_30default_config_static_selectorELNS0_4arch9wavefront6targetE1EEEvT1_
; %bb.0:
	.section	.rodata,"a",@progbits
	.p2align	6, 0x0
	.amdhsa_kernel _ZN7rocprim17ROCPRIM_400000_NS6detail17trampoline_kernelINS0_14default_configENS1_20scan_config_selectorIjEEZZNS1_9scan_implILNS1_25lookback_scan_determinismE0ELb0ELb0ES3_N6thrust23THRUST_200600_302600_NS6detail15normal_iteratorINS9_10device_ptrIjEEEENSB_INSC_IfEEEEjNS9_4plusIvEEjEEDaPvRmT3_T4_T5_mT6_P12ihipStream_tbENKUlT_T0_E_clISt17integral_constantIbLb0EESV_IbLb1EEEEDaSR_SS_EUlSR_E0_NS1_11comp_targetILNS1_3genE10ELNS1_11target_archE1201ELNS1_3gpuE5ELNS1_3repE0EEENS1_30default_config_static_selectorELNS0_4arch9wavefront6targetE1EEEvT1_
		.amdhsa_group_segment_fixed_size 0
		.amdhsa_private_segment_fixed_size 0
		.amdhsa_kernarg_size 32
		.amdhsa_user_sgpr_count 6
		.amdhsa_user_sgpr_private_segment_buffer 1
		.amdhsa_user_sgpr_dispatch_ptr 0
		.amdhsa_user_sgpr_queue_ptr 0
		.amdhsa_user_sgpr_kernarg_segment_ptr 1
		.amdhsa_user_sgpr_dispatch_id 0
		.amdhsa_user_sgpr_flat_scratch_init 0
		.amdhsa_user_sgpr_kernarg_preload_length 0
		.amdhsa_user_sgpr_kernarg_preload_offset 0
		.amdhsa_user_sgpr_private_segment_size 0
		.amdhsa_uses_dynamic_stack 0
		.amdhsa_system_sgpr_private_segment_wavefront_offset 0
		.amdhsa_system_sgpr_workgroup_id_x 1
		.amdhsa_system_sgpr_workgroup_id_y 0
		.amdhsa_system_sgpr_workgroup_id_z 0
		.amdhsa_system_sgpr_workgroup_info 0
		.amdhsa_system_vgpr_workitem_id 0
		.amdhsa_next_free_vgpr 1
		.amdhsa_next_free_sgpr 0
		.amdhsa_accum_offset 4
		.amdhsa_reserve_vcc 0
		.amdhsa_reserve_flat_scratch 0
		.amdhsa_float_round_mode_32 0
		.amdhsa_float_round_mode_16_64 0
		.amdhsa_float_denorm_mode_32 3
		.amdhsa_float_denorm_mode_16_64 3
		.amdhsa_dx10_clamp 1
		.amdhsa_ieee_mode 1
		.amdhsa_fp16_overflow 0
		.amdhsa_tg_split 0
		.amdhsa_exception_fp_ieee_invalid_op 0
		.amdhsa_exception_fp_denorm_src 0
		.amdhsa_exception_fp_ieee_div_zero 0
		.amdhsa_exception_fp_ieee_overflow 0
		.amdhsa_exception_fp_ieee_underflow 0
		.amdhsa_exception_fp_ieee_inexact 0
		.amdhsa_exception_int_div_zero 0
	.end_amdhsa_kernel
	.section	.text._ZN7rocprim17ROCPRIM_400000_NS6detail17trampoline_kernelINS0_14default_configENS1_20scan_config_selectorIjEEZZNS1_9scan_implILNS1_25lookback_scan_determinismE0ELb0ELb0ES3_N6thrust23THRUST_200600_302600_NS6detail15normal_iteratorINS9_10device_ptrIjEEEENSB_INSC_IfEEEEjNS9_4plusIvEEjEEDaPvRmT3_T4_T5_mT6_P12ihipStream_tbENKUlT_T0_E_clISt17integral_constantIbLb0EESV_IbLb1EEEEDaSR_SS_EUlSR_E0_NS1_11comp_targetILNS1_3genE10ELNS1_11target_archE1201ELNS1_3gpuE5ELNS1_3repE0EEENS1_30default_config_static_selectorELNS0_4arch9wavefront6targetE1EEEvT1_,"axG",@progbits,_ZN7rocprim17ROCPRIM_400000_NS6detail17trampoline_kernelINS0_14default_configENS1_20scan_config_selectorIjEEZZNS1_9scan_implILNS1_25lookback_scan_determinismE0ELb0ELb0ES3_N6thrust23THRUST_200600_302600_NS6detail15normal_iteratorINS9_10device_ptrIjEEEENSB_INSC_IfEEEEjNS9_4plusIvEEjEEDaPvRmT3_T4_T5_mT6_P12ihipStream_tbENKUlT_T0_E_clISt17integral_constantIbLb0EESV_IbLb1EEEEDaSR_SS_EUlSR_E0_NS1_11comp_targetILNS1_3genE10ELNS1_11target_archE1201ELNS1_3gpuE5ELNS1_3repE0EEENS1_30default_config_static_selectorELNS0_4arch9wavefront6targetE1EEEvT1_,comdat
.Lfunc_end6083:
	.size	_ZN7rocprim17ROCPRIM_400000_NS6detail17trampoline_kernelINS0_14default_configENS1_20scan_config_selectorIjEEZZNS1_9scan_implILNS1_25lookback_scan_determinismE0ELb0ELb0ES3_N6thrust23THRUST_200600_302600_NS6detail15normal_iteratorINS9_10device_ptrIjEEEENSB_INSC_IfEEEEjNS9_4plusIvEEjEEDaPvRmT3_T4_T5_mT6_P12ihipStream_tbENKUlT_T0_E_clISt17integral_constantIbLb0EESV_IbLb1EEEEDaSR_SS_EUlSR_E0_NS1_11comp_targetILNS1_3genE10ELNS1_11target_archE1201ELNS1_3gpuE5ELNS1_3repE0EEENS1_30default_config_static_selectorELNS0_4arch9wavefront6targetE1EEEvT1_, .Lfunc_end6083-_ZN7rocprim17ROCPRIM_400000_NS6detail17trampoline_kernelINS0_14default_configENS1_20scan_config_selectorIjEEZZNS1_9scan_implILNS1_25lookback_scan_determinismE0ELb0ELb0ES3_N6thrust23THRUST_200600_302600_NS6detail15normal_iteratorINS9_10device_ptrIjEEEENSB_INSC_IfEEEEjNS9_4plusIvEEjEEDaPvRmT3_T4_T5_mT6_P12ihipStream_tbENKUlT_T0_E_clISt17integral_constantIbLb0EESV_IbLb1EEEEDaSR_SS_EUlSR_E0_NS1_11comp_targetILNS1_3genE10ELNS1_11target_archE1201ELNS1_3gpuE5ELNS1_3repE0EEENS1_30default_config_static_selectorELNS0_4arch9wavefront6targetE1EEEvT1_
                                        ; -- End function
	.section	.AMDGPU.csdata,"",@progbits
; Kernel info:
; codeLenInByte = 0
; NumSgprs: 4
; NumVgprs: 0
; NumAgprs: 0
; TotalNumVgprs: 0
; ScratchSize: 0
; MemoryBound: 0
; FloatMode: 240
; IeeeMode: 1
; LDSByteSize: 0 bytes/workgroup (compile time only)
; SGPRBlocks: 0
; VGPRBlocks: 0
; NumSGPRsForWavesPerEU: 4
; NumVGPRsForWavesPerEU: 1
; AccumOffset: 4
; Occupancy: 8
; WaveLimiterHint : 0
; COMPUTE_PGM_RSRC2:SCRATCH_EN: 0
; COMPUTE_PGM_RSRC2:USER_SGPR: 6
; COMPUTE_PGM_RSRC2:TRAP_HANDLER: 0
; COMPUTE_PGM_RSRC2:TGID_X_EN: 1
; COMPUTE_PGM_RSRC2:TGID_Y_EN: 0
; COMPUTE_PGM_RSRC2:TGID_Z_EN: 0
; COMPUTE_PGM_RSRC2:TIDIG_COMP_CNT: 0
; COMPUTE_PGM_RSRC3_GFX90A:ACCUM_OFFSET: 0
; COMPUTE_PGM_RSRC3_GFX90A:TG_SPLIT: 0
	.section	.text._ZN7rocprim17ROCPRIM_400000_NS6detail17trampoline_kernelINS0_14default_configENS1_20scan_config_selectorIjEEZZNS1_9scan_implILNS1_25lookback_scan_determinismE0ELb0ELb0ES3_N6thrust23THRUST_200600_302600_NS6detail15normal_iteratorINS9_10device_ptrIjEEEENSB_INSC_IfEEEEjNS9_4plusIvEEjEEDaPvRmT3_T4_T5_mT6_P12ihipStream_tbENKUlT_T0_E_clISt17integral_constantIbLb0EESV_IbLb1EEEEDaSR_SS_EUlSR_E0_NS1_11comp_targetILNS1_3genE10ELNS1_11target_archE1200ELNS1_3gpuE4ELNS1_3repE0EEENS1_30default_config_static_selectorELNS0_4arch9wavefront6targetE1EEEvT1_,"axG",@progbits,_ZN7rocprim17ROCPRIM_400000_NS6detail17trampoline_kernelINS0_14default_configENS1_20scan_config_selectorIjEEZZNS1_9scan_implILNS1_25lookback_scan_determinismE0ELb0ELb0ES3_N6thrust23THRUST_200600_302600_NS6detail15normal_iteratorINS9_10device_ptrIjEEEENSB_INSC_IfEEEEjNS9_4plusIvEEjEEDaPvRmT3_T4_T5_mT6_P12ihipStream_tbENKUlT_T0_E_clISt17integral_constantIbLb0EESV_IbLb1EEEEDaSR_SS_EUlSR_E0_NS1_11comp_targetILNS1_3genE10ELNS1_11target_archE1200ELNS1_3gpuE4ELNS1_3repE0EEENS1_30default_config_static_selectorELNS0_4arch9wavefront6targetE1EEEvT1_,comdat
	.protected	_ZN7rocprim17ROCPRIM_400000_NS6detail17trampoline_kernelINS0_14default_configENS1_20scan_config_selectorIjEEZZNS1_9scan_implILNS1_25lookback_scan_determinismE0ELb0ELb0ES3_N6thrust23THRUST_200600_302600_NS6detail15normal_iteratorINS9_10device_ptrIjEEEENSB_INSC_IfEEEEjNS9_4plusIvEEjEEDaPvRmT3_T4_T5_mT6_P12ihipStream_tbENKUlT_T0_E_clISt17integral_constantIbLb0EESV_IbLb1EEEEDaSR_SS_EUlSR_E0_NS1_11comp_targetILNS1_3genE10ELNS1_11target_archE1200ELNS1_3gpuE4ELNS1_3repE0EEENS1_30default_config_static_selectorELNS0_4arch9wavefront6targetE1EEEvT1_ ; -- Begin function _ZN7rocprim17ROCPRIM_400000_NS6detail17trampoline_kernelINS0_14default_configENS1_20scan_config_selectorIjEEZZNS1_9scan_implILNS1_25lookback_scan_determinismE0ELb0ELb0ES3_N6thrust23THRUST_200600_302600_NS6detail15normal_iteratorINS9_10device_ptrIjEEEENSB_INSC_IfEEEEjNS9_4plusIvEEjEEDaPvRmT3_T4_T5_mT6_P12ihipStream_tbENKUlT_T0_E_clISt17integral_constantIbLb0EESV_IbLb1EEEEDaSR_SS_EUlSR_E0_NS1_11comp_targetILNS1_3genE10ELNS1_11target_archE1200ELNS1_3gpuE4ELNS1_3repE0EEENS1_30default_config_static_selectorELNS0_4arch9wavefront6targetE1EEEvT1_
	.globl	_ZN7rocprim17ROCPRIM_400000_NS6detail17trampoline_kernelINS0_14default_configENS1_20scan_config_selectorIjEEZZNS1_9scan_implILNS1_25lookback_scan_determinismE0ELb0ELb0ES3_N6thrust23THRUST_200600_302600_NS6detail15normal_iteratorINS9_10device_ptrIjEEEENSB_INSC_IfEEEEjNS9_4plusIvEEjEEDaPvRmT3_T4_T5_mT6_P12ihipStream_tbENKUlT_T0_E_clISt17integral_constantIbLb0EESV_IbLb1EEEEDaSR_SS_EUlSR_E0_NS1_11comp_targetILNS1_3genE10ELNS1_11target_archE1200ELNS1_3gpuE4ELNS1_3repE0EEENS1_30default_config_static_selectorELNS0_4arch9wavefront6targetE1EEEvT1_
	.p2align	8
	.type	_ZN7rocprim17ROCPRIM_400000_NS6detail17trampoline_kernelINS0_14default_configENS1_20scan_config_selectorIjEEZZNS1_9scan_implILNS1_25lookback_scan_determinismE0ELb0ELb0ES3_N6thrust23THRUST_200600_302600_NS6detail15normal_iteratorINS9_10device_ptrIjEEEENSB_INSC_IfEEEEjNS9_4plusIvEEjEEDaPvRmT3_T4_T5_mT6_P12ihipStream_tbENKUlT_T0_E_clISt17integral_constantIbLb0EESV_IbLb1EEEEDaSR_SS_EUlSR_E0_NS1_11comp_targetILNS1_3genE10ELNS1_11target_archE1200ELNS1_3gpuE4ELNS1_3repE0EEENS1_30default_config_static_selectorELNS0_4arch9wavefront6targetE1EEEvT1_,@function
_ZN7rocprim17ROCPRIM_400000_NS6detail17trampoline_kernelINS0_14default_configENS1_20scan_config_selectorIjEEZZNS1_9scan_implILNS1_25lookback_scan_determinismE0ELb0ELb0ES3_N6thrust23THRUST_200600_302600_NS6detail15normal_iteratorINS9_10device_ptrIjEEEENSB_INSC_IfEEEEjNS9_4plusIvEEjEEDaPvRmT3_T4_T5_mT6_P12ihipStream_tbENKUlT_T0_E_clISt17integral_constantIbLb0EESV_IbLb1EEEEDaSR_SS_EUlSR_E0_NS1_11comp_targetILNS1_3genE10ELNS1_11target_archE1200ELNS1_3gpuE4ELNS1_3repE0EEENS1_30default_config_static_selectorELNS0_4arch9wavefront6targetE1EEEvT1_: ; @_ZN7rocprim17ROCPRIM_400000_NS6detail17trampoline_kernelINS0_14default_configENS1_20scan_config_selectorIjEEZZNS1_9scan_implILNS1_25lookback_scan_determinismE0ELb0ELb0ES3_N6thrust23THRUST_200600_302600_NS6detail15normal_iteratorINS9_10device_ptrIjEEEENSB_INSC_IfEEEEjNS9_4plusIvEEjEEDaPvRmT3_T4_T5_mT6_P12ihipStream_tbENKUlT_T0_E_clISt17integral_constantIbLb0EESV_IbLb1EEEEDaSR_SS_EUlSR_E0_NS1_11comp_targetILNS1_3genE10ELNS1_11target_archE1200ELNS1_3gpuE4ELNS1_3repE0EEENS1_30default_config_static_selectorELNS0_4arch9wavefront6targetE1EEEvT1_
; %bb.0:
	.section	.rodata,"a",@progbits
	.p2align	6, 0x0
	.amdhsa_kernel _ZN7rocprim17ROCPRIM_400000_NS6detail17trampoline_kernelINS0_14default_configENS1_20scan_config_selectorIjEEZZNS1_9scan_implILNS1_25lookback_scan_determinismE0ELb0ELb0ES3_N6thrust23THRUST_200600_302600_NS6detail15normal_iteratorINS9_10device_ptrIjEEEENSB_INSC_IfEEEEjNS9_4plusIvEEjEEDaPvRmT3_T4_T5_mT6_P12ihipStream_tbENKUlT_T0_E_clISt17integral_constantIbLb0EESV_IbLb1EEEEDaSR_SS_EUlSR_E0_NS1_11comp_targetILNS1_3genE10ELNS1_11target_archE1200ELNS1_3gpuE4ELNS1_3repE0EEENS1_30default_config_static_selectorELNS0_4arch9wavefront6targetE1EEEvT1_
		.amdhsa_group_segment_fixed_size 0
		.amdhsa_private_segment_fixed_size 0
		.amdhsa_kernarg_size 32
		.amdhsa_user_sgpr_count 6
		.amdhsa_user_sgpr_private_segment_buffer 1
		.amdhsa_user_sgpr_dispatch_ptr 0
		.amdhsa_user_sgpr_queue_ptr 0
		.amdhsa_user_sgpr_kernarg_segment_ptr 1
		.amdhsa_user_sgpr_dispatch_id 0
		.amdhsa_user_sgpr_flat_scratch_init 0
		.amdhsa_user_sgpr_kernarg_preload_length 0
		.amdhsa_user_sgpr_kernarg_preload_offset 0
		.amdhsa_user_sgpr_private_segment_size 0
		.amdhsa_uses_dynamic_stack 0
		.amdhsa_system_sgpr_private_segment_wavefront_offset 0
		.amdhsa_system_sgpr_workgroup_id_x 1
		.amdhsa_system_sgpr_workgroup_id_y 0
		.amdhsa_system_sgpr_workgroup_id_z 0
		.amdhsa_system_sgpr_workgroup_info 0
		.amdhsa_system_vgpr_workitem_id 0
		.amdhsa_next_free_vgpr 1
		.amdhsa_next_free_sgpr 0
		.amdhsa_accum_offset 4
		.amdhsa_reserve_vcc 0
		.amdhsa_reserve_flat_scratch 0
		.amdhsa_float_round_mode_32 0
		.amdhsa_float_round_mode_16_64 0
		.amdhsa_float_denorm_mode_32 3
		.amdhsa_float_denorm_mode_16_64 3
		.amdhsa_dx10_clamp 1
		.amdhsa_ieee_mode 1
		.amdhsa_fp16_overflow 0
		.amdhsa_tg_split 0
		.amdhsa_exception_fp_ieee_invalid_op 0
		.amdhsa_exception_fp_denorm_src 0
		.amdhsa_exception_fp_ieee_div_zero 0
		.amdhsa_exception_fp_ieee_overflow 0
		.amdhsa_exception_fp_ieee_underflow 0
		.amdhsa_exception_fp_ieee_inexact 0
		.amdhsa_exception_int_div_zero 0
	.end_amdhsa_kernel
	.section	.text._ZN7rocprim17ROCPRIM_400000_NS6detail17trampoline_kernelINS0_14default_configENS1_20scan_config_selectorIjEEZZNS1_9scan_implILNS1_25lookback_scan_determinismE0ELb0ELb0ES3_N6thrust23THRUST_200600_302600_NS6detail15normal_iteratorINS9_10device_ptrIjEEEENSB_INSC_IfEEEEjNS9_4plusIvEEjEEDaPvRmT3_T4_T5_mT6_P12ihipStream_tbENKUlT_T0_E_clISt17integral_constantIbLb0EESV_IbLb1EEEEDaSR_SS_EUlSR_E0_NS1_11comp_targetILNS1_3genE10ELNS1_11target_archE1200ELNS1_3gpuE4ELNS1_3repE0EEENS1_30default_config_static_selectorELNS0_4arch9wavefront6targetE1EEEvT1_,"axG",@progbits,_ZN7rocprim17ROCPRIM_400000_NS6detail17trampoline_kernelINS0_14default_configENS1_20scan_config_selectorIjEEZZNS1_9scan_implILNS1_25lookback_scan_determinismE0ELb0ELb0ES3_N6thrust23THRUST_200600_302600_NS6detail15normal_iteratorINS9_10device_ptrIjEEEENSB_INSC_IfEEEEjNS9_4plusIvEEjEEDaPvRmT3_T4_T5_mT6_P12ihipStream_tbENKUlT_T0_E_clISt17integral_constantIbLb0EESV_IbLb1EEEEDaSR_SS_EUlSR_E0_NS1_11comp_targetILNS1_3genE10ELNS1_11target_archE1200ELNS1_3gpuE4ELNS1_3repE0EEENS1_30default_config_static_selectorELNS0_4arch9wavefront6targetE1EEEvT1_,comdat
.Lfunc_end6084:
	.size	_ZN7rocprim17ROCPRIM_400000_NS6detail17trampoline_kernelINS0_14default_configENS1_20scan_config_selectorIjEEZZNS1_9scan_implILNS1_25lookback_scan_determinismE0ELb0ELb0ES3_N6thrust23THRUST_200600_302600_NS6detail15normal_iteratorINS9_10device_ptrIjEEEENSB_INSC_IfEEEEjNS9_4plusIvEEjEEDaPvRmT3_T4_T5_mT6_P12ihipStream_tbENKUlT_T0_E_clISt17integral_constantIbLb0EESV_IbLb1EEEEDaSR_SS_EUlSR_E0_NS1_11comp_targetILNS1_3genE10ELNS1_11target_archE1200ELNS1_3gpuE4ELNS1_3repE0EEENS1_30default_config_static_selectorELNS0_4arch9wavefront6targetE1EEEvT1_, .Lfunc_end6084-_ZN7rocprim17ROCPRIM_400000_NS6detail17trampoline_kernelINS0_14default_configENS1_20scan_config_selectorIjEEZZNS1_9scan_implILNS1_25lookback_scan_determinismE0ELb0ELb0ES3_N6thrust23THRUST_200600_302600_NS6detail15normal_iteratorINS9_10device_ptrIjEEEENSB_INSC_IfEEEEjNS9_4plusIvEEjEEDaPvRmT3_T4_T5_mT6_P12ihipStream_tbENKUlT_T0_E_clISt17integral_constantIbLb0EESV_IbLb1EEEEDaSR_SS_EUlSR_E0_NS1_11comp_targetILNS1_3genE10ELNS1_11target_archE1200ELNS1_3gpuE4ELNS1_3repE0EEENS1_30default_config_static_selectorELNS0_4arch9wavefront6targetE1EEEvT1_
                                        ; -- End function
	.section	.AMDGPU.csdata,"",@progbits
; Kernel info:
; codeLenInByte = 0
; NumSgprs: 4
; NumVgprs: 0
; NumAgprs: 0
; TotalNumVgprs: 0
; ScratchSize: 0
; MemoryBound: 0
; FloatMode: 240
; IeeeMode: 1
; LDSByteSize: 0 bytes/workgroup (compile time only)
; SGPRBlocks: 0
; VGPRBlocks: 0
; NumSGPRsForWavesPerEU: 4
; NumVGPRsForWavesPerEU: 1
; AccumOffset: 4
; Occupancy: 8
; WaveLimiterHint : 0
; COMPUTE_PGM_RSRC2:SCRATCH_EN: 0
; COMPUTE_PGM_RSRC2:USER_SGPR: 6
; COMPUTE_PGM_RSRC2:TRAP_HANDLER: 0
; COMPUTE_PGM_RSRC2:TGID_X_EN: 1
; COMPUTE_PGM_RSRC2:TGID_Y_EN: 0
; COMPUTE_PGM_RSRC2:TGID_Z_EN: 0
; COMPUTE_PGM_RSRC2:TIDIG_COMP_CNT: 0
; COMPUTE_PGM_RSRC3_GFX90A:ACCUM_OFFSET: 0
; COMPUTE_PGM_RSRC3_GFX90A:TG_SPLIT: 0
	.section	.text._ZN7rocprim17ROCPRIM_400000_NS6detail17trampoline_kernelINS0_14default_configENS1_20scan_config_selectorIjEEZZNS1_9scan_implILNS1_25lookback_scan_determinismE0ELb0ELb0ES3_N6thrust23THRUST_200600_302600_NS6detail15normal_iteratorINS9_10device_ptrIjEEEENSB_INSC_IfEEEEjNS9_4plusIvEEjEEDaPvRmT3_T4_T5_mT6_P12ihipStream_tbENKUlT_T0_E_clISt17integral_constantIbLb0EESV_IbLb1EEEEDaSR_SS_EUlSR_E0_NS1_11comp_targetILNS1_3genE9ELNS1_11target_archE1100ELNS1_3gpuE3ELNS1_3repE0EEENS1_30default_config_static_selectorELNS0_4arch9wavefront6targetE1EEEvT1_,"axG",@progbits,_ZN7rocprim17ROCPRIM_400000_NS6detail17trampoline_kernelINS0_14default_configENS1_20scan_config_selectorIjEEZZNS1_9scan_implILNS1_25lookback_scan_determinismE0ELb0ELb0ES3_N6thrust23THRUST_200600_302600_NS6detail15normal_iteratorINS9_10device_ptrIjEEEENSB_INSC_IfEEEEjNS9_4plusIvEEjEEDaPvRmT3_T4_T5_mT6_P12ihipStream_tbENKUlT_T0_E_clISt17integral_constantIbLb0EESV_IbLb1EEEEDaSR_SS_EUlSR_E0_NS1_11comp_targetILNS1_3genE9ELNS1_11target_archE1100ELNS1_3gpuE3ELNS1_3repE0EEENS1_30default_config_static_selectorELNS0_4arch9wavefront6targetE1EEEvT1_,comdat
	.protected	_ZN7rocprim17ROCPRIM_400000_NS6detail17trampoline_kernelINS0_14default_configENS1_20scan_config_selectorIjEEZZNS1_9scan_implILNS1_25lookback_scan_determinismE0ELb0ELb0ES3_N6thrust23THRUST_200600_302600_NS6detail15normal_iteratorINS9_10device_ptrIjEEEENSB_INSC_IfEEEEjNS9_4plusIvEEjEEDaPvRmT3_T4_T5_mT6_P12ihipStream_tbENKUlT_T0_E_clISt17integral_constantIbLb0EESV_IbLb1EEEEDaSR_SS_EUlSR_E0_NS1_11comp_targetILNS1_3genE9ELNS1_11target_archE1100ELNS1_3gpuE3ELNS1_3repE0EEENS1_30default_config_static_selectorELNS0_4arch9wavefront6targetE1EEEvT1_ ; -- Begin function _ZN7rocprim17ROCPRIM_400000_NS6detail17trampoline_kernelINS0_14default_configENS1_20scan_config_selectorIjEEZZNS1_9scan_implILNS1_25lookback_scan_determinismE0ELb0ELb0ES3_N6thrust23THRUST_200600_302600_NS6detail15normal_iteratorINS9_10device_ptrIjEEEENSB_INSC_IfEEEEjNS9_4plusIvEEjEEDaPvRmT3_T4_T5_mT6_P12ihipStream_tbENKUlT_T0_E_clISt17integral_constantIbLb0EESV_IbLb1EEEEDaSR_SS_EUlSR_E0_NS1_11comp_targetILNS1_3genE9ELNS1_11target_archE1100ELNS1_3gpuE3ELNS1_3repE0EEENS1_30default_config_static_selectorELNS0_4arch9wavefront6targetE1EEEvT1_
	.globl	_ZN7rocprim17ROCPRIM_400000_NS6detail17trampoline_kernelINS0_14default_configENS1_20scan_config_selectorIjEEZZNS1_9scan_implILNS1_25lookback_scan_determinismE0ELb0ELb0ES3_N6thrust23THRUST_200600_302600_NS6detail15normal_iteratorINS9_10device_ptrIjEEEENSB_INSC_IfEEEEjNS9_4plusIvEEjEEDaPvRmT3_T4_T5_mT6_P12ihipStream_tbENKUlT_T0_E_clISt17integral_constantIbLb0EESV_IbLb1EEEEDaSR_SS_EUlSR_E0_NS1_11comp_targetILNS1_3genE9ELNS1_11target_archE1100ELNS1_3gpuE3ELNS1_3repE0EEENS1_30default_config_static_selectorELNS0_4arch9wavefront6targetE1EEEvT1_
	.p2align	8
	.type	_ZN7rocprim17ROCPRIM_400000_NS6detail17trampoline_kernelINS0_14default_configENS1_20scan_config_selectorIjEEZZNS1_9scan_implILNS1_25lookback_scan_determinismE0ELb0ELb0ES3_N6thrust23THRUST_200600_302600_NS6detail15normal_iteratorINS9_10device_ptrIjEEEENSB_INSC_IfEEEEjNS9_4plusIvEEjEEDaPvRmT3_T4_T5_mT6_P12ihipStream_tbENKUlT_T0_E_clISt17integral_constantIbLb0EESV_IbLb1EEEEDaSR_SS_EUlSR_E0_NS1_11comp_targetILNS1_3genE9ELNS1_11target_archE1100ELNS1_3gpuE3ELNS1_3repE0EEENS1_30default_config_static_selectorELNS0_4arch9wavefront6targetE1EEEvT1_,@function
_ZN7rocprim17ROCPRIM_400000_NS6detail17trampoline_kernelINS0_14default_configENS1_20scan_config_selectorIjEEZZNS1_9scan_implILNS1_25lookback_scan_determinismE0ELb0ELb0ES3_N6thrust23THRUST_200600_302600_NS6detail15normal_iteratorINS9_10device_ptrIjEEEENSB_INSC_IfEEEEjNS9_4plusIvEEjEEDaPvRmT3_T4_T5_mT6_P12ihipStream_tbENKUlT_T0_E_clISt17integral_constantIbLb0EESV_IbLb1EEEEDaSR_SS_EUlSR_E0_NS1_11comp_targetILNS1_3genE9ELNS1_11target_archE1100ELNS1_3gpuE3ELNS1_3repE0EEENS1_30default_config_static_selectorELNS0_4arch9wavefront6targetE1EEEvT1_: ; @_ZN7rocprim17ROCPRIM_400000_NS6detail17trampoline_kernelINS0_14default_configENS1_20scan_config_selectorIjEEZZNS1_9scan_implILNS1_25lookback_scan_determinismE0ELb0ELb0ES3_N6thrust23THRUST_200600_302600_NS6detail15normal_iteratorINS9_10device_ptrIjEEEENSB_INSC_IfEEEEjNS9_4plusIvEEjEEDaPvRmT3_T4_T5_mT6_P12ihipStream_tbENKUlT_T0_E_clISt17integral_constantIbLb0EESV_IbLb1EEEEDaSR_SS_EUlSR_E0_NS1_11comp_targetILNS1_3genE9ELNS1_11target_archE1100ELNS1_3gpuE3ELNS1_3repE0EEENS1_30default_config_static_selectorELNS0_4arch9wavefront6targetE1EEEvT1_
; %bb.0:
	.section	.rodata,"a",@progbits
	.p2align	6, 0x0
	.amdhsa_kernel _ZN7rocprim17ROCPRIM_400000_NS6detail17trampoline_kernelINS0_14default_configENS1_20scan_config_selectorIjEEZZNS1_9scan_implILNS1_25lookback_scan_determinismE0ELb0ELb0ES3_N6thrust23THRUST_200600_302600_NS6detail15normal_iteratorINS9_10device_ptrIjEEEENSB_INSC_IfEEEEjNS9_4plusIvEEjEEDaPvRmT3_T4_T5_mT6_P12ihipStream_tbENKUlT_T0_E_clISt17integral_constantIbLb0EESV_IbLb1EEEEDaSR_SS_EUlSR_E0_NS1_11comp_targetILNS1_3genE9ELNS1_11target_archE1100ELNS1_3gpuE3ELNS1_3repE0EEENS1_30default_config_static_selectorELNS0_4arch9wavefront6targetE1EEEvT1_
		.amdhsa_group_segment_fixed_size 0
		.amdhsa_private_segment_fixed_size 0
		.amdhsa_kernarg_size 32
		.amdhsa_user_sgpr_count 6
		.amdhsa_user_sgpr_private_segment_buffer 1
		.amdhsa_user_sgpr_dispatch_ptr 0
		.amdhsa_user_sgpr_queue_ptr 0
		.amdhsa_user_sgpr_kernarg_segment_ptr 1
		.amdhsa_user_sgpr_dispatch_id 0
		.amdhsa_user_sgpr_flat_scratch_init 0
		.amdhsa_user_sgpr_kernarg_preload_length 0
		.amdhsa_user_sgpr_kernarg_preload_offset 0
		.amdhsa_user_sgpr_private_segment_size 0
		.amdhsa_uses_dynamic_stack 0
		.amdhsa_system_sgpr_private_segment_wavefront_offset 0
		.amdhsa_system_sgpr_workgroup_id_x 1
		.amdhsa_system_sgpr_workgroup_id_y 0
		.amdhsa_system_sgpr_workgroup_id_z 0
		.amdhsa_system_sgpr_workgroup_info 0
		.amdhsa_system_vgpr_workitem_id 0
		.amdhsa_next_free_vgpr 1
		.amdhsa_next_free_sgpr 0
		.amdhsa_accum_offset 4
		.amdhsa_reserve_vcc 0
		.amdhsa_reserve_flat_scratch 0
		.amdhsa_float_round_mode_32 0
		.amdhsa_float_round_mode_16_64 0
		.amdhsa_float_denorm_mode_32 3
		.amdhsa_float_denorm_mode_16_64 3
		.amdhsa_dx10_clamp 1
		.amdhsa_ieee_mode 1
		.amdhsa_fp16_overflow 0
		.amdhsa_tg_split 0
		.amdhsa_exception_fp_ieee_invalid_op 0
		.amdhsa_exception_fp_denorm_src 0
		.amdhsa_exception_fp_ieee_div_zero 0
		.amdhsa_exception_fp_ieee_overflow 0
		.amdhsa_exception_fp_ieee_underflow 0
		.amdhsa_exception_fp_ieee_inexact 0
		.amdhsa_exception_int_div_zero 0
	.end_amdhsa_kernel
	.section	.text._ZN7rocprim17ROCPRIM_400000_NS6detail17trampoline_kernelINS0_14default_configENS1_20scan_config_selectorIjEEZZNS1_9scan_implILNS1_25lookback_scan_determinismE0ELb0ELb0ES3_N6thrust23THRUST_200600_302600_NS6detail15normal_iteratorINS9_10device_ptrIjEEEENSB_INSC_IfEEEEjNS9_4plusIvEEjEEDaPvRmT3_T4_T5_mT6_P12ihipStream_tbENKUlT_T0_E_clISt17integral_constantIbLb0EESV_IbLb1EEEEDaSR_SS_EUlSR_E0_NS1_11comp_targetILNS1_3genE9ELNS1_11target_archE1100ELNS1_3gpuE3ELNS1_3repE0EEENS1_30default_config_static_selectorELNS0_4arch9wavefront6targetE1EEEvT1_,"axG",@progbits,_ZN7rocprim17ROCPRIM_400000_NS6detail17trampoline_kernelINS0_14default_configENS1_20scan_config_selectorIjEEZZNS1_9scan_implILNS1_25lookback_scan_determinismE0ELb0ELb0ES3_N6thrust23THRUST_200600_302600_NS6detail15normal_iteratorINS9_10device_ptrIjEEEENSB_INSC_IfEEEEjNS9_4plusIvEEjEEDaPvRmT3_T4_T5_mT6_P12ihipStream_tbENKUlT_T0_E_clISt17integral_constantIbLb0EESV_IbLb1EEEEDaSR_SS_EUlSR_E0_NS1_11comp_targetILNS1_3genE9ELNS1_11target_archE1100ELNS1_3gpuE3ELNS1_3repE0EEENS1_30default_config_static_selectorELNS0_4arch9wavefront6targetE1EEEvT1_,comdat
.Lfunc_end6085:
	.size	_ZN7rocprim17ROCPRIM_400000_NS6detail17trampoline_kernelINS0_14default_configENS1_20scan_config_selectorIjEEZZNS1_9scan_implILNS1_25lookback_scan_determinismE0ELb0ELb0ES3_N6thrust23THRUST_200600_302600_NS6detail15normal_iteratorINS9_10device_ptrIjEEEENSB_INSC_IfEEEEjNS9_4plusIvEEjEEDaPvRmT3_T4_T5_mT6_P12ihipStream_tbENKUlT_T0_E_clISt17integral_constantIbLb0EESV_IbLb1EEEEDaSR_SS_EUlSR_E0_NS1_11comp_targetILNS1_3genE9ELNS1_11target_archE1100ELNS1_3gpuE3ELNS1_3repE0EEENS1_30default_config_static_selectorELNS0_4arch9wavefront6targetE1EEEvT1_, .Lfunc_end6085-_ZN7rocprim17ROCPRIM_400000_NS6detail17trampoline_kernelINS0_14default_configENS1_20scan_config_selectorIjEEZZNS1_9scan_implILNS1_25lookback_scan_determinismE0ELb0ELb0ES3_N6thrust23THRUST_200600_302600_NS6detail15normal_iteratorINS9_10device_ptrIjEEEENSB_INSC_IfEEEEjNS9_4plusIvEEjEEDaPvRmT3_T4_T5_mT6_P12ihipStream_tbENKUlT_T0_E_clISt17integral_constantIbLb0EESV_IbLb1EEEEDaSR_SS_EUlSR_E0_NS1_11comp_targetILNS1_3genE9ELNS1_11target_archE1100ELNS1_3gpuE3ELNS1_3repE0EEENS1_30default_config_static_selectorELNS0_4arch9wavefront6targetE1EEEvT1_
                                        ; -- End function
	.section	.AMDGPU.csdata,"",@progbits
; Kernel info:
; codeLenInByte = 0
; NumSgprs: 4
; NumVgprs: 0
; NumAgprs: 0
; TotalNumVgprs: 0
; ScratchSize: 0
; MemoryBound: 0
; FloatMode: 240
; IeeeMode: 1
; LDSByteSize: 0 bytes/workgroup (compile time only)
; SGPRBlocks: 0
; VGPRBlocks: 0
; NumSGPRsForWavesPerEU: 4
; NumVGPRsForWavesPerEU: 1
; AccumOffset: 4
; Occupancy: 8
; WaveLimiterHint : 0
; COMPUTE_PGM_RSRC2:SCRATCH_EN: 0
; COMPUTE_PGM_RSRC2:USER_SGPR: 6
; COMPUTE_PGM_RSRC2:TRAP_HANDLER: 0
; COMPUTE_PGM_RSRC2:TGID_X_EN: 1
; COMPUTE_PGM_RSRC2:TGID_Y_EN: 0
; COMPUTE_PGM_RSRC2:TGID_Z_EN: 0
; COMPUTE_PGM_RSRC2:TIDIG_COMP_CNT: 0
; COMPUTE_PGM_RSRC3_GFX90A:ACCUM_OFFSET: 0
; COMPUTE_PGM_RSRC3_GFX90A:TG_SPLIT: 0
	.section	.text._ZN7rocprim17ROCPRIM_400000_NS6detail17trampoline_kernelINS0_14default_configENS1_20scan_config_selectorIjEEZZNS1_9scan_implILNS1_25lookback_scan_determinismE0ELb0ELb0ES3_N6thrust23THRUST_200600_302600_NS6detail15normal_iteratorINS9_10device_ptrIjEEEENSB_INSC_IfEEEEjNS9_4plusIvEEjEEDaPvRmT3_T4_T5_mT6_P12ihipStream_tbENKUlT_T0_E_clISt17integral_constantIbLb0EESV_IbLb1EEEEDaSR_SS_EUlSR_E0_NS1_11comp_targetILNS1_3genE8ELNS1_11target_archE1030ELNS1_3gpuE2ELNS1_3repE0EEENS1_30default_config_static_selectorELNS0_4arch9wavefront6targetE1EEEvT1_,"axG",@progbits,_ZN7rocprim17ROCPRIM_400000_NS6detail17trampoline_kernelINS0_14default_configENS1_20scan_config_selectorIjEEZZNS1_9scan_implILNS1_25lookback_scan_determinismE0ELb0ELb0ES3_N6thrust23THRUST_200600_302600_NS6detail15normal_iteratorINS9_10device_ptrIjEEEENSB_INSC_IfEEEEjNS9_4plusIvEEjEEDaPvRmT3_T4_T5_mT6_P12ihipStream_tbENKUlT_T0_E_clISt17integral_constantIbLb0EESV_IbLb1EEEEDaSR_SS_EUlSR_E0_NS1_11comp_targetILNS1_3genE8ELNS1_11target_archE1030ELNS1_3gpuE2ELNS1_3repE0EEENS1_30default_config_static_selectorELNS0_4arch9wavefront6targetE1EEEvT1_,comdat
	.protected	_ZN7rocprim17ROCPRIM_400000_NS6detail17trampoline_kernelINS0_14default_configENS1_20scan_config_selectorIjEEZZNS1_9scan_implILNS1_25lookback_scan_determinismE0ELb0ELb0ES3_N6thrust23THRUST_200600_302600_NS6detail15normal_iteratorINS9_10device_ptrIjEEEENSB_INSC_IfEEEEjNS9_4plusIvEEjEEDaPvRmT3_T4_T5_mT6_P12ihipStream_tbENKUlT_T0_E_clISt17integral_constantIbLb0EESV_IbLb1EEEEDaSR_SS_EUlSR_E0_NS1_11comp_targetILNS1_3genE8ELNS1_11target_archE1030ELNS1_3gpuE2ELNS1_3repE0EEENS1_30default_config_static_selectorELNS0_4arch9wavefront6targetE1EEEvT1_ ; -- Begin function _ZN7rocprim17ROCPRIM_400000_NS6detail17trampoline_kernelINS0_14default_configENS1_20scan_config_selectorIjEEZZNS1_9scan_implILNS1_25lookback_scan_determinismE0ELb0ELb0ES3_N6thrust23THRUST_200600_302600_NS6detail15normal_iteratorINS9_10device_ptrIjEEEENSB_INSC_IfEEEEjNS9_4plusIvEEjEEDaPvRmT3_T4_T5_mT6_P12ihipStream_tbENKUlT_T0_E_clISt17integral_constantIbLb0EESV_IbLb1EEEEDaSR_SS_EUlSR_E0_NS1_11comp_targetILNS1_3genE8ELNS1_11target_archE1030ELNS1_3gpuE2ELNS1_3repE0EEENS1_30default_config_static_selectorELNS0_4arch9wavefront6targetE1EEEvT1_
	.globl	_ZN7rocprim17ROCPRIM_400000_NS6detail17trampoline_kernelINS0_14default_configENS1_20scan_config_selectorIjEEZZNS1_9scan_implILNS1_25lookback_scan_determinismE0ELb0ELb0ES3_N6thrust23THRUST_200600_302600_NS6detail15normal_iteratorINS9_10device_ptrIjEEEENSB_INSC_IfEEEEjNS9_4plusIvEEjEEDaPvRmT3_T4_T5_mT6_P12ihipStream_tbENKUlT_T0_E_clISt17integral_constantIbLb0EESV_IbLb1EEEEDaSR_SS_EUlSR_E0_NS1_11comp_targetILNS1_3genE8ELNS1_11target_archE1030ELNS1_3gpuE2ELNS1_3repE0EEENS1_30default_config_static_selectorELNS0_4arch9wavefront6targetE1EEEvT1_
	.p2align	8
	.type	_ZN7rocprim17ROCPRIM_400000_NS6detail17trampoline_kernelINS0_14default_configENS1_20scan_config_selectorIjEEZZNS1_9scan_implILNS1_25lookback_scan_determinismE0ELb0ELb0ES3_N6thrust23THRUST_200600_302600_NS6detail15normal_iteratorINS9_10device_ptrIjEEEENSB_INSC_IfEEEEjNS9_4plusIvEEjEEDaPvRmT3_T4_T5_mT6_P12ihipStream_tbENKUlT_T0_E_clISt17integral_constantIbLb0EESV_IbLb1EEEEDaSR_SS_EUlSR_E0_NS1_11comp_targetILNS1_3genE8ELNS1_11target_archE1030ELNS1_3gpuE2ELNS1_3repE0EEENS1_30default_config_static_selectorELNS0_4arch9wavefront6targetE1EEEvT1_,@function
_ZN7rocprim17ROCPRIM_400000_NS6detail17trampoline_kernelINS0_14default_configENS1_20scan_config_selectorIjEEZZNS1_9scan_implILNS1_25lookback_scan_determinismE0ELb0ELb0ES3_N6thrust23THRUST_200600_302600_NS6detail15normal_iteratorINS9_10device_ptrIjEEEENSB_INSC_IfEEEEjNS9_4plusIvEEjEEDaPvRmT3_T4_T5_mT6_P12ihipStream_tbENKUlT_T0_E_clISt17integral_constantIbLb0EESV_IbLb1EEEEDaSR_SS_EUlSR_E0_NS1_11comp_targetILNS1_3genE8ELNS1_11target_archE1030ELNS1_3gpuE2ELNS1_3repE0EEENS1_30default_config_static_selectorELNS0_4arch9wavefront6targetE1EEEvT1_: ; @_ZN7rocprim17ROCPRIM_400000_NS6detail17trampoline_kernelINS0_14default_configENS1_20scan_config_selectorIjEEZZNS1_9scan_implILNS1_25lookback_scan_determinismE0ELb0ELb0ES3_N6thrust23THRUST_200600_302600_NS6detail15normal_iteratorINS9_10device_ptrIjEEEENSB_INSC_IfEEEEjNS9_4plusIvEEjEEDaPvRmT3_T4_T5_mT6_P12ihipStream_tbENKUlT_T0_E_clISt17integral_constantIbLb0EESV_IbLb1EEEEDaSR_SS_EUlSR_E0_NS1_11comp_targetILNS1_3genE8ELNS1_11target_archE1030ELNS1_3gpuE2ELNS1_3repE0EEENS1_30default_config_static_selectorELNS0_4arch9wavefront6targetE1EEEvT1_
; %bb.0:
	.section	.rodata,"a",@progbits
	.p2align	6, 0x0
	.amdhsa_kernel _ZN7rocprim17ROCPRIM_400000_NS6detail17trampoline_kernelINS0_14default_configENS1_20scan_config_selectorIjEEZZNS1_9scan_implILNS1_25lookback_scan_determinismE0ELb0ELb0ES3_N6thrust23THRUST_200600_302600_NS6detail15normal_iteratorINS9_10device_ptrIjEEEENSB_INSC_IfEEEEjNS9_4plusIvEEjEEDaPvRmT3_T4_T5_mT6_P12ihipStream_tbENKUlT_T0_E_clISt17integral_constantIbLb0EESV_IbLb1EEEEDaSR_SS_EUlSR_E0_NS1_11comp_targetILNS1_3genE8ELNS1_11target_archE1030ELNS1_3gpuE2ELNS1_3repE0EEENS1_30default_config_static_selectorELNS0_4arch9wavefront6targetE1EEEvT1_
		.amdhsa_group_segment_fixed_size 0
		.amdhsa_private_segment_fixed_size 0
		.amdhsa_kernarg_size 32
		.amdhsa_user_sgpr_count 6
		.amdhsa_user_sgpr_private_segment_buffer 1
		.amdhsa_user_sgpr_dispatch_ptr 0
		.amdhsa_user_sgpr_queue_ptr 0
		.amdhsa_user_sgpr_kernarg_segment_ptr 1
		.amdhsa_user_sgpr_dispatch_id 0
		.amdhsa_user_sgpr_flat_scratch_init 0
		.amdhsa_user_sgpr_kernarg_preload_length 0
		.amdhsa_user_sgpr_kernarg_preload_offset 0
		.amdhsa_user_sgpr_private_segment_size 0
		.amdhsa_uses_dynamic_stack 0
		.amdhsa_system_sgpr_private_segment_wavefront_offset 0
		.amdhsa_system_sgpr_workgroup_id_x 1
		.amdhsa_system_sgpr_workgroup_id_y 0
		.amdhsa_system_sgpr_workgroup_id_z 0
		.amdhsa_system_sgpr_workgroup_info 0
		.amdhsa_system_vgpr_workitem_id 0
		.amdhsa_next_free_vgpr 1
		.amdhsa_next_free_sgpr 0
		.amdhsa_accum_offset 4
		.amdhsa_reserve_vcc 0
		.amdhsa_reserve_flat_scratch 0
		.amdhsa_float_round_mode_32 0
		.amdhsa_float_round_mode_16_64 0
		.amdhsa_float_denorm_mode_32 3
		.amdhsa_float_denorm_mode_16_64 3
		.amdhsa_dx10_clamp 1
		.amdhsa_ieee_mode 1
		.amdhsa_fp16_overflow 0
		.amdhsa_tg_split 0
		.amdhsa_exception_fp_ieee_invalid_op 0
		.amdhsa_exception_fp_denorm_src 0
		.amdhsa_exception_fp_ieee_div_zero 0
		.amdhsa_exception_fp_ieee_overflow 0
		.amdhsa_exception_fp_ieee_underflow 0
		.amdhsa_exception_fp_ieee_inexact 0
		.amdhsa_exception_int_div_zero 0
	.end_amdhsa_kernel
	.section	.text._ZN7rocprim17ROCPRIM_400000_NS6detail17trampoline_kernelINS0_14default_configENS1_20scan_config_selectorIjEEZZNS1_9scan_implILNS1_25lookback_scan_determinismE0ELb0ELb0ES3_N6thrust23THRUST_200600_302600_NS6detail15normal_iteratorINS9_10device_ptrIjEEEENSB_INSC_IfEEEEjNS9_4plusIvEEjEEDaPvRmT3_T4_T5_mT6_P12ihipStream_tbENKUlT_T0_E_clISt17integral_constantIbLb0EESV_IbLb1EEEEDaSR_SS_EUlSR_E0_NS1_11comp_targetILNS1_3genE8ELNS1_11target_archE1030ELNS1_3gpuE2ELNS1_3repE0EEENS1_30default_config_static_selectorELNS0_4arch9wavefront6targetE1EEEvT1_,"axG",@progbits,_ZN7rocprim17ROCPRIM_400000_NS6detail17trampoline_kernelINS0_14default_configENS1_20scan_config_selectorIjEEZZNS1_9scan_implILNS1_25lookback_scan_determinismE0ELb0ELb0ES3_N6thrust23THRUST_200600_302600_NS6detail15normal_iteratorINS9_10device_ptrIjEEEENSB_INSC_IfEEEEjNS9_4plusIvEEjEEDaPvRmT3_T4_T5_mT6_P12ihipStream_tbENKUlT_T0_E_clISt17integral_constantIbLb0EESV_IbLb1EEEEDaSR_SS_EUlSR_E0_NS1_11comp_targetILNS1_3genE8ELNS1_11target_archE1030ELNS1_3gpuE2ELNS1_3repE0EEENS1_30default_config_static_selectorELNS0_4arch9wavefront6targetE1EEEvT1_,comdat
.Lfunc_end6086:
	.size	_ZN7rocprim17ROCPRIM_400000_NS6detail17trampoline_kernelINS0_14default_configENS1_20scan_config_selectorIjEEZZNS1_9scan_implILNS1_25lookback_scan_determinismE0ELb0ELb0ES3_N6thrust23THRUST_200600_302600_NS6detail15normal_iteratorINS9_10device_ptrIjEEEENSB_INSC_IfEEEEjNS9_4plusIvEEjEEDaPvRmT3_T4_T5_mT6_P12ihipStream_tbENKUlT_T0_E_clISt17integral_constantIbLb0EESV_IbLb1EEEEDaSR_SS_EUlSR_E0_NS1_11comp_targetILNS1_3genE8ELNS1_11target_archE1030ELNS1_3gpuE2ELNS1_3repE0EEENS1_30default_config_static_selectorELNS0_4arch9wavefront6targetE1EEEvT1_, .Lfunc_end6086-_ZN7rocprim17ROCPRIM_400000_NS6detail17trampoline_kernelINS0_14default_configENS1_20scan_config_selectorIjEEZZNS1_9scan_implILNS1_25lookback_scan_determinismE0ELb0ELb0ES3_N6thrust23THRUST_200600_302600_NS6detail15normal_iteratorINS9_10device_ptrIjEEEENSB_INSC_IfEEEEjNS9_4plusIvEEjEEDaPvRmT3_T4_T5_mT6_P12ihipStream_tbENKUlT_T0_E_clISt17integral_constantIbLb0EESV_IbLb1EEEEDaSR_SS_EUlSR_E0_NS1_11comp_targetILNS1_3genE8ELNS1_11target_archE1030ELNS1_3gpuE2ELNS1_3repE0EEENS1_30default_config_static_selectorELNS0_4arch9wavefront6targetE1EEEvT1_
                                        ; -- End function
	.section	.AMDGPU.csdata,"",@progbits
; Kernel info:
; codeLenInByte = 0
; NumSgprs: 4
; NumVgprs: 0
; NumAgprs: 0
; TotalNumVgprs: 0
; ScratchSize: 0
; MemoryBound: 0
; FloatMode: 240
; IeeeMode: 1
; LDSByteSize: 0 bytes/workgroup (compile time only)
; SGPRBlocks: 0
; VGPRBlocks: 0
; NumSGPRsForWavesPerEU: 4
; NumVGPRsForWavesPerEU: 1
; AccumOffset: 4
; Occupancy: 8
; WaveLimiterHint : 0
; COMPUTE_PGM_RSRC2:SCRATCH_EN: 0
; COMPUTE_PGM_RSRC2:USER_SGPR: 6
; COMPUTE_PGM_RSRC2:TRAP_HANDLER: 0
; COMPUTE_PGM_RSRC2:TGID_X_EN: 1
; COMPUTE_PGM_RSRC2:TGID_Y_EN: 0
; COMPUTE_PGM_RSRC2:TGID_Z_EN: 0
; COMPUTE_PGM_RSRC2:TIDIG_COMP_CNT: 0
; COMPUTE_PGM_RSRC3_GFX90A:ACCUM_OFFSET: 0
; COMPUTE_PGM_RSRC3_GFX90A:TG_SPLIT: 0
	.section	.text._ZN6thrust23THRUST_200600_302600_NS11hip_rocprim14__parallel_for6kernelILj256ENS1_11__transform17unary_transform_fINS0_10device_ptrIjEENS6_IfEENS4_14no_stencil_tagENS0_8identityIjEENS4_21always_true_predicateEEElLj1EEEvT0_T1_SF_,"axG",@progbits,_ZN6thrust23THRUST_200600_302600_NS11hip_rocprim14__parallel_for6kernelILj256ENS1_11__transform17unary_transform_fINS0_10device_ptrIjEENS6_IfEENS4_14no_stencil_tagENS0_8identityIjEENS4_21always_true_predicateEEElLj1EEEvT0_T1_SF_,comdat
	.protected	_ZN6thrust23THRUST_200600_302600_NS11hip_rocprim14__parallel_for6kernelILj256ENS1_11__transform17unary_transform_fINS0_10device_ptrIjEENS6_IfEENS4_14no_stencil_tagENS0_8identityIjEENS4_21always_true_predicateEEElLj1EEEvT0_T1_SF_ ; -- Begin function _ZN6thrust23THRUST_200600_302600_NS11hip_rocprim14__parallel_for6kernelILj256ENS1_11__transform17unary_transform_fINS0_10device_ptrIjEENS6_IfEENS4_14no_stencil_tagENS0_8identityIjEENS4_21always_true_predicateEEElLj1EEEvT0_T1_SF_
	.globl	_ZN6thrust23THRUST_200600_302600_NS11hip_rocprim14__parallel_for6kernelILj256ENS1_11__transform17unary_transform_fINS0_10device_ptrIjEENS6_IfEENS4_14no_stencil_tagENS0_8identityIjEENS4_21always_true_predicateEEElLj1EEEvT0_T1_SF_
	.p2align	8
	.type	_ZN6thrust23THRUST_200600_302600_NS11hip_rocprim14__parallel_for6kernelILj256ENS1_11__transform17unary_transform_fINS0_10device_ptrIjEENS6_IfEENS4_14no_stencil_tagENS0_8identityIjEENS4_21always_true_predicateEEElLj1EEEvT0_T1_SF_,@function
_ZN6thrust23THRUST_200600_302600_NS11hip_rocprim14__parallel_for6kernelILj256ENS1_11__transform17unary_transform_fINS0_10device_ptrIjEENS6_IfEENS4_14no_stencil_tagENS0_8identityIjEENS4_21always_true_predicateEEElLj1EEEvT0_T1_SF_: ; @_ZN6thrust23THRUST_200600_302600_NS11hip_rocprim14__parallel_for6kernelILj256ENS1_11__transform17unary_transform_fINS0_10device_ptrIjEENS6_IfEENS4_14no_stencil_tagENS0_8identityIjEENS4_21always_true_predicateEEElLj1EEEvT0_T1_SF_
; %bb.0:
	s_load_dwordx4 s[8:11], s[4:5], 0x18
	s_load_dwordx4 s[0:3], s[4:5], 0x0
	s_lshl_b32 s4, s6, 8
	v_mov_b32_e32 v2, 0x100
	v_mov_b32_e32 v3, 0
	s_waitcnt lgkmcnt(0)
	s_add_u32 s6, s4, s10
	s_addc_u32 s7, 0, s11
	s_sub_u32 s4, s8, s6
	s_subb_u32 s5, s9, s7
	v_cmp_lt_i64_e32 vcc, s[4:5], v[2:3]
	s_and_b64 s[8:9], vcc, exec
	s_cselect_b32 s8, s4, 0x100
	s_cmpk_lg_i32 s8, 0x100
	s_mov_b64 s[4:5], -1
	s_cbranch_scc1 .LBB6087_3
; %bb.1:
	s_andn2_b64 vcc, exec, s[4:5]
	s_cbranch_vccz .LBB6087_6
.LBB6087_2:
	s_endpgm
.LBB6087_3:
	v_cmp_gt_u32_e32 vcc, s8, v0
	s_and_saveexec_b64 s[4:5], vcc
	s_cbranch_execz .LBB6087_5
; %bb.4:
	v_mov_b32_e32 v1, s7
	v_add_co_u32_e32 v2, vcc, s6, v0
	v_addc_co_u32_e32 v3, vcc, 0, v1, vcc
	v_lshlrev_b64 v[2:3], 2, v[2:3]
	v_mov_b32_e32 v1, s1
	v_add_co_u32_e32 v4, vcc, s0, v2
	v_addc_co_u32_e32 v5, vcc, v1, v3, vcc
	flat_load_dword v1, v[4:5]
	v_mov_b32_e32 v4, s3
	v_add_co_u32_e32 v2, vcc, s2, v2
	v_addc_co_u32_e32 v3, vcc, v4, v3, vcc
	s_waitcnt vmcnt(0) lgkmcnt(0)
	v_cvt_f32_u32_e32 v1, v1
	flat_store_dword v[2:3], v1
.LBB6087_5:
	s_or_b64 exec, exec, s[4:5]
	s_cbranch_execnz .LBB6087_2
.LBB6087_6:
	v_mov_b32_e32 v1, s7
	v_add_co_u32_e32 v0, vcc, s6, v0
	v_addc_co_u32_e32 v1, vcc, 0, v1, vcc
	v_lshlrev_b64 v[0:1], 2, v[0:1]
	v_mov_b32_e32 v3, s1
	v_add_co_u32_e32 v2, vcc, s0, v0
	v_addc_co_u32_e32 v3, vcc, v3, v1, vcc
	flat_load_dword v2, v[2:3]
	v_mov_b32_e32 v3, s3
	v_add_co_u32_e32 v0, vcc, s2, v0
	v_addc_co_u32_e32 v1, vcc, v3, v1, vcc
	s_waitcnt vmcnt(0) lgkmcnt(0)
	v_cvt_f32_u32_e32 v2, v2
	flat_store_dword v[0:1], v2
	s_endpgm
	.section	.rodata,"a",@progbits
	.p2align	6, 0x0
	.amdhsa_kernel _ZN6thrust23THRUST_200600_302600_NS11hip_rocprim14__parallel_for6kernelILj256ENS1_11__transform17unary_transform_fINS0_10device_ptrIjEENS6_IfEENS4_14no_stencil_tagENS0_8identityIjEENS4_21always_true_predicateEEElLj1EEEvT0_T1_SF_
		.amdhsa_group_segment_fixed_size 0
		.amdhsa_private_segment_fixed_size 0
		.amdhsa_kernarg_size 40
		.amdhsa_user_sgpr_count 6
		.amdhsa_user_sgpr_private_segment_buffer 1
		.amdhsa_user_sgpr_dispatch_ptr 0
		.amdhsa_user_sgpr_queue_ptr 0
		.amdhsa_user_sgpr_kernarg_segment_ptr 1
		.amdhsa_user_sgpr_dispatch_id 0
		.amdhsa_user_sgpr_flat_scratch_init 0
		.amdhsa_user_sgpr_kernarg_preload_length 0
		.amdhsa_user_sgpr_kernarg_preload_offset 0
		.amdhsa_user_sgpr_private_segment_size 0
		.amdhsa_uses_dynamic_stack 0
		.amdhsa_system_sgpr_private_segment_wavefront_offset 0
		.amdhsa_system_sgpr_workgroup_id_x 1
		.amdhsa_system_sgpr_workgroup_id_y 0
		.amdhsa_system_sgpr_workgroup_id_z 0
		.amdhsa_system_sgpr_workgroup_info 0
		.amdhsa_system_vgpr_workitem_id 0
		.amdhsa_next_free_vgpr 6
		.amdhsa_next_free_sgpr 12
		.amdhsa_accum_offset 8
		.amdhsa_reserve_vcc 1
		.amdhsa_reserve_flat_scratch 0
		.amdhsa_float_round_mode_32 0
		.amdhsa_float_round_mode_16_64 0
		.amdhsa_float_denorm_mode_32 3
		.amdhsa_float_denorm_mode_16_64 3
		.amdhsa_dx10_clamp 1
		.amdhsa_ieee_mode 1
		.amdhsa_fp16_overflow 0
		.amdhsa_tg_split 0
		.amdhsa_exception_fp_ieee_invalid_op 0
		.amdhsa_exception_fp_denorm_src 0
		.amdhsa_exception_fp_ieee_div_zero 0
		.amdhsa_exception_fp_ieee_overflow 0
		.amdhsa_exception_fp_ieee_underflow 0
		.amdhsa_exception_fp_ieee_inexact 0
		.amdhsa_exception_int_div_zero 0
	.end_amdhsa_kernel
	.section	.text._ZN6thrust23THRUST_200600_302600_NS11hip_rocprim14__parallel_for6kernelILj256ENS1_11__transform17unary_transform_fINS0_10device_ptrIjEENS6_IfEENS4_14no_stencil_tagENS0_8identityIjEENS4_21always_true_predicateEEElLj1EEEvT0_T1_SF_,"axG",@progbits,_ZN6thrust23THRUST_200600_302600_NS11hip_rocprim14__parallel_for6kernelILj256ENS1_11__transform17unary_transform_fINS0_10device_ptrIjEENS6_IfEENS4_14no_stencil_tagENS0_8identityIjEENS4_21always_true_predicateEEElLj1EEEvT0_T1_SF_,comdat
.Lfunc_end6087:
	.size	_ZN6thrust23THRUST_200600_302600_NS11hip_rocprim14__parallel_for6kernelILj256ENS1_11__transform17unary_transform_fINS0_10device_ptrIjEENS6_IfEENS4_14no_stencil_tagENS0_8identityIjEENS4_21always_true_predicateEEElLj1EEEvT0_T1_SF_, .Lfunc_end6087-_ZN6thrust23THRUST_200600_302600_NS11hip_rocprim14__parallel_for6kernelILj256ENS1_11__transform17unary_transform_fINS0_10device_ptrIjEENS6_IfEENS4_14no_stencil_tagENS0_8identityIjEENS4_21always_true_predicateEEElLj1EEEvT0_T1_SF_
                                        ; -- End function
	.section	.AMDGPU.csdata,"",@progbits
; Kernel info:
; codeLenInByte = 252
; NumSgprs: 16
; NumVgprs: 6
; NumAgprs: 0
; TotalNumVgprs: 6
; ScratchSize: 0
; MemoryBound: 0
; FloatMode: 240
; IeeeMode: 1
; LDSByteSize: 0 bytes/workgroup (compile time only)
; SGPRBlocks: 1
; VGPRBlocks: 0
; NumSGPRsForWavesPerEU: 16
; NumVGPRsForWavesPerEU: 6
; AccumOffset: 8
; Occupancy: 8
; WaveLimiterHint : 0
; COMPUTE_PGM_RSRC2:SCRATCH_EN: 0
; COMPUTE_PGM_RSRC2:USER_SGPR: 6
; COMPUTE_PGM_RSRC2:TRAP_HANDLER: 0
; COMPUTE_PGM_RSRC2:TGID_X_EN: 1
; COMPUTE_PGM_RSRC2:TGID_Y_EN: 0
; COMPUTE_PGM_RSRC2:TGID_Z_EN: 0
; COMPUTE_PGM_RSRC2:TIDIG_COMP_CNT: 0
; COMPUTE_PGM_RSRC3_GFX90A:ACCUM_OFFSET: 1
; COMPUTE_PGM_RSRC3_GFX90A:TG_SPLIT: 0
	.section	.text._ZN7rocprim17ROCPRIM_400000_NS6detail17trampoline_kernelINS0_14default_configENS1_20scan_config_selectorIfEEZZNS1_9scan_implILNS1_25lookback_scan_determinismE0ELb1ELb1ES3_N6thrust23THRUST_200600_302600_NS6detail15normal_iteratorINS9_10device_ptrIjEEEENSB_INSC_IfEEEEfNS9_4plusIvEEfEEDaPvRmT3_T4_T5_mT6_P12ihipStream_tbENKUlT_T0_E_clISt17integral_constantIbLb0EESW_EEDaSR_SS_EUlSR_E_NS1_11comp_targetILNS1_3genE0ELNS1_11target_archE4294967295ELNS1_3gpuE0ELNS1_3repE0EEENS1_30default_config_static_selectorELNS0_4arch9wavefront6targetE1EEEvT1_,"axG",@progbits,_ZN7rocprim17ROCPRIM_400000_NS6detail17trampoline_kernelINS0_14default_configENS1_20scan_config_selectorIfEEZZNS1_9scan_implILNS1_25lookback_scan_determinismE0ELb1ELb1ES3_N6thrust23THRUST_200600_302600_NS6detail15normal_iteratorINS9_10device_ptrIjEEEENSB_INSC_IfEEEEfNS9_4plusIvEEfEEDaPvRmT3_T4_T5_mT6_P12ihipStream_tbENKUlT_T0_E_clISt17integral_constantIbLb0EESW_EEDaSR_SS_EUlSR_E_NS1_11comp_targetILNS1_3genE0ELNS1_11target_archE4294967295ELNS1_3gpuE0ELNS1_3repE0EEENS1_30default_config_static_selectorELNS0_4arch9wavefront6targetE1EEEvT1_,comdat
	.protected	_ZN7rocprim17ROCPRIM_400000_NS6detail17trampoline_kernelINS0_14default_configENS1_20scan_config_selectorIfEEZZNS1_9scan_implILNS1_25lookback_scan_determinismE0ELb1ELb1ES3_N6thrust23THRUST_200600_302600_NS6detail15normal_iteratorINS9_10device_ptrIjEEEENSB_INSC_IfEEEEfNS9_4plusIvEEfEEDaPvRmT3_T4_T5_mT6_P12ihipStream_tbENKUlT_T0_E_clISt17integral_constantIbLb0EESW_EEDaSR_SS_EUlSR_E_NS1_11comp_targetILNS1_3genE0ELNS1_11target_archE4294967295ELNS1_3gpuE0ELNS1_3repE0EEENS1_30default_config_static_selectorELNS0_4arch9wavefront6targetE1EEEvT1_ ; -- Begin function _ZN7rocprim17ROCPRIM_400000_NS6detail17trampoline_kernelINS0_14default_configENS1_20scan_config_selectorIfEEZZNS1_9scan_implILNS1_25lookback_scan_determinismE0ELb1ELb1ES3_N6thrust23THRUST_200600_302600_NS6detail15normal_iteratorINS9_10device_ptrIjEEEENSB_INSC_IfEEEEfNS9_4plusIvEEfEEDaPvRmT3_T4_T5_mT6_P12ihipStream_tbENKUlT_T0_E_clISt17integral_constantIbLb0EESW_EEDaSR_SS_EUlSR_E_NS1_11comp_targetILNS1_3genE0ELNS1_11target_archE4294967295ELNS1_3gpuE0ELNS1_3repE0EEENS1_30default_config_static_selectorELNS0_4arch9wavefront6targetE1EEEvT1_
	.globl	_ZN7rocprim17ROCPRIM_400000_NS6detail17trampoline_kernelINS0_14default_configENS1_20scan_config_selectorIfEEZZNS1_9scan_implILNS1_25lookback_scan_determinismE0ELb1ELb1ES3_N6thrust23THRUST_200600_302600_NS6detail15normal_iteratorINS9_10device_ptrIjEEEENSB_INSC_IfEEEEfNS9_4plusIvEEfEEDaPvRmT3_T4_T5_mT6_P12ihipStream_tbENKUlT_T0_E_clISt17integral_constantIbLb0EESW_EEDaSR_SS_EUlSR_E_NS1_11comp_targetILNS1_3genE0ELNS1_11target_archE4294967295ELNS1_3gpuE0ELNS1_3repE0EEENS1_30default_config_static_selectorELNS0_4arch9wavefront6targetE1EEEvT1_
	.p2align	8
	.type	_ZN7rocprim17ROCPRIM_400000_NS6detail17trampoline_kernelINS0_14default_configENS1_20scan_config_selectorIfEEZZNS1_9scan_implILNS1_25lookback_scan_determinismE0ELb1ELb1ES3_N6thrust23THRUST_200600_302600_NS6detail15normal_iteratorINS9_10device_ptrIjEEEENSB_INSC_IfEEEEfNS9_4plusIvEEfEEDaPvRmT3_T4_T5_mT6_P12ihipStream_tbENKUlT_T0_E_clISt17integral_constantIbLb0EESW_EEDaSR_SS_EUlSR_E_NS1_11comp_targetILNS1_3genE0ELNS1_11target_archE4294967295ELNS1_3gpuE0ELNS1_3repE0EEENS1_30default_config_static_selectorELNS0_4arch9wavefront6targetE1EEEvT1_,@function
_ZN7rocprim17ROCPRIM_400000_NS6detail17trampoline_kernelINS0_14default_configENS1_20scan_config_selectorIfEEZZNS1_9scan_implILNS1_25lookback_scan_determinismE0ELb1ELb1ES3_N6thrust23THRUST_200600_302600_NS6detail15normal_iteratorINS9_10device_ptrIjEEEENSB_INSC_IfEEEEfNS9_4plusIvEEfEEDaPvRmT3_T4_T5_mT6_P12ihipStream_tbENKUlT_T0_E_clISt17integral_constantIbLb0EESW_EEDaSR_SS_EUlSR_E_NS1_11comp_targetILNS1_3genE0ELNS1_11target_archE4294967295ELNS1_3gpuE0ELNS1_3repE0EEENS1_30default_config_static_selectorELNS0_4arch9wavefront6targetE1EEEvT1_: ; @_ZN7rocprim17ROCPRIM_400000_NS6detail17trampoline_kernelINS0_14default_configENS1_20scan_config_selectorIfEEZZNS1_9scan_implILNS1_25lookback_scan_determinismE0ELb1ELb1ES3_N6thrust23THRUST_200600_302600_NS6detail15normal_iteratorINS9_10device_ptrIjEEEENSB_INSC_IfEEEEfNS9_4plusIvEEfEEDaPvRmT3_T4_T5_mT6_P12ihipStream_tbENKUlT_T0_E_clISt17integral_constantIbLb0EESW_EEDaSR_SS_EUlSR_E_NS1_11comp_targetILNS1_3genE0ELNS1_11target_archE4294967295ELNS1_3gpuE0ELNS1_3repE0EEENS1_30default_config_static_selectorELNS0_4arch9wavefront6targetE1EEEvT1_
; %bb.0:
	.section	.rodata,"a",@progbits
	.p2align	6, 0x0
	.amdhsa_kernel _ZN7rocprim17ROCPRIM_400000_NS6detail17trampoline_kernelINS0_14default_configENS1_20scan_config_selectorIfEEZZNS1_9scan_implILNS1_25lookback_scan_determinismE0ELb1ELb1ES3_N6thrust23THRUST_200600_302600_NS6detail15normal_iteratorINS9_10device_ptrIjEEEENSB_INSC_IfEEEEfNS9_4plusIvEEfEEDaPvRmT3_T4_T5_mT6_P12ihipStream_tbENKUlT_T0_E_clISt17integral_constantIbLb0EESW_EEDaSR_SS_EUlSR_E_NS1_11comp_targetILNS1_3genE0ELNS1_11target_archE4294967295ELNS1_3gpuE0ELNS1_3repE0EEENS1_30default_config_static_selectorELNS0_4arch9wavefront6targetE1EEEvT1_
		.amdhsa_group_segment_fixed_size 0
		.amdhsa_private_segment_fixed_size 0
		.amdhsa_kernarg_size 96
		.amdhsa_user_sgpr_count 6
		.amdhsa_user_sgpr_private_segment_buffer 1
		.amdhsa_user_sgpr_dispatch_ptr 0
		.amdhsa_user_sgpr_queue_ptr 0
		.amdhsa_user_sgpr_kernarg_segment_ptr 1
		.amdhsa_user_sgpr_dispatch_id 0
		.amdhsa_user_sgpr_flat_scratch_init 0
		.amdhsa_user_sgpr_kernarg_preload_length 0
		.amdhsa_user_sgpr_kernarg_preload_offset 0
		.amdhsa_user_sgpr_private_segment_size 0
		.amdhsa_uses_dynamic_stack 0
		.amdhsa_system_sgpr_private_segment_wavefront_offset 0
		.amdhsa_system_sgpr_workgroup_id_x 1
		.amdhsa_system_sgpr_workgroup_id_y 0
		.amdhsa_system_sgpr_workgroup_id_z 0
		.amdhsa_system_sgpr_workgroup_info 0
		.amdhsa_system_vgpr_workitem_id 0
		.amdhsa_next_free_vgpr 1
		.amdhsa_next_free_sgpr 0
		.amdhsa_accum_offset 4
		.amdhsa_reserve_vcc 0
		.amdhsa_reserve_flat_scratch 0
		.amdhsa_float_round_mode_32 0
		.amdhsa_float_round_mode_16_64 0
		.amdhsa_float_denorm_mode_32 3
		.amdhsa_float_denorm_mode_16_64 3
		.amdhsa_dx10_clamp 1
		.amdhsa_ieee_mode 1
		.amdhsa_fp16_overflow 0
		.amdhsa_tg_split 0
		.amdhsa_exception_fp_ieee_invalid_op 0
		.amdhsa_exception_fp_denorm_src 0
		.amdhsa_exception_fp_ieee_div_zero 0
		.amdhsa_exception_fp_ieee_overflow 0
		.amdhsa_exception_fp_ieee_underflow 0
		.amdhsa_exception_fp_ieee_inexact 0
		.amdhsa_exception_int_div_zero 0
	.end_amdhsa_kernel
	.section	.text._ZN7rocprim17ROCPRIM_400000_NS6detail17trampoline_kernelINS0_14default_configENS1_20scan_config_selectorIfEEZZNS1_9scan_implILNS1_25lookback_scan_determinismE0ELb1ELb1ES3_N6thrust23THRUST_200600_302600_NS6detail15normal_iteratorINS9_10device_ptrIjEEEENSB_INSC_IfEEEEfNS9_4plusIvEEfEEDaPvRmT3_T4_T5_mT6_P12ihipStream_tbENKUlT_T0_E_clISt17integral_constantIbLb0EESW_EEDaSR_SS_EUlSR_E_NS1_11comp_targetILNS1_3genE0ELNS1_11target_archE4294967295ELNS1_3gpuE0ELNS1_3repE0EEENS1_30default_config_static_selectorELNS0_4arch9wavefront6targetE1EEEvT1_,"axG",@progbits,_ZN7rocprim17ROCPRIM_400000_NS6detail17trampoline_kernelINS0_14default_configENS1_20scan_config_selectorIfEEZZNS1_9scan_implILNS1_25lookback_scan_determinismE0ELb1ELb1ES3_N6thrust23THRUST_200600_302600_NS6detail15normal_iteratorINS9_10device_ptrIjEEEENSB_INSC_IfEEEEfNS9_4plusIvEEfEEDaPvRmT3_T4_T5_mT6_P12ihipStream_tbENKUlT_T0_E_clISt17integral_constantIbLb0EESW_EEDaSR_SS_EUlSR_E_NS1_11comp_targetILNS1_3genE0ELNS1_11target_archE4294967295ELNS1_3gpuE0ELNS1_3repE0EEENS1_30default_config_static_selectorELNS0_4arch9wavefront6targetE1EEEvT1_,comdat
.Lfunc_end6088:
	.size	_ZN7rocprim17ROCPRIM_400000_NS6detail17trampoline_kernelINS0_14default_configENS1_20scan_config_selectorIfEEZZNS1_9scan_implILNS1_25lookback_scan_determinismE0ELb1ELb1ES3_N6thrust23THRUST_200600_302600_NS6detail15normal_iteratorINS9_10device_ptrIjEEEENSB_INSC_IfEEEEfNS9_4plusIvEEfEEDaPvRmT3_T4_T5_mT6_P12ihipStream_tbENKUlT_T0_E_clISt17integral_constantIbLb0EESW_EEDaSR_SS_EUlSR_E_NS1_11comp_targetILNS1_3genE0ELNS1_11target_archE4294967295ELNS1_3gpuE0ELNS1_3repE0EEENS1_30default_config_static_selectorELNS0_4arch9wavefront6targetE1EEEvT1_, .Lfunc_end6088-_ZN7rocprim17ROCPRIM_400000_NS6detail17trampoline_kernelINS0_14default_configENS1_20scan_config_selectorIfEEZZNS1_9scan_implILNS1_25lookback_scan_determinismE0ELb1ELb1ES3_N6thrust23THRUST_200600_302600_NS6detail15normal_iteratorINS9_10device_ptrIjEEEENSB_INSC_IfEEEEfNS9_4plusIvEEfEEDaPvRmT3_T4_T5_mT6_P12ihipStream_tbENKUlT_T0_E_clISt17integral_constantIbLb0EESW_EEDaSR_SS_EUlSR_E_NS1_11comp_targetILNS1_3genE0ELNS1_11target_archE4294967295ELNS1_3gpuE0ELNS1_3repE0EEENS1_30default_config_static_selectorELNS0_4arch9wavefront6targetE1EEEvT1_
                                        ; -- End function
	.section	.AMDGPU.csdata,"",@progbits
; Kernel info:
; codeLenInByte = 0
; NumSgprs: 4
; NumVgprs: 0
; NumAgprs: 0
; TotalNumVgprs: 0
; ScratchSize: 0
; MemoryBound: 0
; FloatMode: 240
; IeeeMode: 1
; LDSByteSize: 0 bytes/workgroup (compile time only)
; SGPRBlocks: 0
; VGPRBlocks: 0
; NumSGPRsForWavesPerEU: 4
; NumVGPRsForWavesPerEU: 1
; AccumOffset: 4
; Occupancy: 8
; WaveLimiterHint : 0
; COMPUTE_PGM_RSRC2:SCRATCH_EN: 0
; COMPUTE_PGM_RSRC2:USER_SGPR: 6
; COMPUTE_PGM_RSRC2:TRAP_HANDLER: 0
; COMPUTE_PGM_RSRC2:TGID_X_EN: 1
; COMPUTE_PGM_RSRC2:TGID_Y_EN: 0
; COMPUTE_PGM_RSRC2:TGID_Z_EN: 0
; COMPUTE_PGM_RSRC2:TIDIG_COMP_CNT: 0
; COMPUTE_PGM_RSRC3_GFX90A:ACCUM_OFFSET: 0
; COMPUTE_PGM_RSRC3_GFX90A:TG_SPLIT: 0
	.section	.text._ZN7rocprim17ROCPRIM_400000_NS6detail17trampoline_kernelINS0_14default_configENS1_20scan_config_selectorIfEEZZNS1_9scan_implILNS1_25lookback_scan_determinismE0ELb1ELb1ES3_N6thrust23THRUST_200600_302600_NS6detail15normal_iteratorINS9_10device_ptrIjEEEENSB_INSC_IfEEEEfNS9_4plusIvEEfEEDaPvRmT3_T4_T5_mT6_P12ihipStream_tbENKUlT_T0_E_clISt17integral_constantIbLb0EESW_EEDaSR_SS_EUlSR_E_NS1_11comp_targetILNS1_3genE5ELNS1_11target_archE942ELNS1_3gpuE9ELNS1_3repE0EEENS1_30default_config_static_selectorELNS0_4arch9wavefront6targetE1EEEvT1_,"axG",@progbits,_ZN7rocprim17ROCPRIM_400000_NS6detail17trampoline_kernelINS0_14default_configENS1_20scan_config_selectorIfEEZZNS1_9scan_implILNS1_25lookback_scan_determinismE0ELb1ELb1ES3_N6thrust23THRUST_200600_302600_NS6detail15normal_iteratorINS9_10device_ptrIjEEEENSB_INSC_IfEEEEfNS9_4plusIvEEfEEDaPvRmT3_T4_T5_mT6_P12ihipStream_tbENKUlT_T0_E_clISt17integral_constantIbLb0EESW_EEDaSR_SS_EUlSR_E_NS1_11comp_targetILNS1_3genE5ELNS1_11target_archE942ELNS1_3gpuE9ELNS1_3repE0EEENS1_30default_config_static_selectorELNS0_4arch9wavefront6targetE1EEEvT1_,comdat
	.protected	_ZN7rocprim17ROCPRIM_400000_NS6detail17trampoline_kernelINS0_14default_configENS1_20scan_config_selectorIfEEZZNS1_9scan_implILNS1_25lookback_scan_determinismE0ELb1ELb1ES3_N6thrust23THRUST_200600_302600_NS6detail15normal_iteratorINS9_10device_ptrIjEEEENSB_INSC_IfEEEEfNS9_4plusIvEEfEEDaPvRmT3_T4_T5_mT6_P12ihipStream_tbENKUlT_T0_E_clISt17integral_constantIbLb0EESW_EEDaSR_SS_EUlSR_E_NS1_11comp_targetILNS1_3genE5ELNS1_11target_archE942ELNS1_3gpuE9ELNS1_3repE0EEENS1_30default_config_static_selectorELNS0_4arch9wavefront6targetE1EEEvT1_ ; -- Begin function _ZN7rocprim17ROCPRIM_400000_NS6detail17trampoline_kernelINS0_14default_configENS1_20scan_config_selectorIfEEZZNS1_9scan_implILNS1_25lookback_scan_determinismE0ELb1ELb1ES3_N6thrust23THRUST_200600_302600_NS6detail15normal_iteratorINS9_10device_ptrIjEEEENSB_INSC_IfEEEEfNS9_4plusIvEEfEEDaPvRmT3_T4_T5_mT6_P12ihipStream_tbENKUlT_T0_E_clISt17integral_constantIbLb0EESW_EEDaSR_SS_EUlSR_E_NS1_11comp_targetILNS1_3genE5ELNS1_11target_archE942ELNS1_3gpuE9ELNS1_3repE0EEENS1_30default_config_static_selectorELNS0_4arch9wavefront6targetE1EEEvT1_
	.globl	_ZN7rocprim17ROCPRIM_400000_NS6detail17trampoline_kernelINS0_14default_configENS1_20scan_config_selectorIfEEZZNS1_9scan_implILNS1_25lookback_scan_determinismE0ELb1ELb1ES3_N6thrust23THRUST_200600_302600_NS6detail15normal_iteratorINS9_10device_ptrIjEEEENSB_INSC_IfEEEEfNS9_4plusIvEEfEEDaPvRmT3_T4_T5_mT6_P12ihipStream_tbENKUlT_T0_E_clISt17integral_constantIbLb0EESW_EEDaSR_SS_EUlSR_E_NS1_11comp_targetILNS1_3genE5ELNS1_11target_archE942ELNS1_3gpuE9ELNS1_3repE0EEENS1_30default_config_static_selectorELNS0_4arch9wavefront6targetE1EEEvT1_
	.p2align	8
	.type	_ZN7rocprim17ROCPRIM_400000_NS6detail17trampoline_kernelINS0_14default_configENS1_20scan_config_selectorIfEEZZNS1_9scan_implILNS1_25lookback_scan_determinismE0ELb1ELb1ES3_N6thrust23THRUST_200600_302600_NS6detail15normal_iteratorINS9_10device_ptrIjEEEENSB_INSC_IfEEEEfNS9_4plusIvEEfEEDaPvRmT3_T4_T5_mT6_P12ihipStream_tbENKUlT_T0_E_clISt17integral_constantIbLb0EESW_EEDaSR_SS_EUlSR_E_NS1_11comp_targetILNS1_3genE5ELNS1_11target_archE942ELNS1_3gpuE9ELNS1_3repE0EEENS1_30default_config_static_selectorELNS0_4arch9wavefront6targetE1EEEvT1_,@function
_ZN7rocprim17ROCPRIM_400000_NS6detail17trampoline_kernelINS0_14default_configENS1_20scan_config_selectorIfEEZZNS1_9scan_implILNS1_25lookback_scan_determinismE0ELb1ELb1ES3_N6thrust23THRUST_200600_302600_NS6detail15normal_iteratorINS9_10device_ptrIjEEEENSB_INSC_IfEEEEfNS9_4plusIvEEfEEDaPvRmT3_T4_T5_mT6_P12ihipStream_tbENKUlT_T0_E_clISt17integral_constantIbLb0EESW_EEDaSR_SS_EUlSR_E_NS1_11comp_targetILNS1_3genE5ELNS1_11target_archE942ELNS1_3gpuE9ELNS1_3repE0EEENS1_30default_config_static_selectorELNS0_4arch9wavefront6targetE1EEEvT1_: ; @_ZN7rocprim17ROCPRIM_400000_NS6detail17trampoline_kernelINS0_14default_configENS1_20scan_config_selectorIfEEZZNS1_9scan_implILNS1_25lookback_scan_determinismE0ELb1ELb1ES3_N6thrust23THRUST_200600_302600_NS6detail15normal_iteratorINS9_10device_ptrIjEEEENSB_INSC_IfEEEEfNS9_4plusIvEEfEEDaPvRmT3_T4_T5_mT6_P12ihipStream_tbENKUlT_T0_E_clISt17integral_constantIbLb0EESW_EEDaSR_SS_EUlSR_E_NS1_11comp_targetILNS1_3genE5ELNS1_11target_archE942ELNS1_3gpuE9ELNS1_3repE0EEENS1_30default_config_static_selectorELNS0_4arch9wavefront6targetE1EEEvT1_
; %bb.0:
	.section	.rodata,"a",@progbits
	.p2align	6, 0x0
	.amdhsa_kernel _ZN7rocprim17ROCPRIM_400000_NS6detail17trampoline_kernelINS0_14default_configENS1_20scan_config_selectorIfEEZZNS1_9scan_implILNS1_25lookback_scan_determinismE0ELb1ELb1ES3_N6thrust23THRUST_200600_302600_NS6detail15normal_iteratorINS9_10device_ptrIjEEEENSB_INSC_IfEEEEfNS9_4plusIvEEfEEDaPvRmT3_T4_T5_mT6_P12ihipStream_tbENKUlT_T0_E_clISt17integral_constantIbLb0EESW_EEDaSR_SS_EUlSR_E_NS1_11comp_targetILNS1_3genE5ELNS1_11target_archE942ELNS1_3gpuE9ELNS1_3repE0EEENS1_30default_config_static_selectorELNS0_4arch9wavefront6targetE1EEEvT1_
		.amdhsa_group_segment_fixed_size 0
		.amdhsa_private_segment_fixed_size 0
		.amdhsa_kernarg_size 96
		.amdhsa_user_sgpr_count 6
		.amdhsa_user_sgpr_private_segment_buffer 1
		.amdhsa_user_sgpr_dispatch_ptr 0
		.amdhsa_user_sgpr_queue_ptr 0
		.amdhsa_user_sgpr_kernarg_segment_ptr 1
		.amdhsa_user_sgpr_dispatch_id 0
		.amdhsa_user_sgpr_flat_scratch_init 0
		.amdhsa_user_sgpr_kernarg_preload_length 0
		.amdhsa_user_sgpr_kernarg_preload_offset 0
		.amdhsa_user_sgpr_private_segment_size 0
		.amdhsa_uses_dynamic_stack 0
		.amdhsa_system_sgpr_private_segment_wavefront_offset 0
		.amdhsa_system_sgpr_workgroup_id_x 1
		.amdhsa_system_sgpr_workgroup_id_y 0
		.amdhsa_system_sgpr_workgroup_id_z 0
		.amdhsa_system_sgpr_workgroup_info 0
		.amdhsa_system_vgpr_workitem_id 0
		.amdhsa_next_free_vgpr 1
		.amdhsa_next_free_sgpr 0
		.amdhsa_accum_offset 4
		.amdhsa_reserve_vcc 0
		.amdhsa_reserve_flat_scratch 0
		.amdhsa_float_round_mode_32 0
		.amdhsa_float_round_mode_16_64 0
		.amdhsa_float_denorm_mode_32 3
		.amdhsa_float_denorm_mode_16_64 3
		.amdhsa_dx10_clamp 1
		.amdhsa_ieee_mode 1
		.amdhsa_fp16_overflow 0
		.amdhsa_tg_split 0
		.amdhsa_exception_fp_ieee_invalid_op 0
		.amdhsa_exception_fp_denorm_src 0
		.amdhsa_exception_fp_ieee_div_zero 0
		.amdhsa_exception_fp_ieee_overflow 0
		.amdhsa_exception_fp_ieee_underflow 0
		.amdhsa_exception_fp_ieee_inexact 0
		.amdhsa_exception_int_div_zero 0
	.end_amdhsa_kernel
	.section	.text._ZN7rocprim17ROCPRIM_400000_NS6detail17trampoline_kernelINS0_14default_configENS1_20scan_config_selectorIfEEZZNS1_9scan_implILNS1_25lookback_scan_determinismE0ELb1ELb1ES3_N6thrust23THRUST_200600_302600_NS6detail15normal_iteratorINS9_10device_ptrIjEEEENSB_INSC_IfEEEEfNS9_4plusIvEEfEEDaPvRmT3_T4_T5_mT6_P12ihipStream_tbENKUlT_T0_E_clISt17integral_constantIbLb0EESW_EEDaSR_SS_EUlSR_E_NS1_11comp_targetILNS1_3genE5ELNS1_11target_archE942ELNS1_3gpuE9ELNS1_3repE0EEENS1_30default_config_static_selectorELNS0_4arch9wavefront6targetE1EEEvT1_,"axG",@progbits,_ZN7rocprim17ROCPRIM_400000_NS6detail17trampoline_kernelINS0_14default_configENS1_20scan_config_selectorIfEEZZNS1_9scan_implILNS1_25lookback_scan_determinismE0ELb1ELb1ES3_N6thrust23THRUST_200600_302600_NS6detail15normal_iteratorINS9_10device_ptrIjEEEENSB_INSC_IfEEEEfNS9_4plusIvEEfEEDaPvRmT3_T4_T5_mT6_P12ihipStream_tbENKUlT_T0_E_clISt17integral_constantIbLb0EESW_EEDaSR_SS_EUlSR_E_NS1_11comp_targetILNS1_3genE5ELNS1_11target_archE942ELNS1_3gpuE9ELNS1_3repE0EEENS1_30default_config_static_selectorELNS0_4arch9wavefront6targetE1EEEvT1_,comdat
.Lfunc_end6089:
	.size	_ZN7rocprim17ROCPRIM_400000_NS6detail17trampoline_kernelINS0_14default_configENS1_20scan_config_selectorIfEEZZNS1_9scan_implILNS1_25lookback_scan_determinismE0ELb1ELb1ES3_N6thrust23THRUST_200600_302600_NS6detail15normal_iteratorINS9_10device_ptrIjEEEENSB_INSC_IfEEEEfNS9_4plusIvEEfEEDaPvRmT3_T4_T5_mT6_P12ihipStream_tbENKUlT_T0_E_clISt17integral_constantIbLb0EESW_EEDaSR_SS_EUlSR_E_NS1_11comp_targetILNS1_3genE5ELNS1_11target_archE942ELNS1_3gpuE9ELNS1_3repE0EEENS1_30default_config_static_selectorELNS0_4arch9wavefront6targetE1EEEvT1_, .Lfunc_end6089-_ZN7rocprim17ROCPRIM_400000_NS6detail17trampoline_kernelINS0_14default_configENS1_20scan_config_selectorIfEEZZNS1_9scan_implILNS1_25lookback_scan_determinismE0ELb1ELb1ES3_N6thrust23THRUST_200600_302600_NS6detail15normal_iteratorINS9_10device_ptrIjEEEENSB_INSC_IfEEEEfNS9_4plusIvEEfEEDaPvRmT3_T4_T5_mT6_P12ihipStream_tbENKUlT_T0_E_clISt17integral_constantIbLb0EESW_EEDaSR_SS_EUlSR_E_NS1_11comp_targetILNS1_3genE5ELNS1_11target_archE942ELNS1_3gpuE9ELNS1_3repE0EEENS1_30default_config_static_selectorELNS0_4arch9wavefront6targetE1EEEvT1_
                                        ; -- End function
	.section	.AMDGPU.csdata,"",@progbits
; Kernel info:
; codeLenInByte = 0
; NumSgprs: 4
; NumVgprs: 0
; NumAgprs: 0
; TotalNumVgprs: 0
; ScratchSize: 0
; MemoryBound: 0
; FloatMode: 240
; IeeeMode: 1
; LDSByteSize: 0 bytes/workgroup (compile time only)
; SGPRBlocks: 0
; VGPRBlocks: 0
; NumSGPRsForWavesPerEU: 4
; NumVGPRsForWavesPerEU: 1
; AccumOffset: 4
; Occupancy: 8
; WaveLimiterHint : 0
; COMPUTE_PGM_RSRC2:SCRATCH_EN: 0
; COMPUTE_PGM_RSRC2:USER_SGPR: 6
; COMPUTE_PGM_RSRC2:TRAP_HANDLER: 0
; COMPUTE_PGM_RSRC2:TGID_X_EN: 1
; COMPUTE_PGM_RSRC2:TGID_Y_EN: 0
; COMPUTE_PGM_RSRC2:TGID_Z_EN: 0
; COMPUTE_PGM_RSRC2:TIDIG_COMP_CNT: 0
; COMPUTE_PGM_RSRC3_GFX90A:ACCUM_OFFSET: 0
; COMPUTE_PGM_RSRC3_GFX90A:TG_SPLIT: 0
	.section	.text._ZN7rocprim17ROCPRIM_400000_NS6detail17trampoline_kernelINS0_14default_configENS1_20scan_config_selectorIfEEZZNS1_9scan_implILNS1_25lookback_scan_determinismE0ELb1ELb1ES3_N6thrust23THRUST_200600_302600_NS6detail15normal_iteratorINS9_10device_ptrIjEEEENSB_INSC_IfEEEEfNS9_4plusIvEEfEEDaPvRmT3_T4_T5_mT6_P12ihipStream_tbENKUlT_T0_E_clISt17integral_constantIbLb0EESW_EEDaSR_SS_EUlSR_E_NS1_11comp_targetILNS1_3genE4ELNS1_11target_archE910ELNS1_3gpuE8ELNS1_3repE0EEENS1_30default_config_static_selectorELNS0_4arch9wavefront6targetE1EEEvT1_,"axG",@progbits,_ZN7rocprim17ROCPRIM_400000_NS6detail17trampoline_kernelINS0_14default_configENS1_20scan_config_selectorIfEEZZNS1_9scan_implILNS1_25lookback_scan_determinismE0ELb1ELb1ES3_N6thrust23THRUST_200600_302600_NS6detail15normal_iteratorINS9_10device_ptrIjEEEENSB_INSC_IfEEEEfNS9_4plusIvEEfEEDaPvRmT3_T4_T5_mT6_P12ihipStream_tbENKUlT_T0_E_clISt17integral_constantIbLb0EESW_EEDaSR_SS_EUlSR_E_NS1_11comp_targetILNS1_3genE4ELNS1_11target_archE910ELNS1_3gpuE8ELNS1_3repE0EEENS1_30default_config_static_selectorELNS0_4arch9wavefront6targetE1EEEvT1_,comdat
	.protected	_ZN7rocprim17ROCPRIM_400000_NS6detail17trampoline_kernelINS0_14default_configENS1_20scan_config_selectorIfEEZZNS1_9scan_implILNS1_25lookback_scan_determinismE0ELb1ELb1ES3_N6thrust23THRUST_200600_302600_NS6detail15normal_iteratorINS9_10device_ptrIjEEEENSB_INSC_IfEEEEfNS9_4plusIvEEfEEDaPvRmT3_T4_T5_mT6_P12ihipStream_tbENKUlT_T0_E_clISt17integral_constantIbLb0EESW_EEDaSR_SS_EUlSR_E_NS1_11comp_targetILNS1_3genE4ELNS1_11target_archE910ELNS1_3gpuE8ELNS1_3repE0EEENS1_30default_config_static_selectorELNS0_4arch9wavefront6targetE1EEEvT1_ ; -- Begin function _ZN7rocprim17ROCPRIM_400000_NS6detail17trampoline_kernelINS0_14default_configENS1_20scan_config_selectorIfEEZZNS1_9scan_implILNS1_25lookback_scan_determinismE0ELb1ELb1ES3_N6thrust23THRUST_200600_302600_NS6detail15normal_iteratorINS9_10device_ptrIjEEEENSB_INSC_IfEEEEfNS9_4plusIvEEfEEDaPvRmT3_T4_T5_mT6_P12ihipStream_tbENKUlT_T0_E_clISt17integral_constantIbLb0EESW_EEDaSR_SS_EUlSR_E_NS1_11comp_targetILNS1_3genE4ELNS1_11target_archE910ELNS1_3gpuE8ELNS1_3repE0EEENS1_30default_config_static_selectorELNS0_4arch9wavefront6targetE1EEEvT1_
	.globl	_ZN7rocprim17ROCPRIM_400000_NS6detail17trampoline_kernelINS0_14default_configENS1_20scan_config_selectorIfEEZZNS1_9scan_implILNS1_25lookback_scan_determinismE0ELb1ELb1ES3_N6thrust23THRUST_200600_302600_NS6detail15normal_iteratorINS9_10device_ptrIjEEEENSB_INSC_IfEEEEfNS9_4plusIvEEfEEDaPvRmT3_T4_T5_mT6_P12ihipStream_tbENKUlT_T0_E_clISt17integral_constantIbLb0EESW_EEDaSR_SS_EUlSR_E_NS1_11comp_targetILNS1_3genE4ELNS1_11target_archE910ELNS1_3gpuE8ELNS1_3repE0EEENS1_30default_config_static_selectorELNS0_4arch9wavefront6targetE1EEEvT1_
	.p2align	8
	.type	_ZN7rocprim17ROCPRIM_400000_NS6detail17trampoline_kernelINS0_14default_configENS1_20scan_config_selectorIfEEZZNS1_9scan_implILNS1_25lookback_scan_determinismE0ELb1ELb1ES3_N6thrust23THRUST_200600_302600_NS6detail15normal_iteratorINS9_10device_ptrIjEEEENSB_INSC_IfEEEEfNS9_4plusIvEEfEEDaPvRmT3_T4_T5_mT6_P12ihipStream_tbENKUlT_T0_E_clISt17integral_constantIbLb0EESW_EEDaSR_SS_EUlSR_E_NS1_11comp_targetILNS1_3genE4ELNS1_11target_archE910ELNS1_3gpuE8ELNS1_3repE0EEENS1_30default_config_static_selectorELNS0_4arch9wavefront6targetE1EEEvT1_,@function
_ZN7rocprim17ROCPRIM_400000_NS6detail17trampoline_kernelINS0_14default_configENS1_20scan_config_selectorIfEEZZNS1_9scan_implILNS1_25lookback_scan_determinismE0ELb1ELb1ES3_N6thrust23THRUST_200600_302600_NS6detail15normal_iteratorINS9_10device_ptrIjEEEENSB_INSC_IfEEEEfNS9_4plusIvEEfEEDaPvRmT3_T4_T5_mT6_P12ihipStream_tbENKUlT_T0_E_clISt17integral_constantIbLb0EESW_EEDaSR_SS_EUlSR_E_NS1_11comp_targetILNS1_3genE4ELNS1_11target_archE910ELNS1_3gpuE8ELNS1_3repE0EEENS1_30default_config_static_selectorELNS0_4arch9wavefront6targetE1EEEvT1_: ; @_ZN7rocprim17ROCPRIM_400000_NS6detail17trampoline_kernelINS0_14default_configENS1_20scan_config_selectorIfEEZZNS1_9scan_implILNS1_25lookback_scan_determinismE0ELb1ELb1ES3_N6thrust23THRUST_200600_302600_NS6detail15normal_iteratorINS9_10device_ptrIjEEEENSB_INSC_IfEEEEfNS9_4plusIvEEfEEDaPvRmT3_T4_T5_mT6_P12ihipStream_tbENKUlT_T0_E_clISt17integral_constantIbLb0EESW_EEDaSR_SS_EUlSR_E_NS1_11comp_targetILNS1_3genE4ELNS1_11target_archE910ELNS1_3gpuE8ELNS1_3repE0EEENS1_30default_config_static_selectorELNS0_4arch9wavefront6targetE1EEEvT1_
; %bb.0:
	s_load_dwordx8 s[12:19], s[4:5], 0x0
	s_load_dword s1, s[4:5], 0x30
	s_mul_i32 s0, s6, 0x700
	v_lshlrev_b32_e32 v32, 2, v0
	s_waitcnt lgkmcnt(0)
	s_lshl_b64 s[20:21], s[14:15], 2
	s_add_u32 s29, s12, s20
	s_addc_u32 s30, s13, s21
	s_add_i32 s2, s1, -1
	s_mul_i32 s3, s2, 0x700
	s_sub_u32 s7, s18, s3
	s_subb_u32 s28, s19, 0
	s_mov_b32 s1, 0
	s_cmp_lg_u32 s6, s2
	s_cselect_b64 s[18:19], -1, 0
	s_lshl_b64 s[22:23], s[0:1], 2
	s_add_u32 s2, s29, s22
	s_addc_u32 s3, s30, s23
	s_mov_b64 s[0:1], -1
	s_and_b64 vcc, exec, s[18:19]
	s_cbranch_vccz .LBB6090_2
; %bb.1:
	v_mov_b32_e32 v1, s3
	v_add_co_u32_e32 v2, vcc, s2, v32
	v_addc_co_u32_e32 v3, vcc, 0, v1, vcc
	s_movk_i32 s0, 0x1000
	flat_load_dword v1, v[2:3]
	flat_load_dword v4, v[2:3] offset:512
	flat_load_dword v5, v[2:3] offset:1024
	;; [unrolled: 1-line block ×7, first 2 shown]
	v_add_co_u32_e32 v2, vcc, s0, v2
	v_addc_co_u32_e32 v3, vcc, 0, v3, vcc
	flat_load_dword v11, v[2:3]
	flat_load_dword v12, v[2:3] offset:512
	flat_load_dword v13, v[2:3] offset:1024
	;; [unrolled: 1-line block ×5, first 2 shown]
	s_mov_b64 s[0:1], 0
	s_waitcnt vmcnt(0) lgkmcnt(0)
	v_cvt_f32_u32_e32 v1, v1
	v_cvt_f32_u32_e32 v2, v4
	;; [unrolled: 1-line block ×14, first 2 shown]
	ds_write2st64_b32 v32, v1, v2 offset1:2
	ds_write2st64_b32 v32, v3, v4 offset0:4 offset1:6
	ds_write2st64_b32 v32, v5, v6 offset0:8 offset1:10
	;; [unrolled: 1-line block ×6, first 2 shown]
	s_waitcnt lgkmcnt(0)
	s_barrier
.LBB6090_2:
	s_load_dwordx2 s[24:25], s[4:5], 0x28
	s_andn2_b64 vcc, exec, s[0:1]
	v_cmp_gt_u32_e64 s[0:1], s7, v0
	s_cbranch_vccnz .LBB6090_32
; %bb.3:
	v_pk_mov_b32 v[2:3], s[2:3], s[2:3] op_sel:[0,1]
	flat_load_dword v1, v[2:3]
	s_waitcnt vmcnt(0) lgkmcnt(0)
	v_cvt_f32_u32_e32 v1, v1
	v_mov_b32_e32 v2, v1
	v_mov_b32_e32 v3, v1
	;; [unrolled: 1-line block ×12, first 2 shown]
	v_pk_mov_b32 v[16:17], v[14:15], v[14:15] op_sel:[0,1]
	v_pk_mov_b32 v[14:15], v[12:13], v[12:13] op_sel:[0,1]
	;; [unrolled: 1-line block ×8, first 2 shown]
	s_and_saveexec_b64 s[8:9], s[0:1]
	s_cbranch_execz .LBB6090_5
; %bb.4:
	v_mov_b32_e32 v3, s3
	v_add_co_u32_e32 v2, vcc, s2, v32
	v_addc_co_u32_e32 v3, vcc, 0, v3, vcc
	flat_load_dword v11, v[2:3]
	v_mov_b32_e32 v2, v1
	v_mov_b32_e32 v3, v1
	;; [unrolled: 1-line block ×11, first 2 shown]
	s_waitcnt vmcnt(0) lgkmcnt(0)
	v_cvt_f32_u32_e32 v18, v11
	v_mov_b32_e32 v11, v1
	v_pk_mov_b32 v[16:17], v[14:15], v[14:15] op_sel:[0,1]
	v_pk_mov_b32 v[14:15], v[12:13], v[12:13] op_sel:[0,1]
	;; [unrolled: 1-line block ×8, first 2 shown]
	v_mov_b32_e32 v1, v18
.LBB6090_5:
	s_or_b64 exec, exec, s[8:9]
	v_or_b32_e32 v2, 0x80, v0
	v_cmp_gt_u32_e32 vcc, s7, v2
	s_and_saveexec_b64 s[0:1], vcc
	s_cbranch_execz .LBB6090_7
; %bb.6:
	v_mov_b32_e32 v3, s3
	v_add_co_u32_e32 v2, vcc, s2, v32
	v_addc_co_u32_e32 v3, vcc, 0, v3, vcc
	flat_load_dword v2, v[2:3] offset:512
	s_waitcnt vmcnt(0) lgkmcnt(0)
	v_cvt_f32_u32_e32 v3, v2
.LBB6090_7:
	s_or_b64 exec, exec, s[0:1]
	v_or_b32_e32 v2, 0x100, v0
	v_cmp_gt_u32_e32 vcc, s7, v2
	s_and_saveexec_b64 s[0:1], vcc
	s_cbranch_execz .LBB6090_9
; %bb.8:
	v_mov_b32_e32 v2, s3
	v_add_co_u32_e32 v16, vcc, s2, v32
	v_addc_co_u32_e32 v17, vcc, 0, v2, vcc
	flat_load_dword v2, v[16:17] offset:1024
	s_waitcnt vmcnt(0) lgkmcnt(0)
	v_cvt_f32_u32_e32 v4, v2
.LBB6090_9:
	;; [unrolled: 13-line block ×7, first 2 shown]
	s_or_b64 exec, exec, s[0:1]
	v_or_b32_e32 v2, 0x400, v0
	v_cmp_gt_u32_e32 vcc, s7, v2
	s_and_saveexec_b64 s[0:1], vcc
	s_cbranch_execz .LBB6090_21
; %bb.20:
	v_lshlrev_b32_e32 v2, 2, v2
	v_mov_b32_e32 v10, s3
	v_add_co_u32_e32 v16, vcc, s2, v2
	v_addc_co_u32_e32 v17, vcc, 0, v10, vcc
	flat_load_dword v2, v[16:17]
	s_waitcnt vmcnt(0) lgkmcnt(0)
	v_cvt_f32_u32_e32 v10, v2
.LBB6090_21:
	s_or_b64 exec, exec, s[0:1]
	v_or_b32_e32 v2, 0x480, v0
	v_cmp_gt_u32_e32 vcc, s7, v2
	s_and_saveexec_b64 s[0:1], vcc
	s_cbranch_execz .LBB6090_23
; %bb.22:
	v_lshlrev_b32_e32 v2, 2, v2
	v_mov_b32_e32 v11, s3
	v_add_co_u32_e32 v16, vcc, s2, v2
	v_addc_co_u32_e32 v17, vcc, 0, v11, vcc
	flat_load_dword v2, v[16:17]
	s_waitcnt vmcnt(0) lgkmcnt(0)
	v_cvt_f32_u32_e32 v11, v2
.LBB6090_23:
	;; [unrolled: 14-line block ×6, first 2 shown]
	s_or_b64 exec, exec, s[0:1]
	ds_write2st64_b32 v32, v1, v3 offset1:2
	ds_write2st64_b32 v32, v4, v5 offset0:4 offset1:6
	ds_write2st64_b32 v32, v6, v7 offset0:8 offset1:10
	;; [unrolled: 1-line block ×6, first 2 shown]
	s_waitcnt lgkmcnt(0)
	s_barrier
.LBB6090_32:
	v_mul_u32_u24_e32 v33, 14, v0
	v_lshlrev_b32_e32 v34, 2, v33
	s_waitcnt lgkmcnt(0)
	ds_read2_b64 v[26:29], v34 offset1:1
	ds_read2_b64 v[22:25], v34 offset0:2 offset1:3
	ds_read2_b64 v[18:21], v34 offset0:4 offset1:5
	ds_read_b64 v[30:31], v34 offset:48
	s_cmp_lg_u32 s6, 0
	s_waitcnt lgkmcnt(3)
	v_add_f32_e32 v35, v26, v27
	v_lshrrev_b32_e32 v1, 5, v0
	v_cmp_gt_u32_e32 vcc, 64, v0
	s_waitcnt lgkmcnt(0)
	s_barrier
	s_cbranch_scc0 .LBB6090_57
; %bb.33:
	v_add_f32_e32 v2, v28, v35
	v_add_f32_e32 v2, v29, v2
	;; [unrolled: 1-line block ×12, first 2 shown]
	v_add_lshl_u32 v2, v1, v0, 2
	ds_write_b32 v2, v12
	s_waitcnt lgkmcnt(0)
	s_barrier
	s_and_saveexec_b64 s[10:11], vcc
	s_cbranch_execz .LBB6090_35
; %bb.34:
	v_lshlrev_b32_e32 v2, 1, v0
	v_lshrrev_b32_e32 v3, 4, v0
	v_add_lshl_u32 v4, v3, v2, 2
	ds_read2_b32 v[2:3], v4 offset1:1
	v_mbcnt_lo_u32_b32 v5, -1, 0
	v_mbcnt_hi_u32_b32 v5, -1, v5
	v_and_b32_e32 v6, 15, v5
	v_cmp_eq_u32_e64 s[0:1], 0, v6
	s_waitcnt lgkmcnt(0)
	v_add_f32_e32 v3, v2, v3
	v_cmp_lt_u32_e64 s[2:3], 3, v6
	v_cmp_lt_u32_e64 s[8:9], 31, v5
	v_mov_b32_dpp v7, v3 row_shr:1 row_mask:0xf bank_mask:0xf
	v_add_f32_e32 v7, v3, v7
	v_cndmask_b32_e64 v3, v7, v3, s[0:1]
	v_cmp_lt_u32_e64 s[0:1], 1, v6
	s_nop 0
	v_mov_b32_dpp v7, v3 row_shr:2 row_mask:0xf bank_mask:0xf
	v_add_f32_e32 v7, v3, v7
	v_cndmask_b32_e64 v7, v3, v7, s[0:1]
	; wave barrier
	s_nop 1
	v_mov_b32_dpp v8, v7 row_shr:4 row_mask:0xf bank_mask:0xf
	v_add_f32_e32 v8, v7, v8
	v_cndmask_b32_e64 v7, v7, v8, s[2:3]
	v_cmp_lt_u32_e64 s[2:3], 7, v6
	s_nop 0
	v_mov_b32_dpp v8, v7 row_shr:8 row_mask:0xf bank_mask:0xf
	v_add_f32_e32 v8, v7, v8
	v_cndmask_b32_e64 v6, v7, v8, s[2:3]
	v_and_b32_e32 v8, 16, v5
	v_cmp_eq_u32_e64 s[2:3], 0, v8
	v_mov_b32_dpp v7, v6 row_bcast:15 row_mask:0xf bank_mask:0xf
	v_add_f32_e32 v7, v6, v7
	v_cndmask_b32_e64 v6, v7, v6, s[2:3]
	v_cmp_lt_u32_e64 s[2:3], 15, v5
	s_or_b64 s[0:1], s[2:3], s[0:1]
	v_mov_b32_dpp v7, v6 row_bcast:31 row_mask:0xf bank_mask:0xf
	v_add_f32_e32 v7, v6, v7
	v_cndmask_b32_e64 v6, v6, v7, s[8:9]
	v_cndmask_b32_e64 v3, v3, v6, s[0:1]
	v_add_u32_e32 v6, -1, v5
	v_and_b32_e32 v7, 64, v5
	v_cmp_lt_i32_e64 s[0:1], v6, v7
	v_cndmask_b32_e64 v5, v6, v5, s[0:1]
	v_lshlrev_b32_e32 v5, 2, v5
	ds_bpermute_b32 v3, v5, v3
	v_cmp_eq_u32_e64 s[0:1], 0, v0
	s_waitcnt lgkmcnt(0)
	v_add_f32_e32 v2, v2, v3
	v_cndmask_b32_e64 v2, v2, v12, s[0:1]
	ds_write_b32 v4, v2
	; wave barrier
	ds_read_b32 v3, v4 offset:4
	s_waitcnt lgkmcnt(0)
	v_add_f32_e32 v2, v2, v3
	ds_write_b32 v4, v2 offset:4
.LBB6090_35:
	s_or_b64 exec, exec, s[10:11]
	v_cmp_eq_u32_e64 s[0:1], 0, v0
	v_cmp_ne_u32_e64 s[2:3], 0, v0
	s_waitcnt lgkmcnt(0)
	s_barrier
	s_and_saveexec_b64 s[8:9], s[2:3]
	s_cbranch_execz .LBB6090_37
; %bb.36:
	v_add_u32_e32 v2, -1, v0
	v_lshrrev_b32_e32 v3, 5, v2
	v_add_lshl_u32 v2, v3, v2, 2
	ds_read_b32 v12, v2
.LBB6090_37:
	s_or_b64 exec, exec, s[8:9]
	s_and_saveexec_b64 s[26:27], vcc
	s_cbranch_execz .LBB6090_56
; %bb.38:
	v_mov_b32_e32 v9, 0
	ds_read_b32 v2, v9 offset:520
	v_mbcnt_lo_u32_b32 v3, -1, 0
	v_mbcnt_hi_u32_b32 v5, -1, v3
	s_mov_b32 s11, 0
	v_cmp_eq_u32_e64 s[2:3], 0, v5
	s_and_saveexec_b64 s[8:9], s[2:3]
	s_cbranch_execz .LBB6090_40
; %bb.39:
	s_add_i32 s10, s6, 64
	s_lshl_b64 s[10:11], s[10:11], 3
	s_add_u32 s10, s24, s10
	v_mov_b32_e32 v3, 1
	s_addc_u32 s11, s25, s11
	s_waitcnt lgkmcnt(0)
	global_store_dwordx2 v9, v[2:3], s[10:11]
.LBB6090_40:
	s_or_b64 exec, exec, s[8:9]
	v_xad_u32 v4, v5, -1, s6
	v_add_u32_e32 v8, 64, v4
	v_lshlrev_b64 v[6:7], 3, v[8:9]
	v_mov_b32_e32 v3, s25
	v_add_co_u32_e32 v10, vcc, s24, v6
	v_addc_co_u32_e32 v11, vcc, v3, v7, vcc
	global_load_dwordx2 v[6:7], v[10:11], off glc
	s_waitcnt vmcnt(0)
	v_cmp_eq_u16_sdwa s[10:11], v7, v9 src0_sel:BYTE_0 src1_sel:DWORD
	s_and_saveexec_b64 s[8:9], s[10:11]
	s_cbranch_execz .LBB6090_44
; %bb.41:
	s_mov_b64 s[10:11], 0
	v_mov_b32_e32 v3, 0
.LBB6090_42:                            ; =>This Inner Loop Header: Depth=1
	global_load_dwordx2 v[6:7], v[10:11], off glc
	s_waitcnt vmcnt(0)
	v_cmp_ne_u16_sdwa s[12:13], v7, v3 src0_sel:BYTE_0 src1_sel:DWORD
	s_or_b64 s[10:11], s[12:13], s[10:11]
	s_andn2_b64 exec, exec, s[10:11]
	s_cbranch_execnz .LBB6090_42
; %bb.43:
	s_or_b64 exec, exec, s[10:11]
.LBB6090_44:
	s_or_b64 exec, exec, s[8:9]
	v_and_b32_e32 v13, 63, v5
	v_cmp_ne_u32_e32 vcc, 63, v13
	v_addc_co_u32_e32 v14, vcc, 0, v5, vcc
	v_mov_b32_e32 v3, 2
	v_lshlrev_b32_e32 v14, 2, v14
	v_cmp_eq_u16_sdwa s[8:9], v7, v3 src0_sel:BYTE_0 src1_sel:DWORD
	v_lshlrev_b64 v[8:9], v5, -1
	ds_bpermute_b32 v15, v14, v6
	v_and_b32_e32 v10, s9, v9
	v_or_b32_e32 v10, 0x80000000, v10
	v_and_b32_e32 v11, s8, v8
	v_ffbl_b32_e32 v10, v10
	v_add_u32_e32 v10, 32, v10
	v_ffbl_b32_e32 v11, v11
	v_cmp_gt_u32_e64 s[8:9], 62, v13
	v_min_u32_e32 v10, v11, v10
	s_waitcnt lgkmcnt(0)
	v_add_f32_e32 v11, v6, v15
	v_cndmask_b32_e64 v15, 0, 1, s[8:9]
	v_cmp_lt_u32_e32 vcc, v13, v10
	v_lshlrev_b32_e32 v15, 1, v15
	v_cndmask_b32_e32 v11, v6, v11, vcc
	v_add_lshl_u32 v15, v15, v5, 2
	ds_bpermute_b32 v17, v15, v11
	v_add_u32_e32 v16, 2, v13
	v_cmp_gt_u32_e64 s[8:9], v16, v10
	v_cmp_gt_u32_e64 s[10:11], 56, v13
	v_add_u32_e32 v36, 4, v13
	s_waitcnt lgkmcnt(0)
	v_add_f32_e32 v17, v11, v17
	v_cndmask_b32_e64 v11, v17, v11, s[8:9]
	v_cmp_gt_u32_e64 s[8:9], 60, v13
	v_cndmask_b32_e64 v17, 0, 1, s[8:9]
	v_lshlrev_b32_e32 v17, 2, v17
	v_add_lshl_u32 v17, v17, v5, 2
	ds_bpermute_b32 v37, v17, v11
	v_cmp_gt_u32_e64 s[8:9], v36, v10
	v_add_u32_e32 v38, 8, v13
	v_cmp_gt_u32_e64 s[12:13], 48, v13
	v_cmp_gt_u32_e64 s[14:15], 32, v13
	s_waitcnt lgkmcnt(0)
	v_add_f32_e32 v41, v11, v37
	v_cndmask_b32_e64 v37, 0, 1, s[10:11]
	v_lshlrev_b32_e32 v37, 3, v37
	v_cndmask_b32_e64 v39, v41, v11, s[8:9]
	v_add_lshl_u32 v37, v37, v5, 2
	ds_bpermute_b32 v40, v37, v39
	v_cmp_gt_u32_e64 s[10:11], v38, v10
	v_cndmask_b32_e32 v6, v6, v11, vcc
	v_cndmask_b32_e64 v6, v41, v6, s[8:9]
	s_waitcnt lgkmcnt(0)
	v_add_f32_e32 v44, v39, v40
	v_cndmask_b32_e64 v42, v44, v39, s[10:11]
	v_cndmask_b32_e64 v39, 0, 1, s[12:13]
	v_lshlrev_b32_e32 v39, 4, v39
	v_add_lshl_u32 v39, v39, v5, 2
	ds_bpermute_b32 v43, v39, v42
	v_add_u32_e32 v40, 16, v13
	v_cmp_gt_u32_e64 s[12:13], v40, v10
	v_cndmask_b32_e64 v6, v44, v6, s[10:11]
	s_waitcnt lgkmcnt(0)
	v_add_f32_e32 v45, v42, v43
	v_cndmask_b32_e64 v46, v45, v42, s[12:13]
	v_cndmask_b32_e64 v42, 0, 1, s[14:15]
	v_lshlrev_b32_e32 v42, 5, v42
	v_add_lshl_u32 v42, v42, v5, 2
	ds_bpermute_b32 v5, v42, v46
	v_add_u32_e32 v43, 32, v13
	v_cndmask_b32_e64 v6, v45, v6, s[12:13]
	v_cmp_gt_u32_e32 vcc, v43, v10
	s_waitcnt lgkmcnt(0)
	v_add_f32_e32 v5, v46, v5
	v_cndmask_b32_e32 v6, v5, v6, vcc
	v_mov_b32_e32 v5, 0
	s_branch .LBB6090_46
.LBB6090_45:                            ;   in Loop: Header=BB6090_46 Depth=1
	s_or_b64 exec, exec, s[8:9]
	v_cmp_eq_u16_sdwa s[8:9], v7, v3 src0_sel:BYTE_0 src1_sel:DWORD
	v_and_b32_e32 v10, s9, v9
	ds_bpermute_b32 v44, v14, v6
	v_or_b32_e32 v10, 0x80000000, v10
	v_and_b32_e32 v11, s8, v8
	v_ffbl_b32_e32 v10, v10
	v_add_u32_e32 v10, 32, v10
	v_ffbl_b32_e32 v11, v11
	v_min_u32_e32 v10, v11, v10
	s_waitcnt lgkmcnt(0)
	v_add_f32_e32 v11, v6, v44
	v_cmp_lt_u32_e32 vcc, v13, v10
	v_cndmask_b32_e32 v11, v6, v11, vcc
	ds_bpermute_b32 v44, v15, v11
	v_cmp_gt_u32_e64 s[8:9], v16, v10
	v_cmp_gt_u32_e64 s[10:11], v38, v10
	;; [unrolled: 1-line block ×3, first 2 shown]
	v_subrev_u32_e32 v4, 64, v4
	s_waitcnt lgkmcnt(0)
	v_add_f32_e32 v44, v11, v44
	v_cndmask_b32_e64 v11, v44, v11, s[8:9]
	ds_bpermute_b32 v44, v17, v11
	v_cmp_gt_u32_e64 s[8:9], v36, v10
	v_cndmask_b32_e32 v6, v6, v11, vcc
	v_cmp_gt_u32_e32 vcc, v43, v10
	s_waitcnt lgkmcnt(0)
	v_add_f32_e32 v44, v11, v44
	v_cndmask_b32_e64 v45, v44, v11, s[8:9]
	ds_bpermute_b32 v46, v37, v45
	v_cndmask_b32_e64 v6, v44, v6, s[8:9]
	s_waitcnt lgkmcnt(0)
	v_add_f32_e32 v46, v45, v46
	v_cndmask_b32_e64 v45, v46, v45, s[10:11]
	ds_bpermute_b32 v47, v39, v45
	v_cndmask_b32_e64 v6, v46, v6, s[10:11]
	;; [unrolled: 5-line block ×3, first 2 shown]
	s_waitcnt lgkmcnt(0)
	v_add_f32_e32 v11, v45, v48
	v_cndmask_b32_e32 v6, v11, v6, vcc
	v_add_f32_e32 v6, v41, v6
.LBB6090_46:                            ; =>This Loop Header: Depth=1
                                        ;     Child Loop BB6090_49 Depth 2
	v_cmp_ne_u16_sdwa s[8:9], v7, v3 src0_sel:BYTE_0 src1_sel:DWORD
	v_cndmask_b32_e64 v7, 0, 1, s[8:9]
	;;#ASMSTART
	;;#ASMEND
	v_cmp_ne_u32_e32 vcc, 0, v7
	s_cmp_lg_u64 vcc, exec
	v_mov_b32_e32 v41, v6
	s_cbranch_scc1 .LBB6090_51
; %bb.47:                               ;   in Loop: Header=BB6090_46 Depth=1
	v_lshlrev_b64 v[6:7], 3, v[4:5]
	v_mov_b32_e32 v11, s25
	v_add_co_u32_e32 v10, vcc, s24, v6
	v_addc_co_u32_e32 v11, vcc, v11, v7, vcc
	global_load_dwordx2 v[6:7], v[10:11], off glc
	s_waitcnt vmcnt(0)
	v_cmp_eq_u16_sdwa s[10:11], v7, v5 src0_sel:BYTE_0 src1_sel:DWORD
	s_and_saveexec_b64 s[8:9], s[10:11]
	s_cbranch_execz .LBB6090_45
; %bb.48:                               ;   in Loop: Header=BB6090_46 Depth=1
	s_mov_b64 s[10:11], 0
.LBB6090_49:                            ;   Parent Loop BB6090_46 Depth=1
                                        ; =>  This Inner Loop Header: Depth=2
	global_load_dwordx2 v[6:7], v[10:11], off glc
	s_waitcnt vmcnt(0)
	v_cmp_ne_u16_sdwa s[12:13], v7, v5 src0_sel:BYTE_0 src1_sel:DWORD
	s_or_b64 s[10:11], s[12:13], s[10:11]
	s_andn2_b64 exec, exec, s[10:11]
	s_cbranch_execnz .LBB6090_49
; %bb.50:                               ;   in Loop: Header=BB6090_46 Depth=1
	s_or_b64 exec, exec, s[10:11]
	s_branch .LBB6090_45
.LBB6090_51:                            ;   in Loop: Header=BB6090_46 Depth=1
                                        ; implicit-def: $vgpr6
                                        ; implicit-def: $vgpr7
	s_cbranch_execz .LBB6090_46
; %bb.52:
	s_and_saveexec_b64 s[8:9], s[2:3]
	s_cbranch_execz .LBB6090_54
; %bb.53:
	s_add_i32 s2, s6, 64
	s_mov_b32 s3, 0
	s_lshl_b64 s[2:3], s[2:3], 3
	s_add_u32 s2, s24, s2
	v_add_f32_e32 v2, v2, v41
	v_mov_b32_e32 v3, 2
	s_addc_u32 s3, s25, s3
	v_mov_b32_e32 v4, 0
	global_store_dwordx2 v4, v[2:3], s[2:3]
.LBB6090_54:
	s_or_b64 exec, exec, s[8:9]
	s_and_b64 exec, exec, s[0:1]
	s_cbranch_execz .LBB6090_56
; %bb.55:
	v_mov_b32_e32 v2, 0
	ds_write_b32 v2, v41
.LBB6090_56:
	s_or_b64 exec, exec, s[26:27]
	v_mov_b32_e32 v2, 0
	s_waitcnt lgkmcnt(0)
	s_barrier
	ds_read_b32 v2, v2
	s_waitcnt lgkmcnt(0)
	v_add_f32_e32 v3, v12, v2
	v_cndmask_b32_e64 v2, v3, v2, s[0:1]
	v_add_f32_e32 v3, v26, v2
	v_add_f32_e32 v4, v27, v3
	;; [unrolled: 1-line block ×13, first 2 shown]
	s_load_dwordx8 s[8:15], s[4:5], 0x38
	s_branch .LBB6090_67
.LBB6090_57:
                                        ; implicit-def: $vgpr2_vgpr3_vgpr4_vgpr5_vgpr6_vgpr7_vgpr8_vgpr9_vgpr10_vgpr11_vgpr12_vgpr13_vgpr14_vgpr15_vgpr16_vgpr17
	s_load_dwordx8 s[8:15], s[4:5], 0x38
	s_cbranch_execz .LBB6090_67
; %bb.58:
	s_load_dword s0, s[4:5], 0x20
	s_waitcnt lgkmcnt(0)
	s_cmp_eq_u64 s[12:13], 0
	v_mov_b32_e32 v16, s0
	s_cbranch_scc1 .LBB6090_60
; %bb.59:
	v_mov_b32_e32 v3, s30
	v_add_co_u32_e64 v2, vcc, -4, s29
	v_addc_co_u32_e32 v3, vcc, -1, v3, vcc
	flat_load_dword v2, v[2:3]
	v_mov_b32_e32 v3, 0
	global_load_dword v3, v3, s[8:9]
	s_waitcnt vmcnt(0) lgkmcnt(0)
	v_cvt_f32_u32_e32 v2, v2
	v_add_f32_e32 v16, v3, v2
.LBB6090_60:
	v_add_f32_e32 v2, v28, v35
	v_add_f32_e32 v2, v29, v2
	v_add_f32_e32 v2, v22, v2
	v_add_f32_e32 v2, v23, v2
	v_add_f32_e32 v2, v24, v2
	v_add_f32_e32 v2, v25, v2
	v_add_f32_e32 v2, v18, v2
	v_add_f32_e32 v2, v19, v2
	v_add_f32_e32 v2, v20, v2
	v_add_f32_e32 v2, v21, v2
	v_add_f32_e32 v2, v30, v2
	v_add_f32_e32 v2, v31, v2
	v_add_lshl_u32 v1, v1, v0, 2
	v_cmp_gt_u32_e32 vcc, 64, v0
	ds_write_b32 v1, v2
	s_waitcnt lgkmcnt(0)
	s_barrier
	s_and_saveexec_b64 s[4:5], vcc
	s_cbranch_execz .LBB6090_62
; %bb.61:
	v_lshlrev_b32_e32 v1, 1, v0
	v_lshrrev_b32_e32 v3, 4, v0
	v_add_lshl_u32 v1, v3, v1, 2
	ds_read2_b32 v[4:5], v1 offset1:1
	v_mbcnt_lo_u32_b32 v3, -1, 0
	v_mbcnt_hi_u32_b32 v3, -1, v3
	v_and_b32_e32 v6, 15, v3
	v_cmp_eq_u32_e32 vcc, 0, v6
	s_waitcnt lgkmcnt(0)
	v_add_f32_e32 v5, v4, v5
	v_cmp_lt_u32_e64 s[0:1], 3, v6
	v_cmp_lt_u32_e64 s[2:3], 31, v3
	v_mov_b32_dpp v7, v5 row_shr:1 row_mask:0xf bank_mask:0xf
	v_add_f32_e32 v7, v5, v7
	v_cndmask_b32_e32 v5, v7, v5, vcc
	v_cmp_lt_u32_e32 vcc, 1, v6
	s_nop 0
	v_mov_b32_dpp v7, v5 row_shr:2 row_mask:0xf bank_mask:0xf
	v_add_f32_e32 v7, v5, v7
	v_cndmask_b32_e32 v7, v5, v7, vcc
	; wave barrier
	s_nop 1
	v_mov_b32_dpp v8, v7 row_shr:4 row_mask:0xf bank_mask:0xf
	v_add_f32_e32 v8, v7, v8
	v_cndmask_b32_e64 v7, v7, v8, s[0:1]
	v_cmp_lt_u32_e64 s[0:1], 7, v6
	s_nop 0
	v_mov_b32_dpp v8, v7 row_shr:8 row_mask:0xf bank_mask:0xf
	v_add_f32_e32 v8, v7, v8
	v_cndmask_b32_e64 v6, v7, v8, s[0:1]
	v_and_b32_e32 v8, 16, v3
	v_cmp_eq_u32_e64 s[0:1], 0, v8
	v_mov_b32_dpp v7, v6 row_bcast:15 row_mask:0xf bank_mask:0xf
	v_add_f32_e32 v7, v6, v7
	v_cndmask_b32_e64 v6, v7, v6, s[0:1]
	v_cmp_lt_u32_e64 s[0:1], 15, v3
	s_or_b64 vcc, s[0:1], vcc
	v_mov_b32_dpp v7, v6 row_bcast:31 row_mask:0xf bank_mask:0xf
	v_add_f32_e32 v7, v6, v7
	v_cndmask_b32_e64 v6, v6, v7, s[2:3]
	v_cndmask_b32_e32 v5, v5, v6, vcc
	v_add_u32_e32 v6, -1, v3
	v_and_b32_e32 v7, 64, v3
	v_cmp_lt_i32_e32 vcc, v6, v7
	v_cndmask_b32_e32 v3, v6, v3, vcc
	v_lshlrev_b32_e32 v3, 2, v3
	ds_bpermute_b32 v3, v3, v5
	v_cmp_eq_u32_e32 vcc, 0, v0
	s_waitcnt lgkmcnt(0)
	v_add_f32_e32 v3, v4, v3
	v_cndmask_b32_e32 v2, v3, v2, vcc
	ds_write_b32 v1, v2
	; wave barrier
	ds_read_b32 v3, v1 offset:4
	s_waitcnt lgkmcnt(0)
	v_add_f32_e32 v2, v2, v3
	ds_write_b32 v1, v2 offset:4
.LBB6090_62:
	s_or_b64 exec, exec, s[4:5]
	v_cmp_eq_u32_e32 vcc, 0, v0
	v_cmp_ne_u32_e64 s[0:1], 0, v0
	v_mov_b32_e32 v2, v16
	s_waitcnt lgkmcnt(0)
	s_barrier
	s_and_saveexec_b64 s[2:3], s[0:1]
	s_cbranch_execz .LBB6090_64
; %bb.63:
	v_add_u32_e32 v1, -1, v0
	v_lshrrev_b32_e32 v2, 5, v1
	v_add_lshl_u32 v1, v2, v1, 2
	ds_read_b32 v1, v1
	s_waitcnt lgkmcnt(0)
	v_add_f32_e32 v2, v16, v1
.LBB6090_64:
	s_or_b64 exec, exec, s[2:3]
	v_add_f32_e32 v3, v26, v2
	v_add_f32_e32 v4, v27, v3
	;; [unrolled: 1-line block ×13, first 2 shown]
	s_and_saveexec_b64 s[0:1], vcc
	s_cbranch_execz .LBB6090_66
; %bb.65:
	v_mov_b32_e32 v1, 0
	ds_read_b32 v17, v1 offset:520
	s_waitcnt lgkmcnt(0)
	v_add_f32_e32 v16, v16, v17
	v_mov_b32_e32 v17, 2
	global_store_dwordx2 v1, v[16:17], s[24:25] offset:512
.LBB6090_66:
	s_or_b64 exec, exec, s[0:1]
.LBB6090_67:
	s_add_u32 s0, s16, s20
	s_addc_u32 s1, s17, s21
	s_add_u32 s2, s0, s22
	s_addc_u32 s3, s1, s23
	s_mov_b64 s[0:1], -1
	s_and_b64 vcc, exec, s[18:19]
	s_waitcnt lgkmcnt(0)
	s_barrier
	s_cbranch_vccz .LBB6090_69
; %bb.68:
	ds_write2_b64 v34, v[2:3], v[4:5] offset1:1
	ds_write2_b64 v34, v[6:7], v[8:9] offset0:2 offset1:3
	ds_write2_b64 v34, v[10:11], v[12:13] offset0:4 offset1:5
	ds_write_b64 v34, v[14:15] offset:48
	s_waitcnt lgkmcnt(0)
	s_barrier
	ds_read2st64_b32 v[16:17], v32 offset1:2
	ds_read2st64_b32 v[18:19], v32 offset0:4 offset1:6
	ds_read2st64_b32 v[20:21], v32 offset0:8 offset1:10
	;; [unrolled: 1-line block ×6, first 2 shown]
	v_mov_b32_e32 v1, s3
	v_add_co_u32_e32 v30, vcc, s2, v32
	v_addc_co_u32_e32 v31, vcc, 0, v1, vcc
	s_waitcnt lgkmcnt(6)
	flat_store_dword v[30:31], v16
	flat_store_dword v[30:31], v17 offset:512
	s_waitcnt lgkmcnt(0)
	flat_store_dword v[30:31], v18 offset:1024
	flat_store_dword v[30:31], v19 offset:1536
	flat_store_dword v[30:31], v20 offset:2048
	flat_store_dword v[30:31], v21 offset:2560
	flat_store_dword v[30:31], v22 offset:3072
	flat_store_dword v[30:31], v23 offset:3584
	v_add_co_u32_e32 v16, vcc, 0x1000, v30
	v_addc_co_u32_e32 v17, vcc, 0, v31, vcc
	flat_store_dword v[16:17], v24
	flat_store_dword v[16:17], v25 offset:512
	flat_store_dword v[16:17], v26 offset:1024
	;; [unrolled: 1-line block ×5, first 2 shown]
	s_mov_b64 s[0:1], 0
.LBB6090_69:
	s_andn2_b64 vcc, exec, s[0:1]
	s_cbranch_vccnz .LBB6090_149
; %bb.70:
	s_movk_i32 s0, 0xffcc
	ds_write2_b64 v34, v[2:3], v[4:5] offset1:1
	ds_write2_b64 v34, v[6:7], v[8:9] offset0:2 offset1:3
	ds_write2_b64 v34, v[10:11], v[12:13] offset0:4 offset1:5
	ds_write_b64 v34, v[14:15] offset:48
	v_mad_i32_i24 v14, v0, s0, v34
	s_waitcnt lgkmcnt(0)
	s_barrier
	ds_read2st64_b32 v[4:5], v14 offset1:2
	ds_read2st64_b32 v[6:7], v14 offset0:4 offset1:6
	ds_read2st64_b32 v[8:9], v14 offset0:8 offset1:10
	;; [unrolled: 1-line block ×6, first 2 shown]
	v_mov_b32_e32 v17, s3
	v_add_co_u32_e32 v16, vcc, s2, v32
	v_addc_co_u32_e32 v17, vcc, 0, v17, vcc
	v_mov_b32_e32 v1, 0
	v_cmp_gt_u32_e32 vcc, s7, v0
	s_and_saveexec_b64 s[0:1], vcc
	s_cbranch_execz .LBB6090_72
; %bb.71:
	s_waitcnt lgkmcnt(0)
	flat_store_dword v[16:17], v4
.LBB6090_72:
	s_or_b64 exec, exec, s[0:1]
	v_or_b32_e32 v18, 0x80, v0
	v_cmp_gt_u32_e32 vcc, s7, v18
	s_and_saveexec_b64 s[0:1], vcc
	s_cbranch_execz .LBB6090_74
; %bb.73:
	s_waitcnt lgkmcnt(0)
	flat_store_dword v[16:17], v5 offset:512
.LBB6090_74:
	s_or_b64 exec, exec, s[0:1]
	v_or_b32_e32 v18, 0x100, v0
	v_cmp_gt_u32_e32 vcc, s7, v18
	s_and_saveexec_b64 s[0:1], vcc
	s_cbranch_execz .LBB6090_76
; %bb.75:
	s_waitcnt lgkmcnt(0)
	flat_store_dword v[16:17], v6 offset:1024
.LBB6090_76:
	;; [unrolled: 9-line block ×7, first 2 shown]
	s_or_b64 exec, exec, s[0:1]
	v_or_b32_e32 v18, 0x400, v0
	v_cmp_gt_u32_e32 vcc, s7, v18
	s_and_saveexec_b64 s[0:1], vcc
	s_cbranch_execz .LBB6090_88
; %bb.87:
	v_add_co_u32_e32 v18, vcc, 0x1000, v16
	v_addc_co_u32_e32 v19, vcc, 0, v17, vcc
	s_waitcnt lgkmcnt(0)
	flat_store_dword v[18:19], v12
.LBB6090_88:
	s_or_b64 exec, exec, s[0:1]
	v_or_b32_e32 v18, 0x480, v0
	v_cmp_gt_u32_e32 vcc, s7, v18
	s_and_saveexec_b64 s[0:1], vcc
	s_cbranch_execz .LBB6090_90
; %bb.89:
	v_add_co_u32_e32 v18, vcc, 0x1000, v16
	v_addc_co_u32_e32 v19, vcc, 0, v17, vcc
	s_waitcnt lgkmcnt(0)
	flat_store_dword v[18:19], v13 offset:512
.LBB6090_90:
	s_or_b64 exec, exec, s[0:1]
	v_or_b32_e32 v18, 0x500, v0
	v_cmp_gt_u32_e32 vcc, s7, v18
	s_and_saveexec_b64 s[0:1], vcc
	s_cbranch_execz .LBB6090_92
; %bb.91:
	v_add_co_u32_e32 v18, vcc, 0x1000, v16
	v_addc_co_u32_e32 v19, vcc, 0, v17, vcc
	s_waitcnt lgkmcnt(0)
	flat_store_dword v[18:19], v10 offset:1024
.LBB6090_92:
	;; [unrolled: 11-line block ×5, first 2 shown]
	s_or_b64 exec, exec, s[0:1]
	v_cmp_lt_u64_e64 s[0:1], s[14:15], 2
	s_and_b64 vcc, exec, s[0:1]
	s_cbranch_vccnz .LBB6090_149
; %bb.99:
	s_add_u32 s0, s7, -1
	s_addc_u32 s1, s28, -1
	s_add_u32 s2, 0, 0x49240800
	s_addc_u32 s3, 0, 50
	s_add_i32 s3, s3, 0x12492460
	s_mul_hi_u32 s7, s2, -14
	s_sub_i32 s7, s7, s2
	s_mul_i32 s8, s3, -14
	s_mul_i32 s4, s2, -14
	s_add_i32 s7, s7, s8
	s_mul_hi_u32 s5, s3, s4
	s_mul_i32 s6, s3, s4
	s_mul_i32 s9, s2, s7
	s_mul_hi_u32 s4, s2, s4
	s_mul_hi_u32 s8, s2, s7
	s_add_u32 s4, s4, s9
	s_addc_u32 s8, 0, s8
	s_add_u32 s4, s4, s6
	s_mul_hi_u32 s9, s3, s7
	s_addc_u32 s4, s8, s5
	s_addc_u32 s5, s9, 0
	s_mul_i32 s6, s3, s7
	s_add_u32 s4, s4, s6
	v_mov_b32_e32 v16, s4
	s_addc_u32 s5, 0, s5
	v_add_co_u32_e32 v16, vcc, s2, v16
	s_cmp_lg_u64 vcc, 0
	s_addc_u32 s2, s3, s5
	v_readfirstlane_b32 s5, v16
	s_mul_i32 s4, s0, s2
	s_mul_hi_u32 s6, s0, s5
	s_mul_hi_u32 s3, s0, s2
	s_add_u32 s4, s6, s4
	s_addc_u32 s3, 0, s3
	s_mul_hi_u32 s7, s1, s5
	s_mul_i32 s5, s1, s5
	s_add_u32 s4, s4, s5
	s_mul_hi_u32 s6, s1, s2
	s_addc_u32 s3, s3, s7
	s_addc_u32 s4, s6, 0
	s_mul_i32 s2, s1, s2
	s_add_u32 s2, s3, s2
	s_addc_u32 s3, 0, s4
	s_add_u32 s4, s2, 1
	s_addc_u32 s5, s3, 0
	s_add_u32 s6, s2, 2
	s_mul_i32 s8, s3, 14
	s_mul_hi_u32 s9, s2, 14
	s_addc_u32 s7, s3, 0
	s_add_i32 s9, s9, s8
	s_mul_i32 s8, s2, 14
	v_mov_b32_e32 v16, s8
	v_sub_co_u32_e32 v16, vcc, s0, v16
	s_cmp_lg_u64 vcc, 0
	s_subb_u32 s8, s1, s9
	v_subrev_co_u32_e32 v17, vcc, 14, v16
	s_cmp_lg_u64 vcc, 0
	s_subb_u32 s9, s8, 0
	v_readfirstlane_b32 s12, v17
	s_cmp_gt_u32 s12, 13
	s_cselect_b32 s12, -1, 0
	s_cmp_eq_u32 s9, 0
	s_cselect_b32 s9, s12, -1
	s_cmp_lg_u32 s9, 0
	s_cselect_b32 s4, s6, s4
	v_readfirstlane_b32 s6, v16
	s_cselect_b32 s5, s7, s5
	s_cmp_gt_u32 s6, 13
	s_cselect_b32 s6, -1, 0
	s_cmp_eq_u32 s8, 0
	s_cselect_b32 s6, s6, -1
	s_cmp_lg_u32 s6, 0
	s_cselect_b32 s3, s5, s3
	s_cselect_b32 s2, s4, s2
	v_cmp_eq_u64_e32 vcc, s[2:3], v[0:1]
	s_and_saveexec_b64 s[2:3], vcc
	s_cbranch_execz .LBB6090_149
; %bb.100:
	v_mul_hi_u32_u24_e32 v1, 14, v0
	v_mov_b32_e32 v16, s1
	v_sub_co_u32_e32 v0, vcc, s0, v33
	v_subb_co_u32_e32 v1, vcc, v16, v1, vcc
	v_cmp_lt_i64_e32 vcc, 6, v[0:1]
	s_and_saveexec_b64 s[0:1], vcc
	s_xor_b64 s[0:1], exec, s[0:1]
	s_cbranch_execz .LBB6090_126
; %bb.101:
	v_cmp_lt_i64_e32 vcc, 9, v[0:1]
	s_and_saveexec_b64 s[2:3], vcc
	s_xor_b64 s[2:3], exec, s[2:3]
	s_cbranch_execz .LBB6090_115
; %bb.102:
	;; [unrolled: 5-line block ×4, first 2 shown]
	v_mov_b32_e32 v0, 0
	s_waitcnt lgkmcnt(0)
	global_store_dword v0, v15, s[10:11]
                                        ; implicit-def: $vgpr14_vgpr15
.LBB6090_105:
	s_andn2_saveexec_b64 s[6:7], s[6:7]
	s_cbranch_execz .LBB6090_107
; %bb.106:
	v_mov_b32_e32 v0, 0
	s_waitcnt lgkmcnt(0)
	global_store_dword v0, v14, s[10:11]
.LBB6090_107:
	s_or_b64 exec, exec, s[6:7]
                                        ; implicit-def: $vgpr10_vgpr11
                                        ; implicit-def: $vgpr0_vgpr1
.LBB6090_108:
	s_andn2_saveexec_b64 s[4:5], s[4:5]
	s_cbranch_execz .LBB6090_114
; %bb.109:
	v_cmp_lt_i64_e32 vcc, 10, v[0:1]
	s_and_saveexec_b64 s[6:7], vcc
	s_xor_b64 s[6:7], exec, s[6:7]
	s_cbranch_execz .LBB6090_111
; %bb.110:
	v_mov_b32_e32 v0, 0
	s_waitcnt lgkmcnt(0)
	global_store_dword v0, v11, s[10:11]
                                        ; implicit-def: $vgpr10_vgpr11
.LBB6090_111:
	s_andn2_saveexec_b64 s[6:7], s[6:7]
	s_cbranch_execz .LBB6090_113
; %bb.112:
	v_mov_b32_e32 v0, 0
	s_waitcnt lgkmcnt(0)
	global_store_dword v0, v10, s[10:11]
.LBB6090_113:
	s_or_b64 exec, exec, s[6:7]
.LBB6090_114:
	s_or_b64 exec, exec, s[4:5]
                                        ; implicit-def: $vgpr2_vgpr3
                                        ; implicit-def: $vgpr0_vgpr1
                                        ; implicit-def: $vgpr12_vgpr13
.LBB6090_115:
	s_andn2_saveexec_b64 s[2:3], s[2:3]
	s_cbranch_execz .LBB6090_125
; %bb.116:
	v_cmp_lt_i64_e32 vcc, 7, v[0:1]
	s_and_saveexec_b64 s[4:5], vcc
	s_xor_b64 s[4:5], exec, s[4:5]
	s_cbranch_execz .LBB6090_122
; %bb.117:
	v_cmp_lt_i64_e32 vcc, 8, v[0:1]
	s_and_saveexec_b64 s[6:7], vcc
	s_xor_b64 s[6:7], exec, s[6:7]
	s_cbranch_execz .LBB6090_119
; %bb.118:
	v_mov_b32_e32 v0, 0
	s_waitcnt lgkmcnt(0)
	global_store_dword v0, v13, s[10:11]
                                        ; implicit-def: $vgpr12_vgpr13
.LBB6090_119:
	s_andn2_saveexec_b64 s[6:7], s[6:7]
	s_cbranch_execz .LBB6090_121
; %bb.120:
	v_mov_b32_e32 v0, 0
	s_waitcnt lgkmcnt(0)
	global_store_dword v0, v12, s[10:11]
.LBB6090_121:
	s_or_b64 exec, exec, s[6:7]
                                        ; implicit-def: $vgpr2_vgpr3
.LBB6090_122:
	s_andn2_saveexec_b64 s[4:5], s[4:5]
	s_cbranch_execz .LBB6090_124
; %bb.123:
	v_mov_b32_e32 v0, 0
	s_waitcnt lgkmcnt(0)
	global_store_dword v0, v3, s[10:11]
.LBB6090_124:
	s_or_b64 exec, exec, s[4:5]
.LBB6090_125:
	s_or_b64 exec, exec, s[2:3]
                                        ; implicit-def: $vgpr0_vgpr1
                                        ; implicit-def: $vgpr8_vgpr9
                                        ; implicit-def: $vgpr4_vgpr5
                                        ; implicit-def: $vgpr6_vgpr7
                                        ; implicit-def: $vgpr2_vgpr3
.LBB6090_126:
	s_andn2_saveexec_b64 s[0:1], s[0:1]
	s_cbranch_execz .LBB6090_149
; %bb.127:
	v_cmp_lt_i64_e32 vcc, 3, v[0:1]
	s_and_saveexec_b64 s[0:1], vcc
	s_xor_b64 s[0:1], exec, s[0:1]
	s_cbranch_execz .LBB6090_137
; %bb.128:
	v_cmp_lt_i64_e32 vcc, 4, v[0:1]
	s_and_saveexec_b64 s[2:3], vcc
	s_xor_b64 s[2:3], exec, s[2:3]
	s_cbranch_execz .LBB6090_134
; %bb.129:
	v_cmp_lt_i64_e32 vcc, 5, v[0:1]
	s_and_saveexec_b64 s[4:5], vcc
	s_xor_b64 s[4:5], exec, s[4:5]
	s_cbranch_execz .LBB6090_131
; %bb.130:
	v_mov_b32_e32 v0, 0
	s_waitcnt lgkmcnt(0)
	global_store_dword v0, v2, s[10:11]
                                        ; implicit-def: $vgpr8_vgpr9
.LBB6090_131:
	s_andn2_saveexec_b64 s[4:5], s[4:5]
	s_cbranch_execz .LBB6090_133
; %bb.132:
	v_mov_b32_e32 v0, 0
	s_waitcnt lgkmcnt(0)
	global_store_dword v0, v9, s[10:11]
.LBB6090_133:
	s_or_b64 exec, exec, s[4:5]
                                        ; implicit-def: $vgpr8_vgpr9
.LBB6090_134:
	s_andn2_saveexec_b64 s[2:3], s[2:3]
	s_cbranch_execz .LBB6090_136
; %bb.135:
	v_mov_b32_e32 v0, 0
	s_waitcnt lgkmcnt(0)
	global_store_dword v0, v8, s[10:11]
.LBB6090_136:
	s_or_b64 exec, exec, s[2:3]
                                        ; implicit-def: $vgpr0_vgpr1
                                        ; implicit-def: $vgpr4_vgpr5
                                        ; implicit-def: $vgpr6_vgpr7
.LBB6090_137:
	s_andn2_saveexec_b64 s[0:1], s[0:1]
	s_cbranch_execz .LBB6090_149
; %bb.138:
	v_cmp_lt_i64_e32 vcc, 1, v[0:1]
	s_and_saveexec_b64 s[0:1], vcc
	s_xor_b64 s[0:1], exec, s[0:1]
	s_cbranch_execz .LBB6090_144
; %bb.139:
	v_cmp_lt_i64_e32 vcc, 2, v[0:1]
	s_and_saveexec_b64 s[2:3], vcc
	s_xor_b64 s[2:3], exec, s[2:3]
	s_cbranch_execz .LBB6090_141
; %bb.140:
	v_mov_b32_e32 v0, 0
	s_waitcnt lgkmcnt(0)
	global_store_dword v0, v7, s[10:11]
                                        ; implicit-def: $vgpr6_vgpr7
.LBB6090_141:
	s_andn2_saveexec_b64 s[2:3], s[2:3]
	s_cbranch_execz .LBB6090_143
; %bb.142:
	v_mov_b32_e32 v0, 0
	s_waitcnt lgkmcnt(0)
	global_store_dword v0, v6, s[10:11]
.LBB6090_143:
	s_or_b64 exec, exec, s[2:3]
                                        ; implicit-def: $vgpr4_vgpr5
                                        ; implicit-def: $vgpr0_vgpr1
.LBB6090_144:
	s_andn2_saveexec_b64 s[0:1], s[0:1]
	s_cbranch_execz .LBB6090_149
; %bb.145:
	v_cmp_ne_u64_e32 vcc, 1, v[0:1]
	s_and_saveexec_b64 s[0:1], vcc
	s_xor_b64 s[0:1], exec, s[0:1]
	s_cbranch_execz .LBB6090_147
; %bb.146:
	v_mov_b32_e32 v0, 0
	s_waitcnt lgkmcnt(0)
	global_store_dword v0, v4, s[10:11]
                                        ; implicit-def: $vgpr4_vgpr5
.LBB6090_147:
	s_andn2_saveexec_b64 s[0:1], s[0:1]
	s_cbranch_execz .LBB6090_149
; %bb.148:
	v_mov_b32_e32 v0, 0
	s_waitcnt lgkmcnt(0)
	global_store_dword v0, v5, s[10:11]
.LBB6090_149:
	s_endpgm
	.section	.rodata,"a",@progbits
	.p2align	6, 0x0
	.amdhsa_kernel _ZN7rocprim17ROCPRIM_400000_NS6detail17trampoline_kernelINS0_14default_configENS1_20scan_config_selectorIfEEZZNS1_9scan_implILNS1_25lookback_scan_determinismE0ELb1ELb1ES3_N6thrust23THRUST_200600_302600_NS6detail15normal_iteratorINS9_10device_ptrIjEEEENSB_INSC_IfEEEEfNS9_4plusIvEEfEEDaPvRmT3_T4_T5_mT6_P12ihipStream_tbENKUlT_T0_E_clISt17integral_constantIbLb0EESW_EEDaSR_SS_EUlSR_E_NS1_11comp_targetILNS1_3genE4ELNS1_11target_archE910ELNS1_3gpuE8ELNS1_3repE0EEENS1_30default_config_static_selectorELNS0_4arch9wavefront6targetE1EEEvT1_
		.amdhsa_group_segment_fixed_size 7168
		.amdhsa_private_segment_fixed_size 0
		.amdhsa_kernarg_size 96
		.amdhsa_user_sgpr_count 6
		.amdhsa_user_sgpr_private_segment_buffer 1
		.amdhsa_user_sgpr_dispatch_ptr 0
		.amdhsa_user_sgpr_queue_ptr 0
		.amdhsa_user_sgpr_kernarg_segment_ptr 1
		.amdhsa_user_sgpr_dispatch_id 0
		.amdhsa_user_sgpr_flat_scratch_init 0
		.amdhsa_user_sgpr_kernarg_preload_length 0
		.amdhsa_user_sgpr_kernarg_preload_offset 0
		.amdhsa_user_sgpr_private_segment_size 0
		.amdhsa_uses_dynamic_stack 0
		.amdhsa_system_sgpr_private_segment_wavefront_offset 0
		.amdhsa_system_sgpr_workgroup_id_x 1
		.amdhsa_system_sgpr_workgroup_id_y 0
		.amdhsa_system_sgpr_workgroup_id_z 0
		.amdhsa_system_sgpr_workgroup_info 0
		.amdhsa_system_vgpr_workitem_id 0
		.amdhsa_next_free_vgpr 49
		.amdhsa_next_free_sgpr 31
		.amdhsa_accum_offset 52
		.amdhsa_reserve_vcc 1
		.amdhsa_reserve_flat_scratch 0
		.amdhsa_float_round_mode_32 0
		.amdhsa_float_round_mode_16_64 0
		.amdhsa_float_denorm_mode_32 3
		.amdhsa_float_denorm_mode_16_64 3
		.amdhsa_dx10_clamp 1
		.amdhsa_ieee_mode 1
		.amdhsa_fp16_overflow 0
		.amdhsa_tg_split 0
		.amdhsa_exception_fp_ieee_invalid_op 0
		.amdhsa_exception_fp_denorm_src 0
		.amdhsa_exception_fp_ieee_div_zero 0
		.amdhsa_exception_fp_ieee_overflow 0
		.amdhsa_exception_fp_ieee_underflow 0
		.amdhsa_exception_fp_ieee_inexact 0
		.amdhsa_exception_int_div_zero 0
	.end_amdhsa_kernel
	.section	.text._ZN7rocprim17ROCPRIM_400000_NS6detail17trampoline_kernelINS0_14default_configENS1_20scan_config_selectorIfEEZZNS1_9scan_implILNS1_25lookback_scan_determinismE0ELb1ELb1ES3_N6thrust23THRUST_200600_302600_NS6detail15normal_iteratorINS9_10device_ptrIjEEEENSB_INSC_IfEEEEfNS9_4plusIvEEfEEDaPvRmT3_T4_T5_mT6_P12ihipStream_tbENKUlT_T0_E_clISt17integral_constantIbLb0EESW_EEDaSR_SS_EUlSR_E_NS1_11comp_targetILNS1_3genE4ELNS1_11target_archE910ELNS1_3gpuE8ELNS1_3repE0EEENS1_30default_config_static_selectorELNS0_4arch9wavefront6targetE1EEEvT1_,"axG",@progbits,_ZN7rocprim17ROCPRIM_400000_NS6detail17trampoline_kernelINS0_14default_configENS1_20scan_config_selectorIfEEZZNS1_9scan_implILNS1_25lookback_scan_determinismE0ELb1ELb1ES3_N6thrust23THRUST_200600_302600_NS6detail15normal_iteratorINS9_10device_ptrIjEEEENSB_INSC_IfEEEEfNS9_4plusIvEEfEEDaPvRmT3_T4_T5_mT6_P12ihipStream_tbENKUlT_T0_E_clISt17integral_constantIbLb0EESW_EEDaSR_SS_EUlSR_E_NS1_11comp_targetILNS1_3genE4ELNS1_11target_archE910ELNS1_3gpuE8ELNS1_3repE0EEENS1_30default_config_static_selectorELNS0_4arch9wavefront6targetE1EEEvT1_,comdat
.Lfunc_end6090:
	.size	_ZN7rocprim17ROCPRIM_400000_NS6detail17trampoline_kernelINS0_14default_configENS1_20scan_config_selectorIfEEZZNS1_9scan_implILNS1_25lookback_scan_determinismE0ELb1ELb1ES3_N6thrust23THRUST_200600_302600_NS6detail15normal_iteratorINS9_10device_ptrIjEEEENSB_INSC_IfEEEEfNS9_4plusIvEEfEEDaPvRmT3_T4_T5_mT6_P12ihipStream_tbENKUlT_T0_E_clISt17integral_constantIbLb0EESW_EEDaSR_SS_EUlSR_E_NS1_11comp_targetILNS1_3genE4ELNS1_11target_archE910ELNS1_3gpuE8ELNS1_3repE0EEENS1_30default_config_static_selectorELNS0_4arch9wavefront6targetE1EEEvT1_, .Lfunc_end6090-_ZN7rocprim17ROCPRIM_400000_NS6detail17trampoline_kernelINS0_14default_configENS1_20scan_config_selectorIfEEZZNS1_9scan_implILNS1_25lookback_scan_determinismE0ELb1ELb1ES3_N6thrust23THRUST_200600_302600_NS6detail15normal_iteratorINS9_10device_ptrIjEEEENSB_INSC_IfEEEEfNS9_4plusIvEEfEEDaPvRmT3_T4_T5_mT6_P12ihipStream_tbENKUlT_T0_E_clISt17integral_constantIbLb0EESW_EEDaSR_SS_EUlSR_E_NS1_11comp_targetILNS1_3genE4ELNS1_11target_archE910ELNS1_3gpuE8ELNS1_3repE0EEENS1_30default_config_static_selectorELNS0_4arch9wavefront6targetE1EEEvT1_
                                        ; -- End function
	.section	.AMDGPU.csdata,"",@progbits
; Kernel info:
; codeLenInByte = 5764
; NumSgprs: 35
; NumVgprs: 49
; NumAgprs: 0
; TotalNumVgprs: 49
; ScratchSize: 0
; MemoryBound: 0
; FloatMode: 240
; IeeeMode: 1
; LDSByteSize: 7168 bytes/workgroup (compile time only)
; SGPRBlocks: 4
; VGPRBlocks: 6
; NumSGPRsForWavesPerEU: 35
; NumVGPRsForWavesPerEU: 49
; AccumOffset: 52
; Occupancy: 5
; WaveLimiterHint : 1
; COMPUTE_PGM_RSRC2:SCRATCH_EN: 0
; COMPUTE_PGM_RSRC2:USER_SGPR: 6
; COMPUTE_PGM_RSRC2:TRAP_HANDLER: 0
; COMPUTE_PGM_RSRC2:TGID_X_EN: 1
; COMPUTE_PGM_RSRC2:TGID_Y_EN: 0
; COMPUTE_PGM_RSRC2:TGID_Z_EN: 0
; COMPUTE_PGM_RSRC2:TIDIG_COMP_CNT: 0
; COMPUTE_PGM_RSRC3_GFX90A:ACCUM_OFFSET: 12
; COMPUTE_PGM_RSRC3_GFX90A:TG_SPLIT: 0
	.section	.text._ZN7rocprim17ROCPRIM_400000_NS6detail17trampoline_kernelINS0_14default_configENS1_20scan_config_selectorIfEEZZNS1_9scan_implILNS1_25lookback_scan_determinismE0ELb1ELb1ES3_N6thrust23THRUST_200600_302600_NS6detail15normal_iteratorINS9_10device_ptrIjEEEENSB_INSC_IfEEEEfNS9_4plusIvEEfEEDaPvRmT3_T4_T5_mT6_P12ihipStream_tbENKUlT_T0_E_clISt17integral_constantIbLb0EESW_EEDaSR_SS_EUlSR_E_NS1_11comp_targetILNS1_3genE3ELNS1_11target_archE908ELNS1_3gpuE7ELNS1_3repE0EEENS1_30default_config_static_selectorELNS0_4arch9wavefront6targetE1EEEvT1_,"axG",@progbits,_ZN7rocprim17ROCPRIM_400000_NS6detail17trampoline_kernelINS0_14default_configENS1_20scan_config_selectorIfEEZZNS1_9scan_implILNS1_25lookback_scan_determinismE0ELb1ELb1ES3_N6thrust23THRUST_200600_302600_NS6detail15normal_iteratorINS9_10device_ptrIjEEEENSB_INSC_IfEEEEfNS9_4plusIvEEfEEDaPvRmT3_T4_T5_mT6_P12ihipStream_tbENKUlT_T0_E_clISt17integral_constantIbLb0EESW_EEDaSR_SS_EUlSR_E_NS1_11comp_targetILNS1_3genE3ELNS1_11target_archE908ELNS1_3gpuE7ELNS1_3repE0EEENS1_30default_config_static_selectorELNS0_4arch9wavefront6targetE1EEEvT1_,comdat
	.protected	_ZN7rocprim17ROCPRIM_400000_NS6detail17trampoline_kernelINS0_14default_configENS1_20scan_config_selectorIfEEZZNS1_9scan_implILNS1_25lookback_scan_determinismE0ELb1ELb1ES3_N6thrust23THRUST_200600_302600_NS6detail15normal_iteratorINS9_10device_ptrIjEEEENSB_INSC_IfEEEEfNS9_4plusIvEEfEEDaPvRmT3_T4_T5_mT6_P12ihipStream_tbENKUlT_T0_E_clISt17integral_constantIbLb0EESW_EEDaSR_SS_EUlSR_E_NS1_11comp_targetILNS1_3genE3ELNS1_11target_archE908ELNS1_3gpuE7ELNS1_3repE0EEENS1_30default_config_static_selectorELNS0_4arch9wavefront6targetE1EEEvT1_ ; -- Begin function _ZN7rocprim17ROCPRIM_400000_NS6detail17trampoline_kernelINS0_14default_configENS1_20scan_config_selectorIfEEZZNS1_9scan_implILNS1_25lookback_scan_determinismE0ELb1ELb1ES3_N6thrust23THRUST_200600_302600_NS6detail15normal_iteratorINS9_10device_ptrIjEEEENSB_INSC_IfEEEEfNS9_4plusIvEEfEEDaPvRmT3_T4_T5_mT6_P12ihipStream_tbENKUlT_T0_E_clISt17integral_constantIbLb0EESW_EEDaSR_SS_EUlSR_E_NS1_11comp_targetILNS1_3genE3ELNS1_11target_archE908ELNS1_3gpuE7ELNS1_3repE0EEENS1_30default_config_static_selectorELNS0_4arch9wavefront6targetE1EEEvT1_
	.globl	_ZN7rocprim17ROCPRIM_400000_NS6detail17trampoline_kernelINS0_14default_configENS1_20scan_config_selectorIfEEZZNS1_9scan_implILNS1_25lookback_scan_determinismE0ELb1ELb1ES3_N6thrust23THRUST_200600_302600_NS6detail15normal_iteratorINS9_10device_ptrIjEEEENSB_INSC_IfEEEEfNS9_4plusIvEEfEEDaPvRmT3_T4_T5_mT6_P12ihipStream_tbENKUlT_T0_E_clISt17integral_constantIbLb0EESW_EEDaSR_SS_EUlSR_E_NS1_11comp_targetILNS1_3genE3ELNS1_11target_archE908ELNS1_3gpuE7ELNS1_3repE0EEENS1_30default_config_static_selectorELNS0_4arch9wavefront6targetE1EEEvT1_
	.p2align	8
	.type	_ZN7rocprim17ROCPRIM_400000_NS6detail17trampoline_kernelINS0_14default_configENS1_20scan_config_selectorIfEEZZNS1_9scan_implILNS1_25lookback_scan_determinismE0ELb1ELb1ES3_N6thrust23THRUST_200600_302600_NS6detail15normal_iteratorINS9_10device_ptrIjEEEENSB_INSC_IfEEEEfNS9_4plusIvEEfEEDaPvRmT3_T4_T5_mT6_P12ihipStream_tbENKUlT_T0_E_clISt17integral_constantIbLb0EESW_EEDaSR_SS_EUlSR_E_NS1_11comp_targetILNS1_3genE3ELNS1_11target_archE908ELNS1_3gpuE7ELNS1_3repE0EEENS1_30default_config_static_selectorELNS0_4arch9wavefront6targetE1EEEvT1_,@function
_ZN7rocprim17ROCPRIM_400000_NS6detail17trampoline_kernelINS0_14default_configENS1_20scan_config_selectorIfEEZZNS1_9scan_implILNS1_25lookback_scan_determinismE0ELb1ELb1ES3_N6thrust23THRUST_200600_302600_NS6detail15normal_iteratorINS9_10device_ptrIjEEEENSB_INSC_IfEEEEfNS9_4plusIvEEfEEDaPvRmT3_T4_T5_mT6_P12ihipStream_tbENKUlT_T0_E_clISt17integral_constantIbLb0EESW_EEDaSR_SS_EUlSR_E_NS1_11comp_targetILNS1_3genE3ELNS1_11target_archE908ELNS1_3gpuE7ELNS1_3repE0EEENS1_30default_config_static_selectorELNS0_4arch9wavefront6targetE1EEEvT1_: ; @_ZN7rocprim17ROCPRIM_400000_NS6detail17trampoline_kernelINS0_14default_configENS1_20scan_config_selectorIfEEZZNS1_9scan_implILNS1_25lookback_scan_determinismE0ELb1ELb1ES3_N6thrust23THRUST_200600_302600_NS6detail15normal_iteratorINS9_10device_ptrIjEEEENSB_INSC_IfEEEEfNS9_4plusIvEEfEEDaPvRmT3_T4_T5_mT6_P12ihipStream_tbENKUlT_T0_E_clISt17integral_constantIbLb0EESW_EEDaSR_SS_EUlSR_E_NS1_11comp_targetILNS1_3genE3ELNS1_11target_archE908ELNS1_3gpuE7ELNS1_3repE0EEENS1_30default_config_static_selectorELNS0_4arch9wavefront6targetE1EEEvT1_
; %bb.0:
	.section	.rodata,"a",@progbits
	.p2align	6, 0x0
	.amdhsa_kernel _ZN7rocprim17ROCPRIM_400000_NS6detail17trampoline_kernelINS0_14default_configENS1_20scan_config_selectorIfEEZZNS1_9scan_implILNS1_25lookback_scan_determinismE0ELb1ELb1ES3_N6thrust23THRUST_200600_302600_NS6detail15normal_iteratorINS9_10device_ptrIjEEEENSB_INSC_IfEEEEfNS9_4plusIvEEfEEDaPvRmT3_T4_T5_mT6_P12ihipStream_tbENKUlT_T0_E_clISt17integral_constantIbLb0EESW_EEDaSR_SS_EUlSR_E_NS1_11comp_targetILNS1_3genE3ELNS1_11target_archE908ELNS1_3gpuE7ELNS1_3repE0EEENS1_30default_config_static_selectorELNS0_4arch9wavefront6targetE1EEEvT1_
		.amdhsa_group_segment_fixed_size 0
		.amdhsa_private_segment_fixed_size 0
		.amdhsa_kernarg_size 96
		.amdhsa_user_sgpr_count 6
		.amdhsa_user_sgpr_private_segment_buffer 1
		.amdhsa_user_sgpr_dispatch_ptr 0
		.amdhsa_user_sgpr_queue_ptr 0
		.amdhsa_user_sgpr_kernarg_segment_ptr 1
		.amdhsa_user_sgpr_dispatch_id 0
		.amdhsa_user_sgpr_flat_scratch_init 0
		.amdhsa_user_sgpr_kernarg_preload_length 0
		.amdhsa_user_sgpr_kernarg_preload_offset 0
		.amdhsa_user_sgpr_private_segment_size 0
		.amdhsa_uses_dynamic_stack 0
		.amdhsa_system_sgpr_private_segment_wavefront_offset 0
		.amdhsa_system_sgpr_workgroup_id_x 1
		.amdhsa_system_sgpr_workgroup_id_y 0
		.amdhsa_system_sgpr_workgroup_id_z 0
		.amdhsa_system_sgpr_workgroup_info 0
		.amdhsa_system_vgpr_workitem_id 0
		.amdhsa_next_free_vgpr 1
		.amdhsa_next_free_sgpr 0
		.amdhsa_accum_offset 4
		.amdhsa_reserve_vcc 0
		.amdhsa_reserve_flat_scratch 0
		.amdhsa_float_round_mode_32 0
		.amdhsa_float_round_mode_16_64 0
		.amdhsa_float_denorm_mode_32 3
		.amdhsa_float_denorm_mode_16_64 3
		.amdhsa_dx10_clamp 1
		.amdhsa_ieee_mode 1
		.amdhsa_fp16_overflow 0
		.amdhsa_tg_split 0
		.amdhsa_exception_fp_ieee_invalid_op 0
		.amdhsa_exception_fp_denorm_src 0
		.amdhsa_exception_fp_ieee_div_zero 0
		.amdhsa_exception_fp_ieee_overflow 0
		.amdhsa_exception_fp_ieee_underflow 0
		.amdhsa_exception_fp_ieee_inexact 0
		.amdhsa_exception_int_div_zero 0
	.end_amdhsa_kernel
	.section	.text._ZN7rocprim17ROCPRIM_400000_NS6detail17trampoline_kernelINS0_14default_configENS1_20scan_config_selectorIfEEZZNS1_9scan_implILNS1_25lookback_scan_determinismE0ELb1ELb1ES3_N6thrust23THRUST_200600_302600_NS6detail15normal_iteratorINS9_10device_ptrIjEEEENSB_INSC_IfEEEEfNS9_4plusIvEEfEEDaPvRmT3_T4_T5_mT6_P12ihipStream_tbENKUlT_T0_E_clISt17integral_constantIbLb0EESW_EEDaSR_SS_EUlSR_E_NS1_11comp_targetILNS1_3genE3ELNS1_11target_archE908ELNS1_3gpuE7ELNS1_3repE0EEENS1_30default_config_static_selectorELNS0_4arch9wavefront6targetE1EEEvT1_,"axG",@progbits,_ZN7rocprim17ROCPRIM_400000_NS6detail17trampoline_kernelINS0_14default_configENS1_20scan_config_selectorIfEEZZNS1_9scan_implILNS1_25lookback_scan_determinismE0ELb1ELb1ES3_N6thrust23THRUST_200600_302600_NS6detail15normal_iteratorINS9_10device_ptrIjEEEENSB_INSC_IfEEEEfNS9_4plusIvEEfEEDaPvRmT3_T4_T5_mT6_P12ihipStream_tbENKUlT_T0_E_clISt17integral_constantIbLb0EESW_EEDaSR_SS_EUlSR_E_NS1_11comp_targetILNS1_3genE3ELNS1_11target_archE908ELNS1_3gpuE7ELNS1_3repE0EEENS1_30default_config_static_selectorELNS0_4arch9wavefront6targetE1EEEvT1_,comdat
.Lfunc_end6091:
	.size	_ZN7rocprim17ROCPRIM_400000_NS6detail17trampoline_kernelINS0_14default_configENS1_20scan_config_selectorIfEEZZNS1_9scan_implILNS1_25lookback_scan_determinismE0ELb1ELb1ES3_N6thrust23THRUST_200600_302600_NS6detail15normal_iteratorINS9_10device_ptrIjEEEENSB_INSC_IfEEEEfNS9_4plusIvEEfEEDaPvRmT3_T4_T5_mT6_P12ihipStream_tbENKUlT_T0_E_clISt17integral_constantIbLb0EESW_EEDaSR_SS_EUlSR_E_NS1_11comp_targetILNS1_3genE3ELNS1_11target_archE908ELNS1_3gpuE7ELNS1_3repE0EEENS1_30default_config_static_selectorELNS0_4arch9wavefront6targetE1EEEvT1_, .Lfunc_end6091-_ZN7rocprim17ROCPRIM_400000_NS6detail17trampoline_kernelINS0_14default_configENS1_20scan_config_selectorIfEEZZNS1_9scan_implILNS1_25lookback_scan_determinismE0ELb1ELb1ES3_N6thrust23THRUST_200600_302600_NS6detail15normal_iteratorINS9_10device_ptrIjEEEENSB_INSC_IfEEEEfNS9_4plusIvEEfEEDaPvRmT3_T4_T5_mT6_P12ihipStream_tbENKUlT_T0_E_clISt17integral_constantIbLb0EESW_EEDaSR_SS_EUlSR_E_NS1_11comp_targetILNS1_3genE3ELNS1_11target_archE908ELNS1_3gpuE7ELNS1_3repE0EEENS1_30default_config_static_selectorELNS0_4arch9wavefront6targetE1EEEvT1_
                                        ; -- End function
	.section	.AMDGPU.csdata,"",@progbits
; Kernel info:
; codeLenInByte = 0
; NumSgprs: 4
; NumVgprs: 0
; NumAgprs: 0
; TotalNumVgprs: 0
; ScratchSize: 0
; MemoryBound: 0
; FloatMode: 240
; IeeeMode: 1
; LDSByteSize: 0 bytes/workgroup (compile time only)
; SGPRBlocks: 0
; VGPRBlocks: 0
; NumSGPRsForWavesPerEU: 4
; NumVGPRsForWavesPerEU: 1
; AccumOffset: 4
; Occupancy: 8
; WaveLimiterHint : 0
; COMPUTE_PGM_RSRC2:SCRATCH_EN: 0
; COMPUTE_PGM_RSRC2:USER_SGPR: 6
; COMPUTE_PGM_RSRC2:TRAP_HANDLER: 0
; COMPUTE_PGM_RSRC2:TGID_X_EN: 1
; COMPUTE_PGM_RSRC2:TGID_Y_EN: 0
; COMPUTE_PGM_RSRC2:TGID_Z_EN: 0
; COMPUTE_PGM_RSRC2:TIDIG_COMP_CNT: 0
; COMPUTE_PGM_RSRC3_GFX90A:ACCUM_OFFSET: 0
; COMPUTE_PGM_RSRC3_GFX90A:TG_SPLIT: 0
	.section	.text._ZN7rocprim17ROCPRIM_400000_NS6detail17trampoline_kernelINS0_14default_configENS1_20scan_config_selectorIfEEZZNS1_9scan_implILNS1_25lookback_scan_determinismE0ELb1ELb1ES3_N6thrust23THRUST_200600_302600_NS6detail15normal_iteratorINS9_10device_ptrIjEEEENSB_INSC_IfEEEEfNS9_4plusIvEEfEEDaPvRmT3_T4_T5_mT6_P12ihipStream_tbENKUlT_T0_E_clISt17integral_constantIbLb0EESW_EEDaSR_SS_EUlSR_E_NS1_11comp_targetILNS1_3genE2ELNS1_11target_archE906ELNS1_3gpuE6ELNS1_3repE0EEENS1_30default_config_static_selectorELNS0_4arch9wavefront6targetE1EEEvT1_,"axG",@progbits,_ZN7rocprim17ROCPRIM_400000_NS6detail17trampoline_kernelINS0_14default_configENS1_20scan_config_selectorIfEEZZNS1_9scan_implILNS1_25lookback_scan_determinismE0ELb1ELb1ES3_N6thrust23THRUST_200600_302600_NS6detail15normal_iteratorINS9_10device_ptrIjEEEENSB_INSC_IfEEEEfNS9_4plusIvEEfEEDaPvRmT3_T4_T5_mT6_P12ihipStream_tbENKUlT_T0_E_clISt17integral_constantIbLb0EESW_EEDaSR_SS_EUlSR_E_NS1_11comp_targetILNS1_3genE2ELNS1_11target_archE906ELNS1_3gpuE6ELNS1_3repE0EEENS1_30default_config_static_selectorELNS0_4arch9wavefront6targetE1EEEvT1_,comdat
	.protected	_ZN7rocprim17ROCPRIM_400000_NS6detail17trampoline_kernelINS0_14default_configENS1_20scan_config_selectorIfEEZZNS1_9scan_implILNS1_25lookback_scan_determinismE0ELb1ELb1ES3_N6thrust23THRUST_200600_302600_NS6detail15normal_iteratorINS9_10device_ptrIjEEEENSB_INSC_IfEEEEfNS9_4plusIvEEfEEDaPvRmT3_T4_T5_mT6_P12ihipStream_tbENKUlT_T0_E_clISt17integral_constantIbLb0EESW_EEDaSR_SS_EUlSR_E_NS1_11comp_targetILNS1_3genE2ELNS1_11target_archE906ELNS1_3gpuE6ELNS1_3repE0EEENS1_30default_config_static_selectorELNS0_4arch9wavefront6targetE1EEEvT1_ ; -- Begin function _ZN7rocprim17ROCPRIM_400000_NS6detail17trampoline_kernelINS0_14default_configENS1_20scan_config_selectorIfEEZZNS1_9scan_implILNS1_25lookback_scan_determinismE0ELb1ELb1ES3_N6thrust23THRUST_200600_302600_NS6detail15normal_iteratorINS9_10device_ptrIjEEEENSB_INSC_IfEEEEfNS9_4plusIvEEfEEDaPvRmT3_T4_T5_mT6_P12ihipStream_tbENKUlT_T0_E_clISt17integral_constantIbLb0EESW_EEDaSR_SS_EUlSR_E_NS1_11comp_targetILNS1_3genE2ELNS1_11target_archE906ELNS1_3gpuE6ELNS1_3repE0EEENS1_30default_config_static_selectorELNS0_4arch9wavefront6targetE1EEEvT1_
	.globl	_ZN7rocprim17ROCPRIM_400000_NS6detail17trampoline_kernelINS0_14default_configENS1_20scan_config_selectorIfEEZZNS1_9scan_implILNS1_25lookback_scan_determinismE0ELb1ELb1ES3_N6thrust23THRUST_200600_302600_NS6detail15normal_iteratorINS9_10device_ptrIjEEEENSB_INSC_IfEEEEfNS9_4plusIvEEfEEDaPvRmT3_T4_T5_mT6_P12ihipStream_tbENKUlT_T0_E_clISt17integral_constantIbLb0EESW_EEDaSR_SS_EUlSR_E_NS1_11comp_targetILNS1_3genE2ELNS1_11target_archE906ELNS1_3gpuE6ELNS1_3repE0EEENS1_30default_config_static_selectorELNS0_4arch9wavefront6targetE1EEEvT1_
	.p2align	8
	.type	_ZN7rocprim17ROCPRIM_400000_NS6detail17trampoline_kernelINS0_14default_configENS1_20scan_config_selectorIfEEZZNS1_9scan_implILNS1_25lookback_scan_determinismE0ELb1ELb1ES3_N6thrust23THRUST_200600_302600_NS6detail15normal_iteratorINS9_10device_ptrIjEEEENSB_INSC_IfEEEEfNS9_4plusIvEEfEEDaPvRmT3_T4_T5_mT6_P12ihipStream_tbENKUlT_T0_E_clISt17integral_constantIbLb0EESW_EEDaSR_SS_EUlSR_E_NS1_11comp_targetILNS1_3genE2ELNS1_11target_archE906ELNS1_3gpuE6ELNS1_3repE0EEENS1_30default_config_static_selectorELNS0_4arch9wavefront6targetE1EEEvT1_,@function
_ZN7rocprim17ROCPRIM_400000_NS6detail17trampoline_kernelINS0_14default_configENS1_20scan_config_selectorIfEEZZNS1_9scan_implILNS1_25lookback_scan_determinismE0ELb1ELb1ES3_N6thrust23THRUST_200600_302600_NS6detail15normal_iteratorINS9_10device_ptrIjEEEENSB_INSC_IfEEEEfNS9_4plusIvEEfEEDaPvRmT3_T4_T5_mT6_P12ihipStream_tbENKUlT_T0_E_clISt17integral_constantIbLb0EESW_EEDaSR_SS_EUlSR_E_NS1_11comp_targetILNS1_3genE2ELNS1_11target_archE906ELNS1_3gpuE6ELNS1_3repE0EEENS1_30default_config_static_selectorELNS0_4arch9wavefront6targetE1EEEvT1_: ; @_ZN7rocprim17ROCPRIM_400000_NS6detail17trampoline_kernelINS0_14default_configENS1_20scan_config_selectorIfEEZZNS1_9scan_implILNS1_25lookback_scan_determinismE0ELb1ELb1ES3_N6thrust23THRUST_200600_302600_NS6detail15normal_iteratorINS9_10device_ptrIjEEEENSB_INSC_IfEEEEfNS9_4plusIvEEfEEDaPvRmT3_T4_T5_mT6_P12ihipStream_tbENKUlT_T0_E_clISt17integral_constantIbLb0EESW_EEDaSR_SS_EUlSR_E_NS1_11comp_targetILNS1_3genE2ELNS1_11target_archE906ELNS1_3gpuE6ELNS1_3repE0EEENS1_30default_config_static_selectorELNS0_4arch9wavefront6targetE1EEEvT1_
; %bb.0:
	.section	.rodata,"a",@progbits
	.p2align	6, 0x0
	.amdhsa_kernel _ZN7rocprim17ROCPRIM_400000_NS6detail17trampoline_kernelINS0_14default_configENS1_20scan_config_selectorIfEEZZNS1_9scan_implILNS1_25lookback_scan_determinismE0ELb1ELb1ES3_N6thrust23THRUST_200600_302600_NS6detail15normal_iteratorINS9_10device_ptrIjEEEENSB_INSC_IfEEEEfNS9_4plusIvEEfEEDaPvRmT3_T4_T5_mT6_P12ihipStream_tbENKUlT_T0_E_clISt17integral_constantIbLb0EESW_EEDaSR_SS_EUlSR_E_NS1_11comp_targetILNS1_3genE2ELNS1_11target_archE906ELNS1_3gpuE6ELNS1_3repE0EEENS1_30default_config_static_selectorELNS0_4arch9wavefront6targetE1EEEvT1_
		.amdhsa_group_segment_fixed_size 0
		.amdhsa_private_segment_fixed_size 0
		.amdhsa_kernarg_size 96
		.amdhsa_user_sgpr_count 6
		.amdhsa_user_sgpr_private_segment_buffer 1
		.amdhsa_user_sgpr_dispatch_ptr 0
		.amdhsa_user_sgpr_queue_ptr 0
		.amdhsa_user_sgpr_kernarg_segment_ptr 1
		.amdhsa_user_sgpr_dispatch_id 0
		.amdhsa_user_sgpr_flat_scratch_init 0
		.amdhsa_user_sgpr_kernarg_preload_length 0
		.amdhsa_user_sgpr_kernarg_preload_offset 0
		.amdhsa_user_sgpr_private_segment_size 0
		.amdhsa_uses_dynamic_stack 0
		.amdhsa_system_sgpr_private_segment_wavefront_offset 0
		.amdhsa_system_sgpr_workgroup_id_x 1
		.amdhsa_system_sgpr_workgroup_id_y 0
		.amdhsa_system_sgpr_workgroup_id_z 0
		.amdhsa_system_sgpr_workgroup_info 0
		.amdhsa_system_vgpr_workitem_id 0
		.amdhsa_next_free_vgpr 1
		.amdhsa_next_free_sgpr 0
		.amdhsa_accum_offset 4
		.amdhsa_reserve_vcc 0
		.amdhsa_reserve_flat_scratch 0
		.amdhsa_float_round_mode_32 0
		.amdhsa_float_round_mode_16_64 0
		.amdhsa_float_denorm_mode_32 3
		.amdhsa_float_denorm_mode_16_64 3
		.amdhsa_dx10_clamp 1
		.amdhsa_ieee_mode 1
		.amdhsa_fp16_overflow 0
		.amdhsa_tg_split 0
		.amdhsa_exception_fp_ieee_invalid_op 0
		.amdhsa_exception_fp_denorm_src 0
		.amdhsa_exception_fp_ieee_div_zero 0
		.amdhsa_exception_fp_ieee_overflow 0
		.amdhsa_exception_fp_ieee_underflow 0
		.amdhsa_exception_fp_ieee_inexact 0
		.amdhsa_exception_int_div_zero 0
	.end_amdhsa_kernel
	.section	.text._ZN7rocprim17ROCPRIM_400000_NS6detail17trampoline_kernelINS0_14default_configENS1_20scan_config_selectorIfEEZZNS1_9scan_implILNS1_25lookback_scan_determinismE0ELb1ELb1ES3_N6thrust23THRUST_200600_302600_NS6detail15normal_iteratorINS9_10device_ptrIjEEEENSB_INSC_IfEEEEfNS9_4plusIvEEfEEDaPvRmT3_T4_T5_mT6_P12ihipStream_tbENKUlT_T0_E_clISt17integral_constantIbLb0EESW_EEDaSR_SS_EUlSR_E_NS1_11comp_targetILNS1_3genE2ELNS1_11target_archE906ELNS1_3gpuE6ELNS1_3repE0EEENS1_30default_config_static_selectorELNS0_4arch9wavefront6targetE1EEEvT1_,"axG",@progbits,_ZN7rocprim17ROCPRIM_400000_NS6detail17trampoline_kernelINS0_14default_configENS1_20scan_config_selectorIfEEZZNS1_9scan_implILNS1_25lookback_scan_determinismE0ELb1ELb1ES3_N6thrust23THRUST_200600_302600_NS6detail15normal_iteratorINS9_10device_ptrIjEEEENSB_INSC_IfEEEEfNS9_4plusIvEEfEEDaPvRmT3_T4_T5_mT6_P12ihipStream_tbENKUlT_T0_E_clISt17integral_constantIbLb0EESW_EEDaSR_SS_EUlSR_E_NS1_11comp_targetILNS1_3genE2ELNS1_11target_archE906ELNS1_3gpuE6ELNS1_3repE0EEENS1_30default_config_static_selectorELNS0_4arch9wavefront6targetE1EEEvT1_,comdat
.Lfunc_end6092:
	.size	_ZN7rocprim17ROCPRIM_400000_NS6detail17trampoline_kernelINS0_14default_configENS1_20scan_config_selectorIfEEZZNS1_9scan_implILNS1_25lookback_scan_determinismE0ELb1ELb1ES3_N6thrust23THRUST_200600_302600_NS6detail15normal_iteratorINS9_10device_ptrIjEEEENSB_INSC_IfEEEEfNS9_4plusIvEEfEEDaPvRmT3_T4_T5_mT6_P12ihipStream_tbENKUlT_T0_E_clISt17integral_constantIbLb0EESW_EEDaSR_SS_EUlSR_E_NS1_11comp_targetILNS1_3genE2ELNS1_11target_archE906ELNS1_3gpuE6ELNS1_3repE0EEENS1_30default_config_static_selectorELNS0_4arch9wavefront6targetE1EEEvT1_, .Lfunc_end6092-_ZN7rocprim17ROCPRIM_400000_NS6detail17trampoline_kernelINS0_14default_configENS1_20scan_config_selectorIfEEZZNS1_9scan_implILNS1_25lookback_scan_determinismE0ELb1ELb1ES3_N6thrust23THRUST_200600_302600_NS6detail15normal_iteratorINS9_10device_ptrIjEEEENSB_INSC_IfEEEEfNS9_4plusIvEEfEEDaPvRmT3_T4_T5_mT6_P12ihipStream_tbENKUlT_T0_E_clISt17integral_constantIbLb0EESW_EEDaSR_SS_EUlSR_E_NS1_11comp_targetILNS1_3genE2ELNS1_11target_archE906ELNS1_3gpuE6ELNS1_3repE0EEENS1_30default_config_static_selectorELNS0_4arch9wavefront6targetE1EEEvT1_
                                        ; -- End function
	.section	.AMDGPU.csdata,"",@progbits
; Kernel info:
; codeLenInByte = 0
; NumSgprs: 4
; NumVgprs: 0
; NumAgprs: 0
; TotalNumVgprs: 0
; ScratchSize: 0
; MemoryBound: 0
; FloatMode: 240
; IeeeMode: 1
; LDSByteSize: 0 bytes/workgroup (compile time only)
; SGPRBlocks: 0
; VGPRBlocks: 0
; NumSGPRsForWavesPerEU: 4
; NumVGPRsForWavesPerEU: 1
; AccumOffset: 4
; Occupancy: 8
; WaveLimiterHint : 0
; COMPUTE_PGM_RSRC2:SCRATCH_EN: 0
; COMPUTE_PGM_RSRC2:USER_SGPR: 6
; COMPUTE_PGM_RSRC2:TRAP_HANDLER: 0
; COMPUTE_PGM_RSRC2:TGID_X_EN: 1
; COMPUTE_PGM_RSRC2:TGID_Y_EN: 0
; COMPUTE_PGM_RSRC2:TGID_Z_EN: 0
; COMPUTE_PGM_RSRC2:TIDIG_COMP_CNT: 0
; COMPUTE_PGM_RSRC3_GFX90A:ACCUM_OFFSET: 0
; COMPUTE_PGM_RSRC3_GFX90A:TG_SPLIT: 0
	.section	.text._ZN7rocprim17ROCPRIM_400000_NS6detail17trampoline_kernelINS0_14default_configENS1_20scan_config_selectorIfEEZZNS1_9scan_implILNS1_25lookback_scan_determinismE0ELb1ELb1ES3_N6thrust23THRUST_200600_302600_NS6detail15normal_iteratorINS9_10device_ptrIjEEEENSB_INSC_IfEEEEfNS9_4plusIvEEfEEDaPvRmT3_T4_T5_mT6_P12ihipStream_tbENKUlT_T0_E_clISt17integral_constantIbLb0EESW_EEDaSR_SS_EUlSR_E_NS1_11comp_targetILNS1_3genE10ELNS1_11target_archE1201ELNS1_3gpuE5ELNS1_3repE0EEENS1_30default_config_static_selectorELNS0_4arch9wavefront6targetE1EEEvT1_,"axG",@progbits,_ZN7rocprim17ROCPRIM_400000_NS6detail17trampoline_kernelINS0_14default_configENS1_20scan_config_selectorIfEEZZNS1_9scan_implILNS1_25lookback_scan_determinismE0ELb1ELb1ES3_N6thrust23THRUST_200600_302600_NS6detail15normal_iteratorINS9_10device_ptrIjEEEENSB_INSC_IfEEEEfNS9_4plusIvEEfEEDaPvRmT3_T4_T5_mT6_P12ihipStream_tbENKUlT_T0_E_clISt17integral_constantIbLb0EESW_EEDaSR_SS_EUlSR_E_NS1_11comp_targetILNS1_3genE10ELNS1_11target_archE1201ELNS1_3gpuE5ELNS1_3repE0EEENS1_30default_config_static_selectorELNS0_4arch9wavefront6targetE1EEEvT1_,comdat
	.protected	_ZN7rocprim17ROCPRIM_400000_NS6detail17trampoline_kernelINS0_14default_configENS1_20scan_config_selectorIfEEZZNS1_9scan_implILNS1_25lookback_scan_determinismE0ELb1ELb1ES3_N6thrust23THRUST_200600_302600_NS6detail15normal_iteratorINS9_10device_ptrIjEEEENSB_INSC_IfEEEEfNS9_4plusIvEEfEEDaPvRmT3_T4_T5_mT6_P12ihipStream_tbENKUlT_T0_E_clISt17integral_constantIbLb0EESW_EEDaSR_SS_EUlSR_E_NS1_11comp_targetILNS1_3genE10ELNS1_11target_archE1201ELNS1_3gpuE5ELNS1_3repE0EEENS1_30default_config_static_selectorELNS0_4arch9wavefront6targetE1EEEvT1_ ; -- Begin function _ZN7rocprim17ROCPRIM_400000_NS6detail17trampoline_kernelINS0_14default_configENS1_20scan_config_selectorIfEEZZNS1_9scan_implILNS1_25lookback_scan_determinismE0ELb1ELb1ES3_N6thrust23THRUST_200600_302600_NS6detail15normal_iteratorINS9_10device_ptrIjEEEENSB_INSC_IfEEEEfNS9_4plusIvEEfEEDaPvRmT3_T4_T5_mT6_P12ihipStream_tbENKUlT_T0_E_clISt17integral_constantIbLb0EESW_EEDaSR_SS_EUlSR_E_NS1_11comp_targetILNS1_3genE10ELNS1_11target_archE1201ELNS1_3gpuE5ELNS1_3repE0EEENS1_30default_config_static_selectorELNS0_4arch9wavefront6targetE1EEEvT1_
	.globl	_ZN7rocprim17ROCPRIM_400000_NS6detail17trampoline_kernelINS0_14default_configENS1_20scan_config_selectorIfEEZZNS1_9scan_implILNS1_25lookback_scan_determinismE0ELb1ELb1ES3_N6thrust23THRUST_200600_302600_NS6detail15normal_iteratorINS9_10device_ptrIjEEEENSB_INSC_IfEEEEfNS9_4plusIvEEfEEDaPvRmT3_T4_T5_mT6_P12ihipStream_tbENKUlT_T0_E_clISt17integral_constantIbLb0EESW_EEDaSR_SS_EUlSR_E_NS1_11comp_targetILNS1_3genE10ELNS1_11target_archE1201ELNS1_3gpuE5ELNS1_3repE0EEENS1_30default_config_static_selectorELNS0_4arch9wavefront6targetE1EEEvT1_
	.p2align	8
	.type	_ZN7rocprim17ROCPRIM_400000_NS6detail17trampoline_kernelINS0_14default_configENS1_20scan_config_selectorIfEEZZNS1_9scan_implILNS1_25lookback_scan_determinismE0ELb1ELb1ES3_N6thrust23THRUST_200600_302600_NS6detail15normal_iteratorINS9_10device_ptrIjEEEENSB_INSC_IfEEEEfNS9_4plusIvEEfEEDaPvRmT3_T4_T5_mT6_P12ihipStream_tbENKUlT_T0_E_clISt17integral_constantIbLb0EESW_EEDaSR_SS_EUlSR_E_NS1_11comp_targetILNS1_3genE10ELNS1_11target_archE1201ELNS1_3gpuE5ELNS1_3repE0EEENS1_30default_config_static_selectorELNS0_4arch9wavefront6targetE1EEEvT1_,@function
_ZN7rocprim17ROCPRIM_400000_NS6detail17trampoline_kernelINS0_14default_configENS1_20scan_config_selectorIfEEZZNS1_9scan_implILNS1_25lookback_scan_determinismE0ELb1ELb1ES3_N6thrust23THRUST_200600_302600_NS6detail15normal_iteratorINS9_10device_ptrIjEEEENSB_INSC_IfEEEEfNS9_4plusIvEEfEEDaPvRmT3_T4_T5_mT6_P12ihipStream_tbENKUlT_T0_E_clISt17integral_constantIbLb0EESW_EEDaSR_SS_EUlSR_E_NS1_11comp_targetILNS1_3genE10ELNS1_11target_archE1201ELNS1_3gpuE5ELNS1_3repE0EEENS1_30default_config_static_selectorELNS0_4arch9wavefront6targetE1EEEvT1_: ; @_ZN7rocprim17ROCPRIM_400000_NS6detail17trampoline_kernelINS0_14default_configENS1_20scan_config_selectorIfEEZZNS1_9scan_implILNS1_25lookback_scan_determinismE0ELb1ELb1ES3_N6thrust23THRUST_200600_302600_NS6detail15normal_iteratorINS9_10device_ptrIjEEEENSB_INSC_IfEEEEfNS9_4plusIvEEfEEDaPvRmT3_T4_T5_mT6_P12ihipStream_tbENKUlT_T0_E_clISt17integral_constantIbLb0EESW_EEDaSR_SS_EUlSR_E_NS1_11comp_targetILNS1_3genE10ELNS1_11target_archE1201ELNS1_3gpuE5ELNS1_3repE0EEENS1_30default_config_static_selectorELNS0_4arch9wavefront6targetE1EEEvT1_
; %bb.0:
	.section	.rodata,"a",@progbits
	.p2align	6, 0x0
	.amdhsa_kernel _ZN7rocprim17ROCPRIM_400000_NS6detail17trampoline_kernelINS0_14default_configENS1_20scan_config_selectorIfEEZZNS1_9scan_implILNS1_25lookback_scan_determinismE0ELb1ELb1ES3_N6thrust23THRUST_200600_302600_NS6detail15normal_iteratorINS9_10device_ptrIjEEEENSB_INSC_IfEEEEfNS9_4plusIvEEfEEDaPvRmT3_T4_T5_mT6_P12ihipStream_tbENKUlT_T0_E_clISt17integral_constantIbLb0EESW_EEDaSR_SS_EUlSR_E_NS1_11comp_targetILNS1_3genE10ELNS1_11target_archE1201ELNS1_3gpuE5ELNS1_3repE0EEENS1_30default_config_static_selectorELNS0_4arch9wavefront6targetE1EEEvT1_
		.amdhsa_group_segment_fixed_size 0
		.amdhsa_private_segment_fixed_size 0
		.amdhsa_kernarg_size 96
		.amdhsa_user_sgpr_count 6
		.amdhsa_user_sgpr_private_segment_buffer 1
		.amdhsa_user_sgpr_dispatch_ptr 0
		.amdhsa_user_sgpr_queue_ptr 0
		.amdhsa_user_sgpr_kernarg_segment_ptr 1
		.amdhsa_user_sgpr_dispatch_id 0
		.amdhsa_user_sgpr_flat_scratch_init 0
		.amdhsa_user_sgpr_kernarg_preload_length 0
		.amdhsa_user_sgpr_kernarg_preload_offset 0
		.amdhsa_user_sgpr_private_segment_size 0
		.amdhsa_uses_dynamic_stack 0
		.amdhsa_system_sgpr_private_segment_wavefront_offset 0
		.amdhsa_system_sgpr_workgroup_id_x 1
		.amdhsa_system_sgpr_workgroup_id_y 0
		.amdhsa_system_sgpr_workgroup_id_z 0
		.amdhsa_system_sgpr_workgroup_info 0
		.amdhsa_system_vgpr_workitem_id 0
		.amdhsa_next_free_vgpr 1
		.amdhsa_next_free_sgpr 0
		.amdhsa_accum_offset 4
		.amdhsa_reserve_vcc 0
		.amdhsa_reserve_flat_scratch 0
		.amdhsa_float_round_mode_32 0
		.amdhsa_float_round_mode_16_64 0
		.amdhsa_float_denorm_mode_32 3
		.amdhsa_float_denorm_mode_16_64 3
		.amdhsa_dx10_clamp 1
		.amdhsa_ieee_mode 1
		.amdhsa_fp16_overflow 0
		.amdhsa_tg_split 0
		.amdhsa_exception_fp_ieee_invalid_op 0
		.amdhsa_exception_fp_denorm_src 0
		.amdhsa_exception_fp_ieee_div_zero 0
		.amdhsa_exception_fp_ieee_overflow 0
		.amdhsa_exception_fp_ieee_underflow 0
		.amdhsa_exception_fp_ieee_inexact 0
		.amdhsa_exception_int_div_zero 0
	.end_amdhsa_kernel
	.section	.text._ZN7rocprim17ROCPRIM_400000_NS6detail17trampoline_kernelINS0_14default_configENS1_20scan_config_selectorIfEEZZNS1_9scan_implILNS1_25lookback_scan_determinismE0ELb1ELb1ES3_N6thrust23THRUST_200600_302600_NS6detail15normal_iteratorINS9_10device_ptrIjEEEENSB_INSC_IfEEEEfNS9_4plusIvEEfEEDaPvRmT3_T4_T5_mT6_P12ihipStream_tbENKUlT_T0_E_clISt17integral_constantIbLb0EESW_EEDaSR_SS_EUlSR_E_NS1_11comp_targetILNS1_3genE10ELNS1_11target_archE1201ELNS1_3gpuE5ELNS1_3repE0EEENS1_30default_config_static_selectorELNS0_4arch9wavefront6targetE1EEEvT1_,"axG",@progbits,_ZN7rocprim17ROCPRIM_400000_NS6detail17trampoline_kernelINS0_14default_configENS1_20scan_config_selectorIfEEZZNS1_9scan_implILNS1_25lookback_scan_determinismE0ELb1ELb1ES3_N6thrust23THRUST_200600_302600_NS6detail15normal_iteratorINS9_10device_ptrIjEEEENSB_INSC_IfEEEEfNS9_4plusIvEEfEEDaPvRmT3_T4_T5_mT6_P12ihipStream_tbENKUlT_T0_E_clISt17integral_constantIbLb0EESW_EEDaSR_SS_EUlSR_E_NS1_11comp_targetILNS1_3genE10ELNS1_11target_archE1201ELNS1_3gpuE5ELNS1_3repE0EEENS1_30default_config_static_selectorELNS0_4arch9wavefront6targetE1EEEvT1_,comdat
.Lfunc_end6093:
	.size	_ZN7rocprim17ROCPRIM_400000_NS6detail17trampoline_kernelINS0_14default_configENS1_20scan_config_selectorIfEEZZNS1_9scan_implILNS1_25lookback_scan_determinismE0ELb1ELb1ES3_N6thrust23THRUST_200600_302600_NS6detail15normal_iteratorINS9_10device_ptrIjEEEENSB_INSC_IfEEEEfNS9_4plusIvEEfEEDaPvRmT3_T4_T5_mT6_P12ihipStream_tbENKUlT_T0_E_clISt17integral_constantIbLb0EESW_EEDaSR_SS_EUlSR_E_NS1_11comp_targetILNS1_3genE10ELNS1_11target_archE1201ELNS1_3gpuE5ELNS1_3repE0EEENS1_30default_config_static_selectorELNS0_4arch9wavefront6targetE1EEEvT1_, .Lfunc_end6093-_ZN7rocprim17ROCPRIM_400000_NS6detail17trampoline_kernelINS0_14default_configENS1_20scan_config_selectorIfEEZZNS1_9scan_implILNS1_25lookback_scan_determinismE0ELb1ELb1ES3_N6thrust23THRUST_200600_302600_NS6detail15normal_iteratorINS9_10device_ptrIjEEEENSB_INSC_IfEEEEfNS9_4plusIvEEfEEDaPvRmT3_T4_T5_mT6_P12ihipStream_tbENKUlT_T0_E_clISt17integral_constantIbLb0EESW_EEDaSR_SS_EUlSR_E_NS1_11comp_targetILNS1_3genE10ELNS1_11target_archE1201ELNS1_3gpuE5ELNS1_3repE0EEENS1_30default_config_static_selectorELNS0_4arch9wavefront6targetE1EEEvT1_
                                        ; -- End function
	.section	.AMDGPU.csdata,"",@progbits
; Kernel info:
; codeLenInByte = 0
; NumSgprs: 4
; NumVgprs: 0
; NumAgprs: 0
; TotalNumVgprs: 0
; ScratchSize: 0
; MemoryBound: 0
; FloatMode: 240
; IeeeMode: 1
; LDSByteSize: 0 bytes/workgroup (compile time only)
; SGPRBlocks: 0
; VGPRBlocks: 0
; NumSGPRsForWavesPerEU: 4
; NumVGPRsForWavesPerEU: 1
; AccumOffset: 4
; Occupancy: 8
; WaveLimiterHint : 0
; COMPUTE_PGM_RSRC2:SCRATCH_EN: 0
; COMPUTE_PGM_RSRC2:USER_SGPR: 6
; COMPUTE_PGM_RSRC2:TRAP_HANDLER: 0
; COMPUTE_PGM_RSRC2:TGID_X_EN: 1
; COMPUTE_PGM_RSRC2:TGID_Y_EN: 0
; COMPUTE_PGM_RSRC2:TGID_Z_EN: 0
; COMPUTE_PGM_RSRC2:TIDIG_COMP_CNT: 0
; COMPUTE_PGM_RSRC3_GFX90A:ACCUM_OFFSET: 0
; COMPUTE_PGM_RSRC3_GFX90A:TG_SPLIT: 0
	.section	.text._ZN7rocprim17ROCPRIM_400000_NS6detail17trampoline_kernelINS0_14default_configENS1_20scan_config_selectorIfEEZZNS1_9scan_implILNS1_25lookback_scan_determinismE0ELb1ELb1ES3_N6thrust23THRUST_200600_302600_NS6detail15normal_iteratorINS9_10device_ptrIjEEEENSB_INSC_IfEEEEfNS9_4plusIvEEfEEDaPvRmT3_T4_T5_mT6_P12ihipStream_tbENKUlT_T0_E_clISt17integral_constantIbLb0EESW_EEDaSR_SS_EUlSR_E_NS1_11comp_targetILNS1_3genE10ELNS1_11target_archE1200ELNS1_3gpuE4ELNS1_3repE0EEENS1_30default_config_static_selectorELNS0_4arch9wavefront6targetE1EEEvT1_,"axG",@progbits,_ZN7rocprim17ROCPRIM_400000_NS6detail17trampoline_kernelINS0_14default_configENS1_20scan_config_selectorIfEEZZNS1_9scan_implILNS1_25lookback_scan_determinismE0ELb1ELb1ES3_N6thrust23THRUST_200600_302600_NS6detail15normal_iteratorINS9_10device_ptrIjEEEENSB_INSC_IfEEEEfNS9_4plusIvEEfEEDaPvRmT3_T4_T5_mT6_P12ihipStream_tbENKUlT_T0_E_clISt17integral_constantIbLb0EESW_EEDaSR_SS_EUlSR_E_NS1_11comp_targetILNS1_3genE10ELNS1_11target_archE1200ELNS1_3gpuE4ELNS1_3repE0EEENS1_30default_config_static_selectorELNS0_4arch9wavefront6targetE1EEEvT1_,comdat
	.protected	_ZN7rocprim17ROCPRIM_400000_NS6detail17trampoline_kernelINS0_14default_configENS1_20scan_config_selectorIfEEZZNS1_9scan_implILNS1_25lookback_scan_determinismE0ELb1ELb1ES3_N6thrust23THRUST_200600_302600_NS6detail15normal_iteratorINS9_10device_ptrIjEEEENSB_INSC_IfEEEEfNS9_4plusIvEEfEEDaPvRmT3_T4_T5_mT6_P12ihipStream_tbENKUlT_T0_E_clISt17integral_constantIbLb0EESW_EEDaSR_SS_EUlSR_E_NS1_11comp_targetILNS1_3genE10ELNS1_11target_archE1200ELNS1_3gpuE4ELNS1_3repE0EEENS1_30default_config_static_selectorELNS0_4arch9wavefront6targetE1EEEvT1_ ; -- Begin function _ZN7rocprim17ROCPRIM_400000_NS6detail17trampoline_kernelINS0_14default_configENS1_20scan_config_selectorIfEEZZNS1_9scan_implILNS1_25lookback_scan_determinismE0ELb1ELb1ES3_N6thrust23THRUST_200600_302600_NS6detail15normal_iteratorINS9_10device_ptrIjEEEENSB_INSC_IfEEEEfNS9_4plusIvEEfEEDaPvRmT3_T4_T5_mT6_P12ihipStream_tbENKUlT_T0_E_clISt17integral_constantIbLb0EESW_EEDaSR_SS_EUlSR_E_NS1_11comp_targetILNS1_3genE10ELNS1_11target_archE1200ELNS1_3gpuE4ELNS1_3repE0EEENS1_30default_config_static_selectorELNS0_4arch9wavefront6targetE1EEEvT1_
	.globl	_ZN7rocprim17ROCPRIM_400000_NS6detail17trampoline_kernelINS0_14default_configENS1_20scan_config_selectorIfEEZZNS1_9scan_implILNS1_25lookback_scan_determinismE0ELb1ELb1ES3_N6thrust23THRUST_200600_302600_NS6detail15normal_iteratorINS9_10device_ptrIjEEEENSB_INSC_IfEEEEfNS9_4plusIvEEfEEDaPvRmT3_T4_T5_mT6_P12ihipStream_tbENKUlT_T0_E_clISt17integral_constantIbLb0EESW_EEDaSR_SS_EUlSR_E_NS1_11comp_targetILNS1_3genE10ELNS1_11target_archE1200ELNS1_3gpuE4ELNS1_3repE0EEENS1_30default_config_static_selectorELNS0_4arch9wavefront6targetE1EEEvT1_
	.p2align	8
	.type	_ZN7rocprim17ROCPRIM_400000_NS6detail17trampoline_kernelINS0_14default_configENS1_20scan_config_selectorIfEEZZNS1_9scan_implILNS1_25lookback_scan_determinismE0ELb1ELb1ES3_N6thrust23THRUST_200600_302600_NS6detail15normal_iteratorINS9_10device_ptrIjEEEENSB_INSC_IfEEEEfNS9_4plusIvEEfEEDaPvRmT3_T4_T5_mT6_P12ihipStream_tbENKUlT_T0_E_clISt17integral_constantIbLb0EESW_EEDaSR_SS_EUlSR_E_NS1_11comp_targetILNS1_3genE10ELNS1_11target_archE1200ELNS1_3gpuE4ELNS1_3repE0EEENS1_30default_config_static_selectorELNS0_4arch9wavefront6targetE1EEEvT1_,@function
_ZN7rocprim17ROCPRIM_400000_NS6detail17trampoline_kernelINS0_14default_configENS1_20scan_config_selectorIfEEZZNS1_9scan_implILNS1_25lookback_scan_determinismE0ELb1ELb1ES3_N6thrust23THRUST_200600_302600_NS6detail15normal_iteratorINS9_10device_ptrIjEEEENSB_INSC_IfEEEEfNS9_4plusIvEEfEEDaPvRmT3_T4_T5_mT6_P12ihipStream_tbENKUlT_T0_E_clISt17integral_constantIbLb0EESW_EEDaSR_SS_EUlSR_E_NS1_11comp_targetILNS1_3genE10ELNS1_11target_archE1200ELNS1_3gpuE4ELNS1_3repE0EEENS1_30default_config_static_selectorELNS0_4arch9wavefront6targetE1EEEvT1_: ; @_ZN7rocprim17ROCPRIM_400000_NS6detail17trampoline_kernelINS0_14default_configENS1_20scan_config_selectorIfEEZZNS1_9scan_implILNS1_25lookback_scan_determinismE0ELb1ELb1ES3_N6thrust23THRUST_200600_302600_NS6detail15normal_iteratorINS9_10device_ptrIjEEEENSB_INSC_IfEEEEfNS9_4plusIvEEfEEDaPvRmT3_T4_T5_mT6_P12ihipStream_tbENKUlT_T0_E_clISt17integral_constantIbLb0EESW_EEDaSR_SS_EUlSR_E_NS1_11comp_targetILNS1_3genE10ELNS1_11target_archE1200ELNS1_3gpuE4ELNS1_3repE0EEENS1_30default_config_static_selectorELNS0_4arch9wavefront6targetE1EEEvT1_
; %bb.0:
	.section	.rodata,"a",@progbits
	.p2align	6, 0x0
	.amdhsa_kernel _ZN7rocprim17ROCPRIM_400000_NS6detail17trampoline_kernelINS0_14default_configENS1_20scan_config_selectorIfEEZZNS1_9scan_implILNS1_25lookback_scan_determinismE0ELb1ELb1ES3_N6thrust23THRUST_200600_302600_NS6detail15normal_iteratorINS9_10device_ptrIjEEEENSB_INSC_IfEEEEfNS9_4plusIvEEfEEDaPvRmT3_T4_T5_mT6_P12ihipStream_tbENKUlT_T0_E_clISt17integral_constantIbLb0EESW_EEDaSR_SS_EUlSR_E_NS1_11comp_targetILNS1_3genE10ELNS1_11target_archE1200ELNS1_3gpuE4ELNS1_3repE0EEENS1_30default_config_static_selectorELNS0_4arch9wavefront6targetE1EEEvT1_
		.amdhsa_group_segment_fixed_size 0
		.amdhsa_private_segment_fixed_size 0
		.amdhsa_kernarg_size 96
		.amdhsa_user_sgpr_count 6
		.amdhsa_user_sgpr_private_segment_buffer 1
		.amdhsa_user_sgpr_dispatch_ptr 0
		.amdhsa_user_sgpr_queue_ptr 0
		.amdhsa_user_sgpr_kernarg_segment_ptr 1
		.amdhsa_user_sgpr_dispatch_id 0
		.amdhsa_user_sgpr_flat_scratch_init 0
		.amdhsa_user_sgpr_kernarg_preload_length 0
		.amdhsa_user_sgpr_kernarg_preload_offset 0
		.amdhsa_user_sgpr_private_segment_size 0
		.amdhsa_uses_dynamic_stack 0
		.amdhsa_system_sgpr_private_segment_wavefront_offset 0
		.amdhsa_system_sgpr_workgroup_id_x 1
		.amdhsa_system_sgpr_workgroup_id_y 0
		.amdhsa_system_sgpr_workgroup_id_z 0
		.amdhsa_system_sgpr_workgroup_info 0
		.amdhsa_system_vgpr_workitem_id 0
		.amdhsa_next_free_vgpr 1
		.amdhsa_next_free_sgpr 0
		.amdhsa_accum_offset 4
		.amdhsa_reserve_vcc 0
		.amdhsa_reserve_flat_scratch 0
		.amdhsa_float_round_mode_32 0
		.amdhsa_float_round_mode_16_64 0
		.amdhsa_float_denorm_mode_32 3
		.amdhsa_float_denorm_mode_16_64 3
		.amdhsa_dx10_clamp 1
		.amdhsa_ieee_mode 1
		.amdhsa_fp16_overflow 0
		.amdhsa_tg_split 0
		.amdhsa_exception_fp_ieee_invalid_op 0
		.amdhsa_exception_fp_denorm_src 0
		.amdhsa_exception_fp_ieee_div_zero 0
		.amdhsa_exception_fp_ieee_overflow 0
		.amdhsa_exception_fp_ieee_underflow 0
		.amdhsa_exception_fp_ieee_inexact 0
		.amdhsa_exception_int_div_zero 0
	.end_amdhsa_kernel
	.section	.text._ZN7rocprim17ROCPRIM_400000_NS6detail17trampoline_kernelINS0_14default_configENS1_20scan_config_selectorIfEEZZNS1_9scan_implILNS1_25lookback_scan_determinismE0ELb1ELb1ES3_N6thrust23THRUST_200600_302600_NS6detail15normal_iteratorINS9_10device_ptrIjEEEENSB_INSC_IfEEEEfNS9_4plusIvEEfEEDaPvRmT3_T4_T5_mT6_P12ihipStream_tbENKUlT_T0_E_clISt17integral_constantIbLb0EESW_EEDaSR_SS_EUlSR_E_NS1_11comp_targetILNS1_3genE10ELNS1_11target_archE1200ELNS1_3gpuE4ELNS1_3repE0EEENS1_30default_config_static_selectorELNS0_4arch9wavefront6targetE1EEEvT1_,"axG",@progbits,_ZN7rocprim17ROCPRIM_400000_NS6detail17trampoline_kernelINS0_14default_configENS1_20scan_config_selectorIfEEZZNS1_9scan_implILNS1_25lookback_scan_determinismE0ELb1ELb1ES3_N6thrust23THRUST_200600_302600_NS6detail15normal_iteratorINS9_10device_ptrIjEEEENSB_INSC_IfEEEEfNS9_4plusIvEEfEEDaPvRmT3_T4_T5_mT6_P12ihipStream_tbENKUlT_T0_E_clISt17integral_constantIbLb0EESW_EEDaSR_SS_EUlSR_E_NS1_11comp_targetILNS1_3genE10ELNS1_11target_archE1200ELNS1_3gpuE4ELNS1_3repE0EEENS1_30default_config_static_selectorELNS0_4arch9wavefront6targetE1EEEvT1_,comdat
.Lfunc_end6094:
	.size	_ZN7rocprim17ROCPRIM_400000_NS6detail17trampoline_kernelINS0_14default_configENS1_20scan_config_selectorIfEEZZNS1_9scan_implILNS1_25lookback_scan_determinismE0ELb1ELb1ES3_N6thrust23THRUST_200600_302600_NS6detail15normal_iteratorINS9_10device_ptrIjEEEENSB_INSC_IfEEEEfNS9_4plusIvEEfEEDaPvRmT3_T4_T5_mT6_P12ihipStream_tbENKUlT_T0_E_clISt17integral_constantIbLb0EESW_EEDaSR_SS_EUlSR_E_NS1_11comp_targetILNS1_3genE10ELNS1_11target_archE1200ELNS1_3gpuE4ELNS1_3repE0EEENS1_30default_config_static_selectorELNS0_4arch9wavefront6targetE1EEEvT1_, .Lfunc_end6094-_ZN7rocprim17ROCPRIM_400000_NS6detail17trampoline_kernelINS0_14default_configENS1_20scan_config_selectorIfEEZZNS1_9scan_implILNS1_25lookback_scan_determinismE0ELb1ELb1ES3_N6thrust23THRUST_200600_302600_NS6detail15normal_iteratorINS9_10device_ptrIjEEEENSB_INSC_IfEEEEfNS9_4plusIvEEfEEDaPvRmT3_T4_T5_mT6_P12ihipStream_tbENKUlT_T0_E_clISt17integral_constantIbLb0EESW_EEDaSR_SS_EUlSR_E_NS1_11comp_targetILNS1_3genE10ELNS1_11target_archE1200ELNS1_3gpuE4ELNS1_3repE0EEENS1_30default_config_static_selectorELNS0_4arch9wavefront6targetE1EEEvT1_
                                        ; -- End function
	.section	.AMDGPU.csdata,"",@progbits
; Kernel info:
; codeLenInByte = 0
; NumSgprs: 4
; NumVgprs: 0
; NumAgprs: 0
; TotalNumVgprs: 0
; ScratchSize: 0
; MemoryBound: 0
; FloatMode: 240
; IeeeMode: 1
; LDSByteSize: 0 bytes/workgroup (compile time only)
; SGPRBlocks: 0
; VGPRBlocks: 0
; NumSGPRsForWavesPerEU: 4
; NumVGPRsForWavesPerEU: 1
; AccumOffset: 4
; Occupancy: 8
; WaveLimiterHint : 0
; COMPUTE_PGM_RSRC2:SCRATCH_EN: 0
; COMPUTE_PGM_RSRC2:USER_SGPR: 6
; COMPUTE_PGM_RSRC2:TRAP_HANDLER: 0
; COMPUTE_PGM_RSRC2:TGID_X_EN: 1
; COMPUTE_PGM_RSRC2:TGID_Y_EN: 0
; COMPUTE_PGM_RSRC2:TGID_Z_EN: 0
; COMPUTE_PGM_RSRC2:TIDIG_COMP_CNT: 0
; COMPUTE_PGM_RSRC3_GFX90A:ACCUM_OFFSET: 0
; COMPUTE_PGM_RSRC3_GFX90A:TG_SPLIT: 0
	.section	.text._ZN7rocprim17ROCPRIM_400000_NS6detail17trampoline_kernelINS0_14default_configENS1_20scan_config_selectorIfEEZZNS1_9scan_implILNS1_25lookback_scan_determinismE0ELb1ELb1ES3_N6thrust23THRUST_200600_302600_NS6detail15normal_iteratorINS9_10device_ptrIjEEEENSB_INSC_IfEEEEfNS9_4plusIvEEfEEDaPvRmT3_T4_T5_mT6_P12ihipStream_tbENKUlT_T0_E_clISt17integral_constantIbLb0EESW_EEDaSR_SS_EUlSR_E_NS1_11comp_targetILNS1_3genE9ELNS1_11target_archE1100ELNS1_3gpuE3ELNS1_3repE0EEENS1_30default_config_static_selectorELNS0_4arch9wavefront6targetE1EEEvT1_,"axG",@progbits,_ZN7rocprim17ROCPRIM_400000_NS6detail17trampoline_kernelINS0_14default_configENS1_20scan_config_selectorIfEEZZNS1_9scan_implILNS1_25lookback_scan_determinismE0ELb1ELb1ES3_N6thrust23THRUST_200600_302600_NS6detail15normal_iteratorINS9_10device_ptrIjEEEENSB_INSC_IfEEEEfNS9_4plusIvEEfEEDaPvRmT3_T4_T5_mT6_P12ihipStream_tbENKUlT_T0_E_clISt17integral_constantIbLb0EESW_EEDaSR_SS_EUlSR_E_NS1_11comp_targetILNS1_3genE9ELNS1_11target_archE1100ELNS1_3gpuE3ELNS1_3repE0EEENS1_30default_config_static_selectorELNS0_4arch9wavefront6targetE1EEEvT1_,comdat
	.protected	_ZN7rocprim17ROCPRIM_400000_NS6detail17trampoline_kernelINS0_14default_configENS1_20scan_config_selectorIfEEZZNS1_9scan_implILNS1_25lookback_scan_determinismE0ELb1ELb1ES3_N6thrust23THRUST_200600_302600_NS6detail15normal_iteratorINS9_10device_ptrIjEEEENSB_INSC_IfEEEEfNS9_4plusIvEEfEEDaPvRmT3_T4_T5_mT6_P12ihipStream_tbENKUlT_T0_E_clISt17integral_constantIbLb0EESW_EEDaSR_SS_EUlSR_E_NS1_11comp_targetILNS1_3genE9ELNS1_11target_archE1100ELNS1_3gpuE3ELNS1_3repE0EEENS1_30default_config_static_selectorELNS0_4arch9wavefront6targetE1EEEvT1_ ; -- Begin function _ZN7rocprim17ROCPRIM_400000_NS6detail17trampoline_kernelINS0_14default_configENS1_20scan_config_selectorIfEEZZNS1_9scan_implILNS1_25lookback_scan_determinismE0ELb1ELb1ES3_N6thrust23THRUST_200600_302600_NS6detail15normal_iteratorINS9_10device_ptrIjEEEENSB_INSC_IfEEEEfNS9_4plusIvEEfEEDaPvRmT3_T4_T5_mT6_P12ihipStream_tbENKUlT_T0_E_clISt17integral_constantIbLb0EESW_EEDaSR_SS_EUlSR_E_NS1_11comp_targetILNS1_3genE9ELNS1_11target_archE1100ELNS1_3gpuE3ELNS1_3repE0EEENS1_30default_config_static_selectorELNS0_4arch9wavefront6targetE1EEEvT1_
	.globl	_ZN7rocprim17ROCPRIM_400000_NS6detail17trampoline_kernelINS0_14default_configENS1_20scan_config_selectorIfEEZZNS1_9scan_implILNS1_25lookback_scan_determinismE0ELb1ELb1ES3_N6thrust23THRUST_200600_302600_NS6detail15normal_iteratorINS9_10device_ptrIjEEEENSB_INSC_IfEEEEfNS9_4plusIvEEfEEDaPvRmT3_T4_T5_mT6_P12ihipStream_tbENKUlT_T0_E_clISt17integral_constantIbLb0EESW_EEDaSR_SS_EUlSR_E_NS1_11comp_targetILNS1_3genE9ELNS1_11target_archE1100ELNS1_3gpuE3ELNS1_3repE0EEENS1_30default_config_static_selectorELNS0_4arch9wavefront6targetE1EEEvT1_
	.p2align	8
	.type	_ZN7rocprim17ROCPRIM_400000_NS6detail17trampoline_kernelINS0_14default_configENS1_20scan_config_selectorIfEEZZNS1_9scan_implILNS1_25lookback_scan_determinismE0ELb1ELb1ES3_N6thrust23THRUST_200600_302600_NS6detail15normal_iteratorINS9_10device_ptrIjEEEENSB_INSC_IfEEEEfNS9_4plusIvEEfEEDaPvRmT3_T4_T5_mT6_P12ihipStream_tbENKUlT_T0_E_clISt17integral_constantIbLb0EESW_EEDaSR_SS_EUlSR_E_NS1_11comp_targetILNS1_3genE9ELNS1_11target_archE1100ELNS1_3gpuE3ELNS1_3repE0EEENS1_30default_config_static_selectorELNS0_4arch9wavefront6targetE1EEEvT1_,@function
_ZN7rocprim17ROCPRIM_400000_NS6detail17trampoline_kernelINS0_14default_configENS1_20scan_config_selectorIfEEZZNS1_9scan_implILNS1_25lookback_scan_determinismE0ELb1ELb1ES3_N6thrust23THRUST_200600_302600_NS6detail15normal_iteratorINS9_10device_ptrIjEEEENSB_INSC_IfEEEEfNS9_4plusIvEEfEEDaPvRmT3_T4_T5_mT6_P12ihipStream_tbENKUlT_T0_E_clISt17integral_constantIbLb0EESW_EEDaSR_SS_EUlSR_E_NS1_11comp_targetILNS1_3genE9ELNS1_11target_archE1100ELNS1_3gpuE3ELNS1_3repE0EEENS1_30default_config_static_selectorELNS0_4arch9wavefront6targetE1EEEvT1_: ; @_ZN7rocprim17ROCPRIM_400000_NS6detail17trampoline_kernelINS0_14default_configENS1_20scan_config_selectorIfEEZZNS1_9scan_implILNS1_25lookback_scan_determinismE0ELb1ELb1ES3_N6thrust23THRUST_200600_302600_NS6detail15normal_iteratorINS9_10device_ptrIjEEEENSB_INSC_IfEEEEfNS9_4plusIvEEfEEDaPvRmT3_T4_T5_mT6_P12ihipStream_tbENKUlT_T0_E_clISt17integral_constantIbLb0EESW_EEDaSR_SS_EUlSR_E_NS1_11comp_targetILNS1_3genE9ELNS1_11target_archE1100ELNS1_3gpuE3ELNS1_3repE0EEENS1_30default_config_static_selectorELNS0_4arch9wavefront6targetE1EEEvT1_
; %bb.0:
	.section	.rodata,"a",@progbits
	.p2align	6, 0x0
	.amdhsa_kernel _ZN7rocprim17ROCPRIM_400000_NS6detail17trampoline_kernelINS0_14default_configENS1_20scan_config_selectorIfEEZZNS1_9scan_implILNS1_25lookback_scan_determinismE0ELb1ELb1ES3_N6thrust23THRUST_200600_302600_NS6detail15normal_iteratorINS9_10device_ptrIjEEEENSB_INSC_IfEEEEfNS9_4plusIvEEfEEDaPvRmT3_T4_T5_mT6_P12ihipStream_tbENKUlT_T0_E_clISt17integral_constantIbLb0EESW_EEDaSR_SS_EUlSR_E_NS1_11comp_targetILNS1_3genE9ELNS1_11target_archE1100ELNS1_3gpuE3ELNS1_3repE0EEENS1_30default_config_static_selectorELNS0_4arch9wavefront6targetE1EEEvT1_
		.amdhsa_group_segment_fixed_size 0
		.amdhsa_private_segment_fixed_size 0
		.amdhsa_kernarg_size 96
		.amdhsa_user_sgpr_count 6
		.amdhsa_user_sgpr_private_segment_buffer 1
		.amdhsa_user_sgpr_dispatch_ptr 0
		.amdhsa_user_sgpr_queue_ptr 0
		.amdhsa_user_sgpr_kernarg_segment_ptr 1
		.amdhsa_user_sgpr_dispatch_id 0
		.amdhsa_user_sgpr_flat_scratch_init 0
		.amdhsa_user_sgpr_kernarg_preload_length 0
		.amdhsa_user_sgpr_kernarg_preload_offset 0
		.amdhsa_user_sgpr_private_segment_size 0
		.amdhsa_uses_dynamic_stack 0
		.amdhsa_system_sgpr_private_segment_wavefront_offset 0
		.amdhsa_system_sgpr_workgroup_id_x 1
		.amdhsa_system_sgpr_workgroup_id_y 0
		.amdhsa_system_sgpr_workgroup_id_z 0
		.amdhsa_system_sgpr_workgroup_info 0
		.amdhsa_system_vgpr_workitem_id 0
		.amdhsa_next_free_vgpr 1
		.amdhsa_next_free_sgpr 0
		.amdhsa_accum_offset 4
		.amdhsa_reserve_vcc 0
		.amdhsa_reserve_flat_scratch 0
		.amdhsa_float_round_mode_32 0
		.amdhsa_float_round_mode_16_64 0
		.amdhsa_float_denorm_mode_32 3
		.amdhsa_float_denorm_mode_16_64 3
		.amdhsa_dx10_clamp 1
		.amdhsa_ieee_mode 1
		.amdhsa_fp16_overflow 0
		.amdhsa_tg_split 0
		.amdhsa_exception_fp_ieee_invalid_op 0
		.amdhsa_exception_fp_denorm_src 0
		.amdhsa_exception_fp_ieee_div_zero 0
		.amdhsa_exception_fp_ieee_overflow 0
		.amdhsa_exception_fp_ieee_underflow 0
		.amdhsa_exception_fp_ieee_inexact 0
		.amdhsa_exception_int_div_zero 0
	.end_amdhsa_kernel
	.section	.text._ZN7rocprim17ROCPRIM_400000_NS6detail17trampoline_kernelINS0_14default_configENS1_20scan_config_selectorIfEEZZNS1_9scan_implILNS1_25lookback_scan_determinismE0ELb1ELb1ES3_N6thrust23THRUST_200600_302600_NS6detail15normal_iteratorINS9_10device_ptrIjEEEENSB_INSC_IfEEEEfNS9_4plusIvEEfEEDaPvRmT3_T4_T5_mT6_P12ihipStream_tbENKUlT_T0_E_clISt17integral_constantIbLb0EESW_EEDaSR_SS_EUlSR_E_NS1_11comp_targetILNS1_3genE9ELNS1_11target_archE1100ELNS1_3gpuE3ELNS1_3repE0EEENS1_30default_config_static_selectorELNS0_4arch9wavefront6targetE1EEEvT1_,"axG",@progbits,_ZN7rocprim17ROCPRIM_400000_NS6detail17trampoline_kernelINS0_14default_configENS1_20scan_config_selectorIfEEZZNS1_9scan_implILNS1_25lookback_scan_determinismE0ELb1ELb1ES3_N6thrust23THRUST_200600_302600_NS6detail15normal_iteratorINS9_10device_ptrIjEEEENSB_INSC_IfEEEEfNS9_4plusIvEEfEEDaPvRmT3_T4_T5_mT6_P12ihipStream_tbENKUlT_T0_E_clISt17integral_constantIbLb0EESW_EEDaSR_SS_EUlSR_E_NS1_11comp_targetILNS1_3genE9ELNS1_11target_archE1100ELNS1_3gpuE3ELNS1_3repE0EEENS1_30default_config_static_selectorELNS0_4arch9wavefront6targetE1EEEvT1_,comdat
.Lfunc_end6095:
	.size	_ZN7rocprim17ROCPRIM_400000_NS6detail17trampoline_kernelINS0_14default_configENS1_20scan_config_selectorIfEEZZNS1_9scan_implILNS1_25lookback_scan_determinismE0ELb1ELb1ES3_N6thrust23THRUST_200600_302600_NS6detail15normal_iteratorINS9_10device_ptrIjEEEENSB_INSC_IfEEEEfNS9_4plusIvEEfEEDaPvRmT3_T4_T5_mT6_P12ihipStream_tbENKUlT_T0_E_clISt17integral_constantIbLb0EESW_EEDaSR_SS_EUlSR_E_NS1_11comp_targetILNS1_3genE9ELNS1_11target_archE1100ELNS1_3gpuE3ELNS1_3repE0EEENS1_30default_config_static_selectorELNS0_4arch9wavefront6targetE1EEEvT1_, .Lfunc_end6095-_ZN7rocprim17ROCPRIM_400000_NS6detail17trampoline_kernelINS0_14default_configENS1_20scan_config_selectorIfEEZZNS1_9scan_implILNS1_25lookback_scan_determinismE0ELb1ELb1ES3_N6thrust23THRUST_200600_302600_NS6detail15normal_iteratorINS9_10device_ptrIjEEEENSB_INSC_IfEEEEfNS9_4plusIvEEfEEDaPvRmT3_T4_T5_mT6_P12ihipStream_tbENKUlT_T0_E_clISt17integral_constantIbLb0EESW_EEDaSR_SS_EUlSR_E_NS1_11comp_targetILNS1_3genE9ELNS1_11target_archE1100ELNS1_3gpuE3ELNS1_3repE0EEENS1_30default_config_static_selectorELNS0_4arch9wavefront6targetE1EEEvT1_
                                        ; -- End function
	.section	.AMDGPU.csdata,"",@progbits
; Kernel info:
; codeLenInByte = 0
; NumSgprs: 4
; NumVgprs: 0
; NumAgprs: 0
; TotalNumVgprs: 0
; ScratchSize: 0
; MemoryBound: 0
; FloatMode: 240
; IeeeMode: 1
; LDSByteSize: 0 bytes/workgroup (compile time only)
; SGPRBlocks: 0
; VGPRBlocks: 0
; NumSGPRsForWavesPerEU: 4
; NumVGPRsForWavesPerEU: 1
; AccumOffset: 4
; Occupancy: 8
; WaveLimiterHint : 0
; COMPUTE_PGM_RSRC2:SCRATCH_EN: 0
; COMPUTE_PGM_RSRC2:USER_SGPR: 6
; COMPUTE_PGM_RSRC2:TRAP_HANDLER: 0
; COMPUTE_PGM_RSRC2:TGID_X_EN: 1
; COMPUTE_PGM_RSRC2:TGID_Y_EN: 0
; COMPUTE_PGM_RSRC2:TGID_Z_EN: 0
; COMPUTE_PGM_RSRC2:TIDIG_COMP_CNT: 0
; COMPUTE_PGM_RSRC3_GFX90A:ACCUM_OFFSET: 0
; COMPUTE_PGM_RSRC3_GFX90A:TG_SPLIT: 0
	.section	.text._ZN7rocprim17ROCPRIM_400000_NS6detail17trampoline_kernelINS0_14default_configENS1_20scan_config_selectorIfEEZZNS1_9scan_implILNS1_25lookback_scan_determinismE0ELb1ELb1ES3_N6thrust23THRUST_200600_302600_NS6detail15normal_iteratorINS9_10device_ptrIjEEEENSB_INSC_IfEEEEfNS9_4plusIvEEfEEDaPvRmT3_T4_T5_mT6_P12ihipStream_tbENKUlT_T0_E_clISt17integral_constantIbLb0EESW_EEDaSR_SS_EUlSR_E_NS1_11comp_targetILNS1_3genE8ELNS1_11target_archE1030ELNS1_3gpuE2ELNS1_3repE0EEENS1_30default_config_static_selectorELNS0_4arch9wavefront6targetE1EEEvT1_,"axG",@progbits,_ZN7rocprim17ROCPRIM_400000_NS6detail17trampoline_kernelINS0_14default_configENS1_20scan_config_selectorIfEEZZNS1_9scan_implILNS1_25lookback_scan_determinismE0ELb1ELb1ES3_N6thrust23THRUST_200600_302600_NS6detail15normal_iteratorINS9_10device_ptrIjEEEENSB_INSC_IfEEEEfNS9_4plusIvEEfEEDaPvRmT3_T4_T5_mT6_P12ihipStream_tbENKUlT_T0_E_clISt17integral_constantIbLb0EESW_EEDaSR_SS_EUlSR_E_NS1_11comp_targetILNS1_3genE8ELNS1_11target_archE1030ELNS1_3gpuE2ELNS1_3repE0EEENS1_30default_config_static_selectorELNS0_4arch9wavefront6targetE1EEEvT1_,comdat
	.protected	_ZN7rocprim17ROCPRIM_400000_NS6detail17trampoline_kernelINS0_14default_configENS1_20scan_config_selectorIfEEZZNS1_9scan_implILNS1_25lookback_scan_determinismE0ELb1ELb1ES3_N6thrust23THRUST_200600_302600_NS6detail15normal_iteratorINS9_10device_ptrIjEEEENSB_INSC_IfEEEEfNS9_4plusIvEEfEEDaPvRmT3_T4_T5_mT6_P12ihipStream_tbENKUlT_T0_E_clISt17integral_constantIbLb0EESW_EEDaSR_SS_EUlSR_E_NS1_11comp_targetILNS1_3genE8ELNS1_11target_archE1030ELNS1_3gpuE2ELNS1_3repE0EEENS1_30default_config_static_selectorELNS0_4arch9wavefront6targetE1EEEvT1_ ; -- Begin function _ZN7rocprim17ROCPRIM_400000_NS6detail17trampoline_kernelINS0_14default_configENS1_20scan_config_selectorIfEEZZNS1_9scan_implILNS1_25lookback_scan_determinismE0ELb1ELb1ES3_N6thrust23THRUST_200600_302600_NS6detail15normal_iteratorINS9_10device_ptrIjEEEENSB_INSC_IfEEEEfNS9_4plusIvEEfEEDaPvRmT3_T4_T5_mT6_P12ihipStream_tbENKUlT_T0_E_clISt17integral_constantIbLb0EESW_EEDaSR_SS_EUlSR_E_NS1_11comp_targetILNS1_3genE8ELNS1_11target_archE1030ELNS1_3gpuE2ELNS1_3repE0EEENS1_30default_config_static_selectorELNS0_4arch9wavefront6targetE1EEEvT1_
	.globl	_ZN7rocprim17ROCPRIM_400000_NS6detail17trampoline_kernelINS0_14default_configENS1_20scan_config_selectorIfEEZZNS1_9scan_implILNS1_25lookback_scan_determinismE0ELb1ELb1ES3_N6thrust23THRUST_200600_302600_NS6detail15normal_iteratorINS9_10device_ptrIjEEEENSB_INSC_IfEEEEfNS9_4plusIvEEfEEDaPvRmT3_T4_T5_mT6_P12ihipStream_tbENKUlT_T0_E_clISt17integral_constantIbLb0EESW_EEDaSR_SS_EUlSR_E_NS1_11comp_targetILNS1_3genE8ELNS1_11target_archE1030ELNS1_3gpuE2ELNS1_3repE0EEENS1_30default_config_static_selectorELNS0_4arch9wavefront6targetE1EEEvT1_
	.p2align	8
	.type	_ZN7rocprim17ROCPRIM_400000_NS6detail17trampoline_kernelINS0_14default_configENS1_20scan_config_selectorIfEEZZNS1_9scan_implILNS1_25lookback_scan_determinismE0ELb1ELb1ES3_N6thrust23THRUST_200600_302600_NS6detail15normal_iteratorINS9_10device_ptrIjEEEENSB_INSC_IfEEEEfNS9_4plusIvEEfEEDaPvRmT3_T4_T5_mT6_P12ihipStream_tbENKUlT_T0_E_clISt17integral_constantIbLb0EESW_EEDaSR_SS_EUlSR_E_NS1_11comp_targetILNS1_3genE8ELNS1_11target_archE1030ELNS1_3gpuE2ELNS1_3repE0EEENS1_30default_config_static_selectorELNS0_4arch9wavefront6targetE1EEEvT1_,@function
_ZN7rocprim17ROCPRIM_400000_NS6detail17trampoline_kernelINS0_14default_configENS1_20scan_config_selectorIfEEZZNS1_9scan_implILNS1_25lookback_scan_determinismE0ELb1ELb1ES3_N6thrust23THRUST_200600_302600_NS6detail15normal_iteratorINS9_10device_ptrIjEEEENSB_INSC_IfEEEEfNS9_4plusIvEEfEEDaPvRmT3_T4_T5_mT6_P12ihipStream_tbENKUlT_T0_E_clISt17integral_constantIbLb0EESW_EEDaSR_SS_EUlSR_E_NS1_11comp_targetILNS1_3genE8ELNS1_11target_archE1030ELNS1_3gpuE2ELNS1_3repE0EEENS1_30default_config_static_selectorELNS0_4arch9wavefront6targetE1EEEvT1_: ; @_ZN7rocprim17ROCPRIM_400000_NS6detail17trampoline_kernelINS0_14default_configENS1_20scan_config_selectorIfEEZZNS1_9scan_implILNS1_25lookback_scan_determinismE0ELb1ELb1ES3_N6thrust23THRUST_200600_302600_NS6detail15normal_iteratorINS9_10device_ptrIjEEEENSB_INSC_IfEEEEfNS9_4plusIvEEfEEDaPvRmT3_T4_T5_mT6_P12ihipStream_tbENKUlT_T0_E_clISt17integral_constantIbLb0EESW_EEDaSR_SS_EUlSR_E_NS1_11comp_targetILNS1_3genE8ELNS1_11target_archE1030ELNS1_3gpuE2ELNS1_3repE0EEENS1_30default_config_static_selectorELNS0_4arch9wavefront6targetE1EEEvT1_
; %bb.0:
	.section	.rodata,"a",@progbits
	.p2align	6, 0x0
	.amdhsa_kernel _ZN7rocprim17ROCPRIM_400000_NS6detail17trampoline_kernelINS0_14default_configENS1_20scan_config_selectorIfEEZZNS1_9scan_implILNS1_25lookback_scan_determinismE0ELb1ELb1ES3_N6thrust23THRUST_200600_302600_NS6detail15normal_iteratorINS9_10device_ptrIjEEEENSB_INSC_IfEEEEfNS9_4plusIvEEfEEDaPvRmT3_T4_T5_mT6_P12ihipStream_tbENKUlT_T0_E_clISt17integral_constantIbLb0EESW_EEDaSR_SS_EUlSR_E_NS1_11comp_targetILNS1_3genE8ELNS1_11target_archE1030ELNS1_3gpuE2ELNS1_3repE0EEENS1_30default_config_static_selectorELNS0_4arch9wavefront6targetE1EEEvT1_
		.amdhsa_group_segment_fixed_size 0
		.amdhsa_private_segment_fixed_size 0
		.amdhsa_kernarg_size 96
		.amdhsa_user_sgpr_count 6
		.amdhsa_user_sgpr_private_segment_buffer 1
		.amdhsa_user_sgpr_dispatch_ptr 0
		.amdhsa_user_sgpr_queue_ptr 0
		.amdhsa_user_sgpr_kernarg_segment_ptr 1
		.amdhsa_user_sgpr_dispatch_id 0
		.amdhsa_user_sgpr_flat_scratch_init 0
		.amdhsa_user_sgpr_kernarg_preload_length 0
		.amdhsa_user_sgpr_kernarg_preload_offset 0
		.amdhsa_user_sgpr_private_segment_size 0
		.amdhsa_uses_dynamic_stack 0
		.amdhsa_system_sgpr_private_segment_wavefront_offset 0
		.amdhsa_system_sgpr_workgroup_id_x 1
		.amdhsa_system_sgpr_workgroup_id_y 0
		.amdhsa_system_sgpr_workgroup_id_z 0
		.amdhsa_system_sgpr_workgroup_info 0
		.amdhsa_system_vgpr_workitem_id 0
		.amdhsa_next_free_vgpr 1
		.amdhsa_next_free_sgpr 0
		.amdhsa_accum_offset 4
		.amdhsa_reserve_vcc 0
		.amdhsa_reserve_flat_scratch 0
		.amdhsa_float_round_mode_32 0
		.amdhsa_float_round_mode_16_64 0
		.amdhsa_float_denorm_mode_32 3
		.amdhsa_float_denorm_mode_16_64 3
		.amdhsa_dx10_clamp 1
		.amdhsa_ieee_mode 1
		.amdhsa_fp16_overflow 0
		.amdhsa_tg_split 0
		.amdhsa_exception_fp_ieee_invalid_op 0
		.amdhsa_exception_fp_denorm_src 0
		.amdhsa_exception_fp_ieee_div_zero 0
		.amdhsa_exception_fp_ieee_overflow 0
		.amdhsa_exception_fp_ieee_underflow 0
		.amdhsa_exception_fp_ieee_inexact 0
		.amdhsa_exception_int_div_zero 0
	.end_amdhsa_kernel
	.section	.text._ZN7rocprim17ROCPRIM_400000_NS6detail17trampoline_kernelINS0_14default_configENS1_20scan_config_selectorIfEEZZNS1_9scan_implILNS1_25lookback_scan_determinismE0ELb1ELb1ES3_N6thrust23THRUST_200600_302600_NS6detail15normal_iteratorINS9_10device_ptrIjEEEENSB_INSC_IfEEEEfNS9_4plusIvEEfEEDaPvRmT3_T4_T5_mT6_P12ihipStream_tbENKUlT_T0_E_clISt17integral_constantIbLb0EESW_EEDaSR_SS_EUlSR_E_NS1_11comp_targetILNS1_3genE8ELNS1_11target_archE1030ELNS1_3gpuE2ELNS1_3repE0EEENS1_30default_config_static_selectorELNS0_4arch9wavefront6targetE1EEEvT1_,"axG",@progbits,_ZN7rocprim17ROCPRIM_400000_NS6detail17trampoline_kernelINS0_14default_configENS1_20scan_config_selectorIfEEZZNS1_9scan_implILNS1_25lookback_scan_determinismE0ELb1ELb1ES3_N6thrust23THRUST_200600_302600_NS6detail15normal_iteratorINS9_10device_ptrIjEEEENSB_INSC_IfEEEEfNS9_4plusIvEEfEEDaPvRmT3_T4_T5_mT6_P12ihipStream_tbENKUlT_T0_E_clISt17integral_constantIbLb0EESW_EEDaSR_SS_EUlSR_E_NS1_11comp_targetILNS1_3genE8ELNS1_11target_archE1030ELNS1_3gpuE2ELNS1_3repE0EEENS1_30default_config_static_selectorELNS0_4arch9wavefront6targetE1EEEvT1_,comdat
.Lfunc_end6096:
	.size	_ZN7rocprim17ROCPRIM_400000_NS6detail17trampoline_kernelINS0_14default_configENS1_20scan_config_selectorIfEEZZNS1_9scan_implILNS1_25lookback_scan_determinismE0ELb1ELb1ES3_N6thrust23THRUST_200600_302600_NS6detail15normal_iteratorINS9_10device_ptrIjEEEENSB_INSC_IfEEEEfNS9_4plusIvEEfEEDaPvRmT3_T4_T5_mT6_P12ihipStream_tbENKUlT_T0_E_clISt17integral_constantIbLb0EESW_EEDaSR_SS_EUlSR_E_NS1_11comp_targetILNS1_3genE8ELNS1_11target_archE1030ELNS1_3gpuE2ELNS1_3repE0EEENS1_30default_config_static_selectorELNS0_4arch9wavefront6targetE1EEEvT1_, .Lfunc_end6096-_ZN7rocprim17ROCPRIM_400000_NS6detail17trampoline_kernelINS0_14default_configENS1_20scan_config_selectorIfEEZZNS1_9scan_implILNS1_25lookback_scan_determinismE0ELb1ELb1ES3_N6thrust23THRUST_200600_302600_NS6detail15normal_iteratorINS9_10device_ptrIjEEEENSB_INSC_IfEEEEfNS9_4plusIvEEfEEDaPvRmT3_T4_T5_mT6_P12ihipStream_tbENKUlT_T0_E_clISt17integral_constantIbLb0EESW_EEDaSR_SS_EUlSR_E_NS1_11comp_targetILNS1_3genE8ELNS1_11target_archE1030ELNS1_3gpuE2ELNS1_3repE0EEENS1_30default_config_static_selectorELNS0_4arch9wavefront6targetE1EEEvT1_
                                        ; -- End function
	.section	.AMDGPU.csdata,"",@progbits
; Kernel info:
; codeLenInByte = 0
; NumSgprs: 4
; NumVgprs: 0
; NumAgprs: 0
; TotalNumVgprs: 0
; ScratchSize: 0
; MemoryBound: 0
; FloatMode: 240
; IeeeMode: 1
; LDSByteSize: 0 bytes/workgroup (compile time only)
; SGPRBlocks: 0
; VGPRBlocks: 0
; NumSGPRsForWavesPerEU: 4
; NumVGPRsForWavesPerEU: 1
; AccumOffset: 4
; Occupancy: 8
; WaveLimiterHint : 0
; COMPUTE_PGM_RSRC2:SCRATCH_EN: 0
; COMPUTE_PGM_RSRC2:USER_SGPR: 6
; COMPUTE_PGM_RSRC2:TRAP_HANDLER: 0
; COMPUTE_PGM_RSRC2:TGID_X_EN: 1
; COMPUTE_PGM_RSRC2:TGID_Y_EN: 0
; COMPUTE_PGM_RSRC2:TGID_Z_EN: 0
; COMPUTE_PGM_RSRC2:TIDIG_COMP_CNT: 0
; COMPUTE_PGM_RSRC3_GFX90A:ACCUM_OFFSET: 0
; COMPUTE_PGM_RSRC3_GFX90A:TG_SPLIT: 0
	.section	.text._ZN7rocprim17ROCPRIM_400000_NS6detail17trampoline_kernelINS0_14default_configENS1_20scan_config_selectorIfEEZZNS1_9scan_implILNS1_25lookback_scan_determinismE0ELb1ELb1ES3_N6thrust23THRUST_200600_302600_NS6detail15normal_iteratorINS9_10device_ptrIjEEEENSB_INSC_IfEEEEfNS9_4plusIvEEfEEDaPvRmT3_T4_T5_mT6_P12ihipStream_tbENKUlT_T0_E_clISt17integral_constantIbLb0EESW_EEDaSR_SS_EUlSR_E0_NS1_11comp_targetILNS1_3genE0ELNS1_11target_archE4294967295ELNS1_3gpuE0ELNS1_3repE0EEENS1_30default_config_static_selectorELNS0_4arch9wavefront6targetE1EEEvT1_,"axG",@progbits,_ZN7rocprim17ROCPRIM_400000_NS6detail17trampoline_kernelINS0_14default_configENS1_20scan_config_selectorIfEEZZNS1_9scan_implILNS1_25lookback_scan_determinismE0ELb1ELb1ES3_N6thrust23THRUST_200600_302600_NS6detail15normal_iteratorINS9_10device_ptrIjEEEENSB_INSC_IfEEEEfNS9_4plusIvEEfEEDaPvRmT3_T4_T5_mT6_P12ihipStream_tbENKUlT_T0_E_clISt17integral_constantIbLb0EESW_EEDaSR_SS_EUlSR_E0_NS1_11comp_targetILNS1_3genE0ELNS1_11target_archE4294967295ELNS1_3gpuE0ELNS1_3repE0EEENS1_30default_config_static_selectorELNS0_4arch9wavefront6targetE1EEEvT1_,comdat
	.protected	_ZN7rocprim17ROCPRIM_400000_NS6detail17trampoline_kernelINS0_14default_configENS1_20scan_config_selectorIfEEZZNS1_9scan_implILNS1_25lookback_scan_determinismE0ELb1ELb1ES3_N6thrust23THRUST_200600_302600_NS6detail15normal_iteratorINS9_10device_ptrIjEEEENSB_INSC_IfEEEEfNS9_4plusIvEEfEEDaPvRmT3_T4_T5_mT6_P12ihipStream_tbENKUlT_T0_E_clISt17integral_constantIbLb0EESW_EEDaSR_SS_EUlSR_E0_NS1_11comp_targetILNS1_3genE0ELNS1_11target_archE4294967295ELNS1_3gpuE0ELNS1_3repE0EEENS1_30default_config_static_selectorELNS0_4arch9wavefront6targetE1EEEvT1_ ; -- Begin function _ZN7rocprim17ROCPRIM_400000_NS6detail17trampoline_kernelINS0_14default_configENS1_20scan_config_selectorIfEEZZNS1_9scan_implILNS1_25lookback_scan_determinismE0ELb1ELb1ES3_N6thrust23THRUST_200600_302600_NS6detail15normal_iteratorINS9_10device_ptrIjEEEENSB_INSC_IfEEEEfNS9_4plusIvEEfEEDaPvRmT3_T4_T5_mT6_P12ihipStream_tbENKUlT_T0_E_clISt17integral_constantIbLb0EESW_EEDaSR_SS_EUlSR_E0_NS1_11comp_targetILNS1_3genE0ELNS1_11target_archE4294967295ELNS1_3gpuE0ELNS1_3repE0EEENS1_30default_config_static_selectorELNS0_4arch9wavefront6targetE1EEEvT1_
	.globl	_ZN7rocprim17ROCPRIM_400000_NS6detail17trampoline_kernelINS0_14default_configENS1_20scan_config_selectorIfEEZZNS1_9scan_implILNS1_25lookback_scan_determinismE0ELb1ELb1ES3_N6thrust23THRUST_200600_302600_NS6detail15normal_iteratorINS9_10device_ptrIjEEEENSB_INSC_IfEEEEfNS9_4plusIvEEfEEDaPvRmT3_T4_T5_mT6_P12ihipStream_tbENKUlT_T0_E_clISt17integral_constantIbLb0EESW_EEDaSR_SS_EUlSR_E0_NS1_11comp_targetILNS1_3genE0ELNS1_11target_archE4294967295ELNS1_3gpuE0ELNS1_3repE0EEENS1_30default_config_static_selectorELNS0_4arch9wavefront6targetE1EEEvT1_
	.p2align	8
	.type	_ZN7rocprim17ROCPRIM_400000_NS6detail17trampoline_kernelINS0_14default_configENS1_20scan_config_selectorIfEEZZNS1_9scan_implILNS1_25lookback_scan_determinismE0ELb1ELb1ES3_N6thrust23THRUST_200600_302600_NS6detail15normal_iteratorINS9_10device_ptrIjEEEENSB_INSC_IfEEEEfNS9_4plusIvEEfEEDaPvRmT3_T4_T5_mT6_P12ihipStream_tbENKUlT_T0_E_clISt17integral_constantIbLb0EESW_EEDaSR_SS_EUlSR_E0_NS1_11comp_targetILNS1_3genE0ELNS1_11target_archE4294967295ELNS1_3gpuE0ELNS1_3repE0EEENS1_30default_config_static_selectorELNS0_4arch9wavefront6targetE1EEEvT1_,@function
_ZN7rocprim17ROCPRIM_400000_NS6detail17trampoline_kernelINS0_14default_configENS1_20scan_config_selectorIfEEZZNS1_9scan_implILNS1_25lookback_scan_determinismE0ELb1ELb1ES3_N6thrust23THRUST_200600_302600_NS6detail15normal_iteratorINS9_10device_ptrIjEEEENSB_INSC_IfEEEEfNS9_4plusIvEEfEEDaPvRmT3_T4_T5_mT6_P12ihipStream_tbENKUlT_T0_E_clISt17integral_constantIbLb0EESW_EEDaSR_SS_EUlSR_E0_NS1_11comp_targetILNS1_3genE0ELNS1_11target_archE4294967295ELNS1_3gpuE0ELNS1_3repE0EEENS1_30default_config_static_selectorELNS0_4arch9wavefront6targetE1EEEvT1_: ; @_ZN7rocprim17ROCPRIM_400000_NS6detail17trampoline_kernelINS0_14default_configENS1_20scan_config_selectorIfEEZZNS1_9scan_implILNS1_25lookback_scan_determinismE0ELb1ELb1ES3_N6thrust23THRUST_200600_302600_NS6detail15normal_iteratorINS9_10device_ptrIjEEEENSB_INSC_IfEEEEfNS9_4plusIvEEfEEDaPvRmT3_T4_T5_mT6_P12ihipStream_tbENKUlT_T0_E_clISt17integral_constantIbLb0EESW_EEDaSR_SS_EUlSR_E0_NS1_11comp_targetILNS1_3genE0ELNS1_11target_archE4294967295ELNS1_3gpuE0ELNS1_3repE0EEENS1_30default_config_static_selectorELNS0_4arch9wavefront6targetE1EEEvT1_
; %bb.0:
	.section	.rodata,"a",@progbits
	.p2align	6, 0x0
	.amdhsa_kernel _ZN7rocprim17ROCPRIM_400000_NS6detail17trampoline_kernelINS0_14default_configENS1_20scan_config_selectorIfEEZZNS1_9scan_implILNS1_25lookback_scan_determinismE0ELb1ELb1ES3_N6thrust23THRUST_200600_302600_NS6detail15normal_iteratorINS9_10device_ptrIjEEEENSB_INSC_IfEEEEfNS9_4plusIvEEfEEDaPvRmT3_T4_T5_mT6_P12ihipStream_tbENKUlT_T0_E_clISt17integral_constantIbLb0EESW_EEDaSR_SS_EUlSR_E0_NS1_11comp_targetILNS1_3genE0ELNS1_11target_archE4294967295ELNS1_3gpuE0ELNS1_3repE0EEENS1_30default_config_static_selectorELNS0_4arch9wavefront6targetE1EEEvT1_
		.amdhsa_group_segment_fixed_size 0
		.amdhsa_private_segment_fixed_size 0
		.amdhsa_kernarg_size 32
		.amdhsa_user_sgpr_count 6
		.amdhsa_user_sgpr_private_segment_buffer 1
		.amdhsa_user_sgpr_dispatch_ptr 0
		.amdhsa_user_sgpr_queue_ptr 0
		.amdhsa_user_sgpr_kernarg_segment_ptr 1
		.amdhsa_user_sgpr_dispatch_id 0
		.amdhsa_user_sgpr_flat_scratch_init 0
		.amdhsa_user_sgpr_kernarg_preload_length 0
		.amdhsa_user_sgpr_kernarg_preload_offset 0
		.amdhsa_user_sgpr_private_segment_size 0
		.amdhsa_uses_dynamic_stack 0
		.amdhsa_system_sgpr_private_segment_wavefront_offset 0
		.amdhsa_system_sgpr_workgroup_id_x 1
		.amdhsa_system_sgpr_workgroup_id_y 0
		.amdhsa_system_sgpr_workgroup_id_z 0
		.amdhsa_system_sgpr_workgroup_info 0
		.amdhsa_system_vgpr_workitem_id 0
		.amdhsa_next_free_vgpr 1
		.amdhsa_next_free_sgpr 0
		.amdhsa_accum_offset 4
		.amdhsa_reserve_vcc 0
		.amdhsa_reserve_flat_scratch 0
		.amdhsa_float_round_mode_32 0
		.amdhsa_float_round_mode_16_64 0
		.amdhsa_float_denorm_mode_32 3
		.amdhsa_float_denorm_mode_16_64 3
		.amdhsa_dx10_clamp 1
		.amdhsa_ieee_mode 1
		.amdhsa_fp16_overflow 0
		.amdhsa_tg_split 0
		.amdhsa_exception_fp_ieee_invalid_op 0
		.amdhsa_exception_fp_denorm_src 0
		.amdhsa_exception_fp_ieee_div_zero 0
		.amdhsa_exception_fp_ieee_overflow 0
		.amdhsa_exception_fp_ieee_underflow 0
		.amdhsa_exception_fp_ieee_inexact 0
		.amdhsa_exception_int_div_zero 0
	.end_amdhsa_kernel
	.section	.text._ZN7rocprim17ROCPRIM_400000_NS6detail17trampoline_kernelINS0_14default_configENS1_20scan_config_selectorIfEEZZNS1_9scan_implILNS1_25lookback_scan_determinismE0ELb1ELb1ES3_N6thrust23THRUST_200600_302600_NS6detail15normal_iteratorINS9_10device_ptrIjEEEENSB_INSC_IfEEEEfNS9_4plusIvEEfEEDaPvRmT3_T4_T5_mT6_P12ihipStream_tbENKUlT_T0_E_clISt17integral_constantIbLb0EESW_EEDaSR_SS_EUlSR_E0_NS1_11comp_targetILNS1_3genE0ELNS1_11target_archE4294967295ELNS1_3gpuE0ELNS1_3repE0EEENS1_30default_config_static_selectorELNS0_4arch9wavefront6targetE1EEEvT1_,"axG",@progbits,_ZN7rocprim17ROCPRIM_400000_NS6detail17trampoline_kernelINS0_14default_configENS1_20scan_config_selectorIfEEZZNS1_9scan_implILNS1_25lookback_scan_determinismE0ELb1ELb1ES3_N6thrust23THRUST_200600_302600_NS6detail15normal_iteratorINS9_10device_ptrIjEEEENSB_INSC_IfEEEEfNS9_4plusIvEEfEEDaPvRmT3_T4_T5_mT6_P12ihipStream_tbENKUlT_T0_E_clISt17integral_constantIbLb0EESW_EEDaSR_SS_EUlSR_E0_NS1_11comp_targetILNS1_3genE0ELNS1_11target_archE4294967295ELNS1_3gpuE0ELNS1_3repE0EEENS1_30default_config_static_selectorELNS0_4arch9wavefront6targetE1EEEvT1_,comdat
.Lfunc_end6097:
	.size	_ZN7rocprim17ROCPRIM_400000_NS6detail17trampoline_kernelINS0_14default_configENS1_20scan_config_selectorIfEEZZNS1_9scan_implILNS1_25lookback_scan_determinismE0ELb1ELb1ES3_N6thrust23THRUST_200600_302600_NS6detail15normal_iteratorINS9_10device_ptrIjEEEENSB_INSC_IfEEEEfNS9_4plusIvEEfEEDaPvRmT3_T4_T5_mT6_P12ihipStream_tbENKUlT_T0_E_clISt17integral_constantIbLb0EESW_EEDaSR_SS_EUlSR_E0_NS1_11comp_targetILNS1_3genE0ELNS1_11target_archE4294967295ELNS1_3gpuE0ELNS1_3repE0EEENS1_30default_config_static_selectorELNS0_4arch9wavefront6targetE1EEEvT1_, .Lfunc_end6097-_ZN7rocprim17ROCPRIM_400000_NS6detail17trampoline_kernelINS0_14default_configENS1_20scan_config_selectorIfEEZZNS1_9scan_implILNS1_25lookback_scan_determinismE0ELb1ELb1ES3_N6thrust23THRUST_200600_302600_NS6detail15normal_iteratorINS9_10device_ptrIjEEEENSB_INSC_IfEEEEfNS9_4plusIvEEfEEDaPvRmT3_T4_T5_mT6_P12ihipStream_tbENKUlT_T0_E_clISt17integral_constantIbLb0EESW_EEDaSR_SS_EUlSR_E0_NS1_11comp_targetILNS1_3genE0ELNS1_11target_archE4294967295ELNS1_3gpuE0ELNS1_3repE0EEENS1_30default_config_static_selectorELNS0_4arch9wavefront6targetE1EEEvT1_
                                        ; -- End function
	.section	.AMDGPU.csdata,"",@progbits
; Kernel info:
; codeLenInByte = 0
; NumSgprs: 4
; NumVgprs: 0
; NumAgprs: 0
; TotalNumVgprs: 0
; ScratchSize: 0
; MemoryBound: 0
; FloatMode: 240
; IeeeMode: 1
; LDSByteSize: 0 bytes/workgroup (compile time only)
; SGPRBlocks: 0
; VGPRBlocks: 0
; NumSGPRsForWavesPerEU: 4
; NumVGPRsForWavesPerEU: 1
; AccumOffset: 4
; Occupancy: 8
; WaveLimiterHint : 0
; COMPUTE_PGM_RSRC2:SCRATCH_EN: 0
; COMPUTE_PGM_RSRC2:USER_SGPR: 6
; COMPUTE_PGM_RSRC2:TRAP_HANDLER: 0
; COMPUTE_PGM_RSRC2:TGID_X_EN: 1
; COMPUTE_PGM_RSRC2:TGID_Y_EN: 0
; COMPUTE_PGM_RSRC2:TGID_Z_EN: 0
; COMPUTE_PGM_RSRC2:TIDIG_COMP_CNT: 0
; COMPUTE_PGM_RSRC3_GFX90A:ACCUM_OFFSET: 0
; COMPUTE_PGM_RSRC3_GFX90A:TG_SPLIT: 0
	.section	.text._ZN7rocprim17ROCPRIM_400000_NS6detail17trampoline_kernelINS0_14default_configENS1_20scan_config_selectorIfEEZZNS1_9scan_implILNS1_25lookback_scan_determinismE0ELb1ELb1ES3_N6thrust23THRUST_200600_302600_NS6detail15normal_iteratorINS9_10device_ptrIjEEEENSB_INSC_IfEEEEfNS9_4plusIvEEfEEDaPvRmT3_T4_T5_mT6_P12ihipStream_tbENKUlT_T0_E_clISt17integral_constantIbLb0EESW_EEDaSR_SS_EUlSR_E0_NS1_11comp_targetILNS1_3genE5ELNS1_11target_archE942ELNS1_3gpuE9ELNS1_3repE0EEENS1_30default_config_static_selectorELNS0_4arch9wavefront6targetE1EEEvT1_,"axG",@progbits,_ZN7rocprim17ROCPRIM_400000_NS6detail17trampoline_kernelINS0_14default_configENS1_20scan_config_selectorIfEEZZNS1_9scan_implILNS1_25lookback_scan_determinismE0ELb1ELb1ES3_N6thrust23THRUST_200600_302600_NS6detail15normal_iteratorINS9_10device_ptrIjEEEENSB_INSC_IfEEEEfNS9_4plusIvEEfEEDaPvRmT3_T4_T5_mT6_P12ihipStream_tbENKUlT_T0_E_clISt17integral_constantIbLb0EESW_EEDaSR_SS_EUlSR_E0_NS1_11comp_targetILNS1_3genE5ELNS1_11target_archE942ELNS1_3gpuE9ELNS1_3repE0EEENS1_30default_config_static_selectorELNS0_4arch9wavefront6targetE1EEEvT1_,comdat
	.protected	_ZN7rocprim17ROCPRIM_400000_NS6detail17trampoline_kernelINS0_14default_configENS1_20scan_config_selectorIfEEZZNS1_9scan_implILNS1_25lookback_scan_determinismE0ELb1ELb1ES3_N6thrust23THRUST_200600_302600_NS6detail15normal_iteratorINS9_10device_ptrIjEEEENSB_INSC_IfEEEEfNS9_4plusIvEEfEEDaPvRmT3_T4_T5_mT6_P12ihipStream_tbENKUlT_T0_E_clISt17integral_constantIbLb0EESW_EEDaSR_SS_EUlSR_E0_NS1_11comp_targetILNS1_3genE5ELNS1_11target_archE942ELNS1_3gpuE9ELNS1_3repE0EEENS1_30default_config_static_selectorELNS0_4arch9wavefront6targetE1EEEvT1_ ; -- Begin function _ZN7rocprim17ROCPRIM_400000_NS6detail17trampoline_kernelINS0_14default_configENS1_20scan_config_selectorIfEEZZNS1_9scan_implILNS1_25lookback_scan_determinismE0ELb1ELb1ES3_N6thrust23THRUST_200600_302600_NS6detail15normal_iteratorINS9_10device_ptrIjEEEENSB_INSC_IfEEEEfNS9_4plusIvEEfEEDaPvRmT3_T4_T5_mT6_P12ihipStream_tbENKUlT_T0_E_clISt17integral_constantIbLb0EESW_EEDaSR_SS_EUlSR_E0_NS1_11comp_targetILNS1_3genE5ELNS1_11target_archE942ELNS1_3gpuE9ELNS1_3repE0EEENS1_30default_config_static_selectorELNS0_4arch9wavefront6targetE1EEEvT1_
	.globl	_ZN7rocprim17ROCPRIM_400000_NS6detail17trampoline_kernelINS0_14default_configENS1_20scan_config_selectorIfEEZZNS1_9scan_implILNS1_25lookback_scan_determinismE0ELb1ELb1ES3_N6thrust23THRUST_200600_302600_NS6detail15normal_iteratorINS9_10device_ptrIjEEEENSB_INSC_IfEEEEfNS9_4plusIvEEfEEDaPvRmT3_T4_T5_mT6_P12ihipStream_tbENKUlT_T0_E_clISt17integral_constantIbLb0EESW_EEDaSR_SS_EUlSR_E0_NS1_11comp_targetILNS1_3genE5ELNS1_11target_archE942ELNS1_3gpuE9ELNS1_3repE0EEENS1_30default_config_static_selectorELNS0_4arch9wavefront6targetE1EEEvT1_
	.p2align	8
	.type	_ZN7rocprim17ROCPRIM_400000_NS6detail17trampoline_kernelINS0_14default_configENS1_20scan_config_selectorIfEEZZNS1_9scan_implILNS1_25lookback_scan_determinismE0ELb1ELb1ES3_N6thrust23THRUST_200600_302600_NS6detail15normal_iteratorINS9_10device_ptrIjEEEENSB_INSC_IfEEEEfNS9_4plusIvEEfEEDaPvRmT3_T4_T5_mT6_P12ihipStream_tbENKUlT_T0_E_clISt17integral_constantIbLb0EESW_EEDaSR_SS_EUlSR_E0_NS1_11comp_targetILNS1_3genE5ELNS1_11target_archE942ELNS1_3gpuE9ELNS1_3repE0EEENS1_30default_config_static_selectorELNS0_4arch9wavefront6targetE1EEEvT1_,@function
_ZN7rocprim17ROCPRIM_400000_NS6detail17trampoline_kernelINS0_14default_configENS1_20scan_config_selectorIfEEZZNS1_9scan_implILNS1_25lookback_scan_determinismE0ELb1ELb1ES3_N6thrust23THRUST_200600_302600_NS6detail15normal_iteratorINS9_10device_ptrIjEEEENSB_INSC_IfEEEEfNS9_4plusIvEEfEEDaPvRmT3_T4_T5_mT6_P12ihipStream_tbENKUlT_T0_E_clISt17integral_constantIbLb0EESW_EEDaSR_SS_EUlSR_E0_NS1_11comp_targetILNS1_3genE5ELNS1_11target_archE942ELNS1_3gpuE9ELNS1_3repE0EEENS1_30default_config_static_selectorELNS0_4arch9wavefront6targetE1EEEvT1_: ; @_ZN7rocprim17ROCPRIM_400000_NS6detail17trampoline_kernelINS0_14default_configENS1_20scan_config_selectorIfEEZZNS1_9scan_implILNS1_25lookback_scan_determinismE0ELb1ELb1ES3_N6thrust23THRUST_200600_302600_NS6detail15normal_iteratorINS9_10device_ptrIjEEEENSB_INSC_IfEEEEfNS9_4plusIvEEfEEDaPvRmT3_T4_T5_mT6_P12ihipStream_tbENKUlT_T0_E_clISt17integral_constantIbLb0EESW_EEDaSR_SS_EUlSR_E0_NS1_11comp_targetILNS1_3genE5ELNS1_11target_archE942ELNS1_3gpuE9ELNS1_3repE0EEENS1_30default_config_static_selectorELNS0_4arch9wavefront6targetE1EEEvT1_
; %bb.0:
	.section	.rodata,"a",@progbits
	.p2align	6, 0x0
	.amdhsa_kernel _ZN7rocprim17ROCPRIM_400000_NS6detail17trampoline_kernelINS0_14default_configENS1_20scan_config_selectorIfEEZZNS1_9scan_implILNS1_25lookback_scan_determinismE0ELb1ELb1ES3_N6thrust23THRUST_200600_302600_NS6detail15normal_iteratorINS9_10device_ptrIjEEEENSB_INSC_IfEEEEfNS9_4plusIvEEfEEDaPvRmT3_T4_T5_mT6_P12ihipStream_tbENKUlT_T0_E_clISt17integral_constantIbLb0EESW_EEDaSR_SS_EUlSR_E0_NS1_11comp_targetILNS1_3genE5ELNS1_11target_archE942ELNS1_3gpuE9ELNS1_3repE0EEENS1_30default_config_static_selectorELNS0_4arch9wavefront6targetE1EEEvT1_
		.amdhsa_group_segment_fixed_size 0
		.amdhsa_private_segment_fixed_size 0
		.amdhsa_kernarg_size 32
		.amdhsa_user_sgpr_count 6
		.amdhsa_user_sgpr_private_segment_buffer 1
		.amdhsa_user_sgpr_dispatch_ptr 0
		.amdhsa_user_sgpr_queue_ptr 0
		.amdhsa_user_sgpr_kernarg_segment_ptr 1
		.amdhsa_user_sgpr_dispatch_id 0
		.amdhsa_user_sgpr_flat_scratch_init 0
		.amdhsa_user_sgpr_kernarg_preload_length 0
		.amdhsa_user_sgpr_kernarg_preload_offset 0
		.amdhsa_user_sgpr_private_segment_size 0
		.amdhsa_uses_dynamic_stack 0
		.amdhsa_system_sgpr_private_segment_wavefront_offset 0
		.amdhsa_system_sgpr_workgroup_id_x 1
		.amdhsa_system_sgpr_workgroup_id_y 0
		.amdhsa_system_sgpr_workgroup_id_z 0
		.amdhsa_system_sgpr_workgroup_info 0
		.amdhsa_system_vgpr_workitem_id 0
		.amdhsa_next_free_vgpr 1
		.amdhsa_next_free_sgpr 0
		.amdhsa_accum_offset 4
		.amdhsa_reserve_vcc 0
		.amdhsa_reserve_flat_scratch 0
		.amdhsa_float_round_mode_32 0
		.amdhsa_float_round_mode_16_64 0
		.amdhsa_float_denorm_mode_32 3
		.amdhsa_float_denorm_mode_16_64 3
		.amdhsa_dx10_clamp 1
		.amdhsa_ieee_mode 1
		.amdhsa_fp16_overflow 0
		.amdhsa_tg_split 0
		.amdhsa_exception_fp_ieee_invalid_op 0
		.amdhsa_exception_fp_denorm_src 0
		.amdhsa_exception_fp_ieee_div_zero 0
		.amdhsa_exception_fp_ieee_overflow 0
		.amdhsa_exception_fp_ieee_underflow 0
		.amdhsa_exception_fp_ieee_inexact 0
		.amdhsa_exception_int_div_zero 0
	.end_amdhsa_kernel
	.section	.text._ZN7rocprim17ROCPRIM_400000_NS6detail17trampoline_kernelINS0_14default_configENS1_20scan_config_selectorIfEEZZNS1_9scan_implILNS1_25lookback_scan_determinismE0ELb1ELb1ES3_N6thrust23THRUST_200600_302600_NS6detail15normal_iteratorINS9_10device_ptrIjEEEENSB_INSC_IfEEEEfNS9_4plusIvEEfEEDaPvRmT3_T4_T5_mT6_P12ihipStream_tbENKUlT_T0_E_clISt17integral_constantIbLb0EESW_EEDaSR_SS_EUlSR_E0_NS1_11comp_targetILNS1_3genE5ELNS1_11target_archE942ELNS1_3gpuE9ELNS1_3repE0EEENS1_30default_config_static_selectorELNS0_4arch9wavefront6targetE1EEEvT1_,"axG",@progbits,_ZN7rocprim17ROCPRIM_400000_NS6detail17trampoline_kernelINS0_14default_configENS1_20scan_config_selectorIfEEZZNS1_9scan_implILNS1_25lookback_scan_determinismE0ELb1ELb1ES3_N6thrust23THRUST_200600_302600_NS6detail15normal_iteratorINS9_10device_ptrIjEEEENSB_INSC_IfEEEEfNS9_4plusIvEEfEEDaPvRmT3_T4_T5_mT6_P12ihipStream_tbENKUlT_T0_E_clISt17integral_constantIbLb0EESW_EEDaSR_SS_EUlSR_E0_NS1_11comp_targetILNS1_3genE5ELNS1_11target_archE942ELNS1_3gpuE9ELNS1_3repE0EEENS1_30default_config_static_selectorELNS0_4arch9wavefront6targetE1EEEvT1_,comdat
.Lfunc_end6098:
	.size	_ZN7rocprim17ROCPRIM_400000_NS6detail17trampoline_kernelINS0_14default_configENS1_20scan_config_selectorIfEEZZNS1_9scan_implILNS1_25lookback_scan_determinismE0ELb1ELb1ES3_N6thrust23THRUST_200600_302600_NS6detail15normal_iteratorINS9_10device_ptrIjEEEENSB_INSC_IfEEEEfNS9_4plusIvEEfEEDaPvRmT3_T4_T5_mT6_P12ihipStream_tbENKUlT_T0_E_clISt17integral_constantIbLb0EESW_EEDaSR_SS_EUlSR_E0_NS1_11comp_targetILNS1_3genE5ELNS1_11target_archE942ELNS1_3gpuE9ELNS1_3repE0EEENS1_30default_config_static_selectorELNS0_4arch9wavefront6targetE1EEEvT1_, .Lfunc_end6098-_ZN7rocprim17ROCPRIM_400000_NS6detail17trampoline_kernelINS0_14default_configENS1_20scan_config_selectorIfEEZZNS1_9scan_implILNS1_25lookback_scan_determinismE0ELb1ELb1ES3_N6thrust23THRUST_200600_302600_NS6detail15normal_iteratorINS9_10device_ptrIjEEEENSB_INSC_IfEEEEfNS9_4plusIvEEfEEDaPvRmT3_T4_T5_mT6_P12ihipStream_tbENKUlT_T0_E_clISt17integral_constantIbLb0EESW_EEDaSR_SS_EUlSR_E0_NS1_11comp_targetILNS1_3genE5ELNS1_11target_archE942ELNS1_3gpuE9ELNS1_3repE0EEENS1_30default_config_static_selectorELNS0_4arch9wavefront6targetE1EEEvT1_
                                        ; -- End function
	.section	.AMDGPU.csdata,"",@progbits
; Kernel info:
; codeLenInByte = 0
; NumSgprs: 4
; NumVgprs: 0
; NumAgprs: 0
; TotalNumVgprs: 0
; ScratchSize: 0
; MemoryBound: 0
; FloatMode: 240
; IeeeMode: 1
; LDSByteSize: 0 bytes/workgroup (compile time only)
; SGPRBlocks: 0
; VGPRBlocks: 0
; NumSGPRsForWavesPerEU: 4
; NumVGPRsForWavesPerEU: 1
; AccumOffset: 4
; Occupancy: 8
; WaveLimiterHint : 0
; COMPUTE_PGM_RSRC2:SCRATCH_EN: 0
; COMPUTE_PGM_RSRC2:USER_SGPR: 6
; COMPUTE_PGM_RSRC2:TRAP_HANDLER: 0
; COMPUTE_PGM_RSRC2:TGID_X_EN: 1
; COMPUTE_PGM_RSRC2:TGID_Y_EN: 0
; COMPUTE_PGM_RSRC2:TGID_Z_EN: 0
; COMPUTE_PGM_RSRC2:TIDIG_COMP_CNT: 0
; COMPUTE_PGM_RSRC3_GFX90A:ACCUM_OFFSET: 0
; COMPUTE_PGM_RSRC3_GFX90A:TG_SPLIT: 0
	.section	.text._ZN7rocprim17ROCPRIM_400000_NS6detail17trampoline_kernelINS0_14default_configENS1_20scan_config_selectorIfEEZZNS1_9scan_implILNS1_25lookback_scan_determinismE0ELb1ELb1ES3_N6thrust23THRUST_200600_302600_NS6detail15normal_iteratorINS9_10device_ptrIjEEEENSB_INSC_IfEEEEfNS9_4plusIvEEfEEDaPvRmT3_T4_T5_mT6_P12ihipStream_tbENKUlT_T0_E_clISt17integral_constantIbLb0EESW_EEDaSR_SS_EUlSR_E0_NS1_11comp_targetILNS1_3genE4ELNS1_11target_archE910ELNS1_3gpuE8ELNS1_3repE0EEENS1_30default_config_static_selectorELNS0_4arch9wavefront6targetE1EEEvT1_,"axG",@progbits,_ZN7rocprim17ROCPRIM_400000_NS6detail17trampoline_kernelINS0_14default_configENS1_20scan_config_selectorIfEEZZNS1_9scan_implILNS1_25lookback_scan_determinismE0ELb1ELb1ES3_N6thrust23THRUST_200600_302600_NS6detail15normal_iteratorINS9_10device_ptrIjEEEENSB_INSC_IfEEEEfNS9_4plusIvEEfEEDaPvRmT3_T4_T5_mT6_P12ihipStream_tbENKUlT_T0_E_clISt17integral_constantIbLb0EESW_EEDaSR_SS_EUlSR_E0_NS1_11comp_targetILNS1_3genE4ELNS1_11target_archE910ELNS1_3gpuE8ELNS1_3repE0EEENS1_30default_config_static_selectorELNS0_4arch9wavefront6targetE1EEEvT1_,comdat
	.protected	_ZN7rocprim17ROCPRIM_400000_NS6detail17trampoline_kernelINS0_14default_configENS1_20scan_config_selectorIfEEZZNS1_9scan_implILNS1_25lookback_scan_determinismE0ELb1ELb1ES3_N6thrust23THRUST_200600_302600_NS6detail15normal_iteratorINS9_10device_ptrIjEEEENSB_INSC_IfEEEEfNS9_4plusIvEEfEEDaPvRmT3_T4_T5_mT6_P12ihipStream_tbENKUlT_T0_E_clISt17integral_constantIbLb0EESW_EEDaSR_SS_EUlSR_E0_NS1_11comp_targetILNS1_3genE4ELNS1_11target_archE910ELNS1_3gpuE8ELNS1_3repE0EEENS1_30default_config_static_selectorELNS0_4arch9wavefront6targetE1EEEvT1_ ; -- Begin function _ZN7rocprim17ROCPRIM_400000_NS6detail17trampoline_kernelINS0_14default_configENS1_20scan_config_selectorIfEEZZNS1_9scan_implILNS1_25lookback_scan_determinismE0ELb1ELb1ES3_N6thrust23THRUST_200600_302600_NS6detail15normal_iteratorINS9_10device_ptrIjEEEENSB_INSC_IfEEEEfNS9_4plusIvEEfEEDaPvRmT3_T4_T5_mT6_P12ihipStream_tbENKUlT_T0_E_clISt17integral_constantIbLb0EESW_EEDaSR_SS_EUlSR_E0_NS1_11comp_targetILNS1_3genE4ELNS1_11target_archE910ELNS1_3gpuE8ELNS1_3repE0EEENS1_30default_config_static_selectorELNS0_4arch9wavefront6targetE1EEEvT1_
	.globl	_ZN7rocprim17ROCPRIM_400000_NS6detail17trampoline_kernelINS0_14default_configENS1_20scan_config_selectorIfEEZZNS1_9scan_implILNS1_25lookback_scan_determinismE0ELb1ELb1ES3_N6thrust23THRUST_200600_302600_NS6detail15normal_iteratorINS9_10device_ptrIjEEEENSB_INSC_IfEEEEfNS9_4plusIvEEfEEDaPvRmT3_T4_T5_mT6_P12ihipStream_tbENKUlT_T0_E_clISt17integral_constantIbLb0EESW_EEDaSR_SS_EUlSR_E0_NS1_11comp_targetILNS1_3genE4ELNS1_11target_archE910ELNS1_3gpuE8ELNS1_3repE0EEENS1_30default_config_static_selectorELNS0_4arch9wavefront6targetE1EEEvT1_
	.p2align	8
	.type	_ZN7rocprim17ROCPRIM_400000_NS6detail17trampoline_kernelINS0_14default_configENS1_20scan_config_selectorIfEEZZNS1_9scan_implILNS1_25lookback_scan_determinismE0ELb1ELb1ES3_N6thrust23THRUST_200600_302600_NS6detail15normal_iteratorINS9_10device_ptrIjEEEENSB_INSC_IfEEEEfNS9_4plusIvEEfEEDaPvRmT3_T4_T5_mT6_P12ihipStream_tbENKUlT_T0_E_clISt17integral_constantIbLb0EESW_EEDaSR_SS_EUlSR_E0_NS1_11comp_targetILNS1_3genE4ELNS1_11target_archE910ELNS1_3gpuE8ELNS1_3repE0EEENS1_30default_config_static_selectorELNS0_4arch9wavefront6targetE1EEEvT1_,@function
_ZN7rocprim17ROCPRIM_400000_NS6detail17trampoline_kernelINS0_14default_configENS1_20scan_config_selectorIfEEZZNS1_9scan_implILNS1_25lookback_scan_determinismE0ELb1ELb1ES3_N6thrust23THRUST_200600_302600_NS6detail15normal_iteratorINS9_10device_ptrIjEEEENSB_INSC_IfEEEEfNS9_4plusIvEEfEEDaPvRmT3_T4_T5_mT6_P12ihipStream_tbENKUlT_T0_E_clISt17integral_constantIbLb0EESW_EEDaSR_SS_EUlSR_E0_NS1_11comp_targetILNS1_3genE4ELNS1_11target_archE910ELNS1_3gpuE8ELNS1_3repE0EEENS1_30default_config_static_selectorELNS0_4arch9wavefront6targetE1EEEvT1_: ; @_ZN7rocprim17ROCPRIM_400000_NS6detail17trampoline_kernelINS0_14default_configENS1_20scan_config_selectorIfEEZZNS1_9scan_implILNS1_25lookback_scan_determinismE0ELb1ELb1ES3_N6thrust23THRUST_200600_302600_NS6detail15normal_iteratorINS9_10device_ptrIjEEEENSB_INSC_IfEEEEfNS9_4plusIvEEfEEDaPvRmT3_T4_T5_mT6_P12ihipStream_tbENKUlT_T0_E_clISt17integral_constantIbLb0EESW_EEDaSR_SS_EUlSR_E0_NS1_11comp_targetILNS1_3genE4ELNS1_11target_archE910ELNS1_3gpuE8ELNS1_3repE0EEENS1_30default_config_static_selectorELNS0_4arch9wavefront6targetE1EEEvT1_
; %bb.0:
	s_load_dwordx4 s[28:31], s[4:5], 0x0
	v_lshlrev_b32_e32 v18, 2, v0
	s_waitcnt lgkmcnt(0)
	s_load_dword s0, s[28:29], 0x0
	v_cmp_gt_u32_e32 vcc, s30, v0
	s_waitcnt lgkmcnt(0)
	v_cvt_f32_u32_e32 v1, s0
	v_mov_b32_e32 v2, v1
	s_and_saveexec_b64 s[0:1], vcc
	s_cbranch_execz .LBB6099_2
; %bb.1:
	global_load_dword v2, v18, s[28:29]
	s_waitcnt vmcnt(0)
	v_cvt_f32_u32_e32 v2, v2
.LBB6099_2:
	s_or_b64 exec, exec, s[0:1]
	v_or_b32_e32 v3, 0x80, v0
	v_cmp_gt_u32_e64 s[0:1], s30, v3
	v_mov_b32_e32 v3, v1
	s_and_saveexec_b64 s[2:3], s[0:1]
	s_cbranch_execz .LBB6099_4
; %bb.3:
	global_load_dword v3, v18, s[28:29] offset:512
	s_waitcnt vmcnt(0)
	v_cvt_f32_u32_e32 v3, v3
.LBB6099_4:
	s_or_b64 exec, exec, s[2:3]
	v_or_b32_e32 v4, 0x100, v0
	v_cmp_gt_u32_e64 s[2:3], s30, v4
	v_mov_b32_e32 v4, v1
	s_and_saveexec_b64 s[6:7], s[2:3]
	s_cbranch_execz .LBB6099_6
; %bb.5:
	global_load_dword v4, v18, s[28:29] offset:1024
	s_waitcnt vmcnt(0)
	v_cvt_f32_u32_e32 v4, v4
.LBB6099_6:
	;; [unrolled: 11-line block ×7, first 2 shown]
	s_or_b64 exec, exec, s[14:15]
	v_or_b32_e32 v11, 0x400, v0
	v_cmp_gt_u32_e64 s[14:15], s30, v11
	v_mov_b32_e32 v10, v1
	s_and_saveexec_b64 s[16:17], s[14:15]
	s_cbranch_execz .LBB6099_18
; %bb.17:
	v_lshlrev_b32_e32 v10, 2, v11
	global_load_dword v10, v10, s[28:29]
	s_waitcnt vmcnt(0)
	v_cvt_f32_u32_e32 v10, v10
.LBB6099_18:
	s_or_b64 exec, exec, s[16:17]
	v_or_b32_e32 v12, 0x480, v0
	v_cmp_gt_u32_e64 s[16:17], s30, v12
	v_mov_b32_e32 v11, v1
	s_and_saveexec_b64 s[18:19], s[16:17]
	s_cbranch_execz .LBB6099_20
; %bb.19:
	v_lshlrev_b32_e32 v11, 2, v12
	global_load_dword v11, v11, s[28:29]
	s_waitcnt vmcnt(0)
	v_cvt_f32_u32_e32 v11, v11
.LBB6099_20:
	;; [unrolled: 12-line block ×5, first 2 shown]
	s_or_b64 exec, exec, s[24:25]
	s_load_dword s33, s[4:5], 0x10
	v_or_b32_e32 v15, 0x680, v0
	v_cmp_gt_u32_e64 s[24:25], s30, v15
	s_and_saveexec_b64 s[30:31], s[24:25]
	s_cbranch_execz .LBB6099_28
; %bb.27:
	v_lshlrev_b32_e32 v1, 2, v15
	global_load_dword v1, v1, s[28:29]
	s_waitcnt vmcnt(0)
	v_cvt_f32_u32_e32 v1, v1
.LBB6099_28:
	s_or_b64 exec, exec, s[30:31]
	ds_write2st64_b32 v18, v2, v3 offset1:2
	ds_write2st64_b32 v18, v4, v5 offset0:4 offset1:6
	ds_write2st64_b32 v18, v6, v7 offset0:8 offset1:10
	ds_write2st64_b32 v18, v8, v9 offset0:12 offset1:14
	ds_write2st64_b32 v18, v10, v11 offset0:16 offset1:18
	ds_write2st64_b32 v18, v12, v13 offset0:20 offset1:22
	ds_write2st64_b32 v18, v14, v1 offset0:24 offset1:26
	v_mad_u32_u24 v1, v0, 52, v18
	s_waitcnt lgkmcnt(0)
	s_barrier
	ds_read2_b64 v[10:13], v1 offset1:1
	ds_read2_b64 v[6:9], v1 offset0:2 offset1:3
	ds_read2_b64 v[2:5], v1 offset0:4 offset1:5
	ds_read_b64 v[14:15], v1 offset:48
	s_load_dwordx2 s[34:35], s[4:5], 0x18
	s_waitcnt lgkmcnt(0)
	v_add_f32_e32 v16, v10, v11
	v_add_f32_e32 v16, v16, v12
	;; [unrolled: 1-line block ×13, first 2 shown]
	v_lshrrev_b32_e32 v16, 3, v0
	v_and_b32_e32 v16, 12, v16
	v_add_u32_e32 v16, v18, v16
	v_cmp_gt_u32_e64 s[4:5], 64, v0
	s_barrier
	ds_write_b32 v16, v15
	s_waitcnt lgkmcnt(0)
	s_barrier
	s_and_saveexec_b64 s[36:37], s[4:5]
	s_cbranch_execz .LBB6099_30
; %bb.29:
	v_lshlrev_b32_e32 v16, 1, v0
	v_lshrrev_b32_e32 v17, 4, v0
	v_add_lshl_u32 v19, v17, v16, 2
	ds_read2_b32 v[16:17], v19 offset1:1
	v_mbcnt_lo_u32_b32 v20, -1, 0
	v_mbcnt_hi_u32_b32 v20, -1, v20
	v_and_b32_e32 v21, 15, v20
	v_cmp_eq_u32_e64 s[4:5], 0, v21
	s_waitcnt lgkmcnt(0)
	v_add_f32_e32 v17, v16, v17
	v_cmp_lt_u32_e64 s[28:29], 3, v21
	v_cmp_lt_u32_e64 s[30:31], 31, v20
	v_mov_b32_dpp v22, v17 row_shr:1 row_mask:0xf bank_mask:0xf
	v_add_f32_e32 v22, v17, v22
	v_cndmask_b32_e64 v17, v22, v17, s[4:5]
	v_cmp_lt_u32_e64 s[4:5], 1, v21
	s_nop 0
	v_mov_b32_dpp v22, v17 row_shr:2 row_mask:0xf bank_mask:0xf
	v_add_f32_e32 v22, v17, v22
	v_cndmask_b32_e64 v22, v17, v22, s[4:5]
	; wave barrier
	s_nop 1
	v_mov_b32_dpp v23, v22 row_shr:4 row_mask:0xf bank_mask:0xf
	v_add_f32_e32 v23, v22, v23
	v_cndmask_b32_e64 v22, v22, v23, s[28:29]
	v_cmp_lt_u32_e64 s[28:29], 7, v21
	s_nop 0
	v_mov_b32_dpp v23, v22 row_shr:8 row_mask:0xf bank_mask:0xf
	v_add_f32_e32 v23, v22, v23
	v_cndmask_b32_e64 v21, v22, v23, s[28:29]
	v_and_b32_e32 v23, 16, v20
	v_cmp_eq_u32_e64 s[28:29], 0, v23
	v_mov_b32_dpp v22, v21 row_bcast:15 row_mask:0xf bank_mask:0xf
	v_add_f32_e32 v22, v21, v22
	v_cndmask_b32_e64 v21, v22, v21, s[28:29]
	v_cmp_lt_u32_e64 s[28:29], 15, v20
	s_or_b64 s[4:5], s[28:29], s[4:5]
	v_mov_b32_dpp v22, v21 row_bcast:31 row_mask:0xf bank_mask:0xf
	v_add_f32_e32 v22, v21, v22
	v_cndmask_b32_e64 v21, v21, v22, s[30:31]
	v_cndmask_b32_e64 v17, v17, v21, s[4:5]
	v_add_u32_e32 v21, -1, v20
	v_and_b32_e32 v22, 64, v20
	v_cmp_lt_i32_e64 s[4:5], v21, v22
	v_cndmask_b32_e64 v20, v21, v20, s[4:5]
	v_lshlrev_b32_e32 v20, 2, v20
	ds_bpermute_b32 v17, v20, v17
	v_cmp_eq_u32_e64 s[4:5], 0, v0
	s_waitcnt lgkmcnt(0)
	v_add_f32_e32 v16, v16, v17
	v_cndmask_b32_e64 v15, v16, v15, s[4:5]
	ds_write_b32 v19, v15
	; wave barrier
	ds_read_b32 v16, v19 offset:4
	s_waitcnt lgkmcnt(0)
	v_add_f32_e32 v15, v15, v16
	ds_write_b32 v19, v15 offset:4
.LBB6099_30:
	s_or_b64 exec, exec, s[36:37]
	v_cmp_ne_u32_e64 s[4:5], 0, v0
	v_mov_b32_e32 v16, s33
	s_waitcnt lgkmcnt(0)
	s_barrier
	s_and_saveexec_b64 s[28:29], s[4:5]
	s_cbranch_execz .LBB6099_32
; %bb.31:
	v_add_u32_e32 v15, -1, v0
	v_lshrrev_b32_e32 v16, 5, v15
	v_add_lshl_u32 v15, v16, v15, 2
	ds_read_b32 v15, v15
	s_waitcnt lgkmcnt(0)
	v_add_f32_e32 v16, s33, v15
.LBB6099_32:
	s_or_b64 exec, exec, s[28:29]
	v_add_f32_e32 v17, v10, v16
	v_add_f32_e32 v10, v11, v17
	;; [unrolled: 1-line block ×12, first 2 shown]
	s_movk_i32 s4, 0xffcc
	v_add_f32_e32 v5, v14, v4
	v_mad_i32_i24 v0, v0, s4, v1
	s_barrier
	ds_write2_b64 v1, v[16:17], v[10:11] offset1:1
	ds_write2_b64 v1, v[12:13], v[6:7] offset0:2 offset1:3
	ds_write2_b64 v1, v[8:9], v[2:3] offset0:4 offset1:5
	ds_write_b64 v1, v[4:5] offset:48
	s_waitcnt lgkmcnt(0)
	s_barrier
	ds_read2st64_b32 v[12:13], v0 offset0:2 offset1:4
	ds_read2st64_b32 v[10:11], v0 offset0:6 offset1:8
	;; [unrolled: 1-line block ×4, first 2 shown]
	ds_read_b32 v14, v18 offset:4096
	ds_read2st64_b32 v[4:5], v0 offset0:20 offset1:22
	ds_read2st64_b32 v[0:1], v0 offset0:24 offset1:26
	v_mov_b32_e32 v3, s35
	v_add_co_u32_e64 v2, s[4:5], s34, v18
	v_addc_co_u32_e64 v3, s[4:5], 0, v3, s[4:5]
	s_and_saveexec_b64 s[4:5], vcc
	s_cbranch_execnz .LBB6099_47
; %bb.33:
	s_or_b64 exec, exec, s[4:5]
	s_and_saveexec_b64 s[4:5], s[0:1]
	s_cbranch_execnz .LBB6099_48
.LBB6099_34:
	s_or_b64 exec, exec, s[4:5]
	s_and_saveexec_b64 s[0:1], s[2:3]
	s_cbranch_execnz .LBB6099_49
.LBB6099_35:
	s_or_b64 exec, exec, s[0:1]
	s_and_saveexec_b64 s[0:1], s[26:27]
	s_cbranch_execnz .LBB6099_50
.LBB6099_36:
	s_or_b64 exec, exec, s[0:1]
	s_and_saveexec_b64 s[0:1], s[6:7]
	s_cbranch_execnz .LBB6099_51
.LBB6099_37:
	s_or_b64 exec, exec, s[0:1]
	s_and_saveexec_b64 s[0:1], s[8:9]
	s_cbranch_execnz .LBB6099_52
.LBB6099_38:
	s_or_b64 exec, exec, s[0:1]
	s_and_saveexec_b64 s[0:1], s[10:11]
	s_cbranch_execnz .LBB6099_53
.LBB6099_39:
	s_or_b64 exec, exec, s[0:1]
	s_and_saveexec_b64 s[0:1], s[12:13]
	s_cbranch_execnz .LBB6099_54
.LBB6099_40:
	s_or_b64 exec, exec, s[0:1]
	s_and_saveexec_b64 s[0:1], s[14:15]
	s_cbranch_execnz .LBB6099_55
.LBB6099_41:
	s_or_b64 exec, exec, s[0:1]
	s_and_saveexec_b64 s[0:1], s[16:17]
	s_cbranch_execnz .LBB6099_56
.LBB6099_42:
	s_or_b64 exec, exec, s[0:1]
	s_and_saveexec_b64 s[0:1], s[18:19]
	s_cbranch_execnz .LBB6099_57
.LBB6099_43:
	s_or_b64 exec, exec, s[0:1]
	s_and_saveexec_b64 s[0:1], s[20:21]
	s_cbranch_execnz .LBB6099_58
.LBB6099_44:
	s_or_b64 exec, exec, s[0:1]
	s_and_saveexec_b64 s[0:1], s[22:23]
	s_cbranch_execnz .LBB6099_59
.LBB6099_45:
	s_or_b64 exec, exec, s[0:1]
	s_and_saveexec_b64 s[0:1], s[24:25]
	s_cbranch_execnz .LBB6099_60
.LBB6099_46:
	s_endpgm
.LBB6099_47:
	ds_read_b32 v15, v18
	s_waitcnt lgkmcnt(0)
	global_store_dword v[2:3], v15, off
	s_or_b64 exec, exec, s[4:5]
	s_and_saveexec_b64 s[4:5], s[0:1]
	s_cbranch_execz .LBB6099_34
.LBB6099_48:
	s_waitcnt lgkmcnt(6)
	global_store_dword v[2:3], v12, off offset:512
	s_or_b64 exec, exec, s[4:5]
	s_and_saveexec_b64 s[0:1], s[2:3]
	s_cbranch_execz .LBB6099_35
.LBB6099_49:
	s_waitcnt lgkmcnt(6)
	global_store_dword v[2:3], v13, off offset:1024
	s_or_b64 exec, exec, s[0:1]
	s_and_saveexec_b64 s[0:1], s[26:27]
	s_cbranch_execz .LBB6099_36
.LBB6099_50:
	s_waitcnt lgkmcnt(5)
	global_store_dword v[2:3], v10, off offset:1536
	s_or_b64 exec, exec, s[0:1]
	s_and_saveexec_b64 s[0:1], s[6:7]
	s_cbranch_execz .LBB6099_37
.LBB6099_51:
	s_waitcnt lgkmcnt(5)
	global_store_dword v[2:3], v11, off offset:2048
	s_or_b64 exec, exec, s[0:1]
	s_and_saveexec_b64 s[0:1], s[8:9]
	s_cbranch_execz .LBB6099_38
.LBB6099_52:
	s_waitcnt lgkmcnt(4)
	global_store_dword v[2:3], v8, off offset:2560
	s_or_b64 exec, exec, s[0:1]
	s_and_saveexec_b64 s[0:1], s[10:11]
	s_cbranch_execz .LBB6099_39
.LBB6099_53:
	s_waitcnt lgkmcnt(4)
	global_store_dword v[2:3], v9, off offset:3072
	s_or_b64 exec, exec, s[0:1]
	s_and_saveexec_b64 s[0:1], s[12:13]
	s_cbranch_execz .LBB6099_40
.LBB6099_54:
	s_waitcnt lgkmcnt(3)
	global_store_dword v[2:3], v6, off offset:3584
	s_or_b64 exec, exec, s[0:1]
	s_and_saveexec_b64 s[0:1], s[14:15]
	s_cbranch_execz .LBB6099_41
.LBB6099_55:
	s_waitcnt lgkmcnt(4)
	v_add_co_u32_e32 v8, vcc, 0x1000, v2
	v_addc_co_u32_e32 v9, vcc, 0, v3, vcc
	s_waitcnt lgkmcnt(2)
	global_store_dword v[8:9], v14, off
	s_or_b64 exec, exec, s[0:1]
	s_and_saveexec_b64 s[0:1], s[16:17]
	s_cbranch_execz .LBB6099_42
.LBB6099_56:
	s_waitcnt lgkmcnt(4)
	v_add_co_u32_e32 v8, vcc, 0x1000, v2
	v_addc_co_u32_e32 v9, vcc, 0, v3, vcc
	s_waitcnt lgkmcnt(3)
	global_store_dword v[8:9], v7, off offset:512
	s_or_b64 exec, exec, s[0:1]
	s_and_saveexec_b64 s[0:1], s[18:19]
	s_cbranch_execz .LBB6099_43
.LBB6099_57:
	s_waitcnt lgkmcnt(3)
	v_add_co_u32_e32 v6, vcc, 0x1000, v2
	v_addc_co_u32_e32 v7, vcc, 0, v3, vcc
	s_waitcnt lgkmcnt(1)
	global_store_dword v[6:7], v4, off offset:1024
	s_or_b64 exec, exec, s[0:1]
	s_and_saveexec_b64 s[0:1], s[20:21]
	s_cbranch_execz .LBB6099_44
.LBB6099_58:
	s_waitcnt lgkmcnt(3)
	v_add_co_u32_e32 v6, vcc, 0x1000, v2
	v_addc_co_u32_e32 v7, vcc, 0, v3, vcc
	s_waitcnt lgkmcnt(1)
	global_store_dword v[6:7], v5, off offset:1536
	s_or_b64 exec, exec, s[0:1]
	s_and_saveexec_b64 s[0:1], s[22:23]
	s_cbranch_execz .LBB6099_45
.LBB6099_59:
	s_waitcnt lgkmcnt(1)
	v_add_co_u32_e32 v4, vcc, 0x1000, v2
	v_addc_co_u32_e32 v5, vcc, 0, v3, vcc
	s_waitcnt lgkmcnt(0)
	global_store_dword v[4:5], v0, off offset:2048
	s_or_b64 exec, exec, s[0:1]
	s_and_saveexec_b64 s[0:1], s[24:25]
	s_cbranch_execz .LBB6099_46
.LBB6099_60:
	v_add_co_u32_e32 v2, vcc, 0x1000, v2
	v_addc_co_u32_e32 v3, vcc, 0, v3, vcc
	s_waitcnt lgkmcnt(0)
	global_store_dword v[2:3], v1, off offset:2560
	s_endpgm
	.section	.rodata,"a",@progbits
	.p2align	6, 0x0
	.amdhsa_kernel _ZN7rocprim17ROCPRIM_400000_NS6detail17trampoline_kernelINS0_14default_configENS1_20scan_config_selectorIfEEZZNS1_9scan_implILNS1_25lookback_scan_determinismE0ELb1ELb1ES3_N6thrust23THRUST_200600_302600_NS6detail15normal_iteratorINS9_10device_ptrIjEEEENSB_INSC_IfEEEEfNS9_4plusIvEEfEEDaPvRmT3_T4_T5_mT6_P12ihipStream_tbENKUlT_T0_E_clISt17integral_constantIbLb0EESW_EEDaSR_SS_EUlSR_E0_NS1_11comp_targetILNS1_3genE4ELNS1_11target_archE910ELNS1_3gpuE8ELNS1_3repE0EEENS1_30default_config_static_selectorELNS0_4arch9wavefront6targetE1EEEvT1_
		.amdhsa_group_segment_fixed_size 7168
		.amdhsa_private_segment_fixed_size 0
		.amdhsa_kernarg_size 32
		.amdhsa_user_sgpr_count 6
		.amdhsa_user_sgpr_private_segment_buffer 1
		.amdhsa_user_sgpr_dispatch_ptr 0
		.amdhsa_user_sgpr_queue_ptr 0
		.amdhsa_user_sgpr_kernarg_segment_ptr 1
		.amdhsa_user_sgpr_dispatch_id 0
		.amdhsa_user_sgpr_flat_scratch_init 0
		.amdhsa_user_sgpr_kernarg_preload_length 0
		.amdhsa_user_sgpr_kernarg_preload_offset 0
		.amdhsa_user_sgpr_private_segment_size 0
		.amdhsa_uses_dynamic_stack 0
		.amdhsa_system_sgpr_private_segment_wavefront_offset 0
		.amdhsa_system_sgpr_workgroup_id_x 1
		.amdhsa_system_sgpr_workgroup_id_y 0
		.amdhsa_system_sgpr_workgroup_id_z 0
		.amdhsa_system_sgpr_workgroup_info 0
		.amdhsa_system_vgpr_workitem_id 0
		.amdhsa_next_free_vgpr 24
		.amdhsa_next_free_sgpr 38
		.amdhsa_accum_offset 24
		.amdhsa_reserve_vcc 1
		.amdhsa_reserve_flat_scratch 0
		.amdhsa_float_round_mode_32 0
		.amdhsa_float_round_mode_16_64 0
		.amdhsa_float_denorm_mode_32 3
		.amdhsa_float_denorm_mode_16_64 3
		.amdhsa_dx10_clamp 1
		.amdhsa_ieee_mode 1
		.amdhsa_fp16_overflow 0
		.amdhsa_tg_split 0
		.amdhsa_exception_fp_ieee_invalid_op 0
		.amdhsa_exception_fp_denorm_src 0
		.amdhsa_exception_fp_ieee_div_zero 0
		.amdhsa_exception_fp_ieee_overflow 0
		.amdhsa_exception_fp_ieee_underflow 0
		.amdhsa_exception_fp_ieee_inexact 0
		.amdhsa_exception_int_div_zero 0
	.end_amdhsa_kernel
	.section	.text._ZN7rocprim17ROCPRIM_400000_NS6detail17trampoline_kernelINS0_14default_configENS1_20scan_config_selectorIfEEZZNS1_9scan_implILNS1_25lookback_scan_determinismE0ELb1ELb1ES3_N6thrust23THRUST_200600_302600_NS6detail15normal_iteratorINS9_10device_ptrIjEEEENSB_INSC_IfEEEEfNS9_4plusIvEEfEEDaPvRmT3_T4_T5_mT6_P12ihipStream_tbENKUlT_T0_E_clISt17integral_constantIbLb0EESW_EEDaSR_SS_EUlSR_E0_NS1_11comp_targetILNS1_3genE4ELNS1_11target_archE910ELNS1_3gpuE8ELNS1_3repE0EEENS1_30default_config_static_selectorELNS0_4arch9wavefront6targetE1EEEvT1_,"axG",@progbits,_ZN7rocprim17ROCPRIM_400000_NS6detail17trampoline_kernelINS0_14default_configENS1_20scan_config_selectorIfEEZZNS1_9scan_implILNS1_25lookback_scan_determinismE0ELb1ELb1ES3_N6thrust23THRUST_200600_302600_NS6detail15normal_iteratorINS9_10device_ptrIjEEEENSB_INSC_IfEEEEfNS9_4plusIvEEfEEDaPvRmT3_T4_T5_mT6_P12ihipStream_tbENKUlT_T0_E_clISt17integral_constantIbLb0EESW_EEDaSR_SS_EUlSR_E0_NS1_11comp_targetILNS1_3genE4ELNS1_11target_archE910ELNS1_3gpuE8ELNS1_3repE0EEENS1_30default_config_static_selectorELNS0_4arch9wavefront6targetE1EEEvT1_,comdat
.Lfunc_end6099:
	.size	_ZN7rocprim17ROCPRIM_400000_NS6detail17trampoline_kernelINS0_14default_configENS1_20scan_config_selectorIfEEZZNS1_9scan_implILNS1_25lookback_scan_determinismE0ELb1ELb1ES3_N6thrust23THRUST_200600_302600_NS6detail15normal_iteratorINS9_10device_ptrIjEEEENSB_INSC_IfEEEEfNS9_4plusIvEEfEEDaPvRmT3_T4_T5_mT6_P12ihipStream_tbENKUlT_T0_E_clISt17integral_constantIbLb0EESW_EEDaSR_SS_EUlSR_E0_NS1_11comp_targetILNS1_3genE4ELNS1_11target_archE910ELNS1_3gpuE8ELNS1_3repE0EEENS1_30default_config_static_selectorELNS0_4arch9wavefront6targetE1EEEvT1_, .Lfunc_end6099-_ZN7rocprim17ROCPRIM_400000_NS6detail17trampoline_kernelINS0_14default_configENS1_20scan_config_selectorIfEEZZNS1_9scan_implILNS1_25lookback_scan_determinismE0ELb1ELb1ES3_N6thrust23THRUST_200600_302600_NS6detail15normal_iteratorINS9_10device_ptrIjEEEENSB_INSC_IfEEEEfNS9_4plusIvEEfEEDaPvRmT3_T4_T5_mT6_P12ihipStream_tbENKUlT_T0_E_clISt17integral_constantIbLb0EESW_EEDaSR_SS_EUlSR_E0_NS1_11comp_targetILNS1_3genE4ELNS1_11target_archE910ELNS1_3gpuE8ELNS1_3repE0EEENS1_30default_config_static_selectorELNS0_4arch9wavefront6targetE1EEEvT1_
                                        ; -- End function
	.section	.AMDGPU.csdata,"",@progbits
; Kernel info:
; codeLenInByte = 2132
; NumSgprs: 42
; NumVgprs: 24
; NumAgprs: 0
; TotalNumVgprs: 24
; ScratchSize: 0
; MemoryBound: 0
; FloatMode: 240
; IeeeMode: 1
; LDSByteSize: 7168 bytes/workgroup (compile time only)
; SGPRBlocks: 5
; VGPRBlocks: 2
; NumSGPRsForWavesPerEU: 42
; NumVGPRsForWavesPerEU: 24
; AccumOffset: 24
; Occupancy: 5
; WaveLimiterHint : 0
; COMPUTE_PGM_RSRC2:SCRATCH_EN: 0
; COMPUTE_PGM_RSRC2:USER_SGPR: 6
; COMPUTE_PGM_RSRC2:TRAP_HANDLER: 0
; COMPUTE_PGM_RSRC2:TGID_X_EN: 1
; COMPUTE_PGM_RSRC2:TGID_Y_EN: 0
; COMPUTE_PGM_RSRC2:TGID_Z_EN: 0
; COMPUTE_PGM_RSRC2:TIDIG_COMP_CNT: 0
; COMPUTE_PGM_RSRC3_GFX90A:ACCUM_OFFSET: 5
; COMPUTE_PGM_RSRC3_GFX90A:TG_SPLIT: 0
	.section	.text._ZN7rocprim17ROCPRIM_400000_NS6detail17trampoline_kernelINS0_14default_configENS1_20scan_config_selectorIfEEZZNS1_9scan_implILNS1_25lookback_scan_determinismE0ELb1ELb1ES3_N6thrust23THRUST_200600_302600_NS6detail15normal_iteratorINS9_10device_ptrIjEEEENSB_INSC_IfEEEEfNS9_4plusIvEEfEEDaPvRmT3_T4_T5_mT6_P12ihipStream_tbENKUlT_T0_E_clISt17integral_constantIbLb0EESW_EEDaSR_SS_EUlSR_E0_NS1_11comp_targetILNS1_3genE3ELNS1_11target_archE908ELNS1_3gpuE7ELNS1_3repE0EEENS1_30default_config_static_selectorELNS0_4arch9wavefront6targetE1EEEvT1_,"axG",@progbits,_ZN7rocprim17ROCPRIM_400000_NS6detail17trampoline_kernelINS0_14default_configENS1_20scan_config_selectorIfEEZZNS1_9scan_implILNS1_25lookback_scan_determinismE0ELb1ELb1ES3_N6thrust23THRUST_200600_302600_NS6detail15normal_iteratorINS9_10device_ptrIjEEEENSB_INSC_IfEEEEfNS9_4plusIvEEfEEDaPvRmT3_T4_T5_mT6_P12ihipStream_tbENKUlT_T0_E_clISt17integral_constantIbLb0EESW_EEDaSR_SS_EUlSR_E0_NS1_11comp_targetILNS1_3genE3ELNS1_11target_archE908ELNS1_3gpuE7ELNS1_3repE0EEENS1_30default_config_static_selectorELNS0_4arch9wavefront6targetE1EEEvT1_,comdat
	.protected	_ZN7rocprim17ROCPRIM_400000_NS6detail17trampoline_kernelINS0_14default_configENS1_20scan_config_selectorIfEEZZNS1_9scan_implILNS1_25lookback_scan_determinismE0ELb1ELb1ES3_N6thrust23THRUST_200600_302600_NS6detail15normal_iteratorINS9_10device_ptrIjEEEENSB_INSC_IfEEEEfNS9_4plusIvEEfEEDaPvRmT3_T4_T5_mT6_P12ihipStream_tbENKUlT_T0_E_clISt17integral_constantIbLb0EESW_EEDaSR_SS_EUlSR_E0_NS1_11comp_targetILNS1_3genE3ELNS1_11target_archE908ELNS1_3gpuE7ELNS1_3repE0EEENS1_30default_config_static_selectorELNS0_4arch9wavefront6targetE1EEEvT1_ ; -- Begin function _ZN7rocprim17ROCPRIM_400000_NS6detail17trampoline_kernelINS0_14default_configENS1_20scan_config_selectorIfEEZZNS1_9scan_implILNS1_25lookback_scan_determinismE0ELb1ELb1ES3_N6thrust23THRUST_200600_302600_NS6detail15normal_iteratorINS9_10device_ptrIjEEEENSB_INSC_IfEEEEfNS9_4plusIvEEfEEDaPvRmT3_T4_T5_mT6_P12ihipStream_tbENKUlT_T0_E_clISt17integral_constantIbLb0EESW_EEDaSR_SS_EUlSR_E0_NS1_11comp_targetILNS1_3genE3ELNS1_11target_archE908ELNS1_3gpuE7ELNS1_3repE0EEENS1_30default_config_static_selectorELNS0_4arch9wavefront6targetE1EEEvT1_
	.globl	_ZN7rocprim17ROCPRIM_400000_NS6detail17trampoline_kernelINS0_14default_configENS1_20scan_config_selectorIfEEZZNS1_9scan_implILNS1_25lookback_scan_determinismE0ELb1ELb1ES3_N6thrust23THRUST_200600_302600_NS6detail15normal_iteratorINS9_10device_ptrIjEEEENSB_INSC_IfEEEEfNS9_4plusIvEEfEEDaPvRmT3_T4_T5_mT6_P12ihipStream_tbENKUlT_T0_E_clISt17integral_constantIbLb0EESW_EEDaSR_SS_EUlSR_E0_NS1_11comp_targetILNS1_3genE3ELNS1_11target_archE908ELNS1_3gpuE7ELNS1_3repE0EEENS1_30default_config_static_selectorELNS0_4arch9wavefront6targetE1EEEvT1_
	.p2align	8
	.type	_ZN7rocprim17ROCPRIM_400000_NS6detail17trampoline_kernelINS0_14default_configENS1_20scan_config_selectorIfEEZZNS1_9scan_implILNS1_25lookback_scan_determinismE0ELb1ELb1ES3_N6thrust23THRUST_200600_302600_NS6detail15normal_iteratorINS9_10device_ptrIjEEEENSB_INSC_IfEEEEfNS9_4plusIvEEfEEDaPvRmT3_T4_T5_mT6_P12ihipStream_tbENKUlT_T0_E_clISt17integral_constantIbLb0EESW_EEDaSR_SS_EUlSR_E0_NS1_11comp_targetILNS1_3genE3ELNS1_11target_archE908ELNS1_3gpuE7ELNS1_3repE0EEENS1_30default_config_static_selectorELNS0_4arch9wavefront6targetE1EEEvT1_,@function
_ZN7rocprim17ROCPRIM_400000_NS6detail17trampoline_kernelINS0_14default_configENS1_20scan_config_selectorIfEEZZNS1_9scan_implILNS1_25lookback_scan_determinismE0ELb1ELb1ES3_N6thrust23THRUST_200600_302600_NS6detail15normal_iteratorINS9_10device_ptrIjEEEENSB_INSC_IfEEEEfNS9_4plusIvEEfEEDaPvRmT3_T4_T5_mT6_P12ihipStream_tbENKUlT_T0_E_clISt17integral_constantIbLb0EESW_EEDaSR_SS_EUlSR_E0_NS1_11comp_targetILNS1_3genE3ELNS1_11target_archE908ELNS1_3gpuE7ELNS1_3repE0EEENS1_30default_config_static_selectorELNS0_4arch9wavefront6targetE1EEEvT1_: ; @_ZN7rocprim17ROCPRIM_400000_NS6detail17trampoline_kernelINS0_14default_configENS1_20scan_config_selectorIfEEZZNS1_9scan_implILNS1_25lookback_scan_determinismE0ELb1ELb1ES3_N6thrust23THRUST_200600_302600_NS6detail15normal_iteratorINS9_10device_ptrIjEEEENSB_INSC_IfEEEEfNS9_4plusIvEEfEEDaPvRmT3_T4_T5_mT6_P12ihipStream_tbENKUlT_T0_E_clISt17integral_constantIbLb0EESW_EEDaSR_SS_EUlSR_E0_NS1_11comp_targetILNS1_3genE3ELNS1_11target_archE908ELNS1_3gpuE7ELNS1_3repE0EEENS1_30default_config_static_selectorELNS0_4arch9wavefront6targetE1EEEvT1_
; %bb.0:
	.section	.rodata,"a",@progbits
	.p2align	6, 0x0
	.amdhsa_kernel _ZN7rocprim17ROCPRIM_400000_NS6detail17trampoline_kernelINS0_14default_configENS1_20scan_config_selectorIfEEZZNS1_9scan_implILNS1_25lookback_scan_determinismE0ELb1ELb1ES3_N6thrust23THRUST_200600_302600_NS6detail15normal_iteratorINS9_10device_ptrIjEEEENSB_INSC_IfEEEEfNS9_4plusIvEEfEEDaPvRmT3_T4_T5_mT6_P12ihipStream_tbENKUlT_T0_E_clISt17integral_constantIbLb0EESW_EEDaSR_SS_EUlSR_E0_NS1_11comp_targetILNS1_3genE3ELNS1_11target_archE908ELNS1_3gpuE7ELNS1_3repE0EEENS1_30default_config_static_selectorELNS0_4arch9wavefront6targetE1EEEvT1_
		.amdhsa_group_segment_fixed_size 0
		.amdhsa_private_segment_fixed_size 0
		.amdhsa_kernarg_size 32
		.amdhsa_user_sgpr_count 6
		.amdhsa_user_sgpr_private_segment_buffer 1
		.amdhsa_user_sgpr_dispatch_ptr 0
		.amdhsa_user_sgpr_queue_ptr 0
		.amdhsa_user_sgpr_kernarg_segment_ptr 1
		.amdhsa_user_sgpr_dispatch_id 0
		.amdhsa_user_sgpr_flat_scratch_init 0
		.amdhsa_user_sgpr_kernarg_preload_length 0
		.amdhsa_user_sgpr_kernarg_preload_offset 0
		.amdhsa_user_sgpr_private_segment_size 0
		.amdhsa_uses_dynamic_stack 0
		.amdhsa_system_sgpr_private_segment_wavefront_offset 0
		.amdhsa_system_sgpr_workgroup_id_x 1
		.amdhsa_system_sgpr_workgroup_id_y 0
		.amdhsa_system_sgpr_workgroup_id_z 0
		.amdhsa_system_sgpr_workgroup_info 0
		.amdhsa_system_vgpr_workitem_id 0
		.amdhsa_next_free_vgpr 1
		.amdhsa_next_free_sgpr 0
		.amdhsa_accum_offset 4
		.amdhsa_reserve_vcc 0
		.amdhsa_reserve_flat_scratch 0
		.amdhsa_float_round_mode_32 0
		.amdhsa_float_round_mode_16_64 0
		.amdhsa_float_denorm_mode_32 3
		.amdhsa_float_denorm_mode_16_64 3
		.amdhsa_dx10_clamp 1
		.amdhsa_ieee_mode 1
		.amdhsa_fp16_overflow 0
		.amdhsa_tg_split 0
		.amdhsa_exception_fp_ieee_invalid_op 0
		.amdhsa_exception_fp_denorm_src 0
		.amdhsa_exception_fp_ieee_div_zero 0
		.amdhsa_exception_fp_ieee_overflow 0
		.amdhsa_exception_fp_ieee_underflow 0
		.amdhsa_exception_fp_ieee_inexact 0
		.amdhsa_exception_int_div_zero 0
	.end_amdhsa_kernel
	.section	.text._ZN7rocprim17ROCPRIM_400000_NS6detail17trampoline_kernelINS0_14default_configENS1_20scan_config_selectorIfEEZZNS1_9scan_implILNS1_25lookback_scan_determinismE0ELb1ELb1ES3_N6thrust23THRUST_200600_302600_NS6detail15normal_iteratorINS9_10device_ptrIjEEEENSB_INSC_IfEEEEfNS9_4plusIvEEfEEDaPvRmT3_T4_T5_mT6_P12ihipStream_tbENKUlT_T0_E_clISt17integral_constantIbLb0EESW_EEDaSR_SS_EUlSR_E0_NS1_11comp_targetILNS1_3genE3ELNS1_11target_archE908ELNS1_3gpuE7ELNS1_3repE0EEENS1_30default_config_static_selectorELNS0_4arch9wavefront6targetE1EEEvT1_,"axG",@progbits,_ZN7rocprim17ROCPRIM_400000_NS6detail17trampoline_kernelINS0_14default_configENS1_20scan_config_selectorIfEEZZNS1_9scan_implILNS1_25lookback_scan_determinismE0ELb1ELb1ES3_N6thrust23THRUST_200600_302600_NS6detail15normal_iteratorINS9_10device_ptrIjEEEENSB_INSC_IfEEEEfNS9_4plusIvEEfEEDaPvRmT3_T4_T5_mT6_P12ihipStream_tbENKUlT_T0_E_clISt17integral_constantIbLb0EESW_EEDaSR_SS_EUlSR_E0_NS1_11comp_targetILNS1_3genE3ELNS1_11target_archE908ELNS1_3gpuE7ELNS1_3repE0EEENS1_30default_config_static_selectorELNS0_4arch9wavefront6targetE1EEEvT1_,comdat
.Lfunc_end6100:
	.size	_ZN7rocprim17ROCPRIM_400000_NS6detail17trampoline_kernelINS0_14default_configENS1_20scan_config_selectorIfEEZZNS1_9scan_implILNS1_25lookback_scan_determinismE0ELb1ELb1ES3_N6thrust23THRUST_200600_302600_NS6detail15normal_iteratorINS9_10device_ptrIjEEEENSB_INSC_IfEEEEfNS9_4plusIvEEfEEDaPvRmT3_T4_T5_mT6_P12ihipStream_tbENKUlT_T0_E_clISt17integral_constantIbLb0EESW_EEDaSR_SS_EUlSR_E0_NS1_11comp_targetILNS1_3genE3ELNS1_11target_archE908ELNS1_3gpuE7ELNS1_3repE0EEENS1_30default_config_static_selectorELNS0_4arch9wavefront6targetE1EEEvT1_, .Lfunc_end6100-_ZN7rocprim17ROCPRIM_400000_NS6detail17trampoline_kernelINS0_14default_configENS1_20scan_config_selectorIfEEZZNS1_9scan_implILNS1_25lookback_scan_determinismE0ELb1ELb1ES3_N6thrust23THRUST_200600_302600_NS6detail15normal_iteratorINS9_10device_ptrIjEEEENSB_INSC_IfEEEEfNS9_4plusIvEEfEEDaPvRmT3_T4_T5_mT6_P12ihipStream_tbENKUlT_T0_E_clISt17integral_constantIbLb0EESW_EEDaSR_SS_EUlSR_E0_NS1_11comp_targetILNS1_3genE3ELNS1_11target_archE908ELNS1_3gpuE7ELNS1_3repE0EEENS1_30default_config_static_selectorELNS0_4arch9wavefront6targetE1EEEvT1_
                                        ; -- End function
	.section	.AMDGPU.csdata,"",@progbits
; Kernel info:
; codeLenInByte = 0
; NumSgprs: 4
; NumVgprs: 0
; NumAgprs: 0
; TotalNumVgprs: 0
; ScratchSize: 0
; MemoryBound: 0
; FloatMode: 240
; IeeeMode: 1
; LDSByteSize: 0 bytes/workgroup (compile time only)
; SGPRBlocks: 0
; VGPRBlocks: 0
; NumSGPRsForWavesPerEU: 4
; NumVGPRsForWavesPerEU: 1
; AccumOffset: 4
; Occupancy: 8
; WaveLimiterHint : 0
; COMPUTE_PGM_RSRC2:SCRATCH_EN: 0
; COMPUTE_PGM_RSRC2:USER_SGPR: 6
; COMPUTE_PGM_RSRC2:TRAP_HANDLER: 0
; COMPUTE_PGM_RSRC2:TGID_X_EN: 1
; COMPUTE_PGM_RSRC2:TGID_Y_EN: 0
; COMPUTE_PGM_RSRC2:TGID_Z_EN: 0
; COMPUTE_PGM_RSRC2:TIDIG_COMP_CNT: 0
; COMPUTE_PGM_RSRC3_GFX90A:ACCUM_OFFSET: 0
; COMPUTE_PGM_RSRC3_GFX90A:TG_SPLIT: 0
	.section	.text._ZN7rocprim17ROCPRIM_400000_NS6detail17trampoline_kernelINS0_14default_configENS1_20scan_config_selectorIfEEZZNS1_9scan_implILNS1_25lookback_scan_determinismE0ELb1ELb1ES3_N6thrust23THRUST_200600_302600_NS6detail15normal_iteratorINS9_10device_ptrIjEEEENSB_INSC_IfEEEEfNS9_4plusIvEEfEEDaPvRmT3_T4_T5_mT6_P12ihipStream_tbENKUlT_T0_E_clISt17integral_constantIbLb0EESW_EEDaSR_SS_EUlSR_E0_NS1_11comp_targetILNS1_3genE2ELNS1_11target_archE906ELNS1_3gpuE6ELNS1_3repE0EEENS1_30default_config_static_selectorELNS0_4arch9wavefront6targetE1EEEvT1_,"axG",@progbits,_ZN7rocprim17ROCPRIM_400000_NS6detail17trampoline_kernelINS0_14default_configENS1_20scan_config_selectorIfEEZZNS1_9scan_implILNS1_25lookback_scan_determinismE0ELb1ELb1ES3_N6thrust23THRUST_200600_302600_NS6detail15normal_iteratorINS9_10device_ptrIjEEEENSB_INSC_IfEEEEfNS9_4plusIvEEfEEDaPvRmT3_T4_T5_mT6_P12ihipStream_tbENKUlT_T0_E_clISt17integral_constantIbLb0EESW_EEDaSR_SS_EUlSR_E0_NS1_11comp_targetILNS1_3genE2ELNS1_11target_archE906ELNS1_3gpuE6ELNS1_3repE0EEENS1_30default_config_static_selectorELNS0_4arch9wavefront6targetE1EEEvT1_,comdat
	.protected	_ZN7rocprim17ROCPRIM_400000_NS6detail17trampoline_kernelINS0_14default_configENS1_20scan_config_selectorIfEEZZNS1_9scan_implILNS1_25lookback_scan_determinismE0ELb1ELb1ES3_N6thrust23THRUST_200600_302600_NS6detail15normal_iteratorINS9_10device_ptrIjEEEENSB_INSC_IfEEEEfNS9_4plusIvEEfEEDaPvRmT3_T4_T5_mT6_P12ihipStream_tbENKUlT_T0_E_clISt17integral_constantIbLb0EESW_EEDaSR_SS_EUlSR_E0_NS1_11comp_targetILNS1_3genE2ELNS1_11target_archE906ELNS1_3gpuE6ELNS1_3repE0EEENS1_30default_config_static_selectorELNS0_4arch9wavefront6targetE1EEEvT1_ ; -- Begin function _ZN7rocprim17ROCPRIM_400000_NS6detail17trampoline_kernelINS0_14default_configENS1_20scan_config_selectorIfEEZZNS1_9scan_implILNS1_25lookback_scan_determinismE0ELb1ELb1ES3_N6thrust23THRUST_200600_302600_NS6detail15normal_iteratorINS9_10device_ptrIjEEEENSB_INSC_IfEEEEfNS9_4plusIvEEfEEDaPvRmT3_T4_T5_mT6_P12ihipStream_tbENKUlT_T0_E_clISt17integral_constantIbLb0EESW_EEDaSR_SS_EUlSR_E0_NS1_11comp_targetILNS1_3genE2ELNS1_11target_archE906ELNS1_3gpuE6ELNS1_3repE0EEENS1_30default_config_static_selectorELNS0_4arch9wavefront6targetE1EEEvT1_
	.globl	_ZN7rocprim17ROCPRIM_400000_NS6detail17trampoline_kernelINS0_14default_configENS1_20scan_config_selectorIfEEZZNS1_9scan_implILNS1_25lookback_scan_determinismE0ELb1ELb1ES3_N6thrust23THRUST_200600_302600_NS6detail15normal_iteratorINS9_10device_ptrIjEEEENSB_INSC_IfEEEEfNS9_4plusIvEEfEEDaPvRmT3_T4_T5_mT6_P12ihipStream_tbENKUlT_T0_E_clISt17integral_constantIbLb0EESW_EEDaSR_SS_EUlSR_E0_NS1_11comp_targetILNS1_3genE2ELNS1_11target_archE906ELNS1_3gpuE6ELNS1_3repE0EEENS1_30default_config_static_selectorELNS0_4arch9wavefront6targetE1EEEvT1_
	.p2align	8
	.type	_ZN7rocprim17ROCPRIM_400000_NS6detail17trampoline_kernelINS0_14default_configENS1_20scan_config_selectorIfEEZZNS1_9scan_implILNS1_25lookback_scan_determinismE0ELb1ELb1ES3_N6thrust23THRUST_200600_302600_NS6detail15normal_iteratorINS9_10device_ptrIjEEEENSB_INSC_IfEEEEfNS9_4plusIvEEfEEDaPvRmT3_T4_T5_mT6_P12ihipStream_tbENKUlT_T0_E_clISt17integral_constantIbLb0EESW_EEDaSR_SS_EUlSR_E0_NS1_11comp_targetILNS1_3genE2ELNS1_11target_archE906ELNS1_3gpuE6ELNS1_3repE0EEENS1_30default_config_static_selectorELNS0_4arch9wavefront6targetE1EEEvT1_,@function
_ZN7rocprim17ROCPRIM_400000_NS6detail17trampoline_kernelINS0_14default_configENS1_20scan_config_selectorIfEEZZNS1_9scan_implILNS1_25lookback_scan_determinismE0ELb1ELb1ES3_N6thrust23THRUST_200600_302600_NS6detail15normal_iteratorINS9_10device_ptrIjEEEENSB_INSC_IfEEEEfNS9_4plusIvEEfEEDaPvRmT3_T4_T5_mT6_P12ihipStream_tbENKUlT_T0_E_clISt17integral_constantIbLb0EESW_EEDaSR_SS_EUlSR_E0_NS1_11comp_targetILNS1_3genE2ELNS1_11target_archE906ELNS1_3gpuE6ELNS1_3repE0EEENS1_30default_config_static_selectorELNS0_4arch9wavefront6targetE1EEEvT1_: ; @_ZN7rocprim17ROCPRIM_400000_NS6detail17trampoline_kernelINS0_14default_configENS1_20scan_config_selectorIfEEZZNS1_9scan_implILNS1_25lookback_scan_determinismE0ELb1ELb1ES3_N6thrust23THRUST_200600_302600_NS6detail15normal_iteratorINS9_10device_ptrIjEEEENSB_INSC_IfEEEEfNS9_4plusIvEEfEEDaPvRmT3_T4_T5_mT6_P12ihipStream_tbENKUlT_T0_E_clISt17integral_constantIbLb0EESW_EEDaSR_SS_EUlSR_E0_NS1_11comp_targetILNS1_3genE2ELNS1_11target_archE906ELNS1_3gpuE6ELNS1_3repE0EEENS1_30default_config_static_selectorELNS0_4arch9wavefront6targetE1EEEvT1_
; %bb.0:
	.section	.rodata,"a",@progbits
	.p2align	6, 0x0
	.amdhsa_kernel _ZN7rocprim17ROCPRIM_400000_NS6detail17trampoline_kernelINS0_14default_configENS1_20scan_config_selectorIfEEZZNS1_9scan_implILNS1_25lookback_scan_determinismE0ELb1ELb1ES3_N6thrust23THRUST_200600_302600_NS6detail15normal_iteratorINS9_10device_ptrIjEEEENSB_INSC_IfEEEEfNS9_4plusIvEEfEEDaPvRmT3_T4_T5_mT6_P12ihipStream_tbENKUlT_T0_E_clISt17integral_constantIbLb0EESW_EEDaSR_SS_EUlSR_E0_NS1_11comp_targetILNS1_3genE2ELNS1_11target_archE906ELNS1_3gpuE6ELNS1_3repE0EEENS1_30default_config_static_selectorELNS0_4arch9wavefront6targetE1EEEvT1_
		.amdhsa_group_segment_fixed_size 0
		.amdhsa_private_segment_fixed_size 0
		.amdhsa_kernarg_size 32
		.amdhsa_user_sgpr_count 6
		.amdhsa_user_sgpr_private_segment_buffer 1
		.amdhsa_user_sgpr_dispatch_ptr 0
		.amdhsa_user_sgpr_queue_ptr 0
		.amdhsa_user_sgpr_kernarg_segment_ptr 1
		.amdhsa_user_sgpr_dispatch_id 0
		.amdhsa_user_sgpr_flat_scratch_init 0
		.amdhsa_user_sgpr_kernarg_preload_length 0
		.amdhsa_user_sgpr_kernarg_preload_offset 0
		.amdhsa_user_sgpr_private_segment_size 0
		.amdhsa_uses_dynamic_stack 0
		.amdhsa_system_sgpr_private_segment_wavefront_offset 0
		.amdhsa_system_sgpr_workgroup_id_x 1
		.amdhsa_system_sgpr_workgroup_id_y 0
		.amdhsa_system_sgpr_workgroup_id_z 0
		.amdhsa_system_sgpr_workgroup_info 0
		.amdhsa_system_vgpr_workitem_id 0
		.amdhsa_next_free_vgpr 1
		.amdhsa_next_free_sgpr 0
		.amdhsa_accum_offset 4
		.amdhsa_reserve_vcc 0
		.amdhsa_reserve_flat_scratch 0
		.amdhsa_float_round_mode_32 0
		.amdhsa_float_round_mode_16_64 0
		.amdhsa_float_denorm_mode_32 3
		.amdhsa_float_denorm_mode_16_64 3
		.amdhsa_dx10_clamp 1
		.amdhsa_ieee_mode 1
		.amdhsa_fp16_overflow 0
		.amdhsa_tg_split 0
		.amdhsa_exception_fp_ieee_invalid_op 0
		.amdhsa_exception_fp_denorm_src 0
		.amdhsa_exception_fp_ieee_div_zero 0
		.amdhsa_exception_fp_ieee_overflow 0
		.amdhsa_exception_fp_ieee_underflow 0
		.amdhsa_exception_fp_ieee_inexact 0
		.amdhsa_exception_int_div_zero 0
	.end_amdhsa_kernel
	.section	.text._ZN7rocprim17ROCPRIM_400000_NS6detail17trampoline_kernelINS0_14default_configENS1_20scan_config_selectorIfEEZZNS1_9scan_implILNS1_25lookback_scan_determinismE0ELb1ELb1ES3_N6thrust23THRUST_200600_302600_NS6detail15normal_iteratorINS9_10device_ptrIjEEEENSB_INSC_IfEEEEfNS9_4plusIvEEfEEDaPvRmT3_T4_T5_mT6_P12ihipStream_tbENKUlT_T0_E_clISt17integral_constantIbLb0EESW_EEDaSR_SS_EUlSR_E0_NS1_11comp_targetILNS1_3genE2ELNS1_11target_archE906ELNS1_3gpuE6ELNS1_3repE0EEENS1_30default_config_static_selectorELNS0_4arch9wavefront6targetE1EEEvT1_,"axG",@progbits,_ZN7rocprim17ROCPRIM_400000_NS6detail17trampoline_kernelINS0_14default_configENS1_20scan_config_selectorIfEEZZNS1_9scan_implILNS1_25lookback_scan_determinismE0ELb1ELb1ES3_N6thrust23THRUST_200600_302600_NS6detail15normal_iteratorINS9_10device_ptrIjEEEENSB_INSC_IfEEEEfNS9_4plusIvEEfEEDaPvRmT3_T4_T5_mT6_P12ihipStream_tbENKUlT_T0_E_clISt17integral_constantIbLb0EESW_EEDaSR_SS_EUlSR_E0_NS1_11comp_targetILNS1_3genE2ELNS1_11target_archE906ELNS1_3gpuE6ELNS1_3repE0EEENS1_30default_config_static_selectorELNS0_4arch9wavefront6targetE1EEEvT1_,comdat
.Lfunc_end6101:
	.size	_ZN7rocprim17ROCPRIM_400000_NS6detail17trampoline_kernelINS0_14default_configENS1_20scan_config_selectorIfEEZZNS1_9scan_implILNS1_25lookback_scan_determinismE0ELb1ELb1ES3_N6thrust23THRUST_200600_302600_NS6detail15normal_iteratorINS9_10device_ptrIjEEEENSB_INSC_IfEEEEfNS9_4plusIvEEfEEDaPvRmT3_T4_T5_mT6_P12ihipStream_tbENKUlT_T0_E_clISt17integral_constantIbLb0EESW_EEDaSR_SS_EUlSR_E0_NS1_11comp_targetILNS1_3genE2ELNS1_11target_archE906ELNS1_3gpuE6ELNS1_3repE0EEENS1_30default_config_static_selectorELNS0_4arch9wavefront6targetE1EEEvT1_, .Lfunc_end6101-_ZN7rocprim17ROCPRIM_400000_NS6detail17trampoline_kernelINS0_14default_configENS1_20scan_config_selectorIfEEZZNS1_9scan_implILNS1_25lookback_scan_determinismE0ELb1ELb1ES3_N6thrust23THRUST_200600_302600_NS6detail15normal_iteratorINS9_10device_ptrIjEEEENSB_INSC_IfEEEEfNS9_4plusIvEEfEEDaPvRmT3_T4_T5_mT6_P12ihipStream_tbENKUlT_T0_E_clISt17integral_constantIbLb0EESW_EEDaSR_SS_EUlSR_E0_NS1_11comp_targetILNS1_3genE2ELNS1_11target_archE906ELNS1_3gpuE6ELNS1_3repE0EEENS1_30default_config_static_selectorELNS0_4arch9wavefront6targetE1EEEvT1_
                                        ; -- End function
	.section	.AMDGPU.csdata,"",@progbits
; Kernel info:
; codeLenInByte = 0
; NumSgprs: 4
; NumVgprs: 0
; NumAgprs: 0
; TotalNumVgprs: 0
; ScratchSize: 0
; MemoryBound: 0
; FloatMode: 240
; IeeeMode: 1
; LDSByteSize: 0 bytes/workgroup (compile time only)
; SGPRBlocks: 0
; VGPRBlocks: 0
; NumSGPRsForWavesPerEU: 4
; NumVGPRsForWavesPerEU: 1
; AccumOffset: 4
; Occupancy: 8
; WaveLimiterHint : 0
; COMPUTE_PGM_RSRC2:SCRATCH_EN: 0
; COMPUTE_PGM_RSRC2:USER_SGPR: 6
; COMPUTE_PGM_RSRC2:TRAP_HANDLER: 0
; COMPUTE_PGM_RSRC2:TGID_X_EN: 1
; COMPUTE_PGM_RSRC2:TGID_Y_EN: 0
; COMPUTE_PGM_RSRC2:TGID_Z_EN: 0
; COMPUTE_PGM_RSRC2:TIDIG_COMP_CNT: 0
; COMPUTE_PGM_RSRC3_GFX90A:ACCUM_OFFSET: 0
; COMPUTE_PGM_RSRC3_GFX90A:TG_SPLIT: 0
	.section	.text._ZN7rocprim17ROCPRIM_400000_NS6detail17trampoline_kernelINS0_14default_configENS1_20scan_config_selectorIfEEZZNS1_9scan_implILNS1_25lookback_scan_determinismE0ELb1ELb1ES3_N6thrust23THRUST_200600_302600_NS6detail15normal_iteratorINS9_10device_ptrIjEEEENSB_INSC_IfEEEEfNS9_4plusIvEEfEEDaPvRmT3_T4_T5_mT6_P12ihipStream_tbENKUlT_T0_E_clISt17integral_constantIbLb0EESW_EEDaSR_SS_EUlSR_E0_NS1_11comp_targetILNS1_3genE10ELNS1_11target_archE1201ELNS1_3gpuE5ELNS1_3repE0EEENS1_30default_config_static_selectorELNS0_4arch9wavefront6targetE1EEEvT1_,"axG",@progbits,_ZN7rocprim17ROCPRIM_400000_NS6detail17trampoline_kernelINS0_14default_configENS1_20scan_config_selectorIfEEZZNS1_9scan_implILNS1_25lookback_scan_determinismE0ELb1ELb1ES3_N6thrust23THRUST_200600_302600_NS6detail15normal_iteratorINS9_10device_ptrIjEEEENSB_INSC_IfEEEEfNS9_4plusIvEEfEEDaPvRmT3_T4_T5_mT6_P12ihipStream_tbENKUlT_T0_E_clISt17integral_constantIbLb0EESW_EEDaSR_SS_EUlSR_E0_NS1_11comp_targetILNS1_3genE10ELNS1_11target_archE1201ELNS1_3gpuE5ELNS1_3repE0EEENS1_30default_config_static_selectorELNS0_4arch9wavefront6targetE1EEEvT1_,comdat
	.protected	_ZN7rocprim17ROCPRIM_400000_NS6detail17trampoline_kernelINS0_14default_configENS1_20scan_config_selectorIfEEZZNS1_9scan_implILNS1_25lookback_scan_determinismE0ELb1ELb1ES3_N6thrust23THRUST_200600_302600_NS6detail15normal_iteratorINS9_10device_ptrIjEEEENSB_INSC_IfEEEEfNS9_4plusIvEEfEEDaPvRmT3_T4_T5_mT6_P12ihipStream_tbENKUlT_T0_E_clISt17integral_constantIbLb0EESW_EEDaSR_SS_EUlSR_E0_NS1_11comp_targetILNS1_3genE10ELNS1_11target_archE1201ELNS1_3gpuE5ELNS1_3repE0EEENS1_30default_config_static_selectorELNS0_4arch9wavefront6targetE1EEEvT1_ ; -- Begin function _ZN7rocprim17ROCPRIM_400000_NS6detail17trampoline_kernelINS0_14default_configENS1_20scan_config_selectorIfEEZZNS1_9scan_implILNS1_25lookback_scan_determinismE0ELb1ELb1ES3_N6thrust23THRUST_200600_302600_NS6detail15normal_iteratorINS9_10device_ptrIjEEEENSB_INSC_IfEEEEfNS9_4plusIvEEfEEDaPvRmT3_T4_T5_mT6_P12ihipStream_tbENKUlT_T0_E_clISt17integral_constantIbLb0EESW_EEDaSR_SS_EUlSR_E0_NS1_11comp_targetILNS1_3genE10ELNS1_11target_archE1201ELNS1_3gpuE5ELNS1_3repE0EEENS1_30default_config_static_selectorELNS0_4arch9wavefront6targetE1EEEvT1_
	.globl	_ZN7rocprim17ROCPRIM_400000_NS6detail17trampoline_kernelINS0_14default_configENS1_20scan_config_selectorIfEEZZNS1_9scan_implILNS1_25lookback_scan_determinismE0ELb1ELb1ES3_N6thrust23THRUST_200600_302600_NS6detail15normal_iteratorINS9_10device_ptrIjEEEENSB_INSC_IfEEEEfNS9_4plusIvEEfEEDaPvRmT3_T4_T5_mT6_P12ihipStream_tbENKUlT_T0_E_clISt17integral_constantIbLb0EESW_EEDaSR_SS_EUlSR_E0_NS1_11comp_targetILNS1_3genE10ELNS1_11target_archE1201ELNS1_3gpuE5ELNS1_3repE0EEENS1_30default_config_static_selectorELNS0_4arch9wavefront6targetE1EEEvT1_
	.p2align	8
	.type	_ZN7rocprim17ROCPRIM_400000_NS6detail17trampoline_kernelINS0_14default_configENS1_20scan_config_selectorIfEEZZNS1_9scan_implILNS1_25lookback_scan_determinismE0ELb1ELb1ES3_N6thrust23THRUST_200600_302600_NS6detail15normal_iteratorINS9_10device_ptrIjEEEENSB_INSC_IfEEEEfNS9_4plusIvEEfEEDaPvRmT3_T4_T5_mT6_P12ihipStream_tbENKUlT_T0_E_clISt17integral_constantIbLb0EESW_EEDaSR_SS_EUlSR_E0_NS1_11comp_targetILNS1_3genE10ELNS1_11target_archE1201ELNS1_3gpuE5ELNS1_3repE0EEENS1_30default_config_static_selectorELNS0_4arch9wavefront6targetE1EEEvT1_,@function
_ZN7rocprim17ROCPRIM_400000_NS6detail17trampoline_kernelINS0_14default_configENS1_20scan_config_selectorIfEEZZNS1_9scan_implILNS1_25lookback_scan_determinismE0ELb1ELb1ES3_N6thrust23THRUST_200600_302600_NS6detail15normal_iteratorINS9_10device_ptrIjEEEENSB_INSC_IfEEEEfNS9_4plusIvEEfEEDaPvRmT3_T4_T5_mT6_P12ihipStream_tbENKUlT_T0_E_clISt17integral_constantIbLb0EESW_EEDaSR_SS_EUlSR_E0_NS1_11comp_targetILNS1_3genE10ELNS1_11target_archE1201ELNS1_3gpuE5ELNS1_3repE0EEENS1_30default_config_static_selectorELNS0_4arch9wavefront6targetE1EEEvT1_: ; @_ZN7rocprim17ROCPRIM_400000_NS6detail17trampoline_kernelINS0_14default_configENS1_20scan_config_selectorIfEEZZNS1_9scan_implILNS1_25lookback_scan_determinismE0ELb1ELb1ES3_N6thrust23THRUST_200600_302600_NS6detail15normal_iteratorINS9_10device_ptrIjEEEENSB_INSC_IfEEEEfNS9_4plusIvEEfEEDaPvRmT3_T4_T5_mT6_P12ihipStream_tbENKUlT_T0_E_clISt17integral_constantIbLb0EESW_EEDaSR_SS_EUlSR_E0_NS1_11comp_targetILNS1_3genE10ELNS1_11target_archE1201ELNS1_3gpuE5ELNS1_3repE0EEENS1_30default_config_static_selectorELNS0_4arch9wavefront6targetE1EEEvT1_
; %bb.0:
	.section	.rodata,"a",@progbits
	.p2align	6, 0x0
	.amdhsa_kernel _ZN7rocprim17ROCPRIM_400000_NS6detail17trampoline_kernelINS0_14default_configENS1_20scan_config_selectorIfEEZZNS1_9scan_implILNS1_25lookback_scan_determinismE0ELb1ELb1ES3_N6thrust23THRUST_200600_302600_NS6detail15normal_iteratorINS9_10device_ptrIjEEEENSB_INSC_IfEEEEfNS9_4plusIvEEfEEDaPvRmT3_T4_T5_mT6_P12ihipStream_tbENKUlT_T0_E_clISt17integral_constantIbLb0EESW_EEDaSR_SS_EUlSR_E0_NS1_11comp_targetILNS1_3genE10ELNS1_11target_archE1201ELNS1_3gpuE5ELNS1_3repE0EEENS1_30default_config_static_selectorELNS0_4arch9wavefront6targetE1EEEvT1_
		.amdhsa_group_segment_fixed_size 0
		.amdhsa_private_segment_fixed_size 0
		.amdhsa_kernarg_size 32
		.amdhsa_user_sgpr_count 6
		.amdhsa_user_sgpr_private_segment_buffer 1
		.amdhsa_user_sgpr_dispatch_ptr 0
		.amdhsa_user_sgpr_queue_ptr 0
		.amdhsa_user_sgpr_kernarg_segment_ptr 1
		.amdhsa_user_sgpr_dispatch_id 0
		.amdhsa_user_sgpr_flat_scratch_init 0
		.amdhsa_user_sgpr_kernarg_preload_length 0
		.amdhsa_user_sgpr_kernarg_preload_offset 0
		.amdhsa_user_sgpr_private_segment_size 0
		.amdhsa_uses_dynamic_stack 0
		.amdhsa_system_sgpr_private_segment_wavefront_offset 0
		.amdhsa_system_sgpr_workgroup_id_x 1
		.amdhsa_system_sgpr_workgroup_id_y 0
		.amdhsa_system_sgpr_workgroup_id_z 0
		.amdhsa_system_sgpr_workgroup_info 0
		.amdhsa_system_vgpr_workitem_id 0
		.amdhsa_next_free_vgpr 1
		.amdhsa_next_free_sgpr 0
		.amdhsa_accum_offset 4
		.amdhsa_reserve_vcc 0
		.amdhsa_reserve_flat_scratch 0
		.amdhsa_float_round_mode_32 0
		.amdhsa_float_round_mode_16_64 0
		.amdhsa_float_denorm_mode_32 3
		.amdhsa_float_denorm_mode_16_64 3
		.amdhsa_dx10_clamp 1
		.amdhsa_ieee_mode 1
		.amdhsa_fp16_overflow 0
		.amdhsa_tg_split 0
		.amdhsa_exception_fp_ieee_invalid_op 0
		.amdhsa_exception_fp_denorm_src 0
		.amdhsa_exception_fp_ieee_div_zero 0
		.amdhsa_exception_fp_ieee_overflow 0
		.amdhsa_exception_fp_ieee_underflow 0
		.amdhsa_exception_fp_ieee_inexact 0
		.amdhsa_exception_int_div_zero 0
	.end_amdhsa_kernel
	.section	.text._ZN7rocprim17ROCPRIM_400000_NS6detail17trampoline_kernelINS0_14default_configENS1_20scan_config_selectorIfEEZZNS1_9scan_implILNS1_25lookback_scan_determinismE0ELb1ELb1ES3_N6thrust23THRUST_200600_302600_NS6detail15normal_iteratorINS9_10device_ptrIjEEEENSB_INSC_IfEEEEfNS9_4plusIvEEfEEDaPvRmT3_T4_T5_mT6_P12ihipStream_tbENKUlT_T0_E_clISt17integral_constantIbLb0EESW_EEDaSR_SS_EUlSR_E0_NS1_11comp_targetILNS1_3genE10ELNS1_11target_archE1201ELNS1_3gpuE5ELNS1_3repE0EEENS1_30default_config_static_selectorELNS0_4arch9wavefront6targetE1EEEvT1_,"axG",@progbits,_ZN7rocprim17ROCPRIM_400000_NS6detail17trampoline_kernelINS0_14default_configENS1_20scan_config_selectorIfEEZZNS1_9scan_implILNS1_25lookback_scan_determinismE0ELb1ELb1ES3_N6thrust23THRUST_200600_302600_NS6detail15normal_iteratorINS9_10device_ptrIjEEEENSB_INSC_IfEEEEfNS9_4plusIvEEfEEDaPvRmT3_T4_T5_mT6_P12ihipStream_tbENKUlT_T0_E_clISt17integral_constantIbLb0EESW_EEDaSR_SS_EUlSR_E0_NS1_11comp_targetILNS1_3genE10ELNS1_11target_archE1201ELNS1_3gpuE5ELNS1_3repE0EEENS1_30default_config_static_selectorELNS0_4arch9wavefront6targetE1EEEvT1_,comdat
.Lfunc_end6102:
	.size	_ZN7rocprim17ROCPRIM_400000_NS6detail17trampoline_kernelINS0_14default_configENS1_20scan_config_selectorIfEEZZNS1_9scan_implILNS1_25lookback_scan_determinismE0ELb1ELb1ES3_N6thrust23THRUST_200600_302600_NS6detail15normal_iteratorINS9_10device_ptrIjEEEENSB_INSC_IfEEEEfNS9_4plusIvEEfEEDaPvRmT3_T4_T5_mT6_P12ihipStream_tbENKUlT_T0_E_clISt17integral_constantIbLb0EESW_EEDaSR_SS_EUlSR_E0_NS1_11comp_targetILNS1_3genE10ELNS1_11target_archE1201ELNS1_3gpuE5ELNS1_3repE0EEENS1_30default_config_static_selectorELNS0_4arch9wavefront6targetE1EEEvT1_, .Lfunc_end6102-_ZN7rocprim17ROCPRIM_400000_NS6detail17trampoline_kernelINS0_14default_configENS1_20scan_config_selectorIfEEZZNS1_9scan_implILNS1_25lookback_scan_determinismE0ELb1ELb1ES3_N6thrust23THRUST_200600_302600_NS6detail15normal_iteratorINS9_10device_ptrIjEEEENSB_INSC_IfEEEEfNS9_4plusIvEEfEEDaPvRmT3_T4_T5_mT6_P12ihipStream_tbENKUlT_T0_E_clISt17integral_constantIbLb0EESW_EEDaSR_SS_EUlSR_E0_NS1_11comp_targetILNS1_3genE10ELNS1_11target_archE1201ELNS1_3gpuE5ELNS1_3repE0EEENS1_30default_config_static_selectorELNS0_4arch9wavefront6targetE1EEEvT1_
                                        ; -- End function
	.section	.AMDGPU.csdata,"",@progbits
; Kernel info:
; codeLenInByte = 0
; NumSgprs: 4
; NumVgprs: 0
; NumAgprs: 0
; TotalNumVgprs: 0
; ScratchSize: 0
; MemoryBound: 0
; FloatMode: 240
; IeeeMode: 1
; LDSByteSize: 0 bytes/workgroup (compile time only)
; SGPRBlocks: 0
; VGPRBlocks: 0
; NumSGPRsForWavesPerEU: 4
; NumVGPRsForWavesPerEU: 1
; AccumOffset: 4
; Occupancy: 8
; WaveLimiterHint : 0
; COMPUTE_PGM_RSRC2:SCRATCH_EN: 0
; COMPUTE_PGM_RSRC2:USER_SGPR: 6
; COMPUTE_PGM_RSRC2:TRAP_HANDLER: 0
; COMPUTE_PGM_RSRC2:TGID_X_EN: 1
; COMPUTE_PGM_RSRC2:TGID_Y_EN: 0
; COMPUTE_PGM_RSRC2:TGID_Z_EN: 0
; COMPUTE_PGM_RSRC2:TIDIG_COMP_CNT: 0
; COMPUTE_PGM_RSRC3_GFX90A:ACCUM_OFFSET: 0
; COMPUTE_PGM_RSRC3_GFX90A:TG_SPLIT: 0
	.section	.text._ZN7rocprim17ROCPRIM_400000_NS6detail17trampoline_kernelINS0_14default_configENS1_20scan_config_selectorIfEEZZNS1_9scan_implILNS1_25lookback_scan_determinismE0ELb1ELb1ES3_N6thrust23THRUST_200600_302600_NS6detail15normal_iteratorINS9_10device_ptrIjEEEENSB_INSC_IfEEEEfNS9_4plusIvEEfEEDaPvRmT3_T4_T5_mT6_P12ihipStream_tbENKUlT_T0_E_clISt17integral_constantIbLb0EESW_EEDaSR_SS_EUlSR_E0_NS1_11comp_targetILNS1_3genE10ELNS1_11target_archE1200ELNS1_3gpuE4ELNS1_3repE0EEENS1_30default_config_static_selectorELNS0_4arch9wavefront6targetE1EEEvT1_,"axG",@progbits,_ZN7rocprim17ROCPRIM_400000_NS6detail17trampoline_kernelINS0_14default_configENS1_20scan_config_selectorIfEEZZNS1_9scan_implILNS1_25lookback_scan_determinismE0ELb1ELb1ES3_N6thrust23THRUST_200600_302600_NS6detail15normal_iteratorINS9_10device_ptrIjEEEENSB_INSC_IfEEEEfNS9_4plusIvEEfEEDaPvRmT3_T4_T5_mT6_P12ihipStream_tbENKUlT_T0_E_clISt17integral_constantIbLb0EESW_EEDaSR_SS_EUlSR_E0_NS1_11comp_targetILNS1_3genE10ELNS1_11target_archE1200ELNS1_3gpuE4ELNS1_3repE0EEENS1_30default_config_static_selectorELNS0_4arch9wavefront6targetE1EEEvT1_,comdat
	.protected	_ZN7rocprim17ROCPRIM_400000_NS6detail17trampoline_kernelINS0_14default_configENS1_20scan_config_selectorIfEEZZNS1_9scan_implILNS1_25lookback_scan_determinismE0ELb1ELb1ES3_N6thrust23THRUST_200600_302600_NS6detail15normal_iteratorINS9_10device_ptrIjEEEENSB_INSC_IfEEEEfNS9_4plusIvEEfEEDaPvRmT3_T4_T5_mT6_P12ihipStream_tbENKUlT_T0_E_clISt17integral_constantIbLb0EESW_EEDaSR_SS_EUlSR_E0_NS1_11comp_targetILNS1_3genE10ELNS1_11target_archE1200ELNS1_3gpuE4ELNS1_3repE0EEENS1_30default_config_static_selectorELNS0_4arch9wavefront6targetE1EEEvT1_ ; -- Begin function _ZN7rocprim17ROCPRIM_400000_NS6detail17trampoline_kernelINS0_14default_configENS1_20scan_config_selectorIfEEZZNS1_9scan_implILNS1_25lookback_scan_determinismE0ELb1ELb1ES3_N6thrust23THRUST_200600_302600_NS6detail15normal_iteratorINS9_10device_ptrIjEEEENSB_INSC_IfEEEEfNS9_4plusIvEEfEEDaPvRmT3_T4_T5_mT6_P12ihipStream_tbENKUlT_T0_E_clISt17integral_constantIbLb0EESW_EEDaSR_SS_EUlSR_E0_NS1_11comp_targetILNS1_3genE10ELNS1_11target_archE1200ELNS1_3gpuE4ELNS1_3repE0EEENS1_30default_config_static_selectorELNS0_4arch9wavefront6targetE1EEEvT1_
	.globl	_ZN7rocprim17ROCPRIM_400000_NS6detail17trampoline_kernelINS0_14default_configENS1_20scan_config_selectorIfEEZZNS1_9scan_implILNS1_25lookback_scan_determinismE0ELb1ELb1ES3_N6thrust23THRUST_200600_302600_NS6detail15normal_iteratorINS9_10device_ptrIjEEEENSB_INSC_IfEEEEfNS9_4plusIvEEfEEDaPvRmT3_T4_T5_mT6_P12ihipStream_tbENKUlT_T0_E_clISt17integral_constantIbLb0EESW_EEDaSR_SS_EUlSR_E0_NS1_11comp_targetILNS1_3genE10ELNS1_11target_archE1200ELNS1_3gpuE4ELNS1_3repE0EEENS1_30default_config_static_selectorELNS0_4arch9wavefront6targetE1EEEvT1_
	.p2align	8
	.type	_ZN7rocprim17ROCPRIM_400000_NS6detail17trampoline_kernelINS0_14default_configENS1_20scan_config_selectorIfEEZZNS1_9scan_implILNS1_25lookback_scan_determinismE0ELb1ELb1ES3_N6thrust23THRUST_200600_302600_NS6detail15normal_iteratorINS9_10device_ptrIjEEEENSB_INSC_IfEEEEfNS9_4plusIvEEfEEDaPvRmT3_T4_T5_mT6_P12ihipStream_tbENKUlT_T0_E_clISt17integral_constantIbLb0EESW_EEDaSR_SS_EUlSR_E0_NS1_11comp_targetILNS1_3genE10ELNS1_11target_archE1200ELNS1_3gpuE4ELNS1_3repE0EEENS1_30default_config_static_selectorELNS0_4arch9wavefront6targetE1EEEvT1_,@function
_ZN7rocprim17ROCPRIM_400000_NS6detail17trampoline_kernelINS0_14default_configENS1_20scan_config_selectorIfEEZZNS1_9scan_implILNS1_25lookback_scan_determinismE0ELb1ELb1ES3_N6thrust23THRUST_200600_302600_NS6detail15normal_iteratorINS9_10device_ptrIjEEEENSB_INSC_IfEEEEfNS9_4plusIvEEfEEDaPvRmT3_T4_T5_mT6_P12ihipStream_tbENKUlT_T0_E_clISt17integral_constantIbLb0EESW_EEDaSR_SS_EUlSR_E0_NS1_11comp_targetILNS1_3genE10ELNS1_11target_archE1200ELNS1_3gpuE4ELNS1_3repE0EEENS1_30default_config_static_selectorELNS0_4arch9wavefront6targetE1EEEvT1_: ; @_ZN7rocprim17ROCPRIM_400000_NS6detail17trampoline_kernelINS0_14default_configENS1_20scan_config_selectorIfEEZZNS1_9scan_implILNS1_25lookback_scan_determinismE0ELb1ELb1ES3_N6thrust23THRUST_200600_302600_NS6detail15normal_iteratorINS9_10device_ptrIjEEEENSB_INSC_IfEEEEfNS9_4plusIvEEfEEDaPvRmT3_T4_T5_mT6_P12ihipStream_tbENKUlT_T0_E_clISt17integral_constantIbLb0EESW_EEDaSR_SS_EUlSR_E0_NS1_11comp_targetILNS1_3genE10ELNS1_11target_archE1200ELNS1_3gpuE4ELNS1_3repE0EEENS1_30default_config_static_selectorELNS0_4arch9wavefront6targetE1EEEvT1_
; %bb.0:
	.section	.rodata,"a",@progbits
	.p2align	6, 0x0
	.amdhsa_kernel _ZN7rocprim17ROCPRIM_400000_NS6detail17trampoline_kernelINS0_14default_configENS1_20scan_config_selectorIfEEZZNS1_9scan_implILNS1_25lookback_scan_determinismE0ELb1ELb1ES3_N6thrust23THRUST_200600_302600_NS6detail15normal_iteratorINS9_10device_ptrIjEEEENSB_INSC_IfEEEEfNS9_4plusIvEEfEEDaPvRmT3_T4_T5_mT6_P12ihipStream_tbENKUlT_T0_E_clISt17integral_constantIbLb0EESW_EEDaSR_SS_EUlSR_E0_NS1_11comp_targetILNS1_3genE10ELNS1_11target_archE1200ELNS1_3gpuE4ELNS1_3repE0EEENS1_30default_config_static_selectorELNS0_4arch9wavefront6targetE1EEEvT1_
		.amdhsa_group_segment_fixed_size 0
		.amdhsa_private_segment_fixed_size 0
		.amdhsa_kernarg_size 32
		.amdhsa_user_sgpr_count 6
		.amdhsa_user_sgpr_private_segment_buffer 1
		.amdhsa_user_sgpr_dispatch_ptr 0
		.amdhsa_user_sgpr_queue_ptr 0
		.amdhsa_user_sgpr_kernarg_segment_ptr 1
		.amdhsa_user_sgpr_dispatch_id 0
		.amdhsa_user_sgpr_flat_scratch_init 0
		.amdhsa_user_sgpr_kernarg_preload_length 0
		.amdhsa_user_sgpr_kernarg_preload_offset 0
		.amdhsa_user_sgpr_private_segment_size 0
		.amdhsa_uses_dynamic_stack 0
		.amdhsa_system_sgpr_private_segment_wavefront_offset 0
		.amdhsa_system_sgpr_workgroup_id_x 1
		.amdhsa_system_sgpr_workgroup_id_y 0
		.amdhsa_system_sgpr_workgroup_id_z 0
		.amdhsa_system_sgpr_workgroup_info 0
		.amdhsa_system_vgpr_workitem_id 0
		.amdhsa_next_free_vgpr 1
		.amdhsa_next_free_sgpr 0
		.amdhsa_accum_offset 4
		.amdhsa_reserve_vcc 0
		.amdhsa_reserve_flat_scratch 0
		.amdhsa_float_round_mode_32 0
		.amdhsa_float_round_mode_16_64 0
		.amdhsa_float_denorm_mode_32 3
		.amdhsa_float_denorm_mode_16_64 3
		.amdhsa_dx10_clamp 1
		.amdhsa_ieee_mode 1
		.amdhsa_fp16_overflow 0
		.amdhsa_tg_split 0
		.amdhsa_exception_fp_ieee_invalid_op 0
		.amdhsa_exception_fp_denorm_src 0
		.amdhsa_exception_fp_ieee_div_zero 0
		.amdhsa_exception_fp_ieee_overflow 0
		.amdhsa_exception_fp_ieee_underflow 0
		.amdhsa_exception_fp_ieee_inexact 0
		.amdhsa_exception_int_div_zero 0
	.end_amdhsa_kernel
	.section	.text._ZN7rocprim17ROCPRIM_400000_NS6detail17trampoline_kernelINS0_14default_configENS1_20scan_config_selectorIfEEZZNS1_9scan_implILNS1_25lookback_scan_determinismE0ELb1ELb1ES3_N6thrust23THRUST_200600_302600_NS6detail15normal_iteratorINS9_10device_ptrIjEEEENSB_INSC_IfEEEEfNS9_4plusIvEEfEEDaPvRmT3_T4_T5_mT6_P12ihipStream_tbENKUlT_T0_E_clISt17integral_constantIbLb0EESW_EEDaSR_SS_EUlSR_E0_NS1_11comp_targetILNS1_3genE10ELNS1_11target_archE1200ELNS1_3gpuE4ELNS1_3repE0EEENS1_30default_config_static_selectorELNS0_4arch9wavefront6targetE1EEEvT1_,"axG",@progbits,_ZN7rocprim17ROCPRIM_400000_NS6detail17trampoline_kernelINS0_14default_configENS1_20scan_config_selectorIfEEZZNS1_9scan_implILNS1_25lookback_scan_determinismE0ELb1ELb1ES3_N6thrust23THRUST_200600_302600_NS6detail15normal_iteratorINS9_10device_ptrIjEEEENSB_INSC_IfEEEEfNS9_4plusIvEEfEEDaPvRmT3_T4_T5_mT6_P12ihipStream_tbENKUlT_T0_E_clISt17integral_constantIbLb0EESW_EEDaSR_SS_EUlSR_E0_NS1_11comp_targetILNS1_3genE10ELNS1_11target_archE1200ELNS1_3gpuE4ELNS1_3repE0EEENS1_30default_config_static_selectorELNS0_4arch9wavefront6targetE1EEEvT1_,comdat
.Lfunc_end6103:
	.size	_ZN7rocprim17ROCPRIM_400000_NS6detail17trampoline_kernelINS0_14default_configENS1_20scan_config_selectorIfEEZZNS1_9scan_implILNS1_25lookback_scan_determinismE0ELb1ELb1ES3_N6thrust23THRUST_200600_302600_NS6detail15normal_iteratorINS9_10device_ptrIjEEEENSB_INSC_IfEEEEfNS9_4plusIvEEfEEDaPvRmT3_T4_T5_mT6_P12ihipStream_tbENKUlT_T0_E_clISt17integral_constantIbLb0EESW_EEDaSR_SS_EUlSR_E0_NS1_11comp_targetILNS1_3genE10ELNS1_11target_archE1200ELNS1_3gpuE4ELNS1_3repE0EEENS1_30default_config_static_selectorELNS0_4arch9wavefront6targetE1EEEvT1_, .Lfunc_end6103-_ZN7rocprim17ROCPRIM_400000_NS6detail17trampoline_kernelINS0_14default_configENS1_20scan_config_selectorIfEEZZNS1_9scan_implILNS1_25lookback_scan_determinismE0ELb1ELb1ES3_N6thrust23THRUST_200600_302600_NS6detail15normal_iteratorINS9_10device_ptrIjEEEENSB_INSC_IfEEEEfNS9_4plusIvEEfEEDaPvRmT3_T4_T5_mT6_P12ihipStream_tbENKUlT_T0_E_clISt17integral_constantIbLb0EESW_EEDaSR_SS_EUlSR_E0_NS1_11comp_targetILNS1_3genE10ELNS1_11target_archE1200ELNS1_3gpuE4ELNS1_3repE0EEENS1_30default_config_static_selectorELNS0_4arch9wavefront6targetE1EEEvT1_
                                        ; -- End function
	.section	.AMDGPU.csdata,"",@progbits
; Kernel info:
; codeLenInByte = 0
; NumSgprs: 4
; NumVgprs: 0
; NumAgprs: 0
; TotalNumVgprs: 0
; ScratchSize: 0
; MemoryBound: 0
; FloatMode: 240
; IeeeMode: 1
; LDSByteSize: 0 bytes/workgroup (compile time only)
; SGPRBlocks: 0
; VGPRBlocks: 0
; NumSGPRsForWavesPerEU: 4
; NumVGPRsForWavesPerEU: 1
; AccumOffset: 4
; Occupancy: 8
; WaveLimiterHint : 0
; COMPUTE_PGM_RSRC2:SCRATCH_EN: 0
; COMPUTE_PGM_RSRC2:USER_SGPR: 6
; COMPUTE_PGM_RSRC2:TRAP_HANDLER: 0
; COMPUTE_PGM_RSRC2:TGID_X_EN: 1
; COMPUTE_PGM_RSRC2:TGID_Y_EN: 0
; COMPUTE_PGM_RSRC2:TGID_Z_EN: 0
; COMPUTE_PGM_RSRC2:TIDIG_COMP_CNT: 0
; COMPUTE_PGM_RSRC3_GFX90A:ACCUM_OFFSET: 0
; COMPUTE_PGM_RSRC3_GFX90A:TG_SPLIT: 0
	.section	.text._ZN7rocprim17ROCPRIM_400000_NS6detail17trampoline_kernelINS0_14default_configENS1_20scan_config_selectorIfEEZZNS1_9scan_implILNS1_25lookback_scan_determinismE0ELb1ELb1ES3_N6thrust23THRUST_200600_302600_NS6detail15normal_iteratorINS9_10device_ptrIjEEEENSB_INSC_IfEEEEfNS9_4plusIvEEfEEDaPvRmT3_T4_T5_mT6_P12ihipStream_tbENKUlT_T0_E_clISt17integral_constantIbLb0EESW_EEDaSR_SS_EUlSR_E0_NS1_11comp_targetILNS1_3genE9ELNS1_11target_archE1100ELNS1_3gpuE3ELNS1_3repE0EEENS1_30default_config_static_selectorELNS0_4arch9wavefront6targetE1EEEvT1_,"axG",@progbits,_ZN7rocprim17ROCPRIM_400000_NS6detail17trampoline_kernelINS0_14default_configENS1_20scan_config_selectorIfEEZZNS1_9scan_implILNS1_25lookback_scan_determinismE0ELb1ELb1ES3_N6thrust23THRUST_200600_302600_NS6detail15normal_iteratorINS9_10device_ptrIjEEEENSB_INSC_IfEEEEfNS9_4plusIvEEfEEDaPvRmT3_T4_T5_mT6_P12ihipStream_tbENKUlT_T0_E_clISt17integral_constantIbLb0EESW_EEDaSR_SS_EUlSR_E0_NS1_11comp_targetILNS1_3genE9ELNS1_11target_archE1100ELNS1_3gpuE3ELNS1_3repE0EEENS1_30default_config_static_selectorELNS0_4arch9wavefront6targetE1EEEvT1_,comdat
	.protected	_ZN7rocprim17ROCPRIM_400000_NS6detail17trampoline_kernelINS0_14default_configENS1_20scan_config_selectorIfEEZZNS1_9scan_implILNS1_25lookback_scan_determinismE0ELb1ELb1ES3_N6thrust23THRUST_200600_302600_NS6detail15normal_iteratorINS9_10device_ptrIjEEEENSB_INSC_IfEEEEfNS9_4plusIvEEfEEDaPvRmT3_T4_T5_mT6_P12ihipStream_tbENKUlT_T0_E_clISt17integral_constantIbLb0EESW_EEDaSR_SS_EUlSR_E0_NS1_11comp_targetILNS1_3genE9ELNS1_11target_archE1100ELNS1_3gpuE3ELNS1_3repE0EEENS1_30default_config_static_selectorELNS0_4arch9wavefront6targetE1EEEvT1_ ; -- Begin function _ZN7rocprim17ROCPRIM_400000_NS6detail17trampoline_kernelINS0_14default_configENS1_20scan_config_selectorIfEEZZNS1_9scan_implILNS1_25lookback_scan_determinismE0ELb1ELb1ES3_N6thrust23THRUST_200600_302600_NS6detail15normal_iteratorINS9_10device_ptrIjEEEENSB_INSC_IfEEEEfNS9_4plusIvEEfEEDaPvRmT3_T4_T5_mT6_P12ihipStream_tbENKUlT_T0_E_clISt17integral_constantIbLb0EESW_EEDaSR_SS_EUlSR_E0_NS1_11comp_targetILNS1_3genE9ELNS1_11target_archE1100ELNS1_3gpuE3ELNS1_3repE0EEENS1_30default_config_static_selectorELNS0_4arch9wavefront6targetE1EEEvT1_
	.globl	_ZN7rocprim17ROCPRIM_400000_NS6detail17trampoline_kernelINS0_14default_configENS1_20scan_config_selectorIfEEZZNS1_9scan_implILNS1_25lookback_scan_determinismE0ELb1ELb1ES3_N6thrust23THRUST_200600_302600_NS6detail15normal_iteratorINS9_10device_ptrIjEEEENSB_INSC_IfEEEEfNS9_4plusIvEEfEEDaPvRmT3_T4_T5_mT6_P12ihipStream_tbENKUlT_T0_E_clISt17integral_constantIbLb0EESW_EEDaSR_SS_EUlSR_E0_NS1_11comp_targetILNS1_3genE9ELNS1_11target_archE1100ELNS1_3gpuE3ELNS1_3repE0EEENS1_30default_config_static_selectorELNS0_4arch9wavefront6targetE1EEEvT1_
	.p2align	8
	.type	_ZN7rocprim17ROCPRIM_400000_NS6detail17trampoline_kernelINS0_14default_configENS1_20scan_config_selectorIfEEZZNS1_9scan_implILNS1_25lookback_scan_determinismE0ELb1ELb1ES3_N6thrust23THRUST_200600_302600_NS6detail15normal_iteratorINS9_10device_ptrIjEEEENSB_INSC_IfEEEEfNS9_4plusIvEEfEEDaPvRmT3_T4_T5_mT6_P12ihipStream_tbENKUlT_T0_E_clISt17integral_constantIbLb0EESW_EEDaSR_SS_EUlSR_E0_NS1_11comp_targetILNS1_3genE9ELNS1_11target_archE1100ELNS1_3gpuE3ELNS1_3repE0EEENS1_30default_config_static_selectorELNS0_4arch9wavefront6targetE1EEEvT1_,@function
_ZN7rocprim17ROCPRIM_400000_NS6detail17trampoline_kernelINS0_14default_configENS1_20scan_config_selectorIfEEZZNS1_9scan_implILNS1_25lookback_scan_determinismE0ELb1ELb1ES3_N6thrust23THRUST_200600_302600_NS6detail15normal_iteratorINS9_10device_ptrIjEEEENSB_INSC_IfEEEEfNS9_4plusIvEEfEEDaPvRmT3_T4_T5_mT6_P12ihipStream_tbENKUlT_T0_E_clISt17integral_constantIbLb0EESW_EEDaSR_SS_EUlSR_E0_NS1_11comp_targetILNS1_3genE9ELNS1_11target_archE1100ELNS1_3gpuE3ELNS1_3repE0EEENS1_30default_config_static_selectorELNS0_4arch9wavefront6targetE1EEEvT1_: ; @_ZN7rocprim17ROCPRIM_400000_NS6detail17trampoline_kernelINS0_14default_configENS1_20scan_config_selectorIfEEZZNS1_9scan_implILNS1_25lookback_scan_determinismE0ELb1ELb1ES3_N6thrust23THRUST_200600_302600_NS6detail15normal_iteratorINS9_10device_ptrIjEEEENSB_INSC_IfEEEEfNS9_4plusIvEEfEEDaPvRmT3_T4_T5_mT6_P12ihipStream_tbENKUlT_T0_E_clISt17integral_constantIbLb0EESW_EEDaSR_SS_EUlSR_E0_NS1_11comp_targetILNS1_3genE9ELNS1_11target_archE1100ELNS1_3gpuE3ELNS1_3repE0EEENS1_30default_config_static_selectorELNS0_4arch9wavefront6targetE1EEEvT1_
; %bb.0:
	.section	.rodata,"a",@progbits
	.p2align	6, 0x0
	.amdhsa_kernel _ZN7rocprim17ROCPRIM_400000_NS6detail17trampoline_kernelINS0_14default_configENS1_20scan_config_selectorIfEEZZNS1_9scan_implILNS1_25lookback_scan_determinismE0ELb1ELb1ES3_N6thrust23THRUST_200600_302600_NS6detail15normal_iteratorINS9_10device_ptrIjEEEENSB_INSC_IfEEEEfNS9_4plusIvEEfEEDaPvRmT3_T4_T5_mT6_P12ihipStream_tbENKUlT_T0_E_clISt17integral_constantIbLb0EESW_EEDaSR_SS_EUlSR_E0_NS1_11comp_targetILNS1_3genE9ELNS1_11target_archE1100ELNS1_3gpuE3ELNS1_3repE0EEENS1_30default_config_static_selectorELNS0_4arch9wavefront6targetE1EEEvT1_
		.amdhsa_group_segment_fixed_size 0
		.amdhsa_private_segment_fixed_size 0
		.amdhsa_kernarg_size 32
		.amdhsa_user_sgpr_count 6
		.amdhsa_user_sgpr_private_segment_buffer 1
		.amdhsa_user_sgpr_dispatch_ptr 0
		.amdhsa_user_sgpr_queue_ptr 0
		.amdhsa_user_sgpr_kernarg_segment_ptr 1
		.amdhsa_user_sgpr_dispatch_id 0
		.amdhsa_user_sgpr_flat_scratch_init 0
		.amdhsa_user_sgpr_kernarg_preload_length 0
		.amdhsa_user_sgpr_kernarg_preload_offset 0
		.amdhsa_user_sgpr_private_segment_size 0
		.amdhsa_uses_dynamic_stack 0
		.amdhsa_system_sgpr_private_segment_wavefront_offset 0
		.amdhsa_system_sgpr_workgroup_id_x 1
		.amdhsa_system_sgpr_workgroup_id_y 0
		.amdhsa_system_sgpr_workgroup_id_z 0
		.amdhsa_system_sgpr_workgroup_info 0
		.amdhsa_system_vgpr_workitem_id 0
		.amdhsa_next_free_vgpr 1
		.amdhsa_next_free_sgpr 0
		.amdhsa_accum_offset 4
		.amdhsa_reserve_vcc 0
		.amdhsa_reserve_flat_scratch 0
		.amdhsa_float_round_mode_32 0
		.amdhsa_float_round_mode_16_64 0
		.amdhsa_float_denorm_mode_32 3
		.amdhsa_float_denorm_mode_16_64 3
		.amdhsa_dx10_clamp 1
		.amdhsa_ieee_mode 1
		.amdhsa_fp16_overflow 0
		.amdhsa_tg_split 0
		.amdhsa_exception_fp_ieee_invalid_op 0
		.amdhsa_exception_fp_denorm_src 0
		.amdhsa_exception_fp_ieee_div_zero 0
		.amdhsa_exception_fp_ieee_overflow 0
		.amdhsa_exception_fp_ieee_underflow 0
		.amdhsa_exception_fp_ieee_inexact 0
		.amdhsa_exception_int_div_zero 0
	.end_amdhsa_kernel
	.section	.text._ZN7rocprim17ROCPRIM_400000_NS6detail17trampoline_kernelINS0_14default_configENS1_20scan_config_selectorIfEEZZNS1_9scan_implILNS1_25lookback_scan_determinismE0ELb1ELb1ES3_N6thrust23THRUST_200600_302600_NS6detail15normal_iteratorINS9_10device_ptrIjEEEENSB_INSC_IfEEEEfNS9_4plusIvEEfEEDaPvRmT3_T4_T5_mT6_P12ihipStream_tbENKUlT_T0_E_clISt17integral_constantIbLb0EESW_EEDaSR_SS_EUlSR_E0_NS1_11comp_targetILNS1_3genE9ELNS1_11target_archE1100ELNS1_3gpuE3ELNS1_3repE0EEENS1_30default_config_static_selectorELNS0_4arch9wavefront6targetE1EEEvT1_,"axG",@progbits,_ZN7rocprim17ROCPRIM_400000_NS6detail17trampoline_kernelINS0_14default_configENS1_20scan_config_selectorIfEEZZNS1_9scan_implILNS1_25lookback_scan_determinismE0ELb1ELb1ES3_N6thrust23THRUST_200600_302600_NS6detail15normal_iteratorINS9_10device_ptrIjEEEENSB_INSC_IfEEEEfNS9_4plusIvEEfEEDaPvRmT3_T4_T5_mT6_P12ihipStream_tbENKUlT_T0_E_clISt17integral_constantIbLb0EESW_EEDaSR_SS_EUlSR_E0_NS1_11comp_targetILNS1_3genE9ELNS1_11target_archE1100ELNS1_3gpuE3ELNS1_3repE0EEENS1_30default_config_static_selectorELNS0_4arch9wavefront6targetE1EEEvT1_,comdat
.Lfunc_end6104:
	.size	_ZN7rocprim17ROCPRIM_400000_NS6detail17trampoline_kernelINS0_14default_configENS1_20scan_config_selectorIfEEZZNS1_9scan_implILNS1_25lookback_scan_determinismE0ELb1ELb1ES3_N6thrust23THRUST_200600_302600_NS6detail15normal_iteratorINS9_10device_ptrIjEEEENSB_INSC_IfEEEEfNS9_4plusIvEEfEEDaPvRmT3_T4_T5_mT6_P12ihipStream_tbENKUlT_T0_E_clISt17integral_constantIbLb0EESW_EEDaSR_SS_EUlSR_E0_NS1_11comp_targetILNS1_3genE9ELNS1_11target_archE1100ELNS1_3gpuE3ELNS1_3repE0EEENS1_30default_config_static_selectorELNS0_4arch9wavefront6targetE1EEEvT1_, .Lfunc_end6104-_ZN7rocprim17ROCPRIM_400000_NS6detail17trampoline_kernelINS0_14default_configENS1_20scan_config_selectorIfEEZZNS1_9scan_implILNS1_25lookback_scan_determinismE0ELb1ELb1ES3_N6thrust23THRUST_200600_302600_NS6detail15normal_iteratorINS9_10device_ptrIjEEEENSB_INSC_IfEEEEfNS9_4plusIvEEfEEDaPvRmT3_T4_T5_mT6_P12ihipStream_tbENKUlT_T0_E_clISt17integral_constantIbLb0EESW_EEDaSR_SS_EUlSR_E0_NS1_11comp_targetILNS1_3genE9ELNS1_11target_archE1100ELNS1_3gpuE3ELNS1_3repE0EEENS1_30default_config_static_selectorELNS0_4arch9wavefront6targetE1EEEvT1_
                                        ; -- End function
	.section	.AMDGPU.csdata,"",@progbits
; Kernel info:
; codeLenInByte = 0
; NumSgprs: 4
; NumVgprs: 0
; NumAgprs: 0
; TotalNumVgprs: 0
; ScratchSize: 0
; MemoryBound: 0
; FloatMode: 240
; IeeeMode: 1
; LDSByteSize: 0 bytes/workgroup (compile time only)
; SGPRBlocks: 0
; VGPRBlocks: 0
; NumSGPRsForWavesPerEU: 4
; NumVGPRsForWavesPerEU: 1
; AccumOffset: 4
; Occupancy: 8
; WaveLimiterHint : 0
; COMPUTE_PGM_RSRC2:SCRATCH_EN: 0
; COMPUTE_PGM_RSRC2:USER_SGPR: 6
; COMPUTE_PGM_RSRC2:TRAP_HANDLER: 0
; COMPUTE_PGM_RSRC2:TGID_X_EN: 1
; COMPUTE_PGM_RSRC2:TGID_Y_EN: 0
; COMPUTE_PGM_RSRC2:TGID_Z_EN: 0
; COMPUTE_PGM_RSRC2:TIDIG_COMP_CNT: 0
; COMPUTE_PGM_RSRC3_GFX90A:ACCUM_OFFSET: 0
; COMPUTE_PGM_RSRC3_GFX90A:TG_SPLIT: 0
	.section	.text._ZN7rocprim17ROCPRIM_400000_NS6detail17trampoline_kernelINS0_14default_configENS1_20scan_config_selectorIfEEZZNS1_9scan_implILNS1_25lookback_scan_determinismE0ELb1ELb1ES3_N6thrust23THRUST_200600_302600_NS6detail15normal_iteratorINS9_10device_ptrIjEEEENSB_INSC_IfEEEEfNS9_4plusIvEEfEEDaPvRmT3_T4_T5_mT6_P12ihipStream_tbENKUlT_T0_E_clISt17integral_constantIbLb0EESW_EEDaSR_SS_EUlSR_E0_NS1_11comp_targetILNS1_3genE8ELNS1_11target_archE1030ELNS1_3gpuE2ELNS1_3repE0EEENS1_30default_config_static_selectorELNS0_4arch9wavefront6targetE1EEEvT1_,"axG",@progbits,_ZN7rocprim17ROCPRIM_400000_NS6detail17trampoline_kernelINS0_14default_configENS1_20scan_config_selectorIfEEZZNS1_9scan_implILNS1_25lookback_scan_determinismE0ELb1ELb1ES3_N6thrust23THRUST_200600_302600_NS6detail15normal_iteratorINS9_10device_ptrIjEEEENSB_INSC_IfEEEEfNS9_4plusIvEEfEEDaPvRmT3_T4_T5_mT6_P12ihipStream_tbENKUlT_T0_E_clISt17integral_constantIbLb0EESW_EEDaSR_SS_EUlSR_E0_NS1_11comp_targetILNS1_3genE8ELNS1_11target_archE1030ELNS1_3gpuE2ELNS1_3repE0EEENS1_30default_config_static_selectorELNS0_4arch9wavefront6targetE1EEEvT1_,comdat
	.protected	_ZN7rocprim17ROCPRIM_400000_NS6detail17trampoline_kernelINS0_14default_configENS1_20scan_config_selectorIfEEZZNS1_9scan_implILNS1_25lookback_scan_determinismE0ELb1ELb1ES3_N6thrust23THRUST_200600_302600_NS6detail15normal_iteratorINS9_10device_ptrIjEEEENSB_INSC_IfEEEEfNS9_4plusIvEEfEEDaPvRmT3_T4_T5_mT6_P12ihipStream_tbENKUlT_T0_E_clISt17integral_constantIbLb0EESW_EEDaSR_SS_EUlSR_E0_NS1_11comp_targetILNS1_3genE8ELNS1_11target_archE1030ELNS1_3gpuE2ELNS1_3repE0EEENS1_30default_config_static_selectorELNS0_4arch9wavefront6targetE1EEEvT1_ ; -- Begin function _ZN7rocprim17ROCPRIM_400000_NS6detail17trampoline_kernelINS0_14default_configENS1_20scan_config_selectorIfEEZZNS1_9scan_implILNS1_25lookback_scan_determinismE0ELb1ELb1ES3_N6thrust23THRUST_200600_302600_NS6detail15normal_iteratorINS9_10device_ptrIjEEEENSB_INSC_IfEEEEfNS9_4plusIvEEfEEDaPvRmT3_T4_T5_mT6_P12ihipStream_tbENKUlT_T0_E_clISt17integral_constantIbLb0EESW_EEDaSR_SS_EUlSR_E0_NS1_11comp_targetILNS1_3genE8ELNS1_11target_archE1030ELNS1_3gpuE2ELNS1_3repE0EEENS1_30default_config_static_selectorELNS0_4arch9wavefront6targetE1EEEvT1_
	.globl	_ZN7rocprim17ROCPRIM_400000_NS6detail17trampoline_kernelINS0_14default_configENS1_20scan_config_selectorIfEEZZNS1_9scan_implILNS1_25lookback_scan_determinismE0ELb1ELb1ES3_N6thrust23THRUST_200600_302600_NS6detail15normal_iteratorINS9_10device_ptrIjEEEENSB_INSC_IfEEEEfNS9_4plusIvEEfEEDaPvRmT3_T4_T5_mT6_P12ihipStream_tbENKUlT_T0_E_clISt17integral_constantIbLb0EESW_EEDaSR_SS_EUlSR_E0_NS1_11comp_targetILNS1_3genE8ELNS1_11target_archE1030ELNS1_3gpuE2ELNS1_3repE0EEENS1_30default_config_static_selectorELNS0_4arch9wavefront6targetE1EEEvT1_
	.p2align	8
	.type	_ZN7rocprim17ROCPRIM_400000_NS6detail17trampoline_kernelINS0_14default_configENS1_20scan_config_selectorIfEEZZNS1_9scan_implILNS1_25lookback_scan_determinismE0ELb1ELb1ES3_N6thrust23THRUST_200600_302600_NS6detail15normal_iteratorINS9_10device_ptrIjEEEENSB_INSC_IfEEEEfNS9_4plusIvEEfEEDaPvRmT3_T4_T5_mT6_P12ihipStream_tbENKUlT_T0_E_clISt17integral_constantIbLb0EESW_EEDaSR_SS_EUlSR_E0_NS1_11comp_targetILNS1_3genE8ELNS1_11target_archE1030ELNS1_3gpuE2ELNS1_3repE0EEENS1_30default_config_static_selectorELNS0_4arch9wavefront6targetE1EEEvT1_,@function
_ZN7rocprim17ROCPRIM_400000_NS6detail17trampoline_kernelINS0_14default_configENS1_20scan_config_selectorIfEEZZNS1_9scan_implILNS1_25lookback_scan_determinismE0ELb1ELb1ES3_N6thrust23THRUST_200600_302600_NS6detail15normal_iteratorINS9_10device_ptrIjEEEENSB_INSC_IfEEEEfNS9_4plusIvEEfEEDaPvRmT3_T4_T5_mT6_P12ihipStream_tbENKUlT_T0_E_clISt17integral_constantIbLb0EESW_EEDaSR_SS_EUlSR_E0_NS1_11comp_targetILNS1_3genE8ELNS1_11target_archE1030ELNS1_3gpuE2ELNS1_3repE0EEENS1_30default_config_static_selectorELNS0_4arch9wavefront6targetE1EEEvT1_: ; @_ZN7rocprim17ROCPRIM_400000_NS6detail17trampoline_kernelINS0_14default_configENS1_20scan_config_selectorIfEEZZNS1_9scan_implILNS1_25lookback_scan_determinismE0ELb1ELb1ES3_N6thrust23THRUST_200600_302600_NS6detail15normal_iteratorINS9_10device_ptrIjEEEENSB_INSC_IfEEEEfNS9_4plusIvEEfEEDaPvRmT3_T4_T5_mT6_P12ihipStream_tbENKUlT_T0_E_clISt17integral_constantIbLb0EESW_EEDaSR_SS_EUlSR_E0_NS1_11comp_targetILNS1_3genE8ELNS1_11target_archE1030ELNS1_3gpuE2ELNS1_3repE0EEENS1_30default_config_static_selectorELNS0_4arch9wavefront6targetE1EEEvT1_
; %bb.0:
	.section	.rodata,"a",@progbits
	.p2align	6, 0x0
	.amdhsa_kernel _ZN7rocprim17ROCPRIM_400000_NS6detail17trampoline_kernelINS0_14default_configENS1_20scan_config_selectorIfEEZZNS1_9scan_implILNS1_25lookback_scan_determinismE0ELb1ELb1ES3_N6thrust23THRUST_200600_302600_NS6detail15normal_iteratorINS9_10device_ptrIjEEEENSB_INSC_IfEEEEfNS9_4plusIvEEfEEDaPvRmT3_T4_T5_mT6_P12ihipStream_tbENKUlT_T0_E_clISt17integral_constantIbLb0EESW_EEDaSR_SS_EUlSR_E0_NS1_11comp_targetILNS1_3genE8ELNS1_11target_archE1030ELNS1_3gpuE2ELNS1_3repE0EEENS1_30default_config_static_selectorELNS0_4arch9wavefront6targetE1EEEvT1_
		.amdhsa_group_segment_fixed_size 0
		.amdhsa_private_segment_fixed_size 0
		.amdhsa_kernarg_size 32
		.amdhsa_user_sgpr_count 6
		.amdhsa_user_sgpr_private_segment_buffer 1
		.amdhsa_user_sgpr_dispatch_ptr 0
		.amdhsa_user_sgpr_queue_ptr 0
		.amdhsa_user_sgpr_kernarg_segment_ptr 1
		.amdhsa_user_sgpr_dispatch_id 0
		.amdhsa_user_sgpr_flat_scratch_init 0
		.amdhsa_user_sgpr_kernarg_preload_length 0
		.amdhsa_user_sgpr_kernarg_preload_offset 0
		.amdhsa_user_sgpr_private_segment_size 0
		.amdhsa_uses_dynamic_stack 0
		.amdhsa_system_sgpr_private_segment_wavefront_offset 0
		.amdhsa_system_sgpr_workgroup_id_x 1
		.amdhsa_system_sgpr_workgroup_id_y 0
		.amdhsa_system_sgpr_workgroup_id_z 0
		.amdhsa_system_sgpr_workgroup_info 0
		.amdhsa_system_vgpr_workitem_id 0
		.amdhsa_next_free_vgpr 1
		.amdhsa_next_free_sgpr 0
		.amdhsa_accum_offset 4
		.amdhsa_reserve_vcc 0
		.amdhsa_reserve_flat_scratch 0
		.amdhsa_float_round_mode_32 0
		.amdhsa_float_round_mode_16_64 0
		.amdhsa_float_denorm_mode_32 3
		.amdhsa_float_denorm_mode_16_64 3
		.amdhsa_dx10_clamp 1
		.amdhsa_ieee_mode 1
		.amdhsa_fp16_overflow 0
		.amdhsa_tg_split 0
		.amdhsa_exception_fp_ieee_invalid_op 0
		.amdhsa_exception_fp_denorm_src 0
		.amdhsa_exception_fp_ieee_div_zero 0
		.amdhsa_exception_fp_ieee_overflow 0
		.amdhsa_exception_fp_ieee_underflow 0
		.amdhsa_exception_fp_ieee_inexact 0
		.amdhsa_exception_int_div_zero 0
	.end_amdhsa_kernel
	.section	.text._ZN7rocprim17ROCPRIM_400000_NS6detail17trampoline_kernelINS0_14default_configENS1_20scan_config_selectorIfEEZZNS1_9scan_implILNS1_25lookback_scan_determinismE0ELb1ELb1ES3_N6thrust23THRUST_200600_302600_NS6detail15normal_iteratorINS9_10device_ptrIjEEEENSB_INSC_IfEEEEfNS9_4plusIvEEfEEDaPvRmT3_T4_T5_mT6_P12ihipStream_tbENKUlT_T0_E_clISt17integral_constantIbLb0EESW_EEDaSR_SS_EUlSR_E0_NS1_11comp_targetILNS1_3genE8ELNS1_11target_archE1030ELNS1_3gpuE2ELNS1_3repE0EEENS1_30default_config_static_selectorELNS0_4arch9wavefront6targetE1EEEvT1_,"axG",@progbits,_ZN7rocprim17ROCPRIM_400000_NS6detail17trampoline_kernelINS0_14default_configENS1_20scan_config_selectorIfEEZZNS1_9scan_implILNS1_25lookback_scan_determinismE0ELb1ELb1ES3_N6thrust23THRUST_200600_302600_NS6detail15normal_iteratorINS9_10device_ptrIjEEEENSB_INSC_IfEEEEfNS9_4plusIvEEfEEDaPvRmT3_T4_T5_mT6_P12ihipStream_tbENKUlT_T0_E_clISt17integral_constantIbLb0EESW_EEDaSR_SS_EUlSR_E0_NS1_11comp_targetILNS1_3genE8ELNS1_11target_archE1030ELNS1_3gpuE2ELNS1_3repE0EEENS1_30default_config_static_selectorELNS0_4arch9wavefront6targetE1EEEvT1_,comdat
.Lfunc_end6105:
	.size	_ZN7rocprim17ROCPRIM_400000_NS6detail17trampoline_kernelINS0_14default_configENS1_20scan_config_selectorIfEEZZNS1_9scan_implILNS1_25lookback_scan_determinismE0ELb1ELb1ES3_N6thrust23THRUST_200600_302600_NS6detail15normal_iteratorINS9_10device_ptrIjEEEENSB_INSC_IfEEEEfNS9_4plusIvEEfEEDaPvRmT3_T4_T5_mT6_P12ihipStream_tbENKUlT_T0_E_clISt17integral_constantIbLb0EESW_EEDaSR_SS_EUlSR_E0_NS1_11comp_targetILNS1_3genE8ELNS1_11target_archE1030ELNS1_3gpuE2ELNS1_3repE0EEENS1_30default_config_static_selectorELNS0_4arch9wavefront6targetE1EEEvT1_, .Lfunc_end6105-_ZN7rocprim17ROCPRIM_400000_NS6detail17trampoline_kernelINS0_14default_configENS1_20scan_config_selectorIfEEZZNS1_9scan_implILNS1_25lookback_scan_determinismE0ELb1ELb1ES3_N6thrust23THRUST_200600_302600_NS6detail15normal_iteratorINS9_10device_ptrIjEEEENSB_INSC_IfEEEEfNS9_4plusIvEEfEEDaPvRmT3_T4_T5_mT6_P12ihipStream_tbENKUlT_T0_E_clISt17integral_constantIbLb0EESW_EEDaSR_SS_EUlSR_E0_NS1_11comp_targetILNS1_3genE8ELNS1_11target_archE1030ELNS1_3gpuE2ELNS1_3repE0EEENS1_30default_config_static_selectorELNS0_4arch9wavefront6targetE1EEEvT1_
                                        ; -- End function
	.section	.AMDGPU.csdata,"",@progbits
; Kernel info:
; codeLenInByte = 0
; NumSgprs: 4
; NumVgprs: 0
; NumAgprs: 0
; TotalNumVgprs: 0
; ScratchSize: 0
; MemoryBound: 0
; FloatMode: 240
; IeeeMode: 1
; LDSByteSize: 0 bytes/workgroup (compile time only)
; SGPRBlocks: 0
; VGPRBlocks: 0
; NumSGPRsForWavesPerEU: 4
; NumVGPRsForWavesPerEU: 1
; AccumOffset: 4
; Occupancy: 8
; WaveLimiterHint : 0
; COMPUTE_PGM_RSRC2:SCRATCH_EN: 0
; COMPUTE_PGM_RSRC2:USER_SGPR: 6
; COMPUTE_PGM_RSRC2:TRAP_HANDLER: 0
; COMPUTE_PGM_RSRC2:TGID_X_EN: 1
; COMPUTE_PGM_RSRC2:TGID_Y_EN: 0
; COMPUTE_PGM_RSRC2:TGID_Z_EN: 0
; COMPUTE_PGM_RSRC2:TIDIG_COMP_CNT: 0
; COMPUTE_PGM_RSRC3_GFX90A:ACCUM_OFFSET: 0
; COMPUTE_PGM_RSRC3_GFX90A:TG_SPLIT: 0
	.section	.text._ZN7rocprim17ROCPRIM_400000_NS6detail17trampoline_kernelINS0_14default_configENS1_20scan_config_selectorIfEEZZNS1_9scan_implILNS1_25lookback_scan_determinismE0ELb1ELb1ES3_N6thrust23THRUST_200600_302600_NS6detail15normal_iteratorINS9_10device_ptrIjEEEENSB_INSC_IfEEEEfNS9_4plusIvEEfEEDaPvRmT3_T4_T5_mT6_P12ihipStream_tbENKUlT_T0_E_clISt17integral_constantIbLb1EESW_EEDaSR_SS_EUlSR_E_NS1_11comp_targetILNS1_3genE0ELNS1_11target_archE4294967295ELNS1_3gpuE0ELNS1_3repE0EEENS1_30default_config_static_selectorELNS0_4arch9wavefront6targetE1EEEvT1_,"axG",@progbits,_ZN7rocprim17ROCPRIM_400000_NS6detail17trampoline_kernelINS0_14default_configENS1_20scan_config_selectorIfEEZZNS1_9scan_implILNS1_25lookback_scan_determinismE0ELb1ELb1ES3_N6thrust23THRUST_200600_302600_NS6detail15normal_iteratorINS9_10device_ptrIjEEEENSB_INSC_IfEEEEfNS9_4plusIvEEfEEDaPvRmT3_T4_T5_mT6_P12ihipStream_tbENKUlT_T0_E_clISt17integral_constantIbLb1EESW_EEDaSR_SS_EUlSR_E_NS1_11comp_targetILNS1_3genE0ELNS1_11target_archE4294967295ELNS1_3gpuE0ELNS1_3repE0EEENS1_30default_config_static_selectorELNS0_4arch9wavefront6targetE1EEEvT1_,comdat
	.protected	_ZN7rocprim17ROCPRIM_400000_NS6detail17trampoline_kernelINS0_14default_configENS1_20scan_config_selectorIfEEZZNS1_9scan_implILNS1_25lookback_scan_determinismE0ELb1ELb1ES3_N6thrust23THRUST_200600_302600_NS6detail15normal_iteratorINS9_10device_ptrIjEEEENSB_INSC_IfEEEEfNS9_4plusIvEEfEEDaPvRmT3_T4_T5_mT6_P12ihipStream_tbENKUlT_T0_E_clISt17integral_constantIbLb1EESW_EEDaSR_SS_EUlSR_E_NS1_11comp_targetILNS1_3genE0ELNS1_11target_archE4294967295ELNS1_3gpuE0ELNS1_3repE0EEENS1_30default_config_static_selectorELNS0_4arch9wavefront6targetE1EEEvT1_ ; -- Begin function _ZN7rocprim17ROCPRIM_400000_NS6detail17trampoline_kernelINS0_14default_configENS1_20scan_config_selectorIfEEZZNS1_9scan_implILNS1_25lookback_scan_determinismE0ELb1ELb1ES3_N6thrust23THRUST_200600_302600_NS6detail15normal_iteratorINS9_10device_ptrIjEEEENSB_INSC_IfEEEEfNS9_4plusIvEEfEEDaPvRmT3_T4_T5_mT6_P12ihipStream_tbENKUlT_T0_E_clISt17integral_constantIbLb1EESW_EEDaSR_SS_EUlSR_E_NS1_11comp_targetILNS1_3genE0ELNS1_11target_archE4294967295ELNS1_3gpuE0ELNS1_3repE0EEENS1_30default_config_static_selectorELNS0_4arch9wavefront6targetE1EEEvT1_
	.globl	_ZN7rocprim17ROCPRIM_400000_NS6detail17trampoline_kernelINS0_14default_configENS1_20scan_config_selectorIfEEZZNS1_9scan_implILNS1_25lookback_scan_determinismE0ELb1ELb1ES3_N6thrust23THRUST_200600_302600_NS6detail15normal_iteratorINS9_10device_ptrIjEEEENSB_INSC_IfEEEEfNS9_4plusIvEEfEEDaPvRmT3_T4_T5_mT6_P12ihipStream_tbENKUlT_T0_E_clISt17integral_constantIbLb1EESW_EEDaSR_SS_EUlSR_E_NS1_11comp_targetILNS1_3genE0ELNS1_11target_archE4294967295ELNS1_3gpuE0ELNS1_3repE0EEENS1_30default_config_static_selectorELNS0_4arch9wavefront6targetE1EEEvT1_
	.p2align	8
	.type	_ZN7rocprim17ROCPRIM_400000_NS6detail17trampoline_kernelINS0_14default_configENS1_20scan_config_selectorIfEEZZNS1_9scan_implILNS1_25lookback_scan_determinismE0ELb1ELb1ES3_N6thrust23THRUST_200600_302600_NS6detail15normal_iteratorINS9_10device_ptrIjEEEENSB_INSC_IfEEEEfNS9_4plusIvEEfEEDaPvRmT3_T4_T5_mT6_P12ihipStream_tbENKUlT_T0_E_clISt17integral_constantIbLb1EESW_EEDaSR_SS_EUlSR_E_NS1_11comp_targetILNS1_3genE0ELNS1_11target_archE4294967295ELNS1_3gpuE0ELNS1_3repE0EEENS1_30default_config_static_selectorELNS0_4arch9wavefront6targetE1EEEvT1_,@function
_ZN7rocprim17ROCPRIM_400000_NS6detail17trampoline_kernelINS0_14default_configENS1_20scan_config_selectorIfEEZZNS1_9scan_implILNS1_25lookback_scan_determinismE0ELb1ELb1ES3_N6thrust23THRUST_200600_302600_NS6detail15normal_iteratorINS9_10device_ptrIjEEEENSB_INSC_IfEEEEfNS9_4plusIvEEfEEDaPvRmT3_T4_T5_mT6_P12ihipStream_tbENKUlT_T0_E_clISt17integral_constantIbLb1EESW_EEDaSR_SS_EUlSR_E_NS1_11comp_targetILNS1_3genE0ELNS1_11target_archE4294967295ELNS1_3gpuE0ELNS1_3repE0EEENS1_30default_config_static_selectorELNS0_4arch9wavefront6targetE1EEEvT1_: ; @_ZN7rocprim17ROCPRIM_400000_NS6detail17trampoline_kernelINS0_14default_configENS1_20scan_config_selectorIfEEZZNS1_9scan_implILNS1_25lookback_scan_determinismE0ELb1ELb1ES3_N6thrust23THRUST_200600_302600_NS6detail15normal_iteratorINS9_10device_ptrIjEEEENSB_INSC_IfEEEEfNS9_4plusIvEEfEEDaPvRmT3_T4_T5_mT6_P12ihipStream_tbENKUlT_T0_E_clISt17integral_constantIbLb1EESW_EEDaSR_SS_EUlSR_E_NS1_11comp_targetILNS1_3genE0ELNS1_11target_archE4294967295ELNS1_3gpuE0ELNS1_3repE0EEENS1_30default_config_static_selectorELNS0_4arch9wavefront6targetE1EEEvT1_
; %bb.0:
	.section	.rodata,"a",@progbits
	.p2align	6, 0x0
	.amdhsa_kernel _ZN7rocprim17ROCPRIM_400000_NS6detail17trampoline_kernelINS0_14default_configENS1_20scan_config_selectorIfEEZZNS1_9scan_implILNS1_25lookback_scan_determinismE0ELb1ELb1ES3_N6thrust23THRUST_200600_302600_NS6detail15normal_iteratorINS9_10device_ptrIjEEEENSB_INSC_IfEEEEfNS9_4plusIvEEfEEDaPvRmT3_T4_T5_mT6_P12ihipStream_tbENKUlT_T0_E_clISt17integral_constantIbLb1EESW_EEDaSR_SS_EUlSR_E_NS1_11comp_targetILNS1_3genE0ELNS1_11target_archE4294967295ELNS1_3gpuE0ELNS1_3repE0EEENS1_30default_config_static_selectorELNS0_4arch9wavefront6targetE1EEEvT1_
		.amdhsa_group_segment_fixed_size 0
		.amdhsa_private_segment_fixed_size 0
		.amdhsa_kernarg_size 96
		.amdhsa_user_sgpr_count 6
		.amdhsa_user_sgpr_private_segment_buffer 1
		.amdhsa_user_sgpr_dispatch_ptr 0
		.amdhsa_user_sgpr_queue_ptr 0
		.amdhsa_user_sgpr_kernarg_segment_ptr 1
		.amdhsa_user_sgpr_dispatch_id 0
		.amdhsa_user_sgpr_flat_scratch_init 0
		.amdhsa_user_sgpr_kernarg_preload_length 0
		.amdhsa_user_sgpr_kernarg_preload_offset 0
		.amdhsa_user_sgpr_private_segment_size 0
		.amdhsa_uses_dynamic_stack 0
		.amdhsa_system_sgpr_private_segment_wavefront_offset 0
		.amdhsa_system_sgpr_workgroup_id_x 1
		.amdhsa_system_sgpr_workgroup_id_y 0
		.amdhsa_system_sgpr_workgroup_id_z 0
		.amdhsa_system_sgpr_workgroup_info 0
		.amdhsa_system_vgpr_workitem_id 0
		.amdhsa_next_free_vgpr 1
		.amdhsa_next_free_sgpr 0
		.amdhsa_accum_offset 4
		.amdhsa_reserve_vcc 0
		.amdhsa_reserve_flat_scratch 0
		.amdhsa_float_round_mode_32 0
		.amdhsa_float_round_mode_16_64 0
		.amdhsa_float_denorm_mode_32 3
		.amdhsa_float_denorm_mode_16_64 3
		.amdhsa_dx10_clamp 1
		.amdhsa_ieee_mode 1
		.amdhsa_fp16_overflow 0
		.amdhsa_tg_split 0
		.amdhsa_exception_fp_ieee_invalid_op 0
		.amdhsa_exception_fp_denorm_src 0
		.amdhsa_exception_fp_ieee_div_zero 0
		.amdhsa_exception_fp_ieee_overflow 0
		.amdhsa_exception_fp_ieee_underflow 0
		.amdhsa_exception_fp_ieee_inexact 0
		.amdhsa_exception_int_div_zero 0
	.end_amdhsa_kernel
	.section	.text._ZN7rocprim17ROCPRIM_400000_NS6detail17trampoline_kernelINS0_14default_configENS1_20scan_config_selectorIfEEZZNS1_9scan_implILNS1_25lookback_scan_determinismE0ELb1ELb1ES3_N6thrust23THRUST_200600_302600_NS6detail15normal_iteratorINS9_10device_ptrIjEEEENSB_INSC_IfEEEEfNS9_4plusIvEEfEEDaPvRmT3_T4_T5_mT6_P12ihipStream_tbENKUlT_T0_E_clISt17integral_constantIbLb1EESW_EEDaSR_SS_EUlSR_E_NS1_11comp_targetILNS1_3genE0ELNS1_11target_archE4294967295ELNS1_3gpuE0ELNS1_3repE0EEENS1_30default_config_static_selectorELNS0_4arch9wavefront6targetE1EEEvT1_,"axG",@progbits,_ZN7rocprim17ROCPRIM_400000_NS6detail17trampoline_kernelINS0_14default_configENS1_20scan_config_selectorIfEEZZNS1_9scan_implILNS1_25lookback_scan_determinismE0ELb1ELb1ES3_N6thrust23THRUST_200600_302600_NS6detail15normal_iteratorINS9_10device_ptrIjEEEENSB_INSC_IfEEEEfNS9_4plusIvEEfEEDaPvRmT3_T4_T5_mT6_P12ihipStream_tbENKUlT_T0_E_clISt17integral_constantIbLb1EESW_EEDaSR_SS_EUlSR_E_NS1_11comp_targetILNS1_3genE0ELNS1_11target_archE4294967295ELNS1_3gpuE0ELNS1_3repE0EEENS1_30default_config_static_selectorELNS0_4arch9wavefront6targetE1EEEvT1_,comdat
.Lfunc_end6106:
	.size	_ZN7rocprim17ROCPRIM_400000_NS6detail17trampoline_kernelINS0_14default_configENS1_20scan_config_selectorIfEEZZNS1_9scan_implILNS1_25lookback_scan_determinismE0ELb1ELb1ES3_N6thrust23THRUST_200600_302600_NS6detail15normal_iteratorINS9_10device_ptrIjEEEENSB_INSC_IfEEEEfNS9_4plusIvEEfEEDaPvRmT3_T4_T5_mT6_P12ihipStream_tbENKUlT_T0_E_clISt17integral_constantIbLb1EESW_EEDaSR_SS_EUlSR_E_NS1_11comp_targetILNS1_3genE0ELNS1_11target_archE4294967295ELNS1_3gpuE0ELNS1_3repE0EEENS1_30default_config_static_selectorELNS0_4arch9wavefront6targetE1EEEvT1_, .Lfunc_end6106-_ZN7rocprim17ROCPRIM_400000_NS6detail17trampoline_kernelINS0_14default_configENS1_20scan_config_selectorIfEEZZNS1_9scan_implILNS1_25lookback_scan_determinismE0ELb1ELb1ES3_N6thrust23THRUST_200600_302600_NS6detail15normal_iteratorINS9_10device_ptrIjEEEENSB_INSC_IfEEEEfNS9_4plusIvEEfEEDaPvRmT3_T4_T5_mT6_P12ihipStream_tbENKUlT_T0_E_clISt17integral_constantIbLb1EESW_EEDaSR_SS_EUlSR_E_NS1_11comp_targetILNS1_3genE0ELNS1_11target_archE4294967295ELNS1_3gpuE0ELNS1_3repE0EEENS1_30default_config_static_selectorELNS0_4arch9wavefront6targetE1EEEvT1_
                                        ; -- End function
	.section	.AMDGPU.csdata,"",@progbits
; Kernel info:
; codeLenInByte = 0
; NumSgprs: 4
; NumVgprs: 0
; NumAgprs: 0
; TotalNumVgprs: 0
; ScratchSize: 0
; MemoryBound: 0
; FloatMode: 240
; IeeeMode: 1
; LDSByteSize: 0 bytes/workgroup (compile time only)
; SGPRBlocks: 0
; VGPRBlocks: 0
; NumSGPRsForWavesPerEU: 4
; NumVGPRsForWavesPerEU: 1
; AccumOffset: 4
; Occupancy: 8
; WaveLimiterHint : 0
; COMPUTE_PGM_RSRC2:SCRATCH_EN: 0
; COMPUTE_PGM_RSRC2:USER_SGPR: 6
; COMPUTE_PGM_RSRC2:TRAP_HANDLER: 0
; COMPUTE_PGM_RSRC2:TGID_X_EN: 1
; COMPUTE_PGM_RSRC2:TGID_Y_EN: 0
; COMPUTE_PGM_RSRC2:TGID_Z_EN: 0
; COMPUTE_PGM_RSRC2:TIDIG_COMP_CNT: 0
; COMPUTE_PGM_RSRC3_GFX90A:ACCUM_OFFSET: 0
; COMPUTE_PGM_RSRC3_GFX90A:TG_SPLIT: 0
	.section	.text._ZN7rocprim17ROCPRIM_400000_NS6detail17trampoline_kernelINS0_14default_configENS1_20scan_config_selectorIfEEZZNS1_9scan_implILNS1_25lookback_scan_determinismE0ELb1ELb1ES3_N6thrust23THRUST_200600_302600_NS6detail15normal_iteratorINS9_10device_ptrIjEEEENSB_INSC_IfEEEEfNS9_4plusIvEEfEEDaPvRmT3_T4_T5_mT6_P12ihipStream_tbENKUlT_T0_E_clISt17integral_constantIbLb1EESW_EEDaSR_SS_EUlSR_E_NS1_11comp_targetILNS1_3genE5ELNS1_11target_archE942ELNS1_3gpuE9ELNS1_3repE0EEENS1_30default_config_static_selectorELNS0_4arch9wavefront6targetE1EEEvT1_,"axG",@progbits,_ZN7rocprim17ROCPRIM_400000_NS6detail17trampoline_kernelINS0_14default_configENS1_20scan_config_selectorIfEEZZNS1_9scan_implILNS1_25lookback_scan_determinismE0ELb1ELb1ES3_N6thrust23THRUST_200600_302600_NS6detail15normal_iteratorINS9_10device_ptrIjEEEENSB_INSC_IfEEEEfNS9_4plusIvEEfEEDaPvRmT3_T4_T5_mT6_P12ihipStream_tbENKUlT_T0_E_clISt17integral_constantIbLb1EESW_EEDaSR_SS_EUlSR_E_NS1_11comp_targetILNS1_3genE5ELNS1_11target_archE942ELNS1_3gpuE9ELNS1_3repE0EEENS1_30default_config_static_selectorELNS0_4arch9wavefront6targetE1EEEvT1_,comdat
	.protected	_ZN7rocprim17ROCPRIM_400000_NS6detail17trampoline_kernelINS0_14default_configENS1_20scan_config_selectorIfEEZZNS1_9scan_implILNS1_25lookback_scan_determinismE0ELb1ELb1ES3_N6thrust23THRUST_200600_302600_NS6detail15normal_iteratorINS9_10device_ptrIjEEEENSB_INSC_IfEEEEfNS9_4plusIvEEfEEDaPvRmT3_T4_T5_mT6_P12ihipStream_tbENKUlT_T0_E_clISt17integral_constantIbLb1EESW_EEDaSR_SS_EUlSR_E_NS1_11comp_targetILNS1_3genE5ELNS1_11target_archE942ELNS1_3gpuE9ELNS1_3repE0EEENS1_30default_config_static_selectorELNS0_4arch9wavefront6targetE1EEEvT1_ ; -- Begin function _ZN7rocprim17ROCPRIM_400000_NS6detail17trampoline_kernelINS0_14default_configENS1_20scan_config_selectorIfEEZZNS1_9scan_implILNS1_25lookback_scan_determinismE0ELb1ELb1ES3_N6thrust23THRUST_200600_302600_NS6detail15normal_iteratorINS9_10device_ptrIjEEEENSB_INSC_IfEEEEfNS9_4plusIvEEfEEDaPvRmT3_T4_T5_mT6_P12ihipStream_tbENKUlT_T0_E_clISt17integral_constantIbLb1EESW_EEDaSR_SS_EUlSR_E_NS1_11comp_targetILNS1_3genE5ELNS1_11target_archE942ELNS1_3gpuE9ELNS1_3repE0EEENS1_30default_config_static_selectorELNS0_4arch9wavefront6targetE1EEEvT1_
	.globl	_ZN7rocprim17ROCPRIM_400000_NS6detail17trampoline_kernelINS0_14default_configENS1_20scan_config_selectorIfEEZZNS1_9scan_implILNS1_25lookback_scan_determinismE0ELb1ELb1ES3_N6thrust23THRUST_200600_302600_NS6detail15normal_iteratorINS9_10device_ptrIjEEEENSB_INSC_IfEEEEfNS9_4plusIvEEfEEDaPvRmT3_T4_T5_mT6_P12ihipStream_tbENKUlT_T0_E_clISt17integral_constantIbLb1EESW_EEDaSR_SS_EUlSR_E_NS1_11comp_targetILNS1_3genE5ELNS1_11target_archE942ELNS1_3gpuE9ELNS1_3repE0EEENS1_30default_config_static_selectorELNS0_4arch9wavefront6targetE1EEEvT1_
	.p2align	8
	.type	_ZN7rocprim17ROCPRIM_400000_NS6detail17trampoline_kernelINS0_14default_configENS1_20scan_config_selectorIfEEZZNS1_9scan_implILNS1_25lookback_scan_determinismE0ELb1ELb1ES3_N6thrust23THRUST_200600_302600_NS6detail15normal_iteratorINS9_10device_ptrIjEEEENSB_INSC_IfEEEEfNS9_4plusIvEEfEEDaPvRmT3_T4_T5_mT6_P12ihipStream_tbENKUlT_T0_E_clISt17integral_constantIbLb1EESW_EEDaSR_SS_EUlSR_E_NS1_11comp_targetILNS1_3genE5ELNS1_11target_archE942ELNS1_3gpuE9ELNS1_3repE0EEENS1_30default_config_static_selectorELNS0_4arch9wavefront6targetE1EEEvT1_,@function
_ZN7rocprim17ROCPRIM_400000_NS6detail17trampoline_kernelINS0_14default_configENS1_20scan_config_selectorIfEEZZNS1_9scan_implILNS1_25lookback_scan_determinismE0ELb1ELb1ES3_N6thrust23THRUST_200600_302600_NS6detail15normal_iteratorINS9_10device_ptrIjEEEENSB_INSC_IfEEEEfNS9_4plusIvEEfEEDaPvRmT3_T4_T5_mT6_P12ihipStream_tbENKUlT_T0_E_clISt17integral_constantIbLb1EESW_EEDaSR_SS_EUlSR_E_NS1_11comp_targetILNS1_3genE5ELNS1_11target_archE942ELNS1_3gpuE9ELNS1_3repE0EEENS1_30default_config_static_selectorELNS0_4arch9wavefront6targetE1EEEvT1_: ; @_ZN7rocprim17ROCPRIM_400000_NS6detail17trampoline_kernelINS0_14default_configENS1_20scan_config_selectorIfEEZZNS1_9scan_implILNS1_25lookback_scan_determinismE0ELb1ELb1ES3_N6thrust23THRUST_200600_302600_NS6detail15normal_iteratorINS9_10device_ptrIjEEEENSB_INSC_IfEEEEfNS9_4plusIvEEfEEDaPvRmT3_T4_T5_mT6_P12ihipStream_tbENKUlT_T0_E_clISt17integral_constantIbLb1EESW_EEDaSR_SS_EUlSR_E_NS1_11comp_targetILNS1_3genE5ELNS1_11target_archE942ELNS1_3gpuE9ELNS1_3repE0EEENS1_30default_config_static_selectorELNS0_4arch9wavefront6targetE1EEEvT1_
; %bb.0:
	.section	.rodata,"a",@progbits
	.p2align	6, 0x0
	.amdhsa_kernel _ZN7rocprim17ROCPRIM_400000_NS6detail17trampoline_kernelINS0_14default_configENS1_20scan_config_selectorIfEEZZNS1_9scan_implILNS1_25lookback_scan_determinismE0ELb1ELb1ES3_N6thrust23THRUST_200600_302600_NS6detail15normal_iteratorINS9_10device_ptrIjEEEENSB_INSC_IfEEEEfNS9_4plusIvEEfEEDaPvRmT3_T4_T5_mT6_P12ihipStream_tbENKUlT_T0_E_clISt17integral_constantIbLb1EESW_EEDaSR_SS_EUlSR_E_NS1_11comp_targetILNS1_3genE5ELNS1_11target_archE942ELNS1_3gpuE9ELNS1_3repE0EEENS1_30default_config_static_selectorELNS0_4arch9wavefront6targetE1EEEvT1_
		.amdhsa_group_segment_fixed_size 0
		.amdhsa_private_segment_fixed_size 0
		.amdhsa_kernarg_size 96
		.amdhsa_user_sgpr_count 6
		.amdhsa_user_sgpr_private_segment_buffer 1
		.amdhsa_user_sgpr_dispatch_ptr 0
		.amdhsa_user_sgpr_queue_ptr 0
		.amdhsa_user_sgpr_kernarg_segment_ptr 1
		.amdhsa_user_sgpr_dispatch_id 0
		.amdhsa_user_sgpr_flat_scratch_init 0
		.amdhsa_user_sgpr_kernarg_preload_length 0
		.amdhsa_user_sgpr_kernarg_preload_offset 0
		.amdhsa_user_sgpr_private_segment_size 0
		.amdhsa_uses_dynamic_stack 0
		.amdhsa_system_sgpr_private_segment_wavefront_offset 0
		.amdhsa_system_sgpr_workgroup_id_x 1
		.amdhsa_system_sgpr_workgroup_id_y 0
		.amdhsa_system_sgpr_workgroup_id_z 0
		.amdhsa_system_sgpr_workgroup_info 0
		.amdhsa_system_vgpr_workitem_id 0
		.amdhsa_next_free_vgpr 1
		.amdhsa_next_free_sgpr 0
		.amdhsa_accum_offset 4
		.amdhsa_reserve_vcc 0
		.amdhsa_reserve_flat_scratch 0
		.amdhsa_float_round_mode_32 0
		.amdhsa_float_round_mode_16_64 0
		.amdhsa_float_denorm_mode_32 3
		.amdhsa_float_denorm_mode_16_64 3
		.amdhsa_dx10_clamp 1
		.amdhsa_ieee_mode 1
		.amdhsa_fp16_overflow 0
		.amdhsa_tg_split 0
		.amdhsa_exception_fp_ieee_invalid_op 0
		.amdhsa_exception_fp_denorm_src 0
		.amdhsa_exception_fp_ieee_div_zero 0
		.amdhsa_exception_fp_ieee_overflow 0
		.amdhsa_exception_fp_ieee_underflow 0
		.amdhsa_exception_fp_ieee_inexact 0
		.amdhsa_exception_int_div_zero 0
	.end_amdhsa_kernel
	.section	.text._ZN7rocprim17ROCPRIM_400000_NS6detail17trampoline_kernelINS0_14default_configENS1_20scan_config_selectorIfEEZZNS1_9scan_implILNS1_25lookback_scan_determinismE0ELb1ELb1ES3_N6thrust23THRUST_200600_302600_NS6detail15normal_iteratorINS9_10device_ptrIjEEEENSB_INSC_IfEEEEfNS9_4plusIvEEfEEDaPvRmT3_T4_T5_mT6_P12ihipStream_tbENKUlT_T0_E_clISt17integral_constantIbLb1EESW_EEDaSR_SS_EUlSR_E_NS1_11comp_targetILNS1_3genE5ELNS1_11target_archE942ELNS1_3gpuE9ELNS1_3repE0EEENS1_30default_config_static_selectorELNS0_4arch9wavefront6targetE1EEEvT1_,"axG",@progbits,_ZN7rocprim17ROCPRIM_400000_NS6detail17trampoline_kernelINS0_14default_configENS1_20scan_config_selectorIfEEZZNS1_9scan_implILNS1_25lookback_scan_determinismE0ELb1ELb1ES3_N6thrust23THRUST_200600_302600_NS6detail15normal_iteratorINS9_10device_ptrIjEEEENSB_INSC_IfEEEEfNS9_4plusIvEEfEEDaPvRmT3_T4_T5_mT6_P12ihipStream_tbENKUlT_T0_E_clISt17integral_constantIbLb1EESW_EEDaSR_SS_EUlSR_E_NS1_11comp_targetILNS1_3genE5ELNS1_11target_archE942ELNS1_3gpuE9ELNS1_3repE0EEENS1_30default_config_static_selectorELNS0_4arch9wavefront6targetE1EEEvT1_,comdat
.Lfunc_end6107:
	.size	_ZN7rocprim17ROCPRIM_400000_NS6detail17trampoline_kernelINS0_14default_configENS1_20scan_config_selectorIfEEZZNS1_9scan_implILNS1_25lookback_scan_determinismE0ELb1ELb1ES3_N6thrust23THRUST_200600_302600_NS6detail15normal_iteratorINS9_10device_ptrIjEEEENSB_INSC_IfEEEEfNS9_4plusIvEEfEEDaPvRmT3_T4_T5_mT6_P12ihipStream_tbENKUlT_T0_E_clISt17integral_constantIbLb1EESW_EEDaSR_SS_EUlSR_E_NS1_11comp_targetILNS1_3genE5ELNS1_11target_archE942ELNS1_3gpuE9ELNS1_3repE0EEENS1_30default_config_static_selectorELNS0_4arch9wavefront6targetE1EEEvT1_, .Lfunc_end6107-_ZN7rocprim17ROCPRIM_400000_NS6detail17trampoline_kernelINS0_14default_configENS1_20scan_config_selectorIfEEZZNS1_9scan_implILNS1_25lookback_scan_determinismE0ELb1ELb1ES3_N6thrust23THRUST_200600_302600_NS6detail15normal_iteratorINS9_10device_ptrIjEEEENSB_INSC_IfEEEEfNS9_4plusIvEEfEEDaPvRmT3_T4_T5_mT6_P12ihipStream_tbENKUlT_T0_E_clISt17integral_constantIbLb1EESW_EEDaSR_SS_EUlSR_E_NS1_11comp_targetILNS1_3genE5ELNS1_11target_archE942ELNS1_3gpuE9ELNS1_3repE0EEENS1_30default_config_static_selectorELNS0_4arch9wavefront6targetE1EEEvT1_
                                        ; -- End function
	.section	.AMDGPU.csdata,"",@progbits
; Kernel info:
; codeLenInByte = 0
; NumSgprs: 4
; NumVgprs: 0
; NumAgprs: 0
; TotalNumVgprs: 0
; ScratchSize: 0
; MemoryBound: 0
; FloatMode: 240
; IeeeMode: 1
; LDSByteSize: 0 bytes/workgroup (compile time only)
; SGPRBlocks: 0
; VGPRBlocks: 0
; NumSGPRsForWavesPerEU: 4
; NumVGPRsForWavesPerEU: 1
; AccumOffset: 4
; Occupancy: 8
; WaveLimiterHint : 0
; COMPUTE_PGM_RSRC2:SCRATCH_EN: 0
; COMPUTE_PGM_RSRC2:USER_SGPR: 6
; COMPUTE_PGM_RSRC2:TRAP_HANDLER: 0
; COMPUTE_PGM_RSRC2:TGID_X_EN: 1
; COMPUTE_PGM_RSRC2:TGID_Y_EN: 0
; COMPUTE_PGM_RSRC2:TGID_Z_EN: 0
; COMPUTE_PGM_RSRC2:TIDIG_COMP_CNT: 0
; COMPUTE_PGM_RSRC3_GFX90A:ACCUM_OFFSET: 0
; COMPUTE_PGM_RSRC3_GFX90A:TG_SPLIT: 0
	.section	.text._ZN7rocprim17ROCPRIM_400000_NS6detail17trampoline_kernelINS0_14default_configENS1_20scan_config_selectorIfEEZZNS1_9scan_implILNS1_25lookback_scan_determinismE0ELb1ELb1ES3_N6thrust23THRUST_200600_302600_NS6detail15normal_iteratorINS9_10device_ptrIjEEEENSB_INSC_IfEEEEfNS9_4plusIvEEfEEDaPvRmT3_T4_T5_mT6_P12ihipStream_tbENKUlT_T0_E_clISt17integral_constantIbLb1EESW_EEDaSR_SS_EUlSR_E_NS1_11comp_targetILNS1_3genE4ELNS1_11target_archE910ELNS1_3gpuE8ELNS1_3repE0EEENS1_30default_config_static_selectorELNS0_4arch9wavefront6targetE1EEEvT1_,"axG",@progbits,_ZN7rocprim17ROCPRIM_400000_NS6detail17trampoline_kernelINS0_14default_configENS1_20scan_config_selectorIfEEZZNS1_9scan_implILNS1_25lookback_scan_determinismE0ELb1ELb1ES3_N6thrust23THRUST_200600_302600_NS6detail15normal_iteratorINS9_10device_ptrIjEEEENSB_INSC_IfEEEEfNS9_4plusIvEEfEEDaPvRmT3_T4_T5_mT6_P12ihipStream_tbENKUlT_T0_E_clISt17integral_constantIbLb1EESW_EEDaSR_SS_EUlSR_E_NS1_11comp_targetILNS1_3genE4ELNS1_11target_archE910ELNS1_3gpuE8ELNS1_3repE0EEENS1_30default_config_static_selectorELNS0_4arch9wavefront6targetE1EEEvT1_,comdat
	.protected	_ZN7rocprim17ROCPRIM_400000_NS6detail17trampoline_kernelINS0_14default_configENS1_20scan_config_selectorIfEEZZNS1_9scan_implILNS1_25lookback_scan_determinismE0ELb1ELb1ES3_N6thrust23THRUST_200600_302600_NS6detail15normal_iteratorINS9_10device_ptrIjEEEENSB_INSC_IfEEEEfNS9_4plusIvEEfEEDaPvRmT3_T4_T5_mT6_P12ihipStream_tbENKUlT_T0_E_clISt17integral_constantIbLb1EESW_EEDaSR_SS_EUlSR_E_NS1_11comp_targetILNS1_3genE4ELNS1_11target_archE910ELNS1_3gpuE8ELNS1_3repE0EEENS1_30default_config_static_selectorELNS0_4arch9wavefront6targetE1EEEvT1_ ; -- Begin function _ZN7rocprim17ROCPRIM_400000_NS6detail17trampoline_kernelINS0_14default_configENS1_20scan_config_selectorIfEEZZNS1_9scan_implILNS1_25lookback_scan_determinismE0ELb1ELb1ES3_N6thrust23THRUST_200600_302600_NS6detail15normal_iteratorINS9_10device_ptrIjEEEENSB_INSC_IfEEEEfNS9_4plusIvEEfEEDaPvRmT3_T4_T5_mT6_P12ihipStream_tbENKUlT_T0_E_clISt17integral_constantIbLb1EESW_EEDaSR_SS_EUlSR_E_NS1_11comp_targetILNS1_3genE4ELNS1_11target_archE910ELNS1_3gpuE8ELNS1_3repE0EEENS1_30default_config_static_selectorELNS0_4arch9wavefront6targetE1EEEvT1_
	.globl	_ZN7rocprim17ROCPRIM_400000_NS6detail17trampoline_kernelINS0_14default_configENS1_20scan_config_selectorIfEEZZNS1_9scan_implILNS1_25lookback_scan_determinismE0ELb1ELb1ES3_N6thrust23THRUST_200600_302600_NS6detail15normal_iteratorINS9_10device_ptrIjEEEENSB_INSC_IfEEEEfNS9_4plusIvEEfEEDaPvRmT3_T4_T5_mT6_P12ihipStream_tbENKUlT_T0_E_clISt17integral_constantIbLb1EESW_EEDaSR_SS_EUlSR_E_NS1_11comp_targetILNS1_3genE4ELNS1_11target_archE910ELNS1_3gpuE8ELNS1_3repE0EEENS1_30default_config_static_selectorELNS0_4arch9wavefront6targetE1EEEvT1_
	.p2align	8
	.type	_ZN7rocprim17ROCPRIM_400000_NS6detail17trampoline_kernelINS0_14default_configENS1_20scan_config_selectorIfEEZZNS1_9scan_implILNS1_25lookback_scan_determinismE0ELb1ELb1ES3_N6thrust23THRUST_200600_302600_NS6detail15normal_iteratorINS9_10device_ptrIjEEEENSB_INSC_IfEEEEfNS9_4plusIvEEfEEDaPvRmT3_T4_T5_mT6_P12ihipStream_tbENKUlT_T0_E_clISt17integral_constantIbLb1EESW_EEDaSR_SS_EUlSR_E_NS1_11comp_targetILNS1_3genE4ELNS1_11target_archE910ELNS1_3gpuE8ELNS1_3repE0EEENS1_30default_config_static_selectorELNS0_4arch9wavefront6targetE1EEEvT1_,@function
_ZN7rocprim17ROCPRIM_400000_NS6detail17trampoline_kernelINS0_14default_configENS1_20scan_config_selectorIfEEZZNS1_9scan_implILNS1_25lookback_scan_determinismE0ELb1ELb1ES3_N6thrust23THRUST_200600_302600_NS6detail15normal_iteratorINS9_10device_ptrIjEEEENSB_INSC_IfEEEEfNS9_4plusIvEEfEEDaPvRmT3_T4_T5_mT6_P12ihipStream_tbENKUlT_T0_E_clISt17integral_constantIbLb1EESW_EEDaSR_SS_EUlSR_E_NS1_11comp_targetILNS1_3genE4ELNS1_11target_archE910ELNS1_3gpuE8ELNS1_3repE0EEENS1_30default_config_static_selectorELNS0_4arch9wavefront6targetE1EEEvT1_: ; @_ZN7rocprim17ROCPRIM_400000_NS6detail17trampoline_kernelINS0_14default_configENS1_20scan_config_selectorIfEEZZNS1_9scan_implILNS1_25lookback_scan_determinismE0ELb1ELb1ES3_N6thrust23THRUST_200600_302600_NS6detail15normal_iteratorINS9_10device_ptrIjEEEENSB_INSC_IfEEEEfNS9_4plusIvEEfEEDaPvRmT3_T4_T5_mT6_P12ihipStream_tbENKUlT_T0_E_clISt17integral_constantIbLb1EESW_EEDaSR_SS_EUlSR_E_NS1_11comp_targetILNS1_3genE4ELNS1_11target_archE910ELNS1_3gpuE8ELNS1_3repE0EEENS1_30default_config_static_selectorELNS0_4arch9wavefront6targetE1EEEvT1_
; %bb.0:
	s_load_dword s37, s[4:5], 0x20
	s_load_dwordx2 s[14:15], s[4:5], 0x28
	v_cmp_ne_u32_e64 s[2:3], 0, v0
	v_cmp_eq_u32_e64 s[0:1], 0, v0
	s_and_saveexec_b64 s[6:7], s[0:1]
	s_cbranch_execz .LBB6108_4
; %bb.1:
	s_mov_b64 s[10:11], exec
	v_mbcnt_lo_u32_b32 v1, s10, 0
	v_mbcnt_hi_u32_b32 v1, s11, v1
	v_cmp_eq_u32_e32 vcc, 0, v1
                                        ; implicit-def: $vgpr2
	s_and_saveexec_b64 s[8:9], vcc
	s_cbranch_execz .LBB6108_3
; %bb.2:
	s_load_dwordx2 s[12:13], s[4:5], 0x58
	s_bcnt1_i32_b64 s10, s[10:11]
	v_mov_b32_e32 v2, 0
	v_mov_b32_e32 v3, s10
	s_waitcnt lgkmcnt(0)
	global_atomic_add v2, v2, v3, s[12:13] glc
.LBB6108_3:
	s_or_b64 exec, exec, s[8:9]
	s_waitcnt vmcnt(0)
	v_readfirstlane_b32 s8, v2
	v_add_u32_e32 v1, s8, v1
	v_mov_b32_e32 v2, 0
	ds_write_b32 v2, v1
.LBB6108_4:
	s_or_b64 exec, exec, s[6:7]
	s_load_dwordx8 s[24:31], s[4:5], 0x0
	s_load_dword s6, s[4:5], 0x30
	s_load_dwordx8 s[16:23], s[4:5], 0x38
	v_mov_b32_e32 v1, 0
	s_waitcnt lgkmcnt(0)
	s_barrier
	ds_read_b32 v1, v1
	s_lshl_b64 s[26:27], s[26:27], 2
	s_add_u32 s38, s24, s26
	s_addc_u32 s39, s25, s27
	s_add_i32 s6, s6, -1
	s_mul_i32 s7, s6, 0x700
	s_sub_u32 s33, s30, s7
	s_waitcnt lgkmcnt(0)
	v_readfirstlane_b32 s40, v1
	s_subb_u32 s36, s31, 0
	s_mul_i32 s4, s40, 0x700
	s_mov_b32 s5, 0
	s_cmp_lg_u32 s40, s6
	s_cselect_b64 s[24:25], -1, 0
	s_lshl_b64 s[30:31], s[4:5], 2
	s_add_u32 s6, s38, s30
	s_addc_u32 s7, s39, s31
	s_mov_b64 s[4:5], -1
	s_and_b64 vcc, exec, s[24:25]
	v_lshlrev_b32_e32 v32, 2, v0
	s_barrier
	s_cbranch_vccz .LBB6108_6
; %bb.5:
	v_mov_b32_e32 v1, s7
	v_add_co_u32_e32 v2, vcc, s6, v32
	v_addc_co_u32_e32 v3, vcc, 0, v1, vcc
	s_movk_i32 s4, 0x1000
	flat_load_dword v1, v[2:3]
	flat_load_dword v4, v[2:3] offset:512
	flat_load_dword v5, v[2:3] offset:1024
	;; [unrolled: 1-line block ×7, first 2 shown]
	v_add_co_u32_e32 v2, vcc, s4, v2
	v_addc_co_u32_e32 v3, vcc, 0, v3, vcc
	flat_load_dword v11, v[2:3]
	flat_load_dword v12, v[2:3] offset:512
	flat_load_dword v13, v[2:3] offset:1024
	;; [unrolled: 1-line block ×5, first 2 shown]
	s_mov_b64 s[4:5], 0
	s_waitcnt vmcnt(0) lgkmcnt(0)
	v_cvt_f32_u32_e32 v1, v1
	v_cvt_f32_u32_e32 v2, v4
	;; [unrolled: 1-line block ×14, first 2 shown]
	ds_write2st64_b32 v32, v1, v2 offset1:2
	ds_write2st64_b32 v32, v3, v4 offset0:4 offset1:6
	ds_write2st64_b32 v32, v5, v6 offset0:8 offset1:10
	;; [unrolled: 1-line block ×6, first 2 shown]
	s_waitcnt lgkmcnt(0)
	s_barrier
.LBB6108_6:
	s_andn2_b64 vcc, exec, s[4:5]
	v_cmp_gt_u32_e64 s[4:5], s33, v0
	s_cbranch_vccnz .LBB6108_36
; %bb.7:
	v_pk_mov_b32 v[2:3], s[6:7], s[6:7] op_sel:[0,1]
	flat_load_dword v1, v[2:3]
	s_waitcnt vmcnt(0) lgkmcnt(0)
	v_cvt_f32_u32_e32 v1, v1
	v_mov_b32_e32 v2, v1
	v_mov_b32_e32 v3, v1
	v_mov_b32_e32 v4, v1
	v_mov_b32_e32 v5, v1
	v_mov_b32_e32 v6, v1
	v_mov_b32_e32 v7, v1
	v_mov_b32_e32 v8, v1
	v_mov_b32_e32 v9, v1
	v_mov_b32_e32 v10, v1
	v_mov_b32_e32 v11, v1
	v_mov_b32_e32 v12, v1
	v_mov_b32_e32 v13, v1
	v_pk_mov_b32 v[16:17], v[14:15], v[14:15] op_sel:[0,1]
	v_pk_mov_b32 v[14:15], v[12:13], v[12:13] op_sel:[0,1]
	;; [unrolled: 1-line block ×8, first 2 shown]
	s_and_saveexec_b64 s[8:9], s[4:5]
	s_cbranch_execz .LBB6108_9
; %bb.8:
	v_mov_b32_e32 v3, s7
	v_add_co_u32_e32 v2, vcc, s6, v32
	v_addc_co_u32_e32 v3, vcc, 0, v3, vcc
	flat_load_dword v11, v[2:3]
	v_mov_b32_e32 v2, v1
	v_mov_b32_e32 v3, v1
	;; [unrolled: 1-line block ×11, first 2 shown]
	s_waitcnt vmcnt(0) lgkmcnt(0)
	v_cvt_f32_u32_e32 v18, v11
	v_mov_b32_e32 v11, v1
	v_pk_mov_b32 v[16:17], v[14:15], v[14:15] op_sel:[0,1]
	v_pk_mov_b32 v[14:15], v[12:13], v[12:13] op_sel:[0,1]
	;; [unrolled: 1-line block ×8, first 2 shown]
	v_mov_b32_e32 v1, v18
.LBB6108_9:
	s_or_b64 exec, exec, s[8:9]
	v_or_b32_e32 v2, 0x80, v0
	v_cmp_gt_u32_e32 vcc, s33, v2
	s_and_saveexec_b64 s[4:5], vcc
	s_cbranch_execz .LBB6108_11
; %bb.10:
	v_mov_b32_e32 v3, s7
	v_add_co_u32_e32 v2, vcc, s6, v32
	v_addc_co_u32_e32 v3, vcc, 0, v3, vcc
	flat_load_dword v2, v[2:3] offset:512
	s_waitcnt vmcnt(0) lgkmcnt(0)
	v_cvt_f32_u32_e32 v3, v2
.LBB6108_11:
	s_or_b64 exec, exec, s[4:5]
	v_or_b32_e32 v2, 0x100, v0
	v_cmp_gt_u32_e32 vcc, s33, v2
	s_and_saveexec_b64 s[4:5], vcc
	s_cbranch_execz .LBB6108_13
; %bb.12:
	v_mov_b32_e32 v2, s7
	v_add_co_u32_e32 v16, vcc, s6, v32
	v_addc_co_u32_e32 v17, vcc, 0, v2, vcc
	flat_load_dword v2, v[16:17] offset:1024
	s_waitcnt vmcnt(0) lgkmcnt(0)
	v_cvt_f32_u32_e32 v4, v2
.LBB6108_13:
	;; [unrolled: 13-line block ×7, first 2 shown]
	s_or_b64 exec, exec, s[4:5]
	v_or_b32_e32 v2, 0x400, v0
	v_cmp_gt_u32_e32 vcc, s33, v2
	s_and_saveexec_b64 s[4:5], vcc
	s_cbranch_execz .LBB6108_25
; %bb.24:
	v_lshlrev_b32_e32 v2, 2, v2
	v_mov_b32_e32 v10, s7
	v_add_co_u32_e32 v16, vcc, s6, v2
	v_addc_co_u32_e32 v17, vcc, 0, v10, vcc
	flat_load_dword v2, v[16:17]
	s_waitcnt vmcnt(0) lgkmcnt(0)
	v_cvt_f32_u32_e32 v10, v2
.LBB6108_25:
	s_or_b64 exec, exec, s[4:5]
	v_or_b32_e32 v2, 0x480, v0
	v_cmp_gt_u32_e32 vcc, s33, v2
	s_and_saveexec_b64 s[4:5], vcc
	s_cbranch_execz .LBB6108_27
; %bb.26:
	v_lshlrev_b32_e32 v2, 2, v2
	v_mov_b32_e32 v11, s7
	v_add_co_u32_e32 v16, vcc, s6, v2
	v_addc_co_u32_e32 v17, vcc, 0, v11, vcc
	flat_load_dword v2, v[16:17]
	s_waitcnt vmcnt(0) lgkmcnt(0)
	v_cvt_f32_u32_e32 v11, v2
.LBB6108_27:
	;; [unrolled: 14-line block ×6, first 2 shown]
	s_or_b64 exec, exec, s[4:5]
	ds_write2st64_b32 v32, v1, v3 offset1:2
	ds_write2st64_b32 v32, v4, v5 offset0:4 offset1:6
	ds_write2st64_b32 v32, v6, v7 offset0:8 offset1:10
	;; [unrolled: 1-line block ×6, first 2 shown]
	s_waitcnt lgkmcnt(0)
	s_barrier
.LBB6108_36:
	v_mul_u32_u24_e32 v33, 14, v0
	v_lshlrev_b32_e32 v34, 2, v33
	ds_read2_b64 v[26:29], v34 offset1:1
	ds_read2_b64 v[22:25], v34 offset0:2 offset1:3
	ds_read2_b64 v[18:21], v34 offset0:4 offset1:5
	ds_read_b64 v[30:31], v34 offset:48
	s_cmp_lg_u32 s40, 0
	s_waitcnt lgkmcnt(3)
	v_add_f32_e32 v35, v26, v27
	v_lshrrev_b32_e32 v1, 5, v0
	v_cmp_gt_u32_e32 vcc, 64, v0
	s_waitcnt lgkmcnt(0)
	s_barrier
	s_cbranch_scc0 .LBB6108_65
; %bb.37:
	v_add_f32_e32 v2, v28, v35
	v_add_f32_e32 v2, v29, v2
	;; [unrolled: 1-line block ×12, first 2 shown]
	v_add_lshl_u32 v2, v1, v0, 2
	ds_write_b32 v2, v12
	s_waitcnt lgkmcnt(0)
	s_barrier
	s_and_saveexec_b64 s[10:11], vcc
	s_cbranch_execz .LBB6108_39
; %bb.38:
	v_lshlrev_b32_e32 v2, 1, v0
	v_lshrrev_b32_e32 v3, 4, v0
	v_add_lshl_u32 v4, v3, v2, 2
	ds_read2_b32 v[2:3], v4 offset1:1
	v_mbcnt_lo_u32_b32 v5, -1, 0
	v_mbcnt_hi_u32_b32 v5, -1, v5
	v_and_b32_e32 v6, 15, v5
	v_cmp_eq_u32_e64 s[4:5], 0, v6
	s_waitcnt lgkmcnt(0)
	v_add_f32_e32 v3, v2, v3
	v_cmp_lt_u32_e64 s[6:7], 3, v6
	v_cmp_lt_u32_e64 s[8:9], 31, v5
	v_mov_b32_dpp v7, v3 row_shr:1 row_mask:0xf bank_mask:0xf
	v_add_f32_e32 v7, v3, v7
	v_cndmask_b32_e64 v3, v7, v3, s[4:5]
	v_cmp_lt_u32_e64 s[4:5], 1, v6
	s_nop 0
	v_mov_b32_dpp v7, v3 row_shr:2 row_mask:0xf bank_mask:0xf
	v_add_f32_e32 v7, v3, v7
	v_cndmask_b32_e64 v7, v3, v7, s[4:5]
	; wave barrier
	s_nop 1
	v_mov_b32_dpp v8, v7 row_shr:4 row_mask:0xf bank_mask:0xf
	v_add_f32_e32 v8, v7, v8
	v_cndmask_b32_e64 v7, v7, v8, s[6:7]
	v_cmp_lt_u32_e64 s[6:7], 7, v6
	s_nop 0
	v_mov_b32_dpp v8, v7 row_shr:8 row_mask:0xf bank_mask:0xf
	v_add_f32_e32 v8, v7, v8
	v_cndmask_b32_e64 v6, v7, v8, s[6:7]
	v_and_b32_e32 v8, 16, v5
	v_cmp_eq_u32_e64 s[6:7], 0, v8
	v_mov_b32_dpp v7, v6 row_bcast:15 row_mask:0xf bank_mask:0xf
	v_add_f32_e32 v7, v6, v7
	v_cndmask_b32_e64 v6, v7, v6, s[6:7]
	v_cmp_lt_u32_e64 s[6:7], 15, v5
	s_or_b64 s[4:5], s[6:7], s[4:5]
	v_mov_b32_dpp v7, v6 row_bcast:31 row_mask:0xf bank_mask:0xf
	v_add_f32_e32 v7, v6, v7
	v_cndmask_b32_e64 v6, v6, v7, s[8:9]
	v_cndmask_b32_e64 v3, v3, v6, s[4:5]
	v_add_u32_e32 v6, -1, v5
	v_and_b32_e32 v7, 64, v5
	v_cmp_lt_i32_e64 s[4:5], v6, v7
	v_cndmask_b32_e64 v5, v6, v5, s[4:5]
	v_lshlrev_b32_e32 v5, 2, v5
	ds_bpermute_b32 v3, v5, v3
	s_waitcnt lgkmcnt(0)
	v_add_f32_e32 v2, v2, v3
	v_cndmask_b32_e64 v2, v2, v12, s[0:1]
	ds_write_b32 v4, v2
	; wave barrier
	ds_read_b32 v3, v4 offset:4
	s_waitcnt lgkmcnt(0)
	v_add_f32_e32 v2, v2, v3
	ds_write_b32 v4, v2 offset:4
.LBB6108_39:
	s_or_b64 exec, exec, s[10:11]
	s_waitcnt lgkmcnt(0)
	s_barrier
	s_and_saveexec_b64 s[4:5], s[2:3]
	s_cbranch_execz .LBB6108_41
; %bb.40:
	v_add_u32_e32 v2, -1, v0
	v_lshrrev_b32_e32 v3, 5, v2
	v_add_lshl_u32 v2, v3, v2, 2
	ds_read_b32 v12, v2
.LBB6108_41:
	s_or_b64 exec, exec, s[4:5]
	s_and_saveexec_b64 s[34:35], vcc
	s_cbranch_execz .LBB6108_64
; %bb.42:
	v_mov_b32_e32 v11, 0
	ds_read_b32 v2, v11 offset:520
	v_mbcnt_lo_u32_b32 v3, -1, 0
	v_mbcnt_hi_u32_b32 v5, -1, v3
	s_mov_b32 s9, 0
	v_cmp_eq_u32_e64 s[4:5], 0, v5
	s_and_saveexec_b64 s[6:7], s[4:5]
	s_cbranch_execz .LBB6108_44
; %bb.43:
	s_add_i32 s8, s40, 64
	s_lshl_b64 s[8:9], s[8:9], 3
	s_add_u32 s8, s14, s8
	v_mov_b32_e32 v3, 1
	s_addc_u32 s9, s15, s9
	s_waitcnt lgkmcnt(0)
	global_store_dwordx2 v11, v[2:3], s[8:9]
.LBB6108_44:
	s_or_b64 exec, exec, s[6:7]
	v_xad_u32 v4, v5, -1, s40
	v_add_u32_e32 v10, 64, v4
	v_lshlrev_b64 v[6:7], 3, v[10:11]
	v_mov_b32_e32 v3, s15
	v_add_co_u32_e32 v6, vcc, s14, v6
	v_addc_co_u32_e32 v7, vcc, v3, v7, vcc
	global_load_dwordx2 v[8:9], v[6:7], off glc
	s_waitcnt vmcnt(0)
	v_cmp_eq_u16_sdwa s[8:9], v9, v11 src0_sel:BYTE_0 src1_sel:DWORD
	s_and_saveexec_b64 s[6:7], s[8:9]
	s_cbranch_execz .LBB6108_50
; %bb.45:
	s_mov_b32 s10, 1
	s_mov_b64 s[8:9], 0
	v_mov_b32_e32 v3, 0
.LBB6108_46:                            ; =>This Loop Header: Depth=1
                                        ;     Child Loop BB6108_47 Depth 2
	s_max_u32 s11, s10, 1
.LBB6108_47:                            ;   Parent Loop BB6108_46 Depth=1
                                        ; =>  This Inner Loop Header: Depth=2
	s_add_i32 s11, s11, -1
	s_cmp_eq_u32 s11, 0
	s_sleep 1
	s_cbranch_scc0 .LBB6108_47
; %bb.48:                               ;   in Loop: Header=BB6108_46 Depth=1
	global_load_dwordx2 v[8:9], v[6:7], off glc
	s_cmp_lt_u32 s10, 32
	s_cselect_b64 s[12:13], -1, 0
	s_cmp_lg_u64 s[12:13], 0
	s_addc_u32 s10, s10, 0
	s_waitcnt vmcnt(0)
	v_cmp_ne_u16_sdwa s[12:13], v9, v3 src0_sel:BYTE_0 src1_sel:DWORD
	s_or_b64 s[8:9], s[12:13], s[8:9]
	s_andn2_b64 exec, exec, s[8:9]
	s_cbranch_execnz .LBB6108_46
; %bb.49:
	s_or_b64 exec, exec, s[8:9]
.LBB6108_50:
	s_or_b64 exec, exec, s[6:7]
	v_and_b32_e32 v13, 63, v5
	v_cmp_ne_u32_e32 vcc, 63, v13
	v_addc_co_u32_e32 v14, vcc, 0, v5, vcc
	v_mov_b32_e32 v3, 2
	v_lshlrev_b32_e32 v14, 2, v14
	v_cmp_eq_u16_sdwa s[6:7], v9, v3 src0_sel:BYTE_0 src1_sel:DWORD
	v_lshlrev_b64 v[6:7], v5, -1
	ds_bpermute_b32 v15, v14, v8
	v_and_b32_e32 v10, s7, v7
	v_or_b32_e32 v10, 0x80000000, v10
	v_and_b32_e32 v11, s6, v6
	v_ffbl_b32_e32 v10, v10
	v_add_u32_e32 v10, 32, v10
	v_ffbl_b32_e32 v11, v11
	v_cmp_gt_u32_e64 s[6:7], 62, v13
	v_min_u32_e32 v10, v11, v10
	s_waitcnt lgkmcnt(0)
	v_add_f32_e32 v11, v8, v15
	v_cndmask_b32_e64 v15, 0, 1, s[6:7]
	v_cmp_lt_u32_e32 vcc, v13, v10
	v_lshlrev_b32_e32 v15, 1, v15
	v_cndmask_b32_e32 v11, v8, v11, vcc
	v_add_lshl_u32 v15, v15, v5, 2
	ds_bpermute_b32 v17, v15, v11
	v_add_u32_e32 v16, 2, v13
	v_cmp_gt_u32_e64 s[6:7], v16, v10
	v_cmp_gt_u32_e64 s[8:9], 56, v13
	v_add_u32_e32 v36, 4, v13
	s_waitcnt lgkmcnt(0)
	v_add_f32_e32 v17, v11, v17
	v_cndmask_b32_e64 v11, v17, v11, s[6:7]
	v_cmp_gt_u32_e64 s[6:7], 60, v13
	v_cndmask_b32_e64 v17, 0, 1, s[6:7]
	v_lshlrev_b32_e32 v17, 2, v17
	v_add_lshl_u32 v17, v17, v5, 2
	ds_bpermute_b32 v37, v17, v11
	v_cmp_gt_u32_e64 s[6:7], v36, v10
	v_add_u32_e32 v38, 8, v13
	v_cmp_gt_u32_e64 s[10:11], 48, v13
	v_cmp_gt_u32_e64 s[12:13], 32, v13
	s_waitcnt lgkmcnt(0)
	v_add_f32_e32 v41, v11, v37
	v_cndmask_b32_e64 v37, 0, 1, s[8:9]
	v_lshlrev_b32_e32 v37, 3, v37
	v_cndmask_b32_e64 v39, v41, v11, s[6:7]
	v_add_lshl_u32 v37, v37, v5, 2
	ds_bpermute_b32 v40, v37, v39
	v_cmp_gt_u32_e64 s[8:9], v38, v10
	v_cndmask_b32_e32 v8, v8, v11, vcc
	v_cndmask_b32_e64 v8, v41, v8, s[6:7]
	s_waitcnt lgkmcnt(0)
	v_add_f32_e32 v44, v39, v40
	v_cndmask_b32_e64 v42, v44, v39, s[8:9]
	v_cndmask_b32_e64 v39, 0, 1, s[10:11]
	v_lshlrev_b32_e32 v39, 4, v39
	v_add_lshl_u32 v39, v39, v5, 2
	ds_bpermute_b32 v43, v39, v42
	v_add_u32_e32 v40, 16, v13
	v_cmp_gt_u32_e64 s[10:11], v40, v10
	v_cndmask_b32_e64 v8, v44, v8, s[8:9]
	s_waitcnt lgkmcnt(0)
	v_add_f32_e32 v45, v42, v43
	v_cndmask_b32_e64 v46, v45, v42, s[10:11]
	v_cndmask_b32_e64 v42, 0, 1, s[12:13]
	v_lshlrev_b32_e32 v42, 5, v42
	v_add_lshl_u32 v42, v42, v5, 2
	ds_bpermute_b32 v5, v42, v46
	v_add_u32_e32 v43, 32, v13
	v_cndmask_b32_e64 v8, v45, v8, s[10:11]
	v_cmp_gt_u32_e32 vcc, v43, v10
	s_waitcnt lgkmcnt(0)
	v_add_f32_e32 v5, v46, v5
	v_cndmask_b32_e32 v8, v5, v8, vcc
	v_mov_b32_e32 v5, 0
	s_branch .LBB6108_52
.LBB6108_51:                            ;   in Loop: Header=BB6108_52 Depth=1
	s_or_b64 exec, exec, s[6:7]
	v_cmp_eq_u16_sdwa s[6:7], v9, v3 src0_sel:BYTE_0 src1_sel:DWORD
	v_and_b32_e32 v10, s7, v7
	ds_bpermute_b32 v44, v14, v8
	v_or_b32_e32 v10, 0x80000000, v10
	v_and_b32_e32 v11, s6, v6
	v_ffbl_b32_e32 v10, v10
	v_add_u32_e32 v10, 32, v10
	v_ffbl_b32_e32 v11, v11
	v_min_u32_e32 v10, v11, v10
	s_waitcnt lgkmcnt(0)
	v_add_f32_e32 v11, v8, v44
	v_cmp_lt_u32_e32 vcc, v13, v10
	v_cndmask_b32_e32 v11, v8, v11, vcc
	ds_bpermute_b32 v44, v15, v11
	v_cmp_gt_u32_e64 s[6:7], v16, v10
	v_cmp_gt_u32_e64 s[8:9], v38, v10
	;; [unrolled: 1-line block ×3, first 2 shown]
	v_subrev_u32_e32 v4, 64, v4
	s_waitcnt lgkmcnt(0)
	v_add_f32_e32 v44, v11, v44
	v_cndmask_b32_e64 v11, v44, v11, s[6:7]
	ds_bpermute_b32 v44, v17, v11
	v_cmp_gt_u32_e64 s[6:7], v36, v10
	v_cndmask_b32_e32 v8, v8, v11, vcc
	v_cmp_gt_u32_e32 vcc, v43, v10
	s_waitcnt lgkmcnt(0)
	v_add_f32_e32 v44, v11, v44
	v_cndmask_b32_e64 v45, v44, v11, s[6:7]
	ds_bpermute_b32 v46, v37, v45
	v_cndmask_b32_e64 v8, v44, v8, s[6:7]
	s_waitcnt lgkmcnt(0)
	v_add_f32_e32 v46, v45, v46
	v_cndmask_b32_e64 v45, v46, v45, s[8:9]
	ds_bpermute_b32 v47, v39, v45
	v_cndmask_b32_e64 v8, v46, v8, s[8:9]
	;; [unrolled: 5-line block ×3, first 2 shown]
	s_waitcnt lgkmcnt(0)
	v_add_f32_e32 v11, v45, v48
	v_cndmask_b32_e32 v8, v11, v8, vcc
	v_add_f32_e32 v8, v41, v8
.LBB6108_52:                            ; =>This Loop Header: Depth=1
                                        ;     Child Loop BB6108_55 Depth 2
                                        ;       Child Loop BB6108_56 Depth 3
	v_cmp_ne_u16_sdwa s[6:7], v9, v3 src0_sel:BYTE_0 src1_sel:DWORD
	v_cndmask_b32_e64 v9, 0, 1, s[6:7]
	;;#ASMSTART
	;;#ASMEND
	v_cmp_ne_u32_e32 vcc, 0, v9
	s_cmp_lg_u64 vcc, exec
	v_mov_b32_e32 v41, v8
	s_cbranch_scc1 .LBB6108_59
; %bb.53:                               ;   in Loop: Header=BB6108_52 Depth=1
	v_lshlrev_b64 v[8:9], 3, v[4:5]
	v_mov_b32_e32 v11, s15
	v_add_co_u32_e32 v10, vcc, s14, v8
	v_addc_co_u32_e32 v11, vcc, v11, v9, vcc
	global_load_dwordx2 v[8:9], v[10:11], off glc
	s_waitcnt vmcnt(0)
	v_cmp_eq_u16_sdwa s[8:9], v9, v5 src0_sel:BYTE_0 src1_sel:DWORD
	s_and_saveexec_b64 s[6:7], s[8:9]
	s_cbranch_execz .LBB6108_51
; %bb.54:                               ;   in Loop: Header=BB6108_52 Depth=1
	s_mov_b32 s10, 1
	s_mov_b64 s[8:9], 0
.LBB6108_55:                            ;   Parent Loop BB6108_52 Depth=1
                                        ; =>  This Loop Header: Depth=2
                                        ;       Child Loop BB6108_56 Depth 3
	s_max_u32 s11, s10, 1
.LBB6108_56:                            ;   Parent Loop BB6108_52 Depth=1
                                        ;     Parent Loop BB6108_55 Depth=2
                                        ; =>    This Inner Loop Header: Depth=3
	s_add_i32 s11, s11, -1
	s_cmp_eq_u32 s11, 0
	s_sleep 1
	s_cbranch_scc0 .LBB6108_56
; %bb.57:                               ;   in Loop: Header=BB6108_55 Depth=2
	global_load_dwordx2 v[8:9], v[10:11], off glc
	s_cmp_lt_u32 s10, 32
	s_cselect_b64 s[12:13], -1, 0
	s_cmp_lg_u64 s[12:13], 0
	s_addc_u32 s10, s10, 0
	s_waitcnt vmcnt(0)
	v_cmp_ne_u16_sdwa s[12:13], v9, v5 src0_sel:BYTE_0 src1_sel:DWORD
	s_or_b64 s[8:9], s[12:13], s[8:9]
	s_andn2_b64 exec, exec, s[8:9]
	s_cbranch_execnz .LBB6108_55
; %bb.58:                               ;   in Loop: Header=BB6108_52 Depth=1
	s_or_b64 exec, exec, s[8:9]
	s_branch .LBB6108_51
.LBB6108_59:                            ;   in Loop: Header=BB6108_52 Depth=1
                                        ; implicit-def: $vgpr8
                                        ; implicit-def: $vgpr9
	s_cbranch_execz .LBB6108_52
; %bb.60:
	s_and_saveexec_b64 s[6:7], s[4:5]
	s_cbranch_execz .LBB6108_62
; %bb.61:
	s_add_i32 s4, s40, 64
	s_mov_b32 s5, 0
	s_lshl_b64 s[4:5], s[4:5], 3
	s_add_u32 s4, s14, s4
	v_add_f32_e32 v2, v2, v41
	v_mov_b32_e32 v3, 2
	s_addc_u32 s5, s15, s5
	v_mov_b32_e32 v4, 0
	global_store_dwordx2 v4, v[2:3], s[4:5]
.LBB6108_62:
	s_or_b64 exec, exec, s[6:7]
	s_and_b64 exec, exec, s[0:1]
	s_cbranch_execz .LBB6108_64
; %bb.63:
	v_mov_b32_e32 v2, 0
	ds_write_b32 v2, v41
.LBB6108_64:
	s_or_b64 exec, exec, s[34:35]
	v_mov_b32_e32 v2, 0
	s_waitcnt lgkmcnt(0)
	s_barrier
	ds_read_b32 v2, v2
	s_waitcnt lgkmcnt(0)
	v_add_f32_e32 v3, v12, v2
	v_cndmask_b32_e64 v2, v3, v2, s[0:1]
	v_add_f32_e32 v3, v26, v2
	v_add_f32_e32 v4, v27, v3
	;; [unrolled: 1-line block ×13, first 2 shown]
	s_branch .LBB6108_75
.LBB6108_65:
                                        ; implicit-def: $vgpr2_vgpr3_vgpr4_vgpr5_vgpr6_vgpr7_vgpr8_vgpr9_vgpr10_vgpr11_vgpr12_vgpr13_vgpr14_vgpr15_vgpr16_vgpr17
	s_cbranch_execz .LBB6108_75
; %bb.66:
	s_cmp_eq_u64 s[20:21], 0
	v_mov_b32_e32 v16, s37
	s_cbranch_scc1 .LBB6108_68
; %bb.67:
	v_mov_b32_e32 v3, s39
	v_add_co_u32_e64 v2, vcc, -4, s38
	v_addc_co_u32_e32 v3, vcc, -1, v3, vcc
	flat_load_dword v2, v[2:3]
	v_mov_b32_e32 v3, 0
	global_load_dword v3, v3, s[16:17]
	s_waitcnt vmcnt(0) lgkmcnt(0)
	v_cvt_f32_u32_e32 v2, v2
	v_add_f32_e32 v16, v3, v2
.LBB6108_68:
	v_add_f32_e32 v2, v28, v35
	v_add_f32_e32 v2, v29, v2
	;; [unrolled: 1-line block ×12, first 2 shown]
	v_add_lshl_u32 v1, v1, v0, 2
	v_cmp_gt_u32_e32 vcc, 64, v0
	ds_write_b32 v1, v2
	s_waitcnt lgkmcnt(0)
	s_barrier
	s_and_saveexec_b64 s[8:9], vcc
	s_cbranch_execz .LBB6108_70
; %bb.69:
	v_lshlrev_b32_e32 v1, 1, v0
	v_lshrrev_b32_e32 v3, 4, v0
	v_add_lshl_u32 v1, v3, v1, 2
	ds_read2_b32 v[4:5], v1 offset1:1
	v_mbcnt_lo_u32_b32 v3, -1, 0
	v_mbcnt_hi_u32_b32 v3, -1, v3
	v_and_b32_e32 v6, 15, v3
	v_cmp_eq_u32_e32 vcc, 0, v6
	s_waitcnt lgkmcnt(0)
	v_add_f32_e32 v5, v4, v5
	v_cmp_lt_u32_e64 s[4:5], 3, v6
	v_cmp_lt_u32_e64 s[6:7], 31, v3
	v_mov_b32_dpp v7, v5 row_shr:1 row_mask:0xf bank_mask:0xf
	v_add_f32_e32 v7, v5, v7
	v_cndmask_b32_e32 v5, v7, v5, vcc
	v_cmp_lt_u32_e32 vcc, 1, v6
	s_nop 0
	v_mov_b32_dpp v7, v5 row_shr:2 row_mask:0xf bank_mask:0xf
	v_add_f32_e32 v7, v5, v7
	v_cndmask_b32_e32 v7, v5, v7, vcc
	; wave barrier
	s_nop 1
	v_mov_b32_dpp v8, v7 row_shr:4 row_mask:0xf bank_mask:0xf
	v_add_f32_e32 v8, v7, v8
	v_cndmask_b32_e64 v7, v7, v8, s[4:5]
	v_cmp_lt_u32_e64 s[4:5], 7, v6
	s_nop 0
	v_mov_b32_dpp v8, v7 row_shr:8 row_mask:0xf bank_mask:0xf
	v_add_f32_e32 v8, v7, v8
	v_cndmask_b32_e64 v6, v7, v8, s[4:5]
	v_and_b32_e32 v8, 16, v3
	v_cmp_eq_u32_e64 s[4:5], 0, v8
	v_mov_b32_dpp v7, v6 row_bcast:15 row_mask:0xf bank_mask:0xf
	v_add_f32_e32 v7, v6, v7
	v_cndmask_b32_e64 v6, v7, v6, s[4:5]
	v_cmp_lt_u32_e64 s[4:5], 15, v3
	s_or_b64 vcc, s[4:5], vcc
	v_mov_b32_dpp v7, v6 row_bcast:31 row_mask:0xf bank_mask:0xf
	v_add_f32_e32 v7, v6, v7
	v_cndmask_b32_e64 v6, v6, v7, s[6:7]
	v_cndmask_b32_e32 v5, v5, v6, vcc
	v_add_u32_e32 v6, -1, v3
	v_and_b32_e32 v7, 64, v3
	v_cmp_lt_i32_e32 vcc, v6, v7
	v_cndmask_b32_e32 v3, v6, v3, vcc
	v_lshlrev_b32_e32 v3, 2, v3
	ds_bpermute_b32 v3, v3, v5
	s_waitcnt lgkmcnt(0)
	v_add_f32_e32 v3, v4, v3
	v_cndmask_b32_e64 v2, v3, v2, s[0:1]
	ds_write_b32 v1, v2
	; wave barrier
	ds_read_b32 v3, v1 offset:4
	s_waitcnt lgkmcnt(0)
	v_add_f32_e32 v2, v2, v3
	ds_write_b32 v1, v2 offset:4
.LBB6108_70:
	s_or_b64 exec, exec, s[8:9]
	v_mov_b32_e32 v2, v16
	s_waitcnt lgkmcnt(0)
	s_barrier
	s_and_saveexec_b64 s[4:5], s[2:3]
	s_cbranch_execz .LBB6108_72
; %bb.71:
	v_add_u32_e32 v1, -1, v0
	v_lshrrev_b32_e32 v2, 5, v1
	v_add_lshl_u32 v1, v2, v1, 2
	ds_read_b32 v1, v1
	s_waitcnt lgkmcnt(0)
	v_add_f32_e32 v2, v16, v1
.LBB6108_72:
	s_or_b64 exec, exec, s[4:5]
	v_add_f32_e32 v3, v26, v2
	v_add_f32_e32 v4, v27, v3
	;; [unrolled: 1-line block ×13, first 2 shown]
	s_and_saveexec_b64 s[2:3], s[0:1]
	s_cbranch_execz .LBB6108_74
; %bb.73:
	v_mov_b32_e32 v1, 0
	ds_read_b32 v17, v1 offset:520
	s_waitcnt lgkmcnt(0)
	v_add_f32_e32 v16, v16, v17
	v_mov_b32_e32 v17, 2
	global_store_dwordx2 v1, v[16:17], s[14:15] offset:512
.LBB6108_74:
	s_or_b64 exec, exec, s[2:3]
.LBB6108_75:
	s_add_u32 s0, s28, s26
	s_addc_u32 s1, s29, s27
	s_add_u32 s2, s0, s30
	s_addc_u32 s3, s1, s31
	s_mov_b64 s[0:1], -1
	s_and_b64 vcc, exec, s[24:25]
	s_barrier
	s_cbranch_vccz .LBB6108_77
; %bb.76:
	ds_write2_b64 v34, v[2:3], v[4:5] offset1:1
	ds_write2_b64 v34, v[6:7], v[8:9] offset0:2 offset1:3
	ds_write2_b64 v34, v[10:11], v[12:13] offset0:4 offset1:5
	ds_write_b64 v34, v[14:15] offset:48
	s_waitcnt lgkmcnt(0)
	s_barrier
	ds_read2st64_b32 v[16:17], v32 offset1:2
	ds_read2st64_b32 v[18:19], v32 offset0:4 offset1:6
	ds_read2st64_b32 v[20:21], v32 offset0:8 offset1:10
	;; [unrolled: 1-line block ×6, first 2 shown]
	v_mov_b32_e32 v1, s3
	v_add_co_u32_e32 v30, vcc, s2, v32
	v_addc_co_u32_e32 v31, vcc, 0, v1, vcc
	s_waitcnt lgkmcnt(6)
	flat_store_dword v[30:31], v16
	flat_store_dword v[30:31], v17 offset:512
	s_waitcnt lgkmcnt(0)
	flat_store_dword v[30:31], v18 offset:1024
	flat_store_dword v[30:31], v19 offset:1536
	;; [unrolled: 1-line block ×6, first 2 shown]
	v_add_co_u32_e32 v16, vcc, 0x1000, v30
	v_addc_co_u32_e32 v17, vcc, 0, v31, vcc
	flat_store_dword v[16:17], v24
	flat_store_dword v[16:17], v25 offset:512
	flat_store_dword v[16:17], v26 offset:1024
	;; [unrolled: 1-line block ×5, first 2 shown]
	s_mov_b64 s[0:1], 0
.LBB6108_77:
	s_andn2_b64 vcc, exec, s[0:1]
	s_cbranch_vccnz .LBB6108_157
; %bb.78:
	s_movk_i32 s0, 0xffcc
	ds_write2_b64 v34, v[2:3], v[4:5] offset1:1
	ds_write2_b64 v34, v[6:7], v[8:9] offset0:2 offset1:3
	ds_write2_b64 v34, v[10:11], v[12:13] offset0:4 offset1:5
	ds_write_b64 v34, v[14:15] offset:48
	v_mad_i32_i24 v14, v0, s0, v34
	s_waitcnt lgkmcnt(0)
	s_barrier
	ds_read2st64_b32 v[4:5], v14 offset1:2
	ds_read2st64_b32 v[6:7], v14 offset0:4 offset1:6
	ds_read2st64_b32 v[8:9], v14 offset0:8 offset1:10
	;; [unrolled: 1-line block ×6, first 2 shown]
	v_mov_b32_e32 v17, s3
	v_add_co_u32_e32 v16, vcc, s2, v32
	v_addc_co_u32_e32 v17, vcc, 0, v17, vcc
	v_mov_b32_e32 v1, 0
	v_cmp_gt_u32_e32 vcc, s33, v0
	s_and_saveexec_b64 s[0:1], vcc
	s_cbranch_execz .LBB6108_80
; %bb.79:
	s_waitcnt lgkmcnt(0)
	flat_store_dword v[16:17], v4
.LBB6108_80:
	s_or_b64 exec, exec, s[0:1]
	v_or_b32_e32 v18, 0x80, v0
	v_cmp_gt_u32_e32 vcc, s33, v18
	s_and_saveexec_b64 s[0:1], vcc
	s_cbranch_execz .LBB6108_82
; %bb.81:
	s_waitcnt lgkmcnt(0)
	flat_store_dword v[16:17], v5 offset:512
.LBB6108_82:
	s_or_b64 exec, exec, s[0:1]
	v_or_b32_e32 v18, 0x100, v0
	v_cmp_gt_u32_e32 vcc, s33, v18
	s_and_saveexec_b64 s[0:1], vcc
	s_cbranch_execz .LBB6108_84
; %bb.83:
	s_waitcnt lgkmcnt(0)
	flat_store_dword v[16:17], v6 offset:1024
.LBB6108_84:
	;; [unrolled: 9-line block ×7, first 2 shown]
	s_or_b64 exec, exec, s[0:1]
	v_or_b32_e32 v18, 0x400, v0
	v_cmp_gt_u32_e32 vcc, s33, v18
	s_and_saveexec_b64 s[0:1], vcc
	s_cbranch_execz .LBB6108_96
; %bb.95:
	v_add_co_u32_e32 v18, vcc, 0x1000, v16
	v_addc_co_u32_e32 v19, vcc, 0, v17, vcc
	s_waitcnt lgkmcnt(0)
	flat_store_dword v[18:19], v12
.LBB6108_96:
	s_or_b64 exec, exec, s[0:1]
	v_or_b32_e32 v18, 0x480, v0
	v_cmp_gt_u32_e32 vcc, s33, v18
	s_and_saveexec_b64 s[0:1], vcc
	s_cbranch_execz .LBB6108_98
; %bb.97:
	v_add_co_u32_e32 v18, vcc, 0x1000, v16
	v_addc_co_u32_e32 v19, vcc, 0, v17, vcc
	s_waitcnt lgkmcnt(0)
	flat_store_dword v[18:19], v13 offset:512
.LBB6108_98:
	s_or_b64 exec, exec, s[0:1]
	v_or_b32_e32 v18, 0x500, v0
	v_cmp_gt_u32_e32 vcc, s33, v18
	s_and_saveexec_b64 s[0:1], vcc
	s_cbranch_execz .LBB6108_100
; %bb.99:
	v_add_co_u32_e32 v18, vcc, 0x1000, v16
	v_addc_co_u32_e32 v19, vcc, 0, v17, vcc
	s_waitcnt lgkmcnt(0)
	flat_store_dword v[18:19], v10 offset:1024
.LBB6108_100:
	;; [unrolled: 11-line block ×5, first 2 shown]
	s_or_b64 exec, exec, s[0:1]
	v_cmp_lt_u64_e64 s[0:1], s[22:23], 2
	s_and_b64 vcc, exec, s[0:1]
	s_cbranch_vccnz .LBB6108_157
; %bb.107:
	s_add_u32 s0, s33, -1
	s_addc_u32 s1, s36, -1
	s_add_u32 s2, 0, 0x49240800
	s_addc_u32 s3, 0, 50
	s_add_i32 s3, s3, 0x12492460
	s_mul_hi_u32 s7, s2, -14
	s_sub_i32 s7, s7, s2
	s_mul_i32 s8, s3, -14
	s_mul_i32 s4, s2, -14
	s_add_i32 s7, s7, s8
	s_mul_hi_u32 s5, s3, s4
	s_mul_i32 s6, s3, s4
	s_mul_i32 s9, s2, s7
	s_mul_hi_u32 s4, s2, s4
	s_mul_hi_u32 s8, s2, s7
	s_add_u32 s4, s4, s9
	s_addc_u32 s8, 0, s8
	s_add_u32 s4, s4, s6
	s_mul_hi_u32 s9, s3, s7
	s_addc_u32 s4, s8, s5
	s_addc_u32 s5, s9, 0
	s_mul_i32 s6, s3, s7
	s_add_u32 s4, s4, s6
	v_mov_b32_e32 v16, s4
	s_addc_u32 s5, 0, s5
	v_add_co_u32_e32 v16, vcc, s2, v16
	s_cmp_lg_u64 vcc, 0
	s_addc_u32 s2, s3, s5
	v_readfirstlane_b32 s5, v16
	s_mul_i32 s4, s0, s2
	s_mul_hi_u32 s6, s0, s5
	s_mul_hi_u32 s3, s0, s2
	s_add_u32 s4, s6, s4
	s_addc_u32 s3, 0, s3
	s_mul_hi_u32 s7, s1, s5
	s_mul_i32 s5, s1, s5
	s_add_u32 s4, s4, s5
	s_mul_hi_u32 s6, s1, s2
	s_addc_u32 s3, s3, s7
	s_addc_u32 s4, s6, 0
	s_mul_i32 s2, s1, s2
	s_add_u32 s2, s3, s2
	s_addc_u32 s3, 0, s4
	s_add_u32 s4, s2, 1
	s_addc_u32 s5, s3, 0
	s_add_u32 s6, s2, 2
	s_mul_i32 s8, s3, 14
	s_mul_hi_u32 s9, s2, 14
	s_addc_u32 s7, s3, 0
	s_add_i32 s9, s9, s8
	s_mul_i32 s8, s2, 14
	v_mov_b32_e32 v16, s8
	v_sub_co_u32_e32 v16, vcc, s0, v16
	s_cmp_lg_u64 vcc, 0
	s_subb_u32 s8, s1, s9
	v_subrev_co_u32_e32 v17, vcc, 14, v16
	s_cmp_lg_u64 vcc, 0
	s_subb_u32 s9, s8, 0
	v_readfirstlane_b32 s10, v17
	s_cmp_gt_u32 s10, 13
	s_cselect_b32 s10, -1, 0
	s_cmp_eq_u32 s9, 0
	s_cselect_b32 s9, s10, -1
	s_cmp_lg_u32 s9, 0
	s_cselect_b32 s4, s6, s4
	v_readfirstlane_b32 s6, v16
	s_cselect_b32 s5, s7, s5
	s_cmp_gt_u32 s6, 13
	s_cselect_b32 s6, -1, 0
	s_cmp_eq_u32 s8, 0
	s_cselect_b32 s6, s6, -1
	s_cmp_lg_u32 s6, 0
	s_cselect_b32 s3, s5, s3
	s_cselect_b32 s2, s4, s2
	v_cmp_eq_u64_e32 vcc, s[2:3], v[0:1]
	s_and_saveexec_b64 s[2:3], vcc
	s_cbranch_execz .LBB6108_157
; %bb.108:
	v_mul_hi_u32_u24_e32 v1, 14, v0
	v_mov_b32_e32 v16, s1
	v_sub_co_u32_e32 v0, vcc, s0, v33
	v_subb_co_u32_e32 v1, vcc, v16, v1, vcc
	v_cmp_lt_i64_e32 vcc, 6, v[0:1]
	s_and_saveexec_b64 s[0:1], vcc
	s_xor_b64 s[0:1], exec, s[0:1]
	s_cbranch_execz .LBB6108_134
; %bb.109:
	v_cmp_lt_i64_e32 vcc, 9, v[0:1]
	s_and_saveexec_b64 s[2:3], vcc
	s_xor_b64 s[2:3], exec, s[2:3]
	s_cbranch_execz .LBB6108_123
; %bb.110:
	;; [unrolled: 5-line block ×4, first 2 shown]
	v_mov_b32_e32 v0, 0
	s_waitcnt lgkmcnt(0)
	global_store_dword v0, v15, s[18:19]
                                        ; implicit-def: $vgpr14_vgpr15
.LBB6108_113:
	s_andn2_saveexec_b64 s[6:7], s[6:7]
	s_cbranch_execz .LBB6108_115
; %bb.114:
	v_mov_b32_e32 v0, 0
	s_waitcnt lgkmcnt(0)
	global_store_dword v0, v14, s[18:19]
.LBB6108_115:
	s_or_b64 exec, exec, s[6:7]
                                        ; implicit-def: $vgpr10_vgpr11
                                        ; implicit-def: $vgpr0_vgpr1
.LBB6108_116:
	s_andn2_saveexec_b64 s[4:5], s[4:5]
	s_cbranch_execz .LBB6108_122
; %bb.117:
	v_cmp_lt_i64_e32 vcc, 10, v[0:1]
	s_and_saveexec_b64 s[6:7], vcc
	s_xor_b64 s[6:7], exec, s[6:7]
	s_cbranch_execz .LBB6108_119
; %bb.118:
	v_mov_b32_e32 v0, 0
	s_waitcnt lgkmcnt(0)
	global_store_dword v0, v11, s[18:19]
                                        ; implicit-def: $vgpr10_vgpr11
.LBB6108_119:
	s_andn2_saveexec_b64 s[6:7], s[6:7]
	s_cbranch_execz .LBB6108_121
; %bb.120:
	v_mov_b32_e32 v0, 0
	s_waitcnt lgkmcnt(0)
	global_store_dword v0, v10, s[18:19]
.LBB6108_121:
	s_or_b64 exec, exec, s[6:7]
.LBB6108_122:
	s_or_b64 exec, exec, s[4:5]
                                        ; implicit-def: $vgpr2_vgpr3
                                        ; implicit-def: $vgpr0_vgpr1
                                        ; implicit-def: $vgpr12_vgpr13
.LBB6108_123:
	s_andn2_saveexec_b64 s[2:3], s[2:3]
	s_cbranch_execz .LBB6108_133
; %bb.124:
	v_cmp_lt_i64_e32 vcc, 7, v[0:1]
	s_and_saveexec_b64 s[4:5], vcc
	s_xor_b64 s[4:5], exec, s[4:5]
	s_cbranch_execz .LBB6108_130
; %bb.125:
	v_cmp_lt_i64_e32 vcc, 8, v[0:1]
	s_and_saveexec_b64 s[6:7], vcc
	s_xor_b64 s[6:7], exec, s[6:7]
	s_cbranch_execz .LBB6108_127
; %bb.126:
	v_mov_b32_e32 v0, 0
	s_waitcnt lgkmcnt(0)
	global_store_dword v0, v13, s[18:19]
                                        ; implicit-def: $vgpr12_vgpr13
.LBB6108_127:
	s_andn2_saveexec_b64 s[6:7], s[6:7]
	s_cbranch_execz .LBB6108_129
; %bb.128:
	v_mov_b32_e32 v0, 0
	s_waitcnt lgkmcnt(0)
	global_store_dword v0, v12, s[18:19]
.LBB6108_129:
	s_or_b64 exec, exec, s[6:7]
                                        ; implicit-def: $vgpr2_vgpr3
.LBB6108_130:
	s_andn2_saveexec_b64 s[4:5], s[4:5]
	s_cbranch_execz .LBB6108_132
; %bb.131:
	v_mov_b32_e32 v0, 0
	s_waitcnt lgkmcnt(0)
	global_store_dword v0, v3, s[18:19]
.LBB6108_132:
	s_or_b64 exec, exec, s[4:5]
.LBB6108_133:
	s_or_b64 exec, exec, s[2:3]
                                        ; implicit-def: $vgpr0_vgpr1
                                        ; implicit-def: $vgpr8_vgpr9
                                        ; implicit-def: $vgpr4_vgpr5
                                        ; implicit-def: $vgpr6_vgpr7
                                        ; implicit-def: $vgpr2_vgpr3
.LBB6108_134:
	s_andn2_saveexec_b64 s[0:1], s[0:1]
	s_cbranch_execz .LBB6108_157
; %bb.135:
	v_cmp_lt_i64_e32 vcc, 3, v[0:1]
	s_and_saveexec_b64 s[0:1], vcc
	s_xor_b64 s[0:1], exec, s[0:1]
	s_cbranch_execz .LBB6108_145
; %bb.136:
	v_cmp_lt_i64_e32 vcc, 4, v[0:1]
	s_and_saveexec_b64 s[2:3], vcc
	s_xor_b64 s[2:3], exec, s[2:3]
	;; [unrolled: 5-line block ×3, first 2 shown]
	s_cbranch_execz .LBB6108_139
; %bb.138:
	v_mov_b32_e32 v0, 0
	s_waitcnt lgkmcnt(0)
	global_store_dword v0, v2, s[18:19]
                                        ; implicit-def: $vgpr8_vgpr9
.LBB6108_139:
	s_andn2_saveexec_b64 s[4:5], s[4:5]
	s_cbranch_execz .LBB6108_141
; %bb.140:
	v_mov_b32_e32 v0, 0
	s_waitcnt lgkmcnt(0)
	global_store_dword v0, v9, s[18:19]
.LBB6108_141:
	s_or_b64 exec, exec, s[4:5]
                                        ; implicit-def: $vgpr8_vgpr9
.LBB6108_142:
	s_andn2_saveexec_b64 s[2:3], s[2:3]
	s_cbranch_execz .LBB6108_144
; %bb.143:
	v_mov_b32_e32 v0, 0
	s_waitcnt lgkmcnt(0)
	global_store_dword v0, v8, s[18:19]
.LBB6108_144:
	s_or_b64 exec, exec, s[2:3]
                                        ; implicit-def: $vgpr0_vgpr1
                                        ; implicit-def: $vgpr4_vgpr5
                                        ; implicit-def: $vgpr6_vgpr7
.LBB6108_145:
	s_andn2_saveexec_b64 s[0:1], s[0:1]
	s_cbranch_execz .LBB6108_157
; %bb.146:
	v_cmp_lt_i64_e32 vcc, 1, v[0:1]
	s_and_saveexec_b64 s[0:1], vcc
	s_xor_b64 s[0:1], exec, s[0:1]
	s_cbranch_execz .LBB6108_152
; %bb.147:
	v_cmp_lt_i64_e32 vcc, 2, v[0:1]
	s_and_saveexec_b64 s[2:3], vcc
	s_xor_b64 s[2:3], exec, s[2:3]
	s_cbranch_execz .LBB6108_149
; %bb.148:
	v_mov_b32_e32 v0, 0
	s_waitcnt lgkmcnt(0)
	global_store_dword v0, v7, s[18:19]
                                        ; implicit-def: $vgpr6_vgpr7
.LBB6108_149:
	s_andn2_saveexec_b64 s[2:3], s[2:3]
	s_cbranch_execz .LBB6108_151
; %bb.150:
	v_mov_b32_e32 v0, 0
	s_waitcnt lgkmcnt(0)
	global_store_dword v0, v6, s[18:19]
.LBB6108_151:
	s_or_b64 exec, exec, s[2:3]
                                        ; implicit-def: $vgpr4_vgpr5
                                        ; implicit-def: $vgpr0_vgpr1
.LBB6108_152:
	s_andn2_saveexec_b64 s[0:1], s[0:1]
	s_cbranch_execz .LBB6108_157
; %bb.153:
	v_cmp_ne_u64_e32 vcc, 1, v[0:1]
	s_and_saveexec_b64 s[0:1], vcc
	s_xor_b64 s[0:1], exec, s[0:1]
	s_cbranch_execz .LBB6108_155
; %bb.154:
	v_mov_b32_e32 v0, 0
	s_waitcnt lgkmcnt(0)
	global_store_dword v0, v4, s[18:19]
                                        ; implicit-def: $vgpr4_vgpr5
.LBB6108_155:
	s_andn2_saveexec_b64 s[0:1], s[0:1]
	s_cbranch_execz .LBB6108_157
; %bb.156:
	v_mov_b32_e32 v0, 0
	s_waitcnt lgkmcnt(0)
	global_store_dword v0, v5, s[18:19]
.LBB6108_157:
	s_endpgm
	.section	.rodata,"a",@progbits
	.p2align	6, 0x0
	.amdhsa_kernel _ZN7rocprim17ROCPRIM_400000_NS6detail17trampoline_kernelINS0_14default_configENS1_20scan_config_selectorIfEEZZNS1_9scan_implILNS1_25lookback_scan_determinismE0ELb1ELb1ES3_N6thrust23THRUST_200600_302600_NS6detail15normal_iteratorINS9_10device_ptrIjEEEENSB_INSC_IfEEEEfNS9_4plusIvEEfEEDaPvRmT3_T4_T5_mT6_P12ihipStream_tbENKUlT_T0_E_clISt17integral_constantIbLb1EESW_EEDaSR_SS_EUlSR_E_NS1_11comp_targetILNS1_3genE4ELNS1_11target_archE910ELNS1_3gpuE8ELNS1_3repE0EEENS1_30default_config_static_selectorELNS0_4arch9wavefront6targetE1EEEvT1_
		.amdhsa_group_segment_fixed_size 7168
		.amdhsa_private_segment_fixed_size 0
		.amdhsa_kernarg_size 96
		.amdhsa_user_sgpr_count 6
		.amdhsa_user_sgpr_private_segment_buffer 1
		.amdhsa_user_sgpr_dispatch_ptr 0
		.amdhsa_user_sgpr_queue_ptr 0
		.amdhsa_user_sgpr_kernarg_segment_ptr 1
		.amdhsa_user_sgpr_dispatch_id 0
		.amdhsa_user_sgpr_flat_scratch_init 0
		.amdhsa_user_sgpr_kernarg_preload_length 0
		.amdhsa_user_sgpr_kernarg_preload_offset 0
		.amdhsa_user_sgpr_private_segment_size 0
		.amdhsa_uses_dynamic_stack 0
		.amdhsa_system_sgpr_private_segment_wavefront_offset 0
		.amdhsa_system_sgpr_workgroup_id_x 1
		.amdhsa_system_sgpr_workgroup_id_y 0
		.amdhsa_system_sgpr_workgroup_id_z 0
		.amdhsa_system_sgpr_workgroup_info 0
		.amdhsa_system_vgpr_workitem_id 0
		.amdhsa_next_free_vgpr 49
		.amdhsa_next_free_sgpr 41
		.amdhsa_accum_offset 52
		.amdhsa_reserve_vcc 1
		.amdhsa_reserve_flat_scratch 0
		.amdhsa_float_round_mode_32 0
		.amdhsa_float_round_mode_16_64 0
		.amdhsa_float_denorm_mode_32 3
		.amdhsa_float_denorm_mode_16_64 3
		.amdhsa_dx10_clamp 1
		.amdhsa_ieee_mode 1
		.amdhsa_fp16_overflow 0
		.amdhsa_tg_split 0
		.amdhsa_exception_fp_ieee_invalid_op 0
		.amdhsa_exception_fp_denorm_src 0
		.amdhsa_exception_fp_ieee_div_zero 0
		.amdhsa_exception_fp_ieee_overflow 0
		.amdhsa_exception_fp_ieee_underflow 0
		.amdhsa_exception_fp_ieee_inexact 0
		.amdhsa_exception_int_div_zero 0
	.end_amdhsa_kernel
	.section	.text._ZN7rocprim17ROCPRIM_400000_NS6detail17trampoline_kernelINS0_14default_configENS1_20scan_config_selectorIfEEZZNS1_9scan_implILNS1_25lookback_scan_determinismE0ELb1ELb1ES3_N6thrust23THRUST_200600_302600_NS6detail15normal_iteratorINS9_10device_ptrIjEEEENSB_INSC_IfEEEEfNS9_4plusIvEEfEEDaPvRmT3_T4_T5_mT6_P12ihipStream_tbENKUlT_T0_E_clISt17integral_constantIbLb1EESW_EEDaSR_SS_EUlSR_E_NS1_11comp_targetILNS1_3genE4ELNS1_11target_archE910ELNS1_3gpuE8ELNS1_3repE0EEENS1_30default_config_static_selectorELNS0_4arch9wavefront6targetE1EEEvT1_,"axG",@progbits,_ZN7rocprim17ROCPRIM_400000_NS6detail17trampoline_kernelINS0_14default_configENS1_20scan_config_selectorIfEEZZNS1_9scan_implILNS1_25lookback_scan_determinismE0ELb1ELb1ES3_N6thrust23THRUST_200600_302600_NS6detail15normal_iteratorINS9_10device_ptrIjEEEENSB_INSC_IfEEEEfNS9_4plusIvEEfEEDaPvRmT3_T4_T5_mT6_P12ihipStream_tbENKUlT_T0_E_clISt17integral_constantIbLb1EESW_EEDaSR_SS_EUlSR_E_NS1_11comp_targetILNS1_3genE4ELNS1_11target_archE910ELNS1_3gpuE8ELNS1_3repE0EEENS1_30default_config_static_selectorELNS0_4arch9wavefront6targetE1EEEvT1_,comdat
.Lfunc_end6108:
	.size	_ZN7rocprim17ROCPRIM_400000_NS6detail17trampoline_kernelINS0_14default_configENS1_20scan_config_selectorIfEEZZNS1_9scan_implILNS1_25lookback_scan_determinismE0ELb1ELb1ES3_N6thrust23THRUST_200600_302600_NS6detail15normal_iteratorINS9_10device_ptrIjEEEENSB_INSC_IfEEEEfNS9_4plusIvEEfEEDaPvRmT3_T4_T5_mT6_P12ihipStream_tbENKUlT_T0_E_clISt17integral_constantIbLb1EESW_EEDaSR_SS_EUlSR_E_NS1_11comp_targetILNS1_3genE4ELNS1_11target_archE910ELNS1_3gpuE8ELNS1_3repE0EEENS1_30default_config_static_selectorELNS0_4arch9wavefront6targetE1EEEvT1_, .Lfunc_end6108-_ZN7rocprim17ROCPRIM_400000_NS6detail17trampoline_kernelINS0_14default_configENS1_20scan_config_selectorIfEEZZNS1_9scan_implILNS1_25lookback_scan_determinismE0ELb1ELb1ES3_N6thrust23THRUST_200600_302600_NS6detail15normal_iteratorINS9_10device_ptrIjEEEENSB_INSC_IfEEEEfNS9_4plusIvEEfEEDaPvRmT3_T4_T5_mT6_P12ihipStream_tbENKUlT_T0_E_clISt17integral_constantIbLb1EESW_EEDaSR_SS_EUlSR_E_NS1_11comp_targetILNS1_3genE4ELNS1_11target_archE910ELNS1_3gpuE8ELNS1_3repE0EEENS1_30default_config_static_selectorELNS0_4arch9wavefront6targetE1EEEvT1_
                                        ; -- End function
	.section	.AMDGPU.csdata,"",@progbits
; Kernel info:
; codeLenInByte = 5936
; NumSgprs: 45
; NumVgprs: 49
; NumAgprs: 0
; TotalNumVgprs: 49
; ScratchSize: 0
; MemoryBound: 0
; FloatMode: 240
; IeeeMode: 1
; LDSByteSize: 7168 bytes/workgroup (compile time only)
; SGPRBlocks: 5
; VGPRBlocks: 6
; NumSGPRsForWavesPerEU: 45
; NumVGPRsForWavesPerEU: 49
; AccumOffset: 52
; Occupancy: 5
; WaveLimiterHint : 1
; COMPUTE_PGM_RSRC2:SCRATCH_EN: 0
; COMPUTE_PGM_RSRC2:USER_SGPR: 6
; COMPUTE_PGM_RSRC2:TRAP_HANDLER: 0
; COMPUTE_PGM_RSRC2:TGID_X_EN: 1
; COMPUTE_PGM_RSRC2:TGID_Y_EN: 0
; COMPUTE_PGM_RSRC2:TGID_Z_EN: 0
; COMPUTE_PGM_RSRC2:TIDIG_COMP_CNT: 0
; COMPUTE_PGM_RSRC3_GFX90A:ACCUM_OFFSET: 12
; COMPUTE_PGM_RSRC3_GFX90A:TG_SPLIT: 0
	.section	.text._ZN7rocprim17ROCPRIM_400000_NS6detail17trampoline_kernelINS0_14default_configENS1_20scan_config_selectorIfEEZZNS1_9scan_implILNS1_25lookback_scan_determinismE0ELb1ELb1ES3_N6thrust23THRUST_200600_302600_NS6detail15normal_iteratorINS9_10device_ptrIjEEEENSB_INSC_IfEEEEfNS9_4plusIvEEfEEDaPvRmT3_T4_T5_mT6_P12ihipStream_tbENKUlT_T0_E_clISt17integral_constantIbLb1EESW_EEDaSR_SS_EUlSR_E_NS1_11comp_targetILNS1_3genE3ELNS1_11target_archE908ELNS1_3gpuE7ELNS1_3repE0EEENS1_30default_config_static_selectorELNS0_4arch9wavefront6targetE1EEEvT1_,"axG",@progbits,_ZN7rocprim17ROCPRIM_400000_NS6detail17trampoline_kernelINS0_14default_configENS1_20scan_config_selectorIfEEZZNS1_9scan_implILNS1_25lookback_scan_determinismE0ELb1ELb1ES3_N6thrust23THRUST_200600_302600_NS6detail15normal_iteratorINS9_10device_ptrIjEEEENSB_INSC_IfEEEEfNS9_4plusIvEEfEEDaPvRmT3_T4_T5_mT6_P12ihipStream_tbENKUlT_T0_E_clISt17integral_constantIbLb1EESW_EEDaSR_SS_EUlSR_E_NS1_11comp_targetILNS1_3genE3ELNS1_11target_archE908ELNS1_3gpuE7ELNS1_3repE0EEENS1_30default_config_static_selectorELNS0_4arch9wavefront6targetE1EEEvT1_,comdat
	.protected	_ZN7rocprim17ROCPRIM_400000_NS6detail17trampoline_kernelINS0_14default_configENS1_20scan_config_selectorIfEEZZNS1_9scan_implILNS1_25lookback_scan_determinismE0ELb1ELb1ES3_N6thrust23THRUST_200600_302600_NS6detail15normal_iteratorINS9_10device_ptrIjEEEENSB_INSC_IfEEEEfNS9_4plusIvEEfEEDaPvRmT3_T4_T5_mT6_P12ihipStream_tbENKUlT_T0_E_clISt17integral_constantIbLb1EESW_EEDaSR_SS_EUlSR_E_NS1_11comp_targetILNS1_3genE3ELNS1_11target_archE908ELNS1_3gpuE7ELNS1_3repE0EEENS1_30default_config_static_selectorELNS0_4arch9wavefront6targetE1EEEvT1_ ; -- Begin function _ZN7rocprim17ROCPRIM_400000_NS6detail17trampoline_kernelINS0_14default_configENS1_20scan_config_selectorIfEEZZNS1_9scan_implILNS1_25lookback_scan_determinismE0ELb1ELb1ES3_N6thrust23THRUST_200600_302600_NS6detail15normal_iteratorINS9_10device_ptrIjEEEENSB_INSC_IfEEEEfNS9_4plusIvEEfEEDaPvRmT3_T4_T5_mT6_P12ihipStream_tbENKUlT_T0_E_clISt17integral_constantIbLb1EESW_EEDaSR_SS_EUlSR_E_NS1_11comp_targetILNS1_3genE3ELNS1_11target_archE908ELNS1_3gpuE7ELNS1_3repE0EEENS1_30default_config_static_selectorELNS0_4arch9wavefront6targetE1EEEvT1_
	.globl	_ZN7rocprim17ROCPRIM_400000_NS6detail17trampoline_kernelINS0_14default_configENS1_20scan_config_selectorIfEEZZNS1_9scan_implILNS1_25lookback_scan_determinismE0ELb1ELb1ES3_N6thrust23THRUST_200600_302600_NS6detail15normal_iteratorINS9_10device_ptrIjEEEENSB_INSC_IfEEEEfNS9_4plusIvEEfEEDaPvRmT3_T4_T5_mT6_P12ihipStream_tbENKUlT_T0_E_clISt17integral_constantIbLb1EESW_EEDaSR_SS_EUlSR_E_NS1_11comp_targetILNS1_3genE3ELNS1_11target_archE908ELNS1_3gpuE7ELNS1_3repE0EEENS1_30default_config_static_selectorELNS0_4arch9wavefront6targetE1EEEvT1_
	.p2align	8
	.type	_ZN7rocprim17ROCPRIM_400000_NS6detail17trampoline_kernelINS0_14default_configENS1_20scan_config_selectorIfEEZZNS1_9scan_implILNS1_25lookback_scan_determinismE0ELb1ELb1ES3_N6thrust23THRUST_200600_302600_NS6detail15normal_iteratorINS9_10device_ptrIjEEEENSB_INSC_IfEEEEfNS9_4plusIvEEfEEDaPvRmT3_T4_T5_mT6_P12ihipStream_tbENKUlT_T0_E_clISt17integral_constantIbLb1EESW_EEDaSR_SS_EUlSR_E_NS1_11comp_targetILNS1_3genE3ELNS1_11target_archE908ELNS1_3gpuE7ELNS1_3repE0EEENS1_30default_config_static_selectorELNS0_4arch9wavefront6targetE1EEEvT1_,@function
_ZN7rocprim17ROCPRIM_400000_NS6detail17trampoline_kernelINS0_14default_configENS1_20scan_config_selectorIfEEZZNS1_9scan_implILNS1_25lookback_scan_determinismE0ELb1ELb1ES3_N6thrust23THRUST_200600_302600_NS6detail15normal_iteratorINS9_10device_ptrIjEEEENSB_INSC_IfEEEEfNS9_4plusIvEEfEEDaPvRmT3_T4_T5_mT6_P12ihipStream_tbENKUlT_T0_E_clISt17integral_constantIbLb1EESW_EEDaSR_SS_EUlSR_E_NS1_11comp_targetILNS1_3genE3ELNS1_11target_archE908ELNS1_3gpuE7ELNS1_3repE0EEENS1_30default_config_static_selectorELNS0_4arch9wavefront6targetE1EEEvT1_: ; @_ZN7rocprim17ROCPRIM_400000_NS6detail17trampoline_kernelINS0_14default_configENS1_20scan_config_selectorIfEEZZNS1_9scan_implILNS1_25lookback_scan_determinismE0ELb1ELb1ES3_N6thrust23THRUST_200600_302600_NS6detail15normal_iteratorINS9_10device_ptrIjEEEENSB_INSC_IfEEEEfNS9_4plusIvEEfEEDaPvRmT3_T4_T5_mT6_P12ihipStream_tbENKUlT_T0_E_clISt17integral_constantIbLb1EESW_EEDaSR_SS_EUlSR_E_NS1_11comp_targetILNS1_3genE3ELNS1_11target_archE908ELNS1_3gpuE7ELNS1_3repE0EEENS1_30default_config_static_selectorELNS0_4arch9wavefront6targetE1EEEvT1_
; %bb.0:
	.section	.rodata,"a",@progbits
	.p2align	6, 0x0
	.amdhsa_kernel _ZN7rocprim17ROCPRIM_400000_NS6detail17trampoline_kernelINS0_14default_configENS1_20scan_config_selectorIfEEZZNS1_9scan_implILNS1_25lookback_scan_determinismE0ELb1ELb1ES3_N6thrust23THRUST_200600_302600_NS6detail15normal_iteratorINS9_10device_ptrIjEEEENSB_INSC_IfEEEEfNS9_4plusIvEEfEEDaPvRmT3_T4_T5_mT6_P12ihipStream_tbENKUlT_T0_E_clISt17integral_constantIbLb1EESW_EEDaSR_SS_EUlSR_E_NS1_11comp_targetILNS1_3genE3ELNS1_11target_archE908ELNS1_3gpuE7ELNS1_3repE0EEENS1_30default_config_static_selectorELNS0_4arch9wavefront6targetE1EEEvT1_
		.amdhsa_group_segment_fixed_size 0
		.amdhsa_private_segment_fixed_size 0
		.amdhsa_kernarg_size 96
		.amdhsa_user_sgpr_count 6
		.amdhsa_user_sgpr_private_segment_buffer 1
		.amdhsa_user_sgpr_dispatch_ptr 0
		.amdhsa_user_sgpr_queue_ptr 0
		.amdhsa_user_sgpr_kernarg_segment_ptr 1
		.amdhsa_user_sgpr_dispatch_id 0
		.amdhsa_user_sgpr_flat_scratch_init 0
		.amdhsa_user_sgpr_kernarg_preload_length 0
		.amdhsa_user_sgpr_kernarg_preload_offset 0
		.amdhsa_user_sgpr_private_segment_size 0
		.amdhsa_uses_dynamic_stack 0
		.amdhsa_system_sgpr_private_segment_wavefront_offset 0
		.amdhsa_system_sgpr_workgroup_id_x 1
		.amdhsa_system_sgpr_workgroup_id_y 0
		.amdhsa_system_sgpr_workgroup_id_z 0
		.amdhsa_system_sgpr_workgroup_info 0
		.amdhsa_system_vgpr_workitem_id 0
		.amdhsa_next_free_vgpr 1
		.amdhsa_next_free_sgpr 0
		.amdhsa_accum_offset 4
		.amdhsa_reserve_vcc 0
		.amdhsa_reserve_flat_scratch 0
		.amdhsa_float_round_mode_32 0
		.amdhsa_float_round_mode_16_64 0
		.amdhsa_float_denorm_mode_32 3
		.amdhsa_float_denorm_mode_16_64 3
		.amdhsa_dx10_clamp 1
		.amdhsa_ieee_mode 1
		.amdhsa_fp16_overflow 0
		.amdhsa_tg_split 0
		.amdhsa_exception_fp_ieee_invalid_op 0
		.amdhsa_exception_fp_denorm_src 0
		.amdhsa_exception_fp_ieee_div_zero 0
		.amdhsa_exception_fp_ieee_overflow 0
		.amdhsa_exception_fp_ieee_underflow 0
		.amdhsa_exception_fp_ieee_inexact 0
		.amdhsa_exception_int_div_zero 0
	.end_amdhsa_kernel
	.section	.text._ZN7rocprim17ROCPRIM_400000_NS6detail17trampoline_kernelINS0_14default_configENS1_20scan_config_selectorIfEEZZNS1_9scan_implILNS1_25lookback_scan_determinismE0ELb1ELb1ES3_N6thrust23THRUST_200600_302600_NS6detail15normal_iteratorINS9_10device_ptrIjEEEENSB_INSC_IfEEEEfNS9_4plusIvEEfEEDaPvRmT3_T4_T5_mT6_P12ihipStream_tbENKUlT_T0_E_clISt17integral_constantIbLb1EESW_EEDaSR_SS_EUlSR_E_NS1_11comp_targetILNS1_3genE3ELNS1_11target_archE908ELNS1_3gpuE7ELNS1_3repE0EEENS1_30default_config_static_selectorELNS0_4arch9wavefront6targetE1EEEvT1_,"axG",@progbits,_ZN7rocprim17ROCPRIM_400000_NS6detail17trampoline_kernelINS0_14default_configENS1_20scan_config_selectorIfEEZZNS1_9scan_implILNS1_25lookback_scan_determinismE0ELb1ELb1ES3_N6thrust23THRUST_200600_302600_NS6detail15normal_iteratorINS9_10device_ptrIjEEEENSB_INSC_IfEEEEfNS9_4plusIvEEfEEDaPvRmT3_T4_T5_mT6_P12ihipStream_tbENKUlT_T0_E_clISt17integral_constantIbLb1EESW_EEDaSR_SS_EUlSR_E_NS1_11comp_targetILNS1_3genE3ELNS1_11target_archE908ELNS1_3gpuE7ELNS1_3repE0EEENS1_30default_config_static_selectorELNS0_4arch9wavefront6targetE1EEEvT1_,comdat
.Lfunc_end6109:
	.size	_ZN7rocprim17ROCPRIM_400000_NS6detail17trampoline_kernelINS0_14default_configENS1_20scan_config_selectorIfEEZZNS1_9scan_implILNS1_25lookback_scan_determinismE0ELb1ELb1ES3_N6thrust23THRUST_200600_302600_NS6detail15normal_iteratorINS9_10device_ptrIjEEEENSB_INSC_IfEEEEfNS9_4plusIvEEfEEDaPvRmT3_T4_T5_mT6_P12ihipStream_tbENKUlT_T0_E_clISt17integral_constantIbLb1EESW_EEDaSR_SS_EUlSR_E_NS1_11comp_targetILNS1_3genE3ELNS1_11target_archE908ELNS1_3gpuE7ELNS1_3repE0EEENS1_30default_config_static_selectorELNS0_4arch9wavefront6targetE1EEEvT1_, .Lfunc_end6109-_ZN7rocprim17ROCPRIM_400000_NS6detail17trampoline_kernelINS0_14default_configENS1_20scan_config_selectorIfEEZZNS1_9scan_implILNS1_25lookback_scan_determinismE0ELb1ELb1ES3_N6thrust23THRUST_200600_302600_NS6detail15normal_iteratorINS9_10device_ptrIjEEEENSB_INSC_IfEEEEfNS9_4plusIvEEfEEDaPvRmT3_T4_T5_mT6_P12ihipStream_tbENKUlT_T0_E_clISt17integral_constantIbLb1EESW_EEDaSR_SS_EUlSR_E_NS1_11comp_targetILNS1_3genE3ELNS1_11target_archE908ELNS1_3gpuE7ELNS1_3repE0EEENS1_30default_config_static_selectorELNS0_4arch9wavefront6targetE1EEEvT1_
                                        ; -- End function
	.section	.AMDGPU.csdata,"",@progbits
; Kernel info:
; codeLenInByte = 0
; NumSgprs: 4
; NumVgprs: 0
; NumAgprs: 0
; TotalNumVgprs: 0
; ScratchSize: 0
; MemoryBound: 0
; FloatMode: 240
; IeeeMode: 1
; LDSByteSize: 0 bytes/workgroup (compile time only)
; SGPRBlocks: 0
; VGPRBlocks: 0
; NumSGPRsForWavesPerEU: 4
; NumVGPRsForWavesPerEU: 1
; AccumOffset: 4
; Occupancy: 8
; WaveLimiterHint : 0
; COMPUTE_PGM_RSRC2:SCRATCH_EN: 0
; COMPUTE_PGM_RSRC2:USER_SGPR: 6
; COMPUTE_PGM_RSRC2:TRAP_HANDLER: 0
; COMPUTE_PGM_RSRC2:TGID_X_EN: 1
; COMPUTE_PGM_RSRC2:TGID_Y_EN: 0
; COMPUTE_PGM_RSRC2:TGID_Z_EN: 0
; COMPUTE_PGM_RSRC2:TIDIG_COMP_CNT: 0
; COMPUTE_PGM_RSRC3_GFX90A:ACCUM_OFFSET: 0
; COMPUTE_PGM_RSRC3_GFX90A:TG_SPLIT: 0
	.section	.text._ZN7rocprim17ROCPRIM_400000_NS6detail17trampoline_kernelINS0_14default_configENS1_20scan_config_selectorIfEEZZNS1_9scan_implILNS1_25lookback_scan_determinismE0ELb1ELb1ES3_N6thrust23THRUST_200600_302600_NS6detail15normal_iteratorINS9_10device_ptrIjEEEENSB_INSC_IfEEEEfNS9_4plusIvEEfEEDaPvRmT3_T4_T5_mT6_P12ihipStream_tbENKUlT_T0_E_clISt17integral_constantIbLb1EESW_EEDaSR_SS_EUlSR_E_NS1_11comp_targetILNS1_3genE2ELNS1_11target_archE906ELNS1_3gpuE6ELNS1_3repE0EEENS1_30default_config_static_selectorELNS0_4arch9wavefront6targetE1EEEvT1_,"axG",@progbits,_ZN7rocprim17ROCPRIM_400000_NS6detail17trampoline_kernelINS0_14default_configENS1_20scan_config_selectorIfEEZZNS1_9scan_implILNS1_25lookback_scan_determinismE0ELb1ELb1ES3_N6thrust23THRUST_200600_302600_NS6detail15normal_iteratorINS9_10device_ptrIjEEEENSB_INSC_IfEEEEfNS9_4plusIvEEfEEDaPvRmT3_T4_T5_mT6_P12ihipStream_tbENKUlT_T0_E_clISt17integral_constantIbLb1EESW_EEDaSR_SS_EUlSR_E_NS1_11comp_targetILNS1_3genE2ELNS1_11target_archE906ELNS1_3gpuE6ELNS1_3repE0EEENS1_30default_config_static_selectorELNS0_4arch9wavefront6targetE1EEEvT1_,comdat
	.protected	_ZN7rocprim17ROCPRIM_400000_NS6detail17trampoline_kernelINS0_14default_configENS1_20scan_config_selectorIfEEZZNS1_9scan_implILNS1_25lookback_scan_determinismE0ELb1ELb1ES3_N6thrust23THRUST_200600_302600_NS6detail15normal_iteratorINS9_10device_ptrIjEEEENSB_INSC_IfEEEEfNS9_4plusIvEEfEEDaPvRmT3_T4_T5_mT6_P12ihipStream_tbENKUlT_T0_E_clISt17integral_constantIbLb1EESW_EEDaSR_SS_EUlSR_E_NS1_11comp_targetILNS1_3genE2ELNS1_11target_archE906ELNS1_3gpuE6ELNS1_3repE0EEENS1_30default_config_static_selectorELNS0_4arch9wavefront6targetE1EEEvT1_ ; -- Begin function _ZN7rocprim17ROCPRIM_400000_NS6detail17trampoline_kernelINS0_14default_configENS1_20scan_config_selectorIfEEZZNS1_9scan_implILNS1_25lookback_scan_determinismE0ELb1ELb1ES3_N6thrust23THRUST_200600_302600_NS6detail15normal_iteratorINS9_10device_ptrIjEEEENSB_INSC_IfEEEEfNS9_4plusIvEEfEEDaPvRmT3_T4_T5_mT6_P12ihipStream_tbENKUlT_T0_E_clISt17integral_constantIbLb1EESW_EEDaSR_SS_EUlSR_E_NS1_11comp_targetILNS1_3genE2ELNS1_11target_archE906ELNS1_3gpuE6ELNS1_3repE0EEENS1_30default_config_static_selectorELNS0_4arch9wavefront6targetE1EEEvT1_
	.globl	_ZN7rocprim17ROCPRIM_400000_NS6detail17trampoline_kernelINS0_14default_configENS1_20scan_config_selectorIfEEZZNS1_9scan_implILNS1_25lookback_scan_determinismE0ELb1ELb1ES3_N6thrust23THRUST_200600_302600_NS6detail15normal_iteratorINS9_10device_ptrIjEEEENSB_INSC_IfEEEEfNS9_4plusIvEEfEEDaPvRmT3_T4_T5_mT6_P12ihipStream_tbENKUlT_T0_E_clISt17integral_constantIbLb1EESW_EEDaSR_SS_EUlSR_E_NS1_11comp_targetILNS1_3genE2ELNS1_11target_archE906ELNS1_3gpuE6ELNS1_3repE0EEENS1_30default_config_static_selectorELNS0_4arch9wavefront6targetE1EEEvT1_
	.p2align	8
	.type	_ZN7rocprim17ROCPRIM_400000_NS6detail17trampoline_kernelINS0_14default_configENS1_20scan_config_selectorIfEEZZNS1_9scan_implILNS1_25lookback_scan_determinismE0ELb1ELb1ES3_N6thrust23THRUST_200600_302600_NS6detail15normal_iteratorINS9_10device_ptrIjEEEENSB_INSC_IfEEEEfNS9_4plusIvEEfEEDaPvRmT3_T4_T5_mT6_P12ihipStream_tbENKUlT_T0_E_clISt17integral_constantIbLb1EESW_EEDaSR_SS_EUlSR_E_NS1_11comp_targetILNS1_3genE2ELNS1_11target_archE906ELNS1_3gpuE6ELNS1_3repE0EEENS1_30default_config_static_selectorELNS0_4arch9wavefront6targetE1EEEvT1_,@function
_ZN7rocprim17ROCPRIM_400000_NS6detail17trampoline_kernelINS0_14default_configENS1_20scan_config_selectorIfEEZZNS1_9scan_implILNS1_25lookback_scan_determinismE0ELb1ELb1ES3_N6thrust23THRUST_200600_302600_NS6detail15normal_iteratorINS9_10device_ptrIjEEEENSB_INSC_IfEEEEfNS9_4plusIvEEfEEDaPvRmT3_T4_T5_mT6_P12ihipStream_tbENKUlT_T0_E_clISt17integral_constantIbLb1EESW_EEDaSR_SS_EUlSR_E_NS1_11comp_targetILNS1_3genE2ELNS1_11target_archE906ELNS1_3gpuE6ELNS1_3repE0EEENS1_30default_config_static_selectorELNS0_4arch9wavefront6targetE1EEEvT1_: ; @_ZN7rocprim17ROCPRIM_400000_NS6detail17trampoline_kernelINS0_14default_configENS1_20scan_config_selectorIfEEZZNS1_9scan_implILNS1_25lookback_scan_determinismE0ELb1ELb1ES3_N6thrust23THRUST_200600_302600_NS6detail15normal_iteratorINS9_10device_ptrIjEEEENSB_INSC_IfEEEEfNS9_4plusIvEEfEEDaPvRmT3_T4_T5_mT6_P12ihipStream_tbENKUlT_T0_E_clISt17integral_constantIbLb1EESW_EEDaSR_SS_EUlSR_E_NS1_11comp_targetILNS1_3genE2ELNS1_11target_archE906ELNS1_3gpuE6ELNS1_3repE0EEENS1_30default_config_static_selectorELNS0_4arch9wavefront6targetE1EEEvT1_
; %bb.0:
	.section	.rodata,"a",@progbits
	.p2align	6, 0x0
	.amdhsa_kernel _ZN7rocprim17ROCPRIM_400000_NS6detail17trampoline_kernelINS0_14default_configENS1_20scan_config_selectorIfEEZZNS1_9scan_implILNS1_25lookback_scan_determinismE0ELb1ELb1ES3_N6thrust23THRUST_200600_302600_NS6detail15normal_iteratorINS9_10device_ptrIjEEEENSB_INSC_IfEEEEfNS9_4plusIvEEfEEDaPvRmT3_T4_T5_mT6_P12ihipStream_tbENKUlT_T0_E_clISt17integral_constantIbLb1EESW_EEDaSR_SS_EUlSR_E_NS1_11comp_targetILNS1_3genE2ELNS1_11target_archE906ELNS1_3gpuE6ELNS1_3repE0EEENS1_30default_config_static_selectorELNS0_4arch9wavefront6targetE1EEEvT1_
		.amdhsa_group_segment_fixed_size 0
		.amdhsa_private_segment_fixed_size 0
		.amdhsa_kernarg_size 96
		.amdhsa_user_sgpr_count 6
		.amdhsa_user_sgpr_private_segment_buffer 1
		.amdhsa_user_sgpr_dispatch_ptr 0
		.amdhsa_user_sgpr_queue_ptr 0
		.amdhsa_user_sgpr_kernarg_segment_ptr 1
		.amdhsa_user_sgpr_dispatch_id 0
		.amdhsa_user_sgpr_flat_scratch_init 0
		.amdhsa_user_sgpr_kernarg_preload_length 0
		.amdhsa_user_sgpr_kernarg_preload_offset 0
		.amdhsa_user_sgpr_private_segment_size 0
		.amdhsa_uses_dynamic_stack 0
		.amdhsa_system_sgpr_private_segment_wavefront_offset 0
		.amdhsa_system_sgpr_workgroup_id_x 1
		.amdhsa_system_sgpr_workgroup_id_y 0
		.amdhsa_system_sgpr_workgroup_id_z 0
		.amdhsa_system_sgpr_workgroup_info 0
		.amdhsa_system_vgpr_workitem_id 0
		.amdhsa_next_free_vgpr 1
		.amdhsa_next_free_sgpr 0
		.amdhsa_accum_offset 4
		.amdhsa_reserve_vcc 0
		.amdhsa_reserve_flat_scratch 0
		.amdhsa_float_round_mode_32 0
		.amdhsa_float_round_mode_16_64 0
		.amdhsa_float_denorm_mode_32 3
		.amdhsa_float_denorm_mode_16_64 3
		.amdhsa_dx10_clamp 1
		.amdhsa_ieee_mode 1
		.amdhsa_fp16_overflow 0
		.amdhsa_tg_split 0
		.amdhsa_exception_fp_ieee_invalid_op 0
		.amdhsa_exception_fp_denorm_src 0
		.amdhsa_exception_fp_ieee_div_zero 0
		.amdhsa_exception_fp_ieee_overflow 0
		.amdhsa_exception_fp_ieee_underflow 0
		.amdhsa_exception_fp_ieee_inexact 0
		.amdhsa_exception_int_div_zero 0
	.end_amdhsa_kernel
	.section	.text._ZN7rocprim17ROCPRIM_400000_NS6detail17trampoline_kernelINS0_14default_configENS1_20scan_config_selectorIfEEZZNS1_9scan_implILNS1_25lookback_scan_determinismE0ELb1ELb1ES3_N6thrust23THRUST_200600_302600_NS6detail15normal_iteratorINS9_10device_ptrIjEEEENSB_INSC_IfEEEEfNS9_4plusIvEEfEEDaPvRmT3_T4_T5_mT6_P12ihipStream_tbENKUlT_T0_E_clISt17integral_constantIbLb1EESW_EEDaSR_SS_EUlSR_E_NS1_11comp_targetILNS1_3genE2ELNS1_11target_archE906ELNS1_3gpuE6ELNS1_3repE0EEENS1_30default_config_static_selectorELNS0_4arch9wavefront6targetE1EEEvT1_,"axG",@progbits,_ZN7rocprim17ROCPRIM_400000_NS6detail17trampoline_kernelINS0_14default_configENS1_20scan_config_selectorIfEEZZNS1_9scan_implILNS1_25lookback_scan_determinismE0ELb1ELb1ES3_N6thrust23THRUST_200600_302600_NS6detail15normal_iteratorINS9_10device_ptrIjEEEENSB_INSC_IfEEEEfNS9_4plusIvEEfEEDaPvRmT3_T4_T5_mT6_P12ihipStream_tbENKUlT_T0_E_clISt17integral_constantIbLb1EESW_EEDaSR_SS_EUlSR_E_NS1_11comp_targetILNS1_3genE2ELNS1_11target_archE906ELNS1_3gpuE6ELNS1_3repE0EEENS1_30default_config_static_selectorELNS0_4arch9wavefront6targetE1EEEvT1_,comdat
.Lfunc_end6110:
	.size	_ZN7rocprim17ROCPRIM_400000_NS6detail17trampoline_kernelINS0_14default_configENS1_20scan_config_selectorIfEEZZNS1_9scan_implILNS1_25lookback_scan_determinismE0ELb1ELb1ES3_N6thrust23THRUST_200600_302600_NS6detail15normal_iteratorINS9_10device_ptrIjEEEENSB_INSC_IfEEEEfNS9_4plusIvEEfEEDaPvRmT3_T4_T5_mT6_P12ihipStream_tbENKUlT_T0_E_clISt17integral_constantIbLb1EESW_EEDaSR_SS_EUlSR_E_NS1_11comp_targetILNS1_3genE2ELNS1_11target_archE906ELNS1_3gpuE6ELNS1_3repE0EEENS1_30default_config_static_selectorELNS0_4arch9wavefront6targetE1EEEvT1_, .Lfunc_end6110-_ZN7rocprim17ROCPRIM_400000_NS6detail17trampoline_kernelINS0_14default_configENS1_20scan_config_selectorIfEEZZNS1_9scan_implILNS1_25lookback_scan_determinismE0ELb1ELb1ES3_N6thrust23THRUST_200600_302600_NS6detail15normal_iteratorINS9_10device_ptrIjEEEENSB_INSC_IfEEEEfNS9_4plusIvEEfEEDaPvRmT3_T4_T5_mT6_P12ihipStream_tbENKUlT_T0_E_clISt17integral_constantIbLb1EESW_EEDaSR_SS_EUlSR_E_NS1_11comp_targetILNS1_3genE2ELNS1_11target_archE906ELNS1_3gpuE6ELNS1_3repE0EEENS1_30default_config_static_selectorELNS0_4arch9wavefront6targetE1EEEvT1_
                                        ; -- End function
	.section	.AMDGPU.csdata,"",@progbits
; Kernel info:
; codeLenInByte = 0
; NumSgprs: 4
; NumVgprs: 0
; NumAgprs: 0
; TotalNumVgprs: 0
; ScratchSize: 0
; MemoryBound: 0
; FloatMode: 240
; IeeeMode: 1
; LDSByteSize: 0 bytes/workgroup (compile time only)
; SGPRBlocks: 0
; VGPRBlocks: 0
; NumSGPRsForWavesPerEU: 4
; NumVGPRsForWavesPerEU: 1
; AccumOffset: 4
; Occupancy: 8
; WaveLimiterHint : 0
; COMPUTE_PGM_RSRC2:SCRATCH_EN: 0
; COMPUTE_PGM_RSRC2:USER_SGPR: 6
; COMPUTE_PGM_RSRC2:TRAP_HANDLER: 0
; COMPUTE_PGM_RSRC2:TGID_X_EN: 1
; COMPUTE_PGM_RSRC2:TGID_Y_EN: 0
; COMPUTE_PGM_RSRC2:TGID_Z_EN: 0
; COMPUTE_PGM_RSRC2:TIDIG_COMP_CNT: 0
; COMPUTE_PGM_RSRC3_GFX90A:ACCUM_OFFSET: 0
; COMPUTE_PGM_RSRC3_GFX90A:TG_SPLIT: 0
	.section	.text._ZN7rocprim17ROCPRIM_400000_NS6detail17trampoline_kernelINS0_14default_configENS1_20scan_config_selectorIfEEZZNS1_9scan_implILNS1_25lookback_scan_determinismE0ELb1ELb1ES3_N6thrust23THRUST_200600_302600_NS6detail15normal_iteratorINS9_10device_ptrIjEEEENSB_INSC_IfEEEEfNS9_4plusIvEEfEEDaPvRmT3_T4_T5_mT6_P12ihipStream_tbENKUlT_T0_E_clISt17integral_constantIbLb1EESW_EEDaSR_SS_EUlSR_E_NS1_11comp_targetILNS1_3genE10ELNS1_11target_archE1201ELNS1_3gpuE5ELNS1_3repE0EEENS1_30default_config_static_selectorELNS0_4arch9wavefront6targetE1EEEvT1_,"axG",@progbits,_ZN7rocprim17ROCPRIM_400000_NS6detail17trampoline_kernelINS0_14default_configENS1_20scan_config_selectorIfEEZZNS1_9scan_implILNS1_25lookback_scan_determinismE0ELb1ELb1ES3_N6thrust23THRUST_200600_302600_NS6detail15normal_iteratorINS9_10device_ptrIjEEEENSB_INSC_IfEEEEfNS9_4plusIvEEfEEDaPvRmT3_T4_T5_mT6_P12ihipStream_tbENKUlT_T0_E_clISt17integral_constantIbLb1EESW_EEDaSR_SS_EUlSR_E_NS1_11comp_targetILNS1_3genE10ELNS1_11target_archE1201ELNS1_3gpuE5ELNS1_3repE0EEENS1_30default_config_static_selectorELNS0_4arch9wavefront6targetE1EEEvT1_,comdat
	.protected	_ZN7rocprim17ROCPRIM_400000_NS6detail17trampoline_kernelINS0_14default_configENS1_20scan_config_selectorIfEEZZNS1_9scan_implILNS1_25lookback_scan_determinismE0ELb1ELb1ES3_N6thrust23THRUST_200600_302600_NS6detail15normal_iteratorINS9_10device_ptrIjEEEENSB_INSC_IfEEEEfNS9_4plusIvEEfEEDaPvRmT3_T4_T5_mT6_P12ihipStream_tbENKUlT_T0_E_clISt17integral_constantIbLb1EESW_EEDaSR_SS_EUlSR_E_NS1_11comp_targetILNS1_3genE10ELNS1_11target_archE1201ELNS1_3gpuE5ELNS1_3repE0EEENS1_30default_config_static_selectorELNS0_4arch9wavefront6targetE1EEEvT1_ ; -- Begin function _ZN7rocprim17ROCPRIM_400000_NS6detail17trampoline_kernelINS0_14default_configENS1_20scan_config_selectorIfEEZZNS1_9scan_implILNS1_25lookback_scan_determinismE0ELb1ELb1ES3_N6thrust23THRUST_200600_302600_NS6detail15normal_iteratorINS9_10device_ptrIjEEEENSB_INSC_IfEEEEfNS9_4plusIvEEfEEDaPvRmT3_T4_T5_mT6_P12ihipStream_tbENKUlT_T0_E_clISt17integral_constantIbLb1EESW_EEDaSR_SS_EUlSR_E_NS1_11comp_targetILNS1_3genE10ELNS1_11target_archE1201ELNS1_3gpuE5ELNS1_3repE0EEENS1_30default_config_static_selectorELNS0_4arch9wavefront6targetE1EEEvT1_
	.globl	_ZN7rocprim17ROCPRIM_400000_NS6detail17trampoline_kernelINS0_14default_configENS1_20scan_config_selectorIfEEZZNS1_9scan_implILNS1_25lookback_scan_determinismE0ELb1ELb1ES3_N6thrust23THRUST_200600_302600_NS6detail15normal_iteratorINS9_10device_ptrIjEEEENSB_INSC_IfEEEEfNS9_4plusIvEEfEEDaPvRmT3_T4_T5_mT6_P12ihipStream_tbENKUlT_T0_E_clISt17integral_constantIbLb1EESW_EEDaSR_SS_EUlSR_E_NS1_11comp_targetILNS1_3genE10ELNS1_11target_archE1201ELNS1_3gpuE5ELNS1_3repE0EEENS1_30default_config_static_selectorELNS0_4arch9wavefront6targetE1EEEvT1_
	.p2align	8
	.type	_ZN7rocprim17ROCPRIM_400000_NS6detail17trampoline_kernelINS0_14default_configENS1_20scan_config_selectorIfEEZZNS1_9scan_implILNS1_25lookback_scan_determinismE0ELb1ELb1ES3_N6thrust23THRUST_200600_302600_NS6detail15normal_iteratorINS9_10device_ptrIjEEEENSB_INSC_IfEEEEfNS9_4plusIvEEfEEDaPvRmT3_T4_T5_mT6_P12ihipStream_tbENKUlT_T0_E_clISt17integral_constantIbLb1EESW_EEDaSR_SS_EUlSR_E_NS1_11comp_targetILNS1_3genE10ELNS1_11target_archE1201ELNS1_3gpuE5ELNS1_3repE0EEENS1_30default_config_static_selectorELNS0_4arch9wavefront6targetE1EEEvT1_,@function
_ZN7rocprim17ROCPRIM_400000_NS6detail17trampoline_kernelINS0_14default_configENS1_20scan_config_selectorIfEEZZNS1_9scan_implILNS1_25lookback_scan_determinismE0ELb1ELb1ES3_N6thrust23THRUST_200600_302600_NS6detail15normal_iteratorINS9_10device_ptrIjEEEENSB_INSC_IfEEEEfNS9_4plusIvEEfEEDaPvRmT3_T4_T5_mT6_P12ihipStream_tbENKUlT_T0_E_clISt17integral_constantIbLb1EESW_EEDaSR_SS_EUlSR_E_NS1_11comp_targetILNS1_3genE10ELNS1_11target_archE1201ELNS1_3gpuE5ELNS1_3repE0EEENS1_30default_config_static_selectorELNS0_4arch9wavefront6targetE1EEEvT1_: ; @_ZN7rocprim17ROCPRIM_400000_NS6detail17trampoline_kernelINS0_14default_configENS1_20scan_config_selectorIfEEZZNS1_9scan_implILNS1_25lookback_scan_determinismE0ELb1ELb1ES3_N6thrust23THRUST_200600_302600_NS6detail15normal_iteratorINS9_10device_ptrIjEEEENSB_INSC_IfEEEEfNS9_4plusIvEEfEEDaPvRmT3_T4_T5_mT6_P12ihipStream_tbENKUlT_T0_E_clISt17integral_constantIbLb1EESW_EEDaSR_SS_EUlSR_E_NS1_11comp_targetILNS1_3genE10ELNS1_11target_archE1201ELNS1_3gpuE5ELNS1_3repE0EEENS1_30default_config_static_selectorELNS0_4arch9wavefront6targetE1EEEvT1_
; %bb.0:
	.section	.rodata,"a",@progbits
	.p2align	6, 0x0
	.amdhsa_kernel _ZN7rocprim17ROCPRIM_400000_NS6detail17trampoline_kernelINS0_14default_configENS1_20scan_config_selectorIfEEZZNS1_9scan_implILNS1_25lookback_scan_determinismE0ELb1ELb1ES3_N6thrust23THRUST_200600_302600_NS6detail15normal_iteratorINS9_10device_ptrIjEEEENSB_INSC_IfEEEEfNS9_4plusIvEEfEEDaPvRmT3_T4_T5_mT6_P12ihipStream_tbENKUlT_T0_E_clISt17integral_constantIbLb1EESW_EEDaSR_SS_EUlSR_E_NS1_11comp_targetILNS1_3genE10ELNS1_11target_archE1201ELNS1_3gpuE5ELNS1_3repE0EEENS1_30default_config_static_selectorELNS0_4arch9wavefront6targetE1EEEvT1_
		.amdhsa_group_segment_fixed_size 0
		.amdhsa_private_segment_fixed_size 0
		.amdhsa_kernarg_size 96
		.amdhsa_user_sgpr_count 6
		.amdhsa_user_sgpr_private_segment_buffer 1
		.amdhsa_user_sgpr_dispatch_ptr 0
		.amdhsa_user_sgpr_queue_ptr 0
		.amdhsa_user_sgpr_kernarg_segment_ptr 1
		.amdhsa_user_sgpr_dispatch_id 0
		.amdhsa_user_sgpr_flat_scratch_init 0
		.amdhsa_user_sgpr_kernarg_preload_length 0
		.amdhsa_user_sgpr_kernarg_preload_offset 0
		.amdhsa_user_sgpr_private_segment_size 0
		.amdhsa_uses_dynamic_stack 0
		.amdhsa_system_sgpr_private_segment_wavefront_offset 0
		.amdhsa_system_sgpr_workgroup_id_x 1
		.amdhsa_system_sgpr_workgroup_id_y 0
		.amdhsa_system_sgpr_workgroup_id_z 0
		.amdhsa_system_sgpr_workgroup_info 0
		.amdhsa_system_vgpr_workitem_id 0
		.amdhsa_next_free_vgpr 1
		.amdhsa_next_free_sgpr 0
		.amdhsa_accum_offset 4
		.amdhsa_reserve_vcc 0
		.amdhsa_reserve_flat_scratch 0
		.amdhsa_float_round_mode_32 0
		.amdhsa_float_round_mode_16_64 0
		.amdhsa_float_denorm_mode_32 3
		.amdhsa_float_denorm_mode_16_64 3
		.amdhsa_dx10_clamp 1
		.amdhsa_ieee_mode 1
		.amdhsa_fp16_overflow 0
		.amdhsa_tg_split 0
		.amdhsa_exception_fp_ieee_invalid_op 0
		.amdhsa_exception_fp_denorm_src 0
		.amdhsa_exception_fp_ieee_div_zero 0
		.amdhsa_exception_fp_ieee_overflow 0
		.amdhsa_exception_fp_ieee_underflow 0
		.amdhsa_exception_fp_ieee_inexact 0
		.amdhsa_exception_int_div_zero 0
	.end_amdhsa_kernel
	.section	.text._ZN7rocprim17ROCPRIM_400000_NS6detail17trampoline_kernelINS0_14default_configENS1_20scan_config_selectorIfEEZZNS1_9scan_implILNS1_25lookback_scan_determinismE0ELb1ELb1ES3_N6thrust23THRUST_200600_302600_NS6detail15normal_iteratorINS9_10device_ptrIjEEEENSB_INSC_IfEEEEfNS9_4plusIvEEfEEDaPvRmT3_T4_T5_mT6_P12ihipStream_tbENKUlT_T0_E_clISt17integral_constantIbLb1EESW_EEDaSR_SS_EUlSR_E_NS1_11comp_targetILNS1_3genE10ELNS1_11target_archE1201ELNS1_3gpuE5ELNS1_3repE0EEENS1_30default_config_static_selectorELNS0_4arch9wavefront6targetE1EEEvT1_,"axG",@progbits,_ZN7rocprim17ROCPRIM_400000_NS6detail17trampoline_kernelINS0_14default_configENS1_20scan_config_selectorIfEEZZNS1_9scan_implILNS1_25lookback_scan_determinismE0ELb1ELb1ES3_N6thrust23THRUST_200600_302600_NS6detail15normal_iteratorINS9_10device_ptrIjEEEENSB_INSC_IfEEEEfNS9_4plusIvEEfEEDaPvRmT3_T4_T5_mT6_P12ihipStream_tbENKUlT_T0_E_clISt17integral_constantIbLb1EESW_EEDaSR_SS_EUlSR_E_NS1_11comp_targetILNS1_3genE10ELNS1_11target_archE1201ELNS1_3gpuE5ELNS1_3repE0EEENS1_30default_config_static_selectorELNS0_4arch9wavefront6targetE1EEEvT1_,comdat
.Lfunc_end6111:
	.size	_ZN7rocprim17ROCPRIM_400000_NS6detail17trampoline_kernelINS0_14default_configENS1_20scan_config_selectorIfEEZZNS1_9scan_implILNS1_25lookback_scan_determinismE0ELb1ELb1ES3_N6thrust23THRUST_200600_302600_NS6detail15normal_iteratorINS9_10device_ptrIjEEEENSB_INSC_IfEEEEfNS9_4plusIvEEfEEDaPvRmT3_T4_T5_mT6_P12ihipStream_tbENKUlT_T0_E_clISt17integral_constantIbLb1EESW_EEDaSR_SS_EUlSR_E_NS1_11comp_targetILNS1_3genE10ELNS1_11target_archE1201ELNS1_3gpuE5ELNS1_3repE0EEENS1_30default_config_static_selectorELNS0_4arch9wavefront6targetE1EEEvT1_, .Lfunc_end6111-_ZN7rocprim17ROCPRIM_400000_NS6detail17trampoline_kernelINS0_14default_configENS1_20scan_config_selectorIfEEZZNS1_9scan_implILNS1_25lookback_scan_determinismE0ELb1ELb1ES3_N6thrust23THRUST_200600_302600_NS6detail15normal_iteratorINS9_10device_ptrIjEEEENSB_INSC_IfEEEEfNS9_4plusIvEEfEEDaPvRmT3_T4_T5_mT6_P12ihipStream_tbENKUlT_T0_E_clISt17integral_constantIbLb1EESW_EEDaSR_SS_EUlSR_E_NS1_11comp_targetILNS1_3genE10ELNS1_11target_archE1201ELNS1_3gpuE5ELNS1_3repE0EEENS1_30default_config_static_selectorELNS0_4arch9wavefront6targetE1EEEvT1_
                                        ; -- End function
	.section	.AMDGPU.csdata,"",@progbits
; Kernel info:
; codeLenInByte = 0
; NumSgprs: 4
; NumVgprs: 0
; NumAgprs: 0
; TotalNumVgprs: 0
; ScratchSize: 0
; MemoryBound: 0
; FloatMode: 240
; IeeeMode: 1
; LDSByteSize: 0 bytes/workgroup (compile time only)
; SGPRBlocks: 0
; VGPRBlocks: 0
; NumSGPRsForWavesPerEU: 4
; NumVGPRsForWavesPerEU: 1
; AccumOffset: 4
; Occupancy: 8
; WaveLimiterHint : 0
; COMPUTE_PGM_RSRC2:SCRATCH_EN: 0
; COMPUTE_PGM_RSRC2:USER_SGPR: 6
; COMPUTE_PGM_RSRC2:TRAP_HANDLER: 0
; COMPUTE_PGM_RSRC2:TGID_X_EN: 1
; COMPUTE_PGM_RSRC2:TGID_Y_EN: 0
; COMPUTE_PGM_RSRC2:TGID_Z_EN: 0
; COMPUTE_PGM_RSRC2:TIDIG_COMP_CNT: 0
; COMPUTE_PGM_RSRC3_GFX90A:ACCUM_OFFSET: 0
; COMPUTE_PGM_RSRC3_GFX90A:TG_SPLIT: 0
	.section	.text._ZN7rocprim17ROCPRIM_400000_NS6detail17trampoline_kernelINS0_14default_configENS1_20scan_config_selectorIfEEZZNS1_9scan_implILNS1_25lookback_scan_determinismE0ELb1ELb1ES3_N6thrust23THRUST_200600_302600_NS6detail15normal_iteratorINS9_10device_ptrIjEEEENSB_INSC_IfEEEEfNS9_4plusIvEEfEEDaPvRmT3_T4_T5_mT6_P12ihipStream_tbENKUlT_T0_E_clISt17integral_constantIbLb1EESW_EEDaSR_SS_EUlSR_E_NS1_11comp_targetILNS1_3genE10ELNS1_11target_archE1200ELNS1_3gpuE4ELNS1_3repE0EEENS1_30default_config_static_selectorELNS0_4arch9wavefront6targetE1EEEvT1_,"axG",@progbits,_ZN7rocprim17ROCPRIM_400000_NS6detail17trampoline_kernelINS0_14default_configENS1_20scan_config_selectorIfEEZZNS1_9scan_implILNS1_25lookback_scan_determinismE0ELb1ELb1ES3_N6thrust23THRUST_200600_302600_NS6detail15normal_iteratorINS9_10device_ptrIjEEEENSB_INSC_IfEEEEfNS9_4plusIvEEfEEDaPvRmT3_T4_T5_mT6_P12ihipStream_tbENKUlT_T0_E_clISt17integral_constantIbLb1EESW_EEDaSR_SS_EUlSR_E_NS1_11comp_targetILNS1_3genE10ELNS1_11target_archE1200ELNS1_3gpuE4ELNS1_3repE0EEENS1_30default_config_static_selectorELNS0_4arch9wavefront6targetE1EEEvT1_,comdat
	.protected	_ZN7rocprim17ROCPRIM_400000_NS6detail17trampoline_kernelINS0_14default_configENS1_20scan_config_selectorIfEEZZNS1_9scan_implILNS1_25lookback_scan_determinismE0ELb1ELb1ES3_N6thrust23THRUST_200600_302600_NS6detail15normal_iteratorINS9_10device_ptrIjEEEENSB_INSC_IfEEEEfNS9_4plusIvEEfEEDaPvRmT3_T4_T5_mT6_P12ihipStream_tbENKUlT_T0_E_clISt17integral_constantIbLb1EESW_EEDaSR_SS_EUlSR_E_NS1_11comp_targetILNS1_3genE10ELNS1_11target_archE1200ELNS1_3gpuE4ELNS1_3repE0EEENS1_30default_config_static_selectorELNS0_4arch9wavefront6targetE1EEEvT1_ ; -- Begin function _ZN7rocprim17ROCPRIM_400000_NS6detail17trampoline_kernelINS0_14default_configENS1_20scan_config_selectorIfEEZZNS1_9scan_implILNS1_25lookback_scan_determinismE0ELb1ELb1ES3_N6thrust23THRUST_200600_302600_NS6detail15normal_iteratorINS9_10device_ptrIjEEEENSB_INSC_IfEEEEfNS9_4plusIvEEfEEDaPvRmT3_T4_T5_mT6_P12ihipStream_tbENKUlT_T0_E_clISt17integral_constantIbLb1EESW_EEDaSR_SS_EUlSR_E_NS1_11comp_targetILNS1_3genE10ELNS1_11target_archE1200ELNS1_3gpuE4ELNS1_3repE0EEENS1_30default_config_static_selectorELNS0_4arch9wavefront6targetE1EEEvT1_
	.globl	_ZN7rocprim17ROCPRIM_400000_NS6detail17trampoline_kernelINS0_14default_configENS1_20scan_config_selectorIfEEZZNS1_9scan_implILNS1_25lookback_scan_determinismE0ELb1ELb1ES3_N6thrust23THRUST_200600_302600_NS6detail15normal_iteratorINS9_10device_ptrIjEEEENSB_INSC_IfEEEEfNS9_4plusIvEEfEEDaPvRmT3_T4_T5_mT6_P12ihipStream_tbENKUlT_T0_E_clISt17integral_constantIbLb1EESW_EEDaSR_SS_EUlSR_E_NS1_11comp_targetILNS1_3genE10ELNS1_11target_archE1200ELNS1_3gpuE4ELNS1_3repE0EEENS1_30default_config_static_selectorELNS0_4arch9wavefront6targetE1EEEvT1_
	.p2align	8
	.type	_ZN7rocprim17ROCPRIM_400000_NS6detail17trampoline_kernelINS0_14default_configENS1_20scan_config_selectorIfEEZZNS1_9scan_implILNS1_25lookback_scan_determinismE0ELb1ELb1ES3_N6thrust23THRUST_200600_302600_NS6detail15normal_iteratorINS9_10device_ptrIjEEEENSB_INSC_IfEEEEfNS9_4plusIvEEfEEDaPvRmT3_T4_T5_mT6_P12ihipStream_tbENKUlT_T0_E_clISt17integral_constantIbLb1EESW_EEDaSR_SS_EUlSR_E_NS1_11comp_targetILNS1_3genE10ELNS1_11target_archE1200ELNS1_3gpuE4ELNS1_3repE0EEENS1_30default_config_static_selectorELNS0_4arch9wavefront6targetE1EEEvT1_,@function
_ZN7rocprim17ROCPRIM_400000_NS6detail17trampoline_kernelINS0_14default_configENS1_20scan_config_selectorIfEEZZNS1_9scan_implILNS1_25lookback_scan_determinismE0ELb1ELb1ES3_N6thrust23THRUST_200600_302600_NS6detail15normal_iteratorINS9_10device_ptrIjEEEENSB_INSC_IfEEEEfNS9_4plusIvEEfEEDaPvRmT3_T4_T5_mT6_P12ihipStream_tbENKUlT_T0_E_clISt17integral_constantIbLb1EESW_EEDaSR_SS_EUlSR_E_NS1_11comp_targetILNS1_3genE10ELNS1_11target_archE1200ELNS1_3gpuE4ELNS1_3repE0EEENS1_30default_config_static_selectorELNS0_4arch9wavefront6targetE1EEEvT1_: ; @_ZN7rocprim17ROCPRIM_400000_NS6detail17trampoline_kernelINS0_14default_configENS1_20scan_config_selectorIfEEZZNS1_9scan_implILNS1_25lookback_scan_determinismE0ELb1ELb1ES3_N6thrust23THRUST_200600_302600_NS6detail15normal_iteratorINS9_10device_ptrIjEEEENSB_INSC_IfEEEEfNS9_4plusIvEEfEEDaPvRmT3_T4_T5_mT6_P12ihipStream_tbENKUlT_T0_E_clISt17integral_constantIbLb1EESW_EEDaSR_SS_EUlSR_E_NS1_11comp_targetILNS1_3genE10ELNS1_11target_archE1200ELNS1_3gpuE4ELNS1_3repE0EEENS1_30default_config_static_selectorELNS0_4arch9wavefront6targetE1EEEvT1_
; %bb.0:
	.section	.rodata,"a",@progbits
	.p2align	6, 0x0
	.amdhsa_kernel _ZN7rocprim17ROCPRIM_400000_NS6detail17trampoline_kernelINS0_14default_configENS1_20scan_config_selectorIfEEZZNS1_9scan_implILNS1_25lookback_scan_determinismE0ELb1ELb1ES3_N6thrust23THRUST_200600_302600_NS6detail15normal_iteratorINS9_10device_ptrIjEEEENSB_INSC_IfEEEEfNS9_4plusIvEEfEEDaPvRmT3_T4_T5_mT6_P12ihipStream_tbENKUlT_T0_E_clISt17integral_constantIbLb1EESW_EEDaSR_SS_EUlSR_E_NS1_11comp_targetILNS1_3genE10ELNS1_11target_archE1200ELNS1_3gpuE4ELNS1_3repE0EEENS1_30default_config_static_selectorELNS0_4arch9wavefront6targetE1EEEvT1_
		.amdhsa_group_segment_fixed_size 0
		.amdhsa_private_segment_fixed_size 0
		.amdhsa_kernarg_size 96
		.amdhsa_user_sgpr_count 6
		.amdhsa_user_sgpr_private_segment_buffer 1
		.amdhsa_user_sgpr_dispatch_ptr 0
		.amdhsa_user_sgpr_queue_ptr 0
		.amdhsa_user_sgpr_kernarg_segment_ptr 1
		.amdhsa_user_sgpr_dispatch_id 0
		.amdhsa_user_sgpr_flat_scratch_init 0
		.amdhsa_user_sgpr_kernarg_preload_length 0
		.amdhsa_user_sgpr_kernarg_preload_offset 0
		.amdhsa_user_sgpr_private_segment_size 0
		.amdhsa_uses_dynamic_stack 0
		.amdhsa_system_sgpr_private_segment_wavefront_offset 0
		.amdhsa_system_sgpr_workgroup_id_x 1
		.amdhsa_system_sgpr_workgroup_id_y 0
		.amdhsa_system_sgpr_workgroup_id_z 0
		.amdhsa_system_sgpr_workgroup_info 0
		.amdhsa_system_vgpr_workitem_id 0
		.amdhsa_next_free_vgpr 1
		.amdhsa_next_free_sgpr 0
		.amdhsa_accum_offset 4
		.amdhsa_reserve_vcc 0
		.amdhsa_reserve_flat_scratch 0
		.amdhsa_float_round_mode_32 0
		.amdhsa_float_round_mode_16_64 0
		.amdhsa_float_denorm_mode_32 3
		.amdhsa_float_denorm_mode_16_64 3
		.amdhsa_dx10_clamp 1
		.amdhsa_ieee_mode 1
		.amdhsa_fp16_overflow 0
		.amdhsa_tg_split 0
		.amdhsa_exception_fp_ieee_invalid_op 0
		.amdhsa_exception_fp_denorm_src 0
		.amdhsa_exception_fp_ieee_div_zero 0
		.amdhsa_exception_fp_ieee_overflow 0
		.amdhsa_exception_fp_ieee_underflow 0
		.amdhsa_exception_fp_ieee_inexact 0
		.amdhsa_exception_int_div_zero 0
	.end_amdhsa_kernel
	.section	.text._ZN7rocprim17ROCPRIM_400000_NS6detail17trampoline_kernelINS0_14default_configENS1_20scan_config_selectorIfEEZZNS1_9scan_implILNS1_25lookback_scan_determinismE0ELb1ELb1ES3_N6thrust23THRUST_200600_302600_NS6detail15normal_iteratorINS9_10device_ptrIjEEEENSB_INSC_IfEEEEfNS9_4plusIvEEfEEDaPvRmT3_T4_T5_mT6_P12ihipStream_tbENKUlT_T0_E_clISt17integral_constantIbLb1EESW_EEDaSR_SS_EUlSR_E_NS1_11comp_targetILNS1_3genE10ELNS1_11target_archE1200ELNS1_3gpuE4ELNS1_3repE0EEENS1_30default_config_static_selectorELNS0_4arch9wavefront6targetE1EEEvT1_,"axG",@progbits,_ZN7rocprim17ROCPRIM_400000_NS6detail17trampoline_kernelINS0_14default_configENS1_20scan_config_selectorIfEEZZNS1_9scan_implILNS1_25lookback_scan_determinismE0ELb1ELb1ES3_N6thrust23THRUST_200600_302600_NS6detail15normal_iteratorINS9_10device_ptrIjEEEENSB_INSC_IfEEEEfNS9_4plusIvEEfEEDaPvRmT3_T4_T5_mT6_P12ihipStream_tbENKUlT_T0_E_clISt17integral_constantIbLb1EESW_EEDaSR_SS_EUlSR_E_NS1_11comp_targetILNS1_3genE10ELNS1_11target_archE1200ELNS1_3gpuE4ELNS1_3repE0EEENS1_30default_config_static_selectorELNS0_4arch9wavefront6targetE1EEEvT1_,comdat
.Lfunc_end6112:
	.size	_ZN7rocprim17ROCPRIM_400000_NS6detail17trampoline_kernelINS0_14default_configENS1_20scan_config_selectorIfEEZZNS1_9scan_implILNS1_25lookback_scan_determinismE0ELb1ELb1ES3_N6thrust23THRUST_200600_302600_NS6detail15normal_iteratorINS9_10device_ptrIjEEEENSB_INSC_IfEEEEfNS9_4plusIvEEfEEDaPvRmT3_T4_T5_mT6_P12ihipStream_tbENKUlT_T0_E_clISt17integral_constantIbLb1EESW_EEDaSR_SS_EUlSR_E_NS1_11comp_targetILNS1_3genE10ELNS1_11target_archE1200ELNS1_3gpuE4ELNS1_3repE0EEENS1_30default_config_static_selectorELNS0_4arch9wavefront6targetE1EEEvT1_, .Lfunc_end6112-_ZN7rocprim17ROCPRIM_400000_NS6detail17trampoline_kernelINS0_14default_configENS1_20scan_config_selectorIfEEZZNS1_9scan_implILNS1_25lookback_scan_determinismE0ELb1ELb1ES3_N6thrust23THRUST_200600_302600_NS6detail15normal_iteratorINS9_10device_ptrIjEEEENSB_INSC_IfEEEEfNS9_4plusIvEEfEEDaPvRmT3_T4_T5_mT6_P12ihipStream_tbENKUlT_T0_E_clISt17integral_constantIbLb1EESW_EEDaSR_SS_EUlSR_E_NS1_11comp_targetILNS1_3genE10ELNS1_11target_archE1200ELNS1_3gpuE4ELNS1_3repE0EEENS1_30default_config_static_selectorELNS0_4arch9wavefront6targetE1EEEvT1_
                                        ; -- End function
	.section	.AMDGPU.csdata,"",@progbits
; Kernel info:
; codeLenInByte = 0
; NumSgprs: 4
; NumVgprs: 0
; NumAgprs: 0
; TotalNumVgprs: 0
; ScratchSize: 0
; MemoryBound: 0
; FloatMode: 240
; IeeeMode: 1
; LDSByteSize: 0 bytes/workgroup (compile time only)
; SGPRBlocks: 0
; VGPRBlocks: 0
; NumSGPRsForWavesPerEU: 4
; NumVGPRsForWavesPerEU: 1
; AccumOffset: 4
; Occupancy: 8
; WaveLimiterHint : 0
; COMPUTE_PGM_RSRC2:SCRATCH_EN: 0
; COMPUTE_PGM_RSRC2:USER_SGPR: 6
; COMPUTE_PGM_RSRC2:TRAP_HANDLER: 0
; COMPUTE_PGM_RSRC2:TGID_X_EN: 1
; COMPUTE_PGM_RSRC2:TGID_Y_EN: 0
; COMPUTE_PGM_RSRC2:TGID_Z_EN: 0
; COMPUTE_PGM_RSRC2:TIDIG_COMP_CNT: 0
; COMPUTE_PGM_RSRC3_GFX90A:ACCUM_OFFSET: 0
; COMPUTE_PGM_RSRC3_GFX90A:TG_SPLIT: 0
	.section	.text._ZN7rocprim17ROCPRIM_400000_NS6detail17trampoline_kernelINS0_14default_configENS1_20scan_config_selectorIfEEZZNS1_9scan_implILNS1_25lookback_scan_determinismE0ELb1ELb1ES3_N6thrust23THRUST_200600_302600_NS6detail15normal_iteratorINS9_10device_ptrIjEEEENSB_INSC_IfEEEEfNS9_4plusIvEEfEEDaPvRmT3_T4_T5_mT6_P12ihipStream_tbENKUlT_T0_E_clISt17integral_constantIbLb1EESW_EEDaSR_SS_EUlSR_E_NS1_11comp_targetILNS1_3genE9ELNS1_11target_archE1100ELNS1_3gpuE3ELNS1_3repE0EEENS1_30default_config_static_selectorELNS0_4arch9wavefront6targetE1EEEvT1_,"axG",@progbits,_ZN7rocprim17ROCPRIM_400000_NS6detail17trampoline_kernelINS0_14default_configENS1_20scan_config_selectorIfEEZZNS1_9scan_implILNS1_25lookback_scan_determinismE0ELb1ELb1ES3_N6thrust23THRUST_200600_302600_NS6detail15normal_iteratorINS9_10device_ptrIjEEEENSB_INSC_IfEEEEfNS9_4plusIvEEfEEDaPvRmT3_T4_T5_mT6_P12ihipStream_tbENKUlT_T0_E_clISt17integral_constantIbLb1EESW_EEDaSR_SS_EUlSR_E_NS1_11comp_targetILNS1_3genE9ELNS1_11target_archE1100ELNS1_3gpuE3ELNS1_3repE0EEENS1_30default_config_static_selectorELNS0_4arch9wavefront6targetE1EEEvT1_,comdat
	.protected	_ZN7rocprim17ROCPRIM_400000_NS6detail17trampoline_kernelINS0_14default_configENS1_20scan_config_selectorIfEEZZNS1_9scan_implILNS1_25lookback_scan_determinismE0ELb1ELb1ES3_N6thrust23THRUST_200600_302600_NS6detail15normal_iteratorINS9_10device_ptrIjEEEENSB_INSC_IfEEEEfNS9_4plusIvEEfEEDaPvRmT3_T4_T5_mT6_P12ihipStream_tbENKUlT_T0_E_clISt17integral_constantIbLb1EESW_EEDaSR_SS_EUlSR_E_NS1_11comp_targetILNS1_3genE9ELNS1_11target_archE1100ELNS1_3gpuE3ELNS1_3repE0EEENS1_30default_config_static_selectorELNS0_4arch9wavefront6targetE1EEEvT1_ ; -- Begin function _ZN7rocprim17ROCPRIM_400000_NS6detail17trampoline_kernelINS0_14default_configENS1_20scan_config_selectorIfEEZZNS1_9scan_implILNS1_25lookback_scan_determinismE0ELb1ELb1ES3_N6thrust23THRUST_200600_302600_NS6detail15normal_iteratorINS9_10device_ptrIjEEEENSB_INSC_IfEEEEfNS9_4plusIvEEfEEDaPvRmT3_T4_T5_mT6_P12ihipStream_tbENKUlT_T0_E_clISt17integral_constantIbLb1EESW_EEDaSR_SS_EUlSR_E_NS1_11comp_targetILNS1_3genE9ELNS1_11target_archE1100ELNS1_3gpuE3ELNS1_3repE0EEENS1_30default_config_static_selectorELNS0_4arch9wavefront6targetE1EEEvT1_
	.globl	_ZN7rocprim17ROCPRIM_400000_NS6detail17trampoline_kernelINS0_14default_configENS1_20scan_config_selectorIfEEZZNS1_9scan_implILNS1_25lookback_scan_determinismE0ELb1ELb1ES3_N6thrust23THRUST_200600_302600_NS6detail15normal_iteratorINS9_10device_ptrIjEEEENSB_INSC_IfEEEEfNS9_4plusIvEEfEEDaPvRmT3_T4_T5_mT6_P12ihipStream_tbENKUlT_T0_E_clISt17integral_constantIbLb1EESW_EEDaSR_SS_EUlSR_E_NS1_11comp_targetILNS1_3genE9ELNS1_11target_archE1100ELNS1_3gpuE3ELNS1_3repE0EEENS1_30default_config_static_selectorELNS0_4arch9wavefront6targetE1EEEvT1_
	.p2align	8
	.type	_ZN7rocprim17ROCPRIM_400000_NS6detail17trampoline_kernelINS0_14default_configENS1_20scan_config_selectorIfEEZZNS1_9scan_implILNS1_25lookback_scan_determinismE0ELb1ELb1ES3_N6thrust23THRUST_200600_302600_NS6detail15normal_iteratorINS9_10device_ptrIjEEEENSB_INSC_IfEEEEfNS9_4plusIvEEfEEDaPvRmT3_T4_T5_mT6_P12ihipStream_tbENKUlT_T0_E_clISt17integral_constantIbLb1EESW_EEDaSR_SS_EUlSR_E_NS1_11comp_targetILNS1_3genE9ELNS1_11target_archE1100ELNS1_3gpuE3ELNS1_3repE0EEENS1_30default_config_static_selectorELNS0_4arch9wavefront6targetE1EEEvT1_,@function
_ZN7rocprim17ROCPRIM_400000_NS6detail17trampoline_kernelINS0_14default_configENS1_20scan_config_selectorIfEEZZNS1_9scan_implILNS1_25lookback_scan_determinismE0ELb1ELb1ES3_N6thrust23THRUST_200600_302600_NS6detail15normal_iteratorINS9_10device_ptrIjEEEENSB_INSC_IfEEEEfNS9_4plusIvEEfEEDaPvRmT3_T4_T5_mT6_P12ihipStream_tbENKUlT_T0_E_clISt17integral_constantIbLb1EESW_EEDaSR_SS_EUlSR_E_NS1_11comp_targetILNS1_3genE9ELNS1_11target_archE1100ELNS1_3gpuE3ELNS1_3repE0EEENS1_30default_config_static_selectorELNS0_4arch9wavefront6targetE1EEEvT1_: ; @_ZN7rocprim17ROCPRIM_400000_NS6detail17trampoline_kernelINS0_14default_configENS1_20scan_config_selectorIfEEZZNS1_9scan_implILNS1_25lookback_scan_determinismE0ELb1ELb1ES3_N6thrust23THRUST_200600_302600_NS6detail15normal_iteratorINS9_10device_ptrIjEEEENSB_INSC_IfEEEEfNS9_4plusIvEEfEEDaPvRmT3_T4_T5_mT6_P12ihipStream_tbENKUlT_T0_E_clISt17integral_constantIbLb1EESW_EEDaSR_SS_EUlSR_E_NS1_11comp_targetILNS1_3genE9ELNS1_11target_archE1100ELNS1_3gpuE3ELNS1_3repE0EEENS1_30default_config_static_selectorELNS0_4arch9wavefront6targetE1EEEvT1_
; %bb.0:
	.section	.rodata,"a",@progbits
	.p2align	6, 0x0
	.amdhsa_kernel _ZN7rocprim17ROCPRIM_400000_NS6detail17trampoline_kernelINS0_14default_configENS1_20scan_config_selectorIfEEZZNS1_9scan_implILNS1_25lookback_scan_determinismE0ELb1ELb1ES3_N6thrust23THRUST_200600_302600_NS6detail15normal_iteratorINS9_10device_ptrIjEEEENSB_INSC_IfEEEEfNS9_4plusIvEEfEEDaPvRmT3_T4_T5_mT6_P12ihipStream_tbENKUlT_T0_E_clISt17integral_constantIbLb1EESW_EEDaSR_SS_EUlSR_E_NS1_11comp_targetILNS1_3genE9ELNS1_11target_archE1100ELNS1_3gpuE3ELNS1_3repE0EEENS1_30default_config_static_selectorELNS0_4arch9wavefront6targetE1EEEvT1_
		.amdhsa_group_segment_fixed_size 0
		.amdhsa_private_segment_fixed_size 0
		.amdhsa_kernarg_size 96
		.amdhsa_user_sgpr_count 6
		.amdhsa_user_sgpr_private_segment_buffer 1
		.amdhsa_user_sgpr_dispatch_ptr 0
		.amdhsa_user_sgpr_queue_ptr 0
		.amdhsa_user_sgpr_kernarg_segment_ptr 1
		.amdhsa_user_sgpr_dispatch_id 0
		.amdhsa_user_sgpr_flat_scratch_init 0
		.amdhsa_user_sgpr_kernarg_preload_length 0
		.amdhsa_user_sgpr_kernarg_preload_offset 0
		.amdhsa_user_sgpr_private_segment_size 0
		.amdhsa_uses_dynamic_stack 0
		.amdhsa_system_sgpr_private_segment_wavefront_offset 0
		.amdhsa_system_sgpr_workgroup_id_x 1
		.amdhsa_system_sgpr_workgroup_id_y 0
		.amdhsa_system_sgpr_workgroup_id_z 0
		.amdhsa_system_sgpr_workgroup_info 0
		.amdhsa_system_vgpr_workitem_id 0
		.amdhsa_next_free_vgpr 1
		.amdhsa_next_free_sgpr 0
		.amdhsa_accum_offset 4
		.amdhsa_reserve_vcc 0
		.amdhsa_reserve_flat_scratch 0
		.amdhsa_float_round_mode_32 0
		.amdhsa_float_round_mode_16_64 0
		.amdhsa_float_denorm_mode_32 3
		.amdhsa_float_denorm_mode_16_64 3
		.amdhsa_dx10_clamp 1
		.amdhsa_ieee_mode 1
		.amdhsa_fp16_overflow 0
		.amdhsa_tg_split 0
		.amdhsa_exception_fp_ieee_invalid_op 0
		.amdhsa_exception_fp_denorm_src 0
		.amdhsa_exception_fp_ieee_div_zero 0
		.amdhsa_exception_fp_ieee_overflow 0
		.amdhsa_exception_fp_ieee_underflow 0
		.amdhsa_exception_fp_ieee_inexact 0
		.amdhsa_exception_int_div_zero 0
	.end_amdhsa_kernel
	.section	.text._ZN7rocprim17ROCPRIM_400000_NS6detail17trampoline_kernelINS0_14default_configENS1_20scan_config_selectorIfEEZZNS1_9scan_implILNS1_25lookback_scan_determinismE0ELb1ELb1ES3_N6thrust23THRUST_200600_302600_NS6detail15normal_iteratorINS9_10device_ptrIjEEEENSB_INSC_IfEEEEfNS9_4plusIvEEfEEDaPvRmT3_T4_T5_mT6_P12ihipStream_tbENKUlT_T0_E_clISt17integral_constantIbLb1EESW_EEDaSR_SS_EUlSR_E_NS1_11comp_targetILNS1_3genE9ELNS1_11target_archE1100ELNS1_3gpuE3ELNS1_3repE0EEENS1_30default_config_static_selectorELNS0_4arch9wavefront6targetE1EEEvT1_,"axG",@progbits,_ZN7rocprim17ROCPRIM_400000_NS6detail17trampoline_kernelINS0_14default_configENS1_20scan_config_selectorIfEEZZNS1_9scan_implILNS1_25lookback_scan_determinismE0ELb1ELb1ES3_N6thrust23THRUST_200600_302600_NS6detail15normal_iteratorINS9_10device_ptrIjEEEENSB_INSC_IfEEEEfNS9_4plusIvEEfEEDaPvRmT3_T4_T5_mT6_P12ihipStream_tbENKUlT_T0_E_clISt17integral_constantIbLb1EESW_EEDaSR_SS_EUlSR_E_NS1_11comp_targetILNS1_3genE9ELNS1_11target_archE1100ELNS1_3gpuE3ELNS1_3repE0EEENS1_30default_config_static_selectorELNS0_4arch9wavefront6targetE1EEEvT1_,comdat
.Lfunc_end6113:
	.size	_ZN7rocprim17ROCPRIM_400000_NS6detail17trampoline_kernelINS0_14default_configENS1_20scan_config_selectorIfEEZZNS1_9scan_implILNS1_25lookback_scan_determinismE0ELb1ELb1ES3_N6thrust23THRUST_200600_302600_NS6detail15normal_iteratorINS9_10device_ptrIjEEEENSB_INSC_IfEEEEfNS9_4plusIvEEfEEDaPvRmT3_T4_T5_mT6_P12ihipStream_tbENKUlT_T0_E_clISt17integral_constantIbLb1EESW_EEDaSR_SS_EUlSR_E_NS1_11comp_targetILNS1_3genE9ELNS1_11target_archE1100ELNS1_3gpuE3ELNS1_3repE0EEENS1_30default_config_static_selectorELNS0_4arch9wavefront6targetE1EEEvT1_, .Lfunc_end6113-_ZN7rocprim17ROCPRIM_400000_NS6detail17trampoline_kernelINS0_14default_configENS1_20scan_config_selectorIfEEZZNS1_9scan_implILNS1_25lookback_scan_determinismE0ELb1ELb1ES3_N6thrust23THRUST_200600_302600_NS6detail15normal_iteratorINS9_10device_ptrIjEEEENSB_INSC_IfEEEEfNS9_4plusIvEEfEEDaPvRmT3_T4_T5_mT6_P12ihipStream_tbENKUlT_T0_E_clISt17integral_constantIbLb1EESW_EEDaSR_SS_EUlSR_E_NS1_11comp_targetILNS1_3genE9ELNS1_11target_archE1100ELNS1_3gpuE3ELNS1_3repE0EEENS1_30default_config_static_selectorELNS0_4arch9wavefront6targetE1EEEvT1_
                                        ; -- End function
	.section	.AMDGPU.csdata,"",@progbits
; Kernel info:
; codeLenInByte = 0
; NumSgprs: 4
; NumVgprs: 0
; NumAgprs: 0
; TotalNumVgprs: 0
; ScratchSize: 0
; MemoryBound: 0
; FloatMode: 240
; IeeeMode: 1
; LDSByteSize: 0 bytes/workgroup (compile time only)
; SGPRBlocks: 0
; VGPRBlocks: 0
; NumSGPRsForWavesPerEU: 4
; NumVGPRsForWavesPerEU: 1
; AccumOffset: 4
; Occupancy: 8
; WaveLimiterHint : 0
; COMPUTE_PGM_RSRC2:SCRATCH_EN: 0
; COMPUTE_PGM_RSRC2:USER_SGPR: 6
; COMPUTE_PGM_RSRC2:TRAP_HANDLER: 0
; COMPUTE_PGM_RSRC2:TGID_X_EN: 1
; COMPUTE_PGM_RSRC2:TGID_Y_EN: 0
; COMPUTE_PGM_RSRC2:TGID_Z_EN: 0
; COMPUTE_PGM_RSRC2:TIDIG_COMP_CNT: 0
; COMPUTE_PGM_RSRC3_GFX90A:ACCUM_OFFSET: 0
; COMPUTE_PGM_RSRC3_GFX90A:TG_SPLIT: 0
	.section	.text._ZN7rocprim17ROCPRIM_400000_NS6detail17trampoline_kernelINS0_14default_configENS1_20scan_config_selectorIfEEZZNS1_9scan_implILNS1_25lookback_scan_determinismE0ELb1ELb1ES3_N6thrust23THRUST_200600_302600_NS6detail15normal_iteratorINS9_10device_ptrIjEEEENSB_INSC_IfEEEEfNS9_4plusIvEEfEEDaPvRmT3_T4_T5_mT6_P12ihipStream_tbENKUlT_T0_E_clISt17integral_constantIbLb1EESW_EEDaSR_SS_EUlSR_E_NS1_11comp_targetILNS1_3genE8ELNS1_11target_archE1030ELNS1_3gpuE2ELNS1_3repE0EEENS1_30default_config_static_selectorELNS0_4arch9wavefront6targetE1EEEvT1_,"axG",@progbits,_ZN7rocprim17ROCPRIM_400000_NS6detail17trampoline_kernelINS0_14default_configENS1_20scan_config_selectorIfEEZZNS1_9scan_implILNS1_25lookback_scan_determinismE0ELb1ELb1ES3_N6thrust23THRUST_200600_302600_NS6detail15normal_iteratorINS9_10device_ptrIjEEEENSB_INSC_IfEEEEfNS9_4plusIvEEfEEDaPvRmT3_T4_T5_mT6_P12ihipStream_tbENKUlT_T0_E_clISt17integral_constantIbLb1EESW_EEDaSR_SS_EUlSR_E_NS1_11comp_targetILNS1_3genE8ELNS1_11target_archE1030ELNS1_3gpuE2ELNS1_3repE0EEENS1_30default_config_static_selectorELNS0_4arch9wavefront6targetE1EEEvT1_,comdat
	.protected	_ZN7rocprim17ROCPRIM_400000_NS6detail17trampoline_kernelINS0_14default_configENS1_20scan_config_selectorIfEEZZNS1_9scan_implILNS1_25lookback_scan_determinismE0ELb1ELb1ES3_N6thrust23THRUST_200600_302600_NS6detail15normal_iteratorINS9_10device_ptrIjEEEENSB_INSC_IfEEEEfNS9_4plusIvEEfEEDaPvRmT3_T4_T5_mT6_P12ihipStream_tbENKUlT_T0_E_clISt17integral_constantIbLb1EESW_EEDaSR_SS_EUlSR_E_NS1_11comp_targetILNS1_3genE8ELNS1_11target_archE1030ELNS1_3gpuE2ELNS1_3repE0EEENS1_30default_config_static_selectorELNS0_4arch9wavefront6targetE1EEEvT1_ ; -- Begin function _ZN7rocprim17ROCPRIM_400000_NS6detail17trampoline_kernelINS0_14default_configENS1_20scan_config_selectorIfEEZZNS1_9scan_implILNS1_25lookback_scan_determinismE0ELb1ELb1ES3_N6thrust23THRUST_200600_302600_NS6detail15normal_iteratorINS9_10device_ptrIjEEEENSB_INSC_IfEEEEfNS9_4plusIvEEfEEDaPvRmT3_T4_T5_mT6_P12ihipStream_tbENKUlT_T0_E_clISt17integral_constantIbLb1EESW_EEDaSR_SS_EUlSR_E_NS1_11comp_targetILNS1_3genE8ELNS1_11target_archE1030ELNS1_3gpuE2ELNS1_3repE0EEENS1_30default_config_static_selectorELNS0_4arch9wavefront6targetE1EEEvT1_
	.globl	_ZN7rocprim17ROCPRIM_400000_NS6detail17trampoline_kernelINS0_14default_configENS1_20scan_config_selectorIfEEZZNS1_9scan_implILNS1_25lookback_scan_determinismE0ELb1ELb1ES3_N6thrust23THRUST_200600_302600_NS6detail15normal_iteratorINS9_10device_ptrIjEEEENSB_INSC_IfEEEEfNS9_4plusIvEEfEEDaPvRmT3_T4_T5_mT6_P12ihipStream_tbENKUlT_T0_E_clISt17integral_constantIbLb1EESW_EEDaSR_SS_EUlSR_E_NS1_11comp_targetILNS1_3genE8ELNS1_11target_archE1030ELNS1_3gpuE2ELNS1_3repE0EEENS1_30default_config_static_selectorELNS0_4arch9wavefront6targetE1EEEvT1_
	.p2align	8
	.type	_ZN7rocprim17ROCPRIM_400000_NS6detail17trampoline_kernelINS0_14default_configENS1_20scan_config_selectorIfEEZZNS1_9scan_implILNS1_25lookback_scan_determinismE0ELb1ELb1ES3_N6thrust23THRUST_200600_302600_NS6detail15normal_iteratorINS9_10device_ptrIjEEEENSB_INSC_IfEEEEfNS9_4plusIvEEfEEDaPvRmT3_T4_T5_mT6_P12ihipStream_tbENKUlT_T0_E_clISt17integral_constantIbLb1EESW_EEDaSR_SS_EUlSR_E_NS1_11comp_targetILNS1_3genE8ELNS1_11target_archE1030ELNS1_3gpuE2ELNS1_3repE0EEENS1_30default_config_static_selectorELNS0_4arch9wavefront6targetE1EEEvT1_,@function
_ZN7rocprim17ROCPRIM_400000_NS6detail17trampoline_kernelINS0_14default_configENS1_20scan_config_selectorIfEEZZNS1_9scan_implILNS1_25lookback_scan_determinismE0ELb1ELb1ES3_N6thrust23THRUST_200600_302600_NS6detail15normal_iteratorINS9_10device_ptrIjEEEENSB_INSC_IfEEEEfNS9_4plusIvEEfEEDaPvRmT3_T4_T5_mT6_P12ihipStream_tbENKUlT_T0_E_clISt17integral_constantIbLb1EESW_EEDaSR_SS_EUlSR_E_NS1_11comp_targetILNS1_3genE8ELNS1_11target_archE1030ELNS1_3gpuE2ELNS1_3repE0EEENS1_30default_config_static_selectorELNS0_4arch9wavefront6targetE1EEEvT1_: ; @_ZN7rocprim17ROCPRIM_400000_NS6detail17trampoline_kernelINS0_14default_configENS1_20scan_config_selectorIfEEZZNS1_9scan_implILNS1_25lookback_scan_determinismE0ELb1ELb1ES3_N6thrust23THRUST_200600_302600_NS6detail15normal_iteratorINS9_10device_ptrIjEEEENSB_INSC_IfEEEEfNS9_4plusIvEEfEEDaPvRmT3_T4_T5_mT6_P12ihipStream_tbENKUlT_T0_E_clISt17integral_constantIbLb1EESW_EEDaSR_SS_EUlSR_E_NS1_11comp_targetILNS1_3genE8ELNS1_11target_archE1030ELNS1_3gpuE2ELNS1_3repE0EEENS1_30default_config_static_selectorELNS0_4arch9wavefront6targetE1EEEvT1_
; %bb.0:
	.section	.rodata,"a",@progbits
	.p2align	6, 0x0
	.amdhsa_kernel _ZN7rocprim17ROCPRIM_400000_NS6detail17trampoline_kernelINS0_14default_configENS1_20scan_config_selectorIfEEZZNS1_9scan_implILNS1_25lookback_scan_determinismE0ELb1ELb1ES3_N6thrust23THRUST_200600_302600_NS6detail15normal_iteratorINS9_10device_ptrIjEEEENSB_INSC_IfEEEEfNS9_4plusIvEEfEEDaPvRmT3_T4_T5_mT6_P12ihipStream_tbENKUlT_T0_E_clISt17integral_constantIbLb1EESW_EEDaSR_SS_EUlSR_E_NS1_11comp_targetILNS1_3genE8ELNS1_11target_archE1030ELNS1_3gpuE2ELNS1_3repE0EEENS1_30default_config_static_selectorELNS0_4arch9wavefront6targetE1EEEvT1_
		.amdhsa_group_segment_fixed_size 0
		.amdhsa_private_segment_fixed_size 0
		.amdhsa_kernarg_size 96
		.amdhsa_user_sgpr_count 6
		.amdhsa_user_sgpr_private_segment_buffer 1
		.amdhsa_user_sgpr_dispatch_ptr 0
		.amdhsa_user_sgpr_queue_ptr 0
		.amdhsa_user_sgpr_kernarg_segment_ptr 1
		.amdhsa_user_sgpr_dispatch_id 0
		.amdhsa_user_sgpr_flat_scratch_init 0
		.amdhsa_user_sgpr_kernarg_preload_length 0
		.amdhsa_user_sgpr_kernarg_preload_offset 0
		.amdhsa_user_sgpr_private_segment_size 0
		.amdhsa_uses_dynamic_stack 0
		.amdhsa_system_sgpr_private_segment_wavefront_offset 0
		.amdhsa_system_sgpr_workgroup_id_x 1
		.amdhsa_system_sgpr_workgroup_id_y 0
		.amdhsa_system_sgpr_workgroup_id_z 0
		.amdhsa_system_sgpr_workgroup_info 0
		.amdhsa_system_vgpr_workitem_id 0
		.amdhsa_next_free_vgpr 1
		.amdhsa_next_free_sgpr 0
		.amdhsa_accum_offset 4
		.amdhsa_reserve_vcc 0
		.amdhsa_reserve_flat_scratch 0
		.amdhsa_float_round_mode_32 0
		.amdhsa_float_round_mode_16_64 0
		.amdhsa_float_denorm_mode_32 3
		.amdhsa_float_denorm_mode_16_64 3
		.amdhsa_dx10_clamp 1
		.amdhsa_ieee_mode 1
		.amdhsa_fp16_overflow 0
		.amdhsa_tg_split 0
		.amdhsa_exception_fp_ieee_invalid_op 0
		.amdhsa_exception_fp_denorm_src 0
		.amdhsa_exception_fp_ieee_div_zero 0
		.amdhsa_exception_fp_ieee_overflow 0
		.amdhsa_exception_fp_ieee_underflow 0
		.amdhsa_exception_fp_ieee_inexact 0
		.amdhsa_exception_int_div_zero 0
	.end_amdhsa_kernel
	.section	.text._ZN7rocprim17ROCPRIM_400000_NS6detail17trampoline_kernelINS0_14default_configENS1_20scan_config_selectorIfEEZZNS1_9scan_implILNS1_25lookback_scan_determinismE0ELb1ELb1ES3_N6thrust23THRUST_200600_302600_NS6detail15normal_iteratorINS9_10device_ptrIjEEEENSB_INSC_IfEEEEfNS9_4plusIvEEfEEDaPvRmT3_T4_T5_mT6_P12ihipStream_tbENKUlT_T0_E_clISt17integral_constantIbLb1EESW_EEDaSR_SS_EUlSR_E_NS1_11comp_targetILNS1_3genE8ELNS1_11target_archE1030ELNS1_3gpuE2ELNS1_3repE0EEENS1_30default_config_static_selectorELNS0_4arch9wavefront6targetE1EEEvT1_,"axG",@progbits,_ZN7rocprim17ROCPRIM_400000_NS6detail17trampoline_kernelINS0_14default_configENS1_20scan_config_selectorIfEEZZNS1_9scan_implILNS1_25lookback_scan_determinismE0ELb1ELb1ES3_N6thrust23THRUST_200600_302600_NS6detail15normal_iteratorINS9_10device_ptrIjEEEENSB_INSC_IfEEEEfNS9_4plusIvEEfEEDaPvRmT3_T4_T5_mT6_P12ihipStream_tbENKUlT_T0_E_clISt17integral_constantIbLb1EESW_EEDaSR_SS_EUlSR_E_NS1_11comp_targetILNS1_3genE8ELNS1_11target_archE1030ELNS1_3gpuE2ELNS1_3repE0EEENS1_30default_config_static_selectorELNS0_4arch9wavefront6targetE1EEEvT1_,comdat
.Lfunc_end6114:
	.size	_ZN7rocprim17ROCPRIM_400000_NS6detail17trampoline_kernelINS0_14default_configENS1_20scan_config_selectorIfEEZZNS1_9scan_implILNS1_25lookback_scan_determinismE0ELb1ELb1ES3_N6thrust23THRUST_200600_302600_NS6detail15normal_iteratorINS9_10device_ptrIjEEEENSB_INSC_IfEEEEfNS9_4plusIvEEfEEDaPvRmT3_T4_T5_mT6_P12ihipStream_tbENKUlT_T0_E_clISt17integral_constantIbLb1EESW_EEDaSR_SS_EUlSR_E_NS1_11comp_targetILNS1_3genE8ELNS1_11target_archE1030ELNS1_3gpuE2ELNS1_3repE0EEENS1_30default_config_static_selectorELNS0_4arch9wavefront6targetE1EEEvT1_, .Lfunc_end6114-_ZN7rocprim17ROCPRIM_400000_NS6detail17trampoline_kernelINS0_14default_configENS1_20scan_config_selectorIfEEZZNS1_9scan_implILNS1_25lookback_scan_determinismE0ELb1ELb1ES3_N6thrust23THRUST_200600_302600_NS6detail15normal_iteratorINS9_10device_ptrIjEEEENSB_INSC_IfEEEEfNS9_4plusIvEEfEEDaPvRmT3_T4_T5_mT6_P12ihipStream_tbENKUlT_T0_E_clISt17integral_constantIbLb1EESW_EEDaSR_SS_EUlSR_E_NS1_11comp_targetILNS1_3genE8ELNS1_11target_archE1030ELNS1_3gpuE2ELNS1_3repE0EEENS1_30default_config_static_selectorELNS0_4arch9wavefront6targetE1EEEvT1_
                                        ; -- End function
	.section	.AMDGPU.csdata,"",@progbits
; Kernel info:
; codeLenInByte = 0
; NumSgprs: 4
; NumVgprs: 0
; NumAgprs: 0
; TotalNumVgprs: 0
; ScratchSize: 0
; MemoryBound: 0
; FloatMode: 240
; IeeeMode: 1
; LDSByteSize: 0 bytes/workgroup (compile time only)
; SGPRBlocks: 0
; VGPRBlocks: 0
; NumSGPRsForWavesPerEU: 4
; NumVGPRsForWavesPerEU: 1
; AccumOffset: 4
; Occupancy: 8
; WaveLimiterHint : 0
; COMPUTE_PGM_RSRC2:SCRATCH_EN: 0
; COMPUTE_PGM_RSRC2:USER_SGPR: 6
; COMPUTE_PGM_RSRC2:TRAP_HANDLER: 0
; COMPUTE_PGM_RSRC2:TGID_X_EN: 1
; COMPUTE_PGM_RSRC2:TGID_Y_EN: 0
; COMPUTE_PGM_RSRC2:TGID_Z_EN: 0
; COMPUTE_PGM_RSRC2:TIDIG_COMP_CNT: 0
; COMPUTE_PGM_RSRC3_GFX90A:ACCUM_OFFSET: 0
; COMPUTE_PGM_RSRC3_GFX90A:TG_SPLIT: 0
	.section	.text._ZN7rocprim17ROCPRIM_400000_NS6detail17trampoline_kernelINS0_14default_configENS1_20scan_config_selectorIfEEZZNS1_9scan_implILNS1_25lookback_scan_determinismE0ELb1ELb1ES3_N6thrust23THRUST_200600_302600_NS6detail15normal_iteratorINS9_10device_ptrIjEEEENSB_INSC_IfEEEEfNS9_4plusIvEEfEEDaPvRmT3_T4_T5_mT6_P12ihipStream_tbENKUlT_T0_E_clISt17integral_constantIbLb1EESW_EEDaSR_SS_EUlSR_E0_NS1_11comp_targetILNS1_3genE0ELNS1_11target_archE4294967295ELNS1_3gpuE0ELNS1_3repE0EEENS1_30default_config_static_selectorELNS0_4arch9wavefront6targetE1EEEvT1_,"axG",@progbits,_ZN7rocprim17ROCPRIM_400000_NS6detail17trampoline_kernelINS0_14default_configENS1_20scan_config_selectorIfEEZZNS1_9scan_implILNS1_25lookback_scan_determinismE0ELb1ELb1ES3_N6thrust23THRUST_200600_302600_NS6detail15normal_iteratorINS9_10device_ptrIjEEEENSB_INSC_IfEEEEfNS9_4plusIvEEfEEDaPvRmT3_T4_T5_mT6_P12ihipStream_tbENKUlT_T0_E_clISt17integral_constantIbLb1EESW_EEDaSR_SS_EUlSR_E0_NS1_11comp_targetILNS1_3genE0ELNS1_11target_archE4294967295ELNS1_3gpuE0ELNS1_3repE0EEENS1_30default_config_static_selectorELNS0_4arch9wavefront6targetE1EEEvT1_,comdat
	.protected	_ZN7rocprim17ROCPRIM_400000_NS6detail17trampoline_kernelINS0_14default_configENS1_20scan_config_selectorIfEEZZNS1_9scan_implILNS1_25lookback_scan_determinismE0ELb1ELb1ES3_N6thrust23THRUST_200600_302600_NS6detail15normal_iteratorINS9_10device_ptrIjEEEENSB_INSC_IfEEEEfNS9_4plusIvEEfEEDaPvRmT3_T4_T5_mT6_P12ihipStream_tbENKUlT_T0_E_clISt17integral_constantIbLb1EESW_EEDaSR_SS_EUlSR_E0_NS1_11comp_targetILNS1_3genE0ELNS1_11target_archE4294967295ELNS1_3gpuE0ELNS1_3repE0EEENS1_30default_config_static_selectorELNS0_4arch9wavefront6targetE1EEEvT1_ ; -- Begin function _ZN7rocprim17ROCPRIM_400000_NS6detail17trampoline_kernelINS0_14default_configENS1_20scan_config_selectorIfEEZZNS1_9scan_implILNS1_25lookback_scan_determinismE0ELb1ELb1ES3_N6thrust23THRUST_200600_302600_NS6detail15normal_iteratorINS9_10device_ptrIjEEEENSB_INSC_IfEEEEfNS9_4plusIvEEfEEDaPvRmT3_T4_T5_mT6_P12ihipStream_tbENKUlT_T0_E_clISt17integral_constantIbLb1EESW_EEDaSR_SS_EUlSR_E0_NS1_11comp_targetILNS1_3genE0ELNS1_11target_archE4294967295ELNS1_3gpuE0ELNS1_3repE0EEENS1_30default_config_static_selectorELNS0_4arch9wavefront6targetE1EEEvT1_
	.globl	_ZN7rocprim17ROCPRIM_400000_NS6detail17trampoline_kernelINS0_14default_configENS1_20scan_config_selectorIfEEZZNS1_9scan_implILNS1_25lookback_scan_determinismE0ELb1ELb1ES3_N6thrust23THRUST_200600_302600_NS6detail15normal_iteratorINS9_10device_ptrIjEEEENSB_INSC_IfEEEEfNS9_4plusIvEEfEEDaPvRmT3_T4_T5_mT6_P12ihipStream_tbENKUlT_T0_E_clISt17integral_constantIbLb1EESW_EEDaSR_SS_EUlSR_E0_NS1_11comp_targetILNS1_3genE0ELNS1_11target_archE4294967295ELNS1_3gpuE0ELNS1_3repE0EEENS1_30default_config_static_selectorELNS0_4arch9wavefront6targetE1EEEvT1_
	.p2align	8
	.type	_ZN7rocprim17ROCPRIM_400000_NS6detail17trampoline_kernelINS0_14default_configENS1_20scan_config_selectorIfEEZZNS1_9scan_implILNS1_25lookback_scan_determinismE0ELb1ELb1ES3_N6thrust23THRUST_200600_302600_NS6detail15normal_iteratorINS9_10device_ptrIjEEEENSB_INSC_IfEEEEfNS9_4plusIvEEfEEDaPvRmT3_T4_T5_mT6_P12ihipStream_tbENKUlT_T0_E_clISt17integral_constantIbLb1EESW_EEDaSR_SS_EUlSR_E0_NS1_11comp_targetILNS1_3genE0ELNS1_11target_archE4294967295ELNS1_3gpuE0ELNS1_3repE0EEENS1_30default_config_static_selectorELNS0_4arch9wavefront6targetE1EEEvT1_,@function
_ZN7rocprim17ROCPRIM_400000_NS6detail17trampoline_kernelINS0_14default_configENS1_20scan_config_selectorIfEEZZNS1_9scan_implILNS1_25lookback_scan_determinismE0ELb1ELb1ES3_N6thrust23THRUST_200600_302600_NS6detail15normal_iteratorINS9_10device_ptrIjEEEENSB_INSC_IfEEEEfNS9_4plusIvEEfEEDaPvRmT3_T4_T5_mT6_P12ihipStream_tbENKUlT_T0_E_clISt17integral_constantIbLb1EESW_EEDaSR_SS_EUlSR_E0_NS1_11comp_targetILNS1_3genE0ELNS1_11target_archE4294967295ELNS1_3gpuE0ELNS1_3repE0EEENS1_30default_config_static_selectorELNS0_4arch9wavefront6targetE1EEEvT1_: ; @_ZN7rocprim17ROCPRIM_400000_NS6detail17trampoline_kernelINS0_14default_configENS1_20scan_config_selectorIfEEZZNS1_9scan_implILNS1_25lookback_scan_determinismE0ELb1ELb1ES3_N6thrust23THRUST_200600_302600_NS6detail15normal_iteratorINS9_10device_ptrIjEEEENSB_INSC_IfEEEEfNS9_4plusIvEEfEEDaPvRmT3_T4_T5_mT6_P12ihipStream_tbENKUlT_T0_E_clISt17integral_constantIbLb1EESW_EEDaSR_SS_EUlSR_E0_NS1_11comp_targetILNS1_3genE0ELNS1_11target_archE4294967295ELNS1_3gpuE0ELNS1_3repE0EEENS1_30default_config_static_selectorELNS0_4arch9wavefront6targetE1EEEvT1_
; %bb.0:
	.section	.rodata,"a",@progbits
	.p2align	6, 0x0
	.amdhsa_kernel _ZN7rocprim17ROCPRIM_400000_NS6detail17trampoline_kernelINS0_14default_configENS1_20scan_config_selectorIfEEZZNS1_9scan_implILNS1_25lookback_scan_determinismE0ELb1ELb1ES3_N6thrust23THRUST_200600_302600_NS6detail15normal_iteratorINS9_10device_ptrIjEEEENSB_INSC_IfEEEEfNS9_4plusIvEEfEEDaPvRmT3_T4_T5_mT6_P12ihipStream_tbENKUlT_T0_E_clISt17integral_constantIbLb1EESW_EEDaSR_SS_EUlSR_E0_NS1_11comp_targetILNS1_3genE0ELNS1_11target_archE4294967295ELNS1_3gpuE0ELNS1_3repE0EEENS1_30default_config_static_selectorELNS0_4arch9wavefront6targetE1EEEvT1_
		.amdhsa_group_segment_fixed_size 0
		.amdhsa_private_segment_fixed_size 0
		.amdhsa_kernarg_size 32
		.amdhsa_user_sgpr_count 6
		.amdhsa_user_sgpr_private_segment_buffer 1
		.amdhsa_user_sgpr_dispatch_ptr 0
		.amdhsa_user_sgpr_queue_ptr 0
		.amdhsa_user_sgpr_kernarg_segment_ptr 1
		.amdhsa_user_sgpr_dispatch_id 0
		.amdhsa_user_sgpr_flat_scratch_init 0
		.amdhsa_user_sgpr_kernarg_preload_length 0
		.amdhsa_user_sgpr_kernarg_preload_offset 0
		.amdhsa_user_sgpr_private_segment_size 0
		.amdhsa_uses_dynamic_stack 0
		.amdhsa_system_sgpr_private_segment_wavefront_offset 0
		.amdhsa_system_sgpr_workgroup_id_x 1
		.amdhsa_system_sgpr_workgroup_id_y 0
		.amdhsa_system_sgpr_workgroup_id_z 0
		.amdhsa_system_sgpr_workgroup_info 0
		.amdhsa_system_vgpr_workitem_id 0
		.amdhsa_next_free_vgpr 1
		.amdhsa_next_free_sgpr 0
		.amdhsa_accum_offset 4
		.amdhsa_reserve_vcc 0
		.amdhsa_reserve_flat_scratch 0
		.amdhsa_float_round_mode_32 0
		.amdhsa_float_round_mode_16_64 0
		.amdhsa_float_denorm_mode_32 3
		.amdhsa_float_denorm_mode_16_64 3
		.amdhsa_dx10_clamp 1
		.amdhsa_ieee_mode 1
		.amdhsa_fp16_overflow 0
		.amdhsa_tg_split 0
		.amdhsa_exception_fp_ieee_invalid_op 0
		.amdhsa_exception_fp_denorm_src 0
		.amdhsa_exception_fp_ieee_div_zero 0
		.amdhsa_exception_fp_ieee_overflow 0
		.amdhsa_exception_fp_ieee_underflow 0
		.amdhsa_exception_fp_ieee_inexact 0
		.amdhsa_exception_int_div_zero 0
	.end_amdhsa_kernel
	.section	.text._ZN7rocprim17ROCPRIM_400000_NS6detail17trampoline_kernelINS0_14default_configENS1_20scan_config_selectorIfEEZZNS1_9scan_implILNS1_25lookback_scan_determinismE0ELb1ELb1ES3_N6thrust23THRUST_200600_302600_NS6detail15normal_iteratorINS9_10device_ptrIjEEEENSB_INSC_IfEEEEfNS9_4plusIvEEfEEDaPvRmT3_T4_T5_mT6_P12ihipStream_tbENKUlT_T0_E_clISt17integral_constantIbLb1EESW_EEDaSR_SS_EUlSR_E0_NS1_11comp_targetILNS1_3genE0ELNS1_11target_archE4294967295ELNS1_3gpuE0ELNS1_3repE0EEENS1_30default_config_static_selectorELNS0_4arch9wavefront6targetE1EEEvT1_,"axG",@progbits,_ZN7rocprim17ROCPRIM_400000_NS6detail17trampoline_kernelINS0_14default_configENS1_20scan_config_selectorIfEEZZNS1_9scan_implILNS1_25lookback_scan_determinismE0ELb1ELb1ES3_N6thrust23THRUST_200600_302600_NS6detail15normal_iteratorINS9_10device_ptrIjEEEENSB_INSC_IfEEEEfNS9_4plusIvEEfEEDaPvRmT3_T4_T5_mT6_P12ihipStream_tbENKUlT_T0_E_clISt17integral_constantIbLb1EESW_EEDaSR_SS_EUlSR_E0_NS1_11comp_targetILNS1_3genE0ELNS1_11target_archE4294967295ELNS1_3gpuE0ELNS1_3repE0EEENS1_30default_config_static_selectorELNS0_4arch9wavefront6targetE1EEEvT1_,comdat
.Lfunc_end6115:
	.size	_ZN7rocprim17ROCPRIM_400000_NS6detail17trampoline_kernelINS0_14default_configENS1_20scan_config_selectorIfEEZZNS1_9scan_implILNS1_25lookback_scan_determinismE0ELb1ELb1ES3_N6thrust23THRUST_200600_302600_NS6detail15normal_iteratorINS9_10device_ptrIjEEEENSB_INSC_IfEEEEfNS9_4plusIvEEfEEDaPvRmT3_T4_T5_mT6_P12ihipStream_tbENKUlT_T0_E_clISt17integral_constantIbLb1EESW_EEDaSR_SS_EUlSR_E0_NS1_11comp_targetILNS1_3genE0ELNS1_11target_archE4294967295ELNS1_3gpuE0ELNS1_3repE0EEENS1_30default_config_static_selectorELNS0_4arch9wavefront6targetE1EEEvT1_, .Lfunc_end6115-_ZN7rocprim17ROCPRIM_400000_NS6detail17trampoline_kernelINS0_14default_configENS1_20scan_config_selectorIfEEZZNS1_9scan_implILNS1_25lookback_scan_determinismE0ELb1ELb1ES3_N6thrust23THRUST_200600_302600_NS6detail15normal_iteratorINS9_10device_ptrIjEEEENSB_INSC_IfEEEEfNS9_4plusIvEEfEEDaPvRmT3_T4_T5_mT6_P12ihipStream_tbENKUlT_T0_E_clISt17integral_constantIbLb1EESW_EEDaSR_SS_EUlSR_E0_NS1_11comp_targetILNS1_3genE0ELNS1_11target_archE4294967295ELNS1_3gpuE0ELNS1_3repE0EEENS1_30default_config_static_selectorELNS0_4arch9wavefront6targetE1EEEvT1_
                                        ; -- End function
	.section	.AMDGPU.csdata,"",@progbits
; Kernel info:
; codeLenInByte = 0
; NumSgprs: 4
; NumVgprs: 0
; NumAgprs: 0
; TotalNumVgprs: 0
; ScratchSize: 0
; MemoryBound: 0
; FloatMode: 240
; IeeeMode: 1
; LDSByteSize: 0 bytes/workgroup (compile time only)
; SGPRBlocks: 0
; VGPRBlocks: 0
; NumSGPRsForWavesPerEU: 4
; NumVGPRsForWavesPerEU: 1
; AccumOffset: 4
; Occupancy: 8
; WaveLimiterHint : 0
; COMPUTE_PGM_RSRC2:SCRATCH_EN: 0
; COMPUTE_PGM_RSRC2:USER_SGPR: 6
; COMPUTE_PGM_RSRC2:TRAP_HANDLER: 0
; COMPUTE_PGM_RSRC2:TGID_X_EN: 1
; COMPUTE_PGM_RSRC2:TGID_Y_EN: 0
; COMPUTE_PGM_RSRC2:TGID_Z_EN: 0
; COMPUTE_PGM_RSRC2:TIDIG_COMP_CNT: 0
; COMPUTE_PGM_RSRC3_GFX90A:ACCUM_OFFSET: 0
; COMPUTE_PGM_RSRC3_GFX90A:TG_SPLIT: 0
	.section	.text._ZN7rocprim17ROCPRIM_400000_NS6detail17trampoline_kernelINS0_14default_configENS1_20scan_config_selectorIfEEZZNS1_9scan_implILNS1_25lookback_scan_determinismE0ELb1ELb1ES3_N6thrust23THRUST_200600_302600_NS6detail15normal_iteratorINS9_10device_ptrIjEEEENSB_INSC_IfEEEEfNS9_4plusIvEEfEEDaPvRmT3_T4_T5_mT6_P12ihipStream_tbENKUlT_T0_E_clISt17integral_constantIbLb1EESW_EEDaSR_SS_EUlSR_E0_NS1_11comp_targetILNS1_3genE5ELNS1_11target_archE942ELNS1_3gpuE9ELNS1_3repE0EEENS1_30default_config_static_selectorELNS0_4arch9wavefront6targetE1EEEvT1_,"axG",@progbits,_ZN7rocprim17ROCPRIM_400000_NS6detail17trampoline_kernelINS0_14default_configENS1_20scan_config_selectorIfEEZZNS1_9scan_implILNS1_25lookback_scan_determinismE0ELb1ELb1ES3_N6thrust23THRUST_200600_302600_NS6detail15normal_iteratorINS9_10device_ptrIjEEEENSB_INSC_IfEEEEfNS9_4plusIvEEfEEDaPvRmT3_T4_T5_mT6_P12ihipStream_tbENKUlT_T0_E_clISt17integral_constantIbLb1EESW_EEDaSR_SS_EUlSR_E0_NS1_11comp_targetILNS1_3genE5ELNS1_11target_archE942ELNS1_3gpuE9ELNS1_3repE0EEENS1_30default_config_static_selectorELNS0_4arch9wavefront6targetE1EEEvT1_,comdat
	.protected	_ZN7rocprim17ROCPRIM_400000_NS6detail17trampoline_kernelINS0_14default_configENS1_20scan_config_selectorIfEEZZNS1_9scan_implILNS1_25lookback_scan_determinismE0ELb1ELb1ES3_N6thrust23THRUST_200600_302600_NS6detail15normal_iteratorINS9_10device_ptrIjEEEENSB_INSC_IfEEEEfNS9_4plusIvEEfEEDaPvRmT3_T4_T5_mT6_P12ihipStream_tbENKUlT_T0_E_clISt17integral_constantIbLb1EESW_EEDaSR_SS_EUlSR_E0_NS1_11comp_targetILNS1_3genE5ELNS1_11target_archE942ELNS1_3gpuE9ELNS1_3repE0EEENS1_30default_config_static_selectorELNS0_4arch9wavefront6targetE1EEEvT1_ ; -- Begin function _ZN7rocprim17ROCPRIM_400000_NS6detail17trampoline_kernelINS0_14default_configENS1_20scan_config_selectorIfEEZZNS1_9scan_implILNS1_25lookback_scan_determinismE0ELb1ELb1ES3_N6thrust23THRUST_200600_302600_NS6detail15normal_iteratorINS9_10device_ptrIjEEEENSB_INSC_IfEEEEfNS9_4plusIvEEfEEDaPvRmT3_T4_T5_mT6_P12ihipStream_tbENKUlT_T0_E_clISt17integral_constantIbLb1EESW_EEDaSR_SS_EUlSR_E0_NS1_11comp_targetILNS1_3genE5ELNS1_11target_archE942ELNS1_3gpuE9ELNS1_3repE0EEENS1_30default_config_static_selectorELNS0_4arch9wavefront6targetE1EEEvT1_
	.globl	_ZN7rocprim17ROCPRIM_400000_NS6detail17trampoline_kernelINS0_14default_configENS1_20scan_config_selectorIfEEZZNS1_9scan_implILNS1_25lookback_scan_determinismE0ELb1ELb1ES3_N6thrust23THRUST_200600_302600_NS6detail15normal_iteratorINS9_10device_ptrIjEEEENSB_INSC_IfEEEEfNS9_4plusIvEEfEEDaPvRmT3_T4_T5_mT6_P12ihipStream_tbENKUlT_T0_E_clISt17integral_constantIbLb1EESW_EEDaSR_SS_EUlSR_E0_NS1_11comp_targetILNS1_3genE5ELNS1_11target_archE942ELNS1_3gpuE9ELNS1_3repE0EEENS1_30default_config_static_selectorELNS0_4arch9wavefront6targetE1EEEvT1_
	.p2align	8
	.type	_ZN7rocprim17ROCPRIM_400000_NS6detail17trampoline_kernelINS0_14default_configENS1_20scan_config_selectorIfEEZZNS1_9scan_implILNS1_25lookback_scan_determinismE0ELb1ELb1ES3_N6thrust23THRUST_200600_302600_NS6detail15normal_iteratorINS9_10device_ptrIjEEEENSB_INSC_IfEEEEfNS9_4plusIvEEfEEDaPvRmT3_T4_T5_mT6_P12ihipStream_tbENKUlT_T0_E_clISt17integral_constantIbLb1EESW_EEDaSR_SS_EUlSR_E0_NS1_11comp_targetILNS1_3genE5ELNS1_11target_archE942ELNS1_3gpuE9ELNS1_3repE0EEENS1_30default_config_static_selectorELNS0_4arch9wavefront6targetE1EEEvT1_,@function
_ZN7rocprim17ROCPRIM_400000_NS6detail17trampoline_kernelINS0_14default_configENS1_20scan_config_selectorIfEEZZNS1_9scan_implILNS1_25lookback_scan_determinismE0ELb1ELb1ES3_N6thrust23THRUST_200600_302600_NS6detail15normal_iteratorINS9_10device_ptrIjEEEENSB_INSC_IfEEEEfNS9_4plusIvEEfEEDaPvRmT3_T4_T5_mT6_P12ihipStream_tbENKUlT_T0_E_clISt17integral_constantIbLb1EESW_EEDaSR_SS_EUlSR_E0_NS1_11comp_targetILNS1_3genE5ELNS1_11target_archE942ELNS1_3gpuE9ELNS1_3repE0EEENS1_30default_config_static_selectorELNS0_4arch9wavefront6targetE1EEEvT1_: ; @_ZN7rocprim17ROCPRIM_400000_NS6detail17trampoline_kernelINS0_14default_configENS1_20scan_config_selectorIfEEZZNS1_9scan_implILNS1_25lookback_scan_determinismE0ELb1ELb1ES3_N6thrust23THRUST_200600_302600_NS6detail15normal_iteratorINS9_10device_ptrIjEEEENSB_INSC_IfEEEEfNS9_4plusIvEEfEEDaPvRmT3_T4_T5_mT6_P12ihipStream_tbENKUlT_T0_E_clISt17integral_constantIbLb1EESW_EEDaSR_SS_EUlSR_E0_NS1_11comp_targetILNS1_3genE5ELNS1_11target_archE942ELNS1_3gpuE9ELNS1_3repE0EEENS1_30default_config_static_selectorELNS0_4arch9wavefront6targetE1EEEvT1_
; %bb.0:
	.section	.rodata,"a",@progbits
	.p2align	6, 0x0
	.amdhsa_kernel _ZN7rocprim17ROCPRIM_400000_NS6detail17trampoline_kernelINS0_14default_configENS1_20scan_config_selectorIfEEZZNS1_9scan_implILNS1_25lookback_scan_determinismE0ELb1ELb1ES3_N6thrust23THRUST_200600_302600_NS6detail15normal_iteratorINS9_10device_ptrIjEEEENSB_INSC_IfEEEEfNS9_4plusIvEEfEEDaPvRmT3_T4_T5_mT6_P12ihipStream_tbENKUlT_T0_E_clISt17integral_constantIbLb1EESW_EEDaSR_SS_EUlSR_E0_NS1_11comp_targetILNS1_3genE5ELNS1_11target_archE942ELNS1_3gpuE9ELNS1_3repE0EEENS1_30default_config_static_selectorELNS0_4arch9wavefront6targetE1EEEvT1_
		.amdhsa_group_segment_fixed_size 0
		.amdhsa_private_segment_fixed_size 0
		.amdhsa_kernarg_size 32
		.amdhsa_user_sgpr_count 6
		.amdhsa_user_sgpr_private_segment_buffer 1
		.amdhsa_user_sgpr_dispatch_ptr 0
		.amdhsa_user_sgpr_queue_ptr 0
		.amdhsa_user_sgpr_kernarg_segment_ptr 1
		.amdhsa_user_sgpr_dispatch_id 0
		.amdhsa_user_sgpr_flat_scratch_init 0
		.amdhsa_user_sgpr_kernarg_preload_length 0
		.amdhsa_user_sgpr_kernarg_preload_offset 0
		.amdhsa_user_sgpr_private_segment_size 0
		.amdhsa_uses_dynamic_stack 0
		.amdhsa_system_sgpr_private_segment_wavefront_offset 0
		.amdhsa_system_sgpr_workgroup_id_x 1
		.amdhsa_system_sgpr_workgroup_id_y 0
		.amdhsa_system_sgpr_workgroup_id_z 0
		.amdhsa_system_sgpr_workgroup_info 0
		.amdhsa_system_vgpr_workitem_id 0
		.amdhsa_next_free_vgpr 1
		.amdhsa_next_free_sgpr 0
		.amdhsa_accum_offset 4
		.amdhsa_reserve_vcc 0
		.amdhsa_reserve_flat_scratch 0
		.amdhsa_float_round_mode_32 0
		.amdhsa_float_round_mode_16_64 0
		.amdhsa_float_denorm_mode_32 3
		.amdhsa_float_denorm_mode_16_64 3
		.amdhsa_dx10_clamp 1
		.amdhsa_ieee_mode 1
		.amdhsa_fp16_overflow 0
		.amdhsa_tg_split 0
		.amdhsa_exception_fp_ieee_invalid_op 0
		.amdhsa_exception_fp_denorm_src 0
		.amdhsa_exception_fp_ieee_div_zero 0
		.amdhsa_exception_fp_ieee_overflow 0
		.amdhsa_exception_fp_ieee_underflow 0
		.amdhsa_exception_fp_ieee_inexact 0
		.amdhsa_exception_int_div_zero 0
	.end_amdhsa_kernel
	.section	.text._ZN7rocprim17ROCPRIM_400000_NS6detail17trampoline_kernelINS0_14default_configENS1_20scan_config_selectorIfEEZZNS1_9scan_implILNS1_25lookback_scan_determinismE0ELb1ELb1ES3_N6thrust23THRUST_200600_302600_NS6detail15normal_iteratorINS9_10device_ptrIjEEEENSB_INSC_IfEEEEfNS9_4plusIvEEfEEDaPvRmT3_T4_T5_mT6_P12ihipStream_tbENKUlT_T0_E_clISt17integral_constantIbLb1EESW_EEDaSR_SS_EUlSR_E0_NS1_11comp_targetILNS1_3genE5ELNS1_11target_archE942ELNS1_3gpuE9ELNS1_3repE0EEENS1_30default_config_static_selectorELNS0_4arch9wavefront6targetE1EEEvT1_,"axG",@progbits,_ZN7rocprim17ROCPRIM_400000_NS6detail17trampoline_kernelINS0_14default_configENS1_20scan_config_selectorIfEEZZNS1_9scan_implILNS1_25lookback_scan_determinismE0ELb1ELb1ES3_N6thrust23THRUST_200600_302600_NS6detail15normal_iteratorINS9_10device_ptrIjEEEENSB_INSC_IfEEEEfNS9_4plusIvEEfEEDaPvRmT3_T4_T5_mT6_P12ihipStream_tbENKUlT_T0_E_clISt17integral_constantIbLb1EESW_EEDaSR_SS_EUlSR_E0_NS1_11comp_targetILNS1_3genE5ELNS1_11target_archE942ELNS1_3gpuE9ELNS1_3repE0EEENS1_30default_config_static_selectorELNS0_4arch9wavefront6targetE1EEEvT1_,comdat
.Lfunc_end6116:
	.size	_ZN7rocprim17ROCPRIM_400000_NS6detail17trampoline_kernelINS0_14default_configENS1_20scan_config_selectorIfEEZZNS1_9scan_implILNS1_25lookback_scan_determinismE0ELb1ELb1ES3_N6thrust23THRUST_200600_302600_NS6detail15normal_iteratorINS9_10device_ptrIjEEEENSB_INSC_IfEEEEfNS9_4plusIvEEfEEDaPvRmT3_T4_T5_mT6_P12ihipStream_tbENKUlT_T0_E_clISt17integral_constantIbLb1EESW_EEDaSR_SS_EUlSR_E0_NS1_11comp_targetILNS1_3genE5ELNS1_11target_archE942ELNS1_3gpuE9ELNS1_3repE0EEENS1_30default_config_static_selectorELNS0_4arch9wavefront6targetE1EEEvT1_, .Lfunc_end6116-_ZN7rocprim17ROCPRIM_400000_NS6detail17trampoline_kernelINS0_14default_configENS1_20scan_config_selectorIfEEZZNS1_9scan_implILNS1_25lookback_scan_determinismE0ELb1ELb1ES3_N6thrust23THRUST_200600_302600_NS6detail15normal_iteratorINS9_10device_ptrIjEEEENSB_INSC_IfEEEEfNS9_4plusIvEEfEEDaPvRmT3_T4_T5_mT6_P12ihipStream_tbENKUlT_T0_E_clISt17integral_constantIbLb1EESW_EEDaSR_SS_EUlSR_E0_NS1_11comp_targetILNS1_3genE5ELNS1_11target_archE942ELNS1_3gpuE9ELNS1_3repE0EEENS1_30default_config_static_selectorELNS0_4arch9wavefront6targetE1EEEvT1_
                                        ; -- End function
	.section	.AMDGPU.csdata,"",@progbits
; Kernel info:
; codeLenInByte = 0
; NumSgprs: 4
; NumVgprs: 0
; NumAgprs: 0
; TotalNumVgprs: 0
; ScratchSize: 0
; MemoryBound: 0
; FloatMode: 240
; IeeeMode: 1
; LDSByteSize: 0 bytes/workgroup (compile time only)
; SGPRBlocks: 0
; VGPRBlocks: 0
; NumSGPRsForWavesPerEU: 4
; NumVGPRsForWavesPerEU: 1
; AccumOffset: 4
; Occupancy: 8
; WaveLimiterHint : 0
; COMPUTE_PGM_RSRC2:SCRATCH_EN: 0
; COMPUTE_PGM_RSRC2:USER_SGPR: 6
; COMPUTE_PGM_RSRC2:TRAP_HANDLER: 0
; COMPUTE_PGM_RSRC2:TGID_X_EN: 1
; COMPUTE_PGM_RSRC2:TGID_Y_EN: 0
; COMPUTE_PGM_RSRC2:TGID_Z_EN: 0
; COMPUTE_PGM_RSRC2:TIDIG_COMP_CNT: 0
; COMPUTE_PGM_RSRC3_GFX90A:ACCUM_OFFSET: 0
; COMPUTE_PGM_RSRC3_GFX90A:TG_SPLIT: 0
	.section	.text._ZN7rocprim17ROCPRIM_400000_NS6detail17trampoline_kernelINS0_14default_configENS1_20scan_config_selectorIfEEZZNS1_9scan_implILNS1_25lookback_scan_determinismE0ELb1ELb1ES3_N6thrust23THRUST_200600_302600_NS6detail15normal_iteratorINS9_10device_ptrIjEEEENSB_INSC_IfEEEEfNS9_4plusIvEEfEEDaPvRmT3_T4_T5_mT6_P12ihipStream_tbENKUlT_T0_E_clISt17integral_constantIbLb1EESW_EEDaSR_SS_EUlSR_E0_NS1_11comp_targetILNS1_3genE4ELNS1_11target_archE910ELNS1_3gpuE8ELNS1_3repE0EEENS1_30default_config_static_selectorELNS0_4arch9wavefront6targetE1EEEvT1_,"axG",@progbits,_ZN7rocprim17ROCPRIM_400000_NS6detail17trampoline_kernelINS0_14default_configENS1_20scan_config_selectorIfEEZZNS1_9scan_implILNS1_25lookback_scan_determinismE0ELb1ELb1ES3_N6thrust23THRUST_200600_302600_NS6detail15normal_iteratorINS9_10device_ptrIjEEEENSB_INSC_IfEEEEfNS9_4plusIvEEfEEDaPvRmT3_T4_T5_mT6_P12ihipStream_tbENKUlT_T0_E_clISt17integral_constantIbLb1EESW_EEDaSR_SS_EUlSR_E0_NS1_11comp_targetILNS1_3genE4ELNS1_11target_archE910ELNS1_3gpuE8ELNS1_3repE0EEENS1_30default_config_static_selectorELNS0_4arch9wavefront6targetE1EEEvT1_,comdat
	.protected	_ZN7rocprim17ROCPRIM_400000_NS6detail17trampoline_kernelINS0_14default_configENS1_20scan_config_selectorIfEEZZNS1_9scan_implILNS1_25lookback_scan_determinismE0ELb1ELb1ES3_N6thrust23THRUST_200600_302600_NS6detail15normal_iteratorINS9_10device_ptrIjEEEENSB_INSC_IfEEEEfNS9_4plusIvEEfEEDaPvRmT3_T4_T5_mT6_P12ihipStream_tbENKUlT_T0_E_clISt17integral_constantIbLb1EESW_EEDaSR_SS_EUlSR_E0_NS1_11comp_targetILNS1_3genE4ELNS1_11target_archE910ELNS1_3gpuE8ELNS1_3repE0EEENS1_30default_config_static_selectorELNS0_4arch9wavefront6targetE1EEEvT1_ ; -- Begin function _ZN7rocprim17ROCPRIM_400000_NS6detail17trampoline_kernelINS0_14default_configENS1_20scan_config_selectorIfEEZZNS1_9scan_implILNS1_25lookback_scan_determinismE0ELb1ELb1ES3_N6thrust23THRUST_200600_302600_NS6detail15normal_iteratorINS9_10device_ptrIjEEEENSB_INSC_IfEEEEfNS9_4plusIvEEfEEDaPvRmT3_T4_T5_mT6_P12ihipStream_tbENKUlT_T0_E_clISt17integral_constantIbLb1EESW_EEDaSR_SS_EUlSR_E0_NS1_11comp_targetILNS1_3genE4ELNS1_11target_archE910ELNS1_3gpuE8ELNS1_3repE0EEENS1_30default_config_static_selectorELNS0_4arch9wavefront6targetE1EEEvT1_
	.globl	_ZN7rocprim17ROCPRIM_400000_NS6detail17trampoline_kernelINS0_14default_configENS1_20scan_config_selectorIfEEZZNS1_9scan_implILNS1_25lookback_scan_determinismE0ELb1ELb1ES3_N6thrust23THRUST_200600_302600_NS6detail15normal_iteratorINS9_10device_ptrIjEEEENSB_INSC_IfEEEEfNS9_4plusIvEEfEEDaPvRmT3_T4_T5_mT6_P12ihipStream_tbENKUlT_T0_E_clISt17integral_constantIbLb1EESW_EEDaSR_SS_EUlSR_E0_NS1_11comp_targetILNS1_3genE4ELNS1_11target_archE910ELNS1_3gpuE8ELNS1_3repE0EEENS1_30default_config_static_selectorELNS0_4arch9wavefront6targetE1EEEvT1_
	.p2align	8
	.type	_ZN7rocprim17ROCPRIM_400000_NS6detail17trampoline_kernelINS0_14default_configENS1_20scan_config_selectorIfEEZZNS1_9scan_implILNS1_25lookback_scan_determinismE0ELb1ELb1ES3_N6thrust23THRUST_200600_302600_NS6detail15normal_iteratorINS9_10device_ptrIjEEEENSB_INSC_IfEEEEfNS9_4plusIvEEfEEDaPvRmT3_T4_T5_mT6_P12ihipStream_tbENKUlT_T0_E_clISt17integral_constantIbLb1EESW_EEDaSR_SS_EUlSR_E0_NS1_11comp_targetILNS1_3genE4ELNS1_11target_archE910ELNS1_3gpuE8ELNS1_3repE0EEENS1_30default_config_static_selectorELNS0_4arch9wavefront6targetE1EEEvT1_,@function
_ZN7rocprim17ROCPRIM_400000_NS6detail17trampoline_kernelINS0_14default_configENS1_20scan_config_selectorIfEEZZNS1_9scan_implILNS1_25lookback_scan_determinismE0ELb1ELb1ES3_N6thrust23THRUST_200600_302600_NS6detail15normal_iteratorINS9_10device_ptrIjEEEENSB_INSC_IfEEEEfNS9_4plusIvEEfEEDaPvRmT3_T4_T5_mT6_P12ihipStream_tbENKUlT_T0_E_clISt17integral_constantIbLb1EESW_EEDaSR_SS_EUlSR_E0_NS1_11comp_targetILNS1_3genE4ELNS1_11target_archE910ELNS1_3gpuE8ELNS1_3repE0EEENS1_30default_config_static_selectorELNS0_4arch9wavefront6targetE1EEEvT1_: ; @_ZN7rocprim17ROCPRIM_400000_NS6detail17trampoline_kernelINS0_14default_configENS1_20scan_config_selectorIfEEZZNS1_9scan_implILNS1_25lookback_scan_determinismE0ELb1ELb1ES3_N6thrust23THRUST_200600_302600_NS6detail15normal_iteratorINS9_10device_ptrIjEEEENSB_INSC_IfEEEEfNS9_4plusIvEEfEEDaPvRmT3_T4_T5_mT6_P12ihipStream_tbENKUlT_T0_E_clISt17integral_constantIbLb1EESW_EEDaSR_SS_EUlSR_E0_NS1_11comp_targetILNS1_3genE4ELNS1_11target_archE910ELNS1_3gpuE8ELNS1_3repE0EEENS1_30default_config_static_selectorELNS0_4arch9wavefront6targetE1EEEvT1_
; %bb.0:
	s_load_dwordx4 s[28:31], s[4:5], 0x0
	v_lshlrev_b32_e32 v18, 2, v0
	s_waitcnt lgkmcnt(0)
	s_load_dword s0, s[28:29], 0x0
	v_cmp_gt_u32_e32 vcc, s30, v0
	s_waitcnt lgkmcnt(0)
	v_cvt_f32_u32_e32 v1, s0
	v_mov_b32_e32 v2, v1
	s_and_saveexec_b64 s[0:1], vcc
	s_cbranch_execz .LBB6117_2
; %bb.1:
	global_load_dword v2, v18, s[28:29]
	s_waitcnt vmcnt(0)
	v_cvt_f32_u32_e32 v2, v2
.LBB6117_2:
	s_or_b64 exec, exec, s[0:1]
	v_or_b32_e32 v3, 0x80, v0
	v_cmp_gt_u32_e64 s[0:1], s30, v3
	v_mov_b32_e32 v3, v1
	s_and_saveexec_b64 s[2:3], s[0:1]
	s_cbranch_execz .LBB6117_4
; %bb.3:
	global_load_dword v3, v18, s[28:29] offset:512
	s_waitcnt vmcnt(0)
	v_cvt_f32_u32_e32 v3, v3
.LBB6117_4:
	s_or_b64 exec, exec, s[2:3]
	v_or_b32_e32 v4, 0x100, v0
	v_cmp_gt_u32_e64 s[2:3], s30, v4
	v_mov_b32_e32 v4, v1
	s_and_saveexec_b64 s[6:7], s[2:3]
	s_cbranch_execz .LBB6117_6
; %bb.5:
	global_load_dword v4, v18, s[28:29] offset:1024
	s_waitcnt vmcnt(0)
	v_cvt_f32_u32_e32 v4, v4
.LBB6117_6:
	;; [unrolled: 11-line block ×7, first 2 shown]
	s_or_b64 exec, exec, s[14:15]
	v_or_b32_e32 v11, 0x400, v0
	v_cmp_gt_u32_e64 s[14:15], s30, v11
	v_mov_b32_e32 v10, v1
	s_and_saveexec_b64 s[16:17], s[14:15]
	s_cbranch_execz .LBB6117_18
; %bb.17:
	v_lshlrev_b32_e32 v10, 2, v11
	global_load_dword v10, v10, s[28:29]
	s_waitcnt vmcnt(0)
	v_cvt_f32_u32_e32 v10, v10
.LBB6117_18:
	s_or_b64 exec, exec, s[16:17]
	v_or_b32_e32 v12, 0x480, v0
	v_cmp_gt_u32_e64 s[16:17], s30, v12
	v_mov_b32_e32 v11, v1
	s_and_saveexec_b64 s[18:19], s[16:17]
	s_cbranch_execz .LBB6117_20
; %bb.19:
	v_lshlrev_b32_e32 v11, 2, v12
	global_load_dword v11, v11, s[28:29]
	s_waitcnt vmcnt(0)
	v_cvt_f32_u32_e32 v11, v11
.LBB6117_20:
	;; [unrolled: 12-line block ×5, first 2 shown]
	s_or_b64 exec, exec, s[24:25]
	s_load_dword s33, s[4:5], 0x10
	v_or_b32_e32 v15, 0x680, v0
	v_cmp_gt_u32_e64 s[24:25], s30, v15
	s_and_saveexec_b64 s[30:31], s[24:25]
	s_cbranch_execz .LBB6117_28
; %bb.27:
	v_lshlrev_b32_e32 v1, 2, v15
	global_load_dword v1, v1, s[28:29]
	s_waitcnt vmcnt(0)
	v_cvt_f32_u32_e32 v1, v1
.LBB6117_28:
	s_or_b64 exec, exec, s[30:31]
	ds_write2st64_b32 v18, v2, v3 offset1:2
	ds_write2st64_b32 v18, v4, v5 offset0:4 offset1:6
	ds_write2st64_b32 v18, v6, v7 offset0:8 offset1:10
	;; [unrolled: 1-line block ×6, first 2 shown]
	v_mad_u32_u24 v1, v0, 52, v18
	s_waitcnt lgkmcnt(0)
	s_barrier
	ds_read2_b64 v[10:13], v1 offset1:1
	ds_read2_b64 v[6:9], v1 offset0:2 offset1:3
	ds_read2_b64 v[2:5], v1 offset0:4 offset1:5
	ds_read_b64 v[14:15], v1 offset:48
	s_load_dwordx2 s[34:35], s[4:5], 0x18
	s_waitcnt lgkmcnt(0)
	v_add_f32_e32 v16, v10, v11
	v_add_f32_e32 v16, v16, v12
	;; [unrolled: 1-line block ×13, first 2 shown]
	v_lshrrev_b32_e32 v16, 3, v0
	v_and_b32_e32 v16, 12, v16
	v_add_u32_e32 v16, v18, v16
	v_cmp_gt_u32_e64 s[4:5], 64, v0
	s_barrier
	ds_write_b32 v16, v15
	s_waitcnt lgkmcnt(0)
	s_barrier
	s_and_saveexec_b64 s[36:37], s[4:5]
	s_cbranch_execz .LBB6117_30
; %bb.29:
	v_lshlrev_b32_e32 v16, 1, v0
	v_lshrrev_b32_e32 v17, 4, v0
	v_add_lshl_u32 v19, v17, v16, 2
	ds_read2_b32 v[16:17], v19 offset1:1
	v_mbcnt_lo_u32_b32 v20, -1, 0
	v_mbcnt_hi_u32_b32 v20, -1, v20
	v_and_b32_e32 v21, 15, v20
	v_cmp_eq_u32_e64 s[4:5], 0, v21
	s_waitcnt lgkmcnt(0)
	v_add_f32_e32 v17, v16, v17
	v_cmp_lt_u32_e64 s[28:29], 3, v21
	v_cmp_lt_u32_e64 s[30:31], 31, v20
	v_mov_b32_dpp v22, v17 row_shr:1 row_mask:0xf bank_mask:0xf
	v_add_f32_e32 v22, v17, v22
	v_cndmask_b32_e64 v17, v22, v17, s[4:5]
	v_cmp_lt_u32_e64 s[4:5], 1, v21
	s_nop 0
	v_mov_b32_dpp v22, v17 row_shr:2 row_mask:0xf bank_mask:0xf
	v_add_f32_e32 v22, v17, v22
	v_cndmask_b32_e64 v22, v17, v22, s[4:5]
	; wave barrier
	s_nop 1
	v_mov_b32_dpp v23, v22 row_shr:4 row_mask:0xf bank_mask:0xf
	v_add_f32_e32 v23, v22, v23
	v_cndmask_b32_e64 v22, v22, v23, s[28:29]
	v_cmp_lt_u32_e64 s[28:29], 7, v21
	s_nop 0
	v_mov_b32_dpp v23, v22 row_shr:8 row_mask:0xf bank_mask:0xf
	v_add_f32_e32 v23, v22, v23
	v_cndmask_b32_e64 v21, v22, v23, s[28:29]
	v_and_b32_e32 v23, 16, v20
	v_cmp_eq_u32_e64 s[28:29], 0, v23
	v_mov_b32_dpp v22, v21 row_bcast:15 row_mask:0xf bank_mask:0xf
	v_add_f32_e32 v22, v21, v22
	v_cndmask_b32_e64 v21, v22, v21, s[28:29]
	v_cmp_lt_u32_e64 s[28:29], 15, v20
	s_or_b64 s[4:5], s[28:29], s[4:5]
	v_mov_b32_dpp v22, v21 row_bcast:31 row_mask:0xf bank_mask:0xf
	v_add_f32_e32 v22, v21, v22
	v_cndmask_b32_e64 v21, v21, v22, s[30:31]
	v_cndmask_b32_e64 v17, v17, v21, s[4:5]
	v_add_u32_e32 v21, -1, v20
	v_and_b32_e32 v22, 64, v20
	v_cmp_lt_i32_e64 s[4:5], v21, v22
	v_cndmask_b32_e64 v20, v21, v20, s[4:5]
	v_lshlrev_b32_e32 v20, 2, v20
	ds_bpermute_b32 v17, v20, v17
	v_cmp_eq_u32_e64 s[4:5], 0, v0
	s_waitcnt lgkmcnt(0)
	v_add_f32_e32 v16, v16, v17
	v_cndmask_b32_e64 v15, v16, v15, s[4:5]
	ds_write_b32 v19, v15
	; wave barrier
	ds_read_b32 v16, v19 offset:4
	s_waitcnt lgkmcnt(0)
	v_add_f32_e32 v15, v15, v16
	ds_write_b32 v19, v15 offset:4
.LBB6117_30:
	s_or_b64 exec, exec, s[36:37]
	v_cmp_ne_u32_e64 s[4:5], 0, v0
	v_mov_b32_e32 v16, s33
	s_waitcnt lgkmcnt(0)
	s_barrier
	s_and_saveexec_b64 s[28:29], s[4:5]
	s_cbranch_execz .LBB6117_32
; %bb.31:
	v_add_u32_e32 v15, -1, v0
	v_lshrrev_b32_e32 v16, 5, v15
	v_add_lshl_u32 v15, v16, v15, 2
	ds_read_b32 v15, v15
	s_waitcnt lgkmcnt(0)
	v_add_f32_e32 v16, s33, v15
.LBB6117_32:
	s_or_b64 exec, exec, s[28:29]
	v_add_f32_e32 v17, v10, v16
	v_add_f32_e32 v10, v11, v17
	;; [unrolled: 1-line block ×12, first 2 shown]
	s_movk_i32 s4, 0xffcc
	v_add_f32_e32 v5, v14, v4
	v_mad_i32_i24 v0, v0, s4, v1
	s_barrier
	ds_write2_b64 v1, v[16:17], v[10:11] offset1:1
	ds_write2_b64 v1, v[12:13], v[6:7] offset0:2 offset1:3
	ds_write2_b64 v1, v[8:9], v[2:3] offset0:4 offset1:5
	ds_write_b64 v1, v[4:5] offset:48
	s_waitcnt lgkmcnt(0)
	s_barrier
	ds_read2st64_b32 v[12:13], v0 offset0:2 offset1:4
	ds_read2st64_b32 v[10:11], v0 offset0:6 offset1:8
	;; [unrolled: 1-line block ×4, first 2 shown]
	ds_read_b32 v14, v18 offset:4096
	ds_read2st64_b32 v[4:5], v0 offset0:20 offset1:22
	ds_read2st64_b32 v[0:1], v0 offset0:24 offset1:26
	v_mov_b32_e32 v3, s35
	v_add_co_u32_e64 v2, s[4:5], s34, v18
	v_addc_co_u32_e64 v3, s[4:5], 0, v3, s[4:5]
	s_and_saveexec_b64 s[4:5], vcc
	s_cbranch_execnz .LBB6117_47
; %bb.33:
	s_or_b64 exec, exec, s[4:5]
	s_and_saveexec_b64 s[4:5], s[0:1]
	s_cbranch_execnz .LBB6117_48
.LBB6117_34:
	s_or_b64 exec, exec, s[4:5]
	s_and_saveexec_b64 s[0:1], s[2:3]
	s_cbranch_execnz .LBB6117_49
.LBB6117_35:
	s_or_b64 exec, exec, s[0:1]
	s_and_saveexec_b64 s[0:1], s[26:27]
	s_cbranch_execnz .LBB6117_50
.LBB6117_36:
	s_or_b64 exec, exec, s[0:1]
	s_and_saveexec_b64 s[0:1], s[6:7]
	s_cbranch_execnz .LBB6117_51
.LBB6117_37:
	s_or_b64 exec, exec, s[0:1]
	s_and_saveexec_b64 s[0:1], s[8:9]
	s_cbranch_execnz .LBB6117_52
.LBB6117_38:
	s_or_b64 exec, exec, s[0:1]
	s_and_saveexec_b64 s[0:1], s[10:11]
	s_cbranch_execnz .LBB6117_53
.LBB6117_39:
	s_or_b64 exec, exec, s[0:1]
	s_and_saveexec_b64 s[0:1], s[12:13]
	s_cbranch_execnz .LBB6117_54
.LBB6117_40:
	s_or_b64 exec, exec, s[0:1]
	s_and_saveexec_b64 s[0:1], s[14:15]
	s_cbranch_execnz .LBB6117_55
.LBB6117_41:
	s_or_b64 exec, exec, s[0:1]
	s_and_saveexec_b64 s[0:1], s[16:17]
	s_cbranch_execnz .LBB6117_56
.LBB6117_42:
	s_or_b64 exec, exec, s[0:1]
	s_and_saveexec_b64 s[0:1], s[18:19]
	s_cbranch_execnz .LBB6117_57
.LBB6117_43:
	s_or_b64 exec, exec, s[0:1]
	s_and_saveexec_b64 s[0:1], s[20:21]
	s_cbranch_execnz .LBB6117_58
.LBB6117_44:
	s_or_b64 exec, exec, s[0:1]
	s_and_saveexec_b64 s[0:1], s[22:23]
	s_cbranch_execnz .LBB6117_59
.LBB6117_45:
	s_or_b64 exec, exec, s[0:1]
	s_and_saveexec_b64 s[0:1], s[24:25]
	s_cbranch_execnz .LBB6117_60
.LBB6117_46:
	s_endpgm
.LBB6117_47:
	ds_read_b32 v15, v18
	s_waitcnt lgkmcnt(0)
	global_store_dword v[2:3], v15, off
	s_or_b64 exec, exec, s[4:5]
	s_and_saveexec_b64 s[4:5], s[0:1]
	s_cbranch_execz .LBB6117_34
.LBB6117_48:
	s_waitcnt lgkmcnt(6)
	global_store_dword v[2:3], v12, off offset:512
	s_or_b64 exec, exec, s[4:5]
	s_and_saveexec_b64 s[0:1], s[2:3]
	s_cbranch_execz .LBB6117_35
.LBB6117_49:
	s_waitcnt lgkmcnt(6)
	global_store_dword v[2:3], v13, off offset:1024
	s_or_b64 exec, exec, s[0:1]
	s_and_saveexec_b64 s[0:1], s[26:27]
	s_cbranch_execz .LBB6117_36
.LBB6117_50:
	s_waitcnt lgkmcnt(5)
	global_store_dword v[2:3], v10, off offset:1536
	s_or_b64 exec, exec, s[0:1]
	s_and_saveexec_b64 s[0:1], s[6:7]
	s_cbranch_execz .LBB6117_37
.LBB6117_51:
	s_waitcnt lgkmcnt(5)
	global_store_dword v[2:3], v11, off offset:2048
	s_or_b64 exec, exec, s[0:1]
	s_and_saveexec_b64 s[0:1], s[8:9]
	s_cbranch_execz .LBB6117_38
.LBB6117_52:
	s_waitcnt lgkmcnt(4)
	global_store_dword v[2:3], v8, off offset:2560
	s_or_b64 exec, exec, s[0:1]
	s_and_saveexec_b64 s[0:1], s[10:11]
	s_cbranch_execz .LBB6117_39
.LBB6117_53:
	s_waitcnt lgkmcnt(4)
	global_store_dword v[2:3], v9, off offset:3072
	s_or_b64 exec, exec, s[0:1]
	s_and_saveexec_b64 s[0:1], s[12:13]
	s_cbranch_execz .LBB6117_40
.LBB6117_54:
	s_waitcnt lgkmcnt(3)
	global_store_dword v[2:3], v6, off offset:3584
	s_or_b64 exec, exec, s[0:1]
	s_and_saveexec_b64 s[0:1], s[14:15]
	s_cbranch_execz .LBB6117_41
.LBB6117_55:
	s_waitcnt lgkmcnt(4)
	v_add_co_u32_e32 v8, vcc, 0x1000, v2
	v_addc_co_u32_e32 v9, vcc, 0, v3, vcc
	s_waitcnt lgkmcnt(2)
	global_store_dword v[8:9], v14, off
	s_or_b64 exec, exec, s[0:1]
	s_and_saveexec_b64 s[0:1], s[16:17]
	s_cbranch_execz .LBB6117_42
.LBB6117_56:
	s_waitcnt lgkmcnt(4)
	v_add_co_u32_e32 v8, vcc, 0x1000, v2
	v_addc_co_u32_e32 v9, vcc, 0, v3, vcc
	s_waitcnt lgkmcnt(3)
	global_store_dword v[8:9], v7, off offset:512
	s_or_b64 exec, exec, s[0:1]
	s_and_saveexec_b64 s[0:1], s[18:19]
	s_cbranch_execz .LBB6117_43
.LBB6117_57:
	s_waitcnt lgkmcnt(3)
	v_add_co_u32_e32 v6, vcc, 0x1000, v2
	v_addc_co_u32_e32 v7, vcc, 0, v3, vcc
	s_waitcnt lgkmcnt(1)
	global_store_dword v[6:7], v4, off offset:1024
	s_or_b64 exec, exec, s[0:1]
	s_and_saveexec_b64 s[0:1], s[20:21]
	s_cbranch_execz .LBB6117_44
.LBB6117_58:
	s_waitcnt lgkmcnt(3)
	v_add_co_u32_e32 v6, vcc, 0x1000, v2
	v_addc_co_u32_e32 v7, vcc, 0, v3, vcc
	s_waitcnt lgkmcnt(1)
	global_store_dword v[6:7], v5, off offset:1536
	s_or_b64 exec, exec, s[0:1]
	s_and_saveexec_b64 s[0:1], s[22:23]
	s_cbranch_execz .LBB6117_45
.LBB6117_59:
	s_waitcnt lgkmcnt(1)
	v_add_co_u32_e32 v4, vcc, 0x1000, v2
	v_addc_co_u32_e32 v5, vcc, 0, v3, vcc
	s_waitcnt lgkmcnt(0)
	global_store_dword v[4:5], v0, off offset:2048
	s_or_b64 exec, exec, s[0:1]
	s_and_saveexec_b64 s[0:1], s[24:25]
	s_cbranch_execz .LBB6117_46
.LBB6117_60:
	v_add_co_u32_e32 v2, vcc, 0x1000, v2
	v_addc_co_u32_e32 v3, vcc, 0, v3, vcc
	s_waitcnt lgkmcnt(0)
	global_store_dword v[2:3], v1, off offset:2560
	s_endpgm
	.section	.rodata,"a",@progbits
	.p2align	6, 0x0
	.amdhsa_kernel _ZN7rocprim17ROCPRIM_400000_NS6detail17trampoline_kernelINS0_14default_configENS1_20scan_config_selectorIfEEZZNS1_9scan_implILNS1_25lookback_scan_determinismE0ELb1ELb1ES3_N6thrust23THRUST_200600_302600_NS6detail15normal_iteratorINS9_10device_ptrIjEEEENSB_INSC_IfEEEEfNS9_4plusIvEEfEEDaPvRmT3_T4_T5_mT6_P12ihipStream_tbENKUlT_T0_E_clISt17integral_constantIbLb1EESW_EEDaSR_SS_EUlSR_E0_NS1_11comp_targetILNS1_3genE4ELNS1_11target_archE910ELNS1_3gpuE8ELNS1_3repE0EEENS1_30default_config_static_selectorELNS0_4arch9wavefront6targetE1EEEvT1_
		.amdhsa_group_segment_fixed_size 7168
		.amdhsa_private_segment_fixed_size 0
		.amdhsa_kernarg_size 32
		.amdhsa_user_sgpr_count 6
		.amdhsa_user_sgpr_private_segment_buffer 1
		.amdhsa_user_sgpr_dispatch_ptr 0
		.amdhsa_user_sgpr_queue_ptr 0
		.amdhsa_user_sgpr_kernarg_segment_ptr 1
		.amdhsa_user_sgpr_dispatch_id 0
		.amdhsa_user_sgpr_flat_scratch_init 0
		.amdhsa_user_sgpr_kernarg_preload_length 0
		.amdhsa_user_sgpr_kernarg_preload_offset 0
		.amdhsa_user_sgpr_private_segment_size 0
		.amdhsa_uses_dynamic_stack 0
		.amdhsa_system_sgpr_private_segment_wavefront_offset 0
		.amdhsa_system_sgpr_workgroup_id_x 1
		.amdhsa_system_sgpr_workgroup_id_y 0
		.amdhsa_system_sgpr_workgroup_id_z 0
		.amdhsa_system_sgpr_workgroup_info 0
		.amdhsa_system_vgpr_workitem_id 0
		.amdhsa_next_free_vgpr 24
		.amdhsa_next_free_sgpr 38
		.amdhsa_accum_offset 24
		.amdhsa_reserve_vcc 1
		.amdhsa_reserve_flat_scratch 0
		.amdhsa_float_round_mode_32 0
		.amdhsa_float_round_mode_16_64 0
		.amdhsa_float_denorm_mode_32 3
		.amdhsa_float_denorm_mode_16_64 3
		.amdhsa_dx10_clamp 1
		.amdhsa_ieee_mode 1
		.amdhsa_fp16_overflow 0
		.amdhsa_tg_split 0
		.amdhsa_exception_fp_ieee_invalid_op 0
		.amdhsa_exception_fp_denorm_src 0
		.amdhsa_exception_fp_ieee_div_zero 0
		.amdhsa_exception_fp_ieee_overflow 0
		.amdhsa_exception_fp_ieee_underflow 0
		.amdhsa_exception_fp_ieee_inexact 0
		.amdhsa_exception_int_div_zero 0
	.end_amdhsa_kernel
	.section	.text._ZN7rocprim17ROCPRIM_400000_NS6detail17trampoline_kernelINS0_14default_configENS1_20scan_config_selectorIfEEZZNS1_9scan_implILNS1_25lookback_scan_determinismE0ELb1ELb1ES3_N6thrust23THRUST_200600_302600_NS6detail15normal_iteratorINS9_10device_ptrIjEEEENSB_INSC_IfEEEEfNS9_4plusIvEEfEEDaPvRmT3_T4_T5_mT6_P12ihipStream_tbENKUlT_T0_E_clISt17integral_constantIbLb1EESW_EEDaSR_SS_EUlSR_E0_NS1_11comp_targetILNS1_3genE4ELNS1_11target_archE910ELNS1_3gpuE8ELNS1_3repE0EEENS1_30default_config_static_selectorELNS0_4arch9wavefront6targetE1EEEvT1_,"axG",@progbits,_ZN7rocprim17ROCPRIM_400000_NS6detail17trampoline_kernelINS0_14default_configENS1_20scan_config_selectorIfEEZZNS1_9scan_implILNS1_25lookback_scan_determinismE0ELb1ELb1ES3_N6thrust23THRUST_200600_302600_NS6detail15normal_iteratorINS9_10device_ptrIjEEEENSB_INSC_IfEEEEfNS9_4plusIvEEfEEDaPvRmT3_T4_T5_mT6_P12ihipStream_tbENKUlT_T0_E_clISt17integral_constantIbLb1EESW_EEDaSR_SS_EUlSR_E0_NS1_11comp_targetILNS1_3genE4ELNS1_11target_archE910ELNS1_3gpuE8ELNS1_3repE0EEENS1_30default_config_static_selectorELNS0_4arch9wavefront6targetE1EEEvT1_,comdat
.Lfunc_end6117:
	.size	_ZN7rocprim17ROCPRIM_400000_NS6detail17trampoline_kernelINS0_14default_configENS1_20scan_config_selectorIfEEZZNS1_9scan_implILNS1_25lookback_scan_determinismE0ELb1ELb1ES3_N6thrust23THRUST_200600_302600_NS6detail15normal_iteratorINS9_10device_ptrIjEEEENSB_INSC_IfEEEEfNS9_4plusIvEEfEEDaPvRmT3_T4_T5_mT6_P12ihipStream_tbENKUlT_T0_E_clISt17integral_constantIbLb1EESW_EEDaSR_SS_EUlSR_E0_NS1_11comp_targetILNS1_3genE4ELNS1_11target_archE910ELNS1_3gpuE8ELNS1_3repE0EEENS1_30default_config_static_selectorELNS0_4arch9wavefront6targetE1EEEvT1_, .Lfunc_end6117-_ZN7rocprim17ROCPRIM_400000_NS6detail17trampoline_kernelINS0_14default_configENS1_20scan_config_selectorIfEEZZNS1_9scan_implILNS1_25lookback_scan_determinismE0ELb1ELb1ES3_N6thrust23THRUST_200600_302600_NS6detail15normal_iteratorINS9_10device_ptrIjEEEENSB_INSC_IfEEEEfNS9_4plusIvEEfEEDaPvRmT3_T4_T5_mT6_P12ihipStream_tbENKUlT_T0_E_clISt17integral_constantIbLb1EESW_EEDaSR_SS_EUlSR_E0_NS1_11comp_targetILNS1_3genE4ELNS1_11target_archE910ELNS1_3gpuE8ELNS1_3repE0EEENS1_30default_config_static_selectorELNS0_4arch9wavefront6targetE1EEEvT1_
                                        ; -- End function
	.section	.AMDGPU.csdata,"",@progbits
; Kernel info:
; codeLenInByte = 2132
; NumSgprs: 42
; NumVgprs: 24
; NumAgprs: 0
; TotalNumVgprs: 24
; ScratchSize: 0
; MemoryBound: 0
; FloatMode: 240
; IeeeMode: 1
; LDSByteSize: 7168 bytes/workgroup (compile time only)
; SGPRBlocks: 5
; VGPRBlocks: 2
; NumSGPRsForWavesPerEU: 42
; NumVGPRsForWavesPerEU: 24
; AccumOffset: 24
; Occupancy: 5
; WaveLimiterHint : 0
; COMPUTE_PGM_RSRC2:SCRATCH_EN: 0
; COMPUTE_PGM_RSRC2:USER_SGPR: 6
; COMPUTE_PGM_RSRC2:TRAP_HANDLER: 0
; COMPUTE_PGM_RSRC2:TGID_X_EN: 1
; COMPUTE_PGM_RSRC2:TGID_Y_EN: 0
; COMPUTE_PGM_RSRC2:TGID_Z_EN: 0
; COMPUTE_PGM_RSRC2:TIDIG_COMP_CNT: 0
; COMPUTE_PGM_RSRC3_GFX90A:ACCUM_OFFSET: 5
; COMPUTE_PGM_RSRC3_GFX90A:TG_SPLIT: 0
	.section	.text._ZN7rocprim17ROCPRIM_400000_NS6detail17trampoline_kernelINS0_14default_configENS1_20scan_config_selectorIfEEZZNS1_9scan_implILNS1_25lookback_scan_determinismE0ELb1ELb1ES3_N6thrust23THRUST_200600_302600_NS6detail15normal_iteratorINS9_10device_ptrIjEEEENSB_INSC_IfEEEEfNS9_4plusIvEEfEEDaPvRmT3_T4_T5_mT6_P12ihipStream_tbENKUlT_T0_E_clISt17integral_constantIbLb1EESW_EEDaSR_SS_EUlSR_E0_NS1_11comp_targetILNS1_3genE3ELNS1_11target_archE908ELNS1_3gpuE7ELNS1_3repE0EEENS1_30default_config_static_selectorELNS0_4arch9wavefront6targetE1EEEvT1_,"axG",@progbits,_ZN7rocprim17ROCPRIM_400000_NS6detail17trampoline_kernelINS0_14default_configENS1_20scan_config_selectorIfEEZZNS1_9scan_implILNS1_25lookback_scan_determinismE0ELb1ELb1ES3_N6thrust23THRUST_200600_302600_NS6detail15normal_iteratorINS9_10device_ptrIjEEEENSB_INSC_IfEEEEfNS9_4plusIvEEfEEDaPvRmT3_T4_T5_mT6_P12ihipStream_tbENKUlT_T0_E_clISt17integral_constantIbLb1EESW_EEDaSR_SS_EUlSR_E0_NS1_11comp_targetILNS1_3genE3ELNS1_11target_archE908ELNS1_3gpuE7ELNS1_3repE0EEENS1_30default_config_static_selectorELNS0_4arch9wavefront6targetE1EEEvT1_,comdat
	.protected	_ZN7rocprim17ROCPRIM_400000_NS6detail17trampoline_kernelINS0_14default_configENS1_20scan_config_selectorIfEEZZNS1_9scan_implILNS1_25lookback_scan_determinismE0ELb1ELb1ES3_N6thrust23THRUST_200600_302600_NS6detail15normal_iteratorINS9_10device_ptrIjEEEENSB_INSC_IfEEEEfNS9_4plusIvEEfEEDaPvRmT3_T4_T5_mT6_P12ihipStream_tbENKUlT_T0_E_clISt17integral_constantIbLb1EESW_EEDaSR_SS_EUlSR_E0_NS1_11comp_targetILNS1_3genE3ELNS1_11target_archE908ELNS1_3gpuE7ELNS1_3repE0EEENS1_30default_config_static_selectorELNS0_4arch9wavefront6targetE1EEEvT1_ ; -- Begin function _ZN7rocprim17ROCPRIM_400000_NS6detail17trampoline_kernelINS0_14default_configENS1_20scan_config_selectorIfEEZZNS1_9scan_implILNS1_25lookback_scan_determinismE0ELb1ELb1ES3_N6thrust23THRUST_200600_302600_NS6detail15normal_iteratorINS9_10device_ptrIjEEEENSB_INSC_IfEEEEfNS9_4plusIvEEfEEDaPvRmT3_T4_T5_mT6_P12ihipStream_tbENKUlT_T0_E_clISt17integral_constantIbLb1EESW_EEDaSR_SS_EUlSR_E0_NS1_11comp_targetILNS1_3genE3ELNS1_11target_archE908ELNS1_3gpuE7ELNS1_3repE0EEENS1_30default_config_static_selectorELNS0_4arch9wavefront6targetE1EEEvT1_
	.globl	_ZN7rocprim17ROCPRIM_400000_NS6detail17trampoline_kernelINS0_14default_configENS1_20scan_config_selectorIfEEZZNS1_9scan_implILNS1_25lookback_scan_determinismE0ELb1ELb1ES3_N6thrust23THRUST_200600_302600_NS6detail15normal_iteratorINS9_10device_ptrIjEEEENSB_INSC_IfEEEEfNS9_4plusIvEEfEEDaPvRmT3_T4_T5_mT6_P12ihipStream_tbENKUlT_T0_E_clISt17integral_constantIbLb1EESW_EEDaSR_SS_EUlSR_E0_NS1_11comp_targetILNS1_3genE3ELNS1_11target_archE908ELNS1_3gpuE7ELNS1_3repE0EEENS1_30default_config_static_selectorELNS0_4arch9wavefront6targetE1EEEvT1_
	.p2align	8
	.type	_ZN7rocprim17ROCPRIM_400000_NS6detail17trampoline_kernelINS0_14default_configENS1_20scan_config_selectorIfEEZZNS1_9scan_implILNS1_25lookback_scan_determinismE0ELb1ELb1ES3_N6thrust23THRUST_200600_302600_NS6detail15normal_iteratorINS9_10device_ptrIjEEEENSB_INSC_IfEEEEfNS9_4plusIvEEfEEDaPvRmT3_T4_T5_mT6_P12ihipStream_tbENKUlT_T0_E_clISt17integral_constantIbLb1EESW_EEDaSR_SS_EUlSR_E0_NS1_11comp_targetILNS1_3genE3ELNS1_11target_archE908ELNS1_3gpuE7ELNS1_3repE0EEENS1_30default_config_static_selectorELNS0_4arch9wavefront6targetE1EEEvT1_,@function
_ZN7rocprim17ROCPRIM_400000_NS6detail17trampoline_kernelINS0_14default_configENS1_20scan_config_selectorIfEEZZNS1_9scan_implILNS1_25lookback_scan_determinismE0ELb1ELb1ES3_N6thrust23THRUST_200600_302600_NS6detail15normal_iteratorINS9_10device_ptrIjEEEENSB_INSC_IfEEEEfNS9_4plusIvEEfEEDaPvRmT3_T4_T5_mT6_P12ihipStream_tbENKUlT_T0_E_clISt17integral_constantIbLb1EESW_EEDaSR_SS_EUlSR_E0_NS1_11comp_targetILNS1_3genE3ELNS1_11target_archE908ELNS1_3gpuE7ELNS1_3repE0EEENS1_30default_config_static_selectorELNS0_4arch9wavefront6targetE1EEEvT1_: ; @_ZN7rocprim17ROCPRIM_400000_NS6detail17trampoline_kernelINS0_14default_configENS1_20scan_config_selectorIfEEZZNS1_9scan_implILNS1_25lookback_scan_determinismE0ELb1ELb1ES3_N6thrust23THRUST_200600_302600_NS6detail15normal_iteratorINS9_10device_ptrIjEEEENSB_INSC_IfEEEEfNS9_4plusIvEEfEEDaPvRmT3_T4_T5_mT6_P12ihipStream_tbENKUlT_T0_E_clISt17integral_constantIbLb1EESW_EEDaSR_SS_EUlSR_E0_NS1_11comp_targetILNS1_3genE3ELNS1_11target_archE908ELNS1_3gpuE7ELNS1_3repE0EEENS1_30default_config_static_selectorELNS0_4arch9wavefront6targetE1EEEvT1_
; %bb.0:
	.section	.rodata,"a",@progbits
	.p2align	6, 0x0
	.amdhsa_kernel _ZN7rocprim17ROCPRIM_400000_NS6detail17trampoline_kernelINS0_14default_configENS1_20scan_config_selectorIfEEZZNS1_9scan_implILNS1_25lookback_scan_determinismE0ELb1ELb1ES3_N6thrust23THRUST_200600_302600_NS6detail15normal_iteratorINS9_10device_ptrIjEEEENSB_INSC_IfEEEEfNS9_4plusIvEEfEEDaPvRmT3_T4_T5_mT6_P12ihipStream_tbENKUlT_T0_E_clISt17integral_constantIbLb1EESW_EEDaSR_SS_EUlSR_E0_NS1_11comp_targetILNS1_3genE3ELNS1_11target_archE908ELNS1_3gpuE7ELNS1_3repE0EEENS1_30default_config_static_selectorELNS0_4arch9wavefront6targetE1EEEvT1_
		.amdhsa_group_segment_fixed_size 0
		.amdhsa_private_segment_fixed_size 0
		.amdhsa_kernarg_size 32
		.amdhsa_user_sgpr_count 6
		.amdhsa_user_sgpr_private_segment_buffer 1
		.amdhsa_user_sgpr_dispatch_ptr 0
		.amdhsa_user_sgpr_queue_ptr 0
		.amdhsa_user_sgpr_kernarg_segment_ptr 1
		.amdhsa_user_sgpr_dispatch_id 0
		.amdhsa_user_sgpr_flat_scratch_init 0
		.amdhsa_user_sgpr_kernarg_preload_length 0
		.amdhsa_user_sgpr_kernarg_preload_offset 0
		.amdhsa_user_sgpr_private_segment_size 0
		.amdhsa_uses_dynamic_stack 0
		.amdhsa_system_sgpr_private_segment_wavefront_offset 0
		.amdhsa_system_sgpr_workgroup_id_x 1
		.amdhsa_system_sgpr_workgroup_id_y 0
		.amdhsa_system_sgpr_workgroup_id_z 0
		.amdhsa_system_sgpr_workgroup_info 0
		.amdhsa_system_vgpr_workitem_id 0
		.amdhsa_next_free_vgpr 1
		.amdhsa_next_free_sgpr 0
		.amdhsa_accum_offset 4
		.amdhsa_reserve_vcc 0
		.amdhsa_reserve_flat_scratch 0
		.amdhsa_float_round_mode_32 0
		.amdhsa_float_round_mode_16_64 0
		.amdhsa_float_denorm_mode_32 3
		.amdhsa_float_denorm_mode_16_64 3
		.amdhsa_dx10_clamp 1
		.amdhsa_ieee_mode 1
		.amdhsa_fp16_overflow 0
		.amdhsa_tg_split 0
		.amdhsa_exception_fp_ieee_invalid_op 0
		.amdhsa_exception_fp_denorm_src 0
		.amdhsa_exception_fp_ieee_div_zero 0
		.amdhsa_exception_fp_ieee_overflow 0
		.amdhsa_exception_fp_ieee_underflow 0
		.amdhsa_exception_fp_ieee_inexact 0
		.amdhsa_exception_int_div_zero 0
	.end_amdhsa_kernel
	.section	.text._ZN7rocprim17ROCPRIM_400000_NS6detail17trampoline_kernelINS0_14default_configENS1_20scan_config_selectorIfEEZZNS1_9scan_implILNS1_25lookback_scan_determinismE0ELb1ELb1ES3_N6thrust23THRUST_200600_302600_NS6detail15normal_iteratorINS9_10device_ptrIjEEEENSB_INSC_IfEEEEfNS9_4plusIvEEfEEDaPvRmT3_T4_T5_mT6_P12ihipStream_tbENKUlT_T0_E_clISt17integral_constantIbLb1EESW_EEDaSR_SS_EUlSR_E0_NS1_11comp_targetILNS1_3genE3ELNS1_11target_archE908ELNS1_3gpuE7ELNS1_3repE0EEENS1_30default_config_static_selectorELNS0_4arch9wavefront6targetE1EEEvT1_,"axG",@progbits,_ZN7rocprim17ROCPRIM_400000_NS6detail17trampoline_kernelINS0_14default_configENS1_20scan_config_selectorIfEEZZNS1_9scan_implILNS1_25lookback_scan_determinismE0ELb1ELb1ES3_N6thrust23THRUST_200600_302600_NS6detail15normal_iteratorINS9_10device_ptrIjEEEENSB_INSC_IfEEEEfNS9_4plusIvEEfEEDaPvRmT3_T4_T5_mT6_P12ihipStream_tbENKUlT_T0_E_clISt17integral_constantIbLb1EESW_EEDaSR_SS_EUlSR_E0_NS1_11comp_targetILNS1_3genE3ELNS1_11target_archE908ELNS1_3gpuE7ELNS1_3repE0EEENS1_30default_config_static_selectorELNS0_4arch9wavefront6targetE1EEEvT1_,comdat
.Lfunc_end6118:
	.size	_ZN7rocprim17ROCPRIM_400000_NS6detail17trampoline_kernelINS0_14default_configENS1_20scan_config_selectorIfEEZZNS1_9scan_implILNS1_25lookback_scan_determinismE0ELb1ELb1ES3_N6thrust23THRUST_200600_302600_NS6detail15normal_iteratorINS9_10device_ptrIjEEEENSB_INSC_IfEEEEfNS9_4plusIvEEfEEDaPvRmT3_T4_T5_mT6_P12ihipStream_tbENKUlT_T0_E_clISt17integral_constantIbLb1EESW_EEDaSR_SS_EUlSR_E0_NS1_11comp_targetILNS1_3genE3ELNS1_11target_archE908ELNS1_3gpuE7ELNS1_3repE0EEENS1_30default_config_static_selectorELNS0_4arch9wavefront6targetE1EEEvT1_, .Lfunc_end6118-_ZN7rocprim17ROCPRIM_400000_NS6detail17trampoline_kernelINS0_14default_configENS1_20scan_config_selectorIfEEZZNS1_9scan_implILNS1_25lookback_scan_determinismE0ELb1ELb1ES3_N6thrust23THRUST_200600_302600_NS6detail15normal_iteratorINS9_10device_ptrIjEEEENSB_INSC_IfEEEEfNS9_4plusIvEEfEEDaPvRmT3_T4_T5_mT6_P12ihipStream_tbENKUlT_T0_E_clISt17integral_constantIbLb1EESW_EEDaSR_SS_EUlSR_E0_NS1_11comp_targetILNS1_3genE3ELNS1_11target_archE908ELNS1_3gpuE7ELNS1_3repE0EEENS1_30default_config_static_selectorELNS0_4arch9wavefront6targetE1EEEvT1_
                                        ; -- End function
	.section	.AMDGPU.csdata,"",@progbits
; Kernel info:
; codeLenInByte = 0
; NumSgprs: 4
; NumVgprs: 0
; NumAgprs: 0
; TotalNumVgprs: 0
; ScratchSize: 0
; MemoryBound: 0
; FloatMode: 240
; IeeeMode: 1
; LDSByteSize: 0 bytes/workgroup (compile time only)
; SGPRBlocks: 0
; VGPRBlocks: 0
; NumSGPRsForWavesPerEU: 4
; NumVGPRsForWavesPerEU: 1
; AccumOffset: 4
; Occupancy: 8
; WaveLimiterHint : 0
; COMPUTE_PGM_RSRC2:SCRATCH_EN: 0
; COMPUTE_PGM_RSRC2:USER_SGPR: 6
; COMPUTE_PGM_RSRC2:TRAP_HANDLER: 0
; COMPUTE_PGM_RSRC2:TGID_X_EN: 1
; COMPUTE_PGM_RSRC2:TGID_Y_EN: 0
; COMPUTE_PGM_RSRC2:TGID_Z_EN: 0
; COMPUTE_PGM_RSRC2:TIDIG_COMP_CNT: 0
; COMPUTE_PGM_RSRC3_GFX90A:ACCUM_OFFSET: 0
; COMPUTE_PGM_RSRC3_GFX90A:TG_SPLIT: 0
	.section	.text._ZN7rocprim17ROCPRIM_400000_NS6detail17trampoline_kernelINS0_14default_configENS1_20scan_config_selectorIfEEZZNS1_9scan_implILNS1_25lookback_scan_determinismE0ELb1ELb1ES3_N6thrust23THRUST_200600_302600_NS6detail15normal_iteratorINS9_10device_ptrIjEEEENSB_INSC_IfEEEEfNS9_4plusIvEEfEEDaPvRmT3_T4_T5_mT6_P12ihipStream_tbENKUlT_T0_E_clISt17integral_constantIbLb1EESW_EEDaSR_SS_EUlSR_E0_NS1_11comp_targetILNS1_3genE2ELNS1_11target_archE906ELNS1_3gpuE6ELNS1_3repE0EEENS1_30default_config_static_selectorELNS0_4arch9wavefront6targetE1EEEvT1_,"axG",@progbits,_ZN7rocprim17ROCPRIM_400000_NS6detail17trampoline_kernelINS0_14default_configENS1_20scan_config_selectorIfEEZZNS1_9scan_implILNS1_25lookback_scan_determinismE0ELb1ELb1ES3_N6thrust23THRUST_200600_302600_NS6detail15normal_iteratorINS9_10device_ptrIjEEEENSB_INSC_IfEEEEfNS9_4plusIvEEfEEDaPvRmT3_T4_T5_mT6_P12ihipStream_tbENKUlT_T0_E_clISt17integral_constantIbLb1EESW_EEDaSR_SS_EUlSR_E0_NS1_11comp_targetILNS1_3genE2ELNS1_11target_archE906ELNS1_3gpuE6ELNS1_3repE0EEENS1_30default_config_static_selectorELNS0_4arch9wavefront6targetE1EEEvT1_,comdat
	.protected	_ZN7rocprim17ROCPRIM_400000_NS6detail17trampoline_kernelINS0_14default_configENS1_20scan_config_selectorIfEEZZNS1_9scan_implILNS1_25lookback_scan_determinismE0ELb1ELb1ES3_N6thrust23THRUST_200600_302600_NS6detail15normal_iteratorINS9_10device_ptrIjEEEENSB_INSC_IfEEEEfNS9_4plusIvEEfEEDaPvRmT3_T4_T5_mT6_P12ihipStream_tbENKUlT_T0_E_clISt17integral_constantIbLb1EESW_EEDaSR_SS_EUlSR_E0_NS1_11comp_targetILNS1_3genE2ELNS1_11target_archE906ELNS1_3gpuE6ELNS1_3repE0EEENS1_30default_config_static_selectorELNS0_4arch9wavefront6targetE1EEEvT1_ ; -- Begin function _ZN7rocprim17ROCPRIM_400000_NS6detail17trampoline_kernelINS0_14default_configENS1_20scan_config_selectorIfEEZZNS1_9scan_implILNS1_25lookback_scan_determinismE0ELb1ELb1ES3_N6thrust23THRUST_200600_302600_NS6detail15normal_iteratorINS9_10device_ptrIjEEEENSB_INSC_IfEEEEfNS9_4plusIvEEfEEDaPvRmT3_T4_T5_mT6_P12ihipStream_tbENKUlT_T0_E_clISt17integral_constantIbLb1EESW_EEDaSR_SS_EUlSR_E0_NS1_11comp_targetILNS1_3genE2ELNS1_11target_archE906ELNS1_3gpuE6ELNS1_3repE0EEENS1_30default_config_static_selectorELNS0_4arch9wavefront6targetE1EEEvT1_
	.globl	_ZN7rocprim17ROCPRIM_400000_NS6detail17trampoline_kernelINS0_14default_configENS1_20scan_config_selectorIfEEZZNS1_9scan_implILNS1_25lookback_scan_determinismE0ELb1ELb1ES3_N6thrust23THRUST_200600_302600_NS6detail15normal_iteratorINS9_10device_ptrIjEEEENSB_INSC_IfEEEEfNS9_4plusIvEEfEEDaPvRmT3_T4_T5_mT6_P12ihipStream_tbENKUlT_T0_E_clISt17integral_constantIbLb1EESW_EEDaSR_SS_EUlSR_E0_NS1_11comp_targetILNS1_3genE2ELNS1_11target_archE906ELNS1_3gpuE6ELNS1_3repE0EEENS1_30default_config_static_selectorELNS0_4arch9wavefront6targetE1EEEvT1_
	.p2align	8
	.type	_ZN7rocprim17ROCPRIM_400000_NS6detail17trampoline_kernelINS0_14default_configENS1_20scan_config_selectorIfEEZZNS1_9scan_implILNS1_25lookback_scan_determinismE0ELb1ELb1ES3_N6thrust23THRUST_200600_302600_NS6detail15normal_iteratorINS9_10device_ptrIjEEEENSB_INSC_IfEEEEfNS9_4plusIvEEfEEDaPvRmT3_T4_T5_mT6_P12ihipStream_tbENKUlT_T0_E_clISt17integral_constantIbLb1EESW_EEDaSR_SS_EUlSR_E0_NS1_11comp_targetILNS1_3genE2ELNS1_11target_archE906ELNS1_3gpuE6ELNS1_3repE0EEENS1_30default_config_static_selectorELNS0_4arch9wavefront6targetE1EEEvT1_,@function
_ZN7rocprim17ROCPRIM_400000_NS6detail17trampoline_kernelINS0_14default_configENS1_20scan_config_selectorIfEEZZNS1_9scan_implILNS1_25lookback_scan_determinismE0ELb1ELb1ES3_N6thrust23THRUST_200600_302600_NS6detail15normal_iteratorINS9_10device_ptrIjEEEENSB_INSC_IfEEEEfNS9_4plusIvEEfEEDaPvRmT3_T4_T5_mT6_P12ihipStream_tbENKUlT_T0_E_clISt17integral_constantIbLb1EESW_EEDaSR_SS_EUlSR_E0_NS1_11comp_targetILNS1_3genE2ELNS1_11target_archE906ELNS1_3gpuE6ELNS1_3repE0EEENS1_30default_config_static_selectorELNS0_4arch9wavefront6targetE1EEEvT1_: ; @_ZN7rocprim17ROCPRIM_400000_NS6detail17trampoline_kernelINS0_14default_configENS1_20scan_config_selectorIfEEZZNS1_9scan_implILNS1_25lookback_scan_determinismE0ELb1ELb1ES3_N6thrust23THRUST_200600_302600_NS6detail15normal_iteratorINS9_10device_ptrIjEEEENSB_INSC_IfEEEEfNS9_4plusIvEEfEEDaPvRmT3_T4_T5_mT6_P12ihipStream_tbENKUlT_T0_E_clISt17integral_constantIbLb1EESW_EEDaSR_SS_EUlSR_E0_NS1_11comp_targetILNS1_3genE2ELNS1_11target_archE906ELNS1_3gpuE6ELNS1_3repE0EEENS1_30default_config_static_selectorELNS0_4arch9wavefront6targetE1EEEvT1_
; %bb.0:
	.section	.rodata,"a",@progbits
	.p2align	6, 0x0
	.amdhsa_kernel _ZN7rocprim17ROCPRIM_400000_NS6detail17trampoline_kernelINS0_14default_configENS1_20scan_config_selectorIfEEZZNS1_9scan_implILNS1_25lookback_scan_determinismE0ELb1ELb1ES3_N6thrust23THRUST_200600_302600_NS6detail15normal_iteratorINS9_10device_ptrIjEEEENSB_INSC_IfEEEEfNS9_4plusIvEEfEEDaPvRmT3_T4_T5_mT6_P12ihipStream_tbENKUlT_T0_E_clISt17integral_constantIbLb1EESW_EEDaSR_SS_EUlSR_E0_NS1_11comp_targetILNS1_3genE2ELNS1_11target_archE906ELNS1_3gpuE6ELNS1_3repE0EEENS1_30default_config_static_selectorELNS0_4arch9wavefront6targetE1EEEvT1_
		.amdhsa_group_segment_fixed_size 0
		.amdhsa_private_segment_fixed_size 0
		.amdhsa_kernarg_size 32
		.amdhsa_user_sgpr_count 6
		.amdhsa_user_sgpr_private_segment_buffer 1
		.amdhsa_user_sgpr_dispatch_ptr 0
		.amdhsa_user_sgpr_queue_ptr 0
		.amdhsa_user_sgpr_kernarg_segment_ptr 1
		.amdhsa_user_sgpr_dispatch_id 0
		.amdhsa_user_sgpr_flat_scratch_init 0
		.amdhsa_user_sgpr_kernarg_preload_length 0
		.amdhsa_user_sgpr_kernarg_preload_offset 0
		.amdhsa_user_sgpr_private_segment_size 0
		.amdhsa_uses_dynamic_stack 0
		.amdhsa_system_sgpr_private_segment_wavefront_offset 0
		.amdhsa_system_sgpr_workgroup_id_x 1
		.amdhsa_system_sgpr_workgroup_id_y 0
		.amdhsa_system_sgpr_workgroup_id_z 0
		.amdhsa_system_sgpr_workgroup_info 0
		.amdhsa_system_vgpr_workitem_id 0
		.amdhsa_next_free_vgpr 1
		.amdhsa_next_free_sgpr 0
		.amdhsa_accum_offset 4
		.amdhsa_reserve_vcc 0
		.amdhsa_reserve_flat_scratch 0
		.amdhsa_float_round_mode_32 0
		.amdhsa_float_round_mode_16_64 0
		.amdhsa_float_denorm_mode_32 3
		.amdhsa_float_denorm_mode_16_64 3
		.amdhsa_dx10_clamp 1
		.amdhsa_ieee_mode 1
		.amdhsa_fp16_overflow 0
		.amdhsa_tg_split 0
		.amdhsa_exception_fp_ieee_invalid_op 0
		.amdhsa_exception_fp_denorm_src 0
		.amdhsa_exception_fp_ieee_div_zero 0
		.amdhsa_exception_fp_ieee_overflow 0
		.amdhsa_exception_fp_ieee_underflow 0
		.amdhsa_exception_fp_ieee_inexact 0
		.amdhsa_exception_int_div_zero 0
	.end_amdhsa_kernel
	.section	.text._ZN7rocprim17ROCPRIM_400000_NS6detail17trampoline_kernelINS0_14default_configENS1_20scan_config_selectorIfEEZZNS1_9scan_implILNS1_25lookback_scan_determinismE0ELb1ELb1ES3_N6thrust23THRUST_200600_302600_NS6detail15normal_iteratorINS9_10device_ptrIjEEEENSB_INSC_IfEEEEfNS9_4plusIvEEfEEDaPvRmT3_T4_T5_mT6_P12ihipStream_tbENKUlT_T0_E_clISt17integral_constantIbLb1EESW_EEDaSR_SS_EUlSR_E0_NS1_11comp_targetILNS1_3genE2ELNS1_11target_archE906ELNS1_3gpuE6ELNS1_3repE0EEENS1_30default_config_static_selectorELNS0_4arch9wavefront6targetE1EEEvT1_,"axG",@progbits,_ZN7rocprim17ROCPRIM_400000_NS6detail17trampoline_kernelINS0_14default_configENS1_20scan_config_selectorIfEEZZNS1_9scan_implILNS1_25lookback_scan_determinismE0ELb1ELb1ES3_N6thrust23THRUST_200600_302600_NS6detail15normal_iteratorINS9_10device_ptrIjEEEENSB_INSC_IfEEEEfNS9_4plusIvEEfEEDaPvRmT3_T4_T5_mT6_P12ihipStream_tbENKUlT_T0_E_clISt17integral_constantIbLb1EESW_EEDaSR_SS_EUlSR_E0_NS1_11comp_targetILNS1_3genE2ELNS1_11target_archE906ELNS1_3gpuE6ELNS1_3repE0EEENS1_30default_config_static_selectorELNS0_4arch9wavefront6targetE1EEEvT1_,comdat
.Lfunc_end6119:
	.size	_ZN7rocprim17ROCPRIM_400000_NS6detail17trampoline_kernelINS0_14default_configENS1_20scan_config_selectorIfEEZZNS1_9scan_implILNS1_25lookback_scan_determinismE0ELb1ELb1ES3_N6thrust23THRUST_200600_302600_NS6detail15normal_iteratorINS9_10device_ptrIjEEEENSB_INSC_IfEEEEfNS9_4plusIvEEfEEDaPvRmT3_T4_T5_mT6_P12ihipStream_tbENKUlT_T0_E_clISt17integral_constantIbLb1EESW_EEDaSR_SS_EUlSR_E0_NS1_11comp_targetILNS1_3genE2ELNS1_11target_archE906ELNS1_3gpuE6ELNS1_3repE0EEENS1_30default_config_static_selectorELNS0_4arch9wavefront6targetE1EEEvT1_, .Lfunc_end6119-_ZN7rocprim17ROCPRIM_400000_NS6detail17trampoline_kernelINS0_14default_configENS1_20scan_config_selectorIfEEZZNS1_9scan_implILNS1_25lookback_scan_determinismE0ELb1ELb1ES3_N6thrust23THRUST_200600_302600_NS6detail15normal_iteratorINS9_10device_ptrIjEEEENSB_INSC_IfEEEEfNS9_4plusIvEEfEEDaPvRmT3_T4_T5_mT6_P12ihipStream_tbENKUlT_T0_E_clISt17integral_constantIbLb1EESW_EEDaSR_SS_EUlSR_E0_NS1_11comp_targetILNS1_3genE2ELNS1_11target_archE906ELNS1_3gpuE6ELNS1_3repE0EEENS1_30default_config_static_selectorELNS0_4arch9wavefront6targetE1EEEvT1_
                                        ; -- End function
	.section	.AMDGPU.csdata,"",@progbits
; Kernel info:
; codeLenInByte = 0
; NumSgprs: 4
; NumVgprs: 0
; NumAgprs: 0
; TotalNumVgprs: 0
; ScratchSize: 0
; MemoryBound: 0
; FloatMode: 240
; IeeeMode: 1
; LDSByteSize: 0 bytes/workgroup (compile time only)
; SGPRBlocks: 0
; VGPRBlocks: 0
; NumSGPRsForWavesPerEU: 4
; NumVGPRsForWavesPerEU: 1
; AccumOffset: 4
; Occupancy: 8
; WaveLimiterHint : 0
; COMPUTE_PGM_RSRC2:SCRATCH_EN: 0
; COMPUTE_PGM_RSRC2:USER_SGPR: 6
; COMPUTE_PGM_RSRC2:TRAP_HANDLER: 0
; COMPUTE_PGM_RSRC2:TGID_X_EN: 1
; COMPUTE_PGM_RSRC2:TGID_Y_EN: 0
; COMPUTE_PGM_RSRC2:TGID_Z_EN: 0
; COMPUTE_PGM_RSRC2:TIDIG_COMP_CNT: 0
; COMPUTE_PGM_RSRC3_GFX90A:ACCUM_OFFSET: 0
; COMPUTE_PGM_RSRC3_GFX90A:TG_SPLIT: 0
	.section	.text._ZN7rocprim17ROCPRIM_400000_NS6detail17trampoline_kernelINS0_14default_configENS1_20scan_config_selectorIfEEZZNS1_9scan_implILNS1_25lookback_scan_determinismE0ELb1ELb1ES3_N6thrust23THRUST_200600_302600_NS6detail15normal_iteratorINS9_10device_ptrIjEEEENSB_INSC_IfEEEEfNS9_4plusIvEEfEEDaPvRmT3_T4_T5_mT6_P12ihipStream_tbENKUlT_T0_E_clISt17integral_constantIbLb1EESW_EEDaSR_SS_EUlSR_E0_NS1_11comp_targetILNS1_3genE10ELNS1_11target_archE1201ELNS1_3gpuE5ELNS1_3repE0EEENS1_30default_config_static_selectorELNS0_4arch9wavefront6targetE1EEEvT1_,"axG",@progbits,_ZN7rocprim17ROCPRIM_400000_NS6detail17trampoline_kernelINS0_14default_configENS1_20scan_config_selectorIfEEZZNS1_9scan_implILNS1_25lookback_scan_determinismE0ELb1ELb1ES3_N6thrust23THRUST_200600_302600_NS6detail15normal_iteratorINS9_10device_ptrIjEEEENSB_INSC_IfEEEEfNS9_4plusIvEEfEEDaPvRmT3_T4_T5_mT6_P12ihipStream_tbENKUlT_T0_E_clISt17integral_constantIbLb1EESW_EEDaSR_SS_EUlSR_E0_NS1_11comp_targetILNS1_3genE10ELNS1_11target_archE1201ELNS1_3gpuE5ELNS1_3repE0EEENS1_30default_config_static_selectorELNS0_4arch9wavefront6targetE1EEEvT1_,comdat
	.protected	_ZN7rocprim17ROCPRIM_400000_NS6detail17trampoline_kernelINS0_14default_configENS1_20scan_config_selectorIfEEZZNS1_9scan_implILNS1_25lookback_scan_determinismE0ELb1ELb1ES3_N6thrust23THRUST_200600_302600_NS6detail15normal_iteratorINS9_10device_ptrIjEEEENSB_INSC_IfEEEEfNS9_4plusIvEEfEEDaPvRmT3_T4_T5_mT6_P12ihipStream_tbENKUlT_T0_E_clISt17integral_constantIbLb1EESW_EEDaSR_SS_EUlSR_E0_NS1_11comp_targetILNS1_3genE10ELNS1_11target_archE1201ELNS1_3gpuE5ELNS1_3repE0EEENS1_30default_config_static_selectorELNS0_4arch9wavefront6targetE1EEEvT1_ ; -- Begin function _ZN7rocprim17ROCPRIM_400000_NS6detail17trampoline_kernelINS0_14default_configENS1_20scan_config_selectorIfEEZZNS1_9scan_implILNS1_25lookback_scan_determinismE0ELb1ELb1ES3_N6thrust23THRUST_200600_302600_NS6detail15normal_iteratorINS9_10device_ptrIjEEEENSB_INSC_IfEEEEfNS9_4plusIvEEfEEDaPvRmT3_T4_T5_mT6_P12ihipStream_tbENKUlT_T0_E_clISt17integral_constantIbLb1EESW_EEDaSR_SS_EUlSR_E0_NS1_11comp_targetILNS1_3genE10ELNS1_11target_archE1201ELNS1_3gpuE5ELNS1_3repE0EEENS1_30default_config_static_selectorELNS0_4arch9wavefront6targetE1EEEvT1_
	.globl	_ZN7rocprim17ROCPRIM_400000_NS6detail17trampoline_kernelINS0_14default_configENS1_20scan_config_selectorIfEEZZNS1_9scan_implILNS1_25lookback_scan_determinismE0ELb1ELb1ES3_N6thrust23THRUST_200600_302600_NS6detail15normal_iteratorINS9_10device_ptrIjEEEENSB_INSC_IfEEEEfNS9_4plusIvEEfEEDaPvRmT3_T4_T5_mT6_P12ihipStream_tbENKUlT_T0_E_clISt17integral_constantIbLb1EESW_EEDaSR_SS_EUlSR_E0_NS1_11comp_targetILNS1_3genE10ELNS1_11target_archE1201ELNS1_3gpuE5ELNS1_3repE0EEENS1_30default_config_static_selectorELNS0_4arch9wavefront6targetE1EEEvT1_
	.p2align	8
	.type	_ZN7rocprim17ROCPRIM_400000_NS6detail17trampoline_kernelINS0_14default_configENS1_20scan_config_selectorIfEEZZNS1_9scan_implILNS1_25lookback_scan_determinismE0ELb1ELb1ES3_N6thrust23THRUST_200600_302600_NS6detail15normal_iteratorINS9_10device_ptrIjEEEENSB_INSC_IfEEEEfNS9_4plusIvEEfEEDaPvRmT3_T4_T5_mT6_P12ihipStream_tbENKUlT_T0_E_clISt17integral_constantIbLb1EESW_EEDaSR_SS_EUlSR_E0_NS1_11comp_targetILNS1_3genE10ELNS1_11target_archE1201ELNS1_3gpuE5ELNS1_3repE0EEENS1_30default_config_static_selectorELNS0_4arch9wavefront6targetE1EEEvT1_,@function
_ZN7rocprim17ROCPRIM_400000_NS6detail17trampoline_kernelINS0_14default_configENS1_20scan_config_selectorIfEEZZNS1_9scan_implILNS1_25lookback_scan_determinismE0ELb1ELb1ES3_N6thrust23THRUST_200600_302600_NS6detail15normal_iteratorINS9_10device_ptrIjEEEENSB_INSC_IfEEEEfNS9_4plusIvEEfEEDaPvRmT3_T4_T5_mT6_P12ihipStream_tbENKUlT_T0_E_clISt17integral_constantIbLb1EESW_EEDaSR_SS_EUlSR_E0_NS1_11comp_targetILNS1_3genE10ELNS1_11target_archE1201ELNS1_3gpuE5ELNS1_3repE0EEENS1_30default_config_static_selectorELNS0_4arch9wavefront6targetE1EEEvT1_: ; @_ZN7rocprim17ROCPRIM_400000_NS6detail17trampoline_kernelINS0_14default_configENS1_20scan_config_selectorIfEEZZNS1_9scan_implILNS1_25lookback_scan_determinismE0ELb1ELb1ES3_N6thrust23THRUST_200600_302600_NS6detail15normal_iteratorINS9_10device_ptrIjEEEENSB_INSC_IfEEEEfNS9_4plusIvEEfEEDaPvRmT3_T4_T5_mT6_P12ihipStream_tbENKUlT_T0_E_clISt17integral_constantIbLb1EESW_EEDaSR_SS_EUlSR_E0_NS1_11comp_targetILNS1_3genE10ELNS1_11target_archE1201ELNS1_3gpuE5ELNS1_3repE0EEENS1_30default_config_static_selectorELNS0_4arch9wavefront6targetE1EEEvT1_
; %bb.0:
	.section	.rodata,"a",@progbits
	.p2align	6, 0x0
	.amdhsa_kernel _ZN7rocprim17ROCPRIM_400000_NS6detail17trampoline_kernelINS0_14default_configENS1_20scan_config_selectorIfEEZZNS1_9scan_implILNS1_25lookback_scan_determinismE0ELb1ELb1ES3_N6thrust23THRUST_200600_302600_NS6detail15normal_iteratorINS9_10device_ptrIjEEEENSB_INSC_IfEEEEfNS9_4plusIvEEfEEDaPvRmT3_T4_T5_mT6_P12ihipStream_tbENKUlT_T0_E_clISt17integral_constantIbLb1EESW_EEDaSR_SS_EUlSR_E0_NS1_11comp_targetILNS1_3genE10ELNS1_11target_archE1201ELNS1_3gpuE5ELNS1_3repE0EEENS1_30default_config_static_selectorELNS0_4arch9wavefront6targetE1EEEvT1_
		.amdhsa_group_segment_fixed_size 0
		.amdhsa_private_segment_fixed_size 0
		.amdhsa_kernarg_size 32
		.amdhsa_user_sgpr_count 6
		.amdhsa_user_sgpr_private_segment_buffer 1
		.amdhsa_user_sgpr_dispatch_ptr 0
		.amdhsa_user_sgpr_queue_ptr 0
		.amdhsa_user_sgpr_kernarg_segment_ptr 1
		.amdhsa_user_sgpr_dispatch_id 0
		.amdhsa_user_sgpr_flat_scratch_init 0
		.amdhsa_user_sgpr_kernarg_preload_length 0
		.amdhsa_user_sgpr_kernarg_preload_offset 0
		.amdhsa_user_sgpr_private_segment_size 0
		.amdhsa_uses_dynamic_stack 0
		.amdhsa_system_sgpr_private_segment_wavefront_offset 0
		.amdhsa_system_sgpr_workgroup_id_x 1
		.amdhsa_system_sgpr_workgroup_id_y 0
		.amdhsa_system_sgpr_workgroup_id_z 0
		.amdhsa_system_sgpr_workgroup_info 0
		.amdhsa_system_vgpr_workitem_id 0
		.amdhsa_next_free_vgpr 1
		.amdhsa_next_free_sgpr 0
		.amdhsa_accum_offset 4
		.amdhsa_reserve_vcc 0
		.amdhsa_reserve_flat_scratch 0
		.amdhsa_float_round_mode_32 0
		.amdhsa_float_round_mode_16_64 0
		.amdhsa_float_denorm_mode_32 3
		.amdhsa_float_denorm_mode_16_64 3
		.amdhsa_dx10_clamp 1
		.amdhsa_ieee_mode 1
		.amdhsa_fp16_overflow 0
		.amdhsa_tg_split 0
		.amdhsa_exception_fp_ieee_invalid_op 0
		.amdhsa_exception_fp_denorm_src 0
		.amdhsa_exception_fp_ieee_div_zero 0
		.amdhsa_exception_fp_ieee_overflow 0
		.amdhsa_exception_fp_ieee_underflow 0
		.amdhsa_exception_fp_ieee_inexact 0
		.amdhsa_exception_int_div_zero 0
	.end_amdhsa_kernel
	.section	.text._ZN7rocprim17ROCPRIM_400000_NS6detail17trampoline_kernelINS0_14default_configENS1_20scan_config_selectorIfEEZZNS1_9scan_implILNS1_25lookback_scan_determinismE0ELb1ELb1ES3_N6thrust23THRUST_200600_302600_NS6detail15normal_iteratorINS9_10device_ptrIjEEEENSB_INSC_IfEEEEfNS9_4plusIvEEfEEDaPvRmT3_T4_T5_mT6_P12ihipStream_tbENKUlT_T0_E_clISt17integral_constantIbLb1EESW_EEDaSR_SS_EUlSR_E0_NS1_11comp_targetILNS1_3genE10ELNS1_11target_archE1201ELNS1_3gpuE5ELNS1_3repE0EEENS1_30default_config_static_selectorELNS0_4arch9wavefront6targetE1EEEvT1_,"axG",@progbits,_ZN7rocprim17ROCPRIM_400000_NS6detail17trampoline_kernelINS0_14default_configENS1_20scan_config_selectorIfEEZZNS1_9scan_implILNS1_25lookback_scan_determinismE0ELb1ELb1ES3_N6thrust23THRUST_200600_302600_NS6detail15normal_iteratorINS9_10device_ptrIjEEEENSB_INSC_IfEEEEfNS9_4plusIvEEfEEDaPvRmT3_T4_T5_mT6_P12ihipStream_tbENKUlT_T0_E_clISt17integral_constantIbLb1EESW_EEDaSR_SS_EUlSR_E0_NS1_11comp_targetILNS1_3genE10ELNS1_11target_archE1201ELNS1_3gpuE5ELNS1_3repE0EEENS1_30default_config_static_selectorELNS0_4arch9wavefront6targetE1EEEvT1_,comdat
.Lfunc_end6120:
	.size	_ZN7rocprim17ROCPRIM_400000_NS6detail17trampoline_kernelINS0_14default_configENS1_20scan_config_selectorIfEEZZNS1_9scan_implILNS1_25lookback_scan_determinismE0ELb1ELb1ES3_N6thrust23THRUST_200600_302600_NS6detail15normal_iteratorINS9_10device_ptrIjEEEENSB_INSC_IfEEEEfNS9_4plusIvEEfEEDaPvRmT3_T4_T5_mT6_P12ihipStream_tbENKUlT_T0_E_clISt17integral_constantIbLb1EESW_EEDaSR_SS_EUlSR_E0_NS1_11comp_targetILNS1_3genE10ELNS1_11target_archE1201ELNS1_3gpuE5ELNS1_3repE0EEENS1_30default_config_static_selectorELNS0_4arch9wavefront6targetE1EEEvT1_, .Lfunc_end6120-_ZN7rocprim17ROCPRIM_400000_NS6detail17trampoline_kernelINS0_14default_configENS1_20scan_config_selectorIfEEZZNS1_9scan_implILNS1_25lookback_scan_determinismE0ELb1ELb1ES3_N6thrust23THRUST_200600_302600_NS6detail15normal_iteratorINS9_10device_ptrIjEEEENSB_INSC_IfEEEEfNS9_4plusIvEEfEEDaPvRmT3_T4_T5_mT6_P12ihipStream_tbENKUlT_T0_E_clISt17integral_constantIbLb1EESW_EEDaSR_SS_EUlSR_E0_NS1_11comp_targetILNS1_3genE10ELNS1_11target_archE1201ELNS1_3gpuE5ELNS1_3repE0EEENS1_30default_config_static_selectorELNS0_4arch9wavefront6targetE1EEEvT1_
                                        ; -- End function
	.section	.AMDGPU.csdata,"",@progbits
; Kernel info:
; codeLenInByte = 0
; NumSgprs: 4
; NumVgprs: 0
; NumAgprs: 0
; TotalNumVgprs: 0
; ScratchSize: 0
; MemoryBound: 0
; FloatMode: 240
; IeeeMode: 1
; LDSByteSize: 0 bytes/workgroup (compile time only)
; SGPRBlocks: 0
; VGPRBlocks: 0
; NumSGPRsForWavesPerEU: 4
; NumVGPRsForWavesPerEU: 1
; AccumOffset: 4
; Occupancy: 8
; WaveLimiterHint : 0
; COMPUTE_PGM_RSRC2:SCRATCH_EN: 0
; COMPUTE_PGM_RSRC2:USER_SGPR: 6
; COMPUTE_PGM_RSRC2:TRAP_HANDLER: 0
; COMPUTE_PGM_RSRC2:TGID_X_EN: 1
; COMPUTE_PGM_RSRC2:TGID_Y_EN: 0
; COMPUTE_PGM_RSRC2:TGID_Z_EN: 0
; COMPUTE_PGM_RSRC2:TIDIG_COMP_CNT: 0
; COMPUTE_PGM_RSRC3_GFX90A:ACCUM_OFFSET: 0
; COMPUTE_PGM_RSRC3_GFX90A:TG_SPLIT: 0
	.section	.text._ZN7rocprim17ROCPRIM_400000_NS6detail17trampoline_kernelINS0_14default_configENS1_20scan_config_selectorIfEEZZNS1_9scan_implILNS1_25lookback_scan_determinismE0ELb1ELb1ES3_N6thrust23THRUST_200600_302600_NS6detail15normal_iteratorINS9_10device_ptrIjEEEENSB_INSC_IfEEEEfNS9_4plusIvEEfEEDaPvRmT3_T4_T5_mT6_P12ihipStream_tbENKUlT_T0_E_clISt17integral_constantIbLb1EESW_EEDaSR_SS_EUlSR_E0_NS1_11comp_targetILNS1_3genE10ELNS1_11target_archE1200ELNS1_3gpuE4ELNS1_3repE0EEENS1_30default_config_static_selectorELNS0_4arch9wavefront6targetE1EEEvT1_,"axG",@progbits,_ZN7rocprim17ROCPRIM_400000_NS6detail17trampoline_kernelINS0_14default_configENS1_20scan_config_selectorIfEEZZNS1_9scan_implILNS1_25lookback_scan_determinismE0ELb1ELb1ES3_N6thrust23THRUST_200600_302600_NS6detail15normal_iteratorINS9_10device_ptrIjEEEENSB_INSC_IfEEEEfNS9_4plusIvEEfEEDaPvRmT3_T4_T5_mT6_P12ihipStream_tbENKUlT_T0_E_clISt17integral_constantIbLb1EESW_EEDaSR_SS_EUlSR_E0_NS1_11comp_targetILNS1_3genE10ELNS1_11target_archE1200ELNS1_3gpuE4ELNS1_3repE0EEENS1_30default_config_static_selectorELNS0_4arch9wavefront6targetE1EEEvT1_,comdat
	.protected	_ZN7rocprim17ROCPRIM_400000_NS6detail17trampoline_kernelINS0_14default_configENS1_20scan_config_selectorIfEEZZNS1_9scan_implILNS1_25lookback_scan_determinismE0ELb1ELb1ES3_N6thrust23THRUST_200600_302600_NS6detail15normal_iteratorINS9_10device_ptrIjEEEENSB_INSC_IfEEEEfNS9_4plusIvEEfEEDaPvRmT3_T4_T5_mT6_P12ihipStream_tbENKUlT_T0_E_clISt17integral_constantIbLb1EESW_EEDaSR_SS_EUlSR_E0_NS1_11comp_targetILNS1_3genE10ELNS1_11target_archE1200ELNS1_3gpuE4ELNS1_3repE0EEENS1_30default_config_static_selectorELNS0_4arch9wavefront6targetE1EEEvT1_ ; -- Begin function _ZN7rocprim17ROCPRIM_400000_NS6detail17trampoline_kernelINS0_14default_configENS1_20scan_config_selectorIfEEZZNS1_9scan_implILNS1_25lookback_scan_determinismE0ELb1ELb1ES3_N6thrust23THRUST_200600_302600_NS6detail15normal_iteratorINS9_10device_ptrIjEEEENSB_INSC_IfEEEEfNS9_4plusIvEEfEEDaPvRmT3_T4_T5_mT6_P12ihipStream_tbENKUlT_T0_E_clISt17integral_constantIbLb1EESW_EEDaSR_SS_EUlSR_E0_NS1_11comp_targetILNS1_3genE10ELNS1_11target_archE1200ELNS1_3gpuE4ELNS1_3repE0EEENS1_30default_config_static_selectorELNS0_4arch9wavefront6targetE1EEEvT1_
	.globl	_ZN7rocprim17ROCPRIM_400000_NS6detail17trampoline_kernelINS0_14default_configENS1_20scan_config_selectorIfEEZZNS1_9scan_implILNS1_25lookback_scan_determinismE0ELb1ELb1ES3_N6thrust23THRUST_200600_302600_NS6detail15normal_iteratorINS9_10device_ptrIjEEEENSB_INSC_IfEEEEfNS9_4plusIvEEfEEDaPvRmT3_T4_T5_mT6_P12ihipStream_tbENKUlT_T0_E_clISt17integral_constantIbLb1EESW_EEDaSR_SS_EUlSR_E0_NS1_11comp_targetILNS1_3genE10ELNS1_11target_archE1200ELNS1_3gpuE4ELNS1_3repE0EEENS1_30default_config_static_selectorELNS0_4arch9wavefront6targetE1EEEvT1_
	.p2align	8
	.type	_ZN7rocprim17ROCPRIM_400000_NS6detail17trampoline_kernelINS0_14default_configENS1_20scan_config_selectorIfEEZZNS1_9scan_implILNS1_25lookback_scan_determinismE0ELb1ELb1ES3_N6thrust23THRUST_200600_302600_NS6detail15normal_iteratorINS9_10device_ptrIjEEEENSB_INSC_IfEEEEfNS9_4plusIvEEfEEDaPvRmT3_T4_T5_mT6_P12ihipStream_tbENKUlT_T0_E_clISt17integral_constantIbLb1EESW_EEDaSR_SS_EUlSR_E0_NS1_11comp_targetILNS1_3genE10ELNS1_11target_archE1200ELNS1_3gpuE4ELNS1_3repE0EEENS1_30default_config_static_selectorELNS0_4arch9wavefront6targetE1EEEvT1_,@function
_ZN7rocprim17ROCPRIM_400000_NS6detail17trampoline_kernelINS0_14default_configENS1_20scan_config_selectorIfEEZZNS1_9scan_implILNS1_25lookback_scan_determinismE0ELb1ELb1ES3_N6thrust23THRUST_200600_302600_NS6detail15normal_iteratorINS9_10device_ptrIjEEEENSB_INSC_IfEEEEfNS9_4plusIvEEfEEDaPvRmT3_T4_T5_mT6_P12ihipStream_tbENKUlT_T0_E_clISt17integral_constantIbLb1EESW_EEDaSR_SS_EUlSR_E0_NS1_11comp_targetILNS1_3genE10ELNS1_11target_archE1200ELNS1_3gpuE4ELNS1_3repE0EEENS1_30default_config_static_selectorELNS0_4arch9wavefront6targetE1EEEvT1_: ; @_ZN7rocprim17ROCPRIM_400000_NS6detail17trampoline_kernelINS0_14default_configENS1_20scan_config_selectorIfEEZZNS1_9scan_implILNS1_25lookback_scan_determinismE0ELb1ELb1ES3_N6thrust23THRUST_200600_302600_NS6detail15normal_iteratorINS9_10device_ptrIjEEEENSB_INSC_IfEEEEfNS9_4plusIvEEfEEDaPvRmT3_T4_T5_mT6_P12ihipStream_tbENKUlT_T0_E_clISt17integral_constantIbLb1EESW_EEDaSR_SS_EUlSR_E0_NS1_11comp_targetILNS1_3genE10ELNS1_11target_archE1200ELNS1_3gpuE4ELNS1_3repE0EEENS1_30default_config_static_selectorELNS0_4arch9wavefront6targetE1EEEvT1_
; %bb.0:
	.section	.rodata,"a",@progbits
	.p2align	6, 0x0
	.amdhsa_kernel _ZN7rocprim17ROCPRIM_400000_NS6detail17trampoline_kernelINS0_14default_configENS1_20scan_config_selectorIfEEZZNS1_9scan_implILNS1_25lookback_scan_determinismE0ELb1ELb1ES3_N6thrust23THRUST_200600_302600_NS6detail15normal_iteratorINS9_10device_ptrIjEEEENSB_INSC_IfEEEEfNS9_4plusIvEEfEEDaPvRmT3_T4_T5_mT6_P12ihipStream_tbENKUlT_T0_E_clISt17integral_constantIbLb1EESW_EEDaSR_SS_EUlSR_E0_NS1_11comp_targetILNS1_3genE10ELNS1_11target_archE1200ELNS1_3gpuE4ELNS1_3repE0EEENS1_30default_config_static_selectorELNS0_4arch9wavefront6targetE1EEEvT1_
		.amdhsa_group_segment_fixed_size 0
		.amdhsa_private_segment_fixed_size 0
		.amdhsa_kernarg_size 32
		.amdhsa_user_sgpr_count 6
		.amdhsa_user_sgpr_private_segment_buffer 1
		.amdhsa_user_sgpr_dispatch_ptr 0
		.amdhsa_user_sgpr_queue_ptr 0
		.amdhsa_user_sgpr_kernarg_segment_ptr 1
		.amdhsa_user_sgpr_dispatch_id 0
		.amdhsa_user_sgpr_flat_scratch_init 0
		.amdhsa_user_sgpr_kernarg_preload_length 0
		.amdhsa_user_sgpr_kernarg_preload_offset 0
		.amdhsa_user_sgpr_private_segment_size 0
		.amdhsa_uses_dynamic_stack 0
		.amdhsa_system_sgpr_private_segment_wavefront_offset 0
		.amdhsa_system_sgpr_workgroup_id_x 1
		.amdhsa_system_sgpr_workgroup_id_y 0
		.amdhsa_system_sgpr_workgroup_id_z 0
		.amdhsa_system_sgpr_workgroup_info 0
		.amdhsa_system_vgpr_workitem_id 0
		.amdhsa_next_free_vgpr 1
		.amdhsa_next_free_sgpr 0
		.amdhsa_accum_offset 4
		.amdhsa_reserve_vcc 0
		.amdhsa_reserve_flat_scratch 0
		.amdhsa_float_round_mode_32 0
		.amdhsa_float_round_mode_16_64 0
		.amdhsa_float_denorm_mode_32 3
		.amdhsa_float_denorm_mode_16_64 3
		.amdhsa_dx10_clamp 1
		.amdhsa_ieee_mode 1
		.amdhsa_fp16_overflow 0
		.amdhsa_tg_split 0
		.amdhsa_exception_fp_ieee_invalid_op 0
		.amdhsa_exception_fp_denorm_src 0
		.amdhsa_exception_fp_ieee_div_zero 0
		.amdhsa_exception_fp_ieee_overflow 0
		.amdhsa_exception_fp_ieee_underflow 0
		.amdhsa_exception_fp_ieee_inexact 0
		.amdhsa_exception_int_div_zero 0
	.end_amdhsa_kernel
	.section	.text._ZN7rocprim17ROCPRIM_400000_NS6detail17trampoline_kernelINS0_14default_configENS1_20scan_config_selectorIfEEZZNS1_9scan_implILNS1_25lookback_scan_determinismE0ELb1ELb1ES3_N6thrust23THRUST_200600_302600_NS6detail15normal_iteratorINS9_10device_ptrIjEEEENSB_INSC_IfEEEEfNS9_4plusIvEEfEEDaPvRmT3_T4_T5_mT6_P12ihipStream_tbENKUlT_T0_E_clISt17integral_constantIbLb1EESW_EEDaSR_SS_EUlSR_E0_NS1_11comp_targetILNS1_3genE10ELNS1_11target_archE1200ELNS1_3gpuE4ELNS1_3repE0EEENS1_30default_config_static_selectorELNS0_4arch9wavefront6targetE1EEEvT1_,"axG",@progbits,_ZN7rocprim17ROCPRIM_400000_NS6detail17trampoline_kernelINS0_14default_configENS1_20scan_config_selectorIfEEZZNS1_9scan_implILNS1_25lookback_scan_determinismE0ELb1ELb1ES3_N6thrust23THRUST_200600_302600_NS6detail15normal_iteratorINS9_10device_ptrIjEEEENSB_INSC_IfEEEEfNS9_4plusIvEEfEEDaPvRmT3_T4_T5_mT6_P12ihipStream_tbENKUlT_T0_E_clISt17integral_constantIbLb1EESW_EEDaSR_SS_EUlSR_E0_NS1_11comp_targetILNS1_3genE10ELNS1_11target_archE1200ELNS1_3gpuE4ELNS1_3repE0EEENS1_30default_config_static_selectorELNS0_4arch9wavefront6targetE1EEEvT1_,comdat
.Lfunc_end6121:
	.size	_ZN7rocprim17ROCPRIM_400000_NS6detail17trampoline_kernelINS0_14default_configENS1_20scan_config_selectorIfEEZZNS1_9scan_implILNS1_25lookback_scan_determinismE0ELb1ELb1ES3_N6thrust23THRUST_200600_302600_NS6detail15normal_iteratorINS9_10device_ptrIjEEEENSB_INSC_IfEEEEfNS9_4plusIvEEfEEDaPvRmT3_T4_T5_mT6_P12ihipStream_tbENKUlT_T0_E_clISt17integral_constantIbLb1EESW_EEDaSR_SS_EUlSR_E0_NS1_11comp_targetILNS1_3genE10ELNS1_11target_archE1200ELNS1_3gpuE4ELNS1_3repE0EEENS1_30default_config_static_selectorELNS0_4arch9wavefront6targetE1EEEvT1_, .Lfunc_end6121-_ZN7rocprim17ROCPRIM_400000_NS6detail17trampoline_kernelINS0_14default_configENS1_20scan_config_selectorIfEEZZNS1_9scan_implILNS1_25lookback_scan_determinismE0ELb1ELb1ES3_N6thrust23THRUST_200600_302600_NS6detail15normal_iteratorINS9_10device_ptrIjEEEENSB_INSC_IfEEEEfNS9_4plusIvEEfEEDaPvRmT3_T4_T5_mT6_P12ihipStream_tbENKUlT_T0_E_clISt17integral_constantIbLb1EESW_EEDaSR_SS_EUlSR_E0_NS1_11comp_targetILNS1_3genE10ELNS1_11target_archE1200ELNS1_3gpuE4ELNS1_3repE0EEENS1_30default_config_static_selectorELNS0_4arch9wavefront6targetE1EEEvT1_
                                        ; -- End function
	.section	.AMDGPU.csdata,"",@progbits
; Kernel info:
; codeLenInByte = 0
; NumSgprs: 4
; NumVgprs: 0
; NumAgprs: 0
; TotalNumVgprs: 0
; ScratchSize: 0
; MemoryBound: 0
; FloatMode: 240
; IeeeMode: 1
; LDSByteSize: 0 bytes/workgroup (compile time only)
; SGPRBlocks: 0
; VGPRBlocks: 0
; NumSGPRsForWavesPerEU: 4
; NumVGPRsForWavesPerEU: 1
; AccumOffset: 4
; Occupancy: 8
; WaveLimiterHint : 0
; COMPUTE_PGM_RSRC2:SCRATCH_EN: 0
; COMPUTE_PGM_RSRC2:USER_SGPR: 6
; COMPUTE_PGM_RSRC2:TRAP_HANDLER: 0
; COMPUTE_PGM_RSRC2:TGID_X_EN: 1
; COMPUTE_PGM_RSRC2:TGID_Y_EN: 0
; COMPUTE_PGM_RSRC2:TGID_Z_EN: 0
; COMPUTE_PGM_RSRC2:TIDIG_COMP_CNT: 0
; COMPUTE_PGM_RSRC3_GFX90A:ACCUM_OFFSET: 0
; COMPUTE_PGM_RSRC3_GFX90A:TG_SPLIT: 0
	.section	.text._ZN7rocprim17ROCPRIM_400000_NS6detail17trampoline_kernelINS0_14default_configENS1_20scan_config_selectorIfEEZZNS1_9scan_implILNS1_25lookback_scan_determinismE0ELb1ELb1ES3_N6thrust23THRUST_200600_302600_NS6detail15normal_iteratorINS9_10device_ptrIjEEEENSB_INSC_IfEEEEfNS9_4plusIvEEfEEDaPvRmT3_T4_T5_mT6_P12ihipStream_tbENKUlT_T0_E_clISt17integral_constantIbLb1EESW_EEDaSR_SS_EUlSR_E0_NS1_11comp_targetILNS1_3genE9ELNS1_11target_archE1100ELNS1_3gpuE3ELNS1_3repE0EEENS1_30default_config_static_selectorELNS0_4arch9wavefront6targetE1EEEvT1_,"axG",@progbits,_ZN7rocprim17ROCPRIM_400000_NS6detail17trampoline_kernelINS0_14default_configENS1_20scan_config_selectorIfEEZZNS1_9scan_implILNS1_25lookback_scan_determinismE0ELb1ELb1ES3_N6thrust23THRUST_200600_302600_NS6detail15normal_iteratorINS9_10device_ptrIjEEEENSB_INSC_IfEEEEfNS9_4plusIvEEfEEDaPvRmT3_T4_T5_mT6_P12ihipStream_tbENKUlT_T0_E_clISt17integral_constantIbLb1EESW_EEDaSR_SS_EUlSR_E0_NS1_11comp_targetILNS1_3genE9ELNS1_11target_archE1100ELNS1_3gpuE3ELNS1_3repE0EEENS1_30default_config_static_selectorELNS0_4arch9wavefront6targetE1EEEvT1_,comdat
	.protected	_ZN7rocprim17ROCPRIM_400000_NS6detail17trampoline_kernelINS0_14default_configENS1_20scan_config_selectorIfEEZZNS1_9scan_implILNS1_25lookback_scan_determinismE0ELb1ELb1ES3_N6thrust23THRUST_200600_302600_NS6detail15normal_iteratorINS9_10device_ptrIjEEEENSB_INSC_IfEEEEfNS9_4plusIvEEfEEDaPvRmT3_T4_T5_mT6_P12ihipStream_tbENKUlT_T0_E_clISt17integral_constantIbLb1EESW_EEDaSR_SS_EUlSR_E0_NS1_11comp_targetILNS1_3genE9ELNS1_11target_archE1100ELNS1_3gpuE3ELNS1_3repE0EEENS1_30default_config_static_selectorELNS0_4arch9wavefront6targetE1EEEvT1_ ; -- Begin function _ZN7rocprim17ROCPRIM_400000_NS6detail17trampoline_kernelINS0_14default_configENS1_20scan_config_selectorIfEEZZNS1_9scan_implILNS1_25lookback_scan_determinismE0ELb1ELb1ES3_N6thrust23THRUST_200600_302600_NS6detail15normal_iteratorINS9_10device_ptrIjEEEENSB_INSC_IfEEEEfNS9_4plusIvEEfEEDaPvRmT3_T4_T5_mT6_P12ihipStream_tbENKUlT_T0_E_clISt17integral_constantIbLb1EESW_EEDaSR_SS_EUlSR_E0_NS1_11comp_targetILNS1_3genE9ELNS1_11target_archE1100ELNS1_3gpuE3ELNS1_3repE0EEENS1_30default_config_static_selectorELNS0_4arch9wavefront6targetE1EEEvT1_
	.globl	_ZN7rocprim17ROCPRIM_400000_NS6detail17trampoline_kernelINS0_14default_configENS1_20scan_config_selectorIfEEZZNS1_9scan_implILNS1_25lookback_scan_determinismE0ELb1ELb1ES3_N6thrust23THRUST_200600_302600_NS6detail15normal_iteratorINS9_10device_ptrIjEEEENSB_INSC_IfEEEEfNS9_4plusIvEEfEEDaPvRmT3_T4_T5_mT6_P12ihipStream_tbENKUlT_T0_E_clISt17integral_constantIbLb1EESW_EEDaSR_SS_EUlSR_E0_NS1_11comp_targetILNS1_3genE9ELNS1_11target_archE1100ELNS1_3gpuE3ELNS1_3repE0EEENS1_30default_config_static_selectorELNS0_4arch9wavefront6targetE1EEEvT1_
	.p2align	8
	.type	_ZN7rocprim17ROCPRIM_400000_NS6detail17trampoline_kernelINS0_14default_configENS1_20scan_config_selectorIfEEZZNS1_9scan_implILNS1_25lookback_scan_determinismE0ELb1ELb1ES3_N6thrust23THRUST_200600_302600_NS6detail15normal_iteratorINS9_10device_ptrIjEEEENSB_INSC_IfEEEEfNS9_4plusIvEEfEEDaPvRmT3_T4_T5_mT6_P12ihipStream_tbENKUlT_T0_E_clISt17integral_constantIbLb1EESW_EEDaSR_SS_EUlSR_E0_NS1_11comp_targetILNS1_3genE9ELNS1_11target_archE1100ELNS1_3gpuE3ELNS1_3repE0EEENS1_30default_config_static_selectorELNS0_4arch9wavefront6targetE1EEEvT1_,@function
_ZN7rocprim17ROCPRIM_400000_NS6detail17trampoline_kernelINS0_14default_configENS1_20scan_config_selectorIfEEZZNS1_9scan_implILNS1_25lookback_scan_determinismE0ELb1ELb1ES3_N6thrust23THRUST_200600_302600_NS6detail15normal_iteratorINS9_10device_ptrIjEEEENSB_INSC_IfEEEEfNS9_4plusIvEEfEEDaPvRmT3_T4_T5_mT6_P12ihipStream_tbENKUlT_T0_E_clISt17integral_constantIbLb1EESW_EEDaSR_SS_EUlSR_E0_NS1_11comp_targetILNS1_3genE9ELNS1_11target_archE1100ELNS1_3gpuE3ELNS1_3repE0EEENS1_30default_config_static_selectorELNS0_4arch9wavefront6targetE1EEEvT1_: ; @_ZN7rocprim17ROCPRIM_400000_NS6detail17trampoline_kernelINS0_14default_configENS1_20scan_config_selectorIfEEZZNS1_9scan_implILNS1_25lookback_scan_determinismE0ELb1ELb1ES3_N6thrust23THRUST_200600_302600_NS6detail15normal_iteratorINS9_10device_ptrIjEEEENSB_INSC_IfEEEEfNS9_4plusIvEEfEEDaPvRmT3_T4_T5_mT6_P12ihipStream_tbENKUlT_T0_E_clISt17integral_constantIbLb1EESW_EEDaSR_SS_EUlSR_E0_NS1_11comp_targetILNS1_3genE9ELNS1_11target_archE1100ELNS1_3gpuE3ELNS1_3repE0EEENS1_30default_config_static_selectorELNS0_4arch9wavefront6targetE1EEEvT1_
; %bb.0:
	.section	.rodata,"a",@progbits
	.p2align	6, 0x0
	.amdhsa_kernel _ZN7rocprim17ROCPRIM_400000_NS6detail17trampoline_kernelINS0_14default_configENS1_20scan_config_selectorIfEEZZNS1_9scan_implILNS1_25lookback_scan_determinismE0ELb1ELb1ES3_N6thrust23THRUST_200600_302600_NS6detail15normal_iteratorINS9_10device_ptrIjEEEENSB_INSC_IfEEEEfNS9_4plusIvEEfEEDaPvRmT3_T4_T5_mT6_P12ihipStream_tbENKUlT_T0_E_clISt17integral_constantIbLb1EESW_EEDaSR_SS_EUlSR_E0_NS1_11comp_targetILNS1_3genE9ELNS1_11target_archE1100ELNS1_3gpuE3ELNS1_3repE0EEENS1_30default_config_static_selectorELNS0_4arch9wavefront6targetE1EEEvT1_
		.amdhsa_group_segment_fixed_size 0
		.amdhsa_private_segment_fixed_size 0
		.amdhsa_kernarg_size 32
		.amdhsa_user_sgpr_count 6
		.amdhsa_user_sgpr_private_segment_buffer 1
		.amdhsa_user_sgpr_dispatch_ptr 0
		.amdhsa_user_sgpr_queue_ptr 0
		.amdhsa_user_sgpr_kernarg_segment_ptr 1
		.amdhsa_user_sgpr_dispatch_id 0
		.amdhsa_user_sgpr_flat_scratch_init 0
		.amdhsa_user_sgpr_kernarg_preload_length 0
		.amdhsa_user_sgpr_kernarg_preload_offset 0
		.amdhsa_user_sgpr_private_segment_size 0
		.amdhsa_uses_dynamic_stack 0
		.amdhsa_system_sgpr_private_segment_wavefront_offset 0
		.amdhsa_system_sgpr_workgroup_id_x 1
		.amdhsa_system_sgpr_workgroup_id_y 0
		.amdhsa_system_sgpr_workgroup_id_z 0
		.amdhsa_system_sgpr_workgroup_info 0
		.amdhsa_system_vgpr_workitem_id 0
		.amdhsa_next_free_vgpr 1
		.amdhsa_next_free_sgpr 0
		.amdhsa_accum_offset 4
		.amdhsa_reserve_vcc 0
		.amdhsa_reserve_flat_scratch 0
		.amdhsa_float_round_mode_32 0
		.amdhsa_float_round_mode_16_64 0
		.amdhsa_float_denorm_mode_32 3
		.amdhsa_float_denorm_mode_16_64 3
		.amdhsa_dx10_clamp 1
		.amdhsa_ieee_mode 1
		.amdhsa_fp16_overflow 0
		.amdhsa_tg_split 0
		.amdhsa_exception_fp_ieee_invalid_op 0
		.amdhsa_exception_fp_denorm_src 0
		.amdhsa_exception_fp_ieee_div_zero 0
		.amdhsa_exception_fp_ieee_overflow 0
		.amdhsa_exception_fp_ieee_underflow 0
		.amdhsa_exception_fp_ieee_inexact 0
		.amdhsa_exception_int_div_zero 0
	.end_amdhsa_kernel
	.section	.text._ZN7rocprim17ROCPRIM_400000_NS6detail17trampoline_kernelINS0_14default_configENS1_20scan_config_selectorIfEEZZNS1_9scan_implILNS1_25lookback_scan_determinismE0ELb1ELb1ES3_N6thrust23THRUST_200600_302600_NS6detail15normal_iteratorINS9_10device_ptrIjEEEENSB_INSC_IfEEEEfNS9_4plusIvEEfEEDaPvRmT3_T4_T5_mT6_P12ihipStream_tbENKUlT_T0_E_clISt17integral_constantIbLb1EESW_EEDaSR_SS_EUlSR_E0_NS1_11comp_targetILNS1_3genE9ELNS1_11target_archE1100ELNS1_3gpuE3ELNS1_3repE0EEENS1_30default_config_static_selectorELNS0_4arch9wavefront6targetE1EEEvT1_,"axG",@progbits,_ZN7rocprim17ROCPRIM_400000_NS6detail17trampoline_kernelINS0_14default_configENS1_20scan_config_selectorIfEEZZNS1_9scan_implILNS1_25lookback_scan_determinismE0ELb1ELb1ES3_N6thrust23THRUST_200600_302600_NS6detail15normal_iteratorINS9_10device_ptrIjEEEENSB_INSC_IfEEEEfNS9_4plusIvEEfEEDaPvRmT3_T4_T5_mT6_P12ihipStream_tbENKUlT_T0_E_clISt17integral_constantIbLb1EESW_EEDaSR_SS_EUlSR_E0_NS1_11comp_targetILNS1_3genE9ELNS1_11target_archE1100ELNS1_3gpuE3ELNS1_3repE0EEENS1_30default_config_static_selectorELNS0_4arch9wavefront6targetE1EEEvT1_,comdat
.Lfunc_end6122:
	.size	_ZN7rocprim17ROCPRIM_400000_NS6detail17trampoline_kernelINS0_14default_configENS1_20scan_config_selectorIfEEZZNS1_9scan_implILNS1_25lookback_scan_determinismE0ELb1ELb1ES3_N6thrust23THRUST_200600_302600_NS6detail15normal_iteratorINS9_10device_ptrIjEEEENSB_INSC_IfEEEEfNS9_4plusIvEEfEEDaPvRmT3_T4_T5_mT6_P12ihipStream_tbENKUlT_T0_E_clISt17integral_constantIbLb1EESW_EEDaSR_SS_EUlSR_E0_NS1_11comp_targetILNS1_3genE9ELNS1_11target_archE1100ELNS1_3gpuE3ELNS1_3repE0EEENS1_30default_config_static_selectorELNS0_4arch9wavefront6targetE1EEEvT1_, .Lfunc_end6122-_ZN7rocprim17ROCPRIM_400000_NS6detail17trampoline_kernelINS0_14default_configENS1_20scan_config_selectorIfEEZZNS1_9scan_implILNS1_25lookback_scan_determinismE0ELb1ELb1ES3_N6thrust23THRUST_200600_302600_NS6detail15normal_iteratorINS9_10device_ptrIjEEEENSB_INSC_IfEEEEfNS9_4plusIvEEfEEDaPvRmT3_T4_T5_mT6_P12ihipStream_tbENKUlT_T0_E_clISt17integral_constantIbLb1EESW_EEDaSR_SS_EUlSR_E0_NS1_11comp_targetILNS1_3genE9ELNS1_11target_archE1100ELNS1_3gpuE3ELNS1_3repE0EEENS1_30default_config_static_selectorELNS0_4arch9wavefront6targetE1EEEvT1_
                                        ; -- End function
	.section	.AMDGPU.csdata,"",@progbits
; Kernel info:
; codeLenInByte = 0
; NumSgprs: 4
; NumVgprs: 0
; NumAgprs: 0
; TotalNumVgprs: 0
; ScratchSize: 0
; MemoryBound: 0
; FloatMode: 240
; IeeeMode: 1
; LDSByteSize: 0 bytes/workgroup (compile time only)
; SGPRBlocks: 0
; VGPRBlocks: 0
; NumSGPRsForWavesPerEU: 4
; NumVGPRsForWavesPerEU: 1
; AccumOffset: 4
; Occupancy: 8
; WaveLimiterHint : 0
; COMPUTE_PGM_RSRC2:SCRATCH_EN: 0
; COMPUTE_PGM_RSRC2:USER_SGPR: 6
; COMPUTE_PGM_RSRC2:TRAP_HANDLER: 0
; COMPUTE_PGM_RSRC2:TGID_X_EN: 1
; COMPUTE_PGM_RSRC2:TGID_Y_EN: 0
; COMPUTE_PGM_RSRC2:TGID_Z_EN: 0
; COMPUTE_PGM_RSRC2:TIDIG_COMP_CNT: 0
; COMPUTE_PGM_RSRC3_GFX90A:ACCUM_OFFSET: 0
; COMPUTE_PGM_RSRC3_GFX90A:TG_SPLIT: 0
	.section	.text._ZN7rocprim17ROCPRIM_400000_NS6detail17trampoline_kernelINS0_14default_configENS1_20scan_config_selectorIfEEZZNS1_9scan_implILNS1_25lookback_scan_determinismE0ELb1ELb1ES3_N6thrust23THRUST_200600_302600_NS6detail15normal_iteratorINS9_10device_ptrIjEEEENSB_INSC_IfEEEEfNS9_4plusIvEEfEEDaPvRmT3_T4_T5_mT6_P12ihipStream_tbENKUlT_T0_E_clISt17integral_constantIbLb1EESW_EEDaSR_SS_EUlSR_E0_NS1_11comp_targetILNS1_3genE8ELNS1_11target_archE1030ELNS1_3gpuE2ELNS1_3repE0EEENS1_30default_config_static_selectorELNS0_4arch9wavefront6targetE1EEEvT1_,"axG",@progbits,_ZN7rocprim17ROCPRIM_400000_NS6detail17trampoline_kernelINS0_14default_configENS1_20scan_config_selectorIfEEZZNS1_9scan_implILNS1_25lookback_scan_determinismE0ELb1ELb1ES3_N6thrust23THRUST_200600_302600_NS6detail15normal_iteratorINS9_10device_ptrIjEEEENSB_INSC_IfEEEEfNS9_4plusIvEEfEEDaPvRmT3_T4_T5_mT6_P12ihipStream_tbENKUlT_T0_E_clISt17integral_constantIbLb1EESW_EEDaSR_SS_EUlSR_E0_NS1_11comp_targetILNS1_3genE8ELNS1_11target_archE1030ELNS1_3gpuE2ELNS1_3repE0EEENS1_30default_config_static_selectorELNS0_4arch9wavefront6targetE1EEEvT1_,comdat
	.protected	_ZN7rocprim17ROCPRIM_400000_NS6detail17trampoline_kernelINS0_14default_configENS1_20scan_config_selectorIfEEZZNS1_9scan_implILNS1_25lookback_scan_determinismE0ELb1ELb1ES3_N6thrust23THRUST_200600_302600_NS6detail15normal_iteratorINS9_10device_ptrIjEEEENSB_INSC_IfEEEEfNS9_4plusIvEEfEEDaPvRmT3_T4_T5_mT6_P12ihipStream_tbENKUlT_T0_E_clISt17integral_constantIbLb1EESW_EEDaSR_SS_EUlSR_E0_NS1_11comp_targetILNS1_3genE8ELNS1_11target_archE1030ELNS1_3gpuE2ELNS1_3repE0EEENS1_30default_config_static_selectorELNS0_4arch9wavefront6targetE1EEEvT1_ ; -- Begin function _ZN7rocprim17ROCPRIM_400000_NS6detail17trampoline_kernelINS0_14default_configENS1_20scan_config_selectorIfEEZZNS1_9scan_implILNS1_25lookback_scan_determinismE0ELb1ELb1ES3_N6thrust23THRUST_200600_302600_NS6detail15normal_iteratorINS9_10device_ptrIjEEEENSB_INSC_IfEEEEfNS9_4plusIvEEfEEDaPvRmT3_T4_T5_mT6_P12ihipStream_tbENKUlT_T0_E_clISt17integral_constantIbLb1EESW_EEDaSR_SS_EUlSR_E0_NS1_11comp_targetILNS1_3genE8ELNS1_11target_archE1030ELNS1_3gpuE2ELNS1_3repE0EEENS1_30default_config_static_selectorELNS0_4arch9wavefront6targetE1EEEvT1_
	.globl	_ZN7rocprim17ROCPRIM_400000_NS6detail17trampoline_kernelINS0_14default_configENS1_20scan_config_selectorIfEEZZNS1_9scan_implILNS1_25lookback_scan_determinismE0ELb1ELb1ES3_N6thrust23THRUST_200600_302600_NS6detail15normal_iteratorINS9_10device_ptrIjEEEENSB_INSC_IfEEEEfNS9_4plusIvEEfEEDaPvRmT3_T4_T5_mT6_P12ihipStream_tbENKUlT_T0_E_clISt17integral_constantIbLb1EESW_EEDaSR_SS_EUlSR_E0_NS1_11comp_targetILNS1_3genE8ELNS1_11target_archE1030ELNS1_3gpuE2ELNS1_3repE0EEENS1_30default_config_static_selectorELNS0_4arch9wavefront6targetE1EEEvT1_
	.p2align	8
	.type	_ZN7rocprim17ROCPRIM_400000_NS6detail17trampoline_kernelINS0_14default_configENS1_20scan_config_selectorIfEEZZNS1_9scan_implILNS1_25lookback_scan_determinismE0ELb1ELb1ES3_N6thrust23THRUST_200600_302600_NS6detail15normal_iteratorINS9_10device_ptrIjEEEENSB_INSC_IfEEEEfNS9_4plusIvEEfEEDaPvRmT3_T4_T5_mT6_P12ihipStream_tbENKUlT_T0_E_clISt17integral_constantIbLb1EESW_EEDaSR_SS_EUlSR_E0_NS1_11comp_targetILNS1_3genE8ELNS1_11target_archE1030ELNS1_3gpuE2ELNS1_3repE0EEENS1_30default_config_static_selectorELNS0_4arch9wavefront6targetE1EEEvT1_,@function
_ZN7rocprim17ROCPRIM_400000_NS6detail17trampoline_kernelINS0_14default_configENS1_20scan_config_selectorIfEEZZNS1_9scan_implILNS1_25lookback_scan_determinismE0ELb1ELb1ES3_N6thrust23THRUST_200600_302600_NS6detail15normal_iteratorINS9_10device_ptrIjEEEENSB_INSC_IfEEEEfNS9_4plusIvEEfEEDaPvRmT3_T4_T5_mT6_P12ihipStream_tbENKUlT_T0_E_clISt17integral_constantIbLb1EESW_EEDaSR_SS_EUlSR_E0_NS1_11comp_targetILNS1_3genE8ELNS1_11target_archE1030ELNS1_3gpuE2ELNS1_3repE0EEENS1_30default_config_static_selectorELNS0_4arch9wavefront6targetE1EEEvT1_: ; @_ZN7rocprim17ROCPRIM_400000_NS6detail17trampoline_kernelINS0_14default_configENS1_20scan_config_selectorIfEEZZNS1_9scan_implILNS1_25lookback_scan_determinismE0ELb1ELb1ES3_N6thrust23THRUST_200600_302600_NS6detail15normal_iteratorINS9_10device_ptrIjEEEENSB_INSC_IfEEEEfNS9_4plusIvEEfEEDaPvRmT3_T4_T5_mT6_P12ihipStream_tbENKUlT_T0_E_clISt17integral_constantIbLb1EESW_EEDaSR_SS_EUlSR_E0_NS1_11comp_targetILNS1_3genE8ELNS1_11target_archE1030ELNS1_3gpuE2ELNS1_3repE0EEENS1_30default_config_static_selectorELNS0_4arch9wavefront6targetE1EEEvT1_
; %bb.0:
	.section	.rodata,"a",@progbits
	.p2align	6, 0x0
	.amdhsa_kernel _ZN7rocprim17ROCPRIM_400000_NS6detail17trampoline_kernelINS0_14default_configENS1_20scan_config_selectorIfEEZZNS1_9scan_implILNS1_25lookback_scan_determinismE0ELb1ELb1ES3_N6thrust23THRUST_200600_302600_NS6detail15normal_iteratorINS9_10device_ptrIjEEEENSB_INSC_IfEEEEfNS9_4plusIvEEfEEDaPvRmT3_T4_T5_mT6_P12ihipStream_tbENKUlT_T0_E_clISt17integral_constantIbLb1EESW_EEDaSR_SS_EUlSR_E0_NS1_11comp_targetILNS1_3genE8ELNS1_11target_archE1030ELNS1_3gpuE2ELNS1_3repE0EEENS1_30default_config_static_selectorELNS0_4arch9wavefront6targetE1EEEvT1_
		.amdhsa_group_segment_fixed_size 0
		.amdhsa_private_segment_fixed_size 0
		.amdhsa_kernarg_size 32
		.amdhsa_user_sgpr_count 6
		.amdhsa_user_sgpr_private_segment_buffer 1
		.amdhsa_user_sgpr_dispatch_ptr 0
		.amdhsa_user_sgpr_queue_ptr 0
		.amdhsa_user_sgpr_kernarg_segment_ptr 1
		.amdhsa_user_sgpr_dispatch_id 0
		.amdhsa_user_sgpr_flat_scratch_init 0
		.amdhsa_user_sgpr_kernarg_preload_length 0
		.amdhsa_user_sgpr_kernarg_preload_offset 0
		.amdhsa_user_sgpr_private_segment_size 0
		.amdhsa_uses_dynamic_stack 0
		.amdhsa_system_sgpr_private_segment_wavefront_offset 0
		.amdhsa_system_sgpr_workgroup_id_x 1
		.amdhsa_system_sgpr_workgroup_id_y 0
		.amdhsa_system_sgpr_workgroup_id_z 0
		.amdhsa_system_sgpr_workgroup_info 0
		.amdhsa_system_vgpr_workitem_id 0
		.amdhsa_next_free_vgpr 1
		.amdhsa_next_free_sgpr 0
		.amdhsa_accum_offset 4
		.amdhsa_reserve_vcc 0
		.amdhsa_reserve_flat_scratch 0
		.amdhsa_float_round_mode_32 0
		.amdhsa_float_round_mode_16_64 0
		.amdhsa_float_denorm_mode_32 3
		.amdhsa_float_denorm_mode_16_64 3
		.amdhsa_dx10_clamp 1
		.amdhsa_ieee_mode 1
		.amdhsa_fp16_overflow 0
		.amdhsa_tg_split 0
		.amdhsa_exception_fp_ieee_invalid_op 0
		.amdhsa_exception_fp_denorm_src 0
		.amdhsa_exception_fp_ieee_div_zero 0
		.amdhsa_exception_fp_ieee_overflow 0
		.amdhsa_exception_fp_ieee_underflow 0
		.amdhsa_exception_fp_ieee_inexact 0
		.amdhsa_exception_int_div_zero 0
	.end_amdhsa_kernel
	.section	.text._ZN7rocprim17ROCPRIM_400000_NS6detail17trampoline_kernelINS0_14default_configENS1_20scan_config_selectorIfEEZZNS1_9scan_implILNS1_25lookback_scan_determinismE0ELb1ELb1ES3_N6thrust23THRUST_200600_302600_NS6detail15normal_iteratorINS9_10device_ptrIjEEEENSB_INSC_IfEEEEfNS9_4plusIvEEfEEDaPvRmT3_T4_T5_mT6_P12ihipStream_tbENKUlT_T0_E_clISt17integral_constantIbLb1EESW_EEDaSR_SS_EUlSR_E0_NS1_11comp_targetILNS1_3genE8ELNS1_11target_archE1030ELNS1_3gpuE2ELNS1_3repE0EEENS1_30default_config_static_selectorELNS0_4arch9wavefront6targetE1EEEvT1_,"axG",@progbits,_ZN7rocprim17ROCPRIM_400000_NS6detail17trampoline_kernelINS0_14default_configENS1_20scan_config_selectorIfEEZZNS1_9scan_implILNS1_25lookback_scan_determinismE0ELb1ELb1ES3_N6thrust23THRUST_200600_302600_NS6detail15normal_iteratorINS9_10device_ptrIjEEEENSB_INSC_IfEEEEfNS9_4plusIvEEfEEDaPvRmT3_T4_T5_mT6_P12ihipStream_tbENKUlT_T0_E_clISt17integral_constantIbLb1EESW_EEDaSR_SS_EUlSR_E0_NS1_11comp_targetILNS1_3genE8ELNS1_11target_archE1030ELNS1_3gpuE2ELNS1_3repE0EEENS1_30default_config_static_selectorELNS0_4arch9wavefront6targetE1EEEvT1_,comdat
.Lfunc_end6123:
	.size	_ZN7rocprim17ROCPRIM_400000_NS6detail17trampoline_kernelINS0_14default_configENS1_20scan_config_selectorIfEEZZNS1_9scan_implILNS1_25lookback_scan_determinismE0ELb1ELb1ES3_N6thrust23THRUST_200600_302600_NS6detail15normal_iteratorINS9_10device_ptrIjEEEENSB_INSC_IfEEEEfNS9_4plusIvEEfEEDaPvRmT3_T4_T5_mT6_P12ihipStream_tbENKUlT_T0_E_clISt17integral_constantIbLb1EESW_EEDaSR_SS_EUlSR_E0_NS1_11comp_targetILNS1_3genE8ELNS1_11target_archE1030ELNS1_3gpuE2ELNS1_3repE0EEENS1_30default_config_static_selectorELNS0_4arch9wavefront6targetE1EEEvT1_, .Lfunc_end6123-_ZN7rocprim17ROCPRIM_400000_NS6detail17trampoline_kernelINS0_14default_configENS1_20scan_config_selectorIfEEZZNS1_9scan_implILNS1_25lookback_scan_determinismE0ELb1ELb1ES3_N6thrust23THRUST_200600_302600_NS6detail15normal_iteratorINS9_10device_ptrIjEEEENSB_INSC_IfEEEEfNS9_4plusIvEEfEEDaPvRmT3_T4_T5_mT6_P12ihipStream_tbENKUlT_T0_E_clISt17integral_constantIbLb1EESW_EEDaSR_SS_EUlSR_E0_NS1_11comp_targetILNS1_3genE8ELNS1_11target_archE1030ELNS1_3gpuE2ELNS1_3repE0EEENS1_30default_config_static_selectorELNS0_4arch9wavefront6targetE1EEEvT1_
                                        ; -- End function
	.section	.AMDGPU.csdata,"",@progbits
; Kernel info:
; codeLenInByte = 0
; NumSgprs: 4
; NumVgprs: 0
; NumAgprs: 0
; TotalNumVgprs: 0
; ScratchSize: 0
; MemoryBound: 0
; FloatMode: 240
; IeeeMode: 1
; LDSByteSize: 0 bytes/workgroup (compile time only)
; SGPRBlocks: 0
; VGPRBlocks: 0
; NumSGPRsForWavesPerEU: 4
; NumVGPRsForWavesPerEU: 1
; AccumOffset: 4
; Occupancy: 8
; WaveLimiterHint : 0
; COMPUTE_PGM_RSRC2:SCRATCH_EN: 0
; COMPUTE_PGM_RSRC2:USER_SGPR: 6
; COMPUTE_PGM_RSRC2:TRAP_HANDLER: 0
; COMPUTE_PGM_RSRC2:TGID_X_EN: 1
; COMPUTE_PGM_RSRC2:TGID_Y_EN: 0
; COMPUTE_PGM_RSRC2:TGID_Z_EN: 0
; COMPUTE_PGM_RSRC2:TIDIG_COMP_CNT: 0
; COMPUTE_PGM_RSRC3_GFX90A:ACCUM_OFFSET: 0
; COMPUTE_PGM_RSRC3_GFX90A:TG_SPLIT: 0
	.section	.text._ZN7rocprim17ROCPRIM_400000_NS6detail17trampoline_kernelINS0_14default_configENS1_20scan_config_selectorIfEEZZNS1_9scan_implILNS1_25lookback_scan_determinismE0ELb1ELb1ES3_N6thrust23THRUST_200600_302600_NS6detail15normal_iteratorINS9_10device_ptrIjEEEENSB_INSC_IfEEEEfNS9_4plusIvEEfEEDaPvRmT3_T4_T5_mT6_P12ihipStream_tbENKUlT_T0_E_clISt17integral_constantIbLb1EESV_IbLb0EEEEDaSR_SS_EUlSR_E_NS1_11comp_targetILNS1_3genE0ELNS1_11target_archE4294967295ELNS1_3gpuE0ELNS1_3repE0EEENS1_30default_config_static_selectorELNS0_4arch9wavefront6targetE1EEEvT1_,"axG",@progbits,_ZN7rocprim17ROCPRIM_400000_NS6detail17trampoline_kernelINS0_14default_configENS1_20scan_config_selectorIfEEZZNS1_9scan_implILNS1_25lookback_scan_determinismE0ELb1ELb1ES3_N6thrust23THRUST_200600_302600_NS6detail15normal_iteratorINS9_10device_ptrIjEEEENSB_INSC_IfEEEEfNS9_4plusIvEEfEEDaPvRmT3_T4_T5_mT6_P12ihipStream_tbENKUlT_T0_E_clISt17integral_constantIbLb1EESV_IbLb0EEEEDaSR_SS_EUlSR_E_NS1_11comp_targetILNS1_3genE0ELNS1_11target_archE4294967295ELNS1_3gpuE0ELNS1_3repE0EEENS1_30default_config_static_selectorELNS0_4arch9wavefront6targetE1EEEvT1_,comdat
	.protected	_ZN7rocprim17ROCPRIM_400000_NS6detail17trampoline_kernelINS0_14default_configENS1_20scan_config_selectorIfEEZZNS1_9scan_implILNS1_25lookback_scan_determinismE0ELb1ELb1ES3_N6thrust23THRUST_200600_302600_NS6detail15normal_iteratorINS9_10device_ptrIjEEEENSB_INSC_IfEEEEfNS9_4plusIvEEfEEDaPvRmT3_T4_T5_mT6_P12ihipStream_tbENKUlT_T0_E_clISt17integral_constantIbLb1EESV_IbLb0EEEEDaSR_SS_EUlSR_E_NS1_11comp_targetILNS1_3genE0ELNS1_11target_archE4294967295ELNS1_3gpuE0ELNS1_3repE0EEENS1_30default_config_static_selectorELNS0_4arch9wavefront6targetE1EEEvT1_ ; -- Begin function _ZN7rocprim17ROCPRIM_400000_NS6detail17trampoline_kernelINS0_14default_configENS1_20scan_config_selectorIfEEZZNS1_9scan_implILNS1_25lookback_scan_determinismE0ELb1ELb1ES3_N6thrust23THRUST_200600_302600_NS6detail15normal_iteratorINS9_10device_ptrIjEEEENSB_INSC_IfEEEEfNS9_4plusIvEEfEEDaPvRmT3_T4_T5_mT6_P12ihipStream_tbENKUlT_T0_E_clISt17integral_constantIbLb1EESV_IbLb0EEEEDaSR_SS_EUlSR_E_NS1_11comp_targetILNS1_3genE0ELNS1_11target_archE4294967295ELNS1_3gpuE0ELNS1_3repE0EEENS1_30default_config_static_selectorELNS0_4arch9wavefront6targetE1EEEvT1_
	.globl	_ZN7rocprim17ROCPRIM_400000_NS6detail17trampoline_kernelINS0_14default_configENS1_20scan_config_selectorIfEEZZNS1_9scan_implILNS1_25lookback_scan_determinismE0ELb1ELb1ES3_N6thrust23THRUST_200600_302600_NS6detail15normal_iteratorINS9_10device_ptrIjEEEENSB_INSC_IfEEEEfNS9_4plusIvEEfEEDaPvRmT3_T4_T5_mT6_P12ihipStream_tbENKUlT_T0_E_clISt17integral_constantIbLb1EESV_IbLb0EEEEDaSR_SS_EUlSR_E_NS1_11comp_targetILNS1_3genE0ELNS1_11target_archE4294967295ELNS1_3gpuE0ELNS1_3repE0EEENS1_30default_config_static_selectorELNS0_4arch9wavefront6targetE1EEEvT1_
	.p2align	8
	.type	_ZN7rocprim17ROCPRIM_400000_NS6detail17trampoline_kernelINS0_14default_configENS1_20scan_config_selectorIfEEZZNS1_9scan_implILNS1_25lookback_scan_determinismE0ELb1ELb1ES3_N6thrust23THRUST_200600_302600_NS6detail15normal_iteratorINS9_10device_ptrIjEEEENSB_INSC_IfEEEEfNS9_4plusIvEEfEEDaPvRmT3_T4_T5_mT6_P12ihipStream_tbENKUlT_T0_E_clISt17integral_constantIbLb1EESV_IbLb0EEEEDaSR_SS_EUlSR_E_NS1_11comp_targetILNS1_3genE0ELNS1_11target_archE4294967295ELNS1_3gpuE0ELNS1_3repE0EEENS1_30default_config_static_selectorELNS0_4arch9wavefront6targetE1EEEvT1_,@function
_ZN7rocprim17ROCPRIM_400000_NS6detail17trampoline_kernelINS0_14default_configENS1_20scan_config_selectorIfEEZZNS1_9scan_implILNS1_25lookback_scan_determinismE0ELb1ELb1ES3_N6thrust23THRUST_200600_302600_NS6detail15normal_iteratorINS9_10device_ptrIjEEEENSB_INSC_IfEEEEfNS9_4plusIvEEfEEDaPvRmT3_T4_T5_mT6_P12ihipStream_tbENKUlT_T0_E_clISt17integral_constantIbLb1EESV_IbLb0EEEEDaSR_SS_EUlSR_E_NS1_11comp_targetILNS1_3genE0ELNS1_11target_archE4294967295ELNS1_3gpuE0ELNS1_3repE0EEENS1_30default_config_static_selectorELNS0_4arch9wavefront6targetE1EEEvT1_: ; @_ZN7rocprim17ROCPRIM_400000_NS6detail17trampoline_kernelINS0_14default_configENS1_20scan_config_selectorIfEEZZNS1_9scan_implILNS1_25lookback_scan_determinismE0ELb1ELb1ES3_N6thrust23THRUST_200600_302600_NS6detail15normal_iteratorINS9_10device_ptrIjEEEENSB_INSC_IfEEEEfNS9_4plusIvEEfEEDaPvRmT3_T4_T5_mT6_P12ihipStream_tbENKUlT_T0_E_clISt17integral_constantIbLb1EESV_IbLb0EEEEDaSR_SS_EUlSR_E_NS1_11comp_targetILNS1_3genE0ELNS1_11target_archE4294967295ELNS1_3gpuE0ELNS1_3repE0EEENS1_30default_config_static_selectorELNS0_4arch9wavefront6targetE1EEEvT1_
; %bb.0:
	.section	.rodata,"a",@progbits
	.p2align	6, 0x0
	.amdhsa_kernel _ZN7rocprim17ROCPRIM_400000_NS6detail17trampoline_kernelINS0_14default_configENS1_20scan_config_selectorIfEEZZNS1_9scan_implILNS1_25lookback_scan_determinismE0ELb1ELb1ES3_N6thrust23THRUST_200600_302600_NS6detail15normal_iteratorINS9_10device_ptrIjEEEENSB_INSC_IfEEEEfNS9_4plusIvEEfEEDaPvRmT3_T4_T5_mT6_P12ihipStream_tbENKUlT_T0_E_clISt17integral_constantIbLb1EESV_IbLb0EEEEDaSR_SS_EUlSR_E_NS1_11comp_targetILNS1_3genE0ELNS1_11target_archE4294967295ELNS1_3gpuE0ELNS1_3repE0EEENS1_30default_config_static_selectorELNS0_4arch9wavefront6targetE1EEEvT1_
		.amdhsa_group_segment_fixed_size 0
		.amdhsa_private_segment_fixed_size 0
		.amdhsa_kernarg_size 96
		.amdhsa_user_sgpr_count 6
		.amdhsa_user_sgpr_private_segment_buffer 1
		.amdhsa_user_sgpr_dispatch_ptr 0
		.amdhsa_user_sgpr_queue_ptr 0
		.amdhsa_user_sgpr_kernarg_segment_ptr 1
		.amdhsa_user_sgpr_dispatch_id 0
		.amdhsa_user_sgpr_flat_scratch_init 0
		.amdhsa_user_sgpr_kernarg_preload_length 0
		.amdhsa_user_sgpr_kernarg_preload_offset 0
		.amdhsa_user_sgpr_private_segment_size 0
		.amdhsa_uses_dynamic_stack 0
		.amdhsa_system_sgpr_private_segment_wavefront_offset 0
		.amdhsa_system_sgpr_workgroup_id_x 1
		.amdhsa_system_sgpr_workgroup_id_y 0
		.amdhsa_system_sgpr_workgroup_id_z 0
		.amdhsa_system_sgpr_workgroup_info 0
		.amdhsa_system_vgpr_workitem_id 0
		.amdhsa_next_free_vgpr 1
		.amdhsa_next_free_sgpr 0
		.amdhsa_accum_offset 4
		.amdhsa_reserve_vcc 0
		.amdhsa_reserve_flat_scratch 0
		.amdhsa_float_round_mode_32 0
		.amdhsa_float_round_mode_16_64 0
		.amdhsa_float_denorm_mode_32 3
		.amdhsa_float_denorm_mode_16_64 3
		.amdhsa_dx10_clamp 1
		.amdhsa_ieee_mode 1
		.amdhsa_fp16_overflow 0
		.amdhsa_tg_split 0
		.amdhsa_exception_fp_ieee_invalid_op 0
		.amdhsa_exception_fp_denorm_src 0
		.amdhsa_exception_fp_ieee_div_zero 0
		.amdhsa_exception_fp_ieee_overflow 0
		.amdhsa_exception_fp_ieee_underflow 0
		.amdhsa_exception_fp_ieee_inexact 0
		.amdhsa_exception_int_div_zero 0
	.end_amdhsa_kernel
	.section	.text._ZN7rocprim17ROCPRIM_400000_NS6detail17trampoline_kernelINS0_14default_configENS1_20scan_config_selectorIfEEZZNS1_9scan_implILNS1_25lookback_scan_determinismE0ELb1ELb1ES3_N6thrust23THRUST_200600_302600_NS6detail15normal_iteratorINS9_10device_ptrIjEEEENSB_INSC_IfEEEEfNS9_4plusIvEEfEEDaPvRmT3_T4_T5_mT6_P12ihipStream_tbENKUlT_T0_E_clISt17integral_constantIbLb1EESV_IbLb0EEEEDaSR_SS_EUlSR_E_NS1_11comp_targetILNS1_3genE0ELNS1_11target_archE4294967295ELNS1_3gpuE0ELNS1_3repE0EEENS1_30default_config_static_selectorELNS0_4arch9wavefront6targetE1EEEvT1_,"axG",@progbits,_ZN7rocprim17ROCPRIM_400000_NS6detail17trampoline_kernelINS0_14default_configENS1_20scan_config_selectorIfEEZZNS1_9scan_implILNS1_25lookback_scan_determinismE0ELb1ELb1ES3_N6thrust23THRUST_200600_302600_NS6detail15normal_iteratorINS9_10device_ptrIjEEEENSB_INSC_IfEEEEfNS9_4plusIvEEfEEDaPvRmT3_T4_T5_mT6_P12ihipStream_tbENKUlT_T0_E_clISt17integral_constantIbLb1EESV_IbLb0EEEEDaSR_SS_EUlSR_E_NS1_11comp_targetILNS1_3genE0ELNS1_11target_archE4294967295ELNS1_3gpuE0ELNS1_3repE0EEENS1_30default_config_static_selectorELNS0_4arch9wavefront6targetE1EEEvT1_,comdat
.Lfunc_end6124:
	.size	_ZN7rocprim17ROCPRIM_400000_NS6detail17trampoline_kernelINS0_14default_configENS1_20scan_config_selectorIfEEZZNS1_9scan_implILNS1_25lookback_scan_determinismE0ELb1ELb1ES3_N6thrust23THRUST_200600_302600_NS6detail15normal_iteratorINS9_10device_ptrIjEEEENSB_INSC_IfEEEEfNS9_4plusIvEEfEEDaPvRmT3_T4_T5_mT6_P12ihipStream_tbENKUlT_T0_E_clISt17integral_constantIbLb1EESV_IbLb0EEEEDaSR_SS_EUlSR_E_NS1_11comp_targetILNS1_3genE0ELNS1_11target_archE4294967295ELNS1_3gpuE0ELNS1_3repE0EEENS1_30default_config_static_selectorELNS0_4arch9wavefront6targetE1EEEvT1_, .Lfunc_end6124-_ZN7rocprim17ROCPRIM_400000_NS6detail17trampoline_kernelINS0_14default_configENS1_20scan_config_selectorIfEEZZNS1_9scan_implILNS1_25lookback_scan_determinismE0ELb1ELb1ES3_N6thrust23THRUST_200600_302600_NS6detail15normal_iteratorINS9_10device_ptrIjEEEENSB_INSC_IfEEEEfNS9_4plusIvEEfEEDaPvRmT3_T4_T5_mT6_P12ihipStream_tbENKUlT_T0_E_clISt17integral_constantIbLb1EESV_IbLb0EEEEDaSR_SS_EUlSR_E_NS1_11comp_targetILNS1_3genE0ELNS1_11target_archE4294967295ELNS1_3gpuE0ELNS1_3repE0EEENS1_30default_config_static_selectorELNS0_4arch9wavefront6targetE1EEEvT1_
                                        ; -- End function
	.section	.AMDGPU.csdata,"",@progbits
; Kernel info:
; codeLenInByte = 0
; NumSgprs: 4
; NumVgprs: 0
; NumAgprs: 0
; TotalNumVgprs: 0
; ScratchSize: 0
; MemoryBound: 0
; FloatMode: 240
; IeeeMode: 1
; LDSByteSize: 0 bytes/workgroup (compile time only)
; SGPRBlocks: 0
; VGPRBlocks: 0
; NumSGPRsForWavesPerEU: 4
; NumVGPRsForWavesPerEU: 1
; AccumOffset: 4
; Occupancy: 8
; WaveLimiterHint : 0
; COMPUTE_PGM_RSRC2:SCRATCH_EN: 0
; COMPUTE_PGM_RSRC2:USER_SGPR: 6
; COMPUTE_PGM_RSRC2:TRAP_HANDLER: 0
; COMPUTE_PGM_RSRC2:TGID_X_EN: 1
; COMPUTE_PGM_RSRC2:TGID_Y_EN: 0
; COMPUTE_PGM_RSRC2:TGID_Z_EN: 0
; COMPUTE_PGM_RSRC2:TIDIG_COMP_CNT: 0
; COMPUTE_PGM_RSRC3_GFX90A:ACCUM_OFFSET: 0
; COMPUTE_PGM_RSRC3_GFX90A:TG_SPLIT: 0
	.section	.text._ZN7rocprim17ROCPRIM_400000_NS6detail17trampoline_kernelINS0_14default_configENS1_20scan_config_selectorIfEEZZNS1_9scan_implILNS1_25lookback_scan_determinismE0ELb1ELb1ES3_N6thrust23THRUST_200600_302600_NS6detail15normal_iteratorINS9_10device_ptrIjEEEENSB_INSC_IfEEEEfNS9_4plusIvEEfEEDaPvRmT3_T4_T5_mT6_P12ihipStream_tbENKUlT_T0_E_clISt17integral_constantIbLb1EESV_IbLb0EEEEDaSR_SS_EUlSR_E_NS1_11comp_targetILNS1_3genE5ELNS1_11target_archE942ELNS1_3gpuE9ELNS1_3repE0EEENS1_30default_config_static_selectorELNS0_4arch9wavefront6targetE1EEEvT1_,"axG",@progbits,_ZN7rocprim17ROCPRIM_400000_NS6detail17trampoline_kernelINS0_14default_configENS1_20scan_config_selectorIfEEZZNS1_9scan_implILNS1_25lookback_scan_determinismE0ELb1ELb1ES3_N6thrust23THRUST_200600_302600_NS6detail15normal_iteratorINS9_10device_ptrIjEEEENSB_INSC_IfEEEEfNS9_4plusIvEEfEEDaPvRmT3_T4_T5_mT6_P12ihipStream_tbENKUlT_T0_E_clISt17integral_constantIbLb1EESV_IbLb0EEEEDaSR_SS_EUlSR_E_NS1_11comp_targetILNS1_3genE5ELNS1_11target_archE942ELNS1_3gpuE9ELNS1_3repE0EEENS1_30default_config_static_selectorELNS0_4arch9wavefront6targetE1EEEvT1_,comdat
	.protected	_ZN7rocprim17ROCPRIM_400000_NS6detail17trampoline_kernelINS0_14default_configENS1_20scan_config_selectorIfEEZZNS1_9scan_implILNS1_25lookback_scan_determinismE0ELb1ELb1ES3_N6thrust23THRUST_200600_302600_NS6detail15normal_iteratorINS9_10device_ptrIjEEEENSB_INSC_IfEEEEfNS9_4plusIvEEfEEDaPvRmT3_T4_T5_mT6_P12ihipStream_tbENKUlT_T0_E_clISt17integral_constantIbLb1EESV_IbLb0EEEEDaSR_SS_EUlSR_E_NS1_11comp_targetILNS1_3genE5ELNS1_11target_archE942ELNS1_3gpuE9ELNS1_3repE0EEENS1_30default_config_static_selectorELNS0_4arch9wavefront6targetE1EEEvT1_ ; -- Begin function _ZN7rocprim17ROCPRIM_400000_NS6detail17trampoline_kernelINS0_14default_configENS1_20scan_config_selectorIfEEZZNS1_9scan_implILNS1_25lookback_scan_determinismE0ELb1ELb1ES3_N6thrust23THRUST_200600_302600_NS6detail15normal_iteratorINS9_10device_ptrIjEEEENSB_INSC_IfEEEEfNS9_4plusIvEEfEEDaPvRmT3_T4_T5_mT6_P12ihipStream_tbENKUlT_T0_E_clISt17integral_constantIbLb1EESV_IbLb0EEEEDaSR_SS_EUlSR_E_NS1_11comp_targetILNS1_3genE5ELNS1_11target_archE942ELNS1_3gpuE9ELNS1_3repE0EEENS1_30default_config_static_selectorELNS0_4arch9wavefront6targetE1EEEvT1_
	.globl	_ZN7rocprim17ROCPRIM_400000_NS6detail17trampoline_kernelINS0_14default_configENS1_20scan_config_selectorIfEEZZNS1_9scan_implILNS1_25lookback_scan_determinismE0ELb1ELb1ES3_N6thrust23THRUST_200600_302600_NS6detail15normal_iteratorINS9_10device_ptrIjEEEENSB_INSC_IfEEEEfNS9_4plusIvEEfEEDaPvRmT3_T4_T5_mT6_P12ihipStream_tbENKUlT_T0_E_clISt17integral_constantIbLb1EESV_IbLb0EEEEDaSR_SS_EUlSR_E_NS1_11comp_targetILNS1_3genE5ELNS1_11target_archE942ELNS1_3gpuE9ELNS1_3repE0EEENS1_30default_config_static_selectorELNS0_4arch9wavefront6targetE1EEEvT1_
	.p2align	8
	.type	_ZN7rocprim17ROCPRIM_400000_NS6detail17trampoline_kernelINS0_14default_configENS1_20scan_config_selectorIfEEZZNS1_9scan_implILNS1_25lookback_scan_determinismE0ELb1ELb1ES3_N6thrust23THRUST_200600_302600_NS6detail15normal_iteratorINS9_10device_ptrIjEEEENSB_INSC_IfEEEEfNS9_4plusIvEEfEEDaPvRmT3_T4_T5_mT6_P12ihipStream_tbENKUlT_T0_E_clISt17integral_constantIbLb1EESV_IbLb0EEEEDaSR_SS_EUlSR_E_NS1_11comp_targetILNS1_3genE5ELNS1_11target_archE942ELNS1_3gpuE9ELNS1_3repE0EEENS1_30default_config_static_selectorELNS0_4arch9wavefront6targetE1EEEvT1_,@function
_ZN7rocprim17ROCPRIM_400000_NS6detail17trampoline_kernelINS0_14default_configENS1_20scan_config_selectorIfEEZZNS1_9scan_implILNS1_25lookback_scan_determinismE0ELb1ELb1ES3_N6thrust23THRUST_200600_302600_NS6detail15normal_iteratorINS9_10device_ptrIjEEEENSB_INSC_IfEEEEfNS9_4plusIvEEfEEDaPvRmT3_T4_T5_mT6_P12ihipStream_tbENKUlT_T0_E_clISt17integral_constantIbLb1EESV_IbLb0EEEEDaSR_SS_EUlSR_E_NS1_11comp_targetILNS1_3genE5ELNS1_11target_archE942ELNS1_3gpuE9ELNS1_3repE0EEENS1_30default_config_static_selectorELNS0_4arch9wavefront6targetE1EEEvT1_: ; @_ZN7rocprim17ROCPRIM_400000_NS6detail17trampoline_kernelINS0_14default_configENS1_20scan_config_selectorIfEEZZNS1_9scan_implILNS1_25lookback_scan_determinismE0ELb1ELb1ES3_N6thrust23THRUST_200600_302600_NS6detail15normal_iteratorINS9_10device_ptrIjEEEENSB_INSC_IfEEEEfNS9_4plusIvEEfEEDaPvRmT3_T4_T5_mT6_P12ihipStream_tbENKUlT_T0_E_clISt17integral_constantIbLb1EESV_IbLb0EEEEDaSR_SS_EUlSR_E_NS1_11comp_targetILNS1_3genE5ELNS1_11target_archE942ELNS1_3gpuE9ELNS1_3repE0EEENS1_30default_config_static_selectorELNS0_4arch9wavefront6targetE1EEEvT1_
; %bb.0:
	.section	.rodata,"a",@progbits
	.p2align	6, 0x0
	.amdhsa_kernel _ZN7rocprim17ROCPRIM_400000_NS6detail17trampoline_kernelINS0_14default_configENS1_20scan_config_selectorIfEEZZNS1_9scan_implILNS1_25lookback_scan_determinismE0ELb1ELb1ES3_N6thrust23THRUST_200600_302600_NS6detail15normal_iteratorINS9_10device_ptrIjEEEENSB_INSC_IfEEEEfNS9_4plusIvEEfEEDaPvRmT3_T4_T5_mT6_P12ihipStream_tbENKUlT_T0_E_clISt17integral_constantIbLb1EESV_IbLb0EEEEDaSR_SS_EUlSR_E_NS1_11comp_targetILNS1_3genE5ELNS1_11target_archE942ELNS1_3gpuE9ELNS1_3repE0EEENS1_30default_config_static_selectorELNS0_4arch9wavefront6targetE1EEEvT1_
		.amdhsa_group_segment_fixed_size 0
		.amdhsa_private_segment_fixed_size 0
		.amdhsa_kernarg_size 96
		.amdhsa_user_sgpr_count 6
		.amdhsa_user_sgpr_private_segment_buffer 1
		.amdhsa_user_sgpr_dispatch_ptr 0
		.amdhsa_user_sgpr_queue_ptr 0
		.amdhsa_user_sgpr_kernarg_segment_ptr 1
		.amdhsa_user_sgpr_dispatch_id 0
		.amdhsa_user_sgpr_flat_scratch_init 0
		.amdhsa_user_sgpr_kernarg_preload_length 0
		.amdhsa_user_sgpr_kernarg_preload_offset 0
		.amdhsa_user_sgpr_private_segment_size 0
		.amdhsa_uses_dynamic_stack 0
		.amdhsa_system_sgpr_private_segment_wavefront_offset 0
		.amdhsa_system_sgpr_workgroup_id_x 1
		.amdhsa_system_sgpr_workgroup_id_y 0
		.amdhsa_system_sgpr_workgroup_id_z 0
		.amdhsa_system_sgpr_workgroup_info 0
		.amdhsa_system_vgpr_workitem_id 0
		.amdhsa_next_free_vgpr 1
		.amdhsa_next_free_sgpr 0
		.amdhsa_accum_offset 4
		.amdhsa_reserve_vcc 0
		.amdhsa_reserve_flat_scratch 0
		.amdhsa_float_round_mode_32 0
		.amdhsa_float_round_mode_16_64 0
		.amdhsa_float_denorm_mode_32 3
		.amdhsa_float_denorm_mode_16_64 3
		.amdhsa_dx10_clamp 1
		.amdhsa_ieee_mode 1
		.amdhsa_fp16_overflow 0
		.amdhsa_tg_split 0
		.amdhsa_exception_fp_ieee_invalid_op 0
		.amdhsa_exception_fp_denorm_src 0
		.amdhsa_exception_fp_ieee_div_zero 0
		.amdhsa_exception_fp_ieee_overflow 0
		.amdhsa_exception_fp_ieee_underflow 0
		.amdhsa_exception_fp_ieee_inexact 0
		.amdhsa_exception_int_div_zero 0
	.end_amdhsa_kernel
	.section	.text._ZN7rocprim17ROCPRIM_400000_NS6detail17trampoline_kernelINS0_14default_configENS1_20scan_config_selectorIfEEZZNS1_9scan_implILNS1_25lookback_scan_determinismE0ELb1ELb1ES3_N6thrust23THRUST_200600_302600_NS6detail15normal_iteratorINS9_10device_ptrIjEEEENSB_INSC_IfEEEEfNS9_4plusIvEEfEEDaPvRmT3_T4_T5_mT6_P12ihipStream_tbENKUlT_T0_E_clISt17integral_constantIbLb1EESV_IbLb0EEEEDaSR_SS_EUlSR_E_NS1_11comp_targetILNS1_3genE5ELNS1_11target_archE942ELNS1_3gpuE9ELNS1_3repE0EEENS1_30default_config_static_selectorELNS0_4arch9wavefront6targetE1EEEvT1_,"axG",@progbits,_ZN7rocprim17ROCPRIM_400000_NS6detail17trampoline_kernelINS0_14default_configENS1_20scan_config_selectorIfEEZZNS1_9scan_implILNS1_25lookback_scan_determinismE0ELb1ELb1ES3_N6thrust23THRUST_200600_302600_NS6detail15normal_iteratorINS9_10device_ptrIjEEEENSB_INSC_IfEEEEfNS9_4plusIvEEfEEDaPvRmT3_T4_T5_mT6_P12ihipStream_tbENKUlT_T0_E_clISt17integral_constantIbLb1EESV_IbLb0EEEEDaSR_SS_EUlSR_E_NS1_11comp_targetILNS1_3genE5ELNS1_11target_archE942ELNS1_3gpuE9ELNS1_3repE0EEENS1_30default_config_static_selectorELNS0_4arch9wavefront6targetE1EEEvT1_,comdat
.Lfunc_end6125:
	.size	_ZN7rocprim17ROCPRIM_400000_NS6detail17trampoline_kernelINS0_14default_configENS1_20scan_config_selectorIfEEZZNS1_9scan_implILNS1_25lookback_scan_determinismE0ELb1ELb1ES3_N6thrust23THRUST_200600_302600_NS6detail15normal_iteratorINS9_10device_ptrIjEEEENSB_INSC_IfEEEEfNS9_4plusIvEEfEEDaPvRmT3_T4_T5_mT6_P12ihipStream_tbENKUlT_T0_E_clISt17integral_constantIbLb1EESV_IbLb0EEEEDaSR_SS_EUlSR_E_NS1_11comp_targetILNS1_3genE5ELNS1_11target_archE942ELNS1_3gpuE9ELNS1_3repE0EEENS1_30default_config_static_selectorELNS0_4arch9wavefront6targetE1EEEvT1_, .Lfunc_end6125-_ZN7rocprim17ROCPRIM_400000_NS6detail17trampoline_kernelINS0_14default_configENS1_20scan_config_selectorIfEEZZNS1_9scan_implILNS1_25lookback_scan_determinismE0ELb1ELb1ES3_N6thrust23THRUST_200600_302600_NS6detail15normal_iteratorINS9_10device_ptrIjEEEENSB_INSC_IfEEEEfNS9_4plusIvEEfEEDaPvRmT3_T4_T5_mT6_P12ihipStream_tbENKUlT_T0_E_clISt17integral_constantIbLb1EESV_IbLb0EEEEDaSR_SS_EUlSR_E_NS1_11comp_targetILNS1_3genE5ELNS1_11target_archE942ELNS1_3gpuE9ELNS1_3repE0EEENS1_30default_config_static_selectorELNS0_4arch9wavefront6targetE1EEEvT1_
                                        ; -- End function
	.section	.AMDGPU.csdata,"",@progbits
; Kernel info:
; codeLenInByte = 0
; NumSgprs: 4
; NumVgprs: 0
; NumAgprs: 0
; TotalNumVgprs: 0
; ScratchSize: 0
; MemoryBound: 0
; FloatMode: 240
; IeeeMode: 1
; LDSByteSize: 0 bytes/workgroup (compile time only)
; SGPRBlocks: 0
; VGPRBlocks: 0
; NumSGPRsForWavesPerEU: 4
; NumVGPRsForWavesPerEU: 1
; AccumOffset: 4
; Occupancy: 8
; WaveLimiterHint : 0
; COMPUTE_PGM_RSRC2:SCRATCH_EN: 0
; COMPUTE_PGM_RSRC2:USER_SGPR: 6
; COMPUTE_PGM_RSRC2:TRAP_HANDLER: 0
; COMPUTE_PGM_RSRC2:TGID_X_EN: 1
; COMPUTE_PGM_RSRC2:TGID_Y_EN: 0
; COMPUTE_PGM_RSRC2:TGID_Z_EN: 0
; COMPUTE_PGM_RSRC2:TIDIG_COMP_CNT: 0
; COMPUTE_PGM_RSRC3_GFX90A:ACCUM_OFFSET: 0
; COMPUTE_PGM_RSRC3_GFX90A:TG_SPLIT: 0
	.section	.text._ZN7rocprim17ROCPRIM_400000_NS6detail17trampoline_kernelINS0_14default_configENS1_20scan_config_selectorIfEEZZNS1_9scan_implILNS1_25lookback_scan_determinismE0ELb1ELb1ES3_N6thrust23THRUST_200600_302600_NS6detail15normal_iteratorINS9_10device_ptrIjEEEENSB_INSC_IfEEEEfNS9_4plusIvEEfEEDaPvRmT3_T4_T5_mT6_P12ihipStream_tbENKUlT_T0_E_clISt17integral_constantIbLb1EESV_IbLb0EEEEDaSR_SS_EUlSR_E_NS1_11comp_targetILNS1_3genE4ELNS1_11target_archE910ELNS1_3gpuE8ELNS1_3repE0EEENS1_30default_config_static_selectorELNS0_4arch9wavefront6targetE1EEEvT1_,"axG",@progbits,_ZN7rocprim17ROCPRIM_400000_NS6detail17trampoline_kernelINS0_14default_configENS1_20scan_config_selectorIfEEZZNS1_9scan_implILNS1_25lookback_scan_determinismE0ELb1ELb1ES3_N6thrust23THRUST_200600_302600_NS6detail15normal_iteratorINS9_10device_ptrIjEEEENSB_INSC_IfEEEEfNS9_4plusIvEEfEEDaPvRmT3_T4_T5_mT6_P12ihipStream_tbENKUlT_T0_E_clISt17integral_constantIbLb1EESV_IbLb0EEEEDaSR_SS_EUlSR_E_NS1_11comp_targetILNS1_3genE4ELNS1_11target_archE910ELNS1_3gpuE8ELNS1_3repE0EEENS1_30default_config_static_selectorELNS0_4arch9wavefront6targetE1EEEvT1_,comdat
	.protected	_ZN7rocprim17ROCPRIM_400000_NS6detail17trampoline_kernelINS0_14default_configENS1_20scan_config_selectorIfEEZZNS1_9scan_implILNS1_25lookback_scan_determinismE0ELb1ELb1ES3_N6thrust23THRUST_200600_302600_NS6detail15normal_iteratorINS9_10device_ptrIjEEEENSB_INSC_IfEEEEfNS9_4plusIvEEfEEDaPvRmT3_T4_T5_mT6_P12ihipStream_tbENKUlT_T0_E_clISt17integral_constantIbLb1EESV_IbLb0EEEEDaSR_SS_EUlSR_E_NS1_11comp_targetILNS1_3genE4ELNS1_11target_archE910ELNS1_3gpuE8ELNS1_3repE0EEENS1_30default_config_static_selectorELNS0_4arch9wavefront6targetE1EEEvT1_ ; -- Begin function _ZN7rocprim17ROCPRIM_400000_NS6detail17trampoline_kernelINS0_14default_configENS1_20scan_config_selectorIfEEZZNS1_9scan_implILNS1_25lookback_scan_determinismE0ELb1ELb1ES3_N6thrust23THRUST_200600_302600_NS6detail15normal_iteratorINS9_10device_ptrIjEEEENSB_INSC_IfEEEEfNS9_4plusIvEEfEEDaPvRmT3_T4_T5_mT6_P12ihipStream_tbENKUlT_T0_E_clISt17integral_constantIbLb1EESV_IbLb0EEEEDaSR_SS_EUlSR_E_NS1_11comp_targetILNS1_3genE4ELNS1_11target_archE910ELNS1_3gpuE8ELNS1_3repE0EEENS1_30default_config_static_selectorELNS0_4arch9wavefront6targetE1EEEvT1_
	.globl	_ZN7rocprim17ROCPRIM_400000_NS6detail17trampoline_kernelINS0_14default_configENS1_20scan_config_selectorIfEEZZNS1_9scan_implILNS1_25lookback_scan_determinismE0ELb1ELb1ES3_N6thrust23THRUST_200600_302600_NS6detail15normal_iteratorINS9_10device_ptrIjEEEENSB_INSC_IfEEEEfNS9_4plusIvEEfEEDaPvRmT3_T4_T5_mT6_P12ihipStream_tbENKUlT_T0_E_clISt17integral_constantIbLb1EESV_IbLb0EEEEDaSR_SS_EUlSR_E_NS1_11comp_targetILNS1_3genE4ELNS1_11target_archE910ELNS1_3gpuE8ELNS1_3repE0EEENS1_30default_config_static_selectorELNS0_4arch9wavefront6targetE1EEEvT1_
	.p2align	8
	.type	_ZN7rocprim17ROCPRIM_400000_NS6detail17trampoline_kernelINS0_14default_configENS1_20scan_config_selectorIfEEZZNS1_9scan_implILNS1_25lookback_scan_determinismE0ELb1ELb1ES3_N6thrust23THRUST_200600_302600_NS6detail15normal_iteratorINS9_10device_ptrIjEEEENSB_INSC_IfEEEEfNS9_4plusIvEEfEEDaPvRmT3_T4_T5_mT6_P12ihipStream_tbENKUlT_T0_E_clISt17integral_constantIbLb1EESV_IbLb0EEEEDaSR_SS_EUlSR_E_NS1_11comp_targetILNS1_3genE4ELNS1_11target_archE910ELNS1_3gpuE8ELNS1_3repE0EEENS1_30default_config_static_selectorELNS0_4arch9wavefront6targetE1EEEvT1_,@function
_ZN7rocprim17ROCPRIM_400000_NS6detail17trampoline_kernelINS0_14default_configENS1_20scan_config_selectorIfEEZZNS1_9scan_implILNS1_25lookback_scan_determinismE0ELb1ELb1ES3_N6thrust23THRUST_200600_302600_NS6detail15normal_iteratorINS9_10device_ptrIjEEEENSB_INSC_IfEEEEfNS9_4plusIvEEfEEDaPvRmT3_T4_T5_mT6_P12ihipStream_tbENKUlT_T0_E_clISt17integral_constantIbLb1EESV_IbLb0EEEEDaSR_SS_EUlSR_E_NS1_11comp_targetILNS1_3genE4ELNS1_11target_archE910ELNS1_3gpuE8ELNS1_3repE0EEENS1_30default_config_static_selectorELNS0_4arch9wavefront6targetE1EEEvT1_: ; @_ZN7rocprim17ROCPRIM_400000_NS6detail17trampoline_kernelINS0_14default_configENS1_20scan_config_selectorIfEEZZNS1_9scan_implILNS1_25lookback_scan_determinismE0ELb1ELb1ES3_N6thrust23THRUST_200600_302600_NS6detail15normal_iteratorINS9_10device_ptrIjEEEENSB_INSC_IfEEEEfNS9_4plusIvEEfEEDaPvRmT3_T4_T5_mT6_P12ihipStream_tbENKUlT_T0_E_clISt17integral_constantIbLb1EESV_IbLb0EEEEDaSR_SS_EUlSR_E_NS1_11comp_targetILNS1_3genE4ELNS1_11target_archE910ELNS1_3gpuE8ELNS1_3repE0EEENS1_30default_config_static_selectorELNS0_4arch9wavefront6targetE1EEEvT1_
; %bb.0:
	s_load_dwordx8 s[12:19], s[4:5], 0x0
	s_load_dword s1, s[4:5], 0x30
	s_mul_i32 s0, s6, 0x700
	v_lshlrev_b32_e32 v32, 2, v0
	s_waitcnt lgkmcnt(0)
	s_lshl_b64 s[20:21], s[14:15], 2
	s_add_u32 s29, s12, s20
	s_addc_u32 s30, s13, s21
	s_add_i32 s2, s1, -1
	s_mul_i32 s3, s2, 0x700
	s_sub_u32 s7, s18, s3
	s_subb_u32 s28, s19, 0
	s_mov_b32 s1, 0
	s_cmp_lg_u32 s6, s2
	s_cselect_b64 s[18:19], -1, 0
	s_lshl_b64 s[22:23], s[0:1], 2
	s_add_u32 s2, s29, s22
	s_addc_u32 s3, s30, s23
	s_mov_b64 s[0:1], -1
	s_and_b64 vcc, exec, s[18:19]
	s_cbranch_vccz .LBB6126_2
; %bb.1:
	v_mov_b32_e32 v1, s3
	v_add_co_u32_e32 v2, vcc, s2, v32
	v_addc_co_u32_e32 v3, vcc, 0, v1, vcc
	s_movk_i32 s0, 0x1000
	flat_load_dword v1, v[2:3]
	flat_load_dword v4, v[2:3] offset:512
	flat_load_dword v5, v[2:3] offset:1024
	;; [unrolled: 1-line block ×7, first 2 shown]
	v_add_co_u32_e32 v2, vcc, s0, v2
	v_addc_co_u32_e32 v3, vcc, 0, v3, vcc
	flat_load_dword v11, v[2:3]
	flat_load_dword v12, v[2:3] offset:512
	flat_load_dword v13, v[2:3] offset:1024
	;; [unrolled: 1-line block ×5, first 2 shown]
	s_mov_b64 s[0:1], 0
	s_waitcnt vmcnt(0) lgkmcnt(0)
	v_cvt_f32_u32_e32 v1, v1
	v_cvt_f32_u32_e32 v2, v4
	;; [unrolled: 1-line block ×14, first 2 shown]
	ds_write2st64_b32 v32, v1, v2 offset1:2
	ds_write2st64_b32 v32, v3, v4 offset0:4 offset1:6
	ds_write2st64_b32 v32, v5, v6 offset0:8 offset1:10
	;; [unrolled: 1-line block ×6, first 2 shown]
	s_waitcnt lgkmcnt(0)
	s_barrier
.LBB6126_2:
	s_load_dwordx2 s[24:25], s[4:5], 0x28
	s_andn2_b64 vcc, exec, s[0:1]
	v_cmp_gt_u32_e64 s[0:1], s7, v0
	s_cbranch_vccnz .LBB6126_32
; %bb.3:
	v_pk_mov_b32 v[2:3], s[2:3], s[2:3] op_sel:[0,1]
	flat_load_dword v1, v[2:3]
	s_waitcnt vmcnt(0) lgkmcnt(0)
	v_cvt_f32_u32_e32 v1, v1
	v_mov_b32_e32 v2, v1
	v_mov_b32_e32 v3, v1
	;; [unrolled: 1-line block ×12, first 2 shown]
	v_pk_mov_b32 v[16:17], v[14:15], v[14:15] op_sel:[0,1]
	v_pk_mov_b32 v[14:15], v[12:13], v[12:13] op_sel:[0,1]
	;; [unrolled: 1-line block ×8, first 2 shown]
	s_and_saveexec_b64 s[8:9], s[0:1]
	s_cbranch_execz .LBB6126_5
; %bb.4:
	v_mov_b32_e32 v3, s3
	v_add_co_u32_e32 v2, vcc, s2, v32
	v_addc_co_u32_e32 v3, vcc, 0, v3, vcc
	flat_load_dword v11, v[2:3]
	v_mov_b32_e32 v2, v1
	v_mov_b32_e32 v3, v1
	;; [unrolled: 1-line block ×11, first 2 shown]
	s_waitcnt vmcnt(0) lgkmcnt(0)
	v_cvt_f32_u32_e32 v18, v11
	v_mov_b32_e32 v11, v1
	v_pk_mov_b32 v[16:17], v[14:15], v[14:15] op_sel:[0,1]
	v_pk_mov_b32 v[14:15], v[12:13], v[12:13] op_sel:[0,1]
	;; [unrolled: 1-line block ×8, first 2 shown]
	v_mov_b32_e32 v1, v18
.LBB6126_5:
	s_or_b64 exec, exec, s[8:9]
	v_or_b32_e32 v2, 0x80, v0
	v_cmp_gt_u32_e32 vcc, s7, v2
	s_and_saveexec_b64 s[0:1], vcc
	s_cbranch_execz .LBB6126_7
; %bb.6:
	v_mov_b32_e32 v3, s3
	v_add_co_u32_e32 v2, vcc, s2, v32
	v_addc_co_u32_e32 v3, vcc, 0, v3, vcc
	flat_load_dword v2, v[2:3] offset:512
	s_waitcnt vmcnt(0) lgkmcnt(0)
	v_cvt_f32_u32_e32 v3, v2
.LBB6126_7:
	s_or_b64 exec, exec, s[0:1]
	v_or_b32_e32 v2, 0x100, v0
	v_cmp_gt_u32_e32 vcc, s7, v2
	s_and_saveexec_b64 s[0:1], vcc
	s_cbranch_execz .LBB6126_9
; %bb.8:
	v_mov_b32_e32 v2, s3
	v_add_co_u32_e32 v16, vcc, s2, v32
	v_addc_co_u32_e32 v17, vcc, 0, v2, vcc
	flat_load_dword v2, v[16:17] offset:1024
	s_waitcnt vmcnt(0) lgkmcnt(0)
	v_cvt_f32_u32_e32 v4, v2
.LBB6126_9:
	s_or_b64 exec, exec, s[0:1]
	v_or_b32_e32 v2, 0x180, v0
	v_cmp_gt_u32_e32 vcc, s7, v2
	s_and_saveexec_b64 s[0:1], vcc
	s_cbranch_execz .LBB6126_11
; %bb.10:
	v_mov_b32_e32 v2, s3
	v_add_co_u32_e32 v16, vcc, s2, v32
	v_addc_co_u32_e32 v17, vcc, 0, v2, vcc
	flat_load_dword v2, v[16:17] offset:1536
	s_waitcnt vmcnt(0) lgkmcnt(0)
	v_cvt_f32_u32_e32 v5, v2
.LBB6126_11:
	s_or_b64 exec, exec, s[0:1]
	v_or_b32_e32 v2, 0x200, v0
	v_cmp_gt_u32_e32 vcc, s7, v2
	s_and_saveexec_b64 s[0:1], vcc
	s_cbranch_execz .LBB6126_13
; %bb.12:
	v_mov_b32_e32 v2, s3
	v_add_co_u32_e32 v16, vcc, s2, v32
	v_addc_co_u32_e32 v17, vcc, 0, v2, vcc
	flat_load_dword v2, v[16:17] offset:2048
	s_waitcnt vmcnt(0) lgkmcnt(0)
	v_cvt_f32_u32_e32 v6, v2
.LBB6126_13:
	s_or_b64 exec, exec, s[0:1]
	v_or_b32_e32 v2, 0x280, v0
	v_cmp_gt_u32_e32 vcc, s7, v2
	s_and_saveexec_b64 s[0:1], vcc
	s_cbranch_execz .LBB6126_15
; %bb.14:
	v_mov_b32_e32 v2, s3
	v_add_co_u32_e32 v16, vcc, s2, v32
	v_addc_co_u32_e32 v17, vcc, 0, v2, vcc
	flat_load_dword v2, v[16:17] offset:2560
	s_waitcnt vmcnt(0) lgkmcnt(0)
	v_cvt_f32_u32_e32 v7, v2
.LBB6126_15:
	s_or_b64 exec, exec, s[0:1]
	v_or_b32_e32 v2, 0x300, v0
	v_cmp_gt_u32_e32 vcc, s7, v2
	s_and_saveexec_b64 s[0:1], vcc
	s_cbranch_execz .LBB6126_17
; %bb.16:
	v_mov_b32_e32 v2, s3
	v_add_co_u32_e32 v16, vcc, s2, v32
	v_addc_co_u32_e32 v17, vcc, 0, v2, vcc
	flat_load_dword v2, v[16:17] offset:3072
	s_waitcnt vmcnt(0) lgkmcnt(0)
	v_cvt_f32_u32_e32 v8, v2
.LBB6126_17:
	s_or_b64 exec, exec, s[0:1]
	v_or_b32_e32 v2, 0x380, v0
	v_cmp_gt_u32_e32 vcc, s7, v2
	s_and_saveexec_b64 s[0:1], vcc
	s_cbranch_execz .LBB6126_19
; %bb.18:
	v_mov_b32_e32 v2, s3
	v_add_co_u32_e32 v16, vcc, s2, v32
	v_addc_co_u32_e32 v17, vcc, 0, v2, vcc
	flat_load_dword v2, v[16:17] offset:3584
	s_waitcnt vmcnt(0) lgkmcnt(0)
	v_cvt_f32_u32_e32 v9, v2
.LBB6126_19:
	s_or_b64 exec, exec, s[0:1]
	v_or_b32_e32 v2, 0x400, v0
	v_cmp_gt_u32_e32 vcc, s7, v2
	s_and_saveexec_b64 s[0:1], vcc
	s_cbranch_execz .LBB6126_21
; %bb.20:
	v_lshlrev_b32_e32 v2, 2, v2
	v_mov_b32_e32 v10, s3
	v_add_co_u32_e32 v16, vcc, s2, v2
	v_addc_co_u32_e32 v17, vcc, 0, v10, vcc
	flat_load_dword v2, v[16:17]
	s_waitcnt vmcnt(0) lgkmcnt(0)
	v_cvt_f32_u32_e32 v10, v2
.LBB6126_21:
	s_or_b64 exec, exec, s[0:1]
	v_or_b32_e32 v2, 0x480, v0
	v_cmp_gt_u32_e32 vcc, s7, v2
	s_and_saveexec_b64 s[0:1], vcc
	s_cbranch_execz .LBB6126_23
; %bb.22:
	v_lshlrev_b32_e32 v2, 2, v2
	v_mov_b32_e32 v11, s3
	v_add_co_u32_e32 v16, vcc, s2, v2
	v_addc_co_u32_e32 v17, vcc, 0, v11, vcc
	flat_load_dword v2, v[16:17]
	s_waitcnt vmcnt(0) lgkmcnt(0)
	v_cvt_f32_u32_e32 v11, v2
.LBB6126_23:
	;; [unrolled: 14-line block ×6, first 2 shown]
	s_or_b64 exec, exec, s[0:1]
	ds_write2st64_b32 v32, v1, v3 offset1:2
	ds_write2st64_b32 v32, v4, v5 offset0:4 offset1:6
	ds_write2st64_b32 v32, v6, v7 offset0:8 offset1:10
	;; [unrolled: 1-line block ×6, first 2 shown]
	s_waitcnt lgkmcnt(0)
	s_barrier
.LBB6126_32:
	v_mul_u32_u24_e32 v33, 14, v0
	v_lshlrev_b32_e32 v34, 2, v33
	s_waitcnt lgkmcnt(0)
	ds_read2_b64 v[26:29], v34 offset1:1
	ds_read2_b64 v[22:25], v34 offset0:2 offset1:3
	ds_read2_b64 v[18:21], v34 offset0:4 offset1:5
	ds_read_b64 v[30:31], v34 offset:48
	s_cmp_lg_u32 s6, 0
	s_waitcnt lgkmcnt(3)
	v_add_f32_e32 v35, v26, v27
	v_lshrrev_b32_e32 v1, 5, v0
	v_cmp_gt_u32_e32 vcc, 64, v0
	s_waitcnt lgkmcnt(0)
	s_barrier
	s_cbranch_scc0 .LBB6126_61
; %bb.33:
	v_add_f32_e32 v2, v28, v35
	v_add_f32_e32 v2, v29, v2
	;; [unrolled: 1-line block ×12, first 2 shown]
	v_add_lshl_u32 v2, v1, v0, 2
	ds_write_b32 v2, v12
	s_waitcnt lgkmcnt(0)
	s_barrier
	s_and_saveexec_b64 s[10:11], vcc
	s_cbranch_execz .LBB6126_35
; %bb.34:
	v_lshlrev_b32_e32 v2, 1, v0
	v_lshrrev_b32_e32 v3, 4, v0
	v_add_lshl_u32 v4, v3, v2, 2
	ds_read2_b32 v[2:3], v4 offset1:1
	v_mbcnt_lo_u32_b32 v5, -1, 0
	v_mbcnt_hi_u32_b32 v5, -1, v5
	v_and_b32_e32 v6, 15, v5
	v_cmp_eq_u32_e64 s[0:1], 0, v6
	s_waitcnt lgkmcnt(0)
	v_add_f32_e32 v3, v2, v3
	v_cmp_lt_u32_e64 s[2:3], 3, v6
	v_cmp_lt_u32_e64 s[8:9], 31, v5
	v_mov_b32_dpp v7, v3 row_shr:1 row_mask:0xf bank_mask:0xf
	v_add_f32_e32 v7, v3, v7
	v_cndmask_b32_e64 v3, v7, v3, s[0:1]
	v_cmp_lt_u32_e64 s[0:1], 1, v6
	s_nop 0
	v_mov_b32_dpp v7, v3 row_shr:2 row_mask:0xf bank_mask:0xf
	v_add_f32_e32 v7, v3, v7
	v_cndmask_b32_e64 v7, v3, v7, s[0:1]
	; wave barrier
	s_nop 1
	v_mov_b32_dpp v8, v7 row_shr:4 row_mask:0xf bank_mask:0xf
	v_add_f32_e32 v8, v7, v8
	v_cndmask_b32_e64 v7, v7, v8, s[2:3]
	v_cmp_lt_u32_e64 s[2:3], 7, v6
	s_nop 0
	v_mov_b32_dpp v8, v7 row_shr:8 row_mask:0xf bank_mask:0xf
	v_add_f32_e32 v8, v7, v8
	v_cndmask_b32_e64 v6, v7, v8, s[2:3]
	v_and_b32_e32 v8, 16, v5
	v_cmp_eq_u32_e64 s[2:3], 0, v8
	v_mov_b32_dpp v7, v6 row_bcast:15 row_mask:0xf bank_mask:0xf
	v_add_f32_e32 v7, v6, v7
	v_cndmask_b32_e64 v6, v7, v6, s[2:3]
	v_cmp_lt_u32_e64 s[2:3], 15, v5
	s_or_b64 s[0:1], s[2:3], s[0:1]
	v_mov_b32_dpp v7, v6 row_bcast:31 row_mask:0xf bank_mask:0xf
	v_add_f32_e32 v7, v6, v7
	v_cndmask_b32_e64 v6, v6, v7, s[8:9]
	v_cndmask_b32_e64 v3, v3, v6, s[0:1]
	v_add_u32_e32 v6, -1, v5
	v_and_b32_e32 v7, 64, v5
	v_cmp_lt_i32_e64 s[0:1], v6, v7
	v_cndmask_b32_e64 v5, v6, v5, s[0:1]
	v_lshlrev_b32_e32 v5, 2, v5
	ds_bpermute_b32 v3, v5, v3
	v_cmp_eq_u32_e64 s[0:1], 0, v0
	s_waitcnt lgkmcnt(0)
	v_add_f32_e32 v2, v2, v3
	v_cndmask_b32_e64 v2, v2, v12, s[0:1]
	ds_write_b32 v4, v2
	; wave barrier
	ds_read_b32 v3, v4 offset:4
	s_waitcnt lgkmcnt(0)
	v_add_f32_e32 v2, v2, v3
	ds_write_b32 v4, v2 offset:4
.LBB6126_35:
	s_or_b64 exec, exec, s[10:11]
	v_cmp_eq_u32_e64 s[0:1], 0, v0
	v_cmp_ne_u32_e64 s[2:3], 0, v0
	s_waitcnt lgkmcnt(0)
	s_barrier
	s_and_saveexec_b64 s[8:9], s[2:3]
	s_cbranch_execz .LBB6126_37
; %bb.36:
	v_add_u32_e32 v2, -1, v0
	v_lshrrev_b32_e32 v3, 5, v2
	v_add_lshl_u32 v2, v3, v2, 2
	ds_read_b32 v12, v2
.LBB6126_37:
	s_or_b64 exec, exec, s[8:9]
	s_and_saveexec_b64 s[26:27], vcc
	s_cbranch_execz .LBB6126_60
; %bb.38:
	v_mov_b32_e32 v11, 0
	ds_read_b32 v2, v11 offset:520
	v_mbcnt_lo_u32_b32 v3, -1, 0
	v_mbcnt_hi_u32_b32 v5, -1, v3
	s_mov_b32 s11, 0
	v_cmp_eq_u32_e64 s[2:3], 0, v5
	s_and_saveexec_b64 s[8:9], s[2:3]
	s_cbranch_execz .LBB6126_40
; %bb.39:
	s_add_i32 s10, s6, 64
	s_lshl_b64 s[10:11], s[10:11], 3
	s_add_u32 s10, s24, s10
	v_mov_b32_e32 v3, 1
	s_addc_u32 s11, s25, s11
	s_waitcnt lgkmcnt(0)
	global_store_dwordx2 v11, v[2:3], s[10:11]
.LBB6126_40:
	s_or_b64 exec, exec, s[8:9]
	v_xad_u32 v4, v5, -1, s6
	v_add_u32_e32 v10, 64, v4
	v_lshlrev_b64 v[6:7], 3, v[10:11]
	v_mov_b32_e32 v3, s25
	v_add_co_u32_e32 v6, vcc, s24, v6
	v_addc_co_u32_e32 v7, vcc, v3, v7, vcc
	global_load_dwordx2 v[8:9], v[6:7], off glc
	s_waitcnt vmcnt(0)
	v_cmp_eq_u16_sdwa s[10:11], v9, v11 src0_sel:BYTE_0 src1_sel:DWORD
	s_and_saveexec_b64 s[8:9], s[10:11]
	s_cbranch_execz .LBB6126_46
; %bb.41:
	s_mov_b32 s12, 1
	s_mov_b64 s[10:11], 0
	v_mov_b32_e32 v3, 0
.LBB6126_42:                            ; =>This Loop Header: Depth=1
                                        ;     Child Loop BB6126_43 Depth 2
	s_max_u32 s13, s12, 1
.LBB6126_43:                            ;   Parent Loop BB6126_42 Depth=1
                                        ; =>  This Inner Loop Header: Depth=2
	s_add_i32 s13, s13, -1
	s_cmp_eq_u32 s13, 0
	s_sleep 1
	s_cbranch_scc0 .LBB6126_43
; %bb.44:                               ;   in Loop: Header=BB6126_42 Depth=1
	global_load_dwordx2 v[8:9], v[6:7], off glc
	s_cmp_lt_u32 s12, 32
	s_cselect_b64 s[14:15], -1, 0
	s_cmp_lg_u64 s[14:15], 0
	s_addc_u32 s12, s12, 0
	s_waitcnt vmcnt(0)
	v_cmp_ne_u16_sdwa s[14:15], v9, v3 src0_sel:BYTE_0 src1_sel:DWORD
	s_or_b64 s[10:11], s[14:15], s[10:11]
	s_andn2_b64 exec, exec, s[10:11]
	s_cbranch_execnz .LBB6126_42
; %bb.45:
	s_or_b64 exec, exec, s[10:11]
.LBB6126_46:
	s_or_b64 exec, exec, s[8:9]
	v_and_b32_e32 v13, 63, v5
	v_cmp_ne_u32_e32 vcc, 63, v13
	v_addc_co_u32_e32 v14, vcc, 0, v5, vcc
	v_mov_b32_e32 v3, 2
	v_lshlrev_b32_e32 v14, 2, v14
	v_cmp_eq_u16_sdwa s[8:9], v9, v3 src0_sel:BYTE_0 src1_sel:DWORD
	v_lshlrev_b64 v[6:7], v5, -1
	ds_bpermute_b32 v15, v14, v8
	v_and_b32_e32 v10, s9, v7
	v_or_b32_e32 v10, 0x80000000, v10
	v_and_b32_e32 v11, s8, v6
	v_ffbl_b32_e32 v10, v10
	v_add_u32_e32 v10, 32, v10
	v_ffbl_b32_e32 v11, v11
	v_cmp_gt_u32_e64 s[8:9], 62, v13
	v_min_u32_e32 v10, v11, v10
	s_waitcnt lgkmcnt(0)
	v_add_f32_e32 v11, v8, v15
	v_cndmask_b32_e64 v15, 0, 1, s[8:9]
	v_cmp_lt_u32_e32 vcc, v13, v10
	v_lshlrev_b32_e32 v15, 1, v15
	v_cndmask_b32_e32 v11, v8, v11, vcc
	v_add_lshl_u32 v15, v15, v5, 2
	ds_bpermute_b32 v17, v15, v11
	v_add_u32_e32 v16, 2, v13
	v_cmp_gt_u32_e64 s[8:9], v16, v10
	v_cmp_gt_u32_e64 s[10:11], 56, v13
	v_add_u32_e32 v36, 4, v13
	s_waitcnt lgkmcnt(0)
	v_add_f32_e32 v17, v11, v17
	v_cndmask_b32_e64 v11, v17, v11, s[8:9]
	v_cmp_gt_u32_e64 s[8:9], 60, v13
	v_cndmask_b32_e64 v17, 0, 1, s[8:9]
	v_lshlrev_b32_e32 v17, 2, v17
	v_add_lshl_u32 v17, v17, v5, 2
	ds_bpermute_b32 v37, v17, v11
	v_cmp_gt_u32_e64 s[8:9], v36, v10
	v_add_u32_e32 v38, 8, v13
	v_cmp_gt_u32_e64 s[12:13], 48, v13
	v_cmp_gt_u32_e64 s[14:15], 32, v13
	s_waitcnt lgkmcnt(0)
	v_add_f32_e32 v41, v11, v37
	v_cndmask_b32_e64 v37, 0, 1, s[10:11]
	v_lshlrev_b32_e32 v37, 3, v37
	v_cndmask_b32_e64 v39, v41, v11, s[8:9]
	v_add_lshl_u32 v37, v37, v5, 2
	ds_bpermute_b32 v40, v37, v39
	v_cmp_gt_u32_e64 s[10:11], v38, v10
	v_cndmask_b32_e32 v8, v8, v11, vcc
	v_cndmask_b32_e64 v8, v41, v8, s[8:9]
	s_waitcnt lgkmcnt(0)
	v_add_f32_e32 v44, v39, v40
	v_cndmask_b32_e64 v42, v44, v39, s[10:11]
	v_cndmask_b32_e64 v39, 0, 1, s[12:13]
	v_lshlrev_b32_e32 v39, 4, v39
	v_add_lshl_u32 v39, v39, v5, 2
	ds_bpermute_b32 v43, v39, v42
	v_add_u32_e32 v40, 16, v13
	v_cmp_gt_u32_e64 s[12:13], v40, v10
	v_cndmask_b32_e64 v8, v44, v8, s[10:11]
	s_waitcnt lgkmcnt(0)
	v_add_f32_e32 v45, v42, v43
	v_cndmask_b32_e64 v46, v45, v42, s[12:13]
	v_cndmask_b32_e64 v42, 0, 1, s[14:15]
	v_lshlrev_b32_e32 v42, 5, v42
	v_add_lshl_u32 v42, v42, v5, 2
	ds_bpermute_b32 v5, v42, v46
	v_add_u32_e32 v43, 32, v13
	v_cndmask_b32_e64 v8, v45, v8, s[12:13]
	v_cmp_gt_u32_e32 vcc, v43, v10
	s_waitcnt lgkmcnt(0)
	v_add_f32_e32 v5, v46, v5
	v_cndmask_b32_e32 v8, v5, v8, vcc
	v_mov_b32_e32 v5, 0
	s_branch .LBB6126_48
.LBB6126_47:                            ;   in Loop: Header=BB6126_48 Depth=1
	s_or_b64 exec, exec, s[8:9]
	v_cmp_eq_u16_sdwa s[8:9], v9, v3 src0_sel:BYTE_0 src1_sel:DWORD
	v_and_b32_e32 v10, s9, v7
	ds_bpermute_b32 v44, v14, v8
	v_or_b32_e32 v10, 0x80000000, v10
	v_and_b32_e32 v11, s8, v6
	v_ffbl_b32_e32 v10, v10
	v_add_u32_e32 v10, 32, v10
	v_ffbl_b32_e32 v11, v11
	v_min_u32_e32 v10, v11, v10
	s_waitcnt lgkmcnt(0)
	v_add_f32_e32 v11, v8, v44
	v_cmp_lt_u32_e32 vcc, v13, v10
	v_cndmask_b32_e32 v11, v8, v11, vcc
	ds_bpermute_b32 v44, v15, v11
	v_cmp_gt_u32_e64 s[8:9], v16, v10
	v_cmp_gt_u32_e64 s[10:11], v38, v10
	;; [unrolled: 1-line block ×3, first 2 shown]
	v_subrev_u32_e32 v4, 64, v4
	s_waitcnt lgkmcnt(0)
	v_add_f32_e32 v44, v11, v44
	v_cndmask_b32_e64 v11, v44, v11, s[8:9]
	ds_bpermute_b32 v44, v17, v11
	v_cmp_gt_u32_e64 s[8:9], v36, v10
	v_cndmask_b32_e32 v8, v8, v11, vcc
	v_cmp_gt_u32_e32 vcc, v43, v10
	s_waitcnt lgkmcnt(0)
	v_add_f32_e32 v44, v11, v44
	v_cndmask_b32_e64 v45, v44, v11, s[8:9]
	ds_bpermute_b32 v46, v37, v45
	v_cndmask_b32_e64 v8, v44, v8, s[8:9]
	s_waitcnt lgkmcnt(0)
	v_add_f32_e32 v46, v45, v46
	v_cndmask_b32_e64 v45, v46, v45, s[10:11]
	ds_bpermute_b32 v47, v39, v45
	v_cndmask_b32_e64 v8, v46, v8, s[10:11]
	;; [unrolled: 5-line block ×3, first 2 shown]
	s_waitcnt lgkmcnt(0)
	v_add_f32_e32 v11, v45, v48
	v_cndmask_b32_e32 v8, v11, v8, vcc
	v_add_f32_e32 v8, v41, v8
.LBB6126_48:                            ; =>This Loop Header: Depth=1
                                        ;     Child Loop BB6126_51 Depth 2
                                        ;       Child Loop BB6126_52 Depth 3
	v_cmp_ne_u16_sdwa s[8:9], v9, v3 src0_sel:BYTE_0 src1_sel:DWORD
	v_cndmask_b32_e64 v9, 0, 1, s[8:9]
	;;#ASMSTART
	;;#ASMEND
	v_cmp_ne_u32_e32 vcc, 0, v9
	s_cmp_lg_u64 vcc, exec
	v_mov_b32_e32 v41, v8
	s_cbranch_scc1 .LBB6126_55
; %bb.49:                               ;   in Loop: Header=BB6126_48 Depth=1
	v_lshlrev_b64 v[8:9], 3, v[4:5]
	v_mov_b32_e32 v11, s25
	v_add_co_u32_e32 v10, vcc, s24, v8
	v_addc_co_u32_e32 v11, vcc, v11, v9, vcc
	global_load_dwordx2 v[8:9], v[10:11], off glc
	s_waitcnt vmcnt(0)
	v_cmp_eq_u16_sdwa s[10:11], v9, v5 src0_sel:BYTE_0 src1_sel:DWORD
	s_and_saveexec_b64 s[8:9], s[10:11]
	s_cbranch_execz .LBB6126_47
; %bb.50:                               ;   in Loop: Header=BB6126_48 Depth=1
	s_mov_b32 s12, 1
	s_mov_b64 s[10:11], 0
.LBB6126_51:                            ;   Parent Loop BB6126_48 Depth=1
                                        ; =>  This Loop Header: Depth=2
                                        ;       Child Loop BB6126_52 Depth 3
	s_max_u32 s13, s12, 1
.LBB6126_52:                            ;   Parent Loop BB6126_48 Depth=1
                                        ;     Parent Loop BB6126_51 Depth=2
                                        ; =>    This Inner Loop Header: Depth=3
	s_add_i32 s13, s13, -1
	s_cmp_eq_u32 s13, 0
	s_sleep 1
	s_cbranch_scc0 .LBB6126_52
; %bb.53:                               ;   in Loop: Header=BB6126_51 Depth=2
	global_load_dwordx2 v[8:9], v[10:11], off glc
	s_cmp_lt_u32 s12, 32
	s_cselect_b64 s[14:15], -1, 0
	s_cmp_lg_u64 s[14:15], 0
	s_addc_u32 s12, s12, 0
	s_waitcnt vmcnt(0)
	v_cmp_ne_u16_sdwa s[14:15], v9, v5 src0_sel:BYTE_0 src1_sel:DWORD
	s_or_b64 s[10:11], s[14:15], s[10:11]
	s_andn2_b64 exec, exec, s[10:11]
	s_cbranch_execnz .LBB6126_51
; %bb.54:                               ;   in Loop: Header=BB6126_48 Depth=1
	s_or_b64 exec, exec, s[10:11]
	s_branch .LBB6126_47
.LBB6126_55:                            ;   in Loop: Header=BB6126_48 Depth=1
                                        ; implicit-def: $vgpr8
                                        ; implicit-def: $vgpr9
	s_cbranch_execz .LBB6126_48
; %bb.56:
	s_and_saveexec_b64 s[8:9], s[2:3]
	s_cbranch_execz .LBB6126_58
; %bb.57:
	s_add_i32 s2, s6, 64
	s_mov_b32 s3, 0
	s_lshl_b64 s[2:3], s[2:3], 3
	s_add_u32 s2, s24, s2
	v_add_f32_e32 v2, v2, v41
	v_mov_b32_e32 v3, 2
	s_addc_u32 s3, s25, s3
	v_mov_b32_e32 v4, 0
	global_store_dwordx2 v4, v[2:3], s[2:3]
.LBB6126_58:
	s_or_b64 exec, exec, s[8:9]
	s_and_b64 exec, exec, s[0:1]
	s_cbranch_execz .LBB6126_60
; %bb.59:
	v_mov_b32_e32 v2, 0
	ds_write_b32 v2, v41
.LBB6126_60:
	s_or_b64 exec, exec, s[26:27]
	v_mov_b32_e32 v2, 0
	s_waitcnt lgkmcnt(0)
	s_barrier
	ds_read_b32 v2, v2
	s_waitcnt lgkmcnt(0)
	v_add_f32_e32 v3, v12, v2
	v_cndmask_b32_e64 v2, v3, v2, s[0:1]
	v_add_f32_e32 v3, v26, v2
	v_add_f32_e32 v4, v27, v3
	;; [unrolled: 1-line block ×13, first 2 shown]
	s_load_dwordx8 s[8:15], s[4:5], 0x38
	s_branch .LBB6126_71
.LBB6126_61:
                                        ; implicit-def: $vgpr2_vgpr3_vgpr4_vgpr5_vgpr6_vgpr7_vgpr8_vgpr9_vgpr10_vgpr11_vgpr12_vgpr13_vgpr14_vgpr15_vgpr16_vgpr17
	s_load_dwordx8 s[8:15], s[4:5], 0x38
	s_cbranch_execz .LBB6126_71
; %bb.62:
	s_load_dword s0, s[4:5], 0x20
	s_waitcnt lgkmcnt(0)
	s_cmp_eq_u64 s[12:13], 0
	v_mov_b32_e32 v16, s0
	s_cbranch_scc1 .LBB6126_64
; %bb.63:
	v_mov_b32_e32 v3, s30
	v_add_co_u32_e64 v2, vcc, -4, s29
	v_addc_co_u32_e32 v3, vcc, -1, v3, vcc
	flat_load_dword v2, v[2:3]
	v_mov_b32_e32 v3, 0
	global_load_dword v3, v3, s[8:9]
	s_waitcnt vmcnt(0) lgkmcnt(0)
	v_cvt_f32_u32_e32 v2, v2
	v_add_f32_e32 v16, v3, v2
.LBB6126_64:
	v_add_f32_e32 v2, v28, v35
	v_add_f32_e32 v2, v29, v2
	;; [unrolled: 1-line block ×12, first 2 shown]
	v_add_lshl_u32 v1, v1, v0, 2
	v_cmp_gt_u32_e32 vcc, 64, v0
	ds_write_b32 v1, v2
	s_waitcnt lgkmcnt(0)
	s_barrier
	s_and_saveexec_b64 s[4:5], vcc
	s_cbranch_execz .LBB6126_66
; %bb.65:
	v_lshlrev_b32_e32 v1, 1, v0
	v_lshrrev_b32_e32 v3, 4, v0
	v_add_lshl_u32 v1, v3, v1, 2
	ds_read2_b32 v[4:5], v1 offset1:1
	v_mbcnt_lo_u32_b32 v3, -1, 0
	v_mbcnt_hi_u32_b32 v3, -1, v3
	v_and_b32_e32 v6, 15, v3
	v_cmp_eq_u32_e32 vcc, 0, v6
	s_waitcnt lgkmcnt(0)
	v_add_f32_e32 v5, v4, v5
	v_cmp_lt_u32_e64 s[0:1], 3, v6
	v_cmp_lt_u32_e64 s[2:3], 31, v3
	v_mov_b32_dpp v7, v5 row_shr:1 row_mask:0xf bank_mask:0xf
	v_add_f32_e32 v7, v5, v7
	v_cndmask_b32_e32 v5, v7, v5, vcc
	v_cmp_lt_u32_e32 vcc, 1, v6
	s_nop 0
	v_mov_b32_dpp v7, v5 row_shr:2 row_mask:0xf bank_mask:0xf
	v_add_f32_e32 v7, v5, v7
	v_cndmask_b32_e32 v7, v5, v7, vcc
	; wave barrier
	s_nop 1
	v_mov_b32_dpp v8, v7 row_shr:4 row_mask:0xf bank_mask:0xf
	v_add_f32_e32 v8, v7, v8
	v_cndmask_b32_e64 v7, v7, v8, s[0:1]
	v_cmp_lt_u32_e64 s[0:1], 7, v6
	s_nop 0
	v_mov_b32_dpp v8, v7 row_shr:8 row_mask:0xf bank_mask:0xf
	v_add_f32_e32 v8, v7, v8
	v_cndmask_b32_e64 v6, v7, v8, s[0:1]
	v_and_b32_e32 v8, 16, v3
	v_cmp_eq_u32_e64 s[0:1], 0, v8
	v_mov_b32_dpp v7, v6 row_bcast:15 row_mask:0xf bank_mask:0xf
	v_add_f32_e32 v7, v6, v7
	v_cndmask_b32_e64 v6, v7, v6, s[0:1]
	v_cmp_lt_u32_e64 s[0:1], 15, v3
	s_or_b64 vcc, s[0:1], vcc
	v_mov_b32_dpp v7, v6 row_bcast:31 row_mask:0xf bank_mask:0xf
	v_add_f32_e32 v7, v6, v7
	v_cndmask_b32_e64 v6, v6, v7, s[2:3]
	v_cndmask_b32_e32 v5, v5, v6, vcc
	v_add_u32_e32 v6, -1, v3
	v_and_b32_e32 v7, 64, v3
	v_cmp_lt_i32_e32 vcc, v6, v7
	v_cndmask_b32_e32 v3, v6, v3, vcc
	v_lshlrev_b32_e32 v3, 2, v3
	ds_bpermute_b32 v3, v3, v5
	v_cmp_eq_u32_e32 vcc, 0, v0
	s_waitcnt lgkmcnt(0)
	v_add_f32_e32 v3, v4, v3
	v_cndmask_b32_e32 v2, v3, v2, vcc
	ds_write_b32 v1, v2
	; wave barrier
	ds_read_b32 v3, v1 offset:4
	s_waitcnt lgkmcnt(0)
	v_add_f32_e32 v2, v2, v3
	ds_write_b32 v1, v2 offset:4
.LBB6126_66:
	s_or_b64 exec, exec, s[4:5]
	v_cmp_eq_u32_e32 vcc, 0, v0
	v_cmp_ne_u32_e64 s[0:1], 0, v0
	v_mov_b32_e32 v2, v16
	s_waitcnt lgkmcnt(0)
	s_barrier
	s_and_saveexec_b64 s[2:3], s[0:1]
	s_cbranch_execz .LBB6126_68
; %bb.67:
	v_add_u32_e32 v1, -1, v0
	v_lshrrev_b32_e32 v2, 5, v1
	v_add_lshl_u32 v1, v2, v1, 2
	ds_read_b32 v1, v1
	s_waitcnt lgkmcnt(0)
	v_add_f32_e32 v2, v16, v1
.LBB6126_68:
	s_or_b64 exec, exec, s[2:3]
	v_add_f32_e32 v3, v26, v2
	v_add_f32_e32 v4, v27, v3
	;; [unrolled: 1-line block ×13, first 2 shown]
	s_and_saveexec_b64 s[0:1], vcc
	s_cbranch_execz .LBB6126_70
; %bb.69:
	v_mov_b32_e32 v1, 0
	ds_read_b32 v17, v1 offset:520
	s_waitcnt lgkmcnt(0)
	v_add_f32_e32 v16, v16, v17
	v_mov_b32_e32 v17, 2
	global_store_dwordx2 v1, v[16:17], s[24:25] offset:512
.LBB6126_70:
	s_or_b64 exec, exec, s[0:1]
.LBB6126_71:
	s_add_u32 s0, s16, s20
	s_addc_u32 s1, s17, s21
	s_add_u32 s2, s0, s22
	s_addc_u32 s3, s1, s23
	s_mov_b64 s[0:1], -1
	s_and_b64 vcc, exec, s[18:19]
	s_waitcnt lgkmcnt(0)
	s_barrier
	s_cbranch_vccz .LBB6126_73
; %bb.72:
	ds_write2_b64 v34, v[2:3], v[4:5] offset1:1
	ds_write2_b64 v34, v[6:7], v[8:9] offset0:2 offset1:3
	ds_write2_b64 v34, v[10:11], v[12:13] offset0:4 offset1:5
	ds_write_b64 v34, v[14:15] offset:48
	s_waitcnt lgkmcnt(0)
	s_barrier
	ds_read2st64_b32 v[16:17], v32 offset1:2
	ds_read2st64_b32 v[18:19], v32 offset0:4 offset1:6
	ds_read2st64_b32 v[20:21], v32 offset0:8 offset1:10
	;; [unrolled: 1-line block ×6, first 2 shown]
	v_mov_b32_e32 v1, s3
	v_add_co_u32_e32 v30, vcc, s2, v32
	v_addc_co_u32_e32 v31, vcc, 0, v1, vcc
	s_waitcnt lgkmcnt(6)
	flat_store_dword v[30:31], v16
	flat_store_dword v[30:31], v17 offset:512
	s_waitcnt lgkmcnt(0)
	flat_store_dword v[30:31], v18 offset:1024
	flat_store_dword v[30:31], v19 offset:1536
	;; [unrolled: 1-line block ×6, first 2 shown]
	v_add_co_u32_e32 v16, vcc, 0x1000, v30
	v_addc_co_u32_e32 v17, vcc, 0, v31, vcc
	flat_store_dword v[16:17], v24
	flat_store_dword v[16:17], v25 offset:512
	flat_store_dword v[16:17], v26 offset:1024
	;; [unrolled: 1-line block ×5, first 2 shown]
	s_mov_b64 s[0:1], 0
.LBB6126_73:
	s_andn2_b64 vcc, exec, s[0:1]
	s_cbranch_vccnz .LBB6126_153
; %bb.74:
	s_movk_i32 s0, 0xffcc
	ds_write2_b64 v34, v[2:3], v[4:5] offset1:1
	ds_write2_b64 v34, v[6:7], v[8:9] offset0:2 offset1:3
	ds_write2_b64 v34, v[10:11], v[12:13] offset0:4 offset1:5
	ds_write_b64 v34, v[14:15] offset:48
	v_mad_i32_i24 v14, v0, s0, v34
	s_waitcnt lgkmcnt(0)
	s_barrier
	ds_read2st64_b32 v[4:5], v14 offset1:2
	ds_read2st64_b32 v[6:7], v14 offset0:4 offset1:6
	ds_read2st64_b32 v[8:9], v14 offset0:8 offset1:10
	;; [unrolled: 1-line block ×6, first 2 shown]
	v_mov_b32_e32 v17, s3
	v_add_co_u32_e32 v16, vcc, s2, v32
	v_addc_co_u32_e32 v17, vcc, 0, v17, vcc
	v_mov_b32_e32 v1, 0
	v_cmp_gt_u32_e32 vcc, s7, v0
	s_and_saveexec_b64 s[0:1], vcc
	s_cbranch_execz .LBB6126_76
; %bb.75:
	s_waitcnt lgkmcnt(0)
	flat_store_dword v[16:17], v4
.LBB6126_76:
	s_or_b64 exec, exec, s[0:1]
	v_or_b32_e32 v18, 0x80, v0
	v_cmp_gt_u32_e32 vcc, s7, v18
	s_and_saveexec_b64 s[0:1], vcc
	s_cbranch_execz .LBB6126_78
; %bb.77:
	s_waitcnt lgkmcnt(0)
	flat_store_dword v[16:17], v5 offset:512
.LBB6126_78:
	s_or_b64 exec, exec, s[0:1]
	v_or_b32_e32 v18, 0x100, v0
	v_cmp_gt_u32_e32 vcc, s7, v18
	s_and_saveexec_b64 s[0:1], vcc
	s_cbranch_execz .LBB6126_80
; %bb.79:
	s_waitcnt lgkmcnt(0)
	flat_store_dword v[16:17], v6 offset:1024
.LBB6126_80:
	;; [unrolled: 9-line block ×7, first 2 shown]
	s_or_b64 exec, exec, s[0:1]
	v_or_b32_e32 v18, 0x400, v0
	v_cmp_gt_u32_e32 vcc, s7, v18
	s_and_saveexec_b64 s[0:1], vcc
	s_cbranch_execz .LBB6126_92
; %bb.91:
	v_add_co_u32_e32 v18, vcc, 0x1000, v16
	v_addc_co_u32_e32 v19, vcc, 0, v17, vcc
	s_waitcnt lgkmcnt(0)
	flat_store_dword v[18:19], v12
.LBB6126_92:
	s_or_b64 exec, exec, s[0:1]
	v_or_b32_e32 v18, 0x480, v0
	v_cmp_gt_u32_e32 vcc, s7, v18
	s_and_saveexec_b64 s[0:1], vcc
	s_cbranch_execz .LBB6126_94
; %bb.93:
	v_add_co_u32_e32 v18, vcc, 0x1000, v16
	v_addc_co_u32_e32 v19, vcc, 0, v17, vcc
	s_waitcnt lgkmcnt(0)
	flat_store_dword v[18:19], v13 offset:512
.LBB6126_94:
	s_or_b64 exec, exec, s[0:1]
	v_or_b32_e32 v18, 0x500, v0
	v_cmp_gt_u32_e32 vcc, s7, v18
	s_and_saveexec_b64 s[0:1], vcc
	s_cbranch_execz .LBB6126_96
; %bb.95:
	v_add_co_u32_e32 v18, vcc, 0x1000, v16
	v_addc_co_u32_e32 v19, vcc, 0, v17, vcc
	s_waitcnt lgkmcnt(0)
	flat_store_dword v[18:19], v10 offset:1024
.LBB6126_96:
	;; [unrolled: 11-line block ×5, first 2 shown]
	s_or_b64 exec, exec, s[0:1]
	v_cmp_lt_u64_e64 s[0:1], s[14:15], 2
	s_and_b64 vcc, exec, s[0:1]
	s_cbranch_vccnz .LBB6126_153
; %bb.103:
	s_add_u32 s0, s7, -1
	s_addc_u32 s1, s28, -1
	s_add_u32 s2, 0, 0x49240800
	s_addc_u32 s3, 0, 50
	s_add_i32 s3, s3, 0x12492460
	s_mul_hi_u32 s7, s2, -14
	s_sub_i32 s7, s7, s2
	s_mul_i32 s8, s3, -14
	s_mul_i32 s4, s2, -14
	s_add_i32 s7, s7, s8
	s_mul_hi_u32 s5, s3, s4
	s_mul_i32 s6, s3, s4
	s_mul_i32 s9, s2, s7
	s_mul_hi_u32 s4, s2, s4
	s_mul_hi_u32 s8, s2, s7
	s_add_u32 s4, s4, s9
	s_addc_u32 s8, 0, s8
	s_add_u32 s4, s4, s6
	s_mul_hi_u32 s9, s3, s7
	s_addc_u32 s4, s8, s5
	s_addc_u32 s5, s9, 0
	s_mul_i32 s6, s3, s7
	s_add_u32 s4, s4, s6
	v_mov_b32_e32 v16, s4
	s_addc_u32 s5, 0, s5
	v_add_co_u32_e32 v16, vcc, s2, v16
	s_cmp_lg_u64 vcc, 0
	s_addc_u32 s2, s3, s5
	v_readfirstlane_b32 s5, v16
	s_mul_i32 s4, s0, s2
	s_mul_hi_u32 s6, s0, s5
	s_mul_hi_u32 s3, s0, s2
	s_add_u32 s4, s6, s4
	s_addc_u32 s3, 0, s3
	s_mul_hi_u32 s7, s1, s5
	s_mul_i32 s5, s1, s5
	s_add_u32 s4, s4, s5
	s_mul_hi_u32 s6, s1, s2
	s_addc_u32 s3, s3, s7
	s_addc_u32 s4, s6, 0
	s_mul_i32 s2, s1, s2
	s_add_u32 s2, s3, s2
	s_addc_u32 s3, 0, s4
	s_add_u32 s4, s2, 1
	s_addc_u32 s5, s3, 0
	s_add_u32 s6, s2, 2
	s_mul_i32 s8, s3, 14
	s_mul_hi_u32 s9, s2, 14
	s_addc_u32 s7, s3, 0
	s_add_i32 s9, s9, s8
	s_mul_i32 s8, s2, 14
	v_mov_b32_e32 v16, s8
	v_sub_co_u32_e32 v16, vcc, s0, v16
	s_cmp_lg_u64 vcc, 0
	s_subb_u32 s8, s1, s9
	v_subrev_co_u32_e32 v17, vcc, 14, v16
	s_cmp_lg_u64 vcc, 0
	s_subb_u32 s9, s8, 0
	v_readfirstlane_b32 s12, v17
	s_cmp_gt_u32 s12, 13
	s_cselect_b32 s12, -1, 0
	s_cmp_eq_u32 s9, 0
	s_cselect_b32 s9, s12, -1
	s_cmp_lg_u32 s9, 0
	s_cselect_b32 s4, s6, s4
	v_readfirstlane_b32 s6, v16
	s_cselect_b32 s5, s7, s5
	s_cmp_gt_u32 s6, 13
	s_cselect_b32 s6, -1, 0
	s_cmp_eq_u32 s8, 0
	s_cselect_b32 s6, s6, -1
	s_cmp_lg_u32 s6, 0
	s_cselect_b32 s3, s5, s3
	s_cselect_b32 s2, s4, s2
	v_cmp_eq_u64_e32 vcc, s[2:3], v[0:1]
	s_and_saveexec_b64 s[2:3], vcc
	s_cbranch_execz .LBB6126_153
; %bb.104:
	v_mul_hi_u32_u24_e32 v1, 14, v0
	v_mov_b32_e32 v16, s1
	v_sub_co_u32_e32 v0, vcc, s0, v33
	v_subb_co_u32_e32 v1, vcc, v16, v1, vcc
	v_cmp_lt_i64_e32 vcc, 6, v[0:1]
	s_and_saveexec_b64 s[0:1], vcc
	s_xor_b64 s[0:1], exec, s[0:1]
	s_cbranch_execz .LBB6126_130
; %bb.105:
	v_cmp_lt_i64_e32 vcc, 9, v[0:1]
	s_and_saveexec_b64 s[2:3], vcc
	s_xor_b64 s[2:3], exec, s[2:3]
	s_cbranch_execz .LBB6126_119
; %bb.106:
	;; [unrolled: 5-line block ×4, first 2 shown]
	v_mov_b32_e32 v0, 0
	s_waitcnt lgkmcnt(0)
	global_store_dword v0, v15, s[10:11]
                                        ; implicit-def: $vgpr14_vgpr15
.LBB6126_109:
	s_andn2_saveexec_b64 s[6:7], s[6:7]
	s_cbranch_execz .LBB6126_111
; %bb.110:
	v_mov_b32_e32 v0, 0
	s_waitcnt lgkmcnt(0)
	global_store_dword v0, v14, s[10:11]
.LBB6126_111:
	s_or_b64 exec, exec, s[6:7]
                                        ; implicit-def: $vgpr10_vgpr11
                                        ; implicit-def: $vgpr0_vgpr1
.LBB6126_112:
	s_andn2_saveexec_b64 s[4:5], s[4:5]
	s_cbranch_execz .LBB6126_118
; %bb.113:
	v_cmp_lt_i64_e32 vcc, 10, v[0:1]
	s_and_saveexec_b64 s[6:7], vcc
	s_xor_b64 s[6:7], exec, s[6:7]
	s_cbranch_execz .LBB6126_115
; %bb.114:
	v_mov_b32_e32 v0, 0
	s_waitcnt lgkmcnt(0)
	global_store_dword v0, v11, s[10:11]
                                        ; implicit-def: $vgpr10_vgpr11
.LBB6126_115:
	s_andn2_saveexec_b64 s[6:7], s[6:7]
	s_cbranch_execz .LBB6126_117
; %bb.116:
	v_mov_b32_e32 v0, 0
	s_waitcnt lgkmcnt(0)
	global_store_dword v0, v10, s[10:11]
.LBB6126_117:
	s_or_b64 exec, exec, s[6:7]
.LBB6126_118:
	s_or_b64 exec, exec, s[4:5]
                                        ; implicit-def: $vgpr2_vgpr3
                                        ; implicit-def: $vgpr0_vgpr1
                                        ; implicit-def: $vgpr12_vgpr13
.LBB6126_119:
	s_andn2_saveexec_b64 s[2:3], s[2:3]
	s_cbranch_execz .LBB6126_129
; %bb.120:
	v_cmp_lt_i64_e32 vcc, 7, v[0:1]
	s_and_saveexec_b64 s[4:5], vcc
	s_xor_b64 s[4:5], exec, s[4:5]
	s_cbranch_execz .LBB6126_126
; %bb.121:
	v_cmp_lt_i64_e32 vcc, 8, v[0:1]
	s_and_saveexec_b64 s[6:7], vcc
	s_xor_b64 s[6:7], exec, s[6:7]
	s_cbranch_execz .LBB6126_123
; %bb.122:
	v_mov_b32_e32 v0, 0
	s_waitcnt lgkmcnt(0)
	global_store_dword v0, v13, s[10:11]
                                        ; implicit-def: $vgpr12_vgpr13
.LBB6126_123:
	s_andn2_saveexec_b64 s[6:7], s[6:7]
	s_cbranch_execz .LBB6126_125
; %bb.124:
	v_mov_b32_e32 v0, 0
	s_waitcnt lgkmcnt(0)
	global_store_dword v0, v12, s[10:11]
.LBB6126_125:
	s_or_b64 exec, exec, s[6:7]
                                        ; implicit-def: $vgpr2_vgpr3
.LBB6126_126:
	s_andn2_saveexec_b64 s[4:5], s[4:5]
	s_cbranch_execz .LBB6126_128
; %bb.127:
	v_mov_b32_e32 v0, 0
	s_waitcnt lgkmcnt(0)
	global_store_dword v0, v3, s[10:11]
.LBB6126_128:
	s_or_b64 exec, exec, s[4:5]
.LBB6126_129:
	s_or_b64 exec, exec, s[2:3]
                                        ; implicit-def: $vgpr0_vgpr1
                                        ; implicit-def: $vgpr8_vgpr9
                                        ; implicit-def: $vgpr4_vgpr5
                                        ; implicit-def: $vgpr6_vgpr7
                                        ; implicit-def: $vgpr2_vgpr3
.LBB6126_130:
	s_andn2_saveexec_b64 s[0:1], s[0:1]
	s_cbranch_execz .LBB6126_153
; %bb.131:
	v_cmp_lt_i64_e32 vcc, 3, v[0:1]
	s_and_saveexec_b64 s[0:1], vcc
	s_xor_b64 s[0:1], exec, s[0:1]
	s_cbranch_execz .LBB6126_141
; %bb.132:
	v_cmp_lt_i64_e32 vcc, 4, v[0:1]
	s_and_saveexec_b64 s[2:3], vcc
	s_xor_b64 s[2:3], exec, s[2:3]
	;; [unrolled: 5-line block ×3, first 2 shown]
	s_cbranch_execz .LBB6126_135
; %bb.134:
	v_mov_b32_e32 v0, 0
	s_waitcnt lgkmcnt(0)
	global_store_dword v0, v2, s[10:11]
                                        ; implicit-def: $vgpr8_vgpr9
.LBB6126_135:
	s_andn2_saveexec_b64 s[4:5], s[4:5]
	s_cbranch_execz .LBB6126_137
; %bb.136:
	v_mov_b32_e32 v0, 0
	s_waitcnt lgkmcnt(0)
	global_store_dword v0, v9, s[10:11]
.LBB6126_137:
	s_or_b64 exec, exec, s[4:5]
                                        ; implicit-def: $vgpr8_vgpr9
.LBB6126_138:
	s_andn2_saveexec_b64 s[2:3], s[2:3]
	s_cbranch_execz .LBB6126_140
; %bb.139:
	v_mov_b32_e32 v0, 0
	s_waitcnt lgkmcnt(0)
	global_store_dword v0, v8, s[10:11]
.LBB6126_140:
	s_or_b64 exec, exec, s[2:3]
                                        ; implicit-def: $vgpr0_vgpr1
                                        ; implicit-def: $vgpr4_vgpr5
                                        ; implicit-def: $vgpr6_vgpr7
.LBB6126_141:
	s_andn2_saveexec_b64 s[0:1], s[0:1]
	s_cbranch_execz .LBB6126_153
; %bb.142:
	v_cmp_lt_i64_e32 vcc, 1, v[0:1]
	s_and_saveexec_b64 s[0:1], vcc
	s_xor_b64 s[0:1], exec, s[0:1]
	s_cbranch_execz .LBB6126_148
; %bb.143:
	v_cmp_lt_i64_e32 vcc, 2, v[0:1]
	s_and_saveexec_b64 s[2:3], vcc
	s_xor_b64 s[2:3], exec, s[2:3]
	s_cbranch_execz .LBB6126_145
; %bb.144:
	v_mov_b32_e32 v0, 0
	s_waitcnt lgkmcnt(0)
	global_store_dword v0, v7, s[10:11]
                                        ; implicit-def: $vgpr6_vgpr7
.LBB6126_145:
	s_andn2_saveexec_b64 s[2:3], s[2:3]
	s_cbranch_execz .LBB6126_147
; %bb.146:
	v_mov_b32_e32 v0, 0
	s_waitcnt lgkmcnt(0)
	global_store_dword v0, v6, s[10:11]
.LBB6126_147:
	s_or_b64 exec, exec, s[2:3]
                                        ; implicit-def: $vgpr4_vgpr5
                                        ; implicit-def: $vgpr0_vgpr1
.LBB6126_148:
	s_andn2_saveexec_b64 s[0:1], s[0:1]
	s_cbranch_execz .LBB6126_153
; %bb.149:
	v_cmp_ne_u64_e32 vcc, 1, v[0:1]
	s_and_saveexec_b64 s[0:1], vcc
	s_xor_b64 s[0:1], exec, s[0:1]
	s_cbranch_execz .LBB6126_151
; %bb.150:
	v_mov_b32_e32 v0, 0
	s_waitcnt lgkmcnt(0)
	global_store_dword v0, v4, s[10:11]
                                        ; implicit-def: $vgpr4_vgpr5
.LBB6126_151:
	s_andn2_saveexec_b64 s[0:1], s[0:1]
	s_cbranch_execz .LBB6126_153
; %bb.152:
	v_mov_b32_e32 v0, 0
	s_waitcnt lgkmcnt(0)
	global_store_dword v0, v5, s[10:11]
.LBB6126_153:
	s_endpgm
	.section	.rodata,"a",@progbits
	.p2align	6, 0x0
	.amdhsa_kernel _ZN7rocprim17ROCPRIM_400000_NS6detail17trampoline_kernelINS0_14default_configENS1_20scan_config_selectorIfEEZZNS1_9scan_implILNS1_25lookback_scan_determinismE0ELb1ELb1ES3_N6thrust23THRUST_200600_302600_NS6detail15normal_iteratorINS9_10device_ptrIjEEEENSB_INSC_IfEEEEfNS9_4plusIvEEfEEDaPvRmT3_T4_T5_mT6_P12ihipStream_tbENKUlT_T0_E_clISt17integral_constantIbLb1EESV_IbLb0EEEEDaSR_SS_EUlSR_E_NS1_11comp_targetILNS1_3genE4ELNS1_11target_archE910ELNS1_3gpuE8ELNS1_3repE0EEENS1_30default_config_static_selectorELNS0_4arch9wavefront6targetE1EEEvT1_
		.amdhsa_group_segment_fixed_size 7168
		.amdhsa_private_segment_fixed_size 0
		.amdhsa_kernarg_size 96
		.amdhsa_user_sgpr_count 6
		.amdhsa_user_sgpr_private_segment_buffer 1
		.amdhsa_user_sgpr_dispatch_ptr 0
		.amdhsa_user_sgpr_queue_ptr 0
		.amdhsa_user_sgpr_kernarg_segment_ptr 1
		.amdhsa_user_sgpr_dispatch_id 0
		.amdhsa_user_sgpr_flat_scratch_init 0
		.amdhsa_user_sgpr_kernarg_preload_length 0
		.amdhsa_user_sgpr_kernarg_preload_offset 0
		.amdhsa_user_sgpr_private_segment_size 0
		.amdhsa_uses_dynamic_stack 0
		.amdhsa_system_sgpr_private_segment_wavefront_offset 0
		.amdhsa_system_sgpr_workgroup_id_x 1
		.amdhsa_system_sgpr_workgroup_id_y 0
		.amdhsa_system_sgpr_workgroup_id_z 0
		.amdhsa_system_sgpr_workgroup_info 0
		.amdhsa_system_vgpr_workitem_id 0
		.amdhsa_next_free_vgpr 49
		.amdhsa_next_free_sgpr 31
		.amdhsa_accum_offset 52
		.amdhsa_reserve_vcc 1
		.amdhsa_reserve_flat_scratch 0
		.amdhsa_float_round_mode_32 0
		.amdhsa_float_round_mode_16_64 0
		.amdhsa_float_denorm_mode_32 3
		.amdhsa_float_denorm_mode_16_64 3
		.amdhsa_dx10_clamp 1
		.amdhsa_ieee_mode 1
		.amdhsa_fp16_overflow 0
		.amdhsa_tg_split 0
		.amdhsa_exception_fp_ieee_invalid_op 0
		.amdhsa_exception_fp_denorm_src 0
		.amdhsa_exception_fp_ieee_div_zero 0
		.amdhsa_exception_fp_ieee_overflow 0
		.amdhsa_exception_fp_ieee_underflow 0
		.amdhsa_exception_fp_ieee_inexact 0
		.amdhsa_exception_int_div_zero 0
	.end_amdhsa_kernel
	.section	.text._ZN7rocprim17ROCPRIM_400000_NS6detail17trampoline_kernelINS0_14default_configENS1_20scan_config_selectorIfEEZZNS1_9scan_implILNS1_25lookback_scan_determinismE0ELb1ELb1ES3_N6thrust23THRUST_200600_302600_NS6detail15normal_iteratorINS9_10device_ptrIjEEEENSB_INSC_IfEEEEfNS9_4plusIvEEfEEDaPvRmT3_T4_T5_mT6_P12ihipStream_tbENKUlT_T0_E_clISt17integral_constantIbLb1EESV_IbLb0EEEEDaSR_SS_EUlSR_E_NS1_11comp_targetILNS1_3genE4ELNS1_11target_archE910ELNS1_3gpuE8ELNS1_3repE0EEENS1_30default_config_static_selectorELNS0_4arch9wavefront6targetE1EEEvT1_,"axG",@progbits,_ZN7rocprim17ROCPRIM_400000_NS6detail17trampoline_kernelINS0_14default_configENS1_20scan_config_selectorIfEEZZNS1_9scan_implILNS1_25lookback_scan_determinismE0ELb1ELb1ES3_N6thrust23THRUST_200600_302600_NS6detail15normal_iteratorINS9_10device_ptrIjEEEENSB_INSC_IfEEEEfNS9_4plusIvEEfEEDaPvRmT3_T4_T5_mT6_P12ihipStream_tbENKUlT_T0_E_clISt17integral_constantIbLb1EESV_IbLb0EEEEDaSR_SS_EUlSR_E_NS1_11comp_targetILNS1_3genE4ELNS1_11target_archE910ELNS1_3gpuE8ELNS1_3repE0EEENS1_30default_config_static_selectorELNS0_4arch9wavefront6targetE1EEEvT1_,comdat
.Lfunc_end6126:
	.size	_ZN7rocprim17ROCPRIM_400000_NS6detail17trampoline_kernelINS0_14default_configENS1_20scan_config_selectorIfEEZZNS1_9scan_implILNS1_25lookback_scan_determinismE0ELb1ELb1ES3_N6thrust23THRUST_200600_302600_NS6detail15normal_iteratorINS9_10device_ptrIjEEEENSB_INSC_IfEEEEfNS9_4plusIvEEfEEDaPvRmT3_T4_T5_mT6_P12ihipStream_tbENKUlT_T0_E_clISt17integral_constantIbLb1EESV_IbLb0EEEEDaSR_SS_EUlSR_E_NS1_11comp_targetILNS1_3genE4ELNS1_11target_archE910ELNS1_3gpuE8ELNS1_3repE0EEENS1_30default_config_static_selectorELNS0_4arch9wavefront6targetE1EEEvT1_, .Lfunc_end6126-_ZN7rocprim17ROCPRIM_400000_NS6detail17trampoline_kernelINS0_14default_configENS1_20scan_config_selectorIfEEZZNS1_9scan_implILNS1_25lookback_scan_determinismE0ELb1ELb1ES3_N6thrust23THRUST_200600_302600_NS6detail15normal_iteratorINS9_10device_ptrIjEEEENSB_INSC_IfEEEEfNS9_4plusIvEEfEEDaPvRmT3_T4_T5_mT6_P12ihipStream_tbENKUlT_T0_E_clISt17integral_constantIbLb1EESV_IbLb0EEEEDaSR_SS_EUlSR_E_NS1_11comp_targetILNS1_3genE4ELNS1_11target_archE910ELNS1_3gpuE8ELNS1_3repE0EEENS1_30default_config_static_selectorELNS0_4arch9wavefront6targetE1EEEvT1_
                                        ; -- End function
	.section	.AMDGPU.csdata,"",@progbits
; Kernel info:
; codeLenInByte = 5844
; NumSgprs: 35
; NumVgprs: 49
; NumAgprs: 0
; TotalNumVgprs: 49
; ScratchSize: 0
; MemoryBound: 0
; FloatMode: 240
; IeeeMode: 1
; LDSByteSize: 7168 bytes/workgroup (compile time only)
; SGPRBlocks: 4
; VGPRBlocks: 6
; NumSGPRsForWavesPerEU: 35
; NumVGPRsForWavesPerEU: 49
; AccumOffset: 52
; Occupancy: 5
; WaveLimiterHint : 1
; COMPUTE_PGM_RSRC2:SCRATCH_EN: 0
; COMPUTE_PGM_RSRC2:USER_SGPR: 6
; COMPUTE_PGM_RSRC2:TRAP_HANDLER: 0
; COMPUTE_PGM_RSRC2:TGID_X_EN: 1
; COMPUTE_PGM_RSRC2:TGID_Y_EN: 0
; COMPUTE_PGM_RSRC2:TGID_Z_EN: 0
; COMPUTE_PGM_RSRC2:TIDIG_COMP_CNT: 0
; COMPUTE_PGM_RSRC3_GFX90A:ACCUM_OFFSET: 12
; COMPUTE_PGM_RSRC3_GFX90A:TG_SPLIT: 0
	.section	.text._ZN7rocprim17ROCPRIM_400000_NS6detail17trampoline_kernelINS0_14default_configENS1_20scan_config_selectorIfEEZZNS1_9scan_implILNS1_25lookback_scan_determinismE0ELb1ELb1ES3_N6thrust23THRUST_200600_302600_NS6detail15normal_iteratorINS9_10device_ptrIjEEEENSB_INSC_IfEEEEfNS9_4plusIvEEfEEDaPvRmT3_T4_T5_mT6_P12ihipStream_tbENKUlT_T0_E_clISt17integral_constantIbLb1EESV_IbLb0EEEEDaSR_SS_EUlSR_E_NS1_11comp_targetILNS1_3genE3ELNS1_11target_archE908ELNS1_3gpuE7ELNS1_3repE0EEENS1_30default_config_static_selectorELNS0_4arch9wavefront6targetE1EEEvT1_,"axG",@progbits,_ZN7rocprim17ROCPRIM_400000_NS6detail17trampoline_kernelINS0_14default_configENS1_20scan_config_selectorIfEEZZNS1_9scan_implILNS1_25lookback_scan_determinismE0ELb1ELb1ES3_N6thrust23THRUST_200600_302600_NS6detail15normal_iteratorINS9_10device_ptrIjEEEENSB_INSC_IfEEEEfNS9_4plusIvEEfEEDaPvRmT3_T4_T5_mT6_P12ihipStream_tbENKUlT_T0_E_clISt17integral_constantIbLb1EESV_IbLb0EEEEDaSR_SS_EUlSR_E_NS1_11comp_targetILNS1_3genE3ELNS1_11target_archE908ELNS1_3gpuE7ELNS1_3repE0EEENS1_30default_config_static_selectorELNS0_4arch9wavefront6targetE1EEEvT1_,comdat
	.protected	_ZN7rocprim17ROCPRIM_400000_NS6detail17trampoline_kernelINS0_14default_configENS1_20scan_config_selectorIfEEZZNS1_9scan_implILNS1_25lookback_scan_determinismE0ELb1ELb1ES3_N6thrust23THRUST_200600_302600_NS6detail15normal_iteratorINS9_10device_ptrIjEEEENSB_INSC_IfEEEEfNS9_4plusIvEEfEEDaPvRmT3_T4_T5_mT6_P12ihipStream_tbENKUlT_T0_E_clISt17integral_constantIbLb1EESV_IbLb0EEEEDaSR_SS_EUlSR_E_NS1_11comp_targetILNS1_3genE3ELNS1_11target_archE908ELNS1_3gpuE7ELNS1_3repE0EEENS1_30default_config_static_selectorELNS0_4arch9wavefront6targetE1EEEvT1_ ; -- Begin function _ZN7rocprim17ROCPRIM_400000_NS6detail17trampoline_kernelINS0_14default_configENS1_20scan_config_selectorIfEEZZNS1_9scan_implILNS1_25lookback_scan_determinismE0ELb1ELb1ES3_N6thrust23THRUST_200600_302600_NS6detail15normal_iteratorINS9_10device_ptrIjEEEENSB_INSC_IfEEEEfNS9_4plusIvEEfEEDaPvRmT3_T4_T5_mT6_P12ihipStream_tbENKUlT_T0_E_clISt17integral_constantIbLb1EESV_IbLb0EEEEDaSR_SS_EUlSR_E_NS1_11comp_targetILNS1_3genE3ELNS1_11target_archE908ELNS1_3gpuE7ELNS1_3repE0EEENS1_30default_config_static_selectorELNS0_4arch9wavefront6targetE1EEEvT1_
	.globl	_ZN7rocprim17ROCPRIM_400000_NS6detail17trampoline_kernelINS0_14default_configENS1_20scan_config_selectorIfEEZZNS1_9scan_implILNS1_25lookback_scan_determinismE0ELb1ELb1ES3_N6thrust23THRUST_200600_302600_NS6detail15normal_iteratorINS9_10device_ptrIjEEEENSB_INSC_IfEEEEfNS9_4plusIvEEfEEDaPvRmT3_T4_T5_mT6_P12ihipStream_tbENKUlT_T0_E_clISt17integral_constantIbLb1EESV_IbLb0EEEEDaSR_SS_EUlSR_E_NS1_11comp_targetILNS1_3genE3ELNS1_11target_archE908ELNS1_3gpuE7ELNS1_3repE0EEENS1_30default_config_static_selectorELNS0_4arch9wavefront6targetE1EEEvT1_
	.p2align	8
	.type	_ZN7rocprim17ROCPRIM_400000_NS6detail17trampoline_kernelINS0_14default_configENS1_20scan_config_selectorIfEEZZNS1_9scan_implILNS1_25lookback_scan_determinismE0ELb1ELb1ES3_N6thrust23THRUST_200600_302600_NS6detail15normal_iteratorINS9_10device_ptrIjEEEENSB_INSC_IfEEEEfNS9_4plusIvEEfEEDaPvRmT3_T4_T5_mT6_P12ihipStream_tbENKUlT_T0_E_clISt17integral_constantIbLb1EESV_IbLb0EEEEDaSR_SS_EUlSR_E_NS1_11comp_targetILNS1_3genE3ELNS1_11target_archE908ELNS1_3gpuE7ELNS1_3repE0EEENS1_30default_config_static_selectorELNS0_4arch9wavefront6targetE1EEEvT1_,@function
_ZN7rocprim17ROCPRIM_400000_NS6detail17trampoline_kernelINS0_14default_configENS1_20scan_config_selectorIfEEZZNS1_9scan_implILNS1_25lookback_scan_determinismE0ELb1ELb1ES3_N6thrust23THRUST_200600_302600_NS6detail15normal_iteratorINS9_10device_ptrIjEEEENSB_INSC_IfEEEEfNS9_4plusIvEEfEEDaPvRmT3_T4_T5_mT6_P12ihipStream_tbENKUlT_T0_E_clISt17integral_constantIbLb1EESV_IbLb0EEEEDaSR_SS_EUlSR_E_NS1_11comp_targetILNS1_3genE3ELNS1_11target_archE908ELNS1_3gpuE7ELNS1_3repE0EEENS1_30default_config_static_selectorELNS0_4arch9wavefront6targetE1EEEvT1_: ; @_ZN7rocprim17ROCPRIM_400000_NS6detail17trampoline_kernelINS0_14default_configENS1_20scan_config_selectorIfEEZZNS1_9scan_implILNS1_25lookback_scan_determinismE0ELb1ELb1ES3_N6thrust23THRUST_200600_302600_NS6detail15normal_iteratorINS9_10device_ptrIjEEEENSB_INSC_IfEEEEfNS9_4plusIvEEfEEDaPvRmT3_T4_T5_mT6_P12ihipStream_tbENKUlT_T0_E_clISt17integral_constantIbLb1EESV_IbLb0EEEEDaSR_SS_EUlSR_E_NS1_11comp_targetILNS1_3genE3ELNS1_11target_archE908ELNS1_3gpuE7ELNS1_3repE0EEENS1_30default_config_static_selectorELNS0_4arch9wavefront6targetE1EEEvT1_
; %bb.0:
	.section	.rodata,"a",@progbits
	.p2align	6, 0x0
	.amdhsa_kernel _ZN7rocprim17ROCPRIM_400000_NS6detail17trampoline_kernelINS0_14default_configENS1_20scan_config_selectorIfEEZZNS1_9scan_implILNS1_25lookback_scan_determinismE0ELb1ELb1ES3_N6thrust23THRUST_200600_302600_NS6detail15normal_iteratorINS9_10device_ptrIjEEEENSB_INSC_IfEEEEfNS9_4plusIvEEfEEDaPvRmT3_T4_T5_mT6_P12ihipStream_tbENKUlT_T0_E_clISt17integral_constantIbLb1EESV_IbLb0EEEEDaSR_SS_EUlSR_E_NS1_11comp_targetILNS1_3genE3ELNS1_11target_archE908ELNS1_3gpuE7ELNS1_3repE0EEENS1_30default_config_static_selectorELNS0_4arch9wavefront6targetE1EEEvT1_
		.amdhsa_group_segment_fixed_size 0
		.amdhsa_private_segment_fixed_size 0
		.amdhsa_kernarg_size 96
		.amdhsa_user_sgpr_count 6
		.amdhsa_user_sgpr_private_segment_buffer 1
		.amdhsa_user_sgpr_dispatch_ptr 0
		.amdhsa_user_sgpr_queue_ptr 0
		.amdhsa_user_sgpr_kernarg_segment_ptr 1
		.amdhsa_user_sgpr_dispatch_id 0
		.amdhsa_user_sgpr_flat_scratch_init 0
		.amdhsa_user_sgpr_kernarg_preload_length 0
		.amdhsa_user_sgpr_kernarg_preload_offset 0
		.amdhsa_user_sgpr_private_segment_size 0
		.amdhsa_uses_dynamic_stack 0
		.amdhsa_system_sgpr_private_segment_wavefront_offset 0
		.amdhsa_system_sgpr_workgroup_id_x 1
		.amdhsa_system_sgpr_workgroup_id_y 0
		.amdhsa_system_sgpr_workgroup_id_z 0
		.amdhsa_system_sgpr_workgroup_info 0
		.amdhsa_system_vgpr_workitem_id 0
		.amdhsa_next_free_vgpr 1
		.amdhsa_next_free_sgpr 0
		.amdhsa_accum_offset 4
		.amdhsa_reserve_vcc 0
		.amdhsa_reserve_flat_scratch 0
		.amdhsa_float_round_mode_32 0
		.amdhsa_float_round_mode_16_64 0
		.amdhsa_float_denorm_mode_32 3
		.amdhsa_float_denorm_mode_16_64 3
		.amdhsa_dx10_clamp 1
		.amdhsa_ieee_mode 1
		.amdhsa_fp16_overflow 0
		.amdhsa_tg_split 0
		.amdhsa_exception_fp_ieee_invalid_op 0
		.amdhsa_exception_fp_denorm_src 0
		.amdhsa_exception_fp_ieee_div_zero 0
		.amdhsa_exception_fp_ieee_overflow 0
		.amdhsa_exception_fp_ieee_underflow 0
		.amdhsa_exception_fp_ieee_inexact 0
		.amdhsa_exception_int_div_zero 0
	.end_amdhsa_kernel
	.section	.text._ZN7rocprim17ROCPRIM_400000_NS6detail17trampoline_kernelINS0_14default_configENS1_20scan_config_selectorIfEEZZNS1_9scan_implILNS1_25lookback_scan_determinismE0ELb1ELb1ES3_N6thrust23THRUST_200600_302600_NS6detail15normal_iteratorINS9_10device_ptrIjEEEENSB_INSC_IfEEEEfNS9_4plusIvEEfEEDaPvRmT3_T4_T5_mT6_P12ihipStream_tbENKUlT_T0_E_clISt17integral_constantIbLb1EESV_IbLb0EEEEDaSR_SS_EUlSR_E_NS1_11comp_targetILNS1_3genE3ELNS1_11target_archE908ELNS1_3gpuE7ELNS1_3repE0EEENS1_30default_config_static_selectorELNS0_4arch9wavefront6targetE1EEEvT1_,"axG",@progbits,_ZN7rocprim17ROCPRIM_400000_NS6detail17trampoline_kernelINS0_14default_configENS1_20scan_config_selectorIfEEZZNS1_9scan_implILNS1_25lookback_scan_determinismE0ELb1ELb1ES3_N6thrust23THRUST_200600_302600_NS6detail15normal_iteratorINS9_10device_ptrIjEEEENSB_INSC_IfEEEEfNS9_4plusIvEEfEEDaPvRmT3_T4_T5_mT6_P12ihipStream_tbENKUlT_T0_E_clISt17integral_constantIbLb1EESV_IbLb0EEEEDaSR_SS_EUlSR_E_NS1_11comp_targetILNS1_3genE3ELNS1_11target_archE908ELNS1_3gpuE7ELNS1_3repE0EEENS1_30default_config_static_selectorELNS0_4arch9wavefront6targetE1EEEvT1_,comdat
.Lfunc_end6127:
	.size	_ZN7rocprim17ROCPRIM_400000_NS6detail17trampoline_kernelINS0_14default_configENS1_20scan_config_selectorIfEEZZNS1_9scan_implILNS1_25lookback_scan_determinismE0ELb1ELb1ES3_N6thrust23THRUST_200600_302600_NS6detail15normal_iteratorINS9_10device_ptrIjEEEENSB_INSC_IfEEEEfNS9_4plusIvEEfEEDaPvRmT3_T4_T5_mT6_P12ihipStream_tbENKUlT_T0_E_clISt17integral_constantIbLb1EESV_IbLb0EEEEDaSR_SS_EUlSR_E_NS1_11comp_targetILNS1_3genE3ELNS1_11target_archE908ELNS1_3gpuE7ELNS1_3repE0EEENS1_30default_config_static_selectorELNS0_4arch9wavefront6targetE1EEEvT1_, .Lfunc_end6127-_ZN7rocprim17ROCPRIM_400000_NS6detail17trampoline_kernelINS0_14default_configENS1_20scan_config_selectorIfEEZZNS1_9scan_implILNS1_25lookback_scan_determinismE0ELb1ELb1ES3_N6thrust23THRUST_200600_302600_NS6detail15normal_iteratorINS9_10device_ptrIjEEEENSB_INSC_IfEEEEfNS9_4plusIvEEfEEDaPvRmT3_T4_T5_mT6_P12ihipStream_tbENKUlT_T0_E_clISt17integral_constantIbLb1EESV_IbLb0EEEEDaSR_SS_EUlSR_E_NS1_11comp_targetILNS1_3genE3ELNS1_11target_archE908ELNS1_3gpuE7ELNS1_3repE0EEENS1_30default_config_static_selectorELNS0_4arch9wavefront6targetE1EEEvT1_
                                        ; -- End function
	.section	.AMDGPU.csdata,"",@progbits
; Kernel info:
; codeLenInByte = 0
; NumSgprs: 4
; NumVgprs: 0
; NumAgprs: 0
; TotalNumVgprs: 0
; ScratchSize: 0
; MemoryBound: 0
; FloatMode: 240
; IeeeMode: 1
; LDSByteSize: 0 bytes/workgroup (compile time only)
; SGPRBlocks: 0
; VGPRBlocks: 0
; NumSGPRsForWavesPerEU: 4
; NumVGPRsForWavesPerEU: 1
; AccumOffset: 4
; Occupancy: 8
; WaveLimiterHint : 0
; COMPUTE_PGM_RSRC2:SCRATCH_EN: 0
; COMPUTE_PGM_RSRC2:USER_SGPR: 6
; COMPUTE_PGM_RSRC2:TRAP_HANDLER: 0
; COMPUTE_PGM_RSRC2:TGID_X_EN: 1
; COMPUTE_PGM_RSRC2:TGID_Y_EN: 0
; COMPUTE_PGM_RSRC2:TGID_Z_EN: 0
; COMPUTE_PGM_RSRC2:TIDIG_COMP_CNT: 0
; COMPUTE_PGM_RSRC3_GFX90A:ACCUM_OFFSET: 0
; COMPUTE_PGM_RSRC3_GFX90A:TG_SPLIT: 0
	.section	.text._ZN7rocprim17ROCPRIM_400000_NS6detail17trampoline_kernelINS0_14default_configENS1_20scan_config_selectorIfEEZZNS1_9scan_implILNS1_25lookback_scan_determinismE0ELb1ELb1ES3_N6thrust23THRUST_200600_302600_NS6detail15normal_iteratorINS9_10device_ptrIjEEEENSB_INSC_IfEEEEfNS9_4plusIvEEfEEDaPvRmT3_T4_T5_mT6_P12ihipStream_tbENKUlT_T0_E_clISt17integral_constantIbLb1EESV_IbLb0EEEEDaSR_SS_EUlSR_E_NS1_11comp_targetILNS1_3genE2ELNS1_11target_archE906ELNS1_3gpuE6ELNS1_3repE0EEENS1_30default_config_static_selectorELNS0_4arch9wavefront6targetE1EEEvT1_,"axG",@progbits,_ZN7rocprim17ROCPRIM_400000_NS6detail17trampoline_kernelINS0_14default_configENS1_20scan_config_selectorIfEEZZNS1_9scan_implILNS1_25lookback_scan_determinismE0ELb1ELb1ES3_N6thrust23THRUST_200600_302600_NS6detail15normal_iteratorINS9_10device_ptrIjEEEENSB_INSC_IfEEEEfNS9_4plusIvEEfEEDaPvRmT3_T4_T5_mT6_P12ihipStream_tbENKUlT_T0_E_clISt17integral_constantIbLb1EESV_IbLb0EEEEDaSR_SS_EUlSR_E_NS1_11comp_targetILNS1_3genE2ELNS1_11target_archE906ELNS1_3gpuE6ELNS1_3repE0EEENS1_30default_config_static_selectorELNS0_4arch9wavefront6targetE1EEEvT1_,comdat
	.protected	_ZN7rocprim17ROCPRIM_400000_NS6detail17trampoline_kernelINS0_14default_configENS1_20scan_config_selectorIfEEZZNS1_9scan_implILNS1_25lookback_scan_determinismE0ELb1ELb1ES3_N6thrust23THRUST_200600_302600_NS6detail15normal_iteratorINS9_10device_ptrIjEEEENSB_INSC_IfEEEEfNS9_4plusIvEEfEEDaPvRmT3_T4_T5_mT6_P12ihipStream_tbENKUlT_T0_E_clISt17integral_constantIbLb1EESV_IbLb0EEEEDaSR_SS_EUlSR_E_NS1_11comp_targetILNS1_3genE2ELNS1_11target_archE906ELNS1_3gpuE6ELNS1_3repE0EEENS1_30default_config_static_selectorELNS0_4arch9wavefront6targetE1EEEvT1_ ; -- Begin function _ZN7rocprim17ROCPRIM_400000_NS6detail17trampoline_kernelINS0_14default_configENS1_20scan_config_selectorIfEEZZNS1_9scan_implILNS1_25lookback_scan_determinismE0ELb1ELb1ES3_N6thrust23THRUST_200600_302600_NS6detail15normal_iteratorINS9_10device_ptrIjEEEENSB_INSC_IfEEEEfNS9_4plusIvEEfEEDaPvRmT3_T4_T5_mT6_P12ihipStream_tbENKUlT_T0_E_clISt17integral_constantIbLb1EESV_IbLb0EEEEDaSR_SS_EUlSR_E_NS1_11comp_targetILNS1_3genE2ELNS1_11target_archE906ELNS1_3gpuE6ELNS1_3repE0EEENS1_30default_config_static_selectorELNS0_4arch9wavefront6targetE1EEEvT1_
	.globl	_ZN7rocprim17ROCPRIM_400000_NS6detail17trampoline_kernelINS0_14default_configENS1_20scan_config_selectorIfEEZZNS1_9scan_implILNS1_25lookback_scan_determinismE0ELb1ELb1ES3_N6thrust23THRUST_200600_302600_NS6detail15normal_iteratorINS9_10device_ptrIjEEEENSB_INSC_IfEEEEfNS9_4plusIvEEfEEDaPvRmT3_T4_T5_mT6_P12ihipStream_tbENKUlT_T0_E_clISt17integral_constantIbLb1EESV_IbLb0EEEEDaSR_SS_EUlSR_E_NS1_11comp_targetILNS1_3genE2ELNS1_11target_archE906ELNS1_3gpuE6ELNS1_3repE0EEENS1_30default_config_static_selectorELNS0_4arch9wavefront6targetE1EEEvT1_
	.p2align	8
	.type	_ZN7rocprim17ROCPRIM_400000_NS6detail17trampoline_kernelINS0_14default_configENS1_20scan_config_selectorIfEEZZNS1_9scan_implILNS1_25lookback_scan_determinismE0ELb1ELb1ES3_N6thrust23THRUST_200600_302600_NS6detail15normal_iteratorINS9_10device_ptrIjEEEENSB_INSC_IfEEEEfNS9_4plusIvEEfEEDaPvRmT3_T4_T5_mT6_P12ihipStream_tbENKUlT_T0_E_clISt17integral_constantIbLb1EESV_IbLb0EEEEDaSR_SS_EUlSR_E_NS1_11comp_targetILNS1_3genE2ELNS1_11target_archE906ELNS1_3gpuE6ELNS1_3repE0EEENS1_30default_config_static_selectorELNS0_4arch9wavefront6targetE1EEEvT1_,@function
_ZN7rocprim17ROCPRIM_400000_NS6detail17trampoline_kernelINS0_14default_configENS1_20scan_config_selectorIfEEZZNS1_9scan_implILNS1_25lookback_scan_determinismE0ELb1ELb1ES3_N6thrust23THRUST_200600_302600_NS6detail15normal_iteratorINS9_10device_ptrIjEEEENSB_INSC_IfEEEEfNS9_4plusIvEEfEEDaPvRmT3_T4_T5_mT6_P12ihipStream_tbENKUlT_T0_E_clISt17integral_constantIbLb1EESV_IbLb0EEEEDaSR_SS_EUlSR_E_NS1_11comp_targetILNS1_3genE2ELNS1_11target_archE906ELNS1_3gpuE6ELNS1_3repE0EEENS1_30default_config_static_selectorELNS0_4arch9wavefront6targetE1EEEvT1_: ; @_ZN7rocprim17ROCPRIM_400000_NS6detail17trampoline_kernelINS0_14default_configENS1_20scan_config_selectorIfEEZZNS1_9scan_implILNS1_25lookback_scan_determinismE0ELb1ELb1ES3_N6thrust23THRUST_200600_302600_NS6detail15normal_iteratorINS9_10device_ptrIjEEEENSB_INSC_IfEEEEfNS9_4plusIvEEfEEDaPvRmT3_T4_T5_mT6_P12ihipStream_tbENKUlT_T0_E_clISt17integral_constantIbLb1EESV_IbLb0EEEEDaSR_SS_EUlSR_E_NS1_11comp_targetILNS1_3genE2ELNS1_11target_archE906ELNS1_3gpuE6ELNS1_3repE0EEENS1_30default_config_static_selectorELNS0_4arch9wavefront6targetE1EEEvT1_
; %bb.0:
	.section	.rodata,"a",@progbits
	.p2align	6, 0x0
	.amdhsa_kernel _ZN7rocprim17ROCPRIM_400000_NS6detail17trampoline_kernelINS0_14default_configENS1_20scan_config_selectorIfEEZZNS1_9scan_implILNS1_25lookback_scan_determinismE0ELb1ELb1ES3_N6thrust23THRUST_200600_302600_NS6detail15normal_iteratorINS9_10device_ptrIjEEEENSB_INSC_IfEEEEfNS9_4plusIvEEfEEDaPvRmT3_T4_T5_mT6_P12ihipStream_tbENKUlT_T0_E_clISt17integral_constantIbLb1EESV_IbLb0EEEEDaSR_SS_EUlSR_E_NS1_11comp_targetILNS1_3genE2ELNS1_11target_archE906ELNS1_3gpuE6ELNS1_3repE0EEENS1_30default_config_static_selectorELNS0_4arch9wavefront6targetE1EEEvT1_
		.amdhsa_group_segment_fixed_size 0
		.amdhsa_private_segment_fixed_size 0
		.amdhsa_kernarg_size 96
		.amdhsa_user_sgpr_count 6
		.amdhsa_user_sgpr_private_segment_buffer 1
		.amdhsa_user_sgpr_dispatch_ptr 0
		.amdhsa_user_sgpr_queue_ptr 0
		.amdhsa_user_sgpr_kernarg_segment_ptr 1
		.amdhsa_user_sgpr_dispatch_id 0
		.amdhsa_user_sgpr_flat_scratch_init 0
		.amdhsa_user_sgpr_kernarg_preload_length 0
		.amdhsa_user_sgpr_kernarg_preload_offset 0
		.amdhsa_user_sgpr_private_segment_size 0
		.amdhsa_uses_dynamic_stack 0
		.amdhsa_system_sgpr_private_segment_wavefront_offset 0
		.amdhsa_system_sgpr_workgroup_id_x 1
		.amdhsa_system_sgpr_workgroup_id_y 0
		.amdhsa_system_sgpr_workgroup_id_z 0
		.amdhsa_system_sgpr_workgroup_info 0
		.amdhsa_system_vgpr_workitem_id 0
		.amdhsa_next_free_vgpr 1
		.amdhsa_next_free_sgpr 0
		.amdhsa_accum_offset 4
		.amdhsa_reserve_vcc 0
		.amdhsa_reserve_flat_scratch 0
		.amdhsa_float_round_mode_32 0
		.amdhsa_float_round_mode_16_64 0
		.amdhsa_float_denorm_mode_32 3
		.amdhsa_float_denorm_mode_16_64 3
		.amdhsa_dx10_clamp 1
		.amdhsa_ieee_mode 1
		.amdhsa_fp16_overflow 0
		.amdhsa_tg_split 0
		.amdhsa_exception_fp_ieee_invalid_op 0
		.amdhsa_exception_fp_denorm_src 0
		.amdhsa_exception_fp_ieee_div_zero 0
		.amdhsa_exception_fp_ieee_overflow 0
		.amdhsa_exception_fp_ieee_underflow 0
		.amdhsa_exception_fp_ieee_inexact 0
		.amdhsa_exception_int_div_zero 0
	.end_amdhsa_kernel
	.section	.text._ZN7rocprim17ROCPRIM_400000_NS6detail17trampoline_kernelINS0_14default_configENS1_20scan_config_selectorIfEEZZNS1_9scan_implILNS1_25lookback_scan_determinismE0ELb1ELb1ES3_N6thrust23THRUST_200600_302600_NS6detail15normal_iteratorINS9_10device_ptrIjEEEENSB_INSC_IfEEEEfNS9_4plusIvEEfEEDaPvRmT3_T4_T5_mT6_P12ihipStream_tbENKUlT_T0_E_clISt17integral_constantIbLb1EESV_IbLb0EEEEDaSR_SS_EUlSR_E_NS1_11comp_targetILNS1_3genE2ELNS1_11target_archE906ELNS1_3gpuE6ELNS1_3repE0EEENS1_30default_config_static_selectorELNS0_4arch9wavefront6targetE1EEEvT1_,"axG",@progbits,_ZN7rocprim17ROCPRIM_400000_NS6detail17trampoline_kernelINS0_14default_configENS1_20scan_config_selectorIfEEZZNS1_9scan_implILNS1_25lookback_scan_determinismE0ELb1ELb1ES3_N6thrust23THRUST_200600_302600_NS6detail15normal_iteratorINS9_10device_ptrIjEEEENSB_INSC_IfEEEEfNS9_4plusIvEEfEEDaPvRmT3_T4_T5_mT6_P12ihipStream_tbENKUlT_T0_E_clISt17integral_constantIbLb1EESV_IbLb0EEEEDaSR_SS_EUlSR_E_NS1_11comp_targetILNS1_3genE2ELNS1_11target_archE906ELNS1_3gpuE6ELNS1_3repE0EEENS1_30default_config_static_selectorELNS0_4arch9wavefront6targetE1EEEvT1_,comdat
.Lfunc_end6128:
	.size	_ZN7rocprim17ROCPRIM_400000_NS6detail17trampoline_kernelINS0_14default_configENS1_20scan_config_selectorIfEEZZNS1_9scan_implILNS1_25lookback_scan_determinismE0ELb1ELb1ES3_N6thrust23THRUST_200600_302600_NS6detail15normal_iteratorINS9_10device_ptrIjEEEENSB_INSC_IfEEEEfNS9_4plusIvEEfEEDaPvRmT3_T4_T5_mT6_P12ihipStream_tbENKUlT_T0_E_clISt17integral_constantIbLb1EESV_IbLb0EEEEDaSR_SS_EUlSR_E_NS1_11comp_targetILNS1_3genE2ELNS1_11target_archE906ELNS1_3gpuE6ELNS1_3repE0EEENS1_30default_config_static_selectorELNS0_4arch9wavefront6targetE1EEEvT1_, .Lfunc_end6128-_ZN7rocprim17ROCPRIM_400000_NS6detail17trampoline_kernelINS0_14default_configENS1_20scan_config_selectorIfEEZZNS1_9scan_implILNS1_25lookback_scan_determinismE0ELb1ELb1ES3_N6thrust23THRUST_200600_302600_NS6detail15normal_iteratorINS9_10device_ptrIjEEEENSB_INSC_IfEEEEfNS9_4plusIvEEfEEDaPvRmT3_T4_T5_mT6_P12ihipStream_tbENKUlT_T0_E_clISt17integral_constantIbLb1EESV_IbLb0EEEEDaSR_SS_EUlSR_E_NS1_11comp_targetILNS1_3genE2ELNS1_11target_archE906ELNS1_3gpuE6ELNS1_3repE0EEENS1_30default_config_static_selectorELNS0_4arch9wavefront6targetE1EEEvT1_
                                        ; -- End function
	.section	.AMDGPU.csdata,"",@progbits
; Kernel info:
; codeLenInByte = 0
; NumSgprs: 4
; NumVgprs: 0
; NumAgprs: 0
; TotalNumVgprs: 0
; ScratchSize: 0
; MemoryBound: 0
; FloatMode: 240
; IeeeMode: 1
; LDSByteSize: 0 bytes/workgroup (compile time only)
; SGPRBlocks: 0
; VGPRBlocks: 0
; NumSGPRsForWavesPerEU: 4
; NumVGPRsForWavesPerEU: 1
; AccumOffset: 4
; Occupancy: 8
; WaveLimiterHint : 0
; COMPUTE_PGM_RSRC2:SCRATCH_EN: 0
; COMPUTE_PGM_RSRC2:USER_SGPR: 6
; COMPUTE_PGM_RSRC2:TRAP_HANDLER: 0
; COMPUTE_PGM_RSRC2:TGID_X_EN: 1
; COMPUTE_PGM_RSRC2:TGID_Y_EN: 0
; COMPUTE_PGM_RSRC2:TGID_Z_EN: 0
; COMPUTE_PGM_RSRC2:TIDIG_COMP_CNT: 0
; COMPUTE_PGM_RSRC3_GFX90A:ACCUM_OFFSET: 0
; COMPUTE_PGM_RSRC3_GFX90A:TG_SPLIT: 0
	.section	.text._ZN7rocprim17ROCPRIM_400000_NS6detail17trampoline_kernelINS0_14default_configENS1_20scan_config_selectorIfEEZZNS1_9scan_implILNS1_25lookback_scan_determinismE0ELb1ELb1ES3_N6thrust23THRUST_200600_302600_NS6detail15normal_iteratorINS9_10device_ptrIjEEEENSB_INSC_IfEEEEfNS9_4plusIvEEfEEDaPvRmT3_T4_T5_mT6_P12ihipStream_tbENKUlT_T0_E_clISt17integral_constantIbLb1EESV_IbLb0EEEEDaSR_SS_EUlSR_E_NS1_11comp_targetILNS1_3genE10ELNS1_11target_archE1201ELNS1_3gpuE5ELNS1_3repE0EEENS1_30default_config_static_selectorELNS0_4arch9wavefront6targetE1EEEvT1_,"axG",@progbits,_ZN7rocprim17ROCPRIM_400000_NS6detail17trampoline_kernelINS0_14default_configENS1_20scan_config_selectorIfEEZZNS1_9scan_implILNS1_25lookback_scan_determinismE0ELb1ELb1ES3_N6thrust23THRUST_200600_302600_NS6detail15normal_iteratorINS9_10device_ptrIjEEEENSB_INSC_IfEEEEfNS9_4plusIvEEfEEDaPvRmT3_T4_T5_mT6_P12ihipStream_tbENKUlT_T0_E_clISt17integral_constantIbLb1EESV_IbLb0EEEEDaSR_SS_EUlSR_E_NS1_11comp_targetILNS1_3genE10ELNS1_11target_archE1201ELNS1_3gpuE5ELNS1_3repE0EEENS1_30default_config_static_selectorELNS0_4arch9wavefront6targetE1EEEvT1_,comdat
	.protected	_ZN7rocprim17ROCPRIM_400000_NS6detail17trampoline_kernelINS0_14default_configENS1_20scan_config_selectorIfEEZZNS1_9scan_implILNS1_25lookback_scan_determinismE0ELb1ELb1ES3_N6thrust23THRUST_200600_302600_NS6detail15normal_iteratorINS9_10device_ptrIjEEEENSB_INSC_IfEEEEfNS9_4plusIvEEfEEDaPvRmT3_T4_T5_mT6_P12ihipStream_tbENKUlT_T0_E_clISt17integral_constantIbLb1EESV_IbLb0EEEEDaSR_SS_EUlSR_E_NS1_11comp_targetILNS1_3genE10ELNS1_11target_archE1201ELNS1_3gpuE5ELNS1_3repE0EEENS1_30default_config_static_selectorELNS0_4arch9wavefront6targetE1EEEvT1_ ; -- Begin function _ZN7rocprim17ROCPRIM_400000_NS6detail17trampoline_kernelINS0_14default_configENS1_20scan_config_selectorIfEEZZNS1_9scan_implILNS1_25lookback_scan_determinismE0ELb1ELb1ES3_N6thrust23THRUST_200600_302600_NS6detail15normal_iteratorINS9_10device_ptrIjEEEENSB_INSC_IfEEEEfNS9_4plusIvEEfEEDaPvRmT3_T4_T5_mT6_P12ihipStream_tbENKUlT_T0_E_clISt17integral_constantIbLb1EESV_IbLb0EEEEDaSR_SS_EUlSR_E_NS1_11comp_targetILNS1_3genE10ELNS1_11target_archE1201ELNS1_3gpuE5ELNS1_3repE0EEENS1_30default_config_static_selectorELNS0_4arch9wavefront6targetE1EEEvT1_
	.globl	_ZN7rocprim17ROCPRIM_400000_NS6detail17trampoline_kernelINS0_14default_configENS1_20scan_config_selectorIfEEZZNS1_9scan_implILNS1_25lookback_scan_determinismE0ELb1ELb1ES3_N6thrust23THRUST_200600_302600_NS6detail15normal_iteratorINS9_10device_ptrIjEEEENSB_INSC_IfEEEEfNS9_4plusIvEEfEEDaPvRmT3_T4_T5_mT6_P12ihipStream_tbENKUlT_T0_E_clISt17integral_constantIbLb1EESV_IbLb0EEEEDaSR_SS_EUlSR_E_NS1_11comp_targetILNS1_3genE10ELNS1_11target_archE1201ELNS1_3gpuE5ELNS1_3repE0EEENS1_30default_config_static_selectorELNS0_4arch9wavefront6targetE1EEEvT1_
	.p2align	8
	.type	_ZN7rocprim17ROCPRIM_400000_NS6detail17trampoline_kernelINS0_14default_configENS1_20scan_config_selectorIfEEZZNS1_9scan_implILNS1_25lookback_scan_determinismE0ELb1ELb1ES3_N6thrust23THRUST_200600_302600_NS6detail15normal_iteratorINS9_10device_ptrIjEEEENSB_INSC_IfEEEEfNS9_4plusIvEEfEEDaPvRmT3_T4_T5_mT6_P12ihipStream_tbENKUlT_T0_E_clISt17integral_constantIbLb1EESV_IbLb0EEEEDaSR_SS_EUlSR_E_NS1_11comp_targetILNS1_3genE10ELNS1_11target_archE1201ELNS1_3gpuE5ELNS1_3repE0EEENS1_30default_config_static_selectorELNS0_4arch9wavefront6targetE1EEEvT1_,@function
_ZN7rocprim17ROCPRIM_400000_NS6detail17trampoline_kernelINS0_14default_configENS1_20scan_config_selectorIfEEZZNS1_9scan_implILNS1_25lookback_scan_determinismE0ELb1ELb1ES3_N6thrust23THRUST_200600_302600_NS6detail15normal_iteratorINS9_10device_ptrIjEEEENSB_INSC_IfEEEEfNS9_4plusIvEEfEEDaPvRmT3_T4_T5_mT6_P12ihipStream_tbENKUlT_T0_E_clISt17integral_constantIbLb1EESV_IbLb0EEEEDaSR_SS_EUlSR_E_NS1_11comp_targetILNS1_3genE10ELNS1_11target_archE1201ELNS1_3gpuE5ELNS1_3repE0EEENS1_30default_config_static_selectorELNS0_4arch9wavefront6targetE1EEEvT1_: ; @_ZN7rocprim17ROCPRIM_400000_NS6detail17trampoline_kernelINS0_14default_configENS1_20scan_config_selectorIfEEZZNS1_9scan_implILNS1_25lookback_scan_determinismE0ELb1ELb1ES3_N6thrust23THRUST_200600_302600_NS6detail15normal_iteratorINS9_10device_ptrIjEEEENSB_INSC_IfEEEEfNS9_4plusIvEEfEEDaPvRmT3_T4_T5_mT6_P12ihipStream_tbENKUlT_T0_E_clISt17integral_constantIbLb1EESV_IbLb0EEEEDaSR_SS_EUlSR_E_NS1_11comp_targetILNS1_3genE10ELNS1_11target_archE1201ELNS1_3gpuE5ELNS1_3repE0EEENS1_30default_config_static_selectorELNS0_4arch9wavefront6targetE1EEEvT1_
; %bb.0:
	.section	.rodata,"a",@progbits
	.p2align	6, 0x0
	.amdhsa_kernel _ZN7rocprim17ROCPRIM_400000_NS6detail17trampoline_kernelINS0_14default_configENS1_20scan_config_selectorIfEEZZNS1_9scan_implILNS1_25lookback_scan_determinismE0ELb1ELb1ES3_N6thrust23THRUST_200600_302600_NS6detail15normal_iteratorINS9_10device_ptrIjEEEENSB_INSC_IfEEEEfNS9_4plusIvEEfEEDaPvRmT3_T4_T5_mT6_P12ihipStream_tbENKUlT_T0_E_clISt17integral_constantIbLb1EESV_IbLb0EEEEDaSR_SS_EUlSR_E_NS1_11comp_targetILNS1_3genE10ELNS1_11target_archE1201ELNS1_3gpuE5ELNS1_3repE0EEENS1_30default_config_static_selectorELNS0_4arch9wavefront6targetE1EEEvT1_
		.amdhsa_group_segment_fixed_size 0
		.amdhsa_private_segment_fixed_size 0
		.amdhsa_kernarg_size 96
		.amdhsa_user_sgpr_count 6
		.amdhsa_user_sgpr_private_segment_buffer 1
		.amdhsa_user_sgpr_dispatch_ptr 0
		.amdhsa_user_sgpr_queue_ptr 0
		.amdhsa_user_sgpr_kernarg_segment_ptr 1
		.amdhsa_user_sgpr_dispatch_id 0
		.amdhsa_user_sgpr_flat_scratch_init 0
		.amdhsa_user_sgpr_kernarg_preload_length 0
		.amdhsa_user_sgpr_kernarg_preload_offset 0
		.amdhsa_user_sgpr_private_segment_size 0
		.amdhsa_uses_dynamic_stack 0
		.amdhsa_system_sgpr_private_segment_wavefront_offset 0
		.amdhsa_system_sgpr_workgroup_id_x 1
		.amdhsa_system_sgpr_workgroup_id_y 0
		.amdhsa_system_sgpr_workgroup_id_z 0
		.amdhsa_system_sgpr_workgroup_info 0
		.amdhsa_system_vgpr_workitem_id 0
		.amdhsa_next_free_vgpr 1
		.amdhsa_next_free_sgpr 0
		.amdhsa_accum_offset 4
		.amdhsa_reserve_vcc 0
		.amdhsa_reserve_flat_scratch 0
		.amdhsa_float_round_mode_32 0
		.amdhsa_float_round_mode_16_64 0
		.amdhsa_float_denorm_mode_32 3
		.amdhsa_float_denorm_mode_16_64 3
		.amdhsa_dx10_clamp 1
		.amdhsa_ieee_mode 1
		.amdhsa_fp16_overflow 0
		.amdhsa_tg_split 0
		.amdhsa_exception_fp_ieee_invalid_op 0
		.amdhsa_exception_fp_denorm_src 0
		.amdhsa_exception_fp_ieee_div_zero 0
		.amdhsa_exception_fp_ieee_overflow 0
		.amdhsa_exception_fp_ieee_underflow 0
		.amdhsa_exception_fp_ieee_inexact 0
		.amdhsa_exception_int_div_zero 0
	.end_amdhsa_kernel
	.section	.text._ZN7rocprim17ROCPRIM_400000_NS6detail17trampoline_kernelINS0_14default_configENS1_20scan_config_selectorIfEEZZNS1_9scan_implILNS1_25lookback_scan_determinismE0ELb1ELb1ES3_N6thrust23THRUST_200600_302600_NS6detail15normal_iteratorINS9_10device_ptrIjEEEENSB_INSC_IfEEEEfNS9_4plusIvEEfEEDaPvRmT3_T4_T5_mT6_P12ihipStream_tbENKUlT_T0_E_clISt17integral_constantIbLb1EESV_IbLb0EEEEDaSR_SS_EUlSR_E_NS1_11comp_targetILNS1_3genE10ELNS1_11target_archE1201ELNS1_3gpuE5ELNS1_3repE0EEENS1_30default_config_static_selectorELNS0_4arch9wavefront6targetE1EEEvT1_,"axG",@progbits,_ZN7rocprim17ROCPRIM_400000_NS6detail17trampoline_kernelINS0_14default_configENS1_20scan_config_selectorIfEEZZNS1_9scan_implILNS1_25lookback_scan_determinismE0ELb1ELb1ES3_N6thrust23THRUST_200600_302600_NS6detail15normal_iteratorINS9_10device_ptrIjEEEENSB_INSC_IfEEEEfNS9_4plusIvEEfEEDaPvRmT3_T4_T5_mT6_P12ihipStream_tbENKUlT_T0_E_clISt17integral_constantIbLb1EESV_IbLb0EEEEDaSR_SS_EUlSR_E_NS1_11comp_targetILNS1_3genE10ELNS1_11target_archE1201ELNS1_3gpuE5ELNS1_3repE0EEENS1_30default_config_static_selectorELNS0_4arch9wavefront6targetE1EEEvT1_,comdat
.Lfunc_end6129:
	.size	_ZN7rocprim17ROCPRIM_400000_NS6detail17trampoline_kernelINS0_14default_configENS1_20scan_config_selectorIfEEZZNS1_9scan_implILNS1_25lookback_scan_determinismE0ELb1ELb1ES3_N6thrust23THRUST_200600_302600_NS6detail15normal_iteratorINS9_10device_ptrIjEEEENSB_INSC_IfEEEEfNS9_4plusIvEEfEEDaPvRmT3_T4_T5_mT6_P12ihipStream_tbENKUlT_T0_E_clISt17integral_constantIbLb1EESV_IbLb0EEEEDaSR_SS_EUlSR_E_NS1_11comp_targetILNS1_3genE10ELNS1_11target_archE1201ELNS1_3gpuE5ELNS1_3repE0EEENS1_30default_config_static_selectorELNS0_4arch9wavefront6targetE1EEEvT1_, .Lfunc_end6129-_ZN7rocprim17ROCPRIM_400000_NS6detail17trampoline_kernelINS0_14default_configENS1_20scan_config_selectorIfEEZZNS1_9scan_implILNS1_25lookback_scan_determinismE0ELb1ELb1ES3_N6thrust23THRUST_200600_302600_NS6detail15normal_iteratorINS9_10device_ptrIjEEEENSB_INSC_IfEEEEfNS9_4plusIvEEfEEDaPvRmT3_T4_T5_mT6_P12ihipStream_tbENKUlT_T0_E_clISt17integral_constantIbLb1EESV_IbLb0EEEEDaSR_SS_EUlSR_E_NS1_11comp_targetILNS1_3genE10ELNS1_11target_archE1201ELNS1_3gpuE5ELNS1_3repE0EEENS1_30default_config_static_selectorELNS0_4arch9wavefront6targetE1EEEvT1_
                                        ; -- End function
	.section	.AMDGPU.csdata,"",@progbits
; Kernel info:
; codeLenInByte = 0
; NumSgprs: 4
; NumVgprs: 0
; NumAgprs: 0
; TotalNumVgprs: 0
; ScratchSize: 0
; MemoryBound: 0
; FloatMode: 240
; IeeeMode: 1
; LDSByteSize: 0 bytes/workgroup (compile time only)
; SGPRBlocks: 0
; VGPRBlocks: 0
; NumSGPRsForWavesPerEU: 4
; NumVGPRsForWavesPerEU: 1
; AccumOffset: 4
; Occupancy: 8
; WaveLimiterHint : 0
; COMPUTE_PGM_RSRC2:SCRATCH_EN: 0
; COMPUTE_PGM_RSRC2:USER_SGPR: 6
; COMPUTE_PGM_RSRC2:TRAP_HANDLER: 0
; COMPUTE_PGM_RSRC2:TGID_X_EN: 1
; COMPUTE_PGM_RSRC2:TGID_Y_EN: 0
; COMPUTE_PGM_RSRC2:TGID_Z_EN: 0
; COMPUTE_PGM_RSRC2:TIDIG_COMP_CNT: 0
; COMPUTE_PGM_RSRC3_GFX90A:ACCUM_OFFSET: 0
; COMPUTE_PGM_RSRC3_GFX90A:TG_SPLIT: 0
	.section	.text._ZN7rocprim17ROCPRIM_400000_NS6detail17trampoline_kernelINS0_14default_configENS1_20scan_config_selectorIfEEZZNS1_9scan_implILNS1_25lookback_scan_determinismE0ELb1ELb1ES3_N6thrust23THRUST_200600_302600_NS6detail15normal_iteratorINS9_10device_ptrIjEEEENSB_INSC_IfEEEEfNS9_4plusIvEEfEEDaPvRmT3_T4_T5_mT6_P12ihipStream_tbENKUlT_T0_E_clISt17integral_constantIbLb1EESV_IbLb0EEEEDaSR_SS_EUlSR_E_NS1_11comp_targetILNS1_3genE10ELNS1_11target_archE1200ELNS1_3gpuE4ELNS1_3repE0EEENS1_30default_config_static_selectorELNS0_4arch9wavefront6targetE1EEEvT1_,"axG",@progbits,_ZN7rocprim17ROCPRIM_400000_NS6detail17trampoline_kernelINS0_14default_configENS1_20scan_config_selectorIfEEZZNS1_9scan_implILNS1_25lookback_scan_determinismE0ELb1ELb1ES3_N6thrust23THRUST_200600_302600_NS6detail15normal_iteratorINS9_10device_ptrIjEEEENSB_INSC_IfEEEEfNS9_4plusIvEEfEEDaPvRmT3_T4_T5_mT6_P12ihipStream_tbENKUlT_T0_E_clISt17integral_constantIbLb1EESV_IbLb0EEEEDaSR_SS_EUlSR_E_NS1_11comp_targetILNS1_3genE10ELNS1_11target_archE1200ELNS1_3gpuE4ELNS1_3repE0EEENS1_30default_config_static_selectorELNS0_4arch9wavefront6targetE1EEEvT1_,comdat
	.protected	_ZN7rocprim17ROCPRIM_400000_NS6detail17trampoline_kernelINS0_14default_configENS1_20scan_config_selectorIfEEZZNS1_9scan_implILNS1_25lookback_scan_determinismE0ELb1ELb1ES3_N6thrust23THRUST_200600_302600_NS6detail15normal_iteratorINS9_10device_ptrIjEEEENSB_INSC_IfEEEEfNS9_4plusIvEEfEEDaPvRmT3_T4_T5_mT6_P12ihipStream_tbENKUlT_T0_E_clISt17integral_constantIbLb1EESV_IbLb0EEEEDaSR_SS_EUlSR_E_NS1_11comp_targetILNS1_3genE10ELNS1_11target_archE1200ELNS1_3gpuE4ELNS1_3repE0EEENS1_30default_config_static_selectorELNS0_4arch9wavefront6targetE1EEEvT1_ ; -- Begin function _ZN7rocprim17ROCPRIM_400000_NS6detail17trampoline_kernelINS0_14default_configENS1_20scan_config_selectorIfEEZZNS1_9scan_implILNS1_25lookback_scan_determinismE0ELb1ELb1ES3_N6thrust23THRUST_200600_302600_NS6detail15normal_iteratorINS9_10device_ptrIjEEEENSB_INSC_IfEEEEfNS9_4plusIvEEfEEDaPvRmT3_T4_T5_mT6_P12ihipStream_tbENKUlT_T0_E_clISt17integral_constantIbLb1EESV_IbLb0EEEEDaSR_SS_EUlSR_E_NS1_11comp_targetILNS1_3genE10ELNS1_11target_archE1200ELNS1_3gpuE4ELNS1_3repE0EEENS1_30default_config_static_selectorELNS0_4arch9wavefront6targetE1EEEvT1_
	.globl	_ZN7rocprim17ROCPRIM_400000_NS6detail17trampoline_kernelINS0_14default_configENS1_20scan_config_selectorIfEEZZNS1_9scan_implILNS1_25lookback_scan_determinismE0ELb1ELb1ES3_N6thrust23THRUST_200600_302600_NS6detail15normal_iteratorINS9_10device_ptrIjEEEENSB_INSC_IfEEEEfNS9_4plusIvEEfEEDaPvRmT3_T4_T5_mT6_P12ihipStream_tbENKUlT_T0_E_clISt17integral_constantIbLb1EESV_IbLb0EEEEDaSR_SS_EUlSR_E_NS1_11comp_targetILNS1_3genE10ELNS1_11target_archE1200ELNS1_3gpuE4ELNS1_3repE0EEENS1_30default_config_static_selectorELNS0_4arch9wavefront6targetE1EEEvT1_
	.p2align	8
	.type	_ZN7rocprim17ROCPRIM_400000_NS6detail17trampoline_kernelINS0_14default_configENS1_20scan_config_selectorIfEEZZNS1_9scan_implILNS1_25lookback_scan_determinismE0ELb1ELb1ES3_N6thrust23THRUST_200600_302600_NS6detail15normal_iteratorINS9_10device_ptrIjEEEENSB_INSC_IfEEEEfNS9_4plusIvEEfEEDaPvRmT3_T4_T5_mT6_P12ihipStream_tbENKUlT_T0_E_clISt17integral_constantIbLb1EESV_IbLb0EEEEDaSR_SS_EUlSR_E_NS1_11comp_targetILNS1_3genE10ELNS1_11target_archE1200ELNS1_3gpuE4ELNS1_3repE0EEENS1_30default_config_static_selectorELNS0_4arch9wavefront6targetE1EEEvT1_,@function
_ZN7rocprim17ROCPRIM_400000_NS6detail17trampoline_kernelINS0_14default_configENS1_20scan_config_selectorIfEEZZNS1_9scan_implILNS1_25lookback_scan_determinismE0ELb1ELb1ES3_N6thrust23THRUST_200600_302600_NS6detail15normal_iteratorINS9_10device_ptrIjEEEENSB_INSC_IfEEEEfNS9_4plusIvEEfEEDaPvRmT3_T4_T5_mT6_P12ihipStream_tbENKUlT_T0_E_clISt17integral_constantIbLb1EESV_IbLb0EEEEDaSR_SS_EUlSR_E_NS1_11comp_targetILNS1_3genE10ELNS1_11target_archE1200ELNS1_3gpuE4ELNS1_3repE0EEENS1_30default_config_static_selectorELNS0_4arch9wavefront6targetE1EEEvT1_: ; @_ZN7rocprim17ROCPRIM_400000_NS6detail17trampoline_kernelINS0_14default_configENS1_20scan_config_selectorIfEEZZNS1_9scan_implILNS1_25lookback_scan_determinismE0ELb1ELb1ES3_N6thrust23THRUST_200600_302600_NS6detail15normal_iteratorINS9_10device_ptrIjEEEENSB_INSC_IfEEEEfNS9_4plusIvEEfEEDaPvRmT3_T4_T5_mT6_P12ihipStream_tbENKUlT_T0_E_clISt17integral_constantIbLb1EESV_IbLb0EEEEDaSR_SS_EUlSR_E_NS1_11comp_targetILNS1_3genE10ELNS1_11target_archE1200ELNS1_3gpuE4ELNS1_3repE0EEENS1_30default_config_static_selectorELNS0_4arch9wavefront6targetE1EEEvT1_
; %bb.0:
	.section	.rodata,"a",@progbits
	.p2align	6, 0x0
	.amdhsa_kernel _ZN7rocprim17ROCPRIM_400000_NS6detail17trampoline_kernelINS0_14default_configENS1_20scan_config_selectorIfEEZZNS1_9scan_implILNS1_25lookback_scan_determinismE0ELb1ELb1ES3_N6thrust23THRUST_200600_302600_NS6detail15normal_iteratorINS9_10device_ptrIjEEEENSB_INSC_IfEEEEfNS9_4plusIvEEfEEDaPvRmT3_T4_T5_mT6_P12ihipStream_tbENKUlT_T0_E_clISt17integral_constantIbLb1EESV_IbLb0EEEEDaSR_SS_EUlSR_E_NS1_11comp_targetILNS1_3genE10ELNS1_11target_archE1200ELNS1_3gpuE4ELNS1_3repE0EEENS1_30default_config_static_selectorELNS0_4arch9wavefront6targetE1EEEvT1_
		.amdhsa_group_segment_fixed_size 0
		.amdhsa_private_segment_fixed_size 0
		.amdhsa_kernarg_size 96
		.amdhsa_user_sgpr_count 6
		.amdhsa_user_sgpr_private_segment_buffer 1
		.amdhsa_user_sgpr_dispatch_ptr 0
		.amdhsa_user_sgpr_queue_ptr 0
		.amdhsa_user_sgpr_kernarg_segment_ptr 1
		.amdhsa_user_sgpr_dispatch_id 0
		.amdhsa_user_sgpr_flat_scratch_init 0
		.amdhsa_user_sgpr_kernarg_preload_length 0
		.amdhsa_user_sgpr_kernarg_preload_offset 0
		.amdhsa_user_sgpr_private_segment_size 0
		.amdhsa_uses_dynamic_stack 0
		.amdhsa_system_sgpr_private_segment_wavefront_offset 0
		.amdhsa_system_sgpr_workgroup_id_x 1
		.amdhsa_system_sgpr_workgroup_id_y 0
		.amdhsa_system_sgpr_workgroup_id_z 0
		.amdhsa_system_sgpr_workgroup_info 0
		.amdhsa_system_vgpr_workitem_id 0
		.amdhsa_next_free_vgpr 1
		.amdhsa_next_free_sgpr 0
		.amdhsa_accum_offset 4
		.amdhsa_reserve_vcc 0
		.amdhsa_reserve_flat_scratch 0
		.amdhsa_float_round_mode_32 0
		.amdhsa_float_round_mode_16_64 0
		.amdhsa_float_denorm_mode_32 3
		.amdhsa_float_denorm_mode_16_64 3
		.amdhsa_dx10_clamp 1
		.amdhsa_ieee_mode 1
		.amdhsa_fp16_overflow 0
		.amdhsa_tg_split 0
		.amdhsa_exception_fp_ieee_invalid_op 0
		.amdhsa_exception_fp_denorm_src 0
		.amdhsa_exception_fp_ieee_div_zero 0
		.amdhsa_exception_fp_ieee_overflow 0
		.amdhsa_exception_fp_ieee_underflow 0
		.amdhsa_exception_fp_ieee_inexact 0
		.amdhsa_exception_int_div_zero 0
	.end_amdhsa_kernel
	.section	.text._ZN7rocprim17ROCPRIM_400000_NS6detail17trampoline_kernelINS0_14default_configENS1_20scan_config_selectorIfEEZZNS1_9scan_implILNS1_25lookback_scan_determinismE0ELb1ELb1ES3_N6thrust23THRUST_200600_302600_NS6detail15normal_iteratorINS9_10device_ptrIjEEEENSB_INSC_IfEEEEfNS9_4plusIvEEfEEDaPvRmT3_T4_T5_mT6_P12ihipStream_tbENKUlT_T0_E_clISt17integral_constantIbLb1EESV_IbLb0EEEEDaSR_SS_EUlSR_E_NS1_11comp_targetILNS1_3genE10ELNS1_11target_archE1200ELNS1_3gpuE4ELNS1_3repE0EEENS1_30default_config_static_selectorELNS0_4arch9wavefront6targetE1EEEvT1_,"axG",@progbits,_ZN7rocprim17ROCPRIM_400000_NS6detail17trampoline_kernelINS0_14default_configENS1_20scan_config_selectorIfEEZZNS1_9scan_implILNS1_25lookback_scan_determinismE0ELb1ELb1ES3_N6thrust23THRUST_200600_302600_NS6detail15normal_iteratorINS9_10device_ptrIjEEEENSB_INSC_IfEEEEfNS9_4plusIvEEfEEDaPvRmT3_T4_T5_mT6_P12ihipStream_tbENKUlT_T0_E_clISt17integral_constantIbLb1EESV_IbLb0EEEEDaSR_SS_EUlSR_E_NS1_11comp_targetILNS1_3genE10ELNS1_11target_archE1200ELNS1_3gpuE4ELNS1_3repE0EEENS1_30default_config_static_selectorELNS0_4arch9wavefront6targetE1EEEvT1_,comdat
.Lfunc_end6130:
	.size	_ZN7rocprim17ROCPRIM_400000_NS6detail17trampoline_kernelINS0_14default_configENS1_20scan_config_selectorIfEEZZNS1_9scan_implILNS1_25lookback_scan_determinismE0ELb1ELb1ES3_N6thrust23THRUST_200600_302600_NS6detail15normal_iteratorINS9_10device_ptrIjEEEENSB_INSC_IfEEEEfNS9_4plusIvEEfEEDaPvRmT3_T4_T5_mT6_P12ihipStream_tbENKUlT_T0_E_clISt17integral_constantIbLb1EESV_IbLb0EEEEDaSR_SS_EUlSR_E_NS1_11comp_targetILNS1_3genE10ELNS1_11target_archE1200ELNS1_3gpuE4ELNS1_3repE0EEENS1_30default_config_static_selectorELNS0_4arch9wavefront6targetE1EEEvT1_, .Lfunc_end6130-_ZN7rocprim17ROCPRIM_400000_NS6detail17trampoline_kernelINS0_14default_configENS1_20scan_config_selectorIfEEZZNS1_9scan_implILNS1_25lookback_scan_determinismE0ELb1ELb1ES3_N6thrust23THRUST_200600_302600_NS6detail15normal_iteratorINS9_10device_ptrIjEEEENSB_INSC_IfEEEEfNS9_4plusIvEEfEEDaPvRmT3_T4_T5_mT6_P12ihipStream_tbENKUlT_T0_E_clISt17integral_constantIbLb1EESV_IbLb0EEEEDaSR_SS_EUlSR_E_NS1_11comp_targetILNS1_3genE10ELNS1_11target_archE1200ELNS1_3gpuE4ELNS1_3repE0EEENS1_30default_config_static_selectorELNS0_4arch9wavefront6targetE1EEEvT1_
                                        ; -- End function
	.section	.AMDGPU.csdata,"",@progbits
; Kernel info:
; codeLenInByte = 0
; NumSgprs: 4
; NumVgprs: 0
; NumAgprs: 0
; TotalNumVgprs: 0
; ScratchSize: 0
; MemoryBound: 0
; FloatMode: 240
; IeeeMode: 1
; LDSByteSize: 0 bytes/workgroup (compile time only)
; SGPRBlocks: 0
; VGPRBlocks: 0
; NumSGPRsForWavesPerEU: 4
; NumVGPRsForWavesPerEU: 1
; AccumOffset: 4
; Occupancy: 8
; WaveLimiterHint : 0
; COMPUTE_PGM_RSRC2:SCRATCH_EN: 0
; COMPUTE_PGM_RSRC2:USER_SGPR: 6
; COMPUTE_PGM_RSRC2:TRAP_HANDLER: 0
; COMPUTE_PGM_RSRC2:TGID_X_EN: 1
; COMPUTE_PGM_RSRC2:TGID_Y_EN: 0
; COMPUTE_PGM_RSRC2:TGID_Z_EN: 0
; COMPUTE_PGM_RSRC2:TIDIG_COMP_CNT: 0
; COMPUTE_PGM_RSRC3_GFX90A:ACCUM_OFFSET: 0
; COMPUTE_PGM_RSRC3_GFX90A:TG_SPLIT: 0
	.section	.text._ZN7rocprim17ROCPRIM_400000_NS6detail17trampoline_kernelINS0_14default_configENS1_20scan_config_selectorIfEEZZNS1_9scan_implILNS1_25lookback_scan_determinismE0ELb1ELb1ES3_N6thrust23THRUST_200600_302600_NS6detail15normal_iteratorINS9_10device_ptrIjEEEENSB_INSC_IfEEEEfNS9_4plusIvEEfEEDaPvRmT3_T4_T5_mT6_P12ihipStream_tbENKUlT_T0_E_clISt17integral_constantIbLb1EESV_IbLb0EEEEDaSR_SS_EUlSR_E_NS1_11comp_targetILNS1_3genE9ELNS1_11target_archE1100ELNS1_3gpuE3ELNS1_3repE0EEENS1_30default_config_static_selectorELNS0_4arch9wavefront6targetE1EEEvT1_,"axG",@progbits,_ZN7rocprim17ROCPRIM_400000_NS6detail17trampoline_kernelINS0_14default_configENS1_20scan_config_selectorIfEEZZNS1_9scan_implILNS1_25lookback_scan_determinismE0ELb1ELb1ES3_N6thrust23THRUST_200600_302600_NS6detail15normal_iteratorINS9_10device_ptrIjEEEENSB_INSC_IfEEEEfNS9_4plusIvEEfEEDaPvRmT3_T4_T5_mT6_P12ihipStream_tbENKUlT_T0_E_clISt17integral_constantIbLb1EESV_IbLb0EEEEDaSR_SS_EUlSR_E_NS1_11comp_targetILNS1_3genE9ELNS1_11target_archE1100ELNS1_3gpuE3ELNS1_3repE0EEENS1_30default_config_static_selectorELNS0_4arch9wavefront6targetE1EEEvT1_,comdat
	.protected	_ZN7rocprim17ROCPRIM_400000_NS6detail17trampoline_kernelINS0_14default_configENS1_20scan_config_selectorIfEEZZNS1_9scan_implILNS1_25lookback_scan_determinismE0ELb1ELb1ES3_N6thrust23THRUST_200600_302600_NS6detail15normal_iteratorINS9_10device_ptrIjEEEENSB_INSC_IfEEEEfNS9_4plusIvEEfEEDaPvRmT3_T4_T5_mT6_P12ihipStream_tbENKUlT_T0_E_clISt17integral_constantIbLb1EESV_IbLb0EEEEDaSR_SS_EUlSR_E_NS1_11comp_targetILNS1_3genE9ELNS1_11target_archE1100ELNS1_3gpuE3ELNS1_3repE0EEENS1_30default_config_static_selectorELNS0_4arch9wavefront6targetE1EEEvT1_ ; -- Begin function _ZN7rocprim17ROCPRIM_400000_NS6detail17trampoline_kernelINS0_14default_configENS1_20scan_config_selectorIfEEZZNS1_9scan_implILNS1_25lookback_scan_determinismE0ELb1ELb1ES3_N6thrust23THRUST_200600_302600_NS6detail15normal_iteratorINS9_10device_ptrIjEEEENSB_INSC_IfEEEEfNS9_4plusIvEEfEEDaPvRmT3_T4_T5_mT6_P12ihipStream_tbENKUlT_T0_E_clISt17integral_constantIbLb1EESV_IbLb0EEEEDaSR_SS_EUlSR_E_NS1_11comp_targetILNS1_3genE9ELNS1_11target_archE1100ELNS1_3gpuE3ELNS1_3repE0EEENS1_30default_config_static_selectorELNS0_4arch9wavefront6targetE1EEEvT1_
	.globl	_ZN7rocprim17ROCPRIM_400000_NS6detail17trampoline_kernelINS0_14default_configENS1_20scan_config_selectorIfEEZZNS1_9scan_implILNS1_25lookback_scan_determinismE0ELb1ELb1ES3_N6thrust23THRUST_200600_302600_NS6detail15normal_iteratorINS9_10device_ptrIjEEEENSB_INSC_IfEEEEfNS9_4plusIvEEfEEDaPvRmT3_T4_T5_mT6_P12ihipStream_tbENKUlT_T0_E_clISt17integral_constantIbLb1EESV_IbLb0EEEEDaSR_SS_EUlSR_E_NS1_11comp_targetILNS1_3genE9ELNS1_11target_archE1100ELNS1_3gpuE3ELNS1_3repE0EEENS1_30default_config_static_selectorELNS0_4arch9wavefront6targetE1EEEvT1_
	.p2align	8
	.type	_ZN7rocprim17ROCPRIM_400000_NS6detail17trampoline_kernelINS0_14default_configENS1_20scan_config_selectorIfEEZZNS1_9scan_implILNS1_25lookback_scan_determinismE0ELb1ELb1ES3_N6thrust23THRUST_200600_302600_NS6detail15normal_iteratorINS9_10device_ptrIjEEEENSB_INSC_IfEEEEfNS9_4plusIvEEfEEDaPvRmT3_T4_T5_mT6_P12ihipStream_tbENKUlT_T0_E_clISt17integral_constantIbLb1EESV_IbLb0EEEEDaSR_SS_EUlSR_E_NS1_11comp_targetILNS1_3genE9ELNS1_11target_archE1100ELNS1_3gpuE3ELNS1_3repE0EEENS1_30default_config_static_selectorELNS0_4arch9wavefront6targetE1EEEvT1_,@function
_ZN7rocprim17ROCPRIM_400000_NS6detail17trampoline_kernelINS0_14default_configENS1_20scan_config_selectorIfEEZZNS1_9scan_implILNS1_25lookback_scan_determinismE0ELb1ELb1ES3_N6thrust23THRUST_200600_302600_NS6detail15normal_iteratorINS9_10device_ptrIjEEEENSB_INSC_IfEEEEfNS9_4plusIvEEfEEDaPvRmT3_T4_T5_mT6_P12ihipStream_tbENKUlT_T0_E_clISt17integral_constantIbLb1EESV_IbLb0EEEEDaSR_SS_EUlSR_E_NS1_11comp_targetILNS1_3genE9ELNS1_11target_archE1100ELNS1_3gpuE3ELNS1_3repE0EEENS1_30default_config_static_selectorELNS0_4arch9wavefront6targetE1EEEvT1_: ; @_ZN7rocprim17ROCPRIM_400000_NS6detail17trampoline_kernelINS0_14default_configENS1_20scan_config_selectorIfEEZZNS1_9scan_implILNS1_25lookback_scan_determinismE0ELb1ELb1ES3_N6thrust23THRUST_200600_302600_NS6detail15normal_iteratorINS9_10device_ptrIjEEEENSB_INSC_IfEEEEfNS9_4plusIvEEfEEDaPvRmT3_T4_T5_mT6_P12ihipStream_tbENKUlT_T0_E_clISt17integral_constantIbLb1EESV_IbLb0EEEEDaSR_SS_EUlSR_E_NS1_11comp_targetILNS1_3genE9ELNS1_11target_archE1100ELNS1_3gpuE3ELNS1_3repE0EEENS1_30default_config_static_selectorELNS0_4arch9wavefront6targetE1EEEvT1_
; %bb.0:
	.section	.rodata,"a",@progbits
	.p2align	6, 0x0
	.amdhsa_kernel _ZN7rocprim17ROCPRIM_400000_NS6detail17trampoline_kernelINS0_14default_configENS1_20scan_config_selectorIfEEZZNS1_9scan_implILNS1_25lookback_scan_determinismE0ELb1ELb1ES3_N6thrust23THRUST_200600_302600_NS6detail15normal_iteratorINS9_10device_ptrIjEEEENSB_INSC_IfEEEEfNS9_4plusIvEEfEEDaPvRmT3_T4_T5_mT6_P12ihipStream_tbENKUlT_T0_E_clISt17integral_constantIbLb1EESV_IbLb0EEEEDaSR_SS_EUlSR_E_NS1_11comp_targetILNS1_3genE9ELNS1_11target_archE1100ELNS1_3gpuE3ELNS1_3repE0EEENS1_30default_config_static_selectorELNS0_4arch9wavefront6targetE1EEEvT1_
		.amdhsa_group_segment_fixed_size 0
		.amdhsa_private_segment_fixed_size 0
		.amdhsa_kernarg_size 96
		.amdhsa_user_sgpr_count 6
		.amdhsa_user_sgpr_private_segment_buffer 1
		.amdhsa_user_sgpr_dispatch_ptr 0
		.amdhsa_user_sgpr_queue_ptr 0
		.amdhsa_user_sgpr_kernarg_segment_ptr 1
		.amdhsa_user_sgpr_dispatch_id 0
		.amdhsa_user_sgpr_flat_scratch_init 0
		.amdhsa_user_sgpr_kernarg_preload_length 0
		.amdhsa_user_sgpr_kernarg_preload_offset 0
		.amdhsa_user_sgpr_private_segment_size 0
		.amdhsa_uses_dynamic_stack 0
		.amdhsa_system_sgpr_private_segment_wavefront_offset 0
		.amdhsa_system_sgpr_workgroup_id_x 1
		.amdhsa_system_sgpr_workgroup_id_y 0
		.amdhsa_system_sgpr_workgroup_id_z 0
		.amdhsa_system_sgpr_workgroup_info 0
		.amdhsa_system_vgpr_workitem_id 0
		.amdhsa_next_free_vgpr 1
		.amdhsa_next_free_sgpr 0
		.amdhsa_accum_offset 4
		.amdhsa_reserve_vcc 0
		.amdhsa_reserve_flat_scratch 0
		.amdhsa_float_round_mode_32 0
		.amdhsa_float_round_mode_16_64 0
		.amdhsa_float_denorm_mode_32 3
		.amdhsa_float_denorm_mode_16_64 3
		.amdhsa_dx10_clamp 1
		.amdhsa_ieee_mode 1
		.amdhsa_fp16_overflow 0
		.amdhsa_tg_split 0
		.amdhsa_exception_fp_ieee_invalid_op 0
		.amdhsa_exception_fp_denorm_src 0
		.amdhsa_exception_fp_ieee_div_zero 0
		.amdhsa_exception_fp_ieee_overflow 0
		.amdhsa_exception_fp_ieee_underflow 0
		.amdhsa_exception_fp_ieee_inexact 0
		.amdhsa_exception_int_div_zero 0
	.end_amdhsa_kernel
	.section	.text._ZN7rocprim17ROCPRIM_400000_NS6detail17trampoline_kernelINS0_14default_configENS1_20scan_config_selectorIfEEZZNS1_9scan_implILNS1_25lookback_scan_determinismE0ELb1ELb1ES3_N6thrust23THRUST_200600_302600_NS6detail15normal_iteratorINS9_10device_ptrIjEEEENSB_INSC_IfEEEEfNS9_4plusIvEEfEEDaPvRmT3_T4_T5_mT6_P12ihipStream_tbENKUlT_T0_E_clISt17integral_constantIbLb1EESV_IbLb0EEEEDaSR_SS_EUlSR_E_NS1_11comp_targetILNS1_3genE9ELNS1_11target_archE1100ELNS1_3gpuE3ELNS1_3repE0EEENS1_30default_config_static_selectorELNS0_4arch9wavefront6targetE1EEEvT1_,"axG",@progbits,_ZN7rocprim17ROCPRIM_400000_NS6detail17trampoline_kernelINS0_14default_configENS1_20scan_config_selectorIfEEZZNS1_9scan_implILNS1_25lookback_scan_determinismE0ELb1ELb1ES3_N6thrust23THRUST_200600_302600_NS6detail15normal_iteratorINS9_10device_ptrIjEEEENSB_INSC_IfEEEEfNS9_4plusIvEEfEEDaPvRmT3_T4_T5_mT6_P12ihipStream_tbENKUlT_T0_E_clISt17integral_constantIbLb1EESV_IbLb0EEEEDaSR_SS_EUlSR_E_NS1_11comp_targetILNS1_3genE9ELNS1_11target_archE1100ELNS1_3gpuE3ELNS1_3repE0EEENS1_30default_config_static_selectorELNS0_4arch9wavefront6targetE1EEEvT1_,comdat
.Lfunc_end6131:
	.size	_ZN7rocprim17ROCPRIM_400000_NS6detail17trampoline_kernelINS0_14default_configENS1_20scan_config_selectorIfEEZZNS1_9scan_implILNS1_25lookback_scan_determinismE0ELb1ELb1ES3_N6thrust23THRUST_200600_302600_NS6detail15normal_iteratorINS9_10device_ptrIjEEEENSB_INSC_IfEEEEfNS9_4plusIvEEfEEDaPvRmT3_T4_T5_mT6_P12ihipStream_tbENKUlT_T0_E_clISt17integral_constantIbLb1EESV_IbLb0EEEEDaSR_SS_EUlSR_E_NS1_11comp_targetILNS1_3genE9ELNS1_11target_archE1100ELNS1_3gpuE3ELNS1_3repE0EEENS1_30default_config_static_selectorELNS0_4arch9wavefront6targetE1EEEvT1_, .Lfunc_end6131-_ZN7rocprim17ROCPRIM_400000_NS6detail17trampoline_kernelINS0_14default_configENS1_20scan_config_selectorIfEEZZNS1_9scan_implILNS1_25lookback_scan_determinismE0ELb1ELb1ES3_N6thrust23THRUST_200600_302600_NS6detail15normal_iteratorINS9_10device_ptrIjEEEENSB_INSC_IfEEEEfNS9_4plusIvEEfEEDaPvRmT3_T4_T5_mT6_P12ihipStream_tbENKUlT_T0_E_clISt17integral_constantIbLb1EESV_IbLb0EEEEDaSR_SS_EUlSR_E_NS1_11comp_targetILNS1_3genE9ELNS1_11target_archE1100ELNS1_3gpuE3ELNS1_3repE0EEENS1_30default_config_static_selectorELNS0_4arch9wavefront6targetE1EEEvT1_
                                        ; -- End function
	.section	.AMDGPU.csdata,"",@progbits
; Kernel info:
; codeLenInByte = 0
; NumSgprs: 4
; NumVgprs: 0
; NumAgprs: 0
; TotalNumVgprs: 0
; ScratchSize: 0
; MemoryBound: 0
; FloatMode: 240
; IeeeMode: 1
; LDSByteSize: 0 bytes/workgroup (compile time only)
; SGPRBlocks: 0
; VGPRBlocks: 0
; NumSGPRsForWavesPerEU: 4
; NumVGPRsForWavesPerEU: 1
; AccumOffset: 4
; Occupancy: 8
; WaveLimiterHint : 0
; COMPUTE_PGM_RSRC2:SCRATCH_EN: 0
; COMPUTE_PGM_RSRC2:USER_SGPR: 6
; COMPUTE_PGM_RSRC2:TRAP_HANDLER: 0
; COMPUTE_PGM_RSRC2:TGID_X_EN: 1
; COMPUTE_PGM_RSRC2:TGID_Y_EN: 0
; COMPUTE_PGM_RSRC2:TGID_Z_EN: 0
; COMPUTE_PGM_RSRC2:TIDIG_COMP_CNT: 0
; COMPUTE_PGM_RSRC3_GFX90A:ACCUM_OFFSET: 0
; COMPUTE_PGM_RSRC3_GFX90A:TG_SPLIT: 0
	.section	.text._ZN7rocprim17ROCPRIM_400000_NS6detail17trampoline_kernelINS0_14default_configENS1_20scan_config_selectorIfEEZZNS1_9scan_implILNS1_25lookback_scan_determinismE0ELb1ELb1ES3_N6thrust23THRUST_200600_302600_NS6detail15normal_iteratorINS9_10device_ptrIjEEEENSB_INSC_IfEEEEfNS9_4plusIvEEfEEDaPvRmT3_T4_T5_mT6_P12ihipStream_tbENKUlT_T0_E_clISt17integral_constantIbLb1EESV_IbLb0EEEEDaSR_SS_EUlSR_E_NS1_11comp_targetILNS1_3genE8ELNS1_11target_archE1030ELNS1_3gpuE2ELNS1_3repE0EEENS1_30default_config_static_selectorELNS0_4arch9wavefront6targetE1EEEvT1_,"axG",@progbits,_ZN7rocprim17ROCPRIM_400000_NS6detail17trampoline_kernelINS0_14default_configENS1_20scan_config_selectorIfEEZZNS1_9scan_implILNS1_25lookback_scan_determinismE0ELb1ELb1ES3_N6thrust23THRUST_200600_302600_NS6detail15normal_iteratorINS9_10device_ptrIjEEEENSB_INSC_IfEEEEfNS9_4plusIvEEfEEDaPvRmT3_T4_T5_mT6_P12ihipStream_tbENKUlT_T0_E_clISt17integral_constantIbLb1EESV_IbLb0EEEEDaSR_SS_EUlSR_E_NS1_11comp_targetILNS1_3genE8ELNS1_11target_archE1030ELNS1_3gpuE2ELNS1_3repE0EEENS1_30default_config_static_selectorELNS0_4arch9wavefront6targetE1EEEvT1_,comdat
	.protected	_ZN7rocprim17ROCPRIM_400000_NS6detail17trampoline_kernelINS0_14default_configENS1_20scan_config_selectorIfEEZZNS1_9scan_implILNS1_25lookback_scan_determinismE0ELb1ELb1ES3_N6thrust23THRUST_200600_302600_NS6detail15normal_iteratorINS9_10device_ptrIjEEEENSB_INSC_IfEEEEfNS9_4plusIvEEfEEDaPvRmT3_T4_T5_mT6_P12ihipStream_tbENKUlT_T0_E_clISt17integral_constantIbLb1EESV_IbLb0EEEEDaSR_SS_EUlSR_E_NS1_11comp_targetILNS1_3genE8ELNS1_11target_archE1030ELNS1_3gpuE2ELNS1_3repE0EEENS1_30default_config_static_selectorELNS0_4arch9wavefront6targetE1EEEvT1_ ; -- Begin function _ZN7rocprim17ROCPRIM_400000_NS6detail17trampoline_kernelINS0_14default_configENS1_20scan_config_selectorIfEEZZNS1_9scan_implILNS1_25lookback_scan_determinismE0ELb1ELb1ES3_N6thrust23THRUST_200600_302600_NS6detail15normal_iteratorINS9_10device_ptrIjEEEENSB_INSC_IfEEEEfNS9_4plusIvEEfEEDaPvRmT3_T4_T5_mT6_P12ihipStream_tbENKUlT_T0_E_clISt17integral_constantIbLb1EESV_IbLb0EEEEDaSR_SS_EUlSR_E_NS1_11comp_targetILNS1_3genE8ELNS1_11target_archE1030ELNS1_3gpuE2ELNS1_3repE0EEENS1_30default_config_static_selectorELNS0_4arch9wavefront6targetE1EEEvT1_
	.globl	_ZN7rocprim17ROCPRIM_400000_NS6detail17trampoline_kernelINS0_14default_configENS1_20scan_config_selectorIfEEZZNS1_9scan_implILNS1_25lookback_scan_determinismE0ELb1ELb1ES3_N6thrust23THRUST_200600_302600_NS6detail15normal_iteratorINS9_10device_ptrIjEEEENSB_INSC_IfEEEEfNS9_4plusIvEEfEEDaPvRmT3_T4_T5_mT6_P12ihipStream_tbENKUlT_T0_E_clISt17integral_constantIbLb1EESV_IbLb0EEEEDaSR_SS_EUlSR_E_NS1_11comp_targetILNS1_3genE8ELNS1_11target_archE1030ELNS1_3gpuE2ELNS1_3repE0EEENS1_30default_config_static_selectorELNS0_4arch9wavefront6targetE1EEEvT1_
	.p2align	8
	.type	_ZN7rocprim17ROCPRIM_400000_NS6detail17trampoline_kernelINS0_14default_configENS1_20scan_config_selectorIfEEZZNS1_9scan_implILNS1_25lookback_scan_determinismE0ELb1ELb1ES3_N6thrust23THRUST_200600_302600_NS6detail15normal_iteratorINS9_10device_ptrIjEEEENSB_INSC_IfEEEEfNS9_4plusIvEEfEEDaPvRmT3_T4_T5_mT6_P12ihipStream_tbENKUlT_T0_E_clISt17integral_constantIbLb1EESV_IbLb0EEEEDaSR_SS_EUlSR_E_NS1_11comp_targetILNS1_3genE8ELNS1_11target_archE1030ELNS1_3gpuE2ELNS1_3repE0EEENS1_30default_config_static_selectorELNS0_4arch9wavefront6targetE1EEEvT1_,@function
_ZN7rocprim17ROCPRIM_400000_NS6detail17trampoline_kernelINS0_14default_configENS1_20scan_config_selectorIfEEZZNS1_9scan_implILNS1_25lookback_scan_determinismE0ELb1ELb1ES3_N6thrust23THRUST_200600_302600_NS6detail15normal_iteratorINS9_10device_ptrIjEEEENSB_INSC_IfEEEEfNS9_4plusIvEEfEEDaPvRmT3_T4_T5_mT6_P12ihipStream_tbENKUlT_T0_E_clISt17integral_constantIbLb1EESV_IbLb0EEEEDaSR_SS_EUlSR_E_NS1_11comp_targetILNS1_3genE8ELNS1_11target_archE1030ELNS1_3gpuE2ELNS1_3repE0EEENS1_30default_config_static_selectorELNS0_4arch9wavefront6targetE1EEEvT1_: ; @_ZN7rocprim17ROCPRIM_400000_NS6detail17trampoline_kernelINS0_14default_configENS1_20scan_config_selectorIfEEZZNS1_9scan_implILNS1_25lookback_scan_determinismE0ELb1ELb1ES3_N6thrust23THRUST_200600_302600_NS6detail15normal_iteratorINS9_10device_ptrIjEEEENSB_INSC_IfEEEEfNS9_4plusIvEEfEEDaPvRmT3_T4_T5_mT6_P12ihipStream_tbENKUlT_T0_E_clISt17integral_constantIbLb1EESV_IbLb0EEEEDaSR_SS_EUlSR_E_NS1_11comp_targetILNS1_3genE8ELNS1_11target_archE1030ELNS1_3gpuE2ELNS1_3repE0EEENS1_30default_config_static_selectorELNS0_4arch9wavefront6targetE1EEEvT1_
; %bb.0:
	.section	.rodata,"a",@progbits
	.p2align	6, 0x0
	.amdhsa_kernel _ZN7rocprim17ROCPRIM_400000_NS6detail17trampoline_kernelINS0_14default_configENS1_20scan_config_selectorIfEEZZNS1_9scan_implILNS1_25lookback_scan_determinismE0ELb1ELb1ES3_N6thrust23THRUST_200600_302600_NS6detail15normal_iteratorINS9_10device_ptrIjEEEENSB_INSC_IfEEEEfNS9_4plusIvEEfEEDaPvRmT3_T4_T5_mT6_P12ihipStream_tbENKUlT_T0_E_clISt17integral_constantIbLb1EESV_IbLb0EEEEDaSR_SS_EUlSR_E_NS1_11comp_targetILNS1_3genE8ELNS1_11target_archE1030ELNS1_3gpuE2ELNS1_3repE0EEENS1_30default_config_static_selectorELNS0_4arch9wavefront6targetE1EEEvT1_
		.amdhsa_group_segment_fixed_size 0
		.amdhsa_private_segment_fixed_size 0
		.amdhsa_kernarg_size 96
		.amdhsa_user_sgpr_count 6
		.amdhsa_user_sgpr_private_segment_buffer 1
		.amdhsa_user_sgpr_dispatch_ptr 0
		.amdhsa_user_sgpr_queue_ptr 0
		.amdhsa_user_sgpr_kernarg_segment_ptr 1
		.amdhsa_user_sgpr_dispatch_id 0
		.amdhsa_user_sgpr_flat_scratch_init 0
		.amdhsa_user_sgpr_kernarg_preload_length 0
		.amdhsa_user_sgpr_kernarg_preload_offset 0
		.amdhsa_user_sgpr_private_segment_size 0
		.amdhsa_uses_dynamic_stack 0
		.amdhsa_system_sgpr_private_segment_wavefront_offset 0
		.amdhsa_system_sgpr_workgroup_id_x 1
		.amdhsa_system_sgpr_workgroup_id_y 0
		.amdhsa_system_sgpr_workgroup_id_z 0
		.amdhsa_system_sgpr_workgroup_info 0
		.amdhsa_system_vgpr_workitem_id 0
		.amdhsa_next_free_vgpr 1
		.amdhsa_next_free_sgpr 0
		.amdhsa_accum_offset 4
		.amdhsa_reserve_vcc 0
		.amdhsa_reserve_flat_scratch 0
		.amdhsa_float_round_mode_32 0
		.amdhsa_float_round_mode_16_64 0
		.amdhsa_float_denorm_mode_32 3
		.amdhsa_float_denorm_mode_16_64 3
		.amdhsa_dx10_clamp 1
		.amdhsa_ieee_mode 1
		.amdhsa_fp16_overflow 0
		.amdhsa_tg_split 0
		.amdhsa_exception_fp_ieee_invalid_op 0
		.amdhsa_exception_fp_denorm_src 0
		.amdhsa_exception_fp_ieee_div_zero 0
		.amdhsa_exception_fp_ieee_overflow 0
		.amdhsa_exception_fp_ieee_underflow 0
		.amdhsa_exception_fp_ieee_inexact 0
		.amdhsa_exception_int_div_zero 0
	.end_amdhsa_kernel
	.section	.text._ZN7rocprim17ROCPRIM_400000_NS6detail17trampoline_kernelINS0_14default_configENS1_20scan_config_selectorIfEEZZNS1_9scan_implILNS1_25lookback_scan_determinismE0ELb1ELb1ES3_N6thrust23THRUST_200600_302600_NS6detail15normal_iteratorINS9_10device_ptrIjEEEENSB_INSC_IfEEEEfNS9_4plusIvEEfEEDaPvRmT3_T4_T5_mT6_P12ihipStream_tbENKUlT_T0_E_clISt17integral_constantIbLb1EESV_IbLb0EEEEDaSR_SS_EUlSR_E_NS1_11comp_targetILNS1_3genE8ELNS1_11target_archE1030ELNS1_3gpuE2ELNS1_3repE0EEENS1_30default_config_static_selectorELNS0_4arch9wavefront6targetE1EEEvT1_,"axG",@progbits,_ZN7rocprim17ROCPRIM_400000_NS6detail17trampoline_kernelINS0_14default_configENS1_20scan_config_selectorIfEEZZNS1_9scan_implILNS1_25lookback_scan_determinismE0ELb1ELb1ES3_N6thrust23THRUST_200600_302600_NS6detail15normal_iteratorINS9_10device_ptrIjEEEENSB_INSC_IfEEEEfNS9_4plusIvEEfEEDaPvRmT3_T4_T5_mT6_P12ihipStream_tbENKUlT_T0_E_clISt17integral_constantIbLb1EESV_IbLb0EEEEDaSR_SS_EUlSR_E_NS1_11comp_targetILNS1_3genE8ELNS1_11target_archE1030ELNS1_3gpuE2ELNS1_3repE0EEENS1_30default_config_static_selectorELNS0_4arch9wavefront6targetE1EEEvT1_,comdat
.Lfunc_end6132:
	.size	_ZN7rocprim17ROCPRIM_400000_NS6detail17trampoline_kernelINS0_14default_configENS1_20scan_config_selectorIfEEZZNS1_9scan_implILNS1_25lookback_scan_determinismE0ELb1ELb1ES3_N6thrust23THRUST_200600_302600_NS6detail15normal_iteratorINS9_10device_ptrIjEEEENSB_INSC_IfEEEEfNS9_4plusIvEEfEEDaPvRmT3_T4_T5_mT6_P12ihipStream_tbENKUlT_T0_E_clISt17integral_constantIbLb1EESV_IbLb0EEEEDaSR_SS_EUlSR_E_NS1_11comp_targetILNS1_3genE8ELNS1_11target_archE1030ELNS1_3gpuE2ELNS1_3repE0EEENS1_30default_config_static_selectorELNS0_4arch9wavefront6targetE1EEEvT1_, .Lfunc_end6132-_ZN7rocprim17ROCPRIM_400000_NS6detail17trampoline_kernelINS0_14default_configENS1_20scan_config_selectorIfEEZZNS1_9scan_implILNS1_25lookback_scan_determinismE0ELb1ELb1ES3_N6thrust23THRUST_200600_302600_NS6detail15normal_iteratorINS9_10device_ptrIjEEEENSB_INSC_IfEEEEfNS9_4plusIvEEfEEDaPvRmT3_T4_T5_mT6_P12ihipStream_tbENKUlT_T0_E_clISt17integral_constantIbLb1EESV_IbLb0EEEEDaSR_SS_EUlSR_E_NS1_11comp_targetILNS1_3genE8ELNS1_11target_archE1030ELNS1_3gpuE2ELNS1_3repE0EEENS1_30default_config_static_selectorELNS0_4arch9wavefront6targetE1EEEvT1_
                                        ; -- End function
	.section	.AMDGPU.csdata,"",@progbits
; Kernel info:
; codeLenInByte = 0
; NumSgprs: 4
; NumVgprs: 0
; NumAgprs: 0
; TotalNumVgprs: 0
; ScratchSize: 0
; MemoryBound: 0
; FloatMode: 240
; IeeeMode: 1
; LDSByteSize: 0 bytes/workgroup (compile time only)
; SGPRBlocks: 0
; VGPRBlocks: 0
; NumSGPRsForWavesPerEU: 4
; NumVGPRsForWavesPerEU: 1
; AccumOffset: 4
; Occupancy: 8
; WaveLimiterHint : 0
; COMPUTE_PGM_RSRC2:SCRATCH_EN: 0
; COMPUTE_PGM_RSRC2:USER_SGPR: 6
; COMPUTE_PGM_RSRC2:TRAP_HANDLER: 0
; COMPUTE_PGM_RSRC2:TGID_X_EN: 1
; COMPUTE_PGM_RSRC2:TGID_Y_EN: 0
; COMPUTE_PGM_RSRC2:TGID_Z_EN: 0
; COMPUTE_PGM_RSRC2:TIDIG_COMP_CNT: 0
; COMPUTE_PGM_RSRC3_GFX90A:ACCUM_OFFSET: 0
; COMPUTE_PGM_RSRC3_GFX90A:TG_SPLIT: 0
	.section	.text._ZN7rocprim17ROCPRIM_400000_NS6detail17trampoline_kernelINS0_14default_configENS1_20scan_config_selectorIfEEZZNS1_9scan_implILNS1_25lookback_scan_determinismE0ELb1ELb1ES3_N6thrust23THRUST_200600_302600_NS6detail15normal_iteratorINS9_10device_ptrIjEEEENSB_INSC_IfEEEEfNS9_4plusIvEEfEEDaPvRmT3_T4_T5_mT6_P12ihipStream_tbENKUlT_T0_E_clISt17integral_constantIbLb1EESV_IbLb0EEEEDaSR_SS_EUlSR_E0_NS1_11comp_targetILNS1_3genE0ELNS1_11target_archE4294967295ELNS1_3gpuE0ELNS1_3repE0EEENS1_30default_config_static_selectorELNS0_4arch9wavefront6targetE1EEEvT1_,"axG",@progbits,_ZN7rocprim17ROCPRIM_400000_NS6detail17trampoline_kernelINS0_14default_configENS1_20scan_config_selectorIfEEZZNS1_9scan_implILNS1_25lookback_scan_determinismE0ELb1ELb1ES3_N6thrust23THRUST_200600_302600_NS6detail15normal_iteratorINS9_10device_ptrIjEEEENSB_INSC_IfEEEEfNS9_4plusIvEEfEEDaPvRmT3_T4_T5_mT6_P12ihipStream_tbENKUlT_T0_E_clISt17integral_constantIbLb1EESV_IbLb0EEEEDaSR_SS_EUlSR_E0_NS1_11comp_targetILNS1_3genE0ELNS1_11target_archE4294967295ELNS1_3gpuE0ELNS1_3repE0EEENS1_30default_config_static_selectorELNS0_4arch9wavefront6targetE1EEEvT1_,comdat
	.protected	_ZN7rocprim17ROCPRIM_400000_NS6detail17trampoline_kernelINS0_14default_configENS1_20scan_config_selectorIfEEZZNS1_9scan_implILNS1_25lookback_scan_determinismE0ELb1ELb1ES3_N6thrust23THRUST_200600_302600_NS6detail15normal_iteratorINS9_10device_ptrIjEEEENSB_INSC_IfEEEEfNS9_4plusIvEEfEEDaPvRmT3_T4_T5_mT6_P12ihipStream_tbENKUlT_T0_E_clISt17integral_constantIbLb1EESV_IbLb0EEEEDaSR_SS_EUlSR_E0_NS1_11comp_targetILNS1_3genE0ELNS1_11target_archE4294967295ELNS1_3gpuE0ELNS1_3repE0EEENS1_30default_config_static_selectorELNS0_4arch9wavefront6targetE1EEEvT1_ ; -- Begin function _ZN7rocprim17ROCPRIM_400000_NS6detail17trampoline_kernelINS0_14default_configENS1_20scan_config_selectorIfEEZZNS1_9scan_implILNS1_25lookback_scan_determinismE0ELb1ELb1ES3_N6thrust23THRUST_200600_302600_NS6detail15normal_iteratorINS9_10device_ptrIjEEEENSB_INSC_IfEEEEfNS9_4plusIvEEfEEDaPvRmT3_T4_T5_mT6_P12ihipStream_tbENKUlT_T0_E_clISt17integral_constantIbLb1EESV_IbLb0EEEEDaSR_SS_EUlSR_E0_NS1_11comp_targetILNS1_3genE0ELNS1_11target_archE4294967295ELNS1_3gpuE0ELNS1_3repE0EEENS1_30default_config_static_selectorELNS0_4arch9wavefront6targetE1EEEvT1_
	.globl	_ZN7rocprim17ROCPRIM_400000_NS6detail17trampoline_kernelINS0_14default_configENS1_20scan_config_selectorIfEEZZNS1_9scan_implILNS1_25lookback_scan_determinismE0ELb1ELb1ES3_N6thrust23THRUST_200600_302600_NS6detail15normal_iteratorINS9_10device_ptrIjEEEENSB_INSC_IfEEEEfNS9_4plusIvEEfEEDaPvRmT3_T4_T5_mT6_P12ihipStream_tbENKUlT_T0_E_clISt17integral_constantIbLb1EESV_IbLb0EEEEDaSR_SS_EUlSR_E0_NS1_11comp_targetILNS1_3genE0ELNS1_11target_archE4294967295ELNS1_3gpuE0ELNS1_3repE0EEENS1_30default_config_static_selectorELNS0_4arch9wavefront6targetE1EEEvT1_
	.p2align	8
	.type	_ZN7rocprim17ROCPRIM_400000_NS6detail17trampoline_kernelINS0_14default_configENS1_20scan_config_selectorIfEEZZNS1_9scan_implILNS1_25lookback_scan_determinismE0ELb1ELb1ES3_N6thrust23THRUST_200600_302600_NS6detail15normal_iteratorINS9_10device_ptrIjEEEENSB_INSC_IfEEEEfNS9_4plusIvEEfEEDaPvRmT3_T4_T5_mT6_P12ihipStream_tbENKUlT_T0_E_clISt17integral_constantIbLb1EESV_IbLb0EEEEDaSR_SS_EUlSR_E0_NS1_11comp_targetILNS1_3genE0ELNS1_11target_archE4294967295ELNS1_3gpuE0ELNS1_3repE0EEENS1_30default_config_static_selectorELNS0_4arch9wavefront6targetE1EEEvT1_,@function
_ZN7rocprim17ROCPRIM_400000_NS6detail17trampoline_kernelINS0_14default_configENS1_20scan_config_selectorIfEEZZNS1_9scan_implILNS1_25lookback_scan_determinismE0ELb1ELb1ES3_N6thrust23THRUST_200600_302600_NS6detail15normal_iteratorINS9_10device_ptrIjEEEENSB_INSC_IfEEEEfNS9_4plusIvEEfEEDaPvRmT3_T4_T5_mT6_P12ihipStream_tbENKUlT_T0_E_clISt17integral_constantIbLb1EESV_IbLb0EEEEDaSR_SS_EUlSR_E0_NS1_11comp_targetILNS1_3genE0ELNS1_11target_archE4294967295ELNS1_3gpuE0ELNS1_3repE0EEENS1_30default_config_static_selectorELNS0_4arch9wavefront6targetE1EEEvT1_: ; @_ZN7rocprim17ROCPRIM_400000_NS6detail17trampoline_kernelINS0_14default_configENS1_20scan_config_selectorIfEEZZNS1_9scan_implILNS1_25lookback_scan_determinismE0ELb1ELb1ES3_N6thrust23THRUST_200600_302600_NS6detail15normal_iteratorINS9_10device_ptrIjEEEENSB_INSC_IfEEEEfNS9_4plusIvEEfEEDaPvRmT3_T4_T5_mT6_P12ihipStream_tbENKUlT_T0_E_clISt17integral_constantIbLb1EESV_IbLb0EEEEDaSR_SS_EUlSR_E0_NS1_11comp_targetILNS1_3genE0ELNS1_11target_archE4294967295ELNS1_3gpuE0ELNS1_3repE0EEENS1_30default_config_static_selectorELNS0_4arch9wavefront6targetE1EEEvT1_
; %bb.0:
	.section	.rodata,"a",@progbits
	.p2align	6, 0x0
	.amdhsa_kernel _ZN7rocprim17ROCPRIM_400000_NS6detail17trampoline_kernelINS0_14default_configENS1_20scan_config_selectorIfEEZZNS1_9scan_implILNS1_25lookback_scan_determinismE0ELb1ELb1ES3_N6thrust23THRUST_200600_302600_NS6detail15normal_iteratorINS9_10device_ptrIjEEEENSB_INSC_IfEEEEfNS9_4plusIvEEfEEDaPvRmT3_T4_T5_mT6_P12ihipStream_tbENKUlT_T0_E_clISt17integral_constantIbLb1EESV_IbLb0EEEEDaSR_SS_EUlSR_E0_NS1_11comp_targetILNS1_3genE0ELNS1_11target_archE4294967295ELNS1_3gpuE0ELNS1_3repE0EEENS1_30default_config_static_selectorELNS0_4arch9wavefront6targetE1EEEvT1_
		.amdhsa_group_segment_fixed_size 0
		.amdhsa_private_segment_fixed_size 0
		.amdhsa_kernarg_size 32
		.amdhsa_user_sgpr_count 6
		.amdhsa_user_sgpr_private_segment_buffer 1
		.amdhsa_user_sgpr_dispatch_ptr 0
		.amdhsa_user_sgpr_queue_ptr 0
		.amdhsa_user_sgpr_kernarg_segment_ptr 1
		.amdhsa_user_sgpr_dispatch_id 0
		.amdhsa_user_sgpr_flat_scratch_init 0
		.amdhsa_user_sgpr_kernarg_preload_length 0
		.amdhsa_user_sgpr_kernarg_preload_offset 0
		.amdhsa_user_sgpr_private_segment_size 0
		.amdhsa_uses_dynamic_stack 0
		.amdhsa_system_sgpr_private_segment_wavefront_offset 0
		.amdhsa_system_sgpr_workgroup_id_x 1
		.amdhsa_system_sgpr_workgroup_id_y 0
		.amdhsa_system_sgpr_workgroup_id_z 0
		.amdhsa_system_sgpr_workgroup_info 0
		.amdhsa_system_vgpr_workitem_id 0
		.amdhsa_next_free_vgpr 1
		.amdhsa_next_free_sgpr 0
		.amdhsa_accum_offset 4
		.amdhsa_reserve_vcc 0
		.amdhsa_reserve_flat_scratch 0
		.amdhsa_float_round_mode_32 0
		.amdhsa_float_round_mode_16_64 0
		.amdhsa_float_denorm_mode_32 3
		.amdhsa_float_denorm_mode_16_64 3
		.amdhsa_dx10_clamp 1
		.amdhsa_ieee_mode 1
		.amdhsa_fp16_overflow 0
		.amdhsa_tg_split 0
		.amdhsa_exception_fp_ieee_invalid_op 0
		.amdhsa_exception_fp_denorm_src 0
		.amdhsa_exception_fp_ieee_div_zero 0
		.amdhsa_exception_fp_ieee_overflow 0
		.amdhsa_exception_fp_ieee_underflow 0
		.amdhsa_exception_fp_ieee_inexact 0
		.amdhsa_exception_int_div_zero 0
	.end_amdhsa_kernel
	.section	.text._ZN7rocprim17ROCPRIM_400000_NS6detail17trampoline_kernelINS0_14default_configENS1_20scan_config_selectorIfEEZZNS1_9scan_implILNS1_25lookback_scan_determinismE0ELb1ELb1ES3_N6thrust23THRUST_200600_302600_NS6detail15normal_iteratorINS9_10device_ptrIjEEEENSB_INSC_IfEEEEfNS9_4plusIvEEfEEDaPvRmT3_T4_T5_mT6_P12ihipStream_tbENKUlT_T0_E_clISt17integral_constantIbLb1EESV_IbLb0EEEEDaSR_SS_EUlSR_E0_NS1_11comp_targetILNS1_3genE0ELNS1_11target_archE4294967295ELNS1_3gpuE0ELNS1_3repE0EEENS1_30default_config_static_selectorELNS0_4arch9wavefront6targetE1EEEvT1_,"axG",@progbits,_ZN7rocprim17ROCPRIM_400000_NS6detail17trampoline_kernelINS0_14default_configENS1_20scan_config_selectorIfEEZZNS1_9scan_implILNS1_25lookback_scan_determinismE0ELb1ELb1ES3_N6thrust23THRUST_200600_302600_NS6detail15normal_iteratorINS9_10device_ptrIjEEEENSB_INSC_IfEEEEfNS9_4plusIvEEfEEDaPvRmT3_T4_T5_mT6_P12ihipStream_tbENKUlT_T0_E_clISt17integral_constantIbLb1EESV_IbLb0EEEEDaSR_SS_EUlSR_E0_NS1_11comp_targetILNS1_3genE0ELNS1_11target_archE4294967295ELNS1_3gpuE0ELNS1_3repE0EEENS1_30default_config_static_selectorELNS0_4arch9wavefront6targetE1EEEvT1_,comdat
.Lfunc_end6133:
	.size	_ZN7rocprim17ROCPRIM_400000_NS6detail17trampoline_kernelINS0_14default_configENS1_20scan_config_selectorIfEEZZNS1_9scan_implILNS1_25lookback_scan_determinismE0ELb1ELb1ES3_N6thrust23THRUST_200600_302600_NS6detail15normal_iteratorINS9_10device_ptrIjEEEENSB_INSC_IfEEEEfNS9_4plusIvEEfEEDaPvRmT3_T4_T5_mT6_P12ihipStream_tbENKUlT_T0_E_clISt17integral_constantIbLb1EESV_IbLb0EEEEDaSR_SS_EUlSR_E0_NS1_11comp_targetILNS1_3genE0ELNS1_11target_archE4294967295ELNS1_3gpuE0ELNS1_3repE0EEENS1_30default_config_static_selectorELNS0_4arch9wavefront6targetE1EEEvT1_, .Lfunc_end6133-_ZN7rocprim17ROCPRIM_400000_NS6detail17trampoline_kernelINS0_14default_configENS1_20scan_config_selectorIfEEZZNS1_9scan_implILNS1_25lookback_scan_determinismE0ELb1ELb1ES3_N6thrust23THRUST_200600_302600_NS6detail15normal_iteratorINS9_10device_ptrIjEEEENSB_INSC_IfEEEEfNS9_4plusIvEEfEEDaPvRmT3_T4_T5_mT6_P12ihipStream_tbENKUlT_T0_E_clISt17integral_constantIbLb1EESV_IbLb0EEEEDaSR_SS_EUlSR_E0_NS1_11comp_targetILNS1_3genE0ELNS1_11target_archE4294967295ELNS1_3gpuE0ELNS1_3repE0EEENS1_30default_config_static_selectorELNS0_4arch9wavefront6targetE1EEEvT1_
                                        ; -- End function
	.section	.AMDGPU.csdata,"",@progbits
; Kernel info:
; codeLenInByte = 0
; NumSgprs: 4
; NumVgprs: 0
; NumAgprs: 0
; TotalNumVgprs: 0
; ScratchSize: 0
; MemoryBound: 0
; FloatMode: 240
; IeeeMode: 1
; LDSByteSize: 0 bytes/workgroup (compile time only)
; SGPRBlocks: 0
; VGPRBlocks: 0
; NumSGPRsForWavesPerEU: 4
; NumVGPRsForWavesPerEU: 1
; AccumOffset: 4
; Occupancy: 8
; WaveLimiterHint : 0
; COMPUTE_PGM_RSRC2:SCRATCH_EN: 0
; COMPUTE_PGM_RSRC2:USER_SGPR: 6
; COMPUTE_PGM_RSRC2:TRAP_HANDLER: 0
; COMPUTE_PGM_RSRC2:TGID_X_EN: 1
; COMPUTE_PGM_RSRC2:TGID_Y_EN: 0
; COMPUTE_PGM_RSRC2:TGID_Z_EN: 0
; COMPUTE_PGM_RSRC2:TIDIG_COMP_CNT: 0
; COMPUTE_PGM_RSRC3_GFX90A:ACCUM_OFFSET: 0
; COMPUTE_PGM_RSRC3_GFX90A:TG_SPLIT: 0
	.section	.text._ZN7rocprim17ROCPRIM_400000_NS6detail17trampoline_kernelINS0_14default_configENS1_20scan_config_selectorIfEEZZNS1_9scan_implILNS1_25lookback_scan_determinismE0ELb1ELb1ES3_N6thrust23THRUST_200600_302600_NS6detail15normal_iteratorINS9_10device_ptrIjEEEENSB_INSC_IfEEEEfNS9_4plusIvEEfEEDaPvRmT3_T4_T5_mT6_P12ihipStream_tbENKUlT_T0_E_clISt17integral_constantIbLb1EESV_IbLb0EEEEDaSR_SS_EUlSR_E0_NS1_11comp_targetILNS1_3genE5ELNS1_11target_archE942ELNS1_3gpuE9ELNS1_3repE0EEENS1_30default_config_static_selectorELNS0_4arch9wavefront6targetE1EEEvT1_,"axG",@progbits,_ZN7rocprim17ROCPRIM_400000_NS6detail17trampoline_kernelINS0_14default_configENS1_20scan_config_selectorIfEEZZNS1_9scan_implILNS1_25lookback_scan_determinismE0ELb1ELb1ES3_N6thrust23THRUST_200600_302600_NS6detail15normal_iteratorINS9_10device_ptrIjEEEENSB_INSC_IfEEEEfNS9_4plusIvEEfEEDaPvRmT3_T4_T5_mT6_P12ihipStream_tbENKUlT_T0_E_clISt17integral_constantIbLb1EESV_IbLb0EEEEDaSR_SS_EUlSR_E0_NS1_11comp_targetILNS1_3genE5ELNS1_11target_archE942ELNS1_3gpuE9ELNS1_3repE0EEENS1_30default_config_static_selectorELNS0_4arch9wavefront6targetE1EEEvT1_,comdat
	.protected	_ZN7rocprim17ROCPRIM_400000_NS6detail17trampoline_kernelINS0_14default_configENS1_20scan_config_selectorIfEEZZNS1_9scan_implILNS1_25lookback_scan_determinismE0ELb1ELb1ES3_N6thrust23THRUST_200600_302600_NS6detail15normal_iteratorINS9_10device_ptrIjEEEENSB_INSC_IfEEEEfNS9_4plusIvEEfEEDaPvRmT3_T4_T5_mT6_P12ihipStream_tbENKUlT_T0_E_clISt17integral_constantIbLb1EESV_IbLb0EEEEDaSR_SS_EUlSR_E0_NS1_11comp_targetILNS1_3genE5ELNS1_11target_archE942ELNS1_3gpuE9ELNS1_3repE0EEENS1_30default_config_static_selectorELNS0_4arch9wavefront6targetE1EEEvT1_ ; -- Begin function _ZN7rocprim17ROCPRIM_400000_NS6detail17trampoline_kernelINS0_14default_configENS1_20scan_config_selectorIfEEZZNS1_9scan_implILNS1_25lookback_scan_determinismE0ELb1ELb1ES3_N6thrust23THRUST_200600_302600_NS6detail15normal_iteratorINS9_10device_ptrIjEEEENSB_INSC_IfEEEEfNS9_4plusIvEEfEEDaPvRmT3_T4_T5_mT6_P12ihipStream_tbENKUlT_T0_E_clISt17integral_constantIbLb1EESV_IbLb0EEEEDaSR_SS_EUlSR_E0_NS1_11comp_targetILNS1_3genE5ELNS1_11target_archE942ELNS1_3gpuE9ELNS1_3repE0EEENS1_30default_config_static_selectorELNS0_4arch9wavefront6targetE1EEEvT1_
	.globl	_ZN7rocprim17ROCPRIM_400000_NS6detail17trampoline_kernelINS0_14default_configENS1_20scan_config_selectorIfEEZZNS1_9scan_implILNS1_25lookback_scan_determinismE0ELb1ELb1ES3_N6thrust23THRUST_200600_302600_NS6detail15normal_iteratorINS9_10device_ptrIjEEEENSB_INSC_IfEEEEfNS9_4plusIvEEfEEDaPvRmT3_T4_T5_mT6_P12ihipStream_tbENKUlT_T0_E_clISt17integral_constantIbLb1EESV_IbLb0EEEEDaSR_SS_EUlSR_E0_NS1_11comp_targetILNS1_3genE5ELNS1_11target_archE942ELNS1_3gpuE9ELNS1_3repE0EEENS1_30default_config_static_selectorELNS0_4arch9wavefront6targetE1EEEvT1_
	.p2align	8
	.type	_ZN7rocprim17ROCPRIM_400000_NS6detail17trampoline_kernelINS0_14default_configENS1_20scan_config_selectorIfEEZZNS1_9scan_implILNS1_25lookback_scan_determinismE0ELb1ELb1ES3_N6thrust23THRUST_200600_302600_NS6detail15normal_iteratorINS9_10device_ptrIjEEEENSB_INSC_IfEEEEfNS9_4plusIvEEfEEDaPvRmT3_T4_T5_mT6_P12ihipStream_tbENKUlT_T0_E_clISt17integral_constantIbLb1EESV_IbLb0EEEEDaSR_SS_EUlSR_E0_NS1_11comp_targetILNS1_3genE5ELNS1_11target_archE942ELNS1_3gpuE9ELNS1_3repE0EEENS1_30default_config_static_selectorELNS0_4arch9wavefront6targetE1EEEvT1_,@function
_ZN7rocprim17ROCPRIM_400000_NS6detail17trampoline_kernelINS0_14default_configENS1_20scan_config_selectorIfEEZZNS1_9scan_implILNS1_25lookback_scan_determinismE0ELb1ELb1ES3_N6thrust23THRUST_200600_302600_NS6detail15normal_iteratorINS9_10device_ptrIjEEEENSB_INSC_IfEEEEfNS9_4plusIvEEfEEDaPvRmT3_T4_T5_mT6_P12ihipStream_tbENKUlT_T0_E_clISt17integral_constantIbLb1EESV_IbLb0EEEEDaSR_SS_EUlSR_E0_NS1_11comp_targetILNS1_3genE5ELNS1_11target_archE942ELNS1_3gpuE9ELNS1_3repE0EEENS1_30default_config_static_selectorELNS0_4arch9wavefront6targetE1EEEvT1_: ; @_ZN7rocprim17ROCPRIM_400000_NS6detail17trampoline_kernelINS0_14default_configENS1_20scan_config_selectorIfEEZZNS1_9scan_implILNS1_25lookback_scan_determinismE0ELb1ELb1ES3_N6thrust23THRUST_200600_302600_NS6detail15normal_iteratorINS9_10device_ptrIjEEEENSB_INSC_IfEEEEfNS9_4plusIvEEfEEDaPvRmT3_T4_T5_mT6_P12ihipStream_tbENKUlT_T0_E_clISt17integral_constantIbLb1EESV_IbLb0EEEEDaSR_SS_EUlSR_E0_NS1_11comp_targetILNS1_3genE5ELNS1_11target_archE942ELNS1_3gpuE9ELNS1_3repE0EEENS1_30default_config_static_selectorELNS0_4arch9wavefront6targetE1EEEvT1_
; %bb.0:
	.section	.rodata,"a",@progbits
	.p2align	6, 0x0
	.amdhsa_kernel _ZN7rocprim17ROCPRIM_400000_NS6detail17trampoline_kernelINS0_14default_configENS1_20scan_config_selectorIfEEZZNS1_9scan_implILNS1_25lookback_scan_determinismE0ELb1ELb1ES3_N6thrust23THRUST_200600_302600_NS6detail15normal_iteratorINS9_10device_ptrIjEEEENSB_INSC_IfEEEEfNS9_4plusIvEEfEEDaPvRmT3_T4_T5_mT6_P12ihipStream_tbENKUlT_T0_E_clISt17integral_constantIbLb1EESV_IbLb0EEEEDaSR_SS_EUlSR_E0_NS1_11comp_targetILNS1_3genE5ELNS1_11target_archE942ELNS1_3gpuE9ELNS1_3repE0EEENS1_30default_config_static_selectorELNS0_4arch9wavefront6targetE1EEEvT1_
		.amdhsa_group_segment_fixed_size 0
		.amdhsa_private_segment_fixed_size 0
		.amdhsa_kernarg_size 32
		.amdhsa_user_sgpr_count 6
		.amdhsa_user_sgpr_private_segment_buffer 1
		.amdhsa_user_sgpr_dispatch_ptr 0
		.amdhsa_user_sgpr_queue_ptr 0
		.amdhsa_user_sgpr_kernarg_segment_ptr 1
		.amdhsa_user_sgpr_dispatch_id 0
		.amdhsa_user_sgpr_flat_scratch_init 0
		.amdhsa_user_sgpr_kernarg_preload_length 0
		.amdhsa_user_sgpr_kernarg_preload_offset 0
		.amdhsa_user_sgpr_private_segment_size 0
		.amdhsa_uses_dynamic_stack 0
		.amdhsa_system_sgpr_private_segment_wavefront_offset 0
		.amdhsa_system_sgpr_workgroup_id_x 1
		.amdhsa_system_sgpr_workgroup_id_y 0
		.amdhsa_system_sgpr_workgroup_id_z 0
		.amdhsa_system_sgpr_workgroup_info 0
		.amdhsa_system_vgpr_workitem_id 0
		.amdhsa_next_free_vgpr 1
		.amdhsa_next_free_sgpr 0
		.amdhsa_accum_offset 4
		.amdhsa_reserve_vcc 0
		.amdhsa_reserve_flat_scratch 0
		.amdhsa_float_round_mode_32 0
		.amdhsa_float_round_mode_16_64 0
		.amdhsa_float_denorm_mode_32 3
		.amdhsa_float_denorm_mode_16_64 3
		.amdhsa_dx10_clamp 1
		.amdhsa_ieee_mode 1
		.amdhsa_fp16_overflow 0
		.amdhsa_tg_split 0
		.amdhsa_exception_fp_ieee_invalid_op 0
		.amdhsa_exception_fp_denorm_src 0
		.amdhsa_exception_fp_ieee_div_zero 0
		.amdhsa_exception_fp_ieee_overflow 0
		.amdhsa_exception_fp_ieee_underflow 0
		.amdhsa_exception_fp_ieee_inexact 0
		.amdhsa_exception_int_div_zero 0
	.end_amdhsa_kernel
	.section	.text._ZN7rocprim17ROCPRIM_400000_NS6detail17trampoline_kernelINS0_14default_configENS1_20scan_config_selectorIfEEZZNS1_9scan_implILNS1_25lookback_scan_determinismE0ELb1ELb1ES3_N6thrust23THRUST_200600_302600_NS6detail15normal_iteratorINS9_10device_ptrIjEEEENSB_INSC_IfEEEEfNS9_4plusIvEEfEEDaPvRmT3_T4_T5_mT6_P12ihipStream_tbENKUlT_T0_E_clISt17integral_constantIbLb1EESV_IbLb0EEEEDaSR_SS_EUlSR_E0_NS1_11comp_targetILNS1_3genE5ELNS1_11target_archE942ELNS1_3gpuE9ELNS1_3repE0EEENS1_30default_config_static_selectorELNS0_4arch9wavefront6targetE1EEEvT1_,"axG",@progbits,_ZN7rocprim17ROCPRIM_400000_NS6detail17trampoline_kernelINS0_14default_configENS1_20scan_config_selectorIfEEZZNS1_9scan_implILNS1_25lookback_scan_determinismE0ELb1ELb1ES3_N6thrust23THRUST_200600_302600_NS6detail15normal_iteratorINS9_10device_ptrIjEEEENSB_INSC_IfEEEEfNS9_4plusIvEEfEEDaPvRmT3_T4_T5_mT6_P12ihipStream_tbENKUlT_T0_E_clISt17integral_constantIbLb1EESV_IbLb0EEEEDaSR_SS_EUlSR_E0_NS1_11comp_targetILNS1_3genE5ELNS1_11target_archE942ELNS1_3gpuE9ELNS1_3repE0EEENS1_30default_config_static_selectorELNS0_4arch9wavefront6targetE1EEEvT1_,comdat
.Lfunc_end6134:
	.size	_ZN7rocprim17ROCPRIM_400000_NS6detail17trampoline_kernelINS0_14default_configENS1_20scan_config_selectorIfEEZZNS1_9scan_implILNS1_25lookback_scan_determinismE0ELb1ELb1ES3_N6thrust23THRUST_200600_302600_NS6detail15normal_iteratorINS9_10device_ptrIjEEEENSB_INSC_IfEEEEfNS9_4plusIvEEfEEDaPvRmT3_T4_T5_mT6_P12ihipStream_tbENKUlT_T0_E_clISt17integral_constantIbLb1EESV_IbLb0EEEEDaSR_SS_EUlSR_E0_NS1_11comp_targetILNS1_3genE5ELNS1_11target_archE942ELNS1_3gpuE9ELNS1_3repE0EEENS1_30default_config_static_selectorELNS0_4arch9wavefront6targetE1EEEvT1_, .Lfunc_end6134-_ZN7rocprim17ROCPRIM_400000_NS6detail17trampoline_kernelINS0_14default_configENS1_20scan_config_selectorIfEEZZNS1_9scan_implILNS1_25lookback_scan_determinismE0ELb1ELb1ES3_N6thrust23THRUST_200600_302600_NS6detail15normal_iteratorINS9_10device_ptrIjEEEENSB_INSC_IfEEEEfNS9_4plusIvEEfEEDaPvRmT3_T4_T5_mT6_P12ihipStream_tbENKUlT_T0_E_clISt17integral_constantIbLb1EESV_IbLb0EEEEDaSR_SS_EUlSR_E0_NS1_11comp_targetILNS1_3genE5ELNS1_11target_archE942ELNS1_3gpuE9ELNS1_3repE0EEENS1_30default_config_static_selectorELNS0_4arch9wavefront6targetE1EEEvT1_
                                        ; -- End function
	.section	.AMDGPU.csdata,"",@progbits
; Kernel info:
; codeLenInByte = 0
; NumSgprs: 4
; NumVgprs: 0
; NumAgprs: 0
; TotalNumVgprs: 0
; ScratchSize: 0
; MemoryBound: 0
; FloatMode: 240
; IeeeMode: 1
; LDSByteSize: 0 bytes/workgroup (compile time only)
; SGPRBlocks: 0
; VGPRBlocks: 0
; NumSGPRsForWavesPerEU: 4
; NumVGPRsForWavesPerEU: 1
; AccumOffset: 4
; Occupancy: 8
; WaveLimiterHint : 0
; COMPUTE_PGM_RSRC2:SCRATCH_EN: 0
; COMPUTE_PGM_RSRC2:USER_SGPR: 6
; COMPUTE_PGM_RSRC2:TRAP_HANDLER: 0
; COMPUTE_PGM_RSRC2:TGID_X_EN: 1
; COMPUTE_PGM_RSRC2:TGID_Y_EN: 0
; COMPUTE_PGM_RSRC2:TGID_Z_EN: 0
; COMPUTE_PGM_RSRC2:TIDIG_COMP_CNT: 0
; COMPUTE_PGM_RSRC3_GFX90A:ACCUM_OFFSET: 0
; COMPUTE_PGM_RSRC3_GFX90A:TG_SPLIT: 0
	.section	.text._ZN7rocprim17ROCPRIM_400000_NS6detail17trampoline_kernelINS0_14default_configENS1_20scan_config_selectorIfEEZZNS1_9scan_implILNS1_25lookback_scan_determinismE0ELb1ELb1ES3_N6thrust23THRUST_200600_302600_NS6detail15normal_iteratorINS9_10device_ptrIjEEEENSB_INSC_IfEEEEfNS9_4plusIvEEfEEDaPvRmT3_T4_T5_mT6_P12ihipStream_tbENKUlT_T0_E_clISt17integral_constantIbLb1EESV_IbLb0EEEEDaSR_SS_EUlSR_E0_NS1_11comp_targetILNS1_3genE4ELNS1_11target_archE910ELNS1_3gpuE8ELNS1_3repE0EEENS1_30default_config_static_selectorELNS0_4arch9wavefront6targetE1EEEvT1_,"axG",@progbits,_ZN7rocprim17ROCPRIM_400000_NS6detail17trampoline_kernelINS0_14default_configENS1_20scan_config_selectorIfEEZZNS1_9scan_implILNS1_25lookback_scan_determinismE0ELb1ELb1ES3_N6thrust23THRUST_200600_302600_NS6detail15normal_iteratorINS9_10device_ptrIjEEEENSB_INSC_IfEEEEfNS9_4plusIvEEfEEDaPvRmT3_T4_T5_mT6_P12ihipStream_tbENKUlT_T0_E_clISt17integral_constantIbLb1EESV_IbLb0EEEEDaSR_SS_EUlSR_E0_NS1_11comp_targetILNS1_3genE4ELNS1_11target_archE910ELNS1_3gpuE8ELNS1_3repE0EEENS1_30default_config_static_selectorELNS0_4arch9wavefront6targetE1EEEvT1_,comdat
	.protected	_ZN7rocprim17ROCPRIM_400000_NS6detail17trampoline_kernelINS0_14default_configENS1_20scan_config_selectorIfEEZZNS1_9scan_implILNS1_25lookback_scan_determinismE0ELb1ELb1ES3_N6thrust23THRUST_200600_302600_NS6detail15normal_iteratorINS9_10device_ptrIjEEEENSB_INSC_IfEEEEfNS9_4plusIvEEfEEDaPvRmT3_T4_T5_mT6_P12ihipStream_tbENKUlT_T0_E_clISt17integral_constantIbLb1EESV_IbLb0EEEEDaSR_SS_EUlSR_E0_NS1_11comp_targetILNS1_3genE4ELNS1_11target_archE910ELNS1_3gpuE8ELNS1_3repE0EEENS1_30default_config_static_selectorELNS0_4arch9wavefront6targetE1EEEvT1_ ; -- Begin function _ZN7rocprim17ROCPRIM_400000_NS6detail17trampoline_kernelINS0_14default_configENS1_20scan_config_selectorIfEEZZNS1_9scan_implILNS1_25lookback_scan_determinismE0ELb1ELb1ES3_N6thrust23THRUST_200600_302600_NS6detail15normal_iteratorINS9_10device_ptrIjEEEENSB_INSC_IfEEEEfNS9_4plusIvEEfEEDaPvRmT3_T4_T5_mT6_P12ihipStream_tbENKUlT_T0_E_clISt17integral_constantIbLb1EESV_IbLb0EEEEDaSR_SS_EUlSR_E0_NS1_11comp_targetILNS1_3genE4ELNS1_11target_archE910ELNS1_3gpuE8ELNS1_3repE0EEENS1_30default_config_static_selectorELNS0_4arch9wavefront6targetE1EEEvT1_
	.globl	_ZN7rocprim17ROCPRIM_400000_NS6detail17trampoline_kernelINS0_14default_configENS1_20scan_config_selectorIfEEZZNS1_9scan_implILNS1_25lookback_scan_determinismE0ELb1ELb1ES3_N6thrust23THRUST_200600_302600_NS6detail15normal_iteratorINS9_10device_ptrIjEEEENSB_INSC_IfEEEEfNS9_4plusIvEEfEEDaPvRmT3_T4_T5_mT6_P12ihipStream_tbENKUlT_T0_E_clISt17integral_constantIbLb1EESV_IbLb0EEEEDaSR_SS_EUlSR_E0_NS1_11comp_targetILNS1_3genE4ELNS1_11target_archE910ELNS1_3gpuE8ELNS1_3repE0EEENS1_30default_config_static_selectorELNS0_4arch9wavefront6targetE1EEEvT1_
	.p2align	8
	.type	_ZN7rocprim17ROCPRIM_400000_NS6detail17trampoline_kernelINS0_14default_configENS1_20scan_config_selectorIfEEZZNS1_9scan_implILNS1_25lookback_scan_determinismE0ELb1ELb1ES3_N6thrust23THRUST_200600_302600_NS6detail15normal_iteratorINS9_10device_ptrIjEEEENSB_INSC_IfEEEEfNS9_4plusIvEEfEEDaPvRmT3_T4_T5_mT6_P12ihipStream_tbENKUlT_T0_E_clISt17integral_constantIbLb1EESV_IbLb0EEEEDaSR_SS_EUlSR_E0_NS1_11comp_targetILNS1_3genE4ELNS1_11target_archE910ELNS1_3gpuE8ELNS1_3repE0EEENS1_30default_config_static_selectorELNS0_4arch9wavefront6targetE1EEEvT1_,@function
_ZN7rocprim17ROCPRIM_400000_NS6detail17trampoline_kernelINS0_14default_configENS1_20scan_config_selectorIfEEZZNS1_9scan_implILNS1_25lookback_scan_determinismE0ELb1ELb1ES3_N6thrust23THRUST_200600_302600_NS6detail15normal_iteratorINS9_10device_ptrIjEEEENSB_INSC_IfEEEEfNS9_4plusIvEEfEEDaPvRmT3_T4_T5_mT6_P12ihipStream_tbENKUlT_T0_E_clISt17integral_constantIbLb1EESV_IbLb0EEEEDaSR_SS_EUlSR_E0_NS1_11comp_targetILNS1_3genE4ELNS1_11target_archE910ELNS1_3gpuE8ELNS1_3repE0EEENS1_30default_config_static_selectorELNS0_4arch9wavefront6targetE1EEEvT1_: ; @_ZN7rocprim17ROCPRIM_400000_NS6detail17trampoline_kernelINS0_14default_configENS1_20scan_config_selectorIfEEZZNS1_9scan_implILNS1_25lookback_scan_determinismE0ELb1ELb1ES3_N6thrust23THRUST_200600_302600_NS6detail15normal_iteratorINS9_10device_ptrIjEEEENSB_INSC_IfEEEEfNS9_4plusIvEEfEEDaPvRmT3_T4_T5_mT6_P12ihipStream_tbENKUlT_T0_E_clISt17integral_constantIbLb1EESV_IbLb0EEEEDaSR_SS_EUlSR_E0_NS1_11comp_targetILNS1_3genE4ELNS1_11target_archE910ELNS1_3gpuE8ELNS1_3repE0EEENS1_30default_config_static_selectorELNS0_4arch9wavefront6targetE1EEEvT1_
; %bb.0:
	s_load_dwordx4 s[28:31], s[4:5], 0x0
	v_lshlrev_b32_e32 v18, 2, v0
	s_waitcnt lgkmcnt(0)
	s_load_dword s0, s[28:29], 0x0
	v_cmp_gt_u32_e32 vcc, s30, v0
	s_waitcnt lgkmcnt(0)
	v_cvt_f32_u32_e32 v1, s0
	v_mov_b32_e32 v2, v1
	s_and_saveexec_b64 s[0:1], vcc
	s_cbranch_execz .LBB6135_2
; %bb.1:
	global_load_dword v2, v18, s[28:29]
	s_waitcnt vmcnt(0)
	v_cvt_f32_u32_e32 v2, v2
.LBB6135_2:
	s_or_b64 exec, exec, s[0:1]
	v_or_b32_e32 v3, 0x80, v0
	v_cmp_gt_u32_e64 s[0:1], s30, v3
	v_mov_b32_e32 v3, v1
	s_and_saveexec_b64 s[2:3], s[0:1]
	s_cbranch_execz .LBB6135_4
; %bb.3:
	global_load_dword v3, v18, s[28:29] offset:512
	s_waitcnt vmcnt(0)
	v_cvt_f32_u32_e32 v3, v3
.LBB6135_4:
	s_or_b64 exec, exec, s[2:3]
	v_or_b32_e32 v4, 0x100, v0
	v_cmp_gt_u32_e64 s[2:3], s30, v4
	v_mov_b32_e32 v4, v1
	s_and_saveexec_b64 s[6:7], s[2:3]
	s_cbranch_execz .LBB6135_6
; %bb.5:
	global_load_dword v4, v18, s[28:29] offset:1024
	s_waitcnt vmcnt(0)
	v_cvt_f32_u32_e32 v4, v4
.LBB6135_6:
	;; [unrolled: 11-line block ×7, first 2 shown]
	s_or_b64 exec, exec, s[14:15]
	v_or_b32_e32 v11, 0x400, v0
	v_cmp_gt_u32_e64 s[14:15], s30, v11
	v_mov_b32_e32 v10, v1
	s_and_saveexec_b64 s[16:17], s[14:15]
	s_cbranch_execz .LBB6135_18
; %bb.17:
	v_lshlrev_b32_e32 v10, 2, v11
	global_load_dword v10, v10, s[28:29]
	s_waitcnt vmcnt(0)
	v_cvt_f32_u32_e32 v10, v10
.LBB6135_18:
	s_or_b64 exec, exec, s[16:17]
	v_or_b32_e32 v12, 0x480, v0
	v_cmp_gt_u32_e64 s[16:17], s30, v12
	v_mov_b32_e32 v11, v1
	s_and_saveexec_b64 s[18:19], s[16:17]
	s_cbranch_execz .LBB6135_20
; %bb.19:
	v_lshlrev_b32_e32 v11, 2, v12
	global_load_dword v11, v11, s[28:29]
	s_waitcnt vmcnt(0)
	v_cvt_f32_u32_e32 v11, v11
.LBB6135_20:
	;; [unrolled: 12-line block ×5, first 2 shown]
	s_or_b64 exec, exec, s[24:25]
	s_load_dword s33, s[4:5], 0x10
	v_or_b32_e32 v15, 0x680, v0
	v_cmp_gt_u32_e64 s[24:25], s30, v15
	s_and_saveexec_b64 s[30:31], s[24:25]
	s_cbranch_execz .LBB6135_28
; %bb.27:
	v_lshlrev_b32_e32 v1, 2, v15
	global_load_dword v1, v1, s[28:29]
	s_waitcnt vmcnt(0)
	v_cvt_f32_u32_e32 v1, v1
.LBB6135_28:
	s_or_b64 exec, exec, s[30:31]
	ds_write2st64_b32 v18, v2, v3 offset1:2
	ds_write2st64_b32 v18, v4, v5 offset0:4 offset1:6
	ds_write2st64_b32 v18, v6, v7 offset0:8 offset1:10
	;; [unrolled: 1-line block ×6, first 2 shown]
	v_mad_u32_u24 v1, v0, 52, v18
	s_waitcnt lgkmcnt(0)
	s_barrier
	ds_read2_b64 v[10:13], v1 offset1:1
	ds_read2_b64 v[6:9], v1 offset0:2 offset1:3
	ds_read2_b64 v[2:5], v1 offset0:4 offset1:5
	ds_read_b64 v[14:15], v1 offset:48
	s_load_dwordx2 s[34:35], s[4:5], 0x18
	s_waitcnt lgkmcnt(0)
	v_add_f32_e32 v16, v10, v11
	v_add_f32_e32 v16, v16, v12
	;; [unrolled: 1-line block ×13, first 2 shown]
	v_lshrrev_b32_e32 v16, 3, v0
	v_and_b32_e32 v16, 12, v16
	v_add_u32_e32 v16, v18, v16
	v_cmp_gt_u32_e64 s[4:5], 64, v0
	s_barrier
	ds_write_b32 v16, v15
	s_waitcnt lgkmcnt(0)
	s_barrier
	s_and_saveexec_b64 s[36:37], s[4:5]
	s_cbranch_execz .LBB6135_30
; %bb.29:
	v_lshlrev_b32_e32 v16, 1, v0
	v_lshrrev_b32_e32 v17, 4, v0
	v_add_lshl_u32 v19, v17, v16, 2
	ds_read2_b32 v[16:17], v19 offset1:1
	v_mbcnt_lo_u32_b32 v20, -1, 0
	v_mbcnt_hi_u32_b32 v20, -1, v20
	v_and_b32_e32 v21, 15, v20
	v_cmp_eq_u32_e64 s[4:5], 0, v21
	s_waitcnt lgkmcnt(0)
	v_add_f32_e32 v17, v16, v17
	v_cmp_lt_u32_e64 s[28:29], 3, v21
	v_cmp_lt_u32_e64 s[30:31], 31, v20
	v_mov_b32_dpp v22, v17 row_shr:1 row_mask:0xf bank_mask:0xf
	v_add_f32_e32 v22, v17, v22
	v_cndmask_b32_e64 v17, v22, v17, s[4:5]
	v_cmp_lt_u32_e64 s[4:5], 1, v21
	s_nop 0
	v_mov_b32_dpp v22, v17 row_shr:2 row_mask:0xf bank_mask:0xf
	v_add_f32_e32 v22, v17, v22
	v_cndmask_b32_e64 v22, v17, v22, s[4:5]
	; wave barrier
	s_nop 1
	v_mov_b32_dpp v23, v22 row_shr:4 row_mask:0xf bank_mask:0xf
	v_add_f32_e32 v23, v22, v23
	v_cndmask_b32_e64 v22, v22, v23, s[28:29]
	v_cmp_lt_u32_e64 s[28:29], 7, v21
	s_nop 0
	v_mov_b32_dpp v23, v22 row_shr:8 row_mask:0xf bank_mask:0xf
	v_add_f32_e32 v23, v22, v23
	v_cndmask_b32_e64 v21, v22, v23, s[28:29]
	v_and_b32_e32 v23, 16, v20
	v_cmp_eq_u32_e64 s[28:29], 0, v23
	v_mov_b32_dpp v22, v21 row_bcast:15 row_mask:0xf bank_mask:0xf
	v_add_f32_e32 v22, v21, v22
	v_cndmask_b32_e64 v21, v22, v21, s[28:29]
	v_cmp_lt_u32_e64 s[28:29], 15, v20
	s_or_b64 s[4:5], s[28:29], s[4:5]
	v_mov_b32_dpp v22, v21 row_bcast:31 row_mask:0xf bank_mask:0xf
	v_add_f32_e32 v22, v21, v22
	v_cndmask_b32_e64 v21, v21, v22, s[30:31]
	v_cndmask_b32_e64 v17, v17, v21, s[4:5]
	v_add_u32_e32 v21, -1, v20
	v_and_b32_e32 v22, 64, v20
	v_cmp_lt_i32_e64 s[4:5], v21, v22
	v_cndmask_b32_e64 v20, v21, v20, s[4:5]
	v_lshlrev_b32_e32 v20, 2, v20
	ds_bpermute_b32 v17, v20, v17
	v_cmp_eq_u32_e64 s[4:5], 0, v0
	s_waitcnt lgkmcnt(0)
	v_add_f32_e32 v16, v16, v17
	v_cndmask_b32_e64 v15, v16, v15, s[4:5]
	ds_write_b32 v19, v15
	; wave barrier
	ds_read_b32 v16, v19 offset:4
	s_waitcnt lgkmcnt(0)
	v_add_f32_e32 v15, v15, v16
	ds_write_b32 v19, v15 offset:4
.LBB6135_30:
	s_or_b64 exec, exec, s[36:37]
	v_cmp_ne_u32_e64 s[4:5], 0, v0
	v_mov_b32_e32 v16, s33
	s_waitcnt lgkmcnt(0)
	s_barrier
	s_and_saveexec_b64 s[28:29], s[4:5]
	s_cbranch_execz .LBB6135_32
; %bb.31:
	v_add_u32_e32 v15, -1, v0
	v_lshrrev_b32_e32 v16, 5, v15
	v_add_lshl_u32 v15, v16, v15, 2
	ds_read_b32 v15, v15
	s_waitcnt lgkmcnt(0)
	v_add_f32_e32 v16, s33, v15
.LBB6135_32:
	s_or_b64 exec, exec, s[28:29]
	v_add_f32_e32 v17, v10, v16
	v_add_f32_e32 v10, v11, v17
	;; [unrolled: 1-line block ×12, first 2 shown]
	s_movk_i32 s4, 0xffcc
	v_add_f32_e32 v5, v14, v4
	v_mad_i32_i24 v0, v0, s4, v1
	s_barrier
	ds_write2_b64 v1, v[16:17], v[10:11] offset1:1
	ds_write2_b64 v1, v[12:13], v[6:7] offset0:2 offset1:3
	ds_write2_b64 v1, v[8:9], v[2:3] offset0:4 offset1:5
	ds_write_b64 v1, v[4:5] offset:48
	s_waitcnt lgkmcnt(0)
	s_barrier
	ds_read2st64_b32 v[12:13], v0 offset0:2 offset1:4
	ds_read2st64_b32 v[10:11], v0 offset0:6 offset1:8
	;; [unrolled: 1-line block ×4, first 2 shown]
	ds_read_b32 v14, v18 offset:4096
	ds_read2st64_b32 v[4:5], v0 offset0:20 offset1:22
	ds_read2st64_b32 v[0:1], v0 offset0:24 offset1:26
	v_mov_b32_e32 v3, s35
	v_add_co_u32_e64 v2, s[4:5], s34, v18
	v_addc_co_u32_e64 v3, s[4:5], 0, v3, s[4:5]
	s_and_saveexec_b64 s[4:5], vcc
	s_cbranch_execnz .LBB6135_47
; %bb.33:
	s_or_b64 exec, exec, s[4:5]
	s_and_saveexec_b64 s[4:5], s[0:1]
	s_cbranch_execnz .LBB6135_48
.LBB6135_34:
	s_or_b64 exec, exec, s[4:5]
	s_and_saveexec_b64 s[0:1], s[2:3]
	s_cbranch_execnz .LBB6135_49
.LBB6135_35:
	s_or_b64 exec, exec, s[0:1]
	s_and_saveexec_b64 s[0:1], s[26:27]
	s_cbranch_execnz .LBB6135_50
.LBB6135_36:
	s_or_b64 exec, exec, s[0:1]
	s_and_saveexec_b64 s[0:1], s[6:7]
	s_cbranch_execnz .LBB6135_51
.LBB6135_37:
	s_or_b64 exec, exec, s[0:1]
	s_and_saveexec_b64 s[0:1], s[8:9]
	s_cbranch_execnz .LBB6135_52
.LBB6135_38:
	s_or_b64 exec, exec, s[0:1]
	s_and_saveexec_b64 s[0:1], s[10:11]
	s_cbranch_execnz .LBB6135_53
.LBB6135_39:
	s_or_b64 exec, exec, s[0:1]
	s_and_saveexec_b64 s[0:1], s[12:13]
	s_cbranch_execnz .LBB6135_54
.LBB6135_40:
	s_or_b64 exec, exec, s[0:1]
	s_and_saveexec_b64 s[0:1], s[14:15]
	s_cbranch_execnz .LBB6135_55
.LBB6135_41:
	s_or_b64 exec, exec, s[0:1]
	s_and_saveexec_b64 s[0:1], s[16:17]
	s_cbranch_execnz .LBB6135_56
.LBB6135_42:
	s_or_b64 exec, exec, s[0:1]
	s_and_saveexec_b64 s[0:1], s[18:19]
	s_cbranch_execnz .LBB6135_57
.LBB6135_43:
	s_or_b64 exec, exec, s[0:1]
	s_and_saveexec_b64 s[0:1], s[20:21]
	s_cbranch_execnz .LBB6135_58
.LBB6135_44:
	s_or_b64 exec, exec, s[0:1]
	s_and_saveexec_b64 s[0:1], s[22:23]
	s_cbranch_execnz .LBB6135_59
.LBB6135_45:
	s_or_b64 exec, exec, s[0:1]
	s_and_saveexec_b64 s[0:1], s[24:25]
	s_cbranch_execnz .LBB6135_60
.LBB6135_46:
	s_endpgm
.LBB6135_47:
	ds_read_b32 v15, v18
	s_waitcnt lgkmcnt(0)
	global_store_dword v[2:3], v15, off
	s_or_b64 exec, exec, s[4:5]
	s_and_saveexec_b64 s[4:5], s[0:1]
	s_cbranch_execz .LBB6135_34
.LBB6135_48:
	s_waitcnt lgkmcnt(6)
	global_store_dword v[2:3], v12, off offset:512
	s_or_b64 exec, exec, s[4:5]
	s_and_saveexec_b64 s[0:1], s[2:3]
	s_cbranch_execz .LBB6135_35
.LBB6135_49:
	s_waitcnt lgkmcnt(6)
	global_store_dword v[2:3], v13, off offset:1024
	s_or_b64 exec, exec, s[0:1]
	s_and_saveexec_b64 s[0:1], s[26:27]
	s_cbranch_execz .LBB6135_36
.LBB6135_50:
	s_waitcnt lgkmcnt(5)
	global_store_dword v[2:3], v10, off offset:1536
	s_or_b64 exec, exec, s[0:1]
	s_and_saveexec_b64 s[0:1], s[6:7]
	s_cbranch_execz .LBB6135_37
.LBB6135_51:
	s_waitcnt lgkmcnt(5)
	global_store_dword v[2:3], v11, off offset:2048
	s_or_b64 exec, exec, s[0:1]
	s_and_saveexec_b64 s[0:1], s[8:9]
	s_cbranch_execz .LBB6135_38
.LBB6135_52:
	s_waitcnt lgkmcnt(4)
	global_store_dword v[2:3], v8, off offset:2560
	s_or_b64 exec, exec, s[0:1]
	s_and_saveexec_b64 s[0:1], s[10:11]
	s_cbranch_execz .LBB6135_39
.LBB6135_53:
	s_waitcnt lgkmcnt(4)
	global_store_dword v[2:3], v9, off offset:3072
	s_or_b64 exec, exec, s[0:1]
	s_and_saveexec_b64 s[0:1], s[12:13]
	s_cbranch_execz .LBB6135_40
.LBB6135_54:
	s_waitcnt lgkmcnt(3)
	global_store_dword v[2:3], v6, off offset:3584
	s_or_b64 exec, exec, s[0:1]
	s_and_saveexec_b64 s[0:1], s[14:15]
	s_cbranch_execz .LBB6135_41
.LBB6135_55:
	s_waitcnt lgkmcnt(4)
	v_add_co_u32_e32 v8, vcc, 0x1000, v2
	v_addc_co_u32_e32 v9, vcc, 0, v3, vcc
	s_waitcnt lgkmcnt(2)
	global_store_dword v[8:9], v14, off
	s_or_b64 exec, exec, s[0:1]
	s_and_saveexec_b64 s[0:1], s[16:17]
	s_cbranch_execz .LBB6135_42
.LBB6135_56:
	s_waitcnt lgkmcnt(4)
	v_add_co_u32_e32 v8, vcc, 0x1000, v2
	v_addc_co_u32_e32 v9, vcc, 0, v3, vcc
	s_waitcnt lgkmcnt(3)
	global_store_dword v[8:9], v7, off offset:512
	s_or_b64 exec, exec, s[0:1]
	s_and_saveexec_b64 s[0:1], s[18:19]
	s_cbranch_execz .LBB6135_43
.LBB6135_57:
	s_waitcnt lgkmcnt(3)
	v_add_co_u32_e32 v6, vcc, 0x1000, v2
	v_addc_co_u32_e32 v7, vcc, 0, v3, vcc
	s_waitcnt lgkmcnt(1)
	global_store_dword v[6:7], v4, off offset:1024
	s_or_b64 exec, exec, s[0:1]
	s_and_saveexec_b64 s[0:1], s[20:21]
	s_cbranch_execz .LBB6135_44
.LBB6135_58:
	s_waitcnt lgkmcnt(3)
	v_add_co_u32_e32 v6, vcc, 0x1000, v2
	v_addc_co_u32_e32 v7, vcc, 0, v3, vcc
	s_waitcnt lgkmcnt(1)
	global_store_dword v[6:7], v5, off offset:1536
	s_or_b64 exec, exec, s[0:1]
	s_and_saveexec_b64 s[0:1], s[22:23]
	s_cbranch_execz .LBB6135_45
.LBB6135_59:
	s_waitcnt lgkmcnt(1)
	v_add_co_u32_e32 v4, vcc, 0x1000, v2
	v_addc_co_u32_e32 v5, vcc, 0, v3, vcc
	s_waitcnt lgkmcnt(0)
	global_store_dword v[4:5], v0, off offset:2048
	s_or_b64 exec, exec, s[0:1]
	s_and_saveexec_b64 s[0:1], s[24:25]
	s_cbranch_execz .LBB6135_46
.LBB6135_60:
	v_add_co_u32_e32 v2, vcc, 0x1000, v2
	v_addc_co_u32_e32 v3, vcc, 0, v3, vcc
	s_waitcnt lgkmcnt(0)
	global_store_dword v[2:3], v1, off offset:2560
	s_endpgm
	.section	.rodata,"a",@progbits
	.p2align	6, 0x0
	.amdhsa_kernel _ZN7rocprim17ROCPRIM_400000_NS6detail17trampoline_kernelINS0_14default_configENS1_20scan_config_selectorIfEEZZNS1_9scan_implILNS1_25lookback_scan_determinismE0ELb1ELb1ES3_N6thrust23THRUST_200600_302600_NS6detail15normal_iteratorINS9_10device_ptrIjEEEENSB_INSC_IfEEEEfNS9_4plusIvEEfEEDaPvRmT3_T4_T5_mT6_P12ihipStream_tbENKUlT_T0_E_clISt17integral_constantIbLb1EESV_IbLb0EEEEDaSR_SS_EUlSR_E0_NS1_11comp_targetILNS1_3genE4ELNS1_11target_archE910ELNS1_3gpuE8ELNS1_3repE0EEENS1_30default_config_static_selectorELNS0_4arch9wavefront6targetE1EEEvT1_
		.amdhsa_group_segment_fixed_size 7168
		.amdhsa_private_segment_fixed_size 0
		.amdhsa_kernarg_size 32
		.amdhsa_user_sgpr_count 6
		.amdhsa_user_sgpr_private_segment_buffer 1
		.amdhsa_user_sgpr_dispatch_ptr 0
		.amdhsa_user_sgpr_queue_ptr 0
		.amdhsa_user_sgpr_kernarg_segment_ptr 1
		.amdhsa_user_sgpr_dispatch_id 0
		.amdhsa_user_sgpr_flat_scratch_init 0
		.amdhsa_user_sgpr_kernarg_preload_length 0
		.amdhsa_user_sgpr_kernarg_preload_offset 0
		.amdhsa_user_sgpr_private_segment_size 0
		.amdhsa_uses_dynamic_stack 0
		.amdhsa_system_sgpr_private_segment_wavefront_offset 0
		.amdhsa_system_sgpr_workgroup_id_x 1
		.amdhsa_system_sgpr_workgroup_id_y 0
		.amdhsa_system_sgpr_workgroup_id_z 0
		.amdhsa_system_sgpr_workgroup_info 0
		.amdhsa_system_vgpr_workitem_id 0
		.amdhsa_next_free_vgpr 24
		.amdhsa_next_free_sgpr 38
		.amdhsa_accum_offset 24
		.amdhsa_reserve_vcc 1
		.amdhsa_reserve_flat_scratch 0
		.amdhsa_float_round_mode_32 0
		.amdhsa_float_round_mode_16_64 0
		.amdhsa_float_denorm_mode_32 3
		.amdhsa_float_denorm_mode_16_64 3
		.amdhsa_dx10_clamp 1
		.amdhsa_ieee_mode 1
		.amdhsa_fp16_overflow 0
		.amdhsa_tg_split 0
		.amdhsa_exception_fp_ieee_invalid_op 0
		.amdhsa_exception_fp_denorm_src 0
		.amdhsa_exception_fp_ieee_div_zero 0
		.amdhsa_exception_fp_ieee_overflow 0
		.amdhsa_exception_fp_ieee_underflow 0
		.amdhsa_exception_fp_ieee_inexact 0
		.amdhsa_exception_int_div_zero 0
	.end_amdhsa_kernel
	.section	.text._ZN7rocprim17ROCPRIM_400000_NS6detail17trampoline_kernelINS0_14default_configENS1_20scan_config_selectorIfEEZZNS1_9scan_implILNS1_25lookback_scan_determinismE0ELb1ELb1ES3_N6thrust23THRUST_200600_302600_NS6detail15normal_iteratorINS9_10device_ptrIjEEEENSB_INSC_IfEEEEfNS9_4plusIvEEfEEDaPvRmT3_T4_T5_mT6_P12ihipStream_tbENKUlT_T0_E_clISt17integral_constantIbLb1EESV_IbLb0EEEEDaSR_SS_EUlSR_E0_NS1_11comp_targetILNS1_3genE4ELNS1_11target_archE910ELNS1_3gpuE8ELNS1_3repE0EEENS1_30default_config_static_selectorELNS0_4arch9wavefront6targetE1EEEvT1_,"axG",@progbits,_ZN7rocprim17ROCPRIM_400000_NS6detail17trampoline_kernelINS0_14default_configENS1_20scan_config_selectorIfEEZZNS1_9scan_implILNS1_25lookback_scan_determinismE0ELb1ELb1ES3_N6thrust23THRUST_200600_302600_NS6detail15normal_iteratorINS9_10device_ptrIjEEEENSB_INSC_IfEEEEfNS9_4plusIvEEfEEDaPvRmT3_T4_T5_mT6_P12ihipStream_tbENKUlT_T0_E_clISt17integral_constantIbLb1EESV_IbLb0EEEEDaSR_SS_EUlSR_E0_NS1_11comp_targetILNS1_3genE4ELNS1_11target_archE910ELNS1_3gpuE8ELNS1_3repE0EEENS1_30default_config_static_selectorELNS0_4arch9wavefront6targetE1EEEvT1_,comdat
.Lfunc_end6135:
	.size	_ZN7rocprim17ROCPRIM_400000_NS6detail17trampoline_kernelINS0_14default_configENS1_20scan_config_selectorIfEEZZNS1_9scan_implILNS1_25lookback_scan_determinismE0ELb1ELb1ES3_N6thrust23THRUST_200600_302600_NS6detail15normal_iteratorINS9_10device_ptrIjEEEENSB_INSC_IfEEEEfNS9_4plusIvEEfEEDaPvRmT3_T4_T5_mT6_P12ihipStream_tbENKUlT_T0_E_clISt17integral_constantIbLb1EESV_IbLb0EEEEDaSR_SS_EUlSR_E0_NS1_11comp_targetILNS1_3genE4ELNS1_11target_archE910ELNS1_3gpuE8ELNS1_3repE0EEENS1_30default_config_static_selectorELNS0_4arch9wavefront6targetE1EEEvT1_, .Lfunc_end6135-_ZN7rocprim17ROCPRIM_400000_NS6detail17trampoline_kernelINS0_14default_configENS1_20scan_config_selectorIfEEZZNS1_9scan_implILNS1_25lookback_scan_determinismE0ELb1ELb1ES3_N6thrust23THRUST_200600_302600_NS6detail15normal_iteratorINS9_10device_ptrIjEEEENSB_INSC_IfEEEEfNS9_4plusIvEEfEEDaPvRmT3_T4_T5_mT6_P12ihipStream_tbENKUlT_T0_E_clISt17integral_constantIbLb1EESV_IbLb0EEEEDaSR_SS_EUlSR_E0_NS1_11comp_targetILNS1_3genE4ELNS1_11target_archE910ELNS1_3gpuE8ELNS1_3repE0EEENS1_30default_config_static_selectorELNS0_4arch9wavefront6targetE1EEEvT1_
                                        ; -- End function
	.section	.AMDGPU.csdata,"",@progbits
; Kernel info:
; codeLenInByte = 2132
; NumSgprs: 42
; NumVgprs: 24
; NumAgprs: 0
; TotalNumVgprs: 24
; ScratchSize: 0
; MemoryBound: 0
; FloatMode: 240
; IeeeMode: 1
; LDSByteSize: 7168 bytes/workgroup (compile time only)
; SGPRBlocks: 5
; VGPRBlocks: 2
; NumSGPRsForWavesPerEU: 42
; NumVGPRsForWavesPerEU: 24
; AccumOffset: 24
; Occupancy: 5
; WaveLimiterHint : 0
; COMPUTE_PGM_RSRC2:SCRATCH_EN: 0
; COMPUTE_PGM_RSRC2:USER_SGPR: 6
; COMPUTE_PGM_RSRC2:TRAP_HANDLER: 0
; COMPUTE_PGM_RSRC2:TGID_X_EN: 1
; COMPUTE_PGM_RSRC2:TGID_Y_EN: 0
; COMPUTE_PGM_RSRC2:TGID_Z_EN: 0
; COMPUTE_PGM_RSRC2:TIDIG_COMP_CNT: 0
; COMPUTE_PGM_RSRC3_GFX90A:ACCUM_OFFSET: 5
; COMPUTE_PGM_RSRC3_GFX90A:TG_SPLIT: 0
	.section	.text._ZN7rocprim17ROCPRIM_400000_NS6detail17trampoline_kernelINS0_14default_configENS1_20scan_config_selectorIfEEZZNS1_9scan_implILNS1_25lookback_scan_determinismE0ELb1ELb1ES3_N6thrust23THRUST_200600_302600_NS6detail15normal_iteratorINS9_10device_ptrIjEEEENSB_INSC_IfEEEEfNS9_4plusIvEEfEEDaPvRmT3_T4_T5_mT6_P12ihipStream_tbENKUlT_T0_E_clISt17integral_constantIbLb1EESV_IbLb0EEEEDaSR_SS_EUlSR_E0_NS1_11comp_targetILNS1_3genE3ELNS1_11target_archE908ELNS1_3gpuE7ELNS1_3repE0EEENS1_30default_config_static_selectorELNS0_4arch9wavefront6targetE1EEEvT1_,"axG",@progbits,_ZN7rocprim17ROCPRIM_400000_NS6detail17trampoline_kernelINS0_14default_configENS1_20scan_config_selectorIfEEZZNS1_9scan_implILNS1_25lookback_scan_determinismE0ELb1ELb1ES3_N6thrust23THRUST_200600_302600_NS6detail15normal_iteratorINS9_10device_ptrIjEEEENSB_INSC_IfEEEEfNS9_4plusIvEEfEEDaPvRmT3_T4_T5_mT6_P12ihipStream_tbENKUlT_T0_E_clISt17integral_constantIbLb1EESV_IbLb0EEEEDaSR_SS_EUlSR_E0_NS1_11comp_targetILNS1_3genE3ELNS1_11target_archE908ELNS1_3gpuE7ELNS1_3repE0EEENS1_30default_config_static_selectorELNS0_4arch9wavefront6targetE1EEEvT1_,comdat
	.protected	_ZN7rocprim17ROCPRIM_400000_NS6detail17trampoline_kernelINS0_14default_configENS1_20scan_config_selectorIfEEZZNS1_9scan_implILNS1_25lookback_scan_determinismE0ELb1ELb1ES3_N6thrust23THRUST_200600_302600_NS6detail15normal_iteratorINS9_10device_ptrIjEEEENSB_INSC_IfEEEEfNS9_4plusIvEEfEEDaPvRmT3_T4_T5_mT6_P12ihipStream_tbENKUlT_T0_E_clISt17integral_constantIbLb1EESV_IbLb0EEEEDaSR_SS_EUlSR_E0_NS1_11comp_targetILNS1_3genE3ELNS1_11target_archE908ELNS1_3gpuE7ELNS1_3repE0EEENS1_30default_config_static_selectorELNS0_4arch9wavefront6targetE1EEEvT1_ ; -- Begin function _ZN7rocprim17ROCPRIM_400000_NS6detail17trampoline_kernelINS0_14default_configENS1_20scan_config_selectorIfEEZZNS1_9scan_implILNS1_25lookback_scan_determinismE0ELb1ELb1ES3_N6thrust23THRUST_200600_302600_NS6detail15normal_iteratorINS9_10device_ptrIjEEEENSB_INSC_IfEEEEfNS9_4plusIvEEfEEDaPvRmT3_T4_T5_mT6_P12ihipStream_tbENKUlT_T0_E_clISt17integral_constantIbLb1EESV_IbLb0EEEEDaSR_SS_EUlSR_E0_NS1_11comp_targetILNS1_3genE3ELNS1_11target_archE908ELNS1_3gpuE7ELNS1_3repE0EEENS1_30default_config_static_selectorELNS0_4arch9wavefront6targetE1EEEvT1_
	.globl	_ZN7rocprim17ROCPRIM_400000_NS6detail17trampoline_kernelINS0_14default_configENS1_20scan_config_selectorIfEEZZNS1_9scan_implILNS1_25lookback_scan_determinismE0ELb1ELb1ES3_N6thrust23THRUST_200600_302600_NS6detail15normal_iteratorINS9_10device_ptrIjEEEENSB_INSC_IfEEEEfNS9_4plusIvEEfEEDaPvRmT3_T4_T5_mT6_P12ihipStream_tbENKUlT_T0_E_clISt17integral_constantIbLb1EESV_IbLb0EEEEDaSR_SS_EUlSR_E0_NS1_11comp_targetILNS1_3genE3ELNS1_11target_archE908ELNS1_3gpuE7ELNS1_3repE0EEENS1_30default_config_static_selectorELNS0_4arch9wavefront6targetE1EEEvT1_
	.p2align	8
	.type	_ZN7rocprim17ROCPRIM_400000_NS6detail17trampoline_kernelINS0_14default_configENS1_20scan_config_selectorIfEEZZNS1_9scan_implILNS1_25lookback_scan_determinismE0ELb1ELb1ES3_N6thrust23THRUST_200600_302600_NS6detail15normal_iteratorINS9_10device_ptrIjEEEENSB_INSC_IfEEEEfNS9_4plusIvEEfEEDaPvRmT3_T4_T5_mT6_P12ihipStream_tbENKUlT_T0_E_clISt17integral_constantIbLb1EESV_IbLb0EEEEDaSR_SS_EUlSR_E0_NS1_11comp_targetILNS1_3genE3ELNS1_11target_archE908ELNS1_3gpuE7ELNS1_3repE0EEENS1_30default_config_static_selectorELNS0_4arch9wavefront6targetE1EEEvT1_,@function
_ZN7rocprim17ROCPRIM_400000_NS6detail17trampoline_kernelINS0_14default_configENS1_20scan_config_selectorIfEEZZNS1_9scan_implILNS1_25lookback_scan_determinismE0ELb1ELb1ES3_N6thrust23THRUST_200600_302600_NS6detail15normal_iteratorINS9_10device_ptrIjEEEENSB_INSC_IfEEEEfNS9_4plusIvEEfEEDaPvRmT3_T4_T5_mT6_P12ihipStream_tbENKUlT_T0_E_clISt17integral_constantIbLb1EESV_IbLb0EEEEDaSR_SS_EUlSR_E0_NS1_11comp_targetILNS1_3genE3ELNS1_11target_archE908ELNS1_3gpuE7ELNS1_3repE0EEENS1_30default_config_static_selectorELNS0_4arch9wavefront6targetE1EEEvT1_: ; @_ZN7rocprim17ROCPRIM_400000_NS6detail17trampoline_kernelINS0_14default_configENS1_20scan_config_selectorIfEEZZNS1_9scan_implILNS1_25lookback_scan_determinismE0ELb1ELb1ES3_N6thrust23THRUST_200600_302600_NS6detail15normal_iteratorINS9_10device_ptrIjEEEENSB_INSC_IfEEEEfNS9_4plusIvEEfEEDaPvRmT3_T4_T5_mT6_P12ihipStream_tbENKUlT_T0_E_clISt17integral_constantIbLb1EESV_IbLb0EEEEDaSR_SS_EUlSR_E0_NS1_11comp_targetILNS1_3genE3ELNS1_11target_archE908ELNS1_3gpuE7ELNS1_3repE0EEENS1_30default_config_static_selectorELNS0_4arch9wavefront6targetE1EEEvT1_
; %bb.0:
	.section	.rodata,"a",@progbits
	.p2align	6, 0x0
	.amdhsa_kernel _ZN7rocprim17ROCPRIM_400000_NS6detail17trampoline_kernelINS0_14default_configENS1_20scan_config_selectorIfEEZZNS1_9scan_implILNS1_25lookback_scan_determinismE0ELb1ELb1ES3_N6thrust23THRUST_200600_302600_NS6detail15normal_iteratorINS9_10device_ptrIjEEEENSB_INSC_IfEEEEfNS9_4plusIvEEfEEDaPvRmT3_T4_T5_mT6_P12ihipStream_tbENKUlT_T0_E_clISt17integral_constantIbLb1EESV_IbLb0EEEEDaSR_SS_EUlSR_E0_NS1_11comp_targetILNS1_3genE3ELNS1_11target_archE908ELNS1_3gpuE7ELNS1_3repE0EEENS1_30default_config_static_selectorELNS0_4arch9wavefront6targetE1EEEvT1_
		.amdhsa_group_segment_fixed_size 0
		.amdhsa_private_segment_fixed_size 0
		.amdhsa_kernarg_size 32
		.amdhsa_user_sgpr_count 6
		.amdhsa_user_sgpr_private_segment_buffer 1
		.amdhsa_user_sgpr_dispatch_ptr 0
		.amdhsa_user_sgpr_queue_ptr 0
		.amdhsa_user_sgpr_kernarg_segment_ptr 1
		.amdhsa_user_sgpr_dispatch_id 0
		.amdhsa_user_sgpr_flat_scratch_init 0
		.amdhsa_user_sgpr_kernarg_preload_length 0
		.amdhsa_user_sgpr_kernarg_preload_offset 0
		.amdhsa_user_sgpr_private_segment_size 0
		.amdhsa_uses_dynamic_stack 0
		.amdhsa_system_sgpr_private_segment_wavefront_offset 0
		.amdhsa_system_sgpr_workgroup_id_x 1
		.amdhsa_system_sgpr_workgroup_id_y 0
		.amdhsa_system_sgpr_workgroup_id_z 0
		.amdhsa_system_sgpr_workgroup_info 0
		.amdhsa_system_vgpr_workitem_id 0
		.amdhsa_next_free_vgpr 1
		.amdhsa_next_free_sgpr 0
		.amdhsa_accum_offset 4
		.amdhsa_reserve_vcc 0
		.amdhsa_reserve_flat_scratch 0
		.amdhsa_float_round_mode_32 0
		.amdhsa_float_round_mode_16_64 0
		.amdhsa_float_denorm_mode_32 3
		.amdhsa_float_denorm_mode_16_64 3
		.amdhsa_dx10_clamp 1
		.amdhsa_ieee_mode 1
		.amdhsa_fp16_overflow 0
		.amdhsa_tg_split 0
		.amdhsa_exception_fp_ieee_invalid_op 0
		.amdhsa_exception_fp_denorm_src 0
		.amdhsa_exception_fp_ieee_div_zero 0
		.amdhsa_exception_fp_ieee_overflow 0
		.amdhsa_exception_fp_ieee_underflow 0
		.amdhsa_exception_fp_ieee_inexact 0
		.amdhsa_exception_int_div_zero 0
	.end_amdhsa_kernel
	.section	.text._ZN7rocprim17ROCPRIM_400000_NS6detail17trampoline_kernelINS0_14default_configENS1_20scan_config_selectorIfEEZZNS1_9scan_implILNS1_25lookback_scan_determinismE0ELb1ELb1ES3_N6thrust23THRUST_200600_302600_NS6detail15normal_iteratorINS9_10device_ptrIjEEEENSB_INSC_IfEEEEfNS9_4plusIvEEfEEDaPvRmT3_T4_T5_mT6_P12ihipStream_tbENKUlT_T0_E_clISt17integral_constantIbLb1EESV_IbLb0EEEEDaSR_SS_EUlSR_E0_NS1_11comp_targetILNS1_3genE3ELNS1_11target_archE908ELNS1_3gpuE7ELNS1_3repE0EEENS1_30default_config_static_selectorELNS0_4arch9wavefront6targetE1EEEvT1_,"axG",@progbits,_ZN7rocprim17ROCPRIM_400000_NS6detail17trampoline_kernelINS0_14default_configENS1_20scan_config_selectorIfEEZZNS1_9scan_implILNS1_25lookback_scan_determinismE0ELb1ELb1ES3_N6thrust23THRUST_200600_302600_NS6detail15normal_iteratorINS9_10device_ptrIjEEEENSB_INSC_IfEEEEfNS9_4plusIvEEfEEDaPvRmT3_T4_T5_mT6_P12ihipStream_tbENKUlT_T0_E_clISt17integral_constantIbLb1EESV_IbLb0EEEEDaSR_SS_EUlSR_E0_NS1_11comp_targetILNS1_3genE3ELNS1_11target_archE908ELNS1_3gpuE7ELNS1_3repE0EEENS1_30default_config_static_selectorELNS0_4arch9wavefront6targetE1EEEvT1_,comdat
.Lfunc_end6136:
	.size	_ZN7rocprim17ROCPRIM_400000_NS6detail17trampoline_kernelINS0_14default_configENS1_20scan_config_selectorIfEEZZNS1_9scan_implILNS1_25lookback_scan_determinismE0ELb1ELb1ES3_N6thrust23THRUST_200600_302600_NS6detail15normal_iteratorINS9_10device_ptrIjEEEENSB_INSC_IfEEEEfNS9_4plusIvEEfEEDaPvRmT3_T4_T5_mT6_P12ihipStream_tbENKUlT_T0_E_clISt17integral_constantIbLb1EESV_IbLb0EEEEDaSR_SS_EUlSR_E0_NS1_11comp_targetILNS1_3genE3ELNS1_11target_archE908ELNS1_3gpuE7ELNS1_3repE0EEENS1_30default_config_static_selectorELNS0_4arch9wavefront6targetE1EEEvT1_, .Lfunc_end6136-_ZN7rocprim17ROCPRIM_400000_NS6detail17trampoline_kernelINS0_14default_configENS1_20scan_config_selectorIfEEZZNS1_9scan_implILNS1_25lookback_scan_determinismE0ELb1ELb1ES3_N6thrust23THRUST_200600_302600_NS6detail15normal_iteratorINS9_10device_ptrIjEEEENSB_INSC_IfEEEEfNS9_4plusIvEEfEEDaPvRmT3_T4_T5_mT6_P12ihipStream_tbENKUlT_T0_E_clISt17integral_constantIbLb1EESV_IbLb0EEEEDaSR_SS_EUlSR_E0_NS1_11comp_targetILNS1_3genE3ELNS1_11target_archE908ELNS1_3gpuE7ELNS1_3repE0EEENS1_30default_config_static_selectorELNS0_4arch9wavefront6targetE1EEEvT1_
                                        ; -- End function
	.section	.AMDGPU.csdata,"",@progbits
; Kernel info:
; codeLenInByte = 0
; NumSgprs: 4
; NumVgprs: 0
; NumAgprs: 0
; TotalNumVgprs: 0
; ScratchSize: 0
; MemoryBound: 0
; FloatMode: 240
; IeeeMode: 1
; LDSByteSize: 0 bytes/workgroup (compile time only)
; SGPRBlocks: 0
; VGPRBlocks: 0
; NumSGPRsForWavesPerEU: 4
; NumVGPRsForWavesPerEU: 1
; AccumOffset: 4
; Occupancy: 8
; WaveLimiterHint : 0
; COMPUTE_PGM_RSRC2:SCRATCH_EN: 0
; COMPUTE_PGM_RSRC2:USER_SGPR: 6
; COMPUTE_PGM_RSRC2:TRAP_HANDLER: 0
; COMPUTE_PGM_RSRC2:TGID_X_EN: 1
; COMPUTE_PGM_RSRC2:TGID_Y_EN: 0
; COMPUTE_PGM_RSRC2:TGID_Z_EN: 0
; COMPUTE_PGM_RSRC2:TIDIG_COMP_CNT: 0
; COMPUTE_PGM_RSRC3_GFX90A:ACCUM_OFFSET: 0
; COMPUTE_PGM_RSRC3_GFX90A:TG_SPLIT: 0
	.section	.text._ZN7rocprim17ROCPRIM_400000_NS6detail17trampoline_kernelINS0_14default_configENS1_20scan_config_selectorIfEEZZNS1_9scan_implILNS1_25lookback_scan_determinismE0ELb1ELb1ES3_N6thrust23THRUST_200600_302600_NS6detail15normal_iteratorINS9_10device_ptrIjEEEENSB_INSC_IfEEEEfNS9_4plusIvEEfEEDaPvRmT3_T4_T5_mT6_P12ihipStream_tbENKUlT_T0_E_clISt17integral_constantIbLb1EESV_IbLb0EEEEDaSR_SS_EUlSR_E0_NS1_11comp_targetILNS1_3genE2ELNS1_11target_archE906ELNS1_3gpuE6ELNS1_3repE0EEENS1_30default_config_static_selectorELNS0_4arch9wavefront6targetE1EEEvT1_,"axG",@progbits,_ZN7rocprim17ROCPRIM_400000_NS6detail17trampoline_kernelINS0_14default_configENS1_20scan_config_selectorIfEEZZNS1_9scan_implILNS1_25lookback_scan_determinismE0ELb1ELb1ES3_N6thrust23THRUST_200600_302600_NS6detail15normal_iteratorINS9_10device_ptrIjEEEENSB_INSC_IfEEEEfNS9_4plusIvEEfEEDaPvRmT3_T4_T5_mT6_P12ihipStream_tbENKUlT_T0_E_clISt17integral_constantIbLb1EESV_IbLb0EEEEDaSR_SS_EUlSR_E0_NS1_11comp_targetILNS1_3genE2ELNS1_11target_archE906ELNS1_3gpuE6ELNS1_3repE0EEENS1_30default_config_static_selectorELNS0_4arch9wavefront6targetE1EEEvT1_,comdat
	.protected	_ZN7rocprim17ROCPRIM_400000_NS6detail17trampoline_kernelINS0_14default_configENS1_20scan_config_selectorIfEEZZNS1_9scan_implILNS1_25lookback_scan_determinismE0ELb1ELb1ES3_N6thrust23THRUST_200600_302600_NS6detail15normal_iteratorINS9_10device_ptrIjEEEENSB_INSC_IfEEEEfNS9_4plusIvEEfEEDaPvRmT3_T4_T5_mT6_P12ihipStream_tbENKUlT_T0_E_clISt17integral_constantIbLb1EESV_IbLb0EEEEDaSR_SS_EUlSR_E0_NS1_11comp_targetILNS1_3genE2ELNS1_11target_archE906ELNS1_3gpuE6ELNS1_3repE0EEENS1_30default_config_static_selectorELNS0_4arch9wavefront6targetE1EEEvT1_ ; -- Begin function _ZN7rocprim17ROCPRIM_400000_NS6detail17trampoline_kernelINS0_14default_configENS1_20scan_config_selectorIfEEZZNS1_9scan_implILNS1_25lookback_scan_determinismE0ELb1ELb1ES3_N6thrust23THRUST_200600_302600_NS6detail15normal_iteratorINS9_10device_ptrIjEEEENSB_INSC_IfEEEEfNS9_4plusIvEEfEEDaPvRmT3_T4_T5_mT6_P12ihipStream_tbENKUlT_T0_E_clISt17integral_constantIbLb1EESV_IbLb0EEEEDaSR_SS_EUlSR_E0_NS1_11comp_targetILNS1_3genE2ELNS1_11target_archE906ELNS1_3gpuE6ELNS1_3repE0EEENS1_30default_config_static_selectorELNS0_4arch9wavefront6targetE1EEEvT1_
	.globl	_ZN7rocprim17ROCPRIM_400000_NS6detail17trampoline_kernelINS0_14default_configENS1_20scan_config_selectorIfEEZZNS1_9scan_implILNS1_25lookback_scan_determinismE0ELb1ELb1ES3_N6thrust23THRUST_200600_302600_NS6detail15normal_iteratorINS9_10device_ptrIjEEEENSB_INSC_IfEEEEfNS9_4plusIvEEfEEDaPvRmT3_T4_T5_mT6_P12ihipStream_tbENKUlT_T0_E_clISt17integral_constantIbLb1EESV_IbLb0EEEEDaSR_SS_EUlSR_E0_NS1_11comp_targetILNS1_3genE2ELNS1_11target_archE906ELNS1_3gpuE6ELNS1_3repE0EEENS1_30default_config_static_selectorELNS0_4arch9wavefront6targetE1EEEvT1_
	.p2align	8
	.type	_ZN7rocprim17ROCPRIM_400000_NS6detail17trampoline_kernelINS0_14default_configENS1_20scan_config_selectorIfEEZZNS1_9scan_implILNS1_25lookback_scan_determinismE0ELb1ELb1ES3_N6thrust23THRUST_200600_302600_NS6detail15normal_iteratorINS9_10device_ptrIjEEEENSB_INSC_IfEEEEfNS9_4plusIvEEfEEDaPvRmT3_T4_T5_mT6_P12ihipStream_tbENKUlT_T0_E_clISt17integral_constantIbLb1EESV_IbLb0EEEEDaSR_SS_EUlSR_E0_NS1_11comp_targetILNS1_3genE2ELNS1_11target_archE906ELNS1_3gpuE6ELNS1_3repE0EEENS1_30default_config_static_selectorELNS0_4arch9wavefront6targetE1EEEvT1_,@function
_ZN7rocprim17ROCPRIM_400000_NS6detail17trampoline_kernelINS0_14default_configENS1_20scan_config_selectorIfEEZZNS1_9scan_implILNS1_25lookback_scan_determinismE0ELb1ELb1ES3_N6thrust23THRUST_200600_302600_NS6detail15normal_iteratorINS9_10device_ptrIjEEEENSB_INSC_IfEEEEfNS9_4plusIvEEfEEDaPvRmT3_T4_T5_mT6_P12ihipStream_tbENKUlT_T0_E_clISt17integral_constantIbLb1EESV_IbLb0EEEEDaSR_SS_EUlSR_E0_NS1_11comp_targetILNS1_3genE2ELNS1_11target_archE906ELNS1_3gpuE6ELNS1_3repE0EEENS1_30default_config_static_selectorELNS0_4arch9wavefront6targetE1EEEvT1_: ; @_ZN7rocprim17ROCPRIM_400000_NS6detail17trampoline_kernelINS0_14default_configENS1_20scan_config_selectorIfEEZZNS1_9scan_implILNS1_25lookback_scan_determinismE0ELb1ELb1ES3_N6thrust23THRUST_200600_302600_NS6detail15normal_iteratorINS9_10device_ptrIjEEEENSB_INSC_IfEEEEfNS9_4plusIvEEfEEDaPvRmT3_T4_T5_mT6_P12ihipStream_tbENKUlT_T0_E_clISt17integral_constantIbLb1EESV_IbLb0EEEEDaSR_SS_EUlSR_E0_NS1_11comp_targetILNS1_3genE2ELNS1_11target_archE906ELNS1_3gpuE6ELNS1_3repE0EEENS1_30default_config_static_selectorELNS0_4arch9wavefront6targetE1EEEvT1_
; %bb.0:
	.section	.rodata,"a",@progbits
	.p2align	6, 0x0
	.amdhsa_kernel _ZN7rocprim17ROCPRIM_400000_NS6detail17trampoline_kernelINS0_14default_configENS1_20scan_config_selectorIfEEZZNS1_9scan_implILNS1_25lookback_scan_determinismE0ELb1ELb1ES3_N6thrust23THRUST_200600_302600_NS6detail15normal_iteratorINS9_10device_ptrIjEEEENSB_INSC_IfEEEEfNS9_4plusIvEEfEEDaPvRmT3_T4_T5_mT6_P12ihipStream_tbENKUlT_T0_E_clISt17integral_constantIbLb1EESV_IbLb0EEEEDaSR_SS_EUlSR_E0_NS1_11comp_targetILNS1_3genE2ELNS1_11target_archE906ELNS1_3gpuE6ELNS1_3repE0EEENS1_30default_config_static_selectorELNS0_4arch9wavefront6targetE1EEEvT1_
		.amdhsa_group_segment_fixed_size 0
		.amdhsa_private_segment_fixed_size 0
		.amdhsa_kernarg_size 32
		.amdhsa_user_sgpr_count 6
		.amdhsa_user_sgpr_private_segment_buffer 1
		.amdhsa_user_sgpr_dispatch_ptr 0
		.amdhsa_user_sgpr_queue_ptr 0
		.amdhsa_user_sgpr_kernarg_segment_ptr 1
		.amdhsa_user_sgpr_dispatch_id 0
		.amdhsa_user_sgpr_flat_scratch_init 0
		.amdhsa_user_sgpr_kernarg_preload_length 0
		.amdhsa_user_sgpr_kernarg_preload_offset 0
		.amdhsa_user_sgpr_private_segment_size 0
		.amdhsa_uses_dynamic_stack 0
		.amdhsa_system_sgpr_private_segment_wavefront_offset 0
		.amdhsa_system_sgpr_workgroup_id_x 1
		.amdhsa_system_sgpr_workgroup_id_y 0
		.amdhsa_system_sgpr_workgroup_id_z 0
		.amdhsa_system_sgpr_workgroup_info 0
		.amdhsa_system_vgpr_workitem_id 0
		.amdhsa_next_free_vgpr 1
		.amdhsa_next_free_sgpr 0
		.amdhsa_accum_offset 4
		.amdhsa_reserve_vcc 0
		.amdhsa_reserve_flat_scratch 0
		.amdhsa_float_round_mode_32 0
		.amdhsa_float_round_mode_16_64 0
		.amdhsa_float_denorm_mode_32 3
		.amdhsa_float_denorm_mode_16_64 3
		.amdhsa_dx10_clamp 1
		.amdhsa_ieee_mode 1
		.amdhsa_fp16_overflow 0
		.amdhsa_tg_split 0
		.amdhsa_exception_fp_ieee_invalid_op 0
		.amdhsa_exception_fp_denorm_src 0
		.amdhsa_exception_fp_ieee_div_zero 0
		.amdhsa_exception_fp_ieee_overflow 0
		.amdhsa_exception_fp_ieee_underflow 0
		.amdhsa_exception_fp_ieee_inexact 0
		.amdhsa_exception_int_div_zero 0
	.end_amdhsa_kernel
	.section	.text._ZN7rocprim17ROCPRIM_400000_NS6detail17trampoline_kernelINS0_14default_configENS1_20scan_config_selectorIfEEZZNS1_9scan_implILNS1_25lookback_scan_determinismE0ELb1ELb1ES3_N6thrust23THRUST_200600_302600_NS6detail15normal_iteratorINS9_10device_ptrIjEEEENSB_INSC_IfEEEEfNS9_4plusIvEEfEEDaPvRmT3_T4_T5_mT6_P12ihipStream_tbENKUlT_T0_E_clISt17integral_constantIbLb1EESV_IbLb0EEEEDaSR_SS_EUlSR_E0_NS1_11comp_targetILNS1_3genE2ELNS1_11target_archE906ELNS1_3gpuE6ELNS1_3repE0EEENS1_30default_config_static_selectorELNS0_4arch9wavefront6targetE1EEEvT1_,"axG",@progbits,_ZN7rocprim17ROCPRIM_400000_NS6detail17trampoline_kernelINS0_14default_configENS1_20scan_config_selectorIfEEZZNS1_9scan_implILNS1_25lookback_scan_determinismE0ELb1ELb1ES3_N6thrust23THRUST_200600_302600_NS6detail15normal_iteratorINS9_10device_ptrIjEEEENSB_INSC_IfEEEEfNS9_4plusIvEEfEEDaPvRmT3_T4_T5_mT6_P12ihipStream_tbENKUlT_T0_E_clISt17integral_constantIbLb1EESV_IbLb0EEEEDaSR_SS_EUlSR_E0_NS1_11comp_targetILNS1_3genE2ELNS1_11target_archE906ELNS1_3gpuE6ELNS1_3repE0EEENS1_30default_config_static_selectorELNS0_4arch9wavefront6targetE1EEEvT1_,comdat
.Lfunc_end6137:
	.size	_ZN7rocprim17ROCPRIM_400000_NS6detail17trampoline_kernelINS0_14default_configENS1_20scan_config_selectorIfEEZZNS1_9scan_implILNS1_25lookback_scan_determinismE0ELb1ELb1ES3_N6thrust23THRUST_200600_302600_NS6detail15normal_iteratorINS9_10device_ptrIjEEEENSB_INSC_IfEEEEfNS9_4plusIvEEfEEDaPvRmT3_T4_T5_mT6_P12ihipStream_tbENKUlT_T0_E_clISt17integral_constantIbLb1EESV_IbLb0EEEEDaSR_SS_EUlSR_E0_NS1_11comp_targetILNS1_3genE2ELNS1_11target_archE906ELNS1_3gpuE6ELNS1_3repE0EEENS1_30default_config_static_selectorELNS0_4arch9wavefront6targetE1EEEvT1_, .Lfunc_end6137-_ZN7rocprim17ROCPRIM_400000_NS6detail17trampoline_kernelINS0_14default_configENS1_20scan_config_selectorIfEEZZNS1_9scan_implILNS1_25lookback_scan_determinismE0ELb1ELb1ES3_N6thrust23THRUST_200600_302600_NS6detail15normal_iteratorINS9_10device_ptrIjEEEENSB_INSC_IfEEEEfNS9_4plusIvEEfEEDaPvRmT3_T4_T5_mT6_P12ihipStream_tbENKUlT_T0_E_clISt17integral_constantIbLb1EESV_IbLb0EEEEDaSR_SS_EUlSR_E0_NS1_11comp_targetILNS1_3genE2ELNS1_11target_archE906ELNS1_3gpuE6ELNS1_3repE0EEENS1_30default_config_static_selectorELNS0_4arch9wavefront6targetE1EEEvT1_
                                        ; -- End function
	.section	.AMDGPU.csdata,"",@progbits
; Kernel info:
; codeLenInByte = 0
; NumSgprs: 4
; NumVgprs: 0
; NumAgprs: 0
; TotalNumVgprs: 0
; ScratchSize: 0
; MemoryBound: 0
; FloatMode: 240
; IeeeMode: 1
; LDSByteSize: 0 bytes/workgroup (compile time only)
; SGPRBlocks: 0
; VGPRBlocks: 0
; NumSGPRsForWavesPerEU: 4
; NumVGPRsForWavesPerEU: 1
; AccumOffset: 4
; Occupancy: 8
; WaveLimiterHint : 0
; COMPUTE_PGM_RSRC2:SCRATCH_EN: 0
; COMPUTE_PGM_RSRC2:USER_SGPR: 6
; COMPUTE_PGM_RSRC2:TRAP_HANDLER: 0
; COMPUTE_PGM_RSRC2:TGID_X_EN: 1
; COMPUTE_PGM_RSRC2:TGID_Y_EN: 0
; COMPUTE_PGM_RSRC2:TGID_Z_EN: 0
; COMPUTE_PGM_RSRC2:TIDIG_COMP_CNT: 0
; COMPUTE_PGM_RSRC3_GFX90A:ACCUM_OFFSET: 0
; COMPUTE_PGM_RSRC3_GFX90A:TG_SPLIT: 0
	.section	.text._ZN7rocprim17ROCPRIM_400000_NS6detail17trampoline_kernelINS0_14default_configENS1_20scan_config_selectorIfEEZZNS1_9scan_implILNS1_25lookback_scan_determinismE0ELb1ELb1ES3_N6thrust23THRUST_200600_302600_NS6detail15normal_iteratorINS9_10device_ptrIjEEEENSB_INSC_IfEEEEfNS9_4plusIvEEfEEDaPvRmT3_T4_T5_mT6_P12ihipStream_tbENKUlT_T0_E_clISt17integral_constantIbLb1EESV_IbLb0EEEEDaSR_SS_EUlSR_E0_NS1_11comp_targetILNS1_3genE10ELNS1_11target_archE1201ELNS1_3gpuE5ELNS1_3repE0EEENS1_30default_config_static_selectorELNS0_4arch9wavefront6targetE1EEEvT1_,"axG",@progbits,_ZN7rocprim17ROCPRIM_400000_NS6detail17trampoline_kernelINS0_14default_configENS1_20scan_config_selectorIfEEZZNS1_9scan_implILNS1_25lookback_scan_determinismE0ELb1ELb1ES3_N6thrust23THRUST_200600_302600_NS6detail15normal_iteratorINS9_10device_ptrIjEEEENSB_INSC_IfEEEEfNS9_4plusIvEEfEEDaPvRmT3_T4_T5_mT6_P12ihipStream_tbENKUlT_T0_E_clISt17integral_constantIbLb1EESV_IbLb0EEEEDaSR_SS_EUlSR_E0_NS1_11comp_targetILNS1_3genE10ELNS1_11target_archE1201ELNS1_3gpuE5ELNS1_3repE0EEENS1_30default_config_static_selectorELNS0_4arch9wavefront6targetE1EEEvT1_,comdat
	.protected	_ZN7rocprim17ROCPRIM_400000_NS6detail17trampoline_kernelINS0_14default_configENS1_20scan_config_selectorIfEEZZNS1_9scan_implILNS1_25lookback_scan_determinismE0ELb1ELb1ES3_N6thrust23THRUST_200600_302600_NS6detail15normal_iteratorINS9_10device_ptrIjEEEENSB_INSC_IfEEEEfNS9_4plusIvEEfEEDaPvRmT3_T4_T5_mT6_P12ihipStream_tbENKUlT_T0_E_clISt17integral_constantIbLb1EESV_IbLb0EEEEDaSR_SS_EUlSR_E0_NS1_11comp_targetILNS1_3genE10ELNS1_11target_archE1201ELNS1_3gpuE5ELNS1_3repE0EEENS1_30default_config_static_selectorELNS0_4arch9wavefront6targetE1EEEvT1_ ; -- Begin function _ZN7rocprim17ROCPRIM_400000_NS6detail17trampoline_kernelINS0_14default_configENS1_20scan_config_selectorIfEEZZNS1_9scan_implILNS1_25lookback_scan_determinismE0ELb1ELb1ES3_N6thrust23THRUST_200600_302600_NS6detail15normal_iteratorINS9_10device_ptrIjEEEENSB_INSC_IfEEEEfNS9_4plusIvEEfEEDaPvRmT3_T4_T5_mT6_P12ihipStream_tbENKUlT_T0_E_clISt17integral_constantIbLb1EESV_IbLb0EEEEDaSR_SS_EUlSR_E0_NS1_11comp_targetILNS1_3genE10ELNS1_11target_archE1201ELNS1_3gpuE5ELNS1_3repE0EEENS1_30default_config_static_selectorELNS0_4arch9wavefront6targetE1EEEvT1_
	.globl	_ZN7rocprim17ROCPRIM_400000_NS6detail17trampoline_kernelINS0_14default_configENS1_20scan_config_selectorIfEEZZNS1_9scan_implILNS1_25lookback_scan_determinismE0ELb1ELb1ES3_N6thrust23THRUST_200600_302600_NS6detail15normal_iteratorINS9_10device_ptrIjEEEENSB_INSC_IfEEEEfNS9_4plusIvEEfEEDaPvRmT3_T4_T5_mT6_P12ihipStream_tbENKUlT_T0_E_clISt17integral_constantIbLb1EESV_IbLb0EEEEDaSR_SS_EUlSR_E0_NS1_11comp_targetILNS1_3genE10ELNS1_11target_archE1201ELNS1_3gpuE5ELNS1_3repE0EEENS1_30default_config_static_selectorELNS0_4arch9wavefront6targetE1EEEvT1_
	.p2align	8
	.type	_ZN7rocprim17ROCPRIM_400000_NS6detail17trampoline_kernelINS0_14default_configENS1_20scan_config_selectorIfEEZZNS1_9scan_implILNS1_25lookback_scan_determinismE0ELb1ELb1ES3_N6thrust23THRUST_200600_302600_NS6detail15normal_iteratorINS9_10device_ptrIjEEEENSB_INSC_IfEEEEfNS9_4plusIvEEfEEDaPvRmT3_T4_T5_mT6_P12ihipStream_tbENKUlT_T0_E_clISt17integral_constantIbLb1EESV_IbLb0EEEEDaSR_SS_EUlSR_E0_NS1_11comp_targetILNS1_3genE10ELNS1_11target_archE1201ELNS1_3gpuE5ELNS1_3repE0EEENS1_30default_config_static_selectorELNS0_4arch9wavefront6targetE1EEEvT1_,@function
_ZN7rocprim17ROCPRIM_400000_NS6detail17trampoline_kernelINS0_14default_configENS1_20scan_config_selectorIfEEZZNS1_9scan_implILNS1_25lookback_scan_determinismE0ELb1ELb1ES3_N6thrust23THRUST_200600_302600_NS6detail15normal_iteratorINS9_10device_ptrIjEEEENSB_INSC_IfEEEEfNS9_4plusIvEEfEEDaPvRmT3_T4_T5_mT6_P12ihipStream_tbENKUlT_T0_E_clISt17integral_constantIbLb1EESV_IbLb0EEEEDaSR_SS_EUlSR_E0_NS1_11comp_targetILNS1_3genE10ELNS1_11target_archE1201ELNS1_3gpuE5ELNS1_3repE0EEENS1_30default_config_static_selectorELNS0_4arch9wavefront6targetE1EEEvT1_: ; @_ZN7rocprim17ROCPRIM_400000_NS6detail17trampoline_kernelINS0_14default_configENS1_20scan_config_selectorIfEEZZNS1_9scan_implILNS1_25lookback_scan_determinismE0ELb1ELb1ES3_N6thrust23THRUST_200600_302600_NS6detail15normal_iteratorINS9_10device_ptrIjEEEENSB_INSC_IfEEEEfNS9_4plusIvEEfEEDaPvRmT3_T4_T5_mT6_P12ihipStream_tbENKUlT_T0_E_clISt17integral_constantIbLb1EESV_IbLb0EEEEDaSR_SS_EUlSR_E0_NS1_11comp_targetILNS1_3genE10ELNS1_11target_archE1201ELNS1_3gpuE5ELNS1_3repE0EEENS1_30default_config_static_selectorELNS0_4arch9wavefront6targetE1EEEvT1_
; %bb.0:
	.section	.rodata,"a",@progbits
	.p2align	6, 0x0
	.amdhsa_kernel _ZN7rocprim17ROCPRIM_400000_NS6detail17trampoline_kernelINS0_14default_configENS1_20scan_config_selectorIfEEZZNS1_9scan_implILNS1_25lookback_scan_determinismE0ELb1ELb1ES3_N6thrust23THRUST_200600_302600_NS6detail15normal_iteratorINS9_10device_ptrIjEEEENSB_INSC_IfEEEEfNS9_4plusIvEEfEEDaPvRmT3_T4_T5_mT6_P12ihipStream_tbENKUlT_T0_E_clISt17integral_constantIbLb1EESV_IbLb0EEEEDaSR_SS_EUlSR_E0_NS1_11comp_targetILNS1_3genE10ELNS1_11target_archE1201ELNS1_3gpuE5ELNS1_3repE0EEENS1_30default_config_static_selectorELNS0_4arch9wavefront6targetE1EEEvT1_
		.amdhsa_group_segment_fixed_size 0
		.amdhsa_private_segment_fixed_size 0
		.amdhsa_kernarg_size 32
		.amdhsa_user_sgpr_count 6
		.amdhsa_user_sgpr_private_segment_buffer 1
		.amdhsa_user_sgpr_dispatch_ptr 0
		.amdhsa_user_sgpr_queue_ptr 0
		.amdhsa_user_sgpr_kernarg_segment_ptr 1
		.amdhsa_user_sgpr_dispatch_id 0
		.amdhsa_user_sgpr_flat_scratch_init 0
		.amdhsa_user_sgpr_kernarg_preload_length 0
		.amdhsa_user_sgpr_kernarg_preload_offset 0
		.amdhsa_user_sgpr_private_segment_size 0
		.amdhsa_uses_dynamic_stack 0
		.amdhsa_system_sgpr_private_segment_wavefront_offset 0
		.amdhsa_system_sgpr_workgroup_id_x 1
		.amdhsa_system_sgpr_workgroup_id_y 0
		.amdhsa_system_sgpr_workgroup_id_z 0
		.amdhsa_system_sgpr_workgroup_info 0
		.amdhsa_system_vgpr_workitem_id 0
		.amdhsa_next_free_vgpr 1
		.amdhsa_next_free_sgpr 0
		.amdhsa_accum_offset 4
		.amdhsa_reserve_vcc 0
		.amdhsa_reserve_flat_scratch 0
		.amdhsa_float_round_mode_32 0
		.amdhsa_float_round_mode_16_64 0
		.amdhsa_float_denorm_mode_32 3
		.amdhsa_float_denorm_mode_16_64 3
		.amdhsa_dx10_clamp 1
		.amdhsa_ieee_mode 1
		.amdhsa_fp16_overflow 0
		.amdhsa_tg_split 0
		.amdhsa_exception_fp_ieee_invalid_op 0
		.amdhsa_exception_fp_denorm_src 0
		.amdhsa_exception_fp_ieee_div_zero 0
		.amdhsa_exception_fp_ieee_overflow 0
		.amdhsa_exception_fp_ieee_underflow 0
		.amdhsa_exception_fp_ieee_inexact 0
		.amdhsa_exception_int_div_zero 0
	.end_amdhsa_kernel
	.section	.text._ZN7rocprim17ROCPRIM_400000_NS6detail17trampoline_kernelINS0_14default_configENS1_20scan_config_selectorIfEEZZNS1_9scan_implILNS1_25lookback_scan_determinismE0ELb1ELb1ES3_N6thrust23THRUST_200600_302600_NS6detail15normal_iteratorINS9_10device_ptrIjEEEENSB_INSC_IfEEEEfNS9_4plusIvEEfEEDaPvRmT3_T4_T5_mT6_P12ihipStream_tbENKUlT_T0_E_clISt17integral_constantIbLb1EESV_IbLb0EEEEDaSR_SS_EUlSR_E0_NS1_11comp_targetILNS1_3genE10ELNS1_11target_archE1201ELNS1_3gpuE5ELNS1_3repE0EEENS1_30default_config_static_selectorELNS0_4arch9wavefront6targetE1EEEvT1_,"axG",@progbits,_ZN7rocprim17ROCPRIM_400000_NS6detail17trampoline_kernelINS0_14default_configENS1_20scan_config_selectorIfEEZZNS1_9scan_implILNS1_25lookback_scan_determinismE0ELb1ELb1ES3_N6thrust23THRUST_200600_302600_NS6detail15normal_iteratorINS9_10device_ptrIjEEEENSB_INSC_IfEEEEfNS9_4plusIvEEfEEDaPvRmT3_T4_T5_mT6_P12ihipStream_tbENKUlT_T0_E_clISt17integral_constantIbLb1EESV_IbLb0EEEEDaSR_SS_EUlSR_E0_NS1_11comp_targetILNS1_3genE10ELNS1_11target_archE1201ELNS1_3gpuE5ELNS1_3repE0EEENS1_30default_config_static_selectorELNS0_4arch9wavefront6targetE1EEEvT1_,comdat
.Lfunc_end6138:
	.size	_ZN7rocprim17ROCPRIM_400000_NS6detail17trampoline_kernelINS0_14default_configENS1_20scan_config_selectorIfEEZZNS1_9scan_implILNS1_25lookback_scan_determinismE0ELb1ELb1ES3_N6thrust23THRUST_200600_302600_NS6detail15normal_iteratorINS9_10device_ptrIjEEEENSB_INSC_IfEEEEfNS9_4plusIvEEfEEDaPvRmT3_T4_T5_mT6_P12ihipStream_tbENKUlT_T0_E_clISt17integral_constantIbLb1EESV_IbLb0EEEEDaSR_SS_EUlSR_E0_NS1_11comp_targetILNS1_3genE10ELNS1_11target_archE1201ELNS1_3gpuE5ELNS1_3repE0EEENS1_30default_config_static_selectorELNS0_4arch9wavefront6targetE1EEEvT1_, .Lfunc_end6138-_ZN7rocprim17ROCPRIM_400000_NS6detail17trampoline_kernelINS0_14default_configENS1_20scan_config_selectorIfEEZZNS1_9scan_implILNS1_25lookback_scan_determinismE0ELb1ELb1ES3_N6thrust23THRUST_200600_302600_NS6detail15normal_iteratorINS9_10device_ptrIjEEEENSB_INSC_IfEEEEfNS9_4plusIvEEfEEDaPvRmT3_T4_T5_mT6_P12ihipStream_tbENKUlT_T0_E_clISt17integral_constantIbLb1EESV_IbLb0EEEEDaSR_SS_EUlSR_E0_NS1_11comp_targetILNS1_3genE10ELNS1_11target_archE1201ELNS1_3gpuE5ELNS1_3repE0EEENS1_30default_config_static_selectorELNS0_4arch9wavefront6targetE1EEEvT1_
                                        ; -- End function
	.section	.AMDGPU.csdata,"",@progbits
; Kernel info:
; codeLenInByte = 0
; NumSgprs: 4
; NumVgprs: 0
; NumAgprs: 0
; TotalNumVgprs: 0
; ScratchSize: 0
; MemoryBound: 0
; FloatMode: 240
; IeeeMode: 1
; LDSByteSize: 0 bytes/workgroup (compile time only)
; SGPRBlocks: 0
; VGPRBlocks: 0
; NumSGPRsForWavesPerEU: 4
; NumVGPRsForWavesPerEU: 1
; AccumOffset: 4
; Occupancy: 8
; WaveLimiterHint : 0
; COMPUTE_PGM_RSRC2:SCRATCH_EN: 0
; COMPUTE_PGM_RSRC2:USER_SGPR: 6
; COMPUTE_PGM_RSRC2:TRAP_HANDLER: 0
; COMPUTE_PGM_RSRC2:TGID_X_EN: 1
; COMPUTE_PGM_RSRC2:TGID_Y_EN: 0
; COMPUTE_PGM_RSRC2:TGID_Z_EN: 0
; COMPUTE_PGM_RSRC2:TIDIG_COMP_CNT: 0
; COMPUTE_PGM_RSRC3_GFX90A:ACCUM_OFFSET: 0
; COMPUTE_PGM_RSRC3_GFX90A:TG_SPLIT: 0
	.section	.text._ZN7rocprim17ROCPRIM_400000_NS6detail17trampoline_kernelINS0_14default_configENS1_20scan_config_selectorIfEEZZNS1_9scan_implILNS1_25lookback_scan_determinismE0ELb1ELb1ES3_N6thrust23THRUST_200600_302600_NS6detail15normal_iteratorINS9_10device_ptrIjEEEENSB_INSC_IfEEEEfNS9_4plusIvEEfEEDaPvRmT3_T4_T5_mT6_P12ihipStream_tbENKUlT_T0_E_clISt17integral_constantIbLb1EESV_IbLb0EEEEDaSR_SS_EUlSR_E0_NS1_11comp_targetILNS1_3genE10ELNS1_11target_archE1200ELNS1_3gpuE4ELNS1_3repE0EEENS1_30default_config_static_selectorELNS0_4arch9wavefront6targetE1EEEvT1_,"axG",@progbits,_ZN7rocprim17ROCPRIM_400000_NS6detail17trampoline_kernelINS0_14default_configENS1_20scan_config_selectorIfEEZZNS1_9scan_implILNS1_25lookback_scan_determinismE0ELb1ELb1ES3_N6thrust23THRUST_200600_302600_NS6detail15normal_iteratorINS9_10device_ptrIjEEEENSB_INSC_IfEEEEfNS9_4plusIvEEfEEDaPvRmT3_T4_T5_mT6_P12ihipStream_tbENKUlT_T0_E_clISt17integral_constantIbLb1EESV_IbLb0EEEEDaSR_SS_EUlSR_E0_NS1_11comp_targetILNS1_3genE10ELNS1_11target_archE1200ELNS1_3gpuE4ELNS1_3repE0EEENS1_30default_config_static_selectorELNS0_4arch9wavefront6targetE1EEEvT1_,comdat
	.protected	_ZN7rocprim17ROCPRIM_400000_NS6detail17trampoline_kernelINS0_14default_configENS1_20scan_config_selectorIfEEZZNS1_9scan_implILNS1_25lookback_scan_determinismE0ELb1ELb1ES3_N6thrust23THRUST_200600_302600_NS6detail15normal_iteratorINS9_10device_ptrIjEEEENSB_INSC_IfEEEEfNS9_4plusIvEEfEEDaPvRmT3_T4_T5_mT6_P12ihipStream_tbENKUlT_T0_E_clISt17integral_constantIbLb1EESV_IbLb0EEEEDaSR_SS_EUlSR_E0_NS1_11comp_targetILNS1_3genE10ELNS1_11target_archE1200ELNS1_3gpuE4ELNS1_3repE0EEENS1_30default_config_static_selectorELNS0_4arch9wavefront6targetE1EEEvT1_ ; -- Begin function _ZN7rocprim17ROCPRIM_400000_NS6detail17trampoline_kernelINS0_14default_configENS1_20scan_config_selectorIfEEZZNS1_9scan_implILNS1_25lookback_scan_determinismE0ELb1ELb1ES3_N6thrust23THRUST_200600_302600_NS6detail15normal_iteratorINS9_10device_ptrIjEEEENSB_INSC_IfEEEEfNS9_4plusIvEEfEEDaPvRmT3_T4_T5_mT6_P12ihipStream_tbENKUlT_T0_E_clISt17integral_constantIbLb1EESV_IbLb0EEEEDaSR_SS_EUlSR_E0_NS1_11comp_targetILNS1_3genE10ELNS1_11target_archE1200ELNS1_3gpuE4ELNS1_3repE0EEENS1_30default_config_static_selectorELNS0_4arch9wavefront6targetE1EEEvT1_
	.globl	_ZN7rocprim17ROCPRIM_400000_NS6detail17trampoline_kernelINS0_14default_configENS1_20scan_config_selectorIfEEZZNS1_9scan_implILNS1_25lookback_scan_determinismE0ELb1ELb1ES3_N6thrust23THRUST_200600_302600_NS6detail15normal_iteratorINS9_10device_ptrIjEEEENSB_INSC_IfEEEEfNS9_4plusIvEEfEEDaPvRmT3_T4_T5_mT6_P12ihipStream_tbENKUlT_T0_E_clISt17integral_constantIbLb1EESV_IbLb0EEEEDaSR_SS_EUlSR_E0_NS1_11comp_targetILNS1_3genE10ELNS1_11target_archE1200ELNS1_3gpuE4ELNS1_3repE0EEENS1_30default_config_static_selectorELNS0_4arch9wavefront6targetE1EEEvT1_
	.p2align	8
	.type	_ZN7rocprim17ROCPRIM_400000_NS6detail17trampoline_kernelINS0_14default_configENS1_20scan_config_selectorIfEEZZNS1_9scan_implILNS1_25lookback_scan_determinismE0ELb1ELb1ES3_N6thrust23THRUST_200600_302600_NS6detail15normal_iteratorINS9_10device_ptrIjEEEENSB_INSC_IfEEEEfNS9_4plusIvEEfEEDaPvRmT3_T4_T5_mT6_P12ihipStream_tbENKUlT_T0_E_clISt17integral_constantIbLb1EESV_IbLb0EEEEDaSR_SS_EUlSR_E0_NS1_11comp_targetILNS1_3genE10ELNS1_11target_archE1200ELNS1_3gpuE4ELNS1_3repE0EEENS1_30default_config_static_selectorELNS0_4arch9wavefront6targetE1EEEvT1_,@function
_ZN7rocprim17ROCPRIM_400000_NS6detail17trampoline_kernelINS0_14default_configENS1_20scan_config_selectorIfEEZZNS1_9scan_implILNS1_25lookback_scan_determinismE0ELb1ELb1ES3_N6thrust23THRUST_200600_302600_NS6detail15normal_iteratorINS9_10device_ptrIjEEEENSB_INSC_IfEEEEfNS9_4plusIvEEfEEDaPvRmT3_T4_T5_mT6_P12ihipStream_tbENKUlT_T0_E_clISt17integral_constantIbLb1EESV_IbLb0EEEEDaSR_SS_EUlSR_E0_NS1_11comp_targetILNS1_3genE10ELNS1_11target_archE1200ELNS1_3gpuE4ELNS1_3repE0EEENS1_30default_config_static_selectorELNS0_4arch9wavefront6targetE1EEEvT1_: ; @_ZN7rocprim17ROCPRIM_400000_NS6detail17trampoline_kernelINS0_14default_configENS1_20scan_config_selectorIfEEZZNS1_9scan_implILNS1_25lookback_scan_determinismE0ELb1ELb1ES3_N6thrust23THRUST_200600_302600_NS6detail15normal_iteratorINS9_10device_ptrIjEEEENSB_INSC_IfEEEEfNS9_4plusIvEEfEEDaPvRmT3_T4_T5_mT6_P12ihipStream_tbENKUlT_T0_E_clISt17integral_constantIbLb1EESV_IbLb0EEEEDaSR_SS_EUlSR_E0_NS1_11comp_targetILNS1_3genE10ELNS1_11target_archE1200ELNS1_3gpuE4ELNS1_3repE0EEENS1_30default_config_static_selectorELNS0_4arch9wavefront6targetE1EEEvT1_
; %bb.0:
	.section	.rodata,"a",@progbits
	.p2align	6, 0x0
	.amdhsa_kernel _ZN7rocprim17ROCPRIM_400000_NS6detail17trampoline_kernelINS0_14default_configENS1_20scan_config_selectorIfEEZZNS1_9scan_implILNS1_25lookback_scan_determinismE0ELb1ELb1ES3_N6thrust23THRUST_200600_302600_NS6detail15normal_iteratorINS9_10device_ptrIjEEEENSB_INSC_IfEEEEfNS9_4plusIvEEfEEDaPvRmT3_T4_T5_mT6_P12ihipStream_tbENKUlT_T0_E_clISt17integral_constantIbLb1EESV_IbLb0EEEEDaSR_SS_EUlSR_E0_NS1_11comp_targetILNS1_3genE10ELNS1_11target_archE1200ELNS1_3gpuE4ELNS1_3repE0EEENS1_30default_config_static_selectorELNS0_4arch9wavefront6targetE1EEEvT1_
		.amdhsa_group_segment_fixed_size 0
		.amdhsa_private_segment_fixed_size 0
		.amdhsa_kernarg_size 32
		.amdhsa_user_sgpr_count 6
		.amdhsa_user_sgpr_private_segment_buffer 1
		.amdhsa_user_sgpr_dispatch_ptr 0
		.amdhsa_user_sgpr_queue_ptr 0
		.amdhsa_user_sgpr_kernarg_segment_ptr 1
		.amdhsa_user_sgpr_dispatch_id 0
		.amdhsa_user_sgpr_flat_scratch_init 0
		.amdhsa_user_sgpr_kernarg_preload_length 0
		.amdhsa_user_sgpr_kernarg_preload_offset 0
		.amdhsa_user_sgpr_private_segment_size 0
		.amdhsa_uses_dynamic_stack 0
		.amdhsa_system_sgpr_private_segment_wavefront_offset 0
		.amdhsa_system_sgpr_workgroup_id_x 1
		.amdhsa_system_sgpr_workgroup_id_y 0
		.amdhsa_system_sgpr_workgroup_id_z 0
		.amdhsa_system_sgpr_workgroup_info 0
		.amdhsa_system_vgpr_workitem_id 0
		.amdhsa_next_free_vgpr 1
		.amdhsa_next_free_sgpr 0
		.amdhsa_accum_offset 4
		.amdhsa_reserve_vcc 0
		.amdhsa_reserve_flat_scratch 0
		.amdhsa_float_round_mode_32 0
		.amdhsa_float_round_mode_16_64 0
		.amdhsa_float_denorm_mode_32 3
		.amdhsa_float_denorm_mode_16_64 3
		.amdhsa_dx10_clamp 1
		.amdhsa_ieee_mode 1
		.amdhsa_fp16_overflow 0
		.amdhsa_tg_split 0
		.amdhsa_exception_fp_ieee_invalid_op 0
		.amdhsa_exception_fp_denorm_src 0
		.amdhsa_exception_fp_ieee_div_zero 0
		.amdhsa_exception_fp_ieee_overflow 0
		.amdhsa_exception_fp_ieee_underflow 0
		.amdhsa_exception_fp_ieee_inexact 0
		.amdhsa_exception_int_div_zero 0
	.end_amdhsa_kernel
	.section	.text._ZN7rocprim17ROCPRIM_400000_NS6detail17trampoline_kernelINS0_14default_configENS1_20scan_config_selectorIfEEZZNS1_9scan_implILNS1_25lookback_scan_determinismE0ELb1ELb1ES3_N6thrust23THRUST_200600_302600_NS6detail15normal_iteratorINS9_10device_ptrIjEEEENSB_INSC_IfEEEEfNS9_4plusIvEEfEEDaPvRmT3_T4_T5_mT6_P12ihipStream_tbENKUlT_T0_E_clISt17integral_constantIbLb1EESV_IbLb0EEEEDaSR_SS_EUlSR_E0_NS1_11comp_targetILNS1_3genE10ELNS1_11target_archE1200ELNS1_3gpuE4ELNS1_3repE0EEENS1_30default_config_static_selectorELNS0_4arch9wavefront6targetE1EEEvT1_,"axG",@progbits,_ZN7rocprim17ROCPRIM_400000_NS6detail17trampoline_kernelINS0_14default_configENS1_20scan_config_selectorIfEEZZNS1_9scan_implILNS1_25lookback_scan_determinismE0ELb1ELb1ES3_N6thrust23THRUST_200600_302600_NS6detail15normal_iteratorINS9_10device_ptrIjEEEENSB_INSC_IfEEEEfNS9_4plusIvEEfEEDaPvRmT3_T4_T5_mT6_P12ihipStream_tbENKUlT_T0_E_clISt17integral_constantIbLb1EESV_IbLb0EEEEDaSR_SS_EUlSR_E0_NS1_11comp_targetILNS1_3genE10ELNS1_11target_archE1200ELNS1_3gpuE4ELNS1_3repE0EEENS1_30default_config_static_selectorELNS0_4arch9wavefront6targetE1EEEvT1_,comdat
.Lfunc_end6139:
	.size	_ZN7rocprim17ROCPRIM_400000_NS6detail17trampoline_kernelINS0_14default_configENS1_20scan_config_selectorIfEEZZNS1_9scan_implILNS1_25lookback_scan_determinismE0ELb1ELb1ES3_N6thrust23THRUST_200600_302600_NS6detail15normal_iteratorINS9_10device_ptrIjEEEENSB_INSC_IfEEEEfNS9_4plusIvEEfEEDaPvRmT3_T4_T5_mT6_P12ihipStream_tbENKUlT_T0_E_clISt17integral_constantIbLb1EESV_IbLb0EEEEDaSR_SS_EUlSR_E0_NS1_11comp_targetILNS1_3genE10ELNS1_11target_archE1200ELNS1_3gpuE4ELNS1_3repE0EEENS1_30default_config_static_selectorELNS0_4arch9wavefront6targetE1EEEvT1_, .Lfunc_end6139-_ZN7rocprim17ROCPRIM_400000_NS6detail17trampoline_kernelINS0_14default_configENS1_20scan_config_selectorIfEEZZNS1_9scan_implILNS1_25lookback_scan_determinismE0ELb1ELb1ES3_N6thrust23THRUST_200600_302600_NS6detail15normal_iteratorINS9_10device_ptrIjEEEENSB_INSC_IfEEEEfNS9_4plusIvEEfEEDaPvRmT3_T4_T5_mT6_P12ihipStream_tbENKUlT_T0_E_clISt17integral_constantIbLb1EESV_IbLb0EEEEDaSR_SS_EUlSR_E0_NS1_11comp_targetILNS1_3genE10ELNS1_11target_archE1200ELNS1_3gpuE4ELNS1_3repE0EEENS1_30default_config_static_selectorELNS0_4arch9wavefront6targetE1EEEvT1_
                                        ; -- End function
	.section	.AMDGPU.csdata,"",@progbits
; Kernel info:
; codeLenInByte = 0
; NumSgprs: 4
; NumVgprs: 0
; NumAgprs: 0
; TotalNumVgprs: 0
; ScratchSize: 0
; MemoryBound: 0
; FloatMode: 240
; IeeeMode: 1
; LDSByteSize: 0 bytes/workgroup (compile time only)
; SGPRBlocks: 0
; VGPRBlocks: 0
; NumSGPRsForWavesPerEU: 4
; NumVGPRsForWavesPerEU: 1
; AccumOffset: 4
; Occupancy: 8
; WaveLimiterHint : 0
; COMPUTE_PGM_RSRC2:SCRATCH_EN: 0
; COMPUTE_PGM_RSRC2:USER_SGPR: 6
; COMPUTE_PGM_RSRC2:TRAP_HANDLER: 0
; COMPUTE_PGM_RSRC2:TGID_X_EN: 1
; COMPUTE_PGM_RSRC2:TGID_Y_EN: 0
; COMPUTE_PGM_RSRC2:TGID_Z_EN: 0
; COMPUTE_PGM_RSRC2:TIDIG_COMP_CNT: 0
; COMPUTE_PGM_RSRC3_GFX90A:ACCUM_OFFSET: 0
; COMPUTE_PGM_RSRC3_GFX90A:TG_SPLIT: 0
	.section	.text._ZN7rocprim17ROCPRIM_400000_NS6detail17trampoline_kernelINS0_14default_configENS1_20scan_config_selectorIfEEZZNS1_9scan_implILNS1_25lookback_scan_determinismE0ELb1ELb1ES3_N6thrust23THRUST_200600_302600_NS6detail15normal_iteratorINS9_10device_ptrIjEEEENSB_INSC_IfEEEEfNS9_4plusIvEEfEEDaPvRmT3_T4_T5_mT6_P12ihipStream_tbENKUlT_T0_E_clISt17integral_constantIbLb1EESV_IbLb0EEEEDaSR_SS_EUlSR_E0_NS1_11comp_targetILNS1_3genE9ELNS1_11target_archE1100ELNS1_3gpuE3ELNS1_3repE0EEENS1_30default_config_static_selectorELNS0_4arch9wavefront6targetE1EEEvT1_,"axG",@progbits,_ZN7rocprim17ROCPRIM_400000_NS6detail17trampoline_kernelINS0_14default_configENS1_20scan_config_selectorIfEEZZNS1_9scan_implILNS1_25lookback_scan_determinismE0ELb1ELb1ES3_N6thrust23THRUST_200600_302600_NS6detail15normal_iteratorINS9_10device_ptrIjEEEENSB_INSC_IfEEEEfNS9_4plusIvEEfEEDaPvRmT3_T4_T5_mT6_P12ihipStream_tbENKUlT_T0_E_clISt17integral_constantIbLb1EESV_IbLb0EEEEDaSR_SS_EUlSR_E0_NS1_11comp_targetILNS1_3genE9ELNS1_11target_archE1100ELNS1_3gpuE3ELNS1_3repE0EEENS1_30default_config_static_selectorELNS0_4arch9wavefront6targetE1EEEvT1_,comdat
	.protected	_ZN7rocprim17ROCPRIM_400000_NS6detail17trampoline_kernelINS0_14default_configENS1_20scan_config_selectorIfEEZZNS1_9scan_implILNS1_25lookback_scan_determinismE0ELb1ELb1ES3_N6thrust23THRUST_200600_302600_NS6detail15normal_iteratorINS9_10device_ptrIjEEEENSB_INSC_IfEEEEfNS9_4plusIvEEfEEDaPvRmT3_T4_T5_mT6_P12ihipStream_tbENKUlT_T0_E_clISt17integral_constantIbLb1EESV_IbLb0EEEEDaSR_SS_EUlSR_E0_NS1_11comp_targetILNS1_3genE9ELNS1_11target_archE1100ELNS1_3gpuE3ELNS1_3repE0EEENS1_30default_config_static_selectorELNS0_4arch9wavefront6targetE1EEEvT1_ ; -- Begin function _ZN7rocprim17ROCPRIM_400000_NS6detail17trampoline_kernelINS0_14default_configENS1_20scan_config_selectorIfEEZZNS1_9scan_implILNS1_25lookback_scan_determinismE0ELb1ELb1ES3_N6thrust23THRUST_200600_302600_NS6detail15normal_iteratorINS9_10device_ptrIjEEEENSB_INSC_IfEEEEfNS9_4plusIvEEfEEDaPvRmT3_T4_T5_mT6_P12ihipStream_tbENKUlT_T0_E_clISt17integral_constantIbLb1EESV_IbLb0EEEEDaSR_SS_EUlSR_E0_NS1_11comp_targetILNS1_3genE9ELNS1_11target_archE1100ELNS1_3gpuE3ELNS1_3repE0EEENS1_30default_config_static_selectorELNS0_4arch9wavefront6targetE1EEEvT1_
	.globl	_ZN7rocprim17ROCPRIM_400000_NS6detail17trampoline_kernelINS0_14default_configENS1_20scan_config_selectorIfEEZZNS1_9scan_implILNS1_25lookback_scan_determinismE0ELb1ELb1ES3_N6thrust23THRUST_200600_302600_NS6detail15normal_iteratorINS9_10device_ptrIjEEEENSB_INSC_IfEEEEfNS9_4plusIvEEfEEDaPvRmT3_T4_T5_mT6_P12ihipStream_tbENKUlT_T0_E_clISt17integral_constantIbLb1EESV_IbLb0EEEEDaSR_SS_EUlSR_E0_NS1_11comp_targetILNS1_3genE9ELNS1_11target_archE1100ELNS1_3gpuE3ELNS1_3repE0EEENS1_30default_config_static_selectorELNS0_4arch9wavefront6targetE1EEEvT1_
	.p2align	8
	.type	_ZN7rocprim17ROCPRIM_400000_NS6detail17trampoline_kernelINS0_14default_configENS1_20scan_config_selectorIfEEZZNS1_9scan_implILNS1_25lookback_scan_determinismE0ELb1ELb1ES3_N6thrust23THRUST_200600_302600_NS6detail15normal_iteratorINS9_10device_ptrIjEEEENSB_INSC_IfEEEEfNS9_4plusIvEEfEEDaPvRmT3_T4_T5_mT6_P12ihipStream_tbENKUlT_T0_E_clISt17integral_constantIbLb1EESV_IbLb0EEEEDaSR_SS_EUlSR_E0_NS1_11comp_targetILNS1_3genE9ELNS1_11target_archE1100ELNS1_3gpuE3ELNS1_3repE0EEENS1_30default_config_static_selectorELNS0_4arch9wavefront6targetE1EEEvT1_,@function
_ZN7rocprim17ROCPRIM_400000_NS6detail17trampoline_kernelINS0_14default_configENS1_20scan_config_selectorIfEEZZNS1_9scan_implILNS1_25lookback_scan_determinismE0ELb1ELb1ES3_N6thrust23THRUST_200600_302600_NS6detail15normal_iteratorINS9_10device_ptrIjEEEENSB_INSC_IfEEEEfNS9_4plusIvEEfEEDaPvRmT3_T4_T5_mT6_P12ihipStream_tbENKUlT_T0_E_clISt17integral_constantIbLb1EESV_IbLb0EEEEDaSR_SS_EUlSR_E0_NS1_11comp_targetILNS1_3genE9ELNS1_11target_archE1100ELNS1_3gpuE3ELNS1_3repE0EEENS1_30default_config_static_selectorELNS0_4arch9wavefront6targetE1EEEvT1_: ; @_ZN7rocprim17ROCPRIM_400000_NS6detail17trampoline_kernelINS0_14default_configENS1_20scan_config_selectorIfEEZZNS1_9scan_implILNS1_25lookback_scan_determinismE0ELb1ELb1ES3_N6thrust23THRUST_200600_302600_NS6detail15normal_iteratorINS9_10device_ptrIjEEEENSB_INSC_IfEEEEfNS9_4plusIvEEfEEDaPvRmT3_T4_T5_mT6_P12ihipStream_tbENKUlT_T0_E_clISt17integral_constantIbLb1EESV_IbLb0EEEEDaSR_SS_EUlSR_E0_NS1_11comp_targetILNS1_3genE9ELNS1_11target_archE1100ELNS1_3gpuE3ELNS1_3repE0EEENS1_30default_config_static_selectorELNS0_4arch9wavefront6targetE1EEEvT1_
; %bb.0:
	.section	.rodata,"a",@progbits
	.p2align	6, 0x0
	.amdhsa_kernel _ZN7rocprim17ROCPRIM_400000_NS6detail17trampoline_kernelINS0_14default_configENS1_20scan_config_selectorIfEEZZNS1_9scan_implILNS1_25lookback_scan_determinismE0ELb1ELb1ES3_N6thrust23THRUST_200600_302600_NS6detail15normal_iteratorINS9_10device_ptrIjEEEENSB_INSC_IfEEEEfNS9_4plusIvEEfEEDaPvRmT3_T4_T5_mT6_P12ihipStream_tbENKUlT_T0_E_clISt17integral_constantIbLb1EESV_IbLb0EEEEDaSR_SS_EUlSR_E0_NS1_11comp_targetILNS1_3genE9ELNS1_11target_archE1100ELNS1_3gpuE3ELNS1_3repE0EEENS1_30default_config_static_selectorELNS0_4arch9wavefront6targetE1EEEvT1_
		.amdhsa_group_segment_fixed_size 0
		.amdhsa_private_segment_fixed_size 0
		.amdhsa_kernarg_size 32
		.amdhsa_user_sgpr_count 6
		.amdhsa_user_sgpr_private_segment_buffer 1
		.amdhsa_user_sgpr_dispatch_ptr 0
		.amdhsa_user_sgpr_queue_ptr 0
		.amdhsa_user_sgpr_kernarg_segment_ptr 1
		.amdhsa_user_sgpr_dispatch_id 0
		.amdhsa_user_sgpr_flat_scratch_init 0
		.amdhsa_user_sgpr_kernarg_preload_length 0
		.amdhsa_user_sgpr_kernarg_preload_offset 0
		.amdhsa_user_sgpr_private_segment_size 0
		.amdhsa_uses_dynamic_stack 0
		.amdhsa_system_sgpr_private_segment_wavefront_offset 0
		.amdhsa_system_sgpr_workgroup_id_x 1
		.amdhsa_system_sgpr_workgroup_id_y 0
		.amdhsa_system_sgpr_workgroup_id_z 0
		.amdhsa_system_sgpr_workgroup_info 0
		.amdhsa_system_vgpr_workitem_id 0
		.amdhsa_next_free_vgpr 1
		.amdhsa_next_free_sgpr 0
		.amdhsa_accum_offset 4
		.amdhsa_reserve_vcc 0
		.amdhsa_reserve_flat_scratch 0
		.amdhsa_float_round_mode_32 0
		.amdhsa_float_round_mode_16_64 0
		.amdhsa_float_denorm_mode_32 3
		.amdhsa_float_denorm_mode_16_64 3
		.amdhsa_dx10_clamp 1
		.amdhsa_ieee_mode 1
		.amdhsa_fp16_overflow 0
		.amdhsa_tg_split 0
		.amdhsa_exception_fp_ieee_invalid_op 0
		.amdhsa_exception_fp_denorm_src 0
		.amdhsa_exception_fp_ieee_div_zero 0
		.amdhsa_exception_fp_ieee_overflow 0
		.amdhsa_exception_fp_ieee_underflow 0
		.amdhsa_exception_fp_ieee_inexact 0
		.amdhsa_exception_int_div_zero 0
	.end_amdhsa_kernel
	.section	.text._ZN7rocprim17ROCPRIM_400000_NS6detail17trampoline_kernelINS0_14default_configENS1_20scan_config_selectorIfEEZZNS1_9scan_implILNS1_25lookback_scan_determinismE0ELb1ELb1ES3_N6thrust23THRUST_200600_302600_NS6detail15normal_iteratorINS9_10device_ptrIjEEEENSB_INSC_IfEEEEfNS9_4plusIvEEfEEDaPvRmT3_T4_T5_mT6_P12ihipStream_tbENKUlT_T0_E_clISt17integral_constantIbLb1EESV_IbLb0EEEEDaSR_SS_EUlSR_E0_NS1_11comp_targetILNS1_3genE9ELNS1_11target_archE1100ELNS1_3gpuE3ELNS1_3repE0EEENS1_30default_config_static_selectorELNS0_4arch9wavefront6targetE1EEEvT1_,"axG",@progbits,_ZN7rocprim17ROCPRIM_400000_NS6detail17trampoline_kernelINS0_14default_configENS1_20scan_config_selectorIfEEZZNS1_9scan_implILNS1_25lookback_scan_determinismE0ELb1ELb1ES3_N6thrust23THRUST_200600_302600_NS6detail15normal_iteratorINS9_10device_ptrIjEEEENSB_INSC_IfEEEEfNS9_4plusIvEEfEEDaPvRmT3_T4_T5_mT6_P12ihipStream_tbENKUlT_T0_E_clISt17integral_constantIbLb1EESV_IbLb0EEEEDaSR_SS_EUlSR_E0_NS1_11comp_targetILNS1_3genE9ELNS1_11target_archE1100ELNS1_3gpuE3ELNS1_3repE0EEENS1_30default_config_static_selectorELNS0_4arch9wavefront6targetE1EEEvT1_,comdat
.Lfunc_end6140:
	.size	_ZN7rocprim17ROCPRIM_400000_NS6detail17trampoline_kernelINS0_14default_configENS1_20scan_config_selectorIfEEZZNS1_9scan_implILNS1_25lookback_scan_determinismE0ELb1ELb1ES3_N6thrust23THRUST_200600_302600_NS6detail15normal_iteratorINS9_10device_ptrIjEEEENSB_INSC_IfEEEEfNS9_4plusIvEEfEEDaPvRmT3_T4_T5_mT6_P12ihipStream_tbENKUlT_T0_E_clISt17integral_constantIbLb1EESV_IbLb0EEEEDaSR_SS_EUlSR_E0_NS1_11comp_targetILNS1_3genE9ELNS1_11target_archE1100ELNS1_3gpuE3ELNS1_3repE0EEENS1_30default_config_static_selectorELNS0_4arch9wavefront6targetE1EEEvT1_, .Lfunc_end6140-_ZN7rocprim17ROCPRIM_400000_NS6detail17trampoline_kernelINS0_14default_configENS1_20scan_config_selectorIfEEZZNS1_9scan_implILNS1_25lookback_scan_determinismE0ELb1ELb1ES3_N6thrust23THRUST_200600_302600_NS6detail15normal_iteratorINS9_10device_ptrIjEEEENSB_INSC_IfEEEEfNS9_4plusIvEEfEEDaPvRmT3_T4_T5_mT6_P12ihipStream_tbENKUlT_T0_E_clISt17integral_constantIbLb1EESV_IbLb0EEEEDaSR_SS_EUlSR_E0_NS1_11comp_targetILNS1_3genE9ELNS1_11target_archE1100ELNS1_3gpuE3ELNS1_3repE0EEENS1_30default_config_static_selectorELNS0_4arch9wavefront6targetE1EEEvT1_
                                        ; -- End function
	.section	.AMDGPU.csdata,"",@progbits
; Kernel info:
; codeLenInByte = 0
; NumSgprs: 4
; NumVgprs: 0
; NumAgprs: 0
; TotalNumVgprs: 0
; ScratchSize: 0
; MemoryBound: 0
; FloatMode: 240
; IeeeMode: 1
; LDSByteSize: 0 bytes/workgroup (compile time only)
; SGPRBlocks: 0
; VGPRBlocks: 0
; NumSGPRsForWavesPerEU: 4
; NumVGPRsForWavesPerEU: 1
; AccumOffset: 4
; Occupancy: 8
; WaveLimiterHint : 0
; COMPUTE_PGM_RSRC2:SCRATCH_EN: 0
; COMPUTE_PGM_RSRC2:USER_SGPR: 6
; COMPUTE_PGM_RSRC2:TRAP_HANDLER: 0
; COMPUTE_PGM_RSRC2:TGID_X_EN: 1
; COMPUTE_PGM_RSRC2:TGID_Y_EN: 0
; COMPUTE_PGM_RSRC2:TGID_Z_EN: 0
; COMPUTE_PGM_RSRC2:TIDIG_COMP_CNT: 0
; COMPUTE_PGM_RSRC3_GFX90A:ACCUM_OFFSET: 0
; COMPUTE_PGM_RSRC3_GFX90A:TG_SPLIT: 0
	.section	.text._ZN7rocprim17ROCPRIM_400000_NS6detail17trampoline_kernelINS0_14default_configENS1_20scan_config_selectorIfEEZZNS1_9scan_implILNS1_25lookback_scan_determinismE0ELb1ELb1ES3_N6thrust23THRUST_200600_302600_NS6detail15normal_iteratorINS9_10device_ptrIjEEEENSB_INSC_IfEEEEfNS9_4plusIvEEfEEDaPvRmT3_T4_T5_mT6_P12ihipStream_tbENKUlT_T0_E_clISt17integral_constantIbLb1EESV_IbLb0EEEEDaSR_SS_EUlSR_E0_NS1_11comp_targetILNS1_3genE8ELNS1_11target_archE1030ELNS1_3gpuE2ELNS1_3repE0EEENS1_30default_config_static_selectorELNS0_4arch9wavefront6targetE1EEEvT1_,"axG",@progbits,_ZN7rocprim17ROCPRIM_400000_NS6detail17trampoline_kernelINS0_14default_configENS1_20scan_config_selectorIfEEZZNS1_9scan_implILNS1_25lookback_scan_determinismE0ELb1ELb1ES3_N6thrust23THRUST_200600_302600_NS6detail15normal_iteratorINS9_10device_ptrIjEEEENSB_INSC_IfEEEEfNS9_4plusIvEEfEEDaPvRmT3_T4_T5_mT6_P12ihipStream_tbENKUlT_T0_E_clISt17integral_constantIbLb1EESV_IbLb0EEEEDaSR_SS_EUlSR_E0_NS1_11comp_targetILNS1_3genE8ELNS1_11target_archE1030ELNS1_3gpuE2ELNS1_3repE0EEENS1_30default_config_static_selectorELNS0_4arch9wavefront6targetE1EEEvT1_,comdat
	.protected	_ZN7rocprim17ROCPRIM_400000_NS6detail17trampoline_kernelINS0_14default_configENS1_20scan_config_selectorIfEEZZNS1_9scan_implILNS1_25lookback_scan_determinismE0ELb1ELb1ES3_N6thrust23THRUST_200600_302600_NS6detail15normal_iteratorINS9_10device_ptrIjEEEENSB_INSC_IfEEEEfNS9_4plusIvEEfEEDaPvRmT3_T4_T5_mT6_P12ihipStream_tbENKUlT_T0_E_clISt17integral_constantIbLb1EESV_IbLb0EEEEDaSR_SS_EUlSR_E0_NS1_11comp_targetILNS1_3genE8ELNS1_11target_archE1030ELNS1_3gpuE2ELNS1_3repE0EEENS1_30default_config_static_selectorELNS0_4arch9wavefront6targetE1EEEvT1_ ; -- Begin function _ZN7rocprim17ROCPRIM_400000_NS6detail17trampoline_kernelINS0_14default_configENS1_20scan_config_selectorIfEEZZNS1_9scan_implILNS1_25lookback_scan_determinismE0ELb1ELb1ES3_N6thrust23THRUST_200600_302600_NS6detail15normal_iteratorINS9_10device_ptrIjEEEENSB_INSC_IfEEEEfNS9_4plusIvEEfEEDaPvRmT3_T4_T5_mT6_P12ihipStream_tbENKUlT_T0_E_clISt17integral_constantIbLb1EESV_IbLb0EEEEDaSR_SS_EUlSR_E0_NS1_11comp_targetILNS1_3genE8ELNS1_11target_archE1030ELNS1_3gpuE2ELNS1_3repE0EEENS1_30default_config_static_selectorELNS0_4arch9wavefront6targetE1EEEvT1_
	.globl	_ZN7rocprim17ROCPRIM_400000_NS6detail17trampoline_kernelINS0_14default_configENS1_20scan_config_selectorIfEEZZNS1_9scan_implILNS1_25lookback_scan_determinismE0ELb1ELb1ES3_N6thrust23THRUST_200600_302600_NS6detail15normal_iteratorINS9_10device_ptrIjEEEENSB_INSC_IfEEEEfNS9_4plusIvEEfEEDaPvRmT3_T4_T5_mT6_P12ihipStream_tbENKUlT_T0_E_clISt17integral_constantIbLb1EESV_IbLb0EEEEDaSR_SS_EUlSR_E0_NS1_11comp_targetILNS1_3genE8ELNS1_11target_archE1030ELNS1_3gpuE2ELNS1_3repE0EEENS1_30default_config_static_selectorELNS0_4arch9wavefront6targetE1EEEvT1_
	.p2align	8
	.type	_ZN7rocprim17ROCPRIM_400000_NS6detail17trampoline_kernelINS0_14default_configENS1_20scan_config_selectorIfEEZZNS1_9scan_implILNS1_25lookback_scan_determinismE0ELb1ELb1ES3_N6thrust23THRUST_200600_302600_NS6detail15normal_iteratorINS9_10device_ptrIjEEEENSB_INSC_IfEEEEfNS9_4plusIvEEfEEDaPvRmT3_T4_T5_mT6_P12ihipStream_tbENKUlT_T0_E_clISt17integral_constantIbLb1EESV_IbLb0EEEEDaSR_SS_EUlSR_E0_NS1_11comp_targetILNS1_3genE8ELNS1_11target_archE1030ELNS1_3gpuE2ELNS1_3repE0EEENS1_30default_config_static_selectorELNS0_4arch9wavefront6targetE1EEEvT1_,@function
_ZN7rocprim17ROCPRIM_400000_NS6detail17trampoline_kernelINS0_14default_configENS1_20scan_config_selectorIfEEZZNS1_9scan_implILNS1_25lookback_scan_determinismE0ELb1ELb1ES3_N6thrust23THRUST_200600_302600_NS6detail15normal_iteratorINS9_10device_ptrIjEEEENSB_INSC_IfEEEEfNS9_4plusIvEEfEEDaPvRmT3_T4_T5_mT6_P12ihipStream_tbENKUlT_T0_E_clISt17integral_constantIbLb1EESV_IbLb0EEEEDaSR_SS_EUlSR_E0_NS1_11comp_targetILNS1_3genE8ELNS1_11target_archE1030ELNS1_3gpuE2ELNS1_3repE0EEENS1_30default_config_static_selectorELNS0_4arch9wavefront6targetE1EEEvT1_: ; @_ZN7rocprim17ROCPRIM_400000_NS6detail17trampoline_kernelINS0_14default_configENS1_20scan_config_selectorIfEEZZNS1_9scan_implILNS1_25lookback_scan_determinismE0ELb1ELb1ES3_N6thrust23THRUST_200600_302600_NS6detail15normal_iteratorINS9_10device_ptrIjEEEENSB_INSC_IfEEEEfNS9_4plusIvEEfEEDaPvRmT3_T4_T5_mT6_P12ihipStream_tbENKUlT_T0_E_clISt17integral_constantIbLb1EESV_IbLb0EEEEDaSR_SS_EUlSR_E0_NS1_11comp_targetILNS1_3genE8ELNS1_11target_archE1030ELNS1_3gpuE2ELNS1_3repE0EEENS1_30default_config_static_selectorELNS0_4arch9wavefront6targetE1EEEvT1_
; %bb.0:
	.section	.rodata,"a",@progbits
	.p2align	6, 0x0
	.amdhsa_kernel _ZN7rocprim17ROCPRIM_400000_NS6detail17trampoline_kernelINS0_14default_configENS1_20scan_config_selectorIfEEZZNS1_9scan_implILNS1_25lookback_scan_determinismE0ELb1ELb1ES3_N6thrust23THRUST_200600_302600_NS6detail15normal_iteratorINS9_10device_ptrIjEEEENSB_INSC_IfEEEEfNS9_4plusIvEEfEEDaPvRmT3_T4_T5_mT6_P12ihipStream_tbENKUlT_T0_E_clISt17integral_constantIbLb1EESV_IbLb0EEEEDaSR_SS_EUlSR_E0_NS1_11comp_targetILNS1_3genE8ELNS1_11target_archE1030ELNS1_3gpuE2ELNS1_3repE0EEENS1_30default_config_static_selectorELNS0_4arch9wavefront6targetE1EEEvT1_
		.amdhsa_group_segment_fixed_size 0
		.amdhsa_private_segment_fixed_size 0
		.amdhsa_kernarg_size 32
		.amdhsa_user_sgpr_count 6
		.amdhsa_user_sgpr_private_segment_buffer 1
		.amdhsa_user_sgpr_dispatch_ptr 0
		.amdhsa_user_sgpr_queue_ptr 0
		.amdhsa_user_sgpr_kernarg_segment_ptr 1
		.amdhsa_user_sgpr_dispatch_id 0
		.amdhsa_user_sgpr_flat_scratch_init 0
		.amdhsa_user_sgpr_kernarg_preload_length 0
		.amdhsa_user_sgpr_kernarg_preload_offset 0
		.amdhsa_user_sgpr_private_segment_size 0
		.amdhsa_uses_dynamic_stack 0
		.amdhsa_system_sgpr_private_segment_wavefront_offset 0
		.amdhsa_system_sgpr_workgroup_id_x 1
		.amdhsa_system_sgpr_workgroup_id_y 0
		.amdhsa_system_sgpr_workgroup_id_z 0
		.amdhsa_system_sgpr_workgroup_info 0
		.amdhsa_system_vgpr_workitem_id 0
		.amdhsa_next_free_vgpr 1
		.amdhsa_next_free_sgpr 0
		.amdhsa_accum_offset 4
		.amdhsa_reserve_vcc 0
		.amdhsa_reserve_flat_scratch 0
		.amdhsa_float_round_mode_32 0
		.amdhsa_float_round_mode_16_64 0
		.amdhsa_float_denorm_mode_32 3
		.amdhsa_float_denorm_mode_16_64 3
		.amdhsa_dx10_clamp 1
		.amdhsa_ieee_mode 1
		.amdhsa_fp16_overflow 0
		.amdhsa_tg_split 0
		.amdhsa_exception_fp_ieee_invalid_op 0
		.amdhsa_exception_fp_denorm_src 0
		.amdhsa_exception_fp_ieee_div_zero 0
		.amdhsa_exception_fp_ieee_overflow 0
		.amdhsa_exception_fp_ieee_underflow 0
		.amdhsa_exception_fp_ieee_inexact 0
		.amdhsa_exception_int_div_zero 0
	.end_amdhsa_kernel
	.section	.text._ZN7rocprim17ROCPRIM_400000_NS6detail17trampoline_kernelINS0_14default_configENS1_20scan_config_selectorIfEEZZNS1_9scan_implILNS1_25lookback_scan_determinismE0ELb1ELb1ES3_N6thrust23THRUST_200600_302600_NS6detail15normal_iteratorINS9_10device_ptrIjEEEENSB_INSC_IfEEEEfNS9_4plusIvEEfEEDaPvRmT3_T4_T5_mT6_P12ihipStream_tbENKUlT_T0_E_clISt17integral_constantIbLb1EESV_IbLb0EEEEDaSR_SS_EUlSR_E0_NS1_11comp_targetILNS1_3genE8ELNS1_11target_archE1030ELNS1_3gpuE2ELNS1_3repE0EEENS1_30default_config_static_selectorELNS0_4arch9wavefront6targetE1EEEvT1_,"axG",@progbits,_ZN7rocprim17ROCPRIM_400000_NS6detail17trampoline_kernelINS0_14default_configENS1_20scan_config_selectorIfEEZZNS1_9scan_implILNS1_25lookback_scan_determinismE0ELb1ELb1ES3_N6thrust23THRUST_200600_302600_NS6detail15normal_iteratorINS9_10device_ptrIjEEEENSB_INSC_IfEEEEfNS9_4plusIvEEfEEDaPvRmT3_T4_T5_mT6_P12ihipStream_tbENKUlT_T0_E_clISt17integral_constantIbLb1EESV_IbLb0EEEEDaSR_SS_EUlSR_E0_NS1_11comp_targetILNS1_3genE8ELNS1_11target_archE1030ELNS1_3gpuE2ELNS1_3repE0EEENS1_30default_config_static_selectorELNS0_4arch9wavefront6targetE1EEEvT1_,comdat
.Lfunc_end6141:
	.size	_ZN7rocprim17ROCPRIM_400000_NS6detail17trampoline_kernelINS0_14default_configENS1_20scan_config_selectorIfEEZZNS1_9scan_implILNS1_25lookback_scan_determinismE0ELb1ELb1ES3_N6thrust23THRUST_200600_302600_NS6detail15normal_iteratorINS9_10device_ptrIjEEEENSB_INSC_IfEEEEfNS9_4plusIvEEfEEDaPvRmT3_T4_T5_mT6_P12ihipStream_tbENKUlT_T0_E_clISt17integral_constantIbLb1EESV_IbLb0EEEEDaSR_SS_EUlSR_E0_NS1_11comp_targetILNS1_3genE8ELNS1_11target_archE1030ELNS1_3gpuE2ELNS1_3repE0EEENS1_30default_config_static_selectorELNS0_4arch9wavefront6targetE1EEEvT1_, .Lfunc_end6141-_ZN7rocprim17ROCPRIM_400000_NS6detail17trampoline_kernelINS0_14default_configENS1_20scan_config_selectorIfEEZZNS1_9scan_implILNS1_25lookback_scan_determinismE0ELb1ELb1ES3_N6thrust23THRUST_200600_302600_NS6detail15normal_iteratorINS9_10device_ptrIjEEEENSB_INSC_IfEEEEfNS9_4plusIvEEfEEDaPvRmT3_T4_T5_mT6_P12ihipStream_tbENKUlT_T0_E_clISt17integral_constantIbLb1EESV_IbLb0EEEEDaSR_SS_EUlSR_E0_NS1_11comp_targetILNS1_3genE8ELNS1_11target_archE1030ELNS1_3gpuE2ELNS1_3repE0EEENS1_30default_config_static_selectorELNS0_4arch9wavefront6targetE1EEEvT1_
                                        ; -- End function
	.section	.AMDGPU.csdata,"",@progbits
; Kernel info:
; codeLenInByte = 0
; NumSgprs: 4
; NumVgprs: 0
; NumAgprs: 0
; TotalNumVgprs: 0
; ScratchSize: 0
; MemoryBound: 0
; FloatMode: 240
; IeeeMode: 1
; LDSByteSize: 0 bytes/workgroup (compile time only)
; SGPRBlocks: 0
; VGPRBlocks: 0
; NumSGPRsForWavesPerEU: 4
; NumVGPRsForWavesPerEU: 1
; AccumOffset: 4
; Occupancy: 8
; WaveLimiterHint : 0
; COMPUTE_PGM_RSRC2:SCRATCH_EN: 0
; COMPUTE_PGM_RSRC2:USER_SGPR: 6
; COMPUTE_PGM_RSRC2:TRAP_HANDLER: 0
; COMPUTE_PGM_RSRC2:TGID_X_EN: 1
; COMPUTE_PGM_RSRC2:TGID_Y_EN: 0
; COMPUTE_PGM_RSRC2:TGID_Z_EN: 0
; COMPUTE_PGM_RSRC2:TIDIG_COMP_CNT: 0
; COMPUTE_PGM_RSRC3_GFX90A:ACCUM_OFFSET: 0
; COMPUTE_PGM_RSRC3_GFX90A:TG_SPLIT: 0
	.section	.text._ZN7rocprim17ROCPRIM_400000_NS6detail17trampoline_kernelINS0_14default_configENS1_20scan_config_selectorIfEEZZNS1_9scan_implILNS1_25lookback_scan_determinismE0ELb1ELb1ES3_N6thrust23THRUST_200600_302600_NS6detail15normal_iteratorINS9_10device_ptrIjEEEENSB_INSC_IfEEEEfNS9_4plusIvEEfEEDaPvRmT3_T4_T5_mT6_P12ihipStream_tbENKUlT_T0_E_clISt17integral_constantIbLb0EESV_IbLb1EEEEDaSR_SS_EUlSR_E_NS1_11comp_targetILNS1_3genE0ELNS1_11target_archE4294967295ELNS1_3gpuE0ELNS1_3repE0EEENS1_30default_config_static_selectorELNS0_4arch9wavefront6targetE1EEEvT1_,"axG",@progbits,_ZN7rocprim17ROCPRIM_400000_NS6detail17trampoline_kernelINS0_14default_configENS1_20scan_config_selectorIfEEZZNS1_9scan_implILNS1_25lookback_scan_determinismE0ELb1ELb1ES3_N6thrust23THRUST_200600_302600_NS6detail15normal_iteratorINS9_10device_ptrIjEEEENSB_INSC_IfEEEEfNS9_4plusIvEEfEEDaPvRmT3_T4_T5_mT6_P12ihipStream_tbENKUlT_T0_E_clISt17integral_constantIbLb0EESV_IbLb1EEEEDaSR_SS_EUlSR_E_NS1_11comp_targetILNS1_3genE0ELNS1_11target_archE4294967295ELNS1_3gpuE0ELNS1_3repE0EEENS1_30default_config_static_selectorELNS0_4arch9wavefront6targetE1EEEvT1_,comdat
	.protected	_ZN7rocprim17ROCPRIM_400000_NS6detail17trampoline_kernelINS0_14default_configENS1_20scan_config_selectorIfEEZZNS1_9scan_implILNS1_25lookback_scan_determinismE0ELb1ELb1ES3_N6thrust23THRUST_200600_302600_NS6detail15normal_iteratorINS9_10device_ptrIjEEEENSB_INSC_IfEEEEfNS9_4plusIvEEfEEDaPvRmT3_T4_T5_mT6_P12ihipStream_tbENKUlT_T0_E_clISt17integral_constantIbLb0EESV_IbLb1EEEEDaSR_SS_EUlSR_E_NS1_11comp_targetILNS1_3genE0ELNS1_11target_archE4294967295ELNS1_3gpuE0ELNS1_3repE0EEENS1_30default_config_static_selectorELNS0_4arch9wavefront6targetE1EEEvT1_ ; -- Begin function _ZN7rocprim17ROCPRIM_400000_NS6detail17trampoline_kernelINS0_14default_configENS1_20scan_config_selectorIfEEZZNS1_9scan_implILNS1_25lookback_scan_determinismE0ELb1ELb1ES3_N6thrust23THRUST_200600_302600_NS6detail15normal_iteratorINS9_10device_ptrIjEEEENSB_INSC_IfEEEEfNS9_4plusIvEEfEEDaPvRmT3_T4_T5_mT6_P12ihipStream_tbENKUlT_T0_E_clISt17integral_constantIbLb0EESV_IbLb1EEEEDaSR_SS_EUlSR_E_NS1_11comp_targetILNS1_3genE0ELNS1_11target_archE4294967295ELNS1_3gpuE0ELNS1_3repE0EEENS1_30default_config_static_selectorELNS0_4arch9wavefront6targetE1EEEvT1_
	.globl	_ZN7rocprim17ROCPRIM_400000_NS6detail17trampoline_kernelINS0_14default_configENS1_20scan_config_selectorIfEEZZNS1_9scan_implILNS1_25lookback_scan_determinismE0ELb1ELb1ES3_N6thrust23THRUST_200600_302600_NS6detail15normal_iteratorINS9_10device_ptrIjEEEENSB_INSC_IfEEEEfNS9_4plusIvEEfEEDaPvRmT3_T4_T5_mT6_P12ihipStream_tbENKUlT_T0_E_clISt17integral_constantIbLb0EESV_IbLb1EEEEDaSR_SS_EUlSR_E_NS1_11comp_targetILNS1_3genE0ELNS1_11target_archE4294967295ELNS1_3gpuE0ELNS1_3repE0EEENS1_30default_config_static_selectorELNS0_4arch9wavefront6targetE1EEEvT1_
	.p2align	8
	.type	_ZN7rocprim17ROCPRIM_400000_NS6detail17trampoline_kernelINS0_14default_configENS1_20scan_config_selectorIfEEZZNS1_9scan_implILNS1_25lookback_scan_determinismE0ELb1ELb1ES3_N6thrust23THRUST_200600_302600_NS6detail15normal_iteratorINS9_10device_ptrIjEEEENSB_INSC_IfEEEEfNS9_4plusIvEEfEEDaPvRmT3_T4_T5_mT6_P12ihipStream_tbENKUlT_T0_E_clISt17integral_constantIbLb0EESV_IbLb1EEEEDaSR_SS_EUlSR_E_NS1_11comp_targetILNS1_3genE0ELNS1_11target_archE4294967295ELNS1_3gpuE0ELNS1_3repE0EEENS1_30default_config_static_selectorELNS0_4arch9wavefront6targetE1EEEvT1_,@function
_ZN7rocprim17ROCPRIM_400000_NS6detail17trampoline_kernelINS0_14default_configENS1_20scan_config_selectorIfEEZZNS1_9scan_implILNS1_25lookback_scan_determinismE0ELb1ELb1ES3_N6thrust23THRUST_200600_302600_NS6detail15normal_iteratorINS9_10device_ptrIjEEEENSB_INSC_IfEEEEfNS9_4plusIvEEfEEDaPvRmT3_T4_T5_mT6_P12ihipStream_tbENKUlT_T0_E_clISt17integral_constantIbLb0EESV_IbLb1EEEEDaSR_SS_EUlSR_E_NS1_11comp_targetILNS1_3genE0ELNS1_11target_archE4294967295ELNS1_3gpuE0ELNS1_3repE0EEENS1_30default_config_static_selectorELNS0_4arch9wavefront6targetE1EEEvT1_: ; @_ZN7rocprim17ROCPRIM_400000_NS6detail17trampoline_kernelINS0_14default_configENS1_20scan_config_selectorIfEEZZNS1_9scan_implILNS1_25lookback_scan_determinismE0ELb1ELb1ES3_N6thrust23THRUST_200600_302600_NS6detail15normal_iteratorINS9_10device_ptrIjEEEENSB_INSC_IfEEEEfNS9_4plusIvEEfEEDaPvRmT3_T4_T5_mT6_P12ihipStream_tbENKUlT_T0_E_clISt17integral_constantIbLb0EESV_IbLb1EEEEDaSR_SS_EUlSR_E_NS1_11comp_targetILNS1_3genE0ELNS1_11target_archE4294967295ELNS1_3gpuE0ELNS1_3repE0EEENS1_30default_config_static_selectorELNS0_4arch9wavefront6targetE1EEEvT1_
; %bb.0:
	.section	.rodata,"a",@progbits
	.p2align	6, 0x0
	.amdhsa_kernel _ZN7rocprim17ROCPRIM_400000_NS6detail17trampoline_kernelINS0_14default_configENS1_20scan_config_selectorIfEEZZNS1_9scan_implILNS1_25lookback_scan_determinismE0ELb1ELb1ES3_N6thrust23THRUST_200600_302600_NS6detail15normal_iteratorINS9_10device_ptrIjEEEENSB_INSC_IfEEEEfNS9_4plusIvEEfEEDaPvRmT3_T4_T5_mT6_P12ihipStream_tbENKUlT_T0_E_clISt17integral_constantIbLb0EESV_IbLb1EEEEDaSR_SS_EUlSR_E_NS1_11comp_targetILNS1_3genE0ELNS1_11target_archE4294967295ELNS1_3gpuE0ELNS1_3repE0EEENS1_30default_config_static_selectorELNS0_4arch9wavefront6targetE1EEEvT1_
		.amdhsa_group_segment_fixed_size 0
		.amdhsa_private_segment_fixed_size 0
		.amdhsa_kernarg_size 96
		.amdhsa_user_sgpr_count 6
		.amdhsa_user_sgpr_private_segment_buffer 1
		.amdhsa_user_sgpr_dispatch_ptr 0
		.amdhsa_user_sgpr_queue_ptr 0
		.amdhsa_user_sgpr_kernarg_segment_ptr 1
		.amdhsa_user_sgpr_dispatch_id 0
		.amdhsa_user_sgpr_flat_scratch_init 0
		.amdhsa_user_sgpr_kernarg_preload_length 0
		.amdhsa_user_sgpr_kernarg_preload_offset 0
		.amdhsa_user_sgpr_private_segment_size 0
		.amdhsa_uses_dynamic_stack 0
		.amdhsa_system_sgpr_private_segment_wavefront_offset 0
		.amdhsa_system_sgpr_workgroup_id_x 1
		.amdhsa_system_sgpr_workgroup_id_y 0
		.amdhsa_system_sgpr_workgroup_id_z 0
		.amdhsa_system_sgpr_workgroup_info 0
		.amdhsa_system_vgpr_workitem_id 0
		.amdhsa_next_free_vgpr 1
		.amdhsa_next_free_sgpr 0
		.amdhsa_accum_offset 4
		.amdhsa_reserve_vcc 0
		.amdhsa_reserve_flat_scratch 0
		.amdhsa_float_round_mode_32 0
		.amdhsa_float_round_mode_16_64 0
		.amdhsa_float_denorm_mode_32 3
		.amdhsa_float_denorm_mode_16_64 3
		.amdhsa_dx10_clamp 1
		.amdhsa_ieee_mode 1
		.amdhsa_fp16_overflow 0
		.amdhsa_tg_split 0
		.amdhsa_exception_fp_ieee_invalid_op 0
		.amdhsa_exception_fp_denorm_src 0
		.amdhsa_exception_fp_ieee_div_zero 0
		.amdhsa_exception_fp_ieee_overflow 0
		.amdhsa_exception_fp_ieee_underflow 0
		.amdhsa_exception_fp_ieee_inexact 0
		.amdhsa_exception_int_div_zero 0
	.end_amdhsa_kernel
	.section	.text._ZN7rocprim17ROCPRIM_400000_NS6detail17trampoline_kernelINS0_14default_configENS1_20scan_config_selectorIfEEZZNS1_9scan_implILNS1_25lookback_scan_determinismE0ELb1ELb1ES3_N6thrust23THRUST_200600_302600_NS6detail15normal_iteratorINS9_10device_ptrIjEEEENSB_INSC_IfEEEEfNS9_4plusIvEEfEEDaPvRmT3_T4_T5_mT6_P12ihipStream_tbENKUlT_T0_E_clISt17integral_constantIbLb0EESV_IbLb1EEEEDaSR_SS_EUlSR_E_NS1_11comp_targetILNS1_3genE0ELNS1_11target_archE4294967295ELNS1_3gpuE0ELNS1_3repE0EEENS1_30default_config_static_selectorELNS0_4arch9wavefront6targetE1EEEvT1_,"axG",@progbits,_ZN7rocprim17ROCPRIM_400000_NS6detail17trampoline_kernelINS0_14default_configENS1_20scan_config_selectorIfEEZZNS1_9scan_implILNS1_25lookback_scan_determinismE0ELb1ELb1ES3_N6thrust23THRUST_200600_302600_NS6detail15normal_iteratorINS9_10device_ptrIjEEEENSB_INSC_IfEEEEfNS9_4plusIvEEfEEDaPvRmT3_T4_T5_mT6_P12ihipStream_tbENKUlT_T0_E_clISt17integral_constantIbLb0EESV_IbLb1EEEEDaSR_SS_EUlSR_E_NS1_11comp_targetILNS1_3genE0ELNS1_11target_archE4294967295ELNS1_3gpuE0ELNS1_3repE0EEENS1_30default_config_static_selectorELNS0_4arch9wavefront6targetE1EEEvT1_,comdat
.Lfunc_end6142:
	.size	_ZN7rocprim17ROCPRIM_400000_NS6detail17trampoline_kernelINS0_14default_configENS1_20scan_config_selectorIfEEZZNS1_9scan_implILNS1_25lookback_scan_determinismE0ELb1ELb1ES3_N6thrust23THRUST_200600_302600_NS6detail15normal_iteratorINS9_10device_ptrIjEEEENSB_INSC_IfEEEEfNS9_4plusIvEEfEEDaPvRmT3_T4_T5_mT6_P12ihipStream_tbENKUlT_T0_E_clISt17integral_constantIbLb0EESV_IbLb1EEEEDaSR_SS_EUlSR_E_NS1_11comp_targetILNS1_3genE0ELNS1_11target_archE4294967295ELNS1_3gpuE0ELNS1_3repE0EEENS1_30default_config_static_selectorELNS0_4arch9wavefront6targetE1EEEvT1_, .Lfunc_end6142-_ZN7rocprim17ROCPRIM_400000_NS6detail17trampoline_kernelINS0_14default_configENS1_20scan_config_selectorIfEEZZNS1_9scan_implILNS1_25lookback_scan_determinismE0ELb1ELb1ES3_N6thrust23THRUST_200600_302600_NS6detail15normal_iteratorINS9_10device_ptrIjEEEENSB_INSC_IfEEEEfNS9_4plusIvEEfEEDaPvRmT3_T4_T5_mT6_P12ihipStream_tbENKUlT_T0_E_clISt17integral_constantIbLb0EESV_IbLb1EEEEDaSR_SS_EUlSR_E_NS1_11comp_targetILNS1_3genE0ELNS1_11target_archE4294967295ELNS1_3gpuE0ELNS1_3repE0EEENS1_30default_config_static_selectorELNS0_4arch9wavefront6targetE1EEEvT1_
                                        ; -- End function
	.section	.AMDGPU.csdata,"",@progbits
; Kernel info:
; codeLenInByte = 0
; NumSgprs: 4
; NumVgprs: 0
; NumAgprs: 0
; TotalNumVgprs: 0
; ScratchSize: 0
; MemoryBound: 0
; FloatMode: 240
; IeeeMode: 1
; LDSByteSize: 0 bytes/workgroup (compile time only)
; SGPRBlocks: 0
; VGPRBlocks: 0
; NumSGPRsForWavesPerEU: 4
; NumVGPRsForWavesPerEU: 1
; AccumOffset: 4
; Occupancy: 8
; WaveLimiterHint : 0
; COMPUTE_PGM_RSRC2:SCRATCH_EN: 0
; COMPUTE_PGM_RSRC2:USER_SGPR: 6
; COMPUTE_PGM_RSRC2:TRAP_HANDLER: 0
; COMPUTE_PGM_RSRC2:TGID_X_EN: 1
; COMPUTE_PGM_RSRC2:TGID_Y_EN: 0
; COMPUTE_PGM_RSRC2:TGID_Z_EN: 0
; COMPUTE_PGM_RSRC2:TIDIG_COMP_CNT: 0
; COMPUTE_PGM_RSRC3_GFX90A:ACCUM_OFFSET: 0
; COMPUTE_PGM_RSRC3_GFX90A:TG_SPLIT: 0
	.section	.text._ZN7rocprim17ROCPRIM_400000_NS6detail17trampoline_kernelINS0_14default_configENS1_20scan_config_selectorIfEEZZNS1_9scan_implILNS1_25lookback_scan_determinismE0ELb1ELb1ES3_N6thrust23THRUST_200600_302600_NS6detail15normal_iteratorINS9_10device_ptrIjEEEENSB_INSC_IfEEEEfNS9_4plusIvEEfEEDaPvRmT3_T4_T5_mT6_P12ihipStream_tbENKUlT_T0_E_clISt17integral_constantIbLb0EESV_IbLb1EEEEDaSR_SS_EUlSR_E_NS1_11comp_targetILNS1_3genE5ELNS1_11target_archE942ELNS1_3gpuE9ELNS1_3repE0EEENS1_30default_config_static_selectorELNS0_4arch9wavefront6targetE1EEEvT1_,"axG",@progbits,_ZN7rocprim17ROCPRIM_400000_NS6detail17trampoline_kernelINS0_14default_configENS1_20scan_config_selectorIfEEZZNS1_9scan_implILNS1_25lookback_scan_determinismE0ELb1ELb1ES3_N6thrust23THRUST_200600_302600_NS6detail15normal_iteratorINS9_10device_ptrIjEEEENSB_INSC_IfEEEEfNS9_4plusIvEEfEEDaPvRmT3_T4_T5_mT6_P12ihipStream_tbENKUlT_T0_E_clISt17integral_constantIbLb0EESV_IbLb1EEEEDaSR_SS_EUlSR_E_NS1_11comp_targetILNS1_3genE5ELNS1_11target_archE942ELNS1_3gpuE9ELNS1_3repE0EEENS1_30default_config_static_selectorELNS0_4arch9wavefront6targetE1EEEvT1_,comdat
	.protected	_ZN7rocprim17ROCPRIM_400000_NS6detail17trampoline_kernelINS0_14default_configENS1_20scan_config_selectorIfEEZZNS1_9scan_implILNS1_25lookback_scan_determinismE0ELb1ELb1ES3_N6thrust23THRUST_200600_302600_NS6detail15normal_iteratorINS9_10device_ptrIjEEEENSB_INSC_IfEEEEfNS9_4plusIvEEfEEDaPvRmT3_T4_T5_mT6_P12ihipStream_tbENKUlT_T0_E_clISt17integral_constantIbLb0EESV_IbLb1EEEEDaSR_SS_EUlSR_E_NS1_11comp_targetILNS1_3genE5ELNS1_11target_archE942ELNS1_3gpuE9ELNS1_3repE0EEENS1_30default_config_static_selectorELNS0_4arch9wavefront6targetE1EEEvT1_ ; -- Begin function _ZN7rocprim17ROCPRIM_400000_NS6detail17trampoline_kernelINS0_14default_configENS1_20scan_config_selectorIfEEZZNS1_9scan_implILNS1_25lookback_scan_determinismE0ELb1ELb1ES3_N6thrust23THRUST_200600_302600_NS6detail15normal_iteratorINS9_10device_ptrIjEEEENSB_INSC_IfEEEEfNS9_4plusIvEEfEEDaPvRmT3_T4_T5_mT6_P12ihipStream_tbENKUlT_T0_E_clISt17integral_constantIbLb0EESV_IbLb1EEEEDaSR_SS_EUlSR_E_NS1_11comp_targetILNS1_3genE5ELNS1_11target_archE942ELNS1_3gpuE9ELNS1_3repE0EEENS1_30default_config_static_selectorELNS0_4arch9wavefront6targetE1EEEvT1_
	.globl	_ZN7rocprim17ROCPRIM_400000_NS6detail17trampoline_kernelINS0_14default_configENS1_20scan_config_selectorIfEEZZNS1_9scan_implILNS1_25lookback_scan_determinismE0ELb1ELb1ES3_N6thrust23THRUST_200600_302600_NS6detail15normal_iteratorINS9_10device_ptrIjEEEENSB_INSC_IfEEEEfNS9_4plusIvEEfEEDaPvRmT3_T4_T5_mT6_P12ihipStream_tbENKUlT_T0_E_clISt17integral_constantIbLb0EESV_IbLb1EEEEDaSR_SS_EUlSR_E_NS1_11comp_targetILNS1_3genE5ELNS1_11target_archE942ELNS1_3gpuE9ELNS1_3repE0EEENS1_30default_config_static_selectorELNS0_4arch9wavefront6targetE1EEEvT1_
	.p2align	8
	.type	_ZN7rocprim17ROCPRIM_400000_NS6detail17trampoline_kernelINS0_14default_configENS1_20scan_config_selectorIfEEZZNS1_9scan_implILNS1_25lookback_scan_determinismE0ELb1ELb1ES3_N6thrust23THRUST_200600_302600_NS6detail15normal_iteratorINS9_10device_ptrIjEEEENSB_INSC_IfEEEEfNS9_4plusIvEEfEEDaPvRmT3_T4_T5_mT6_P12ihipStream_tbENKUlT_T0_E_clISt17integral_constantIbLb0EESV_IbLb1EEEEDaSR_SS_EUlSR_E_NS1_11comp_targetILNS1_3genE5ELNS1_11target_archE942ELNS1_3gpuE9ELNS1_3repE0EEENS1_30default_config_static_selectorELNS0_4arch9wavefront6targetE1EEEvT1_,@function
_ZN7rocprim17ROCPRIM_400000_NS6detail17trampoline_kernelINS0_14default_configENS1_20scan_config_selectorIfEEZZNS1_9scan_implILNS1_25lookback_scan_determinismE0ELb1ELb1ES3_N6thrust23THRUST_200600_302600_NS6detail15normal_iteratorINS9_10device_ptrIjEEEENSB_INSC_IfEEEEfNS9_4plusIvEEfEEDaPvRmT3_T4_T5_mT6_P12ihipStream_tbENKUlT_T0_E_clISt17integral_constantIbLb0EESV_IbLb1EEEEDaSR_SS_EUlSR_E_NS1_11comp_targetILNS1_3genE5ELNS1_11target_archE942ELNS1_3gpuE9ELNS1_3repE0EEENS1_30default_config_static_selectorELNS0_4arch9wavefront6targetE1EEEvT1_: ; @_ZN7rocprim17ROCPRIM_400000_NS6detail17trampoline_kernelINS0_14default_configENS1_20scan_config_selectorIfEEZZNS1_9scan_implILNS1_25lookback_scan_determinismE0ELb1ELb1ES3_N6thrust23THRUST_200600_302600_NS6detail15normal_iteratorINS9_10device_ptrIjEEEENSB_INSC_IfEEEEfNS9_4plusIvEEfEEDaPvRmT3_T4_T5_mT6_P12ihipStream_tbENKUlT_T0_E_clISt17integral_constantIbLb0EESV_IbLb1EEEEDaSR_SS_EUlSR_E_NS1_11comp_targetILNS1_3genE5ELNS1_11target_archE942ELNS1_3gpuE9ELNS1_3repE0EEENS1_30default_config_static_selectorELNS0_4arch9wavefront6targetE1EEEvT1_
; %bb.0:
	.section	.rodata,"a",@progbits
	.p2align	6, 0x0
	.amdhsa_kernel _ZN7rocprim17ROCPRIM_400000_NS6detail17trampoline_kernelINS0_14default_configENS1_20scan_config_selectorIfEEZZNS1_9scan_implILNS1_25lookback_scan_determinismE0ELb1ELb1ES3_N6thrust23THRUST_200600_302600_NS6detail15normal_iteratorINS9_10device_ptrIjEEEENSB_INSC_IfEEEEfNS9_4plusIvEEfEEDaPvRmT3_T4_T5_mT6_P12ihipStream_tbENKUlT_T0_E_clISt17integral_constantIbLb0EESV_IbLb1EEEEDaSR_SS_EUlSR_E_NS1_11comp_targetILNS1_3genE5ELNS1_11target_archE942ELNS1_3gpuE9ELNS1_3repE0EEENS1_30default_config_static_selectorELNS0_4arch9wavefront6targetE1EEEvT1_
		.amdhsa_group_segment_fixed_size 0
		.amdhsa_private_segment_fixed_size 0
		.amdhsa_kernarg_size 96
		.amdhsa_user_sgpr_count 6
		.amdhsa_user_sgpr_private_segment_buffer 1
		.amdhsa_user_sgpr_dispatch_ptr 0
		.amdhsa_user_sgpr_queue_ptr 0
		.amdhsa_user_sgpr_kernarg_segment_ptr 1
		.amdhsa_user_sgpr_dispatch_id 0
		.amdhsa_user_sgpr_flat_scratch_init 0
		.amdhsa_user_sgpr_kernarg_preload_length 0
		.amdhsa_user_sgpr_kernarg_preload_offset 0
		.amdhsa_user_sgpr_private_segment_size 0
		.amdhsa_uses_dynamic_stack 0
		.amdhsa_system_sgpr_private_segment_wavefront_offset 0
		.amdhsa_system_sgpr_workgroup_id_x 1
		.amdhsa_system_sgpr_workgroup_id_y 0
		.amdhsa_system_sgpr_workgroup_id_z 0
		.amdhsa_system_sgpr_workgroup_info 0
		.amdhsa_system_vgpr_workitem_id 0
		.amdhsa_next_free_vgpr 1
		.amdhsa_next_free_sgpr 0
		.amdhsa_accum_offset 4
		.amdhsa_reserve_vcc 0
		.amdhsa_reserve_flat_scratch 0
		.amdhsa_float_round_mode_32 0
		.amdhsa_float_round_mode_16_64 0
		.amdhsa_float_denorm_mode_32 3
		.amdhsa_float_denorm_mode_16_64 3
		.amdhsa_dx10_clamp 1
		.amdhsa_ieee_mode 1
		.amdhsa_fp16_overflow 0
		.amdhsa_tg_split 0
		.amdhsa_exception_fp_ieee_invalid_op 0
		.amdhsa_exception_fp_denorm_src 0
		.amdhsa_exception_fp_ieee_div_zero 0
		.amdhsa_exception_fp_ieee_overflow 0
		.amdhsa_exception_fp_ieee_underflow 0
		.amdhsa_exception_fp_ieee_inexact 0
		.amdhsa_exception_int_div_zero 0
	.end_amdhsa_kernel
	.section	.text._ZN7rocprim17ROCPRIM_400000_NS6detail17trampoline_kernelINS0_14default_configENS1_20scan_config_selectorIfEEZZNS1_9scan_implILNS1_25lookback_scan_determinismE0ELb1ELb1ES3_N6thrust23THRUST_200600_302600_NS6detail15normal_iteratorINS9_10device_ptrIjEEEENSB_INSC_IfEEEEfNS9_4plusIvEEfEEDaPvRmT3_T4_T5_mT6_P12ihipStream_tbENKUlT_T0_E_clISt17integral_constantIbLb0EESV_IbLb1EEEEDaSR_SS_EUlSR_E_NS1_11comp_targetILNS1_3genE5ELNS1_11target_archE942ELNS1_3gpuE9ELNS1_3repE0EEENS1_30default_config_static_selectorELNS0_4arch9wavefront6targetE1EEEvT1_,"axG",@progbits,_ZN7rocprim17ROCPRIM_400000_NS6detail17trampoline_kernelINS0_14default_configENS1_20scan_config_selectorIfEEZZNS1_9scan_implILNS1_25lookback_scan_determinismE0ELb1ELb1ES3_N6thrust23THRUST_200600_302600_NS6detail15normal_iteratorINS9_10device_ptrIjEEEENSB_INSC_IfEEEEfNS9_4plusIvEEfEEDaPvRmT3_T4_T5_mT6_P12ihipStream_tbENKUlT_T0_E_clISt17integral_constantIbLb0EESV_IbLb1EEEEDaSR_SS_EUlSR_E_NS1_11comp_targetILNS1_3genE5ELNS1_11target_archE942ELNS1_3gpuE9ELNS1_3repE0EEENS1_30default_config_static_selectorELNS0_4arch9wavefront6targetE1EEEvT1_,comdat
.Lfunc_end6143:
	.size	_ZN7rocprim17ROCPRIM_400000_NS6detail17trampoline_kernelINS0_14default_configENS1_20scan_config_selectorIfEEZZNS1_9scan_implILNS1_25lookback_scan_determinismE0ELb1ELb1ES3_N6thrust23THRUST_200600_302600_NS6detail15normal_iteratorINS9_10device_ptrIjEEEENSB_INSC_IfEEEEfNS9_4plusIvEEfEEDaPvRmT3_T4_T5_mT6_P12ihipStream_tbENKUlT_T0_E_clISt17integral_constantIbLb0EESV_IbLb1EEEEDaSR_SS_EUlSR_E_NS1_11comp_targetILNS1_3genE5ELNS1_11target_archE942ELNS1_3gpuE9ELNS1_3repE0EEENS1_30default_config_static_selectorELNS0_4arch9wavefront6targetE1EEEvT1_, .Lfunc_end6143-_ZN7rocprim17ROCPRIM_400000_NS6detail17trampoline_kernelINS0_14default_configENS1_20scan_config_selectorIfEEZZNS1_9scan_implILNS1_25lookback_scan_determinismE0ELb1ELb1ES3_N6thrust23THRUST_200600_302600_NS6detail15normal_iteratorINS9_10device_ptrIjEEEENSB_INSC_IfEEEEfNS9_4plusIvEEfEEDaPvRmT3_T4_T5_mT6_P12ihipStream_tbENKUlT_T0_E_clISt17integral_constantIbLb0EESV_IbLb1EEEEDaSR_SS_EUlSR_E_NS1_11comp_targetILNS1_3genE5ELNS1_11target_archE942ELNS1_3gpuE9ELNS1_3repE0EEENS1_30default_config_static_selectorELNS0_4arch9wavefront6targetE1EEEvT1_
                                        ; -- End function
	.section	.AMDGPU.csdata,"",@progbits
; Kernel info:
; codeLenInByte = 0
; NumSgprs: 4
; NumVgprs: 0
; NumAgprs: 0
; TotalNumVgprs: 0
; ScratchSize: 0
; MemoryBound: 0
; FloatMode: 240
; IeeeMode: 1
; LDSByteSize: 0 bytes/workgroup (compile time only)
; SGPRBlocks: 0
; VGPRBlocks: 0
; NumSGPRsForWavesPerEU: 4
; NumVGPRsForWavesPerEU: 1
; AccumOffset: 4
; Occupancy: 8
; WaveLimiterHint : 0
; COMPUTE_PGM_RSRC2:SCRATCH_EN: 0
; COMPUTE_PGM_RSRC2:USER_SGPR: 6
; COMPUTE_PGM_RSRC2:TRAP_HANDLER: 0
; COMPUTE_PGM_RSRC2:TGID_X_EN: 1
; COMPUTE_PGM_RSRC2:TGID_Y_EN: 0
; COMPUTE_PGM_RSRC2:TGID_Z_EN: 0
; COMPUTE_PGM_RSRC2:TIDIG_COMP_CNT: 0
; COMPUTE_PGM_RSRC3_GFX90A:ACCUM_OFFSET: 0
; COMPUTE_PGM_RSRC3_GFX90A:TG_SPLIT: 0
	.section	.text._ZN7rocprim17ROCPRIM_400000_NS6detail17trampoline_kernelINS0_14default_configENS1_20scan_config_selectorIfEEZZNS1_9scan_implILNS1_25lookback_scan_determinismE0ELb1ELb1ES3_N6thrust23THRUST_200600_302600_NS6detail15normal_iteratorINS9_10device_ptrIjEEEENSB_INSC_IfEEEEfNS9_4plusIvEEfEEDaPvRmT3_T4_T5_mT6_P12ihipStream_tbENKUlT_T0_E_clISt17integral_constantIbLb0EESV_IbLb1EEEEDaSR_SS_EUlSR_E_NS1_11comp_targetILNS1_3genE4ELNS1_11target_archE910ELNS1_3gpuE8ELNS1_3repE0EEENS1_30default_config_static_selectorELNS0_4arch9wavefront6targetE1EEEvT1_,"axG",@progbits,_ZN7rocprim17ROCPRIM_400000_NS6detail17trampoline_kernelINS0_14default_configENS1_20scan_config_selectorIfEEZZNS1_9scan_implILNS1_25lookback_scan_determinismE0ELb1ELb1ES3_N6thrust23THRUST_200600_302600_NS6detail15normal_iteratorINS9_10device_ptrIjEEEENSB_INSC_IfEEEEfNS9_4plusIvEEfEEDaPvRmT3_T4_T5_mT6_P12ihipStream_tbENKUlT_T0_E_clISt17integral_constantIbLb0EESV_IbLb1EEEEDaSR_SS_EUlSR_E_NS1_11comp_targetILNS1_3genE4ELNS1_11target_archE910ELNS1_3gpuE8ELNS1_3repE0EEENS1_30default_config_static_selectorELNS0_4arch9wavefront6targetE1EEEvT1_,comdat
	.protected	_ZN7rocprim17ROCPRIM_400000_NS6detail17trampoline_kernelINS0_14default_configENS1_20scan_config_selectorIfEEZZNS1_9scan_implILNS1_25lookback_scan_determinismE0ELb1ELb1ES3_N6thrust23THRUST_200600_302600_NS6detail15normal_iteratorINS9_10device_ptrIjEEEENSB_INSC_IfEEEEfNS9_4plusIvEEfEEDaPvRmT3_T4_T5_mT6_P12ihipStream_tbENKUlT_T0_E_clISt17integral_constantIbLb0EESV_IbLb1EEEEDaSR_SS_EUlSR_E_NS1_11comp_targetILNS1_3genE4ELNS1_11target_archE910ELNS1_3gpuE8ELNS1_3repE0EEENS1_30default_config_static_selectorELNS0_4arch9wavefront6targetE1EEEvT1_ ; -- Begin function _ZN7rocprim17ROCPRIM_400000_NS6detail17trampoline_kernelINS0_14default_configENS1_20scan_config_selectorIfEEZZNS1_9scan_implILNS1_25lookback_scan_determinismE0ELb1ELb1ES3_N6thrust23THRUST_200600_302600_NS6detail15normal_iteratorINS9_10device_ptrIjEEEENSB_INSC_IfEEEEfNS9_4plusIvEEfEEDaPvRmT3_T4_T5_mT6_P12ihipStream_tbENKUlT_T0_E_clISt17integral_constantIbLb0EESV_IbLb1EEEEDaSR_SS_EUlSR_E_NS1_11comp_targetILNS1_3genE4ELNS1_11target_archE910ELNS1_3gpuE8ELNS1_3repE0EEENS1_30default_config_static_selectorELNS0_4arch9wavefront6targetE1EEEvT1_
	.globl	_ZN7rocprim17ROCPRIM_400000_NS6detail17trampoline_kernelINS0_14default_configENS1_20scan_config_selectorIfEEZZNS1_9scan_implILNS1_25lookback_scan_determinismE0ELb1ELb1ES3_N6thrust23THRUST_200600_302600_NS6detail15normal_iteratorINS9_10device_ptrIjEEEENSB_INSC_IfEEEEfNS9_4plusIvEEfEEDaPvRmT3_T4_T5_mT6_P12ihipStream_tbENKUlT_T0_E_clISt17integral_constantIbLb0EESV_IbLb1EEEEDaSR_SS_EUlSR_E_NS1_11comp_targetILNS1_3genE4ELNS1_11target_archE910ELNS1_3gpuE8ELNS1_3repE0EEENS1_30default_config_static_selectorELNS0_4arch9wavefront6targetE1EEEvT1_
	.p2align	8
	.type	_ZN7rocprim17ROCPRIM_400000_NS6detail17trampoline_kernelINS0_14default_configENS1_20scan_config_selectorIfEEZZNS1_9scan_implILNS1_25lookback_scan_determinismE0ELb1ELb1ES3_N6thrust23THRUST_200600_302600_NS6detail15normal_iteratorINS9_10device_ptrIjEEEENSB_INSC_IfEEEEfNS9_4plusIvEEfEEDaPvRmT3_T4_T5_mT6_P12ihipStream_tbENKUlT_T0_E_clISt17integral_constantIbLb0EESV_IbLb1EEEEDaSR_SS_EUlSR_E_NS1_11comp_targetILNS1_3genE4ELNS1_11target_archE910ELNS1_3gpuE8ELNS1_3repE0EEENS1_30default_config_static_selectorELNS0_4arch9wavefront6targetE1EEEvT1_,@function
_ZN7rocprim17ROCPRIM_400000_NS6detail17trampoline_kernelINS0_14default_configENS1_20scan_config_selectorIfEEZZNS1_9scan_implILNS1_25lookback_scan_determinismE0ELb1ELb1ES3_N6thrust23THRUST_200600_302600_NS6detail15normal_iteratorINS9_10device_ptrIjEEEENSB_INSC_IfEEEEfNS9_4plusIvEEfEEDaPvRmT3_T4_T5_mT6_P12ihipStream_tbENKUlT_T0_E_clISt17integral_constantIbLb0EESV_IbLb1EEEEDaSR_SS_EUlSR_E_NS1_11comp_targetILNS1_3genE4ELNS1_11target_archE910ELNS1_3gpuE8ELNS1_3repE0EEENS1_30default_config_static_selectorELNS0_4arch9wavefront6targetE1EEEvT1_: ; @_ZN7rocprim17ROCPRIM_400000_NS6detail17trampoline_kernelINS0_14default_configENS1_20scan_config_selectorIfEEZZNS1_9scan_implILNS1_25lookback_scan_determinismE0ELb1ELb1ES3_N6thrust23THRUST_200600_302600_NS6detail15normal_iteratorINS9_10device_ptrIjEEEENSB_INSC_IfEEEEfNS9_4plusIvEEfEEDaPvRmT3_T4_T5_mT6_P12ihipStream_tbENKUlT_T0_E_clISt17integral_constantIbLb0EESV_IbLb1EEEEDaSR_SS_EUlSR_E_NS1_11comp_targetILNS1_3genE4ELNS1_11target_archE910ELNS1_3gpuE8ELNS1_3repE0EEENS1_30default_config_static_selectorELNS0_4arch9wavefront6targetE1EEEvT1_
; %bb.0:
	s_load_dword s37, s[4:5], 0x20
	s_load_dwordx2 s[14:15], s[4:5], 0x28
	v_cmp_ne_u32_e64 s[2:3], 0, v0
	v_cmp_eq_u32_e64 s[0:1], 0, v0
	s_and_saveexec_b64 s[6:7], s[0:1]
	s_cbranch_execz .LBB6144_4
; %bb.1:
	s_mov_b64 s[10:11], exec
	v_mbcnt_lo_u32_b32 v1, s10, 0
	v_mbcnt_hi_u32_b32 v1, s11, v1
	v_cmp_eq_u32_e32 vcc, 0, v1
                                        ; implicit-def: $vgpr2
	s_and_saveexec_b64 s[8:9], vcc
	s_cbranch_execz .LBB6144_3
; %bb.2:
	s_load_dwordx2 s[12:13], s[4:5], 0x58
	s_bcnt1_i32_b64 s10, s[10:11]
	v_mov_b32_e32 v2, 0
	v_mov_b32_e32 v3, s10
	s_waitcnt lgkmcnt(0)
	global_atomic_add v2, v2, v3, s[12:13] glc
.LBB6144_3:
	s_or_b64 exec, exec, s[8:9]
	s_waitcnt vmcnt(0)
	v_readfirstlane_b32 s8, v2
	v_add_u32_e32 v1, s8, v1
	v_mov_b32_e32 v2, 0
	ds_write_b32 v2, v1
.LBB6144_4:
	s_or_b64 exec, exec, s[6:7]
	s_load_dwordx8 s[24:31], s[4:5], 0x0
	s_load_dword s6, s[4:5], 0x30
	s_load_dwordx8 s[16:23], s[4:5], 0x38
	v_mov_b32_e32 v1, 0
	s_waitcnt lgkmcnt(0)
	s_barrier
	ds_read_b32 v1, v1
	s_lshl_b64 s[26:27], s[26:27], 2
	s_add_u32 s38, s24, s26
	s_addc_u32 s39, s25, s27
	s_add_i32 s6, s6, -1
	s_mul_i32 s7, s6, 0x700
	s_sub_u32 s33, s30, s7
	s_waitcnt lgkmcnt(0)
	v_readfirstlane_b32 s40, v1
	s_subb_u32 s36, s31, 0
	s_mul_i32 s4, s40, 0x700
	s_mov_b32 s5, 0
	s_cmp_lg_u32 s40, s6
	s_cselect_b64 s[24:25], -1, 0
	s_lshl_b64 s[30:31], s[4:5], 2
	s_add_u32 s6, s38, s30
	s_addc_u32 s7, s39, s31
	s_mov_b64 s[4:5], -1
	s_and_b64 vcc, exec, s[24:25]
	v_lshlrev_b32_e32 v32, 2, v0
	s_barrier
	s_cbranch_vccz .LBB6144_6
; %bb.5:
	v_mov_b32_e32 v1, s7
	v_add_co_u32_e32 v2, vcc, s6, v32
	v_addc_co_u32_e32 v3, vcc, 0, v1, vcc
	s_movk_i32 s4, 0x1000
	flat_load_dword v1, v[2:3]
	flat_load_dword v4, v[2:3] offset:512
	flat_load_dword v5, v[2:3] offset:1024
	;; [unrolled: 1-line block ×7, first 2 shown]
	v_add_co_u32_e32 v2, vcc, s4, v2
	v_addc_co_u32_e32 v3, vcc, 0, v3, vcc
	flat_load_dword v11, v[2:3]
	flat_load_dword v12, v[2:3] offset:512
	flat_load_dword v13, v[2:3] offset:1024
	;; [unrolled: 1-line block ×5, first 2 shown]
	s_mov_b64 s[4:5], 0
	s_waitcnt vmcnt(0) lgkmcnt(0)
	v_cvt_f32_u32_e32 v1, v1
	v_cvt_f32_u32_e32 v2, v4
	;; [unrolled: 1-line block ×14, first 2 shown]
	ds_write2st64_b32 v32, v1, v2 offset1:2
	ds_write2st64_b32 v32, v3, v4 offset0:4 offset1:6
	ds_write2st64_b32 v32, v5, v6 offset0:8 offset1:10
	;; [unrolled: 1-line block ×6, first 2 shown]
	s_waitcnt lgkmcnt(0)
	s_barrier
.LBB6144_6:
	s_andn2_b64 vcc, exec, s[4:5]
	v_cmp_gt_u32_e64 s[4:5], s33, v0
	s_cbranch_vccnz .LBB6144_36
; %bb.7:
	v_pk_mov_b32 v[2:3], s[6:7], s[6:7] op_sel:[0,1]
	flat_load_dword v1, v[2:3]
	s_waitcnt vmcnt(0) lgkmcnt(0)
	v_cvt_f32_u32_e32 v1, v1
	v_mov_b32_e32 v2, v1
	v_mov_b32_e32 v3, v1
	;; [unrolled: 1-line block ×12, first 2 shown]
	v_pk_mov_b32 v[16:17], v[14:15], v[14:15] op_sel:[0,1]
	v_pk_mov_b32 v[14:15], v[12:13], v[12:13] op_sel:[0,1]
	;; [unrolled: 1-line block ×8, first 2 shown]
	s_and_saveexec_b64 s[8:9], s[4:5]
	s_cbranch_execz .LBB6144_9
; %bb.8:
	v_mov_b32_e32 v3, s7
	v_add_co_u32_e32 v2, vcc, s6, v32
	v_addc_co_u32_e32 v3, vcc, 0, v3, vcc
	flat_load_dword v11, v[2:3]
	v_mov_b32_e32 v2, v1
	v_mov_b32_e32 v3, v1
	;; [unrolled: 1-line block ×11, first 2 shown]
	s_waitcnt vmcnt(0) lgkmcnt(0)
	v_cvt_f32_u32_e32 v18, v11
	v_mov_b32_e32 v11, v1
	v_pk_mov_b32 v[16:17], v[14:15], v[14:15] op_sel:[0,1]
	v_pk_mov_b32 v[14:15], v[12:13], v[12:13] op_sel:[0,1]
	;; [unrolled: 1-line block ×8, first 2 shown]
	v_mov_b32_e32 v1, v18
.LBB6144_9:
	s_or_b64 exec, exec, s[8:9]
	v_or_b32_e32 v2, 0x80, v0
	v_cmp_gt_u32_e32 vcc, s33, v2
	s_and_saveexec_b64 s[4:5], vcc
	s_cbranch_execz .LBB6144_11
; %bb.10:
	v_mov_b32_e32 v3, s7
	v_add_co_u32_e32 v2, vcc, s6, v32
	v_addc_co_u32_e32 v3, vcc, 0, v3, vcc
	flat_load_dword v2, v[2:3] offset:512
	s_waitcnt vmcnt(0) lgkmcnt(0)
	v_cvt_f32_u32_e32 v3, v2
.LBB6144_11:
	s_or_b64 exec, exec, s[4:5]
	v_or_b32_e32 v2, 0x100, v0
	v_cmp_gt_u32_e32 vcc, s33, v2
	s_and_saveexec_b64 s[4:5], vcc
	s_cbranch_execz .LBB6144_13
; %bb.12:
	v_mov_b32_e32 v2, s7
	v_add_co_u32_e32 v16, vcc, s6, v32
	v_addc_co_u32_e32 v17, vcc, 0, v2, vcc
	flat_load_dword v2, v[16:17] offset:1024
	s_waitcnt vmcnt(0) lgkmcnt(0)
	v_cvt_f32_u32_e32 v4, v2
.LBB6144_13:
	;; [unrolled: 13-line block ×7, first 2 shown]
	s_or_b64 exec, exec, s[4:5]
	v_or_b32_e32 v2, 0x400, v0
	v_cmp_gt_u32_e32 vcc, s33, v2
	s_and_saveexec_b64 s[4:5], vcc
	s_cbranch_execz .LBB6144_25
; %bb.24:
	v_lshlrev_b32_e32 v2, 2, v2
	v_mov_b32_e32 v10, s7
	v_add_co_u32_e32 v16, vcc, s6, v2
	v_addc_co_u32_e32 v17, vcc, 0, v10, vcc
	flat_load_dword v2, v[16:17]
	s_waitcnt vmcnt(0) lgkmcnt(0)
	v_cvt_f32_u32_e32 v10, v2
.LBB6144_25:
	s_or_b64 exec, exec, s[4:5]
	v_or_b32_e32 v2, 0x480, v0
	v_cmp_gt_u32_e32 vcc, s33, v2
	s_and_saveexec_b64 s[4:5], vcc
	s_cbranch_execz .LBB6144_27
; %bb.26:
	v_lshlrev_b32_e32 v2, 2, v2
	v_mov_b32_e32 v11, s7
	v_add_co_u32_e32 v16, vcc, s6, v2
	v_addc_co_u32_e32 v17, vcc, 0, v11, vcc
	flat_load_dword v2, v[16:17]
	s_waitcnt vmcnt(0) lgkmcnt(0)
	v_cvt_f32_u32_e32 v11, v2
.LBB6144_27:
	;; [unrolled: 14-line block ×6, first 2 shown]
	s_or_b64 exec, exec, s[4:5]
	ds_write2st64_b32 v32, v1, v3 offset1:2
	ds_write2st64_b32 v32, v4, v5 offset0:4 offset1:6
	ds_write2st64_b32 v32, v6, v7 offset0:8 offset1:10
	;; [unrolled: 1-line block ×6, first 2 shown]
	s_waitcnt lgkmcnt(0)
	s_barrier
.LBB6144_36:
	v_mul_u32_u24_e32 v33, 14, v0
	v_lshlrev_b32_e32 v34, 2, v33
	ds_read2_b64 v[26:29], v34 offset1:1
	ds_read2_b64 v[22:25], v34 offset0:2 offset1:3
	ds_read2_b64 v[18:21], v34 offset0:4 offset1:5
	ds_read_b64 v[30:31], v34 offset:48
	s_cmp_lg_u32 s40, 0
	s_waitcnt lgkmcnt(3)
	v_add_f32_e32 v35, v26, v27
	v_lshrrev_b32_e32 v1, 5, v0
	v_cmp_gt_u32_e32 vcc, 64, v0
	s_waitcnt lgkmcnt(0)
	s_barrier
	s_cbranch_scc0 .LBB6144_61
; %bb.37:
	v_add_f32_e32 v2, v28, v35
	v_add_f32_e32 v2, v29, v2
	;; [unrolled: 1-line block ×12, first 2 shown]
	v_add_lshl_u32 v2, v1, v0, 2
	ds_write_b32 v2, v12
	s_waitcnt lgkmcnt(0)
	s_barrier
	s_and_saveexec_b64 s[10:11], vcc
	s_cbranch_execz .LBB6144_39
; %bb.38:
	v_lshlrev_b32_e32 v2, 1, v0
	v_lshrrev_b32_e32 v3, 4, v0
	v_add_lshl_u32 v4, v3, v2, 2
	ds_read2_b32 v[2:3], v4 offset1:1
	v_mbcnt_lo_u32_b32 v5, -1, 0
	v_mbcnt_hi_u32_b32 v5, -1, v5
	v_and_b32_e32 v6, 15, v5
	v_cmp_eq_u32_e64 s[4:5], 0, v6
	s_waitcnt lgkmcnt(0)
	v_add_f32_e32 v3, v2, v3
	v_cmp_lt_u32_e64 s[6:7], 3, v6
	v_cmp_lt_u32_e64 s[8:9], 31, v5
	v_mov_b32_dpp v7, v3 row_shr:1 row_mask:0xf bank_mask:0xf
	v_add_f32_e32 v7, v3, v7
	v_cndmask_b32_e64 v3, v7, v3, s[4:5]
	v_cmp_lt_u32_e64 s[4:5], 1, v6
	s_nop 0
	v_mov_b32_dpp v7, v3 row_shr:2 row_mask:0xf bank_mask:0xf
	v_add_f32_e32 v7, v3, v7
	v_cndmask_b32_e64 v7, v3, v7, s[4:5]
	; wave barrier
	s_nop 1
	v_mov_b32_dpp v8, v7 row_shr:4 row_mask:0xf bank_mask:0xf
	v_add_f32_e32 v8, v7, v8
	v_cndmask_b32_e64 v7, v7, v8, s[6:7]
	v_cmp_lt_u32_e64 s[6:7], 7, v6
	s_nop 0
	v_mov_b32_dpp v8, v7 row_shr:8 row_mask:0xf bank_mask:0xf
	v_add_f32_e32 v8, v7, v8
	v_cndmask_b32_e64 v6, v7, v8, s[6:7]
	v_and_b32_e32 v8, 16, v5
	v_cmp_eq_u32_e64 s[6:7], 0, v8
	v_mov_b32_dpp v7, v6 row_bcast:15 row_mask:0xf bank_mask:0xf
	v_add_f32_e32 v7, v6, v7
	v_cndmask_b32_e64 v6, v7, v6, s[6:7]
	v_cmp_lt_u32_e64 s[6:7], 15, v5
	s_or_b64 s[4:5], s[6:7], s[4:5]
	v_mov_b32_dpp v7, v6 row_bcast:31 row_mask:0xf bank_mask:0xf
	v_add_f32_e32 v7, v6, v7
	v_cndmask_b32_e64 v6, v6, v7, s[8:9]
	v_cndmask_b32_e64 v3, v3, v6, s[4:5]
	v_add_u32_e32 v6, -1, v5
	v_and_b32_e32 v7, 64, v5
	v_cmp_lt_i32_e64 s[4:5], v6, v7
	v_cndmask_b32_e64 v5, v6, v5, s[4:5]
	v_lshlrev_b32_e32 v5, 2, v5
	ds_bpermute_b32 v3, v5, v3
	s_waitcnt lgkmcnt(0)
	v_add_f32_e32 v2, v2, v3
	v_cndmask_b32_e64 v2, v2, v12, s[0:1]
	ds_write_b32 v4, v2
	; wave barrier
	ds_read_b32 v3, v4 offset:4
	s_waitcnt lgkmcnt(0)
	v_add_f32_e32 v2, v2, v3
	ds_write_b32 v4, v2 offset:4
.LBB6144_39:
	s_or_b64 exec, exec, s[10:11]
	s_waitcnt lgkmcnt(0)
	s_barrier
	s_and_saveexec_b64 s[4:5], s[2:3]
	s_cbranch_execz .LBB6144_41
; %bb.40:
	v_add_u32_e32 v2, -1, v0
	v_lshrrev_b32_e32 v3, 5, v2
	v_add_lshl_u32 v2, v3, v2, 2
	ds_read_b32 v12, v2
.LBB6144_41:
	s_or_b64 exec, exec, s[4:5]
	s_and_saveexec_b64 s[34:35], vcc
	s_cbranch_execz .LBB6144_60
; %bb.42:
	v_mov_b32_e32 v9, 0
	ds_read_b32 v2, v9 offset:520
	v_mbcnt_lo_u32_b32 v3, -1, 0
	v_mbcnt_hi_u32_b32 v5, -1, v3
	s_mov_b32 s9, 0
	v_cmp_eq_u32_e64 s[4:5], 0, v5
	s_and_saveexec_b64 s[6:7], s[4:5]
	s_cbranch_execz .LBB6144_44
; %bb.43:
	s_add_i32 s8, s40, 64
	s_lshl_b64 s[8:9], s[8:9], 3
	s_add_u32 s8, s14, s8
	v_mov_b32_e32 v3, 1
	s_addc_u32 s9, s15, s9
	s_waitcnt lgkmcnt(0)
	global_store_dwordx2 v9, v[2:3], s[8:9]
.LBB6144_44:
	s_or_b64 exec, exec, s[6:7]
	v_xad_u32 v4, v5, -1, s40
	v_add_u32_e32 v8, 64, v4
	v_lshlrev_b64 v[6:7], 3, v[8:9]
	v_mov_b32_e32 v3, s15
	v_add_co_u32_e32 v10, vcc, s14, v6
	v_addc_co_u32_e32 v11, vcc, v3, v7, vcc
	global_load_dwordx2 v[6:7], v[10:11], off glc
	s_waitcnt vmcnt(0)
	v_cmp_eq_u16_sdwa s[8:9], v7, v9 src0_sel:BYTE_0 src1_sel:DWORD
	s_and_saveexec_b64 s[6:7], s[8:9]
	s_cbranch_execz .LBB6144_48
; %bb.45:
	s_mov_b64 s[8:9], 0
	v_mov_b32_e32 v3, 0
.LBB6144_46:                            ; =>This Inner Loop Header: Depth=1
	global_load_dwordx2 v[6:7], v[10:11], off glc
	s_waitcnt vmcnt(0)
	v_cmp_ne_u16_sdwa s[10:11], v7, v3 src0_sel:BYTE_0 src1_sel:DWORD
	s_or_b64 s[8:9], s[10:11], s[8:9]
	s_andn2_b64 exec, exec, s[8:9]
	s_cbranch_execnz .LBB6144_46
; %bb.47:
	s_or_b64 exec, exec, s[8:9]
.LBB6144_48:
	s_or_b64 exec, exec, s[6:7]
	v_and_b32_e32 v13, 63, v5
	v_cmp_ne_u32_e32 vcc, 63, v13
	v_addc_co_u32_e32 v14, vcc, 0, v5, vcc
	v_mov_b32_e32 v3, 2
	v_lshlrev_b32_e32 v14, 2, v14
	v_cmp_eq_u16_sdwa s[6:7], v7, v3 src0_sel:BYTE_0 src1_sel:DWORD
	v_lshlrev_b64 v[8:9], v5, -1
	ds_bpermute_b32 v15, v14, v6
	v_and_b32_e32 v10, s7, v9
	v_or_b32_e32 v10, 0x80000000, v10
	v_and_b32_e32 v11, s6, v8
	v_ffbl_b32_e32 v10, v10
	v_add_u32_e32 v10, 32, v10
	v_ffbl_b32_e32 v11, v11
	v_cmp_gt_u32_e64 s[6:7], 62, v13
	v_min_u32_e32 v10, v11, v10
	s_waitcnt lgkmcnt(0)
	v_add_f32_e32 v11, v6, v15
	v_cndmask_b32_e64 v15, 0, 1, s[6:7]
	v_cmp_lt_u32_e32 vcc, v13, v10
	v_lshlrev_b32_e32 v15, 1, v15
	v_cndmask_b32_e32 v11, v6, v11, vcc
	v_add_lshl_u32 v15, v15, v5, 2
	ds_bpermute_b32 v17, v15, v11
	v_add_u32_e32 v16, 2, v13
	v_cmp_gt_u32_e64 s[6:7], v16, v10
	v_cmp_gt_u32_e64 s[8:9], 56, v13
	v_add_u32_e32 v36, 4, v13
	s_waitcnt lgkmcnt(0)
	v_add_f32_e32 v17, v11, v17
	v_cndmask_b32_e64 v11, v17, v11, s[6:7]
	v_cmp_gt_u32_e64 s[6:7], 60, v13
	v_cndmask_b32_e64 v17, 0, 1, s[6:7]
	v_lshlrev_b32_e32 v17, 2, v17
	v_add_lshl_u32 v17, v17, v5, 2
	ds_bpermute_b32 v37, v17, v11
	v_cmp_gt_u32_e64 s[6:7], v36, v10
	v_add_u32_e32 v38, 8, v13
	v_cmp_gt_u32_e64 s[10:11], 48, v13
	v_cmp_gt_u32_e64 s[12:13], 32, v13
	s_waitcnt lgkmcnt(0)
	v_add_f32_e32 v41, v11, v37
	v_cndmask_b32_e64 v37, 0, 1, s[8:9]
	v_lshlrev_b32_e32 v37, 3, v37
	v_cndmask_b32_e64 v39, v41, v11, s[6:7]
	v_add_lshl_u32 v37, v37, v5, 2
	ds_bpermute_b32 v40, v37, v39
	v_cmp_gt_u32_e64 s[8:9], v38, v10
	v_cndmask_b32_e32 v6, v6, v11, vcc
	v_cndmask_b32_e64 v6, v41, v6, s[6:7]
	s_waitcnt lgkmcnt(0)
	v_add_f32_e32 v44, v39, v40
	v_cndmask_b32_e64 v42, v44, v39, s[8:9]
	v_cndmask_b32_e64 v39, 0, 1, s[10:11]
	v_lshlrev_b32_e32 v39, 4, v39
	v_add_lshl_u32 v39, v39, v5, 2
	ds_bpermute_b32 v43, v39, v42
	v_add_u32_e32 v40, 16, v13
	v_cmp_gt_u32_e64 s[10:11], v40, v10
	v_cndmask_b32_e64 v6, v44, v6, s[8:9]
	s_waitcnt lgkmcnt(0)
	v_add_f32_e32 v45, v42, v43
	v_cndmask_b32_e64 v46, v45, v42, s[10:11]
	v_cndmask_b32_e64 v42, 0, 1, s[12:13]
	v_lshlrev_b32_e32 v42, 5, v42
	v_add_lshl_u32 v42, v42, v5, 2
	ds_bpermute_b32 v5, v42, v46
	v_add_u32_e32 v43, 32, v13
	v_cndmask_b32_e64 v6, v45, v6, s[10:11]
	v_cmp_gt_u32_e32 vcc, v43, v10
	s_waitcnt lgkmcnt(0)
	v_add_f32_e32 v5, v46, v5
	v_cndmask_b32_e32 v6, v5, v6, vcc
	v_mov_b32_e32 v5, 0
	s_branch .LBB6144_50
.LBB6144_49:                            ;   in Loop: Header=BB6144_50 Depth=1
	s_or_b64 exec, exec, s[6:7]
	v_cmp_eq_u16_sdwa s[6:7], v7, v3 src0_sel:BYTE_0 src1_sel:DWORD
	v_and_b32_e32 v10, s7, v9
	ds_bpermute_b32 v44, v14, v6
	v_or_b32_e32 v10, 0x80000000, v10
	v_and_b32_e32 v11, s6, v8
	v_ffbl_b32_e32 v10, v10
	v_add_u32_e32 v10, 32, v10
	v_ffbl_b32_e32 v11, v11
	v_min_u32_e32 v10, v11, v10
	s_waitcnt lgkmcnt(0)
	v_add_f32_e32 v11, v6, v44
	v_cmp_lt_u32_e32 vcc, v13, v10
	v_cndmask_b32_e32 v11, v6, v11, vcc
	ds_bpermute_b32 v44, v15, v11
	v_cmp_gt_u32_e64 s[6:7], v16, v10
	v_cmp_gt_u32_e64 s[8:9], v38, v10
	;; [unrolled: 1-line block ×3, first 2 shown]
	v_subrev_u32_e32 v4, 64, v4
	s_waitcnt lgkmcnt(0)
	v_add_f32_e32 v44, v11, v44
	v_cndmask_b32_e64 v11, v44, v11, s[6:7]
	ds_bpermute_b32 v44, v17, v11
	v_cmp_gt_u32_e64 s[6:7], v36, v10
	v_cndmask_b32_e32 v6, v6, v11, vcc
	v_cmp_gt_u32_e32 vcc, v43, v10
	s_waitcnt lgkmcnt(0)
	v_add_f32_e32 v44, v11, v44
	v_cndmask_b32_e64 v45, v44, v11, s[6:7]
	ds_bpermute_b32 v46, v37, v45
	v_cndmask_b32_e64 v6, v44, v6, s[6:7]
	s_waitcnt lgkmcnt(0)
	v_add_f32_e32 v46, v45, v46
	v_cndmask_b32_e64 v45, v46, v45, s[8:9]
	ds_bpermute_b32 v47, v39, v45
	v_cndmask_b32_e64 v6, v46, v6, s[8:9]
	;; [unrolled: 5-line block ×3, first 2 shown]
	s_waitcnt lgkmcnt(0)
	v_add_f32_e32 v11, v45, v48
	v_cndmask_b32_e32 v6, v11, v6, vcc
	v_add_f32_e32 v6, v41, v6
.LBB6144_50:                            ; =>This Loop Header: Depth=1
                                        ;     Child Loop BB6144_53 Depth 2
	v_cmp_ne_u16_sdwa s[6:7], v7, v3 src0_sel:BYTE_0 src1_sel:DWORD
	v_cndmask_b32_e64 v7, 0, 1, s[6:7]
	;;#ASMSTART
	;;#ASMEND
	v_cmp_ne_u32_e32 vcc, 0, v7
	s_cmp_lg_u64 vcc, exec
	v_mov_b32_e32 v41, v6
	s_cbranch_scc1 .LBB6144_55
; %bb.51:                               ;   in Loop: Header=BB6144_50 Depth=1
	v_lshlrev_b64 v[6:7], 3, v[4:5]
	v_mov_b32_e32 v11, s15
	v_add_co_u32_e32 v10, vcc, s14, v6
	v_addc_co_u32_e32 v11, vcc, v11, v7, vcc
	global_load_dwordx2 v[6:7], v[10:11], off glc
	s_waitcnt vmcnt(0)
	v_cmp_eq_u16_sdwa s[8:9], v7, v5 src0_sel:BYTE_0 src1_sel:DWORD
	s_and_saveexec_b64 s[6:7], s[8:9]
	s_cbranch_execz .LBB6144_49
; %bb.52:                               ;   in Loop: Header=BB6144_50 Depth=1
	s_mov_b64 s[8:9], 0
.LBB6144_53:                            ;   Parent Loop BB6144_50 Depth=1
                                        ; =>  This Inner Loop Header: Depth=2
	global_load_dwordx2 v[6:7], v[10:11], off glc
	s_waitcnt vmcnt(0)
	v_cmp_ne_u16_sdwa s[10:11], v7, v5 src0_sel:BYTE_0 src1_sel:DWORD
	s_or_b64 s[8:9], s[10:11], s[8:9]
	s_andn2_b64 exec, exec, s[8:9]
	s_cbranch_execnz .LBB6144_53
; %bb.54:                               ;   in Loop: Header=BB6144_50 Depth=1
	s_or_b64 exec, exec, s[8:9]
	s_branch .LBB6144_49
.LBB6144_55:                            ;   in Loop: Header=BB6144_50 Depth=1
                                        ; implicit-def: $vgpr6
                                        ; implicit-def: $vgpr7
	s_cbranch_execz .LBB6144_50
; %bb.56:
	s_and_saveexec_b64 s[6:7], s[4:5]
	s_cbranch_execz .LBB6144_58
; %bb.57:
	s_add_i32 s4, s40, 64
	s_mov_b32 s5, 0
	s_lshl_b64 s[4:5], s[4:5], 3
	s_add_u32 s4, s14, s4
	v_add_f32_e32 v2, v2, v41
	v_mov_b32_e32 v3, 2
	s_addc_u32 s5, s15, s5
	v_mov_b32_e32 v4, 0
	global_store_dwordx2 v4, v[2:3], s[4:5]
.LBB6144_58:
	s_or_b64 exec, exec, s[6:7]
	s_and_b64 exec, exec, s[0:1]
	s_cbranch_execz .LBB6144_60
; %bb.59:
	v_mov_b32_e32 v2, 0
	ds_write_b32 v2, v41
.LBB6144_60:
	s_or_b64 exec, exec, s[34:35]
	v_mov_b32_e32 v2, 0
	s_waitcnt lgkmcnt(0)
	s_barrier
	ds_read_b32 v2, v2
	s_waitcnt lgkmcnt(0)
	v_add_f32_e32 v3, v12, v2
	v_cndmask_b32_e64 v2, v3, v2, s[0:1]
	v_add_f32_e32 v3, v26, v2
	v_add_f32_e32 v4, v27, v3
	;; [unrolled: 1-line block ×13, first 2 shown]
	s_branch .LBB6144_71
.LBB6144_61:
                                        ; implicit-def: $vgpr2_vgpr3_vgpr4_vgpr5_vgpr6_vgpr7_vgpr8_vgpr9_vgpr10_vgpr11_vgpr12_vgpr13_vgpr14_vgpr15_vgpr16_vgpr17
	s_cbranch_execz .LBB6144_71
; %bb.62:
	s_cmp_eq_u64 s[20:21], 0
	v_mov_b32_e32 v16, s37
	s_cbranch_scc1 .LBB6144_64
; %bb.63:
	v_mov_b32_e32 v3, s39
	v_add_co_u32_e64 v2, vcc, -4, s38
	v_addc_co_u32_e32 v3, vcc, -1, v3, vcc
	flat_load_dword v2, v[2:3]
	v_mov_b32_e32 v3, 0
	global_load_dword v3, v3, s[16:17]
	s_waitcnt vmcnt(0) lgkmcnt(0)
	v_cvt_f32_u32_e32 v2, v2
	v_add_f32_e32 v16, v3, v2
.LBB6144_64:
	v_add_f32_e32 v2, v28, v35
	v_add_f32_e32 v2, v29, v2
	;; [unrolled: 1-line block ×12, first 2 shown]
	v_add_lshl_u32 v1, v1, v0, 2
	v_cmp_gt_u32_e32 vcc, 64, v0
	ds_write_b32 v1, v2
	s_waitcnt lgkmcnt(0)
	s_barrier
	s_and_saveexec_b64 s[8:9], vcc
	s_cbranch_execz .LBB6144_66
; %bb.65:
	v_lshlrev_b32_e32 v1, 1, v0
	v_lshrrev_b32_e32 v3, 4, v0
	v_add_lshl_u32 v1, v3, v1, 2
	ds_read2_b32 v[4:5], v1 offset1:1
	v_mbcnt_lo_u32_b32 v3, -1, 0
	v_mbcnt_hi_u32_b32 v3, -1, v3
	v_and_b32_e32 v6, 15, v3
	v_cmp_eq_u32_e32 vcc, 0, v6
	s_waitcnt lgkmcnt(0)
	v_add_f32_e32 v5, v4, v5
	v_cmp_lt_u32_e64 s[4:5], 3, v6
	v_cmp_lt_u32_e64 s[6:7], 31, v3
	v_mov_b32_dpp v7, v5 row_shr:1 row_mask:0xf bank_mask:0xf
	v_add_f32_e32 v7, v5, v7
	v_cndmask_b32_e32 v5, v7, v5, vcc
	v_cmp_lt_u32_e32 vcc, 1, v6
	s_nop 0
	v_mov_b32_dpp v7, v5 row_shr:2 row_mask:0xf bank_mask:0xf
	v_add_f32_e32 v7, v5, v7
	v_cndmask_b32_e32 v7, v5, v7, vcc
	; wave barrier
	s_nop 1
	v_mov_b32_dpp v8, v7 row_shr:4 row_mask:0xf bank_mask:0xf
	v_add_f32_e32 v8, v7, v8
	v_cndmask_b32_e64 v7, v7, v8, s[4:5]
	v_cmp_lt_u32_e64 s[4:5], 7, v6
	s_nop 0
	v_mov_b32_dpp v8, v7 row_shr:8 row_mask:0xf bank_mask:0xf
	v_add_f32_e32 v8, v7, v8
	v_cndmask_b32_e64 v6, v7, v8, s[4:5]
	v_and_b32_e32 v8, 16, v3
	v_cmp_eq_u32_e64 s[4:5], 0, v8
	v_mov_b32_dpp v7, v6 row_bcast:15 row_mask:0xf bank_mask:0xf
	v_add_f32_e32 v7, v6, v7
	v_cndmask_b32_e64 v6, v7, v6, s[4:5]
	v_cmp_lt_u32_e64 s[4:5], 15, v3
	s_or_b64 vcc, s[4:5], vcc
	v_mov_b32_dpp v7, v6 row_bcast:31 row_mask:0xf bank_mask:0xf
	v_add_f32_e32 v7, v6, v7
	v_cndmask_b32_e64 v6, v6, v7, s[6:7]
	v_cndmask_b32_e32 v5, v5, v6, vcc
	v_add_u32_e32 v6, -1, v3
	v_and_b32_e32 v7, 64, v3
	v_cmp_lt_i32_e32 vcc, v6, v7
	v_cndmask_b32_e32 v3, v6, v3, vcc
	v_lshlrev_b32_e32 v3, 2, v3
	ds_bpermute_b32 v3, v3, v5
	s_waitcnt lgkmcnt(0)
	v_add_f32_e32 v3, v4, v3
	v_cndmask_b32_e64 v2, v3, v2, s[0:1]
	ds_write_b32 v1, v2
	; wave barrier
	ds_read_b32 v3, v1 offset:4
	s_waitcnt lgkmcnt(0)
	v_add_f32_e32 v2, v2, v3
	ds_write_b32 v1, v2 offset:4
.LBB6144_66:
	s_or_b64 exec, exec, s[8:9]
	v_mov_b32_e32 v2, v16
	s_waitcnt lgkmcnt(0)
	s_barrier
	s_and_saveexec_b64 s[4:5], s[2:3]
	s_cbranch_execz .LBB6144_68
; %bb.67:
	v_add_u32_e32 v1, -1, v0
	v_lshrrev_b32_e32 v2, 5, v1
	v_add_lshl_u32 v1, v2, v1, 2
	ds_read_b32 v1, v1
	s_waitcnt lgkmcnt(0)
	v_add_f32_e32 v2, v16, v1
.LBB6144_68:
	s_or_b64 exec, exec, s[4:5]
	v_add_f32_e32 v3, v26, v2
	v_add_f32_e32 v4, v27, v3
	;; [unrolled: 1-line block ×13, first 2 shown]
	s_and_saveexec_b64 s[2:3], s[0:1]
	s_cbranch_execz .LBB6144_70
; %bb.69:
	v_mov_b32_e32 v1, 0
	ds_read_b32 v17, v1 offset:520
	s_waitcnt lgkmcnt(0)
	v_add_f32_e32 v16, v16, v17
	v_mov_b32_e32 v17, 2
	global_store_dwordx2 v1, v[16:17], s[14:15] offset:512
.LBB6144_70:
	s_or_b64 exec, exec, s[2:3]
.LBB6144_71:
	s_add_u32 s0, s28, s26
	s_addc_u32 s1, s29, s27
	s_add_u32 s2, s0, s30
	s_addc_u32 s3, s1, s31
	s_mov_b64 s[0:1], -1
	s_and_b64 vcc, exec, s[24:25]
	s_barrier
	s_cbranch_vccz .LBB6144_73
; %bb.72:
	ds_write2_b64 v34, v[2:3], v[4:5] offset1:1
	ds_write2_b64 v34, v[6:7], v[8:9] offset0:2 offset1:3
	ds_write2_b64 v34, v[10:11], v[12:13] offset0:4 offset1:5
	ds_write_b64 v34, v[14:15] offset:48
	s_waitcnt lgkmcnt(0)
	s_barrier
	ds_read2st64_b32 v[16:17], v32 offset1:2
	ds_read2st64_b32 v[18:19], v32 offset0:4 offset1:6
	ds_read2st64_b32 v[20:21], v32 offset0:8 offset1:10
	;; [unrolled: 1-line block ×6, first 2 shown]
	v_mov_b32_e32 v1, s3
	v_add_co_u32_e32 v30, vcc, s2, v32
	v_addc_co_u32_e32 v31, vcc, 0, v1, vcc
	s_waitcnt lgkmcnt(6)
	flat_store_dword v[30:31], v16
	flat_store_dword v[30:31], v17 offset:512
	s_waitcnt lgkmcnt(0)
	flat_store_dword v[30:31], v18 offset:1024
	flat_store_dword v[30:31], v19 offset:1536
	;; [unrolled: 1-line block ×6, first 2 shown]
	v_add_co_u32_e32 v16, vcc, 0x1000, v30
	v_addc_co_u32_e32 v17, vcc, 0, v31, vcc
	flat_store_dword v[16:17], v24
	flat_store_dword v[16:17], v25 offset:512
	flat_store_dword v[16:17], v26 offset:1024
	;; [unrolled: 1-line block ×5, first 2 shown]
	s_mov_b64 s[0:1], 0
.LBB6144_73:
	s_andn2_b64 vcc, exec, s[0:1]
	s_cbranch_vccnz .LBB6144_153
; %bb.74:
	s_movk_i32 s0, 0xffcc
	ds_write2_b64 v34, v[2:3], v[4:5] offset1:1
	ds_write2_b64 v34, v[6:7], v[8:9] offset0:2 offset1:3
	ds_write2_b64 v34, v[10:11], v[12:13] offset0:4 offset1:5
	ds_write_b64 v34, v[14:15] offset:48
	v_mad_i32_i24 v14, v0, s0, v34
	s_waitcnt lgkmcnt(0)
	s_barrier
	ds_read2st64_b32 v[4:5], v14 offset1:2
	ds_read2st64_b32 v[6:7], v14 offset0:4 offset1:6
	ds_read2st64_b32 v[8:9], v14 offset0:8 offset1:10
	;; [unrolled: 1-line block ×6, first 2 shown]
	v_mov_b32_e32 v17, s3
	v_add_co_u32_e32 v16, vcc, s2, v32
	v_addc_co_u32_e32 v17, vcc, 0, v17, vcc
	v_mov_b32_e32 v1, 0
	v_cmp_gt_u32_e32 vcc, s33, v0
	s_and_saveexec_b64 s[0:1], vcc
	s_cbranch_execz .LBB6144_76
; %bb.75:
	s_waitcnt lgkmcnt(0)
	flat_store_dword v[16:17], v4
.LBB6144_76:
	s_or_b64 exec, exec, s[0:1]
	v_or_b32_e32 v18, 0x80, v0
	v_cmp_gt_u32_e32 vcc, s33, v18
	s_and_saveexec_b64 s[0:1], vcc
	s_cbranch_execz .LBB6144_78
; %bb.77:
	s_waitcnt lgkmcnt(0)
	flat_store_dword v[16:17], v5 offset:512
.LBB6144_78:
	s_or_b64 exec, exec, s[0:1]
	v_or_b32_e32 v18, 0x100, v0
	v_cmp_gt_u32_e32 vcc, s33, v18
	s_and_saveexec_b64 s[0:1], vcc
	s_cbranch_execz .LBB6144_80
; %bb.79:
	s_waitcnt lgkmcnt(0)
	flat_store_dword v[16:17], v6 offset:1024
.LBB6144_80:
	;; [unrolled: 9-line block ×7, first 2 shown]
	s_or_b64 exec, exec, s[0:1]
	v_or_b32_e32 v18, 0x400, v0
	v_cmp_gt_u32_e32 vcc, s33, v18
	s_and_saveexec_b64 s[0:1], vcc
	s_cbranch_execz .LBB6144_92
; %bb.91:
	v_add_co_u32_e32 v18, vcc, 0x1000, v16
	v_addc_co_u32_e32 v19, vcc, 0, v17, vcc
	s_waitcnt lgkmcnt(0)
	flat_store_dword v[18:19], v12
.LBB6144_92:
	s_or_b64 exec, exec, s[0:1]
	v_or_b32_e32 v18, 0x480, v0
	v_cmp_gt_u32_e32 vcc, s33, v18
	s_and_saveexec_b64 s[0:1], vcc
	s_cbranch_execz .LBB6144_94
; %bb.93:
	v_add_co_u32_e32 v18, vcc, 0x1000, v16
	v_addc_co_u32_e32 v19, vcc, 0, v17, vcc
	s_waitcnt lgkmcnt(0)
	flat_store_dword v[18:19], v13 offset:512
.LBB6144_94:
	s_or_b64 exec, exec, s[0:1]
	v_or_b32_e32 v18, 0x500, v0
	v_cmp_gt_u32_e32 vcc, s33, v18
	s_and_saveexec_b64 s[0:1], vcc
	s_cbranch_execz .LBB6144_96
; %bb.95:
	v_add_co_u32_e32 v18, vcc, 0x1000, v16
	v_addc_co_u32_e32 v19, vcc, 0, v17, vcc
	s_waitcnt lgkmcnt(0)
	flat_store_dword v[18:19], v10 offset:1024
.LBB6144_96:
	;; [unrolled: 11-line block ×5, first 2 shown]
	s_or_b64 exec, exec, s[0:1]
	v_cmp_lt_u64_e64 s[0:1], s[22:23], 2
	s_and_b64 vcc, exec, s[0:1]
	s_cbranch_vccnz .LBB6144_153
; %bb.103:
	s_add_u32 s0, s33, -1
	s_addc_u32 s1, s36, -1
	s_add_u32 s2, 0, 0x49240800
	s_addc_u32 s3, 0, 50
	s_add_i32 s3, s3, 0x12492460
	s_mul_hi_u32 s7, s2, -14
	s_sub_i32 s7, s7, s2
	s_mul_i32 s8, s3, -14
	s_mul_i32 s4, s2, -14
	s_add_i32 s7, s7, s8
	s_mul_hi_u32 s5, s3, s4
	s_mul_i32 s6, s3, s4
	s_mul_i32 s9, s2, s7
	s_mul_hi_u32 s4, s2, s4
	s_mul_hi_u32 s8, s2, s7
	s_add_u32 s4, s4, s9
	s_addc_u32 s8, 0, s8
	s_add_u32 s4, s4, s6
	s_mul_hi_u32 s9, s3, s7
	s_addc_u32 s4, s8, s5
	s_addc_u32 s5, s9, 0
	s_mul_i32 s6, s3, s7
	s_add_u32 s4, s4, s6
	v_mov_b32_e32 v16, s4
	s_addc_u32 s5, 0, s5
	v_add_co_u32_e32 v16, vcc, s2, v16
	s_cmp_lg_u64 vcc, 0
	s_addc_u32 s2, s3, s5
	v_readfirstlane_b32 s5, v16
	s_mul_i32 s4, s0, s2
	s_mul_hi_u32 s6, s0, s5
	s_mul_hi_u32 s3, s0, s2
	s_add_u32 s4, s6, s4
	s_addc_u32 s3, 0, s3
	s_mul_hi_u32 s7, s1, s5
	s_mul_i32 s5, s1, s5
	s_add_u32 s4, s4, s5
	s_mul_hi_u32 s6, s1, s2
	s_addc_u32 s3, s3, s7
	s_addc_u32 s4, s6, 0
	s_mul_i32 s2, s1, s2
	s_add_u32 s2, s3, s2
	s_addc_u32 s3, 0, s4
	s_add_u32 s4, s2, 1
	s_addc_u32 s5, s3, 0
	s_add_u32 s6, s2, 2
	s_mul_i32 s8, s3, 14
	s_mul_hi_u32 s9, s2, 14
	s_addc_u32 s7, s3, 0
	s_add_i32 s9, s9, s8
	s_mul_i32 s8, s2, 14
	v_mov_b32_e32 v16, s8
	v_sub_co_u32_e32 v16, vcc, s0, v16
	s_cmp_lg_u64 vcc, 0
	s_subb_u32 s8, s1, s9
	v_subrev_co_u32_e32 v17, vcc, 14, v16
	s_cmp_lg_u64 vcc, 0
	s_subb_u32 s9, s8, 0
	v_readfirstlane_b32 s10, v17
	s_cmp_gt_u32 s10, 13
	s_cselect_b32 s10, -1, 0
	s_cmp_eq_u32 s9, 0
	s_cselect_b32 s9, s10, -1
	s_cmp_lg_u32 s9, 0
	s_cselect_b32 s4, s6, s4
	v_readfirstlane_b32 s6, v16
	s_cselect_b32 s5, s7, s5
	s_cmp_gt_u32 s6, 13
	s_cselect_b32 s6, -1, 0
	s_cmp_eq_u32 s8, 0
	s_cselect_b32 s6, s6, -1
	s_cmp_lg_u32 s6, 0
	s_cselect_b32 s3, s5, s3
	s_cselect_b32 s2, s4, s2
	v_cmp_eq_u64_e32 vcc, s[2:3], v[0:1]
	s_and_saveexec_b64 s[2:3], vcc
	s_cbranch_execz .LBB6144_153
; %bb.104:
	v_mul_hi_u32_u24_e32 v1, 14, v0
	v_mov_b32_e32 v16, s1
	v_sub_co_u32_e32 v0, vcc, s0, v33
	v_subb_co_u32_e32 v1, vcc, v16, v1, vcc
	v_cmp_lt_i64_e32 vcc, 6, v[0:1]
	s_and_saveexec_b64 s[0:1], vcc
	s_xor_b64 s[0:1], exec, s[0:1]
	s_cbranch_execz .LBB6144_130
; %bb.105:
	v_cmp_lt_i64_e32 vcc, 9, v[0:1]
	s_and_saveexec_b64 s[2:3], vcc
	s_xor_b64 s[2:3], exec, s[2:3]
	s_cbranch_execz .LBB6144_119
; %bb.106:
	;; [unrolled: 5-line block ×4, first 2 shown]
	v_mov_b32_e32 v0, 0
	s_waitcnt lgkmcnt(0)
	global_store_dword v0, v15, s[18:19]
                                        ; implicit-def: $vgpr14_vgpr15
.LBB6144_109:
	s_andn2_saveexec_b64 s[6:7], s[6:7]
	s_cbranch_execz .LBB6144_111
; %bb.110:
	v_mov_b32_e32 v0, 0
	s_waitcnt lgkmcnt(0)
	global_store_dword v0, v14, s[18:19]
.LBB6144_111:
	s_or_b64 exec, exec, s[6:7]
                                        ; implicit-def: $vgpr10_vgpr11
                                        ; implicit-def: $vgpr0_vgpr1
.LBB6144_112:
	s_andn2_saveexec_b64 s[4:5], s[4:5]
	s_cbranch_execz .LBB6144_118
; %bb.113:
	v_cmp_lt_i64_e32 vcc, 10, v[0:1]
	s_and_saveexec_b64 s[6:7], vcc
	s_xor_b64 s[6:7], exec, s[6:7]
	s_cbranch_execz .LBB6144_115
; %bb.114:
	v_mov_b32_e32 v0, 0
	s_waitcnt lgkmcnt(0)
	global_store_dword v0, v11, s[18:19]
                                        ; implicit-def: $vgpr10_vgpr11
.LBB6144_115:
	s_andn2_saveexec_b64 s[6:7], s[6:7]
	s_cbranch_execz .LBB6144_117
; %bb.116:
	v_mov_b32_e32 v0, 0
	s_waitcnt lgkmcnt(0)
	global_store_dword v0, v10, s[18:19]
.LBB6144_117:
	s_or_b64 exec, exec, s[6:7]
.LBB6144_118:
	s_or_b64 exec, exec, s[4:5]
                                        ; implicit-def: $vgpr2_vgpr3
                                        ; implicit-def: $vgpr0_vgpr1
                                        ; implicit-def: $vgpr12_vgpr13
.LBB6144_119:
	s_andn2_saveexec_b64 s[2:3], s[2:3]
	s_cbranch_execz .LBB6144_129
; %bb.120:
	v_cmp_lt_i64_e32 vcc, 7, v[0:1]
	s_and_saveexec_b64 s[4:5], vcc
	s_xor_b64 s[4:5], exec, s[4:5]
	s_cbranch_execz .LBB6144_126
; %bb.121:
	v_cmp_lt_i64_e32 vcc, 8, v[0:1]
	s_and_saveexec_b64 s[6:7], vcc
	s_xor_b64 s[6:7], exec, s[6:7]
	s_cbranch_execz .LBB6144_123
; %bb.122:
	v_mov_b32_e32 v0, 0
	s_waitcnt lgkmcnt(0)
	global_store_dword v0, v13, s[18:19]
                                        ; implicit-def: $vgpr12_vgpr13
.LBB6144_123:
	s_andn2_saveexec_b64 s[6:7], s[6:7]
	s_cbranch_execz .LBB6144_125
; %bb.124:
	v_mov_b32_e32 v0, 0
	s_waitcnt lgkmcnt(0)
	global_store_dword v0, v12, s[18:19]
.LBB6144_125:
	s_or_b64 exec, exec, s[6:7]
                                        ; implicit-def: $vgpr2_vgpr3
.LBB6144_126:
	s_andn2_saveexec_b64 s[4:5], s[4:5]
	s_cbranch_execz .LBB6144_128
; %bb.127:
	v_mov_b32_e32 v0, 0
	s_waitcnt lgkmcnt(0)
	global_store_dword v0, v3, s[18:19]
.LBB6144_128:
	s_or_b64 exec, exec, s[4:5]
.LBB6144_129:
	s_or_b64 exec, exec, s[2:3]
                                        ; implicit-def: $vgpr0_vgpr1
                                        ; implicit-def: $vgpr8_vgpr9
                                        ; implicit-def: $vgpr4_vgpr5
                                        ; implicit-def: $vgpr6_vgpr7
                                        ; implicit-def: $vgpr2_vgpr3
.LBB6144_130:
	s_andn2_saveexec_b64 s[0:1], s[0:1]
	s_cbranch_execz .LBB6144_153
; %bb.131:
	v_cmp_lt_i64_e32 vcc, 3, v[0:1]
	s_and_saveexec_b64 s[0:1], vcc
	s_xor_b64 s[0:1], exec, s[0:1]
	s_cbranch_execz .LBB6144_141
; %bb.132:
	v_cmp_lt_i64_e32 vcc, 4, v[0:1]
	s_and_saveexec_b64 s[2:3], vcc
	s_xor_b64 s[2:3], exec, s[2:3]
	;; [unrolled: 5-line block ×3, first 2 shown]
	s_cbranch_execz .LBB6144_135
; %bb.134:
	v_mov_b32_e32 v0, 0
	s_waitcnt lgkmcnt(0)
	global_store_dword v0, v2, s[18:19]
                                        ; implicit-def: $vgpr8_vgpr9
.LBB6144_135:
	s_andn2_saveexec_b64 s[4:5], s[4:5]
	s_cbranch_execz .LBB6144_137
; %bb.136:
	v_mov_b32_e32 v0, 0
	s_waitcnt lgkmcnt(0)
	global_store_dword v0, v9, s[18:19]
.LBB6144_137:
	s_or_b64 exec, exec, s[4:5]
                                        ; implicit-def: $vgpr8_vgpr9
.LBB6144_138:
	s_andn2_saveexec_b64 s[2:3], s[2:3]
	s_cbranch_execz .LBB6144_140
; %bb.139:
	v_mov_b32_e32 v0, 0
	s_waitcnt lgkmcnt(0)
	global_store_dword v0, v8, s[18:19]
.LBB6144_140:
	s_or_b64 exec, exec, s[2:3]
                                        ; implicit-def: $vgpr0_vgpr1
                                        ; implicit-def: $vgpr4_vgpr5
                                        ; implicit-def: $vgpr6_vgpr7
.LBB6144_141:
	s_andn2_saveexec_b64 s[0:1], s[0:1]
	s_cbranch_execz .LBB6144_153
; %bb.142:
	v_cmp_lt_i64_e32 vcc, 1, v[0:1]
	s_and_saveexec_b64 s[0:1], vcc
	s_xor_b64 s[0:1], exec, s[0:1]
	s_cbranch_execz .LBB6144_148
; %bb.143:
	v_cmp_lt_i64_e32 vcc, 2, v[0:1]
	s_and_saveexec_b64 s[2:3], vcc
	s_xor_b64 s[2:3], exec, s[2:3]
	s_cbranch_execz .LBB6144_145
; %bb.144:
	v_mov_b32_e32 v0, 0
	s_waitcnt lgkmcnt(0)
	global_store_dword v0, v7, s[18:19]
                                        ; implicit-def: $vgpr6_vgpr7
.LBB6144_145:
	s_andn2_saveexec_b64 s[2:3], s[2:3]
	s_cbranch_execz .LBB6144_147
; %bb.146:
	v_mov_b32_e32 v0, 0
	s_waitcnt lgkmcnt(0)
	global_store_dword v0, v6, s[18:19]
.LBB6144_147:
	s_or_b64 exec, exec, s[2:3]
                                        ; implicit-def: $vgpr4_vgpr5
                                        ; implicit-def: $vgpr0_vgpr1
.LBB6144_148:
	s_andn2_saveexec_b64 s[0:1], s[0:1]
	s_cbranch_execz .LBB6144_153
; %bb.149:
	v_cmp_ne_u64_e32 vcc, 1, v[0:1]
	s_and_saveexec_b64 s[0:1], vcc
	s_xor_b64 s[0:1], exec, s[0:1]
	s_cbranch_execz .LBB6144_151
; %bb.150:
	v_mov_b32_e32 v0, 0
	s_waitcnt lgkmcnt(0)
	global_store_dword v0, v4, s[18:19]
                                        ; implicit-def: $vgpr4_vgpr5
.LBB6144_151:
	s_andn2_saveexec_b64 s[0:1], s[0:1]
	s_cbranch_execz .LBB6144_153
; %bb.152:
	v_mov_b32_e32 v0, 0
	s_waitcnt lgkmcnt(0)
	global_store_dword v0, v5, s[18:19]
.LBB6144_153:
	s_endpgm
	.section	.rodata,"a",@progbits
	.p2align	6, 0x0
	.amdhsa_kernel _ZN7rocprim17ROCPRIM_400000_NS6detail17trampoline_kernelINS0_14default_configENS1_20scan_config_selectorIfEEZZNS1_9scan_implILNS1_25lookback_scan_determinismE0ELb1ELb1ES3_N6thrust23THRUST_200600_302600_NS6detail15normal_iteratorINS9_10device_ptrIjEEEENSB_INSC_IfEEEEfNS9_4plusIvEEfEEDaPvRmT3_T4_T5_mT6_P12ihipStream_tbENKUlT_T0_E_clISt17integral_constantIbLb0EESV_IbLb1EEEEDaSR_SS_EUlSR_E_NS1_11comp_targetILNS1_3genE4ELNS1_11target_archE910ELNS1_3gpuE8ELNS1_3repE0EEENS1_30default_config_static_selectorELNS0_4arch9wavefront6targetE1EEEvT1_
		.amdhsa_group_segment_fixed_size 7168
		.amdhsa_private_segment_fixed_size 0
		.amdhsa_kernarg_size 96
		.amdhsa_user_sgpr_count 6
		.amdhsa_user_sgpr_private_segment_buffer 1
		.amdhsa_user_sgpr_dispatch_ptr 0
		.amdhsa_user_sgpr_queue_ptr 0
		.amdhsa_user_sgpr_kernarg_segment_ptr 1
		.amdhsa_user_sgpr_dispatch_id 0
		.amdhsa_user_sgpr_flat_scratch_init 0
		.amdhsa_user_sgpr_kernarg_preload_length 0
		.amdhsa_user_sgpr_kernarg_preload_offset 0
		.amdhsa_user_sgpr_private_segment_size 0
		.amdhsa_uses_dynamic_stack 0
		.amdhsa_system_sgpr_private_segment_wavefront_offset 0
		.amdhsa_system_sgpr_workgroup_id_x 1
		.amdhsa_system_sgpr_workgroup_id_y 0
		.amdhsa_system_sgpr_workgroup_id_z 0
		.amdhsa_system_sgpr_workgroup_info 0
		.amdhsa_system_vgpr_workitem_id 0
		.amdhsa_next_free_vgpr 49
		.amdhsa_next_free_sgpr 41
		.amdhsa_accum_offset 52
		.amdhsa_reserve_vcc 1
		.amdhsa_reserve_flat_scratch 0
		.amdhsa_float_round_mode_32 0
		.amdhsa_float_round_mode_16_64 0
		.amdhsa_float_denorm_mode_32 3
		.amdhsa_float_denorm_mode_16_64 3
		.amdhsa_dx10_clamp 1
		.amdhsa_ieee_mode 1
		.amdhsa_fp16_overflow 0
		.amdhsa_tg_split 0
		.amdhsa_exception_fp_ieee_invalid_op 0
		.amdhsa_exception_fp_denorm_src 0
		.amdhsa_exception_fp_ieee_div_zero 0
		.amdhsa_exception_fp_ieee_overflow 0
		.amdhsa_exception_fp_ieee_underflow 0
		.amdhsa_exception_fp_ieee_inexact 0
		.amdhsa_exception_int_div_zero 0
	.end_amdhsa_kernel
	.section	.text._ZN7rocprim17ROCPRIM_400000_NS6detail17trampoline_kernelINS0_14default_configENS1_20scan_config_selectorIfEEZZNS1_9scan_implILNS1_25lookback_scan_determinismE0ELb1ELb1ES3_N6thrust23THRUST_200600_302600_NS6detail15normal_iteratorINS9_10device_ptrIjEEEENSB_INSC_IfEEEEfNS9_4plusIvEEfEEDaPvRmT3_T4_T5_mT6_P12ihipStream_tbENKUlT_T0_E_clISt17integral_constantIbLb0EESV_IbLb1EEEEDaSR_SS_EUlSR_E_NS1_11comp_targetILNS1_3genE4ELNS1_11target_archE910ELNS1_3gpuE8ELNS1_3repE0EEENS1_30default_config_static_selectorELNS0_4arch9wavefront6targetE1EEEvT1_,"axG",@progbits,_ZN7rocprim17ROCPRIM_400000_NS6detail17trampoline_kernelINS0_14default_configENS1_20scan_config_selectorIfEEZZNS1_9scan_implILNS1_25lookback_scan_determinismE0ELb1ELb1ES3_N6thrust23THRUST_200600_302600_NS6detail15normal_iteratorINS9_10device_ptrIjEEEENSB_INSC_IfEEEEfNS9_4plusIvEEfEEDaPvRmT3_T4_T5_mT6_P12ihipStream_tbENKUlT_T0_E_clISt17integral_constantIbLb0EESV_IbLb1EEEEDaSR_SS_EUlSR_E_NS1_11comp_targetILNS1_3genE4ELNS1_11target_archE910ELNS1_3gpuE8ELNS1_3repE0EEENS1_30default_config_static_selectorELNS0_4arch9wavefront6targetE1EEEvT1_,comdat
.Lfunc_end6144:
	.size	_ZN7rocprim17ROCPRIM_400000_NS6detail17trampoline_kernelINS0_14default_configENS1_20scan_config_selectorIfEEZZNS1_9scan_implILNS1_25lookback_scan_determinismE0ELb1ELb1ES3_N6thrust23THRUST_200600_302600_NS6detail15normal_iteratorINS9_10device_ptrIjEEEENSB_INSC_IfEEEEfNS9_4plusIvEEfEEDaPvRmT3_T4_T5_mT6_P12ihipStream_tbENKUlT_T0_E_clISt17integral_constantIbLb0EESV_IbLb1EEEEDaSR_SS_EUlSR_E_NS1_11comp_targetILNS1_3genE4ELNS1_11target_archE910ELNS1_3gpuE8ELNS1_3repE0EEENS1_30default_config_static_selectorELNS0_4arch9wavefront6targetE1EEEvT1_, .Lfunc_end6144-_ZN7rocprim17ROCPRIM_400000_NS6detail17trampoline_kernelINS0_14default_configENS1_20scan_config_selectorIfEEZZNS1_9scan_implILNS1_25lookback_scan_determinismE0ELb1ELb1ES3_N6thrust23THRUST_200600_302600_NS6detail15normal_iteratorINS9_10device_ptrIjEEEENSB_INSC_IfEEEEfNS9_4plusIvEEfEEDaPvRmT3_T4_T5_mT6_P12ihipStream_tbENKUlT_T0_E_clISt17integral_constantIbLb0EESV_IbLb1EEEEDaSR_SS_EUlSR_E_NS1_11comp_targetILNS1_3genE4ELNS1_11target_archE910ELNS1_3gpuE8ELNS1_3repE0EEENS1_30default_config_static_selectorELNS0_4arch9wavefront6targetE1EEEvT1_
                                        ; -- End function
	.section	.AMDGPU.csdata,"",@progbits
; Kernel info:
; codeLenInByte = 5856
; NumSgprs: 45
; NumVgprs: 49
; NumAgprs: 0
; TotalNumVgprs: 49
; ScratchSize: 0
; MemoryBound: 0
; FloatMode: 240
; IeeeMode: 1
; LDSByteSize: 7168 bytes/workgroup (compile time only)
; SGPRBlocks: 5
; VGPRBlocks: 6
; NumSGPRsForWavesPerEU: 45
; NumVGPRsForWavesPerEU: 49
; AccumOffset: 52
; Occupancy: 5
; WaveLimiterHint : 1
; COMPUTE_PGM_RSRC2:SCRATCH_EN: 0
; COMPUTE_PGM_RSRC2:USER_SGPR: 6
; COMPUTE_PGM_RSRC2:TRAP_HANDLER: 0
; COMPUTE_PGM_RSRC2:TGID_X_EN: 1
; COMPUTE_PGM_RSRC2:TGID_Y_EN: 0
; COMPUTE_PGM_RSRC2:TGID_Z_EN: 0
; COMPUTE_PGM_RSRC2:TIDIG_COMP_CNT: 0
; COMPUTE_PGM_RSRC3_GFX90A:ACCUM_OFFSET: 12
; COMPUTE_PGM_RSRC3_GFX90A:TG_SPLIT: 0
	.section	.text._ZN7rocprim17ROCPRIM_400000_NS6detail17trampoline_kernelINS0_14default_configENS1_20scan_config_selectorIfEEZZNS1_9scan_implILNS1_25lookback_scan_determinismE0ELb1ELb1ES3_N6thrust23THRUST_200600_302600_NS6detail15normal_iteratorINS9_10device_ptrIjEEEENSB_INSC_IfEEEEfNS9_4plusIvEEfEEDaPvRmT3_T4_T5_mT6_P12ihipStream_tbENKUlT_T0_E_clISt17integral_constantIbLb0EESV_IbLb1EEEEDaSR_SS_EUlSR_E_NS1_11comp_targetILNS1_3genE3ELNS1_11target_archE908ELNS1_3gpuE7ELNS1_3repE0EEENS1_30default_config_static_selectorELNS0_4arch9wavefront6targetE1EEEvT1_,"axG",@progbits,_ZN7rocprim17ROCPRIM_400000_NS6detail17trampoline_kernelINS0_14default_configENS1_20scan_config_selectorIfEEZZNS1_9scan_implILNS1_25lookback_scan_determinismE0ELb1ELb1ES3_N6thrust23THRUST_200600_302600_NS6detail15normal_iteratorINS9_10device_ptrIjEEEENSB_INSC_IfEEEEfNS9_4plusIvEEfEEDaPvRmT3_T4_T5_mT6_P12ihipStream_tbENKUlT_T0_E_clISt17integral_constantIbLb0EESV_IbLb1EEEEDaSR_SS_EUlSR_E_NS1_11comp_targetILNS1_3genE3ELNS1_11target_archE908ELNS1_3gpuE7ELNS1_3repE0EEENS1_30default_config_static_selectorELNS0_4arch9wavefront6targetE1EEEvT1_,comdat
	.protected	_ZN7rocprim17ROCPRIM_400000_NS6detail17trampoline_kernelINS0_14default_configENS1_20scan_config_selectorIfEEZZNS1_9scan_implILNS1_25lookback_scan_determinismE0ELb1ELb1ES3_N6thrust23THRUST_200600_302600_NS6detail15normal_iteratorINS9_10device_ptrIjEEEENSB_INSC_IfEEEEfNS9_4plusIvEEfEEDaPvRmT3_T4_T5_mT6_P12ihipStream_tbENKUlT_T0_E_clISt17integral_constantIbLb0EESV_IbLb1EEEEDaSR_SS_EUlSR_E_NS1_11comp_targetILNS1_3genE3ELNS1_11target_archE908ELNS1_3gpuE7ELNS1_3repE0EEENS1_30default_config_static_selectorELNS0_4arch9wavefront6targetE1EEEvT1_ ; -- Begin function _ZN7rocprim17ROCPRIM_400000_NS6detail17trampoline_kernelINS0_14default_configENS1_20scan_config_selectorIfEEZZNS1_9scan_implILNS1_25lookback_scan_determinismE0ELb1ELb1ES3_N6thrust23THRUST_200600_302600_NS6detail15normal_iteratorINS9_10device_ptrIjEEEENSB_INSC_IfEEEEfNS9_4plusIvEEfEEDaPvRmT3_T4_T5_mT6_P12ihipStream_tbENKUlT_T0_E_clISt17integral_constantIbLb0EESV_IbLb1EEEEDaSR_SS_EUlSR_E_NS1_11comp_targetILNS1_3genE3ELNS1_11target_archE908ELNS1_3gpuE7ELNS1_3repE0EEENS1_30default_config_static_selectorELNS0_4arch9wavefront6targetE1EEEvT1_
	.globl	_ZN7rocprim17ROCPRIM_400000_NS6detail17trampoline_kernelINS0_14default_configENS1_20scan_config_selectorIfEEZZNS1_9scan_implILNS1_25lookback_scan_determinismE0ELb1ELb1ES3_N6thrust23THRUST_200600_302600_NS6detail15normal_iteratorINS9_10device_ptrIjEEEENSB_INSC_IfEEEEfNS9_4plusIvEEfEEDaPvRmT3_T4_T5_mT6_P12ihipStream_tbENKUlT_T0_E_clISt17integral_constantIbLb0EESV_IbLb1EEEEDaSR_SS_EUlSR_E_NS1_11comp_targetILNS1_3genE3ELNS1_11target_archE908ELNS1_3gpuE7ELNS1_3repE0EEENS1_30default_config_static_selectorELNS0_4arch9wavefront6targetE1EEEvT1_
	.p2align	8
	.type	_ZN7rocprim17ROCPRIM_400000_NS6detail17trampoline_kernelINS0_14default_configENS1_20scan_config_selectorIfEEZZNS1_9scan_implILNS1_25lookback_scan_determinismE0ELb1ELb1ES3_N6thrust23THRUST_200600_302600_NS6detail15normal_iteratorINS9_10device_ptrIjEEEENSB_INSC_IfEEEEfNS9_4plusIvEEfEEDaPvRmT3_T4_T5_mT6_P12ihipStream_tbENKUlT_T0_E_clISt17integral_constantIbLb0EESV_IbLb1EEEEDaSR_SS_EUlSR_E_NS1_11comp_targetILNS1_3genE3ELNS1_11target_archE908ELNS1_3gpuE7ELNS1_3repE0EEENS1_30default_config_static_selectorELNS0_4arch9wavefront6targetE1EEEvT1_,@function
_ZN7rocprim17ROCPRIM_400000_NS6detail17trampoline_kernelINS0_14default_configENS1_20scan_config_selectorIfEEZZNS1_9scan_implILNS1_25lookback_scan_determinismE0ELb1ELb1ES3_N6thrust23THRUST_200600_302600_NS6detail15normal_iteratorINS9_10device_ptrIjEEEENSB_INSC_IfEEEEfNS9_4plusIvEEfEEDaPvRmT3_T4_T5_mT6_P12ihipStream_tbENKUlT_T0_E_clISt17integral_constantIbLb0EESV_IbLb1EEEEDaSR_SS_EUlSR_E_NS1_11comp_targetILNS1_3genE3ELNS1_11target_archE908ELNS1_3gpuE7ELNS1_3repE0EEENS1_30default_config_static_selectorELNS0_4arch9wavefront6targetE1EEEvT1_: ; @_ZN7rocprim17ROCPRIM_400000_NS6detail17trampoline_kernelINS0_14default_configENS1_20scan_config_selectorIfEEZZNS1_9scan_implILNS1_25lookback_scan_determinismE0ELb1ELb1ES3_N6thrust23THRUST_200600_302600_NS6detail15normal_iteratorINS9_10device_ptrIjEEEENSB_INSC_IfEEEEfNS9_4plusIvEEfEEDaPvRmT3_T4_T5_mT6_P12ihipStream_tbENKUlT_T0_E_clISt17integral_constantIbLb0EESV_IbLb1EEEEDaSR_SS_EUlSR_E_NS1_11comp_targetILNS1_3genE3ELNS1_11target_archE908ELNS1_3gpuE7ELNS1_3repE0EEENS1_30default_config_static_selectorELNS0_4arch9wavefront6targetE1EEEvT1_
; %bb.0:
	.section	.rodata,"a",@progbits
	.p2align	6, 0x0
	.amdhsa_kernel _ZN7rocprim17ROCPRIM_400000_NS6detail17trampoline_kernelINS0_14default_configENS1_20scan_config_selectorIfEEZZNS1_9scan_implILNS1_25lookback_scan_determinismE0ELb1ELb1ES3_N6thrust23THRUST_200600_302600_NS6detail15normal_iteratorINS9_10device_ptrIjEEEENSB_INSC_IfEEEEfNS9_4plusIvEEfEEDaPvRmT3_T4_T5_mT6_P12ihipStream_tbENKUlT_T0_E_clISt17integral_constantIbLb0EESV_IbLb1EEEEDaSR_SS_EUlSR_E_NS1_11comp_targetILNS1_3genE3ELNS1_11target_archE908ELNS1_3gpuE7ELNS1_3repE0EEENS1_30default_config_static_selectorELNS0_4arch9wavefront6targetE1EEEvT1_
		.amdhsa_group_segment_fixed_size 0
		.amdhsa_private_segment_fixed_size 0
		.amdhsa_kernarg_size 96
		.amdhsa_user_sgpr_count 6
		.amdhsa_user_sgpr_private_segment_buffer 1
		.amdhsa_user_sgpr_dispatch_ptr 0
		.amdhsa_user_sgpr_queue_ptr 0
		.amdhsa_user_sgpr_kernarg_segment_ptr 1
		.amdhsa_user_sgpr_dispatch_id 0
		.amdhsa_user_sgpr_flat_scratch_init 0
		.amdhsa_user_sgpr_kernarg_preload_length 0
		.amdhsa_user_sgpr_kernarg_preload_offset 0
		.amdhsa_user_sgpr_private_segment_size 0
		.amdhsa_uses_dynamic_stack 0
		.amdhsa_system_sgpr_private_segment_wavefront_offset 0
		.amdhsa_system_sgpr_workgroup_id_x 1
		.amdhsa_system_sgpr_workgroup_id_y 0
		.amdhsa_system_sgpr_workgroup_id_z 0
		.amdhsa_system_sgpr_workgroup_info 0
		.amdhsa_system_vgpr_workitem_id 0
		.amdhsa_next_free_vgpr 1
		.amdhsa_next_free_sgpr 0
		.amdhsa_accum_offset 4
		.amdhsa_reserve_vcc 0
		.amdhsa_reserve_flat_scratch 0
		.amdhsa_float_round_mode_32 0
		.amdhsa_float_round_mode_16_64 0
		.amdhsa_float_denorm_mode_32 3
		.amdhsa_float_denorm_mode_16_64 3
		.amdhsa_dx10_clamp 1
		.amdhsa_ieee_mode 1
		.amdhsa_fp16_overflow 0
		.amdhsa_tg_split 0
		.amdhsa_exception_fp_ieee_invalid_op 0
		.amdhsa_exception_fp_denorm_src 0
		.amdhsa_exception_fp_ieee_div_zero 0
		.amdhsa_exception_fp_ieee_overflow 0
		.amdhsa_exception_fp_ieee_underflow 0
		.amdhsa_exception_fp_ieee_inexact 0
		.amdhsa_exception_int_div_zero 0
	.end_amdhsa_kernel
	.section	.text._ZN7rocprim17ROCPRIM_400000_NS6detail17trampoline_kernelINS0_14default_configENS1_20scan_config_selectorIfEEZZNS1_9scan_implILNS1_25lookback_scan_determinismE0ELb1ELb1ES3_N6thrust23THRUST_200600_302600_NS6detail15normal_iteratorINS9_10device_ptrIjEEEENSB_INSC_IfEEEEfNS9_4plusIvEEfEEDaPvRmT3_T4_T5_mT6_P12ihipStream_tbENKUlT_T0_E_clISt17integral_constantIbLb0EESV_IbLb1EEEEDaSR_SS_EUlSR_E_NS1_11comp_targetILNS1_3genE3ELNS1_11target_archE908ELNS1_3gpuE7ELNS1_3repE0EEENS1_30default_config_static_selectorELNS0_4arch9wavefront6targetE1EEEvT1_,"axG",@progbits,_ZN7rocprim17ROCPRIM_400000_NS6detail17trampoline_kernelINS0_14default_configENS1_20scan_config_selectorIfEEZZNS1_9scan_implILNS1_25lookback_scan_determinismE0ELb1ELb1ES3_N6thrust23THRUST_200600_302600_NS6detail15normal_iteratorINS9_10device_ptrIjEEEENSB_INSC_IfEEEEfNS9_4plusIvEEfEEDaPvRmT3_T4_T5_mT6_P12ihipStream_tbENKUlT_T0_E_clISt17integral_constantIbLb0EESV_IbLb1EEEEDaSR_SS_EUlSR_E_NS1_11comp_targetILNS1_3genE3ELNS1_11target_archE908ELNS1_3gpuE7ELNS1_3repE0EEENS1_30default_config_static_selectorELNS0_4arch9wavefront6targetE1EEEvT1_,comdat
.Lfunc_end6145:
	.size	_ZN7rocprim17ROCPRIM_400000_NS6detail17trampoline_kernelINS0_14default_configENS1_20scan_config_selectorIfEEZZNS1_9scan_implILNS1_25lookback_scan_determinismE0ELb1ELb1ES3_N6thrust23THRUST_200600_302600_NS6detail15normal_iteratorINS9_10device_ptrIjEEEENSB_INSC_IfEEEEfNS9_4plusIvEEfEEDaPvRmT3_T4_T5_mT6_P12ihipStream_tbENKUlT_T0_E_clISt17integral_constantIbLb0EESV_IbLb1EEEEDaSR_SS_EUlSR_E_NS1_11comp_targetILNS1_3genE3ELNS1_11target_archE908ELNS1_3gpuE7ELNS1_3repE0EEENS1_30default_config_static_selectorELNS0_4arch9wavefront6targetE1EEEvT1_, .Lfunc_end6145-_ZN7rocprim17ROCPRIM_400000_NS6detail17trampoline_kernelINS0_14default_configENS1_20scan_config_selectorIfEEZZNS1_9scan_implILNS1_25lookback_scan_determinismE0ELb1ELb1ES3_N6thrust23THRUST_200600_302600_NS6detail15normal_iteratorINS9_10device_ptrIjEEEENSB_INSC_IfEEEEfNS9_4plusIvEEfEEDaPvRmT3_T4_T5_mT6_P12ihipStream_tbENKUlT_T0_E_clISt17integral_constantIbLb0EESV_IbLb1EEEEDaSR_SS_EUlSR_E_NS1_11comp_targetILNS1_3genE3ELNS1_11target_archE908ELNS1_3gpuE7ELNS1_3repE0EEENS1_30default_config_static_selectorELNS0_4arch9wavefront6targetE1EEEvT1_
                                        ; -- End function
	.section	.AMDGPU.csdata,"",@progbits
; Kernel info:
; codeLenInByte = 0
; NumSgprs: 4
; NumVgprs: 0
; NumAgprs: 0
; TotalNumVgprs: 0
; ScratchSize: 0
; MemoryBound: 0
; FloatMode: 240
; IeeeMode: 1
; LDSByteSize: 0 bytes/workgroup (compile time only)
; SGPRBlocks: 0
; VGPRBlocks: 0
; NumSGPRsForWavesPerEU: 4
; NumVGPRsForWavesPerEU: 1
; AccumOffset: 4
; Occupancy: 8
; WaveLimiterHint : 0
; COMPUTE_PGM_RSRC2:SCRATCH_EN: 0
; COMPUTE_PGM_RSRC2:USER_SGPR: 6
; COMPUTE_PGM_RSRC2:TRAP_HANDLER: 0
; COMPUTE_PGM_RSRC2:TGID_X_EN: 1
; COMPUTE_PGM_RSRC2:TGID_Y_EN: 0
; COMPUTE_PGM_RSRC2:TGID_Z_EN: 0
; COMPUTE_PGM_RSRC2:TIDIG_COMP_CNT: 0
; COMPUTE_PGM_RSRC3_GFX90A:ACCUM_OFFSET: 0
; COMPUTE_PGM_RSRC3_GFX90A:TG_SPLIT: 0
	.section	.text._ZN7rocprim17ROCPRIM_400000_NS6detail17trampoline_kernelINS0_14default_configENS1_20scan_config_selectorIfEEZZNS1_9scan_implILNS1_25lookback_scan_determinismE0ELb1ELb1ES3_N6thrust23THRUST_200600_302600_NS6detail15normal_iteratorINS9_10device_ptrIjEEEENSB_INSC_IfEEEEfNS9_4plusIvEEfEEDaPvRmT3_T4_T5_mT6_P12ihipStream_tbENKUlT_T0_E_clISt17integral_constantIbLb0EESV_IbLb1EEEEDaSR_SS_EUlSR_E_NS1_11comp_targetILNS1_3genE2ELNS1_11target_archE906ELNS1_3gpuE6ELNS1_3repE0EEENS1_30default_config_static_selectorELNS0_4arch9wavefront6targetE1EEEvT1_,"axG",@progbits,_ZN7rocprim17ROCPRIM_400000_NS6detail17trampoline_kernelINS0_14default_configENS1_20scan_config_selectorIfEEZZNS1_9scan_implILNS1_25lookback_scan_determinismE0ELb1ELb1ES3_N6thrust23THRUST_200600_302600_NS6detail15normal_iteratorINS9_10device_ptrIjEEEENSB_INSC_IfEEEEfNS9_4plusIvEEfEEDaPvRmT3_T4_T5_mT6_P12ihipStream_tbENKUlT_T0_E_clISt17integral_constantIbLb0EESV_IbLb1EEEEDaSR_SS_EUlSR_E_NS1_11comp_targetILNS1_3genE2ELNS1_11target_archE906ELNS1_3gpuE6ELNS1_3repE0EEENS1_30default_config_static_selectorELNS0_4arch9wavefront6targetE1EEEvT1_,comdat
	.protected	_ZN7rocprim17ROCPRIM_400000_NS6detail17trampoline_kernelINS0_14default_configENS1_20scan_config_selectorIfEEZZNS1_9scan_implILNS1_25lookback_scan_determinismE0ELb1ELb1ES3_N6thrust23THRUST_200600_302600_NS6detail15normal_iteratorINS9_10device_ptrIjEEEENSB_INSC_IfEEEEfNS9_4plusIvEEfEEDaPvRmT3_T4_T5_mT6_P12ihipStream_tbENKUlT_T0_E_clISt17integral_constantIbLb0EESV_IbLb1EEEEDaSR_SS_EUlSR_E_NS1_11comp_targetILNS1_3genE2ELNS1_11target_archE906ELNS1_3gpuE6ELNS1_3repE0EEENS1_30default_config_static_selectorELNS0_4arch9wavefront6targetE1EEEvT1_ ; -- Begin function _ZN7rocprim17ROCPRIM_400000_NS6detail17trampoline_kernelINS0_14default_configENS1_20scan_config_selectorIfEEZZNS1_9scan_implILNS1_25lookback_scan_determinismE0ELb1ELb1ES3_N6thrust23THRUST_200600_302600_NS6detail15normal_iteratorINS9_10device_ptrIjEEEENSB_INSC_IfEEEEfNS9_4plusIvEEfEEDaPvRmT3_T4_T5_mT6_P12ihipStream_tbENKUlT_T0_E_clISt17integral_constantIbLb0EESV_IbLb1EEEEDaSR_SS_EUlSR_E_NS1_11comp_targetILNS1_3genE2ELNS1_11target_archE906ELNS1_3gpuE6ELNS1_3repE0EEENS1_30default_config_static_selectorELNS0_4arch9wavefront6targetE1EEEvT1_
	.globl	_ZN7rocprim17ROCPRIM_400000_NS6detail17trampoline_kernelINS0_14default_configENS1_20scan_config_selectorIfEEZZNS1_9scan_implILNS1_25lookback_scan_determinismE0ELb1ELb1ES3_N6thrust23THRUST_200600_302600_NS6detail15normal_iteratorINS9_10device_ptrIjEEEENSB_INSC_IfEEEEfNS9_4plusIvEEfEEDaPvRmT3_T4_T5_mT6_P12ihipStream_tbENKUlT_T0_E_clISt17integral_constantIbLb0EESV_IbLb1EEEEDaSR_SS_EUlSR_E_NS1_11comp_targetILNS1_3genE2ELNS1_11target_archE906ELNS1_3gpuE6ELNS1_3repE0EEENS1_30default_config_static_selectorELNS0_4arch9wavefront6targetE1EEEvT1_
	.p2align	8
	.type	_ZN7rocprim17ROCPRIM_400000_NS6detail17trampoline_kernelINS0_14default_configENS1_20scan_config_selectorIfEEZZNS1_9scan_implILNS1_25lookback_scan_determinismE0ELb1ELb1ES3_N6thrust23THRUST_200600_302600_NS6detail15normal_iteratorINS9_10device_ptrIjEEEENSB_INSC_IfEEEEfNS9_4plusIvEEfEEDaPvRmT3_T4_T5_mT6_P12ihipStream_tbENKUlT_T0_E_clISt17integral_constantIbLb0EESV_IbLb1EEEEDaSR_SS_EUlSR_E_NS1_11comp_targetILNS1_3genE2ELNS1_11target_archE906ELNS1_3gpuE6ELNS1_3repE0EEENS1_30default_config_static_selectorELNS0_4arch9wavefront6targetE1EEEvT1_,@function
_ZN7rocprim17ROCPRIM_400000_NS6detail17trampoline_kernelINS0_14default_configENS1_20scan_config_selectorIfEEZZNS1_9scan_implILNS1_25lookback_scan_determinismE0ELb1ELb1ES3_N6thrust23THRUST_200600_302600_NS6detail15normal_iteratorINS9_10device_ptrIjEEEENSB_INSC_IfEEEEfNS9_4plusIvEEfEEDaPvRmT3_T4_T5_mT6_P12ihipStream_tbENKUlT_T0_E_clISt17integral_constantIbLb0EESV_IbLb1EEEEDaSR_SS_EUlSR_E_NS1_11comp_targetILNS1_3genE2ELNS1_11target_archE906ELNS1_3gpuE6ELNS1_3repE0EEENS1_30default_config_static_selectorELNS0_4arch9wavefront6targetE1EEEvT1_: ; @_ZN7rocprim17ROCPRIM_400000_NS6detail17trampoline_kernelINS0_14default_configENS1_20scan_config_selectorIfEEZZNS1_9scan_implILNS1_25lookback_scan_determinismE0ELb1ELb1ES3_N6thrust23THRUST_200600_302600_NS6detail15normal_iteratorINS9_10device_ptrIjEEEENSB_INSC_IfEEEEfNS9_4plusIvEEfEEDaPvRmT3_T4_T5_mT6_P12ihipStream_tbENKUlT_T0_E_clISt17integral_constantIbLb0EESV_IbLb1EEEEDaSR_SS_EUlSR_E_NS1_11comp_targetILNS1_3genE2ELNS1_11target_archE906ELNS1_3gpuE6ELNS1_3repE0EEENS1_30default_config_static_selectorELNS0_4arch9wavefront6targetE1EEEvT1_
; %bb.0:
	.section	.rodata,"a",@progbits
	.p2align	6, 0x0
	.amdhsa_kernel _ZN7rocprim17ROCPRIM_400000_NS6detail17trampoline_kernelINS0_14default_configENS1_20scan_config_selectorIfEEZZNS1_9scan_implILNS1_25lookback_scan_determinismE0ELb1ELb1ES3_N6thrust23THRUST_200600_302600_NS6detail15normal_iteratorINS9_10device_ptrIjEEEENSB_INSC_IfEEEEfNS9_4plusIvEEfEEDaPvRmT3_T4_T5_mT6_P12ihipStream_tbENKUlT_T0_E_clISt17integral_constantIbLb0EESV_IbLb1EEEEDaSR_SS_EUlSR_E_NS1_11comp_targetILNS1_3genE2ELNS1_11target_archE906ELNS1_3gpuE6ELNS1_3repE0EEENS1_30default_config_static_selectorELNS0_4arch9wavefront6targetE1EEEvT1_
		.amdhsa_group_segment_fixed_size 0
		.amdhsa_private_segment_fixed_size 0
		.amdhsa_kernarg_size 96
		.amdhsa_user_sgpr_count 6
		.amdhsa_user_sgpr_private_segment_buffer 1
		.amdhsa_user_sgpr_dispatch_ptr 0
		.amdhsa_user_sgpr_queue_ptr 0
		.amdhsa_user_sgpr_kernarg_segment_ptr 1
		.amdhsa_user_sgpr_dispatch_id 0
		.amdhsa_user_sgpr_flat_scratch_init 0
		.amdhsa_user_sgpr_kernarg_preload_length 0
		.amdhsa_user_sgpr_kernarg_preload_offset 0
		.amdhsa_user_sgpr_private_segment_size 0
		.amdhsa_uses_dynamic_stack 0
		.amdhsa_system_sgpr_private_segment_wavefront_offset 0
		.amdhsa_system_sgpr_workgroup_id_x 1
		.amdhsa_system_sgpr_workgroup_id_y 0
		.amdhsa_system_sgpr_workgroup_id_z 0
		.amdhsa_system_sgpr_workgroup_info 0
		.amdhsa_system_vgpr_workitem_id 0
		.amdhsa_next_free_vgpr 1
		.amdhsa_next_free_sgpr 0
		.amdhsa_accum_offset 4
		.amdhsa_reserve_vcc 0
		.amdhsa_reserve_flat_scratch 0
		.amdhsa_float_round_mode_32 0
		.amdhsa_float_round_mode_16_64 0
		.amdhsa_float_denorm_mode_32 3
		.amdhsa_float_denorm_mode_16_64 3
		.amdhsa_dx10_clamp 1
		.amdhsa_ieee_mode 1
		.amdhsa_fp16_overflow 0
		.amdhsa_tg_split 0
		.amdhsa_exception_fp_ieee_invalid_op 0
		.amdhsa_exception_fp_denorm_src 0
		.amdhsa_exception_fp_ieee_div_zero 0
		.amdhsa_exception_fp_ieee_overflow 0
		.amdhsa_exception_fp_ieee_underflow 0
		.amdhsa_exception_fp_ieee_inexact 0
		.amdhsa_exception_int_div_zero 0
	.end_amdhsa_kernel
	.section	.text._ZN7rocprim17ROCPRIM_400000_NS6detail17trampoline_kernelINS0_14default_configENS1_20scan_config_selectorIfEEZZNS1_9scan_implILNS1_25lookback_scan_determinismE0ELb1ELb1ES3_N6thrust23THRUST_200600_302600_NS6detail15normal_iteratorINS9_10device_ptrIjEEEENSB_INSC_IfEEEEfNS9_4plusIvEEfEEDaPvRmT3_T4_T5_mT6_P12ihipStream_tbENKUlT_T0_E_clISt17integral_constantIbLb0EESV_IbLb1EEEEDaSR_SS_EUlSR_E_NS1_11comp_targetILNS1_3genE2ELNS1_11target_archE906ELNS1_3gpuE6ELNS1_3repE0EEENS1_30default_config_static_selectorELNS0_4arch9wavefront6targetE1EEEvT1_,"axG",@progbits,_ZN7rocprim17ROCPRIM_400000_NS6detail17trampoline_kernelINS0_14default_configENS1_20scan_config_selectorIfEEZZNS1_9scan_implILNS1_25lookback_scan_determinismE0ELb1ELb1ES3_N6thrust23THRUST_200600_302600_NS6detail15normal_iteratorINS9_10device_ptrIjEEEENSB_INSC_IfEEEEfNS9_4plusIvEEfEEDaPvRmT3_T4_T5_mT6_P12ihipStream_tbENKUlT_T0_E_clISt17integral_constantIbLb0EESV_IbLb1EEEEDaSR_SS_EUlSR_E_NS1_11comp_targetILNS1_3genE2ELNS1_11target_archE906ELNS1_3gpuE6ELNS1_3repE0EEENS1_30default_config_static_selectorELNS0_4arch9wavefront6targetE1EEEvT1_,comdat
.Lfunc_end6146:
	.size	_ZN7rocprim17ROCPRIM_400000_NS6detail17trampoline_kernelINS0_14default_configENS1_20scan_config_selectorIfEEZZNS1_9scan_implILNS1_25lookback_scan_determinismE0ELb1ELb1ES3_N6thrust23THRUST_200600_302600_NS6detail15normal_iteratorINS9_10device_ptrIjEEEENSB_INSC_IfEEEEfNS9_4plusIvEEfEEDaPvRmT3_T4_T5_mT6_P12ihipStream_tbENKUlT_T0_E_clISt17integral_constantIbLb0EESV_IbLb1EEEEDaSR_SS_EUlSR_E_NS1_11comp_targetILNS1_3genE2ELNS1_11target_archE906ELNS1_3gpuE6ELNS1_3repE0EEENS1_30default_config_static_selectorELNS0_4arch9wavefront6targetE1EEEvT1_, .Lfunc_end6146-_ZN7rocprim17ROCPRIM_400000_NS6detail17trampoline_kernelINS0_14default_configENS1_20scan_config_selectorIfEEZZNS1_9scan_implILNS1_25lookback_scan_determinismE0ELb1ELb1ES3_N6thrust23THRUST_200600_302600_NS6detail15normal_iteratorINS9_10device_ptrIjEEEENSB_INSC_IfEEEEfNS9_4plusIvEEfEEDaPvRmT3_T4_T5_mT6_P12ihipStream_tbENKUlT_T0_E_clISt17integral_constantIbLb0EESV_IbLb1EEEEDaSR_SS_EUlSR_E_NS1_11comp_targetILNS1_3genE2ELNS1_11target_archE906ELNS1_3gpuE6ELNS1_3repE0EEENS1_30default_config_static_selectorELNS0_4arch9wavefront6targetE1EEEvT1_
                                        ; -- End function
	.section	.AMDGPU.csdata,"",@progbits
; Kernel info:
; codeLenInByte = 0
; NumSgprs: 4
; NumVgprs: 0
; NumAgprs: 0
; TotalNumVgprs: 0
; ScratchSize: 0
; MemoryBound: 0
; FloatMode: 240
; IeeeMode: 1
; LDSByteSize: 0 bytes/workgroup (compile time only)
; SGPRBlocks: 0
; VGPRBlocks: 0
; NumSGPRsForWavesPerEU: 4
; NumVGPRsForWavesPerEU: 1
; AccumOffset: 4
; Occupancy: 8
; WaveLimiterHint : 0
; COMPUTE_PGM_RSRC2:SCRATCH_EN: 0
; COMPUTE_PGM_RSRC2:USER_SGPR: 6
; COMPUTE_PGM_RSRC2:TRAP_HANDLER: 0
; COMPUTE_PGM_RSRC2:TGID_X_EN: 1
; COMPUTE_PGM_RSRC2:TGID_Y_EN: 0
; COMPUTE_PGM_RSRC2:TGID_Z_EN: 0
; COMPUTE_PGM_RSRC2:TIDIG_COMP_CNT: 0
; COMPUTE_PGM_RSRC3_GFX90A:ACCUM_OFFSET: 0
; COMPUTE_PGM_RSRC3_GFX90A:TG_SPLIT: 0
	.section	.text._ZN7rocprim17ROCPRIM_400000_NS6detail17trampoline_kernelINS0_14default_configENS1_20scan_config_selectorIfEEZZNS1_9scan_implILNS1_25lookback_scan_determinismE0ELb1ELb1ES3_N6thrust23THRUST_200600_302600_NS6detail15normal_iteratorINS9_10device_ptrIjEEEENSB_INSC_IfEEEEfNS9_4plusIvEEfEEDaPvRmT3_T4_T5_mT6_P12ihipStream_tbENKUlT_T0_E_clISt17integral_constantIbLb0EESV_IbLb1EEEEDaSR_SS_EUlSR_E_NS1_11comp_targetILNS1_3genE10ELNS1_11target_archE1201ELNS1_3gpuE5ELNS1_3repE0EEENS1_30default_config_static_selectorELNS0_4arch9wavefront6targetE1EEEvT1_,"axG",@progbits,_ZN7rocprim17ROCPRIM_400000_NS6detail17trampoline_kernelINS0_14default_configENS1_20scan_config_selectorIfEEZZNS1_9scan_implILNS1_25lookback_scan_determinismE0ELb1ELb1ES3_N6thrust23THRUST_200600_302600_NS6detail15normal_iteratorINS9_10device_ptrIjEEEENSB_INSC_IfEEEEfNS9_4plusIvEEfEEDaPvRmT3_T4_T5_mT6_P12ihipStream_tbENKUlT_T0_E_clISt17integral_constantIbLb0EESV_IbLb1EEEEDaSR_SS_EUlSR_E_NS1_11comp_targetILNS1_3genE10ELNS1_11target_archE1201ELNS1_3gpuE5ELNS1_3repE0EEENS1_30default_config_static_selectorELNS0_4arch9wavefront6targetE1EEEvT1_,comdat
	.protected	_ZN7rocprim17ROCPRIM_400000_NS6detail17trampoline_kernelINS0_14default_configENS1_20scan_config_selectorIfEEZZNS1_9scan_implILNS1_25lookback_scan_determinismE0ELb1ELb1ES3_N6thrust23THRUST_200600_302600_NS6detail15normal_iteratorINS9_10device_ptrIjEEEENSB_INSC_IfEEEEfNS9_4plusIvEEfEEDaPvRmT3_T4_T5_mT6_P12ihipStream_tbENKUlT_T0_E_clISt17integral_constantIbLb0EESV_IbLb1EEEEDaSR_SS_EUlSR_E_NS1_11comp_targetILNS1_3genE10ELNS1_11target_archE1201ELNS1_3gpuE5ELNS1_3repE0EEENS1_30default_config_static_selectorELNS0_4arch9wavefront6targetE1EEEvT1_ ; -- Begin function _ZN7rocprim17ROCPRIM_400000_NS6detail17trampoline_kernelINS0_14default_configENS1_20scan_config_selectorIfEEZZNS1_9scan_implILNS1_25lookback_scan_determinismE0ELb1ELb1ES3_N6thrust23THRUST_200600_302600_NS6detail15normal_iteratorINS9_10device_ptrIjEEEENSB_INSC_IfEEEEfNS9_4plusIvEEfEEDaPvRmT3_T4_T5_mT6_P12ihipStream_tbENKUlT_T0_E_clISt17integral_constantIbLb0EESV_IbLb1EEEEDaSR_SS_EUlSR_E_NS1_11comp_targetILNS1_3genE10ELNS1_11target_archE1201ELNS1_3gpuE5ELNS1_3repE0EEENS1_30default_config_static_selectorELNS0_4arch9wavefront6targetE1EEEvT1_
	.globl	_ZN7rocprim17ROCPRIM_400000_NS6detail17trampoline_kernelINS0_14default_configENS1_20scan_config_selectorIfEEZZNS1_9scan_implILNS1_25lookback_scan_determinismE0ELb1ELb1ES3_N6thrust23THRUST_200600_302600_NS6detail15normal_iteratorINS9_10device_ptrIjEEEENSB_INSC_IfEEEEfNS9_4plusIvEEfEEDaPvRmT3_T4_T5_mT6_P12ihipStream_tbENKUlT_T0_E_clISt17integral_constantIbLb0EESV_IbLb1EEEEDaSR_SS_EUlSR_E_NS1_11comp_targetILNS1_3genE10ELNS1_11target_archE1201ELNS1_3gpuE5ELNS1_3repE0EEENS1_30default_config_static_selectorELNS0_4arch9wavefront6targetE1EEEvT1_
	.p2align	8
	.type	_ZN7rocprim17ROCPRIM_400000_NS6detail17trampoline_kernelINS0_14default_configENS1_20scan_config_selectorIfEEZZNS1_9scan_implILNS1_25lookback_scan_determinismE0ELb1ELb1ES3_N6thrust23THRUST_200600_302600_NS6detail15normal_iteratorINS9_10device_ptrIjEEEENSB_INSC_IfEEEEfNS9_4plusIvEEfEEDaPvRmT3_T4_T5_mT6_P12ihipStream_tbENKUlT_T0_E_clISt17integral_constantIbLb0EESV_IbLb1EEEEDaSR_SS_EUlSR_E_NS1_11comp_targetILNS1_3genE10ELNS1_11target_archE1201ELNS1_3gpuE5ELNS1_3repE0EEENS1_30default_config_static_selectorELNS0_4arch9wavefront6targetE1EEEvT1_,@function
_ZN7rocprim17ROCPRIM_400000_NS6detail17trampoline_kernelINS0_14default_configENS1_20scan_config_selectorIfEEZZNS1_9scan_implILNS1_25lookback_scan_determinismE0ELb1ELb1ES3_N6thrust23THRUST_200600_302600_NS6detail15normal_iteratorINS9_10device_ptrIjEEEENSB_INSC_IfEEEEfNS9_4plusIvEEfEEDaPvRmT3_T4_T5_mT6_P12ihipStream_tbENKUlT_T0_E_clISt17integral_constantIbLb0EESV_IbLb1EEEEDaSR_SS_EUlSR_E_NS1_11comp_targetILNS1_3genE10ELNS1_11target_archE1201ELNS1_3gpuE5ELNS1_3repE0EEENS1_30default_config_static_selectorELNS0_4arch9wavefront6targetE1EEEvT1_: ; @_ZN7rocprim17ROCPRIM_400000_NS6detail17trampoline_kernelINS0_14default_configENS1_20scan_config_selectorIfEEZZNS1_9scan_implILNS1_25lookback_scan_determinismE0ELb1ELb1ES3_N6thrust23THRUST_200600_302600_NS6detail15normal_iteratorINS9_10device_ptrIjEEEENSB_INSC_IfEEEEfNS9_4plusIvEEfEEDaPvRmT3_T4_T5_mT6_P12ihipStream_tbENKUlT_T0_E_clISt17integral_constantIbLb0EESV_IbLb1EEEEDaSR_SS_EUlSR_E_NS1_11comp_targetILNS1_3genE10ELNS1_11target_archE1201ELNS1_3gpuE5ELNS1_3repE0EEENS1_30default_config_static_selectorELNS0_4arch9wavefront6targetE1EEEvT1_
; %bb.0:
	.section	.rodata,"a",@progbits
	.p2align	6, 0x0
	.amdhsa_kernel _ZN7rocprim17ROCPRIM_400000_NS6detail17trampoline_kernelINS0_14default_configENS1_20scan_config_selectorIfEEZZNS1_9scan_implILNS1_25lookback_scan_determinismE0ELb1ELb1ES3_N6thrust23THRUST_200600_302600_NS6detail15normal_iteratorINS9_10device_ptrIjEEEENSB_INSC_IfEEEEfNS9_4plusIvEEfEEDaPvRmT3_T4_T5_mT6_P12ihipStream_tbENKUlT_T0_E_clISt17integral_constantIbLb0EESV_IbLb1EEEEDaSR_SS_EUlSR_E_NS1_11comp_targetILNS1_3genE10ELNS1_11target_archE1201ELNS1_3gpuE5ELNS1_3repE0EEENS1_30default_config_static_selectorELNS0_4arch9wavefront6targetE1EEEvT1_
		.amdhsa_group_segment_fixed_size 0
		.amdhsa_private_segment_fixed_size 0
		.amdhsa_kernarg_size 96
		.amdhsa_user_sgpr_count 6
		.amdhsa_user_sgpr_private_segment_buffer 1
		.amdhsa_user_sgpr_dispatch_ptr 0
		.amdhsa_user_sgpr_queue_ptr 0
		.amdhsa_user_sgpr_kernarg_segment_ptr 1
		.amdhsa_user_sgpr_dispatch_id 0
		.amdhsa_user_sgpr_flat_scratch_init 0
		.amdhsa_user_sgpr_kernarg_preload_length 0
		.amdhsa_user_sgpr_kernarg_preload_offset 0
		.amdhsa_user_sgpr_private_segment_size 0
		.amdhsa_uses_dynamic_stack 0
		.amdhsa_system_sgpr_private_segment_wavefront_offset 0
		.amdhsa_system_sgpr_workgroup_id_x 1
		.amdhsa_system_sgpr_workgroup_id_y 0
		.amdhsa_system_sgpr_workgroup_id_z 0
		.amdhsa_system_sgpr_workgroup_info 0
		.amdhsa_system_vgpr_workitem_id 0
		.amdhsa_next_free_vgpr 1
		.amdhsa_next_free_sgpr 0
		.amdhsa_accum_offset 4
		.amdhsa_reserve_vcc 0
		.amdhsa_reserve_flat_scratch 0
		.amdhsa_float_round_mode_32 0
		.amdhsa_float_round_mode_16_64 0
		.amdhsa_float_denorm_mode_32 3
		.amdhsa_float_denorm_mode_16_64 3
		.amdhsa_dx10_clamp 1
		.amdhsa_ieee_mode 1
		.amdhsa_fp16_overflow 0
		.amdhsa_tg_split 0
		.amdhsa_exception_fp_ieee_invalid_op 0
		.amdhsa_exception_fp_denorm_src 0
		.amdhsa_exception_fp_ieee_div_zero 0
		.amdhsa_exception_fp_ieee_overflow 0
		.amdhsa_exception_fp_ieee_underflow 0
		.amdhsa_exception_fp_ieee_inexact 0
		.amdhsa_exception_int_div_zero 0
	.end_amdhsa_kernel
	.section	.text._ZN7rocprim17ROCPRIM_400000_NS6detail17trampoline_kernelINS0_14default_configENS1_20scan_config_selectorIfEEZZNS1_9scan_implILNS1_25lookback_scan_determinismE0ELb1ELb1ES3_N6thrust23THRUST_200600_302600_NS6detail15normal_iteratorINS9_10device_ptrIjEEEENSB_INSC_IfEEEEfNS9_4plusIvEEfEEDaPvRmT3_T4_T5_mT6_P12ihipStream_tbENKUlT_T0_E_clISt17integral_constantIbLb0EESV_IbLb1EEEEDaSR_SS_EUlSR_E_NS1_11comp_targetILNS1_3genE10ELNS1_11target_archE1201ELNS1_3gpuE5ELNS1_3repE0EEENS1_30default_config_static_selectorELNS0_4arch9wavefront6targetE1EEEvT1_,"axG",@progbits,_ZN7rocprim17ROCPRIM_400000_NS6detail17trampoline_kernelINS0_14default_configENS1_20scan_config_selectorIfEEZZNS1_9scan_implILNS1_25lookback_scan_determinismE0ELb1ELb1ES3_N6thrust23THRUST_200600_302600_NS6detail15normal_iteratorINS9_10device_ptrIjEEEENSB_INSC_IfEEEEfNS9_4plusIvEEfEEDaPvRmT3_T4_T5_mT6_P12ihipStream_tbENKUlT_T0_E_clISt17integral_constantIbLb0EESV_IbLb1EEEEDaSR_SS_EUlSR_E_NS1_11comp_targetILNS1_3genE10ELNS1_11target_archE1201ELNS1_3gpuE5ELNS1_3repE0EEENS1_30default_config_static_selectorELNS0_4arch9wavefront6targetE1EEEvT1_,comdat
.Lfunc_end6147:
	.size	_ZN7rocprim17ROCPRIM_400000_NS6detail17trampoline_kernelINS0_14default_configENS1_20scan_config_selectorIfEEZZNS1_9scan_implILNS1_25lookback_scan_determinismE0ELb1ELb1ES3_N6thrust23THRUST_200600_302600_NS6detail15normal_iteratorINS9_10device_ptrIjEEEENSB_INSC_IfEEEEfNS9_4plusIvEEfEEDaPvRmT3_T4_T5_mT6_P12ihipStream_tbENKUlT_T0_E_clISt17integral_constantIbLb0EESV_IbLb1EEEEDaSR_SS_EUlSR_E_NS1_11comp_targetILNS1_3genE10ELNS1_11target_archE1201ELNS1_3gpuE5ELNS1_3repE0EEENS1_30default_config_static_selectorELNS0_4arch9wavefront6targetE1EEEvT1_, .Lfunc_end6147-_ZN7rocprim17ROCPRIM_400000_NS6detail17trampoline_kernelINS0_14default_configENS1_20scan_config_selectorIfEEZZNS1_9scan_implILNS1_25lookback_scan_determinismE0ELb1ELb1ES3_N6thrust23THRUST_200600_302600_NS6detail15normal_iteratorINS9_10device_ptrIjEEEENSB_INSC_IfEEEEfNS9_4plusIvEEfEEDaPvRmT3_T4_T5_mT6_P12ihipStream_tbENKUlT_T0_E_clISt17integral_constantIbLb0EESV_IbLb1EEEEDaSR_SS_EUlSR_E_NS1_11comp_targetILNS1_3genE10ELNS1_11target_archE1201ELNS1_3gpuE5ELNS1_3repE0EEENS1_30default_config_static_selectorELNS0_4arch9wavefront6targetE1EEEvT1_
                                        ; -- End function
	.section	.AMDGPU.csdata,"",@progbits
; Kernel info:
; codeLenInByte = 0
; NumSgprs: 4
; NumVgprs: 0
; NumAgprs: 0
; TotalNumVgprs: 0
; ScratchSize: 0
; MemoryBound: 0
; FloatMode: 240
; IeeeMode: 1
; LDSByteSize: 0 bytes/workgroup (compile time only)
; SGPRBlocks: 0
; VGPRBlocks: 0
; NumSGPRsForWavesPerEU: 4
; NumVGPRsForWavesPerEU: 1
; AccumOffset: 4
; Occupancy: 8
; WaveLimiterHint : 0
; COMPUTE_PGM_RSRC2:SCRATCH_EN: 0
; COMPUTE_PGM_RSRC2:USER_SGPR: 6
; COMPUTE_PGM_RSRC2:TRAP_HANDLER: 0
; COMPUTE_PGM_RSRC2:TGID_X_EN: 1
; COMPUTE_PGM_RSRC2:TGID_Y_EN: 0
; COMPUTE_PGM_RSRC2:TGID_Z_EN: 0
; COMPUTE_PGM_RSRC2:TIDIG_COMP_CNT: 0
; COMPUTE_PGM_RSRC3_GFX90A:ACCUM_OFFSET: 0
; COMPUTE_PGM_RSRC3_GFX90A:TG_SPLIT: 0
	.section	.text._ZN7rocprim17ROCPRIM_400000_NS6detail17trampoline_kernelINS0_14default_configENS1_20scan_config_selectorIfEEZZNS1_9scan_implILNS1_25lookback_scan_determinismE0ELb1ELb1ES3_N6thrust23THRUST_200600_302600_NS6detail15normal_iteratorINS9_10device_ptrIjEEEENSB_INSC_IfEEEEfNS9_4plusIvEEfEEDaPvRmT3_T4_T5_mT6_P12ihipStream_tbENKUlT_T0_E_clISt17integral_constantIbLb0EESV_IbLb1EEEEDaSR_SS_EUlSR_E_NS1_11comp_targetILNS1_3genE10ELNS1_11target_archE1200ELNS1_3gpuE4ELNS1_3repE0EEENS1_30default_config_static_selectorELNS0_4arch9wavefront6targetE1EEEvT1_,"axG",@progbits,_ZN7rocprim17ROCPRIM_400000_NS6detail17trampoline_kernelINS0_14default_configENS1_20scan_config_selectorIfEEZZNS1_9scan_implILNS1_25lookback_scan_determinismE0ELb1ELb1ES3_N6thrust23THRUST_200600_302600_NS6detail15normal_iteratorINS9_10device_ptrIjEEEENSB_INSC_IfEEEEfNS9_4plusIvEEfEEDaPvRmT3_T4_T5_mT6_P12ihipStream_tbENKUlT_T0_E_clISt17integral_constantIbLb0EESV_IbLb1EEEEDaSR_SS_EUlSR_E_NS1_11comp_targetILNS1_3genE10ELNS1_11target_archE1200ELNS1_3gpuE4ELNS1_3repE0EEENS1_30default_config_static_selectorELNS0_4arch9wavefront6targetE1EEEvT1_,comdat
	.protected	_ZN7rocprim17ROCPRIM_400000_NS6detail17trampoline_kernelINS0_14default_configENS1_20scan_config_selectorIfEEZZNS1_9scan_implILNS1_25lookback_scan_determinismE0ELb1ELb1ES3_N6thrust23THRUST_200600_302600_NS6detail15normal_iteratorINS9_10device_ptrIjEEEENSB_INSC_IfEEEEfNS9_4plusIvEEfEEDaPvRmT3_T4_T5_mT6_P12ihipStream_tbENKUlT_T0_E_clISt17integral_constantIbLb0EESV_IbLb1EEEEDaSR_SS_EUlSR_E_NS1_11comp_targetILNS1_3genE10ELNS1_11target_archE1200ELNS1_3gpuE4ELNS1_3repE0EEENS1_30default_config_static_selectorELNS0_4arch9wavefront6targetE1EEEvT1_ ; -- Begin function _ZN7rocprim17ROCPRIM_400000_NS6detail17trampoline_kernelINS0_14default_configENS1_20scan_config_selectorIfEEZZNS1_9scan_implILNS1_25lookback_scan_determinismE0ELb1ELb1ES3_N6thrust23THRUST_200600_302600_NS6detail15normal_iteratorINS9_10device_ptrIjEEEENSB_INSC_IfEEEEfNS9_4plusIvEEfEEDaPvRmT3_T4_T5_mT6_P12ihipStream_tbENKUlT_T0_E_clISt17integral_constantIbLb0EESV_IbLb1EEEEDaSR_SS_EUlSR_E_NS1_11comp_targetILNS1_3genE10ELNS1_11target_archE1200ELNS1_3gpuE4ELNS1_3repE0EEENS1_30default_config_static_selectorELNS0_4arch9wavefront6targetE1EEEvT1_
	.globl	_ZN7rocprim17ROCPRIM_400000_NS6detail17trampoline_kernelINS0_14default_configENS1_20scan_config_selectorIfEEZZNS1_9scan_implILNS1_25lookback_scan_determinismE0ELb1ELb1ES3_N6thrust23THRUST_200600_302600_NS6detail15normal_iteratorINS9_10device_ptrIjEEEENSB_INSC_IfEEEEfNS9_4plusIvEEfEEDaPvRmT3_T4_T5_mT6_P12ihipStream_tbENKUlT_T0_E_clISt17integral_constantIbLb0EESV_IbLb1EEEEDaSR_SS_EUlSR_E_NS1_11comp_targetILNS1_3genE10ELNS1_11target_archE1200ELNS1_3gpuE4ELNS1_3repE0EEENS1_30default_config_static_selectorELNS0_4arch9wavefront6targetE1EEEvT1_
	.p2align	8
	.type	_ZN7rocprim17ROCPRIM_400000_NS6detail17trampoline_kernelINS0_14default_configENS1_20scan_config_selectorIfEEZZNS1_9scan_implILNS1_25lookback_scan_determinismE0ELb1ELb1ES3_N6thrust23THRUST_200600_302600_NS6detail15normal_iteratorINS9_10device_ptrIjEEEENSB_INSC_IfEEEEfNS9_4plusIvEEfEEDaPvRmT3_T4_T5_mT6_P12ihipStream_tbENKUlT_T0_E_clISt17integral_constantIbLb0EESV_IbLb1EEEEDaSR_SS_EUlSR_E_NS1_11comp_targetILNS1_3genE10ELNS1_11target_archE1200ELNS1_3gpuE4ELNS1_3repE0EEENS1_30default_config_static_selectorELNS0_4arch9wavefront6targetE1EEEvT1_,@function
_ZN7rocprim17ROCPRIM_400000_NS6detail17trampoline_kernelINS0_14default_configENS1_20scan_config_selectorIfEEZZNS1_9scan_implILNS1_25lookback_scan_determinismE0ELb1ELb1ES3_N6thrust23THRUST_200600_302600_NS6detail15normal_iteratorINS9_10device_ptrIjEEEENSB_INSC_IfEEEEfNS9_4plusIvEEfEEDaPvRmT3_T4_T5_mT6_P12ihipStream_tbENKUlT_T0_E_clISt17integral_constantIbLb0EESV_IbLb1EEEEDaSR_SS_EUlSR_E_NS1_11comp_targetILNS1_3genE10ELNS1_11target_archE1200ELNS1_3gpuE4ELNS1_3repE0EEENS1_30default_config_static_selectorELNS0_4arch9wavefront6targetE1EEEvT1_: ; @_ZN7rocprim17ROCPRIM_400000_NS6detail17trampoline_kernelINS0_14default_configENS1_20scan_config_selectorIfEEZZNS1_9scan_implILNS1_25lookback_scan_determinismE0ELb1ELb1ES3_N6thrust23THRUST_200600_302600_NS6detail15normal_iteratorINS9_10device_ptrIjEEEENSB_INSC_IfEEEEfNS9_4plusIvEEfEEDaPvRmT3_T4_T5_mT6_P12ihipStream_tbENKUlT_T0_E_clISt17integral_constantIbLb0EESV_IbLb1EEEEDaSR_SS_EUlSR_E_NS1_11comp_targetILNS1_3genE10ELNS1_11target_archE1200ELNS1_3gpuE4ELNS1_3repE0EEENS1_30default_config_static_selectorELNS0_4arch9wavefront6targetE1EEEvT1_
; %bb.0:
	.section	.rodata,"a",@progbits
	.p2align	6, 0x0
	.amdhsa_kernel _ZN7rocprim17ROCPRIM_400000_NS6detail17trampoline_kernelINS0_14default_configENS1_20scan_config_selectorIfEEZZNS1_9scan_implILNS1_25lookback_scan_determinismE0ELb1ELb1ES3_N6thrust23THRUST_200600_302600_NS6detail15normal_iteratorINS9_10device_ptrIjEEEENSB_INSC_IfEEEEfNS9_4plusIvEEfEEDaPvRmT3_T4_T5_mT6_P12ihipStream_tbENKUlT_T0_E_clISt17integral_constantIbLb0EESV_IbLb1EEEEDaSR_SS_EUlSR_E_NS1_11comp_targetILNS1_3genE10ELNS1_11target_archE1200ELNS1_3gpuE4ELNS1_3repE0EEENS1_30default_config_static_selectorELNS0_4arch9wavefront6targetE1EEEvT1_
		.amdhsa_group_segment_fixed_size 0
		.amdhsa_private_segment_fixed_size 0
		.amdhsa_kernarg_size 96
		.amdhsa_user_sgpr_count 6
		.amdhsa_user_sgpr_private_segment_buffer 1
		.amdhsa_user_sgpr_dispatch_ptr 0
		.amdhsa_user_sgpr_queue_ptr 0
		.amdhsa_user_sgpr_kernarg_segment_ptr 1
		.amdhsa_user_sgpr_dispatch_id 0
		.amdhsa_user_sgpr_flat_scratch_init 0
		.amdhsa_user_sgpr_kernarg_preload_length 0
		.amdhsa_user_sgpr_kernarg_preload_offset 0
		.amdhsa_user_sgpr_private_segment_size 0
		.amdhsa_uses_dynamic_stack 0
		.amdhsa_system_sgpr_private_segment_wavefront_offset 0
		.amdhsa_system_sgpr_workgroup_id_x 1
		.amdhsa_system_sgpr_workgroup_id_y 0
		.amdhsa_system_sgpr_workgroup_id_z 0
		.amdhsa_system_sgpr_workgroup_info 0
		.amdhsa_system_vgpr_workitem_id 0
		.amdhsa_next_free_vgpr 1
		.amdhsa_next_free_sgpr 0
		.amdhsa_accum_offset 4
		.amdhsa_reserve_vcc 0
		.amdhsa_reserve_flat_scratch 0
		.amdhsa_float_round_mode_32 0
		.amdhsa_float_round_mode_16_64 0
		.amdhsa_float_denorm_mode_32 3
		.amdhsa_float_denorm_mode_16_64 3
		.amdhsa_dx10_clamp 1
		.amdhsa_ieee_mode 1
		.amdhsa_fp16_overflow 0
		.amdhsa_tg_split 0
		.amdhsa_exception_fp_ieee_invalid_op 0
		.amdhsa_exception_fp_denorm_src 0
		.amdhsa_exception_fp_ieee_div_zero 0
		.amdhsa_exception_fp_ieee_overflow 0
		.amdhsa_exception_fp_ieee_underflow 0
		.amdhsa_exception_fp_ieee_inexact 0
		.amdhsa_exception_int_div_zero 0
	.end_amdhsa_kernel
	.section	.text._ZN7rocprim17ROCPRIM_400000_NS6detail17trampoline_kernelINS0_14default_configENS1_20scan_config_selectorIfEEZZNS1_9scan_implILNS1_25lookback_scan_determinismE0ELb1ELb1ES3_N6thrust23THRUST_200600_302600_NS6detail15normal_iteratorINS9_10device_ptrIjEEEENSB_INSC_IfEEEEfNS9_4plusIvEEfEEDaPvRmT3_T4_T5_mT6_P12ihipStream_tbENKUlT_T0_E_clISt17integral_constantIbLb0EESV_IbLb1EEEEDaSR_SS_EUlSR_E_NS1_11comp_targetILNS1_3genE10ELNS1_11target_archE1200ELNS1_3gpuE4ELNS1_3repE0EEENS1_30default_config_static_selectorELNS0_4arch9wavefront6targetE1EEEvT1_,"axG",@progbits,_ZN7rocprim17ROCPRIM_400000_NS6detail17trampoline_kernelINS0_14default_configENS1_20scan_config_selectorIfEEZZNS1_9scan_implILNS1_25lookback_scan_determinismE0ELb1ELb1ES3_N6thrust23THRUST_200600_302600_NS6detail15normal_iteratorINS9_10device_ptrIjEEEENSB_INSC_IfEEEEfNS9_4plusIvEEfEEDaPvRmT3_T4_T5_mT6_P12ihipStream_tbENKUlT_T0_E_clISt17integral_constantIbLb0EESV_IbLb1EEEEDaSR_SS_EUlSR_E_NS1_11comp_targetILNS1_3genE10ELNS1_11target_archE1200ELNS1_3gpuE4ELNS1_3repE0EEENS1_30default_config_static_selectorELNS0_4arch9wavefront6targetE1EEEvT1_,comdat
.Lfunc_end6148:
	.size	_ZN7rocprim17ROCPRIM_400000_NS6detail17trampoline_kernelINS0_14default_configENS1_20scan_config_selectorIfEEZZNS1_9scan_implILNS1_25lookback_scan_determinismE0ELb1ELb1ES3_N6thrust23THRUST_200600_302600_NS6detail15normal_iteratorINS9_10device_ptrIjEEEENSB_INSC_IfEEEEfNS9_4plusIvEEfEEDaPvRmT3_T4_T5_mT6_P12ihipStream_tbENKUlT_T0_E_clISt17integral_constantIbLb0EESV_IbLb1EEEEDaSR_SS_EUlSR_E_NS1_11comp_targetILNS1_3genE10ELNS1_11target_archE1200ELNS1_3gpuE4ELNS1_3repE0EEENS1_30default_config_static_selectorELNS0_4arch9wavefront6targetE1EEEvT1_, .Lfunc_end6148-_ZN7rocprim17ROCPRIM_400000_NS6detail17trampoline_kernelINS0_14default_configENS1_20scan_config_selectorIfEEZZNS1_9scan_implILNS1_25lookback_scan_determinismE0ELb1ELb1ES3_N6thrust23THRUST_200600_302600_NS6detail15normal_iteratorINS9_10device_ptrIjEEEENSB_INSC_IfEEEEfNS9_4plusIvEEfEEDaPvRmT3_T4_T5_mT6_P12ihipStream_tbENKUlT_T0_E_clISt17integral_constantIbLb0EESV_IbLb1EEEEDaSR_SS_EUlSR_E_NS1_11comp_targetILNS1_3genE10ELNS1_11target_archE1200ELNS1_3gpuE4ELNS1_3repE0EEENS1_30default_config_static_selectorELNS0_4arch9wavefront6targetE1EEEvT1_
                                        ; -- End function
	.section	.AMDGPU.csdata,"",@progbits
; Kernel info:
; codeLenInByte = 0
; NumSgprs: 4
; NumVgprs: 0
; NumAgprs: 0
; TotalNumVgprs: 0
; ScratchSize: 0
; MemoryBound: 0
; FloatMode: 240
; IeeeMode: 1
; LDSByteSize: 0 bytes/workgroup (compile time only)
; SGPRBlocks: 0
; VGPRBlocks: 0
; NumSGPRsForWavesPerEU: 4
; NumVGPRsForWavesPerEU: 1
; AccumOffset: 4
; Occupancy: 8
; WaveLimiterHint : 0
; COMPUTE_PGM_RSRC2:SCRATCH_EN: 0
; COMPUTE_PGM_RSRC2:USER_SGPR: 6
; COMPUTE_PGM_RSRC2:TRAP_HANDLER: 0
; COMPUTE_PGM_RSRC2:TGID_X_EN: 1
; COMPUTE_PGM_RSRC2:TGID_Y_EN: 0
; COMPUTE_PGM_RSRC2:TGID_Z_EN: 0
; COMPUTE_PGM_RSRC2:TIDIG_COMP_CNT: 0
; COMPUTE_PGM_RSRC3_GFX90A:ACCUM_OFFSET: 0
; COMPUTE_PGM_RSRC3_GFX90A:TG_SPLIT: 0
	.section	.text._ZN7rocprim17ROCPRIM_400000_NS6detail17trampoline_kernelINS0_14default_configENS1_20scan_config_selectorIfEEZZNS1_9scan_implILNS1_25lookback_scan_determinismE0ELb1ELb1ES3_N6thrust23THRUST_200600_302600_NS6detail15normal_iteratorINS9_10device_ptrIjEEEENSB_INSC_IfEEEEfNS9_4plusIvEEfEEDaPvRmT3_T4_T5_mT6_P12ihipStream_tbENKUlT_T0_E_clISt17integral_constantIbLb0EESV_IbLb1EEEEDaSR_SS_EUlSR_E_NS1_11comp_targetILNS1_3genE9ELNS1_11target_archE1100ELNS1_3gpuE3ELNS1_3repE0EEENS1_30default_config_static_selectorELNS0_4arch9wavefront6targetE1EEEvT1_,"axG",@progbits,_ZN7rocprim17ROCPRIM_400000_NS6detail17trampoline_kernelINS0_14default_configENS1_20scan_config_selectorIfEEZZNS1_9scan_implILNS1_25lookback_scan_determinismE0ELb1ELb1ES3_N6thrust23THRUST_200600_302600_NS6detail15normal_iteratorINS9_10device_ptrIjEEEENSB_INSC_IfEEEEfNS9_4plusIvEEfEEDaPvRmT3_T4_T5_mT6_P12ihipStream_tbENKUlT_T0_E_clISt17integral_constantIbLb0EESV_IbLb1EEEEDaSR_SS_EUlSR_E_NS1_11comp_targetILNS1_3genE9ELNS1_11target_archE1100ELNS1_3gpuE3ELNS1_3repE0EEENS1_30default_config_static_selectorELNS0_4arch9wavefront6targetE1EEEvT1_,comdat
	.protected	_ZN7rocprim17ROCPRIM_400000_NS6detail17trampoline_kernelINS0_14default_configENS1_20scan_config_selectorIfEEZZNS1_9scan_implILNS1_25lookback_scan_determinismE0ELb1ELb1ES3_N6thrust23THRUST_200600_302600_NS6detail15normal_iteratorINS9_10device_ptrIjEEEENSB_INSC_IfEEEEfNS9_4plusIvEEfEEDaPvRmT3_T4_T5_mT6_P12ihipStream_tbENKUlT_T0_E_clISt17integral_constantIbLb0EESV_IbLb1EEEEDaSR_SS_EUlSR_E_NS1_11comp_targetILNS1_3genE9ELNS1_11target_archE1100ELNS1_3gpuE3ELNS1_3repE0EEENS1_30default_config_static_selectorELNS0_4arch9wavefront6targetE1EEEvT1_ ; -- Begin function _ZN7rocprim17ROCPRIM_400000_NS6detail17trampoline_kernelINS0_14default_configENS1_20scan_config_selectorIfEEZZNS1_9scan_implILNS1_25lookback_scan_determinismE0ELb1ELb1ES3_N6thrust23THRUST_200600_302600_NS6detail15normal_iteratorINS9_10device_ptrIjEEEENSB_INSC_IfEEEEfNS9_4plusIvEEfEEDaPvRmT3_T4_T5_mT6_P12ihipStream_tbENKUlT_T0_E_clISt17integral_constantIbLb0EESV_IbLb1EEEEDaSR_SS_EUlSR_E_NS1_11comp_targetILNS1_3genE9ELNS1_11target_archE1100ELNS1_3gpuE3ELNS1_3repE0EEENS1_30default_config_static_selectorELNS0_4arch9wavefront6targetE1EEEvT1_
	.globl	_ZN7rocprim17ROCPRIM_400000_NS6detail17trampoline_kernelINS0_14default_configENS1_20scan_config_selectorIfEEZZNS1_9scan_implILNS1_25lookback_scan_determinismE0ELb1ELb1ES3_N6thrust23THRUST_200600_302600_NS6detail15normal_iteratorINS9_10device_ptrIjEEEENSB_INSC_IfEEEEfNS9_4plusIvEEfEEDaPvRmT3_T4_T5_mT6_P12ihipStream_tbENKUlT_T0_E_clISt17integral_constantIbLb0EESV_IbLb1EEEEDaSR_SS_EUlSR_E_NS1_11comp_targetILNS1_3genE9ELNS1_11target_archE1100ELNS1_3gpuE3ELNS1_3repE0EEENS1_30default_config_static_selectorELNS0_4arch9wavefront6targetE1EEEvT1_
	.p2align	8
	.type	_ZN7rocprim17ROCPRIM_400000_NS6detail17trampoline_kernelINS0_14default_configENS1_20scan_config_selectorIfEEZZNS1_9scan_implILNS1_25lookback_scan_determinismE0ELb1ELb1ES3_N6thrust23THRUST_200600_302600_NS6detail15normal_iteratorINS9_10device_ptrIjEEEENSB_INSC_IfEEEEfNS9_4plusIvEEfEEDaPvRmT3_T4_T5_mT6_P12ihipStream_tbENKUlT_T0_E_clISt17integral_constantIbLb0EESV_IbLb1EEEEDaSR_SS_EUlSR_E_NS1_11comp_targetILNS1_3genE9ELNS1_11target_archE1100ELNS1_3gpuE3ELNS1_3repE0EEENS1_30default_config_static_selectorELNS0_4arch9wavefront6targetE1EEEvT1_,@function
_ZN7rocprim17ROCPRIM_400000_NS6detail17trampoline_kernelINS0_14default_configENS1_20scan_config_selectorIfEEZZNS1_9scan_implILNS1_25lookback_scan_determinismE0ELb1ELb1ES3_N6thrust23THRUST_200600_302600_NS6detail15normal_iteratorINS9_10device_ptrIjEEEENSB_INSC_IfEEEEfNS9_4plusIvEEfEEDaPvRmT3_T4_T5_mT6_P12ihipStream_tbENKUlT_T0_E_clISt17integral_constantIbLb0EESV_IbLb1EEEEDaSR_SS_EUlSR_E_NS1_11comp_targetILNS1_3genE9ELNS1_11target_archE1100ELNS1_3gpuE3ELNS1_3repE0EEENS1_30default_config_static_selectorELNS0_4arch9wavefront6targetE1EEEvT1_: ; @_ZN7rocprim17ROCPRIM_400000_NS6detail17trampoline_kernelINS0_14default_configENS1_20scan_config_selectorIfEEZZNS1_9scan_implILNS1_25lookback_scan_determinismE0ELb1ELb1ES3_N6thrust23THRUST_200600_302600_NS6detail15normal_iteratorINS9_10device_ptrIjEEEENSB_INSC_IfEEEEfNS9_4plusIvEEfEEDaPvRmT3_T4_T5_mT6_P12ihipStream_tbENKUlT_T0_E_clISt17integral_constantIbLb0EESV_IbLb1EEEEDaSR_SS_EUlSR_E_NS1_11comp_targetILNS1_3genE9ELNS1_11target_archE1100ELNS1_3gpuE3ELNS1_3repE0EEENS1_30default_config_static_selectorELNS0_4arch9wavefront6targetE1EEEvT1_
; %bb.0:
	.section	.rodata,"a",@progbits
	.p2align	6, 0x0
	.amdhsa_kernel _ZN7rocprim17ROCPRIM_400000_NS6detail17trampoline_kernelINS0_14default_configENS1_20scan_config_selectorIfEEZZNS1_9scan_implILNS1_25lookback_scan_determinismE0ELb1ELb1ES3_N6thrust23THRUST_200600_302600_NS6detail15normal_iteratorINS9_10device_ptrIjEEEENSB_INSC_IfEEEEfNS9_4plusIvEEfEEDaPvRmT3_T4_T5_mT6_P12ihipStream_tbENKUlT_T0_E_clISt17integral_constantIbLb0EESV_IbLb1EEEEDaSR_SS_EUlSR_E_NS1_11comp_targetILNS1_3genE9ELNS1_11target_archE1100ELNS1_3gpuE3ELNS1_3repE0EEENS1_30default_config_static_selectorELNS0_4arch9wavefront6targetE1EEEvT1_
		.amdhsa_group_segment_fixed_size 0
		.amdhsa_private_segment_fixed_size 0
		.amdhsa_kernarg_size 96
		.amdhsa_user_sgpr_count 6
		.amdhsa_user_sgpr_private_segment_buffer 1
		.amdhsa_user_sgpr_dispatch_ptr 0
		.amdhsa_user_sgpr_queue_ptr 0
		.amdhsa_user_sgpr_kernarg_segment_ptr 1
		.amdhsa_user_sgpr_dispatch_id 0
		.amdhsa_user_sgpr_flat_scratch_init 0
		.amdhsa_user_sgpr_kernarg_preload_length 0
		.amdhsa_user_sgpr_kernarg_preload_offset 0
		.amdhsa_user_sgpr_private_segment_size 0
		.amdhsa_uses_dynamic_stack 0
		.amdhsa_system_sgpr_private_segment_wavefront_offset 0
		.amdhsa_system_sgpr_workgroup_id_x 1
		.amdhsa_system_sgpr_workgroup_id_y 0
		.amdhsa_system_sgpr_workgroup_id_z 0
		.amdhsa_system_sgpr_workgroup_info 0
		.amdhsa_system_vgpr_workitem_id 0
		.amdhsa_next_free_vgpr 1
		.amdhsa_next_free_sgpr 0
		.amdhsa_accum_offset 4
		.amdhsa_reserve_vcc 0
		.amdhsa_reserve_flat_scratch 0
		.amdhsa_float_round_mode_32 0
		.amdhsa_float_round_mode_16_64 0
		.amdhsa_float_denorm_mode_32 3
		.amdhsa_float_denorm_mode_16_64 3
		.amdhsa_dx10_clamp 1
		.amdhsa_ieee_mode 1
		.amdhsa_fp16_overflow 0
		.amdhsa_tg_split 0
		.amdhsa_exception_fp_ieee_invalid_op 0
		.amdhsa_exception_fp_denorm_src 0
		.amdhsa_exception_fp_ieee_div_zero 0
		.amdhsa_exception_fp_ieee_overflow 0
		.amdhsa_exception_fp_ieee_underflow 0
		.amdhsa_exception_fp_ieee_inexact 0
		.amdhsa_exception_int_div_zero 0
	.end_amdhsa_kernel
	.section	.text._ZN7rocprim17ROCPRIM_400000_NS6detail17trampoline_kernelINS0_14default_configENS1_20scan_config_selectorIfEEZZNS1_9scan_implILNS1_25lookback_scan_determinismE0ELb1ELb1ES3_N6thrust23THRUST_200600_302600_NS6detail15normal_iteratorINS9_10device_ptrIjEEEENSB_INSC_IfEEEEfNS9_4plusIvEEfEEDaPvRmT3_T4_T5_mT6_P12ihipStream_tbENKUlT_T0_E_clISt17integral_constantIbLb0EESV_IbLb1EEEEDaSR_SS_EUlSR_E_NS1_11comp_targetILNS1_3genE9ELNS1_11target_archE1100ELNS1_3gpuE3ELNS1_3repE0EEENS1_30default_config_static_selectorELNS0_4arch9wavefront6targetE1EEEvT1_,"axG",@progbits,_ZN7rocprim17ROCPRIM_400000_NS6detail17trampoline_kernelINS0_14default_configENS1_20scan_config_selectorIfEEZZNS1_9scan_implILNS1_25lookback_scan_determinismE0ELb1ELb1ES3_N6thrust23THRUST_200600_302600_NS6detail15normal_iteratorINS9_10device_ptrIjEEEENSB_INSC_IfEEEEfNS9_4plusIvEEfEEDaPvRmT3_T4_T5_mT6_P12ihipStream_tbENKUlT_T0_E_clISt17integral_constantIbLb0EESV_IbLb1EEEEDaSR_SS_EUlSR_E_NS1_11comp_targetILNS1_3genE9ELNS1_11target_archE1100ELNS1_3gpuE3ELNS1_3repE0EEENS1_30default_config_static_selectorELNS0_4arch9wavefront6targetE1EEEvT1_,comdat
.Lfunc_end6149:
	.size	_ZN7rocprim17ROCPRIM_400000_NS6detail17trampoline_kernelINS0_14default_configENS1_20scan_config_selectorIfEEZZNS1_9scan_implILNS1_25lookback_scan_determinismE0ELb1ELb1ES3_N6thrust23THRUST_200600_302600_NS6detail15normal_iteratorINS9_10device_ptrIjEEEENSB_INSC_IfEEEEfNS9_4plusIvEEfEEDaPvRmT3_T4_T5_mT6_P12ihipStream_tbENKUlT_T0_E_clISt17integral_constantIbLb0EESV_IbLb1EEEEDaSR_SS_EUlSR_E_NS1_11comp_targetILNS1_3genE9ELNS1_11target_archE1100ELNS1_3gpuE3ELNS1_3repE0EEENS1_30default_config_static_selectorELNS0_4arch9wavefront6targetE1EEEvT1_, .Lfunc_end6149-_ZN7rocprim17ROCPRIM_400000_NS6detail17trampoline_kernelINS0_14default_configENS1_20scan_config_selectorIfEEZZNS1_9scan_implILNS1_25lookback_scan_determinismE0ELb1ELb1ES3_N6thrust23THRUST_200600_302600_NS6detail15normal_iteratorINS9_10device_ptrIjEEEENSB_INSC_IfEEEEfNS9_4plusIvEEfEEDaPvRmT3_T4_T5_mT6_P12ihipStream_tbENKUlT_T0_E_clISt17integral_constantIbLb0EESV_IbLb1EEEEDaSR_SS_EUlSR_E_NS1_11comp_targetILNS1_3genE9ELNS1_11target_archE1100ELNS1_3gpuE3ELNS1_3repE0EEENS1_30default_config_static_selectorELNS0_4arch9wavefront6targetE1EEEvT1_
                                        ; -- End function
	.section	.AMDGPU.csdata,"",@progbits
; Kernel info:
; codeLenInByte = 0
; NumSgprs: 4
; NumVgprs: 0
; NumAgprs: 0
; TotalNumVgprs: 0
; ScratchSize: 0
; MemoryBound: 0
; FloatMode: 240
; IeeeMode: 1
; LDSByteSize: 0 bytes/workgroup (compile time only)
; SGPRBlocks: 0
; VGPRBlocks: 0
; NumSGPRsForWavesPerEU: 4
; NumVGPRsForWavesPerEU: 1
; AccumOffset: 4
; Occupancy: 8
; WaveLimiterHint : 0
; COMPUTE_PGM_RSRC2:SCRATCH_EN: 0
; COMPUTE_PGM_RSRC2:USER_SGPR: 6
; COMPUTE_PGM_RSRC2:TRAP_HANDLER: 0
; COMPUTE_PGM_RSRC2:TGID_X_EN: 1
; COMPUTE_PGM_RSRC2:TGID_Y_EN: 0
; COMPUTE_PGM_RSRC2:TGID_Z_EN: 0
; COMPUTE_PGM_RSRC2:TIDIG_COMP_CNT: 0
; COMPUTE_PGM_RSRC3_GFX90A:ACCUM_OFFSET: 0
; COMPUTE_PGM_RSRC3_GFX90A:TG_SPLIT: 0
	.section	.text._ZN7rocprim17ROCPRIM_400000_NS6detail17trampoline_kernelINS0_14default_configENS1_20scan_config_selectorIfEEZZNS1_9scan_implILNS1_25lookback_scan_determinismE0ELb1ELb1ES3_N6thrust23THRUST_200600_302600_NS6detail15normal_iteratorINS9_10device_ptrIjEEEENSB_INSC_IfEEEEfNS9_4plusIvEEfEEDaPvRmT3_T4_T5_mT6_P12ihipStream_tbENKUlT_T0_E_clISt17integral_constantIbLb0EESV_IbLb1EEEEDaSR_SS_EUlSR_E_NS1_11comp_targetILNS1_3genE8ELNS1_11target_archE1030ELNS1_3gpuE2ELNS1_3repE0EEENS1_30default_config_static_selectorELNS0_4arch9wavefront6targetE1EEEvT1_,"axG",@progbits,_ZN7rocprim17ROCPRIM_400000_NS6detail17trampoline_kernelINS0_14default_configENS1_20scan_config_selectorIfEEZZNS1_9scan_implILNS1_25lookback_scan_determinismE0ELb1ELb1ES3_N6thrust23THRUST_200600_302600_NS6detail15normal_iteratorINS9_10device_ptrIjEEEENSB_INSC_IfEEEEfNS9_4plusIvEEfEEDaPvRmT3_T4_T5_mT6_P12ihipStream_tbENKUlT_T0_E_clISt17integral_constantIbLb0EESV_IbLb1EEEEDaSR_SS_EUlSR_E_NS1_11comp_targetILNS1_3genE8ELNS1_11target_archE1030ELNS1_3gpuE2ELNS1_3repE0EEENS1_30default_config_static_selectorELNS0_4arch9wavefront6targetE1EEEvT1_,comdat
	.protected	_ZN7rocprim17ROCPRIM_400000_NS6detail17trampoline_kernelINS0_14default_configENS1_20scan_config_selectorIfEEZZNS1_9scan_implILNS1_25lookback_scan_determinismE0ELb1ELb1ES3_N6thrust23THRUST_200600_302600_NS6detail15normal_iteratorINS9_10device_ptrIjEEEENSB_INSC_IfEEEEfNS9_4plusIvEEfEEDaPvRmT3_T4_T5_mT6_P12ihipStream_tbENKUlT_T0_E_clISt17integral_constantIbLb0EESV_IbLb1EEEEDaSR_SS_EUlSR_E_NS1_11comp_targetILNS1_3genE8ELNS1_11target_archE1030ELNS1_3gpuE2ELNS1_3repE0EEENS1_30default_config_static_selectorELNS0_4arch9wavefront6targetE1EEEvT1_ ; -- Begin function _ZN7rocprim17ROCPRIM_400000_NS6detail17trampoline_kernelINS0_14default_configENS1_20scan_config_selectorIfEEZZNS1_9scan_implILNS1_25lookback_scan_determinismE0ELb1ELb1ES3_N6thrust23THRUST_200600_302600_NS6detail15normal_iteratorINS9_10device_ptrIjEEEENSB_INSC_IfEEEEfNS9_4plusIvEEfEEDaPvRmT3_T4_T5_mT6_P12ihipStream_tbENKUlT_T0_E_clISt17integral_constantIbLb0EESV_IbLb1EEEEDaSR_SS_EUlSR_E_NS1_11comp_targetILNS1_3genE8ELNS1_11target_archE1030ELNS1_3gpuE2ELNS1_3repE0EEENS1_30default_config_static_selectorELNS0_4arch9wavefront6targetE1EEEvT1_
	.globl	_ZN7rocprim17ROCPRIM_400000_NS6detail17trampoline_kernelINS0_14default_configENS1_20scan_config_selectorIfEEZZNS1_9scan_implILNS1_25lookback_scan_determinismE0ELb1ELb1ES3_N6thrust23THRUST_200600_302600_NS6detail15normal_iteratorINS9_10device_ptrIjEEEENSB_INSC_IfEEEEfNS9_4plusIvEEfEEDaPvRmT3_T4_T5_mT6_P12ihipStream_tbENKUlT_T0_E_clISt17integral_constantIbLb0EESV_IbLb1EEEEDaSR_SS_EUlSR_E_NS1_11comp_targetILNS1_3genE8ELNS1_11target_archE1030ELNS1_3gpuE2ELNS1_3repE0EEENS1_30default_config_static_selectorELNS0_4arch9wavefront6targetE1EEEvT1_
	.p2align	8
	.type	_ZN7rocprim17ROCPRIM_400000_NS6detail17trampoline_kernelINS0_14default_configENS1_20scan_config_selectorIfEEZZNS1_9scan_implILNS1_25lookback_scan_determinismE0ELb1ELb1ES3_N6thrust23THRUST_200600_302600_NS6detail15normal_iteratorINS9_10device_ptrIjEEEENSB_INSC_IfEEEEfNS9_4plusIvEEfEEDaPvRmT3_T4_T5_mT6_P12ihipStream_tbENKUlT_T0_E_clISt17integral_constantIbLb0EESV_IbLb1EEEEDaSR_SS_EUlSR_E_NS1_11comp_targetILNS1_3genE8ELNS1_11target_archE1030ELNS1_3gpuE2ELNS1_3repE0EEENS1_30default_config_static_selectorELNS0_4arch9wavefront6targetE1EEEvT1_,@function
_ZN7rocprim17ROCPRIM_400000_NS6detail17trampoline_kernelINS0_14default_configENS1_20scan_config_selectorIfEEZZNS1_9scan_implILNS1_25lookback_scan_determinismE0ELb1ELb1ES3_N6thrust23THRUST_200600_302600_NS6detail15normal_iteratorINS9_10device_ptrIjEEEENSB_INSC_IfEEEEfNS9_4plusIvEEfEEDaPvRmT3_T4_T5_mT6_P12ihipStream_tbENKUlT_T0_E_clISt17integral_constantIbLb0EESV_IbLb1EEEEDaSR_SS_EUlSR_E_NS1_11comp_targetILNS1_3genE8ELNS1_11target_archE1030ELNS1_3gpuE2ELNS1_3repE0EEENS1_30default_config_static_selectorELNS0_4arch9wavefront6targetE1EEEvT1_: ; @_ZN7rocprim17ROCPRIM_400000_NS6detail17trampoline_kernelINS0_14default_configENS1_20scan_config_selectorIfEEZZNS1_9scan_implILNS1_25lookback_scan_determinismE0ELb1ELb1ES3_N6thrust23THRUST_200600_302600_NS6detail15normal_iteratorINS9_10device_ptrIjEEEENSB_INSC_IfEEEEfNS9_4plusIvEEfEEDaPvRmT3_T4_T5_mT6_P12ihipStream_tbENKUlT_T0_E_clISt17integral_constantIbLb0EESV_IbLb1EEEEDaSR_SS_EUlSR_E_NS1_11comp_targetILNS1_3genE8ELNS1_11target_archE1030ELNS1_3gpuE2ELNS1_3repE0EEENS1_30default_config_static_selectorELNS0_4arch9wavefront6targetE1EEEvT1_
; %bb.0:
	.section	.rodata,"a",@progbits
	.p2align	6, 0x0
	.amdhsa_kernel _ZN7rocprim17ROCPRIM_400000_NS6detail17trampoline_kernelINS0_14default_configENS1_20scan_config_selectorIfEEZZNS1_9scan_implILNS1_25lookback_scan_determinismE0ELb1ELb1ES3_N6thrust23THRUST_200600_302600_NS6detail15normal_iteratorINS9_10device_ptrIjEEEENSB_INSC_IfEEEEfNS9_4plusIvEEfEEDaPvRmT3_T4_T5_mT6_P12ihipStream_tbENKUlT_T0_E_clISt17integral_constantIbLb0EESV_IbLb1EEEEDaSR_SS_EUlSR_E_NS1_11comp_targetILNS1_3genE8ELNS1_11target_archE1030ELNS1_3gpuE2ELNS1_3repE0EEENS1_30default_config_static_selectorELNS0_4arch9wavefront6targetE1EEEvT1_
		.amdhsa_group_segment_fixed_size 0
		.amdhsa_private_segment_fixed_size 0
		.amdhsa_kernarg_size 96
		.amdhsa_user_sgpr_count 6
		.amdhsa_user_sgpr_private_segment_buffer 1
		.amdhsa_user_sgpr_dispatch_ptr 0
		.amdhsa_user_sgpr_queue_ptr 0
		.amdhsa_user_sgpr_kernarg_segment_ptr 1
		.amdhsa_user_sgpr_dispatch_id 0
		.amdhsa_user_sgpr_flat_scratch_init 0
		.amdhsa_user_sgpr_kernarg_preload_length 0
		.amdhsa_user_sgpr_kernarg_preload_offset 0
		.amdhsa_user_sgpr_private_segment_size 0
		.amdhsa_uses_dynamic_stack 0
		.amdhsa_system_sgpr_private_segment_wavefront_offset 0
		.amdhsa_system_sgpr_workgroup_id_x 1
		.amdhsa_system_sgpr_workgroup_id_y 0
		.amdhsa_system_sgpr_workgroup_id_z 0
		.amdhsa_system_sgpr_workgroup_info 0
		.amdhsa_system_vgpr_workitem_id 0
		.amdhsa_next_free_vgpr 1
		.amdhsa_next_free_sgpr 0
		.amdhsa_accum_offset 4
		.amdhsa_reserve_vcc 0
		.amdhsa_reserve_flat_scratch 0
		.amdhsa_float_round_mode_32 0
		.amdhsa_float_round_mode_16_64 0
		.amdhsa_float_denorm_mode_32 3
		.amdhsa_float_denorm_mode_16_64 3
		.amdhsa_dx10_clamp 1
		.amdhsa_ieee_mode 1
		.amdhsa_fp16_overflow 0
		.amdhsa_tg_split 0
		.amdhsa_exception_fp_ieee_invalid_op 0
		.amdhsa_exception_fp_denorm_src 0
		.amdhsa_exception_fp_ieee_div_zero 0
		.amdhsa_exception_fp_ieee_overflow 0
		.amdhsa_exception_fp_ieee_underflow 0
		.amdhsa_exception_fp_ieee_inexact 0
		.amdhsa_exception_int_div_zero 0
	.end_amdhsa_kernel
	.section	.text._ZN7rocprim17ROCPRIM_400000_NS6detail17trampoline_kernelINS0_14default_configENS1_20scan_config_selectorIfEEZZNS1_9scan_implILNS1_25lookback_scan_determinismE0ELb1ELb1ES3_N6thrust23THRUST_200600_302600_NS6detail15normal_iteratorINS9_10device_ptrIjEEEENSB_INSC_IfEEEEfNS9_4plusIvEEfEEDaPvRmT3_T4_T5_mT6_P12ihipStream_tbENKUlT_T0_E_clISt17integral_constantIbLb0EESV_IbLb1EEEEDaSR_SS_EUlSR_E_NS1_11comp_targetILNS1_3genE8ELNS1_11target_archE1030ELNS1_3gpuE2ELNS1_3repE0EEENS1_30default_config_static_selectorELNS0_4arch9wavefront6targetE1EEEvT1_,"axG",@progbits,_ZN7rocprim17ROCPRIM_400000_NS6detail17trampoline_kernelINS0_14default_configENS1_20scan_config_selectorIfEEZZNS1_9scan_implILNS1_25lookback_scan_determinismE0ELb1ELb1ES3_N6thrust23THRUST_200600_302600_NS6detail15normal_iteratorINS9_10device_ptrIjEEEENSB_INSC_IfEEEEfNS9_4plusIvEEfEEDaPvRmT3_T4_T5_mT6_P12ihipStream_tbENKUlT_T0_E_clISt17integral_constantIbLb0EESV_IbLb1EEEEDaSR_SS_EUlSR_E_NS1_11comp_targetILNS1_3genE8ELNS1_11target_archE1030ELNS1_3gpuE2ELNS1_3repE0EEENS1_30default_config_static_selectorELNS0_4arch9wavefront6targetE1EEEvT1_,comdat
.Lfunc_end6150:
	.size	_ZN7rocprim17ROCPRIM_400000_NS6detail17trampoline_kernelINS0_14default_configENS1_20scan_config_selectorIfEEZZNS1_9scan_implILNS1_25lookback_scan_determinismE0ELb1ELb1ES3_N6thrust23THRUST_200600_302600_NS6detail15normal_iteratorINS9_10device_ptrIjEEEENSB_INSC_IfEEEEfNS9_4plusIvEEfEEDaPvRmT3_T4_T5_mT6_P12ihipStream_tbENKUlT_T0_E_clISt17integral_constantIbLb0EESV_IbLb1EEEEDaSR_SS_EUlSR_E_NS1_11comp_targetILNS1_3genE8ELNS1_11target_archE1030ELNS1_3gpuE2ELNS1_3repE0EEENS1_30default_config_static_selectorELNS0_4arch9wavefront6targetE1EEEvT1_, .Lfunc_end6150-_ZN7rocprim17ROCPRIM_400000_NS6detail17trampoline_kernelINS0_14default_configENS1_20scan_config_selectorIfEEZZNS1_9scan_implILNS1_25lookback_scan_determinismE0ELb1ELb1ES3_N6thrust23THRUST_200600_302600_NS6detail15normal_iteratorINS9_10device_ptrIjEEEENSB_INSC_IfEEEEfNS9_4plusIvEEfEEDaPvRmT3_T4_T5_mT6_P12ihipStream_tbENKUlT_T0_E_clISt17integral_constantIbLb0EESV_IbLb1EEEEDaSR_SS_EUlSR_E_NS1_11comp_targetILNS1_3genE8ELNS1_11target_archE1030ELNS1_3gpuE2ELNS1_3repE0EEENS1_30default_config_static_selectorELNS0_4arch9wavefront6targetE1EEEvT1_
                                        ; -- End function
	.section	.AMDGPU.csdata,"",@progbits
; Kernel info:
; codeLenInByte = 0
; NumSgprs: 4
; NumVgprs: 0
; NumAgprs: 0
; TotalNumVgprs: 0
; ScratchSize: 0
; MemoryBound: 0
; FloatMode: 240
; IeeeMode: 1
; LDSByteSize: 0 bytes/workgroup (compile time only)
; SGPRBlocks: 0
; VGPRBlocks: 0
; NumSGPRsForWavesPerEU: 4
; NumVGPRsForWavesPerEU: 1
; AccumOffset: 4
; Occupancy: 8
; WaveLimiterHint : 0
; COMPUTE_PGM_RSRC2:SCRATCH_EN: 0
; COMPUTE_PGM_RSRC2:USER_SGPR: 6
; COMPUTE_PGM_RSRC2:TRAP_HANDLER: 0
; COMPUTE_PGM_RSRC2:TGID_X_EN: 1
; COMPUTE_PGM_RSRC2:TGID_Y_EN: 0
; COMPUTE_PGM_RSRC2:TGID_Z_EN: 0
; COMPUTE_PGM_RSRC2:TIDIG_COMP_CNT: 0
; COMPUTE_PGM_RSRC3_GFX90A:ACCUM_OFFSET: 0
; COMPUTE_PGM_RSRC3_GFX90A:TG_SPLIT: 0
	.section	.text._ZN7rocprim17ROCPRIM_400000_NS6detail17trampoline_kernelINS0_14default_configENS1_20scan_config_selectorIfEEZZNS1_9scan_implILNS1_25lookback_scan_determinismE0ELb1ELb1ES3_N6thrust23THRUST_200600_302600_NS6detail15normal_iteratorINS9_10device_ptrIjEEEENSB_INSC_IfEEEEfNS9_4plusIvEEfEEDaPvRmT3_T4_T5_mT6_P12ihipStream_tbENKUlT_T0_E_clISt17integral_constantIbLb0EESV_IbLb1EEEEDaSR_SS_EUlSR_E0_NS1_11comp_targetILNS1_3genE0ELNS1_11target_archE4294967295ELNS1_3gpuE0ELNS1_3repE0EEENS1_30default_config_static_selectorELNS0_4arch9wavefront6targetE1EEEvT1_,"axG",@progbits,_ZN7rocprim17ROCPRIM_400000_NS6detail17trampoline_kernelINS0_14default_configENS1_20scan_config_selectorIfEEZZNS1_9scan_implILNS1_25lookback_scan_determinismE0ELb1ELb1ES3_N6thrust23THRUST_200600_302600_NS6detail15normal_iteratorINS9_10device_ptrIjEEEENSB_INSC_IfEEEEfNS9_4plusIvEEfEEDaPvRmT3_T4_T5_mT6_P12ihipStream_tbENKUlT_T0_E_clISt17integral_constantIbLb0EESV_IbLb1EEEEDaSR_SS_EUlSR_E0_NS1_11comp_targetILNS1_3genE0ELNS1_11target_archE4294967295ELNS1_3gpuE0ELNS1_3repE0EEENS1_30default_config_static_selectorELNS0_4arch9wavefront6targetE1EEEvT1_,comdat
	.protected	_ZN7rocprim17ROCPRIM_400000_NS6detail17trampoline_kernelINS0_14default_configENS1_20scan_config_selectorIfEEZZNS1_9scan_implILNS1_25lookback_scan_determinismE0ELb1ELb1ES3_N6thrust23THRUST_200600_302600_NS6detail15normal_iteratorINS9_10device_ptrIjEEEENSB_INSC_IfEEEEfNS9_4plusIvEEfEEDaPvRmT3_T4_T5_mT6_P12ihipStream_tbENKUlT_T0_E_clISt17integral_constantIbLb0EESV_IbLb1EEEEDaSR_SS_EUlSR_E0_NS1_11comp_targetILNS1_3genE0ELNS1_11target_archE4294967295ELNS1_3gpuE0ELNS1_3repE0EEENS1_30default_config_static_selectorELNS0_4arch9wavefront6targetE1EEEvT1_ ; -- Begin function _ZN7rocprim17ROCPRIM_400000_NS6detail17trampoline_kernelINS0_14default_configENS1_20scan_config_selectorIfEEZZNS1_9scan_implILNS1_25lookback_scan_determinismE0ELb1ELb1ES3_N6thrust23THRUST_200600_302600_NS6detail15normal_iteratorINS9_10device_ptrIjEEEENSB_INSC_IfEEEEfNS9_4plusIvEEfEEDaPvRmT3_T4_T5_mT6_P12ihipStream_tbENKUlT_T0_E_clISt17integral_constantIbLb0EESV_IbLb1EEEEDaSR_SS_EUlSR_E0_NS1_11comp_targetILNS1_3genE0ELNS1_11target_archE4294967295ELNS1_3gpuE0ELNS1_3repE0EEENS1_30default_config_static_selectorELNS0_4arch9wavefront6targetE1EEEvT1_
	.globl	_ZN7rocprim17ROCPRIM_400000_NS6detail17trampoline_kernelINS0_14default_configENS1_20scan_config_selectorIfEEZZNS1_9scan_implILNS1_25lookback_scan_determinismE0ELb1ELb1ES3_N6thrust23THRUST_200600_302600_NS6detail15normal_iteratorINS9_10device_ptrIjEEEENSB_INSC_IfEEEEfNS9_4plusIvEEfEEDaPvRmT3_T4_T5_mT6_P12ihipStream_tbENKUlT_T0_E_clISt17integral_constantIbLb0EESV_IbLb1EEEEDaSR_SS_EUlSR_E0_NS1_11comp_targetILNS1_3genE0ELNS1_11target_archE4294967295ELNS1_3gpuE0ELNS1_3repE0EEENS1_30default_config_static_selectorELNS0_4arch9wavefront6targetE1EEEvT1_
	.p2align	8
	.type	_ZN7rocprim17ROCPRIM_400000_NS6detail17trampoline_kernelINS0_14default_configENS1_20scan_config_selectorIfEEZZNS1_9scan_implILNS1_25lookback_scan_determinismE0ELb1ELb1ES3_N6thrust23THRUST_200600_302600_NS6detail15normal_iteratorINS9_10device_ptrIjEEEENSB_INSC_IfEEEEfNS9_4plusIvEEfEEDaPvRmT3_T4_T5_mT6_P12ihipStream_tbENKUlT_T0_E_clISt17integral_constantIbLb0EESV_IbLb1EEEEDaSR_SS_EUlSR_E0_NS1_11comp_targetILNS1_3genE0ELNS1_11target_archE4294967295ELNS1_3gpuE0ELNS1_3repE0EEENS1_30default_config_static_selectorELNS0_4arch9wavefront6targetE1EEEvT1_,@function
_ZN7rocprim17ROCPRIM_400000_NS6detail17trampoline_kernelINS0_14default_configENS1_20scan_config_selectorIfEEZZNS1_9scan_implILNS1_25lookback_scan_determinismE0ELb1ELb1ES3_N6thrust23THRUST_200600_302600_NS6detail15normal_iteratorINS9_10device_ptrIjEEEENSB_INSC_IfEEEEfNS9_4plusIvEEfEEDaPvRmT3_T4_T5_mT6_P12ihipStream_tbENKUlT_T0_E_clISt17integral_constantIbLb0EESV_IbLb1EEEEDaSR_SS_EUlSR_E0_NS1_11comp_targetILNS1_3genE0ELNS1_11target_archE4294967295ELNS1_3gpuE0ELNS1_3repE0EEENS1_30default_config_static_selectorELNS0_4arch9wavefront6targetE1EEEvT1_: ; @_ZN7rocprim17ROCPRIM_400000_NS6detail17trampoline_kernelINS0_14default_configENS1_20scan_config_selectorIfEEZZNS1_9scan_implILNS1_25lookback_scan_determinismE0ELb1ELb1ES3_N6thrust23THRUST_200600_302600_NS6detail15normal_iteratorINS9_10device_ptrIjEEEENSB_INSC_IfEEEEfNS9_4plusIvEEfEEDaPvRmT3_T4_T5_mT6_P12ihipStream_tbENKUlT_T0_E_clISt17integral_constantIbLb0EESV_IbLb1EEEEDaSR_SS_EUlSR_E0_NS1_11comp_targetILNS1_3genE0ELNS1_11target_archE4294967295ELNS1_3gpuE0ELNS1_3repE0EEENS1_30default_config_static_selectorELNS0_4arch9wavefront6targetE1EEEvT1_
; %bb.0:
	.section	.rodata,"a",@progbits
	.p2align	6, 0x0
	.amdhsa_kernel _ZN7rocprim17ROCPRIM_400000_NS6detail17trampoline_kernelINS0_14default_configENS1_20scan_config_selectorIfEEZZNS1_9scan_implILNS1_25lookback_scan_determinismE0ELb1ELb1ES3_N6thrust23THRUST_200600_302600_NS6detail15normal_iteratorINS9_10device_ptrIjEEEENSB_INSC_IfEEEEfNS9_4plusIvEEfEEDaPvRmT3_T4_T5_mT6_P12ihipStream_tbENKUlT_T0_E_clISt17integral_constantIbLb0EESV_IbLb1EEEEDaSR_SS_EUlSR_E0_NS1_11comp_targetILNS1_3genE0ELNS1_11target_archE4294967295ELNS1_3gpuE0ELNS1_3repE0EEENS1_30default_config_static_selectorELNS0_4arch9wavefront6targetE1EEEvT1_
		.amdhsa_group_segment_fixed_size 0
		.amdhsa_private_segment_fixed_size 0
		.amdhsa_kernarg_size 32
		.amdhsa_user_sgpr_count 6
		.amdhsa_user_sgpr_private_segment_buffer 1
		.amdhsa_user_sgpr_dispatch_ptr 0
		.amdhsa_user_sgpr_queue_ptr 0
		.amdhsa_user_sgpr_kernarg_segment_ptr 1
		.amdhsa_user_sgpr_dispatch_id 0
		.amdhsa_user_sgpr_flat_scratch_init 0
		.amdhsa_user_sgpr_kernarg_preload_length 0
		.amdhsa_user_sgpr_kernarg_preload_offset 0
		.amdhsa_user_sgpr_private_segment_size 0
		.amdhsa_uses_dynamic_stack 0
		.amdhsa_system_sgpr_private_segment_wavefront_offset 0
		.amdhsa_system_sgpr_workgroup_id_x 1
		.amdhsa_system_sgpr_workgroup_id_y 0
		.amdhsa_system_sgpr_workgroup_id_z 0
		.amdhsa_system_sgpr_workgroup_info 0
		.amdhsa_system_vgpr_workitem_id 0
		.amdhsa_next_free_vgpr 1
		.amdhsa_next_free_sgpr 0
		.amdhsa_accum_offset 4
		.amdhsa_reserve_vcc 0
		.amdhsa_reserve_flat_scratch 0
		.amdhsa_float_round_mode_32 0
		.amdhsa_float_round_mode_16_64 0
		.amdhsa_float_denorm_mode_32 3
		.amdhsa_float_denorm_mode_16_64 3
		.amdhsa_dx10_clamp 1
		.amdhsa_ieee_mode 1
		.amdhsa_fp16_overflow 0
		.amdhsa_tg_split 0
		.amdhsa_exception_fp_ieee_invalid_op 0
		.amdhsa_exception_fp_denorm_src 0
		.amdhsa_exception_fp_ieee_div_zero 0
		.amdhsa_exception_fp_ieee_overflow 0
		.amdhsa_exception_fp_ieee_underflow 0
		.amdhsa_exception_fp_ieee_inexact 0
		.amdhsa_exception_int_div_zero 0
	.end_amdhsa_kernel
	.section	.text._ZN7rocprim17ROCPRIM_400000_NS6detail17trampoline_kernelINS0_14default_configENS1_20scan_config_selectorIfEEZZNS1_9scan_implILNS1_25lookback_scan_determinismE0ELb1ELb1ES3_N6thrust23THRUST_200600_302600_NS6detail15normal_iteratorINS9_10device_ptrIjEEEENSB_INSC_IfEEEEfNS9_4plusIvEEfEEDaPvRmT3_T4_T5_mT6_P12ihipStream_tbENKUlT_T0_E_clISt17integral_constantIbLb0EESV_IbLb1EEEEDaSR_SS_EUlSR_E0_NS1_11comp_targetILNS1_3genE0ELNS1_11target_archE4294967295ELNS1_3gpuE0ELNS1_3repE0EEENS1_30default_config_static_selectorELNS0_4arch9wavefront6targetE1EEEvT1_,"axG",@progbits,_ZN7rocprim17ROCPRIM_400000_NS6detail17trampoline_kernelINS0_14default_configENS1_20scan_config_selectorIfEEZZNS1_9scan_implILNS1_25lookback_scan_determinismE0ELb1ELb1ES3_N6thrust23THRUST_200600_302600_NS6detail15normal_iteratorINS9_10device_ptrIjEEEENSB_INSC_IfEEEEfNS9_4plusIvEEfEEDaPvRmT3_T4_T5_mT6_P12ihipStream_tbENKUlT_T0_E_clISt17integral_constantIbLb0EESV_IbLb1EEEEDaSR_SS_EUlSR_E0_NS1_11comp_targetILNS1_3genE0ELNS1_11target_archE4294967295ELNS1_3gpuE0ELNS1_3repE0EEENS1_30default_config_static_selectorELNS0_4arch9wavefront6targetE1EEEvT1_,comdat
.Lfunc_end6151:
	.size	_ZN7rocprim17ROCPRIM_400000_NS6detail17trampoline_kernelINS0_14default_configENS1_20scan_config_selectorIfEEZZNS1_9scan_implILNS1_25lookback_scan_determinismE0ELb1ELb1ES3_N6thrust23THRUST_200600_302600_NS6detail15normal_iteratorINS9_10device_ptrIjEEEENSB_INSC_IfEEEEfNS9_4plusIvEEfEEDaPvRmT3_T4_T5_mT6_P12ihipStream_tbENKUlT_T0_E_clISt17integral_constantIbLb0EESV_IbLb1EEEEDaSR_SS_EUlSR_E0_NS1_11comp_targetILNS1_3genE0ELNS1_11target_archE4294967295ELNS1_3gpuE0ELNS1_3repE0EEENS1_30default_config_static_selectorELNS0_4arch9wavefront6targetE1EEEvT1_, .Lfunc_end6151-_ZN7rocprim17ROCPRIM_400000_NS6detail17trampoline_kernelINS0_14default_configENS1_20scan_config_selectorIfEEZZNS1_9scan_implILNS1_25lookback_scan_determinismE0ELb1ELb1ES3_N6thrust23THRUST_200600_302600_NS6detail15normal_iteratorINS9_10device_ptrIjEEEENSB_INSC_IfEEEEfNS9_4plusIvEEfEEDaPvRmT3_T4_T5_mT6_P12ihipStream_tbENKUlT_T0_E_clISt17integral_constantIbLb0EESV_IbLb1EEEEDaSR_SS_EUlSR_E0_NS1_11comp_targetILNS1_3genE0ELNS1_11target_archE4294967295ELNS1_3gpuE0ELNS1_3repE0EEENS1_30default_config_static_selectorELNS0_4arch9wavefront6targetE1EEEvT1_
                                        ; -- End function
	.section	.AMDGPU.csdata,"",@progbits
; Kernel info:
; codeLenInByte = 0
; NumSgprs: 4
; NumVgprs: 0
; NumAgprs: 0
; TotalNumVgprs: 0
; ScratchSize: 0
; MemoryBound: 0
; FloatMode: 240
; IeeeMode: 1
; LDSByteSize: 0 bytes/workgroup (compile time only)
; SGPRBlocks: 0
; VGPRBlocks: 0
; NumSGPRsForWavesPerEU: 4
; NumVGPRsForWavesPerEU: 1
; AccumOffset: 4
; Occupancy: 8
; WaveLimiterHint : 0
; COMPUTE_PGM_RSRC2:SCRATCH_EN: 0
; COMPUTE_PGM_RSRC2:USER_SGPR: 6
; COMPUTE_PGM_RSRC2:TRAP_HANDLER: 0
; COMPUTE_PGM_RSRC2:TGID_X_EN: 1
; COMPUTE_PGM_RSRC2:TGID_Y_EN: 0
; COMPUTE_PGM_RSRC2:TGID_Z_EN: 0
; COMPUTE_PGM_RSRC2:TIDIG_COMP_CNT: 0
; COMPUTE_PGM_RSRC3_GFX90A:ACCUM_OFFSET: 0
; COMPUTE_PGM_RSRC3_GFX90A:TG_SPLIT: 0
	.section	.text._ZN7rocprim17ROCPRIM_400000_NS6detail17trampoline_kernelINS0_14default_configENS1_20scan_config_selectorIfEEZZNS1_9scan_implILNS1_25lookback_scan_determinismE0ELb1ELb1ES3_N6thrust23THRUST_200600_302600_NS6detail15normal_iteratorINS9_10device_ptrIjEEEENSB_INSC_IfEEEEfNS9_4plusIvEEfEEDaPvRmT3_T4_T5_mT6_P12ihipStream_tbENKUlT_T0_E_clISt17integral_constantIbLb0EESV_IbLb1EEEEDaSR_SS_EUlSR_E0_NS1_11comp_targetILNS1_3genE5ELNS1_11target_archE942ELNS1_3gpuE9ELNS1_3repE0EEENS1_30default_config_static_selectorELNS0_4arch9wavefront6targetE1EEEvT1_,"axG",@progbits,_ZN7rocprim17ROCPRIM_400000_NS6detail17trampoline_kernelINS0_14default_configENS1_20scan_config_selectorIfEEZZNS1_9scan_implILNS1_25lookback_scan_determinismE0ELb1ELb1ES3_N6thrust23THRUST_200600_302600_NS6detail15normal_iteratorINS9_10device_ptrIjEEEENSB_INSC_IfEEEEfNS9_4plusIvEEfEEDaPvRmT3_T4_T5_mT6_P12ihipStream_tbENKUlT_T0_E_clISt17integral_constantIbLb0EESV_IbLb1EEEEDaSR_SS_EUlSR_E0_NS1_11comp_targetILNS1_3genE5ELNS1_11target_archE942ELNS1_3gpuE9ELNS1_3repE0EEENS1_30default_config_static_selectorELNS0_4arch9wavefront6targetE1EEEvT1_,comdat
	.protected	_ZN7rocprim17ROCPRIM_400000_NS6detail17trampoline_kernelINS0_14default_configENS1_20scan_config_selectorIfEEZZNS1_9scan_implILNS1_25lookback_scan_determinismE0ELb1ELb1ES3_N6thrust23THRUST_200600_302600_NS6detail15normal_iteratorINS9_10device_ptrIjEEEENSB_INSC_IfEEEEfNS9_4plusIvEEfEEDaPvRmT3_T4_T5_mT6_P12ihipStream_tbENKUlT_T0_E_clISt17integral_constantIbLb0EESV_IbLb1EEEEDaSR_SS_EUlSR_E0_NS1_11comp_targetILNS1_3genE5ELNS1_11target_archE942ELNS1_3gpuE9ELNS1_3repE0EEENS1_30default_config_static_selectorELNS0_4arch9wavefront6targetE1EEEvT1_ ; -- Begin function _ZN7rocprim17ROCPRIM_400000_NS6detail17trampoline_kernelINS0_14default_configENS1_20scan_config_selectorIfEEZZNS1_9scan_implILNS1_25lookback_scan_determinismE0ELb1ELb1ES3_N6thrust23THRUST_200600_302600_NS6detail15normal_iteratorINS9_10device_ptrIjEEEENSB_INSC_IfEEEEfNS9_4plusIvEEfEEDaPvRmT3_T4_T5_mT6_P12ihipStream_tbENKUlT_T0_E_clISt17integral_constantIbLb0EESV_IbLb1EEEEDaSR_SS_EUlSR_E0_NS1_11comp_targetILNS1_3genE5ELNS1_11target_archE942ELNS1_3gpuE9ELNS1_3repE0EEENS1_30default_config_static_selectorELNS0_4arch9wavefront6targetE1EEEvT1_
	.globl	_ZN7rocprim17ROCPRIM_400000_NS6detail17trampoline_kernelINS0_14default_configENS1_20scan_config_selectorIfEEZZNS1_9scan_implILNS1_25lookback_scan_determinismE0ELb1ELb1ES3_N6thrust23THRUST_200600_302600_NS6detail15normal_iteratorINS9_10device_ptrIjEEEENSB_INSC_IfEEEEfNS9_4plusIvEEfEEDaPvRmT3_T4_T5_mT6_P12ihipStream_tbENKUlT_T0_E_clISt17integral_constantIbLb0EESV_IbLb1EEEEDaSR_SS_EUlSR_E0_NS1_11comp_targetILNS1_3genE5ELNS1_11target_archE942ELNS1_3gpuE9ELNS1_3repE0EEENS1_30default_config_static_selectorELNS0_4arch9wavefront6targetE1EEEvT1_
	.p2align	8
	.type	_ZN7rocprim17ROCPRIM_400000_NS6detail17trampoline_kernelINS0_14default_configENS1_20scan_config_selectorIfEEZZNS1_9scan_implILNS1_25lookback_scan_determinismE0ELb1ELb1ES3_N6thrust23THRUST_200600_302600_NS6detail15normal_iteratorINS9_10device_ptrIjEEEENSB_INSC_IfEEEEfNS9_4plusIvEEfEEDaPvRmT3_T4_T5_mT6_P12ihipStream_tbENKUlT_T0_E_clISt17integral_constantIbLb0EESV_IbLb1EEEEDaSR_SS_EUlSR_E0_NS1_11comp_targetILNS1_3genE5ELNS1_11target_archE942ELNS1_3gpuE9ELNS1_3repE0EEENS1_30default_config_static_selectorELNS0_4arch9wavefront6targetE1EEEvT1_,@function
_ZN7rocprim17ROCPRIM_400000_NS6detail17trampoline_kernelINS0_14default_configENS1_20scan_config_selectorIfEEZZNS1_9scan_implILNS1_25lookback_scan_determinismE0ELb1ELb1ES3_N6thrust23THRUST_200600_302600_NS6detail15normal_iteratorINS9_10device_ptrIjEEEENSB_INSC_IfEEEEfNS9_4plusIvEEfEEDaPvRmT3_T4_T5_mT6_P12ihipStream_tbENKUlT_T0_E_clISt17integral_constantIbLb0EESV_IbLb1EEEEDaSR_SS_EUlSR_E0_NS1_11comp_targetILNS1_3genE5ELNS1_11target_archE942ELNS1_3gpuE9ELNS1_3repE0EEENS1_30default_config_static_selectorELNS0_4arch9wavefront6targetE1EEEvT1_: ; @_ZN7rocprim17ROCPRIM_400000_NS6detail17trampoline_kernelINS0_14default_configENS1_20scan_config_selectorIfEEZZNS1_9scan_implILNS1_25lookback_scan_determinismE0ELb1ELb1ES3_N6thrust23THRUST_200600_302600_NS6detail15normal_iteratorINS9_10device_ptrIjEEEENSB_INSC_IfEEEEfNS9_4plusIvEEfEEDaPvRmT3_T4_T5_mT6_P12ihipStream_tbENKUlT_T0_E_clISt17integral_constantIbLb0EESV_IbLb1EEEEDaSR_SS_EUlSR_E0_NS1_11comp_targetILNS1_3genE5ELNS1_11target_archE942ELNS1_3gpuE9ELNS1_3repE0EEENS1_30default_config_static_selectorELNS0_4arch9wavefront6targetE1EEEvT1_
; %bb.0:
	.section	.rodata,"a",@progbits
	.p2align	6, 0x0
	.amdhsa_kernel _ZN7rocprim17ROCPRIM_400000_NS6detail17trampoline_kernelINS0_14default_configENS1_20scan_config_selectorIfEEZZNS1_9scan_implILNS1_25lookback_scan_determinismE0ELb1ELb1ES3_N6thrust23THRUST_200600_302600_NS6detail15normal_iteratorINS9_10device_ptrIjEEEENSB_INSC_IfEEEEfNS9_4plusIvEEfEEDaPvRmT3_T4_T5_mT6_P12ihipStream_tbENKUlT_T0_E_clISt17integral_constantIbLb0EESV_IbLb1EEEEDaSR_SS_EUlSR_E0_NS1_11comp_targetILNS1_3genE5ELNS1_11target_archE942ELNS1_3gpuE9ELNS1_3repE0EEENS1_30default_config_static_selectorELNS0_4arch9wavefront6targetE1EEEvT1_
		.amdhsa_group_segment_fixed_size 0
		.amdhsa_private_segment_fixed_size 0
		.amdhsa_kernarg_size 32
		.amdhsa_user_sgpr_count 6
		.amdhsa_user_sgpr_private_segment_buffer 1
		.amdhsa_user_sgpr_dispatch_ptr 0
		.amdhsa_user_sgpr_queue_ptr 0
		.amdhsa_user_sgpr_kernarg_segment_ptr 1
		.amdhsa_user_sgpr_dispatch_id 0
		.amdhsa_user_sgpr_flat_scratch_init 0
		.amdhsa_user_sgpr_kernarg_preload_length 0
		.amdhsa_user_sgpr_kernarg_preload_offset 0
		.amdhsa_user_sgpr_private_segment_size 0
		.amdhsa_uses_dynamic_stack 0
		.amdhsa_system_sgpr_private_segment_wavefront_offset 0
		.amdhsa_system_sgpr_workgroup_id_x 1
		.amdhsa_system_sgpr_workgroup_id_y 0
		.amdhsa_system_sgpr_workgroup_id_z 0
		.amdhsa_system_sgpr_workgroup_info 0
		.amdhsa_system_vgpr_workitem_id 0
		.amdhsa_next_free_vgpr 1
		.amdhsa_next_free_sgpr 0
		.amdhsa_accum_offset 4
		.amdhsa_reserve_vcc 0
		.amdhsa_reserve_flat_scratch 0
		.amdhsa_float_round_mode_32 0
		.amdhsa_float_round_mode_16_64 0
		.amdhsa_float_denorm_mode_32 3
		.amdhsa_float_denorm_mode_16_64 3
		.amdhsa_dx10_clamp 1
		.amdhsa_ieee_mode 1
		.amdhsa_fp16_overflow 0
		.amdhsa_tg_split 0
		.amdhsa_exception_fp_ieee_invalid_op 0
		.amdhsa_exception_fp_denorm_src 0
		.amdhsa_exception_fp_ieee_div_zero 0
		.amdhsa_exception_fp_ieee_overflow 0
		.amdhsa_exception_fp_ieee_underflow 0
		.amdhsa_exception_fp_ieee_inexact 0
		.amdhsa_exception_int_div_zero 0
	.end_amdhsa_kernel
	.section	.text._ZN7rocprim17ROCPRIM_400000_NS6detail17trampoline_kernelINS0_14default_configENS1_20scan_config_selectorIfEEZZNS1_9scan_implILNS1_25lookback_scan_determinismE0ELb1ELb1ES3_N6thrust23THRUST_200600_302600_NS6detail15normal_iteratorINS9_10device_ptrIjEEEENSB_INSC_IfEEEEfNS9_4plusIvEEfEEDaPvRmT3_T4_T5_mT6_P12ihipStream_tbENKUlT_T0_E_clISt17integral_constantIbLb0EESV_IbLb1EEEEDaSR_SS_EUlSR_E0_NS1_11comp_targetILNS1_3genE5ELNS1_11target_archE942ELNS1_3gpuE9ELNS1_3repE0EEENS1_30default_config_static_selectorELNS0_4arch9wavefront6targetE1EEEvT1_,"axG",@progbits,_ZN7rocprim17ROCPRIM_400000_NS6detail17trampoline_kernelINS0_14default_configENS1_20scan_config_selectorIfEEZZNS1_9scan_implILNS1_25lookback_scan_determinismE0ELb1ELb1ES3_N6thrust23THRUST_200600_302600_NS6detail15normal_iteratorINS9_10device_ptrIjEEEENSB_INSC_IfEEEEfNS9_4plusIvEEfEEDaPvRmT3_T4_T5_mT6_P12ihipStream_tbENKUlT_T0_E_clISt17integral_constantIbLb0EESV_IbLb1EEEEDaSR_SS_EUlSR_E0_NS1_11comp_targetILNS1_3genE5ELNS1_11target_archE942ELNS1_3gpuE9ELNS1_3repE0EEENS1_30default_config_static_selectorELNS0_4arch9wavefront6targetE1EEEvT1_,comdat
.Lfunc_end6152:
	.size	_ZN7rocprim17ROCPRIM_400000_NS6detail17trampoline_kernelINS0_14default_configENS1_20scan_config_selectorIfEEZZNS1_9scan_implILNS1_25lookback_scan_determinismE0ELb1ELb1ES3_N6thrust23THRUST_200600_302600_NS6detail15normal_iteratorINS9_10device_ptrIjEEEENSB_INSC_IfEEEEfNS9_4plusIvEEfEEDaPvRmT3_T4_T5_mT6_P12ihipStream_tbENKUlT_T0_E_clISt17integral_constantIbLb0EESV_IbLb1EEEEDaSR_SS_EUlSR_E0_NS1_11comp_targetILNS1_3genE5ELNS1_11target_archE942ELNS1_3gpuE9ELNS1_3repE0EEENS1_30default_config_static_selectorELNS0_4arch9wavefront6targetE1EEEvT1_, .Lfunc_end6152-_ZN7rocprim17ROCPRIM_400000_NS6detail17trampoline_kernelINS0_14default_configENS1_20scan_config_selectorIfEEZZNS1_9scan_implILNS1_25lookback_scan_determinismE0ELb1ELb1ES3_N6thrust23THRUST_200600_302600_NS6detail15normal_iteratorINS9_10device_ptrIjEEEENSB_INSC_IfEEEEfNS9_4plusIvEEfEEDaPvRmT3_T4_T5_mT6_P12ihipStream_tbENKUlT_T0_E_clISt17integral_constantIbLb0EESV_IbLb1EEEEDaSR_SS_EUlSR_E0_NS1_11comp_targetILNS1_3genE5ELNS1_11target_archE942ELNS1_3gpuE9ELNS1_3repE0EEENS1_30default_config_static_selectorELNS0_4arch9wavefront6targetE1EEEvT1_
                                        ; -- End function
	.section	.AMDGPU.csdata,"",@progbits
; Kernel info:
; codeLenInByte = 0
; NumSgprs: 4
; NumVgprs: 0
; NumAgprs: 0
; TotalNumVgprs: 0
; ScratchSize: 0
; MemoryBound: 0
; FloatMode: 240
; IeeeMode: 1
; LDSByteSize: 0 bytes/workgroup (compile time only)
; SGPRBlocks: 0
; VGPRBlocks: 0
; NumSGPRsForWavesPerEU: 4
; NumVGPRsForWavesPerEU: 1
; AccumOffset: 4
; Occupancy: 8
; WaveLimiterHint : 0
; COMPUTE_PGM_RSRC2:SCRATCH_EN: 0
; COMPUTE_PGM_RSRC2:USER_SGPR: 6
; COMPUTE_PGM_RSRC2:TRAP_HANDLER: 0
; COMPUTE_PGM_RSRC2:TGID_X_EN: 1
; COMPUTE_PGM_RSRC2:TGID_Y_EN: 0
; COMPUTE_PGM_RSRC2:TGID_Z_EN: 0
; COMPUTE_PGM_RSRC2:TIDIG_COMP_CNT: 0
; COMPUTE_PGM_RSRC3_GFX90A:ACCUM_OFFSET: 0
; COMPUTE_PGM_RSRC3_GFX90A:TG_SPLIT: 0
	.section	.text._ZN7rocprim17ROCPRIM_400000_NS6detail17trampoline_kernelINS0_14default_configENS1_20scan_config_selectorIfEEZZNS1_9scan_implILNS1_25lookback_scan_determinismE0ELb1ELb1ES3_N6thrust23THRUST_200600_302600_NS6detail15normal_iteratorINS9_10device_ptrIjEEEENSB_INSC_IfEEEEfNS9_4plusIvEEfEEDaPvRmT3_T4_T5_mT6_P12ihipStream_tbENKUlT_T0_E_clISt17integral_constantIbLb0EESV_IbLb1EEEEDaSR_SS_EUlSR_E0_NS1_11comp_targetILNS1_3genE4ELNS1_11target_archE910ELNS1_3gpuE8ELNS1_3repE0EEENS1_30default_config_static_selectorELNS0_4arch9wavefront6targetE1EEEvT1_,"axG",@progbits,_ZN7rocprim17ROCPRIM_400000_NS6detail17trampoline_kernelINS0_14default_configENS1_20scan_config_selectorIfEEZZNS1_9scan_implILNS1_25lookback_scan_determinismE0ELb1ELb1ES3_N6thrust23THRUST_200600_302600_NS6detail15normal_iteratorINS9_10device_ptrIjEEEENSB_INSC_IfEEEEfNS9_4plusIvEEfEEDaPvRmT3_T4_T5_mT6_P12ihipStream_tbENKUlT_T0_E_clISt17integral_constantIbLb0EESV_IbLb1EEEEDaSR_SS_EUlSR_E0_NS1_11comp_targetILNS1_3genE4ELNS1_11target_archE910ELNS1_3gpuE8ELNS1_3repE0EEENS1_30default_config_static_selectorELNS0_4arch9wavefront6targetE1EEEvT1_,comdat
	.protected	_ZN7rocprim17ROCPRIM_400000_NS6detail17trampoline_kernelINS0_14default_configENS1_20scan_config_selectorIfEEZZNS1_9scan_implILNS1_25lookback_scan_determinismE0ELb1ELb1ES3_N6thrust23THRUST_200600_302600_NS6detail15normal_iteratorINS9_10device_ptrIjEEEENSB_INSC_IfEEEEfNS9_4plusIvEEfEEDaPvRmT3_T4_T5_mT6_P12ihipStream_tbENKUlT_T0_E_clISt17integral_constantIbLb0EESV_IbLb1EEEEDaSR_SS_EUlSR_E0_NS1_11comp_targetILNS1_3genE4ELNS1_11target_archE910ELNS1_3gpuE8ELNS1_3repE0EEENS1_30default_config_static_selectorELNS0_4arch9wavefront6targetE1EEEvT1_ ; -- Begin function _ZN7rocprim17ROCPRIM_400000_NS6detail17trampoline_kernelINS0_14default_configENS1_20scan_config_selectorIfEEZZNS1_9scan_implILNS1_25lookback_scan_determinismE0ELb1ELb1ES3_N6thrust23THRUST_200600_302600_NS6detail15normal_iteratorINS9_10device_ptrIjEEEENSB_INSC_IfEEEEfNS9_4plusIvEEfEEDaPvRmT3_T4_T5_mT6_P12ihipStream_tbENKUlT_T0_E_clISt17integral_constantIbLb0EESV_IbLb1EEEEDaSR_SS_EUlSR_E0_NS1_11comp_targetILNS1_3genE4ELNS1_11target_archE910ELNS1_3gpuE8ELNS1_3repE0EEENS1_30default_config_static_selectorELNS0_4arch9wavefront6targetE1EEEvT1_
	.globl	_ZN7rocprim17ROCPRIM_400000_NS6detail17trampoline_kernelINS0_14default_configENS1_20scan_config_selectorIfEEZZNS1_9scan_implILNS1_25lookback_scan_determinismE0ELb1ELb1ES3_N6thrust23THRUST_200600_302600_NS6detail15normal_iteratorINS9_10device_ptrIjEEEENSB_INSC_IfEEEEfNS9_4plusIvEEfEEDaPvRmT3_T4_T5_mT6_P12ihipStream_tbENKUlT_T0_E_clISt17integral_constantIbLb0EESV_IbLb1EEEEDaSR_SS_EUlSR_E0_NS1_11comp_targetILNS1_3genE4ELNS1_11target_archE910ELNS1_3gpuE8ELNS1_3repE0EEENS1_30default_config_static_selectorELNS0_4arch9wavefront6targetE1EEEvT1_
	.p2align	8
	.type	_ZN7rocprim17ROCPRIM_400000_NS6detail17trampoline_kernelINS0_14default_configENS1_20scan_config_selectorIfEEZZNS1_9scan_implILNS1_25lookback_scan_determinismE0ELb1ELb1ES3_N6thrust23THRUST_200600_302600_NS6detail15normal_iteratorINS9_10device_ptrIjEEEENSB_INSC_IfEEEEfNS9_4plusIvEEfEEDaPvRmT3_T4_T5_mT6_P12ihipStream_tbENKUlT_T0_E_clISt17integral_constantIbLb0EESV_IbLb1EEEEDaSR_SS_EUlSR_E0_NS1_11comp_targetILNS1_3genE4ELNS1_11target_archE910ELNS1_3gpuE8ELNS1_3repE0EEENS1_30default_config_static_selectorELNS0_4arch9wavefront6targetE1EEEvT1_,@function
_ZN7rocprim17ROCPRIM_400000_NS6detail17trampoline_kernelINS0_14default_configENS1_20scan_config_selectorIfEEZZNS1_9scan_implILNS1_25lookback_scan_determinismE0ELb1ELb1ES3_N6thrust23THRUST_200600_302600_NS6detail15normal_iteratorINS9_10device_ptrIjEEEENSB_INSC_IfEEEEfNS9_4plusIvEEfEEDaPvRmT3_T4_T5_mT6_P12ihipStream_tbENKUlT_T0_E_clISt17integral_constantIbLb0EESV_IbLb1EEEEDaSR_SS_EUlSR_E0_NS1_11comp_targetILNS1_3genE4ELNS1_11target_archE910ELNS1_3gpuE8ELNS1_3repE0EEENS1_30default_config_static_selectorELNS0_4arch9wavefront6targetE1EEEvT1_: ; @_ZN7rocprim17ROCPRIM_400000_NS6detail17trampoline_kernelINS0_14default_configENS1_20scan_config_selectorIfEEZZNS1_9scan_implILNS1_25lookback_scan_determinismE0ELb1ELb1ES3_N6thrust23THRUST_200600_302600_NS6detail15normal_iteratorINS9_10device_ptrIjEEEENSB_INSC_IfEEEEfNS9_4plusIvEEfEEDaPvRmT3_T4_T5_mT6_P12ihipStream_tbENKUlT_T0_E_clISt17integral_constantIbLb0EESV_IbLb1EEEEDaSR_SS_EUlSR_E0_NS1_11comp_targetILNS1_3genE4ELNS1_11target_archE910ELNS1_3gpuE8ELNS1_3repE0EEENS1_30default_config_static_selectorELNS0_4arch9wavefront6targetE1EEEvT1_
; %bb.0:
	s_load_dwordx4 s[28:31], s[4:5], 0x0
	v_lshlrev_b32_e32 v18, 2, v0
	s_waitcnt lgkmcnt(0)
	s_load_dword s0, s[28:29], 0x0
	v_cmp_gt_u32_e32 vcc, s30, v0
	s_waitcnt lgkmcnt(0)
	v_cvt_f32_u32_e32 v1, s0
	v_mov_b32_e32 v2, v1
	s_and_saveexec_b64 s[0:1], vcc
	s_cbranch_execz .LBB6153_2
; %bb.1:
	global_load_dword v2, v18, s[28:29]
	s_waitcnt vmcnt(0)
	v_cvt_f32_u32_e32 v2, v2
.LBB6153_2:
	s_or_b64 exec, exec, s[0:1]
	v_or_b32_e32 v3, 0x80, v0
	v_cmp_gt_u32_e64 s[0:1], s30, v3
	v_mov_b32_e32 v3, v1
	s_and_saveexec_b64 s[2:3], s[0:1]
	s_cbranch_execz .LBB6153_4
; %bb.3:
	global_load_dword v3, v18, s[28:29] offset:512
	s_waitcnt vmcnt(0)
	v_cvt_f32_u32_e32 v3, v3
.LBB6153_4:
	s_or_b64 exec, exec, s[2:3]
	v_or_b32_e32 v4, 0x100, v0
	v_cmp_gt_u32_e64 s[2:3], s30, v4
	v_mov_b32_e32 v4, v1
	s_and_saveexec_b64 s[6:7], s[2:3]
	s_cbranch_execz .LBB6153_6
; %bb.5:
	global_load_dword v4, v18, s[28:29] offset:1024
	s_waitcnt vmcnt(0)
	v_cvt_f32_u32_e32 v4, v4
.LBB6153_6:
	;; [unrolled: 11-line block ×7, first 2 shown]
	s_or_b64 exec, exec, s[14:15]
	v_or_b32_e32 v11, 0x400, v0
	v_cmp_gt_u32_e64 s[14:15], s30, v11
	v_mov_b32_e32 v10, v1
	s_and_saveexec_b64 s[16:17], s[14:15]
	s_cbranch_execz .LBB6153_18
; %bb.17:
	v_lshlrev_b32_e32 v10, 2, v11
	global_load_dword v10, v10, s[28:29]
	s_waitcnt vmcnt(0)
	v_cvt_f32_u32_e32 v10, v10
.LBB6153_18:
	s_or_b64 exec, exec, s[16:17]
	v_or_b32_e32 v12, 0x480, v0
	v_cmp_gt_u32_e64 s[16:17], s30, v12
	v_mov_b32_e32 v11, v1
	s_and_saveexec_b64 s[18:19], s[16:17]
	s_cbranch_execz .LBB6153_20
; %bb.19:
	v_lshlrev_b32_e32 v11, 2, v12
	global_load_dword v11, v11, s[28:29]
	s_waitcnt vmcnt(0)
	v_cvt_f32_u32_e32 v11, v11
.LBB6153_20:
	;; [unrolled: 12-line block ×5, first 2 shown]
	s_or_b64 exec, exec, s[24:25]
	s_load_dword s33, s[4:5], 0x10
	v_or_b32_e32 v15, 0x680, v0
	v_cmp_gt_u32_e64 s[24:25], s30, v15
	s_and_saveexec_b64 s[30:31], s[24:25]
	s_cbranch_execz .LBB6153_28
; %bb.27:
	v_lshlrev_b32_e32 v1, 2, v15
	global_load_dword v1, v1, s[28:29]
	s_waitcnt vmcnt(0)
	v_cvt_f32_u32_e32 v1, v1
.LBB6153_28:
	s_or_b64 exec, exec, s[30:31]
	ds_write2st64_b32 v18, v2, v3 offset1:2
	ds_write2st64_b32 v18, v4, v5 offset0:4 offset1:6
	ds_write2st64_b32 v18, v6, v7 offset0:8 offset1:10
	;; [unrolled: 1-line block ×6, first 2 shown]
	v_mad_u32_u24 v1, v0, 52, v18
	s_waitcnt lgkmcnt(0)
	s_barrier
	ds_read2_b64 v[10:13], v1 offset1:1
	ds_read2_b64 v[6:9], v1 offset0:2 offset1:3
	ds_read2_b64 v[2:5], v1 offset0:4 offset1:5
	ds_read_b64 v[14:15], v1 offset:48
	s_load_dwordx2 s[34:35], s[4:5], 0x18
	s_waitcnt lgkmcnt(0)
	v_add_f32_e32 v16, v10, v11
	v_add_f32_e32 v16, v16, v12
	;; [unrolled: 1-line block ×13, first 2 shown]
	v_lshrrev_b32_e32 v16, 3, v0
	v_and_b32_e32 v16, 12, v16
	v_add_u32_e32 v16, v18, v16
	v_cmp_gt_u32_e64 s[4:5], 64, v0
	s_barrier
	ds_write_b32 v16, v15
	s_waitcnt lgkmcnt(0)
	s_barrier
	s_and_saveexec_b64 s[36:37], s[4:5]
	s_cbranch_execz .LBB6153_30
; %bb.29:
	v_lshlrev_b32_e32 v16, 1, v0
	v_lshrrev_b32_e32 v17, 4, v0
	v_add_lshl_u32 v19, v17, v16, 2
	ds_read2_b32 v[16:17], v19 offset1:1
	v_mbcnt_lo_u32_b32 v20, -1, 0
	v_mbcnt_hi_u32_b32 v20, -1, v20
	v_and_b32_e32 v21, 15, v20
	v_cmp_eq_u32_e64 s[4:5], 0, v21
	s_waitcnt lgkmcnt(0)
	v_add_f32_e32 v17, v16, v17
	v_cmp_lt_u32_e64 s[28:29], 3, v21
	v_cmp_lt_u32_e64 s[30:31], 31, v20
	v_mov_b32_dpp v22, v17 row_shr:1 row_mask:0xf bank_mask:0xf
	v_add_f32_e32 v22, v17, v22
	v_cndmask_b32_e64 v17, v22, v17, s[4:5]
	v_cmp_lt_u32_e64 s[4:5], 1, v21
	s_nop 0
	v_mov_b32_dpp v22, v17 row_shr:2 row_mask:0xf bank_mask:0xf
	v_add_f32_e32 v22, v17, v22
	v_cndmask_b32_e64 v22, v17, v22, s[4:5]
	; wave barrier
	s_nop 1
	v_mov_b32_dpp v23, v22 row_shr:4 row_mask:0xf bank_mask:0xf
	v_add_f32_e32 v23, v22, v23
	v_cndmask_b32_e64 v22, v22, v23, s[28:29]
	v_cmp_lt_u32_e64 s[28:29], 7, v21
	s_nop 0
	v_mov_b32_dpp v23, v22 row_shr:8 row_mask:0xf bank_mask:0xf
	v_add_f32_e32 v23, v22, v23
	v_cndmask_b32_e64 v21, v22, v23, s[28:29]
	v_and_b32_e32 v23, 16, v20
	v_cmp_eq_u32_e64 s[28:29], 0, v23
	v_mov_b32_dpp v22, v21 row_bcast:15 row_mask:0xf bank_mask:0xf
	v_add_f32_e32 v22, v21, v22
	v_cndmask_b32_e64 v21, v22, v21, s[28:29]
	v_cmp_lt_u32_e64 s[28:29], 15, v20
	s_or_b64 s[4:5], s[28:29], s[4:5]
	v_mov_b32_dpp v22, v21 row_bcast:31 row_mask:0xf bank_mask:0xf
	v_add_f32_e32 v22, v21, v22
	v_cndmask_b32_e64 v21, v21, v22, s[30:31]
	v_cndmask_b32_e64 v17, v17, v21, s[4:5]
	v_add_u32_e32 v21, -1, v20
	v_and_b32_e32 v22, 64, v20
	v_cmp_lt_i32_e64 s[4:5], v21, v22
	v_cndmask_b32_e64 v20, v21, v20, s[4:5]
	v_lshlrev_b32_e32 v20, 2, v20
	ds_bpermute_b32 v17, v20, v17
	v_cmp_eq_u32_e64 s[4:5], 0, v0
	s_waitcnt lgkmcnt(0)
	v_add_f32_e32 v16, v16, v17
	v_cndmask_b32_e64 v15, v16, v15, s[4:5]
	ds_write_b32 v19, v15
	; wave barrier
	ds_read_b32 v16, v19 offset:4
	s_waitcnt lgkmcnt(0)
	v_add_f32_e32 v15, v15, v16
	ds_write_b32 v19, v15 offset:4
.LBB6153_30:
	s_or_b64 exec, exec, s[36:37]
	v_cmp_ne_u32_e64 s[4:5], 0, v0
	v_mov_b32_e32 v16, s33
	s_waitcnt lgkmcnt(0)
	s_barrier
	s_and_saveexec_b64 s[28:29], s[4:5]
	s_cbranch_execz .LBB6153_32
; %bb.31:
	v_add_u32_e32 v15, -1, v0
	v_lshrrev_b32_e32 v16, 5, v15
	v_add_lshl_u32 v15, v16, v15, 2
	ds_read_b32 v15, v15
	s_waitcnt lgkmcnt(0)
	v_add_f32_e32 v16, s33, v15
.LBB6153_32:
	s_or_b64 exec, exec, s[28:29]
	v_add_f32_e32 v17, v10, v16
	v_add_f32_e32 v10, v11, v17
	;; [unrolled: 1-line block ×12, first 2 shown]
	s_movk_i32 s4, 0xffcc
	v_add_f32_e32 v5, v14, v4
	v_mad_i32_i24 v0, v0, s4, v1
	s_barrier
	ds_write2_b64 v1, v[16:17], v[10:11] offset1:1
	ds_write2_b64 v1, v[12:13], v[6:7] offset0:2 offset1:3
	ds_write2_b64 v1, v[8:9], v[2:3] offset0:4 offset1:5
	ds_write_b64 v1, v[4:5] offset:48
	s_waitcnt lgkmcnt(0)
	s_barrier
	ds_read2st64_b32 v[12:13], v0 offset0:2 offset1:4
	ds_read2st64_b32 v[10:11], v0 offset0:6 offset1:8
	ds_read2st64_b32 v[8:9], v0 offset0:10 offset1:12
	ds_read2st64_b32 v[6:7], v0 offset0:14 offset1:18
	ds_read_b32 v14, v18 offset:4096
	ds_read2st64_b32 v[4:5], v0 offset0:20 offset1:22
	ds_read2st64_b32 v[0:1], v0 offset0:24 offset1:26
	v_mov_b32_e32 v3, s35
	v_add_co_u32_e64 v2, s[4:5], s34, v18
	v_addc_co_u32_e64 v3, s[4:5], 0, v3, s[4:5]
	s_and_saveexec_b64 s[4:5], vcc
	s_cbranch_execnz .LBB6153_47
; %bb.33:
	s_or_b64 exec, exec, s[4:5]
	s_and_saveexec_b64 s[4:5], s[0:1]
	s_cbranch_execnz .LBB6153_48
.LBB6153_34:
	s_or_b64 exec, exec, s[4:5]
	s_and_saveexec_b64 s[0:1], s[2:3]
	s_cbranch_execnz .LBB6153_49
.LBB6153_35:
	s_or_b64 exec, exec, s[0:1]
	s_and_saveexec_b64 s[0:1], s[26:27]
	s_cbranch_execnz .LBB6153_50
.LBB6153_36:
	s_or_b64 exec, exec, s[0:1]
	s_and_saveexec_b64 s[0:1], s[6:7]
	s_cbranch_execnz .LBB6153_51
.LBB6153_37:
	s_or_b64 exec, exec, s[0:1]
	s_and_saveexec_b64 s[0:1], s[8:9]
	s_cbranch_execnz .LBB6153_52
.LBB6153_38:
	s_or_b64 exec, exec, s[0:1]
	s_and_saveexec_b64 s[0:1], s[10:11]
	s_cbranch_execnz .LBB6153_53
.LBB6153_39:
	s_or_b64 exec, exec, s[0:1]
	s_and_saveexec_b64 s[0:1], s[12:13]
	s_cbranch_execnz .LBB6153_54
.LBB6153_40:
	s_or_b64 exec, exec, s[0:1]
	s_and_saveexec_b64 s[0:1], s[14:15]
	s_cbranch_execnz .LBB6153_55
.LBB6153_41:
	s_or_b64 exec, exec, s[0:1]
	s_and_saveexec_b64 s[0:1], s[16:17]
	s_cbranch_execnz .LBB6153_56
.LBB6153_42:
	s_or_b64 exec, exec, s[0:1]
	s_and_saveexec_b64 s[0:1], s[18:19]
	s_cbranch_execnz .LBB6153_57
.LBB6153_43:
	s_or_b64 exec, exec, s[0:1]
	s_and_saveexec_b64 s[0:1], s[20:21]
	s_cbranch_execnz .LBB6153_58
.LBB6153_44:
	s_or_b64 exec, exec, s[0:1]
	s_and_saveexec_b64 s[0:1], s[22:23]
	s_cbranch_execnz .LBB6153_59
.LBB6153_45:
	s_or_b64 exec, exec, s[0:1]
	s_and_saveexec_b64 s[0:1], s[24:25]
	s_cbranch_execnz .LBB6153_60
.LBB6153_46:
	s_endpgm
.LBB6153_47:
	ds_read_b32 v15, v18
	s_waitcnt lgkmcnt(0)
	global_store_dword v[2:3], v15, off
	s_or_b64 exec, exec, s[4:5]
	s_and_saveexec_b64 s[4:5], s[0:1]
	s_cbranch_execz .LBB6153_34
.LBB6153_48:
	s_waitcnt lgkmcnt(6)
	global_store_dword v[2:3], v12, off offset:512
	s_or_b64 exec, exec, s[4:5]
	s_and_saveexec_b64 s[0:1], s[2:3]
	s_cbranch_execz .LBB6153_35
.LBB6153_49:
	s_waitcnt lgkmcnt(6)
	global_store_dword v[2:3], v13, off offset:1024
	s_or_b64 exec, exec, s[0:1]
	s_and_saveexec_b64 s[0:1], s[26:27]
	s_cbranch_execz .LBB6153_36
.LBB6153_50:
	s_waitcnt lgkmcnt(5)
	global_store_dword v[2:3], v10, off offset:1536
	s_or_b64 exec, exec, s[0:1]
	s_and_saveexec_b64 s[0:1], s[6:7]
	s_cbranch_execz .LBB6153_37
.LBB6153_51:
	s_waitcnt lgkmcnt(5)
	global_store_dword v[2:3], v11, off offset:2048
	s_or_b64 exec, exec, s[0:1]
	s_and_saveexec_b64 s[0:1], s[8:9]
	s_cbranch_execz .LBB6153_38
.LBB6153_52:
	s_waitcnt lgkmcnt(4)
	global_store_dword v[2:3], v8, off offset:2560
	s_or_b64 exec, exec, s[0:1]
	s_and_saveexec_b64 s[0:1], s[10:11]
	s_cbranch_execz .LBB6153_39
.LBB6153_53:
	s_waitcnt lgkmcnt(4)
	global_store_dword v[2:3], v9, off offset:3072
	s_or_b64 exec, exec, s[0:1]
	s_and_saveexec_b64 s[0:1], s[12:13]
	s_cbranch_execz .LBB6153_40
.LBB6153_54:
	s_waitcnt lgkmcnt(3)
	global_store_dword v[2:3], v6, off offset:3584
	s_or_b64 exec, exec, s[0:1]
	s_and_saveexec_b64 s[0:1], s[14:15]
	s_cbranch_execz .LBB6153_41
.LBB6153_55:
	s_waitcnt lgkmcnt(4)
	v_add_co_u32_e32 v8, vcc, 0x1000, v2
	v_addc_co_u32_e32 v9, vcc, 0, v3, vcc
	s_waitcnt lgkmcnt(2)
	global_store_dword v[8:9], v14, off
	s_or_b64 exec, exec, s[0:1]
	s_and_saveexec_b64 s[0:1], s[16:17]
	s_cbranch_execz .LBB6153_42
.LBB6153_56:
	s_waitcnt lgkmcnt(4)
	v_add_co_u32_e32 v8, vcc, 0x1000, v2
	v_addc_co_u32_e32 v9, vcc, 0, v3, vcc
	s_waitcnt lgkmcnt(3)
	global_store_dword v[8:9], v7, off offset:512
	s_or_b64 exec, exec, s[0:1]
	s_and_saveexec_b64 s[0:1], s[18:19]
	s_cbranch_execz .LBB6153_43
.LBB6153_57:
	s_waitcnt lgkmcnt(3)
	v_add_co_u32_e32 v6, vcc, 0x1000, v2
	v_addc_co_u32_e32 v7, vcc, 0, v3, vcc
	s_waitcnt lgkmcnt(1)
	global_store_dword v[6:7], v4, off offset:1024
	s_or_b64 exec, exec, s[0:1]
	s_and_saveexec_b64 s[0:1], s[20:21]
	s_cbranch_execz .LBB6153_44
.LBB6153_58:
	s_waitcnt lgkmcnt(3)
	v_add_co_u32_e32 v6, vcc, 0x1000, v2
	v_addc_co_u32_e32 v7, vcc, 0, v3, vcc
	s_waitcnt lgkmcnt(1)
	global_store_dword v[6:7], v5, off offset:1536
	s_or_b64 exec, exec, s[0:1]
	s_and_saveexec_b64 s[0:1], s[22:23]
	s_cbranch_execz .LBB6153_45
.LBB6153_59:
	s_waitcnt lgkmcnt(1)
	v_add_co_u32_e32 v4, vcc, 0x1000, v2
	v_addc_co_u32_e32 v5, vcc, 0, v3, vcc
	s_waitcnt lgkmcnt(0)
	global_store_dword v[4:5], v0, off offset:2048
	s_or_b64 exec, exec, s[0:1]
	s_and_saveexec_b64 s[0:1], s[24:25]
	s_cbranch_execz .LBB6153_46
.LBB6153_60:
	v_add_co_u32_e32 v2, vcc, 0x1000, v2
	v_addc_co_u32_e32 v3, vcc, 0, v3, vcc
	s_waitcnt lgkmcnt(0)
	global_store_dword v[2:3], v1, off offset:2560
	s_endpgm
	.section	.rodata,"a",@progbits
	.p2align	6, 0x0
	.amdhsa_kernel _ZN7rocprim17ROCPRIM_400000_NS6detail17trampoline_kernelINS0_14default_configENS1_20scan_config_selectorIfEEZZNS1_9scan_implILNS1_25lookback_scan_determinismE0ELb1ELb1ES3_N6thrust23THRUST_200600_302600_NS6detail15normal_iteratorINS9_10device_ptrIjEEEENSB_INSC_IfEEEEfNS9_4plusIvEEfEEDaPvRmT3_T4_T5_mT6_P12ihipStream_tbENKUlT_T0_E_clISt17integral_constantIbLb0EESV_IbLb1EEEEDaSR_SS_EUlSR_E0_NS1_11comp_targetILNS1_3genE4ELNS1_11target_archE910ELNS1_3gpuE8ELNS1_3repE0EEENS1_30default_config_static_selectorELNS0_4arch9wavefront6targetE1EEEvT1_
		.amdhsa_group_segment_fixed_size 7168
		.amdhsa_private_segment_fixed_size 0
		.amdhsa_kernarg_size 32
		.amdhsa_user_sgpr_count 6
		.amdhsa_user_sgpr_private_segment_buffer 1
		.amdhsa_user_sgpr_dispatch_ptr 0
		.amdhsa_user_sgpr_queue_ptr 0
		.amdhsa_user_sgpr_kernarg_segment_ptr 1
		.amdhsa_user_sgpr_dispatch_id 0
		.amdhsa_user_sgpr_flat_scratch_init 0
		.amdhsa_user_sgpr_kernarg_preload_length 0
		.amdhsa_user_sgpr_kernarg_preload_offset 0
		.amdhsa_user_sgpr_private_segment_size 0
		.amdhsa_uses_dynamic_stack 0
		.amdhsa_system_sgpr_private_segment_wavefront_offset 0
		.amdhsa_system_sgpr_workgroup_id_x 1
		.amdhsa_system_sgpr_workgroup_id_y 0
		.amdhsa_system_sgpr_workgroup_id_z 0
		.amdhsa_system_sgpr_workgroup_info 0
		.amdhsa_system_vgpr_workitem_id 0
		.amdhsa_next_free_vgpr 24
		.amdhsa_next_free_sgpr 38
		.amdhsa_accum_offset 24
		.amdhsa_reserve_vcc 1
		.amdhsa_reserve_flat_scratch 0
		.amdhsa_float_round_mode_32 0
		.amdhsa_float_round_mode_16_64 0
		.amdhsa_float_denorm_mode_32 3
		.amdhsa_float_denorm_mode_16_64 3
		.amdhsa_dx10_clamp 1
		.amdhsa_ieee_mode 1
		.amdhsa_fp16_overflow 0
		.amdhsa_tg_split 0
		.amdhsa_exception_fp_ieee_invalid_op 0
		.amdhsa_exception_fp_denorm_src 0
		.amdhsa_exception_fp_ieee_div_zero 0
		.amdhsa_exception_fp_ieee_overflow 0
		.amdhsa_exception_fp_ieee_underflow 0
		.amdhsa_exception_fp_ieee_inexact 0
		.amdhsa_exception_int_div_zero 0
	.end_amdhsa_kernel
	.section	.text._ZN7rocprim17ROCPRIM_400000_NS6detail17trampoline_kernelINS0_14default_configENS1_20scan_config_selectorIfEEZZNS1_9scan_implILNS1_25lookback_scan_determinismE0ELb1ELb1ES3_N6thrust23THRUST_200600_302600_NS6detail15normal_iteratorINS9_10device_ptrIjEEEENSB_INSC_IfEEEEfNS9_4plusIvEEfEEDaPvRmT3_T4_T5_mT6_P12ihipStream_tbENKUlT_T0_E_clISt17integral_constantIbLb0EESV_IbLb1EEEEDaSR_SS_EUlSR_E0_NS1_11comp_targetILNS1_3genE4ELNS1_11target_archE910ELNS1_3gpuE8ELNS1_3repE0EEENS1_30default_config_static_selectorELNS0_4arch9wavefront6targetE1EEEvT1_,"axG",@progbits,_ZN7rocprim17ROCPRIM_400000_NS6detail17trampoline_kernelINS0_14default_configENS1_20scan_config_selectorIfEEZZNS1_9scan_implILNS1_25lookback_scan_determinismE0ELb1ELb1ES3_N6thrust23THRUST_200600_302600_NS6detail15normal_iteratorINS9_10device_ptrIjEEEENSB_INSC_IfEEEEfNS9_4plusIvEEfEEDaPvRmT3_T4_T5_mT6_P12ihipStream_tbENKUlT_T0_E_clISt17integral_constantIbLb0EESV_IbLb1EEEEDaSR_SS_EUlSR_E0_NS1_11comp_targetILNS1_3genE4ELNS1_11target_archE910ELNS1_3gpuE8ELNS1_3repE0EEENS1_30default_config_static_selectorELNS0_4arch9wavefront6targetE1EEEvT1_,comdat
.Lfunc_end6153:
	.size	_ZN7rocprim17ROCPRIM_400000_NS6detail17trampoline_kernelINS0_14default_configENS1_20scan_config_selectorIfEEZZNS1_9scan_implILNS1_25lookback_scan_determinismE0ELb1ELb1ES3_N6thrust23THRUST_200600_302600_NS6detail15normal_iteratorINS9_10device_ptrIjEEEENSB_INSC_IfEEEEfNS9_4plusIvEEfEEDaPvRmT3_T4_T5_mT6_P12ihipStream_tbENKUlT_T0_E_clISt17integral_constantIbLb0EESV_IbLb1EEEEDaSR_SS_EUlSR_E0_NS1_11comp_targetILNS1_3genE4ELNS1_11target_archE910ELNS1_3gpuE8ELNS1_3repE0EEENS1_30default_config_static_selectorELNS0_4arch9wavefront6targetE1EEEvT1_, .Lfunc_end6153-_ZN7rocprim17ROCPRIM_400000_NS6detail17trampoline_kernelINS0_14default_configENS1_20scan_config_selectorIfEEZZNS1_9scan_implILNS1_25lookback_scan_determinismE0ELb1ELb1ES3_N6thrust23THRUST_200600_302600_NS6detail15normal_iteratorINS9_10device_ptrIjEEEENSB_INSC_IfEEEEfNS9_4plusIvEEfEEDaPvRmT3_T4_T5_mT6_P12ihipStream_tbENKUlT_T0_E_clISt17integral_constantIbLb0EESV_IbLb1EEEEDaSR_SS_EUlSR_E0_NS1_11comp_targetILNS1_3genE4ELNS1_11target_archE910ELNS1_3gpuE8ELNS1_3repE0EEENS1_30default_config_static_selectorELNS0_4arch9wavefront6targetE1EEEvT1_
                                        ; -- End function
	.section	.AMDGPU.csdata,"",@progbits
; Kernel info:
; codeLenInByte = 2132
; NumSgprs: 42
; NumVgprs: 24
; NumAgprs: 0
; TotalNumVgprs: 24
; ScratchSize: 0
; MemoryBound: 0
; FloatMode: 240
; IeeeMode: 1
; LDSByteSize: 7168 bytes/workgroup (compile time only)
; SGPRBlocks: 5
; VGPRBlocks: 2
; NumSGPRsForWavesPerEU: 42
; NumVGPRsForWavesPerEU: 24
; AccumOffset: 24
; Occupancy: 5
; WaveLimiterHint : 0
; COMPUTE_PGM_RSRC2:SCRATCH_EN: 0
; COMPUTE_PGM_RSRC2:USER_SGPR: 6
; COMPUTE_PGM_RSRC2:TRAP_HANDLER: 0
; COMPUTE_PGM_RSRC2:TGID_X_EN: 1
; COMPUTE_PGM_RSRC2:TGID_Y_EN: 0
; COMPUTE_PGM_RSRC2:TGID_Z_EN: 0
; COMPUTE_PGM_RSRC2:TIDIG_COMP_CNT: 0
; COMPUTE_PGM_RSRC3_GFX90A:ACCUM_OFFSET: 5
; COMPUTE_PGM_RSRC3_GFX90A:TG_SPLIT: 0
	.section	.text._ZN7rocprim17ROCPRIM_400000_NS6detail17trampoline_kernelINS0_14default_configENS1_20scan_config_selectorIfEEZZNS1_9scan_implILNS1_25lookback_scan_determinismE0ELb1ELb1ES3_N6thrust23THRUST_200600_302600_NS6detail15normal_iteratorINS9_10device_ptrIjEEEENSB_INSC_IfEEEEfNS9_4plusIvEEfEEDaPvRmT3_T4_T5_mT6_P12ihipStream_tbENKUlT_T0_E_clISt17integral_constantIbLb0EESV_IbLb1EEEEDaSR_SS_EUlSR_E0_NS1_11comp_targetILNS1_3genE3ELNS1_11target_archE908ELNS1_3gpuE7ELNS1_3repE0EEENS1_30default_config_static_selectorELNS0_4arch9wavefront6targetE1EEEvT1_,"axG",@progbits,_ZN7rocprim17ROCPRIM_400000_NS6detail17trampoline_kernelINS0_14default_configENS1_20scan_config_selectorIfEEZZNS1_9scan_implILNS1_25lookback_scan_determinismE0ELb1ELb1ES3_N6thrust23THRUST_200600_302600_NS6detail15normal_iteratorINS9_10device_ptrIjEEEENSB_INSC_IfEEEEfNS9_4plusIvEEfEEDaPvRmT3_T4_T5_mT6_P12ihipStream_tbENKUlT_T0_E_clISt17integral_constantIbLb0EESV_IbLb1EEEEDaSR_SS_EUlSR_E0_NS1_11comp_targetILNS1_3genE3ELNS1_11target_archE908ELNS1_3gpuE7ELNS1_3repE0EEENS1_30default_config_static_selectorELNS0_4arch9wavefront6targetE1EEEvT1_,comdat
	.protected	_ZN7rocprim17ROCPRIM_400000_NS6detail17trampoline_kernelINS0_14default_configENS1_20scan_config_selectorIfEEZZNS1_9scan_implILNS1_25lookback_scan_determinismE0ELb1ELb1ES3_N6thrust23THRUST_200600_302600_NS6detail15normal_iteratorINS9_10device_ptrIjEEEENSB_INSC_IfEEEEfNS9_4plusIvEEfEEDaPvRmT3_T4_T5_mT6_P12ihipStream_tbENKUlT_T0_E_clISt17integral_constantIbLb0EESV_IbLb1EEEEDaSR_SS_EUlSR_E0_NS1_11comp_targetILNS1_3genE3ELNS1_11target_archE908ELNS1_3gpuE7ELNS1_3repE0EEENS1_30default_config_static_selectorELNS0_4arch9wavefront6targetE1EEEvT1_ ; -- Begin function _ZN7rocprim17ROCPRIM_400000_NS6detail17trampoline_kernelINS0_14default_configENS1_20scan_config_selectorIfEEZZNS1_9scan_implILNS1_25lookback_scan_determinismE0ELb1ELb1ES3_N6thrust23THRUST_200600_302600_NS6detail15normal_iteratorINS9_10device_ptrIjEEEENSB_INSC_IfEEEEfNS9_4plusIvEEfEEDaPvRmT3_T4_T5_mT6_P12ihipStream_tbENKUlT_T0_E_clISt17integral_constantIbLb0EESV_IbLb1EEEEDaSR_SS_EUlSR_E0_NS1_11comp_targetILNS1_3genE3ELNS1_11target_archE908ELNS1_3gpuE7ELNS1_3repE0EEENS1_30default_config_static_selectorELNS0_4arch9wavefront6targetE1EEEvT1_
	.globl	_ZN7rocprim17ROCPRIM_400000_NS6detail17trampoline_kernelINS0_14default_configENS1_20scan_config_selectorIfEEZZNS1_9scan_implILNS1_25lookback_scan_determinismE0ELb1ELb1ES3_N6thrust23THRUST_200600_302600_NS6detail15normal_iteratorINS9_10device_ptrIjEEEENSB_INSC_IfEEEEfNS9_4plusIvEEfEEDaPvRmT3_T4_T5_mT6_P12ihipStream_tbENKUlT_T0_E_clISt17integral_constantIbLb0EESV_IbLb1EEEEDaSR_SS_EUlSR_E0_NS1_11comp_targetILNS1_3genE3ELNS1_11target_archE908ELNS1_3gpuE7ELNS1_3repE0EEENS1_30default_config_static_selectorELNS0_4arch9wavefront6targetE1EEEvT1_
	.p2align	8
	.type	_ZN7rocprim17ROCPRIM_400000_NS6detail17trampoline_kernelINS0_14default_configENS1_20scan_config_selectorIfEEZZNS1_9scan_implILNS1_25lookback_scan_determinismE0ELb1ELb1ES3_N6thrust23THRUST_200600_302600_NS6detail15normal_iteratorINS9_10device_ptrIjEEEENSB_INSC_IfEEEEfNS9_4plusIvEEfEEDaPvRmT3_T4_T5_mT6_P12ihipStream_tbENKUlT_T0_E_clISt17integral_constantIbLb0EESV_IbLb1EEEEDaSR_SS_EUlSR_E0_NS1_11comp_targetILNS1_3genE3ELNS1_11target_archE908ELNS1_3gpuE7ELNS1_3repE0EEENS1_30default_config_static_selectorELNS0_4arch9wavefront6targetE1EEEvT1_,@function
_ZN7rocprim17ROCPRIM_400000_NS6detail17trampoline_kernelINS0_14default_configENS1_20scan_config_selectorIfEEZZNS1_9scan_implILNS1_25lookback_scan_determinismE0ELb1ELb1ES3_N6thrust23THRUST_200600_302600_NS6detail15normal_iteratorINS9_10device_ptrIjEEEENSB_INSC_IfEEEEfNS9_4plusIvEEfEEDaPvRmT3_T4_T5_mT6_P12ihipStream_tbENKUlT_T0_E_clISt17integral_constantIbLb0EESV_IbLb1EEEEDaSR_SS_EUlSR_E0_NS1_11comp_targetILNS1_3genE3ELNS1_11target_archE908ELNS1_3gpuE7ELNS1_3repE0EEENS1_30default_config_static_selectorELNS0_4arch9wavefront6targetE1EEEvT1_: ; @_ZN7rocprim17ROCPRIM_400000_NS6detail17trampoline_kernelINS0_14default_configENS1_20scan_config_selectorIfEEZZNS1_9scan_implILNS1_25lookback_scan_determinismE0ELb1ELb1ES3_N6thrust23THRUST_200600_302600_NS6detail15normal_iteratorINS9_10device_ptrIjEEEENSB_INSC_IfEEEEfNS9_4plusIvEEfEEDaPvRmT3_T4_T5_mT6_P12ihipStream_tbENKUlT_T0_E_clISt17integral_constantIbLb0EESV_IbLb1EEEEDaSR_SS_EUlSR_E0_NS1_11comp_targetILNS1_3genE3ELNS1_11target_archE908ELNS1_3gpuE7ELNS1_3repE0EEENS1_30default_config_static_selectorELNS0_4arch9wavefront6targetE1EEEvT1_
; %bb.0:
	.section	.rodata,"a",@progbits
	.p2align	6, 0x0
	.amdhsa_kernel _ZN7rocprim17ROCPRIM_400000_NS6detail17trampoline_kernelINS0_14default_configENS1_20scan_config_selectorIfEEZZNS1_9scan_implILNS1_25lookback_scan_determinismE0ELb1ELb1ES3_N6thrust23THRUST_200600_302600_NS6detail15normal_iteratorINS9_10device_ptrIjEEEENSB_INSC_IfEEEEfNS9_4plusIvEEfEEDaPvRmT3_T4_T5_mT6_P12ihipStream_tbENKUlT_T0_E_clISt17integral_constantIbLb0EESV_IbLb1EEEEDaSR_SS_EUlSR_E0_NS1_11comp_targetILNS1_3genE3ELNS1_11target_archE908ELNS1_3gpuE7ELNS1_3repE0EEENS1_30default_config_static_selectorELNS0_4arch9wavefront6targetE1EEEvT1_
		.amdhsa_group_segment_fixed_size 0
		.amdhsa_private_segment_fixed_size 0
		.amdhsa_kernarg_size 32
		.amdhsa_user_sgpr_count 6
		.amdhsa_user_sgpr_private_segment_buffer 1
		.amdhsa_user_sgpr_dispatch_ptr 0
		.amdhsa_user_sgpr_queue_ptr 0
		.amdhsa_user_sgpr_kernarg_segment_ptr 1
		.amdhsa_user_sgpr_dispatch_id 0
		.amdhsa_user_sgpr_flat_scratch_init 0
		.amdhsa_user_sgpr_kernarg_preload_length 0
		.amdhsa_user_sgpr_kernarg_preload_offset 0
		.amdhsa_user_sgpr_private_segment_size 0
		.amdhsa_uses_dynamic_stack 0
		.amdhsa_system_sgpr_private_segment_wavefront_offset 0
		.amdhsa_system_sgpr_workgroup_id_x 1
		.amdhsa_system_sgpr_workgroup_id_y 0
		.amdhsa_system_sgpr_workgroup_id_z 0
		.amdhsa_system_sgpr_workgroup_info 0
		.amdhsa_system_vgpr_workitem_id 0
		.amdhsa_next_free_vgpr 1
		.amdhsa_next_free_sgpr 0
		.amdhsa_accum_offset 4
		.amdhsa_reserve_vcc 0
		.amdhsa_reserve_flat_scratch 0
		.amdhsa_float_round_mode_32 0
		.amdhsa_float_round_mode_16_64 0
		.amdhsa_float_denorm_mode_32 3
		.amdhsa_float_denorm_mode_16_64 3
		.amdhsa_dx10_clamp 1
		.amdhsa_ieee_mode 1
		.amdhsa_fp16_overflow 0
		.amdhsa_tg_split 0
		.amdhsa_exception_fp_ieee_invalid_op 0
		.amdhsa_exception_fp_denorm_src 0
		.amdhsa_exception_fp_ieee_div_zero 0
		.amdhsa_exception_fp_ieee_overflow 0
		.amdhsa_exception_fp_ieee_underflow 0
		.amdhsa_exception_fp_ieee_inexact 0
		.amdhsa_exception_int_div_zero 0
	.end_amdhsa_kernel
	.section	.text._ZN7rocprim17ROCPRIM_400000_NS6detail17trampoline_kernelINS0_14default_configENS1_20scan_config_selectorIfEEZZNS1_9scan_implILNS1_25lookback_scan_determinismE0ELb1ELb1ES3_N6thrust23THRUST_200600_302600_NS6detail15normal_iteratorINS9_10device_ptrIjEEEENSB_INSC_IfEEEEfNS9_4plusIvEEfEEDaPvRmT3_T4_T5_mT6_P12ihipStream_tbENKUlT_T0_E_clISt17integral_constantIbLb0EESV_IbLb1EEEEDaSR_SS_EUlSR_E0_NS1_11comp_targetILNS1_3genE3ELNS1_11target_archE908ELNS1_3gpuE7ELNS1_3repE0EEENS1_30default_config_static_selectorELNS0_4arch9wavefront6targetE1EEEvT1_,"axG",@progbits,_ZN7rocprim17ROCPRIM_400000_NS6detail17trampoline_kernelINS0_14default_configENS1_20scan_config_selectorIfEEZZNS1_9scan_implILNS1_25lookback_scan_determinismE0ELb1ELb1ES3_N6thrust23THRUST_200600_302600_NS6detail15normal_iteratorINS9_10device_ptrIjEEEENSB_INSC_IfEEEEfNS9_4plusIvEEfEEDaPvRmT3_T4_T5_mT6_P12ihipStream_tbENKUlT_T0_E_clISt17integral_constantIbLb0EESV_IbLb1EEEEDaSR_SS_EUlSR_E0_NS1_11comp_targetILNS1_3genE3ELNS1_11target_archE908ELNS1_3gpuE7ELNS1_3repE0EEENS1_30default_config_static_selectorELNS0_4arch9wavefront6targetE1EEEvT1_,comdat
.Lfunc_end6154:
	.size	_ZN7rocprim17ROCPRIM_400000_NS6detail17trampoline_kernelINS0_14default_configENS1_20scan_config_selectorIfEEZZNS1_9scan_implILNS1_25lookback_scan_determinismE0ELb1ELb1ES3_N6thrust23THRUST_200600_302600_NS6detail15normal_iteratorINS9_10device_ptrIjEEEENSB_INSC_IfEEEEfNS9_4plusIvEEfEEDaPvRmT3_T4_T5_mT6_P12ihipStream_tbENKUlT_T0_E_clISt17integral_constantIbLb0EESV_IbLb1EEEEDaSR_SS_EUlSR_E0_NS1_11comp_targetILNS1_3genE3ELNS1_11target_archE908ELNS1_3gpuE7ELNS1_3repE0EEENS1_30default_config_static_selectorELNS0_4arch9wavefront6targetE1EEEvT1_, .Lfunc_end6154-_ZN7rocprim17ROCPRIM_400000_NS6detail17trampoline_kernelINS0_14default_configENS1_20scan_config_selectorIfEEZZNS1_9scan_implILNS1_25lookback_scan_determinismE0ELb1ELb1ES3_N6thrust23THRUST_200600_302600_NS6detail15normal_iteratorINS9_10device_ptrIjEEEENSB_INSC_IfEEEEfNS9_4plusIvEEfEEDaPvRmT3_T4_T5_mT6_P12ihipStream_tbENKUlT_T0_E_clISt17integral_constantIbLb0EESV_IbLb1EEEEDaSR_SS_EUlSR_E0_NS1_11comp_targetILNS1_3genE3ELNS1_11target_archE908ELNS1_3gpuE7ELNS1_3repE0EEENS1_30default_config_static_selectorELNS0_4arch9wavefront6targetE1EEEvT1_
                                        ; -- End function
	.section	.AMDGPU.csdata,"",@progbits
; Kernel info:
; codeLenInByte = 0
; NumSgprs: 4
; NumVgprs: 0
; NumAgprs: 0
; TotalNumVgprs: 0
; ScratchSize: 0
; MemoryBound: 0
; FloatMode: 240
; IeeeMode: 1
; LDSByteSize: 0 bytes/workgroup (compile time only)
; SGPRBlocks: 0
; VGPRBlocks: 0
; NumSGPRsForWavesPerEU: 4
; NumVGPRsForWavesPerEU: 1
; AccumOffset: 4
; Occupancy: 8
; WaveLimiterHint : 0
; COMPUTE_PGM_RSRC2:SCRATCH_EN: 0
; COMPUTE_PGM_RSRC2:USER_SGPR: 6
; COMPUTE_PGM_RSRC2:TRAP_HANDLER: 0
; COMPUTE_PGM_RSRC2:TGID_X_EN: 1
; COMPUTE_PGM_RSRC2:TGID_Y_EN: 0
; COMPUTE_PGM_RSRC2:TGID_Z_EN: 0
; COMPUTE_PGM_RSRC2:TIDIG_COMP_CNT: 0
; COMPUTE_PGM_RSRC3_GFX90A:ACCUM_OFFSET: 0
; COMPUTE_PGM_RSRC3_GFX90A:TG_SPLIT: 0
	.section	.text._ZN7rocprim17ROCPRIM_400000_NS6detail17trampoline_kernelINS0_14default_configENS1_20scan_config_selectorIfEEZZNS1_9scan_implILNS1_25lookback_scan_determinismE0ELb1ELb1ES3_N6thrust23THRUST_200600_302600_NS6detail15normal_iteratorINS9_10device_ptrIjEEEENSB_INSC_IfEEEEfNS9_4plusIvEEfEEDaPvRmT3_T4_T5_mT6_P12ihipStream_tbENKUlT_T0_E_clISt17integral_constantIbLb0EESV_IbLb1EEEEDaSR_SS_EUlSR_E0_NS1_11comp_targetILNS1_3genE2ELNS1_11target_archE906ELNS1_3gpuE6ELNS1_3repE0EEENS1_30default_config_static_selectorELNS0_4arch9wavefront6targetE1EEEvT1_,"axG",@progbits,_ZN7rocprim17ROCPRIM_400000_NS6detail17trampoline_kernelINS0_14default_configENS1_20scan_config_selectorIfEEZZNS1_9scan_implILNS1_25lookback_scan_determinismE0ELb1ELb1ES3_N6thrust23THRUST_200600_302600_NS6detail15normal_iteratorINS9_10device_ptrIjEEEENSB_INSC_IfEEEEfNS9_4plusIvEEfEEDaPvRmT3_T4_T5_mT6_P12ihipStream_tbENKUlT_T0_E_clISt17integral_constantIbLb0EESV_IbLb1EEEEDaSR_SS_EUlSR_E0_NS1_11comp_targetILNS1_3genE2ELNS1_11target_archE906ELNS1_3gpuE6ELNS1_3repE0EEENS1_30default_config_static_selectorELNS0_4arch9wavefront6targetE1EEEvT1_,comdat
	.protected	_ZN7rocprim17ROCPRIM_400000_NS6detail17trampoline_kernelINS0_14default_configENS1_20scan_config_selectorIfEEZZNS1_9scan_implILNS1_25lookback_scan_determinismE0ELb1ELb1ES3_N6thrust23THRUST_200600_302600_NS6detail15normal_iteratorINS9_10device_ptrIjEEEENSB_INSC_IfEEEEfNS9_4plusIvEEfEEDaPvRmT3_T4_T5_mT6_P12ihipStream_tbENKUlT_T0_E_clISt17integral_constantIbLb0EESV_IbLb1EEEEDaSR_SS_EUlSR_E0_NS1_11comp_targetILNS1_3genE2ELNS1_11target_archE906ELNS1_3gpuE6ELNS1_3repE0EEENS1_30default_config_static_selectorELNS0_4arch9wavefront6targetE1EEEvT1_ ; -- Begin function _ZN7rocprim17ROCPRIM_400000_NS6detail17trampoline_kernelINS0_14default_configENS1_20scan_config_selectorIfEEZZNS1_9scan_implILNS1_25lookback_scan_determinismE0ELb1ELb1ES3_N6thrust23THRUST_200600_302600_NS6detail15normal_iteratorINS9_10device_ptrIjEEEENSB_INSC_IfEEEEfNS9_4plusIvEEfEEDaPvRmT3_T4_T5_mT6_P12ihipStream_tbENKUlT_T0_E_clISt17integral_constantIbLb0EESV_IbLb1EEEEDaSR_SS_EUlSR_E0_NS1_11comp_targetILNS1_3genE2ELNS1_11target_archE906ELNS1_3gpuE6ELNS1_3repE0EEENS1_30default_config_static_selectorELNS0_4arch9wavefront6targetE1EEEvT1_
	.globl	_ZN7rocprim17ROCPRIM_400000_NS6detail17trampoline_kernelINS0_14default_configENS1_20scan_config_selectorIfEEZZNS1_9scan_implILNS1_25lookback_scan_determinismE0ELb1ELb1ES3_N6thrust23THRUST_200600_302600_NS6detail15normal_iteratorINS9_10device_ptrIjEEEENSB_INSC_IfEEEEfNS9_4plusIvEEfEEDaPvRmT3_T4_T5_mT6_P12ihipStream_tbENKUlT_T0_E_clISt17integral_constantIbLb0EESV_IbLb1EEEEDaSR_SS_EUlSR_E0_NS1_11comp_targetILNS1_3genE2ELNS1_11target_archE906ELNS1_3gpuE6ELNS1_3repE0EEENS1_30default_config_static_selectorELNS0_4arch9wavefront6targetE1EEEvT1_
	.p2align	8
	.type	_ZN7rocprim17ROCPRIM_400000_NS6detail17trampoline_kernelINS0_14default_configENS1_20scan_config_selectorIfEEZZNS1_9scan_implILNS1_25lookback_scan_determinismE0ELb1ELb1ES3_N6thrust23THRUST_200600_302600_NS6detail15normal_iteratorINS9_10device_ptrIjEEEENSB_INSC_IfEEEEfNS9_4plusIvEEfEEDaPvRmT3_T4_T5_mT6_P12ihipStream_tbENKUlT_T0_E_clISt17integral_constantIbLb0EESV_IbLb1EEEEDaSR_SS_EUlSR_E0_NS1_11comp_targetILNS1_3genE2ELNS1_11target_archE906ELNS1_3gpuE6ELNS1_3repE0EEENS1_30default_config_static_selectorELNS0_4arch9wavefront6targetE1EEEvT1_,@function
_ZN7rocprim17ROCPRIM_400000_NS6detail17trampoline_kernelINS0_14default_configENS1_20scan_config_selectorIfEEZZNS1_9scan_implILNS1_25lookback_scan_determinismE0ELb1ELb1ES3_N6thrust23THRUST_200600_302600_NS6detail15normal_iteratorINS9_10device_ptrIjEEEENSB_INSC_IfEEEEfNS9_4plusIvEEfEEDaPvRmT3_T4_T5_mT6_P12ihipStream_tbENKUlT_T0_E_clISt17integral_constantIbLb0EESV_IbLb1EEEEDaSR_SS_EUlSR_E0_NS1_11comp_targetILNS1_3genE2ELNS1_11target_archE906ELNS1_3gpuE6ELNS1_3repE0EEENS1_30default_config_static_selectorELNS0_4arch9wavefront6targetE1EEEvT1_: ; @_ZN7rocprim17ROCPRIM_400000_NS6detail17trampoline_kernelINS0_14default_configENS1_20scan_config_selectorIfEEZZNS1_9scan_implILNS1_25lookback_scan_determinismE0ELb1ELb1ES3_N6thrust23THRUST_200600_302600_NS6detail15normal_iteratorINS9_10device_ptrIjEEEENSB_INSC_IfEEEEfNS9_4plusIvEEfEEDaPvRmT3_T4_T5_mT6_P12ihipStream_tbENKUlT_T0_E_clISt17integral_constantIbLb0EESV_IbLb1EEEEDaSR_SS_EUlSR_E0_NS1_11comp_targetILNS1_3genE2ELNS1_11target_archE906ELNS1_3gpuE6ELNS1_3repE0EEENS1_30default_config_static_selectorELNS0_4arch9wavefront6targetE1EEEvT1_
; %bb.0:
	.section	.rodata,"a",@progbits
	.p2align	6, 0x0
	.amdhsa_kernel _ZN7rocprim17ROCPRIM_400000_NS6detail17trampoline_kernelINS0_14default_configENS1_20scan_config_selectorIfEEZZNS1_9scan_implILNS1_25lookback_scan_determinismE0ELb1ELb1ES3_N6thrust23THRUST_200600_302600_NS6detail15normal_iteratorINS9_10device_ptrIjEEEENSB_INSC_IfEEEEfNS9_4plusIvEEfEEDaPvRmT3_T4_T5_mT6_P12ihipStream_tbENKUlT_T0_E_clISt17integral_constantIbLb0EESV_IbLb1EEEEDaSR_SS_EUlSR_E0_NS1_11comp_targetILNS1_3genE2ELNS1_11target_archE906ELNS1_3gpuE6ELNS1_3repE0EEENS1_30default_config_static_selectorELNS0_4arch9wavefront6targetE1EEEvT1_
		.amdhsa_group_segment_fixed_size 0
		.amdhsa_private_segment_fixed_size 0
		.amdhsa_kernarg_size 32
		.amdhsa_user_sgpr_count 6
		.amdhsa_user_sgpr_private_segment_buffer 1
		.amdhsa_user_sgpr_dispatch_ptr 0
		.amdhsa_user_sgpr_queue_ptr 0
		.amdhsa_user_sgpr_kernarg_segment_ptr 1
		.amdhsa_user_sgpr_dispatch_id 0
		.amdhsa_user_sgpr_flat_scratch_init 0
		.amdhsa_user_sgpr_kernarg_preload_length 0
		.amdhsa_user_sgpr_kernarg_preload_offset 0
		.amdhsa_user_sgpr_private_segment_size 0
		.amdhsa_uses_dynamic_stack 0
		.amdhsa_system_sgpr_private_segment_wavefront_offset 0
		.amdhsa_system_sgpr_workgroup_id_x 1
		.amdhsa_system_sgpr_workgroup_id_y 0
		.amdhsa_system_sgpr_workgroup_id_z 0
		.amdhsa_system_sgpr_workgroup_info 0
		.amdhsa_system_vgpr_workitem_id 0
		.amdhsa_next_free_vgpr 1
		.amdhsa_next_free_sgpr 0
		.amdhsa_accum_offset 4
		.amdhsa_reserve_vcc 0
		.amdhsa_reserve_flat_scratch 0
		.amdhsa_float_round_mode_32 0
		.amdhsa_float_round_mode_16_64 0
		.amdhsa_float_denorm_mode_32 3
		.amdhsa_float_denorm_mode_16_64 3
		.amdhsa_dx10_clamp 1
		.amdhsa_ieee_mode 1
		.amdhsa_fp16_overflow 0
		.amdhsa_tg_split 0
		.amdhsa_exception_fp_ieee_invalid_op 0
		.amdhsa_exception_fp_denorm_src 0
		.amdhsa_exception_fp_ieee_div_zero 0
		.amdhsa_exception_fp_ieee_overflow 0
		.amdhsa_exception_fp_ieee_underflow 0
		.amdhsa_exception_fp_ieee_inexact 0
		.amdhsa_exception_int_div_zero 0
	.end_amdhsa_kernel
	.section	.text._ZN7rocprim17ROCPRIM_400000_NS6detail17trampoline_kernelINS0_14default_configENS1_20scan_config_selectorIfEEZZNS1_9scan_implILNS1_25lookback_scan_determinismE0ELb1ELb1ES3_N6thrust23THRUST_200600_302600_NS6detail15normal_iteratorINS9_10device_ptrIjEEEENSB_INSC_IfEEEEfNS9_4plusIvEEfEEDaPvRmT3_T4_T5_mT6_P12ihipStream_tbENKUlT_T0_E_clISt17integral_constantIbLb0EESV_IbLb1EEEEDaSR_SS_EUlSR_E0_NS1_11comp_targetILNS1_3genE2ELNS1_11target_archE906ELNS1_3gpuE6ELNS1_3repE0EEENS1_30default_config_static_selectorELNS0_4arch9wavefront6targetE1EEEvT1_,"axG",@progbits,_ZN7rocprim17ROCPRIM_400000_NS6detail17trampoline_kernelINS0_14default_configENS1_20scan_config_selectorIfEEZZNS1_9scan_implILNS1_25lookback_scan_determinismE0ELb1ELb1ES3_N6thrust23THRUST_200600_302600_NS6detail15normal_iteratorINS9_10device_ptrIjEEEENSB_INSC_IfEEEEfNS9_4plusIvEEfEEDaPvRmT3_T4_T5_mT6_P12ihipStream_tbENKUlT_T0_E_clISt17integral_constantIbLb0EESV_IbLb1EEEEDaSR_SS_EUlSR_E0_NS1_11comp_targetILNS1_3genE2ELNS1_11target_archE906ELNS1_3gpuE6ELNS1_3repE0EEENS1_30default_config_static_selectorELNS0_4arch9wavefront6targetE1EEEvT1_,comdat
.Lfunc_end6155:
	.size	_ZN7rocprim17ROCPRIM_400000_NS6detail17trampoline_kernelINS0_14default_configENS1_20scan_config_selectorIfEEZZNS1_9scan_implILNS1_25lookback_scan_determinismE0ELb1ELb1ES3_N6thrust23THRUST_200600_302600_NS6detail15normal_iteratorINS9_10device_ptrIjEEEENSB_INSC_IfEEEEfNS9_4plusIvEEfEEDaPvRmT3_T4_T5_mT6_P12ihipStream_tbENKUlT_T0_E_clISt17integral_constantIbLb0EESV_IbLb1EEEEDaSR_SS_EUlSR_E0_NS1_11comp_targetILNS1_3genE2ELNS1_11target_archE906ELNS1_3gpuE6ELNS1_3repE0EEENS1_30default_config_static_selectorELNS0_4arch9wavefront6targetE1EEEvT1_, .Lfunc_end6155-_ZN7rocprim17ROCPRIM_400000_NS6detail17trampoline_kernelINS0_14default_configENS1_20scan_config_selectorIfEEZZNS1_9scan_implILNS1_25lookback_scan_determinismE0ELb1ELb1ES3_N6thrust23THRUST_200600_302600_NS6detail15normal_iteratorINS9_10device_ptrIjEEEENSB_INSC_IfEEEEfNS9_4plusIvEEfEEDaPvRmT3_T4_T5_mT6_P12ihipStream_tbENKUlT_T0_E_clISt17integral_constantIbLb0EESV_IbLb1EEEEDaSR_SS_EUlSR_E0_NS1_11comp_targetILNS1_3genE2ELNS1_11target_archE906ELNS1_3gpuE6ELNS1_3repE0EEENS1_30default_config_static_selectorELNS0_4arch9wavefront6targetE1EEEvT1_
                                        ; -- End function
	.section	.AMDGPU.csdata,"",@progbits
; Kernel info:
; codeLenInByte = 0
; NumSgprs: 4
; NumVgprs: 0
; NumAgprs: 0
; TotalNumVgprs: 0
; ScratchSize: 0
; MemoryBound: 0
; FloatMode: 240
; IeeeMode: 1
; LDSByteSize: 0 bytes/workgroup (compile time only)
; SGPRBlocks: 0
; VGPRBlocks: 0
; NumSGPRsForWavesPerEU: 4
; NumVGPRsForWavesPerEU: 1
; AccumOffset: 4
; Occupancy: 8
; WaveLimiterHint : 0
; COMPUTE_PGM_RSRC2:SCRATCH_EN: 0
; COMPUTE_PGM_RSRC2:USER_SGPR: 6
; COMPUTE_PGM_RSRC2:TRAP_HANDLER: 0
; COMPUTE_PGM_RSRC2:TGID_X_EN: 1
; COMPUTE_PGM_RSRC2:TGID_Y_EN: 0
; COMPUTE_PGM_RSRC2:TGID_Z_EN: 0
; COMPUTE_PGM_RSRC2:TIDIG_COMP_CNT: 0
; COMPUTE_PGM_RSRC3_GFX90A:ACCUM_OFFSET: 0
; COMPUTE_PGM_RSRC3_GFX90A:TG_SPLIT: 0
	.section	.text._ZN7rocprim17ROCPRIM_400000_NS6detail17trampoline_kernelINS0_14default_configENS1_20scan_config_selectorIfEEZZNS1_9scan_implILNS1_25lookback_scan_determinismE0ELb1ELb1ES3_N6thrust23THRUST_200600_302600_NS6detail15normal_iteratorINS9_10device_ptrIjEEEENSB_INSC_IfEEEEfNS9_4plusIvEEfEEDaPvRmT3_T4_T5_mT6_P12ihipStream_tbENKUlT_T0_E_clISt17integral_constantIbLb0EESV_IbLb1EEEEDaSR_SS_EUlSR_E0_NS1_11comp_targetILNS1_3genE10ELNS1_11target_archE1201ELNS1_3gpuE5ELNS1_3repE0EEENS1_30default_config_static_selectorELNS0_4arch9wavefront6targetE1EEEvT1_,"axG",@progbits,_ZN7rocprim17ROCPRIM_400000_NS6detail17trampoline_kernelINS0_14default_configENS1_20scan_config_selectorIfEEZZNS1_9scan_implILNS1_25lookback_scan_determinismE0ELb1ELb1ES3_N6thrust23THRUST_200600_302600_NS6detail15normal_iteratorINS9_10device_ptrIjEEEENSB_INSC_IfEEEEfNS9_4plusIvEEfEEDaPvRmT3_T4_T5_mT6_P12ihipStream_tbENKUlT_T0_E_clISt17integral_constantIbLb0EESV_IbLb1EEEEDaSR_SS_EUlSR_E0_NS1_11comp_targetILNS1_3genE10ELNS1_11target_archE1201ELNS1_3gpuE5ELNS1_3repE0EEENS1_30default_config_static_selectorELNS0_4arch9wavefront6targetE1EEEvT1_,comdat
	.protected	_ZN7rocprim17ROCPRIM_400000_NS6detail17trampoline_kernelINS0_14default_configENS1_20scan_config_selectorIfEEZZNS1_9scan_implILNS1_25lookback_scan_determinismE0ELb1ELb1ES3_N6thrust23THRUST_200600_302600_NS6detail15normal_iteratorINS9_10device_ptrIjEEEENSB_INSC_IfEEEEfNS9_4plusIvEEfEEDaPvRmT3_T4_T5_mT6_P12ihipStream_tbENKUlT_T0_E_clISt17integral_constantIbLb0EESV_IbLb1EEEEDaSR_SS_EUlSR_E0_NS1_11comp_targetILNS1_3genE10ELNS1_11target_archE1201ELNS1_3gpuE5ELNS1_3repE0EEENS1_30default_config_static_selectorELNS0_4arch9wavefront6targetE1EEEvT1_ ; -- Begin function _ZN7rocprim17ROCPRIM_400000_NS6detail17trampoline_kernelINS0_14default_configENS1_20scan_config_selectorIfEEZZNS1_9scan_implILNS1_25lookback_scan_determinismE0ELb1ELb1ES3_N6thrust23THRUST_200600_302600_NS6detail15normal_iteratorINS9_10device_ptrIjEEEENSB_INSC_IfEEEEfNS9_4plusIvEEfEEDaPvRmT3_T4_T5_mT6_P12ihipStream_tbENKUlT_T0_E_clISt17integral_constantIbLb0EESV_IbLb1EEEEDaSR_SS_EUlSR_E0_NS1_11comp_targetILNS1_3genE10ELNS1_11target_archE1201ELNS1_3gpuE5ELNS1_3repE0EEENS1_30default_config_static_selectorELNS0_4arch9wavefront6targetE1EEEvT1_
	.globl	_ZN7rocprim17ROCPRIM_400000_NS6detail17trampoline_kernelINS0_14default_configENS1_20scan_config_selectorIfEEZZNS1_9scan_implILNS1_25lookback_scan_determinismE0ELb1ELb1ES3_N6thrust23THRUST_200600_302600_NS6detail15normal_iteratorINS9_10device_ptrIjEEEENSB_INSC_IfEEEEfNS9_4plusIvEEfEEDaPvRmT3_T4_T5_mT6_P12ihipStream_tbENKUlT_T0_E_clISt17integral_constantIbLb0EESV_IbLb1EEEEDaSR_SS_EUlSR_E0_NS1_11comp_targetILNS1_3genE10ELNS1_11target_archE1201ELNS1_3gpuE5ELNS1_3repE0EEENS1_30default_config_static_selectorELNS0_4arch9wavefront6targetE1EEEvT1_
	.p2align	8
	.type	_ZN7rocprim17ROCPRIM_400000_NS6detail17trampoline_kernelINS0_14default_configENS1_20scan_config_selectorIfEEZZNS1_9scan_implILNS1_25lookback_scan_determinismE0ELb1ELb1ES3_N6thrust23THRUST_200600_302600_NS6detail15normal_iteratorINS9_10device_ptrIjEEEENSB_INSC_IfEEEEfNS9_4plusIvEEfEEDaPvRmT3_T4_T5_mT6_P12ihipStream_tbENKUlT_T0_E_clISt17integral_constantIbLb0EESV_IbLb1EEEEDaSR_SS_EUlSR_E0_NS1_11comp_targetILNS1_3genE10ELNS1_11target_archE1201ELNS1_3gpuE5ELNS1_3repE0EEENS1_30default_config_static_selectorELNS0_4arch9wavefront6targetE1EEEvT1_,@function
_ZN7rocprim17ROCPRIM_400000_NS6detail17trampoline_kernelINS0_14default_configENS1_20scan_config_selectorIfEEZZNS1_9scan_implILNS1_25lookback_scan_determinismE0ELb1ELb1ES3_N6thrust23THRUST_200600_302600_NS6detail15normal_iteratorINS9_10device_ptrIjEEEENSB_INSC_IfEEEEfNS9_4plusIvEEfEEDaPvRmT3_T4_T5_mT6_P12ihipStream_tbENKUlT_T0_E_clISt17integral_constantIbLb0EESV_IbLb1EEEEDaSR_SS_EUlSR_E0_NS1_11comp_targetILNS1_3genE10ELNS1_11target_archE1201ELNS1_3gpuE5ELNS1_3repE0EEENS1_30default_config_static_selectorELNS0_4arch9wavefront6targetE1EEEvT1_: ; @_ZN7rocprim17ROCPRIM_400000_NS6detail17trampoline_kernelINS0_14default_configENS1_20scan_config_selectorIfEEZZNS1_9scan_implILNS1_25lookback_scan_determinismE0ELb1ELb1ES3_N6thrust23THRUST_200600_302600_NS6detail15normal_iteratorINS9_10device_ptrIjEEEENSB_INSC_IfEEEEfNS9_4plusIvEEfEEDaPvRmT3_T4_T5_mT6_P12ihipStream_tbENKUlT_T0_E_clISt17integral_constantIbLb0EESV_IbLb1EEEEDaSR_SS_EUlSR_E0_NS1_11comp_targetILNS1_3genE10ELNS1_11target_archE1201ELNS1_3gpuE5ELNS1_3repE0EEENS1_30default_config_static_selectorELNS0_4arch9wavefront6targetE1EEEvT1_
; %bb.0:
	.section	.rodata,"a",@progbits
	.p2align	6, 0x0
	.amdhsa_kernel _ZN7rocprim17ROCPRIM_400000_NS6detail17trampoline_kernelINS0_14default_configENS1_20scan_config_selectorIfEEZZNS1_9scan_implILNS1_25lookback_scan_determinismE0ELb1ELb1ES3_N6thrust23THRUST_200600_302600_NS6detail15normal_iteratorINS9_10device_ptrIjEEEENSB_INSC_IfEEEEfNS9_4plusIvEEfEEDaPvRmT3_T4_T5_mT6_P12ihipStream_tbENKUlT_T0_E_clISt17integral_constantIbLb0EESV_IbLb1EEEEDaSR_SS_EUlSR_E0_NS1_11comp_targetILNS1_3genE10ELNS1_11target_archE1201ELNS1_3gpuE5ELNS1_3repE0EEENS1_30default_config_static_selectorELNS0_4arch9wavefront6targetE1EEEvT1_
		.amdhsa_group_segment_fixed_size 0
		.amdhsa_private_segment_fixed_size 0
		.amdhsa_kernarg_size 32
		.amdhsa_user_sgpr_count 6
		.amdhsa_user_sgpr_private_segment_buffer 1
		.amdhsa_user_sgpr_dispatch_ptr 0
		.amdhsa_user_sgpr_queue_ptr 0
		.amdhsa_user_sgpr_kernarg_segment_ptr 1
		.amdhsa_user_sgpr_dispatch_id 0
		.amdhsa_user_sgpr_flat_scratch_init 0
		.amdhsa_user_sgpr_kernarg_preload_length 0
		.amdhsa_user_sgpr_kernarg_preload_offset 0
		.amdhsa_user_sgpr_private_segment_size 0
		.amdhsa_uses_dynamic_stack 0
		.amdhsa_system_sgpr_private_segment_wavefront_offset 0
		.amdhsa_system_sgpr_workgroup_id_x 1
		.amdhsa_system_sgpr_workgroup_id_y 0
		.amdhsa_system_sgpr_workgroup_id_z 0
		.amdhsa_system_sgpr_workgroup_info 0
		.amdhsa_system_vgpr_workitem_id 0
		.amdhsa_next_free_vgpr 1
		.amdhsa_next_free_sgpr 0
		.amdhsa_accum_offset 4
		.amdhsa_reserve_vcc 0
		.amdhsa_reserve_flat_scratch 0
		.amdhsa_float_round_mode_32 0
		.amdhsa_float_round_mode_16_64 0
		.amdhsa_float_denorm_mode_32 3
		.amdhsa_float_denorm_mode_16_64 3
		.amdhsa_dx10_clamp 1
		.amdhsa_ieee_mode 1
		.amdhsa_fp16_overflow 0
		.amdhsa_tg_split 0
		.amdhsa_exception_fp_ieee_invalid_op 0
		.amdhsa_exception_fp_denorm_src 0
		.amdhsa_exception_fp_ieee_div_zero 0
		.amdhsa_exception_fp_ieee_overflow 0
		.amdhsa_exception_fp_ieee_underflow 0
		.amdhsa_exception_fp_ieee_inexact 0
		.amdhsa_exception_int_div_zero 0
	.end_amdhsa_kernel
	.section	.text._ZN7rocprim17ROCPRIM_400000_NS6detail17trampoline_kernelINS0_14default_configENS1_20scan_config_selectorIfEEZZNS1_9scan_implILNS1_25lookback_scan_determinismE0ELb1ELb1ES3_N6thrust23THRUST_200600_302600_NS6detail15normal_iteratorINS9_10device_ptrIjEEEENSB_INSC_IfEEEEfNS9_4plusIvEEfEEDaPvRmT3_T4_T5_mT6_P12ihipStream_tbENKUlT_T0_E_clISt17integral_constantIbLb0EESV_IbLb1EEEEDaSR_SS_EUlSR_E0_NS1_11comp_targetILNS1_3genE10ELNS1_11target_archE1201ELNS1_3gpuE5ELNS1_3repE0EEENS1_30default_config_static_selectorELNS0_4arch9wavefront6targetE1EEEvT1_,"axG",@progbits,_ZN7rocprim17ROCPRIM_400000_NS6detail17trampoline_kernelINS0_14default_configENS1_20scan_config_selectorIfEEZZNS1_9scan_implILNS1_25lookback_scan_determinismE0ELb1ELb1ES3_N6thrust23THRUST_200600_302600_NS6detail15normal_iteratorINS9_10device_ptrIjEEEENSB_INSC_IfEEEEfNS9_4plusIvEEfEEDaPvRmT3_T4_T5_mT6_P12ihipStream_tbENKUlT_T0_E_clISt17integral_constantIbLb0EESV_IbLb1EEEEDaSR_SS_EUlSR_E0_NS1_11comp_targetILNS1_3genE10ELNS1_11target_archE1201ELNS1_3gpuE5ELNS1_3repE0EEENS1_30default_config_static_selectorELNS0_4arch9wavefront6targetE1EEEvT1_,comdat
.Lfunc_end6156:
	.size	_ZN7rocprim17ROCPRIM_400000_NS6detail17trampoline_kernelINS0_14default_configENS1_20scan_config_selectorIfEEZZNS1_9scan_implILNS1_25lookback_scan_determinismE0ELb1ELb1ES3_N6thrust23THRUST_200600_302600_NS6detail15normal_iteratorINS9_10device_ptrIjEEEENSB_INSC_IfEEEEfNS9_4plusIvEEfEEDaPvRmT3_T4_T5_mT6_P12ihipStream_tbENKUlT_T0_E_clISt17integral_constantIbLb0EESV_IbLb1EEEEDaSR_SS_EUlSR_E0_NS1_11comp_targetILNS1_3genE10ELNS1_11target_archE1201ELNS1_3gpuE5ELNS1_3repE0EEENS1_30default_config_static_selectorELNS0_4arch9wavefront6targetE1EEEvT1_, .Lfunc_end6156-_ZN7rocprim17ROCPRIM_400000_NS6detail17trampoline_kernelINS0_14default_configENS1_20scan_config_selectorIfEEZZNS1_9scan_implILNS1_25lookback_scan_determinismE0ELb1ELb1ES3_N6thrust23THRUST_200600_302600_NS6detail15normal_iteratorINS9_10device_ptrIjEEEENSB_INSC_IfEEEEfNS9_4plusIvEEfEEDaPvRmT3_T4_T5_mT6_P12ihipStream_tbENKUlT_T0_E_clISt17integral_constantIbLb0EESV_IbLb1EEEEDaSR_SS_EUlSR_E0_NS1_11comp_targetILNS1_3genE10ELNS1_11target_archE1201ELNS1_3gpuE5ELNS1_3repE0EEENS1_30default_config_static_selectorELNS0_4arch9wavefront6targetE1EEEvT1_
                                        ; -- End function
	.section	.AMDGPU.csdata,"",@progbits
; Kernel info:
; codeLenInByte = 0
; NumSgprs: 4
; NumVgprs: 0
; NumAgprs: 0
; TotalNumVgprs: 0
; ScratchSize: 0
; MemoryBound: 0
; FloatMode: 240
; IeeeMode: 1
; LDSByteSize: 0 bytes/workgroup (compile time only)
; SGPRBlocks: 0
; VGPRBlocks: 0
; NumSGPRsForWavesPerEU: 4
; NumVGPRsForWavesPerEU: 1
; AccumOffset: 4
; Occupancy: 8
; WaveLimiterHint : 0
; COMPUTE_PGM_RSRC2:SCRATCH_EN: 0
; COMPUTE_PGM_RSRC2:USER_SGPR: 6
; COMPUTE_PGM_RSRC2:TRAP_HANDLER: 0
; COMPUTE_PGM_RSRC2:TGID_X_EN: 1
; COMPUTE_PGM_RSRC2:TGID_Y_EN: 0
; COMPUTE_PGM_RSRC2:TGID_Z_EN: 0
; COMPUTE_PGM_RSRC2:TIDIG_COMP_CNT: 0
; COMPUTE_PGM_RSRC3_GFX90A:ACCUM_OFFSET: 0
; COMPUTE_PGM_RSRC3_GFX90A:TG_SPLIT: 0
	.section	.text._ZN7rocprim17ROCPRIM_400000_NS6detail17trampoline_kernelINS0_14default_configENS1_20scan_config_selectorIfEEZZNS1_9scan_implILNS1_25lookback_scan_determinismE0ELb1ELb1ES3_N6thrust23THRUST_200600_302600_NS6detail15normal_iteratorINS9_10device_ptrIjEEEENSB_INSC_IfEEEEfNS9_4plusIvEEfEEDaPvRmT3_T4_T5_mT6_P12ihipStream_tbENKUlT_T0_E_clISt17integral_constantIbLb0EESV_IbLb1EEEEDaSR_SS_EUlSR_E0_NS1_11comp_targetILNS1_3genE10ELNS1_11target_archE1200ELNS1_3gpuE4ELNS1_3repE0EEENS1_30default_config_static_selectorELNS0_4arch9wavefront6targetE1EEEvT1_,"axG",@progbits,_ZN7rocprim17ROCPRIM_400000_NS6detail17trampoline_kernelINS0_14default_configENS1_20scan_config_selectorIfEEZZNS1_9scan_implILNS1_25lookback_scan_determinismE0ELb1ELb1ES3_N6thrust23THRUST_200600_302600_NS6detail15normal_iteratorINS9_10device_ptrIjEEEENSB_INSC_IfEEEEfNS9_4plusIvEEfEEDaPvRmT3_T4_T5_mT6_P12ihipStream_tbENKUlT_T0_E_clISt17integral_constantIbLb0EESV_IbLb1EEEEDaSR_SS_EUlSR_E0_NS1_11comp_targetILNS1_3genE10ELNS1_11target_archE1200ELNS1_3gpuE4ELNS1_3repE0EEENS1_30default_config_static_selectorELNS0_4arch9wavefront6targetE1EEEvT1_,comdat
	.protected	_ZN7rocprim17ROCPRIM_400000_NS6detail17trampoline_kernelINS0_14default_configENS1_20scan_config_selectorIfEEZZNS1_9scan_implILNS1_25lookback_scan_determinismE0ELb1ELb1ES3_N6thrust23THRUST_200600_302600_NS6detail15normal_iteratorINS9_10device_ptrIjEEEENSB_INSC_IfEEEEfNS9_4plusIvEEfEEDaPvRmT3_T4_T5_mT6_P12ihipStream_tbENKUlT_T0_E_clISt17integral_constantIbLb0EESV_IbLb1EEEEDaSR_SS_EUlSR_E0_NS1_11comp_targetILNS1_3genE10ELNS1_11target_archE1200ELNS1_3gpuE4ELNS1_3repE0EEENS1_30default_config_static_selectorELNS0_4arch9wavefront6targetE1EEEvT1_ ; -- Begin function _ZN7rocprim17ROCPRIM_400000_NS6detail17trampoline_kernelINS0_14default_configENS1_20scan_config_selectorIfEEZZNS1_9scan_implILNS1_25lookback_scan_determinismE0ELb1ELb1ES3_N6thrust23THRUST_200600_302600_NS6detail15normal_iteratorINS9_10device_ptrIjEEEENSB_INSC_IfEEEEfNS9_4plusIvEEfEEDaPvRmT3_T4_T5_mT6_P12ihipStream_tbENKUlT_T0_E_clISt17integral_constantIbLb0EESV_IbLb1EEEEDaSR_SS_EUlSR_E0_NS1_11comp_targetILNS1_3genE10ELNS1_11target_archE1200ELNS1_3gpuE4ELNS1_3repE0EEENS1_30default_config_static_selectorELNS0_4arch9wavefront6targetE1EEEvT1_
	.globl	_ZN7rocprim17ROCPRIM_400000_NS6detail17trampoline_kernelINS0_14default_configENS1_20scan_config_selectorIfEEZZNS1_9scan_implILNS1_25lookback_scan_determinismE0ELb1ELb1ES3_N6thrust23THRUST_200600_302600_NS6detail15normal_iteratorINS9_10device_ptrIjEEEENSB_INSC_IfEEEEfNS9_4plusIvEEfEEDaPvRmT3_T4_T5_mT6_P12ihipStream_tbENKUlT_T0_E_clISt17integral_constantIbLb0EESV_IbLb1EEEEDaSR_SS_EUlSR_E0_NS1_11comp_targetILNS1_3genE10ELNS1_11target_archE1200ELNS1_3gpuE4ELNS1_3repE0EEENS1_30default_config_static_selectorELNS0_4arch9wavefront6targetE1EEEvT1_
	.p2align	8
	.type	_ZN7rocprim17ROCPRIM_400000_NS6detail17trampoline_kernelINS0_14default_configENS1_20scan_config_selectorIfEEZZNS1_9scan_implILNS1_25lookback_scan_determinismE0ELb1ELb1ES3_N6thrust23THRUST_200600_302600_NS6detail15normal_iteratorINS9_10device_ptrIjEEEENSB_INSC_IfEEEEfNS9_4plusIvEEfEEDaPvRmT3_T4_T5_mT6_P12ihipStream_tbENKUlT_T0_E_clISt17integral_constantIbLb0EESV_IbLb1EEEEDaSR_SS_EUlSR_E0_NS1_11comp_targetILNS1_3genE10ELNS1_11target_archE1200ELNS1_3gpuE4ELNS1_3repE0EEENS1_30default_config_static_selectorELNS0_4arch9wavefront6targetE1EEEvT1_,@function
_ZN7rocprim17ROCPRIM_400000_NS6detail17trampoline_kernelINS0_14default_configENS1_20scan_config_selectorIfEEZZNS1_9scan_implILNS1_25lookback_scan_determinismE0ELb1ELb1ES3_N6thrust23THRUST_200600_302600_NS6detail15normal_iteratorINS9_10device_ptrIjEEEENSB_INSC_IfEEEEfNS9_4plusIvEEfEEDaPvRmT3_T4_T5_mT6_P12ihipStream_tbENKUlT_T0_E_clISt17integral_constantIbLb0EESV_IbLb1EEEEDaSR_SS_EUlSR_E0_NS1_11comp_targetILNS1_3genE10ELNS1_11target_archE1200ELNS1_3gpuE4ELNS1_3repE0EEENS1_30default_config_static_selectorELNS0_4arch9wavefront6targetE1EEEvT1_: ; @_ZN7rocprim17ROCPRIM_400000_NS6detail17trampoline_kernelINS0_14default_configENS1_20scan_config_selectorIfEEZZNS1_9scan_implILNS1_25lookback_scan_determinismE0ELb1ELb1ES3_N6thrust23THRUST_200600_302600_NS6detail15normal_iteratorINS9_10device_ptrIjEEEENSB_INSC_IfEEEEfNS9_4plusIvEEfEEDaPvRmT3_T4_T5_mT6_P12ihipStream_tbENKUlT_T0_E_clISt17integral_constantIbLb0EESV_IbLb1EEEEDaSR_SS_EUlSR_E0_NS1_11comp_targetILNS1_3genE10ELNS1_11target_archE1200ELNS1_3gpuE4ELNS1_3repE0EEENS1_30default_config_static_selectorELNS0_4arch9wavefront6targetE1EEEvT1_
; %bb.0:
	.section	.rodata,"a",@progbits
	.p2align	6, 0x0
	.amdhsa_kernel _ZN7rocprim17ROCPRIM_400000_NS6detail17trampoline_kernelINS0_14default_configENS1_20scan_config_selectorIfEEZZNS1_9scan_implILNS1_25lookback_scan_determinismE0ELb1ELb1ES3_N6thrust23THRUST_200600_302600_NS6detail15normal_iteratorINS9_10device_ptrIjEEEENSB_INSC_IfEEEEfNS9_4plusIvEEfEEDaPvRmT3_T4_T5_mT6_P12ihipStream_tbENKUlT_T0_E_clISt17integral_constantIbLb0EESV_IbLb1EEEEDaSR_SS_EUlSR_E0_NS1_11comp_targetILNS1_3genE10ELNS1_11target_archE1200ELNS1_3gpuE4ELNS1_3repE0EEENS1_30default_config_static_selectorELNS0_4arch9wavefront6targetE1EEEvT1_
		.amdhsa_group_segment_fixed_size 0
		.amdhsa_private_segment_fixed_size 0
		.amdhsa_kernarg_size 32
		.amdhsa_user_sgpr_count 6
		.amdhsa_user_sgpr_private_segment_buffer 1
		.amdhsa_user_sgpr_dispatch_ptr 0
		.amdhsa_user_sgpr_queue_ptr 0
		.amdhsa_user_sgpr_kernarg_segment_ptr 1
		.amdhsa_user_sgpr_dispatch_id 0
		.amdhsa_user_sgpr_flat_scratch_init 0
		.amdhsa_user_sgpr_kernarg_preload_length 0
		.amdhsa_user_sgpr_kernarg_preload_offset 0
		.amdhsa_user_sgpr_private_segment_size 0
		.amdhsa_uses_dynamic_stack 0
		.amdhsa_system_sgpr_private_segment_wavefront_offset 0
		.amdhsa_system_sgpr_workgroup_id_x 1
		.amdhsa_system_sgpr_workgroup_id_y 0
		.amdhsa_system_sgpr_workgroup_id_z 0
		.amdhsa_system_sgpr_workgroup_info 0
		.amdhsa_system_vgpr_workitem_id 0
		.amdhsa_next_free_vgpr 1
		.amdhsa_next_free_sgpr 0
		.amdhsa_accum_offset 4
		.amdhsa_reserve_vcc 0
		.amdhsa_reserve_flat_scratch 0
		.amdhsa_float_round_mode_32 0
		.amdhsa_float_round_mode_16_64 0
		.amdhsa_float_denorm_mode_32 3
		.amdhsa_float_denorm_mode_16_64 3
		.amdhsa_dx10_clamp 1
		.amdhsa_ieee_mode 1
		.amdhsa_fp16_overflow 0
		.amdhsa_tg_split 0
		.amdhsa_exception_fp_ieee_invalid_op 0
		.amdhsa_exception_fp_denorm_src 0
		.amdhsa_exception_fp_ieee_div_zero 0
		.amdhsa_exception_fp_ieee_overflow 0
		.amdhsa_exception_fp_ieee_underflow 0
		.amdhsa_exception_fp_ieee_inexact 0
		.amdhsa_exception_int_div_zero 0
	.end_amdhsa_kernel
	.section	.text._ZN7rocprim17ROCPRIM_400000_NS6detail17trampoline_kernelINS0_14default_configENS1_20scan_config_selectorIfEEZZNS1_9scan_implILNS1_25lookback_scan_determinismE0ELb1ELb1ES3_N6thrust23THRUST_200600_302600_NS6detail15normal_iteratorINS9_10device_ptrIjEEEENSB_INSC_IfEEEEfNS9_4plusIvEEfEEDaPvRmT3_T4_T5_mT6_P12ihipStream_tbENKUlT_T0_E_clISt17integral_constantIbLb0EESV_IbLb1EEEEDaSR_SS_EUlSR_E0_NS1_11comp_targetILNS1_3genE10ELNS1_11target_archE1200ELNS1_3gpuE4ELNS1_3repE0EEENS1_30default_config_static_selectorELNS0_4arch9wavefront6targetE1EEEvT1_,"axG",@progbits,_ZN7rocprim17ROCPRIM_400000_NS6detail17trampoline_kernelINS0_14default_configENS1_20scan_config_selectorIfEEZZNS1_9scan_implILNS1_25lookback_scan_determinismE0ELb1ELb1ES3_N6thrust23THRUST_200600_302600_NS6detail15normal_iteratorINS9_10device_ptrIjEEEENSB_INSC_IfEEEEfNS9_4plusIvEEfEEDaPvRmT3_T4_T5_mT6_P12ihipStream_tbENKUlT_T0_E_clISt17integral_constantIbLb0EESV_IbLb1EEEEDaSR_SS_EUlSR_E0_NS1_11comp_targetILNS1_3genE10ELNS1_11target_archE1200ELNS1_3gpuE4ELNS1_3repE0EEENS1_30default_config_static_selectorELNS0_4arch9wavefront6targetE1EEEvT1_,comdat
.Lfunc_end6157:
	.size	_ZN7rocprim17ROCPRIM_400000_NS6detail17trampoline_kernelINS0_14default_configENS1_20scan_config_selectorIfEEZZNS1_9scan_implILNS1_25lookback_scan_determinismE0ELb1ELb1ES3_N6thrust23THRUST_200600_302600_NS6detail15normal_iteratorINS9_10device_ptrIjEEEENSB_INSC_IfEEEEfNS9_4plusIvEEfEEDaPvRmT3_T4_T5_mT6_P12ihipStream_tbENKUlT_T0_E_clISt17integral_constantIbLb0EESV_IbLb1EEEEDaSR_SS_EUlSR_E0_NS1_11comp_targetILNS1_3genE10ELNS1_11target_archE1200ELNS1_3gpuE4ELNS1_3repE0EEENS1_30default_config_static_selectorELNS0_4arch9wavefront6targetE1EEEvT1_, .Lfunc_end6157-_ZN7rocprim17ROCPRIM_400000_NS6detail17trampoline_kernelINS0_14default_configENS1_20scan_config_selectorIfEEZZNS1_9scan_implILNS1_25lookback_scan_determinismE0ELb1ELb1ES3_N6thrust23THRUST_200600_302600_NS6detail15normal_iteratorINS9_10device_ptrIjEEEENSB_INSC_IfEEEEfNS9_4plusIvEEfEEDaPvRmT3_T4_T5_mT6_P12ihipStream_tbENKUlT_T0_E_clISt17integral_constantIbLb0EESV_IbLb1EEEEDaSR_SS_EUlSR_E0_NS1_11comp_targetILNS1_3genE10ELNS1_11target_archE1200ELNS1_3gpuE4ELNS1_3repE0EEENS1_30default_config_static_selectorELNS0_4arch9wavefront6targetE1EEEvT1_
                                        ; -- End function
	.section	.AMDGPU.csdata,"",@progbits
; Kernel info:
; codeLenInByte = 0
; NumSgprs: 4
; NumVgprs: 0
; NumAgprs: 0
; TotalNumVgprs: 0
; ScratchSize: 0
; MemoryBound: 0
; FloatMode: 240
; IeeeMode: 1
; LDSByteSize: 0 bytes/workgroup (compile time only)
; SGPRBlocks: 0
; VGPRBlocks: 0
; NumSGPRsForWavesPerEU: 4
; NumVGPRsForWavesPerEU: 1
; AccumOffset: 4
; Occupancy: 8
; WaveLimiterHint : 0
; COMPUTE_PGM_RSRC2:SCRATCH_EN: 0
; COMPUTE_PGM_RSRC2:USER_SGPR: 6
; COMPUTE_PGM_RSRC2:TRAP_HANDLER: 0
; COMPUTE_PGM_RSRC2:TGID_X_EN: 1
; COMPUTE_PGM_RSRC2:TGID_Y_EN: 0
; COMPUTE_PGM_RSRC2:TGID_Z_EN: 0
; COMPUTE_PGM_RSRC2:TIDIG_COMP_CNT: 0
; COMPUTE_PGM_RSRC3_GFX90A:ACCUM_OFFSET: 0
; COMPUTE_PGM_RSRC3_GFX90A:TG_SPLIT: 0
	.section	.text._ZN7rocprim17ROCPRIM_400000_NS6detail17trampoline_kernelINS0_14default_configENS1_20scan_config_selectorIfEEZZNS1_9scan_implILNS1_25lookback_scan_determinismE0ELb1ELb1ES3_N6thrust23THRUST_200600_302600_NS6detail15normal_iteratorINS9_10device_ptrIjEEEENSB_INSC_IfEEEEfNS9_4plusIvEEfEEDaPvRmT3_T4_T5_mT6_P12ihipStream_tbENKUlT_T0_E_clISt17integral_constantIbLb0EESV_IbLb1EEEEDaSR_SS_EUlSR_E0_NS1_11comp_targetILNS1_3genE9ELNS1_11target_archE1100ELNS1_3gpuE3ELNS1_3repE0EEENS1_30default_config_static_selectorELNS0_4arch9wavefront6targetE1EEEvT1_,"axG",@progbits,_ZN7rocprim17ROCPRIM_400000_NS6detail17trampoline_kernelINS0_14default_configENS1_20scan_config_selectorIfEEZZNS1_9scan_implILNS1_25lookback_scan_determinismE0ELb1ELb1ES3_N6thrust23THRUST_200600_302600_NS6detail15normal_iteratorINS9_10device_ptrIjEEEENSB_INSC_IfEEEEfNS9_4plusIvEEfEEDaPvRmT3_T4_T5_mT6_P12ihipStream_tbENKUlT_T0_E_clISt17integral_constantIbLb0EESV_IbLb1EEEEDaSR_SS_EUlSR_E0_NS1_11comp_targetILNS1_3genE9ELNS1_11target_archE1100ELNS1_3gpuE3ELNS1_3repE0EEENS1_30default_config_static_selectorELNS0_4arch9wavefront6targetE1EEEvT1_,comdat
	.protected	_ZN7rocprim17ROCPRIM_400000_NS6detail17trampoline_kernelINS0_14default_configENS1_20scan_config_selectorIfEEZZNS1_9scan_implILNS1_25lookback_scan_determinismE0ELb1ELb1ES3_N6thrust23THRUST_200600_302600_NS6detail15normal_iteratorINS9_10device_ptrIjEEEENSB_INSC_IfEEEEfNS9_4plusIvEEfEEDaPvRmT3_T4_T5_mT6_P12ihipStream_tbENKUlT_T0_E_clISt17integral_constantIbLb0EESV_IbLb1EEEEDaSR_SS_EUlSR_E0_NS1_11comp_targetILNS1_3genE9ELNS1_11target_archE1100ELNS1_3gpuE3ELNS1_3repE0EEENS1_30default_config_static_selectorELNS0_4arch9wavefront6targetE1EEEvT1_ ; -- Begin function _ZN7rocprim17ROCPRIM_400000_NS6detail17trampoline_kernelINS0_14default_configENS1_20scan_config_selectorIfEEZZNS1_9scan_implILNS1_25lookback_scan_determinismE0ELb1ELb1ES3_N6thrust23THRUST_200600_302600_NS6detail15normal_iteratorINS9_10device_ptrIjEEEENSB_INSC_IfEEEEfNS9_4plusIvEEfEEDaPvRmT3_T4_T5_mT6_P12ihipStream_tbENKUlT_T0_E_clISt17integral_constantIbLb0EESV_IbLb1EEEEDaSR_SS_EUlSR_E0_NS1_11comp_targetILNS1_3genE9ELNS1_11target_archE1100ELNS1_3gpuE3ELNS1_3repE0EEENS1_30default_config_static_selectorELNS0_4arch9wavefront6targetE1EEEvT1_
	.globl	_ZN7rocprim17ROCPRIM_400000_NS6detail17trampoline_kernelINS0_14default_configENS1_20scan_config_selectorIfEEZZNS1_9scan_implILNS1_25lookback_scan_determinismE0ELb1ELb1ES3_N6thrust23THRUST_200600_302600_NS6detail15normal_iteratorINS9_10device_ptrIjEEEENSB_INSC_IfEEEEfNS9_4plusIvEEfEEDaPvRmT3_T4_T5_mT6_P12ihipStream_tbENKUlT_T0_E_clISt17integral_constantIbLb0EESV_IbLb1EEEEDaSR_SS_EUlSR_E0_NS1_11comp_targetILNS1_3genE9ELNS1_11target_archE1100ELNS1_3gpuE3ELNS1_3repE0EEENS1_30default_config_static_selectorELNS0_4arch9wavefront6targetE1EEEvT1_
	.p2align	8
	.type	_ZN7rocprim17ROCPRIM_400000_NS6detail17trampoline_kernelINS0_14default_configENS1_20scan_config_selectorIfEEZZNS1_9scan_implILNS1_25lookback_scan_determinismE0ELb1ELb1ES3_N6thrust23THRUST_200600_302600_NS6detail15normal_iteratorINS9_10device_ptrIjEEEENSB_INSC_IfEEEEfNS9_4plusIvEEfEEDaPvRmT3_T4_T5_mT6_P12ihipStream_tbENKUlT_T0_E_clISt17integral_constantIbLb0EESV_IbLb1EEEEDaSR_SS_EUlSR_E0_NS1_11comp_targetILNS1_3genE9ELNS1_11target_archE1100ELNS1_3gpuE3ELNS1_3repE0EEENS1_30default_config_static_selectorELNS0_4arch9wavefront6targetE1EEEvT1_,@function
_ZN7rocprim17ROCPRIM_400000_NS6detail17trampoline_kernelINS0_14default_configENS1_20scan_config_selectorIfEEZZNS1_9scan_implILNS1_25lookback_scan_determinismE0ELb1ELb1ES3_N6thrust23THRUST_200600_302600_NS6detail15normal_iteratorINS9_10device_ptrIjEEEENSB_INSC_IfEEEEfNS9_4plusIvEEfEEDaPvRmT3_T4_T5_mT6_P12ihipStream_tbENKUlT_T0_E_clISt17integral_constantIbLb0EESV_IbLb1EEEEDaSR_SS_EUlSR_E0_NS1_11comp_targetILNS1_3genE9ELNS1_11target_archE1100ELNS1_3gpuE3ELNS1_3repE0EEENS1_30default_config_static_selectorELNS0_4arch9wavefront6targetE1EEEvT1_: ; @_ZN7rocprim17ROCPRIM_400000_NS6detail17trampoline_kernelINS0_14default_configENS1_20scan_config_selectorIfEEZZNS1_9scan_implILNS1_25lookback_scan_determinismE0ELb1ELb1ES3_N6thrust23THRUST_200600_302600_NS6detail15normal_iteratorINS9_10device_ptrIjEEEENSB_INSC_IfEEEEfNS9_4plusIvEEfEEDaPvRmT3_T4_T5_mT6_P12ihipStream_tbENKUlT_T0_E_clISt17integral_constantIbLb0EESV_IbLb1EEEEDaSR_SS_EUlSR_E0_NS1_11comp_targetILNS1_3genE9ELNS1_11target_archE1100ELNS1_3gpuE3ELNS1_3repE0EEENS1_30default_config_static_selectorELNS0_4arch9wavefront6targetE1EEEvT1_
; %bb.0:
	.section	.rodata,"a",@progbits
	.p2align	6, 0x0
	.amdhsa_kernel _ZN7rocprim17ROCPRIM_400000_NS6detail17trampoline_kernelINS0_14default_configENS1_20scan_config_selectorIfEEZZNS1_9scan_implILNS1_25lookback_scan_determinismE0ELb1ELb1ES3_N6thrust23THRUST_200600_302600_NS6detail15normal_iteratorINS9_10device_ptrIjEEEENSB_INSC_IfEEEEfNS9_4plusIvEEfEEDaPvRmT3_T4_T5_mT6_P12ihipStream_tbENKUlT_T0_E_clISt17integral_constantIbLb0EESV_IbLb1EEEEDaSR_SS_EUlSR_E0_NS1_11comp_targetILNS1_3genE9ELNS1_11target_archE1100ELNS1_3gpuE3ELNS1_3repE0EEENS1_30default_config_static_selectorELNS0_4arch9wavefront6targetE1EEEvT1_
		.amdhsa_group_segment_fixed_size 0
		.amdhsa_private_segment_fixed_size 0
		.amdhsa_kernarg_size 32
		.amdhsa_user_sgpr_count 6
		.amdhsa_user_sgpr_private_segment_buffer 1
		.amdhsa_user_sgpr_dispatch_ptr 0
		.amdhsa_user_sgpr_queue_ptr 0
		.amdhsa_user_sgpr_kernarg_segment_ptr 1
		.amdhsa_user_sgpr_dispatch_id 0
		.amdhsa_user_sgpr_flat_scratch_init 0
		.amdhsa_user_sgpr_kernarg_preload_length 0
		.amdhsa_user_sgpr_kernarg_preload_offset 0
		.amdhsa_user_sgpr_private_segment_size 0
		.amdhsa_uses_dynamic_stack 0
		.amdhsa_system_sgpr_private_segment_wavefront_offset 0
		.amdhsa_system_sgpr_workgroup_id_x 1
		.amdhsa_system_sgpr_workgroup_id_y 0
		.amdhsa_system_sgpr_workgroup_id_z 0
		.amdhsa_system_sgpr_workgroup_info 0
		.amdhsa_system_vgpr_workitem_id 0
		.amdhsa_next_free_vgpr 1
		.amdhsa_next_free_sgpr 0
		.amdhsa_accum_offset 4
		.amdhsa_reserve_vcc 0
		.amdhsa_reserve_flat_scratch 0
		.amdhsa_float_round_mode_32 0
		.amdhsa_float_round_mode_16_64 0
		.amdhsa_float_denorm_mode_32 3
		.amdhsa_float_denorm_mode_16_64 3
		.amdhsa_dx10_clamp 1
		.amdhsa_ieee_mode 1
		.amdhsa_fp16_overflow 0
		.amdhsa_tg_split 0
		.amdhsa_exception_fp_ieee_invalid_op 0
		.amdhsa_exception_fp_denorm_src 0
		.amdhsa_exception_fp_ieee_div_zero 0
		.amdhsa_exception_fp_ieee_overflow 0
		.amdhsa_exception_fp_ieee_underflow 0
		.amdhsa_exception_fp_ieee_inexact 0
		.amdhsa_exception_int_div_zero 0
	.end_amdhsa_kernel
	.section	.text._ZN7rocprim17ROCPRIM_400000_NS6detail17trampoline_kernelINS0_14default_configENS1_20scan_config_selectorIfEEZZNS1_9scan_implILNS1_25lookback_scan_determinismE0ELb1ELb1ES3_N6thrust23THRUST_200600_302600_NS6detail15normal_iteratorINS9_10device_ptrIjEEEENSB_INSC_IfEEEEfNS9_4plusIvEEfEEDaPvRmT3_T4_T5_mT6_P12ihipStream_tbENKUlT_T0_E_clISt17integral_constantIbLb0EESV_IbLb1EEEEDaSR_SS_EUlSR_E0_NS1_11comp_targetILNS1_3genE9ELNS1_11target_archE1100ELNS1_3gpuE3ELNS1_3repE0EEENS1_30default_config_static_selectorELNS0_4arch9wavefront6targetE1EEEvT1_,"axG",@progbits,_ZN7rocprim17ROCPRIM_400000_NS6detail17trampoline_kernelINS0_14default_configENS1_20scan_config_selectorIfEEZZNS1_9scan_implILNS1_25lookback_scan_determinismE0ELb1ELb1ES3_N6thrust23THRUST_200600_302600_NS6detail15normal_iteratorINS9_10device_ptrIjEEEENSB_INSC_IfEEEEfNS9_4plusIvEEfEEDaPvRmT3_T4_T5_mT6_P12ihipStream_tbENKUlT_T0_E_clISt17integral_constantIbLb0EESV_IbLb1EEEEDaSR_SS_EUlSR_E0_NS1_11comp_targetILNS1_3genE9ELNS1_11target_archE1100ELNS1_3gpuE3ELNS1_3repE0EEENS1_30default_config_static_selectorELNS0_4arch9wavefront6targetE1EEEvT1_,comdat
.Lfunc_end6158:
	.size	_ZN7rocprim17ROCPRIM_400000_NS6detail17trampoline_kernelINS0_14default_configENS1_20scan_config_selectorIfEEZZNS1_9scan_implILNS1_25lookback_scan_determinismE0ELb1ELb1ES3_N6thrust23THRUST_200600_302600_NS6detail15normal_iteratorINS9_10device_ptrIjEEEENSB_INSC_IfEEEEfNS9_4plusIvEEfEEDaPvRmT3_T4_T5_mT6_P12ihipStream_tbENKUlT_T0_E_clISt17integral_constantIbLb0EESV_IbLb1EEEEDaSR_SS_EUlSR_E0_NS1_11comp_targetILNS1_3genE9ELNS1_11target_archE1100ELNS1_3gpuE3ELNS1_3repE0EEENS1_30default_config_static_selectorELNS0_4arch9wavefront6targetE1EEEvT1_, .Lfunc_end6158-_ZN7rocprim17ROCPRIM_400000_NS6detail17trampoline_kernelINS0_14default_configENS1_20scan_config_selectorIfEEZZNS1_9scan_implILNS1_25lookback_scan_determinismE0ELb1ELb1ES3_N6thrust23THRUST_200600_302600_NS6detail15normal_iteratorINS9_10device_ptrIjEEEENSB_INSC_IfEEEEfNS9_4plusIvEEfEEDaPvRmT3_T4_T5_mT6_P12ihipStream_tbENKUlT_T0_E_clISt17integral_constantIbLb0EESV_IbLb1EEEEDaSR_SS_EUlSR_E0_NS1_11comp_targetILNS1_3genE9ELNS1_11target_archE1100ELNS1_3gpuE3ELNS1_3repE0EEENS1_30default_config_static_selectorELNS0_4arch9wavefront6targetE1EEEvT1_
                                        ; -- End function
	.section	.AMDGPU.csdata,"",@progbits
; Kernel info:
; codeLenInByte = 0
; NumSgprs: 4
; NumVgprs: 0
; NumAgprs: 0
; TotalNumVgprs: 0
; ScratchSize: 0
; MemoryBound: 0
; FloatMode: 240
; IeeeMode: 1
; LDSByteSize: 0 bytes/workgroup (compile time only)
; SGPRBlocks: 0
; VGPRBlocks: 0
; NumSGPRsForWavesPerEU: 4
; NumVGPRsForWavesPerEU: 1
; AccumOffset: 4
; Occupancy: 8
; WaveLimiterHint : 0
; COMPUTE_PGM_RSRC2:SCRATCH_EN: 0
; COMPUTE_PGM_RSRC2:USER_SGPR: 6
; COMPUTE_PGM_RSRC2:TRAP_HANDLER: 0
; COMPUTE_PGM_RSRC2:TGID_X_EN: 1
; COMPUTE_PGM_RSRC2:TGID_Y_EN: 0
; COMPUTE_PGM_RSRC2:TGID_Z_EN: 0
; COMPUTE_PGM_RSRC2:TIDIG_COMP_CNT: 0
; COMPUTE_PGM_RSRC3_GFX90A:ACCUM_OFFSET: 0
; COMPUTE_PGM_RSRC3_GFX90A:TG_SPLIT: 0
	.section	.text._ZN7rocprim17ROCPRIM_400000_NS6detail17trampoline_kernelINS0_14default_configENS1_20scan_config_selectorIfEEZZNS1_9scan_implILNS1_25lookback_scan_determinismE0ELb1ELb1ES3_N6thrust23THRUST_200600_302600_NS6detail15normal_iteratorINS9_10device_ptrIjEEEENSB_INSC_IfEEEEfNS9_4plusIvEEfEEDaPvRmT3_T4_T5_mT6_P12ihipStream_tbENKUlT_T0_E_clISt17integral_constantIbLb0EESV_IbLb1EEEEDaSR_SS_EUlSR_E0_NS1_11comp_targetILNS1_3genE8ELNS1_11target_archE1030ELNS1_3gpuE2ELNS1_3repE0EEENS1_30default_config_static_selectorELNS0_4arch9wavefront6targetE1EEEvT1_,"axG",@progbits,_ZN7rocprim17ROCPRIM_400000_NS6detail17trampoline_kernelINS0_14default_configENS1_20scan_config_selectorIfEEZZNS1_9scan_implILNS1_25lookback_scan_determinismE0ELb1ELb1ES3_N6thrust23THRUST_200600_302600_NS6detail15normal_iteratorINS9_10device_ptrIjEEEENSB_INSC_IfEEEEfNS9_4plusIvEEfEEDaPvRmT3_T4_T5_mT6_P12ihipStream_tbENKUlT_T0_E_clISt17integral_constantIbLb0EESV_IbLb1EEEEDaSR_SS_EUlSR_E0_NS1_11comp_targetILNS1_3genE8ELNS1_11target_archE1030ELNS1_3gpuE2ELNS1_3repE0EEENS1_30default_config_static_selectorELNS0_4arch9wavefront6targetE1EEEvT1_,comdat
	.protected	_ZN7rocprim17ROCPRIM_400000_NS6detail17trampoline_kernelINS0_14default_configENS1_20scan_config_selectorIfEEZZNS1_9scan_implILNS1_25lookback_scan_determinismE0ELb1ELb1ES3_N6thrust23THRUST_200600_302600_NS6detail15normal_iteratorINS9_10device_ptrIjEEEENSB_INSC_IfEEEEfNS9_4plusIvEEfEEDaPvRmT3_T4_T5_mT6_P12ihipStream_tbENKUlT_T0_E_clISt17integral_constantIbLb0EESV_IbLb1EEEEDaSR_SS_EUlSR_E0_NS1_11comp_targetILNS1_3genE8ELNS1_11target_archE1030ELNS1_3gpuE2ELNS1_3repE0EEENS1_30default_config_static_selectorELNS0_4arch9wavefront6targetE1EEEvT1_ ; -- Begin function _ZN7rocprim17ROCPRIM_400000_NS6detail17trampoline_kernelINS0_14default_configENS1_20scan_config_selectorIfEEZZNS1_9scan_implILNS1_25lookback_scan_determinismE0ELb1ELb1ES3_N6thrust23THRUST_200600_302600_NS6detail15normal_iteratorINS9_10device_ptrIjEEEENSB_INSC_IfEEEEfNS9_4plusIvEEfEEDaPvRmT3_T4_T5_mT6_P12ihipStream_tbENKUlT_T0_E_clISt17integral_constantIbLb0EESV_IbLb1EEEEDaSR_SS_EUlSR_E0_NS1_11comp_targetILNS1_3genE8ELNS1_11target_archE1030ELNS1_3gpuE2ELNS1_3repE0EEENS1_30default_config_static_selectorELNS0_4arch9wavefront6targetE1EEEvT1_
	.globl	_ZN7rocprim17ROCPRIM_400000_NS6detail17trampoline_kernelINS0_14default_configENS1_20scan_config_selectorIfEEZZNS1_9scan_implILNS1_25lookback_scan_determinismE0ELb1ELb1ES3_N6thrust23THRUST_200600_302600_NS6detail15normal_iteratorINS9_10device_ptrIjEEEENSB_INSC_IfEEEEfNS9_4plusIvEEfEEDaPvRmT3_T4_T5_mT6_P12ihipStream_tbENKUlT_T0_E_clISt17integral_constantIbLb0EESV_IbLb1EEEEDaSR_SS_EUlSR_E0_NS1_11comp_targetILNS1_3genE8ELNS1_11target_archE1030ELNS1_3gpuE2ELNS1_3repE0EEENS1_30default_config_static_selectorELNS0_4arch9wavefront6targetE1EEEvT1_
	.p2align	8
	.type	_ZN7rocprim17ROCPRIM_400000_NS6detail17trampoline_kernelINS0_14default_configENS1_20scan_config_selectorIfEEZZNS1_9scan_implILNS1_25lookback_scan_determinismE0ELb1ELb1ES3_N6thrust23THRUST_200600_302600_NS6detail15normal_iteratorINS9_10device_ptrIjEEEENSB_INSC_IfEEEEfNS9_4plusIvEEfEEDaPvRmT3_T4_T5_mT6_P12ihipStream_tbENKUlT_T0_E_clISt17integral_constantIbLb0EESV_IbLb1EEEEDaSR_SS_EUlSR_E0_NS1_11comp_targetILNS1_3genE8ELNS1_11target_archE1030ELNS1_3gpuE2ELNS1_3repE0EEENS1_30default_config_static_selectorELNS0_4arch9wavefront6targetE1EEEvT1_,@function
_ZN7rocprim17ROCPRIM_400000_NS6detail17trampoline_kernelINS0_14default_configENS1_20scan_config_selectorIfEEZZNS1_9scan_implILNS1_25lookback_scan_determinismE0ELb1ELb1ES3_N6thrust23THRUST_200600_302600_NS6detail15normal_iteratorINS9_10device_ptrIjEEEENSB_INSC_IfEEEEfNS9_4plusIvEEfEEDaPvRmT3_T4_T5_mT6_P12ihipStream_tbENKUlT_T0_E_clISt17integral_constantIbLb0EESV_IbLb1EEEEDaSR_SS_EUlSR_E0_NS1_11comp_targetILNS1_3genE8ELNS1_11target_archE1030ELNS1_3gpuE2ELNS1_3repE0EEENS1_30default_config_static_selectorELNS0_4arch9wavefront6targetE1EEEvT1_: ; @_ZN7rocprim17ROCPRIM_400000_NS6detail17trampoline_kernelINS0_14default_configENS1_20scan_config_selectorIfEEZZNS1_9scan_implILNS1_25lookback_scan_determinismE0ELb1ELb1ES3_N6thrust23THRUST_200600_302600_NS6detail15normal_iteratorINS9_10device_ptrIjEEEENSB_INSC_IfEEEEfNS9_4plusIvEEfEEDaPvRmT3_T4_T5_mT6_P12ihipStream_tbENKUlT_T0_E_clISt17integral_constantIbLb0EESV_IbLb1EEEEDaSR_SS_EUlSR_E0_NS1_11comp_targetILNS1_3genE8ELNS1_11target_archE1030ELNS1_3gpuE2ELNS1_3repE0EEENS1_30default_config_static_selectorELNS0_4arch9wavefront6targetE1EEEvT1_
; %bb.0:
	.section	.rodata,"a",@progbits
	.p2align	6, 0x0
	.amdhsa_kernel _ZN7rocprim17ROCPRIM_400000_NS6detail17trampoline_kernelINS0_14default_configENS1_20scan_config_selectorIfEEZZNS1_9scan_implILNS1_25lookback_scan_determinismE0ELb1ELb1ES3_N6thrust23THRUST_200600_302600_NS6detail15normal_iteratorINS9_10device_ptrIjEEEENSB_INSC_IfEEEEfNS9_4plusIvEEfEEDaPvRmT3_T4_T5_mT6_P12ihipStream_tbENKUlT_T0_E_clISt17integral_constantIbLb0EESV_IbLb1EEEEDaSR_SS_EUlSR_E0_NS1_11comp_targetILNS1_3genE8ELNS1_11target_archE1030ELNS1_3gpuE2ELNS1_3repE0EEENS1_30default_config_static_selectorELNS0_4arch9wavefront6targetE1EEEvT1_
		.amdhsa_group_segment_fixed_size 0
		.amdhsa_private_segment_fixed_size 0
		.amdhsa_kernarg_size 32
		.amdhsa_user_sgpr_count 6
		.amdhsa_user_sgpr_private_segment_buffer 1
		.amdhsa_user_sgpr_dispatch_ptr 0
		.amdhsa_user_sgpr_queue_ptr 0
		.amdhsa_user_sgpr_kernarg_segment_ptr 1
		.amdhsa_user_sgpr_dispatch_id 0
		.amdhsa_user_sgpr_flat_scratch_init 0
		.amdhsa_user_sgpr_kernarg_preload_length 0
		.amdhsa_user_sgpr_kernarg_preload_offset 0
		.amdhsa_user_sgpr_private_segment_size 0
		.amdhsa_uses_dynamic_stack 0
		.amdhsa_system_sgpr_private_segment_wavefront_offset 0
		.amdhsa_system_sgpr_workgroup_id_x 1
		.amdhsa_system_sgpr_workgroup_id_y 0
		.amdhsa_system_sgpr_workgroup_id_z 0
		.amdhsa_system_sgpr_workgroup_info 0
		.amdhsa_system_vgpr_workitem_id 0
		.amdhsa_next_free_vgpr 1
		.amdhsa_next_free_sgpr 0
		.amdhsa_accum_offset 4
		.amdhsa_reserve_vcc 0
		.amdhsa_reserve_flat_scratch 0
		.amdhsa_float_round_mode_32 0
		.amdhsa_float_round_mode_16_64 0
		.amdhsa_float_denorm_mode_32 3
		.amdhsa_float_denorm_mode_16_64 3
		.amdhsa_dx10_clamp 1
		.amdhsa_ieee_mode 1
		.amdhsa_fp16_overflow 0
		.amdhsa_tg_split 0
		.amdhsa_exception_fp_ieee_invalid_op 0
		.amdhsa_exception_fp_denorm_src 0
		.amdhsa_exception_fp_ieee_div_zero 0
		.amdhsa_exception_fp_ieee_overflow 0
		.amdhsa_exception_fp_ieee_underflow 0
		.amdhsa_exception_fp_ieee_inexact 0
		.amdhsa_exception_int_div_zero 0
	.end_amdhsa_kernel
	.section	.text._ZN7rocprim17ROCPRIM_400000_NS6detail17trampoline_kernelINS0_14default_configENS1_20scan_config_selectorIfEEZZNS1_9scan_implILNS1_25lookback_scan_determinismE0ELb1ELb1ES3_N6thrust23THRUST_200600_302600_NS6detail15normal_iteratorINS9_10device_ptrIjEEEENSB_INSC_IfEEEEfNS9_4plusIvEEfEEDaPvRmT3_T4_T5_mT6_P12ihipStream_tbENKUlT_T0_E_clISt17integral_constantIbLb0EESV_IbLb1EEEEDaSR_SS_EUlSR_E0_NS1_11comp_targetILNS1_3genE8ELNS1_11target_archE1030ELNS1_3gpuE2ELNS1_3repE0EEENS1_30default_config_static_selectorELNS0_4arch9wavefront6targetE1EEEvT1_,"axG",@progbits,_ZN7rocprim17ROCPRIM_400000_NS6detail17trampoline_kernelINS0_14default_configENS1_20scan_config_selectorIfEEZZNS1_9scan_implILNS1_25lookback_scan_determinismE0ELb1ELb1ES3_N6thrust23THRUST_200600_302600_NS6detail15normal_iteratorINS9_10device_ptrIjEEEENSB_INSC_IfEEEEfNS9_4plusIvEEfEEDaPvRmT3_T4_T5_mT6_P12ihipStream_tbENKUlT_T0_E_clISt17integral_constantIbLb0EESV_IbLb1EEEEDaSR_SS_EUlSR_E0_NS1_11comp_targetILNS1_3genE8ELNS1_11target_archE1030ELNS1_3gpuE2ELNS1_3repE0EEENS1_30default_config_static_selectorELNS0_4arch9wavefront6targetE1EEEvT1_,comdat
.Lfunc_end6159:
	.size	_ZN7rocprim17ROCPRIM_400000_NS6detail17trampoline_kernelINS0_14default_configENS1_20scan_config_selectorIfEEZZNS1_9scan_implILNS1_25lookback_scan_determinismE0ELb1ELb1ES3_N6thrust23THRUST_200600_302600_NS6detail15normal_iteratorINS9_10device_ptrIjEEEENSB_INSC_IfEEEEfNS9_4plusIvEEfEEDaPvRmT3_T4_T5_mT6_P12ihipStream_tbENKUlT_T0_E_clISt17integral_constantIbLb0EESV_IbLb1EEEEDaSR_SS_EUlSR_E0_NS1_11comp_targetILNS1_3genE8ELNS1_11target_archE1030ELNS1_3gpuE2ELNS1_3repE0EEENS1_30default_config_static_selectorELNS0_4arch9wavefront6targetE1EEEvT1_, .Lfunc_end6159-_ZN7rocprim17ROCPRIM_400000_NS6detail17trampoline_kernelINS0_14default_configENS1_20scan_config_selectorIfEEZZNS1_9scan_implILNS1_25lookback_scan_determinismE0ELb1ELb1ES3_N6thrust23THRUST_200600_302600_NS6detail15normal_iteratorINS9_10device_ptrIjEEEENSB_INSC_IfEEEEfNS9_4plusIvEEfEEDaPvRmT3_T4_T5_mT6_P12ihipStream_tbENKUlT_T0_E_clISt17integral_constantIbLb0EESV_IbLb1EEEEDaSR_SS_EUlSR_E0_NS1_11comp_targetILNS1_3genE8ELNS1_11target_archE1030ELNS1_3gpuE2ELNS1_3repE0EEENS1_30default_config_static_selectorELNS0_4arch9wavefront6targetE1EEEvT1_
                                        ; -- End function
	.section	.AMDGPU.csdata,"",@progbits
; Kernel info:
; codeLenInByte = 0
; NumSgprs: 4
; NumVgprs: 0
; NumAgprs: 0
; TotalNumVgprs: 0
; ScratchSize: 0
; MemoryBound: 0
; FloatMode: 240
; IeeeMode: 1
; LDSByteSize: 0 bytes/workgroup (compile time only)
; SGPRBlocks: 0
; VGPRBlocks: 0
; NumSGPRsForWavesPerEU: 4
; NumVGPRsForWavesPerEU: 1
; AccumOffset: 4
; Occupancy: 8
; WaveLimiterHint : 0
; COMPUTE_PGM_RSRC2:SCRATCH_EN: 0
; COMPUTE_PGM_RSRC2:USER_SGPR: 6
; COMPUTE_PGM_RSRC2:TRAP_HANDLER: 0
; COMPUTE_PGM_RSRC2:TGID_X_EN: 1
; COMPUTE_PGM_RSRC2:TGID_Y_EN: 0
; COMPUTE_PGM_RSRC2:TGID_Z_EN: 0
; COMPUTE_PGM_RSRC2:TIDIG_COMP_CNT: 0
; COMPUTE_PGM_RSRC3_GFX90A:ACCUM_OFFSET: 0
; COMPUTE_PGM_RSRC3_GFX90A:TG_SPLIT: 0
	.section	.text._ZN7rocprim17ROCPRIM_400000_NS6detail17trampoline_kernelINS0_14default_configENS1_20scan_config_selectorIiEEZZNS1_9scan_implILNS1_25lookback_scan_determinismE0ELb1ELb1ES3_N6thrust23THRUST_200600_302600_NS6detail15normal_iteratorINS9_10device_ptrIjEEEENSB_INSC_IfEEEEiNS9_4plusIvEEiEEDaPvRmT3_T4_T5_mT6_P12ihipStream_tbENKUlT_T0_E_clISt17integral_constantIbLb0EESW_EEDaSR_SS_EUlSR_E_NS1_11comp_targetILNS1_3genE0ELNS1_11target_archE4294967295ELNS1_3gpuE0ELNS1_3repE0EEENS1_30default_config_static_selectorELNS0_4arch9wavefront6targetE1EEEvT1_,"axG",@progbits,_ZN7rocprim17ROCPRIM_400000_NS6detail17trampoline_kernelINS0_14default_configENS1_20scan_config_selectorIiEEZZNS1_9scan_implILNS1_25lookback_scan_determinismE0ELb1ELb1ES3_N6thrust23THRUST_200600_302600_NS6detail15normal_iteratorINS9_10device_ptrIjEEEENSB_INSC_IfEEEEiNS9_4plusIvEEiEEDaPvRmT3_T4_T5_mT6_P12ihipStream_tbENKUlT_T0_E_clISt17integral_constantIbLb0EESW_EEDaSR_SS_EUlSR_E_NS1_11comp_targetILNS1_3genE0ELNS1_11target_archE4294967295ELNS1_3gpuE0ELNS1_3repE0EEENS1_30default_config_static_selectorELNS0_4arch9wavefront6targetE1EEEvT1_,comdat
	.protected	_ZN7rocprim17ROCPRIM_400000_NS6detail17trampoline_kernelINS0_14default_configENS1_20scan_config_selectorIiEEZZNS1_9scan_implILNS1_25lookback_scan_determinismE0ELb1ELb1ES3_N6thrust23THRUST_200600_302600_NS6detail15normal_iteratorINS9_10device_ptrIjEEEENSB_INSC_IfEEEEiNS9_4plusIvEEiEEDaPvRmT3_T4_T5_mT6_P12ihipStream_tbENKUlT_T0_E_clISt17integral_constantIbLb0EESW_EEDaSR_SS_EUlSR_E_NS1_11comp_targetILNS1_3genE0ELNS1_11target_archE4294967295ELNS1_3gpuE0ELNS1_3repE0EEENS1_30default_config_static_selectorELNS0_4arch9wavefront6targetE1EEEvT1_ ; -- Begin function _ZN7rocprim17ROCPRIM_400000_NS6detail17trampoline_kernelINS0_14default_configENS1_20scan_config_selectorIiEEZZNS1_9scan_implILNS1_25lookback_scan_determinismE0ELb1ELb1ES3_N6thrust23THRUST_200600_302600_NS6detail15normal_iteratorINS9_10device_ptrIjEEEENSB_INSC_IfEEEEiNS9_4plusIvEEiEEDaPvRmT3_T4_T5_mT6_P12ihipStream_tbENKUlT_T0_E_clISt17integral_constantIbLb0EESW_EEDaSR_SS_EUlSR_E_NS1_11comp_targetILNS1_3genE0ELNS1_11target_archE4294967295ELNS1_3gpuE0ELNS1_3repE0EEENS1_30default_config_static_selectorELNS0_4arch9wavefront6targetE1EEEvT1_
	.globl	_ZN7rocprim17ROCPRIM_400000_NS6detail17trampoline_kernelINS0_14default_configENS1_20scan_config_selectorIiEEZZNS1_9scan_implILNS1_25lookback_scan_determinismE0ELb1ELb1ES3_N6thrust23THRUST_200600_302600_NS6detail15normal_iteratorINS9_10device_ptrIjEEEENSB_INSC_IfEEEEiNS9_4plusIvEEiEEDaPvRmT3_T4_T5_mT6_P12ihipStream_tbENKUlT_T0_E_clISt17integral_constantIbLb0EESW_EEDaSR_SS_EUlSR_E_NS1_11comp_targetILNS1_3genE0ELNS1_11target_archE4294967295ELNS1_3gpuE0ELNS1_3repE0EEENS1_30default_config_static_selectorELNS0_4arch9wavefront6targetE1EEEvT1_
	.p2align	8
	.type	_ZN7rocprim17ROCPRIM_400000_NS6detail17trampoline_kernelINS0_14default_configENS1_20scan_config_selectorIiEEZZNS1_9scan_implILNS1_25lookback_scan_determinismE0ELb1ELb1ES3_N6thrust23THRUST_200600_302600_NS6detail15normal_iteratorINS9_10device_ptrIjEEEENSB_INSC_IfEEEEiNS9_4plusIvEEiEEDaPvRmT3_T4_T5_mT6_P12ihipStream_tbENKUlT_T0_E_clISt17integral_constantIbLb0EESW_EEDaSR_SS_EUlSR_E_NS1_11comp_targetILNS1_3genE0ELNS1_11target_archE4294967295ELNS1_3gpuE0ELNS1_3repE0EEENS1_30default_config_static_selectorELNS0_4arch9wavefront6targetE1EEEvT1_,@function
_ZN7rocprim17ROCPRIM_400000_NS6detail17trampoline_kernelINS0_14default_configENS1_20scan_config_selectorIiEEZZNS1_9scan_implILNS1_25lookback_scan_determinismE0ELb1ELb1ES3_N6thrust23THRUST_200600_302600_NS6detail15normal_iteratorINS9_10device_ptrIjEEEENSB_INSC_IfEEEEiNS9_4plusIvEEiEEDaPvRmT3_T4_T5_mT6_P12ihipStream_tbENKUlT_T0_E_clISt17integral_constantIbLb0EESW_EEDaSR_SS_EUlSR_E_NS1_11comp_targetILNS1_3genE0ELNS1_11target_archE4294967295ELNS1_3gpuE0ELNS1_3repE0EEENS1_30default_config_static_selectorELNS0_4arch9wavefront6targetE1EEEvT1_: ; @_ZN7rocprim17ROCPRIM_400000_NS6detail17trampoline_kernelINS0_14default_configENS1_20scan_config_selectorIiEEZZNS1_9scan_implILNS1_25lookback_scan_determinismE0ELb1ELb1ES3_N6thrust23THRUST_200600_302600_NS6detail15normal_iteratorINS9_10device_ptrIjEEEENSB_INSC_IfEEEEiNS9_4plusIvEEiEEDaPvRmT3_T4_T5_mT6_P12ihipStream_tbENKUlT_T0_E_clISt17integral_constantIbLb0EESW_EEDaSR_SS_EUlSR_E_NS1_11comp_targetILNS1_3genE0ELNS1_11target_archE4294967295ELNS1_3gpuE0ELNS1_3repE0EEENS1_30default_config_static_selectorELNS0_4arch9wavefront6targetE1EEEvT1_
; %bb.0:
	.section	.rodata,"a",@progbits
	.p2align	6, 0x0
	.amdhsa_kernel _ZN7rocprim17ROCPRIM_400000_NS6detail17trampoline_kernelINS0_14default_configENS1_20scan_config_selectorIiEEZZNS1_9scan_implILNS1_25lookback_scan_determinismE0ELb1ELb1ES3_N6thrust23THRUST_200600_302600_NS6detail15normal_iteratorINS9_10device_ptrIjEEEENSB_INSC_IfEEEEiNS9_4plusIvEEiEEDaPvRmT3_T4_T5_mT6_P12ihipStream_tbENKUlT_T0_E_clISt17integral_constantIbLb0EESW_EEDaSR_SS_EUlSR_E_NS1_11comp_targetILNS1_3genE0ELNS1_11target_archE4294967295ELNS1_3gpuE0ELNS1_3repE0EEENS1_30default_config_static_selectorELNS0_4arch9wavefront6targetE1EEEvT1_
		.amdhsa_group_segment_fixed_size 0
		.amdhsa_private_segment_fixed_size 0
		.amdhsa_kernarg_size 96
		.amdhsa_user_sgpr_count 6
		.amdhsa_user_sgpr_private_segment_buffer 1
		.amdhsa_user_sgpr_dispatch_ptr 0
		.amdhsa_user_sgpr_queue_ptr 0
		.amdhsa_user_sgpr_kernarg_segment_ptr 1
		.amdhsa_user_sgpr_dispatch_id 0
		.amdhsa_user_sgpr_flat_scratch_init 0
		.amdhsa_user_sgpr_kernarg_preload_length 0
		.amdhsa_user_sgpr_kernarg_preload_offset 0
		.amdhsa_user_sgpr_private_segment_size 0
		.amdhsa_uses_dynamic_stack 0
		.amdhsa_system_sgpr_private_segment_wavefront_offset 0
		.amdhsa_system_sgpr_workgroup_id_x 1
		.amdhsa_system_sgpr_workgroup_id_y 0
		.amdhsa_system_sgpr_workgroup_id_z 0
		.amdhsa_system_sgpr_workgroup_info 0
		.amdhsa_system_vgpr_workitem_id 0
		.amdhsa_next_free_vgpr 1
		.amdhsa_next_free_sgpr 0
		.amdhsa_accum_offset 4
		.amdhsa_reserve_vcc 0
		.amdhsa_reserve_flat_scratch 0
		.amdhsa_float_round_mode_32 0
		.amdhsa_float_round_mode_16_64 0
		.amdhsa_float_denorm_mode_32 3
		.amdhsa_float_denorm_mode_16_64 3
		.amdhsa_dx10_clamp 1
		.amdhsa_ieee_mode 1
		.amdhsa_fp16_overflow 0
		.amdhsa_tg_split 0
		.amdhsa_exception_fp_ieee_invalid_op 0
		.amdhsa_exception_fp_denorm_src 0
		.amdhsa_exception_fp_ieee_div_zero 0
		.amdhsa_exception_fp_ieee_overflow 0
		.amdhsa_exception_fp_ieee_underflow 0
		.amdhsa_exception_fp_ieee_inexact 0
		.amdhsa_exception_int_div_zero 0
	.end_amdhsa_kernel
	.section	.text._ZN7rocprim17ROCPRIM_400000_NS6detail17trampoline_kernelINS0_14default_configENS1_20scan_config_selectorIiEEZZNS1_9scan_implILNS1_25lookback_scan_determinismE0ELb1ELb1ES3_N6thrust23THRUST_200600_302600_NS6detail15normal_iteratorINS9_10device_ptrIjEEEENSB_INSC_IfEEEEiNS9_4plusIvEEiEEDaPvRmT3_T4_T5_mT6_P12ihipStream_tbENKUlT_T0_E_clISt17integral_constantIbLb0EESW_EEDaSR_SS_EUlSR_E_NS1_11comp_targetILNS1_3genE0ELNS1_11target_archE4294967295ELNS1_3gpuE0ELNS1_3repE0EEENS1_30default_config_static_selectorELNS0_4arch9wavefront6targetE1EEEvT1_,"axG",@progbits,_ZN7rocprim17ROCPRIM_400000_NS6detail17trampoline_kernelINS0_14default_configENS1_20scan_config_selectorIiEEZZNS1_9scan_implILNS1_25lookback_scan_determinismE0ELb1ELb1ES3_N6thrust23THRUST_200600_302600_NS6detail15normal_iteratorINS9_10device_ptrIjEEEENSB_INSC_IfEEEEiNS9_4plusIvEEiEEDaPvRmT3_T4_T5_mT6_P12ihipStream_tbENKUlT_T0_E_clISt17integral_constantIbLb0EESW_EEDaSR_SS_EUlSR_E_NS1_11comp_targetILNS1_3genE0ELNS1_11target_archE4294967295ELNS1_3gpuE0ELNS1_3repE0EEENS1_30default_config_static_selectorELNS0_4arch9wavefront6targetE1EEEvT1_,comdat
.Lfunc_end6160:
	.size	_ZN7rocprim17ROCPRIM_400000_NS6detail17trampoline_kernelINS0_14default_configENS1_20scan_config_selectorIiEEZZNS1_9scan_implILNS1_25lookback_scan_determinismE0ELb1ELb1ES3_N6thrust23THRUST_200600_302600_NS6detail15normal_iteratorINS9_10device_ptrIjEEEENSB_INSC_IfEEEEiNS9_4plusIvEEiEEDaPvRmT3_T4_T5_mT6_P12ihipStream_tbENKUlT_T0_E_clISt17integral_constantIbLb0EESW_EEDaSR_SS_EUlSR_E_NS1_11comp_targetILNS1_3genE0ELNS1_11target_archE4294967295ELNS1_3gpuE0ELNS1_3repE0EEENS1_30default_config_static_selectorELNS0_4arch9wavefront6targetE1EEEvT1_, .Lfunc_end6160-_ZN7rocprim17ROCPRIM_400000_NS6detail17trampoline_kernelINS0_14default_configENS1_20scan_config_selectorIiEEZZNS1_9scan_implILNS1_25lookback_scan_determinismE0ELb1ELb1ES3_N6thrust23THRUST_200600_302600_NS6detail15normal_iteratorINS9_10device_ptrIjEEEENSB_INSC_IfEEEEiNS9_4plusIvEEiEEDaPvRmT3_T4_T5_mT6_P12ihipStream_tbENKUlT_T0_E_clISt17integral_constantIbLb0EESW_EEDaSR_SS_EUlSR_E_NS1_11comp_targetILNS1_3genE0ELNS1_11target_archE4294967295ELNS1_3gpuE0ELNS1_3repE0EEENS1_30default_config_static_selectorELNS0_4arch9wavefront6targetE1EEEvT1_
                                        ; -- End function
	.section	.AMDGPU.csdata,"",@progbits
; Kernel info:
; codeLenInByte = 0
; NumSgprs: 4
; NumVgprs: 0
; NumAgprs: 0
; TotalNumVgprs: 0
; ScratchSize: 0
; MemoryBound: 0
; FloatMode: 240
; IeeeMode: 1
; LDSByteSize: 0 bytes/workgroup (compile time only)
; SGPRBlocks: 0
; VGPRBlocks: 0
; NumSGPRsForWavesPerEU: 4
; NumVGPRsForWavesPerEU: 1
; AccumOffset: 4
; Occupancy: 8
; WaveLimiterHint : 0
; COMPUTE_PGM_RSRC2:SCRATCH_EN: 0
; COMPUTE_PGM_RSRC2:USER_SGPR: 6
; COMPUTE_PGM_RSRC2:TRAP_HANDLER: 0
; COMPUTE_PGM_RSRC2:TGID_X_EN: 1
; COMPUTE_PGM_RSRC2:TGID_Y_EN: 0
; COMPUTE_PGM_RSRC2:TGID_Z_EN: 0
; COMPUTE_PGM_RSRC2:TIDIG_COMP_CNT: 0
; COMPUTE_PGM_RSRC3_GFX90A:ACCUM_OFFSET: 0
; COMPUTE_PGM_RSRC3_GFX90A:TG_SPLIT: 0
	.section	.text._ZN7rocprim17ROCPRIM_400000_NS6detail17trampoline_kernelINS0_14default_configENS1_20scan_config_selectorIiEEZZNS1_9scan_implILNS1_25lookback_scan_determinismE0ELb1ELb1ES3_N6thrust23THRUST_200600_302600_NS6detail15normal_iteratorINS9_10device_ptrIjEEEENSB_INSC_IfEEEEiNS9_4plusIvEEiEEDaPvRmT3_T4_T5_mT6_P12ihipStream_tbENKUlT_T0_E_clISt17integral_constantIbLb0EESW_EEDaSR_SS_EUlSR_E_NS1_11comp_targetILNS1_3genE5ELNS1_11target_archE942ELNS1_3gpuE9ELNS1_3repE0EEENS1_30default_config_static_selectorELNS0_4arch9wavefront6targetE1EEEvT1_,"axG",@progbits,_ZN7rocprim17ROCPRIM_400000_NS6detail17trampoline_kernelINS0_14default_configENS1_20scan_config_selectorIiEEZZNS1_9scan_implILNS1_25lookback_scan_determinismE0ELb1ELb1ES3_N6thrust23THRUST_200600_302600_NS6detail15normal_iteratorINS9_10device_ptrIjEEEENSB_INSC_IfEEEEiNS9_4plusIvEEiEEDaPvRmT3_T4_T5_mT6_P12ihipStream_tbENKUlT_T0_E_clISt17integral_constantIbLb0EESW_EEDaSR_SS_EUlSR_E_NS1_11comp_targetILNS1_3genE5ELNS1_11target_archE942ELNS1_3gpuE9ELNS1_3repE0EEENS1_30default_config_static_selectorELNS0_4arch9wavefront6targetE1EEEvT1_,comdat
	.protected	_ZN7rocprim17ROCPRIM_400000_NS6detail17trampoline_kernelINS0_14default_configENS1_20scan_config_selectorIiEEZZNS1_9scan_implILNS1_25lookback_scan_determinismE0ELb1ELb1ES3_N6thrust23THRUST_200600_302600_NS6detail15normal_iteratorINS9_10device_ptrIjEEEENSB_INSC_IfEEEEiNS9_4plusIvEEiEEDaPvRmT3_T4_T5_mT6_P12ihipStream_tbENKUlT_T0_E_clISt17integral_constantIbLb0EESW_EEDaSR_SS_EUlSR_E_NS1_11comp_targetILNS1_3genE5ELNS1_11target_archE942ELNS1_3gpuE9ELNS1_3repE0EEENS1_30default_config_static_selectorELNS0_4arch9wavefront6targetE1EEEvT1_ ; -- Begin function _ZN7rocprim17ROCPRIM_400000_NS6detail17trampoline_kernelINS0_14default_configENS1_20scan_config_selectorIiEEZZNS1_9scan_implILNS1_25lookback_scan_determinismE0ELb1ELb1ES3_N6thrust23THRUST_200600_302600_NS6detail15normal_iteratorINS9_10device_ptrIjEEEENSB_INSC_IfEEEEiNS9_4plusIvEEiEEDaPvRmT3_T4_T5_mT6_P12ihipStream_tbENKUlT_T0_E_clISt17integral_constantIbLb0EESW_EEDaSR_SS_EUlSR_E_NS1_11comp_targetILNS1_3genE5ELNS1_11target_archE942ELNS1_3gpuE9ELNS1_3repE0EEENS1_30default_config_static_selectorELNS0_4arch9wavefront6targetE1EEEvT1_
	.globl	_ZN7rocprim17ROCPRIM_400000_NS6detail17trampoline_kernelINS0_14default_configENS1_20scan_config_selectorIiEEZZNS1_9scan_implILNS1_25lookback_scan_determinismE0ELb1ELb1ES3_N6thrust23THRUST_200600_302600_NS6detail15normal_iteratorINS9_10device_ptrIjEEEENSB_INSC_IfEEEEiNS9_4plusIvEEiEEDaPvRmT3_T4_T5_mT6_P12ihipStream_tbENKUlT_T0_E_clISt17integral_constantIbLb0EESW_EEDaSR_SS_EUlSR_E_NS1_11comp_targetILNS1_3genE5ELNS1_11target_archE942ELNS1_3gpuE9ELNS1_3repE0EEENS1_30default_config_static_selectorELNS0_4arch9wavefront6targetE1EEEvT1_
	.p2align	8
	.type	_ZN7rocprim17ROCPRIM_400000_NS6detail17trampoline_kernelINS0_14default_configENS1_20scan_config_selectorIiEEZZNS1_9scan_implILNS1_25lookback_scan_determinismE0ELb1ELb1ES3_N6thrust23THRUST_200600_302600_NS6detail15normal_iteratorINS9_10device_ptrIjEEEENSB_INSC_IfEEEEiNS9_4plusIvEEiEEDaPvRmT3_T4_T5_mT6_P12ihipStream_tbENKUlT_T0_E_clISt17integral_constantIbLb0EESW_EEDaSR_SS_EUlSR_E_NS1_11comp_targetILNS1_3genE5ELNS1_11target_archE942ELNS1_3gpuE9ELNS1_3repE0EEENS1_30default_config_static_selectorELNS0_4arch9wavefront6targetE1EEEvT1_,@function
_ZN7rocprim17ROCPRIM_400000_NS6detail17trampoline_kernelINS0_14default_configENS1_20scan_config_selectorIiEEZZNS1_9scan_implILNS1_25lookback_scan_determinismE0ELb1ELb1ES3_N6thrust23THRUST_200600_302600_NS6detail15normal_iteratorINS9_10device_ptrIjEEEENSB_INSC_IfEEEEiNS9_4plusIvEEiEEDaPvRmT3_T4_T5_mT6_P12ihipStream_tbENKUlT_T0_E_clISt17integral_constantIbLb0EESW_EEDaSR_SS_EUlSR_E_NS1_11comp_targetILNS1_3genE5ELNS1_11target_archE942ELNS1_3gpuE9ELNS1_3repE0EEENS1_30default_config_static_selectorELNS0_4arch9wavefront6targetE1EEEvT1_: ; @_ZN7rocprim17ROCPRIM_400000_NS6detail17trampoline_kernelINS0_14default_configENS1_20scan_config_selectorIiEEZZNS1_9scan_implILNS1_25lookback_scan_determinismE0ELb1ELb1ES3_N6thrust23THRUST_200600_302600_NS6detail15normal_iteratorINS9_10device_ptrIjEEEENSB_INSC_IfEEEEiNS9_4plusIvEEiEEDaPvRmT3_T4_T5_mT6_P12ihipStream_tbENKUlT_T0_E_clISt17integral_constantIbLb0EESW_EEDaSR_SS_EUlSR_E_NS1_11comp_targetILNS1_3genE5ELNS1_11target_archE942ELNS1_3gpuE9ELNS1_3repE0EEENS1_30default_config_static_selectorELNS0_4arch9wavefront6targetE1EEEvT1_
; %bb.0:
	.section	.rodata,"a",@progbits
	.p2align	6, 0x0
	.amdhsa_kernel _ZN7rocprim17ROCPRIM_400000_NS6detail17trampoline_kernelINS0_14default_configENS1_20scan_config_selectorIiEEZZNS1_9scan_implILNS1_25lookback_scan_determinismE0ELb1ELb1ES3_N6thrust23THRUST_200600_302600_NS6detail15normal_iteratorINS9_10device_ptrIjEEEENSB_INSC_IfEEEEiNS9_4plusIvEEiEEDaPvRmT3_T4_T5_mT6_P12ihipStream_tbENKUlT_T0_E_clISt17integral_constantIbLb0EESW_EEDaSR_SS_EUlSR_E_NS1_11comp_targetILNS1_3genE5ELNS1_11target_archE942ELNS1_3gpuE9ELNS1_3repE0EEENS1_30default_config_static_selectorELNS0_4arch9wavefront6targetE1EEEvT1_
		.amdhsa_group_segment_fixed_size 0
		.amdhsa_private_segment_fixed_size 0
		.amdhsa_kernarg_size 96
		.amdhsa_user_sgpr_count 6
		.amdhsa_user_sgpr_private_segment_buffer 1
		.amdhsa_user_sgpr_dispatch_ptr 0
		.amdhsa_user_sgpr_queue_ptr 0
		.amdhsa_user_sgpr_kernarg_segment_ptr 1
		.amdhsa_user_sgpr_dispatch_id 0
		.amdhsa_user_sgpr_flat_scratch_init 0
		.amdhsa_user_sgpr_kernarg_preload_length 0
		.amdhsa_user_sgpr_kernarg_preload_offset 0
		.amdhsa_user_sgpr_private_segment_size 0
		.amdhsa_uses_dynamic_stack 0
		.amdhsa_system_sgpr_private_segment_wavefront_offset 0
		.amdhsa_system_sgpr_workgroup_id_x 1
		.amdhsa_system_sgpr_workgroup_id_y 0
		.amdhsa_system_sgpr_workgroup_id_z 0
		.amdhsa_system_sgpr_workgroup_info 0
		.amdhsa_system_vgpr_workitem_id 0
		.amdhsa_next_free_vgpr 1
		.amdhsa_next_free_sgpr 0
		.amdhsa_accum_offset 4
		.amdhsa_reserve_vcc 0
		.amdhsa_reserve_flat_scratch 0
		.amdhsa_float_round_mode_32 0
		.amdhsa_float_round_mode_16_64 0
		.amdhsa_float_denorm_mode_32 3
		.amdhsa_float_denorm_mode_16_64 3
		.amdhsa_dx10_clamp 1
		.amdhsa_ieee_mode 1
		.amdhsa_fp16_overflow 0
		.amdhsa_tg_split 0
		.amdhsa_exception_fp_ieee_invalid_op 0
		.amdhsa_exception_fp_denorm_src 0
		.amdhsa_exception_fp_ieee_div_zero 0
		.amdhsa_exception_fp_ieee_overflow 0
		.amdhsa_exception_fp_ieee_underflow 0
		.amdhsa_exception_fp_ieee_inexact 0
		.amdhsa_exception_int_div_zero 0
	.end_amdhsa_kernel
	.section	.text._ZN7rocprim17ROCPRIM_400000_NS6detail17trampoline_kernelINS0_14default_configENS1_20scan_config_selectorIiEEZZNS1_9scan_implILNS1_25lookback_scan_determinismE0ELb1ELb1ES3_N6thrust23THRUST_200600_302600_NS6detail15normal_iteratorINS9_10device_ptrIjEEEENSB_INSC_IfEEEEiNS9_4plusIvEEiEEDaPvRmT3_T4_T5_mT6_P12ihipStream_tbENKUlT_T0_E_clISt17integral_constantIbLb0EESW_EEDaSR_SS_EUlSR_E_NS1_11comp_targetILNS1_3genE5ELNS1_11target_archE942ELNS1_3gpuE9ELNS1_3repE0EEENS1_30default_config_static_selectorELNS0_4arch9wavefront6targetE1EEEvT1_,"axG",@progbits,_ZN7rocprim17ROCPRIM_400000_NS6detail17trampoline_kernelINS0_14default_configENS1_20scan_config_selectorIiEEZZNS1_9scan_implILNS1_25lookback_scan_determinismE0ELb1ELb1ES3_N6thrust23THRUST_200600_302600_NS6detail15normal_iteratorINS9_10device_ptrIjEEEENSB_INSC_IfEEEEiNS9_4plusIvEEiEEDaPvRmT3_T4_T5_mT6_P12ihipStream_tbENKUlT_T0_E_clISt17integral_constantIbLb0EESW_EEDaSR_SS_EUlSR_E_NS1_11comp_targetILNS1_3genE5ELNS1_11target_archE942ELNS1_3gpuE9ELNS1_3repE0EEENS1_30default_config_static_selectorELNS0_4arch9wavefront6targetE1EEEvT1_,comdat
.Lfunc_end6161:
	.size	_ZN7rocprim17ROCPRIM_400000_NS6detail17trampoline_kernelINS0_14default_configENS1_20scan_config_selectorIiEEZZNS1_9scan_implILNS1_25lookback_scan_determinismE0ELb1ELb1ES3_N6thrust23THRUST_200600_302600_NS6detail15normal_iteratorINS9_10device_ptrIjEEEENSB_INSC_IfEEEEiNS9_4plusIvEEiEEDaPvRmT3_T4_T5_mT6_P12ihipStream_tbENKUlT_T0_E_clISt17integral_constantIbLb0EESW_EEDaSR_SS_EUlSR_E_NS1_11comp_targetILNS1_3genE5ELNS1_11target_archE942ELNS1_3gpuE9ELNS1_3repE0EEENS1_30default_config_static_selectorELNS0_4arch9wavefront6targetE1EEEvT1_, .Lfunc_end6161-_ZN7rocprim17ROCPRIM_400000_NS6detail17trampoline_kernelINS0_14default_configENS1_20scan_config_selectorIiEEZZNS1_9scan_implILNS1_25lookback_scan_determinismE0ELb1ELb1ES3_N6thrust23THRUST_200600_302600_NS6detail15normal_iteratorINS9_10device_ptrIjEEEENSB_INSC_IfEEEEiNS9_4plusIvEEiEEDaPvRmT3_T4_T5_mT6_P12ihipStream_tbENKUlT_T0_E_clISt17integral_constantIbLb0EESW_EEDaSR_SS_EUlSR_E_NS1_11comp_targetILNS1_3genE5ELNS1_11target_archE942ELNS1_3gpuE9ELNS1_3repE0EEENS1_30default_config_static_selectorELNS0_4arch9wavefront6targetE1EEEvT1_
                                        ; -- End function
	.section	.AMDGPU.csdata,"",@progbits
; Kernel info:
; codeLenInByte = 0
; NumSgprs: 4
; NumVgprs: 0
; NumAgprs: 0
; TotalNumVgprs: 0
; ScratchSize: 0
; MemoryBound: 0
; FloatMode: 240
; IeeeMode: 1
; LDSByteSize: 0 bytes/workgroup (compile time only)
; SGPRBlocks: 0
; VGPRBlocks: 0
; NumSGPRsForWavesPerEU: 4
; NumVGPRsForWavesPerEU: 1
; AccumOffset: 4
; Occupancy: 8
; WaveLimiterHint : 0
; COMPUTE_PGM_RSRC2:SCRATCH_EN: 0
; COMPUTE_PGM_RSRC2:USER_SGPR: 6
; COMPUTE_PGM_RSRC2:TRAP_HANDLER: 0
; COMPUTE_PGM_RSRC2:TGID_X_EN: 1
; COMPUTE_PGM_RSRC2:TGID_Y_EN: 0
; COMPUTE_PGM_RSRC2:TGID_Z_EN: 0
; COMPUTE_PGM_RSRC2:TIDIG_COMP_CNT: 0
; COMPUTE_PGM_RSRC3_GFX90A:ACCUM_OFFSET: 0
; COMPUTE_PGM_RSRC3_GFX90A:TG_SPLIT: 0
	.section	.text._ZN7rocprim17ROCPRIM_400000_NS6detail17trampoline_kernelINS0_14default_configENS1_20scan_config_selectorIiEEZZNS1_9scan_implILNS1_25lookback_scan_determinismE0ELb1ELb1ES3_N6thrust23THRUST_200600_302600_NS6detail15normal_iteratorINS9_10device_ptrIjEEEENSB_INSC_IfEEEEiNS9_4plusIvEEiEEDaPvRmT3_T4_T5_mT6_P12ihipStream_tbENKUlT_T0_E_clISt17integral_constantIbLb0EESW_EEDaSR_SS_EUlSR_E_NS1_11comp_targetILNS1_3genE4ELNS1_11target_archE910ELNS1_3gpuE8ELNS1_3repE0EEENS1_30default_config_static_selectorELNS0_4arch9wavefront6targetE1EEEvT1_,"axG",@progbits,_ZN7rocprim17ROCPRIM_400000_NS6detail17trampoline_kernelINS0_14default_configENS1_20scan_config_selectorIiEEZZNS1_9scan_implILNS1_25lookback_scan_determinismE0ELb1ELb1ES3_N6thrust23THRUST_200600_302600_NS6detail15normal_iteratorINS9_10device_ptrIjEEEENSB_INSC_IfEEEEiNS9_4plusIvEEiEEDaPvRmT3_T4_T5_mT6_P12ihipStream_tbENKUlT_T0_E_clISt17integral_constantIbLb0EESW_EEDaSR_SS_EUlSR_E_NS1_11comp_targetILNS1_3genE4ELNS1_11target_archE910ELNS1_3gpuE8ELNS1_3repE0EEENS1_30default_config_static_selectorELNS0_4arch9wavefront6targetE1EEEvT1_,comdat
	.protected	_ZN7rocprim17ROCPRIM_400000_NS6detail17trampoline_kernelINS0_14default_configENS1_20scan_config_selectorIiEEZZNS1_9scan_implILNS1_25lookback_scan_determinismE0ELb1ELb1ES3_N6thrust23THRUST_200600_302600_NS6detail15normal_iteratorINS9_10device_ptrIjEEEENSB_INSC_IfEEEEiNS9_4plusIvEEiEEDaPvRmT3_T4_T5_mT6_P12ihipStream_tbENKUlT_T0_E_clISt17integral_constantIbLb0EESW_EEDaSR_SS_EUlSR_E_NS1_11comp_targetILNS1_3genE4ELNS1_11target_archE910ELNS1_3gpuE8ELNS1_3repE0EEENS1_30default_config_static_selectorELNS0_4arch9wavefront6targetE1EEEvT1_ ; -- Begin function _ZN7rocprim17ROCPRIM_400000_NS6detail17trampoline_kernelINS0_14default_configENS1_20scan_config_selectorIiEEZZNS1_9scan_implILNS1_25lookback_scan_determinismE0ELb1ELb1ES3_N6thrust23THRUST_200600_302600_NS6detail15normal_iteratorINS9_10device_ptrIjEEEENSB_INSC_IfEEEEiNS9_4plusIvEEiEEDaPvRmT3_T4_T5_mT6_P12ihipStream_tbENKUlT_T0_E_clISt17integral_constantIbLb0EESW_EEDaSR_SS_EUlSR_E_NS1_11comp_targetILNS1_3genE4ELNS1_11target_archE910ELNS1_3gpuE8ELNS1_3repE0EEENS1_30default_config_static_selectorELNS0_4arch9wavefront6targetE1EEEvT1_
	.globl	_ZN7rocprim17ROCPRIM_400000_NS6detail17trampoline_kernelINS0_14default_configENS1_20scan_config_selectorIiEEZZNS1_9scan_implILNS1_25lookback_scan_determinismE0ELb1ELb1ES3_N6thrust23THRUST_200600_302600_NS6detail15normal_iteratorINS9_10device_ptrIjEEEENSB_INSC_IfEEEEiNS9_4plusIvEEiEEDaPvRmT3_T4_T5_mT6_P12ihipStream_tbENKUlT_T0_E_clISt17integral_constantIbLb0EESW_EEDaSR_SS_EUlSR_E_NS1_11comp_targetILNS1_3genE4ELNS1_11target_archE910ELNS1_3gpuE8ELNS1_3repE0EEENS1_30default_config_static_selectorELNS0_4arch9wavefront6targetE1EEEvT1_
	.p2align	8
	.type	_ZN7rocprim17ROCPRIM_400000_NS6detail17trampoline_kernelINS0_14default_configENS1_20scan_config_selectorIiEEZZNS1_9scan_implILNS1_25lookback_scan_determinismE0ELb1ELb1ES3_N6thrust23THRUST_200600_302600_NS6detail15normal_iteratorINS9_10device_ptrIjEEEENSB_INSC_IfEEEEiNS9_4plusIvEEiEEDaPvRmT3_T4_T5_mT6_P12ihipStream_tbENKUlT_T0_E_clISt17integral_constantIbLb0EESW_EEDaSR_SS_EUlSR_E_NS1_11comp_targetILNS1_3genE4ELNS1_11target_archE910ELNS1_3gpuE8ELNS1_3repE0EEENS1_30default_config_static_selectorELNS0_4arch9wavefront6targetE1EEEvT1_,@function
_ZN7rocprim17ROCPRIM_400000_NS6detail17trampoline_kernelINS0_14default_configENS1_20scan_config_selectorIiEEZZNS1_9scan_implILNS1_25lookback_scan_determinismE0ELb1ELb1ES3_N6thrust23THRUST_200600_302600_NS6detail15normal_iteratorINS9_10device_ptrIjEEEENSB_INSC_IfEEEEiNS9_4plusIvEEiEEDaPvRmT3_T4_T5_mT6_P12ihipStream_tbENKUlT_T0_E_clISt17integral_constantIbLb0EESW_EEDaSR_SS_EUlSR_E_NS1_11comp_targetILNS1_3genE4ELNS1_11target_archE910ELNS1_3gpuE8ELNS1_3repE0EEENS1_30default_config_static_selectorELNS0_4arch9wavefront6targetE1EEEvT1_: ; @_ZN7rocprim17ROCPRIM_400000_NS6detail17trampoline_kernelINS0_14default_configENS1_20scan_config_selectorIiEEZZNS1_9scan_implILNS1_25lookback_scan_determinismE0ELb1ELb1ES3_N6thrust23THRUST_200600_302600_NS6detail15normal_iteratorINS9_10device_ptrIjEEEENSB_INSC_IfEEEEiNS9_4plusIvEEiEEDaPvRmT3_T4_T5_mT6_P12ihipStream_tbENKUlT_T0_E_clISt17integral_constantIbLb0EESW_EEDaSR_SS_EUlSR_E_NS1_11comp_targetILNS1_3genE4ELNS1_11target_archE910ELNS1_3gpuE8ELNS1_3repE0EEENS1_30default_config_static_selectorELNS0_4arch9wavefront6targetE1EEEvT1_
; %bb.0:
	s_load_dwordx8 s[8:15], s[4:5], 0x0
	s_load_dword s1, s[4:5], 0x30
	s_mul_i32 s0, s6, 0x500
	v_lshlrev_b32_e32 v22, 2, v0
	s_waitcnt lgkmcnt(0)
	s_lshl_b64 s[10:11], s[10:11], 2
	s_add_u32 s27, s8, s10
	s_addc_u32 s28, s9, s11
	s_add_i32 s2, s1, -1
	s_mul_i32 s3, s2, 0x500
	s_sub_u32 s7, s14, s3
	s_subb_u32 s26, s15, 0
	s_mov_b32 s1, 0
	s_cmp_lg_u32 s6, s2
	s_cselect_b64 s[8:9], -1, 0
	s_lshl_b64 s[14:15], s[0:1], 2
	s_add_u32 s2, s27, s14
	s_addc_u32 s3, s28, s15
	s_mov_b64 s[0:1], -1
	s_and_b64 vcc, exec, s[8:9]
	s_cbranch_vccz .LBB6162_2
; %bb.1:
	v_mov_b32_e32 v1, s3
	v_add_co_u32_e32 v2, vcc, s2, v22
	v_addc_co_u32_e32 v3, vcc, 0, v1, vcc
	flat_load_dword v1, v[2:3]
	flat_load_dword v4, v[2:3] offset:512
	flat_load_dword v5, v[2:3] offset:1024
	;; [unrolled: 1-line block ×7, first 2 shown]
	v_add_co_u32_e32 v2, vcc, 0x1000, v2
	v_addc_co_u32_e32 v3, vcc, 0, v3, vcc
	flat_load_dword v11, v[2:3]
	flat_load_dword v12, v[2:3] offset:512
	s_mov_b64 s[0:1], 0
	s_waitcnt vmcnt(0) lgkmcnt(0)
	ds_write2st64_b32 v22, v1, v4 offset1:2
	ds_write2st64_b32 v22, v5, v6 offset0:4 offset1:6
	ds_write2st64_b32 v22, v7, v8 offset0:8 offset1:10
	;; [unrolled: 1-line block ×4, first 2 shown]
	s_waitcnt lgkmcnt(0)
	s_barrier
.LBB6162_2:
	s_load_dwordx2 s[24:25], s[4:5], 0x28
	s_andn2_b64 vcc, exec, s[0:1]
	v_cmp_gt_u32_e64 s[0:1], s7, v0
	s_cbranch_vccnz .LBB6162_24
; %bb.3:
	v_pk_mov_b32 v[2:3], s[2:3], s[2:3] op_sel:[0,1]
	flat_load_dword v1, v[2:3]
	s_waitcnt vmcnt(0) lgkmcnt(0)
	v_mov_b32_e32 v2, v1
	v_mov_b32_e32 v3, v1
	;; [unrolled: 1-line block ×9, first 2 shown]
	s_and_saveexec_b64 s[16:17], s[0:1]
	s_cbranch_execz .LBB6162_5
; %bb.4:
	v_mov_b32_e32 v11, s3
	v_add_co_u32_e32 v10, vcc, s2, v22
	v_addc_co_u32_e32 v11, vcc, 0, v11, vcc
	flat_load_dword v10, v[10:11]
.LBB6162_5:
	s_or_b64 exec, exec, s[16:17]
	v_or_b32_e32 v11, 0x80, v0
	v_cmp_gt_u32_e32 vcc, s7, v11
	s_and_saveexec_b64 s[0:1], vcc
	s_cbranch_execz .LBB6162_7
; %bb.6:
	v_mov_b32_e32 v1, s3
	v_add_co_u32_e32 v12, vcc, s2, v22
	v_addc_co_u32_e32 v13, vcc, 0, v1, vcc
	flat_load_dword v1, v[12:13] offset:512
.LBB6162_7:
	s_or_b64 exec, exec, s[0:1]
	v_or_b32_e32 v11, 0x100, v0
	v_cmp_gt_u32_e32 vcc, s7, v11
	s_and_saveexec_b64 s[0:1], vcc
	s_cbranch_execz .LBB6162_9
; %bb.8:
	v_mov_b32_e32 v2, s3
	v_add_co_u32_e32 v12, vcc, s2, v22
	v_addc_co_u32_e32 v13, vcc, 0, v2, vcc
	flat_load_dword v2, v[12:13] offset:1024
.LBB6162_9:
	;; [unrolled: 11-line block ×7, first 2 shown]
	s_or_b64 exec, exec, s[0:1]
	v_or_b32_e32 v11, 0x400, v0
	v_cmp_gt_u32_e32 vcc, s7, v11
	s_and_saveexec_b64 s[0:1], vcc
	s_cbranch_execz .LBB6162_21
; %bb.20:
	v_lshlrev_b32_e32 v8, 2, v11
	v_mov_b32_e32 v11, s3
	v_add_co_u32_e32 v12, vcc, s2, v8
	v_addc_co_u32_e32 v13, vcc, 0, v11, vcc
	flat_load_dword v8, v[12:13]
.LBB6162_21:
	s_or_b64 exec, exec, s[0:1]
	v_or_b32_e32 v11, 0x480, v0
	v_cmp_gt_u32_e32 vcc, s7, v11
	s_and_saveexec_b64 s[0:1], vcc
	s_cbranch_execz .LBB6162_23
; %bb.22:
	v_lshlrev_b32_e32 v9, 2, v11
	v_mov_b32_e32 v11, s3
	v_add_co_u32_e32 v12, vcc, s2, v9
	v_addc_co_u32_e32 v13, vcc, 0, v11, vcc
	flat_load_dword v9, v[12:13]
.LBB6162_23:
	s_or_b64 exec, exec, s[0:1]
	s_waitcnt vmcnt(0) lgkmcnt(0)
	ds_write2st64_b32 v22, v10, v1 offset1:2
	ds_write2st64_b32 v22, v2, v3 offset0:4 offset1:6
	ds_write2st64_b32 v22, v4, v5 offset0:8 offset1:10
	;; [unrolled: 1-line block ×4, first 2 shown]
	s_waitcnt lgkmcnt(0)
	s_barrier
.LBB6162_24:
	v_mul_u32_u24_e32 v23, 10, v0
	v_lshlrev_b32_e32 v1, 2, v23
	s_waitcnt lgkmcnt(0)
	ds_read2_b64 v[16:19], v1 offset1:1
	ds_read2_b64 v[12:15], v1 offset0:2 offset1:3
	ds_read_b64 v[20:21], v1 offset:32
	s_cmp_lg_u32 s6, 0
	v_lshrrev_b32_e32 v24, 5, v0
	s_waitcnt lgkmcnt(2)
	v_add_u32_e32 v2, v17, v16
	v_add3_u32 v25, v2, v18, v19
	v_cmp_gt_u32_e32 vcc, 64, v0
	s_waitcnt lgkmcnt(0)
	s_barrier
	s_cbranch_scc0 .LBB6162_49
; %bb.25:
	v_add3_u32 v2, v25, v12, v13
	v_add3_u32 v2, v2, v14, v15
	v_add3_u32 v2, v2, v20, v21
	v_add_lshl_u32 v3, v24, v0, 2
	ds_write_b32 v3, v2
	s_waitcnt lgkmcnt(0)
	s_barrier
	s_and_saveexec_b64 s[2:3], vcc
	s_cbranch_execz .LBB6162_27
; %bb.26:
	v_lshlrev_b32_e32 v3, 1, v0
	v_lshrrev_b32_e32 v4, 4, v0
	v_add_lshl_u32 v3, v4, v3, 2
	ds_read2_b32 v[4:5], v3 offset1:1
	v_mbcnt_lo_u32_b32 v6, -1, 0
	v_mbcnt_hi_u32_b32 v6, -1, v6
	v_and_b32_e32 v7, 15, v6
	v_cmp_ne_u32_e64 s[0:1], 0, v7
	s_waitcnt lgkmcnt(0)
	v_add_u32_e32 v5, v5, v4
	; wave barrier
	s_nop 1
	v_mov_b32_dpp v8, v5 row_shr:1 row_mask:0xf bank_mask:0xf
	v_cndmask_b32_e64 v8, 0, v8, s[0:1]
	v_add_u32_e32 v5, v8, v5
	v_cmp_lt_u32_e64 s[0:1], 1, v7
	s_nop 0
	v_mov_b32_dpp v8, v5 row_shr:2 row_mask:0xf bank_mask:0xf
	v_cndmask_b32_e64 v8, 0, v8, s[0:1]
	v_add_u32_e32 v5, v5, v8
	v_cmp_lt_u32_e64 s[0:1], 3, v7
	;; [unrolled: 5-line block ×3, first 2 shown]
	s_nop 0
	v_mov_b32_dpp v8, v5 row_shr:8 row_mask:0xf bank_mask:0xf
	v_cndmask_b32_e64 v7, 0, v8, s[0:1]
	v_add_u32_e32 v5, v5, v7
	v_bfe_i32 v8, v6, 4, 1
	v_cmp_lt_u32_e64 s[0:1], 31, v6
	v_mov_b32_dpp v7, v5 row_bcast:15 row_mask:0xf bank_mask:0xf
	v_and_b32_e32 v7, v8, v7
	v_add_u32_e32 v5, v5, v7
	v_and_b32_e32 v8, 64, v6
	s_nop 0
	v_mov_b32_dpp v7, v5 row_bcast:31 row_mask:0xf bank_mask:0xf
	v_cndmask_b32_e64 v7, 0, v7, s[0:1]
	v_add_u32_e32 v5, v5, v7
	v_add_u32_e32 v7, -1, v6
	v_cmp_lt_i32_e64 s[0:1], v7, v8
	v_cndmask_b32_e64 v6, v7, v6, s[0:1]
	v_lshlrev_b32_e32 v6, 2, v6
	ds_bpermute_b32 v5, v6, v5
	v_cmp_eq_u32_e64 s[0:1], 0, v0
	s_waitcnt lgkmcnt(0)
	v_add_u32_e32 v4, v5, v4
	v_cndmask_b32_e64 v2, v4, v2, s[0:1]
	ds_write_b32 v3, v2
	; wave barrier
	ds_read_b32 v4, v3 offset:4
	s_waitcnt lgkmcnt(0)
	v_add_u32_e32 v2, v4, v2
	ds_write_b32 v3, v2 offset:4
.LBB6162_27:
	s_or_b64 exec, exec, s[2:3]
	v_cmp_eq_u32_e64 s[0:1], 0, v0
	v_cmp_ne_u32_e64 s[2:3], 0, v0
	v_mov_b32_e32 v26, 0
	s_waitcnt lgkmcnt(0)
	s_barrier
	s_and_saveexec_b64 s[16:17], s[2:3]
	s_cbranch_execz .LBB6162_29
; %bb.28:
	v_add_u32_e32 v2, -1, v0
	v_lshrrev_b32_e32 v3, 5, v2
	v_add_lshl_u32 v2, v3, v2, 2
	ds_read_b32 v26, v2
.LBB6162_29:
	s_or_b64 exec, exec, s[16:17]
	s_and_saveexec_b64 s[16:17], vcc
	s_cbranch_execz .LBB6162_48
; %bb.30:
	v_mov_b32_e32 v9, 0
	ds_read_b32 v2, v9 offset:520
	v_mbcnt_lo_u32_b32 v3, -1, 0
	v_mbcnt_hi_u32_b32 v5, -1, v3
	s_mov_b32 s21, 0
	v_cmp_eq_u32_e64 s[2:3], 0, v5
	s_and_saveexec_b64 s[18:19], s[2:3]
	s_cbranch_execz .LBB6162_32
; %bb.31:
	s_add_i32 s20, s6, 64
	s_lshl_b64 s[20:21], s[20:21], 3
	s_add_u32 s20, s24, s20
	v_mov_b32_e32 v3, 1
	s_addc_u32 s21, s25, s21
	s_waitcnt lgkmcnt(0)
	global_store_dwordx2 v9, v[2:3], s[20:21]
.LBB6162_32:
	s_or_b64 exec, exec, s[18:19]
	v_xad_u32 v4, v5, -1, s6
	v_add_u32_e32 v8, 64, v4
	v_lshlrev_b64 v[6:7], 3, v[8:9]
	v_mov_b32_e32 v3, s25
	v_add_co_u32_e32 v10, vcc, s24, v6
	v_addc_co_u32_e32 v11, vcc, v3, v7, vcc
	global_load_dwordx2 v[6:7], v[10:11], off glc
	s_waitcnt vmcnt(0)
	v_cmp_eq_u16_sdwa s[20:21], v7, v9 src0_sel:BYTE_0 src1_sel:DWORD
	s_and_saveexec_b64 s[18:19], s[20:21]
	s_cbranch_execz .LBB6162_36
; %bb.33:
	s_mov_b64 s[20:21], 0
	v_mov_b32_e32 v3, 0
.LBB6162_34:                            ; =>This Inner Loop Header: Depth=1
	global_load_dwordx2 v[6:7], v[10:11], off glc
	s_waitcnt vmcnt(0)
	v_cmp_ne_u16_sdwa s[22:23], v7, v3 src0_sel:BYTE_0 src1_sel:DWORD
	s_or_b64 s[20:21], s[22:23], s[20:21]
	s_andn2_b64 exec, exec, s[20:21]
	s_cbranch_execnz .LBB6162_34
; %bb.35:
	s_or_b64 exec, exec, s[20:21]
.LBB6162_36:
	s_or_b64 exec, exec, s[18:19]
	v_and_b32_e32 v27, 63, v5
	v_mov_b32_e32 v3, 2
	v_cmp_ne_u32_e32 vcc, 63, v27
	v_cmp_eq_u16_sdwa s[18:19], v7, v3 src0_sel:BYTE_0 src1_sel:DWORD
	v_lshlrev_b64 v[8:9], v5, -1
	v_addc_co_u32_e32 v28, vcc, 0, v5, vcc
	v_and_b32_e32 v10, s19, v9
	v_lshlrev_b32_e32 v28, 2, v28
	v_or_b32_e32 v10, 0x80000000, v10
	ds_bpermute_b32 v29, v28, v6
	v_and_b32_e32 v11, s18, v8
	v_ffbl_b32_e32 v10, v10
	v_add_u32_e32 v10, 32, v10
	v_ffbl_b32_e32 v11, v11
	v_min_u32_e32 v10, v11, v10
	v_cmp_lt_u32_e32 vcc, v27, v10
	s_waitcnt lgkmcnt(0)
	v_cndmask_b32_e32 v11, 0, v29, vcc
	v_cmp_gt_u32_e32 vcc, 62, v27
	v_add_u32_e32 v6, v11, v6
	v_cndmask_b32_e64 v11, 0, 1, vcc
	v_lshlrev_b32_e32 v11, 1, v11
	v_add_lshl_u32 v29, v11, v5, 2
	ds_bpermute_b32 v11, v29, v6
	v_add_u32_e32 v30, 2, v27
	v_cmp_le_u32_e32 vcc, v30, v10
	v_add_u32_e32 v32, 4, v27
	v_add_u32_e32 v34, 8, v27
	s_waitcnt lgkmcnt(0)
	v_cndmask_b32_e32 v11, 0, v11, vcc
	v_cmp_gt_u32_e32 vcc, 60, v27
	v_add_u32_e32 v6, v6, v11
	v_cndmask_b32_e64 v11, 0, 1, vcc
	v_lshlrev_b32_e32 v11, 2, v11
	v_add_lshl_u32 v31, v11, v5, 2
	ds_bpermute_b32 v11, v31, v6
	v_cmp_le_u32_e32 vcc, v32, v10
	v_add_u32_e32 v37, 16, v27
	v_add_u32_e32 v39, 32, v27
	s_waitcnt lgkmcnt(0)
	v_cndmask_b32_e32 v11, 0, v11, vcc
	v_cmp_gt_u32_e32 vcc, 56, v27
	v_add_u32_e32 v6, v6, v11
	v_cndmask_b32_e64 v11, 0, 1, vcc
	v_lshlrev_b32_e32 v11, 3, v11
	v_add_lshl_u32 v33, v11, v5, 2
	ds_bpermute_b32 v11, v33, v6
	v_cmp_le_u32_e32 vcc, v34, v10
	s_waitcnt lgkmcnt(0)
	v_cndmask_b32_e32 v11, 0, v11, vcc
	v_cmp_gt_u32_e32 vcc, 48, v27
	v_add_u32_e32 v6, v6, v11
	v_cndmask_b32_e64 v11, 0, 1, vcc
	v_lshlrev_b32_e32 v11, 4, v11
	v_add_lshl_u32 v36, v11, v5, 2
	ds_bpermute_b32 v11, v36, v6
	v_cmp_le_u32_e32 vcc, v37, v10
	;; [unrolled: 9-line block ×3, first 2 shown]
	s_waitcnt lgkmcnt(0)
	v_cndmask_b32_e32 v5, 0, v5, vcc
	v_add_u32_e32 v6, v6, v5
	v_mov_b32_e32 v5, 0
	s_branch .LBB6162_38
.LBB6162_37:                            ;   in Loop: Header=BB6162_38 Depth=1
	s_or_b64 exec, exec, s[18:19]
	v_cmp_eq_u16_sdwa s[18:19], v7, v3 src0_sel:BYTE_0 src1_sel:DWORD
	v_and_b32_e32 v10, s19, v9
	v_or_b32_e32 v10, 0x80000000, v10
	ds_bpermute_b32 v40, v28, v6
	v_and_b32_e32 v11, s18, v8
	v_ffbl_b32_e32 v10, v10
	v_add_u32_e32 v10, 32, v10
	v_ffbl_b32_e32 v11, v11
	v_min_u32_e32 v10, v11, v10
	v_cmp_lt_u32_e32 vcc, v27, v10
	s_waitcnt lgkmcnt(0)
	v_cndmask_b32_e32 v11, 0, v40, vcc
	v_add_u32_e32 v6, v11, v6
	ds_bpermute_b32 v11, v29, v6
	v_cmp_le_u32_e32 vcc, v30, v10
	v_subrev_u32_e32 v4, 64, v4
	s_waitcnt lgkmcnt(0)
	v_cndmask_b32_e32 v11, 0, v11, vcc
	v_add_u32_e32 v6, v6, v11
	ds_bpermute_b32 v11, v31, v6
	v_cmp_le_u32_e32 vcc, v32, v10
	s_waitcnt lgkmcnt(0)
	v_cndmask_b32_e32 v11, 0, v11, vcc
	v_add_u32_e32 v6, v6, v11
	ds_bpermute_b32 v11, v33, v6
	v_cmp_le_u32_e32 vcc, v34, v10
	;; [unrolled: 5-line block ×4, first 2 shown]
	s_waitcnt lgkmcnt(0)
	v_cndmask_b32_e32 v10, 0, v11, vcc
	v_add3_u32 v6, v10, v35, v6
.LBB6162_38:                            ; =>This Loop Header: Depth=1
                                        ;     Child Loop BB6162_41 Depth 2
	v_cmp_ne_u16_sdwa s[18:19], v7, v3 src0_sel:BYTE_0 src1_sel:DWORD
	v_cndmask_b32_e64 v7, 0, 1, s[18:19]
	;;#ASMSTART
	;;#ASMEND
	v_cmp_ne_u32_e32 vcc, 0, v7
	s_cmp_lg_u64 vcc, exec
	v_mov_b32_e32 v35, v6
	s_cbranch_scc1 .LBB6162_43
; %bb.39:                               ;   in Loop: Header=BB6162_38 Depth=1
	v_lshlrev_b64 v[6:7], 3, v[4:5]
	v_mov_b32_e32 v11, s25
	v_add_co_u32_e32 v10, vcc, s24, v6
	v_addc_co_u32_e32 v11, vcc, v11, v7, vcc
	global_load_dwordx2 v[6:7], v[10:11], off glc
	s_waitcnt vmcnt(0)
	v_cmp_eq_u16_sdwa s[20:21], v7, v5 src0_sel:BYTE_0 src1_sel:DWORD
	s_and_saveexec_b64 s[18:19], s[20:21]
	s_cbranch_execz .LBB6162_37
; %bb.40:                               ;   in Loop: Header=BB6162_38 Depth=1
	s_mov_b64 s[20:21], 0
.LBB6162_41:                            ;   Parent Loop BB6162_38 Depth=1
                                        ; =>  This Inner Loop Header: Depth=2
	global_load_dwordx2 v[6:7], v[10:11], off glc
	s_waitcnt vmcnt(0)
	v_cmp_ne_u16_sdwa s[22:23], v7, v5 src0_sel:BYTE_0 src1_sel:DWORD
	s_or_b64 s[20:21], s[22:23], s[20:21]
	s_andn2_b64 exec, exec, s[20:21]
	s_cbranch_execnz .LBB6162_41
; %bb.42:                               ;   in Loop: Header=BB6162_38 Depth=1
	s_or_b64 exec, exec, s[20:21]
	s_branch .LBB6162_37
.LBB6162_43:                            ;   in Loop: Header=BB6162_38 Depth=1
                                        ; implicit-def: $vgpr6
                                        ; implicit-def: $vgpr7
	s_cbranch_execz .LBB6162_38
; %bb.44:
	s_and_saveexec_b64 s[18:19], s[2:3]
	s_cbranch_execz .LBB6162_46
; %bb.45:
	s_add_i32 s2, s6, 64
	s_mov_b32 s3, 0
	s_lshl_b64 s[2:3], s[2:3], 3
	s_add_u32 s2, s24, s2
	v_add_u32_e32 v2, v35, v2
	v_mov_b32_e32 v3, 2
	s_addc_u32 s3, s25, s3
	v_mov_b32_e32 v4, 0
	global_store_dwordx2 v4, v[2:3], s[2:3]
.LBB6162_46:
	s_or_b64 exec, exec, s[18:19]
	s_and_b64 exec, exec, s[0:1]
	s_cbranch_execz .LBB6162_48
; %bb.47:
	v_mov_b32_e32 v2, 0
	ds_write_b32 v2, v35
.LBB6162_48:
	s_or_b64 exec, exec, s[16:17]
	v_mov_b32_e32 v2, 0
	s_waitcnt lgkmcnt(0)
	s_barrier
	ds_read_b32 v2, v2
	s_waitcnt lgkmcnt(0)
	v_add_u32_e32 v2, v2, v26
	v_add_u32_e32 v3, v2, v16
	v_add_u32_e32 v4, v3, v17
	v_add_u32_e32 v5, v4, v18
	v_add_u32_e32 v6, v5, v19
	v_add_u32_e32 v7, v6, v12
	v_add_u32_e32 v8, v7, v13
	v_add_u32_e32 v9, v8, v14
	v_add_u32_e32 v10, v9, v15
	v_add_u32_e32 v11, v10, v20
	s_load_dwordx8 s[16:23], s[4:5], 0x38
	s_branch .LBB6162_59
.LBB6162_49:
                                        ; implicit-def: $vgpr2_vgpr3_vgpr4_vgpr5_vgpr6_vgpr7_vgpr8_vgpr9_vgpr10_vgpr11
	s_load_dwordx8 s[16:23], s[4:5], 0x38
	s_cbranch_execz .LBB6162_59
; %bb.50:
	s_load_dword s0, s[4:5], 0x20
	s_waitcnt lgkmcnt(0)
	s_cmp_eq_u64 s[20:21], 0
	v_mov_b32_e32 v26, s0
	s_cbranch_scc1 .LBB6162_52
; %bb.51:
	v_mov_b32_e32 v3, s28
	v_add_co_u32_e64 v2, vcc, -4, s27
	v_addc_co_u32_e32 v3, vcc, -1, v3, vcc
	v_mov_b32_e32 v4, 0
	flat_load_dword v5, v[2:3]
	global_load_dword v6, v4, s[16:17]
	s_waitcnt vmcnt(0) lgkmcnt(0)
	v_add_u32_e32 v26, v6, v5
.LBB6162_52:
	v_add3_u32 v2, v25, v12, v13
	v_add3_u32 v2, v2, v14, v15
	;; [unrolled: 1-line block ×3, first 2 shown]
	v_add_lshl_u32 v3, v24, v0, 2
	v_cmp_gt_u32_e32 vcc, 64, v0
	ds_write_b32 v3, v2
	s_waitcnt lgkmcnt(0)
	s_barrier
	s_and_saveexec_b64 s[0:1], vcc
	s_cbranch_execz .LBB6162_54
; %bb.53:
	v_lshlrev_b32_e32 v3, 1, v0
	v_lshrrev_b32_e32 v4, 4, v0
	v_add_lshl_u32 v3, v4, v3, 2
	ds_read2_b32 v[4:5], v3 offset1:1
	v_mbcnt_lo_u32_b32 v6, -1, 0
	v_mbcnt_hi_u32_b32 v6, -1, v6
	v_and_b32_e32 v7, 15, v6
	v_cmp_ne_u32_e32 vcc, 0, v7
	s_waitcnt lgkmcnt(0)
	v_add_u32_e32 v5, v5, v4
	; wave barrier
	s_nop 1
	v_mov_b32_dpp v8, v5 row_shr:1 row_mask:0xf bank_mask:0xf
	v_cndmask_b32_e32 v8, 0, v8, vcc
	v_add_u32_e32 v5, v8, v5
	v_cmp_lt_u32_e32 vcc, 1, v7
	s_nop 0
	v_mov_b32_dpp v8, v5 row_shr:2 row_mask:0xf bank_mask:0xf
	v_cndmask_b32_e32 v8, 0, v8, vcc
	v_add_u32_e32 v5, v5, v8
	v_cmp_lt_u32_e32 vcc, 3, v7
	;; [unrolled: 5-line block ×3, first 2 shown]
	s_nop 0
	v_mov_b32_dpp v8, v5 row_shr:8 row_mask:0xf bank_mask:0xf
	v_cndmask_b32_e32 v7, 0, v8, vcc
	v_add_u32_e32 v5, v5, v7
	v_bfe_i32 v8, v6, 4, 1
	v_cmp_lt_u32_e32 vcc, 31, v6
	v_mov_b32_dpp v7, v5 row_bcast:15 row_mask:0xf bank_mask:0xf
	v_and_b32_e32 v7, v8, v7
	v_add_u32_e32 v5, v5, v7
	v_and_b32_e32 v8, 64, v6
	s_nop 0
	v_mov_b32_dpp v7, v5 row_bcast:31 row_mask:0xf bank_mask:0xf
	v_cndmask_b32_e32 v7, 0, v7, vcc
	v_add_u32_e32 v5, v5, v7
	v_add_u32_e32 v7, -1, v6
	v_cmp_lt_i32_e32 vcc, v7, v8
	v_cndmask_b32_e32 v6, v7, v6, vcc
	v_lshlrev_b32_e32 v6, 2, v6
	ds_bpermute_b32 v5, v6, v5
	v_cmp_eq_u32_e32 vcc, 0, v0
	s_waitcnt lgkmcnt(0)
	v_add_u32_e32 v4, v5, v4
	v_cndmask_b32_e32 v2, v4, v2, vcc
	ds_write_b32 v3, v2
	; wave barrier
	ds_read_b32 v4, v3 offset:4
	s_waitcnt lgkmcnt(0)
	v_add_u32_e32 v2, v4, v2
	ds_write_b32 v3, v2 offset:4
.LBB6162_54:
	s_or_b64 exec, exec, s[0:1]
	v_cmp_eq_u32_e32 vcc, 0, v0
	v_cmp_ne_u32_e64 s[0:1], 0, v0
	v_mov_b32_e32 v2, v26
	s_waitcnt lgkmcnt(0)
	s_barrier
	s_and_saveexec_b64 s[2:3], s[0:1]
	s_cbranch_execz .LBB6162_56
; %bb.55:
	v_add_u32_e32 v2, -1, v0
	v_lshrrev_b32_e32 v3, 5, v2
	v_add_lshl_u32 v2, v3, v2, 2
	ds_read_b32 v2, v2
	s_waitcnt lgkmcnt(0)
	v_add_u32_e32 v2, v2, v26
.LBB6162_56:
	s_or_b64 exec, exec, s[2:3]
	v_add_u32_e32 v3, v2, v16
	v_add_u32_e32 v4, v3, v17
	;; [unrolled: 1-line block ×9, first 2 shown]
	s_and_saveexec_b64 s[0:1], vcc
	s_cbranch_execz .LBB6162_58
; %bb.57:
	v_mov_b32_e32 v14, 0
	ds_read_b32 v12, v14 offset:520
	v_mov_b32_e32 v13, 2
	s_waitcnt lgkmcnt(0)
	v_add_u32_e32 v12, v12, v26
	global_store_dwordx2 v14, v[12:13], s[24:25] offset:512
.LBB6162_58:
	s_or_b64 exec, exec, s[0:1]
.LBB6162_59:
	s_add_u32 s0, s12, s10
	s_addc_u32 s1, s13, s11
	s_add_u32 s2, s0, s14
	s_addc_u32 s3, s1, s15
	s_mov_b64 s[0:1], -1
	s_and_b64 vcc, exec, s[8:9]
	s_waitcnt lgkmcnt(0)
	s_barrier
	s_cbranch_vccz .LBB6162_61
; %bb.60:
	ds_write2_b64 v1, v[2:3], v[4:5] offset1:1
	ds_write2_b64 v1, v[6:7], v[8:9] offset0:2 offset1:3
	ds_write_b64 v1, v[10:11] offset:32
	s_waitcnt lgkmcnt(0)
	s_barrier
	ds_read2st64_b32 v[12:13], v22 offset1:2
	ds_read2st64_b32 v[14:15], v22 offset0:4 offset1:6
	ds_read2st64_b32 v[16:17], v22 offset0:8 offset1:10
	;; [unrolled: 1-line block ×4, first 2 shown]
	s_waitcnt lgkmcnt(4)
	v_cvt_f32_i32_e32 v12, v12
	v_cvt_f32_i32_e32 v13, v13
	v_mov_b32_e32 v25, s3
	v_add_co_u32_e32 v24, vcc, s2, v22
	s_waitcnt lgkmcnt(3)
	v_cvt_f32_i32_e32 v14, v14
	v_addc_co_u32_e32 v25, vcc, 0, v25, vcc
	v_cvt_f32_i32_e32 v15, v15
	flat_store_dword v[24:25], v12
	flat_store_dword v[24:25], v13 offset:512
	flat_store_dword v[24:25], v14 offset:1024
	;; [unrolled: 1-line block ×3, first 2 shown]
	s_waitcnt lgkmcnt(0)
	v_cvt_f32_i32_e32 v12, v16
	v_cvt_f32_i32_e32 v13, v17
	;; [unrolled: 1-line block ×4, first 2 shown]
	flat_store_dword v[24:25], v12 offset:2048
	flat_store_dword v[24:25], v13 offset:2560
	flat_store_dword v[24:25], v14 offset:3072
	flat_store_dword v[24:25], v15 offset:3584
	v_cvt_f32_i32_e32 v14, v20
	v_cvt_f32_i32_e32 v15, v21
	v_add_co_u32_e32 v12, vcc, 0x1000, v24
	v_addc_co_u32_e32 v13, vcc, 0, v25, vcc
	flat_store_dword v[12:13], v14
	flat_store_dword v[12:13], v15 offset:512
	s_mov_b64 s[0:1], 0
.LBB6162_61:
	s_andn2_b64 vcc, exec, s[0:1]
	s_cbranch_vccnz .LBB6162_117
; %bb.62:
	ds_write2_b64 v1, v[2:3], v[4:5] offset1:1
	ds_write2_b64 v1, v[6:7], v[8:9] offset0:2 offset1:3
	ds_write_b64 v1, v[10:11] offset:32
	s_waitcnt lgkmcnt(0)
	s_barrier
	ds_read2st64_b32 v[2:3], v22 offset1:2
	ds_read2st64_b32 v[6:7], v22 offset0:4 offset1:6
	ds_read2st64_b32 v[4:5], v22 offset0:8 offset1:10
	;; [unrolled: 1-line block ×4, first 2 shown]
	v_mov_b32_e32 v13, s3
	v_add_co_u32_e32 v12, vcc, s2, v22
	v_addc_co_u32_e32 v13, vcc, 0, v13, vcc
	v_mov_b32_e32 v1, 0
	v_cmp_gt_u32_e32 vcc, s7, v0
	s_and_saveexec_b64 s[0:1], vcc
	s_cbranch_execz .LBB6162_64
; %bb.63:
	s_waitcnt lgkmcnt(0)
	v_cvt_f32_i32_e32 v14, v2
	flat_store_dword v[12:13], v14
.LBB6162_64:
	s_or_b64 exec, exec, s[0:1]
	v_or_b32_e32 v14, 0x80, v0
	v_cmp_gt_u32_e32 vcc, s7, v14
	s_and_saveexec_b64 s[0:1], vcc
	s_cbranch_execz .LBB6162_66
; %bb.65:
	s_waitcnt lgkmcnt(0)
	v_cvt_f32_i32_e32 v14, v3
	flat_store_dword v[12:13], v14 offset:512
.LBB6162_66:
	s_or_b64 exec, exec, s[0:1]
	v_or_b32_e32 v14, 0x100, v0
	v_cmp_gt_u32_e32 vcc, s7, v14
	s_and_saveexec_b64 s[0:1], vcc
	s_cbranch_execz .LBB6162_68
; %bb.67:
	s_waitcnt lgkmcnt(0)
	v_cvt_f32_i32_e32 v14, v6
	flat_store_dword v[12:13], v14 offset:1024
.LBB6162_68:
	;; [unrolled: 10-line block ×7, first 2 shown]
	s_or_b64 exec, exec, s[0:1]
	v_or_b32_e32 v14, 0x400, v0
	v_cmp_gt_u32_e32 vcc, s7, v14
	s_and_saveexec_b64 s[0:1], vcc
	s_cbranch_execz .LBB6162_80
; %bb.79:
	s_waitcnt lgkmcnt(0)
	v_cvt_f32_i32_e32 v16, v10
	v_add_co_u32_e32 v14, vcc, 0x1000, v12
	v_addc_co_u32_e32 v15, vcc, 0, v13, vcc
	flat_store_dword v[14:15], v16
.LBB6162_80:
	s_or_b64 exec, exec, s[0:1]
	v_or_b32_e32 v14, 0x480, v0
	v_cmp_gt_u32_e32 vcc, s7, v14
	s_and_saveexec_b64 s[0:1], vcc
	s_cbranch_execz .LBB6162_82
; %bb.81:
	s_waitcnt lgkmcnt(0)
	v_cvt_f32_i32_e32 v14, v11
	v_add_co_u32_e32 v12, vcc, 0x1000, v12
	v_addc_co_u32_e32 v13, vcc, 0, v13, vcc
	flat_store_dword v[12:13], v14 offset:512
.LBB6162_82:
	s_or_b64 exec, exec, s[0:1]
	v_cmp_lt_u64_e64 s[0:1], s[22:23], 2
	s_and_b64 vcc, exec, s[0:1]
	s_cbranch_vccnz .LBB6162_117
; %bb.83:
	s_add_u32 s0, s7, -1
	s_addc_u32 s1, s26, -1
	s_add_u32 s2, 0, 0x99986000
	s_addc_u32 s3, 0, 0x59
	s_add_i32 s3, s3, 0x19999940
	s_mul_hi_u32 s7, s2, -10
	s_sub_i32 s7, s7, s2
	s_mul_i32 s8, s3, -10
	s_mul_i32 s4, s2, -10
	s_add_i32 s7, s7, s8
	s_mul_hi_u32 s5, s3, s4
	s_mul_i32 s6, s3, s4
	s_mul_i32 s9, s2, s7
	s_mul_hi_u32 s4, s2, s4
	s_mul_hi_u32 s8, s2, s7
	s_add_u32 s4, s4, s9
	s_addc_u32 s8, 0, s8
	s_add_u32 s4, s4, s6
	s_mul_hi_u32 s9, s3, s7
	s_addc_u32 s4, s8, s5
	s_addc_u32 s5, s9, 0
	s_mul_i32 s6, s3, s7
	s_add_u32 s4, s4, s6
	v_mov_b32_e32 v12, s4
	s_addc_u32 s5, 0, s5
	v_add_co_u32_e32 v12, vcc, s2, v12
	s_cmp_lg_u64 vcc, 0
	s_addc_u32 s2, s3, s5
	v_readfirstlane_b32 s5, v12
	s_mul_i32 s4, s0, s2
	s_mul_hi_u32 s6, s0, s5
	s_mul_hi_u32 s3, s0, s2
	s_add_u32 s4, s6, s4
	s_addc_u32 s3, 0, s3
	s_mul_hi_u32 s7, s1, s5
	s_mul_i32 s5, s1, s5
	s_add_u32 s4, s4, s5
	s_mul_hi_u32 s6, s1, s2
	s_addc_u32 s3, s3, s7
	s_addc_u32 s4, s6, 0
	s_mul_i32 s2, s1, s2
	s_add_u32 s2, s3, s2
	s_addc_u32 s3, 0, s4
	s_add_u32 s4, s2, 1
	s_addc_u32 s5, s3, 0
	s_add_u32 s6, s2, 2
	s_mul_i32 s8, s3, 10
	s_mul_hi_u32 s9, s2, 10
	s_addc_u32 s7, s3, 0
	s_add_i32 s9, s9, s8
	s_mul_i32 s8, s2, 10
	v_mov_b32_e32 v12, s8
	v_sub_co_u32_e32 v12, vcc, s0, v12
	s_cmp_lg_u64 vcc, 0
	s_subb_u32 s8, s1, s9
	v_subrev_co_u32_e32 v13, vcc, 10, v12
	s_cmp_lg_u64 vcc, 0
	s_subb_u32 s9, s8, 0
	v_readfirstlane_b32 s10, v13
	s_cmp_gt_u32 s10, 9
	s_cselect_b32 s10, -1, 0
	s_cmp_eq_u32 s9, 0
	s_cselect_b32 s9, s10, -1
	s_cmp_lg_u32 s9, 0
	s_cselect_b32 s4, s6, s4
	v_readfirstlane_b32 s6, v12
	s_cselect_b32 s5, s7, s5
	s_cmp_gt_u32 s6, 9
	s_cselect_b32 s6, -1, 0
	s_cmp_eq_u32 s8, 0
	s_cselect_b32 s6, s6, -1
	s_cmp_lg_u32 s6, 0
	s_cselect_b32 s3, s5, s3
	s_cselect_b32 s2, s4, s2
	v_cmp_eq_u64_e32 vcc, s[2:3], v[0:1]
	s_and_saveexec_b64 s[2:3], vcc
	s_cbranch_execz .LBB6162_117
; %bb.84:
	v_mul_hi_u32_u24_e32 v1, 10, v0
	v_mov_b32_e32 v12, s1
	v_sub_co_u32_e32 v0, vcc, s0, v23
	v_subb_co_u32_e32 v1, vcc, v12, v1, vcc
	v_cmp_lt_i64_e32 vcc, 4, v[0:1]
	s_and_saveexec_b64 s[0:1], vcc
	s_xor_b64 s[0:1], exec, s[0:1]
	s_cbranch_execz .LBB6162_102
; %bb.85:
	v_cmp_lt_i64_e32 vcc, 6, v[0:1]
	s_and_saveexec_b64 s[2:3], vcc
	s_xor_b64 s[2:3], exec, s[2:3]
	s_cbranch_execz .LBB6162_95
; %bb.86:
	;; [unrolled: 5-line block ×4, first 2 shown]
	v_mov_b32_e32 v0, 0
	s_waitcnt lgkmcnt(0)
	global_store_dword v0, v11, s[18:19]
                                        ; implicit-def: $vgpr10_vgpr11
.LBB6162_89:
	s_andn2_saveexec_b64 s[6:7], s[6:7]
	s_cbranch_execz .LBB6162_91
; %bb.90:
	v_mov_b32_e32 v0, 0
	s_waitcnt lgkmcnt(0)
	global_store_dword v0, v10, s[18:19]
.LBB6162_91:
	s_or_b64 exec, exec, s[6:7]
                                        ; implicit-def: $vgpr8_vgpr9
.LBB6162_92:
	s_andn2_saveexec_b64 s[4:5], s[4:5]
	s_cbranch_execz .LBB6162_94
; %bb.93:
	v_mov_b32_e32 v0, 0
	s_waitcnt lgkmcnt(0)
	global_store_dword v0, v9, s[18:19]
.LBB6162_94:
	s_or_b64 exec, exec, s[4:5]
                                        ; implicit-def: $vgpr4_vgpr5
                                        ; implicit-def: $vgpr0_vgpr1
                                        ; implicit-def: $vgpr8_vgpr9
.LBB6162_95:
	s_andn2_saveexec_b64 s[2:3], s[2:3]
	s_cbranch_execz .LBB6162_101
; %bb.96:
	v_cmp_lt_i64_e32 vcc, 5, v[0:1]
	s_and_saveexec_b64 s[4:5], vcc
	s_xor_b64 s[4:5], exec, s[4:5]
	s_cbranch_execz .LBB6162_98
; %bb.97:
	v_mov_b32_e32 v0, 0
	s_waitcnt lgkmcnt(0)
	global_store_dword v0, v8, s[18:19]
                                        ; implicit-def: $vgpr4_vgpr5
.LBB6162_98:
	s_andn2_saveexec_b64 s[4:5], s[4:5]
	s_cbranch_execz .LBB6162_100
; %bb.99:
	v_mov_b32_e32 v0, 0
	s_waitcnt lgkmcnt(0)
	global_store_dword v0, v5, s[18:19]
.LBB6162_100:
	s_or_b64 exec, exec, s[4:5]
.LBB6162_101:
	s_or_b64 exec, exec, s[2:3]
                                        ; implicit-def: $vgpr0_vgpr1
                                        ; implicit-def: $vgpr6_vgpr7
                                        ; implicit-def: $vgpr2_vgpr3
                                        ; implicit-def: $vgpr4_vgpr5
.LBB6162_102:
	s_andn2_saveexec_b64 s[0:1], s[0:1]
	s_cbranch_execz .LBB6162_117
; %bb.103:
	v_cmp_lt_i64_e32 vcc, 2, v[0:1]
	s_and_saveexec_b64 s[0:1], vcc
	s_xor_b64 s[0:1], exec, s[0:1]
	s_cbranch_execz .LBB6162_109
; %bb.104:
	v_cmp_lt_i64_e32 vcc, 3, v[0:1]
	s_and_saveexec_b64 s[2:3], vcc
	s_xor_b64 s[2:3], exec, s[2:3]
	s_cbranch_execz .LBB6162_106
; %bb.105:
	v_mov_b32_e32 v0, 0
	s_waitcnt lgkmcnt(0)
	global_store_dword v0, v4, s[18:19]
                                        ; implicit-def: $vgpr6_vgpr7
.LBB6162_106:
	s_andn2_saveexec_b64 s[2:3], s[2:3]
	s_cbranch_execz .LBB6162_108
; %bb.107:
	v_mov_b32_e32 v0, 0
	s_waitcnt lgkmcnt(0)
	global_store_dword v0, v7, s[18:19]
.LBB6162_108:
	s_or_b64 exec, exec, s[2:3]
                                        ; implicit-def: $vgpr0_vgpr1
                                        ; implicit-def: $vgpr6_vgpr7
                                        ; implicit-def: $vgpr2_vgpr3
.LBB6162_109:
	s_andn2_saveexec_b64 s[0:1], s[0:1]
	s_cbranch_execz .LBB6162_117
; %bb.110:
	v_cmp_lt_i64_e32 vcc, 1, v[0:1]
	s_and_saveexec_b64 s[0:1], vcc
	s_xor_b64 s[0:1], exec, s[0:1]
	s_cbranch_execz .LBB6162_112
; %bb.111:
	v_mov_b32_e32 v0, 0
	s_waitcnt lgkmcnt(0)
	global_store_dword v0, v6, s[18:19]
                                        ; implicit-def: $vgpr2_vgpr3
                                        ; implicit-def: $vgpr0_vgpr1
.LBB6162_112:
	s_andn2_saveexec_b64 s[0:1], s[0:1]
	s_cbranch_execz .LBB6162_117
; %bb.113:
	v_cmp_ne_u64_e32 vcc, 1, v[0:1]
	s_and_saveexec_b64 s[0:1], vcc
	s_xor_b64 s[0:1], exec, s[0:1]
	s_cbranch_execz .LBB6162_115
; %bb.114:
	v_mov_b32_e32 v0, 0
	s_waitcnt lgkmcnt(0)
	global_store_dword v0, v2, s[18:19]
                                        ; implicit-def: $vgpr2_vgpr3
.LBB6162_115:
	s_andn2_saveexec_b64 s[0:1], s[0:1]
	s_cbranch_execz .LBB6162_117
; %bb.116:
	v_mov_b32_e32 v0, 0
	s_waitcnt lgkmcnt(0)
	global_store_dword v0, v3, s[18:19]
.LBB6162_117:
	s_endpgm
	.section	.rodata,"a",@progbits
	.p2align	6, 0x0
	.amdhsa_kernel _ZN7rocprim17ROCPRIM_400000_NS6detail17trampoline_kernelINS0_14default_configENS1_20scan_config_selectorIiEEZZNS1_9scan_implILNS1_25lookback_scan_determinismE0ELb1ELb1ES3_N6thrust23THRUST_200600_302600_NS6detail15normal_iteratorINS9_10device_ptrIjEEEENSB_INSC_IfEEEEiNS9_4plusIvEEiEEDaPvRmT3_T4_T5_mT6_P12ihipStream_tbENKUlT_T0_E_clISt17integral_constantIbLb0EESW_EEDaSR_SS_EUlSR_E_NS1_11comp_targetILNS1_3genE4ELNS1_11target_archE910ELNS1_3gpuE8ELNS1_3repE0EEENS1_30default_config_static_selectorELNS0_4arch9wavefront6targetE1EEEvT1_
		.amdhsa_group_segment_fixed_size 5120
		.amdhsa_private_segment_fixed_size 0
		.amdhsa_kernarg_size 96
		.amdhsa_user_sgpr_count 6
		.amdhsa_user_sgpr_private_segment_buffer 1
		.amdhsa_user_sgpr_dispatch_ptr 0
		.amdhsa_user_sgpr_queue_ptr 0
		.amdhsa_user_sgpr_kernarg_segment_ptr 1
		.amdhsa_user_sgpr_dispatch_id 0
		.amdhsa_user_sgpr_flat_scratch_init 0
		.amdhsa_user_sgpr_kernarg_preload_length 0
		.amdhsa_user_sgpr_kernarg_preload_offset 0
		.amdhsa_user_sgpr_private_segment_size 0
		.amdhsa_uses_dynamic_stack 0
		.amdhsa_system_sgpr_private_segment_wavefront_offset 0
		.amdhsa_system_sgpr_workgroup_id_x 1
		.amdhsa_system_sgpr_workgroup_id_y 0
		.amdhsa_system_sgpr_workgroup_id_z 0
		.amdhsa_system_sgpr_workgroup_info 0
		.amdhsa_system_vgpr_workitem_id 0
		.amdhsa_next_free_vgpr 41
		.amdhsa_next_free_sgpr 29
		.amdhsa_accum_offset 44
		.amdhsa_reserve_vcc 1
		.amdhsa_reserve_flat_scratch 0
		.amdhsa_float_round_mode_32 0
		.amdhsa_float_round_mode_16_64 0
		.amdhsa_float_denorm_mode_32 3
		.amdhsa_float_denorm_mode_16_64 3
		.amdhsa_dx10_clamp 1
		.amdhsa_ieee_mode 1
		.amdhsa_fp16_overflow 0
		.amdhsa_tg_split 0
		.amdhsa_exception_fp_ieee_invalid_op 0
		.amdhsa_exception_fp_denorm_src 0
		.amdhsa_exception_fp_ieee_div_zero 0
		.amdhsa_exception_fp_ieee_overflow 0
		.amdhsa_exception_fp_ieee_underflow 0
		.amdhsa_exception_fp_ieee_inexact 0
		.amdhsa_exception_int_div_zero 0
	.end_amdhsa_kernel
	.section	.text._ZN7rocprim17ROCPRIM_400000_NS6detail17trampoline_kernelINS0_14default_configENS1_20scan_config_selectorIiEEZZNS1_9scan_implILNS1_25lookback_scan_determinismE0ELb1ELb1ES3_N6thrust23THRUST_200600_302600_NS6detail15normal_iteratorINS9_10device_ptrIjEEEENSB_INSC_IfEEEEiNS9_4plusIvEEiEEDaPvRmT3_T4_T5_mT6_P12ihipStream_tbENKUlT_T0_E_clISt17integral_constantIbLb0EESW_EEDaSR_SS_EUlSR_E_NS1_11comp_targetILNS1_3genE4ELNS1_11target_archE910ELNS1_3gpuE8ELNS1_3repE0EEENS1_30default_config_static_selectorELNS0_4arch9wavefront6targetE1EEEvT1_,"axG",@progbits,_ZN7rocprim17ROCPRIM_400000_NS6detail17trampoline_kernelINS0_14default_configENS1_20scan_config_selectorIiEEZZNS1_9scan_implILNS1_25lookback_scan_determinismE0ELb1ELb1ES3_N6thrust23THRUST_200600_302600_NS6detail15normal_iteratorINS9_10device_ptrIjEEEENSB_INSC_IfEEEEiNS9_4plusIvEEiEEDaPvRmT3_T4_T5_mT6_P12ihipStream_tbENKUlT_T0_E_clISt17integral_constantIbLb0EESW_EEDaSR_SS_EUlSR_E_NS1_11comp_targetILNS1_3genE4ELNS1_11target_archE910ELNS1_3gpuE8ELNS1_3repE0EEENS1_30default_config_static_selectorELNS0_4arch9wavefront6targetE1EEEvT1_,comdat
.Lfunc_end6162:
	.size	_ZN7rocprim17ROCPRIM_400000_NS6detail17trampoline_kernelINS0_14default_configENS1_20scan_config_selectorIiEEZZNS1_9scan_implILNS1_25lookback_scan_determinismE0ELb1ELb1ES3_N6thrust23THRUST_200600_302600_NS6detail15normal_iteratorINS9_10device_ptrIjEEEENSB_INSC_IfEEEEiNS9_4plusIvEEiEEDaPvRmT3_T4_T5_mT6_P12ihipStream_tbENKUlT_T0_E_clISt17integral_constantIbLb0EESW_EEDaSR_SS_EUlSR_E_NS1_11comp_targetILNS1_3genE4ELNS1_11target_archE910ELNS1_3gpuE8ELNS1_3repE0EEENS1_30default_config_static_selectorELNS0_4arch9wavefront6targetE1EEEvT1_, .Lfunc_end6162-_ZN7rocprim17ROCPRIM_400000_NS6detail17trampoline_kernelINS0_14default_configENS1_20scan_config_selectorIiEEZZNS1_9scan_implILNS1_25lookback_scan_determinismE0ELb1ELb1ES3_N6thrust23THRUST_200600_302600_NS6detail15normal_iteratorINS9_10device_ptrIjEEEENSB_INSC_IfEEEEiNS9_4plusIvEEiEEDaPvRmT3_T4_T5_mT6_P12ihipStream_tbENKUlT_T0_E_clISt17integral_constantIbLb0EESW_EEDaSR_SS_EUlSR_E_NS1_11comp_targetILNS1_3genE4ELNS1_11target_archE910ELNS1_3gpuE8ELNS1_3repE0EEENS1_30default_config_static_selectorELNS0_4arch9wavefront6targetE1EEEvT1_
                                        ; -- End function
	.section	.AMDGPU.csdata,"",@progbits
; Kernel info:
; codeLenInByte = 4488
; NumSgprs: 33
; NumVgprs: 41
; NumAgprs: 0
; TotalNumVgprs: 41
; ScratchSize: 0
; MemoryBound: 0
; FloatMode: 240
; IeeeMode: 1
; LDSByteSize: 5120 bytes/workgroup (compile time only)
; SGPRBlocks: 4
; VGPRBlocks: 5
; NumSGPRsForWavesPerEU: 33
; NumVGPRsForWavesPerEU: 41
; AccumOffset: 44
; Occupancy: 6
; WaveLimiterHint : 1
; COMPUTE_PGM_RSRC2:SCRATCH_EN: 0
; COMPUTE_PGM_RSRC2:USER_SGPR: 6
; COMPUTE_PGM_RSRC2:TRAP_HANDLER: 0
; COMPUTE_PGM_RSRC2:TGID_X_EN: 1
; COMPUTE_PGM_RSRC2:TGID_Y_EN: 0
; COMPUTE_PGM_RSRC2:TGID_Z_EN: 0
; COMPUTE_PGM_RSRC2:TIDIG_COMP_CNT: 0
; COMPUTE_PGM_RSRC3_GFX90A:ACCUM_OFFSET: 10
; COMPUTE_PGM_RSRC3_GFX90A:TG_SPLIT: 0
	.section	.text._ZN7rocprim17ROCPRIM_400000_NS6detail17trampoline_kernelINS0_14default_configENS1_20scan_config_selectorIiEEZZNS1_9scan_implILNS1_25lookback_scan_determinismE0ELb1ELb1ES3_N6thrust23THRUST_200600_302600_NS6detail15normal_iteratorINS9_10device_ptrIjEEEENSB_INSC_IfEEEEiNS9_4plusIvEEiEEDaPvRmT3_T4_T5_mT6_P12ihipStream_tbENKUlT_T0_E_clISt17integral_constantIbLb0EESW_EEDaSR_SS_EUlSR_E_NS1_11comp_targetILNS1_3genE3ELNS1_11target_archE908ELNS1_3gpuE7ELNS1_3repE0EEENS1_30default_config_static_selectorELNS0_4arch9wavefront6targetE1EEEvT1_,"axG",@progbits,_ZN7rocprim17ROCPRIM_400000_NS6detail17trampoline_kernelINS0_14default_configENS1_20scan_config_selectorIiEEZZNS1_9scan_implILNS1_25lookback_scan_determinismE0ELb1ELb1ES3_N6thrust23THRUST_200600_302600_NS6detail15normal_iteratorINS9_10device_ptrIjEEEENSB_INSC_IfEEEEiNS9_4plusIvEEiEEDaPvRmT3_T4_T5_mT6_P12ihipStream_tbENKUlT_T0_E_clISt17integral_constantIbLb0EESW_EEDaSR_SS_EUlSR_E_NS1_11comp_targetILNS1_3genE3ELNS1_11target_archE908ELNS1_3gpuE7ELNS1_3repE0EEENS1_30default_config_static_selectorELNS0_4arch9wavefront6targetE1EEEvT1_,comdat
	.protected	_ZN7rocprim17ROCPRIM_400000_NS6detail17trampoline_kernelINS0_14default_configENS1_20scan_config_selectorIiEEZZNS1_9scan_implILNS1_25lookback_scan_determinismE0ELb1ELb1ES3_N6thrust23THRUST_200600_302600_NS6detail15normal_iteratorINS9_10device_ptrIjEEEENSB_INSC_IfEEEEiNS9_4plusIvEEiEEDaPvRmT3_T4_T5_mT6_P12ihipStream_tbENKUlT_T0_E_clISt17integral_constantIbLb0EESW_EEDaSR_SS_EUlSR_E_NS1_11comp_targetILNS1_3genE3ELNS1_11target_archE908ELNS1_3gpuE7ELNS1_3repE0EEENS1_30default_config_static_selectorELNS0_4arch9wavefront6targetE1EEEvT1_ ; -- Begin function _ZN7rocprim17ROCPRIM_400000_NS6detail17trampoline_kernelINS0_14default_configENS1_20scan_config_selectorIiEEZZNS1_9scan_implILNS1_25lookback_scan_determinismE0ELb1ELb1ES3_N6thrust23THRUST_200600_302600_NS6detail15normal_iteratorINS9_10device_ptrIjEEEENSB_INSC_IfEEEEiNS9_4plusIvEEiEEDaPvRmT3_T4_T5_mT6_P12ihipStream_tbENKUlT_T0_E_clISt17integral_constantIbLb0EESW_EEDaSR_SS_EUlSR_E_NS1_11comp_targetILNS1_3genE3ELNS1_11target_archE908ELNS1_3gpuE7ELNS1_3repE0EEENS1_30default_config_static_selectorELNS0_4arch9wavefront6targetE1EEEvT1_
	.globl	_ZN7rocprim17ROCPRIM_400000_NS6detail17trampoline_kernelINS0_14default_configENS1_20scan_config_selectorIiEEZZNS1_9scan_implILNS1_25lookback_scan_determinismE0ELb1ELb1ES3_N6thrust23THRUST_200600_302600_NS6detail15normal_iteratorINS9_10device_ptrIjEEEENSB_INSC_IfEEEEiNS9_4plusIvEEiEEDaPvRmT3_T4_T5_mT6_P12ihipStream_tbENKUlT_T0_E_clISt17integral_constantIbLb0EESW_EEDaSR_SS_EUlSR_E_NS1_11comp_targetILNS1_3genE3ELNS1_11target_archE908ELNS1_3gpuE7ELNS1_3repE0EEENS1_30default_config_static_selectorELNS0_4arch9wavefront6targetE1EEEvT1_
	.p2align	8
	.type	_ZN7rocprim17ROCPRIM_400000_NS6detail17trampoline_kernelINS0_14default_configENS1_20scan_config_selectorIiEEZZNS1_9scan_implILNS1_25lookback_scan_determinismE0ELb1ELb1ES3_N6thrust23THRUST_200600_302600_NS6detail15normal_iteratorINS9_10device_ptrIjEEEENSB_INSC_IfEEEEiNS9_4plusIvEEiEEDaPvRmT3_T4_T5_mT6_P12ihipStream_tbENKUlT_T0_E_clISt17integral_constantIbLb0EESW_EEDaSR_SS_EUlSR_E_NS1_11comp_targetILNS1_3genE3ELNS1_11target_archE908ELNS1_3gpuE7ELNS1_3repE0EEENS1_30default_config_static_selectorELNS0_4arch9wavefront6targetE1EEEvT1_,@function
_ZN7rocprim17ROCPRIM_400000_NS6detail17trampoline_kernelINS0_14default_configENS1_20scan_config_selectorIiEEZZNS1_9scan_implILNS1_25lookback_scan_determinismE0ELb1ELb1ES3_N6thrust23THRUST_200600_302600_NS6detail15normal_iteratorINS9_10device_ptrIjEEEENSB_INSC_IfEEEEiNS9_4plusIvEEiEEDaPvRmT3_T4_T5_mT6_P12ihipStream_tbENKUlT_T0_E_clISt17integral_constantIbLb0EESW_EEDaSR_SS_EUlSR_E_NS1_11comp_targetILNS1_3genE3ELNS1_11target_archE908ELNS1_3gpuE7ELNS1_3repE0EEENS1_30default_config_static_selectorELNS0_4arch9wavefront6targetE1EEEvT1_: ; @_ZN7rocprim17ROCPRIM_400000_NS6detail17trampoline_kernelINS0_14default_configENS1_20scan_config_selectorIiEEZZNS1_9scan_implILNS1_25lookback_scan_determinismE0ELb1ELb1ES3_N6thrust23THRUST_200600_302600_NS6detail15normal_iteratorINS9_10device_ptrIjEEEENSB_INSC_IfEEEEiNS9_4plusIvEEiEEDaPvRmT3_T4_T5_mT6_P12ihipStream_tbENKUlT_T0_E_clISt17integral_constantIbLb0EESW_EEDaSR_SS_EUlSR_E_NS1_11comp_targetILNS1_3genE3ELNS1_11target_archE908ELNS1_3gpuE7ELNS1_3repE0EEENS1_30default_config_static_selectorELNS0_4arch9wavefront6targetE1EEEvT1_
; %bb.0:
	.section	.rodata,"a",@progbits
	.p2align	6, 0x0
	.amdhsa_kernel _ZN7rocprim17ROCPRIM_400000_NS6detail17trampoline_kernelINS0_14default_configENS1_20scan_config_selectorIiEEZZNS1_9scan_implILNS1_25lookback_scan_determinismE0ELb1ELb1ES3_N6thrust23THRUST_200600_302600_NS6detail15normal_iteratorINS9_10device_ptrIjEEEENSB_INSC_IfEEEEiNS9_4plusIvEEiEEDaPvRmT3_T4_T5_mT6_P12ihipStream_tbENKUlT_T0_E_clISt17integral_constantIbLb0EESW_EEDaSR_SS_EUlSR_E_NS1_11comp_targetILNS1_3genE3ELNS1_11target_archE908ELNS1_3gpuE7ELNS1_3repE0EEENS1_30default_config_static_selectorELNS0_4arch9wavefront6targetE1EEEvT1_
		.amdhsa_group_segment_fixed_size 0
		.amdhsa_private_segment_fixed_size 0
		.amdhsa_kernarg_size 96
		.amdhsa_user_sgpr_count 6
		.amdhsa_user_sgpr_private_segment_buffer 1
		.amdhsa_user_sgpr_dispatch_ptr 0
		.amdhsa_user_sgpr_queue_ptr 0
		.amdhsa_user_sgpr_kernarg_segment_ptr 1
		.amdhsa_user_sgpr_dispatch_id 0
		.amdhsa_user_sgpr_flat_scratch_init 0
		.amdhsa_user_sgpr_kernarg_preload_length 0
		.amdhsa_user_sgpr_kernarg_preload_offset 0
		.amdhsa_user_sgpr_private_segment_size 0
		.amdhsa_uses_dynamic_stack 0
		.amdhsa_system_sgpr_private_segment_wavefront_offset 0
		.amdhsa_system_sgpr_workgroup_id_x 1
		.amdhsa_system_sgpr_workgroup_id_y 0
		.amdhsa_system_sgpr_workgroup_id_z 0
		.amdhsa_system_sgpr_workgroup_info 0
		.amdhsa_system_vgpr_workitem_id 0
		.amdhsa_next_free_vgpr 1
		.amdhsa_next_free_sgpr 0
		.amdhsa_accum_offset 4
		.amdhsa_reserve_vcc 0
		.amdhsa_reserve_flat_scratch 0
		.amdhsa_float_round_mode_32 0
		.amdhsa_float_round_mode_16_64 0
		.amdhsa_float_denorm_mode_32 3
		.amdhsa_float_denorm_mode_16_64 3
		.amdhsa_dx10_clamp 1
		.amdhsa_ieee_mode 1
		.amdhsa_fp16_overflow 0
		.amdhsa_tg_split 0
		.amdhsa_exception_fp_ieee_invalid_op 0
		.amdhsa_exception_fp_denorm_src 0
		.amdhsa_exception_fp_ieee_div_zero 0
		.amdhsa_exception_fp_ieee_overflow 0
		.amdhsa_exception_fp_ieee_underflow 0
		.amdhsa_exception_fp_ieee_inexact 0
		.amdhsa_exception_int_div_zero 0
	.end_amdhsa_kernel
	.section	.text._ZN7rocprim17ROCPRIM_400000_NS6detail17trampoline_kernelINS0_14default_configENS1_20scan_config_selectorIiEEZZNS1_9scan_implILNS1_25lookback_scan_determinismE0ELb1ELb1ES3_N6thrust23THRUST_200600_302600_NS6detail15normal_iteratorINS9_10device_ptrIjEEEENSB_INSC_IfEEEEiNS9_4plusIvEEiEEDaPvRmT3_T4_T5_mT6_P12ihipStream_tbENKUlT_T0_E_clISt17integral_constantIbLb0EESW_EEDaSR_SS_EUlSR_E_NS1_11comp_targetILNS1_3genE3ELNS1_11target_archE908ELNS1_3gpuE7ELNS1_3repE0EEENS1_30default_config_static_selectorELNS0_4arch9wavefront6targetE1EEEvT1_,"axG",@progbits,_ZN7rocprim17ROCPRIM_400000_NS6detail17trampoline_kernelINS0_14default_configENS1_20scan_config_selectorIiEEZZNS1_9scan_implILNS1_25lookback_scan_determinismE0ELb1ELb1ES3_N6thrust23THRUST_200600_302600_NS6detail15normal_iteratorINS9_10device_ptrIjEEEENSB_INSC_IfEEEEiNS9_4plusIvEEiEEDaPvRmT3_T4_T5_mT6_P12ihipStream_tbENKUlT_T0_E_clISt17integral_constantIbLb0EESW_EEDaSR_SS_EUlSR_E_NS1_11comp_targetILNS1_3genE3ELNS1_11target_archE908ELNS1_3gpuE7ELNS1_3repE0EEENS1_30default_config_static_selectorELNS0_4arch9wavefront6targetE1EEEvT1_,comdat
.Lfunc_end6163:
	.size	_ZN7rocprim17ROCPRIM_400000_NS6detail17trampoline_kernelINS0_14default_configENS1_20scan_config_selectorIiEEZZNS1_9scan_implILNS1_25lookback_scan_determinismE0ELb1ELb1ES3_N6thrust23THRUST_200600_302600_NS6detail15normal_iteratorINS9_10device_ptrIjEEEENSB_INSC_IfEEEEiNS9_4plusIvEEiEEDaPvRmT3_T4_T5_mT6_P12ihipStream_tbENKUlT_T0_E_clISt17integral_constantIbLb0EESW_EEDaSR_SS_EUlSR_E_NS1_11comp_targetILNS1_3genE3ELNS1_11target_archE908ELNS1_3gpuE7ELNS1_3repE0EEENS1_30default_config_static_selectorELNS0_4arch9wavefront6targetE1EEEvT1_, .Lfunc_end6163-_ZN7rocprim17ROCPRIM_400000_NS6detail17trampoline_kernelINS0_14default_configENS1_20scan_config_selectorIiEEZZNS1_9scan_implILNS1_25lookback_scan_determinismE0ELb1ELb1ES3_N6thrust23THRUST_200600_302600_NS6detail15normal_iteratorINS9_10device_ptrIjEEEENSB_INSC_IfEEEEiNS9_4plusIvEEiEEDaPvRmT3_T4_T5_mT6_P12ihipStream_tbENKUlT_T0_E_clISt17integral_constantIbLb0EESW_EEDaSR_SS_EUlSR_E_NS1_11comp_targetILNS1_3genE3ELNS1_11target_archE908ELNS1_3gpuE7ELNS1_3repE0EEENS1_30default_config_static_selectorELNS0_4arch9wavefront6targetE1EEEvT1_
                                        ; -- End function
	.section	.AMDGPU.csdata,"",@progbits
; Kernel info:
; codeLenInByte = 0
; NumSgprs: 4
; NumVgprs: 0
; NumAgprs: 0
; TotalNumVgprs: 0
; ScratchSize: 0
; MemoryBound: 0
; FloatMode: 240
; IeeeMode: 1
; LDSByteSize: 0 bytes/workgroup (compile time only)
; SGPRBlocks: 0
; VGPRBlocks: 0
; NumSGPRsForWavesPerEU: 4
; NumVGPRsForWavesPerEU: 1
; AccumOffset: 4
; Occupancy: 8
; WaveLimiterHint : 0
; COMPUTE_PGM_RSRC2:SCRATCH_EN: 0
; COMPUTE_PGM_RSRC2:USER_SGPR: 6
; COMPUTE_PGM_RSRC2:TRAP_HANDLER: 0
; COMPUTE_PGM_RSRC2:TGID_X_EN: 1
; COMPUTE_PGM_RSRC2:TGID_Y_EN: 0
; COMPUTE_PGM_RSRC2:TGID_Z_EN: 0
; COMPUTE_PGM_RSRC2:TIDIG_COMP_CNT: 0
; COMPUTE_PGM_RSRC3_GFX90A:ACCUM_OFFSET: 0
; COMPUTE_PGM_RSRC3_GFX90A:TG_SPLIT: 0
	.section	.text._ZN7rocprim17ROCPRIM_400000_NS6detail17trampoline_kernelINS0_14default_configENS1_20scan_config_selectorIiEEZZNS1_9scan_implILNS1_25lookback_scan_determinismE0ELb1ELb1ES3_N6thrust23THRUST_200600_302600_NS6detail15normal_iteratorINS9_10device_ptrIjEEEENSB_INSC_IfEEEEiNS9_4plusIvEEiEEDaPvRmT3_T4_T5_mT6_P12ihipStream_tbENKUlT_T0_E_clISt17integral_constantIbLb0EESW_EEDaSR_SS_EUlSR_E_NS1_11comp_targetILNS1_3genE2ELNS1_11target_archE906ELNS1_3gpuE6ELNS1_3repE0EEENS1_30default_config_static_selectorELNS0_4arch9wavefront6targetE1EEEvT1_,"axG",@progbits,_ZN7rocprim17ROCPRIM_400000_NS6detail17trampoline_kernelINS0_14default_configENS1_20scan_config_selectorIiEEZZNS1_9scan_implILNS1_25lookback_scan_determinismE0ELb1ELb1ES3_N6thrust23THRUST_200600_302600_NS6detail15normal_iteratorINS9_10device_ptrIjEEEENSB_INSC_IfEEEEiNS9_4plusIvEEiEEDaPvRmT3_T4_T5_mT6_P12ihipStream_tbENKUlT_T0_E_clISt17integral_constantIbLb0EESW_EEDaSR_SS_EUlSR_E_NS1_11comp_targetILNS1_3genE2ELNS1_11target_archE906ELNS1_3gpuE6ELNS1_3repE0EEENS1_30default_config_static_selectorELNS0_4arch9wavefront6targetE1EEEvT1_,comdat
	.protected	_ZN7rocprim17ROCPRIM_400000_NS6detail17trampoline_kernelINS0_14default_configENS1_20scan_config_selectorIiEEZZNS1_9scan_implILNS1_25lookback_scan_determinismE0ELb1ELb1ES3_N6thrust23THRUST_200600_302600_NS6detail15normal_iteratorINS9_10device_ptrIjEEEENSB_INSC_IfEEEEiNS9_4plusIvEEiEEDaPvRmT3_T4_T5_mT6_P12ihipStream_tbENKUlT_T0_E_clISt17integral_constantIbLb0EESW_EEDaSR_SS_EUlSR_E_NS1_11comp_targetILNS1_3genE2ELNS1_11target_archE906ELNS1_3gpuE6ELNS1_3repE0EEENS1_30default_config_static_selectorELNS0_4arch9wavefront6targetE1EEEvT1_ ; -- Begin function _ZN7rocprim17ROCPRIM_400000_NS6detail17trampoline_kernelINS0_14default_configENS1_20scan_config_selectorIiEEZZNS1_9scan_implILNS1_25lookback_scan_determinismE0ELb1ELb1ES3_N6thrust23THRUST_200600_302600_NS6detail15normal_iteratorINS9_10device_ptrIjEEEENSB_INSC_IfEEEEiNS9_4plusIvEEiEEDaPvRmT3_T4_T5_mT6_P12ihipStream_tbENKUlT_T0_E_clISt17integral_constantIbLb0EESW_EEDaSR_SS_EUlSR_E_NS1_11comp_targetILNS1_3genE2ELNS1_11target_archE906ELNS1_3gpuE6ELNS1_3repE0EEENS1_30default_config_static_selectorELNS0_4arch9wavefront6targetE1EEEvT1_
	.globl	_ZN7rocprim17ROCPRIM_400000_NS6detail17trampoline_kernelINS0_14default_configENS1_20scan_config_selectorIiEEZZNS1_9scan_implILNS1_25lookback_scan_determinismE0ELb1ELb1ES3_N6thrust23THRUST_200600_302600_NS6detail15normal_iteratorINS9_10device_ptrIjEEEENSB_INSC_IfEEEEiNS9_4plusIvEEiEEDaPvRmT3_T4_T5_mT6_P12ihipStream_tbENKUlT_T0_E_clISt17integral_constantIbLb0EESW_EEDaSR_SS_EUlSR_E_NS1_11comp_targetILNS1_3genE2ELNS1_11target_archE906ELNS1_3gpuE6ELNS1_3repE0EEENS1_30default_config_static_selectorELNS0_4arch9wavefront6targetE1EEEvT1_
	.p2align	8
	.type	_ZN7rocprim17ROCPRIM_400000_NS6detail17trampoline_kernelINS0_14default_configENS1_20scan_config_selectorIiEEZZNS1_9scan_implILNS1_25lookback_scan_determinismE0ELb1ELb1ES3_N6thrust23THRUST_200600_302600_NS6detail15normal_iteratorINS9_10device_ptrIjEEEENSB_INSC_IfEEEEiNS9_4plusIvEEiEEDaPvRmT3_T4_T5_mT6_P12ihipStream_tbENKUlT_T0_E_clISt17integral_constantIbLb0EESW_EEDaSR_SS_EUlSR_E_NS1_11comp_targetILNS1_3genE2ELNS1_11target_archE906ELNS1_3gpuE6ELNS1_3repE0EEENS1_30default_config_static_selectorELNS0_4arch9wavefront6targetE1EEEvT1_,@function
_ZN7rocprim17ROCPRIM_400000_NS6detail17trampoline_kernelINS0_14default_configENS1_20scan_config_selectorIiEEZZNS1_9scan_implILNS1_25lookback_scan_determinismE0ELb1ELb1ES3_N6thrust23THRUST_200600_302600_NS6detail15normal_iteratorINS9_10device_ptrIjEEEENSB_INSC_IfEEEEiNS9_4plusIvEEiEEDaPvRmT3_T4_T5_mT6_P12ihipStream_tbENKUlT_T0_E_clISt17integral_constantIbLb0EESW_EEDaSR_SS_EUlSR_E_NS1_11comp_targetILNS1_3genE2ELNS1_11target_archE906ELNS1_3gpuE6ELNS1_3repE0EEENS1_30default_config_static_selectorELNS0_4arch9wavefront6targetE1EEEvT1_: ; @_ZN7rocprim17ROCPRIM_400000_NS6detail17trampoline_kernelINS0_14default_configENS1_20scan_config_selectorIiEEZZNS1_9scan_implILNS1_25lookback_scan_determinismE0ELb1ELb1ES3_N6thrust23THRUST_200600_302600_NS6detail15normal_iteratorINS9_10device_ptrIjEEEENSB_INSC_IfEEEEiNS9_4plusIvEEiEEDaPvRmT3_T4_T5_mT6_P12ihipStream_tbENKUlT_T0_E_clISt17integral_constantIbLb0EESW_EEDaSR_SS_EUlSR_E_NS1_11comp_targetILNS1_3genE2ELNS1_11target_archE906ELNS1_3gpuE6ELNS1_3repE0EEENS1_30default_config_static_selectorELNS0_4arch9wavefront6targetE1EEEvT1_
; %bb.0:
	.section	.rodata,"a",@progbits
	.p2align	6, 0x0
	.amdhsa_kernel _ZN7rocprim17ROCPRIM_400000_NS6detail17trampoline_kernelINS0_14default_configENS1_20scan_config_selectorIiEEZZNS1_9scan_implILNS1_25lookback_scan_determinismE0ELb1ELb1ES3_N6thrust23THRUST_200600_302600_NS6detail15normal_iteratorINS9_10device_ptrIjEEEENSB_INSC_IfEEEEiNS9_4plusIvEEiEEDaPvRmT3_T4_T5_mT6_P12ihipStream_tbENKUlT_T0_E_clISt17integral_constantIbLb0EESW_EEDaSR_SS_EUlSR_E_NS1_11comp_targetILNS1_3genE2ELNS1_11target_archE906ELNS1_3gpuE6ELNS1_3repE0EEENS1_30default_config_static_selectorELNS0_4arch9wavefront6targetE1EEEvT1_
		.amdhsa_group_segment_fixed_size 0
		.amdhsa_private_segment_fixed_size 0
		.amdhsa_kernarg_size 96
		.amdhsa_user_sgpr_count 6
		.amdhsa_user_sgpr_private_segment_buffer 1
		.amdhsa_user_sgpr_dispatch_ptr 0
		.amdhsa_user_sgpr_queue_ptr 0
		.amdhsa_user_sgpr_kernarg_segment_ptr 1
		.amdhsa_user_sgpr_dispatch_id 0
		.amdhsa_user_sgpr_flat_scratch_init 0
		.amdhsa_user_sgpr_kernarg_preload_length 0
		.amdhsa_user_sgpr_kernarg_preload_offset 0
		.amdhsa_user_sgpr_private_segment_size 0
		.amdhsa_uses_dynamic_stack 0
		.amdhsa_system_sgpr_private_segment_wavefront_offset 0
		.amdhsa_system_sgpr_workgroup_id_x 1
		.amdhsa_system_sgpr_workgroup_id_y 0
		.amdhsa_system_sgpr_workgroup_id_z 0
		.amdhsa_system_sgpr_workgroup_info 0
		.amdhsa_system_vgpr_workitem_id 0
		.amdhsa_next_free_vgpr 1
		.amdhsa_next_free_sgpr 0
		.amdhsa_accum_offset 4
		.amdhsa_reserve_vcc 0
		.amdhsa_reserve_flat_scratch 0
		.amdhsa_float_round_mode_32 0
		.amdhsa_float_round_mode_16_64 0
		.amdhsa_float_denorm_mode_32 3
		.amdhsa_float_denorm_mode_16_64 3
		.amdhsa_dx10_clamp 1
		.amdhsa_ieee_mode 1
		.amdhsa_fp16_overflow 0
		.amdhsa_tg_split 0
		.amdhsa_exception_fp_ieee_invalid_op 0
		.amdhsa_exception_fp_denorm_src 0
		.amdhsa_exception_fp_ieee_div_zero 0
		.amdhsa_exception_fp_ieee_overflow 0
		.amdhsa_exception_fp_ieee_underflow 0
		.amdhsa_exception_fp_ieee_inexact 0
		.amdhsa_exception_int_div_zero 0
	.end_amdhsa_kernel
	.section	.text._ZN7rocprim17ROCPRIM_400000_NS6detail17trampoline_kernelINS0_14default_configENS1_20scan_config_selectorIiEEZZNS1_9scan_implILNS1_25lookback_scan_determinismE0ELb1ELb1ES3_N6thrust23THRUST_200600_302600_NS6detail15normal_iteratorINS9_10device_ptrIjEEEENSB_INSC_IfEEEEiNS9_4plusIvEEiEEDaPvRmT3_T4_T5_mT6_P12ihipStream_tbENKUlT_T0_E_clISt17integral_constantIbLb0EESW_EEDaSR_SS_EUlSR_E_NS1_11comp_targetILNS1_3genE2ELNS1_11target_archE906ELNS1_3gpuE6ELNS1_3repE0EEENS1_30default_config_static_selectorELNS0_4arch9wavefront6targetE1EEEvT1_,"axG",@progbits,_ZN7rocprim17ROCPRIM_400000_NS6detail17trampoline_kernelINS0_14default_configENS1_20scan_config_selectorIiEEZZNS1_9scan_implILNS1_25lookback_scan_determinismE0ELb1ELb1ES3_N6thrust23THRUST_200600_302600_NS6detail15normal_iteratorINS9_10device_ptrIjEEEENSB_INSC_IfEEEEiNS9_4plusIvEEiEEDaPvRmT3_T4_T5_mT6_P12ihipStream_tbENKUlT_T0_E_clISt17integral_constantIbLb0EESW_EEDaSR_SS_EUlSR_E_NS1_11comp_targetILNS1_3genE2ELNS1_11target_archE906ELNS1_3gpuE6ELNS1_3repE0EEENS1_30default_config_static_selectorELNS0_4arch9wavefront6targetE1EEEvT1_,comdat
.Lfunc_end6164:
	.size	_ZN7rocprim17ROCPRIM_400000_NS6detail17trampoline_kernelINS0_14default_configENS1_20scan_config_selectorIiEEZZNS1_9scan_implILNS1_25lookback_scan_determinismE0ELb1ELb1ES3_N6thrust23THRUST_200600_302600_NS6detail15normal_iteratorINS9_10device_ptrIjEEEENSB_INSC_IfEEEEiNS9_4plusIvEEiEEDaPvRmT3_T4_T5_mT6_P12ihipStream_tbENKUlT_T0_E_clISt17integral_constantIbLb0EESW_EEDaSR_SS_EUlSR_E_NS1_11comp_targetILNS1_3genE2ELNS1_11target_archE906ELNS1_3gpuE6ELNS1_3repE0EEENS1_30default_config_static_selectorELNS0_4arch9wavefront6targetE1EEEvT1_, .Lfunc_end6164-_ZN7rocprim17ROCPRIM_400000_NS6detail17trampoline_kernelINS0_14default_configENS1_20scan_config_selectorIiEEZZNS1_9scan_implILNS1_25lookback_scan_determinismE0ELb1ELb1ES3_N6thrust23THRUST_200600_302600_NS6detail15normal_iteratorINS9_10device_ptrIjEEEENSB_INSC_IfEEEEiNS9_4plusIvEEiEEDaPvRmT3_T4_T5_mT6_P12ihipStream_tbENKUlT_T0_E_clISt17integral_constantIbLb0EESW_EEDaSR_SS_EUlSR_E_NS1_11comp_targetILNS1_3genE2ELNS1_11target_archE906ELNS1_3gpuE6ELNS1_3repE0EEENS1_30default_config_static_selectorELNS0_4arch9wavefront6targetE1EEEvT1_
                                        ; -- End function
	.section	.AMDGPU.csdata,"",@progbits
; Kernel info:
; codeLenInByte = 0
; NumSgprs: 4
; NumVgprs: 0
; NumAgprs: 0
; TotalNumVgprs: 0
; ScratchSize: 0
; MemoryBound: 0
; FloatMode: 240
; IeeeMode: 1
; LDSByteSize: 0 bytes/workgroup (compile time only)
; SGPRBlocks: 0
; VGPRBlocks: 0
; NumSGPRsForWavesPerEU: 4
; NumVGPRsForWavesPerEU: 1
; AccumOffset: 4
; Occupancy: 8
; WaveLimiterHint : 0
; COMPUTE_PGM_RSRC2:SCRATCH_EN: 0
; COMPUTE_PGM_RSRC2:USER_SGPR: 6
; COMPUTE_PGM_RSRC2:TRAP_HANDLER: 0
; COMPUTE_PGM_RSRC2:TGID_X_EN: 1
; COMPUTE_PGM_RSRC2:TGID_Y_EN: 0
; COMPUTE_PGM_RSRC2:TGID_Z_EN: 0
; COMPUTE_PGM_RSRC2:TIDIG_COMP_CNT: 0
; COMPUTE_PGM_RSRC3_GFX90A:ACCUM_OFFSET: 0
; COMPUTE_PGM_RSRC3_GFX90A:TG_SPLIT: 0
	.section	.text._ZN7rocprim17ROCPRIM_400000_NS6detail17trampoline_kernelINS0_14default_configENS1_20scan_config_selectorIiEEZZNS1_9scan_implILNS1_25lookback_scan_determinismE0ELb1ELb1ES3_N6thrust23THRUST_200600_302600_NS6detail15normal_iteratorINS9_10device_ptrIjEEEENSB_INSC_IfEEEEiNS9_4plusIvEEiEEDaPvRmT3_T4_T5_mT6_P12ihipStream_tbENKUlT_T0_E_clISt17integral_constantIbLb0EESW_EEDaSR_SS_EUlSR_E_NS1_11comp_targetILNS1_3genE10ELNS1_11target_archE1201ELNS1_3gpuE5ELNS1_3repE0EEENS1_30default_config_static_selectorELNS0_4arch9wavefront6targetE1EEEvT1_,"axG",@progbits,_ZN7rocprim17ROCPRIM_400000_NS6detail17trampoline_kernelINS0_14default_configENS1_20scan_config_selectorIiEEZZNS1_9scan_implILNS1_25lookback_scan_determinismE0ELb1ELb1ES3_N6thrust23THRUST_200600_302600_NS6detail15normal_iteratorINS9_10device_ptrIjEEEENSB_INSC_IfEEEEiNS9_4plusIvEEiEEDaPvRmT3_T4_T5_mT6_P12ihipStream_tbENKUlT_T0_E_clISt17integral_constantIbLb0EESW_EEDaSR_SS_EUlSR_E_NS1_11comp_targetILNS1_3genE10ELNS1_11target_archE1201ELNS1_3gpuE5ELNS1_3repE0EEENS1_30default_config_static_selectorELNS0_4arch9wavefront6targetE1EEEvT1_,comdat
	.protected	_ZN7rocprim17ROCPRIM_400000_NS6detail17trampoline_kernelINS0_14default_configENS1_20scan_config_selectorIiEEZZNS1_9scan_implILNS1_25lookback_scan_determinismE0ELb1ELb1ES3_N6thrust23THRUST_200600_302600_NS6detail15normal_iteratorINS9_10device_ptrIjEEEENSB_INSC_IfEEEEiNS9_4plusIvEEiEEDaPvRmT3_T4_T5_mT6_P12ihipStream_tbENKUlT_T0_E_clISt17integral_constantIbLb0EESW_EEDaSR_SS_EUlSR_E_NS1_11comp_targetILNS1_3genE10ELNS1_11target_archE1201ELNS1_3gpuE5ELNS1_3repE0EEENS1_30default_config_static_selectorELNS0_4arch9wavefront6targetE1EEEvT1_ ; -- Begin function _ZN7rocprim17ROCPRIM_400000_NS6detail17trampoline_kernelINS0_14default_configENS1_20scan_config_selectorIiEEZZNS1_9scan_implILNS1_25lookback_scan_determinismE0ELb1ELb1ES3_N6thrust23THRUST_200600_302600_NS6detail15normal_iteratorINS9_10device_ptrIjEEEENSB_INSC_IfEEEEiNS9_4plusIvEEiEEDaPvRmT3_T4_T5_mT6_P12ihipStream_tbENKUlT_T0_E_clISt17integral_constantIbLb0EESW_EEDaSR_SS_EUlSR_E_NS1_11comp_targetILNS1_3genE10ELNS1_11target_archE1201ELNS1_3gpuE5ELNS1_3repE0EEENS1_30default_config_static_selectorELNS0_4arch9wavefront6targetE1EEEvT1_
	.globl	_ZN7rocprim17ROCPRIM_400000_NS6detail17trampoline_kernelINS0_14default_configENS1_20scan_config_selectorIiEEZZNS1_9scan_implILNS1_25lookback_scan_determinismE0ELb1ELb1ES3_N6thrust23THRUST_200600_302600_NS6detail15normal_iteratorINS9_10device_ptrIjEEEENSB_INSC_IfEEEEiNS9_4plusIvEEiEEDaPvRmT3_T4_T5_mT6_P12ihipStream_tbENKUlT_T0_E_clISt17integral_constantIbLb0EESW_EEDaSR_SS_EUlSR_E_NS1_11comp_targetILNS1_3genE10ELNS1_11target_archE1201ELNS1_3gpuE5ELNS1_3repE0EEENS1_30default_config_static_selectorELNS0_4arch9wavefront6targetE1EEEvT1_
	.p2align	8
	.type	_ZN7rocprim17ROCPRIM_400000_NS6detail17trampoline_kernelINS0_14default_configENS1_20scan_config_selectorIiEEZZNS1_9scan_implILNS1_25lookback_scan_determinismE0ELb1ELb1ES3_N6thrust23THRUST_200600_302600_NS6detail15normal_iteratorINS9_10device_ptrIjEEEENSB_INSC_IfEEEEiNS9_4plusIvEEiEEDaPvRmT3_T4_T5_mT6_P12ihipStream_tbENKUlT_T0_E_clISt17integral_constantIbLb0EESW_EEDaSR_SS_EUlSR_E_NS1_11comp_targetILNS1_3genE10ELNS1_11target_archE1201ELNS1_3gpuE5ELNS1_3repE0EEENS1_30default_config_static_selectorELNS0_4arch9wavefront6targetE1EEEvT1_,@function
_ZN7rocprim17ROCPRIM_400000_NS6detail17trampoline_kernelINS0_14default_configENS1_20scan_config_selectorIiEEZZNS1_9scan_implILNS1_25lookback_scan_determinismE0ELb1ELb1ES3_N6thrust23THRUST_200600_302600_NS6detail15normal_iteratorINS9_10device_ptrIjEEEENSB_INSC_IfEEEEiNS9_4plusIvEEiEEDaPvRmT3_T4_T5_mT6_P12ihipStream_tbENKUlT_T0_E_clISt17integral_constantIbLb0EESW_EEDaSR_SS_EUlSR_E_NS1_11comp_targetILNS1_3genE10ELNS1_11target_archE1201ELNS1_3gpuE5ELNS1_3repE0EEENS1_30default_config_static_selectorELNS0_4arch9wavefront6targetE1EEEvT1_: ; @_ZN7rocprim17ROCPRIM_400000_NS6detail17trampoline_kernelINS0_14default_configENS1_20scan_config_selectorIiEEZZNS1_9scan_implILNS1_25lookback_scan_determinismE0ELb1ELb1ES3_N6thrust23THRUST_200600_302600_NS6detail15normal_iteratorINS9_10device_ptrIjEEEENSB_INSC_IfEEEEiNS9_4plusIvEEiEEDaPvRmT3_T4_T5_mT6_P12ihipStream_tbENKUlT_T0_E_clISt17integral_constantIbLb0EESW_EEDaSR_SS_EUlSR_E_NS1_11comp_targetILNS1_3genE10ELNS1_11target_archE1201ELNS1_3gpuE5ELNS1_3repE0EEENS1_30default_config_static_selectorELNS0_4arch9wavefront6targetE1EEEvT1_
; %bb.0:
	.section	.rodata,"a",@progbits
	.p2align	6, 0x0
	.amdhsa_kernel _ZN7rocprim17ROCPRIM_400000_NS6detail17trampoline_kernelINS0_14default_configENS1_20scan_config_selectorIiEEZZNS1_9scan_implILNS1_25lookback_scan_determinismE0ELb1ELb1ES3_N6thrust23THRUST_200600_302600_NS6detail15normal_iteratorINS9_10device_ptrIjEEEENSB_INSC_IfEEEEiNS9_4plusIvEEiEEDaPvRmT3_T4_T5_mT6_P12ihipStream_tbENKUlT_T0_E_clISt17integral_constantIbLb0EESW_EEDaSR_SS_EUlSR_E_NS1_11comp_targetILNS1_3genE10ELNS1_11target_archE1201ELNS1_3gpuE5ELNS1_3repE0EEENS1_30default_config_static_selectorELNS0_4arch9wavefront6targetE1EEEvT1_
		.amdhsa_group_segment_fixed_size 0
		.amdhsa_private_segment_fixed_size 0
		.amdhsa_kernarg_size 96
		.amdhsa_user_sgpr_count 6
		.amdhsa_user_sgpr_private_segment_buffer 1
		.amdhsa_user_sgpr_dispatch_ptr 0
		.amdhsa_user_sgpr_queue_ptr 0
		.amdhsa_user_sgpr_kernarg_segment_ptr 1
		.amdhsa_user_sgpr_dispatch_id 0
		.amdhsa_user_sgpr_flat_scratch_init 0
		.amdhsa_user_sgpr_kernarg_preload_length 0
		.amdhsa_user_sgpr_kernarg_preload_offset 0
		.amdhsa_user_sgpr_private_segment_size 0
		.amdhsa_uses_dynamic_stack 0
		.amdhsa_system_sgpr_private_segment_wavefront_offset 0
		.amdhsa_system_sgpr_workgroup_id_x 1
		.amdhsa_system_sgpr_workgroup_id_y 0
		.amdhsa_system_sgpr_workgroup_id_z 0
		.amdhsa_system_sgpr_workgroup_info 0
		.amdhsa_system_vgpr_workitem_id 0
		.amdhsa_next_free_vgpr 1
		.amdhsa_next_free_sgpr 0
		.amdhsa_accum_offset 4
		.amdhsa_reserve_vcc 0
		.amdhsa_reserve_flat_scratch 0
		.amdhsa_float_round_mode_32 0
		.amdhsa_float_round_mode_16_64 0
		.amdhsa_float_denorm_mode_32 3
		.amdhsa_float_denorm_mode_16_64 3
		.amdhsa_dx10_clamp 1
		.amdhsa_ieee_mode 1
		.amdhsa_fp16_overflow 0
		.amdhsa_tg_split 0
		.amdhsa_exception_fp_ieee_invalid_op 0
		.amdhsa_exception_fp_denorm_src 0
		.amdhsa_exception_fp_ieee_div_zero 0
		.amdhsa_exception_fp_ieee_overflow 0
		.amdhsa_exception_fp_ieee_underflow 0
		.amdhsa_exception_fp_ieee_inexact 0
		.amdhsa_exception_int_div_zero 0
	.end_amdhsa_kernel
	.section	.text._ZN7rocprim17ROCPRIM_400000_NS6detail17trampoline_kernelINS0_14default_configENS1_20scan_config_selectorIiEEZZNS1_9scan_implILNS1_25lookback_scan_determinismE0ELb1ELb1ES3_N6thrust23THRUST_200600_302600_NS6detail15normal_iteratorINS9_10device_ptrIjEEEENSB_INSC_IfEEEEiNS9_4plusIvEEiEEDaPvRmT3_T4_T5_mT6_P12ihipStream_tbENKUlT_T0_E_clISt17integral_constantIbLb0EESW_EEDaSR_SS_EUlSR_E_NS1_11comp_targetILNS1_3genE10ELNS1_11target_archE1201ELNS1_3gpuE5ELNS1_3repE0EEENS1_30default_config_static_selectorELNS0_4arch9wavefront6targetE1EEEvT1_,"axG",@progbits,_ZN7rocprim17ROCPRIM_400000_NS6detail17trampoline_kernelINS0_14default_configENS1_20scan_config_selectorIiEEZZNS1_9scan_implILNS1_25lookback_scan_determinismE0ELb1ELb1ES3_N6thrust23THRUST_200600_302600_NS6detail15normal_iteratorINS9_10device_ptrIjEEEENSB_INSC_IfEEEEiNS9_4plusIvEEiEEDaPvRmT3_T4_T5_mT6_P12ihipStream_tbENKUlT_T0_E_clISt17integral_constantIbLb0EESW_EEDaSR_SS_EUlSR_E_NS1_11comp_targetILNS1_3genE10ELNS1_11target_archE1201ELNS1_3gpuE5ELNS1_3repE0EEENS1_30default_config_static_selectorELNS0_4arch9wavefront6targetE1EEEvT1_,comdat
.Lfunc_end6165:
	.size	_ZN7rocprim17ROCPRIM_400000_NS6detail17trampoline_kernelINS0_14default_configENS1_20scan_config_selectorIiEEZZNS1_9scan_implILNS1_25lookback_scan_determinismE0ELb1ELb1ES3_N6thrust23THRUST_200600_302600_NS6detail15normal_iteratorINS9_10device_ptrIjEEEENSB_INSC_IfEEEEiNS9_4plusIvEEiEEDaPvRmT3_T4_T5_mT6_P12ihipStream_tbENKUlT_T0_E_clISt17integral_constantIbLb0EESW_EEDaSR_SS_EUlSR_E_NS1_11comp_targetILNS1_3genE10ELNS1_11target_archE1201ELNS1_3gpuE5ELNS1_3repE0EEENS1_30default_config_static_selectorELNS0_4arch9wavefront6targetE1EEEvT1_, .Lfunc_end6165-_ZN7rocprim17ROCPRIM_400000_NS6detail17trampoline_kernelINS0_14default_configENS1_20scan_config_selectorIiEEZZNS1_9scan_implILNS1_25lookback_scan_determinismE0ELb1ELb1ES3_N6thrust23THRUST_200600_302600_NS6detail15normal_iteratorINS9_10device_ptrIjEEEENSB_INSC_IfEEEEiNS9_4plusIvEEiEEDaPvRmT3_T4_T5_mT6_P12ihipStream_tbENKUlT_T0_E_clISt17integral_constantIbLb0EESW_EEDaSR_SS_EUlSR_E_NS1_11comp_targetILNS1_3genE10ELNS1_11target_archE1201ELNS1_3gpuE5ELNS1_3repE0EEENS1_30default_config_static_selectorELNS0_4arch9wavefront6targetE1EEEvT1_
                                        ; -- End function
	.section	.AMDGPU.csdata,"",@progbits
; Kernel info:
; codeLenInByte = 0
; NumSgprs: 4
; NumVgprs: 0
; NumAgprs: 0
; TotalNumVgprs: 0
; ScratchSize: 0
; MemoryBound: 0
; FloatMode: 240
; IeeeMode: 1
; LDSByteSize: 0 bytes/workgroup (compile time only)
; SGPRBlocks: 0
; VGPRBlocks: 0
; NumSGPRsForWavesPerEU: 4
; NumVGPRsForWavesPerEU: 1
; AccumOffset: 4
; Occupancy: 8
; WaveLimiterHint : 0
; COMPUTE_PGM_RSRC2:SCRATCH_EN: 0
; COMPUTE_PGM_RSRC2:USER_SGPR: 6
; COMPUTE_PGM_RSRC2:TRAP_HANDLER: 0
; COMPUTE_PGM_RSRC2:TGID_X_EN: 1
; COMPUTE_PGM_RSRC2:TGID_Y_EN: 0
; COMPUTE_PGM_RSRC2:TGID_Z_EN: 0
; COMPUTE_PGM_RSRC2:TIDIG_COMP_CNT: 0
; COMPUTE_PGM_RSRC3_GFX90A:ACCUM_OFFSET: 0
; COMPUTE_PGM_RSRC3_GFX90A:TG_SPLIT: 0
	.section	.text._ZN7rocprim17ROCPRIM_400000_NS6detail17trampoline_kernelINS0_14default_configENS1_20scan_config_selectorIiEEZZNS1_9scan_implILNS1_25lookback_scan_determinismE0ELb1ELb1ES3_N6thrust23THRUST_200600_302600_NS6detail15normal_iteratorINS9_10device_ptrIjEEEENSB_INSC_IfEEEEiNS9_4plusIvEEiEEDaPvRmT3_T4_T5_mT6_P12ihipStream_tbENKUlT_T0_E_clISt17integral_constantIbLb0EESW_EEDaSR_SS_EUlSR_E_NS1_11comp_targetILNS1_3genE10ELNS1_11target_archE1200ELNS1_3gpuE4ELNS1_3repE0EEENS1_30default_config_static_selectorELNS0_4arch9wavefront6targetE1EEEvT1_,"axG",@progbits,_ZN7rocprim17ROCPRIM_400000_NS6detail17trampoline_kernelINS0_14default_configENS1_20scan_config_selectorIiEEZZNS1_9scan_implILNS1_25lookback_scan_determinismE0ELb1ELb1ES3_N6thrust23THRUST_200600_302600_NS6detail15normal_iteratorINS9_10device_ptrIjEEEENSB_INSC_IfEEEEiNS9_4plusIvEEiEEDaPvRmT3_T4_T5_mT6_P12ihipStream_tbENKUlT_T0_E_clISt17integral_constantIbLb0EESW_EEDaSR_SS_EUlSR_E_NS1_11comp_targetILNS1_3genE10ELNS1_11target_archE1200ELNS1_3gpuE4ELNS1_3repE0EEENS1_30default_config_static_selectorELNS0_4arch9wavefront6targetE1EEEvT1_,comdat
	.protected	_ZN7rocprim17ROCPRIM_400000_NS6detail17trampoline_kernelINS0_14default_configENS1_20scan_config_selectorIiEEZZNS1_9scan_implILNS1_25lookback_scan_determinismE0ELb1ELb1ES3_N6thrust23THRUST_200600_302600_NS6detail15normal_iteratorINS9_10device_ptrIjEEEENSB_INSC_IfEEEEiNS9_4plusIvEEiEEDaPvRmT3_T4_T5_mT6_P12ihipStream_tbENKUlT_T0_E_clISt17integral_constantIbLb0EESW_EEDaSR_SS_EUlSR_E_NS1_11comp_targetILNS1_3genE10ELNS1_11target_archE1200ELNS1_3gpuE4ELNS1_3repE0EEENS1_30default_config_static_selectorELNS0_4arch9wavefront6targetE1EEEvT1_ ; -- Begin function _ZN7rocprim17ROCPRIM_400000_NS6detail17trampoline_kernelINS0_14default_configENS1_20scan_config_selectorIiEEZZNS1_9scan_implILNS1_25lookback_scan_determinismE0ELb1ELb1ES3_N6thrust23THRUST_200600_302600_NS6detail15normal_iteratorINS9_10device_ptrIjEEEENSB_INSC_IfEEEEiNS9_4plusIvEEiEEDaPvRmT3_T4_T5_mT6_P12ihipStream_tbENKUlT_T0_E_clISt17integral_constantIbLb0EESW_EEDaSR_SS_EUlSR_E_NS1_11comp_targetILNS1_3genE10ELNS1_11target_archE1200ELNS1_3gpuE4ELNS1_3repE0EEENS1_30default_config_static_selectorELNS0_4arch9wavefront6targetE1EEEvT1_
	.globl	_ZN7rocprim17ROCPRIM_400000_NS6detail17trampoline_kernelINS0_14default_configENS1_20scan_config_selectorIiEEZZNS1_9scan_implILNS1_25lookback_scan_determinismE0ELb1ELb1ES3_N6thrust23THRUST_200600_302600_NS6detail15normal_iteratorINS9_10device_ptrIjEEEENSB_INSC_IfEEEEiNS9_4plusIvEEiEEDaPvRmT3_T4_T5_mT6_P12ihipStream_tbENKUlT_T0_E_clISt17integral_constantIbLb0EESW_EEDaSR_SS_EUlSR_E_NS1_11comp_targetILNS1_3genE10ELNS1_11target_archE1200ELNS1_3gpuE4ELNS1_3repE0EEENS1_30default_config_static_selectorELNS0_4arch9wavefront6targetE1EEEvT1_
	.p2align	8
	.type	_ZN7rocprim17ROCPRIM_400000_NS6detail17trampoline_kernelINS0_14default_configENS1_20scan_config_selectorIiEEZZNS1_9scan_implILNS1_25lookback_scan_determinismE0ELb1ELb1ES3_N6thrust23THRUST_200600_302600_NS6detail15normal_iteratorINS9_10device_ptrIjEEEENSB_INSC_IfEEEEiNS9_4plusIvEEiEEDaPvRmT3_T4_T5_mT6_P12ihipStream_tbENKUlT_T0_E_clISt17integral_constantIbLb0EESW_EEDaSR_SS_EUlSR_E_NS1_11comp_targetILNS1_3genE10ELNS1_11target_archE1200ELNS1_3gpuE4ELNS1_3repE0EEENS1_30default_config_static_selectorELNS0_4arch9wavefront6targetE1EEEvT1_,@function
_ZN7rocprim17ROCPRIM_400000_NS6detail17trampoline_kernelINS0_14default_configENS1_20scan_config_selectorIiEEZZNS1_9scan_implILNS1_25lookback_scan_determinismE0ELb1ELb1ES3_N6thrust23THRUST_200600_302600_NS6detail15normal_iteratorINS9_10device_ptrIjEEEENSB_INSC_IfEEEEiNS9_4plusIvEEiEEDaPvRmT3_T4_T5_mT6_P12ihipStream_tbENKUlT_T0_E_clISt17integral_constantIbLb0EESW_EEDaSR_SS_EUlSR_E_NS1_11comp_targetILNS1_3genE10ELNS1_11target_archE1200ELNS1_3gpuE4ELNS1_3repE0EEENS1_30default_config_static_selectorELNS0_4arch9wavefront6targetE1EEEvT1_: ; @_ZN7rocprim17ROCPRIM_400000_NS6detail17trampoline_kernelINS0_14default_configENS1_20scan_config_selectorIiEEZZNS1_9scan_implILNS1_25lookback_scan_determinismE0ELb1ELb1ES3_N6thrust23THRUST_200600_302600_NS6detail15normal_iteratorINS9_10device_ptrIjEEEENSB_INSC_IfEEEEiNS9_4plusIvEEiEEDaPvRmT3_T4_T5_mT6_P12ihipStream_tbENKUlT_T0_E_clISt17integral_constantIbLb0EESW_EEDaSR_SS_EUlSR_E_NS1_11comp_targetILNS1_3genE10ELNS1_11target_archE1200ELNS1_3gpuE4ELNS1_3repE0EEENS1_30default_config_static_selectorELNS0_4arch9wavefront6targetE1EEEvT1_
; %bb.0:
	.section	.rodata,"a",@progbits
	.p2align	6, 0x0
	.amdhsa_kernel _ZN7rocprim17ROCPRIM_400000_NS6detail17trampoline_kernelINS0_14default_configENS1_20scan_config_selectorIiEEZZNS1_9scan_implILNS1_25lookback_scan_determinismE0ELb1ELb1ES3_N6thrust23THRUST_200600_302600_NS6detail15normal_iteratorINS9_10device_ptrIjEEEENSB_INSC_IfEEEEiNS9_4plusIvEEiEEDaPvRmT3_T4_T5_mT6_P12ihipStream_tbENKUlT_T0_E_clISt17integral_constantIbLb0EESW_EEDaSR_SS_EUlSR_E_NS1_11comp_targetILNS1_3genE10ELNS1_11target_archE1200ELNS1_3gpuE4ELNS1_3repE0EEENS1_30default_config_static_selectorELNS0_4arch9wavefront6targetE1EEEvT1_
		.amdhsa_group_segment_fixed_size 0
		.amdhsa_private_segment_fixed_size 0
		.amdhsa_kernarg_size 96
		.amdhsa_user_sgpr_count 6
		.amdhsa_user_sgpr_private_segment_buffer 1
		.amdhsa_user_sgpr_dispatch_ptr 0
		.amdhsa_user_sgpr_queue_ptr 0
		.amdhsa_user_sgpr_kernarg_segment_ptr 1
		.amdhsa_user_sgpr_dispatch_id 0
		.amdhsa_user_sgpr_flat_scratch_init 0
		.amdhsa_user_sgpr_kernarg_preload_length 0
		.amdhsa_user_sgpr_kernarg_preload_offset 0
		.amdhsa_user_sgpr_private_segment_size 0
		.amdhsa_uses_dynamic_stack 0
		.amdhsa_system_sgpr_private_segment_wavefront_offset 0
		.amdhsa_system_sgpr_workgroup_id_x 1
		.amdhsa_system_sgpr_workgroup_id_y 0
		.amdhsa_system_sgpr_workgroup_id_z 0
		.amdhsa_system_sgpr_workgroup_info 0
		.amdhsa_system_vgpr_workitem_id 0
		.amdhsa_next_free_vgpr 1
		.amdhsa_next_free_sgpr 0
		.amdhsa_accum_offset 4
		.amdhsa_reserve_vcc 0
		.amdhsa_reserve_flat_scratch 0
		.amdhsa_float_round_mode_32 0
		.amdhsa_float_round_mode_16_64 0
		.amdhsa_float_denorm_mode_32 3
		.amdhsa_float_denorm_mode_16_64 3
		.amdhsa_dx10_clamp 1
		.amdhsa_ieee_mode 1
		.amdhsa_fp16_overflow 0
		.amdhsa_tg_split 0
		.amdhsa_exception_fp_ieee_invalid_op 0
		.amdhsa_exception_fp_denorm_src 0
		.amdhsa_exception_fp_ieee_div_zero 0
		.amdhsa_exception_fp_ieee_overflow 0
		.amdhsa_exception_fp_ieee_underflow 0
		.amdhsa_exception_fp_ieee_inexact 0
		.amdhsa_exception_int_div_zero 0
	.end_amdhsa_kernel
	.section	.text._ZN7rocprim17ROCPRIM_400000_NS6detail17trampoline_kernelINS0_14default_configENS1_20scan_config_selectorIiEEZZNS1_9scan_implILNS1_25lookback_scan_determinismE0ELb1ELb1ES3_N6thrust23THRUST_200600_302600_NS6detail15normal_iteratorINS9_10device_ptrIjEEEENSB_INSC_IfEEEEiNS9_4plusIvEEiEEDaPvRmT3_T4_T5_mT6_P12ihipStream_tbENKUlT_T0_E_clISt17integral_constantIbLb0EESW_EEDaSR_SS_EUlSR_E_NS1_11comp_targetILNS1_3genE10ELNS1_11target_archE1200ELNS1_3gpuE4ELNS1_3repE0EEENS1_30default_config_static_selectorELNS0_4arch9wavefront6targetE1EEEvT1_,"axG",@progbits,_ZN7rocprim17ROCPRIM_400000_NS6detail17trampoline_kernelINS0_14default_configENS1_20scan_config_selectorIiEEZZNS1_9scan_implILNS1_25lookback_scan_determinismE0ELb1ELb1ES3_N6thrust23THRUST_200600_302600_NS6detail15normal_iteratorINS9_10device_ptrIjEEEENSB_INSC_IfEEEEiNS9_4plusIvEEiEEDaPvRmT3_T4_T5_mT6_P12ihipStream_tbENKUlT_T0_E_clISt17integral_constantIbLb0EESW_EEDaSR_SS_EUlSR_E_NS1_11comp_targetILNS1_3genE10ELNS1_11target_archE1200ELNS1_3gpuE4ELNS1_3repE0EEENS1_30default_config_static_selectorELNS0_4arch9wavefront6targetE1EEEvT1_,comdat
.Lfunc_end6166:
	.size	_ZN7rocprim17ROCPRIM_400000_NS6detail17trampoline_kernelINS0_14default_configENS1_20scan_config_selectorIiEEZZNS1_9scan_implILNS1_25lookback_scan_determinismE0ELb1ELb1ES3_N6thrust23THRUST_200600_302600_NS6detail15normal_iteratorINS9_10device_ptrIjEEEENSB_INSC_IfEEEEiNS9_4plusIvEEiEEDaPvRmT3_T4_T5_mT6_P12ihipStream_tbENKUlT_T0_E_clISt17integral_constantIbLb0EESW_EEDaSR_SS_EUlSR_E_NS1_11comp_targetILNS1_3genE10ELNS1_11target_archE1200ELNS1_3gpuE4ELNS1_3repE0EEENS1_30default_config_static_selectorELNS0_4arch9wavefront6targetE1EEEvT1_, .Lfunc_end6166-_ZN7rocprim17ROCPRIM_400000_NS6detail17trampoline_kernelINS0_14default_configENS1_20scan_config_selectorIiEEZZNS1_9scan_implILNS1_25lookback_scan_determinismE0ELb1ELb1ES3_N6thrust23THRUST_200600_302600_NS6detail15normal_iteratorINS9_10device_ptrIjEEEENSB_INSC_IfEEEEiNS9_4plusIvEEiEEDaPvRmT3_T4_T5_mT6_P12ihipStream_tbENKUlT_T0_E_clISt17integral_constantIbLb0EESW_EEDaSR_SS_EUlSR_E_NS1_11comp_targetILNS1_3genE10ELNS1_11target_archE1200ELNS1_3gpuE4ELNS1_3repE0EEENS1_30default_config_static_selectorELNS0_4arch9wavefront6targetE1EEEvT1_
                                        ; -- End function
	.section	.AMDGPU.csdata,"",@progbits
; Kernel info:
; codeLenInByte = 0
; NumSgprs: 4
; NumVgprs: 0
; NumAgprs: 0
; TotalNumVgprs: 0
; ScratchSize: 0
; MemoryBound: 0
; FloatMode: 240
; IeeeMode: 1
; LDSByteSize: 0 bytes/workgroup (compile time only)
; SGPRBlocks: 0
; VGPRBlocks: 0
; NumSGPRsForWavesPerEU: 4
; NumVGPRsForWavesPerEU: 1
; AccumOffset: 4
; Occupancy: 8
; WaveLimiterHint : 0
; COMPUTE_PGM_RSRC2:SCRATCH_EN: 0
; COMPUTE_PGM_RSRC2:USER_SGPR: 6
; COMPUTE_PGM_RSRC2:TRAP_HANDLER: 0
; COMPUTE_PGM_RSRC2:TGID_X_EN: 1
; COMPUTE_PGM_RSRC2:TGID_Y_EN: 0
; COMPUTE_PGM_RSRC2:TGID_Z_EN: 0
; COMPUTE_PGM_RSRC2:TIDIG_COMP_CNT: 0
; COMPUTE_PGM_RSRC3_GFX90A:ACCUM_OFFSET: 0
; COMPUTE_PGM_RSRC3_GFX90A:TG_SPLIT: 0
	.section	.text._ZN7rocprim17ROCPRIM_400000_NS6detail17trampoline_kernelINS0_14default_configENS1_20scan_config_selectorIiEEZZNS1_9scan_implILNS1_25lookback_scan_determinismE0ELb1ELb1ES3_N6thrust23THRUST_200600_302600_NS6detail15normal_iteratorINS9_10device_ptrIjEEEENSB_INSC_IfEEEEiNS9_4plusIvEEiEEDaPvRmT3_T4_T5_mT6_P12ihipStream_tbENKUlT_T0_E_clISt17integral_constantIbLb0EESW_EEDaSR_SS_EUlSR_E_NS1_11comp_targetILNS1_3genE9ELNS1_11target_archE1100ELNS1_3gpuE3ELNS1_3repE0EEENS1_30default_config_static_selectorELNS0_4arch9wavefront6targetE1EEEvT1_,"axG",@progbits,_ZN7rocprim17ROCPRIM_400000_NS6detail17trampoline_kernelINS0_14default_configENS1_20scan_config_selectorIiEEZZNS1_9scan_implILNS1_25lookback_scan_determinismE0ELb1ELb1ES3_N6thrust23THRUST_200600_302600_NS6detail15normal_iteratorINS9_10device_ptrIjEEEENSB_INSC_IfEEEEiNS9_4plusIvEEiEEDaPvRmT3_T4_T5_mT6_P12ihipStream_tbENKUlT_T0_E_clISt17integral_constantIbLb0EESW_EEDaSR_SS_EUlSR_E_NS1_11comp_targetILNS1_3genE9ELNS1_11target_archE1100ELNS1_3gpuE3ELNS1_3repE0EEENS1_30default_config_static_selectorELNS0_4arch9wavefront6targetE1EEEvT1_,comdat
	.protected	_ZN7rocprim17ROCPRIM_400000_NS6detail17trampoline_kernelINS0_14default_configENS1_20scan_config_selectorIiEEZZNS1_9scan_implILNS1_25lookback_scan_determinismE0ELb1ELb1ES3_N6thrust23THRUST_200600_302600_NS6detail15normal_iteratorINS9_10device_ptrIjEEEENSB_INSC_IfEEEEiNS9_4plusIvEEiEEDaPvRmT3_T4_T5_mT6_P12ihipStream_tbENKUlT_T0_E_clISt17integral_constantIbLb0EESW_EEDaSR_SS_EUlSR_E_NS1_11comp_targetILNS1_3genE9ELNS1_11target_archE1100ELNS1_3gpuE3ELNS1_3repE0EEENS1_30default_config_static_selectorELNS0_4arch9wavefront6targetE1EEEvT1_ ; -- Begin function _ZN7rocprim17ROCPRIM_400000_NS6detail17trampoline_kernelINS0_14default_configENS1_20scan_config_selectorIiEEZZNS1_9scan_implILNS1_25lookback_scan_determinismE0ELb1ELb1ES3_N6thrust23THRUST_200600_302600_NS6detail15normal_iteratorINS9_10device_ptrIjEEEENSB_INSC_IfEEEEiNS9_4plusIvEEiEEDaPvRmT3_T4_T5_mT6_P12ihipStream_tbENKUlT_T0_E_clISt17integral_constantIbLb0EESW_EEDaSR_SS_EUlSR_E_NS1_11comp_targetILNS1_3genE9ELNS1_11target_archE1100ELNS1_3gpuE3ELNS1_3repE0EEENS1_30default_config_static_selectorELNS0_4arch9wavefront6targetE1EEEvT1_
	.globl	_ZN7rocprim17ROCPRIM_400000_NS6detail17trampoline_kernelINS0_14default_configENS1_20scan_config_selectorIiEEZZNS1_9scan_implILNS1_25lookback_scan_determinismE0ELb1ELb1ES3_N6thrust23THRUST_200600_302600_NS6detail15normal_iteratorINS9_10device_ptrIjEEEENSB_INSC_IfEEEEiNS9_4plusIvEEiEEDaPvRmT3_T4_T5_mT6_P12ihipStream_tbENKUlT_T0_E_clISt17integral_constantIbLb0EESW_EEDaSR_SS_EUlSR_E_NS1_11comp_targetILNS1_3genE9ELNS1_11target_archE1100ELNS1_3gpuE3ELNS1_3repE0EEENS1_30default_config_static_selectorELNS0_4arch9wavefront6targetE1EEEvT1_
	.p2align	8
	.type	_ZN7rocprim17ROCPRIM_400000_NS6detail17trampoline_kernelINS0_14default_configENS1_20scan_config_selectorIiEEZZNS1_9scan_implILNS1_25lookback_scan_determinismE0ELb1ELb1ES3_N6thrust23THRUST_200600_302600_NS6detail15normal_iteratorINS9_10device_ptrIjEEEENSB_INSC_IfEEEEiNS9_4plusIvEEiEEDaPvRmT3_T4_T5_mT6_P12ihipStream_tbENKUlT_T0_E_clISt17integral_constantIbLb0EESW_EEDaSR_SS_EUlSR_E_NS1_11comp_targetILNS1_3genE9ELNS1_11target_archE1100ELNS1_3gpuE3ELNS1_3repE0EEENS1_30default_config_static_selectorELNS0_4arch9wavefront6targetE1EEEvT1_,@function
_ZN7rocprim17ROCPRIM_400000_NS6detail17trampoline_kernelINS0_14default_configENS1_20scan_config_selectorIiEEZZNS1_9scan_implILNS1_25lookback_scan_determinismE0ELb1ELb1ES3_N6thrust23THRUST_200600_302600_NS6detail15normal_iteratorINS9_10device_ptrIjEEEENSB_INSC_IfEEEEiNS9_4plusIvEEiEEDaPvRmT3_T4_T5_mT6_P12ihipStream_tbENKUlT_T0_E_clISt17integral_constantIbLb0EESW_EEDaSR_SS_EUlSR_E_NS1_11comp_targetILNS1_3genE9ELNS1_11target_archE1100ELNS1_3gpuE3ELNS1_3repE0EEENS1_30default_config_static_selectorELNS0_4arch9wavefront6targetE1EEEvT1_: ; @_ZN7rocprim17ROCPRIM_400000_NS6detail17trampoline_kernelINS0_14default_configENS1_20scan_config_selectorIiEEZZNS1_9scan_implILNS1_25lookback_scan_determinismE0ELb1ELb1ES3_N6thrust23THRUST_200600_302600_NS6detail15normal_iteratorINS9_10device_ptrIjEEEENSB_INSC_IfEEEEiNS9_4plusIvEEiEEDaPvRmT3_T4_T5_mT6_P12ihipStream_tbENKUlT_T0_E_clISt17integral_constantIbLb0EESW_EEDaSR_SS_EUlSR_E_NS1_11comp_targetILNS1_3genE9ELNS1_11target_archE1100ELNS1_3gpuE3ELNS1_3repE0EEENS1_30default_config_static_selectorELNS0_4arch9wavefront6targetE1EEEvT1_
; %bb.0:
	.section	.rodata,"a",@progbits
	.p2align	6, 0x0
	.amdhsa_kernel _ZN7rocprim17ROCPRIM_400000_NS6detail17trampoline_kernelINS0_14default_configENS1_20scan_config_selectorIiEEZZNS1_9scan_implILNS1_25lookback_scan_determinismE0ELb1ELb1ES3_N6thrust23THRUST_200600_302600_NS6detail15normal_iteratorINS9_10device_ptrIjEEEENSB_INSC_IfEEEEiNS9_4plusIvEEiEEDaPvRmT3_T4_T5_mT6_P12ihipStream_tbENKUlT_T0_E_clISt17integral_constantIbLb0EESW_EEDaSR_SS_EUlSR_E_NS1_11comp_targetILNS1_3genE9ELNS1_11target_archE1100ELNS1_3gpuE3ELNS1_3repE0EEENS1_30default_config_static_selectorELNS0_4arch9wavefront6targetE1EEEvT1_
		.amdhsa_group_segment_fixed_size 0
		.amdhsa_private_segment_fixed_size 0
		.amdhsa_kernarg_size 96
		.amdhsa_user_sgpr_count 6
		.amdhsa_user_sgpr_private_segment_buffer 1
		.amdhsa_user_sgpr_dispatch_ptr 0
		.amdhsa_user_sgpr_queue_ptr 0
		.amdhsa_user_sgpr_kernarg_segment_ptr 1
		.amdhsa_user_sgpr_dispatch_id 0
		.amdhsa_user_sgpr_flat_scratch_init 0
		.amdhsa_user_sgpr_kernarg_preload_length 0
		.amdhsa_user_sgpr_kernarg_preload_offset 0
		.amdhsa_user_sgpr_private_segment_size 0
		.amdhsa_uses_dynamic_stack 0
		.amdhsa_system_sgpr_private_segment_wavefront_offset 0
		.amdhsa_system_sgpr_workgroup_id_x 1
		.amdhsa_system_sgpr_workgroup_id_y 0
		.amdhsa_system_sgpr_workgroup_id_z 0
		.amdhsa_system_sgpr_workgroup_info 0
		.amdhsa_system_vgpr_workitem_id 0
		.amdhsa_next_free_vgpr 1
		.amdhsa_next_free_sgpr 0
		.amdhsa_accum_offset 4
		.amdhsa_reserve_vcc 0
		.amdhsa_reserve_flat_scratch 0
		.amdhsa_float_round_mode_32 0
		.amdhsa_float_round_mode_16_64 0
		.amdhsa_float_denorm_mode_32 3
		.amdhsa_float_denorm_mode_16_64 3
		.amdhsa_dx10_clamp 1
		.amdhsa_ieee_mode 1
		.amdhsa_fp16_overflow 0
		.amdhsa_tg_split 0
		.amdhsa_exception_fp_ieee_invalid_op 0
		.amdhsa_exception_fp_denorm_src 0
		.amdhsa_exception_fp_ieee_div_zero 0
		.amdhsa_exception_fp_ieee_overflow 0
		.amdhsa_exception_fp_ieee_underflow 0
		.amdhsa_exception_fp_ieee_inexact 0
		.amdhsa_exception_int_div_zero 0
	.end_amdhsa_kernel
	.section	.text._ZN7rocprim17ROCPRIM_400000_NS6detail17trampoline_kernelINS0_14default_configENS1_20scan_config_selectorIiEEZZNS1_9scan_implILNS1_25lookback_scan_determinismE0ELb1ELb1ES3_N6thrust23THRUST_200600_302600_NS6detail15normal_iteratorINS9_10device_ptrIjEEEENSB_INSC_IfEEEEiNS9_4plusIvEEiEEDaPvRmT3_T4_T5_mT6_P12ihipStream_tbENKUlT_T0_E_clISt17integral_constantIbLb0EESW_EEDaSR_SS_EUlSR_E_NS1_11comp_targetILNS1_3genE9ELNS1_11target_archE1100ELNS1_3gpuE3ELNS1_3repE0EEENS1_30default_config_static_selectorELNS0_4arch9wavefront6targetE1EEEvT1_,"axG",@progbits,_ZN7rocprim17ROCPRIM_400000_NS6detail17trampoline_kernelINS0_14default_configENS1_20scan_config_selectorIiEEZZNS1_9scan_implILNS1_25lookback_scan_determinismE0ELb1ELb1ES3_N6thrust23THRUST_200600_302600_NS6detail15normal_iteratorINS9_10device_ptrIjEEEENSB_INSC_IfEEEEiNS9_4plusIvEEiEEDaPvRmT3_T4_T5_mT6_P12ihipStream_tbENKUlT_T0_E_clISt17integral_constantIbLb0EESW_EEDaSR_SS_EUlSR_E_NS1_11comp_targetILNS1_3genE9ELNS1_11target_archE1100ELNS1_3gpuE3ELNS1_3repE0EEENS1_30default_config_static_selectorELNS0_4arch9wavefront6targetE1EEEvT1_,comdat
.Lfunc_end6167:
	.size	_ZN7rocprim17ROCPRIM_400000_NS6detail17trampoline_kernelINS0_14default_configENS1_20scan_config_selectorIiEEZZNS1_9scan_implILNS1_25lookback_scan_determinismE0ELb1ELb1ES3_N6thrust23THRUST_200600_302600_NS6detail15normal_iteratorINS9_10device_ptrIjEEEENSB_INSC_IfEEEEiNS9_4plusIvEEiEEDaPvRmT3_T4_T5_mT6_P12ihipStream_tbENKUlT_T0_E_clISt17integral_constantIbLb0EESW_EEDaSR_SS_EUlSR_E_NS1_11comp_targetILNS1_3genE9ELNS1_11target_archE1100ELNS1_3gpuE3ELNS1_3repE0EEENS1_30default_config_static_selectorELNS0_4arch9wavefront6targetE1EEEvT1_, .Lfunc_end6167-_ZN7rocprim17ROCPRIM_400000_NS6detail17trampoline_kernelINS0_14default_configENS1_20scan_config_selectorIiEEZZNS1_9scan_implILNS1_25lookback_scan_determinismE0ELb1ELb1ES3_N6thrust23THRUST_200600_302600_NS6detail15normal_iteratorINS9_10device_ptrIjEEEENSB_INSC_IfEEEEiNS9_4plusIvEEiEEDaPvRmT3_T4_T5_mT6_P12ihipStream_tbENKUlT_T0_E_clISt17integral_constantIbLb0EESW_EEDaSR_SS_EUlSR_E_NS1_11comp_targetILNS1_3genE9ELNS1_11target_archE1100ELNS1_3gpuE3ELNS1_3repE0EEENS1_30default_config_static_selectorELNS0_4arch9wavefront6targetE1EEEvT1_
                                        ; -- End function
	.section	.AMDGPU.csdata,"",@progbits
; Kernel info:
; codeLenInByte = 0
; NumSgprs: 4
; NumVgprs: 0
; NumAgprs: 0
; TotalNumVgprs: 0
; ScratchSize: 0
; MemoryBound: 0
; FloatMode: 240
; IeeeMode: 1
; LDSByteSize: 0 bytes/workgroup (compile time only)
; SGPRBlocks: 0
; VGPRBlocks: 0
; NumSGPRsForWavesPerEU: 4
; NumVGPRsForWavesPerEU: 1
; AccumOffset: 4
; Occupancy: 8
; WaveLimiterHint : 0
; COMPUTE_PGM_RSRC2:SCRATCH_EN: 0
; COMPUTE_PGM_RSRC2:USER_SGPR: 6
; COMPUTE_PGM_RSRC2:TRAP_HANDLER: 0
; COMPUTE_PGM_RSRC2:TGID_X_EN: 1
; COMPUTE_PGM_RSRC2:TGID_Y_EN: 0
; COMPUTE_PGM_RSRC2:TGID_Z_EN: 0
; COMPUTE_PGM_RSRC2:TIDIG_COMP_CNT: 0
; COMPUTE_PGM_RSRC3_GFX90A:ACCUM_OFFSET: 0
; COMPUTE_PGM_RSRC3_GFX90A:TG_SPLIT: 0
	.section	.text._ZN7rocprim17ROCPRIM_400000_NS6detail17trampoline_kernelINS0_14default_configENS1_20scan_config_selectorIiEEZZNS1_9scan_implILNS1_25lookback_scan_determinismE0ELb1ELb1ES3_N6thrust23THRUST_200600_302600_NS6detail15normal_iteratorINS9_10device_ptrIjEEEENSB_INSC_IfEEEEiNS9_4plusIvEEiEEDaPvRmT3_T4_T5_mT6_P12ihipStream_tbENKUlT_T0_E_clISt17integral_constantIbLb0EESW_EEDaSR_SS_EUlSR_E_NS1_11comp_targetILNS1_3genE8ELNS1_11target_archE1030ELNS1_3gpuE2ELNS1_3repE0EEENS1_30default_config_static_selectorELNS0_4arch9wavefront6targetE1EEEvT1_,"axG",@progbits,_ZN7rocprim17ROCPRIM_400000_NS6detail17trampoline_kernelINS0_14default_configENS1_20scan_config_selectorIiEEZZNS1_9scan_implILNS1_25lookback_scan_determinismE0ELb1ELb1ES3_N6thrust23THRUST_200600_302600_NS6detail15normal_iteratorINS9_10device_ptrIjEEEENSB_INSC_IfEEEEiNS9_4plusIvEEiEEDaPvRmT3_T4_T5_mT6_P12ihipStream_tbENKUlT_T0_E_clISt17integral_constantIbLb0EESW_EEDaSR_SS_EUlSR_E_NS1_11comp_targetILNS1_3genE8ELNS1_11target_archE1030ELNS1_3gpuE2ELNS1_3repE0EEENS1_30default_config_static_selectorELNS0_4arch9wavefront6targetE1EEEvT1_,comdat
	.protected	_ZN7rocprim17ROCPRIM_400000_NS6detail17trampoline_kernelINS0_14default_configENS1_20scan_config_selectorIiEEZZNS1_9scan_implILNS1_25lookback_scan_determinismE0ELb1ELb1ES3_N6thrust23THRUST_200600_302600_NS6detail15normal_iteratorINS9_10device_ptrIjEEEENSB_INSC_IfEEEEiNS9_4plusIvEEiEEDaPvRmT3_T4_T5_mT6_P12ihipStream_tbENKUlT_T0_E_clISt17integral_constantIbLb0EESW_EEDaSR_SS_EUlSR_E_NS1_11comp_targetILNS1_3genE8ELNS1_11target_archE1030ELNS1_3gpuE2ELNS1_3repE0EEENS1_30default_config_static_selectorELNS0_4arch9wavefront6targetE1EEEvT1_ ; -- Begin function _ZN7rocprim17ROCPRIM_400000_NS6detail17trampoline_kernelINS0_14default_configENS1_20scan_config_selectorIiEEZZNS1_9scan_implILNS1_25lookback_scan_determinismE0ELb1ELb1ES3_N6thrust23THRUST_200600_302600_NS6detail15normal_iteratorINS9_10device_ptrIjEEEENSB_INSC_IfEEEEiNS9_4plusIvEEiEEDaPvRmT3_T4_T5_mT6_P12ihipStream_tbENKUlT_T0_E_clISt17integral_constantIbLb0EESW_EEDaSR_SS_EUlSR_E_NS1_11comp_targetILNS1_3genE8ELNS1_11target_archE1030ELNS1_3gpuE2ELNS1_3repE0EEENS1_30default_config_static_selectorELNS0_4arch9wavefront6targetE1EEEvT1_
	.globl	_ZN7rocprim17ROCPRIM_400000_NS6detail17trampoline_kernelINS0_14default_configENS1_20scan_config_selectorIiEEZZNS1_9scan_implILNS1_25lookback_scan_determinismE0ELb1ELb1ES3_N6thrust23THRUST_200600_302600_NS6detail15normal_iteratorINS9_10device_ptrIjEEEENSB_INSC_IfEEEEiNS9_4plusIvEEiEEDaPvRmT3_T4_T5_mT6_P12ihipStream_tbENKUlT_T0_E_clISt17integral_constantIbLb0EESW_EEDaSR_SS_EUlSR_E_NS1_11comp_targetILNS1_3genE8ELNS1_11target_archE1030ELNS1_3gpuE2ELNS1_3repE0EEENS1_30default_config_static_selectorELNS0_4arch9wavefront6targetE1EEEvT1_
	.p2align	8
	.type	_ZN7rocprim17ROCPRIM_400000_NS6detail17trampoline_kernelINS0_14default_configENS1_20scan_config_selectorIiEEZZNS1_9scan_implILNS1_25lookback_scan_determinismE0ELb1ELb1ES3_N6thrust23THRUST_200600_302600_NS6detail15normal_iteratorINS9_10device_ptrIjEEEENSB_INSC_IfEEEEiNS9_4plusIvEEiEEDaPvRmT3_T4_T5_mT6_P12ihipStream_tbENKUlT_T0_E_clISt17integral_constantIbLb0EESW_EEDaSR_SS_EUlSR_E_NS1_11comp_targetILNS1_3genE8ELNS1_11target_archE1030ELNS1_3gpuE2ELNS1_3repE0EEENS1_30default_config_static_selectorELNS0_4arch9wavefront6targetE1EEEvT1_,@function
_ZN7rocprim17ROCPRIM_400000_NS6detail17trampoline_kernelINS0_14default_configENS1_20scan_config_selectorIiEEZZNS1_9scan_implILNS1_25lookback_scan_determinismE0ELb1ELb1ES3_N6thrust23THRUST_200600_302600_NS6detail15normal_iteratorINS9_10device_ptrIjEEEENSB_INSC_IfEEEEiNS9_4plusIvEEiEEDaPvRmT3_T4_T5_mT6_P12ihipStream_tbENKUlT_T0_E_clISt17integral_constantIbLb0EESW_EEDaSR_SS_EUlSR_E_NS1_11comp_targetILNS1_3genE8ELNS1_11target_archE1030ELNS1_3gpuE2ELNS1_3repE0EEENS1_30default_config_static_selectorELNS0_4arch9wavefront6targetE1EEEvT1_: ; @_ZN7rocprim17ROCPRIM_400000_NS6detail17trampoline_kernelINS0_14default_configENS1_20scan_config_selectorIiEEZZNS1_9scan_implILNS1_25lookback_scan_determinismE0ELb1ELb1ES3_N6thrust23THRUST_200600_302600_NS6detail15normal_iteratorINS9_10device_ptrIjEEEENSB_INSC_IfEEEEiNS9_4plusIvEEiEEDaPvRmT3_T4_T5_mT6_P12ihipStream_tbENKUlT_T0_E_clISt17integral_constantIbLb0EESW_EEDaSR_SS_EUlSR_E_NS1_11comp_targetILNS1_3genE8ELNS1_11target_archE1030ELNS1_3gpuE2ELNS1_3repE0EEENS1_30default_config_static_selectorELNS0_4arch9wavefront6targetE1EEEvT1_
; %bb.0:
	.section	.rodata,"a",@progbits
	.p2align	6, 0x0
	.amdhsa_kernel _ZN7rocprim17ROCPRIM_400000_NS6detail17trampoline_kernelINS0_14default_configENS1_20scan_config_selectorIiEEZZNS1_9scan_implILNS1_25lookback_scan_determinismE0ELb1ELb1ES3_N6thrust23THRUST_200600_302600_NS6detail15normal_iteratorINS9_10device_ptrIjEEEENSB_INSC_IfEEEEiNS9_4plusIvEEiEEDaPvRmT3_T4_T5_mT6_P12ihipStream_tbENKUlT_T0_E_clISt17integral_constantIbLb0EESW_EEDaSR_SS_EUlSR_E_NS1_11comp_targetILNS1_3genE8ELNS1_11target_archE1030ELNS1_3gpuE2ELNS1_3repE0EEENS1_30default_config_static_selectorELNS0_4arch9wavefront6targetE1EEEvT1_
		.amdhsa_group_segment_fixed_size 0
		.amdhsa_private_segment_fixed_size 0
		.amdhsa_kernarg_size 96
		.amdhsa_user_sgpr_count 6
		.amdhsa_user_sgpr_private_segment_buffer 1
		.amdhsa_user_sgpr_dispatch_ptr 0
		.amdhsa_user_sgpr_queue_ptr 0
		.amdhsa_user_sgpr_kernarg_segment_ptr 1
		.amdhsa_user_sgpr_dispatch_id 0
		.amdhsa_user_sgpr_flat_scratch_init 0
		.amdhsa_user_sgpr_kernarg_preload_length 0
		.amdhsa_user_sgpr_kernarg_preload_offset 0
		.amdhsa_user_sgpr_private_segment_size 0
		.amdhsa_uses_dynamic_stack 0
		.amdhsa_system_sgpr_private_segment_wavefront_offset 0
		.amdhsa_system_sgpr_workgroup_id_x 1
		.amdhsa_system_sgpr_workgroup_id_y 0
		.amdhsa_system_sgpr_workgroup_id_z 0
		.amdhsa_system_sgpr_workgroup_info 0
		.amdhsa_system_vgpr_workitem_id 0
		.amdhsa_next_free_vgpr 1
		.amdhsa_next_free_sgpr 0
		.amdhsa_accum_offset 4
		.amdhsa_reserve_vcc 0
		.amdhsa_reserve_flat_scratch 0
		.amdhsa_float_round_mode_32 0
		.amdhsa_float_round_mode_16_64 0
		.amdhsa_float_denorm_mode_32 3
		.amdhsa_float_denorm_mode_16_64 3
		.amdhsa_dx10_clamp 1
		.amdhsa_ieee_mode 1
		.amdhsa_fp16_overflow 0
		.amdhsa_tg_split 0
		.amdhsa_exception_fp_ieee_invalid_op 0
		.amdhsa_exception_fp_denorm_src 0
		.amdhsa_exception_fp_ieee_div_zero 0
		.amdhsa_exception_fp_ieee_overflow 0
		.amdhsa_exception_fp_ieee_underflow 0
		.amdhsa_exception_fp_ieee_inexact 0
		.amdhsa_exception_int_div_zero 0
	.end_amdhsa_kernel
	.section	.text._ZN7rocprim17ROCPRIM_400000_NS6detail17trampoline_kernelINS0_14default_configENS1_20scan_config_selectorIiEEZZNS1_9scan_implILNS1_25lookback_scan_determinismE0ELb1ELb1ES3_N6thrust23THRUST_200600_302600_NS6detail15normal_iteratorINS9_10device_ptrIjEEEENSB_INSC_IfEEEEiNS9_4plusIvEEiEEDaPvRmT3_T4_T5_mT6_P12ihipStream_tbENKUlT_T0_E_clISt17integral_constantIbLb0EESW_EEDaSR_SS_EUlSR_E_NS1_11comp_targetILNS1_3genE8ELNS1_11target_archE1030ELNS1_3gpuE2ELNS1_3repE0EEENS1_30default_config_static_selectorELNS0_4arch9wavefront6targetE1EEEvT1_,"axG",@progbits,_ZN7rocprim17ROCPRIM_400000_NS6detail17trampoline_kernelINS0_14default_configENS1_20scan_config_selectorIiEEZZNS1_9scan_implILNS1_25lookback_scan_determinismE0ELb1ELb1ES3_N6thrust23THRUST_200600_302600_NS6detail15normal_iteratorINS9_10device_ptrIjEEEENSB_INSC_IfEEEEiNS9_4plusIvEEiEEDaPvRmT3_T4_T5_mT6_P12ihipStream_tbENKUlT_T0_E_clISt17integral_constantIbLb0EESW_EEDaSR_SS_EUlSR_E_NS1_11comp_targetILNS1_3genE8ELNS1_11target_archE1030ELNS1_3gpuE2ELNS1_3repE0EEENS1_30default_config_static_selectorELNS0_4arch9wavefront6targetE1EEEvT1_,comdat
.Lfunc_end6168:
	.size	_ZN7rocprim17ROCPRIM_400000_NS6detail17trampoline_kernelINS0_14default_configENS1_20scan_config_selectorIiEEZZNS1_9scan_implILNS1_25lookback_scan_determinismE0ELb1ELb1ES3_N6thrust23THRUST_200600_302600_NS6detail15normal_iteratorINS9_10device_ptrIjEEEENSB_INSC_IfEEEEiNS9_4plusIvEEiEEDaPvRmT3_T4_T5_mT6_P12ihipStream_tbENKUlT_T0_E_clISt17integral_constantIbLb0EESW_EEDaSR_SS_EUlSR_E_NS1_11comp_targetILNS1_3genE8ELNS1_11target_archE1030ELNS1_3gpuE2ELNS1_3repE0EEENS1_30default_config_static_selectorELNS0_4arch9wavefront6targetE1EEEvT1_, .Lfunc_end6168-_ZN7rocprim17ROCPRIM_400000_NS6detail17trampoline_kernelINS0_14default_configENS1_20scan_config_selectorIiEEZZNS1_9scan_implILNS1_25lookback_scan_determinismE0ELb1ELb1ES3_N6thrust23THRUST_200600_302600_NS6detail15normal_iteratorINS9_10device_ptrIjEEEENSB_INSC_IfEEEEiNS9_4plusIvEEiEEDaPvRmT3_T4_T5_mT6_P12ihipStream_tbENKUlT_T0_E_clISt17integral_constantIbLb0EESW_EEDaSR_SS_EUlSR_E_NS1_11comp_targetILNS1_3genE8ELNS1_11target_archE1030ELNS1_3gpuE2ELNS1_3repE0EEENS1_30default_config_static_selectorELNS0_4arch9wavefront6targetE1EEEvT1_
                                        ; -- End function
	.section	.AMDGPU.csdata,"",@progbits
; Kernel info:
; codeLenInByte = 0
; NumSgprs: 4
; NumVgprs: 0
; NumAgprs: 0
; TotalNumVgprs: 0
; ScratchSize: 0
; MemoryBound: 0
; FloatMode: 240
; IeeeMode: 1
; LDSByteSize: 0 bytes/workgroup (compile time only)
; SGPRBlocks: 0
; VGPRBlocks: 0
; NumSGPRsForWavesPerEU: 4
; NumVGPRsForWavesPerEU: 1
; AccumOffset: 4
; Occupancy: 8
; WaveLimiterHint : 0
; COMPUTE_PGM_RSRC2:SCRATCH_EN: 0
; COMPUTE_PGM_RSRC2:USER_SGPR: 6
; COMPUTE_PGM_RSRC2:TRAP_HANDLER: 0
; COMPUTE_PGM_RSRC2:TGID_X_EN: 1
; COMPUTE_PGM_RSRC2:TGID_Y_EN: 0
; COMPUTE_PGM_RSRC2:TGID_Z_EN: 0
; COMPUTE_PGM_RSRC2:TIDIG_COMP_CNT: 0
; COMPUTE_PGM_RSRC3_GFX90A:ACCUM_OFFSET: 0
; COMPUTE_PGM_RSRC3_GFX90A:TG_SPLIT: 0
	.section	.text._ZN7rocprim17ROCPRIM_400000_NS6detail17trampoline_kernelINS0_14default_configENS1_20scan_config_selectorIiEEZZNS1_9scan_implILNS1_25lookback_scan_determinismE0ELb1ELb1ES3_N6thrust23THRUST_200600_302600_NS6detail15normal_iteratorINS9_10device_ptrIjEEEENSB_INSC_IfEEEEiNS9_4plusIvEEiEEDaPvRmT3_T4_T5_mT6_P12ihipStream_tbENKUlT_T0_E_clISt17integral_constantIbLb0EESW_EEDaSR_SS_EUlSR_E0_NS1_11comp_targetILNS1_3genE0ELNS1_11target_archE4294967295ELNS1_3gpuE0ELNS1_3repE0EEENS1_30default_config_static_selectorELNS0_4arch9wavefront6targetE1EEEvT1_,"axG",@progbits,_ZN7rocprim17ROCPRIM_400000_NS6detail17trampoline_kernelINS0_14default_configENS1_20scan_config_selectorIiEEZZNS1_9scan_implILNS1_25lookback_scan_determinismE0ELb1ELb1ES3_N6thrust23THRUST_200600_302600_NS6detail15normal_iteratorINS9_10device_ptrIjEEEENSB_INSC_IfEEEEiNS9_4plusIvEEiEEDaPvRmT3_T4_T5_mT6_P12ihipStream_tbENKUlT_T0_E_clISt17integral_constantIbLb0EESW_EEDaSR_SS_EUlSR_E0_NS1_11comp_targetILNS1_3genE0ELNS1_11target_archE4294967295ELNS1_3gpuE0ELNS1_3repE0EEENS1_30default_config_static_selectorELNS0_4arch9wavefront6targetE1EEEvT1_,comdat
	.protected	_ZN7rocprim17ROCPRIM_400000_NS6detail17trampoline_kernelINS0_14default_configENS1_20scan_config_selectorIiEEZZNS1_9scan_implILNS1_25lookback_scan_determinismE0ELb1ELb1ES3_N6thrust23THRUST_200600_302600_NS6detail15normal_iteratorINS9_10device_ptrIjEEEENSB_INSC_IfEEEEiNS9_4plusIvEEiEEDaPvRmT3_T4_T5_mT6_P12ihipStream_tbENKUlT_T0_E_clISt17integral_constantIbLb0EESW_EEDaSR_SS_EUlSR_E0_NS1_11comp_targetILNS1_3genE0ELNS1_11target_archE4294967295ELNS1_3gpuE0ELNS1_3repE0EEENS1_30default_config_static_selectorELNS0_4arch9wavefront6targetE1EEEvT1_ ; -- Begin function _ZN7rocprim17ROCPRIM_400000_NS6detail17trampoline_kernelINS0_14default_configENS1_20scan_config_selectorIiEEZZNS1_9scan_implILNS1_25lookback_scan_determinismE0ELb1ELb1ES3_N6thrust23THRUST_200600_302600_NS6detail15normal_iteratorINS9_10device_ptrIjEEEENSB_INSC_IfEEEEiNS9_4plusIvEEiEEDaPvRmT3_T4_T5_mT6_P12ihipStream_tbENKUlT_T0_E_clISt17integral_constantIbLb0EESW_EEDaSR_SS_EUlSR_E0_NS1_11comp_targetILNS1_3genE0ELNS1_11target_archE4294967295ELNS1_3gpuE0ELNS1_3repE0EEENS1_30default_config_static_selectorELNS0_4arch9wavefront6targetE1EEEvT1_
	.globl	_ZN7rocprim17ROCPRIM_400000_NS6detail17trampoline_kernelINS0_14default_configENS1_20scan_config_selectorIiEEZZNS1_9scan_implILNS1_25lookback_scan_determinismE0ELb1ELb1ES3_N6thrust23THRUST_200600_302600_NS6detail15normal_iteratorINS9_10device_ptrIjEEEENSB_INSC_IfEEEEiNS9_4plusIvEEiEEDaPvRmT3_T4_T5_mT6_P12ihipStream_tbENKUlT_T0_E_clISt17integral_constantIbLb0EESW_EEDaSR_SS_EUlSR_E0_NS1_11comp_targetILNS1_3genE0ELNS1_11target_archE4294967295ELNS1_3gpuE0ELNS1_3repE0EEENS1_30default_config_static_selectorELNS0_4arch9wavefront6targetE1EEEvT1_
	.p2align	8
	.type	_ZN7rocprim17ROCPRIM_400000_NS6detail17trampoline_kernelINS0_14default_configENS1_20scan_config_selectorIiEEZZNS1_9scan_implILNS1_25lookback_scan_determinismE0ELb1ELb1ES3_N6thrust23THRUST_200600_302600_NS6detail15normal_iteratorINS9_10device_ptrIjEEEENSB_INSC_IfEEEEiNS9_4plusIvEEiEEDaPvRmT3_T4_T5_mT6_P12ihipStream_tbENKUlT_T0_E_clISt17integral_constantIbLb0EESW_EEDaSR_SS_EUlSR_E0_NS1_11comp_targetILNS1_3genE0ELNS1_11target_archE4294967295ELNS1_3gpuE0ELNS1_3repE0EEENS1_30default_config_static_selectorELNS0_4arch9wavefront6targetE1EEEvT1_,@function
_ZN7rocprim17ROCPRIM_400000_NS6detail17trampoline_kernelINS0_14default_configENS1_20scan_config_selectorIiEEZZNS1_9scan_implILNS1_25lookback_scan_determinismE0ELb1ELb1ES3_N6thrust23THRUST_200600_302600_NS6detail15normal_iteratorINS9_10device_ptrIjEEEENSB_INSC_IfEEEEiNS9_4plusIvEEiEEDaPvRmT3_T4_T5_mT6_P12ihipStream_tbENKUlT_T0_E_clISt17integral_constantIbLb0EESW_EEDaSR_SS_EUlSR_E0_NS1_11comp_targetILNS1_3genE0ELNS1_11target_archE4294967295ELNS1_3gpuE0ELNS1_3repE0EEENS1_30default_config_static_selectorELNS0_4arch9wavefront6targetE1EEEvT1_: ; @_ZN7rocprim17ROCPRIM_400000_NS6detail17trampoline_kernelINS0_14default_configENS1_20scan_config_selectorIiEEZZNS1_9scan_implILNS1_25lookback_scan_determinismE0ELb1ELb1ES3_N6thrust23THRUST_200600_302600_NS6detail15normal_iteratorINS9_10device_ptrIjEEEENSB_INSC_IfEEEEiNS9_4plusIvEEiEEDaPvRmT3_T4_T5_mT6_P12ihipStream_tbENKUlT_T0_E_clISt17integral_constantIbLb0EESW_EEDaSR_SS_EUlSR_E0_NS1_11comp_targetILNS1_3genE0ELNS1_11target_archE4294967295ELNS1_3gpuE0ELNS1_3repE0EEENS1_30default_config_static_selectorELNS0_4arch9wavefront6targetE1EEEvT1_
; %bb.0:
	.section	.rodata,"a",@progbits
	.p2align	6, 0x0
	.amdhsa_kernel _ZN7rocprim17ROCPRIM_400000_NS6detail17trampoline_kernelINS0_14default_configENS1_20scan_config_selectorIiEEZZNS1_9scan_implILNS1_25lookback_scan_determinismE0ELb1ELb1ES3_N6thrust23THRUST_200600_302600_NS6detail15normal_iteratorINS9_10device_ptrIjEEEENSB_INSC_IfEEEEiNS9_4plusIvEEiEEDaPvRmT3_T4_T5_mT6_P12ihipStream_tbENKUlT_T0_E_clISt17integral_constantIbLb0EESW_EEDaSR_SS_EUlSR_E0_NS1_11comp_targetILNS1_3genE0ELNS1_11target_archE4294967295ELNS1_3gpuE0ELNS1_3repE0EEENS1_30default_config_static_selectorELNS0_4arch9wavefront6targetE1EEEvT1_
		.amdhsa_group_segment_fixed_size 0
		.amdhsa_private_segment_fixed_size 0
		.amdhsa_kernarg_size 32
		.amdhsa_user_sgpr_count 6
		.amdhsa_user_sgpr_private_segment_buffer 1
		.amdhsa_user_sgpr_dispatch_ptr 0
		.amdhsa_user_sgpr_queue_ptr 0
		.amdhsa_user_sgpr_kernarg_segment_ptr 1
		.amdhsa_user_sgpr_dispatch_id 0
		.amdhsa_user_sgpr_flat_scratch_init 0
		.amdhsa_user_sgpr_kernarg_preload_length 0
		.amdhsa_user_sgpr_kernarg_preload_offset 0
		.amdhsa_user_sgpr_private_segment_size 0
		.amdhsa_uses_dynamic_stack 0
		.amdhsa_system_sgpr_private_segment_wavefront_offset 0
		.amdhsa_system_sgpr_workgroup_id_x 1
		.amdhsa_system_sgpr_workgroup_id_y 0
		.amdhsa_system_sgpr_workgroup_id_z 0
		.amdhsa_system_sgpr_workgroup_info 0
		.amdhsa_system_vgpr_workitem_id 0
		.amdhsa_next_free_vgpr 1
		.amdhsa_next_free_sgpr 0
		.amdhsa_accum_offset 4
		.amdhsa_reserve_vcc 0
		.amdhsa_reserve_flat_scratch 0
		.amdhsa_float_round_mode_32 0
		.amdhsa_float_round_mode_16_64 0
		.amdhsa_float_denorm_mode_32 3
		.amdhsa_float_denorm_mode_16_64 3
		.amdhsa_dx10_clamp 1
		.amdhsa_ieee_mode 1
		.amdhsa_fp16_overflow 0
		.amdhsa_tg_split 0
		.amdhsa_exception_fp_ieee_invalid_op 0
		.amdhsa_exception_fp_denorm_src 0
		.amdhsa_exception_fp_ieee_div_zero 0
		.amdhsa_exception_fp_ieee_overflow 0
		.amdhsa_exception_fp_ieee_underflow 0
		.amdhsa_exception_fp_ieee_inexact 0
		.amdhsa_exception_int_div_zero 0
	.end_amdhsa_kernel
	.section	.text._ZN7rocprim17ROCPRIM_400000_NS6detail17trampoline_kernelINS0_14default_configENS1_20scan_config_selectorIiEEZZNS1_9scan_implILNS1_25lookback_scan_determinismE0ELb1ELb1ES3_N6thrust23THRUST_200600_302600_NS6detail15normal_iteratorINS9_10device_ptrIjEEEENSB_INSC_IfEEEEiNS9_4plusIvEEiEEDaPvRmT3_T4_T5_mT6_P12ihipStream_tbENKUlT_T0_E_clISt17integral_constantIbLb0EESW_EEDaSR_SS_EUlSR_E0_NS1_11comp_targetILNS1_3genE0ELNS1_11target_archE4294967295ELNS1_3gpuE0ELNS1_3repE0EEENS1_30default_config_static_selectorELNS0_4arch9wavefront6targetE1EEEvT1_,"axG",@progbits,_ZN7rocprim17ROCPRIM_400000_NS6detail17trampoline_kernelINS0_14default_configENS1_20scan_config_selectorIiEEZZNS1_9scan_implILNS1_25lookback_scan_determinismE0ELb1ELb1ES3_N6thrust23THRUST_200600_302600_NS6detail15normal_iteratorINS9_10device_ptrIjEEEENSB_INSC_IfEEEEiNS9_4plusIvEEiEEDaPvRmT3_T4_T5_mT6_P12ihipStream_tbENKUlT_T0_E_clISt17integral_constantIbLb0EESW_EEDaSR_SS_EUlSR_E0_NS1_11comp_targetILNS1_3genE0ELNS1_11target_archE4294967295ELNS1_3gpuE0ELNS1_3repE0EEENS1_30default_config_static_selectorELNS0_4arch9wavefront6targetE1EEEvT1_,comdat
.Lfunc_end6169:
	.size	_ZN7rocprim17ROCPRIM_400000_NS6detail17trampoline_kernelINS0_14default_configENS1_20scan_config_selectorIiEEZZNS1_9scan_implILNS1_25lookback_scan_determinismE0ELb1ELb1ES3_N6thrust23THRUST_200600_302600_NS6detail15normal_iteratorINS9_10device_ptrIjEEEENSB_INSC_IfEEEEiNS9_4plusIvEEiEEDaPvRmT3_T4_T5_mT6_P12ihipStream_tbENKUlT_T0_E_clISt17integral_constantIbLb0EESW_EEDaSR_SS_EUlSR_E0_NS1_11comp_targetILNS1_3genE0ELNS1_11target_archE4294967295ELNS1_3gpuE0ELNS1_3repE0EEENS1_30default_config_static_selectorELNS0_4arch9wavefront6targetE1EEEvT1_, .Lfunc_end6169-_ZN7rocprim17ROCPRIM_400000_NS6detail17trampoline_kernelINS0_14default_configENS1_20scan_config_selectorIiEEZZNS1_9scan_implILNS1_25lookback_scan_determinismE0ELb1ELb1ES3_N6thrust23THRUST_200600_302600_NS6detail15normal_iteratorINS9_10device_ptrIjEEEENSB_INSC_IfEEEEiNS9_4plusIvEEiEEDaPvRmT3_T4_T5_mT6_P12ihipStream_tbENKUlT_T0_E_clISt17integral_constantIbLb0EESW_EEDaSR_SS_EUlSR_E0_NS1_11comp_targetILNS1_3genE0ELNS1_11target_archE4294967295ELNS1_3gpuE0ELNS1_3repE0EEENS1_30default_config_static_selectorELNS0_4arch9wavefront6targetE1EEEvT1_
                                        ; -- End function
	.section	.AMDGPU.csdata,"",@progbits
; Kernel info:
; codeLenInByte = 0
; NumSgprs: 4
; NumVgprs: 0
; NumAgprs: 0
; TotalNumVgprs: 0
; ScratchSize: 0
; MemoryBound: 0
; FloatMode: 240
; IeeeMode: 1
; LDSByteSize: 0 bytes/workgroup (compile time only)
; SGPRBlocks: 0
; VGPRBlocks: 0
; NumSGPRsForWavesPerEU: 4
; NumVGPRsForWavesPerEU: 1
; AccumOffset: 4
; Occupancy: 8
; WaveLimiterHint : 0
; COMPUTE_PGM_RSRC2:SCRATCH_EN: 0
; COMPUTE_PGM_RSRC2:USER_SGPR: 6
; COMPUTE_PGM_RSRC2:TRAP_HANDLER: 0
; COMPUTE_PGM_RSRC2:TGID_X_EN: 1
; COMPUTE_PGM_RSRC2:TGID_Y_EN: 0
; COMPUTE_PGM_RSRC2:TGID_Z_EN: 0
; COMPUTE_PGM_RSRC2:TIDIG_COMP_CNT: 0
; COMPUTE_PGM_RSRC3_GFX90A:ACCUM_OFFSET: 0
; COMPUTE_PGM_RSRC3_GFX90A:TG_SPLIT: 0
	.section	.text._ZN7rocprim17ROCPRIM_400000_NS6detail17trampoline_kernelINS0_14default_configENS1_20scan_config_selectorIiEEZZNS1_9scan_implILNS1_25lookback_scan_determinismE0ELb1ELb1ES3_N6thrust23THRUST_200600_302600_NS6detail15normal_iteratorINS9_10device_ptrIjEEEENSB_INSC_IfEEEEiNS9_4plusIvEEiEEDaPvRmT3_T4_T5_mT6_P12ihipStream_tbENKUlT_T0_E_clISt17integral_constantIbLb0EESW_EEDaSR_SS_EUlSR_E0_NS1_11comp_targetILNS1_3genE5ELNS1_11target_archE942ELNS1_3gpuE9ELNS1_3repE0EEENS1_30default_config_static_selectorELNS0_4arch9wavefront6targetE1EEEvT1_,"axG",@progbits,_ZN7rocprim17ROCPRIM_400000_NS6detail17trampoline_kernelINS0_14default_configENS1_20scan_config_selectorIiEEZZNS1_9scan_implILNS1_25lookback_scan_determinismE0ELb1ELb1ES3_N6thrust23THRUST_200600_302600_NS6detail15normal_iteratorINS9_10device_ptrIjEEEENSB_INSC_IfEEEEiNS9_4plusIvEEiEEDaPvRmT3_T4_T5_mT6_P12ihipStream_tbENKUlT_T0_E_clISt17integral_constantIbLb0EESW_EEDaSR_SS_EUlSR_E0_NS1_11comp_targetILNS1_3genE5ELNS1_11target_archE942ELNS1_3gpuE9ELNS1_3repE0EEENS1_30default_config_static_selectorELNS0_4arch9wavefront6targetE1EEEvT1_,comdat
	.protected	_ZN7rocprim17ROCPRIM_400000_NS6detail17trampoline_kernelINS0_14default_configENS1_20scan_config_selectorIiEEZZNS1_9scan_implILNS1_25lookback_scan_determinismE0ELb1ELb1ES3_N6thrust23THRUST_200600_302600_NS6detail15normal_iteratorINS9_10device_ptrIjEEEENSB_INSC_IfEEEEiNS9_4plusIvEEiEEDaPvRmT3_T4_T5_mT6_P12ihipStream_tbENKUlT_T0_E_clISt17integral_constantIbLb0EESW_EEDaSR_SS_EUlSR_E0_NS1_11comp_targetILNS1_3genE5ELNS1_11target_archE942ELNS1_3gpuE9ELNS1_3repE0EEENS1_30default_config_static_selectorELNS0_4arch9wavefront6targetE1EEEvT1_ ; -- Begin function _ZN7rocprim17ROCPRIM_400000_NS6detail17trampoline_kernelINS0_14default_configENS1_20scan_config_selectorIiEEZZNS1_9scan_implILNS1_25lookback_scan_determinismE0ELb1ELb1ES3_N6thrust23THRUST_200600_302600_NS6detail15normal_iteratorINS9_10device_ptrIjEEEENSB_INSC_IfEEEEiNS9_4plusIvEEiEEDaPvRmT3_T4_T5_mT6_P12ihipStream_tbENKUlT_T0_E_clISt17integral_constantIbLb0EESW_EEDaSR_SS_EUlSR_E0_NS1_11comp_targetILNS1_3genE5ELNS1_11target_archE942ELNS1_3gpuE9ELNS1_3repE0EEENS1_30default_config_static_selectorELNS0_4arch9wavefront6targetE1EEEvT1_
	.globl	_ZN7rocprim17ROCPRIM_400000_NS6detail17trampoline_kernelINS0_14default_configENS1_20scan_config_selectorIiEEZZNS1_9scan_implILNS1_25lookback_scan_determinismE0ELb1ELb1ES3_N6thrust23THRUST_200600_302600_NS6detail15normal_iteratorINS9_10device_ptrIjEEEENSB_INSC_IfEEEEiNS9_4plusIvEEiEEDaPvRmT3_T4_T5_mT6_P12ihipStream_tbENKUlT_T0_E_clISt17integral_constantIbLb0EESW_EEDaSR_SS_EUlSR_E0_NS1_11comp_targetILNS1_3genE5ELNS1_11target_archE942ELNS1_3gpuE9ELNS1_3repE0EEENS1_30default_config_static_selectorELNS0_4arch9wavefront6targetE1EEEvT1_
	.p2align	8
	.type	_ZN7rocprim17ROCPRIM_400000_NS6detail17trampoline_kernelINS0_14default_configENS1_20scan_config_selectorIiEEZZNS1_9scan_implILNS1_25lookback_scan_determinismE0ELb1ELb1ES3_N6thrust23THRUST_200600_302600_NS6detail15normal_iteratorINS9_10device_ptrIjEEEENSB_INSC_IfEEEEiNS9_4plusIvEEiEEDaPvRmT3_T4_T5_mT6_P12ihipStream_tbENKUlT_T0_E_clISt17integral_constantIbLb0EESW_EEDaSR_SS_EUlSR_E0_NS1_11comp_targetILNS1_3genE5ELNS1_11target_archE942ELNS1_3gpuE9ELNS1_3repE0EEENS1_30default_config_static_selectorELNS0_4arch9wavefront6targetE1EEEvT1_,@function
_ZN7rocprim17ROCPRIM_400000_NS6detail17trampoline_kernelINS0_14default_configENS1_20scan_config_selectorIiEEZZNS1_9scan_implILNS1_25lookback_scan_determinismE0ELb1ELb1ES3_N6thrust23THRUST_200600_302600_NS6detail15normal_iteratorINS9_10device_ptrIjEEEENSB_INSC_IfEEEEiNS9_4plusIvEEiEEDaPvRmT3_T4_T5_mT6_P12ihipStream_tbENKUlT_T0_E_clISt17integral_constantIbLb0EESW_EEDaSR_SS_EUlSR_E0_NS1_11comp_targetILNS1_3genE5ELNS1_11target_archE942ELNS1_3gpuE9ELNS1_3repE0EEENS1_30default_config_static_selectorELNS0_4arch9wavefront6targetE1EEEvT1_: ; @_ZN7rocprim17ROCPRIM_400000_NS6detail17trampoline_kernelINS0_14default_configENS1_20scan_config_selectorIiEEZZNS1_9scan_implILNS1_25lookback_scan_determinismE0ELb1ELb1ES3_N6thrust23THRUST_200600_302600_NS6detail15normal_iteratorINS9_10device_ptrIjEEEENSB_INSC_IfEEEEiNS9_4plusIvEEiEEDaPvRmT3_T4_T5_mT6_P12ihipStream_tbENKUlT_T0_E_clISt17integral_constantIbLb0EESW_EEDaSR_SS_EUlSR_E0_NS1_11comp_targetILNS1_3genE5ELNS1_11target_archE942ELNS1_3gpuE9ELNS1_3repE0EEENS1_30default_config_static_selectorELNS0_4arch9wavefront6targetE1EEEvT1_
; %bb.0:
	.section	.rodata,"a",@progbits
	.p2align	6, 0x0
	.amdhsa_kernel _ZN7rocprim17ROCPRIM_400000_NS6detail17trampoline_kernelINS0_14default_configENS1_20scan_config_selectorIiEEZZNS1_9scan_implILNS1_25lookback_scan_determinismE0ELb1ELb1ES3_N6thrust23THRUST_200600_302600_NS6detail15normal_iteratorINS9_10device_ptrIjEEEENSB_INSC_IfEEEEiNS9_4plusIvEEiEEDaPvRmT3_T4_T5_mT6_P12ihipStream_tbENKUlT_T0_E_clISt17integral_constantIbLb0EESW_EEDaSR_SS_EUlSR_E0_NS1_11comp_targetILNS1_3genE5ELNS1_11target_archE942ELNS1_3gpuE9ELNS1_3repE0EEENS1_30default_config_static_selectorELNS0_4arch9wavefront6targetE1EEEvT1_
		.amdhsa_group_segment_fixed_size 0
		.amdhsa_private_segment_fixed_size 0
		.amdhsa_kernarg_size 32
		.amdhsa_user_sgpr_count 6
		.amdhsa_user_sgpr_private_segment_buffer 1
		.amdhsa_user_sgpr_dispatch_ptr 0
		.amdhsa_user_sgpr_queue_ptr 0
		.amdhsa_user_sgpr_kernarg_segment_ptr 1
		.amdhsa_user_sgpr_dispatch_id 0
		.amdhsa_user_sgpr_flat_scratch_init 0
		.amdhsa_user_sgpr_kernarg_preload_length 0
		.amdhsa_user_sgpr_kernarg_preload_offset 0
		.amdhsa_user_sgpr_private_segment_size 0
		.amdhsa_uses_dynamic_stack 0
		.amdhsa_system_sgpr_private_segment_wavefront_offset 0
		.amdhsa_system_sgpr_workgroup_id_x 1
		.amdhsa_system_sgpr_workgroup_id_y 0
		.amdhsa_system_sgpr_workgroup_id_z 0
		.amdhsa_system_sgpr_workgroup_info 0
		.amdhsa_system_vgpr_workitem_id 0
		.amdhsa_next_free_vgpr 1
		.amdhsa_next_free_sgpr 0
		.amdhsa_accum_offset 4
		.amdhsa_reserve_vcc 0
		.amdhsa_reserve_flat_scratch 0
		.amdhsa_float_round_mode_32 0
		.amdhsa_float_round_mode_16_64 0
		.amdhsa_float_denorm_mode_32 3
		.amdhsa_float_denorm_mode_16_64 3
		.amdhsa_dx10_clamp 1
		.amdhsa_ieee_mode 1
		.amdhsa_fp16_overflow 0
		.amdhsa_tg_split 0
		.amdhsa_exception_fp_ieee_invalid_op 0
		.amdhsa_exception_fp_denorm_src 0
		.amdhsa_exception_fp_ieee_div_zero 0
		.amdhsa_exception_fp_ieee_overflow 0
		.amdhsa_exception_fp_ieee_underflow 0
		.amdhsa_exception_fp_ieee_inexact 0
		.amdhsa_exception_int_div_zero 0
	.end_amdhsa_kernel
	.section	.text._ZN7rocprim17ROCPRIM_400000_NS6detail17trampoline_kernelINS0_14default_configENS1_20scan_config_selectorIiEEZZNS1_9scan_implILNS1_25lookback_scan_determinismE0ELb1ELb1ES3_N6thrust23THRUST_200600_302600_NS6detail15normal_iteratorINS9_10device_ptrIjEEEENSB_INSC_IfEEEEiNS9_4plusIvEEiEEDaPvRmT3_T4_T5_mT6_P12ihipStream_tbENKUlT_T0_E_clISt17integral_constantIbLb0EESW_EEDaSR_SS_EUlSR_E0_NS1_11comp_targetILNS1_3genE5ELNS1_11target_archE942ELNS1_3gpuE9ELNS1_3repE0EEENS1_30default_config_static_selectorELNS0_4arch9wavefront6targetE1EEEvT1_,"axG",@progbits,_ZN7rocprim17ROCPRIM_400000_NS6detail17trampoline_kernelINS0_14default_configENS1_20scan_config_selectorIiEEZZNS1_9scan_implILNS1_25lookback_scan_determinismE0ELb1ELb1ES3_N6thrust23THRUST_200600_302600_NS6detail15normal_iteratorINS9_10device_ptrIjEEEENSB_INSC_IfEEEEiNS9_4plusIvEEiEEDaPvRmT3_T4_T5_mT6_P12ihipStream_tbENKUlT_T0_E_clISt17integral_constantIbLb0EESW_EEDaSR_SS_EUlSR_E0_NS1_11comp_targetILNS1_3genE5ELNS1_11target_archE942ELNS1_3gpuE9ELNS1_3repE0EEENS1_30default_config_static_selectorELNS0_4arch9wavefront6targetE1EEEvT1_,comdat
.Lfunc_end6170:
	.size	_ZN7rocprim17ROCPRIM_400000_NS6detail17trampoline_kernelINS0_14default_configENS1_20scan_config_selectorIiEEZZNS1_9scan_implILNS1_25lookback_scan_determinismE0ELb1ELb1ES3_N6thrust23THRUST_200600_302600_NS6detail15normal_iteratorINS9_10device_ptrIjEEEENSB_INSC_IfEEEEiNS9_4plusIvEEiEEDaPvRmT3_T4_T5_mT6_P12ihipStream_tbENKUlT_T0_E_clISt17integral_constantIbLb0EESW_EEDaSR_SS_EUlSR_E0_NS1_11comp_targetILNS1_3genE5ELNS1_11target_archE942ELNS1_3gpuE9ELNS1_3repE0EEENS1_30default_config_static_selectorELNS0_4arch9wavefront6targetE1EEEvT1_, .Lfunc_end6170-_ZN7rocprim17ROCPRIM_400000_NS6detail17trampoline_kernelINS0_14default_configENS1_20scan_config_selectorIiEEZZNS1_9scan_implILNS1_25lookback_scan_determinismE0ELb1ELb1ES3_N6thrust23THRUST_200600_302600_NS6detail15normal_iteratorINS9_10device_ptrIjEEEENSB_INSC_IfEEEEiNS9_4plusIvEEiEEDaPvRmT3_T4_T5_mT6_P12ihipStream_tbENKUlT_T0_E_clISt17integral_constantIbLb0EESW_EEDaSR_SS_EUlSR_E0_NS1_11comp_targetILNS1_3genE5ELNS1_11target_archE942ELNS1_3gpuE9ELNS1_3repE0EEENS1_30default_config_static_selectorELNS0_4arch9wavefront6targetE1EEEvT1_
                                        ; -- End function
	.section	.AMDGPU.csdata,"",@progbits
; Kernel info:
; codeLenInByte = 0
; NumSgprs: 4
; NumVgprs: 0
; NumAgprs: 0
; TotalNumVgprs: 0
; ScratchSize: 0
; MemoryBound: 0
; FloatMode: 240
; IeeeMode: 1
; LDSByteSize: 0 bytes/workgroup (compile time only)
; SGPRBlocks: 0
; VGPRBlocks: 0
; NumSGPRsForWavesPerEU: 4
; NumVGPRsForWavesPerEU: 1
; AccumOffset: 4
; Occupancy: 8
; WaveLimiterHint : 0
; COMPUTE_PGM_RSRC2:SCRATCH_EN: 0
; COMPUTE_PGM_RSRC2:USER_SGPR: 6
; COMPUTE_PGM_RSRC2:TRAP_HANDLER: 0
; COMPUTE_PGM_RSRC2:TGID_X_EN: 1
; COMPUTE_PGM_RSRC2:TGID_Y_EN: 0
; COMPUTE_PGM_RSRC2:TGID_Z_EN: 0
; COMPUTE_PGM_RSRC2:TIDIG_COMP_CNT: 0
; COMPUTE_PGM_RSRC3_GFX90A:ACCUM_OFFSET: 0
; COMPUTE_PGM_RSRC3_GFX90A:TG_SPLIT: 0
	.section	.text._ZN7rocprim17ROCPRIM_400000_NS6detail17trampoline_kernelINS0_14default_configENS1_20scan_config_selectorIiEEZZNS1_9scan_implILNS1_25lookback_scan_determinismE0ELb1ELb1ES3_N6thrust23THRUST_200600_302600_NS6detail15normal_iteratorINS9_10device_ptrIjEEEENSB_INSC_IfEEEEiNS9_4plusIvEEiEEDaPvRmT3_T4_T5_mT6_P12ihipStream_tbENKUlT_T0_E_clISt17integral_constantIbLb0EESW_EEDaSR_SS_EUlSR_E0_NS1_11comp_targetILNS1_3genE4ELNS1_11target_archE910ELNS1_3gpuE8ELNS1_3repE0EEENS1_30default_config_static_selectorELNS0_4arch9wavefront6targetE1EEEvT1_,"axG",@progbits,_ZN7rocprim17ROCPRIM_400000_NS6detail17trampoline_kernelINS0_14default_configENS1_20scan_config_selectorIiEEZZNS1_9scan_implILNS1_25lookback_scan_determinismE0ELb1ELb1ES3_N6thrust23THRUST_200600_302600_NS6detail15normal_iteratorINS9_10device_ptrIjEEEENSB_INSC_IfEEEEiNS9_4plusIvEEiEEDaPvRmT3_T4_T5_mT6_P12ihipStream_tbENKUlT_T0_E_clISt17integral_constantIbLb0EESW_EEDaSR_SS_EUlSR_E0_NS1_11comp_targetILNS1_3genE4ELNS1_11target_archE910ELNS1_3gpuE8ELNS1_3repE0EEENS1_30default_config_static_selectorELNS0_4arch9wavefront6targetE1EEEvT1_,comdat
	.protected	_ZN7rocprim17ROCPRIM_400000_NS6detail17trampoline_kernelINS0_14default_configENS1_20scan_config_selectorIiEEZZNS1_9scan_implILNS1_25lookback_scan_determinismE0ELb1ELb1ES3_N6thrust23THRUST_200600_302600_NS6detail15normal_iteratorINS9_10device_ptrIjEEEENSB_INSC_IfEEEEiNS9_4plusIvEEiEEDaPvRmT3_T4_T5_mT6_P12ihipStream_tbENKUlT_T0_E_clISt17integral_constantIbLb0EESW_EEDaSR_SS_EUlSR_E0_NS1_11comp_targetILNS1_3genE4ELNS1_11target_archE910ELNS1_3gpuE8ELNS1_3repE0EEENS1_30default_config_static_selectorELNS0_4arch9wavefront6targetE1EEEvT1_ ; -- Begin function _ZN7rocprim17ROCPRIM_400000_NS6detail17trampoline_kernelINS0_14default_configENS1_20scan_config_selectorIiEEZZNS1_9scan_implILNS1_25lookback_scan_determinismE0ELb1ELb1ES3_N6thrust23THRUST_200600_302600_NS6detail15normal_iteratorINS9_10device_ptrIjEEEENSB_INSC_IfEEEEiNS9_4plusIvEEiEEDaPvRmT3_T4_T5_mT6_P12ihipStream_tbENKUlT_T0_E_clISt17integral_constantIbLb0EESW_EEDaSR_SS_EUlSR_E0_NS1_11comp_targetILNS1_3genE4ELNS1_11target_archE910ELNS1_3gpuE8ELNS1_3repE0EEENS1_30default_config_static_selectorELNS0_4arch9wavefront6targetE1EEEvT1_
	.globl	_ZN7rocprim17ROCPRIM_400000_NS6detail17trampoline_kernelINS0_14default_configENS1_20scan_config_selectorIiEEZZNS1_9scan_implILNS1_25lookback_scan_determinismE0ELb1ELb1ES3_N6thrust23THRUST_200600_302600_NS6detail15normal_iteratorINS9_10device_ptrIjEEEENSB_INSC_IfEEEEiNS9_4plusIvEEiEEDaPvRmT3_T4_T5_mT6_P12ihipStream_tbENKUlT_T0_E_clISt17integral_constantIbLb0EESW_EEDaSR_SS_EUlSR_E0_NS1_11comp_targetILNS1_3genE4ELNS1_11target_archE910ELNS1_3gpuE8ELNS1_3repE0EEENS1_30default_config_static_selectorELNS0_4arch9wavefront6targetE1EEEvT1_
	.p2align	8
	.type	_ZN7rocprim17ROCPRIM_400000_NS6detail17trampoline_kernelINS0_14default_configENS1_20scan_config_selectorIiEEZZNS1_9scan_implILNS1_25lookback_scan_determinismE0ELb1ELb1ES3_N6thrust23THRUST_200600_302600_NS6detail15normal_iteratorINS9_10device_ptrIjEEEENSB_INSC_IfEEEEiNS9_4plusIvEEiEEDaPvRmT3_T4_T5_mT6_P12ihipStream_tbENKUlT_T0_E_clISt17integral_constantIbLb0EESW_EEDaSR_SS_EUlSR_E0_NS1_11comp_targetILNS1_3genE4ELNS1_11target_archE910ELNS1_3gpuE8ELNS1_3repE0EEENS1_30default_config_static_selectorELNS0_4arch9wavefront6targetE1EEEvT1_,@function
_ZN7rocprim17ROCPRIM_400000_NS6detail17trampoline_kernelINS0_14default_configENS1_20scan_config_selectorIiEEZZNS1_9scan_implILNS1_25lookback_scan_determinismE0ELb1ELb1ES3_N6thrust23THRUST_200600_302600_NS6detail15normal_iteratorINS9_10device_ptrIjEEEENSB_INSC_IfEEEEiNS9_4plusIvEEiEEDaPvRmT3_T4_T5_mT6_P12ihipStream_tbENKUlT_T0_E_clISt17integral_constantIbLb0EESW_EEDaSR_SS_EUlSR_E0_NS1_11comp_targetILNS1_3genE4ELNS1_11target_archE910ELNS1_3gpuE8ELNS1_3repE0EEENS1_30default_config_static_selectorELNS0_4arch9wavefront6targetE1EEEvT1_: ; @_ZN7rocprim17ROCPRIM_400000_NS6detail17trampoline_kernelINS0_14default_configENS1_20scan_config_selectorIiEEZZNS1_9scan_implILNS1_25lookback_scan_determinismE0ELb1ELb1ES3_N6thrust23THRUST_200600_302600_NS6detail15normal_iteratorINS9_10device_ptrIjEEEENSB_INSC_IfEEEEiNS9_4plusIvEEiEEDaPvRmT3_T4_T5_mT6_P12ihipStream_tbENKUlT_T0_E_clISt17integral_constantIbLb0EESW_EEDaSR_SS_EUlSR_E0_NS1_11comp_targetILNS1_3genE4ELNS1_11target_archE910ELNS1_3gpuE8ELNS1_3repE0EEENS1_30default_config_static_selectorELNS0_4arch9wavefront6targetE1EEEvT1_
; %bb.0:
	s_load_dwordx4 s[20:23], s[4:5], 0x0
	v_lshlrev_b32_e32 v14, 2, v0
	s_waitcnt lgkmcnt(0)
	s_load_dword s23, s[20:21], 0x0
	v_cmp_gt_u32_e32 vcc, s22, v0
	s_waitcnt lgkmcnt(0)
	v_mov_b32_e32 v1, s23
	s_and_saveexec_b64 s[0:1], vcc
	s_cbranch_execz .LBB6171_2
; %bb.1:
	global_load_dword v1, v14, s[20:21]
.LBB6171_2:
	s_or_b64 exec, exec, s[0:1]
	v_or_b32_e32 v2, 0x80, v0
	v_cmp_gt_u32_e64 s[0:1], s22, v2
	v_mov_b32_e32 v2, s23
	s_and_saveexec_b64 s[2:3], s[0:1]
	s_cbranch_execz .LBB6171_4
; %bb.3:
	global_load_dword v2, v14, s[20:21] offset:512
.LBB6171_4:
	s_or_b64 exec, exec, s[2:3]
	v_or_b32_e32 v3, 0x100, v0
	v_cmp_gt_u32_e64 s[2:3], s22, v3
	v_mov_b32_e32 v3, s23
	s_and_saveexec_b64 s[6:7], s[2:3]
	s_cbranch_execz .LBB6171_6
; %bb.5:
	global_load_dword v3, v14, s[20:21] offset:1024
.LBB6171_6:
	;; [unrolled: 9-line block ×7, first 2 shown]
	s_or_b64 exec, exec, s[14:15]
	v_or_b32_e32 v10, 0x400, v0
	v_cmp_gt_u32_e64 s[14:15], s22, v10
	v_mov_b32_e32 v9, s23
	s_and_saveexec_b64 s[16:17], s[14:15]
	s_cbranch_execz .LBB6171_18
; %bb.17:
	v_lshlrev_b32_e32 v9, 2, v10
	global_load_dword v9, v9, s[20:21]
.LBB6171_18:
	s_or_b64 exec, exec, s[16:17]
	s_load_dword s24, s[4:5], 0x10
	v_or_b32_e32 v11, 0x480, v0
	v_cmp_gt_u32_e64 s[16:17], s22, v11
	v_mov_b32_e32 v10, s23
	s_and_saveexec_b64 s[22:23], s[16:17]
	s_cbranch_execz .LBB6171_20
; %bb.19:
	v_lshlrev_b32_e32 v10, 2, v11
	global_load_dword v10, v10, s[20:21]
.LBB6171_20:
	s_or_b64 exec, exec, s[22:23]
	s_waitcnt vmcnt(0)
	ds_write2st64_b32 v14, v1, v2 offset1:2
	ds_write2st64_b32 v14, v3, v4 offset0:4 offset1:6
	ds_write2st64_b32 v14, v5, v6 offset0:8 offset1:10
	ds_write2st64_b32 v14, v7, v8 offset0:12 offset1:14
	ds_write2st64_b32 v14, v9, v10 offset0:16 offset1:18
	v_mad_u32_u24 v1, v0, 36, v14
	s_waitcnt lgkmcnt(0)
	s_barrier
	ds_read2_b64 v[6:9], v1 offset1:1
	ds_read2_b64 v[2:5], v1 offset0:2 offset1:3
	ds_read_b64 v[10:11], v1 offset:32
	s_load_dwordx2 s[20:21], s[4:5], 0x18
	v_cmp_gt_u32_e64 s[4:5], 64, v0
	s_waitcnt lgkmcnt(0)
	v_add_u32_e32 v1, v7, v6
	v_add3_u32 v1, v1, v8, v9
	v_add3_u32 v1, v1, v2, v3
	;; [unrolled: 1-line block ×4, first 2 shown]
	v_lshrrev_b32_e32 v11, 3, v0
	v_and_b32_e32 v11, 12, v11
	v_add_u32_e32 v11, v14, v11
	s_barrier
	ds_write_b32 v11, v1
	s_waitcnt lgkmcnt(0)
	s_barrier
	s_and_saveexec_b64 s[22:23], s[4:5]
	s_cbranch_execz .LBB6171_22
; %bb.21:
	v_lshlrev_b32_e32 v11, 1, v0
	v_lshrrev_b32_e32 v12, 4, v0
	v_add_lshl_u32 v11, v12, v11, 2
	ds_read2_b32 v[12:13], v11 offset1:1
	v_mbcnt_lo_u32_b32 v15, -1, 0
	v_mbcnt_hi_u32_b32 v15, -1, v15
	v_and_b32_e32 v16, 15, v15
	v_cmp_ne_u32_e64 s[4:5], 0, v16
	s_waitcnt lgkmcnt(0)
	v_add_u32_e32 v13, v13, v12
	; wave barrier
	s_nop 1
	v_mov_b32_dpp v17, v13 row_shr:1 row_mask:0xf bank_mask:0xf
	v_cndmask_b32_e64 v17, 0, v17, s[4:5]
	v_add_u32_e32 v13, v17, v13
	v_cmp_lt_u32_e64 s[4:5], 1, v16
	s_nop 0
	v_mov_b32_dpp v17, v13 row_shr:2 row_mask:0xf bank_mask:0xf
	v_cndmask_b32_e64 v17, 0, v17, s[4:5]
	v_add_u32_e32 v13, v13, v17
	v_cmp_lt_u32_e64 s[4:5], 3, v16
	;; [unrolled: 5-line block ×3, first 2 shown]
	s_nop 0
	v_mov_b32_dpp v17, v13 row_shr:8 row_mask:0xf bank_mask:0xf
	v_cndmask_b32_e64 v16, 0, v17, s[4:5]
	v_add_u32_e32 v13, v13, v16
	v_bfe_i32 v17, v15, 4, 1
	v_cmp_lt_u32_e64 s[4:5], 31, v15
	v_mov_b32_dpp v16, v13 row_bcast:15 row_mask:0xf bank_mask:0xf
	v_and_b32_e32 v16, v17, v16
	v_add_u32_e32 v13, v13, v16
	v_and_b32_e32 v17, 64, v15
	s_nop 0
	v_mov_b32_dpp v16, v13 row_bcast:31 row_mask:0xf bank_mask:0xf
	v_cndmask_b32_e64 v16, 0, v16, s[4:5]
	v_add_u32_e32 v13, v13, v16
	v_add_u32_e32 v16, -1, v15
	v_cmp_lt_i32_e64 s[4:5], v16, v17
	v_cndmask_b32_e64 v15, v16, v15, s[4:5]
	v_lshlrev_b32_e32 v15, 2, v15
	ds_bpermute_b32 v13, v15, v13
	v_cmp_eq_u32_e64 s[4:5], 0, v0
	s_waitcnt lgkmcnt(0)
	v_add_u32_e32 v12, v13, v12
	v_cndmask_b32_e64 v1, v12, v1, s[4:5]
	ds_write_b32 v11, v1
	; wave barrier
	ds_read_b32 v12, v11 offset:4
	s_waitcnt lgkmcnt(0)
	v_add_u32_e32 v1, v12, v1
	ds_write_b32 v11, v1 offset:4
.LBB6171_22:
	s_or_b64 exec, exec, s[22:23]
	v_mul_u32_u24_e32 v1, 36, v0
	v_cmp_ne_u32_e64 s[4:5], 0, v0
	v_mov_b32_e32 v12, s24
	s_waitcnt lgkmcnt(0)
	s_barrier
	s_and_saveexec_b64 s[22:23], s[4:5]
	s_cbranch_execz .LBB6171_24
; %bb.23:
	v_add_u32_e32 v0, -1, v0
	v_lshrrev_b32_e32 v11, 5, v0
	v_add_lshl_u32 v0, v11, v0, 2
	ds_read_b32 v0, v0
	s_waitcnt lgkmcnt(0)
	v_add_u32_e32 v12, s24, v0
.LBB6171_24:
	s_or_b64 exec, exec, s[22:23]
	v_add_u32_e32 v13, v12, v6
	v_add_u32_e32 v6, v13, v7
	;; [unrolled: 1-line block ×10, first 2 shown]
	s_barrier
	ds_write2_b64 v0, v[12:13], v[6:7] offset1:1
	ds_write2_b64 v0, v[8:9], v[2:3] offset0:2 offset1:3
	ds_write_b64 v0, v[4:5] offset:32
	s_waitcnt lgkmcnt(0)
	s_barrier
	ds_read2st64_b32 v[8:9], v14 offset0:2 offset1:4
	ds_read2st64_b32 v[6:7], v14 offset0:6 offset1:8
	;; [unrolled: 1-line block ×4, first 2 shown]
	ds_read_b32 v10, v14 offset:4608
	v_mov_b32_e32 v1, s21
	v_add_co_u32_e64 v0, s[4:5], s20, v14
	v_addc_co_u32_e64 v1, s[4:5], 0, v1, s[4:5]
	s_and_saveexec_b64 s[4:5], vcc
	s_cbranch_execnz .LBB6171_35
; %bb.25:
	s_or_b64 exec, exec, s[4:5]
	s_and_saveexec_b64 s[4:5], s[0:1]
	s_cbranch_execnz .LBB6171_36
.LBB6171_26:
	s_or_b64 exec, exec, s[4:5]
	s_and_saveexec_b64 s[0:1], s[2:3]
	s_cbranch_execnz .LBB6171_37
.LBB6171_27:
	s_or_b64 exec, exec, s[0:1]
	s_and_saveexec_b64 s[0:1], s[18:19]
	s_cbranch_execnz .LBB6171_38
.LBB6171_28:
	s_or_b64 exec, exec, s[0:1]
	s_and_saveexec_b64 s[0:1], s[6:7]
	s_cbranch_execnz .LBB6171_39
.LBB6171_29:
	s_or_b64 exec, exec, s[0:1]
	s_and_saveexec_b64 s[0:1], s[8:9]
	s_cbranch_execnz .LBB6171_40
.LBB6171_30:
	s_or_b64 exec, exec, s[0:1]
	s_and_saveexec_b64 s[0:1], s[10:11]
	s_cbranch_execnz .LBB6171_41
.LBB6171_31:
	s_or_b64 exec, exec, s[0:1]
	s_and_saveexec_b64 s[0:1], s[12:13]
	s_cbranch_execnz .LBB6171_42
.LBB6171_32:
	s_or_b64 exec, exec, s[0:1]
	s_and_saveexec_b64 s[0:1], s[14:15]
	s_cbranch_execnz .LBB6171_43
.LBB6171_33:
	s_or_b64 exec, exec, s[0:1]
	s_and_saveexec_b64 s[0:1], s[16:17]
	s_cbranch_execnz .LBB6171_44
.LBB6171_34:
	s_endpgm
.LBB6171_35:
	ds_read_b32 v11, v14
	s_waitcnt lgkmcnt(0)
	v_cvt_f32_i32_e32 v11, v11
	global_store_dword v[0:1], v11, off
	s_or_b64 exec, exec, s[4:5]
	s_and_saveexec_b64 s[4:5], s[0:1]
	s_cbranch_execz .LBB6171_26
.LBB6171_36:
	s_waitcnt lgkmcnt(4)
	v_cvt_f32_i32_e32 v8, v8
	global_store_dword v[0:1], v8, off offset:512
	s_or_b64 exec, exec, s[4:5]
	s_and_saveexec_b64 s[0:1], s[2:3]
	s_cbranch_execz .LBB6171_27
.LBB6171_37:
	s_waitcnt lgkmcnt(4)
	v_cvt_f32_i32_e32 v8, v9
	global_store_dword v[0:1], v8, off offset:1024
	s_or_b64 exec, exec, s[0:1]
	s_and_saveexec_b64 s[0:1], s[18:19]
	s_cbranch_execz .LBB6171_28
.LBB6171_38:
	s_waitcnt lgkmcnt(3)
	v_cvt_f32_i32_e32 v6, v6
	global_store_dword v[0:1], v6, off offset:1536
	s_or_b64 exec, exec, s[0:1]
	s_and_saveexec_b64 s[0:1], s[6:7]
	s_cbranch_execz .LBB6171_29
.LBB6171_39:
	s_waitcnt lgkmcnt(3)
	v_cvt_f32_i32_e32 v6, v7
	global_store_dword v[0:1], v6, off offset:2048
	s_or_b64 exec, exec, s[0:1]
	s_and_saveexec_b64 s[0:1], s[8:9]
	s_cbranch_execz .LBB6171_30
.LBB6171_40:
	s_waitcnt lgkmcnt(2)
	v_cvt_f32_i32_e32 v4, v4
	global_store_dword v[0:1], v4, off offset:2560
	s_or_b64 exec, exec, s[0:1]
	s_and_saveexec_b64 s[0:1], s[10:11]
	s_cbranch_execz .LBB6171_31
.LBB6171_41:
	s_waitcnt lgkmcnt(2)
	v_cvt_f32_i32_e32 v4, v5
	global_store_dword v[0:1], v4, off offset:3072
	s_or_b64 exec, exec, s[0:1]
	s_and_saveexec_b64 s[0:1], s[12:13]
	s_cbranch_execz .LBB6171_32
.LBB6171_42:
	s_waitcnt lgkmcnt(1)
	v_cvt_f32_i32_e32 v2, v2
	global_store_dword v[0:1], v2, off offset:3584
	s_or_b64 exec, exec, s[0:1]
	s_and_saveexec_b64 s[0:1], s[14:15]
	s_cbranch_execz .LBB6171_33
.LBB6171_43:
	s_waitcnt lgkmcnt(1)
	v_cvt_f32_i32_e32 v4, v3
	v_add_co_u32_e32 v2, vcc, 0x1000, v0
	v_addc_co_u32_e32 v3, vcc, 0, v1, vcc
	global_store_dword v[2:3], v4, off
	s_or_b64 exec, exec, s[0:1]
	s_and_saveexec_b64 s[0:1], s[16:17]
	s_cbranch_execz .LBB6171_34
.LBB6171_44:
	s_waitcnt lgkmcnt(0)
	v_cvt_f32_i32_e32 v2, v10
	v_add_co_u32_e32 v0, vcc, 0x1000, v0
	v_addc_co_u32_e32 v1, vcc, 0, v1, vcc
	global_store_dword v[0:1], v2, off offset:512
	s_endpgm
	.section	.rodata,"a",@progbits
	.p2align	6, 0x0
	.amdhsa_kernel _ZN7rocprim17ROCPRIM_400000_NS6detail17trampoline_kernelINS0_14default_configENS1_20scan_config_selectorIiEEZZNS1_9scan_implILNS1_25lookback_scan_determinismE0ELb1ELb1ES3_N6thrust23THRUST_200600_302600_NS6detail15normal_iteratorINS9_10device_ptrIjEEEENSB_INSC_IfEEEEiNS9_4plusIvEEiEEDaPvRmT3_T4_T5_mT6_P12ihipStream_tbENKUlT_T0_E_clISt17integral_constantIbLb0EESW_EEDaSR_SS_EUlSR_E0_NS1_11comp_targetILNS1_3genE4ELNS1_11target_archE910ELNS1_3gpuE8ELNS1_3repE0EEENS1_30default_config_static_selectorELNS0_4arch9wavefront6targetE1EEEvT1_
		.amdhsa_group_segment_fixed_size 5120
		.amdhsa_private_segment_fixed_size 0
		.amdhsa_kernarg_size 32
		.amdhsa_user_sgpr_count 6
		.amdhsa_user_sgpr_private_segment_buffer 1
		.amdhsa_user_sgpr_dispatch_ptr 0
		.amdhsa_user_sgpr_queue_ptr 0
		.amdhsa_user_sgpr_kernarg_segment_ptr 1
		.amdhsa_user_sgpr_dispatch_id 0
		.amdhsa_user_sgpr_flat_scratch_init 0
		.amdhsa_user_sgpr_kernarg_preload_length 0
		.amdhsa_user_sgpr_kernarg_preload_offset 0
		.amdhsa_user_sgpr_private_segment_size 0
		.amdhsa_uses_dynamic_stack 0
		.amdhsa_system_sgpr_private_segment_wavefront_offset 0
		.amdhsa_system_sgpr_workgroup_id_x 1
		.amdhsa_system_sgpr_workgroup_id_y 0
		.amdhsa_system_sgpr_workgroup_id_z 0
		.amdhsa_system_sgpr_workgroup_info 0
		.amdhsa_system_vgpr_workitem_id 0
		.amdhsa_next_free_vgpr 18
		.amdhsa_next_free_sgpr 25
		.amdhsa_accum_offset 20
		.amdhsa_reserve_vcc 1
		.amdhsa_reserve_flat_scratch 0
		.amdhsa_float_round_mode_32 0
		.amdhsa_float_round_mode_16_64 0
		.amdhsa_float_denorm_mode_32 3
		.amdhsa_float_denorm_mode_16_64 3
		.amdhsa_dx10_clamp 1
		.amdhsa_ieee_mode 1
		.amdhsa_fp16_overflow 0
		.amdhsa_tg_split 0
		.amdhsa_exception_fp_ieee_invalid_op 0
		.amdhsa_exception_fp_denorm_src 0
		.amdhsa_exception_fp_ieee_div_zero 0
		.amdhsa_exception_fp_ieee_overflow 0
		.amdhsa_exception_fp_ieee_underflow 0
		.amdhsa_exception_fp_ieee_inexact 0
		.amdhsa_exception_int_div_zero 0
	.end_amdhsa_kernel
	.section	.text._ZN7rocprim17ROCPRIM_400000_NS6detail17trampoline_kernelINS0_14default_configENS1_20scan_config_selectorIiEEZZNS1_9scan_implILNS1_25lookback_scan_determinismE0ELb1ELb1ES3_N6thrust23THRUST_200600_302600_NS6detail15normal_iteratorINS9_10device_ptrIjEEEENSB_INSC_IfEEEEiNS9_4plusIvEEiEEDaPvRmT3_T4_T5_mT6_P12ihipStream_tbENKUlT_T0_E_clISt17integral_constantIbLb0EESW_EEDaSR_SS_EUlSR_E0_NS1_11comp_targetILNS1_3genE4ELNS1_11target_archE910ELNS1_3gpuE8ELNS1_3repE0EEENS1_30default_config_static_selectorELNS0_4arch9wavefront6targetE1EEEvT1_,"axG",@progbits,_ZN7rocprim17ROCPRIM_400000_NS6detail17trampoline_kernelINS0_14default_configENS1_20scan_config_selectorIiEEZZNS1_9scan_implILNS1_25lookback_scan_determinismE0ELb1ELb1ES3_N6thrust23THRUST_200600_302600_NS6detail15normal_iteratorINS9_10device_ptrIjEEEENSB_INSC_IfEEEEiNS9_4plusIvEEiEEDaPvRmT3_T4_T5_mT6_P12ihipStream_tbENKUlT_T0_E_clISt17integral_constantIbLb0EESW_EEDaSR_SS_EUlSR_E0_NS1_11comp_targetILNS1_3genE4ELNS1_11target_archE910ELNS1_3gpuE8ELNS1_3repE0EEENS1_30default_config_static_selectorELNS0_4arch9wavefront6targetE1EEEvT1_,comdat
.Lfunc_end6171:
	.size	_ZN7rocprim17ROCPRIM_400000_NS6detail17trampoline_kernelINS0_14default_configENS1_20scan_config_selectorIiEEZZNS1_9scan_implILNS1_25lookback_scan_determinismE0ELb1ELb1ES3_N6thrust23THRUST_200600_302600_NS6detail15normal_iteratorINS9_10device_ptrIjEEEENSB_INSC_IfEEEEiNS9_4plusIvEEiEEDaPvRmT3_T4_T5_mT6_P12ihipStream_tbENKUlT_T0_E_clISt17integral_constantIbLb0EESW_EEDaSR_SS_EUlSR_E0_NS1_11comp_targetILNS1_3genE4ELNS1_11target_archE910ELNS1_3gpuE8ELNS1_3repE0EEENS1_30default_config_static_selectorELNS0_4arch9wavefront6targetE1EEEvT1_, .Lfunc_end6171-_ZN7rocprim17ROCPRIM_400000_NS6detail17trampoline_kernelINS0_14default_configENS1_20scan_config_selectorIiEEZZNS1_9scan_implILNS1_25lookback_scan_determinismE0ELb1ELb1ES3_N6thrust23THRUST_200600_302600_NS6detail15normal_iteratorINS9_10device_ptrIjEEEENSB_INSC_IfEEEEiNS9_4plusIvEEiEEDaPvRmT3_T4_T5_mT6_P12ihipStream_tbENKUlT_T0_E_clISt17integral_constantIbLb0EESW_EEDaSR_SS_EUlSR_E0_NS1_11comp_targetILNS1_3genE4ELNS1_11target_archE910ELNS1_3gpuE8ELNS1_3repE0EEENS1_30default_config_static_selectorELNS0_4arch9wavefront6targetE1EEEvT1_
                                        ; -- End function
	.section	.AMDGPU.csdata,"",@progbits
; Kernel info:
; codeLenInByte = 1572
; NumSgprs: 29
; NumVgprs: 18
; NumAgprs: 0
; TotalNumVgprs: 18
; ScratchSize: 0
; MemoryBound: 0
; FloatMode: 240
; IeeeMode: 1
; LDSByteSize: 5120 bytes/workgroup (compile time only)
; SGPRBlocks: 3
; VGPRBlocks: 2
; NumSGPRsForWavesPerEU: 29
; NumVGPRsForWavesPerEU: 18
; AccumOffset: 20
; Occupancy: 6
; WaveLimiterHint : 0
; COMPUTE_PGM_RSRC2:SCRATCH_EN: 0
; COMPUTE_PGM_RSRC2:USER_SGPR: 6
; COMPUTE_PGM_RSRC2:TRAP_HANDLER: 0
; COMPUTE_PGM_RSRC2:TGID_X_EN: 1
; COMPUTE_PGM_RSRC2:TGID_Y_EN: 0
; COMPUTE_PGM_RSRC2:TGID_Z_EN: 0
; COMPUTE_PGM_RSRC2:TIDIG_COMP_CNT: 0
; COMPUTE_PGM_RSRC3_GFX90A:ACCUM_OFFSET: 4
; COMPUTE_PGM_RSRC3_GFX90A:TG_SPLIT: 0
	.section	.text._ZN7rocprim17ROCPRIM_400000_NS6detail17trampoline_kernelINS0_14default_configENS1_20scan_config_selectorIiEEZZNS1_9scan_implILNS1_25lookback_scan_determinismE0ELb1ELb1ES3_N6thrust23THRUST_200600_302600_NS6detail15normal_iteratorINS9_10device_ptrIjEEEENSB_INSC_IfEEEEiNS9_4plusIvEEiEEDaPvRmT3_T4_T5_mT6_P12ihipStream_tbENKUlT_T0_E_clISt17integral_constantIbLb0EESW_EEDaSR_SS_EUlSR_E0_NS1_11comp_targetILNS1_3genE3ELNS1_11target_archE908ELNS1_3gpuE7ELNS1_3repE0EEENS1_30default_config_static_selectorELNS0_4arch9wavefront6targetE1EEEvT1_,"axG",@progbits,_ZN7rocprim17ROCPRIM_400000_NS6detail17trampoline_kernelINS0_14default_configENS1_20scan_config_selectorIiEEZZNS1_9scan_implILNS1_25lookback_scan_determinismE0ELb1ELb1ES3_N6thrust23THRUST_200600_302600_NS6detail15normal_iteratorINS9_10device_ptrIjEEEENSB_INSC_IfEEEEiNS9_4plusIvEEiEEDaPvRmT3_T4_T5_mT6_P12ihipStream_tbENKUlT_T0_E_clISt17integral_constantIbLb0EESW_EEDaSR_SS_EUlSR_E0_NS1_11comp_targetILNS1_3genE3ELNS1_11target_archE908ELNS1_3gpuE7ELNS1_3repE0EEENS1_30default_config_static_selectorELNS0_4arch9wavefront6targetE1EEEvT1_,comdat
	.protected	_ZN7rocprim17ROCPRIM_400000_NS6detail17trampoline_kernelINS0_14default_configENS1_20scan_config_selectorIiEEZZNS1_9scan_implILNS1_25lookback_scan_determinismE0ELb1ELb1ES3_N6thrust23THRUST_200600_302600_NS6detail15normal_iteratorINS9_10device_ptrIjEEEENSB_INSC_IfEEEEiNS9_4plusIvEEiEEDaPvRmT3_T4_T5_mT6_P12ihipStream_tbENKUlT_T0_E_clISt17integral_constantIbLb0EESW_EEDaSR_SS_EUlSR_E0_NS1_11comp_targetILNS1_3genE3ELNS1_11target_archE908ELNS1_3gpuE7ELNS1_3repE0EEENS1_30default_config_static_selectorELNS0_4arch9wavefront6targetE1EEEvT1_ ; -- Begin function _ZN7rocprim17ROCPRIM_400000_NS6detail17trampoline_kernelINS0_14default_configENS1_20scan_config_selectorIiEEZZNS1_9scan_implILNS1_25lookback_scan_determinismE0ELb1ELb1ES3_N6thrust23THRUST_200600_302600_NS6detail15normal_iteratorINS9_10device_ptrIjEEEENSB_INSC_IfEEEEiNS9_4plusIvEEiEEDaPvRmT3_T4_T5_mT6_P12ihipStream_tbENKUlT_T0_E_clISt17integral_constantIbLb0EESW_EEDaSR_SS_EUlSR_E0_NS1_11comp_targetILNS1_3genE3ELNS1_11target_archE908ELNS1_3gpuE7ELNS1_3repE0EEENS1_30default_config_static_selectorELNS0_4arch9wavefront6targetE1EEEvT1_
	.globl	_ZN7rocprim17ROCPRIM_400000_NS6detail17trampoline_kernelINS0_14default_configENS1_20scan_config_selectorIiEEZZNS1_9scan_implILNS1_25lookback_scan_determinismE0ELb1ELb1ES3_N6thrust23THRUST_200600_302600_NS6detail15normal_iteratorINS9_10device_ptrIjEEEENSB_INSC_IfEEEEiNS9_4plusIvEEiEEDaPvRmT3_T4_T5_mT6_P12ihipStream_tbENKUlT_T0_E_clISt17integral_constantIbLb0EESW_EEDaSR_SS_EUlSR_E0_NS1_11comp_targetILNS1_3genE3ELNS1_11target_archE908ELNS1_3gpuE7ELNS1_3repE0EEENS1_30default_config_static_selectorELNS0_4arch9wavefront6targetE1EEEvT1_
	.p2align	8
	.type	_ZN7rocprim17ROCPRIM_400000_NS6detail17trampoline_kernelINS0_14default_configENS1_20scan_config_selectorIiEEZZNS1_9scan_implILNS1_25lookback_scan_determinismE0ELb1ELb1ES3_N6thrust23THRUST_200600_302600_NS6detail15normal_iteratorINS9_10device_ptrIjEEEENSB_INSC_IfEEEEiNS9_4plusIvEEiEEDaPvRmT3_T4_T5_mT6_P12ihipStream_tbENKUlT_T0_E_clISt17integral_constantIbLb0EESW_EEDaSR_SS_EUlSR_E0_NS1_11comp_targetILNS1_3genE3ELNS1_11target_archE908ELNS1_3gpuE7ELNS1_3repE0EEENS1_30default_config_static_selectorELNS0_4arch9wavefront6targetE1EEEvT1_,@function
_ZN7rocprim17ROCPRIM_400000_NS6detail17trampoline_kernelINS0_14default_configENS1_20scan_config_selectorIiEEZZNS1_9scan_implILNS1_25lookback_scan_determinismE0ELb1ELb1ES3_N6thrust23THRUST_200600_302600_NS6detail15normal_iteratorINS9_10device_ptrIjEEEENSB_INSC_IfEEEEiNS9_4plusIvEEiEEDaPvRmT3_T4_T5_mT6_P12ihipStream_tbENKUlT_T0_E_clISt17integral_constantIbLb0EESW_EEDaSR_SS_EUlSR_E0_NS1_11comp_targetILNS1_3genE3ELNS1_11target_archE908ELNS1_3gpuE7ELNS1_3repE0EEENS1_30default_config_static_selectorELNS0_4arch9wavefront6targetE1EEEvT1_: ; @_ZN7rocprim17ROCPRIM_400000_NS6detail17trampoline_kernelINS0_14default_configENS1_20scan_config_selectorIiEEZZNS1_9scan_implILNS1_25lookback_scan_determinismE0ELb1ELb1ES3_N6thrust23THRUST_200600_302600_NS6detail15normal_iteratorINS9_10device_ptrIjEEEENSB_INSC_IfEEEEiNS9_4plusIvEEiEEDaPvRmT3_T4_T5_mT6_P12ihipStream_tbENKUlT_T0_E_clISt17integral_constantIbLb0EESW_EEDaSR_SS_EUlSR_E0_NS1_11comp_targetILNS1_3genE3ELNS1_11target_archE908ELNS1_3gpuE7ELNS1_3repE0EEENS1_30default_config_static_selectorELNS0_4arch9wavefront6targetE1EEEvT1_
; %bb.0:
	.section	.rodata,"a",@progbits
	.p2align	6, 0x0
	.amdhsa_kernel _ZN7rocprim17ROCPRIM_400000_NS6detail17trampoline_kernelINS0_14default_configENS1_20scan_config_selectorIiEEZZNS1_9scan_implILNS1_25lookback_scan_determinismE0ELb1ELb1ES3_N6thrust23THRUST_200600_302600_NS6detail15normal_iteratorINS9_10device_ptrIjEEEENSB_INSC_IfEEEEiNS9_4plusIvEEiEEDaPvRmT3_T4_T5_mT6_P12ihipStream_tbENKUlT_T0_E_clISt17integral_constantIbLb0EESW_EEDaSR_SS_EUlSR_E0_NS1_11comp_targetILNS1_3genE3ELNS1_11target_archE908ELNS1_3gpuE7ELNS1_3repE0EEENS1_30default_config_static_selectorELNS0_4arch9wavefront6targetE1EEEvT1_
		.amdhsa_group_segment_fixed_size 0
		.amdhsa_private_segment_fixed_size 0
		.amdhsa_kernarg_size 32
		.amdhsa_user_sgpr_count 6
		.amdhsa_user_sgpr_private_segment_buffer 1
		.amdhsa_user_sgpr_dispatch_ptr 0
		.amdhsa_user_sgpr_queue_ptr 0
		.amdhsa_user_sgpr_kernarg_segment_ptr 1
		.amdhsa_user_sgpr_dispatch_id 0
		.amdhsa_user_sgpr_flat_scratch_init 0
		.amdhsa_user_sgpr_kernarg_preload_length 0
		.amdhsa_user_sgpr_kernarg_preload_offset 0
		.amdhsa_user_sgpr_private_segment_size 0
		.amdhsa_uses_dynamic_stack 0
		.amdhsa_system_sgpr_private_segment_wavefront_offset 0
		.amdhsa_system_sgpr_workgroup_id_x 1
		.amdhsa_system_sgpr_workgroup_id_y 0
		.amdhsa_system_sgpr_workgroup_id_z 0
		.amdhsa_system_sgpr_workgroup_info 0
		.amdhsa_system_vgpr_workitem_id 0
		.amdhsa_next_free_vgpr 1
		.amdhsa_next_free_sgpr 0
		.amdhsa_accum_offset 4
		.amdhsa_reserve_vcc 0
		.amdhsa_reserve_flat_scratch 0
		.amdhsa_float_round_mode_32 0
		.amdhsa_float_round_mode_16_64 0
		.amdhsa_float_denorm_mode_32 3
		.amdhsa_float_denorm_mode_16_64 3
		.amdhsa_dx10_clamp 1
		.amdhsa_ieee_mode 1
		.amdhsa_fp16_overflow 0
		.amdhsa_tg_split 0
		.amdhsa_exception_fp_ieee_invalid_op 0
		.amdhsa_exception_fp_denorm_src 0
		.amdhsa_exception_fp_ieee_div_zero 0
		.amdhsa_exception_fp_ieee_overflow 0
		.amdhsa_exception_fp_ieee_underflow 0
		.amdhsa_exception_fp_ieee_inexact 0
		.amdhsa_exception_int_div_zero 0
	.end_amdhsa_kernel
	.section	.text._ZN7rocprim17ROCPRIM_400000_NS6detail17trampoline_kernelINS0_14default_configENS1_20scan_config_selectorIiEEZZNS1_9scan_implILNS1_25lookback_scan_determinismE0ELb1ELb1ES3_N6thrust23THRUST_200600_302600_NS6detail15normal_iteratorINS9_10device_ptrIjEEEENSB_INSC_IfEEEEiNS9_4plusIvEEiEEDaPvRmT3_T4_T5_mT6_P12ihipStream_tbENKUlT_T0_E_clISt17integral_constantIbLb0EESW_EEDaSR_SS_EUlSR_E0_NS1_11comp_targetILNS1_3genE3ELNS1_11target_archE908ELNS1_3gpuE7ELNS1_3repE0EEENS1_30default_config_static_selectorELNS0_4arch9wavefront6targetE1EEEvT1_,"axG",@progbits,_ZN7rocprim17ROCPRIM_400000_NS6detail17trampoline_kernelINS0_14default_configENS1_20scan_config_selectorIiEEZZNS1_9scan_implILNS1_25lookback_scan_determinismE0ELb1ELb1ES3_N6thrust23THRUST_200600_302600_NS6detail15normal_iteratorINS9_10device_ptrIjEEEENSB_INSC_IfEEEEiNS9_4plusIvEEiEEDaPvRmT3_T4_T5_mT6_P12ihipStream_tbENKUlT_T0_E_clISt17integral_constantIbLb0EESW_EEDaSR_SS_EUlSR_E0_NS1_11comp_targetILNS1_3genE3ELNS1_11target_archE908ELNS1_3gpuE7ELNS1_3repE0EEENS1_30default_config_static_selectorELNS0_4arch9wavefront6targetE1EEEvT1_,comdat
.Lfunc_end6172:
	.size	_ZN7rocprim17ROCPRIM_400000_NS6detail17trampoline_kernelINS0_14default_configENS1_20scan_config_selectorIiEEZZNS1_9scan_implILNS1_25lookback_scan_determinismE0ELb1ELb1ES3_N6thrust23THRUST_200600_302600_NS6detail15normal_iteratorINS9_10device_ptrIjEEEENSB_INSC_IfEEEEiNS9_4plusIvEEiEEDaPvRmT3_T4_T5_mT6_P12ihipStream_tbENKUlT_T0_E_clISt17integral_constantIbLb0EESW_EEDaSR_SS_EUlSR_E0_NS1_11comp_targetILNS1_3genE3ELNS1_11target_archE908ELNS1_3gpuE7ELNS1_3repE0EEENS1_30default_config_static_selectorELNS0_4arch9wavefront6targetE1EEEvT1_, .Lfunc_end6172-_ZN7rocprim17ROCPRIM_400000_NS6detail17trampoline_kernelINS0_14default_configENS1_20scan_config_selectorIiEEZZNS1_9scan_implILNS1_25lookback_scan_determinismE0ELb1ELb1ES3_N6thrust23THRUST_200600_302600_NS6detail15normal_iteratorINS9_10device_ptrIjEEEENSB_INSC_IfEEEEiNS9_4plusIvEEiEEDaPvRmT3_T4_T5_mT6_P12ihipStream_tbENKUlT_T0_E_clISt17integral_constantIbLb0EESW_EEDaSR_SS_EUlSR_E0_NS1_11comp_targetILNS1_3genE3ELNS1_11target_archE908ELNS1_3gpuE7ELNS1_3repE0EEENS1_30default_config_static_selectorELNS0_4arch9wavefront6targetE1EEEvT1_
                                        ; -- End function
	.section	.AMDGPU.csdata,"",@progbits
; Kernel info:
; codeLenInByte = 0
; NumSgprs: 4
; NumVgprs: 0
; NumAgprs: 0
; TotalNumVgprs: 0
; ScratchSize: 0
; MemoryBound: 0
; FloatMode: 240
; IeeeMode: 1
; LDSByteSize: 0 bytes/workgroup (compile time only)
; SGPRBlocks: 0
; VGPRBlocks: 0
; NumSGPRsForWavesPerEU: 4
; NumVGPRsForWavesPerEU: 1
; AccumOffset: 4
; Occupancy: 8
; WaveLimiterHint : 0
; COMPUTE_PGM_RSRC2:SCRATCH_EN: 0
; COMPUTE_PGM_RSRC2:USER_SGPR: 6
; COMPUTE_PGM_RSRC2:TRAP_HANDLER: 0
; COMPUTE_PGM_RSRC2:TGID_X_EN: 1
; COMPUTE_PGM_RSRC2:TGID_Y_EN: 0
; COMPUTE_PGM_RSRC2:TGID_Z_EN: 0
; COMPUTE_PGM_RSRC2:TIDIG_COMP_CNT: 0
; COMPUTE_PGM_RSRC3_GFX90A:ACCUM_OFFSET: 0
; COMPUTE_PGM_RSRC3_GFX90A:TG_SPLIT: 0
	.section	.text._ZN7rocprim17ROCPRIM_400000_NS6detail17trampoline_kernelINS0_14default_configENS1_20scan_config_selectorIiEEZZNS1_9scan_implILNS1_25lookback_scan_determinismE0ELb1ELb1ES3_N6thrust23THRUST_200600_302600_NS6detail15normal_iteratorINS9_10device_ptrIjEEEENSB_INSC_IfEEEEiNS9_4plusIvEEiEEDaPvRmT3_T4_T5_mT6_P12ihipStream_tbENKUlT_T0_E_clISt17integral_constantIbLb0EESW_EEDaSR_SS_EUlSR_E0_NS1_11comp_targetILNS1_3genE2ELNS1_11target_archE906ELNS1_3gpuE6ELNS1_3repE0EEENS1_30default_config_static_selectorELNS0_4arch9wavefront6targetE1EEEvT1_,"axG",@progbits,_ZN7rocprim17ROCPRIM_400000_NS6detail17trampoline_kernelINS0_14default_configENS1_20scan_config_selectorIiEEZZNS1_9scan_implILNS1_25lookback_scan_determinismE0ELb1ELb1ES3_N6thrust23THRUST_200600_302600_NS6detail15normal_iteratorINS9_10device_ptrIjEEEENSB_INSC_IfEEEEiNS9_4plusIvEEiEEDaPvRmT3_T4_T5_mT6_P12ihipStream_tbENKUlT_T0_E_clISt17integral_constantIbLb0EESW_EEDaSR_SS_EUlSR_E0_NS1_11comp_targetILNS1_3genE2ELNS1_11target_archE906ELNS1_3gpuE6ELNS1_3repE0EEENS1_30default_config_static_selectorELNS0_4arch9wavefront6targetE1EEEvT1_,comdat
	.protected	_ZN7rocprim17ROCPRIM_400000_NS6detail17trampoline_kernelINS0_14default_configENS1_20scan_config_selectorIiEEZZNS1_9scan_implILNS1_25lookback_scan_determinismE0ELb1ELb1ES3_N6thrust23THRUST_200600_302600_NS6detail15normal_iteratorINS9_10device_ptrIjEEEENSB_INSC_IfEEEEiNS9_4plusIvEEiEEDaPvRmT3_T4_T5_mT6_P12ihipStream_tbENKUlT_T0_E_clISt17integral_constantIbLb0EESW_EEDaSR_SS_EUlSR_E0_NS1_11comp_targetILNS1_3genE2ELNS1_11target_archE906ELNS1_3gpuE6ELNS1_3repE0EEENS1_30default_config_static_selectorELNS0_4arch9wavefront6targetE1EEEvT1_ ; -- Begin function _ZN7rocprim17ROCPRIM_400000_NS6detail17trampoline_kernelINS0_14default_configENS1_20scan_config_selectorIiEEZZNS1_9scan_implILNS1_25lookback_scan_determinismE0ELb1ELb1ES3_N6thrust23THRUST_200600_302600_NS6detail15normal_iteratorINS9_10device_ptrIjEEEENSB_INSC_IfEEEEiNS9_4plusIvEEiEEDaPvRmT3_T4_T5_mT6_P12ihipStream_tbENKUlT_T0_E_clISt17integral_constantIbLb0EESW_EEDaSR_SS_EUlSR_E0_NS1_11comp_targetILNS1_3genE2ELNS1_11target_archE906ELNS1_3gpuE6ELNS1_3repE0EEENS1_30default_config_static_selectorELNS0_4arch9wavefront6targetE1EEEvT1_
	.globl	_ZN7rocprim17ROCPRIM_400000_NS6detail17trampoline_kernelINS0_14default_configENS1_20scan_config_selectorIiEEZZNS1_9scan_implILNS1_25lookback_scan_determinismE0ELb1ELb1ES3_N6thrust23THRUST_200600_302600_NS6detail15normal_iteratorINS9_10device_ptrIjEEEENSB_INSC_IfEEEEiNS9_4plusIvEEiEEDaPvRmT3_T4_T5_mT6_P12ihipStream_tbENKUlT_T0_E_clISt17integral_constantIbLb0EESW_EEDaSR_SS_EUlSR_E0_NS1_11comp_targetILNS1_3genE2ELNS1_11target_archE906ELNS1_3gpuE6ELNS1_3repE0EEENS1_30default_config_static_selectorELNS0_4arch9wavefront6targetE1EEEvT1_
	.p2align	8
	.type	_ZN7rocprim17ROCPRIM_400000_NS6detail17trampoline_kernelINS0_14default_configENS1_20scan_config_selectorIiEEZZNS1_9scan_implILNS1_25lookback_scan_determinismE0ELb1ELb1ES3_N6thrust23THRUST_200600_302600_NS6detail15normal_iteratorINS9_10device_ptrIjEEEENSB_INSC_IfEEEEiNS9_4plusIvEEiEEDaPvRmT3_T4_T5_mT6_P12ihipStream_tbENKUlT_T0_E_clISt17integral_constantIbLb0EESW_EEDaSR_SS_EUlSR_E0_NS1_11comp_targetILNS1_3genE2ELNS1_11target_archE906ELNS1_3gpuE6ELNS1_3repE0EEENS1_30default_config_static_selectorELNS0_4arch9wavefront6targetE1EEEvT1_,@function
_ZN7rocprim17ROCPRIM_400000_NS6detail17trampoline_kernelINS0_14default_configENS1_20scan_config_selectorIiEEZZNS1_9scan_implILNS1_25lookback_scan_determinismE0ELb1ELb1ES3_N6thrust23THRUST_200600_302600_NS6detail15normal_iteratorINS9_10device_ptrIjEEEENSB_INSC_IfEEEEiNS9_4plusIvEEiEEDaPvRmT3_T4_T5_mT6_P12ihipStream_tbENKUlT_T0_E_clISt17integral_constantIbLb0EESW_EEDaSR_SS_EUlSR_E0_NS1_11comp_targetILNS1_3genE2ELNS1_11target_archE906ELNS1_3gpuE6ELNS1_3repE0EEENS1_30default_config_static_selectorELNS0_4arch9wavefront6targetE1EEEvT1_: ; @_ZN7rocprim17ROCPRIM_400000_NS6detail17trampoline_kernelINS0_14default_configENS1_20scan_config_selectorIiEEZZNS1_9scan_implILNS1_25lookback_scan_determinismE0ELb1ELb1ES3_N6thrust23THRUST_200600_302600_NS6detail15normal_iteratorINS9_10device_ptrIjEEEENSB_INSC_IfEEEEiNS9_4plusIvEEiEEDaPvRmT3_T4_T5_mT6_P12ihipStream_tbENKUlT_T0_E_clISt17integral_constantIbLb0EESW_EEDaSR_SS_EUlSR_E0_NS1_11comp_targetILNS1_3genE2ELNS1_11target_archE906ELNS1_3gpuE6ELNS1_3repE0EEENS1_30default_config_static_selectorELNS0_4arch9wavefront6targetE1EEEvT1_
; %bb.0:
	.section	.rodata,"a",@progbits
	.p2align	6, 0x0
	.amdhsa_kernel _ZN7rocprim17ROCPRIM_400000_NS6detail17trampoline_kernelINS0_14default_configENS1_20scan_config_selectorIiEEZZNS1_9scan_implILNS1_25lookback_scan_determinismE0ELb1ELb1ES3_N6thrust23THRUST_200600_302600_NS6detail15normal_iteratorINS9_10device_ptrIjEEEENSB_INSC_IfEEEEiNS9_4plusIvEEiEEDaPvRmT3_T4_T5_mT6_P12ihipStream_tbENKUlT_T0_E_clISt17integral_constantIbLb0EESW_EEDaSR_SS_EUlSR_E0_NS1_11comp_targetILNS1_3genE2ELNS1_11target_archE906ELNS1_3gpuE6ELNS1_3repE0EEENS1_30default_config_static_selectorELNS0_4arch9wavefront6targetE1EEEvT1_
		.amdhsa_group_segment_fixed_size 0
		.amdhsa_private_segment_fixed_size 0
		.amdhsa_kernarg_size 32
		.amdhsa_user_sgpr_count 6
		.amdhsa_user_sgpr_private_segment_buffer 1
		.amdhsa_user_sgpr_dispatch_ptr 0
		.amdhsa_user_sgpr_queue_ptr 0
		.amdhsa_user_sgpr_kernarg_segment_ptr 1
		.amdhsa_user_sgpr_dispatch_id 0
		.amdhsa_user_sgpr_flat_scratch_init 0
		.amdhsa_user_sgpr_kernarg_preload_length 0
		.amdhsa_user_sgpr_kernarg_preload_offset 0
		.amdhsa_user_sgpr_private_segment_size 0
		.amdhsa_uses_dynamic_stack 0
		.amdhsa_system_sgpr_private_segment_wavefront_offset 0
		.amdhsa_system_sgpr_workgroup_id_x 1
		.amdhsa_system_sgpr_workgroup_id_y 0
		.amdhsa_system_sgpr_workgroup_id_z 0
		.amdhsa_system_sgpr_workgroup_info 0
		.amdhsa_system_vgpr_workitem_id 0
		.amdhsa_next_free_vgpr 1
		.amdhsa_next_free_sgpr 0
		.amdhsa_accum_offset 4
		.amdhsa_reserve_vcc 0
		.amdhsa_reserve_flat_scratch 0
		.amdhsa_float_round_mode_32 0
		.amdhsa_float_round_mode_16_64 0
		.amdhsa_float_denorm_mode_32 3
		.amdhsa_float_denorm_mode_16_64 3
		.amdhsa_dx10_clamp 1
		.amdhsa_ieee_mode 1
		.amdhsa_fp16_overflow 0
		.amdhsa_tg_split 0
		.amdhsa_exception_fp_ieee_invalid_op 0
		.amdhsa_exception_fp_denorm_src 0
		.amdhsa_exception_fp_ieee_div_zero 0
		.amdhsa_exception_fp_ieee_overflow 0
		.amdhsa_exception_fp_ieee_underflow 0
		.amdhsa_exception_fp_ieee_inexact 0
		.amdhsa_exception_int_div_zero 0
	.end_amdhsa_kernel
	.section	.text._ZN7rocprim17ROCPRIM_400000_NS6detail17trampoline_kernelINS0_14default_configENS1_20scan_config_selectorIiEEZZNS1_9scan_implILNS1_25lookback_scan_determinismE0ELb1ELb1ES3_N6thrust23THRUST_200600_302600_NS6detail15normal_iteratorINS9_10device_ptrIjEEEENSB_INSC_IfEEEEiNS9_4plusIvEEiEEDaPvRmT3_T4_T5_mT6_P12ihipStream_tbENKUlT_T0_E_clISt17integral_constantIbLb0EESW_EEDaSR_SS_EUlSR_E0_NS1_11comp_targetILNS1_3genE2ELNS1_11target_archE906ELNS1_3gpuE6ELNS1_3repE0EEENS1_30default_config_static_selectorELNS0_4arch9wavefront6targetE1EEEvT1_,"axG",@progbits,_ZN7rocprim17ROCPRIM_400000_NS6detail17trampoline_kernelINS0_14default_configENS1_20scan_config_selectorIiEEZZNS1_9scan_implILNS1_25lookback_scan_determinismE0ELb1ELb1ES3_N6thrust23THRUST_200600_302600_NS6detail15normal_iteratorINS9_10device_ptrIjEEEENSB_INSC_IfEEEEiNS9_4plusIvEEiEEDaPvRmT3_T4_T5_mT6_P12ihipStream_tbENKUlT_T0_E_clISt17integral_constantIbLb0EESW_EEDaSR_SS_EUlSR_E0_NS1_11comp_targetILNS1_3genE2ELNS1_11target_archE906ELNS1_3gpuE6ELNS1_3repE0EEENS1_30default_config_static_selectorELNS0_4arch9wavefront6targetE1EEEvT1_,comdat
.Lfunc_end6173:
	.size	_ZN7rocprim17ROCPRIM_400000_NS6detail17trampoline_kernelINS0_14default_configENS1_20scan_config_selectorIiEEZZNS1_9scan_implILNS1_25lookback_scan_determinismE0ELb1ELb1ES3_N6thrust23THRUST_200600_302600_NS6detail15normal_iteratorINS9_10device_ptrIjEEEENSB_INSC_IfEEEEiNS9_4plusIvEEiEEDaPvRmT3_T4_T5_mT6_P12ihipStream_tbENKUlT_T0_E_clISt17integral_constantIbLb0EESW_EEDaSR_SS_EUlSR_E0_NS1_11comp_targetILNS1_3genE2ELNS1_11target_archE906ELNS1_3gpuE6ELNS1_3repE0EEENS1_30default_config_static_selectorELNS0_4arch9wavefront6targetE1EEEvT1_, .Lfunc_end6173-_ZN7rocprim17ROCPRIM_400000_NS6detail17trampoline_kernelINS0_14default_configENS1_20scan_config_selectorIiEEZZNS1_9scan_implILNS1_25lookback_scan_determinismE0ELb1ELb1ES3_N6thrust23THRUST_200600_302600_NS6detail15normal_iteratorINS9_10device_ptrIjEEEENSB_INSC_IfEEEEiNS9_4plusIvEEiEEDaPvRmT3_T4_T5_mT6_P12ihipStream_tbENKUlT_T0_E_clISt17integral_constantIbLb0EESW_EEDaSR_SS_EUlSR_E0_NS1_11comp_targetILNS1_3genE2ELNS1_11target_archE906ELNS1_3gpuE6ELNS1_3repE0EEENS1_30default_config_static_selectorELNS0_4arch9wavefront6targetE1EEEvT1_
                                        ; -- End function
	.section	.AMDGPU.csdata,"",@progbits
; Kernel info:
; codeLenInByte = 0
; NumSgprs: 4
; NumVgprs: 0
; NumAgprs: 0
; TotalNumVgprs: 0
; ScratchSize: 0
; MemoryBound: 0
; FloatMode: 240
; IeeeMode: 1
; LDSByteSize: 0 bytes/workgroup (compile time only)
; SGPRBlocks: 0
; VGPRBlocks: 0
; NumSGPRsForWavesPerEU: 4
; NumVGPRsForWavesPerEU: 1
; AccumOffset: 4
; Occupancy: 8
; WaveLimiterHint : 0
; COMPUTE_PGM_RSRC2:SCRATCH_EN: 0
; COMPUTE_PGM_RSRC2:USER_SGPR: 6
; COMPUTE_PGM_RSRC2:TRAP_HANDLER: 0
; COMPUTE_PGM_RSRC2:TGID_X_EN: 1
; COMPUTE_PGM_RSRC2:TGID_Y_EN: 0
; COMPUTE_PGM_RSRC2:TGID_Z_EN: 0
; COMPUTE_PGM_RSRC2:TIDIG_COMP_CNT: 0
; COMPUTE_PGM_RSRC3_GFX90A:ACCUM_OFFSET: 0
; COMPUTE_PGM_RSRC3_GFX90A:TG_SPLIT: 0
	.section	.text._ZN7rocprim17ROCPRIM_400000_NS6detail17trampoline_kernelINS0_14default_configENS1_20scan_config_selectorIiEEZZNS1_9scan_implILNS1_25lookback_scan_determinismE0ELb1ELb1ES3_N6thrust23THRUST_200600_302600_NS6detail15normal_iteratorINS9_10device_ptrIjEEEENSB_INSC_IfEEEEiNS9_4plusIvEEiEEDaPvRmT3_T4_T5_mT6_P12ihipStream_tbENKUlT_T0_E_clISt17integral_constantIbLb0EESW_EEDaSR_SS_EUlSR_E0_NS1_11comp_targetILNS1_3genE10ELNS1_11target_archE1201ELNS1_3gpuE5ELNS1_3repE0EEENS1_30default_config_static_selectorELNS0_4arch9wavefront6targetE1EEEvT1_,"axG",@progbits,_ZN7rocprim17ROCPRIM_400000_NS6detail17trampoline_kernelINS0_14default_configENS1_20scan_config_selectorIiEEZZNS1_9scan_implILNS1_25lookback_scan_determinismE0ELb1ELb1ES3_N6thrust23THRUST_200600_302600_NS6detail15normal_iteratorINS9_10device_ptrIjEEEENSB_INSC_IfEEEEiNS9_4plusIvEEiEEDaPvRmT3_T4_T5_mT6_P12ihipStream_tbENKUlT_T0_E_clISt17integral_constantIbLb0EESW_EEDaSR_SS_EUlSR_E0_NS1_11comp_targetILNS1_3genE10ELNS1_11target_archE1201ELNS1_3gpuE5ELNS1_3repE0EEENS1_30default_config_static_selectorELNS0_4arch9wavefront6targetE1EEEvT1_,comdat
	.protected	_ZN7rocprim17ROCPRIM_400000_NS6detail17trampoline_kernelINS0_14default_configENS1_20scan_config_selectorIiEEZZNS1_9scan_implILNS1_25lookback_scan_determinismE0ELb1ELb1ES3_N6thrust23THRUST_200600_302600_NS6detail15normal_iteratorINS9_10device_ptrIjEEEENSB_INSC_IfEEEEiNS9_4plusIvEEiEEDaPvRmT3_T4_T5_mT6_P12ihipStream_tbENKUlT_T0_E_clISt17integral_constantIbLb0EESW_EEDaSR_SS_EUlSR_E0_NS1_11comp_targetILNS1_3genE10ELNS1_11target_archE1201ELNS1_3gpuE5ELNS1_3repE0EEENS1_30default_config_static_selectorELNS0_4arch9wavefront6targetE1EEEvT1_ ; -- Begin function _ZN7rocprim17ROCPRIM_400000_NS6detail17trampoline_kernelINS0_14default_configENS1_20scan_config_selectorIiEEZZNS1_9scan_implILNS1_25lookback_scan_determinismE0ELb1ELb1ES3_N6thrust23THRUST_200600_302600_NS6detail15normal_iteratorINS9_10device_ptrIjEEEENSB_INSC_IfEEEEiNS9_4plusIvEEiEEDaPvRmT3_T4_T5_mT6_P12ihipStream_tbENKUlT_T0_E_clISt17integral_constantIbLb0EESW_EEDaSR_SS_EUlSR_E0_NS1_11comp_targetILNS1_3genE10ELNS1_11target_archE1201ELNS1_3gpuE5ELNS1_3repE0EEENS1_30default_config_static_selectorELNS0_4arch9wavefront6targetE1EEEvT1_
	.globl	_ZN7rocprim17ROCPRIM_400000_NS6detail17trampoline_kernelINS0_14default_configENS1_20scan_config_selectorIiEEZZNS1_9scan_implILNS1_25lookback_scan_determinismE0ELb1ELb1ES3_N6thrust23THRUST_200600_302600_NS6detail15normal_iteratorINS9_10device_ptrIjEEEENSB_INSC_IfEEEEiNS9_4plusIvEEiEEDaPvRmT3_T4_T5_mT6_P12ihipStream_tbENKUlT_T0_E_clISt17integral_constantIbLb0EESW_EEDaSR_SS_EUlSR_E0_NS1_11comp_targetILNS1_3genE10ELNS1_11target_archE1201ELNS1_3gpuE5ELNS1_3repE0EEENS1_30default_config_static_selectorELNS0_4arch9wavefront6targetE1EEEvT1_
	.p2align	8
	.type	_ZN7rocprim17ROCPRIM_400000_NS6detail17trampoline_kernelINS0_14default_configENS1_20scan_config_selectorIiEEZZNS1_9scan_implILNS1_25lookback_scan_determinismE0ELb1ELb1ES3_N6thrust23THRUST_200600_302600_NS6detail15normal_iteratorINS9_10device_ptrIjEEEENSB_INSC_IfEEEEiNS9_4plusIvEEiEEDaPvRmT3_T4_T5_mT6_P12ihipStream_tbENKUlT_T0_E_clISt17integral_constantIbLb0EESW_EEDaSR_SS_EUlSR_E0_NS1_11comp_targetILNS1_3genE10ELNS1_11target_archE1201ELNS1_3gpuE5ELNS1_3repE0EEENS1_30default_config_static_selectorELNS0_4arch9wavefront6targetE1EEEvT1_,@function
_ZN7rocprim17ROCPRIM_400000_NS6detail17trampoline_kernelINS0_14default_configENS1_20scan_config_selectorIiEEZZNS1_9scan_implILNS1_25lookback_scan_determinismE0ELb1ELb1ES3_N6thrust23THRUST_200600_302600_NS6detail15normal_iteratorINS9_10device_ptrIjEEEENSB_INSC_IfEEEEiNS9_4plusIvEEiEEDaPvRmT3_T4_T5_mT6_P12ihipStream_tbENKUlT_T0_E_clISt17integral_constantIbLb0EESW_EEDaSR_SS_EUlSR_E0_NS1_11comp_targetILNS1_3genE10ELNS1_11target_archE1201ELNS1_3gpuE5ELNS1_3repE0EEENS1_30default_config_static_selectorELNS0_4arch9wavefront6targetE1EEEvT1_: ; @_ZN7rocprim17ROCPRIM_400000_NS6detail17trampoline_kernelINS0_14default_configENS1_20scan_config_selectorIiEEZZNS1_9scan_implILNS1_25lookback_scan_determinismE0ELb1ELb1ES3_N6thrust23THRUST_200600_302600_NS6detail15normal_iteratorINS9_10device_ptrIjEEEENSB_INSC_IfEEEEiNS9_4plusIvEEiEEDaPvRmT3_T4_T5_mT6_P12ihipStream_tbENKUlT_T0_E_clISt17integral_constantIbLb0EESW_EEDaSR_SS_EUlSR_E0_NS1_11comp_targetILNS1_3genE10ELNS1_11target_archE1201ELNS1_3gpuE5ELNS1_3repE0EEENS1_30default_config_static_selectorELNS0_4arch9wavefront6targetE1EEEvT1_
; %bb.0:
	.section	.rodata,"a",@progbits
	.p2align	6, 0x0
	.amdhsa_kernel _ZN7rocprim17ROCPRIM_400000_NS6detail17trampoline_kernelINS0_14default_configENS1_20scan_config_selectorIiEEZZNS1_9scan_implILNS1_25lookback_scan_determinismE0ELb1ELb1ES3_N6thrust23THRUST_200600_302600_NS6detail15normal_iteratorINS9_10device_ptrIjEEEENSB_INSC_IfEEEEiNS9_4plusIvEEiEEDaPvRmT3_T4_T5_mT6_P12ihipStream_tbENKUlT_T0_E_clISt17integral_constantIbLb0EESW_EEDaSR_SS_EUlSR_E0_NS1_11comp_targetILNS1_3genE10ELNS1_11target_archE1201ELNS1_3gpuE5ELNS1_3repE0EEENS1_30default_config_static_selectorELNS0_4arch9wavefront6targetE1EEEvT1_
		.amdhsa_group_segment_fixed_size 0
		.amdhsa_private_segment_fixed_size 0
		.amdhsa_kernarg_size 32
		.amdhsa_user_sgpr_count 6
		.amdhsa_user_sgpr_private_segment_buffer 1
		.amdhsa_user_sgpr_dispatch_ptr 0
		.amdhsa_user_sgpr_queue_ptr 0
		.amdhsa_user_sgpr_kernarg_segment_ptr 1
		.amdhsa_user_sgpr_dispatch_id 0
		.amdhsa_user_sgpr_flat_scratch_init 0
		.amdhsa_user_sgpr_kernarg_preload_length 0
		.amdhsa_user_sgpr_kernarg_preload_offset 0
		.amdhsa_user_sgpr_private_segment_size 0
		.amdhsa_uses_dynamic_stack 0
		.amdhsa_system_sgpr_private_segment_wavefront_offset 0
		.amdhsa_system_sgpr_workgroup_id_x 1
		.amdhsa_system_sgpr_workgroup_id_y 0
		.amdhsa_system_sgpr_workgroup_id_z 0
		.amdhsa_system_sgpr_workgroup_info 0
		.amdhsa_system_vgpr_workitem_id 0
		.amdhsa_next_free_vgpr 1
		.amdhsa_next_free_sgpr 0
		.amdhsa_accum_offset 4
		.amdhsa_reserve_vcc 0
		.amdhsa_reserve_flat_scratch 0
		.amdhsa_float_round_mode_32 0
		.amdhsa_float_round_mode_16_64 0
		.amdhsa_float_denorm_mode_32 3
		.amdhsa_float_denorm_mode_16_64 3
		.amdhsa_dx10_clamp 1
		.amdhsa_ieee_mode 1
		.amdhsa_fp16_overflow 0
		.amdhsa_tg_split 0
		.amdhsa_exception_fp_ieee_invalid_op 0
		.amdhsa_exception_fp_denorm_src 0
		.amdhsa_exception_fp_ieee_div_zero 0
		.amdhsa_exception_fp_ieee_overflow 0
		.amdhsa_exception_fp_ieee_underflow 0
		.amdhsa_exception_fp_ieee_inexact 0
		.amdhsa_exception_int_div_zero 0
	.end_amdhsa_kernel
	.section	.text._ZN7rocprim17ROCPRIM_400000_NS6detail17trampoline_kernelINS0_14default_configENS1_20scan_config_selectorIiEEZZNS1_9scan_implILNS1_25lookback_scan_determinismE0ELb1ELb1ES3_N6thrust23THRUST_200600_302600_NS6detail15normal_iteratorINS9_10device_ptrIjEEEENSB_INSC_IfEEEEiNS9_4plusIvEEiEEDaPvRmT3_T4_T5_mT6_P12ihipStream_tbENKUlT_T0_E_clISt17integral_constantIbLb0EESW_EEDaSR_SS_EUlSR_E0_NS1_11comp_targetILNS1_3genE10ELNS1_11target_archE1201ELNS1_3gpuE5ELNS1_3repE0EEENS1_30default_config_static_selectorELNS0_4arch9wavefront6targetE1EEEvT1_,"axG",@progbits,_ZN7rocprim17ROCPRIM_400000_NS6detail17trampoline_kernelINS0_14default_configENS1_20scan_config_selectorIiEEZZNS1_9scan_implILNS1_25lookback_scan_determinismE0ELb1ELb1ES3_N6thrust23THRUST_200600_302600_NS6detail15normal_iteratorINS9_10device_ptrIjEEEENSB_INSC_IfEEEEiNS9_4plusIvEEiEEDaPvRmT3_T4_T5_mT6_P12ihipStream_tbENKUlT_T0_E_clISt17integral_constantIbLb0EESW_EEDaSR_SS_EUlSR_E0_NS1_11comp_targetILNS1_3genE10ELNS1_11target_archE1201ELNS1_3gpuE5ELNS1_3repE0EEENS1_30default_config_static_selectorELNS0_4arch9wavefront6targetE1EEEvT1_,comdat
.Lfunc_end6174:
	.size	_ZN7rocprim17ROCPRIM_400000_NS6detail17trampoline_kernelINS0_14default_configENS1_20scan_config_selectorIiEEZZNS1_9scan_implILNS1_25lookback_scan_determinismE0ELb1ELb1ES3_N6thrust23THRUST_200600_302600_NS6detail15normal_iteratorINS9_10device_ptrIjEEEENSB_INSC_IfEEEEiNS9_4plusIvEEiEEDaPvRmT3_T4_T5_mT6_P12ihipStream_tbENKUlT_T0_E_clISt17integral_constantIbLb0EESW_EEDaSR_SS_EUlSR_E0_NS1_11comp_targetILNS1_3genE10ELNS1_11target_archE1201ELNS1_3gpuE5ELNS1_3repE0EEENS1_30default_config_static_selectorELNS0_4arch9wavefront6targetE1EEEvT1_, .Lfunc_end6174-_ZN7rocprim17ROCPRIM_400000_NS6detail17trampoline_kernelINS0_14default_configENS1_20scan_config_selectorIiEEZZNS1_9scan_implILNS1_25lookback_scan_determinismE0ELb1ELb1ES3_N6thrust23THRUST_200600_302600_NS6detail15normal_iteratorINS9_10device_ptrIjEEEENSB_INSC_IfEEEEiNS9_4plusIvEEiEEDaPvRmT3_T4_T5_mT6_P12ihipStream_tbENKUlT_T0_E_clISt17integral_constantIbLb0EESW_EEDaSR_SS_EUlSR_E0_NS1_11comp_targetILNS1_3genE10ELNS1_11target_archE1201ELNS1_3gpuE5ELNS1_3repE0EEENS1_30default_config_static_selectorELNS0_4arch9wavefront6targetE1EEEvT1_
                                        ; -- End function
	.section	.AMDGPU.csdata,"",@progbits
; Kernel info:
; codeLenInByte = 0
; NumSgprs: 4
; NumVgprs: 0
; NumAgprs: 0
; TotalNumVgprs: 0
; ScratchSize: 0
; MemoryBound: 0
; FloatMode: 240
; IeeeMode: 1
; LDSByteSize: 0 bytes/workgroup (compile time only)
; SGPRBlocks: 0
; VGPRBlocks: 0
; NumSGPRsForWavesPerEU: 4
; NumVGPRsForWavesPerEU: 1
; AccumOffset: 4
; Occupancy: 8
; WaveLimiterHint : 0
; COMPUTE_PGM_RSRC2:SCRATCH_EN: 0
; COMPUTE_PGM_RSRC2:USER_SGPR: 6
; COMPUTE_PGM_RSRC2:TRAP_HANDLER: 0
; COMPUTE_PGM_RSRC2:TGID_X_EN: 1
; COMPUTE_PGM_RSRC2:TGID_Y_EN: 0
; COMPUTE_PGM_RSRC2:TGID_Z_EN: 0
; COMPUTE_PGM_RSRC2:TIDIG_COMP_CNT: 0
; COMPUTE_PGM_RSRC3_GFX90A:ACCUM_OFFSET: 0
; COMPUTE_PGM_RSRC3_GFX90A:TG_SPLIT: 0
	.section	.text._ZN7rocprim17ROCPRIM_400000_NS6detail17trampoline_kernelINS0_14default_configENS1_20scan_config_selectorIiEEZZNS1_9scan_implILNS1_25lookback_scan_determinismE0ELb1ELb1ES3_N6thrust23THRUST_200600_302600_NS6detail15normal_iteratorINS9_10device_ptrIjEEEENSB_INSC_IfEEEEiNS9_4plusIvEEiEEDaPvRmT3_T4_T5_mT6_P12ihipStream_tbENKUlT_T0_E_clISt17integral_constantIbLb0EESW_EEDaSR_SS_EUlSR_E0_NS1_11comp_targetILNS1_3genE10ELNS1_11target_archE1200ELNS1_3gpuE4ELNS1_3repE0EEENS1_30default_config_static_selectorELNS0_4arch9wavefront6targetE1EEEvT1_,"axG",@progbits,_ZN7rocprim17ROCPRIM_400000_NS6detail17trampoline_kernelINS0_14default_configENS1_20scan_config_selectorIiEEZZNS1_9scan_implILNS1_25lookback_scan_determinismE0ELb1ELb1ES3_N6thrust23THRUST_200600_302600_NS6detail15normal_iteratorINS9_10device_ptrIjEEEENSB_INSC_IfEEEEiNS9_4plusIvEEiEEDaPvRmT3_T4_T5_mT6_P12ihipStream_tbENKUlT_T0_E_clISt17integral_constantIbLb0EESW_EEDaSR_SS_EUlSR_E0_NS1_11comp_targetILNS1_3genE10ELNS1_11target_archE1200ELNS1_3gpuE4ELNS1_3repE0EEENS1_30default_config_static_selectorELNS0_4arch9wavefront6targetE1EEEvT1_,comdat
	.protected	_ZN7rocprim17ROCPRIM_400000_NS6detail17trampoline_kernelINS0_14default_configENS1_20scan_config_selectorIiEEZZNS1_9scan_implILNS1_25lookback_scan_determinismE0ELb1ELb1ES3_N6thrust23THRUST_200600_302600_NS6detail15normal_iteratorINS9_10device_ptrIjEEEENSB_INSC_IfEEEEiNS9_4plusIvEEiEEDaPvRmT3_T4_T5_mT6_P12ihipStream_tbENKUlT_T0_E_clISt17integral_constantIbLb0EESW_EEDaSR_SS_EUlSR_E0_NS1_11comp_targetILNS1_3genE10ELNS1_11target_archE1200ELNS1_3gpuE4ELNS1_3repE0EEENS1_30default_config_static_selectorELNS0_4arch9wavefront6targetE1EEEvT1_ ; -- Begin function _ZN7rocprim17ROCPRIM_400000_NS6detail17trampoline_kernelINS0_14default_configENS1_20scan_config_selectorIiEEZZNS1_9scan_implILNS1_25lookback_scan_determinismE0ELb1ELb1ES3_N6thrust23THRUST_200600_302600_NS6detail15normal_iteratorINS9_10device_ptrIjEEEENSB_INSC_IfEEEEiNS9_4plusIvEEiEEDaPvRmT3_T4_T5_mT6_P12ihipStream_tbENKUlT_T0_E_clISt17integral_constantIbLb0EESW_EEDaSR_SS_EUlSR_E0_NS1_11comp_targetILNS1_3genE10ELNS1_11target_archE1200ELNS1_3gpuE4ELNS1_3repE0EEENS1_30default_config_static_selectorELNS0_4arch9wavefront6targetE1EEEvT1_
	.globl	_ZN7rocprim17ROCPRIM_400000_NS6detail17trampoline_kernelINS0_14default_configENS1_20scan_config_selectorIiEEZZNS1_9scan_implILNS1_25lookback_scan_determinismE0ELb1ELb1ES3_N6thrust23THRUST_200600_302600_NS6detail15normal_iteratorINS9_10device_ptrIjEEEENSB_INSC_IfEEEEiNS9_4plusIvEEiEEDaPvRmT3_T4_T5_mT6_P12ihipStream_tbENKUlT_T0_E_clISt17integral_constantIbLb0EESW_EEDaSR_SS_EUlSR_E0_NS1_11comp_targetILNS1_3genE10ELNS1_11target_archE1200ELNS1_3gpuE4ELNS1_3repE0EEENS1_30default_config_static_selectorELNS0_4arch9wavefront6targetE1EEEvT1_
	.p2align	8
	.type	_ZN7rocprim17ROCPRIM_400000_NS6detail17trampoline_kernelINS0_14default_configENS1_20scan_config_selectorIiEEZZNS1_9scan_implILNS1_25lookback_scan_determinismE0ELb1ELb1ES3_N6thrust23THRUST_200600_302600_NS6detail15normal_iteratorINS9_10device_ptrIjEEEENSB_INSC_IfEEEEiNS9_4plusIvEEiEEDaPvRmT3_T4_T5_mT6_P12ihipStream_tbENKUlT_T0_E_clISt17integral_constantIbLb0EESW_EEDaSR_SS_EUlSR_E0_NS1_11comp_targetILNS1_3genE10ELNS1_11target_archE1200ELNS1_3gpuE4ELNS1_3repE0EEENS1_30default_config_static_selectorELNS0_4arch9wavefront6targetE1EEEvT1_,@function
_ZN7rocprim17ROCPRIM_400000_NS6detail17trampoline_kernelINS0_14default_configENS1_20scan_config_selectorIiEEZZNS1_9scan_implILNS1_25lookback_scan_determinismE0ELb1ELb1ES3_N6thrust23THRUST_200600_302600_NS6detail15normal_iteratorINS9_10device_ptrIjEEEENSB_INSC_IfEEEEiNS9_4plusIvEEiEEDaPvRmT3_T4_T5_mT6_P12ihipStream_tbENKUlT_T0_E_clISt17integral_constantIbLb0EESW_EEDaSR_SS_EUlSR_E0_NS1_11comp_targetILNS1_3genE10ELNS1_11target_archE1200ELNS1_3gpuE4ELNS1_3repE0EEENS1_30default_config_static_selectorELNS0_4arch9wavefront6targetE1EEEvT1_: ; @_ZN7rocprim17ROCPRIM_400000_NS6detail17trampoline_kernelINS0_14default_configENS1_20scan_config_selectorIiEEZZNS1_9scan_implILNS1_25lookback_scan_determinismE0ELb1ELb1ES3_N6thrust23THRUST_200600_302600_NS6detail15normal_iteratorINS9_10device_ptrIjEEEENSB_INSC_IfEEEEiNS9_4plusIvEEiEEDaPvRmT3_T4_T5_mT6_P12ihipStream_tbENKUlT_T0_E_clISt17integral_constantIbLb0EESW_EEDaSR_SS_EUlSR_E0_NS1_11comp_targetILNS1_3genE10ELNS1_11target_archE1200ELNS1_3gpuE4ELNS1_3repE0EEENS1_30default_config_static_selectorELNS0_4arch9wavefront6targetE1EEEvT1_
; %bb.0:
	.section	.rodata,"a",@progbits
	.p2align	6, 0x0
	.amdhsa_kernel _ZN7rocprim17ROCPRIM_400000_NS6detail17trampoline_kernelINS0_14default_configENS1_20scan_config_selectorIiEEZZNS1_9scan_implILNS1_25lookback_scan_determinismE0ELb1ELb1ES3_N6thrust23THRUST_200600_302600_NS6detail15normal_iteratorINS9_10device_ptrIjEEEENSB_INSC_IfEEEEiNS9_4plusIvEEiEEDaPvRmT3_T4_T5_mT6_P12ihipStream_tbENKUlT_T0_E_clISt17integral_constantIbLb0EESW_EEDaSR_SS_EUlSR_E0_NS1_11comp_targetILNS1_3genE10ELNS1_11target_archE1200ELNS1_3gpuE4ELNS1_3repE0EEENS1_30default_config_static_selectorELNS0_4arch9wavefront6targetE1EEEvT1_
		.amdhsa_group_segment_fixed_size 0
		.amdhsa_private_segment_fixed_size 0
		.amdhsa_kernarg_size 32
		.amdhsa_user_sgpr_count 6
		.amdhsa_user_sgpr_private_segment_buffer 1
		.amdhsa_user_sgpr_dispatch_ptr 0
		.amdhsa_user_sgpr_queue_ptr 0
		.amdhsa_user_sgpr_kernarg_segment_ptr 1
		.amdhsa_user_sgpr_dispatch_id 0
		.amdhsa_user_sgpr_flat_scratch_init 0
		.amdhsa_user_sgpr_kernarg_preload_length 0
		.amdhsa_user_sgpr_kernarg_preload_offset 0
		.amdhsa_user_sgpr_private_segment_size 0
		.amdhsa_uses_dynamic_stack 0
		.amdhsa_system_sgpr_private_segment_wavefront_offset 0
		.amdhsa_system_sgpr_workgroup_id_x 1
		.amdhsa_system_sgpr_workgroup_id_y 0
		.amdhsa_system_sgpr_workgroup_id_z 0
		.amdhsa_system_sgpr_workgroup_info 0
		.amdhsa_system_vgpr_workitem_id 0
		.amdhsa_next_free_vgpr 1
		.amdhsa_next_free_sgpr 0
		.amdhsa_accum_offset 4
		.amdhsa_reserve_vcc 0
		.amdhsa_reserve_flat_scratch 0
		.amdhsa_float_round_mode_32 0
		.amdhsa_float_round_mode_16_64 0
		.amdhsa_float_denorm_mode_32 3
		.amdhsa_float_denorm_mode_16_64 3
		.amdhsa_dx10_clamp 1
		.amdhsa_ieee_mode 1
		.amdhsa_fp16_overflow 0
		.amdhsa_tg_split 0
		.amdhsa_exception_fp_ieee_invalid_op 0
		.amdhsa_exception_fp_denorm_src 0
		.amdhsa_exception_fp_ieee_div_zero 0
		.amdhsa_exception_fp_ieee_overflow 0
		.amdhsa_exception_fp_ieee_underflow 0
		.amdhsa_exception_fp_ieee_inexact 0
		.amdhsa_exception_int_div_zero 0
	.end_amdhsa_kernel
	.section	.text._ZN7rocprim17ROCPRIM_400000_NS6detail17trampoline_kernelINS0_14default_configENS1_20scan_config_selectorIiEEZZNS1_9scan_implILNS1_25lookback_scan_determinismE0ELb1ELb1ES3_N6thrust23THRUST_200600_302600_NS6detail15normal_iteratorINS9_10device_ptrIjEEEENSB_INSC_IfEEEEiNS9_4plusIvEEiEEDaPvRmT3_T4_T5_mT6_P12ihipStream_tbENKUlT_T0_E_clISt17integral_constantIbLb0EESW_EEDaSR_SS_EUlSR_E0_NS1_11comp_targetILNS1_3genE10ELNS1_11target_archE1200ELNS1_3gpuE4ELNS1_3repE0EEENS1_30default_config_static_selectorELNS0_4arch9wavefront6targetE1EEEvT1_,"axG",@progbits,_ZN7rocprim17ROCPRIM_400000_NS6detail17trampoline_kernelINS0_14default_configENS1_20scan_config_selectorIiEEZZNS1_9scan_implILNS1_25lookback_scan_determinismE0ELb1ELb1ES3_N6thrust23THRUST_200600_302600_NS6detail15normal_iteratorINS9_10device_ptrIjEEEENSB_INSC_IfEEEEiNS9_4plusIvEEiEEDaPvRmT3_T4_T5_mT6_P12ihipStream_tbENKUlT_T0_E_clISt17integral_constantIbLb0EESW_EEDaSR_SS_EUlSR_E0_NS1_11comp_targetILNS1_3genE10ELNS1_11target_archE1200ELNS1_3gpuE4ELNS1_3repE0EEENS1_30default_config_static_selectorELNS0_4arch9wavefront6targetE1EEEvT1_,comdat
.Lfunc_end6175:
	.size	_ZN7rocprim17ROCPRIM_400000_NS6detail17trampoline_kernelINS0_14default_configENS1_20scan_config_selectorIiEEZZNS1_9scan_implILNS1_25lookback_scan_determinismE0ELb1ELb1ES3_N6thrust23THRUST_200600_302600_NS6detail15normal_iteratorINS9_10device_ptrIjEEEENSB_INSC_IfEEEEiNS9_4plusIvEEiEEDaPvRmT3_T4_T5_mT6_P12ihipStream_tbENKUlT_T0_E_clISt17integral_constantIbLb0EESW_EEDaSR_SS_EUlSR_E0_NS1_11comp_targetILNS1_3genE10ELNS1_11target_archE1200ELNS1_3gpuE4ELNS1_3repE0EEENS1_30default_config_static_selectorELNS0_4arch9wavefront6targetE1EEEvT1_, .Lfunc_end6175-_ZN7rocprim17ROCPRIM_400000_NS6detail17trampoline_kernelINS0_14default_configENS1_20scan_config_selectorIiEEZZNS1_9scan_implILNS1_25lookback_scan_determinismE0ELb1ELb1ES3_N6thrust23THRUST_200600_302600_NS6detail15normal_iteratorINS9_10device_ptrIjEEEENSB_INSC_IfEEEEiNS9_4plusIvEEiEEDaPvRmT3_T4_T5_mT6_P12ihipStream_tbENKUlT_T0_E_clISt17integral_constantIbLb0EESW_EEDaSR_SS_EUlSR_E0_NS1_11comp_targetILNS1_3genE10ELNS1_11target_archE1200ELNS1_3gpuE4ELNS1_3repE0EEENS1_30default_config_static_selectorELNS0_4arch9wavefront6targetE1EEEvT1_
                                        ; -- End function
	.section	.AMDGPU.csdata,"",@progbits
; Kernel info:
; codeLenInByte = 0
; NumSgprs: 4
; NumVgprs: 0
; NumAgprs: 0
; TotalNumVgprs: 0
; ScratchSize: 0
; MemoryBound: 0
; FloatMode: 240
; IeeeMode: 1
; LDSByteSize: 0 bytes/workgroup (compile time only)
; SGPRBlocks: 0
; VGPRBlocks: 0
; NumSGPRsForWavesPerEU: 4
; NumVGPRsForWavesPerEU: 1
; AccumOffset: 4
; Occupancy: 8
; WaveLimiterHint : 0
; COMPUTE_PGM_RSRC2:SCRATCH_EN: 0
; COMPUTE_PGM_RSRC2:USER_SGPR: 6
; COMPUTE_PGM_RSRC2:TRAP_HANDLER: 0
; COMPUTE_PGM_RSRC2:TGID_X_EN: 1
; COMPUTE_PGM_RSRC2:TGID_Y_EN: 0
; COMPUTE_PGM_RSRC2:TGID_Z_EN: 0
; COMPUTE_PGM_RSRC2:TIDIG_COMP_CNT: 0
; COMPUTE_PGM_RSRC3_GFX90A:ACCUM_OFFSET: 0
; COMPUTE_PGM_RSRC3_GFX90A:TG_SPLIT: 0
	.section	.text._ZN7rocprim17ROCPRIM_400000_NS6detail17trampoline_kernelINS0_14default_configENS1_20scan_config_selectorIiEEZZNS1_9scan_implILNS1_25lookback_scan_determinismE0ELb1ELb1ES3_N6thrust23THRUST_200600_302600_NS6detail15normal_iteratorINS9_10device_ptrIjEEEENSB_INSC_IfEEEEiNS9_4plusIvEEiEEDaPvRmT3_T4_T5_mT6_P12ihipStream_tbENKUlT_T0_E_clISt17integral_constantIbLb0EESW_EEDaSR_SS_EUlSR_E0_NS1_11comp_targetILNS1_3genE9ELNS1_11target_archE1100ELNS1_3gpuE3ELNS1_3repE0EEENS1_30default_config_static_selectorELNS0_4arch9wavefront6targetE1EEEvT1_,"axG",@progbits,_ZN7rocprim17ROCPRIM_400000_NS6detail17trampoline_kernelINS0_14default_configENS1_20scan_config_selectorIiEEZZNS1_9scan_implILNS1_25lookback_scan_determinismE0ELb1ELb1ES3_N6thrust23THRUST_200600_302600_NS6detail15normal_iteratorINS9_10device_ptrIjEEEENSB_INSC_IfEEEEiNS9_4plusIvEEiEEDaPvRmT3_T4_T5_mT6_P12ihipStream_tbENKUlT_T0_E_clISt17integral_constantIbLb0EESW_EEDaSR_SS_EUlSR_E0_NS1_11comp_targetILNS1_3genE9ELNS1_11target_archE1100ELNS1_3gpuE3ELNS1_3repE0EEENS1_30default_config_static_selectorELNS0_4arch9wavefront6targetE1EEEvT1_,comdat
	.protected	_ZN7rocprim17ROCPRIM_400000_NS6detail17trampoline_kernelINS0_14default_configENS1_20scan_config_selectorIiEEZZNS1_9scan_implILNS1_25lookback_scan_determinismE0ELb1ELb1ES3_N6thrust23THRUST_200600_302600_NS6detail15normal_iteratorINS9_10device_ptrIjEEEENSB_INSC_IfEEEEiNS9_4plusIvEEiEEDaPvRmT3_T4_T5_mT6_P12ihipStream_tbENKUlT_T0_E_clISt17integral_constantIbLb0EESW_EEDaSR_SS_EUlSR_E0_NS1_11comp_targetILNS1_3genE9ELNS1_11target_archE1100ELNS1_3gpuE3ELNS1_3repE0EEENS1_30default_config_static_selectorELNS0_4arch9wavefront6targetE1EEEvT1_ ; -- Begin function _ZN7rocprim17ROCPRIM_400000_NS6detail17trampoline_kernelINS0_14default_configENS1_20scan_config_selectorIiEEZZNS1_9scan_implILNS1_25lookback_scan_determinismE0ELb1ELb1ES3_N6thrust23THRUST_200600_302600_NS6detail15normal_iteratorINS9_10device_ptrIjEEEENSB_INSC_IfEEEEiNS9_4plusIvEEiEEDaPvRmT3_T4_T5_mT6_P12ihipStream_tbENKUlT_T0_E_clISt17integral_constantIbLb0EESW_EEDaSR_SS_EUlSR_E0_NS1_11comp_targetILNS1_3genE9ELNS1_11target_archE1100ELNS1_3gpuE3ELNS1_3repE0EEENS1_30default_config_static_selectorELNS0_4arch9wavefront6targetE1EEEvT1_
	.globl	_ZN7rocprim17ROCPRIM_400000_NS6detail17trampoline_kernelINS0_14default_configENS1_20scan_config_selectorIiEEZZNS1_9scan_implILNS1_25lookback_scan_determinismE0ELb1ELb1ES3_N6thrust23THRUST_200600_302600_NS6detail15normal_iteratorINS9_10device_ptrIjEEEENSB_INSC_IfEEEEiNS9_4plusIvEEiEEDaPvRmT3_T4_T5_mT6_P12ihipStream_tbENKUlT_T0_E_clISt17integral_constantIbLb0EESW_EEDaSR_SS_EUlSR_E0_NS1_11comp_targetILNS1_3genE9ELNS1_11target_archE1100ELNS1_3gpuE3ELNS1_3repE0EEENS1_30default_config_static_selectorELNS0_4arch9wavefront6targetE1EEEvT1_
	.p2align	8
	.type	_ZN7rocprim17ROCPRIM_400000_NS6detail17trampoline_kernelINS0_14default_configENS1_20scan_config_selectorIiEEZZNS1_9scan_implILNS1_25lookback_scan_determinismE0ELb1ELb1ES3_N6thrust23THRUST_200600_302600_NS6detail15normal_iteratorINS9_10device_ptrIjEEEENSB_INSC_IfEEEEiNS9_4plusIvEEiEEDaPvRmT3_T4_T5_mT6_P12ihipStream_tbENKUlT_T0_E_clISt17integral_constantIbLb0EESW_EEDaSR_SS_EUlSR_E0_NS1_11comp_targetILNS1_3genE9ELNS1_11target_archE1100ELNS1_3gpuE3ELNS1_3repE0EEENS1_30default_config_static_selectorELNS0_4arch9wavefront6targetE1EEEvT1_,@function
_ZN7rocprim17ROCPRIM_400000_NS6detail17trampoline_kernelINS0_14default_configENS1_20scan_config_selectorIiEEZZNS1_9scan_implILNS1_25lookback_scan_determinismE0ELb1ELb1ES3_N6thrust23THRUST_200600_302600_NS6detail15normal_iteratorINS9_10device_ptrIjEEEENSB_INSC_IfEEEEiNS9_4plusIvEEiEEDaPvRmT3_T4_T5_mT6_P12ihipStream_tbENKUlT_T0_E_clISt17integral_constantIbLb0EESW_EEDaSR_SS_EUlSR_E0_NS1_11comp_targetILNS1_3genE9ELNS1_11target_archE1100ELNS1_3gpuE3ELNS1_3repE0EEENS1_30default_config_static_selectorELNS0_4arch9wavefront6targetE1EEEvT1_: ; @_ZN7rocprim17ROCPRIM_400000_NS6detail17trampoline_kernelINS0_14default_configENS1_20scan_config_selectorIiEEZZNS1_9scan_implILNS1_25lookback_scan_determinismE0ELb1ELb1ES3_N6thrust23THRUST_200600_302600_NS6detail15normal_iteratorINS9_10device_ptrIjEEEENSB_INSC_IfEEEEiNS9_4plusIvEEiEEDaPvRmT3_T4_T5_mT6_P12ihipStream_tbENKUlT_T0_E_clISt17integral_constantIbLb0EESW_EEDaSR_SS_EUlSR_E0_NS1_11comp_targetILNS1_3genE9ELNS1_11target_archE1100ELNS1_3gpuE3ELNS1_3repE0EEENS1_30default_config_static_selectorELNS0_4arch9wavefront6targetE1EEEvT1_
; %bb.0:
	.section	.rodata,"a",@progbits
	.p2align	6, 0x0
	.amdhsa_kernel _ZN7rocprim17ROCPRIM_400000_NS6detail17trampoline_kernelINS0_14default_configENS1_20scan_config_selectorIiEEZZNS1_9scan_implILNS1_25lookback_scan_determinismE0ELb1ELb1ES3_N6thrust23THRUST_200600_302600_NS6detail15normal_iteratorINS9_10device_ptrIjEEEENSB_INSC_IfEEEEiNS9_4plusIvEEiEEDaPvRmT3_T4_T5_mT6_P12ihipStream_tbENKUlT_T0_E_clISt17integral_constantIbLb0EESW_EEDaSR_SS_EUlSR_E0_NS1_11comp_targetILNS1_3genE9ELNS1_11target_archE1100ELNS1_3gpuE3ELNS1_3repE0EEENS1_30default_config_static_selectorELNS0_4arch9wavefront6targetE1EEEvT1_
		.amdhsa_group_segment_fixed_size 0
		.amdhsa_private_segment_fixed_size 0
		.amdhsa_kernarg_size 32
		.amdhsa_user_sgpr_count 6
		.amdhsa_user_sgpr_private_segment_buffer 1
		.amdhsa_user_sgpr_dispatch_ptr 0
		.amdhsa_user_sgpr_queue_ptr 0
		.amdhsa_user_sgpr_kernarg_segment_ptr 1
		.amdhsa_user_sgpr_dispatch_id 0
		.amdhsa_user_sgpr_flat_scratch_init 0
		.amdhsa_user_sgpr_kernarg_preload_length 0
		.amdhsa_user_sgpr_kernarg_preload_offset 0
		.amdhsa_user_sgpr_private_segment_size 0
		.amdhsa_uses_dynamic_stack 0
		.amdhsa_system_sgpr_private_segment_wavefront_offset 0
		.amdhsa_system_sgpr_workgroup_id_x 1
		.amdhsa_system_sgpr_workgroup_id_y 0
		.amdhsa_system_sgpr_workgroup_id_z 0
		.amdhsa_system_sgpr_workgroup_info 0
		.amdhsa_system_vgpr_workitem_id 0
		.amdhsa_next_free_vgpr 1
		.amdhsa_next_free_sgpr 0
		.amdhsa_accum_offset 4
		.amdhsa_reserve_vcc 0
		.amdhsa_reserve_flat_scratch 0
		.amdhsa_float_round_mode_32 0
		.amdhsa_float_round_mode_16_64 0
		.amdhsa_float_denorm_mode_32 3
		.amdhsa_float_denorm_mode_16_64 3
		.amdhsa_dx10_clamp 1
		.amdhsa_ieee_mode 1
		.amdhsa_fp16_overflow 0
		.amdhsa_tg_split 0
		.amdhsa_exception_fp_ieee_invalid_op 0
		.amdhsa_exception_fp_denorm_src 0
		.amdhsa_exception_fp_ieee_div_zero 0
		.amdhsa_exception_fp_ieee_overflow 0
		.amdhsa_exception_fp_ieee_underflow 0
		.amdhsa_exception_fp_ieee_inexact 0
		.amdhsa_exception_int_div_zero 0
	.end_amdhsa_kernel
	.section	.text._ZN7rocprim17ROCPRIM_400000_NS6detail17trampoline_kernelINS0_14default_configENS1_20scan_config_selectorIiEEZZNS1_9scan_implILNS1_25lookback_scan_determinismE0ELb1ELb1ES3_N6thrust23THRUST_200600_302600_NS6detail15normal_iteratorINS9_10device_ptrIjEEEENSB_INSC_IfEEEEiNS9_4plusIvEEiEEDaPvRmT3_T4_T5_mT6_P12ihipStream_tbENKUlT_T0_E_clISt17integral_constantIbLb0EESW_EEDaSR_SS_EUlSR_E0_NS1_11comp_targetILNS1_3genE9ELNS1_11target_archE1100ELNS1_3gpuE3ELNS1_3repE0EEENS1_30default_config_static_selectorELNS0_4arch9wavefront6targetE1EEEvT1_,"axG",@progbits,_ZN7rocprim17ROCPRIM_400000_NS6detail17trampoline_kernelINS0_14default_configENS1_20scan_config_selectorIiEEZZNS1_9scan_implILNS1_25lookback_scan_determinismE0ELb1ELb1ES3_N6thrust23THRUST_200600_302600_NS6detail15normal_iteratorINS9_10device_ptrIjEEEENSB_INSC_IfEEEEiNS9_4plusIvEEiEEDaPvRmT3_T4_T5_mT6_P12ihipStream_tbENKUlT_T0_E_clISt17integral_constantIbLb0EESW_EEDaSR_SS_EUlSR_E0_NS1_11comp_targetILNS1_3genE9ELNS1_11target_archE1100ELNS1_3gpuE3ELNS1_3repE0EEENS1_30default_config_static_selectorELNS0_4arch9wavefront6targetE1EEEvT1_,comdat
.Lfunc_end6176:
	.size	_ZN7rocprim17ROCPRIM_400000_NS6detail17trampoline_kernelINS0_14default_configENS1_20scan_config_selectorIiEEZZNS1_9scan_implILNS1_25lookback_scan_determinismE0ELb1ELb1ES3_N6thrust23THRUST_200600_302600_NS6detail15normal_iteratorINS9_10device_ptrIjEEEENSB_INSC_IfEEEEiNS9_4plusIvEEiEEDaPvRmT3_T4_T5_mT6_P12ihipStream_tbENKUlT_T0_E_clISt17integral_constantIbLb0EESW_EEDaSR_SS_EUlSR_E0_NS1_11comp_targetILNS1_3genE9ELNS1_11target_archE1100ELNS1_3gpuE3ELNS1_3repE0EEENS1_30default_config_static_selectorELNS0_4arch9wavefront6targetE1EEEvT1_, .Lfunc_end6176-_ZN7rocprim17ROCPRIM_400000_NS6detail17trampoline_kernelINS0_14default_configENS1_20scan_config_selectorIiEEZZNS1_9scan_implILNS1_25lookback_scan_determinismE0ELb1ELb1ES3_N6thrust23THRUST_200600_302600_NS6detail15normal_iteratorINS9_10device_ptrIjEEEENSB_INSC_IfEEEEiNS9_4plusIvEEiEEDaPvRmT3_T4_T5_mT6_P12ihipStream_tbENKUlT_T0_E_clISt17integral_constantIbLb0EESW_EEDaSR_SS_EUlSR_E0_NS1_11comp_targetILNS1_3genE9ELNS1_11target_archE1100ELNS1_3gpuE3ELNS1_3repE0EEENS1_30default_config_static_selectorELNS0_4arch9wavefront6targetE1EEEvT1_
                                        ; -- End function
	.section	.AMDGPU.csdata,"",@progbits
; Kernel info:
; codeLenInByte = 0
; NumSgprs: 4
; NumVgprs: 0
; NumAgprs: 0
; TotalNumVgprs: 0
; ScratchSize: 0
; MemoryBound: 0
; FloatMode: 240
; IeeeMode: 1
; LDSByteSize: 0 bytes/workgroup (compile time only)
; SGPRBlocks: 0
; VGPRBlocks: 0
; NumSGPRsForWavesPerEU: 4
; NumVGPRsForWavesPerEU: 1
; AccumOffset: 4
; Occupancy: 8
; WaveLimiterHint : 0
; COMPUTE_PGM_RSRC2:SCRATCH_EN: 0
; COMPUTE_PGM_RSRC2:USER_SGPR: 6
; COMPUTE_PGM_RSRC2:TRAP_HANDLER: 0
; COMPUTE_PGM_RSRC2:TGID_X_EN: 1
; COMPUTE_PGM_RSRC2:TGID_Y_EN: 0
; COMPUTE_PGM_RSRC2:TGID_Z_EN: 0
; COMPUTE_PGM_RSRC2:TIDIG_COMP_CNT: 0
; COMPUTE_PGM_RSRC3_GFX90A:ACCUM_OFFSET: 0
; COMPUTE_PGM_RSRC3_GFX90A:TG_SPLIT: 0
	.section	.text._ZN7rocprim17ROCPRIM_400000_NS6detail17trampoline_kernelINS0_14default_configENS1_20scan_config_selectorIiEEZZNS1_9scan_implILNS1_25lookback_scan_determinismE0ELb1ELb1ES3_N6thrust23THRUST_200600_302600_NS6detail15normal_iteratorINS9_10device_ptrIjEEEENSB_INSC_IfEEEEiNS9_4plusIvEEiEEDaPvRmT3_T4_T5_mT6_P12ihipStream_tbENKUlT_T0_E_clISt17integral_constantIbLb0EESW_EEDaSR_SS_EUlSR_E0_NS1_11comp_targetILNS1_3genE8ELNS1_11target_archE1030ELNS1_3gpuE2ELNS1_3repE0EEENS1_30default_config_static_selectorELNS0_4arch9wavefront6targetE1EEEvT1_,"axG",@progbits,_ZN7rocprim17ROCPRIM_400000_NS6detail17trampoline_kernelINS0_14default_configENS1_20scan_config_selectorIiEEZZNS1_9scan_implILNS1_25lookback_scan_determinismE0ELb1ELb1ES3_N6thrust23THRUST_200600_302600_NS6detail15normal_iteratorINS9_10device_ptrIjEEEENSB_INSC_IfEEEEiNS9_4plusIvEEiEEDaPvRmT3_T4_T5_mT6_P12ihipStream_tbENKUlT_T0_E_clISt17integral_constantIbLb0EESW_EEDaSR_SS_EUlSR_E0_NS1_11comp_targetILNS1_3genE8ELNS1_11target_archE1030ELNS1_3gpuE2ELNS1_3repE0EEENS1_30default_config_static_selectorELNS0_4arch9wavefront6targetE1EEEvT1_,comdat
	.protected	_ZN7rocprim17ROCPRIM_400000_NS6detail17trampoline_kernelINS0_14default_configENS1_20scan_config_selectorIiEEZZNS1_9scan_implILNS1_25lookback_scan_determinismE0ELb1ELb1ES3_N6thrust23THRUST_200600_302600_NS6detail15normal_iteratorINS9_10device_ptrIjEEEENSB_INSC_IfEEEEiNS9_4plusIvEEiEEDaPvRmT3_T4_T5_mT6_P12ihipStream_tbENKUlT_T0_E_clISt17integral_constantIbLb0EESW_EEDaSR_SS_EUlSR_E0_NS1_11comp_targetILNS1_3genE8ELNS1_11target_archE1030ELNS1_3gpuE2ELNS1_3repE0EEENS1_30default_config_static_selectorELNS0_4arch9wavefront6targetE1EEEvT1_ ; -- Begin function _ZN7rocprim17ROCPRIM_400000_NS6detail17trampoline_kernelINS0_14default_configENS1_20scan_config_selectorIiEEZZNS1_9scan_implILNS1_25lookback_scan_determinismE0ELb1ELb1ES3_N6thrust23THRUST_200600_302600_NS6detail15normal_iteratorINS9_10device_ptrIjEEEENSB_INSC_IfEEEEiNS9_4plusIvEEiEEDaPvRmT3_T4_T5_mT6_P12ihipStream_tbENKUlT_T0_E_clISt17integral_constantIbLb0EESW_EEDaSR_SS_EUlSR_E0_NS1_11comp_targetILNS1_3genE8ELNS1_11target_archE1030ELNS1_3gpuE2ELNS1_3repE0EEENS1_30default_config_static_selectorELNS0_4arch9wavefront6targetE1EEEvT1_
	.globl	_ZN7rocprim17ROCPRIM_400000_NS6detail17trampoline_kernelINS0_14default_configENS1_20scan_config_selectorIiEEZZNS1_9scan_implILNS1_25lookback_scan_determinismE0ELb1ELb1ES3_N6thrust23THRUST_200600_302600_NS6detail15normal_iteratorINS9_10device_ptrIjEEEENSB_INSC_IfEEEEiNS9_4plusIvEEiEEDaPvRmT3_T4_T5_mT6_P12ihipStream_tbENKUlT_T0_E_clISt17integral_constantIbLb0EESW_EEDaSR_SS_EUlSR_E0_NS1_11comp_targetILNS1_3genE8ELNS1_11target_archE1030ELNS1_3gpuE2ELNS1_3repE0EEENS1_30default_config_static_selectorELNS0_4arch9wavefront6targetE1EEEvT1_
	.p2align	8
	.type	_ZN7rocprim17ROCPRIM_400000_NS6detail17trampoline_kernelINS0_14default_configENS1_20scan_config_selectorIiEEZZNS1_9scan_implILNS1_25lookback_scan_determinismE0ELb1ELb1ES3_N6thrust23THRUST_200600_302600_NS6detail15normal_iteratorINS9_10device_ptrIjEEEENSB_INSC_IfEEEEiNS9_4plusIvEEiEEDaPvRmT3_T4_T5_mT6_P12ihipStream_tbENKUlT_T0_E_clISt17integral_constantIbLb0EESW_EEDaSR_SS_EUlSR_E0_NS1_11comp_targetILNS1_3genE8ELNS1_11target_archE1030ELNS1_3gpuE2ELNS1_3repE0EEENS1_30default_config_static_selectorELNS0_4arch9wavefront6targetE1EEEvT1_,@function
_ZN7rocprim17ROCPRIM_400000_NS6detail17trampoline_kernelINS0_14default_configENS1_20scan_config_selectorIiEEZZNS1_9scan_implILNS1_25lookback_scan_determinismE0ELb1ELb1ES3_N6thrust23THRUST_200600_302600_NS6detail15normal_iteratorINS9_10device_ptrIjEEEENSB_INSC_IfEEEEiNS9_4plusIvEEiEEDaPvRmT3_T4_T5_mT6_P12ihipStream_tbENKUlT_T0_E_clISt17integral_constantIbLb0EESW_EEDaSR_SS_EUlSR_E0_NS1_11comp_targetILNS1_3genE8ELNS1_11target_archE1030ELNS1_3gpuE2ELNS1_3repE0EEENS1_30default_config_static_selectorELNS0_4arch9wavefront6targetE1EEEvT1_: ; @_ZN7rocprim17ROCPRIM_400000_NS6detail17trampoline_kernelINS0_14default_configENS1_20scan_config_selectorIiEEZZNS1_9scan_implILNS1_25lookback_scan_determinismE0ELb1ELb1ES3_N6thrust23THRUST_200600_302600_NS6detail15normal_iteratorINS9_10device_ptrIjEEEENSB_INSC_IfEEEEiNS9_4plusIvEEiEEDaPvRmT3_T4_T5_mT6_P12ihipStream_tbENKUlT_T0_E_clISt17integral_constantIbLb0EESW_EEDaSR_SS_EUlSR_E0_NS1_11comp_targetILNS1_3genE8ELNS1_11target_archE1030ELNS1_3gpuE2ELNS1_3repE0EEENS1_30default_config_static_selectorELNS0_4arch9wavefront6targetE1EEEvT1_
; %bb.0:
	.section	.rodata,"a",@progbits
	.p2align	6, 0x0
	.amdhsa_kernel _ZN7rocprim17ROCPRIM_400000_NS6detail17trampoline_kernelINS0_14default_configENS1_20scan_config_selectorIiEEZZNS1_9scan_implILNS1_25lookback_scan_determinismE0ELb1ELb1ES3_N6thrust23THRUST_200600_302600_NS6detail15normal_iteratorINS9_10device_ptrIjEEEENSB_INSC_IfEEEEiNS9_4plusIvEEiEEDaPvRmT3_T4_T5_mT6_P12ihipStream_tbENKUlT_T0_E_clISt17integral_constantIbLb0EESW_EEDaSR_SS_EUlSR_E0_NS1_11comp_targetILNS1_3genE8ELNS1_11target_archE1030ELNS1_3gpuE2ELNS1_3repE0EEENS1_30default_config_static_selectorELNS0_4arch9wavefront6targetE1EEEvT1_
		.amdhsa_group_segment_fixed_size 0
		.amdhsa_private_segment_fixed_size 0
		.amdhsa_kernarg_size 32
		.amdhsa_user_sgpr_count 6
		.amdhsa_user_sgpr_private_segment_buffer 1
		.amdhsa_user_sgpr_dispatch_ptr 0
		.amdhsa_user_sgpr_queue_ptr 0
		.amdhsa_user_sgpr_kernarg_segment_ptr 1
		.amdhsa_user_sgpr_dispatch_id 0
		.amdhsa_user_sgpr_flat_scratch_init 0
		.amdhsa_user_sgpr_kernarg_preload_length 0
		.amdhsa_user_sgpr_kernarg_preload_offset 0
		.amdhsa_user_sgpr_private_segment_size 0
		.amdhsa_uses_dynamic_stack 0
		.amdhsa_system_sgpr_private_segment_wavefront_offset 0
		.amdhsa_system_sgpr_workgroup_id_x 1
		.amdhsa_system_sgpr_workgroup_id_y 0
		.amdhsa_system_sgpr_workgroup_id_z 0
		.amdhsa_system_sgpr_workgroup_info 0
		.amdhsa_system_vgpr_workitem_id 0
		.amdhsa_next_free_vgpr 1
		.amdhsa_next_free_sgpr 0
		.amdhsa_accum_offset 4
		.amdhsa_reserve_vcc 0
		.amdhsa_reserve_flat_scratch 0
		.amdhsa_float_round_mode_32 0
		.amdhsa_float_round_mode_16_64 0
		.amdhsa_float_denorm_mode_32 3
		.amdhsa_float_denorm_mode_16_64 3
		.amdhsa_dx10_clamp 1
		.amdhsa_ieee_mode 1
		.amdhsa_fp16_overflow 0
		.amdhsa_tg_split 0
		.amdhsa_exception_fp_ieee_invalid_op 0
		.amdhsa_exception_fp_denorm_src 0
		.amdhsa_exception_fp_ieee_div_zero 0
		.amdhsa_exception_fp_ieee_overflow 0
		.amdhsa_exception_fp_ieee_underflow 0
		.amdhsa_exception_fp_ieee_inexact 0
		.amdhsa_exception_int_div_zero 0
	.end_amdhsa_kernel
	.section	.text._ZN7rocprim17ROCPRIM_400000_NS6detail17trampoline_kernelINS0_14default_configENS1_20scan_config_selectorIiEEZZNS1_9scan_implILNS1_25lookback_scan_determinismE0ELb1ELb1ES3_N6thrust23THRUST_200600_302600_NS6detail15normal_iteratorINS9_10device_ptrIjEEEENSB_INSC_IfEEEEiNS9_4plusIvEEiEEDaPvRmT3_T4_T5_mT6_P12ihipStream_tbENKUlT_T0_E_clISt17integral_constantIbLb0EESW_EEDaSR_SS_EUlSR_E0_NS1_11comp_targetILNS1_3genE8ELNS1_11target_archE1030ELNS1_3gpuE2ELNS1_3repE0EEENS1_30default_config_static_selectorELNS0_4arch9wavefront6targetE1EEEvT1_,"axG",@progbits,_ZN7rocprim17ROCPRIM_400000_NS6detail17trampoline_kernelINS0_14default_configENS1_20scan_config_selectorIiEEZZNS1_9scan_implILNS1_25lookback_scan_determinismE0ELb1ELb1ES3_N6thrust23THRUST_200600_302600_NS6detail15normal_iteratorINS9_10device_ptrIjEEEENSB_INSC_IfEEEEiNS9_4plusIvEEiEEDaPvRmT3_T4_T5_mT6_P12ihipStream_tbENKUlT_T0_E_clISt17integral_constantIbLb0EESW_EEDaSR_SS_EUlSR_E0_NS1_11comp_targetILNS1_3genE8ELNS1_11target_archE1030ELNS1_3gpuE2ELNS1_3repE0EEENS1_30default_config_static_selectorELNS0_4arch9wavefront6targetE1EEEvT1_,comdat
.Lfunc_end6177:
	.size	_ZN7rocprim17ROCPRIM_400000_NS6detail17trampoline_kernelINS0_14default_configENS1_20scan_config_selectorIiEEZZNS1_9scan_implILNS1_25lookback_scan_determinismE0ELb1ELb1ES3_N6thrust23THRUST_200600_302600_NS6detail15normal_iteratorINS9_10device_ptrIjEEEENSB_INSC_IfEEEEiNS9_4plusIvEEiEEDaPvRmT3_T4_T5_mT6_P12ihipStream_tbENKUlT_T0_E_clISt17integral_constantIbLb0EESW_EEDaSR_SS_EUlSR_E0_NS1_11comp_targetILNS1_3genE8ELNS1_11target_archE1030ELNS1_3gpuE2ELNS1_3repE0EEENS1_30default_config_static_selectorELNS0_4arch9wavefront6targetE1EEEvT1_, .Lfunc_end6177-_ZN7rocprim17ROCPRIM_400000_NS6detail17trampoline_kernelINS0_14default_configENS1_20scan_config_selectorIiEEZZNS1_9scan_implILNS1_25lookback_scan_determinismE0ELb1ELb1ES3_N6thrust23THRUST_200600_302600_NS6detail15normal_iteratorINS9_10device_ptrIjEEEENSB_INSC_IfEEEEiNS9_4plusIvEEiEEDaPvRmT3_T4_T5_mT6_P12ihipStream_tbENKUlT_T0_E_clISt17integral_constantIbLb0EESW_EEDaSR_SS_EUlSR_E0_NS1_11comp_targetILNS1_3genE8ELNS1_11target_archE1030ELNS1_3gpuE2ELNS1_3repE0EEENS1_30default_config_static_selectorELNS0_4arch9wavefront6targetE1EEEvT1_
                                        ; -- End function
	.section	.AMDGPU.csdata,"",@progbits
; Kernel info:
; codeLenInByte = 0
; NumSgprs: 4
; NumVgprs: 0
; NumAgprs: 0
; TotalNumVgprs: 0
; ScratchSize: 0
; MemoryBound: 0
; FloatMode: 240
; IeeeMode: 1
; LDSByteSize: 0 bytes/workgroup (compile time only)
; SGPRBlocks: 0
; VGPRBlocks: 0
; NumSGPRsForWavesPerEU: 4
; NumVGPRsForWavesPerEU: 1
; AccumOffset: 4
; Occupancy: 8
; WaveLimiterHint : 0
; COMPUTE_PGM_RSRC2:SCRATCH_EN: 0
; COMPUTE_PGM_RSRC2:USER_SGPR: 6
; COMPUTE_PGM_RSRC2:TRAP_HANDLER: 0
; COMPUTE_PGM_RSRC2:TGID_X_EN: 1
; COMPUTE_PGM_RSRC2:TGID_Y_EN: 0
; COMPUTE_PGM_RSRC2:TGID_Z_EN: 0
; COMPUTE_PGM_RSRC2:TIDIG_COMP_CNT: 0
; COMPUTE_PGM_RSRC3_GFX90A:ACCUM_OFFSET: 0
; COMPUTE_PGM_RSRC3_GFX90A:TG_SPLIT: 0
	.section	.text._ZN7rocprim17ROCPRIM_400000_NS6detail17trampoline_kernelINS0_14default_configENS1_20scan_config_selectorIiEEZZNS1_9scan_implILNS1_25lookback_scan_determinismE0ELb1ELb1ES3_N6thrust23THRUST_200600_302600_NS6detail15normal_iteratorINS9_10device_ptrIjEEEENSB_INSC_IfEEEEiNS9_4plusIvEEiEEDaPvRmT3_T4_T5_mT6_P12ihipStream_tbENKUlT_T0_E_clISt17integral_constantIbLb1EESW_EEDaSR_SS_EUlSR_E_NS1_11comp_targetILNS1_3genE0ELNS1_11target_archE4294967295ELNS1_3gpuE0ELNS1_3repE0EEENS1_30default_config_static_selectorELNS0_4arch9wavefront6targetE1EEEvT1_,"axG",@progbits,_ZN7rocprim17ROCPRIM_400000_NS6detail17trampoline_kernelINS0_14default_configENS1_20scan_config_selectorIiEEZZNS1_9scan_implILNS1_25lookback_scan_determinismE0ELb1ELb1ES3_N6thrust23THRUST_200600_302600_NS6detail15normal_iteratorINS9_10device_ptrIjEEEENSB_INSC_IfEEEEiNS9_4plusIvEEiEEDaPvRmT3_T4_T5_mT6_P12ihipStream_tbENKUlT_T0_E_clISt17integral_constantIbLb1EESW_EEDaSR_SS_EUlSR_E_NS1_11comp_targetILNS1_3genE0ELNS1_11target_archE4294967295ELNS1_3gpuE0ELNS1_3repE0EEENS1_30default_config_static_selectorELNS0_4arch9wavefront6targetE1EEEvT1_,comdat
	.protected	_ZN7rocprim17ROCPRIM_400000_NS6detail17trampoline_kernelINS0_14default_configENS1_20scan_config_selectorIiEEZZNS1_9scan_implILNS1_25lookback_scan_determinismE0ELb1ELb1ES3_N6thrust23THRUST_200600_302600_NS6detail15normal_iteratorINS9_10device_ptrIjEEEENSB_INSC_IfEEEEiNS9_4plusIvEEiEEDaPvRmT3_T4_T5_mT6_P12ihipStream_tbENKUlT_T0_E_clISt17integral_constantIbLb1EESW_EEDaSR_SS_EUlSR_E_NS1_11comp_targetILNS1_3genE0ELNS1_11target_archE4294967295ELNS1_3gpuE0ELNS1_3repE0EEENS1_30default_config_static_selectorELNS0_4arch9wavefront6targetE1EEEvT1_ ; -- Begin function _ZN7rocprim17ROCPRIM_400000_NS6detail17trampoline_kernelINS0_14default_configENS1_20scan_config_selectorIiEEZZNS1_9scan_implILNS1_25lookback_scan_determinismE0ELb1ELb1ES3_N6thrust23THRUST_200600_302600_NS6detail15normal_iteratorINS9_10device_ptrIjEEEENSB_INSC_IfEEEEiNS9_4plusIvEEiEEDaPvRmT3_T4_T5_mT6_P12ihipStream_tbENKUlT_T0_E_clISt17integral_constantIbLb1EESW_EEDaSR_SS_EUlSR_E_NS1_11comp_targetILNS1_3genE0ELNS1_11target_archE4294967295ELNS1_3gpuE0ELNS1_3repE0EEENS1_30default_config_static_selectorELNS0_4arch9wavefront6targetE1EEEvT1_
	.globl	_ZN7rocprim17ROCPRIM_400000_NS6detail17trampoline_kernelINS0_14default_configENS1_20scan_config_selectorIiEEZZNS1_9scan_implILNS1_25lookback_scan_determinismE0ELb1ELb1ES3_N6thrust23THRUST_200600_302600_NS6detail15normal_iteratorINS9_10device_ptrIjEEEENSB_INSC_IfEEEEiNS9_4plusIvEEiEEDaPvRmT3_T4_T5_mT6_P12ihipStream_tbENKUlT_T0_E_clISt17integral_constantIbLb1EESW_EEDaSR_SS_EUlSR_E_NS1_11comp_targetILNS1_3genE0ELNS1_11target_archE4294967295ELNS1_3gpuE0ELNS1_3repE0EEENS1_30default_config_static_selectorELNS0_4arch9wavefront6targetE1EEEvT1_
	.p2align	8
	.type	_ZN7rocprim17ROCPRIM_400000_NS6detail17trampoline_kernelINS0_14default_configENS1_20scan_config_selectorIiEEZZNS1_9scan_implILNS1_25lookback_scan_determinismE0ELb1ELb1ES3_N6thrust23THRUST_200600_302600_NS6detail15normal_iteratorINS9_10device_ptrIjEEEENSB_INSC_IfEEEEiNS9_4plusIvEEiEEDaPvRmT3_T4_T5_mT6_P12ihipStream_tbENKUlT_T0_E_clISt17integral_constantIbLb1EESW_EEDaSR_SS_EUlSR_E_NS1_11comp_targetILNS1_3genE0ELNS1_11target_archE4294967295ELNS1_3gpuE0ELNS1_3repE0EEENS1_30default_config_static_selectorELNS0_4arch9wavefront6targetE1EEEvT1_,@function
_ZN7rocprim17ROCPRIM_400000_NS6detail17trampoline_kernelINS0_14default_configENS1_20scan_config_selectorIiEEZZNS1_9scan_implILNS1_25lookback_scan_determinismE0ELb1ELb1ES3_N6thrust23THRUST_200600_302600_NS6detail15normal_iteratorINS9_10device_ptrIjEEEENSB_INSC_IfEEEEiNS9_4plusIvEEiEEDaPvRmT3_T4_T5_mT6_P12ihipStream_tbENKUlT_T0_E_clISt17integral_constantIbLb1EESW_EEDaSR_SS_EUlSR_E_NS1_11comp_targetILNS1_3genE0ELNS1_11target_archE4294967295ELNS1_3gpuE0ELNS1_3repE0EEENS1_30default_config_static_selectorELNS0_4arch9wavefront6targetE1EEEvT1_: ; @_ZN7rocprim17ROCPRIM_400000_NS6detail17trampoline_kernelINS0_14default_configENS1_20scan_config_selectorIiEEZZNS1_9scan_implILNS1_25lookback_scan_determinismE0ELb1ELb1ES3_N6thrust23THRUST_200600_302600_NS6detail15normal_iteratorINS9_10device_ptrIjEEEENSB_INSC_IfEEEEiNS9_4plusIvEEiEEDaPvRmT3_T4_T5_mT6_P12ihipStream_tbENKUlT_T0_E_clISt17integral_constantIbLb1EESW_EEDaSR_SS_EUlSR_E_NS1_11comp_targetILNS1_3genE0ELNS1_11target_archE4294967295ELNS1_3gpuE0ELNS1_3repE0EEENS1_30default_config_static_selectorELNS0_4arch9wavefront6targetE1EEEvT1_
; %bb.0:
	.section	.rodata,"a",@progbits
	.p2align	6, 0x0
	.amdhsa_kernel _ZN7rocprim17ROCPRIM_400000_NS6detail17trampoline_kernelINS0_14default_configENS1_20scan_config_selectorIiEEZZNS1_9scan_implILNS1_25lookback_scan_determinismE0ELb1ELb1ES3_N6thrust23THRUST_200600_302600_NS6detail15normal_iteratorINS9_10device_ptrIjEEEENSB_INSC_IfEEEEiNS9_4plusIvEEiEEDaPvRmT3_T4_T5_mT6_P12ihipStream_tbENKUlT_T0_E_clISt17integral_constantIbLb1EESW_EEDaSR_SS_EUlSR_E_NS1_11comp_targetILNS1_3genE0ELNS1_11target_archE4294967295ELNS1_3gpuE0ELNS1_3repE0EEENS1_30default_config_static_selectorELNS0_4arch9wavefront6targetE1EEEvT1_
		.amdhsa_group_segment_fixed_size 0
		.amdhsa_private_segment_fixed_size 0
		.amdhsa_kernarg_size 96
		.amdhsa_user_sgpr_count 6
		.amdhsa_user_sgpr_private_segment_buffer 1
		.amdhsa_user_sgpr_dispatch_ptr 0
		.amdhsa_user_sgpr_queue_ptr 0
		.amdhsa_user_sgpr_kernarg_segment_ptr 1
		.amdhsa_user_sgpr_dispatch_id 0
		.amdhsa_user_sgpr_flat_scratch_init 0
		.amdhsa_user_sgpr_kernarg_preload_length 0
		.amdhsa_user_sgpr_kernarg_preload_offset 0
		.amdhsa_user_sgpr_private_segment_size 0
		.amdhsa_uses_dynamic_stack 0
		.amdhsa_system_sgpr_private_segment_wavefront_offset 0
		.amdhsa_system_sgpr_workgroup_id_x 1
		.amdhsa_system_sgpr_workgroup_id_y 0
		.amdhsa_system_sgpr_workgroup_id_z 0
		.amdhsa_system_sgpr_workgroup_info 0
		.amdhsa_system_vgpr_workitem_id 0
		.amdhsa_next_free_vgpr 1
		.amdhsa_next_free_sgpr 0
		.amdhsa_accum_offset 4
		.amdhsa_reserve_vcc 0
		.amdhsa_reserve_flat_scratch 0
		.amdhsa_float_round_mode_32 0
		.amdhsa_float_round_mode_16_64 0
		.amdhsa_float_denorm_mode_32 3
		.amdhsa_float_denorm_mode_16_64 3
		.amdhsa_dx10_clamp 1
		.amdhsa_ieee_mode 1
		.amdhsa_fp16_overflow 0
		.amdhsa_tg_split 0
		.amdhsa_exception_fp_ieee_invalid_op 0
		.amdhsa_exception_fp_denorm_src 0
		.amdhsa_exception_fp_ieee_div_zero 0
		.amdhsa_exception_fp_ieee_overflow 0
		.amdhsa_exception_fp_ieee_underflow 0
		.amdhsa_exception_fp_ieee_inexact 0
		.amdhsa_exception_int_div_zero 0
	.end_amdhsa_kernel
	.section	.text._ZN7rocprim17ROCPRIM_400000_NS6detail17trampoline_kernelINS0_14default_configENS1_20scan_config_selectorIiEEZZNS1_9scan_implILNS1_25lookback_scan_determinismE0ELb1ELb1ES3_N6thrust23THRUST_200600_302600_NS6detail15normal_iteratorINS9_10device_ptrIjEEEENSB_INSC_IfEEEEiNS9_4plusIvEEiEEDaPvRmT3_T4_T5_mT6_P12ihipStream_tbENKUlT_T0_E_clISt17integral_constantIbLb1EESW_EEDaSR_SS_EUlSR_E_NS1_11comp_targetILNS1_3genE0ELNS1_11target_archE4294967295ELNS1_3gpuE0ELNS1_3repE0EEENS1_30default_config_static_selectorELNS0_4arch9wavefront6targetE1EEEvT1_,"axG",@progbits,_ZN7rocprim17ROCPRIM_400000_NS6detail17trampoline_kernelINS0_14default_configENS1_20scan_config_selectorIiEEZZNS1_9scan_implILNS1_25lookback_scan_determinismE0ELb1ELb1ES3_N6thrust23THRUST_200600_302600_NS6detail15normal_iteratorINS9_10device_ptrIjEEEENSB_INSC_IfEEEEiNS9_4plusIvEEiEEDaPvRmT3_T4_T5_mT6_P12ihipStream_tbENKUlT_T0_E_clISt17integral_constantIbLb1EESW_EEDaSR_SS_EUlSR_E_NS1_11comp_targetILNS1_3genE0ELNS1_11target_archE4294967295ELNS1_3gpuE0ELNS1_3repE0EEENS1_30default_config_static_selectorELNS0_4arch9wavefront6targetE1EEEvT1_,comdat
.Lfunc_end6178:
	.size	_ZN7rocprim17ROCPRIM_400000_NS6detail17trampoline_kernelINS0_14default_configENS1_20scan_config_selectorIiEEZZNS1_9scan_implILNS1_25lookback_scan_determinismE0ELb1ELb1ES3_N6thrust23THRUST_200600_302600_NS6detail15normal_iteratorINS9_10device_ptrIjEEEENSB_INSC_IfEEEEiNS9_4plusIvEEiEEDaPvRmT3_T4_T5_mT6_P12ihipStream_tbENKUlT_T0_E_clISt17integral_constantIbLb1EESW_EEDaSR_SS_EUlSR_E_NS1_11comp_targetILNS1_3genE0ELNS1_11target_archE4294967295ELNS1_3gpuE0ELNS1_3repE0EEENS1_30default_config_static_selectorELNS0_4arch9wavefront6targetE1EEEvT1_, .Lfunc_end6178-_ZN7rocprim17ROCPRIM_400000_NS6detail17trampoline_kernelINS0_14default_configENS1_20scan_config_selectorIiEEZZNS1_9scan_implILNS1_25lookback_scan_determinismE0ELb1ELb1ES3_N6thrust23THRUST_200600_302600_NS6detail15normal_iteratorINS9_10device_ptrIjEEEENSB_INSC_IfEEEEiNS9_4plusIvEEiEEDaPvRmT3_T4_T5_mT6_P12ihipStream_tbENKUlT_T0_E_clISt17integral_constantIbLb1EESW_EEDaSR_SS_EUlSR_E_NS1_11comp_targetILNS1_3genE0ELNS1_11target_archE4294967295ELNS1_3gpuE0ELNS1_3repE0EEENS1_30default_config_static_selectorELNS0_4arch9wavefront6targetE1EEEvT1_
                                        ; -- End function
	.section	.AMDGPU.csdata,"",@progbits
; Kernel info:
; codeLenInByte = 0
; NumSgprs: 4
; NumVgprs: 0
; NumAgprs: 0
; TotalNumVgprs: 0
; ScratchSize: 0
; MemoryBound: 0
; FloatMode: 240
; IeeeMode: 1
; LDSByteSize: 0 bytes/workgroup (compile time only)
; SGPRBlocks: 0
; VGPRBlocks: 0
; NumSGPRsForWavesPerEU: 4
; NumVGPRsForWavesPerEU: 1
; AccumOffset: 4
; Occupancy: 8
; WaveLimiterHint : 0
; COMPUTE_PGM_RSRC2:SCRATCH_EN: 0
; COMPUTE_PGM_RSRC2:USER_SGPR: 6
; COMPUTE_PGM_RSRC2:TRAP_HANDLER: 0
; COMPUTE_PGM_RSRC2:TGID_X_EN: 1
; COMPUTE_PGM_RSRC2:TGID_Y_EN: 0
; COMPUTE_PGM_RSRC2:TGID_Z_EN: 0
; COMPUTE_PGM_RSRC2:TIDIG_COMP_CNT: 0
; COMPUTE_PGM_RSRC3_GFX90A:ACCUM_OFFSET: 0
; COMPUTE_PGM_RSRC3_GFX90A:TG_SPLIT: 0
	.section	.text._ZN7rocprim17ROCPRIM_400000_NS6detail17trampoline_kernelINS0_14default_configENS1_20scan_config_selectorIiEEZZNS1_9scan_implILNS1_25lookback_scan_determinismE0ELb1ELb1ES3_N6thrust23THRUST_200600_302600_NS6detail15normal_iteratorINS9_10device_ptrIjEEEENSB_INSC_IfEEEEiNS9_4plusIvEEiEEDaPvRmT3_T4_T5_mT6_P12ihipStream_tbENKUlT_T0_E_clISt17integral_constantIbLb1EESW_EEDaSR_SS_EUlSR_E_NS1_11comp_targetILNS1_3genE5ELNS1_11target_archE942ELNS1_3gpuE9ELNS1_3repE0EEENS1_30default_config_static_selectorELNS0_4arch9wavefront6targetE1EEEvT1_,"axG",@progbits,_ZN7rocprim17ROCPRIM_400000_NS6detail17trampoline_kernelINS0_14default_configENS1_20scan_config_selectorIiEEZZNS1_9scan_implILNS1_25lookback_scan_determinismE0ELb1ELb1ES3_N6thrust23THRUST_200600_302600_NS6detail15normal_iteratorINS9_10device_ptrIjEEEENSB_INSC_IfEEEEiNS9_4plusIvEEiEEDaPvRmT3_T4_T5_mT6_P12ihipStream_tbENKUlT_T0_E_clISt17integral_constantIbLb1EESW_EEDaSR_SS_EUlSR_E_NS1_11comp_targetILNS1_3genE5ELNS1_11target_archE942ELNS1_3gpuE9ELNS1_3repE0EEENS1_30default_config_static_selectorELNS0_4arch9wavefront6targetE1EEEvT1_,comdat
	.protected	_ZN7rocprim17ROCPRIM_400000_NS6detail17trampoline_kernelINS0_14default_configENS1_20scan_config_selectorIiEEZZNS1_9scan_implILNS1_25lookback_scan_determinismE0ELb1ELb1ES3_N6thrust23THRUST_200600_302600_NS6detail15normal_iteratorINS9_10device_ptrIjEEEENSB_INSC_IfEEEEiNS9_4plusIvEEiEEDaPvRmT3_T4_T5_mT6_P12ihipStream_tbENKUlT_T0_E_clISt17integral_constantIbLb1EESW_EEDaSR_SS_EUlSR_E_NS1_11comp_targetILNS1_3genE5ELNS1_11target_archE942ELNS1_3gpuE9ELNS1_3repE0EEENS1_30default_config_static_selectorELNS0_4arch9wavefront6targetE1EEEvT1_ ; -- Begin function _ZN7rocprim17ROCPRIM_400000_NS6detail17trampoline_kernelINS0_14default_configENS1_20scan_config_selectorIiEEZZNS1_9scan_implILNS1_25lookback_scan_determinismE0ELb1ELb1ES3_N6thrust23THRUST_200600_302600_NS6detail15normal_iteratorINS9_10device_ptrIjEEEENSB_INSC_IfEEEEiNS9_4plusIvEEiEEDaPvRmT3_T4_T5_mT6_P12ihipStream_tbENKUlT_T0_E_clISt17integral_constantIbLb1EESW_EEDaSR_SS_EUlSR_E_NS1_11comp_targetILNS1_3genE5ELNS1_11target_archE942ELNS1_3gpuE9ELNS1_3repE0EEENS1_30default_config_static_selectorELNS0_4arch9wavefront6targetE1EEEvT1_
	.globl	_ZN7rocprim17ROCPRIM_400000_NS6detail17trampoline_kernelINS0_14default_configENS1_20scan_config_selectorIiEEZZNS1_9scan_implILNS1_25lookback_scan_determinismE0ELb1ELb1ES3_N6thrust23THRUST_200600_302600_NS6detail15normal_iteratorINS9_10device_ptrIjEEEENSB_INSC_IfEEEEiNS9_4plusIvEEiEEDaPvRmT3_T4_T5_mT6_P12ihipStream_tbENKUlT_T0_E_clISt17integral_constantIbLb1EESW_EEDaSR_SS_EUlSR_E_NS1_11comp_targetILNS1_3genE5ELNS1_11target_archE942ELNS1_3gpuE9ELNS1_3repE0EEENS1_30default_config_static_selectorELNS0_4arch9wavefront6targetE1EEEvT1_
	.p2align	8
	.type	_ZN7rocprim17ROCPRIM_400000_NS6detail17trampoline_kernelINS0_14default_configENS1_20scan_config_selectorIiEEZZNS1_9scan_implILNS1_25lookback_scan_determinismE0ELb1ELb1ES3_N6thrust23THRUST_200600_302600_NS6detail15normal_iteratorINS9_10device_ptrIjEEEENSB_INSC_IfEEEEiNS9_4plusIvEEiEEDaPvRmT3_T4_T5_mT6_P12ihipStream_tbENKUlT_T0_E_clISt17integral_constantIbLb1EESW_EEDaSR_SS_EUlSR_E_NS1_11comp_targetILNS1_3genE5ELNS1_11target_archE942ELNS1_3gpuE9ELNS1_3repE0EEENS1_30default_config_static_selectorELNS0_4arch9wavefront6targetE1EEEvT1_,@function
_ZN7rocprim17ROCPRIM_400000_NS6detail17trampoline_kernelINS0_14default_configENS1_20scan_config_selectorIiEEZZNS1_9scan_implILNS1_25lookback_scan_determinismE0ELb1ELb1ES3_N6thrust23THRUST_200600_302600_NS6detail15normal_iteratorINS9_10device_ptrIjEEEENSB_INSC_IfEEEEiNS9_4plusIvEEiEEDaPvRmT3_T4_T5_mT6_P12ihipStream_tbENKUlT_T0_E_clISt17integral_constantIbLb1EESW_EEDaSR_SS_EUlSR_E_NS1_11comp_targetILNS1_3genE5ELNS1_11target_archE942ELNS1_3gpuE9ELNS1_3repE0EEENS1_30default_config_static_selectorELNS0_4arch9wavefront6targetE1EEEvT1_: ; @_ZN7rocprim17ROCPRIM_400000_NS6detail17trampoline_kernelINS0_14default_configENS1_20scan_config_selectorIiEEZZNS1_9scan_implILNS1_25lookback_scan_determinismE0ELb1ELb1ES3_N6thrust23THRUST_200600_302600_NS6detail15normal_iteratorINS9_10device_ptrIjEEEENSB_INSC_IfEEEEiNS9_4plusIvEEiEEDaPvRmT3_T4_T5_mT6_P12ihipStream_tbENKUlT_T0_E_clISt17integral_constantIbLb1EESW_EEDaSR_SS_EUlSR_E_NS1_11comp_targetILNS1_3genE5ELNS1_11target_archE942ELNS1_3gpuE9ELNS1_3repE0EEENS1_30default_config_static_selectorELNS0_4arch9wavefront6targetE1EEEvT1_
; %bb.0:
	.section	.rodata,"a",@progbits
	.p2align	6, 0x0
	.amdhsa_kernel _ZN7rocprim17ROCPRIM_400000_NS6detail17trampoline_kernelINS0_14default_configENS1_20scan_config_selectorIiEEZZNS1_9scan_implILNS1_25lookback_scan_determinismE0ELb1ELb1ES3_N6thrust23THRUST_200600_302600_NS6detail15normal_iteratorINS9_10device_ptrIjEEEENSB_INSC_IfEEEEiNS9_4plusIvEEiEEDaPvRmT3_T4_T5_mT6_P12ihipStream_tbENKUlT_T0_E_clISt17integral_constantIbLb1EESW_EEDaSR_SS_EUlSR_E_NS1_11comp_targetILNS1_3genE5ELNS1_11target_archE942ELNS1_3gpuE9ELNS1_3repE0EEENS1_30default_config_static_selectorELNS0_4arch9wavefront6targetE1EEEvT1_
		.amdhsa_group_segment_fixed_size 0
		.amdhsa_private_segment_fixed_size 0
		.amdhsa_kernarg_size 96
		.amdhsa_user_sgpr_count 6
		.amdhsa_user_sgpr_private_segment_buffer 1
		.amdhsa_user_sgpr_dispatch_ptr 0
		.amdhsa_user_sgpr_queue_ptr 0
		.amdhsa_user_sgpr_kernarg_segment_ptr 1
		.amdhsa_user_sgpr_dispatch_id 0
		.amdhsa_user_sgpr_flat_scratch_init 0
		.amdhsa_user_sgpr_kernarg_preload_length 0
		.amdhsa_user_sgpr_kernarg_preload_offset 0
		.amdhsa_user_sgpr_private_segment_size 0
		.amdhsa_uses_dynamic_stack 0
		.amdhsa_system_sgpr_private_segment_wavefront_offset 0
		.amdhsa_system_sgpr_workgroup_id_x 1
		.amdhsa_system_sgpr_workgroup_id_y 0
		.amdhsa_system_sgpr_workgroup_id_z 0
		.amdhsa_system_sgpr_workgroup_info 0
		.amdhsa_system_vgpr_workitem_id 0
		.amdhsa_next_free_vgpr 1
		.amdhsa_next_free_sgpr 0
		.amdhsa_accum_offset 4
		.amdhsa_reserve_vcc 0
		.amdhsa_reserve_flat_scratch 0
		.amdhsa_float_round_mode_32 0
		.amdhsa_float_round_mode_16_64 0
		.amdhsa_float_denorm_mode_32 3
		.amdhsa_float_denorm_mode_16_64 3
		.amdhsa_dx10_clamp 1
		.amdhsa_ieee_mode 1
		.amdhsa_fp16_overflow 0
		.amdhsa_tg_split 0
		.amdhsa_exception_fp_ieee_invalid_op 0
		.amdhsa_exception_fp_denorm_src 0
		.amdhsa_exception_fp_ieee_div_zero 0
		.amdhsa_exception_fp_ieee_overflow 0
		.amdhsa_exception_fp_ieee_underflow 0
		.amdhsa_exception_fp_ieee_inexact 0
		.amdhsa_exception_int_div_zero 0
	.end_amdhsa_kernel
	.section	.text._ZN7rocprim17ROCPRIM_400000_NS6detail17trampoline_kernelINS0_14default_configENS1_20scan_config_selectorIiEEZZNS1_9scan_implILNS1_25lookback_scan_determinismE0ELb1ELb1ES3_N6thrust23THRUST_200600_302600_NS6detail15normal_iteratorINS9_10device_ptrIjEEEENSB_INSC_IfEEEEiNS9_4plusIvEEiEEDaPvRmT3_T4_T5_mT6_P12ihipStream_tbENKUlT_T0_E_clISt17integral_constantIbLb1EESW_EEDaSR_SS_EUlSR_E_NS1_11comp_targetILNS1_3genE5ELNS1_11target_archE942ELNS1_3gpuE9ELNS1_3repE0EEENS1_30default_config_static_selectorELNS0_4arch9wavefront6targetE1EEEvT1_,"axG",@progbits,_ZN7rocprim17ROCPRIM_400000_NS6detail17trampoline_kernelINS0_14default_configENS1_20scan_config_selectorIiEEZZNS1_9scan_implILNS1_25lookback_scan_determinismE0ELb1ELb1ES3_N6thrust23THRUST_200600_302600_NS6detail15normal_iteratorINS9_10device_ptrIjEEEENSB_INSC_IfEEEEiNS9_4plusIvEEiEEDaPvRmT3_T4_T5_mT6_P12ihipStream_tbENKUlT_T0_E_clISt17integral_constantIbLb1EESW_EEDaSR_SS_EUlSR_E_NS1_11comp_targetILNS1_3genE5ELNS1_11target_archE942ELNS1_3gpuE9ELNS1_3repE0EEENS1_30default_config_static_selectorELNS0_4arch9wavefront6targetE1EEEvT1_,comdat
.Lfunc_end6179:
	.size	_ZN7rocprim17ROCPRIM_400000_NS6detail17trampoline_kernelINS0_14default_configENS1_20scan_config_selectorIiEEZZNS1_9scan_implILNS1_25lookback_scan_determinismE0ELb1ELb1ES3_N6thrust23THRUST_200600_302600_NS6detail15normal_iteratorINS9_10device_ptrIjEEEENSB_INSC_IfEEEEiNS9_4plusIvEEiEEDaPvRmT3_T4_T5_mT6_P12ihipStream_tbENKUlT_T0_E_clISt17integral_constantIbLb1EESW_EEDaSR_SS_EUlSR_E_NS1_11comp_targetILNS1_3genE5ELNS1_11target_archE942ELNS1_3gpuE9ELNS1_3repE0EEENS1_30default_config_static_selectorELNS0_4arch9wavefront6targetE1EEEvT1_, .Lfunc_end6179-_ZN7rocprim17ROCPRIM_400000_NS6detail17trampoline_kernelINS0_14default_configENS1_20scan_config_selectorIiEEZZNS1_9scan_implILNS1_25lookback_scan_determinismE0ELb1ELb1ES3_N6thrust23THRUST_200600_302600_NS6detail15normal_iteratorINS9_10device_ptrIjEEEENSB_INSC_IfEEEEiNS9_4plusIvEEiEEDaPvRmT3_T4_T5_mT6_P12ihipStream_tbENKUlT_T0_E_clISt17integral_constantIbLb1EESW_EEDaSR_SS_EUlSR_E_NS1_11comp_targetILNS1_3genE5ELNS1_11target_archE942ELNS1_3gpuE9ELNS1_3repE0EEENS1_30default_config_static_selectorELNS0_4arch9wavefront6targetE1EEEvT1_
                                        ; -- End function
	.section	.AMDGPU.csdata,"",@progbits
; Kernel info:
; codeLenInByte = 0
; NumSgprs: 4
; NumVgprs: 0
; NumAgprs: 0
; TotalNumVgprs: 0
; ScratchSize: 0
; MemoryBound: 0
; FloatMode: 240
; IeeeMode: 1
; LDSByteSize: 0 bytes/workgroup (compile time only)
; SGPRBlocks: 0
; VGPRBlocks: 0
; NumSGPRsForWavesPerEU: 4
; NumVGPRsForWavesPerEU: 1
; AccumOffset: 4
; Occupancy: 8
; WaveLimiterHint : 0
; COMPUTE_PGM_RSRC2:SCRATCH_EN: 0
; COMPUTE_PGM_RSRC2:USER_SGPR: 6
; COMPUTE_PGM_RSRC2:TRAP_HANDLER: 0
; COMPUTE_PGM_RSRC2:TGID_X_EN: 1
; COMPUTE_PGM_RSRC2:TGID_Y_EN: 0
; COMPUTE_PGM_RSRC2:TGID_Z_EN: 0
; COMPUTE_PGM_RSRC2:TIDIG_COMP_CNT: 0
; COMPUTE_PGM_RSRC3_GFX90A:ACCUM_OFFSET: 0
; COMPUTE_PGM_RSRC3_GFX90A:TG_SPLIT: 0
	.section	.text._ZN7rocprim17ROCPRIM_400000_NS6detail17trampoline_kernelINS0_14default_configENS1_20scan_config_selectorIiEEZZNS1_9scan_implILNS1_25lookback_scan_determinismE0ELb1ELb1ES3_N6thrust23THRUST_200600_302600_NS6detail15normal_iteratorINS9_10device_ptrIjEEEENSB_INSC_IfEEEEiNS9_4plusIvEEiEEDaPvRmT3_T4_T5_mT6_P12ihipStream_tbENKUlT_T0_E_clISt17integral_constantIbLb1EESW_EEDaSR_SS_EUlSR_E_NS1_11comp_targetILNS1_3genE4ELNS1_11target_archE910ELNS1_3gpuE8ELNS1_3repE0EEENS1_30default_config_static_selectorELNS0_4arch9wavefront6targetE1EEEvT1_,"axG",@progbits,_ZN7rocprim17ROCPRIM_400000_NS6detail17trampoline_kernelINS0_14default_configENS1_20scan_config_selectorIiEEZZNS1_9scan_implILNS1_25lookback_scan_determinismE0ELb1ELb1ES3_N6thrust23THRUST_200600_302600_NS6detail15normal_iteratorINS9_10device_ptrIjEEEENSB_INSC_IfEEEEiNS9_4plusIvEEiEEDaPvRmT3_T4_T5_mT6_P12ihipStream_tbENKUlT_T0_E_clISt17integral_constantIbLb1EESW_EEDaSR_SS_EUlSR_E_NS1_11comp_targetILNS1_3genE4ELNS1_11target_archE910ELNS1_3gpuE8ELNS1_3repE0EEENS1_30default_config_static_selectorELNS0_4arch9wavefront6targetE1EEEvT1_,comdat
	.protected	_ZN7rocprim17ROCPRIM_400000_NS6detail17trampoline_kernelINS0_14default_configENS1_20scan_config_selectorIiEEZZNS1_9scan_implILNS1_25lookback_scan_determinismE0ELb1ELb1ES3_N6thrust23THRUST_200600_302600_NS6detail15normal_iteratorINS9_10device_ptrIjEEEENSB_INSC_IfEEEEiNS9_4plusIvEEiEEDaPvRmT3_T4_T5_mT6_P12ihipStream_tbENKUlT_T0_E_clISt17integral_constantIbLb1EESW_EEDaSR_SS_EUlSR_E_NS1_11comp_targetILNS1_3genE4ELNS1_11target_archE910ELNS1_3gpuE8ELNS1_3repE0EEENS1_30default_config_static_selectorELNS0_4arch9wavefront6targetE1EEEvT1_ ; -- Begin function _ZN7rocprim17ROCPRIM_400000_NS6detail17trampoline_kernelINS0_14default_configENS1_20scan_config_selectorIiEEZZNS1_9scan_implILNS1_25lookback_scan_determinismE0ELb1ELb1ES3_N6thrust23THRUST_200600_302600_NS6detail15normal_iteratorINS9_10device_ptrIjEEEENSB_INSC_IfEEEEiNS9_4plusIvEEiEEDaPvRmT3_T4_T5_mT6_P12ihipStream_tbENKUlT_T0_E_clISt17integral_constantIbLb1EESW_EEDaSR_SS_EUlSR_E_NS1_11comp_targetILNS1_3genE4ELNS1_11target_archE910ELNS1_3gpuE8ELNS1_3repE0EEENS1_30default_config_static_selectorELNS0_4arch9wavefront6targetE1EEEvT1_
	.globl	_ZN7rocprim17ROCPRIM_400000_NS6detail17trampoline_kernelINS0_14default_configENS1_20scan_config_selectorIiEEZZNS1_9scan_implILNS1_25lookback_scan_determinismE0ELb1ELb1ES3_N6thrust23THRUST_200600_302600_NS6detail15normal_iteratorINS9_10device_ptrIjEEEENSB_INSC_IfEEEEiNS9_4plusIvEEiEEDaPvRmT3_T4_T5_mT6_P12ihipStream_tbENKUlT_T0_E_clISt17integral_constantIbLb1EESW_EEDaSR_SS_EUlSR_E_NS1_11comp_targetILNS1_3genE4ELNS1_11target_archE910ELNS1_3gpuE8ELNS1_3repE0EEENS1_30default_config_static_selectorELNS0_4arch9wavefront6targetE1EEEvT1_
	.p2align	8
	.type	_ZN7rocprim17ROCPRIM_400000_NS6detail17trampoline_kernelINS0_14default_configENS1_20scan_config_selectorIiEEZZNS1_9scan_implILNS1_25lookback_scan_determinismE0ELb1ELb1ES3_N6thrust23THRUST_200600_302600_NS6detail15normal_iteratorINS9_10device_ptrIjEEEENSB_INSC_IfEEEEiNS9_4plusIvEEiEEDaPvRmT3_T4_T5_mT6_P12ihipStream_tbENKUlT_T0_E_clISt17integral_constantIbLb1EESW_EEDaSR_SS_EUlSR_E_NS1_11comp_targetILNS1_3genE4ELNS1_11target_archE910ELNS1_3gpuE8ELNS1_3repE0EEENS1_30default_config_static_selectorELNS0_4arch9wavefront6targetE1EEEvT1_,@function
_ZN7rocprim17ROCPRIM_400000_NS6detail17trampoline_kernelINS0_14default_configENS1_20scan_config_selectorIiEEZZNS1_9scan_implILNS1_25lookback_scan_determinismE0ELb1ELb1ES3_N6thrust23THRUST_200600_302600_NS6detail15normal_iteratorINS9_10device_ptrIjEEEENSB_INSC_IfEEEEiNS9_4plusIvEEiEEDaPvRmT3_T4_T5_mT6_P12ihipStream_tbENKUlT_T0_E_clISt17integral_constantIbLb1EESW_EEDaSR_SS_EUlSR_E_NS1_11comp_targetILNS1_3genE4ELNS1_11target_archE910ELNS1_3gpuE8ELNS1_3repE0EEENS1_30default_config_static_selectorELNS0_4arch9wavefront6targetE1EEEvT1_: ; @_ZN7rocprim17ROCPRIM_400000_NS6detail17trampoline_kernelINS0_14default_configENS1_20scan_config_selectorIiEEZZNS1_9scan_implILNS1_25lookback_scan_determinismE0ELb1ELb1ES3_N6thrust23THRUST_200600_302600_NS6detail15normal_iteratorINS9_10device_ptrIjEEEENSB_INSC_IfEEEEiNS9_4plusIvEEiEEDaPvRmT3_T4_T5_mT6_P12ihipStream_tbENKUlT_T0_E_clISt17integral_constantIbLb1EESW_EEDaSR_SS_EUlSR_E_NS1_11comp_targetILNS1_3genE4ELNS1_11target_archE910ELNS1_3gpuE8ELNS1_3repE0EEENS1_30default_config_static_selectorELNS0_4arch9wavefront6targetE1EEEvT1_
; %bb.0:
	s_load_dword s33, s[4:5], 0x20
	s_load_dwordx2 s[6:7], s[4:5], 0x28
	v_cmp_ne_u32_e64 s[2:3], 0, v0
	v_cmp_eq_u32_e64 s[0:1], 0, v0
	s_and_saveexec_b64 s[8:9], s[0:1]
	s_cbranch_execz .LBB6180_4
; %bb.1:
	s_mov_b64 s[12:13], exec
	v_mbcnt_lo_u32_b32 v1, s12, 0
	v_mbcnt_hi_u32_b32 v1, s13, v1
	v_cmp_eq_u32_e32 vcc, 0, v1
                                        ; implicit-def: $vgpr2
	s_and_saveexec_b64 s[10:11], vcc
	s_cbranch_execz .LBB6180_3
; %bb.2:
	s_load_dwordx2 s[14:15], s[4:5], 0x58
	s_bcnt1_i32_b64 s12, s[12:13]
	v_mov_b32_e32 v2, 0
	v_mov_b32_e32 v3, s12
	s_waitcnt lgkmcnt(0)
	global_atomic_add v2, v2, v3, s[14:15] glc
.LBB6180_3:
	s_or_b64 exec, exec, s[10:11]
	s_waitcnt vmcnt(0)
	v_readfirstlane_b32 s10, v2
	v_add_u32_e32 v1, s10, v1
	v_mov_b32_e32 v2, 0
	ds_write_b32 v2, v1
.LBB6180_4:
	s_or_b64 exec, exec, s[8:9]
	s_load_dwordx8 s[16:23], s[4:5], 0x0
	s_load_dword s24, s[4:5], 0x30
	s_load_dwordx8 s[8:15], s[4:5], 0x38
	v_mov_b32_e32 v1, 0
	s_waitcnt lgkmcnt(0)
	s_barrier
	ds_read_b32 v1, v1
	s_lshl_b64 s[18:19], s[18:19], 2
	s_add_u32 s34, s16, s18
	s_addc_u32 s35, s17, s19
	s_add_i32 s16, s24, -1
	s_mul_i32 s17, s16, 0x500
	s_sub_u32 s30, s22, s17
	s_waitcnt lgkmcnt(0)
	v_readfirstlane_b32 s36, v1
	s_subb_u32 s31, s23, 0
	s_mul_i32 s4, s36, 0x500
	s_mov_b32 s5, 0
	s_cmp_lg_u32 s36, s16
	s_cselect_b64 s[16:17], -1, 0
	s_lshl_b64 s[22:23], s[4:5], 2
	s_add_u32 s24, s34, s22
	s_addc_u32 s25, s35, s23
	s_mov_b64 s[4:5], -1
	s_and_b64 vcc, exec, s[16:17]
	v_lshlrev_b32_e32 v22, 2, v0
	s_barrier
	s_cbranch_vccz .LBB6180_6
; %bb.5:
	v_mov_b32_e32 v1, s25
	v_add_co_u32_e32 v2, vcc, s24, v22
	v_addc_co_u32_e32 v3, vcc, 0, v1, vcc
	flat_load_dword v1, v[2:3]
	flat_load_dword v4, v[2:3] offset:512
	flat_load_dword v5, v[2:3] offset:1024
	;; [unrolled: 1-line block ×7, first 2 shown]
	v_add_co_u32_e32 v2, vcc, 0x1000, v2
	v_addc_co_u32_e32 v3, vcc, 0, v3, vcc
	flat_load_dword v11, v[2:3]
	flat_load_dword v12, v[2:3] offset:512
	s_mov_b64 s[4:5], 0
	s_waitcnt vmcnt(0) lgkmcnt(0)
	ds_write2st64_b32 v22, v1, v4 offset1:2
	ds_write2st64_b32 v22, v5, v6 offset0:4 offset1:6
	ds_write2st64_b32 v22, v7, v8 offset0:8 offset1:10
	;; [unrolled: 1-line block ×4, first 2 shown]
	s_waitcnt lgkmcnt(0)
	s_barrier
.LBB6180_6:
	s_andn2_b64 vcc, exec, s[4:5]
	v_cmp_gt_u32_e64 s[4:5], s30, v0
	s_cbranch_vccnz .LBB6180_28
; %bb.7:
	v_pk_mov_b32 v[2:3], s[24:25], s[24:25] op_sel:[0,1]
	flat_load_dword v1, v[2:3]
	s_waitcnt vmcnt(0) lgkmcnt(0)
	v_mov_b32_e32 v2, v1
	v_mov_b32_e32 v3, v1
	;; [unrolled: 1-line block ×9, first 2 shown]
	s_and_saveexec_b64 s[26:27], s[4:5]
	s_cbranch_execz .LBB6180_9
; %bb.8:
	v_mov_b32_e32 v11, s25
	v_add_co_u32_e32 v10, vcc, s24, v22
	v_addc_co_u32_e32 v11, vcc, 0, v11, vcc
	flat_load_dword v10, v[10:11]
.LBB6180_9:
	s_or_b64 exec, exec, s[26:27]
	v_or_b32_e32 v11, 0x80, v0
	v_cmp_gt_u32_e32 vcc, s30, v11
	s_and_saveexec_b64 s[4:5], vcc
	s_cbranch_execz .LBB6180_11
; %bb.10:
	v_mov_b32_e32 v1, s25
	v_add_co_u32_e32 v12, vcc, s24, v22
	v_addc_co_u32_e32 v13, vcc, 0, v1, vcc
	flat_load_dword v1, v[12:13] offset:512
.LBB6180_11:
	s_or_b64 exec, exec, s[4:5]
	v_or_b32_e32 v11, 0x100, v0
	v_cmp_gt_u32_e32 vcc, s30, v11
	s_and_saveexec_b64 s[4:5], vcc
	s_cbranch_execz .LBB6180_13
; %bb.12:
	v_mov_b32_e32 v2, s25
	v_add_co_u32_e32 v12, vcc, s24, v22
	v_addc_co_u32_e32 v13, vcc, 0, v2, vcc
	flat_load_dword v2, v[12:13] offset:1024
.LBB6180_13:
	;; [unrolled: 11-line block ×7, first 2 shown]
	s_or_b64 exec, exec, s[4:5]
	v_or_b32_e32 v11, 0x400, v0
	v_cmp_gt_u32_e32 vcc, s30, v11
	s_and_saveexec_b64 s[4:5], vcc
	s_cbranch_execz .LBB6180_25
; %bb.24:
	v_lshlrev_b32_e32 v8, 2, v11
	v_mov_b32_e32 v11, s25
	v_add_co_u32_e32 v12, vcc, s24, v8
	v_addc_co_u32_e32 v13, vcc, 0, v11, vcc
	flat_load_dword v8, v[12:13]
.LBB6180_25:
	s_or_b64 exec, exec, s[4:5]
	v_or_b32_e32 v11, 0x480, v0
	v_cmp_gt_u32_e32 vcc, s30, v11
	s_and_saveexec_b64 s[4:5], vcc
	s_cbranch_execz .LBB6180_27
; %bb.26:
	v_lshlrev_b32_e32 v9, 2, v11
	v_mov_b32_e32 v11, s25
	v_add_co_u32_e32 v12, vcc, s24, v9
	v_addc_co_u32_e32 v13, vcc, 0, v11, vcc
	flat_load_dword v9, v[12:13]
.LBB6180_27:
	s_or_b64 exec, exec, s[4:5]
	s_waitcnt vmcnt(0) lgkmcnt(0)
	ds_write2st64_b32 v22, v10, v1 offset1:2
	ds_write2st64_b32 v22, v2, v3 offset0:4 offset1:6
	ds_write2st64_b32 v22, v4, v5 offset0:8 offset1:10
	;; [unrolled: 1-line block ×4, first 2 shown]
	s_waitcnt lgkmcnt(0)
	s_barrier
.LBB6180_28:
	v_mul_u32_u24_e32 v23, 10, v0
	v_lshlrev_b32_e32 v1, 2, v23
	ds_read2_b64 v[16:19], v1 offset1:1
	ds_read2_b64 v[12:15], v1 offset0:2 offset1:3
	ds_read_b64 v[20:21], v1 offset:32
	s_cmp_lg_u32 s36, 0
	v_lshrrev_b32_e32 v24, 5, v0
	s_waitcnt lgkmcnt(2)
	v_add_u32_e32 v2, v17, v16
	v_add3_u32 v25, v2, v18, v19
	v_cmp_gt_u32_e32 vcc, 64, v0
	s_waitcnt lgkmcnt(0)
	s_barrier
	s_cbranch_scc0 .LBB6180_57
; %bb.29:
	v_add3_u32 v2, v25, v12, v13
	v_add3_u32 v2, v2, v14, v15
	;; [unrolled: 1-line block ×3, first 2 shown]
	v_add_lshl_u32 v3, v24, v0, 2
	ds_write_b32 v3, v2
	s_waitcnt lgkmcnt(0)
	s_barrier
	s_and_saveexec_b64 s[24:25], vcc
	s_cbranch_execz .LBB6180_31
; %bb.30:
	v_lshlrev_b32_e32 v3, 1, v0
	v_lshrrev_b32_e32 v4, 4, v0
	v_add_lshl_u32 v3, v4, v3, 2
	ds_read2_b32 v[4:5], v3 offset1:1
	v_mbcnt_lo_u32_b32 v6, -1, 0
	v_mbcnt_hi_u32_b32 v6, -1, v6
	v_and_b32_e32 v7, 15, v6
	v_cmp_ne_u32_e64 s[4:5], 0, v7
	s_waitcnt lgkmcnt(0)
	v_add_u32_e32 v5, v5, v4
	; wave barrier
	s_nop 1
	v_mov_b32_dpp v8, v5 row_shr:1 row_mask:0xf bank_mask:0xf
	v_cndmask_b32_e64 v8, 0, v8, s[4:5]
	v_add_u32_e32 v5, v8, v5
	v_cmp_lt_u32_e64 s[4:5], 1, v7
	s_nop 0
	v_mov_b32_dpp v8, v5 row_shr:2 row_mask:0xf bank_mask:0xf
	v_cndmask_b32_e64 v8, 0, v8, s[4:5]
	v_add_u32_e32 v5, v5, v8
	v_cmp_lt_u32_e64 s[4:5], 3, v7
	;; [unrolled: 5-line block ×3, first 2 shown]
	s_nop 0
	v_mov_b32_dpp v8, v5 row_shr:8 row_mask:0xf bank_mask:0xf
	v_cndmask_b32_e64 v7, 0, v8, s[4:5]
	v_add_u32_e32 v5, v5, v7
	v_bfe_i32 v8, v6, 4, 1
	v_cmp_lt_u32_e64 s[4:5], 31, v6
	v_mov_b32_dpp v7, v5 row_bcast:15 row_mask:0xf bank_mask:0xf
	v_and_b32_e32 v7, v8, v7
	v_add_u32_e32 v5, v5, v7
	v_and_b32_e32 v8, 64, v6
	s_nop 0
	v_mov_b32_dpp v7, v5 row_bcast:31 row_mask:0xf bank_mask:0xf
	v_cndmask_b32_e64 v7, 0, v7, s[4:5]
	v_add_u32_e32 v5, v5, v7
	v_add_u32_e32 v7, -1, v6
	v_cmp_lt_i32_e64 s[4:5], v7, v8
	v_cndmask_b32_e64 v6, v7, v6, s[4:5]
	v_lshlrev_b32_e32 v6, 2, v6
	ds_bpermute_b32 v5, v6, v5
	s_waitcnt lgkmcnt(0)
	v_add_u32_e32 v4, v5, v4
	v_cndmask_b32_e64 v2, v4, v2, s[0:1]
	ds_write_b32 v3, v2
	; wave barrier
	ds_read_b32 v4, v3 offset:4
	s_waitcnt lgkmcnt(0)
	v_add_u32_e32 v2, v4, v2
	ds_write_b32 v3, v2 offset:4
.LBB6180_31:
	s_or_b64 exec, exec, s[24:25]
	v_mov_b32_e32 v26, 0
	s_waitcnt lgkmcnt(0)
	s_barrier
	s_and_saveexec_b64 s[4:5], s[2:3]
	s_cbranch_execz .LBB6180_33
; %bb.32:
	v_add_u32_e32 v2, -1, v0
	v_lshrrev_b32_e32 v3, 5, v2
	v_add_lshl_u32 v2, v3, v2, 2
	ds_read_b32 v26, v2
.LBB6180_33:
	s_or_b64 exec, exec, s[4:5]
	s_and_saveexec_b64 s[24:25], vcc
	s_cbranch_execz .LBB6180_56
; %bb.34:
	v_mov_b32_e32 v11, 0
	ds_read_b32 v2, v11 offset:520
	v_mbcnt_lo_u32_b32 v3, -1, 0
	v_mbcnt_hi_u32_b32 v5, -1, v3
	s_mov_b32 s29, 0
	v_cmp_eq_u32_e64 s[4:5], 0, v5
	s_and_saveexec_b64 s[26:27], s[4:5]
	s_cbranch_execz .LBB6180_36
; %bb.35:
	s_add_i32 s28, s36, 64
	s_lshl_b64 s[28:29], s[28:29], 3
	s_add_u32 s28, s6, s28
	v_mov_b32_e32 v3, 1
	s_addc_u32 s29, s7, s29
	s_waitcnt lgkmcnt(0)
	global_store_dwordx2 v11, v[2:3], s[28:29]
.LBB6180_36:
	s_or_b64 exec, exec, s[26:27]
	v_xad_u32 v4, v5, -1, s36
	v_add_u32_e32 v10, 64, v4
	v_lshlrev_b64 v[6:7], 3, v[10:11]
	v_mov_b32_e32 v3, s7
	v_add_co_u32_e32 v6, vcc, s6, v6
	v_addc_co_u32_e32 v7, vcc, v3, v7, vcc
	global_load_dwordx2 v[8:9], v[6:7], off glc
	s_waitcnt vmcnt(0)
	v_cmp_eq_u16_sdwa s[28:29], v9, v11 src0_sel:BYTE_0 src1_sel:DWORD
	s_and_saveexec_b64 s[26:27], s[28:29]
	s_cbranch_execz .LBB6180_42
; %bb.37:
	s_mov_b32 s37, 1
	s_mov_b64 s[28:29], 0
	v_mov_b32_e32 v3, 0
.LBB6180_38:                            ; =>This Loop Header: Depth=1
                                        ;     Child Loop BB6180_39 Depth 2
	s_max_u32 s38, s37, 1
.LBB6180_39:                            ;   Parent Loop BB6180_38 Depth=1
                                        ; =>  This Inner Loop Header: Depth=2
	s_add_i32 s38, s38, -1
	s_cmp_eq_u32 s38, 0
	s_sleep 1
	s_cbranch_scc0 .LBB6180_39
; %bb.40:                               ;   in Loop: Header=BB6180_38 Depth=1
	global_load_dwordx2 v[8:9], v[6:7], off glc
	s_cmp_lt_u32 s37, 32
	s_cselect_b64 s[38:39], -1, 0
	s_cmp_lg_u64 s[38:39], 0
	s_addc_u32 s37, s37, 0
	s_waitcnt vmcnt(0)
	v_cmp_ne_u16_sdwa s[38:39], v9, v3 src0_sel:BYTE_0 src1_sel:DWORD
	s_or_b64 s[28:29], s[38:39], s[28:29]
	s_andn2_b64 exec, exec, s[28:29]
	s_cbranch_execnz .LBB6180_38
; %bb.41:
	s_or_b64 exec, exec, s[28:29]
.LBB6180_42:
	s_or_b64 exec, exec, s[26:27]
	v_and_b32_e32 v27, 63, v5
	v_mov_b32_e32 v3, 2
	v_cmp_ne_u32_e32 vcc, 63, v27
	v_cmp_eq_u16_sdwa s[26:27], v9, v3 src0_sel:BYTE_0 src1_sel:DWORD
	v_lshlrev_b64 v[6:7], v5, -1
	v_addc_co_u32_e32 v28, vcc, 0, v5, vcc
	v_and_b32_e32 v10, s27, v7
	v_lshlrev_b32_e32 v28, 2, v28
	v_or_b32_e32 v10, 0x80000000, v10
	ds_bpermute_b32 v29, v28, v8
	v_and_b32_e32 v11, s26, v6
	v_ffbl_b32_e32 v10, v10
	v_add_u32_e32 v10, 32, v10
	v_ffbl_b32_e32 v11, v11
	v_min_u32_e32 v10, v11, v10
	v_cmp_lt_u32_e32 vcc, v27, v10
	s_waitcnt lgkmcnt(0)
	v_cndmask_b32_e32 v11, 0, v29, vcc
	v_cmp_gt_u32_e32 vcc, 62, v27
	v_add_u32_e32 v8, v11, v8
	v_cndmask_b32_e64 v11, 0, 1, vcc
	v_lshlrev_b32_e32 v11, 1, v11
	v_add_lshl_u32 v29, v11, v5, 2
	ds_bpermute_b32 v11, v29, v8
	v_add_u32_e32 v30, 2, v27
	v_cmp_le_u32_e32 vcc, v30, v10
	v_add_u32_e32 v32, 4, v27
	v_add_u32_e32 v34, 8, v27
	s_waitcnt lgkmcnt(0)
	v_cndmask_b32_e32 v11, 0, v11, vcc
	v_cmp_gt_u32_e32 vcc, 60, v27
	v_add_u32_e32 v8, v8, v11
	v_cndmask_b32_e64 v11, 0, 1, vcc
	v_lshlrev_b32_e32 v11, 2, v11
	v_add_lshl_u32 v31, v11, v5, 2
	ds_bpermute_b32 v11, v31, v8
	v_cmp_le_u32_e32 vcc, v32, v10
	v_add_u32_e32 v37, 16, v27
	v_add_u32_e32 v39, 32, v27
	s_waitcnt lgkmcnt(0)
	v_cndmask_b32_e32 v11, 0, v11, vcc
	v_cmp_gt_u32_e32 vcc, 56, v27
	v_add_u32_e32 v8, v8, v11
	v_cndmask_b32_e64 v11, 0, 1, vcc
	v_lshlrev_b32_e32 v11, 3, v11
	v_add_lshl_u32 v33, v11, v5, 2
	ds_bpermute_b32 v11, v33, v8
	v_cmp_le_u32_e32 vcc, v34, v10
	s_waitcnt lgkmcnt(0)
	v_cndmask_b32_e32 v11, 0, v11, vcc
	v_cmp_gt_u32_e32 vcc, 48, v27
	v_add_u32_e32 v8, v8, v11
	v_cndmask_b32_e64 v11, 0, 1, vcc
	v_lshlrev_b32_e32 v11, 4, v11
	v_add_lshl_u32 v36, v11, v5, 2
	ds_bpermute_b32 v11, v36, v8
	v_cmp_le_u32_e32 vcc, v37, v10
	s_waitcnt lgkmcnt(0)
	v_cndmask_b32_e32 v11, 0, v11, vcc
	v_cmp_gt_u32_e32 vcc, 32, v27
	v_add_u32_e32 v8, v8, v11
	v_cndmask_b32_e64 v11, 0, 1, vcc
	v_lshlrev_b32_e32 v11, 5, v11
	v_add_lshl_u32 v38, v11, v5, 2
	ds_bpermute_b32 v5, v38, v8
	v_cmp_le_u32_e32 vcc, v39, v10
	s_waitcnt lgkmcnt(0)
	v_cndmask_b32_e32 v5, 0, v5, vcc
	v_add_u32_e32 v8, v8, v5
	v_mov_b32_e32 v5, 0
	s_branch .LBB6180_44
.LBB6180_43:                            ;   in Loop: Header=BB6180_44 Depth=1
	s_or_b64 exec, exec, s[26:27]
	v_cmp_eq_u16_sdwa s[26:27], v9, v3 src0_sel:BYTE_0 src1_sel:DWORD
	v_and_b32_e32 v10, s27, v7
	v_or_b32_e32 v10, 0x80000000, v10
	ds_bpermute_b32 v40, v28, v8
	v_and_b32_e32 v11, s26, v6
	v_ffbl_b32_e32 v10, v10
	v_add_u32_e32 v10, 32, v10
	v_ffbl_b32_e32 v11, v11
	v_min_u32_e32 v10, v11, v10
	v_cmp_lt_u32_e32 vcc, v27, v10
	s_waitcnt lgkmcnt(0)
	v_cndmask_b32_e32 v11, 0, v40, vcc
	v_add_u32_e32 v8, v11, v8
	ds_bpermute_b32 v11, v29, v8
	v_cmp_le_u32_e32 vcc, v30, v10
	v_subrev_u32_e32 v4, 64, v4
	s_waitcnt lgkmcnt(0)
	v_cndmask_b32_e32 v11, 0, v11, vcc
	v_add_u32_e32 v8, v8, v11
	ds_bpermute_b32 v11, v31, v8
	v_cmp_le_u32_e32 vcc, v32, v10
	s_waitcnt lgkmcnt(0)
	v_cndmask_b32_e32 v11, 0, v11, vcc
	v_add_u32_e32 v8, v8, v11
	ds_bpermute_b32 v11, v33, v8
	v_cmp_le_u32_e32 vcc, v34, v10
	;; [unrolled: 5-line block ×4, first 2 shown]
	s_waitcnt lgkmcnt(0)
	v_cndmask_b32_e32 v10, 0, v11, vcc
	v_add3_u32 v8, v10, v35, v8
.LBB6180_44:                            ; =>This Loop Header: Depth=1
                                        ;     Child Loop BB6180_47 Depth 2
                                        ;       Child Loop BB6180_48 Depth 3
	v_cmp_ne_u16_sdwa s[26:27], v9, v3 src0_sel:BYTE_0 src1_sel:DWORD
	v_cndmask_b32_e64 v9, 0, 1, s[26:27]
	;;#ASMSTART
	;;#ASMEND
	v_cmp_ne_u32_e32 vcc, 0, v9
	s_cmp_lg_u64 vcc, exec
	v_mov_b32_e32 v35, v8
	s_cbranch_scc1 .LBB6180_51
; %bb.45:                               ;   in Loop: Header=BB6180_44 Depth=1
	v_lshlrev_b64 v[8:9], 3, v[4:5]
	v_mov_b32_e32 v11, s7
	v_add_co_u32_e32 v10, vcc, s6, v8
	v_addc_co_u32_e32 v11, vcc, v11, v9, vcc
	global_load_dwordx2 v[8:9], v[10:11], off glc
	s_waitcnt vmcnt(0)
	v_cmp_eq_u16_sdwa s[28:29], v9, v5 src0_sel:BYTE_0 src1_sel:DWORD
	s_and_saveexec_b64 s[26:27], s[28:29]
	s_cbranch_execz .LBB6180_43
; %bb.46:                               ;   in Loop: Header=BB6180_44 Depth=1
	s_mov_b32 s37, 1
	s_mov_b64 s[28:29], 0
.LBB6180_47:                            ;   Parent Loop BB6180_44 Depth=1
                                        ; =>  This Loop Header: Depth=2
                                        ;       Child Loop BB6180_48 Depth 3
	s_max_u32 s38, s37, 1
.LBB6180_48:                            ;   Parent Loop BB6180_44 Depth=1
                                        ;     Parent Loop BB6180_47 Depth=2
                                        ; =>    This Inner Loop Header: Depth=3
	s_add_i32 s38, s38, -1
	s_cmp_eq_u32 s38, 0
	s_sleep 1
	s_cbranch_scc0 .LBB6180_48
; %bb.49:                               ;   in Loop: Header=BB6180_47 Depth=2
	global_load_dwordx2 v[8:9], v[10:11], off glc
	s_cmp_lt_u32 s37, 32
	s_cselect_b64 s[38:39], -1, 0
	s_cmp_lg_u64 s[38:39], 0
	s_addc_u32 s37, s37, 0
	s_waitcnt vmcnt(0)
	v_cmp_ne_u16_sdwa s[38:39], v9, v5 src0_sel:BYTE_0 src1_sel:DWORD
	s_or_b64 s[28:29], s[38:39], s[28:29]
	s_andn2_b64 exec, exec, s[28:29]
	s_cbranch_execnz .LBB6180_47
; %bb.50:                               ;   in Loop: Header=BB6180_44 Depth=1
	s_or_b64 exec, exec, s[28:29]
	s_branch .LBB6180_43
.LBB6180_51:                            ;   in Loop: Header=BB6180_44 Depth=1
                                        ; implicit-def: $vgpr8
                                        ; implicit-def: $vgpr9
	s_cbranch_execz .LBB6180_44
; %bb.52:
	s_and_saveexec_b64 s[26:27], s[4:5]
	s_cbranch_execz .LBB6180_54
; %bb.53:
	s_add_i32 s4, s36, 64
	s_mov_b32 s5, 0
	s_lshl_b64 s[4:5], s[4:5], 3
	s_add_u32 s4, s6, s4
	v_add_u32_e32 v2, v35, v2
	v_mov_b32_e32 v3, 2
	s_addc_u32 s5, s7, s5
	v_mov_b32_e32 v4, 0
	global_store_dwordx2 v4, v[2:3], s[4:5]
.LBB6180_54:
	s_or_b64 exec, exec, s[26:27]
	s_and_b64 exec, exec, s[0:1]
	s_cbranch_execz .LBB6180_56
; %bb.55:
	v_mov_b32_e32 v2, 0
	ds_write_b32 v2, v35
.LBB6180_56:
	s_or_b64 exec, exec, s[24:25]
	v_mov_b32_e32 v2, 0
	s_waitcnt lgkmcnt(0)
	s_barrier
	ds_read_b32 v2, v2
	s_waitcnt lgkmcnt(0)
	v_add_u32_e32 v2, v2, v26
	v_add_u32_e32 v3, v2, v16
	;; [unrolled: 1-line block ×10, first 2 shown]
	s_branch .LBB6180_67
.LBB6180_57:
                                        ; implicit-def: $vgpr2_vgpr3_vgpr4_vgpr5_vgpr6_vgpr7_vgpr8_vgpr9_vgpr10_vgpr11
	s_cbranch_execz .LBB6180_67
; %bb.58:
	s_cmp_eq_u64 s[12:13], 0
	v_mov_b32_e32 v26, s33
	s_cbranch_scc1 .LBB6180_60
; %bb.59:
	v_mov_b32_e32 v3, s35
	v_add_co_u32_e64 v2, vcc, -4, s34
	v_addc_co_u32_e32 v3, vcc, -1, v3, vcc
	v_mov_b32_e32 v4, 0
	flat_load_dword v5, v[2:3]
	global_load_dword v6, v4, s[8:9]
	s_waitcnt vmcnt(0) lgkmcnt(0)
	v_add_u32_e32 v26, v6, v5
.LBB6180_60:
	v_add3_u32 v2, v25, v12, v13
	v_add3_u32 v2, v2, v14, v15
	;; [unrolled: 1-line block ×3, first 2 shown]
	v_add_lshl_u32 v3, v24, v0, 2
	v_cmp_gt_u32_e32 vcc, 64, v0
	ds_write_b32 v3, v2
	s_waitcnt lgkmcnt(0)
	s_barrier
	s_and_saveexec_b64 s[4:5], vcc
	s_cbranch_execz .LBB6180_62
; %bb.61:
	v_lshlrev_b32_e32 v3, 1, v0
	v_lshrrev_b32_e32 v4, 4, v0
	v_add_lshl_u32 v3, v4, v3, 2
	ds_read2_b32 v[4:5], v3 offset1:1
	v_mbcnt_lo_u32_b32 v6, -1, 0
	v_mbcnt_hi_u32_b32 v6, -1, v6
	v_and_b32_e32 v7, 15, v6
	v_cmp_ne_u32_e32 vcc, 0, v7
	s_waitcnt lgkmcnt(0)
	v_add_u32_e32 v5, v5, v4
	; wave barrier
	s_nop 1
	v_mov_b32_dpp v8, v5 row_shr:1 row_mask:0xf bank_mask:0xf
	v_cndmask_b32_e32 v8, 0, v8, vcc
	v_add_u32_e32 v5, v8, v5
	v_cmp_lt_u32_e32 vcc, 1, v7
	s_nop 0
	v_mov_b32_dpp v8, v5 row_shr:2 row_mask:0xf bank_mask:0xf
	v_cndmask_b32_e32 v8, 0, v8, vcc
	v_add_u32_e32 v5, v5, v8
	v_cmp_lt_u32_e32 vcc, 3, v7
	;; [unrolled: 5-line block ×3, first 2 shown]
	s_nop 0
	v_mov_b32_dpp v8, v5 row_shr:8 row_mask:0xf bank_mask:0xf
	v_cndmask_b32_e32 v7, 0, v8, vcc
	v_add_u32_e32 v5, v5, v7
	v_bfe_i32 v8, v6, 4, 1
	v_cmp_lt_u32_e32 vcc, 31, v6
	v_mov_b32_dpp v7, v5 row_bcast:15 row_mask:0xf bank_mask:0xf
	v_and_b32_e32 v7, v8, v7
	v_add_u32_e32 v5, v5, v7
	v_and_b32_e32 v8, 64, v6
	s_nop 0
	v_mov_b32_dpp v7, v5 row_bcast:31 row_mask:0xf bank_mask:0xf
	v_cndmask_b32_e32 v7, 0, v7, vcc
	v_add_u32_e32 v5, v5, v7
	v_add_u32_e32 v7, -1, v6
	v_cmp_lt_i32_e32 vcc, v7, v8
	v_cndmask_b32_e32 v6, v7, v6, vcc
	v_lshlrev_b32_e32 v6, 2, v6
	ds_bpermute_b32 v5, v6, v5
	s_waitcnt lgkmcnt(0)
	v_add_u32_e32 v4, v5, v4
	v_cndmask_b32_e64 v2, v4, v2, s[0:1]
	ds_write_b32 v3, v2
	; wave barrier
	ds_read_b32 v4, v3 offset:4
	s_waitcnt lgkmcnt(0)
	v_add_u32_e32 v2, v4, v2
	ds_write_b32 v3, v2 offset:4
.LBB6180_62:
	s_or_b64 exec, exec, s[4:5]
	v_mov_b32_e32 v2, v26
	s_waitcnt lgkmcnt(0)
	s_barrier
	s_and_saveexec_b64 s[4:5], s[2:3]
	s_cbranch_execz .LBB6180_64
; %bb.63:
	v_add_u32_e32 v2, -1, v0
	v_lshrrev_b32_e32 v3, 5, v2
	v_add_lshl_u32 v2, v3, v2, 2
	ds_read_b32 v2, v2
	s_waitcnt lgkmcnt(0)
	v_add_u32_e32 v2, v2, v26
.LBB6180_64:
	s_or_b64 exec, exec, s[4:5]
	v_add_u32_e32 v3, v2, v16
	v_add_u32_e32 v4, v3, v17
	;; [unrolled: 1-line block ×9, first 2 shown]
	s_and_saveexec_b64 s[2:3], s[0:1]
	s_cbranch_execz .LBB6180_66
; %bb.65:
	v_mov_b32_e32 v14, 0
	ds_read_b32 v12, v14 offset:520
	v_mov_b32_e32 v13, 2
	s_waitcnt lgkmcnt(0)
	v_add_u32_e32 v12, v12, v26
	global_store_dwordx2 v14, v[12:13], s[6:7] offset:512
.LBB6180_66:
	s_or_b64 exec, exec, s[2:3]
.LBB6180_67:
	s_add_u32 s0, s20, s18
	s_addc_u32 s1, s21, s19
	s_add_u32 s2, s0, s22
	s_addc_u32 s3, s1, s23
	s_mov_b64 s[0:1], -1
	s_and_b64 vcc, exec, s[16:17]
	s_barrier
	s_cbranch_vccz .LBB6180_69
; %bb.68:
	ds_write2_b64 v1, v[2:3], v[4:5] offset1:1
	ds_write2_b64 v1, v[6:7], v[8:9] offset0:2 offset1:3
	ds_write_b64 v1, v[10:11] offset:32
	s_waitcnt lgkmcnt(0)
	s_barrier
	ds_read2st64_b32 v[12:13], v22 offset1:2
	ds_read2st64_b32 v[14:15], v22 offset0:4 offset1:6
	ds_read2st64_b32 v[16:17], v22 offset0:8 offset1:10
	;; [unrolled: 1-line block ×4, first 2 shown]
	s_waitcnt lgkmcnt(4)
	v_cvt_f32_i32_e32 v12, v12
	v_cvt_f32_i32_e32 v13, v13
	v_mov_b32_e32 v25, s3
	v_add_co_u32_e32 v24, vcc, s2, v22
	s_waitcnt lgkmcnt(3)
	v_cvt_f32_i32_e32 v14, v14
	v_addc_co_u32_e32 v25, vcc, 0, v25, vcc
	v_cvt_f32_i32_e32 v15, v15
	flat_store_dword v[24:25], v12
	flat_store_dword v[24:25], v13 offset:512
	flat_store_dword v[24:25], v14 offset:1024
	flat_store_dword v[24:25], v15 offset:1536
	s_waitcnt lgkmcnt(0)
	v_cvt_f32_i32_e32 v12, v16
	v_cvt_f32_i32_e32 v13, v17
	v_cvt_f32_i32_e32 v14, v18
	v_cvt_f32_i32_e32 v15, v19
	flat_store_dword v[24:25], v12 offset:2048
	flat_store_dword v[24:25], v13 offset:2560
	;; [unrolled: 1-line block ×4, first 2 shown]
	v_cvt_f32_i32_e32 v14, v20
	v_cvt_f32_i32_e32 v15, v21
	v_add_co_u32_e32 v12, vcc, 0x1000, v24
	v_addc_co_u32_e32 v13, vcc, 0, v25, vcc
	flat_store_dword v[12:13], v14
	flat_store_dword v[12:13], v15 offset:512
	s_mov_b64 s[0:1], 0
.LBB6180_69:
	s_andn2_b64 vcc, exec, s[0:1]
	s_cbranch_vccnz .LBB6180_125
; %bb.70:
	ds_write2_b64 v1, v[2:3], v[4:5] offset1:1
	ds_write2_b64 v1, v[6:7], v[8:9] offset0:2 offset1:3
	ds_write_b64 v1, v[10:11] offset:32
	s_waitcnt lgkmcnt(0)
	s_barrier
	ds_read2st64_b32 v[2:3], v22 offset1:2
	ds_read2st64_b32 v[6:7], v22 offset0:4 offset1:6
	ds_read2st64_b32 v[4:5], v22 offset0:8 offset1:10
	;; [unrolled: 1-line block ×4, first 2 shown]
	v_mov_b32_e32 v13, s3
	v_add_co_u32_e32 v12, vcc, s2, v22
	v_addc_co_u32_e32 v13, vcc, 0, v13, vcc
	v_mov_b32_e32 v1, 0
	v_cmp_gt_u32_e32 vcc, s30, v0
	s_and_saveexec_b64 s[0:1], vcc
	s_cbranch_execz .LBB6180_72
; %bb.71:
	s_waitcnt lgkmcnt(0)
	v_cvt_f32_i32_e32 v14, v2
	flat_store_dword v[12:13], v14
.LBB6180_72:
	s_or_b64 exec, exec, s[0:1]
	v_or_b32_e32 v14, 0x80, v0
	v_cmp_gt_u32_e32 vcc, s30, v14
	s_and_saveexec_b64 s[0:1], vcc
	s_cbranch_execz .LBB6180_74
; %bb.73:
	s_waitcnt lgkmcnt(0)
	v_cvt_f32_i32_e32 v14, v3
	flat_store_dword v[12:13], v14 offset:512
.LBB6180_74:
	s_or_b64 exec, exec, s[0:1]
	v_or_b32_e32 v14, 0x100, v0
	v_cmp_gt_u32_e32 vcc, s30, v14
	s_and_saveexec_b64 s[0:1], vcc
	s_cbranch_execz .LBB6180_76
; %bb.75:
	s_waitcnt lgkmcnt(0)
	v_cvt_f32_i32_e32 v14, v6
	flat_store_dword v[12:13], v14 offset:1024
.LBB6180_76:
	;; [unrolled: 10-line block ×7, first 2 shown]
	s_or_b64 exec, exec, s[0:1]
	v_or_b32_e32 v14, 0x400, v0
	v_cmp_gt_u32_e32 vcc, s30, v14
	s_and_saveexec_b64 s[0:1], vcc
	s_cbranch_execz .LBB6180_88
; %bb.87:
	s_waitcnt lgkmcnt(0)
	v_cvt_f32_i32_e32 v16, v10
	v_add_co_u32_e32 v14, vcc, 0x1000, v12
	v_addc_co_u32_e32 v15, vcc, 0, v13, vcc
	flat_store_dword v[14:15], v16
.LBB6180_88:
	s_or_b64 exec, exec, s[0:1]
	v_or_b32_e32 v14, 0x480, v0
	v_cmp_gt_u32_e32 vcc, s30, v14
	s_and_saveexec_b64 s[0:1], vcc
	s_cbranch_execz .LBB6180_90
; %bb.89:
	s_waitcnt lgkmcnt(0)
	v_cvt_f32_i32_e32 v14, v11
	v_add_co_u32_e32 v12, vcc, 0x1000, v12
	v_addc_co_u32_e32 v13, vcc, 0, v13, vcc
	flat_store_dword v[12:13], v14 offset:512
.LBB6180_90:
	s_or_b64 exec, exec, s[0:1]
	v_cmp_lt_u64_e64 s[0:1], s[14:15], 2
	s_and_b64 vcc, exec, s[0:1]
	s_cbranch_vccnz .LBB6180_125
; %bb.91:
	s_add_u32 s0, s30, -1
	s_addc_u32 s1, s31, -1
	s_add_u32 s2, 0, 0x99986000
	s_addc_u32 s3, 0, 0x59
	s_add_i32 s3, s3, 0x19999940
	s_mul_hi_u32 s7, s2, -10
	s_sub_i32 s7, s7, s2
	s_mul_i32 s8, s3, -10
	s_mul_i32 s4, s2, -10
	s_add_i32 s7, s7, s8
	s_mul_hi_u32 s5, s3, s4
	s_mul_i32 s6, s3, s4
	s_mul_i32 s9, s2, s7
	s_mul_hi_u32 s4, s2, s4
	s_mul_hi_u32 s8, s2, s7
	s_add_u32 s4, s4, s9
	s_addc_u32 s8, 0, s8
	s_add_u32 s4, s4, s6
	s_mul_hi_u32 s9, s3, s7
	s_addc_u32 s4, s8, s5
	s_addc_u32 s5, s9, 0
	s_mul_i32 s6, s3, s7
	s_add_u32 s4, s4, s6
	v_mov_b32_e32 v12, s4
	s_addc_u32 s5, 0, s5
	v_add_co_u32_e32 v12, vcc, s2, v12
	s_cmp_lg_u64 vcc, 0
	s_addc_u32 s2, s3, s5
	v_readfirstlane_b32 s5, v12
	s_mul_i32 s4, s0, s2
	s_mul_hi_u32 s6, s0, s5
	s_mul_hi_u32 s3, s0, s2
	s_add_u32 s4, s6, s4
	s_addc_u32 s3, 0, s3
	s_mul_hi_u32 s7, s1, s5
	s_mul_i32 s5, s1, s5
	s_add_u32 s4, s4, s5
	s_mul_hi_u32 s6, s1, s2
	s_addc_u32 s3, s3, s7
	s_addc_u32 s4, s6, 0
	s_mul_i32 s2, s1, s2
	s_add_u32 s2, s3, s2
	s_addc_u32 s3, 0, s4
	s_add_u32 s4, s2, 1
	s_addc_u32 s5, s3, 0
	s_add_u32 s6, s2, 2
	s_mul_i32 s8, s3, 10
	s_mul_hi_u32 s9, s2, 10
	s_addc_u32 s7, s3, 0
	s_add_i32 s9, s9, s8
	s_mul_i32 s8, s2, 10
	v_mov_b32_e32 v12, s8
	v_sub_co_u32_e32 v12, vcc, s0, v12
	s_cmp_lg_u64 vcc, 0
	s_subb_u32 s8, s1, s9
	v_subrev_co_u32_e32 v13, vcc, 10, v12
	s_cmp_lg_u64 vcc, 0
	s_subb_u32 s9, s8, 0
	v_readfirstlane_b32 s12, v13
	s_cmp_gt_u32 s12, 9
	s_cselect_b32 s12, -1, 0
	s_cmp_eq_u32 s9, 0
	s_cselect_b32 s9, s12, -1
	s_cmp_lg_u32 s9, 0
	s_cselect_b32 s4, s6, s4
	v_readfirstlane_b32 s6, v12
	s_cselect_b32 s5, s7, s5
	s_cmp_gt_u32 s6, 9
	s_cselect_b32 s6, -1, 0
	s_cmp_eq_u32 s8, 0
	s_cselect_b32 s6, s6, -1
	s_cmp_lg_u32 s6, 0
	s_cselect_b32 s3, s5, s3
	s_cselect_b32 s2, s4, s2
	v_cmp_eq_u64_e32 vcc, s[2:3], v[0:1]
	s_and_saveexec_b64 s[2:3], vcc
	s_cbranch_execz .LBB6180_125
; %bb.92:
	v_mul_hi_u32_u24_e32 v1, 10, v0
	v_mov_b32_e32 v12, s1
	v_sub_co_u32_e32 v0, vcc, s0, v23
	v_subb_co_u32_e32 v1, vcc, v12, v1, vcc
	v_cmp_lt_i64_e32 vcc, 4, v[0:1]
	s_and_saveexec_b64 s[0:1], vcc
	s_xor_b64 s[0:1], exec, s[0:1]
	s_cbranch_execz .LBB6180_110
; %bb.93:
	v_cmp_lt_i64_e32 vcc, 6, v[0:1]
	s_and_saveexec_b64 s[2:3], vcc
	s_xor_b64 s[2:3], exec, s[2:3]
	s_cbranch_execz .LBB6180_103
; %bb.94:
	;; [unrolled: 5-line block ×4, first 2 shown]
	v_mov_b32_e32 v0, 0
	s_waitcnt lgkmcnt(0)
	global_store_dword v0, v11, s[10:11]
                                        ; implicit-def: $vgpr10_vgpr11
.LBB6180_97:
	s_andn2_saveexec_b64 s[6:7], s[6:7]
	s_cbranch_execz .LBB6180_99
; %bb.98:
	v_mov_b32_e32 v0, 0
	s_waitcnt lgkmcnt(0)
	global_store_dword v0, v10, s[10:11]
.LBB6180_99:
	s_or_b64 exec, exec, s[6:7]
                                        ; implicit-def: $vgpr8_vgpr9
.LBB6180_100:
	s_andn2_saveexec_b64 s[4:5], s[4:5]
	s_cbranch_execz .LBB6180_102
; %bb.101:
	v_mov_b32_e32 v0, 0
	s_waitcnt lgkmcnt(0)
	global_store_dword v0, v9, s[10:11]
.LBB6180_102:
	s_or_b64 exec, exec, s[4:5]
                                        ; implicit-def: $vgpr4_vgpr5
                                        ; implicit-def: $vgpr0_vgpr1
                                        ; implicit-def: $vgpr8_vgpr9
.LBB6180_103:
	s_andn2_saveexec_b64 s[2:3], s[2:3]
	s_cbranch_execz .LBB6180_109
; %bb.104:
	v_cmp_lt_i64_e32 vcc, 5, v[0:1]
	s_and_saveexec_b64 s[4:5], vcc
	s_xor_b64 s[4:5], exec, s[4:5]
	s_cbranch_execz .LBB6180_106
; %bb.105:
	v_mov_b32_e32 v0, 0
	s_waitcnt lgkmcnt(0)
	global_store_dword v0, v8, s[10:11]
                                        ; implicit-def: $vgpr4_vgpr5
.LBB6180_106:
	s_andn2_saveexec_b64 s[4:5], s[4:5]
	s_cbranch_execz .LBB6180_108
; %bb.107:
	v_mov_b32_e32 v0, 0
	s_waitcnt lgkmcnt(0)
	global_store_dword v0, v5, s[10:11]
.LBB6180_108:
	s_or_b64 exec, exec, s[4:5]
.LBB6180_109:
	s_or_b64 exec, exec, s[2:3]
                                        ; implicit-def: $vgpr0_vgpr1
                                        ; implicit-def: $vgpr6_vgpr7
                                        ; implicit-def: $vgpr2_vgpr3
                                        ; implicit-def: $vgpr4_vgpr5
.LBB6180_110:
	s_andn2_saveexec_b64 s[0:1], s[0:1]
	s_cbranch_execz .LBB6180_125
; %bb.111:
	v_cmp_lt_i64_e32 vcc, 2, v[0:1]
	s_and_saveexec_b64 s[0:1], vcc
	s_xor_b64 s[0:1], exec, s[0:1]
	s_cbranch_execz .LBB6180_117
; %bb.112:
	v_cmp_lt_i64_e32 vcc, 3, v[0:1]
	s_and_saveexec_b64 s[2:3], vcc
	s_xor_b64 s[2:3], exec, s[2:3]
	s_cbranch_execz .LBB6180_114
; %bb.113:
	v_mov_b32_e32 v0, 0
	s_waitcnt lgkmcnt(0)
	global_store_dword v0, v4, s[10:11]
                                        ; implicit-def: $vgpr6_vgpr7
.LBB6180_114:
	s_andn2_saveexec_b64 s[2:3], s[2:3]
	s_cbranch_execz .LBB6180_116
; %bb.115:
	v_mov_b32_e32 v0, 0
	s_waitcnt lgkmcnt(0)
	global_store_dword v0, v7, s[10:11]
.LBB6180_116:
	s_or_b64 exec, exec, s[2:3]
                                        ; implicit-def: $vgpr0_vgpr1
                                        ; implicit-def: $vgpr6_vgpr7
                                        ; implicit-def: $vgpr2_vgpr3
.LBB6180_117:
	s_andn2_saveexec_b64 s[0:1], s[0:1]
	s_cbranch_execz .LBB6180_125
; %bb.118:
	v_cmp_lt_i64_e32 vcc, 1, v[0:1]
	s_and_saveexec_b64 s[0:1], vcc
	s_xor_b64 s[0:1], exec, s[0:1]
	s_cbranch_execz .LBB6180_120
; %bb.119:
	v_mov_b32_e32 v0, 0
	s_waitcnt lgkmcnt(0)
	global_store_dword v0, v6, s[10:11]
                                        ; implicit-def: $vgpr2_vgpr3
                                        ; implicit-def: $vgpr0_vgpr1
.LBB6180_120:
	s_andn2_saveexec_b64 s[0:1], s[0:1]
	s_cbranch_execz .LBB6180_125
; %bb.121:
	v_cmp_ne_u64_e32 vcc, 1, v[0:1]
	s_and_saveexec_b64 s[0:1], vcc
	s_xor_b64 s[0:1], exec, s[0:1]
	s_cbranch_execz .LBB6180_123
; %bb.122:
	v_mov_b32_e32 v0, 0
	s_waitcnt lgkmcnt(0)
	global_store_dword v0, v2, s[10:11]
                                        ; implicit-def: $vgpr2_vgpr3
.LBB6180_123:
	s_andn2_saveexec_b64 s[0:1], s[0:1]
	s_cbranch_execz .LBB6180_125
; %bb.124:
	v_mov_b32_e32 v0, 0
	s_waitcnt lgkmcnt(0)
	global_store_dword v0, v3, s[10:11]
.LBB6180_125:
	s_endpgm
	.section	.rodata,"a",@progbits
	.p2align	6, 0x0
	.amdhsa_kernel _ZN7rocprim17ROCPRIM_400000_NS6detail17trampoline_kernelINS0_14default_configENS1_20scan_config_selectorIiEEZZNS1_9scan_implILNS1_25lookback_scan_determinismE0ELb1ELb1ES3_N6thrust23THRUST_200600_302600_NS6detail15normal_iteratorINS9_10device_ptrIjEEEENSB_INSC_IfEEEEiNS9_4plusIvEEiEEDaPvRmT3_T4_T5_mT6_P12ihipStream_tbENKUlT_T0_E_clISt17integral_constantIbLb1EESW_EEDaSR_SS_EUlSR_E_NS1_11comp_targetILNS1_3genE4ELNS1_11target_archE910ELNS1_3gpuE8ELNS1_3repE0EEENS1_30default_config_static_selectorELNS0_4arch9wavefront6targetE1EEEvT1_
		.amdhsa_group_segment_fixed_size 5120
		.amdhsa_private_segment_fixed_size 0
		.amdhsa_kernarg_size 96
		.amdhsa_user_sgpr_count 6
		.amdhsa_user_sgpr_private_segment_buffer 1
		.amdhsa_user_sgpr_dispatch_ptr 0
		.amdhsa_user_sgpr_queue_ptr 0
		.amdhsa_user_sgpr_kernarg_segment_ptr 1
		.amdhsa_user_sgpr_dispatch_id 0
		.amdhsa_user_sgpr_flat_scratch_init 0
		.amdhsa_user_sgpr_kernarg_preload_length 0
		.amdhsa_user_sgpr_kernarg_preload_offset 0
		.amdhsa_user_sgpr_private_segment_size 0
		.amdhsa_uses_dynamic_stack 0
		.amdhsa_system_sgpr_private_segment_wavefront_offset 0
		.amdhsa_system_sgpr_workgroup_id_x 1
		.amdhsa_system_sgpr_workgroup_id_y 0
		.amdhsa_system_sgpr_workgroup_id_z 0
		.amdhsa_system_sgpr_workgroup_info 0
		.amdhsa_system_vgpr_workitem_id 0
		.amdhsa_next_free_vgpr 41
		.amdhsa_next_free_sgpr 40
		.amdhsa_accum_offset 44
		.amdhsa_reserve_vcc 1
		.amdhsa_reserve_flat_scratch 0
		.amdhsa_float_round_mode_32 0
		.amdhsa_float_round_mode_16_64 0
		.amdhsa_float_denorm_mode_32 3
		.amdhsa_float_denorm_mode_16_64 3
		.amdhsa_dx10_clamp 1
		.amdhsa_ieee_mode 1
		.amdhsa_fp16_overflow 0
		.amdhsa_tg_split 0
		.amdhsa_exception_fp_ieee_invalid_op 0
		.amdhsa_exception_fp_denorm_src 0
		.amdhsa_exception_fp_ieee_div_zero 0
		.amdhsa_exception_fp_ieee_overflow 0
		.amdhsa_exception_fp_ieee_underflow 0
		.amdhsa_exception_fp_ieee_inexact 0
		.amdhsa_exception_int_div_zero 0
	.end_amdhsa_kernel
	.section	.text._ZN7rocprim17ROCPRIM_400000_NS6detail17trampoline_kernelINS0_14default_configENS1_20scan_config_selectorIiEEZZNS1_9scan_implILNS1_25lookback_scan_determinismE0ELb1ELb1ES3_N6thrust23THRUST_200600_302600_NS6detail15normal_iteratorINS9_10device_ptrIjEEEENSB_INSC_IfEEEEiNS9_4plusIvEEiEEDaPvRmT3_T4_T5_mT6_P12ihipStream_tbENKUlT_T0_E_clISt17integral_constantIbLb1EESW_EEDaSR_SS_EUlSR_E_NS1_11comp_targetILNS1_3genE4ELNS1_11target_archE910ELNS1_3gpuE8ELNS1_3repE0EEENS1_30default_config_static_selectorELNS0_4arch9wavefront6targetE1EEEvT1_,"axG",@progbits,_ZN7rocprim17ROCPRIM_400000_NS6detail17trampoline_kernelINS0_14default_configENS1_20scan_config_selectorIiEEZZNS1_9scan_implILNS1_25lookback_scan_determinismE0ELb1ELb1ES3_N6thrust23THRUST_200600_302600_NS6detail15normal_iteratorINS9_10device_ptrIjEEEENSB_INSC_IfEEEEiNS9_4plusIvEEiEEDaPvRmT3_T4_T5_mT6_P12ihipStream_tbENKUlT_T0_E_clISt17integral_constantIbLb1EESW_EEDaSR_SS_EUlSR_E_NS1_11comp_targetILNS1_3genE4ELNS1_11target_archE910ELNS1_3gpuE8ELNS1_3repE0EEENS1_30default_config_static_selectorELNS0_4arch9wavefront6targetE1EEEvT1_,comdat
.Lfunc_end6180:
	.size	_ZN7rocprim17ROCPRIM_400000_NS6detail17trampoline_kernelINS0_14default_configENS1_20scan_config_selectorIiEEZZNS1_9scan_implILNS1_25lookback_scan_determinismE0ELb1ELb1ES3_N6thrust23THRUST_200600_302600_NS6detail15normal_iteratorINS9_10device_ptrIjEEEENSB_INSC_IfEEEEiNS9_4plusIvEEiEEDaPvRmT3_T4_T5_mT6_P12ihipStream_tbENKUlT_T0_E_clISt17integral_constantIbLb1EESW_EEDaSR_SS_EUlSR_E_NS1_11comp_targetILNS1_3genE4ELNS1_11target_archE910ELNS1_3gpuE8ELNS1_3repE0EEENS1_30default_config_static_selectorELNS0_4arch9wavefront6targetE1EEEvT1_, .Lfunc_end6180-_ZN7rocprim17ROCPRIM_400000_NS6detail17trampoline_kernelINS0_14default_configENS1_20scan_config_selectorIiEEZZNS1_9scan_implILNS1_25lookback_scan_determinismE0ELb1ELb1ES3_N6thrust23THRUST_200600_302600_NS6detail15normal_iteratorINS9_10device_ptrIjEEEENSB_INSC_IfEEEEiNS9_4plusIvEEiEEDaPvRmT3_T4_T5_mT6_P12ihipStream_tbENKUlT_T0_E_clISt17integral_constantIbLb1EESW_EEDaSR_SS_EUlSR_E_NS1_11comp_targetILNS1_3genE4ELNS1_11target_archE910ELNS1_3gpuE8ELNS1_3repE0EEENS1_30default_config_static_selectorELNS0_4arch9wavefront6targetE1EEEvT1_
                                        ; -- End function
	.section	.AMDGPU.csdata,"",@progbits
; Kernel info:
; codeLenInByte = 4660
; NumSgprs: 44
; NumVgprs: 41
; NumAgprs: 0
; TotalNumVgprs: 41
; ScratchSize: 0
; MemoryBound: 0
; FloatMode: 240
; IeeeMode: 1
; LDSByteSize: 5120 bytes/workgroup (compile time only)
; SGPRBlocks: 5
; VGPRBlocks: 5
; NumSGPRsForWavesPerEU: 44
; NumVGPRsForWavesPerEU: 41
; AccumOffset: 44
; Occupancy: 6
; WaveLimiterHint : 1
; COMPUTE_PGM_RSRC2:SCRATCH_EN: 0
; COMPUTE_PGM_RSRC2:USER_SGPR: 6
; COMPUTE_PGM_RSRC2:TRAP_HANDLER: 0
; COMPUTE_PGM_RSRC2:TGID_X_EN: 1
; COMPUTE_PGM_RSRC2:TGID_Y_EN: 0
; COMPUTE_PGM_RSRC2:TGID_Z_EN: 0
; COMPUTE_PGM_RSRC2:TIDIG_COMP_CNT: 0
; COMPUTE_PGM_RSRC3_GFX90A:ACCUM_OFFSET: 10
; COMPUTE_PGM_RSRC3_GFX90A:TG_SPLIT: 0
	.section	.text._ZN7rocprim17ROCPRIM_400000_NS6detail17trampoline_kernelINS0_14default_configENS1_20scan_config_selectorIiEEZZNS1_9scan_implILNS1_25lookback_scan_determinismE0ELb1ELb1ES3_N6thrust23THRUST_200600_302600_NS6detail15normal_iteratorINS9_10device_ptrIjEEEENSB_INSC_IfEEEEiNS9_4plusIvEEiEEDaPvRmT3_T4_T5_mT6_P12ihipStream_tbENKUlT_T0_E_clISt17integral_constantIbLb1EESW_EEDaSR_SS_EUlSR_E_NS1_11comp_targetILNS1_3genE3ELNS1_11target_archE908ELNS1_3gpuE7ELNS1_3repE0EEENS1_30default_config_static_selectorELNS0_4arch9wavefront6targetE1EEEvT1_,"axG",@progbits,_ZN7rocprim17ROCPRIM_400000_NS6detail17trampoline_kernelINS0_14default_configENS1_20scan_config_selectorIiEEZZNS1_9scan_implILNS1_25lookback_scan_determinismE0ELb1ELb1ES3_N6thrust23THRUST_200600_302600_NS6detail15normal_iteratorINS9_10device_ptrIjEEEENSB_INSC_IfEEEEiNS9_4plusIvEEiEEDaPvRmT3_T4_T5_mT6_P12ihipStream_tbENKUlT_T0_E_clISt17integral_constantIbLb1EESW_EEDaSR_SS_EUlSR_E_NS1_11comp_targetILNS1_3genE3ELNS1_11target_archE908ELNS1_3gpuE7ELNS1_3repE0EEENS1_30default_config_static_selectorELNS0_4arch9wavefront6targetE1EEEvT1_,comdat
	.protected	_ZN7rocprim17ROCPRIM_400000_NS6detail17trampoline_kernelINS0_14default_configENS1_20scan_config_selectorIiEEZZNS1_9scan_implILNS1_25lookback_scan_determinismE0ELb1ELb1ES3_N6thrust23THRUST_200600_302600_NS6detail15normal_iteratorINS9_10device_ptrIjEEEENSB_INSC_IfEEEEiNS9_4plusIvEEiEEDaPvRmT3_T4_T5_mT6_P12ihipStream_tbENKUlT_T0_E_clISt17integral_constantIbLb1EESW_EEDaSR_SS_EUlSR_E_NS1_11comp_targetILNS1_3genE3ELNS1_11target_archE908ELNS1_3gpuE7ELNS1_3repE0EEENS1_30default_config_static_selectorELNS0_4arch9wavefront6targetE1EEEvT1_ ; -- Begin function _ZN7rocprim17ROCPRIM_400000_NS6detail17trampoline_kernelINS0_14default_configENS1_20scan_config_selectorIiEEZZNS1_9scan_implILNS1_25lookback_scan_determinismE0ELb1ELb1ES3_N6thrust23THRUST_200600_302600_NS6detail15normal_iteratorINS9_10device_ptrIjEEEENSB_INSC_IfEEEEiNS9_4plusIvEEiEEDaPvRmT3_T4_T5_mT6_P12ihipStream_tbENKUlT_T0_E_clISt17integral_constantIbLb1EESW_EEDaSR_SS_EUlSR_E_NS1_11comp_targetILNS1_3genE3ELNS1_11target_archE908ELNS1_3gpuE7ELNS1_3repE0EEENS1_30default_config_static_selectorELNS0_4arch9wavefront6targetE1EEEvT1_
	.globl	_ZN7rocprim17ROCPRIM_400000_NS6detail17trampoline_kernelINS0_14default_configENS1_20scan_config_selectorIiEEZZNS1_9scan_implILNS1_25lookback_scan_determinismE0ELb1ELb1ES3_N6thrust23THRUST_200600_302600_NS6detail15normal_iteratorINS9_10device_ptrIjEEEENSB_INSC_IfEEEEiNS9_4plusIvEEiEEDaPvRmT3_T4_T5_mT6_P12ihipStream_tbENKUlT_T0_E_clISt17integral_constantIbLb1EESW_EEDaSR_SS_EUlSR_E_NS1_11comp_targetILNS1_3genE3ELNS1_11target_archE908ELNS1_3gpuE7ELNS1_3repE0EEENS1_30default_config_static_selectorELNS0_4arch9wavefront6targetE1EEEvT1_
	.p2align	8
	.type	_ZN7rocprim17ROCPRIM_400000_NS6detail17trampoline_kernelINS0_14default_configENS1_20scan_config_selectorIiEEZZNS1_9scan_implILNS1_25lookback_scan_determinismE0ELb1ELb1ES3_N6thrust23THRUST_200600_302600_NS6detail15normal_iteratorINS9_10device_ptrIjEEEENSB_INSC_IfEEEEiNS9_4plusIvEEiEEDaPvRmT3_T4_T5_mT6_P12ihipStream_tbENKUlT_T0_E_clISt17integral_constantIbLb1EESW_EEDaSR_SS_EUlSR_E_NS1_11comp_targetILNS1_3genE3ELNS1_11target_archE908ELNS1_3gpuE7ELNS1_3repE0EEENS1_30default_config_static_selectorELNS0_4arch9wavefront6targetE1EEEvT1_,@function
_ZN7rocprim17ROCPRIM_400000_NS6detail17trampoline_kernelINS0_14default_configENS1_20scan_config_selectorIiEEZZNS1_9scan_implILNS1_25lookback_scan_determinismE0ELb1ELb1ES3_N6thrust23THRUST_200600_302600_NS6detail15normal_iteratorINS9_10device_ptrIjEEEENSB_INSC_IfEEEEiNS9_4plusIvEEiEEDaPvRmT3_T4_T5_mT6_P12ihipStream_tbENKUlT_T0_E_clISt17integral_constantIbLb1EESW_EEDaSR_SS_EUlSR_E_NS1_11comp_targetILNS1_3genE3ELNS1_11target_archE908ELNS1_3gpuE7ELNS1_3repE0EEENS1_30default_config_static_selectorELNS0_4arch9wavefront6targetE1EEEvT1_: ; @_ZN7rocprim17ROCPRIM_400000_NS6detail17trampoline_kernelINS0_14default_configENS1_20scan_config_selectorIiEEZZNS1_9scan_implILNS1_25lookback_scan_determinismE0ELb1ELb1ES3_N6thrust23THRUST_200600_302600_NS6detail15normal_iteratorINS9_10device_ptrIjEEEENSB_INSC_IfEEEEiNS9_4plusIvEEiEEDaPvRmT3_T4_T5_mT6_P12ihipStream_tbENKUlT_T0_E_clISt17integral_constantIbLb1EESW_EEDaSR_SS_EUlSR_E_NS1_11comp_targetILNS1_3genE3ELNS1_11target_archE908ELNS1_3gpuE7ELNS1_3repE0EEENS1_30default_config_static_selectorELNS0_4arch9wavefront6targetE1EEEvT1_
; %bb.0:
	.section	.rodata,"a",@progbits
	.p2align	6, 0x0
	.amdhsa_kernel _ZN7rocprim17ROCPRIM_400000_NS6detail17trampoline_kernelINS0_14default_configENS1_20scan_config_selectorIiEEZZNS1_9scan_implILNS1_25lookback_scan_determinismE0ELb1ELb1ES3_N6thrust23THRUST_200600_302600_NS6detail15normal_iteratorINS9_10device_ptrIjEEEENSB_INSC_IfEEEEiNS9_4plusIvEEiEEDaPvRmT3_T4_T5_mT6_P12ihipStream_tbENKUlT_T0_E_clISt17integral_constantIbLb1EESW_EEDaSR_SS_EUlSR_E_NS1_11comp_targetILNS1_3genE3ELNS1_11target_archE908ELNS1_3gpuE7ELNS1_3repE0EEENS1_30default_config_static_selectorELNS0_4arch9wavefront6targetE1EEEvT1_
		.amdhsa_group_segment_fixed_size 0
		.amdhsa_private_segment_fixed_size 0
		.amdhsa_kernarg_size 96
		.amdhsa_user_sgpr_count 6
		.amdhsa_user_sgpr_private_segment_buffer 1
		.amdhsa_user_sgpr_dispatch_ptr 0
		.amdhsa_user_sgpr_queue_ptr 0
		.amdhsa_user_sgpr_kernarg_segment_ptr 1
		.amdhsa_user_sgpr_dispatch_id 0
		.amdhsa_user_sgpr_flat_scratch_init 0
		.amdhsa_user_sgpr_kernarg_preload_length 0
		.amdhsa_user_sgpr_kernarg_preload_offset 0
		.amdhsa_user_sgpr_private_segment_size 0
		.amdhsa_uses_dynamic_stack 0
		.amdhsa_system_sgpr_private_segment_wavefront_offset 0
		.amdhsa_system_sgpr_workgroup_id_x 1
		.amdhsa_system_sgpr_workgroup_id_y 0
		.amdhsa_system_sgpr_workgroup_id_z 0
		.amdhsa_system_sgpr_workgroup_info 0
		.amdhsa_system_vgpr_workitem_id 0
		.amdhsa_next_free_vgpr 1
		.amdhsa_next_free_sgpr 0
		.amdhsa_accum_offset 4
		.amdhsa_reserve_vcc 0
		.amdhsa_reserve_flat_scratch 0
		.amdhsa_float_round_mode_32 0
		.amdhsa_float_round_mode_16_64 0
		.amdhsa_float_denorm_mode_32 3
		.amdhsa_float_denorm_mode_16_64 3
		.amdhsa_dx10_clamp 1
		.amdhsa_ieee_mode 1
		.amdhsa_fp16_overflow 0
		.amdhsa_tg_split 0
		.amdhsa_exception_fp_ieee_invalid_op 0
		.amdhsa_exception_fp_denorm_src 0
		.amdhsa_exception_fp_ieee_div_zero 0
		.amdhsa_exception_fp_ieee_overflow 0
		.amdhsa_exception_fp_ieee_underflow 0
		.amdhsa_exception_fp_ieee_inexact 0
		.amdhsa_exception_int_div_zero 0
	.end_amdhsa_kernel
	.section	.text._ZN7rocprim17ROCPRIM_400000_NS6detail17trampoline_kernelINS0_14default_configENS1_20scan_config_selectorIiEEZZNS1_9scan_implILNS1_25lookback_scan_determinismE0ELb1ELb1ES3_N6thrust23THRUST_200600_302600_NS6detail15normal_iteratorINS9_10device_ptrIjEEEENSB_INSC_IfEEEEiNS9_4plusIvEEiEEDaPvRmT3_T4_T5_mT6_P12ihipStream_tbENKUlT_T0_E_clISt17integral_constantIbLb1EESW_EEDaSR_SS_EUlSR_E_NS1_11comp_targetILNS1_3genE3ELNS1_11target_archE908ELNS1_3gpuE7ELNS1_3repE0EEENS1_30default_config_static_selectorELNS0_4arch9wavefront6targetE1EEEvT1_,"axG",@progbits,_ZN7rocprim17ROCPRIM_400000_NS6detail17trampoline_kernelINS0_14default_configENS1_20scan_config_selectorIiEEZZNS1_9scan_implILNS1_25lookback_scan_determinismE0ELb1ELb1ES3_N6thrust23THRUST_200600_302600_NS6detail15normal_iteratorINS9_10device_ptrIjEEEENSB_INSC_IfEEEEiNS9_4plusIvEEiEEDaPvRmT3_T4_T5_mT6_P12ihipStream_tbENKUlT_T0_E_clISt17integral_constantIbLb1EESW_EEDaSR_SS_EUlSR_E_NS1_11comp_targetILNS1_3genE3ELNS1_11target_archE908ELNS1_3gpuE7ELNS1_3repE0EEENS1_30default_config_static_selectorELNS0_4arch9wavefront6targetE1EEEvT1_,comdat
.Lfunc_end6181:
	.size	_ZN7rocprim17ROCPRIM_400000_NS6detail17trampoline_kernelINS0_14default_configENS1_20scan_config_selectorIiEEZZNS1_9scan_implILNS1_25lookback_scan_determinismE0ELb1ELb1ES3_N6thrust23THRUST_200600_302600_NS6detail15normal_iteratorINS9_10device_ptrIjEEEENSB_INSC_IfEEEEiNS9_4plusIvEEiEEDaPvRmT3_T4_T5_mT6_P12ihipStream_tbENKUlT_T0_E_clISt17integral_constantIbLb1EESW_EEDaSR_SS_EUlSR_E_NS1_11comp_targetILNS1_3genE3ELNS1_11target_archE908ELNS1_3gpuE7ELNS1_3repE0EEENS1_30default_config_static_selectorELNS0_4arch9wavefront6targetE1EEEvT1_, .Lfunc_end6181-_ZN7rocprim17ROCPRIM_400000_NS6detail17trampoline_kernelINS0_14default_configENS1_20scan_config_selectorIiEEZZNS1_9scan_implILNS1_25lookback_scan_determinismE0ELb1ELb1ES3_N6thrust23THRUST_200600_302600_NS6detail15normal_iteratorINS9_10device_ptrIjEEEENSB_INSC_IfEEEEiNS9_4plusIvEEiEEDaPvRmT3_T4_T5_mT6_P12ihipStream_tbENKUlT_T0_E_clISt17integral_constantIbLb1EESW_EEDaSR_SS_EUlSR_E_NS1_11comp_targetILNS1_3genE3ELNS1_11target_archE908ELNS1_3gpuE7ELNS1_3repE0EEENS1_30default_config_static_selectorELNS0_4arch9wavefront6targetE1EEEvT1_
                                        ; -- End function
	.section	.AMDGPU.csdata,"",@progbits
; Kernel info:
; codeLenInByte = 0
; NumSgprs: 4
; NumVgprs: 0
; NumAgprs: 0
; TotalNumVgprs: 0
; ScratchSize: 0
; MemoryBound: 0
; FloatMode: 240
; IeeeMode: 1
; LDSByteSize: 0 bytes/workgroup (compile time only)
; SGPRBlocks: 0
; VGPRBlocks: 0
; NumSGPRsForWavesPerEU: 4
; NumVGPRsForWavesPerEU: 1
; AccumOffset: 4
; Occupancy: 8
; WaveLimiterHint : 0
; COMPUTE_PGM_RSRC2:SCRATCH_EN: 0
; COMPUTE_PGM_RSRC2:USER_SGPR: 6
; COMPUTE_PGM_RSRC2:TRAP_HANDLER: 0
; COMPUTE_PGM_RSRC2:TGID_X_EN: 1
; COMPUTE_PGM_RSRC2:TGID_Y_EN: 0
; COMPUTE_PGM_RSRC2:TGID_Z_EN: 0
; COMPUTE_PGM_RSRC2:TIDIG_COMP_CNT: 0
; COMPUTE_PGM_RSRC3_GFX90A:ACCUM_OFFSET: 0
; COMPUTE_PGM_RSRC3_GFX90A:TG_SPLIT: 0
	.section	.text._ZN7rocprim17ROCPRIM_400000_NS6detail17trampoline_kernelINS0_14default_configENS1_20scan_config_selectorIiEEZZNS1_9scan_implILNS1_25lookback_scan_determinismE0ELb1ELb1ES3_N6thrust23THRUST_200600_302600_NS6detail15normal_iteratorINS9_10device_ptrIjEEEENSB_INSC_IfEEEEiNS9_4plusIvEEiEEDaPvRmT3_T4_T5_mT6_P12ihipStream_tbENKUlT_T0_E_clISt17integral_constantIbLb1EESW_EEDaSR_SS_EUlSR_E_NS1_11comp_targetILNS1_3genE2ELNS1_11target_archE906ELNS1_3gpuE6ELNS1_3repE0EEENS1_30default_config_static_selectorELNS0_4arch9wavefront6targetE1EEEvT1_,"axG",@progbits,_ZN7rocprim17ROCPRIM_400000_NS6detail17trampoline_kernelINS0_14default_configENS1_20scan_config_selectorIiEEZZNS1_9scan_implILNS1_25lookback_scan_determinismE0ELb1ELb1ES3_N6thrust23THRUST_200600_302600_NS6detail15normal_iteratorINS9_10device_ptrIjEEEENSB_INSC_IfEEEEiNS9_4plusIvEEiEEDaPvRmT3_T4_T5_mT6_P12ihipStream_tbENKUlT_T0_E_clISt17integral_constantIbLb1EESW_EEDaSR_SS_EUlSR_E_NS1_11comp_targetILNS1_3genE2ELNS1_11target_archE906ELNS1_3gpuE6ELNS1_3repE0EEENS1_30default_config_static_selectorELNS0_4arch9wavefront6targetE1EEEvT1_,comdat
	.protected	_ZN7rocprim17ROCPRIM_400000_NS6detail17trampoline_kernelINS0_14default_configENS1_20scan_config_selectorIiEEZZNS1_9scan_implILNS1_25lookback_scan_determinismE0ELb1ELb1ES3_N6thrust23THRUST_200600_302600_NS6detail15normal_iteratorINS9_10device_ptrIjEEEENSB_INSC_IfEEEEiNS9_4plusIvEEiEEDaPvRmT3_T4_T5_mT6_P12ihipStream_tbENKUlT_T0_E_clISt17integral_constantIbLb1EESW_EEDaSR_SS_EUlSR_E_NS1_11comp_targetILNS1_3genE2ELNS1_11target_archE906ELNS1_3gpuE6ELNS1_3repE0EEENS1_30default_config_static_selectorELNS0_4arch9wavefront6targetE1EEEvT1_ ; -- Begin function _ZN7rocprim17ROCPRIM_400000_NS6detail17trampoline_kernelINS0_14default_configENS1_20scan_config_selectorIiEEZZNS1_9scan_implILNS1_25lookback_scan_determinismE0ELb1ELb1ES3_N6thrust23THRUST_200600_302600_NS6detail15normal_iteratorINS9_10device_ptrIjEEEENSB_INSC_IfEEEEiNS9_4plusIvEEiEEDaPvRmT3_T4_T5_mT6_P12ihipStream_tbENKUlT_T0_E_clISt17integral_constantIbLb1EESW_EEDaSR_SS_EUlSR_E_NS1_11comp_targetILNS1_3genE2ELNS1_11target_archE906ELNS1_3gpuE6ELNS1_3repE0EEENS1_30default_config_static_selectorELNS0_4arch9wavefront6targetE1EEEvT1_
	.globl	_ZN7rocprim17ROCPRIM_400000_NS6detail17trampoline_kernelINS0_14default_configENS1_20scan_config_selectorIiEEZZNS1_9scan_implILNS1_25lookback_scan_determinismE0ELb1ELb1ES3_N6thrust23THRUST_200600_302600_NS6detail15normal_iteratorINS9_10device_ptrIjEEEENSB_INSC_IfEEEEiNS9_4plusIvEEiEEDaPvRmT3_T4_T5_mT6_P12ihipStream_tbENKUlT_T0_E_clISt17integral_constantIbLb1EESW_EEDaSR_SS_EUlSR_E_NS1_11comp_targetILNS1_3genE2ELNS1_11target_archE906ELNS1_3gpuE6ELNS1_3repE0EEENS1_30default_config_static_selectorELNS0_4arch9wavefront6targetE1EEEvT1_
	.p2align	8
	.type	_ZN7rocprim17ROCPRIM_400000_NS6detail17trampoline_kernelINS0_14default_configENS1_20scan_config_selectorIiEEZZNS1_9scan_implILNS1_25lookback_scan_determinismE0ELb1ELb1ES3_N6thrust23THRUST_200600_302600_NS6detail15normal_iteratorINS9_10device_ptrIjEEEENSB_INSC_IfEEEEiNS9_4plusIvEEiEEDaPvRmT3_T4_T5_mT6_P12ihipStream_tbENKUlT_T0_E_clISt17integral_constantIbLb1EESW_EEDaSR_SS_EUlSR_E_NS1_11comp_targetILNS1_3genE2ELNS1_11target_archE906ELNS1_3gpuE6ELNS1_3repE0EEENS1_30default_config_static_selectorELNS0_4arch9wavefront6targetE1EEEvT1_,@function
_ZN7rocprim17ROCPRIM_400000_NS6detail17trampoline_kernelINS0_14default_configENS1_20scan_config_selectorIiEEZZNS1_9scan_implILNS1_25lookback_scan_determinismE0ELb1ELb1ES3_N6thrust23THRUST_200600_302600_NS6detail15normal_iteratorINS9_10device_ptrIjEEEENSB_INSC_IfEEEEiNS9_4plusIvEEiEEDaPvRmT3_T4_T5_mT6_P12ihipStream_tbENKUlT_T0_E_clISt17integral_constantIbLb1EESW_EEDaSR_SS_EUlSR_E_NS1_11comp_targetILNS1_3genE2ELNS1_11target_archE906ELNS1_3gpuE6ELNS1_3repE0EEENS1_30default_config_static_selectorELNS0_4arch9wavefront6targetE1EEEvT1_: ; @_ZN7rocprim17ROCPRIM_400000_NS6detail17trampoline_kernelINS0_14default_configENS1_20scan_config_selectorIiEEZZNS1_9scan_implILNS1_25lookback_scan_determinismE0ELb1ELb1ES3_N6thrust23THRUST_200600_302600_NS6detail15normal_iteratorINS9_10device_ptrIjEEEENSB_INSC_IfEEEEiNS9_4plusIvEEiEEDaPvRmT3_T4_T5_mT6_P12ihipStream_tbENKUlT_T0_E_clISt17integral_constantIbLb1EESW_EEDaSR_SS_EUlSR_E_NS1_11comp_targetILNS1_3genE2ELNS1_11target_archE906ELNS1_3gpuE6ELNS1_3repE0EEENS1_30default_config_static_selectorELNS0_4arch9wavefront6targetE1EEEvT1_
; %bb.0:
	.section	.rodata,"a",@progbits
	.p2align	6, 0x0
	.amdhsa_kernel _ZN7rocprim17ROCPRIM_400000_NS6detail17trampoline_kernelINS0_14default_configENS1_20scan_config_selectorIiEEZZNS1_9scan_implILNS1_25lookback_scan_determinismE0ELb1ELb1ES3_N6thrust23THRUST_200600_302600_NS6detail15normal_iteratorINS9_10device_ptrIjEEEENSB_INSC_IfEEEEiNS9_4plusIvEEiEEDaPvRmT3_T4_T5_mT6_P12ihipStream_tbENKUlT_T0_E_clISt17integral_constantIbLb1EESW_EEDaSR_SS_EUlSR_E_NS1_11comp_targetILNS1_3genE2ELNS1_11target_archE906ELNS1_3gpuE6ELNS1_3repE0EEENS1_30default_config_static_selectorELNS0_4arch9wavefront6targetE1EEEvT1_
		.amdhsa_group_segment_fixed_size 0
		.amdhsa_private_segment_fixed_size 0
		.amdhsa_kernarg_size 96
		.amdhsa_user_sgpr_count 6
		.amdhsa_user_sgpr_private_segment_buffer 1
		.amdhsa_user_sgpr_dispatch_ptr 0
		.amdhsa_user_sgpr_queue_ptr 0
		.amdhsa_user_sgpr_kernarg_segment_ptr 1
		.amdhsa_user_sgpr_dispatch_id 0
		.amdhsa_user_sgpr_flat_scratch_init 0
		.amdhsa_user_sgpr_kernarg_preload_length 0
		.amdhsa_user_sgpr_kernarg_preload_offset 0
		.amdhsa_user_sgpr_private_segment_size 0
		.amdhsa_uses_dynamic_stack 0
		.amdhsa_system_sgpr_private_segment_wavefront_offset 0
		.amdhsa_system_sgpr_workgroup_id_x 1
		.amdhsa_system_sgpr_workgroup_id_y 0
		.amdhsa_system_sgpr_workgroup_id_z 0
		.amdhsa_system_sgpr_workgroup_info 0
		.amdhsa_system_vgpr_workitem_id 0
		.amdhsa_next_free_vgpr 1
		.amdhsa_next_free_sgpr 0
		.amdhsa_accum_offset 4
		.amdhsa_reserve_vcc 0
		.amdhsa_reserve_flat_scratch 0
		.amdhsa_float_round_mode_32 0
		.amdhsa_float_round_mode_16_64 0
		.amdhsa_float_denorm_mode_32 3
		.amdhsa_float_denorm_mode_16_64 3
		.amdhsa_dx10_clamp 1
		.amdhsa_ieee_mode 1
		.amdhsa_fp16_overflow 0
		.amdhsa_tg_split 0
		.amdhsa_exception_fp_ieee_invalid_op 0
		.amdhsa_exception_fp_denorm_src 0
		.amdhsa_exception_fp_ieee_div_zero 0
		.amdhsa_exception_fp_ieee_overflow 0
		.amdhsa_exception_fp_ieee_underflow 0
		.amdhsa_exception_fp_ieee_inexact 0
		.amdhsa_exception_int_div_zero 0
	.end_amdhsa_kernel
	.section	.text._ZN7rocprim17ROCPRIM_400000_NS6detail17trampoline_kernelINS0_14default_configENS1_20scan_config_selectorIiEEZZNS1_9scan_implILNS1_25lookback_scan_determinismE0ELb1ELb1ES3_N6thrust23THRUST_200600_302600_NS6detail15normal_iteratorINS9_10device_ptrIjEEEENSB_INSC_IfEEEEiNS9_4plusIvEEiEEDaPvRmT3_T4_T5_mT6_P12ihipStream_tbENKUlT_T0_E_clISt17integral_constantIbLb1EESW_EEDaSR_SS_EUlSR_E_NS1_11comp_targetILNS1_3genE2ELNS1_11target_archE906ELNS1_3gpuE6ELNS1_3repE0EEENS1_30default_config_static_selectorELNS0_4arch9wavefront6targetE1EEEvT1_,"axG",@progbits,_ZN7rocprim17ROCPRIM_400000_NS6detail17trampoline_kernelINS0_14default_configENS1_20scan_config_selectorIiEEZZNS1_9scan_implILNS1_25lookback_scan_determinismE0ELb1ELb1ES3_N6thrust23THRUST_200600_302600_NS6detail15normal_iteratorINS9_10device_ptrIjEEEENSB_INSC_IfEEEEiNS9_4plusIvEEiEEDaPvRmT3_T4_T5_mT6_P12ihipStream_tbENKUlT_T0_E_clISt17integral_constantIbLb1EESW_EEDaSR_SS_EUlSR_E_NS1_11comp_targetILNS1_3genE2ELNS1_11target_archE906ELNS1_3gpuE6ELNS1_3repE0EEENS1_30default_config_static_selectorELNS0_4arch9wavefront6targetE1EEEvT1_,comdat
.Lfunc_end6182:
	.size	_ZN7rocprim17ROCPRIM_400000_NS6detail17trampoline_kernelINS0_14default_configENS1_20scan_config_selectorIiEEZZNS1_9scan_implILNS1_25lookback_scan_determinismE0ELb1ELb1ES3_N6thrust23THRUST_200600_302600_NS6detail15normal_iteratorINS9_10device_ptrIjEEEENSB_INSC_IfEEEEiNS9_4plusIvEEiEEDaPvRmT3_T4_T5_mT6_P12ihipStream_tbENKUlT_T0_E_clISt17integral_constantIbLb1EESW_EEDaSR_SS_EUlSR_E_NS1_11comp_targetILNS1_3genE2ELNS1_11target_archE906ELNS1_3gpuE6ELNS1_3repE0EEENS1_30default_config_static_selectorELNS0_4arch9wavefront6targetE1EEEvT1_, .Lfunc_end6182-_ZN7rocprim17ROCPRIM_400000_NS6detail17trampoline_kernelINS0_14default_configENS1_20scan_config_selectorIiEEZZNS1_9scan_implILNS1_25lookback_scan_determinismE0ELb1ELb1ES3_N6thrust23THRUST_200600_302600_NS6detail15normal_iteratorINS9_10device_ptrIjEEEENSB_INSC_IfEEEEiNS9_4plusIvEEiEEDaPvRmT3_T4_T5_mT6_P12ihipStream_tbENKUlT_T0_E_clISt17integral_constantIbLb1EESW_EEDaSR_SS_EUlSR_E_NS1_11comp_targetILNS1_3genE2ELNS1_11target_archE906ELNS1_3gpuE6ELNS1_3repE0EEENS1_30default_config_static_selectorELNS0_4arch9wavefront6targetE1EEEvT1_
                                        ; -- End function
	.section	.AMDGPU.csdata,"",@progbits
; Kernel info:
; codeLenInByte = 0
; NumSgprs: 4
; NumVgprs: 0
; NumAgprs: 0
; TotalNumVgprs: 0
; ScratchSize: 0
; MemoryBound: 0
; FloatMode: 240
; IeeeMode: 1
; LDSByteSize: 0 bytes/workgroup (compile time only)
; SGPRBlocks: 0
; VGPRBlocks: 0
; NumSGPRsForWavesPerEU: 4
; NumVGPRsForWavesPerEU: 1
; AccumOffset: 4
; Occupancy: 8
; WaveLimiterHint : 0
; COMPUTE_PGM_RSRC2:SCRATCH_EN: 0
; COMPUTE_PGM_RSRC2:USER_SGPR: 6
; COMPUTE_PGM_RSRC2:TRAP_HANDLER: 0
; COMPUTE_PGM_RSRC2:TGID_X_EN: 1
; COMPUTE_PGM_RSRC2:TGID_Y_EN: 0
; COMPUTE_PGM_RSRC2:TGID_Z_EN: 0
; COMPUTE_PGM_RSRC2:TIDIG_COMP_CNT: 0
; COMPUTE_PGM_RSRC3_GFX90A:ACCUM_OFFSET: 0
; COMPUTE_PGM_RSRC3_GFX90A:TG_SPLIT: 0
	.section	.text._ZN7rocprim17ROCPRIM_400000_NS6detail17trampoline_kernelINS0_14default_configENS1_20scan_config_selectorIiEEZZNS1_9scan_implILNS1_25lookback_scan_determinismE0ELb1ELb1ES3_N6thrust23THRUST_200600_302600_NS6detail15normal_iteratorINS9_10device_ptrIjEEEENSB_INSC_IfEEEEiNS9_4plusIvEEiEEDaPvRmT3_T4_T5_mT6_P12ihipStream_tbENKUlT_T0_E_clISt17integral_constantIbLb1EESW_EEDaSR_SS_EUlSR_E_NS1_11comp_targetILNS1_3genE10ELNS1_11target_archE1201ELNS1_3gpuE5ELNS1_3repE0EEENS1_30default_config_static_selectorELNS0_4arch9wavefront6targetE1EEEvT1_,"axG",@progbits,_ZN7rocprim17ROCPRIM_400000_NS6detail17trampoline_kernelINS0_14default_configENS1_20scan_config_selectorIiEEZZNS1_9scan_implILNS1_25lookback_scan_determinismE0ELb1ELb1ES3_N6thrust23THRUST_200600_302600_NS6detail15normal_iteratorINS9_10device_ptrIjEEEENSB_INSC_IfEEEEiNS9_4plusIvEEiEEDaPvRmT3_T4_T5_mT6_P12ihipStream_tbENKUlT_T0_E_clISt17integral_constantIbLb1EESW_EEDaSR_SS_EUlSR_E_NS1_11comp_targetILNS1_3genE10ELNS1_11target_archE1201ELNS1_3gpuE5ELNS1_3repE0EEENS1_30default_config_static_selectorELNS0_4arch9wavefront6targetE1EEEvT1_,comdat
	.protected	_ZN7rocprim17ROCPRIM_400000_NS6detail17trampoline_kernelINS0_14default_configENS1_20scan_config_selectorIiEEZZNS1_9scan_implILNS1_25lookback_scan_determinismE0ELb1ELb1ES3_N6thrust23THRUST_200600_302600_NS6detail15normal_iteratorINS9_10device_ptrIjEEEENSB_INSC_IfEEEEiNS9_4plusIvEEiEEDaPvRmT3_T4_T5_mT6_P12ihipStream_tbENKUlT_T0_E_clISt17integral_constantIbLb1EESW_EEDaSR_SS_EUlSR_E_NS1_11comp_targetILNS1_3genE10ELNS1_11target_archE1201ELNS1_3gpuE5ELNS1_3repE0EEENS1_30default_config_static_selectorELNS0_4arch9wavefront6targetE1EEEvT1_ ; -- Begin function _ZN7rocprim17ROCPRIM_400000_NS6detail17trampoline_kernelINS0_14default_configENS1_20scan_config_selectorIiEEZZNS1_9scan_implILNS1_25lookback_scan_determinismE0ELb1ELb1ES3_N6thrust23THRUST_200600_302600_NS6detail15normal_iteratorINS9_10device_ptrIjEEEENSB_INSC_IfEEEEiNS9_4plusIvEEiEEDaPvRmT3_T4_T5_mT6_P12ihipStream_tbENKUlT_T0_E_clISt17integral_constantIbLb1EESW_EEDaSR_SS_EUlSR_E_NS1_11comp_targetILNS1_3genE10ELNS1_11target_archE1201ELNS1_3gpuE5ELNS1_3repE0EEENS1_30default_config_static_selectorELNS0_4arch9wavefront6targetE1EEEvT1_
	.globl	_ZN7rocprim17ROCPRIM_400000_NS6detail17trampoline_kernelINS0_14default_configENS1_20scan_config_selectorIiEEZZNS1_9scan_implILNS1_25lookback_scan_determinismE0ELb1ELb1ES3_N6thrust23THRUST_200600_302600_NS6detail15normal_iteratorINS9_10device_ptrIjEEEENSB_INSC_IfEEEEiNS9_4plusIvEEiEEDaPvRmT3_T4_T5_mT6_P12ihipStream_tbENKUlT_T0_E_clISt17integral_constantIbLb1EESW_EEDaSR_SS_EUlSR_E_NS1_11comp_targetILNS1_3genE10ELNS1_11target_archE1201ELNS1_3gpuE5ELNS1_3repE0EEENS1_30default_config_static_selectorELNS0_4arch9wavefront6targetE1EEEvT1_
	.p2align	8
	.type	_ZN7rocprim17ROCPRIM_400000_NS6detail17trampoline_kernelINS0_14default_configENS1_20scan_config_selectorIiEEZZNS1_9scan_implILNS1_25lookback_scan_determinismE0ELb1ELb1ES3_N6thrust23THRUST_200600_302600_NS6detail15normal_iteratorINS9_10device_ptrIjEEEENSB_INSC_IfEEEEiNS9_4plusIvEEiEEDaPvRmT3_T4_T5_mT6_P12ihipStream_tbENKUlT_T0_E_clISt17integral_constantIbLb1EESW_EEDaSR_SS_EUlSR_E_NS1_11comp_targetILNS1_3genE10ELNS1_11target_archE1201ELNS1_3gpuE5ELNS1_3repE0EEENS1_30default_config_static_selectorELNS0_4arch9wavefront6targetE1EEEvT1_,@function
_ZN7rocprim17ROCPRIM_400000_NS6detail17trampoline_kernelINS0_14default_configENS1_20scan_config_selectorIiEEZZNS1_9scan_implILNS1_25lookback_scan_determinismE0ELb1ELb1ES3_N6thrust23THRUST_200600_302600_NS6detail15normal_iteratorINS9_10device_ptrIjEEEENSB_INSC_IfEEEEiNS9_4plusIvEEiEEDaPvRmT3_T4_T5_mT6_P12ihipStream_tbENKUlT_T0_E_clISt17integral_constantIbLb1EESW_EEDaSR_SS_EUlSR_E_NS1_11comp_targetILNS1_3genE10ELNS1_11target_archE1201ELNS1_3gpuE5ELNS1_3repE0EEENS1_30default_config_static_selectorELNS0_4arch9wavefront6targetE1EEEvT1_: ; @_ZN7rocprim17ROCPRIM_400000_NS6detail17trampoline_kernelINS0_14default_configENS1_20scan_config_selectorIiEEZZNS1_9scan_implILNS1_25lookback_scan_determinismE0ELb1ELb1ES3_N6thrust23THRUST_200600_302600_NS6detail15normal_iteratorINS9_10device_ptrIjEEEENSB_INSC_IfEEEEiNS9_4plusIvEEiEEDaPvRmT3_T4_T5_mT6_P12ihipStream_tbENKUlT_T0_E_clISt17integral_constantIbLb1EESW_EEDaSR_SS_EUlSR_E_NS1_11comp_targetILNS1_3genE10ELNS1_11target_archE1201ELNS1_3gpuE5ELNS1_3repE0EEENS1_30default_config_static_selectorELNS0_4arch9wavefront6targetE1EEEvT1_
; %bb.0:
	.section	.rodata,"a",@progbits
	.p2align	6, 0x0
	.amdhsa_kernel _ZN7rocprim17ROCPRIM_400000_NS6detail17trampoline_kernelINS0_14default_configENS1_20scan_config_selectorIiEEZZNS1_9scan_implILNS1_25lookback_scan_determinismE0ELb1ELb1ES3_N6thrust23THRUST_200600_302600_NS6detail15normal_iteratorINS9_10device_ptrIjEEEENSB_INSC_IfEEEEiNS9_4plusIvEEiEEDaPvRmT3_T4_T5_mT6_P12ihipStream_tbENKUlT_T0_E_clISt17integral_constantIbLb1EESW_EEDaSR_SS_EUlSR_E_NS1_11comp_targetILNS1_3genE10ELNS1_11target_archE1201ELNS1_3gpuE5ELNS1_3repE0EEENS1_30default_config_static_selectorELNS0_4arch9wavefront6targetE1EEEvT1_
		.amdhsa_group_segment_fixed_size 0
		.amdhsa_private_segment_fixed_size 0
		.amdhsa_kernarg_size 96
		.amdhsa_user_sgpr_count 6
		.amdhsa_user_sgpr_private_segment_buffer 1
		.amdhsa_user_sgpr_dispatch_ptr 0
		.amdhsa_user_sgpr_queue_ptr 0
		.amdhsa_user_sgpr_kernarg_segment_ptr 1
		.amdhsa_user_sgpr_dispatch_id 0
		.amdhsa_user_sgpr_flat_scratch_init 0
		.amdhsa_user_sgpr_kernarg_preload_length 0
		.amdhsa_user_sgpr_kernarg_preload_offset 0
		.amdhsa_user_sgpr_private_segment_size 0
		.amdhsa_uses_dynamic_stack 0
		.amdhsa_system_sgpr_private_segment_wavefront_offset 0
		.amdhsa_system_sgpr_workgroup_id_x 1
		.amdhsa_system_sgpr_workgroup_id_y 0
		.amdhsa_system_sgpr_workgroup_id_z 0
		.amdhsa_system_sgpr_workgroup_info 0
		.amdhsa_system_vgpr_workitem_id 0
		.amdhsa_next_free_vgpr 1
		.amdhsa_next_free_sgpr 0
		.amdhsa_accum_offset 4
		.amdhsa_reserve_vcc 0
		.amdhsa_reserve_flat_scratch 0
		.amdhsa_float_round_mode_32 0
		.amdhsa_float_round_mode_16_64 0
		.amdhsa_float_denorm_mode_32 3
		.amdhsa_float_denorm_mode_16_64 3
		.amdhsa_dx10_clamp 1
		.amdhsa_ieee_mode 1
		.amdhsa_fp16_overflow 0
		.amdhsa_tg_split 0
		.amdhsa_exception_fp_ieee_invalid_op 0
		.amdhsa_exception_fp_denorm_src 0
		.amdhsa_exception_fp_ieee_div_zero 0
		.amdhsa_exception_fp_ieee_overflow 0
		.amdhsa_exception_fp_ieee_underflow 0
		.amdhsa_exception_fp_ieee_inexact 0
		.amdhsa_exception_int_div_zero 0
	.end_amdhsa_kernel
	.section	.text._ZN7rocprim17ROCPRIM_400000_NS6detail17trampoline_kernelINS0_14default_configENS1_20scan_config_selectorIiEEZZNS1_9scan_implILNS1_25lookback_scan_determinismE0ELb1ELb1ES3_N6thrust23THRUST_200600_302600_NS6detail15normal_iteratorINS9_10device_ptrIjEEEENSB_INSC_IfEEEEiNS9_4plusIvEEiEEDaPvRmT3_T4_T5_mT6_P12ihipStream_tbENKUlT_T0_E_clISt17integral_constantIbLb1EESW_EEDaSR_SS_EUlSR_E_NS1_11comp_targetILNS1_3genE10ELNS1_11target_archE1201ELNS1_3gpuE5ELNS1_3repE0EEENS1_30default_config_static_selectorELNS0_4arch9wavefront6targetE1EEEvT1_,"axG",@progbits,_ZN7rocprim17ROCPRIM_400000_NS6detail17trampoline_kernelINS0_14default_configENS1_20scan_config_selectorIiEEZZNS1_9scan_implILNS1_25lookback_scan_determinismE0ELb1ELb1ES3_N6thrust23THRUST_200600_302600_NS6detail15normal_iteratorINS9_10device_ptrIjEEEENSB_INSC_IfEEEEiNS9_4plusIvEEiEEDaPvRmT3_T4_T5_mT6_P12ihipStream_tbENKUlT_T0_E_clISt17integral_constantIbLb1EESW_EEDaSR_SS_EUlSR_E_NS1_11comp_targetILNS1_3genE10ELNS1_11target_archE1201ELNS1_3gpuE5ELNS1_3repE0EEENS1_30default_config_static_selectorELNS0_4arch9wavefront6targetE1EEEvT1_,comdat
.Lfunc_end6183:
	.size	_ZN7rocprim17ROCPRIM_400000_NS6detail17trampoline_kernelINS0_14default_configENS1_20scan_config_selectorIiEEZZNS1_9scan_implILNS1_25lookback_scan_determinismE0ELb1ELb1ES3_N6thrust23THRUST_200600_302600_NS6detail15normal_iteratorINS9_10device_ptrIjEEEENSB_INSC_IfEEEEiNS9_4plusIvEEiEEDaPvRmT3_T4_T5_mT6_P12ihipStream_tbENKUlT_T0_E_clISt17integral_constantIbLb1EESW_EEDaSR_SS_EUlSR_E_NS1_11comp_targetILNS1_3genE10ELNS1_11target_archE1201ELNS1_3gpuE5ELNS1_3repE0EEENS1_30default_config_static_selectorELNS0_4arch9wavefront6targetE1EEEvT1_, .Lfunc_end6183-_ZN7rocprim17ROCPRIM_400000_NS6detail17trampoline_kernelINS0_14default_configENS1_20scan_config_selectorIiEEZZNS1_9scan_implILNS1_25lookback_scan_determinismE0ELb1ELb1ES3_N6thrust23THRUST_200600_302600_NS6detail15normal_iteratorINS9_10device_ptrIjEEEENSB_INSC_IfEEEEiNS9_4plusIvEEiEEDaPvRmT3_T4_T5_mT6_P12ihipStream_tbENKUlT_T0_E_clISt17integral_constantIbLb1EESW_EEDaSR_SS_EUlSR_E_NS1_11comp_targetILNS1_3genE10ELNS1_11target_archE1201ELNS1_3gpuE5ELNS1_3repE0EEENS1_30default_config_static_selectorELNS0_4arch9wavefront6targetE1EEEvT1_
                                        ; -- End function
	.section	.AMDGPU.csdata,"",@progbits
; Kernel info:
; codeLenInByte = 0
; NumSgprs: 4
; NumVgprs: 0
; NumAgprs: 0
; TotalNumVgprs: 0
; ScratchSize: 0
; MemoryBound: 0
; FloatMode: 240
; IeeeMode: 1
; LDSByteSize: 0 bytes/workgroup (compile time only)
; SGPRBlocks: 0
; VGPRBlocks: 0
; NumSGPRsForWavesPerEU: 4
; NumVGPRsForWavesPerEU: 1
; AccumOffset: 4
; Occupancy: 8
; WaveLimiterHint : 0
; COMPUTE_PGM_RSRC2:SCRATCH_EN: 0
; COMPUTE_PGM_RSRC2:USER_SGPR: 6
; COMPUTE_PGM_RSRC2:TRAP_HANDLER: 0
; COMPUTE_PGM_RSRC2:TGID_X_EN: 1
; COMPUTE_PGM_RSRC2:TGID_Y_EN: 0
; COMPUTE_PGM_RSRC2:TGID_Z_EN: 0
; COMPUTE_PGM_RSRC2:TIDIG_COMP_CNT: 0
; COMPUTE_PGM_RSRC3_GFX90A:ACCUM_OFFSET: 0
; COMPUTE_PGM_RSRC3_GFX90A:TG_SPLIT: 0
	.section	.text._ZN7rocprim17ROCPRIM_400000_NS6detail17trampoline_kernelINS0_14default_configENS1_20scan_config_selectorIiEEZZNS1_9scan_implILNS1_25lookback_scan_determinismE0ELb1ELb1ES3_N6thrust23THRUST_200600_302600_NS6detail15normal_iteratorINS9_10device_ptrIjEEEENSB_INSC_IfEEEEiNS9_4plusIvEEiEEDaPvRmT3_T4_T5_mT6_P12ihipStream_tbENKUlT_T0_E_clISt17integral_constantIbLb1EESW_EEDaSR_SS_EUlSR_E_NS1_11comp_targetILNS1_3genE10ELNS1_11target_archE1200ELNS1_3gpuE4ELNS1_3repE0EEENS1_30default_config_static_selectorELNS0_4arch9wavefront6targetE1EEEvT1_,"axG",@progbits,_ZN7rocprim17ROCPRIM_400000_NS6detail17trampoline_kernelINS0_14default_configENS1_20scan_config_selectorIiEEZZNS1_9scan_implILNS1_25lookback_scan_determinismE0ELb1ELb1ES3_N6thrust23THRUST_200600_302600_NS6detail15normal_iteratorINS9_10device_ptrIjEEEENSB_INSC_IfEEEEiNS9_4plusIvEEiEEDaPvRmT3_T4_T5_mT6_P12ihipStream_tbENKUlT_T0_E_clISt17integral_constantIbLb1EESW_EEDaSR_SS_EUlSR_E_NS1_11comp_targetILNS1_3genE10ELNS1_11target_archE1200ELNS1_3gpuE4ELNS1_3repE0EEENS1_30default_config_static_selectorELNS0_4arch9wavefront6targetE1EEEvT1_,comdat
	.protected	_ZN7rocprim17ROCPRIM_400000_NS6detail17trampoline_kernelINS0_14default_configENS1_20scan_config_selectorIiEEZZNS1_9scan_implILNS1_25lookback_scan_determinismE0ELb1ELb1ES3_N6thrust23THRUST_200600_302600_NS6detail15normal_iteratorINS9_10device_ptrIjEEEENSB_INSC_IfEEEEiNS9_4plusIvEEiEEDaPvRmT3_T4_T5_mT6_P12ihipStream_tbENKUlT_T0_E_clISt17integral_constantIbLb1EESW_EEDaSR_SS_EUlSR_E_NS1_11comp_targetILNS1_3genE10ELNS1_11target_archE1200ELNS1_3gpuE4ELNS1_3repE0EEENS1_30default_config_static_selectorELNS0_4arch9wavefront6targetE1EEEvT1_ ; -- Begin function _ZN7rocprim17ROCPRIM_400000_NS6detail17trampoline_kernelINS0_14default_configENS1_20scan_config_selectorIiEEZZNS1_9scan_implILNS1_25lookback_scan_determinismE0ELb1ELb1ES3_N6thrust23THRUST_200600_302600_NS6detail15normal_iteratorINS9_10device_ptrIjEEEENSB_INSC_IfEEEEiNS9_4plusIvEEiEEDaPvRmT3_T4_T5_mT6_P12ihipStream_tbENKUlT_T0_E_clISt17integral_constantIbLb1EESW_EEDaSR_SS_EUlSR_E_NS1_11comp_targetILNS1_3genE10ELNS1_11target_archE1200ELNS1_3gpuE4ELNS1_3repE0EEENS1_30default_config_static_selectorELNS0_4arch9wavefront6targetE1EEEvT1_
	.globl	_ZN7rocprim17ROCPRIM_400000_NS6detail17trampoline_kernelINS0_14default_configENS1_20scan_config_selectorIiEEZZNS1_9scan_implILNS1_25lookback_scan_determinismE0ELb1ELb1ES3_N6thrust23THRUST_200600_302600_NS6detail15normal_iteratorINS9_10device_ptrIjEEEENSB_INSC_IfEEEEiNS9_4plusIvEEiEEDaPvRmT3_T4_T5_mT6_P12ihipStream_tbENKUlT_T0_E_clISt17integral_constantIbLb1EESW_EEDaSR_SS_EUlSR_E_NS1_11comp_targetILNS1_3genE10ELNS1_11target_archE1200ELNS1_3gpuE4ELNS1_3repE0EEENS1_30default_config_static_selectorELNS0_4arch9wavefront6targetE1EEEvT1_
	.p2align	8
	.type	_ZN7rocprim17ROCPRIM_400000_NS6detail17trampoline_kernelINS0_14default_configENS1_20scan_config_selectorIiEEZZNS1_9scan_implILNS1_25lookback_scan_determinismE0ELb1ELb1ES3_N6thrust23THRUST_200600_302600_NS6detail15normal_iteratorINS9_10device_ptrIjEEEENSB_INSC_IfEEEEiNS9_4plusIvEEiEEDaPvRmT3_T4_T5_mT6_P12ihipStream_tbENKUlT_T0_E_clISt17integral_constantIbLb1EESW_EEDaSR_SS_EUlSR_E_NS1_11comp_targetILNS1_3genE10ELNS1_11target_archE1200ELNS1_3gpuE4ELNS1_3repE0EEENS1_30default_config_static_selectorELNS0_4arch9wavefront6targetE1EEEvT1_,@function
_ZN7rocprim17ROCPRIM_400000_NS6detail17trampoline_kernelINS0_14default_configENS1_20scan_config_selectorIiEEZZNS1_9scan_implILNS1_25lookback_scan_determinismE0ELb1ELb1ES3_N6thrust23THRUST_200600_302600_NS6detail15normal_iteratorINS9_10device_ptrIjEEEENSB_INSC_IfEEEEiNS9_4plusIvEEiEEDaPvRmT3_T4_T5_mT6_P12ihipStream_tbENKUlT_T0_E_clISt17integral_constantIbLb1EESW_EEDaSR_SS_EUlSR_E_NS1_11comp_targetILNS1_3genE10ELNS1_11target_archE1200ELNS1_3gpuE4ELNS1_3repE0EEENS1_30default_config_static_selectorELNS0_4arch9wavefront6targetE1EEEvT1_: ; @_ZN7rocprim17ROCPRIM_400000_NS6detail17trampoline_kernelINS0_14default_configENS1_20scan_config_selectorIiEEZZNS1_9scan_implILNS1_25lookback_scan_determinismE0ELb1ELb1ES3_N6thrust23THRUST_200600_302600_NS6detail15normal_iteratorINS9_10device_ptrIjEEEENSB_INSC_IfEEEEiNS9_4plusIvEEiEEDaPvRmT3_T4_T5_mT6_P12ihipStream_tbENKUlT_T0_E_clISt17integral_constantIbLb1EESW_EEDaSR_SS_EUlSR_E_NS1_11comp_targetILNS1_3genE10ELNS1_11target_archE1200ELNS1_3gpuE4ELNS1_3repE0EEENS1_30default_config_static_selectorELNS0_4arch9wavefront6targetE1EEEvT1_
; %bb.0:
	.section	.rodata,"a",@progbits
	.p2align	6, 0x0
	.amdhsa_kernel _ZN7rocprim17ROCPRIM_400000_NS6detail17trampoline_kernelINS0_14default_configENS1_20scan_config_selectorIiEEZZNS1_9scan_implILNS1_25lookback_scan_determinismE0ELb1ELb1ES3_N6thrust23THRUST_200600_302600_NS6detail15normal_iteratorINS9_10device_ptrIjEEEENSB_INSC_IfEEEEiNS9_4plusIvEEiEEDaPvRmT3_T4_T5_mT6_P12ihipStream_tbENKUlT_T0_E_clISt17integral_constantIbLb1EESW_EEDaSR_SS_EUlSR_E_NS1_11comp_targetILNS1_3genE10ELNS1_11target_archE1200ELNS1_3gpuE4ELNS1_3repE0EEENS1_30default_config_static_selectorELNS0_4arch9wavefront6targetE1EEEvT1_
		.amdhsa_group_segment_fixed_size 0
		.amdhsa_private_segment_fixed_size 0
		.amdhsa_kernarg_size 96
		.amdhsa_user_sgpr_count 6
		.amdhsa_user_sgpr_private_segment_buffer 1
		.amdhsa_user_sgpr_dispatch_ptr 0
		.amdhsa_user_sgpr_queue_ptr 0
		.amdhsa_user_sgpr_kernarg_segment_ptr 1
		.amdhsa_user_sgpr_dispatch_id 0
		.amdhsa_user_sgpr_flat_scratch_init 0
		.amdhsa_user_sgpr_kernarg_preload_length 0
		.amdhsa_user_sgpr_kernarg_preload_offset 0
		.amdhsa_user_sgpr_private_segment_size 0
		.amdhsa_uses_dynamic_stack 0
		.amdhsa_system_sgpr_private_segment_wavefront_offset 0
		.amdhsa_system_sgpr_workgroup_id_x 1
		.amdhsa_system_sgpr_workgroup_id_y 0
		.amdhsa_system_sgpr_workgroup_id_z 0
		.amdhsa_system_sgpr_workgroup_info 0
		.amdhsa_system_vgpr_workitem_id 0
		.amdhsa_next_free_vgpr 1
		.amdhsa_next_free_sgpr 0
		.amdhsa_accum_offset 4
		.amdhsa_reserve_vcc 0
		.amdhsa_reserve_flat_scratch 0
		.amdhsa_float_round_mode_32 0
		.amdhsa_float_round_mode_16_64 0
		.amdhsa_float_denorm_mode_32 3
		.amdhsa_float_denorm_mode_16_64 3
		.amdhsa_dx10_clamp 1
		.amdhsa_ieee_mode 1
		.amdhsa_fp16_overflow 0
		.amdhsa_tg_split 0
		.amdhsa_exception_fp_ieee_invalid_op 0
		.amdhsa_exception_fp_denorm_src 0
		.amdhsa_exception_fp_ieee_div_zero 0
		.amdhsa_exception_fp_ieee_overflow 0
		.amdhsa_exception_fp_ieee_underflow 0
		.amdhsa_exception_fp_ieee_inexact 0
		.amdhsa_exception_int_div_zero 0
	.end_amdhsa_kernel
	.section	.text._ZN7rocprim17ROCPRIM_400000_NS6detail17trampoline_kernelINS0_14default_configENS1_20scan_config_selectorIiEEZZNS1_9scan_implILNS1_25lookback_scan_determinismE0ELb1ELb1ES3_N6thrust23THRUST_200600_302600_NS6detail15normal_iteratorINS9_10device_ptrIjEEEENSB_INSC_IfEEEEiNS9_4plusIvEEiEEDaPvRmT3_T4_T5_mT6_P12ihipStream_tbENKUlT_T0_E_clISt17integral_constantIbLb1EESW_EEDaSR_SS_EUlSR_E_NS1_11comp_targetILNS1_3genE10ELNS1_11target_archE1200ELNS1_3gpuE4ELNS1_3repE0EEENS1_30default_config_static_selectorELNS0_4arch9wavefront6targetE1EEEvT1_,"axG",@progbits,_ZN7rocprim17ROCPRIM_400000_NS6detail17trampoline_kernelINS0_14default_configENS1_20scan_config_selectorIiEEZZNS1_9scan_implILNS1_25lookback_scan_determinismE0ELb1ELb1ES3_N6thrust23THRUST_200600_302600_NS6detail15normal_iteratorINS9_10device_ptrIjEEEENSB_INSC_IfEEEEiNS9_4plusIvEEiEEDaPvRmT3_T4_T5_mT6_P12ihipStream_tbENKUlT_T0_E_clISt17integral_constantIbLb1EESW_EEDaSR_SS_EUlSR_E_NS1_11comp_targetILNS1_3genE10ELNS1_11target_archE1200ELNS1_3gpuE4ELNS1_3repE0EEENS1_30default_config_static_selectorELNS0_4arch9wavefront6targetE1EEEvT1_,comdat
.Lfunc_end6184:
	.size	_ZN7rocprim17ROCPRIM_400000_NS6detail17trampoline_kernelINS0_14default_configENS1_20scan_config_selectorIiEEZZNS1_9scan_implILNS1_25lookback_scan_determinismE0ELb1ELb1ES3_N6thrust23THRUST_200600_302600_NS6detail15normal_iteratorINS9_10device_ptrIjEEEENSB_INSC_IfEEEEiNS9_4plusIvEEiEEDaPvRmT3_T4_T5_mT6_P12ihipStream_tbENKUlT_T0_E_clISt17integral_constantIbLb1EESW_EEDaSR_SS_EUlSR_E_NS1_11comp_targetILNS1_3genE10ELNS1_11target_archE1200ELNS1_3gpuE4ELNS1_3repE0EEENS1_30default_config_static_selectorELNS0_4arch9wavefront6targetE1EEEvT1_, .Lfunc_end6184-_ZN7rocprim17ROCPRIM_400000_NS6detail17trampoline_kernelINS0_14default_configENS1_20scan_config_selectorIiEEZZNS1_9scan_implILNS1_25lookback_scan_determinismE0ELb1ELb1ES3_N6thrust23THRUST_200600_302600_NS6detail15normal_iteratorINS9_10device_ptrIjEEEENSB_INSC_IfEEEEiNS9_4plusIvEEiEEDaPvRmT3_T4_T5_mT6_P12ihipStream_tbENKUlT_T0_E_clISt17integral_constantIbLb1EESW_EEDaSR_SS_EUlSR_E_NS1_11comp_targetILNS1_3genE10ELNS1_11target_archE1200ELNS1_3gpuE4ELNS1_3repE0EEENS1_30default_config_static_selectorELNS0_4arch9wavefront6targetE1EEEvT1_
                                        ; -- End function
	.section	.AMDGPU.csdata,"",@progbits
; Kernel info:
; codeLenInByte = 0
; NumSgprs: 4
; NumVgprs: 0
; NumAgprs: 0
; TotalNumVgprs: 0
; ScratchSize: 0
; MemoryBound: 0
; FloatMode: 240
; IeeeMode: 1
; LDSByteSize: 0 bytes/workgroup (compile time only)
; SGPRBlocks: 0
; VGPRBlocks: 0
; NumSGPRsForWavesPerEU: 4
; NumVGPRsForWavesPerEU: 1
; AccumOffset: 4
; Occupancy: 8
; WaveLimiterHint : 0
; COMPUTE_PGM_RSRC2:SCRATCH_EN: 0
; COMPUTE_PGM_RSRC2:USER_SGPR: 6
; COMPUTE_PGM_RSRC2:TRAP_HANDLER: 0
; COMPUTE_PGM_RSRC2:TGID_X_EN: 1
; COMPUTE_PGM_RSRC2:TGID_Y_EN: 0
; COMPUTE_PGM_RSRC2:TGID_Z_EN: 0
; COMPUTE_PGM_RSRC2:TIDIG_COMP_CNT: 0
; COMPUTE_PGM_RSRC3_GFX90A:ACCUM_OFFSET: 0
; COMPUTE_PGM_RSRC3_GFX90A:TG_SPLIT: 0
	.section	.text._ZN7rocprim17ROCPRIM_400000_NS6detail17trampoline_kernelINS0_14default_configENS1_20scan_config_selectorIiEEZZNS1_9scan_implILNS1_25lookback_scan_determinismE0ELb1ELb1ES3_N6thrust23THRUST_200600_302600_NS6detail15normal_iteratorINS9_10device_ptrIjEEEENSB_INSC_IfEEEEiNS9_4plusIvEEiEEDaPvRmT3_T4_T5_mT6_P12ihipStream_tbENKUlT_T0_E_clISt17integral_constantIbLb1EESW_EEDaSR_SS_EUlSR_E_NS1_11comp_targetILNS1_3genE9ELNS1_11target_archE1100ELNS1_3gpuE3ELNS1_3repE0EEENS1_30default_config_static_selectorELNS0_4arch9wavefront6targetE1EEEvT1_,"axG",@progbits,_ZN7rocprim17ROCPRIM_400000_NS6detail17trampoline_kernelINS0_14default_configENS1_20scan_config_selectorIiEEZZNS1_9scan_implILNS1_25lookback_scan_determinismE0ELb1ELb1ES3_N6thrust23THRUST_200600_302600_NS6detail15normal_iteratorINS9_10device_ptrIjEEEENSB_INSC_IfEEEEiNS9_4plusIvEEiEEDaPvRmT3_T4_T5_mT6_P12ihipStream_tbENKUlT_T0_E_clISt17integral_constantIbLb1EESW_EEDaSR_SS_EUlSR_E_NS1_11comp_targetILNS1_3genE9ELNS1_11target_archE1100ELNS1_3gpuE3ELNS1_3repE0EEENS1_30default_config_static_selectorELNS0_4arch9wavefront6targetE1EEEvT1_,comdat
	.protected	_ZN7rocprim17ROCPRIM_400000_NS6detail17trampoline_kernelINS0_14default_configENS1_20scan_config_selectorIiEEZZNS1_9scan_implILNS1_25lookback_scan_determinismE0ELb1ELb1ES3_N6thrust23THRUST_200600_302600_NS6detail15normal_iteratorINS9_10device_ptrIjEEEENSB_INSC_IfEEEEiNS9_4plusIvEEiEEDaPvRmT3_T4_T5_mT6_P12ihipStream_tbENKUlT_T0_E_clISt17integral_constantIbLb1EESW_EEDaSR_SS_EUlSR_E_NS1_11comp_targetILNS1_3genE9ELNS1_11target_archE1100ELNS1_3gpuE3ELNS1_3repE0EEENS1_30default_config_static_selectorELNS0_4arch9wavefront6targetE1EEEvT1_ ; -- Begin function _ZN7rocprim17ROCPRIM_400000_NS6detail17trampoline_kernelINS0_14default_configENS1_20scan_config_selectorIiEEZZNS1_9scan_implILNS1_25lookback_scan_determinismE0ELb1ELb1ES3_N6thrust23THRUST_200600_302600_NS6detail15normal_iteratorINS9_10device_ptrIjEEEENSB_INSC_IfEEEEiNS9_4plusIvEEiEEDaPvRmT3_T4_T5_mT6_P12ihipStream_tbENKUlT_T0_E_clISt17integral_constantIbLb1EESW_EEDaSR_SS_EUlSR_E_NS1_11comp_targetILNS1_3genE9ELNS1_11target_archE1100ELNS1_3gpuE3ELNS1_3repE0EEENS1_30default_config_static_selectorELNS0_4arch9wavefront6targetE1EEEvT1_
	.globl	_ZN7rocprim17ROCPRIM_400000_NS6detail17trampoline_kernelINS0_14default_configENS1_20scan_config_selectorIiEEZZNS1_9scan_implILNS1_25lookback_scan_determinismE0ELb1ELb1ES3_N6thrust23THRUST_200600_302600_NS6detail15normal_iteratorINS9_10device_ptrIjEEEENSB_INSC_IfEEEEiNS9_4plusIvEEiEEDaPvRmT3_T4_T5_mT6_P12ihipStream_tbENKUlT_T0_E_clISt17integral_constantIbLb1EESW_EEDaSR_SS_EUlSR_E_NS1_11comp_targetILNS1_3genE9ELNS1_11target_archE1100ELNS1_3gpuE3ELNS1_3repE0EEENS1_30default_config_static_selectorELNS0_4arch9wavefront6targetE1EEEvT1_
	.p2align	8
	.type	_ZN7rocprim17ROCPRIM_400000_NS6detail17trampoline_kernelINS0_14default_configENS1_20scan_config_selectorIiEEZZNS1_9scan_implILNS1_25lookback_scan_determinismE0ELb1ELb1ES3_N6thrust23THRUST_200600_302600_NS6detail15normal_iteratorINS9_10device_ptrIjEEEENSB_INSC_IfEEEEiNS9_4plusIvEEiEEDaPvRmT3_T4_T5_mT6_P12ihipStream_tbENKUlT_T0_E_clISt17integral_constantIbLb1EESW_EEDaSR_SS_EUlSR_E_NS1_11comp_targetILNS1_3genE9ELNS1_11target_archE1100ELNS1_3gpuE3ELNS1_3repE0EEENS1_30default_config_static_selectorELNS0_4arch9wavefront6targetE1EEEvT1_,@function
_ZN7rocprim17ROCPRIM_400000_NS6detail17trampoline_kernelINS0_14default_configENS1_20scan_config_selectorIiEEZZNS1_9scan_implILNS1_25lookback_scan_determinismE0ELb1ELb1ES3_N6thrust23THRUST_200600_302600_NS6detail15normal_iteratorINS9_10device_ptrIjEEEENSB_INSC_IfEEEEiNS9_4plusIvEEiEEDaPvRmT3_T4_T5_mT6_P12ihipStream_tbENKUlT_T0_E_clISt17integral_constantIbLb1EESW_EEDaSR_SS_EUlSR_E_NS1_11comp_targetILNS1_3genE9ELNS1_11target_archE1100ELNS1_3gpuE3ELNS1_3repE0EEENS1_30default_config_static_selectorELNS0_4arch9wavefront6targetE1EEEvT1_: ; @_ZN7rocprim17ROCPRIM_400000_NS6detail17trampoline_kernelINS0_14default_configENS1_20scan_config_selectorIiEEZZNS1_9scan_implILNS1_25lookback_scan_determinismE0ELb1ELb1ES3_N6thrust23THRUST_200600_302600_NS6detail15normal_iteratorINS9_10device_ptrIjEEEENSB_INSC_IfEEEEiNS9_4plusIvEEiEEDaPvRmT3_T4_T5_mT6_P12ihipStream_tbENKUlT_T0_E_clISt17integral_constantIbLb1EESW_EEDaSR_SS_EUlSR_E_NS1_11comp_targetILNS1_3genE9ELNS1_11target_archE1100ELNS1_3gpuE3ELNS1_3repE0EEENS1_30default_config_static_selectorELNS0_4arch9wavefront6targetE1EEEvT1_
; %bb.0:
	.section	.rodata,"a",@progbits
	.p2align	6, 0x0
	.amdhsa_kernel _ZN7rocprim17ROCPRIM_400000_NS6detail17trampoline_kernelINS0_14default_configENS1_20scan_config_selectorIiEEZZNS1_9scan_implILNS1_25lookback_scan_determinismE0ELb1ELb1ES3_N6thrust23THRUST_200600_302600_NS6detail15normal_iteratorINS9_10device_ptrIjEEEENSB_INSC_IfEEEEiNS9_4plusIvEEiEEDaPvRmT3_T4_T5_mT6_P12ihipStream_tbENKUlT_T0_E_clISt17integral_constantIbLb1EESW_EEDaSR_SS_EUlSR_E_NS1_11comp_targetILNS1_3genE9ELNS1_11target_archE1100ELNS1_3gpuE3ELNS1_3repE0EEENS1_30default_config_static_selectorELNS0_4arch9wavefront6targetE1EEEvT1_
		.amdhsa_group_segment_fixed_size 0
		.amdhsa_private_segment_fixed_size 0
		.amdhsa_kernarg_size 96
		.amdhsa_user_sgpr_count 6
		.amdhsa_user_sgpr_private_segment_buffer 1
		.amdhsa_user_sgpr_dispatch_ptr 0
		.amdhsa_user_sgpr_queue_ptr 0
		.amdhsa_user_sgpr_kernarg_segment_ptr 1
		.amdhsa_user_sgpr_dispatch_id 0
		.amdhsa_user_sgpr_flat_scratch_init 0
		.amdhsa_user_sgpr_kernarg_preload_length 0
		.amdhsa_user_sgpr_kernarg_preload_offset 0
		.amdhsa_user_sgpr_private_segment_size 0
		.amdhsa_uses_dynamic_stack 0
		.amdhsa_system_sgpr_private_segment_wavefront_offset 0
		.amdhsa_system_sgpr_workgroup_id_x 1
		.amdhsa_system_sgpr_workgroup_id_y 0
		.amdhsa_system_sgpr_workgroup_id_z 0
		.amdhsa_system_sgpr_workgroup_info 0
		.amdhsa_system_vgpr_workitem_id 0
		.amdhsa_next_free_vgpr 1
		.amdhsa_next_free_sgpr 0
		.amdhsa_accum_offset 4
		.amdhsa_reserve_vcc 0
		.amdhsa_reserve_flat_scratch 0
		.amdhsa_float_round_mode_32 0
		.amdhsa_float_round_mode_16_64 0
		.amdhsa_float_denorm_mode_32 3
		.amdhsa_float_denorm_mode_16_64 3
		.amdhsa_dx10_clamp 1
		.amdhsa_ieee_mode 1
		.amdhsa_fp16_overflow 0
		.amdhsa_tg_split 0
		.amdhsa_exception_fp_ieee_invalid_op 0
		.amdhsa_exception_fp_denorm_src 0
		.amdhsa_exception_fp_ieee_div_zero 0
		.amdhsa_exception_fp_ieee_overflow 0
		.amdhsa_exception_fp_ieee_underflow 0
		.amdhsa_exception_fp_ieee_inexact 0
		.amdhsa_exception_int_div_zero 0
	.end_amdhsa_kernel
	.section	.text._ZN7rocprim17ROCPRIM_400000_NS6detail17trampoline_kernelINS0_14default_configENS1_20scan_config_selectorIiEEZZNS1_9scan_implILNS1_25lookback_scan_determinismE0ELb1ELb1ES3_N6thrust23THRUST_200600_302600_NS6detail15normal_iteratorINS9_10device_ptrIjEEEENSB_INSC_IfEEEEiNS9_4plusIvEEiEEDaPvRmT3_T4_T5_mT6_P12ihipStream_tbENKUlT_T0_E_clISt17integral_constantIbLb1EESW_EEDaSR_SS_EUlSR_E_NS1_11comp_targetILNS1_3genE9ELNS1_11target_archE1100ELNS1_3gpuE3ELNS1_3repE0EEENS1_30default_config_static_selectorELNS0_4arch9wavefront6targetE1EEEvT1_,"axG",@progbits,_ZN7rocprim17ROCPRIM_400000_NS6detail17trampoline_kernelINS0_14default_configENS1_20scan_config_selectorIiEEZZNS1_9scan_implILNS1_25lookback_scan_determinismE0ELb1ELb1ES3_N6thrust23THRUST_200600_302600_NS6detail15normal_iteratorINS9_10device_ptrIjEEEENSB_INSC_IfEEEEiNS9_4plusIvEEiEEDaPvRmT3_T4_T5_mT6_P12ihipStream_tbENKUlT_T0_E_clISt17integral_constantIbLb1EESW_EEDaSR_SS_EUlSR_E_NS1_11comp_targetILNS1_3genE9ELNS1_11target_archE1100ELNS1_3gpuE3ELNS1_3repE0EEENS1_30default_config_static_selectorELNS0_4arch9wavefront6targetE1EEEvT1_,comdat
.Lfunc_end6185:
	.size	_ZN7rocprim17ROCPRIM_400000_NS6detail17trampoline_kernelINS0_14default_configENS1_20scan_config_selectorIiEEZZNS1_9scan_implILNS1_25lookback_scan_determinismE0ELb1ELb1ES3_N6thrust23THRUST_200600_302600_NS6detail15normal_iteratorINS9_10device_ptrIjEEEENSB_INSC_IfEEEEiNS9_4plusIvEEiEEDaPvRmT3_T4_T5_mT6_P12ihipStream_tbENKUlT_T0_E_clISt17integral_constantIbLb1EESW_EEDaSR_SS_EUlSR_E_NS1_11comp_targetILNS1_3genE9ELNS1_11target_archE1100ELNS1_3gpuE3ELNS1_3repE0EEENS1_30default_config_static_selectorELNS0_4arch9wavefront6targetE1EEEvT1_, .Lfunc_end6185-_ZN7rocprim17ROCPRIM_400000_NS6detail17trampoline_kernelINS0_14default_configENS1_20scan_config_selectorIiEEZZNS1_9scan_implILNS1_25lookback_scan_determinismE0ELb1ELb1ES3_N6thrust23THRUST_200600_302600_NS6detail15normal_iteratorINS9_10device_ptrIjEEEENSB_INSC_IfEEEEiNS9_4plusIvEEiEEDaPvRmT3_T4_T5_mT6_P12ihipStream_tbENKUlT_T0_E_clISt17integral_constantIbLb1EESW_EEDaSR_SS_EUlSR_E_NS1_11comp_targetILNS1_3genE9ELNS1_11target_archE1100ELNS1_3gpuE3ELNS1_3repE0EEENS1_30default_config_static_selectorELNS0_4arch9wavefront6targetE1EEEvT1_
                                        ; -- End function
	.section	.AMDGPU.csdata,"",@progbits
; Kernel info:
; codeLenInByte = 0
; NumSgprs: 4
; NumVgprs: 0
; NumAgprs: 0
; TotalNumVgprs: 0
; ScratchSize: 0
; MemoryBound: 0
; FloatMode: 240
; IeeeMode: 1
; LDSByteSize: 0 bytes/workgroup (compile time only)
; SGPRBlocks: 0
; VGPRBlocks: 0
; NumSGPRsForWavesPerEU: 4
; NumVGPRsForWavesPerEU: 1
; AccumOffset: 4
; Occupancy: 8
; WaveLimiterHint : 0
; COMPUTE_PGM_RSRC2:SCRATCH_EN: 0
; COMPUTE_PGM_RSRC2:USER_SGPR: 6
; COMPUTE_PGM_RSRC2:TRAP_HANDLER: 0
; COMPUTE_PGM_RSRC2:TGID_X_EN: 1
; COMPUTE_PGM_RSRC2:TGID_Y_EN: 0
; COMPUTE_PGM_RSRC2:TGID_Z_EN: 0
; COMPUTE_PGM_RSRC2:TIDIG_COMP_CNT: 0
; COMPUTE_PGM_RSRC3_GFX90A:ACCUM_OFFSET: 0
; COMPUTE_PGM_RSRC3_GFX90A:TG_SPLIT: 0
	.section	.text._ZN7rocprim17ROCPRIM_400000_NS6detail17trampoline_kernelINS0_14default_configENS1_20scan_config_selectorIiEEZZNS1_9scan_implILNS1_25lookback_scan_determinismE0ELb1ELb1ES3_N6thrust23THRUST_200600_302600_NS6detail15normal_iteratorINS9_10device_ptrIjEEEENSB_INSC_IfEEEEiNS9_4plusIvEEiEEDaPvRmT3_T4_T5_mT6_P12ihipStream_tbENKUlT_T0_E_clISt17integral_constantIbLb1EESW_EEDaSR_SS_EUlSR_E_NS1_11comp_targetILNS1_3genE8ELNS1_11target_archE1030ELNS1_3gpuE2ELNS1_3repE0EEENS1_30default_config_static_selectorELNS0_4arch9wavefront6targetE1EEEvT1_,"axG",@progbits,_ZN7rocprim17ROCPRIM_400000_NS6detail17trampoline_kernelINS0_14default_configENS1_20scan_config_selectorIiEEZZNS1_9scan_implILNS1_25lookback_scan_determinismE0ELb1ELb1ES3_N6thrust23THRUST_200600_302600_NS6detail15normal_iteratorINS9_10device_ptrIjEEEENSB_INSC_IfEEEEiNS9_4plusIvEEiEEDaPvRmT3_T4_T5_mT6_P12ihipStream_tbENKUlT_T0_E_clISt17integral_constantIbLb1EESW_EEDaSR_SS_EUlSR_E_NS1_11comp_targetILNS1_3genE8ELNS1_11target_archE1030ELNS1_3gpuE2ELNS1_3repE0EEENS1_30default_config_static_selectorELNS0_4arch9wavefront6targetE1EEEvT1_,comdat
	.protected	_ZN7rocprim17ROCPRIM_400000_NS6detail17trampoline_kernelINS0_14default_configENS1_20scan_config_selectorIiEEZZNS1_9scan_implILNS1_25lookback_scan_determinismE0ELb1ELb1ES3_N6thrust23THRUST_200600_302600_NS6detail15normal_iteratorINS9_10device_ptrIjEEEENSB_INSC_IfEEEEiNS9_4plusIvEEiEEDaPvRmT3_T4_T5_mT6_P12ihipStream_tbENKUlT_T0_E_clISt17integral_constantIbLb1EESW_EEDaSR_SS_EUlSR_E_NS1_11comp_targetILNS1_3genE8ELNS1_11target_archE1030ELNS1_3gpuE2ELNS1_3repE0EEENS1_30default_config_static_selectorELNS0_4arch9wavefront6targetE1EEEvT1_ ; -- Begin function _ZN7rocprim17ROCPRIM_400000_NS6detail17trampoline_kernelINS0_14default_configENS1_20scan_config_selectorIiEEZZNS1_9scan_implILNS1_25lookback_scan_determinismE0ELb1ELb1ES3_N6thrust23THRUST_200600_302600_NS6detail15normal_iteratorINS9_10device_ptrIjEEEENSB_INSC_IfEEEEiNS9_4plusIvEEiEEDaPvRmT3_T4_T5_mT6_P12ihipStream_tbENKUlT_T0_E_clISt17integral_constantIbLb1EESW_EEDaSR_SS_EUlSR_E_NS1_11comp_targetILNS1_3genE8ELNS1_11target_archE1030ELNS1_3gpuE2ELNS1_3repE0EEENS1_30default_config_static_selectorELNS0_4arch9wavefront6targetE1EEEvT1_
	.globl	_ZN7rocprim17ROCPRIM_400000_NS6detail17trampoline_kernelINS0_14default_configENS1_20scan_config_selectorIiEEZZNS1_9scan_implILNS1_25lookback_scan_determinismE0ELb1ELb1ES3_N6thrust23THRUST_200600_302600_NS6detail15normal_iteratorINS9_10device_ptrIjEEEENSB_INSC_IfEEEEiNS9_4plusIvEEiEEDaPvRmT3_T4_T5_mT6_P12ihipStream_tbENKUlT_T0_E_clISt17integral_constantIbLb1EESW_EEDaSR_SS_EUlSR_E_NS1_11comp_targetILNS1_3genE8ELNS1_11target_archE1030ELNS1_3gpuE2ELNS1_3repE0EEENS1_30default_config_static_selectorELNS0_4arch9wavefront6targetE1EEEvT1_
	.p2align	8
	.type	_ZN7rocprim17ROCPRIM_400000_NS6detail17trampoline_kernelINS0_14default_configENS1_20scan_config_selectorIiEEZZNS1_9scan_implILNS1_25lookback_scan_determinismE0ELb1ELb1ES3_N6thrust23THRUST_200600_302600_NS6detail15normal_iteratorINS9_10device_ptrIjEEEENSB_INSC_IfEEEEiNS9_4plusIvEEiEEDaPvRmT3_T4_T5_mT6_P12ihipStream_tbENKUlT_T0_E_clISt17integral_constantIbLb1EESW_EEDaSR_SS_EUlSR_E_NS1_11comp_targetILNS1_3genE8ELNS1_11target_archE1030ELNS1_3gpuE2ELNS1_3repE0EEENS1_30default_config_static_selectorELNS0_4arch9wavefront6targetE1EEEvT1_,@function
_ZN7rocprim17ROCPRIM_400000_NS6detail17trampoline_kernelINS0_14default_configENS1_20scan_config_selectorIiEEZZNS1_9scan_implILNS1_25lookback_scan_determinismE0ELb1ELb1ES3_N6thrust23THRUST_200600_302600_NS6detail15normal_iteratorINS9_10device_ptrIjEEEENSB_INSC_IfEEEEiNS9_4plusIvEEiEEDaPvRmT3_T4_T5_mT6_P12ihipStream_tbENKUlT_T0_E_clISt17integral_constantIbLb1EESW_EEDaSR_SS_EUlSR_E_NS1_11comp_targetILNS1_3genE8ELNS1_11target_archE1030ELNS1_3gpuE2ELNS1_3repE0EEENS1_30default_config_static_selectorELNS0_4arch9wavefront6targetE1EEEvT1_: ; @_ZN7rocprim17ROCPRIM_400000_NS6detail17trampoline_kernelINS0_14default_configENS1_20scan_config_selectorIiEEZZNS1_9scan_implILNS1_25lookback_scan_determinismE0ELb1ELb1ES3_N6thrust23THRUST_200600_302600_NS6detail15normal_iteratorINS9_10device_ptrIjEEEENSB_INSC_IfEEEEiNS9_4plusIvEEiEEDaPvRmT3_T4_T5_mT6_P12ihipStream_tbENKUlT_T0_E_clISt17integral_constantIbLb1EESW_EEDaSR_SS_EUlSR_E_NS1_11comp_targetILNS1_3genE8ELNS1_11target_archE1030ELNS1_3gpuE2ELNS1_3repE0EEENS1_30default_config_static_selectorELNS0_4arch9wavefront6targetE1EEEvT1_
; %bb.0:
	.section	.rodata,"a",@progbits
	.p2align	6, 0x0
	.amdhsa_kernel _ZN7rocprim17ROCPRIM_400000_NS6detail17trampoline_kernelINS0_14default_configENS1_20scan_config_selectorIiEEZZNS1_9scan_implILNS1_25lookback_scan_determinismE0ELb1ELb1ES3_N6thrust23THRUST_200600_302600_NS6detail15normal_iteratorINS9_10device_ptrIjEEEENSB_INSC_IfEEEEiNS9_4plusIvEEiEEDaPvRmT3_T4_T5_mT6_P12ihipStream_tbENKUlT_T0_E_clISt17integral_constantIbLb1EESW_EEDaSR_SS_EUlSR_E_NS1_11comp_targetILNS1_3genE8ELNS1_11target_archE1030ELNS1_3gpuE2ELNS1_3repE0EEENS1_30default_config_static_selectorELNS0_4arch9wavefront6targetE1EEEvT1_
		.amdhsa_group_segment_fixed_size 0
		.amdhsa_private_segment_fixed_size 0
		.amdhsa_kernarg_size 96
		.amdhsa_user_sgpr_count 6
		.amdhsa_user_sgpr_private_segment_buffer 1
		.amdhsa_user_sgpr_dispatch_ptr 0
		.amdhsa_user_sgpr_queue_ptr 0
		.amdhsa_user_sgpr_kernarg_segment_ptr 1
		.amdhsa_user_sgpr_dispatch_id 0
		.amdhsa_user_sgpr_flat_scratch_init 0
		.amdhsa_user_sgpr_kernarg_preload_length 0
		.amdhsa_user_sgpr_kernarg_preload_offset 0
		.amdhsa_user_sgpr_private_segment_size 0
		.amdhsa_uses_dynamic_stack 0
		.amdhsa_system_sgpr_private_segment_wavefront_offset 0
		.amdhsa_system_sgpr_workgroup_id_x 1
		.amdhsa_system_sgpr_workgroup_id_y 0
		.amdhsa_system_sgpr_workgroup_id_z 0
		.amdhsa_system_sgpr_workgroup_info 0
		.amdhsa_system_vgpr_workitem_id 0
		.amdhsa_next_free_vgpr 1
		.amdhsa_next_free_sgpr 0
		.amdhsa_accum_offset 4
		.amdhsa_reserve_vcc 0
		.amdhsa_reserve_flat_scratch 0
		.amdhsa_float_round_mode_32 0
		.amdhsa_float_round_mode_16_64 0
		.amdhsa_float_denorm_mode_32 3
		.amdhsa_float_denorm_mode_16_64 3
		.amdhsa_dx10_clamp 1
		.amdhsa_ieee_mode 1
		.amdhsa_fp16_overflow 0
		.amdhsa_tg_split 0
		.amdhsa_exception_fp_ieee_invalid_op 0
		.amdhsa_exception_fp_denorm_src 0
		.amdhsa_exception_fp_ieee_div_zero 0
		.amdhsa_exception_fp_ieee_overflow 0
		.amdhsa_exception_fp_ieee_underflow 0
		.amdhsa_exception_fp_ieee_inexact 0
		.amdhsa_exception_int_div_zero 0
	.end_amdhsa_kernel
	.section	.text._ZN7rocprim17ROCPRIM_400000_NS6detail17trampoline_kernelINS0_14default_configENS1_20scan_config_selectorIiEEZZNS1_9scan_implILNS1_25lookback_scan_determinismE0ELb1ELb1ES3_N6thrust23THRUST_200600_302600_NS6detail15normal_iteratorINS9_10device_ptrIjEEEENSB_INSC_IfEEEEiNS9_4plusIvEEiEEDaPvRmT3_T4_T5_mT6_P12ihipStream_tbENKUlT_T0_E_clISt17integral_constantIbLb1EESW_EEDaSR_SS_EUlSR_E_NS1_11comp_targetILNS1_3genE8ELNS1_11target_archE1030ELNS1_3gpuE2ELNS1_3repE0EEENS1_30default_config_static_selectorELNS0_4arch9wavefront6targetE1EEEvT1_,"axG",@progbits,_ZN7rocprim17ROCPRIM_400000_NS6detail17trampoline_kernelINS0_14default_configENS1_20scan_config_selectorIiEEZZNS1_9scan_implILNS1_25lookback_scan_determinismE0ELb1ELb1ES3_N6thrust23THRUST_200600_302600_NS6detail15normal_iteratorINS9_10device_ptrIjEEEENSB_INSC_IfEEEEiNS9_4plusIvEEiEEDaPvRmT3_T4_T5_mT6_P12ihipStream_tbENKUlT_T0_E_clISt17integral_constantIbLb1EESW_EEDaSR_SS_EUlSR_E_NS1_11comp_targetILNS1_3genE8ELNS1_11target_archE1030ELNS1_3gpuE2ELNS1_3repE0EEENS1_30default_config_static_selectorELNS0_4arch9wavefront6targetE1EEEvT1_,comdat
.Lfunc_end6186:
	.size	_ZN7rocprim17ROCPRIM_400000_NS6detail17trampoline_kernelINS0_14default_configENS1_20scan_config_selectorIiEEZZNS1_9scan_implILNS1_25lookback_scan_determinismE0ELb1ELb1ES3_N6thrust23THRUST_200600_302600_NS6detail15normal_iteratorINS9_10device_ptrIjEEEENSB_INSC_IfEEEEiNS9_4plusIvEEiEEDaPvRmT3_T4_T5_mT6_P12ihipStream_tbENKUlT_T0_E_clISt17integral_constantIbLb1EESW_EEDaSR_SS_EUlSR_E_NS1_11comp_targetILNS1_3genE8ELNS1_11target_archE1030ELNS1_3gpuE2ELNS1_3repE0EEENS1_30default_config_static_selectorELNS0_4arch9wavefront6targetE1EEEvT1_, .Lfunc_end6186-_ZN7rocprim17ROCPRIM_400000_NS6detail17trampoline_kernelINS0_14default_configENS1_20scan_config_selectorIiEEZZNS1_9scan_implILNS1_25lookback_scan_determinismE0ELb1ELb1ES3_N6thrust23THRUST_200600_302600_NS6detail15normal_iteratorINS9_10device_ptrIjEEEENSB_INSC_IfEEEEiNS9_4plusIvEEiEEDaPvRmT3_T4_T5_mT6_P12ihipStream_tbENKUlT_T0_E_clISt17integral_constantIbLb1EESW_EEDaSR_SS_EUlSR_E_NS1_11comp_targetILNS1_3genE8ELNS1_11target_archE1030ELNS1_3gpuE2ELNS1_3repE0EEENS1_30default_config_static_selectorELNS0_4arch9wavefront6targetE1EEEvT1_
                                        ; -- End function
	.section	.AMDGPU.csdata,"",@progbits
; Kernel info:
; codeLenInByte = 0
; NumSgprs: 4
; NumVgprs: 0
; NumAgprs: 0
; TotalNumVgprs: 0
; ScratchSize: 0
; MemoryBound: 0
; FloatMode: 240
; IeeeMode: 1
; LDSByteSize: 0 bytes/workgroup (compile time only)
; SGPRBlocks: 0
; VGPRBlocks: 0
; NumSGPRsForWavesPerEU: 4
; NumVGPRsForWavesPerEU: 1
; AccumOffset: 4
; Occupancy: 8
; WaveLimiterHint : 0
; COMPUTE_PGM_RSRC2:SCRATCH_EN: 0
; COMPUTE_PGM_RSRC2:USER_SGPR: 6
; COMPUTE_PGM_RSRC2:TRAP_HANDLER: 0
; COMPUTE_PGM_RSRC2:TGID_X_EN: 1
; COMPUTE_PGM_RSRC2:TGID_Y_EN: 0
; COMPUTE_PGM_RSRC2:TGID_Z_EN: 0
; COMPUTE_PGM_RSRC2:TIDIG_COMP_CNT: 0
; COMPUTE_PGM_RSRC3_GFX90A:ACCUM_OFFSET: 0
; COMPUTE_PGM_RSRC3_GFX90A:TG_SPLIT: 0
	.section	.text._ZN7rocprim17ROCPRIM_400000_NS6detail17trampoline_kernelINS0_14default_configENS1_20scan_config_selectorIiEEZZNS1_9scan_implILNS1_25lookback_scan_determinismE0ELb1ELb1ES3_N6thrust23THRUST_200600_302600_NS6detail15normal_iteratorINS9_10device_ptrIjEEEENSB_INSC_IfEEEEiNS9_4plusIvEEiEEDaPvRmT3_T4_T5_mT6_P12ihipStream_tbENKUlT_T0_E_clISt17integral_constantIbLb1EESW_EEDaSR_SS_EUlSR_E0_NS1_11comp_targetILNS1_3genE0ELNS1_11target_archE4294967295ELNS1_3gpuE0ELNS1_3repE0EEENS1_30default_config_static_selectorELNS0_4arch9wavefront6targetE1EEEvT1_,"axG",@progbits,_ZN7rocprim17ROCPRIM_400000_NS6detail17trampoline_kernelINS0_14default_configENS1_20scan_config_selectorIiEEZZNS1_9scan_implILNS1_25lookback_scan_determinismE0ELb1ELb1ES3_N6thrust23THRUST_200600_302600_NS6detail15normal_iteratorINS9_10device_ptrIjEEEENSB_INSC_IfEEEEiNS9_4plusIvEEiEEDaPvRmT3_T4_T5_mT6_P12ihipStream_tbENKUlT_T0_E_clISt17integral_constantIbLb1EESW_EEDaSR_SS_EUlSR_E0_NS1_11comp_targetILNS1_3genE0ELNS1_11target_archE4294967295ELNS1_3gpuE0ELNS1_3repE0EEENS1_30default_config_static_selectorELNS0_4arch9wavefront6targetE1EEEvT1_,comdat
	.protected	_ZN7rocprim17ROCPRIM_400000_NS6detail17trampoline_kernelINS0_14default_configENS1_20scan_config_selectorIiEEZZNS1_9scan_implILNS1_25lookback_scan_determinismE0ELb1ELb1ES3_N6thrust23THRUST_200600_302600_NS6detail15normal_iteratorINS9_10device_ptrIjEEEENSB_INSC_IfEEEEiNS9_4plusIvEEiEEDaPvRmT3_T4_T5_mT6_P12ihipStream_tbENKUlT_T0_E_clISt17integral_constantIbLb1EESW_EEDaSR_SS_EUlSR_E0_NS1_11comp_targetILNS1_3genE0ELNS1_11target_archE4294967295ELNS1_3gpuE0ELNS1_3repE0EEENS1_30default_config_static_selectorELNS0_4arch9wavefront6targetE1EEEvT1_ ; -- Begin function _ZN7rocprim17ROCPRIM_400000_NS6detail17trampoline_kernelINS0_14default_configENS1_20scan_config_selectorIiEEZZNS1_9scan_implILNS1_25lookback_scan_determinismE0ELb1ELb1ES3_N6thrust23THRUST_200600_302600_NS6detail15normal_iteratorINS9_10device_ptrIjEEEENSB_INSC_IfEEEEiNS9_4plusIvEEiEEDaPvRmT3_T4_T5_mT6_P12ihipStream_tbENKUlT_T0_E_clISt17integral_constantIbLb1EESW_EEDaSR_SS_EUlSR_E0_NS1_11comp_targetILNS1_3genE0ELNS1_11target_archE4294967295ELNS1_3gpuE0ELNS1_3repE0EEENS1_30default_config_static_selectorELNS0_4arch9wavefront6targetE1EEEvT1_
	.globl	_ZN7rocprim17ROCPRIM_400000_NS6detail17trampoline_kernelINS0_14default_configENS1_20scan_config_selectorIiEEZZNS1_9scan_implILNS1_25lookback_scan_determinismE0ELb1ELb1ES3_N6thrust23THRUST_200600_302600_NS6detail15normal_iteratorINS9_10device_ptrIjEEEENSB_INSC_IfEEEEiNS9_4plusIvEEiEEDaPvRmT3_T4_T5_mT6_P12ihipStream_tbENKUlT_T0_E_clISt17integral_constantIbLb1EESW_EEDaSR_SS_EUlSR_E0_NS1_11comp_targetILNS1_3genE0ELNS1_11target_archE4294967295ELNS1_3gpuE0ELNS1_3repE0EEENS1_30default_config_static_selectorELNS0_4arch9wavefront6targetE1EEEvT1_
	.p2align	8
	.type	_ZN7rocprim17ROCPRIM_400000_NS6detail17trampoline_kernelINS0_14default_configENS1_20scan_config_selectorIiEEZZNS1_9scan_implILNS1_25lookback_scan_determinismE0ELb1ELb1ES3_N6thrust23THRUST_200600_302600_NS6detail15normal_iteratorINS9_10device_ptrIjEEEENSB_INSC_IfEEEEiNS9_4plusIvEEiEEDaPvRmT3_T4_T5_mT6_P12ihipStream_tbENKUlT_T0_E_clISt17integral_constantIbLb1EESW_EEDaSR_SS_EUlSR_E0_NS1_11comp_targetILNS1_3genE0ELNS1_11target_archE4294967295ELNS1_3gpuE0ELNS1_3repE0EEENS1_30default_config_static_selectorELNS0_4arch9wavefront6targetE1EEEvT1_,@function
_ZN7rocprim17ROCPRIM_400000_NS6detail17trampoline_kernelINS0_14default_configENS1_20scan_config_selectorIiEEZZNS1_9scan_implILNS1_25lookback_scan_determinismE0ELb1ELb1ES3_N6thrust23THRUST_200600_302600_NS6detail15normal_iteratorINS9_10device_ptrIjEEEENSB_INSC_IfEEEEiNS9_4plusIvEEiEEDaPvRmT3_T4_T5_mT6_P12ihipStream_tbENKUlT_T0_E_clISt17integral_constantIbLb1EESW_EEDaSR_SS_EUlSR_E0_NS1_11comp_targetILNS1_3genE0ELNS1_11target_archE4294967295ELNS1_3gpuE0ELNS1_3repE0EEENS1_30default_config_static_selectorELNS0_4arch9wavefront6targetE1EEEvT1_: ; @_ZN7rocprim17ROCPRIM_400000_NS6detail17trampoline_kernelINS0_14default_configENS1_20scan_config_selectorIiEEZZNS1_9scan_implILNS1_25lookback_scan_determinismE0ELb1ELb1ES3_N6thrust23THRUST_200600_302600_NS6detail15normal_iteratorINS9_10device_ptrIjEEEENSB_INSC_IfEEEEiNS9_4plusIvEEiEEDaPvRmT3_T4_T5_mT6_P12ihipStream_tbENKUlT_T0_E_clISt17integral_constantIbLb1EESW_EEDaSR_SS_EUlSR_E0_NS1_11comp_targetILNS1_3genE0ELNS1_11target_archE4294967295ELNS1_3gpuE0ELNS1_3repE0EEENS1_30default_config_static_selectorELNS0_4arch9wavefront6targetE1EEEvT1_
; %bb.0:
	.section	.rodata,"a",@progbits
	.p2align	6, 0x0
	.amdhsa_kernel _ZN7rocprim17ROCPRIM_400000_NS6detail17trampoline_kernelINS0_14default_configENS1_20scan_config_selectorIiEEZZNS1_9scan_implILNS1_25lookback_scan_determinismE0ELb1ELb1ES3_N6thrust23THRUST_200600_302600_NS6detail15normal_iteratorINS9_10device_ptrIjEEEENSB_INSC_IfEEEEiNS9_4plusIvEEiEEDaPvRmT3_T4_T5_mT6_P12ihipStream_tbENKUlT_T0_E_clISt17integral_constantIbLb1EESW_EEDaSR_SS_EUlSR_E0_NS1_11comp_targetILNS1_3genE0ELNS1_11target_archE4294967295ELNS1_3gpuE0ELNS1_3repE0EEENS1_30default_config_static_selectorELNS0_4arch9wavefront6targetE1EEEvT1_
		.amdhsa_group_segment_fixed_size 0
		.amdhsa_private_segment_fixed_size 0
		.amdhsa_kernarg_size 32
		.amdhsa_user_sgpr_count 6
		.amdhsa_user_sgpr_private_segment_buffer 1
		.amdhsa_user_sgpr_dispatch_ptr 0
		.amdhsa_user_sgpr_queue_ptr 0
		.amdhsa_user_sgpr_kernarg_segment_ptr 1
		.amdhsa_user_sgpr_dispatch_id 0
		.amdhsa_user_sgpr_flat_scratch_init 0
		.amdhsa_user_sgpr_kernarg_preload_length 0
		.amdhsa_user_sgpr_kernarg_preload_offset 0
		.amdhsa_user_sgpr_private_segment_size 0
		.amdhsa_uses_dynamic_stack 0
		.amdhsa_system_sgpr_private_segment_wavefront_offset 0
		.amdhsa_system_sgpr_workgroup_id_x 1
		.amdhsa_system_sgpr_workgroup_id_y 0
		.amdhsa_system_sgpr_workgroup_id_z 0
		.amdhsa_system_sgpr_workgroup_info 0
		.amdhsa_system_vgpr_workitem_id 0
		.amdhsa_next_free_vgpr 1
		.amdhsa_next_free_sgpr 0
		.amdhsa_accum_offset 4
		.amdhsa_reserve_vcc 0
		.amdhsa_reserve_flat_scratch 0
		.amdhsa_float_round_mode_32 0
		.amdhsa_float_round_mode_16_64 0
		.amdhsa_float_denorm_mode_32 3
		.amdhsa_float_denorm_mode_16_64 3
		.amdhsa_dx10_clamp 1
		.amdhsa_ieee_mode 1
		.amdhsa_fp16_overflow 0
		.amdhsa_tg_split 0
		.amdhsa_exception_fp_ieee_invalid_op 0
		.amdhsa_exception_fp_denorm_src 0
		.amdhsa_exception_fp_ieee_div_zero 0
		.amdhsa_exception_fp_ieee_overflow 0
		.amdhsa_exception_fp_ieee_underflow 0
		.amdhsa_exception_fp_ieee_inexact 0
		.amdhsa_exception_int_div_zero 0
	.end_amdhsa_kernel
	.section	.text._ZN7rocprim17ROCPRIM_400000_NS6detail17trampoline_kernelINS0_14default_configENS1_20scan_config_selectorIiEEZZNS1_9scan_implILNS1_25lookback_scan_determinismE0ELb1ELb1ES3_N6thrust23THRUST_200600_302600_NS6detail15normal_iteratorINS9_10device_ptrIjEEEENSB_INSC_IfEEEEiNS9_4plusIvEEiEEDaPvRmT3_T4_T5_mT6_P12ihipStream_tbENKUlT_T0_E_clISt17integral_constantIbLb1EESW_EEDaSR_SS_EUlSR_E0_NS1_11comp_targetILNS1_3genE0ELNS1_11target_archE4294967295ELNS1_3gpuE0ELNS1_3repE0EEENS1_30default_config_static_selectorELNS0_4arch9wavefront6targetE1EEEvT1_,"axG",@progbits,_ZN7rocprim17ROCPRIM_400000_NS6detail17trampoline_kernelINS0_14default_configENS1_20scan_config_selectorIiEEZZNS1_9scan_implILNS1_25lookback_scan_determinismE0ELb1ELb1ES3_N6thrust23THRUST_200600_302600_NS6detail15normal_iteratorINS9_10device_ptrIjEEEENSB_INSC_IfEEEEiNS9_4plusIvEEiEEDaPvRmT3_T4_T5_mT6_P12ihipStream_tbENKUlT_T0_E_clISt17integral_constantIbLb1EESW_EEDaSR_SS_EUlSR_E0_NS1_11comp_targetILNS1_3genE0ELNS1_11target_archE4294967295ELNS1_3gpuE0ELNS1_3repE0EEENS1_30default_config_static_selectorELNS0_4arch9wavefront6targetE1EEEvT1_,comdat
.Lfunc_end6187:
	.size	_ZN7rocprim17ROCPRIM_400000_NS6detail17trampoline_kernelINS0_14default_configENS1_20scan_config_selectorIiEEZZNS1_9scan_implILNS1_25lookback_scan_determinismE0ELb1ELb1ES3_N6thrust23THRUST_200600_302600_NS6detail15normal_iteratorINS9_10device_ptrIjEEEENSB_INSC_IfEEEEiNS9_4plusIvEEiEEDaPvRmT3_T4_T5_mT6_P12ihipStream_tbENKUlT_T0_E_clISt17integral_constantIbLb1EESW_EEDaSR_SS_EUlSR_E0_NS1_11comp_targetILNS1_3genE0ELNS1_11target_archE4294967295ELNS1_3gpuE0ELNS1_3repE0EEENS1_30default_config_static_selectorELNS0_4arch9wavefront6targetE1EEEvT1_, .Lfunc_end6187-_ZN7rocprim17ROCPRIM_400000_NS6detail17trampoline_kernelINS0_14default_configENS1_20scan_config_selectorIiEEZZNS1_9scan_implILNS1_25lookback_scan_determinismE0ELb1ELb1ES3_N6thrust23THRUST_200600_302600_NS6detail15normal_iteratorINS9_10device_ptrIjEEEENSB_INSC_IfEEEEiNS9_4plusIvEEiEEDaPvRmT3_T4_T5_mT6_P12ihipStream_tbENKUlT_T0_E_clISt17integral_constantIbLb1EESW_EEDaSR_SS_EUlSR_E0_NS1_11comp_targetILNS1_3genE0ELNS1_11target_archE4294967295ELNS1_3gpuE0ELNS1_3repE0EEENS1_30default_config_static_selectorELNS0_4arch9wavefront6targetE1EEEvT1_
                                        ; -- End function
	.section	.AMDGPU.csdata,"",@progbits
; Kernel info:
; codeLenInByte = 0
; NumSgprs: 4
; NumVgprs: 0
; NumAgprs: 0
; TotalNumVgprs: 0
; ScratchSize: 0
; MemoryBound: 0
; FloatMode: 240
; IeeeMode: 1
; LDSByteSize: 0 bytes/workgroup (compile time only)
; SGPRBlocks: 0
; VGPRBlocks: 0
; NumSGPRsForWavesPerEU: 4
; NumVGPRsForWavesPerEU: 1
; AccumOffset: 4
; Occupancy: 8
; WaveLimiterHint : 0
; COMPUTE_PGM_RSRC2:SCRATCH_EN: 0
; COMPUTE_PGM_RSRC2:USER_SGPR: 6
; COMPUTE_PGM_RSRC2:TRAP_HANDLER: 0
; COMPUTE_PGM_RSRC2:TGID_X_EN: 1
; COMPUTE_PGM_RSRC2:TGID_Y_EN: 0
; COMPUTE_PGM_RSRC2:TGID_Z_EN: 0
; COMPUTE_PGM_RSRC2:TIDIG_COMP_CNT: 0
; COMPUTE_PGM_RSRC3_GFX90A:ACCUM_OFFSET: 0
; COMPUTE_PGM_RSRC3_GFX90A:TG_SPLIT: 0
	.section	.text._ZN7rocprim17ROCPRIM_400000_NS6detail17trampoline_kernelINS0_14default_configENS1_20scan_config_selectorIiEEZZNS1_9scan_implILNS1_25lookback_scan_determinismE0ELb1ELb1ES3_N6thrust23THRUST_200600_302600_NS6detail15normal_iteratorINS9_10device_ptrIjEEEENSB_INSC_IfEEEEiNS9_4plusIvEEiEEDaPvRmT3_T4_T5_mT6_P12ihipStream_tbENKUlT_T0_E_clISt17integral_constantIbLb1EESW_EEDaSR_SS_EUlSR_E0_NS1_11comp_targetILNS1_3genE5ELNS1_11target_archE942ELNS1_3gpuE9ELNS1_3repE0EEENS1_30default_config_static_selectorELNS0_4arch9wavefront6targetE1EEEvT1_,"axG",@progbits,_ZN7rocprim17ROCPRIM_400000_NS6detail17trampoline_kernelINS0_14default_configENS1_20scan_config_selectorIiEEZZNS1_9scan_implILNS1_25lookback_scan_determinismE0ELb1ELb1ES3_N6thrust23THRUST_200600_302600_NS6detail15normal_iteratorINS9_10device_ptrIjEEEENSB_INSC_IfEEEEiNS9_4plusIvEEiEEDaPvRmT3_T4_T5_mT6_P12ihipStream_tbENKUlT_T0_E_clISt17integral_constantIbLb1EESW_EEDaSR_SS_EUlSR_E0_NS1_11comp_targetILNS1_3genE5ELNS1_11target_archE942ELNS1_3gpuE9ELNS1_3repE0EEENS1_30default_config_static_selectorELNS0_4arch9wavefront6targetE1EEEvT1_,comdat
	.protected	_ZN7rocprim17ROCPRIM_400000_NS6detail17trampoline_kernelINS0_14default_configENS1_20scan_config_selectorIiEEZZNS1_9scan_implILNS1_25lookback_scan_determinismE0ELb1ELb1ES3_N6thrust23THRUST_200600_302600_NS6detail15normal_iteratorINS9_10device_ptrIjEEEENSB_INSC_IfEEEEiNS9_4plusIvEEiEEDaPvRmT3_T4_T5_mT6_P12ihipStream_tbENKUlT_T0_E_clISt17integral_constantIbLb1EESW_EEDaSR_SS_EUlSR_E0_NS1_11comp_targetILNS1_3genE5ELNS1_11target_archE942ELNS1_3gpuE9ELNS1_3repE0EEENS1_30default_config_static_selectorELNS0_4arch9wavefront6targetE1EEEvT1_ ; -- Begin function _ZN7rocprim17ROCPRIM_400000_NS6detail17trampoline_kernelINS0_14default_configENS1_20scan_config_selectorIiEEZZNS1_9scan_implILNS1_25lookback_scan_determinismE0ELb1ELb1ES3_N6thrust23THRUST_200600_302600_NS6detail15normal_iteratorINS9_10device_ptrIjEEEENSB_INSC_IfEEEEiNS9_4plusIvEEiEEDaPvRmT3_T4_T5_mT6_P12ihipStream_tbENKUlT_T0_E_clISt17integral_constantIbLb1EESW_EEDaSR_SS_EUlSR_E0_NS1_11comp_targetILNS1_3genE5ELNS1_11target_archE942ELNS1_3gpuE9ELNS1_3repE0EEENS1_30default_config_static_selectorELNS0_4arch9wavefront6targetE1EEEvT1_
	.globl	_ZN7rocprim17ROCPRIM_400000_NS6detail17trampoline_kernelINS0_14default_configENS1_20scan_config_selectorIiEEZZNS1_9scan_implILNS1_25lookback_scan_determinismE0ELb1ELb1ES3_N6thrust23THRUST_200600_302600_NS6detail15normal_iteratorINS9_10device_ptrIjEEEENSB_INSC_IfEEEEiNS9_4plusIvEEiEEDaPvRmT3_T4_T5_mT6_P12ihipStream_tbENKUlT_T0_E_clISt17integral_constantIbLb1EESW_EEDaSR_SS_EUlSR_E0_NS1_11comp_targetILNS1_3genE5ELNS1_11target_archE942ELNS1_3gpuE9ELNS1_3repE0EEENS1_30default_config_static_selectorELNS0_4arch9wavefront6targetE1EEEvT1_
	.p2align	8
	.type	_ZN7rocprim17ROCPRIM_400000_NS6detail17trampoline_kernelINS0_14default_configENS1_20scan_config_selectorIiEEZZNS1_9scan_implILNS1_25lookback_scan_determinismE0ELb1ELb1ES3_N6thrust23THRUST_200600_302600_NS6detail15normal_iteratorINS9_10device_ptrIjEEEENSB_INSC_IfEEEEiNS9_4plusIvEEiEEDaPvRmT3_T4_T5_mT6_P12ihipStream_tbENKUlT_T0_E_clISt17integral_constantIbLb1EESW_EEDaSR_SS_EUlSR_E0_NS1_11comp_targetILNS1_3genE5ELNS1_11target_archE942ELNS1_3gpuE9ELNS1_3repE0EEENS1_30default_config_static_selectorELNS0_4arch9wavefront6targetE1EEEvT1_,@function
_ZN7rocprim17ROCPRIM_400000_NS6detail17trampoline_kernelINS0_14default_configENS1_20scan_config_selectorIiEEZZNS1_9scan_implILNS1_25lookback_scan_determinismE0ELb1ELb1ES3_N6thrust23THRUST_200600_302600_NS6detail15normal_iteratorINS9_10device_ptrIjEEEENSB_INSC_IfEEEEiNS9_4plusIvEEiEEDaPvRmT3_T4_T5_mT6_P12ihipStream_tbENKUlT_T0_E_clISt17integral_constantIbLb1EESW_EEDaSR_SS_EUlSR_E0_NS1_11comp_targetILNS1_3genE5ELNS1_11target_archE942ELNS1_3gpuE9ELNS1_3repE0EEENS1_30default_config_static_selectorELNS0_4arch9wavefront6targetE1EEEvT1_: ; @_ZN7rocprim17ROCPRIM_400000_NS6detail17trampoline_kernelINS0_14default_configENS1_20scan_config_selectorIiEEZZNS1_9scan_implILNS1_25lookback_scan_determinismE0ELb1ELb1ES3_N6thrust23THRUST_200600_302600_NS6detail15normal_iteratorINS9_10device_ptrIjEEEENSB_INSC_IfEEEEiNS9_4plusIvEEiEEDaPvRmT3_T4_T5_mT6_P12ihipStream_tbENKUlT_T0_E_clISt17integral_constantIbLb1EESW_EEDaSR_SS_EUlSR_E0_NS1_11comp_targetILNS1_3genE5ELNS1_11target_archE942ELNS1_3gpuE9ELNS1_3repE0EEENS1_30default_config_static_selectorELNS0_4arch9wavefront6targetE1EEEvT1_
; %bb.0:
	.section	.rodata,"a",@progbits
	.p2align	6, 0x0
	.amdhsa_kernel _ZN7rocprim17ROCPRIM_400000_NS6detail17trampoline_kernelINS0_14default_configENS1_20scan_config_selectorIiEEZZNS1_9scan_implILNS1_25lookback_scan_determinismE0ELb1ELb1ES3_N6thrust23THRUST_200600_302600_NS6detail15normal_iteratorINS9_10device_ptrIjEEEENSB_INSC_IfEEEEiNS9_4plusIvEEiEEDaPvRmT3_T4_T5_mT6_P12ihipStream_tbENKUlT_T0_E_clISt17integral_constantIbLb1EESW_EEDaSR_SS_EUlSR_E0_NS1_11comp_targetILNS1_3genE5ELNS1_11target_archE942ELNS1_3gpuE9ELNS1_3repE0EEENS1_30default_config_static_selectorELNS0_4arch9wavefront6targetE1EEEvT1_
		.amdhsa_group_segment_fixed_size 0
		.amdhsa_private_segment_fixed_size 0
		.amdhsa_kernarg_size 32
		.amdhsa_user_sgpr_count 6
		.amdhsa_user_sgpr_private_segment_buffer 1
		.amdhsa_user_sgpr_dispatch_ptr 0
		.amdhsa_user_sgpr_queue_ptr 0
		.amdhsa_user_sgpr_kernarg_segment_ptr 1
		.amdhsa_user_sgpr_dispatch_id 0
		.amdhsa_user_sgpr_flat_scratch_init 0
		.amdhsa_user_sgpr_kernarg_preload_length 0
		.amdhsa_user_sgpr_kernarg_preload_offset 0
		.amdhsa_user_sgpr_private_segment_size 0
		.amdhsa_uses_dynamic_stack 0
		.amdhsa_system_sgpr_private_segment_wavefront_offset 0
		.amdhsa_system_sgpr_workgroup_id_x 1
		.amdhsa_system_sgpr_workgroup_id_y 0
		.amdhsa_system_sgpr_workgroup_id_z 0
		.amdhsa_system_sgpr_workgroup_info 0
		.amdhsa_system_vgpr_workitem_id 0
		.amdhsa_next_free_vgpr 1
		.amdhsa_next_free_sgpr 0
		.amdhsa_accum_offset 4
		.amdhsa_reserve_vcc 0
		.amdhsa_reserve_flat_scratch 0
		.amdhsa_float_round_mode_32 0
		.amdhsa_float_round_mode_16_64 0
		.amdhsa_float_denorm_mode_32 3
		.amdhsa_float_denorm_mode_16_64 3
		.amdhsa_dx10_clamp 1
		.amdhsa_ieee_mode 1
		.amdhsa_fp16_overflow 0
		.amdhsa_tg_split 0
		.amdhsa_exception_fp_ieee_invalid_op 0
		.amdhsa_exception_fp_denorm_src 0
		.amdhsa_exception_fp_ieee_div_zero 0
		.amdhsa_exception_fp_ieee_overflow 0
		.amdhsa_exception_fp_ieee_underflow 0
		.amdhsa_exception_fp_ieee_inexact 0
		.amdhsa_exception_int_div_zero 0
	.end_amdhsa_kernel
	.section	.text._ZN7rocprim17ROCPRIM_400000_NS6detail17trampoline_kernelINS0_14default_configENS1_20scan_config_selectorIiEEZZNS1_9scan_implILNS1_25lookback_scan_determinismE0ELb1ELb1ES3_N6thrust23THRUST_200600_302600_NS6detail15normal_iteratorINS9_10device_ptrIjEEEENSB_INSC_IfEEEEiNS9_4plusIvEEiEEDaPvRmT3_T4_T5_mT6_P12ihipStream_tbENKUlT_T0_E_clISt17integral_constantIbLb1EESW_EEDaSR_SS_EUlSR_E0_NS1_11comp_targetILNS1_3genE5ELNS1_11target_archE942ELNS1_3gpuE9ELNS1_3repE0EEENS1_30default_config_static_selectorELNS0_4arch9wavefront6targetE1EEEvT1_,"axG",@progbits,_ZN7rocprim17ROCPRIM_400000_NS6detail17trampoline_kernelINS0_14default_configENS1_20scan_config_selectorIiEEZZNS1_9scan_implILNS1_25lookback_scan_determinismE0ELb1ELb1ES3_N6thrust23THRUST_200600_302600_NS6detail15normal_iteratorINS9_10device_ptrIjEEEENSB_INSC_IfEEEEiNS9_4plusIvEEiEEDaPvRmT3_T4_T5_mT6_P12ihipStream_tbENKUlT_T0_E_clISt17integral_constantIbLb1EESW_EEDaSR_SS_EUlSR_E0_NS1_11comp_targetILNS1_3genE5ELNS1_11target_archE942ELNS1_3gpuE9ELNS1_3repE0EEENS1_30default_config_static_selectorELNS0_4arch9wavefront6targetE1EEEvT1_,comdat
.Lfunc_end6188:
	.size	_ZN7rocprim17ROCPRIM_400000_NS6detail17trampoline_kernelINS0_14default_configENS1_20scan_config_selectorIiEEZZNS1_9scan_implILNS1_25lookback_scan_determinismE0ELb1ELb1ES3_N6thrust23THRUST_200600_302600_NS6detail15normal_iteratorINS9_10device_ptrIjEEEENSB_INSC_IfEEEEiNS9_4plusIvEEiEEDaPvRmT3_T4_T5_mT6_P12ihipStream_tbENKUlT_T0_E_clISt17integral_constantIbLb1EESW_EEDaSR_SS_EUlSR_E0_NS1_11comp_targetILNS1_3genE5ELNS1_11target_archE942ELNS1_3gpuE9ELNS1_3repE0EEENS1_30default_config_static_selectorELNS0_4arch9wavefront6targetE1EEEvT1_, .Lfunc_end6188-_ZN7rocprim17ROCPRIM_400000_NS6detail17trampoline_kernelINS0_14default_configENS1_20scan_config_selectorIiEEZZNS1_9scan_implILNS1_25lookback_scan_determinismE0ELb1ELb1ES3_N6thrust23THRUST_200600_302600_NS6detail15normal_iteratorINS9_10device_ptrIjEEEENSB_INSC_IfEEEEiNS9_4plusIvEEiEEDaPvRmT3_T4_T5_mT6_P12ihipStream_tbENKUlT_T0_E_clISt17integral_constantIbLb1EESW_EEDaSR_SS_EUlSR_E0_NS1_11comp_targetILNS1_3genE5ELNS1_11target_archE942ELNS1_3gpuE9ELNS1_3repE0EEENS1_30default_config_static_selectorELNS0_4arch9wavefront6targetE1EEEvT1_
                                        ; -- End function
	.section	.AMDGPU.csdata,"",@progbits
; Kernel info:
; codeLenInByte = 0
; NumSgprs: 4
; NumVgprs: 0
; NumAgprs: 0
; TotalNumVgprs: 0
; ScratchSize: 0
; MemoryBound: 0
; FloatMode: 240
; IeeeMode: 1
; LDSByteSize: 0 bytes/workgroup (compile time only)
; SGPRBlocks: 0
; VGPRBlocks: 0
; NumSGPRsForWavesPerEU: 4
; NumVGPRsForWavesPerEU: 1
; AccumOffset: 4
; Occupancy: 8
; WaveLimiterHint : 0
; COMPUTE_PGM_RSRC2:SCRATCH_EN: 0
; COMPUTE_PGM_RSRC2:USER_SGPR: 6
; COMPUTE_PGM_RSRC2:TRAP_HANDLER: 0
; COMPUTE_PGM_RSRC2:TGID_X_EN: 1
; COMPUTE_PGM_RSRC2:TGID_Y_EN: 0
; COMPUTE_PGM_RSRC2:TGID_Z_EN: 0
; COMPUTE_PGM_RSRC2:TIDIG_COMP_CNT: 0
; COMPUTE_PGM_RSRC3_GFX90A:ACCUM_OFFSET: 0
; COMPUTE_PGM_RSRC3_GFX90A:TG_SPLIT: 0
	.section	.text._ZN7rocprim17ROCPRIM_400000_NS6detail17trampoline_kernelINS0_14default_configENS1_20scan_config_selectorIiEEZZNS1_9scan_implILNS1_25lookback_scan_determinismE0ELb1ELb1ES3_N6thrust23THRUST_200600_302600_NS6detail15normal_iteratorINS9_10device_ptrIjEEEENSB_INSC_IfEEEEiNS9_4plusIvEEiEEDaPvRmT3_T4_T5_mT6_P12ihipStream_tbENKUlT_T0_E_clISt17integral_constantIbLb1EESW_EEDaSR_SS_EUlSR_E0_NS1_11comp_targetILNS1_3genE4ELNS1_11target_archE910ELNS1_3gpuE8ELNS1_3repE0EEENS1_30default_config_static_selectorELNS0_4arch9wavefront6targetE1EEEvT1_,"axG",@progbits,_ZN7rocprim17ROCPRIM_400000_NS6detail17trampoline_kernelINS0_14default_configENS1_20scan_config_selectorIiEEZZNS1_9scan_implILNS1_25lookback_scan_determinismE0ELb1ELb1ES3_N6thrust23THRUST_200600_302600_NS6detail15normal_iteratorINS9_10device_ptrIjEEEENSB_INSC_IfEEEEiNS9_4plusIvEEiEEDaPvRmT3_T4_T5_mT6_P12ihipStream_tbENKUlT_T0_E_clISt17integral_constantIbLb1EESW_EEDaSR_SS_EUlSR_E0_NS1_11comp_targetILNS1_3genE4ELNS1_11target_archE910ELNS1_3gpuE8ELNS1_3repE0EEENS1_30default_config_static_selectorELNS0_4arch9wavefront6targetE1EEEvT1_,comdat
	.protected	_ZN7rocprim17ROCPRIM_400000_NS6detail17trampoline_kernelINS0_14default_configENS1_20scan_config_selectorIiEEZZNS1_9scan_implILNS1_25lookback_scan_determinismE0ELb1ELb1ES3_N6thrust23THRUST_200600_302600_NS6detail15normal_iteratorINS9_10device_ptrIjEEEENSB_INSC_IfEEEEiNS9_4plusIvEEiEEDaPvRmT3_T4_T5_mT6_P12ihipStream_tbENKUlT_T0_E_clISt17integral_constantIbLb1EESW_EEDaSR_SS_EUlSR_E0_NS1_11comp_targetILNS1_3genE4ELNS1_11target_archE910ELNS1_3gpuE8ELNS1_3repE0EEENS1_30default_config_static_selectorELNS0_4arch9wavefront6targetE1EEEvT1_ ; -- Begin function _ZN7rocprim17ROCPRIM_400000_NS6detail17trampoline_kernelINS0_14default_configENS1_20scan_config_selectorIiEEZZNS1_9scan_implILNS1_25lookback_scan_determinismE0ELb1ELb1ES3_N6thrust23THRUST_200600_302600_NS6detail15normal_iteratorINS9_10device_ptrIjEEEENSB_INSC_IfEEEEiNS9_4plusIvEEiEEDaPvRmT3_T4_T5_mT6_P12ihipStream_tbENKUlT_T0_E_clISt17integral_constantIbLb1EESW_EEDaSR_SS_EUlSR_E0_NS1_11comp_targetILNS1_3genE4ELNS1_11target_archE910ELNS1_3gpuE8ELNS1_3repE0EEENS1_30default_config_static_selectorELNS0_4arch9wavefront6targetE1EEEvT1_
	.globl	_ZN7rocprim17ROCPRIM_400000_NS6detail17trampoline_kernelINS0_14default_configENS1_20scan_config_selectorIiEEZZNS1_9scan_implILNS1_25lookback_scan_determinismE0ELb1ELb1ES3_N6thrust23THRUST_200600_302600_NS6detail15normal_iteratorINS9_10device_ptrIjEEEENSB_INSC_IfEEEEiNS9_4plusIvEEiEEDaPvRmT3_T4_T5_mT6_P12ihipStream_tbENKUlT_T0_E_clISt17integral_constantIbLb1EESW_EEDaSR_SS_EUlSR_E0_NS1_11comp_targetILNS1_3genE4ELNS1_11target_archE910ELNS1_3gpuE8ELNS1_3repE0EEENS1_30default_config_static_selectorELNS0_4arch9wavefront6targetE1EEEvT1_
	.p2align	8
	.type	_ZN7rocprim17ROCPRIM_400000_NS6detail17trampoline_kernelINS0_14default_configENS1_20scan_config_selectorIiEEZZNS1_9scan_implILNS1_25lookback_scan_determinismE0ELb1ELb1ES3_N6thrust23THRUST_200600_302600_NS6detail15normal_iteratorINS9_10device_ptrIjEEEENSB_INSC_IfEEEEiNS9_4plusIvEEiEEDaPvRmT3_T4_T5_mT6_P12ihipStream_tbENKUlT_T0_E_clISt17integral_constantIbLb1EESW_EEDaSR_SS_EUlSR_E0_NS1_11comp_targetILNS1_3genE4ELNS1_11target_archE910ELNS1_3gpuE8ELNS1_3repE0EEENS1_30default_config_static_selectorELNS0_4arch9wavefront6targetE1EEEvT1_,@function
_ZN7rocprim17ROCPRIM_400000_NS6detail17trampoline_kernelINS0_14default_configENS1_20scan_config_selectorIiEEZZNS1_9scan_implILNS1_25lookback_scan_determinismE0ELb1ELb1ES3_N6thrust23THRUST_200600_302600_NS6detail15normal_iteratorINS9_10device_ptrIjEEEENSB_INSC_IfEEEEiNS9_4plusIvEEiEEDaPvRmT3_T4_T5_mT6_P12ihipStream_tbENKUlT_T0_E_clISt17integral_constantIbLb1EESW_EEDaSR_SS_EUlSR_E0_NS1_11comp_targetILNS1_3genE4ELNS1_11target_archE910ELNS1_3gpuE8ELNS1_3repE0EEENS1_30default_config_static_selectorELNS0_4arch9wavefront6targetE1EEEvT1_: ; @_ZN7rocprim17ROCPRIM_400000_NS6detail17trampoline_kernelINS0_14default_configENS1_20scan_config_selectorIiEEZZNS1_9scan_implILNS1_25lookback_scan_determinismE0ELb1ELb1ES3_N6thrust23THRUST_200600_302600_NS6detail15normal_iteratorINS9_10device_ptrIjEEEENSB_INSC_IfEEEEiNS9_4plusIvEEiEEDaPvRmT3_T4_T5_mT6_P12ihipStream_tbENKUlT_T0_E_clISt17integral_constantIbLb1EESW_EEDaSR_SS_EUlSR_E0_NS1_11comp_targetILNS1_3genE4ELNS1_11target_archE910ELNS1_3gpuE8ELNS1_3repE0EEENS1_30default_config_static_selectorELNS0_4arch9wavefront6targetE1EEEvT1_
; %bb.0:
	s_load_dwordx4 s[20:23], s[4:5], 0x0
	v_lshlrev_b32_e32 v14, 2, v0
	s_waitcnt lgkmcnt(0)
	s_load_dword s23, s[20:21], 0x0
	v_cmp_gt_u32_e32 vcc, s22, v0
	s_waitcnt lgkmcnt(0)
	v_mov_b32_e32 v1, s23
	s_and_saveexec_b64 s[0:1], vcc
	s_cbranch_execz .LBB6189_2
; %bb.1:
	global_load_dword v1, v14, s[20:21]
.LBB6189_2:
	s_or_b64 exec, exec, s[0:1]
	v_or_b32_e32 v2, 0x80, v0
	v_cmp_gt_u32_e64 s[0:1], s22, v2
	v_mov_b32_e32 v2, s23
	s_and_saveexec_b64 s[2:3], s[0:1]
	s_cbranch_execz .LBB6189_4
; %bb.3:
	global_load_dword v2, v14, s[20:21] offset:512
.LBB6189_4:
	s_or_b64 exec, exec, s[2:3]
	v_or_b32_e32 v3, 0x100, v0
	v_cmp_gt_u32_e64 s[2:3], s22, v3
	v_mov_b32_e32 v3, s23
	s_and_saveexec_b64 s[6:7], s[2:3]
	s_cbranch_execz .LBB6189_6
; %bb.5:
	global_load_dword v3, v14, s[20:21] offset:1024
.LBB6189_6:
	;; [unrolled: 9-line block ×7, first 2 shown]
	s_or_b64 exec, exec, s[14:15]
	v_or_b32_e32 v10, 0x400, v0
	v_cmp_gt_u32_e64 s[14:15], s22, v10
	v_mov_b32_e32 v9, s23
	s_and_saveexec_b64 s[16:17], s[14:15]
	s_cbranch_execz .LBB6189_18
; %bb.17:
	v_lshlrev_b32_e32 v9, 2, v10
	global_load_dword v9, v9, s[20:21]
.LBB6189_18:
	s_or_b64 exec, exec, s[16:17]
	s_load_dword s24, s[4:5], 0x10
	v_or_b32_e32 v11, 0x480, v0
	v_cmp_gt_u32_e64 s[16:17], s22, v11
	v_mov_b32_e32 v10, s23
	s_and_saveexec_b64 s[22:23], s[16:17]
	s_cbranch_execz .LBB6189_20
; %bb.19:
	v_lshlrev_b32_e32 v10, 2, v11
	global_load_dword v10, v10, s[20:21]
.LBB6189_20:
	s_or_b64 exec, exec, s[22:23]
	s_waitcnt vmcnt(0)
	ds_write2st64_b32 v14, v1, v2 offset1:2
	ds_write2st64_b32 v14, v3, v4 offset0:4 offset1:6
	ds_write2st64_b32 v14, v5, v6 offset0:8 offset1:10
	;; [unrolled: 1-line block ×4, first 2 shown]
	v_mad_u32_u24 v1, v0, 36, v14
	s_waitcnt lgkmcnt(0)
	s_barrier
	ds_read2_b64 v[6:9], v1 offset1:1
	ds_read2_b64 v[2:5], v1 offset0:2 offset1:3
	ds_read_b64 v[10:11], v1 offset:32
	s_load_dwordx2 s[20:21], s[4:5], 0x18
	v_cmp_gt_u32_e64 s[4:5], 64, v0
	s_waitcnt lgkmcnt(0)
	v_add_u32_e32 v1, v7, v6
	v_add3_u32 v1, v1, v8, v9
	v_add3_u32 v1, v1, v2, v3
	;; [unrolled: 1-line block ×4, first 2 shown]
	v_lshrrev_b32_e32 v11, 3, v0
	v_and_b32_e32 v11, 12, v11
	v_add_u32_e32 v11, v14, v11
	s_barrier
	ds_write_b32 v11, v1
	s_waitcnt lgkmcnt(0)
	s_barrier
	s_and_saveexec_b64 s[22:23], s[4:5]
	s_cbranch_execz .LBB6189_22
; %bb.21:
	v_lshlrev_b32_e32 v11, 1, v0
	v_lshrrev_b32_e32 v12, 4, v0
	v_add_lshl_u32 v11, v12, v11, 2
	ds_read2_b32 v[12:13], v11 offset1:1
	v_mbcnt_lo_u32_b32 v15, -1, 0
	v_mbcnt_hi_u32_b32 v15, -1, v15
	v_and_b32_e32 v16, 15, v15
	v_cmp_ne_u32_e64 s[4:5], 0, v16
	s_waitcnt lgkmcnt(0)
	v_add_u32_e32 v13, v13, v12
	; wave barrier
	s_nop 1
	v_mov_b32_dpp v17, v13 row_shr:1 row_mask:0xf bank_mask:0xf
	v_cndmask_b32_e64 v17, 0, v17, s[4:5]
	v_add_u32_e32 v13, v17, v13
	v_cmp_lt_u32_e64 s[4:5], 1, v16
	s_nop 0
	v_mov_b32_dpp v17, v13 row_shr:2 row_mask:0xf bank_mask:0xf
	v_cndmask_b32_e64 v17, 0, v17, s[4:5]
	v_add_u32_e32 v13, v13, v17
	v_cmp_lt_u32_e64 s[4:5], 3, v16
	;; [unrolled: 5-line block ×3, first 2 shown]
	s_nop 0
	v_mov_b32_dpp v17, v13 row_shr:8 row_mask:0xf bank_mask:0xf
	v_cndmask_b32_e64 v16, 0, v17, s[4:5]
	v_add_u32_e32 v13, v13, v16
	v_bfe_i32 v17, v15, 4, 1
	v_cmp_lt_u32_e64 s[4:5], 31, v15
	v_mov_b32_dpp v16, v13 row_bcast:15 row_mask:0xf bank_mask:0xf
	v_and_b32_e32 v16, v17, v16
	v_add_u32_e32 v13, v13, v16
	v_and_b32_e32 v17, 64, v15
	s_nop 0
	v_mov_b32_dpp v16, v13 row_bcast:31 row_mask:0xf bank_mask:0xf
	v_cndmask_b32_e64 v16, 0, v16, s[4:5]
	v_add_u32_e32 v13, v13, v16
	v_add_u32_e32 v16, -1, v15
	v_cmp_lt_i32_e64 s[4:5], v16, v17
	v_cndmask_b32_e64 v15, v16, v15, s[4:5]
	v_lshlrev_b32_e32 v15, 2, v15
	ds_bpermute_b32 v13, v15, v13
	v_cmp_eq_u32_e64 s[4:5], 0, v0
	s_waitcnt lgkmcnt(0)
	v_add_u32_e32 v12, v13, v12
	v_cndmask_b32_e64 v1, v12, v1, s[4:5]
	ds_write_b32 v11, v1
	; wave barrier
	ds_read_b32 v12, v11 offset:4
	s_waitcnt lgkmcnt(0)
	v_add_u32_e32 v1, v12, v1
	ds_write_b32 v11, v1 offset:4
.LBB6189_22:
	s_or_b64 exec, exec, s[22:23]
	v_mul_u32_u24_e32 v1, 36, v0
	v_cmp_ne_u32_e64 s[4:5], 0, v0
	v_mov_b32_e32 v12, s24
	s_waitcnt lgkmcnt(0)
	s_barrier
	s_and_saveexec_b64 s[22:23], s[4:5]
	s_cbranch_execz .LBB6189_24
; %bb.23:
	v_add_u32_e32 v0, -1, v0
	v_lshrrev_b32_e32 v11, 5, v0
	v_add_lshl_u32 v0, v11, v0, 2
	ds_read_b32 v0, v0
	s_waitcnt lgkmcnt(0)
	v_add_u32_e32 v12, s24, v0
.LBB6189_24:
	s_or_b64 exec, exec, s[22:23]
	v_add_u32_e32 v13, v12, v6
	v_add_u32_e32 v6, v13, v7
	;; [unrolled: 1-line block ×10, first 2 shown]
	s_barrier
	ds_write2_b64 v0, v[12:13], v[6:7] offset1:1
	ds_write2_b64 v0, v[8:9], v[2:3] offset0:2 offset1:3
	ds_write_b64 v0, v[4:5] offset:32
	s_waitcnt lgkmcnt(0)
	s_barrier
	ds_read2st64_b32 v[8:9], v14 offset0:2 offset1:4
	ds_read2st64_b32 v[6:7], v14 offset0:6 offset1:8
	;; [unrolled: 1-line block ×4, first 2 shown]
	ds_read_b32 v10, v14 offset:4608
	v_mov_b32_e32 v1, s21
	v_add_co_u32_e64 v0, s[4:5], s20, v14
	v_addc_co_u32_e64 v1, s[4:5], 0, v1, s[4:5]
	s_and_saveexec_b64 s[4:5], vcc
	s_cbranch_execnz .LBB6189_35
; %bb.25:
	s_or_b64 exec, exec, s[4:5]
	s_and_saveexec_b64 s[4:5], s[0:1]
	s_cbranch_execnz .LBB6189_36
.LBB6189_26:
	s_or_b64 exec, exec, s[4:5]
	s_and_saveexec_b64 s[0:1], s[2:3]
	s_cbranch_execnz .LBB6189_37
.LBB6189_27:
	s_or_b64 exec, exec, s[0:1]
	s_and_saveexec_b64 s[0:1], s[18:19]
	s_cbranch_execnz .LBB6189_38
.LBB6189_28:
	s_or_b64 exec, exec, s[0:1]
	s_and_saveexec_b64 s[0:1], s[6:7]
	s_cbranch_execnz .LBB6189_39
.LBB6189_29:
	s_or_b64 exec, exec, s[0:1]
	s_and_saveexec_b64 s[0:1], s[8:9]
	s_cbranch_execnz .LBB6189_40
.LBB6189_30:
	s_or_b64 exec, exec, s[0:1]
	s_and_saveexec_b64 s[0:1], s[10:11]
	s_cbranch_execnz .LBB6189_41
.LBB6189_31:
	s_or_b64 exec, exec, s[0:1]
	s_and_saveexec_b64 s[0:1], s[12:13]
	s_cbranch_execnz .LBB6189_42
.LBB6189_32:
	s_or_b64 exec, exec, s[0:1]
	s_and_saveexec_b64 s[0:1], s[14:15]
	s_cbranch_execnz .LBB6189_43
.LBB6189_33:
	s_or_b64 exec, exec, s[0:1]
	s_and_saveexec_b64 s[0:1], s[16:17]
	s_cbranch_execnz .LBB6189_44
.LBB6189_34:
	s_endpgm
.LBB6189_35:
	ds_read_b32 v11, v14
	s_waitcnt lgkmcnt(0)
	v_cvt_f32_i32_e32 v11, v11
	global_store_dword v[0:1], v11, off
	s_or_b64 exec, exec, s[4:5]
	s_and_saveexec_b64 s[4:5], s[0:1]
	s_cbranch_execz .LBB6189_26
.LBB6189_36:
	s_waitcnt lgkmcnt(4)
	v_cvt_f32_i32_e32 v8, v8
	global_store_dword v[0:1], v8, off offset:512
	s_or_b64 exec, exec, s[4:5]
	s_and_saveexec_b64 s[0:1], s[2:3]
	s_cbranch_execz .LBB6189_27
.LBB6189_37:
	s_waitcnt lgkmcnt(4)
	v_cvt_f32_i32_e32 v8, v9
	global_store_dword v[0:1], v8, off offset:1024
	s_or_b64 exec, exec, s[0:1]
	s_and_saveexec_b64 s[0:1], s[18:19]
	s_cbranch_execz .LBB6189_28
.LBB6189_38:
	s_waitcnt lgkmcnt(3)
	v_cvt_f32_i32_e32 v6, v6
	global_store_dword v[0:1], v6, off offset:1536
	s_or_b64 exec, exec, s[0:1]
	s_and_saveexec_b64 s[0:1], s[6:7]
	s_cbranch_execz .LBB6189_29
.LBB6189_39:
	s_waitcnt lgkmcnt(3)
	v_cvt_f32_i32_e32 v6, v7
	global_store_dword v[0:1], v6, off offset:2048
	s_or_b64 exec, exec, s[0:1]
	s_and_saveexec_b64 s[0:1], s[8:9]
	s_cbranch_execz .LBB6189_30
.LBB6189_40:
	s_waitcnt lgkmcnt(2)
	v_cvt_f32_i32_e32 v4, v4
	global_store_dword v[0:1], v4, off offset:2560
	s_or_b64 exec, exec, s[0:1]
	s_and_saveexec_b64 s[0:1], s[10:11]
	s_cbranch_execz .LBB6189_31
.LBB6189_41:
	s_waitcnt lgkmcnt(2)
	v_cvt_f32_i32_e32 v4, v5
	global_store_dword v[0:1], v4, off offset:3072
	s_or_b64 exec, exec, s[0:1]
	s_and_saveexec_b64 s[0:1], s[12:13]
	s_cbranch_execz .LBB6189_32
.LBB6189_42:
	s_waitcnt lgkmcnt(1)
	v_cvt_f32_i32_e32 v2, v2
	global_store_dword v[0:1], v2, off offset:3584
	s_or_b64 exec, exec, s[0:1]
	s_and_saveexec_b64 s[0:1], s[14:15]
	s_cbranch_execz .LBB6189_33
.LBB6189_43:
	s_waitcnt lgkmcnt(1)
	v_cvt_f32_i32_e32 v4, v3
	v_add_co_u32_e32 v2, vcc, 0x1000, v0
	v_addc_co_u32_e32 v3, vcc, 0, v1, vcc
	global_store_dword v[2:3], v4, off
	s_or_b64 exec, exec, s[0:1]
	s_and_saveexec_b64 s[0:1], s[16:17]
	s_cbranch_execz .LBB6189_34
.LBB6189_44:
	s_waitcnt lgkmcnt(0)
	v_cvt_f32_i32_e32 v2, v10
	v_add_co_u32_e32 v0, vcc, 0x1000, v0
	v_addc_co_u32_e32 v1, vcc, 0, v1, vcc
	global_store_dword v[0:1], v2, off offset:512
	s_endpgm
	.section	.rodata,"a",@progbits
	.p2align	6, 0x0
	.amdhsa_kernel _ZN7rocprim17ROCPRIM_400000_NS6detail17trampoline_kernelINS0_14default_configENS1_20scan_config_selectorIiEEZZNS1_9scan_implILNS1_25lookback_scan_determinismE0ELb1ELb1ES3_N6thrust23THRUST_200600_302600_NS6detail15normal_iteratorINS9_10device_ptrIjEEEENSB_INSC_IfEEEEiNS9_4plusIvEEiEEDaPvRmT3_T4_T5_mT6_P12ihipStream_tbENKUlT_T0_E_clISt17integral_constantIbLb1EESW_EEDaSR_SS_EUlSR_E0_NS1_11comp_targetILNS1_3genE4ELNS1_11target_archE910ELNS1_3gpuE8ELNS1_3repE0EEENS1_30default_config_static_selectorELNS0_4arch9wavefront6targetE1EEEvT1_
		.amdhsa_group_segment_fixed_size 5120
		.amdhsa_private_segment_fixed_size 0
		.amdhsa_kernarg_size 32
		.amdhsa_user_sgpr_count 6
		.amdhsa_user_sgpr_private_segment_buffer 1
		.amdhsa_user_sgpr_dispatch_ptr 0
		.amdhsa_user_sgpr_queue_ptr 0
		.amdhsa_user_sgpr_kernarg_segment_ptr 1
		.amdhsa_user_sgpr_dispatch_id 0
		.amdhsa_user_sgpr_flat_scratch_init 0
		.amdhsa_user_sgpr_kernarg_preload_length 0
		.amdhsa_user_sgpr_kernarg_preload_offset 0
		.amdhsa_user_sgpr_private_segment_size 0
		.amdhsa_uses_dynamic_stack 0
		.amdhsa_system_sgpr_private_segment_wavefront_offset 0
		.amdhsa_system_sgpr_workgroup_id_x 1
		.amdhsa_system_sgpr_workgroup_id_y 0
		.amdhsa_system_sgpr_workgroup_id_z 0
		.amdhsa_system_sgpr_workgroup_info 0
		.amdhsa_system_vgpr_workitem_id 0
		.amdhsa_next_free_vgpr 18
		.amdhsa_next_free_sgpr 25
		.amdhsa_accum_offset 20
		.amdhsa_reserve_vcc 1
		.amdhsa_reserve_flat_scratch 0
		.amdhsa_float_round_mode_32 0
		.amdhsa_float_round_mode_16_64 0
		.amdhsa_float_denorm_mode_32 3
		.amdhsa_float_denorm_mode_16_64 3
		.amdhsa_dx10_clamp 1
		.amdhsa_ieee_mode 1
		.amdhsa_fp16_overflow 0
		.amdhsa_tg_split 0
		.amdhsa_exception_fp_ieee_invalid_op 0
		.amdhsa_exception_fp_denorm_src 0
		.amdhsa_exception_fp_ieee_div_zero 0
		.amdhsa_exception_fp_ieee_overflow 0
		.amdhsa_exception_fp_ieee_underflow 0
		.amdhsa_exception_fp_ieee_inexact 0
		.amdhsa_exception_int_div_zero 0
	.end_amdhsa_kernel
	.section	.text._ZN7rocprim17ROCPRIM_400000_NS6detail17trampoline_kernelINS0_14default_configENS1_20scan_config_selectorIiEEZZNS1_9scan_implILNS1_25lookback_scan_determinismE0ELb1ELb1ES3_N6thrust23THRUST_200600_302600_NS6detail15normal_iteratorINS9_10device_ptrIjEEEENSB_INSC_IfEEEEiNS9_4plusIvEEiEEDaPvRmT3_T4_T5_mT6_P12ihipStream_tbENKUlT_T0_E_clISt17integral_constantIbLb1EESW_EEDaSR_SS_EUlSR_E0_NS1_11comp_targetILNS1_3genE4ELNS1_11target_archE910ELNS1_3gpuE8ELNS1_3repE0EEENS1_30default_config_static_selectorELNS0_4arch9wavefront6targetE1EEEvT1_,"axG",@progbits,_ZN7rocprim17ROCPRIM_400000_NS6detail17trampoline_kernelINS0_14default_configENS1_20scan_config_selectorIiEEZZNS1_9scan_implILNS1_25lookback_scan_determinismE0ELb1ELb1ES3_N6thrust23THRUST_200600_302600_NS6detail15normal_iteratorINS9_10device_ptrIjEEEENSB_INSC_IfEEEEiNS9_4plusIvEEiEEDaPvRmT3_T4_T5_mT6_P12ihipStream_tbENKUlT_T0_E_clISt17integral_constantIbLb1EESW_EEDaSR_SS_EUlSR_E0_NS1_11comp_targetILNS1_3genE4ELNS1_11target_archE910ELNS1_3gpuE8ELNS1_3repE0EEENS1_30default_config_static_selectorELNS0_4arch9wavefront6targetE1EEEvT1_,comdat
.Lfunc_end6189:
	.size	_ZN7rocprim17ROCPRIM_400000_NS6detail17trampoline_kernelINS0_14default_configENS1_20scan_config_selectorIiEEZZNS1_9scan_implILNS1_25lookback_scan_determinismE0ELb1ELb1ES3_N6thrust23THRUST_200600_302600_NS6detail15normal_iteratorINS9_10device_ptrIjEEEENSB_INSC_IfEEEEiNS9_4plusIvEEiEEDaPvRmT3_T4_T5_mT6_P12ihipStream_tbENKUlT_T0_E_clISt17integral_constantIbLb1EESW_EEDaSR_SS_EUlSR_E0_NS1_11comp_targetILNS1_3genE4ELNS1_11target_archE910ELNS1_3gpuE8ELNS1_3repE0EEENS1_30default_config_static_selectorELNS0_4arch9wavefront6targetE1EEEvT1_, .Lfunc_end6189-_ZN7rocprim17ROCPRIM_400000_NS6detail17trampoline_kernelINS0_14default_configENS1_20scan_config_selectorIiEEZZNS1_9scan_implILNS1_25lookback_scan_determinismE0ELb1ELb1ES3_N6thrust23THRUST_200600_302600_NS6detail15normal_iteratorINS9_10device_ptrIjEEEENSB_INSC_IfEEEEiNS9_4plusIvEEiEEDaPvRmT3_T4_T5_mT6_P12ihipStream_tbENKUlT_T0_E_clISt17integral_constantIbLb1EESW_EEDaSR_SS_EUlSR_E0_NS1_11comp_targetILNS1_3genE4ELNS1_11target_archE910ELNS1_3gpuE8ELNS1_3repE0EEENS1_30default_config_static_selectorELNS0_4arch9wavefront6targetE1EEEvT1_
                                        ; -- End function
	.section	.AMDGPU.csdata,"",@progbits
; Kernel info:
; codeLenInByte = 1572
; NumSgprs: 29
; NumVgprs: 18
; NumAgprs: 0
; TotalNumVgprs: 18
; ScratchSize: 0
; MemoryBound: 0
; FloatMode: 240
; IeeeMode: 1
; LDSByteSize: 5120 bytes/workgroup (compile time only)
; SGPRBlocks: 3
; VGPRBlocks: 2
; NumSGPRsForWavesPerEU: 29
; NumVGPRsForWavesPerEU: 18
; AccumOffset: 20
; Occupancy: 6
; WaveLimiterHint : 0
; COMPUTE_PGM_RSRC2:SCRATCH_EN: 0
; COMPUTE_PGM_RSRC2:USER_SGPR: 6
; COMPUTE_PGM_RSRC2:TRAP_HANDLER: 0
; COMPUTE_PGM_RSRC2:TGID_X_EN: 1
; COMPUTE_PGM_RSRC2:TGID_Y_EN: 0
; COMPUTE_PGM_RSRC2:TGID_Z_EN: 0
; COMPUTE_PGM_RSRC2:TIDIG_COMP_CNT: 0
; COMPUTE_PGM_RSRC3_GFX90A:ACCUM_OFFSET: 4
; COMPUTE_PGM_RSRC3_GFX90A:TG_SPLIT: 0
	.section	.text._ZN7rocprim17ROCPRIM_400000_NS6detail17trampoline_kernelINS0_14default_configENS1_20scan_config_selectorIiEEZZNS1_9scan_implILNS1_25lookback_scan_determinismE0ELb1ELb1ES3_N6thrust23THRUST_200600_302600_NS6detail15normal_iteratorINS9_10device_ptrIjEEEENSB_INSC_IfEEEEiNS9_4plusIvEEiEEDaPvRmT3_T4_T5_mT6_P12ihipStream_tbENKUlT_T0_E_clISt17integral_constantIbLb1EESW_EEDaSR_SS_EUlSR_E0_NS1_11comp_targetILNS1_3genE3ELNS1_11target_archE908ELNS1_3gpuE7ELNS1_3repE0EEENS1_30default_config_static_selectorELNS0_4arch9wavefront6targetE1EEEvT1_,"axG",@progbits,_ZN7rocprim17ROCPRIM_400000_NS6detail17trampoline_kernelINS0_14default_configENS1_20scan_config_selectorIiEEZZNS1_9scan_implILNS1_25lookback_scan_determinismE0ELb1ELb1ES3_N6thrust23THRUST_200600_302600_NS6detail15normal_iteratorINS9_10device_ptrIjEEEENSB_INSC_IfEEEEiNS9_4plusIvEEiEEDaPvRmT3_T4_T5_mT6_P12ihipStream_tbENKUlT_T0_E_clISt17integral_constantIbLb1EESW_EEDaSR_SS_EUlSR_E0_NS1_11comp_targetILNS1_3genE3ELNS1_11target_archE908ELNS1_3gpuE7ELNS1_3repE0EEENS1_30default_config_static_selectorELNS0_4arch9wavefront6targetE1EEEvT1_,comdat
	.protected	_ZN7rocprim17ROCPRIM_400000_NS6detail17trampoline_kernelINS0_14default_configENS1_20scan_config_selectorIiEEZZNS1_9scan_implILNS1_25lookback_scan_determinismE0ELb1ELb1ES3_N6thrust23THRUST_200600_302600_NS6detail15normal_iteratorINS9_10device_ptrIjEEEENSB_INSC_IfEEEEiNS9_4plusIvEEiEEDaPvRmT3_T4_T5_mT6_P12ihipStream_tbENKUlT_T0_E_clISt17integral_constantIbLb1EESW_EEDaSR_SS_EUlSR_E0_NS1_11comp_targetILNS1_3genE3ELNS1_11target_archE908ELNS1_3gpuE7ELNS1_3repE0EEENS1_30default_config_static_selectorELNS0_4arch9wavefront6targetE1EEEvT1_ ; -- Begin function _ZN7rocprim17ROCPRIM_400000_NS6detail17trampoline_kernelINS0_14default_configENS1_20scan_config_selectorIiEEZZNS1_9scan_implILNS1_25lookback_scan_determinismE0ELb1ELb1ES3_N6thrust23THRUST_200600_302600_NS6detail15normal_iteratorINS9_10device_ptrIjEEEENSB_INSC_IfEEEEiNS9_4plusIvEEiEEDaPvRmT3_T4_T5_mT6_P12ihipStream_tbENKUlT_T0_E_clISt17integral_constantIbLb1EESW_EEDaSR_SS_EUlSR_E0_NS1_11comp_targetILNS1_3genE3ELNS1_11target_archE908ELNS1_3gpuE7ELNS1_3repE0EEENS1_30default_config_static_selectorELNS0_4arch9wavefront6targetE1EEEvT1_
	.globl	_ZN7rocprim17ROCPRIM_400000_NS6detail17trampoline_kernelINS0_14default_configENS1_20scan_config_selectorIiEEZZNS1_9scan_implILNS1_25lookback_scan_determinismE0ELb1ELb1ES3_N6thrust23THRUST_200600_302600_NS6detail15normal_iteratorINS9_10device_ptrIjEEEENSB_INSC_IfEEEEiNS9_4plusIvEEiEEDaPvRmT3_T4_T5_mT6_P12ihipStream_tbENKUlT_T0_E_clISt17integral_constantIbLb1EESW_EEDaSR_SS_EUlSR_E0_NS1_11comp_targetILNS1_3genE3ELNS1_11target_archE908ELNS1_3gpuE7ELNS1_3repE0EEENS1_30default_config_static_selectorELNS0_4arch9wavefront6targetE1EEEvT1_
	.p2align	8
	.type	_ZN7rocprim17ROCPRIM_400000_NS6detail17trampoline_kernelINS0_14default_configENS1_20scan_config_selectorIiEEZZNS1_9scan_implILNS1_25lookback_scan_determinismE0ELb1ELb1ES3_N6thrust23THRUST_200600_302600_NS6detail15normal_iteratorINS9_10device_ptrIjEEEENSB_INSC_IfEEEEiNS9_4plusIvEEiEEDaPvRmT3_T4_T5_mT6_P12ihipStream_tbENKUlT_T0_E_clISt17integral_constantIbLb1EESW_EEDaSR_SS_EUlSR_E0_NS1_11comp_targetILNS1_3genE3ELNS1_11target_archE908ELNS1_3gpuE7ELNS1_3repE0EEENS1_30default_config_static_selectorELNS0_4arch9wavefront6targetE1EEEvT1_,@function
_ZN7rocprim17ROCPRIM_400000_NS6detail17trampoline_kernelINS0_14default_configENS1_20scan_config_selectorIiEEZZNS1_9scan_implILNS1_25lookback_scan_determinismE0ELb1ELb1ES3_N6thrust23THRUST_200600_302600_NS6detail15normal_iteratorINS9_10device_ptrIjEEEENSB_INSC_IfEEEEiNS9_4plusIvEEiEEDaPvRmT3_T4_T5_mT6_P12ihipStream_tbENKUlT_T0_E_clISt17integral_constantIbLb1EESW_EEDaSR_SS_EUlSR_E0_NS1_11comp_targetILNS1_3genE3ELNS1_11target_archE908ELNS1_3gpuE7ELNS1_3repE0EEENS1_30default_config_static_selectorELNS0_4arch9wavefront6targetE1EEEvT1_: ; @_ZN7rocprim17ROCPRIM_400000_NS6detail17trampoline_kernelINS0_14default_configENS1_20scan_config_selectorIiEEZZNS1_9scan_implILNS1_25lookback_scan_determinismE0ELb1ELb1ES3_N6thrust23THRUST_200600_302600_NS6detail15normal_iteratorINS9_10device_ptrIjEEEENSB_INSC_IfEEEEiNS9_4plusIvEEiEEDaPvRmT3_T4_T5_mT6_P12ihipStream_tbENKUlT_T0_E_clISt17integral_constantIbLb1EESW_EEDaSR_SS_EUlSR_E0_NS1_11comp_targetILNS1_3genE3ELNS1_11target_archE908ELNS1_3gpuE7ELNS1_3repE0EEENS1_30default_config_static_selectorELNS0_4arch9wavefront6targetE1EEEvT1_
; %bb.0:
	.section	.rodata,"a",@progbits
	.p2align	6, 0x0
	.amdhsa_kernel _ZN7rocprim17ROCPRIM_400000_NS6detail17trampoline_kernelINS0_14default_configENS1_20scan_config_selectorIiEEZZNS1_9scan_implILNS1_25lookback_scan_determinismE0ELb1ELb1ES3_N6thrust23THRUST_200600_302600_NS6detail15normal_iteratorINS9_10device_ptrIjEEEENSB_INSC_IfEEEEiNS9_4plusIvEEiEEDaPvRmT3_T4_T5_mT6_P12ihipStream_tbENKUlT_T0_E_clISt17integral_constantIbLb1EESW_EEDaSR_SS_EUlSR_E0_NS1_11comp_targetILNS1_3genE3ELNS1_11target_archE908ELNS1_3gpuE7ELNS1_3repE0EEENS1_30default_config_static_selectorELNS0_4arch9wavefront6targetE1EEEvT1_
		.amdhsa_group_segment_fixed_size 0
		.amdhsa_private_segment_fixed_size 0
		.amdhsa_kernarg_size 32
		.amdhsa_user_sgpr_count 6
		.amdhsa_user_sgpr_private_segment_buffer 1
		.amdhsa_user_sgpr_dispatch_ptr 0
		.amdhsa_user_sgpr_queue_ptr 0
		.amdhsa_user_sgpr_kernarg_segment_ptr 1
		.amdhsa_user_sgpr_dispatch_id 0
		.amdhsa_user_sgpr_flat_scratch_init 0
		.amdhsa_user_sgpr_kernarg_preload_length 0
		.amdhsa_user_sgpr_kernarg_preload_offset 0
		.amdhsa_user_sgpr_private_segment_size 0
		.amdhsa_uses_dynamic_stack 0
		.amdhsa_system_sgpr_private_segment_wavefront_offset 0
		.amdhsa_system_sgpr_workgroup_id_x 1
		.amdhsa_system_sgpr_workgroup_id_y 0
		.amdhsa_system_sgpr_workgroup_id_z 0
		.amdhsa_system_sgpr_workgroup_info 0
		.amdhsa_system_vgpr_workitem_id 0
		.amdhsa_next_free_vgpr 1
		.amdhsa_next_free_sgpr 0
		.amdhsa_accum_offset 4
		.amdhsa_reserve_vcc 0
		.amdhsa_reserve_flat_scratch 0
		.amdhsa_float_round_mode_32 0
		.amdhsa_float_round_mode_16_64 0
		.amdhsa_float_denorm_mode_32 3
		.amdhsa_float_denorm_mode_16_64 3
		.amdhsa_dx10_clamp 1
		.amdhsa_ieee_mode 1
		.amdhsa_fp16_overflow 0
		.amdhsa_tg_split 0
		.amdhsa_exception_fp_ieee_invalid_op 0
		.amdhsa_exception_fp_denorm_src 0
		.amdhsa_exception_fp_ieee_div_zero 0
		.amdhsa_exception_fp_ieee_overflow 0
		.amdhsa_exception_fp_ieee_underflow 0
		.amdhsa_exception_fp_ieee_inexact 0
		.amdhsa_exception_int_div_zero 0
	.end_amdhsa_kernel
	.section	.text._ZN7rocprim17ROCPRIM_400000_NS6detail17trampoline_kernelINS0_14default_configENS1_20scan_config_selectorIiEEZZNS1_9scan_implILNS1_25lookback_scan_determinismE0ELb1ELb1ES3_N6thrust23THRUST_200600_302600_NS6detail15normal_iteratorINS9_10device_ptrIjEEEENSB_INSC_IfEEEEiNS9_4plusIvEEiEEDaPvRmT3_T4_T5_mT6_P12ihipStream_tbENKUlT_T0_E_clISt17integral_constantIbLb1EESW_EEDaSR_SS_EUlSR_E0_NS1_11comp_targetILNS1_3genE3ELNS1_11target_archE908ELNS1_3gpuE7ELNS1_3repE0EEENS1_30default_config_static_selectorELNS0_4arch9wavefront6targetE1EEEvT1_,"axG",@progbits,_ZN7rocprim17ROCPRIM_400000_NS6detail17trampoline_kernelINS0_14default_configENS1_20scan_config_selectorIiEEZZNS1_9scan_implILNS1_25lookback_scan_determinismE0ELb1ELb1ES3_N6thrust23THRUST_200600_302600_NS6detail15normal_iteratorINS9_10device_ptrIjEEEENSB_INSC_IfEEEEiNS9_4plusIvEEiEEDaPvRmT3_T4_T5_mT6_P12ihipStream_tbENKUlT_T0_E_clISt17integral_constantIbLb1EESW_EEDaSR_SS_EUlSR_E0_NS1_11comp_targetILNS1_3genE3ELNS1_11target_archE908ELNS1_3gpuE7ELNS1_3repE0EEENS1_30default_config_static_selectorELNS0_4arch9wavefront6targetE1EEEvT1_,comdat
.Lfunc_end6190:
	.size	_ZN7rocprim17ROCPRIM_400000_NS6detail17trampoline_kernelINS0_14default_configENS1_20scan_config_selectorIiEEZZNS1_9scan_implILNS1_25lookback_scan_determinismE0ELb1ELb1ES3_N6thrust23THRUST_200600_302600_NS6detail15normal_iteratorINS9_10device_ptrIjEEEENSB_INSC_IfEEEEiNS9_4plusIvEEiEEDaPvRmT3_T4_T5_mT6_P12ihipStream_tbENKUlT_T0_E_clISt17integral_constantIbLb1EESW_EEDaSR_SS_EUlSR_E0_NS1_11comp_targetILNS1_3genE3ELNS1_11target_archE908ELNS1_3gpuE7ELNS1_3repE0EEENS1_30default_config_static_selectorELNS0_4arch9wavefront6targetE1EEEvT1_, .Lfunc_end6190-_ZN7rocprim17ROCPRIM_400000_NS6detail17trampoline_kernelINS0_14default_configENS1_20scan_config_selectorIiEEZZNS1_9scan_implILNS1_25lookback_scan_determinismE0ELb1ELb1ES3_N6thrust23THRUST_200600_302600_NS6detail15normal_iteratorINS9_10device_ptrIjEEEENSB_INSC_IfEEEEiNS9_4plusIvEEiEEDaPvRmT3_T4_T5_mT6_P12ihipStream_tbENKUlT_T0_E_clISt17integral_constantIbLb1EESW_EEDaSR_SS_EUlSR_E0_NS1_11comp_targetILNS1_3genE3ELNS1_11target_archE908ELNS1_3gpuE7ELNS1_3repE0EEENS1_30default_config_static_selectorELNS0_4arch9wavefront6targetE1EEEvT1_
                                        ; -- End function
	.section	.AMDGPU.csdata,"",@progbits
; Kernel info:
; codeLenInByte = 0
; NumSgprs: 4
; NumVgprs: 0
; NumAgprs: 0
; TotalNumVgprs: 0
; ScratchSize: 0
; MemoryBound: 0
; FloatMode: 240
; IeeeMode: 1
; LDSByteSize: 0 bytes/workgroup (compile time only)
; SGPRBlocks: 0
; VGPRBlocks: 0
; NumSGPRsForWavesPerEU: 4
; NumVGPRsForWavesPerEU: 1
; AccumOffset: 4
; Occupancy: 8
; WaveLimiterHint : 0
; COMPUTE_PGM_RSRC2:SCRATCH_EN: 0
; COMPUTE_PGM_RSRC2:USER_SGPR: 6
; COMPUTE_PGM_RSRC2:TRAP_HANDLER: 0
; COMPUTE_PGM_RSRC2:TGID_X_EN: 1
; COMPUTE_PGM_RSRC2:TGID_Y_EN: 0
; COMPUTE_PGM_RSRC2:TGID_Z_EN: 0
; COMPUTE_PGM_RSRC2:TIDIG_COMP_CNT: 0
; COMPUTE_PGM_RSRC3_GFX90A:ACCUM_OFFSET: 0
; COMPUTE_PGM_RSRC3_GFX90A:TG_SPLIT: 0
	.section	.text._ZN7rocprim17ROCPRIM_400000_NS6detail17trampoline_kernelINS0_14default_configENS1_20scan_config_selectorIiEEZZNS1_9scan_implILNS1_25lookback_scan_determinismE0ELb1ELb1ES3_N6thrust23THRUST_200600_302600_NS6detail15normal_iteratorINS9_10device_ptrIjEEEENSB_INSC_IfEEEEiNS9_4plusIvEEiEEDaPvRmT3_T4_T5_mT6_P12ihipStream_tbENKUlT_T0_E_clISt17integral_constantIbLb1EESW_EEDaSR_SS_EUlSR_E0_NS1_11comp_targetILNS1_3genE2ELNS1_11target_archE906ELNS1_3gpuE6ELNS1_3repE0EEENS1_30default_config_static_selectorELNS0_4arch9wavefront6targetE1EEEvT1_,"axG",@progbits,_ZN7rocprim17ROCPRIM_400000_NS6detail17trampoline_kernelINS0_14default_configENS1_20scan_config_selectorIiEEZZNS1_9scan_implILNS1_25lookback_scan_determinismE0ELb1ELb1ES3_N6thrust23THRUST_200600_302600_NS6detail15normal_iteratorINS9_10device_ptrIjEEEENSB_INSC_IfEEEEiNS9_4plusIvEEiEEDaPvRmT3_T4_T5_mT6_P12ihipStream_tbENKUlT_T0_E_clISt17integral_constantIbLb1EESW_EEDaSR_SS_EUlSR_E0_NS1_11comp_targetILNS1_3genE2ELNS1_11target_archE906ELNS1_3gpuE6ELNS1_3repE0EEENS1_30default_config_static_selectorELNS0_4arch9wavefront6targetE1EEEvT1_,comdat
	.protected	_ZN7rocprim17ROCPRIM_400000_NS6detail17trampoline_kernelINS0_14default_configENS1_20scan_config_selectorIiEEZZNS1_9scan_implILNS1_25lookback_scan_determinismE0ELb1ELb1ES3_N6thrust23THRUST_200600_302600_NS6detail15normal_iteratorINS9_10device_ptrIjEEEENSB_INSC_IfEEEEiNS9_4plusIvEEiEEDaPvRmT3_T4_T5_mT6_P12ihipStream_tbENKUlT_T0_E_clISt17integral_constantIbLb1EESW_EEDaSR_SS_EUlSR_E0_NS1_11comp_targetILNS1_3genE2ELNS1_11target_archE906ELNS1_3gpuE6ELNS1_3repE0EEENS1_30default_config_static_selectorELNS0_4arch9wavefront6targetE1EEEvT1_ ; -- Begin function _ZN7rocprim17ROCPRIM_400000_NS6detail17trampoline_kernelINS0_14default_configENS1_20scan_config_selectorIiEEZZNS1_9scan_implILNS1_25lookback_scan_determinismE0ELb1ELb1ES3_N6thrust23THRUST_200600_302600_NS6detail15normal_iteratorINS9_10device_ptrIjEEEENSB_INSC_IfEEEEiNS9_4plusIvEEiEEDaPvRmT3_T4_T5_mT6_P12ihipStream_tbENKUlT_T0_E_clISt17integral_constantIbLb1EESW_EEDaSR_SS_EUlSR_E0_NS1_11comp_targetILNS1_3genE2ELNS1_11target_archE906ELNS1_3gpuE6ELNS1_3repE0EEENS1_30default_config_static_selectorELNS0_4arch9wavefront6targetE1EEEvT1_
	.globl	_ZN7rocprim17ROCPRIM_400000_NS6detail17trampoline_kernelINS0_14default_configENS1_20scan_config_selectorIiEEZZNS1_9scan_implILNS1_25lookback_scan_determinismE0ELb1ELb1ES3_N6thrust23THRUST_200600_302600_NS6detail15normal_iteratorINS9_10device_ptrIjEEEENSB_INSC_IfEEEEiNS9_4plusIvEEiEEDaPvRmT3_T4_T5_mT6_P12ihipStream_tbENKUlT_T0_E_clISt17integral_constantIbLb1EESW_EEDaSR_SS_EUlSR_E0_NS1_11comp_targetILNS1_3genE2ELNS1_11target_archE906ELNS1_3gpuE6ELNS1_3repE0EEENS1_30default_config_static_selectorELNS0_4arch9wavefront6targetE1EEEvT1_
	.p2align	8
	.type	_ZN7rocprim17ROCPRIM_400000_NS6detail17trampoline_kernelINS0_14default_configENS1_20scan_config_selectorIiEEZZNS1_9scan_implILNS1_25lookback_scan_determinismE0ELb1ELb1ES3_N6thrust23THRUST_200600_302600_NS6detail15normal_iteratorINS9_10device_ptrIjEEEENSB_INSC_IfEEEEiNS9_4plusIvEEiEEDaPvRmT3_T4_T5_mT6_P12ihipStream_tbENKUlT_T0_E_clISt17integral_constantIbLb1EESW_EEDaSR_SS_EUlSR_E0_NS1_11comp_targetILNS1_3genE2ELNS1_11target_archE906ELNS1_3gpuE6ELNS1_3repE0EEENS1_30default_config_static_selectorELNS0_4arch9wavefront6targetE1EEEvT1_,@function
_ZN7rocprim17ROCPRIM_400000_NS6detail17trampoline_kernelINS0_14default_configENS1_20scan_config_selectorIiEEZZNS1_9scan_implILNS1_25lookback_scan_determinismE0ELb1ELb1ES3_N6thrust23THRUST_200600_302600_NS6detail15normal_iteratorINS9_10device_ptrIjEEEENSB_INSC_IfEEEEiNS9_4plusIvEEiEEDaPvRmT3_T4_T5_mT6_P12ihipStream_tbENKUlT_T0_E_clISt17integral_constantIbLb1EESW_EEDaSR_SS_EUlSR_E0_NS1_11comp_targetILNS1_3genE2ELNS1_11target_archE906ELNS1_3gpuE6ELNS1_3repE0EEENS1_30default_config_static_selectorELNS0_4arch9wavefront6targetE1EEEvT1_: ; @_ZN7rocprim17ROCPRIM_400000_NS6detail17trampoline_kernelINS0_14default_configENS1_20scan_config_selectorIiEEZZNS1_9scan_implILNS1_25lookback_scan_determinismE0ELb1ELb1ES3_N6thrust23THRUST_200600_302600_NS6detail15normal_iteratorINS9_10device_ptrIjEEEENSB_INSC_IfEEEEiNS9_4plusIvEEiEEDaPvRmT3_T4_T5_mT6_P12ihipStream_tbENKUlT_T0_E_clISt17integral_constantIbLb1EESW_EEDaSR_SS_EUlSR_E0_NS1_11comp_targetILNS1_3genE2ELNS1_11target_archE906ELNS1_3gpuE6ELNS1_3repE0EEENS1_30default_config_static_selectorELNS0_4arch9wavefront6targetE1EEEvT1_
; %bb.0:
	.section	.rodata,"a",@progbits
	.p2align	6, 0x0
	.amdhsa_kernel _ZN7rocprim17ROCPRIM_400000_NS6detail17trampoline_kernelINS0_14default_configENS1_20scan_config_selectorIiEEZZNS1_9scan_implILNS1_25lookback_scan_determinismE0ELb1ELb1ES3_N6thrust23THRUST_200600_302600_NS6detail15normal_iteratorINS9_10device_ptrIjEEEENSB_INSC_IfEEEEiNS9_4plusIvEEiEEDaPvRmT3_T4_T5_mT6_P12ihipStream_tbENKUlT_T0_E_clISt17integral_constantIbLb1EESW_EEDaSR_SS_EUlSR_E0_NS1_11comp_targetILNS1_3genE2ELNS1_11target_archE906ELNS1_3gpuE6ELNS1_3repE0EEENS1_30default_config_static_selectorELNS0_4arch9wavefront6targetE1EEEvT1_
		.amdhsa_group_segment_fixed_size 0
		.amdhsa_private_segment_fixed_size 0
		.amdhsa_kernarg_size 32
		.amdhsa_user_sgpr_count 6
		.amdhsa_user_sgpr_private_segment_buffer 1
		.amdhsa_user_sgpr_dispatch_ptr 0
		.amdhsa_user_sgpr_queue_ptr 0
		.amdhsa_user_sgpr_kernarg_segment_ptr 1
		.amdhsa_user_sgpr_dispatch_id 0
		.amdhsa_user_sgpr_flat_scratch_init 0
		.amdhsa_user_sgpr_kernarg_preload_length 0
		.amdhsa_user_sgpr_kernarg_preload_offset 0
		.amdhsa_user_sgpr_private_segment_size 0
		.amdhsa_uses_dynamic_stack 0
		.amdhsa_system_sgpr_private_segment_wavefront_offset 0
		.amdhsa_system_sgpr_workgroup_id_x 1
		.amdhsa_system_sgpr_workgroup_id_y 0
		.amdhsa_system_sgpr_workgroup_id_z 0
		.amdhsa_system_sgpr_workgroup_info 0
		.amdhsa_system_vgpr_workitem_id 0
		.amdhsa_next_free_vgpr 1
		.amdhsa_next_free_sgpr 0
		.amdhsa_accum_offset 4
		.amdhsa_reserve_vcc 0
		.amdhsa_reserve_flat_scratch 0
		.amdhsa_float_round_mode_32 0
		.amdhsa_float_round_mode_16_64 0
		.amdhsa_float_denorm_mode_32 3
		.amdhsa_float_denorm_mode_16_64 3
		.amdhsa_dx10_clamp 1
		.amdhsa_ieee_mode 1
		.amdhsa_fp16_overflow 0
		.amdhsa_tg_split 0
		.amdhsa_exception_fp_ieee_invalid_op 0
		.amdhsa_exception_fp_denorm_src 0
		.amdhsa_exception_fp_ieee_div_zero 0
		.amdhsa_exception_fp_ieee_overflow 0
		.amdhsa_exception_fp_ieee_underflow 0
		.amdhsa_exception_fp_ieee_inexact 0
		.amdhsa_exception_int_div_zero 0
	.end_amdhsa_kernel
	.section	.text._ZN7rocprim17ROCPRIM_400000_NS6detail17trampoline_kernelINS0_14default_configENS1_20scan_config_selectorIiEEZZNS1_9scan_implILNS1_25lookback_scan_determinismE0ELb1ELb1ES3_N6thrust23THRUST_200600_302600_NS6detail15normal_iteratorINS9_10device_ptrIjEEEENSB_INSC_IfEEEEiNS9_4plusIvEEiEEDaPvRmT3_T4_T5_mT6_P12ihipStream_tbENKUlT_T0_E_clISt17integral_constantIbLb1EESW_EEDaSR_SS_EUlSR_E0_NS1_11comp_targetILNS1_3genE2ELNS1_11target_archE906ELNS1_3gpuE6ELNS1_3repE0EEENS1_30default_config_static_selectorELNS0_4arch9wavefront6targetE1EEEvT1_,"axG",@progbits,_ZN7rocprim17ROCPRIM_400000_NS6detail17trampoline_kernelINS0_14default_configENS1_20scan_config_selectorIiEEZZNS1_9scan_implILNS1_25lookback_scan_determinismE0ELb1ELb1ES3_N6thrust23THRUST_200600_302600_NS6detail15normal_iteratorINS9_10device_ptrIjEEEENSB_INSC_IfEEEEiNS9_4plusIvEEiEEDaPvRmT3_T4_T5_mT6_P12ihipStream_tbENKUlT_T0_E_clISt17integral_constantIbLb1EESW_EEDaSR_SS_EUlSR_E0_NS1_11comp_targetILNS1_3genE2ELNS1_11target_archE906ELNS1_3gpuE6ELNS1_3repE0EEENS1_30default_config_static_selectorELNS0_4arch9wavefront6targetE1EEEvT1_,comdat
.Lfunc_end6191:
	.size	_ZN7rocprim17ROCPRIM_400000_NS6detail17trampoline_kernelINS0_14default_configENS1_20scan_config_selectorIiEEZZNS1_9scan_implILNS1_25lookback_scan_determinismE0ELb1ELb1ES3_N6thrust23THRUST_200600_302600_NS6detail15normal_iteratorINS9_10device_ptrIjEEEENSB_INSC_IfEEEEiNS9_4plusIvEEiEEDaPvRmT3_T4_T5_mT6_P12ihipStream_tbENKUlT_T0_E_clISt17integral_constantIbLb1EESW_EEDaSR_SS_EUlSR_E0_NS1_11comp_targetILNS1_3genE2ELNS1_11target_archE906ELNS1_3gpuE6ELNS1_3repE0EEENS1_30default_config_static_selectorELNS0_4arch9wavefront6targetE1EEEvT1_, .Lfunc_end6191-_ZN7rocprim17ROCPRIM_400000_NS6detail17trampoline_kernelINS0_14default_configENS1_20scan_config_selectorIiEEZZNS1_9scan_implILNS1_25lookback_scan_determinismE0ELb1ELb1ES3_N6thrust23THRUST_200600_302600_NS6detail15normal_iteratorINS9_10device_ptrIjEEEENSB_INSC_IfEEEEiNS9_4plusIvEEiEEDaPvRmT3_T4_T5_mT6_P12ihipStream_tbENKUlT_T0_E_clISt17integral_constantIbLb1EESW_EEDaSR_SS_EUlSR_E0_NS1_11comp_targetILNS1_3genE2ELNS1_11target_archE906ELNS1_3gpuE6ELNS1_3repE0EEENS1_30default_config_static_selectorELNS0_4arch9wavefront6targetE1EEEvT1_
                                        ; -- End function
	.section	.AMDGPU.csdata,"",@progbits
; Kernel info:
; codeLenInByte = 0
; NumSgprs: 4
; NumVgprs: 0
; NumAgprs: 0
; TotalNumVgprs: 0
; ScratchSize: 0
; MemoryBound: 0
; FloatMode: 240
; IeeeMode: 1
; LDSByteSize: 0 bytes/workgroup (compile time only)
; SGPRBlocks: 0
; VGPRBlocks: 0
; NumSGPRsForWavesPerEU: 4
; NumVGPRsForWavesPerEU: 1
; AccumOffset: 4
; Occupancy: 8
; WaveLimiterHint : 0
; COMPUTE_PGM_RSRC2:SCRATCH_EN: 0
; COMPUTE_PGM_RSRC2:USER_SGPR: 6
; COMPUTE_PGM_RSRC2:TRAP_HANDLER: 0
; COMPUTE_PGM_RSRC2:TGID_X_EN: 1
; COMPUTE_PGM_RSRC2:TGID_Y_EN: 0
; COMPUTE_PGM_RSRC2:TGID_Z_EN: 0
; COMPUTE_PGM_RSRC2:TIDIG_COMP_CNT: 0
; COMPUTE_PGM_RSRC3_GFX90A:ACCUM_OFFSET: 0
; COMPUTE_PGM_RSRC3_GFX90A:TG_SPLIT: 0
	.section	.text._ZN7rocprim17ROCPRIM_400000_NS6detail17trampoline_kernelINS0_14default_configENS1_20scan_config_selectorIiEEZZNS1_9scan_implILNS1_25lookback_scan_determinismE0ELb1ELb1ES3_N6thrust23THRUST_200600_302600_NS6detail15normal_iteratorINS9_10device_ptrIjEEEENSB_INSC_IfEEEEiNS9_4plusIvEEiEEDaPvRmT3_T4_T5_mT6_P12ihipStream_tbENKUlT_T0_E_clISt17integral_constantIbLb1EESW_EEDaSR_SS_EUlSR_E0_NS1_11comp_targetILNS1_3genE10ELNS1_11target_archE1201ELNS1_3gpuE5ELNS1_3repE0EEENS1_30default_config_static_selectorELNS0_4arch9wavefront6targetE1EEEvT1_,"axG",@progbits,_ZN7rocprim17ROCPRIM_400000_NS6detail17trampoline_kernelINS0_14default_configENS1_20scan_config_selectorIiEEZZNS1_9scan_implILNS1_25lookback_scan_determinismE0ELb1ELb1ES3_N6thrust23THRUST_200600_302600_NS6detail15normal_iteratorINS9_10device_ptrIjEEEENSB_INSC_IfEEEEiNS9_4plusIvEEiEEDaPvRmT3_T4_T5_mT6_P12ihipStream_tbENKUlT_T0_E_clISt17integral_constantIbLb1EESW_EEDaSR_SS_EUlSR_E0_NS1_11comp_targetILNS1_3genE10ELNS1_11target_archE1201ELNS1_3gpuE5ELNS1_3repE0EEENS1_30default_config_static_selectorELNS0_4arch9wavefront6targetE1EEEvT1_,comdat
	.protected	_ZN7rocprim17ROCPRIM_400000_NS6detail17trampoline_kernelINS0_14default_configENS1_20scan_config_selectorIiEEZZNS1_9scan_implILNS1_25lookback_scan_determinismE0ELb1ELb1ES3_N6thrust23THRUST_200600_302600_NS6detail15normal_iteratorINS9_10device_ptrIjEEEENSB_INSC_IfEEEEiNS9_4plusIvEEiEEDaPvRmT3_T4_T5_mT6_P12ihipStream_tbENKUlT_T0_E_clISt17integral_constantIbLb1EESW_EEDaSR_SS_EUlSR_E0_NS1_11comp_targetILNS1_3genE10ELNS1_11target_archE1201ELNS1_3gpuE5ELNS1_3repE0EEENS1_30default_config_static_selectorELNS0_4arch9wavefront6targetE1EEEvT1_ ; -- Begin function _ZN7rocprim17ROCPRIM_400000_NS6detail17trampoline_kernelINS0_14default_configENS1_20scan_config_selectorIiEEZZNS1_9scan_implILNS1_25lookback_scan_determinismE0ELb1ELb1ES3_N6thrust23THRUST_200600_302600_NS6detail15normal_iteratorINS9_10device_ptrIjEEEENSB_INSC_IfEEEEiNS9_4plusIvEEiEEDaPvRmT3_T4_T5_mT6_P12ihipStream_tbENKUlT_T0_E_clISt17integral_constantIbLb1EESW_EEDaSR_SS_EUlSR_E0_NS1_11comp_targetILNS1_3genE10ELNS1_11target_archE1201ELNS1_3gpuE5ELNS1_3repE0EEENS1_30default_config_static_selectorELNS0_4arch9wavefront6targetE1EEEvT1_
	.globl	_ZN7rocprim17ROCPRIM_400000_NS6detail17trampoline_kernelINS0_14default_configENS1_20scan_config_selectorIiEEZZNS1_9scan_implILNS1_25lookback_scan_determinismE0ELb1ELb1ES3_N6thrust23THRUST_200600_302600_NS6detail15normal_iteratorINS9_10device_ptrIjEEEENSB_INSC_IfEEEEiNS9_4plusIvEEiEEDaPvRmT3_T4_T5_mT6_P12ihipStream_tbENKUlT_T0_E_clISt17integral_constantIbLb1EESW_EEDaSR_SS_EUlSR_E0_NS1_11comp_targetILNS1_3genE10ELNS1_11target_archE1201ELNS1_3gpuE5ELNS1_3repE0EEENS1_30default_config_static_selectorELNS0_4arch9wavefront6targetE1EEEvT1_
	.p2align	8
	.type	_ZN7rocprim17ROCPRIM_400000_NS6detail17trampoline_kernelINS0_14default_configENS1_20scan_config_selectorIiEEZZNS1_9scan_implILNS1_25lookback_scan_determinismE0ELb1ELb1ES3_N6thrust23THRUST_200600_302600_NS6detail15normal_iteratorINS9_10device_ptrIjEEEENSB_INSC_IfEEEEiNS9_4plusIvEEiEEDaPvRmT3_T4_T5_mT6_P12ihipStream_tbENKUlT_T0_E_clISt17integral_constantIbLb1EESW_EEDaSR_SS_EUlSR_E0_NS1_11comp_targetILNS1_3genE10ELNS1_11target_archE1201ELNS1_3gpuE5ELNS1_3repE0EEENS1_30default_config_static_selectorELNS0_4arch9wavefront6targetE1EEEvT1_,@function
_ZN7rocprim17ROCPRIM_400000_NS6detail17trampoline_kernelINS0_14default_configENS1_20scan_config_selectorIiEEZZNS1_9scan_implILNS1_25lookback_scan_determinismE0ELb1ELb1ES3_N6thrust23THRUST_200600_302600_NS6detail15normal_iteratorINS9_10device_ptrIjEEEENSB_INSC_IfEEEEiNS9_4plusIvEEiEEDaPvRmT3_T4_T5_mT6_P12ihipStream_tbENKUlT_T0_E_clISt17integral_constantIbLb1EESW_EEDaSR_SS_EUlSR_E0_NS1_11comp_targetILNS1_3genE10ELNS1_11target_archE1201ELNS1_3gpuE5ELNS1_3repE0EEENS1_30default_config_static_selectorELNS0_4arch9wavefront6targetE1EEEvT1_: ; @_ZN7rocprim17ROCPRIM_400000_NS6detail17trampoline_kernelINS0_14default_configENS1_20scan_config_selectorIiEEZZNS1_9scan_implILNS1_25lookback_scan_determinismE0ELb1ELb1ES3_N6thrust23THRUST_200600_302600_NS6detail15normal_iteratorINS9_10device_ptrIjEEEENSB_INSC_IfEEEEiNS9_4plusIvEEiEEDaPvRmT3_T4_T5_mT6_P12ihipStream_tbENKUlT_T0_E_clISt17integral_constantIbLb1EESW_EEDaSR_SS_EUlSR_E0_NS1_11comp_targetILNS1_3genE10ELNS1_11target_archE1201ELNS1_3gpuE5ELNS1_3repE0EEENS1_30default_config_static_selectorELNS0_4arch9wavefront6targetE1EEEvT1_
; %bb.0:
	.section	.rodata,"a",@progbits
	.p2align	6, 0x0
	.amdhsa_kernel _ZN7rocprim17ROCPRIM_400000_NS6detail17trampoline_kernelINS0_14default_configENS1_20scan_config_selectorIiEEZZNS1_9scan_implILNS1_25lookback_scan_determinismE0ELb1ELb1ES3_N6thrust23THRUST_200600_302600_NS6detail15normal_iteratorINS9_10device_ptrIjEEEENSB_INSC_IfEEEEiNS9_4plusIvEEiEEDaPvRmT3_T4_T5_mT6_P12ihipStream_tbENKUlT_T0_E_clISt17integral_constantIbLb1EESW_EEDaSR_SS_EUlSR_E0_NS1_11comp_targetILNS1_3genE10ELNS1_11target_archE1201ELNS1_3gpuE5ELNS1_3repE0EEENS1_30default_config_static_selectorELNS0_4arch9wavefront6targetE1EEEvT1_
		.amdhsa_group_segment_fixed_size 0
		.amdhsa_private_segment_fixed_size 0
		.amdhsa_kernarg_size 32
		.amdhsa_user_sgpr_count 6
		.amdhsa_user_sgpr_private_segment_buffer 1
		.amdhsa_user_sgpr_dispatch_ptr 0
		.amdhsa_user_sgpr_queue_ptr 0
		.amdhsa_user_sgpr_kernarg_segment_ptr 1
		.amdhsa_user_sgpr_dispatch_id 0
		.amdhsa_user_sgpr_flat_scratch_init 0
		.amdhsa_user_sgpr_kernarg_preload_length 0
		.amdhsa_user_sgpr_kernarg_preload_offset 0
		.amdhsa_user_sgpr_private_segment_size 0
		.amdhsa_uses_dynamic_stack 0
		.amdhsa_system_sgpr_private_segment_wavefront_offset 0
		.amdhsa_system_sgpr_workgroup_id_x 1
		.amdhsa_system_sgpr_workgroup_id_y 0
		.amdhsa_system_sgpr_workgroup_id_z 0
		.amdhsa_system_sgpr_workgroup_info 0
		.amdhsa_system_vgpr_workitem_id 0
		.amdhsa_next_free_vgpr 1
		.amdhsa_next_free_sgpr 0
		.amdhsa_accum_offset 4
		.amdhsa_reserve_vcc 0
		.amdhsa_reserve_flat_scratch 0
		.amdhsa_float_round_mode_32 0
		.amdhsa_float_round_mode_16_64 0
		.amdhsa_float_denorm_mode_32 3
		.amdhsa_float_denorm_mode_16_64 3
		.amdhsa_dx10_clamp 1
		.amdhsa_ieee_mode 1
		.amdhsa_fp16_overflow 0
		.amdhsa_tg_split 0
		.amdhsa_exception_fp_ieee_invalid_op 0
		.amdhsa_exception_fp_denorm_src 0
		.amdhsa_exception_fp_ieee_div_zero 0
		.amdhsa_exception_fp_ieee_overflow 0
		.amdhsa_exception_fp_ieee_underflow 0
		.amdhsa_exception_fp_ieee_inexact 0
		.amdhsa_exception_int_div_zero 0
	.end_amdhsa_kernel
	.section	.text._ZN7rocprim17ROCPRIM_400000_NS6detail17trampoline_kernelINS0_14default_configENS1_20scan_config_selectorIiEEZZNS1_9scan_implILNS1_25lookback_scan_determinismE0ELb1ELb1ES3_N6thrust23THRUST_200600_302600_NS6detail15normal_iteratorINS9_10device_ptrIjEEEENSB_INSC_IfEEEEiNS9_4plusIvEEiEEDaPvRmT3_T4_T5_mT6_P12ihipStream_tbENKUlT_T0_E_clISt17integral_constantIbLb1EESW_EEDaSR_SS_EUlSR_E0_NS1_11comp_targetILNS1_3genE10ELNS1_11target_archE1201ELNS1_3gpuE5ELNS1_3repE0EEENS1_30default_config_static_selectorELNS0_4arch9wavefront6targetE1EEEvT1_,"axG",@progbits,_ZN7rocprim17ROCPRIM_400000_NS6detail17trampoline_kernelINS0_14default_configENS1_20scan_config_selectorIiEEZZNS1_9scan_implILNS1_25lookback_scan_determinismE0ELb1ELb1ES3_N6thrust23THRUST_200600_302600_NS6detail15normal_iteratorINS9_10device_ptrIjEEEENSB_INSC_IfEEEEiNS9_4plusIvEEiEEDaPvRmT3_T4_T5_mT6_P12ihipStream_tbENKUlT_T0_E_clISt17integral_constantIbLb1EESW_EEDaSR_SS_EUlSR_E0_NS1_11comp_targetILNS1_3genE10ELNS1_11target_archE1201ELNS1_3gpuE5ELNS1_3repE0EEENS1_30default_config_static_selectorELNS0_4arch9wavefront6targetE1EEEvT1_,comdat
.Lfunc_end6192:
	.size	_ZN7rocprim17ROCPRIM_400000_NS6detail17trampoline_kernelINS0_14default_configENS1_20scan_config_selectorIiEEZZNS1_9scan_implILNS1_25lookback_scan_determinismE0ELb1ELb1ES3_N6thrust23THRUST_200600_302600_NS6detail15normal_iteratorINS9_10device_ptrIjEEEENSB_INSC_IfEEEEiNS9_4plusIvEEiEEDaPvRmT3_T4_T5_mT6_P12ihipStream_tbENKUlT_T0_E_clISt17integral_constantIbLb1EESW_EEDaSR_SS_EUlSR_E0_NS1_11comp_targetILNS1_3genE10ELNS1_11target_archE1201ELNS1_3gpuE5ELNS1_3repE0EEENS1_30default_config_static_selectorELNS0_4arch9wavefront6targetE1EEEvT1_, .Lfunc_end6192-_ZN7rocprim17ROCPRIM_400000_NS6detail17trampoline_kernelINS0_14default_configENS1_20scan_config_selectorIiEEZZNS1_9scan_implILNS1_25lookback_scan_determinismE0ELb1ELb1ES3_N6thrust23THRUST_200600_302600_NS6detail15normal_iteratorINS9_10device_ptrIjEEEENSB_INSC_IfEEEEiNS9_4plusIvEEiEEDaPvRmT3_T4_T5_mT6_P12ihipStream_tbENKUlT_T0_E_clISt17integral_constantIbLb1EESW_EEDaSR_SS_EUlSR_E0_NS1_11comp_targetILNS1_3genE10ELNS1_11target_archE1201ELNS1_3gpuE5ELNS1_3repE0EEENS1_30default_config_static_selectorELNS0_4arch9wavefront6targetE1EEEvT1_
                                        ; -- End function
	.section	.AMDGPU.csdata,"",@progbits
; Kernel info:
; codeLenInByte = 0
; NumSgprs: 4
; NumVgprs: 0
; NumAgprs: 0
; TotalNumVgprs: 0
; ScratchSize: 0
; MemoryBound: 0
; FloatMode: 240
; IeeeMode: 1
; LDSByteSize: 0 bytes/workgroup (compile time only)
; SGPRBlocks: 0
; VGPRBlocks: 0
; NumSGPRsForWavesPerEU: 4
; NumVGPRsForWavesPerEU: 1
; AccumOffset: 4
; Occupancy: 8
; WaveLimiterHint : 0
; COMPUTE_PGM_RSRC2:SCRATCH_EN: 0
; COMPUTE_PGM_RSRC2:USER_SGPR: 6
; COMPUTE_PGM_RSRC2:TRAP_HANDLER: 0
; COMPUTE_PGM_RSRC2:TGID_X_EN: 1
; COMPUTE_PGM_RSRC2:TGID_Y_EN: 0
; COMPUTE_PGM_RSRC2:TGID_Z_EN: 0
; COMPUTE_PGM_RSRC2:TIDIG_COMP_CNT: 0
; COMPUTE_PGM_RSRC3_GFX90A:ACCUM_OFFSET: 0
; COMPUTE_PGM_RSRC3_GFX90A:TG_SPLIT: 0
	.section	.text._ZN7rocprim17ROCPRIM_400000_NS6detail17trampoline_kernelINS0_14default_configENS1_20scan_config_selectorIiEEZZNS1_9scan_implILNS1_25lookback_scan_determinismE0ELb1ELb1ES3_N6thrust23THRUST_200600_302600_NS6detail15normal_iteratorINS9_10device_ptrIjEEEENSB_INSC_IfEEEEiNS9_4plusIvEEiEEDaPvRmT3_T4_T5_mT6_P12ihipStream_tbENKUlT_T0_E_clISt17integral_constantIbLb1EESW_EEDaSR_SS_EUlSR_E0_NS1_11comp_targetILNS1_3genE10ELNS1_11target_archE1200ELNS1_3gpuE4ELNS1_3repE0EEENS1_30default_config_static_selectorELNS0_4arch9wavefront6targetE1EEEvT1_,"axG",@progbits,_ZN7rocprim17ROCPRIM_400000_NS6detail17trampoline_kernelINS0_14default_configENS1_20scan_config_selectorIiEEZZNS1_9scan_implILNS1_25lookback_scan_determinismE0ELb1ELb1ES3_N6thrust23THRUST_200600_302600_NS6detail15normal_iteratorINS9_10device_ptrIjEEEENSB_INSC_IfEEEEiNS9_4plusIvEEiEEDaPvRmT3_T4_T5_mT6_P12ihipStream_tbENKUlT_T0_E_clISt17integral_constantIbLb1EESW_EEDaSR_SS_EUlSR_E0_NS1_11comp_targetILNS1_3genE10ELNS1_11target_archE1200ELNS1_3gpuE4ELNS1_3repE0EEENS1_30default_config_static_selectorELNS0_4arch9wavefront6targetE1EEEvT1_,comdat
	.protected	_ZN7rocprim17ROCPRIM_400000_NS6detail17trampoline_kernelINS0_14default_configENS1_20scan_config_selectorIiEEZZNS1_9scan_implILNS1_25lookback_scan_determinismE0ELb1ELb1ES3_N6thrust23THRUST_200600_302600_NS6detail15normal_iteratorINS9_10device_ptrIjEEEENSB_INSC_IfEEEEiNS9_4plusIvEEiEEDaPvRmT3_T4_T5_mT6_P12ihipStream_tbENKUlT_T0_E_clISt17integral_constantIbLb1EESW_EEDaSR_SS_EUlSR_E0_NS1_11comp_targetILNS1_3genE10ELNS1_11target_archE1200ELNS1_3gpuE4ELNS1_3repE0EEENS1_30default_config_static_selectorELNS0_4arch9wavefront6targetE1EEEvT1_ ; -- Begin function _ZN7rocprim17ROCPRIM_400000_NS6detail17trampoline_kernelINS0_14default_configENS1_20scan_config_selectorIiEEZZNS1_9scan_implILNS1_25lookback_scan_determinismE0ELb1ELb1ES3_N6thrust23THRUST_200600_302600_NS6detail15normal_iteratorINS9_10device_ptrIjEEEENSB_INSC_IfEEEEiNS9_4plusIvEEiEEDaPvRmT3_T4_T5_mT6_P12ihipStream_tbENKUlT_T0_E_clISt17integral_constantIbLb1EESW_EEDaSR_SS_EUlSR_E0_NS1_11comp_targetILNS1_3genE10ELNS1_11target_archE1200ELNS1_3gpuE4ELNS1_3repE0EEENS1_30default_config_static_selectorELNS0_4arch9wavefront6targetE1EEEvT1_
	.globl	_ZN7rocprim17ROCPRIM_400000_NS6detail17trampoline_kernelINS0_14default_configENS1_20scan_config_selectorIiEEZZNS1_9scan_implILNS1_25lookback_scan_determinismE0ELb1ELb1ES3_N6thrust23THRUST_200600_302600_NS6detail15normal_iteratorINS9_10device_ptrIjEEEENSB_INSC_IfEEEEiNS9_4plusIvEEiEEDaPvRmT3_T4_T5_mT6_P12ihipStream_tbENKUlT_T0_E_clISt17integral_constantIbLb1EESW_EEDaSR_SS_EUlSR_E0_NS1_11comp_targetILNS1_3genE10ELNS1_11target_archE1200ELNS1_3gpuE4ELNS1_3repE0EEENS1_30default_config_static_selectorELNS0_4arch9wavefront6targetE1EEEvT1_
	.p2align	8
	.type	_ZN7rocprim17ROCPRIM_400000_NS6detail17trampoline_kernelINS0_14default_configENS1_20scan_config_selectorIiEEZZNS1_9scan_implILNS1_25lookback_scan_determinismE0ELb1ELb1ES3_N6thrust23THRUST_200600_302600_NS6detail15normal_iteratorINS9_10device_ptrIjEEEENSB_INSC_IfEEEEiNS9_4plusIvEEiEEDaPvRmT3_T4_T5_mT6_P12ihipStream_tbENKUlT_T0_E_clISt17integral_constantIbLb1EESW_EEDaSR_SS_EUlSR_E0_NS1_11comp_targetILNS1_3genE10ELNS1_11target_archE1200ELNS1_3gpuE4ELNS1_3repE0EEENS1_30default_config_static_selectorELNS0_4arch9wavefront6targetE1EEEvT1_,@function
_ZN7rocprim17ROCPRIM_400000_NS6detail17trampoline_kernelINS0_14default_configENS1_20scan_config_selectorIiEEZZNS1_9scan_implILNS1_25lookback_scan_determinismE0ELb1ELb1ES3_N6thrust23THRUST_200600_302600_NS6detail15normal_iteratorINS9_10device_ptrIjEEEENSB_INSC_IfEEEEiNS9_4plusIvEEiEEDaPvRmT3_T4_T5_mT6_P12ihipStream_tbENKUlT_T0_E_clISt17integral_constantIbLb1EESW_EEDaSR_SS_EUlSR_E0_NS1_11comp_targetILNS1_3genE10ELNS1_11target_archE1200ELNS1_3gpuE4ELNS1_3repE0EEENS1_30default_config_static_selectorELNS0_4arch9wavefront6targetE1EEEvT1_: ; @_ZN7rocprim17ROCPRIM_400000_NS6detail17trampoline_kernelINS0_14default_configENS1_20scan_config_selectorIiEEZZNS1_9scan_implILNS1_25lookback_scan_determinismE0ELb1ELb1ES3_N6thrust23THRUST_200600_302600_NS6detail15normal_iteratorINS9_10device_ptrIjEEEENSB_INSC_IfEEEEiNS9_4plusIvEEiEEDaPvRmT3_T4_T5_mT6_P12ihipStream_tbENKUlT_T0_E_clISt17integral_constantIbLb1EESW_EEDaSR_SS_EUlSR_E0_NS1_11comp_targetILNS1_3genE10ELNS1_11target_archE1200ELNS1_3gpuE4ELNS1_3repE0EEENS1_30default_config_static_selectorELNS0_4arch9wavefront6targetE1EEEvT1_
; %bb.0:
	.section	.rodata,"a",@progbits
	.p2align	6, 0x0
	.amdhsa_kernel _ZN7rocprim17ROCPRIM_400000_NS6detail17trampoline_kernelINS0_14default_configENS1_20scan_config_selectorIiEEZZNS1_9scan_implILNS1_25lookback_scan_determinismE0ELb1ELb1ES3_N6thrust23THRUST_200600_302600_NS6detail15normal_iteratorINS9_10device_ptrIjEEEENSB_INSC_IfEEEEiNS9_4plusIvEEiEEDaPvRmT3_T4_T5_mT6_P12ihipStream_tbENKUlT_T0_E_clISt17integral_constantIbLb1EESW_EEDaSR_SS_EUlSR_E0_NS1_11comp_targetILNS1_3genE10ELNS1_11target_archE1200ELNS1_3gpuE4ELNS1_3repE0EEENS1_30default_config_static_selectorELNS0_4arch9wavefront6targetE1EEEvT1_
		.amdhsa_group_segment_fixed_size 0
		.amdhsa_private_segment_fixed_size 0
		.amdhsa_kernarg_size 32
		.amdhsa_user_sgpr_count 6
		.amdhsa_user_sgpr_private_segment_buffer 1
		.amdhsa_user_sgpr_dispatch_ptr 0
		.amdhsa_user_sgpr_queue_ptr 0
		.amdhsa_user_sgpr_kernarg_segment_ptr 1
		.amdhsa_user_sgpr_dispatch_id 0
		.amdhsa_user_sgpr_flat_scratch_init 0
		.amdhsa_user_sgpr_kernarg_preload_length 0
		.amdhsa_user_sgpr_kernarg_preload_offset 0
		.amdhsa_user_sgpr_private_segment_size 0
		.amdhsa_uses_dynamic_stack 0
		.amdhsa_system_sgpr_private_segment_wavefront_offset 0
		.amdhsa_system_sgpr_workgroup_id_x 1
		.amdhsa_system_sgpr_workgroup_id_y 0
		.amdhsa_system_sgpr_workgroup_id_z 0
		.amdhsa_system_sgpr_workgroup_info 0
		.amdhsa_system_vgpr_workitem_id 0
		.amdhsa_next_free_vgpr 1
		.amdhsa_next_free_sgpr 0
		.amdhsa_accum_offset 4
		.amdhsa_reserve_vcc 0
		.amdhsa_reserve_flat_scratch 0
		.amdhsa_float_round_mode_32 0
		.amdhsa_float_round_mode_16_64 0
		.amdhsa_float_denorm_mode_32 3
		.amdhsa_float_denorm_mode_16_64 3
		.amdhsa_dx10_clamp 1
		.amdhsa_ieee_mode 1
		.amdhsa_fp16_overflow 0
		.amdhsa_tg_split 0
		.amdhsa_exception_fp_ieee_invalid_op 0
		.amdhsa_exception_fp_denorm_src 0
		.amdhsa_exception_fp_ieee_div_zero 0
		.amdhsa_exception_fp_ieee_overflow 0
		.amdhsa_exception_fp_ieee_underflow 0
		.amdhsa_exception_fp_ieee_inexact 0
		.amdhsa_exception_int_div_zero 0
	.end_amdhsa_kernel
	.section	.text._ZN7rocprim17ROCPRIM_400000_NS6detail17trampoline_kernelINS0_14default_configENS1_20scan_config_selectorIiEEZZNS1_9scan_implILNS1_25lookback_scan_determinismE0ELb1ELb1ES3_N6thrust23THRUST_200600_302600_NS6detail15normal_iteratorINS9_10device_ptrIjEEEENSB_INSC_IfEEEEiNS9_4plusIvEEiEEDaPvRmT3_T4_T5_mT6_P12ihipStream_tbENKUlT_T0_E_clISt17integral_constantIbLb1EESW_EEDaSR_SS_EUlSR_E0_NS1_11comp_targetILNS1_3genE10ELNS1_11target_archE1200ELNS1_3gpuE4ELNS1_3repE0EEENS1_30default_config_static_selectorELNS0_4arch9wavefront6targetE1EEEvT1_,"axG",@progbits,_ZN7rocprim17ROCPRIM_400000_NS6detail17trampoline_kernelINS0_14default_configENS1_20scan_config_selectorIiEEZZNS1_9scan_implILNS1_25lookback_scan_determinismE0ELb1ELb1ES3_N6thrust23THRUST_200600_302600_NS6detail15normal_iteratorINS9_10device_ptrIjEEEENSB_INSC_IfEEEEiNS9_4plusIvEEiEEDaPvRmT3_T4_T5_mT6_P12ihipStream_tbENKUlT_T0_E_clISt17integral_constantIbLb1EESW_EEDaSR_SS_EUlSR_E0_NS1_11comp_targetILNS1_3genE10ELNS1_11target_archE1200ELNS1_3gpuE4ELNS1_3repE0EEENS1_30default_config_static_selectorELNS0_4arch9wavefront6targetE1EEEvT1_,comdat
.Lfunc_end6193:
	.size	_ZN7rocprim17ROCPRIM_400000_NS6detail17trampoline_kernelINS0_14default_configENS1_20scan_config_selectorIiEEZZNS1_9scan_implILNS1_25lookback_scan_determinismE0ELb1ELb1ES3_N6thrust23THRUST_200600_302600_NS6detail15normal_iteratorINS9_10device_ptrIjEEEENSB_INSC_IfEEEEiNS9_4plusIvEEiEEDaPvRmT3_T4_T5_mT6_P12ihipStream_tbENKUlT_T0_E_clISt17integral_constantIbLb1EESW_EEDaSR_SS_EUlSR_E0_NS1_11comp_targetILNS1_3genE10ELNS1_11target_archE1200ELNS1_3gpuE4ELNS1_3repE0EEENS1_30default_config_static_selectorELNS0_4arch9wavefront6targetE1EEEvT1_, .Lfunc_end6193-_ZN7rocprim17ROCPRIM_400000_NS6detail17trampoline_kernelINS0_14default_configENS1_20scan_config_selectorIiEEZZNS1_9scan_implILNS1_25lookback_scan_determinismE0ELb1ELb1ES3_N6thrust23THRUST_200600_302600_NS6detail15normal_iteratorINS9_10device_ptrIjEEEENSB_INSC_IfEEEEiNS9_4plusIvEEiEEDaPvRmT3_T4_T5_mT6_P12ihipStream_tbENKUlT_T0_E_clISt17integral_constantIbLb1EESW_EEDaSR_SS_EUlSR_E0_NS1_11comp_targetILNS1_3genE10ELNS1_11target_archE1200ELNS1_3gpuE4ELNS1_3repE0EEENS1_30default_config_static_selectorELNS0_4arch9wavefront6targetE1EEEvT1_
                                        ; -- End function
	.section	.AMDGPU.csdata,"",@progbits
; Kernel info:
; codeLenInByte = 0
; NumSgprs: 4
; NumVgprs: 0
; NumAgprs: 0
; TotalNumVgprs: 0
; ScratchSize: 0
; MemoryBound: 0
; FloatMode: 240
; IeeeMode: 1
; LDSByteSize: 0 bytes/workgroup (compile time only)
; SGPRBlocks: 0
; VGPRBlocks: 0
; NumSGPRsForWavesPerEU: 4
; NumVGPRsForWavesPerEU: 1
; AccumOffset: 4
; Occupancy: 8
; WaveLimiterHint : 0
; COMPUTE_PGM_RSRC2:SCRATCH_EN: 0
; COMPUTE_PGM_RSRC2:USER_SGPR: 6
; COMPUTE_PGM_RSRC2:TRAP_HANDLER: 0
; COMPUTE_PGM_RSRC2:TGID_X_EN: 1
; COMPUTE_PGM_RSRC2:TGID_Y_EN: 0
; COMPUTE_PGM_RSRC2:TGID_Z_EN: 0
; COMPUTE_PGM_RSRC2:TIDIG_COMP_CNT: 0
; COMPUTE_PGM_RSRC3_GFX90A:ACCUM_OFFSET: 0
; COMPUTE_PGM_RSRC3_GFX90A:TG_SPLIT: 0
	.section	.text._ZN7rocprim17ROCPRIM_400000_NS6detail17trampoline_kernelINS0_14default_configENS1_20scan_config_selectorIiEEZZNS1_9scan_implILNS1_25lookback_scan_determinismE0ELb1ELb1ES3_N6thrust23THRUST_200600_302600_NS6detail15normal_iteratorINS9_10device_ptrIjEEEENSB_INSC_IfEEEEiNS9_4plusIvEEiEEDaPvRmT3_T4_T5_mT6_P12ihipStream_tbENKUlT_T0_E_clISt17integral_constantIbLb1EESW_EEDaSR_SS_EUlSR_E0_NS1_11comp_targetILNS1_3genE9ELNS1_11target_archE1100ELNS1_3gpuE3ELNS1_3repE0EEENS1_30default_config_static_selectorELNS0_4arch9wavefront6targetE1EEEvT1_,"axG",@progbits,_ZN7rocprim17ROCPRIM_400000_NS6detail17trampoline_kernelINS0_14default_configENS1_20scan_config_selectorIiEEZZNS1_9scan_implILNS1_25lookback_scan_determinismE0ELb1ELb1ES3_N6thrust23THRUST_200600_302600_NS6detail15normal_iteratorINS9_10device_ptrIjEEEENSB_INSC_IfEEEEiNS9_4plusIvEEiEEDaPvRmT3_T4_T5_mT6_P12ihipStream_tbENKUlT_T0_E_clISt17integral_constantIbLb1EESW_EEDaSR_SS_EUlSR_E0_NS1_11comp_targetILNS1_3genE9ELNS1_11target_archE1100ELNS1_3gpuE3ELNS1_3repE0EEENS1_30default_config_static_selectorELNS0_4arch9wavefront6targetE1EEEvT1_,comdat
	.protected	_ZN7rocprim17ROCPRIM_400000_NS6detail17trampoline_kernelINS0_14default_configENS1_20scan_config_selectorIiEEZZNS1_9scan_implILNS1_25lookback_scan_determinismE0ELb1ELb1ES3_N6thrust23THRUST_200600_302600_NS6detail15normal_iteratorINS9_10device_ptrIjEEEENSB_INSC_IfEEEEiNS9_4plusIvEEiEEDaPvRmT3_T4_T5_mT6_P12ihipStream_tbENKUlT_T0_E_clISt17integral_constantIbLb1EESW_EEDaSR_SS_EUlSR_E0_NS1_11comp_targetILNS1_3genE9ELNS1_11target_archE1100ELNS1_3gpuE3ELNS1_3repE0EEENS1_30default_config_static_selectorELNS0_4arch9wavefront6targetE1EEEvT1_ ; -- Begin function _ZN7rocprim17ROCPRIM_400000_NS6detail17trampoline_kernelINS0_14default_configENS1_20scan_config_selectorIiEEZZNS1_9scan_implILNS1_25lookback_scan_determinismE0ELb1ELb1ES3_N6thrust23THRUST_200600_302600_NS6detail15normal_iteratorINS9_10device_ptrIjEEEENSB_INSC_IfEEEEiNS9_4plusIvEEiEEDaPvRmT3_T4_T5_mT6_P12ihipStream_tbENKUlT_T0_E_clISt17integral_constantIbLb1EESW_EEDaSR_SS_EUlSR_E0_NS1_11comp_targetILNS1_3genE9ELNS1_11target_archE1100ELNS1_3gpuE3ELNS1_3repE0EEENS1_30default_config_static_selectorELNS0_4arch9wavefront6targetE1EEEvT1_
	.globl	_ZN7rocprim17ROCPRIM_400000_NS6detail17trampoline_kernelINS0_14default_configENS1_20scan_config_selectorIiEEZZNS1_9scan_implILNS1_25lookback_scan_determinismE0ELb1ELb1ES3_N6thrust23THRUST_200600_302600_NS6detail15normal_iteratorINS9_10device_ptrIjEEEENSB_INSC_IfEEEEiNS9_4plusIvEEiEEDaPvRmT3_T4_T5_mT6_P12ihipStream_tbENKUlT_T0_E_clISt17integral_constantIbLb1EESW_EEDaSR_SS_EUlSR_E0_NS1_11comp_targetILNS1_3genE9ELNS1_11target_archE1100ELNS1_3gpuE3ELNS1_3repE0EEENS1_30default_config_static_selectorELNS0_4arch9wavefront6targetE1EEEvT1_
	.p2align	8
	.type	_ZN7rocprim17ROCPRIM_400000_NS6detail17trampoline_kernelINS0_14default_configENS1_20scan_config_selectorIiEEZZNS1_9scan_implILNS1_25lookback_scan_determinismE0ELb1ELb1ES3_N6thrust23THRUST_200600_302600_NS6detail15normal_iteratorINS9_10device_ptrIjEEEENSB_INSC_IfEEEEiNS9_4plusIvEEiEEDaPvRmT3_T4_T5_mT6_P12ihipStream_tbENKUlT_T0_E_clISt17integral_constantIbLb1EESW_EEDaSR_SS_EUlSR_E0_NS1_11comp_targetILNS1_3genE9ELNS1_11target_archE1100ELNS1_3gpuE3ELNS1_3repE0EEENS1_30default_config_static_selectorELNS0_4arch9wavefront6targetE1EEEvT1_,@function
_ZN7rocprim17ROCPRIM_400000_NS6detail17trampoline_kernelINS0_14default_configENS1_20scan_config_selectorIiEEZZNS1_9scan_implILNS1_25lookback_scan_determinismE0ELb1ELb1ES3_N6thrust23THRUST_200600_302600_NS6detail15normal_iteratorINS9_10device_ptrIjEEEENSB_INSC_IfEEEEiNS9_4plusIvEEiEEDaPvRmT3_T4_T5_mT6_P12ihipStream_tbENKUlT_T0_E_clISt17integral_constantIbLb1EESW_EEDaSR_SS_EUlSR_E0_NS1_11comp_targetILNS1_3genE9ELNS1_11target_archE1100ELNS1_3gpuE3ELNS1_3repE0EEENS1_30default_config_static_selectorELNS0_4arch9wavefront6targetE1EEEvT1_: ; @_ZN7rocprim17ROCPRIM_400000_NS6detail17trampoline_kernelINS0_14default_configENS1_20scan_config_selectorIiEEZZNS1_9scan_implILNS1_25lookback_scan_determinismE0ELb1ELb1ES3_N6thrust23THRUST_200600_302600_NS6detail15normal_iteratorINS9_10device_ptrIjEEEENSB_INSC_IfEEEEiNS9_4plusIvEEiEEDaPvRmT3_T4_T5_mT6_P12ihipStream_tbENKUlT_T0_E_clISt17integral_constantIbLb1EESW_EEDaSR_SS_EUlSR_E0_NS1_11comp_targetILNS1_3genE9ELNS1_11target_archE1100ELNS1_3gpuE3ELNS1_3repE0EEENS1_30default_config_static_selectorELNS0_4arch9wavefront6targetE1EEEvT1_
; %bb.0:
	.section	.rodata,"a",@progbits
	.p2align	6, 0x0
	.amdhsa_kernel _ZN7rocprim17ROCPRIM_400000_NS6detail17trampoline_kernelINS0_14default_configENS1_20scan_config_selectorIiEEZZNS1_9scan_implILNS1_25lookback_scan_determinismE0ELb1ELb1ES3_N6thrust23THRUST_200600_302600_NS6detail15normal_iteratorINS9_10device_ptrIjEEEENSB_INSC_IfEEEEiNS9_4plusIvEEiEEDaPvRmT3_T4_T5_mT6_P12ihipStream_tbENKUlT_T0_E_clISt17integral_constantIbLb1EESW_EEDaSR_SS_EUlSR_E0_NS1_11comp_targetILNS1_3genE9ELNS1_11target_archE1100ELNS1_3gpuE3ELNS1_3repE0EEENS1_30default_config_static_selectorELNS0_4arch9wavefront6targetE1EEEvT1_
		.amdhsa_group_segment_fixed_size 0
		.amdhsa_private_segment_fixed_size 0
		.amdhsa_kernarg_size 32
		.amdhsa_user_sgpr_count 6
		.amdhsa_user_sgpr_private_segment_buffer 1
		.amdhsa_user_sgpr_dispatch_ptr 0
		.amdhsa_user_sgpr_queue_ptr 0
		.amdhsa_user_sgpr_kernarg_segment_ptr 1
		.amdhsa_user_sgpr_dispatch_id 0
		.amdhsa_user_sgpr_flat_scratch_init 0
		.amdhsa_user_sgpr_kernarg_preload_length 0
		.amdhsa_user_sgpr_kernarg_preload_offset 0
		.amdhsa_user_sgpr_private_segment_size 0
		.amdhsa_uses_dynamic_stack 0
		.amdhsa_system_sgpr_private_segment_wavefront_offset 0
		.amdhsa_system_sgpr_workgroup_id_x 1
		.amdhsa_system_sgpr_workgroup_id_y 0
		.amdhsa_system_sgpr_workgroup_id_z 0
		.amdhsa_system_sgpr_workgroup_info 0
		.amdhsa_system_vgpr_workitem_id 0
		.amdhsa_next_free_vgpr 1
		.amdhsa_next_free_sgpr 0
		.amdhsa_accum_offset 4
		.amdhsa_reserve_vcc 0
		.amdhsa_reserve_flat_scratch 0
		.amdhsa_float_round_mode_32 0
		.amdhsa_float_round_mode_16_64 0
		.amdhsa_float_denorm_mode_32 3
		.amdhsa_float_denorm_mode_16_64 3
		.amdhsa_dx10_clamp 1
		.amdhsa_ieee_mode 1
		.amdhsa_fp16_overflow 0
		.amdhsa_tg_split 0
		.amdhsa_exception_fp_ieee_invalid_op 0
		.amdhsa_exception_fp_denorm_src 0
		.amdhsa_exception_fp_ieee_div_zero 0
		.amdhsa_exception_fp_ieee_overflow 0
		.amdhsa_exception_fp_ieee_underflow 0
		.amdhsa_exception_fp_ieee_inexact 0
		.amdhsa_exception_int_div_zero 0
	.end_amdhsa_kernel
	.section	.text._ZN7rocprim17ROCPRIM_400000_NS6detail17trampoline_kernelINS0_14default_configENS1_20scan_config_selectorIiEEZZNS1_9scan_implILNS1_25lookback_scan_determinismE0ELb1ELb1ES3_N6thrust23THRUST_200600_302600_NS6detail15normal_iteratorINS9_10device_ptrIjEEEENSB_INSC_IfEEEEiNS9_4plusIvEEiEEDaPvRmT3_T4_T5_mT6_P12ihipStream_tbENKUlT_T0_E_clISt17integral_constantIbLb1EESW_EEDaSR_SS_EUlSR_E0_NS1_11comp_targetILNS1_3genE9ELNS1_11target_archE1100ELNS1_3gpuE3ELNS1_3repE0EEENS1_30default_config_static_selectorELNS0_4arch9wavefront6targetE1EEEvT1_,"axG",@progbits,_ZN7rocprim17ROCPRIM_400000_NS6detail17trampoline_kernelINS0_14default_configENS1_20scan_config_selectorIiEEZZNS1_9scan_implILNS1_25lookback_scan_determinismE0ELb1ELb1ES3_N6thrust23THRUST_200600_302600_NS6detail15normal_iteratorINS9_10device_ptrIjEEEENSB_INSC_IfEEEEiNS9_4plusIvEEiEEDaPvRmT3_T4_T5_mT6_P12ihipStream_tbENKUlT_T0_E_clISt17integral_constantIbLb1EESW_EEDaSR_SS_EUlSR_E0_NS1_11comp_targetILNS1_3genE9ELNS1_11target_archE1100ELNS1_3gpuE3ELNS1_3repE0EEENS1_30default_config_static_selectorELNS0_4arch9wavefront6targetE1EEEvT1_,comdat
.Lfunc_end6194:
	.size	_ZN7rocprim17ROCPRIM_400000_NS6detail17trampoline_kernelINS0_14default_configENS1_20scan_config_selectorIiEEZZNS1_9scan_implILNS1_25lookback_scan_determinismE0ELb1ELb1ES3_N6thrust23THRUST_200600_302600_NS6detail15normal_iteratorINS9_10device_ptrIjEEEENSB_INSC_IfEEEEiNS9_4plusIvEEiEEDaPvRmT3_T4_T5_mT6_P12ihipStream_tbENKUlT_T0_E_clISt17integral_constantIbLb1EESW_EEDaSR_SS_EUlSR_E0_NS1_11comp_targetILNS1_3genE9ELNS1_11target_archE1100ELNS1_3gpuE3ELNS1_3repE0EEENS1_30default_config_static_selectorELNS0_4arch9wavefront6targetE1EEEvT1_, .Lfunc_end6194-_ZN7rocprim17ROCPRIM_400000_NS6detail17trampoline_kernelINS0_14default_configENS1_20scan_config_selectorIiEEZZNS1_9scan_implILNS1_25lookback_scan_determinismE0ELb1ELb1ES3_N6thrust23THRUST_200600_302600_NS6detail15normal_iteratorINS9_10device_ptrIjEEEENSB_INSC_IfEEEEiNS9_4plusIvEEiEEDaPvRmT3_T4_T5_mT6_P12ihipStream_tbENKUlT_T0_E_clISt17integral_constantIbLb1EESW_EEDaSR_SS_EUlSR_E0_NS1_11comp_targetILNS1_3genE9ELNS1_11target_archE1100ELNS1_3gpuE3ELNS1_3repE0EEENS1_30default_config_static_selectorELNS0_4arch9wavefront6targetE1EEEvT1_
                                        ; -- End function
	.section	.AMDGPU.csdata,"",@progbits
; Kernel info:
; codeLenInByte = 0
; NumSgprs: 4
; NumVgprs: 0
; NumAgprs: 0
; TotalNumVgprs: 0
; ScratchSize: 0
; MemoryBound: 0
; FloatMode: 240
; IeeeMode: 1
; LDSByteSize: 0 bytes/workgroup (compile time only)
; SGPRBlocks: 0
; VGPRBlocks: 0
; NumSGPRsForWavesPerEU: 4
; NumVGPRsForWavesPerEU: 1
; AccumOffset: 4
; Occupancy: 8
; WaveLimiterHint : 0
; COMPUTE_PGM_RSRC2:SCRATCH_EN: 0
; COMPUTE_PGM_RSRC2:USER_SGPR: 6
; COMPUTE_PGM_RSRC2:TRAP_HANDLER: 0
; COMPUTE_PGM_RSRC2:TGID_X_EN: 1
; COMPUTE_PGM_RSRC2:TGID_Y_EN: 0
; COMPUTE_PGM_RSRC2:TGID_Z_EN: 0
; COMPUTE_PGM_RSRC2:TIDIG_COMP_CNT: 0
; COMPUTE_PGM_RSRC3_GFX90A:ACCUM_OFFSET: 0
; COMPUTE_PGM_RSRC3_GFX90A:TG_SPLIT: 0
	.section	.text._ZN7rocprim17ROCPRIM_400000_NS6detail17trampoline_kernelINS0_14default_configENS1_20scan_config_selectorIiEEZZNS1_9scan_implILNS1_25lookback_scan_determinismE0ELb1ELb1ES3_N6thrust23THRUST_200600_302600_NS6detail15normal_iteratorINS9_10device_ptrIjEEEENSB_INSC_IfEEEEiNS9_4plusIvEEiEEDaPvRmT3_T4_T5_mT6_P12ihipStream_tbENKUlT_T0_E_clISt17integral_constantIbLb1EESW_EEDaSR_SS_EUlSR_E0_NS1_11comp_targetILNS1_3genE8ELNS1_11target_archE1030ELNS1_3gpuE2ELNS1_3repE0EEENS1_30default_config_static_selectorELNS0_4arch9wavefront6targetE1EEEvT1_,"axG",@progbits,_ZN7rocprim17ROCPRIM_400000_NS6detail17trampoline_kernelINS0_14default_configENS1_20scan_config_selectorIiEEZZNS1_9scan_implILNS1_25lookback_scan_determinismE0ELb1ELb1ES3_N6thrust23THRUST_200600_302600_NS6detail15normal_iteratorINS9_10device_ptrIjEEEENSB_INSC_IfEEEEiNS9_4plusIvEEiEEDaPvRmT3_T4_T5_mT6_P12ihipStream_tbENKUlT_T0_E_clISt17integral_constantIbLb1EESW_EEDaSR_SS_EUlSR_E0_NS1_11comp_targetILNS1_3genE8ELNS1_11target_archE1030ELNS1_3gpuE2ELNS1_3repE0EEENS1_30default_config_static_selectorELNS0_4arch9wavefront6targetE1EEEvT1_,comdat
	.protected	_ZN7rocprim17ROCPRIM_400000_NS6detail17trampoline_kernelINS0_14default_configENS1_20scan_config_selectorIiEEZZNS1_9scan_implILNS1_25lookback_scan_determinismE0ELb1ELb1ES3_N6thrust23THRUST_200600_302600_NS6detail15normal_iteratorINS9_10device_ptrIjEEEENSB_INSC_IfEEEEiNS9_4plusIvEEiEEDaPvRmT3_T4_T5_mT6_P12ihipStream_tbENKUlT_T0_E_clISt17integral_constantIbLb1EESW_EEDaSR_SS_EUlSR_E0_NS1_11comp_targetILNS1_3genE8ELNS1_11target_archE1030ELNS1_3gpuE2ELNS1_3repE0EEENS1_30default_config_static_selectorELNS0_4arch9wavefront6targetE1EEEvT1_ ; -- Begin function _ZN7rocprim17ROCPRIM_400000_NS6detail17trampoline_kernelINS0_14default_configENS1_20scan_config_selectorIiEEZZNS1_9scan_implILNS1_25lookback_scan_determinismE0ELb1ELb1ES3_N6thrust23THRUST_200600_302600_NS6detail15normal_iteratorINS9_10device_ptrIjEEEENSB_INSC_IfEEEEiNS9_4plusIvEEiEEDaPvRmT3_T4_T5_mT6_P12ihipStream_tbENKUlT_T0_E_clISt17integral_constantIbLb1EESW_EEDaSR_SS_EUlSR_E0_NS1_11comp_targetILNS1_3genE8ELNS1_11target_archE1030ELNS1_3gpuE2ELNS1_3repE0EEENS1_30default_config_static_selectorELNS0_4arch9wavefront6targetE1EEEvT1_
	.globl	_ZN7rocprim17ROCPRIM_400000_NS6detail17trampoline_kernelINS0_14default_configENS1_20scan_config_selectorIiEEZZNS1_9scan_implILNS1_25lookback_scan_determinismE0ELb1ELb1ES3_N6thrust23THRUST_200600_302600_NS6detail15normal_iteratorINS9_10device_ptrIjEEEENSB_INSC_IfEEEEiNS9_4plusIvEEiEEDaPvRmT3_T4_T5_mT6_P12ihipStream_tbENKUlT_T0_E_clISt17integral_constantIbLb1EESW_EEDaSR_SS_EUlSR_E0_NS1_11comp_targetILNS1_3genE8ELNS1_11target_archE1030ELNS1_3gpuE2ELNS1_3repE0EEENS1_30default_config_static_selectorELNS0_4arch9wavefront6targetE1EEEvT1_
	.p2align	8
	.type	_ZN7rocprim17ROCPRIM_400000_NS6detail17trampoline_kernelINS0_14default_configENS1_20scan_config_selectorIiEEZZNS1_9scan_implILNS1_25lookback_scan_determinismE0ELb1ELb1ES3_N6thrust23THRUST_200600_302600_NS6detail15normal_iteratorINS9_10device_ptrIjEEEENSB_INSC_IfEEEEiNS9_4plusIvEEiEEDaPvRmT3_T4_T5_mT6_P12ihipStream_tbENKUlT_T0_E_clISt17integral_constantIbLb1EESW_EEDaSR_SS_EUlSR_E0_NS1_11comp_targetILNS1_3genE8ELNS1_11target_archE1030ELNS1_3gpuE2ELNS1_3repE0EEENS1_30default_config_static_selectorELNS0_4arch9wavefront6targetE1EEEvT1_,@function
_ZN7rocprim17ROCPRIM_400000_NS6detail17trampoline_kernelINS0_14default_configENS1_20scan_config_selectorIiEEZZNS1_9scan_implILNS1_25lookback_scan_determinismE0ELb1ELb1ES3_N6thrust23THRUST_200600_302600_NS6detail15normal_iteratorINS9_10device_ptrIjEEEENSB_INSC_IfEEEEiNS9_4plusIvEEiEEDaPvRmT3_T4_T5_mT6_P12ihipStream_tbENKUlT_T0_E_clISt17integral_constantIbLb1EESW_EEDaSR_SS_EUlSR_E0_NS1_11comp_targetILNS1_3genE8ELNS1_11target_archE1030ELNS1_3gpuE2ELNS1_3repE0EEENS1_30default_config_static_selectorELNS0_4arch9wavefront6targetE1EEEvT1_: ; @_ZN7rocprim17ROCPRIM_400000_NS6detail17trampoline_kernelINS0_14default_configENS1_20scan_config_selectorIiEEZZNS1_9scan_implILNS1_25lookback_scan_determinismE0ELb1ELb1ES3_N6thrust23THRUST_200600_302600_NS6detail15normal_iteratorINS9_10device_ptrIjEEEENSB_INSC_IfEEEEiNS9_4plusIvEEiEEDaPvRmT3_T4_T5_mT6_P12ihipStream_tbENKUlT_T0_E_clISt17integral_constantIbLb1EESW_EEDaSR_SS_EUlSR_E0_NS1_11comp_targetILNS1_3genE8ELNS1_11target_archE1030ELNS1_3gpuE2ELNS1_3repE0EEENS1_30default_config_static_selectorELNS0_4arch9wavefront6targetE1EEEvT1_
; %bb.0:
	.section	.rodata,"a",@progbits
	.p2align	6, 0x0
	.amdhsa_kernel _ZN7rocprim17ROCPRIM_400000_NS6detail17trampoline_kernelINS0_14default_configENS1_20scan_config_selectorIiEEZZNS1_9scan_implILNS1_25lookback_scan_determinismE0ELb1ELb1ES3_N6thrust23THRUST_200600_302600_NS6detail15normal_iteratorINS9_10device_ptrIjEEEENSB_INSC_IfEEEEiNS9_4plusIvEEiEEDaPvRmT3_T4_T5_mT6_P12ihipStream_tbENKUlT_T0_E_clISt17integral_constantIbLb1EESW_EEDaSR_SS_EUlSR_E0_NS1_11comp_targetILNS1_3genE8ELNS1_11target_archE1030ELNS1_3gpuE2ELNS1_3repE0EEENS1_30default_config_static_selectorELNS0_4arch9wavefront6targetE1EEEvT1_
		.amdhsa_group_segment_fixed_size 0
		.amdhsa_private_segment_fixed_size 0
		.amdhsa_kernarg_size 32
		.amdhsa_user_sgpr_count 6
		.amdhsa_user_sgpr_private_segment_buffer 1
		.amdhsa_user_sgpr_dispatch_ptr 0
		.amdhsa_user_sgpr_queue_ptr 0
		.amdhsa_user_sgpr_kernarg_segment_ptr 1
		.amdhsa_user_sgpr_dispatch_id 0
		.amdhsa_user_sgpr_flat_scratch_init 0
		.amdhsa_user_sgpr_kernarg_preload_length 0
		.amdhsa_user_sgpr_kernarg_preload_offset 0
		.amdhsa_user_sgpr_private_segment_size 0
		.amdhsa_uses_dynamic_stack 0
		.amdhsa_system_sgpr_private_segment_wavefront_offset 0
		.amdhsa_system_sgpr_workgroup_id_x 1
		.amdhsa_system_sgpr_workgroup_id_y 0
		.amdhsa_system_sgpr_workgroup_id_z 0
		.amdhsa_system_sgpr_workgroup_info 0
		.amdhsa_system_vgpr_workitem_id 0
		.amdhsa_next_free_vgpr 1
		.amdhsa_next_free_sgpr 0
		.amdhsa_accum_offset 4
		.amdhsa_reserve_vcc 0
		.amdhsa_reserve_flat_scratch 0
		.amdhsa_float_round_mode_32 0
		.amdhsa_float_round_mode_16_64 0
		.amdhsa_float_denorm_mode_32 3
		.amdhsa_float_denorm_mode_16_64 3
		.amdhsa_dx10_clamp 1
		.amdhsa_ieee_mode 1
		.amdhsa_fp16_overflow 0
		.amdhsa_tg_split 0
		.amdhsa_exception_fp_ieee_invalid_op 0
		.amdhsa_exception_fp_denorm_src 0
		.amdhsa_exception_fp_ieee_div_zero 0
		.amdhsa_exception_fp_ieee_overflow 0
		.amdhsa_exception_fp_ieee_underflow 0
		.amdhsa_exception_fp_ieee_inexact 0
		.amdhsa_exception_int_div_zero 0
	.end_amdhsa_kernel
	.section	.text._ZN7rocprim17ROCPRIM_400000_NS6detail17trampoline_kernelINS0_14default_configENS1_20scan_config_selectorIiEEZZNS1_9scan_implILNS1_25lookback_scan_determinismE0ELb1ELb1ES3_N6thrust23THRUST_200600_302600_NS6detail15normal_iteratorINS9_10device_ptrIjEEEENSB_INSC_IfEEEEiNS9_4plusIvEEiEEDaPvRmT3_T4_T5_mT6_P12ihipStream_tbENKUlT_T0_E_clISt17integral_constantIbLb1EESW_EEDaSR_SS_EUlSR_E0_NS1_11comp_targetILNS1_3genE8ELNS1_11target_archE1030ELNS1_3gpuE2ELNS1_3repE0EEENS1_30default_config_static_selectorELNS0_4arch9wavefront6targetE1EEEvT1_,"axG",@progbits,_ZN7rocprim17ROCPRIM_400000_NS6detail17trampoline_kernelINS0_14default_configENS1_20scan_config_selectorIiEEZZNS1_9scan_implILNS1_25lookback_scan_determinismE0ELb1ELb1ES3_N6thrust23THRUST_200600_302600_NS6detail15normal_iteratorINS9_10device_ptrIjEEEENSB_INSC_IfEEEEiNS9_4plusIvEEiEEDaPvRmT3_T4_T5_mT6_P12ihipStream_tbENKUlT_T0_E_clISt17integral_constantIbLb1EESW_EEDaSR_SS_EUlSR_E0_NS1_11comp_targetILNS1_3genE8ELNS1_11target_archE1030ELNS1_3gpuE2ELNS1_3repE0EEENS1_30default_config_static_selectorELNS0_4arch9wavefront6targetE1EEEvT1_,comdat
.Lfunc_end6195:
	.size	_ZN7rocprim17ROCPRIM_400000_NS6detail17trampoline_kernelINS0_14default_configENS1_20scan_config_selectorIiEEZZNS1_9scan_implILNS1_25lookback_scan_determinismE0ELb1ELb1ES3_N6thrust23THRUST_200600_302600_NS6detail15normal_iteratorINS9_10device_ptrIjEEEENSB_INSC_IfEEEEiNS9_4plusIvEEiEEDaPvRmT3_T4_T5_mT6_P12ihipStream_tbENKUlT_T0_E_clISt17integral_constantIbLb1EESW_EEDaSR_SS_EUlSR_E0_NS1_11comp_targetILNS1_3genE8ELNS1_11target_archE1030ELNS1_3gpuE2ELNS1_3repE0EEENS1_30default_config_static_selectorELNS0_4arch9wavefront6targetE1EEEvT1_, .Lfunc_end6195-_ZN7rocprim17ROCPRIM_400000_NS6detail17trampoline_kernelINS0_14default_configENS1_20scan_config_selectorIiEEZZNS1_9scan_implILNS1_25lookback_scan_determinismE0ELb1ELb1ES3_N6thrust23THRUST_200600_302600_NS6detail15normal_iteratorINS9_10device_ptrIjEEEENSB_INSC_IfEEEEiNS9_4plusIvEEiEEDaPvRmT3_T4_T5_mT6_P12ihipStream_tbENKUlT_T0_E_clISt17integral_constantIbLb1EESW_EEDaSR_SS_EUlSR_E0_NS1_11comp_targetILNS1_3genE8ELNS1_11target_archE1030ELNS1_3gpuE2ELNS1_3repE0EEENS1_30default_config_static_selectorELNS0_4arch9wavefront6targetE1EEEvT1_
                                        ; -- End function
	.section	.AMDGPU.csdata,"",@progbits
; Kernel info:
; codeLenInByte = 0
; NumSgprs: 4
; NumVgprs: 0
; NumAgprs: 0
; TotalNumVgprs: 0
; ScratchSize: 0
; MemoryBound: 0
; FloatMode: 240
; IeeeMode: 1
; LDSByteSize: 0 bytes/workgroup (compile time only)
; SGPRBlocks: 0
; VGPRBlocks: 0
; NumSGPRsForWavesPerEU: 4
; NumVGPRsForWavesPerEU: 1
; AccumOffset: 4
; Occupancy: 8
; WaveLimiterHint : 0
; COMPUTE_PGM_RSRC2:SCRATCH_EN: 0
; COMPUTE_PGM_RSRC2:USER_SGPR: 6
; COMPUTE_PGM_RSRC2:TRAP_HANDLER: 0
; COMPUTE_PGM_RSRC2:TGID_X_EN: 1
; COMPUTE_PGM_RSRC2:TGID_Y_EN: 0
; COMPUTE_PGM_RSRC2:TGID_Z_EN: 0
; COMPUTE_PGM_RSRC2:TIDIG_COMP_CNT: 0
; COMPUTE_PGM_RSRC3_GFX90A:ACCUM_OFFSET: 0
; COMPUTE_PGM_RSRC3_GFX90A:TG_SPLIT: 0
	.section	.text._ZN7rocprim17ROCPRIM_400000_NS6detail17trampoline_kernelINS0_14default_configENS1_20scan_config_selectorIiEEZZNS1_9scan_implILNS1_25lookback_scan_determinismE0ELb1ELb1ES3_N6thrust23THRUST_200600_302600_NS6detail15normal_iteratorINS9_10device_ptrIjEEEENSB_INSC_IfEEEEiNS9_4plusIvEEiEEDaPvRmT3_T4_T5_mT6_P12ihipStream_tbENKUlT_T0_E_clISt17integral_constantIbLb1EESV_IbLb0EEEEDaSR_SS_EUlSR_E_NS1_11comp_targetILNS1_3genE0ELNS1_11target_archE4294967295ELNS1_3gpuE0ELNS1_3repE0EEENS1_30default_config_static_selectorELNS0_4arch9wavefront6targetE1EEEvT1_,"axG",@progbits,_ZN7rocprim17ROCPRIM_400000_NS6detail17trampoline_kernelINS0_14default_configENS1_20scan_config_selectorIiEEZZNS1_9scan_implILNS1_25lookback_scan_determinismE0ELb1ELb1ES3_N6thrust23THRUST_200600_302600_NS6detail15normal_iteratorINS9_10device_ptrIjEEEENSB_INSC_IfEEEEiNS9_4plusIvEEiEEDaPvRmT3_T4_T5_mT6_P12ihipStream_tbENKUlT_T0_E_clISt17integral_constantIbLb1EESV_IbLb0EEEEDaSR_SS_EUlSR_E_NS1_11comp_targetILNS1_3genE0ELNS1_11target_archE4294967295ELNS1_3gpuE0ELNS1_3repE0EEENS1_30default_config_static_selectorELNS0_4arch9wavefront6targetE1EEEvT1_,comdat
	.protected	_ZN7rocprim17ROCPRIM_400000_NS6detail17trampoline_kernelINS0_14default_configENS1_20scan_config_selectorIiEEZZNS1_9scan_implILNS1_25lookback_scan_determinismE0ELb1ELb1ES3_N6thrust23THRUST_200600_302600_NS6detail15normal_iteratorINS9_10device_ptrIjEEEENSB_INSC_IfEEEEiNS9_4plusIvEEiEEDaPvRmT3_T4_T5_mT6_P12ihipStream_tbENKUlT_T0_E_clISt17integral_constantIbLb1EESV_IbLb0EEEEDaSR_SS_EUlSR_E_NS1_11comp_targetILNS1_3genE0ELNS1_11target_archE4294967295ELNS1_3gpuE0ELNS1_3repE0EEENS1_30default_config_static_selectorELNS0_4arch9wavefront6targetE1EEEvT1_ ; -- Begin function _ZN7rocprim17ROCPRIM_400000_NS6detail17trampoline_kernelINS0_14default_configENS1_20scan_config_selectorIiEEZZNS1_9scan_implILNS1_25lookback_scan_determinismE0ELb1ELb1ES3_N6thrust23THRUST_200600_302600_NS6detail15normal_iteratorINS9_10device_ptrIjEEEENSB_INSC_IfEEEEiNS9_4plusIvEEiEEDaPvRmT3_T4_T5_mT6_P12ihipStream_tbENKUlT_T0_E_clISt17integral_constantIbLb1EESV_IbLb0EEEEDaSR_SS_EUlSR_E_NS1_11comp_targetILNS1_3genE0ELNS1_11target_archE4294967295ELNS1_3gpuE0ELNS1_3repE0EEENS1_30default_config_static_selectorELNS0_4arch9wavefront6targetE1EEEvT1_
	.globl	_ZN7rocprim17ROCPRIM_400000_NS6detail17trampoline_kernelINS0_14default_configENS1_20scan_config_selectorIiEEZZNS1_9scan_implILNS1_25lookback_scan_determinismE0ELb1ELb1ES3_N6thrust23THRUST_200600_302600_NS6detail15normal_iteratorINS9_10device_ptrIjEEEENSB_INSC_IfEEEEiNS9_4plusIvEEiEEDaPvRmT3_T4_T5_mT6_P12ihipStream_tbENKUlT_T0_E_clISt17integral_constantIbLb1EESV_IbLb0EEEEDaSR_SS_EUlSR_E_NS1_11comp_targetILNS1_3genE0ELNS1_11target_archE4294967295ELNS1_3gpuE0ELNS1_3repE0EEENS1_30default_config_static_selectorELNS0_4arch9wavefront6targetE1EEEvT1_
	.p2align	8
	.type	_ZN7rocprim17ROCPRIM_400000_NS6detail17trampoline_kernelINS0_14default_configENS1_20scan_config_selectorIiEEZZNS1_9scan_implILNS1_25lookback_scan_determinismE0ELb1ELb1ES3_N6thrust23THRUST_200600_302600_NS6detail15normal_iteratorINS9_10device_ptrIjEEEENSB_INSC_IfEEEEiNS9_4plusIvEEiEEDaPvRmT3_T4_T5_mT6_P12ihipStream_tbENKUlT_T0_E_clISt17integral_constantIbLb1EESV_IbLb0EEEEDaSR_SS_EUlSR_E_NS1_11comp_targetILNS1_3genE0ELNS1_11target_archE4294967295ELNS1_3gpuE0ELNS1_3repE0EEENS1_30default_config_static_selectorELNS0_4arch9wavefront6targetE1EEEvT1_,@function
_ZN7rocprim17ROCPRIM_400000_NS6detail17trampoline_kernelINS0_14default_configENS1_20scan_config_selectorIiEEZZNS1_9scan_implILNS1_25lookback_scan_determinismE0ELb1ELb1ES3_N6thrust23THRUST_200600_302600_NS6detail15normal_iteratorINS9_10device_ptrIjEEEENSB_INSC_IfEEEEiNS9_4plusIvEEiEEDaPvRmT3_T4_T5_mT6_P12ihipStream_tbENKUlT_T0_E_clISt17integral_constantIbLb1EESV_IbLb0EEEEDaSR_SS_EUlSR_E_NS1_11comp_targetILNS1_3genE0ELNS1_11target_archE4294967295ELNS1_3gpuE0ELNS1_3repE0EEENS1_30default_config_static_selectorELNS0_4arch9wavefront6targetE1EEEvT1_: ; @_ZN7rocprim17ROCPRIM_400000_NS6detail17trampoline_kernelINS0_14default_configENS1_20scan_config_selectorIiEEZZNS1_9scan_implILNS1_25lookback_scan_determinismE0ELb1ELb1ES3_N6thrust23THRUST_200600_302600_NS6detail15normal_iteratorINS9_10device_ptrIjEEEENSB_INSC_IfEEEEiNS9_4plusIvEEiEEDaPvRmT3_T4_T5_mT6_P12ihipStream_tbENKUlT_T0_E_clISt17integral_constantIbLb1EESV_IbLb0EEEEDaSR_SS_EUlSR_E_NS1_11comp_targetILNS1_3genE0ELNS1_11target_archE4294967295ELNS1_3gpuE0ELNS1_3repE0EEENS1_30default_config_static_selectorELNS0_4arch9wavefront6targetE1EEEvT1_
; %bb.0:
	.section	.rodata,"a",@progbits
	.p2align	6, 0x0
	.amdhsa_kernel _ZN7rocprim17ROCPRIM_400000_NS6detail17trampoline_kernelINS0_14default_configENS1_20scan_config_selectorIiEEZZNS1_9scan_implILNS1_25lookback_scan_determinismE0ELb1ELb1ES3_N6thrust23THRUST_200600_302600_NS6detail15normal_iteratorINS9_10device_ptrIjEEEENSB_INSC_IfEEEEiNS9_4plusIvEEiEEDaPvRmT3_T4_T5_mT6_P12ihipStream_tbENKUlT_T0_E_clISt17integral_constantIbLb1EESV_IbLb0EEEEDaSR_SS_EUlSR_E_NS1_11comp_targetILNS1_3genE0ELNS1_11target_archE4294967295ELNS1_3gpuE0ELNS1_3repE0EEENS1_30default_config_static_selectorELNS0_4arch9wavefront6targetE1EEEvT1_
		.amdhsa_group_segment_fixed_size 0
		.amdhsa_private_segment_fixed_size 0
		.amdhsa_kernarg_size 96
		.amdhsa_user_sgpr_count 6
		.amdhsa_user_sgpr_private_segment_buffer 1
		.amdhsa_user_sgpr_dispatch_ptr 0
		.amdhsa_user_sgpr_queue_ptr 0
		.amdhsa_user_sgpr_kernarg_segment_ptr 1
		.amdhsa_user_sgpr_dispatch_id 0
		.amdhsa_user_sgpr_flat_scratch_init 0
		.amdhsa_user_sgpr_kernarg_preload_length 0
		.amdhsa_user_sgpr_kernarg_preload_offset 0
		.amdhsa_user_sgpr_private_segment_size 0
		.amdhsa_uses_dynamic_stack 0
		.amdhsa_system_sgpr_private_segment_wavefront_offset 0
		.amdhsa_system_sgpr_workgroup_id_x 1
		.amdhsa_system_sgpr_workgroup_id_y 0
		.amdhsa_system_sgpr_workgroup_id_z 0
		.amdhsa_system_sgpr_workgroup_info 0
		.amdhsa_system_vgpr_workitem_id 0
		.amdhsa_next_free_vgpr 1
		.amdhsa_next_free_sgpr 0
		.amdhsa_accum_offset 4
		.amdhsa_reserve_vcc 0
		.amdhsa_reserve_flat_scratch 0
		.amdhsa_float_round_mode_32 0
		.amdhsa_float_round_mode_16_64 0
		.amdhsa_float_denorm_mode_32 3
		.amdhsa_float_denorm_mode_16_64 3
		.amdhsa_dx10_clamp 1
		.amdhsa_ieee_mode 1
		.amdhsa_fp16_overflow 0
		.amdhsa_tg_split 0
		.amdhsa_exception_fp_ieee_invalid_op 0
		.amdhsa_exception_fp_denorm_src 0
		.amdhsa_exception_fp_ieee_div_zero 0
		.amdhsa_exception_fp_ieee_overflow 0
		.amdhsa_exception_fp_ieee_underflow 0
		.amdhsa_exception_fp_ieee_inexact 0
		.amdhsa_exception_int_div_zero 0
	.end_amdhsa_kernel
	.section	.text._ZN7rocprim17ROCPRIM_400000_NS6detail17trampoline_kernelINS0_14default_configENS1_20scan_config_selectorIiEEZZNS1_9scan_implILNS1_25lookback_scan_determinismE0ELb1ELb1ES3_N6thrust23THRUST_200600_302600_NS6detail15normal_iteratorINS9_10device_ptrIjEEEENSB_INSC_IfEEEEiNS9_4plusIvEEiEEDaPvRmT3_T4_T5_mT6_P12ihipStream_tbENKUlT_T0_E_clISt17integral_constantIbLb1EESV_IbLb0EEEEDaSR_SS_EUlSR_E_NS1_11comp_targetILNS1_3genE0ELNS1_11target_archE4294967295ELNS1_3gpuE0ELNS1_3repE0EEENS1_30default_config_static_selectorELNS0_4arch9wavefront6targetE1EEEvT1_,"axG",@progbits,_ZN7rocprim17ROCPRIM_400000_NS6detail17trampoline_kernelINS0_14default_configENS1_20scan_config_selectorIiEEZZNS1_9scan_implILNS1_25lookback_scan_determinismE0ELb1ELb1ES3_N6thrust23THRUST_200600_302600_NS6detail15normal_iteratorINS9_10device_ptrIjEEEENSB_INSC_IfEEEEiNS9_4plusIvEEiEEDaPvRmT3_T4_T5_mT6_P12ihipStream_tbENKUlT_T0_E_clISt17integral_constantIbLb1EESV_IbLb0EEEEDaSR_SS_EUlSR_E_NS1_11comp_targetILNS1_3genE0ELNS1_11target_archE4294967295ELNS1_3gpuE0ELNS1_3repE0EEENS1_30default_config_static_selectorELNS0_4arch9wavefront6targetE1EEEvT1_,comdat
.Lfunc_end6196:
	.size	_ZN7rocprim17ROCPRIM_400000_NS6detail17trampoline_kernelINS0_14default_configENS1_20scan_config_selectorIiEEZZNS1_9scan_implILNS1_25lookback_scan_determinismE0ELb1ELb1ES3_N6thrust23THRUST_200600_302600_NS6detail15normal_iteratorINS9_10device_ptrIjEEEENSB_INSC_IfEEEEiNS9_4plusIvEEiEEDaPvRmT3_T4_T5_mT6_P12ihipStream_tbENKUlT_T0_E_clISt17integral_constantIbLb1EESV_IbLb0EEEEDaSR_SS_EUlSR_E_NS1_11comp_targetILNS1_3genE0ELNS1_11target_archE4294967295ELNS1_3gpuE0ELNS1_3repE0EEENS1_30default_config_static_selectorELNS0_4arch9wavefront6targetE1EEEvT1_, .Lfunc_end6196-_ZN7rocprim17ROCPRIM_400000_NS6detail17trampoline_kernelINS0_14default_configENS1_20scan_config_selectorIiEEZZNS1_9scan_implILNS1_25lookback_scan_determinismE0ELb1ELb1ES3_N6thrust23THRUST_200600_302600_NS6detail15normal_iteratorINS9_10device_ptrIjEEEENSB_INSC_IfEEEEiNS9_4plusIvEEiEEDaPvRmT3_T4_T5_mT6_P12ihipStream_tbENKUlT_T0_E_clISt17integral_constantIbLb1EESV_IbLb0EEEEDaSR_SS_EUlSR_E_NS1_11comp_targetILNS1_3genE0ELNS1_11target_archE4294967295ELNS1_3gpuE0ELNS1_3repE0EEENS1_30default_config_static_selectorELNS0_4arch9wavefront6targetE1EEEvT1_
                                        ; -- End function
	.section	.AMDGPU.csdata,"",@progbits
; Kernel info:
; codeLenInByte = 0
; NumSgprs: 4
; NumVgprs: 0
; NumAgprs: 0
; TotalNumVgprs: 0
; ScratchSize: 0
; MemoryBound: 0
; FloatMode: 240
; IeeeMode: 1
; LDSByteSize: 0 bytes/workgroup (compile time only)
; SGPRBlocks: 0
; VGPRBlocks: 0
; NumSGPRsForWavesPerEU: 4
; NumVGPRsForWavesPerEU: 1
; AccumOffset: 4
; Occupancy: 8
; WaveLimiterHint : 0
; COMPUTE_PGM_RSRC2:SCRATCH_EN: 0
; COMPUTE_PGM_RSRC2:USER_SGPR: 6
; COMPUTE_PGM_RSRC2:TRAP_HANDLER: 0
; COMPUTE_PGM_RSRC2:TGID_X_EN: 1
; COMPUTE_PGM_RSRC2:TGID_Y_EN: 0
; COMPUTE_PGM_RSRC2:TGID_Z_EN: 0
; COMPUTE_PGM_RSRC2:TIDIG_COMP_CNT: 0
; COMPUTE_PGM_RSRC3_GFX90A:ACCUM_OFFSET: 0
; COMPUTE_PGM_RSRC3_GFX90A:TG_SPLIT: 0
	.section	.text._ZN7rocprim17ROCPRIM_400000_NS6detail17trampoline_kernelINS0_14default_configENS1_20scan_config_selectorIiEEZZNS1_9scan_implILNS1_25lookback_scan_determinismE0ELb1ELb1ES3_N6thrust23THRUST_200600_302600_NS6detail15normal_iteratorINS9_10device_ptrIjEEEENSB_INSC_IfEEEEiNS9_4plusIvEEiEEDaPvRmT3_T4_T5_mT6_P12ihipStream_tbENKUlT_T0_E_clISt17integral_constantIbLb1EESV_IbLb0EEEEDaSR_SS_EUlSR_E_NS1_11comp_targetILNS1_3genE5ELNS1_11target_archE942ELNS1_3gpuE9ELNS1_3repE0EEENS1_30default_config_static_selectorELNS0_4arch9wavefront6targetE1EEEvT1_,"axG",@progbits,_ZN7rocprim17ROCPRIM_400000_NS6detail17trampoline_kernelINS0_14default_configENS1_20scan_config_selectorIiEEZZNS1_9scan_implILNS1_25lookback_scan_determinismE0ELb1ELb1ES3_N6thrust23THRUST_200600_302600_NS6detail15normal_iteratorINS9_10device_ptrIjEEEENSB_INSC_IfEEEEiNS9_4plusIvEEiEEDaPvRmT3_T4_T5_mT6_P12ihipStream_tbENKUlT_T0_E_clISt17integral_constantIbLb1EESV_IbLb0EEEEDaSR_SS_EUlSR_E_NS1_11comp_targetILNS1_3genE5ELNS1_11target_archE942ELNS1_3gpuE9ELNS1_3repE0EEENS1_30default_config_static_selectorELNS0_4arch9wavefront6targetE1EEEvT1_,comdat
	.protected	_ZN7rocprim17ROCPRIM_400000_NS6detail17trampoline_kernelINS0_14default_configENS1_20scan_config_selectorIiEEZZNS1_9scan_implILNS1_25lookback_scan_determinismE0ELb1ELb1ES3_N6thrust23THRUST_200600_302600_NS6detail15normal_iteratorINS9_10device_ptrIjEEEENSB_INSC_IfEEEEiNS9_4plusIvEEiEEDaPvRmT3_T4_T5_mT6_P12ihipStream_tbENKUlT_T0_E_clISt17integral_constantIbLb1EESV_IbLb0EEEEDaSR_SS_EUlSR_E_NS1_11comp_targetILNS1_3genE5ELNS1_11target_archE942ELNS1_3gpuE9ELNS1_3repE0EEENS1_30default_config_static_selectorELNS0_4arch9wavefront6targetE1EEEvT1_ ; -- Begin function _ZN7rocprim17ROCPRIM_400000_NS6detail17trampoline_kernelINS0_14default_configENS1_20scan_config_selectorIiEEZZNS1_9scan_implILNS1_25lookback_scan_determinismE0ELb1ELb1ES3_N6thrust23THRUST_200600_302600_NS6detail15normal_iteratorINS9_10device_ptrIjEEEENSB_INSC_IfEEEEiNS9_4plusIvEEiEEDaPvRmT3_T4_T5_mT6_P12ihipStream_tbENKUlT_T0_E_clISt17integral_constantIbLb1EESV_IbLb0EEEEDaSR_SS_EUlSR_E_NS1_11comp_targetILNS1_3genE5ELNS1_11target_archE942ELNS1_3gpuE9ELNS1_3repE0EEENS1_30default_config_static_selectorELNS0_4arch9wavefront6targetE1EEEvT1_
	.globl	_ZN7rocprim17ROCPRIM_400000_NS6detail17trampoline_kernelINS0_14default_configENS1_20scan_config_selectorIiEEZZNS1_9scan_implILNS1_25lookback_scan_determinismE0ELb1ELb1ES3_N6thrust23THRUST_200600_302600_NS6detail15normal_iteratorINS9_10device_ptrIjEEEENSB_INSC_IfEEEEiNS9_4plusIvEEiEEDaPvRmT3_T4_T5_mT6_P12ihipStream_tbENKUlT_T0_E_clISt17integral_constantIbLb1EESV_IbLb0EEEEDaSR_SS_EUlSR_E_NS1_11comp_targetILNS1_3genE5ELNS1_11target_archE942ELNS1_3gpuE9ELNS1_3repE0EEENS1_30default_config_static_selectorELNS0_4arch9wavefront6targetE1EEEvT1_
	.p2align	8
	.type	_ZN7rocprim17ROCPRIM_400000_NS6detail17trampoline_kernelINS0_14default_configENS1_20scan_config_selectorIiEEZZNS1_9scan_implILNS1_25lookback_scan_determinismE0ELb1ELb1ES3_N6thrust23THRUST_200600_302600_NS6detail15normal_iteratorINS9_10device_ptrIjEEEENSB_INSC_IfEEEEiNS9_4plusIvEEiEEDaPvRmT3_T4_T5_mT6_P12ihipStream_tbENKUlT_T0_E_clISt17integral_constantIbLb1EESV_IbLb0EEEEDaSR_SS_EUlSR_E_NS1_11comp_targetILNS1_3genE5ELNS1_11target_archE942ELNS1_3gpuE9ELNS1_3repE0EEENS1_30default_config_static_selectorELNS0_4arch9wavefront6targetE1EEEvT1_,@function
_ZN7rocprim17ROCPRIM_400000_NS6detail17trampoline_kernelINS0_14default_configENS1_20scan_config_selectorIiEEZZNS1_9scan_implILNS1_25lookback_scan_determinismE0ELb1ELb1ES3_N6thrust23THRUST_200600_302600_NS6detail15normal_iteratorINS9_10device_ptrIjEEEENSB_INSC_IfEEEEiNS9_4plusIvEEiEEDaPvRmT3_T4_T5_mT6_P12ihipStream_tbENKUlT_T0_E_clISt17integral_constantIbLb1EESV_IbLb0EEEEDaSR_SS_EUlSR_E_NS1_11comp_targetILNS1_3genE5ELNS1_11target_archE942ELNS1_3gpuE9ELNS1_3repE0EEENS1_30default_config_static_selectorELNS0_4arch9wavefront6targetE1EEEvT1_: ; @_ZN7rocprim17ROCPRIM_400000_NS6detail17trampoline_kernelINS0_14default_configENS1_20scan_config_selectorIiEEZZNS1_9scan_implILNS1_25lookback_scan_determinismE0ELb1ELb1ES3_N6thrust23THRUST_200600_302600_NS6detail15normal_iteratorINS9_10device_ptrIjEEEENSB_INSC_IfEEEEiNS9_4plusIvEEiEEDaPvRmT3_T4_T5_mT6_P12ihipStream_tbENKUlT_T0_E_clISt17integral_constantIbLb1EESV_IbLb0EEEEDaSR_SS_EUlSR_E_NS1_11comp_targetILNS1_3genE5ELNS1_11target_archE942ELNS1_3gpuE9ELNS1_3repE0EEENS1_30default_config_static_selectorELNS0_4arch9wavefront6targetE1EEEvT1_
; %bb.0:
	.section	.rodata,"a",@progbits
	.p2align	6, 0x0
	.amdhsa_kernel _ZN7rocprim17ROCPRIM_400000_NS6detail17trampoline_kernelINS0_14default_configENS1_20scan_config_selectorIiEEZZNS1_9scan_implILNS1_25lookback_scan_determinismE0ELb1ELb1ES3_N6thrust23THRUST_200600_302600_NS6detail15normal_iteratorINS9_10device_ptrIjEEEENSB_INSC_IfEEEEiNS9_4plusIvEEiEEDaPvRmT3_T4_T5_mT6_P12ihipStream_tbENKUlT_T0_E_clISt17integral_constantIbLb1EESV_IbLb0EEEEDaSR_SS_EUlSR_E_NS1_11comp_targetILNS1_3genE5ELNS1_11target_archE942ELNS1_3gpuE9ELNS1_3repE0EEENS1_30default_config_static_selectorELNS0_4arch9wavefront6targetE1EEEvT1_
		.amdhsa_group_segment_fixed_size 0
		.amdhsa_private_segment_fixed_size 0
		.amdhsa_kernarg_size 96
		.amdhsa_user_sgpr_count 6
		.amdhsa_user_sgpr_private_segment_buffer 1
		.amdhsa_user_sgpr_dispatch_ptr 0
		.amdhsa_user_sgpr_queue_ptr 0
		.amdhsa_user_sgpr_kernarg_segment_ptr 1
		.amdhsa_user_sgpr_dispatch_id 0
		.amdhsa_user_sgpr_flat_scratch_init 0
		.amdhsa_user_sgpr_kernarg_preload_length 0
		.amdhsa_user_sgpr_kernarg_preload_offset 0
		.amdhsa_user_sgpr_private_segment_size 0
		.amdhsa_uses_dynamic_stack 0
		.amdhsa_system_sgpr_private_segment_wavefront_offset 0
		.amdhsa_system_sgpr_workgroup_id_x 1
		.amdhsa_system_sgpr_workgroup_id_y 0
		.amdhsa_system_sgpr_workgroup_id_z 0
		.amdhsa_system_sgpr_workgroup_info 0
		.amdhsa_system_vgpr_workitem_id 0
		.amdhsa_next_free_vgpr 1
		.amdhsa_next_free_sgpr 0
		.amdhsa_accum_offset 4
		.amdhsa_reserve_vcc 0
		.amdhsa_reserve_flat_scratch 0
		.amdhsa_float_round_mode_32 0
		.amdhsa_float_round_mode_16_64 0
		.amdhsa_float_denorm_mode_32 3
		.amdhsa_float_denorm_mode_16_64 3
		.amdhsa_dx10_clamp 1
		.amdhsa_ieee_mode 1
		.amdhsa_fp16_overflow 0
		.amdhsa_tg_split 0
		.amdhsa_exception_fp_ieee_invalid_op 0
		.amdhsa_exception_fp_denorm_src 0
		.amdhsa_exception_fp_ieee_div_zero 0
		.amdhsa_exception_fp_ieee_overflow 0
		.amdhsa_exception_fp_ieee_underflow 0
		.amdhsa_exception_fp_ieee_inexact 0
		.amdhsa_exception_int_div_zero 0
	.end_amdhsa_kernel
	.section	.text._ZN7rocprim17ROCPRIM_400000_NS6detail17trampoline_kernelINS0_14default_configENS1_20scan_config_selectorIiEEZZNS1_9scan_implILNS1_25lookback_scan_determinismE0ELb1ELb1ES3_N6thrust23THRUST_200600_302600_NS6detail15normal_iteratorINS9_10device_ptrIjEEEENSB_INSC_IfEEEEiNS9_4plusIvEEiEEDaPvRmT3_T4_T5_mT6_P12ihipStream_tbENKUlT_T0_E_clISt17integral_constantIbLb1EESV_IbLb0EEEEDaSR_SS_EUlSR_E_NS1_11comp_targetILNS1_3genE5ELNS1_11target_archE942ELNS1_3gpuE9ELNS1_3repE0EEENS1_30default_config_static_selectorELNS0_4arch9wavefront6targetE1EEEvT1_,"axG",@progbits,_ZN7rocprim17ROCPRIM_400000_NS6detail17trampoline_kernelINS0_14default_configENS1_20scan_config_selectorIiEEZZNS1_9scan_implILNS1_25lookback_scan_determinismE0ELb1ELb1ES3_N6thrust23THRUST_200600_302600_NS6detail15normal_iteratorINS9_10device_ptrIjEEEENSB_INSC_IfEEEEiNS9_4plusIvEEiEEDaPvRmT3_T4_T5_mT6_P12ihipStream_tbENKUlT_T0_E_clISt17integral_constantIbLb1EESV_IbLb0EEEEDaSR_SS_EUlSR_E_NS1_11comp_targetILNS1_3genE5ELNS1_11target_archE942ELNS1_3gpuE9ELNS1_3repE0EEENS1_30default_config_static_selectorELNS0_4arch9wavefront6targetE1EEEvT1_,comdat
.Lfunc_end6197:
	.size	_ZN7rocprim17ROCPRIM_400000_NS6detail17trampoline_kernelINS0_14default_configENS1_20scan_config_selectorIiEEZZNS1_9scan_implILNS1_25lookback_scan_determinismE0ELb1ELb1ES3_N6thrust23THRUST_200600_302600_NS6detail15normal_iteratorINS9_10device_ptrIjEEEENSB_INSC_IfEEEEiNS9_4plusIvEEiEEDaPvRmT3_T4_T5_mT6_P12ihipStream_tbENKUlT_T0_E_clISt17integral_constantIbLb1EESV_IbLb0EEEEDaSR_SS_EUlSR_E_NS1_11comp_targetILNS1_3genE5ELNS1_11target_archE942ELNS1_3gpuE9ELNS1_3repE0EEENS1_30default_config_static_selectorELNS0_4arch9wavefront6targetE1EEEvT1_, .Lfunc_end6197-_ZN7rocprim17ROCPRIM_400000_NS6detail17trampoline_kernelINS0_14default_configENS1_20scan_config_selectorIiEEZZNS1_9scan_implILNS1_25lookback_scan_determinismE0ELb1ELb1ES3_N6thrust23THRUST_200600_302600_NS6detail15normal_iteratorINS9_10device_ptrIjEEEENSB_INSC_IfEEEEiNS9_4plusIvEEiEEDaPvRmT3_T4_T5_mT6_P12ihipStream_tbENKUlT_T0_E_clISt17integral_constantIbLb1EESV_IbLb0EEEEDaSR_SS_EUlSR_E_NS1_11comp_targetILNS1_3genE5ELNS1_11target_archE942ELNS1_3gpuE9ELNS1_3repE0EEENS1_30default_config_static_selectorELNS0_4arch9wavefront6targetE1EEEvT1_
                                        ; -- End function
	.section	.AMDGPU.csdata,"",@progbits
; Kernel info:
; codeLenInByte = 0
; NumSgprs: 4
; NumVgprs: 0
; NumAgprs: 0
; TotalNumVgprs: 0
; ScratchSize: 0
; MemoryBound: 0
; FloatMode: 240
; IeeeMode: 1
; LDSByteSize: 0 bytes/workgroup (compile time only)
; SGPRBlocks: 0
; VGPRBlocks: 0
; NumSGPRsForWavesPerEU: 4
; NumVGPRsForWavesPerEU: 1
; AccumOffset: 4
; Occupancy: 8
; WaveLimiterHint : 0
; COMPUTE_PGM_RSRC2:SCRATCH_EN: 0
; COMPUTE_PGM_RSRC2:USER_SGPR: 6
; COMPUTE_PGM_RSRC2:TRAP_HANDLER: 0
; COMPUTE_PGM_RSRC2:TGID_X_EN: 1
; COMPUTE_PGM_RSRC2:TGID_Y_EN: 0
; COMPUTE_PGM_RSRC2:TGID_Z_EN: 0
; COMPUTE_PGM_RSRC2:TIDIG_COMP_CNT: 0
; COMPUTE_PGM_RSRC3_GFX90A:ACCUM_OFFSET: 0
; COMPUTE_PGM_RSRC3_GFX90A:TG_SPLIT: 0
	.section	.text._ZN7rocprim17ROCPRIM_400000_NS6detail17trampoline_kernelINS0_14default_configENS1_20scan_config_selectorIiEEZZNS1_9scan_implILNS1_25lookback_scan_determinismE0ELb1ELb1ES3_N6thrust23THRUST_200600_302600_NS6detail15normal_iteratorINS9_10device_ptrIjEEEENSB_INSC_IfEEEEiNS9_4plusIvEEiEEDaPvRmT3_T4_T5_mT6_P12ihipStream_tbENKUlT_T0_E_clISt17integral_constantIbLb1EESV_IbLb0EEEEDaSR_SS_EUlSR_E_NS1_11comp_targetILNS1_3genE4ELNS1_11target_archE910ELNS1_3gpuE8ELNS1_3repE0EEENS1_30default_config_static_selectorELNS0_4arch9wavefront6targetE1EEEvT1_,"axG",@progbits,_ZN7rocprim17ROCPRIM_400000_NS6detail17trampoline_kernelINS0_14default_configENS1_20scan_config_selectorIiEEZZNS1_9scan_implILNS1_25lookback_scan_determinismE0ELb1ELb1ES3_N6thrust23THRUST_200600_302600_NS6detail15normal_iteratorINS9_10device_ptrIjEEEENSB_INSC_IfEEEEiNS9_4plusIvEEiEEDaPvRmT3_T4_T5_mT6_P12ihipStream_tbENKUlT_T0_E_clISt17integral_constantIbLb1EESV_IbLb0EEEEDaSR_SS_EUlSR_E_NS1_11comp_targetILNS1_3genE4ELNS1_11target_archE910ELNS1_3gpuE8ELNS1_3repE0EEENS1_30default_config_static_selectorELNS0_4arch9wavefront6targetE1EEEvT1_,comdat
	.protected	_ZN7rocprim17ROCPRIM_400000_NS6detail17trampoline_kernelINS0_14default_configENS1_20scan_config_selectorIiEEZZNS1_9scan_implILNS1_25lookback_scan_determinismE0ELb1ELb1ES3_N6thrust23THRUST_200600_302600_NS6detail15normal_iteratorINS9_10device_ptrIjEEEENSB_INSC_IfEEEEiNS9_4plusIvEEiEEDaPvRmT3_T4_T5_mT6_P12ihipStream_tbENKUlT_T0_E_clISt17integral_constantIbLb1EESV_IbLb0EEEEDaSR_SS_EUlSR_E_NS1_11comp_targetILNS1_3genE4ELNS1_11target_archE910ELNS1_3gpuE8ELNS1_3repE0EEENS1_30default_config_static_selectorELNS0_4arch9wavefront6targetE1EEEvT1_ ; -- Begin function _ZN7rocprim17ROCPRIM_400000_NS6detail17trampoline_kernelINS0_14default_configENS1_20scan_config_selectorIiEEZZNS1_9scan_implILNS1_25lookback_scan_determinismE0ELb1ELb1ES3_N6thrust23THRUST_200600_302600_NS6detail15normal_iteratorINS9_10device_ptrIjEEEENSB_INSC_IfEEEEiNS9_4plusIvEEiEEDaPvRmT3_T4_T5_mT6_P12ihipStream_tbENKUlT_T0_E_clISt17integral_constantIbLb1EESV_IbLb0EEEEDaSR_SS_EUlSR_E_NS1_11comp_targetILNS1_3genE4ELNS1_11target_archE910ELNS1_3gpuE8ELNS1_3repE0EEENS1_30default_config_static_selectorELNS0_4arch9wavefront6targetE1EEEvT1_
	.globl	_ZN7rocprim17ROCPRIM_400000_NS6detail17trampoline_kernelINS0_14default_configENS1_20scan_config_selectorIiEEZZNS1_9scan_implILNS1_25lookback_scan_determinismE0ELb1ELb1ES3_N6thrust23THRUST_200600_302600_NS6detail15normal_iteratorINS9_10device_ptrIjEEEENSB_INSC_IfEEEEiNS9_4plusIvEEiEEDaPvRmT3_T4_T5_mT6_P12ihipStream_tbENKUlT_T0_E_clISt17integral_constantIbLb1EESV_IbLb0EEEEDaSR_SS_EUlSR_E_NS1_11comp_targetILNS1_3genE4ELNS1_11target_archE910ELNS1_3gpuE8ELNS1_3repE0EEENS1_30default_config_static_selectorELNS0_4arch9wavefront6targetE1EEEvT1_
	.p2align	8
	.type	_ZN7rocprim17ROCPRIM_400000_NS6detail17trampoline_kernelINS0_14default_configENS1_20scan_config_selectorIiEEZZNS1_9scan_implILNS1_25lookback_scan_determinismE0ELb1ELb1ES3_N6thrust23THRUST_200600_302600_NS6detail15normal_iteratorINS9_10device_ptrIjEEEENSB_INSC_IfEEEEiNS9_4plusIvEEiEEDaPvRmT3_T4_T5_mT6_P12ihipStream_tbENKUlT_T0_E_clISt17integral_constantIbLb1EESV_IbLb0EEEEDaSR_SS_EUlSR_E_NS1_11comp_targetILNS1_3genE4ELNS1_11target_archE910ELNS1_3gpuE8ELNS1_3repE0EEENS1_30default_config_static_selectorELNS0_4arch9wavefront6targetE1EEEvT1_,@function
_ZN7rocprim17ROCPRIM_400000_NS6detail17trampoline_kernelINS0_14default_configENS1_20scan_config_selectorIiEEZZNS1_9scan_implILNS1_25lookback_scan_determinismE0ELb1ELb1ES3_N6thrust23THRUST_200600_302600_NS6detail15normal_iteratorINS9_10device_ptrIjEEEENSB_INSC_IfEEEEiNS9_4plusIvEEiEEDaPvRmT3_T4_T5_mT6_P12ihipStream_tbENKUlT_T0_E_clISt17integral_constantIbLb1EESV_IbLb0EEEEDaSR_SS_EUlSR_E_NS1_11comp_targetILNS1_3genE4ELNS1_11target_archE910ELNS1_3gpuE8ELNS1_3repE0EEENS1_30default_config_static_selectorELNS0_4arch9wavefront6targetE1EEEvT1_: ; @_ZN7rocprim17ROCPRIM_400000_NS6detail17trampoline_kernelINS0_14default_configENS1_20scan_config_selectorIiEEZZNS1_9scan_implILNS1_25lookback_scan_determinismE0ELb1ELb1ES3_N6thrust23THRUST_200600_302600_NS6detail15normal_iteratorINS9_10device_ptrIjEEEENSB_INSC_IfEEEEiNS9_4plusIvEEiEEDaPvRmT3_T4_T5_mT6_P12ihipStream_tbENKUlT_T0_E_clISt17integral_constantIbLb1EESV_IbLb0EEEEDaSR_SS_EUlSR_E_NS1_11comp_targetILNS1_3genE4ELNS1_11target_archE910ELNS1_3gpuE8ELNS1_3repE0EEENS1_30default_config_static_selectorELNS0_4arch9wavefront6targetE1EEEvT1_
; %bb.0:
	s_load_dwordx8 s[8:15], s[4:5], 0x0
	s_load_dword s1, s[4:5], 0x30
	s_mul_i32 s0, s6, 0x500
	v_lshlrev_b32_e32 v22, 2, v0
	s_waitcnt lgkmcnt(0)
	s_lshl_b64 s[10:11], s[10:11], 2
	s_add_u32 s27, s8, s10
	s_addc_u32 s28, s9, s11
	s_add_i32 s2, s1, -1
	s_mul_i32 s3, s2, 0x500
	s_sub_u32 s7, s14, s3
	s_subb_u32 s26, s15, 0
	s_mov_b32 s1, 0
	s_cmp_lg_u32 s6, s2
	s_cselect_b64 s[8:9], -1, 0
	s_lshl_b64 s[14:15], s[0:1], 2
	s_add_u32 s2, s27, s14
	s_addc_u32 s3, s28, s15
	s_mov_b64 s[0:1], -1
	s_and_b64 vcc, exec, s[8:9]
	s_cbranch_vccz .LBB6198_2
; %bb.1:
	v_mov_b32_e32 v1, s3
	v_add_co_u32_e32 v2, vcc, s2, v22
	v_addc_co_u32_e32 v3, vcc, 0, v1, vcc
	flat_load_dword v1, v[2:3]
	flat_load_dword v4, v[2:3] offset:512
	flat_load_dword v5, v[2:3] offset:1024
	;; [unrolled: 1-line block ×7, first 2 shown]
	v_add_co_u32_e32 v2, vcc, 0x1000, v2
	v_addc_co_u32_e32 v3, vcc, 0, v3, vcc
	flat_load_dword v11, v[2:3]
	flat_load_dword v12, v[2:3] offset:512
	s_mov_b64 s[0:1], 0
	s_waitcnt vmcnt(0) lgkmcnt(0)
	ds_write2st64_b32 v22, v1, v4 offset1:2
	ds_write2st64_b32 v22, v5, v6 offset0:4 offset1:6
	ds_write2st64_b32 v22, v7, v8 offset0:8 offset1:10
	ds_write2st64_b32 v22, v9, v10 offset0:12 offset1:14
	ds_write2st64_b32 v22, v11, v12 offset0:16 offset1:18
	s_waitcnt lgkmcnt(0)
	s_barrier
.LBB6198_2:
	s_load_dwordx2 s[24:25], s[4:5], 0x28
	s_andn2_b64 vcc, exec, s[0:1]
	v_cmp_gt_u32_e64 s[0:1], s7, v0
	s_cbranch_vccnz .LBB6198_24
; %bb.3:
	v_pk_mov_b32 v[2:3], s[2:3], s[2:3] op_sel:[0,1]
	flat_load_dword v1, v[2:3]
	s_waitcnt vmcnt(0) lgkmcnt(0)
	v_mov_b32_e32 v2, v1
	v_mov_b32_e32 v3, v1
	;; [unrolled: 1-line block ×9, first 2 shown]
	s_and_saveexec_b64 s[16:17], s[0:1]
	s_cbranch_execz .LBB6198_5
; %bb.4:
	v_mov_b32_e32 v11, s3
	v_add_co_u32_e32 v10, vcc, s2, v22
	v_addc_co_u32_e32 v11, vcc, 0, v11, vcc
	flat_load_dword v10, v[10:11]
.LBB6198_5:
	s_or_b64 exec, exec, s[16:17]
	v_or_b32_e32 v11, 0x80, v0
	v_cmp_gt_u32_e32 vcc, s7, v11
	s_and_saveexec_b64 s[0:1], vcc
	s_cbranch_execz .LBB6198_7
; %bb.6:
	v_mov_b32_e32 v1, s3
	v_add_co_u32_e32 v12, vcc, s2, v22
	v_addc_co_u32_e32 v13, vcc, 0, v1, vcc
	flat_load_dword v1, v[12:13] offset:512
.LBB6198_7:
	s_or_b64 exec, exec, s[0:1]
	v_or_b32_e32 v11, 0x100, v0
	v_cmp_gt_u32_e32 vcc, s7, v11
	s_and_saveexec_b64 s[0:1], vcc
	s_cbranch_execz .LBB6198_9
; %bb.8:
	v_mov_b32_e32 v2, s3
	v_add_co_u32_e32 v12, vcc, s2, v22
	v_addc_co_u32_e32 v13, vcc, 0, v2, vcc
	flat_load_dword v2, v[12:13] offset:1024
.LBB6198_9:
	;; [unrolled: 11-line block ×7, first 2 shown]
	s_or_b64 exec, exec, s[0:1]
	v_or_b32_e32 v11, 0x400, v0
	v_cmp_gt_u32_e32 vcc, s7, v11
	s_and_saveexec_b64 s[0:1], vcc
	s_cbranch_execz .LBB6198_21
; %bb.20:
	v_lshlrev_b32_e32 v8, 2, v11
	v_mov_b32_e32 v11, s3
	v_add_co_u32_e32 v12, vcc, s2, v8
	v_addc_co_u32_e32 v13, vcc, 0, v11, vcc
	flat_load_dword v8, v[12:13]
.LBB6198_21:
	s_or_b64 exec, exec, s[0:1]
	v_or_b32_e32 v11, 0x480, v0
	v_cmp_gt_u32_e32 vcc, s7, v11
	s_and_saveexec_b64 s[0:1], vcc
	s_cbranch_execz .LBB6198_23
; %bb.22:
	v_lshlrev_b32_e32 v9, 2, v11
	v_mov_b32_e32 v11, s3
	v_add_co_u32_e32 v12, vcc, s2, v9
	v_addc_co_u32_e32 v13, vcc, 0, v11, vcc
	flat_load_dword v9, v[12:13]
.LBB6198_23:
	s_or_b64 exec, exec, s[0:1]
	s_waitcnt vmcnt(0) lgkmcnt(0)
	ds_write2st64_b32 v22, v10, v1 offset1:2
	ds_write2st64_b32 v22, v2, v3 offset0:4 offset1:6
	ds_write2st64_b32 v22, v4, v5 offset0:8 offset1:10
	;; [unrolled: 1-line block ×4, first 2 shown]
	s_waitcnt lgkmcnt(0)
	s_barrier
.LBB6198_24:
	v_mul_u32_u24_e32 v23, 10, v0
	v_lshlrev_b32_e32 v1, 2, v23
	s_waitcnt lgkmcnt(0)
	ds_read2_b64 v[16:19], v1 offset1:1
	ds_read2_b64 v[12:15], v1 offset0:2 offset1:3
	ds_read_b64 v[20:21], v1 offset:32
	s_cmp_lg_u32 s6, 0
	v_lshrrev_b32_e32 v24, 5, v0
	s_waitcnt lgkmcnt(2)
	v_add_u32_e32 v2, v17, v16
	v_add3_u32 v25, v2, v18, v19
	v_cmp_gt_u32_e32 vcc, 64, v0
	s_waitcnt lgkmcnt(0)
	s_barrier
	s_cbranch_scc0 .LBB6198_53
; %bb.25:
	v_add3_u32 v2, v25, v12, v13
	v_add3_u32 v2, v2, v14, v15
	;; [unrolled: 1-line block ×3, first 2 shown]
	v_add_lshl_u32 v3, v24, v0, 2
	ds_write_b32 v3, v2
	s_waitcnt lgkmcnt(0)
	s_barrier
	s_and_saveexec_b64 s[2:3], vcc
	s_cbranch_execz .LBB6198_27
; %bb.26:
	v_lshlrev_b32_e32 v3, 1, v0
	v_lshrrev_b32_e32 v4, 4, v0
	v_add_lshl_u32 v3, v4, v3, 2
	ds_read2_b32 v[4:5], v3 offset1:1
	v_mbcnt_lo_u32_b32 v6, -1, 0
	v_mbcnt_hi_u32_b32 v6, -1, v6
	v_and_b32_e32 v7, 15, v6
	v_cmp_ne_u32_e64 s[0:1], 0, v7
	s_waitcnt lgkmcnt(0)
	v_add_u32_e32 v5, v5, v4
	; wave barrier
	s_nop 1
	v_mov_b32_dpp v8, v5 row_shr:1 row_mask:0xf bank_mask:0xf
	v_cndmask_b32_e64 v8, 0, v8, s[0:1]
	v_add_u32_e32 v5, v8, v5
	v_cmp_lt_u32_e64 s[0:1], 1, v7
	s_nop 0
	v_mov_b32_dpp v8, v5 row_shr:2 row_mask:0xf bank_mask:0xf
	v_cndmask_b32_e64 v8, 0, v8, s[0:1]
	v_add_u32_e32 v5, v5, v8
	v_cmp_lt_u32_e64 s[0:1], 3, v7
	;; [unrolled: 5-line block ×3, first 2 shown]
	s_nop 0
	v_mov_b32_dpp v8, v5 row_shr:8 row_mask:0xf bank_mask:0xf
	v_cndmask_b32_e64 v7, 0, v8, s[0:1]
	v_add_u32_e32 v5, v5, v7
	v_bfe_i32 v8, v6, 4, 1
	v_cmp_lt_u32_e64 s[0:1], 31, v6
	v_mov_b32_dpp v7, v5 row_bcast:15 row_mask:0xf bank_mask:0xf
	v_and_b32_e32 v7, v8, v7
	v_add_u32_e32 v5, v5, v7
	v_and_b32_e32 v8, 64, v6
	s_nop 0
	v_mov_b32_dpp v7, v5 row_bcast:31 row_mask:0xf bank_mask:0xf
	v_cndmask_b32_e64 v7, 0, v7, s[0:1]
	v_add_u32_e32 v5, v5, v7
	v_add_u32_e32 v7, -1, v6
	v_cmp_lt_i32_e64 s[0:1], v7, v8
	v_cndmask_b32_e64 v6, v7, v6, s[0:1]
	v_lshlrev_b32_e32 v6, 2, v6
	ds_bpermute_b32 v5, v6, v5
	v_cmp_eq_u32_e64 s[0:1], 0, v0
	s_waitcnt lgkmcnt(0)
	v_add_u32_e32 v4, v5, v4
	v_cndmask_b32_e64 v2, v4, v2, s[0:1]
	ds_write_b32 v3, v2
	; wave barrier
	ds_read_b32 v4, v3 offset:4
	s_waitcnt lgkmcnt(0)
	v_add_u32_e32 v2, v4, v2
	ds_write_b32 v3, v2 offset:4
.LBB6198_27:
	s_or_b64 exec, exec, s[2:3]
	v_cmp_eq_u32_e64 s[0:1], 0, v0
	v_cmp_ne_u32_e64 s[2:3], 0, v0
	v_mov_b32_e32 v26, 0
	s_waitcnt lgkmcnt(0)
	s_barrier
	s_and_saveexec_b64 s[16:17], s[2:3]
	s_cbranch_execz .LBB6198_29
; %bb.28:
	v_add_u32_e32 v2, -1, v0
	v_lshrrev_b32_e32 v3, 5, v2
	v_add_lshl_u32 v2, v3, v2, 2
	ds_read_b32 v26, v2
.LBB6198_29:
	s_or_b64 exec, exec, s[16:17]
	s_and_saveexec_b64 s[16:17], vcc
	s_cbranch_execz .LBB6198_52
; %bb.30:
	v_mov_b32_e32 v11, 0
	ds_read_b32 v2, v11 offset:520
	v_mbcnt_lo_u32_b32 v3, -1, 0
	v_mbcnt_hi_u32_b32 v5, -1, v3
	s_mov_b32 s21, 0
	v_cmp_eq_u32_e64 s[2:3], 0, v5
	s_and_saveexec_b64 s[18:19], s[2:3]
	s_cbranch_execz .LBB6198_32
; %bb.31:
	s_add_i32 s20, s6, 64
	s_lshl_b64 s[20:21], s[20:21], 3
	s_add_u32 s20, s24, s20
	v_mov_b32_e32 v3, 1
	s_addc_u32 s21, s25, s21
	s_waitcnt lgkmcnt(0)
	global_store_dwordx2 v11, v[2:3], s[20:21]
.LBB6198_32:
	s_or_b64 exec, exec, s[18:19]
	v_xad_u32 v4, v5, -1, s6
	v_add_u32_e32 v10, 64, v4
	v_lshlrev_b64 v[6:7], 3, v[10:11]
	v_mov_b32_e32 v3, s25
	v_add_co_u32_e32 v6, vcc, s24, v6
	v_addc_co_u32_e32 v7, vcc, v3, v7, vcc
	global_load_dwordx2 v[8:9], v[6:7], off glc
	s_waitcnt vmcnt(0)
	v_cmp_eq_u16_sdwa s[20:21], v9, v11 src0_sel:BYTE_0 src1_sel:DWORD
	s_and_saveexec_b64 s[18:19], s[20:21]
	s_cbranch_execz .LBB6198_38
; %bb.33:
	s_mov_b32 s22, 1
	s_mov_b64 s[20:21], 0
	v_mov_b32_e32 v3, 0
.LBB6198_34:                            ; =>This Loop Header: Depth=1
                                        ;     Child Loop BB6198_35 Depth 2
	s_max_u32 s23, s22, 1
.LBB6198_35:                            ;   Parent Loop BB6198_34 Depth=1
                                        ; =>  This Inner Loop Header: Depth=2
	s_add_i32 s23, s23, -1
	s_cmp_eq_u32 s23, 0
	s_sleep 1
	s_cbranch_scc0 .LBB6198_35
; %bb.36:                               ;   in Loop: Header=BB6198_34 Depth=1
	global_load_dwordx2 v[8:9], v[6:7], off glc
	s_cmp_lt_u32 s22, 32
	s_cselect_b64 s[30:31], -1, 0
	s_cmp_lg_u64 s[30:31], 0
	s_addc_u32 s22, s22, 0
	s_waitcnt vmcnt(0)
	v_cmp_ne_u16_sdwa s[30:31], v9, v3 src0_sel:BYTE_0 src1_sel:DWORD
	s_or_b64 s[20:21], s[30:31], s[20:21]
	s_andn2_b64 exec, exec, s[20:21]
	s_cbranch_execnz .LBB6198_34
; %bb.37:
	s_or_b64 exec, exec, s[20:21]
.LBB6198_38:
	s_or_b64 exec, exec, s[18:19]
	v_and_b32_e32 v27, 63, v5
	v_mov_b32_e32 v3, 2
	v_cmp_ne_u32_e32 vcc, 63, v27
	v_cmp_eq_u16_sdwa s[18:19], v9, v3 src0_sel:BYTE_0 src1_sel:DWORD
	v_lshlrev_b64 v[6:7], v5, -1
	v_addc_co_u32_e32 v28, vcc, 0, v5, vcc
	v_and_b32_e32 v10, s19, v7
	v_lshlrev_b32_e32 v28, 2, v28
	v_or_b32_e32 v10, 0x80000000, v10
	ds_bpermute_b32 v29, v28, v8
	v_and_b32_e32 v11, s18, v6
	v_ffbl_b32_e32 v10, v10
	v_add_u32_e32 v10, 32, v10
	v_ffbl_b32_e32 v11, v11
	v_min_u32_e32 v10, v11, v10
	v_cmp_lt_u32_e32 vcc, v27, v10
	s_waitcnt lgkmcnt(0)
	v_cndmask_b32_e32 v11, 0, v29, vcc
	v_cmp_gt_u32_e32 vcc, 62, v27
	v_add_u32_e32 v8, v11, v8
	v_cndmask_b32_e64 v11, 0, 1, vcc
	v_lshlrev_b32_e32 v11, 1, v11
	v_add_lshl_u32 v29, v11, v5, 2
	ds_bpermute_b32 v11, v29, v8
	v_add_u32_e32 v30, 2, v27
	v_cmp_le_u32_e32 vcc, v30, v10
	v_add_u32_e32 v32, 4, v27
	v_add_u32_e32 v34, 8, v27
	s_waitcnt lgkmcnt(0)
	v_cndmask_b32_e32 v11, 0, v11, vcc
	v_cmp_gt_u32_e32 vcc, 60, v27
	v_add_u32_e32 v8, v8, v11
	v_cndmask_b32_e64 v11, 0, 1, vcc
	v_lshlrev_b32_e32 v11, 2, v11
	v_add_lshl_u32 v31, v11, v5, 2
	ds_bpermute_b32 v11, v31, v8
	v_cmp_le_u32_e32 vcc, v32, v10
	v_add_u32_e32 v37, 16, v27
	v_add_u32_e32 v39, 32, v27
	s_waitcnt lgkmcnt(0)
	v_cndmask_b32_e32 v11, 0, v11, vcc
	v_cmp_gt_u32_e32 vcc, 56, v27
	v_add_u32_e32 v8, v8, v11
	v_cndmask_b32_e64 v11, 0, 1, vcc
	v_lshlrev_b32_e32 v11, 3, v11
	v_add_lshl_u32 v33, v11, v5, 2
	ds_bpermute_b32 v11, v33, v8
	v_cmp_le_u32_e32 vcc, v34, v10
	s_waitcnt lgkmcnt(0)
	v_cndmask_b32_e32 v11, 0, v11, vcc
	v_cmp_gt_u32_e32 vcc, 48, v27
	v_add_u32_e32 v8, v8, v11
	v_cndmask_b32_e64 v11, 0, 1, vcc
	v_lshlrev_b32_e32 v11, 4, v11
	v_add_lshl_u32 v36, v11, v5, 2
	ds_bpermute_b32 v11, v36, v8
	v_cmp_le_u32_e32 vcc, v37, v10
	;; [unrolled: 9-line block ×3, first 2 shown]
	s_waitcnt lgkmcnt(0)
	v_cndmask_b32_e32 v5, 0, v5, vcc
	v_add_u32_e32 v8, v8, v5
	v_mov_b32_e32 v5, 0
	s_branch .LBB6198_40
.LBB6198_39:                            ;   in Loop: Header=BB6198_40 Depth=1
	s_or_b64 exec, exec, s[18:19]
	v_cmp_eq_u16_sdwa s[18:19], v9, v3 src0_sel:BYTE_0 src1_sel:DWORD
	v_and_b32_e32 v10, s19, v7
	v_or_b32_e32 v10, 0x80000000, v10
	ds_bpermute_b32 v40, v28, v8
	v_and_b32_e32 v11, s18, v6
	v_ffbl_b32_e32 v10, v10
	v_add_u32_e32 v10, 32, v10
	v_ffbl_b32_e32 v11, v11
	v_min_u32_e32 v10, v11, v10
	v_cmp_lt_u32_e32 vcc, v27, v10
	s_waitcnt lgkmcnt(0)
	v_cndmask_b32_e32 v11, 0, v40, vcc
	v_add_u32_e32 v8, v11, v8
	ds_bpermute_b32 v11, v29, v8
	v_cmp_le_u32_e32 vcc, v30, v10
	v_subrev_u32_e32 v4, 64, v4
	s_waitcnt lgkmcnt(0)
	v_cndmask_b32_e32 v11, 0, v11, vcc
	v_add_u32_e32 v8, v8, v11
	ds_bpermute_b32 v11, v31, v8
	v_cmp_le_u32_e32 vcc, v32, v10
	s_waitcnt lgkmcnt(0)
	v_cndmask_b32_e32 v11, 0, v11, vcc
	v_add_u32_e32 v8, v8, v11
	ds_bpermute_b32 v11, v33, v8
	v_cmp_le_u32_e32 vcc, v34, v10
	;; [unrolled: 5-line block ×4, first 2 shown]
	s_waitcnt lgkmcnt(0)
	v_cndmask_b32_e32 v10, 0, v11, vcc
	v_add3_u32 v8, v10, v35, v8
.LBB6198_40:                            ; =>This Loop Header: Depth=1
                                        ;     Child Loop BB6198_43 Depth 2
                                        ;       Child Loop BB6198_44 Depth 3
	v_cmp_ne_u16_sdwa s[18:19], v9, v3 src0_sel:BYTE_0 src1_sel:DWORD
	v_cndmask_b32_e64 v9, 0, 1, s[18:19]
	;;#ASMSTART
	;;#ASMEND
	v_cmp_ne_u32_e32 vcc, 0, v9
	s_cmp_lg_u64 vcc, exec
	v_mov_b32_e32 v35, v8
	s_cbranch_scc1 .LBB6198_47
; %bb.41:                               ;   in Loop: Header=BB6198_40 Depth=1
	v_lshlrev_b64 v[8:9], 3, v[4:5]
	v_mov_b32_e32 v11, s25
	v_add_co_u32_e32 v10, vcc, s24, v8
	v_addc_co_u32_e32 v11, vcc, v11, v9, vcc
	global_load_dwordx2 v[8:9], v[10:11], off glc
	s_waitcnt vmcnt(0)
	v_cmp_eq_u16_sdwa s[20:21], v9, v5 src0_sel:BYTE_0 src1_sel:DWORD
	s_and_saveexec_b64 s[18:19], s[20:21]
	s_cbranch_execz .LBB6198_39
; %bb.42:                               ;   in Loop: Header=BB6198_40 Depth=1
	s_mov_b32 s22, 1
	s_mov_b64 s[20:21], 0
.LBB6198_43:                            ;   Parent Loop BB6198_40 Depth=1
                                        ; =>  This Loop Header: Depth=2
                                        ;       Child Loop BB6198_44 Depth 3
	s_max_u32 s23, s22, 1
.LBB6198_44:                            ;   Parent Loop BB6198_40 Depth=1
                                        ;     Parent Loop BB6198_43 Depth=2
                                        ; =>    This Inner Loop Header: Depth=3
	s_add_i32 s23, s23, -1
	s_cmp_eq_u32 s23, 0
	s_sleep 1
	s_cbranch_scc0 .LBB6198_44
; %bb.45:                               ;   in Loop: Header=BB6198_43 Depth=2
	global_load_dwordx2 v[8:9], v[10:11], off glc
	s_cmp_lt_u32 s22, 32
	s_cselect_b64 s[30:31], -1, 0
	s_cmp_lg_u64 s[30:31], 0
	s_addc_u32 s22, s22, 0
	s_waitcnt vmcnt(0)
	v_cmp_ne_u16_sdwa s[30:31], v9, v5 src0_sel:BYTE_0 src1_sel:DWORD
	s_or_b64 s[20:21], s[30:31], s[20:21]
	s_andn2_b64 exec, exec, s[20:21]
	s_cbranch_execnz .LBB6198_43
; %bb.46:                               ;   in Loop: Header=BB6198_40 Depth=1
	s_or_b64 exec, exec, s[20:21]
	s_branch .LBB6198_39
.LBB6198_47:                            ;   in Loop: Header=BB6198_40 Depth=1
                                        ; implicit-def: $vgpr8
                                        ; implicit-def: $vgpr9
	s_cbranch_execz .LBB6198_40
; %bb.48:
	s_and_saveexec_b64 s[18:19], s[2:3]
	s_cbranch_execz .LBB6198_50
; %bb.49:
	s_add_i32 s2, s6, 64
	s_mov_b32 s3, 0
	s_lshl_b64 s[2:3], s[2:3], 3
	s_add_u32 s2, s24, s2
	v_add_u32_e32 v2, v35, v2
	v_mov_b32_e32 v3, 2
	s_addc_u32 s3, s25, s3
	v_mov_b32_e32 v4, 0
	global_store_dwordx2 v4, v[2:3], s[2:3]
.LBB6198_50:
	s_or_b64 exec, exec, s[18:19]
	s_and_b64 exec, exec, s[0:1]
	s_cbranch_execz .LBB6198_52
; %bb.51:
	v_mov_b32_e32 v2, 0
	ds_write_b32 v2, v35
.LBB6198_52:
	s_or_b64 exec, exec, s[16:17]
	v_mov_b32_e32 v2, 0
	s_waitcnt lgkmcnt(0)
	s_barrier
	ds_read_b32 v2, v2
	s_waitcnt lgkmcnt(0)
	v_add_u32_e32 v2, v2, v26
	v_add_u32_e32 v3, v2, v16
	v_add_u32_e32 v4, v3, v17
	v_add_u32_e32 v5, v4, v18
	v_add_u32_e32 v6, v5, v19
	v_add_u32_e32 v7, v6, v12
	v_add_u32_e32 v8, v7, v13
	v_add_u32_e32 v9, v8, v14
	v_add_u32_e32 v10, v9, v15
	v_add_u32_e32 v11, v10, v20
	s_load_dwordx8 s[16:23], s[4:5], 0x38
	s_branch .LBB6198_63
.LBB6198_53:
                                        ; implicit-def: $vgpr2_vgpr3_vgpr4_vgpr5_vgpr6_vgpr7_vgpr8_vgpr9_vgpr10_vgpr11
	s_load_dwordx8 s[16:23], s[4:5], 0x38
	s_cbranch_execz .LBB6198_63
; %bb.54:
	s_load_dword s0, s[4:5], 0x20
	s_waitcnt lgkmcnt(0)
	s_cmp_eq_u64 s[20:21], 0
	v_mov_b32_e32 v26, s0
	s_cbranch_scc1 .LBB6198_56
; %bb.55:
	v_mov_b32_e32 v3, s28
	v_add_co_u32_e64 v2, vcc, -4, s27
	v_addc_co_u32_e32 v3, vcc, -1, v3, vcc
	v_mov_b32_e32 v4, 0
	flat_load_dword v5, v[2:3]
	global_load_dword v6, v4, s[16:17]
	s_waitcnt vmcnt(0) lgkmcnt(0)
	v_add_u32_e32 v26, v6, v5
.LBB6198_56:
	v_add3_u32 v2, v25, v12, v13
	v_add3_u32 v2, v2, v14, v15
	;; [unrolled: 1-line block ×3, first 2 shown]
	v_add_lshl_u32 v3, v24, v0, 2
	v_cmp_gt_u32_e32 vcc, 64, v0
	ds_write_b32 v3, v2
	s_waitcnt lgkmcnt(0)
	s_barrier
	s_and_saveexec_b64 s[0:1], vcc
	s_cbranch_execz .LBB6198_58
; %bb.57:
	v_lshlrev_b32_e32 v3, 1, v0
	v_lshrrev_b32_e32 v4, 4, v0
	v_add_lshl_u32 v3, v4, v3, 2
	ds_read2_b32 v[4:5], v3 offset1:1
	v_mbcnt_lo_u32_b32 v6, -1, 0
	v_mbcnt_hi_u32_b32 v6, -1, v6
	v_and_b32_e32 v7, 15, v6
	v_cmp_ne_u32_e32 vcc, 0, v7
	s_waitcnt lgkmcnt(0)
	v_add_u32_e32 v5, v5, v4
	; wave barrier
	s_nop 1
	v_mov_b32_dpp v8, v5 row_shr:1 row_mask:0xf bank_mask:0xf
	v_cndmask_b32_e32 v8, 0, v8, vcc
	v_add_u32_e32 v5, v8, v5
	v_cmp_lt_u32_e32 vcc, 1, v7
	s_nop 0
	v_mov_b32_dpp v8, v5 row_shr:2 row_mask:0xf bank_mask:0xf
	v_cndmask_b32_e32 v8, 0, v8, vcc
	v_add_u32_e32 v5, v5, v8
	v_cmp_lt_u32_e32 vcc, 3, v7
	;; [unrolled: 5-line block ×3, first 2 shown]
	s_nop 0
	v_mov_b32_dpp v8, v5 row_shr:8 row_mask:0xf bank_mask:0xf
	v_cndmask_b32_e32 v7, 0, v8, vcc
	v_add_u32_e32 v5, v5, v7
	v_bfe_i32 v8, v6, 4, 1
	v_cmp_lt_u32_e32 vcc, 31, v6
	v_mov_b32_dpp v7, v5 row_bcast:15 row_mask:0xf bank_mask:0xf
	v_and_b32_e32 v7, v8, v7
	v_add_u32_e32 v5, v5, v7
	v_and_b32_e32 v8, 64, v6
	s_nop 0
	v_mov_b32_dpp v7, v5 row_bcast:31 row_mask:0xf bank_mask:0xf
	v_cndmask_b32_e32 v7, 0, v7, vcc
	v_add_u32_e32 v5, v5, v7
	v_add_u32_e32 v7, -1, v6
	v_cmp_lt_i32_e32 vcc, v7, v8
	v_cndmask_b32_e32 v6, v7, v6, vcc
	v_lshlrev_b32_e32 v6, 2, v6
	ds_bpermute_b32 v5, v6, v5
	v_cmp_eq_u32_e32 vcc, 0, v0
	s_waitcnt lgkmcnt(0)
	v_add_u32_e32 v4, v5, v4
	v_cndmask_b32_e32 v2, v4, v2, vcc
	ds_write_b32 v3, v2
	; wave barrier
	ds_read_b32 v4, v3 offset:4
	s_waitcnt lgkmcnt(0)
	v_add_u32_e32 v2, v4, v2
	ds_write_b32 v3, v2 offset:4
.LBB6198_58:
	s_or_b64 exec, exec, s[0:1]
	v_cmp_eq_u32_e32 vcc, 0, v0
	v_cmp_ne_u32_e64 s[0:1], 0, v0
	v_mov_b32_e32 v2, v26
	s_waitcnt lgkmcnt(0)
	s_barrier
	s_and_saveexec_b64 s[2:3], s[0:1]
	s_cbranch_execz .LBB6198_60
; %bb.59:
	v_add_u32_e32 v2, -1, v0
	v_lshrrev_b32_e32 v3, 5, v2
	v_add_lshl_u32 v2, v3, v2, 2
	ds_read_b32 v2, v2
	s_waitcnt lgkmcnt(0)
	v_add_u32_e32 v2, v2, v26
.LBB6198_60:
	s_or_b64 exec, exec, s[2:3]
	v_add_u32_e32 v3, v2, v16
	v_add_u32_e32 v4, v3, v17
	v_add_u32_e32 v5, v4, v18
	v_add_u32_e32 v6, v5, v19
	v_add_u32_e32 v7, v6, v12
	v_add_u32_e32 v8, v7, v13
	v_add_u32_e32 v9, v8, v14
	v_add_u32_e32 v10, v9, v15
	v_add_u32_e32 v11, v10, v20
	s_and_saveexec_b64 s[0:1], vcc
	s_cbranch_execz .LBB6198_62
; %bb.61:
	v_mov_b32_e32 v14, 0
	ds_read_b32 v12, v14 offset:520
	v_mov_b32_e32 v13, 2
	s_waitcnt lgkmcnt(0)
	v_add_u32_e32 v12, v12, v26
	global_store_dwordx2 v14, v[12:13], s[24:25] offset:512
.LBB6198_62:
	s_or_b64 exec, exec, s[0:1]
.LBB6198_63:
	s_add_u32 s0, s12, s10
	s_addc_u32 s1, s13, s11
	s_add_u32 s2, s0, s14
	s_addc_u32 s3, s1, s15
	s_mov_b64 s[0:1], -1
	s_and_b64 vcc, exec, s[8:9]
	s_waitcnt lgkmcnt(0)
	s_barrier
	s_cbranch_vccz .LBB6198_65
; %bb.64:
	ds_write2_b64 v1, v[2:3], v[4:5] offset1:1
	ds_write2_b64 v1, v[6:7], v[8:9] offset0:2 offset1:3
	ds_write_b64 v1, v[10:11] offset:32
	s_waitcnt lgkmcnt(0)
	s_barrier
	ds_read2st64_b32 v[12:13], v22 offset1:2
	ds_read2st64_b32 v[14:15], v22 offset0:4 offset1:6
	ds_read2st64_b32 v[16:17], v22 offset0:8 offset1:10
	;; [unrolled: 1-line block ×4, first 2 shown]
	s_waitcnt lgkmcnt(4)
	v_cvt_f32_i32_e32 v12, v12
	v_cvt_f32_i32_e32 v13, v13
	v_mov_b32_e32 v25, s3
	v_add_co_u32_e32 v24, vcc, s2, v22
	s_waitcnt lgkmcnt(3)
	v_cvt_f32_i32_e32 v14, v14
	v_addc_co_u32_e32 v25, vcc, 0, v25, vcc
	v_cvt_f32_i32_e32 v15, v15
	flat_store_dword v[24:25], v12
	flat_store_dword v[24:25], v13 offset:512
	flat_store_dword v[24:25], v14 offset:1024
	;; [unrolled: 1-line block ×3, first 2 shown]
	s_waitcnt lgkmcnt(0)
	v_cvt_f32_i32_e32 v12, v16
	v_cvt_f32_i32_e32 v13, v17
	;; [unrolled: 1-line block ×4, first 2 shown]
	flat_store_dword v[24:25], v12 offset:2048
	flat_store_dword v[24:25], v13 offset:2560
	;; [unrolled: 1-line block ×4, first 2 shown]
	v_cvt_f32_i32_e32 v14, v20
	v_cvt_f32_i32_e32 v15, v21
	v_add_co_u32_e32 v12, vcc, 0x1000, v24
	v_addc_co_u32_e32 v13, vcc, 0, v25, vcc
	flat_store_dword v[12:13], v14
	flat_store_dword v[12:13], v15 offset:512
	s_mov_b64 s[0:1], 0
.LBB6198_65:
	s_andn2_b64 vcc, exec, s[0:1]
	s_cbranch_vccnz .LBB6198_121
; %bb.66:
	ds_write2_b64 v1, v[2:3], v[4:5] offset1:1
	ds_write2_b64 v1, v[6:7], v[8:9] offset0:2 offset1:3
	ds_write_b64 v1, v[10:11] offset:32
	s_waitcnt lgkmcnt(0)
	s_barrier
	ds_read2st64_b32 v[2:3], v22 offset1:2
	ds_read2st64_b32 v[6:7], v22 offset0:4 offset1:6
	ds_read2st64_b32 v[4:5], v22 offset0:8 offset1:10
	ds_read2st64_b32 v[8:9], v22 offset0:12 offset1:14
	ds_read2st64_b32 v[10:11], v22 offset0:16 offset1:18
	v_mov_b32_e32 v13, s3
	v_add_co_u32_e32 v12, vcc, s2, v22
	v_addc_co_u32_e32 v13, vcc, 0, v13, vcc
	v_mov_b32_e32 v1, 0
	v_cmp_gt_u32_e32 vcc, s7, v0
	s_and_saveexec_b64 s[0:1], vcc
	s_cbranch_execz .LBB6198_68
; %bb.67:
	s_waitcnt lgkmcnt(0)
	v_cvt_f32_i32_e32 v14, v2
	flat_store_dword v[12:13], v14
.LBB6198_68:
	s_or_b64 exec, exec, s[0:1]
	v_or_b32_e32 v14, 0x80, v0
	v_cmp_gt_u32_e32 vcc, s7, v14
	s_and_saveexec_b64 s[0:1], vcc
	s_cbranch_execz .LBB6198_70
; %bb.69:
	s_waitcnt lgkmcnt(0)
	v_cvt_f32_i32_e32 v14, v3
	flat_store_dword v[12:13], v14 offset:512
.LBB6198_70:
	s_or_b64 exec, exec, s[0:1]
	v_or_b32_e32 v14, 0x100, v0
	v_cmp_gt_u32_e32 vcc, s7, v14
	s_and_saveexec_b64 s[0:1], vcc
	s_cbranch_execz .LBB6198_72
; %bb.71:
	s_waitcnt lgkmcnt(0)
	v_cvt_f32_i32_e32 v14, v6
	flat_store_dword v[12:13], v14 offset:1024
.LBB6198_72:
	;; [unrolled: 10-line block ×7, first 2 shown]
	s_or_b64 exec, exec, s[0:1]
	v_or_b32_e32 v14, 0x400, v0
	v_cmp_gt_u32_e32 vcc, s7, v14
	s_and_saveexec_b64 s[0:1], vcc
	s_cbranch_execz .LBB6198_84
; %bb.83:
	s_waitcnt lgkmcnt(0)
	v_cvt_f32_i32_e32 v16, v10
	v_add_co_u32_e32 v14, vcc, 0x1000, v12
	v_addc_co_u32_e32 v15, vcc, 0, v13, vcc
	flat_store_dword v[14:15], v16
.LBB6198_84:
	s_or_b64 exec, exec, s[0:1]
	v_or_b32_e32 v14, 0x480, v0
	v_cmp_gt_u32_e32 vcc, s7, v14
	s_and_saveexec_b64 s[0:1], vcc
	s_cbranch_execz .LBB6198_86
; %bb.85:
	s_waitcnt lgkmcnt(0)
	v_cvt_f32_i32_e32 v14, v11
	v_add_co_u32_e32 v12, vcc, 0x1000, v12
	v_addc_co_u32_e32 v13, vcc, 0, v13, vcc
	flat_store_dword v[12:13], v14 offset:512
.LBB6198_86:
	s_or_b64 exec, exec, s[0:1]
	v_cmp_lt_u64_e64 s[0:1], s[22:23], 2
	s_and_b64 vcc, exec, s[0:1]
	s_cbranch_vccnz .LBB6198_121
; %bb.87:
	s_add_u32 s0, s7, -1
	s_addc_u32 s1, s26, -1
	s_add_u32 s2, 0, 0x99986000
	s_addc_u32 s3, 0, 0x59
	s_add_i32 s3, s3, 0x19999940
	s_mul_hi_u32 s7, s2, -10
	s_sub_i32 s7, s7, s2
	s_mul_i32 s8, s3, -10
	s_mul_i32 s4, s2, -10
	s_add_i32 s7, s7, s8
	s_mul_hi_u32 s5, s3, s4
	s_mul_i32 s6, s3, s4
	s_mul_i32 s9, s2, s7
	s_mul_hi_u32 s4, s2, s4
	s_mul_hi_u32 s8, s2, s7
	s_add_u32 s4, s4, s9
	s_addc_u32 s8, 0, s8
	s_add_u32 s4, s4, s6
	s_mul_hi_u32 s9, s3, s7
	s_addc_u32 s4, s8, s5
	s_addc_u32 s5, s9, 0
	s_mul_i32 s6, s3, s7
	s_add_u32 s4, s4, s6
	v_mov_b32_e32 v12, s4
	s_addc_u32 s5, 0, s5
	v_add_co_u32_e32 v12, vcc, s2, v12
	s_cmp_lg_u64 vcc, 0
	s_addc_u32 s2, s3, s5
	v_readfirstlane_b32 s5, v12
	s_mul_i32 s4, s0, s2
	s_mul_hi_u32 s6, s0, s5
	s_mul_hi_u32 s3, s0, s2
	s_add_u32 s4, s6, s4
	s_addc_u32 s3, 0, s3
	s_mul_hi_u32 s7, s1, s5
	s_mul_i32 s5, s1, s5
	s_add_u32 s4, s4, s5
	s_mul_hi_u32 s6, s1, s2
	s_addc_u32 s3, s3, s7
	s_addc_u32 s4, s6, 0
	s_mul_i32 s2, s1, s2
	s_add_u32 s2, s3, s2
	s_addc_u32 s3, 0, s4
	s_add_u32 s4, s2, 1
	s_addc_u32 s5, s3, 0
	s_add_u32 s6, s2, 2
	s_mul_i32 s8, s3, 10
	s_mul_hi_u32 s9, s2, 10
	s_addc_u32 s7, s3, 0
	s_add_i32 s9, s9, s8
	s_mul_i32 s8, s2, 10
	v_mov_b32_e32 v12, s8
	v_sub_co_u32_e32 v12, vcc, s0, v12
	s_cmp_lg_u64 vcc, 0
	s_subb_u32 s8, s1, s9
	v_subrev_co_u32_e32 v13, vcc, 10, v12
	s_cmp_lg_u64 vcc, 0
	s_subb_u32 s9, s8, 0
	v_readfirstlane_b32 s10, v13
	s_cmp_gt_u32 s10, 9
	s_cselect_b32 s10, -1, 0
	s_cmp_eq_u32 s9, 0
	s_cselect_b32 s9, s10, -1
	s_cmp_lg_u32 s9, 0
	s_cselect_b32 s4, s6, s4
	v_readfirstlane_b32 s6, v12
	s_cselect_b32 s5, s7, s5
	s_cmp_gt_u32 s6, 9
	s_cselect_b32 s6, -1, 0
	s_cmp_eq_u32 s8, 0
	s_cselect_b32 s6, s6, -1
	s_cmp_lg_u32 s6, 0
	s_cselect_b32 s3, s5, s3
	s_cselect_b32 s2, s4, s2
	v_cmp_eq_u64_e32 vcc, s[2:3], v[0:1]
	s_and_saveexec_b64 s[2:3], vcc
	s_cbranch_execz .LBB6198_121
; %bb.88:
	v_mul_hi_u32_u24_e32 v1, 10, v0
	v_mov_b32_e32 v12, s1
	v_sub_co_u32_e32 v0, vcc, s0, v23
	v_subb_co_u32_e32 v1, vcc, v12, v1, vcc
	v_cmp_lt_i64_e32 vcc, 4, v[0:1]
	s_and_saveexec_b64 s[0:1], vcc
	s_xor_b64 s[0:1], exec, s[0:1]
	s_cbranch_execz .LBB6198_106
; %bb.89:
	v_cmp_lt_i64_e32 vcc, 6, v[0:1]
	s_and_saveexec_b64 s[2:3], vcc
	s_xor_b64 s[2:3], exec, s[2:3]
	s_cbranch_execz .LBB6198_99
; %bb.90:
	v_cmp_lt_i64_e32 vcc, 7, v[0:1]
	s_and_saveexec_b64 s[4:5], vcc
	s_xor_b64 s[4:5], exec, s[4:5]
	s_cbranch_execz .LBB6198_96
; %bb.91:
	v_cmp_lt_i64_e32 vcc, 8, v[0:1]
	s_and_saveexec_b64 s[6:7], vcc
	s_xor_b64 s[6:7], exec, s[6:7]
	s_cbranch_execz .LBB6198_93
; %bb.92:
	v_mov_b32_e32 v0, 0
	s_waitcnt lgkmcnt(0)
	global_store_dword v0, v11, s[18:19]
                                        ; implicit-def: $vgpr10_vgpr11
.LBB6198_93:
	s_andn2_saveexec_b64 s[6:7], s[6:7]
	s_cbranch_execz .LBB6198_95
; %bb.94:
	v_mov_b32_e32 v0, 0
	s_waitcnt lgkmcnt(0)
	global_store_dword v0, v10, s[18:19]
.LBB6198_95:
	s_or_b64 exec, exec, s[6:7]
                                        ; implicit-def: $vgpr8_vgpr9
.LBB6198_96:
	s_andn2_saveexec_b64 s[4:5], s[4:5]
	s_cbranch_execz .LBB6198_98
; %bb.97:
	v_mov_b32_e32 v0, 0
	s_waitcnt lgkmcnt(0)
	global_store_dword v0, v9, s[18:19]
.LBB6198_98:
	s_or_b64 exec, exec, s[4:5]
                                        ; implicit-def: $vgpr4_vgpr5
                                        ; implicit-def: $vgpr0_vgpr1
                                        ; implicit-def: $vgpr8_vgpr9
.LBB6198_99:
	s_andn2_saveexec_b64 s[2:3], s[2:3]
	s_cbranch_execz .LBB6198_105
; %bb.100:
	v_cmp_lt_i64_e32 vcc, 5, v[0:1]
	s_and_saveexec_b64 s[4:5], vcc
	s_xor_b64 s[4:5], exec, s[4:5]
	s_cbranch_execz .LBB6198_102
; %bb.101:
	v_mov_b32_e32 v0, 0
	s_waitcnt lgkmcnt(0)
	global_store_dword v0, v8, s[18:19]
                                        ; implicit-def: $vgpr4_vgpr5
.LBB6198_102:
	s_andn2_saveexec_b64 s[4:5], s[4:5]
	s_cbranch_execz .LBB6198_104
; %bb.103:
	v_mov_b32_e32 v0, 0
	s_waitcnt lgkmcnt(0)
	global_store_dword v0, v5, s[18:19]
.LBB6198_104:
	s_or_b64 exec, exec, s[4:5]
.LBB6198_105:
	s_or_b64 exec, exec, s[2:3]
                                        ; implicit-def: $vgpr0_vgpr1
                                        ; implicit-def: $vgpr6_vgpr7
                                        ; implicit-def: $vgpr2_vgpr3
                                        ; implicit-def: $vgpr4_vgpr5
.LBB6198_106:
	s_andn2_saveexec_b64 s[0:1], s[0:1]
	s_cbranch_execz .LBB6198_121
; %bb.107:
	v_cmp_lt_i64_e32 vcc, 2, v[0:1]
	s_and_saveexec_b64 s[0:1], vcc
	s_xor_b64 s[0:1], exec, s[0:1]
	s_cbranch_execz .LBB6198_113
; %bb.108:
	v_cmp_lt_i64_e32 vcc, 3, v[0:1]
	s_and_saveexec_b64 s[2:3], vcc
	s_xor_b64 s[2:3], exec, s[2:3]
	s_cbranch_execz .LBB6198_110
; %bb.109:
	v_mov_b32_e32 v0, 0
	s_waitcnt lgkmcnt(0)
	global_store_dword v0, v4, s[18:19]
                                        ; implicit-def: $vgpr6_vgpr7
.LBB6198_110:
	s_andn2_saveexec_b64 s[2:3], s[2:3]
	s_cbranch_execz .LBB6198_112
; %bb.111:
	v_mov_b32_e32 v0, 0
	s_waitcnt lgkmcnt(0)
	global_store_dword v0, v7, s[18:19]
.LBB6198_112:
	s_or_b64 exec, exec, s[2:3]
                                        ; implicit-def: $vgpr0_vgpr1
                                        ; implicit-def: $vgpr6_vgpr7
                                        ; implicit-def: $vgpr2_vgpr3
.LBB6198_113:
	s_andn2_saveexec_b64 s[0:1], s[0:1]
	s_cbranch_execz .LBB6198_121
; %bb.114:
	v_cmp_lt_i64_e32 vcc, 1, v[0:1]
	s_and_saveexec_b64 s[0:1], vcc
	s_xor_b64 s[0:1], exec, s[0:1]
	s_cbranch_execz .LBB6198_116
; %bb.115:
	v_mov_b32_e32 v0, 0
	s_waitcnt lgkmcnt(0)
	global_store_dword v0, v6, s[18:19]
                                        ; implicit-def: $vgpr2_vgpr3
                                        ; implicit-def: $vgpr0_vgpr1
.LBB6198_116:
	s_andn2_saveexec_b64 s[0:1], s[0:1]
	s_cbranch_execz .LBB6198_121
; %bb.117:
	v_cmp_ne_u64_e32 vcc, 1, v[0:1]
	s_and_saveexec_b64 s[0:1], vcc
	s_xor_b64 s[0:1], exec, s[0:1]
	s_cbranch_execz .LBB6198_119
; %bb.118:
	v_mov_b32_e32 v0, 0
	s_waitcnt lgkmcnt(0)
	global_store_dword v0, v2, s[18:19]
                                        ; implicit-def: $vgpr2_vgpr3
.LBB6198_119:
	s_andn2_saveexec_b64 s[0:1], s[0:1]
	s_cbranch_execz .LBB6198_121
; %bb.120:
	v_mov_b32_e32 v0, 0
	s_waitcnt lgkmcnt(0)
	global_store_dword v0, v3, s[18:19]
.LBB6198_121:
	s_endpgm
	.section	.rodata,"a",@progbits
	.p2align	6, 0x0
	.amdhsa_kernel _ZN7rocprim17ROCPRIM_400000_NS6detail17trampoline_kernelINS0_14default_configENS1_20scan_config_selectorIiEEZZNS1_9scan_implILNS1_25lookback_scan_determinismE0ELb1ELb1ES3_N6thrust23THRUST_200600_302600_NS6detail15normal_iteratorINS9_10device_ptrIjEEEENSB_INSC_IfEEEEiNS9_4plusIvEEiEEDaPvRmT3_T4_T5_mT6_P12ihipStream_tbENKUlT_T0_E_clISt17integral_constantIbLb1EESV_IbLb0EEEEDaSR_SS_EUlSR_E_NS1_11comp_targetILNS1_3genE4ELNS1_11target_archE910ELNS1_3gpuE8ELNS1_3repE0EEENS1_30default_config_static_selectorELNS0_4arch9wavefront6targetE1EEEvT1_
		.amdhsa_group_segment_fixed_size 5120
		.amdhsa_private_segment_fixed_size 0
		.amdhsa_kernarg_size 96
		.amdhsa_user_sgpr_count 6
		.amdhsa_user_sgpr_private_segment_buffer 1
		.amdhsa_user_sgpr_dispatch_ptr 0
		.amdhsa_user_sgpr_queue_ptr 0
		.amdhsa_user_sgpr_kernarg_segment_ptr 1
		.amdhsa_user_sgpr_dispatch_id 0
		.amdhsa_user_sgpr_flat_scratch_init 0
		.amdhsa_user_sgpr_kernarg_preload_length 0
		.amdhsa_user_sgpr_kernarg_preload_offset 0
		.amdhsa_user_sgpr_private_segment_size 0
		.amdhsa_uses_dynamic_stack 0
		.amdhsa_system_sgpr_private_segment_wavefront_offset 0
		.amdhsa_system_sgpr_workgroup_id_x 1
		.amdhsa_system_sgpr_workgroup_id_y 0
		.amdhsa_system_sgpr_workgroup_id_z 0
		.amdhsa_system_sgpr_workgroup_info 0
		.amdhsa_system_vgpr_workitem_id 0
		.amdhsa_next_free_vgpr 41
		.amdhsa_next_free_sgpr 32
		.amdhsa_accum_offset 44
		.amdhsa_reserve_vcc 1
		.amdhsa_reserve_flat_scratch 0
		.amdhsa_float_round_mode_32 0
		.amdhsa_float_round_mode_16_64 0
		.amdhsa_float_denorm_mode_32 3
		.amdhsa_float_denorm_mode_16_64 3
		.amdhsa_dx10_clamp 1
		.amdhsa_ieee_mode 1
		.amdhsa_fp16_overflow 0
		.amdhsa_tg_split 0
		.amdhsa_exception_fp_ieee_invalid_op 0
		.amdhsa_exception_fp_denorm_src 0
		.amdhsa_exception_fp_ieee_div_zero 0
		.amdhsa_exception_fp_ieee_overflow 0
		.amdhsa_exception_fp_ieee_underflow 0
		.amdhsa_exception_fp_ieee_inexact 0
		.amdhsa_exception_int_div_zero 0
	.end_amdhsa_kernel
	.section	.text._ZN7rocprim17ROCPRIM_400000_NS6detail17trampoline_kernelINS0_14default_configENS1_20scan_config_selectorIiEEZZNS1_9scan_implILNS1_25lookback_scan_determinismE0ELb1ELb1ES3_N6thrust23THRUST_200600_302600_NS6detail15normal_iteratorINS9_10device_ptrIjEEEENSB_INSC_IfEEEEiNS9_4plusIvEEiEEDaPvRmT3_T4_T5_mT6_P12ihipStream_tbENKUlT_T0_E_clISt17integral_constantIbLb1EESV_IbLb0EEEEDaSR_SS_EUlSR_E_NS1_11comp_targetILNS1_3genE4ELNS1_11target_archE910ELNS1_3gpuE8ELNS1_3repE0EEENS1_30default_config_static_selectorELNS0_4arch9wavefront6targetE1EEEvT1_,"axG",@progbits,_ZN7rocprim17ROCPRIM_400000_NS6detail17trampoline_kernelINS0_14default_configENS1_20scan_config_selectorIiEEZZNS1_9scan_implILNS1_25lookback_scan_determinismE0ELb1ELb1ES3_N6thrust23THRUST_200600_302600_NS6detail15normal_iteratorINS9_10device_ptrIjEEEENSB_INSC_IfEEEEiNS9_4plusIvEEiEEDaPvRmT3_T4_T5_mT6_P12ihipStream_tbENKUlT_T0_E_clISt17integral_constantIbLb1EESV_IbLb0EEEEDaSR_SS_EUlSR_E_NS1_11comp_targetILNS1_3genE4ELNS1_11target_archE910ELNS1_3gpuE8ELNS1_3repE0EEENS1_30default_config_static_selectorELNS0_4arch9wavefront6targetE1EEEvT1_,comdat
.Lfunc_end6198:
	.size	_ZN7rocprim17ROCPRIM_400000_NS6detail17trampoline_kernelINS0_14default_configENS1_20scan_config_selectorIiEEZZNS1_9scan_implILNS1_25lookback_scan_determinismE0ELb1ELb1ES3_N6thrust23THRUST_200600_302600_NS6detail15normal_iteratorINS9_10device_ptrIjEEEENSB_INSC_IfEEEEiNS9_4plusIvEEiEEDaPvRmT3_T4_T5_mT6_P12ihipStream_tbENKUlT_T0_E_clISt17integral_constantIbLb1EESV_IbLb0EEEEDaSR_SS_EUlSR_E_NS1_11comp_targetILNS1_3genE4ELNS1_11target_archE910ELNS1_3gpuE8ELNS1_3repE0EEENS1_30default_config_static_selectorELNS0_4arch9wavefront6targetE1EEEvT1_, .Lfunc_end6198-_ZN7rocprim17ROCPRIM_400000_NS6detail17trampoline_kernelINS0_14default_configENS1_20scan_config_selectorIiEEZZNS1_9scan_implILNS1_25lookback_scan_determinismE0ELb1ELb1ES3_N6thrust23THRUST_200600_302600_NS6detail15normal_iteratorINS9_10device_ptrIjEEEENSB_INSC_IfEEEEiNS9_4plusIvEEiEEDaPvRmT3_T4_T5_mT6_P12ihipStream_tbENKUlT_T0_E_clISt17integral_constantIbLb1EESV_IbLb0EEEEDaSR_SS_EUlSR_E_NS1_11comp_targetILNS1_3genE4ELNS1_11target_archE910ELNS1_3gpuE8ELNS1_3repE0EEENS1_30default_config_static_selectorELNS0_4arch9wavefront6targetE1EEEvT1_
                                        ; -- End function
	.section	.AMDGPU.csdata,"",@progbits
; Kernel info:
; codeLenInByte = 4568
; NumSgprs: 36
; NumVgprs: 41
; NumAgprs: 0
; TotalNumVgprs: 41
; ScratchSize: 0
; MemoryBound: 0
; FloatMode: 240
; IeeeMode: 1
; LDSByteSize: 5120 bytes/workgroup (compile time only)
; SGPRBlocks: 4
; VGPRBlocks: 5
; NumSGPRsForWavesPerEU: 36
; NumVGPRsForWavesPerEU: 41
; AccumOffset: 44
; Occupancy: 6
; WaveLimiterHint : 1
; COMPUTE_PGM_RSRC2:SCRATCH_EN: 0
; COMPUTE_PGM_RSRC2:USER_SGPR: 6
; COMPUTE_PGM_RSRC2:TRAP_HANDLER: 0
; COMPUTE_PGM_RSRC2:TGID_X_EN: 1
; COMPUTE_PGM_RSRC2:TGID_Y_EN: 0
; COMPUTE_PGM_RSRC2:TGID_Z_EN: 0
; COMPUTE_PGM_RSRC2:TIDIG_COMP_CNT: 0
; COMPUTE_PGM_RSRC3_GFX90A:ACCUM_OFFSET: 10
; COMPUTE_PGM_RSRC3_GFX90A:TG_SPLIT: 0
	.section	.text._ZN7rocprim17ROCPRIM_400000_NS6detail17trampoline_kernelINS0_14default_configENS1_20scan_config_selectorIiEEZZNS1_9scan_implILNS1_25lookback_scan_determinismE0ELb1ELb1ES3_N6thrust23THRUST_200600_302600_NS6detail15normal_iteratorINS9_10device_ptrIjEEEENSB_INSC_IfEEEEiNS9_4plusIvEEiEEDaPvRmT3_T4_T5_mT6_P12ihipStream_tbENKUlT_T0_E_clISt17integral_constantIbLb1EESV_IbLb0EEEEDaSR_SS_EUlSR_E_NS1_11comp_targetILNS1_3genE3ELNS1_11target_archE908ELNS1_3gpuE7ELNS1_3repE0EEENS1_30default_config_static_selectorELNS0_4arch9wavefront6targetE1EEEvT1_,"axG",@progbits,_ZN7rocprim17ROCPRIM_400000_NS6detail17trampoline_kernelINS0_14default_configENS1_20scan_config_selectorIiEEZZNS1_9scan_implILNS1_25lookback_scan_determinismE0ELb1ELb1ES3_N6thrust23THRUST_200600_302600_NS6detail15normal_iteratorINS9_10device_ptrIjEEEENSB_INSC_IfEEEEiNS9_4plusIvEEiEEDaPvRmT3_T4_T5_mT6_P12ihipStream_tbENKUlT_T0_E_clISt17integral_constantIbLb1EESV_IbLb0EEEEDaSR_SS_EUlSR_E_NS1_11comp_targetILNS1_3genE3ELNS1_11target_archE908ELNS1_3gpuE7ELNS1_3repE0EEENS1_30default_config_static_selectorELNS0_4arch9wavefront6targetE1EEEvT1_,comdat
	.protected	_ZN7rocprim17ROCPRIM_400000_NS6detail17trampoline_kernelINS0_14default_configENS1_20scan_config_selectorIiEEZZNS1_9scan_implILNS1_25lookback_scan_determinismE0ELb1ELb1ES3_N6thrust23THRUST_200600_302600_NS6detail15normal_iteratorINS9_10device_ptrIjEEEENSB_INSC_IfEEEEiNS9_4plusIvEEiEEDaPvRmT3_T4_T5_mT6_P12ihipStream_tbENKUlT_T0_E_clISt17integral_constantIbLb1EESV_IbLb0EEEEDaSR_SS_EUlSR_E_NS1_11comp_targetILNS1_3genE3ELNS1_11target_archE908ELNS1_3gpuE7ELNS1_3repE0EEENS1_30default_config_static_selectorELNS0_4arch9wavefront6targetE1EEEvT1_ ; -- Begin function _ZN7rocprim17ROCPRIM_400000_NS6detail17trampoline_kernelINS0_14default_configENS1_20scan_config_selectorIiEEZZNS1_9scan_implILNS1_25lookback_scan_determinismE0ELb1ELb1ES3_N6thrust23THRUST_200600_302600_NS6detail15normal_iteratorINS9_10device_ptrIjEEEENSB_INSC_IfEEEEiNS9_4plusIvEEiEEDaPvRmT3_T4_T5_mT6_P12ihipStream_tbENKUlT_T0_E_clISt17integral_constantIbLb1EESV_IbLb0EEEEDaSR_SS_EUlSR_E_NS1_11comp_targetILNS1_3genE3ELNS1_11target_archE908ELNS1_3gpuE7ELNS1_3repE0EEENS1_30default_config_static_selectorELNS0_4arch9wavefront6targetE1EEEvT1_
	.globl	_ZN7rocprim17ROCPRIM_400000_NS6detail17trampoline_kernelINS0_14default_configENS1_20scan_config_selectorIiEEZZNS1_9scan_implILNS1_25lookback_scan_determinismE0ELb1ELb1ES3_N6thrust23THRUST_200600_302600_NS6detail15normal_iteratorINS9_10device_ptrIjEEEENSB_INSC_IfEEEEiNS9_4plusIvEEiEEDaPvRmT3_T4_T5_mT6_P12ihipStream_tbENKUlT_T0_E_clISt17integral_constantIbLb1EESV_IbLb0EEEEDaSR_SS_EUlSR_E_NS1_11comp_targetILNS1_3genE3ELNS1_11target_archE908ELNS1_3gpuE7ELNS1_3repE0EEENS1_30default_config_static_selectorELNS0_4arch9wavefront6targetE1EEEvT1_
	.p2align	8
	.type	_ZN7rocprim17ROCPRIM_400000_NS6detail17trampoline_kernelINS0_14default_configENS1_20scan_config_selectorIiEEZZNS1_9scan_implILNS1_25lookback_scan_determinismE0ELb1ELb1ES3_N6thrust23THRUST_200600_302600_NS6detail15normal_iteratorINS9_10device_ptrIjEEEENSB_INSC_IfEEEEiNS9_4plusIvEEiEEDaPvRmT3_T4_T5_mT6_P12ihipStream_tbENKUlT_T0_E_clISt17integral_constantIbLb1EESV_IbLb0EEEEDaSR_SS_EUlSR_E_NS1_11comp_targetILNS1_3genE3ELNS1_11target_archE908ELNS1_3gpuE7ELNS1_3repE0EEENS1_30default_config_static_selectorELNS0_4arch9wavefront6targetE1EEEvT1_,@function
_ZN7rocprim17ROCPRIM_400000_NS6detail17trampoline_kernelINS0_14default_configENS1_20scan_config_selectorIiEEZZNS1_9scan_implILNS1_25lookback_scan_determinismE0ELb1ELb1ES3_N6thrust23THRUST_200600_302600_NS6detail15normal_iteratorINS9_10device_ptrIjEEEENSB_INSC_IfEEEEiNS9_4plusIvEEiEEDaPvRmT3_T4_T5_mT6_P12ihipStream_tbENKUlT_T0_E_clISt17integral_constantIbLb1EESV_IbLb0EEEEDaSR_SS_EUlSR_E_NS1_11comp_targetILNS1_3genE3ELNS1_11target_archE908ELNS1_3gpuE7ELNS1_3repE0EEENS1_30default_config_static_selectorELNS0_4arch9wavefront6targetE1EEEvT1_: ; @_ZN7rocprim17ROCPRIM_400000_NS6detail17trampoline_kernelINS0_14default_configENS1_20scan_config_selectorIiEEZZNS1_9scan_implILNS1_25lookback_scan_determinismE0ELb1ELb1ES3_N6thrust23THRUST_200600_302600_NS6detail15normal_iteratorINS9_10device_ptrIjEEEENSB_INSC_IfEEEEiNS9_4plusIvEEiEEDaPvRmT3_T4_T5_mT6_P12ihipStream_tbENKUlT_T0_E_clISt17integral_constantIbLb1EESV_IbLb0EEEEDaSR_SS_EUlSR_E_NS1_11comp_targetILNS1_3genE3ELNS1_11target_archE908ELNS1_3gpuE7ELNS1_3repE0EEENS1_30default_config_static_selectorELNS0_4arch9wavefront6targetE1EEEvT1_
; %bb.0:
	.section	.rodata,"a",@progbits
	.p2align	6, 0x0
	.amdhsa_kernel _ZN7rocprim17ROCPRIM_400000_NS6detail17trampoline_kernelINS0_14default_configENS1_20scan_config_selectorIiEEZZNS1_9scan_implILNS1_25lookback_scan_determinismE0ELb1ELb1ES3_N6thrust23THRUST_200600_302600_NS6detail15normal_iteratorINS9_10device_ptrIjEEEENSB_INSC_IfEEEEiNS9_4plusIvEEiEEDaPvRmT3_T4_T5_mT6_P12ihipStream_tbENKUlT_T0_E_clISt17integral_constantIbLb1EESV_IbLb0EEEEDaSR_SS_EUlSR_E_NS1_11comp_targetILNS1_3genE3ELNS1_11target_archE908ELNS1_3gpuE7ELNS1_3repE0EEENS1_30default_config_static_selectorELNS0_4arch9wavefront6targetE1EEEvT1_
		.amdhsa_group_segment_fixed_size 0
		.amdhsa_private_segment_fixed_size 0
		.amdhsa_kernarg_size 96
		.amdhsa_user_sgpr_count 6
		.amdhsa_user_sgpr_private_segment_buffer 1
		.amdhsa_user_sgpr_dispatch_ptr 0
		.amdhsa_user_sgpr_queue_ptr 0
		.amdhsa_user_sgpr_kernarg_segment_ptr 1
		.amdhsa_user_sgpr_dispatch_id 0
		.amdhsa_user_sgpr_flat_scratch_init 0
		.amdhsa_user_sgpr_kernarg_preload_length 0
		.amdhsa_user_sgpr_kernarg_preload_offset 0
		.amdhsa_user_sgpr_private_segment_size 0
		.amdhsa_uses_dynamic_stack 0
		.amdhsa_system_sgpr_private_segment_wavefront_offset 0
		.amdhsa_system_sgpr_workgroup_id_x 1
		.amdhsa_system_sgpr_workgroup_id_y 0
		.amdhsa_system_sgpr_workgroup_id_z 0
		.amdhsa_system_sgpr_workgroup_info 0
		.amdhsa_system_vgpr_workitem_id 0
		.amdhsa_next_free_vgpr 1
		.amdhsa_next_free_sgpr 0
		.amdhsa_accum_offset 4
		.amdhsa_reserve_vcc 0
		.amdhsa_reserve_flat_scratch 0
		.amdhsa_float_round_mode_32 0
		.amdhsa_float_round_mode_16_64 0
		.amdhsa_float_denorm_mode_32 3
		.amdhsa_float_denorm_mode_16_64 3
		.amdhsa_dx10_clamp 1
		.amdhsa_ieee_mode 1
		.amdhsa_fp16_overflow 0
		.amdhsa_tg_split 0
		.amdhsa_exception_fp_ieee_invalid_op 0
		.amdhsa_exception_fp_denorm_src 0
		.amdhsa_exception_fp_ieee_div_zero 0
		.amdhsa_exception_fp_ieee_overflow 0
		.amdhsa_exception_fp_ieee_underflow 0
		.amdhsa_exception_fp_ieee_inexact 0
		.amdhsa_exception_int_div_zero 0
	.end_amdhsa_kernel
	.section	.text._ZN7rocprim17ROCPRIM_400000_NS6detail17trampoline_kernelINS0_14default_configENS1_20scan_config_selectorIiEEZZNS1_9scan_implILNS1_25lookback_scan_determinismE0ELb1ELb1ES3_N6thrust23THRUST_200600_302600_NS6detail15normal_iteratorINS9_10device_ptrIjEEEENSB_INSC_IfEEEEiNS9_4plusIvEEiEEDaPvRmT3_T4_T5_mT6_P12ihipStream_tbENKUlT_T0_E_clISt17integral_constantIbLb1EESV_IbLb0EEEEDaSR_SS_EUlSR_E_NS1_11comp_targetILNS1_3genE3ELNS1_11target_archE908ELNS1_3gpuE7ELNS1_3repE0EEENS1_30default_config_static_selectorELNS0_4arch9wavefront6targetE1EEEvT1_,"axG",@progbits,_ZN7rocprim17ROCPRIM_400000_NS6detail17trampoline_kernelINS0_14default_configENS1_20scan_config_selectorIiEEZZNS1_9scan_implILNS1_25lookback_scan_determinismE0ELb1ELb1ES3_N6thrust23THRUST_200600_302600_NS6detail15normal_iteratorINS9_10device_ptrIjEEEENSB_INSC_IfEEEEiNS9_4plusIvEEiEEDaPvRmT3_T4_T5_mT6_P12ihipStream_tbENKUlT_T0_E_clISt17integral_constantIbLb1EESV_IbLb0EEEEDaSR_SS_EUlSR_E_NS1_11comp_targetILNS1_3genE3ELNS1_11target_archE908ELNS1_3gpuE7ELNS1_3repE0EEENS1_30default_config_static_selectorELNS0_4arch9wavefront6targetE1EEEvT1_,comdat
.Lfunc_end6199:
	.size	_ZN7rocprim17ROCPRIM_400000_NS6detail17trampoline_kernelINS0_14default_configENS1_20scan_config_selectorIiEEZZNS1_9scan_implILNS1_25lookback_scan_determinismE0ELb1ELb1ES3_N6thrust23THRUST_200600_302600_NS6detail15normal_iteratorINS9_10device_ptrIjEEEENSB_INSC_IfEEEEiNS9_4plusIvEEiEEDaPvRmT3_T4_T5_mT6_P12ihipStream_tbENKUlT_T0_E_clISt17integral_constantIbLb1EESV_IbLb0EEEEDaSR_SS_EUlSR_E_NS1_11comp_targetILNS1_3genE3ELNS1_11target_archE908ELNS1_3gpuE7ELNS1_3repE0EEENS1_30default_config_static_selectorELNS0_4arch9wavefront6targetE1EEEvT1_, .Lfunc_end6199-_ZN7rocprim17ROCPRIM_400000_NS6detail17trampoline_kernelINS0_14default_configENS1_20scan_config_selectorIiEEZZNS1_9scan_implILNS1_25lookback_scan_determinismE0ELb1ELb1ES3_N6thrust23THRUST_200600_302600_NS6detail15normal_iteratorINS9_10device_ptrIjEEEENSB_INSC_IfEEEEiNS9_4plusIvEEiEEDaPvRmT3_T4_T5_mT6_P12ihipStream_tbENKUlT_T0_E_clISt17integral_constantIbLb1EESV_IbLb0EEEEDaSR_SS_EUlSR_E_NS1_11comp_targetILNS1_3genE3ELNS1_11target_archE908ELNS1_3gpuE7ELNS1_3repE0EEENS1_30default_config_static_selectorELNS0_4arch9wavefront6targetE1EEEvT1_
                                        ; -- End function
	.section	.AMDGPU.csdata,"",@progbits
; Kernel info:
; codeLenInByte = 0
; NumSgprs: 4
; NumVgprs: 0
; NumAgprs: 0
; TotalNumVgprs: 0
; ScratchSize: 0
; MemoryBound: 0
; FloatMode: 240
; IeeeMode: 1
; LDSByteSize: 0 bytes/workgroup (compile time only)
; SGPRBlocks: 0
; VGPRBlocks: 0
; NumSGPRsForWavesPerEU: 4
; NumVGPRsForWavesPerEU: 1
; AccumOffset: 4
; Occupancy: 8
; WaveLimiterHint : 0
; COMPUTE_PGM_RSRC2:SCRATCH_EN: 0
; COMPUTE_PGM_RSRC2:USER_SGPR: 6
; COMPUTE_PGM_RSRC2:TRAP_HANDLER: 0
; COMPUTE_PGM_RSRC2:TGID_X_EN: 1
; COMPUTE_PGM_RSRC2:TGID_Y_EN: 0
; COMPUTE_PGM_RSRC2:TGID_Z_EN: 0
; COMPUTE_PGM_RSRC2:TIDIG_COMP_CNT: 0
; COMPUTE_PGM_RSRC3_GFX90A:ACCUM_OFFSET: 0
; COMPUTE_PGM_RSRC3_GFX90A:TG_SPLIT: 0
	.section	.text._ZN7rocprim17ROCPRIM_400000_NS6detail17trampoline_kernelINS0_14default_configENS1_20scan_config_selectorIiEEZZNS1_9scan_implILNS1_25lookback_scan_determinismE0ELb1ELb1ES3_N6thrust23THRUST_200600_302600_NS6detail15normal_iteratorINS9_10device_ptrIjEEEENSB_INSC_IfEEEEiNS9_4plusIvEEiEEDaPvRmT3_T4_T5_mT6_P12ihipStream_tbENKUlT_T0_E_clISt17integral_constantIbLb1EESV_IbLb0EEEEDaSR_SS_EUlSR_E_NS1_11comp_targetILNS1_3genE2ELNS1_11target_archE906ELNS1_3gpuE6ELNS1_3repE0EEENS1_30default_config_static_selectorELNS0_4arch9wavefront6targetE1EEEvT1_,"axG",@progbits,_ZN7rocprim17ROCPRIM_400000_NS6detail17trampoline_kernelINS0_14default_configENS1_20scan_config_selectorIiEEZZNS1_9scan_implILNS1_25lookback_scan_determinismE0ELb1ELb1ES3_N6thrust23THRUST_200600_302600_NS6detail15normal_iteratorINS9_10device_ptrIjEEEENSB_INSC_IfEEEEiNS9_4plusIvEEiEEDaPvRmT3_T4_T5_mT6_P12ihipStream_tbENKUlT_T0_E_clISt17integral_constantIbLb1EESV_IbLb0EEEEDaSR_SS_EUlSR_E_NS1_11comp_targetILNS1_3genE2ELNS1_11target_archE906ELNS1_3gpuE6ELNS1_3repE0EEENS1_30default_config_static_selectorELNS0_4arch9wavefront6targetE1EEEvT1_,comdat
	.protected	_ZN7rocprim17ROCPRIM_400000_NS6detail17trampoline_kernelINS0_14default_configENS1_20scan_config_selectorIiEEZZNS1_9scan_implILNS1_25lookback_scan_determinismE0ELb1ELb1ES3_N6thrust23THRUST_200600_302600_NS6detail15normal_iteratorINS9_10device_ptrIjEEEENSB_INSC_IfEEEEiNS9_4plusIvEEiEEDaPvRmT3_T4_T5_mT6_P12ihipStream_tbENKUlT_T0_E_clISt17integral_constantIbLb1EESV_IbLb0EEEEDaSR_SS_EUlSR_E_NS1_11comp_targetILNS1_3genE2ELNS1_11target_archE906ELNS1_3gpuE6ELNS1_3repE0EEENS1_30default_config_static_selectorELNS0_4arch9wavefront6targetE1EEEvT1_ ; -- Begin function _ZN7rocprim17ROCPRIM_400000_NS6detail17trampoline_kernelINS0_14default_configENS1_20scan_config_selectorIiEEZZNS1_9scan_implILNS1_25lookback_scan_determinismE0ELb1ELb1ES3_N6thrust23THRUST_200600_302600_NS6detail15normal_iteratorINS9_10device_ptrIjEEEENSB_INSC_IfEEEEiNS9_4plusIvEEiEEDaPvRmT3_T4_T5_mT6_P12ihipStream_tbENKUlT_T0_E_clISt17integral_constantIbLb1EESV_IbLb0EEEEDaSR_SS_EUlSR_E_NS1_11comp_targetILNS1_3genE2ELNS1_11target_archE906ELNS1_3gpuE6ELNS1_3repE0EEENS1_30default_config_static_selectorELNS0_4arch9wavefront6targetE1EEEvT1_
	.globl	_ZN7rocprim17ROCPRIM_400000_NS6detail17trampoline_kernelINS0_14default_configENS1_20scan_config_selectorIiEEZZNS1_9scan_implILNS1_25lookback_scan_determinismE0ELb1ELb1ES3_N6thrust23THRUST_200600_302600_NS6detail15normal_iteratorINS9_10device_ptrIjEEEENSB_INSC_IfEEEEiNS9_4plusIvEEiEEDaPvRmT3_T4_T5_mT6_P12ihipStream_tbENKUlT_T0_E_clISt17integral_constantIbLb1EESV_IbLb0EEEEDaSR_SS_EUlSR_E_NS1_11comp_targetILNS1_3genE2ELNS1_11target_archE906ELNS1_3gpuE6ELNS1_3repE0EEENS1_30default_config_static_selectorELNS0_4arch9wavefront6targetE1EEEvT1_
	.p2align	8
	.type	_ZN7rocprim17ROCPRIM_400000_NS6detail17trampoline_kernelINS0_14default_configENS1_20scan_config_selectorIiEEZZNS1_9scan_implILNS1_25lookback_scan_determinismE0ELb1ELb1ES3_N6thrust23THRUST_200600_302600_NS6detail15normal_iteratorINS9_10device_ptrIjEEEENSB_INSC_IfEEEEiNS9_4plusIvEEiEEDaPvRmT3_T4_T5_mT6_P12ihipStream_tbENKUlT_T0_E_clISt17integral_constantIbLb1EESV_IbLb0EEEEDaSR_SS_EUlSR_E_NS1_11comp_targetILNS1_3genE2ELNS1_11target_archE906ELNS1_3gpuE6ELNS1_3repE0EEENS1_30default_config_static_selectorELNS0_4arch9wavefront6targetE1EEEvT1_,@function
_ZN7rocprim17ROCPRIM_400000_NS6detail17trampoline_kernelINS0_14default_configENS1_20scan_config_selectorIiEEZZNS1_9scan_implILNS1_25lookback_scan_determinismE0ELb1ELb1ES3_N6thrust23THRUST_200600_302600_NS6detail15normal_iteratorINS9_10device_ptrIjEEEENSB_INSC_IfEEEEiNS9_4plusIvEEiEEDaPvRmT3_T4_T5_mT6_P12ihipStream_tbENKUlT_T0_E_clISt17integral_constantIbLb1EESV_IbLb0EEEEDaSR_SS_EUlSR_E_NS1_11comp_targetILNS1_3genE2ELNS1_11target_archE906ELNS1_3gpuE6ELNS1_3repE0EEENS1_30default_config_static_selectorELNS0_4arch9wavefront6targetE1EEEvT1_: ; @_ZN7rocprim17ROCPRIM_400000_NS6detail17trampoline_kernelINS0_14default_configENS1_20scan_config_selectorIiEEZZNS1_9scan_implILNS1_25lookback_scan_determinismE0ELb1ELb1ES3_N6thrust23THRUST_200600_302600_NS6detail15normal_iteratorINS9_10device_ptrIjEEEENSB_INSC_IfEEEEiNS9_4plusIvEEiEEDaPvRmT3_T4_T5_mT6_P12ihipStream_tbENKUlT_T0_E_clISt17integral_constantIbLb1EESV_IbLb0EEEEDaSR_SS_EUlSR_E_NS1_11comp_targetILNS1_3genE2ELNS1_11target_archE906ELNS1_3gpuE6ELNS1_3repE0EEENS1_30default_config_static_selectorELNS0_4arch9wavefront6targetE1EEEvT1_
; %bb.0:
	.section	.rodata,"a",@progbits
	.p2align	6, 0x0
	.amdhsa_kernel _ZN7rocprim17ROCPRIM_400000_NS6detail17trampoline_kernelINS0_14default_configENS1_20scan_config_selectorIiEEZZNS1_9scan_implILNS1_25lookback_scan_determinismE0ELb1ELb1ES3_N6thrust23THRUST_200600_302600_NS6detail15normal_iteratorINS9_10device_ptrIjEEEENSB_INSC_IfEEEEiNS9_4plusIvEEiEEDaPvRmT3_T4_T5_mT6_P12ihipStream_tbENKUlT_T0_E_clISt17integral_constantIbLb1EESV_IbLb0EEEEDaSR_SS_EUlSR_E_NS1_11comp_targetILNS1_3genE2ELNS1_11target_archE906ELNS1_3gpuE6ELNS1_3repE0EEENS1_30default_config_static_selectorELNS0_4arch9wavefront6targetE1EEEvT1_
		.amdhsa_group_segment_fixed_size 0
		.amdhsa_private_segment_fixed_size 0
		.amdhsa_kernarg_size 96
		.amdhsa_user_sgpr_count 6
		.amdhsa_user_sgpr_private_segment_buffer 1
		.amdhsa_user_sgpr_dispatch_ptr 0
		.amdhsa_user_sgpr_queue_ptr 0
		.amdhsa_user_sgpr_kernarg_segment_ptr 1
		.amdhsa_user_sgpr_dispatch_id 0
		.amdhsa_user_sgpr_flat_scratch_init 0
		.amdhsa_user_sgpr_kernarg_preload_length 0
		.amdhsa_user_sgpr_kernarg_preload_offset 0
		.amdhsa_user_sgpr_private_segment_size 0
		.amdhsa_uses_dynamic_stack 0
		.amdhsa_system_sgpr_private_segment_wavefront_offset 0
		.amdhsa_system_sgpr_workgroup_id_x 1
		.amdhsa_system_sgpr_workgroup_id_y 0
		.amdhsa_system_sgpr_workgroup_id_z 0
		.amdhsa_system_sgpr_workgroup_info 0
		.amdhsa_system_vgpr_workitem_id 0
		.amdhsa_next_free_vgpr 1
		.amdhsa_next_free_sgpr 0
		.amdhsa_accum_offset 4
		.amdhsa_reserve_vcc 0
		.amdhsa_reserve_flat_scratch 0
		.amdhsa_float_round_mode_32 0
		.amdhsa_float_round_mode_16_64 0
		.amdhsa_float_denorm_mode_32 3
		.amdhsa_float_denorm_mode_16_64 3
		.amdhsa_dx10_clamp 1
		.amdhsa_ieee_mode 1
		.amdhsa_fp16_overflow 0
		.amdhsa_tg_split 0
		.amdhsa_exception_fp_ieee_invalid_op 0
		.amdhsa_exception_fp_denorm_src 0
		.amdhsa_exception_fp_ieee_div_zero 0
		.amdhsa_exception_fp_ieee_overflow 0
		.amdhsa_exception_fp_ieee_underflow 0
		.amdhsa_exception_fp_ieee_inexact 0
		.amdhsa_exception_int_div_zero 0
	.end_amdhsa_kernel
	.section	.text._ZN7rocprim17ROCPRIM_400000_NS6detail17trampoline_kernelINS0_14default_configENS1_20scan_config_selectorIiEEZZNS1_9scan_implILNS1_25lookback_scan_determinismE0ELb1ELb1ES3_N6thrust23THRUST_200600_302600_NS6detail15normal_iteratorINS9_10device_ptrIjEEEENSB_INSC_IfEEEEiNS9_4plusIvEEiEEDaPvRmT3_T4_T5_mT6_P12ihipStream_tbENKUlT_T0_E_clISt17integral_constantIbLb1EESV_IbLb0EEEEDaSR_SS_EUlSR_E_NS1_11comp_targetILNS1_3genE2ELNS1_11target_archE906ELNS1_3gpuE6ELNS1_3repE0EEENS1_30default_config_static_selectorELNS0_4arch9wavefront6targetE1EEEvT1_,"axG",@progbits,_ZN7rocprim17ROCPRIM_400000_NS6detail17trampoline_kernelINS0_14default_configENS1_20scan_config_selectorIiEEZZNS1_9scan_implILNS1_25lookback_scan_determinismE0ELb1ELb1ES3_N6thrust23THRUST_200600_302600_NS6detail15normal_iteratorINS9_10device_ptrIjEEEENSB_INSC_IfEEEEiNS9_4plusIvEEiEEDaPvRmT3_T4_T5_mT6_P12ihipStream_tbENKUlT_T0_E_clISt17integral_constantIbLb1EESV_IbLb0EEEEDaSR_SS_EUlSR_E_NS1_11comp_targetILNS1_3genE2ELNS1_11target_archE906ELNS1_3gpuE6ELNS1_3repE0EEENS1_30default_config_static_selectorELNS0_4arch9wavefront6targetE1EEEvT1_,comdat
.Lfunc_end6200:
	.size	_ZN7rocprim17ROCPRIM_400000_NS6detail17trampoline_kernelINS0_14default_configENS1_20scan_config_selectorIiEEZZNS1_9scan_implILNS1_25lookback_scan_determinismE0ELb1ELb1ES3_N6thrust23THRUST_200600_302600_NS6detail15normal_iteratorINS9_10device_ptrIjEEEENSB_INSC_IfEEEEiNS9_4plusIvEEiEEDaPvRmT3_T4_T5_mT6_P12ihipStream_tbENKUlT_T0_E_clISt17integral_constantIbLb1EESV_IbLb0EEEEDaSR_SS_EUlSR_E_NS1_11comp_targetILNS1_3genE2ELNS1_11target_archE906ELNS1_3gpuE6ELNS1_3repE0EEENS1_30default_config_static_selectorELNS0_4arch9wavefront6targetE1EEEvT1_, .Lfunc_end6200-_ZN7rocprim17ROCPRIM_400000_NS6detail17trampoline_kernelINS0_14default_configENS1_20scan_config_selectorIiEEZZNS1_9scan_implILNS1_25lookback_scan_determinismE0ELb1ELb1ES3_N6thrust23THRUST_200600_302600_NS6detail15normal_iteratorINS9_10device_ptrIjEEEENSB_INSC_IfEEEEiNS9_4plusIvEEiEEDaPvRmT3_T4_T5_mT6_P12ihipStream_tbENKUlT_T0_E_clISt17integral_constantIbLb1EESV_IbLb0EEEEDaSR_SS_EUlSR_E_NS1_11comp_targetILNS1_3genE2ELNS1_11target_archE906ELNS1_3gpuE6ELNS1_3repE0EEENS1_30default_config_static_selectorELNS0_4arch9wavefront6targetE1EEEvT1_
                                        ; -- End function
	.section	.AMDGPU.csdata,"",@progbits
; Kernel info:
; codeLenInByte = 0
; NumSgprs: 4
; NumVgprs: 0
; NumAgprs: 0
; TotalNumVgprs: 0
; ScratchSize: 0
; MemoryBound: 0
; FloatMode: 240
; IeeeMode: 1
; LDSByteSize: 0 bytes/workgroup (compile time only)
; SGPRBlocks: 0
; VGPRBlocks: 0
; NumSGPRsForWavesPerEU: 4
; NumVGPRsForWavesPerEU: 1
; AccumOffset: 4
; Occupancy: 8
; WaveLimiterHint : 0
; COMPUTE_PGM_RSRC2:SCRATCH_EN: 0
; COMPUTE_PGM_RSRC2:USER_SGPR: 6
; COMPUTE_PGM_RSRC2:TRAP_HANDLER: 0
; COMPUTE_PGM_RSRC2:TGID_X_EN: 1
; COMPUTE_PGM_RSRC2:TGID_Y_EN: 0
; COMPUTE_PGM_RSRC2:TGID_Z_EN: 0
; COMPUTE_PGM_RSRC2:TIDIG_COMP_CNT: 0
; COMPUTE_PGM_RSRC3_GFX90A:ACCUM_OFFSET: 0
; COMPUTE_PGM_RSRC3_GFX90A:TG_SPLIT: 0
	.section	.text._ZN7rocprim17ROCPRIM_400000_NS6detail17trampoline_kernelINS0_14default_configENS1_20scan_config_selectorIiEEZZNS1_9scan_implILNS1_25lookback_scan_determinismE0ELb1ELb1ES3_N6thrust23THRUST_200600_302600_NS6detail15normal_iteratorINS9_10device_ptrIjEEEENSB_INSC_IfEEEEiNS9_4plusIvEEiEEDaPvRmT3_T4_T5_mT6_P12ihipStream_tbENKUlT_T0_E_clISt17integral_constantIbLb1EESV_IbLb0EEEEDaSR_SS_EUlSR_E_NS1_11comp_targetILNS1_3genE10ELNS1_11target_archE1201ELNS1_3gpuE5ELNS1_3repE0EEENS1_30default_config_static_selectorELNS0_4arch9wavefront6targetE1EEEvT1_,"axG",@progbits,_ZN7rocprim17ROCPRIM_400000_NS6detail17trampoline_kernelINS0_14default_configENS1_20scan_config_selectorIiEEZZNS1_9scan_implILNS1_25lookback_scan_determinismE0ELb1ELb1ES3_N6thrust23THRUST_200600_302600_NS6detail15normal_iteratorINS9_10device_ptrIjEEEENSB_INSC_IfEEEEiNS9_4plusIvEEiEEDaPvRmT3_T4_T5_mT6_P12ihipStream_tbENKUlT_T0_E_clISt17integral_constantIbLb1EESV_IbLb0EEEEDaSR_SS_EUlSR_E_NS1_11comp_targetILNS1_3genE10ELNS1_11target_archE1201ELNS1_3gpuE5ELNS1_3repE0EEENS1_30default_config_static_selectorELNS0_4arch9wavefront6targetE1EEEvT1_,comdat
	.protected	_ZN7rocprim17ROCPRIM_400000_NS6detail17trampoline_kernelINS0_14default_configENS1_20scan_config_selectorIiEEZZNS1_9scan_implILNS1_25lookback_scan_determinismE0ELb1ELb1ES3_N6thrust23THRUST_200600_302600_NS6detail15normal_iteratorINS9_10device_ptrIjEEEENSB_INSC_IfEEEEiNS9_4plusIvEEiEEDaPvRmT3_T4_T5_mT6_P12ihipStream_tbENKUlT_T0_E_clISt17integral_constantIbLb1EESV_IbLb0EEEEDaSR_SS_EUlSR_E_NS1_11comp_targetILNS1_3genE10ELNS1_11target_archE1201ELNS1_3gpuE5ELNS1_3repE0EEENS1_30default_config_static_selectorELNS0_4arch9wavefront6targetE1EEEvT1_ ; -- Begin function _ZN7rocprim17ROCPRIM_400000_NS6detail17trampoline_kernelINS0_14default_configENS1_20scan_config_selectorIiEEZZNS1_9scan_implILNS1_25lookback_scan_determinismE0ELb1ELb1ES3_N6thrust23THRUST_200600_302600_NS6detail15normal_iteratorINS9_10device_ptrIjEEEENSB_INSC_IfEEEEiNS9_4plusIvEEiEEDaPvRmT3_T4_T5_mT6_P12ihipStream_tbENKUlT_T0_E_clISt17integral_constantIbLb1EESV_IbLb0EEEEDaSR_SS_EUlSR_E_NS1_11comp_targetILNS1_3genE10ELNS1_11target_archE1201ELNS1_3gpuE5ELNS1_3repE0EEENS1_30default_config_static_selectorELNS0_4arch9wavefront6targetE1EEEvT1_
	.globl	_ZN7rocprim17ROCPRIM_400000_NS6detail17trampoline_kernelINS0_14default_configENS1_20scan_config_selectorIiEEZZNS1_9scan_implILNS1_25lookback_scan_determinismE0ELb1ELb1ES3_N6thrust23THRUST_200600_302600_NS6detail15normal_iteratorINS9_10device_ptrIjEEEENSB_INSC_IfEEEEiNS9_4plusIvEEiEEDaPvRmT3_T4_T5_mT6_P12ihipStream_tbENKUlT_T0_E_clISt17integral_constantIbLb1EESV_IbLb0EEEEDaSR_SS_EUlSR_E_NS1_11comp_targetILNS1_3genE10ELNS1_11target_archE1201ELNS1_3gpuE5ELNS1_3repE0EEENS1_30default_config_static_selectorELNS0_4arch9wavefront6targetE1EEEvT1_
	.p2align	8
	.type	_ZN7rocprim17ROCPRIM_400000_NS6detail17trampoline_kernelINS0_14default_configENS1_20scan_config_selectorIiEEZZNS1_9scan_implILNS1_25lookback_scan_determinismE0ELb1ELb1ES3_N6thrust23THRUST_200600_302600_NS6detail15normal_iteratorINS9_10device_ptrIjEEEENSB_INSC_IfEEEEiNS9_4plusIvEEiEEDaPvRmT3_T4_T5_mT6_P12ihipStream_tbENKUlT_T0_E_clISt17integral_constantIbLb1EESV_IbLb0EEEEDaSR_SS_EUlSR_E_NS1_11comp_targetILNS1_3genE10ELNS1_11target_archE1201ELNS1_3gpuE5ELNS1_3repE0EEENS1_30default_config_static_selectorELNS0_4arch9wavefront6targetE1EEEvT1_,@function
_ZN7rocprim17ROCPRIM_400000_NS6detail17trampoline_kernelINS0_14default_configENS1_20scan_config_selectorIiEEZZNS1_9scan_implILNS1_25lookback_scan_determinismE0ELb1ELb1ES3_N6thrust23THRUST_200600_302600_NS6detail15normal_iteratorINS9_10device_ptrIjEEEENSB_INSC_IfEEEEiNS9_4plusIvEEiEEDaPvRmT3_T4_T5_mT6_P12ihipStream_tbENKUlT_T0_E_clISt17integral_constantIbLb1EESV_IbLb0EEEEDaSR_SS_EUlSR_E_NS1_11comp_targetILNS1_3genE10ELNS1_11target_archE1201ELNS1_3gpuE5ELNS1_3repE0EEENS1_30default_config_static_selectorELNS0_4arch9wavefront6targetE1EEEvT1_: ; @_ZN7rocprim17ROCPRIM_400000_NS6detail17trampoline_kernelINS0_14default_configENS1_20scan_config_selectorIiEEZZNS1_9scan_implILNS1_25lookback_scan_determinismE0ELb1ELb1ES3_N6thrust23THRUST_200600_302600_NS6detail15normal_iteratorINS9_10device_ptrIjEEEENSB_INSC_IfEEEEiNS9_4plusIvEEiEEDaPvRmT3_T4_T5_mT6_P12ihipStream_tbENKUlT_T0_E_clISt17integral_constantIbLb1EESV_IbLb0EEEEDaSR_SS_EUlSR_E_NS1_11comp_targetILNS1_3genE10ELNS1_11target_archE1201ELNS1_3gpuE5ELNS1_3repE0EEENS1_30default_config_static_selectorELNS0_4arch9wavefront6targetE1EEEvT1_
; %bb.0:
	.section	.rodata,"a",@progbits
	.p2align	6, 0x0
	.amdhsa_kernel _ZN7rocprim17ROCPRIM_400000_NS6detail17trampoline_kernelINS0_14default_configENS1_20scan_config_selectorIiEEZZNS1_9scan_implILNS1_25lookback_scan_determinismE0ELb1ELb1ES3_N6thrust23THRUST_200600_302600_NS6detail15normal_iteratorINS9_10device_ptrIjEEEENSB_INSC_IfEEEEiNS9_4plusIvEEiEEDaPvRmT3_T4_T5_mT6_P12ihipStream_tbENKUlT_T0_E_clISt17integral_constantIbLb1EESV_IbLb0EEEEDaSR_SS_EUlSR_E_NS1_11comp_targetILNS1_3genE10ELNS1_11target_archE1201ELNS1_3gpuE5ELNS1_3repE0EEENS1_30default_config_static_selectorELNS0_4arch9wavefront6targetE1EEEvT1_
		.amdhsa_group_segment_fixed_size 0
		.amdhsa_private_segment_fixed_size 0
		.amdhsa_kernarg_size 96
		.amdhsa_user_sgpr_count 6
		.amdhsa_user_sgpr_private_segment_buffer 1
		.amdhsa_user_sgpr_dispatch_ptr 0
		.amdhsa_user_sgpr_queue_ptr 0
		.amdhsa_user_sgpr_kernarg_segment_ptr 1
		.amdhsa_user_sgpr_dispatch_id 0
		.amdhsa_user_sgpr_flat_scratch_init 0
		.amdhsa_user_sgpr_kernarg_preload_length 0
		.amdhsa_user_sgpr_kernarg_preload_offset 0
		.amdhsa_user_sgpr_private_segment_size 0
		.amdhsa_uses_dynamic_stack 0
		.amdhsa_system_sgpr_private_segment_wavefront_offset 0
		.amdhsa_system_sgpr_workgroup_id_x 1
		.amdhsa_system_sgpr_workgroup_id_y 0
		.amdhsa_system_sgpr_workgroup_id_z 0
		.amdhsa_system_sgpr_workgroup_info 0
		.amdhsa_system_vgpr_workitem_id 0
		.amdhsa_next_free_vgpr 1
		.amdhsa_next_free_sgpr 0
		.amdhsa_accum_offset 4
		.amdhsa_reserve_vcc 0
		.amdhsa_reserve_flat_scratch 0
		.amdhsa_float_round_mode_32 0
		.amdhsa_float_round_mode_16_64 0
		.amdhsa_float_denorm_mode_32 3
		.amdhsa_float_denorm_mode_16_64 3
		.amdhsa_dx10_clamp 1
		.amdhsa_ieee_mode 1
		.amdhsa_fp16_overflow 0
		.amdhsa_tg_split 0
		.amdhsa_exception_fp_ieee_invalid_op 0
		.amdhsa_exception_fp_denorm_src 0
		.amdhsa_exception_fp_ieee_div_zero 0
		.amdhsa_exception_fp_ieee_overflow 0
		.amdhsa_exception_fp_ieee_underflow 0
		.amdhsa_exception_fp_ieee_inexact 0
		.amdhsa_exception_int_div_zero 0
	.end_amdhsa_kernel
	.section	.text._ZN7rocprim17ROCPRIM_400000_NS6detail17trampoline_kernelINS0_14default_configENS1_20scan_config_selectorIiEEZZNS1_9scan_implILNS1_25lookback_scan_determinismE0ELb1ELb1ES3_N6thrust23THRUST_200600_302600_NS6detail15normal_iteratorINS9_10device_ptrIjEEEENSB_INSC_IfEEEEiNS9_4plusIvEEiEEDaPvRmT3_T4_T5_mT6_P12ihipStream_tbENKUlT_T0_E_clISt17integral_constantIbLb1EESV_IbLb0EEEEDaSR_SS_EUlSR_E_NS1_11comp_targetILNS1_3genE10ELNS1_11target_archE1201ELNS1_3gpuE5ELNS1_3repE0EEENS1_30default_config_static_selectorELNS0_4arch9wavefront6targetE1EEEvT1_,"axG",@progbits,_ZN7rocprim17ROCPRIM_400000_NS6detail17trampoline_kernelINS0_14default_configENS1_20scan_config_selectorIiEEZZNS1_9scan_implILNS1_25lookback_scan_determinismE0ELb1ELb1ES3_N6thrust23THRUST_200600_302600_NS6detail15normal_iteratorINS9_10device_ptrIjEEEENSB_INSC_IfEEEEiNS9_4plusIvEEiEEDaPvRmT3_T4_T5_mT6_P12ihipStream_tbENKUlT_T0_E_clISt17integral_constantIbLb1EESV_IbLb0EEEEDaSR_SS_EUlSR_E_NS1_11comp_targetILNS1_3genE10ELNS1_11target_archE1201ELNS1_3gpuE5ELNS1_3repE0EEENS1_30default_config_static_selectorELNS0_4arch9wavefront6targetE1EEEvT1_,comdat
.Lfunc_end6201:
	.size	_ZN7rocprim17ROCPRIM_400000_NS6detail17trampoline_kernelINS0_14default_configENS1_20scan_config_selectorIiEEZZNS1_9scan_implILNS1_25lookback_scan_determinismE0ELb1ELb1ES3_N6thrust23THRUST_200600_302600_NS6detail15normal_iteratorINS9_10device_ptrIjEEEENSB_INSC_IfEEEEiNS9_4plusIvEEiEEDaPvRmT3_T4_T5_mT6_P12ihipStream_tbENKUlT_T0_E_clISt17integral_constantIbLb1EESV_IbLb0EEEEDaSR_SS_EUlSR_E_NS1_11comp_targetILNS1_3genE10ELNS1_11target_archE1201ELNS1_3gpuE5ELNS1_3repE0EEENS1_30default_config_static_selectorELNS0_4arch9wavefront6targetE1EEEvT1_, .Lfunc_end6201-_ZN7rocprim17ROCPRIM_400000_NS6detail17trampoline_kernelINS0_14default_configENS1_20scan_config_selectorIiEEZZNS1_9scan_implILNS1_25lookback_scan_determinismE0ELb1ELb1ES3_N6thrust23THRUST_200600_302600_NS6detail15normal_iteratorINS9_10device_ptrIjEEEENSB_INSC_IfEEEEiNS9_4plusIvEEiEEDaPvRmT3_T4_T5_mT6_P12ihipStream_tbENKUlT_T0_E_clISt17integral_constantIbLb1EESV_IbLb0EEEEDaSR_SS_EUlSR_E_NS1_11comp_targetILNS1_3genE10ELNS1_11target_archE1201ELNS1_3gpuE5ELNS1_3repE0EEENS1_30default_config_static_selectorELNS0_4arch9wavefront6targetE1EEEvT1_
                                        ; -- End function
	.section	.AMDGPU.csdata,"",@progbits
; Kernel info:
; codeLenInByte = 0
; NumSgprs: 4
; NumVgprs: 0
; NumAgprs: 0
; TotalNumVgprs: 0
; ScratchSize: 0
; MemoryBound: 0
; FloatMode: 240
; IeeeMode: 1
; LDSByteSize: 0 bytes/workgroup (compile time only)
; SGPRBlocks: 0
; VGPRBlocks: 0
; NumSGPRsForWavesPerEU: 4
; NumVGPRsForWavesPerEU: 1
; AccumOffset: 4
; Occupancy: 8
; WaveLimiterHint : 0
; COMPUTE_PGM_RSRC2:SCRATCH_EN: 0
; COMPUTE_PGM_RSRC2:USER_SGPR: 6
; COMPUTE_PGM_RSRC2:TRAP_HANDLER: 0
; COMPUTE_PGM_RSRC2:TGID_X_EN: 1
; COMPUTE_PGM_RSRC2:TGID_Y_EN: 0
; COMPUTE_PGM_RSRC2:TGID_Z_EN: 0
; COMPUTE_PGM_RSRC2:TIDIG_COMP_CNT: 0
; COMPUTE_PGM_RSRC3_GFX90A:ACCUM_OFFSET: 0
; COMPUTE_PGM_RSRC3_GFX90A:TG_SPLIT: 0
	.section	.text._ZN7rocprim17ROCPRIM_400000_NS6detail17trampoline_kernelINS0_14default_configENS1_20scan_config_selectorIiEEZZNS1_9scan_implILNS1_25lookback_scan_determinismE0ELb1ELb1ES3_N6thrust23THRUST_200600_302600_NS6detail15normal_iteratorINS9_10device_ptrIjEEEENSB_INSC_IfEEEEiNS9_4plusIvEEiEEDaPvRmT3_T4_T5_mT6_P12ihipStream_tbENKUlT_T0_E_clISt17integral_constantIbLb1EESV_IbLb0EEEEDaSR_SS_EUlSR_E_NS1_11comp_targetILNS1_3genE10ELNS1_11target_archE1200ELNS1_3gpuE4ELNS1_3repE0EEENS1_30default_config_static_selectorELNS0_4arch9wavefront6targetE1EEEvT1_,"axG",@progbits,_ZN7rocprim17ROCPRIM_400000_NS6detail17trampoline_kernelINS0_14default_configENS1_20scan_config_selectorIiEEZZNS1_9scan_implILNS1_25lookback_scan_determinismE0ELb1ELb1ES3_N6thrust23THRUST_200600_302600_NS6detail15normal_iteratorINS9_10device_ptrIjEEEENSB_INSC_IfEEEEiNS9_4plusIvEEiEEDaPvRmT3_T4_T5_mT6_P12ihipStream_tbENKUlT_T0_E_clISt17integral_constantIbLb1EESV_IbLb0EEEEDaSR_SS_EUlSR_E_NS1_11comp_targetILNS1_3genE10ELNS1_11target_archE1200ELNS1_3gpuE4ELNS1_3repE0EEENS1_30default_config_static_selectorELNS0_4arch9wavefront6targetE1EEEvT1_,comdat
	.protected	_ZN7rocprim17ROCPRIM_400000_NS6detail17trampoline_kernelINS0_14default_configENS1_20scan_config_selectorIiEEZZNS1_9scan_implILNS1_25lookback_scan_determinismE0ELb1ELb1ES3_N6thrust23THRUST_200600_302600_NS6detail15normal_iteratorINS9_10device_ptrIjEEEENSB_INSC_IfEEEEiNS9_4plusIvEEiEEDaPvRmT3_T4_T5_mT6_P12ihipStream_tbENKUlT_T0_E_clISt17integral_constantIbLb1EESV_IbLb0EEEEDaSR_SS_EUlSR_E_NS1_11comp_targetILNS1_3genE10ELNS1_11target_archE1200ELNS1_3gpuE4ELNS1_3repE0EEENS1_30default_config_static_selectorELNS0_4arch9wavefront6targetE1EEEvT1_ ; -- Begin function _ZN7rocprim17ROCPRIM_400000_NS6detail17trampoline_kernelINS0_14default_configENS1_20scan_config_selectorIiEEZZNS1_9scan_implILNS1_25lookback_scan_determinismE0ELb1ELb1ES3_N6thrust23THRUST_200600_302600_NS6detail15normal_iteratorINS9_10device_ptrIjEEEENSB_INSC_IfEEEEiNS9_4plusIvEEiEEDaPvRmT3_T4_T5_mT6_P12ihipStream_tbENKUlT_T0_E_clISt17integral_constantIbLb1EESV_IbLb0EEEEDaSR_SS_EUlSR_E_NS1_11comp_targetILNS1_3genE10ELNS1_11target_archE1200ELNS1_3gpuE4ELNS1_3repE0EEENS1_30default_config_static_selectorELNS0_4arch9wavefront6targetE1EEEvT1_
	.globl	_ZN7rocprim17ROCPRIM_400000_NS6detail17trampoline_kernelINS0_14default_configENS1_20scan_config_selectorIiEEZZNS1_9scan_implILNS1_25lookback_scan_determinismE0ELb1ELb1ES3_N6thrust23THRUST_200600_302600_NS6detail15normal_iteratorINS9_10device_ptrIjEEEENSB_INSC_IfEEEEiNS9_4plusIvEEiEEDaPvRmT3_T4_T5_mT6_P12ihipStream_tbENKUlT_T0_E_clISt17integral_constantIbLb1EESV_IbLb0EEEEDaSR_SS_EUlSR_E_NS1_11comp_targetILNS1_3genE10ELNS1_11target_archE1200ELNS1_3gpuE4ELNS1_3repE0EEENS1_30default_config_static_selectorELNS0_4arch9wavefront6targetE1EEEvT1_
	.p2align	8
	.type	_ZN7rocprim17ROCPRIM_400000_NS6detail17trampoline_kernelINS0_14default_configENS1_20scan_config_selectorIiEEZZNS1_9scan_implILNS1_25lookback_scan_determinismE0ELb1ELb1ES3_N6thrust23THRUST_200600_302600_NS6detail15normal_iteratorINS9_10device_ptrIjEEEENSB_INSC_IfEEEEiNS9_4plusIvEEiEEDaPvRmT3_T4_T5_mT6_P12ihipStream_tbENKUlT_T0_E_clISt17integral_constantIbLb1EESV_IbLb0EEEEDaSR_SS_EUlSR_E_NS1_11comp_targetILNS1_3genE10ELNS1_11target_archE1200ELNS1_3gpuE4ELNS1_3repE0EEENS1_30default_config_static_selectorELNS0_4arch9wavefront6targetE1EEEvT1_,@function
_ZN7rocprim17ROCPRIM_400000_NS6detail17trampoline_kernelINS0_14default_configENS1_20scan_config_selectorIiEEZZNS1_9scan_implILNS1_25lookback_scan_determinismE0ELb1ELb1ES3_N6thrust23THRUST_200600_302600_NS6detail15normal_iteratorINS9_10device_ptrIjEEEENSB_INSC_IfEEEEiNS9_4plusIvEEiEEDaPvRmT3_T4_T5_mT6_P12ihipStream_tbENKUlT_T0_E_clISt17integral_constantIbLb1EESV_IbLb0EEEEDaSR_SS_EUlSR_E_NS1_11comp_targetILNS1_3genE10ELNS1_11target_archE1200ELNS1_3gpuE4ELNS1_3repE0EEENS1_30default_config_static_selectorELNS0_4arch9wavefront6targetE1EEEvT1_: ; @_ZN7rocprim17ROCPRIM_400000_NS6detail17trampoline_kernelINS0_14default_configENS1_20scan_config_selectorIiEEZZNS1_9scan_implILNS1_25lookback_scan_determinismE0ELb1ELb1ES3_N6thrust23THRUST_200600_302600_NS6detail15normal_iteratorINS9_10device_ptrIjEEEENSB_INSC_IfEEEEiNS9_4plusIvEEiEEDaPvRmT3_T4_T5_mT6_P12ihipStream_tbENKUlT_T0_E_clISt17integral_constantIbLb1EESV_IbLb0EEEEDaSR_SS_EUlSR_E_NS1_11comp_targetILNS1_3genE10ELNS1_11target_archE1200ELNS1_3gpuE4ELNS1_3repE0EEENS1_30default_config_static_selectorELNS0_4arch9wavefront6targetE1EEEvT1_
; %bb.0:
	.section	.rodata,"a",@progbits
	.p2align	6, 0x0
	.amdhsa_kernel _ZN7rocprim17ROCPRIM_400000_NS6detail17trampoline_kernelINS0_14default_configENS1_20scan_config_selectorIiEEZZNS1_9scan_implILNS1_25lookback_scan_determinismE0ELb1ELb1ES3_N6thrust23THRUST_200600_302600_NS6detail15normal_iteratorINS9_10device_ptrIjEEEENSB_INSC_IfEEEEiNS9_4plusIvEEiEEDaPvRmT3_T4_T5_mT6_P12ihipStream_tbENKUlT_T0_E_clISt17integral_constantIbLb1EESV_IbLb0EEEEDaSR_SS_EUlSR_E_NS1_11comp_targetILNS1_3genE10ELNS1_11target_archE1200ELNS1_3gpuE4ELNS1_3repE0EEENS1_30default_config_static_selectorELNS0_4arch9wavefront6targetE1EEEvT1_
		.amdhsa_group_segment_fixed_size 0
		.amdhsa_private_segment_fixed_size 0
		.amdhsa_kernarg_size 96
		.amdhsa_user_sgpr_count 6
		.amdhsa_user_sgpr_private_segment_buffer 1
		.amdhsa_user_sgpr_dispatch_ptr 0
		.amdhsa_user_sgpr_queue_ptr 0
		.amdhsa_user_sgpr_kernarg_segment_ptr 1
		.amdhsa_user_sgpr_dispatch_id 0
		.amdhsa_user_sgpr_flat_scratch_init 0
		.amdhsa_user_sgpr_kernarg_preload_length 0
		.amdhsa_user_sgpr_kernarg_preload_offset 0
		.amdhsa_user_sgpr_private_segment_size 0
		.amdhsa_uses_dynamic_stack 0
		.amdhsa_system_sgpr_private_segment_wavefront_offset 0
		.amdhsa_system_sgpr_workgroup_id_x 1
		.amdhsa_system_sgpr_workgroup_id_y 0
		.amdhsa_system_sgpr_workgroup_id_z 0
		.amdhsa_system_sgpr_workgroup_info 0
		.amdhsa_system_vgpr_workitem_id 0
		.amdhsa_next_free_vgpr 1
		.amdhsa_next_free_sgpr 0
		.amdhsa_accum_offset 4
		.amdhsa_reserve_vcc 0
		.amdhsa_reserve_flat_scratch 0
		.amdhsa_float_round_mode_32 0
		.amdhsa_float_round_mode_16_64 0
		.amdhsa_float_denorm_mode_32 3
		.amdhsa_float_denorm_mode_16_64 3
		.amdhsa_dx10_clamp 1
		.amdhsa_ieee_mode 1
		.amdhsa_fp16_overflow 0
		.amdhsa_tg_split 0
		.amdhsa_exception_fp_ieee_invalid_op 0
		.amdhsa_exception_fp_denorm_src 0
		.amdhsa_exception_fp_ieee_div_zero 0
		.amdhsa_exception_fp_ieee_overflow 0
		.amdhsa_exception_fp_ieee_underflow 0
		.amdhsa_exception_fp_ieee_inexact 0
		.amdhsa_exception_int_div_zero 0
	.end_amdhsa_kernel
	.section	.text._ZN7rocprim17ROCPRIM_400000_NS6detail17trampoline_kernelINS0_14default_configENS1_20scan_config_selectorIiEEZZNS1_9scan_implILNS1_25lookback_scan_determinismE0ELb1ELb1ES3_N6thrust23THRUST_200600_302600_NS6detail15normal_iteratorINS9_10device_ptrIjEEEENSB_INSC_IfEEEEiNS9_4plusIvEEiEEDaPvRmT3_T4_T5_mT6_P12ihipStream_tbENKUlT_T0_E_clISt17integral_constantIbLb1EESV_IbLb0EEEEDaSR_SS_EUlSR_E_NS1_11comp_targetILNS1_3genE10ELNS1_11target_archE1200ELNS1_3gpuE4ELNS1_3repE0EEENS1_30default_config_static_selectorELNS0_4arch9wavefront6targetE1EEEvT1_,"axG",@progbits,_ZN7rocprim17ROCPRIM_400000_NS6detail17trampoline_kernelINS0_14default_configENS1_20scan_config_selectorIiEEZZNS1_9scan_implILNS1_25lookback_scan_determinismE0ELb1ELb1ES3_N6thrust23THRUST_200600_302600_NS6detail15normal_iteratorINS9_10device_ptrIjEEEENSB_INSC_IfEEEEiNS9_4plusIvEEiEEDaPvRmT3_T4_T5_mT6_P12ihipStream_tbENKUlT_T0_E_clISt17integral_constantIbLb1EESV_IbLb0EEEEDaSR_SS_EUlSR_E_NS1_11comp_targetILNS1_3genE10ELNS1_11target_archE1200ELNS1_3gpuE4ELNS1_3repE0EEENS1_30default_config_static_selectorELNS0_4arch9wavefront6targetE1EEEvT1_,comdat
.Lfunc_end6202:
	.size	_ZN7rocprim17ROCPRIM_400000_NS6detail17trampoline_kernelINS0_14default_configENS1_20scan_config_selectorIiEEZZNS1_9scan_implILNS1_25lookback_scan_determinismE0ELb1ELb1ES3_N6thrust23THRUST_200600_302600_NS6detail15normal_iteratorINS9_10device_ptrIjEEEENSB_INSC_IfEEEEiNS9_4plusIvEEiEEDaPvRmT3_T4_T5_mT6_P12ihipStream_tbENKUlT_T0_E_clISt17integral_constantIbLb1EESV_IbLb0EEEEDaSR_SS_EUlSR_E_NS1_11comp_targetILNS1_3genE10ELNS1_11target_archE1200ELNS1_3gpuE4ELNS1_3repE0EEENS1_30default_config_static_selectorELNS0_4arch9wavefront6targetE1EEEvT1_, .Lfunc_end6202-_ZN7rocprim17ROCPRIM_400000_NS6detail17trampoline_kernelINS0_14default_configENS1_20scan_config_selectorIiEEZZNS1_9scan_implILNS1_25lookback_scan_determinismE0ELb1ELb1ES3_N6thrust23THRUST_200600_302600_NS6detail15normal_iteratorINS9_10device_ptrIjEEEENSB_INSC_IfEEEEiNS9_4plusIvEEiEEDaPvRmT3_T4_T5_mT6_P12ihipStream_tbENKUlT_T0_E_clISt17integral_constantIbLb1EESV_IbLb0EEEEDaSR_SS_EUlSR_E_NS1_11comp_targetILNS1_3genE10ELNS1_11target_archE1200ELNS1_3gpuE4ELNS1_3repE0EEENS1_30default_config_static_selectorELNS0_4arch9wavefront6targetE1EEEvT1_
                                        ; -- End function
	.section	.AMDGPU.csdata,"",@progbits
; Kernel info:
; codeLenInByte = 0
; NumSgprs: 4
; NumVgprs: 0
; NumAgprs: 0
; TotalNumVgprs: 0
; ScratchSize: 0
; MemoryBound: 0
; FloatMode: 240
; IeeeMode: 1
; LDSByteSize: 0 bytes/workgroup (compile time only)
; SGPRBlocks: 0
; VGPRBlocks: 0
; NumSGPRsForWavesPerEU: 4
; NumVGPRsForWavesPerEU: 1
; AccumOffset: 4
; Occupancy: 8
; WaveLimiterHint : 0
; COMPUTE_PGM_RSRC2:SCRATCH_EN: 0
; COMPUTE_PGM_RSRC2:USER_SGPR: 6
; COMPUTE_PGM_RSRC2:TRAP_HANDLER: 0
; COMPUTE_PGM_RSRC2:TGID_X_EN: 1
; COMPUTE_PGM_RSRC2:TGID_Y_EN: 0
; COMPUTE_PGM_RSRC2:TGID_Z_EN: 0
; COMPUTE_PGM_RSRC2:TIDIG_COMP_CNT: 0
; COMPUTE_PGM_RSRC3_GFX90A:ACCUM_OFFSET: 0
; COMPUTE_PGM_RSRC3_GFX90A:TG_SPLIT: 0
	.section	.text._ZN7rocprim17ROCPRIM_400000_NS6detail17trampoline_kernelINS0_14default_configENS1_20scan_config_selectorIiEEZZNS1_9scan_implILNS1_25lookback_scan_determinismE0ELb1ELb1ES3_N6thrust23THRUST_200600_302600_NS6detail15normal_iteratorINS9_10device_ptrIjEEEENSB_INSC_IfEEEEiNS9_4plusIvEEiEEDaPvRmT3_T4_T5_mT6_P12ihipStream_tbENKUlT_T0_E_clISt17integral_constantIbLb1EESV_IbLb0EEEEDaSR_SS_EUlSR_E_NS1_11comp_targetILNS1_3genE9ELNS1_11target_archE1100ELNS1_3gpuE3ELNS1_3repE0EEENS1_30default_config_static_selectorELNS0_4arch9wavefront6targetE1EEEvT1_,"axG",@progbits,_ZN7rocprim17ROCPRIM_400000_NS6detail17trampoline_kernelINS0_14default_configENS1_20scan_config_selectorIiEEZZNS1_9scan_implILNS1_25lookback_scan_determinismE0ELb1ELb1ES3_N6thrust23THRUST_200600_302600_NS6detail15normal_iteratorINS9_10device_ptrIjEEEENSB_INSC_IfEEEEiNS9_4plusIvEEiEEDaPvRmT3_T4_T5_mT6_P12ihipStream_tbENKUlT_T0_E_clISt17integral_constantIbLb1EESV_IbLb0EEEEDaSR_SS_EUlSR_E_NS1_11comp_targetILNS1_3genE9ELNS1_11target_archE1100ELNS1_3gpuE3ELNS1_3repE0EEENS1_30default_config_static_selectorELNS0_4arch9wavefront6targetE1EEEvT1_,comdat
	.protected	_ZN7rocprim17ROCPRIM_400000_NS6detail17trampoline_kernelINS0_14default_configENS1_20scan_config_selectorIiEEZZNS1_9scan_implILNS1_25lookback_scan_determinismE0ELb1ELb1ES3_N6thrust23THRUST_200600_302600_NS6detail15normal_iteratorINS9_10device_ptrIjEEEENSB_INSC_IfEEEEiNS9_4plusIvEEiEEDaPvRmT3_T4_T5_mT6_P12ihipStream_tbENKUlT_T0_E_clISt17integral_constantIbLb1EESV_IbLb0EEEEDaSR_SS_EUlSR_E_NS1_11comp_targetILNS1_3genE9ELNS1_11target_archE1100ELNS1_3gpuE3ELNS1_3repE0EEENS1_30default_config_static_selectorELNS0_4arch9wavefront6targetE1EEEvT1_ ; -- Begin function _ZN7rocprim17ROCPRIM_400000_NS6detail17trampoline_kernelINS0_14default_configENS1_20scan_config_selectorIiEEZZNS1_9scan_implILNS1_25lookback_scan_determinismE0ELb1ELb1ES3_N6thrust23THRUST_200600_302600_NS6detail15normal_iteratorINS9_10device_ptrIjEEEENSB_INSC_IfEEEEiNS9_4plusIvEEiEEDaPvRmT3_T4_T5_mT6_P12ihipStream_tbENKUlT_T0_E_clISt17integral_constantIbLb1EESV_IbLb0EEEEDaSR_SS_EUlSR_E_NS1_11comp_targetILNS1_3genE9ELNS1_11target_archE1100ELNS1_3gpuE3ELNS1_3repE0EEENS1_30default_config_static_selectorELNS0_4arch9wavefront6targetE1EEEvT1_
	.globl	_ZN7rocprim17ROCPRIM_400000_NS6detail17trampoline_kernelINS0_14default_configENS1_20scan_config_selectorIiEEZZNS1_9scan_implILNS1_25lookback_scan_determinismE0ELb1ELb1ES3_N6thrust23THRUST_200600_302600_NS6detail15normal_iteratorINS9_10device_ptrIjEEEENSB_INSC_IfEEEEiNS9_4plusIvEEiEEDaPvRmT3_T4_T5_mT6_P12ihipStream_tbENKUlT_T0_E_clISt17integral_constantIbLb1EESV_IbLb0EEEEDaSR_SS_EUlSR_E_NS1_11comp_targetILNS1_3genE9ELNS1_11target_archE1100ELNS1_3gpuE3ELNS1_3repE0EEENS1_30default_config_static_selectorELNS0_4arch9wavefront6targetE1EEEvT1_
	.p2align	8
	.type	_ZN7rocprim17ROCPRIM_400000_NS6detail17trampoline_kernelINS0_14default_configENS1_20scan_config_selectorIiEEZZNS1_9scan_implILNS1_25lookback_scan_determinismE0ELb1ELb1ES3_N6thrust23THRUST_200600_302600_NS6detail15normal_iteratorINS9_10device_ptrIjEEEENSB_INSC_IfEEEEiNS9_4plusIvEEiEEDaPvRmT3_T4_T5_mT6_P12ihipStream_tbENKUlT_T0_E_clISt17integral_constantIbLb1EESV_IbLb0EEEEDaSR_SS_EUlSR_E_NS1_11comp_targetILNS1_3genE9ELNS1_11target_archE1100ELNS1_3gpuE3ELNS1_3repE0EEENS1_30default_config_static_selectorELNS0_4arch9wavefront6targetE1EEEvT1_,@function
_ZN7rocprim17ROCPRIM_400000_NS6detail17trampoline_kernelINS0_14default_configENS1_20scan_config_selectorIiEEZZNS1_9scan_implILNS1_25lookback_scan_determinismE0ELb1ELb1ES3_N6thrust23THRUST_200600_302600_NS6detail15normal_iteratorINS9_10device_ptrIjEEEENSB_INSC_IfEEEEiNS9_4plusIvEEiEEDaPvRmT3_T4_T5_mT6_P12ihipStream_tbENKUlT_T0_E_clISt17integral_constantIbLb1EESV_IbLb0EEEEDaSR_SS_EUlSR_E_NS1_11comp_targetILNS1_3genE9ELNS1_11target_archE1100ELNS1_3gpuE3ELNS1_3repE0EEENS1_30default_config_static_selectorELNS0_4arch9wavefront6targetE1EEEvT1_: ; @_ZN7rocprim17ROCPRIM_400000_NS6detail17trampoline_kernelINS0_14default_configENS1_20scan_config_selectorIiEEZZNS1_9scan_implILNS1_25lookback_scan_determinismE0ELb1ELb1ES3_N6thrust23THRUST_200600_302600_NS6detail15normal_iteratorINS9_10device_ptrIjEEEENSB_INSC_IfEEEEiNS9_4plusIvEEiEEDaPvRmT3_T4_T5_mT6_P12ihipStream_tbENKUlT_T0_E_clISt17integral_constantIbLb1EESV_IbLb0EEEEDaSR_SS_EUlSR_E_NS1_11comp_targetILNS1_3genE9ELNS1_11target_archE1100ELNS1_3gpuE3ELNS1_3repE0EEENS1_30default_config_static_selectorELNS0_4arch9wavefront6targetE1EEEvT1_
; %bb.0:
	.section	.rodata,"a",@progbits
	.p2align	6, 0x0
	.amdhsa_kernel _ZN7rocprim17ROCPRIM_400000_NS6detail17trampoline_kernelINS0_14default_configENS1_20scan_config_selectorIiEEZZNS1_9scan_implILNS1_25lookback_scan_determinismE0ELb1ELb1ES3_N6thrust23THRUST_200600_302600_NS6detail15normal_iteratorINS9_10device_ptrIjEEEENSB_INSC_IfEEEEiNS9_4plusIvEEiEEDaPvRmT3_T4_T5_mT6_P12ihipStream_tbENKUlT_T0_E_clISt17integral_constantIbLb1EESV_IbLb0EEEEDaSR_SS_EUlSR_E_NS1_11comp_targetILNS1_3genE9ELNS1_11target_archE1100ELNS1_3gpuE3ELNS1_3repE0EEENS1_30default_config_static_selectorELNS0_4arch9wavefront6targetE1EEEvT1_
		.amdhsa_group_segment_fixed_size 0
		.amdhsa_private_segment_fixed_size 0
		.amdhsa_kernarg_size 96
		.amdhsa_user_sgpr_count 6
		.amdhsa_user_sgpr_private_segment_buffer 1
		.amdhsa_user_sgpr_dispatch_ptr 0
		.amdhsa_user_sgpr_queue_ptr 0
		.amdhsa_user_sgpr_kernarg_segment_ptr 1
		.amdhsa_user_sgpr_dispatch_id 0
		.amdhsa_user_sgpr_flat_scratch_init 0
		.amdhsa_user_sgpr_kernarg_preload_length 0
		.amdhsa_user_sgpr_kernarg_preload_offset 0
		.amdhsa_user_sgpr_private_segment_size 0
		.amdhsa_uses_dynamic_stack 0
		.amdhsa_system_sgpr_private_segment_wavefront_offset 0
		.amdhsa_system_sgpr_workgroup_id_x 1
		.amdhsa_system_sgpr_workgroup_id_y 0
		.amdhsa_system_sgpr_workgroup_id_z 0
		.amdhsa_system_sgpr_workgroup_info 0
		.amdhsa_system_vgpr_workitem_id 0
		.amdhsa_next_free_vgpr 1
		.amdhsa_next_free_sgpr 0
		.amdhsa_accum_offset 4
		.amdhsa_reserve_vcc 0
		.amdhsa_reserve_flat_scratch 0
		.amdhsa_float_round_mode_32 0
		.amdhsa_float_round_mode_16_64 0
		.amdhsa_float_denorm_mode_32 3
		.amdhsa_float_denorm_mode_16_64 3
		.amdhsa_dx10_clamp 1
		.amdhsa_ieee_mode 1
		.amdhsa_fp16_overflow 0
		.amdhsa_tg_split 0
		.amdhsa_exception_fp_ieee_invalid_op 0
		.amdhsa_exception_fp_denorm_src 0
		.amdhsa_exception_fp_ieee_div_zero 0
		.amdhsa_exception_fp_ieee_overflow 0
		.amdhsa_exception_fp_ieee_underflow 0
		.amdhsa_exception_fp_ieee_inexact 0
		.amdhsa_exception_int_div_zero 0
	.end_amdhsa_kernel
	.section	.text._ZN7rocprim17ROCPRIM_400000_NS6detail17trampoline_kernelINS0_14default_configENS1_20scan_config_selectorIiEEZZNS1_9scan_implILNS1_25lookback_scan_determinismE0ELb1ELb1ES3_N6thrust23THRUST_200600_302600_NS6detail15normal_iteratorINS9_10device_ptrIjEEEENSB_INSC_IfEEEEiNS9_4plusIvEEiEEDaPvRmT3_T4_T5_mT6_P12ihipStream_tbENKUlT_T0_E_clISt17integral_constantIbLb1EESV_IbLb0EEEEDaSR_SS_EUlSR_E_NS1_11comp_targetILNS1_3genE9ELNS1_11target_archE1100ELNS1_3gpuE3ELNS1_3repE0EEENS1_30default_config_static_selectorELNS0_4arch9wavefront6targetE1EEEvT1_,"axG",@progbits,_ZN7rocprim17ROCPRIM_400000_NS6detail17trampoline_kernelINS0_14default_configENS1_20scan_config_selectorIiEEZZNS1_9scan_implILNS1_25lookback_scan_determinismE0ELb1ELb1ES3_N6thrust23THRUST_200600_302600_NS6detail15normal_iteratorINS9_10device_ptrIjEEEENSB_INSC_IfEEEEiNS9_4plusIvEEiEEDaPvRmT3_T4_T5_mT6_P12ihipStream_tbENKUlT_T0_E_clISt17integral_constantIbLb1EESV_IbLb0EEEEDaSR_SS_EUlSR_E_NS1_11comp_targetILNS1_3genE9ELNS1_11target_archE1100ELNS1_3gpuE3ELNS1_3repE0EEENS1_30default_config_static_selectorELNS0_4arch9wavefront6targetE1EEEvT1_,comdat
.Lfunc_end6203:
	.size	_ZN7rocprim17ROCPRIM_400000_NS6detail17trampoline_kernelINS0_14default_configENS1_20scan_config_selectorIiEEZZNS1_9scan_implILNS1_25lookback_scan_determinismE0ELb1ELb1ES3_N6thrust23THRUST_200600_302600_NS6detail15normal_iteratorINS9_10device_ptrIjEEEENSB_INSC_IfEEEEiNS9_4plusIvEEiEEDaPvRmT3_T4_T5_mT6_P12ihipStream_tbENKUlT_T0_E_clISt17integral_constantIbLb1EESV_IbLb0EEEEDaSR_SS_EUlSR_E_NS1_11comp_targetILNS1_3genE9ELNS1_11target_archE1100ELNS1_3gpuE3ELNS1_3repE0EEENS1_30default_config_static_selectorELNS0_4arch9wavefront6targetE1EEEvT1_, .Lfunc_end6203-_ZN7rocprim17ROCPRIM_400000_NS6detail17trampoline_kernelINS0_14default_configENS1_20scan_config_selectorIiEEZZNS1_9scan_implILNS1_25lookback_scan_determinismE0ELb1ELb1ES3_N6thrust23THRUST_200600_302600_NS6detail15normal_iteratorINS9_10device_ptrIjEEEENSB_INSC_IfEEEEiNS9_4plusIvEEiEEDaPvRmT3_T4_T5_mT6_P12ihipStream_tbENKUlT_T0_E_clISt17integral_constantIbLb1EESV_IbLb0EEEEDaSR_SS_EUlSR_E_NS1_11comp_targetILNS1_3genE9ELNS1_11target_archE1100ELNS1_3gpuE3ELNS1_3repE0EEENS1_30default_config_static_selectorELNS0_4arch9wavefront6targetE1EEEvT1_
                                        ; -- End function
	.section	.AMDGPU.csdata,"",@progbits
; Kernel info:
; codeLenInByte = 0
; NumSgprs: 4
; NumVgprs: 0
; NumAgprs: 0
; TotalNumVgprs: 0
; ScratchSize: 0
; MemoryBound: 0
; FloatMode: 240
; IeeeMode: 1
; LDSByteSize: 0 bytes/workgroup (compile time only)
; SGPRBlocks: 0
; VGPRBlocks: 0
; NumSGPRsForWavesPerEU: 4
; NumVGPRsForWavesPerEU: 1
; AccumOffset: 4
; Occupancy: 8
; WaveLimiterHint : 0
; COMPUTE_PGM_RSRC2:SCRATCH_EN: 0
; COMPUTE_PGM_RSRC2:USER_SGPR: 6
; COMPUTE_PGM_RSRC2:TRAP_HANDLER: 0
; COMPUTE_PGM_RSRC2:TGID_X_EN: 1
; COMPUTE_PGM_RSRC2:TGID_Y_EN: 0
; COMPUTE_PGM_RSRC2:TGID_Z_EN: 0
; COMPUTE_PGM_RSRC2:TIDIG_COMP_CNT: 0
; COMPUTE_PGM_RSRC3_GFX90A:ACCUM_OFFSET: 0
; COMPUTE_PGM_RSRC3_GFX90A:TG_SPLIT: 0
	.section	.text._ZN7rocprim17ROCPRIM_400000_NS6detail17trampoline_kernelINS0_14default_configENS1_20scan_config_selectorIiEEZZNS1_9scan_implILNS1_25lookback_scan_determinismE0ELb1ELb1ES3_N6thrust23THRUST_200600_302600_NS6detail15normal_iteratorINS9_10device_ptrIjEEEENSB_INSC_IfEEEEiNS9_4plusIvEEiEEDaPvRmT3_T4_T5_mT6_P12ihipStream_tbENKUlT_T0_E_clISt17integral_constantIbLb1EESV_IbLb0EEEEDaSR_SS_EUlSR_E_NS1_11comp_targetILNS1_3genE8ELNS1_11target_archE1030ELNS1_3gpuE2ELNS1_3repE0EEENS1_30default_config_static_selectorELNS0_4arch9wavefront6targetE1EEEvT1_,"axG",@progbits,_ZN7rocprim17ROCPRIM_400000_NS6detail17trampoline_kernelINS0_14default_configENS1_20scan_config_selectorIiEEZZNS1_9scan_implILNS1_25lookback_scan_determinismE0ELb1ELb1ES3_N6thrust23THRUST_200600_302600_NS6detail15normal_iteratorINS9_10device_ptrIjEEEENSB_INSC_IfEEEEiNS9_4plusIvEEiEEDaPvRmT3_T4_T5_mT6_P12ihipStream_tbENKUlT_T0_E_clISt17integral_constantIbLb1EESV_IbLb0EEEEDaSR_SS_EUlSR_E_NS1_11comp_targetILNS1_3genE8ELNS1_11target_archE1030ELNS1_3gpuE2ELNS1_3repE0EEENS1_30default_config_static_selectorELNS0_4arch9wavefront6targetE1EEEvT1_,comdat
	.protected	_ZN7rocprim17ROCPRIM_400000_NS6detail17trampoline_kernelINS0_14default_configENS1_20scan_config_selectorIiEEZZNS1_9scan_implILNS1_25lookback_scan_determinismE0ELb1ELb1ES3_N6thrust23THRUST_200600_302600_NS6detail15normal_iteratorINS9_10device_ptrIjEEEENSB_INSC_IfEEEEiNS9_4plusIvEEiEEDaPvRmT3_T4_T5_mT6_P12ihipStream_tbENKUlT_T0_E_clISt17integral_constantIbLb1EESV_IbLb0EEEEDaSR_SS_EUlSR_E_NS1_11comp_targetILNS1_3genE8ELNS1_11target_archE1030ELNS1_3gpuE2ELNS1_3repE0EEENS1_30default_config_static_selectorELNS0_4arch9wavefront6targetE1EEEvT1_ ; -- Begin function _ZN7rocprim17ROCPRIM_400000_NS6detail17trampoline_kernelINS0_14default_configENS1_20scan_config_selectorIiEEZZNS1_9scan_implILNS1_25lookback_scan_determinismE0ELb1ELb1ES3_N6thrust23THRUST_200600_302600_NS6detail15normal_iteratorINS9_10device_ptrIjEEEENSB_INSC_IfEEEEiNS9_4plusIvEEiEEDaPvRmT3_T4_T5_mT6_P12ihipStream_tbENKUlT_T0_E_clISt17integral_constantIbLb1EESV_IbLb0EEEEDaSR_SS_EUlSR_E_NS1_11comp_targetILNS1_3genE8ELNS1_11target_archE1030ELNS1_3gpuE2ELNS1_3repE0EEENS1_30default_config_static_selectorELNS0_4arch9wavefront6targetE1EEEvT1_
	.globl	_ZN7rocprim17ROCPRIM_400000_NS6detail17trampoline_kernelINS0_14default_configENS1_20scan_config_selectorIiEEZZNS1_9scan_implILNS1_25lookback_scan_determinismE0ELb1ELb1ES3_N6thrust23THRUST_200600_302600_NS6detail15normal_iteratorINS9_10device_ptrIjEEEENSB_INSC_IfEEEEiNS9_4plusIvEEiEEDaPvRmT3_T4_T5_mT6_P12ihipStream_tbENKUlT_T0_E_clISt17integral_constantIbLb1EESV_IbLb0EEEEDaSR_SS_EUlSR_E_NS1_11comp_targetILNS1_3genE8ELNS1_11target_archE1030ELNS1_3gpuE2ELNS1_3repE0EEENS1_30default_config_static_selectorELNS0_4arch9wavefront6targetE1EEEvT1_
	.p2align	8
	.type	_ZN7rocprim17ROCPRIM_400000_NS6detail17trampoline_kernelINS0_14default_configENS1_20scan_config_selectorIiEEZZNS1_9scan_implILNS1_25lookback_scan_determinismE0ELb1ELb1ES3_N6thrust23THRUST_200600_302600_NS6detail15normal_iteratorINS9_10device_ptrIjEEEENSB_INSC_IfEEEEiNS9_4plusIvEEiEEDaPvRmT3_T4_T5_mT6_P12ihipStream_tbENKUlT_T0_E_clISt17integral_constantIbLb1EESV_IbLb0EEEEDaSR_SS_EUlSR_E_NS1_11comp_targetILNS1_3genE8ELNS1_11target_archE1030ELNS1_3gpuE2ELNS1_3repE0EEENS1_30default_config_static_selectorELNS0_4arch9wavefront6targetE1EEEvT1_,@function
_ZN7rocprim17ROCPRIM_400000_NS6detail17trampoline_kernelINS0_14default_configENS1_20scan_config_selectorIiEEZZNS1_9scan_implILNS1_25lookback_scan_determinismE0ELb1ELb1ES3_N6thrust23THRUST_200600_302600_NS6detail15normal_iteratorINS9_10device_ptrIjEEEENSB_INSC_IfEEEEiNS9_4plusIvEEiEEDaPvRmT3_T4_T5_mT6_P12ihipStream_tbENKUlT_T0_E_clISt17integral_constantIbLb1EESV_IbLb0EEEEDaSR_SS_EUlSR_E_NS1_11comp_targetILNS1_3genE8ELNS1_11target_archE1030ELNS1_3gpuE2ELNS1_3repE0EEENS1_30default_config_static_selectorELNS0_4arch9wavefront6targetE1EEEvT1_: ; @_ZN7rocprim17ROCPRIM_400000_NS6detail17trampoline_kernelINS0_14default_configENS1_20scan_config_selectorIiEEZZNS1_9scan_implILNS1_25lookback_scan_determinismE0ELb1ELb1ES3_N6thrust23THRUST_200600_302600_NS6detail15normal_iteratorINS9_10device_ptrIjEEEENSB_INSC_IfEEEEiNS9_4plusIvEEiEEDaPvRmT3_T4_T5_mT6_P12ihipStream_tbENKUlT_T0_E_clISt17integral_constantIbLb1EESV_IbLb0EEEEDaSR_SS_EUlSR_E_NS1_11comp_targetILNS1_3genE8ELNS1_11target_archE1030ELNS1_3gpuE2ELNS1_3repE0EEENS1_30default_config_static_selectorELNS0_4arch9wavefront6targetE1EEEvT1_
; %bb.0:
	.section	.rodata,"a",@progbits
	.p2align	6, 0x0
	.amdhsa_kernel _ZN7rocprim17ROCPRIM_400000_NS6detail17trampoline_kernelINS0_14default_configENS1_20scan_config_selectorIiEEZZNS1_9scan_implILNS1_25lookback_scan_determinismE0ELb1ELb1ES3_N6thrust23THRUST_200600_302600_NS6detail15normal_iteratorINS9_10device_ptrIjEEEENSB_INSC_IfEEEEiNS9_4plusIvEEiEEDaPvRmT3_T4_T5_mT6_P12ihipStream_tbENKUlT_T0_E_clISt17integral_constantIbLb1EESV_IbLb0EEEEDaSR_SS_EUlSR_E_NS1_11comp_targetILNS1_3genE8ELNS1_11target_archE1030ELNS1_3gpuE2ELNS1_3repE0EEENS1_30default_config_static_selectorELNS0_4arch9wavefront6targetE1EEEvT1_
		.amdhsa_group_segment_fixed_size 0
		.amdhsa_private_segment_fixed_size 0
		.amdhsa_kernarg_size 96
		.amdhsa_user_sgpr_count 6
		.amdhsa_user_sgpr_private_segment_buffer 1
		.amdhsa_user_sgpr_dispatch_ptr 0
		.amdhsa_user_sgpr_queue_ptr 0
		.amdhsa_user_sgpr_kernarg_segment_ptr 1
		.amdhsa_user_sgpr_dispatch_id 0
		.amdhsa_user_sgpr_flat_scratch_init 0
		.amdhsa_user_sgpr_kernarg_preload_length 0
		.amdhsa_user_sgpr_kernarg_preload_offset 0
		.amdhsa_user_sgpr_private_segment_size 0
		.amdhsa_uses_dynamic_stack 0
		.amdhsa_system_sgpr_private_segment_wavefront_offset 0
		.amdhsa_system_sgpr_workgroup_id_x 1
		.amdhsa_system_sgpr_workgroup_id_y 0
		.amdhsa_system_sgpr_workgroup_id_z 0
		.amdhsa_system_sgpr_workgroup_info 0
		.amdhsa_system_vgpr_workitem_id 0
		.amdhsa_next_free_vgpr 1
		.amdhsa_next_free_sgpr 0
		.amdhsa_accum_offset 4
		.amdhsa_reserve_vcc 0
		.amdhsa_reserve_flat_scratch 0
		.amdhsa_float_round_mode_32 0
		.amdhsa_float_round_mode_16_64 0
		.amdhsa_float_denorm_mode_32 3
		.amdhsa_float_denorm_mode_16_64 3
		.amdhsa_dx10_clamp 1
		.amdhsa_ieee_mode 1
		.amdhsa_fp16_overflow 0
		.amdhsa_tg_split 0
		.amdhsa_exception_fp_ieee_invalid_op 0
		.amdhsa_exception_fp_denorm_src 0
		.amdhsa_exception_fp_ieee_div_zero 0
		.amdhsa_exception_fp_ieee_overflow 0
		.amdhsa_exception_fp_ieee_underflow 0
		.amdhsa_exception_fp_ieee_inexact 0
		.amdhsa_exception_int_div_zero 0
	.end_amdhsa_kernel
	.section	.text._ZN7rocprim17ROCPRIM_400000_NS6detail17trampoline_kernelINS0_14default_configENS1_20scan_config_selectorIiEEZZNS1_9scan_implILNS1_25lookback_scan_determinismE0ELb1ELb1ES3_N6thrust23THRUST_200600_302600_NS6detail15normal_iteratorINS9_10device_ptrIjEEEENSB_INSC_IfEEEEiNS9_4plusIvEEiEEDaPvRmT3_T4_T5_mT6_P12ihipStream_tbENKUlT_T0_E_clISt17integral_constantIbLb1EESV_IbLb0EEEEDaSR_SS_EUlSR_E_NS1_11comp_targetILNS1_3genE8ELNS1_11target_archE1030ELNS1_3gpuE2ELNS1_3repE0EEENS1_30default_config_static_selectorELNS0_4arch9wavefront6targetE1EEEvT1_,"axG",@progbits,_ZN7rocprim17ROCPRIM_400000_NS6detail17trampoline_kernelINS0_14default_configENS1_20scan_config_selectorIiEEZZNS1_9scan_implILNS1_25lookback_scan_determinismE0ELb1ELb1ES3_N6thrust23THRUST_200600_302600_NS6detail15normal_iteratorINS9_10device_ptrIjEEEENSB_INSC_IfEEEEiNS9_4plusIvEEiEEDaPvRmT3_T4_T5_mT6_P12ihipStream_tbENKUlT_T0_E_clISt17integral_constantIbLb1EESV_IbLb0EEEEDaSR_SS_EUlSR_E_NS1_11comp_targetILNS1_3genE8ELNS1_11target_archE1030ELNS1_3gpuE2ELNS1_3repE0EEENS1_30default_config_static_selectorELNS0_4arch9wavefront6targetE1EEEvT1_,comdat
.Lfunc_end6204:
	.size	_ZN7rocprim17ROCPRIM_400000_NS6detail17trampoline_kernelINS0_14default_configENS1_20scan_config_selectorIiEEZZNS1_9scan_implILNS1_25lookback_scan_determinismE0ELb1ELb1ES3_N6thrust23THRUST_200600_302600_NS6detail15normal_iteratorINS9_10device_ptrIjEEEENSB_INSC_IfEEEEiNS9_4plusIvEEiEEDaPvRmT3_T4_T5_mT6_P12ihipStream_tbENKUlT_T0_E_clISt17integral_constantIbLb1EESV_IbLb0EEEEDaSR_SS_EUlSR_E_NS1_11comp_targetILNS1_3genE8ELNS1_11target_archE1030ELNS1_3gpuE2ELNS1_3repE0EEENS1_30default_config_static_selectorELNS0_4arch9wavefront6targetE1EEEvT1_, .Lfunc_end6204-_ZN7rocprim17ROCPRIM_400000_NS6detail17trampoline_kernelINS0_14default_configENS1_20scan_config_selectorIiEEZZNS1_9scan_implILNS1_25lookback_scan_determinismE0ELb1ELb1ES3_N6thrust23THRUST_200600_302600_NS6detail15normal_iteratorINS9_10device_ptrIjEEEENSB_INSC_IfEEEEiNS9_4plusIvEEiEEDaPvRmT3_T4_T5_mT6_P12ihipStream_tbENKUlT_T0_E_clISt17integral_constantIbLb1EESV_IbLb0EEEEDaSR_SS_EUlSR_E_NS1_11comp_targetILNS1_3genE8ELNS1_11target_archE1030ELNS1_3gpuE2ELNS1_3repE0EEENS1_30default_config_static_selectorELNS0_4arch9wavefront6targetE1EEEvT1_
                                        ; -- End function
	.section	.AMDGPU.csdata,"",@progbits
; Kernel info:
; codeLenInByte = 0
; NumSgprs: 4
; NumVgprs: 0
; NumAgprs: 0
; TotalNumVgprs: 0
; ScratchSize: 0
; MemoryBound: 0
; FloatMode: 240
; IeeeMode: 1
; LDSByteSize: 0 bytes/workgroup (compile time only)
; SGPRBlocks: 0
; VGPRBlocks: 0
; NumSGPRsForWavesPerEU: 4
; NumVGPRsForWavesPerEU: 1
; AccumOffset: 4
; Occupancy: 8
; WaveLimiterHint : 0
; COMPUTE_PGM_RSRC2:SCRATCH_EN: 0
; COMPUTE_PGM_RSRC2:USER_SGPR: 6
; COMPUTE_PGM_RSRC2:TRAP_HANDLER: 0
; COMPUTE_PGM_RSRC2:TGID_X_EN: 1
; COMPUTE_PGM_RSRC2:TGID_Y_EN: 0
; COMPUTE_PGM_RSRC2:TGID_Z_EN: 0
; COMPUTE_PGM_RSRC2:TIDIG_COMP_CNT: 0
; COMPUTE_PGM_RSRC3_GFX90A:ACCUM_OFFSET: 0
; COMPUTE_PGM_RSRC3_GFX90A:TG_SPLIT: 0
	.section	.text._ZN7rocprim17ROCPRIM_400000_NS6detail17trampoline_kernelINS0_14default_configENS1_20scan_config_selectorIiEEZZNS1_9scan_implILNS1_25lookback_scan_determinismE0ELb1ELb1ES3_N6thrust23THRUST_200600_302600_NS6detail15normal_iteratorINS9_10device_ptrIjEEEENSB_INSC_IfEEEEiNS9_4plusIvEEiEEDaPvRmT3_T4_T5_mT6_P12ihipStream_tbENKUlT_T0_E_clISt17integral_constantIbLb1EESV_IbLb0EEEEDaSR_SS_EUlSR_E0_NS1_11comp_targetILNS1_3genE0ELNS1_11target_archE4294967295ELNS1_3gpuE0ELNS1_3repE0EEENS1_30default_config_static_selectorELNS0_4arch9wavefront6targetE1EEEvT1_,"axG",@progbits,_ZN7rocprim17ROCPRIM_400000_NS6detail17trampoline_kernelINS0_14default_configENS1_20scan_config_selectorIiEEZZNS1_9scan_implILNS1_25lookback_scan_determinismE0ELb1ELb1ES3_N6thrust23THRUST_200600_302600_NS6detail15normal_iteratorINS9_10device_ptrIjEEEENSB_INSC_IfEEEEiNS9_4plusIvEEiEEDaPvRmT3_T4_T5_mT6_P12ihipStream_tbENKUlT_T0_E_clISt17integral_constantIbLb1EESV_IbLb0EEEEDaSR_SS_EUlSR_E0_NS1_11comp_targetILNS1_3genE0ELNS1_11target_archE4294967295ELNS1_3gpuE0ELNS1_3repE0EEENS1_30default_config_static_selectorELNS0_4arch9wavefront6targetE1EEEvT1_,comdat
	.protected	_ZN7rocprim17ROCPRIM_400000_NS6detail17trampoline_kernelINS0_14default_configENS1_20scan_config_selectorIiEEZZNS1_9scan_implILNS1_25lookback_scan_determinismE0ELb1ELb1ES3_N6thrust23THRUST_200600_302600_NS6detail15normal_iteratorINS9_10device_ptrIjEEEENSB_INSC_IfEEEEiNS9_4plusIvEEiEEDaPvRmT3_T4_T5_mT6_P12ihipStream_tbENKUlT_T0_E_clISt17integral_constantIbLb1EESV_IbLb0EEEEDaSR_SS_EUlSR_E0_NS1_11comp_targetILNS1_3genE0ELNS1_11target_archE4294967295ELNS1_3gpuE0ELNS1_3repE0EEENS1_30default_config_static_selectorELNS0_4arch9wavefront6targetE1EEEvT1_ ; -- Begin function _ZN7rocprim17ROCPRIM_400000_NS6detail17trampoline_kernelINS0_14default_configENS1_20scan_config_selectorIiEEZZNS1_9scan_implILNS1_25lookback_scan_determinismE0ELb1ELb1ES3_N6thrust23THRUST_200600_302600_NS6detail15normal_iteratorINS9_10device_ptrIjEEEENSB_INSC_IfEEEEiNS9_4plusIvEEiEEDaPvRmT3_T4_T5_mT6_P12ihipStream_tbENKUlT_T0_E_clISt17integral_constantIbLb1EESV_IbLb0EEEEDaSR_SS_EUlSR_E0_NS1_11comp_targetILNS1_3genE0ELNS1_11target_archE4294967295ELNS1_3gpuE0ELNS1_3repE0EEENS1_30default_config_static_selectorELNS0_4arch9wavefront6targetE1EEEvT1_
	.globl	_ZN7rocprim17ROCPRIM_400000_NS6detail17trampoline_kernelINS0_14default_configENS1_20scan_config_selectorIiEEZZNS1_9scan_implILNS1_25lookback_scan_determinismE0ELb1ELb1ES3_N6thrust23THRUST_200600_302600_NS6detail15normal_iteratorINS9_10device_ptrIjEEEENSB_INSC_IfEEEEiNS9_4plusIvEEiEEDaPvRmT3_T4_T5_mT6_P12ihipStream_tbENKUlT_T0_E_clISt17integral_constantIbLb1EESV_IbLb0EEEEDaSR_SS_EUlSR_E0_NS1_11comp_targetILNS1_3genE0ELNS1_11target_archE4294967295ELNS1_3gpuE0ELNS1_3repE0EEENS1_30default_config_static_selectorELNS0_4arch9wavefront6targetE1EEEvT1_
	.p2align	8
	.type	_ZN7rocprim17ROCPRIM_400000_NS6detail17trampoline_kernelINS0_14default_configENS1_20scan_config_selectorIiEEZZNS1_9scan_implILNS1_25lookback_scan_determinismE0ELb1ELb1ES3_N6thrust23THRUST_200600_302600_NS6detail15normal_iteratorINS9_10device_ptrIjEEEENSB_INSC_IfEEEEiNS9_4plusIvEEiEEDaPvRmT3_T4_T5_mT6_P12ihipStream_tbENKUlT_T0_E_clISt17integral_constantIbLb1EESV_IbLb0EEEEDaSR_SS_EUlSR_E0_NS1_11comp_targetILNS1_3genE0ELNS1_11target_archE4294967295ELNS1_3gpuE0ELNS1_3repE0EEENS1_30default_config_static_selectorELNS0_4arch9wavefront6targetE1EEEvT1_,@function
_ZN7rocprim17ROCPRIM_400000_NS6detail17trampoline_kernelINS0_14default_configENS1_20scan_config_selectorIiEEZZNS1_9scan_implILNS1_25lookback_scan_determinismE0ELb1ELb1ES3_N6thrust23THRUST_200600_302600_NS6detail15normal_iteratorINS9_10device_ptrIjEEEENSB_INSC_IfEEEEiNS9_4plusIvEEiEEDaPvRmT3_T4_T5_mT6_P12ihipStream_tbENKUlT_T0_E_clISt17integral_constantIbLb1EESV_IbLb0EEEEDaSR_SS_EUlSR_E0_NS1_11comp_targetILNS1_3genE0ELNS1_11target_archE4294967295ELNS1_3gpuE0ELNS1_3repE0EEENS1_30default_config_static_selectorELNS0_4arch9wavefront6targetE1EEEvT1_: ; @_ZN7rocprim17ROCPRIM_400000_NS6detail17trampoline_kernelINS0_14default_configENS1_20scan_config_selectorIiEEZZNS1_9scan_implILNS1_25lookback_scan_determinismE0ELb1ELb1ES3_N6thrust23THRUST_200600_302600_NS6detail15normal_iteratorINS9_10device_ptrIjEEEENSB_INSC_IfEEEEiNS9_4plusIvEEiEEDaPvRmT3_T4_T5_mT6_P12ihipStream_tbENKUlT_T0_E_clISt17integral_constantIbLb1EESV_IbLb0EEEEDaSR_SS_EUlSR_E0_NS1_11comp_targetILNS1_3genE0ELNS1_11target_archE4294967295ELNS1_3gpuE0ELNS1_3repE0EEENS1_30default_config_static_selectorELNS0_4arch9wavefront6targetE1EEEvT1_
; %bb.0:
	.section	.rodata,"a",@progbits
	.p2align	6, 0x0
	.amdhsa_kernel _ZN7rocprim17ROCPRIM_400000_NS6detail17trampoline_kernelINS0_14default_configENS1_20scan_config_selectorIiEEZZNS1_9scan_implILNS1_25lookback_scan_determinismE0ELb1ELb1ES3_N6thrust23THRUST_200600_302600_NS6detail15normal_iteratorINS9_10device_ptrIjEEEENSB_INSC_IfEEEEiNS9_4plusIvEEiEEDaPvRmT3_T4_T5_mT6_P12ihipStream_tbENKUlT_T0_E_clISt17integral_constantIbLb1EESV_IbLb0EEEEDaSR_SS_EUlSR_E0_NS1_11comp_targetILNS1_3genE0ELNS1_11target_archE4294967295ELNS1_3gpuE0ELNS1_3repE0EEENS1_30default_config_static_selectorELNS0_4arch9wavefront6targetE1EEEvT1_
		.amdhsa_group_segment_fixed_size 0
		.amdhsa_private_segment_fixed_size 0
		.amdhsa_kernarg_size 32
		.amdhsa_user_sgpr_count 6
		.amdhsa_user_sgpr_private_segment_buffer 1
		.amdhsa_user_sgpr_dispatch_ptr 0
		.amdhsa_user_sgpr_queue_ptr 0
		.amdhsa_user_sgpr_kernarg_segment_ptr 1
		.amdhsa_user_sgpr_dispatch_id 0
		.amdhsa_user_sgpr_flat_scratch_init 0
		.amdhsa_user_sgpr_kernarg_preload_length 0
		.amdhsa_user_sgpr_kernarg_preload_offset 0
		.amdhsa_user_sgpr_private_segment_size 0
		.amdhsa_uses_dynamic_stack 0
		.amdhsa_system_sgpr_private_segment_wavefront_offset 0
		.amdhsa_system_sgpr_workgroup_id_x 1
		.amdhsa_system_sgpr_workgroup_id_y 0
		.amdhsa_system_sgpr_workgroup_id_z 0
		.amdhsa_system_sgpr_workgroup_info 0
		.amdhsa_system_vgpr_workitem_id 0
		.amdhsa_next_free_vgpr 1
		.amdhsa_next_free_sgpr 0
		.amdhsa_accum_offset 4
		.amdhsa_reserve_vcc 0
		.amdhsa_reserve_flat_scratch 0
		.amdhsa_float_round_mode_32 0
		.amdhsa_float_round_mode_16_64 0
		.amdhsa_float_denorm_mode_32 3
		.amdhsa_float_denorm_mode_16_64 3
		.amdhsa_dx10_clamp 1
		.amdhsa_ieee_mode 1
		.amdhsa_fp16_overflow 0
		.amdhsa_tg_split 0
		.amdhsa_exception_fp_ieee_invalid_op 0
		.amdhsa_exception_fp_denorm_src 0
		.amdhsa_exception_fp_ieee_div_zero 0
		.amdhsa_exception_fp_ieee_overflow 0
		.amdhsa_exception_fp_ieee_underflow 0
		.amdhsa_exception_fp_ieee_inexact 0
		.amdhsa_exception_int_div_zero 0
	.end_amdhsa_kernel
	.section	.text._ZN7rocprim17ROCPRIM_400000_NS6detail17trampoline_kernelINS0_14default_configENS1_20scan_config_selectorIiEEZZNS1_9scan_implILNS1_25lookback_scan_determinismE0ELb1ELb1ES3_N6thrust23THRUST_200600_302600_NS6detail15normal_iteratorINS9_10device_ptrIjEEEENSB_INSC_IfEEEEiNS9_4plusIvEEiEEDaPvRmT3_T4_T5_mT6_P12ihipStream_tbENKUlT_T0_E_clISt17integral_constantIbLb1EESV_IbLb0EEEEDaSR_SS_EUlSR_E0_NS1_11comp_targetILNS1_3genE0ELNS1_11target_archE4294967295ELNS1_3gpuE0ELNS1_3repE0EEENS1_30default_config_static_selectorELNS0_4arch9wavefront6targetE1EEEvT1_,"axG",@progbits,_ZN7rocprim17ROCPRIM_400000_NS6detail17trampoline_kernelINS0_14default_configENS1_20scan_config_selectorIiEEZZNS1_9scan_implILNS1_25lookback_scan_determinismE0ELb1ELb1ES3_N6thrust23THRUST_200600_302600_NS6detail15normal_iteratorINS9_10device_ptrIjEEEENSB_INSC_IfEEEEiNS9_4plusIvEEiEEDaPvRmT3_T4_T5_mT6_P12ihipStream_tbENKUlT_T0_E_clISt17integral_constantIbLb1EESV_IbLb0EEEEDaSR_SS_EUlSR_E0_NS1_11comp_targetILNS1_3genE0ELNS1_11target_archE4294967295ELNS1_3gpuE0ELNS1_3repE0EEENS1_30default_config_static_selectorELNS0_4arch9wavefront6targetE1EEEvT1_,comdat
.Lfunc_end6205:
	.size	_ZN7rocprim17ROCPRIM_400000_NS6detail17trampoline_kernelINS0_14default_configENS1_20scan_config_selectorIiEEZZNS1_9scan_implILNS1_25lookback_scan_determinismE0ELb1ELb1ES3_N6thrust23THRUST_200600_302600_NS6detail15normal_iteratorINS9_10device_ptrIjEEEENSB_INSC_IfEEEEiNS9_4plusIvEEiEEDaPvRmT3_T4_T5_mT6_P12ihipStream_tbENKUlT_T0_E_clISt17integral_constantIbLb1EESV_IbLb0EEEEDaSR_SS_EUlSR_E0_NS1_11comp_targetILNS1_3genE0ELNS1_11target_archE4294967295ELNS1_3gpuE0ELNS1_3repE0EEENS1_30default_config_static_selectorELNS0_4arch9wavefront6targetE1EEEvT1_, .Lfunc_end6205-_ZN7rocprim17ROCPRIM_400000_NS6detail17trampoline_kernelINS0_14default_configENS1_20scan_config_selectorIiEEZZNS1_9scan_implILNS1_25lookback_scan_determinismE0ELb1ELb1ES3_N6thrust23THRUST_200600_302600_NS6detail15normal_iteratorINS9_10device_ptrIjEEEENSB_INSC_IfEEEEiNS9_4plusIvEEiEEDaPvRmT3_T4_T5_mT6_P12ihipStream_tbENKUlT_T0_E_clISt17integral_constantIbLb1EESV_IbLb0EEEEDaSR_SS_EUlSR_E0_NS1_11comp_targetILNS1_3genE0ELNS1_11target_archE4294967295ELNS1_3gpuE0ELNS1_3repE0EEENS1_30default_config_static_selectorELNS0_4arch9wavefront6targetE1EEEvT1_
                                        ; -- End function
	.section	.AMDGPU.csdata,"",@progbits
; Kernel info:
; codeLenInByte = 0
; NumSgprs: 4
; NumVgprs: 0
; NumAgprs: 0
; TotalNumVgprs: 0
; ScratchSize: 0
; MemoryBound: 0
; FloatMode: 240
; IeeeMode: 1
; LDSByteSize: 0 bytes/workgroup (compile time only)
; SGPRBlocks: 0
; VGPRBlocks: 0
; NumSGPRsForWavesPerEU: 4
; NumVGPRsForWavesPerEU: 1
; AccumOffset: 4
; Occupancy: 8
; WaveLimiterHint : 0
; COMPUTE_PGM_RSRC2:SCRATCH_EN: 0
; COMPUTE_PGM_RSRC2:USER_SGPR: 6
; COMPUTE_PGM_RSRC2:TRAP_HANDLER: 0
; COMPUTE_PGM_RSRC2:TGID_X_EN: 1
; COMPUTE_PGM_RSRC2:TGID_Y_EN: 0
; COMPUTE_PGM_RSRC2:TGID_Z_EN: 0
; COMPUTE_PGM_RSRC2:TIDIG_COMP_CNT: 0
; COMPUTE_PGM_RSRC3_GFX90A:ACCUM_OFFSET: 0
; COMPUTE_PGM_RSRC3_GFX90A:TG_SPLIT: 0
	.section	.text._ZN7rocprim17ROCPRIM_400000_NS6detail17trampoline_kernelINS0_14default_configENS1_20scan_config_selectorIiEEZZNS1_9scan_implILNS1_25lookback_scan_determinismE0ELb1ELb1ES3_N6thrust23THRUST_200600_302600_NS6detail15normal_iteratorINS9_10device_ptrIjEEEENSB_INSC_IfEEEEiNS9_4plusIvEEiEEDaPvRmT3_T4_T5_mT6_P12ihipStream_tbENKUlT_T0_E_clISt17integral_constantIbLb1EESV_IbLb0EEEEDaSR_SS_EUlSR_E0_NS1_11comp_targetILNS1_3genE5ELNS1_11target_archE942ELNS1_3gpuE9ELNS1_3repE0EEENS1_30default_config_static_selectorELNS0_4arch9wavefront6targetE1EEEvT1_,"axG",@progbits,_ZN7rocprim17ROCPRIM_400000_NS6detail17trampoline_kernelINS0_14default_configENS1_20scan_config_selectorIiEEZZNS1_9scan_implILNS1_25lookback_scan_determinismE0ELb1ELb1ES3_N6thrust23THRUST_200600_302600_NS6detail15normal_iteratorINS9_10device_ptrIjEEEENSB_INSC_IfEEEEiNS9_4plusIvEEiEEDaPvRmT3_T4_T5_mT6_P12ihipStream_tbENKUlT_T0_E_clISt17integral_constantIbLb1EESV_IbLb0EEEEDaSR_SS_EUlSR_E0_NS1_11comp_targetILNS1_3genE5ELNS1_11target_archE942ELNS1_3gpuE9ELNS1_3repE0EEENS1_30default_config_static_selectorELNS0_4arch9wavefront6targetE1EEEvT1_,comdat
	.protected	_ZN7rocprim17ROCPRIM_400000_NS6detail17trampoline_kernelINS0_14default_configENS1_20scan_config_selectorIiEEZZNS1_9scan_implILNS1_25lookback_scan_determinismE0ELb1ELb1ES3_N6thrust23THRUST_200600_302600_NS6detail15normal_iteratorINS9_10device_ptrIjEEEENSB_INSC_IfEEEEiNS9_4plusIvEEiEEDaPvRmT3_T4_T5_mT6_P12ihipStream_tbENKUlT_T0_E_clISt17integral_constantIbLb1EESV_IbLb0EEEEDaSR_SS_EUlSR_E0_NS1_11comp_targetILNS1_3genE5ELNS1_11target_archE942ELNS1_3gpuE9ELNS1_3repE0EEENS1_30default_config_static_selectorELNS0_4arch9wavefront6targetE1EEEvT1_ ; -- Begin function _ZN7rocprim17ROCPRIM_400000_NS6detail17trampoline_kernelINS0_14default_configENS1_20scan_config_selectorIiEEZZNS1_9scan_implILNS1_25lookback_scan_determinismE0ELb1ELb1ES3_N6thrust23THRUST_200600_302600_NS6detail15normal_iteratorINS9_10device_ptrIjEEEENSB_INSC_IfEEEEiNS9_4plusIvEEiEEDaPvRmT3_T4_T5_mT6_P12ihipStream_tbENKUlT_T0_E_clISt17integral_constantIbLb1EESV_IbLb0EEEEDaSR_SS_EUlSR_E0_NS1_11comp_targetILNS1_3genE5ELNS1_11target_archE942ELNS1_3gpuE9ELNS1_3repE0EEENS1_30default_config_static_selectorELNS0_4arch9wavefront6targetE1EEEvT1_
	.globl	_ZN7rocprim17ROCPRIM_400000_NS6detail17trampoline_kernelINS0_14default_configENS1_20scan_config_selectorIiEEZZNS1_9scan_implILNS1_25lookback_scan_determinismE0ELb1ELb1ES3_N6thrust23THRUST_200600_302600_NS6detail15normal_iteratorINS9_10device_ptrIjEEEENSB_INSC_IfEEEEiNS9_4plusIvEEiEEDaPvRmT3_T4_T5_mT6_P12ihipStream_tbENKUlT_T0_E_clISt17integral_constantIbLb1EESV_IbLb0EEEEDaSR_SS_EUlSR_E0_NS1_11comp_targetILNS1_3genE5ELNS1_11target_archE942ELNS1_3gpuE9ELNS1_3repE0EEENS1_30default_config_static_selectorELNS0_4arch9wavefront6targetE1EEEvT1_
	.p2align	8
	.type	_ZN7rocprim17ROCPRIM_400000_NS6detail17trampoline_kernelINS0_14default_configENS1_20scan_config_selectorIiEEZZNS1_9scan_implILNS1_25lookback_scan_determinismE0ELb1ELb1ES3_N6thrust23THRUST_200600_302600_NS6detail15normal_iteratorINS9_10device_ptrIjEEEENSB_INSC_IfEEEEiNS9_4plusIvEEiEEDaPvRmT3_T4_T5_mT6_P12ihipStream_tbENKUlT_T0_E_clISt17integral_constantIbLb1EESV_IbLb0EEEEDaSR_SS_EUlSR_E0_NS1_11comp_targetILNS1_3genE5ELNS1_11target_archE942ELNS1_3gpuE9ELNS1_3repE0EEENS1_30default_config_static_selectorELNS0_4arch9wavefront6targetE1EEEvT1_,@function
_ZN7rocprim17ROCPRIM_400000_NS6detail17trampoline_kernelINS0_14default_configENS1_20scan_config_selectorIiEEZZNS1_9scan_implILNS1_25lookback_scan_determinismE0ELb1ELb1ES3_N6thrust23THRUST_200600_302600_NS6detail15normal_iteratorINS9_10device_ptrIjEEEENSB_INSC_IfEEEEiNS9_4plusIvEEiEEDaPvRmT3_T4_T5_mT6_P12ihipStream_tbENKUlT_T0_E_clISt17integral_constantIbLb1EESV_IbLb0EEEEDaSR_SS_EUlSR_E0_NS1_11comp_targetILNS1_3genE5ELNS1_11target_archE942ELNS1_3gpuE9ELNS1_3repE0EEENS1_30default_config_static_selectorELNS0_4arch9wavefront6targetE1EEEvT1_: ; @_ZN7rocprim17ROCPRIM_400000_NS6detail17trampoline_kernelINS0_14default_configENS1_20scan_config_selectorIiEEZZNS1_9scan_implILNS1_25lookback_scan_determinismE0ELb1ELb1ES3_N6thrust23THRUST_200600_302600_NS6detail15normal_iteratorINS9_10device_ptrIjEEEENSB_INSC_IfEEEEiNS9_4plusIvEEiEEDaPvRmT3_T4_T5_mT6_P12ihipStream_tbENKUlT_T0_E_clISt17integral_constantIbLb1EESV_IbLb0EEEEDaSR_SS_EUlSR_E0_NS1_11comp_targetILNS1_3genE5ELNS1_11target_archE942ELNS1_3gpuE9ELNS1_3repE0EEENS1_30default_config_static_selectorELNS0_4arch9wavefront6targetE1EEEvT1_
; %bb.0:
	.section	.rodata,"a",@progbits
	.p2align	6, 0x0
	.amdhsa_kernel _ZN7rocprim17ROCPRIM_400000_NS6detail17trampoline_kernelINS0_14default_configENS1_20scan_config_selectorIiEEZZNS1_9scan_implILNS1_25lookback_scan_determinismE0ELb1ELb1ES3_N6thrust23THRUST_200600_302600_NS6detail15normal_iteratorINS9_10device_ptrIjEEEENSB_INSC_IfEEEEiNS9_4plusIvEEiEEDaPvRmT3_T4_T5_mT6_P12ihipStream_tbENKUlT_T0_E_clISt17integral_constantIbLb1EESV_IbLb0EEEEDaSR_SS_EUlSR_E0_NS1_11comp_targetILNS1_3genE5ELNS1_11target_archE942ELNS1_3gpuE9ELNS1_3repE0EEENS1_30default_config_static_selectorELNS0_4arch9wavefront6targetE1EEEvT1_
		.amdhsa_group_segment_fixed_size 0
		.amdhsa_private_segment_fixed_size 0
		.amdhsa_kernarg_size 32
		.amdhsa_user_sgpr_count 6
		.amdhsa_user_sgpr_private_segment_buffer 1
		.amdhsa_user_sgpr_dispatch_ptr 0
		.amdhsa_user_sgpr_queue_ptr 0
		.amdhsa_user_sgpr_kernarg_segment_ptr 1
		.amdhsa_user_sgpr_dispatch_id 0
		.amdhsa_user_sgpr_flat_scratch_init 0
		.amdhsa_user_sgpr_kernarg_preload_length 0
		.amdhsa_user_sgpr_kernarg_preload_offset 0
		.amdhsa_user_sgpr_private_segment_size 0
		.amdhsa_uses_dynamic_stack 0
		.amdhsa_system_sgpr_private_segment_wavefront_offset 0
		.amdhsa_system_sgpr_workgroup_id_x 1
		.amdhsa_system_sgpr_workgroup_id_y 0
		.amdhsa_system_sgpr_workgroup_id_z 0
		.amdhsa_system_sgpr_workgroup_info 0
		.amdhsa_system_vgpr_workitem_id 0
		.amdhsa_next_free_vgpr 1
		.amdhsa_next_free_sgpr 0
		.amdhsa_accum_offset 4
		.amdhsa_reserve_vcc 0
		.amdhsa_reserve_flat_scratch 0
		.amdhsa_float_round_mode_32 0
		.amdhsa_float_round_mode_16_64 0
		.amdhsa_float_denorm_mode_32 3
		.amdhsa_float_denorm_mode_16_64 3
		.amdhsa_dx10_clamp 1
		.amdhsa_ieee_mode 1
		.amdhsa_fp16_overflow 0
		.amdhsa_tg_split 0
		.amdhsa_exception_fp_ieee_invalid_op 0
		.amdhsa_exception_fp_denorm_src 0
		.amdhsa_exception_fp_ieee_div_zero 0
		.amdhsa_exception_fp_ieee_overflow 0
		.amdhsa_exception_fp_ieee_underflow 0
		.amdhsa_exception_fp_ieee_inexact 0
		.amdhsa_exception_int_div_zero 0
	.end_amdhsa_kernel
	.section	.text._ZN7rocprim17ROCPRIM_400000_NS6detail17trampoline_kernelINS0_14default_configENS1_20scan_config_selectorIiEEZZNS1_9scan_implILNS1_25lookback_scan_determinismE0ELb1ELb1ES3_N6thrust23THRUST_200600_302600_NS6detail15normal_iteratorINS9_10device_ptrIjEEEENSB_INSC_IfEEEEiNS9_4plusIvEEiEEDaPvRmT3_T4_T5_mT6_P12ihipStream_tbENKUlT_T0_E_clISt17integral_constantIbLb1EESV_IbLb0EEEEDaSR_SS_EUlSR_E0_NS1_11comp_targetILNS1_3genE5ELNS1_11target_archE942ELNS1_3gpuE9ELNS1_3repE0EEENS1_30default_config_static_selectorELNS0_4arch9wavefront6targetE1EEEvT1_,"axG",@progbits,_ZN7rocprim17ROCPRIM_400000_NS6detail17trampoline_kernelINS0_14default_configENS1_20scan_config_selectorIiEEZZNS1_9scan_implILNS1_25lookback_scan_determinismE0ELb1ELb1ES3_N6thrust23THRUST_200600_302600_NS6detail15normal_iteratorINS9_10device_ptrIjEEEENSB_INSC_IfEEEEiNS9_4plusIvEEiEEDaPvRmT3_T4_T5_mT6_P12ihipStream_tbENKUlT_T0_E_clISt17integral_constantIbLb1EESV_IbLb0EEEEDaSR_SS_EUlSR_E0_NS1_11comp_targetILNS1_3genE5ELNS1_11target_archE942ELNS1_3gpuE9ELNS1_3repE0EEENS1_30default_config_static_selectorELNS0_4arch9wavefront6targetE1EEEvT1_,comdat
.Lfunc_end6206:
	.size	_ZN7rocprim17ROCPRIM_400000_NS6detail17trampoline_kernelINS0_14default_configENS1_20scan_config_selectorIiEEZZNS1_9scan_implILNS1_25lookback_scan_determinismE0ELb1ELb1ES3_N6thrust23THRUST_200600_302600_NS6detail15normal_iteratorINS9_10device_ptrIjEEEENSB_INSC_IfEEEEiNS9_4plusIvEEiEEDaPvRmT3_T4_T5_mT6_P12ihipStream_tbENKUlT_T0_E_clISt17integral_constantIbLb1EESV_IbLb0EEEEDaSR_SS_EUlSR_E0_NS1_11comp_targetILNS1_3genE5ELNS1_11target_archE942ELNS1_3gpuE9ELNS1_3repE0EEENS1_30default_config_static_selectorELNS0_4arch9wavefront6targetE1EEEvT1_, .Lfunc_end6206-_ZN7rocprim17ROCPRIM_400000_NS6detail17trampoline_kernelINS0_14default_configENS1_20scan_config_selectorIiEEZZNS1_9scan_implILNS1_25lookback_scan_determinismE0ELb1ELb1ES3_N6thrust23THRUST_200600_302600_NS6detail15normal_iteratorINS9_10device_ptrIjEEEENSB_INSC_IfEEEEiNS9_4plusIvEEiEEDaPvRmT3_T4_T5_mT6_P12ihipStream_tbENKUlT_T0_E_clISt17integral_constantIbLb1EESV_IbLb0EEEEDaSR_SS_EUlSR_E0_NS1_11comp_targetILNS1_3genE5ELNS1_11target_archE942ELNS1_3gpuE9ELNS1_3repE0EEENS1_30default_config_static_selectorELNS0_4arch9wavefront6targetE1EEEvT1_
                                        ; -- End function
	.section	.AMDGPU.csdata,"",@progbits
; Kernel info:
; codeLenInByte = 0
; NumSgprs: 4
; NumVgprs: 0
; NumAgprs: 0
; TotalNumVgprs: 0
; ScratchSize: 0
; MemoryBound: 0
; FloatMode: 240
; IeeeMode: 1
; LDSByteSize: 0 bytes/workgroup (compile time only)
; SGPRBlocks: 0
; VGPRBlocks: 0
; NumSGPRsForWavesPerEU: 4
; NumVGPRsForWavesPerEU: 1
; AccumOffset: 4
; Occupancy: 8
; WaveLimiterHint : 0
; COMPUTE_PGM_RSRC2:SCRATCH_EN: 0
; COMPUTE_PGM_RSRC2:USER_SGPR: 6
; COMPUTE_PGM_RSRC2:TRAP_HANDLER: 0
; COMPUTE_PGM_RSRC2:TGID_X_EN: 1
; COMPUTE_PGM_RSRC2:TGID_Y_EN: 0
; COMPUTE_PGM_RSRC2:TGID_Z_EN: 0
; COMPUTE_PGM_RSRC2:TIDIG_COMP_CNT: 0
; COMPUTE_PGM_RSRC3_GFX90A:ACCUM_OFFSET: 0
; COMPUTE_PGM_RSRC3_GFX90A:TG_SPLIT: 0
	.section	.text._ZN7rocprim17ROCPRIM_400000_NS6detail17trampoline_kernelINS0_14default_configENS1_20scan_config_selectorIiEEZZNS1_9scan_implILNS1_25lookback_scan_determinismE0ELb1ELb1ES3_N6thrust23THRUST_200600_302600_NS6detail15normal_iteratorINS9_10device_ptrIjEEEENSB_INSC_IfEEEEiNS9_4plusIvEEiEEDaPvRmT3_T4_T5_mT6_P12ihipStream_tbENKUlT_T0_E_clISt17integral_constantIbLb1EESV_IbLb0EEEEDaSR_SS_EUlSR_E0_NS1_11comp_targetILNS1_3genE4ELNS1_11target_archE910ELNS1_3gpuE8ELNS1_3repE0EEENS1_30default_config_static_selectorELNS0_4arch9wavefront6targetE1EEEvT1_,"axG",@progbits,_ZN7rocprim17ROCPRIM_400000_NS6detail17trampoline_kernelINS0_14default_configENS1_20scan_config_selectorIiEEZZNS1_9scan_implILNS1_25lookback_scan_determinismE0ELb1ELb1ES3_N6thrust23THRUST_200600_302600_NS6detail15normal_iteratorINS9_10device_ptrIjEEEENSB_INSC_IfEEEEiNS9_4plusIvEEiEEDaPvRmT3_T4_T5_mT6_P12ihipStream_tbENKUlT_T0_E_clISt17integral_constantIbLb1EESV_IbLb0EEEEDaSR_SS_EUlSR_E0_NS1_11comp_targetILNS1_3genE4ELNS1_11target_archE910ELNS1_3gpuE8ELNS1_3repE0EEENS1_30default_config_static_selectorELNS0_4arch9wavefront6targetE1EEEvT1_,comdat
	.protected	_ZN7rocprim17ROCPRIM_400000_NS6detail17trampoline_kernelINS0_14default_configENS1_20scan_config_selectorIiEEZZNS1_9scan_implILNS1_25lookback_scan_determinismE0ELb1ELb1ES3_N6thrust23THRUST_200600_302600_NS6detail15normal_iteratorINS9_10device_ptrIjEEEENSB_INSC_IfEEEEiNS9_4plusIvEEiEEDaPvRmT3_T4_T5_mT6_P12ihipStream_tbENKUlT_T0_E_clISt17integral_constantIbLb1EESV_IbLb0EEEEDaSR_SS_EUlSR_E0_NS1_11comp_targetILNS1_3genE4ELNS1_11target_archE910ELNS1_3gpuE8ELNS1_3repE0EEENS1_30default_config_static_selectorELNS0_4arch9wavefront6targetE1EEEvT1_ ; -- Begin function _ZN7rocprim17ROCPRIM_400000_NS6detail17trampoline_kernelINS0_14default_configENS1_20scan_config_selectorIiEEZZNS1_9scan_implILNS1_25lookback_scan_determinismE0ELb1ELb1ES3_N6thrust23THRUST_200600_302600_NS6detail15normal_iteratorINS9_10device_ptrIjEEEENSB_INSC_IfEEEEiNS9_4plusIvEEiEEDaPvRmT3_T4_T5_mT6_P12ihipStream_tbENKUlT_T0_E_clISt17integral_constantIbLb1EESV_IbLb0EEEEDaSR_SS_EUlSR_E0_NS1_11comp_targetILNS1_3genE4ELNS1_11target_archE910ELNS1_3gpuE8ELNS1_3repE0EEENS1_30default_config_static_selectorELNS0_4arch9wavefront6targetE1EEEvT1_
	.globl	_ZN7rocprim17ROCPRIM_400000_NS6detail17trampoline_kernelINS0_14default_configENS1_20scan_config_selectorIiEEZZNS1_9scan_implILNS1_25lookback_scan_determinismE0ELb1ELb1ES3_N6thrust23THRUST_200600_302600_NS6detail15normal_iteratorINS9_10device_ptrIjEEEENSB_INSC_IfEEEEiNS9_4plusIvEEiEEDaPvRmT3_T4_T5_mT6_P12ihipStream_tbENKUlT_T0_E_clISt17integral_constantIbLb1EESV_IbLb0EEEEDaSR_SS_EUlSR_E0_NS1_11comp_targetILNS1_3genE4ELNS1_11target_archE910ELNS1_3gpuE8ELNS1_3repE0EEENS1_30default_config_static_selectorELNS0_4arch9wavefront6targetE1EEEvT1_
	.p2align	8
	.type	_ZN7rocprim17ROCPRIM_400000_NS6detail17trampoline_kernelINS0_14default_configENS1_20scan_config_selectorIiEEZZNS1_9scan_implILNS1_25lookback_scan_determinismE0ELb1ELb1ES3_N6thrust23THRUST_200600_302600_NS6detail15normal_iteratorINS9_10device_ptrIjEEEENSB_INSC_IfEEEEiNS9_4plusIvEEiEEDaPvRmT3_T4_T5_mT6_P12ihipStream_tbENKUlT_T0_E_clISt17integral_constantIbLb1EESV_IbLb0EEEEDaSR_SS_EUlSR_E0_NS1_11comp_targetILNS1_3genE4ELNS1_11target_archE910ELNS1_3gpuE8ELNS1_3repE0EEENS1_30default_config_static_selectorELNS0_4arch9wavefront6targetE1EEEvT1_,@function
_ZN7rocprim17ROCPRIM_400000_NS6detail17trampoline_kernelINS0_14default_configENS1_20scan_config_selectorIiEEZZNS1_9scan_implILNS1_25lookback_scan_determinismE0ELb1ELb1ES3_N6thrust23THRUST_200600_302600_NS6detail15normal_iteratorINS9_10device_ptrIjEEEENSB_INSC_IfEEEEiNS9_4plusIvEEiEEDaPvRmT3_T4_T5_mT6_P12ihipStream_tbENKUlT_T0_E_clISt17integral_constantIbLb1EESV_IbLb0EEEEDaSR_SS_EUlSR_E0_NS1_11comp_targetILNS1_3genE4ELNS1_11target_archE910ELNS1_3gpuE8ELNS1_3repE0EEENS1_30default_config_static_selectorELNS0_4arch9wavefront6targetE1EEEvT1_: ; @_ZN7rocprim17ROCPRIM_400000_NS6detail17trampoline_kernelINS0_14default_configENS1_20scan_config_selectorIiEEZZNS1_9scan_implILNS1_25lookback_scan_determinismE0ELb1ELb1ES3_N6thrust23THRUST_200600_302600_NS6detail15normal_iteratorINS9_10device_ptrIjEEEENSB_INSC_IfEEEEiNS9_4plusIvEEiEEDaPvRmT3_T4_T5_mT6_P12ihipStream_tbENKUlT_T0_E_clISt17integral_constantIbLb1EESV_IbLb0EEEEDaSR_SS_EUlSR_E0_NS1_11comp_targetILNS1_3genE4ELNS1_11target_archE910ELNS1_3gpuE8ELNS1_3repE0EEENS1_30default_config_static_selectorELNS0_4arch9wavefront6targetE1EEEvT1_
; %bb.0:
	s_load_dwordx4 s[20:23], s[4:5], 0x0
	v_lshlrev_b32_e32 v14, 2, v0
	s_waitcnt lgkmcnt(0)
	s_load_dword s23, s[20:21], 0x0
	v_cmp_gt_u32_e32 vcc, s22, v0
	s_waitcnt lgkmcnt(0)
	v_mov_b32_e32 v1, s23
	s_and_saveexec_b64 s[0:1], vcc
	s_cbranch_execz .LBB6207_2
; %bb.1:
	global_load_dword v1, v14, s[20:21]
.LBB6207_2:
	s_or_b64 exec, exec, s[0:1]
	v_or_b32_e32 v2, 0x80, v0
	v_cmp_gt_u32_e64 s[0:1], s22, v2
	v_mov_b32_e32 v2, s23
	s_and_saveexec_b64 s[2:3], s[0:1]
	s_cbranch_execz .LBB6207_4
; %bb.3:
	global_load_dword v2, v14, s[20:21] offset:512
.LBB6207_4:
	s_or_b64 exec, exec, s[2:3]
	v_or_b32_e32 v3, 0x100, v0
	v_cmp_gt_u32_e64 s[2:3], s22, v3
	v_mov_b32_e32 v3, s23
	s_and_saveexec_b64 s[6:7], s[2:3]
	s_cbranch_execz .LBB6207_6
; %bb.5:
	global_load_dword v3, v14, s[20:21] offset:1024
.LBB6207_6:
	;; [unrolled: 9-line block ×7, first 2 shown]
	s_or_b64 exec, exec, s[14:15]
	v_or_b32_e32 v10, 0x400, v0
	v_cmp_gt_u32_e64 s[14:15], s22, v10
	v_mov_b32_e32 v9, s23
	s_and_saveexec_b64 s[16:17], s[14:15]
	s_cbranch_execz .LBB6207_18
; %bb.17:
	v_lshlrev_b32_e32 v9, 2, v10
	global_load_dword v9, v9, s[20:21]
.LBB6207_18:
	s_or_b64 exec, exec, s[16:17]
	s_load_dword s24, s[4:5], 0x10
	v_or_b32_e32 v11, 0x480, v0
	v_cmp_gt_u32_e64 s[16:17], s22, v11
	v_mov_b32_e32 v10, s23
	s_and_saveexec_b64 s[22:23], s[16:17]
	s_cbranch_execz .LBB6207_20
; %bb.19:
	v_lshlrev_b32_e32 v10, 2, v11
	global_load_dword v10, v10, s[20:21]
.LBB6207_20:
	s_or_b64 exec, exec, s[22:23]
	s_waitcnt vmcnt(0)
	ds_write2st64_b32 v14, v1, v2 offset1:2
	ds_write2st64_b32 v14, v3, v4 offset0:4 offset1:6
	ds_write2st64_b32 v14, v5, v6 offset0:8 offset1:10
	;; [unrolled: 1-line block ×4, first 2 shown]
	v_mad_u32_u24 v1, v0, 36, v14
	s_waitcnt lgkmcnt(0)
	s_barrier
	ds_read2_b64 v[6:9], v1 offset1:1
	ds_read2_b64 v[2:5], v1 offset0:2 offset1:3
	ds_read_b64 v[10:11], v1 offset:32
	s_load_dwordx2 s[20:21], s[4:5], 0x18
	v_cmp_gt_u32_e64 s[4:5], 64, v0
	s_waitcnt lgkmcnt(0)
	v_add_u32_e32 v1, v7, v6
	v_add3_u32 v1, v1, v8, v9
	v_add3_u32 v1, v1, v2, v3
	;; [unrolled: 1-line block ×4, first 2 shown]
	v_lshrrev_b32_e32 v11, 3, v0
	v_and_b32_e32 v11, 12, v11
	v_add_u32_e32 v11, v14, v11
	s_barrier
	ds_write_b32 v11, v1
	s_waitcnt lgkmcnt(0)
	s_barrier
	s_and_saveexec_b64 s[22:23], s[4:5]
	s_cbranch_execz .LBB6207_22
; %bb.21:
	v_lshlrev_b32_e32 v11, 1, v0
	v_lshrrev_b32_e32 v12, 4, v0
	v_add_lshl_u32 v11, v12, v11, 2
	ds_read2_b32 v[12:13], v11 offset1:1
	v_mbcnt_lo_u32_b32 v15, -1, 0
	v_mbcnt_hi_u32_b32 v15, -1, v15
	v_and_b32_e32 v16, 15, v15
	v_cmp_ne_u32_e64 s[4:5], 0, v16
	s_waitcnt lgkmcnt(0)
	v_add_u32_e32 v13, v13, v12
	; wave barrier
	s_nop 1
	v_mov_b32_dpp v17, v13 row_shr:1 row_mask:0xf bank_mask:0xf
	v_cndmask_b32_e64 v17, 0, v17, s[4:5]
	v_add_u32_e32 v13, v17, v13
	v_cmp_lt_u32_e64 s[4:5], 1, v16
	s_nop 0
	v_mov_b32_dpp v17, v13 row_shr:2 row_mask:0xf bank_mask:0xf
	v_cndmask_b32_e64 v17, 0, v17, s[4:5]
	v_add_u32_e32 v13, v13, v17
	v_cmp_lt_u32_e64 s[4:5], 3, v16
	;; [unrolled: 5-line block ×3, first 2 shown]
	s_nop 0
	v_mov_b32_dpp v17, v13 row_shr:8 row_mask:0xf bank_mask:0xf
	v_cndmask_b32_e64 v16, 0, v17, s[4:5]
	v_add_u32_e32 v13, v13, v16
	v_bfe_i32 v17, v15, 4, 1
	v_cmp_lt_u32_e64 s[4:5], 31, v15
	v_mov_b32_dpp v16, v13 row_bcast:15 row_mask:0xf bank_mask:0xf
	v_and_b32_e32 v16, v17, v16
	v_add_u32_e32 v13, v13, v16
	v_and_b32_e32 v17, 64, v15
	s_nop 0
	v_mov_b32_dpp v16, v13 row_bcast:31 row_mask:0xf bank_mask:0xf
	v_cndmask_b32_e64 v16, 0, v16, s[4:5]
	v_add_u32_e32 v13, v13, v16
	v_add_u32_e32 v16, -1, v15
	v_cmp_lt_i32_e64 s[4:5], v16, v17
	v_cndmask_b32_e64 v15, v16, v15, s[4:5]
	v_lshlrev_b32_e32 v15, 2, v15
	ds_bpermute_b32 v13, v15, v13
	v_cmp_eq_u32_e64 s[4:5], 0, v0
	s_waitcnt lgkmcnt(0)
	v_add_u32_e32 v12, v13, v12
	v_cndmask_b32_e64 v1, v12, v1, s[4:5]
	ds_write_b32 v11, v1
	; wave barrier
	ds_read_b32 v12, v11 offset:4
	s_waitcnt lgkmcnt(0)
	v_add_u32_e32 v1, v12, v1
	ds_write_b32 v11, v1 offset:4
.LBB6207_22:
	s_or_b64 exec, exec, s[22:23]
	v_mul_u32_u24_e32 v1, 36, v0
	v_cmp_ne_u32_e64 s[4:5], 0, v0
	v_mov_b32_e32 v12, s24
	s_waitcnt lgkmcnt(0)
	s_barrier
	s_and_saveexec_b64 s[22:23], s[4:5]
	s_cbranch_execz .LBB6207_24
; %bb.23:
	v_add_u32_e32 v0, -1, v0
	v_lshrrev_b32_e32 v11, 5, v0
	v_add_lshl_u32 v0, v11, v0, 2
	ds_read_b32 v0, v0
	s_waitcnt lgkmcnt(0)
	v_add_u32_e32 v12, s24, v0
.LBB6207_24:
	s_or_b64 exec, exec, s[22:23]
	v_add_u32_e32 v13, v12, v6
	v_add_u32_e32 v6, v13, v7
	;; [unrolled: 1-line block ×10, first 2 shown]
	s_barrier
	ds_write2_b64 v0, v[12:13], v[6:7] offset1:1
	ds_write2_b64 v0, v[8:9], v[2:3] offset0:2 offset1:3
	ds_write_b64 v0, v[4:5] offset:32
	s_waitcnt lgkmcnt(0)
	s_barrier
	ds_read2st64_b32 v[8:9], v14 offset0:2 offset1:4
	ds_read2st64_b32 v[6:7], v14 offset0:6 offset1:8
	;; [unrolled: 1-line block ×4, first 2 shown]
	ds_read_b32 v10, v14 offset:4608
	v_mov_b32_e32 v1, s21
	v_add_co_u32_e64 v0, s[4:5], s20, v14
	v_addc_co_u32_e64 v1, s[4:5], 0, v1, s[4:5]
	s_and_saveexec_b64 s[4:5], vcc
	s_cbranch_execnz .LBB6207_35
; %bb.25:
	s_or_b64 exec, exec, s[4:5]
	s_and_saveexec_b64 s[4:5], s[0:1]
	s_cbranch_execnz .LBB6207_36
.LBB6207_26:
	s_or_b64 exec, exec, s[4:5]
	s_and_saveexec_b64 s[0:1], s[2:3]
	s_cbranch_execnz .LBB6207_37
.LBB6207_27:
	s_or_b64 exec, exec, s[0:1]
	s_and_saveexec_b64 s[0:1], s[18:19]
	s_cbranch_execnz .LBB6207_38
.LBB6207_28:
	s_or_b64 exec, exec, s[0:1]
	s_and_saveexec_b64 s[0:1], s[6:7]
	s_cbranch_execnz .LBB6207_39
.LBB6207_29:
	s_or_b64 exec, exec, s[0:1]
	s_and_saveexec_b64 s[0:1], s[8:9]
	s_cbranch_execnz .LBB6207_40
.LBB6207_30:
	s_or_b64 exec, exec, s[0:1]
	s_and_saveexec_b64 s[0:1], s[10:11]
	s_cbranch_execnz .LBB6207_41
.LBB6207_31:
	s_or_b64 exec, exec, s[0:1]
	s_and_saveexec_b64 s[0:1], s[12:13]
	s_cbranch_execnz .LBB6207_42
.LBB6207_32:
	s_or_b64 exec, exec, s[0:1]
	s_and_saveexec_b64 s[0:1], s[14:15]
	s_cbranch_execnz .LBB6207_43
.LBB6207_33:
	s_or_b64 exec, exec, s[0:1]
	s_and_saveexec_b64 s[0:1], s[16:17]
	s_cbranch_execnz .LBB6207_44
.LBB6207_34:
	s_endpgm
.LBB6207_35:
	ds_read_b32 v11, v14
	s_waitcnt lgkmcnt(0)
	v_cvt_f32_i32_e32 v11, v11
	global_store_dword v[0:1], v11, off
	s_or_b64 exec, exec, s[4:5]
	s_and_saveexec_b64 s[4:5], s[0:1]
	s_cbranch_execz .LBB6207_26
.LBB6207_36:
	s_waitcnt lgkmcnt(4)
	v_cvt_f32_i32_e32 v8, v8
	global_store_dword v[0:1], v8, off offset:512
	s_or_b64 exec, exec, s[4:5]
	s_and_saveexec_b64 s[0:1], s[2:3]
	s_cbranch_execz .LBB6207_27
.LBB6207_37:
	s_waitcnt lgkmcnt(4)
	v_cvt_f32_i32_e32 v8, v9
	global_store_dword v[0:1], v8, off offset:1024
	s_or_b64 exec, exec, s[0:1]
	s_and_saveexec_b64 s[0:1], s[18:19]
	s_cbranch_execz .LBB6207_28
.LBB6207_38:
	s_waitcnt lgkmcnt(3)
	v_cvt_f32_i32_e32 v6, v6
	global_store_dword v[0:1], v6, off offset:1536
	s_or_b64 exec, exec, s[0:1]
	s_and_saveexec_b64 s[0:1], s[6:7]
	s_cbranch_execz .LBB6207_29
.LBB6207_39:
	s_waitcnt lgkmcnt(3)
	v_cvt_f32_i32_e32 v6, v7
	global_store_dword v[0:1], v6, off offset:2048
	s_or_b64 exec, exec, s[0:1]
	s_and_saveexec_b64 s[0:1], s[8:9]
	s_cbranch_execz .LBB6207_30
.LBB6207_40:
	s_waitcnt lgkmcnt(2)
	v_cvt_f32_i32_e32 v4, v4
	global_store_dword v[0:1], v4, off offset:2560
	s_or_b64 exec, exec, s[0:1]
	s_and_saveexec_b64 s[0:1], s[10:11]
	s_cbranch_execz .LBB6207_31
.LBB6207_41:
	s_waitcnt lgkmcnt(2)
	v_cvt_f32_i32_e32 v4, v5
	global_store_dword v[0:1], v4, off offset:3072
	s_or_b64 exec, exec, s[0:1]
	s_and_saveexec_b64 s[0:1], s[12:13]
	s_cbranch_execz .LBB6207_32
.LBB6207_42:
	s_waitcnt lgkmcnt(1)
	v_cvt_f32_i32_e32 v2, v2
	global_store_dword v[0:1], v2, off offset:3584
	s_or_b64 exec, exec, s[0:1]
	s_and_saveexec_b64 s[0:1], s[14:15]
	s_cbranch_execz .LBB6207_33
.LBB6207_43:
	s_waitcnt lgkmcnt(1)
	v_cvt_f32_i32_e32 v4, v3
	v_add_co_u32_e32 v2, vcc, 0x1000, v0
	v_addc_co_u32_e32 v3, vcc, 0, v1, vcc
	global_store_dword v[2:3], v4, off
	s_or_b64 exec, exec, s[0:1]
	s_and_saveexec_b64 s[0:1], s[16:17]
	s_cbranch_execz .LBB6207_34
.LBB6207_44:
	s_waitcnt lgkmcnt(0)
	v_cvt_f32_i32_e32 v2, v10
	v_add_co_u32_e32 v0, vcc, 0x1000, v0
	v_addc_co_u32_e32 v1, vcc, 0, v1, vcc
	global_store_dword v[0:1], v2, off offset:512
	s_endpgm
	.section	.rodata,"a",@progbits
	.p2align	6, 0x0
	.amdhsa_kernel _ZN7rocprim17ROCPRIM_400000_NS6detail17trampoline_kernelINS0_14default_configENS1_20scan_config_selectorIiEEZZNS1_9scan_implILNS1_25lookback_scan_determinismE0ELb1ELb1ES3_N6thrust23THRUST_200600_302600_NS6detail15normal_iteratorINS9_10device_ptrIjEEEENSB_INSC_IfEEEEiNS9_4plusIvEEiEEDaPvRmT3_T4_T5_mT6_P12ihipStream_tbENKUlT_T0_E_clISt17integral_constantIbLb1EESV_IbLb0EEEEDaSR_SS_EUlSR_E0_NS1_11comp_targetILNS1_3genE4ELNS1_11target_archE910ELNS1_3gpuE8ELNS1_3repE0EEENS1_30default_config_static_selectorELNS0_4arch9wavefront6targetE1EEEvT1_
		.amdhsa_group_segment_fixed_size 5120
		.amdhsa_private_segment_fixed_size 0
		.amdhsa_kernarg_size 32
		.amdhsa_user_sgpr_count 6
		.amdhsa_user_sgpr_private_segment_buffer 1
		.amdhsa_user_sgpr_dispatch_ptr 0
		.amdhsa_user_sgpr_queue_ptr 0
		.amdhsa_user_sgpr_kernarg_segment_ptr 1
		.amdhsa_user_sgpr_dispatch_id 0
		.amdhsa_user_sgpr_flat_scratch_init 0
		.amdhsa_user_sgpr_kernarg_preload_length 0
		.amdhsa_user_sgpr_kernarg_preload_offset 0
		.amdhsa_user_sgpr_private_segment_size 0
		.amdhsa_uses_dynamic_stack 0
		.amdhsa_system_sgpr_private_segment_wavefront_offset 0
		.amdhsa_system_sgpr_workgroup_id_x 1
		.amdhsa_system_sgpr_workgroup_id_y 0
		.amdhsa_system_sgpr_workgroup_id_z 0
		.amdhsa_system_sgpr_workgroup_info 0
		.amdhsa_system_vgpr_workitem_id 0
		.amdhsa_next_free_vgpr 18
		.amdhsa_next_free_sgpr 25
		.amdhsa_accum_offset 20
		.amdhsa_reserve_vcc 1
		.amdhsa_reserve_flat_scratch 0
		.amdhsa_float_round_mode_32 0
		.amdhsa_float_round_mode_16_64 0
		.amdhsa_float_denorm_mode_32 3
		.amdhsa_float_denorm_mode_16_64 3
		.amdhsa_dx10_clamp 1
		.amdhsa_ieee_mode 1
		.amdhsa_fp16_overflow 0
		.amdhsa_tg_split 0
		.amdhsa_exception_fp_ieee_invalid_op 0
		.amdhsa_exception_fp_denorm_src 0
		.amdhsa_exception_fp_ieee_div_zero 0
		.amdhsa_exception_fp_ieee_overflow 0
		.amdhsa_exception_fp_ieee_underflow 0
		.amdhsa_exception_fp_ieee_inexact 0
		.amdhsa_exception_int_div_zero 0
	.end_amdhsa_kernel
	.section	.text._ZN7rocprim17ROCPRIM_400000_NS6detail17trampoline_kernelINS0_14default_configENS1_20scan_config_selectorIiEEZZNS1_9scan_implILNS1_25lookback_scan_determinismE0ELb1ELb1ES3_N6thrust23THRUST_200600_302600_NS6detail15normal_iteratorINS9_10device_ptrIjEEEENSB_INSC_IfEEEEiNS9_4plusIvEEiEEDaPvRmT3_T4_T5_mT6_P12ihipStream_tbENKUlT_T0_E_clISt17integral_constantIbLb1EESV_IbLb0EEEEDaSR_SS_EUlSR_E0_NS1_11comp_targetILNS1_3genE4ELNS1_11target_archE910ELNS1_3gpuE8ELNS1_3repE0EEENS1_30default_config_static_selectorELNS0_4arch9wavefront6targetE1EEEvT1_,"axG",@progbits,_ZN7rocprim17ROCPRIM_400000_NS6detail17trampoline_kernelINS0_14default_configENS1_20scan_config_selectorIiEEZZNS1_9scan_implILNS1_25lookback_scan_determinismE0ELb1ELb1ES3_N6thrust23THRUST_200600_302600_NS6detail15normal_iteratorINS9_10device_ptrIjEEEENSB_INSC_IfEEEEiNS9_4plusIvEEiEEDaPvRmT3_T4_T5_mT6_P12ihipStream_tbENKUlT_T0_E_clISt17integral_constantIbLb1EESV_IbLb0EEEEDaSR_SS_EUlSR_E0_NS1_11comp_targetILNS1_3genE4ELNS1_11target_archE910ELNS1_3gpuE8ELNS1_3repE0EEENS1_30default_config_static_selectorELNS0_4arch9wavefront6targetE1EEEvT1_,comdat
.Lfunc_end6207:
	.size	_ZN7rocprim17ROCPRIM_400000_NS6detail17trampoline_kernelINS0_14default_configENS1_20scan_config_selectorIiEEZZNS1_9scan_implILNS1_25lookback_scan_determinismE0ELb1ELb1ES3_N6thrust23THRUST_200600_302600_NS6detail15normal_iteratorINS9_10device_ptrIjEEEENSB_INSC_IfEEEEiNS9_4plusIvEEiEEDaPvRmT3_T4_T5_mT6_P12ihipStream_tbENKUlT_T0_E_clISt17integral_constantIbLb1EESV_IbLb0EEEEDaSR_SS_EUlSR_E0_NS1_11comp_targetILNS1_3genE4ELNS1_11target_archE910ELNS1_3gpuE8ELNS1_3repE0EEENS1_30default_config_static_selectorELNS0_4arch9wavefront6targetE1EEEvT1_, .Lfunc_end6207-_ZN7rocprim17ROCPRIM_400000_NS6detail17trampoline_kernelINS0_14default_configENS1_20scan_config_selectorIiEEZZNS1_9scan_implILNS1_25lookback_scan_determinismE0ELb1ELb1ES3_N6thrust23THRUST_200600_302600_NS6detail15normal_iteratorINS9_10device_ptrIjEEEENSB_INSC_IfEEEEiNS9_4plusIvEEiEEDaPvRmT3_T4_T5_mT6_P12ihipStream_tbENKUlT_T0_E_clISt17integral_constantIbLb1EESV_IbLb0EEEEDaSR_SS_EUlSR_E0_NS1_11comp_targetILNS1_3genE4ELNS1_11target_archE910ELNS1_3gpuE8ELNS1_3repE0EEENS1_30default_config_static_selectorELNS0_4arch9wavefront6targetE1EEEvT1_
                                        ; -- End function
	.section	.AMDGPU.csdata,"",@progbits
; Kernel info:
; codeLenInByte = 1572
; NumSgprs: 29
; NumVgprs: 18
; NumAgprs: 0
; TotalNumVgprs: 18
; ScratchSize: 0
; MemoryBound: 0
; FloatMode: 240
; IeeeMode: 1
; LDSByteSize: 5120 bytes/workgroup (compile time only)
; SGPRBlocks: 3
; VGPRBlocks: 2
; NumSGPRsForWavesPerEU: 29
; NumVGPRsForWavesPerEU: 18
; AccumOffset: 20
; Occupancy: 6
; WaveLimiterHint : 0
; COMPUTE_PGM_RSRC2:SCRATCH_EN: 0
; COMPUTE_PGM_RSRC2:USER_SGPR: 6
; COMPUTE_PGM_RSRC2:TRAP_HANDLER: 0
; COMPUTE_PGM_RSRC2:TGID_X_EN: 1
; COMPUTE_PGM_RSRC2:TGID_Y_EN: 0
; COMPUTE_PGM_RSRC2:TGID_Z_EN: 0
; COMPUTE_PGM_RSRC2:TIDIG_COMP_CNT: 0
; COMPUTE_PGM_RSRC3_GFX90A:ACCUM_OFFSET: 4
; COMPUTE_PGM_RSRC3_GFX90A:TG_SPLIT: 0
	.section	.text._ZN7rocprim17ROCPRIM_400000_NS6detail17trampoline_kernelINS0_14default_configENS1_20scan_config_selectorIiEEZZNS1_9scan_implILNS1_25lookback_scan_determinismE0ELb1ELb1ES3_N6thrust23THRUST_200600_302600_NS6detail15normal_iteratorINS9_10device_ptrIjEEEENSB_INSC_IfEEEEiNS9_4plusIvEEiEEDaPvRmT3_T4_T5_mT6_P12ihipStream_tbENKUlT_T0_E_clISt17integral_constantIbLb1EESV_IbLb0EEEEDaSR_SS_EUlSR_E0_NS1_11comp_targetILNS1_3genE3ELNS1_11target_archE908ELNS1_3gpuE7ELNS1_3repE0EEENS1_30default_config_static_selectorELNS0_4arch9wavefront6targetE1EEEvT1_,"axG",@progbits,_ZN7rocprim17ROCPRIM_400000_NS6detail17trampoline_kernelINS0_14default_configENS1_20scan_config_selectorIiEEZZNS1_9scan_implILNS1_25lookback_scan_determinismE0ELb1ELb1ES3_N6thrust23THRUST_200600_302600_NS6detail15normal_iteratorINS9_10device_ptrIjEEEENSB_INSC_IfEEEEiNS9_4plusIvEEiEEDaPvRmT3_T4_T5_mT6_P12ihipStream_tbENKUlT_T0_E_clISt17integral_constantIbLb1EESV_IbLb0EEEEDaSR_SS_EUlSR_E0_NS1_11comp_targetILNS1_3genE3ELNS1_11target_archE908ELNS1_3gpuE7ELNS1_3repE0EEENS1_30default_config_static_selectorELNS0_4arch9wavefront6targetE1EEEvT1_,comdat
	.protected	_ZN7rocprim17ROCPRIM_400000_NS6detail17trampoline_kernelINS0_14default_configENS1_20scan_config_selectorIiEEZZNS1_9scan_implILNS1_25lookback_scan_determinismE0ELb1ELb1ES3_N6thrust23THRUST_200600_302600_NS6detail15normal_iteratorINS9_10device_ptrIjEEEENSB_INSC_IfEEEEiNS9_4plusIvEEiEEDaPvRmT3_T4_T5_mT6_P12ihipStream_tbENKUlT_T0_E_clISt17integral_constantIbLb1EESV_IbLb0EEEEDaSR_SS_EUlSR_E0_NS1_11comp_targetILNS1_3genE3ELNS1_11target_archE908ELNS1_3gpuE7ELNS1_3repE0EEENS1_30default_config_static_selectorELNS0_4arch9wavefront6targetE1EEEvT1_ ; -- Begin function _ZN7rocprim17ROCPRIM_400000_NS6detail17trampoline_kernelINS0_14default_configENS1_20scan_config_selectorIiEEZZNS1_9scan_implILNS1_25lookback_scan_determinismE0ELb1ELb1ES3_N6thrust23THRUST_200600_302600_NS6detail15normal_iteratorINS9_10device_ptrIjEEEENSB_INSC_IfEEEEiNS9_4plusIvEEiEEDaPvRmT3_T4_T5_mT6_P12ihipStream_tbENKUlT_T0_E_clISt17integral_constantIbLb1EESV_IbLb0EEEEDaSR_SS_EUlSR_E0_NS1_11comp_targetILNS1_3genE3ELNS1_11target_archE908ELNS1_3gpuE7ELNS1_3repE0EEENS1_30default_config_static_selectorELNS0_4arch9wavefront6targetE1EEEvT1_
	.globl	_ZN7rocprim17ROCPRIM_400000_NS6detail17trampoline_kernelINS0_14default_configENS1_20scan_config_selectorIiEEZZNS1_9scan_implILNS1_25lookback_scan_determinismE0ELb1ELb1ES3_N6thrust23THRUST_200600_302600_NS6detail15normal_iteratorINS9_10device_ptrIjEEEENSB_INSC_IfEEEEiNS9_4plusIvEEiEEDaPvRmT3_T4_T5_mT6_P12ihipStream_tbENKUlT_T0_E_clISt17integral_constantIbLb1EESV_IbLb0EEEEDaSR_SS_EUlSR_E0_NS1_11comp_targetILNS1_3genE3ELNS1_11target_archE908ELNS1_3gpuE7ELNS1_3repE0EEENS1_30default_config_static_selectorELNS0_4arch9wavefront6targetE1EEEvT1_
	.p2align	8
	.type	_ZN7rocprim17ROCPRIM_400000_NS6detail17trampoline_kernelINS0_14default_configENS1_20scan_config_selectorIiEEZZNS1_9scan_implILNS1_25lookback_scan_determinismE0ELb1ELb1ES3_N6thrust23THRUST_200600_302600_NS6detail15normal_iteratorINS9_10device_ptrIjEEEENSB_INSC_IfEEEEiNS9_4plusIvEEiEEDaPvRmT3_T4_T5_mT6_P12ihipStream_tbENKUlT_T0_E_clISt17integral_constantIbLb1EESV_IbLb0EEEEDaSR_SS_EUlSR_E0_NS1_11comp_targetILNS1_3genE3ELNS1_11target_archE908ELNS1_3gpuE7ELNS1_3repE0EEENS1_30default_config_static_selectorELNS0_4arch9wavefront6targetE1EEEvT1_,@function
_ZN7rocprim17ROCPRIM_400000_NS6detail17trampoline_kernelINS0_14default_configENS1_20scan_config_selectorIiEEZZNS1_9scan_implILNS1_25lookback_scan_determinismE0ELb1ELb1ES3_N6thrust23THRUST_200600_302600_NS6detail15normal_iteratorINS9_10device_ptrIjEEEENSB_INSC_IfEEEEiNS9_4plusIvEEiEEDaPvRmT3_T4_T5_mT6_P12ihipStream_tbENKUlT_T0_E_clISt17integral_constantIbLb1EESV_IbLb0EEEEDaSR_SS_EUlSR_E0_NS1_11comp_targetILNS1_3genE3ELNS1_11target_archE908ELNS1_3gpuE7ELNS1_3repE0EEENS1_30default_config_static_selectorELNS0_4arch9wavefront6targetE1EEEvT1_: ; @_ZN7rocprim17ROCPRIM_400000_NS6detail17trampoline_kernelINS0_14default_configENS1_20scan_config_selectorIiEEZZNS1_9scan_implILNS1_25lookback_scan_determinismE0ELb1ELb1ES3_N6thrust23THRUST_200600_302600_NS6detail15normal_iteratorINS9_10device_ptrIjEEEENSB_INSC_IfEEEEiNS9_4plusIvEEiEEDaPvRmT3_T4_T5_mT6_P12ihipStream_tbENKUlT_T0_E_clISt17integral_constantIbLb1EESV_IbLb0EEEEDaSR_SS_EUlSR_E0_NS1_11comp_targetILNS1_3genE3ELNS1_11target_archE908ELNS1_3gpuE7ELNS1_3repE0EEENS1_30default_config_static_selectorELNS0_4arch9wavefront6targetE1EEEvT1_
; %bb.0:
	.section	.rodata,"a",@progbits
	.p2align	6, 0x0
	.amdhsa_kernel _ZN7rocprim17ROCPRIM_400000_NS6detail17trampoline_kernelINS0_14default_configENS1_20scan_config_selectorIiEEZZNS1_9scan_implILNS1_25lookback_scan_determinismE0ELb1ELb1ES3_N6thrust23THRUST_200600_302600_NS6detail15normal_iteratorINS9_10device_ptrIjEEEENSB_INSC_IfEEEEiNS9_4plusIvEEiEEDaPvRmT3_T4_T5_mT6_P12ihipStream_tbENKUlT_T0_E_clISt17integral_constantIbLb1EESV_IbLb0EEEEDaSR_SS_EUlSR_E0_NS1_11comp_targetILNS1_3genE3ELNS1_11target_archE908ELNS1_3gpuE7ELNS1_3repE0EEENS1_30default_config_static_selectorELNS0_4arch9wavefront6targetE1EEEvT1_
		.amdhsa_group_segment_fixed_size 0
		.amdhsa_private_segment_fixed_size 0
		.amdhsa_kernarg_size 32
		.amdhsa_user_sgpr_count 6
		.amdhsa_user_sgpr_private_segment_buffer 1
		.amdhsa_user_sgpr_dispatch_ptr 0
		.amdhsa_user_sgpr_queue_ptr 0
		.amdhsa_user_sgpr_kernarg_segment_ptr 1
		.amdhsa_user_sgpr_dispatch_id 0
		.amdhsa_user_sgpr_flat_scratch_init 0
		.amdhsa_user_sgpr_kernarg_preload_length 0
		.amdhsa_user_sgpr_kernarg_preload_offset 0
		.amdhsa_user_sgpr_private_segment_size 0
		.amdhsa_uses_dynamic_stack 0
		.amdhsa_system_sgpr_private_segment_wavefront_offset 0
		.amdhsa_system_sgpr_workgroup_id_x 1
		.amdhsa_system_sgpr_workgroup_id_y 0
		.amdhsa_system_sgpr_workgroup_id_z 0
		.amdhsa_system_sgpr_workgroup_info 0
		.amdhsa_system_vgpr_workitem_id 0
		.amdhsa_next_free_vgpr 1
		.amdhsa_next_free_sgpr 0
		.amdhsa_accum_offset 4
		.amdhsa_reserve_vcc 0
		.amdhsa_reserve_flat_scratch 0
		.amdhsa_float_round_mode_32 0
		.amdhsa_float_round_mode_16_64 0
		.amdhsa_float_denorm_mode_32 3
		.amdhsa_float_denorm_mode_16_64 3
		.amdhsa_dx10_clamp 1
		.amdhsa_ieee_mode 1
		.amdhsa_fp16_overflow 0
		.amdhsa_tg_split 0
		.amdhsa_exception_fp_ieee_invalid_op 0
		.amdhsa_exception_fp_denorm_src 0
		.amdhsa_exception_fp_ieee_div_zero 0
		.amdhsa_exception_fp_ieee_overflow 0
		.amdhsa_exception_fp_ieee_underflow 0
		.amdhsa_exception_fp_ieee_inexact 0
		.amdhsa_exception_int_div_zero 0
	.end_amdhsa_kernel
	.section	.text._ZN7rocprim17ROCPRIM_400000_NS6detail17trampoline_kernelINS0_14default_configENS1_20scan_config_selectorIiEEZZNS1_9scan_implILNS1_25lookback_scan_determinismE0ELb1ELb1ES3_N6thrust23THRUST_200600_302600_NS6detail15normal_iteratorINS9_10device_ptrIjEEEENSB_INSC_IfEEEEiNS9_4plusIvEEiEEDaPvRmT3_T4_T5_mT6_P12ihipStream_tbENKUlT_T0_E_clISt17integral_constantIbLb1EESV_IbLb0EEEEDaSR_SS_EUlSR_E0_NS1_11comp_targetILNS1_3genE3ELNS1_11target_archE908ELNS1_3gpuE7ELNS1_3repE0EEENS1_30default_config_static_selectorELNS0_4arch9wavefront6targetE1EEEvT1_,"axG",@progbits,_ZN7rocprim17ROCPRIM_400000_NS6detail17trampoline_kernelINS0_14default_configENS1_20scan_config_selectorIiEEZZNS1_9scan_implILNS1_25lookback_scan_determinismE0ELb1ELb1ES3_N6thrust23THRUST_200600_302600_NS6detail15normal_iteratorINS9_10device_ptrIjEEEENSB_INSC_IfEEEEiNS9_4plusIvEEiEEDaPvRmT3_T4_T5_mT6_P12ihipStream_tbENKUlT_T0_E_clISt17integral_constantIbLb1EESV_IbLb0EEEEDaSR_SS_EUlSR_E0_NS1_11comp_targetILNS1_3genE3ELNS1_11target_archE908ELNS1_3gpuE7ELNS1_3repE0EEENS1_30default_config_static_selectorELNS0_4arch9wavefront6targetE1EEEvT1_,comdat
.Lfunc_end6208:
	.size	_ZN7rocprim17ROCPRIM_400000_NS6detail17trampoline_kernelINS0_14default_configENS1_20scan_config_selectorIiEEZZNS1_9scan_implILNS1_25lookback_scan_determinismE0ELb1ELb1ES3_N6thrust23THRUST_200600_302600_NS6detail15normal_iteratorINS9_10device_ptrIjEEEENSB_INSC_IfEEEEiNS9_4plusIvEEiEEDaPvRmT3_T4_T5_mT6_P12ihipStream_tbENKUlT_T0_E_clISt17integral_constantIbLb1EESV_IbLb0EEEEDaSR_SS_EUlSR_E0_NS1_11comp_targetILNS1_3genE3ELNS1_11target_archE908ELNS1_3gpuE7ELNS1_3repE0EEENS1_30default_config_static_selectorELNS0_4arch9wavefront6targetE1EEEvT1_, .Lfunc_end6208-_ZN7rocprim17ROCPRIM_400000_NS6detail17trampoline_kernelINS0_14default_configENS1_20scan_config_selectorIiEEZZNS1_9scan_implILNS1_25lookback_scan_determinismE0ELb1ELb1ES3_N6thrust23THRUST_200600_302600_NS6detail15normal_iteratorINS9_10device_ptrIjEEEENSB_INSC_IfEEEEiNS9_4plusIvEEiEEDaPvRmT3_T4_T5_mT6_P12ihipStream_tbENKUlT_T0_E_clISt17integral_constantIbLb1EESV_IbLb0EEEEDaSR_SS_EUlSR_E0_NS1_11comp_targetILNS1_3genE3ELNS1_11target_archE908ELNS1_3gpuE7ELNS1_3repE0EEENS1_30default_config_static_selectorELNS0_4arch9wavefront6targetE1EEEvT1_
                                        ; -- End function
	.section	.AMDGPU.csdata,"",@progbits
; Kernel info:
; codeLenInByte = 0
; NumSgprs: 4
; NumVgprs: 0
; NumAgprs: 0
; TotalNumVgprs: 0
; ScratchSize: 0
; MemoryBound: 0
; FloatMode: 240
; IeeeMode: 1
; LDSByteSize: 0 bytes/workgroup (compile time only)
; SGPRBlocks: 0
; VGPRBlocks: 0
; NumSGPRsForWavesPerEU: 4
; NumVGPRsForWavesPerEU: 1
; AccumOffset: 4
; Occupancy: 8
; WaveLimiterHint : 0
; COMPUTE_PGM_RSRC2:SCRATCH_EN: 0
; COMPUTE_PGM_RSRC2:USER_SGPR: 6
; COMPUTE_PGM_RSRC2:TRAP_HANDLER: 0
; COMPUTE_PGM_RSRC2:TGID_X_EN: 1
; COMPUTE_PGM_RSRC2:TGID_Y_EN: 0
; COMPUTE_PGM_RSRC2:TGID_Z_EN: 0
; COMPUTE_PGM_RSRC2:TIDIG_COMP_CNT: 0
; COMPUTE_PGM_RSRC3_GFX90A:ACCUM_OFFSET: 0
; COMPUTE_PGM_RSRC3_GFX90A:TG_SPLIT: 0
	.section	.text._ZN7rocprim17ROCPRIM_400000_NS6detail17trampoline_kernelINS0_14default_configENS1_20scan_config_selectorIiEEZZNS1_9scan_implILNS1_25lookback_scan_determinismE0ELb1ELb1ES3_N6thrust23THRUST_200600_302600_NS6detail15normal_iteratorINS9_10device_ptrIjEEEENSB_INSC_IfEEEEiNS9_4plusIvEEiEEDaPvRmT3_T4_T5_mT6_P12ihipStream_tbENKUlT_T0_E_clISt17integral_constantIbLb1EESV_IbLb0EEEEDaSR_SS_EUlSR_E0_NS1_11comp_targetILNS1_3genE2ELNS1_11target_archE906ELNS1_3gpuE6ELNS1_3repE0EEENS1_30default_config_static_selectorELNS0_4arch9wavefront6targetE1EEEvT1_,"axG",@progbits,_ZN7rocprim17ROCPRIM_400000_NS6detail17trampoline_kernelINS0_14default_configENS1_20scan_config_selectorIiEEZZNS1_9scan_implILNS1_25lookback_scan_determinismE0ELb1ELb1ES3_N6thrust23THRUST_200600_302600_NS6detail15normal_iteratorINS9_10device_ptrIjEEEENSB_INSC_IfEEEEiNS9_4plusIvEEiEEDaPvRmT3_T4_T5_mT6_P12ihipStream_tbENKUlT_T0_E_clISt17integral_constantIbLb1EESV_IbLb0EEEEDaSR_SS_EUlSR_E0_NS1_11comp_targetILNS1_3genE2ELNS1_11target_archE906ELNS1_3gpuE6ELNS1_3repE0EEENS1_30default_config_static_selectorELNS0_4arch9wavefront6targetE1EEEvT1_,comdat
	.protected	_ZN7rocprim17ROCPRIM_400000_NS6detail17trampoline_kernelINS0_14default_configENS1_20scan_config_selectorIiEEZZNS1_9scan_implILNS1_25lookback_scan_determinismE0ELb1ELb1ES3_N6thrust23THRUST_200600_302600_NS6detail15normal_iteratorINS9_10device_ptrIjEEEENSB_INSC_IfEEEEiNS9_4plusIvEEiEEDaPvRmT3_T4_T5_mT6_P12ihipStream_tbENKUlT_T0_E_clISt17integral_constantIbLb1EESV_IbLb0EEEEDaSR_SS_EUlSR_E0_NS1_11comp_targetILNS1_3genE2ELNS1_11target_archE906ELNS1_3gpuE6ELNS1_3repE0EEENS1_30default_config_static_selectorELNS0_4arch9wavefront6targetE1EEEvT1_ ; -- Begin function _ZN7rocprim17ROCPRIM_400000_NS6detail17trampoline_kernelINS0_14default_configENS1_20scan_config_selectorIiEEZZNS1_9scan_implILNS1_25lookback_scan_determinismE0ELb1ELb1ES3_N6thrust23THRUST_200600_302600_NS6detail15normal_iteratorINS9_10device_ptrIjEEEENSB_INSC_IfEEEEiNS9_4plusIvEEiEEDaPvRmT3_T4_T5_mT6_P12ihipStream_tbENKUlT_T0_E_clISt17integral_constantIbLb1EESV_IbLb0EEEEDaSR_SS_EUlSR_E0_NS1_11comp_targetILNS1_3genE2ELNS1_11target_archE906ELNS1_3gpuE6ELNS1_3repE0EEENS1_30default_config_static_selectorELNS0_4arch9wavefront6targetE1EEEvT1_
	.globl	_ZN7rocprim17ROCPRIM_400000_NS6detail17trampoline_kernelINS0_14default_configENS1_20scan_config_selectorIiEEZZNS1_9scan_implILNS1_25lookback_scan_determinismE0ELb1ELb1ES3_N6thrust23THRUST_200600_302600_NS6detail15normal_iteratorINS9_10device_ptrIjEEEENSB_INSC_IfEEEEiNS9_4plusIvEEiEEDaPvRmT3_T4_T5_mT6_P12ihipStream_tbENKUlT_T0_E_clISt17integral_constantIbLb1EESV_IbLb0EEEEDaSR_SS_EUlSR_E0_NS1_11comp_targetILNS1_3genE2ELNS1_11target_archE906ELNS1_3gpuE6ELNS1_3repE0EEENS1_30default_config_static_selectorELNS0_4arch9wavefront6targetE1EEEvT1_
	.p2align	8
	.type	_ZN7rocprim17ROCPRIM_400000_NS6detail17trampoline_kernelINS0_14default_configENS1_20scan_config_selectorIiEEZZNS1_9scan_implILNS1_25lookback_scan_determinismE0ELb1ELb1ES3_N6thrust23THRUST_200600_302600_NS6detail15normal_iteratorINS9_10device_ptrIjEEEENSB_INSC_IfEEEEiNS9_4plusIvEEiEEDaPvRmT3_T4_T5_mT6_P12ihipStream_tbENKUlT_T0_E_clISt17integral_constantIbLb1EESV_IbLb0EEEEDaSR_SS_EUlSR_E0_NS1_11comp_targetILNS1_3genE2ELNS1_11target_archE906ELNS1_3gpuE6ELNS1_3repE0EEENS1_30default_config_static_selectorELNS0_4arch9wavefront6targetE1EEEvT1_,@function
_ZN7rocprim17ROCPRIM_400000_NS6detail17trampoline_kernelINS0_14default_configENS1_20scan_config_selectorIiEEZZNS1_9scan_implILNS1_25lookback_scan_determinismE0ELb1ELb1ES3_N6thrust23THRUST_200600_302600_NS6detail15normal_iteratorINS9_10device_ptrIjEEEENSB_INSC_IfEEEEiNS9_4plusIvEEiEEDaPvRmT3_T4_T5_mT6_P12ihipStream_tbENKUlT_T0_E_clISt17integral_constantIbLb1EESV_IbLb0EEEEDaSR_SS_EUlSR_E0_NS1_11comp_targetILNS1_3genE2ELNS1_11target_archE906ELNS1_3gpuE6ELNS1_3repE0EEENS1_30default_config_static_selectorELNS0_4arch9wavefront6targetE1EEEvT1_: ; @_ZN7rocprim17ROCPRIM_400000_NS6detail17trampoline_kernelINS0_14default_configENS1_20scan_config_selectorIiEEZZNS1_9scan_implILNS1_25lookback_scan_determinismE0ELb1ELb1ES3_N6thrust23THRUST_200600_302600_NS6detail15normal_iteratorINS9_10device_ptrIjEEEENSB_INSC_IfEEEEiNS9_4plusIvEEiEEDaPvRmT3_T4_T5_mT6_P12ihipStream_tbENKUlT_T0_E_clISt17integral_constantIbLb1EESV_IbLb0EEEEDaSR_SS_EUlSR_E0_NS1_11comp_targetILNS1_3genE2ELNS1_11target_archE906ELNS1_3gpuE6ELNS1_3repE0EEENS1_30default_config_static_selectorELNS0_4arch9wavefront6targetE1EEEvT1_
; %bb.0:
	.section	.rodata,"a",@progbits
	.p2align	6, 0x0
	.amdhsa_kernel _ZN7rocprim17ROCPRIM_400000_NS6detail17trampoline_kernelINS0_14default_configENS1_20scan_config_selectorIiEEZZNS1_9scan_implILNS1_25lookback_scan_determinismE0ELb1ELb1ES3_N6thrust23THRUST_200600_302600_NS6detail15normal_iteratorINS9_10device_ptrIjEEEENSB_INSC_IfEEEEiNS9_4plusIvEEiEEDaPvRmT3_T4_T5_mT6_P12ihipStream_tbENKUlT_T0_E_clISt17integral_constantIbLb1EESV_IbLb0EEEEDaSR_SS_EUlSR_E0_NS1_11comp_targetILNS1_3genE2ELNS1_11target_archE906ELNS1_3gpuE6ELNS1_3repE0EEENS1_30default_config_static_selectorELNS0_4arch9wavefront6targetE1EEEvT1_
		.amdhsa_group_segment_fixed_size 0
		.amdhsa_private_segment_fixed_size 0
		.amdhsa_kernarg_size 32
		.amdhsa_user_sgpr_count 6
		.amdhsa_user_sgpr_private_segment_buffer 1
		.amdhsa_user_sgpr_dispatch_ptr 0
		.amdhsa_user_sgpr_queue_ptr 0
		.amdhsa_user_sgpr_kernarg_segment_ptr 1
		.amdhsa_user_sgpr_dispatch_id 0
		.amdhsa_user_sgpr_flat_scratch_init 0
		.amdhsa_user_sgpr_kernarg_preload_length 0
		.amdhsa_user_sgpr_kernarg_preload_offset 0
		.amdhsa_user_sgpr_private_segment_size 0
		.amdhsa_uses_dynamic_stack 0
		.amdhsa_system_sgpr_private_segment_wavefront_offset 0
		.amdhsa_system_sgpr_workgroup_id_x 1
		.amdhsa_system_sgpr_workgroup_id_y 0
		.amdhsa_system_sgpr_workgroup_id_z 0
		.amdhsa_system_sgpr_workgroup_info 0
		.amdhsa_system_vgpr_workitem_id 0
		.amdhsa_next_free_vgpr 1
		.amdhsa_next_free_sgpr 0
		.amdhsa_accum_offset 4
		.amdhsa_reserve_vcc 0
		.amdhsa_reserve_flat_scratch 0
		.amdhsa_float_round_mode_32 0
		.amdhsa_float_round_mode_16_64 0
		.amdhsa_float_denorm_mode_32 3
		.amdhsa_float_denorm_mode_16_64 3
		.amdhsa_dx10_clamp 1
		.amdhsa_ieee_mode 1
		.amdhsa_fp16_overflow 0
		.amdhsa_tg_split 0
		.amdhsa_exception_fp_ieee_invalid_op 0
		.amdhsa_exception_fp_denorm_src 0
		.amdhsa_exception_fp_ieee_div_zero 0
		.amdhsa_exception_fp_ieee_overflow 0
		.amdhsa_exception_fp_ieee_underflow 0
		.amdhsa_exception_fp_ieee_inexact 0
		.amdhsa_exception_int_div_zero 0
	.end_amdhsa_kernel
	.section	.text._ZN7rocprim17ROCPRIM_400000_NS6detail17trampoline_kernelINS0_14default_configENS1_20scan_config_selectorIiEEZZNS1_9scan_implILNS1_25lookback_scan_determinismE0ELb1ELb1ES3_N6thrust23THRUST_200600_302600_NS6detail15normal_iteratorINS9_10device_ptrIjEEEENSB_INSC_IfEEEEiNS9_4plusIvEEiEEDaPvRmT3_T4_T5_mT6_P12ihipStream_tbENKUlT_T0_E_clISt17integral_constantIbLb1EESV_IbLb0EEEEDaSR_SS_EUlSR_E0_NS1_11comp_targetILNS1_3genE2ELNS1_11target_archE906ELNS1_3gpuE6ELNS1_3repE0EEENS1_30default_config_static_selectorELNS0_4arch9wavefront6targetE1EEEvT1_,"axG",@progbits,_ZN7rocprim17ROCPRIM_400000_NS6detail17trampoline_kernelINS0_14default_configENS1_20scan_config_selectorIiEEZZNS1_9scan_implILNS1_25lookback_scan_determinismE0ELb1ELb1ES3_N6thrust23THRUST_200600_302600_NS6detail15normal_iteratorINS9_10device_ptrIjEEEENSB_INSC_IfEEEEiNS9_4plusIvEEiEEDaPvRmT3_T4_T5_mT6_P12ihipStream_tbENKUlT_T0_E_clISt17integral_constantIbLb1EESV_IbLb0EEEEDaSR_SS_EUlSR_E0_NS1_11comp_targetILNS1_3genE2ELNS1_11target_archE906ELNS1_3gpuE6ELNS1_3repE0EEENS1_30default_config_static_selectorELNS0_4arch9wavefront6targetE1EEEvT1_,comdat
.Lfunc_end6209:
	.size	_ZN7rocprim17ROCPRIM_400000_NS6detail17trampoline_kernelINS0_14default_configENS1_20scan_config_selectorIiEEZZNS1_9scan_implILNS1_25lookback_scan_determinismE0ELb1ELb1ES3_N6thrust23THRUST_200600_302600_NS6detail15normal_iteratorINS9_10device_ptrIjEEEENSB_INSC_IfEEEEiNS9_4plusIvEEiEEDaPvRmT3_T4_T5_mT6_P12ihipStream_tbENKUlT_T0_E_clISt17integral_constantIbLb1EESV_IbLb0EEEEDaSR_SS_EUlSR_E0_NS1_11comp_targetILNS1_3genE2ELNS1_11target_archE906ELNS1_3gpuE6ELNS1_3repE0EEENS1_30default_config_static_selectorELNS0_4arch9wavefront6targetE1EEEvT1_, .Lfunc_end6209-_ZN7rocprim17ROCPRIM_400000_NS6detail17trampoline_kernelINS0_14default_configENS1_20scan_config_selectorIiEEZZNS1_9scan_implILNS1_25lookback_scan_determinismE0ELb1ELb1ES3_N6thrust23THRUST_200600_302600_NS6detail15normal_iteratorINS9_10device_ptrIjEEEENSB_INSC_IfEEEEiNS9_4plusIvEEiEEDaPvRmT3_T4_T5_mT6_P12ihipStream_tbENKUlT_T0_E_clISt17integral_constantIbLb1EESV_IbLb0EEEEDaSR_SS_EUlSR_E0_NS1_11comp_targetILNS1_3genE2ELNS1_11target_archE906ELNS1_3gpuE6ELNS1_3repE0EEENS1_30default_config_static_selectorELNS0_4arch9wavefront6targetE1EEEvT1_
                                        ; -- End function
	.section	.AMDGPU.csdata,"",@progbits
; Kernel info:
; codeLenInByte = 0
; NumSgprs: 4
; NumVgprs: 0
; NumAgprs: 0
; TotalNumVgprs: 0
; ScratchSize: 0
; MemoryBound: 0
; FloatMode: 240
; IeeeMode: 1
; LDSByteSize: 0 bytes/workgroup (compile time only)
; SGPRBlocks: 0
; VGPRBlocks: 0
; NumSGPRsForWavesPerEU: 4
; NumVGPRsForWavesPerEU: 1
; AccumOffset: 4
; Occupancy: 8
; WaveLimiterHint : 0
; COMPUTE_PGM_RSRC2:SCRATCH_EN: 0
; COMPUTE_PGM_RSRC2:USER_SGPR: 6
; COMPUTE_PGM_RSRC2:TRAP_HANDLER: 0
; COMPUTE_PGM_RSRC2:TGID_X_EN: 1
; COMPUTE_PGM_RSRC2:TGID_Y_EN: 0
; COMPUTE_PGM_RSRC2:TGID_Z_EN: 0
; COMPUTE_PGM_RSRC2:TIDIG_COMP_CNT: 0
; COMPUTE_PGM_RSRC3_GFX90A:ACCUM_OFFSET: 0
; COMPUTE_PGM_RSRC3_GFX90A:TG_SPLIT: 0
	.section	.text._ZN7rocprim17ROCPRIM_400000_NS6detail17trampoline_kernelINS0_14default_configENS1_20scan_config_selectorIiEEZZNS1_9scan_implILNS1_25lookback_scan_determinismE0ELb1ELb1ES3_N6thrust23THRUST_200600_302600_NS6detail15normal_iteratorINS9_10device_ptrIjEEEENSB_INSC_IfEEEEiNS9_4plusIvEEiEEDaPvRmT3_T4_T5_mT6_P12ihipStream_tbENKUlT_T0_E_clISt17integral_constantIbLb1EESV_IbLb0EEEEDaSR_SS_EUlSR_E0_NS1_11comp_targetILNS1_3genE10ELNS1_11target_archE1201ELNS1_3gpuE5ELNS1_3repE0EEENS1_30default_config_static_selectorELNS0_4arch9wavefront6targetE1EEEvT1_,"axG",@progbits,_ZN7rocprim17ROCPRIM_400000_NS6detail17trampoline_kernelINS0_14default_configENS1_20scan_config_selectorIiEEZZNS1_9scan_implILNS1_25lookback_scan_determinismE0ELb1ELb1ES3_N6thrust23THRUST_200600_302600_NS6detail15normal_iteratorINS9_10device_ptrIjEEEENSB_INSC_IfEEEEiNS9_4plusIvEEiEEDaPvRmT3_T4_T5_mT6_P12ihipStream_tbENKUlT_T0_E_clISt17integral_constantIbLb1EESV_IbLb0EEEEDaSR_SS_EUlSR_E0_NS1_11comp_targetILNS1_3genE10ELNS1_11target_archE1201ELNS1_3gpuE5ELNS1_3repE0EEENS1_30default_config_static_selectorELNS0_4arch9wavefront6targetE1EEEvT1_,comdat
	.protected	_ZN7rocprim17ROCPRIM_400000_NS6detail17trampoline_kernelINS0_14default_configENS1_20scan_config_selectorIiEEZZNS1_9scan_implILNS1_25lookback_scan_determinismE0ELb1ELb1ES3_N6thrust23THRUST_200600_302600_NS6detail15normal_iteratorINS9_10device_ptrIjEEEENSB_INSC_IfEEEEiNS9_4plusIvEEiEEDaPvRmT3_T4_T5_mT6_P12ihipStream_tbENKUlT_T0_E_clISt17integral_constantIbLb1EESV_IbLb0EEEEDaSR_SS_EUlSR_E0_NS1_11comp_targetILNS1_3genE10ELNS1_11target_archE1201ELNS1_3gpuE5ELNS1_3repE0EEENS1_30default_config_static_selectorELNS0_4arch9wavefront6targetE1EEEvT1_ ; -- Begin function _ZN7rocprim17ROCPRIM_400000_NS6detail17trampoline_kernelINS0_14default_configENS1_20scan_config_selectorIiEEZZNS1_9scan_implILNS1_25lookback_scan_determinismE0ELb1ELb1ES3_N6thrust23THRUST_200600_302600_NS6detail15normal_iteratorINS9_10device_ptrIjEEEENSB_INSC_IfEEEEiNS9_4plusIvEEiEEDaPvRmT3_T4_T5_mT6_P12ihipStream_tbENKUlT_T0_E_clISt17integral_constantIbLb1EESV_IbLb0EEEEDaSR_SS_EUlSR_E0_NS1_11comp_targetILNS1_3genE10ELNS1_11target_archE1201ELNS1_3gpuE5ELNS1_3repE0EEENS1_30default_config_static_selectorELNS0_4arch9wavefront6targetE1EEEvT1_
	.globl	_ZN7rocprim17ROCPRIM_400000_NS6detail17trampoline_kernelINS0_14default_configENS1_20scan_config_selectorIiEEZZNS1_9scan_implILNS1_25lookback_scan_determinismE0ELb1ELb1ES3_N6thrust23THRUST_200600_302600_NS6detail15normal_iteratorINS9_10device_ptrIjEEEENSB_INSC_IfEEEEiNS9_4plusIvEEiEEDaPvRmT3_T4_T5_mT6_P12ihipStream_tbENKUlT_T0_E_clISt17integral_constantIbLb1EESV_IbLb0EEEEDaSR_SS_EUlSR_E0_NS1_11comp_targetILNS1_3genE10ELNS1_11target_archE1201ELNS1_3gpuE5ELNS1_3repE0EEENS1_30default_config_static_selectorELNS0_4arch9wavefront6targetE1EEEvT1_
	.p2align	8
	.type	_ZN7rocprim17ROCPRIM_400000_NS6detail17trampoline_kernelINS0_14default_configENS1_20scan_config_selectorIiEEZZNS1_9scan_implILNS1_25lookback_scan_determinismE0ELb1ELb1ES3_N6thrust23THRUST_200600_302600_NS6detail15normal_iteratorINS9_10device_ptrIjEEEENSB_INSC_IfEEEEiNS9_4plusIvEEiEEDaPvRmT3_T4_T5_mT6_P12ihipStream_tbENKUlT_T0_E_clISt17integral_constantIbLb1EESV_IbLb0EEEEDaSR_SS_EUlSR_E0_NS1_11comp_targetILNS1_3genE10ELNS1_11target_archE1201ELNS1_3gpuE5ELNS1_3repE0EEENS1_30default_config_static_selectorELNS0_4arch9wavefront6targetE1EEEvT1_,@function
_ZN7rocprim17ROCPRIM_400000_NS6detail17trampoline_kernelINS0_14default_configENS1_20scan_config_selectorIiEEZZNS1_9scan_implILNS1_25lookback_scan_determinismE0ELb1ELb1ES3_N6thrust23THRUST_200600_302600_NS6detail15normal_iteratorINS9_10device_ptrIjEEEENSB_INSC_IfEEEEiNS9_4plusIvEEiEEDaPvRmT3_T4_T5_mT6_P12ihipStream_tbENKUlT_T0_E_clISt17integral_constantIbLb1EESV_IbLb0EEEEDaSR_SS_EUlSR_E0_NS1_11comp_targetILNS1_3genE10ELNS1_11target_archE1201ELNS1_3gpuE5ELNS1_3repE0EEENS1_30default_config_static_selectorELNS0_4arch9wavefront6targetE1EEEvT1_: ; @_ZN7rocprim17ROCPRIM_400000_NS6detail17trampoline_kernelINS0_14default_configENS1_20scan_config_selectorIiEEZZNS1_9scan_implILNS1_25lookback_scan_determinismE0ELb1ELb1ES3_N6thrust23THRUST_200600_302600_NS6detail15normal_iteratorINS9_10device_ptrIjEEEENSB_INSC_IfEEEEiNS9_4plusIvEEiEEDaPvRmT3_T4_T5_mT6_P12ihipStream_tbENKUlT_T0_E_clISt17integral_constantIbLb1EESV_IbLb0EEEEDaSR_SS_EUlSR_E0_NS1_11comp_targetILNS1_3genE10ELNS1_11target_archE1201ELNS1_3gpuE5ELNS1_3repE0EEENS1_30default_config_static_selectorELNS0_4arch9wavefront6targetE1EEEvT1_
; %bb.0:
	.section	.rodata,"a",@progbits
	.p2align	6, 0x0
	.amdhsa_kernel _ZN7rocprim17ROCPRIM_400000_NS6detail17trampoline_kernelINS0_14default_configENS1_20scan_config_selectorIiEEZZNS1_9scan_implILNS1_25lookback_scan_determinismE0ELb1ELb1ES3_N6thrust23THRUST_200600_302600_NS6detail15normal_iteratorINS9_10device_ptrIjEEEENSB_INSC_IfEEEEiNS9_4plusIvEEiEEDaPvRmT3_T4_T5_mT6_P12ihipStream_tbENKUlT_T0_E_clISt17integral_constantIbLb1EESV_IbLb0EEEEDaSR_SS_EUlSR_E0_NS1_11comp_targetILNS1_3genE10ELNS1_11target_archE1201ELNS1_3gpuE5ELNS1_3repE0EEENS1_30default_config_static_selectorELNS0_4arch9wavefront6targetE1EEEvT1_
		.amdhsa_group_segment_fixed_size 0
		.amdhsa_private_segment_fixed_size 0
		.amdhsa_kernarg_size 32
		.amdhsa_user_sgpr_count 6
		.amdhsa_user_sgpr_private_segment_buffer 1
		.amdhsa_user_sgpr_dispatch_ptr 0
		.amdhsa_user_sgpr_queue_ptr 0
		.amdhsa_user_sgpr_kernarg_segment_ptr 1
		.amdhsa_user_sgpr_dispatch_id 0
		.amdhsa_user_sgpr_flat_scratch_init 0
		.amdhsa_user_sgpr_kernarg_preload_length 0
		.amdhsa_user_sgpr_kernarg_preload_offset 0
		.amdhsa_user_sgpr_private_segment_size 0
		.amdhsa_uses_dynamic_stack 0
		.amdhsa_system_sgpr_private_segment_wavefront_offset 0
		.amdhsa_system_sgpr_workgroup_id_x 1
		.amdhsa_system_sgpr_workgroup_id_y 0
		.amdhsa_system_sgpr_workgroup_id_z 0
		.amdhsa_system_sgpr_workgroup_info 0
		.amdhsa_system_vgpr_workitem_id 0
		.amdhsa_next_free_vgpr 1
		.amdhsa_next_free_sgpr 0
		.amdhsa_accum_offset 4
		.amdhsa_reserve_vcc 0
		.amdhsa_reserve_flat_scratch 0
		.amdhsa_float_round_mode_32 0
		.amdhsa_float_round_mode_16_64 0
		.amdhsa_float_denorm_mode_32 3
		.amdhsa_float_denorm_mode_16_64 3
		.amdhsa_dx10_clamp 1
		.amdhsa_ieee_mode 1
		.amdhsa_fp16_overflow 0
		.amdhsa_tg_split 0
		.amdhsa_exception_fp_ieee_invalid_op 0
		.amdhsa_exception_fp_denorm_src 0
		.amdhsa_exception_fp_ieee_div_zero 0
		.amdhsa_exception_fp_ieee_overflow 0
		.amdhsa_exception_fp_ieee_underflow 0
		.amdhsa_exception_fp_ieee_inexact 0
		.amdhsa_exception_int_div_zero 0
	.end_amdhsa_kernel
	.section	.text._ZN7rocprim17ROCPRIM_400000_NS6detail17trampoline_kernelINS0_14default_configENS1_20scan_config_selectorIiEEZZNS1_9scan_implILNS1_25lookback_scan_determinismE0ELb1ELb1ES3_N6thrust23THRUST_200600_302600_NS6detail15normal_iteratorINS9_10device_ptrIjEEEENSB_INSC_IfEEEEiNS9_4plusIvEEiEEDaPvRmT3_T4_T5_mT6_P12ihipStream_tbENKUlT_T0_E_clISt17integral_constantIbLb1EESV_IbLb0EEEEDaSR_SS_EUlSR_E0_NS1_11comp_targetILNS1_3genE10ELNS1_11target_archE1201ELNS1_3gpuE5ELNS1_3repE0EEENS1_30default_config_static_selectorELNS0_4arch9wavefront6targetE1EEEvT1_,"axG",@progbits,_ZN7rocprim17ROCPRIM_400000_NS6detail17trampoline_kernelINS0_14default_configENS1_20scan_config_selectorIiEEZZNS1_9scan_implILNS1_25lookback_scan_determinismE0ELb1ELb1ES3_N6thrust23THRUST_200600_302600_NS6detail15normal_iteratorINS9_10device_ptrIjEEEENSB_INSC_IfEEEEiNS9_4plusIvEEiEEDaPvRmT3_T4_T5_mT6_P12ihipStream_tbENKUlT_T0_E_clISt17integral_constantIbLb1EESV_IbLb0EEEEDaSR_SS_EUlSR_E0_NS1_11comp_targetILNS1_3genE10ELNS1_11target_archE1201ELNS1_3gpuE5ELNS1_3repE0EEENS1_30default_config_static_selectorELNS0_4arch9wavefront6targetE1EEEvT1_,comdat
.Lfunc_end6210:
	.size	_ZN7rocprim17ROCPRIM_400000_NS6detail17trampoline_kernelINS0_14default_configENS1_20scan_config_selectorIiEEZZNS1_9scan_implILNS1_25lookback_scan_determinismE0ELb1ELb1ES3_N6thrust23THRUST_200600_302600_NS6detail15normal_iteratorINS9_10device_ptrIjEEEENSB_INSC_IfEEEEiNS9_4plusIvEEiEEDaPvRmT3_T4_T5_mT6_P12ihipStream_tbENKUlT_T0_E_clISt17integral_constantIbLb1EESV_IbLb0EEEEDaSR_SS_EUlSR_E0_NS1_11comp_targetILNS1_3genE10ELNS1_11target_archE1201ELNS1_3gpuE5ELNS1_3repE0EEENS1_30default_config_static_selectorELNS0_4arch9wavefront6targetE1EEEvT1_, .Lfunc_end6210-_ZN7rocprim17ROCPRIM_400000_NS6detail17trampoline_kernelINS0_14default_configENS1_20scan_config_selectorIiEEZZNS1_9scan_implILNS1_25lookback_scan_determinismE0ELb1ELb1ES3_N6thrust23THRUST_200600_302600_NS6detail15normal_iteratorINS9_10device_ptrIjEEEENSB_INSC_IfEEEEiNS9_4plusIvEEiEEDaPvRmT3_T4_T5_mT6_P12ihipStream_tbENKUlT_T0_E_clISt17integral_constantIbLb1EESV_IbLb0EEEEDaSR_SS_EUlSR_E0_NS1_11comp_targetILNS1_3genE10ELNS1_11target_archE1201ELNS1_3gpuE5ELNS1_3repE0EEENS1_30default_config_static_selectorELNS0_4arch9wavefront6targetE1EEEvT1_
                                        ; -- End function
	.section	.AMDGPU.csdata,"",@progbits
; Kernel info:
; codeLenInByte = 0
; NumSgprs: 4
; NumVgprs: 0
; NumAgprs: 0
; TotalNumVgprs: 0
; ScratchSize: 0
; MemoryBound: 0
; FloatMode: 240
; IeeeMode: 1
; LDSByteSize: 0 bytes/workgroup (compile time only)
; SGPRBlocks: 0
; VGPRBlocks: 0
; NumSGPRsForWavesPerEU: 4
; NumVGPRsForWavesPerEU: 1
; AccumOffset: 4
; Occupancy: 8
; WaveLimiterHint : 0
; COMPUTE_PGM_RSRC2:SCRATCH_EN: 0
; COMPUTE_PGM_RSRC2:USER_SGPR: 6
; COMPUTE_PGM_RSRC2:TRAP_HANDLER: 0
; COMPUTE_PGM_RSRC2:TGID_X_EN: 1
; COMPUTE_PGM_RSRC2:TGID_Y_EN: 0
; COMPUTE_PGM_RSRC2:TGID_Z_EN: 0
; COMPUTE_PGM_RSRC2:TIDIG_COMP_CNT: 0
; COMPUTE_PGM_RSRC3_GFX90A:ACCUM_OFFSET: 0
; COMPUTE_PGM_RSRC3_GFX90A:TG_SPLIT: 0
	.section	.text._ZN7rocprim17ROCPRIM_400000_NS6detail17trampoline_kernelINS0_14default_configENS1_20scan_config_selectorIiEEZZNS1_9scan_implILNS1_25lookback_scan_determinismE0ELb1ELb1ES3_N6thrust23THRUST_200600_302600_NS6detail15normal_iteratorINS9_10device_ptrIjEEEENSB_INSC_IfEEEEiNS9_4plusIvEEiEEDaPvRmT3_T4_T5_mT6_P12ihipStream_tbENKUlT_T0_E_clISt17integral_constantIbLb1EESV_IbLb0EEEEDaSR_SS_EUlSR_E0_NS1_11comp_targetILNS1_3genE10ELNS1_11target_archE1200ELNS1_3gpuE4ELNS1_3repE0EEENS1_30default_config_static_selectorELNS0_4arch9wavefront6targetE1EEEvT1_,"axG",@progbits,_ZN7rocprim17ROCPRIM_400000_NS6detail17trampoline_kernelINS0_14default_configENS1_20scan_config_selectorIiEEZZNS1_9scan_implILNS1_25lookback_scan_determinismE0ELb1ELb1ES3_N6thrust23THRUST_200600_302600_NS6detail15normal_iteratorINS9_10device_ptrIjEEEENSB_INSC_IfEEEEiNS9_4plusIvEEiEEDaPvRmT3_T4_T5_mT6_P12ihipStream_tbENKUlT_T0_E_clISt17integral_constantIbLb1EESV_IbLb0EEEEDaSR_SS_EUlSR_E0_NS1_11comp_targetILNS1_3genE10ELNS1_11target_archE1200ELNS1_3gpuE4ELNS1_3repE0EEENS1_30default_config_static_selectorELNS0_4arch9wavefront6targetE1EEEvT1_,comdat
	.protected	_ZN7rocprim17ROCPRIM_400000_NS6detail17trampoline_kernelINS0_14default_configENS1_20scan_config_selectorIiEEZZNS1_9scan_implILNS1_25lookback_scan_determinismE0ELb1ELb1ES3_N6thrust23THRUST_200600_302600_NS6detail15normal_iteratorINS9_10device_ptrIjEEEENSB_INSC_IfEEEEiNS9_4plusIvEEiEEDaPvRmT3_T4_T5_mT6_P12ihipStream_tbENKUlT_T0_E_clISt17integral_constantIbLb1EESV_IbLb0EEEEDaSR_SS_EUlSR_E0_NS1_11comp_targetILNS1_3genE10ELNS1_11target_archE1200ELNS1_3gpuE4ELNS1_3repE0EEENS1_30default_config_static_selectorELNS0_4arch9wavefront6targetE1EEEvT1_ ; -- Begin function _ZN7rocprim17ROCPRIM_400000_NS6detail17trampoline_kernelINS0_14default_configENS1_20scan_config_selectorIiEEZZNS1_9scan_implILNS1_25lookback_scan_determinismE0ELb1ELb1ES3_N6thrust23THRUST_200600_302600_NS6detail15normal_iteratorINS9_10device_ptrIjEEEENSB_INSC_IfEEEEiNS9_4plusIvEEiEEDaPvRmT3_T4_T5_mT6_P12ihipStream_tbENKUlT_T0_E_clISt17integral_constantIbLb1EESV_IbLb0EEEEDaSR_SS_EUlSR_E0_NS1_11comp_targetILNS1_3genE10ELNS1_11target_archE1200ELNS1_3gpuE4ELNS1_3repE0EEENS1_30default_config_static_selectorELNS0_4arch9wavefront6targetE1EEEvT1_
	.globl	_ZN7rocprim17ROCPRIM_400000_NS6detail17trampoline_kernelINS0_14default_configENS1_20scan_config_selectorIiEEZZNS1_9scan_implILNS1_25lookback_scan_determinismE0ELb1ELb1ES3_N6thrust23THRUST_200600_302600_NS6detail15normal_iteratorINS9_10device_ptrIjEEEENSB_INSC_IfEEEEiNS9_4plusIvEEiEEDaPvRmT3_T4_T5_mT6_P12ihipStream_tbENKUlT_T0_E_clISt17integral_constantIbLb1EESV_IbLb0EEEEDaSR_SS_EUlSR_E0_NS1_11comp_targetILNS1_3genE10ELNS1_11target_archE1200ELNS1_3gpuE4ELNS1_3repE0EEENS1_30default_config_static_selectorELNS0_4arch9wavefront6targetE1EEEvT1_
	.p2align	8
	.type	_ZN7rocprim17ROCPRIM_400000_NS6detail17trampoline_kernelINS0_14default_configENS1_20scan_config_selectorIiEEZZNS1_9scan_implILNS1_25lookback_scan_determinismE0ELb1ELb1ES3_N6thrust23THRUST_200600_302600_NS6detail15normal_iteratorINS9_10device_ptrIjEEEENSB_INSC_IfEEEEiNS9_4plusIvEEiEEDaPvRmT3_T4_T5_mT6_P12ihipStream_tbENKUlT_T0_E_clISt17integral_constantIbLb1EESV_IbLb0EEEEDaSR_SS_EUlSR_E0_NS1_11comp_targetILNS1_3genE10ELNS1_11target_archE1200ELNS1_3gpuE4ELNS1_3repE0EEENS1_30default_config_static_selectorELNS0_4arch9wavefront6targetE1EEEvT1_,@function
_ZN7rocprim17ROCPRIM_400000_NS6detail17trampoline_kernelINS0_14default_configENS1_20scan_config_selectorIiEEZZNS1_9scan_implILNS1_25lookback_scan_determinismE0ELb1ELb1ES3_N6thrust23THRUST_200600_302600_NS6detail15normal_iteratorINS9_10device_ptrIjEEEENSB_INSC_IfEEEEiNS9_4plusIvEEiEEDaPvRmT3_T4_T5_mT6_P12ihipStream_tbENKUlT_T0_E_clISt17integral_constantIbLb1EESV_IbLb0EEEEDaSR_SS_EUlSR_E0_NS1_11comp_targetILNS1_3genE10ELNS1_11target_archE1200ELNS1_3gpuE4ELNS1_3repE0EEENS1_30default_config_static_selectorELNS0_4arch9wavefront6targetE1EEEvT1_: ; @_ZN7rocprim17ROCPRIM_400000_NS6detail17trampoline_kernelINS0_14default_configENS1_20scan_config_selectorIiEEZZNS1_9scan_implILNS1_25lookback_scan_determinismE0ELb1ELb1ES3_N6thrust23THRUST_200600_302600_NS6detail15normal_iteratorINS9_10device_ptrIjEEEENSB_INSC_IfEEEEiNS9_4plusIvEEiEEDaPvRmT3_T4_T5_mT6_P12ihipStream_tbENKUlT_T0_E_clISt17integral_constantIbLb1EESV_IbLb0EEEEDaSR_SS_EUlSR_E0_NS1_11comp_targetILNS1_3genE10ELNS1_11target_archE1200ELNS1_3gpuE4ELNS1_3repE0EEENS1_30default_config_static_selectorELNS0_4arch9wavefront6targetE1EEEvT1_
; %bb.0:
	.section	.rodata,"a",@progbits
	.p2align	6, 0x0
	.amdhsa_kernel _ZN7rocprim17ROCPRIM_400000_NS6detail17trampoline_kernelINS0_14default_configENS1_20scan_config_selectorIiEEZZNS1_9scan_implILNS1_25lookback_scan_determinismE0ELb1ELb1ES3_N6thrust23THRUST_200600_302600_NS6detail15normal_iteratorINS9_10device_ptrIjEEEENSB_INSC_IfEEEEiNS9_4plusIvEEiEEDaPvRmT3_T4_T5_mT6_P12ihipStream_tbENKUlT_T0_E_clISt17integral_constantIbLb1EESV_IbLb0EEEEDaSR_SS_EUlSR_E0_NS1_11comp_targetILNS1_3genE10ELNS1_11target_archE1200ELNS1_3gpuE4ELNS1_3repE0EEENS1_30default_config_static_selectorELNS0_4arch9wavefront6targetE1EEEvT1_
		.amdhsa_group_segment_fixed_size 0
		.amdhsa_private_segment_fixed_size 0
		.amdhsa_kernarg_size 32
		.amdhsa_user_sgpr_count 6
		.amdhsa_user_sgpr_private_segment_buffer 1
		.amdhsa_user_sgpr_dispatch_ptr 0
		.amdhsa_user_sgpr_queue_ptr 0
		.amdhsa_user_sgpr_kernarg_segment_ptr 1
		.amdhsa_user_sgpr_dispatch_id 0
		.amdhsa_user_sgpr_flat_scratch_init 0
		.amdhsa_user_sgpr_kernarg_preload_length 0
		.amdhsa_user_sgpr_kernarg_preload_offset 0
		.amdhsa_user_sgpr_private_segment_size 0
		.amdhsa_uses_dynamic_stack 0
		.amdhsa_system_sgpr_private_segment_wavefront_offset 0
		.amdhsa_system_sgpr_workgroup_id_x 1
		.amdhsa_system_sgpr_workgroup_id_y 0
		.amdhsa_system_sgpr_workgroup_id_z 0
		.amdhsa_system_sgpr_workgroup_info 0
		.amdhsa_system_vgpr_workitem_id 0
		.amdhsa_next_free_vgpr 1
		.amdhsa_next_free_sgpr 0
		.amdhsa_accum_offset 4
		.amdhsa_reserve_vcc 0
		.amdhsa_reserve_flat_scratch 0
		.amdhsa_float_round_mode_32 0
		.amdhsa_float_round_mode_16_64 0
		.amdhsa_float_denorm_mode_32 3
		.amdhsa_float_denorm_mode_16_64 3
		.amdhsa_dx10_clamp 1
		.amdhsa_ieee_mode 1
		.amdhsa_fp16_overflow 0
		.amdhsa_tg_split 0
		.amdhsa_exception_fp_ieee_invalid_op 0
		.amdhsa_exception_fp_denorm_src 0
		.amdhsa_exception_fp_ieee_div_zero 0
		.amdhsa_exception_fp_ieee_overflow 0
		.amdhsa_exception_fp_ieee_underflow 0
		.amdhsa_exception_fp_ieee_inexact 0
		.amdhsa_exception_int_div_zero 0
	.end_amdhsa_kernel
	.section	.text._ZN7rocprim17ROCPRIM_400000_NS6detail17trampoline_kernelINS0_14default_configENS1_20scan_config_selectorIiEEZZNS1_9scan_implILNS1_25lookback_scan_determinismE0ELb1ELb1ES3_N6thrust23THRUST_200600_302600_NS6detail15normal_iteratorINS9_10device_ptrIjEEEENSB_INSC_IfEEEEiNS9_4plusIvEEiEEDaPvRmT3_T4_T5_mT6_P12ihipStream_tbENKUlT_T0_E_clISt17integral_constantIbLb1EESV_IbLb0EEEEDaSR_SS_EUlSR_E0_NS1_11comp_targetILNS1_3genE10ELNS1_11target_archE1200ELNS1_3gpuE4ELNS1_3repE0EEENS1_30default_config_static_selectorELNS0_4arch9wavefront6targetE1EEEvT1_,"axG",@progbits,_ZN7rocprim17ROCPRIM_400000_NS6detail17trampoline_kernelINS0_14default_configENS1_20scan_config_selectorIiEEZZNS1_9scan_implILNS1_25lookback_scan_determinismE0ELb1ELb1ES3_N6thrust23THRUST_200600_302600_NS6detail15normal_iteratorINS9_10device_ptrIjEEEENSB_INSC_IfEEEEiNS9_4plusIvEEiEEDaPvRmT3_T4_T5_mT6_P12ihipStream_tbENKUlT_T0_E_clISt17integral_constantIbLb1EESV_IbLb0EEEEDaSR_SS_EUlSR_E0_NS1_11comp_targetILNS1_3genE10ELNS1_11target_archE1200ELNS1_3gpuE4ELNS1_3repE0EEENS1_30default_config_static_selectorELNS0_4arch9wavefront6targetE1EEEvT1_,comdat
.Lfunc_end6211:
	.size	_ZN7rocprim17ROCPRIM_400000_NS6detail17trampoline_kernelINS0_14default_configENS1_20scan_config_selectorIiEEZZNS1_9scan_implILNS1_25lookback_scan_determinismE0ELb1ELb1ES3_N6thrust23THRUST_200600_302600_NS6detail15normal_iteratorINS9_10device_ptrIjEEEENSB_INSC_IfEEEEiNS9_4plusIvEEiEEDaPvRmT3_T4_T5_mT6_P12ihipStream_tbENKUlT_T0_E_clISt17integral_constantIbLb1EESV_IbLb0EEEEDaSR_SS_EUlSR_E0_NS1_11comp_targetILNS1_3genE10ELNS1_11target_archE1200ELNS1_3gpuE4ELNS1_3repE0EEENS1_30default_config_static_selectorELNS0_4arch9wavefront6targetE1EEEvT1_, .Lfunc_end6211-_ZN7rocprim17ROCPRIM_400000_NS6detail17trampoline_kernelINS0_14default_configENS1_20scan_config_selectorIiEEZZNS1_9scan_implILNS1_25lookback_scan_determinismE0ELb1ELb1ES3_N6thrust23THRUST_200600_302600_NS6detail15normal_iteratorINS9_10device_ptrIjEEEENSB_INSC_IfEEEEiNS9_4plusIvEEiEEDaPvRmT3_T4_T5_mT6_P12ihipStream_tbENKUlT_T0_E_clISt17integral_constantIbLb1EESV_IbLb0EEEEDaSR_SS_EUlSR_E0_NS1_11comp_targetILNS1_3genE10ELNS1_11target_archE1200ELNS1_3gpuE4ELNS1_3repE0EEENS1_30default_config_static_selectorELNS0_4arch9wavefront6targetE1EEEvT1_
                                        ; -- End function
	.section	.AMDGPU.csdata,"",@progbits
; Kernel info:
; codeLenInByte = 0
; NumSgprs: 4
; NumVgprs: 0
; NumAgprs: 0
; TotalNumVgprs: 0
; ScratchSize: 0
; MemoryBound: 0
; FloatMode: 240
; IeeeMode: 1
; LDSByteSize: 0 bytes/workgroup (compile time only)
; SGPRBlocks: 0
; VGPRBlocks: 0
; NumSGPRsForWavesPerEU: 4
; NumVGPRsForWavesPerEU: 1
; AccumOffset: 4
; Occupancy: 8
; WaveLimiterHint : 0
; COMPUTE_PGM_RSRC2:SCRATCH_EN: 0
; COMPUTE_PGM_RSRC2:USER_SGPR: 6
; COMPUTE_PGM_RSRC2:TRAP_HANDLER: 0
; COMPUTE_PGM_RSRC2:TGID_X_EN: 1
; COMPUTE_PGM_RSRC2:TGID_Y_EN: 0
; COMPUTE_PGM_RSRC2:TGID_Z_EN: 0
; COMPUTE_PGM_RSRC2:TIDIG_COMP_CNT: 0
; COMPUTE_PGM_RSRC3_GFX90A:ACCUM_OFFSET: 0
; COMPUTE_PGM_RSRC3_GFX90A:TG_SPLIT: 0
	.section	.text._ZN7rocprim17ROCPRIM_400000_NS6detail17trampoline_kernelINS0_14default_configENS1_20scan_config_selectorIiEEZZNS1_9scan_implILNS1_25lookback_scan_determinismE0ELb1ELb1ES3_N6thrust23THRUST_200600_302600_NS6detail15normal_iteratorINS9_10device_ptrIjEEEENSB_INSC_IfEEEEiNS9_4plusIvEEiEEDaPvRmT3_T4_T5_mT6_P12ihipStream_tbENKUlT_T0_E_clISt17integral_constantIbLb1EESV_IbLb0EEEEDaSR_SS_EUlSR_E0_NS1_11comp_targetILNS1_3genE9ELNS1_11target_archE1100ELNS1_3gpuE3ELNS1_3repE0EEENS1_30default_config_static_selectorELNS0_4arch9wavefront6targetE1EEEvT1_,"axG",@progbits,_ZN7rocprim17ROCPRIM_400000_NS6detail17trampoline_kernelINS0_14default_configENS1_20scan_config_selectorIiEEZZNS1_9scan_implILNS1_25lookback_scan_determinismE0ELb1ELb1ES3_N6thrust23THRUST_200600_302600_NS6detail15normal_iteratorINS9_10device_ptrIjEEEENSB_INSC_IfEEEEiNS9_4plusIvEEiEEDaPvRmT3_T4_T5_mT6_P12ihipStream_tbENKUlT_T0_E_clISt17integral_constantIbLb1EESV_IbLb0EEEEDaSR_SS_EUlSR_E0_NS1_11comp_targetILNS1_3genE9ELNS1_11target_archE1100ELNS1_3gpuE3ELNS1_3repE0EEENS1_30default_config_static_selectorELNS0_4arch9wavefront6targetE1EEEvT1_,comdat
	.protected	_ZN7rocprim17ROCPRIM_400000_NS6detail17trampoline_kernelINS0_14default_configENS1_20scan_config_selectorIiEEZZNS1_9scan_implILNS1_25lookback_scan_determinismE0ELb1ELb1ES3_N6thrust23THRUST_200600_302600_NS6detail15normal_iteratorINS9_10device_ptrIjEEEENSB_INSC_IfEEEEiNS9_4plusIvEEiEEDaPvRmT3_T4_T5_mT6_P12ihipStream_tbENKUlT_T0_E_clISt17integral_constantIbLb1EESV_IbLb0EEEEDaSR_SS_EUlSR_E0_NS1_11comp_targetILNS1_3genE9ELNS1_11target_archE1100ELNS1_3gpuE3ELNS1_3repE0EEENS1_30default_config_static_selectorELNS0_4arch9wavefront6targetE1EEEvT1_ ; -- Begin function _ZN7rocprim17ROCPRIM_400000_NS6detail17trampoline_kernelINS0_14default_configENS1_20scan_config_selectorIiEEZZNS1_9scan_implILNS1_25lookback_scan_determinismE0ELb1ELb1ES3_N6thrust23THRUST_200600_302600_NS6detail15normal_iteratorINS9_10device_ptrIjEEEENSB_INSC_IfEEEEiNS9_4plusIvEEiEEDaPvRmT3_T4_T5_mT6_P12ihipStream_tbENKUlT_T0_E_clISt17integral_constantIbLb1EESV_IbLb0EEEEDaSR_SS_EUlSR_E0_NS1_11comp_targetILNS1_3genE9ELNS1_11target_archE1100ELNS1_3gpuE3ELNS1_3repE0EEENS1_30default_config_static_selectorELNS0_4arch9wavefront6targetE1EEEvT1_
	.globl	_ZN7rocprim17ROCPRIM_400000_NS6detail17trampoline_kernelINS0_14default_configENS1_20scan_config_selectorIiEEZZNS1_9scan_implILNS1_25lookback_scan_determinismE0ELb1ELb1ES3_N6thrust23THRUST_200600_302600_NS6detail15normal_iteratorINS9_10device_ptrIjEEEENSB_INSC_IfEEEEiNS9_4plusIvEEiEEDaPvRmT3_T4_T5_mT6_P12ihipStream_tbENKUlT_T0_E_clISt17integral_constantIbLb1EESV_IbLb0EEEEDaSR_SS_EUlSR_E0_NS1_11comp_targetILNS1_3genE9ELNS1_11target_archE1100ELNS1_3gpuE3ELNS1_3repE0EEENS1_30default_config_static_selectorELNS0_4arch9wavefront6targetE1EEEvT1_
	.p2align	8
	.type	_ZN7rocprim17ROCPRIM_400000_NS6detail17trampoline_kernelINS0_14default_configENS1_20scan_config_selectorIiEEZZNS1_9scan_implILNS1_25lookback_scan_determinismE0ELb1ELb1ES3_N6thrust23THRUST_200600_302600_NS6detail15normal_iteratorINS9_10device_ptrIjEEEENSB_INSC_IfEEEEiNS9_4plusIvEEiEEDaPvRmT3_T4_T5_mT6_P12ihipStream_tbENKUlT_T0_E_clISt17integral_constantIbLb1EESV_IbLb0EEEEDaSR_SS_EUlSR_E0_NS1_11comp_targetILNS1_3genE9ELNS1_11target_archE1100ELNS1_3gpuE3ELNS1_3repE0EEENS1_30default_config_static_selectorELNS0_4arch9wavefront6targetE1EEEvT1_,@function
_ZN7rocprim17ROCPRIM_400000_NS6detail17trampoline_kernelINS0_14default_configENS1_20scan_config_selectorIiEEZZNS1_9scan_implILNS1_25lookback_scan_determinismE0ELb1ELb1ES3_N6thrust23THRUST_200600_302600_NS6detail15normal_iteratorINS9_10device_ptrIjEEEENSB_INSC_IfEEEEiNS9_4plusIvEEiEEDaPvRmT3_T4_T5_mT6_P12ihipStream_tbENKUlT_T0_E_clISt17integral_constantIbLb1EESV_IbLb0EEEEDaSR_SS_EUlSR_E0_NS1_11comp_targetILNS1_3genE9ELNS1_11target_archE1100ELNS1_3gpuE3ELNS1_3repE0EEENS1_30default_config_static_selectorELNS0_4arch9wavefront6targetE1EEEvT1_: ; @_ZN7rocprim17ROCPRIM_400000_NS6detail17trampoline_kernelINS0_14default_configENS1_20scan_config_selectorIiEEZZNS1_9scan_implILNS1_25lookback_scan_determinismE0ELb1ELb1ES3_N6thrust23THRUST_200600_302600_NS6detail15normal_iteratorINS9_10device_ptrIjEEEENSB_INSC_IfEEEEiNS9_4plusIvEEiEEDaPvRmT3_T4_T5_mT6_P12ihipStream_tbENKUlT_T0_E_clISt17integral_constantIbLb1EESV_IbLb0EEEEDaSR_SS_EUlSR_E0_NS1_11comp_targetILNS1_3genE9ELNS1_11target_archE1100ELNS1_3gpuE3ELNS1_3repE0EEENS1_30default_config_static_selectorELNS0_4arch9wavefront6targetE1EEEvT1_
; %bb.0:
	.section	.rodata,"a",@progbits
	.p2align	6, 0x0
	.amdhsa_kernel _ZN7rocprim17ROCPRIM_400000_NS6detail17trampoline_kernelINS0_14default_configENS1_20scan_config_selectorIiEEZZNS1_9scan_implILNS1_25lookback_scan_determinismE0ELb1ELb1ES3_N6thrust23THRUST_200600_302600_NS6detail15normal_iteratorINS9_10device_ptrIjEEEENSB_INSC_IfEEEEiNS9_4plusIvEEiEEDaPvRmT3_T4_T5_mT6_P12ihipStream_tbENKUlT_T0_E_clISt17integral_constantIbLb1EESV_IbLb0EEEEDaSR_SS_EUlSR_E0_NS1_11comp_targetILNS1_3genE9ELNS1_11target_archE1100ELNS1_3gpuE3ELNS1_3repE0EEENS1_30default_config_static_selectorELNS0_4arch9wavefront6targetE1EEEvT1_
		.amdhsa_group_segment_fixed_size 0
		.amdhsa_private_segment_fixed_size 0
		.amdhsa_kernarg_size 32
		.amdhsa_user_sgpr_count 6
		.amdhsa_user_sgpr_private_segment_buffer 1
		.amdhsa_user_sgpr_dispatch_ptr 0
		.amdhsa_user_sgpr_queue_ptr 0
		.amdhsa_user_sgpr_kernarg_segment_ptr 1
		.amdhsa_user_sgpr_dispatch_id 0
		.amdhsa_user_sgpr_flat_scratch_init 0
		.amdhsa_user_sgpr_kernarg_preload_length 0
		.amdhsa_user_sgpr_kernarg_preload_offset 0
		.amdhsa_user_sgpr_private_segment_size 0
		.amdhsa_uses_dynamic_stack 0
		.amdhsa_system_sgpr_private_segment_wavefront_offset 0
		.amdhsa_system_sgpr_workgroup_id_x 1
		.amdhsa_system_sgpr_workgroup_id_y 0
		.amdhsa_system_sgpr_workgroup_id_z 0
		.amdhsa_system_sgpr_workgroup_info 0
		.amdhsa_system_vgpr_workitem_id 0
		.amdhsa_next_free_vgpr 1
		.amdhsa_next_free_sgpr 0
		.amdhsa_accum_offset 4
		.amdhsa_reserve_vcc 0
		.amdhsa_reserve_flat_scratch 0
		.amdhsa_float_round_mode_32 0
		.amdhsa_float_round_mode_16_64 0
		.amdhsa_float_denorm_mode_32 3
		.amdhsa_float_denorm_mode_16_64 3
		.amdhsa_dx10_clamp 1
		.amdhsa_ieee_mode 1
		.amdhsa_fp16_overflow 0
		.amdhsa_tg_split 0
		.amdhsa_exception_fp_ieee_invalid_op 0
		.amdhsa_exception_fp_denorm_src 0
		.amdhsa_exception_fp_ieee_div_zero 0
		.amdhsa_exception_fp_ieee_overflow 0
		.amdhsa_exception_fp_ieee_underflow 0
		.amdhsa_exception_fp_ieee_inexact 0
		.amdhsa_exception_int_div_zero 0
	.end_amdhsa_kernel
	.section	.text._ZN7rocprim17ROCPRIM_400000_NS6detail17trampoline_kernelINS0_14default_configENS1_20scan_config_selectorIiEEZZNS1_9scan_implILNS1_25lookback_scan_determinismE0ELb1ELb1ES3_N6thrust23THRUST_200600_302600_NS6detail15normal_iteratorINS9_10device_ptrIjEEEENSB_INSC_IfEEEEiNS9_4plusIvEEiEEDaPvRmT3_T4_T5_mT6_P12ihipStream_tbENKUlT_T0_E_clISt17integral_constantIbLb1EESV_IbLb0EEEEDaSR_SS_EUlSR_E0_NS1_11comp_targetILNS1_3genE9ELNS1_11target_archE1100ELNS1_3gpuE3ELNS1_3repE0EEENS1_30default_config_static_selectorELNS0_4arch9wavefront6targetE1EEEvT1_,"axG",@progbits,_ZN7rocprim17ROCPRIM_400000_NS6detail17trampoline_kernelINS0_14default_configENS1_20scan_config_selectorIiEEZZNS1_9scan_implILNS1_25lookback_scan_determinismE0ELb1ELb1ES3_N6thrust23THRUST_200600_302600_NS6detail15normal_iteratorINS9_10device_ptrIjEEEENSB_INSC_IfEEEEiNS9_4plusIvEEiEEDaPvRmT3_T4_T5_mT6_P12ihipStream_tbENKUlT_T0_E_clISt17integral_constantIbLb1EESV_IbLb0EEEEDaSR_SS_EUlSR_E0_NS1_11comp_targetILNS1_3genE9ELNS1_11target_archE1100ELNS1_3gpuE3ELNS1_3repE0EEENS1_30default_config_static_selectorELNS0_4arch9wavefront6targetE1EEEvT1_,comdat
.Lfunc_end6212:
	.size	_ZN7rocprim17ROCPRIM_400000_NS6detail17trampoline_kernelINS0_14default_configENS1_20scan_config_selectorIiEEZZNS1_9scan_implILNS1_25lookback_scan_determinismE0ELb1ELb1ES3_N6thrust23THRUST_200600_302600_NS6detail15normal_iteratorINS9_10device_ptrIjEEEENSB_INSC_IfEEEEiNS9_4plusIvEEiEEDaPvRmT3_T4_T5_mT6_P12ihipStream_tbENKUlT_T0_E_clISt17integral_constantIbLb1EESV_IbLb0EEEEDaSR_SS_EUlSR_E0_NS1_11comp_targetILNS1_3genE9ELNS1_11target_archE1100ELNS1_3gpuE3ELNS1_3repE0EEENS1_30default_config_static_selectorELNS0_4arch9wavefront6targetE1EEEvT1_, .Lfunc_end6212-_ZN7rocprim17ROCPRIM_400000_NS6detail17trampoline_kernelINS0_14default_configENS1_20scan_config_selectorIiEEZZNS1_9scan_implILNS1_25lookback_scan_determinismE0ELb1ELb1ES3_N6thrust23THRUST_200600_302600_NS6detail15normal_iteratorINS9_10device_ptrIjEEEENSB_INSC_IfEEEEiNS9_4plusIvEEiEEDaPvRmT3_T4_T5_mT6_P12ihipStream_tbENKUlT_T0_E_clISt17integral_constantIbLb1EESV_IbLb0EEEEDaSR_SS_EUlSR_E0_NS1_11comp_targetILNS1_3genE9ELNS1_11target_archE1100ELNS1_3gpuE3ELNS1_3repE0EEENS1_30default_config_static_selectorELNS0_4arch9wavefront6targetE1EEEvT1_
                                        ; -- End function
	.section	.AMDGPU.csdata,"",@progbits
; Kernel info:
; codeLenInByte = 0
; NumSgprs: 4
; NumVgprs: 0
; NumAgprs: 0
; TotalNumVgprs: 0
; ScratchSize: 0
; MemoryBound: 0
; FloatMode: 240
; IeeeMode: 1
; LDSByteSize: 0 bytes/workgroup (compile time only)
; SGPRBlocks: 0
; VGPRBlocks: 0
; NumSGPRsForWavesPerEU: 4
; NumVGPRsForWavesPerEU: 1
; AccumOffset: 4
; Occupancy: 8
; WaveLimiterHint : 0
; COMPUTE_PGM_RSRC2:SCRATCH_EN: 0
; COMPUTE_PGM_RSRC2:USER_SGPR: 6
; COMPUTE_PGM_RSRC2:TRAP_HANDLER: 0
; COMPUTE_PGM_RSRC2:TGID_X_EN: 1
; COMPUTE_PGM_RSRC2:TGID_Y_EN: 0
; COMPUTE_PGM_RSRC2:TGID_Z_EN: 0
; COMPUTE_PGM_RSRC2:TIDIG_COMP_CNT: 0
; COMPUTE_PGM_RSRC3_GFX90A:ACCUM_OFFSET: 0
; COMPUTE_PGM_RSRC3_GFX90A:TG_SPLIT: 0
	.section	.text._ZN7rocprim17ROCPRIM_400000_NS6detail17trampoline_kernelINS0_14default_configENS1_20scan_config_selectorIiEEZZNS1_9scan_implILNS1_25lookback_scan_determinismE0ELb1ELb1ES3_N6thrust23THRUST_200600_302600_NS6detail15normal_iteratorINS9_10device_ptrIjEEEENSB_INSC_IfEEEEiNS9_4plusIvEEiEEDaPvRmT3_T4_T5_mT6_P12ihipStream_tbENKUlT_T0_E_clISt17integral_constantIbLb1EESV_IbLb0EEEEDaSR_SS_EUlSR_E0_NS1_11comp_targetILNS1_3genE8ELNS1_11target_archE1030ELNS1_3gpuE2ELNS1_3repE0EEENS1_30default_config_static_selectorELNS0_4arch9wavefront6targetE1EEEvT1_,"axG",@progbits,_ZN7rocprim17ROCPRIM_400000_NS6detail17trampoline_kernelINS0_14default_configENS1_20scan_config_selectorIiEEZZNS1_9scan_implILNS1_25lookback_scan_determinismE0ELb1ELb1ES3_N6thrust23THRUST_200600_302600_NS6detail15normal_iteratorINS9_10device_ptrIjEEEENSB_INSC_IfEEEEiNS9_4plusIvEEiEEDaPvRmT3_T4_T5_mT6_P12ihipStream_tbENKUlT_T0_E_clISt17integral_constantIbLb1EESV_IbLb0EEEEDaSR_SS_EUlSR_E0_NS1_11comp_targetILNS1_3genE8ELNS1_11target_archE1030ELNS1_3gpuE2ELNS1_3repE0EEENS1_30default_config_static_selectorELNS0_4arch9wavefront6targetE1EEEvT1_,comdat
	.protected	_ZN7rocprim17ROCPRIM_400000_NS6detail17trampoline_kernelINS0_14default_configENS1_20scan_config_selectorIiEEZZNS1_9scan_implILNS1_25lookback_scan_determinismE0ELb1ELb1ES3_N6thrust23THRUST_200600_302600_NS6detail15normal_iteratorINS9_10device_ptrIjEEEENSB_INSC_IfEEEEiNS9_4plusIvEEiEEDaPvRmT3_T4_T5_mT6_P12ihipStream_tbENKUlT_T0_E_clISt17integral_constantIbLb1EESV_IbLb0EEEEDaSR_SS_EUlSR_E0_NS1_11comp_targetILNS1_3genE8ELNS1_11target_archE1030ELNS1_3gpuE2ELNS1_3repE0EEENS1_30default_config_static_selectorELNS0_4arch9wavefront6targetE1EEEvT1_ ; -- Begin function _ZN7rocprim17ROCPRIM_400000_NS6detail17trampoline_kernelINS0_14default_configENS1_20scan_config_selectorIiEEZZNS1_9scan_implILNS1_25lookback_scan_determinismE0ELb1ELb1ES3_N6thrust23THRUST_200600_302600_NS6detail15normal_iteratorINS9_10device_ptrIjEEEENSB_INSC_IfEEEEiNS9_4plusIvEEiEEDaPvRmT3_T4_T5_mT6_P12ihipStream_tbENKUlT_T0_E_clISt17integral_constantIbLb1EESV_IbLb0EEEEDaSR_SS_EUlSR_E0_NS1_11comp_targetILNS1_3genE8ELNS1_11target_archE1030ELNS1_3gpuE2ELNS1_3repE0EEENS1_30default_config_static_selectorELNS0_4arch9wavefront6targetE1EEEvT1_
	.globl	_ZN7rocprim17ROCPRIM_400000_NS6detail17trampoline_kernelINS0_14default_configENS1_20scan_config_selectorIiEEZZNS1_9scan_implILNS1_25lookback_scan_determinismE0ELb1ELb1ES3_N6thrust23THRUST_200600_302600_NS6detail15normal_iteratorINS9_10device_ptrIjEEEENSB_INSC_IfEEEEiNS9_4plusIvEEiEEDaPvRmT3_T4_T5_mT6_P12ihipStream_tbENKUlT_T0_E_clISt17integral_constantIbLb1EESV_IbLb0EEEEDaSR_SS_EUlSR_E0_NS1_11comp_targetILNS1_3genE8ELNS1_11target_archE1030ELNS1_3gpuE2ELNS1_3repE0EEENS1_30default_config_static_selectorELNS0_4arch9wavefront6targetE1EEEvT1_
	.p2align	8
	.type	_ZN7rocprim17ROCPRIM_400000_NS6detail17trampoline_kernelINS0_14default_configENS1_20scan_config_selectorIiEEZZNS1_9scan_implILNS1_25lookback_scan_determinismE0ELb1ELb1ES3_N6thrust23THRUST_200600_302600_NS6detail15normal_iteratorINS9_10device_ptrIjEEEENSB_INSC_IfEEEEiNS9_4plusIvEEiEEDaPvRmT3_T4_T5_mT6_P12ihipStream_tbENKUlT_T0_E_clISt17integral_constantIbLb1EESV_IbLb0EEEEDaSR_SS_EUlSR_E0_NS1_11comp_targetILNS1_3genE8ELNS1_11target_archE1030ELNS1_3gpuE2ELNS1_3repE0EEENS1_30default_config_static_selectorELNS0_4arch9wavefront6targetE1EEEvT1_,@function
_ZN7rocprim17ROCPRIM_400000_NS6detail17trampoline_kernelINS0_14default_configENS1_20scan_config_selectorIiEEZZNS1_9scan_implILNS1_25lookback_scan_determinismE0ELb1ELb1ES3_N6thrust23THRUST_200600_302600_NS6detail15normal_iteratorINS9_10device_ptrIjEEEENSB_INSC_IfEEEEiNS9_4plusIvEEiEEDaPvRmT3_T4_T5_mT6_P12ihipStream_tbENKUlT_T0_E_clISt17integral_constantIbLb1EESV_IbLb0EEEEDaSR_SS_EUlSR_E0_NS1_11comp_targetILNS1_3genE8ELNS1_11target_archE1030ELNS1_3gpuE2ELNS1_3repE0EEENS1_30default_config_static_selectorELNS0_4arch9wavefront6targetE1EEEvT1_: ; @_ZN7rocprim17ROCPRIM_400000_NS6detail17trampoline_kernelINS0_14default_configENS1_20scan_config_selectorIiEEZZNS1_9scan_implILNS1_25lookback_scan_determinismE0ELb1ELb1ES3_N6thrust23THRUST_200600_302600_NS6detail15normal_iteratorINS9_10device_ptrIjEEEENSB_INSC_IfEEEEiNS9_4plusIvEEiEEDaPvRmT3_T4_T5_mT6_P12ihipStream_tbENKUlT_T0_E_clISt17integral_constantIbLb1EESV_IbLb0EEEEDaSR_SS_EUlSR_E0_NS1_11comp_targetILNS1_3genE8ELNS1_11target_archE1030ELNS1_3gpuE2ELNS1_3repE0EEENS1_30default_config_static_selectorELNS0_4arch9wavefront6targetE1EEEvT1_
; %bb.0:
	.section	.rodata,"a",@progbits
	.p2align	6, 0x0
	.amdhsa_kernel _ZN7rocprim17ROCPRIM_400000_NS6detail17trampoline_kernelINS0_14default_configENS1_20scan_config_selectorIiEEZZNS1_9scan_implILNS1_25lookback_scan_determinismE0ELb1ELb1ES3_N6thrust23THRUST_200600_302600_NS6detail15normal_iteratorINS9_10device_ptrIjEEEENSB_INSC_IfEEEEiNS9_4plusIvEEiEEDaPvRmT3_T4_T5_mT6_P12ihipStream_tbENKUlT_T0_E_clISt17integral_constantIbLb1EESV_IbLb0EEEEDaSR_SS_EUlSR_E0_NS1_11comp_targetILNS1_3genE8ELNS1_11target_archE1030ELNS1_3gpuE2ELNS1_3repE0EEENS1_30default_config_static_selectorELNS0_4arch9wavefront6targetE1EEEvT1_
		.amdhsa_group_segment_fixed_size 0
		.amdhsa_private_segment_fixed_size 0
		.amdhsa_kernarg_size 32
		.amdhsa_user_sgpr_count 6
		.amdhsa_user_sgpr_private_segment_buffer 1
		.amdhsa_user_sgpr_dispatch_ptr 0
		.amdhsa_user_sgpr_queue_ptr 0
		.amdhsa_user_sgpr_kernarg_segment_ptr 1
		.amdhsa_user_sgpr_dispatch_id 0
		.amdhsa_user_sgpr_flat_scratch_init 0
		.amdhsa_user_sgpr_kernarg_preload_length 0
		.amdhsa_user_sgpr_kernarg_preload_offset 0
		.amdhsa_user_sgpr_private_segment_size 0
		.amdhsa_uses_dynamic_stack 0
		.amdhsa_system_sgpr_private_segment_wavefront_offset 0
		.amdhsa_system_sgpr_workgroup_id_x 1
		.amdhsa_system_sgpr_workgroup_id_y 0
		.amdhsa_system_sgpr_workgroup_id_z 0
		.amdhsa_system_sgpr_workgroup_info 0
		.amdhsa_system_vgpr_workitem_id 0
		.amdhsa_next_free_vgpr 1
		.amdhsa_next_free_sgpr 0
		.amdhsa_accum_offset 4
		.amdhsa_reserve_vcc 0
		.amdhsa_reserve_flat_scratch 0
		.amdhsa_float_round_mode_32 0
		.amdhsa_float_round_mode_16_64 0
		.amdhsa_float_denorm_mode_32 3
		.amdhsa_float_denorm_mode_16_64 3
		.amdhsa_dx10_clamp 1
		.amdhsa_ieee_mode 1
		.amdhsa_fp16_overflow 0
		.amdhsa_tg_split 0
		.amdhsa_exception_fp_ieee_invalid_op 0
		.amdhsa_exception_fp_denorm_src 0
		.amdhsa_exception_fp_ieee_div_zero 0
		.amdhsa_exception_fp_ieee_overflow 0
		.amdhsa_exception_fp_ieee_underflow 0
		.amdhsa_exception_fp_ieee_inexact 0
		.amdhsa_exception_int_div_zero 0
	.end_amdhsa_kernel
	.section	.text._ZN7rocprim17ROCPRIM_400000_NS6detail17trampoline_kernelINS0_14default_configENS1_20scan_config_selectorIiEEZZNS1_9scan_implILNS1_25lookback_scan_determinismE0ELb1ELb1ES3_N6thrust23THRUST_200600_302600_NS6detail15normal_iteratorINS9_10device_ptrIjEEEENSB_INSC_IfEEEEiNS9_4plusIvEEiEEDaPvRmT3_T4_T5_mT6_P12ihipStream_tbENKUlT_T0_E_clISt17integral_constantIbLb1EESV_IbLb0EEEEDaSR_SS_EUlSR_E0_NS1_11comp_targetILNS1_3genE8ELNS1_11target_archE1030ELNS1_3gpuE2ELNS1_3repE0EEENS1_30default_config_static_selectorELNS0_4arch9wavefront6targetE1EEEvT1_,"axG",@progbits,_ZN7rocprim17ROCPRIM_400000_NS6detail17trampoline_kernelINS0_14default_configENS1_20scan_config_selectorIiEEZZNS1_9scan_implILNS1_25lookback_scan_determinismE0ELb1ELb1ES3_N6thrust23THRUST_200600_302600_NS6detail15normal_iteratorINS9_10device_ptrIjEEEENSB_INSC_IfEEEEiNS9_4plusIvEEiEEDaPvRmT3_T4_T5_mT6_P12ihipStream_tbENKUlT_T0_E_clISt17integral_constantIbLb1EESV_IbLb0EEEEDaSR_SS_EUlSR_E0_NS1_11comp_targetILNS1_3genE8ELNS1_11target_archE1030ELNS1_3gpuE2ELNS1_3repE0EEENS1_30default_config_static_selectorELNS0_4arch9wavefront6targetE1EEEvT1_,comdat
.Lfunc_end6213:
	.size	_ZN7rocprim17ROCPRIM_400000_NS6detail17trampoline_kernelINS0_14default_configENS1_20scan_config_selectorIiEEZZNS1_9scan_implILNS1_25lookback_scan_determinismE0ELb1ELb1ES3_N6thrust23THRUST_200600_302600_NS6detail15normal_iteratorINS9_10device_ptrIjEEEENSB_INSC_IfEEEEiNS9_4plusIvEEiEEDaPvRmT3_T4_T5_mT6_P12ihipStream_tbENKUlT_T0_E_clISt17integral_constantIbLb1EESV_IbLb0EEEEDaSR_SS_EUlSR_E0_NS1_11comp_targetILNS1_3genE8ELNS1_11target_archE1030ELNS1_3gpuE2ELNS1_3repE0EEENS1_30default_config_static_selectorELNS0_4arch9wavefront6targetE1EEEvT1_, .Lfunc_end6213-_ZN7rocprim17ROCPRIM_400000_NS6detail17trampoline_kernelINS0_14default_configENS1_20scan_config_selectorIiEEZZNS1_9scan_implILNS1_25lookback_scan_determinismE0ELb1ELb1ES3_N6thrust23THRUST_200600_302600_NS6detail15normal_iteratorINS9_10device_ptrIjEEEENSB_INSC_IfEEEEiNS9_4plusIvEEiEEDaPvRmT3_T4_T5_mT6_P12ihipStream_tbENKUlT_T0_E_clISt17integral_constantIbLb1EESV_IbLb0EEEEDaSR_SS_EUlSR_E0_NS1_11comp_targetILNS1_3genE8ELNS1_11target_archE1030ELNS1_3gpuE2ELNS1_3repE0EEENS1_30default_config_static_selectorELNS0_4arch9wavefront6targetE1EEEvT1_
                                        ; -- End function
	.section	.AMDGPU.csdata,"",@progbits
; Kernel info:
; codeLenInByte = 0
; NumSgprs: 4
; NumVgprs: 0
; NumAgprs: 0
; TotalNumVgprs: 0
; ScratchSize: 0
; MemoryBound: 0
; FloatMode: 240
; IeeeMode: 1
; LDSByteSize: 0 bytes/workgroup (compile time only)
; SGPRBlocks: 0
; VGPRBlocks: 0
; NumSGPRsForWavesPerEU: 4
; NumVGPRsForWavesPerEU: 1
; AccumOffset: 4
; Occupancy: 8
; WaveLimiterHint : 0
; COMPUTE_PGM_RSRC2:SCRATCH_EN: 0
; COMPUTE_PGM_RSRC2:USER_SGPR: 6
; COMPUTE_PGM_RSRC2:TRAP_HANDLER: 0
; COMPUTE_PGM_RSRC2:TGID_X_EN: 1
; COMPUTE_PGM_RSRC2:TGID_Y_EN: 0
; COMPUTE_PGM_RSRC2:TGID_Z_EN: 0
; COMPUTE_PGM_RSRC2:TIDIG_COMP_CNT: 0
; COMPUTE_PGM_RSRC3_GFX90A:ACCUM_OFFSET: 0
; COMPUTE_PGM_RSRC3_GFX90A:TG_SPLIT: 0
	.section	.text._ZN7rocprim17ROCPRIM_400000_NS6detail17trampoline_kernelINS0_14default_configENS1_20scan_config_selectorIiEEZZNS1_9scan_implILNS1_25lookback_scan_determinismE0ELb1ELb1ES3_N6thrust23THRUST_200600_302600_NS6detail15normal_iteratorINS9_10device_ptrIjEEEENSB_INSC_IfEEEEiNS9_4plusIvEEiEEDaPvRmT3_T4_T5_mT6_P12ihipStream_tbENKUlT_T0_E_clISt17integral_constantIbLb0EESV_IbLb1EEEEDaSR_SS_EUlSR_E_NS1_11comp_targetILNS1_3genE0ELNS1_11target_archE4294967295ELNS1_3gpuE0ELNS1_3repE0EEENS1_30default_config_static_selectorELNS0_4arch9wavefront6targetE1EEEvT1_,"axG",@progbits,_ZN7rocprim17ROCPRIM_400000_NS6detail17trampoline_kernelINS0_14default_configENS1_20scan_config_selectorIiEEZZNS1_9scan_implILNS1_25lookback_scan_determinismE0ELb1ELb1ES3_N6thrust23THRUST_200600_302600_NS6detail15normal_iteratorINS9_10device_ptrIjEEEENSB_INSC_IfEEEEiNS9_4plusIvEEiEEDaPvRmT3_T4_T5_mT6_P12ihipStream_tbENKUlT_T0_E_clISt17integral_constantIbLb0EESV_IbLb1EEEEDaSR_SS_EUlSR_E_NS1_11comp_targetILNS1_3genE0ELNS1_11target_archE4294967295ELNS1_3gpuE0ELNS1_3repE0EEENS1_30default_config_static_selectorELNS0_4arch9wavefront6targetE1EEEvT1_,comdat
	.protected	_ZN7rocprim17ROCPRIM_400000_NS6detail17trampoline_kernelINS0_14default_configENS1_20scan_config_selectorIiEEZZNS1_9scan_implILNS1_25lookback_scan_determinismE0ELb1ELb1ES3_N6thrust23THRUST_200600_302600_NS6detail15normal_iteratorINS9_10device_ptrIjEEEENSB_INSC_IfEEEEiNS9_4plusIvEEiEEDaPvRmT3_T4_T5_mT6_P12ihipStream_tbENKUlT_T0_E_clISt17integral_constantIbLb0EESV_IbLb1EEEEDaSR_SS_EUlSR_E_NS1_11comp_targetILNS1_3genE0ELNS1_11target_archE4294967295ELNS1_3gpuE0ELNS1_3repE0EEENS1_30default_config_static_selectorELNS0_4arch9wavefront6targetE1EEEvT1_ ; -- Begin function _ZN7rocprim17ROCPRIM_400000_NS6detail17trampoline_kernelINS0_14default_configENS1_20scan_config_selectorIiEEZZNS1_9scan_implILNS1_25lookback_scan_determinismE0ELb1ELb1ES3_N6thrust23THRUST_200600_302600_NS6detail15normal_iteratorINS9_10device_ptrIjEEEENSB_INSC_IfEEEEiNS9_4plusIvEEiEEDaPvRmT3_T4_T5_mT6_P12ihipStream_tbENKUlT_T0_E_clISt17integral_constantIbLb0EESV_IbLb1EEEEDaSR_SS_EUlSR_E_NS1_11comp_targetILNS1_3genE0ELNS1_11target_archE4294967295ELNS1_3gpuE0ELNS1_3repE0EEENS1_30default_config_static_selectorELNS0_4arch9wavefront6targetE1EEEvT1_
	.globl	_ZN7rocprim17ROCPRIM_400000_NS6detail17trampoline_kernelINS0_14default_configENS1_20scan_config_selectorIiEEZZNS1_9scan_implILNS1_25lookback_scan_determinismE0ELb1ELb1ES3_N6thrust23THRUST_200600_302600_NS6detail15normal_iteratorINS9_10device_ptrIjEEEENSB_INSC_IfEEEEiNS9_4plusIvEEiEEDaPvRmT3_T4_T5_mT6_P12ihipStream_tbENKUlT_T0_E_clISt17integral_constantIbLb0EESV_IbLb1EEEEDaSR_SS_EUlSR_E_NS1_11comp_targetILNS1_3genE0ELNS1_11target_archE4294967295ELNS1_3gpuE0ELNS1_3repE0EEENS1_30default_config_static_selectorELNS0_4arch9wavefront6targetE1EEEvT1_
	.p2align	8
	.type	_ZN7rocprim17ROCPRIM_400000_NS6detail17trampoline_kernelINS0_14default_configENS1_20scan_config_selectorIiEEZZNS1_9scan_implILNS1_25lookback_scan_determinismE0ELb1ELb1ES3_N6thrust23THRUST_200600_302600_NS6detail15normal_iteratorINS9_10device_ptrIjEEEENSB_INSC_IfEEEEiNS9_4plusIvEEiEEDaPvRmT3_T4_T5_mT6_P12ihipStream_tbENKUlT_T0_E_clISt17integral_constantIbLb0EESV_IbLb1EEEEDaSR_SS_EUlSR_E_NS1_11comp_targetILNS1_3genE0ELNS1_11target_archE4294967295ELNS1_3gpuE0ELNS1_3repE0EEENS1_30default_config_static_selectorELNS0_4arch9wavefront6targetE1EEEvT1_,@function
_ZN7rocprim17ROCPRIM_400000_NS6detail17trampoline_kernelINS0_14default_configENS1_20scan_config_selectorIiEEZZNS1_9scan_implILNS1_25lookback_scan_determinismE0ELb1ELb1ES3_N6thrust23THRUST_200600_302600_NS6detail15normal_iteratorINS9_10device_ptrIjEEEENSB_INSC_IfEEEEiNS9_4plusIvEEiEEDaPvRmT3_T4_T5_mT6_P12ihipStream_tbENKUlT_T0_E_clISt17integral_constantIbLb0EESV_IbLb1EEEEDaSR_SS_EUlSR_E_NS1_11comp_targetILNS1_3genE0ELNS1_11target_archE4294967295ELNS1_3gpuE0ELNS1_3repE0EEENS1_30default_config_static_selectorELNS0_4arch9wavefront6targetE1EEEvT1_: ; @_ZN7rocprim17ROCPRIM_400000_NS6detail17trampoline_kernelINS0_14default_configENS1_20scan_config_selectorIiEEZZNS1_9scan_implILNS1_25lookback_scan_determinismE0ELb1ELb1ES3_N6thrust23THRUST_200600_302600_NS6detail15normal_iteratorINS9_10device_ptrIjEEEENSB_INSC_IfEEEEiNS9_4plusIvEEiEEDaPvRmT3_T4_T5_mT6_P12ihipStream_tbENKUlT_T0_E_clISt17integral_constantIbLb0EESV_IbLb1EEEEDaSR_SS_EUlSR_E_NS1_11comp_targetILNS1_3genE0ELNS1_11target_archE4294967295ELNS1_3gpuE0ELNS1_3repE0EEENS1_30default_config_static_selectorELNS0_4arch9wavefront6targetE1EEEvT1_
; %bb.0:
	.section	.rodata,"a",@progbits
	.p2align	6, 0x0
	.amdhsa_kernel _ZN7rocprim17ROCPRIM_400000_NS6detail17trampoline_kernelINS0_14default_configENS1_20scan_config_selectorIiEEZZNS1_9scan_implILNS1_25lookback_scan_determinismE0ELb1ELb1ES3_N6thrust23THRUST_200600_302600_NS6detail15normal_iteratorINS9_10device_ptrIjEEEENSB_INSC_IfEEEEiNS9_4plusIvEEiEEDaPvRmT3_T4_T5_mT6_P12ihipStream_tbENKUlT_T0_E_clISt17integral_constantIbLb0EESV_IbLb1EEEEDaSR_SS_EUlSR_E_NS1_11comp_targetILNS1_3genE0ELNS1_11target_archE4294967295ELNS1_3gpuE0ELNS1_3repE0EEENS1_30default_config_static_selectorELNS0_4arch9wavefront6targetE1EEEvT1_
		.amdhsa_group_segment_fixed_size 0
		.amdhsa_private_segment_fixed_size 0
		.amdhsa_kernarg_size 96
		.amdhsa_user_sgpr_count 6
		.amdhsa_user_sgpr_private_segment_buffer 1
		.amdhsa_user_sgpr_dispatch_ptr 0
		.amdhsa_user_sgpr_queue_ptr 0
		.amdhsa_user_sgpr_kernarg_segment_ptr 1
		.amdhsa_user_sgpr_dispatch_id 0
		.amdhsa_user_sgpr_flat_scratch_init 0
		.amdhsa_user_sgpr_kernarg_preload_length 0
		.amdhsa_user_sgpr_kernarg_preload_offset 0
		.amdhsa_user_sgpr_private_segment_size 0
		.amdhsa_uses_dynamic_stack 0
		.amdhsa_system_sgpr_private_segment_wavefront_offset 0
		.amdhsa_system_sgpr_workgroup_id_x 1
		.amdhsa_system_sgpr_workgroup_id_y 0
		.amdhsa_system_sgpr_workgroup_id_z 0
		.amdhsa_system_sgpr_workgroup_info 0
		.amdhsa_system_vgpr_workitem_id 0
		.amdhsa_next_free_vgpr 1
		.amdhsa_next_free_sgpr 0
		.amdhsa_accum_offset 4
		.amdhsa_reserve_vcc 0
		.amdhsa_reserve_flat_scratch 0
		.amdhsa_float_round_mode_32 0
		.amdhsa_float_round_mode_16_64 0
		.amdhsa_float_denorm_mode_32 3
		.amdhsa_float_denorm_mode_16_64 3
		.amdhsa_dx10_clamp 1
		.amdhsa_ieee_mode 1
		.amdhsa_fp16_overflow 0
		.amdhsa_tg_split 0
		.amdhsa_exception_fp_ieee_invalid_op 0
		.amdhsa_exception_fp_denorm_src 0
		.amdhsa_exception_fp_ieee_div_zero 0
		.amdhsa_exception_fp_ieee_overflow 0
		.amdhsa_exception_fp_ieee_underflow 0
		.amdhsa_exception_fp_ieee_inexact 0
		.amdhsa_exception_int_div_zero 0
	.end_amdhsa_kernel
	.section	.text._ZN7rocprim17ROCPRIM_400000_NS6detail17trampoline_kernelINS0_14default_configENS1_20scan_config_selectorIiEEZZNS1_9scan_implILNS1_25lookback_scan_determinismE0ELb1ELb1ES3_N6thrust23THRUST_200600_302600_NS6detail15normal_iteratorINS9_10device_ptrIjEEEENSB_INSC_IfEEEEiNS9_4plusIvEEiEEDaPvRmT3_T4_T5_mT6_P12ihipStream_tbENKUlT_T0_E_clISt17integral_constantIbLb0EESV_IbLb1EEEEDaSR_SS_EUlSR_E_NS1_11comp_targetILNS1_3genE0ELNS1_11target_archE4294967295ELNS1_3gpuE0ELNS1_3repE0EEENS1_30default_config_static_selectorELNS0_4arch9wavefront6targetE1EEEvT1_,"axG",@progbits,_ZN7rocprim17ROCPRIM_400000_NS6detail17trampoline_kernelINS0_14default_configENS1_20scan_config_selectorIiEEZZNS1_9scan_implILNS1_25lookback_scan_determinismE0ELb1ELb1ES3_N6thrust23THRUST_200600_302600_NS6detail15normal_iteratorINS9_10device_ptrIjEEEENSB_INSC_IfEEEEiNS9_4plusIvEEiEEDaPvRmT3_T4_T5_mT6_P12ihipStream_tbENKUlT_T0_E_clISt17integral_constantIbLb0EESV_IbLb1EEEEDaSR_SS_EUlSR_E_NS1_11comp_targetILNS1_3genE0ELNS1_11target_archE4294967295ELNS1_3gpuE0ELNS1_3repE0EEENS1_30default_config_static_selectorELNS0_4arch9wavefront6targetE1EEEvT1_,comdat
.Lfunc_end6214:
	.size	_ZN7rocprim17ROCPRIM_400000_NS6detail17trampoline_kernelINS0_14default_configENS1_20scan_config_selectorIiEEZZNS1_9scan_implILNS1_25lookback_scan_determinismE0ELb1ELb1ES3_N6thrust23THRUST_200600_302600_NS6detail15normal_iteratorINS9_10device_ptrIjEEEENSB_INSC_IfEEEEiNS9_4plusIvEEiEEDaPvRmT3_T4_T5_mT6_P12ihipStream_tbENKUlT_T0_E_clISt17integral_constantIbLb0EESV_IbLb1EEEEDaSR_SS_EUlSR_E_NS1_11comp_targetILNS1_3genE0ELNS1_11target_archE4294967295ELNS1_3gpuE0ELNS1_3repE0EEENS1_30default_config_static_selectorELNS0_4arch9wavefront6targetE1EEEvT1_, .Lfunc_end6214-_ZN7rocprim17ROCPRIM_400000_NS6detail17trampoline_kernelINS0_14default_configENS1_20scan_config_selectorIiEEZZNS1_9scan_implILNS1_25lookback_scan_determinismE0ELb1ELb1ES3_N6thrust23THRUST_200600_302600_NS6detail15normal_iteratorINS9_10device_ptrIjEEEENSB_INSC_IfEEEEiNS9_4plusIvEEiEEDaPvRmT3_T4_T5_mT6_P12ihipStream_tbENKUlT_T0_E_clISt17integral_constantIbLb0EESV_IbLb1EEEEDaSR_SS_EUlSR_E_NS1_11comp_targetILNS1_3genE0ELNS1_11target_archE4294967295ELNS1_3gpuE0ELNS1_3repE0EEENS1_30default_config_static_selectorELNS0_4arch9wavefront6targetE1EEEvT1_
                                        ; -- End function
	.section	.AMDGPU.csdata,"",@progbits
; Kernel info:
; codeLenInByte = 0
; NumSgprs: 4
; NumVgprs: 0
; NumAgprs: 0
; TotalNumVgprs: 0
; ScratchSize: 0
; MemoryBound: 0
; FloatMode: 240
; IeeeMode: 1
; LDSByteSize: 0 bytes/workgroup (compile time only)
; SGPRBlocks: 0
; VGPRBlocks: 0
; NumSGPRsForWavesPerEU: 4
; NumVGPRsForWavesPerEU: 1
; AccumOffset: 4
; Occupancy: 8
; WaveLimiterHint : 0
; COMPUTE_PGM_RSRC2:SCRATCH_EN: 0
; COMPUTE_PGM_RSRC2:USER_SGPR: 6
; COMPUTE_PGM_RSRC2:TRAP_HANDLER: 0
; COMPUTE_PGM_RSRC2:TGID_X_EN: 1
; COMPUTE_PGM_RSRC2:TGID_Y_EN: 0
; COMPUTE_PGM_RSRC2:TGID_Z_EN: 0
; COMPUTE_PGM_RSRC2:TIDIG_COMP_CNT: 0
; COMPUTE_PGM_RSRC3_GFX90A:ACCUM_OFFSET: 0
; COMPUTE_PGM_RSRC3_GFX90A:TG_SPLIT: 0
	.section	.text._ZN7rocprim17ROCPRIM_400000_NS6detail17trampoline_kernelINS0_14default_configENS1_20scan_config_selectorIiEEZZNS1_9scan_implILNS1_25lookback_scan_determinismE0ELb1ELb1ES3_N6thrust23THRUST_200600_302600_NS6detail15normal_iteratorINS9_10device_ptrIjEEEENSB_INSC_IfEEEEiNS9_4plusIvEEiEEDaPvRmT3_T4_T5_mT6_P12ihipStream_tbENKUlT_T0_E_clISt17integral_constantIbLb0EESV_IbLb1EEEEDaSR_SS_EUlSR_E_NS1_11comp_targetILNS1_3genE5ELNS1_11target_archE942ELNS1_3gpuE9ELNS1_3repE0EEENS1_30default_config_static_selectorELNS0_4arch9wavefront6targetE1EEEvT1_,"axG",@progbits,_ZN7rocprim17ROCPRIM_400000_NS6detail17trampoline_kernelINS0_14default_configENS1_20scan_config_selectorIiEEZZNS1_9scan_implILNS1_25lookback_scan_determinismE0ELb1ELb1ES3_N6thrust23THRUST_200600_302600_NS6detail15normal_iteratorINS9_10device_ptrIjEEEENSB_INSC_IfEEEEiNS9_4plusIvEEiEEDaPvRmT3_T4_T5_mT6_P12ihipStream_tbENKUlT_T0_E_clISt17integral_constantIbLb0EESV_IbLb1EEEEDaSR_SS_EUlSR_E_NS1_11comp_targetILNS1_3genE5ELNS1_11target_archE942ELNS1_3gpuE9ELNS1_3repE0EEENS1_30default_config_static_selectorELNS0_4arch9wavefront6targetE1EEEvT1_,comdat
	.protected	_ZN7rocprim17ROCPRIM_400000_NS6detail17trampoline_kernelINS0_14default_configENS1_20scan_config_selectorIiEEZZNS1_9scan_implILNS1_25lookback_scan_determinismE0ELb1ELb1ES3_N6thrust23THRUST_200600_302600_NS6detail15normal_iteratorINS9_10device_ptrIjEEEENSB_INSC_IfEEEEiNS9_4plusIvEEiEEDaPvRmT3_T4_T5_mT6_P12ihipStream_tbENKUlT_T0_E_clISt17integral_constantIbLb0EESV_IbLb1EEEEDaSR_SS_EUlSR_E_NS1_11comp_targetILNS1_3genE5ELNS1_11target_archE942ELNS1_3gpuE9ELNS1_3repE0EEENS1_30default_config_static_selectorELNS0_4arch9wavefront6targetE1EEEvT1_ ; -- Begin function _ZN7rocprim17ROCPRIM_400000_NS6detail17trampoline_kernelINS0_14default_configENS1_20scan_config_selectorIiEEZZNS1_9scan_implILNS1_25lookback_scan_determinismE0ELb1ELb1ES3_N6thrust23THRUST_200600_302600_NS6detail15normal_iteratorINS9_10device_ptrIjEEEENSB_INSC_IfEEEEiNS9_4plusIvEEiEEDaPvRmT3_T4_T5_mT6_P12ihipStream_tbENKUlT_T0_E_clISt17integral_constantIbLb0EESV_IbLb1EEEEDaSR_SS_EUlSR_E_NS1_11comp_targetILNS1_3genE5ELNS1_11target_archE942ELNS1_3gpuE9ELNS1_3repE0EEENS1_30default_config_static_selectorELNS0_4arch9wavefront6targetE1EEEvT1_
	.globl	_ZN7rocprim17ROCPRIM_400000_NS6detail17trampoline_kernelINS0_14default_configENS1_20scan_config_selectorIiEEZZNS1_9scan_implILNS1_25lookback_scan_determinismE0ELb1ELb1ES3_N6thrust23THRUST_200600_302600_NS6detail15normal_iteratorINS9_10device_ptrIjEEEENSB_INSC_IfEEEEiNS9_4plusIvEEiEEDaPvRmT3_T4_T5_mT6_P12ihipStream_tbENKUlT_T0_E_clISt17integral_constantIbLb0EESV_IbLb1EEEEDaSR_SS_EUlSR_E_NS1_11comp_targetILNS1_3genE5ELNS1_11target_archE942ELNS1_3gpuE9ELNS1_3repE0EEENS1_30default_config_static_selectorELNS0_4arch9wavefront6targetE1EEEvT1_
	.p2align	8
	.type	_ZN7rocprim17ROCPRIM_400000_NS6detail17trampoline_kernelINS0_14default_configENS1_20scan_config_selectorIiEEZZNS1_9scan_implILNS1_25lookback_scan_determinismE0ELb1ELb1ES3_N6thrust23THRUST_200600_302600_NS6detail15normal_iteratorINS9_10device_ptrIjEEEENSB_INSC_IfEEEEiNS9_4plusIvEEiEEDaPvRmT3_T4_T5_mT6_P12ihipStream_tbENKUlT_T0_E_clISt17integral_constantIbLb0EESV_IbLb1EEEEDaSR_SS_EUlSR_E_NS1_11comp_targetILNS1_3genE5ELNS1_11target_archE942ELNS1_3gpuE9ELNS1_3repE0EEENS1_30default_config_static_selectorELNS0_4arch9wavefront6targetE1EEEvT1_,@function
_ZN7rocprim17ROCPRIM_400000_NS6detail17trampoline_kernelINS0_14default_configENS1_20scan_config_selectorIiEEZZNS1_9scan_implILNS1_25lookback_scan_determinismE0ELb1ELb1ES3_N6thrust23THRUST_200600_302600_NS6detail15normal_iteratorINS9_10device_ptrIjEEEENSB_INSC_IfEEEEiNS9_4plusIvEEiEEDaPvRmT3_T4_T5_mT6_P12ihipStream_tbENKUlT_T0_E_clISt17integral_constantIbLb0EESV_IbLb1EEEEDaSR_SS_EUlSR_E_NS1_11comp_targetILNS1_3genE5ELNS1_11target_archE942ELNS1_3gpuE9ELNS1_3repE0EEENS1_30default_config_static_selectorELNS0_4arch9wavefront6targetE1EEEvT1_: ; @_ZN7rocprim17ROCPRIM_400000_NS6detail17trampoline_kernelINS0_14default_configENS1_20scan_config_selectorIiEEZZNS1_9scan_implILNS1_25lookback_scan_determinismE0ELb1ELb1ES3_N6thrust23THRUST_200600_302600_NS6detail15normal_iteratorINS9_10device_ptrIjEEEENSB_INSC_IfEEEEiNS9_4plusIvEEiEEDaPvRmT3_T4_T5_mT6_P12ihipStream_tbENKUlT_T0_E_clISt17integral_constantIbLb0EESV_IbLb1EEEEDaSR_SS_EUlSR_E_NS1_11comp_targetILNS1_3genE5ELNS1_11target_archE942ELNS1_3gpuE9ELNS1_3repE0EEENS1_30default_config_static_selectorELNS0_4arch9wavefront6targetE1EEEvT1_
; %bb.0:
	.section	.rodata,"a",@progbits
	.p2align	6, 0x0
	.amdhsa_kernel _ZN7rocprim17ROCPRIM_400000_NS6detail17trampoline_kernelINS0_14default_configENS1_20scan_config_selectorIiEEZZNS1_9scan_implILNS1_25lookback_scan_determinismE0ELb1ELb1ES3_N6thrust23THRUST_200600_302600_NS6detail15normal_iteratorINS9_10device_ptrIjEEEENSB_INSC_IfEEEEiNS9_4plusIvEEiEEDaPvRmT3_T4_T5_mT6_P12ihipStream_tbENKUlT_T0_E_clISt17integral_constantIbLb0EESV_IbLb1EEEEDaSR_SS_EUlSR_E_NS1_11comp_targetILNS1_3genE5ELNS1_11target_archE942ELNS1_3gpuE9ELNS1_3repE0EEENS1_30default_config_static_selectorELNS0_4arch9wavefront6targetE1EEEvT1_
		.amdhsa_group_segment_fixed_size 0
		.amdhsa_private_segment_fixed_size 0
		.amdhsa_kernarg_size 96
		.amdhsa_user_sgpr_count 6
		.amdhsa_user_sgpr_private_segment_buffer 1
		.amdhsa_user_sgpr_dispatch_ptr 0
		.amdhsa_user_sgpr_queue_ptr 0
		.amdhsa_user_sgpr_kernarg_segment_ptr 1
		.amdhsa_user_sgpr_dispatch_id 0
		.amdhsa_user_sgpr_flat_scratch_init 0
		.amdhsa_user_sgpr_kernarg_preload_length 0
		.amdhsa_user_sgpr_kernarg_preload_offset 0
		.amdhsa_user_sgpr_private_segment_size 0
		.amdhsa_uses_dynamic_stack 0
		.amdhsa_system_sgpr_private_segment_wavefront_offset 0
		.amdhsa_system_sgpr_workgroup_id_x 1
		.amdhsa_system_sgpr_workgroup_id_y 0
		.amdhsa_system_sgpr_workgroup_id_z 0
		.amdhsa_system_sgpr_workgroup_info 0
		.amdhsa_system_vgpr_workitem_id 0
		.amdhsa_next_free_vgpr 1
		.amdhsa_next_free_sgpr 0
		.amdhsa_accum_offset 4
		.amdhsa_reserve_vcc 0
		.amdhsa_reserve_flat_scratch 0
		.amdhsa_float_round_mode_32 0
		.amdhsa_float_round_mode_16_64 0
		.amdhsa_float_denorm_mode_32 3
		.amdhsa_float_denorm_mode_16_64 3
		.amdhsa_dx10_clamp 1
		.amdhsa_ieee_mode 1
		.amdhsa_fp16_overflow 0
		.amdhsa_tg_split 0
		.amdhsa_exception_fp_ieee_invalid_op 0
		.amdhsa_exception_fp_denorm_src 0
		.amdhsa_exception_fp_ieee_div_zero 0
		.amdhsa_exception_fp_ieee_overflow 0
		.amdhsa_exception_fp_ieee_underflow 0
		.amdhsa_exception_fp_ieee_inexact 0
		.amdhsa_exception_int_div_zero 0
	.end_amdhsa_kernel
	.section	.text._ZN7rocprim17ROCPRIM_400000_NS6detail17trampoline_kernelINS0_14default_configENS1_20scan_config_selectorIiEEZZNS1_9scan_implILNS1_25lookback_scan_determinismE0ELb1ELb1ES3_N6thrust23THRUST_200600_302600_NS6detail15normal_iteratorINS9_10device_ptrIjEEEENSB_INSC_IfEEEEiNS9_4plusIvEEiEEDaPvRmT3_T4_T5_mT6_P12ihipStream_tbENKUlT_T0_E_clISt17integral_constantIbLb0EESV_IbLb1EEEEDaSR_SS_EUlSR_E_NS1_11comp_targetILNS1_3genE5ELNS1_11target_archE942ELNS1_3gpuE9ELNS1_3repE0EEENS1_30default_config_static_selectorELNS0_4arch9wavefront6targetE1EEEvT1_,"axG",@progbits,_ZN7rocprim17ROCPRIM_400000_NS6detail17trampoline_kernelINS0_14default_configENS1_20scan_config_selectorIiEEZZNS1_9scan_implILNS1_25lookback_scan_determinismE0ELb1ELb1ES3_N6thrust23THRUST_200600_302600_NS6detail15normal_iteratorINS9_10device_ptrIjEEEENSB_INSC_IfEEEEiNS9_4plusIvEEiEEDaPvRmT3_T4_T5_mT6_P12ihipStream_tbENKUlT_T0_E_clISt17integral_constantIbLb0EESV_IbLb1EEEEDaSR_SS_EUlSR_E_NS1_11comp_targetILNS1_3genE5ELNS1_11target_archE942ELNS1_3gpuE9ELNS1_3repE0EEENS1_30default_config_static_selectorELNS0_4arch9wavefront6targetE1EEEvT1_,comdat
.Lfunc_end6215:
	.size	_ZN7rocprim17ROCPRIM_400000_NS6detail17trampoline_kernelINS0_14default_configENS1_20scan_config_selectorIiEEZZNS1_9scan_implILNS1_25lookback_scan_determinismE0ELb1ELb1ES3_N6thrust23THRUST_200600_302600_NS6detail15normal_iteratorINS9_10device_ptrIjEEEENSB_INSC_IfEEEEiNS9_4plusIvEEiEEDaPvRmT3_T4_T5_mT6_P12ihipStream_tbENKUlT_T0_E_clISt17integral_constantIbLb0EESV_IbLb1EEEEDaSR_SS_EUlSR_E_NS1_11comp_targetILNS1_3genE5ELNS1_11target_archE942ELNS1_3gpuE9ELNS1_3repE0EEENS1_30default_config_static_selectorELNS0_4arch9wavefront6targetE1EEEvT1_, .Lfunc_end6215-_ZN7rocprim17ROCPRIM_400000_NS6detail17trampoline_kernelINS0_14default_configENS1_20scan_config_selectorIiEEZZNS1_9scan_implILNS1_25lookback_scan_determinismE0ELb1ELb1ES3_N6thrust23THRUST_200600_302600_NS6detail15normal_iteratorINS9_10device_ptrIjEEEENSB_INSC_IfEEEEiNS9_4plusIvEEiEEDaPvRmT3_T4_T5_mT6_P12ihipStream_tbENKUlT_T0_E_clISt17integral_constantIbLb0EESV_IbLb1EEEEDaSR_SS_EUlSR_E_NS1_11comp_targetILNS1_3genE5ELNS1_11target_archE942ELNS1_3gpuE9ELNS1_3repE0EEENS1_30default_config_static_selectorELNS0_4arch9wavefront6targetE1EEEvT1_
                                        ; -- End function
	.section	.AMDGPU.csdata,"",@progbits
; Kernel info:
; codeLenInByte = 0
; NumSgprs: 4
; NumVgprs: 0
; NumAgprs: 0
; TotalNumVgprs: 0
; ScratchSize: 0
; MemoryBound: 0
; FloatMode: 240
; IeeeMode: 1
; LDSByteSize: 0 bytes/workgroup (compile time only)
; SGPRBlocks: 0
; VGPRBlocks: 0
; NumSGPRsForWavesPerEU: 4
; NumVGPRsForWavesPerEU: 1
; AccumOffset: 4
; Occupancy: 8
; WaveLimiterHint : 0
; COMPUTE_PGM_RSRC2:SCRATCH_EN: 0
; COMPUTE_PGM_RSRC2:USER_SGPR: 6
; COMPUTE_PGM_RSRC2:TRAP_HANDLER: 0
; COMPUTE_PGM_RSRC2:TGID_X_EN: 1
; COMPUTE_PGM_RSRC2:TGID_Y_EN: 0
; COMPUTE_PGM_RSRC2:TGID_Z_EN: 0
; COMPUTE_PGM_RSRC2:TIDIG_COMP_CNT: 0
; COMPUTE_PGM_RSRC3_GFX90A:ACCUM_OFFSET: 0
; COMPUTE_PGM_RSRC3_GFX90A:TG_SPLIT: 0
	.section	.text._ZN7rocprim17ROCPRIM_400000_NS6detail17trampoline_kernelINS0_14default_configENS1_20scan_config_selectorIiEEZZNS1_9scan_implILNS1_25lookback_scan_determinismE0ELb1ELb1ES3_N6thrust23THRUST_200600_302600_NS6detail15normal_iteratorINS9_10device_ptrIjEEEENSB_INSC_IfEEEEiNS9_4plusIvEEiEEDaPvRmT3_T4_T5_mT6_P12ihipStream_tbENKUlT_T0_E_clISt17integral_constantIbLb0EESV_IbLb1EEEEDaSR_SS_EUlSR_E_NS1_11comp_targetILNS1_3genE4ELNS1_11target_archE910ELNS1_3gpuE8ELNS1_3repE0EEENS1_30default_config_static_selectorELNS0_4arch9wavefront6targetE1EEEvT1_,"axG",@progbits,_ZN7rocprim17ROCPRIM_400000_NS6detail17trampoline_kernelINS0_14default_configENS1_20scan_config_selectorIiEEZZNS1_9scan_implILNS1_25lookback_scan_determinismE0ELb1ELb1ES3_N6thrust23THRUST_200600_302600_NS6detail15normal_iteratorINS9_10device_ptrIjEEEENSB_INSC_IfEEEEiNS9_4plusIvEEiEEDaPvRmT3_T4_T5_mT6_P12ihipStream_tbENKUlT_T0_E_clISt17integral_constantIbLb0EESV_IbLb1EEEEDaSR_SS_EUlSR_E_NS1_11comp_targetILNS1_3genE4ELNS1_11target_archE910ELNS1_3gpuE8ELNS1_3repE0EEENS1_30default_config_static_selectorELNS0_4arch9wavefront6targetE1EEEvT1_,comdat
	.protected	_ZN7rocprim17ROCPRIM_400000_NS6detail17trampoline_kernelINS0_14default_configENS1_20scan_config_selectorIiEEZZNS1_9scan_implILNS1_25lookback_scan_determinismE0ELb1ELb1ES3_N6thrust23THRUST_200600_302600_NS6detail15normal_iteratorINS9_10device_ptrIjEEEENSB_INSC_IfEEEEiNS9_4plusIvEEiEEDaPvRmT3_T4_T5_mT6_P12ihipStream_tbENKUlT_T0_E_clISt17integral_constantIbLb0EESV_IbLb1EEEEDaSR_SS_EUlSR_E_NS1_11comp_targetILNS1_3genE4ELNS1_11target_archE910ELNS1_3gpuE8ELNS1_3repE0EEENS1_30default_config_static_selectorELNS0_4arch9wavefront6targetE1EEEvT1_ ; -- Begin function _ZN7rocprim17ROCPRIM_400000_NS6detail17trampoline_kernelINS0_14default_configENS1_20scan_config_selectorIiEEZZNS1_9scan_implILNS1_25lookback_scan_determinismE0ELb1ELb1ES3_N6thrust23THRUST_200600_302600_NS6detail15normal_iteratorINS9_10device_ptrIjEEEENSB_INSC_IfEEEEiNS9_4plusIvEEiEEDaPvRmT3_T4_T5_mT6_P12ihipStream_tbENKUlT_T0_E_clISt17integral_constantIbLb0EESV_IbLb1EEEEDaSR_SS_EUlSR_E_NS1_11comp_targetILNS1_3genE4ELNS1_11target_archE910ELNS1_3gpuE8ELNS1_3repE0EEENS1_30default_config_static_selectorELNS0_4arch9wavefront6targetE1EEEvT1_
	.globl	_ZN7rocprim17ROCPRIM_400000_NS6detail17trampoline_kernelINS0_14default_configENS1_20scan_config_selectorIiEEZZNS1_9scan_implILNS1_25lookback_scan_determinismE0ELb1ELb1ES3_N6thrust23THRUST_200600_302600_NS6detail15normal_iteratorINS9_10device_ptrIjEEEENSB_INSC_IfEEEEiNS9_4plusIvEEiEEDaPvRmT3_T4_T5_mT6_P12ihipStream_tbENKUlT_T0_E_clISt17integral_constantIbLb0EESV_IbLb1EEEEDaSR_SS_EUlSR_E_NS1_11comp_targetILNS1_3genE4ELNS1_11target_archE910ELNS1_3gpuE8ELNS1_3repE0EEENS1_30default_config_static_selectorELNS0_4arch9wavefront6targetE1EEEvT1_
	.p2align	8
	.type	_ZN7rocprim17ROCPRIM_400000_NS6detail17trampoline_kernelINS0_14default_configENS1_20scan_config_selectorIiEEZZNS1_9scan_implILNS1_25lookback_scan_determinismE0ELb1ELb1ES3_N6thrust23THRUST_200600_302600_NS6detail15normal_iteratorINS9_10device_ptrIjEEEENSB_INSC_IfEEEEiNS9_4plusIvEEiEEDaPvRmT3_T4_T5_mT6_P12ihipStream_tbENKUlT_T0_E_clISt17integral_constantIbLb0EESV_IbLb1EEEEDaSR_SS_EUlSR_E_NS1_11comp_targetILNS1_3genE4ELNS1_11target_archE910ELNS1_3gpuE8ELNS1_3repE0EEENS1_30default_config_static_selectorELNS0_4arch9wavefront6targetE1EEEvT1_,@function
_ZN7rocprim17ROCPRIM_400000_NS6detail17trampoline_kernelINS0_14default_configENS1_20scan_config_selectorIiEEZZNS1_9scan_implILNS1_25lookback_scan_determinismE0ELb1ELb1ES3_N6thrust23THRUST_200600_302600_NS6detail15normal_iteratorINS9_10device_ptrIjEEEENSB_INSC_IfEEEEiNS9_4plusIvEEiEEDaPvRmT3_T4_T5_mT6_P12ihipStream_tbENKUlT_T0_E_clISt17integral_constantIbLb0EESV_IbLb1EEEEDaSR_SS_EUlSR_E_NS1_11comp_targetILNS1_3genE4ELNS1_11target_archE910ELNS1_3gpuE8ELNS1_3repE0EEENS1_30default_config_static_selectorELNS0_4arch9wavefront6targetE1EEEvT1_: ; @_ZN7rocprim17ROCPRIM_400000_NS6detail17trampoline_kernelINS0_14default_configENS1_20scan_config_selectorIiEEZZNS1_9scan_implILNS1_25lookback_scan_determinismE0ELb1ELb1ES3_N6thrust23THRUST_200600_302600_NS6detail15normal_iteratorINS9_10device_ptrIjEEEENSB_INSC_IfEEEEiNS9_4plusIvEEiEEDaPvRmT3_T4_T5_mT6_P12ihipStream_tbENKUlT_T0_E_clISt17integral_constantIbLb0EESV_IbLb1EEEEDaSR_SS_EUlSR_E_NS1_11comp_targetILNS1_3genE4ELNS1_11target_archE910ELNS1_3gpuE8ELNS1_3repE0EEENS1_30default_config_static_selectorELNS0_4arch9wavefront6targetE1EEEvT1_
; %bb.0:
	s_load_dword s33, s[4:5], 0x20
	s_load_dwordx2 s[6:7], s[4:5], 0x28
	v_cmp_ne_u32_e64 s[2:3], 0, v0
	v_cmp_eq_u32_e64 s[0:1], 0, v0
	s_and_saveexec_b64 s[8:9], s[0:1]
	s_cbranch_execz .LBB6216_4
; %bb.1:
	s_mov_b64 s[12:13], exec
	v_mbcnt_lo_u32_b32 v1, s12, 0
	v_mbcnt_hi_u32_b32 v1, s13, v1
	v_cmp_eq_u32_e32 vcc, 0, v1
                                        ; implicit-def: $vgpr2
	s_and_saveexec_b64 s[10:11], vcc
	s_cbranch_execz .LBB6216_3
; %bb.2:
	s_load_dwordx2 s[14:15], s[4:5], 0x58
	s_bcnt1_i32_b64 s12, s[12:13]
	v_mov_b32_e32 v2, 0
	v_mov_b32_e32 v3, s12
	s_waitcnt lgkmcnt(0)
	global_atomic_add v2, v2, v3, s[14:15] glc
.LBB6216_3:
	s_or_b64 exec, exec, s[10:11]
	s_waitcnt vmcnt(0)
	v_readfirstlane_b32 s10, v2
	v_add_u32_e32 v1, s10, v1
	v_mov_b32_e32 v2, 0
	ds_write_b32 v2, v1
.LBB6216_4:
	s_or_b64 exec, exec, s[8:9]
	s_load_dwordx8 s[16:23], s[4:5], 0x0
	s_load_dword s24, s[4:5], 0x30
	s_load_dwordx8 s[8:15], s[4:5], 0x38
	v_mov_b32_e32 v1, 0
	s_waitcnt lgkmcnt(0)
	s_barrier
	ds_read_b32 v1, v1
	s_lshl_b64 s[18:19], s[18:19], 2
	s_add_u32 s34, s16, s18
	s_addc_u32 s35, s17, s19
	s_add_i32 s16, s24, -1
	s_mul_i32 s17, s16, 0x500
	s_sub_u32 s30, s22, s17
	s_waitcnt lgkmcnt(0)
	v_readfirstlane_b32 s36, v1
	s_subb_u32 s31, s23, 0
	s_mul_i32 s4, s36, 0x500
	s_mov_b32 s5, 0
	s_cmp_lg_u32 s36, s16
	s_cselect_b64 s[16:17], -1, 0
	s_lshl_b64 s[22:23], s[4:5], 2
	s_add_u32 s24, s34, s22
	s_addc_u32 s25, s35, s23
	s_mov_b64 s[4:5], -1
	s_and_b64 vcc, exec, s[16:17]
	v_lshlrev_b32_e32 v22, 2, v0
	s_barrier
	s_cbranch_vccz .LBB6216_6
; %bb.5:
	v_mov_b32_e32 v1, s25
	v_add_co_u32_e32 v2, vcc, s24, v22
	v_addc_co_u32_e32 v3, vcc, 0, v1, vcc
	flat_load_dword v1, v[2:3]
	flat_load_dword v4, v[2:3] offset:512
	flat_load_dword v5, v[2:3] offset:1024
	;; [unrolled: 1-line block ×7, first 2 shown]
	v_add_co_u32_e32 v2, vcc, 0x1000, v2
	v_addc_co_u32_e32 v3, vcc, 0, v3, vcc
	flat_load_dword v11, v[2:3]
	flat_load_dword v12, v[2:3] offset:512
	s_mov_b64 s[4:5], 0
	s_waitcnt vmcnt(0) lgkmcnt(0)
	ds_write2st64_b32 v22, v1, v4 offset1:2
	ds_write2st64_b32 v22, v5, v6 offset0:4 offset1:6
	ds_write2st64_b32 v22, v7, v8 offset0:8 offset1:10
	;; [unrolled: 1-line block ×4, first 2 shown]
	s_waitcnt lgkmcnt(0)
	s_barrier
.LBB6216_6:
	s_andn2_b64 vcc, exec, s[4:5]
	v_cmp_gt_u32_e64 s[4:5], s30, v0
	s_cbranch_vccnz .LBB6216_28
; %bb.7:
	v_pk_mov_b32 v[2:3], s[24:25], s[24:25] op_sel:[0,1]
	flat_load_dword v1, v[2:3]
	s_waitcnt vmcnt(0) lgkmcnt(0)
	v_mov_b32_e32 v2, v1
	v_mov_b32_e32 v3, v1
	;; [unrolled: 1-line block ×9, first 2 shown]
	s_and_saveexec_b64 s[26:27], s[4:5]
	s_cbranch_execz .LBB6216_9
; %bb.8:
	v_mov_b32_e32 v11, s25
	v_add_co_u32_e32 v10, vcc, s24, v22
	v_addc_co_u32_e32 v11, vcc, 0, v11, vcc
	flat_load_dword v10, v[10:11]
.LBB6216_9:
	s_or_b64 exec, exec, s[26:27]
	v_or_b32_e32 v11, 0x80, v0
	v_cmp_gt_u32_e32 vcc, s30, v11
	s_and_saveexec_b64 s[4:5], vcc
	s_cbranch_execz .LBB6216_11
; %bb.10:
	v_mov_b32_e32 v1, s25
	v_add_co_u32_e32 v12, vcc, s24, v22
	v_addc_co_u32_e32 v13, vcc, 0, v1, vcc
	flat_load_dword v1, v[12:13] offset:512
.LBB6216_11:
	s_or_b64 exec, exec, s[4:5]
	v_or_b32_e32 v11, 0x100, v0
	v_cmp_gt_u32_e32 vcc, s30, v11
	s_and_saveexec_b64 s[4:5], vcc
	s_cbranch_execz .LBB6216_13
; %bb.12:
	v_mov_b32_e32 v2, s25
	v_add_co_u32_e32 v12, vcc, s24, v22
	v_addc_co_u32_e32 v13, vcc, 0, v2, vcc
	flat_load_dword v2, v[12:13] offset:1024
.LBB6216_13:
	;; [unrolled: 11-line block ×7, first 2 shown]
	s_or_b64 exec, exec, s[4:5]
	v_or_b32_e32 v11, 0x400, v0
	v_cmp_gt_u32_e32 vcc, s30, v11
	s_and_saveexec_b64 s[4:5], vcc
	s_cbranch_execz .LBB6216_25
; %bb.24:
	v_lshlrev_b32_e32 v8, 2, v11
	v_mov_b32_e32 v11, s25
	v_add_co_u32_e32 v12, vcc, s24, v8
	v_addc_co_u32_e32 v13, vcc, 0, v11, vcc
	flat_load_dword v8, v[12:13]
.LBB6216_25:
	s_or_b64 exec, exec, s[4:5]
	v_or_b32_e32 v11, 0x480, v0
	v_cmp_gt_u32_e32 vcc, s30, v11
	s_and_saveexec_b64 s[4:5], vcc
	s_cbranch_execz .LBB6216_27
; %bb.26:
	v_lshlrev_b32_e32 v9, 2, v11
	v_mov_b32_e32 v11, s25
	v_add_co_u32_e32 v12, vcc, s24, v9
	v_addc_co_u32_e32 v13, vcc, 0, v11, vcc
	flat_load_dword v9, v[12:13]
.LBB6216_27:
	s_or_b64 exec, exec, s[4:5]
	s_waitcnt vmcnt(0) lgkmcnt(0)
	ds_write2st64_b32 v22, v10, v1 offset1:2
	ds_write2st64_b32 v22, v2, v3 offset0:4 offset1:6
	ds_write2st64_b32 v22, v4, v5 offset0:8 offset1:10
	;; [unrolled: 1-line block ×4, first 2 shown]
	s_waitcnt lgkmcnt(0)
	s_barrier
.LBB6216_28:
	v_mul_u32_u24_e32 v23, 10, v0
	v_lshlrev_b32_e32 v1, 2, v23
	ds_read2_b64 v[16:19], v1 offset1:1
	ds_read2_b64 v[12:15], v1 offset0:2 offset1:3
	ds_read_b64 v[20:21], v1 offset:32
	s_cmp_lg_u32 s36, 0
	v_lshrrev_b32_e32 v24, 5, v0
	s_waitcnt lgkmcnt(2)
	v_add_u32_e32 v2, v17, v16
	v_add3_u32 v25, v2, v18, v19
	v_cmp_gt_u32_e32 vcc, 64, v0
	s_waitcnt lgkmcnt(0)
	s_barrier
	s_cbranch_scc0 .LBB6216_53
; %bb.29:
	v_add3_u32 v2, v25, v12, v13
	v_add3_u32 v2, v2, v14, v15
	;; [unrolled: 1-line block ×3, first 2 shown]
	v_add_lshl_u32 v3, v24, v0, 2
	ds_write_b32 v3, v2
	s_waitcnt lgkmcnt(0)
	s_barrier
	s_and_saveexec_b64 s[24:25], vcc
	s_cbranch_execz .LBB6216_31
; %bb.30:
	v_lshlrev_b32_e32 v3, 1, v0
	v_lshrrev_b32_e32 v4, 4, v0
	v_add_lshl_u32 v3, v4, v3, 2
	ds_read2_b32 v[4:5], v3 offset1:1
	v_mbcnt_lo_u32_b32 v6, -1, 0
	v_mbcnt_hi_u32_b32 v6, -1, v6
	v_and_b32_e32 v7, 15, v6
	v_cmp_ne_u32_e64 s[4:5], 0, v7
	s_waitcnt lgkmcnt(0)
	v_add_u32_e32 v5, v5, v4
	; wave barrier
	s_nop 1
	v_mov_b32_dpp v8, v5 row_shr:1 row_mask:0xf bank_mask:0xf
	v_cndmask_b32_e64 v8, 0, v8, s[4:5]
	v_add_u32_e32 v5, v8, v5
	v_cmp_lt_u32_e64 s[4:5], 1, v7
	s_nop 0
	v_mov_b32_dpp v8, v5 row_shr:2 row_mask:0xf bank_mask:0xf
	v_cndmask_b32_e64 v8, 0, v8, s[4:5]
	v_add_u32_e32 v5, v5, v8
	v_cmp_lt_u32_e64 s[4:5], 3, v7
	;; [unrolled: 5-line block ×3, first 2 shown]
	s_nop 0
	v_mov_b32_dpp v8, v5 row_shr:8 row_mask:0xf bank_mask:0xf
	v_cndmask_b32_e64 v7, 0, v8, s[4:5]
	v_add_u32_e32 v5, v5, v7
	v_bfe_i32 v8, v6, 4, 1
	v_cmp_lt_u32_e64 s[4:5], 31, v6
	v_mov_b32_dpp v7, v5 row_bcast:15 row_mask:0xf bank_mask:0xf
	v_and_b32_e32 v7, v8, v7
	v_add_u32_e32 v5, v5, v7
	v_and_b32_e32 v8, 64, v6
	s_nop 0
	v_mov_b32_dpp v7, v5 row_bcast:31 row_mask:0xf bank_mask:0xf
	v_cndmask_b32_e64 v7, 0, v7, s[4:5]
	v_add_u32_e32 v5, v5, v7
	v_add_u32_e32 v7, -1, v6
	v_cmp_lt_i32_e64 s[4:5], v7, v8
	v_cndmask_b32_e64 v6, v7, v6, s[4:5]
	v_lshlrev_b32_e32 v6, 2, v6
	ds_bpermute_b32 v5, v6, v5
	s_waitcnt lgkmcnt(0)
	v_add_u32_e32 v4, v5, v4
	v_cndmask_b32_e64 v2, v4, v2, s[0:1]
	ds_write_b32 v3, v2
	; wave barrier
	ds_read_b32 v4, v3 offset:4
	s_waitcnt lgkmcnt(0)
	v_add_u32_e32 v2, v4, v2
	ds_write_b32 v3, v2 offset:4
.LBB6216_31:
	s_or_b64 exec, exec, s[24:25]
	v_mov_b32_e32 v26, 0
	s_waitcnt lgkmcnt(0)
	s_barrier
	s_and_saveexec_b64 s[4:5], s[2:3]
	s_cbranch_execz .LBB6216_33
; %bb.32:
	v_add_u32_e32 v2, -1, v0
	v_lshrrev_b32_e32 v3, 5, v2
	v_add_lshl_u32 v2, v3, v2, 2
	ds_read_b32 v26, v2
.LBB6216_33:
	s_or_b64 exec, exec, s[4:5]
	s_and_saveexec_b64 s[24:25], vcc
	s_cbranch_execz .LBB6216_52
; %bb.34:
	v_mov_b32_e32 v9, 0
	ds_read_b32 v2, v9 offset:520
	v_mbcnt_lo_u32_b32 v3, -1, 0
	v_mbcnt_hi_u32_b32 v5, -1, v3
	s_mov_b32 s29, 0
	v_cmp_eq_u32_e64 s[4:5], 0, v5
	s_and_saveexec_b64 s[26:27], s[4:5]
	s_cbranch_execz .LBB6216_36
; %bb.35:
	s_add_i32 s28, s36, 64
	s_lshl_b64 s[28:29], s[28:29], 3
	s_add_u32 s28, s6, s28
	v_mov_b32_e32 v3, 1
	s_addc_u32 s29, s7, s29
	s_waitcnt lgkmcnt(0)
	global_store_dwordx2 v9, v[2:3], s[28:29]
.LBB6216_36:
	s_or_b64 exec, exec, s[26:27]
	v_xad_u32 v4, v5, -1, s36
	v_add_u32_e32 v8, 64, v4
	v_lshlrev_b64 v[6:7], 3, v[8:9]
	v_mov_b32_e32 v3, s7
	v_add_co_u32_e32 v10, vcc, s6, v6
	v_addc_co_u32_e32 v11, vcc, v3, v7, vcc
	global_load_dwordx2 v[6:7], v[10:11], off glc
	s_waitcnt vmcnt(0)
	v_cmp_eq_u16_sdwa s[28:29], v7, v9 src0_sel:BYTE_0 src1_sel:DWORD
	s_and_saveexec_b64 s[26:27], s[28:29]
	s_cbranch_execz .LBB6216_40
; %bb.37:
	s_mov_b64 s[28:29], 0
	v_mov_b32_e32 v3, 0
.LBB6216_38:                            ; =>This Inner Loop Header: Depth=1
	global_load_dwordx2 v[6:7], v[10:11], off glc
	s_waitcnt vmcnt(0)
	v_cmp_ne_u16_sdwa s[38:39], v7, v3 src0_sel:BYTE_0 src1_sel:DWORD
	s_or_b64 s[28:29], s[38:39], s[28:29]
	s_andn2_b64 exec, exec, s[28:29]
	s_cbranch_execnz .LBB6216_38
; %bb.39:
	s_or_b64 exec, exec, s[28:29]
.LBB6216_40:
	s_or_b64 exec, exec, s[26:27]
	v_and_b32_e32 v27, 63, v5
	v_mov_b32_e32 v3, 2
	v_cmp_ne_u32_e32 vcc, 63, v27
	v_cmp_eq_u16_sdwa s[26:27], v7, v3 src0_sel:BYTE_0 src1_sel:DWORD
	v_lshlrev_b64 v[8:9], v5, -1
	v_addc_co_u32_e32 v28, vcc, 0, v5, vcc
	v_and_b32_e32 v10, s27, v9
	v_lshlrev_b32_e32 v28, 2, v28
	v_or_b32_e32 v10, 0x80000000, v10
	ds_bpermute_b32 v29, v28, v6
	v_and_b32_e32 v11, s26, v8
	v_ffbl_b32_e32 v10, v10
	v_add_u32_e32 v10, 32, v10
	v_ffbl_b32_e32 v11, v11
	v_min_u32_e32 v10, v11, v10
	v_cmp_lt_u32_e32 vcc, v27, v10
	s_waitcnt lgkmcnt(0)
	v_cndmask_b32_e32 v11, 0, v29, vcc
	v_cmp_gt_u32_e32 vcc, 62, v27
	v_add_u32_e32 v6, v11, v6
	v_cndmask_b32_e64 v11, 0, 1, vcc
	v_lshlrev_b32_e32 v11, 1, v11
	v_add_lshl_u32 v29, v11, v5, 2
	ds_bpermute_b32 v11, v29, v6
	v_add_u32_e32 v30, 2, v27
	v_cmp_le_u32_e32 vcc, v30, v10
	v_add_u32_e32 v32, 4, v27
	v_add_u32_e32 v34, 8, v27
	s_waitcnt lgkmcnt(0)
	v_cndmask_b32_e32 v11, 0, v11, vcc
	v_cmp_gt_u32_e32 vcc, 60, v27
	v_add_u32_e32 v6, v6, v11
	v_cndmask_b32_e64 v11, 0, 1, vcc
	v_lshlrev_b32_e32 v11, 2, v11
	v_add_lshl_u32 v31, v11, v5, 2
	ds_bpermute_b32 v11, v31, v6
	v_cmp_le_u32_e32 vcc, v32, v10
	v_add_u32_e32 v37, 16, v27
	v_add_u32_e32 v39, 32, v27
	s_waitcnt lgkmcnt(0)
	v_cndmask_b32_e32 v11, 0, v11, vcc
	v_cmp_gt_u32_e32 vcc, 56, v27
	v_add_u32_e32 v6, v6, v11
	v_cndmask_b32_e64 v11, 0, 1, vcc
	v_lshlrev_b32_e32 v11, 3, v11
	v_add_lshl_u32 v33, v11, v5, 2
	ds_bpermute_b32 v11, v33, v6
	v_cmp_le_u32_e32 vcc, v34, v10
	s_waitcnt lgkmcnt(0)
	v_cndmask_b32_e32 v11, 0, v11, vcc
	v_cmp_gt_u32_e32 vcc, 48, v27
	v_add_u32_e32 v6, v6, v11
	v_cndmask_b32_e64 v11, 0, 1, vcc
	v_lshlrev_b32_e32 v11, 4, v11
	v_add_lshl_u32 v36, v11, v5, 2
	ds_bpermute_b32 v11, v36, v6
	v_cmp_le_u32_e32 vcc, v37, v10
	;; [unrolled: 9-line block ×3, first 2 shown]
	s_waitcnt lgkmcnt(0)
	v_cndmask_b32_e32 v5, 0, v5, vcc
	v_add_u32_e32 v6, v6, v5
	v_mov_b32_e32 v5, 0
	s_branch .LBB6216_42
.LBB6216_41:                            ;   in Loop: Header=BB6216_42 Depth=1
	s_or_b64 exec, exec, s[26:27]
	v_cmp_eq_u16_sdwa s[26:27], v7, v3 src0_sel:BYTE_0 src1_sel:DWORD
	v_and_b32_e32 v10, s27, v9
	v_or_b32_e32 v10, 0x80000000, v10
	ds_bpermute_b32 v40, v28, v6
	v_and_b32_e32 v11, s26, v8
	v_ffbl_b32_e32 v10, v10
	v_add_u32_e32 v10, 32, v10
	v_ffbl_b32_e32 v11, v11
	v_min_u32_e32 v10, v11, v10
	v_cmp_lt_u32_e32 vcc, v27, v10
	s_waitcnt lgkmcnt(0)
	v_cndmask_b32_e32 v11, 0, v40, vcc
	v_add_u32_e32 v6, v11, v6
	ds_bpermute_b32 v11, v29, v6
	v_cmp_le_u32_e32 vcc, v30, v10
	v_subrev_u32_e32 v4, 64, v4
	s_waitcnt lgkmcnt(0)
	v_cndmask_b32_e32 v11, 0, v11, vcc
	v_add_u32_e32 v6, v6, v11
	ds_bpermute_b32 v11, v31, v6
	v_cmp_le_u32_e32 vcc, v32, v10
	s_waitcnt lgkmcnt(0)
	v_cndmask_b32_e32 v11, 0, v11, vcc
	v_add_u32_e32 v6, v6, v11
	ds_bpermute_b32 v11, v33, v6
	v_cmp_le_u32_e32 vcc, v34, v10
	;; [unrolled: 5-line block ×4, first 2 shown]
	s_waitcnt lgkmcnt(0)
	v_cndmask_b32_e32 v10, 0, v11, vcc
	v_add3_u32 v6, v10, v35, v6
.LBB6216_42:                            ; =>This Loop Header: Depth=1
                                        ;     Child Loop BB6216_45 Depth 2
	v_cmp_ne_u16_sdwa s[26:27], v7, v3 src0_sel:BYTE_0 src1_sel:DWORD
	v_cndmask_b32_e64 v7, 0, 1, s[26:27]
	;;#ASMSTART
	;;#ASMEND
	v_cmp_ne_u32_e32 vcc, 0, v7
	s_cmp_lg_u64 vcc, exec
	v_mov_b32_e32 v35, v6
	s_cbranch_scc1 .LBB6216_47
; %bb.43:                               ;   in Loop: Header=BB6216_42 Depth=1
	v_lshlrev_b64 v[6:7], 3, v[4:5]
	v_mov_b32_e32 v11, s7
	v_add_co_u32_e32 v10, vcc, s6, v6
	v_addc_co_u32_e32 v11, vcc, v11, v7, vcc
	global_load_dwordx2 v[6:7], v[10:11], off glc
	s_waitcnt vmcnt(0)
	v_cmp_eq_u16_sdwa s[28:29], v7, v5 src0_sel:BYTE_0 src1_sel:DWORD
	s_and_saveexec_b64 s[26:27], s[28:29]
	s_cbranch_execz .LBB6216_41
; %bb.44:                               ;   in Loop: Header=BB6216_42 Depth=1
	s_mov_b64 s[28:29], 0
.LBB6216_45:                            ;   Parent Loop BB6216_42 Depth=1
                                        ; =>  This Inner Loop Header: Depth=2
	global_load_dwordx2 v[6:7], v[10:11], off glc
	s_waitcnt vmcnt(0)
	v_cmp_ne_u16_sdwa s[38:39], v7, v5 src0_sel:BYTE_0 src1_sel:DWORD
	s_or_b64 s[28:29], s[38:39], s[28:29]
	s_andn2_b64 exec, exec, s[28:29]
	s_cbranch_execnz .LBB6216_45
; %bb.46:                               ;   in Loop: Header=BB6216_42 Depth=1
	s_or_b64 exec, exec, s[28:29]
	s_branch .LBB6216_41
.LBB6216_47:                            ;   in Loop: Header=BB6216_42 Depth=1
                                        ; implicit-def: $vgpr6
                                        ; implicit-def: $vgpr7
	s_cbranch_execz .LBB6216_42
; %bb.48:
	s_and_saveexec_b64 s[26:27], s[4:5]
	s_cbranch_execz .LBB6216_50
; %bb.49:
	s_add_i32 s4, s36, 64
	s_mov_b32 s5, 0
	s_lshl_b64 s[4:5], s[4:5], 3
	s_add_u32 s4, s6, s4
	v_add_u32_e32 v2, v35, v2
	v_mov_b32_e32 v3, 2
	s_addc_u32 s5, s7, s5
	v_mov_b32_e32 v4, 0
	global_store_dwordx2 v4, v[2:3], s[4:5]
.LBB6216_50:
	s_or_b64 exec, exec, s[26:27]
	s_and_b64 exec, exec, s[0:1]
	s_cbranch_execz .LBB6216_52
; %bb.51:
	v_mov_b32_e32 v2, 0
	ds_write_b32 v2, v35
.LBB6216_52:
	s_or_b64 exec, exec, s[24:25]
	v_mov_b32_e32 v2, 0
	s_waitcnt lgkmcnt(0)
	s_barrier
	ds_read_b32 v2, v2
	s_waitcnt lgkmcnt(0)
	v_add_u32_e32 v2, v2, v26
	v_add_u32_e32 v3, v2, v16
	;; [unrolled: 1-line block ×10, first 2 shown]
	s_branch .LBB6216_63
.LBB6216_53:
                                        ; implicit-def: $vgpr2_vgpr3_vgpr4_vgpr5_vgpr6_vgpr7_vgpr8_vgpr9_vgpr10_vgpr11
	s_cbranch_execz .LBB6216_63
; %bb.54:
	s_cmp_eq_u64 s[12:13], 0
	v_mov_b32_e32 v26, s33
	s_cbranch_scc1 .LBB6216_56
; %bb.55:
	v_mov_b32_e32 v3, s35
	v_add_co_u32_e64 v2, vcc, -4, s34
	v_addc_co_u32_e32 v3, vcc, -1, v3, vcc
	v_mov_b32_e32 v4, 0
	flat_load_dword v5, v[2:3]
	global_load_dword v6, v4, s[8:9]
	s_waitcnt vmcnt(0) lgkmcnt(0)
	v_add_u32_e32 v26, v6, v5
.LBB6216_56:
	v_add3_u32 v2, v25, v12, v13
	v_add3_u32 v2, v2, v14, v15
	;; [unrolled: 1-line block ×3, first 2 shown]
	v_add_lshl_u32 v3, v24, v0, 2
	v_cmp_gt_u32_e32 vcc, 64, v0
	ds_write_b32 v3, v2
	s_waitcnt lgkmcnt(0)
	s_barrier
	s_and_saveexec_b64 s[4:5], vcc
	s_cbranch_execz .LBB6216_58
; %bb.57:
	v_lshlrev_b32_e32 v3, 1, v0
	v_lshrrev_b32_e32 v4, 4, v0
	v_add_lshl_u32 v3, v4, v3, 2
	ds_read2_b32 v[4:5], v3 offset1:1
	v_mbcnt_lo_u32_b32 v6, -1, 0
	v_mbcnt_hi_u32_b32 v6, -1, v6
	v_and_b32_e32 v7, 15, v6
	v_cmp_ne_u32_e32 vcc, 0, v7
	s_waitcnt lgkmcnt(0)
	v_add_u32_e32 v5, v5, v4
	; wave barrier
	s_nop 1
	v_mov_b32_dpp v8, v5 row_shr:1 row_mask:0xf bank_mask:0xf
	v_cndmask_b32_e32 v8, 0, v8, vcc
	v_add_u32_e32 v5, v8, v5
	v_cmp_lt_u32_e32 vcc, 1, v7
	s_nop 0
	v_mov_b32_dpp v8, v5 row_shr:2 row_mask:0xf bank_mask:0xf
	v_cndmask_b32_e32 v8, 0, v8, vcc
	v_add_u32_e32 v5, v5, v8
	v_cmp_lt_u32_e32 vcc, 3, v7
	;; [unrolled: 5-line block ×3, first 2 shown]
	s_nop 0
	v_mov_b32_dpp v8, v5 row_shr:8 row_mask:0xf bank_mask:0xf
	v_cndmask_b32_e32 v7, 0, v8, vcc
	v_add_u32_e32 v5, v5, v7
	v_bfe_i32 v8, v6, 4, 1
	v_cmp_lt_u32_e32 vcc, 31, v6
	v_mov_b32_dpp v7, v5 row_bcast:15 row_mask:0xf bank_mask:0xf
	v_and_b32_e32 v7, v8, v7
	v_add_u32_e32 v5, v5, v7
	v_and_b32_e32 v8, 64, v6
	s_nop 0
	v_mov_b32_dpp v7, v5 row_bcast:31 row_mask:0xf bank_mask:0xf
	v_cndmask_b32_e32 v7, 0, v7, vcc
	v_add_u32_e32 v5, v5, v7
	v_add_u32_e32 v7, -1, v6
	v_cmp_lt_i32_e32 vcc, v7, v8
	v_cndmask_b32_e32 v6, v7, v6, vcc
	v_lshlrev_b32_e32 v6, 2, v6
	ds_bpermute_b32 v5, v6, v5
	s_waitcnt lgkmcnt(0)
	v_add_u32_e32 v4, v5, v4
	v_cndmask_b32_e64 v2, v4, v2, s[0:1]
	ds_write_b32 v3, v2
	; wave barrier
	ds_read_b32 v4, v3 offset:4
	s_waitcnt lgkmcnt(0)
	v_add_u32_e32 v2, v4, v2
	ds_write_b32 v3, v2 offset:4
.LBB6216_58:
	s_or_b64 exec, exec, s[4:5]
	v_mov_b32_e32 v2, v26
	s_waitcnt lgkmcnt(0)
	s_barrier
	s_and_saveexec_b64 s[4:5], s[2:3]
	s_cbranch_execz .LBB6216_60
; %bb.59:
	v_add_u32_e32 v2, -1, v0
	v_lshrrev_b32_e32 v3, 5, v2
	v_add_lshl_u32 v2, v3, v2, 2
	ds_read_b32 v2, v2
	s_waitcnt lgkmcnt(0)
	v_add_u32_e32 v2, v2, v26
.LBB6216_60:
	s_or_b64 exec, exec, s[4:5]
	v_add_u32_e32 v3, v2, v16
	v_add_u32_e32 v4, v3, v17
	v_add_u32_e32 v5, v4, v18
	v_add_u32_e32 v6, v5, v19
	v_add_u32_e32 v7, v6, v12
	v_add_u32_e32 v8, v7, v13
	v_add_u32_e32 v9, v8, v14
	v_add_u32_e32 v10, v9, v15
	v_add_u32_e32 v11, v10, v20
	s_and_saveexec_b64 s[2:3], s[0:1]
	s_cbranch_execz .LBB6216_62
; %bb.61:
	v_mov_b32_e32 v14, 0
	ds_read_b32 v12, v14 offset:520
	v_mov_b32_e32 v13, 2
	s_waitcnt lgkmcnt(0)
	v_add_u32_e32 v12, v12, v26
	global_store_dwordx2 v14, v[12:13], s[6:7] offset:512
.LBB6216_62:
	s_or_b64 exec, exec, s[2:3]
.LBB6216_63:
	s_add_u32 s0, s20, s18
	s_addc_u32 s1, s21, s19
	s_add_u32 s2, s0, s22
	s_addc_u32 s3, s1, s23
	s_mov_b64 s[0:1], -1
	s_and_b64 vcc, exec, s[16:17]
	s_barrier
	s_cbranch_vccz .LBB6216_65
; %bb.64:
	ds_write2_b64 v1, v[2:3], v[4:5] offset1:1
	ds_write2_b64 v1, v[6:7], v[8:9] offset0:2 offset1:3
	ds_write_b64 v1, v[10:11] offset:32
	s_waitcnt lgkmcnt(0)
	s_barrier
	ds_read2st64_b32 v[12:13], v22 offset1:2
	ds_read2st64_b32 v[14:15], v22 offset0:4 offset1:6
	ds_read2st64_b32 v[16:17], v22 offset0:8 offset1:10
	;; [unrolled: 1-line block ×4, first 2 shown]
	s_waitcnt lgkmcnt(4)
	v_cvt_f32_i32_e32 v12, v12
	v_cvt_f32_i32_e32 v13, v13
	v_mov_b32_e32 v25, s3
	v_add_co_u32_e32 v24, vcc, s2, v22
	s_waitcnt lgkmcnt(3)
	v_cvt_f32_i32_e32 v14, v14
	v_addc_co_u32_e32 v25, vcc, 0, v25, vcc
	v_cvt_f32_i32_e32 v15, v15
	flat_store_dword v[24:25], v12
	flat_store_dword v[24:25], v13 offset:512
	flat_store_dword v[24:25], v14 offset:1024
	;; [unrolled: 1-line block ×3, first 2 shown]
	s_waitcnt lgkmcnt(0)
	v_cvt_f32_i32_e32 v12, v16
	v_cvt_f32_i32_e32 v13, v17
	;; [unrolled: 1-line block ×4, first 2 shown]
	flat_store_dword v[24:25], v12 offset:2048
	flat_store_dword v[24:25], v13 offset:2560
	;; [unrolled: 1-line block ×4, first 2 shown]
	v_cvt_f32_i32_e32 v14, v20
	v_cvt_f32_i32_e32 v15, v21
	v_add_co_u32_e32 v12, vcc, 0x1000, v24
	v_addc_co_u32_e32 v13, vcc, 0, v25, vcc
	flat_store_dword v[12:13], v14
	flat_store_dword v[12:13], v15 offset:512
	s_mov_b64 s[0:1], 0
.LBB6216_65:
	s_andn2_b64 vcc, exec, s[0:1]
	s_cbranch_vccnz .LBB6216_121
; %bb.66:
	ds_write2_b64 v1, v[2:3], v[4:5] offset1:1
	ds_write2_b64 v1, v[6:7], v[8:9] offset0:2 offset1:3
	ds_write_b64 v1, v[10:11] offset:32
	s_waitcnt lgkmcnt(0)
	s_barrier
	ds_read2st64_b32 v[2:3], v22 offset1:2
	ds_read2st64_b32 v[6:7], v22 offset0:4 offset1:6
	ds_read2st64_b32 v[4:5], v22 offset0:8 offset1:10
	;; [unrolled: 1-line block ×4, first 2 shown]
	v_mov_b32_e32 v13, s3
	v_add_co_u32_e32 v12, vcc, s2, v22
	v_addc_co_u32_e32 v13, vcc, 0, v13, vcc
	v_mov_b32_e32 v1, 0
	v_cmp_gt_u32_e32 vcc, s30, v0
	s_and_saveexec_b64 s[0:1], vcc
	s_cbranch_execz .LBB6216_68
; %bb.67:
	s_waitcnt lgkmcnt(0)
	v_cvt_f32_i32_e32 v14, v2
	flat_store_dword v[12:13], v14
.LBB6216_68:
	s_or_b64 exec, exec, s[0:1]
	v_or_b32_e32 v14, 0x80, v0
	v_cmp_gt_u32_e32 vcc, s30, v14
	s_and_saveexec_b64 s[0:1], vcc
	s_cbranch_execz .LBB6216_70
; %bb.69:
	s_waitcnt lgkmcnt(0)
	v_cvt_f32_i32_e32 v14, v3
	flat_store_dword v[12:13], v14 offset:512
.LBB6216_70:
	s_or_b64 exec, exec, s[0:1]
	v_or_b32_e32 v14, 0x100, v0
	v_cmp_gt_u32_e32 vcc, s30, v14
	s_and_saveexec_b64 s[0:1], vcc
	s_cbranch_execz .LBB6216_72
; %bb.71:
	s_waitcnt lgkmcnt(0)
	v_cvt_f32_i32_e32 v14, v6
	flat_store_dword v[12:13], v14 offset:1024
.LBB6216_72:
	;; [unrolled: 10-line block ×7, first 2 shown]
	s_or_b64 exec, exec, s[0:1]
	v_or_b32_e32 v14, 0x400, v0
	v_cmp_gt_u32_e32 vcc, s30, v14
	s_and_saveexec_b64 s[0:1], vcc
	s_cbranch_execz .LBB6216_84
; %bb.83:
	s_waitcnt lgkmcnt(0)
	v_cvt_f32_i32_e32 v16, v10
	v_add_co_u32_e32 v14, vcc, 0x1000, v12
	v_addc_co_u32_e32 v15, vcc, 0, v13, vcc
	flat_store_dword v[14:15], v16
.LBB6216_84:
	s_or_b64 exec, exec, s[0:1]
	v_or_b32_e32 v14, 0x480, v0
	v_cmp_gt_u32_e32 vcc, s30, v14
	s_and_saveexec_b64 s[0:1], vcc
	s_cbranch_execz .LBB6216_86
; %bb.85:
	s_waitcnt lgkmcnt(0)
	v_cvt_f32_i32_e32 v14, v11
	v_add_co_u32_e32 v12, vcc, 0x1000, v12
	v_addc_co_u32_e32 v13, vcc, 0, v13, vcc
	flat_store_dword v[12:13], v14 offset:512
.LBB6216_86:
	s_or_b64 exec, exec, s[0:1]
	v_cmp_lt_u64_e64 s[0:1], s[14:15], 2
	s_and_b64 vcc, exec, s[0:1]
	s_cbranch_vccnz .LBB6216_121
; %bb.87:
	s_add_u32 s0, s30, -1
	s_addc_u32 s1, s31, -1
	s_add_u32 s2, 0, 0x99986000
	s_addc_u32 s3, 0, 0x59
	s_add_i32 s3, s3, 0x19999940
	s_mul_hi_u32 s7, s2, -10
	s_sub_i32 s7, s7, s2
	s_mul_i32 s8, s3, -10
	s_mul_i32 s4, s2, -10
	s_add_i32 s7, s7, s8
	s_mul_hi_u32 s5, s3, s4
	s_mul_i32 s6, s3, s4
	s_mul_i32 s9, s2, s7
	s_mul_hi_u32 s4, s2, s4
	s_mul_hi_u32 s8, s2, s7
	s_add_u32 s4, s4, s9
	s_addc_u32 s8, 0, s8
	s_add_u32 s4, s4, s6
	s_mul_hi_u32 s9, s3, s7
	s_addc_u32 s4, s8, s5
	s_addc_u32 s5, s9, 0
	s_mul_i32 s6, s3, s7
	s_add_u32 s4, s4, s6
	v_mov_b32_e32 v12, s4
	s_addc_u32 s5, 0, s5
	v_add_co_u32_e32 v12, vcc, s2, v12
	s_cmp_lg_u64 vcc, 0
	s_addc_u32 s2, s3, s5
	v_readfirstlane_b32 s5, v12
	s_mul_i32 s4, s0, s2
	s_mul_hi_u32 s6, s0, s5
	s_mul_hi_u32 s3, s0, s2
	s_add_u32 s4, s6, s4
	s_addc_u32 s3, 0, s3
	s_mul_hi_u32 s7, s1, s5
	s_mul_i32 s5, s1, s5
	s_add_u32 s4, s4, s5
	s_mul_hi_u32 s6, s1, s2
	s_addc_u32 s3, s3, s7
	s_addc_u32 s4, s6, 0
	s_mul_i32 s2, s1, s2
	s_add_u32 s2, s3, s2
	s_addc_u32 s3, 0, s4
	s_add_u32 s4, s2, 1
	s_addc_u32 s5, s3, 0
	s_add_u32 s6, s2, 2
	s_mul_i32 s8, s3, 10
	s_mul_hi_u32 s9, s2, 10
	s_addc_u32 s7, s3, 0
	s_add_i32 s9, s9, s8
	s_mul_i32 s8, s2, 10
	v_mov_b32_e32 v12, s8
	v_sub_co_u32_e32 v12, vcc, s0, v12
	s_cmp_lg_u64 vcc, 0
	s_subb_u32 s8, s1, s9
	v_subrev_co_u32_e32 v13, vcc, 10, v12
	s_cmp_lg_u64 vcc, 0
	s_subb_u32 s9, s8, 0
	v_readfirstlane_b32 s12, v13
	s_cmp_gt_u32 s12, 9
	s_cselect_b32 s12, -1, 0
	s_cmp_eq_u32 s9, 0
	s_cselect_b32 s9, s12, -1
	s_cmp_lg_u32 s9, 0
	s_cselect_b32 s4, s6, s4
	v_readfirstlane_b32 s6, v12
	s_cselect_b32 s5, s7, s5
	s_cmp_gt_u32 s6, 9
	s_cselect_b32 s6, -1, 0
	s_cmp_eq_u32 s8, 0
	s_cselect_b32 s6, s6, -1
	s_cmp_lg_u32 s6, 0
	s_cselect_b32 s3, s5, s3
	s_cselect_b32 s2, s4, s2
	v_cmp_eq_u64_e32 vcc, s[2:3], v[0:1]
	s_and_saveexec_b64 s[2:3], vcc
	s_cbranch_execz .LBB6216_121
; %bb.88:
	v_mul_hi_u32_u24_e32 v1, 10, v0
	v_mov_b32_e32 v12, s1
	v_sub_co_u32_e32 v0, vcc, s0, v23
	v_subb_co_u32_e32 v1, vcc, v12, v1, vcc
	v_cmp_lt_i64_e32 vcc, 4, v[0:1]
	s_and_saveexec_b64 s[0:1], vcc
	s_xor_b64 s[0:1], exec, s[0:1]
	s_cbranch_execz .LBB6216_106
; %bb.89:
	v_cmp_lt_i64_e32 vcc, 6, v[0:1]
	s_and_saveexec_b64 s[2:3], vcc
	s_xor_b64 s[2:3], exec, s[2:3]
	s_cbranch_execz .LBB6216_99
; %bb.90:
	;; [unrolled: 5-line block ×4, first 2 shown]
	v_mov_b32_e32 v0, 0
	s_waitcnt lgkmcnt(0)
	global_store_dword v0, v11, s[10:11]
                                        ; implicit-def: $vgpr10_vgpr11
.LBB6216_93:
	s_andn2_saveexec_b64 s[6:7], s[6:7]
	s_cbranch_execz .LBB6216_95
; %bb.94:
	v_mov_b32_e32 v0, 0
	s_waitcnt lgkmcnt(0)
	global_store_dword v0, v10, s[10:11]
.LBB6216_95:
	s_or_b64 exec, exec, s[6:7]
                                        ; implicit-def: $vgpr8_vgpr9
.LBB6216_96:
	s_andn2_saveexec_b64 s[4:5], s[4:5]
	s_cbranch_execz .LBB6216_98
; %bb.97:
	v_mov_b32_e32 v0, 0
	s_waitcnt lgkmcnt(0)
	global_store_dword v0, v9, s[10:11]
.LBB6216_98:
	s_or_b64 exec, exec, s[4:5]
                                        ; implicit-def: $vgpr4_vgpr5
                                        ; implicit-def: $vgpr0_vgpr1
                                        ; implicit-def: $vgpr8_vgpr9
.LBB6216_99:
	s_andn2_saveexec_b64 s[2:3], s[2:3]
	s_cbranch_execz .LBB6216_105
; %bb.100:
	v_cmp_lt_i64_e32 vcc, 5, v[0:1]
	s_and_saveexec_b64 s[4:5], vcc
	s_xor_b64 s[4:5], exec, s[4:5]
	s_cbranch_execz .LBB6216_102
; %bb.101:
	v_mov_b32_e32 v0, 0
	s_waitcnt lgkmcnt(0)
	global_store_dword v0, v8, s[10:11]
                                        ; implicit-def: $vgpr4_vgpr5
.LBB6216_102:
	s_andn2_saveexec_b64 s[4:5], s[4:5]
	s_cbranch_execz .LBB6216_104
; %bb.103:
	v_mov_b32_e32 v0, 0
	s_waitcnt lgkmcnt(0)
	global_store_dword v0, v5, s[10:11]
.LBB6216_104:
	s_or_b64 exec, exec, s[4:5]
.LBB6216_105:
	s_or_b64 exec, exec, s[2:3]
                                        ; implicit-def: $vgpr0_vgpr1
                                        ; implicit-def: $vgpr6_vgpr7
                                        ; implicit-def: $vgpr2_vgpr3
                                        ; implicit-def: $vgpr4_vgpr5
.LBB6216_106:
	s_andn2_saveexec_b64 s[0:1], s[0:1]
	s_cbranch_execz .LBB6216_121
; %bb.107:
	v_cmp_lt_i64_e32 vcc, 2, v[0:1]
	s_and_saveexec_b64 s[0:1], vcc
	s_xor_b64 s[0:1], exec, s[0:1]
	s_cbranch_execz .LBB6216_113
; %bb.108:
	v_cmp_lt_i64_e32 vcc, 3, v[0:1]
	s_and_saveexec_b64 s[2:3], vcc
	s_xor_b64 s[2:3], exec, s[2:3]
	s_cbranch_execz .LBB6216_110
; %bb.109:
	v_mov_b32_e32 v0, 0
	s_waitcnt lgkmcnt(0)
	global_store_dword v0, v4, s[10:11]
                                        ; implicit-def: $vgpr6_vgpr7
.LBB6216_110:
	s_andn2_saveexec_b64 s[2:3], s[2:3]
	s_cbranch_execz .LBB6216_112
; %bb.111:
	v_mov_b32_e32 v0, 0
	s_waitcnt lgkmcnt(0)
	global_store_dword v0, v7, s[10:11]
.LBB6216_112:
	s_or_b64 exec, exec, s[2:3]
                                        ; implicit-def: $vgpr0_vgpr1
                                        ; implicit-def: $vgpr6_vgpr7
                                        ; implicit-def: $vgpr2_vgpr3
.LBB6216_113:
	s_andn2_saveexec_b64 s[0:1], s[0:1]
	s_cbranch_execz .LBB6216_121
; %bb.114:
	v_cmp_lt_i64_e32 vcc, 1, v[0:1]
	s_and_saveexec_b64 s[0:1], vcc
	s_xor_b64 s[0:1], exec, s[0:1]
	s_cbranch_execz .LBB6216_116
; %bb.115:
	v_mov_b32_e32 v0, 0
	s_waitcnt lgkmcnt(0)
	global_store_dword v0, v6, s[10:11]
                                        ; implicit-def: $vgpr2_vgpr3
                                        ; implicit-def: $vgpr0_vgpr1
.LBB6216_116:
	s_andn2_saveexec_b64 s[0:1], s[0:1]
	s_cbranch_execz .LBB6216_121
; %bb.117:
	v_cmp_ne_u64_e32 vcc, 1, v[0:1]
	s_and_saveexec_b64 s[0:1], vcc
	s_xor_b64 s[0:1], exec, s[0:1]
	s_cbranch_execz .LBB6216_119
; %bb.118:
	v_mov_b32_e32 v0, 0
	s_waitcnt lgkmcnt(0)
	global_store_dword v0, v2, s[10:11]
                                        ; implicit-def: $vgpr2_vgpr3
.LBB6216_119:
	s_andn2_saveexec_b64 s[0:1], s[0:1]
	s_cbranch_execz .LBB6216_121
; %bb.120:
	v_mov_b32_e32 v0, 0
	s_waitcnt lgkmcnt(0)
	global_store_dword v0, v3, s[10:11]
.LBB6216_121:
	s_endpgm
	.section	.rodata,"a",@progbits
	.p2align	6, 0x0
	.amdhsa_kernel _ZN7rocprim17ROCPRIM_400000_NS6detail17trampoline_kernelINS0_14default_configENS1_20scan_config_selectorIiEEZZNS1_9scan_implILNS1_25lookback_scan_determinismE0ELb1ELb1ES3_N6thrust23THRUST_200600_302600_NS6detail15normal_iteratorINS9_10device_ptrIjEEEENSB_INSC_IfEEEEiNS9_4plusIvEEiEEDaPvRmT3_T4_T5_mT6_P12ihipStream_tbENKUlT_T0_E_clISt17integral_constantIbLb0EESV_IbLb1EEEEDaSR_SS_EUlSR_E_NS1_11comp_targetILNS1_3genE4ELNS1_11target_archE910ELNS1_3gpuE8ELNS1_3repE0EEENS1_30default_config_static_selectorELNS0_4arch9wavefront6targetE1EEEvT1_
		.amdhsa_group_segment_fixed_size 5120
		.amdhsa_private_segment_fixed_size 0
		.amdhsa_kernarg_size 96
		.amdhsa_user_sgpr_count 6
		.amdhsa_user_sgpr_private_segment_buffer 1
		.amdhsa_user_sgpr_dispatch_ptr 0
		.amdhsa_user_sgpr_queue_ptr 0
		.amdhsa_user_sgpr_kernarg_segment_ptr 1
		.amdhsa_user_sgpr_dispatch_id 0
		.amdhsa_user_sgpr_flat_scratch_init 0
		.amdhsa_user_sgpr_kernarg_preload_length 0
		.amdhsa_user_sgpr_kernarg_preload_offset 0
		.amdhsa_user_sgpr_private_segment_size 0
		.amdhsa_uses_dynamic_stack 0
		.amdhsa_system_sgpr_private_segment_wavefront_offset 0
		.amdhsa_system_sgpr_workgroup_id_x 1
		.amdhsa_system_sgpr_workgroup_id_y 0
		.amdhsa_system_sgpr_workgroup_id_z 0
		.amdhsa_system_sgpr_workgroup_info 0
		.amdhsa_system_vgpr_workitem_id 0
		.amdhsa_next_free_vgpr 41
		.amdhsa_next_free_sgpr 40
		.amdhsa_accum_offset 44
		.amdhsa_reserve_vcc 1
		.amdhsa_reserve_flat_scratch 0
		.amdhsa_float_round_mode_32 0
		.amdhsa_float_round_mode_16_64 0
		.amdhsa_float_denorm_mode_32 3
		.amdhsa_float_denorm_mode_16_64 3
		.amdhsa_dx10_clamp 1
		.amdhsa_ieee_mode 1
		.amdhsa_fp16_overflow 0
		.amdhsa_tg_split 0
		.amdhsa_exception_fp_ieee_invalid_op 0
		.amdhsa_exception_fp_denorm_src 0
		.amdhsa_exception_fp_ieee_div_zero 0
		.amdhsa_exception_fp_ieee_overflow 0
		.amdhsa_exception_fp_ieee_underflow 0
		.amdhsa_exception_fp_ieee_inexact 0
		.amdhsa_exception_int_div_zero 0
	.end_amdhsa_kernel
	.section	.text._ZN7rocprim17ROCPRIM_400000_NS6detail17trampoline_kernelINS0_14default_configENS1_20scan_config_selectorIiEEZZNS1_9scan_implILNS1_25lookback_scan_determinismE0ELb1ELb1ES3_N6thrust23THRUST_200600_302600_NS6detail15normal_iteratorINS9_10device_ptrIjEEEENSB_INSC_IfEEEEiNS9_4plusIvEEiEEDaPvRmT3_T4_T5_mT6_P12ihipStream_tbENKUlT_T0_E_clISt17integral_constantIbLb0EESV_IbLb1EEEEDaSR_SS_EUlSR_E_NS1_11comp_targetILNS1_3genE4ELNS1_11target_archE910ELNS1_3gpuE8ELNS1_3repE0EEENS1_30default_config_static_selectorELNS0_4arch9wavefront6targetE1EEEvT1_,"axG",@progbits,_ZN7rocprim17ROCPRIM_400000_NS6detail17trampoline_kernelINS0_14default_configENS1_20scan_config_selectorIiEEZZNS1_9scan_implILNS1_25lookback_scan_determinismE0ELb1ELb1ES3_N6thrust23THRUST_200600_302600_NS6detail15normal_iteratorINS9_10device_ptrIjEEEENSB_INSC_IfEEEEiNS9_4plusIvEEiEEDaPvRmT3_T4_T5_mT6_P12ihipStream_tbENKUlT_T0_E_clISt17integral_constantIbLb0EESV_IbLb1EEEEDaSR_SS_EUlSR_E_NS1_11comp_targetILNS1_3genE4ELNS1_11target_archE910ELNS1_3gpuE8ELNS1_3repE0EEENS1_30default_config_static_selectorELNS0_4arch9wavefront6targetE1EEEvT1_,comdat
.Lfunc_end6216:
	.size	_ZN7rocprim17ROCPRIM_400000_NS6detail17trampoline_kernelINS0_14default_configENS1_20scan_config_selectorIiEEZZNS1_9scan_implILNS1_25lookback_scan_determinismE0ELb1ELb1ES3_N6thrust23THRUST_200600_302600_NS6detail15normal_iteratorINS9_10device_ptrIjEEEENSB_INSC_IfEEEEiNS9_4plusIvEEiEEDaPvRmT3_T4_T5_mT6_P12ihipStream_tbENKUlT_T0_E_clISt17integral_constantIbLb0EESV_IbLb1EEEEDaSR_SS_EUlSR_E_NS1_11comp_targetILNS1_3genE4ELNS1_11target_archE910ELNS1_3gpuE8ELNS1_3repE0EEENS1_30default_config_static_selectorELNS0_4arch9wavefront6targetE1EEEvT1_, .Lfunc_end6216-_ZN7rocprim17ROCPRIM_400000_NS6detail17trampoline_kernelINS0_14default_configENS1_20scan_config_selectorIiEEZZNS1_9scan_implILNS1_25lookback_scan_determinismE0ELb1ELb1ES3_N6thrust23THRUST_200600_302600_NS6detail15normal_iteratorINS9_10device_ptrIjEEEENSB_INSC_IfEEEEiNS9_4plusIvEEiEEDaPvRmT3_T4_T5_mT6_P12ihipStream_tbENKUlT_T0_E_clISt17integral_constantIbLb0EESV_IbLb1EEEEDaSR_SS_EUlSR_E_NS1_11comp_targetILNS1_3genE4ELNS1_11target_archE910ELNS1_3gpuE8ELNS1_3repE0EEENS1_30default_config_static_selectorELNS0_4arch9wavefront6targetE1EEEvT1_
                                        ; -- End function
	.section	.AMDGPU.csdata,"",@progbits
; Kernel info:
; codeLenInByte = 4580
; NumSgprs: 44
; NumVgprs: 41
; NumAgprs: 0
; TotalNumVgprs: 41
; ScratchSize: 0
; MemoryBound: 0
; FloatMode: 240
; IeeeMode: 1
; LDSByteSize: 5120 bytes/workgroup (compile time only)
; SGPRBlocks: 5
; VGPRBlocks: 5
; NumSGPRsForWavesPerEU: 44
; NumVGPRsForWavesPerEU: 41
; AccumOffset: 44
; Occupancy: 6
; WaveLimiterHint : 1
; COMPUTE_PGM_RSRC2:SCRATCH_EN: 0
; COMPUTE_PGM_RSRC2:USER_SGPR: 6
; COMPUTE_PGM_RSRC2:TRAP_HANDLER: 0
; COMPUTE_PGM_RSRC2:TGID_X_EN: 1
; COMPUTE_PGM_RSRC2:TGID_Y_EN: 0
; COMPUTE_PGM_RSRC2:TGID_Z_EN: 0
; COMPUTE_PGM_RSRC2:TIDIG_COMP_CNT: 0
; COMPUTE_PGM_RSRC3_GFX90A:ACCUM_OFFSET: 10
; COMPUTE_PGM_RSRC3_GFX90A:TG_SPLIT: 0
	.section	.text._ZN7rocprim17ROCPRIM_400000_NS6detail17trampoline_kernelINS0_14default_configENS1_20scan_config_selectorIiEEZZNS1_9scan_implILNS1_25lookback_scan_determinismE0ELb1ELb1ES3_N6thrust23THRUST_200600_302600_NS6detail15normal_iteratorINS9_10device_ptrIjEEEENSB_INSC_IfEEEEiNS9_4plusIvEEiEEDaPvRmT3_T4_T5_mT6_P12ihipStream_tbENKUlT_T0_E_clISt17integral_constantIbLb0EESV_IbLb1EEEEDaSR_SS_EUlSR_E_NS1_11comp_targetILNS1_3genE3ELNS1_11target_archE908ELNS1_3gpuE7ELNS1_3repE0EEENS1_30default_config_static_selectorELNS0_4arch9wavefront6targetE1EEEvT1_,"axG",@progbits,_ZN7rocprim17ROCPRIM_400000_NS6detail17trampoline_kernelINS0_14default_configENS1_20scan_config_selectorIiEEZZNS1_9scan_implILNS1_25lookback_scan_determinismE0ELb1ELb1ES3_N6thrust23THRUST_200600_302600_NS6detail15normal_iteratorINS9_10device_ptrIjEEEENSB_INSC_IfEEEEiNS9_4plusIvEEiEEDaPvRmT3_T4_T5_mT6_P12ihipStream_tbENKUlT_T0_E_clISt17integral_constantIbLb0EESV_IbLb1EEEEDaSR_SS_EUlSR_E_NS1_11comp_targetILNS1_3genE3ELNS1_11target_archE908ELNS1_3gpuE7ELNS1_3repE0EEENS1_30default_config_static_selectorELNS0_4arch9wavefront6targetE1EEEvT1_,comdat
	.protected	_ZN7rocprim17ROCPRIM_400000_NS6detail17trampoline_kernelINS0_14default_configENS1_20scan_config_selectorIiEEZZNS1_9scan_implILNS1_25lookback_scan_determinismE0ELb1ELb1ES3_N6thrust23THRUST_200600_302600_NS6detail15normal_iteratorINS9_10device_ptrIjEEEENSB_INSC_IfEEEEiNS9_4plusIvEEiEEDaPvRmT3_T4_T5_mT6_P12ihipStream_tbENKUlT_T0_E_clISt17integral_constantIbLb0EESV_IbLb1EEEEDaSR_SS_EUlSR_E_NS1_11comp_targetILNS1_3genE3ELNS1_11target_archE908ELNS1_3gpuE7ELNS1_3repE0EEENS1_30default_config_static_selectorELNS0_4arch9wavefront6targetE1EEEvT1_ ; -- Begin function _ZN7rocprim17ROCPRIM_400000_NS6detail17trampoline_kernelINS0_14default_configENS1_20scan_config_selectorIiEEZZNS1_9scan_implILNS1_25lookback_scan_determinismE0ELb1ELb1ES3_N6thrust23THRUST_200600_302600_NS6detail15normal_iteratorINS9_10device_ptrIjEEEENSB_INSC_IfEEEEiNS9_4plusIvEEiEEDaPvRmT3_T4_T5_mT6_P12ihipStream_tbENKUlT_T0_E_clISt17integral_constantIbLb0EESV_IbLb1EEEEDaSR_SS_EUlSR_E_NS1_11comp_targetILNS1_3genE3ELNS1_11target_archE908ELNS1_3gpuE7ELNS1_3repE0EEENS1_30default_config_static_selectorELNS0_4arch9wavefront6targetE1EEEvT1_
	.globl	_ZN7rocprim17ROCPRIM_400000_NS6detail17trampoline_kernelINS0_14default_configENS1_20scan_config_selectorIiEEZZNS1_9scan_implILNS1_25lookback_scan_determinismE0ELb1ELb1ES3_N6thrust23THRUST_200600_302600_NS6detail15normal_iteratorINS9_10device_ptrIjEEEENSB_INSC_IfEEEEiNS9_4plusIvEEiEEDaPvRmT3_T4_T5_mT6_P12ihipStream_tbENKUlT_T0_E_clISt17integral_constantIbLb0EESV_IbLb1EEEEDaSR_SS_EUlSR_E_NS1_11comp_targetILNS1_3genE3ELNS1_11target_archE908ELNS1_3gpuE7ELNS1_3repE0EEENS1_30default_config_static_selectorELNS0_4arch9wavefront6targetE1EEEvT1_
	.p2align	8
	.type	_ZN7rocprim17ROCPRIM_400000_NS6detail17trampoline_kernelINS0_14default_configENS1_20scan_config_selectorIiEEZZNS1_9scan_implILNS1_25lookback_scan_determinismE0ELb1ELb1ES3_N6thrust23THRUST_200600_302600_NS6detail15normal_iteratorINS9_10device_ptrIjEEEENSB_INSC_IfEEEEiNS9_4plusIvEEiEEDaPvRmT3_T4_T5_mT6_P12ihipStream_tbENKUlT_T0_E_clISt17integral_constantIbLb0EESV_IbLb1EEEEDaSR_SS_EUlSR_E_NS1_11comp_targetILNS1_3genE3ELNS1_11target_archE908ELNS1_3gpuE7ELNS1_3repE0EEENS1_30default_config_static_selectorELNS0_4arch9wavefront6targetE1EEEvT1_,@function
_ZN7rocprim17ROCPRIM_400000_NS6detail17trampoline_kernelINS0_14default_configENS1_20scan_config_selectorIiEEZZNS1_9scan_implILNS1_25lookback_scan_determinismE0ELb1ELb1ES3_N6thrust23THRUST_200600_302600_NS6detail15normal_iteratorINS9_10device_ptrIjEEEENSB_INSC_IfEEEEiNS9_4plusIvEEiEEDaPvRmT3_T4_T5_mT6_P12ihipStream_tbENKUlT_T0_E_clISt17integral_constantIbLb0EESV_IbLb1EEEEDaSR_SS_EUlSR_E_NS1_11comp_targetILNS1_3genE3ELNS1_11target_archE908ELNS1_3gpuE7ELNS1_3repE0EEENS1_30default_config_static_selectorELNS0_4arch9wavefront6targetE1EEEvT1_: ; @_ZN7rocprim17ROCPRIM_400000_NS6detail17trampoline_kernelINS0_14default_configENS1_20scan_config_selectorIiEEZZNS1_9scan_implILNS1_25lookback_scan_determinismE0ELb1ELb1ES3_N6thrust23THRUST_200600_302600_NS6detail15normal_iteratorINS9_10device_ptrIjEEEENSB_INSC_IfEEEEiNS9_4plusIvEEiEEDaPvRmT3_T4_T5_mT6_P12ihipStream_tbENKUlT_T0_E_clISt17integral_constantIbLb0EESV_IbLb1EEEEDaSR_SS_EUlSR_E_NS1_11comp_targetILNS1_3genE3ELNS1_11target_archE908ELNS1_3gpuE7ELNS1_3repE0EEENS1_30default_config_static_selectorELNS0_4arch9wavefront6targetE1EEEvT1_
; %bb.0:
	.section	.rodata,"a",@progbits
	.p2align	6, 0x0
	.amdhsa_kernel _ZN7rocprim17ROCPRIM_400000_NS6detail17trampoline_kernelINS0_14default_configENS1_20scan_config_selectorIiEEZZNS1_9scan_implILNS1_25lookback_scan_determinismE0ELb1ELb1ES3_N6thrust23THRUST_200600_302600_NS6detail15normal_iteratorINS9_10device_ptrIjEEEENSB_INSC_IfEEEEiNS9_4plusIvEEiEEDaPvRmT3_T4_T5_mT6_P12ihipStream_tbENKUlT_T0_E_clISt17integral_constantIbLb0EESV_IbLb1EEEEDaSR_SS_EUlSR_E_NS1_11comp_targetILNS1_3genE3ELNS1_11target_archE908ELNS1_3gpuE7ELNS1_3repE0EEENS1_30default_config_static_selectorELNS0_4arch9wavefront6targetE1EEEvT1_
		.amdhsa_group_segment_fixed_size 0
		.amdhsa_private_segment_fixed_size 0
		.amdhsa_kernarg_size 96
		.amdhsa_user_sgpr_count 6
		.amdhsa_user_sgpr_private_segment_buffer 1
		.amdhsa_user_sgpr_dispatch_ptr 0
		.amdhsa_user_sgpr_queue_ptr 0
		.amdhsa_user_sgpr_kernarg_segment_ptr 1
		.amdhsa_user_sgpr_dispatch_id 0
		.amdhsa_user_sgpr_flat_scratch_init 0
		.amdhsa_user_sgpr_kernarg_preload_length 0
		.amdhsa_user_sgpr_kernarg_preload_offset 0
		.amdhsa_user_sgpr_private_segment_size 0
		.amdhsa_uses_dynamic_stack 0
		.amdhsa_system_sgpr_private_segment_wavefront_offset 0
		.amdhsa_system_sgpr_workgroup_id_x 1
		.amdhsa_system_sgpr_workgroup_id_y 0
		.amdhsa_system_sgpr_workgroup_id_z 0
		.amdhsa_system_sgpr_workgroup_info 0
		.amdhsa_system_vgpr_workitem_id 0
		.amdhsa_next_free_vgpr 1
		.amdhsa_next_free_sgpr 0
		.amdhsa_accum_offset 4
		.amdhsa_reserve_vcc 0
		.amdhsa_reserve_flat_scratch 0
		.amdhsa_float_round_mode_32 0
		.amdhsa_float_round_mode_16_64 0
		.amdhsa_float_denorm_mode_32 3
		.amdhsa_float_denorm_mode_16_64 3
		.amdhsa_dx10_clamp 1
		.amdhsa_ieee_mode 1
		.amdhsa_fp16_overflow 0
		.amdhsa_tg_split 0
		.amdhsa_exception_fp_ieee_invalid_op 0
		.amdhsa_exception_fp_denorm_src 0
		.amdhsa_exception_fp_ieee_div_zero 0
		.amdhsa_exception_fp_ieee_overflow 0
		.amdhsa_exception_fp_ieee_underflow 0
		.amdhsa_exception_fp_ieee_inexact 0
		.amdhsa_exception_int_div_zero 0
	.end_amdhsa_kernel
	.section	.text._ZN7rocprim17ROCPRIM_400000_NS6detail17trampoline_kernelINS0_14default_configENS1_20scan_config_selectorIiEEZZNS1_9scan_implILNS1_25lookback_scan_determinismE0ELb1ELb1ES3_N6thrust23THRUST_200600_302600_NS6detail15normal_iteratorINS9_10device_ptrIjEEEENSB_INSC_IfEEEEiNS9_4plusIvEEiEEDaPvRmT3_T4_T5_mT6_P12ihipStream_tbENKUlT_T0_E_clISt17integral_constantIbLb0EESV_IbLb1EEEEDaSR_SS_EUlSR_E_NS1_11comp_targetILNS1_3genE3ELNS1_11target_archE908ELNS1_3gpuE7ELNS1_3repE0EEENS1_30default_config_static_selectorELNS0_4arch9wavefront6targetE1EEEvT1_,"axG",@progbits,_ZN7rocprim17ROCPRIM_400000_NS6detail17trampoline_kernelINS0_14default_configENS1_20scan_config_selectorIiEEZZNS1_9scan_implILNS1_25lookback_scan_determinismE0ELb1ELb1ES3_N6thrust23THRUST_200600_302600_NS6detail15normal_iteratorINS9_10device_ptrIjEEEENSB_INSC_IfEEEEiNS9_4plusIvEEiEEDaPvRmT3_T4_T5_mT6_P12ihipStream_tbENKUlT_T0_E_clISt17integral_constantIbLb0EESV_IbLb1EEEEDaSR_SS_EUlSR_E_NS1_11comp_targetILNS1_3genE3ELNS1_11target_archE908ELNS1_3gpuE7ELNS1_3repE0EEENS1_30default_config_static_selectorELNS0_4arch9wavefront6targetE1EEEvT1_,comdat
.Lfunc_end6217:
	.size	_ZN7rocprim17ROCPRIM_400000_NS6detail17trampoline_kernelINS0_14default_configENS1_20scan_config_selectorIiEEZZNS1_9scan_implILNS1_25lookback_scan_determinismE0ELb1ELb1ES3_N6thrust23THRUST_200600_302600_NS6detail15normal_iteratorINS9_10device_ptrIjEEEENSB_INSC_IfEEEEiNS9_4plusIvEEiEEDaPvRmT3_T4_T5_mT6_P12ihipStream_tbENKUlT_T0_E_clISt17integral_constantIbLb0EESV_IbLb1EEEEDaSR_SS_EUlSR_E_NS1_11comp_targetILNS1_3genE3ELNS1_11target_archE908ELNS1_3gpuE7ELNS1_3repE0EEENS1_30default_config_static_selectorELNS0_4arch9wavefront6targetE1EEEvT1_, .Lfunc_end6217-_ZN7rocprim17ROCPRIM_400000_NS6detail17trampoline_kernelINS0_14default_configENS1_20scan_config_selectorIiEEZZNS1_9scan_implILNS1_25lookback_scan_determinismE0ELb1ELb1ES3_N6thrust23THRUST_200600_302600_NS6detail15normal_iteratorINS9_10device_ptrIjEEEENSB_INSC_IfEEEEiNS9_4plusIvEEiEEDaPvRmT3_T4_T5_mT6_P12ihipStream_tbENKUlT_T0_E_clISt17integral_constantIbLb0EESV_IbLb1EEEEDaSR_SS_EUlSR_E_NS1_11comp_targetILNS1_3genE3ELNS1_11target_archE908ELNS1_3gpuE7ELNS1_3repE0EEENS1_30default_config_static_selectorELNS0_4arch9wavefront6targetE1EEEvT1_
                                        ; -- End function
	.section	.AMDGPU.csdata,"",@progbits
; Kernel info:
; codeLenInByte = 0
; NumSgprs: 4
; NumVgprs: 0
; NumAgprs: 0
; TotalNumVgprs: 0
; ScratchSize: 0
; MemoryBound: 0
; FloatMode: 240
; IeeeMode: 1
; LDSByteSize: 0 bytes/workgroup (compile time only)
; SGPRBlocks: 0
; VGPRBlocks: 0
; NumSGPRsForWavesPerEU: 4
; NumVGPRsForWavesPerEU: 1
; AccumOffset: 4
; Occupancy: 8
; WaveLimiterHint : 0
; COMPUTE_PGM_RSRC2:SCRATCH_EN: 0
; COMPUTE_PGM_RSRC2:USER_SGPR: 6
; COMPUTE_PGM_RSRC2:TRAP_HANDLER: 0
; COMPUTE_PGM_RSRC2:TGID_X_EN: 1
; COMPUTE_PGM_RSRC2:TGID_Y_EN: 0
; COMPUTE_PGM_RSRC2:TGID_Z_EN: 0
; COMPUTE_PGM_RSRC2:TIDIG_COMP_CNT: 0
; COMPUTE_PGM_RSRC3_GFX90A:ACCUM_OFFSET: 0
; COMPUTE_PGM_RSRC3_GFX90A:TG_SPLIT: 0
	.section	.text._ZN7rocprim17ROCPRIM_400000_NS6detail17trampoline_kernelINS0_14default_configENS1_20scan_config_selectorIiEEZZNS1_9scan_implILNS1_25lookback_scan_determinismE0ELb1ELb1ES3_N6thrust23THRUST_200600_302600_NS6detail15normal_iteratorINS9_10device_ptrIjEEEENSB_INSC_IfEEEEiNS9_4plusIvEEiEEDaPvRmT3_T4_T5_mT6_P12ihipStream_tbENKUlT_T0_E_clISt17integral_constantIbLb0EESV_IbLb1EEEEDaSR_SS_EUlSR_E_NS1_11comp_targetILNS1_3genE2ELNS1_11target_archE906ELNS1_3gpuE6ELNS1_3repE0EEENS1_30default_config_static_selectorELNS0_4arch9wavefront6targetE1EEEvT1_,"axG",@progbits,_ZN7rocprim17ROCPRIM_400000_NS6detail17trampoline_kernelINS0_14default_configENS1_20scan_config_selectorIiEEZZNS1_9scan_implILNS1_25lookback_scan_determinismE0ELb1ELb1ES3_N6thrust23THRUST_200600_302600_NS6detail15normal_iteratorINS9_10device_ptrIjEEEENSB_INSC_IfEEEEiNS9_4plusIvEEiEEDaPvRmT3_T4_T5_mT6_P12ihipStream_tbENKUlT_T0_E_clISt17integral_constantIbLb0EESV_IbLb1EEEEDaSR_SS_EUlSR_E_NS1_11comp_targetILNS1_3genE2ELNS1_11target_archE906ELNS1_3gpuE6ELNS1_3repE0EEENS1_30default_config_static_selectorELNS0_4arch9wavefront6targetE1EEEvT1_,comdat
	.protected	_ZN7rocprim17ROCPRIM_400000_NS6detail17trampoline_kernelINS0_14default_configENS1_20scan_config_selectorIiEEZZNS1_9scan_implILNS1_25lookback_scan_determinismE0ELb1ELb1ES3_N6thrust23THRUST_200600_302600_NS6detail15normal_iteratorINS9_10device_ptrIjEEEENSB_INSC_IfEEEEiNS9_4plusIvEEiEEDaPvRmT3_T4_T5_mT6_P12ihipStream_tbENKUlT_T0_E_clISt17integral_constantIbLb0EESV_IbLb1EEEEDaSR_SS_EUlSR_E_NS1_11comp_targetILNS1_3genE2ELNS1_11target_archE906ELNS1_3gpuE6ELNS1_3repE0EEENS1_30default_config_static_selectorELNS0_4arch9wavefront6targetE1EEEvT1_ ; -- Begin function _ZN7rocprim17ROCPRIM_400000_NS6detail17trampoline_kernelINS0_14default_configENS1_20scan_config_selectorIiEEZZNS1_9scan_implILNS1_25lookback_scan_determinismE0ELb1ELb1ES3_N6thrust23THRUST_200600_302600_NS6detail15normal_iteratorINS9_10device_ptrIjEEEENSB_INSC_IfEEEEiNS9_4plusIvEEiEEDaPvRmT3_T4_T5_mT6_P12ihipStream_tbENKUlT_T0_E_clISt17integral_constantIbLb0EESV_IbLb1EEEEDaSR_SS_EUlSR_E_NS1_11comp_targetILNS1_3genE2ELNS1_11target_archE906ELNS1_3gpuE6ELNS1_3repE0EEENS1_30default_config_static_selectorELNS0_4arch9wavefront6targetE1EEEvT1_
	.globl	_ZN7rocprim17ROCPRIM_400000_NS6detail17trampoline_kernelINS0_14default_configENS1_20scan_config_selectorIiEEZZNS1_9scan_implILNS1_25lookback_scan_determinismE0ELb1ELb1ES3_N6thrust23THRUST_200600_302600_NS6detail15normal_iteratorINS9_10device_ptrIjEEEENSB_INSC_IfEEEEiNS9_4plusIvEEiEEDaPvRmT3_T4_T5_mT6_P12ihipStream_tbENKUlT_T0_E_clISt17integral_constantIbLb0EESV_IbLb1EEEEDaSR_SS_EUlSR_E_NS1_11comp_targetILNS1_3genE2ELNS1_11target_archE906ELNS1_3gpuE6ELNS1_3repE0EEENS1_30default_config_static_selectorELNS0_4arch9wavefront6targetE1EEEvT1_
	.p2align	8
	.type	_ZN7rocprim17ROCPRIM_400000_NS6detail17trampoline_kernelINS0_14default_configENS1_20scan_config_selectorIiEEZZNS1_9scan_implILNS1_25lookback_scan_determinismE0ELb1ELb1ES3_N6thrust23THRUST_200600_302600_NS6detail15normal_iteratorINS9_10device_ptrIjEEEENSB_INSC_IfEEEEiNS9_4plusIvEEiEEDaPvRmT3_T4_T5_mT6_P12ihipStream_tbENKUlT_T0_E_clISt17integral_constantIbLb0EESV_IbLb1EEEEDaSR_SS_EUlSR_E_NS1_11comp_targetILNS1_3genE2ELNS1_11target_archE906ELNS1_3gpuE6ELNS1_3repE0EEENS1_30default_config_static_selectorELNS0_4arch9wavefront6targetE1EEEvT1_,@function
_ZN7rocprim17ROCPRIM_400000_NS6detail17trampoline_kernelINS0_14default_configENS1_20scan_config_selectorIiEEZZNS1_9scan_implILNS1_25lookback_scan_determinismE0ELb1ELb1ES3_N6thrust23THRUST_200600_302600_NS6detail15normal_iteratorINS9_10device_ptrIjEEEENSB_INSC_IfEEEEiNS9_4plusIvEEiEEDaPvRmT3_T4_T5_mT6_P12ihipStream_tbENKUlT_T0_E_clISt17integral_constantIbLb0EESV_IbLb1EEEEDaSR_SS_EUlSR_E_NS1_11comp_targetILNS1_3genE2ELNS1_11target_archE906ELNS1_3gpuE6ELNS1_3repE0EEENS1_30default_config_static_selectorELNS0_4arch9wavefront6targetE1EEEvT1_: ; @_ZN7rocprim17ROCPRIM_400000_NS6detail17trampoline_kernelINS0_14default_configENS1_20scan_config_selectorIiEEZZNS1_9scan_implILNS1_25lookback_scan_determinismE0ELb1ELb1ES3_N6thrust23THRUST_200600_302600_NS6detail15normal_iteratorINS9_10device_ptrIjEEEENSB_INSC_IfEEEEiNS9_4plusIvEEiEEDaPvRmT3_T4_T5_mT6_P12ihipStream_tbENKUlT_T0_E_clISt17integral_constantIbLb0EESV_IbLb1EEEEDaSR_SS_EUlSR_E_NS1_11comp_targetILNS1_3genE2ELNS1_11target_archE906ELNS1_3gpuE6ELNS1_3repE0EEENS1_30default_config_static_selectorELNS0_4arch9wavefront6targetE1EEEvT1_
; %bb.0:
	.section	.rodata,"a",@progbits
	.p2align	6, 0x0
	.amdhsa_kernel _ZN7rocprim17ROCPRIM_400000_NS6detail17trampoline_kernelINS0_14default_configENS1_20scan_config_selectorIiEEZZNS1_9scan_implILNS1_25lookback_scan_determinismE0ELb1ELb1ES3_N6thrust23THRUST_200600_302600_NS6detail15normal_iteratorINS9_10device_ptrIjEEEENSB_INSC_IfEEEEiNS9_4plusIvEEiEEDaPvRmT3_T4_T5_mT6_P12ihipStream_tbENKUlT_T0_E_clISt17integral_constantIbLb0EESV_IbLb1EEEEDaSR_SS_EUlSR_E_NS1_11comp_targetILNS1_3genE2ELNS1_11target_archE906ELNS1_3gpuE6ELNS1_3repE0EEENS1_30default_config_static_selectorELNS0_4arch9wavefront6targetE1EEEvT1_
		.amdhsa_group_segment_fixed_size 0
		.amdhsa_private_segment_fixed_size 0
		.amdhsa_kernarg_size 96
		.amdhsa_user_sgpr_count 6
		.amdhsa_user_sgpr_private_segment_buffer 1
		.amdhsa_user_sgpr_dispatch_ptr 0
		.amdhsa_user_sgpr_queue_ptr 0
		.amdhsa_user_sgpr_kernarg_segment_ptr 1
		.amdhsa_user_sgpr_dispatch_id 0
		.amdhsa_user_sgpr_flat_scratch_init 0
		.amdhsa_user_sgpr_kernarg_preload_length 0
		.amdhsa_user_sgpr_kernarg_preload_offset 0
		.amdhsa_user_sgpr_private_segment_size 0
		.amdhsa_uses_dynamic_stack 0
		.amdhsa_system_sgpr_private_segment_wavefront_offset 0
		.amdhsa_system_sgpr_workgroup_id_x 1
		.amdhsa_system_sgpr_workgroup_id_y 0
		.amdhsa_system_sgpr_workgroup_id_z 0
		.amdhsa_system_sgpr_workgroup_info 0
		.amdhsa_system_vgpr_workitem_id 0
		.amdhsa_next_free_vgpr 1
		.amdhsa_next_free_sgpr 0
		.amdhsa_accum_offset 4
		.amdhsa_reserve_vcc 0
		.amdhsa_reserve_flat_scratch 0
		.amdhsa_float_round_mode_32 0
		.amdhsa_float_round_mode_16_64 0
		.amdhsa_float_denorm_mode_32 3
		.amdhsa_float_denorm_mode_16_64 3
		.amdhsa_dx10_clamp 1
		.amdhsa_ieee_mode 1
		.amdhsa_fp16_overflow 0
		.amdhsa_tg_split 0
		.amdhsa_exception_fp_ieee_invalid_op 0
		.amdhsa_exception_fp_denorm_src 0
		.amdhsa_exception_fp_ieee_div_zero 0
		.amdhsa_exception_fp_ieee_overflow 0
		.amdhsa_exception_fp_ieee_underflow 0
		.amdhsa_exception_fp_ieee_inexact 0
		.amdhsa_exception_int_div_zero 0
	.end_amdhsa_kernel
	.section	.text._ZN7rocprim17ROCPRIM_400000_NS6detail17trampoline_kernelINS0_14default_configENS1_20scan_config_selectorIiEEZZNS1_9scan_implILNS1_25lookback_scan_determinismE0ELb1ELb1ES3_N6thrust23THRUST_200600_302600_NS6detail15normal_iteratorINS9_10device_ptrIjEEEENSB_INSC_IfEEEEiNS9_4plusIvEEiEEDaPvRmT3_T4_T5_mT6_P12ihipStream_tbENKUlT_T0_E_clISt17integral_constantIbLb0EESV_IbLb1EEEEDaSR_SS_EUlSR_E_NS1_11comp_targetILNS1_3genE2ELNS1_11target_archE906ELNS1_3gpuE6ELNS1_3repE0EEENS1_30default_config_static_selectorELNS0_4arch9wavefront6targetE1EEEvT1_,"axG",@progbits,_ZN7rocprim17ROCPRIM_400000_NS6detail17trampoline_kernelINS0_14default_configENS1_20scan_config_selectorIiEEZZNS1_9scan_implILNS1_25lookback_scan_determinismE0ELb1ELb1ES3_N6thrust23THRUST_200600_302600_NS6detail15normal_iteratorINS9_10device_ptrIjEEEENSB_INSC_IfEEEEiNS9_4plusIvEEiEEDaPvRmT3_T4_T5_mT6_P12ihipStream_tbENKUlT_T0_E_clISt17integral_constantIbLb0EESV_IbLb1EEEEDaSR_SS_EUlSR_E_NS1_11comp_targetILNS1_3genE2ELNS1_11target_archE906ELNS1_3gpuE6ELNS1_3repE0EEENS1_30default_config_static_selectorELNS0_4arch9wavefront6targetE1EEEvT1_,comdat
.Lfunc_end6218:
	.size	_ZN7rocprim17ROCPRIM_400000_NS6detail17trampoline_kernelINS0_14default_configENS1_20scan_config_selectorIiEEZZNS1_9scan_implILNS1_25lookback_scan_determinismE0ELb1ELb1ES3_N6thrust23THRUST_200600_302600_NS6detail15normal_iteratorINS9_10device_ptrIjEEEENSB_INSC_IfEEEEiNS9_4plusIvEEiEEDaPvRmT3_T4_T5_mT6_P12ihipStream_tbENKUlT_T0_E_clISt17integral_constantIbLb0EESV_IbLb1EEEEDaSR_SS_EUlSR_E_NS1_11comp_targetILNS1_3genE2ELNS1_11target_archE906ELNS1_3gpuE6ELNS1_3repE0EEENS1_30default_config_static_selectorELNS0_4arch9wavefront6targetE1EEEvT1_, .Lfunc_end6218-_ZN7rocprim17ROCPRIM_400000_NS6detail17trampoline_kernelINS0_14default_configENS1_20scan_config_selectorIiEEZZNS1_9scan_implILNS1_25lookback_scan_determinismE0ELb1ELb1ES3_N6thrust23THRUST_200600_302600_NS6detail15normal_iteratorINS9_10device_ptrIjEEEENSB_INSC_IfEEEEiNS9_4plusIvEEiEEDaPvRmT3_T4_T5_mT6_P12ihipStream_tbENKUlT_T0_E_clISt17integral_constantIbLb0EESV_IbLb1EEEEDaSR_SS_EUlSR_E_NS1_11comp_targetILNS1_3genE2ELNS1_11target_archE906ELNS1_3gpuE6ELNS1_3repE0EEENS1_30default_config_static_selectorELNS0_4arch9wavefront6targetE1EEEvT1_
                                        ; -- End function
	.section	.AMDGPU.csdata,"",@progbits
; Kernel info:
; codeLenInByte = 0
; NumSgprs: 4
; NumVgprs: 0
; NumAgprs: 0
; TotalNumVgprs: 0
; ScratchSize: 0
; MemoryBound: 0
; FloatMode: 240
; IeeeMode: 1
; LDSByteSize: 0 bytes/workgroup (compile time only)
; SGPRBlocks: 0
; VGPRBlocks: 0
; NumSGPRsForWavesPerEU: 4
; NumVGPRsForWavesPerEU: 1
; AccumOffset: 4
; Occupancy: 8
; WaveLimiterHint : 0
; COMPUTE_PGM_RSRC2:SCRATCH_EN: 0
; COMPUTE_PGM_RSRC2:USER_SGPR: 6
; COMPUTE_PGM_RSRC2:TRAP_HANDLER: 0
; COMPUTE_PGM_RSRC2:TGID_X_EN: 1
; COMPUTE_PGM_RSRC2:TGID_Y_EN: 0
; COMPUTE_PGM_RSRC2:TGID_Z_EN: 0
; COMPUTE_PGM_RSRC2:TIDIG_COMP_CNT: 0
; COMPUTE_PGM_RSRC3_GFX90A:ACCUM_OFFSET: 0
; COMPUTE_PGM_RSRC3_GFX90A:TG_SPLIT: 0
	.section	.text._ZN7rocprim17ROCPRIM_400000_NS6detail17trampoline_kernelINS0_14default_configENS1_20scan_config_selectorIiEEZZNS1_9scan_implILNS1_25lookback_scan_determinismE0ELb1ELb1ES3_N6thrust23THRUST_200600_302600_NS6detail15normal_iteratorINS9_10device_ptrIjEEEENSB_INSC_IfEEEEiNS9_4plusIvEEiEEDaPvRmT3_T4_T5_mT6_P12ihipStream_tbENKUlT_T0_E_clISt17integral_constantIbLb0EESV_IbLb1EEEEDaSR_SS_EUlSR_E_NS1_11comp_targetILNS1_3genE10ELNS1_11target_archE1201ELNS1_3gpuE5ELNS1_3repE0EEENS1_30default_config_static_selectorELNS0_4arch9wavefront6targetE1EEEvT1_,"axG",@progbits,_ZN7rocprim17ROCPRIM_400000_NS6detail17trampoline_kernelINS0_14default_configENS1_20scan_config_selectorIiEEZZNS1_9scan_implILNS1_25lookback_scan_determinismE0ELb1ELb1ES3_N6thrust23THRUST_200600_302600_NS6detail15normal_iteratorINS9_10device_ptrIjEEEENSB_INSC_IfEEEEiNS9_4plusIvEEiEEDaPvRmT3_T4_T5_mT6_P12ihipStream_tbENKUlT_T0_E_clISt17integral_constantIbLb0EESV_IbLb1EEEEDaSR_SS_EUlSR_E_NS1_11comp_targetILNS1_3genE10ELNS1_11target_archE1201ELNS1_3gpuE5ELNS1_3repE0EEENS1_30default_config_static_selectorELNS0_4arch9wavefront6targetE1EEEvT1_,comdat
	.protected	_ZN7rocprim17ROCPRIM_400000_NS6detail17trampoline_kernelINS0_14default_configENS1_20scan_config_selectorIiEEZZNS1_9scan_implILNS1_25lookback_scan_determinismE0ELb1ELb1ES3_N6thrust23THRUST_200600_302600_NS6detail15normal_iteratorINS9_10device_ptrIjEEEENSB_INSC_IfEEEEiNS9_4plusIvEEiEEDaPvRmT3_T4_T5_mT6_P12ihipStream_tbENKUlT_T0_E_clISt17integral_constantIbLb0EESV_IbLb1EEEEDaSR_SS_EUlSR_E_NS1_11comp_targetILNS1_3genE10ELNS1_11target_archE1201ELNS1_3gpuE5ELNS1_3repE0EEENS1_30default_config_static_selectorELNS0_4arch9wavefront6targetE1EEEvT1_ ; -- Begin function _ZN7rocprim17ROCPRIM_400000_NS6detail17trampoline_kernelINS0_14default_configENS1_20scan_config_selectorIiEEZZNS1_9scan_implILNS1_25lookback_scan_determinismE0ELb1ELb1ES3_N6thrust23THRUST_200600_302600_NS6detail15normal_iteratorINS9_10device_ptrIjEEEENSB_INSC_IfEEEEiNS9_4plusIvEEiEEDaPvRmT3_T4_T5_mT6_P12ihipStream_tbENKUlT_T0_E_clISt17integral_constantIbLb0EESV_IbLb1EEEEDaSR_SS_EUlSR_E_NS1_11comp_targetILNS1_3genE10ELNS1_11target_archE1201ELNS1_3gpuE5ELNS1_3repE0EEENS1_30default_config_static_selectorELNS0_4arch9wavefront6targetE1EEEvT1_
	.globl	_ZN7rocprim17ROCPRIM_400000_NS6detail17trampoline_kernelINS0_14default_configENS1_20scan_config_selectorIiEEZZNS1_9scan_implILNS1_25lookback_scan_determinismE0ELb1ELb1ES3_N6thrust23THRUST_200600_302600_NS6detail15normal_iteratorINS9_10device_ptrIjEEEENSB_INSC_IfEEEEiNS9_4plusIvEEiEEDaPvRmT3_T4_T5_mT6_P12ihipStream_tbENKUlT_T0_E_clISt17integral_constantIbLb0EESV_IbLb1EEEEDaSR_SS_EUlSR_E_NS1_11comp_targetILNS1_3genE10ELNS1_11target_archE1201ELNS1_3gpuE5ELNS1_3repE0EEENS1_30default_config_static_selectorELNS0_4arch9wavefront6targetE1EEEvT1_
	.p2align	8
	.type	_ZN7rocprim17ROCPRIM_400000_NS6detail17trampoline_kernelINS0_14default_configENS1_20scan_config_selectorIiEEZZNS1_9scan_implILNS1_25lookback_scan_determinismE0ELb1ELb1ES3_N6thrust23THRUST_200600_302600_NS6detail15normal_iteratorINS9_10device_ptrIjEEEENSB_INSC_IfEEEEiNS9_4plusIvEEiEEDaPvRmT3_T4_T5_mT6_P12ihipStream_tbENKUlT_T0_E_clISt17integral_constantIbLb0EESV_IbLb1EEEEDaSR_SS_EUlSR_E_NS1_11comp_targetILNS1_3genE10ELNS1_11target_archE1201ELNS1_3gpuE5ELNS1_3repE0EEENS1_30default_config_static_selectorELNS0_4arch9wavefront6targetE1EEEvT1_,@function
_ZN7rocprim17ROCPRIM_400000_NS6detail17trampoline_kernelINS0_14default_configENS1_20scan_config_selectorIiEEZZNS1_9scan_implILNS1_25lookback_scan_determinismE0ELb1ELb1ES3_N6thrust23THRUST_200600_302600_NS6detail15normal_iteratorINS9_10device_ptrIjEEEENSB_INSC_IfEEEEiNS9_4plusIvEEiEEDaPvRmT3_T4_T5_mT6_P12ihipStream_tbENKUlT_T0_E_clISt17integral_constantIbLb0EESV_IbLb1EEEEDaSR_SS_EUlSR_E_NS1_11comp_targetILNS1_3genE10ELNS1_11target_archE1201ELNS1_3gpuE5ELNS1_3repE0EEENS1_30default_config_static_selectorELNS0_4arch9wavefront6targetE1EEEvT1_: ; @_ZN7rocprim17ROCPRIM_400000_NS6detail17trampoline_kernelINS0_14default_configENS1_20scan_config_selectorIiEEZZNS1_9scan_implILNS1_25lookback_scan_determinismE0ELb1ELb1ES3_N6thrust23THRUST_200600_302600_NS6detail15normal_iteratorINS9_10device_ptrIjEEEENSB_INSC_IfEEEEiNS9_4plusIvEEiEEDaPvRmT3_T4_T5_mT6_P12ihipStream_tbENKUlT_T0_E_clISt17integral_constantIbLb0EESV_IbLb1EEEEDaSR_SS_EUlSR_E_NS1_11comp_targetILNS1_3genE10ELNS1_11target_archE1201ELNS1_3gpuE5ELNS1_3repE0EEENS1_30default_config_static_selectorELNS0_4arch9wavefront6targetE1EEEvT1_
; %bb.0:
	.section	.rodata,"a",@progbits
	.p2align	6, 0x0
	.amdhsa_kernel _ZN7rocprim17ROCPRIM_400000_NS6detail17trampoline_kernelINS0_14default_configENS1_20scan_config_selectorIiEEZZNS1_9scan_implILNS1_25lookback_scan_determinismE0ELb1ELb1ES3_N6thrust23THRUST_200600_302600_NS6detail15normal_iteratorINS9_10device_ptrIjEEEENSB_INSC_IfEEEEiNS9_4plusIvEEiEEDaPvRmT3_T4_T5_mT6_P12ihipStream_tbENKUlT_T0_E_clISt17integral_constantIbLb0EESV_IbLb1EEEEDaSR_SS_EUlSR_E_NS1_11comp_targetILNS1_3genE10ELNS1_11target_archE1201ELNS1_3gpuE5ELNS1_3repE0EEENS1_30default_config_static_selectorELNS0_4arch9wavefront6targetE1EEEvT1_
		.amdhsa_group_segment_fixed_size 0
		.amdhsa_private_segment_fixed_size 0
		.amdhsa_kernarg_size 96
		.amdhsa_user_sgpr_count 6
		.amdhsa_user_sgpr_private_segment_buffer 1
		.amdhsa_user_sgpr_dispatch_ptr 0
		.amdhsa_user_sgpr_queue_ptr 0
		.amdhsa_user_sgpr_kernarg_segment_ptr 1
		.amdhsa_user_sgpr_dispatch_id 0
		.amdhsa_user_sgpr_flat_scratch_init 0
		.amdhsa_user_sgpr_kernarg_preload_length 0
		.amdhsa_user_sgpr_kernarg_preload_offset 0
		.amdhsa_user_sgpr_private_segment_size 0
		.amdhsa_uses_dynamic_stack 0
		.amdhsa_system_sgpr_private_segment_wavefront_offset 0
		.amdhsa_system_sgpr_workgroup_id_x 1
		.amdhsa_system_sgpr_workgroup_id_y 0
		.amdhsa_system_sgpr_workgroup_id_z 0
		.amdhsa_system_sgpr_workgroup_info 0
		.amdhsa_system_vgpr_workitem_id 0
		.amdhsa_next_free_vgpr 1
		.amdhsa_next_free_sgpr 0
		.amdhsa_accum_offset 4
		.amdhsa_reserve_vcc 0
		.amdhsa_reserve_flat_scratch 0
		.amdhsa_float_round_mode_32 0
		.amdhsa_float_round_mode_16_64 0
		.amdhsa_float_denorm_mode_32 3
		.amdhsa_float_denorm_mode_16_64 3
		.amdhsa_dx10_clamp 1
		.amdhsa_ieee_mode 1
		.amdhsa_fp16_overflow 0
		.amdhsa_tg_split 0
		.amdhsa_exception_fp_ieee_invalid_op 0
		.amdhsa_exception_fp_denorm_src 0
		.amdhsa_exception_fp_ieee_div_zero 0
		.amdhsa_exception_fp_ieee_overflow 0
		.amdhsa_exception_fp_ieee_underflow 0
		.amdhsa_exception_fp_ieee_inexact 0
		.amdhsa_exception_int_div_zero 0
	.end_amdhsa_kernel
	.section	.text._ZN7rocprim17ROCPRIM_400000_NS6detail17trampoline_kernelINS0_14default_configENS1_20scan_config_selectorIiEEZZNS1_9scan_implILNS1_25lookback_scan_determinismE0ELb1ELb1ES3_N6thrust23THRUST_200600_302600_NS6detail15normal_iteratorINS9_10device_ptrIjEEEENSB_INSC_IfEEEEiNS9_4plusIvEEiEEDaPvRmT3_T4_T5_mT6_P12ihipStream_tbENKUlT_T0_E_clISt17integral_constantIbLb0EESV_IbLb1EEEEDaSR_SS_EUlSR_E_NS1_11comp_targetILNS1_3genE10ELNS1_11target_archE1201ELNS1_3gpuE5ELNS1_3repE0EEENS1_30default_config_static_selectorELNS0_4arch9wavefront6targetE1EEEvT1_,"axG",@progbits,_ZN7rocprim17ROCPRIM_400000_NS6detail17trampoline_kernelINS0_14default_configENS1_20scan_config_selectorIiEEZZNS1_9scan_implILNS1_25lookback_scan_determinismE0ELb1ELb1ES3_N6thrust23THRUST_200600_302600_NS6detail15normal_iteratorINS9_10device_ptrIjEEEENSB_INSC_IfEEEEiNS9_4plusIvEEiEEDaPvRmT3_T4_T5_mT6_P12ihipStream_tbENKUlT_T0_E_clISt17integral_constantIbLb0EESV_IbLb1EEEEDaSR_SS_EUlSR_E_NS1_11comp_targetILNS1_3genE10ELNS1_11target_archE1201ELNS1_3gpuE5ELNS1_3repE0EEENS1_30default_config_static_selectorELNS0_4arch9wavefront6targetE1EEEvT1_,comdat
.Lfunc_end6219:
	.size	_ZN7rocprim17ROCPRIM_400000_NS6detail17trampoline_kernelINS0_14default_configENS1_20scan_config_selectorIiEEZZNS1_9scan_implILNS1_25lookback_scan_determinismE0ELb1ELb1ES3_N6thrust23THRUST_200600_302600_NS6detail15normal_iteratorINS9_10device_ptrIjEEEENSB_INSC_IfEEEEiNS9_4plusIvEEiEEDaPvRmT3_T4_T5_mT6_P12ihipStream_tbENKUlT_T0_E_clISt17integral_constantIbLb0EESV_IbLb1EEEEDaSR_SS_EUlSR_E_NS1_11comp_targetILNS1_3genE10ELNS1_11target_archE1201ELNS1_3gpuE5ELNS1_3repE0EEENS1_30default_config_static_selectorELNS0_4arch9wavefront6targetE1EEEvT1_, .Lfunc_end6219-_ZN7rocprim17ROCPRIM_400000_NS6detail17trampoline_kernelINS0_14default_configENS1_20scan_config_selectorIiEEZZNS1_9scan_implILNS1_25lookback_scan_determinismE0ELb1ELb1ES3_N6thrust23THRUST_200600_302600_NS6detail15normal_iteratorINS9_10device_ptrIjEEEENSB_INSC_IfEEEEiNS9_4plusIvEEiEEDaPvRmT3_T4_T5_mT6_P12ihipStream_tbENKUlT_T0_E_clISt17integral_constantIbLb0EESV_IbLb1EEEEDaSR_SS_EUlSR_E_NS1_11comp_targetILNS1_3genE10ELNS1_11target_archE1201ELNS1_3gpuE5ELNS1_3repE0EEENS1_30default_config_static_selectorELNS0_4arch9wavefront6targetE1EEEvT1_
                                        ; -- End function
	.section	.AMDGPU.csdata,"",@progbits
; Kernel info:
; codeLenInByte = 0
; NumSgprs: 4
; NumVgprs: 0
; NumAgprs: 0
; TotalNumVgprs: 0
; ScratchSize: 0
; MemoryBound: 0
; FloatMode: 240
; IeeeMode: 1
; LDSByteSize: 0 bytes/workgroup (compile time only)
; SGPRBlocks: 0
; VGPRBlocks: 0
; NumSGPRsForWavesPerEU: 4
; NumVGPRsForWavesPerEU: 1
; AccumOffset: 4
; Occupancy: 8
; WaveLimiterHint : 0
; COMPUTE_PGM_RSRC2:SCRATCH_EN: 0
; COMPUTE_PGM_RSRC2:USER_SGPR: 6
; COMPUTE_PGM_RSRC2:TRAP_HANDLER: 0
; COMPUTE_PGM_RSRC2:TGID_X_EN: 1
; COMPUTE_PGM_RSRC2:TGID_Y_EN: 0
; COMPUTE_PGM_RSRC2:TGID_Z_EN: 0
; COMPUTE_PGM_RSRC2:TIDIG_COMP_CNT: 0
; COMPUTE_PGM_RSRC3_GFX90A:ACCUM_OFFSET: 0
; COMPUTE_PGM_RSRC3_GFX90A:TG_SPLIT: 0
	.section	.text._ZN7rocprim17ROCPRIM_400000_NS6detail17trampoline_kernelINS0_14default_configENS1_20scan_config_selectorIiEEZZNS1_9scan_implILNS1_25lookback_scan_determinismE0ELb1ELb1ES3_N6thrust23THRUST_200600_302600_NS6detail15normal_iteratorINS9_10device_ptrIjEEEENSB_INSC_IfEEEEiNS9_4plusIvEEiEEDaPvRmT3_T4_T5_mT6_P12ihipStream_tbENKUlT_T0_E_clISt17integral_constantIbLb0EESV_IbLb1EEEEDaSR_SS_EUlSR_E_NS1_11comp_targetILNS1_3genE10ELNS1_11target_archE1200ELNS1_3gpuE4ELNS1_3repE0EEENS1_30default_config_static_selectorELNS0_4arch9wavefront6targetE1EEEvT1_,"axG",@progbits,_ZN7rocprim17ROCPRIM_400000_NS6detail17trampoline_kernelINS0_14default_configENS1_20scan_config_selectorIiEEZZNS1_9scan_implILNS1_25lookback_scan_determinismE0ELb1ELb1ES3_N6thrust23THRUST_200600_302600_NS6detail15normal_iteratorINS9_10device_ptrIjEEEENSB_INSC_IfEEEEiNS9_4plusIvEEiEEDaPvRmT3_T4_T5_mT6_P12ihipStream_tbENKUlT_T0_E_clISt17integral_constantIbLb0EESV_IbLb1EEEEDaSR_SS_EUlSR_E_NS1_11comp_targetILNS1_3genE10ELNS1_11target_archE1200ELNS1_3gpuE4ELNS1_3repE0EEENS1_30default_config_static_selectorELNS0_4arch9wavefront6targetE1EEEvT1_,comdat
	.protected	_ZN7rocprim17ROCPRIM_400000_NS6detail17trampoline_kernelINS0_14default_configENS1_20scan_config_selectorIiEEZZNS1_9scan_implILNS1_25lookback_scan_determinismE0ELb1ELb1ES3_N6thrust23THRUST_200600_302600_NS6detail15normal_iteratorINS9_10device_ptrIjEEEENSB_INSC_IfEEEEiNS9_4plusIvEEiEEDaPvRmT3_T4_T5_mT6_P12ihipStream_tbENKUlT_T0_E_clISt17integral_constantIbLb0EESV_IbLb1EEEEDaSR_SS_EUlSR_E_NS1_11comp_targetILNS1_3genE10ELNS1_11target_archE1200ELNS1_3gpuE4ELNS1_3repE0EEENS1_30default_config_static_selectorELNS0_4arch9wavefront6targetE1EEEvT1_ ; -- Begin function _ZN7rocprim17ROCPRIM_400000_NS6detail17trampoline_kernelINS0_14default_configENS1_20scan_config_selectorIiEEZZNS1_9scan_implILNS1_25lookback_scan_determinismE0ELb1ELb1ES3_N6thrust23THRUST_200600_302600_NS6detail15normal_iteratorINS9_10device_ptrIjEEEENSB_INSC_IfEEEEiNS9_4plusIvEEiEEDaPvRmT3_T4_T5_mT6_P12ihipStream_tbENKUlT_T0_E_clISt17integral_constantIbLb0EESV_IbLb1EEEEDaSR_SS_EUlSR_E_NS1_11comp_targetILNS1_3genE10ELNS1_11target_archE1200ELNS1_3gpuE4ELNS1_3repE0EEENS1_30default_config_static_selectorELNS0_4arch9wavefront6targetE1EEEvT1_
	.globl	_ZN7rocprim17ROCPRIM_400000_NS6detail17trampoline_kernelINS0_14default_configENS1_20scan_config_selectorIiEEZZNS1_9scan_implILNS1_25lookback_scan_determinismE0ELb1ELb1ES3_N6thrust23THRUST_200600_302600_NS6detail15normal_iteratorINS9_10device_ptrIjEEEENSB_INSC_IfEEEEiNS9_4plusIvEEiEEDaPvRmT3_T4_T5_mT6_P12ihipStream_tbENKUlT_T0_E_clISt17integral_constantIbLb0EESV_IbLb1EEEEDaSR_SS_EUlSR_E_NS1_11comp_targetILNS1_3genE10ELNS1_11target_archE1200ELNS1_3gpuE4ELNS1_3repE0EEENS1_30default_config_static_selectorELNS0_4arch9wavefront6targetE1EEEvT1_
	.p2align	8
	.type	_ZN7rocprim17ROCPRIM_400000_NS6detail17trampoline_kernelINS0_14default_configENS1_20scan_config_selectorIiEEZZNS1_9scan_implILNS1_25lookback_scan_determinismE0ELb1ELb1ES3_N6thrust23THRUST_200600_302600_NS6detail15normal_iteratorINS9_10device_ptrIjEEEENSB_INSC_IfEEEEiNS9_4plusIvEEiEEDaPvRmT3_T4_T5_mT6_P12ihipStream_tbENKUlT_T0_E_clISt17integral_constantIbLb0EESV_IbLb1EEEEDaSR_SS_EUlSR_E_NS1_11comp_targetILNS1_3genE10ELNS1_11target_archE1200ELNS1_3gpuE4ELNS1_3repE0EEENS1_30default_config_static_selectorELNS0_4arch9wavefront6targetE1EEEvT1_,@function
_ZN7rocprim17ROCPRIM_400000_NS6detail17trampoline_kernelINS0_14default_configENS1_20scan_config_selectorIiEEZZNS1_9scan_implILNS1_25lookback_scan_determinismE0ELb1ELb1ES3_N6thrust23THRUST_200600_302600_NS6detail15normal_iteratorINS9_10device_ptrIjEEEENSB_INSC_IfEEEEiNS9_4plusIvEEiEEDaPvRmT3_T4_T5_mT6_P12ihipStream_tbENKUlT_T0_E_clISt17integral_constantIbLb0EESV_IbLb1EEEEDaSR_SS_EUlSR_E_NS1_11comp_targetILNS1_3genE10ELNS1_11target_archE1200ELNS1_3gpuE4ELNS1_3repE0EEENS1_30default_config_static_selectorELNS0_4arch9wavefront6targetE1EEEvT1_: ; @_ZN7rocprim17ROCPRIM_400000_NS6detail17trampoline_kernelINS0_14default_configENS1_20scan_config_selectorIiEEZZNS1_9scan_implILNS1_25lookback_scan_determinismE0ELb1ELb1ES3_N6thrust23THRUST_200600_302600_NS6detail15normal_iteratorINS9_10device_ptrIjEEEENSB_INSC_IfEEEEiNS9_4plusIvEEiEEDaPvRmT3_T4_T5_mT6_P12ihipStream_tbENKUlT_T0_E_clISt17integral_constantIbLb0EESV_IbLb1EEEEDaSR_SS_EUlSR_E_NS1_11comp_targetILNS1_3genE10ELNS1_11target_archE1200ELNS1_3gpuE4ELNS1_3repE0EEENS1_30default_config_static_selectorELNS0_4arch9wavefront6targetE1EEEvT1_
; %bb.0:
	.section	.rodata,"a",@progbits
	.p2align	6, 0x0
	.amdhsa_kernel _ZN7rocprim17ROCPRIM_400000_NS6detail17trampoline_kernelINS0_14default_configENS1_20scan_config_selectorIiEEZZNS1_9scan_implILNS1_25lookback_scan_determinismE0ELb1ELb1ES3_N6thrust23THRUST_200600_302600_NS6detail15normal_iteratorINS9_10device_ptrIjEEEENSB_INSC_IfEEEEiNS9_4plusIvEEiEEDaPvRmT3_T4_T5_mT6_P12ihipStream_tbENKUlT_T0_E_clISt17integral_constantIbLb0EESV_IbLb1EEEEDaSR_SS_EUlSR_E_NS1_11comp_targetILNS1_3genE10ELNS1_11target_archE1200ELNS1_3gpuE4ELNS1_3repE0EEENS1_30default_config_static_selectorELNS0_4arch9wavefront6targetE1EEEvT1_
		.amdhsa_group_segment_fixed_size 0
		.amdhsa_private_segment_fixed_size 0
		.amdhsa_kernarg_size 96
		.amdhsa_user_sgpr_count 6
		.amdhsa_user_sgpr_private_segment_buffer 1
		.amdhsa_user_sgpr_dispatch_ptr 0
		.amdhsa_user_sgpr_queue_ptr 0
		.amdhsa_user_sgpr_kernarg_segment_ptr 1
		.amdhsa_user_sgpr_dispatch_id 0
		.amdhsa_user_sgpr_flat_scratch_init 0
		.amdhsa_user_sgpr_kernarg_preload_length 0
		.amdhsa_user_sgpr_kernarg_preload_offset 0
		.amdhsa_user_sgpr_private_segment_size 0
		.amdhsa_uses_dynamic_stack 0
		.amdhsa_system_sgpr_private_segment_wavefront_offset 0
		.amdhsa_system_sgpr_workgroup_id_x 1
		.amdhsa_system_sgpr_workgroup_id_y 0
		.amdhsa_system_sgpr_workgroup_id_z 0
		.amdhsa_system_sgpr_workgroup_info 0
		.amdhsa_system_vgpr_workitem_id 0
		.amdhsa_next_free_vgpr 1
		.amdhsa_next_free_sgpr 0
		.amdhsa_accum_offset 4
		.amdhsa_reserve_vcc 0
		.amdhsa_reserve_flat_scratch 0
		.amdhsa_float_round_mode_32 0
		.amdhsa_float_round_mode_16_64 0
		.amdhsa_float_denorm_mode_32 3
		.amdhsa_float_denorm_mode_16_64 3
		.amdhsa_dx10_clamp 1
		.amdhsa_ieee_mode 1
		.amdhsa_fp16_overflow 0
		.amdhsa_tg_split 0
		.amdhsa_exception_fp_ieee_invalid_op 0
		.amdhsa_exception_fp_denorm_src 0
		.amdhsa_exception_fp_ieee_div_zero 0
		.amdhsa_exception_fp_ieee_overflow 0
		.amdhsa_exception_fp_ieee_underflow 0
		.amdhsa_exception_fp_ieee_inexact 0
		.amdhsa_exception_int_div_zero 0
	.end_amdhsa_kernel
	.section	.text._ZN7rocprim17ROCPRIM_400000_NS6detail17trampoline_kernelINS0_14default_configENS1_20scan_config_selectorIiEEZZNS1_9scan_implILNS1_25lookback_scan_determinismE0ELb1ELb1ES3_N6thrust23THRUST_200600_302600_NS6detail15normal_iteratorINS9_10device_ptrIjEEEENSB_INSC_IfEEEEiNS9_4plusIvEEiEEDaPvRmT3_T4_T5_mT6_P12ihipStream_tbENKUlT_T0_E_clISt17integral_constantIbLb0EESV_IbLb1EEEEDaSR_SS_EUlSR_E_NS1_11comp_targetILNS1_3genE10ELNS1_11target_archE1200ELNS1_3gpuE4ELNS1_3repE0EEENS1_30default_config_static_selectorELNS0_4arch9wavefront6targetE1EEEvT1_,"axG",@progbits,_ZN7rocprim17ROCPRIM_400000_NS6detail17trampoline_kernelINS0_14default_configENS1_20scan_config_selectorIiEEZZNS1_9scan_implILNS1_25lookback_scan_determinismE0ELb1ELb1ES3_N6thrust23THRUST_200600_302600_NS6detail15normal_iteratorINS9_10device_ptrIjEEEENSB_INSC_IfEEEEiNS9_4plusIvEEiEEDaPvRmT3_T4_T5_mT6_P12ihipStream_tbENKUlT_T0_E_clISt17integral_constantIbLb0EESV_IbLb1EEEEDaSR_SS_EUlSR_E_NS1_11comp_targetILNS1_3genE10ELNS1_11target_archE1200ELNS1_3gpuE4ELNS1_3repE0EEENS1_30default_config_static_selectorELNS0_4arch9wavefront6targetE1EEEvT1_,comdat
.Lfunc_end6220:
	.size	_ZN7rocprim17ROCPRIM_400000_NS6detail17trampoline_kernelINS0_14default_configENS1_20scan_config_selectorIiEEZZNS1_9scan_implILNS1_25lookback_scan_determinismE0ELb1ELb1ES3_N6thrust23THRUST_200600_302600_NS6detail15normal_iteratorINS9_10device_ptrIjEEEENSB_INSC_IfEEEEiNS9_4plusIvEEiEEDaPvRmT3_T4_T5_mT6_P12ihipStream_tbENKUlT_T0_E_clISt17integral_constantIbLb0EESV_IbLb1EEEEDaSR_SS_EUlSR_E_NS1_11comp_targetILNS1_3genE10ELNS1_11target_archE1200ELNS1_3gpuE4ELNS1_3repE0EEENS1_30default_config_static_selectorELNS0_4arch9wavefront6targetE1EEEvT1_, .Lfunc_end6220-_ZN7rocprim17ROCPRIM_400000_NS6detail17trampoline_kernelINS0_14default_configENS1_20scan_config_selectorIiEEZZNS1_9scan_implILNS1_25lookback_scan_determinismE0ELb1ELb1ES3_N6thrust23THRUST_200600_302600_NS6detail15normal_iteratorINS9_10device_ptrIjEEEENSB_INSC_IfEEEEiNS9_4plusIvEEiEEDaPvRmT3_T4_T5_mT6_P12ihipStream_tbENKUlT_T0_E_clISt17integral_constantIbLb0EESV_IbLb1EEEEDaSR_SS_EUlSR_E_NS1_11comp_targetILNS1_3genE10ELNS1_11target_archE1200ELNS1_3gpuE4ELNS1_3repE0EEENS1_30default_config_static_selectorELNS0_4arch9wavefront6targetE1EEEvT1_
                                        ; -- End function
	.section	.AMDGPU.csdata,"",@progbits
; Kernel info:
; codeLenInByte = 0
; NumSgprs: 4
; NumVgprs: 0
; NumAgprs: 0
; TotalNumVgprs: 0
; ScratchSize: 0
; MemoryBound: 0
; FloatMode: 240
; IeeeMode: 1
; LDSByteSize: 0 bytes/workgroup (compile time only)
; SGPRBlocks: 0
; VGPRBlocks: 0
; NumSGPRsForWavesPerEU: 4
; NumVGPRsForWavesPerEU: 1
; AccumOffset: 4
; Occupancy: 8
; WaveLimiterHint : 0
; COMPUTE_PGM_RSRC2:SCRATCH_EN: 0
; COMPUTE_PGM_RSRC2:USER_SGPR: 6
; COMPUTE_PGM_RSRC2:TRAP_HANDLER: 0
; COMPUTE_PGM_RSRC2:TGID_X_EN: 1
; COMPUTE_PGM_RSRC2:TGID_Y_EN: 0
; COMPUTE_PGM_RSRC2:TGID_Z_EN: 0
; COMPUTE_PGM_RSRC2:TIDIG_COMP_CNT: 0
; COMPUTE_PGM_RSRC3_GFX90A:ACCUM_OFFSET: 0
; COMPUTE_PGM_RSRC3_GFX90A:TG_SPLIT: 0
	.section	.text._ZN7rocprim17ROCPRIM_400000_NS6detail17trampoline_kernelINS0_14default_configENS1_20scan_config_selectorIiEEZZNS1_9scan_implILNS1_25lookback_scan_determinismE0ELb1ELb1ES3_N6thrust23THRUST_200600_302600_NS6detail15normal_iteratorINS9_10device_ptrIjEEEENSB_INSC_IfEEEEiNS9_4plusIvEEiEEDaPvRmT3_T4_T5_mT6_P12ihipStream_tbENKUlT_T0_E_clISt17integral_constantIbLb0EESV_IbLb1EEEEDaSR_SS_EUlSR_E_NS1_11comp_targetILNS1_3genE9ELNS1_11target_archE1100ELNS1_3gpuE3ELNS1_3repE0EEENS1_30default_config_static_selectorELNS0_4arch9wavefront6targetE1EEEvT1_,"axG",@progbits,_ZN7rocprim17ROCPRIM_400000_NS6detail17trampoline_kernelINS0_14default_configENS1_20scan_config_selectorIiEEZZNS1_9scan_implILNS1_25lookback_scan_determinismE0ELb1ELb1ES3_N6thrust23THRUST_200600_302600_NS6detail15normal_iteratorINS9_10device_ptrIjEEEENSB_INSC_IfEEEEiNS9_4plusIvEEiEEDaPvRmT3_T4_T5_mT6_P12ihipStream_tbENKUlT_T0_E_clISt17integral_constantIbLb0EESV_IbLb1EEEEDaSR_SS_EUlSR_E_NS1_11comp_targetILNS1_3genE9ELNS1_11target_archE1100ELNS1_3gpuE3ELNS1_3repE0EEENS1_30default_config_static_selectorELNS0_4arch9wavefront6targetE1EEEvT1_,comdat
	.protected	_ZN7rocprim17ROCPRIM_400000_NS6detail17trampoline_kernelINS0_14default_configENS1_20scan_config_selectorIiEEZZNS1_9scan_implILNS1_25lookback_scan_determinismE0ELb1ELb1ES3_N6thrust23THRUST_200600_302600_NS6detail15normal_iteratorINS9_10device_ptrIjEEEENSB_INSC_IfEEEEiNS9_4plusIvEEiEEDaPvRmT3_T4_T5_mT6_P12ihipStream_tbENKUlT_T0_E_clISt17integral_constantIbLb0EESV_IbLb1EEEEDaSR_SS_EUlSR_E_NS1_11comp_targetILNS1_3genE9ELNS1_11target_archE1100ELNS1_3gpuE3ELNS1_3repE0EEENS1_30default_config_static_selectorELNS0_4arch9wavefront6targetE1EEEvT1_ ; -- Begin function _ZN7rocprim17ROCPRIM_400000_NS6detail17trampoline_kernelINS0_14default_configENS1_20scan_config_selectorIiEEZZNS1_9scan_implILNS1_25lookback_scan_determinismE0ELb1ELb1ES3_N6thrust23THRUST_200600_302600_NS6detail15normal_iteratorINS9_10device_ptrIjEEEENSB_INSC_IfEEEEiNS9_4plusIvEEiEEDaPvRmT3_T4_T5_mT6_P12ihipStream_tbENKUlT_T0_E_clISt17integral_constantIbLb0EESV_IbLb1EEEEDaSR_SS_EUlSR_E_NS1_11comp_targetILNS1_3genE9ELNS1_11target_archE1100ELNS1_3gpuE3ELNS1_3repE0EEENS1_30default_config_static_selectorELNS0_4arch9wavefront6targetE1EEEvT1_
	.globl	_ZN7rocprim17ROCPRIM_400000_NS6detail17trampoline_kernelINS0_14default_configENS1_20scan_config_selectorIiEEZZNS1_9scan_implILNS1_25lookback_scan_determinismE0ELb1ELb1ES3_N6thrust23THRUST_200600_302600_NS6detail15normal_iteratorINS9_10device_ptrIjEEEENSB_INSC_IfEEEEiNS9_4plusIvEEiEEDaPvRmT3_T4_T5_mT6_P12ihipStream_tbENKUlT_T0_E_clISt17integral_constantIbLb0EESV_IbLb1EEEEDaSR_SS_EUlSR_E_NS1_11comp_targetILNS1_3genE9ELNS1_11target_archE1100ELNS1_3gpuE3ELNS1_3repE0EEENS1_30default_config_static_selectorELNS0_4arch9wavefront6targetE1EEEvT1_
	.p2align	8
	.type	_ZN7rocprim17ROCPRIM_400000_NS6detail17trampoline_kernelINS0_14default_configENS1_20scan_config_selectorIiEEZZNS1_9scan_implILNS1_25lookback_scan_determinismE0ELb1ELb1ES3_N6thrust23THRUST_200600_302600_NS6detail15normal_iteratorINS9_10device_ptrIjEEEENSB_INSC_IfEEEEiNS9_4plusIvEEiEEDaPvRmT3_T4_T5_mT6_P12ihipStream_tbENKUlT_T0_E_clISt17integral_constantIbLb0EESV_IbLb1EEEEDaSR_SS_EUlSR_E_NS1_11comp_targetILNS1_3genE9ELNS1_11target_archE1100ELNS1_3gpuE3ELNS1_3repE0EEENS1_30default_config_static_selectorELNS0_4arch9wavefront6targetE1EEEvT1_,@function
_ZN7rocprim17ROCPRIM_400000_NS6detail17trampoline_kernelINS0_14default_configENS1_20scan_config_selectorIiEEZZNS1_9scan_implILNS1_25lookback_scan_determinismE0ELb1ELb1ES3_N6thrust23THRUST_200600_302600_NS6detail15normal_iteratorINS9_10device_ptrIjEEEENSB_INSC_IfEEEEiNS9_4plusIvEEiEEDaPvRmT3_T4_T5_mT6_P12ihipStream_tbENKUlT_T0_E_clISt17integral_constantIbLb0EESV_IbLb1EEEEDaSR_SS_EUlSR_E_NS1_11comp_targetILNS1_3genE9ELNS1_11target_archE1100ELNS1_3gpuE3ELNS1_3repE0EEENS1_30default_config_static_selectorELNS0_4arch9wavefront6targetE1EEEvT1_: ; @_ZN7rocprim17ROCPRIM_400000_NS6detail17trampoline_kernelINS0_14default_configENS1_20scan_config_selectorIiEEZZNS1_9scan_implILNS1_25lookback_scan_determinismE0ELb1ELb1ES3_N6thrust23THRUST_200600_302600_NS6detail15normal_iteratorINS9_10device_ptrIjEEEENSB_INSC_IfEEEEiNS9_4plusIvEEiEEDaPvRmT3_T4_T5_mT6_P12ihipStream_tbENKUlT_T0_E_clISt17integral_constantIbLb0EESV_IbLb1EEEEDaSR_SS_EUlSR_E_NS1_11comp_targetILNS1_3genE9ELNS1_11target_archE1100ELNS1_3gpuE3ELNS1_3repE0EEENS1_30default_config_static_selectorELNS0_4arch9wavefront6targetE1EEEvT1_
; %bb.0:
	.section	.rodata,"a",@progbits
	.p2align	6, 0x0
	.amdhsa_kernel _ZN7rocprim17ROCPRIM_400000_NS6detail17trampoline_kernelINS0_14default_configENS1_20scan_config_selectorIiEEZZNS1_9scan_implILNS1_25lookback_scan_determinismE0ELb1ELb1ES3_N6thrust23THRUST_200600_302600_NS6detail15normal_iteratorINS9_10device_ptrIjEEEENSB_INSC_IfEEEEiNS9_4plusIvEEiEEDaPvRmT3_T4_T5_mT6_P12ihipStream_tbENKUlT_T0_E_clISt17integral_constantIbLb0EESV_IbLb1EEEEDaSR_SS_EUlSR_E_NS1_11comp_targetILNS1_3genE9ELNS1_11target_archE1100ELNS1_3gpuE3ELNS1_3repE0EEENS1_30default_config_static_selectorELNS0_4arch9wavefront6targetE1EEEvT1_
		.amdhsa_group_segment_fixed_size 0
		.amdhsa_private_segment_fixed_size 0
		.amdhsa_kernarg_size 96
		.amdhsa_user_sgpr_count 6
		.amdhsa_user_sgpr_private_segment_buffer 1
		.amdhsa_user_sgpr_dispatch_ptr 0
		.amdhsa_user_sgpr_queue_ptr 0
		.amdhsa_user_sgpr_kernarg_segment_ptr 1
		.amdhsa_user_sgpr_dispatch_id 0
		.amdhsa_user_sgpr_flat_scratch_init 0
		.amdhsa_user_sgpr_kernarg_preload_length 0
		.amdhsa_user_sgpr_kernarg_preload_offset 0
		.amdhsa_user_sgpr_private_segment_size 0
		.amdhsa_uses_dynamic_stack 0
		.amdhsa_system_sgpr_private_segment_wavefront_offset 0
		.amdhsa_system_sgpr_workgroup_id_x 1
		.amdhsa_system_sgpr_workgroup_id_y 0
		.amdhsa_system_sgpr_workgroup_id_z 0
		.amdhsa_system_sgpr_workgroup_info 0
		.amdhsa_system_vgpr_workitem_id 0
		.amdhsa_next_free_vgpr 1
		.amdhsa_next_free_sgpr 0
		.amdhsa_accum_offset 4
		.amdhsa_reserve_vcc 0
		.amdhsa_reserve_flat_scratch 0
		.amdhsa_float_round_mode_32 0
		.amdhsa_float_round_mode_16_64 0
		.amdhsa_float_denorm_mode_32 3
		.amdhsa_float_denorm_mode_16_64 3
		.amdhsa_dx10_clamp 1
		.amdhsa_ieee_mode 1
		.amdhsa_fp16_overflow 0
		.amdhsa_tg_split 0
		.amdhsa_exception_fp_ieee_invalid_op 0
		.amdhsa_exception_fp_denorm_src 0
		.amdhsa_exception_fp_ieee_div_zero 0
		.amdhsa_exception_fp_ieee_overflow 0
		.amdhsa_exception_fp_ieee_underflow 0
		.amdhsa_exception_fp_ieee_inexact 0
		.amdhsa_exception_int_div_zero 0
	.end_amdhsa_kernel
	.section	.text._ZN7rocprim17ROCPRIM_400000_NS6detail17trampoline_kernelINS0_14default_configENS1_20scan_config_selectorIiEEZZNS1_9scan_implILNS1_25lookback_scan_determinismE0ELb1ELb1ES3_N6thrust23THRUST_200600_302600_NS6detail15normal_iteratorINS9_10device_ptrIjEEEENSB_INSC_IfEEEEiNS9_4plusIvEEiEEDaPvRmT3_T4_T5_mT6_P12ihipStream_tbENKUlT_T0_E_clISt17integral_constantIbLb0EESV_IbLb1EEEEDaSR_SS_EUlSR_E_NS1_11comp_targetILNS1_3genE9ELNS1_11target_archE1100ELNS1_3gpuE3ELNS1_3repE0EEENS1_30default_config_static_selectorELNS0_4arch9wavefront6targetE1EEEvT1_,"axG",@progbits,_ZN7rocprim17ROCPRIM_400000_NS6detail17trampoline_kernelINS0_14default_configENS1_20scan_config_selectorIiEEZZNS1_9scan_implILNS1_25lookback_scan_determinismE0ELb1ELb1ES3_N6thrust23THRUST_200600_302600_NS6detail15normal_iteratorINS9_10device_ptrIjEEEENSB_INSC_IfEEEEiNS9_4plusIvEEiEEDaPvRmT3_T4_T5_mT6_P12ihipStream_tbENKUlT_T0_E_clISt17integral_constantIbLb0EESV_IbLb1EEEEDaSR_SS_EUlSR_E_NS1_11comp_targetILNS1_3genE9ELNS1_11target_archE1100ELNS1_3gpuE3ELNS1_3repE0EEENS1_30default_config_static_selectorELNS0_4arch9wavefront6targetE1EEEvT1_,comdat
.Lfunc_end6221:
	.size	_ZN7rocprim17ROCPRIM_400000_NS6detail17trampoline_kernelINS0_14default_configENS1_20scan_config_selectorIiEEZZNS1_9scan_implILNS1_25lookback_scan_determinismE0ELb1ELb1ES3_N6thrust23THRUST_200600_302600_NS6detail15normal_iteratorINS9_10device_ptrIjEEEENSB_INSC_IfEEEEiNS9_4plusIvEEiEEDaPvRmT3_T4_T5_mT6_P12ihipStream_tbENKUlT_T0_E_clISt17integral_constantIbLb0EESV_IbLb1EEEEDaSR_SS_EUlSR_E_NS1_11comp_targetILNS1_3genE9ELNS1_11target_archE1100ELNS1_3gpuE3ELNS1_3repE0EEENS1_30default_config_static_selectorELNS0_4arch9wavefront6targetE1EEEvT1_, .Lfunc_end6221-_ZN7rocprim17ROCPRIM_400000_NS6detail17trampoline_kernelINS0_14default_configENS1_20scan_config_selectorIiEEZZNS1_9scan_implILNS1_25lookback_scan_determinismE0ELb1ELb1ES3_N6thrust23THRUST_200600_302600_NS6detail15normal_iteratorINS9_10device_ptrIjEEEENSB_INSC_IfEEEEiNS9_4plusIvEEiEEDaPvRmT3_T4_T5_mT6_P12ihipStream_tbENKUlT_T0_E_clISt17integral_constantIbLb0EESV_IbLb1EEEEDaSR_SS_EUlSR_E_NS1_11comp_targetILNS1_3genE9ELNS1_11target_archE1100ELNS1_3gpuE3ELNS1_3repE0EEENS1_30default_config_static_selectorELNS0_4arch9wavefront6targetE1EEEvT1_
                                        ; -- End function
	.section	.AMDGPU.csdata,"",@progbits
; Kernel info:
; codeLenInByte = 0
; NumSgprs: 4
; NumVgprs: 0
; NumAgprs: 0
; TotalNumVgprs: 0
; ScratchSize: 0
; MemoryBound: 0
; FloatMode: 240
; IeeeMode: 1
; LDSByteSize: 0 bytes/workgroup (compile time only)
; SGPRBlocks: 0
; VGPRBlocks: 0
; NumSGPRsForWavesPerEU: 4
; NumVGPRsForWavesPerEU: 1
; AccumOffset: 4
; Occupancy: 8
; WaveLimiterHint : 0
; COMPUTE_PGM_RSRC2:SCRATCH_EN: 0
; COMPUTE_PGM_RSRC2:USER_SGPR: 6
; COMPUTE_PGM_RSRC2:TRAP_HANDLER: 0
; COMPUTE_PGM_RSRC2:TGID_X_EN: 1
; COMPUTE_PGM_RSRC2:TGID_Y_EN: 0
; COMPUTE_PGM_RSRC2:TGID_Z_EN: 0
; COMPUTE_PGM_RSRC2:TIDIG_COMP_CNT: 0
; COMPUTE_PGM_RSRC3_GFX90A:ACCUM_OFFSET: 0
; COMPUTE_PGM_RSRC3_GFX90A:TG_SPLIT: 0
	.section	.text._ZN7rocprim17ROCPRIM_400000_NS6detail17trampoline_kernelINS0_14default_configENS1_20scan_config_selectorIiEEZZNS1_9scan_implILNS1_25lookback_scan_determinismE0ELb1ELb1ES3_N6thrust23THRUST_200600_302600_NS6detail15normal_iteratorINS9_10device_ptrIjEEEENSB_INSC_IfEEEEiNS9_4plusIvEEiEEDaPvRmT3_T4_T5_mT6_P12ihipStream_tbENKUlT_T0_E_clISt17integral_constantIbLb0EESV_IbLb1EEEEDaSR_SS_EUlSR_E_NS1_11comp_targetILNS1_3genE8ELNS1_11target_archE1030ELNS1_3gpuE2ELNS1_3repE0EEENS1_30default_config_static_selectorELNS0_4arch9wavefront6targetE1EEEvT1_,"axG",@progbits,_ZN7rocprim17ROCPRIM_400000_NS6detail17trampoline_kernelINS0_14default_configENS1_20scan_config_selectorIiEEZZNS1_9scan_implILNS1_25lookback_scan_determinismE0ELb1ELb1ES3_N6thrust23THRUST_200600_302600_NS6detail15normal_iteratorINS9_10device_ptrIjEEEENSB_INSC_IfEEEEiNS9_4plusIvEEiEEDaPvRmT3_T4_T5_mT6_P12ihipStream_tbENKUlT_T0_E_clISt17integral_constantIbLb0EESV_IbLb1EEEEDaSR_SS_EUlSR_E_NS1_11comp_targetILNS1_3genE8ELNS1_11target_archE1030ELNS1_3gpuE2ELNS1_3repE0EEENS1_30default_config_static_selectorELNS0_4arch9wavefront6targetE1EEEvT1_,comdat
	.protected	_ZN7rocprim17ROCPRIM_400000_NS6detail17trampoline_kernelINS0_14default_configENS1_20scan_config_selectorIiEEZZNS1_9scan_implILNS1_25lookback_scan_determinismE0ELb1ELb1ES3_N6thrust23THRUST_200600_302600_NS6detail15normal_iteratorINS9_10device_ptrIjEEEENSB_INSC_IfEEEEiNS9_4plusIvEEiEEDaPvRmT3_T4_T5_mT6_P12ihipStream_tbENKUlT_T0_E_clISt17integral_constantIbLb0EESV_IbLb1EEEEDaSR_SS_EUlSR_E_NS1_11comp_targetILNS1_3genE8ELNS1_11target_archE1030ELNS1_3gpuE2ELNS1_3repE0EEENS1_30default_config_static_selectorELNS0_4arch9wavefront6targetE1EEEvT1_ ; -- Begin function _ZN7rocprim17ROCPRIM_400000_NS6detail17trampoline_kernelINS0_14default_configENS1_20scan_config_selectorIiEEZZNS1_9scan_implILNS1_25lookback_scan_determinismE0ELb1ELb1ES3_N6thrust23THRUST_200600_302600_NS6detail15normal_iteratorINS9_10device_ptrIjEEEENSB_INSC_IfEEEEiNS9_4plusIvEEiEEDaPvRmT3_T4_T5_mT6_P12ihipStream_tbENKUlT_T0_E_clISt17integral_constantIbLb0EESV_IbLb1EEEEDaSR_SS_EUlSR_E_NS1_11comp_targetILNS1_3genE8ELNS1_11target_archE1030ELNS1_3gpuE2ELNS1_3repE0EEENS1_30default_config_static_selectorELNS0_4arch9wavefront6targetE1EEEvT1_
	.globl	_ZN7rocprim17ROCPRIM_400000_NS6detail17trampoline_kernelINS0_14default_configENS1_20scan_config_selectorIiEEZZNS1_9scan_implILNS1_25lookback_scan_determinismE0ELb1ELb1ES3_N6thrust23THRUST_200600_302600_NS6detail15normal_iteratorINS9_10device_ptrIjEEEENSB_INSC_IfEEEEiNS9_4plusIvEEiEEDaPvRmT3_T4_T5_mT6_P12ihipStream_tbENKUlT_T0_E_clISt17integral_constantIbLb0EESV_IbLb1EEEEDaSR_SS_EUlSR_E_NS1_11comp_targetILNS1_3genE8ELNS1_11target_archE1030ELNS1_3gpuE2ELNS1_3repE0EEENS1_30default_config_static_selectorELNS0_4arch9wavefront6targetE1EEEvT1_
	.p2align	8
	.type	_ZN7rocprim17ROCPRIM_400000_NS6detail17trampoline_kernelINS0_14default_configENS1_20scan_config_selectorIiEEZZNS1_9scan_implILNS1_25lookback_scan_determinismE0ELb1ELb1ES3_N6thrust23THRUST_200600_302600_NS6detail15normal_iteratorINS9_10device_ptrIjEEEENSB_INSC_IfEEEEiNS9_4plusIvEEiEEDaPvRmT3_T4_T5_mT6_P12ihipStream_tbENKUlT_T0_E_clISt17integral_constantIbLb0EESV_IbLb1EEEEDaSR_SS_EUlSR_E_NS1_11comp_targetILNS1_3genE8ELNS1_11target_archE1030ELNS1_3gpuE2ELNS1_3repE0EEENS1_30default_config_static_selectorELNS0_4arch9wavefront6targetE1EEEvT1_,@function
_ZN7rocprim17ROCPRIM_400000_NS6detail17trampoline_kernelINS0_14default_configENS1_20scan_config_selectorIiEEZZNS1_9scan_implILNS1_25lookback_scan_determinismE0ELb1ELb1ES3_N6thrust23THRUST_200600_302600_NS6detail15normal_iteratorINS9_10device_ptrIjEEEENSB_INSC_IfEEEEiNS9_4plusIvEEiEEDaPvRmT3_T4_T5_mT6_P12ihipStream_tbENKUlT_T0_E_clISt17integral_constantIbLb0EESV_IbLb1EEEEDaSR_SS_EUlSR_E_NS1_11comp_targetILNS1_3genE8ELNS1_11target_archE1030ELNS1_3gpuE2ELNS1_3repE0EEENS1_30default_config_static_selectorELNS0_4arch9wavefront6targetE1EEEvT1_: ; @_ZN7rocprim17ROCPRIM_400000_NS6detail17trampoline_kernelINS0_14default_configENS1_20scan_config_selectorIiEEZZNS1_9scan_implILNS1_25lookback_scan_determinismE0ELb1ELb1ES3_N6thrust23THRUST_200600_302600_NS6detail15normal_iteratorINS9_10device_ptrIjEEEENSB_INSC_IfEEEEiNS9_4plusIvEEiEEDaPvRmT3_T4_T5_mT6_P12ihipStream_tbENKUlT_T0_E_clISt17integral_constantIbLb0EESV_IbLb1EEEEDaSR_SS_EUlSR_E_NS1_11comp_targetILNS1_3genE8ELNS1_11target_archE1030ELNS1_3gpuE2ELNS1_3repE0EEENS1_30default_config_static_selectorELNS0_4arch9wavefront6targetE1EEEvT1_
; %bb.0:
	.section	.rodata,"a",@progbits
	.p2align	6, 0x0
	.amdhsa_kernel _ZN7rocprim17ROCPRIM_400000_NS6detail17trampoline_kernelINS0_14default_configENS1_20scan_config_selectorIiEEZZNS1_9scan_implILNS1_25lookback_scan_determinismE0ELb1ELb1ES3_N6thrust23THRUST_200600_302600_NS6detail15normal_iteratorINS9_10device_ptrIjEEEENSB_INSC_IfEEEEiNS9_4plusIvEEiEEDaPvRmT3_T4_T5_mT6_P12ihipStream_tbENKUlT_T0_E_clISt17integral_constantIbLb0EESV_IbLb1EEEEDaSR_SS_EUlSR_E_NS1_11comp_targetILNS1_3genE8ELNS1_11target_archE1030ELNS1_3gpuE2ELNS1_3repE0EEENS1_30default_config_static_selectorELNS0_4arch9wavefront6targetE1EEEvT1_
		.amdhsa_group_segment_fixed_size 0
		.amdhsa_private_segment_fixed_size 0
		.amdhsa_kernarg_size 96
		.amdhsa_user_sgpr_count 6
		.amdhsa_user_sgpr_private_segment_buffer 1
		.amdhsa_user_sgpr_dispatch_ptr 0
		.amdhsa_user_sgpr_queue_ptr 0
		.amdhsa_user_sgpr_kernarg_segment_ptr 1
		.amdhsa_user_sgpr_dispatch_id 0
		.amdhsa_user_sgpr_flat_scratch_init 0
		.amdhsa_user_sgpr_kernarg_preload_length 0
		.amdhsa_user_sgpr_kernarg_preload_offset 0
		.amdhsa_user_sgpr_private_segment_size 0
		.amdhsa_uses_dynamic_stack 0
		.amdhsa_system_sgpr_private_segment_wavefront_offset 0
		.amdhsa_system_sgpr_workgroup_id_x 1
		.amdhsa_system_sgpr_workgroup_id_y 0
		.amdhsa_system_sgpr_workgroup_id_z 0
		.amdhsa_system_sgpr_workgroup_info 0
		.amdhsa_system_vgpr_workitem_id 0
		.amdhsa_next_free_vgpr 1
		.amdhsa_next_free_sgpr 0
		.amdhsa_accum_offset 4
		.amdhsa_reserve_vcc 0
		.amdhsa_reserve_flat_scratch 0
		.amdhsa_float_round_mode_32 0
		.amdhsa_float_round_mode_16_64 0
		.amdhsa_float_denorm_mode_32 3
		.amdhsa_float_denorm_mode_16_64 3
		.amdhsa_dx10_clamp 1
		.amdhsa_ieee_mode 1
		.amdhsa_fp16_overflow 0
		.amdhsa_tg_split 0
		.amdhsa_exception_fp_ieee_invalid_op 0
		.amdhsa_exception_fp_denorm_src 0
		.amdhsa_exception_fp_ieee_div_zero 0
		.amdhsa_exception_fp_ieee_overflow 0
		.amdhsa_exception_fp_ieee_underflow 0
		.amdhsa_exception_fp_ieee_inexact 0
		.amdhsa_exception_int_div_zero 0
	.end_amdhsa_kernel
	.section	.text._ZN7rocprim17ROCPRIM_400000_NS6detail17trampoline_kernelINS0_14default_configENS1_20scan_config_selectorIiEEZZNS1_9scan_implILNS1_25lookback_scan_determinismE0ELb1ELb1ES3_N6thrust23THRUST_200600_302600_NS6detail15normal_iteratorINS9_10device_ptrIjEEEENSB_INSC_IfEEEEiNS9_4plusIvEEiEEDaPvRmT3_T4_T5_mT6_P12ihipStream_tbENKUlT_T0_E_clISt17integral_constantIbLb0EESV_IbLb1EEEEDaSR_SS_EUlSR_E_NS1_11comp_targetILNS1_3genE8ELNS1_11target_archE1030ELNS1_3gpuE2ELNS1_3repE0EEENS1_30default_config_static_selectorELNS0_4arch9wavefront6targetE1EEEvT1_,"axG",@progbits,_ZN7rocprim17ROCPRIM_400000_NS6detail17trampoline_kernelINS0_14default_configENS1_20scan_config_selectorIiEEZZNS1_9scan_implILNS1_25lookback_scan_determinismE0ELb1ELb1ES3_N6thrust23THRUST_200600_302600_NS6detail15normal_iteratorINS9_10device_ptrIjEEEENSB_INSC_IfEEEEiNS9_4plusIvEEiEEDaPvRmT3_T4_T5_mT6_P12ihipStream_tbENKUlT_T0_E_clISt17integral_constantIbLb0EESV_IbLb1EEEEDaSR_SS_EUlSR_E_NS1_11comp_targetILNS1_3genE8ELNS1_11target_archE1030ELNS1_3gpuE2ELNS1_3repE0EEENS1_30default_config_static_selectorELNS0_4arch9wavefront6targetE1EEEvT1_,comdat
.Lfunc_end6222:
	.size	_ZN7rocprim17ROCPRIM_400000_NS6detail17trampoline_kernelINS0_14default_configENS1_20scan_config_selectorIiEEZZNS1_9scan_implILNS1_25lookback_scan_determinismE0ELb1ELb1ES3_N6thrust23THRUST_200600_302600_NS6detail15normal_iteratorINS9_10device_ptrIjEEEENSB_INSC_IfEEEEiNS9_4plusIvEEiEEDaPvRmT3_T4_T5_mT6_P12ihipStream_tbENKUlT_T0_E_clISt17integral_constantIbLb0EESV_IbLb1EEEEDaSR_SS_EUlSR_E_NS1_11comp_targetILNS1_3genE8ELNS1_11target_archE1030ELNS1_3gpuE2ELNS1_3repE0EEENS1_30default_config_static_selectorELNS0_4arch9wavefront6targetE1EEEvT1_, .Lfunc_end6222-_ZN7rocprim17ROCPRIM_400000_NS6detail17trampoline_kernelINS0_14default_configENS1_20scan_config_selectorIiEEZZNS1_9scan_implILNS1_25lookback_scan_determinismE0ELb1ELb1ES3_N6thrust23THRUST_200600_302600_NS6detail15normal_iteratorINS9_10device_ptrIjEEEENSB_INSC_IfEEEEiNS9_4plusIvEEiEEDaPvRmT3_T4_T5_mT6_P12ihipStream_tbENKUlT_T0_E_clISt17integral_constantIbLb0EESV_IbLb1EEEEDaSR_SS_EUlSR_E_NS1_11comp_targetILNS1_3genE8ELNS1_11target_archE1030ELNS1_3gpuE2ELNS1_3repE0EEENS1_30default_config_static_selectorELNS0_4arch9wavefront6targetE1EEEvT1_
                                        ; -- End function
	.section	.AMDGPU.csdata,"",@progbits
; Kernel info:
; codeLenInByte = 0
; NumSgprs: 4
; NumVgprs: 0
; NumAgprs: 0
; TotalNumVgprs: 0
; ScratchSize: 0
; MemoryBound: 0
; FloatMode: 240
; IeeeMode: 1
; LDSByteSize: 0 bytes/workgroup (compile time only)
; SGPRBlocks: 0
; VGPRBlocks: 0
; NumSGPRsForWavesPerEU: 4
; NumVGPRsForWavesPerEU: 1
; AccumOffset: 4
; Occupancy: 8
; WaveLimiterHint : 0
; COMPUTE_PGM_RSRC2:SCRATCH_EN: 0
; COMPUTE_PGM_RSRC2:USER_SGPR: 6
; COMPUTE_PGM_RSRC2:TRAP_HANDLER: 0
; COMPUTE_PGM_RSRC2:TGID_X_EN: 1
; COMPUTE_PGM_RSRC2:TGID_Y_EN: 0
; COMPUTE_PGM_RSRC2:TGID_Z_EN: 0
; COMPUTE_PGM_RSRC2:TIDIG_COMP_CNT: 0
; COMPUTE_PGM_RSRC3_GFX90A:ACCUM_OFFSET: 0
; COMPUTE_PGM_RSRC3_GFX90A:TG_SPLIT: 0
	.section	.text._ZN7rocprim17ROCPRIM_400000_NS6detail17trampoline_kernelINS0_14default_configENS1_20scan_config_selectorIiEEZZNS1_9scan_implILNS1_25lookback_scan_determinismE0ELb1ELb1ES3_N6thrust23THRUST_200600_302600_NS6detail15normal_iteratorINS9_10device_ptrIjEEEENSB_INSC_IfEEEEiNS9_4plusIvEEiEEDaPvRmT3_T4_T5_mT6_P12ihipStream_tbENKUlT_T0_E_clISt17integral_constantIbLb0EESV_IbLb1EEEEDaSR_SS_EUlSR_E0_NS1_11comp_targetILNS1_3genE0ELNS1_11target_archE4294967295ELNS1_3gpuE0ELNS1_3repE0EEENS1_30default_config_static_selectorELNS0_4arch9wavefront6targetE1EEEvT1_,"axG",@progbits,_ZN7rocprim17ROCPRIM_400000_NS6detail17trampoline_kernelINS0_14default_configENS1_20scan_config_selectorIiEEZZNS1_9scan_implILNS1_25lookback_scan_determinismE0ELb1ELb1ES3_N6thrust23THRUST_200600_302600_NS6detail15normal_iteratorINS9_10device_ptrIjEEEENSB_INSC_IfEEEEiNS9_4plusIvEEiEEDaPvRmT3_T4_T5_mT6_P12ihipStream_tbENKUlT_T0_E_clISt17integral_constantIbLb0EESV_IbLb1EEEEDaSR_SS_EUlSR_E0_NS1_11comp_targetILNS1_3genE0ELNS1_11target_archE4294967295ELNS1_3gpuE0ELNS1_3repE0EEENS1_30default_config_static_selectorELNS0_4arch9wavefront6targetE1EEEvT1_,comdat
	.protected	_ZN7rocprim17ROCPRIM_400000_NS6detail17trampoline_kernelINS0_14default_configENS1_20scan_config_selectorIiEEZZNS1_9scan_implILNS1_25lookback_scan_determinismE0ELb1ELb1ES3_N6thrust23THRUST_200600_302600_NS6detail15normal_iteratorINS9_10device_ptrIjEEEENSB_INSC_IfEEEEiNS9_4plusIvEEiEEDaPvRmT3_T4_T5_mT6_P12ihipStream_tbENKUlT_T0_E_clISt17integral_constantIbLb0EESV_IbLb1EEEEDaSR_SS_EUlSR_E0_NS1_11comp_targetILNS1_3genE0ELNS1_11target_archE4294967295ELNS1_3gpuE0ELNS1_3repE0EEENS1_30default_config_static_selectorELNS0_4arch9wavefront6targetE1EEEvT1_ ; -- Begin function _ZN7rocprim17ROCPRIM_400000_NS6detail17trampoline_kernelINS0_14default_configENS1_20scan_config_selectorIiEEZZNS1_9scan_implILNS1_25lookback_scan_determinismE0ELb1ELb1ES3_N6thrust23THRUST_200600_302600_NS6detail15normal_iteratorINS9_10device_ptrIjEEEENSB_INSC_IfEEEEiNS9_4plusIvEEiEEDaPvRmT3_T4_T5_mT6_P12ihipStream_tbENKUlT_T0_E_clISt17integral_constantIbLb0EESV_IbLb1EEEEDaSR_SS_EUlSR_E0_NS1_11comp_targetILNS1_3genE0ELNS1_11target_archE4294967295ELNS1_3gpuE0ELNS1_3repE0EEENS1_30default_config_static_selectorELNS0_4arch9wavefront6targetE1EEEvT1_
	.globl	_ZN7rocprim17ROCPRIM_400000_NS6detail17trampoline_kernelINS0_14default_configENS1_20scan_config_selectorIiEEZZNS1_9scan_implILNS1_25lookback_scan_determinismE0ELb1ELb1ES3_N6thrust23THRUST_200600_302600_NS6detail15normal_iteratorINS9_10device_ptrIjEEEENSB_INSC_IfEEEEiNS9_4plusIvEEiEEDaPvRmT3_T4_T5_mT6_P12ihipStream_tbENKUlT_T0_E_clISt17integral_constantIbLb0EESV_IbLb1EEEEDaSR_SS_EUlSR_E0_NS1_11comp_targetILNS1_3genE0ELNS1_11target_archE4294967295ELNS1_3gpuE0ELNS1_3repE0EEENS1_30default_config_static_selectorELNS0_4arch9wavefront6targetE1EEEvT1_
	.p2align	8
	.type	_ZN7rocprim17ROCPRIM_400000_NS6detail17trampoline_kernelINS0_14default_configENS1_20scan_config_selectorIiEEZZNS1_9scan_implILNS1_25lookback_scan_determinismE0ELb1ELb1ES3_N6thrust23THRUST_200600_302600_NS6detail15normal_iteratorINS9_10device_ptrIjEEEENSB_INSC_IfEEEEiNS9_4plusIvEEiEEDaPvRmT3_T4_T5_mT6_P12ihipStream_tbENKUlT_T0_E_clISt17integral_constantIbLb0EESV_IbLb1EEEEDaSR_SS_EUlSR_E0_NS1_11comp_targetILNS1_3genE0ELNS1_11target_archE4294967295ELNS1_3gpuE0ELNS1_3repE0EEENS1_30default_config_static_selectorELNS0_4arch9wavefront6targetE1EEEvT1_,@function
_ZN7rocprim17ROCPRIM_400000_NS6detail17trampoline_kernelINS0_14default_configENS1_20scan_config_selectorIiEEZZNS1_9scan_implILNS1_25lookback_scan_determinismE0ELb1ELb1ES3_N6thrust23THRUST_200600_302600_NS6detail15normal_iteratorINS9_10device_ptrIjEEEENSB_INSC_IfEEEEiNS9_4plusIvEEiEEDaPvRmT3_T4_T5_mT6_P12ihipStream_tbENKUlT_T0_E_clISt17integral_constantIbLb0EESV_IbLb1EEEEDaSR_SS_EUlSR_E0_NS1_11comp_targetILNS1_3genE0ELNS1_11target_archE4294967295ELNS1_3gpuE0ELNS1_3repE0EEENS1_30default_config_static_selectorELNS0_4arch9wavefront6targetE1EEEvT1_: ; @_ZN7rocprim17ROCPRIM_400000_NS6detail17trampoline_kernelINS0_14default_configENS1_20scan_config_selectorIiEEZZNS1_9scan_implILNS1_25lookback_scan_determinismE0ELb1ELb1ES3_N6thrust23THRUST_200600_302600_NS6detail15normal_iteratorINS9_10device_ptrIjEEEENSB_INSC_IfEEEEiNS9_4plusIvEEiEEDaPvRmT3_T4_T5_mT6_P12ihipStream_tbENKUlT_T0_E_clISt17integral_constantIbLb0EESV_IbLb1EEEEDaSR_SS_EUlSR_E0_NS1_11comp_targetILNS1_3genE0ELNS1_11target_archE4294967295ELNS1_3gpuE0ELNS1_3repE0EEENS1_30default_config_static_selectorELNS0_4arch9wavefront6targetE1EEEvT1_
; %bb.0:
	.section	.rodata,"a",@progbits
	.p2align	6, 0x0
	.amdhsa_kernel _ZN7rocprim17ROCPRIM_400000_NS6detail17trampoline_kernelINS0_14default_configENS1_20scan_config_selectorIiEEZZNS1_9scan_implILNS1_25lookback_scan_determinismE0ELb1ELb1ES3_N6thrust23THRUST_200600_302600_NS6detail15normal_iteratorINS9_10device_ptrIjEEEENSB_INSC_IfEEEEiNS9_4plusIvEEiEEDaPvRmT3_T4_T5_mT6_P12ihipStream_tbENKUlT_T0_E_clISt17integral_constantIbLb0EESV_IbLb1EEEEDaSR_SS_EUlSR_E0_NS1_11comp_targetILNS1_3genE0ELNS1_11target_archE4294967295ELNS1_3gpuE0ELNS1_3repE0EEENS1_30default_config_static_selectorELNS0_4arch9wavefront6targetE1EEEvT1_
		.amdhsa_group_segment_fixed_size 0
		.amdhsa_private_segment_fixed_size 0
		.amdhsa_kernarg_size 32
		.amdhsa_user_sgpr_count 6
		.amdhsa_user_sgpr_private_segment_buffer 1
		.amdhsa_user_sgpr_dispatch_ptr 0
		.amdhsa_user_sgpr_queue_ptr 0
		.amdhsa_user_sgpr_kernarg_segment_ptr 1
		.amdhsa_user_sgpr_dispatch_id 0
		.amdhsa_user_sgpr_flat_scratch_init 0
		.amdhsa_user_sgpr_kernarg_preload_length 0
		.amdhsa_user_sgpr_kernarg_preload_offset 0
		.amdhsa_user_sgpr_private_segment_size 0
		.amdhsa_uses_dynamic_stack 0
		.amdhsa_system_sgpr_private_segment_wavefront_offset 0
		.amdhsa_system_sgpr_workgroup_id_x 1
		.amdhsa_system_sgpr_workgroup_id_y 0
		.amdhsa_system_sgpr_workgroup_id_z 0
		.amdhsa_system_sgpr_workgroup_info 0
		.amdhsa_system_vgpr_workitem_id 0
		.amdhsa_next_free_vgpr 1
		.amdhsa_next_free_sgpr 0
		.amdhsa_accum_offset 4
		.amdhsa_reserve_vcc 0
		.amdhsa_reserve_flat_scratch 0
		.amdhsa_float_round_mode_32 0
		.amdhsa_float_round_mode_16_64 0
		.amdhsa_float_denorm_mode_32 3
		.amdhsa_float_denorm_mode_16_64 3
		.amdhsa_dx10_clamp 1
		.amdhsa_ieee_mode 1
		.amdhsa_fp16_overflow 0
		.amdhsa_tg_split 0
		.amdhsa_exception_fp_ieee_invalid_op 0
		.amdhsa_exception_fp_denorm_src 0
		.amdhsa_exception_fp_ieee_div_zero 0
		.amdhsa_exception_fp_ieee_overflow 0
		.amdhsa_exception_fp_ieee_underflow 0
		.amdhsa_exception_fp_ieee_inexact 0
		.amdhsa_exception_int_div_zero 0
	.end_amdhsa_kernel
	.section	.text._ZN7rocprim17ROCPRIM_400000_NS6detail17trampoline_kernelINS0_14default_configENS1_20scan_config_selectorIiEEZZNS1_9scan_implILNS1_25lookback_scan_determinismE0ELb1ELb1ES3_N6thrust23THRUST_200600_302600_NS6detail15normal_iteratorINS9_10device_ptrIjEEEENSB_INSC_IfEEEEiNS9_4plusIvEEiEEDaPvRmT3_T4_T5_mT6_P12ihipStream_tbENKUlT_T0_E_clISt17integral_constantIbLb0EESV_IbLb1EEEEDaSR_SS_EUlSR_E0_NS1_11comp_targetILNS1_3genE0ELNS1_11target_archE4294967295ELNS1_3gpuE0ELNS1_3repE0EEENS1_30default_config_static_selectorELNS0_4arch9wavefront6targetE1EEEvT1_,"axG",@progbits,_ZN7rocprim17ROCPRIM_400000_NS6detail17trampoline_kernelINS0_14default_configENS1_20scan_config_selectorIiEEZZNS1_9scan_implILNS1_25lookback_scan_determinismE0ELb1ELb1ES3_N6thrust23THRUST_200600_302600_NS6detail15normal_iteratorINS9_10device_ptrIjEEEENSB_INSC_IfEEEEiNS9_4plusIvEEiEEDaPvRmT3_T4_T5_mT6_P12ihipStream_tbENKUlT_T0_E_clISt17integral_constantIbLb0EESV_IbLb1EEEEDaSR_SS_EUlSR_E0_NS1_11comp_targetILNS1_3genE0ELNS1_11target_archE4294967295ELNS1_3gpuE0ELNS1_3repE0EEENS1_30default_config_static_selectorELNS0_4arch9wavefront6targetE1EEEvT1_,comdat
.Lfunc_end6223:
	.size	_ZN7rocprim17ROCPRIM_400000_NS6detail17trampoline_kernelINS0_14default_configENS1_20scan_config_selectorIiEEZZNS1_9scan_implILNS1_25lookback_scan_determinismE0ELb1ELb1ES3_N6thrust23THRUST_200600_302600_NS6detail15normal_iteratorINS9_10device_ptrIjEEEENSB_INSC_IfEEEEiNS9_4plusIvEEiEEDaPvRmT3_T4_T5_mT6_P12ihipStream_tbENKUlT_T0_E_clISt17integral_constantIbLb0EESV_IbLb1EEEEDaSR_SS_EUlSR_E0_NS1_11comp_targetILNS1_3genE0ELNS1_11target_archE4294967295ELNS1_3gpuE0ELNS1_3repE0EEENS1_30default_config_static_selectorELNS0_4arch9wavefront6targetE1EEEvT1_, .Lfunc_end6223-_ZN7rocprim17ROCPRIM_400000_NS6detail17trampoline_kernelINS0_14default_configENS1_20scan_config_selectorIiEEZZNS1_9scan_implILNS1_25lookback_scan_determinismE0ELb1ELb1ES3_N6thrust23THRUST_200600_302600_NS6detail15normal_iteratorINS9_10device_ptrIjEEEENSB_INSC_IfEEEEiNS9_4plusIvEEiEEDaPvRmT3_T4_T5_mT6_P12ihipStream_tbENKUlT_T0_E_clISt17integral_constantIbLb0EESV_IbLb1EEEEDaSR_SS_EUlSR_E0_NS1_11comp_targetILNS1_3genE0ELNS1_11target_archE4294967295ELNS1_3gpuE0ELNS1_3repE0EEENS1_30default_config_static_selectorELNS0_4arch9wavefront6targetE1EEEvT1_
                                        ; -- End function
	.section	.AMDGPU.csdata,"",@progbits
; Kernel info:
; codeLenInByte = 0
; NumSgprs: 4
; NumVgprs: 0
; NumAgprs: 0
; TotalNumVgprs: 0
; ScratchSize: 0
; MemoryBound: 0
; FloatMode: 240
; IeeeMode: 1
; LDSByteSize: 0 bytes/workgroup (compile time only)
; SGPRBlocks: 0
; VGPRBlocks: 0
; NumSGPRsForWavesPerEU: 4
; NumVGPRsForWavesPerEU: 1
; AccumOffset: 4
; Occupancy: 8
; WaveLimiterHint : 0
; COMPUTE_PGM_RSRC2:SCRATCH_EN: 0
; COMPUTE_PGM_RSRC2:USER_SGPR: 6
; COMPUTE_PGM_RSRC2:TRAP_HANDLER: 0
; COMPUTE_PGM_RSRC2:TGID_X_EN: 1
; COMPUTE_PGM_RSRC2:TGID_Y_EN: 0
; COMPUTE_PGM_RSRC2:TGID_Z_EN: 0
; COMPUTE_PGM_RSRC2:TIDIG_COMP_CNT: 0
; COMPUTE_PGM_RSRC3_GFX90A:ACCUM_OFFSET: 0
; COMPUTE_PGM_RSRC3_GFX90A:TG_SPLIT: 0
	.section	.text._ZN7rocprim17ROCPRIM_400000_NS6detail17trampoline_kernelINS0_14default_configENS1_20scan_config_selectorIiEEZZNS1_9scan_implILNS1_25lookback_scan_determinismE0ELb1ELb1ES3_N6thrust23THRUST_200600_302600_NS6detail15normal_iteratorINS9_10device_ptrIjEEEENSB_INSC_IfEEEEiNS9_4plusIvEEiEEDaPvRmT3_T4_T5_mT6_P12ihipStream_tbENKUlT_T0_E_clISt17integral_constantIbLb0EESV_IbLb1EEEEDaSR_SS_EUlSR_E0_NS1_11comp_targetILNS1_3genE5ELNS1_11target_archE942ELNS1_3gpuE9ELNS1_3repE0EEENS1_30default_config_static_selectorELNS0_4arch9wavefront6targetE1EEEvT1_,"axG",@progbits,_ZN7rocprim17ROCPRIM_400000_NS6detail17trampoline_kernelINS0_14default_configENS1_20scan_config_selectorIiEEZZNS1_9scan_implILNS1_25lookback_scan_determinismE0ELb1ELb1ES3_N6thrust23THRUST_200600_302600_NS6detail15normal_iteratorINS9_10device_ptrIjEEEENSB_INSC_IfEEEEiNS9_4plusIvEEiEEDaPvRmT3_T4_T5_mT6_P12ihipStream_tbENKUlT_T0_E_clISt17integral_constantIbLb0EESV_IbLb1EEEEDaSR_SS_EUlSR_E0_NS1_11comp_targetILNS1_3genE5ELNS1_11target_archE942ELNS1_3gpuE9ELNS1_3repE0EEENS1_30default_config_static_selectorELNS0_4arch9wavefront6targetE1EEEvT1_,comdat
	.protected	_ZN7rocprim17ROCPRIM_400000_NS6detail17trampoline_kernelINS0_14default_configENS1_20scan_config_selectorIiEEZZNS1_9scan_implILNS1_25lookback_scan_determinismE0ELb1ELb1ES3_N6thrust23THRUST_200600_302600_NS6detail15normal_iteratorINS9_10device_ptrIjEEEENSB_INSC_IfEEEEiNS9_4plusIvEEiEEDaPvRmT3_T4_T5_mT6_P12ihipStream_tbENKUlT_T0_E_clISt17integral_constantIbLb0EESV_IbLb1EEEEDaSR_SS_EUlSR_E0_NS1_11comp_targetILNS1_3genE5ELNS1_11target_archE942ELNS1_3gpuE9ELNS1_3repE0EEENS1_30default_config_static_selectorELNS0_4arch9wavefront6targetE1EEEvT1_ ; -- Begin function _ZN7rocprim17ROCPRIM_400000_NS6detail17trampoline_kernelINS0_14default_configENS1_20scan_config_selectorIiEEZZNS1_9scan_implILNS1_25lookback_scan_determinismE0ELb1ELb1ES3_N6thrust23THRUST_200600_302600_NS6detail15normal_iteratorINS9_10device_ptrIjEEEENSB_INSC_IfEEEEiNS9_4plusIvEEiEEDaPvRmT3_T4_T5_mT6_P12ihipStream_tbENKUlT_T0_E_clISt17integral_constantIbLb0EESV_IbLb1EEEEDaSR_SS_EUlSR_E0_NS1_11comp_targetILNS1_3genE5ELNS1_11target_archE942ELNS1_3gpuE9ELNS1_3repE0EEENS1_30default_config_static_selectorELNS0_4arch9wavefront6targetE1EEEvT1_
	.globl	_ZN7rocprim17ROCPRIM_400000_NS6detail17trampoline_kernelINS0_14default_configENS1_20scan_config_selectorIiEEZZNS1_9scan_implILNS1_25lookback_scan_determinismE0ELb1ELb1ES3_N6thrust23THRUST_200600_302600_NS6detail15normal_iteratorINS9_10device_ptrIjEEEENSB_INSC_IfEEEEiNS9_4plusIvEEiEEDaPvRmT3_T4_T5_mT6_P12ihipStream_tbENKUlT_T0_E_clISt17integral_constantIbLb0EESV_IbLb1EEEEDaSR_SS_EUlSR_E0_NS1_11comp_targetILNS1_3genE5ELNS1_11target_archE942ELNS1_3gpuE9ELNS1_3repE0EEENS1_30default_config_static_selectorELNS0_4arch9wavefront6targetE1EEEvT1_
	.p2align	8
	.type	_ZN7rocprim17ROCPRIM_400000_NS6detail17trampoline_kernelINS0_14default_configENS1_20scan_config_selectorIiEEZZNS1_9scan_implILNS1_25lookback_scan_determinismE0ELb1ELb1ES3_N6thrust23THRUST_200600_302600_NS6detail15normal_iteratorINS9_10device_ptrIjEEEENSB_INSC_IfEEEEiNS9_4plusIvEEiEEDaPvRmT3_T4_T5_mT6_P12ihipStream_tbENKUlT_T0_E_clISt17integral_constantIbLb0EESV_IbLb1EEEEDaSR_SS_EUlSR_E0_NS1_11comp_targetILNS1_3genE5ELNS1_11target_archE942ELNS1_3gpuE9ELNS1_3repE0EEENS1_30default_config_static_selectorELNS0_4arch9wavefront6targetE1EEEvT1_,@function
_ZN7rocprim17ROCPRIM_400000_NS6detail17trampoline_kernelINS0_14default_configENS1_20scan_config_selectorIiEEZZNS1_9scan_implILNS1_25lookback_scan_determinismE0ELb1ELb1ES3_N6thrust23THRUST_200600_302600_NS6detail15normal_iteratorINS9_10device_ptrIjEEEENSB_INSC_IfEEEEiNS9_4plusIvEEiEEDaPvRmT3_T4_T5_mT6_P12ihipStream_tbENKUlT_T0_E_clISt17integral_constantIbLb0EESV_IbLb1EEEEDaSR_SS_EUlSR_E0_NS1_11comp_targetILNS1_3genE5ELNS1_11target_archE942ELNS1_3gpuE9ELNS1_3repE0EEENS1_30default_config_static_selectorELNS0_4arch9wavefront6targetE1EEEvT1_: ; @_ZN7rocprim17ROCPRIM_400000_NS6detail17trampoline_kernelINS0_14default_configENS1_20scan_config_selectorIiEEZZNS1_9scan_implILNS1_25lookback_scan_determinismE0ELb1ELb1ES3_N6thrust23THRUST_200600_302600_NS6detail15normal_iteratorINS9_10device_ptrIjEEEENSB_INSC_IfEEEEiNS9_4plusIvEEiEEDaPvRmT3_T4_T5_mT6_P12ihipStream_tbENKUlT_T0_E_clISt17integral_constantIbLb0EESV_IbLb1EEEEDaSR_SS_EUlSR_E0_NS1_11comp_targetILNS1_3genE5ELNS1_11target_archE942ELNS1_3gpuE9ELNS1_3repE0EEENS1_30default_config_static_selectorELNS0_4arch9wavefront6targetE1EEEvT1_
; %bb.0:
	.section	.rodata,"a",@progbits
	.p2align	6, 0x0
	.amdhsa_kernel _ZN7rocprim17ROCPRIM_400000_NS6detail17trampoline_kernelINS0_14default_configENS1_20scan_config_selectorIiEEZZNS1_9scan_implILNS1_25lookback_scan_determinismE0ELb1ELb1ES3_N6thrust23THRUST_200600_302600_NS6detail15normal_iteratorINS9_10device_ptrIjEEEENSB_INSC_IfEEEEiNS9_4plusIvEEiEEDaPvRmT3_T4_T5_mT6_P12ihipStream_tbENKUlT_T0_E_clISt17integral_constantIbLb0EESV_IbLb1EEEEDaSR_SS_EUlSR_E0_NS1_11comp_targetILNS1_3genE5ELNS1_11target_archE942ELNS1_3gpuE9ELNS1_3repE0EEENS1_30default_config_static_selectorELNS0_4arch9wavefront6targetE1EEEvT1_
		.amdhsa_group_segment_fixed_size 0
		.amdhsa_private_segment_fixed_size 0
		.amdhsa_kernarg_size 32
		.amdhsa_user_sgpr_count 6
		.amdhsa_user_sgpr_private_segment_buffer 1
		.amdhsa_user_sgpr_dispatch_ptr 0
		.amdhsa_user_sgpr_queue_ptr 0
		.amdhsa_user_sgpr_kernarg_segment_ptr 1
		.amdhsa_user_sgpr_dispatch_id 0
		.amdhsa_user_sgpr_flat_scratch_init 0
		.amdhsa_user_sgpr_kernarg_preload_length 0
		.amdhsa_user_sgpr_kernarg_preload_offset 0
		.amdhsa_user_sgpr_private_segment_size 0
		.amdhsa_uses_dynamic_stack 0
		.amdhsa_system_sgpr_private_segment_wavefront_offset 0
		.amdhsa_system_sgpr_workgroup_id_x 1
		.amdhsa_system_sgpr_workgroup_id_y 0
		.amdhsa_system_sgpr_workgroup_id_z 0
		.amdhsa_system_sgpr_workgroup_info 0
		.amdhsa_system_vgpr_workitem_id 0
		.amdhsa_next_free_vgpr 1
		.amdhsa_next_free_sgpr 0
		.amdhsa_accum_offset 4
		.amdhsa_reserve_vcc 0
		.amdhsa_reserve_flat_scratch 0
		.amdhsa_float_round_mode_32 0
		.amdhsa_float_round_mode_16_64 0
		.amdhsa_float_denorm_mode_32 3
		.amdhsa_float_denorm_mode_16_64 3
		.amdhsa_dx10_clamp 1
		.amdhsa_ieee_mode 1
		.amdhsa_fp16_overflow 0
		.amdhsa_tg_split 0
		.amdhsa_exception_fp_ieee_invalid_op 0
		.amdhsa_exception_fp_denorm_src 0
		.amdhsa_exception_fp_ieee_div_zero 0
		.amdhsa_exception_fp_ieee_overflow 0
		.amdhsa_exception_fp_ieee_underflow 0
		.amdhsa_exception_fp_ieee_inexact 0
		.amdhsa_exception_int_div_zero 0
	.end_amdhsa_kernel
	.section	.text._ZN7rocprim17ROCPRIM_400000_NS6detail17trampoline_kernelINS0_14default_configENS1_20scan_config_selectorIiEEZZNS1_9scan_implILNS1_25lookback_scan_determinismE0ELb1ELb1ES3_N6thrust23THRUST_200600_302600_NS6detail15normal_iteratorINS9_10device_ptrIjEEEENSB_INSC_IfEEEEiNS9_4plusIvEEiEEDaPvRmT3_T4_T5_mT6_P12ihipStream_tbENKUlT_T0_E_clISt17integral_constantIbLb0EESV_IbLb1EEEEDaSR_SS_EUlSR_E0_NS1_11comp_targetILNS1_3genE5ELNS1_11target_archE942ELNS1_3gpuE9ELNS1_3repE0EEENS1_30default_config_static_selectorELNS0_4arch9wavefront6targetE1EEEvT1_,"axG",@progbits,_ZN7rocprim17ROCPRIM_400000_NS6detail17trampoline_kernelINS0_14default_configENS1_20scan_config_selectorIiEEZZNS1_9scan_implILNS1_25lookback_scan_determinismE0ELb1ELb1ES3_N6thrust23THRUST_200600_302600_NS6detail15normal_iteratorINS9_10device_ptrIjEEEENSB_INSC_IfEEEEiNS9_4plusIvEEiEEDaPvRmT3_T4_T5_mT6_P12ihipStream_tbENKUlT_T0_E_clISt17integral_constantIbLb0EESV_IbLb1EEEEDaSR_SS_EUlSR_E0_NS1_11comp_targetILNS1_3genE5ELNS1_11target_archE942ELNS1_3gpuE9ELNS1_3repE0EEENS1_30default_config_static_selectorELNS0_4arch9wavefront6targetE1EEEvT1_,comdat
.Lfunc_end6224:
	.size	_ZN7rocprim17ROCPRIM_400000_NS6detail17trampoline_kernelINS0_14default_configENS1_20scan_config_selectorIiEEZZNS1_9scan_implILNS1_25lookback_scan_determinismE0ELb1ELb1ES3_N6thrust23THRUST_200600_302600_NS6detail15normal_iteratorINS9_10device_ptrIjEEEENSB_INSC_IfEEEEiNS9_4plusIvEEiEEDaPvRmT3_T4_T5_mT6_P12ihipStream_tbENKUlT_T0_E_clISt17integral_constantIbLb0EESV_IbLb1EEEEDaSR_SS_EUlSR_E0_NS1_11comp_targetILNS1_3genE5ELNS1_11target_archE942ELNS1_3gpuE9ELNS1_3repE0EEENS1_30default_config_static_selectorELNS0_4arch9wavefront6targetE1EEEvT1_, .Lfunc_end6224-_ZN7rocprim17ROCPRIM_400000_NS6detail17trampoline_kernelINS0_14default_configENS1_20scan_config_selectorIiEEZZNS1_9scan_implILNS1_25lookback_scan_determinismE0ELb1ELb1ES3_N6thrust23THRUST_200600_302600_NS6detail15normal_iteratorINS9_10device_ptrIjEEEENSB_INSC_IfEEEEiNS9_4plusIvEEiEEDaPvRmT3_T4_T5_mT6_P12ihipStream_tbENKUlT_T0_E_clISt17integral_constantIbLb0EESV_IbLb1EEEEDaSR_SS_EUlSR_E0_NS1_11comp_targetILNS1_3genE5ELNS1_11target_archE942ELNS1_3gpuE9ELNS1_3repE0EEENS1_30default_config_static_selectorELNS0_4arch9wavefront6targetE1EEEvT1_
                                        ; -- End function
	.section	.AMDGPU.csdata,"",@progbits
; Kernel info:
; codeLenInByte = 0
; NumSgprs: 4
; NumVgprs: 0
; NumAgprs: 0
; TotalNumVgprs: 0
; ScratchSize: 0
; MemoryBound: 0
; FloatMode: 240
; IeeeMode: 1
; LDSByteSize: 0 bytes/workgroup (compile time only)
; SGPRBlocks: 0
; VGPRBlocks: 0
; NumSGPRsForWavesPerEU: 4
; NumVGPRsForWavesPerEU: 1
; AccumOffset: 4
; Occupancy: 8
; WaveLimiterHint : 0
; COMPUTE_PGM_RSRC2:SCRATCH_EN: 0
; COMPUTE_PGM_RSRC2:USER_SGPR: 6
; COMPUTE_PGM_RSRC2:TRAP_HANDLER: 0
; COMPUTE_PGM_RSRC2:TGID_X_EN: 1
; COMPUTE_PGM_RSRC2:TGID_Y_EN: 0
; COMPUTE_PGM_RSRC2:TGID_Z_EN: 0
; COMPUTE_PGM_RSRC2:TIDIG_COMP_CNT: 0
; COMPUTE_PGM_RSRC3_GFX90A:ACCUM_OFFSET: 0
; COMPUTE_PGM_RSRC3_GFX90A:TG_SPLIT: 0
	.section	.text._ZN7rocprim17ROCPRIM_400000_NS6detail17trampoline_kernelINS0_14default_configENS1_20scan_config_selectorIiEEZZNS1_9scan_implILNS1_25lookback_scan_determinismE0ELb1ELb1ES3_N6thrust23THRUST_200600_302600_NS6detail15normal_iteratorINS9_10device_ptrIjEEEENSB_INSC_IfEEEEiNS9_4plusIvEEiEEDaPvRmT3_T4_T5_mT6_P12ihipStream_tbENKUlT_T0_E_clISt17integral_constantIbLb0EESV_IbLb1EEEEDaSR_SS_EUlSR_E0_NS1_11comp_targetILNS1_3genE4ELNS1_11target_archE910ELNS1_3gpuE8ELNS1_3repE0EEENS1_30default_config_static_selectorELNS0_4arch9wavefront6targetE1EEEvT1_,"axG",@progbits,_ZN7rocprim17ROCPRIM_400000_NS6detail17trampoline_kernelINS0_14default_configENS1_20scan_config_selectorIiEEZZNS1_9scan_implILNS1_25lookback_scan_determinismE0ELb1ELb1ES3_N6thrust23THRUST_200600_302600_NS6detail15normal_iteratorINS9_10device_ptrIjEEEENSB_INSC_IfEEEEiNS9_4plusIvEEiEEDaPvRmT3_T4_T5_mT6_P12ihipStream_tbENKUlT_T0_E_clISt17integral_constantIbLb0EESV_IbLb1EEEEDaSR_SS_EUlSR_E0_NS1_11comp_targetILNS1_3genE4ELNS1_11target_archE910ELNS1_3gpuE8ELNS1_3repE0EEENS1_30default_config_static_selectorELNS0_4arch9wavefront6targetE1EEEvT1_,comdat
	.protected	_ZN7rocprim17ROCPRIM_400000_NS6detail17trampoline_kernelINS0_14default_configENS1_20scan_config_selectorIiEEZZNS1_9scan_implILNS1_25lookback_scan_determinismE0ELb1ELb1ES3_N6thrust23THRUST_200600_302600_NS6detail15normal_iteratorINS9_10device_ptrIjEEEENSB_INSC_IfEEEEiNS9_4plusIvEEiEEDaPvRmT3_T4_T5_mT6_P12ihipStream_tbENKUlT_T0_E_clISt17integral_constantIbLb0EESV_IbLb1EEEEDaSR_SS_EUlSR_E0_NS1_11comp_targetILNS1_3genE4ELNS1_11target_archE910ELNS1_3gpuE8ELNS1_3repE0EEENS1_30default_config_static_selectorELNS0_4arch9wavefront6targetE1EEEvT1_ ; -- Begin function _ZN7rocprim17ROCPRIM_400000_NS6detail17trampoline_kernelINS0_14default_configENS1_20scan_config_selectorIiEEZZNS1_9scan_implILNS1_25lookback_scan_determinismE0ELb1ELb1ES3_N6thrust23THRUST_200600_302600_NS6detail15normal_iteratorINS9_10device_ptrIjEEEENSB_INSC_IfEEEEiNS9_4plusIvEEiEEDaPvRmT3_T4_T5_mT6_P12ihipStream_tbENKUlT_T0_E_clISt17integral_constantIbLb0EESV_IbLb1EEEEDaSR_SS_EUlSR_E0_NS1_11comp_targetILNS1_3genE4ELNS1_11target_archE910ELNS1_3gpuE8ELNS1_3repE0EEENS1_30default_config_static_selectorELNS0_4arch9wavefront6targetE1EEEvT1_
	.globl	_ZN7rocprim17ROCPRIM_400000_NS6detail17trampoline_kernelINS0_14default_configENS1_20scan_config_selectorIiEEZZNS1_9scan_implILNS1_25lookback_scan_determinismE0ELb1ELb1ES3_N6thrust23THRUST_200600_302600_NS6detail15normal_iteratorINS9_10device_ptrIjEEEENSB_INSC_IfEEEEiNS9_4plusIvEEiEEDaPvRmT3_T4_T5_mT6_P12ihipStream_tbENKUlT_T0_E_clISt17integral_constantIbLb0EESV_IbLb1EEEEDaSR_SS_EUlSR_E0_NS1_11comp_targetILNS1_3genE4ELNS1_11target_archE910ELNS1_3gpuE8ELNS1_3repE0EEENS1_30default_config_static_selectorELNS0_4arch9wavefront6targetE1EEEvT1_
	.p2align	8
	.type	_ZN7rocprim17ROCPRIM_400000_NS6detail17trampoline_kernelINS0_14default_configENS1_20scan_config_selectorIiEEZZNS1_9scan_implILNS1_25lookback_scan_determinismE0ELb1ELb1ES3_N6thrust23THRUST_200600_302600_NS6detail15normal_iteratorINS9_10device_ptrIjEEEENSB_INSC_IfEEEEiNS9_4plusIvEEiEEDaPvRmT3_T4_T5_mT6_P12ihipStream_tbENKUlT_T0_E_clISt17integral_constantIbLb0EESV_IbLb1EEEEDaSR_SS_EUlSR_E0_NS1_11comp_targetILNS1_3genE4ELNS1_11target_archE910ELNS1_3gpuE8ELNS1_3repE0EEENS1_30default_config_static_selectorELNS0_4arch9wavefront6targetE1EEEvT1_,@function
_ZN7rocprim17ROCPRIM_400000_NS6detail17trampoline_kernelINS0_14default_configENS1_20scan_config_selectorIiEEZZNS1_9scan_implILNS1_25lookback_scan_determinismE0ELb1ELb1ES3_N6thrust23THRUST_200600_302600_NS6detail15normal_iteratorINS9_10device_ptrIjEEEENSB_INSC_IfEEEEiNS9_4plusIvEEiEEDaPvRmT3_T4_T5_mT6_P12ihipStream_tbENKUlT_T0_E_clISt17integral_constantIbLb0EESV_IbLb1EEEEDaSR_SS_EUlSR_E0_NS1_11comp_targetILNS1_3genE4ELNS1_11target_archE910ELNS1_3gpuE8ELNS1_3repE0EEENS1_30default_config_static_selectorELNS0_4arch9wavefront6targetE1EEEvT1_: ; @_ZN7rocprim17ROCPRIM_400000_NS6detail17trampoline_kernelINS0_14default_configENS1_20scan_config_selectorIiEEZZNS1_9scan_implILNS1_25lookback_scan_determinismE0ELb1ELb1ES3_N6thrust23THRUST_200600_302600_NS6detail15normal_iteratorINS9_10device_ptrIjEEEENSB_INSC_IfEEEEiNS9_4plusIvEEiEEDaPvRmT3_T4_T5_mT6_P12ihipStream_tbENKUlT_T0_E_clISt17integral_constantIbLb0EESV_IbLb1EEEEDaSR_SS_EUlSR_E0_NS1_11comp_targetILNS1_3genE4ELNS1_11target_archE910ELNS1_3gpuE8ELNS1_3repE0EEENS1_30default_config_static_selectorELNS0_4arch9wavefront6targetE1EEEvT1_
; %bb.0:
	s_load_dwordx4 s[20:23], s[4:5], 0x0
	v_lshlrev_b32_e32 v14, 2, v0
	s_waitcnt lgkmcnt(0)
	s_load_dword s23, s[20:21], 0x0
	v_cmp_gt_u32_e32 vcc, s22, v0
	s_waitcnt lgkmcnt(0)
	v_mov_b32_e32 v1, s23
	s_and_saveexec_b64 s[0:1], vcc
	s_cbranch_execz .LBB6225_2
; %bb.1:
	global_load_dword v1, v14, s[20:21]
.LBB6225_2:
	s_or_b64 exec, exec, s[0:1]
	v_or_b32_e32 v2, 0x80, v0
	v_cmp_gt_u32_e64 s[0:1], s22, v2
	v_mov_b32_e32 v2, s23
	s_and_saveexec_b64 s[2:3], s[0:1]
	s_cbranch_execz .LBB6225_4
; %bb.3:
	global_load_dword v2, v14, s[20:21] offset:512
.LBB6225_4:
	s_or_b64 exec, exec, s[2:3]
	v_or_b32_e32 v3, 0x100, v0
	v_cmp_gt_u32_e64 s[2:3], s22, v3
	v_mov_b32_e32 v3, s23
	s_and_saveexec_b64 s[6:7], s[2:3]
	s_cbranch_execz .LBB6225_6
; %bb.5:
	global_load_dword v3, v14, s[20:21] offset:1024
.LBB6225_6:
	;; [unrolled: 9-line block ×7, first 2 shown]
	s_or_b64 exec, exec, s[14:15]
	v_or_b32_e32 v10, 0x400, v0
	v_cmp_gt_u32_e64 s[14:15], s22, v10
	v_mov_b32_e32 v9, s23
	s_and_saveexec_b64 s[16:17], s[14:15]
	s_cbranch_execz .LBB6225_18
; %bb.17:
	v_lshlrev_b32_e32 v9, 2, v10
	global_load_dword v9, v9, s[20:21]
.LBB6225_18:
	s_or_b64 exec, exec, s[16:17]
	s_load_dword s24, s[4:5], 0x10
	v_or_b32_e32 v11, 0x480, v0
	v_cmp_gt_u32_e64 s[16:17], s22, v11
	v_mov_b32_e32 v10, s23
	s_and_saveexec_b64 s[22:23], s[16:17]
	s_cbranch_execz .LBB6225_20
; %bb.19:
	v_lshlrev_b32_e32 v10, 2, v11
	global_load_dword v10, v10, s[20:21]
.LBB6225_20:
	s_or_b64 exec, exec, s[22:23]
	s_waitcnt vmcnt(0)
	ds_write2st64_b32 v14, v1, v2 offset1:2
	ds_write2st64_b32 v14, v3, v4 offset0:4 offset1:6
	ds_write2st64_b32 v14, v5, v6 offset0:8 offset1:10
	;; [unrolled: 1-line block ×4, first 2 shown]
	v_mad_u32_u24 v1, v0, 36, v14
	s_waitcnt lgkmcnt(0)
	s_barrier
	ds_read2_b64 v[6:9], v1 offset1:1
	ds_read2_b64 v[2:5], v1 offset0:2 offset1:3
	ds_read_b64 v[10:11], v1 offset:32
	s_load_dwordx2 s[20:21], s[4:5], 0x18
	v_cmp_gt_u32_e64 s[4:5], 64, v0
	s_waitcnt lgkmcnt(0)
	v_add_u32_e32 v1, v7, v6
	v_add3_u32 v1, v1, v8, v9
	v_add3_u32 v1, v1, v2, v3
	v_add3_u32 v1, v1, v4, v5
	v_add3_u32 v1, v1, v10, v11
	v_lshrrev_b32_e32 v11, 3, v0
	v_and_b32_e32 v11, 12, v11
	v_add_u32_e32 v11, v14, v11
	s_barrier
	ds_write_b32 v11, v1
	s_waitcnt lgkmcnt(0)
	s_barrier
	s_and_saveexec_b64 s[22:23], s[4:5]
	s_cbranch_execz .LBB6225_22
; %bb.21:
	v_lshlrev_b32_e32 v11, 1, v0
	v_lshrrev_b32_e32 v12, 4, v0
	v_add_lshl_u32 v11, v12, v11, 2
	ds_read2_b32 v[12:13], v11 offset1:1
	v_mbcnt_lo_u32_b32 v15, -1, 0
	v_mbcnt_hi_u32_b32 v15, -1, v15
	v_and_b32_e32 v16, 15, v15
	v_cmp_ne_u32_e64 s[4:5], 0, v16
	s_waitcnt lgkmcnt(0)
	v_add_u32_e32 v13, v13, v12
	; wave barrier
	s_nop 1
	v_mov_b32_dpp v17, v13 row_shr:1 row_mask:0xf bank_mask:0xf
	v_cndmask_b32_e64 v17, 0, v17, s[4:5]
	v_add_u32_e32 v13, v17, v13
	v_cmp_lt_u32_e64 s[4:5], 1, v16
	s_nop 0
	v_mov_b32_dpp v17, v13 row_shr:2 row_mask:0xf bank_mask:0xf
	v_cndmask_b32_e64 v17, 0, v17, s[4:5]
	v_add_u32_e32 v13, v13, v17
	v_cmp_lt_u32_e64 s[4:5], 3, v16
	;; [unrolled: 5-line block ×3, first 2 shown]
	s_nop 0
	v_mov_b32_dpp v17, v13 row_shr:8 row_mask:0xf bank_mask:0xf
	v_cndmask_b32_e64 v16, 0, v17, s[4:5]
	v_add_u32_e32 v13, v13, v16
	v_bfe_i32 v17, v15, 4, 1
	v_cmp_lt_u32_e64 s[4:5], 31, v15
	v_mov_b32_dpp v16, v13 row_bcast:15 row_mask:0xf bank_mask:0xf
	v_and_b32_e32 v16, v17, v16
	v_add_u32_e32 v13, v13, v16
	v_and_b32_e32 v17, 64, v15
	s_nop 0
	v_mov_b32_dpp v16, v13 row_bcast:31 row_mask:0xf bank_mask:0xf
	v_cndmask_b32_e64 v16, 0, v16, s[4:5]
	v_add_u32_e32 v13, v13, v16
	v_add_u32_e32 v16, -1, v15
	v_cmp_lt_i32_e64 s[4:5], v16, v17
	v_cndmask_b32_e64 v15, v16, v15, s[4:5]
	v_lshlrev_b32_e32 v15, 2, v15
	ds_bpermute_b32 v13, v15, v13
	v_cmp_eq_u32_e64 s[4:5], 0, v0
	s_waitcnt lgkmcnt(0)
	v_add_u32_e32 v12, v13, v12
	v_cndmask_b32_e64 v1, v12, v1, s[4:5]
	ds_write_b32 v11, v1
	; wave barrier
	ds_read_b32 v12, v11 offset:4
	s_waitcnt lgkmcnt(0)
	v_add_u32_e32 v1, v12, v1
	ds_write_b32 v11, v1 offset:4
.LBB6225_22:
	s_or_b64 exec, exec, s[22:23]
	v_mul_u32_u24_e32 v1, 36, v0
	v_cmp_ne_u32_e64 s[4:5], 0, v0
	v_mov_b32_e32 v12, s24
	s_waitcnt lgkmcnt(0)
	s_barrier
	s_and_saveexec_b64 s[22:23], s[4:5]
	s_cbranch_execz .LBB6225_24
; %bb.23:
	v_add_u32_e32 v0, -1, v0
	v_lshrrev_b32_e32 v11, 5, v0
	v_add_lshl_u32 v0, v11, v0, 2
	ds_read_b32 v0, v0
	s_waitcnt lgkmcnt(0)
	v_add_u32_e32 v12, s24, v0
.LBB6225_24:
	s_or_b64 exec, exec, s[22:23]
	v_add_u32_e32 v13, v12, v6
	v_add_u32_e32 v6, v13, v7
	;; [unrolled: 1-line block ×10, first 2 shown]
	s_barrier
	ds_write2_b64 v0, v[12:13], v[6:7] offset1:1
	ds_write2_b64 v0, v[8:9], v[2:3] offset0:2 offset1:3
	ds_write_b64 v0, v[4:5] offset:32
	s_waitcnt lgkmcnt(0)
	s_barrier
	ds_read2st64_b32 v[8:9], v14 offset0:2 offset1:4
	ds_read2st64_b32 v[6:7], v14 offset0:6 offset1:8
	;; [unrolled: 1-line block ×4, first 2 shown]
	ds_read_b32 v10, v14 offset:4608
	v_mov_b32_e32 v1, s21
	v_add_co_u32_e64 v0, s[4:5], s20, v14
	v_addc_co_u32_e64 v1, s[4:5], 0, v1, s[4:5]
	s_and_saveexec_b64 s[4:5], vcc
	s_cbranch_execnz .LBB6225_35
; %bb.25:
	s_or_b64 exec, exec, s[4:5]
	s_and_saveexec_b64 s[4:5], s[0:1]
	s_cbranch_execnz .LBB6225_36
.LBB6225_26:
	s_or_b64 exec, exec, s[4:5]
	s_and_saveexec_b64 s[0:1], s[2:3]
	s_cbranch_execnz .LBB6225_37
.LBB6225_27:
	s_or_b64 exec, exec, s[0:1]
	s_and_saveexec_b64 s[0:1], s[18:19]
	s_cbranch_execnz .LBB6225_38
.LBB6225_28:
	s_or_b64 exec, exec, s[0:1]
	s_and_saveexec_b64 s[0:1], s[6:7]
	s_cbranch_execnz .LBB6225_39
.LBB6225_29:
	s_or_b64 exec, exec, s[0:1]
	s_and_saveexec_b64 s[0:1], s[8:9]
	s_cbranch_execnz .LBB6225_40
.LBB6225_30:
	s_or_b64 exec, exec, s[0:1]
	s_and_saveexec_b64 s[0:1], s[10:11]
	s_cbranch_execnz .LBB6225_41
.LBB6225_31:
	s_or_b64 exec, exec, s[0:1]
	s_and_saveexec_b64 s[0:1], s[12:13]
	s_cbranch_execnz .LBB6225_42
.LBB6225_32:
	s_or_b64 exec, exec, s[0:1]
	s_and_saveexec_b64 s[0:1], s[14:15]
	s_cbranch_execnz .LBB6225_43
.LBB6225_33:
	s_or_b64 exec, exec, s[0:1]
	s_and_saveexec_b64 s[0:1], s[16:17]
	s_cbranch_execnz .LBB6225_44
.LBB6225_34:
	s_endpgm
.LBB6225_35:
	ds_read_b32 v11, v14
	s_waitcnt lgkmcnt(0)
	v_cvt_f32_i32_e32 v11, v11
	global_store_dword v[0:1], v11, off
	s_or_b64 exec, exec, s[4:5]
	s_and_saveexec_b64 s[4:5], s[0:1]
	s_cbranch_execz .LBB6225_26
.LBB6225_36:
	s_waitcnt lgkmcnt(4)
	v_cvt_f32_i32_e32 v8, v8
	global_store_dword v[0:1], v8, off offset:512
	s_or_b64 exec, exec, s[4:5]
	s_and_saveexec_b64 s[0:1], s[2:3]
	s_cbranch_execz .LBB6225_27
.LBB6225_37:
	s_waitcnt lgkmcnt(4)
	v_cvt_f32_i32_e32 v8, v9
	global_store_dword v[0:1], v8, off offset:1024
	s_or_b64 exec, exec, s[0:1]
	s_and_saveexec_b64 s[0:1], s[18:19]
	s_cbranch_execz .LBB6225_28
.LBB6225_38:
	s_waitcnt lgkmcnt(3)
	v_cvt_f32_i32_e32 v6, v6
	global_store_dword v[0:1], v6, off offset:1536
	s_or_b64 exec, exec, s[0:1]
	s_and_saveexec_b64 s[0:1], s[6:7]
	s_cbranch_execz .LBB6225_29
.LBB6225_39:
	s_waitcnt lgkmcnt(3)
	v_cvt_f32_i32_e32 v6, v7
	global_store_dword v[0:1], v6, off offset:2048
	s_or_b64 exec, exec, s[0:1]
	s_and_saveexec_b64 s[0:1], s[8:9]
	s_cbranch_execz .LBB6225_30
.LBB6225_40:
	s_waitcnt lgkmcnt(2)
	v_cvt_f32_i32_e32 v4, v4
	global_store_dword v[0:1], v4, off offset:2560
	s_or_b64 exec, exec, s[0:1]
	s_and_saveexec_b64 s[0:1], s[10:11]
	s_cbranch_execz .LBB6225_31
.LBB6225_41:
	s_waitcnt lgkmcnt(2)
	v_cvt_f32_i32_e32 v4, v5
	global_store_dword v[0:1], v4, off offset:3072
	s_or_b64 exec, exec, s[0:1]
	s_and_saveexec_b64 s[0:1], s[12:13]
	s_cbranch_execz .LBB6225_32
.LBB6225_42:
	s_waitcnt lgkmcnt(1)
	v_cvt_f32_i32_e32 v2, v2
	global_store_dword v[0:1], v2, off offset:3584
	s_or_b64 exec, exec, s[0:1]
	s_and_saveexec_b64 s[0:1], s[14:15]
	s_cbranch_execz .LBB6225_33
.LBB6225_43:
	s_waitcnt lgkmcnt(1)
	v_cvt_f32_i32_e32 v4, v3
	v_add_co_u32_e32 v2, vcc, 0x1000, v0
	v_addc_co_u32_e32 v3, vcc, 0, v1, vcc
	global_store_dword v[2:3], v4, off
	s_or_b64 exec, exec, s[0:1]
	s_and_saveexec_b64 s[0:1], s[16:17]
	s_cbranch_execz .LBB6225_34
.LBB6225_44:
	s_waitcnt lgkmcnt(0)
	v_cvt_f32_i32_e32 v2, v10
	v_add_co_u32_e32 v0, vcc, 0x1000, v0
	v_addc_co_u32_e32 v1, vcc, 0, v1, vcc
	global_store_dword v[0:1], v2, off offset:512
	s_endpgm
	.section	.rodata,"a",@progbits
	.p2align	6, 0x0
	.amdhsa_kernel _ZN7rocprim17ROCPRIM_400000_NS6detail17trampoline_kernelINS0_14default_configENS1_20scan_config_selectorIiEEZZNS1_9scan_implILNS1_25lookback_scan_determinismE0ELb1ELb1ES3_N6thrust23THRUST_200600_302600_NS6detail15normal_iteratorINS9_10device_ptrIjEEEENSB_INSC_IfEEEEiNS9_4plusIvEEiEEDaPvRmT3_T4_T5_mT6_P12ihipStream_tbENKUlT_T0_E_clISt17integral_constantIbLb0EESV_IbLb1EEEEDaSR_SS_EUlSR_E0_NS1_11comp_targetILNS1_3genE4ELNS1_11target_archE910ELNS1_3gpuE8ELNS1_3repE0EEENS1_30default_config_static_selectorELNS0_4arch9wavefront6targetE1EEEvT1_
		.amdhsa_group_segment_fixed_size 5120
		.amdhsa_private_segment_fixed_size 0
		.amdhsa_kernarg_size 32
		.amdhsa_user_sgpr_count 6
		.amdhsa_user_sgpr_private_segment_buffer 1
		.amdhsa_user_sgpr_dispatch_ptr 0
		.amdhsa_user_sgpr_queue_ptr 0
		.amdhsa_user_sgpr_kernarg_segment_ptr 1
		.amdhsa_user_sgpr_dispatch_id 0
		.amdhsa_user_sgpr_flat_scratch_init 0
		.amdhsa_user_sgpr_kernarg_preload_length 0
		.amdhsa_user_sgpr_kernarg_preload_offset 0
		.amdhsa_user_sgpr_private_segment_size 0
		.amdhsa_uses_dynamic_stack 0
		.amdhsa_system_sgpr_private_segment_wavefront_offset 0
		.amdhsa_system_sgpr_workgroup_id_x 1
		.amdhsa_system_sgpr_workgroup_id_y 0
		.amdhsa_system_sgpr_workgroup_id_z 0
		.amdhsa_system_sgpr_workgroup_info 0
		.amdhsa_system_vgpr_workitem_id 0
		.amdhsa_next_free_vgpr 18
		.amdhsa_next_free_sgpr 25
		.amdhsa_accum_offset 20
		.amdhsa_reserve_vcc 1
		.amdhsa_reserve_flat_scratch 0
		.amdhsa_float_round_mode_32 0
		.amdhsa_float_round_mode_16_64 0
		.amdhsa_float_denorm_mode_32 3
		.amdhsa_float_denorm_mode_16_64 3
		.amdhsa_dx10_clamp 1
		.amdhsa_ieee_mode 1
		.amdhsa_fp16_overflow 0
		.amdhsa_tg_split 0
		.amdhsa_exception_fp_ieee_invalid_op 0
		.amdhsa_exception_fp_denorm_src 0
		.amdhsa_exception_fp_ieee_div_zero 0
		.amdhsa_exception_fp_ieee_overflow 0
		.amdhsa_exception_fp_ieee_underflow 0
		.amdhsa_exception_fp_ieee_inexact 0
		.amdhsa_exception_int_div_zero 0
	.end_amdhsa_kernel
	.section	.text._ZN7rocprim17ROCPRIM_400000_NS6detail17trampoline_kernelINS0_14default_configENS1_20scan_config_selectorIiEEZZNS1_9scan_implILNS1_25lookback_scan_determinismE0ELb1ELb1ES3_N6thrust23THRUST_200600_302600_NS6detail15normal_iteratorINS9_10device_ptrIjEEEENSB_INSC_IfEEEEiNS9_4plusIvEEiEEDaPvRmT3_T4_T5_mT6_P12ihipStream_tbENKUlT_T0_E_clISt17integral_constantIbLb0EESV_IbLb1EEEEDaSR_SS_EUlSR_E0_NS1_11comp_targetILNS1_3genE4ELNS1_11target_archE910ELNS1_3gpuE8ELNS1_3repE0EEENS1_30default_config_static_selectorELNS0_4arch9wavefront6targetE1EEEvT1_,"axG",@progbits,_ZN7rocprim17ROCPRIM_400000_NS6detail17trampoline_kernelINS0_14default_configENS1_20scan_config_selectorIiEEZZNS1_9scan_implILNS1_25lookback_scan_determinismE0ELb1ELb1ES3_N6thrust23THRUST_200600_302600_NS6detail15normal_iteratorINS9_10device_ptrIjEEEENSB_INSC_IfEEEEiNS9_4plusIvEEiEEDaPvRmT3_T4_T5_mT6_P12ihipStream_tbENKUlT_T0_E_clISt17integral_constantIbLb0EESV_IbLb1EEEEDaSR_SS_EUlSR_E0_NS1_11comp_targetILNS1_3genE4ELNS1_11target_archE910ELNS1_3gpuE8ELNS1_3repE0EEENS1_30default_config_static_selectorELNS0_4arch9wavefront6targetE1EEEvT1_,comdat
.Lfunc_end6225:
	.size	_ZN7rocprim17ROCPRIM_400000_NS6detail17trampoline_kernelINS0_14default_configENS1_20scan_config_selectorIiEEZZNS1_9scan_implILNS1_25lookback_scan_determinismE0ELb1ELb1ES3_N6thrust23THRUST_200600_302600_NS6detail15normal_iteratorINS9_10device_ptrIjEEEENSB_INSC_IfEEEEiNS9_4plusIvEEiEEDaPvRmT3_T4_T5_mT6_P12ihipStream_tbENKUlT_T0_E_clISt17integral_constantIbLb0EESV_IbLb1EEEEDaSR_SS_EUlSR_E0_NS1_11comp_targetILNS1_3genE4ELNS1_11target_archE910ELNS1_3gpuE8ELNS1_3repE0EEENS1_30default_config_static_selectorELNS0_4arch9wavefront6targetE1EEEvT1_, .Lfunc_end6225-_ZN7rocprim17ROCPRIM_400000_NS6detail17trampoline_kernelINS0_14default_configENS1_20scan_config_selectorIiEEZZNS1_9scan_implILNS1_25lookback_scan_determinismE0ELb1ELb1ES3_N6thrust23THRUST_200600_302600_NS6detail15normal_iteratorINS9_10device_ptrIjEEEENSB_INSC_IfEEEEiNS9_4plusIvEEiEEDaPvRmT3_T4_T5_mT6_P12ihipStream_tbENKUlT_T0_E_clISt17integral_constantIbLb0EESV_IbLb1EEEEDaSR_SS_EUlSR_E0_NS1_11comp_targetILNS1_3genE4ELNS1_11target_archE910ELNS1_3gpuE8ELNS1_3repE0EEENS1_30default_config_static_selectorELNS0_4arch9wavefront6targetE1EEEvT1_
                                        ; -- End function
	.section	.AMDGPU.csdata,"",@progbits
; Kernel info:
; codeLenInByte = 1572
; NumSgprs: 29
; NumVgprs: 18
; NumAgprs: 0
; TotalNumVgprs: 18
; ScratchSize: 0
; MemoryBound: 0
; FloatMode: 240
; IeeeMode: 1
; LDSByteSize: 5120 bytes/workgroup (compile time only)
; SGPRBlocks: 3
; VGPRBlocks: 2
; NumSGPRsForWavesPerEU: 29
; NumVGPRsForWavesPerEU: 18
; AccumOffset: 20
; Occupancy: 6
; WaveLimiterHint : 0
; COMPUTE_PGM_RSRC2:SCRATCH_EN: 0
; COMPUTE_PGM_RSRC2:USER_SGPR: 6
; COMPUTE_PGM_RSRC2:TRAP_HANDLER: 0
; COMPUTE_PGM_RSRC2:TGID_X_EN: 1
; COMPUTE_PGM_RSRC2:TGID_Y_EN: 0
; COMPUTE_PGM_RSRC2:TGID_Z_EN: 0
; COMPUTE_PGM_RSRC2:TIDIG_COMP_CNT: 0
; COMPUTE_PGM_RSRC3_GFX90A:ACCUM_OFFSET: 4
; COMPUTE_PGM_RSRC3_GFX90A:TG_SPLIT: 0
	.section	.text._ZN7rocprim17ROCPRIM_400000_NS6detail17trampoline_kernelINS0_14default_configENS1_20scan_config_selectorIiEEZZNS1_9scan_implILNS1_25lookback_scan_determinismE0ELb1ELb1ES3_N6thrust23THRUST_200600_302600_NS6detail15normal_iteratorINS9_10device_ptrIjEEEENSB_INSC_IfEEEEiNS9_4plusIvEEiEEDaPvRmT3_T4_T5_mT6_P12ihipStream_tbENKUlT_T0_E_clISt17integral_constantIbLb0EESV_IbLb1EEEEDaSR_SS_EUlSR_E0_NS1_11comp_targetILNS1_3genE3ELNS1_11target_archE908ELNS1_3gpuE7ELNS1_3repE0EEENS1_30default_config_static_selectorELNS0_4arch9wavefront6targetE1EEEvT1_,"axG",@progbits,_ZN7rocprim17ROCPRIM_400000_NS6detail17trampoline_kernelINS0_14default_configENS1_20scan_config_selectorIiEEZZNS1_9scan_implILNS1_25lookback_scan_determinismE0ELb1ELb1ES3_N6thrust23THRUST_200600_302600_NS6detail15normal_iteratorINS9_10device_ptrIjEEEENSB_INSC_IfEEEEiNS9_4plusIvEEiEEDaPvRmT3_T4_T5_mT6_P12ihipStream_tbENKUlT_T0_E_clISt17integral_constantIbLb0EESV_IbLb1EEEEDaSR_SS_EUlSR_E0_NS1_11comp_targetILNS1_3genE3ELNS1_11target_archE908ELNS1_3gpuE7ELNS1_3repE0EEENS1_30default_config_static_selectorELNS0_4arch9wavefront6targetE1EEEvT1_,comdat
	.protected	_ZN7rocprim17ROCPRIM_400000_NS6detail17trampoline_kernelINS0_14default_configENS1_20scan_config_selectorIiEEZZNS1_9scan_implILNS1_25lookback_scan_determinismE0ELb1ELb1ES3_N6thrust23THRUST_200600_302600_NS6detail15normal_iteratorINS9_10device_ptrIjEEEENSB_INSC_IfEEEEiNS9_4plusIvEEiEEDaPvRmT3_T4_T5_mT6_P12ihipStream_tbENKUlT_T0_E_clISt17integral_constantIbLb0EESV_IbLb1EEEEDaSR_SS_EUlSR_E0_NS1_11comp_targetILNS1_3genE3ELNS1_11target_archE908ELNS1_3gpuE7ELNS1_3repE0EEENS1_30default_config_static_selectorELNS0_4arch9wavefront6targetE1EEEvT1_ ; -- Begin function _ZN7rocprim17ROCPRIM_400000_NS6detail17trampoline_kernelINS0_14default_configENS1_20scan_config_selectorIiEEZZNS1_9scan_implILNS1_25lookback_scan_determinismE0ELb1ELb1ES3_N6thrust23THRUST_200600_302600_NS6detail15normal_iteratorINS9_10device_ptrIjEEEENSB_INSC_IfEEEEiNS9_4plusIvEEiEEDaPvRmT3_T4_T5_mT6_P12ihipStream_tbENKUlT_T0_E_clISt17integral_constantIbLb0EESV_IbLb1EEEEDaSR_SS_EUlSR_E0_NS1_11comp_targetILNS1_3genE3ELNS1_11target_archE908ELNS1_3gpuE7ELNS1_3repE0EEENS1_30default_config_static_selectorELNS0_4arch9wavefront6targetE1EEEvT1_
	.globl	_ZN7rocprim17ROCPRIM_400000_NS6detail17trampoline_kernelINS0_14default_configENS1_20scan_config_selectorIiEEZZNS1_9scan_implILNS1_25lookback_scan_determinismE0ELb1ELb1ES3_N6thrust23THRUST_200600_302600_NS6detail15normal_iteratorINS9_10device_ptrIjEEEENSB_INSC_IfEEEEiNS9_4plusIvEEiEEDaPvRmT3_T4_T5_mT6_P12ihipStream_tbENKUlT_T0_E_clISt17integral_constantIbLb0EESV_IbLb1EEEEDaSR_SS_EUlSR_E0_NS1_11comp_targetILNS1_3genE3ELNS1_11target_archE908ELNS1_3gpuE7ELNS1_3repE0EEENS1_30default_config_static_selectorELNS0_4arch9wavefront6targetE1EEEvT1_
	.p2align	8
	.type	_ZN7rocprim17ROCPRIM_400000_NS6detail17trampoline_kernelINS0_14default_configENS1_20scan_config_selectorIiEEZZNS1_9scan_implILNS1_25lookback_scan_determinismE0ELb1ELb1ES3_N6thrust23THRUST_200600_302600_NS6detail15normal_iteratorINS9_10device_ptrIjEEEENSB_INSC_IfEEEEiNS9_4plusIvEEiEEDaPvRmT3_T4_T5_mT6_P12ihipStream_tbENKUlT_T0_E_clISt17integral_constantIbLb0EESV_IbLb1EEEEDaSR_SS_EUlSR_E0_NS1_11comp_targetILNS1_3genE3ELNS1_11target_archE908ELNS1_3gpuE7ELNS1_3repE0EEENS1_30default_config_static_selectorELNS0_4arch9wavefront6targetE1EEEvT1_,@function
_ZN7rocprim17ROCPRIM_400000_NS6detail17trampoline_kernelINS0_14default_configENS1_20scan_config_selectorIiEEZZNS1_9scan_implILNS1_25lookback_scan_determinismE0ELb1ELb1ES3_N6thrust23THRUST_200600_302600_NS6detail15normal_iteratorINS9_10device_ptrIjEEEENSB_INSC_IfEEEEiNS9_4plusIvEEiEEDaPvRmT3_T4_T5_mT6_P12ihipStream_tbENKUlT_T0_E_clISt17integral_constantIbLb0EESV_IbLb1EEEEDaSR_SS_EUlSR_E0_NS1_11comp_targetILNS1_3genE3ELNS1_11target_archE908ELNS1_3gpuE7ELNS1_3repE0EEENS1_30default_config_static_selectorELNS0_4arch9wavefront6targetE1EEEvT1_: ; @_ZN7rocprim17ROCPRIM_400000_NS6detail17trampoline_kernelINS0_14default_configENS1_20scan_config_selectorIiEEZZNS1_9scan_implILNS1_25lookback_scan_determinismE0ELb1ELb1ES3_N6thrust23THRUST_200600_302600_NS6detail15normal_iteratorINS9_10device_ptrIjEEEENSB_INSC_IfEEEEiNS9_4plusIvEEiEEDaPvRmT3_T4_T5_mT6_P12ihipStream_tbENKUlT_T0_E_clISt17integral_constantIbLb0EESV_IbLb1EEEEDaSR_SS_EUlSR_E0_NS1_11comp_targetILNS1_3genE3ELNS1_11target_archE908ELNS1_3gpuE7ELNS1_3repE0EEENS1_30default_config_static_selectorELNS0_4arch9wavefront6targetE1EEEvT1_
; %bb.0:
	.section	.rodata,"a",@progbits
	.p2align	6, 0x0
	.amdhsa_kernel _ZN7rocprim17ROCPRIM_400000_NS6detail17trampoline_kernelINS0_14default_configENS1_20scan_config_selectorIiEEZZNS1_9scan_implILNS1_25lookback_scan_determinismE0ELb1ELb1ES3_N6thrust23THRUST_200600_302600_NS6detail15normal_iteratorINS9_10device_ptrIjEEEENSB_INSC_IfEEEEiNS9_4plusIvEEiEEDaPvRmT3_T4_T5_mT6_P12ihipStream_tbENKUlT_T0_E_clISt17integral_constantIbLb0EESV_IbLb1EEEEDaSR_SS_EUlSR_E0_NS1_11comp_targetILNS1_3genE3ELNS1_11target_archE908ELNS1_3gpuE7ELNS1_3repE0EEENS1_30default_config_static_selectorELNS0_4arch9wavefront6targetE1EEEvT1_
		.amdhsa_group_segment_fixed_size 0
		.amdhsa_private_segment_fixed_size 0
		.amdhsa_kernarg_size 32
		.amdhsa_user_sgpr_count 6
		.amdhsa_user_sgpr_private_segment_buffer 1
		.amdhsa_user_sgpr_dispatch_ptr 0
		.amdhsa_user_sgpr_queue_ptr 0
		.amdhsa_user_sgpr_kernarg_segment_ptr 1
		.amdhsa_user_sgpr_dispatch_id 0
		.amdhsa_user_sgpr_flat_scratch_init 0
		.amdhsa_user_sgpr_kernarg_preload_length 0
		.amdhsa_user_sgpr_kernarg_preload_offset 0
		.amdhsa_user_sgpr_private_segment_size 0
		.amdhsa_uses_dynamic_stack 0
		.amdhsa_system_sgpr_private_segment_wavefront_offset 0
		.amdhsa_system_sgpr_workgroup_id_x 1
		.amdhsa_system_sgpr_workgroup_id_y 0
		.amdhsa_system_sgpr_workgroup_id_z 0
		.amdhsa_system_sgpr_workgroup_info 0
		.amdhsa_system_vgpr_workitem_id 0
		.amdhsa_next_free_vgpr 1
		.amdhsa_next_free_sgpr 0
		.amdhsa_accum_offset 4
		.amdhsa_reserve_vcc 0
		.amdhsa_reserve_flat_scratch 0
		.amdhsa_float_round_mode_32 0
		.amdhsa_float_round_mode_16_64 0
		.amdhsa_float_denorm_mode_32 3
		.amdhsa_float_denorm_mode_16_64 3
		.amdhsa_dx10_clamp 1
		.amdhsa_ieee_mode 1
		.amdhsa_fp16_overflow 0
		.amdhsa_tg_split 0
		.amdhsa_exception_fp_ieee_invalid_op 0
		.amdhsa_exception_fp_denorm_src 0
		.amdhsa_exception_fp_ieee_div_zero 0
		.amdhsa_exception_fp_ieee_overflow 0
		.amdhsa_exception_fp_ieee_underflow 0
		.amdhsa_exception_fp_ieee_inexact 0
		.amdhsa_exception_int_div_zero 0
	.end_amdhsa_kernel
	.section	.text._ZN7rocprim17ROCPRIM_400000_NS6detail17trampoline_kernelINS0_14default_configENS1_20scan_config_selectorIiEEZZNS1_9scan_implILNS1_25lookback_scan_determinismE0ELb1ELb1ES3_N6thrust23THRUST_200600_302600_NS6detail15normal_iteratorINS9_10device_ptrIjEEEENSB_INSC_IfEEEEiNS9_4plusIvEEiEEDaPvRmT3_T4_T5_mT6_P12ihipStream_tbENKUlT_T0_E_clISt17integral_constantIbLb0EESV_IbLb1EEEEDaSR_SS_EUlSR_E0_NS1_11comp_targetILNS1_3genE3ELNS1_11target_archE908ELNS1_3gpuE7ELNS1_3repE0EEENS1_30default_config_static_selectorELNS0_4arch9wavefront6targetE1EEEvT1_,"axG",@progbits,_ZN7rocprim17ROCPRIM_400000_NS6detail17trampoline_kernelINS0_14default_configENS1_20scan_config_selectorIiEEZZNS1_9scan_implILNS1_25lookback_scan_determinismE0ELb1ELb1ES3_N6thrust23THRUST_200600_302600_NS6detail15normal_iteratorINS9_10device_ptrIjEEEENSB_INSC_IfEEEEiNS9_4plusIvEEiEEDaPvRmT3_T4_T5_mT6_P12ihipStream_tbENKUlT_T0_E_clISt17integral_constantIbLb0EESV_IbLb1EEEEDaSR_SS_EUlSR_E0_NS1_11comp_targetILNS1_3genE3ELNS1_11target_archE908ELNS1_3gpuE7ELNS1_3repE0EEENS1_30default_config_static_selectorELNS0_4arch9wavefront6targetE1EEEvT1_,comdat
.Lfunc_end6226:
	.size	_ZN7rocprim17ROCPRIM_400000_NS6detail17trampoline_kernelINS0_14default_configENS1_20scan_config_selectorIiEEZZNS1_9scan_implILNS1_25lookback_scan_determinismE0ELb1ELb1ES3_N6thrust23THRUST_200600_302600_NS6detail15normal_iteratorINS9_10device_ptrIjEEEENSB_INSC_IfEEEEiNS9_4plusIvEEiEEDaPvRmT3_T4_T5_mT6_P12ihipStream_tbENKUlT_T0_E_clISt17integral_constantIbLb0EESV_IbLb1EEEEDaSR_SS_EUlSR_E0_NS1_11comp_targetILNS1_3genE3ELNS1_11target_archE908ELNS1_3gpuE7ELNS1_3repE0EEENS1_30default_config_static_selectorELNS0_4arch9wavefront6targetE1EEEvT1_, .Lfunc_end6226-_ZN7rocprim17ROCPRIM_400000_NS6detail17trampoline_kernelINS0_14default_configENS1_20scan_config_selectorIiEEZZNS1_9scan_implILNS1_25lookback_scan_determinismE0ELb1ELb1ES3_N6thrust23THRUST_200600_302600_NS6detail15normal_iteratorINS9_10device_ptrIjEEEENSB_INSC_IfEEEEiNS9_4plusIvEEiEEDaPvRmT3_T4_T5_mT6_P12ihipStream_tbENKUlT_T0_E_clISt17integral_constantIbLb0EESV_IbLb1EEEEDaSR_SS_EUlSR_E0_NS1_11comp_targetILNS1_3genE3ELNS1_11target_archE908ELNS1_3gpuE7ELNS1_3repE0EEENS1_30default_config_static_selectorELNS0_4arch9wavefront6targetE1EEEvT1_
                                        ; -- End function
	.section	.AMDGPU.csdata,"",@progbits
; Kernel info:
; codeLenInByte = 0
; NumSgprs: 4
; NumVgprs: 0
; NumAgprs: 0
; TotalNumVgprs: 0
; ScratchSize: 0
; MemoryBound: 0
; FloatMode: 240
; IeeeMode: 1
; LDSByteSize: 0 bytes/workgroup (compile time only)
; SGPRBlocks: 0
; VGPRBlocks: 0
; NumSGPRsForWavesPerEU: 4
; NumVGPRsForWavesPerEU: 1
; AccumOffset: 4
; Occupancy: 8
; WaveLimiterHint : 0
; COMPUTE_PGM_RSRC2:SCRATCH_EN: 0
; COMPUTE_PGM_RSRC2:USER_SGPR: 6
; COMPUTE_PGM_RSRC2:TRAP_HANDLER: 0
; COMPUTE_PGM_RSRC2:TGID_X_EN: 1
; COMPUTE_PGM_RSRC2:TGID_Y_EN: 0
; COMPUTE_PGM_RSRC2:TGID_Z_EN: 0
; COMPUTE_PGM_RSRC2:TIDIG_COMP_CNT: 0
; COMPUTE_PGM_RSRC3_GFX90A:ACCUM_OFFSET: 0
; COMPUTE_PGM_RSRC3_GFX90A:TG_SPLIT: 0
	.section	.text._ZN7rocprim17ROCPRIM_400000_NS6detail17trampoline_kernelINS0_14default_configENS1_20scan_config_selectorIiEEZZNS1_9scan_implILNS1_25lookback_scan_determinismE0ELb1ELb1ES3_N6thrust23THRUST_200600_302600_NS6detail15normal_iteratorINS9_10device_ptrIjEEEENSB_INSC_IfEEEEiNS9_4plusIvEEiEEDaPvRmT3_T4_T5_mT6_P12ihipStream_tbENKUlT_T0_E_clISt17integral_constantIbLb0EESV_IbLb1EEEEDaSR_SS_EUlSR_E0_NS1_11comp_targetILNS1_3genE2ELNS1_11target_archE906ELNS1_3gpuE6ELNS1_3repE0EEENS1_30default_config_static_selectorELNS0_4arch9wavefront6targetE1EEEvT1_,"axG",@progbits,_ZN7rocprim17ROCPRIM_400000_NS6detail17trampoline_kernelINS0_14default_configENS1_20scan_config_selectorIiEEZZNS1_9scan_implILNS1_25lookback_scan_determinismE0ELb1ELb1ES3_N6thrust23THRUST_200600_302600_NS6detail15normal_iteratorINS9_10device_ptrIjEEEENSB_INSC_IfEEEEiNS9_4plusIvEEiEEDaPvRmT3_T4_T5_mT6_P12ihipStream_tbENKUlT_T0_E_clISt17integral_constantIbLb0EESV_IbLb1EEEEDaSR_SS_EUlSR_E0_NS1_11comp_targetILNS1_3genE2ELNS1_11target_archE906ELNS1_3gpuE6ELNS1_3repE0EEENS1_30default_config_static_selectorELNS0_4arch9wavefront6targetE1EEEvT1_,comdat
	.protected	_ZN7rocprim17ROCPRIM_400000_NS6detail17trampoline_kernelINS0_14default_configENS1_20scan_config_selectorIiEEZZNS1_9scan_implILNS1_25lookback_scan_determinismE0ELb1ELb1ES3_N6thrust23THRUST_200600_302600_NS6detail15normal_iteratorINS9_10device_ptrIjEEEENSB_INSC_IfEEEEiNS9_4plusIvEEiEEDaPvRmT3_T4_T5_mT6_P12ihipStream_tbENKUlT_T0_E_clISt17integral_constantIbLb0EESV_IbLb1EEEEDaSR_SS_EUlSR_E0_NS1_11comp_targetILNS1_3genE2ELNS1_11target_archE906ELNS1_3gpuE6ELNS1_3repE0EEENS1_30default_config_static_selectorELNS0_4arch9wavefront6targetE1EEEvT1_ ; -- Begin function _ZN7rocprim17ROCPRIM_400000_NS6detail17trampoline_kernelINS0_14default_configENS1_20scan_config_selectorIiEEZZNS1_9scan_implILNS1_25lookback_scan_determinismE0ELb1ELb1ES3_N6thrust23THRUST_200600_302600_NS6detail15normal_iteratorINS9_10device_ptrIjEEEENSB_INSC_IfEEEEiNS9_4plusIvEEiEEDaPvRmT3_T4_T5_mT6_P12ihipStream_tbENKUlT_T0_E_clISt17integral_constantIbLb0EESV_IbLb1EEEEDaSR_SS_EUlSR_E0_NS1_11comp_targetILNS1_3genE2ELNS1_11target_archE906ELNS1_3gpuE6ELNS1_3repE0EEENS1_30default_config_static_selectorELNS0_4arch9wavefront6targetE1EEEvT1_
	.globl	_ZN7rocprim17ROCPRIM_400000_NS6detail17trampoline_kernelINS0_14default_configENS1_20scan_config_selectorIiEEZZNS1_9scan_implILNS1_25lookback_scan_determinismE0ELb1ELb1ES3_N6thrust23THRUST_200600_302600_NS6detail15normal_iteratorINS9_10device_ptrIjEEEENSB_INSC_IfEEEEiNS9_4plusIvEEiEEDaPvRmT3_T4_T5_mT6_P12ihipStream_tbENKUlT_T0_E_clISt17integral_constantIbLb0EESV_IbLb1EEEEDaSR_SS_EUlSR_E0_NS1_11comp_targetILNS1_3genE2ELNS1_11target_archE906ELNS1_3gpuE6ELNS1_3repE0EEENS1_30default_config_static_selectorELNS0_4arch9wavefront6targetE1EEEvT1_
	.p2align	8
	.type	_ZN7rocprim17ROCPRIM_400000_NS6detail17trampoline_kernelINS0_14default_configENS1_20scan_config_selectorIiEEZZNS1_9scan_implILNS1_25lookback_scan_determinismE0ELb1ELb1ES3_N6thrust23THRUST_200600_302600_NS6detail15normal_iteratorINS9_10device_ptrIjEEEENSB_INSC_IfEEEEiNS9_4plusIvEEiEEDaPvRmT3_T4_T5_mT6_P12ihipStream_tbENKUlT_T0_E_clISt17integral_constantIbLb0EESV_IbLb1EEEEDaSR_SS_EUlSR_E0_NS1_11comp_targetILNS1_3genE2ELNS1_11target_archE906ELNS1_3gpuE6ELNS1_3repE0EEENS1_30default_config_static_selectorELNS0_4arch9wavefront6targetE1EEEvT1_,@function
_ZN7rocprim17ROCPRIM_400000_NS6detail17trampoline_kernelINS0_14default_configENS1_20scan_config_selectorIiEEZZNS1_9scan_implILNS1_25lookback_scan_determinismE0ELb1ELb1ES3_N6thrust23THRUST_200600_302600_NS6detail15normal_iteratorINS9_10device_ptrIjEEEENSB_INSC_IfEEEEiNS9_4plusIvEEiEEDaPvRmT3_T4_T5_mT6_P12ihipStream_tbENKUlT_T0_E_clISt17integral_constantIbLb0EESV_IbLb1EEEEDaSR_SS_EUlSR_E0_NS1_11comp_targetILNS1_3genE2ELNS1_11target_archE906ELNS1_3gpuE6ELNS1_3repE0EEENS1_30default_config_static_selectorELNS0_4arch9wavefront6targetE1EEEvT1_: ; @_ZN7rocprim17ROCPRIM_400000_NS6detail17trampoline_kernelINS0_14default_configENS1_20scan_config_selectorIiEEZZNS1_9scan_implILNS1_25lookback_scan_determinismE0ELb1ELb1ES3_N6thrust23THRUST_200600_302600_NS6detail15normal_iteratorINS9_10device_ptrIjEEEENSB_INSC_IfEEEEiNS9_4plusIvEEiEEDaPvRmT3_T4_T5_mT6_P12ihipStream_tbENKUlT_T0_E_clISt17integral_constantIbLb0EESV_IbLb1EEEEDaSR_SS_EUlSR_E0_NS1_11comp_targetILNS1_3genE2ELNS1_11target_archE906ELNS1_3gpuE6ELNS1_3repE0EEENS1_30default_config_static_selectorELNS0_4arch9wavefront6targetE1EEEvT1_
; %bb.0:
	.section	.rodata,"a",@progbits
	.p2align	6, 0x0
	.amdhsa_kernel _ZN7rocprim17ROCPRIM_400000_NS6detail17trampoline_kernelINS0_14default_configENS1_20scan_config_selectorIiEEZZNS1_9scan_implILNS1_25lookback_scan_determinismE0ELb1ELb1ES3_N6thrust23THRUST_200600_302600_NS6detail15normal_iteratorINS9_10device_ptrIjEEEENSB_INSC_IfEEEEiNS9_4plusIvEEiEEDaPvRmT3_T4_T5_mT6_P12ihipStream_tbENKUlT_T0_E_clISt17integral_constantIbLb0EESV_IbLb1EEEEDaSR_SS_EUlSR_E0_NS1_11comp_targetILNS1_3genE2ELNS1_11target_archE906ELNS1_3gpuE6ELNS1_3repE0EEENS1_30default_config_static_selectorELNS0_4arch9wavefront6targetE1EEEvT1_
		.amdhsa_group_segment_fixed_size 0
		.amdhsa_private_segment_fixed_size 0
		.amdhsa_kernarg_size 32
		.amdhsa_user_sgpr_count 6
		.amdhsa_user_sgpr_private_segment_buffer 1
		.amdhsa_user_sgpr_dispatch_ptr 0
		.amdhsa_user_sgpr_queue_ptr 0
		.amdhsa_user_sgpr_kernarg_segment_ptr 1
		.amdhsa_user_sgpr_dispatch_id 0
		.amdhsa_user_sgpr_flat_scratch_init 0
		.amdhsa_user_sgpr_kernarg_preload_length 0
		.amdhsa_user_sgpr_kernarg_preload_offset 0
		.amdhsa_user_sgpr_private_segment_size 0
		.amdhsa_uses_dynamic_stack 0
		.amdhsa_system_sgpr_private_segment_wavefront_offset 0
		.amdhsa_system_sgpr_workgroup_id_x 1
		.amdhsa_system_sgpr_workgroup_id_y 0
		.amdhsa_system_sgpr_workgroup_id_z 0
		.amdhsa_system_sgpr_workgroup_info 0
		.amdhsa_system_vgpr_workitem_id 0
		.amdhsa_next_free_vgpr 1
		.amdhsa_next_free_sgpr 0
		.amdhsa_accum_offset 4
		.amdhsa_reserve_vcc 0
		.amdhsa_reserve_flat_scratch 0
		.amdhsa_float_round_mode_32 0
		.amdhsa_float_round_mode_16_64 0
		.amdhsa_float_denorm_mode_32 3
		.amdhsa_float_denorm_mode_16_64 3
		.amdhsa_dx10_clamp 1
		.amdhsa_ieee_mode 1
		.amdhsa_fp16_overflow 0
		.amdhsa_tg_split 0
		.amdhsa_exception_fp_ieee_invalid_op 0
		.amdhsa_exception_fp_denorm_src 0
		.amdhsa_exception_fp_ieee_div_zero 0
		.amdhsa_exception_fp_ieee_overflow 0
		.amdhsa_exception_fp_ieee_underflow 0
		.amdhsa_exception_fp_ieee_inexact 0
		.amdhsa_exception_int_div_zero 0
	.end_amdhsa_kernel
	.section	.text._ZN7rocprim17ROCPRIM_400000_NS6detail17trampoline_kernelINS0_14default_configENS1_20scan_config_selectorIiEEZZNS1_9scan_implILNS1_25lookback_scan_determinismE0ELb1ELb1ES3_N6thrust23THRUST_200600_302600_NS6detail15normal_iteratorINS9_10device_ptrIjEEEENSB_INSC_IfEEEEiNS9_4plusIvEEiEEDaPvRmT3_T4_T5_mT6_P12ihipStream_tbENKUlT_T0_E_clISt17integral_constantIbLb0EESV_IbLb1EEEEDaSR_SS_EUlSR_E0_NS1_11comp_targetILNS1_3genE2ELNS1_11target_archE906ELNS1_3gpuE6ELNS1_3repE0EEENS1_30default_config_static_selectorELNS0_4arch9wavefront6targetE1EEEvT1_,"axG",@progbits,_ZN7rocprim17ROCPRIM_400000_NS6detail17trampoline_kernelINS0_14default_configENS1_20scan_config_selectorIiEEZZNS1_9scan_implILNS1_25lookback_scan_determinismE0ELb1ELb1ES3_N6thrust23THRUST_200600_302600_NS6detail15normal_iteratorINS9_10device_ptrIjEEEENSB_INSC_IfEEEEiNS9_4plusIvEEiEEDaPvRmT3_T4_T5_mT6_P12ihipStream_tbENKUlT_T0_E_clISt17integral_constantIbLb0EESV_IbLb1EEEEDaSR_SS_EUlSR_E0_NS1_11comp_targetILNS1_3genE2ELNS1_11target_archE906ELNS1_3gpuE6ELNS1_3repE0EEENS1_30default_config_static_selectorELNS0_4arch9wavefront6targetE1EEEvT1_,comdat
.Lfunc_end6227:
	.size	_ZN7rocprim17ROCPRIM_400000_NS6detail17trampoline_kernelINS0_14default_configENS1_20scan_config_selectorIiEEZZNS1_9scan_implILNS1_25lookback_scan_determinismE0ELb1ELb1ES3_N6thrust23THRUST_200600_302600_NS6detail15normal_iteratorINS9_10device_ptrIjEEEENSB_INSC_IfEEEEiNS9_4plusIvEEiEEDaPvRmT3_T4_T5_mT6_P12ihipStream_tbENKUlT_T0_E_clISt17integral_constantIbLb0EESV_IbLb1EEEEDaSR_SS_EUlSR_E0_NS1_11comp_targetILNS1_3genE2ELNS1_11target_archE906ELNS1_3gpuE6ELNS1_3repE0EEENS1_30default_config_static_selectorELNS0_4arch9wavefront6targetE1EEEvT1_, .Lfunc_end6227-_ZN7rocprim17ROCPRIM_400000_NS6detail17trampoline_kernelINS0_14default_configENS1_20scan_config_selectorIiEEZZNS1_9scan_implILNS1_25lookback_scan_determinismE0ELb1ELb1ES3_N6thrust23THRUST_200600_302600_NS6detail15normal_iteratorINS9_10device_ptrIjEEEENSB_INSC_IfEEEEiNS9_4plusIvEEiEEDaPvRmT3_T4_T5_mT6_P12ihipStream_tbENKUlT_T0_E_clISt17integral_constantIbLb0EESV_IbLb1EEEEDaSR_SS_EUlSR_E0_NS1_11comp_targetILNS1_3genE2ELNS1_11target_archE906ELNS1_3gpuE6ELNS1_3repE0EEENS1_30default_config_static_selectorELNS0_4arch9wavefront6targetE1EEEvT1_
                                        ; -- End function
	.section	.AMDGPU.csdata,"",@progbits
; Kernel info:
; codeLenInByte = 0
; NumSgprs: 4
; NumVgprs: 0
; NumAgprs: 0
; TotalNumVgprs: 0
; ScratchSize: 0
; MemoryBound: 0
; FloatMode: 240
; IeeeMode: 1
; LDSByteSize: 0 bytes/workgroup (compile time only)
; SGPRBlocks: 0
; VGPRBlocks: 0
; NumSGPRsForWavesPerEU: 4
; NumVGPRsForWavesPerEU: 1
; AccumOffset: 4
; Occupancy: 8
; WaveLimiterHint : 0
; COMPUTE_PGM_RSRC2:SCRATCH_EN: 0
; COMPUTE_PGM_RSRC2:USER_SGPR: 6
; COMPUTE_PGM_RSRC2:TRAP_HANDLER: 0
; COMPUTE_PGM_RSRC2:TGID_X_EN: 1
; COMPUTE_PGM_RSRC2:TGID_Y_EN: 0
; COMPUTE_PGM_RSRC2:TGID_Z_EN: 0
; COMPUTE_PGM_RSRC2:TIDIG_COMP_CNT: 0
; COMPUTE_PGM_RSRC3_GFX90A:ACCUM_OFFSET: 0
; COMPUTE_PGM_RSRC3_GFX90A:TG_SPLIT: 0
	.section	.text._ZN7rocprim17ROCPRIM_400000_NS6detail17trampoline_kernelINS0_14default_configENS1_20scan_config_selectorIiEEZZNS1_9scan_implILNS1_25lookback_scan_determinismE0ELb1ELb1ES3_N6thrust23THRUST_200600_302600_NS6detail15normal_iteratorINS9_10device_ptrIjEEEENSB_INSC_IfEEEEiNS9_4plusIvEEiEEDaPvRmT3_T4_T5_mT6_P12ihipStream_tbENKUlT_T0_E_clISt17integral_constantIbLb0EESV_IbLb1EEEEDaSR_SS_EUlSR_E0_NS1_11comp_targetILNS1_3genE10ELNS1_11target_archE1201ELNS1_3gpuE5ELNS1_3repE0EEENS1_30default_config_static_selectorELNS0_4arch9wavefront6targetE1EEEvT1_,"axG",@progbits,_ZN7rocprim17ROCPRIM_400000_NS6detail17trampoline_kernelINS0_14default_configENS1_20scan_config_selectorIiEEZZNS1_9scan_implILNS1_25lookback_scan_determinismE0ELb1ELb1ES3_N6thrust23THRUST_200600_302600_NS6detail15normal_iteratorINS9_10device_ptrIjEEEENSB_INSC_IfEEEEiNS9_4plusIvEEiEEDaPvRmT3_T4_T5_mT6_P12ihipStream_tbENKUlT_T0_E_clISt17integral_constantIbLb0EESV_IbLb1EEEEDaSR_SS_EUlSR_E0_NS1_11comp_targetILNS1_3genE10ELNS1_11target_archE1201ELNS1_3gpuE5ELNS1_3repE0EEENS1_30default_config_static_selectorELNS0_4arch9wavefront6targetE1EEEvT1_,comdat
	.protected	_ZN7rocprim17ROCPRIM_400000_NS6detail17trampoline_kernelINS0_14default_configENS1_20scan_config_selectorIiEEZZNS1_9scan_implILNS1_25lookback_scan_determinismE0ELb1ELb1ES3_N6thrust23THRUST_200600_302600_NS6detail15normal_iteratorINS9_10device_ptrIjEEEENSB_INSC_IfEEEEiNS9_4plusIvEEiEEDaPvRmT3_T4_T5_mT6_P12ihipStream_tbENKUlT_T0_E_clISt17integral_constantIbLb0EESV_IbLb1EEEEDaSR_SS_EUlSR_E0_NS1_11comp_targetILNS1_3genE10ELNS1_11target_archE1201ELNS1_3gpuE5ELNS1_3repE0EEENS1_30default_config_static_selectorELNS0_4arch9wavefront6targetE1EEEvT1_ ; -- Begin function _ZN7rocprim17ROCPRIM_400000_NS6detail17trampoline_kernelINS0_14default_configENS1_20scan_config_selectorIiEEZZNS1_9scan_implILNS1_25lookback_scan_determinismE0ELb1ELb1ES3_N6thrust23THRUST_200600_302600_NS6detail15normal_iteratorINS9_10device_ptrIjEEEENSB_INSC_IfEEEEiNS9_4plusIvEEiEEDaPvRmT3_T4_T5_mT6_P12ihipStream_tbENKUlT_T0_E_clISt17integral_constantIbLb0EESV_IbLb1EEEEDaSR_SS_EUlSR_E0_NS1_11comp_targetILNS1_3genE10ELNS1_11target_archE1201ELNS1_3gpuE5ELNS1_3repE0EEENS1_30default_config_static_selectorELNS0_4arch9wavefront6targetE1EEEvT1_
	.globl	_ZN7rocprim17ROCPRIM_400000_NS6detail17trampoline_kernelINS0_14default_configENS1_20scan_config_selectorIiEEZZNS1_9scan_implILNS1_25lookback_scan_determinismE0ELb1ELb1ES3_N6thrust23THRUST_200600_302600_NS6detail15normal_iteratorINS9_10device_ptrIjEEEENSB_INSC_IfEEEEiNS9_4plusIvEEiEEDaPvRmT3_T4_T5_mT6_P12ihipStream_tbENKUlT_T0_E_clISt17integral_constantIbLb0EESV_IbLb1EEEEDaSR_SS_EUlSR_E0_NS1_11comp_targetILNS1_3genE10ELNS1_11target_archE1201ELNS1_3gpuE5ELNS1_3repE0EEENS1_30default_config_static_selectorELNS0_4arch9wavefront6targetE1EEEvT1_
	.p2align	8
	.type	_ZN7rocprim17ROCPRIM_400000_NS6detail17trampoline_kernelINS0_14default_configENS1_20scan_config_selectorIiEEZZNS1_9scan_implILNS1_25lookback_scan_determinismE0ELb1ELb1ES3_N6thrust23THRUST_200600_302600_NS6detail15normal_iteratorINS9_10device_ptrIjEEEENSB_INSC_IfEEEEiNS9_4plusIvEEiEEDaPvRmT3_T4_T5_mT6_P12ihipStream_tbENKUlT_T0_E_clISt17integral_constantIbLb0EESV_IbLb1EEEEDaSR_SS_EUlSR_E0_NS1_11comp_targetILNS1_3genE10ELNS1_11target_archE1201ELNS1_3gpuE5ELNS1_3repE0EEENS1_30default_config_static_selectorELNS0_4arch9wavefront6targetE1EEEvT1_,@function
_ZN7rocprim17ROCPRIM_400000_NS6detail17trampoline_kernelINS0_14default_configENS1_20scan_config_selectorIiEEZZNS1_9scan_implILNS1_25lookback_scan_determinismE0ELb1ELb1ES3_N6thrust23THRUST_200600_302600_NS6detail15normal_iteratorINS9_10device_ptrIjEEEENSB_INSC_IfEEEEiNS9_4plusIvEEiEEDaPvRmT3_T4_T5_mT6_P12ihipStream_tbENKUlT_T0_E_clISt17integral_constantIbLb0EESV_IbLb1EEEEDaSR_SS_EUlSR_E0_NS1_11comp_targetILNS1_3genE10ELNS1_11target_archE1201ELNS1_3gpuE5ELNS1_3repE0EEENS1_30default_config_static_selectorELNS0_4arch9wavefront6targetE1EEEvT1_: ; @_ZN7rocprim17ROCPRIM_400000_NS6detail17trampoline_kernelINS0_14default_configENS1_20scan_config_selectorIiEEZZNS1_9scan_implILNS1_25lookback_scan_determinismE0ELb1ELb1ES3_N6thrust23THRUST_200600_302600_NS6detail15normal_iteratorINS9_10device_ptrIjEEEENSB_INSC_IfEEEEiNS9_4plusIvEEiEEDaPvRmT3_T4_T5_mT6_P12ihipStream_tbENKUlT_T0_E_clISt17integral_constantIbLb0EESV_IbLb1EEEEDaSR_SS_EUlSR_E0_NS1_11comp_targetILNS1_3genE10ELNS1_11target_archE1201ELNS1_3gpuE5ELNS1_3repE0EEENS1_30default_config_static_selectorELNS0_4arch9wavefront6targetE1EEEvT1_
; %bb.0:
	.section	.rodata,"a",@progbits
	.p2align	6, 0x0
	.amdhsa_kernel _ZN7rocprim17ROCPRIM_400000_NS6detail17trampoline_kernelINS0_14default_configENS1_20scan_config_selectorIiEEZZNS1_9scan_implILNS1_25lookback_scan_determinismE0ELb1ELb1ES3_N6thrust23THRUST_200600_302600_NS6detail15normal_iteratorINS9_10device_ptrIjEEEENSB_INSC_IfEEEEiNS9_4plusIvEEiEEDaPvRmT3_T4_T5_mT6_P12ihipStream_tbENKUlT_T0_E_clISt17integral_constantIbLb0EESV_IbLb1EEEEDaSR_SS_EUlSR_E0_NS1_11comp_targetILNS1_3genE10ELNS1_11target_archE1201ELNS1_3gpuE5ELNS1_3repE0EEENS1_30default_config_static_selectorELNS0_4arch9wavefront6targetE1EEEvT1_
		.amdhsa_group_segment_fixed_size 0
		.amdhsa_private_segment_fixed_size 0
		.amdhsa_kernarg_size 32
		.amdhsa_user_sgpr_count 6
		.amdhsa_user_sgpr_private_segment_buffer 1
		.amdhsa_user_sgpr_dispatch_ptr 0
		.amdhsa_user_sgpr_queue_ptr 0
		.amdhsa_user_sgpr_kernarg_segment_ptr 1
		.amdhsa_user_sgpr_dispatch_id 0
		.amdhsa_user_sgpr_flat_scratch_init 0
		.amdhsa_user_sgpr_kernarg_preload_length 0
		.amdhsa_user_sgpr_kernarg_preload_offset 0
		.amdhsa_user_sgpr_private_segment_size 0
		.amdhsa_uses_dynamic_stack 0
		.amdhsa_system_sgpr_private_segment_wavefront_offset 0
		.amdhsa_system_sgpr_workgroup_id_x 1
		.amdhsa_system_sgpr_workgroup_id_y 0
		.amdhsa_system_sgpr_workgroup_id_z 0
		.amdhsa_system_sgpr_workgroup_info 0
		.amdhsa_system_vgpr_workitem_id 0
		.amdhsa_next_free_vgpr 1
		.amdhsa_next_free_sgpr 0
		.amdhsa_accum_offset 4
		.amdhsa_reserve_vcc 0
		.amdhsa_reserve_flat_scratch 0
		.amdhsa_float_round_mode_32 0
		.amdhsa_float_round_mode_16_64 0
		.amdhsa_float_denorm_mode_32 3
		.amdhsa_float_denorm_mode_16_64 3
		.amdhsa_dx10_clamp 1
		.amdhsa_ieee_mode 1
		.amdhsa_fp16_overflow 0
		.amdhsa_tg_split 0
		.amdhsa_exception_fp_ieee_invalid_op 0
		.amdhsa_exception_fp_denorm_src 0
		.amdhsa_exception_fp_ieee_div_zero 0
		.amdhsa_exception_fp_ieee_overflow 0
		.amdhsa_exception_fp_ieee_underflow 0
		.amdhsa_exception_fp_ieee_inexact 0
		.amdhsa_exception_int_div_zero 0
	.end_amdhsa_kernel
	.section	.text._ZN7rocprim17ROCPRIM_400000_NS6detail17trampoline_kernelINS0_14default_configENS1_20scan_config_selectorIiEEZZNS1_9scan_implILNS1_25lookback_scan_determinismE0ELb1ELb1ES3_N6thrust23THRUST_200600_302600_NS6detail15normal_iteratorINS9_10device_ptrIjEEEENSB_INSC_IfEEEEiNS9_4plusIvEEiEEDaPvRmT3_T4_T5_mT6_P12ihipStream_tbENKUlT_T0_E_clISt17integral_constantIbLb0EESV_IbLb1EEEEDaSR_SS_EUlSR_E0_NS1_11comp_targetILNS1_3genE10ELNS1_11target_archE1201ELNS1_3gpuE5ELNS1_3repE0EEENS1_30default_config_static_selectorELNS0_4arch9wavefront6targetE1EEEvT1_,"axG",@progbits,_ZN7rocprim17ROCPRIM_400000_NS6detail17trampoline_kernelINS0_14default_configENS1_20scan_config_selectorIiEEZZNS1_9scan_implILNS1_25lookback_scan_determinismE0ELb1ELb1ES3_N6thrust23THRUST_200600_302600_NS6detail15normal_iteratorINS9_10device_ptrIjEEEENSB_INSC_IfEEEEiNS9_4plusIvEEiEEDaPvRmT3_T4_T5_mT6_P12ihipStream_tbENKUlT_T0_E_clISt17integral_constantIbLb0EESV_IbLb1EEEEDaSR_SS_EUlSR_E0_NS1_11comp_targetILNS1_3genE10ELNS1_11target_archE1201ELNS1_3gpuE5ELNS1_3repE0EEENS1_30default_config_static_selectorELNS0_4arch9wavefront6targetE1EEEvT1_,comdat
.Lfunc_end6228:
	.size	_ZN7rocprim17ROCPRIM_400000_NS6detail17trampoline_kernelINS0_14default_configENS1_20scan_config_selectorIiEEZZNS1_9scan_implILNS1_25lookback_scan_determinismE0ELb1ELb1ES3_N6thrust23THRUST_200600_302600_NS6detail15normal_iteratorINS9_10device_ptrIjEEEENSB_INSC_IfEEEEiNS9_4plusIvEEiEEDaPvRmT3_T4_T5_mT6_P12ihipStream_tbENKUlT_T0_E_clISt17integral_constantIbLb0EESV_IbLb1EEEEDaSR_SS_EUlSR_E0_NS1_11comp_targetILNS1_3genE10ELNS1_11target_archE1201ELNS1_3gpuE5ELNS1_3repE0EEENS1_30default_config_static_selectorELNS0_4arch9wavefront6targetE1EEEvT1_, .Lfunc_end6228-_ZN7rocprim17ROCPRIM_400000_NS6detail17trampoline_kernelINS0_14default_configENS1_20scan_config_selectorIiEEZZNS1_9scan_implILNS1_25lookback_scan_determinismE0ELb1ELb1ES3_N6thrust23THRUST_200600_302600_NS6detail15normal_iteratorINS9_10device_ptrIjEEEENSB_INSC_IfEEEEiNS9_4plusIvEEiEEDaPvRmT3_T4_T5_mT6_P12ihipStream_tbENKUlT_T0_E_clISt17integral_constantIbLb0EESV_IbLb1EEEEDaSR_SS_EUlSR_E0_NS1_11comp_targetILNS1_3genE10ELNS1_11target_archE1201ELNS1_3gpuE5ELNS1_3repE0EEENS1_30default_config_static_selectorELNS0_4arch9wavefront6targetE1EEEvT1_
                                        ; -- End function
	.section	.AMDGPU.csdata,"",@progbits
; Kernel info:
; codeLenInByte = 0
; NumSgprs: 4
; NumVgprs: 0
; NumAgprs: 0
; TotalNumVgprs: 0
; ScratchSize: 0
; MemoryBound: 0
; FloatMode: 240
; IeeeMode: 1
; LDSByteSize: 0 bytes/workgroup (compile time only)
; SGPRBlocks: 0
; VGPRBlocks: 0
; NumSGPRsForWavesPerEU: 4
; NumVGPRsForWavesPerEU: 1
; AccumOffset: 4
; Occupancy: 8
; WaveLimiterHint : 0
; COMPUTE_PGM_RSRC2:SCRATCH_EN: 0
; COMPUTE_PGM_RSRC2:USER_SGPR: 6
; COMPUTE_PGM_RSRC2:TRAP_HANDLER: 0
; COMPUTE_PGM_RSRC2:TGID_X_EN: 1
; COMPUTE_PGM_RSRC2:TGID_Y_EN: 0
; COMPUTE_PGM_RSRC2:TGID_Z_EN: 0
; COMPUTE_PGM_RSRC2:TIDIG_COMP_CNT: 0
; COMPUTE_PGM_RSRC3_GFX90A:ACCUM_OFFSET: 0
; COMPUTE_PGM_RSRC3_GFX90A:TG_SPLIT: 0
	.section	.text._ZN7rocprim17ROCPRIM_400000_NS6detail17trampoline_kernelINS0_14default_configENS1_20scan_config_selectorIiEEZZNS1_9scan_implILNS1_25lookback_scan_determinismE0ELb1ELb1ES3_N6thrust23THRUST_200600_302600_NS6detail15normal_iteratorINS9_10device_ptrIjEEEENSB_INSC_IfEEEEiNS9_4plusIvEEiEEDaPvRmT3_T4_T5_mT6_P12ihipStream_tbENKUlT_T0_E_clISt17integral_constantIbLb0EESV_IbLb1EEEEDaSR_SS_EUlSR_E0_NS1_11comp_targetILNS1_3genE10ELNS1_11target_archE1200ELNS1_3gpuE4ELNS1_3repE0EEENS1_30default_config_static_selectorELNS0_4arch9wavefront6targetE1EEEvT1_,"axG",@progbits,_ZN7rocprim17ROCPRIM_400000_NS6detail17trampoline_kernelINS0_14default_configENS1_20scan_config_selectorIiEEZZNS1_9scan_implILNS1_25lookback_scan_determinismE0ELb1ELb1ES3_N6thrust23THRUST_200600_302600_NS6detail15normal_iteratorINS9_10device_ptrIjEEEENSB_INSC_IfEEEEiNS9_4plusIvEEiEEDaPvRmT3_T4_T5_mT6_P12ihipStream_tbENKUlT_T0_E_clISt17integral_constantIbLb0EESV_IbLb1EEEEDaSR_SS_EUlSR_E0_NS1_11comp_targetILNS1_3genE10ELNS1_11target_archE1200ELNS1_3gpuE4ELNS1_3repE0EEENS1_30default_config_static_selectorELNS0_4arch9wavefront6targetE1EEEvT1_,comdat
	.protected	_ZN7rocprim17ROCPRIM_400000_NS6detail17trampoline_kernelINS0_14default_configENS1_20scan_config_selectorIiEEZZNS1_9scan_implILNS1_25lookback_scan_determinismE0ELb1ELb1ES3_N6thrust23THRUST_200600_302600_NS6detail15normal_iteratorINS9_10device_ptrIjEEEENSB_INSC_IfEEEEiNS9_4plusIvEEiEEDaPvRmT3_T4_T5_mT6_P12ihipStream_tbENKUlT_T0_E_clISt17integral_constantIbLb0EESV_IbLb1EEEEDaSR_SS_EUlSR_E0_NS1_11comp_targetILNS1_3genE10ELNS1_11target_archE1200ELNS1_3gpuE4ELNS1_3repE0EEENS1_30default_config_static_selectorELNS0_4arch9wavefront6targetE1EEEvT1_ ; -- Begin function _ZN7rocprim17ROCPRIM_400000_NS6detail17trampoline_kernelINS0_14default_configENS1_20scan_config_selectorIiEEZZNS1_9scan_implILNS1_25lookback_scan_determinismE0ELb1ELb1ES3_N6thrust23THRUST_200600_302600_NS6detail15normal_iteratorINS9_10device_ptrIjEEEENSB_INSC_IfEEEEiNS9_4plusIvEEiEEDaPvRmT3_T4_T5_mT6_P12ihipStream_tbENKUlT_T0_E_clISt17integral_constantIbLb0EESV_IbLb1EEEEDaSR_SS_EUlSR_E0_NS1_11comp_targetILNS1_3genE10ELNS1_11target_archE1200ELNS1_3gpuE4ELNS1_3repE0EEENS1_30default_config_static_selectorELNS0_4arch9wavefront6targetE1EEEvT1_
	.globl	_ZN7rocprim17ROCPRIM_400000_NS6detail17trampoline_kernelINS0_14default_configENS1_20scan_config_selectorIiEEZZNS1_9scan_implILNS1_25lookback_scan_determinismE0ELb1ELb1ES3_N6thrust23THRUST_200600_302600_NS6detail15normal_iteratorINS9_10device_ptrIjEEEENSB_INSC_IfEEEEiNS9_4plusIvEEiEEDaPvRmT3_T4_T5_mT6_P12ihipStream_tbENKUlT_T0_E_clISt17integral_constantIbLb0EESV_IbLb1EEEEDaSR_SS_EUlSR_E0_NS1_11comp_targetILNS1_3genE10ELNS1_11target_archE1200ELNS1_3gpuE4ELNS1_3repE0EEENS1_30default_config_static_selectorELNS0_4arch9wavefront6targetE1EEEvT1_
	.p2align	8
	.type	_ZN7rocprim17ROCPRIM_400000_NS6detail17trampoline_kernelINS0_14default_configENS1_20scan_config_selectorIiEEZZNS1_9scan_implILNS1_25lookback_scan_determinismE0ELb1ELb1ES3_N6thrust23THRUST_200600_302600_NS6detail15normal_iteratorINS9_10device_ptrIjEEEENSB_INSC_IfEEEEiNS9_4plusIvEEiEEDaPvRmT3_T4_T5_mT6_P12ihipStream_tbENKUlT_T0_E_clISt17integral_constantIbLb0EESV_IbLb1EEEEDaSR_SS_EUlSR_E0_NS1_11comp_targetILNS1_3genE10ELNS1_11target_archE1200ELNS1_3gpuE4ELNS1_3repE0EEENS1_30default_config_static_selectorELNS0_4arch9wavefront6targetE1EEEvT1_,@function
_ZN7rocprim17ROCPRIM_400000_NS6detail17trampoline_kernelINS0_14default_configENS1_20scan_config_selectorIiEEZZNS1_9scan_implILNS1_25lookback_scan_determinismE0ELb1ELb1ES3_N6thrust23THRUST_200600_302600_NS6detail15normal_iteratorINS9_10device_ptrIjEEEENSB_INSC_IfEEEEiNS9_4plusIvEEiEEDaPvRmT3_T4_T5_mT6_P12ihipStream_tbENKUlT_T0_E_clISt17integral_constantIbLb0EESV_IbLb1EEEEDaSR_SS_EUlSR_E0_NS1_11comp_targetILNS1_3genE10ELNS1_11target_archE1200ELNS1_3gpuE4ELNS1_3repE0EEENS1_30default_config_static_selectorELNS0_4arch9wavefront6targetE1EEEvT1_: ; @_ZN7rocprim17ROCPRIM_400000_NS6detail17trampoline_kernelINS0_14default_configENS1_20scan_config_selectorIiEEZZNS1_9scan_implILNS1_25lookback_scan_determinismE0ELb1ELb1ES3_N6thrust23THRUST_200600_302600_NS6detail15normal_iteratorINS9_10device_ptrIjEEEENSB_INSC_IfEEEEiNS9_4plusIvEEiEEDaPvRmT3_T4_T5_mT6_P12ihipStream_tbENKUlT_T0_E_clISt17integral_constantIbLb0EESV_IbLb1EEEEDaSR_SS_EUlSR_E0_NS1_11comp_targetILNS1_3genE10ELNS1_11target_archE1200ELNS1_3gpuE4ELNS1_3repE0EEENS1_30default_config_static_selectorELNS0_4arch9wavefront6targetE1EEEvT1_
; %bb.0:
	.section	.rodata,"a",@progbits
	.p2align	6, 0x0
	.amdhsa_kernel _ZN7rocprim17ROCPRIM_400000_NS6detail17trampoline_kernelINS0_14default_configENS1_20scan_config_selectorIiEEZZNS1_9scan_implILNS1_25lookback_scan_determinismE0ELb1ELb1ES3_N6thrust23THRUST_200600_302600_NS6detail15normal_iteratorINS9_10device_ptrIjEEEENSB_INSC_IfEEEEiNS9_4plusIvEEiEEDaPvRmT3_T4_T5_mT6_P12ihipStream_tbENKUlT_T0_E_clISt17integral_constantIbLb0EESV_IbLb1EEEEDaSR_SS_EUlSR_E0_NS1_11comp_targetILNS1_3genE10ELNS1_11target_archE1200ELNS1_3gpuE4ELNS1_3repE0EEENS1_30default_config_static_selectorELNS0_4arch9wavefront6targetE1EEEvT1_
		.amdhsa_group_segment_fixed_size 0
		.amdhsa_private_segment_fixed_size 0
		.amdhsa_kernarg_size 32
		.amdhsa_user_sgpr_count 6
		.amdhsa_user_sgpr_private_segment_buffer 1
		.amdhsa_user_sgpr_dispatch_ptr 0
		.amdhsa_user_sgpr_queue_ptr 0
		.amdhsa_user_sgpr_kernarg_segment_ptr 1
		.amdhsa_user_sgpr_dispatch_id 0
		.amdhsa_user_sgpr_flat_scratch_init 0
		.amdhsa_user_sgpr_kernarg_preload_length 0
		.amdhsa_user_sgpr_kernarg_preload_offset 0
		.amdhsa_user_sgpr_private_segment_size 0
		.amdhsa_uses_dynamic_stack 0
		.amdhsa_system_sgpr_private_segment_wavefront_offset 0
		.amdhsa_system_sgpr_workgroup_id_x 1
		.amdhsa_system_sgpr_workgroup_id_y 0
		.amdhsa_system_sgpr_workgroup_id_z 0
		.amdhsa_system_sgpr_workgroup_info 0
		.amdhsa_system_vgpr_workitem_id 0
		.amdhsa_next_free_vgpr 1
		.amdhsa_next_free_sgpr 0
		.amdhsa_accum_offset 4
		.amdhsa_reserve_vcc 0
		.amdhsa_reserve_flat_scratch 0
		.amdhsa_float_round_mode_32 0
		.amdhsa_float_round_mode_16_64 0
		.amdhsa_float_denorm_mode_32 3
		.amdhsa_float_denorm_mode_16_64 3
		.amdhsa_dx10_clamp 1
		.amdhsa_ieee_mode 1
		.amdhsa_fp16_overflow 0
		.amdhsa_tg_split 0
		.amdhsa_exception_fp_ieee_invalid_op 0
		.amdhsa_exception_fp_denorm_src 0
		.amdhsa_exception_fp_ieee_div_zero 0
		.amdhsa_exception_fp_ieee_overflow 0
		.amdhsa_exception_fp_ieee_underflow 0
		.amdhsa_exception_fp_ieee_inexact 0
		.amdhsa_exception_int_div_zero 0
	.end_amdhsa_kernel
	.section	.text._ZN7rocprim17ROCPRIM_400000_NS6detail17trampoline_kernelINS0_14default_configENS1_20scan_config_selectorIiEEZZNS1_9scan_implILNS1_25lookback_scan_determinismE0ELb1ELb1ES3_N6thrust23THRUST_200600_302600_NS6detail15normal_iteratorINS9_10device_ptrIjEEEENSB_INSC_IfEEEEiNS9_4plusIvEEiEEDaPvRmT3_T4_T5_mT6_P12ihipStream_tbENKUlT_T0_E_clISt17integral_constantIbLb0EESV_IbLb1EEEEDaSR_SS_EUlSR_E0_NS1_11comp_targetILNS1_3genE10ELNS1_11target_archE1200ELNS1_3gpuE4ELNS1_3repE0EEENS1_30default_config_static_selectorELNS0_4arch9wavefront6targetE1EEEvT1_,"axG",@progbits,_ZN7rocprim17ROCPRIM_400000_NS6detail17trampoline_kernelINS0_14default_configENS1_20scan_config_selectorIiEEZZNS1_9scan_implILNS1_25lookback_scan_determinismE0ELb1ELb1ES3_N6thrust23THRUST_200600_302600_NS6detail15normal_iteratorINS9_10device_ptrIjEEEENSB_INSC_IfEEEEiNS9_4plusIvEEiEEDaPvRmT3_T4_T5_mT6_P12ihipStream_tbENKUlT_T0_E_clISt17integral_constantIbLb0EESV_IbLb1EEEEDaSR_SS_EUlSR_E0_NS1_11comp_targetILNS1_3genE10ELNS1_11target_archE1200ELNS1_3gpuE4ELNS1_3repE0EEENS1_30default_config_static_selectorELNS0_4arch9wavefront6targetE1EEEvT1_,comdat
.Lfunc_end6229:
	.size	_ZN7rocprim17ROCPRIM_400000_NS6detail17trampoline_kernelINS0_14default_configENS1_20scan_config_selectorIiEEZZNS1_9scan_implILNS1_25lookback_scan_determinismE0ELb1ELb1ES3_N6thrust23THRUST_200600_302600_NS6detail15normal_iteratorINS9_10device_ptrIjEEEENSB_INSC_IfEEEEiNS9_4plusIvEEiEEDaPvRmT3_T4_T5_mT6_P12ihipStream_tbENKUlT_T0_E_clISt17integral_constantIbLb0EESV_IbLb1EEEEDaSR_SS_EUlSR_E0_NS1_11comp_targetILNS1_3genE10ELNS1_11target_archE1200ELNS1_3gpuE4ELNS1_3repE0EEENS1_30default_config_static_selectorELNS0_4arch9wavefront6targetE1EEEvT1_, .Lfunc_end6229-_ZN7rocprim17ROCPRIM_400000_NS6detail17trampoline_kernelINS0_14default_configENS1_20scan_config_selectorIiEEZZNS1_9scan_implILNS1_25lookback_scan_determinismE0ELb1ELb1ES3_N6thrust23THRUST_200600_302600_NS6detail15normal_iteratorINS9_10device_ptrIjEEEENSB_INSC_IfEEEEiNS9_4plusIvEEiEEDaPvRmT3_T4_T5_mT6_P12ihipStream_tbENKUlT_T0_E_clISt17integral_constantIbLb0EESV_IbLb1EEEEDaSR_SS_EUlSR_E0_NS1_11comp_targetILNS1_3genE10ELNS1_11target_archE1200ELNS1_3gpuE4ELNS1_3repE0EEENS1_30default_config_static_selectorELNS0_4arch9wavefront6targetE1EEEvT1_
                                        ; -- End function
	.section	.AMDGPU.csdata,"",@progbits
; Kernel info:
; codeLenInByte = 0
; NumSgprs: 4
; NumVgprs: 0
; NumAgprs: 0
; TotalNumVgprs: 0
; ScratchSize: 0
; MemoryBound: 0
; FloatMode: 240
; IeeeMode: 1
; LDSByteSize: 0 bytes/workgroup (compile time only)
; SGPRBlocks: 0
; VGPRBlocks: 0
; NumSGPRsForWavesPerEU: 4
; NumVGPRsForWavesPerEU: 1
; AccumOffset: 4
; Occupancy: 8
; WaveLimiterHint : 0
; COMPUTE_PGM_RSRC2:SCRATCH_EN: 0
; COMPUTE_PGM_RSRC2:USER_SGPR: 6
; COMPUTE_PGM_RSRC2:TRAP_HANDLER: 0
; COMPUTE_PGM_RSRC2:TGID_X_EN: 1
; COMPUTE_PGM_RSRC2:TGID_Y_EN: 0
; COMPUTE_PGM_RSRC2:TGID_Z_EN: 0
; COMPUTE_PGM_RSRC2:TIDIG_COMP_CNT: 0
; COMPUTE_PGM_RSRC3_GFX90A:ACCUM_OFFSET: 0
; COMPUTE_PGM_RSRC3_GFX90A:TG_SPLIT: 0
	.section	.text._ZN7rocprim17ROCPRIM_400000_NS6detail17trampoline_kernelINS0_14default_configENS1_20scan_config_selectorIiEEZZNS1_9scan_implILNS1_25lookback_scan_determinismE0ELb1ELb1ES3_N6thrust23THRUST_200600_302600_NS6detail15normal_iteratorINS9_10device_ptrIjEEEENSB_INSC_IfEEEEiNS9_4plusIvEEiEEDaPvRmT3_T4_T5_mT6_P12ihipStream_tbENKUlT_T0_E_clISt17integral_constantIbLb0EESV_IbLb1EEEEDaSR_SS_EUlSR_E0_NS1_11comp_targetILNS1_3genE9ELNS1_11target_archE1100ELNS1_3gpuE3ELNS1_3repE0EEENS1_30default_config_static_selectorELNS0_4arch9wavefront6targetE1EEEvT1_,"axG",@progbits,_ZN7rocprim17ROCPRIM_400000_NS6detail17trampoline_kernelINS0_14default_configENS1_20scan_config_selectorIiEEZZNS1_9scan_implILNS1_25lookback_scan_determinismE0ELb1ELb1ES3_N6thrust23THRUST_200600_302600_NS6detail15normal_iteratorINS9_10device_ptrIjEEEENSB_INSC_IfEEEEiNS9_4plusIvEEiEEDaPvRmT3_T4_T5_mT6_P12ihipStream_tbENKUlT_T0_E_clISt17integral_constantIbLb0EESV_IbLb1EEEEDaSR_SS_EUlSR_E0_NS1_11comp_targetILNS1_3genE9ELNS1_11target_archE1100ELNS1_3gpuE3ELNS1_3repE0EEENS1_30default_config_static_selectorELNS0_4arch9wavefront6targetE1EEEvT1_,comdat
	.protected	_ZN7rocprim17ROCPRIM_400000_NS6detail17trampoline_kernelINS0_14default_configENS1_20scan_config_selectorIiEEZZNS1_9scan_implILNS1_25lookback_scan_determinismE0ELb1ELb1ES3_N6thrust23THRUST_200600_302600_NS6detail15normal_iteratorINS9_10device_ptrIjEEEENSB_INSC_IfEEEEiNS9_4plusIvEEiEEDaPvRmT3_T4_T5_mT6_P12ihipStream_tbENKUlT_T0_E_clISt17integral_constantIbLb0EESV_IbLb1EEEEDaSR_SS_EUlSR_E0_NS1_11comp_targetILNS1_3genE9ELNS1_11target_archE1100ELNS1_3gpuE3ELNS1_3repE0EEENS1_30default_config_static_selectorELNS0_4arch9wavefront6targetE1EEEvT1_ ; -- Begin function _ZN7rocprim17ROCPRIM_400000_NS6detail17trampoline_kernelINS0_14default_configENS1_20scan_config_selectorIiEEZZNS1_9scan_implILNS1_25lookback_scan_determinismE0ELb1ELb1ES3_N6thrust23THRUST_200600_302600_NS6detail15normal_iteratorINS9_10device_ptrIjEEEENSB_INSC_IfEEEEiNS9_4plusIvEEiEEDaPvRmT3_T4_T5_mT6_P12ihipStream_tbENKUlT_T0_E_clISt17integral_constantIbLb0EESV_IbLb1EEEEDaSR_SS_EUlSR_E0_NS1_11comp_targetILNS1_3genE9ELNS1_11target_archE1100ELNS1_3gpuE3ELNS1_3repE0EEENS1_30default_config_static_selectorELNS0_4arch9wavefront6targetE1EEEvT1_
	.globl	_ZN7rocprim17ROCPRIM_400000_NS6detail17trampoline_kernelINS0_14default_configENS1_20scan_config_selectorIiEEZZNS1_9scan_implILNS1_25lookback_scan_determinismE0ELb1ELb1ES3_N6thrust23THRUST_200600_302600_NS6detail15normal_iteratorINS9_10device_ptrIjEEEENSB_INSC_IfEEEEiNS9_4plusIvEEiEEDaPvRmT3_T4_T5_mT6_P12ihipStream_tbENKUlT_T0_E_clISt17integral_constantIbLb0EESV_IbLb1EEEEDaSR_SS_EUlSR_E0_NS1_11comp_targetILNS1_3genE9ELNS1_11target_archE1100ELNS1_3gpuE3ELNS1_3repE0EEENS1_30default_config_static_selectorELNS0_4arch9wavefront6targetE1EEEvT1_
	.p2align	8
	.type	_ZN7rocprim17ROCPRIM_400000_NS6detail17trampoline_kernelINS0_14default_configENS1_20scan_config_selectorIiEEZZNS1_9scan_implILNS1_25lookback_scan_determinismE0ELb1ELb1ES3_N6thrust23THRUST_200600_302600_NS6detail15normal_iteratorINS9_10device_ptrIjEEEENSB_INSC_IfEEEEiNS9_4plusIvEEiEEDaPvRmT3_T4_T5_mT6_P12ihipStream_tbENKUlT_T0_E_clISt17integral_constantIbLb0EESV_IbLb1EEEEDaSR_SS_EUlSR_E0_NS1_11comp_targetILNS1_3genE9ELNS1_11target_archE1100ELNS1_3gpuE3ELNS1_3repE0EEENS1_30default_config_static_selectorELNS0_4arch9wavefront6targetE1EEEvT1_,@function
_ZN7rocprim17ROCPRIM_400000_NS6detail17trampoline_kernelINS0_14default_configENS1_20scan_config_selectorIiEEZZNS1_9scan_implILNS1_25lookback_scan_determinismE0ELb1ELb1ES3_N6thrust23THRUST_200600_302600_NS6detail15normal_iteratorINS9_10device_ptrIjEEEENSB_INSC_IfEEEEiNS9_4plusIvEEiEEDaPvRmT3_T4_T5_mT6_P12ihipStream_tbENKUlT_T0_E_clISt17integral_constantIbLb0EESV_IbLb1EEEEDaSR_SS_EUlSR_E0_NS1_11comp_targetILNS1_3genE9ELNS1_11target_archE1100ELNS1_3gpuE3ELNS1_3repE0EEENS1_30default_config_static_selectorELNS0_4arch9wavefront6targetE1EEEvT1_: ; @_ZN7rocprim17ROCPRIM_400000_NS6detail17trampoline_kernelINS0_14default_configENS1_20scan_config_selectorIiEEZZNS1_9scan_implILNS1_25lookback_scan_determinismE0ELb1ELb1ES3_N6thrust23THRUST_200600_302600_NS6detail15normal_iteratorINS9_10device_ptrIjEEEENSB_INSC_IfEEEEiNS9_4plusIvEEiEEDaPvRmT3_T4_T5_mT6_P12ihipStream_tbENKUlT_T0_E_clISt17integral_constantIbLb0EESV_IbLb1EEEEDaSR_SS_EUlSR_E0_NS1_11comp_targetILNS1_3genE9ELNS1_11target_archE1100ELNS1_3gpuE3ELNS1_3repE0EEENS1_30default_config_static_selectorELNS0_4arch9wavefront6targetE1EEEvT1_
; %bb.0:
	.section	.rodata,"a",@progbits
	.p2align	6, 0x0
	.amdhsa_kernel _ZN7rocprim17ROCPRIM_400000_NS6detail17trampoline_kernelINS0_14default_configENS1_20scan_config_selectorIiEEZZNS1_9scan_implILNS1_25lookback_scan_determinismE0ELb1ELb1ES3_N6thrust23THRUST_200600_302600_NS6detail15normal_iteratorINS9_10device_ptrIjEEEENSB_INSC_IfEEEEiNS9_4plusIvEEiEEDaPvRmT3_T4_T5_mT6_P12ihipStream_tbENKUlT_T0_E_clISt17integral_constantIbLb0EESV_IbLb1EEEEDaSR_SS_EUlSR_E0_NS1_11comp_targetILNS1_3genE9ELNS1_11target_archE1100ELNS1_3gpuE3ELNS1_3repE0EEENS1_30default_config_static_selectorELNS0_4arch9wavefront6targetE1EEEvT1_
		.amdhsa_group_segment_fixed_size 0
		.amdhsa_private_segment_fixed_size 0
		.amdhsa_kernarg_size 32
		.amdhsa_user_sgpr_count 6
		.amdhsa_user_sgpr_private_segment_buffer 1
		.amdhsa_user_sgpr_dispatch_ptr 0
		.amdhsa_user_sgpr_queue_ptr 0
		.amdhsa_user_sgpr_kernarg_segment_ptr 1
		.amdhsa_user_sgpr_dispatch_id 0
		.amdhsa_user_sgpr_flat_scratch_init 0
		.amdhsa_user_sgpr_kernarg_preload_length 0
		.amdhsa_user_sgpr_kernarg_preload_offset 0
		.amdhsa_user_sgpr_private_segment_size 0
		.amdhsa_uses_dynamic_stack 0
		.amdhsa_system_sgpr_private_segment_wavefront_offset 0
		.amdhsa_system_sgpr_workgroup_id_x 1
		.amdhsa_system_sgpr_workgroup_id_y 0
		.amdhsa_system_sgpr_workgroup_id_z 0
		.amdhsa_system_sgpr_workgroup_info 0
		.amdhsa_system_vgpr_workitem_id 0
		.amdhsa_next_free_vgpr 1
		.amdhsa_next_free_sgpr 0
		.amdhsa_accum_offset 4
		.amdhsa_reserve_vcc 0
		.amdhsa_reserve_flat_scratch 0
		.amdhsa_float_round_mode_32 0
		.amdhsa_float_round_mode_16_64 0
		.amdhsa_float_denorm_mode_32 3
		.amdhsa_float_denorm_mode_16_64 3
		.amdhsa_dx10_clamp 1
		.amdhsa_ieee_mode 1
		.amdhsa_fp16_overflow 0
		.amdhsa_tg_split 0
		.amdhsa_exception_fp_ieee_invalid_op 0
		.amdhsa_exception_fp_denorm_src 0
		.amdhsa_exception_fp_ieee_div_zero 0
		.amdhsa_exception_fp_ieee_overflow 0
		.amdhsa_exception_fp_ieee_underflow 0
		.amdhsa_exception_fp_ieee_inexact 0
		.amdhsa_exception_int_div_zero 0
	.end_amdhsa_kernel
	.section	.text._ZN7rocprim17ROCPRIM_400000_NS6detail17trampoline_kernelINS0_14default_configENS1_20scan_config_selectorIiEEZZNS1_9scan_implILNS1_25lookback_scan_determinismE0ELb1ELb1ES3_N6thrust23THRUST_200600_302600_NS6detail15normal_iteratorINS9_10device_ptrIjEEEENSB_INSC_IfEEEEiNS9_4plusIvEEiEEDaPvRmT3_T4_T5_mT6_P12ihipStream_tbENKUlT_T0_E_clISt17integral_constantIbLb0EESV_IbLb1EEEEDaSR_SS_EUlSR_E0_NS1_11comp_targetILNS1_3genE9ELNS1_11target_archE1100ELNS1_3gpuE3ELNS1_3repE0EEENS1_30default_config_static_selectorELNS0_4arch9wavefront6targetE1EEEvT1_,"axG",@progbits,_ZN7rocprim17ROCPRIM_400000_NS6detail17trampoline_kernelINS0_14default_configENS1_20scan_config_selectorIiEEZZNS1_9scan_implILNS1_25lookback_scan_determinismE0ELb1ELb1ES3_N6thrust23THRUST_200600_302600_NS6detail15normal_iteratorINS9_10device_ptrIjEEEENSB_INSC_IfEEEEiNS9_4plusIvEEiEEDaPvRmT3_T4_T5_mT6_P12ihipStream_tbENKUlT_T0_E_clISt17integral_constantIbLb0EESV_IbLb1EEEEDaSR_SS_EUlSR_E0_NS1_11comp_targetILNS1_3genE9ELNS1_11target_archE1100ELNS1_3gpuE3ELNS1_3repE0EEENS1_30default_config_static_selectorELNS0_4arch9wavefront6targetE1EEEvT1_,comdat
.Lfunc_end6230:
	.size	_ZN7rocprim17ROCPRIM_400000_NS6detail17trampoline_kernelINS0_14default_configENS1_20scan_config_selectorIiEEZZNS1_9scan_implILNS1_25lookback_scan_determinismE0ELb1ELb1ES3_N6thrust23THRUST_200600_302600_NS6detail15normal_iteratorINS9_10device_ptrIjEEEENSB_INSC_IfEEEEiNS9_4plusIvEEiEEDaPvRmT3_T4_T5_mT6_P12ihipStream_tbENKUlT_T0_E_clISt17integral_constantIbLb0EESV_IbLb1EEEEDaSR_SS_EUlSR_E0_NS1_11comp_targetILNS1_3genE9ELNS1_11target_archE1100ELNS1_3gpuE3ELNS1_3repE0EEENS1_30default_config_static_selectorELNS0_4arch9wavefront6targetE1EEEvT1_, .Lfunc_end6230-_ZN7rocprim17ROCPRIM_400000_NS6detail17trampoline_kernelINS0_14default_configENS1_20scan_config_selectorIiEEZZNS1_9scan_implILNS1_25lookback_scan_determinismE0ELb1ELb1ES3_N6thrust23THRUST_200600_302600_NS6detail15normal_iteratorINS9_10device_ptrIjEEEENSB_INSC_IfEEEEiNS9_4plusIvEEiEEDaPvRmT3_T4_T5_mT6_P12ihipStream_tbENKUlT_T0_E_clISt17integral_constantIbLb0EESV_IbLb1EEEEDaSR_SS_EUlSR_E0_NS1_11comp_targetILNS1_3genE9ELNS1_11target_archE1100ELNS1_3gpuE3ELNS1_3repE0EEENS1_30default_config_static_selectorELNS0_4arch9wavefront6targetE1EEEvT1_
                                        ; -- End function
	.section	.AMDGPU.csdata,"",@progbits
; Kernel info:
; codeLenInByte = 0
; NumSgprs: 4
; NumVgprs: 0
; NumAgprs: 0
; TotalNumVgprs: 0
; ScratchSize: 0
; MemoryBound: 0
; FloatMode: 240
; IeeeMode: 1
; LDSByteSize: 0 bytes/workgroup (compile time only)
; SGPRBlocks: 0
; VGPRBlocks: 0
; NumSGPRsForWavesPerEU: 4
; NumVGPRsForWavesPerEU: 1
; AccumOffset: 4
; Occupancy: 8
; WaveLimiterHint : 0
; COMPUTE_PGM_RSRC2:SCRATCH_EN: 0
; COMPUTE_PGM_RSRC2:USER_SGPR: 6
; COMPUTE_PGM_RSRC2:TRAP_HANDLER: 0
; COMPUTE_PGM_RSRC2:TGID_X_EN: 1
; COMPUTE_PGM_RSRC2:TGID_Y_EN: 0
; COMPUTE_PGM_RSRC2:TGID_Z_EN: 0
; COMPUTE_PGM_RSRC2:TIDIG_COMP_CNT: 0
; COMPUTE_PGM_RSRC3_GFX90A:ACCUM_OFFSET: 0
; COMPUTE_PGM_RSRC3_GFX90A:TG_SPLIT: 0
	.section	.text._ZN7rocprim17ROCPRIM_400000_NS6detail17trampoline_kernelINS0_14default_configENS1_20scan_config_selectorIiEEZZNS1_9scan_implILNS1_25lookback_scan_determinismE0ELb1ELb1ES3_N6thrust23THRUST_200600_302600_NS6detail15normal_iteratorINS9_10device_ptrIjEEEENSB_INSC_IfEEEEiNS9_4plusIvEEiEEDaPvRmT3_T4_T5_mT6_P12ihipStream_tbENKUlT_T0_E_clISt17integral_constantIbLb0EESV_IbLb1EEEEDaSR_SS_EUlSR_E0_NS1_11comp_targetILNS1_3genE8ELNS1_11target_archE1030ELNS1_3gpuE2ELNS1_3repE0EEENS1_30default_config_static_selectorELNS0_4arch9wavefront6targetE1EEEvT1_,"axG",@progbits,_ZN7rocprim17ROCPRIM_400000_NS6detail17trampoline_kernelINS0_14default_configENS1_20scan_config_selectorIiEEZZNS1_9scan_implILNS1_25lookback_scan_determinismE0ELb1ELb1ES3_N6thrust23THRUST_200600_302600_NS6detail15normal_iteratorINS9_10device_ptrIjEEEENSB_INSC_IfEEEEiNS9_4plusIvEEiEEDaPvRmT3_T4_T5_mT6_P12ihipStream_tbENKUlT_T0_E_clISt17integral_constantIbLb0EESV_IbLb1EEEEDaSR_SS_EUlSR_E0_NS1_11comp_targetILNS1_3genE8ELNS1_11target_archE1030ELNS1_3gpuE2ELNS1_3repE0EEENS1_30default_config_static_selectorELNS0_4arch9wavefront6targetE1EEEvT1_,comdat
	.protected	_ZN7rocprim17ROCPRIM_400000_NS6detail17trampoline_kernelINS0_14default_configENS1_20scan_config_selectorIiEEZZNS1_9scan_implILNS1_25lookback_scan_determinismE0ELb1ELb1ES3_N6thrust23THRUST_200600_302600_NS6detail15normal_iteratorINS9_10device_ptrIjEEEENSB_INSC_IfEEEEiNS9_4plusIvEEiEEDaPvRmT3_T4_T5_mT6_P12ihipStream_tbENKUlT_T0_E_clISt17integral_constantIbLb0EESV_IbLb1EEEEDaSR_SS_EUlSR_E0_NS1_11comp_targetILNS1_3genE8ELNS1_11target_archE1030ELNS1_3gpuE2ELNS1_3repE0EEENS1_30default_config_static_selectorELNS0_4arch9wavefront6targetE1EEEvT1_ ; -- Begin function _ZN7rocprim17ROCPRIM_400000_NS6detail17trampoline_kernelINS0_14default_configENS1_20scan_config_selectorIiEEZZNS1_9scan_implILNS1_25lookback_scan_determinismE0ELb1ELb1ES3_N6thrust23THRUST_200600_302600_NS6detail15normal_iteratorINS9_10device_ptrIjEEEENSB_INSC_IfEEEEiNS9_4plusIvEEiEEDaPvRmT3_T4_T5_mT6_P12ihipStream_tbENKUlT_T0_E_clISt17integral_constantIbLb0EESV_IbLb1EEEEDaSR_SS_EUlSR_E0_NS1_11comp_targetILNS1_3genE8ELNS1_11target_archE1030ELNS1_3gpuE2ELNS1_3repE0EEENS1_30default_config_static_selectorELNS0_4arch9wavefront6targetE1EEEvT1_
	.globl	_ZN7rocprim17ROCPRIM_400000_NS6detail17trampoline_kernelINS0_14default_configENS1_20scan_config_selectorIiEEZZNS1_9scan_implILNS1_25lookback_scan_determinismE0ELb1ELb1ES3_N6thrust23THRUST_200600_302600_NS6detail15normal_iteratorINS9_10device_ptrIjEEEENSB_INSC_IfEEEEiNS9_4plusIvEEiEEDaPvRmT3_T4_T5_mT6_P12ihipStream_tbENKUlT_T0_E_clISt17integral_constantIbLb0EESV_IbLb1EEEEDaSR_SS_EUlSR_E0_NS1_11comp_targetILNS1_3genE8ELNS1_11target_archE1030ELNS1_3gpuE2ELNS1_3repE0EEENS1_30default_config_static_selectorELNS0_4arch9wavefront6targetE1EEEvT1_
	.p2align	8
	.type	_ZN7rocprim17ROCPRIM_400000_NS6detail17trampoline_kernelINS0_14default_configENS1_20scan_config_selectorIiEEZZNS1_9scan_implILNS1_25lookback_scan_determinismE0ELb1ELb1ES3_N6thrust23THRUST_200600_302600_NS6detail15normal_iteratorINS9_10device_ptrIjEEEENSB_INSC_IfEEEEiNS9_4plusIvEEiEEDaPvRmT3_T4_T5_mT6_P12ihipStream_tbENKUlT_T0_E_clISt17integral_constantIbLb0EESV_IbLb1EEEEDaSR_SS_EUlSR_E0_NS1_11comp_targetILNS1_3genE8ELNS1_11target_archE1030ELNS1_3gpuE2ELNS1_3repE0EEENS1_30default_config_static_selectorELNS0_4arch9wavefront6targetE1EEEvT1_,@function
_ZN7rocprim17ROCPRIM_400000_NS6detail17trampoline_kernelINS0_14default_configENS1_20scan_config_selectorIiEEZZNS1_9scan_implILNS1_25lookback_scan_determinismE0ELb1ELb1ES3_N6thrust23THRUST_200600_302600_NS6detail15normal_iteratorINS9_10device_ptrIjEEEENSB_INSC_IfEEEEiNS9_4plusIvEEiEEDaPvRmT3_T4_T5_mT6_P12ihipStream_tbENKUlT_T0_E_clISt17integral_constantIbLb0EESV_IbLb1EEEEDaSR_SS_EUlSR_E0_NS1_11comp_targetILNS1_3genE8ELNS1_11target_archE1030ELNS1_3gpuE2ELNS1_3repE0EEENS1_30default_config_static_selectorELNS0_4arch9wavefront6targetE1EEEvT1_: ; @_ZN7rocprim17ROCPRIM_400000_NS6detail17trampoline_kernelINS0_14default_configENS1_20scan_config_selectorIiEEZZNS1_9scan_implILNS1_25lookback_scan_determinismE0ELb1ELb1ES3_N6thrust23THRUST_200600_302600_NS6detail15normal_iteratorINS9_10device_ptrIjEEEENSB_INSC_IfEEEEiNS9_4plusIvEEiEEDaPvRmT3_T4_T5_mT6_P12ihipStream_tbENKUlT_T0_E_clISt17integral_constantIbLb0EESV_IbLb1EEEEDaSR_SS_EUlSR_E0_NS1_11comp_targetILNS1_3genE8ELNS1_11target_archE1030ELNS1_3gpuE2ELNS1_3repE0EEENS1_30default_config_static_selectorELNS0_4arch9wavefront6targetE1EEEvT1_
; %bb.0:
	.section	.rodata,"a",@progbits
	.p2align	6, 0x0
	.amdhsa_kernel _ZN7rocprim17ROCPRIM_400000_NS6detail17trampoline_kernelINS0_14default_configENS1_20scan_config_selectorIiEEZZNS1_9scan_implILNS1_25lookback_scan_determinismE0ELb1ELb1ES3_N6thrust23THRUST_200600_302600_NS6detail15normal_iteratorINS9_10device_ptrIjEEEENSB_INSC_IfEEEEiNS9_4plusIvEEiEEDaPvRmT3_T4_T5_mT6_P12ihipStream_tbENKUlT_T0_E_clISt17integral_constantIbLb0EESV_IbLb1EEEEDaSR_SS_EUlSR_E0_NS1_11comp_targetILNS1_3genE8ELNS1_11target_archE1030ELNS1_3gpuE2ELNS1_3repE0EEENS1_30default_config_static_selectorELNS0_4arch9wavefront6targetE1EEEvT1_
		.amdhsa_group_segment_fixed_size 0
		.amdhsa_private_segment_fixed_size 0
		.amdhsa_kernarg_size 32
		.amdhsa_user_sgpr_count 6
		.amdhsa_user_sgpr_private_segment_buffer 1
		.amdhsa_user_sgpr_dispatch_ptr 0
		.amdhsa_user_sgpr_queue_ptr 0
		.amdhsa_user_sgpr_kernarg_segment_ptr 1
		.amdhsa_user_sgpr_dispatch_id 0
		.amdhsa_user_sgpr_flat_scratch_init 0
		.amdhsa_user_sgpr_kernarg_preload_length 0
		.amdhsa_user_sgpr_kernarg_preload_offset 0
		.amdhsa_user_sgpr_private_segment_size 0
		.amdhsa_uses_dynamic_stack 0
		.amdhsa_system_sgpr_private_segment_wavefront_offset 0
		.amdhsa_system_sgpr_workgroup_id_x 1
		.amdhsa_system_sgpr_workgroup_id_y 0
		.amdhsa_system_sgpr_workgroup_id_z 0
		.amdhsa_system_sgpr_workgroup_info 0
		.amdhsa_system_vgpr_workitem_id 0
		.amdhsa_next_free_vgpr 1
		.amdhsa_next_free_sgpr 0
		.amdhsa_accum_offset 4
		.amdhsa_reserve_vcc 0
		.amdhsa_reserve_flat_scratch 0
		.amdhsa_float_round_mode_32 0
		.amdhsa_float_round_mode_16_64 0
		.amdhsa_float_denorm_mode_32 3
		.amdhsa_float_denorm_mode_16_64 3
		.amdhsa_dx10_clamp 1
		.amdhsa_ieee_mode 1
		.amdhsa_fp16_overflow 0
		.amdhsa_tg_split 0
		.amdhsa_exception_fp_ieee_invalid_op 0
		.amdhsa_exception_fp_denorm_src 0
		.amdhsa_exception_fp_ieee_div_zero 0
		.amdhsa_exception_fp_ieee_overflow 0
		.amdhsa_exception_fp_ieee_underflow 0
		.amdhsa_exception_fp_ieee_inexact 0
		.amdhsa_exception_int_div_zero 0
	.end_amdhsa_kernel
	.section	.text._ZN7rocprim17ROCPRIM_400000_NS6detail17trampoline_kernelINS0_14default_configENS1_20scan_config_selectorIiEEZZNS1_9scan_implILNS1_25lookback_scan_determinismE0ELb1ELb1ES3_N6thrust23THRUST_200600_302600_NS6detail15normal_iteratorINS9_10device_ptrIjEEEENSB_INSC_IfEEEEiNS9_4plusIvEEiEEDaPvRmT3_T4_T5_mT6_P12ihipStream_tbENKUlT_T0_E_clISt17integral_constantIbLb0EESV_IbLb1EEEEDaSR_SS_EUlSR_E0_NS1_11comp_targetILNS1_3genE8ELNS1_11target_archE1030ELNS1_3gpuE2ELNS1_3repE0EEENS1_30default_config_static_selectorELNS0_4arch9wavefront6targetE1EEEvT1_,"axG",@progbits,_ZN7rocprim17ROCPRIM_400000_NS6detail17trampoline_kernelINS0_14default_configENS1_20scan_config_selectorIiEEZZNS1_9scan_implILNS1_25lookback_scan_determinismE0ELb1ELb1ES3_N6thrust23THRUST_200600_302600_NS6detail15normal_iteratorINS9_10device_ptrIjEEEENSB_INSC_IfEEEEiNS9_4plusIvEEiEEDaPvRmT3_T4_T5_mT6_P12ihipStream_tbENKUlT_T0_E_clISt17integral_constantIbLb0EESV_IbLb1EEEEDaSR_SS_EUlSR_E0_NS1_11comp_targetILNS1_3genE8ELNS1_11target_archE1030ELNS1_3gpuE2ELNS1_3repE0EEENS1_30default_config_static_selectorELNS0_4arch9wavefront6targetE1EEEvT1_,comdat
.Lfunc_end6231:
	.size	_ZN7rocprim17ROCPRIM_400000_NS6detail17trampoline_kernelINS0_14default_configENS1_20scan_config_selectorIiEEZZNS1_9scan_implILNS1_25lookback_scan_determinismE0ELb1ELb1ES3_N6thrust23THRUST_200600_302600_NS6detail15normal_iteratorINS9_10device_ptrIjEEEENSB_INSC_IfEEEEiNS9_4plusIvEEiEEDaPvRmT3_T4_T5_mT6_P12ihipStream_tbENKUlT_T0_E_clISt17integral_constantIbLb0EESV_IbLb1EEEEDaSR_SS_EUlSR_E0_NS1_11comp_targetILNS1_3genE8ELNS1_11target_archE1030ELNS1_3gpuE2ELNS1_3repE0EEENS1_30default_config_static_selectorELNS0_4arch9wavefront6targetE1EEEvT1_, .Lfunc_end6231-_ZN7rocprim17ROCPRIM_400000_NS6detail17trampoline_kernelINS0_14default_configENS1_20scan_config_selectorIiEEZZNS1_9scan_implILNS1_25lookback_scan_determinismE0ELb1ELb1ES3_N6thrust23THRUST_200600_302600_NS6detail15normal_iteratorINS9_10device_ptrIjEEEENSB_INSC_IfEEEEiNS9_4plusIvEEiEEDaPvRmT3_T4_T5_mT6_P12ihipStream_tbENKUlT_T0_E_clISt17integral_constantIbLb0EESV_IbLb1EEEEDaSR_SS_EUlSR_E0_NS1_11comp_targetILNS1_3genE8ELNS1_11target_archE1030ELNS1_3gpuE2ELNS1_3repE0EEENS1_30default_config_static_selectorELNS0_4arch9wavefront6targetE1EEEvT1_
                                        ; -- End function
	.section	.AMDGPU.csdata,"",@progbits
; Kernel info:
; codeLenInByte = 0
; NumSgprs: 4
; NumVgprs: 0
; NumAgprs: 0
; TotalNumVgprs: 0
; ScratchSize: 0
; MemoryBound: 0
; FloatMode: 240
; IeeeMode: 1
; LDSByteSize: 0 bytes/workgroup (compile time only)
; SGPRBlocks: 0
; VGPRBlocks: 0
; NumSGPRsForWavesPerEU: 4
; NumVGPRsForWavesPerEU: 1
; AccumOffset: 4
; Occupancy: 8
; WaveLimiterHint : 0
; COMPUTE_PGM_RSRC2:SCRATCH_EN: 0
; COMPUTE_PGM_RSRC2:USER_SGPR: 6
; COMPUTE_PGM_RSRC2:TRAP_HANDLER: 0
; COMPUTE_PGM_RSRC2:TGID_X_EN: 1
; COMPUTE_PGM_RSRC2:TGID_Y_EN: 0
; COMPUTE_PGM_RSRC2:TGID_Z_EN: 0
; COMPUTE_PGM_RSRC2:TIDIG_COMP_CNT: 0
; COMPUTE_PGM_RSRC3_GFX90A:ACCUM_OFFSET: 0
; COMPUTE_PGM_RSRC3_GFX90A:TG_SPLIT: 0
	.section	.text._ZN7rocprim17ROCPRIM_400000_NS6detail17trampoline_kernelINS0_14default_configENS1_20scan_config_selectorIiEEZZNS1_9scan_implILNS1_25lookback_scan_determinismE0ELb1ELb1ES3_N6thrust23THRUST_200600_302600_NS6detail15normal_iteratorINS9_10device_ptrIjEEEENSB_INSC_IiEEEEiNS9_4plusIvEEiEEDaPvRmT3_T4_T5_mT6_P12ihipStream_tbENKUlT_T0_E_clISt17integral_constantIbLb0EESW_EEDaSR_SS_EUlSR_E_NS1_11comp_targetILNS1_3genE0ELNS1_11target_archE4294967295ELNS1_3gpuE0ELNS1_3repE0EEENS1_30default_config_static_selectorELNS0_4arch9wavefront6targetE1EEEvT1_,"axG",@progbits,_ZN7rocprim17ROCPRIM_400000_NS6detail17trampoline_kernelINS0_14default_configENS1_20scan_config_selectorIiEEZZNS1_9scan_implILNS1_25lookback_scan_determinismE0ELb1ELb1ES3_N6thrust23THRUST_200600_302600_NS6detail15normal_iteratorINS9_10device_ptrIjEEEENSB_INSC_IiEEEEiNS9_4plusIvEEiEEDaPvRmT3_T4_T5_mT6_P12ihipStream_tbENKUlT_T0_E_clISt17integral_constantIbLb0EESW_EEDaSR_SS_EUlSR_E_NS1_11comp_targetILNS1_3genE0ELNS1_11target_archE4294967295ELNS1_3gpuE0ELNS1_3repE0EEENS1_30default_config_static_selectorELNS0_4arch9wavefront6targetE1EEEvT1_,comdat
	.protected	_ZN7rocprim17ROCPRIM_400000_NS6detail17trampoline_kernelINS0_14default_configENS1_20scan_config_selectorIiEEZZNS1_9scan_implILNS1_25lookback_scan_determinismE0ELb1ELb1ES3_N6thrust23THRUST_200600_302600_NS6detail15normal_iteratorINS9_10device_ptrIjEEEENSB_INSC_IiEEEEiNS9_4plusIvEEiEEDaPvRmT3_T4_T5_mT6_P12ihipStream_tbENKUlT_T0_E_clISt17integral_constantIbLb0EESW_EEDaSR_SS_EUlSR_E_NS1_11comp_targetILNS1_3genE0ELNS1_11target_archE4294967295ELNS1_3gpuE0ELNS1_3repE0EEENS1_30default_config_static_selectorELNS0_4arch9wavefront6targetE1EEEvT1_ ; -- Begin function _ZN7rocprim17ROCPRIM_400000_NS6detail17trampoline_kernelINS0_14default_configENS1_20scan_config_selectorIiEEZZNS1_9scan_implILNS1_25lookback_scan_determinismE0ELb1ELb1ES3_N6thrust23THRUST_200600_302600_NS6detail15normal_iteratorINS9_10device_ptrIjEEEENSB_INSC_IiEEEEiNS9_4plusIvEEiEEDaPvRmT3_T4_T5_mT6_P12ihipStream_tbENKUlT_T0_E_clISt17integral_constantIbLb0EESW_EEDaSR_SS_EUlSR_E_NS1_11comp_targetILNS1_3genE0ELNS1_11target_archE4294967295ELNS1_3gpuE0ELNS1_3repE0EEENS1_30default_config_static_selectorELNS0_4arch9wavefront6targetE1EEEvT1_
	.globl	_ZN7rocprim17ROCPRIM_400000_NS6detail17trampoline_kernelINS0_14default_configENS1_20scan_config_selectorIiEEZZNS1_9scan_implILNS1_25lookback_scan_determinismE0ELb1ELb1ES3_N6thrust23THRUST_200600_302600_NS6detail15normal_iteratorINS9_10device_ptrIjEEEENSB_INSC_IiEEEEiNS9_4plusIvEEiEEDaPvRmT3_T4_T5_mT6_P12ihipStream_tbENKUlT_T0_E_clISt17integral_constantIbLb0EESW_EEDaSR_SS_EUlSR_E_NS1_11comp_targetILNS1_3genE0ELNS1_11target_archE4294967295ELNS1_3gpuE0ELNS1_3repE0EEENS1_30default_config_static_selectorELNS0_4arch9wavefront6targetE1EEEvT1_
	.p2align	8
	.type	_ZN7rocprim17ROCPRIM_400000_NS6detail17trampoline_kernelINS0_14default_configENS1_20scan_config_selectorIiEEZZNS1_9scan_implILNS1_25lookback_scan_determinismE0ELb1ELb1ES3_N6thrust23THRUST_200600_302600_NS6detail15normal_iteratorINS9_10device_ptrIjEEEENSB_INSC_IiEEEEiNS9_4plusIvEEiEEDaPvRmT3_T4_T5_mT6_P12ihipStream_tbENKUlT_T0_E_clISt17integral_constantIbLb0EESW_EEDaSR_SS_EUlSR_E_NS1_11comp_targetILNS1_3genE0ELNS1_11target_archE4294967295ELNS1_3gpuE0ELNS1_3repE0EEENS1_30default_config_static_selectorELNS0_4arch9wavefront6targetE1EEEvT1_,@function
_ZN7rocprim17ROCPRIM_400000_NS6detail17trampoline_kernelINS0_14default_configENS1_20scan_config_selectorIiEEZZNS1_9scan_implILNS1_25lookback_scan_determinismE0ELb1ELb1ES3_N6thrust23THRUST_200600_302600_NS6detail15normal_iteratorINS9_10device_ptrIjEEEENSB_INSC_IiEEEEiNS9_4plusIvEEiEEDaPvRmT3_T4_T5_mT6_P12ihipStream_tbENKUlT_T0_E_clISt17integral_constantIbLb0EESW_EEDaSR_SS_EUlSR_E_NS1_11comp_targetILNS1_3genE0ELNS1_11target_archE4294967295ELNS1_3gpuE0ELNS1_3repE0EEENS1_30default_config_static_selectorELNS0_4arch9wavefront6targetE1EEEvT1_: ; @_ZN7rocprim17ROCPRIM_400000_NS6detail17trampoline_kernelINS0_14default_configENS1_20scan_config_selectorIiEEZZNS1_9scan_implILNS1_25lookback_scan_determinismE0ELb1ELb1ES3_N6thrust23THRUST_200600_302600_NS6detail15normal_iteratorINS9_10device_ptrIjEEEENSB_INSC_IiEEEEiNS9_4plusIvEEiEEDaPvRmT3_T4_T5_mT6_P12ihipStream_tbENKUlT_T0_E_clISt17integral_constantIbLb0EESW_EEDaSR_SS_EUlSR_E_NS1_11comp_targetILNS1_3genE0ELNS1_11target_archE4294967295ELNS1_3gpuE0ELNS1_3repE0EEENS1_30default_config_static_selectorELNS0_4arch9wavefront6targetE1EEEvT1_
; %bb.0:
	.section	.rodata,"a",@progbits
	.p2align	6, 0x0
	.amdhsa_kernel _ZN7rocprim17ROCPRIM_400000_NS6detail17trampoline_kernelINS0_14default_configENS1_20scan_config_selectorIiEEZZNS1_9scan_implILNS1_25lookback_scan_determinismE0ELb1ELb1ES3_N6thrust23THRUST_200600_302600_NS6detail15normal_iteratorINS9_10device_ptrIjEEEENSB_INSC_IiEEEEiNS9_4plusIvEEiEEDaPvRmT3_T4_T5_mT6_P12ihipStream_tbENKUlT_T0_E_clISt17integral_constantIbLb0EESW_EEDaSR_SS_EUlSR_E_NS1_11comp_targetILNS1_3genE0ELNS1_11target_archE4294967295ELNS1_3gpuE0ELNS1_3repE0EEENS1_30default_config_static_selectorELNS0_4arch9wavefront6targetE1EEEvT1_
		.amdhsa_group_segment_fixed_size 0
		.amdhsa_private_segment_fixed_size 0
		.amdhsa_kernarg_size 96
		.amdhsa_user_sgpr_count 6
		.amdhsa_user_sgpr_private_segment_buffer 1
		.amdhsa_user_sgpr_dispatch_ptr 0
		.amdhsa_user_sgpr_queue_ptr 0
		.amdhsa_user_sgpr_kernarg_segment_ptr 1
		.amdhsa_user_sgpr_dispatch_id 0
		.amdhsa_user_sgpr_flat_scratch_init 0
		.amdhsa_user_sgpr_kernarg_preload_length 0
		.amdhsa_user_sgpr_kernarg_preload_offset 0
		.amdhsa_user_sgpr_private_segment_size 0
		.amdhsa_uses_dynamic_stack 0
		.amdhsa_system_sgpr_private_segment_wavefront_offset 0
		.amdhsa_system_sgpr_workgroup_id_x 1
		.amdhsa_system_sgpr_workgroup_id_y 0
		.amdhsa_system_sgpr_workgroup_id_z 0
		.amdhsa_system_sgpr_workgroup_info 0
		.amdhsa_system_vgpr_workitem_id 0
		.amdhsa_next_free_vgpr 1
		.amdhsa_next_free_sgpr 0
		.amdhsa_accum_offset 4
		.amdhsa_reserve_vcc 0
		.amdhsa_reserve_flat_scratch 0
		.amdhsa_float_round_mode_32 0
		.amdhsa_float_round_mode_16_64 0
		.amdhsa_float_denorm_mode_32 3
		.amdhsa_float_denorm_mode_16_64 3
		.amdhsa_dx10_clamp 1
		.amdhsa_ieee_mode 1
		.amdhsa_fp16_overflow 0
		.amdhsa_tg_split 0
		.amdhsa_exception_fp_ieee_invalid_op 0
		.amdhsa_exception_fp_denorm_src 0
		.amdhsa_exception_fp_ieee_div_zero 0
		.amdhsa_exception_fp_ieee_overflow 0
		.amdhsa_exception_fp_ieee_underflow 0
		.amdhsa_exception_fp_ieee_inexact 0
		.amdhsa_exception_int_div_zero 0
	.end_amdhsa_kernel
	.section	.text._ZN7rocprim17ROCPRIM_400000_NS6detail17trampoline_kernelINS0_14default_configENS1_20scan_config_selectorIiEEZZNS1_9scan_implILNS1_25lookback_scan_determinismE0ELb1ELb1ES3_N6thrust23THRUST_200600_302600_NS6detail15normal_iteratorINS9_10device_ptrIjEEEENSB_INSC_IiEEEEiNS9_4plusIvEEiEEDaPvRmT3_T4_T5_mT6_P12ihipStream_tbENKUlT_T0_E_clISt17integral_constantIbLb0EESW_EEDaSR_SS_EUlSR_E_NS1_11comp_targetILNS1_3genE0ELNS1_11target_archE4294967295ELNS1_3gpuE0ELNS1_3repE0EEENS1_30default_config_static_selectorELNS0_4arch9wavefront6targetE1EEEvT1_,"axG",@progbits,_ZN7rocprim17ROCPRIM_400000_NS6detail17trampoline_kernelINS0_14default_configENS1_20scan_config_selectorIiEEZZNS1_9scan_implILNS1_25lookback_scan_determinismE0ELb1ELb1ES3_N6thrust23THRUST_200600_302600_NS6detail15normal_iteratorINS9_10device_ptrIjEEEENSB_INSC_IiEEEEiNS9_4plusIvEEiEEDaPvRmT3_T4_T5_mT6_P12ihipStream_tbENKUlT_T0_E_clISt17integral_constantIbLb0EESW_EEDaSR_SS_EUlSR_E_NS1_11comp_targetILNS1_3genE0ELNS1_11target_archE4294967295ELNS1_3gpuE0ELNS1_3repE0EEENS1_30default_config_static_selectorELNS0_4arch9wavefront6targetE1EEEvT1_,comdat
.Lfunc_end6232:
	.size	_ZN7rocprim17ROCPRIM_400000_NS6detail17trampoline_kernelINS0_14default_configENS1_20scan_config_selectorIiEEZZNS1_9scan_implILNS1_25lookback_scan_determinismE0ELb1ELb1ES3_N6thrust23THRUST_200600_302600_NS6detail15normal_iteratorINS9_10device_ptrIjEEEENSB_INSC_IiEEEEiNS9_4plusIvEEiEEDaPvRmT3_T4_T5_mT6_P12ihipStream_tbENKUlT_T0_E_clISt17integral_constantIbLb0EESW_EEDaSR_SS_EUlSR_E_NS1_11comp_targetILNS1_3genE0ELNS1_11target_archE4294967295ELNS1_3gpuE0ELNS1_3repE0EEENS1_30default_config_static_selectorELNS0_4arch9wavefront6targetE1EEEvT1_, .Lfunc_end6232-_ZN7rocprim17ROCPRIM_400000_NS6detail17trampoline_kernelINS0_14default_configENS1_20scan_config_selectorIiEEZZNS1_9scan_implILNS1_25lookback_scan_determinismE0ELb1ELb1ES3_N6thrust23THRUST_200600_302600_NS6detail15normal_iteratorINS9_10device_ptrIjEEEENSB_INSC_IiEEEEiNS9_4plusIvEEiEEDaPvRmT3_T4_T5_mT6_P12ihipStream_tbENKUlT_T0_E_clISt17integral_constantIbLb0EESW_EEDaSR_SS_EUlSR_E_NS1_11comp_targetILNS1_3genE0ELNS1_11target_archE4294967295ELNS1_3gpuE0ELNS1_3repE0EEENS1_30default_config_static_selectorELNS0_4arch9wavefront6targetE1EEEvT1_
                                        ; -- End function
	.section	.AMDGPU.csdata,"",@progbits
; Kernel info:
; codeLenInByte = 0
; NumSgprs: 4
; NumVgprs: 0
; NumAgprs: 0
; TotalNumVgprs: 0
; ScratchSize: 0
; MemoryBound: 0
; FloatMode: 240
; IeeeMode: 1
; LDSByteSize: 0 bytes/workgroup (compile time only)
; SGPRBlocks: 0
; VGPRBlocks: 0
; NumSGPRsForWavesPerEU: 4
; NumVGPRsForWavesPerEU: 1
; AccumOffset: 4
; Occupancy: 8
; WaveLimiterHint : 0
; COMPUTE_PGM_RSRC2:SCRATCH_EN: 0
; COMPUTE_PGM_RSRC2:USER_SGPR: 6
; COMPUTE_PGM_RSRC2:TRAP_HANDLER: 0
; COMPUTE_PGM_RSRC2:TGID_X_EN: 1
; COMPUTE_PGM_RSRC2:TGID_Y_EN: 0
; COMPUTE_PGM_RSRC2:TGID_Z_EN: 0
; COMPUTE_PGM_RSRC2:TIDIG_COMP_CNT: 0
; COMPUTE_PGM_RSRC3_GFX90A:ACCUM_OFFSET: 0
; COMPUTE_PGM_RSRC3_GFX90A:TG_SPLIT: 0
	.section	.text._ZN7rocprim17ROCPRIM_400000_NS6detail17trampoline_kernelINS0_14default_configENS1_20scan_config_selectorIiEEZZNS1_9scan_implILNS1_25lookback_scan_determinismE0ELb1ELb1ES3_N6thrust23THRUST_200600_302600_NS6detail15normal_iteratorINS9_10device_ptrIjEEEENSB_INSC_IiEEEEiNS9_4plusIvEEiEEDaPvRmT3_T4_T5_mT6_P12ihipStream_tbENKUlT_T0_E_clISt17integral_constantIbLb0EESW_EEDaSR_SS_EUlSR_E_NS1_11comp_targetILNS1_3genE5ELNS1_11target_archE942ELNS1_3gpuE9ELNS1_3repE0EEENS1_30default_config_static_selectorELNS0_4arch9wavefront6targetE1EEEvT1_,"axG",@progbits,_ZN7rocprim17ROCPRIM_400000_NS6detail17trampoline_kernelINS0_14default_configENS1_20scan_config_selectorIiEEZZNS1_9scan_implILNS1_25lookback_scan_determinismE0ELb1ELb1ES3_N6thrust23THRUST_200600_302600_NS6detail15normal_iteratorINS9_10device_ptrIjEEEENSB_INSC_IiEEEEiNS9_4plusIvEEiEEDaPvRmT3_T4_T5_mT6_P12ihipStream_tbENKUlT_T0_E_clISt17integral_constantIbLb0EESW_EEDaSR_SS_EUlSR_E_NS1_11comp_targetILNS1_3genE5ELNS1_11target_archE942ELNS1_3gpuE9ELNS1_3repE0EEENS1_30default_config_static_selectorELNS0_4arch9wavefront6targetE1EEEvT1_,comdat
	.protected	_ZN7rocprim17ROCPRIM_400000_NS6detail17trampoline_kernelINS0_14default_configENS1_20scan_config_selectorIiEEZZNS1_9scan_implILNS1_25lookback_scan_determinismE0ELb1ELb1ES3_N6thrust23THRUST_200600_302600_NS6detail15normal_iteratorINS9_10device_ptrIjEEEENSB_INSC_IiEEEEiNS9_4plusIvEEiEEDaPvRmT3_T4_T5_mT6_P12ihipStream_tbENKUlT_T0_E_clISt17integral_constantIbLb0EESW_EEDaSR_SS_EUlSR_E_NS1_11comp_targetILNS1_3genE5ELNS1_11target_archE942ELNS1_3gpuE9ELNS1_3repE0EEENS1_30default_config_static_selectorELNS0_4arch9wavefront6targetE1EEEvT1_ ; -- Begin function _ZN7rocprim17ROCPRIM_400000_NS6detail17trampoline_kernelINS0_14default_configENS1_20scan_config_selectorIiEEZZNS1_9scan_implILNS1_25lookback_scan_determinismE0ELb1ELb1ES3_N6thrust23THRUST_200600_302600_NS6detail15normal_iteratorINS9_10device_ptrIjEEEENSB_INSC_IiEEEEiNS9_4plusIvEEiEEDaPvRmT3_T4_T5_mT6_P12ihipStream_tbENKUlT_T0_E_clISt17integral_constantIbLb0EESW_EEDaSR_SS_EUlSR_E_NS1_11comp_targetILNS1_3genE5ELNS1_11target_archE942ELNS1_3gpuE9ELNS1_3repE0EEENS1_30default_config_static_selectorELNS0_4arch9wavefront6targetE1EEEvT1_
	.globl	_ZN7rocprim17ROCPRIM_400000_NS6detail17trampoline_kernelINS0_14default_configENS1_20scan_config_selectorIiEEZZNS1_9scan_implILNS1_25lookback_scan_determinismE0ELb1ELb1ES3_N6thrust23THRUST_200600_302600_NS6detail15normal_iteratorINS9_10device_ptrIjEEEENSB_INSC_IiEEEEiNS9_4plusIvEEiEEDaPvRmT3_T4_T5_mT6_P12ihipStream_tbENKUlT_T0_E_clISt17integral_constantIbLb0EESW_EEDaSR_SS_EUlSR_E_NS1_11comp_targetILNS1_3genE5ELNS1_11target_archE942ELNS1_3gpuE9ELNS1_3repE0EEENS1_30default_config_static_selectorELNS0_4arch9wavefront6targetE1EEEvT1_
	.p2align	8
	.type	_ZN7rocprim17ROCPRIM_400000_NS6detail17trampoline_kernelINS0_14default_configENS1_20scan_config_selectorIiEEZZNS1_9scan_implILNS1_25lookback_scan_determinismE0ELb1ELb1ES3_N6thrust23THRUST_200600_302600_NS6detail15normal_iteratorINS9_10device_ptrIjEEEENSB_INSC_IiEEEEiNS9_4plusIvEEiEEDaPvRmT3_T4_T5_mT6_P12ihipStream_tbENKUlT_T0_E_clISt17integral_constantIbLb0EESW_EEDaSR_SS_EUlSR_E_NS1_11comp_targetILNS1_3genE5ELNS1_11target_archE942ELNS1_3gpuE9ELNS1_3repE0EEENS1_30default_config_static_selectorELNS0_4arch9wavefront6targetE1EEEvT1_,@function
_ZN7rocprim17ROCPRIM_400000_NS6detail17trampoline_kernelINS0_14default_configENS1_20scan_config_selectorIiEEZZNS1_9scan_implILNS1_25lookback_scan_determinismE0ELb1ELb1ES3_N6thrust23THRUST_200600_302600_NS6detail15normal_iteratorINS9_10device_ptrIjEEEENSB_INSC_IiEEEEiNS9_4plusIvEEiEEDaPvRmT3_T4_T5_mT6_P12ihipStream_tbENKUlT_T0_E_clISt17integral_constantIbLb0EESW_EEDaSR_SS_EUlSR_E_NS1_11comp_targetILNS1_3genE5ELNS1_11target_archE942ELNS1_3gpuE9ELNS1_3repE0EEENS1_30default_config_static_selectorELNS0_4arch9wavefront6targetE1EEEvT1_: ; @_ZN7rocprim17ROCPRIM_400000_NS6detail17trampoline_kernelINS0_14default_configENS1_20scan_config_selectorIiEEZZNS1_9scan_implILNS1_25lookback_scan_determinismE0ELb1ELb1ES3_N6thrust23THRUST_200600_302600_NS6detail15normal_iteratorINS9_10device_ptrIjEEEENSB_INSC_IiEEEEiNS9_4plusIvEEiEEDaPvRmT3_T4_T5_mT6_P12ihipStream_tbENKUlT_T0_E_clISt17integral_constantIbLb0EESW_EEDaSR_SS_EUlSR_E_NS1_11comp_targetILNS1_3genE5ELNS1_11target_archE942ELNS1_3gpuE9ELNS1_3repE0EEENS1_30default_config_static_selectorELNS0_4arch9wavefront6targetE1EEEvT1_
; %bb.0:
	.section	.rodata,"a",@progbits
	.p2align	6, 0x0
	.amdhsa_kernel _ZN7rocprim17ROCPRIM_400000_NS6detail17trampoline_kernelINS0_14default_configENS1_20scan_config_selectorIiEEZZNS1_9scan_implILNS1_25lookback_scan_determinismE0ELb1ELb1ES3_N6thrust23THRUST_200600_302600_NS6detail15normal_iteratorINS9_10device_ptrIjEEEENSB_INSC_IiEEEEiNS9_4plusIvEEiEEDaPvRmT3_T4_T5_mT6_P12ihipStream_tbENKUlT_T0_E_clISt17integral_constantIbLb0EESW_EEDaSR_SS_EUlSR_E_NS1_11comp_targetILNS1_3genE5ELNS1_11target_archE942ELNS1_3gpuE9ELNS1_3repE0EEENS1_30default_config_static_selectorELNS0_4arch9wavefront6targetE1EEEvT1_
		.amdhsa_group_segment_fixed_size 0
		.amdhsa_private_segment_fixed_size 0
		.amdhsa_kernarg_size 96
		.amdhsa_user_sgpr_count 6
		.amdhsa_user_sgpr_private_segment_buffer 1
		.amdhsa_user_sgpr_dispatch_ptr 0
		.amdhsa_user_sgpr_queue_ptr 0
		.amdhsa_user_sgpr_kernarg_segment_ptr 1
		.amdhsa_user_sgpr_dispatch_id 0
		.amdhsa_user_sgpr_flat_scratch_init 0
		.amdhsa_user_sgpr_kernarg_preload_length 0
		.amdhsa_user_sgpr_kernarg_preload_offset 0
		.amdhsa_user_sgpr_private_segment_size 0
		.amdhsa_uses_dynamic_stack 0
		.amdhsa_system_sgpr_private_segment_wavefront_offset 0
		.amdhsa_system_sgpr_workgroup_id_x 1
		.amdhsa_system_sgpr_workgroup_id_y 0
		.amdhsa_system_sgpr_workgroup_id_z 0
		.amdhsa_system_sgpr_workgroup_info 0
		.amdhsa_system_vgpr_workitem_id 0
		.amdhsa_next_free_vgpr 1
		.amdhsa_next_free_sgpr 0
		.amdhsa_accum_offset 4
		.amdhsa_reserve_vcc 0
		.amdhsa_reserve_flat_scratch 0
		.amdhsa_float_round_mode_32 0
		.amdhsa_float_round_mode_16_64 0
		.amdhsa_float_denorm_mode_32 3
		.amdhsa_float_denorm_mode_16_64 3
		.amdhsa_dx10_clamp 1
		.amdhsa_ieee_mode 1
		.amdhsa_fp16_overflow 0
		.amdhsa_tg_split 0
		.amdhsa_exception_fp_ieee_invalid_op 0
		.amdhsa_exception_fp_denorm_src 0
		.amdhsa_exception_fp_ieee_div_zero 0
		.amdhsa_exception_fp_ieee_overflow 0
		.amdhsa_exception_fp_ieee_underflow 0
		.amdhsa_exception_fp_ieee_inexact 0
		.amdhsa_exception_int_div_zero 0
	.end_amdhsa_kernel
	.section	.text._ZN7rocprim17ROCPRIM_400000_NS6detail17trampoline_kernelINS0_14default_configENS1_20scan_config_selectorIiEEZZNS1_9scan_implILNS1_25lookback_scan_determinismE0ELb1ELb1ES3_N6thrust23THRUST_200600_302600_NS6detail15normal_iteratorINS9_10device_ptrIjEEEENSB_INSC_IiEEEEiNS9_4plusIvEEiEEDaPvRmT3_T4_T5_mT6_P12ihipStream_tbENKUlT_T0_E_clISt17integral_constantIbLb0EESW_EEDaSR_SS_EUlSR_E_NS1_11comp_targetILNS1_3genE5ELNS1_11target_archE942ELNS1_3gpuE9ELNS1_3repE0EEENS1_30default_config_static_selectorELNS0_4arch9wavefront6targetE1EEEvT1_,"axG",@progbits,_ZN7rocprim17ROCPRIM_400000_NS6detail17trampoline_kernelINS0_14default_configENS1_20scan_config_selectorIiEEZZNS1_9scan_implILNS1_25lookback_scan_determinismE0ELb1ELb1ES3_N6thrust23THRUST_200600_302600_NS6detail15normal_iteratorINS9_10device_ptrIjEEEENSB_INSC_IiEEEEiNS9_4plusIvEEiEEDaPvRmT3_T4_T5_mT6_P12ihipStream_tbENKUlT_T0_E_clISt17integral_constantIbLb0EESW_EEDaSR_SS_EUlSR_E_NS1_11comp_targetILNS1_3genE5ELNS1_11target_archE942ELNS1_3gpuE9ELNS1_3repE0EEENS1_30default_config_static_selectorELNS0_4arch9wavefront6targetE1EEEvT1_,comdat
.Lfunc_end6233:
	.size	_ZN7rocprim17ROCPRIM_400000_NS6detail17trampoline_kernelINS0_14default_configENS1_20scan_config_selectorIiEEZZNS1_9scan_implILNS1_25lookback_scan_determinismE0ELb1ELb1ES3_N6thrust23THRUST_200600_302600_NS6detail15normal_iteratorINS9_10device_ptrIjEEEENSB_INSC_IiEEEEiNS9_4plusIvEEiEEDaPvRmT3_T4_T5_mT6_P12ihipStream_tbENKUlT_T0_E_clISt17integral_constantIbLb0EESW_EEDaSR_SS_EUlSR_E_NS1_11comp_targetILNS1_3genE5ELNS1_11target_archE942ELNS1_3gpuE9ELNS1_3repE0EEENS1_30default_config_static_selectorELNS0_4arch9wavefront6targetE1EEEvT1_, .Lfunc_end6233-_ZN7rocprim17ROCPRIM_400000_NS6detail17trampoline_kernelINS0_14default_configENS1_20scan_config_selectorIiEEZZNS1_9scan_implILNS1_25lookback_scan_determinismE0ELb1ELb1ES3_N6thrust23THRUST_200600_302600_NS6detail15normal_iteratorINS9_10device_ptrIjEEEENSB_INSC_IiEEEEiNS9_4plusIvEEiEEDaPvRmT3_T4_T5_mT6_P12ihipStream_tbENKUlT_T0_E_clISt17integral_constantIbLb0EESW_EEDaSR_SS_EUlSR_E_NS1_11comp_targetILNS1_3genE5ELNS1_11target_archE942ELNS1_3gpuE9ELNS1_3repE0EEENS1_30default_config_static_selectorELNS0_4arch9wavefront6targetE1EEEvT1_
                                        ; -- End function
	.section	.AMDGPU.csdata,"",@progbits
; Kernel info:
; codeLenInByte = 0
; NumSgprs: 4
; NumVgprs: 0
; NumAgprs: 0
; TotalNumVgprs: 0
; ScratchSize: 0
; MemoryBound: 0
; FloatMode: 240
; IeeeMode: 1
; LDSByteSize: 0 bytes/workgroup (compile time only)
; SGPRBlocks: 0
; VGPRBlocks: 0
; NumSGPRsForWavesPerEU: 4
; NumVGPRsForWavesPerEU: 1
; AccumOffset: 4
; Occupancy: 8
; WaveLimiterHint : 0
; COMPUTE_PGM_RSRC2:SCRATCH_EN: 0
; COMPUTE_PGM_RSRC2:USER_SGPR: 6
; COMPUTE_PGM_RSRC2:TRAP_HANDLER: 0
; COMPUTE_PGM_RSRC2:TGID_X_EN: 1
; COMPUTE_PGM_RSRC2:TGID_Y_EN: 0
; COMPUTE_PGM_RSRC2:TGID_Z_EN: 0
; COMPUTE_PGM_RSRC2:TIDIG_COMP_CNT: 0
; COMPUTE_PGM_RSRC3_GFX90A:ACCUM_OFFSET: 0
; COMPUTE_PGM_RSRC3_GFX90A:TG_SPLIT: 0
	.section	.text._ZN7rocprim17ROCPRIM_400000_NS6detail17trampoline_kernelINS0_14default_configENS1_20scan_config_selectorIiEEZZNS1_9scan_implILNS1_25lookback_scan_determinismE0ELb1ELb1ES3_N6thrust23THRUST_200600_302600_NS6detail15normal_iteratorINS9_10device_ptrIjEEEENSB_INSC_IiEEEEiNS9_4plusIvEEiEEDaPvRmT3_T4_T5_mT6_P12ihipStream_tbENKUlT_T0_E_clISt17integral_constantIbLb0EESW_EEDaSR_SS_EUlSR_E_NS1_11comp_targetILNS1_3genE4ELNS1_11target_archE910ELNS1_3gpuE8ELNS1_3repE0EEENS1_30default_config_static_selectorELNS0_4arch9wavefront6targetE1EEEvT1_,"axG",@progbits,_ZN7rocprim17ROCPRIM_400000_NS6detail17trampoline_kernelINS0_14default_configENS1_20scan_config_selectorIiEEZZNS1_9scan_implILNS1_25lookback_scan_determinismE0ELb1ELb1ES3_N6thrust23THRUST_200600_302600_NS6detail15normal_iteratorINS9_10device_ptrIjEEEENSB_INSC_IiEEEEiNS9_4plusIvEEiEEDaPvRmT3_T4_T5_mT6_P12ihipStream_tbENKUlT_T0_E_clISt17integral_constantIbLb0EESW_EEDaSR_SS_EUlSR_E_NS1_11comp_targetILNS1_3genE4ELNS1_11target_archE910ELNS1_3gpuE8ELNS1_3repE0EEENS1_30default_config_static_selectorELNS0_4arch9wavefront6targetE1EEEvT1_,comdat
	.protected	_ZN7rocprim17ROCPRIM_400000_NS6detail17trampoline_kernelINS0_14default_configENS1_20scan_config_selectorIiEEZZNS1_9scan_implILNS1_25lookback_scan_determinismE0ELb1ELb1ES3_N6thrust23THRUST_200600_302600_NS6detail15normal_iteratorINS9_10device_ptrIjEEEENSB_INSC_IiEEEEiNS9_4plusIvEEiEEDaPvRmT3_T4_T5_mT6_P12ihipStream_tbENKUlT_T0_E_clISt17integral_constantIbLb0EESW_EEDaSR_SS_EUlSR_E_NS1_11comp_targetILNS1_3genE4ELNS1_11target_archE910ELNS1_3gpuE8ELNS1_3repE0EEENS1_30default_config_static_selectorELNS0_4arch9wavefront6targetE1EEEvT1_ ; -- Begin function _ZN7rocprim17ROCPRIM_400000_NS6detail17trampoline_kernelINS0_14default_configENS1_20scan_config_selectorIiEEZZNS1_9scan_implILNS1_25lookback_scan_determinismE0ELb1ELb1ES3_N6thrust23THRUST_200600_302600_NS6detail15normal_iteratorINS9_10device_ptrIjEEEENSB_INSC_IiEEEEiNS9_4plusIvEEiEEDaPvRmT3_T4_T5_mT6_P12ihipStream_tbENKUlT_T0_E_clISt17integral_constantIbLb0EESW_EEDaSR_SS_EUlSR_E_NS1_11comp_targetILNS1_3genE4ELNS1_11target_archE910ELNS1_3gpuE8ELNS1_3repE0EEENS1_30default_config_static_selectorELNS0_4arch9wavefront6targetE1EEEvT1_
	.globl	_ZN7rocprim17ROCPRIM_400000_NS6detail17trampoline_kernelINS0_14default_configENS1_20scan_config_selectorIiEEZZNS1_9scan_implILNS1_25lookback_scan_determinismE0ELb1ELb1ES3_N6thrust23THRUST_200600_302600_NS6detail15normal_iteratorINS9_10device_ptrIjEEEENSB_INSC_IiEEEEiNS9_4plusIvEEiEEDaPvRmT3_T4_T5_mT6_P12ihipStream_tbENKUlT_T0_E_clISt17integral_constantIbLb0EESW_EEDaSR_SS_EUlSR_E_NS1_11comp_targetILNS1_3genE4ELNS1_11target_archE910ELNS1_3gpuE8ELNS1_3repE0EEENS1_30default_config_static_selectorELNS0_4arch9wavefront6targetE1EEEvT1_
	.p2align	8
	.type	_ZN7rocprim17ROCPRIM_400000_NS6detail17trampoline_kernelINS0_14default_configENS1_20scan_config_selectorIiEEZZNS1_9scan_implILNS1_25lookback_scan_determinismE0ELb1ELb1ES3_N6thrust23THRUST_200600_302600_NS6detail15normal_iteratorINS9_10device_ptrIjEEEENSB_INSC_IiEEEEiNS9_4plusIvEEiEEDaPvRmT3_T4_T5_mT6_P12ihipStream_tbENKUlT_T0_E_clISt17integral_constantIbLb0EESW_EEDaSR_SS_EUlSR_E_NS1_11comp_targetILNS1_3genE4ELNS1_11target_archE910ELNS1_3gpuE8ELNS1_3repE0EEENS1_30default_config_static_selectorELNS0_4arch9wavefront6targetE1EEEvT1_,@function
_ZN7rocprim17ROCPRIM_400000_NS6detail17trampoline_kernelINS0_14default_configENS1_20scan_config_selectorIiEEZZNS1_9scan_implILNS1_25lookback_scan_determinismE0ELb1ELb1ES3_N6thrust23THRUST_200600_302600_NS6detail15normal_iteratorINS9_10device_ptrIjEEEENSB_INSC_IiEEEEiNS9_4plusIvEEiEEDaPvRmT3_T4_T5_mT6_P12ihipStream_tbENKUlT_T0_E_clISt17integral_constantIbLb0EESW_EEDaSR_SS_EUlSR_E_NS1_11comp_targetILNS1_3genE4ELNS1_11target_archE910ELNS1_3gpuE8ELNS1_3repE0EEENS1_30default_config_static_selectorELNS0_4arch9wavefront6targetE1EEEvT1_: ; @_ZN7rocprim17ROCPRIM_400000_NS6detail17trampoline_kernelINS0_14default_configENS1_20scan_config_selectorIiEEZZNS1_9scan_implILNS1_25lookback_scan_determinismE0ELb1ELb1ES3_N6thrust23THRUST_200600_302600_NS6detail15normal_iteratorINS9_10device_ptrIjEEEENSB_INSC_IiEEEEiNS9_4plusIvEEiEEDaPvRmT3_T4_T5_mT6_P12ihipStream_tbENKUlT_T0_E_clISt17integral_constantIbLb0EESW_EEDaSR_SS_EUlSR_E_NS1_11comp_targetILNS1_3genE4ELNS1_11target_archE910ELNS1_3gpuE8ELNS1_3repE0EEENS1_30default_config_static_selectorELNS0_4arch9wavefront6targetE1EEEvT1_
; %bb.0:
	s_load_dwordx8 s[8:15], s[4:5], 0x0
	s_load_dword s1, s[4:5], 0x30
	s_mul_i32 s0, s6, 0x500
	v_lshlrev_b32_e32 v22, 2, v0
	s_waitcnt lgkmcnt(0)
	s_lshl_b64 s[10:11], s[10:11], 2
	s_add_u32 s27, s8, s10
	s_addc_u32 s28, s9, s11
	s_add_i32 s2, s1, -1
	s_mul_i32 s3, s2, 0x500
	s_sub_u32 s7, s14, s3
	s_subb_u32 s26, s15, 0
	s_mov_b32 s1, 0
	s_cmp_lg_u32 s6, s2
	s_cselect_b64 s[8:9], -1, 0
	s_lshl_b64 s[14:15], s[0:1], 2
	s_add_u32 s2, s27, s14
	s_addc_u32 s3, s28, s15
	s_mov_b64 s[0:1], -1
	s_and_b64 vcc, exec, s[8:9]
	s_cbranch_vccz .LBB6234_2
; %bb.1:
	v_mov_b32_e32 v1, s3
	v_add_co_u32_e32 v2, vcc, s2, v22
	v_addc_co_u32_e32 v3, vcc, 0, v1, vcc
	flat_load_dword v1, v[2:3]
	flat_load_dword v4, v[2:3] offset:512
	flat_load_dword v5, v[2:3] offset:1024
	;; [unrolled: 1-line block ×7, first 2 shown]
	v_add_co_u32_e32 v2, vcc, 0x1000, v2
	v_addc_co_u32_e32 v3, vcc, 0, v3, vcc
	flat_load_dword v11, v[2:3]
	flat_load_dword v12, v[2:3] offset:512
	s_mov_b64 s[0:1], 0
	s_waitcnt vmcnt(0) lgkmcnt(0)
	ds_write2st64_b32 v22, v1, v4 offset1:2
	ds_write2st64_b32 v22, v5, v6 offset0:4 offset1:6
	ds_write2st64_b32 v22, v7, v8 offset0:8 offset1:10
	;; [unrolled: 1-line block ×4, first 2 shown]
	s_waitcnt lgkmcnt(0)
	s_barrier
.LBB6234_2:
	s_load_dwordx2 s[24:25], s[4:5], 0x28
	s_andn2_b64 vcc, exec, s[0:1]
	v_cmp_gt_u32_e64 s[0:1], s7, v0
	s_cbranch_vccnz .LBB6234_24
; %bb.3:
	v_pk_mov_b32 v[2:3], s[2:3], s[2:3] op_sel:[0,1]
	flat_load_dword v1, v[2:3]
	s_waitcnt vmcnt(0) lgkmcnt(0)
	v_mov_b32_e32 v2, v1
	v_mov_b32_e32 v3, v1
	;; [unrolled: 1-line block ×9, first 2 shown]
	s_and_saveexec_b64 s[16:17], s[0:1]
	s_cbranch_execz .LBB6234_5
; %bb.4:
	v_mov_b32_e32 v11, s3
	v_add_co_u32_e32 v10, vcc, s2, v22
	v_addc_co_u32_e32 v11, vcc, 0, v11, vcc
	flat_load_dword v10, v[10:11]
.LBB6234_5:
	s_or_b64 exec, exec, s[16:17]
	v_or_b32_e32 v11, 0x80, v0
	v_cmp_gt_u32_e32 vcc, s7, v11
	s_and_saveexec_b64 s[0:1], vcc
	s_cbranch_execz .LBB6234_7
; %bb.6:
	v_mov_b32_e32 v1, s3
	v_add_co_u32_e32 v12, vcc, s2, v22
	v_addc_co_u32_e32 v13, vcc, 0, v1, vcc
	flat_load_dword v1, v[12:13] offset:512
.LBB6234_7:
	s_or_b64 exec, exec, s[0:1]
	v_or_b32_e32 v11, 0x100, v0
	v_cmp_gt_u32_e32 vcc, s7, v11
	s_and_saveexec_b64 s[0:1], vcc
	s_cbranch_execz .LBB6234_9
; %bb.8:
	v_mov_b32_e32 v2, s3
	v_add_co_u32_e32 v12, vcc, s2, v22
	v_addc_co_u32_e32 v13, vcc, 0, v2, vcc
	flat_load_dword v2, v[12:13] offset:1024
.LBB6234_9:
	;; [unrolled: 11-line block ×7, first 2 shown]
	s_or_b64 exec, exec, s[0:1]
	v_or_b32_e32 v11, 0x400, v0
	v_cmp_gt_u32_e32 vcc, s7, v11
	s_and_saveexec_b64 s[0:1], vcc
	s_cbranch_execz .LBB6234_21
; %bb.20:
	v_lshlrev_b32_e32 v8, 2, v11
	v_mov_b32_e32 v11, s3
	v_add_co_u32_e32 v12, vcc, s2, v8
	v_addc_co_u32_e32 v13, vcc, 0, v11, vcc
	flat_load_dword v8, v[12:13]
.LBB6234_21:
	s_or_b64 exec, exec, s[0:1]
	v_or_b32_e32 v11, 0x480, v0
	v_cmp_gt_u32_e32 vcc, s7, v11
	s_and_saveexec_b64 s[0:1], vcc
	s_cbranch_execz .LBB6234_23
; %bb.22:
	v_lshlrev_b32_e32 v9, 2, v11
	v_mov_b32_e32 v11, s3
	v_add_co_u32_e32 v12, vcc, s2, v9
	v_addc_co_u32_e32 v13, vcc, 0, v11, vcc
	flat_load_dword v9, v[12:13]
.LBB6234_23:
	s_or_b64 exec, exec, s[0:1]
	s_waitcnt vmcnt(0) lgkmcnt(0)
	ds_write2st64_b32 v22, v10, v1 offset1:2
	ds_write2st64_b32 v22, v2, v3 offset0:4 offset1:6
	ds_write2st64_b32 v22, v4, v5 offset0:8 offset1:10
	ds_write2st64_b32 v22, v6, v7 offset0:12 offset1:14
	ds_write2st64_b32 v22, v8, v9 offset0:16 offset1:18
	s_waitcnt lgkmcnt(0)
	s_barrier
.LBB6234_24:
	v_mul_u32_u24_e32 v23, 10, v0
	v_lshlrev_b32_e32 v1, 2, v23
	s_waitcnt lgkmcnt(0)
	ds_read2_b64 v[16:19], v1 offset1:1
	ds_read2_b64 v[12:15], v1 offset0:2 offset1:3
	ds_read_b64 v[20:21], v1 offset:32
	s_cmp_lg_u32 s6, 0
	v_lshrrev_b32_e32 v24, 5, v0
	s_waitcnt lgkmcnt(2)
	v_add_u32_e32 v2, v17, v16
	v_add3_u32 v25, v2, v18, v19
	v_cmp_gt_u32_e32 vcc, 64, v0
	s_waitcnt lgkmcnt(0)
	s_barrier
	s_cbranch_scc0 .LBB6234_49
; %bb.25:
	v_add3_u32 v2, v25, v12, v13
	v_add3_u32 v2, v2, v14, v15
	;; [unrolled: 1-line block ×3, first 2 shown]
	v_add_lshl_u32 v3, v24, v0, 2
	ds_write_b32 v3, v2
	s_waitcnt lgkmcnt(0)
	s_barrier
	s_and_saveexec_b64 s[2:3], vcc
	s_cbranch_execz .LBB6234_27
; %bb.26:
	v_lshlrev_b32_e32 v3, 1, v0
	v_lshrrev_b32_e32 v4, 4, v0
	v_add_lshl_u32 v3, v4, v3, 2
	ds_read2_b32 v[4:5], v3 offset1:1
	v_mbcnt_lo_u32_b32 v6, -1, 0
	v_mbcnt_hi_u32_b32 v6, -1, v6
	v_and_b32_e32 v7, 15, v6
	v_cmp_ne_u32_e64 s[0:1], 0, v7
	s_waitcnt lgkmcnt(0)
	v_add_u32_e32 v5, v5, v4
	; wave barrier
	s_nop 1
	v_mov_b32_dpp v8, v5 row_shr:1 row_mask:0xf bank_mask:0xf
	v_cndmask_b32_e64 v8, 0, v8, s[0:1]
	v_add_u32_e32 v5, v8, v5
	v_cmp_lt_u32_e64 s[0:1], 1, v7
	s_nop 0
	v_mov_b32_dpp v8, v5 row_shr:2 row_mask:0xf bank_mask:0xf
	v_cndmask_b32_e64 v8, 0, v8, s[0:1]
	v_add_u32_e32 v5, v5, v8
	v_cmp_lt_u32_e64 s[0:1], 3, v7
	;; [unrolled: 5-line block ×3, first 2 shown]
	s_nop 0
	v_mov_b32_dpp v8, v5 row_shr:8 row_mask:0xf bank_mask:0xf
	v_cndmask_b32_e64 v7, 0, v8, s[0:1]
	v_add_u32_e32 v5, v5, v7
	v_bfe_i32 v8, v6, 4, 1
	v_cmp_lt_u32_e64 s[0:1], 31, v6
	v_mov_b32_dpp v7, v5 row_bcast:15 row_mask:0xf bank_mask:0xf
	v_and_b32_e32 v7, v8, v7
	v_add_u32_e32 v5, v5, v7
	v_and_b32_e32 v8, 64, v6
	s_nop 0
	v_mov_b32_dpp v7, v5 row_bcast:31 row_mask:0xf bank_mask:0xf
	v_cndmask_b32_e64 v7, 0, v7, s[0:1]
	v_add_u32_e32 v5, v5, v7
	v_add_u32_e32 v7, -1, v6
	v_cmp_lt_i32_e64 s[0:1], v7, v8
	v_cndmask_b32_e64 v6, v7, v6, s[0:1]
	v_lshlrev_b32_e32 v6, 2, v6
	ds_bpermute_b32 v5, v6, v5
	v_cmp_eq_u32_e64 s[0:1], 0, v0
	s_waitcnt lgkmcnt(0)
	v_add_u32_e32 v4, v5, v4
	v_cndmask_b32_e64 v2, v4, v2, s[0:1]
	ds_write_b32 v3, v2
	; wave barrier
	ds_read_b32 v4, v3 offset:4
	s_waitcnt lgkmcnt(0)
	v_add_u32_e32 v2, v4, v2
	ds_write_b32 v3, v2 offset:4
.LBB6234_27:
	s_or_b64 exec, exec, s[2:3]
	v_cmp_eq_u32_e64 s[0:1], 0, v0
	v_cmp_ne_u32_e64 s[2:3], 0, v0
	v_mov_b32_e32 v26, 0
	s_waitcnt lgkmcnt(0)
	s_barrier
	s_and_saveexec_b64 s[16:17], s[2:3]
	s_cbranch_execz .LBB6234_29
; %bb.28:
	v_add_u32_e32 v2, -1, v0
	v_lshrrev_b32_e32 v3, 5, v2
	v_add_lshl_u32 v2, v3, v2, 2
	ds_read_b32 v26, v2
.LBB6234_29:
	s_or_b64 exec, exec, s[16:17]
	s_and_saveexec_b64 s[16:17], vcc
	s_cbranch_execz .LBB6234_48
; %bb.30:
	v_mov_b32_e32 v9, 0
	ds_read_b32 v2, v9 offset:520
	v_mbcnt_lo_u32_b32 v3, -1, 0
	v_mbcnt_hi_u32_b32 v5, -1, v3
	s_mov_b32 s21, 0
	v_cmp_eq_u32_e64 s[2:3], 0, v5
	s_and_saveexec_b64 s[18:19], s[2:3]
	s_cbranch_execz .LBB6234_32
; %bb.31:
	s_add_i32 s20, s6, 64
	s_lshl_b64 s[20:21], s[20:21], 3
	s_add_u32 s20, s24, s20
	v_mov_b32_e32 v3, 1
	s_addc_u32 s21, s25, s21
	s_waitcnt lgkmcnt(0)
	global_store_dwordx2 v9, v[2:3], s[20:21]
.LBB6234_32:
	s_or_b64 exec, exec, s[18:19]
	v_xad_u32 v4, v5, -1, s6
	v_add_u32_e32 v8, 64, v4
	v_lshlrev_b64 v[6:7], 3, v[8:9]
	v_mov_b32_e32 v3, s25
	v_add_co_u32_e32 v10, vcc, s24, v6
	v_addc_co_u32_e32 v11, vcc, v3, v7, vcc
	global_load_dwordx2 v[6:7], v[10:11], off glc
	s_waitcnt vmcnt(0)
	v_cmp_eq_u16_sdwa s[20:21], v7, v9 src0_sel:BYTE_0 src1_sel:DWORD
	s_and_saveexec_b64 s[18:19], s[20:21]
	s_cbranch_execz .LBB6234_36
; %bb.33:
	s_mov_b64 s[20:21], 0
	v_mov_b32_e32 v3, 0
.LBB6234_34:                            ; =>This Inner Loop Header: Depth=1
	global_load_dwordx2 v[6:7], v[10:11], off glc
	s_waitcnt vmcnt(0)
	v_cmp_ne_u16_sdwa s[22:23], v7, v3 src0_sel:BYTE_0 src1_sel:DWORD
	s_or_b64 s[20:21], s[22:23], s[20:21]
	s_andn2_b64 exec, exec, s[20:21]
	s_cbranch_execnz .LBB6234_34
; %bb.35:
	s_or_b64 exec, exec, s[20:21]
.LBB6234_36:
	s_or_b64 exec, exec, s[18:19]
	v_and_b32_e32 v27, 63, v5
	v_mov_b32_e32 v3, 2
	v_cmp_ne_u32_e32 vcc, 63, v27
	v_cmp_eq_u16_sdwa s[18:19], v7, v3 src0_sel:BYTE_0 src1_sel:DWORD
	v_lshlrev_b64 v[8:9], v5, -1
	v_addc_co_u32_e32 v28, vcc, 0, v5, vcc
	v_and_b32_e32 v10, s19, v9
	v_lshlrev_b32_e32 v28, 2, v28
	v_or_b32_e32 v10, 0x80000000, v10
	ds_bpermute_b32 v29, v28, v6
	v_and_b32_e32 v11, s18, v8
	v_ffbl_b32_e32 v10, v10
	v_add_u32_e32 v10, 32, v10
	v_ffbl_b32_e32 v11, v11
	v_min_u32_e32 v10, v11, v10
	v_cmp_lt_u32_e32 vcc, v27, v10
	s_waitcnt lgkmcnt(0)
	v_cndmask_b32_e32 v11, 0, v29, vcc
	v_cmp_gt_u32_e32 vcc, 62, v27
	v_add_u32_e32 v6, v11, v6
	v_cndmask_b32_e64 v11, 0, 1, vcc
	v_lshlrev_b32_e32 v11, 1, v11
	v_add_lshl_u32 v29, v11, v5, 2
	ds_bpermute_b32 v11, v29, v6
	v_add_u32_e32 v30, 2, v27
	v_cmp_le_u32_e32 vcc, v30, v10
	v_add_u32_e32 v32, 4, v27
	v_add_u32_e32 v34, 8, v27
	s_waitcnt lgkmcnt(0)
	v_cndmask_b32_e32 v11, 0, v11, vcc
	v_cmp_gt_u32_e32 vcc, 60, v27
	v_add_u32_e32 v6, v6, v11
	v_cndmask_b32_e64 v11, 0, 1, vcc
	v_lshlrev_b32_e32 v11, 2, v11
	v_add_lshl_u32 v31, v11, v5, 2
	ds_bpermute_b32 v11, v31, v6
	v_cmp_le_u32_e32 vcc, v32, v10
	v_add_u32_e32 v37, 16, v27
	v_add_u32_e32 v39, 32, v27
	s_waitcnt lgkmcnt(0)
	v_cndmask_b32_e32 v11, 0, v11, vcc
	v_cmp_gt_u32_e32 vcc, 56, v27
	v_add_u32_e32 v6, v6, v11
	v_cndmask_b32_e64 v11, 0, 1, vcc
	v_lshlrev_b32_e32 v11, 3, v11
	v_add_lshl_u32 v33, v11, v5, 2
	ds_bpermute_b32 v11, v33, v6
	v_cmp_le_u32_e32 vcc, v34, v10
	s_waitcnt lgkmcnt(0)
	v_cndmask_b32_e32 v11, 0, v11, vcc
	v_cmp_gt_u32_e32 vcc, 48, v27
	v_add_u32_e32 v6, v6, v11
	v_cndmask_b32_e64 v11, 0, 1, vcc
	v_lshlrev_b32_e32 v11, 4, v11
	v_add_lshl_u32 v36, v11, v5, 2
	ds_bpermute_b32 v11, v36, v6
	v_cmp_le_u32_e32 vcc, v37, v10
	;; [unrolled: 9-line block ×3, first 2 shown]
	s_waitcnt lgkmcnt(0)
	v_cndmask_b32_e32 v5, 0, v5, vcc
	v_add_u32_e32 v6, v6, v5
	v_mov_b32_e32 v5, 0
	s_branch .LBB6234_38
.LBB6234_37:                            ;   in Loop: Header=BB6234_38 Depth=1
	s_or_b64 exec, exec, s[18:19]
	v_cmp_eq_u16_sdwa s[18:19], v7, v3 src0_sel:BYTE_0 src1_sel:DWORD
	v_and_b32_e32 v10, s19, v9
	v_or_b32_e32 v10, 0x80000000, v10
	ds_bpermute_b32 v40, v28, v6
	v_and_b32_e32 v11, s18, v8
	v_ffbl_b32_e32 v10, v10
	v_add_u32_e32 v10, 32, v10
	v_ffbl_b32_e32 v11, v11
	v_min_u32_e32 v10, v11, v10
	v_cmp_lt_u32_e32 vcc, v27, v10
	s_waitcnt lgkmcnt(0)
	v_cndmask_b32_e32 v11, 0, v40, vcc
	v_add_u32_e32 v6, v11, v6
	ds_bpermute_b32 v11, v29, v6
	v_cmp_le_u32_e32 vcc, v30, v10
	v_subrev_u32_e32 v4, 64, v4
	s_waitcnt lgkmcnt(0)
	v_cndmask_b32_e32 v11, 0, v11, vcc
	v_add_u32_e32 v6, v6, v11
	ds_bpermute_b32 v11, v31, v6
	v_cmp_le_u32_e32 vcc, v32, v10
	s_waitcnt lgkmcnt(0)
	v_cndmask_b32_e32 v11, 0, v11, vcc
	v_add_u32_e32 v6, v6, v11
	ds_bpermute_b32 v11, v33, v6
	v_cmp_le_u32_e32 vcc, v34, v10
	;; [unrolled: 5-line block ×4, first 2 shown]
	s_waitcnt lgkmcnt(0)
	v_cndmask_b32_e32 v10, 0, v11, vcc
	v_add3_u32 v6, v10, v35, v6
.LBB6234_38:                            ; =>This Loop Header: Depth=1
                                        ;     Child Loop BB6234_41 Depth 2
	v_cmp_ne_u16_sdwa s[18:19], v7, v3 src0_sel:BYTE_0 src1_sel:DWORD
	v_cndmask_b32_e64 v7, 0, 1, s[18:19]
	;;#ASMSTART
	;;#ASMEND
	v_cmp_ne_u32_e32 vcc, 0, v7
	s_cmp_lg_u64 vcc, exec
	v_mov_b32_e32 v35, v6
	s_cbranch_scc1 .LBB6234_43
; %bb.39:                               ;   in Loop: Header=BB6234_38 Depth=1
	v_lshlrev_b64 v[6:7], 3, v[4:5]
	v_mov_b32_e32 v11, s25
	v_add_co_u32_e32 v10, vcc, s24, v6
	v_addc_co_u32_e32 v11, vcc, v11, v7, vcc
	global_load_dwordx2 v[6:7], v[10:11], off glc
	s_waitcnt vmcnt(0)
	v_cmp_eq_u16_sdwa s[20:21], v7, v5 src0_sel:BYTE_0 src1_sel:DWORD
	s_and_saveexec_b64 s[18:19], s[20:21]
	s_cbranch_execz .LBB6234_37
; %bb.40:                               ;   in Loop: Header=BB6234_38 Depth=1
	s_mov_b64 s[20:21], 0
.LBB6234_41:                            ;   Parent Loop BB6234_38 Depth=1
                                        ; =>  This Inner Loop Header: Depth=2
	global_load_dwordx2 v[6:7], v[10:11], off glc
	s_waitcnt vmcnt(0)
	v_cmp_ne_u16_sdwa s[22:23], v7, v5 src0_sel:BYTE_0 src1_sel:DWORD
	s_or_b64 s[20:21], s[22:23], s[20:21]
	s_andn2_b64 exec, exec, s[20:21]
	s_cbranch_execnz .LBB6234_41
; %bb.42:                               ;   in Loop: Header=BB6234_38 Depth=1
	s_or_b64 exec, exec, s[20:21]
	s_branch .LBB6234_37
.LBB6234_43:                            ;   in Loop: Header=BB6234_38 Depth=1
                                        ; implicit-def: $vgpr6
                                        ; implicit-def: $vgpr7
	s_cbranch_execz .LBB6234_38
; %bb.44:
	s_and_saveexec_b64 s[18:19], s[2:3]
	s_cbranch_execz .LBB6234_46
; %bb.45:
	s_add_i32 s2, s6, 64
	s_mov_b32 s3, 0
	s_lshl_b64 s[2:3], s[2:3], 3
	s_add_u32 s2, s24, s2
	v_add_u32_e32 v2, v35, v2
	v_mov_b32_e32 v3, 2
	s_addc_u32 s3, s25, s3
	v_mov_b32_e32 v4, 0
	global_store_dwordx2 v4, v[2:3], s[2:3]
.LBB6234_46:
	s_or_b64 exec, exec, s[18:19]
	s_and_b64 exec, exec, s[0:1]
	s_cbranch_execz .LBB6234_48
; %bb.47:
	v_mov_b32_e32 v2, 0
	ds_write_b32 v2, v35
.LBB6234_48:
	s_or_b64 exec, exec, s[16:17]
	v_mov_b32_e32 v2, 0
	s_waitcnt lgkmcnt(0)
	s_barrier
	ds_read_b32 v2, v2
	s_waitcnt lgkmcnt(0)
	v_add_u32_e32 v2, v2, v26
	v_add_u32_e32 v3, v2, v16
	;; [unrolled: 1-line block ×10, first 2 shown]
	s_load_dwordx8 s[16:23], s[4:5], 0x38
	s_branch .LBB6234_59
.LBB6234_49:
                                        ; implicit-def: $vgpr2_vgpr3_vgpr4_vgpr5_vgpr6_vgpr7_vgpr8_vgpr9_vgpr10_vgpr11
	s_load_dwordx8 s[16:23], s[4:5], 0x38
	s_cbranch_execz .LBB6234_59
; %bb.50:
	s_load_dword s0, s[4:5], 0x20
	s_waitcnt lgkmcnt(0)
	s_cmp_eq_u64 s[20:21], 0
	v_mov_b32_e32 v26, s0
	s_cbranch_scc1 .LBB6234_52
; %bb.51:
	v_mov_b32_e32 v3, s28
	v_add_co_u32_e64 v2, vcc, -4, s27
	v_addc_co_u32_e32 v3, vcc, -1, v3, vcc
	v_mov_b32_e32 v4, 0
	flat_load_dword v5, v[2:3]
	global_load_dword v6, v4, s[16:17]
	s_waitcnt vmcnt(0) lgkmcnt(0)
	v_add_u32_e32 v26, v6, v5
.LBB6234_52:
	v_add3_u32 v2, v25, v12, v13
	v_add3_u32 v2, v2, v14, v15
	v_add3_u32 v2, v2, v20, v21
	v_add_lshl_u32 v3, v24, v0, 2
	v_cmp_gt_u32_e32 vcc, 64, v0
	ds_write_b32 v3, v2
	s_waitcnt lgkmcnt(0)
	s_barrier
	s_and_saveexec_b64 s[0:1], vcc
	s_cbranch_execz .LBB6234_54
; %bb.53:
	v_lshlrev_b32_e32 v3, 1, v0
	v_lshrrev_b32_e32 v4, 4, v0
	v_add_lshl_u32 v3, v4, v3, 2
	ds_read2_b32 v[4:5], v3 offset1:1
	v_mbcnt_lo_u32_b32 v6, -1, 0
	v_mbcnt_hi_u32_b32 v6, -1, v6
	v_and_b32_e32 v7, 15, v6
	v_cmp_ne_u32_e32 vcc, 0, v7
	s_waitcnt lgkmcnt(0)
	v_add_u32_e32 v5, v5, v4
	; wave barrier
	s_nop 1
	v_mov_b32_dpp v8, v5 row_shr:1 row_mask:0xf bank_mask:0xf
	v_cndmask_b32_e32 v8, 0, v8, vcc
	v_add_u32_e32 v5, v8, v5
	v_cmp_lt_u32_e32 vcc, 1, v7
	s_nop 0
	v_mov_b32_dpp v8, v5 row_shr:2 row_mask:0xf bank_mask:0xf
	v_cndmask_b32_e32 v8, 0, v8, vcc
	v_add_u32_e32 v5, v5, v8
	v_cmp_lt_u32_e32 vcc, 3, v7
	;; [unrolled: 5-line block ×3, first 2 shown]
	s_nop 0
	v_mov_b32_dpp v8, v5 row_shr:8 row_mask:0xf bank_mask:0xf
	v_cndmask_b32_e32 v7, 0, v8, vcc
	v_add_u32_e32 v5, v5, v7
	v_bfe_i32 v8, v6, 4, 1
	v_cmp_lt_u32_e32 vcc, 31, v6
	v_mov_b32_dpp v7, v5 row_bcast:15 row_mask:0xf bank_mask:0xf
	v_and_b32_e32 v7, v8, v7
	v_add_u32_e32 v5, v5, v7
	v_and_b32_e32 v8, 64, v6
	s_nop 0
	v_mov_b32_dpp v7, v5 row_bcast:31 row_mask:0xf bank_mask:0xf
	v_cndmask_b32_e32 v7, 0, v7, vcc
	v_add_u32_e32 v5, v5, v7
	v_add_u32_e32 v7, -1, v6
	v_cmp_lt_i32_e32 vcc, v7, v8
	v_cndmask_b32_e32 v6, v7, v6, vcc
	v_lshlrev_b32_e32 v6, 2, v6
	ds_bpermute_b32 v5, v6, v5
	v_cmp_eq_u32_e32 vcc, 0, v0
	s_waitcnt lgkmcnt(0)
	v_add_u32_e32 v4, v5, v4
	v_cndmask_b32_e32 v2, v4, v2, vcc
	ds_write_b32 v3, v2
	; wave barrier
	ds_read_b32 v4, v3 offset:4
	s_waitcnt lgkmcnt(0)
	v_add_u32_e32 v2, v4, v2
	ds_write_b32 v3, v2 offset:4
.LBB6234_54:
	s_or_b64 exec, exec, s[0:1]
	v_cmp_eq_u32_e32 vcc, 0, v0
	v_cmp_ne_u32_e64 s[0:1], 0, v0
	v_mov_b32_e32 v2, v26
	s_waitcnt lgkmcnt(0)
	s_barrier
	s_and_saveexec_b64 s[2:3], s[0:1]
	s_cbranch_execz .LBB6234_56
; %bb.55:
	v_add_u32_e32 v2, -1, v0
	v_lshrrev_b32_e32 v3, 5, v2
	v_add_lshl_u32 v2, v3, v2, 2
	ds_read_b32 v2, v2
	s_waitcnt lgkmcnt(0)
	v_add_u32_e32 v2, v2, v26
.LBB6234_56:
	s_or_b64 exec, exec, s[2:3]
	v_add_u32_e32 v3, v2, v16
	v_add_u32_e32 v4, v3, v17
	;; [unrolled: 1-line block ×9, first 2 shown]
	s_and_saveexec_b64 s[0:1], vcc
	s_cbranch_execz .LBB6234_58
; %bb.57:
	v_mov_b32_e32 v14, 0
	ds_read_b32 v12, v14 offset:520
	v_mov_b32_e32 v13, 2
	s_waitcnt lgkmcnt(0)
	v_add_u32_e32 v12, v12, v26
	global_store_dwordx2 v14, v[12:13], s[24:25] offset:512
.LBB6234_58:
	s_or_b64 exec, exec, s[0:1]
.LBB6234_59:
	s_add_u32 s0, s12, s10
	s_addc_u32 s1, s13, s11
	s_add_u32 s2, s0, s14
	s_addc_u32 s3, s1, s15
	s_mov_b64 s[0:1], -1
	s_and_b64 vcc, exec, s[8:9]
	s_waitcnt lgkmcnt(0)
	s_barrier
	s_cbranch_vccz .LBB6234_61
; %bb.60:
	ds_write2_b64 v1, v[2:3], v[4:5] offset1:1
	ds_write2_b64 v1, v[6:7], v[8:9] offset0:2 offset1:3
	ds_write_b64 v1, v[10:11] offset:32
	s_waitcnt lgkmcnt(0)
	s_barrier
	ds_read2st64_b32 v[12:13], v22 offset1:2
	ds_read2st64_b32 v[14:15], v22 offset0:4 offset1:6
	ds_read2st64_b32 v[16:17], v22 offset0:8 offset1:10
	;; [unrolled: 1-line block ×4, first 2 shown]
	v_mov_b32_e32 v25, s3
	v_add_co_u32_e32 v24, vcc, s2, v22
	v_addc_co_u32_e32 v25, vcc, 0, v25, vcc
	s_waitcnt lgkmcnt(4)
	flat_store_dword v[24:25], v12
	flat_store_dword v[24:25], v13 offset:512
	s_waitcnt lgkmcnt(0)
	flat_store_dword v[24:25], v14 offset:1024
	flat_store_dword v[24:25], v15 offset:1536
	;; [unrolled: 1-line block ×6, first 2 shown]
	v_add_co_u32_e32 v12, vcc, 0x1000, v24
	v_addc_co_u32_e32 v13, vcc, 0, v25, vcc
	flat_store_dword v[12:13], v20
	flat_store_dword v[12:13], v21 offset:512
	s_mov_b64 s[0:1], 0
.LBB6234_61:
	s_andn2_b64 vcc, exec, s[0:1]
	s_cbranch_vccnz .LBB6234_117
; %bb.62:
	ds_write2_b64 v1, v[2:3], v[4:5] offset1:1
	ds_write2_b64 v1, v[6:7], v[8:9] offset0:2 offset1:3
	ds_write_b64 v1, v[10:11] offset:32
	s_waitcnt lgkmcnt(0)
	s_barrier
	ds_read2st64_b32 v[2:3], v22 offset1:2
	ds_read2st64_b32 v[6:7], v22 offset0:4 offset1:6
	ds_read2st64_b32 v[4:5], v22 offset0:8 offset1:10
	ds_read2st64_b32 v[8:9], v22 offset0:12 offset1:14
	ds_read2st64_b32 v[10:11], v22 offset0:16 offset1:18
	v_mov_b32_e32 v13, s3
	v_add_co_u32_e32 v12, vcc, s2, v22
	v_addc_co_u32_e32 v13, vcc, 0, v13, vcc
	v_mov_b32_e32 v1, 0
	v_cmp_gt_u32_e32 vcc, s7, v0
	s_and_saveexec_b64 s[0:1], vcc
	s_cbranch_execz .LBB6234_64
; %bb.63:
	s_waitcnt lgkmcnt(0)
	flat_store_dword v[12:13], v2
.LBB6234_64:
	s_or_b64 exec, exec, s[0:1]
	v_or_b32_e32 v14, 0x80, v0
	v_cmp_gt_u32_e32 vcc, s7, v14
	s_and_saveexec_b64 s[0:1], vcc
	s_cbranch_execz .LBB6234_66
; %bb.65:
	s_waitcnt lgkmcnt(0)
	flat_store_dword v[12:13], v3 offset:512
.LBB6234_66:
	s_or_b64 exec, exec, s[0:1]
	v_or_b32_e32 v14, 0x100, v0
	v_cmp_gt_u32_e32 vcc, s7, v14
	s_and_saveexec_b64 s[0:1], vcc
	s_cbranch_execz .LBB6234_68
; %bb.67:
	s_waitcnt lgkmcnt(0)
	flat_store_dword v[12:13], v6 offset:1024
.LBB6234_68:
	;; [unrolled: 9-line block ×7, first 2 shown]
	s_or_b64 exec, exec, s[0:1]
	v_or_b32_e32 v14, 0x400, v0
	v_cmp_gt_u32_e32 vcc, s7, v14
	s_and_saveexec_b64 s[0:1], vcc
	s_cbranch_execz .LBB6234_80
; %bb.79:
	v_add_co_u32_e32 v14, vcc, 0x1000, v12
	v_addc_co_u32_e32 v15, vcc, 0, v13, vcc
	s_waitcnt lgkmcnt(0)
	flat_store_dword v[14:15], v10
.LBB6234_80:
	s_or_b64 exec, exec, s[0:1]
	v_or_b32_e32 v14, 0x480, v0
	v_cmp_gt_u32_e32 vcc, s7, v14
	s_and_saveexec_b64 s[0:1], vcc
	s_cbranch_execz .LBB6234_82
; %bb.81:
	v_add_co_u32_e32 v12, vcc, 0x1000, v12
	v_addc_co_u32_e32 v13, vcc, 0, v13, vcc
	s_waitcnt lgkmcnt(0)
	flat_store_dword v[12:13], v11 offset:512
.LBB6234_82:
	s_or_b64 exec, exec, s[0:1]
	v_cmp_lt_u64_e64 s[0:1], s[22:23], 2
	s_and_b64 vcc, exec, s[0:1]
	s_cbranch_vccnz .LBB6234_117
; %bb.83:
	s_add_u32 s0, s7, -1
	s_addc_u32 s1, s26, -1
	s_add_u32 s2, 0, 0x99986000
	s_addc_u32 s3, 0, 0x59
	s_add_i32 s3, s3, 0x19999940
	s_mul_hi_u32 s7, s2, -10
	s_sub_i32 s7, s7, s2
	s_mul_i32 s8, s3, -10
	s_mul_i32 s4, s2, -10
	s_add_i32 s7, s7, s8
	s_mul_hi_u32 s5, s3, s4
	s_mul_i32 s6, s3, s4
	s_mul_i32 s9, s2, s7
	s_mul_hi_u32 s4, s2, s4
	s_mul_hi_u32 s8, s2, s7
	s_add_u32 s4, s4, s9
	s_addc_u32 s8, 0, s8
	s_add_u32 s4, s4, s6
	s_mul_hi_u32 s9, s3, s7
	s_addc_u32 s4, s8, s5
	s_addc_u32 s5, s9, 0
	s_mul_i32 s6, s3, s7
	s_add_u32 s4, s4, s6
	v_mov_b32_e32 v12, s4
	s_addc_u32 s5, 0, s5
	v_add_co_u32_e32 v12, vcc, s2, v12
	s_cmp_lg_u64 vcc, 0
	s_addc_u32 s2, s3, s5
	v_readfirstlane_b32 s5, v12
	s_mul_i32 s4, s0, s2
	s_mul_hi_u32 s6, s0, s5
	s_mul_hi_u32 s3, s0, s2
	s_add_u32 s4, s6, s4
	s_addc_u32 s3, 0, s3
	s_mul_hi_u32 s7, s1, s5
	s_mul_i32 s5, s1, s5
	s_add_u32 s4, s4, s5
	s_mul_hi_u32 s6, s1, s2
	s_addc_u32 s3, s3, s7
	s_addc_u32 s4, s6, 0
	s_mul_i32 s2, s1, s2
	s_add_u32 s2, s3, s2
	s_addc_u32 s3, 0, s4
	s_add_u32 s4, s2, 1
	s_addc_u32 s5, s3, 0
	s_add_u32 s6, s2, 2
	s_mul_i32 s8, s3, 10
	s_mul_hi_u32 s9, s2, 10
	s_addc_u32 s7, s3, 0
	s_add_i32 s9, s9, s8
	s_mul_i32 s8, s2, 10
	v_mov_b32_e32 v12, s8
	v_sub_co_u32_e32 v12, vcc, s0, v12
	s_cmp_lg_u64 vcc, 0
	s_subb_u32 s8, s1, s9
	v_subrev_co_u32_e32 v13, vcc, 10, v12
	s_cmp_lg_u64 vcc, 0
	s_subb_u32 s9, s8, 0
	v_readfirstlane_b32 s10, v13
	s_cmp_gt_u32 s10, 9
	s_cselect_b32 s10, -1, 0
	s_cmp_eq_u32 s9, 0
	s_cselect_b32 s9, s10, -1
	s_cmp_lg_u32 s9, 0
	s_cselect_b32 s4, s6, s4
	v_readfirstlane_b32 s6, v12
	s_cselect_b32 s5, s7, s5
	s_cmp_gt_u32 s6, 9
	s_cselect_b32 s6, -1, 0
	s_cmp_eq_u32 s8, 0
	s_cselect_b32 s6, s6, -1
	s_cmp_lg_u32 s6, 0
	s_cselect_b32 s3, s5, s3
	s_cselect_b32 s2, s4, s2
	v_cmp_eq_u64_e32 vcc, s[2:3], v[0:1]
	s_and_saveexec_b64 s[2:3], vcc
	s_cbranch_execz .LBB6234_117
; %bb.84:
	v_mul_hi_u32_u24_e32 v1, 10, v0
	v_mov_b32_e32 v12, s1
	v_sub_co_u32_e32 v0, vcc, s0, v23
	v_subb_co_u32_e32 v1, vcc, v12, v1, vcc
	v_cmp_lt_i64_e32 vcc, 4, v[0:1]
	s_and_saveexec_b64 s[0:1], vcc
	s_xor_b64 s[0:1], exec, s[0:1]
	s_cbranch_execz .LBB6234_102
; %bb.85:
	v_cmp_lt_i64_e32 vcc, 6, v[0:1]
	s_and_saveexec_b64 s[2:3], vcc
	s_xor_b64 s[2:3], exec, s[2:3]
	s_cbranch_execz .LBB6234_95
; %bb.86:
	;; [unrolled: 5-line block ×4, first 2 shown]
	v_mov_b32_e32 v0, 0
	s_waitcnt lgkmcnt(0)
	global_store_dword v0, v11, s[18:19]
                                        ; implicit-def: $vgpr10_vgpr11
.LBB6234_89:
	s_andn2_saveexec_b64 s[6:7], s[6:7]
	s_cbranch_execz .LBB6234_91
; %bb.90:
	v_mov_b32_e32 v0, 0
	s_waitcnt lgkmcnt(0)
	global_store_dword v0, v10, s[18:19]
.LBB6234_91:
	s_or_b64 exec, exec, s[6:7]
                                        ; implicit-def: $vgpr8_vgpr9
.LBB6234_92:
	s_andn2_saveexec_b64 s[4:5], s[4:5]
	s_cbranch_execz .LBB6234_94
; %bb.93:
	v_mov_b32_e32 v0, 0
	s_waitcnt lgkmcnt(0)
	global_store_dword v0, v9, s[18:19]
.LBB6234_94:
	s_or_b64 exec, exec, s[4:5]
                                        ; implicit-def: $vgpr4_vgpr5
                                        ; implicit-def: $vgpr0_vgpr1
                                        ; implicit-def: $vgpr8_vgpr9
.LBB6234_95:
	s_andn2_saveexec_b64 s[2:3], s[2:3]
	s_cbranch_execz .LBB6234_101
; %bb.96:
	v_cmp_lt_i64_e32 vcc, 5, v[0:1]
	s_and_saveexec_b64 s[4:5], vcc
	s_xor_b64 s[4:5], exec, s[4:5]
	s_cbranch_execz .LBB6234_98
; %bb.97:
	v_mov_b32_e32 v0, 0
	s_waitcnt lgkmcnt(0)
	global_store_dword v0, v8, s[18:19]
                                        ; implicit-def: $vgpr4_vgpr5
.LBB6234_98:
	s_andn2_saveexec_b64 s[4:5], s[4:5]
	s_cbranch_execz .LBB6234_100
; %bb.99:
	v_mov_b32_e32 v0, 0
	s_waitcnt lgkmcnt(0)
	global_store_dword v0, v5, s[18:19]
.LBB6234_100:
	s_or_b64 exec, exec, s[4:5]
.LBB6234_101:
	s_or_b64 exec, exec, s[2:3]
                                        ; implicit-def: $vgpr0_vgpr1
                                        ; implicit-def: $vgpr6_vgpr7
                                        ; implicit-def: $vgpr2_vgpr3
                                        ; implicit-def: $vgpr4_vgpr5
.LBB6234_102:
	s_andn2_saveexec_b64 s[0:1], s[0:1]
	s_cbranch_execz .LBB6234_117
; %bb.103:
	v_cmp_lt_i64_e32 vcc, 2, v[0:1]
	s_and_saveexec_b64 s[0:1], vcc
	s_xor_b64 s[0:1], exec, s[0:1]
	s_cbranch_execz .LBB6234_109
; %bb.104:
	v_cmp_lt_i64_e32 vcc, 3, v[0:1]
	s_and_saveexec_b64 s[2:3], vcc
	s_xor_b64 s[2:3], exec, s[2:3]
	s_cbranch_execz .LBB6234_106
; %bb.105:
	v_mov_b32_e32 v0, 0
	s_waitcnt lgkmcnt(0)
	global_store_dword v0, v4, s[18:19]
                                        ; implicit-def: $vgpr6_vgpr7
.LBB6234_106:
	s_andn2_saveexec_b64 s[2:3], s[2:3]
	s_cbranch_execz .LBB6234_108
; %bb.107:
	v_mov_b32_e32 v0, 0
	s_waitcnt lgkmcnt(0)
	global_store_dword v0, v7, s[18:19]
.LBB6234_108:
	s_or_b64 exec, exec, s[2:3]
                                        ; implicit-def: $vgpr0_vgpr1
                                        ; implicit-def: $vgpr6_vgpr7
                                        ; implicit-def: $vgpr2_vgpr3
.LBB6234_109:
	s_andn2_saveexec_b64 s[0:1], s[0:1]
	s_cbranch_execz .LBB6234_117
; %bb.110:
	v_cmp_lt_i64_e32 vcc, 1, v[0:1]
	s_and_saveexec_b64 s[0:1], vcc
	s_xor_b64 s[0:1], exec, s[0:1]
	s_cbranch_execz .LBB6234_112
; %bb.111:
	v_mov_b32_e32 v0, 0
	s_waitcnt lgkmcnt(0)
	global_store_dword v0, v6, s[18:19]
                                        ; implicit-def: $vgpr2_vgpr3
                                        ; implicit-def: $vgpr0_vgpr1
.LBB6234_112:
	s_andn2_saveexec_b64 s[0:1], s[0:1]
	s_cbranch_execz .LBB6234_117
; %bb.113:
	v_cmp_ne_u64_e32 vcc, 1, v[0:1]
	s_and_saveexec_b64 s[0:1], vcc
	s_xor_b64 s[0:1], exec, s[0:1]
	s_cbranch_execz .LBB6234_115
; %bb.114:
	v_mov_b32_e32 v0, 0
	s_waitcnt lgkmcnt(0)
	global_store_dword v0, v2, s[18:19]
                                        ; implicit-def: $vgpr2_vgpr3
.LBB6234_115:
	s_andn2_saveexec_b64 s[0:1], s[0:1]
	s_cbranch_execz .LBB6234_117
; %bb.116:
	v_mov_b32_e32 v0, 0
	s_waitcnt lgkmcnt(0)
	global_store_dword v0, v3, s[18:19]
.LBB6234_117:
	s_endpgm
	.section	.rodata,"a",@progbits
	.p2align	6, 0x0
	.amdhsa_kernel _ZN7rocprim17ROCPRIM_400000_NS6detail17trampoline_kernelINS0_14default_configENS1_20scan_config_selectorIiEEZZNS1_9scan_implILNS1_25lookback_scan_determinismE0ELb1ELb1ES3_N6thrust23THRUST_200600_302600_NS6detail15normal_iteratorINS9_10device_ptrIjEEEENSB_INSC_IiEEEEiNS9_4plusIvEEiEEDaPvRmT3_T4_T5_mT6_P12ihipStream_tbENKUlT_T0_E_clISt17integral_constantIbLb0EESW_EEDaSR_SS_EUlSR_E_NS1_11comp_targetILNS1_3genE4ELNS1_11target_archE910ELNS1_3gpuE8ELNS1_3repE0EEENS1_30default_config_static_selectorELNS0_4arch9wavefront6targetE1EEEvT1_
		.amdhsa_group_segment_fixed_size 5120
		.amdhsa_private_segment_fixed_size 0
		.amdhsa_kernarg_size 96
		.amdhsa_user_sgpr_count 6
		.amdhsa_user_sgpr_private_segment_buffer 1
		.amdhsa_user_sgpr_dispatch_ptr 0
		.amdhsa_user_sgpr_queue_ptr 0
		.amdhsa_user_sgpr_kernarg_segment_ptr 1
		.amdhsa_user_sgpr_dispatch_id 0
		.amdhsa_user_sgpr_flat_scratch_init 0
		.amdhsa_user_sgpr_kernarg_preload_length 0
		.amdhsa_user_sgpr_kernarg_preload_offset 0
		.amdhsa_user_sgpr_private_segment_size 0
		.amdhsa_uses_dynamic_stack 0
		.amdhsa_system_sgpr_private_segment_wavefront_offset 0
		.amdhsa_system_sgpr_workgroup_id_x 1
		.amdhsa_system_sgpr_workgroup_id_y 0
		.amdhsa_system_sgpr_workgroup_id_z 0
		.amdhsa_system_sgpr_workgroup_info 0
		.amdhsa_system_vgpr_workitem_id 0
		.amdhsa_next_free_vgpr 41
		.amdhsa_next_free_sgpr 29
		.amdhsa_accum_offset 44
		.amdhsa_reserve_vcc 1
		.amdhsa_reserve_flat_scratch 0
		.amdhsa_float_round_mode_32 0
		.amdhsa_float_round_mode_16_64 0
		.amdhsa_float_denorm_mode_32 3
		.amdhsa_float_denorm_mode_16_64 3
		.amdhsa_dx10_clamp 1
		.amdhsa_ieee_mode 1
		.amdhsa_fp16_overflow 0
		.amdhsa_tg_split 0
		.amdhsa_exception_fp_ieee_invalid_op 0
		.amdhsa_exception_fp_denorm_src 0
		.amdhsa_exception_fp_ieee_div_zero 0
		.amdhsa_exception_fp_ieee_overflow 0
		.amdhsa_exception_fp_ieee_underflow 0
		.amdhsa_exception_fp_ieee_inexact 0
		.amdhsa_exception_int_div_zero 0
	.end_amdhsa_kernel
	.section	.text._ZN7rocprim17ROCPRIM_400000_NS6detail17trampoline_kernelINS0_14default_configENS1_20scan_config_selectorIiEEZZNS1_9scan_implILNS1_25lookback_scan_determinismE0ELb1ELb1ES3_N6thrust23THRUST_200600_302600_NS6detail15normal_iteratorINS9_10device_ptrIjEEEENSB_INSC_IiEEEEiNS9_4plusIvEEiEEDaPvRmT3_T4_T5_mT6_P12ihipStream_tbENKUlT_T0_E_clISt17integral_constantIbLb0EESW_EEDaSR_SS_EUlSR_E_NS1_11comp_targetILNS1_3genE4ELNS1_11target_archE910ELNS1_3gpuE8ELNS1_3repE0EEENS1_30default_config_static_selectorELNS0_4arch9wavefront6targetE1EEEvT1_,"axG",@progbits,_ZN7rocprim17ROCPRIM_400000_NS6detail17trampoline_kernelINS0_14default_configENS1_20scan_config_selectorIiEEZZNS1_9scan_implILNS1_25lookback_scan_determinismE0ELb1ELb1ES3_N6thrust23THRUST_200600_302600_NS6detail15normal_iteratorINS9_10device_ptrIjEEEENSB_INSC_IiEEEEiNS9_4plusIvEEiEEDaPvRmT3_T4_T5_mT6_P12ihipStream_tbENKUlT_T0_E_clISt17integral_constantIbLb0EESW_EEDaSR_SS_EUlSR_E_NS1_11comp_targetILNS1_3genE4ELNS1_11target_archE910ELNS1_3gpuE8ELNS1_3repE0EEENS1_30default_config_static_selectorELNS0_4arch9wavefront6targetE1EEEvT1_,comdat
.Lfunc_end6234:
	.size	_ZN7rocprim17ROCPRIM_400000_NS6detail17trampoline_kernelINS0_14default_configENS1_20scan_config_selectorIiEEZZNS1_9scan_implILNS1_25lookback_scan_determinismE0ELb1ELb1ES3_N6thrust23THRUST_200600_302600_NS6detail15normal_iteratorINS9_10device_ptrIjEEEENSB_INSC_IiEEEEiNS9_4plusIvEEiEEDaPvRmT3_T4_T5_mT6_P12ihipStream_tbENKUlT_T0_E_clISt17integral_constantIbLb0EESW_EEDaSR_SS_EUlSR_E_NS1_11comp_targetILNS1_3genE4ELNS1_11target_archE910ELNS1_3gpuE8ELNS1_3repE0EEENS1_30default_config_static_selectorELNS0_4arch9wavefront6targetE1EEEvT1_, .Lfunc_end6234-_ZN7rocprim17ROCPRIM_400000_NS6detail17trampoline_kernelINS0_14default_configENS1_20scan_config_selectorIiEEZZNS1_9scan_implILNS1_25lookback_scan_determinismE0ELb1ELb1ES3_N6thrust23THRUST_200600_302600_NS6detail15normal_iteratorINS9_10device_ptrIjEEEENSB_INSC_IiEEEEiNS9_4plusIvEEiEEDaPvRmT3_T4_T5_mT6_P12ihipStream_tbENKUlT_T0_E_clISt17integral_constantIbLb0EESW_EEDaSR_SS_EUlSR_E_NS1_11comp_targetILNS1_3genE4ELNS1_11target_archE910ELNS1_3gpuE8ELNS1_3repE0EEENS1_30default_config_static_selectorELNS0_4arch9wavefront6targetE1EEEvT1_
                                        ; -- End function
	.section	.AMDGPU.csdata,"",@progbits
; Kernel info:
; codeLenInByte = 4404
; NumSgprs: 33
; NumVgprs: 41
; NumAgprs: 0
; TotalNumVgprs: 41
; ScratchSize: 0
; MemoryBound: 0
; FloatMode: 240
; IeeeMode: 1
; LDSByteSize: 5120 bytes/workgroup (compile time only)
; SGPRBlocks: 4
; VGPRBlocks: 5
; NumSGPRsForWavesPerEU: 33
; NumVGPRsForWavesPerEU: 41
; AccumOffset: 44
; Occupancy: 6
; WaveLimiterHint : 1
; COMPUTE_PGM_RSRC2:SCRATCH_EN: 0
; COMPUTE_PGM_RSRC2:USER_SGPR: 6
; COMPUTE_PGM_RSRC2:TRAP_HANDLER: 0
; COMPUTE_PGM_RSRC2:TGID_X_EN: 1
; COMPUTE_PGM_RSRC2:TGID_Y_EN: 0
; COMPUTE_PGM_RSRC2:TGID_Z_EN: 0
; COMPUTE_PGM_RSRC2:TIDIG_COMP_CNT: 0
; COMPUTE_PGM_RSRC3_GFX90A:ACCUM_OFFSET: 10
; COMPUTE_PGM_RSRC3_GFX90A:TG_SPLIT: 0
	.section	.text._ZN7rocprim17ROCPRIM_400000_NS6detail17trampoline_kernelINS0_14default_configENS1_20scan_config_selectorIiEEZZNS1_9scan_implILNS1_25lookback_scan_determinismE0ELb1ELb1ES3_N6thrust23THRUST_200600_302600_NS6detail15normal_iteratorINS9_10device_ptrIjEEEENSB_INSC_IiEEEEiNS9_4plusIvEEiEEDaPvRmT3_T4_T5_mT6_P12ihipStream_tbENKUlT_T0_E_clISt17integral_constantIbLb0EESW_EEDaSR_SS_EUlSR_E_NS1_11comp_targetILNS1_3genE3ELNS1_11target_archE908ELNS1_3gpuE7ELNS1_3repE0EEENS1_30default_config_static_selectorELNS0_4arch9wavefront6targetE1EEEvT1_,"axG",@progbits,_ZN7rocprim17ROCPRIM_400000_NS6detail17trampoline_kernelINS0_14default_configENS1_20scan_config_selectorIiEEZZNS1_9scan_implILNS1_25lookback_scan_determinismE0ELb1ELb1ES3_N6thrust23THRUST_200600_302600_NS6detail15normal_iteratorINS9_10device_ptrIjEEEENSB_INSC_IiEEEEiNS9_4plusIvEEiEEDaPvRmT3_T4_T5_mT6_P12ihipStream_tbENKUlT_T0_E_clISt17integral_constantIbLb0EESW_EEDaSR_SS_EUlSR_E_NS1_11comp_targetILNS1_3genE3ELNS1_11target_archE908ELNS1_3gpuE7ELNS1_3repE0EEENS1_30default_config_static_selectorELNS0_4arch9wavefront6targetE1EEEvT1_,comdat
	.protected	_ZN7rocprim17ROCPRIM_400000_NS6detail17trampoline_kernelINS0_14default_configENS1_20scan_config_selectorIiEEZZNS1_9scan_implILNS1_25lookback_scan_determinismE0ELb1ELb1ES3_N6thrust23THRUST_200600_302600_NS6detail15normal_iteratorINS9_10device_ptrIjEEEENSB_INSC_IiEEEEiNS9_4plusIvEEiEEDaPvRmT3_T4_T5_mT6_P12ihipStream_tbENKUlT_T0_E_clISt17integral_constantIbLb0EESW_EEDaSR_SS_EUlSR_E_NS1_11comp_targetILNS1_3genE3ELNS1_11target_archE908ELNS1_3gpuE7ELNS1_3repE0EEENS1_30default_config_static_selectorELNS0_4arch9wavefront6targetE1EEEvT1_ ; -- Begin function _ZN7rocprim17ROCPRIM_400000_NS6detail17trampoline_kernelINS0_14default_configENS1_20scan_config_selectorIiEEZZNS1_9scan_implILNS1_25lookback_scan_determinismE0ELb1ELb1ES3_N6thrust23THRUST_200600_302600_NS6detail15normal_iteratorINS9_10device_ptrIjEEEENSB_INSC_IiEEEEiNS9_4plusIvEEiEEDaPvRmT3_T4_T5_mT6_P12ihipStream_tbENKUlT_T0_E_clISt17integral_constantIbLb0EESW_EEDaSR_SS_EUlSR_E_NS1_11comp_targetILNS1_3genE3ELNS1_11target_archE908ELNS1_3gpuE7ELNS1_3repE0EEENS1_30default_config_static_selectorELNS0_4arch9wavefront6targetE1EEEvT1_
	.globl	_ZN7rocprim17ROCPRIM_400000_NS6detail17trampoline_kernelINS0_14default_configENS1_20scan_config_selectorIiEEZZNS1_9scan_implILNS1_25lookback_scan_determinismE0ELb1ELb1ES3_N6thrust23THRUST_200600_302600_NS6detail15normal_iteratorINS9_10device_ptrIjEEEENSB_INSC_IiEEEEiNS9_4plusIvEEiEEDaPvRmT3_T4_T5_mT6_P12ihipStream_tbENKUlT_T0_E_clISt17integral_constantIbLb0EESW_EEDaSR_SS_EUlSR_E_NS1_11comp_targetILNS1_3genE3ELNS1_11target_archE908ELNS1_3gpuE7ELNS1_3repE0EEENS1_30default_config_static_selectorELNS0_4arch9wavefront6targetE1EEEvT1_
	.p2align	8
	.type	_ZN7rocprim17ROCPRIM_400000_NS6detail17trampoline_kernelINS0_14default_configENS1_20scan_config_selectorIiEEZZNS1_9scan_implILNS1_25lookback_scan_determinismE0ELb1ELb1ES3_N6thrust23THRUST_200600_302600_NS6detail15normal_iteratorINS9_10device_ptrIjEEEENSB_INSC_IiEEEEiNS9_4plusIvEEiEEDaPvRmT3_T4_T5_mT6_P12ihipStream_tbENKUlT_T0_E_clISt17integral_constantIbLb0EESW_EEDaSR_SS_EUlSR_E_NS1_11comp_targetILNS1_3genE3ELNS1_11target_archE908ELNS1_3gpuE7ELNS1_3repE0EEENS1_30default_config_static_selectorELNS0_4arch9wavefront6targetE1EEEvT1_,@function
_ZN7rocprim17ROCPRIM_400000_NS6detail17trampoline_kernelINS0_14default_configENS1_20scan_config_selectorIiEEZZNS1_9scan_implILNS1_25lookback_scan_determinismE0ELb1ELb1ES3_N6thrust23THRUST_200600_302600_NS6detail15normal_iteratorINS9_10device_ptrIjEEEENSB_INSC_IiEEEEiNS9_4plusIvEEiEEDaPvRmT3_T4_T5_mT6_P12ihipStream_tbENKUlT_T0_E_clISt17integral_constantIbLb0EESW_EEDaSR_SS_EUlSR_E_NS1_11comp_targetILNS1_3genE3ELNS1_11target_archE908ELNS1_3gpuE7ELNS1_3repE0EEENS1_30default_config_static_selectorELNS0_4arch9wavefront6targetE1EEEvT1_: ; @_ZN7rocprim17ROCPRIM_400000_NS6detail17trampoline_kernelINS0_14default_configENS1_20scan_config_selectorIiEEZZNS1_9scan_implILNS1_25lookback_scan_determinismE0ELb1ELb1ES3_N6thrust23THRUST_200600_302600_NS6detail15normal_iteratorINS9_10device_ptrIjEEEENSB_INSC_IiEEEEiNS9_4plusIvEEiEEDaPvRmT3_T4_T5_mT6_P12ihipStream_tbENKUlT_T0_E_clISt17integral_constantIbLb0EESW_EEDaSR_SS_EUlSR_E_NS1_11comp_targetILNS1_3genE3ELNS1_11target_archE908ELNS1_3gpuE7ELNS1_3repE0EEENS1_30default_config_static_selectorELNS0_4arch9wavefront6targetE1EEEvT1_
; %bb.0:
	.section	.rodata,"a",@progbits
	.p2align	6, 0x0
	.amdhsa_kernel _ZN7rocprim17ROCPRIM_400000_NS6detail17trampoline_kernelINS0_14default_configENS1_20scan_config_selectorIiEEZZNS1_9scan_implILNS1_25lookback_scan_determinismE0ELb1ELb1ES3_N6thrust23THRUST_200600_302600_NS6detail15normal_iteratorINS9_10device_ptrIjEEEENSB_INSC_IiEEEEiNS9_4plusIvEEiEEDaPvRmT3_T4_T5_mT6_P12ihipStream_tbENKUlT_T0_E_clISt17integral_constantIbLb0EESW_EEDaSR_SS_EUlSR_E_NS1_11comp_targetILNS1_3genE3ELNS1_11target_archE908ELNS1_3gpuE7ELNS1_3repE0EEENS1_30default_config_static_selectorELNS0_4arch9wavefront6targetE1EEEvT1_
		.amdhsa_group_segment_fixed_size 0
		.amdhsa_private_segment_fixed_size 0
		.amdhsa_kernarg_size 96
		.amdhsa_user_sgpr_count 6
		.amdhsa_user_sgpr_private_segment_buffer 1
		.amdhsa_user_sgpr_dispatch_ptr 0
		.amdhsa_user_sgpr_queue_ptr 0
		.amdhsa_user_sgpr_kernarg_segment_ptr 1
		.amdhsa_user_sgpr_dispatch_id 0
		.amdhsa_user_sgpr_flat_scratch_init 0
		.amdhsa_user_sgpr_kernarg_preload_length 0
		.amdhsa_user_sgpr_kernarg_preload_offset 0
		.amdhsa_user_sgpr_private_segment_size 0
		.amdhsa_uses_dynamic_stack 0
		.amdhsa_system_sgpr_private_segment_wavefront_offset 0
		.amdhsa_system_sgpr_workgroup_id_x 1
		.amdhsa_system_sgpr_workgroup_id_y 0
		.amdhsa_system_sgpr_workgroup_id_z 0
		.amdhsa_system_sgpr_workgroup_info 0
		.amdhsa_system_vgpr_workitem_id 0
		.amdhsa_next_free_vgpr 1
		.amdhsa_next_free_sgpr 0
		.amdhsa_accum_offset 4
		.amdhsa_reserve_vcc 0
		.amdhsa_reserve_flat_scratch 0
		.amdhsa_float_round_mode_32 0
		.amdhsa_float_round_mode_16_64 0
		.amdhsa_float_denorm_mode_32 3
		.amdhsa_float_denorm_mode_16_64 3
		.amdhsa_dx10_clamp 1
		.amdhsa_ieee_mode 1
		.amdhsa_fp16_overflow 0
		.amdhsa_tg_split 0
		.amdhsa_exception_fp_ieee_invalid_op 0
		.amdhsa_exception_fp_denorm_src 0
		.amdhsa_exception_fp_ieee_div_zero 0
		.amdhsa_exception_fp_ieee_overflow 0
		.amdhsa_exception_fp_ieee_underflow 0
		.amdhsa_exception_fp_ieee_inexact 0
		.amdhsa_exception_int_div_zero 0
	.end_amdhsa_kernel
	.section	.text._ZN7rocprim17ROCPRIM_400000_NS6detail17trampoline_kernelINS0_14default_configENS1_20scan_config_selectorIiEEZZNS1_9scan_implILNS1_25lookback_scan_determinismE0ELb1ELb1ES3_N6thrust23THRUST_200600_302600_NS6detail15normal_iteratorINS9_10device_ptrIjEEEENSB_INSC_IiEEEEiNS9_4plusIvEEiEEDaPvRmT3_T4_T5_mT6_P12ihipStream_tbENKUlT_T0_E_clISt17integral_constantIbLb0EESW_EEDaSR_SS_EUlSR_E_NS1_11comp_targetILNS1_3genE3ELNS1_11target_archE908ELNS1_3gpuE7ELNS1_3repE0EEENS1_30default_config_static_selectorELNS0_4arch9wavefront6targetE1EEEvT1_,"axG",@progbits,_ZN7rocprim17ROCPRIM_400000_NS6detail17trampoline_kernelINS0_14default_configENS1_20scan_config_selectorIiEEZZNS1_9scan_implILNS1_25lookback_scan_determinismE0ELb1ELb1ES3_N6thrust23THRUST_200600_302600_NS6detail15normal_iteratorINS9_10device_ptrIjEEEENSB_INSC_IiEEEEiNS9_4plusIvEEiEEDaPvRmT3_T4_T5_mT6_P12ihipStream_tbENKUlT_T0_E_clISt17integral_constantIbLb0EESW_EEDaSR_SS_EUlSR_E_NS1_11comp_targetILNS1_3genE3ELNS1_11target_archE908ELNS1_3gpuE7ELNS1_3repE0EEENS1_30default_config_static_selectorELNS0_4arch9wavefront6targetE1EEEvT1_,comdat
.Lfunc_end6235:
	.size	_ZN7rocprim17ROCPRIM_400000_NS6detail17trampoline_kernelINS0_14default_configENS1_20scan_config_selectorIiEEZZNS1_9scan_implILNS1_25lookback_scan_determinismE0ELb1ELb1ES3_N6thrust23THRUST_200600_302600_NS6detail15normal_iteratorINS9_10device_ptrIjEEEENSB_INSC_IiEEEEiNS9_4plusIvEEiEEDaPvRmT3_T4_T5_mT6_P12ihipStream_tbENKUlT_T0_E_clISt17integral_constantIbLb0EESW_EEDaSR_SS_EUlSR_E_NS1_11comp_targetILNS1_3genE3ELNS1_11target_archE908ELNS1_3gpuE7ELNS1_3repE0EEENS1_30default_config_static_selectorELNS0_4arch9wavefront6targetE1EEEvT1_, .Lfunc_end6235-_ZN7rocprim17ROCPRIM_400000_NS6detail17trampoline_kernelINS0_14default_configENS1_20scan_config_selectorIiEEZZNS1_9scan_implILNS1_25lookback_scan_determinismE0ELb1ELb1ES3_N6thrust23THRUST_200600_302600_NS6detail15normal_iteratorINS9_10device_ptrIjEEEENSB_INSC_IiEEEEiNS9_4plusIvEEiEEDaPvRmT3_T4_T5_mT6_P12ihipStream_tbENKUlT_T0_E_clISt17integral_constantIbLb0EESW_EEDaSR_SS_EUlSR_E_NS1_11comp_targetILNS1_3genE3ELNS1_11target_archE908ELNS1_3gpuE7ELNS1_3repE0EEENS1_30default_config_static_selectorELNS0_4arch9wavefront6targetE1EEEvT1_
                                        ; -- End function
	.section	.AMDGPU.csdata,"",@progbits
; Kernel info:
; codeLenInByte = 0
; NumSgprs: 4
; NumVgprs: 0
; NumAgprs: 0
; TotalNumVgprs: 0
; ScratchSize: 0
; MemoryBound: 0
; FloatMode: 240
; IeeeMode: 1
; LDSByteSize: 0 bytes/workgroup (compile time only)
; SGPRBlocks: 0
; VGPRBlocks: 0
; NumSGPRsForWavesPerEU: 4
; NumVGPRsForWavesPerEU: 1
; AccumOffset: 4
; Occupancy: 8
; WaveLimiterHint : 0
; COMPUTE_PGM_RSRC2:SCRATCH_EN: 0
; COMPUTE_PGM_RSRC2:USER_SGPR: 6
; COMPUTE_PGM_RSRC2:TRAP_HANDLER: 0
; COMPUTE_PGM_RSRC2:TGID_X_EN: 1
; COMPUTE_PGM_RSRC2:TGID_Y_EN: 0
; COMPUTE_PGM_RSRC2:TGID_Z_EN: 0
; COMPUTE_PGM_RSRC2:TIDIG_COMP_CNT: 0
; COMPUTE_PGM_RSRC3_GFX90A:ACCUM_OFFSET: 0
; COMPUTE_PGM_RSRC3_GFX90A:TG_SPLIT: 0
	.section	.text._ZN7rocprim17ROCPRIM_400000_NS6detail17trampoline_kernelINS0_14default_configENS1_20scan_config_selectorIiEEZZNS1_9scan_implILNS1_25lookback_scan_determinismE0ELb1ELb1ES3_N6thrust23THRUST_200600_302600_NS6detail15normal_iteratorINS9_10device_ptrIjEEEENSB_INSC_IiEEEEiNS9_4plusIvEEiEEDaPvRmT3_T4_T5_mT6_P12ihipStream_tbENKUlT_T0_E_clISt17integral_constantIbLb0EESW_EEDaSR_SS_EUlSR_E_NS1_11comp_targetILNS1_3genE2ELNS1_11target_archE906ELNS1_3gpuE6ELNS1_3repE0EEENS1_30default_config_static_selectorELNS0_4arch9wavefront6targetE1EEEvT1_,"axG",@progbits,_ZN7rocprim17ROCPRIM_400000_NS6detail17trampoline_kernelINS0_14default_configENS1_20scan_config_selectorIiEEZZNS1_9scan_implILNS1_25lookback_scan_determinismE0ELb1ELb1ES3_N6thrust23THRUST_200600_302600_NS6detail15normal_iteratorINS9_10device_ptrIjEEEENSB_INSC_IiEEEEiNS9_4plusIvEEiEEDaPvRmT3_T4_T5_mT6_P12ihipStream_tbENKUlT_T0_E_clISt17integral_constantIbLb0EESW_EEDaSR_SS_EUlSR_E_NS1_11comp_targetILNS1_3genE2ELNS1_11target_archE906ELNS1_3gpuE6ELNS1_3repE0EEENS1_30default_config_static_selectorELNS0_4arch9wavefront6targetE1EEEvT1_,comdat
	.protected	_ZN7rocprim17ROCPRIM_400000_NS6detail17trampoline_kernelINS0_14default_configENS1_20scan_config_selectorIiEEZZNS1_9scan_implILNS1_25lookback_scan_determinismE0ELb1ELb1ES3_N6thrust23THRUST_200600_302600_NS6detail15normal_iteratorINS9_10device_ptrIjEEEENSB_INSC_IiEEEEiNS9_4plusIvEEiEEDaPvRmT3_T4_T5_mT6_P12ihipStream_tbENKUlT_T0_E_clISt17integral_constantIbLb0EESW_EEDaSR_SS_EUlSR_E_NS1_11comp_targetILNS1_3genE2ELNS1_11target_archE906ELNS1_3gpuE6ELNS1_3repE0EEENS1_30default_config_static_selectorELNS0_4arch9wavefront6targetE1EEEvT1_ ; -- Begin function _ZN7rocprim17ROCPRIM_400000_NS6detail17trampoline_kernelINS0_14default_configENS1_20scan_config_selectorIiEEZZNS1_9scan_implILNS1_25lookback_scan_determinismE0ELb1ELb1ES3_N6thrust23THRUST_200600_302600_NS6detail15normal_iteratorINS9_10device_ptrIjEEEENSB_INSC_IiEEEEiNS9_4plusIvEEiEEDaPvRmT3_T4_T5_mT6_P12ihipStream_tbENKUlT_T0_E_clISt17integral_constantIbLb0EESW_EEDaSR_SS_EUlSR_E_NS1_11comp_targetILNS1_3genE2ELNS1_11target_archE906ELNS1_3gpuE6ELNS1_3repE0EEENS1_30default_config_static_selectorELNS0_4arch9wavefront6targetE1EEEvT1_
	.globl	_ZN7rocprim17ROCPRIM_400000_NS6detail17trampoline_kernelINS0_14default_configENS1_20scan_config_selectorIiEEZZNS1_9scan_implILNS1_25lookback_scan_determinismE0ELb1ELb1ES3_N6thrust23THRUST_200600_302600_NS6detail15normal_iteratorINS9_10device_ptrIjEEEENSB_INSC_IiEEEEiNS9_4plusIvEEiEEDaPvRmT3_T4_T5_mT6_P12ihipStream_tbENKUlT_T0_E_clISt17integral_constantIbLb0EESW_EEDaSR_SS_EUlSR_E_NS1_11comp_targetILNS1_3genE2ELNS1_11target_archE906ELNS1_3gpuE6ELNS1_3repE0EEENS1_30default_config_static_selectorELNS0_4arch9wavefront6targetE1EEEvT1_
	.p2align	8
	.type	_ZN7rocprim17ROCPRIM_400000_NS6detail17trampoline_kernelINS0_14default_configENS1_20scan_config_selectorIiEEZZNS1_9scan_implILNS1_25lookback_scan_determinismE0ELb1ELb1ES3_N6thrust23THRUST_200600_302600_NS6detail15normal_iteratorINS9_10device_ptrIjEEEENSB_INSC_IiEEEEiNS9_4plusIvEEiEEDaPvRmT3_T4_T5_mT6_P12ihipStream_tbENKUlT_T0_E_clISt17integral_constantIbLb0EESW_EEDaSR_SS_EUlSR_E_NS1_11comp_targetILNS1_3genE2ELNS1_11target_archE906ELNS1_3gpuE6ELNS1_3repE0EEENS1_30default_config_static_selectorELNS0_4arch9wavefront6targetE1EEEvT1_,@function
_ZN7rocprim17ROCPRIM_400000_NS6detail17trampoline_kernelINS0_14default_configENS1_20scan_config_selectorIiEEZZNS1_9scan_implILNS1_25lookback_scan_determinismE0ELb1ELb1ES3_N6thrust23THRUST_200600_302600_NS6detail15normal_iteratorINS9_10device_ptrIjEEEENSB_INSC_IiEEEEiNS9_4plusIvEEiEEDaPvRmT3_T4_T5_mT6_P12ihipStream_tbENKUlT_T0_E_clISt17integral_constantIbLb0EESW_EEDaSR_SS_EUlSR_E_NS1_11comp_targetILNS1_3genE2ELNS1_11target_archE906ELNS1_3gpuE6ELNS1_3repE0EEENS1_30default_config_static_selectorELNS0_4arch9wavefront6targetE1EEEvT1_: ; @_ZN7rocprim17ROCPRIM_400000_NS6detail17trampoline_kernelINS0_14default_configENS1_20scan_config_selectorIiEEZZNS1_9scan_implILNS1_25lookback_scan_determinismE0ELb1ELb1ES3_N6thrust23THRUST_200600_302600_NS6detail15normal_iteratorINS9_10device_ptrIjEEEENSB_INSC_IiEEEEiNS9_4plusIvEEiEEDaPvRmT3_T4_T5_mT6_P12ihipStream_tbENKUlT_T0_E_clISt17integral_constantIbLb0EESW_EEDaSR_SS_EUlSR_E_NS1_11comp_targetILNS1_3genE2ELNS1_11target_archE906ELNS1_3gpuE6ELNS1_3repE0EEENS1_30default_config_static_selectorELNS0_4arch9wavefront6targetE1EEEvT1_
; %bb.0:
	.section	.rodata,"a",@progbits
	.p2align	6, 0x0
	.amdhsa_kernel _ZN7rocprim17ROCPRIM_400000_NS6detail17trampoline_kernelINS0_14default_configENS1_20scan_config_selectorIiEEZZNS1_9scan_implILNS1_25lookback_scan_determinismE0ELb1ELb1ES3_N6thrust23THRUST_200600_302600_NS6detail15normal_iteratorINS9_10device_ptrIjEEEENSB_INSC_IiEEEEiNS9_4plusIvEEiEEDaPvRmT3_T4_T5_mT6_P12ihipStream_tbENKUlT_T0_E_clISt17integral_constantIbLb0EESW_EEDaSR_SS_EUlSR_E_NS1_11comp_targetILNS1_3genE2ELNS1_11target_archE906ELNS1_3gpuE6ELNS1_3repE0EEENS1_30default_config_static_selectorELNS0_4arch9wavefront6targetE1EEEvT1_
		.amdhsa_group_segment_fixed_size 0
		.amdhsa_private_segment_fixed_size 0
		.amdhsa_kernarg_size 96
		.amdhsa_user_sgpr_count 6
		.amdhsa_user_sgpr_private_segment_buffer 1
		.amdhsa_user_sgpr_dispatch_ptr 0
		.amdhsa_user_sgpr_queue_ptr 0
		.amdhsa_user_sgpr_kernarg_segment_ptr 1
		.amdhsa_user_sgpr_dispatch_id 0
		.amdhsa_user_sgpr_flat_scratch_init 0
		.amdhsa_user_sgpr_kernarg_preload_length 0
		.amdhsa_user_sgpr_kernarg_preload_offset 0
		.amdhsa_user_sgpr_private_segment_size 0
		.amdhsa_uses_dynamic_stack 0
		.amdhsa_system_sgpr_private_segment_wavefront_offset 0
		.amdhsa_system_sgpr_workgroup_id_x 1
		.amdhsa_system_sgpr_workgroup_id_y 0
		.amdhsa_system_sgpr_workgroup_id_z 0
		.amdhsa_system_sgpr_workgroup_info 0
		.amdhsa_system_vgpr_workitem_id 0
		.amdhsa_next_free_vgpr 1
		.amdhsa_next_free_sgpr 0
		.amdhsa_accum_offset 4
		.amdhsa_reserve_vcc 0
		.amdhsa_reserve_flat_scratch 0
		.amdhsa_float_round_mode_32 0
		.amdhsa_float_round_mode_16_64 0
		.amdhsa_float_denorm_mode_32 3
		.amdhsa_float_denorm_mode_16_64 3
		.amdhsa_dx10_clamp 1
		.amdhsa_ieee_mode 1
		.amdhsa_fp16_overflow 0
		.amdhsa_tg_split 0
		.amdhsa_exception_fp_ieee_invalid_op 0
		.amdhsa_exception_fp_denorm_src 0
		.amdhsa_exception_fp_ieee_div_zero 0
		.amdhsa_exception_fp_ieee_overflow 0
		.amdhsa_exception_fp_ieee_underflow 0
		.amdhsa_exception_fp_ieee_inexact 0
		.amdhsa_exception_int_div_zero 0
	.end_amdhsa_kernel
	.section	.text._ZN7rocprim17ROCPRIM_400000_NS6detail17trampoline_kernelINS0_14default_configENS1_20scan_config_selectorIiEEZZNS1_9scan_implILNS1_25lookback_scan_determinismE0ELb1ELb1ES3_N6thrust23THRUST_200600_302600_NS6detail15normal_iteratorINS9_10device_ptrIjEEEENSB_INSC_IiEEEEiNS9_4plusIvEEiEEDaPvRmT3_T4_T5_mT6_P12ihipStream_tbENKUlT_T0_E_clISt17integral_constantIbLb0EESW_EEDaSR_SS_EUlSR_E_NS1_11comp_targetILNS1_3genE2ELNS1_11target_archE906ELNS1_3gpuE6ELNS1_3repE0EEENS1_30default_config_static_selectorELNS0_4arch9wavefront6targetE1EEEvT1_,"axG",@progbits,_ZN7rocprim17ROCPRIM_400000_NS6detail17trampoline_kernelINS0_14default_configENS1_20scan_config_selectorIiEEZZNS1_9scan_implILNS1_25lookback_scan_determinismE0ELb1ELb1ES3_N6thrust23THRUST_200600_302600_NS6detail15normal_iteratorINS9_10device_ptrIjEEEENSB_INSC_IiEEEEiNS9_4plusIvEEiEEDaPvRmT3_T4_T5_mT6_P12ihipStream_tbENKUlT_T0_E_clISt17integral_constantIbLb0EESW_EEDaSR_SS_EUlSR_E_NS1_11comp_targetILNS1_3genE2ELNS1_11target_archE906ELNS1_3gpuE6ELNS1_3repE0EEENS1_30default_config_static_selectorELNS0_4arch9wavefront6targetE1EEEvT1_,comdat
.Lfunc_end6236:
	.size	_ZN7rocprim17ROCPRIM_400000_NS6detail17trampoline_kernelINS0_14default_configENS1_20scan_config_selectorIiEEZZNS1_9scan_implILNS1_25lookback_scan_determinismE0ELb1ELb1ES3_N6thrust23THRUST_200600_302600_NS6detail15normal_iteratorINS9_10device_ptrIjEEEENSB_INSC_IiEEEEiNS9_4plusIvEEiEEDaPvRmT3_T4_T5_mT6_P12ihipStream_tbENKUlT_T0_E_clISt17integral_constantIbLb0EESW_EEDaSR_SS_EUlSR_E_NS1_11comp_targetILNS1_3genE2ELNS1_11target_archE906ELNS1_3gpuE6ELNS1_3repE0EEENS1_30default_config_static_selectorELNS0_4arch9wavefront6targetE1EEEvT1_, .Lfunc_end6236-_ZN7rocprim17ROCPRIM_400000_NS6detail17trampoline_kernelINS0_14default_configENS1_20scan_config_selectorIiEEZZNS1_9scan_implILNS1_25lookback_scan_determinismE0ELb1ELb1ES3_N6thrust23THRUST_200600_302600_NS6detail15normal_iteratorINS9_10device_ptrIjEEEENSB_INSC_IiEEEEiNS9_4plusIvEEiEEDaPvRmT3_T4_T5_mT6_P12ihipStream_tbENKUlT_T0_E_clISt17integral_constantIbLb0EESW_EEDaSR_SS_EUlSR_E_NS1_11comp_targetILNS1_3genE2ELNS1_11target_archE906ELNS1_3gpuE6ELNS1_3repE0EEENS1_30default_config_static_selectorELNS0_4arch9wavefront6targetE1EEEvT1_
                                        ; -- End function
	.section	.AMDGPU.csdata,"",@progbits
; Kernel info:
; codeLenInByte = 0
; NumSgprs: 4
; NumVgprs: 0
; NumAgprs: 0
; TotalNumVgprs: 0
; ScratchSize: 0
; MemoryBound: 0
; FloatMode: 240
; IeeeMode: 1
; LDSByteSize: 0 bytes/workgroup (compile time only)
; SGPRBlocks: 0
; VGPRBlocks: 0
; NumSGPRsForWavesPerEU: 4
; NumVGPRsForWavesPerEU: 1
; AccumOffset: 4
; Occupancy: 8
; WaveLimiterHint : 0
; COMPUTE_PGM_RSRC2:SCRATCH_EN: 0
; COMPUTE_PGM_RSRC2:USER_SGPR: 6
; COMPUTE_PGM_RSRC2:TRAP_HANDLER: 0
; COMPUTE_PGM_RSRC2:TGID_X_EN: 1
; COMPUTE_PGM_RSRC2:TGID_Y_EN: 0
; COMPUTE_PGM_RSRC2:TGID_Z_EN: 0
; COMPUTE_PGM_RSRC2:TIDIG_COMP_CNT: 0
; COMPUTE_PGM_RSRC3_GFX90A:ACCUM_OFFSET: 0
; COMPUTE_PGM_RSRC3_GFX90A:TG_SPLIT: 0
	.section	.text._ZN7rocprim17ROCPRIM_400000_NS6detail17trampoline_kernelINS0_14default_configENS1_20scan_config_selectorIiEEZZNS1_9scan_implILNS1_25lookback_scan_determinismE0ELb1ELb1ES3_N6thrust23THRUST_200600_302600_NS6detail15normal_iteratorINS9_10device_ptrIjEEEENSB_INSC_IiEEEEiNS9_4plusIvEEiEEDaPvRmT3_T4_T5_mT6_P12ihipStream_tbENKUlT_T0_E_clISt17integral_constantIbLb0EESW_EEDaSR_SS_EUlSR_E_NS1_11comp_targetILNS1_3genE10ELNS1_11target_archE1201ELNS1_3gpuE5ELNS1_3repE0EEENS1_30default_config_static_selectorELNS0_4arch9wavefront6targetE1EEEvT1_,"axG",@progbits,_ZN7rocprim17ROCPRIM_400000_NS6detail17trampoline_kernelINS0_14default_configENS1_20scan_config_selectorIiEEZZNS1_9scan_implILNS1_25lookback_scan_determinismE0ELb1ELb1ES3_N6thrust23THRUST_200600_302600_NS6detail15normal_iteratorINS9_10device_ptrIjEEEENSB_INSC_IiEEEEiNS9_4plusIvEEiEEDaPvRmT3_T4_T5_mT6_P12ihipStream_tbENKUlT_T0_E_clISt17integral_constantIbLb0EESW_EEDaSR_SS_EUlSR_E_NS1_11comp_targetILNS1_3genE10ELNS1_11target_archE1201ELNS1_3gpuE5ELNS1_3repE0EEENS1_30default_config_static_selectorELNS0_4arch9wavefront6targetE1EEEvT1_,comdat
	.protected	_ZN7rocprim17ROCPRIM_400000_NS6detail17trampoline_kernelINS0_14default_configENS1_20scan_config_selectorIiEEZZNS1_9scan_implILNS1_25lookback_scan_determinismE0ELb1ELb1ES3_N6thrust23THRUST_200600_302600_NS6detail15normal_iteratorINS9_10device_ptrIjEEEENSB_INSC_IiEEEEiNS9_4plusIvEEiEEDaPvRmT3_T4_T5_mT6_P12ihipStream_tbENKUlT_T0_E_clISt17integral_constantIbLb0EESW_EEDaSR_SS_EUlSR_E_NS1_11comp_targetILNS1_3genE10ELNS1_11target_archE1201ELNS1_3gpuE5ELNS1_3repE0EEENS1_30default_config_static_selectorELNS0_4arch9wavefront6targetE1EEEvT1_ ; -- Begin function _ZN7rocprim17ROCPRIM_400000_NS6detail17trampoline_kernelINS0_14default_configENS1_20scan_config_selectorIiEEZZNS1_9scan_implILNS1_25lookback_scan_determinismE0ELb1ELb1ES3_N6thrust23THRUST_200600_302600_NS6detail15normal_iteratorINS9_10device_ptrIjEEEENSB_INSC_IiEEEEiNS9_4plusIvEEiEEDaPvRmT3_T4_T5_mT6_P12ihipStream_tbENKUlT_T0_E_clISt17integral_constantIbLb0EESW_EEDaSR_SS_EUlSR_E_NS1_11comp_targetILNS1_3genE10ELNS1_11target_archE1201ELNS1_3gpuE5ELNS1_3repE0EEENS1_30default_config_static_selectorELNS0_4arch9wavefront6targetE1EEEvT1_
	.globl	_ZN7rocprim17ROCPRIM_400000_NS6detail17trampoline_kernelINS0_14default_configENS1_20scan_config_selectorIiEEZZNS1_9scan_implILNS1_25lookback_scan_determinismE0ELb1ELb1ES3_N6thrust23THRUST_200600_302600_NS6detail15normal_iteratorINS9_10device_ptrIjEEEENSB_INSC_IiEEEEiNS9_4plusIvEEiEEDaPvRmT3_T4_T5_mT6_P12ihipStream_tbENKUlT_T0_E_clISt17integral_constantIbLb0EESW_EEDaSR_SS_EUlSR_E_NS1_11comp_targetILNS1_3genE10ELNS1_11target_archE1201ELNS1_3gpuE5ELNS1_3repE0EEENS1_30default_config_static_selectorELNS0_4arch9wavefront6targetE1EEEvT1_
	.p2align	8
	.type	_ZN7rocprim17ROCPRIM_400000_NS6detail17trampoline_kernelINS0_14default_configENS1_20scan_config_selectorIiEEZZNS1_9scan_implILNS1_25lookback_scan_determinismE0ELb1ELb1ES3_N6thrust23THRUST_200600_302600_NS6detail15normal_iteratorINS9_10device_ptrIjEEEENSB_INSC_IiEEEEiNS9_4plusIvEEiEEDaPvRmT3_T4_T5_mT6_P12ihipStream_tbENKUlT_T0_E_clISt17integral_constantIbLb0EESW_EEDaSR_SS_EUlSR_E_NS1_11comp_targetILNS1_3genE10ELNS1_11target_archE1201ELNS1_3gpuE5ELNS1_3repE0EEENS1_30default_config_static_selectorELNS0_4arch9wavefront6targetE1EEEvT1_,@function
_ZN7rocprim17ROCPRIM_400000_NS6detail17trampoline_kernelINS0_14default_configENS1_20scan_config_selectorIiEEZZNS1_9scan_implILNS1_25lookback_scan_determinismE0ELb1ELb1ES3_N6thrust23THRUST_200600_302600_NS6detail15normal_iteratorINS9_10device_ptrIjEEEENSB_INSC_IiEEEEiNS9_4plusIvEEiEEDaPvRmT3_T4_T5_mT6_P12ihipStream_tbENKUlT_T0_E_clISt17integral_constantIbLb0EESW_EEDaSR_SS_EUlSR_E_NS1_11comp_targetILNS1_3genE10ELNS1_11target_archE1201ELNS1_3gpuE5ELNS1_3repE0EEENS1_30default_config_static_selectorELNS0_4arch9wavefront6targetE1EEEvT1_: ; @_ZN7rocprim17ROCPRIM_400000_NS6detail17trampoline_kernelINS0_14default_configENS1_20scan_config_selectorIiEEZZNS1_9scan_implILNS1_25lookback_scan_determinismE0ELb1ELb1ES3_N6thrust23THRUST_200600_302600_NS6detail15normal_iteratorINS9_10device_ptrIjEEEENSB_INSC_IiEEEEiNS9_4plusIvEEiEEDaPvRmT3_T4_T5_mT6_P12ihipStream_tbENKUlT_T0_E_clISt17integral_constantIbLb0EESW_EEDaSR_SS_EUlSR_E_NS1_11comp_targetILNS1_3genE10ELNS1_11target_archE1201ELNS1_3gpuE5ELNS1_3repE0EEENS1_30default_config_static_selectorELNS0_4arch9wavefront6targetE1EEEvT1_
; %bb.0:
	.section	.rodata,"a",@progbits
	.p2align	6, 0x0
	.amdhsa_kernel _ZN7rocprim17ROCPRIM_400000_NS6detail17trampoline_kernelINS0_14default_configENS1_20scan_config_selectorIiEEZZNS1_9scan_implILNS1_25lookback_scan_determinismE0ELb1ELb1ES3_N6thrust23THRUST_200600_302600_NS6detail15normal_iteratorINS9_10device_ptrIjEEEENSB_INSC_IiEEEEiNS9_4plusIvEEiEEDaPvRmT3_T4_T5_mT6_P12ihipStream_tbENKUlT_T0_E_clISt17integral_constantIbLb0EESW_EEDaSR_SS_EUlSR_E_NS1_11comp_targetILNS1_3genE10ELNS1_11target_archE1201ELNS1_3gpuE5ELNS1_3repE0EEENS1_30default_config_static_selectorELNS0_4arch9wavefront6targetE1EEEvT1_
		.amdhsa_group_segment_fixed_size 0
		.amdhsa_private_segment_fixed_size 0
		.amdhsa_kernarg_size 96
		.amdhsa_user_sgpr_count 6
		.amdhsa_user_sgpr_private_segment_buffer 1
		.amdhsa_user_sgpr_dispatch_ptr 0
		.amdhsa_user_sgpr_queue_ptr 0
		.amdhsa_user_sgpr_kernarg_segment_ptr 1
		.amdhsa_user_sgpr_dispatch_id 0
		.amdhsa_user_sgpr_flat_scratch_init 0
		.amdhsa_user_sgpr_kernarg_preload_length 0
		.amdhsa_user_sgpr_kernarg_preload_offset 0
		.amdhsa_user_sgpr_private_segment_size 0
		.amdhsa_uses_dynamic_stack 0
		.amdhsa_system_sgpr_private_segment_wavefront_offset 0
		.amdhsa_system_sgpr_workgroup_id_x 1
		.amdhsa_system_sgpr_workgroup_id_y 0
		.amdhsa_system_sgpr_workgroup_id_z 0
		.amdhsa_system_sgpr_workgroup_info 0
		.amdhsa_system_vgpr_workitem_id 0
		.amdhsa_next_free_vgpr 1
		.amdhsa_next_free_sgpr 0
		.amdhsa_accum_offset 4
		.amdhsa_reserve_vcc 0
		.amdhsa_reserve_flat_scratch 0
		.amdhsa_float_round_mode_32 0
		.amdhsa_float_round_mode_16_64 0
		.amdhsa_float_denorm_mode_32 3
		.amdhsa_float_denorm_mode_16_64 3
		.amdhsa_dx10_clamp 1
		.amdhsa_ieee_mode 1
		.amdhsa_fp16_overflow 0
		.amdhsa_tg_split 0
		.amdhsa_exception_fp_ieee_invalid_op 0
		.amdhsa_exception_fp_denorm_src 0
		.amdhsa_exception_fp_ieee_div_zero 0
		.amdhsa_exception_fp_ieee_overflow 0
		.amdhsa_exception_fp_ieee_underflow 0
		.amdhsa_exception_fp_ieee_inexact 0
		.amdhsa_exception_int_div_zero 0
	.end_amdhsa_kernel
	.section	.text._ZN7rocprim17ROCPRIM_400000_NS6detail17trampoline_kernelINS0_14default_configENS1_20scan_config_selectorIiEEZZNS1_9scan_implILNS1_25lookback_scan_determinismE0ELb1ELb1ES3_N6thrust23THRUST_200600_302600_NS6detail15normal_iteratorINS9_10device_ptrIjEEEENSB_INSC_IiEEEEiNS9_4plusIvEEiEEDaPvRmT3_T4_T5_mT6_P12ihipStream_tbENKUlT_T0_E_clISt17integral_constantIbLb0EESW_EEDaSR_SS_EUlSR_E_NS1_11comp_targetILNS1_3genE10ELNS1_11target_archE1201ELNS1_3gpuE5ELNS1_3repE0EEENS1_30default_config_static_selectorELNS0_4arch9wavefront6targetE1EEEvT1_,"axG",@progbits,_ZN7rocprim17ROCPRIM_400000_NS6detail17trampoline_kernelINS0_14default_configENS1_20scan_config_selectorIiEEZZNS1_9scan_implILNS1_25lookback_scan_determinismE0ELb1ELb1ES3_N6thrust23THRUST_200600_302600_NS6detail15normal_iteratorINS9_10device_ptrIjEEEENSB_INSC_IiEEEEiNS9_4plusIvEEiEEDaPvRmT3_T4_T5_mT6_P12ihipStream_tbENKUlT_T0_E_clISt17integral_constantIbLb0EESW_EEDaSR_SS_EUlSR_E_NS1_11comp_targetILNS1_3genE10ELNS1_11target_archE1201ELNS1_3gpuE5ELNS1_3repE0EEENS1_30default_config_static_selectorELNS0_4arch9wavefront6targetE1EEEvT1_,comdat
.Lfunc_end6237:
	.size	_ZN7rocprim17ROCPRIM_400000_NS6detail17trampoline_kernelINS0_14default_configENS1_20scan_config_selectorIiEEZZNS1_9scan_implILNS1_25lookback_scan_determinismE0ELb1ELb1ES3_N6thrust23THRUST_200600_302600_NS6detail15normal_iteratorINS9_10device_ptrIjEEEENSB_INSC_IiEEEEiNS9_4plusIvEEiEEDaPvRmT3_T4_T5_mT6_P12ihipStream_tbENKUlT_T0_E_clISt17integral_constantIbLb0EESW_EEDaSR_SS_EUlSR_E_NS1_11comp_targetILNS1_3genE10ELNS1_11target_archE1201ELNS1_3gpuE5ELNS1_3repE0EEENS1_30default_config_static_selectorELNS0_4arch9wavefront6targetE1EEEvT1_, .Lfunc_end6237-_ZN7rocprim17ROCPRIM_400000_NS6detail17trampoline_kernelINS0_14default_configENS1_20scan_config_selectorIiEEZZNS1_9scan_implILNS1_25lookback_scan_determinismE0ELb1ELb1ES3_N6thrust23THRUST_200600_302600_NS6detail15normal_iteratorINS9_10device_ptrIjEEEENSB_INSC_IiEEEEiNS9_4plusIvEEiEEDaPvRmT3_T4_T5_mT6_P12ihipStream_tbENKUlT_T0_E_clISt17integral_constantIbLb0EESW_EEDaSR_SS_EUlSR_E_NS1_11comp_targetILNS1_3genE10ELNS1_11target_archE1201ELNS1_3gpuE5ELNS1_3repE0EEENS1_30default_config_static_selectorELNS0_4arch9wavefront6targetE1EEEvT1_
                                        ; -- End function
	.section	.AMDGPU.csdata,"",@progbits
; Kernel info:
; codeLenInByte = 0
; NumSgprs: 4
; NumVgprs: 0
; NumAgprs: 0
; TotalNumVgprs: 0
; ScratchSize: 0
; MemoryBound: 0
; FloatMode: 240
; IeeeMode: 1
; LDSByteSize: 0 bytes/workgroup (compile time only)
; SGPRBlocks: 0
; VGPRBlocks: 0
; NumSGPRsForWavesPerEU: 4
; NumVGPRsForWavesPerEU: 1
; AccumOffset: 4
; Occupancy: 8
; WaveLimiterHint : 0
; COMPUTE_PGM_RSRC2:SCRATCH_EN: 0
; COMPUTE_PGM_RSRC2:USER_SGPR: 6
; COMPUTE_PGM_RSRC2:TRAP_HANDLER: 0
; COMPUTE_PGM_RSRC2:TGID_X_EN: 1
; COMPUTE_PGM_RSRC2:TGID_Y_EN: 0
; COMPUTE_PGM_RSRC2:TGID_Z_EN: 0
; COMPUTE_PGM_RSRC2:TIDIG_COMP_CNT: 0
; COMPUTE_PGM_RSRC3_GFX90A:ACCUM_OFFSET: 0
; COMPUTE_PGM_RSRC3_GFX90A:TG_SPLIT: 0
	.section	.text._ZN7rocprim17ROCPRIM_400000_NS6detail17trampoline_kernelINS0_14default_configENS1_20scan_config_selectorIiEEZZNS1_9scan_implILNS1_25lookback_scan_determinismE0ELb1ELb1ES3_N6thrust23THRUST_200600_302600_NS6detail15normal_iteratorINS9_10device_ptrIjEEEENSB_INSC_IiEEEEiNS9_4plusIvEEiEEDaPvRmT3_T4_T5_mT6_P12ihipStream_tbENKUlT_T0_E_clISt17integral_constantIbLb0EESW_EEDaSR_SS_EUlSR_E_NS1_11comp_targetILNS1_3genE10ELNS1_11target_archE1200ELNS1_3gpuE4ELNS1_3repE0EEENS1_30default_config_static_selectorELNS0_4arch9wavefront6targetE1EEEvT1_,"axG",@progbits,_ZN7rocprim17ROCPRIM_400000_NS6detail17trampoline_kernelINS0_14default_configENS1_20scan_config_selectorIiEEZZNS1_9scan_implILNS1_25lookback_scan_determinismE0ELb1ELb1ES3_N6thrust23THRUST_200600_302600_NS6detail15normal_iteratorINS9_10device_ptrIjEEEENSB_INSC_IiEEEEiNS9_4plusIvEEiEEDaPvRmT3_T4_T5_mT6_P12ihipStream_tbENKUlT_T0_E_clISt17integral_constantIbLb0EESW_EEDaSR_SS_EUlSR_E_NS1_11comp_targetILNS1_3genE10ELNS1_11target_archE1200ELNS1_3gpuE4ELNS1_3repE0EEENS1_30default_config_static_selectorELNS0_4arch9wavefront6targetE1EEEvT1_,comdat
	.protected	_ZN7rocprim17ROCPRIM_400000_NS6detail17trampoline_kernelINS0_14default_configENS1_20scan_config_selectorIiEEZZNS1_9scan_implILNS1_25lookback_scan_determinismE0ELb1ELb1ES3_N6thrust23THRUST_200600_302600_NS6detail15normal_iteratorINS9_10device_ptrIjEEEENSB_INSC_IiEEEEiNS9_4plusIvEEiEEDaPvRmT3_T4_T5_mT6_P12ihipStream_tbENKUlT_T0_E_clISt17integral_constantIbLb0EESW_EEDaSR_SS_EUlSR_E_NS1_11comp_targetILNS1_3genE10ELNS1_11target_archE1200ELNS1_3gpuE4ELNS1_3repE0EEENS1_30default_config_static_selectorELNS0_4arch9wavefront6targetE1EEEvT1_ ; -- Begin function _ZN7rocprim17ROCPRIM_400000_NS6detail17trampoline_kernelINS0_14default_configENS1_20scan_config_selectorIiEEZZNS1_9scan_implILNS1_25lookback_scan_determinismE0ELb1ELb1ES3_N6thrust23THRUST_200600_302600_NS6detail15normal_iteratorINS9_10device_ptrIjEEEENSB_INSC_IiEEEEiNS9_4plusIvEEiEEDaPvRmT3_T4_T5_mT6_P12ihipStream_tbENKUlT_T0_E_clISt17integral_constantIbLb0EESW_EEDaSR_SS_EUlSR_E_NS1_11comp_targetILNS1_3genE10ELNS1_11target_archE1200ELNS1_3gpuE4ELNS1_3repE0EEENS1_30default_config_static_selectorELNS0_4arch9wavefront6targetE1EEEvT1_
	.globl	_ZN7rocprim17ROCPRIM_400000_NS6detail17trampoline_kernelINS0_14default_configENS1_20scan_config_selectorIiEEZZNS1_9scan_implILNS1_25lookback_scan_determinismE0ELb1ELb1ES3_N6thrust23THRUST_200600_302600_NS6detail15normal_iteratorINS9_10device_ptrIjEEEENSB_INSC_IiEEEEiNS9_4plusIvEEiEEDaPvRmT3_T4_T5_mT6_P12ihipStream_tbENKUlT_T0_E_clISt17integral_constantIbLb0EESW_EEDaSR_SS_EUlSR_E_NS1_11comp_targetILNS1_3genE10ELNS1_11target_archE1200ELNS1_3gpuE4ELNS1_3repE0EEENS1_30default_config_static_selectorELNS0_4arch9wavefront6targetE1EEEvT1_
	.p2align	8
	.type	_ZN7rocprim17ROCPRIM_400000_NS6detail17trampoline_kernelINS0_14default_configENS1_20scan_config_selectorIiEEZZNS1_9scan_implILNS1_25lookback_scan_determinismE0ELb1ELb1ES3_N6thrust23THRUST_200600_302600_NS6detail15normal_iteratorINS9_10device_ptrIjEEEENSB_INSC_IiEEEEiNS9_4plusIvEEiEEDaPvRmT3_T4_T5_mT6_P12ihipStream_tbENKUlT_T0_E_clISt17integral_constantIbLb0EESW_EEDaSR_SS_EUlSR_E_NS1_11comp_targetILNS1_3genE10ELNS1_11target_archE1200ELNS1_3gpuE4ELNS1_3repE0EEENS1_30default_config_static_selectorELNS0_4arch9wavefront6targetE1EEEvT1_,@function
_ZN7rocprim17ROCPRIM_400000_NS6detail17trampoline_kernelINS0_14default_configENS1_20scan_config_selectorIiEEZZNS1_9scan_implILNS1_25lookback_scan_determinismE0ELb1ELb1ES3_N6thrust23THRUST_200600_302600_NS6detail15normal_iteratorINS9_10device_ptrIjEEEENSB_INSC_IiEEEEiNS9_4plusIvEEiEEDaPvRmT3_T4_T5_mT6_P12ihipStream_tbENKUlT_T0_E_clISt17integral_constantIbLb0EESW_EEDaSR_SS_EUlSR_E_NS1_11comp_targetILNS1_3genE10ELNS1_11target_archE1200ELNS1_3gpuE4ELNS1_3repE0EEENS1_30default_config_static_selectorELNS0_4arch9wavefront6targetE1EEEvT1_: ; @_ZN7rocprim17ROCPRIM_400000_NS6detail17trampoline_kernelINS0_14default_configENS1_20scan_config_selectorIiEEZZNS1_9scan_implILNS1_25lookback_scan_determinismE0ELb1ELb1ES3_N6thrust23THRUST_200600_302600_NS6detail15normal_iteratorINS9_10device_ptrIjEEEENSB_INSC_IiEEEEiNS9_4plusIvEEiEEDaPvRmT3_T4_T5_mT6_P12ihipStream_tbENKUlT_T0_E_clISt17integral_constantIbLb0EESW_EEDaSR_SS_EUlSR_E_NS1_11comp_targetILNS1_3genE10ELNS1_11target_archE1200ELNS1_3gpuE4ELNS1_3repE0EEENS1_30default_config_static_selectorELNS0_4arch9wavefront6targetE1EEEvT1_
; %bb.0:
	.section	.rodata,"a",@progbits
	.p2align	6, 0x0
	.amdhsa_kernel _ZN7rocprim17ROCPRIM_400000_NS6detail17trampoline_kernelINS0_14default_configENS1_20scan_config_selectorIiEEZZNS1_9scan_implILNS1_25lookback_scan_determinismE0ELb1ELb1ES3_N6thrust23THRUST_200600_302600_NS6detail15normal_iteratorINS9_10device_ptrIjEEEENSB_INSC_IiEEEEiNS9_4plusIvEEiEEDaPvRmT3_T4_T5_mT6_P12ihipStream_tbENKUlT_T0_E_clISt17integral_constantIbLb0EESW_EEDaSR_SS_EUlSR_E_NS1_11comp_targetILNS1_3genE10ELNS1_11target_archE1200ELNS1_3gpuE4ELNS1_3repE0EEENS1_30default_config_static_selectorELNS0_4arch9wavefront6targetE1EEEvT1_
		.amdhsa_group_segment_fixed_size 0
		.amdhsa_private_segment_fixed_size 0
		.amdhsa_kernarg_size 96
		.amdhsa_user_sgpr_count 6
		.amdhsa_user_sgpr_private_segment_buffer 1
		.amdhsa_user_sgpr_dispatch_ptr 0
		.amdhsa_user_sgpr_queue_ptr 0
		.amdhsa_user_sgpr_kernarg_segment_ptr 1
		.amdhsa_user_sgpr_dispatch_id 0
		.amdhsa_user_sgpr_flat_scratch_init 0
		.amdhsa_user_sgpr_kernarg_preload_length 0
		.amdhsa_user_sgpr_kernarg_preload_offset 0
		.amdhsa_user_sgpr_private_segment_size 0
		.amdhsa_uses_dynamic_stack 0
		.amdhsa_system_sgpr_private_segment_wavefront_offset 0
		.amdhsa_system_sgpr_workgroup_id_x 1
		.amdhsa_system_sgpr_workgroup_id_y 0
		.amdhsa_system_sgpr_workgroup_id_z 0
		.amdhsa_system_sgpr_workgroup_info 0
		.amdhsa_system_vgpr_workitem_id 0
		.amdhsa_next_free_vgpr 1
		.amdhsa_next_free_sgpr 0
		.amdhsa_accum_offset 4
		.amdhsa_reserve_vcc 0
		.amdhsa_reserve_flat_scratch 0
		.amdhsa_float_round_mode_32 0
		.amdhsa_float_round_mode_16_64 0
		.amdhsa_float_denorm_mode_32 3
		.amdhsa_float_denorm_mode_16_64 3
		.amdhsa_dx10_clamp 1
		.amdhsa_ieee_mode 1
		.amdhsa_fp16_overflow 0
		.amdhsa_tg_split 0
		.amdhsa_exception_fp_ieee_invalid_op 0
		.amdhsa_exception_fp_denorm_src 0
		.amdhsa_exception_fp_ieee_div_zero 0
		.amdhsa_exception_fp_ieee_overflow 0
		.amdhsa_exception_fp_ieee_underflow 0
		.amdhsa_exception_fp_ieee_inexact 0
		.amdhsa_exception_int_div_zero 0
	.end_amdhsa_kernel
	.section	.text._ZN7rocprim17ROCPRIM_400000_NS6detail17trampoline_kernelINS0_14default_configENS1_20scan_config_selectorIiEEZZNS1_9scan_implILNS1_25lookback_scan_determinismE0ELb1ELb1ES3_N6thrust23THRUST_200600_302600_NS6detail15normal_iteratorINS9_10device_ptrIjEEEENSB_INSC_IiEEEEiNS9_4plusIvEEiEEDaPvRmT3_T4_T5_mT6_P12ihipStream_tbENKUlT_T0_E_clISt17integral_constantIbLb0EESW_EEDaSR_SS_EUlSR_E_NS1_11comp_targetILNS1_3genE10ELNS1_11target_archE1200ELNS1_3gpuE4ELNS1_3repE0EEENS1_30default_config_static_selectorELNS0_4arch9wavefront6targetE1EEEvT1_,"axG",@progbits,_ZN7rocprim17ROCPRIM_400000_NS6detail17trampoline_kernelINS0_14default_configENS1_20scan_config_selectorIiEEZZNS1_9scan_implILNS1_25lookback_scan_determinismE0ELb1ELb1ES3_N6thrust23THRUST_200600_302600_NS6detail15normal_iteratorINS9_10device_ptrIjEEEENSB_INSC_IiEEEEiNS9_4plusIvEEiEEDaPvRmT3_T4_T5_mT6_P12ihipStream_tbENKUlT_T0_E_clISt17integral_constantIbLb0EESW_EEDaSR_SS_EUlSR_E_NS1_11comp_targetILNS1_3genE10ELNS1_11target_archE1200ELNS1_3gpuE4ELNS1_3repE0EEENS1_30default_config_static_selectorELNS0_4arch9wavefront6targetE1EEEvT1_,comdat
.Lfunc_end6238:
	.size	_ZN7rocprim17ROCPRIM_400000_NS6detail17trampoline_kernelINS0_14default_configENS1_20scan_config_selectorIiEEZZNS1_9scan_implILNS1_25lookback_scan_determinismE0ELb1ELb1ES3_N6thrust23THRUST_200600_302600_NS6detail15normal_iteratorINS9_10device_ptrIjEEEENSB_INSC_IiEEEEiNS9_4plusIvEEiEEDaPvRmT3_T4_T5_mT6_P12ihipStream_tbENKUlT_T0_E_clISt17integral_constantIbLb0EESW_EEDaSR_SS_EUlSR_E_NS1_11comp_targetILNS1_3genE10ELNS1_11target_archE1200ELNS1_3gpuE4ELNS1_3repE0EEENS1_30default_config_static_selectorELNS0_4arch9wavefront6targetE1EEEvT1_, .Lfunc_end6238-_ZN7rocprim17ROCPRIM_400000_NS6detail17trampoline_kernelINS0_14default_configENS1_20scan_config_selectorIiEEZZNS1_9scan_implILNS1_25lookback_scan_determinismE0ELb1ELb1ES3_N6thrust23THRUST_200600_302600_NS6detail15normal_iteratorINS9_10device_ptrIjEEEENSB_INSC_IiEEEEiNS9_4plusIvEEiEEDaPvRmT3_T4_T5_mT6_P12ihipStream_tbENKUlT_T0_E_clISt17integral_constantIbLb0EESW_EEDaSR_SS_EUlSR_E_NS1_11comp_targetILNS1_3genE10ELNS1_11target_archE1200ELNS1_3gpuE4ELNS1_3repE0EEENS1_30default_config_static_selectorELNS0_4arch9wavefront6targetE1EEEvT1_
                                        ; -- End function
	.section	.AMDGPU.csdata,"",@progbits
; Kernel info:
; codeLenInByte = 0
; NumSgprs: 4
; NumVgprs: 0
; NumAgprs: 0
; TotalNumVgprs: 0
; ScratchSize: 0
; MemoryBound: 0
; FloatMode: 240
; IeeeMode: 1
; LDSByteSize: 0 bytes/workgroup (compile time only)
; SGPRBlocks: 0
; VGPRBlocks: 0
; NumSGPRsForWavesPerEU: 4
; NumVGPRsForWavesPerEU: 1
; AccumOffset: 4
; Occupancy: 8
; WaveLimiterHint : 0
; COMPUTE_PGM_RSRC2:SCRATCH_EN: 0
; COMPUTE_PGM_RSRC2:USER_SGPR: 6
; COMPUTE_PGM_RSRC2:TRAP_HANDLER: 0
; COMPUTE_PGM_RSRC2:TGID_X_EN: 1
; COMPUTE_PGM_RSRC2:TGID_Y_EN: 0
; COMPUTE_PGM_RSRC2:TGID_Z_EN: 0
; COMPUTE_PGM_RSRC2:TIDIG_COMP_CNT: 0
; COMPUTE_PGM_RSRC3_GFX90A:ACCUM_OFFSET: 0
; COMPUTE_PGM_RSRC3_GFX90A:TG_SPLIT: 0
	.section	.text._ZN7rocprim17ROCPRIM_400000_NS6detail17trampoline_kernelINS0_14default_configENS1_20scan_config_selectorIiEEZZNS1_9scan_implILNS1_25lookback_scan_determinismE0ELb1ELb1ES3_N6thrust23THRUST_200600_302600_NS6detail15normal_iteratorINS9_10device_ptrIjEEEENSB_INSC_IiEEEEiNS9_4plusIvEEiEEDaPvRmT3_T4_T5_mT6_P12ihipStream_tbENKUlT_T0_E_clISt17integral_constantIbLb0EESW_EEDaSR_SS_EUlSR_E_NS1_11comp_targetILNS1_3genE9ELNS1_11target_archE1100ELNS1_3gpuE3ELNS1_3repE0EEENS1_30default_config_static_selectorELNS0_4arch9wavefront6targetE1EEEvT1_,"axG",@progbits,_ZN7rocprim17ROCPRIM_400000_NS6detail17trampoline_kernelINS0_14default_configENS1_20scan_config_selectorIiEEZZNS1_9scan_implILNS1_25lookback_scan_determinismE0ELb1ELb1ES3_N6thrust23THRUST_200600_302600_NS6detail15normal_iteratorINS9_10device_ptrIjEEEENSB_INSC_IiEEEEiNS9_4plusIvEEiEEDaPvRmT3_T4_T5_mT6_P12ihipStream_tbENKUlT_T0_E_clISt17integral_constantIbLb0EESW_EEDaSR_SS_EUlSR_E_NS1_11comp_targetILNS1_3genE9ELNS1_11target_archE1100ELNS1_3gpuE3ELNS1_3repE0EEENS1_30default_config_static_selectorELNS0_4arch9wavefront6targetE1EEEvT1_,comdat
	.protected	_ZN7rocprim17ROCPRIM_400000_NS6detail17trampoline_kernelINS0_14default_configENS1_20scan_config_selectorIiEEZZNS1_9scan_implILNS1_25lookback_scan_determinismE0ELb1ELb1ES3_N6thrust23THRUST_200600_302600_NS6detail15normal_iteratorINS9_10device_ptrIjEEEENSB_INSC_IiEEEEiNS9_4plusIvEEiEEDaPvRmT3_T4_T5_mT6_P12ihipStream_tbENKUlT_T0_E_clISt17integral_constantIbLb0EESW_EEDaSR_SS_EUlSR_E_NS1_11comp_targetILNS1_3genE9ELNS1_11target_archE1100ELNS1_3gpuE3ELNS1_3repE0EEENS1_30default_config_static_selectorELNS0_4arch9wavefront6targetE1EEEvT1_ ; -- Begin function _ZN7rocprim17ROCPRIM_400000_NS6detail17trampoline_kernelINS0_14default_configENS1_20scan_config_selectorIiEEZZNS1_9scan_implILNS1_25lookback_scan_determinismE0ELb1ELb1ES3_N6thrust23THRUST_200600_302600_NS6detail15normal_iteratorINS9_10device_ptrIjEEEENSB_INSC_IiEEEEiNS9_4plusIvEEiEEDaPvRmT3_T4_T5_mT6_P12ihipStream_tbENKUlT_T0_E_clISt17integral_constantIbLb0EESW_EEDaSR_SS_EUlSR_E_NS1_11comp_targetILNS1_3genE9ELNS1_11target_archE1100ELNS1_3gpuE3ELNS1_3repE0EEENS1_30default_config_static_selectorELNS0_4arch9wavefront6targetE1EEEvT1_
	.globl	_ZN7rocprim17ROCPRIM_400000_NS6detail17trampoline_kernelINS0_14default_configENS1_20scan_config_selectorIiEEZZNS1_9scan_implILNS1_25lookback_scan_determinismE0ELb1ELb1ES3_N6thrust23THRUST_200600_302600_NS6detail15normal_iteratorINS9_10device_ptrIjEEEENSB_INSC_IiEEEEiNS9_4plusIvEEiEEDaPvRmT3_T4_T5_mT6_P12ihipStream_tbENKUlT_T0_E_clISt17integral_constantIbLb0EESW_EEDaSR_SS_EUlSR_E_NS1_11comp_targetILNS1_3genE9ELNS1_11target_archE1100ELNS1_3gpuE3ELNS1_3repE0EEENS1_30default_config_static_selectorELNS0_4arch9wavefront6targetE1EEEvT1_
	.p2align	8
	.type	_ZN7rocprim17ROCPRIM_400000_NS6detail17trampoline_kernelINS0_14default_configENS1_20scan_config_selectorIiEEZZNS1_9scan_implILNS1_25lookback_scan_determinismE0ELb1ELb1ES3_N6thrust23THRUST_200600_302600_NS6detail15normal_iteratorINS9_10device_ptrIjEEEENSB_INSC_IiEEEEiNS9_4plusIvEEiEEDaPvRmT3_T4_T5_mT6_P12ihipStream_tbENKUlT_T0_E_clISt17integral_constantIbLb0EESW_EEDaSR_SS_EUlSR_E_NS1_11comp_targetILNS1_3genE9ELNS1_11target_archE1100ELNS1_3gpuE3ELNS1_3repE0EEENS1_30default_config_static_selectorELNS0_4arch9wavefront6targetE1EEEvT1_,@function
_ZN7rocprim17ROCPRIM_400000_NS6detail17trampoline_kernelINS0_14default_configENS1_20scan_config_selectorIiEEZZNS1_9scan_implILNS1_25lookback_scan_determinismE0ELb1ELb1ES3_N6thrust23THRUST_200600_302600_NS6detail15normal_iteratorINS9_10device_ptrIjEEEENSB_INSC_IiEEEEiNS9_4plusIvEEiEEDaPvRmT3_T4_T5_mT6_P12ihipStream_tbENKUlT_T0_E_clISt17integral_constantIbLb0EESW_EEDaSR_SS_EUlSR_E_NS1_11comp_targetILNS1_3genE9ELNS1_11target_archE1100ELNS1_3gpuE3ELNS1_3repE0EEENS1_30default_config_static_selectorELNS0_4arch9wavefront6targetE1EEEvT1_: ; @_ZN7rocprim17ROCPRIM_400000_NS6detail17trampoline_kernelINS0_14default_configENS1_20scan_config_selectorIiEEZZNS1_9scan_implILNS1_25lookback_scan_determinismE0ELb1ELb1ES3_N6thrust23THRUST_200600_302600_NS6detail15normal_iteratorINS9_10device_ptrIjEEEENSB_INSC_IiEEEEiNS9_4plusIvEEiEEDaPvRmT3_T4_T5_mT6_P12ihipStream_tbENKUlT_T0_E_clISt17integral_constantIbLb0EESW_EEDaSR_SS_EUlSR_E_NS1_11comp_targetILNS1_3genE9ELNS1_11target_archE1100ELNS1_3gpuE3ELNS1_3repE0EEENS1_30default_config_static_selectorELNS0_4arch9wavefront6targetE1EEEvT1_
; %bb.0:
	.section	.rodata,"a",@progbits
	.p2align	6, 0x0
	.amdhsa_kernel _ZN7rocprim17ROCPRIM_400000_NS6detail17trampoline_kernelINS0_14default_configENS1_20scan_config_selectorIiEEZZNS1_9scan_implILNS1_25lookback_scan_determinismE0ELb1ELb1ES3_N6thrust23THRUST_200600_302600_NS6detail15normal_iteratorINS9_10device_ptrIjEEEENSB_INSC_IiEEEEiNS9_4plusIvEEiEEDaPvRmT3_T4_T5_mT6_P12ihipStream_tbENKUlT_T0_E_clISt17integral_constantIbLb0EESW_EEDaSR_SS_EUlSR_E_NS1_11comp_targetILNS1_3genE9ELNS1_11target_archE1100ELNS1_3gpuE3ELNS1_3repE0EEENS1_30default_config_static_selectorELNS0_4arch9wavefront6targetE1EEEvT1_
		.amdhsa_group_segment_fixed_size 0
		.amdhsa_private_segment_fixed_size 0
		.amdhsa_kernarg_size 96
		.amdhsa_user_sgpr_count 6
		.amdhsa_user_sgpr_private_segment_buffer 1
		.amdhsa_user_sgpr_dispatch_ptr 0
		.amdhsa_user_sgpr_queue_ptr 0
		.amdhsa_user_sgpr_kernarg_segment_ptr 1
		.amdhsa_user_sgpr_dispatch_id 0
		.amdhsa_user_sgpr_flat_scratch_init 0
		.amdhsa_user_sgpr_kernarg_preload_length 0
		.amdhsa_user_sgpr_kernarg_preload_offset 0
		.amdhsa_user_sgpr_private_segment_size 0
		.amdhsa_uses_dynamic_stack 0
		.amdhsa_system_sgpr_private_segment_wavefront_offset 0
		.amdhsa_system_sgpr_workgroup_id_x 1
		.amdhsa_system_sgpr_workgroup_id_y 0
		.amdhsa_system_sgpr_workgroup_id_z 0
		.amdhsa_system_sgpr_workgroup_info 0
		.amdhsa_system_vgpr_workitem_id 0
		.amdhsa_next_free_vgpr 1
		.amdhsa_next_free_sgpr 0
		.amdhsa_accum_offset 4
		.amdhsa_reserve_vcc 0
		.amdhsa_reserve_flat_scratch 0
		.amdhsa_float_round_mode_32 0
		.amdhsa_float_round_mode_16_64 0
		.amdhsa_float_denorm_mode_32 3
		.amdhsa_float_denorm_mode_16_64 3
		.amdhsa_dx10_clamp 1
		.amdhsa_ieee_mode 1
		.amdhsa_fp16_overflow 0
		.amdhsa_tg_split 0
		.amdhsa_exception_fp_ieee_invalid_op 0
		.amdhsa_exception_fp_denorm_src 0
		.amdhsa_exception_fp_ieee_div_zero 0
		.amdhsa_exception_fp_ieee_overflow 0
		.amdhsa_exception_fp_ieee_underflow 0
		.amdhsa_exception_fp_ieee_inexact 0
		.amdhsa_exception_int_div_zero 0
	.end_amdhsa_kernel
	.section	.text._ZN7rocprim17ROCPRIM_400000_NS6detail17trampoline_kernelINS0_14default_configENS1_20scan_config_selectorIiEEZZNS1_9scan_implILNS1_25lookback_scan_determinismE0ELb1ELb1ES3_N6thrust23THRUST_200600_302600_NS6detail15normal_iteratorINS9_10device_ptrIjEEEENSB_INSC_IiEEEEiNS9_4plusIvEEiEEDaPvRmT3_T4_T5_mT6_P12ihipStream_tbENKUlT_T0_E_clISt17integral_constantIbLb0EESW_EEDaSR_SS_EUlSR_E_NS1_11comp_targetILNS1_3genE9ELNS1_11target_archE1100ELNS1_3gpuE3ELNS1_3repE0EEENS1_30default_config_static_selectorELNS0_4arch9wavefront6targetE1EEEvT1_,"axG",@progbits,_ZN7rocprim17ROCPRIM_400000_NS6detail17trampoline_kernelINS0_14default_configENS1_20scan_config_selectorIiEEZZNS1_9scan_implILNS1_25lookback_scan_determinismE0ELb1ELb1ES3_N6thrust23THRUST_200600_302600_NS6detail15normal_iteratorINS9_10device_ptrIjEEEENSB_INSC_IiEEEEiNS9_4plusIvEEiEEDaPvRmT3_T4_T5_mT6_P12ihipStream_tbENKUlT_T0_E_clISt17integral_constantIbLb0EESW_EEDaSR_SS_EUlSR_E_NS1_11comp_targetILNS1_3genE9ELNS1_11target_archE1100ELNS1_3gpuE3ELNS1_3repE0EEENS1_30default_config_static_selectorELNS0_4arch9wavefront6targetE1EEEvT1_,comdat
.Lfunc_end6239:
	.size	_ZN7rocprim17ROCPRIM_400000_NS6detail17trampoline_kernelINS0_14default_configENS1_20scan_config_selectorIiEEZZNS1_9scan_implILNS1_25lookback_scan_determinismE0ELb1ELb1ES3_N6thrust23THRUST_200600_302600_NS6detail15normal_iteratorINS9_10device_ptrIjEEEENSB_INSC_IiEEEEiNS9_4plusIvEEiEEDaPvRmT3_T4_T5_mT6_P12ihipStream_tbENKUlT_T0_E_clISt17integral_constantIbLb0EESW_EEDaSR_SS_EUlSR_E_NS1_11comp_targetILNS1_3genE9ELNS1_11target_archE1100ELNS1_3gpuE3ELNS1_3repE0EEENS1_30default_config_static_selectorELNS0_4arch9wavefront6targetE1EEEvT1_, .Lfunc_end6239-_ZN7rocprim17ROCPRIM_400000_NS6detail17trampoline_kernelINS0_14default_configENS1_20scan_config_selectorIiEEZZNS1_9scan_implILNS1_25lookback_scan_determinismE0ELb1ELb1ES3_N6thrust23THRUST_200600_302600_NS6detail15normal_iteratorINS9_10device_ptrIjEEEENSB_INSC_IiEEEEiNS9_4plusIvEEiEEDaPvRmT3_T4_T5_mT6_P12ihipStream_tbENKUlT_T0_E_clISt17integral_constantIbLb0EESW_EEDaSR_SS_EUlSR_E_NS1_11comp_targetILNS1_3genE9ELNS1_11target_archE1100ELNS1_3gpuE3ELNS1_3repE0EEENS1_30default_config_static_selectorELNS0_4arch9wavefront6targetE1EEEvT1_
                                        ; -- End function
	.section	.AMDGPU.csdata,"",@progbits
; Kernel info:
; codeLenInByte = 0
; NumSgprs: 4
; NumVgprs: 0
; NumAgprs: 0
; TotalNumVgprs: 0
; ScratchSize: 0
; MemoryBound: 0
; FloatMode: 240
; IeeeMode: 1
; LDSByteSize: 0 bytes/workgroup (compile time only)
; SGPRBlocks: 0
; VGPRBlocks: 0
; NumSGPRsForWavesPerEU: 4
; NumVGPRsForWavesPerEU: 1
; AccumOffset: 4
; Occupancy: 8
; WaveLimiterHint : 0
; COMPUTE_PGM_RSRC2:SCRATCH_EN: 0
; COMPUTE_PGM_RSRC2:USER_SGPR: 6
; COMPUTE_PGM_RSRC2:TRAP_HANDLER: 0
; COMPUTE_PGM_RSRC2:TGID_X_EN: 1
; COMPUTE_PGM_RSRC2:TGID_Y_EN: 0
; COMPUTE_PGM_RSRC2:TGID_Z_EN: 0
; COMPUTE_PGM_RSRC2:TIDIG_COMP_CNT: 0
; COMPUTE_PGM_RSRC3_GFX90A:ACCUM_OFFSET: 0
; COMPUTE_PGM_RSRC3_GFX90A:TG_SPLIT: 0
	.section	.text._ZN7rocprim17ROCPRIM_400000_NS6detail17trampoline_kernelINS0_14default_configENS1_20scan_config_selectorIiEEZZNS1_9scan_implILNS1_25lookback_scan_determinismE0ELb1ELb1ES3_N6thrust23THRUST_200600_302600_NS6detail15normal_iteratorINS9_10device_ptrIjEEEENSB_INSC_IiEEEEiNS9_4plusIvEEiEEDaPvRmT3_T4_T5_mT6_P12ihipStream_tbENKUlT_T0_E_clISt17integral_constantIbLb0EESW_EEDaSR_SS_EUlSR_E_NS1_11comp_targetILNS1_3genE8ELNS1_11target_archE1030ELNS1_3gpuE2ELNS1_3repE0EEENS1_30default_config_static_selectorELNS0_4arch9wavefront6targetE1EEEvT1_,"axG",@progbits,_ZN7rocprim17ROCPRIM_400000_NS6detail17trampoline_kernelINS0_14default_configENS1_20scan_config_selectorIiEEZZNS1_9scan_implILNS1_25lookback_scan_determinismE0ELb1ELb1ES3_N6thrust23THRUST_200600_302600_NS6detail15normal_iteratorINS9_10device_ptrIjEEEENSB_INSC_IiEEEEiNS9_4plusIvEEiEEDaPvRmT3_T4_T5_mT6_P12ihipStream_tbENKUlT_T0_E_clISt17integral_constantIbLb0EESW_EEDaSR_SS_EUlSR_E_NS1_11comp_targetILNS1_3genE8ELNS1_11target_archE1030ELNS1_3gpuE2ELNS1_3repE0EEENS1_30default_config_static_selectorELNS0_4arch9wavefront6targetE1EEEvT1_,comdat
	.protected	_ZN7rocprim17ROCPRIM_400000_NS6detail17trampoline_kernelINS0_14default_configENS1_20scan_config_selectorIiEEZZNS1_9scan_implILNS1_25lookback_scan_determinismE0ELb1ELb1ES3_N6thrust23THRUST_200600_302600_NS6detail15normal_iteratorINS9_10device_ptrIjEEEENSB_INSC_IiEEEEiNS9_4plusIvEEiEEDaPvRmT3_T4_T5_mT6_P12ihipStream_tbENKUlT_T0_E_clISt17integral_constantIbLb0EESW_EEDaSR_SS_EUlSR_E_NS1_11comp_targetILNS1_3genE8ELNS1_11target_archE1030ELNS1_3gpuE2ELNS1_3repE0EEENS1_30default_config_static_selectorELNS0_4arch9wavefront6targetE1EEEvT1_ ; -- Begin function _ZN7rocprim17ROCPRIM_400000_NS6detail17trampoline_kernelINS0_14default_configENS1_20scan_config_selectorIiEEZZNS1_9scan_implILNS1_25lookback_scan_determinismE0ELb1ELb1ES3_N6thrust23THRUST_200600_302600_NS6detail15normal_iteratorINS9_10device_ptrIjEEEENSB_INSC_IiEEEEiNS9_4plusIvEEiEEDaPvRmT3_T4_T5_mT6_P12ihipStream_tbENKUlT_T0_E_clISt17integral_constantIbLb0EESW_EEDaSR_SS_EUlSR_E_NS1_11comp_targetILNS1_3genE8ELNS1_11target_archE1030ELNS1_3gpuE2ELNS1_3repE0EEENS1_30default_config_static_selectorELNS0_4arch9wavefront6targetE1EEEvT1_
	.globl	_ZN7rocprim17ROCPRIM_400000_NS6detail17trampoline_kernelINS0_14default_configENS1_20scan_config_selectorIiEEZZNS1_9scan_implILNS1_25lookback_scan_determinismE0ELb1ELb1ES3_N6thrust23THRUST_200600_302600_NS6detail15normal_iteratorINS9_10device_ptrIjEEEENSB_INSC_IiEEEEiNS9_4plusIvEEiEEDaPvRmT3_T4_T5_mT6_P12ihipStream_tbENKUlT_T0_E_clISt17integral_constantIbLb0EESW_EEDaSR_SS_EUlSR_E_NS1_11comp_targetILNS1_3genE8ELNS1_11target_archE1030ELNS1_3gpuE2ELNS1_3repE0EEENS1_30default_config_static_selectorELNS0_4arch9wavefront6targetE1EEEvT1_
	.p2align	8
	.type	_ZN7rocprim17ROCPRIM_400000_NS6detail17trampoline_kernelINS0_14default_configENS1_20scan_config_selectorIiEEZZNS1_9scan_implILNS1_25lookback_scan_determinismE0ELb1ELb1ES3_N6thrust23THRUST_200600_302600_NS6detail15normal_iteratorINS9_10device_ptrIjEEEENSB_INSC_IiEEEEiNS9_4plusIvEEiEEDaPvRmT3_T4_T5_mT6_P12ihipStream_tbENKUlT_T0_E_clISt17integral_constantIbLb0EESW_EEDaSR_SS_EUlSR_E_NS1_11comp_targetILNS1_3genE8ELNS1_11target_archE1030ELNS1_3gpuE2ELNS1_3repE0EEENS1_30default_config_static_selectorELNS0_4arch9wavefront6targetE1EEEvT1_,@function
_ZN7rocprim17ROCPRIM_400000_NS6detail17trampoline_kernelINS0_14default_configENS1_20scan_config_selectorIiEEZZNS1_9scan_implILNS1_25lookback_scan_determinismE0ELb1ELb1ES3_N6thrust23THRUST_200600_302600_NS6detail15normal_iteratorINS9_10device_ptrIjEEEENSB_INSC_IiEEEEiNS9_4plusIvEEiEEDaPvRmT3_T4_T5_mT6_P12ihipStream_tbENKUlT_T0_E_clISt17integral_constantIbLb0EESW_EEDaSR_SS_EUlSR_E_NS1_11comp_targetILNS1_3genE8ELNS1_11target_archE1030ELNS1_3gpuE2ELNS1_3repE0EEENS1_30default_config_static_selectorELNS0_4arch9wavefront6targetE1EEEvT1_: ; @_ZN7rocprim17ROCPRIM_400000_NS6detail17trampoline_kernelINS0_14default_configENS1_20scan_config_selectorIiEEZZNS1_9scan_implILNS1_25lookback_scan_determinismE0ELb1ELb1ES3_N6thrust23THRUST_200600_302600_NS6detail15normal_iteratorINS9_10device_ptrIjEEEENSB_INSC_IiEEEEiNS9_4plusIvEEiEEDaPvRmT3_T4_T5_mT6_P12ihipStream_tbENKUlT_T0_E_clISt17integral_constantIbLb0EESW_EEDaSR_SS_EUlSR_E_NS1_11comp_targetILNS1_3genE8ELNS1_11target_archE1030ELNS1_3gpuE2ELNS1_3repE0EEENS1_30default_config_static_selectorELNS0_4arch9wavefront6targetE1EEEvT1_
; %bb.0:
	.section	.rodata,"a",@progbits
	.p2align	6, 0x0
	.amdhsa_kernel _ZN7rocprim17ROCPRIM_400000_NS6detail17trampoline_kernelINS0_14default_configENS1_20scan_config_selectorIiEEZZNS1_9scan_implILNS1_25lookback_scan_determinismE0ELb1ELb1ES3_N6thrust23THRUST_200600_302600_NS6detail15normal_iteratorINS9_10device_ptrIjEEEENSB_INSC_IiEEEEiNS9_4plusIvEEiEEDaPvRmT3_T4_T5_mT6_P12ihipStream_tbENKUlT_T0_E_clISt17integral_constantIbLb0EESW_EEDaSR_SS_EUlSR_E_NS1_11comp_targetILNS1_3genE8ELNS1_11target_archE1030ELNS1_3gpuE2ELNS1_3repE0EEENS1_30default_config_static_selectorELNS0_4arch9wavefront6targetE1EEEvT1_
		.amdhsa_group_segment_fixed_size 0
		.amdhsa_private_segment_fixed_size 0
		.amdhsa_kernarg_size 96
		.amdhsa_user_sgpr_count 6
		.amdhsa_user_sgpr_private_segment_buffer 1
		.amdhsa_user_sgpr_dispatch_ptr 0
		.amdhsa_user_sgpr_queue_ptr 0
		.amdhsa_user_sgpr_kernarg_segment_ptr 1
		.amdhsa_user_sgpr_dispatch_id 0
		.amdhsa_user_sgpr_flat_scratch_init 0
		.amdhsa_user_sgpr_kernarg_preload_length 0
		.amdhsa_user_sgpr_kernarg_preload_offset 0
		.amdhsa_user_sgpr_private_segment_size 0
		.amdhsa_uses_dynamic_stack 0
		.amdhsa_system_sgpr_private_segment_wavefront_offset 0
		.amdhsa_system_sgpr_workgroup_id_x 1
		.amdhsa_system_sgpr_workgroup_id_y 0
		.amdhsa_system_sgpr_workgroup_id_z 0
		.amdhsa_system_sgpr_workgroup_info 0
		.amdhsa_system_vgpr_workitem_id 0
		.amdhsa_next_free_vgpr 1
		.amdhsa_next_free_sgpr 0
		.amdhsa_accum_offset 4
		.amdhsa_reserve_vcc 0
		.amdhsa_reserve_flat_scratch 0
		.amdhsa_float_round_mode_32 0
		.amdhsa_float_round_mode_16_64 0
		.amdhsa_float_denorm_mode_32 3
		.amdhsa_float_denorm_mode_16_64 3
		.amdhsa_dx10_clamp 1
		.amdhsa_ieee_mode 1
		.amdhsa_fp16_overflow 0
		.amdhsa_tg_split 0
		.amdhsa_exception_fp_ieee_invalid_op 0
		.amdhsa_exception_fp_denorm_src 0
		.amdhsa_exception_fp_ieee_div_zero 0
		.amdhsa_exception_fp_ieee_overflow 0
		.amdhsa_exception_fp_ieee_underflow 0
		.amdhsa_exception_fp_ieee_inexact 0
		.amdhsa_exception_int_div_zero 0
	.end_amdhsa_kernel
	.section	.text._ZN7rocprim17ROCPRIM_400000_NS6detail17trampoline_kernelINS0_14default_configENS1_20scan_config_selectorIiEEZZNS1_9scan_implILNS1_25lookback_scan_determinismE0ELb1ELb1ES3_N6thrust23THRUST_200600_302600_NS6detail15normal_iteratorINS9_10device_ptrIjEEEENSB_INSC_IiEEEEiNS9_4plusIvEEiEEDaPvRmT3_T4_T5_mT6_P12ihipStream_tbENKUlT_T0_E_clISt17integral_constantIbLb0EESW_EEDaSR_SS_EUlSR_E_NS1_11comp_targetILNS1_3genE8ELNS1_11target_archE1030ELNS1_3gpuE2ELNS1_3repE0EEENS1_30default_config_static_selectorELNS0_4arch9wavefront6targetE1EEEvT1_,"axG",@progbits,_ZN7rocprim17ROCPRIM_400000_NS6detail17trampoline_kernelINS0_14default_configENS1_20scan_config_selectorIiEEZZNS1_9scan_implILNS1_25lookback_scan_determinismE0ELb1ELb1ES3_N6thrust23THRUST_200600_302600_NS6detail15normal_iteratorINS9_10device_ptrIjEEEENSB_INSC_IiEEEEiNS9_4plusIvEEiEEDaPvRmT3_T4_T5_mT6_P12ihipStream_tbENKUlT_T0_E_clISt17integral_constantIbLb0EESW_EEDaSR_SS_EUlSR_E_NS1_11comp_targetILNS1_3genE8ELNS1_11target_archE1030ELNS1_3gpuE2ELNS1_3repE0EEENS1_30default_config_static_selectorELNS0_4arch9wavefront6targetE1EEEvT1_,comdat
.Lfunc_end6240:
	.size	_ZN7rocprim17ROCPRIM_400000_NS6detail17trampoline_kernelINS0_14default_configENS1_20scan_config_selectorIiEEZZNS1_9scan_implILNS1_25lookback_scan_determinismE0ELb1ELb1ES3_N6thrust23THRUST_200600_302600_NS6detail15normal_iteratorINS9_10device_ptrIjEEEENSB_INSC_IiEEEEiNS9_4plusIvEEiEEDaPvRmT3_T4_T5_mT6_P12ihipStream_tbENKUlT_T0_E_clISt17integral_constantIbLb0EESW_EEDaSR_SS_EUlSR_E_NS1_11comp_targetILNS1_3genE8ELNS1_11target_archE1030ELNS1_3gpuE2ELNS1_3repE0EEENS1_30default_config_static_selectorELNS0_4arch9wavefront6targetE1EEEvT1_, .Lfunc_end6240-_ZN7rocprim17ROCPRIM_400000_NS6detail17trampoline_kernelINS0_14default_configENS1_20scan_config_selectorIiEEZZNS1_9scan_implILNS1_25lookback_scan_determinismE0ELb1ELb1ES3_N6thrust23THRUST_200600_302600_NS6detail15normal_iteratorINS9_10device_ptrIjEEEENSB_INSC_IiEEEEiNS9_4plusIvEEiEEDaPvRmT3_T4_T5_mT6_P12ihipStream_tbENKUlT_T0_E_clISt17integral_constantIbLb0EESW_EEDaSR_SS_EUlSR_E_NS1_11comp_targetILNS1_3genE8ELNS1_11target_archE1030ELNS1_3gpuE2ELNS1_3repE0EEENS1_30default_config_static_selectorELNS0_4arch9wavefront6targetE1EEEvT1_
                                        ; -- End function
	.section	.AMDGPU.csdata,"",@progbits
; Kernel info:
; codeLenInByte = 0
; NumSgprs: 4
; NumVgprs: 0
; NumAgprs: 0
; TotalNumVgprs: 0
; ScratchSize: 0
; MemoryBound: 0
; FloatMode: 240
; IeeeMode: 1
; LDSByteSize: 0 bytes/workgroup (compile time only)
; SGPRBlocks: 0
; VGPRBlocks: 0
; NumSGPRsForWavesPerEU: 4
; NumVGPRsForWavesPerEU: 1
; AccumOffset: 4
; Occupancy: 8
; WaveLimiterHint : 0
; COMPUTE_PGM_RSRC2:SCRATCH_EN: 0
; COMPUTE_PGM_RSRC2:USER_SGPR: 6
; COMPUTE_PGM_RSRC2:TRAP_HANDLER: 0
; COMPUTE_PGM_RSRC2:TGID_X_EN: 1
; COMPUTE_PGM_RSRC2:TGID_Y_EN: 0
; COMPUTE_PGM_RSRC2:TGID_Z_EN: 0
; COMPUTE_PGM_RSRC2:TIDIG_COMP_CNT: 0
; COMPUTE_PGM_RSRC3_GFX90A:ACCUM_OFFSET: 0
; COMPUTE_PGM_RSRC3_GFX90A:TG_SPLIT: 0
	.section	.text._ZN7rocprim17ROCPRIM_400000_NS6detail17trampoline_kernelINS0_14default_configENS1_20scan_config_selectorIiEEZZNS1_9scan_implILNS1_25lookback_scan_determinismE0ELb1ELb1ES3_N6thrust23THRUST_200600_302600_NS6detail15normal_iteratorINS9_10device_ptrIjEEEENSB_INSC_IiEEEEiNS9_4plusIvEEiEEDaPvRmT3_T4_T5_mT6_P12ihipStream_tbENKUlT_T0_E_clISt17integral_constantIbLb0EESW_EEDaSR_SS_EUlSR_E0_NS1_11comp_targetILNS1_3genE0ELNS1_11target_archE4294967295ELNS1_3gpuE0ELNS1_3repE0EEENS1_30default_config_static_selectorELNS0_4arch9wavefront6targetE1EEEvT1_,"axG",@progbits,_ZN7rocprim17ROCPRIM_400000_NS6detail17trampoline_kernelINS0_14default_configENS1_20scan_config_selectorIiEEZZNS1_9scan_implILNS1_25lookback_scan_determinismE0ELb1ELb1ES3_N6thrust23THRUST_200600_302600_NS6detail15normal_iteratorINS9_10device_ptrIjEEEENSB_INSC_IiEEEEiNS9_4plusIvEEiEEDaPvRmT3_T4_T5_mT6_P12ihipStream_tbENKUlT_T0_E_clISt17integral_constantIbLb0EESW_EEDaSR_SS_EUlSR_E0_NS1_11comp_targetILNS1_3genE0ELNS1_11target_archE4294967295ELNS1_3gpuE0ELNS1_3repE0EEENS1_30default_config_static_selectorELNS0_4arch9wavefront6targetE1EEEvT1_,comdat
	.protected	_ZN7rocprim17ROCPRIM_400000_NS6detail17trampoline_kernelINS0_14default_configENS1_20scan_config_selectorIiEEZZNS1_9scan_implILNS1_25lookback_scan_determinismE0ELb1ELb1ES3_N6thrust23THRUST_200600_302600_NS6detail15normal_iteratorINS9_10device_ptrIjEEEENSB_INSC_IiEEEEiNS9_4plusIvEEiEEDaPvRmT3_T4_T5_mT6_P12ihipStream_tbENKUlT_T0_E_clISt17integral_constantIbLb0EESW_EEDaSR_SS_EUlSR_E0_NS1_11comp_targetILNS1_3genE0ELNS1_11target_archE4294967295ELNS1_3gpuE0ELNS1_3repE0EEENS1_30default_config_static_selectorELNS0_4arch9wavefront6targetE1EEEvT1_ ; -- Begin function _ZN7rocprim17ROCPRIM_400000_NS6detail17trampoline_kernelINS0_14default_configENS1_20scan_config_selectorIiEEZZNS1_9scan_implILNS1_25lookback_scan_determinismE0ELb1ELb1ES3_N6thrust23THRUST_200600_302600_NS6detail15normal_iteratorINS9_10device_ptrIjEEEENSB_INSC_IiEEEEiNS9_4plusIvEEiEEDaPvRmT3_T4_T5_mT6_P12ihipStream_tbENKUlT_T0_E_clISt17integral_constantIbLb0EESW_EEDaSR_SS_EUlSR_E0_NS1_11comp_targetILNS1_3genE0ELNS1_11target_archE4294967295ELNS1_3gpuE0ELNS1_3repE0EEENS1_30default_config_static_selectorELNS0_4arch9wavefront6targetE1EEEvT1_
	.globl	_ZN7rocprim17ROCPRIM_400000_NS6detail17trampoline_kernelINS0_14default_configENS1_20scan_config_selectorIiEEZZNS1_9scan_implILNS1_25lookback_scan_determinismE0ELb1ELb1ES3_N6thrust23THRUST_200600_302600_NS6detail15normal_iteratorINS9_10device_ptrIjEEEENSB_INSC_IiEEEEiNS9_4plusIvEEiEEDaPvRmT3_T4_T5_mT6_P12ihipStream_tbENKUlT_T0_E_clISt17integral_constantIbLb0EESW_EEDaSR_SS_EUlSR_E0_NS1_11comp_targetILNS1_3genE0ELNS1_11target_archE4294967295ELNS1_3gpuE0ELNS1_3repE0EEENS1_30default_config_static_selectorELNS0_4arch9wavefront6targetE1EEEvT1_
	.p2align	8
	.type	_ZN7rocprim17ROCPRIM_400000_NS6detail17trampoline_kernelINS0_14default_configENS1_20scan_config_selectorIiEEZZNS1_9scan_implILNS1_25lookback_scan_determinismE0ELb1ELb1ES3_N6thrust23THRUST_200600_302600_NS6detail15normal_iteratorINS9_10device_ptrIjEEEENSB_INSC_IiEEEEiNS9_4plusIvEEiEEDaPvRmT3_T4_T5_mT6_P12ihipStream_tbENKUlT_T0_E_clISt17integral_constantIbLb0EESW_EEDaSR_SS_EUlSR_E0_NS1_11comp_targetILNS1_3genE0ELNS1_11target_archE4294967295ELNS1_3gpuE0ELNS1_3repE0EEENS1_30default_config_static_selectorELNS0_4arch9wavefront6targetE1EEEvT1_,@function
_ZN7rocprim17ROCPRIM_400000_NS6detail17trampoline_kernelINS0_14default_configENS1_20scan_config_selectorIiEEZZNS1_9scan_implILNS1_25lookback_scan_determinismE0ELb1ELb1ES3_N6thrust23THRUST_200600_302600_NS6detail15normal_iteratorINS9_10device_ptrIjEEEENSB_INSC_IiEEEEiNS9_4plusIvEEiEEDaPvRmT3_T4_T5_mT6_P12ihipStream_tbENKUlT_T0_E_clISt17integral_constantIbLb0EESW_EEDaSR_SS_EUlSR_E0_NS1_11comp_targetILNS1_3genE0ELNS1_11target_archE4294967295ELNS1_3gpuE0ELNS1_3repE0EEENS1_30default_config_static_selectorELNS0_4arch9wavefront6targetE1EEEvT1_: ; @_ZN7rocprim17ROCPRIM_400000_NS6detail17trampoline_kernelINS0_14default_configENS1_20scan_config_selectorIiEEZZNS1_9scan_implILNS1_25lookback_scan_determinismE0ELb1ELb1ES3_N6thrust23THRUST_200600_302600_NS6detail15normal_iteratorINS9_10device_ptrIjEEEENSB_INSC_IiEEEEiNS9_4plusIvEEiEEDaPvRmT3_T4_T5_mT6_P12ihipStream_tbENKUlT_T0_E_clISt17integral_constantIbLb0EESW_EEDaSR_SS_EUlSR_E0_NS1_11comp_targetILNS1_3genE0ELNS1_11target_archE4294967295ELNS1_3gpuE0ELNS1_3repE0EEENS1_30default_config_static_selectorELNS0_4arch9wavefront6targetE1EEEvT1_
; %bb.0:
	.section	.rodata,"a",@progbits
	.p2align	6, 0x0
	.amdhsa_kernel _ZN7rocprim17ROCPRIM_400000_NS6detail17trampoline_kernelINS0_14default_configENS1_20scan_config_selectorIiEEZZNS1_9scan_implILNS1_25lookback_scan_determinismE0ELb1ELb1ES3_N6thrust23THRUST_200600_302600_NS6detail15normal_iteratorINS9_10device_ptrIjEEEENSB_INSC_IiEEEEiNS9_4plusIvEEiEEDaPvRmT3_T4_T5_mT6_P12ihipStream_tbENKUlT_T0_E_clISt17integral_constantIbLb0EESW_EEDaSR_SS_EUlSR_E0_NS1_11comp_targetILNS1_3genE0ELNS1_11target_archE4294967295ELNS1_3gpuE0ELNS1_3repE0EEENS1_30default_config_static_selectorELNS0_4arch9wavefront6targetE1EEEvT1_
		.amdhsa_group_segment_fixed_size 0
		.amdhsa_private_segment_fixed_size 0
		.amdhsa_kernarg_size 32
		.amdhsa_user_sgpr_count 6
		.amdhsa_user_sgpr_private_segment_buffer 1
		.amdhsa_user_sgpr_dispatch_ptr 0
		.amdhsa_user_sgpr_queue_ptr 0
		.amdhsa_user_sgpr_kernarg_segment_ptr 1
		.amdhsa_user_sgpr_dispatch_id 0
		.amdhsa_user_sgpr_flat_scratch_init 0
		.amdhsa_user_sgpr_kernarg_preload_length 0
		.amdhsa_user_sgpr_kernarg_preload_offset 0
		.amdhsa_user_sgpr_private_segment_size 0
		.amdhsa_uses_dynamic_stack 0
		.amdhsa_system_sgpr_private_segment_wavefront_offset 0
		.amdhsa_system_sgpr_workgroup_id_x 1
		.amdhsa_system_sgpr_workgroup_id_y 0
		.amdhsa_system_sgpr_workgroup_id_z 0
		.amdhsa_system_sgpr_workgroup_info 0
		.amdhsa_system_vgpr_workitem_id 0
		.amdhsa_next_free_vgpr 1
		.amdhsa_next_free_sgpr 0
		.amdhsa_accum_offset 4
		.amdhsa_reserve_vcc 0
		.amdhsa_reserve_flat_scratch 0
		.amdhsa_float_round_mode_32 0
		.amdhsa_float_round_mode_16_64 0
		.amdhsa_float_denorm_mode_32 3
		.amdhsa_float_denorm_mode_16_64 3
		.amdhsa_dx10_clamp 1
		.amdhsa_ieee_mode 1
		.amdhsa_fp16_overflow 0
		.amdhsa_tg_split 0
		.amdhsa_exception_fp_ieee_invalid_op 0
		.amdhsa_exception_fp_denorm_src 0
		.amdhsa_exception_fp_ieee_div_zero 0
		.amdhsa_exception_fp_ieee_overflow 0
		.amdhsa_exception_fp_ieee_underflow 0
		.amdhsa_exception_fp_ieee_inexact 0
		.amdhsa_exception_int_div_zero 0
	.end_amdhsa_kernel
	.section	.text._ZN7rocprim17ROCPRIM_400000_NS6detail17trampoline_kernelINS0_14default_configENS1_20scan_config_selectorIiEEZZNS1_9scan_implILNS1_25lookback_scan_determinismE0ELb1ELb1ES3_N6thrust23THRUST_200600_302600_NS6detail15normal_iteratorINS9_10device_ptrIjEEEENSB_INSC_IiEEEEiNS9_4plusIvEEiEEDaPvRmT3_T4_T5_mT6_P12ihipStream_tbENKUlT_T0_E_clISt17integral_constantIbLb0EESW_EEDaSR_SS_EUlSR_E0_NS1_11comp_targetILNS1_3genE0ELNS1_11target_archE4294967295ELNS1_3gpuE0ELNS1_3repE0EEENS1_30default_config_static_selectorELNS0_4arch9wavefront6targetE1EEEvT1_,"axG",@progbits,_ZN7rocprim17ROCPRIM_400000_NS6detail17trampoline_kernelINS0_14default_configENS1_20scan_config_selectorIiEEZZNS1_9scan_implILNS1_25lookback_scan_determinismE0ELb1ELb1ES3_N6thrust23THRUST_200600_302600_NS6detail15normal_iteratorINS9_10device_ptrIjEEEENSB_INSC_IiEEEEiNS9_4plusIvEEiEEDaPvRmT3_T4_T5_mT6_P12ihipStream_tbENKUlT_T0_E_clISt17integral_constantIbLb0EESW_EEDaSR_SS_EUlSR_E0_NS1_11comp_targetILNS1_3genE0ELNS1_11target_archE4294967295ELNS1_3gpuE0ELNS1_3repE0EEENS1_30default_config_static_selectorELNS0_4arch9wavefront6targetE1EEEvT1_,comdat
.Lfunc_end6241:
	.size	_ZN7rocprim17ROCPRIM_400000_NS6detail17trampoline_kernelINS0_14default_configENS1_20scan_config_selectorIiEEZZNS1_9scan_implILNS1_25lookback_scan_determinismE0ELb1ELb1ES3_N6thrust23THRUST_200600_302600_NS6detail15normal_iteratorINS9_10device_ptrIjEEEENSB_INSC_IiEEEEiNS9_4plusIvEEiEEDaPvRmT3_T4_T5_mT6_P12ihipStream_tbENKUlT_T0_E_clISt17integral_constantIbLb0EESW_EEDaSR_SS_EUlSR_E0_NS1_11comp_targetILNS1_3genE0ELNS1_11target_archE4294967295ELNS1_3gpuE0ELNS1_3repE0EEENS1_30default_config_static_selectorELNS0_4arch9wavefront6targetE1EEEvT1_, .Lfunc_end6241-_ZN7rocprim17ROCPRIM_400000_NS6detail17trampoline_kernelINS0_14default_configENS1_20scan_config_selectorIiEEZZNS1_9scan_implILNS1_25lookback_scan_determinismE0ELb1ELb1ES3_N6thrust23THRUST_200600_302600_NS6detail15normal_iteratorINS9_10device_ptrIjEEEENSB_INSC_IiEEEEiNS9_4plusIvEEiEEDaPvRmT3_T4_T5_mT6_P12ihipStream_tbENKUlT_T0_E_clISt17integral_constantIbLb0EESW_EEDaSR_SS_EUlSR_E0_NS1_11comp_targetILNS1_3genE0ELNS1_11target_archE4294967295ELNS1_3gpuE0ELNS1_3repE0EEENS1_30default_config_static_selectorELNS0_4arch9wavefront6targetE1EEEvT1_
                                        ; -- End function
	.section	.AMDGPU.csdata,"",@progbits
; Kernel info:
; codeLenInByte = 0
; NumSgprs: 4
; NumVgprs: 0
; NumAgprs: 0
; TotalNumVgprs: 0
; ScratchSize: 0
; MemoryBound: 0
; FloatMode: 240
; IeeeMode: 1
; LDSByteSize: 0 bytes/workgroup (compile time only)
; SGPRBlocks: 0
; VGPRBlocks: 0
; NumSGPRsForWavesPerEU: 4
; NumVGPRsForWavesPerEU: 1
; AccumOffset: 4
; Occupancy: 8
; WaveLimiterHint : 0
; COMPUTE_PGM_RSRC2:SCRATCH_EN: 0
; COMPUTE_PGM_RSRC2:USER_SGPR: 6
; COMPUTE_PGM_RSRC2:TRAP_HANDLER: 0
; COMPUTE_PGM_RSRC2:TGID_X_EN: 1
; COMPUTE_PGM_RSRC2:TGID_Y_EN: 0
; COMPUTE_PGM_RSRC2:TGID_Z_EN: 0
; COMPUTE_PGM_RSRC2:TIDIG_COMP_CNT: 0
; COMPUTE_PGM_RSRC3_GFX90A:ACCUM_OFFSET: 0
; COMPUTE_PGM_RSRC3_GFX90A:TG_SPLIT: 0
	.section	.text._ZN7rocprim17ROCPRIM_400000_NS6detail17trampoline_kernelINS0_14default_configENS1_20scan_config_selectorIiEEZZNS1_9scan_implILNS1_25lookback_scan_determinismE0ELb1ELb1ES3_N6thrust23THRUST_200600_302600_NS6detail15normal_iteratorINS9_10device_ptrIjEEEENSB_INSC_IiEEEEiNS9_4plusIvEEiEEDaPvRmT3_T4_T5_mT6_P12ihipStream_tbENKUlT_T0_E_clISt17integral_constantIbLb0EESW_EEDaSR_SS_EUlSR_E0_NS1_11comp_targetILNS1_3genE5ELNS1_11target_archE942ELNS1_3gpuE9ELNS1_3repE0EEENS1_30default_config_static_selectorELNS0_4arch9wavefront6targetE1EEEvT1_,"axG",@progbits,_ZN7rocprim17ROCPRIM_400000_NS6detail17trampoline_kernelINS0_14default_configENS1_20scan_config_selectorIiEEZZNS1_9scan_implILNS1_25lookback_scan_determinismE0ELb1ELb1ES3_N6thrust23THRUST_200600_302600_NS6detail15normal_iteratorINS9_10device_ptrIjEEEENSB_INSC_IiEEEEiNS9_4plusIvEEiEEDaPvRmT3_T4_T5_mT6_P12ihipStream_tbENKUlT_T0_E_clISt17integral_constantIbLb0EESW_EEDaSR_SS_EUlSR_E0_NS1_11comp_targetILNS1_3genE5ELNS1_11target_archE942ELNS1_3gpuE9ELNS1_3repE0EEENS1_30default_config_static_selectorELNS0_4arch9wavefront6targetE1EEEvT1_,comdat
	.protected	_ZN7rocprim17ROCPRIM_400000_NS6detail17trampoline_kernelINS0_14default_configENS1_20scan_config_selectorIiEEZZNS1_9scan_implILNS1_25lookback_scan_determinismE0ELb1ELb1ES3_N6thrust23THRUST_200600_302600_NS6detail15normal_iteratorINS9_10device_ptrIjEEEENSB_INSC_IiEEEEiNS9_4plusIvEEiEEDaPvRmT3_T4_T5_mT6_P12ihipStream_tbENKUlT_T0_E_clISt17integral_constantIbLb0EESW_EEDaSR_SS_EUlSR_E0_NS1_11comp_targetILNS1_3genE5ELNS1_11target_archE942ELNS1_3gpuE9ELNS1_3repE0EEENS1_30default_config_static_selectorELNS0_4arch9wavefront6targetE1EEEvT1_ ; -- Begin function _ZN7rocprim17ROCPRIM_400000_NS6detail17trampoline_kernelINS0_14default_configENS1_20scan_config_selectorIiEEZZNS1_9scan_implILNS1_25lookback_scan_determinismE0ELb1ELb1ES3_N6thrust23THRUST_200600_302600_NS6detail15normal_iteratorINS9_10device_ptrIjEEEENSB_INSC_IiEEEEiNS9_4plusIvEEiEEDaPvRmT3_T4_T5_mT6_P12ihipStream_tbENKUlT_T0_E_clISt17integral_constantIbLb0EESW_EEDaSR_SS_EUlSR_E0_NS1_11comp_targetILNS1_3genE5ELNS1_11target_archE942ELNS1_3gpuE9ELNS1_3repE0EEENS1_30default_config_static_selectorELNS0_4arch9wavefront6targetE1EEEvT1_
	.globl	_ZN7rocprim17ROCPRIM_400000_NS6detail17trampoline_kernelINS0_14default_configENS1_20scan_config_selectorIiEEZZNS1_9scan_implILNS1_25lookback_scan_determinismE0ELb1ELb1ES3_N6thrust23THRUST_200600_302600_NS6detail15normal_iteratorINS9_10device_ptrIjEEEENSB_INSC_IiEEEEiNS9_4plusIvEEiEEDaPvRmT3_T4_T5_mT6_P12ihipStream_tbENKUlT_T0_E_clISt17integral_constantIbLb0EESW_EEDaSR_SS_EUlSR_E0_NS1_11comp_targetILNS1_3genE5ELNS1_11target_archE942ELNS1_3gpuE9ELNS1_3repE0EEENS1_30default_config_static_selectorELNS0_4arch9wavefront6targetE1EEEvT1_
	.p2align	8
	.type	_ZN7rocprim17ROCPRIM_400000_NS6detail17trampoline_kernelINS0_14default_configENS1_20scan_config_selectorIiEEZZNS1_9scan_implILNS1_25lookback_scan_determinismE0ELb1ELb1ES3_N6thrust23THRUST_200600_302600_NS6detail15normal_iteratorINS9_10device_ptrIjEEEENSB_INSC_IiEEEEiNS9_4plusIvEEiEEDaPvRmT3_T4_T5_mT6_P12ihipStream_tbENKUlT_T0_E_clISt17integral_constantIbLb0EESW_EEDaSR_SS_EUlSR_E0_NS1_11comp_targetILNS1_3genE5ELNS1_11target_archE942ELNS1_3gpuE9ELNS1_3repE0EEENS1_30default_config_static_selectorELNS0_4arch9wavefront6targetE1EEEvT1_,@function
_ZN7rocprim17ROCPRIM_400000_NS6detail17trampoline_kernelINS0_14default_configENS1_20scan_config_selectorIiEEZZNS1_9scan_implILNS1_25lookback_scan_determinismE0ELb1ELb1ES3_N6thrust23THRUST_200600_302600_NS6detail15normal_iteratorINS9_10device_ptrIjEEEENSB_INSC_IiEEEEiNS9_4plusIvEEiEEDaPvRmT3_T4_T5_mT6_P12ihipStream_tbENKUlT_T0_E_clISt17integral_constantIbLb0EESW_EEDaSR_SS_EUlSR_E0_NS1_11comp_targetILNS1_3genE5ELNS1_11target_archE942ELNS1_3gpuE9ELNS1_3repE0EEENS1_30default_config_static_selectorELNS0_4arch9wavefront6targetE1EEEvT1_: ; @_ZN7rocprim17ROCPRIM_400000_NS6detail17trampoline_kernelINS0_14default_configENS1_20scan_config_selectorIiEEZZNS1_9scan_implILNS1_25lookback_scan_determinismE0ELb1ELb1ES3_N6thrust23THRUST_200600_302600_NS6detail15normal_iteratorINS9_10device_ptrIjEEEENSB_INSC_IiEEEEiNS9_4plusIvEEiEEDaPvRmT3_T4_T5_mT6_P12ihipStream_tbENKUlT_T0_E_clISt17integral_constantIbLb0EESW_EEDaSR_SS_EUlSR_E0_NS1_11comp_targetILNS1_3genE5ELNS1_11target_archE942ELNS1_3gpuE9ELNS1_3repE0EEENS1_30default_config_static_selectorELNS0_4arch9wavefront6targetE1EEEvT1_
; %bb.0:
	.section	.rodata,"a",@progbits
	.p2align	6, 0x0
	.amdhsa_kernel _ZN7rocprim17ROCPRIM_400000_NS6detail17trampoline_kernelINS0_14default_configENS1_20scan_config_selectorIiEEZZNS1_9scan_implILNS1_25lookback_scan_determinismE0ELb1ELb1ES3_N6thrust23THRUST_200600_302600_NS6detail15normal_iteratorINS9_10device_ptrIjEEEENSB_INSC_IiEEEEiNS9_4plusIvEEiEEDaPvRmT3_T4_T5_mT6_P12ihipStream_tbENKUlT_T0_E_clISt17integral_constantIbLb0EESW_EEDaSR_SS_EUlSR_E0_NS1_11comp_targetILNS1_3genE5ELNS1_11target_archE942ELNS1_3gpuE9ELNS1_3repE0EEENS1_30default_config_static_selectorELNS0_4arch9wavefront6targetE1EEEvT1_
		.amdhsa_group_segment_fixed_size 0
		.amdhsa_private_segment_fixed_size 0
		.amdhsa_kernarg_size 32
		.amdhsa_user_sgpr_count 6
		.amdhsa_user_sgpr_private_segment_buffer 1
		.amdhsa_user_sgpr_dispatch_ptr 0
		.amdhsa_user_sgpr_queue_ptr 0
		.amdhsa_user_sgpr_kernarg_segment_ptr 1
		.amdhsa_user_sgpr_dispatch_id 0
		.amdhsa_user_sgpr_flat_scratch_init 0
		.amdhsa_user_sgpr_kernarg_preload_length 0
		.amdhsa_user_sgpr_kernarg_preload_offset 0
		.amdhsa_user_sgpr_private_segment_size 0
		.amdhsa_uses_dynamic_stack 0
		.amdhsa_system_sgpr_private_segment_wavefront_offset 0
		.amdhsa_system_sgpr_workgroup_id_x 1
		.amdhsa_system_sgpr_workgroup_id_y 0
		.amdhsa_system_sgpr_workgroup_id_z 0
		.amdhsa_system_sgpr_workgroup_info 0
		.amdhsa_system_vgpr_workitem_id 0
		.amdhsa_next_free_vgpr 1
		.amdhsa_next_free_sgpr 0
		.amdhsa_accum_offset 4
		.amdhsa_reserve_vcc 0
		.amdhsa_reserve_flat_scratch 0
		.amdhsa_float_round_mode_32 0
		.amdhsa_float_round_mode_16_64 0
		.amdhsa_float_denorm_mode_32 3
		.amdhsa_float_denorm_mode_16_64 3
		.amdhsa_dx10_clamp 1
		.amdhsa_ieee_mode 1
		.amdhsa_fp16_overflow 0
		.amdhsa_tg_split 0
		.amdhsa_exception_fp_ieee_invalid_op 0
		.amdhsa_exception_fp_denorm_src 0
		.amdhsa_exception_fp_ieee_div_zero 0
		.amdhsa_exception_fp_ieee_overflow 0
		.amdhsa_exception_fp_ieee_underflow 0
		.amdhsa_exception_fp_ieee_inexact 0
		.amdhsa_exception_int_div_zero 0
	.end_amdhsa_kernel
	.section	.text._ZN7rocprim17ROCPRIM_400000_NS6detail17trampoline_kernelINS0_14default_configENS1_20scan_config_selectorIiEEZZNS1_9scan_implILNS1_25lookback_scan_determinismE0ELb1ELb1ES3_N6thrust23THRUST_200600_302600_NS6detail15normal_iteratorINS9_10device_ptrIjEEEENSB_INSC_IiEEEEiNS9_4plusIvEEiEEDaPvRmT3_T4_T5_mT6_P12ihipStream_tbENKUlT_T0_E_clISt17integral_constantIbLb0EESW_EEDaSR_SS_EUlSR_E0_NS1_11comp_targetILNS1_3genE5ELNS1_11target_archE942ELNS1_3gpuE9ELNS1_3repE0EEENS1_30default_config_static_selectorELNS0_4arch9wavefront6targetE1EEEvT1_,"axG",@progbits,_ZN7rocprim17ROCPRIM_400000_NS6detail17trampoline_kernelINS0_14default_configENS1_20scan_config_selectorIiEEZZNS1_9scan_implILNS1_25lookback_scan_determinismE0ELb1ELb1ES3_N6thrust23THRUST_200600_302600_NS6detail15normal_iteratorINS9_10device_ptrIjEEEENSB_INSC_IiEEEEiNS9_4plusIvEEiEEDaPvRmT3_T4_T5_mT6_P12ihipStream_tbENKUlT_T0_E_clISt17integral_constantIbLb0EESW_EEDaSR_SS_EUlSR_E0_NS1_11comp_targetILNS1_3genE5ELNS1_11target_archE942ELNS1_3gpuE9ELNS1_3repE0EEENS1_30default_config_static_selectorELNS0_4arch9wavefront6targetE1EEEvT1_,comdat
.Lfunc_end6242:
	.size	_ZN7rocprim17ROCPRIM_400000_NS6detail17trampoline_kernelINS0_14default_configENS1_20scan_config_selectorIiEEZZNS1_9scan_implILNS1_25lookback_scan_determinismE0ELb1ELb1ES3_N6thrust23THRUST_200600_302600_NS6detail15normal_iteratorINS9_10device_ptrIjEEEENSB_INSC_IiEEEEiNS9_4plusIvEEiEEDaPvRmT3_T4_T5_mT6_P12ihipStream_tbENKUlT_T0_E_clISt17integral_constantIbLb0EESW_EEDaSR_SS_EUlSR_E0_NS1_11comp_targetILNS1_3genE5ELNS1_11target_archE942ELNS1_3gpuE9ELNS1_3repE0EEENS1_30default_config_static_selectorELNS0_4arch9wavefront6targetE1EEEvT1_, .Lfunc_end6242-_ZN7rocprim17ROCPRIM_400000_NS6detail17trampoline_kernelINS0_14default_configENS1_20scan_config_selectorIiEEZZNS1_9scan_implILNS1_25lookback_scan_determinismE0ELb1ELb1ES3_N6thrust23THRUST_200600_302600_NS6detail15normal_iteratorINS9_10device_ptrIjEEEENSB_INSC_IiEEEEiNS9_4plusIvEEiEEDaPvRmT3_T4_T5_mT6_P12ihipStream_tbENKUlT_T0_E_clISt17integral_constantIbLb0EESW_EEDaSR_SS_EUlSR_E0_NS1_11comp_targetILNS1_3genE5ELNS1_11target_archE942ELNS1_3gpuE9ELNS1_3repE0EEENS1_30default_config_static_selectorELNS0_4arch9wavefront6targetE1EEEvT1_
                                        ; -- End function
	.section	.AMDGPU.csdata,"",@progbits
; Kernel info:
; codeLenInByte = 0
; NumSgprs: 4
; NumVgprs: 0
; NumAgprs: 0
; TotalNumVgprs: 0
; ScratchSize: 0
; MemoryBound: 0
; FloatMode: 240
; IeeeMode: 1
; LDSByteSize: 0 bytes/workgroup (compile time only)
; SGPRBlocks: 0
; VGPRBlocks: 0
; NumSGPRsForWavesPerEU: 4
; NumVGPRsForWavesPerEU: 1
; AccumOffset: 4
; Occupancy: 8
; WaveLimiterHint : 0
; COMPUTE_PGM_RSRC2:SCRATCH_EN: 0
; COMPUTE_PGM_RSRC2:USER_SGPR: 6
; COMPUTE_PGM_RSRC2:TRAP_HANDLER: 0
; COMPUTE_PGM_RSRC2:TGID_X_EN: 1
; COMPUTE_PGM_RSRC2:TGID_Y_EN: 0
; COMPUTE_PGM_RSRC2:TGID_Z_EN: 0
; COMPUTE_PGM_RSRC2:TIDIG_COMP_CNT: 0
; COMPUTE_PGM_RSRC3_GFX90A:ACCUM_OFFSET: 0
; COMPUTE_PGM_RSRC3_GFX90A:TG_SPLIT: 0
	.section	.text._ZN7rocprim17ROCPRIM_400000_NS6detail17trampoline_kernelINS0_14default_configENS1_20scan_config_selectorIiEEZZNS1_9scan_implILNS1_25lookback_scan_determinismE0ELb1ELb1ES3_N6thrust23THRUST_200600_302600_NS6detail15normal_iteratorINS9_10device_ptrIjEEEENSB_INSC_IiEEEEiNS9_4plusIvEEiEEDaPvRmT3_T4_T5_mT6_P12ihipStream_tbENKUlT_T0_E_clISt17integral_constantIbLb0EESW_EEDaSR_SS_EUlSR_E0_NS1_11comp_targetILNS1_3genE4ELNS1_11target_archE910ELNS1_3gpuE8ELNS1_3repE0EEENS1_30default_config_static_selectorELNS0_4arch9wavefront6targetE1EEEvT1_,"axG",@progbits,_ZN7rocprim17ROCPRIM_400000_NS6detail17trampoline_kernelINS0_14default_configENS1_20scan_config_selectorIiEEZZNS1_9scan_implILNS1_25lookback_scan_determinismE0ELb1ELb1ES3_N6thrust23THRUST_200600_302600_NS6detail15normal_iteratorINS9_10device_ptrIjEEEENSB_INSC_IiEEEEiNS9_4plusIvEEiEEDaPvRmT3_T4_T5_mT6_P12ihipStream_tbENKUlT_T0_E_clISt17integral_constantIbLb0EESW_EEDaSR_SS_EUlSR_E0_NS1_11comp_targetILNS1_3genE4ELNS1_11target_archE910ELNS1_3gpuE8ELNS1_3repE0EEENS1_30default_config_static_selectorELNS0_4arch9wavefront6targetE1EEEvT1_,comdat
	.protected	_ZN7rocprim17ROCPRIM_400000_NS6detail17trampoline_kernelINS0_14default_configENS1_20scan_config_selectorIiEEZZNS1_9scan_implILNS1_25lookback_scan_determinismE0ELb1ELb1ES3_N6thrust23THRUST_200600_302600_NS6detail15normal_iteratorINS9_10device_ptrIjEEEENSB_INSC_IiEEEEiNS9_4plusIvEEiEEDaPvRmT3_T4_T5_mT6_P12ihipStream_tbENKUlT_T0_E_clISt17integral_constantIbLb0EESW_EEDaSR_SS_EUlSR_E0_NS1_11comp_targetILNS1_3genE4ELNS1_11target_archE910ELNS1_3gpuE8ELNS1_3repE0EEENS1_30default_config_static_selectorELNS0_4arch9wavefront6targetE1EEEvT1_ ; -- Begin function _ZN7rocprim17ROCPRIM_400000_NS6detail17trampoline_kernelINS0_14default_configENS1_20scan_config_selectorIiEEZZNS1_9scan_implILNS1_25lookback_scan_determinismE0ELb1ELb1ES3_N6thrust23THRUST_200600_302600_NS6detail15normal_iteratorINS9_10device_ptrIjEEEENSB_INSC_IiEEEEiNS9_4plusIvEEiEEDaPvRmT3_T4_T5_mT6_P12ihipStream_tbENKUlT_T0_E_clISt17integral_constantIbLb0EESW_EEDaSR_SS_EUlSR_E0_NS1_11comp_targetILNS1_3genE4ELNS1_11target_archE910ELNS1_3gpuE8ELNS1_3repE0EEENS1_30default_config_static_selectorELNS0_4arch9wavefront6targetE1EEEvT1_
	.globl	_ZN7rocprim17ROCPRIM_400000_NS6detail17trampoline_kernelINS0_14default_configENS1_20scan_config_selectorIiEEZZNS1_9scan_implILNS1_25lookback_scan_determinismE0ELb1ELb1ES3_N6thrust23THRUST_200600_302600_NS6detail15normal_iteratorINS9_10device_ptrIjEEEENSB_INSC_IiEEEEiNS9_4plusIvEEiEEDaPvRmT3_T4_T5_mT6_P12ihipStream_tbENKUlT_T0_E_clISt17integral_constantIbLb0EESW_EEDaSR_SS_EUlSR_E0_NS1_11comp_targetILNS1_3genE4ELNS1_11target_archE910ELNS1_3gpuE8ELNS1_3repE0EEENS1_30default_config_static_selectorELNS0_4arch9wavefront6targetE1EEEvT1_
	.p2align	8
	.type	_ZN7rocprim17ROCPRIM_400000_NS6detail17trampoline_kernelINS0_14default_configENS1_20scan_config_selectorIiEEZZNS1_9scan_implILNS1_25lookback_scan_determinismE0ELb1ELb1ES3_N6thrust23THRUST_200600_302600_NS6detail15normal_iteratorINS9_10device_ptrIjEEEENSB_INSC_IiEEEEiNS9_4plusIvEEiEEDaPvRmT3_T4_T5_mT6_P12ihipStream_tbENKUlT_T0_E_clISt17integral_constantIbLb0EESW_EEDaSR_SS_EUlSR_E0_NS1_11comp_targetILNS1_3genE4ELNS1_11target_archE910ELNS1_3gpuE8ELNS1_3repE0EEENS1_30default_config_static_selectorELNS0_4arch9wavefront6targetE1EEEvT1_,@function
_ZN7rocprim17ROCPRIM_400000_NS6detail17trampoline_kernelINS0_14default_configENS1_20scan_config_selectorIiEEZZNS1_9scan_implILNS1_25lookback_scan_determinismE0ELb1ELb1ES3_N6thrust23THRUST_200600_302600_NS6detail15normal_iteratorINS9_10device_ptrIjEEEENSB_INSC_IiEEEEiNS9_4plusIvEEiEEDaPvRmT3_T4_T5_mT6_P12ihipStream_tbENKUlT_T0_E_clISt17integral_constantIbLb0EESW_EEDaSR_SS_EUlSR_E0_NS1_11comp_targetILNS1_3genE4ELNS1_11target_archE910ELNS1_3gpuE8ELNS1_3repE0EEENS1_30default_config_static_selectorELNS0_4arch9wavefront6targetE1EEEvT1_: ; @_ZN7rocprim17ROCPRIM_400000_NS6detail17trampoline_kernelINS0_14default_configENS1_20scan_config_selectorIiEEZZNS1_9scan_implILNS1_25lookback_scan_determinismE0ELb1ELb1ES3_N6thrust23THRUST_200600_302600_NS6detail15normal_iteratorINS9_10device_ptrIjEEEENSB_INSC_IiEEEEiNS9_4plusIvEEiEEDaPvRmT3_T4_T5_mT6_P12ihipStream_tbENKUlT_T0_E_clISt17integral_constantIbLb0EESW_EEDaSR_SS_EUlSR_E0_NS1_11comp_targetILNS1_3genE4ELNS1_11target_archE910ELNS1_3gpuE8ELNS1_3repE0EEENS1_30default_config_static_selectorELNS0_4arch9wavefront6targetE1EEEvT1_
; %bb.0:
	s_load_dwordx4 s[20:23], s[4:5], 0x0
	v_lshlrev_b32_e32 v14, 2, v0
	s_waitcnt lgkmcnt(0)
	s_load_dword s23, s[20:21], 0x0
	v_cmp_gt_u32_e32 vcc, s22, v0
	s_waitcnt lgkmcnt(0)
	v_mov_b32_e32 v1, s23
	s_and_saveexec_b64 s[0:1], vcc
	s_cbranch_execz .LBB6243_2
; %bb.1:
	global_load_dword v1, v14, s[20:21]
.LBB6243_2:
	s_or_b64 exec, exec, s[0:1]
	v_or_b32_e32 v2, 0x80, v0
	v_cmp_gt_u32_e64 s[0:1], s22, v2
	v_mov_b32_e32 v2, s23
	s_and_saveexec_b64 s[2:3], s[0:1]
	s_cbranch_execz .LBB6243_4
; %bb.3:
	global_load_dword v2, v14, s[20:21] offset:512
.LBB6243_4:
	s_or_b64 exec, exec, s[2:3]
	v_or_b32_e32 v3, 0x100, v0
	v_cmp_gt_u32_e64 s[2:3], s22, v3
	v_mov_b32_e32 v3, s23
	s_and_saveexec_b64 s[6:7], s[2:3]
	s_cbranch_execz .LBB6243_6
; %bb.5:
	global_load_dword v3, v14, s[20:21] offset:1024
.LBB6243_6:
	s_or_b64 exec, exec, s[6:7]
	v_or_b32_e32 v4, 0x180, v0
	v_cmp_gt_u32_e64 s[18:19], s22, v4
	v_mov_b32_e32 v4, s23
	s_and_saveexec_b64 s[6:7], s[18:19]
	s_cbranch_execz .LBB6243_8
; %bb.7:
	global_load_dword v4, v14, s[20:21] offset:1536
.LBB6243_8:
	s_or_b64 exec, exec, s[6:7]
	v_or_b32_e32 v5, 0x200, v0
	v_cmp_gt_u32_e64 s[6:7], s22, v5
	v_mov_b32_e32 v5, s23
	s_and_saveexec_b64 s[8:9], s[6:7]
	s_cbranch_execz .LBB6243_10
; %bb.9:
	global_load_dword v5, v14, s[20:21] offset:2048
.LBB6243_10:
	s_or_b64 exec, exec, s[8:9]
	v_or_b32_e32 v6, 0x280, v0
	v_cmp_gt_u32_e64 s[8:9], s22, v6
	v_mov_b32_e32 v6, s23
	s_and_saveexec_b64 s[10:11], s[8:9]
	s_cbranch_execz .LBB6243_12
; %bb.11:
	global_load_dword v6, v14, s[20:21] offset:2560
.LBB6243_12:
	s_or_b64 exec, exec, s[10:11]
	v_or_b32_e32 v7, 0x300, v0
	v_cmp_gt_u32_e64 s[10:11], s22, v7
	v_mov_b32_e32 v7, s23
	s_and_saveexec_b64 s[12:13], s[10:11]
	s_cbranch_execz .LBB6243_14
; %bb.13:
	global_load_dword v7, v14, s[20:21] offset:3072
.LBB6243_14:
	s_or_b64 exec, exec, s[12:13]
	v_or_b32_e32 v8, 0x380, v0
	v_cmp_gt_u32_e64 s[12:13], s22, v8
	v_mov_b32_e32 v8, s23
	s_and_saveexec_b64 s[14:15], s[12:13]
	s_cbranch_execz .LBB6243_16
; %bb.15:
	global_load_dword v8, v14, s[20:21] offset:3584
.LBB6243_16:
	s_or_b64 exec, exec, s[14:15]
	v_or_b32_e32 v10, 0x400, v0
	v_cmp_gt_u32_e64 s[14:15], s22, v10
	v_mov_b32_e32 v9, s23
	s_and_saveexec_b64 s[16:17], s[14:15]
	s_cbranch_execz .LBB6243_18
; %bb.17:
	v_lshlrev_b32_e32 v9, 2, v10
	global_load_dword v9, v9, s[20:21]
.LBB6243_18:
	s_or_b64 exec, exec, s[16:17]
	s_load_dword s24, s[4:5], 0x10
	v_or_b32_e32 v11, 0x480, v0
	v_cmp_gt_u32_e64 s[16:17], s22, v11
	v_mov_b32_e32 v10, s23
	s_and_saveexec_b64 s[22:23], s[16:17]
	s_cbranch_execz .LBB6243_20
; %bb.19:
	v_lshlrev_b32_e32 v10, 2, v11
	global_load_dword v10, v10, s[20:21]
.LBB6243_20:
	s_or_b64 exec, exec, s[22:23]
	s_waitcnt vmcnt(0)
	ds_write2st64_b32 v14, v1, v2 offset1:2
	ds_write2st64_b32 v14, v3, v4 offset0:4 offset1:6
	ds_write2st64_b32 v14, v5, v6 offset0:8 offset1:10
	;; [unrolled: 1-line block ×4, first 2 shown]
	v_mad_u32_u24 v1, v0, 36, v14
	s_waitcnt lgkmcnt(0)
	s_barrier
	ds_read2_b64 v[6:9], v1 offset1:1
	ds_read2_b64 v[2:5], v1 offset0:2 offset1:3
	ds_read_b64 v[10:11], v1 offset:32
	s_load_dwordx2 s[20:21], s[4:5], 0x18
	v_cmp_gt_u32_e64 s[4:5], 64, v0
	s_waitcnt lgkmcnt(0)
	v_add_u32_e32 v1, v7, v6
	v_add3_u32 v1, v1, v8, v9
	v_add3_u32 v1, v1, v2, v3
	;; [unrolled: 1-line block ×4, first 2 shown]
	v_lshrrev_b32_e32 v11, 3, v0
	v_and_b32_e32 v11, 12, v11
	v_add_u32_e32 v11, v14, v11
	s_barrier
	ds_write_b32 v11, v1
	s_waitcnt lgkmcnt(0)
	s_barrier
	s_and_saveexec_b64 s[22:23], s[4:5]
	s_cbranch_execz .LBB6243_22
; %bb.21:
	v_lshlrev_b32_e32 v11, 1, v0
	v_lshrrev_b32_e32 v12, 4, v0
	v_add_lshl_u32 v11, v12, v11, 2
	ds_read2_b32 v[12:13], v11 offset1:1
	v_mbcnt_lo_u32_b32 v15, -1, 0
	v_mbcnt_hi_u32_b32 v15, -1, v15
	v_and_b32_e32 v16, 15, v15
	v_cmp_ne_u32_e64 s[4:5], 0, v16
	s_waitcnt lgkmcnt(0)
	v_add_u32_e32 v13, v13, v12
	; wave barrier
	s_nop 1
	v_mov_b32_dpp v17, v13 row_shr:1 row_mask:0xf bank_mask:0xf
	v_cndmask_b32_e64 v17, 0, v17, s[4:5]
	v_add_u32_e32 v13, v17, v13
	v_cmp_lt_u32_e64 s[4:5], 1, v16
	s_nop 0
	v_mov_b32_dpp v17, v13 row_shr:2 row_mask:0xf bank_mask:0xf
	v_cndmask_b32_e64 v17, 0, v17, s[4:5]
	v_add_u32_e32 v13, v13, v17
	v_cmp_lt_u32_e64 s[4:5], 3, v16
	;; [unrolled: 5-line block ×3, first 2 shown]
	s_nop 0
	v_mov_b32_dpp v17, v13 row_shr:8 row_mask:0xf bank_mask:0xf
	v_cndmask_b32_e64 v16, 0, v17, s[4:5]
	v_add_u32_e32 v13, v13, v16
	v_bfe_i32 v17, v15, 4, 1
	v_cmp_lt_u32_e64 s[4:5], 31, v15
	v_mov_b32_dpp v16, v13 row_bcast:15 row_mask:0xf bank_mask:0xf
	v_and_b32_e32 v16, v17, v16
	v_add_u32_e32 v13, v13, v16
	v_and_b32_e32 v17, 64, v15
	s_nop 0
	v_mov_b32_dpp v16, v13 row_bcast:31 row_mask:0xf bank_mask:0xf
	v_cndmask_b32_e64 v16, 0, v16, s[4:5]
	v_add_u32_e32 v13, v13, v16
	v_add_u32_e32 v16, -1, v15
	v_cmp_lt_i32_e64 s[4:5], v16, v17
	v_cndmask_b32_e64 v15, v16, v15, s[4:5]
	v_lshlrev_b32_e32 v15, 2, v15
	ds_bpermute_b32 v13, v15, v13
	v_cmp_eq_u32_e64 s[4:5], 0, v0
	s_waitcnt lgkmcnt(0)
	v_add_u32_e32 v12, v13, v12
	v_cndmask_b32_e64 v1, v12, v1, s[4:5]
	ds_write_b32 v11, v1
	; wave barrier
	ds_read_b32 v12, v11 offset:4
	s_waitcnt lgkmcnt(0)
	v_add_u32_e32 v1, v12, v1
	ds_write_b32 v11, v1 offset:4
.LBB6243_22:
	s_or_b64 exec, exec, s[22:23]
	v_mul_u32_u24_e32 v1, 36, v0
	v_cmp_ne_u32_e64 s[4:5], 0, v0
	v_mov_b32_e32 v12, s24
	s_waitcnt lgkmcnt(0)
	s_barrier
	s_and_saveexec_b64 s[22:23], s[4:5]
	s_cbranch_execz .LBB6243_24
; %bb.23:
	v_add_u32_e32 v0, -1, v0
	v_lshrrev_b32_e32 v11, 5, v0
	v_add_lshl_u32 v0, v11, v0, 2
	ds_read_b32 v0, v0
	s_waitcnt lgkmcnt(0)
	v_add_u32_e32 v12, s24, v0
.LBB6243_24:
	s_or_b64 exec, exec, s[22:23]
	v_add_u32_e32 v13, v12, v6
	v_add_u32_e32 v6, v13, v7
	;; [unrolled: 1-line block ×10, first 2 shown]
	s_barrier
	ds_write2_b64 v0, v[12:13], v[6:7] offset1:1
	ds_write2_b64 v0, v[8:9], v[2:3] offset0:2 offset1:3
	ds_write_b64 v0, v[4:5] offset:32
	s_waitcnt lgkmcnt(0)
	s_barrier
	ds_read2st64_b32 v[8:9], v14 offset0:2 offset1:4
	ds_read2st64_b32 v[6:7], v14 offset0:6 offset1:8
	;; [unrolled: 1-line block ×4, first 2 shown]
	ds_read_b32 v10, v14 offset:4608
	v_mov_b32_e32 v1, s21
	v_add_co_u32_e64 v0, s[4:5], s20, v14
	v_addc_co_u32_e64 v1, s[4:5], 0, v1, s[4:5]
	s_and_saveexec_b64 s[4:5], vcc
	s_cbranch_execnz .LBB6243_35
; %bb.25:
	s_or_b64 exec, exec, s[4:5]
	s_and_saveexec_b64 s[4:5], s[0:1]
	s_cbranch_execnz .LBB6243_36
.LBB6243_26:
	s_or_b64 exec, exec, s[4:5]
	s_and_saveexec_b64 s[0:1], s[2:3]
	s_cbranch_execnz .LBB6243_37
.LBB6243_27:
	s_or_b64 exec, exec, s[0:1]
	s_and_saveexec_b64 s[0:1], s[18:19]
	s_cbranch_execnz .LBB6243_38
.LBB6243_28:
	s_or_b64 exec, exec, s[0:1]
	s_and_saveexec_b64 s[0:1], s[6:7]
	s_cbranch_execnz .LBB6243_39
.LBB6243_29:
	s_or_b64 exec, exec, s[0:1]
	s_and_saveexec_b64 s[0:1], s[8:9]
	s_cbranch_execnz .LBB6243_40
.LBB6243_30:
	s_or_b64 exec, exec, s[0:1]
	s_and_saveexec_b64 s[0:1], s[10:11]
	s_cbranch_execnz .LBB6243_41
.LBB6243_31:
	s_or_b64 exec, exec, s[0:1]
	s_and_saveexec_b64 s[0:1], s[12:13]
	s_cbranch_execnz .LBB6243_42
.LBB6243_32:
	s_or_b64 exec, exec, s[0:1]
	s_and_saveexec_b64 s[0:1], s[14:15]
	s_cbranch_execnz .LBB6243_43
.LBB6243_33:
	s_or_b64 exec, exec, s[0:1]
	s_and_saveexec_b64 s[0:1], s[16:17]
	s_cbranch_execnz .LBB6243_44
.LBB6243_34:
	s_endpgm
.LBB6243_35:
	ds_read_b32 v11, v14
	s_waitcnt lgkmcnt(0)
	global_store_dword v[0:1], v11, off
	s_or_b64 exec, exec, s[4:5]
	s_and_saveexec_b64 s[4:5], s[0:1]
	s_cbranch_execz .LBB6243_26
.LBB6243_36:
	s_waitcnt lgkmcnt(4)
	global_store_dword v[0:1], v8, off offset:512
	s_or_b64 exec, exec, s[4:5]
	s_and_saveexec_b64 s[0:1], s[2:3]
	s_cbranch_execz .LBB6243_27
.LBB6243_37:
	s_waitcnt lgkmcnt(4)
	global_store_dword v[0:1], v9, off offset:1024
	s_or_b64 exec, exec, s[0:1]
	s_and_saveexec_b64 s[0:1], s[18:19]
	s_cbranch_execz .LBB6243_28
.LBB6243_38:
	s_waitcnt lgkmcnt(3)
	global_store_dword v[0:1], v6, off offset:1536
	s_or_b64 exec, exec, s[0:1]
	s_and_saveexec_b64 s[0:1], s[6:7]
	s_cbranch_execz .LBB6243_29
.LBB6243_39:
	s_waitcnt lgkmcnt(3)
	global_store_dword v[0:1], v7, off offset:2048
	s_or_b64 exec, exec, s[0:1]
	s_and_saveexec_b64 s[0:1], s[8:9]
	s_cbranch_execz .LBB6243_30
.LBB6243_40:
	s_waitcnt lgkmcnt(2)
	global_store_dword v[0:1], v4, off offset:2560
	s_or_b64 exec, exec, s[0:1]
	s_and_saveexec_b64 s[0:1], s[10:11]
	s_cbranch_execz .LBB6243_31
.LBB6243_41:
	s_waitcnt lgkmcnt(2)
	global_store_dword v[0:1], v5, off offset:3072
	s_or_b64 exec, exec, s[0:1]
	s_and_saveexec_b64 s[0:1], s[12:13]
	s_cbranch_execz .LBB6243_32
.LBB6243_42:
	s_waitcnt lgkmcnt(1)
	global_store_dword v[0:1], v2, off offset:3584
	s_or_b64 exec, exec, s[0:1]
	s_and_saveexec_b64 s[0:1], s[14:15]
	s_cbranch_execz .LBB6243_33
.LBB6243_43:
	s_waitcnt lgkmcnt(2)
	v_add_co_u32_e32 v4, vcc, 0x1000, v0
	v_addc_co_u32_e32 v5, vcc, 0, v1, vcc
	s_waitcnt lgkmcnt(1)
	global_store_dword v[4:5], v3, off
	s_or_b64 exec, exec, s[0:1]
	s_and_saveexec_b64 s[0:1], s[16:17]
	s_cbranch_execz .LBB6243_34
.LBB6243_44:
	v_add_co_u32_e32 v0, vcc, 0x1000, v0
	v_addc_co_u32_e32 v1, vcc, 0, v1, vcc
	s_waitcnt lgkmcnt(0)
	global_store_dword v[0:1], v10, off offset:512
	s_endpgm
	.section	.rodata,"a",@progbits
	.p2align	6, 0x0
	.amdhsa_kernel _ZN7rocprim17ROCPRIM_400000_NS6detail17trampoline_kernelINS0_14default_configENS1_20scan_config_selectorIiEEZZNS1_9scan_implILNS1_25lookback_scan_determinismE0ELb1ELb1ES3_N6thrust23THRUST_200600_302600_NS6detail15normal_iteratorINS9_10device_ptrIjEEEENSB_INSC_IiEEEEiNS9_4plusIvEEiEEDaPvRmT3_T4_T5_mT6_P12ihipStream_tbENKUlT_T0_E_clISt17integral_constantIbLb0EESW_EEDaSR_SS_EUlSR_E0_NS1_11comp_targetILNS1_3genE4ELNS1_11target_archE910ELNS1_3gpuE8ELNS1_3repE0EEENS1_30default_config_static_selectorELNS0_4arch9wavefront6targetE1EEEvT1_
		.amdhsa_group_segment_fixed_size 5120
		.amdhsa_private_segment_fixed_size 0
		.amdhsa_kernarg_size 32
		.amdhsa_user_sgpr_count 6
		.amdhsa_user_sgpr_private_segment_buffer 1
		.amdhsa_user_sgpr_dispatch_ptr 0
		.amdhsa_user_sgpr_queue_ptr 0
		.amdhsa_user_sgpr_kernarg_segment_ptr 1
		.amdhsa_user_sgpr_dispatch_id 0
		.amdhsa_user_sgpr_flat_scratch_init 0
		.amdhsa_user_sgpr_kernarg_preload_length 0
		.amdhsa_user_sgpr_kernarg_preload_offset 0
		.amdhsa_user_sgpr_private_segment_size 0
		.amdhsa_uses_dynamic_stack 0
		.amdhsa_system_sgpr_private_segment_wavefront_offset 0
		.amdhsa_system_sgpr_workgroup_id_x 1
		.amdhsa_system_sgpr_workgroup_id_y 0
		.amdhsa_system_sgpr_workgroup_id_z 0
		.amdhsa_system_sgpr_workgroup_info 0
		.amdhsa_system_vgpr_workitem_id 0
		.amdhsa_next_free_vgpr 18
		.amdhsa_next_free_sgpr 25
		.amdhsa_accum_offset 20
		.amdhsa_reserve_vcc 1
		.amdhsa_reserve_flat_scratch 0
		.amdhsa_float_round_mode_32 0
		.amdhsa_float_round_mode_16_64 0
		.amdhsa_float_denorm_mode_32 3
		.amdhsa_float_denorm_mode_16_64 3
		.amdhsa_dx10_clamp 1
		.amdhsa_ieee_mode 1
		.amdhsa_fp16_overflow 0
		.amdhsa_tg_split 0
		.amdhsa_exception_fp_ieee_invalid_op 0
		.amdhsa_exception_fp_denorm_src 0
		.amdhsa_exception_fp_ieee_div_zero 0
		.amdhsa_exception_fp_ieee_overflow 0
		.amdhsa_exception_fp_ieee_underflow 0
		.amdhsa_exception_fp_ieee_inexact 0
		.amdhsa_exception_int_div_zero 0
	.end_amdhsa_kernel
	.section	.text._ZN7rocprim17ROCPRIM_400000_NS6detail17trampoline_kernelINS0_14default_configENS1_20scan_config_selectorIiEEZZNS1_9scan_implILNS1_25lookback_scan_determinismE0ELb1ELb1ES3_N6thrust23THRUST_200600_302600_NS6detail15normal_iteratorINS9_10device_ptrIjEEEENSB_INSC_IiEEEEiNS9_4plusIvEEiEEDaPvRmT3_T4_T5_mT6_P12ihipStream_tbENKUlT_T0_E_clISt17integral_constantIbLb0EESW_EEDaSR_SS_EUlSR_E0_NS1_11comp_targetILNS1_3genE4ELNS1_11target_archE910ELNS1_3gpuE8ELNS1_3repE0EEENS1_30default_config_static_selectorELNS0_4arch9wavefront6targetE1EEEvT1_,"axG",@progbits,_ZN7rocprim17ROCPRIM_400000_NS6detail17trampoline_kernelINS0_14default_configENS1_20scan_config_selectorIiEEZZNS1_9scan_implILNS1_25lookback_scan_determinismE0ELb1ELb1ES3_N6thrust23THRUST_200600_302600_NS6detail15normal_iteratorINS9_10device_ptrIjEEEENSB_INSC_IiEEEEiNS9_4plusIvEEiEEDaPvRmT3_T4_T5_mT6_P12ihipStream_tbENKUlT_T0_E_clISt17integral_constantIbLb0EESW_EEDaSR_SS_EUlSR_E0_NS1_11comp_targetILNS1_3genE4ELNS1_11target_archE910ELNS1_3gpuE8ELNS1_3repE0EEENS1_30default_config_static_selectorELNS0_4arch9wavefront6targetE1EEEvT1_,comdat
.Lfunc_end6243:
	.size	_ZN7rocprim17ROCPRIM_400000_NS6detail17trampoline_kernelINS0_14default_configENS1_20scan_config_selectorIiEEZZNS1_9scan_implILNS1_25lookback_scan_determinismE0ELb1ELb1ES3_N6thrust23THRUST_200600_302600_NS6detail15normal_iteratorINS9_10device_ptrIjEEEENSB_INSC_IiEEEEiNS9_4plusIvEEiEEDaPvRmT3_T4_T5_mT6_P12ihipStream_tbENKUlT_T0_E_clISt17integral_constantIbLb0EESW_EEDaSR_SS_EUlSR_E0_NS1_11comp_targetILNS1_3genE4ELNS1_11target_archE910ELNS1_3gpuE8ELNS1_3repE0EEENS1_30default_config_static_selectorELNS0_4arch9wavefront6targetE1EEEvT1_, .Lfunc_end6243-_ZN7rocprim17ROCPRIM_400000_NS6detail17trampoline_kernelINS0_14default_configENS1_20scan_config_selectorIiEEZZNS1_9scan_implILNS1_25lookback_scan_determinismE0ELb1ELb1ES3_N6thrust23THRUST_200600_302600_NS6detail15normal_iteratorINS9_10device_ptrIjEEEENSB_INSC_IiEEEEiNS9_4plusIvEEiEEDaPvRmT3_T4_T5_mT6_P12ihipStream_tbENKUlT_T0_E_clISt17integral_constantIbLb0EESW_EEDaSR_SS_EUlSR_E0_NS1_11comp_targetILNS1_3genE4ELNS1_11target_archE910ELNS1_3gpuE8ELNS1_3repE0EEENS1_30default_config_static_selectorELNS0_4arch9wavefront6targetE1EEEvT1_
                                        ; -- End function
	.section	.AMDGPU.csdata,"",@progbits
; Kernel info:
; codeLenInByte = 1536
; NumSgprs: 29
; NumVgprs: 18
; NumAgprs: 0
; TotalNumVgprs: 18
; ScratchSize: 0
; MemoryBound: 0
; FloatMode: 240
; IeeeMode: 1
; LDSByteSize: 5120 bytes/workgroup (compile time only)
; SGPRBlocks: 3
; VGPRBlocks: 2
; NumSGPRsForWavesPerEU: 29
; NumVGPRsForWavesPerEU: 18
; AccumOffset: 20
; Occupancy: 6
; WaveLimiterHint : 0
; COMPUTE_PGM_RSRC2:SCRATCH_EN: 0
; COMPUTE_PGM_RSRC2:USER_SGPR: 6
; COMPUTE_PGM_RSRC2:TRAP_HANDLER: 0
; COMPUTE_PGM_RSRC2:TGID_X_EN: 1
; COMPUTE_PGM_RSRC2:TGID_Y_EN: 0
; COMPUTE_PGM_RSRC2:TGID_Z_EN: 0
; COMPUTE_PGM_RSRC2:TIDIG_COMP_CNT: 0
; COMPUTE_PGM_RSRC3_GFX90A:ACCUM_OFFSET: 4
; COMPUTE_PGM_RSRC3_GFX90A:TG_SPLIT: 0
	.section	.text._ZN7rocprim17ROCPRIM_400000_NS6detail17trampoline_kernelINS0_14default_configENS1_20scan_config_selectorIiEEZZNS1_9scan_implILNS1_25lookback_scan_determinismE0ELb1ELb1ES3_N6thrust23THRUST_200600_302600_NS6detail15normal_iteratorINS9_10device_ptrIjEEEENSB_INSC_IiEEEEiNS9_4plusIvEEiEEDaPvRmT3_T4_T5_mT6_P12ihipStream_tbENKUlT_T0_E_clISt17integral_constantIbLb0EESW_EEDaSR_SS_EUlSR_E0_NS1_11comp_targetILNS1_3genE3ELNS1_11target_archE908ELNS1_3gpuE7ELNS1_3repE0EEENS1_30default_config_static_selectorELNS0_4arch9wavefront6targetE1EEEvT1_,"axG",@progbits,_ZN7rocprim17ROCPRIM_400000_NS6detail17trampoline_kernelINS0_14default_configENS1_20scan_config_selectorIiEEZZNS1_9scan_implILNS1_25lookback_scan_determinismE0ELb1ELb1ES3_N6thrust23THRUST_200600_302600_NS6detail15normal_iteratorINS9_10device_ptrIjEEEENSB_INSC_IiEEEEiNS9_4plusIvEEiEEDaPvRmT3_T4_T5_mT6_P12ihipStream_tbENKUlT_T0_E_clISt17integral_constantIbLb0EESW_EEDaSR_SS_EUlSR_E0_NS1_11comp_targetILNS1_3genE3ELNS1_11target_archE908ELNS1_3gpuE7ELNS1_3repE0EEENS1_30default_config_static_selectorELNS0_4arch9wavefront6targetE1EEEvT1_,comdat
	.protected	_ZN7rocprim17ROCPRIM_400000_NS6detail17trampoline_kernelINS0_14default_configENS1_20scan_config_selectorIiEEZZNS1_9scan_implILNS1_25lookback_scan_determinismE0ELb1ELb1ES3_N6thrust23THRUST_200600_302600_NS6detail15normal_iteratorINS9_10device_ptrIjEEEENSB_INSC_IiEEEEiNS9_4plusIvEEiEEDaPvRmT3_T4_T5_mT6_P12ihipStream_tbENKUlT_T0_E_clISt17integral_constantIbLb0EESW_EEDaSR_SS_EUlSR_E0_NS1_11comp_targetILNS1_3genE3ELNS1_11target_archE908ELNS1_3gpuE7ELNS1_3repE0EEENS1_30default_config_static_selectorELNS0_4arch9wavefront6targetE1EEEvT1_ ; -- Begin function _ZN7rocprim17ROCPRIM_400000_NS6detail17trampoline_kernelINS0_14default_configENS1_20scan_config_selectorIiEEZZNS1_9scan_implILNS1_25lookback_scan_determinismE0ELb1ELb1ES3_N6thrust23THRUST_200600_302600_NS6detail15normal_iteratorINS9_10device_ptrIjEEEENSB_INSC_IiEEEEiNS9_4plusIvEEiEEDaPvRmT3_T4_T5_mT6_P12ihipStream_tbENKUlT_T0_E_clISt17integral_constantIbLb0EESW_EEDaSR_SS_EUlSR_E0_NS1_11comp_targetILNS1_3genE3ELNS1_11target_archE908ELNS1_3gpuE7ELNS1_3repE0EEENS1_30default_config_static_selectorELNS0_4arch9wavefront6targetE1EEEvT1_
	.globl	_ZN7rocprim17ROCPRIM_400000_NS6detail17trampoline_kernelINS0_14default_configENS1_20scan_config_selectorIiEEZZNS1_9scan_implILNS1_25lookback_scan_determinismE0ELb1ELb1ES3_N6thrust23THRUST_200600_302600_NS6detail15normal_iteratorINS9_10device_ptrIjEEEENSB_INSC_IiEEEEiNS9_4plusIvEEiEEDaPvRmT3_T4_T5_mT6_P12ihipStream_tbENKUlT_T0_E_clISt17integral_constantIbLb0EESW_EEDaSR_SS_EUlSR_E0_NS1_11comp_targetILNS1_3genE3ELNS1_11target_archE908ELNS1_3gpuE7ELNS1_3repE0EEENS1_30default_config_static_selectorELNS0_4arch9wavefront6targetE1EEEvT1_
	.p2align	8
	.type	_ZN7rocprim17ROCPRIM_400000_NS6detail17trampoline_kernelINS0_14default_configENS1_20scan_config_selectorIiEEZZNS1_9scan_implILNS1_25lookback_scan_determinismE0ELb1ELb1ES3_N6thrust23THRUST_200600_302600_NS6detail15normal_iteratorINS9_10device_ptrIjEEEENSB_INSC_IiEEEEiNS9_4plusIvEEiEEDaPvRmT3_T4_T5_mT6_P12ihipStream_tbENKUlT_T0_E_clISt17integral_constantIbLb0EESW_EEDaSR_SS_EUlSR_E0_NS1_11comp_targetILNS1_3genE3ELNS1_11target_archE908ELNS1_3gpuE7ELNS1_3repE0EEENS1_30default_config_static_selectorELNS0_4arch9wavefront6targetE1EEEvT1_,@function
_ZN7rocprim17ROCPRIM_400000_NS6detail17trampoline_kernelINS0_14default_configENS1_20scan_config_selectorIiEEZZNS1_9scan_implILNS1_25lookback_scan_determinismE0ELb1ELb1ES3_N6thrust23THRUST_200600_302600_NS6detail15normal_iteratorINS9_10device_ptrIjEEEENSB_INSC_IiEEEEiNS9_4plusIvEEiEEDaPvRmT3_T4_T5_mT6_P12ihipStream_tbENKUlT_T0_E_clISt17integral_constantIbLb0EESW_EEDaSR_SS_EUlSR_E0_NS1_11comp_targetILNS1_3genE3ELNS1_11target_archE908ELNS1_3gpuE7ELNS1_3repE0EEENS1_30default_config_static_selectorELNS0_4arch9wavefront6targetE1EEEvT1_: ; @_ZN7rocprim17ROCPRIM_400000_NS6detail17trampoline_kernelINS0_14default_configENS1_20scan_config_selectorIiEEZZNS1_9scan_implILNS1_25lookback_scan_determinismE0ELb1ELb1ES3_N6thrust23THRUST_200600_302600_NS6detail15normal_iteratorINS9_10device_ptrIjEEEENSB_INSC_IiEEEEiNS9_4plusIvEEiEEDaPvRmT3_T4_T5_mT6_P12ihipStream_tbENKUlT_T0_E_clISt17integral_constantIbLb0EESW_EEDaSR_SS_EUlSR_E0_NS1_11comp_targetILNS1_3genE3ELNS1_11target_archE908ELNS1_3gpuE7ELNS1_3repE0EEENS1_30default_config_static_selectorELNS0_4arch9wavefront6targetE1EEEvT1_
; %bb.0:
	.section	.rodata,"a",@progbits
	.p2align	6, 0x0
	.amdhsa_kernel _ZN7rocprim17ROCPRIM_400000_NS6detail17trampoline_kernelINS0_14default_configENS1_20scan_config_selectorIiEEZZNS1_9scan_implILNS1_25lookback_scan_determinismE0ELb1ELb1ES3_N6thrust23THRUST_200600_302600_NS6detail15normal_iteratorINS9_10device_ptrIjEEEENSB_INSC_IiEEEEiNS9_4plusIvEEiEEDaPvRmT3_T4_T5_mT6_P12ihipStream_tbENKUlT_T0_E_clISt17integral_constantIbLb0EESW_EEDaSR_SS_EUlSR_E0_NS1_11comp_targetILNS1_3genE3ELNS1_11target_archE908ELNS1_3gpuE7ELNS1_3repE0EEENS1_30default_config_static_selectorELNS0_4arch9wavefront6targetE1EEEvT1_
		.amdhsa_group_segment_fixed_size 0
		.amdhsa_private_segment_fixed_size 0
		.amdhsa_kernarg_size 32
		.amdhsa_user_sgpr_count 6
		.amdhsa_user_sgpr_private_segment_buffer 1
		.amdhsa_user_sgpr_dispatch_ptr 0
		.amdhsa_user_sgpr_queue_ptr 0
		.amdhsa_user_sgpr_kernarg_segment_ptr 1
		.amdhsa_user_sgpr_dispatch_id 0
		.amdhsa_user_sgpr_flat_scratch_init 0
		.amdhsa_user_sgpr_kernarg_preload_length 0
		.amdhsa_user_sgpr_kernarg_preload_offset 0
		.amdhsa_user_sgpr_private_segment_size 0
		.amdhsa_uses_dynamic_stack 0
		.amdhsa_system_sgpr_private_segment_wavefront_offset 0
		.amdhsa_system_sgpr_workgroup_id_x 1
		.amdhsa_system_sgpr_workgroup_id_y 0
		.amdhsa_system_sgpr_workgroup_id_z 0
		.amdhsa_system_sgpr_workgroup_info 0
		.amdhsa_system_vgpr_workitem_id 0
		.amdhsa_next_free_vgpr 1
		.amdhsa_next_free_sgpr 0
		.amdhsa_accum_offset 4
		.amdhsa_reserve_vcc 0
		.amdhsa_reserve_flat_scratch 0
		.amdhsa_float_round_mode_32 0
		.amdhsa_float_round_mode_16_64 0
		.amdhsa_float_denorm_mode_32 3
		.amdhsa_float_denorm_mode_16_64 3
		.amdhsa_dx10_clamp 1
		.amdhsa_ieee_mode 1
		.amdhsa_fp16_overflow 0
		.amdhsa_tg_split 0
		.amdhsa_exception_fp_ieee_invalid_op 0
		.amdhsa_exception_fp_denorm_src 0
		.amdhsa_exception_fp_ieee_div_zero 0
		.amdhsa_exception_fp_ieee_overflow 0
		.amdhsa_exception_fp_ieee_underflow 0
		.amdhsa_exception_fp_ieee_inexact 0
		.amdhsa_exception_int_div_zero 0
	.end_amdhsa_kernel
	.section	.text._ZN7rocprim17ROCPRIM_400000_NS6detail17trampoline_kernelINS0_14default_configENS1_20scan_config_selectorIiEEZZNS1_9scan_implILNS1_25lookback_scan_determinismE0ELb1ELb1ES3_N6thrust23THRUST_200600_302600_NS6detail15normal_iteratorINS9_10device_ptrIjEEEENSB_INSC_IiEEEEiNS9_4plusIvEEiEEDaPvRmT3_T4_T5_mT6_P12ihipStream_tbENKUlT_T0_E_clISt17integral_constantIbLb0EESW_EEDaSR_SS_EUlSR_E0_NS1_11comp_targetILNS1_3genE3ELNS1_11target_archE908ELNS1_3gpuE7ELNS1_3repE0EEENS1_30default_config_static_selectorELNS0_4arch9wavefront6targetE1EEEvT1_,"axG",@progbits,_ZN7rocprim17ROCPRIM_400000_NS6detail17trampoline_kernelINS0_14default_configENS1_20scan_config_selectorIiEEZZNS1_9scan_implILNS1_25lookback_scan_determinismE0ELb1ELb1ES3_N6thrust23THRUST_200600_302600_NS6detail15normal_iteratorINS9_10device_ptrIjEEEENSB_INSC_IiEEEEiNS9_4plusIvEEiEEDaPvRmT3_T4_T5_mT6_P12ihipStream_tbENKUlT_T0_E_clISt17integral_constantIbLb0EESW_EEDaSR_SS_EUlSR_E0_NS1_11comp_targetILNS1_3genE3ELNS1_11target_archE908ELNS1_3gpuE7ELNS1_3repE0EEENS1_30default_config_static_selectorELNS0_4arch9wavefront6targetE1EEEvT1_,comdat
.Lfunc_end6244:
	.size	_ZN7rocprim17ROCPRIM_400000_NS6detail17trampoline_kernelINS0_14default_configENS1_20scan_config_selectorIiEEZZNS1_9scan_implILNS1_25lookback_scan_determinismE0ELb1ELb1ES3_N6thrust23THRUST_200600_302600_NS6detail15normal_iteratorINS9_10device_ptrIjEEEENSB_INSC_IiEEEEiNS9_4plusIvEEiEEDaPvRmT3_T4_T5_mT6_P12ihipStream_tbENKUlT_T0_E_clISt17integral_constantIbLb0EESW_EEDaSR_SS_EUlSR_E0_NS1_11comp_targetILNS1_3genE3ELNS1_11target_archE908ELNS1_3gpuE7ELNS1_3repE0EEENS1_30default_config_static_selectorELNS0_4arch9wavefront6targetE1EEEvT1_, .Lfunc_end6244-_ZN7rocprim17ROCPRIM_400000_NS6detail17trampoline_kernelINS0_14default_configENS1_20scan_config_selectorIiEEZZNS1_9scan_implILNS1_25lookback_scan_determinismE0ELb1ELb1ES3_N6thrust23THRUST_200600_302600_NS6detail15normal_iteratorINS9_10device_ptrIjEEEENSB_INSC_IiEEEEiNS9_4plusIvEEiEEDaPvRmT3_T4_T5_mT6_P12ihipStream_tbENKUlT_T0_E_clISt17integral_constantIbLb0EESW_EEDaSR_SS_EUlSR_E0_NS1_11comp_targetILNS1_3genE3ELNS1_11target_archE908ELNS1_3gpuE7ELNS1_3repE0EEENS1_30default_config_static_selectorELNS0_4arch9wavefront6targetE1EEEvT1_
                                        ; -- End function
	.section	.AMDGPU.csdata,"",@progbits
; Kernel info:
; codeLenInByte = 0
; NumSgprs: 4
; NumVgprs: 0
; NumAgprs: 0
; TotalNumVgprs: 0
; ScratchSize: 0
; MemoryBound: 0
; FloatMode: 240
; IeeeMode: 1
; LDSByteSize: 0 bytes/workgroup (compile time only)
; SGPRBlocks: 0
; VGPRBlocks: 0
; NumSGPRsForWavesPerEU: 4
; NumVGPRsForWavesPerEU: 1
; AccumOffset: 4
; Occupancy: 8
; WaveLimiterHint : 0
; COMPUTE_PGM_RSRC2:SCRATCH_EN: 0
; COMPUTE_PGM_RSRC2:USER_SGPR: 6
; COMPUTE_PGM_RSRC2:TRAP_HANDLER: 0
; COMPUTE_PGM_RSRC2:TGID_X_EN: 1
; COMPUTE_PGM_RSRC2:TGID_Y_EN: 0
; COMPUTE_PGM_RSRC2:TGID_Z_EN: 0
; COMPUTE_PGM_RSRC2:TIDIG_COMP_CNT: 0
; COMPUTE_PGM_RSRC3_GFX90A:ACCUM_OFFSET: 0
; COMPUTE_PGM_RSRC3_GFX90A:TG_SPLIT: 0
	.section	.text._ZN7rocprim17ROCPRIM_400000_NS6detail17trampoline_kernelINS0_14default_configENS1_20scan_config_selectorIiEEZZNS1_9scan_implILNS1_25lookback_scan_determinismE0ELb1ELb1ES3_N6thrust23THRUST_200600_302600_NS6detail15normal_iteratorINS9_10device_ptrIjEEEENSB_INSC_IiEEEEiNS9_4plusIvEEiEEDaPvRmT3_T4_T5_mT6_P12ihipStream_tbENKUlT_T0_E_clISt17integral_constantIbLb0EESW_EEDaSR_SS_EUlSR_E0_NS1_11comp_targetILNS1_3genE2ELNS1_11target_archE906ELNS1_3gpuE6ELNS1_3repE0EEENS1_30default_config_static_selectorELNS0_4arch9wavefront6targetE1EEEvT1_,"axG",@progbits,_ZN7rocprim17ROCPRIM_400000_NS6detail17trampoline_kernelINS0_14default_configENS1_20scan_config_selectorIiEEZZNS1_9scan_implILNS1_25lookback_scan_determinismE0ELb1ELb1ES3_N6thrust23THRUST_200600_302600_NS6detail15normal_iteratorINS9_10device_ptrIjEEEENSB_INSC_IiEEEEiNS9_4plusIvEEiEEDaPvRmT3_T4_T5_mT6_P12ihipStream_tbENKUlT_T0_E_clISt17integral_constantIbLb0EESW_EEDaSR_SS_EUlSR_E0_NS1_11comp_targetILNS1_3genE2ELNS1_11target_archE906ELNS1_3gpuE6ELNS1_3repE0EEENS1_30default_config_static_selectorELNS0_4arch9wavefront6targetE1EEEvT1_,comdat
	.protected	_ZN7rocprim17ROCPRIM_400000_NS6detail17trampoline_kernelINS0_14default_configENS1_20scan_config_selectorIiEEZZNS1_9scan_implILNS1_25lookback_scan_determinismE0ELb1ELb1ES3_N6thrust23THRUST_200600_302600_NS6detail15normal_iteratorINS9_10device_ptrIjEEEENSB_INSC_IiEEEEiNS9_4plusIvEEiEEDaPvRmT3_T4_T5_mT6_P12ihipStream_tbENKUlT_T0_E_clISt17integral_constantIbLb0EESW_EEDaSR_SS_EUlSR_E0_NS1_11comp_targetILNS1_3genE2ELNS1_11target_archE906ELNS1_3gpuE6ELNS1_3repE0EEENS1_30default_config_static_selectorELNS0_4arch9wavefront6targetE1EEEvT1_ ; -- Begin function _ZN7rocprim17ROCPRIM_400000_NS6detail17trampoline_kernelINS0_14default_configENS1_20scan_config_selectorIiEEZZNS1_9scan_implILNS1_25lookback_scan_determinismE0ELb1ELb1ES3_N6thrust23THRUST_200600_302600_NS6detail15normal_iteratorINS9_10device_ptrIjEEEENSB_INSC_IiEEEEiNS9_4plusIvEEiEEDaPvRmT3_T4_T5_mT6_P12ihipStream_tbENKUlT_T0_E_clISt17integral_constantIbLb0EESW_EEDaSR_SS_EUlSR_E0_NS1_11comp_targetILNS1_3genE2ELNS1_11target_archE906ELNS1_3gpuE6ELNS1_3repE0EEENS1_30default_config_static_selectorELNS0_4arch9wavefront6targetE1EEEvT1_
	.globl	_ZN7rocprim17ROCPRIM_400000_NS6detail17trampoline_kernelINS0_14default_configENS1_20scan_config_selectorIiEEZZNS1_9scan_implILNS1_25lookback_scan_determinismE0ELb1ELb1ES3_N6thrust23THRUST_200600_302600_NS6detail15normal_iteratorINS9_10device_ptrIjEEEENSB_INSC_IiEEEEiNS9_4plusIvEEiEEDaPvRmT3_T4_T5_mT6_P12ihipStream_tbENKUlT_T0_E_clISt17integral_constantIbLb0EESW_EEDaSR_SS_EUlSR_E0_NS1_11comp_targetILNS1_3genE2ELNS1_11target_archE906ELNS1_3gpuE6ELNS1_3repE0EEENS1_30default_config_static_selectorELNS0_4arch9wavefront6targetE1EEEvT1_
	.p2align	8
	.type	_ZN7rocprim17ROCPRIM_400000_NS6detail17trampoline_kernelINS0_14default_configENS1_20scan_config_selectorIiEEZZNS1_9scan_implILNS1_25lookback_scan_determinismE0ELb1ELb1ES3_N6thrust23THRUST_200600_302600_NS6detail15normal_iteratorINS9_10device_ptrIjEEEENSB_INSC_IiEEEEiNS9_4plusIvEEiEEDaPvRmT3_T4_T5_mT6_P12ihipStream_tbENKUlT_T0_E_clISt17integral_constantIbLb0EESW_EEDaSR_SS_EUlSR_E0_NS1_11comp_targetILNS1_3genE2ELNS1_11target_archE906ELNS1_3gpuE6ELNS1_3repE0EEENS1_30default_config_static_selectorELNS0_4arch9wavefront6targetE1EEEvT1_,@function
_ZN7rocprim17ROCPRIM_400000_NS6detail17trampoline_kernelINS0_14default_configENS1_20scan_config_selectorIiEEZZNS1_9scan_implILNS1_25lookback_scan_determinismE0ELb1ELb1ES3_N6thrust23THRUST_200600_302600_NS6detail15normal_iteratorINS9_10device_ptrIjEEEENSB_INSC_IiEEEEiNS9_4plusIvEEiEEDaPvRmT3_T4_T5_mT6_P12ihipStream_tbENKUlT_T0_E_clISt17integral_constantIbLb0EESW_EEDaSR_SS_EUlSR_E0_NS1_11comp_targetILNS1_3genE2ELNS1_11target_archE906ELNS1_3gpuE6ELNS1_3repE0EEENS1_30default_config_static_selectorELNS0_4arch9wavefront6targetE1EEEvT1_: ; @_ZN7rocprim17ROCPRIM_400000_NS6detail17trampoline_kernelINS0_14default_configENS1_20scan_config_selectorIiEEZZNS1_9scan_implILNS1_25lookback_scan_determinismE0ELb1ELb1ES3_N6thrust23THRUST_200600_302600_NS6detail15normal_iteratorINS9_10device_ptrIjEEEENSB_INSC_IiEEEEiNS9_4plusIvEEiEEDaPvRmT3_T4_T5_mT6_P12ihipStream_tbENKUlT_T0_E_clISt17integral_constantIbLb0EESW_EEDaSR_SS_EUlSR_E0_NS1_11comp_targetILNS1_3genE2ELNS1_11target_archE906ELNS1_3gpuE6ELNS1_3repE0EEENS1_30default_config_static_selectorELNS0_4arch9wavefront6targetE1EEEvT1_
; %bb.0:
	.section	.rodata,"a",@progbits
	.p2align	6, 0x0
	.amdhsa_kernel _ZN7rocprim17ROCPRIM_400000_NS6detail17trampoline_kernelINS0_14default_configENS1_20scan_config_selectorIiEEZZNS1_9scan_implILNS1_25lookback_scan_determinismE0ELb1ELb1ES3_N6thrust23THRUST_200600_302600_NS6detail15normal_iteratorINS9_10device_ptrIjEEEENSB_INSC_IiEEEEiNS9_4plusIvEEiEEDaPvRmT3_T4_T5_mT6_P12ihipStream_tbENKUlT_T0_E_clISt17integral_constantIbLb0EESW_EEDaSR_SS_EUlSR_E0_NS1_11comp_targetILNS1_3genE2ELNS1_11target_archE906ELNS1_3gpuE6ELNS1_3repE0EEENS1_30default_config_static_selectorELNS0_4arch9wavefront6targetE1EEEvT1_
		.amdhsa_group_segment_fixed_size 0
		.amdhsa_private_segment_fixed_size 0
		.amdhsa_kernarg_size 32
		.amdhsa_user_sgpr_count 6
		.amdhsa_user_sgpr_private_segment_buffer 1
		.amdhsa_user_sgpr_dispatch_ptr 0
		.amdhsa_user_sgpr_queue_ptr 0
		.amdhsa_user_sgpr_kernarg_segment_ptr 1
		.amdhsa_user_sgpr_dispatch_id 0
		.amdhsa_user_sgpr_flat_scratch_init 0
		.amdhsa_user_sgpr_kernarg_preload_length 0
		.amdhsa_user_sgpr_kernarg_preload_offset 0
		.amdhsa_user_sgpr_private_segment_size 0
		.amdhsa_uses_dynamic_stack 0
		.amdhsa_system_sgpr_private_segment_wavefront_offset 0
		.amdhsa_system_sgpr_workgroup_id_x 1
		.amdhsa_system_sgpr_workgroup_id_y 0
		.amdhsa_system_sgpr_workgroup_id_z 0
		.amdhsa_system_sgpr_workgroup_info 0
		.amdhsa_system_vgpr_workitem_id 0
		.amdhsa_next_free_vgpr 1
		.amdhsa_next_free_sgpr 0
		.amdhsa_accum_offset 4
		.amdhsa_reserve_vcc 0
		.amdhsa_reserve_flat_scratch 0
		.amdhsa_float_round_mode_32 0
		.amdhsa_float_round_mode_16_64 0
		.amdhsa_float_denorm_mode_32 3
		.amdhsa_float_denorm_mode_16_64 3
		.amdhsa_dx10_clamp 1
		.amdhsa_ieee_mode 1
		.amdhsa_fp16_overflow 0
		.amdhsa_tg_split 0
		.amdhsa_exception_fp_ieee_invalid_op 0
		.amdhsa_exception_fp_denorm_src 0
		.amdhsa_exception_fp_ieee_div_zero 0
		.amdhsa_exception_fp_ieee_overflow 0
		.amdhsa_exception_fp_ieee_underflow 0
		.amdhsa_exception_fp_ieee_inexact 0
		.amdhsa_exception_int_div_zero 0
	.end_amdhsa_kernel
	.section	.text._ZN7rocprim17ROCPRIM_400000_NS6detail17trampoline_kernelINS0_14default_configENS1_20scan_config_selectorIiEEZZNS1_9scan_implILNS1_25lookback_scan_determinismE0ELb1ELb1ES3_N6thrust23THRUST_200600_302600_NS6detail15normal_iteratorINS9_10device_ptrIjEEEENSB_INSC_IiEEEEiNS9_4plusIvEEiEEDaPvRmT3_T4_T5_mT6_P12ihipStream_tbENKUlT_T0_E_clISt17integral_constantIbLb0EESW_EEDaSR_SS_EUlSR_E0_NS1_11comp_targetILNS1_3genE2ELNS1_11target_archE906ELNS1_3gpuE6ELNS1_3repE0EEENS1_30default_config_static_selectorELNS0_4arch9wavefront6targetE1EEEvT1_,"axG",@progbits,_ZN7rocprim17ROCPRIM_400000_NS6detail17trampoline_kernelINS0_14default_configENS1_20scan_config_selectorIiEEZZNS1_9scan_implILNS1_25lookback_scan_determinismE0ELb1ELb1ES3_N6thrust23THRUST_200600_302600_NS6detail15normal_iteratorINS9_10device_ptrIjEEEENSB_INSC_IiEEEEiNS9_4plusIvEEiEEDaPvRmT3_T4_T5_mT6_P12ihipStream_tbENKUlT_T0_E_clISt17integral_constantIbLb0EESW_EEDaSR_SS_EUlSR_E0_NS1_11comp_targetILNS1_3genE2ELNS1_11target_archE906ELNS1_3gpuE6ELNS1_3repE0EEENS1_30default_config_static_selectorELNS0_4arch9wavefront6targetE1EEEvT1_,comdat
.Lfunc_end6245:
	.size	_ZN7rocprim17ROCPRIM_400000_NS6detail17trampoline_kernelINS0_14default_configENS1_20scan_config_selectorIiEEZZNS1_9scan_implILNS1_25lookback_scan_determinismE0ELb1ELb1ES3_N6thrust23THRUST_200600_302600_NS6detail15normal_iteratorINS9_10device_ptrIjEEEENSB_INSC_IiEEEEiNS9_4plusIvEEiEEDaPvRmT3_T4_T5_mT6_P12ihipStream_tbENKUlT_T0_E_clISt17integral_constantIbLb0EESW_EEDaSR_SS_EUlSR_E0_NS1_11comp_targetILNS1_3genE2ELNS1_11target_archE906ELNS1_3gpuE6ELNS1_3repE0EEENS1_30default_config_static_selectorELNS0_4arch9wavefront6targetE1EEEvT1_, .Lfunc_end6245-_ZN7rocprim17ROCPRIM_400000_NS6detail17trampoline_kernelINS0_14default_configENS1_20scan_config_selectorIiEEZZNS1_9scan_implILNS1_25lookback_scan_determinismE0ELb1ELb1ES3_N6thrust23THRUST_200600_302600_NS6detail15normal_iteratorINS9_10device_ptrIjEEEENSB_INSC_IiEEEEiNS9_4plusIvEEiEEDaPvRmT3_T4_T5_mT6_P12ihipStream_tbENKUlT_T0_E_clISt17integral_constantIbLb0EESW_EEDaSR_SS_EUlSR_E0_NS1_11comp_targetILNS1_3genE2ELNS1_11target_archE906ELNS1_3gpuE6ELNS1_3repE0EEENS1_30default_config_static_selectorELNS0_4arch9wavefront6targetE1EEEvT1_
                                        ; -- End function
	.section	.AMDGPU.csdata,"",@progbits
; Kernel info:
; codeLenInByte = 0
; NumSgprs: 4
; NumVgprs: 0
; NumAgprs: 0
; TotalNumVgprs: 0
; ScratchSize: 0
; MemoryBound: 0
; FloatMode: 240
; IeeeMode: 1
; LDSByteSize: 0 bytes/workgroup (compile time only)
; SGPRBlocks: 0
; VGPRBlocks: 0
; NumSGPRsForWavesPerEU: 4
; NumVGPRsForWavesPerEU: 1
; AccumOffset: 4
; Occupancy: 8
; WaveLimiterHint : 0
; COMPUTE_PGM_RSRC2:SCRATCH_EN: 0
; COMPUTE_PGM_RSRC2:USER_SGPR: 6
; COMPUTE_PGM_RSRC2:TRAP_HANDLER: 0
; COMPUTE_PGM_RSRC2:TGID_X_EN: 1
; COMPUTE_PGM_RSRC2:TGID_Y_EN: 0
; COMPUTE_PGM_RSRC2:TGID_Z_EN: 0
; COMPUTE_PGM_RSRC2:TIDIG_COMP_CNT: 0
; COMPUTE_PGM_RSRC3_GFX90A:ACCUM_OFFSET: 0
; COMPUTE_PGM_RSRC3_GFX90A:TG_SPLIT: 0
	.section	.text._ZN7rocprim17ROCPRIM_400000_NS6detail17trampoline_kernelINS0_14default_configENS1_20scan_config_selectorIiEEZZNS1_9scan_implILNS1_25lookback_scan_determinismE0ELb1ELb1ES3_N6thrust23THRUST_200600_302600_NS6detail15normal_iteratorINS9_10device_ptrIjEEEENSB_INSC_IiEEEEiNS9_4plusIvEEiEEDaPvRmT3_T4_T5_mT6_P12ihipStream_tbENKUlT_T0_E_clISt17integral_constantIbLb0EESW_EEDaSR_SS_EUlSR_E0_NS1_11comp_targetILNS1_3genE10ELNS1_11target_archE1201ELNS1_3gpuE5ELNS1_3repE0EEENS1_30default_config_static_selectorELNS0_4arch9wavefront6targetE1EEEvT1_,"axG",@progbits,_ZN7rocprim17ROCPRIM_400000_NS6detail17trampoline_kernelINS0_14default_configENS1_20scan_config_selectorIiEEZZNS1_9scan_implILNS1_25lookback_scan_determinismE0ELb1ELb1ES3_N6thrust23THRUST_200600_302600_NS6detail15normal_iteratorINS9_10device_ptrIjEEEENSB_INSC_IiEEEEiNS9_4plusIvEEiEEDaPvRmT3_T4_T5_mT6_P12ihipStream_tbENKUlT_T0_E_clISt17integral_constantIbLb0EESW_EEDaSR_SS_EUlSR_E0_NS1_11comp_targetILNS1_3genE10ELNS1_11target_archE1201ELNS1_3gpuE5ELNS1_3repE0EEENS1_30default_config_static_selectorELNS0_4arch9wavefront6targetE1EEEvT1_,comdat
	.protected	_ZN7rocprim17ROCPRIM_400000_NS6detail17trampoline_kernelINS0_14default_configENS1_20scan_config_selectorIiEEZZNS1_9scan_implILNS1_25lookback_scan_determinismE0ELb1ELb1ES3_N6thrust23THRUST_200600_302600_NS6detail15normal_iteratorINS9_10device_ptrIjEEEENSB_INSC_IiEEEEiNS9_4plusIvEEiEEDaPvRmT3_T4_T5_mT6_P12ihipStream_tbENKUlT_T0_E_clISt17integral_constantIbLb0EESW_EEDaSR_SS_EUlSR_E0_NS1_11comp_targetILNS1_3genE10ELNS1_11target_archE1201ELNS1_3gpuE5ELNS1_3repE0EEENS1_30default_config_static_selectorELNS0_4arch9wavefront6targetE1EEEvT1_ ; -- Begin function _ZN7rocprim17ROCPRIM_400000_NS6detail17trampoline_kernelINS0_14default_configENS1_20scan_config_selectorIiEEZZNS1_9scan_implILNS1_25lookback_scan_determinismE0ELb1ELb1ES3_N6thrust23THRUST_200600_302600_NS6detail15normal_iteratorINS9_10device_ptrIjEEEENSB_INSC_IiEEEEiNS9_4plusIvEEiEEDaPvRmT3_T4_T5_mT6_P12ihipStream_tbENKUlT_T0_E_clISt17integral_constantIbLb0EESW_EEDaSR_SS_EUlSR_E0_NS1_11comp_targetILNS1_3genE10ELNS1_11target_archE1201ELNS1_3gpuE5ELNS1_3repE0EEENS1_30default_config_static_selectorELNS0_4arch9wavefront6targetE1EEEvT1_
	.globl	_ZN7rocprim17ROCPRIM_400000_NS6detail17trampoline_kernelINS0_14default_configENS1_20scan_config_selectorIiEEZZNS1_9scan_implILNS1_25lookback_scan_determinismE0ELb1ELb1ES3_N6thrust23THRUST_200600_302600_NS6detail15normal_iteratorINS9_10device_ptrIjEEEENSB_INSC_IiEEEEiNS9_4plusIvEEiEEDaPvRmT3_T4_T5_mT6_P12ihipStream_tbENKUlT_T0_E_clISt17integral_constantIbLb0EESW_EEDaSR_SS_EUlSR_E0_NS1_11comp_targetILNS1_3genE10ELNS1_11target_archE1201ELNS1_3gpuE5ELNS1_3repE0EEENS1_30default_config_static_selectorELNS0_4arch9wavefront6targetE1EEEvT1_
	.p2align	8
	.type	_ZN7rocprim17ROCPRIM_400000_NS6detail17trampoline_kernelINS0_14default_configENS1_20scan_config_selectorIiEEZZNS1_9scan_implILNS1_25lookback_scan_determinismE0ELb1ELb1ES3_N6thrust23THRUST_200600_302600_NS6detail15normal_iteratorINS9_10device_ptrIjEEEENSB_INSC_IiEEEEiNS9_4plusIvEEiEEDaPvRmT3_T4_T5_mT6_P12ihipStream_tbENKUlT_T0_E_clISt17integral_constantIbLb0EESW_EEDaSR_SS_EUlSR_E0_NS1_11comp_targetILNS1_3genE10ELNS1_11target_archE1201ELNS1_3gpuE5ELNS1_3repE0EEENS1_30default_config_static_selectorELNS0_4arch9wavefront6targetE1EEEvT1_,@function
_ZN7rocprim17ROCPRIM_400000_NS6detail17trampoline_kernelINS0_14default_configENS1_20scan_config_selectorIiEEZZNS1_9scan_implILNS1_25lookback_scan_determinismE0ELb1ELb1ES3_N6thrust23THRUST_200600_302600_NS6detail15normal_iteratorINS9_10device_ptrIjEEEENSB_INSC_IiEEEEiNS9_4plusIvEEiEEDaPvRmT3_T4_T5_mT6_P12ihipStream_tbENKUlT_T0_E_clISt17integral_constantIbLb0EESW_EEDaSR_SS_EUlSR_E0_NS1_11comp_targetILNS1_3genE10ELNS1_11target_archE1201ELNS1_3gpuE5ELNS1_3repE0EEENS1_30default_config_static_selectorELNS0_4arch9wavefront6targetE1EEEvT1_: ; @_ZN7rocprim17ROCPRIM_400000_NS6detail17trampoline_kernelINS0_14default_configENS1_20scan_config_selectorIiEEZZNS1_9scan_implILNS1_25lookback_scan_determinismE0ELb1ELb1ES3_N6thrust23THRUST_200600_302600_NS6detail15normal_iteratorINS9_10device_ptrIjEEEENSB_INSC_IiEEEEiNS9_4plusIvEEiEEDaPvRmT3_T4_T5_mT6_P12ihipStream_tbENKUlT_T0_E_clISt17integral_constantIbLb0EESW_EEDaSR_SS_EUlSR_E0_NS1_11comp_targetILNS1_3genE10ELNS1_11target_archE1201ELNS1_3gpuE5ELNS1_3repE0EEENS1_30default_config_static_selectorELNS0_4arch9wavefront6targetE1EEEvT1_
; %bb.0:
	.section	.rodata,"a",@progbits
	.p2align	6, 0x0
	.amdhsa_kernel _ZN7rocprim17ROCPRIM_400000_NS6detail17trampoline_kernelINS0_14default_configENS1_20scan_config_selectorIiEEZZNS1_9scan_implILNS1_25lookback_scan_determinismE0ELb1ELb1ES3_N6thrust23THRUST_200600_302600_NS6detail15normal_iteratorINS9_10device_ptrIjEEEENSB_INSC_IiEEEEiNS9_4plusIvEEiEEDaPvRmT3_T4_T5_mT6_P12ihipStream_tbENKUlT_T0_E_clISt17integral_constantIbLb0EESW_EEDaSR_SS_EUlSR_E0_NS1_11comp_targetILNS1_3genE10ELNS1_11target_archE1201ELNS1_3gpuE5ELNS1_3repE0EEENS1_30default_config_static_selectorELNS0_4arch9wavefront6targetE1EEEvT1_
		.amdhsa_group_segment_fixed_size 0
		.amdhsa_private_segment_fixed_size 0
		.amdhsa_kernarg_size 32
		.amdhsa_user_sgpr_count 6
		.amdhsa_user_sgpr_private_segment_buffer 1
		.amdhsa_user_sgpr_dispatch_ptr 0
		.amdhsa_user_sgpr_queue_ptr 0
		.amdhsa_user_sgpr_kernarg_segment_ptr 1
		.amdhsa_user_sgpr_dispatch_id 0
		.amdhsa_user_sgpr_flat_scratch_init 0
		.amdhsa_user_sgpr_kernarg_preload_length 0
		.amdhsa_user_sgpr_kernarg_preload_offset 0
		.amdhsa_user_sgpr_private_segment_size 0
		.amdhsa_uses_dynamic_stack 0
		.amdhsa_system_sgpr_private_segment_wavefront_offset 0
		.amdhsa_system_sgpr_workgroup_id_x 1
		.amdhsa_system_sgpr_workgroup_id_y 0
		.amdhsa_system_sgpr_workgroup_id_z 0
		.amdhsa_system_sgpr_workgroup_info 0
		.amdhsa_system_vgpr_workitem_id 0
		.amdhsa_next_free_vgpr 1
		.amdhsa_next_free_sgpr 0
		.amdhsa_accum_offset 4
		.amdhsa_reserve_vcc 0
		.amdhsa_reserve_flat_scratch 0
		.amdhsa_float_round_mode_32 0
		.amdhsa_float_round_mode_16_64 0
		.amdhsa_float_denorm_mode_32 3
		.amdhsa_float_denorm_mode_16_64 3
		.amdhsa_dx10_clamp 1
		.amdhsa_ieee_mode 1
		.amdhsa_fp16_overflow 0
		.amdhsa_tg_split 0
		.amdhsa_exception_fp_ieee_invalid_op 0
		.amdhsa_exception_fp_denorm_src 0
		.amdhsa_exception_fp_ieee_div_zero 0
		.amdhsa_exception_fp_ieee_overflow 0
		.amdhsa_exception_fp_ieee_underflow 0
		.amdhsa_exception_fp_ieee_inexact 0
		.amdhsa_exception_int_div_zero 0
	.end_amdhsa_kernel
	.section	.text._ZN7rocprim17ROCPRIM_400000_NS6detail17trampoline_kernelINS0_14default_configENS1_20scan_config_selectorIiEEZZNS1_9scan_implILNS1_25lookback_scan_determinismE0ELb1ELb1ES3_N6thrust23THRUST_200600_302600_NS6detail15normal_iteratorINS9_10device_ptrIjEEEENSB_INSC_IiEEEEiNS9_4plusIvEEiEEDaPvRmT3_T4_T5_mT6_P12ihipStream_tbENKUlT_T0_E_clISt17integral_constantIbLb0EESW_EEDaSR_SS_EUlSR_E0_NS1_11comp_targetILNS1_3genE10ELNS1_11target_archE1201ELNS1_3gpuE5ELNS1_3repE0EEENS1_30default_config_static_selectorELNS0_4arch9wavefront6targetE1EEEvT1_,"axG",@progbits,_ZN7rocprim17ROCPRIM_400000_NS6detail17trampoline_kernelINS0_14default_configENS1_20scan_config_selectorIiEEZZNS1_9scan_implILNS1_25lookback_scan_determinismE0ELb1ELb1ES3_N6thrust23THRUST_200600_302600_NS6detail15normal_iteratorINS9_10device_ptrIjEEEENSB_INSC_IiEEEEiNS9_4plusIvEEiEEDaPvRmT3_T4_T5_mT6_P12ihipStream_tbENKUlT_T0_E_clISt17integral_constantIbLb0EESW_EEDaSR_SS_EUlSR_E0_NS1_11comp_targetILNS1_3genE10ELNS1_11target_archE1201ELNS1_3gpuE5ELNS1_3repE0EEENS1_30default_config_static_selectorELNS0_4arch9wavefront6targetE1EEEvT1_,comdat
.Lfunc_end6246:
	.size	_ZN7rocprim17ROCPRIM_400000_NS6detail17trampoline_kernelINS0_14default_configENS1_20scan_config_selectorIiEEZZNS1_9scan_implILNS1_25lookback_scan_determinismE0ELb1ELb1ES3_N6thrust23THRUST_200600_302600_NS6detail15normal_iteratorINS9_10device_ptrIjEEEENSB_INSC_IiEEEEiNS9_4plusIvEEiEEDaPvRmT3_T4_T5_mT6_P12ihipStream_tbENKUlT_T0_E_clISt17integral_constantIbLb0EESW_EEDaSR_SS_EUlSR_E0_NS1_11comp_targetILNS1_3genE10ELNS1_11target_archE1201ELNS1_3gpuE5ELNS1_3repE0EEENS1_30default_config_static_selectorELNS0_4arch9wavefront6targetE1EEEvT1_, .Lfunc_end6246-_ZN7rocprim17ROCPRIM_400000_NS6detail17trampoline_kernelINS0_14default_configENS1_20scan_config_selectorIiEEZZNS1_9scan_implILNS1_25lookback_scan_determinismE0ELb1ELb1ES3_N6thrust23THRUST_200600_302600_NS6detail15normal_iteratorINS9_10device_ptrIjEEEENSB_INSC_IiEEEEiNS9_4plusIvEEiEEDaPvRmT3_T4_T5_mT6_P12ihipStream_tbENKUlT_T0_E_clISt17integral_constantIbLb0EESW_EEDaSR_SS_EUlSR_E0_NS1_11comp_targetILNS1_3genE10ELNS1_11target_archE1201ELNS1_3gpuE5ELNS1_3repE0EEENS1_30default_config_static_selectorELNS0_4arch9wavefront6targetE1EEEvT1_
                                        ; -- End function
	.section	.AMDGPU.csdata,"",@progbits
; Kernel info:
; codeLenInByte = 0
; NumSgprs: 4
; NumVgprs: 0
; NumAgprs: 0
; TotalNumVgprs: 0
; ScratchSize: 0
; MemoryBound: 0
; FloatMode: 240
; IeeeMode: 1
; LDSByteSize: 0 bytes/workgroup (compile time only)
; SGPRBlocks: 0
; VGPRBlocks: 0
; NumSGPRsForWavesPerEU: 4
; NumVGPRsForWavesPerEU: 1
; AccumOffset: 4
; Occupancy: 8
; WaveLimiterHint : 0
; COMPUTE_PGM_RSRC2:SCRATCH_EN: 0
; COMPUTE_PGM_RSRC2:USER_SGPR: 6
; COMPUTE_PGM_RSRC2:TRAP_HANDLER: 0
; COMPUTE_PGM_RSRC2:TGID_X_EN: 1
; COMPUTE_PGM_RSRC2:TGID_Y_EN: 0
; COMPUTE_PGM_RSRC2:TGID_Z_EN: 0
; COMPUTE_PGM_RSRC2:TIDIG_COMP_CNT: 0
; COMPUTE_PGM_RSRC3_GFX90A:ACCUM_OFFSET: 0
; COMPUTE_PGM_RSRC3_GFX90A:TG_SPLIT: 0
	.section	.text._ZN7rocprim17ROCPRIM_400000_NS6detail17trampoline_kernelINS0_14default_configENS1_20scan_config_selectorIiEEZZNS1_9scan_implILNS1_25lookback_scan_determinismE0ELb1ELb1ES3_N6thrust23THRUST_200600_302600_NS6detail15normal_iteratorINS9_10device_ptrIjEEEENSB_INSC_IiEEEEiNS9_4plusIvEEiEEDaPvRmT3_T4_T5_mT6_P12ihipStream_tbENKUlT_T0_E_clISt17integral_constantIbLb0EESW_EEDaSR_SS_EUlSR_E0_NS1_11comp_targetILNS1_3genE10ELNS1_11target_archE1200ELNS1_3gpuE4ELNS1_3repE0EEENS1_30default_config_static_selectorELNS0_4arch9wavefront6targetE1EEEvT1_,"axG",@progbits,_ZN7rocprim17ROCPRIM_400000_NS6detail17trampoline_kernelINS0_14default_configENS1_20scan_config_selectorIiEEZZNS1_9scan_implILNS1_25lookback_scan_determinismE0ELb1ELb1ES3_N6thrust23THRUST_200600_302600_NS6detail15normal_iteratorINS9_10device_ptrIjEEEENSB_INSC_IiEEEEiNS9_4plusIvEEiEEDaPvRmT3_T4_T5_mT6_P12ihipStream_tbENKUlT_T0_E_clISt17integral_constantIbLb0EESW_EEDaSR_SS_EUlSR_E0_NS1_11comp_targetILNS1_3genE10ELNS1_11target_archE1200ELNS1_3gpuE4ELNS1_3repE0EEENS1_30default_config_static_selectorELNS0_4arch9wavefront6targetE1EEEvT1_,comdat
	.protected	_ZN7rocprim17ROCPRIM_400000_NS6detail17trampoline_kernelINS0_14default_configENS1_20scan_config_selectorIiEEZZNS1_9scan_implILNS1_25lookback_scan_determinismE0ELb1ELb1ES3_N6thrust23THRUST_200600_302600_NS6detail15normal_iteratorINS9_10device_ptrIjEEEENSB_INSC_IiEEEEiNS9_4plusIvEEiEEDaPvRmT3_T4_T5_mT6_P12ihipStream_tbENKUlT_T0_E_clISt17integral_constantIbLb0EESW_EEDaSR_SS_EUlSR_E0_NS1_11comp_targetILNS1_3genE10ELNS1_11target_archE1200ELNS1_3gpuE4ELNS1_3repE0EEENS1_30default_config_static_selectorELNS0_4arch9wavefront6targetE1EEEvT1_ ; -- Begin function _ZN7rocprim17ROCPRIM_400000_NS6detail17trampoline_kernelINS0_14default_configENS1_20scan_config_selectorIiEEZZNS1_9scan_implILNS1_25lookback_scan_determinismE0ELb1ELb1ES3_N6thrust23THRUST_200600_302600_NS6detail15normal_iteratorINS9_10device_ptrIjEEEENSB_INSC_IiEEEEiNS9_4plusIvEEiEEDaPvRmT3_T4_T5_mT6_P12ihipStream_tbENKUlT_T0_E_clISt17integral_constantIbLb0EESW_EEDaSR_SS_EUlSR_E0_NS1_11comp_targetILNS1_3genE10ELNS1_11target_archE1200ELNS1_3gpuE4ELNS1_3repE0EEENS1_30default_config_static_selectorELNS0_4arch9wavefront6targetE1EEEvT1_
	.globl	_ZN7rocprim17ROCPRIM_400000_NS6detail17trampoline_kernelINS0_14default_configENS1_20scan_config_selectorIiEEZZNS1_9scan_implILNS1_25lookback_scan_determinismE0ELb1ELb1ES3_N6thrust23THRUST_200600_302600_NS6detail15normal_iteratorINS9_10device_ptrIjEEEENSB_INSC_IiEEEEiNS9_4plusIvEEiEEDaPvRmT3_T4_T5_mT6_P12ihipStream_tbENKUlT_T0_E_clISt17integral_constantIbLb0EESW_EEDaSR_SS_EUlSR_E0_NS1_11comp_targetILNS1_3genE10ELNS1_11target_archE1200ELNS1_3gpuE4ELNS1_3repE0EEENS1_30default_config_static_selectorELNS0_4arch9wavefront6targetE1EEEvT1_
	.p2align	8
	.type	_ZN7rocprim17ROCPRIM_400000_NS6detail17trampoline_kernelINS0_14default_configENS1_20scan_config_selectorIiEEZZNS1_9scan_implILNS1_25lookback_scan_determinismE0ELb1ELb1ES3_N6thrust23THRUST_200600_302600_NS6detail15normal_iteratorINS9_10device_ptrIjEEEENSB_INSC_IiEEEEiNS9_4plusIvEEiEEDaPvRmT3_T4_T5_mT6_P12ihipStream_tbENKUlT_T0_E_clISt17integral_constantIbLb0EESW_EEDaSR_SS_EUlSR_E0_NS1_11comp_targetILNS1_3genE10ELNS1_11target_archE1200ELNS1_3gpuE4ELNS1_3repE0EEENS1_30default_config_static_selectorELNS0_4arch9wavefront6targetE1EEEvT1_,@function
_ZN7rocprim17ROCPRIM_400000_NS6detail17trampoline_kernelINS0_14default_configENS1_20scan_config_selectorIiEEZZNS1_9scan_implILNS1_25lookback_scan_determinismE0ELb1ELb1ES3_N6thrust23THRUST_200600_302600_NS6detail15normal_iteratorINS9_10device_ptrIjEEEENSB_INSC_IiEEEEiNS9_4plusIvEEiEEDaPvRmT3_T4_T5_mT6_P12ihipStream_tbENKUlT_T0_E_clISt17integral_constantIbLb0EESW_EEDaSR_SS_EUlSR_E0_NS1_11comp_targetILNS1_3genE10ELNS1_11target_archE1200ELNS1_3gpuE4ELNS1_3repE0EEENS1_30default_config_static_selectorELNS0_4arch9wavefront6targetE1EEEvT1_: ; @_ZN7rocprim17ROCPRIM_400000_NS6detail17trampoline_kernelINS0_14default_configENS1_20scan_config_selectorIiEEZZNS1_9scan_implILNS1_25lookback_scan_determinismE0ELb1ELb1ES3_N6thrust23THRUST_200600_302600_NS6detail15normal_iteratorINS9_10device_ptrIjEEEENSB_INSC_IiEEEEiNS9_4plusIvEEiEEDaPvRmT3_T4_T5_mT6_P12ihipStream_tbENKUlT_T0_E_clISt17integral_constantIbLb0EESW_EEDaSR_SS_EUlSR_E0_NS1_11comp_targetILNS1_3genE10ELNS1_11target_archE1200ELNS1_3gpuE4ELNS1_3repE0EEENS1_30default_config_static_selectorELNS0_4arch9wavefront6targetE1EEEvT1_
; %bb.0:
	.section	.rodata,"a",@progbits
	.p2align	6, 0x0
	.amdhsa_kernel _ZN7rocprim17ROCPRIM_400000_NS6detail17trampoline_kernelINS0_14default_configENS1_20scan_config_selectorIiEEZZNS1_9scan_implILNS1_25lookback_scan_determinismE0ELb1ELb1ES3_N6thrust23THRUST_200600_302600_NS6detail15normal_iteratorINS9_10device_ptrIjEEEENSB_INSC_IiEEEEiNS9_4plusIvEEiEEDaPvRmT3_T4_T5_mT6_P12ihipStream_tbENKUlT_T0_E_clISt17integral_constantIbLb0EESW_EEDaSR_SS_EUlSR_E0_NS1_11comp_targetILNS1_3genE10ELNS1_11target_archE1200ELNS1_3gpuE4ELNS1_3repE0EEENS1_30default_config_static_selectorELNS0_4arch9wavefront6targetE1EEEvT1_
		.amdhsa_group_segment_fixed_size 0
		.amdhsa_private_segment_fixed_size 0
		.amdhsa_kernarg_size 32
		.amdhsa_user_sgpr_count 6
		.amdhsa_user_sgpr_private_segment_buffer 1
		.amdhsa_user_sgpr_dispatch_ptr 0
		.amdhsa_user_sgpr_queue_ptr 0
		.amdhsa_user_sgpr_kernarg_segment_ptr 1
		.amdhsa_user_sgpr_dispatch_id 0
		.amdhsa_user_sgpr_flat_scratch_init 0
		.amdhsa_user_sgpr_kernarg_preload_length 0
		.amdhsa_user_sgpr_kernarg_preload_offset 0
		.amdhsa_user_sgpr_private_segment_size 0
		.amdhsa_uses_dynamic_stack 0
		.amdhsa_system_sgpr_private_segment_wavefront_offset 0
		.amdhsa_system_sgpr_workgroup_id_x 1
		.amdhsa_system_sgpr_workgroup_id_y 0
		.amdhsa_system_sgpr_workgroup_id_z 0
		.amdhsa_system_sgpr_workgroup_info 0
		.amdhsa_system_vgpr_workitem_id 0
		.amdhsa_next_free_vgpr 1
		.amdhsa_next_free_sgpr 0
		.amdhsa_accum_offset 4
		.amdhsa_reserve_vcc 0
		.amdhsa_reserve_flat_scratch 0
		.amdhsa_float_round_mode_32 0
		.amdhsa_float_round_mode_16_64 0
		.amdhsa_float_denorm_mode_32 3
		.amdhsa_float_denorm_mode_16_64 3
		.amdhsa_dx10_clamp 1
		.amdhsa_ieee_mode 1
		.amdhsa_fp16_overflow 0
		.amdhsa_tg_split 0
		.amdhsa_exception_fp_ieee_invalid_op 0
		.amdhsa_exception_fp_denorm_src 0
		.amdhsa_exception_fp_ieee_div_zero 0
		.amdhsa_exception_fp_ieee_overflow 0
		.amdhsa_exception_fp_ieee_underflow 0
		.amdhsa_exception_fp_ieee_inexact 0
		.amdhsa_exception_int_div_zero 0
	.end_amdhsa_kernel
	.section	.text._ZN7rocprim17ROCPRIM_400000_NS6detail17trampoline_kernelINS0_14default_configENS1_20scan_config_selectorIiEEZZNS1_9scan_implILNS1_25lookback_scan_determinismE0ELb1ELb1ES3_N6thrust23THRUST_200600_302600_NS6detail15normal_iteratorINS9_10device_ptrIjEEEENSB_INSC_IiEEEEiNS9_4plusIvEEiEEDaPvRmT3_T4_T5_mT6_P12ihipStream_tbENKUlT_T0_E_clISt17integral_constantIbLb0EESW_EEDaSR_SS_EUlSR_E0_NS1_11comp_targetILNS1_3genE10ELNS1_11target_archE1200ELNS1_3gpuE4ELNS1_3repE0EEENS1_30default_config_static_selectorELNS0_4arch9wavefront6targetE1EEEvT1_,"axG",@progbits,_ZN7rocprim17ROCPRIM_400000_NS6detail17trampoline_kernelINS0_14default_configENS1_20scan_config_selectorIiEEZZNS1_9scan_implILNS1_25lookback_scan_determinismE0ELb1ELb1ES3_N6thrust23THRUST_200600_302600_NS6detail15normal_iteratorINS9_10device_ptrIjEEEENSB_INSC_IiEEEEiNS9_4plusIvEEiEEDaPvRmT3_T4_T5_mT6_P12ihipStream_tbENKUlT_T0_E_clISt17integral_constantIbLb0EESW_EEDaSR_SS_EUlSR_E0_NS1_11comp_targetILNS1_3genE10ELNS1_11target_archE1200ELNS1_3gpuE4ELNS1_3repE0EEENS1_30default_config_static_selectorELNS0_4arch9wavefront6targetE1EEEvT1_,comdat
.Lfunc_end6247:
	.size	_ZN7rocprim17ROCPRIM_400000_NS6detail17trampoline_kernelINS0_14default_configENS1_20scan_config_selectorIiEEZZNS1_9scan_implILNS1_25lookback_scan_determinismE0ELb1ELb1ES3_N6thrust23THRUST_200600_302600_NS6detail15normal_iteratorINS9_10device_ptrIjEEEENSB_INSC_IiEEEEiNS9_4plusIvEEiEEDaPvRmT3_T4_T5_mT6_P12ihipStream_tbENKUlT_T0_E_clISt17integral_constantIbLb0EESW_EEDaSR_SS_EUlSR_E0_NS1_11comp_targetILNS1_3genE10ELNS1_11target_archE1200ELNS1_3gpuE4ELNS1_3repE0EEENS1_30default_config_static_selectorELNS0_4arch9wavefront6targetE1EEEvT1_, .Lfunc_end6247-_ZN7rocprim17ROCPRIM_400000_NS6detail17trampoline_kernelINS0_14default_configENS1_20scan_config_selectorIiEEZZNS1_9scan_implILNS1_25lookback_scan_determinismE0ELb1ELb1ES3_N6thrust23THRUST_200600_302600_NS6detail15normal_iteratorINS9_10device_ptrIjEEEENSB_INSC_IiEEEEiNS9_4plusIvEEiEEDaPvRmT3_T4_T5_mT6_P12ihipStream_tbENKUlT_T0_E_clISt17integral_constantIbLb0EESW_EEDaSR_SS_EUlSR_E0_NS1_11comp_targetILNS1_3genE10ELNS1_11target_archE1200ELNS1_3gpuE4ELNS1_3repE0EEENS1_30default_config_static_selectorELNS0_4arch9wavefront6targetE1EEEvT1_
                                        ; -- End function
	.section	.AMDGPU.csdata,"",@progbits
; Kernel info:
; codeLenInByte = 0
; NumSgprs: 4
; NumVgprs: 0
; NumAgprs: 0
; TotalNumVgprs: 0
; ScratchSize: 0
; MemoryBound: 0
; FloatMode: 240
; IeeeMode: 1
; LDSByteSize: 0 bytes/workgroup (compile time only)
; SGPRBlocks: 0
; VGPRBlocks: 0
; NumSGPRsForWavesPerEU: 4
; NumVGPRsForWavesPerEU: 1
; AccumOffset: 4
; Occupancy: 8
; WaveLimiterHint : 0
; COMPUTE_PGM_RSRC2:SCRATCH_EN: 0
; COMPUTE_PGM_RSRC2:USER_SGPR: 6
; COMPUTE_PGM_RSRC2:TRAP_HANDLER: 0
; COMPUTE_PGM_RSRC2:TGID_X_EN: 1
; COMPUTE_PGM_RSRC2:TGID_Y_EN: 0
; COMPUTE_PGM_RSRC2:TGID_Z_EN: 0
; COMPUTE_PGM_RSRC2:TIDIG_COMP_CNT: 0
; COMPUTE_PGM_RSRC3_GFX90A:ACCUM_OFFSET: 0
; COMPUTE_PGM_RSRC3_GFX90A:TG_SPLIT: 0
	.section	.text._ZN7rocprim17ROCPRIM_400000_NS6detail17trampoline_kernelINS0_14default_configENS1_20scan_config_selectorIiEEZZNS1_9scan_implILNS1_25lookback_scan_determinismE0ELb1ELb1ES3_N6thrust23THRUST_200600_302600_NS6detail15normal_iteratorINS9_10device_ptrIjEEEENSB_INSC_IiEEEEiNS9_4plusIvEEiEEDaPvRmT3_T4_T5_mT6_P12ihipStream_tbENKUlT_T0_E_clISt17integral_constantIbLb0EESW_EEDaSR_SS_EUlSR_E0_NS1_11comp_targetILNS1_3genE9ELNS1_11target_archE1100ELNS1_3gpuE3ELNS1_3repE0EEENS1_30default_config_static_selectorELNS0_4arch9wavefront6targetE1EEEvT1_,"axG",@progbits,_ZN7rocprim17ROCPRIM_400000_NS6detail17trampoline_kernelINS0_14default_configENS1_20scan_config_selectorIiEEZZNS1_9scan_implILNS1_25lookback_scan_determinismE0ELb1ELb1ES3_N6thrust23THRUST_200600_302600_NS6detail15normal_iteratorINS9_10device_ptrIjEEEENSB_INSC_IiEEEEiNS9_4plusIvEEiEEDaPvRmT3_T4_T5_mT6_P12ihipStream_tbENKUlT_T0_E_clISt17integral_constantIbLb0EESW_EEDaSR_SS_EUlSR_E0_NS1_11comp_targetILNS1_3genE9ELNS1_11target_archE1100ELNS1_3gpuE3ELNS1_3repE0EEENS1_30default_config_static_selectorELNS0_4arch9wavefront6targetE1EEEvT1_,comdat
	.protected	_ZN7rocprim17ROCPRIM_400000_NS6detail17trampoline_kernelINS0_14default_configENS1_20scan_config_selectorIiEEZZNS1_9scan_implILNS1_25lookback_scan_determinismE0ELb1ELb1ES3_N6thrust23THRUST_200600_302600_NS6detail15normal_iteratorINS9_10device_ptrIjEEEENSB_INSC_IiEEEEiNS9_4plusIvEEiEEDaPvRmT3_T4_T5_mT6_P12ihipStream_tbENKUlT_T0_E_clISt17integral_constantIbLb0EESW_EEDaSR_SS_EUlSR_E0_NS1_11comp_targetILNS1_3genE9ELNS1_11target_archE1100ELNS1_3gpuE3ELNS1_3repE0EEENS1_30default_config_static_selectorELNS0_4arch9wavefront6targetE1EEEvT1_ ; -- Begin function _ZN7rocprim17ROCPRIM_400000_NS6detail17trampoline_kernelINS0_14default_configENS1_20scan_config_selectorIiEEZZNS1_9scan_implILNS1_25lookback_scan_determinismE0ELb1ELb1ES3_N6thrust23THRUST_200600_302600_NS6detail15normal_iteratorINS9_10device_ptrIjEEEENSB_INSC_IiEEEEiNS9_4plusIvEEiEEDaPvRmT3_T4_T5_mT6_P12ihipStream_tbENKUlT_T0_E_clISt17integral_constantIbLb0EESW_EEDaSR_SS_EUlSR_E0_NS1_11comp_targetILNS1_3genE9ELNS1_11target_archE1100ELNS1_3gpuE3ELNS1_3repE0EEENS1_30default_config_static_selectorELNS0_4arch9wavefront6targetE1EEEvT1_
	.globl	_ZN7rocprim17ROCPRIM_400000_NS6detail17trampoline_kernelINS0_14default_configENS1_20scan_config_selectorIiEEZZNS1_9scan_implILNS1_25lookback_scan_determinismE0ELb1ELb1ES3_N6thrust23THRUST_200600_302600_NS6detail15normal_iteratorINS9_10device_ptrIjEEEENSB_INSC_IiEEEEiNS9_4plusIvEEiEEDaPvRmT3_T4_T5_mT6_P12ihipStream_tbENKUlT_T0_E_clISt17integral_constantIbLb0EESW_EEDaSR_SS_EUlSR_E0_NS1_11comp_targetILNS1_3genE9ELNS1_11target_archE1100ELNS1_3gpuE3ELNS1_3repE0EEENS1_30default_config_static_selectorELNS0_4arch9wavefront6targetE1EEEvT1_
	.p2align	8
	.type	_ZN7rocprim17ROCPRIM_400000_NS6detail17trampoline_kernelINS0_14default_configENS1_20scan_config_selectorIiEEZZNS1_9scan_implILNS1_25lookback_scan_determinismE0ELb1ELb1ES3_N6thrust23THRUST_200600_302600_NS6detail15normal_iteratorINS9_10device_ptrIjEEEENSB_INSC_IiEEEEiNS9_4plusIvEEiEEDaPvRmT3_T4_T5_mT6_P12ihipStream_tbENKUlT_T0_E_clISt17integral_constantIbLb0EESW_EEDaSR_SS_EUlSR_E0_NS1_11comp_targetILNS1_3genE9ELNS1_11target_archE1100ELNS1_3gpuE3ELNS1_3repE0EEENS1_30default_config_static_selectorELNS0_4arch9wavefront6targetE1EEEvT1_,@function
_ZN7rocprim17ROCPRIM_400000_NS6detail17trampoline_kernelINS0_14default_configENS1_20scan_config_selectorIiEEZZNS1_9scan_implILNS1_25lookback_scan_determinismE0ELb1ELb1ES3_N6thrust23THRUST_200600_302600_NS6detail15normal_iteratorINS9_10device_ptrIjEEEENSB_INSC_IiEEEEiNS9_4plusIvEEiEEDaPvRmT3_T4_T5_mT6_P12ihipStream_tbENKUlT_T0_E_clISt17integral_constantIbLb0EESW_EEDaSR_SS_EUlSR_E0_NS1_11comp_targetILNS1_3genE9ELNS1_11target_archE1100ELNS1_3gpuE3ELNS1_3repE0EEENS1_30default_config_static_selectorELNS0_4arch9wavefront6targetE1EEEvT1_: ; @_ZN7rocprim17ROCPRIM_400000_NS6detail17trampoline_kernelINS0_14default_configENS1_20scan_config_selectorIiEEZZNS1_9scan_implILNS1_25lookback_scan_determinismE0ELb1ELb1ES3_N6thrust23THRUST_200600_302600_NS6detail15normal_iteratorINS9_10device_ptrIjEEEENSB_INSC_IiEEEEiNS9_4plusIvEEiEEDaPvRmT3_T4_T5_mT6_P12ihipStream_tbENKUlT_T0_E_clISt17integral_constantIbLb0EESW_EEDaSR_SS_EUlSR_E0_NS1_11comp_targetILNS1_3genE9ELNS1_11target_archE1100ELNS1_3gpuE3ELNS1_3repE0EEENS1_30default_config_static_selectorELNS0_4arch9wavefront6targetE1EEEvT1_
; %bb.0:
	.section	.rodata,"a",@progbits
	.p2align	6, 0x0
	.amdhsa_kernel _ZN7rocprim17ROCPRIM_400000_NS6detail17trampoline_kernelINS0_14default_configENS1_20scan_config_selectorIiEEZZNS1_9scan_implILNS1_25lookback_scan_determinismE0ELb1ELb1ES3_N6thrust23THRUST_200600_302600_NS6detail15normal_iteratorINS9_10device_ptrIjEEEENSB_INSC_IiEEEEiNS9_4plusIvEEiEEDaPvRmT3_T4_T5_mT6_P12ihipStream_tbENKUlT_T0_E_clISt17integral_constantIbLb0EESW_EEDaSR_SS_EUlSR_E0_NS1_11comp_targetILNS1_3genE9ELNS1_11target_archE1100ELNS1_3gpuE3ELNS1_3repE0EEENS1_30default_config_static_selectorELNS0_4arch9wavefront6targetE1EEEvT1_
		.amdhsa_group_segment_fixed_size 0
		.amdhsa_private_segment_fixed_size 0
		.amdhsa_kernarg_size 32
		.amdhsa_user_sgpr_count 6
		.amdhsa_user_sgpr_private_segment_buffer 1
		.amdhsa_user_sgpr_dispatch_ptr 0
		.amdhsa_user_sgpr_queue_ptr 0
		.amdhsa_user_sgpr_kernarg_segment_ptr 1
		.amdhsa_user_sgpr_dispatch_id 0
		.amdhsa_user_sgpr_flat_scratch_init 0
		.amdhsa_user_sgpr_kernarg_preload_length 0
		.amdhsa_user_sgpr_kernarg_preload_offset 0
		.amdhsa_user_sgpr_private_segment_size 0
		.amdhsa_uses_dynamic_stack 0
		.amdhsa_system_sgpr_private_segment_wavefront_offset 0
		.amdhsa_system_sgpr_workgroup_id_x 1
		.amdhsa_system_sgpr_workgroup_id_y 0
		.amdhsa_system_sgpr_workgroup_id_z 0
		.amdhsa_system_sgpr_workgroup_info 0
		.amdhsa_system_vgpr_workitem_id 0
		.amdhsa_next_free_vgpr 1
		.amdhsa_next_free_sgpr 0
		.amdhsa_accum_offset 4
		.amdhsa_reserve_vcc 0
		.amdhsa_reserve_flat_scratch 0
		.amdhsa_float_round_mode_32 0
		.amdhsa_float_round_mode_16_64 0
		.amdhsa_float_denorm_mode_32 3
		.amdhsa_float_denorm_mode_16_64 3
		.amdhsa_dx10_clamp 1
		.amdhsa_ieee_mode 1
		.amdhsa_fp16_overflow 0
		.amdhsa_tg_split 0
		.amdhsa_exception_fp_ieee_invalid_op 0
		.amdhsa_exception_fp_denorm_src 0
		.amdhsa_exception_fp_ieee_div_zero 0
		.amdhsa_exception_fp_ieee_overflow 0
		.amdhsa_exception_fp_ieee_underflow 0
		.amdhsa_exception_fp_ieee_inexact 0
		.amdhsa_exception_int_div_zero 0
	.end_amdhsa_kernel
	.section	.text._ZN7rocprim17ROCPRIM_400000_NS6detail17trampoline_kernelINS0_14default_configENS1_20scan_config_selectorIiEEZZNS1_9scan_implILNS1_25lookback_scan_determinismE0ELb1ELb1ES3_N6thrust23THRUST_200600_302600_NS6detail15normal_iteratorINS9_10device_ptrIjEEEENSB_INSC_IiEEEEiNS9_4plusIvEEiEEDaPvRmT3_T4_T5_mT6_P12ihipStream_tbENKUlT_T0_E_clISt17integral_constantIbLb0EESW_EEDaSR_SS_EUlSR_E0_NS1_11comp_targetILNS1_3genE9ELNS1_11target_archE1100ELNS1_3gpuE3ELNS1_3repE0EEENS1_30default_config_static_selectorELNS0_4arch9wavefront6targetE1EEEvT1_,"axG",@progbits,_ZN7rocprim17ROCPRIM_400000_NS6detail17trampoline_kernelINS0_14default_configENS1_20scan_config_selectorIiEEZZNS1_9scan_implILNS1_25lookback_scan_determinismE0ELb1ELb1ES3_N6thrust23THRUST_200600_302600_NS6detail15normal_iteratorINS9_10device_ptrIjEEEENSB_INSC_IiEEEEiNS9_4plusIvEEiEEDaPvRmT3_T4_T5_mT6_P12ihipStream_tbENKUlT_T0_E_clISt17integral_constantIbLb0EESW_EEDaSR_SS_EUlSR_E0_NS1_11comp_targetILNS1_3genE9ELNS1_11target_archE1100ELNS1_3gpuE3ELNS1_3repE0EEENS1_30default_config_static_selectorELNS0_4arch9wavefront6targetE1EEEvT1_,comdat
.Lfunc_end6248:
	.size	_ZN7rocprim17ROCPRIM_400000_NS6detail17trampoline_kernelINS0_14default_configENS1_20scan_config_selectorIiEEZZNS1_9scan_implILNS1_25lookback_scan_determinismE0ELb1ELb1ES3_N6thrust23THRUST_200600_302600_NS6detail15normal_iteratorINS9_10device_ptrIjEEEENSB_INSC_IiEEEEiNS9_4plusIvEEiEEDaPvRmT3_T4_T5_mT6_P12ihipStream_tbENKUlT_T0_E_clISt17integral_constantIbLb0EESW_EEDaSR_SS_EUlSR_E0_NS1_11comp_targetILNS1_3genE9ELNS1_11target_archE1100ELNS1_3gpuE3ELNS1_3repE0EEENS1_30default_config_static_selectorELNS0_4arch9wavefront6targetE1EEEvT1_, .Lfunc_end6248-_ZN7rocprim17ROCPRIM_400000_NS6detail17trampoline_kernelINS0_14default_configENS1_20scan_config_selectorIiEEZZNS1_9scan_implILNS1_25lookback_scan_determinismE0ELb1ELb1ES3_N6thrust23THRUST_200600_302600_NS6detail15normal_iteratorINS9_10device_ptrIjEEEENSB_INSC_IiEEEEiNS9_4plusIvEEiEEDaPvRmT3_T4_T5_mT6_P12ihipStream_tbENKUlT_T0_E_clISt17integral_constantIbLb0EESW_EEDaSR_SS_EUlSR_E0_NS1_11comp_targetILNS1_3genE9ELNS1_11target_archE1100ELNS1_3gpuE3ELNS1_3repE0EEENS1_30default_config_static_selectorELNS0_4arch9wavefront6targetE1EEEvT1_
                                        ; -- End function
	.section	.AMDGPU.csdata,"",@progbits
; Kernel info:
; codeLenInByte = 0
; NumSgprs: 4
; NumVgprs: 0
; NumAgprs: 0
; TotalNumVgprs: 0
; ScratchSize: 0
; MemoryBound: 0
; FloatMode: 240
; IeeeMode: 1
; LDSByteSize: 0 bytes/workgroup (compile time only)
; SGPRBlocks: 0
; VGPRBlocks: 0
; NumSGPRsForWavesPerEU: 4
; NumVGPRsForWavesPerEU: 1
; AccumOffset: 4
; Occupancy: 8
; WaveLimiterHint : 0
; COMPUTE_PGM_RSRC2:SCRATCH_EN: 0
; COMPUTE_PGM_RSRC2:USER_SGPR: 6
; COMPUTE_PGM_RSRC2:TRAP_HANDLER: 0
; COMPUTE_PGM_RSRC2:TGID_X_EN: 1
; COMPUTE_PGM_RSRC2:TGID_Y_EN: 0
; COMPUTE_PGM_RSRC2:TGID_Z_EN: 0
; COMPUTE_PGM_RSRC2:TIDIG_COMP_CNT: 0
; COMPUTE_PGM_RSRC3_GFX90A:ACCUM_OFFSET: 0
; COMPUTE_PGM_RSRC3_GFX90A:TG_SPLIT: 0
	.section	.text._ZN7rocprim17ROCPRIM_400000_NS6detail17trampoline_kernelINS0_14default_configENS1_20scan_config_selectorIiEEZZNS1_9scan_implILNS1_25lookback_scan_determinismE0ELb1ELb1ES3_N6thrust23THRUST_200600_302600_NS6detail15normal_iteratorINS9_10device_ptrIjEEEENSB_INSC_IiEEEEiNS9_4plusIvEEiEEDaPvRmT3_T4_T5_mT6_P12ihipStream_tbENKUlT_T0_E_clISt17integral_constantIbLb0EESW_EEDaSR_SS_EUlSR_E0_NS1_11comp_targetILNS1_3genE8ELNS1_11target_archE1030ELNS1_3gpuE2ELNS1_3repE0EEENS1_30default_config_static_selectorELNS0_4arch9wavefront6targetE1EEEvT1_,"axG",@progbits,_ZN7rocprim17ROCPRIM_400000_NS6detail17trampoline_kernelINS0_14default_configENS1_20scan_config_selectorIiEEZZNS1_9scan_implILNS1_25lookback_scan_determinismE0ELb1ELb1ES3_N6thrust23THRUST_200600_302600_NS6detail15normal_iteratorINS9_10device_ptrIjEEEENSB_INSC_IiEEEEiNS9_4plusIvEEiEEDaPvRmT3_T4_T5_mT6_P12ihipStream_tbENKUlT_T0_E_clISt17integral_constantIbLb0EESW_EEDaSR_SS_EUlSR_E0_NS1_11comp_targetILNS1_3genE8ELNS1_11target_archE1030ELNS1_3gpuE2ELNS1_3repE0EEENS1_30default_config_static_selectorELNS0_4arch9wavefront6targetE1EEEvT1_,comdat
	.protected	_ZN7rocprim17ROCPRIM_400000_NS6detail17trampoline_kernelINS0_14default_configENS1_20scan_config_selectorIiEEZZNS1_9scan_implILNS1_25lookback_scan_determinismE0ELb1ELb1ES3_N6thrust23THRUST_200600_302600_NS6detail15normal_iteratorINS9_10device_ptrIjEEEENSB_INSC_IiEEEEiNS9_4plusIvEEiEEDaPvRmT3_T4_T5_mT6_P12ihipStream_tbENKUlT_T0_E_clISt17integral_constantIbLb0EESW_EEDaSR_SS_EUlSR_E0_NS1_11comp_targetILNS1_3genE8ELNS1_11target_archE1030ELNS1_3gpuE2ELNS1_3repE0EEENS1_30default_config_static_selectorELNS0_4arch9wavefront6targetE1EEEvT1_ ; -- Begin function _ZN7rocprim17ROCPRIM_400000_NS6detail17trampoline_kernelINS0_14default_configENS1_20scan_config_selectorIiEEZZNS1_9scan_implILNS1_25lookback_scan_determinismE0ELb1ELb1ES3_N6thrust23THRUST_200600_302600_NS6detail15normal_iteratorINS9_10device_ptrIjEEEENSB_INSC_IiEEEEiNS9_4plusIvEEiEEDaPvRmT3_T4_T5_mT6_P12ihipStream_tbENKUlT_T0_E_clISt17integral_constantIbLb0EESW_EEDaSR_SS_EUlSR_E0_NS1_11comp_targetILNS1_3genE8ELNS1_11target_archE1030ELNS1_3gpuE2ELNS1_3repE0EEENS1_30default_config_static_selectorELNS0_4arch9wavefront6targetE1EEEvT1_
	.globl	_ZN7rocprim17ROCPRIM_400000_NS6detail17trampoline_kernelINS0_14default_configENS1_20scan_config_selectorIiEEZZNS1_9scan_implILNS1_25lookback_scan_determinismE0ELb1ELb1ES3_N6thrust23THRUST_200600_302600_NS6detail15normal_iteratorINS9_10device_ptrIjEEEENSB_INSC_IiEEEEiNS9_4plusIvEEiEEDaPvRmT3_T4_T5_mT6_P12ihipStream_tbENKUlT_T0_E_clISt17integral_constantIbLb0EESW_EEDaSR_SS_EUlSR_E0_NS1_11comp_targetILNS1_3genE8ELNS1_11target_archE1030ELNS1_3gpuE2ELNS1_3repE0EEENS1_30default_config_static_selectorELNS0_4arch9wavefront6targetE1EEEvT1_
	.p2align	8
	.type	_ZN7rocprim17ROCPRIM_400000_NS6detail17trampoline_kernelINS0_14default_configENS1_20scan_config_selectorIiEEZZNS1_9scan_implILNS1_25lookback_scan_determinismE0ELb1ELb1ES3_N6thrust23THRUST_200600_302600_NS6detail15normal_iteratorINS9_10device_ptrIjEEEENSB_INSC_IiEEEEiNS9_4plusIvEEiEEDaPvRmT3_T4_T5_mT6_P12ihipStream_tbENKUlT_T0_E_clISt17integral_constantIbLb0EESW_EEDaSR_SS_EUlSR_E0_NS1_11comp_targetILNS1_3genE8ELNS1_11target_archE1030ELNS1_3gpuE2ELNS1_3repE0EEENS1_30default_config_static_selectorELNS0_4arch9wavefront6targetE1EEEvT1_,@function
_ZN7rocprim17ROCPRIM_400000_NS6detail17trampoline_kernelINS0_14default_configENS1_20scan_config_selectorIiEEZZNS1_9scan_implILNS1_25lookback_scan_determinismE0ELb1ELb1ES3_N6thrust23THRUST_200600_302600_NS6detail15normal_iteratorINS9_10device_ptrIjEEEENSB_INSC_IiEEEEiNS9_4plusIvEEiEEDaPvRmT3_T4_T5_mT6_P12ihipStream_tbENKUlT_T0_E_clISt17integral_constantIbLb0EESW_EEDaSR_SS_EUlSR_E0_NS1_11comp_targetILNS1_3genE8ELNS1_11target_archE1030ELNS1_3gpuE2ELNS1_3repE0EEENS1_30default_config_static_selectorELNS0_4arch9wavefront6targetE1EEEvT1_: ; @_ZN7rocprim17ROCPRIM_400000_NS6detail17trampoline_kernelINS0_14default_configENS1_20scan_config_selectorIiEEZZNS1_9scan_implILNS1_25lookback_scan_determinismE0ELb1ELb1ES3_N6thrust23THRUST_200600_302600_NS6detail15normal_iteratorINS9_10device_ptrIjEEEENSB_INSC_IiEEEEiNS9_4plusIvEEiEEDaPvRmT3_T4_T5_mT6_P12ihipStream_tbENKUlT_T0_E_clISt17integral_constantIbLb0EESW_EEDaSR_SS_EUlSR_E0_NS1_11comp_targetILNS1_3genE8ELNS1_11target_archE1030ELNS1_3gpuE2ELNS1_3repE0EEENS1_30default_config_static_selectorELNS0_4arch9wavefront6targetE1EEEvT1_
; %bb.0:
	.section	.rodata,"a",@progbits
	.p2align	6, 0x0
	.amdhsa_kernel _ZN7rocprim17ROCPRIM_400000_NS6detail17trampoline_kernelINS0_14default_configENS1_20scan_config_selectorIiEEZZNS1_9scan_implILNS1_25lookback_scan_determinismE0ELb1ELb1ES3_N6thrust23THRUST_200600_302600_NS6detail15normal_iteratorINS9_10device_ptrIjEEEENSB_INSC_IiEEEEiNS9_4plusIvEEiEEDaPvRmT3_T4_T5_mT6_P12ihipStream_tbENKUlT_T0_E_clISt17integral_constantIbLb0EESW_EEDaSR_SS_EUlSR_E0_NS1_11comp_targetILNS1_3genE8ELNS1_11target_archE1030ELNS1_3gpuE2ELNS1_3repE0EEENS1_30default_config_static_selectorELNS0_4arch9wavefront6targetE1EEEvT1_
		.amdhsa_group_segment_fixed_size 0
		.amdhsa_private_segment_fixed_size 0
		.amdhsa_kernarg_size 32
		.amdhsa_user_sgpr_count 6
		.amdhsa_user_sgpr_private_segment_buffer 1
		.amdhsa_user_sgpr_dispatch_ptr 0
		.amdhsa_user_sgpr_queue_ptr 0
		.amdhsa_user_sgpr_kernarg_segment_ptr 1
		.amdhsa_user_sgpr_dispatch_id 0
		.amdhsa_user_sgpr_flat_scratch_init 0
		.amdhsa_user_sgpr_kernarg_preload_length 0
		.amdhsa_user_sgpr_kernarg_preload_offset 0
		.amdhsa_user_sgpr_private_segment_size 0
		.amdhsa_uses_dynamic_stack 0
		.amdhsa_system_sgpr_private_segment_wavefront_offset 0
		.amdhsa_system_sgpr_workgroup_id_x 1
		.amdhsa_system_sgpr_workgroup_id_y 0
		.amdhsa_system_sgpr_workgroup_id_z 0
		.amdhsa_system_sgpr_workgroup_info 0
		.amdhsa_system_vgpr_workitem_id 0
		.amdhsa_next_free_vgpr 1
		.amdhsa_next_free_sgpr 0
		.amdhsa_accum_offset 4
		.amdhsa_reserve_vcc 0
		.amdhsa_reserve_flat_scratch 0
		.amdhsa_float_round_mode_32 0
		.amdhsa_float_round_mode_16_64 0
		.amdhsa_float_denorm_mode_32 3
		.amdhsa_float_denorm_mode_16_64 3
		.amdhsa_dx10_clamp 1
		.amdhsa_ieee_mode 1
		.amdhsa_fp16_overflow 0
		.amdhsa_tg_split 0
		.amdhsa_exception_fp_ieee_invalid_op 0
		.amdhsa_exception_fp_denorm_src 0
		.amdhsa_exception_fp_ieee_div_zero 0
		.amdhsa_exception_fp_ieee_overflow 0
		.amdhsa_exception_fp_ieee_underflow 0
		.amdhsa_exception_fp_ieee_inexact 0
		.amdhsa_exception_int_div_zero 0
	.end_amdhsa_kernel
	.section	.text._ZN7rocprim17ROCPRIM_400000_NS6detail17trampoline_kernelINS0_14default_configENS1_20scan_config_selectorIiEEZZNS1_9scan_implILNS1_25lookback_scan_determinismE0ELb1ELb1ES3_N6thrust23THRUST_200600_302600_NS6detail15normal_iteratorINS9_10device_ptrIjEEEENSB_INSC_IiEEEEiNS9_4plusIvEEiEEDaPvRmT3_T4_T5_mT6_P12ihipStream_tbENKUlT_T0_E_clISt17integral_constantIbLb0EESW_EEDaSR_SS_EUlSR_E0_NS1_11comp_targetILNS1_3genE8ELNS1_11target_archE1030ELNS1_3gpuE2ELNS1_3repE0EEENS1_30default_config_static_selectorELNS0_4arch9wavefront6targetE1EEEvT1_,"axG",@progbits,_ZN7rocprim17ROCPRIM_400000_NS6detail17trampoline_kernelINS0_14default_configENS1_20scan_config_selectorIiEEZZNS1_9scan_implILNS1_25lookback_scan_determinismE0ELb1ELb1ES3_N6thrust23THRUST_200600_302600_NS6detail15normal_iteratorINS9_10device_ptrIjEEEENSB_INSC_IiEEEEiNS9_4plusIvEEiEEDaPvRmT3_T4_T5_mT6_P12ihipStream_tbENKUlT_T0_E_clISt17integral_constantIbLb0EESW_EEDaSR_SS_EUlSR_E0_NS1_11comp_targetILNS1_3genE8ELNS1_11target_archE1030ELNS1_3gpuE2ELNS1_3repE0EEENS1_30default_config_static_selectorELNS0_4arch9wavefront6targetE1EEEvT1_,comdat
.Lfunc_end6249:
	.size	_ZN7rocprim17ROCPRIM_400000_NS6detail17trampoline_kernelINS0_14default_configENS1_20scan_config_selectorIiEEZZNS1_9scan_implILNS1_25lookback_scan_determinismE0ELb1ELb1ES3_N6thrust23THRUST_200600_302600_NS6detail15normal_iteratorINS9_10device_ptrIjEEEENSB_INSC_IiEEEEiNS9_4plusIvEEiEEDaPvRmT3_T4_T5_mT6_P12ihipStream_tbENKUlT_T0_E_clISt17integral_constantIbLb0EESW_EEDaSR_SS_EUlSR_E0_NS1_11comp_targetILNS1_3genE8ELNS1_11target_archE1030ELNS1_3gpuE2ELNS1_3repE0EEENS1_30default_config_static_selectorELNS0_4arch9wavefront6targetE1EEEvT1_, .Lfunc_end6249-_ZN7rocprim17ROCPRIM_400000_NS6detail17trampoline_kernelINS0_14default_configENS1_20scan_config_selectorIiEEZZNS1_9scan_implILNS1_25lookback_scan_determinismE0ELb1ELb1ES3_N6thrust23THRUST_200600_302600_NS6detail15normal_iteratorINS9_10device_ptrIjEEEENSB_INSC_IiEEEEiNS9_4plusIvEEiEEDaPvRmT3_T4_T5_mT6_P12ihipStream_tbENKUlT_T0_E_clISt17integral_constantIbLb0EESW_EEDaSR_SS_EUlSR_E0_NS1_11comp_targetILNS1_3genE8ELNS1_11target_archE1030ELNS1_3gpuE2ELNS1_3repE0EEENS1_30default_config_static_selectorELNS0_4arch9wavefront6targetE1EEEvT1_
                                        ; -- End function
	.section	.AMDGPU.csdata,"",@progbits
; Kernel info:
; codeLenInByte = 0
; NumSgprs: 4
; NumVgprs: 0
; NumAgprs: 0
; TotalNumVgprs: 0
; ScratchSize: 0
; MemoryBound: 0
; FloatMode: 240
; IeeeMode: 1
; LDSByteSize: 0 bytes/workgroup (compile time only)
; SGPRBlocks: 0
; VGPRBlocks: 0
; NumSGPRsForWavesPerEU: 4
; NumVGPRsForWavesPerEU: 1
; AccumOffset: 4
; Occupancy: 8
; WaveLimiterHint : 0
; COMPUTE_PGM_RSRC2:SCRATCH_EN: 0
; COMPUTE_PGM_RSRC2:USER_SGPR: 6
; COMPUTE_PGM_RSRC2:TRAP_HANDLER: 0
; COMPUTE_PGM_RSRC2:TGID_X_EN: 1
; COMPUTE_PGM_RSRC2:TGID_Y_EN: 0
; COMPUTE_PGM_RSRC2:TGID_Z_EN: 0
; COMPUTE_PGM_RSRC2:TIDIG_COMP_CNT: 0
; COMPUTE_PGM_RSRC3_GFX90A:ACCUM_OFFSET: 0
; COMPUTE_PGM_RSRC3_GFX90A:TG_SPLIT: 0
	.section	.text._ZN7rocprim17ROCPRIM_400000_NS6detail17trampoline_kernelINS0_14default_configENS1_20scan_config_selectorIiEEZZNS1_9scan_implILNS1_25lookback_scan_determinismE0ELb1ELb1ES3_N6thrust23THRUST_200600_302600_NS6detail15normal_iteratorINS9_10device_ptrIjEEEENSB_INSC_IiEEEEiNS9_4plusIvEEiEEDaPvRmT3_T4_T5_mT6_P12ihipStream_tbENKUlT_T0_E_clISt17integral_constantIbLb1EESW_EEDaSR_SS_EUlSR_E_NS1_11comp_targetILNS1_3genE0ELNS1_11target_archE4294967295ELNS1_3gpuE0ELNS1_3repE0EEENS1_30default_config_static_selectorELNS0_4arch9wavefront6targetE1EEEvT1_,"axG",@progbits,_ZN7rocprim17ROCPRIM_400000_NS6detail17trampoline_kernelINS0_14default_configENS1_20scan_config_selectorIiEEZZNS1_9scan_implILNS1_25lookback_scan_determinismE0ELb1ELb1ES3_N6thrust23THRUST_200600_302600_NS6detail15normal_iteratorINS9_10device_ptrIjEEEENSB_INSC_IiEEEEiNS9_4plusIvEEiEEDaPvRmT3_T4_T5_mT6_P12ihipStream_tbENKUlT_T0_E_clISt17integral_constantIbLb1EESW_EEDaSR_SS_EUlSR_E_NS1_11comp_targetILNS1_3genE0ELNS1_11target_archE4294967295ELNS1_3gpuE0ELNS1_3repE0EEENS1_30default_config_static_selectorELNS0_4arch9wavefront6targetE1EEEvT1_,comdat
	.protected	_ZN7rocprim17ROCPRIM_400000_NS6detail17trampoline_kernelINS0_14default_configENS1_20scan_config_selectorIiEEZZNS1_9scan_implILNS1_25lookback_scan_determinismE0ELb1ELb1ES3_N6thrust23THRUST_200600_302600_NS6detail15normal_iteratorINS9_10device_ptrIjEEEENSB_INSC_IiEEEEiNS9_4plusIvEEiEEDaPvRmT3_T4_T5_mT6_P12ihipStream_tbENKUlT_T0_E_clISt17integral_constantIbLb1EESW_EEDaSR_SS_EUlSR_E_NS1_11comp_targetILNS1_3genE0ELNS1_11target_archE4294967295ELNS1_3gpuE0ELNS1_3repE0EEENS1_30default_config_static_selectorELNS0_4arch9wavefront6targetE1EEEvT1_ ; -- Begin function _ZN7rocprim17ROCPRIM_400000_NS6detail17trampoline_kernelINS0_14default_configENS1_20scan_config_selectorIiEEZZNS1_9scan_implILNS1_25lookback_scan_determinismE0ELb1ELb1ES3_N6thrust23THRUST_200600_302600_NS6detail15normal_iteratorINS9_10device_ptrIjEEEENSB_INSC_IiEEEEiNS9_4plusIvEEiEEDaPvRmT3_T4_T5_mT6_P12ihipStream_tbENKUlT_T0_E_clISt17integral_constantIbLb1EESW_EEDaSR_SS_EUlSR_E_NS1_11comp_targetILNS1_3genE0ELNS1_11target_archE4294967295ELNS1_3gpuE0ELNS1_3repE0EEENS1_30default_config_static_selectorELNS0_4arch9wavefront6targetE1EEEvT1_
	.globl	_ZN7rocprim17ROCPRIM_400000_NS6detail17trampoline_kernelINS0_14default_configENS1_20scan_config_selectorIiEEZZNS1_9scan_implILNS1_25lookback_scan_determinismE0ELb1ELb1ES3_N6thrust23THRUST_200600_302600_NS6detail15normal_iteratorINS9_10device_ptrIjEEEENSB_INSC_IiEEEEiNS9_4plusIvEEiEEDaPvRmT3_T4_T5_mT6_P12ihipStream_tbENKUlT_T0_E_clISt17integral_constantIbLb1EESW_EEDaSR_SS_EUlSR_E_NS1_11comp_targetILNS1_3genE0ELNS1_11target_archE4294967295ELNS1_3gpuE0ELNS1_3repE0EEENS1_30default_config_static_selectorELNS0_4arch9wavefront6targetE1EEEvT1_
	.p2align	8
	.type	_ZN7rocprim17ROCPRIM_400000_NS6detail17trampoline_kernelINS0_14default_configENS1_20scan_config_selectorIiEEZZNS1_9scan_implILNS1_25lookback_scan_determinismE0ELb1ELb1ES3_N6thrust23THRUST_200600_302600_NS6detail15normal_iteratorINS9_10device_ptrIjEEEENSB_INSC_IiEEEEiNS9_4plusIvEEiEEDaPvRmT3_T4_T5_mT6_P12ihipStream_tbENKUlT_T0_E_clISt17integral_constantIbLb1EESW_EEDaSR_SS_EUlSR_E_NS1_11comp_targetILNS1_3genE0ELNS1_11target_archE4294967295ELNS1_3gpuE0ELNS1_3repE0EEENS1_30default_config_static_selectorELNS0_4arch9wavefront6targetE1EEEvT1_,@function
_ZN7rocprim17ROCPRIM_400000_NS6detail17trampoline_kernelINS0_14default_configENS1_20scan_config_selectorIiEEZZNS1_9scan_implILNS1_25lookback_scan_determinismE0ELb1ELb1ES3_N6thrust23THRUST_200600_302600_NS6detail15normal_iteratorINS9_10device_ptrIjEEEENSB_INSC_IiEEEEiNS9_4plusIvEEiEEDaPvRmT3_T4_T5_mT6_P12ihipStream_tbENKUlT_T0_E_clISt17integral_constantIbLb1EESW_EEDaSR_SS_EUlSR_E_NS1_11comp_targetILNS1_3genE0ELNS1_11target_archE4294967295ELNS1_3gpuE0ELNS1_3repE0EEENS1_30default_config_static_selectorELNS0_4arch9wavefront6targetE1EEEvT1_: ; @_ZN7rocprim17ROCPRIM_400000_NS6detail17trampoline_kernelINS0_14default_configENS1_20scan_config_selectorIiEEZZNS1_9scan_implILNS1_25lookback_scan_determinismE0ELb1ELb1ES3_N6thrust23THRUST_200600_302600_NS6detail15normal_iteratorINS9_10device_ptrIjEEEENSB_INSC_IiEEEEiNS9_4plusIvEEiEEDaPvRmT3_T4_T5_mT6_P12ihipStream_tbENKUlT_T0_E_clISt17integral_constantIbLb1EESW_EEDaSR_SS_EUlSR_E_NS1_11comp_targetILNS1_3genE0ELNS1_11target_archE4294967295ELNS1_3gpuE0ELNS1_3repE0EEENS1_30default_config_static_selectorELNS0_4arch9wavefront6targetE1EEEvT1_
; %bb.0:
	.section	.rodata,"a",@progbits
	.p2align	6, 0x0
	.amdhsa_kernel _ZN7rocprim17ROCPRIM_400000_NS6detail17trampoline_kernelINS0_14default_configENS1_20scan_config_selectorIiEEZZNS1_9scan_implILNS1_25lookback_scan_determinismE0ELb1ELb1ES3_N6thrust23THRUST_200600_302600_NS6detail15normal_iteratorINS9_10device_ptrIjEEEENSB_INSC_IiEEEEiNS9_4plusIvEEiEEDaPvRmT3_T4_T5_mT6_P12ihipStream_tbENKUlT_T0_E_clISt17integral_constantIbLb1EESW_EEDaSR_SS_EUlSR_E_NS1_11comp_targetILNS1_3genE0ELNS1_11target_archE4294967295ELNS1_3gpuE0ELNS1_3repE0EEENS1_30default_config_static_selectorELNS0_4arch9wavefront6targetE1EEEvT1_
		.amdhsa_group_segment_fixed_size 0
		.amdhsa_private_segment_fixed_size 0
		.amdhsa_kernarg_size 96
		.amdhsa_user_sgpr_count 6
		.amdhsa_user_sgpr_private_segment_buffer 1
		.amdhsa_user_sgpr_dispatch_ptr 0
		.amdhsa_user_sgpr_queue_ptr 0
		.amdhsa_user_sgpr_kernarg_segment_ptr 1
		.amdhsa_user_sgpr_dispatch_id 0
		.amdhsa_user_sgpr_flat_scratch_init 0
		.amdhsa_user_sgpr_kernarg_preload_length 0
		.amdhsa_user_sgpr_kernarg_preload_offset 0
		.amdhsa_user_sgpr_private_segment_size 0
		.amdhsa_uses_dynamic_stack 0
		.amdhsa_system_sgpr_private_segment_wavefront_offset 0
		.amdhsa_system_sgpr_workgroup_id_x 1
		.amdhsa_system_sgpr_workgroup_id_y 0
		.amdhsa_system_sgpr_workgroup_id_z 0
		.amdhsa_system_sgpr_workgroup_info 0
		.amdhsa_system_vgpr_workitem_id 0
		.amdhsa_next_free_vgpr 1
		.amdhsa_next_free_sgpr 0
		.amdhsa_accum_offset 4
		.amdhsa_reserve_vcc 0
		.amdhsa_reserve_flat_scratch 0
		.amdhsa_float_round_mode_32 0
		.amdhsa_float_round_mode_16_64 0
		.amdhsa_float_denorm_mode_32 3
		.amdhsa_float_denorm_mode_16_64 3
		.amdhsa_dx10_clamp 1
		.amdhsa_ieee_mode 1
		.amdhsa_fp16_overflow 0
		.amdhsa_tg_split 0
		.amdhsa_exception_fp_ieee_invalid_op 0
		.amdhsa_exception_fp_denorm_src 0
		.amdhsa_exception_fp_ieee_div_zero 0
		.amdhsa_exception_fp_ieee_overflow 0
		.amdhsa_exception_fp_ieee_underflow 0
		.amdhsa_exception_fp_ieee_inexact 0
		.amdhsa_exception_int_div_zero 0
	.end_amdhsa_kernel
	.section	.text._ZN7rocprim17ROCPRIM_400000_NS6detail17trampoline_kernelINS0_14default_configENS1_20scan_config_selectorIiEEZZNS1_9scan_implILNS1_25lookback_scan_determinismE0ELb1ELb1ES3_N6thrust23THRUST_200600_302600_NS6detail15normal_iteratorINS9_10device_ptrIjEEEENSB_INSC_IiEEEEiNS9_4plusIvEEiEEDaPvRmT3_T4_T5_mT6_P12ihipStream_tbENKUlT_T0_E_clISt17integral_constantIbLb1EESW_EEDaSR_SS_EUlSR_E_NS1_11comp_targetILNS1_3genE0ELNS1_11target_archE4294967295ELNS1_3gpuE0ELNS1_3repE0EEENS1_30default_config_static_selectorELNS0_4arch9wavefront6targetE1EEEvT1_,"axG",@progbits,_ZN7rocprim17ROCPRIM_400000_NS6detail17trampoline_kernelINS0_14default_configENS1_20scan_config_selectorIiEEZZNS1_9scan_implILNS1_25lookback_scan_determinismE0ELb1ELb1ES3_N6thrust23THRUST_200600_302600_NS6detail15normal_iteratorINS9_10device_ptrIjEEEENSB_INSC_IiEEEEiNS9_4plusIvEEiEEDaPvRmT3_T4_T5_mT6_P12ihipStream_tbENKUlT_T0_E_clISt17integral_constantIbLb1EESW_EEDaSR_SS_EUlSR_E_NS1_11comp_targetILNS1_3genE0ELNS1_11target_archE4294967295ELNS1_3gpuE0ELNS1_3repE0EEENS1_30default_config_static_selectorELNS0_4arch9wavefront6targetE1EEEvT1_,comdat
.Lfunc_end6250:
	.size	_ZN7rocprim17ROCPRIM_400000_NS6detail17trampoline_kernelINS0_14default_configENS1_20scan_config_selectorIiEEZZNS1_9scan_implILNS1_25lookback_scan_determinismE0ELb1ELb1ES3_N6thrust23THRUST_200600_302600_NS6detail15normal_iteratorINS9_10device_ptrIjEEEENSB_INSC_IiEEEEiNS9_4plusIvEEiEEDaPvRmT3_T4_T5_mT6_P12ihipStream_tbENKUlT_T0_E_clISt17integral_constantIbLb1EESW_EEDaSR_SS_EUlSR_E_NS1_11comp_targetILNS1_3genE0ELNS1_11target_archE4294967295ELNS1_3gpuE0ELNS1_3repE0EEENS1_30default_config_static_selectorELNS0_4arch9wavefront6targetE1EEEvT1_, .Lfunc_end6250-_ZN7rocprim17ROCPRIM_400000_NS6detail17trampoline_kernelINS0_14default_configENS1_20scan_config_selectorIiEEZZNS1_9scan_implILNS1_25lookback_scan_determinismE0ELb1ELb1ES3_N6thrust23THRUST_200600_302600_NS6detail15normal_iteratorINS9_10device_ptrIjEEEENSB_INSC_IiEEEEiNS9_4plusIvEEiEEDaPvRmT3_T4_T5_mT6_P12ihipStream_tbENKUlT_T0_E_clISt17integral_constantIbLb1EESW_EEDaSR_SS_EUlSR_E_NS1_11comp_targetILNS1_3genE0ELNS1_11target_archE4294967295ELNS1_3gpuE0ELNS1_3repE0EEENS1_30default_config_static_selectorELNS0_4arch9wavefront6targetE1EEEvT1_
                                        ; -- End function
	.section	.AMDGPU.csdata,"",@progbits
; Kernel info:
; codeLenInByte = 0
; NumSgprs: 4
; NumVgprs: 0
; NumAgprs: 0
; TotalNumVgprs: 0
; ScratchSize: 0
; MemoryBound: 0
; FloatMode: 240
; IeeeMode: 1
; LDSByteSize: 0 bytes/workgroup (compile time only)
; SGPRBlocks: 0
; VGPRBlocks: 0
; NumSGPRsForWavesPerEU: 4
; NumVGPRsForWavesPerEU: 1
; AccumOffset: 4
; Occupancy: 8
; WaveLimiterHint : 0
; COMPUTE_PGM_RSRC2:SCRATCH_EN: 0
; COMPUTE_PGM_RSRC2:USER_SGPR: 6
; COMPUTE_PGM_RSRC2:TRAP_HANDLER: 0
; COMPUTE_PGM_RSRC2:TGID_X_EN: 1
; COMPUTE_PGM_RSRC2:TGID_Y_EN: 0
; COMPUTE_PGM_RSRC2:TGID_Z_EN: 0
; COMPUTE_PGM_RSRC2:TIDIG_COMP_CNT: 0
; COMPUTE_PGM_RSRC3_GFX90A:ACCUM_OFFSET: 0
; COMPUTE_PGM_RSRC3_GFX90A:TG_SPLIT: 0
	.section	.text._ZN7rocprim17ROCPRIM_400000_NS6detail17trampoline_kernelINS0_14default_configENS1_20scan_config_selectorIiEEZZNS1_9scan_implILNS1_25lookback_scan_determinismE0ELb1ELb1ES3_N6thrust23THRUST_200600_302600_NS6detail15normal_iteratorINS9_10device_ptrIjEEEENSB_INSC_IiEEEEiNS9_4plusIvEEiEEDaPvRmT3_T4_T5_mT6_P12ihipStream_tbENKUlT_T0_E_clISt17integral_constantIbLb1EESW_EEDaSR_SS_EUlSR_E_NS1_11comp_targetILNS1_3genE5ELNS1_11target_archE942ELNS1_3gpuE9ELNS1_3repE0EEENS1_30default_config_static_selectorELNS0_4arch9wavefront6targetE1EEEvT1_,"axG",@progbits,_ZN7rocprim17ROCPRIM_400000_NS6detail17trampoline_kernelINS0_14default_configENS1_20scan_config_selectorIiEEZZNS1_9scan_implILNS1_25lookback_scan_determinismE0ELb1ELb1ES3_N6thrust23THRUST_200600_302600_NS6detail15normal_iteratorINS9_10device_ptrIjEEEENSB_INSC_IiEEEEiNS9_4plusIvEEiEEDaPvRmT3_T4_T5_mT6_P12ihipStream_tbENKUlT_T0_E_clISt17integral_constantIbLb1EESW_EEDaSR_SS_EUlSR_E_NS1_11comp_targetILNS1_3genE5ELNS1_11target_archE942ELNS1_3gpuE9ELNS1_3repE0EEENS1_30default_config_static_selectorELNS0_4arch9wavefront6targetE1EEEvT1_,comdat
	.protected	_ZN7rocprim17ROCPRIM_400000_NS6detail17trampoline_kernelINS0_14default_configENS1_20scan_config_selectorIiEEZZNS1_9scan_implILNS1_25lookback_scan_determinismE0ELb1ELb1ES3_N6thrust23THRUST_200600_302600_NS6detail15normal_iteratorINS9_10device_ptrIjEEEENSB_INSC_IiEEEEiNS9_4plusIvEEiEEDaPvRmT3_T4_T5_mT6_P12ihipStream_tbENKUlT_T0_E_clISt17integral_constantIbLb1EESW_EEDaSR_SS_EUlSR_E_NS1_11comp_targetILNS1_3genE5ELNS1_11target_archE942ELNS1_3gpuE9ELNS1_3repE0EEENS1_30default_config_static_selectorELNS0_4arch9wavefront6targetE1EEEvT1_ ; -- Begin function _ZN7rocprim17ROCPRIM_400000_NS6detail17trampoline_kernelINS0_14default_configENS1_20scan_config_selectorIiEEZZNS1_9scan_implILNS1_25lookback_scan_determinismE0ELb1ELb1ES3_N6thrust23THRUST_200600_302600_NS6detail15normal_iteratorINS9_10device_ptrIjEEEENSB_INSC_IiEEEEiNS9_4plusIvEEiEEDaPvRmT3_T4_T5_mT6_P12ihipStream_tbENKUlT_T0_E_clISt17integral_constantIbLb1EESW_EEDaSR_SS_EUlSR_E_NS1_11comp_targetILNS1_3genE5ELNS1_11target_archE942ELNS1_3gpuE9ELNS1_3repE0EEENS1_30default_config_static_selectorELNS0_4arch9wavefront6targetE1EEEvT1_
	.globl	_ZN7rocprim17ROCPRIM_400000_NS6detail17trampoline_kernelINS0_14default_configENS1_20scan_config_selectorIiEEZZNS1_9scan_implILNS1_25lookback_scan_determinismE0ELb1ELb1ES3_N6thrust23THRUST_200600_302600_NS6detail15normal_iteratorINS9_10device_ptrIjEEEENSB_INSC_IiEEEEiNS9_4plusIvEEiEEDaPvRmT3_T4_T5_mT6_P12ihipStream_tbENKUlT_T0_E_clISt17integral_constantIbLb1EESW_EEDaSR_SS_EUlSR_E_NS1_11comp_targetILNS1_3genE5ELNS1_11target_archE942ELNS1_3gpuE9ELNS1_3repE0EEENS1_30default_config_static_selectorELNS0_4arch9wavefront6targetE1EEEvT1_
	.p2align	8
	.type	_ZN7rocprim17ROCPRIM_400000_NS6detail17trampoline_kernelINS0_14default_configENS1_20scan_config_selectorIiEEZZNS1_9scan_implILNS1_25lookback_scan_determinismE0ELb1ELb1ES3_N6thrust23THRUST_200600_302600_NS6detail15normal_iteratorINS9_10device_ptrIjEEEENSB_INSC_IiEEEEiNS9_4plusIvEEiEEDaPvRmT3_T4_T5_mT6_P12ihipStream_tbENKUlT_T0_E_clISt17integral_constantIbLb1EESW_EEDaSR_SS_EUlSR_E_NS1_11comp_targetILNS1_3genE5ELNS1_11target_archE942ELNS1_3gpuE9ELNS1_3repE0EEENS1_30default_config_static_selectorELNS0_4arch9wavefront6targetE1EEEvT1_,@function
_ZN7rocprim17ROCPRIM_400000_NS6detail17trampoline_kernelINS0_14default_configENS1_20scan_config_selectorIiEEZZNS1_9scan_implILNS1_25lookback_scan_determinismE0ELb1ELb1ES3_N6thrust23THRUST_200600_302600_NS6detail15normal_iteratorINS9_10device_ptrIjEEEENSB_INSC_IiEEEEiNS9_4plusIvEEiEEDaPvRmT3_T4_T5_mT6_P12ihipStream_tbENKUlT_T0_E_clISt17integral_constantIbLb1EESW_EEDaSR_SS_EUlSR_E_NS1_11comp_targetILNS1_3genE5ELNS1_11target_archE942ELNS1_3gpuE9ELNS1_3repE0EEENS1_30default_config_static_selectorELNS0_4arch9wavefront6targetE1EEEvT1_: ; @_ZN7rocprim17ROCPRIM_400000_NS6detail17trampoline_kernelINS0_14default_configENS1_20scan_config_selectorIiEEZZNS1_9scan_implILNS1_25lookback_scan_determinismE0ELb1ELb1ES3_N6thrust23THRUST_200600_302600_NS6detail15normal_iteratorINS9_10device_ptrIjEEEENSB_INSC_IiEEEEiNS9_4plusIvEEiEEDaPvRmT3_T4_T5_mT6_P12ihipStream_tbENKUlT_T0_E_clISt17integral_constantIbLb1EESW_EEDaSR_SS_EUlSR_E_NS1_11comp_targetILNS1_3genE5ELNS1_11target_archE942ELNS1_3gpuE9ELNS1_3repE0EEENS1_30default_config_static_selectorELNS0_4arch9wavefront6targetE1EEEvT1_
; %bb.0:
	.section	.rodata,"a",@progbits
	.p2align	6, 0x0
	.amdhsa_kernel _ZN7rocprim17ROCPRIM_400000_NS6detail17trampoline_kernelINS0_14default_configENS1_20scan_config_selectorIiEEZZNS1_9scan_implILNS1_25lookback_scan_determinismE0ELb1ELb1ES3_N6thrust23THRUST_200600_302600_NS6detail15normal_iteratorINS9_10device_ptrIjEEEENSB_INSC_IiEEEEiNS9_4plusIvEEiEEDaPvRmT3_T4_T5_mT6_P12ihipStream_tbENKUlT_T0_E_clISt17integral_constantIbLb1EESW_EEDaSR_SS_EUlSR_E_NS1_11comp_targetILNS1_3genE5ELNS1_11target_archE942ELNS1_3gpuE9ELNS1_3repE0EEENS1_30default_config_static_selectorELNS0_4arch9wavefront6targetE1EEEvT1_
		.amdhsa_group_segment_fixed_size 0
		.amdhsa_private_segment_fixed_size 0
		.amdhsa_kernarg_size 96
		.amdhsa_user_sgpr_count 6
		.amdhsa_user_sgpr_private_segment_buffer 1
		.amdhsa_user_sgpr_dispatch_ptr 0
		.amdhsa_user_sgpr_queue_ptr 0
		.amdhsa_user_sgpr_kernarg_segment_ptr 1
		.amdhsa_user_sgpr_dispatch_id 0
		.amdhsa_user_sgpr_flat_scratch_init 0
		.amdhsa_user_sgpr_kernarg_preload_length 0
		.amdhsa_user_sgpr_kernarg_preload_offset 0
		.amdhsa_user_sgpr_private_segment_size 0
		.amdhsa_uses_dynamic_stack 0
		.amdhsa_system_sgpr_private_segment_wavefront_offset 0
		.amdhsa_system_sgpr_workgroup_id_x 1
		.amdhsa_system_sgpr_workgroup_id_y 0
		.amdhsa_system_sgpr_workgroup_id_z 0
		.amdhsa_system_sgpr_workgroup_info 0
		.amdhsa_system_vgpr_workitem_id 0
		.amdhsa_next_free_vgpr 1
		.amdhsa_next_free_sgpr 0
		.amdhsa_accum_offset 4
		.amdhsa_reserve_vcc 0
		.amdhsa_reserve_flat_scratch 0
		.amdhsa_float_round_mode_32 0
		.amdhsa_float_round_mode_16_64 0
		.amdhsa_float_denorm_mode_32 3
		.amdhsa_float_denorm_mode_16_64 3
		.amdhsa_dx10_clamp 1
		.amdhsa_ieee_mode 1
		.amdhsa_fp16_overflow 0
		.amdhsa_tg_split 0
		.amdhsa_exception_fp_ieee_invalid_op 0
		.amdhsa_exception_fp_denorm_src 0
		.amdhsa_exception_fp_ieee_div_zero 0
		.amdhsa_exception_fp_ieee_overflow 0
		.amdhsa_exception_fp_ieee_underflow 0
		.amdhsa_exception_fp_ieee_inexact 0
		.amdhsa_exception_int_div_zero 0
	.end_amdhsa_kernel
	.section	.text._ZN7rocprim17ROCPRIM_400000_NS6detail17trampoline_kernelINS0_14default_configENS1_20scan_config_selectorIiEEZZNS1_9scan_implILNS1_25lookback_scan_determinismE0ELb1ELb1ES3_N6thrust23THRUST_200600_302600_NS6detail15normal_iteratorINS9_10device_ptrIjEEEENSB_INSC_IiEEEEiNS9_4plusIvEEiEEDaPvRmT3_T4_T5_mT6_P12ihipStream_tbENKUlT_T0_E_clISt17integral_constantIbLb1EESW_EEDaSR_SS_EUlSR_E_NS1_11comp_targetILNS1_3genE5ELNS1_11target_archE942ELNS1_3gpuE9ELNS1_3repE0EEENS1_30default_config_static_selectorELNS0_4arch9wavefront6targetE1EEEvT1_,"axG",@progbits,_ZN7rocprim17ROCPRIM_400000_NS6detail17trampoline_kernelINS0_14default_configENS1_20scan_config_selectorIiEEZZNS1_9scan_implILNS1_25lookback_scan_determinismE0ELb1ELb1ES3_N6thrust23THRUST_200600_302600_NS6detail15normal_iteratorINS9_10device_ptrIjEEEENSB_INSC_IiEEEEiNS9_4plusIvEEiEEDaPvRmT3_T4_T5_mT6_P12ihipStream_tbENKUlT_T0_E_clISt17integral_constantIbLb1EESW_EEDaSR_SS_EUlSR_E_NS1_11comp_targetILNS1_3genE5ELNS1_11target_archE942ELNS1_3gpuE9ELNS1_3repE0EEENS1_30default_config_static_selectorELNS0_4arch9wavefront6targetE1EEEvT1_,comdat
.Lfunc_end6251:
	.size	_ZN7rocprim17ROCPRIM_400000_NS6detail17trampoline_kernelINS0_14default_configENS1_20scan_config_selectorIiEEZZNS1_9scan_implILNS1_25lookback_scan_determinismE0ELb1ELb1ES3_N6thrust23THRUST_200600_302600_NS6detail15normal_iteratorINS9_10device_ptrIjEEEENSB_INSC_IiEEEEiNS9_4plusIvEEiEEDaPvRmT3_T4_T5_mT6_P12ihipStream_tbENKUlT_T0_E_clISt17integral_constantIbLb1EESW_EEDaSR_SS_EUlSR_E_NS1_11comp_targetILNS1_3genE5ELNS1_11target_archE942ELNS1_3gpuE9ELNS1_3repE0EEENS1_30default_config_static_selectorELNS0_4arch9wavefront6targetE1EEEvT1_, .Lfunc_end6251-_ZN7rocprim17ROCPRIM_400000_NS6detail17trampoline_kernelINS0_14default_configENS1_20scan_config_selectorIiEEZZNS1_9scan_implILNS1_25lookback_scan_determinismE0ELb1ELb1ES3_N6thrust23THRUST_200600_302600_NS6detail15normal_iteratorINS9_10device_ptrIjEEEENSB_INSC_IiEEEEiNS9_4plusIvEEiEEDaPvRmT3_T4_T5_mT6_P12ihipStream_tbENKUlT_T0_E_clISt17integral_constantIbLb1EESW_EEDaSR_SS_EUlSR_E_NS1_11comp_targetILNS1_3genE5ELNS1_11target_archE942ELNS1_3gpuE9ELNS1_3repE0EEENS1_30default_config_static_selectorELNS0_4arch9wavefront6targetE1EEEvT1_
                                        ; -- End function
	.section	.AMDGPU.csdata,"",@progbits
; Kernel info:
; codeLenInByte = 0
; NumSgprs: 4
; NumVgprs: 0
; NumAgprs: 0
; TotalNumVgprs: 0
; ScratchSize: 0
; MemoryBound: 0
; FloatMode: 240
; IeeeMode: 1
; LDSByteSize: 0 bytes/workgroup (compile time only)
; SGPRBlocks: 0
; VGPRBlocks: 0
; NumSGPRsForWavesPerEU: 4
; NumVGPRsForWavesPerEU: 1
; AccumOffset: 4
; Occupancy: 8
; WaveLimiterHint : 0
; COMPUTE_PGM_RSRC2:SCRATCH_EN: 0
; COMPUTE_PGM_RSRC2:USER_SGPR: 6
; COMPUTE_PGM_RSRC2:TRAP_HANDLER: 0
; COMPUTE_PGM_RSRC2:TGID_X_EN: 1
; COMPUTE_PGM_RSRC2:TGID_Y_EN: 0
; COMPUTE_PGM_RSRC2:TGID_Z_EN: 0
; COMPUTE_PGM_RSRC2:TIDIG_COMP_CNT: 0
; COMPUTE_PGM_RSRC3_GFX90A:ACCUM_OFFSET: 0
; COMPUTE_PGM_RSRC3_GFX90A:TG_SPLIT: 0
	.section	.text._ZN7rocprim17ROCPRIM_400000_NS6detail17trampoline_kernelINS0_14default_configENS1_20scan_config_selectorIiEEZZNS1_9scan_implILNS1_25lookback_scan_determinismE0ELb1ELb1ES3_N6thrust23THRUST_200600_302600_NS6detail15normal_iteratorINS9_10device_ptrIjEEEENSB_INSC_IiEEEEiNS9_4plusIvEEiEEDaPvRmT3_T4_T5_mT6_P12ihipStream_tbENKUlT_T0_E_clISt17integral_constantIbLb1EESW_EEDaSR_SS_EUlSR_E_NS1_11comp_targetILNS1_3genE4ELNS1_11target_archE910ELNS1_3gpuE8ELNS1_3repE0EEENS1_30default_config_static_selectorELNS0_4arch9wavefront6targetE1EEEvT1_,"axG",@progbits,_ZN7rocprim17ROCPRIM_400000_NS6detail17trampoline_kernelINS0_14default_configENS1_20scan_config_selectorIiEEZZNS1_9scan_implILNS1_25lookback_scan_determinismE0ELb1ELb1ES3_N6thrust23THRUST_200600_302600_NS6detail15normal_iteratorINS9_10device_ptrIjEEEENSB_INSC_IiEEEEiNS9_4plusIvEEiEEDaPvRmT3_T4_T5_mT6_P12ihipStream_tbENKUlT_T0_E_clISt17integral_constantIbLb1EESW_EEDaSR_SS_EUlSR_E_NS1_11comp_targetILNS1_3genE4ELNS1_11target_archE910ELNS1_3gpuE8ELNS1_3repE0EEENS1_30default_config_static_selectorELNS0_4arch9wavefront6targetE1EEEvT1_,comdat
	.protected	_ZN7rocprim17ROCPRIM_400000_NS6detail17trampoline_kernelINS0_14default_configENS1_20scan_config_selectorIiEEZZNS1_9scan_implILNS1_25lookback_scan_determinismE0ELb1ELb1ES3_N6thrust23THRUST_200600_302600_NS6detail15normal_iteratorINS9_10device_ptrIjEEEENSB_INSC_IiEEEEiNS9_4plusIvEEiEEDaPvRmT3_T4_T5_mT6_P12ihipStream_tbENKUlT_T0_E_clISt17integral_constantIbLb1EESW_EEDaSR_SS_EUlSR_E_NS1_11comp_targetILNS1_3genE4ELNS1_11target_archE910ELNS1_3gpuE8ELNS1_3repE0EEENS1_30default_config_static_selectorELNS0_4arch9wavefront6targetE1EEEvT1_ ; -- Begin function _ZN7rocprim17ROCPRIM_400000_NS6detail17trampoline_kernelINS0_14default_configENS1_20scan_config_selectorIiEEZZNS1_9scan_implILNS1_25lookback_scan_determinismE0ELb1ELb1ES3_N6thrust23THRUST_200600_302600_NS6detail15normal_iteratorINS9_10device_ptrIjEEEENSB_INSC_IiEEEEiNS9_4plusIvEEiEEDaPvRmT3_T4_T5_mT6_P12ihipStream_tbENKUlT_T0_E_clISt17integral_constantIbLb1EESW_EEDaSR_SS_EUlSR_E_NS1_11comp_targetILNS1_3genE4ELNS1_11target_archE910ELNS1_3gpuE8ELNS1_3repE0EEENS1_30default_config_static_selectorELNS0_4arch9wavefront6targetE1EEEvT1_
	.globl	_ZN7rocprim17ROCPRIM_400000_NS6detail17trampoline_kernelINS0_14default_configENS1_20scan_config_selectorIiEEZZNS1_9scan_implILNS1_25lookback_scan_determinismE0ELb1ELb1ES3_N6thrust23THRUST_200600_302600_NS6detail15normal_iteratorINS9_10device_ptrIjEEEENSB_INSC_IiEEEEiNS9_4plusIvEEiEEDaPvRmT3_T4_T5_mT6_P12ihipStream_tbENKUlT_T0_E_clISt17integral_constantIbLb1EESW_EEDaSR_SS_EUlSR_E_NS1_11comp_targetILNS1_3genE4ELNS1_11target_archE910ELNS1_3gpuE8ELNS1_3repE0EEENS1_30default_config_static_selectorELNS0_4arch9wavefront6targetE1EEEvT1_
	.p2align	8
	.type	_ZN7rocprim17ROCPRIM_400000_NS6detail17trampoline_kernelINS0_14default_configENS1_20scan_config_selectorIiEEZZNS1_9scan_implILNS1_25lookback_scan_determinismE0ELb1ELb1ES3_N6thrust23THRUST_200600_302600_NS6detail15normal_iteratorINS9_10device_ptrIjEEEENSB_INSC_IiEEEEiNS9_4plusIvEEiEEDaPvRmT3_T4_T5_mT6_P12ihipStream_tbENKUlT_T0_E_clISt17integral_constantIbLb1EESW_EEDaSR_SS_EUlSR_E_NS1_11comp_targetILNS1_3genE4ELNS1_11target_archE910ELNS1_3gpuE8ELNS1_3repE0EEENS1_30default_config_static_selectorELNS0_4arch9wavefront6targetE1EEEvT1_,@function
_ZN7rocprim17ROCPRIM_400000_NS6detail17trampoline_kernelINS0_14default_configENS1_20scan_config_selectorIiEEZZNS1_9scan_implILNS1_25lookback_scan_determinismE0ELb1ELb1ES3_N6thrust23THRUST_200600_302600_NS6detail15normal_iteratorINS9_10device_ptrIjEEEENSB_INSC_IiEEEEiNS9_4plusIvEEiEEDaPvRmT3_T4_T5_mT6_P12ihipStream_tbENKUlT_T0_E_clISt17integral_constantIbLb1EESW_EEDaSR_SS_EUlSR_E_NS1_11comp_targetILNS1_3genE4ELNS1_11target_archE910ELNS1_3gpuE8ELNS1_3repE0EEENS1_30default_config_static_selectorELNS0_4arch9wavefront6targetE1EEEvT1_: ; @_ZN7rocprim17ROCPRIM_400000_NS6detail17trampoline_kernelINS0_14default_configENS1_20scan_config_selectorIiEEZZNS1_9scan_implILNS1_25lookback_scan_determinismE0ELb1ELb1ES3_N6thrust23THRUST_200600_302600_NS6detail15normal_iteratorINS9_10device_ptrIjEEEENSB_INSC_IiEEEEiNS9_4plusIvEEiEEDaPvRmT3_T4_T5_mT6_P12ihipStream_tbENKUlT_T0_E_clISt17integral_constantIbLb1EESW_EEDaSR_SS_EUlSR_E_NS1_11comp_targetILNS1_3genE4ELNS1_11target_archE910ELNS1_3gpuE8ELNS1_3repE0EEENS1_30default_config_static_selectorELNS0_4arch9wavefront6targetE1EEEvT1_
; %bb.0:
	s_load_dword s33, s[4:5], 0x20
	s_load_dwordx2 s[6:7], s[4:5], 0x28
	v_cmp_ne_u32_e64 s[2:3], 0, v0
	v_cmp_eq_u32_e64 s[0:1], 0, v0
	s_and_saveexec_b64 s[8:9], s[0:1]
	s_cbranch_execz .LBB6252_4
; %bb.1:
	s_mov_b64 s[12:13], exec
	v_mbcnt_lo_u32_b32 v1, s12, 0
	v_mbcnt_hi_u32_b32 v1, s13, v1
	v_cmp_eq_u32_e32 vcc, 0, v1
                                        ; implicit-def: $vgpr2
	s_and_saveexec_b64 s[10:11], vcc
	s_cbranch_execz .LBB6252_3
; %bb.2:
	s_load_dwordx2 s[14:15], s[4:5], 0x58
	s_bcnt1_i32_b64 s12, s[12:13]
	v_mov_b32_e32 v2, 0
	v_mov_b32_e32 v3, s12
	s_waitcnt lgkmcnt(0)
	global_atomic_add v2, v2, v3, s[14:15] glc
.LBB6252_3:
	s_or_b64 exec, exec, s[10:11]
	s_waitcnt vmcnt(0)
	v_readfirstlane_b32 s10, v2
	v_add_u32_e32 v1, s10, v1
	v_mov_b32_e32 v2, 0
	ds_write_b32 v2, v1
.LBB6252_4:
	s_or_b64 exec, exec, s[8:9]
	s_load_dwordx8 s[16:23], s[4:5], 0x0
	s_load_dword s24, s[4:5], 0x30
	s_load_dwordx8 s[8:15], s[4:5], 0x38
	v_mov_b32_e32 v1, 0
	s_waitcnt lgkmcnt(0)
	s_barrier
	ds_read_b32 v1, v1
	s_lshl_b64 s[18:19], s[18:19], 2
	s_add_u32 s34, s16, s18
	s_addc_u32 s35, s17, s19
	s_add_i32 s16, s24, -1
	s_mul_i32 s17, s16, 0x500
	s_sub_u32 s30, s22, s17
	s_waitcnt lgkmcnt(0)
	v_readfirstlane_b32 s36, v1
	s_subb_u32 s31, s23, 0
	s_mul_i32 s4, s36, 0x500
	s_mov_b32 s5, 0
	s_cmp_lg_u32 s36, s16
	s_cselect_b64 s[16:17], -1, 0
	s_lshl_b64 s[22:23], s[4:5], 2
	s_add_u32 s24, s34, s22
	s_addc_u32 s25, s35, s23
	s_mov_b64 s[4:5], -1
	s_and_b64 vcc, exec, s[16:17]
	v_lshlrev_b32_e32 v22, 2, v0
	s_barrier
	s_cbranch_vccz .LBB6252_6
; %bb.5:
	v_mov_b32_e32 v1, s25
	v_add_co_u32_e32 v2, vcc, s24, v22
	v_addc_co_u32_e32 v3, vcc, 0, v1, vcc
	flat_load_dword v1, v[2:3]
	flat_load_dword v4, v[2:3] offset:512
	flat_load_dword v5, v[2:3] offset:1024
	;; [unrolled: 1-line block ×7, first 2 shown]
	v_add_co_u32_e32 v2, vcc, 0x1000, v2
	v_addc_co_u32_e32 v3, vcc, 0, v3, vcc
	flat_load_dword v11, v[2:3]
	flat_load_dword v12, v[2:3] offset:512
	s_mov_b64 s[4:5], 0
	s_waitcnt vmcnt(0) lgkmcnt(0)
	ds_write2st64_b32 v22, v1, v4 offset1:2
	ds_write2st64_b32 v22, v5, v6 offset0:4 offset1:6
	ds_write2st64_b32 v22, v7, v8 offset0:8 offset1:10
	;; [unrolled: 1-line block ×4, first 2 shown]
	s_waitcnt lgkmcnt(0)
	s_barrier
.LBB6252_6:
	s_andn2_b64 vcc, exec, s[4:5]
	v_cmp_gt_u32_e64 s[4:5], s30, v0
	s_cbranch_vccnz .LBB6252_28
; %bb.7:
	v_pk_mov_b32 v[2:3], s[24:25], s[24:25] op_sel:[0,1]
	flat_load_dword v1, v[2:3]
	s_waitcnt vmcnt(0) lgkmcnt(0)
	v_mov_b32_e32 v2, v1
	v_mov_b32_e32 v3, v1
	;; [unrolled: 1-line block ×9, first 2 shown]
	s_and_saveexec_b64 s[26:27], s[4:5]
	s_cbranch_execz .LBB6252_9
; %bb.8:
	v_mov_b32_e32 v11, s25
	v_add_co_u32_e32 v10, vcc, s24, v22
	v_addc_co_u32_e32 v11, vcc, 0, v11, vcc
	flat_load_dword v10, v[10:11]
.LBB6252_9:
	s_or_b64 exec, exec, s[26:27]
	v_or_b32_e32 v11, 0x80, v0
	v_cmp_gt_u32_e32 vcc, s30, v11
	s_and_saveexec_b64 s[4:5], vcc
	s_cbranch_execz .LBB6252_11
; %bb.10:
	v_mov_b32_e32 v1, s25
	v_add_co_u32_e32 v12, vcc, s24, v22
	v_addc_co_u32_e32 v13, vcc, 0, v1, vcc
	flat_load_dword v1, v[12:13] offset:512
.LBB6252_11:
	s_or_b64 exec, exec, s[4:5]
	v_or_b32_e32 v11, 0x100, v0
	v_cmp_gt_u32_e32 vcc, s30, v11
	s_and_saveexec_b64 s[4:5], vcc
	s_cbranch_execz .LBB6252_13
; %bb.12:
	v_mov_b32_e32 v2, s25
	v_add_co_u32_e32 v12, vcc, s24, v22
	v_addc_co_u32_e32 v13, vcc, 0, v2, vcc
	flat_load_dword v2, v[12:13] offset:1024
.LBB6252_13:
	;; [unrolled: 11-line block ×7, first 2 shown]
	s_or_b64 exec, exec, s[4:5]
	v_or_b32_e32 v11, 0x400, v0
	v_cmp_gt_u32_e32 vcc, s30, v11
	s_and_saveexec_b64 s[4:5], vcc
	s_cbranch_execz .LBB6252_25
; %bb.24:
	v_lshlrev_b32_e32 v8, 2, v11
	v_mov_b32_e32 v11, s25
	v_add_co_u32_e32 v12, vcc, s24, v8
	v_addc_co_u32_e32 v13, vcc, 0, v11, vcc
	flat_load_dword v8, v[12:13]
.LBB6252_25:
	s_or_b64 exec, exec, s[4:5]
	v_or_b32_e32 v11, 0x480, v0
	v_cmp_gt_u32_e32 vcc, s30, v11
	s_and_saveexec_b64 s[4:5], vcc
	s_cbranch_execz .LBB6252_27
; %bb.26:
	v_lshlrev_b32_e32 v9, 2, v11
	v_mov_b32_e32 v11, s25
	v_add_co_u32_e32 v12, vcc, s24, v9
	v_addc_co_u32_e32 v13, vcc, 0, v11, vcc
	flat_load_dword v9, v[12:13]
.LBB6252_27:
	s_or_b64 exec, exec, s[4:5]
	s_waitcnt vmcnt(0) lgkmcnt(0)
	ds_write2st64_b32 v22, v10, v1 offset1:2
	ds_write2st64_b32 v22, v2, v3 offset0:4 offset1:6
	ds_write2st64_b32 v22, v4, v5 offset0:8 offset1:10
	;; [unrolled: 1-line block ×4, first 2 shown]
	s_waitcnt lgkmcnt(0)
	s_barrier
.LBB6252_28:
	v_mul_u32_u24_e32 v23, 10, v0
	v_lshlrev_b32_e32 v1, 2, v23
	ds_read2_b64 v[16:19], v1 offset1:1
	ds_read2_b64 v[12:15], v1 offset0:2 offset1:3
	ds_read_b64 v[20:21], v1 offset:32
	s_cmp_lg_u32 s36, 0
	v_lshrrev_b32_e32 v24, 5, v0
	s_waitcnt lgkmcnt(2)
	v_add_u32_e32 v2, v17, v16
	v_add3_u32 v25, v2, v18, v19
	v_cmp_gt_u32_e32 vcc, 64, v0
	s_waitcnt lgkmcnt(0)
	s_barrier
	s_cbranch_scc0 .LBB6252_57
; %bb.29:
	v_add3_u32 v2, v25, v12, v13
	v_add3_u32 v2, v2, v14, v15
	;; [unrolled: 1-line block ×3, first 2 shown]
	v_add_lshl_u32 v3, v24, v0, 2
	ds_write_b32 v3, v2
	s_waitcnt lgkmcnt(0)
	s_barrier
	s_and_saveexec_b64 s[24:25], vcc
	s_cbranch_execz .LBB6252_31
; %bb.30:
	v_lshlrev_b32_e32 v3, 1, v0
	v_lshrrev_b32_e32 v4, 4, v0
	v_add_lshl_u32 v3, v4, v3, 2
	ds_read2_b32 v[4:5], v3 offset1:1
	v_mbcnt_lo_u32_b32 v6, -1, 0
	v_mbcnt_hi_u32_b32 v6, -1, v6
	v_and_b32_e32 v7, 15, v6
	v_cmp_ne_u32_e64 s[4:5], 0, v7
	s_waitcnt lgkmcnt(0)
	v_add_u32_e32 v5, v5, v4
	; wave barrier
	s_nop 1
	v_mov_b32_dpp v8, v5 row_shr:1 row_mask:0xf bank_mask:0xf
	v_cndmask_b32_e64 v8, 0, v8, s[4:5]
	v_add_u32_e32 v5, v8, v5
	v_cmp_lt_u32_e64 s[4:5], 1, v7
	s_nop 0
	v_mov_b32_dpp v8, v5 row_shr:2 row_mask:0xf bank_mask:0xf
	v_cndmask_b32_e64 v8, 0, v8, s[4:5]
	v_add_u32_e32 v5, v5, v8
	v_cmp_lt_u32_e64 s[4:5], 3, v7
	;; [unrolled: 5-line block ×3, first 2 shown]
	s_nop 0
	v_mov_b32_dpp v8, v5 row_shr:8 row_mask:0xf bank_mask:0xf
	v_cndmask_b32_e64 v7, 0, v8, s[4:5]
	v_add_u32_e32 v5, v5, v7
	v_bfe_i32 v8, v6, 4, 1
	v_cmp_lt_u32_e64 s[4:5], 31, v6
	v_mov_b32_dpp v7, v5 row_bcast:15 row_mask:0xf bank_mask:0xf
	v_and_b32_e32 v7, v8, v7
	v_add_u32_e32 v5, v5, v7
	v_and_b32_e32 v8, 64, v6
	s_nop 0
	v_mov_b32_dpp v7, v5 row_bcast:31 row_mask:0xf bank_mask:0xf
	v_cndmask_b32_e64 v7, 0, v7, s[4:5]
	v_add_u32_e32 v5, v5, v7
	v_add_u32_e32 v7, -1, v6
	v_cmp_lt_i32_e64 s[4:5], v7, v8
	v_cndmask_b32_e64 v6, v7, v6, s[4:5]
	v_lshlrev_b32_e32 v6, 2, v6
	ds_bpermute_b32 v5, v6, v5
	s_waitcnt lgkmcnt(0)
	v_add_u32_e32 v4, v5, v4
	v_cndmask_b32_e64 v2, v4, v2, s[0:1]
	ds_write_b32 v3, v2
	; wave barrier
	ds_read_b32 v4, v3 offset:4
	s_waitcnt lgkmcnt(0)
	v_add_u32_e32 v2, v4, v2
	ds_write_b32 v3, v2 offset:4
.LBB6252_31:
	s_or_b64 exec, exec, s[24:25]
	v_mov_b32_e32 v26, 0
	s_waitcnt lgkmcnt(0)
	s_barrier
	s_and_saveexec_b64 s[4:5], s[2:3]
	s_cbranch_execz .LBB6252_33
; %bb.32:
	v_add_u32_e32 v2, -1, v0
	v_lshrrev_b32_e32 v3, 5, v2
	v_add_lshl_u32 v2, v3, v2, 2
	ds_read_b32 v26, v2
.LBB6252_33:
	s_or_b64 exec, exec, s[4:5]
	s_and_saveexec_b64 s[24:25], vcc
	s_cbranch_execz .LBB6252_56
; %bb.34:
	v_mov_b32_e32 v11, 0
	ds_read_b32 v2, v11 offset:520
	v_mbcnt_lo_u32_b32 v3, -1, 0
	v_mbcnt_hi_u32_b32 v5, -1, v3
	s_mov_b32 s29, 0
	v_cmp_eq_u32_e64 s[4:5], 0, v5
	s_and_saveexec_b64 s[26:27], s[4:5]
	s_cbranch_execz .LBB6252_36
; %bb.35:
	s_add_i32 s28, s36, 64
	s_lshl_b64 s[28:29], s[28:29], 3
	s_add_u32 s28, s6, s28
	v_mov_b32_e32 v3, 1
	s_addc_u32 s29, s7, s29
	s_waitcnt lgkmcnt(0)
	global_store_dwordx2 v11, v[2:3], s[28:29]
.LBB6252_36:
	s_or_b64 exec, exec, s[26:27]
	v_xad_u32 v4, v5, -1, s36
	v_add_u32_e32 v10, 64, v4
	v_lshlrev_b64 v[6:7], 3, v[10:11]
	v_mov_b32_e32 v3, s7
	v_add_co_u32_e32 v6, vcc, s6, v6
	v_addc_co_u32_e32 v7, vcc, v3, v7, vcc
	global_load_dwordx2 v[8:9], v[6:7], off glc
	s_waitcnt vmcnt(0)
	v_cmp_eq_u16_sdwa s[28:29], v9, v11 src0_sel:BYTE_0 src1_sel:DWORD
	s_and_saveexec_b64 s[26:27], s[28:29]
	s_cbranch_execz .LBB6252_42
; %bb.37:
	s_mov_b32 s37, 1
	s_mov_b64 s[28:29], 0
	v_mov_b32_e32 v3, 0
.LBB6252_38:                            ; =>This Loop Header: Depth=1
                                        ;     Child Loop BB6252_39 Depth 2
	s_max_u32 s38, s37, 1
.LBB6252_39:                            ;   Parent Loop BB6252_38 Depth=1
                                        ; =>  This Inner Loop Header: Depth=2
	s_add_i32 s38, s38, -1
	s_cmp_eq_u32 s38, 0
	s_sleep 1
	s_cbranch_scc0 .LBB6252_39
; %bb.40:                               ;   in Loop: Header=BB6252_38 Depth=1
	global_load_dwordx2 v[8:9], v[6:7], off glc
	s_cmp_lt_u32 s37, 32
	s_cselect_b64 s[38:39], -1, 0
	s_cmp_lg_u64 s[38:39], 0
	s_addc_u32 s37, s37, 0
	s_waitcnt vmcnt(0)
	v_cmp_ne_u16_sdwa s[38:39], v9, v3 src0_sel:BYTE_0 src1_sel:DWORD
	s_or_b64 s[28:29], s[38:39], s[28:29]
	s_andn2_b64 exec, exec, s[28:29]
	s_cbranch_execnz .LBB6252_38
; %bb.41:
	s_or_b64 exec, exec, s[28:29]
.LBB6252_42:
	s_or_b64 exec, exec, s[26:27]
	v_and_b32_e32 v27, 63, v5
	v_mov_b32_e32 v3, 2
	v_cmp_ne_u32_e32 vcc, 63, v27
	v_cmp_eq_u16_sdwa s[26:27], v9, v3 src0_sel:BYTE_0 src1_sel:DWORD
	v_lshlrev_b64 v[6:7], v5, -1
	v_addc_co_u32_e32 v28, vcc, 0, v5, vcc
	v_and_b32_e32 v10, s27, v7
	v_lshlrev_b32_e32 v28, 2, v28
	v_or_b32_e32 v10, 0x80000000, v10
	ds_bpermute_b32 v29, v28, v8
	v_and_b32_e32 v11, s26, v6
	v_ffbl_b32_e32 v10, v10
	v_add_u32_e32 v10, 32, v10
	v_ffbl_b32_e32 v11, v11
	v_min_u32_e32 v10, v11, v10
	v_cmp_lt_u32_e32 vcc, v27, v10
	s_waitcnt lgkmcnt(0)
	v_cndmask_b32_e32 v11, 0, v29, vcc
	v_cmp_gt_u32_e32 vcc, 62, v27
	v_add_u32_e32 v8, v11, v8
	v_cndmask_b32_e64 v11, 0, 1, vcc
	v_lshlrev_b32_e32 v11, 1, v11
	v_add_lshl_u32 v29, v11, v5, 2
	ds_bpermute_b32 v11, v29, v8
	v_add_u32_e32 v30, 2, v27
	v_cmp_le_u32_e32 vcc, v30, v10
	v_add_u32_e32 v32, 4, v27
	v_add_u32_e32 v34, 8, v27
	s_waitcnt lgkmcnt(0)
	v_cndmask_b32_e32 v11, 0, v11, vcc
	v_cmp_gt_u32_e32 vcc, 60, v27
	v_add_u32_e32 v8, v8, v11
	v_cndmask_b32_e64 v11, 0, 1, vcc
	v_lshlrev_b32_e32 v11, 2, v11
	v_add_lshl_u32 v31, v11, v5, 2
	ds_bpermute_b32 v11, v31, v8
	v_cmp_le_u32_e32 vcc, v32, v10
	v_add_u32_e32 v37, 16, v27
	v_add_u32_e32 v39, 32, v27
	s_waitcnt lgkmcnt(0)
	v_cndmask_b32_e32 v11, 0, v11, vcc
	v_cmp_gt_u32_e32 vcc, 56, v27
	v_add_u32_e32 v8, v8, v11
	v_cndmask_b32_e64 v11, 0, 1, vcc
	v_lshlrev_b32_e32 v11, 3, v11
	v_add_lshl_u32 v33, v11, v5, 2
	ds_bpermute_b32 v11, v33, v8
	v_cmp_le_u32_e32 vcc, v34, v10
	s_waitcnt lgkmcnt(0)
	v_cndmask_b32_e32 v11, 0, v11, vcc
	v_cmp_gt_u32_e32 vcc, 48, v27
	v_add_u32_e32 v8, v8, v11
	v_cndmask_b32_e64 v11, 0, 1, vcc
	v_lshlrev_b32_e32 v11, 4, v11
	v_add_lshl_u32 v36, v11, v5, 2
	ds_bpermute_b32 v11, v36, v8
	v_cmp_le_u32_e32 vcc, v37, v10
	;; [unrolled: 9-line block ×3, first 2 shown]
	s_waitcnt lgkmcnt(0)
	v_cndmask_b32_e32 v5, 0, v5, vcc
	v_add_u32_e32 v8, v8, v5
	v_mov_b32_e32 v5, 0
	s_branch .LBB6252_44
.LBB6252_43:                            ;   in Loop: Header=BB6252_44 Depth=1
	s_or_b64 exec, exec, s[26:27]
	v_cmp_eq_u16_sdwa s[26:27], v9, v3 src0_sel:BYTE_0 src1_sel:DWORD
	v_and_b32_e32 v10, s27, v7
	v_or_b32_e32 v10, 0x80000000, v10
	ds_bpermute_b32 v40, v28, v8
	v_and_b32_e32 v11, s26, v6
	v_ffbl_b32_e32 v10, v10
	v_add_u32_e32 v10, 32, v10
	v_ffbl_b32_e32 v11, v11
	v_min_u32_e32 v10, v11, v10
	v_cmp_lt_u32_e32 vcc, v27, v10
	s_waitcnt lgkmcnt(0)
	v_cndmask_b32_e32 v11, 0, v40, vcc
	v_add_u32_e32 v8, v11, v8
	ds_bpermute_b32 v11, v29, v8
	v_cmp_le_u32_e32 vcc, v30, v10
	v_subrev_u32_e32 v4, 64, v4
	s_waitcnt lgkmcnt(0)
	v_cndmask_b32_e32 v11, 0, v11, vcc
	v_add_u32_e32 v8, v8, v11
	ds_bpermute_b32 v11, v31, v8
	v_cmp_le_u32_e32 vcc, v32, v10
	s_waitcnt lgkmcnt(0)
	v_cndmask_b32_e32 v11, 0, v11, vcc
	v_add_u32_e32 v8, v8, v11
	ds_bpermute_b32 v11, v33, v8
	v_cmp_le_u32_e32 vcc, v34, v10
	;; [unrolled: 5-line block ×4, first 2 shown]
	s_waitcnt lgkmcnt(0)
	v_cndmask_b32_e32 v10, 0, v11, vcc
	v_add3_u32 v8, v10, v35, v8
.LBB6252_44:                            ; =>This Loop Header: Depth=1
                                        ;     Child Loop BB6252_47 Depth 2
                                        ;       Child Loop BB6252_48 Depth 3
	v_cmp_ne_u16_sdwa s[26:27], v9, v3 src0_sel:BYTE_0 src1_sel:DWORD
	v_cndmask_b32_e64 v9, 0, 1, s[26:27]
	;;#ASMSTART
	;;#ASMEND
	v_cmp_ne_u32_e32 vcc, 0, v9
	s_cmp_lg_u64 vcc, exec
	v_mov_b32_e32 v35, v8
	s_cbranch_scc1 .LBB6252_51
; %bb.45:                               ;   in Loop: Header=BB6252_44 Depth=1
	v_lshlrev_b64 v[8:9], 3, v[4:5]
	v_mov_b32_e32 v11, s7
	v_add_co_u32_e32 v10, vcc, s6, v8
	v_addc_co_u32_e32 v11, vcc, v11, v9, vcc
	global_load_dwordx2 v[8:9], v[10:11], off glc
	s_waitcnt vmcnt(0)
	v_cmp_eq_u16_sdwa s[28:29], v9, v5 src0_sel:BYTE_0 src1_sel:DWORD
	s_and_saveexec_b64 s[26:27], s[28:29]
	s_cbranch_execz .LBB6252_43
; %bb.46:                               ;   in Loop: Header=BB6252_44 Depth=1
	s_mov_b32 s37, 1
	s_mov_b64 s[28:29], 0
.LBB6252_47:                            ;   Parent Loop BB6252_44 Depth=1
                                        ; =>  This Loop Header: Depth=2
                                        ;       Child Loop BB6252_48 Depth 3
	s_max_u32 s38, s37, 1
.LBB6252_48:                            ;   Parent Loop BB6252_44 Depth=1
                                        ;     Parent Loop BB6252_47 Depth=2
                                        ; =>    This Inner Loop Header: Depth=3
	s_add_i32 s38, s38, -1
	s_cmp_eq_u32 s38, 0
	s_sleep 1
	s_cbranch_scc0 .LBB6252_48
; %bb.49:                               ;   in Loop: Header=BB6252_47 Depth=2
	global_load_dwordx2 v[8:9], v[10:11], off glc
	s_cmp_lt_u32 s37, 32
	s_cselect_b64 s[38:39], -1, 0
	s_cmp_lg_u64 s[38:39], 0
	s_addc_u32 s37, s37, 0
	s_waitcnt vmcnt(0)
	v_cmp_ne_u16_sdwa s[38:39], v9, v5 src0_sel:BYTE_0 src1_sel:DWORD
	s_or_b64 s[28:29], s[38:39], s[28:29]
	s_andn2_b64 exec, exec, s[28:29]
	s_cbranch_execnz .LBB6252_47
; %bb.50:                               ;   in Loop: Header=BB6252_44 Depth=1
	s_or_b64 exec, exec, s[28:29]
	s_branch .LBB6252_43
.LBB6252_51:                            ;   in Loop: Header=BB6252_44 Depth=1
                                        ; implicit-def: $vgpr8
                                        ; implicit-def: $vgpr9
	s_cbranch_execz .LBB6252_44
; %bb.52:
	s_and_saveexec_b64 s[26:27], s[4:5]
	s_cbranch_execz .LBB6252_54
; %bb.53:
	s_add_i32 s4, s36, 64
	s_mov_b32 s5, 0
	s_lshl_b64 s[4:5], s[4:5], 3
	s_add_u32 s4, s6, s4
	v_add_u32_e32 v2, v35, v2
	v_mov_b32_e32 v3, 2
	s_addc_u32 s5, s7, s5
	v_mov_b32_e32 v4, 0
	global_store_dwordx2 v4, v[2:3], s[4:5]
.LBB6252_54:
	s_or_b64 exec, exec, s[26:27]
	s_and_b64 exec, exec, s[0:1]
	s_cbranch_execz .LBB6252_56
; %bb.55:
	v_mov_b32_e32 v2, 0
	ds_write_b32 v2, v35
.LBB6252_56:
	s_or_b64 exec, exec, s[24:25]
	v_mov_b32_e32 v2, 0
	s_waitcnt lgkmcnt(0)
	s_barrier
	ds_read_b32 v2, v2
	s_waitcnt lgkmcnt(0)
	v_add_u32_e32 v2, v2, v26
	v_add_u32_e32 v3, v2, v16
	;; [unrolled: 1-line block ×10, first 2 shown]
	s_branch .LBB6252_67
.LBB6252_57:
                                        ; implicit-def: $vgpr2_vgpr3_vgpr4_vgpr5_vgpr6_vgpr7_vgpr8_vgpr9_vgpr10_vgpr11
	s_cbranch_execz .LBB6252_67
; %bb.58:
	s_cmp_eq_u64 s[12:13], 0
	v_mov_b32_e32 v26, s33
	s_cbranch_scc1 .LBB6252_60
; %bb.59:
	v_mov_b32_e32 v3, s35
	v_add_co_u32_e64 v2, vcc, -4, s34
	v_addc_co_u32_e32 v3, vcc, -1, v3, vcc
	v_mov_b32_e32 v4, 0
	flat_load_dword v5, v[2:3]
	global_load_dword v6, v4, s[8:9]
	s_waitcnt vmcnt(0) lgkmcnt(0)
	v_add_u32_e32 v26, v6, v5
.LBB6252_60:
	v_add3_u32 v2, v25, v12, v13
	v_add3_u32 v2, v2, v14, v15
	;; [unrolled: 1-line block ×3, first 2 shown]
	v_add_lshl_u32 v3, v24, v0, 2
	v_cmp_gt_u32_e32 vcc, 64, v0
	ds_write_b32 v3, v2
	s_waitcnt lgkmcnt(0)
	s_barrier
	s_and_saveexec_b64 s[4:5], vcc
	s_cbranch_execz .LBB6252_62
; %bb.61:
	v_lshlrev_b32_e32 v3, 1, v0
	v_lshrrev_b32_e32 v4, 4, v0
	v_add_lshl_u32 v3, v4, v3, 2
	ds_read2_b32 v[4:5], v3 offset1:1
	v_mbcnt_lo_u32_b32 v6, -1, 0
	v_mbcnt_hi_u32_b32 v6, -1, v6
	v_and_b32_e32 v7, 15, v6
	v_cmp_ne_u32_e32 vcc, 0, v7
	s_waitcnt lgkmcnt(0)
	v_add_u32_e32 v5, v5, v4
	; wave barrier
	s_nop 1
	v_mov_b32_dpp v8, v5 row_shr:1 row_mask:0xf bank_mask:0xf
	v_cndmask_b32_e32 v8, 0, v8, vcc
	v_add_u32_e32 v5, v8, v5
	v_cmp_lt_u32_e32 vcc, 1, v7
	s_nop 0
	v_mov_b32_dpp v8, v5 row_shr:2 row_mask:0xf bank_mask:0xf
	v_cndmask_b32_e32 v8, 0, v8, vcc
	v_add_u32_e32 v5, v5, v8
	v_cmp_lt_u32_e32 vcc, 3, v7
	;; [unrolled: 5-line block ×3, first 2 shown]
	s_nop 0
	v_mov_b32_dpp v8, v5 row_shr:8 row_mask:0xf bank_mask:0xf
	v_cndmask_b32_e32 v7, 0, v8, vcc
	v_add_u32_e32 v5, v5, v7
	v_bfe_i32 v8, v6, 4, 1
	v_cmp_lt_u32_e32 vcc, 31, v6
	v_mov_b32_dpp v7, v5 row_bcast:15 row_mask:0xf bank_mask:0xf
	v_and_b32_e32 v7, v8, v7
	v_add_u32_e32 v5, v5, v7
	v_and_b32_e32 v8, 64, v6
	s_nop 0
	v_mov_b32_dpp v7, v5 row_bcast:31 row_mask:0xf bank_mask:0xf
	v_cndmask_b32_e32 v7, 0, v7, vcc
	v_add_u32_e32 v5, v5, v7
	v_add_u32_e32 v7, -1, v6
	v_cmp_lt_i32_e32 vcc, v7, v8
	v_cndmask_b32_e32 v6, v7, v6, vcc
	v_lshlrev_b32_e32 v6, 2, v6
	ds_bpermute_b32 v5, v6, v5
	s_waitcnt lgkmcnt(0)
	v_add_u32_e32 v4, v5, v4
	v_cndmask_b32_e64 v2, v4, v2, s[0:1]
	ds_write_b32 v3, v2
	; wave barrier
	ds_read_b32 v4, v3 offset:4
	s_waitcnt lgkmcnt(0)
	v_add_u32_e32 v2, v4, v2
	ds_write_b32 v3, v2 offset:4
.LBB6252_62:
	s_or_b64 exec, exec, s[4:5]
	v_mov_b32_e32 v2, v26
	s_waitcnt lgkmcnt(0)
	s_barrier
	s_and_saveexec_b64 s[4:5], s[2:3]
	s_cbranch_execz .LBB6252_64
; %bb.63:
	v_add_u32_e32 v2, -1, v0
	v_lshrrev_b32_e32 v3, 5, v2
	v_add_lshl_u32 v2, v3, v2, 2
	ds_read_b32 v2, v2
	s_waitcnt lgkmcnt(0)
	v_add_u32_e32 v2, v2, v26
.LBB6252_64:
	s_or_b64 exec, exec, s[4:5]
	v_add_u32_e32 v3, v2, v16
	v_add_u32_e32 v4, v3, v17
	;; [unrolled: 1-line block ×9, first 2 shown]
	s_and_saveexec_b64 s[2:3], s[0:1]
	s_cbranch_execz .LBB6252_66
; %bb.65:
	v_mov_b32_e32 v14, 0
	ds_read_b32 v12, v14 offset:520
	v_mov_b32_e32 v13, 2
	s_waitcnt lgkmcnt(0)
	v_add_u32_e32 v12, v12, v26
	global_store_dwordx2 v14, v[12:13], s[6:7] offset:512
.LBB6252_66:
	s_or_b64 exec, exec, s[2:3]
.LBB6252_67:
	s_add_u32 s0, s20, s18
	s_addc_u32 s1, s21, s19
	s_add_u32 s2, s0, s22
	s_addc_u32 s3, s1, s23
	s_mov_b64 s[0:1], -1
	s_and_b64 vcc, exec, s[16:17]
	s_barrier
	s_cbranch_vccz .LBB6252_69
; %bb.68:
	ds_write2_b64 v1, v[2:3], v[4:5] offset1:1
	ds_write2_b64 v1, v[6:7], v[8:9] offset0:2 offset1:3
	ds_write_b64 v1, v[10:11] offset:32
	s_waitcnt lgkmcnt(0)
	s_barrier
	ds_read2st64_b32 v[12:13], v22 offset1:2
	ds_read2st64_b32 v[14:15], v22 offset0:4 offset1:6
	ds_read2st64_b32 v[16:17], v22 offset0:8 offset1:10
	;; [unrolled: 1-line block ×4, first 2 shown]
	v_mov_b32_e32 v25, s3
	v_add_co_u32_e32 v24, vcc, s2, v22
	v_addc_co_u32_e32 v25, vcc, 0, v25, vcc
	s_waitcnt lgkmcnt(4)
	flat_store_dword v[24:25], v12
	flat_store_dword v[24:25], v13 offset:512
	s_waitcnt lgkmcnt(0)
	flat_store_dword v[24:25], v14 offset:1024
	flat_store_dword v[24:25], v15 offset:1536
	;; [unrolled: 1-line block ×6, first 2 shown]
	v_add_co_u32_e32 v12, vcc, 0x1000, v24
	v_addc_co_u32_e32 v13, vcc, 0, v25, vcc
	flat_store_dword v[12:13], v20
	flat_store_dword v[12:13], v21 offset:512
	s_mov_b64 s[0:1], 0
.LBB6252_69:
	s_andn2_b64 vcc, exec, s[0:1]
	s_cbranch_vccnz .LBB6252_125
; %bb.70:
	ds_write2_b64 v1, v[2:3], v[4:5] offset1:1
	ds_write2_b64 v1, v[6:7], v[8:9] offset0:2 offset1:3
	ds_write_b64 v1, v[10:11] offset:32
	s_waitcnt lgkmcnt(0)
	s_barrier
	ds_read2st64_b32 v[2:3], v22 offset1:2
	ds_read2st64_b32 v[6:7], v22 offset0:4 offset1:6
	ds_read2st64_b32 v[4:5], v22 offset0:8 offset1:10
	;; [unrolled: 1-line block ×4, first 2 shown]
	v_mov_b32_e32 v13, s3
	v_add_co_u32_e32 v12, vcc, s2, v22
	v_addc_co_u32_e32 v13, vcc, 0, v13, vcc
	v_mov_b32_e32 v1, 0
	v_cmp_gt_u32_e32 vcc, s30, v0
	s_and_saveexec_b64 s[0:1], vcc
	s_cbranch_execz .LBB6252_72
; %bb.71:
	s_waitcnt lgkmcnt(0)
	flat_store_dword v[12:13], v2
.LBB6252_72:
	s_or_b64 exec, exec, s[0:1]
	v_or_b32_e32 v14, 0x80, v0
	v_cmp_gt_u32_e32 vcc, s30, v14
	s_and_saveexec_b64 s[0:1], vcc
	s_cbranch_execz .LBB6252_74
; %bb.73:
	s_waitcnt lgkmcnt(0)
	flat_store_dword v[12:13], v3 offset:512
.LBB6252_74:
	s_or_b64 exec, exec, s[0:1]
	v_or_b32_e32 v14, 0x100, v0
	v_cmp_gt_u32_e32 vcc, s30, v14
	s_and_saveexec_b64 s[0:1], vcc
	s_cbranch_execz .LBB6252_76
; %bb.75:
	s_waitcnt lgkmcnt(0)
	flat_store_dword v[12:13], v6 offset:1024
.LBB6252_76:
	;; [unrolled: 9-line block ×7, first 2 shown]
	s_or_b64 exec, exec, s[0:1]
	v_or_b32_e32 v14, 0x400, v0
	v_cmp_gt_u32_e32 vcc, s30, v14
	s_and_saveexec_b64 s[0:1], vcc
	s_cbranch_execz .LBB6252_88
; %bb.87:
	v_add_co_u32_e32 v14, vcc, 0x1000, v12
	v_addc_co_u32_e32 v15, vcc, 0, v13, vcc
	s_waitcnt lgkmcnt(0)
	flat_store_dword v[14:15], v10
.LBB6252_88:
	s_or_b64 exec, exec, s[0:1]
	v_or_b32_e32 v14, 0x480, v0
	v_cmp_gt_u32_e32 vcc, s30, v14
	s_and_saveexec_b64 s[0:1], vcc
	s_cbranch_execz .LBB6252_90
; %bb.89:
	v_add_co_u32_e32 v12, vcc, 0x1000, v12
	v_addc_co_u32_e32 v13, vcc, 0, v13, vcc
	s_waitcnt lgkmcnt(0)
	flat_store_dword v[12:13], v11 offset:512
.LBB6252_90:
	s_or_b64 exec, exec, s[0:1]
	v_cmp_lt_u64_e64 s[0:1], s[14:15], 2
	s_and_b64 vcc, exec, s[0:1]
	s_cbranch_vccnz .LBB6252_125
; %bb.91:
	s_add_u32 s0, s30, -1
	s_addc_u32 s1, s31, -1
	s_add_u32 s2, 0, 0x99986000
	s_addc_u32 s3, 0, 0x59
	s_add_i32 s3, s3, 0x19999940
	s_mul_hi_u32 s7, s2, -10
	s_sub_i32 s7, s7, s2
	s_mul_i32 s8, s3, -10
	s_mul_i32 s4, s2, -10
	s_add_i32 s7, s7, s8
	s_mul_hi_u32 s5, s3, s4
	s_mul_i32 s6, s3, s4
	s_mul_i32 s9, s2, s7
	s_mul_hi_u32 s4, s2, s4
	s_mul_hi_u32 s8, s2, s7
	s_add_u32 s4, s4, s9
	s_addc_u32 s8, 0, s8
	s_add_u32 s4, s4, s6
	s_mul_hi_u32 s9, s3, s7
	s_addc_u32 s4, s8, s5
	s_addc_u32 s5, s9, 0
	s_mul_i32 s6, s3, s7
	s_add_u32 s4, s4, s6
	v_mov_b32_e32 v12, s4
	s_addc_u32 s5, 0, s5
	v_add_co_u32_e32 v12, vcc, s2, v12
	s_cmp_lg_u64 vcc, 0
	s_addc_u32 s2, s3, s5
	v_readfirstlane_b32 s5, v12
	s_mul_i32 s4, s0, s2
	s_mul_hi_u32 s6, s0, s5
	s_mul_hi_u32 s3, s0, s2
	s_add_u32 s4, s6, s4
	s_addc_u32 s3, 0, s3
	s_mul_hi_u32 s7, s1, s5
	s_mul_i32 s5, s1, s5
	s_add_u32 s4, s4, s5
	s_mul_hi_u32 s6, s1, s2
	s_addc_u32 s3, s3, s7
	s_addc_u32 s4, s6, 0
	s_mul_i32 s2, s1, s2
	s_add_u32 s2, s3, s2
	s_addc_u32 s3, 0, s4
	s_add_u32 s4, s2, 1
	s_addc_u32 s5, s3, 0
	s_add_u32 s6, s2, 2
	s_mul_i32 s8, s3, 10
	s_mul_hi_u32 s9, s2, 10
	s_addc_u32 s7, s3, 0
	s_add_i32 s9, s9, s8
	s_mul_i32 s8, s2, 10
	v_mov_b32_e32 v12, s8
	v_sub_co_u32_e32 v12, vcc, s0, v12
	s_cmp_lg_u64 vcc, 0
	s_subb_u32 s8, s1, s9
	v_subrev_co_u32_e32 v13, vcc, 10, v12
	s_cmp_lg_u64 vcc, 0
	s_subb_u32 s9, s8, 0
	v_readfirstlane_b32 s12, v13
	s_cmp_gt_u32 s12, 9
	s_cselect_b32 s12, -1, 0
	s_cmp_eq_u32 s9, 0
	s_cselect_b32 s9, s12, -1
	s_cmp_lg_u32 s9, 0
	s_cselect_b32 s4, s6, s4
	v_readfirstlane_b32 s6, v12
	s_cselect_b32 s5, s7, s5
	s_cmp_gt_u32 s6, 9
	s_cselect_b32 s6, -1, 0
	s_cmp_eq_u32 s8, 0
	s_cselect_b32 s6, s6, -1
	s_cmp_lg_u32 s6, 0
	s_cselect_b32 s3, s5, s3
	s_cselect_b32 s2, s4, s2
	v_cmp_eq_u64_e32 vcc, s[2:3], v[0:1]
	s_and_saveexec_b64 s[2:3], vcc
	s_cbranch_execz .LBB6252_125
; %bb.92:
	v_mul_hi_u32_u24_e32 v1, 10, v0
	v_mov_b32_e32 v12, s1
	v_sub_co_u32_e32 v0, vcc, s0, v23
	v_subb_co_u32_e32 v1, vcc, v12, v1, vcc
	v_cmp_lt_i64_e32 vcc, 4, v[0:1]
	s_and_saveexec_b64 s[0:1], vcc
	s_xor_b64 s[0:1], exec, s[0:1]
	s_cbranch_execz .LBB6252_110
; %bb.93:
	v_cmp_lt_i64_e32 vcc, 6, v[0:1]
	s_and_saveexec_b64 s[2:3], vcc
	s_xor_b64 s[2:3], exec, s[2:3]
	s_cbranch_execz .LBB6252_103
; %bb.94:
	;; [unrolled: 5-line block ×4, first 2 shown]
	v_mov_b32_e32 v0, 0
	s_waitcnt lgkmcnt(0)
	global_store_dword v0, v11, s[10:11]
                                        ; implicit-def: $vgpr10_vgpr11
.LBB6252_97:
	s_andn2_saveexec_b64 s[6:7], s[6:7]
	s_cbranch_execz .LBB6252_99
; %bb.98:
	v_mov_b32_e32 v0, 0
	s_waitcnt lgkmcnt(0)
	global_store_dword v0, v10, s[10:11]
.LBB6252_99:
	s_or_b64 exec, exec, s[6:7]
                                        ; implicit-def: $vgpr8_vgpr9
.LBB6252_100:
	s_andn2_saveexec_b64 s[4:5], s[4:5]
	s_cbranch_execz .LBB6252_102
; %bb.101:
	v_mov_b32_e32 v0, 0
	s_waitcnt lgkmcnt(0)
	global_store_dword v0, v9, s[10:11]
.LBB6252_102:
	s_or_b64 exec, exec, s[4:5]
                                        ; implicit-def: $vgpr4_vgpr5
                                        ; implicit-def: $vgpr0_vgpr1
                                        ; implicit-def: $vgpr8_vgpr9
.LBB6252_103:
	s_andn2_saveexec_b64 s[2:3], s[2:3]
	s_cbranch_execz .LBB6252_109
; %bb.104:
	v_cmp_lt_i64_e32 vcc, 5, v[0:1]
	s_and_saveexec_b64 s[4:5], vcc
	s_xor_b64 s[4:5], exec, s[4:5]
	s_cbranch_execz .LBB6252_106
; %bb.105:
	v_mov_b32_e32 v0, 0
	s_waitcnt lgkmcnt(0)
	global_store_dword v0, v8, s[10:11]
                                        ; implicit-def: $vgpr4_vgpr5
.LBB6252_106:
	s_andn2_saveexec_b64 s[4:5], s[4:5]
	s_cbranch_execz .LBB6252_108
; %bb.107:
	v_mov_b32_e32 v0, 0
	s_waitcnt lgkmcnt(0)
	global_store_dword v0, v5, s[10:11]
.LBB6252_108:
	s_or_b64 exec, exec, s[4:5]
.LBB6252_109:
	s_or_b64 exec, exec, s[2:3]
                                        ; implicit-def: $vgpr0_vgpr1
                                        ; implicit-def: $vgpr6_vgpr7
                                        ; implicit-def: $vgpr2_vgpr3
                                        ; implicit-def: $vgpr4_vgpr5
.LBB6252_110:
	s_andn2_saveexec_b64 s[0:1], s[0:1]
	s_cbranch_execz .LBB6252_125
; %bb.111:
	v_cmp_lt_i64_e32 vcc, 2, v[0:1]
	s_and_saveexec_b64 s[0:1], vcc
	s_xor_b64 s[0:1], exec, s[0:1]
	s_cbranch_execz .LBB6252_117
; %bb.112:
	v_cmp_lt_i64_e32 vcc, 3, v[0:1]
	s_and_saveexec_b64 s[2:3], vcc
	s_xor_b64 s[2:3], exec, s[2:3]
	s_cbranch_execz .LBB6252_114
; %bb.113:
	v_mov_b32_e32 v0, 0
	s_waitcnt lgkmcnt(0)
	global_store_dword v0, v4, s[10:11]
                                        ; implicit-def: $vgpr6_vgpr7
.LBB6252_114:
	s_andn2_saveexec_b64 s[2:3], s[2:3]
	s_cbranch_execz .LBB6252_116
; %bb.115:
	v_mov_b32_e32 v0, 0
	s_waitcnt lgkmcnt(0)
	global_store_dword v0, v7, s[10:11]
.LBB6252_116:
	s_or_b64 exec, exec, s[2:3]
                                        ; implicit-def: $vgpr0_vgpr1
                                        ; implicit-def: $vgpr6_vgpr7
                                        ; implicit-def: $vgpr2_vgpr3
.LBB6252_117:
	s_andn2_saveexec_b64 s[0:1], s[0:1]
	s_cbranch_execz .LBB6252_125
; %bb.118:
	v_cmp_lt_i64_e32 vcc, 1, v[0:1]
	s_and_saveexec_b64 s[0:1], vcc
	s_xor_b64 s[0:1], exec, s[0:1]
	s_cbranch_execz .LBB6252_120
; %bb.119:
	v_mov_b32_e32 v0, 0
	s_waitcnt lgkmcnt(0)
	global_store_dword v0, v6, s[10:11]
                                        ; implicit-def: $vgpr2_vgpr3
                                        ; implicit-def: $vgpr0_vgpr1
.LBB6252_120:
	s_andn2_saveexec_b64 s[0:1], s[0:1]
	s_cbranch_execz .LBB6252_125
; %bb.121:
	v_cmp_ne_u64_e32 vcc, 1, v[0:1]
	s_and_saveexec_b64 s[0:1], vcc
	s_xor_b64 s[0:1], exec, s[0:1]
	s_cbranch_execz .LBB6252_123
; %bb.122:
	v_mov_b32_e32 v0, 0
	s_waitcnt lgkmcnt(0)
	global_store_dword v0, v2, s[10:11]
                                        ; implicit-def: $vgpr2_vgpr3
.LBB6252_123:
	s_andn2_saveexec_b64 s[0:1], s[0:1]
	s_cbranch_execz .LBB6252_125
; %bb.124:
	v_mov_b32_e32 v0, 0
	s_waitcnt lgkmcnt(0)
	global_store_dword v0, v3, s[10:11]
.LBB6252_125:
	s_endpgm
	.section	.rodata,"a",@progbits
	.p2align	6, 0x0
	.amdhsa_kernel _ZN7rocprim17ROCPRIM_400000_NS6detail17trampoline_kernelINS0_14default_configENS1_20scan_config_selectorIiEEZZNS1_9scan_implILNS1_25lookback_scan_determinismE0ELb1ELb1ES3_N6thrust23THRUST_200600_302600_NS6detail15normal_iteratorINS9_10device_ptrIjEEEENSB_INSC_IiEEEEiNS9_4plusIvEEiEEDaPvRmT3_T4_T5_mT6_P12ihipStream_tbENKUlT_T0_E_clISt17integral_constantIbLb1EESW_EEDaSR_SS_EUlSR_E_NS1_11comp_targetILNS1_3genE4ELNS1_11target_archE910ELNS1_3gpuE8ELNS1_3repE0EEENS1_30default_config_static_selectorELNS0_4arch9wavefront6targetE1EEEvT1_
		.amdhsa_group_segment_fixed_size 5120
		.amdhsa_private_segment_fixed_size 0
		.amdhsa_kernarg_size 96
		.amdhsa_user_sgpr_count 6
		.amdhsa_user_sgpr_private_segment_buffer 1
		.amdhsa_user_sgpr_dispatch_ptr 0
		.amdhsa_user_sgpr_queue_ptr 0
		.amdhsa_user_sgpr_kernarg_segment_ptr 1
		.amdhsa_user_sgpr_dispatch_id 0
		.amdhsa_user_sgpr_flat_scratch_init 0
		.amdhsa_user_sgpr_kernarg_preload_length 0
		.amdhsa_user_sgpr_kernarg_preload_offset 0
		.amdhsa_user_sgpr_private_segment_size 0
		.amdhsa_uses_dynamic_stack 0
		.amdhsa_system_sgpr_private_segment_wavefront_offset 0
		.amdhsa_system_sgpr_workgroup_id_x 1
		.amdhsa_system_sgpr_workgroup_id_y 0
		.amdhsa_system_sgpr_workgroup_id_z 0
		.amdhsa_system_sgpr_workgroup_info 0
		.amdhsa_system_vgpr_workitem_id 0
		.amdhsa_next_free_vgpr 41
		.amdhsa_next_free_sgpr 40
		.amdhsa_accum_offset 44
		.amdhsa_reserve_vcc 1
		.amdhsa_reserve_flat_scratch 0
		.amdhsa_float_round_mode_32 0
		.amdhsa_float_round_mode_16_64 0
		.amdhsa_float_denorm_mode_32 3
		.amdhsa_float_denorm_mode_16_64 3
		.amdhsa_dx10_clamp 1
		.amdhsa_ieee_mode 1
		.amdhsa_fp16_overflow 0
		.amdhsa_tg_split 0
		.amdhsa_exception_fp_ieee_invalid_op 0
		.amdhsa_exception_fp_denorm_src 0
		.amdhsa_exception_fp_ieee_div_zero 0
		.amdhsa_exception_fp_ieee_overflow 0
		.amdhsa_exception_fp_ieee_underflow 0
		.amdhsa_exception_fp_ieee_inexact 0
		.amdhsa_exception_int_div_zero 0
	.end_amdhsa_kernel
	.section	.text._ZN7rocprim17ROCPRIM_400000_NS6detail17trampoline_kernelINS0_14default_configENS1_20scan_config_selectorIiEEZZNS1_9scan_implILNS1_25lookback_scan_determinismE0ELb1ELb1ES3_N6thrust23THRUST_200600_302600_NS6detail15normal_iteratorINS9_10device_ptrIjEEEENSB_INSC_IiEEEEiNS9_4plusIvEEiEEDaPvRmT3_T4_T5_mT6_P12ihipStream_tbENKUlT_T0_E_clISt17integral_constantIbLb1EESW_EEDaSR_SS_EUlSR_E_NS1_11comp_targetILNS1_3genE4ELNS1_11target_archE910ELNS1_3gpuE8ELNS1_3repE0EEENS1_30default_config_static_selectorELNS0_4arch9wavefront6targetE1EEEvT1_,"axG",@progbits,_ZN7rocprim17ROCPRIM_400000_NS6detail17trampoline_kernelINS0_14default_configENS1_20scan_config_selectorIiEEZZNS1_9scan_implILNS1_25lookback_scan_determinismE0ELb1ELb1ES3_N6thrust23THRUST_200600_302600_NS6detail15normal_iteratorINS9_10device_ptrIjEEEENSB_INSC_IiEEEEiNS9_4plusIvEEiEEDaPvRmT3_T4_T5_mT6_P12ihipStream_tbENKUlT_T0_E_clISt17integral_constantIbLb1EESW_EEDaSR_SS_EUlSR_E_NS1_11comp_targetILNS1_3genE4ELNS1_11target_archE910ELNS1_3gpuE8ELNS1_3repE0EEENS1_30default_config_static_selectorELNS0_4arch9wavefront6targetE1EEEvT1_,comdat
.Lfunc_end6252:
	.size	_ZN7rocprim17ROCPRIM_400000_NS6detail17trampoline_kernelINS0_14default_configENS1_20scan_config_selectorIiEEZZNS1_9scan_implILNS1_25lookback_scan_determinismE0ELb1ELb1ES3_N6thrust23THRUST_200600_302600_NS6detail15normal_iteratorINS9_10device_ptrIjEEEENSB_INSC_IiEEEEiNS9_4plusIvEEiEEDaPvRmT3_T4_T5_mT6_P12ihipStream_tbENKUlT_T0_E_clISt17integral_constantIbLb1EESW_EEDaSR_SS_EUlSR_E_NS1_11comp_targetILNS1_3genE4ELNS1_11target_archE910ELNS1_3gpuE8ELNS1_3repE0EEENS1_30default_config_static_selectorELNS0_4arch9wavefront6targetE1EEEvT1_, .Lfunc_end6252-_ZN7rocprim17ROCPRIM_400000_NS6detail17trampoline_kernelINS0_14default_configENS1_20scan_config_selectorIiEEZZNS1_9scan_implILNS1_25lookback_scan_determinismE0ELb1ELb1ES3_N6thrust23THRUST_200600_302600_NS6detail15normal_iteratorINS9_10device_ptrIjEEEENSB_INSC_IiEEEEiNS9_4plusIvEEiEEDaPvRmT3_T4_T5_mT6_P12ihipStream_tbENKUlT_T0_E_clISt17integral_constantIbLb1EESW_EEDaSR_SS_EUlSR_E_NS1_11comp_targetILNS1_3genE4ELNS1_11target_archE910ELNS1_3gpuE8ELNS1_3repE0EEENS1_30default_config_static_selectorELNS0_4arch9wavefront6targetE1EEEvT1_
                                        ; -- End function
	.section	.AMDGPU.csdata,"",@progbits
; Kernel info:
; codeLenInByte = 4576
; NumSgprs: 44
; NumVgprs: 41
; NumAgprs: 0
; TotalNumVgprs: 41
; ScratchSize: 0
; MemoryBound: 0
; FloatMode: 240
; IeeeMode: 1
; LDSByteSize: 5120 bytes/workgroup (compile time only)
; SGPRBlocks: 5
; VGPRBlocks: 5
; NumSGPRsForWavesPerEU: 44
; NumVGPRsForWavesPerEU: 41
; AccumOffset: 44
; Occupancy: 6
; WaveLimiterHint : 1
; COMPUTE_PGM_RSRC2:SCRATCH_EN: 0
; COMPUTE_PGM_RSRC2:USER_SGPR: 6
; COMPUTE_PGM_RSRC2:TRAP_HANDLER: 0
; COMPUTE_PGM_RSRC2:TGID_X_EN: 1
; COMPUTE_PGM_RSRC2:TGID_Y_EN: 0
; COMPUTE_PGM_RSRC2:TGID_Z_EN: 0
; COMPUTE_PGM_RSRC2:TIDIG_COMP_CNT: 0
; COMPUTE_PGM_RSRC3_GFX90A:ACCUM_OFFSET: 10
; COMPUTE_PGM_RSRC3_GFX90A:TG_SPLIT: 0
	.section	.text._ZN7rocprim17ROCPRIM_400000_NS6detail17trampoline_kernelINS0_14default_configENS1_20scan_config_selectorIiEEZZNS1_9scan_implILNS1_25lookback_scan_determinismE0ELb1ELb1ES3_N6thrust23THRUST_200600_302600_NS6detail15normal_iteratorINS9_10device_ptrIjEEEENSB_INSC_IiEEEEiNS9_4plusIvEEiEEDaPvRmT3_T4_T5_mT6_P12ihipStream_tbENKUlT_T0_E_clISt17integral_constantIbLb1EESW_EEDaSR_SS_EUlSR_E_NS1_11comp_targetILNS1_3genE3ELNS1_11target_archE908ELNS1_3gpuE7ELNS1_3repE0EEENS1_30default_config_static_selectorELNS0_4arch9wavefront6targetE1EEEvT1_,"axG",@progbits,_ZN7rocprim17ROCPRIM_400000_NS6detail17trampoline_kernelINS0_14default_configENS1_20scan_config_selectorIiEEZZNS1_9scan_implILNS1_25lookback_scan_determinismE0ELb1ELb1ES3_N6thrust23THRUST_200600_302600_NS6detail15normal_iteratorINS9_10device_ptrIjEEEENSB_INSC_IiEEEEiNS9_4plusIvEEiEEDaPvRmT3_T4_T5_mT6_P12ihipStream_tbENKUlT_T0_E_clISt17integral_constantIbLb1EESW_EEDaSR_SS_EUlSR_E_NS1_11comp_targetILNS1_3genE3ELNS1_11target_archE908ELNS1_3gpuE7ELNS1_3repE0EEENS1_30default_config_static_selectorELNS0_4arch9wavefront6targetE1EEEvT1_,comdat
	.protected	_ZN7rocprim17ROCPRIM_400000_NS6detail17trampoline_kernelINS0_14default_configENS1_20scan_config_selectorIiEEZZNS1_9scan_implILNS1_25lookback_scan_determinismE0ELb1ELb1ES3_N6thrust23THRUST_200600_302600_NS6detail15normal_iteratorINS9_10device_ptrIjEEEENSB_INSC_IiEEEEiNS9_4plusIvEEiEEDaPvRmT3_T4_T5_mT6_P12ihipStream_tbENKUlT_T0_E_clISt17integral_constantIbLb1EESW_EEDaSR_SS_EUlSR_E_NS1_11comp_targetILNS1_3genE3ELNS1_11target_archE908ELNS1_3gpuE7ELNS1_3repE0EEENS1_30default_config_static_selectorELNS0_4arch9wavefront6targetE1EEEvT1_ ; -- Begin function _ZN7rocprim17ROCPRIM_400000_NS6detail17trampoline_kernelINS0_14default_configENS1_20scan_config_selectorIiEEZZNS1_9scan_implILNS1_25lookback_scan_determinismE0ELb1ELb1ES3_N6thrust23THRUST_200600_302600_NS6detail15normal_iteratorINS9_10device_ptrIjEEEENSB_INSC_IiEEEEiNS9_4plusIvEEiEEDaPvRmT3_T4_T5_mT6_P12ihipStream_tbENKUlT_T0_E_clISt17integral_constantIbLb1EESW_EEDaSR_SS_EUlSR_E_NS1_11comp_targetILNS1_3genE3ELNS1_11target_archE908ELNS1_3gpuE7ELNS1_3repE0EEENS1_30default_config_static_selectorELNS0_4arch9wavefront6targetE1EEEvT1_
	.globl	_ZN7rocprim17ROCPRIM_400000_NS6detail17trampoline_kernelINS0_14default_configENS1_20scan_config_selectorIiEEZZNS1_9scan_implILNS1_25lookback_scan_determinismE0ELb1ELb1ES3_N6thrust23THRUST_200600_302600_NS6detail15normal_iteratorINS9_10device_ptrIjEEEENSB_INSC_IiEEEEiNS9_4plusIvEEiEEDaPvRmT3_T4_T5_mT6_P12ihipStream_tbENKUlT_T0_E_clISt17integral_constantIbLb1EESW_EEDaSR_SS_EUlSR_E_NS1_11comp_targetILNS1_3genE3ELNS1_11target_archE908ELNS1_3gpuE7ELNS1_3repE0EEENS1_30default_config_static_selectorELNS0_4arch9wavefront6targetE1EEEvT1_
	.p2align	8
	.type	_ZN7rocprim17ROCPRIM_400000_NS6detail17trampoline_kernelINS0_14default_configENS1_20scan_config_selectorIiEEZZNS1_9scan_implILNS1_25lookback_scan_determinismE0ELb1ELb1ES3_N6thrust23THRUST_200600_302600_NS6detail15normal_iteratorINS9_10device_ptrIjEEEENSB_INSC_IiEEEEiNS9_4plusIvEEiEEDaPvRmT3_T4_T5_mT6_P12ihipStream_tbENKUlT_T0_E_clISt17integral_constantIbLb1EESW_EEDaSR_SS_EUlSR_E_NS1_11comp_targetILNS1_3genE3ELNS1_11target_archE908ELNS1_3gpuE7ELNS1_3repE0EEENS1_30default_config_static_selectorELNS0_4arch9wavefront6targetE1EEEvT1_,@function
_ZN7rocprim17ROCPRIM_400000_NS6detail17trampoline_kernelINS0_14default_configENS1_20scan_config_selectorIiEEZZNS1_9scan_implILNS1_25lookback_scan_determinismE0ELb1ELb1ES3_N6thrust23THRUST_200600_302600_NS6detail15normal_iteratorINS9_10device_ptrIjEEEENSB_INSC_IiEEEEiNS9_4plusIvEEiEEDaPvRmT3_T4_T5_mT6_P12ihipStream_tbENKUlT_T0_E_clISt17integral_constantIbLb1EESW_EEDaSR_SS_EUlSR_E_NS1_11comp_targetILNS1_3genE3ELNS1_11target_archE908ELNS1_3gpuE7ELNS1_3repE0EEENS1_30default_config_static_selectorELNS0_4arch9wavefront6targetE1EEEvT1_: ; @_ZN7rocprim17ROCPRIM_400000_NS6detail17trampoline_kernelINS0_14default_configENS1_20scan_config_selectorIiEEZZNS1_9scan_implILNS1_25lookback_scan_determinismE0ELb1ELb1ES3_N6thrust23THRUST_200600_302600_NS6detail15normal_iteratorINS9_10device_ptrIjEEEENSB_INSC_IiEEEEiNS9_4plusIvEEiEEDaPvRmT3_T4_T5_mT6_P12ihipStream_tbENKUlT_T0_E_clISt17integral_constantIbLb1EESW_EEDaSR_SS_EUlSR_E_NS1_11comp_targetILNS1_3genE3ELNS1_11target_archE908ELNS1_3gpuE7ELNS1_3repE0EEENS1_30default_config_static_selectorELNS0_4arch9wavefront6targetE1EEEvT1_
; %bb.0:
	.section	.rodata,"a",@progbits
	.p2align	6, 0x0
	.amdhsa_kernel _ZN7rocprim17ROCPRIM_400000_NS6detail17trampoline_kernelINS0_14default_configENS1_20scan_config_selectorIiEEZZNS1_9scan_implILNS1_25lookback_scan_determinismE0ELb1ELb1ES3_N6thrust23THRUST_200600_302600_NS6detail15normal_iteratorINS9_10device_ptrIjEEEENSB_INSC_IiEEEEiNS9_4plusIvEEiEEDaPvRmT3_T4_T5_mT6_P12ihipStream_tbENKUlT_T0_E_clISt17integral_constantIbLb1EESW_EEDaSR_SS_EUlSR_E_NS1_11comp_targetILNS1_3genE3ELNS1_11target_archE908ELNS1_3gpuE7ELNS1_3repE0EEENS1_30default_config_static_selectorELNS0_4arch9wavefront6targetE1EEEvT1_
		.amdhsa_group_segment_fixed_size 0
		.amdhsa_private_segment_fixed_size 0
		.amdhsa_kernarg_size 96
		.amdhsa_user_sgpr_count 6
		.amdhsa_user_sgpr_private_segment_buffer 1
		.amdhsa_user_sgpr_dispatch_ptr 0
		.amdhsa_user_sgpr_queue_ptr 0
		.amdhsa_user_sgpr_kernarg_segment_ptr 1
		.amdhsa_user_sgpr_dispatch_id 0
		.amdhsa_user_sgpr_flat_scratch_init 0
		.amdhsa_user_sgpr_kernarg_preload_length 0
		.amdhsa_user_sgpr_kernarg_preload_offset 0
		.amdhsa_user_sgpr_private_segment_size 0
		.amdhsa_uses_dynamic_stack 0
		.amdhsa_system_sgpr_private_segment_wavefront_offset 0
		.amdhsa_system_sgpr_workgroup_id_x 1
		.amdhsa_system_sgpr_workgroup_id_y 0
		.amdhsa_system_sgpr_workgroup_id_z 0
		.amdhsa_system_sgpr_workgroup_info 0
		.amdhsa_system_vgpr_workitem_id 0
		.amdhsa_next_free_vgpr 1
		.amdhsa_next_free_sgpr 0
		.amdhsa_accum_offset 4
		.amdhsa_reserve_vcc 0
		.amdhsa_reserve_flat_scratch 0
		.amdhsa_float_round_mode_32 0
		.amdhsa_float_round_mode_16_64 0
		.amdhsa_float_denorm_mode_32 3
		.amdhsa_float_denorm_mode_16_64 3
		.amdhsa_dx10_clamp 1
		.amdhsa_ieee_mode 1
		.amdhsa_fp16_overflow 0
		.amdhsa_tg_split 0
		.amdhsa_exception_fp_ieee_invalid_op 0
		.amdhsa_exception_fp_denorm_src 0
		.amdhsa_exception_fp_ieee_div_zero 0
		.amdhsa_exception_fp_ieee_overflow 0
		.amdhsa_exception_fp_ieee_underflow 0
		.amdhsa_exception_fp_ieee_inexact 0
		.amdhsa_exception_int_div_zero 0
	.end_amdhsa_kernel
	.section	.text._ZN7rocprim17ROCPRIM_400000_NS6detail17trampoline_kernelINS0_14default_configENS1_20scan_config_selectorIiEEZZNS1_9scan_implILNS1_25lookback_scan_determinismE0ELb1ELb1ES3_N6thrust23THRUST_200600_302600_NS6detail15normal_iteratorINS9_10device_ptrIjEEEENSB_INSC_IiEEEEiNS9_4plusIvEEiEEDaPvRmT3_T4_T5_mT6_P12ihipStream_tbENKUlT_T0_E_clISt17integral_constantIbLb1EESW_EEDaSR_SS_EUlSR_E_NS1_11comp_targetILNS1_3genE3ELNS1_11target_archE908ELNS1_3gpuE7ELNS1_3repE0EEENS1_30default_config_static_selectorELNS0_4arch9wavefront6targetE1EEEvT1_,"axG",@progbits,_ZN7rocprim17ROCPRIM_400000_NS6detail17trampoline_kernelINS0_14default_configENS1_20scan_config_selectorIiEEZZNS1_9scan_implILNS1_25lookback_scan_determinismE0ELb1ELb1ES3_N6thrust23THRUST_200600_302600_NS6detail15normal_iteratorINS9_10device_ptrIjEEEENSB_INSC_IiEEEEiNS9_4plusIvEEiEEDaPvRmT3_T4_T5_mT6_P12ihipStream_tbENKUlT_T0_E_clISt17integral_constantIbLb1EESW_EEDaSR_SS_EUlSR_E_NS1_11comp_targetILNS1_3genE3ELNS1_11target_archE908ELNS1_3gpuE7ELNS1_3repE0EEENS1_30default_config_static_selectorELNS0_4arch9wavefront6targetE1EEEvT1_,comdat
.Lfunc_end6253:
	.size	_ZN7rocprim17ROCPRIM_400000_NS6detail17trampoline_kernelINS0_14default_configENS1_20scan_config_selectorIiEEZZNS1_9scan_implILNS1_25lookback_scan_determinismE0ELb1ELb1ES3_N6thrust23THRUST_200600_302600_NS6detail15normal_iteratorINS9_10device_ptrIjEEEENSB_INSC_IiEEEEiNS9_4plusIvEEiEEDaPvRmT3_T4_T5_mT6_P12ihipStream_tbENKUlT_T0_E_clISt17integral_constantIbLb1EESW_EEDaSR_SS_EUlSR_E_NS1_11comp_targetILNS1_3genE3ELNS1_11target_archE908ELNS1_3gpuE7ELNS1_3repE0EEENS1_30default_config_static_selectorELNS0_4arch9wavefront6targetE1EEEvT1_, .Lfunc_end6253-_ZN7rocprim17ROCPRIM_400000_NS6detail17trampoline_kernelINS0_14default_configENS1_20scan_config_selectorIiEEZZNS1_9scan_implILNS1_25lookback_scan_determinismE0ELb1ELb1ES3_N6thrust23THRUST_200600_302600_NS6detail15normal_iteratorINS9_10device_ptrIjEEEENSB_INSC_IiEEEEiNS9_4plusIvEEiEEDaPvRmT3_T4_T5_mT6_P12ihipStream_tbENKUlT_T0_E_clISt17integral_constantIbLb1EESW_EEDaSR_SS_EUlSR_E_NS1_11comp_targetILNS1_3genE3ELNS1_11target_archE908ELNS1_3gpuE7ELNS1_3repE0EEENS1_30default_config_static_selectorELNS0_4arch9wavefront6targetE1EEEvT1_
                                        ; -- End function
	.section	.AMDGPU.csdata,"",@progbits
; Kernel info:
; codeLenInByte = 0
; NumSgprs: 4
; NumVgprs: 0
; NumAgprs: 0
; TotalNumVgprs: 0
; ScratchSize: 0
; MemoryBound: 0
; FloatMode: 240
; IeeeMode: 1
; LDSByteSize: 0 bytes/workgroup (compile time only)
; SGPRBlocks: 0
; VGPRBlocks: 0
; NumSGPRsForWavesPerEU: 4
; NumVGPRsForWavesPerEU: 1
; AccumOffset: 4
; Occupancy: 8
; WaveLimiterHint : 0
; COMPUTE_PGM_RSRC2:SCRATCH_EN: 0
; COMPUTE_PGM_RSRC2:USER_SGPR: 6
; COMPUTE_PGM_RSRC2:TRAP_HANDLER: 0
; COMPUTE_PGM_RSRC2:TGID_X_EN: 1
; COMPUTE_PGM_RSRC2:TGID_Y_EN: 0
; COMPUTE_PGM_RSRC2:TGID_Z_EN: 0
; COMPUTE_PGM_RSRC2:TIDIG_COMP_CNT: 0
; COMPUTE_PGM_RSRC3_GFX90A:ACCUM_OFFSET: 0
; COMPUTE_PGM_RSRC3_GFX90A:TG_SPLIT: 0
	.section	.text._ZN7rocprim17ROCPRIM_400000_NS6detail17trampoline_kernelINS0_14default_configENS1_20scan_config_selectorIiEEZZNS1_9scan_implILNS1_25lookback_scan_determinismE0ELb1ELb1ES3_N6thrust23THRUST_200600_302600_NS6detail15normal_iteratorINS9_10device_ptrIjEEEENSB_INSC_IiEEEEiNS9_4plusIvEEiEEDaPvRmT3_T4_T5_mT6_P12ihipStream_tbENKUlT_T0_E_clISt17integral_constantIbLb1EESW_EEDaSR_SS_EUlSR_E_NS1_11comp_targetILNS1_3genE2ELNS1_11target_archE906ELNS1_3gpuE6ELNS1_3repE0EEENS1_30default_config_static_selectorELNS0_4arch9wavefront6targetE1EEEvT1_,"axG",@progbits,_ZN7rocprim17ROCPRIM_400000_NS6detail17trampoline_kernelINS0_14default_configENS1_20scan_config_selectorIiEEZZNS1_9scan_implILNS1_25lookback_scan_determinismE0ELb1ELb1ES3_N6thrust23THRUST_200600_302600_NS6detail15normal_iteratorINS9_10device_ptrIjEEEENSB_INSC_IiEEEEiNS9_4plusIvEEiEEDaPvRmT3_T4_T5_mT6_P12ihipStream_tbENKUlT_T0_E_clISt17integral_constantIbLb1EESW_EEDaSR_SS_EUlSR_E_NS1_11comp_targetILNS1_3genE2ELNS1_11target_archE906ELNS1_3gpuE6ELNS1_3repE0EEENS1_30default_config_static_selectorELNS0_4arch9wavefront6targetE1EEEvT1_,comdat
	.protected	_ZN7rocprim17ROCPRIM_400000_NS6detail17trampoline_kernelINS0_14default_configENS1_20scan_config_selectorIiEEZZNS1_9scan_implILNS1_25lookback_scan_determinismE0ELb1ELb1ES3_N6thrust23THRUST_200600_302600_NS6detail15normal_iteratorINS9_10device_ptrIjEEEENSB_INSC_IiEEEEiNS9_4plusIvEEiEEDaPvRmT3_T4_T5_mT6_P12ihipStream_tbENKUlT_T0_E_clISt17integral_constantIbLb1EESW_EEDaSR_SS_EUlSR_E_NS1_11comp_targetILNS1_3genE2ELNS1_11target_archE906ELNS1_3gpuE6ELNS1_3repE0EEENS1_30default_config_static_selectorELNS0_4arch9wavefront6targetE1EEEvT1_ ; -- Begin function _ZN7rocprim17ROCPRIM_400000_NS6detail17trampoline_kernelINS0_14default_configENS1_20scan_config_selectorIiEEZZNS1_9scan_implILNS1_25lookback_scan_determinismE0ELb1ELb1ES3_N6thrust23THRUST_200600_302600_NS6detail15normal_iteratorINS9_10device_ptrIjEEEENSB_INSC_IiEEEEiNS9_4plusIvEEiEEDaPvRmT3_T4_T5_mT6_P12ihipStream_tbENKUlT_T0_E_clISt17integral_constantIbLb1EESW_EEDaSR_SS_EUlSR_E_NS1_11comp_targetILNS1_3genE2ELNS1_11target_archE906ELNS1_3gpuE6ELNS1_3repE0EEENS1_30default_config_static_selectorELNS0_4arch9wavefront6targetE1EEEvT1_
	.globl	_ZN7rocprim17ROCPRIM_400000_NS6detail17trampoline_kernelINS0_14default_configENS1_20scan_config_selectorIiEEZZNS1_9scan_implILNS1_25lookback_scan_determinismE0ELb1ELb1ES3_N6thrust23THRUST_200600_302600_NS6detail15normal_iteratorINS9_10device_ptrIjEEEENSB_INSC_IiEEEEiNS9_4plusIvEEiEEDaPvRmT3_T4_T5_mT6_P12ihipStream_tbENKUlT_T0_E_clISt17integral_constantIbLb1EESW_EEDaSR_SS_EUlSR_E_NS1_11comp_targetILNS1_3genE2ELNS1_11target_archE906ELNS1_3gpuE6ELNS1_3repE0EEENS1_30default_config_static_selectorELNS0_4arch9wavefront6targetE1EEEvT1_
	.p2align	8
	.type	_ZN7rocprim17ROCPRIM_400000_NS6detail17trampoline_kernelINS0_14default_configENS1_20scan_config_selectorIiEEZZNS1_9scan_implILNS1_25lookback_scan_determinismE0ELb1ELb1ES3_N6thrust23THRUST_200600_302600_NS6detail15normal_iteratorINS9_10device_ptrIjEEEENSB_INSC_IiEEEEiNS9_4plusIvEEiEEDaPvRmT3_T4_T5_mT6_P12ihipStream_tbENKUlT_T0_E_clISt17integral_constantIbLb1EESW_EEDaSR_SS_EUlSR_E_NS1_11comp_targetILNS1_3genE2ELNS1_11target_archE906ELNS1_3gpuE6ELNS1_3repE0EEENS1_30default_config_static_selectorELNS0_4arch9wavefront6targetE1EEEvT1_,@function
_ZN7rocprim17ROCPRIM_400000_NS6detail17trampoline_kernelINS0_14default_configENS1_20scan_config_selectorIiEEZZNS1_9scan_implILNS1_25lookback_scan_determinismE0ELb1ELb1ES3_N6thrust23THRUST_200600_302600_NS6detail15normal_iteratorINS9_10device_ptrIjEEEENSB_INSC_IiEEEEiNS9_4plusIvEEiEEDaPvRmT3_T4_T5_mT6_P12ihipStream_tbENKUlT_T0_E_clISt17integral_constantIbLb1EESW_EEDaSR_SS_EUlSR_E_NS1_11comp_targetILNS1_3genE2ELNS1_11target_archE906ELNS1_3gpuE6ELNS1_3repE0EEENS1_30default_config_static_selectorELNS0_4arch9wavefront6targetE1EEEvT1_: ; @_ZN7rocprim17ROCPRIM_400000_NS6detail17trampoline_kernelINS0_14default_configENS1_20scan_config_selectorIiEEZZNS1_9scan_implILNS1_25lookback_scan_determinismE0ELb1ELb1ES3_N6thrust23THRUST_200600_302600_NS6detail15normal_iteratorINS9_10device_ptrIjEEEENSB_INSC_IiEEEEiNS9_4plusIvEEiEEDaPvRmT3_T4_T5_mT6_P12ihipStream_tbENKUlT_T0_E_clISt17integral_constantIbLb1EESW_EEDaSR_SS_EUlSR_E_NS1_11comp_targetILNS1_3genE2ELNS1_11target_archE906ELNS1_3gpuE6ELNS1_3repE0EEENS1_30default_config_static_selectorELNS0_4arch9wavefront6targetE1EEEvT1_
; %bb.0:
	.section	.rodata,"a",@progbits
	.p2align	6, 0x0
	.amdhsa_kernel _ZN7rocprim17ROCPRIM_400000_NS6detail17trampoline_kernelINS0_14default_configENS1_20scan_config_selectorIiEEZZNS1_9scan_implILNS1_25lookback_scan_determinismE0ELb1ELb1ES3_N6thrust23THRUST_200600_302600_NS6detail15normal_iteratorINS9_10device_ptrIjEEEENSB_INSC_IiEEEEiNS9_4plusIvEEiEEDaPvRmT3_T4_T5_mT6_P12ihipStream_tbENKUlT_T0_E_clISt17integral_constantIbLb1EESW_EEDaSR_SS_EUlSR_E_NS1_11comp_targetILNS1_3genE2ELNS1_11target_archE906ELNS1_3gpuE6ELNS1_3repE0EEENS1_30default_config_static_selectorELNS0_4arch9wavefront6targetE1EEEvT1_
		.amdhsa_group_segment_fixed_size 0
		.amdhsa_private_segment_fixed_size 0
		.amdhsa_kernarg_size 96
		.amdhsa_user_sgpr_count 6
		.amdhsa_user_sgpr_private_segment_buffer 1
		.amdhsa_user_sgpr_dispatch_ptr 0
		.amdhsa_user_sgpr_queue_ptr 0
		.amdhsa_user_sgpr_kernarg_segment_ptr 1
		.amdhsa_user_sgpr_dispatch_id 0
		.amdhsa_user_sgpr_flat_scratch_init 0
		.amdhsa_user_sgpr_kernarg_preload_length 0
		.amdhsa_user_sgpr_kernarg_preload_offset 0
		.amdhsa_user_sgpr_private_segment_size 0
		.amdhsa_uses_dynamic_stack 0
		.amdhsa_system_sgpr_private_segment_wavefront_offset 0
		.amdhsa_system_sgpr_workgroup_id_x 1
		.amdhsa_system_sgpr_workgroup_id_y 0
		.amdhsa_system_sgpr_workgroup_id_z 0
		.amdhsa_system_sgpr_workgroup_info 0
		.amdhsa_system_vgpr_workitem_id 0
		.amdhsa_next_free_vgpr 1
		.amdhsa_next_free_sgpr 0
		.amdhsa_accum_offset 4
		.amdhsa_reserve_vcc 0
		.amdhsa_reserve_flat_scratch 0
		.amdhsa_float_round_mode_32 0
		.amdhsa_float_round_mode_16_64 0
		.amdhsa_float_denorm_mode_32 3
		.amdhsa_float_denorm_mode_16_64 3
		.amdhsa_dx10_clamp 1
		.amdhsa_ieee_mode 1
		.amdhsa_fp16_overflow 0
		.amdhsa_tg_split 0
		.amdhsa_exception_fp_ieee_invalid_op 0
		.amdhsa_exception_fp_denorm_src 0
		.amdhsa_exception_fp_ieee_div_zero 0
		.amdhsa_exception_fp_ieee_overflow 0
		.amdhsa_exception_fp_ieee_underflow 0
		.amdhsa_exception_fp_ieee_inexact 0
		.amdhsa_exception_int_div_zero 0
	.end_amdhsa_kernel
	.section	.text._ZN7rocprim17ROCPRIM_400000_NS6detail17trampoline_kernelINS0_14default_configENS1_20scan_config_selectorIiEEZZNS1_9scan_implILNS1_25lookback_scan_determinismE0ELb1ELb1ES3_N6thrust23THRUST_200600_302600_NS6detail15normal_iteratorINS9_10device_ptrIjEEEENSB_INSC_IiEEEEiNS9_4plusIvEEiEEDaPvRmT3_T4_T5_mT6_P12ihipStream_tbENKUlT_T0_E_clISt17integral_constantIbLb1EESW_EEDaSR_SS_EUlSR_E_NS1_11comp_targetILNS1_3genE2ELNS1_11target_archE906ELNS1_3gpuE6ELNS1_3repE0EEENS1_30default_config_static_selectorELNS0_4arch9wavefront6targetE1EEEvT1_,"axG",@progbits,_ZN7rocprim17ROCPRIM_400000_NS6detail17trampoline_kernelINS0_14default_configENS1_20scan_config_selectorIiEEZZNS1_9scan_implILNS1_25lookback_scan_determinismE0ELb1ELb1ES3_N6thrust23THRUST_200600_302600_NS6detail15normal_iteratorINS9_10device_ptrIjEEEENSB_INSC_IiEEEEiNS9_4plusIvEEiEEDaPvRmT3_T4_T5_mT6_P12ihipStream_tbENKUlT_T0_E_clISt17integral_constantIbLb1EESW_EEDaSR_SS_EUlSR_E_NS1_11comp_targetILNS1_3genE2ELNS1_11target_archE906ELNS1_3gpuE6ELNS1_3repE0EEENS1_30default_config_static_selectorELNS0_4arch9wavefront6targetE1EEEvT1_,comdat
.Lfunc_end6254:
	.size	_ZN7rocprim17ROCPRIM_400000_NS6detail17trampoline_kernelINS0_14default_configENS1_20scan_config_selectorIiEEZZNS1_9scan_implILNS1_25lookback_scan_determinismE0ELb1ELb1ES3_N6thrust23THRUST_200600_302600_NS6detail15normal_iteratorINS9_10device_ptrIjEEEENSB_INSC_IiEEEEiNS9_4plusIvEEiEEDaPvRmT3_T4_T5_mT6_P12ihipStream_tbENKUlT_T0_E_clISt17integral_constantIbLb1EESW_EEDaSR_SS_EUlSR_E_NS1_11comp_targetILNS1_3genE2ELNS1_11target_archE906ELNS1_3gpuE6ELNS1_3repE0EEENS1_30default_config_static_selectorELNS0_4arch9wavefront6targetE1EEEvT1_, .Lfunc_end6254-_ZN7rocprim17ROCPRIM_400000_NS6detail17trampoline_kernelINS0_14default_configENS1_20scan_config_selectorIiEEZZNS1_9scan_implILNS1_25lookback_scan_determinismE0ELb1ELb1ES3_N6thrust23THRUST_200600_302600_NS6detail15normal_iteratorINS9_10device_ptrIjEEEENSB_INSC_IiEEEEiNS9_4plusIvEEiEEDaPvRmT3_T4_T5_mT6_P12ihipStream_tbENKUlT_T0_E_clISt17integral_constantIbLb1EESW_EEDaSR_SS_EUlSR_E_NS1_11comp_targetILNS1_3genE2ELNS1_11target_archE906ELNS1_3gpuE6ELNS1_3repE0EEENS1_30default_config_static_selectorELNS0_4arch9wavefront6targetE1EEEvT1_
                                        ; -- End function
	.section	.AMDGPU.csdata,"",@progbits
; Kernel info:
; codeLenInByte = 0
; NumSgprs: 4
; NumVgprs: 0
; NumAgprs: 0
; TotalNumVgprs: 0
; ScratchSize: 0
; MemoryBound: 0
; FloatMode: 240
; IeeeMode: 1
; LDSByteSize: 0 bytes/workgroup (compile time only)
; SGPRBlocks: 0
; VGPRBlocks: 0
; NumSGPRsForWavesPerEU: 4
; NumVGPRsForWavesPerEU: 1
; AccumOffset: 4
; Occupancy: 8
; WaveLimiterHint : 0
; COMPUTE_PGM_RSRC2:SCRATCH_EN: 0
; COMPUTE_PGM_RSRC2:USER_SGPR: 6
; COMPUTE_PGM_RSRC2:TRAP_HANDLER: 0
; COMPUTE_PGM_RSRC2:TGID_X_EN: 1
; COMPUTE_PGM_RSRC2:TGID_Y_EN: 0
; COMPUTE_PGM_RSRC2:TGID_Z_EN: 0
; COMPUTE_PGM_RSRC2:TIDIG_COMP_CNT: 0
; COMPUTE_PGM_RSRC3_GFX90A:ACCUM_OFFSET: 0
; COMPUTE_PGM_RSRC3_GFX90A:TG_SPLIT: 0
	.section	.text._ZN7rocprim17ROCPRIM_400000_NS6detail17trampoline_kernelINS0_14default_configENS1_20scan_config_selectorIiEEZZNS1_9scan_implILNS1_25lookback_scan_determinismE0ELb1ELb1ES3_N6thrust23THRUST_200600_302600_NS6detail15normal_iteratorINS9_10device_ptrIjEEEENSB_INSC_IiEEEEiNS9_4plusIvEEiEEDaPvRmT3_T4_T5_mT6_P12ihipStream_tbENKUlT_T0_E_clISt17integral_constantIbLb1EESW_EEDaSR_SS_EUlSR_E_NS1_11comp_targetILNS1_3genE10ELNS1_11target_archE1201ELNS1_3gpuE5ELNS1_3repE0EEENS1_30default_config_static_selectorELNS0_4arch9wavefront6targetE1EEEvT1_,"axG",@progbits,_ZN7rocprim17ROCPRIM_400000_NS6detail17trampoline_kernelINS0_14default_configENS1_20scan_config_selectorIiEEZZNS1_9scan_implILNS1_25lookback_scan_determinismE0ELb1ELb1ES3_N6thrust23THRUST_200600_302600_NS6detail15normal_iteratorINS9_10device_ptrIjEEEENSB_INSC_IiEEEEiNS9_4plusIvEEiEEDaPvRmT3_T4_T5_mT6_P12ihipStream_tbENKUlT_T0_E_clISt17integral_constantIbLb1EESW_EEDaSR_SS_EUlSR_E_NS1_11comp_targetILNS1_3genE10ELNS1_11target_archE1201ELNS1_3gpuE5ELNS1_3repE0EEENS1_30default_config_static_selectorELNS0_4arch9wavefront6targetE1EEEvT1_,comdat
	.protected	_ZN7rocprim17ROCPRIM_400000_NS6detail17trampoline_kernelINS0_14default_configENS1_20scan_config_selectorIiEEZZNS1_9scan_implILNS1_25lookback_scan_determinismE0ELb1ELb1ES3_N6thrust23THRUST_200600_302600_NS6detail15normal_iteratorINS9_10device_ptrIjEEEENSB_INSC_IiEEEEiNS9_4plusIvEEiEEDaPvRmT3_T4_T5_mT6_P12ihipStream_tbENKUlT_T0_E_clISt17integral_constantIbLb1EESW_EEDaSR_SS_EUlSR_E_NS1_11comp_targetILNS1_3genE10ELNS1_11target_archE1201ELNS1_3gpuE5ELNS1_3repE0EEENS1_30default_config_static_selectorELNS0_4arch9wavefront6targetE1EEEvT1_ ; -- Begin function _ZN7rocprim17ROCPRIM_400000_NS6detail17trampoline_kernelINS0_14default_configENS1_20scan_config_selectorIiEEZZNS1_9scan_implILNS1_25lookback_scan_determinismE0ELb1ELb1ES3_N6thrust23THRUST_200600_302600_NS6detail15normal_iteratorINS9_10device_ptrIjEEEENSB_INSC_IiEEEEiNS9_4plusIvEEiEEDaPvRmT3_T4_T5_mT6_P12ihipStream_tbENKUlT_T0_E_clISt17integral_constantIbLb1EESW_EEDaSR_SS_EUlSR_E_NS1_11comp_targetILNS1_3genE10ELNS1_11target_archE1201ELNS1_3gpuE5ELNS1_3repE0EEENS1_30default_config_static_selectorELNS0_4arch9wavefront6targetE1EEEvT1_
	.globl	_ZN7rocprim17ROCPRIM_400000_NS6detail17trampoline_kernelINS0_14default_configENS1_20scan_config_selectorIiEEZZNS1_9scan_implILNS1_25lookback_scan_determinismE0ELb1ELb1ES3_N6thrust23THRUST_200600_302600_NS6detail15normal_iteratorINS9_10device_ptrIjEEEENSB_INSC_IiEEEEiNS9_4plusIvEEiEEDaPvRmT3_T4_T5_mT6_P12ihipStream_tbENKUlT_T0_E_clISt17integral_constantIbLb1EESW_EEDaSR_SS_EUlSR_E_NS1_11comp_targetILNS1_3genE10ELNS1_11target_archE1201ELNS1_3gpuE5ELNS1_3repE0EEENS1_30default_config_static_selectorELNS0_4arch9wavefront6targetE1EEEvT1_
	.p2align	8
	.type	_ZN7rocprim17ROCPRIM_400000_NS6detail17trampoline_kernelINS0_14default_configENS1_20scan_config_selectorIiEEZZNS1_9scan_implILNS1_25lookback_scan_determinismE0ELb1ELb1ES3_N6thrust23THRUST_200600_302600_NS6detail15normal_iteratorINS9_10device_ptrIjEEEENSB_INSC_IiEEEEiNS9_4plusIvEEiEEDaPvRmT3_T4_T5_mT6_P12ihipStream_tbENKUlT_T0_E_clISt17integral_constantIbLb1EESW_EEDaSR_SS_EUlSR_E_NS1_11comp_targetILNS1_3genE10ELNS1_11target_archE1201ELNS1_3gpuE5ELNS1_3repE0EEENS1_30default_config_static_selectorELNS0_4arch9wavefront6targetE1EEEvT1_,@function
_ZN7rocprim17ROCPRIM_400000_NS6detail17trampoline_kernelINS0_14default_configENS1_20scan_config_selectorIiEEZZNS1_9scan_implILNS1_25lookback_scan_determinismE0ELb1ELb1ES3_N6thrust23THRUST_200600_302600_NS6detail15normal_iteratorINS9_10device_ptrIjEEEENSB_INSC_IiEEEEiNS9_4plusIvEEiEEDaPvRmT3_T4_T5_mT6_P12ihipStream_tbENKUlT_T0_E_clISt17integral_constantIbLb1EESW_EEDaSR_SS_EUlSR_E_NS1_11comp_targetILNS1_3genE10ELNS1_11target_archE1201ELNS1_3gpuE5ELNS1_3repE0EEENS1_30default_config_static_selectorELNS0_4arch9wavefront6targetE1EEEvT1_: ; @_ZN7rocprim17ROCPRIM_400000_NS6detail17trampoline_kernelINS0_14default_configENS1_20scan_config_selectorIiEEZZNS1_9scan_implILNS1_25lookback_scan_determinismE0ELb1ELb1ES3_N6thrust23THRUST_200600_302600_NS6detail15normal_iteratorINS9_10device_ptrIjEEEENSB_INSC_IiEEEEiNS9_4plusIvEEiEEDaPvRmT3_T4_T5_mT6_P12ihipStream_tbENKUlT_T0_E_clISt17integral_constantIbLb1EESW_EEDaSR_SS_EUlSR_E_NS1_11comp_targetILNS1_3genE10ELNS1_11target_archE1201ELNS1_3gpuE5ELNS1_3repE0EEENS1_30default_config_static_selectorELNS0_4arch9wavefront6targetE1EEEvT1_
; %bb.0:
	.section	.rodata,"a",@progbits
	.p2align	6, 0x0
	.amdhsa_kernel _ZN7rocprim17ROCPRIM_400000_NS6detail17trampoline_kernelINS0_14default_configENS1_20scan_config_selectorIiEEZZNS1_9scan_implILNS1_25lookback_scan_determinismE0ELb1ELb1ES3_N6thrust23THRUST_200600_302600_NS6detail15normal_iteratorINS9_10device_ptrIjEEEENSB_INSC_IiEEEEiNS9_4plusIvEEiEEDaPvRmT3_T4_T5_mT6_P12ihipStream_tbENKUlT_T0_E_clISt17integral_constantIbLb1EESW_EEDaSR_SS_EUlSR_E_NS1_11comp_targetILNS1_3genE10ELNS1_11target_archE1201ELNS1_3gpuE5ELNS1_3repE0EEENS1_30default_config_static_selectorELNS0_4arch9wavefront6targetE1EEEvT1_
		.amdhsa_group_segment_fixed_size 0
		.amdhsa_private_segment_fixed_size 0
		.amdhsa_kernarg_size 96
		.amdhsa_user_sgpr_count 6
		.amdhsa_user_sgpr_private_segment_buffer 1
		.amdhsa_user_sgpr_dispatch_ptr 0
		.amdhsa_user_sgpr_queue_ptr 0
		.amdhsa_user_sgpr_kernarg_segment_ptr 1
		.amdhsa_user_sgpr_dispatch_id 0
		.amdhsa_user_sgpr_flat_scratch_init 0
		.amdhsa_user_sgpr_kernarg_preload_length 0
		.amdhsa_user_sgpr_kernarg_preload_offset 0
		.amdhsa_user_sgpr_private_segment_size 0
		.amdhsa_uses_dynamic_stack 0
		.amdhsa_system_sgpr_private_segment_wavefront_offset 0
		.amdhsa_system_sgpr_workgroup_id_x 1
		.amdhsa_system_sgpr_workgroup_id_y 0
		.amdhsa_system_sgpr_workgroup_id_z 0
		.amdhsa_system_sgpr_workgroup_info 0
		.amdhsa_system_vgpr_workitem_id 0
		.amdhsa_next_free_vgpr 1
		.amdhsa_next_free_sgpr 0
		.amdhsa_accum_offset 4
		.amdhsa_reserve_vcc 0
		.amdhsa_reserve_flat_scratch 0
		.amdhsa_float_round_mode_32 0
		.amdhsa_float_round_mode_16_64 0
		.amdhsa_float_denorm_mode_32 3
		.amdhsa_float_denorm_mode_16_64 3
		.amdhsa_dx10_clamp 1
		.amdhsa_ieee_mode 1
		.amdhsa_fp16_overflow 0
		.amdhsa_tg_split 0
		.amdhsa_exception_fp_ieee_invalid_op 0
		.amdhsa_exception_fp_denorm_src 0
		.amdhsa_exception_fp_ieee_div_zero 0
		.amdhsa_exception_fp_ieee_overflow 0
		.amdhsa_exception_fp_ieee_underflow 0
		.amdhsa_exception_fp_ieee_inexact 0
		.amdhsa_exception_int_div_zero 0
	.end_amdhsa_kernel
	.section	.text._ZN7rocprim17ROCPRIM_400000_NS6detail17trampoline_kernelINS0_14default_configENS1_20scan_config_selectorIiEEZZNS1_9scan_implILNS1_25lookback_scan_determinismE0ELb1ELb1ES3_N6thrust23THRUST_200600_302600_NS6detail15normal_iteratorINS9_10device_ptrIjEEEENSB_INSC_IiEEEEiNS9_4plusIvEEiEEDaPvRmT3_T4_T5_mT6_P12ihipStream_tbENKUlT_T0_E_clISt17integral_constantIbLb1EESW_EEDaSR_SS_EUlSR_E_NS1_11comp_targetILNS1_3genE10ELNS1_11target_archE1201ELNS1_3gpuE5ELNS1_3repE0EEENS1_30default_config_static_selectorELNS0_4arch9wavefront6targetE1EEEvT1_,"axG",@progbits,_ZN7rocprim17ROCPRIM_400000_NS6detail17trampoline_kernelINS0_14default_configENS1_20scan_config_selectorIiEEZZNS1_9scan_implILNS1_25lookback_scan_determinismE0ELb1ELb1ES3_N6thrust23THRUST_200600_302600_NS6detail15normal_iteratorINS9_10device_ptrIjEEEENSB_INSC_IiEEEEiNS9_4plusIvEEiEEDaPvRmT3_T4_T5_mT6_P12ihipStream_tbENKUlT_T0_E_clISt17integral_constantIbLb1EESW_EEDaSR_SS_EUlSR_E_NS1_11comp_targetILNS1_3genE10ELNS1_11target_archE1201ELNS1_3gpuE5ELNS1_3repE0EEENS1_30default_config_static_selectorELNS0_4arch9wavefront6targetE1EEEvT1_,comdat
.Lfunc_end6255:
	.size	_ZN7rocprim17ROCPRIM_400000_NS6detail17trampoline_kernelINS0_14default_configENS1_20scan_config_selectorIiEEZZNS1_9scan_implILNS1_25lookback_scan_determinismE0ELb1ELb1ES3_N6thrust23THRUST_200600_302600_NS6detail15normal_iteratorINS9_10device_ptrIjEEEENSB_INSC_IiEEEEiNS9_4plusIvEEiEEDaPvRmT3_T4_T5_mT6_P12ihipStream_tbENKUlT_T0_E_clISt17integral_constantIbLb1EESW_EEDaSR_SS_EUlSR_E_NS1_11comp_targetILNS1_3genE10ELNS1_11target_archE1201ELNS1_3gpuE5ELNS1_3repE0EEENS1_30default_config_static_selectorELNS0_4arch9wavefront6targetE1EEEvT1_, .Lfunc_end6255-_ZN7rocprim17ROCPRIM_400000_NS6detail17trampoline_kernelINS0_14default_configENS1_20scan_config_selectorIiEEZZNS1_9scan_implILNS1_25lookback_scan_determinismE0ELb1ELb1ES3_N6thrust23THRUST_200600_302600_NS6detail15normal_iteratorINS9_10device_ptrIjEEEENSB_INSC_IiEEEEiNS9_4plusIvEEiEEDaPvRmT3_T4_T5_mT6_P12ihipStream_tbENKUlT_T0_E_clISt17integral_constantIbLb1EESW_EEDaSR_SS_EUlSR_E_NS1_11comp_targetILNS1_3genE10ELNS1_11target_archE1201ELNS1_3gpuE5ELNS1_3repE0EEENS1_30default_config_static_selectorELNS0_4arch9wavefront6targetE1EEEvT1_
                                        ; -- End function
	.section	.AMDGPU.csdata,"",@progbits
; Kernel info:
; codeLenInByte = 0
; NumSgprs: 4
; NumVgprs: 0
; NumAgprs: 0
; TotalNumVgprs: 0
; ScratchSize: 0
; MemoryBound: 0
; FloatMode: 240
; IeeeMode: 1
; LDSByteSize: 0 bytes/workgroup (compile time only)
; SGPRBlocks: 0
; VGPRBlocks: 0
; NumSGPRsForWavesPerEU: 4
; NumVGPRsForWavesPerEU: 1
; AccumOffset: 4
; Occupancy: 8
; WaveLimiterHint : 0
; COMPUTE_PGM_RSRC2:SCRATCH_EN: 0
; COMPUTE_PGM_RSRC2:USER_SGPR: 6
; COMPUTE_PGM_RSRC2:TRAP_HANDLER: 0
; COMPUTE_PGM_RSRC2:TGID_X_EN: 1
; COMPUTE_PGM_RSRC2:TGID_Y_EN: 0
; COMPUTE_PGM_RSRC2:TGID_Z_EN: 0
; COMPUTE_PGM_RSRC2:TIDIG_COMP_CNT: 0
; COMPUTE_PGM_RSRC3_GFX90A:ACCUM_OFFSET: 0
; COMPUTE_PGM_RSRC3_GFX90A:TG_SPLIT: 0
	.section	.text._ZN7rocprim17ROCPRIM_400000_NS6detail17trampoline_kernelINS0_14default_configENS1_20scan_config_selectorIiEEZZNS1_9scan_implILNS1_25lookback_scan_determinismE0ELb1ELb1ES3_N6thrust23THRUST_200600_302600_NS6detail15normal_iteratorINS9_10device_ptrIjEEEENSB_INSC_IiEEEEiNS9_4plusIvEEiEEDaPvRmT3_T4_T5_mT6_P12ihipStream_tbENKUlT_T0_E_clISt17integral_constantIbLb1EESW_EEDaSR_SS_EUlSR_E_NS1_11comp_targetILNS1_3genE10ELNS1_11target_archE1200ELNS1_3gpuE4ELNS1_3repE0EEENS1_30default_config_static_selectorELNS0_4arch9wavefront6targetE1EEEvT1_,"axG",@progbits,_ZN7rocprim17ROCPRIM_400000_NS6detail17trampoline_kernelINS0_14default_configENS1_20scan_config_selectorIiEEZZNS1_9scan_implILNS1_25lookback_scan_determinismE0ELb1ELb1ES3_N6thrust23THRUST_200600_302600_NS6detail15normal_iteratorINS9_10device_ptrIjEEEENSB_INSC_IiEEEEiNS9_4plusIvEEiEEDaPvRmT3_T4_T5_mT6_P12ihipStream_tbENKUlT_T0_E_clISt17integral_constantIbLb1EESW_EEDaSR_SS_EUlSR_E_NS1_11comp_targetILNS1_3genE10ELNS1_11target_archE1200ELNS1_3gpuE4ELNS1_3repE0EEENS1_30default_config_static_selectorELNS0_4arch9wavefront6targetE1EEEvT1_,comdat
	.protected	_ZN7rocprim17ROCPRIM_400000_NS6detail17trampoline_kernelINS0_14default_configENS1_20scan_config_selectorIiEEZZNS1_9scan_implILNS1_25lookback_scan_determinismE0ELb1ELb1ES3_N6thrust23THRUST_200600_302600_NS6detail15normal_iteratorINS9_10device_ptrIjEEEENSB_INSC_IiEEEEiNS9_4plusIvEEiEEDaPvRmT3_T4_T5_mT6_P12ihipStream_tbENKUlT_T0_E_clISt17integral_constantIbLb1EESW_EEDaSR_SS_EUlSR_E_NS1_11comp_targetILNS1_3genE10ELNS1_11target_archE1200ELNS1_3gpuE4ELNS1_3repE0EEENS1_30default_config_static_selectorELNS0_4arch9wavefront6targetE1EEEvT1_ ; -- Begin function _ZN7rocprim17ROCPRIM_400000_NS6detail17trampoline_kernelINS0_14default_configENS1_20scan_config_selectorIiEEZZNS1_9scan_implILNS1_25lookback_scan_determinismE0ELb1ELb1ES3_N6thrust23THRUST_200600_302600_NS6detail15normal_iteratorINS9_10device_ptrIjEEEENSB_INSC_IiEEEEiNS9_4plusIvEEiEEDaPvRmT3_T4_T5_mT6_P12ihipStream_tbENKUlT_T0_E_clISt17integral_constantIbLb1EESW_EEDaSR_SS_EUlSR_E_NS1_11comp_targetILNS1_3genE10ELNS1_11target_archE1200ELNS1_3gpuE4ELNS1_3repE0EEENS1_30default_config_static_selectorELNS0_4arch9wavefront6targetE1EEEvT1_
	.globl	_ZN7rocprim17ROCPRIM_400000_NS6detail17trampoline_kernelINS0_14default_configENS1_20scan_config_selectorIiEEZZNS1_9scan_implILNS1_25lookback_scan_determinismE0ELb1ELb1ES3_N6thrust23THRUST_200600_302600_NS6detail15normal_iteratorINS9_10device_ptrIjEEEENSB_INSC_IiEEEEiNS9_4plusIvEEiEEDaPvRmT3_T4_T5_mT6_P12ihipStream_tbENKUlT_T0_E_clISt17integral_constantIbLb1EESW_EEDaSR_SS_EUlSR_E_NS1_11comp_targetILNS1_3genE10ELNS1_11target_archE1200ELNS1_3gpuE4ELNS1_3repE0EEENS1_30default_config_static_selectorELNS0_4arch9wavefront6targetE1EEEvT1_
	.p2align	8
	.type	_ZN7rocprim17ROCPRIM_400000_NS6detail17trampoline_kernelINS0_14default_configENS1_20scan_config_selectorIiEEZZNS1_9scan_implILNS1_25lookback_scan_determinismE0ELb1ELb1ES3_N6thrust23THRUST_200600_302600_NS6detail15normal_iteratorINS9_10device_ptrIjEEEENSB_INSC_IiEEEEiNS9_4plusIvEEiEEDaPvRmT3_T4_T5_mT6_P12ihipStream_tbENKUlT_T0_E_clISt17integral_constantIbLb1EESW_EEDaSR_SS_EUlSR_E_NS1_11comp_targetILNS1_3genE10ELNS1_11target_archE1200ELNS1_3gpuE4ELNS1_3repE0EEENS1_30default_config_static_selectorELNS0_4arch9wavefront6targetE1EEEvT1_,@function
_ZN7rocprim17ROCPRIM_400000_NS6detail17trampoline_kernelINS0_14default_configENS1_20scan_config_selectorIiEEZZNS1_9scan_implILNS1_25lookback_scan_determinismE0ELb1ELb1ES3_N6thrust23THRUST_200600_302600_NS6detail15normal_iteratorINS9_10device_ptrIjEEEENSB_INSC_IiEEEEiNS9_4plusIvEEiEEDaPvRmT3_T4_T5_mT6_P12ihipStream_tbENKUlT_T0_E_clISt17integral_constantIbLb1EESW_EEDaSR_SS_EUlSR_E_NS1_11comp_targetILNS1_3genE10ELNS1_11target_archE1200ELNS1_3gpuE4ELNS1_3repE0EEENS1_30default_config_static_selectorELNS0_4arch9wavefront6targetE1EEEvT1_: ; @_ZN7rocprim17ROCPRIM_400000_NS6detail17trampoline_kernelINS0_14default_configENS1_20scan_config_selectorIiEEZZNS1_9scan_implILNS1_25lookback_scan_determinismE0ELb1ELb1ES3_N6thrust23THRUST_200600_302600_NS6detail15normal_iteratorINS9_10device_ptrIjEEEENSB_INSC_IiEEEEiNS9_4plusIvEEiEEDaPvRmT3_T4_T5_mT6_P12ihipStream_tbENKUlT_T0_E_clISt17integral_constantIbLb1EESW_EEDaSR_SS_EUlSR_E_NS1_11comp_targetILNS1_3genE10ELNS1_11target_archE1200ELNS1_3gpuE4ELNS1_3repE0EEENS1_30default_config_static_selectorELNS0_4arch9wavefront6targetE1EEEvT1_
; %bb.0:
	.section	.rodata,"a",@progbits
	.p2align	6, 0x0
	.amdhsa_kernel _ZN7rocprim17ROCPRIM_400000_NS6detail17trampoline_kernelINS0_14default_configENS1_20scan_config_selectorIiEEZZNS1_9scan_implILNS1_25lookback_scan_determinismE0ELb1ELb1ES3_N6thrust23THRUST_200600_302600_NS6detail15normal_iteratorINS9_10device_ptrIjEEEENSB_INSC_IiEEEEiNS9_4plusIvEEiEEDaPvRmT3_T4_T5_mT6_P12ihipStream_tbENKUlT_T0_E_clISt17integral_constantIbLb1EESW_EEDaSR_SS_EUlSR_E_NS1_11comp_targetILNS1_3genE10ELNS1_11target_archE1200ELNS1_3gpuE4ELNS1_3repE0EEENS1_30default_config_static_selectorELNS0_4arch9wavefront6targetE1EEEvT1_
		.amdhsa_group_segment_fixed_size 0
		.amdhsa_private_segment_fixed_size 0
		.amdhsa_kernarg_size 96
		.amdhsa_user_sgpr_count 6
		.amdhsa_user_sgpr_private_segment_buffer 1
		.amdhsa_user_sgpr_dispatch_ptr 0
		.amdhsa_user_sgpr_queue_ptr 0
		.amdhsa_user_sgpr_kernarg_segment_ptr 1
		.amdhsa_user_sgpr_dispatch_id 0
		.amdhsa_user_sgpr_flat_scratch_init 0
		.amdhsa_user_sgpr_kernarg_preload_length 0
		.amdhsa_user_sgpr_kernarg_preload_offset 0
		.amdhsa_user_sgpr_private_segment_size 0
		.amdhsa_uses_dynamic_stack 0
		.amdhsa_system_sgpr_private_segment_wavefront_offset 0
		.amdhsa_system_sgpr_workgroup_id_x 1
		.amdhsa_system_sgpr_workgroup_id_y 0
		.amdhsa_system_sgpr_workgroup_id_z 0
		.amdhsa_system_sgpr_workgroup_info 0
		.amdhsa_system_vgpr_workitem_id 0
		.amdhsa_next_free_vgpr 1
		.amdhsa_next_free_sgpr 0
		.amdhsa_accum_offset 4
		.amdhsa_reserve_vcc 0
		.amdhsa_reserve_flat_scratch 0
		.amdhsa_float_round_mode_32 0
		.amdhsa_float_round_mode_16_64 0
		.amdhsa_float_denorm_mode_32 3
		.amdhsa_float_denorm_mode_16_64 3
		.amdhsa_dx10_clamp 1
		.amdhsa_ieee_mode 1
		.amdhsa_fp16_overflow 0
		.amdhsa_tg_split 0
		.amdhsa_exception_fp_ieee_invalid_op 0
		.amdhsa_exception_fp_denorm_src 0
		.amdhsa_exception_fp_ieee_div_zero 0
		.amdhsa_exception_fp_ieee_overflow 0
		.amdhsa_exception_fp_ieee_underflow 0
		.amdhsa_exception_fp_ieee_inexact 0
		.amdhsa_exception_int_div_zero 0
	.end_amdhsa_kernel
	.section	.text._ZN7rocprim17ROCPRIM_400000_NS6detail17trampoline_kernelINS0_14default_configENS1_20scan_config_selectorIiEEZZNS1_9scan_implILNS1_25lookback_scan_determinismE0ELb1ELb1ES3_N6thrust23THRUST_200600_302600_NS6detail15normal_iteratorINS9_10device_ptrIjEEEENSB_INSC_IiEEEEiNS9_4plusIvEEiEEDaPvRmT3_T4_T5_mT6_P12ihipStream_tbENKUlT_T0_E_clISt17integral_constantIbLb1EESW_EEDaSR_SS_EUlSR_E_NS1_11comp_targetILNS1_3genE10ELNS1_11target_archE1200ELNS1_3gpuE4ELNS1_3repE0EEENS1_30default_config_static_selectorELNS0_4arch9wavefront6targetE1EEEvT1_,"axG",@progbits,_ZN7rocprim17ROCPRIM_400000_NS6detail17trampoline_kernelINS0_14default_configENS1_20scan_config_selectorIiEEZZNS1_9scan_implILNS1_25lookback_scan_determinismE0ELb1ELb1ES3_N6thrust23THRUST_200600_302600_NS6detail15normal_iteratorINS9_10device_ptrIjEEEENSB_INSC_IiEEEEiNS9_4plusIvEEiEEDaPvRmT3_T4_T5_mT6_P12ihipStream_tbENKUlT_T0_E_clISt17integral_constantIbLb1EESW_EEDaSR_SS_EUlSR_E_NS1_11comp_targetILNS1_3genE10ELNS1_11target_archE1200ELNS1_3gpuE4ELNS1_3repE0EEENS1_30default_config_static_selectorELNS0_4arch9wavefront6targetE1EEEvT1_,comdat
.Lfunc_end6256:
	.size	_ZN7rocprim17ROCPRIM_400000_NS6detail17trampoline_kernelINS0_14default_configENS1_20scan_config_selectorIiEEZZNS1_9scan_implILNS1_25lookback_scan_determinismE0ELb1ELb1ES3_N6thrust23THRUST_200600_302600_NS6detail15normal_iteratorINS9_10device_ptrIjEEEENSB_INSC_IiEEEEiNS9_4plusIvEEiEEDaPvRmT3_T4_T5_mT6_P12ihipStream_tbENKUlT_T0_E_clISt17integral_constantIbLb1EESW_EEDaSR_SS_EUlSR_E_NS1_11comp_targetILNS1_3genE10ELNS1_11target_archE1200ELNS1_3gpuE4ELNS1_3repE0EEENS1_30default_config_static_selectorELNS0_4arch9wavefront6targetE1EEEvT1_, .Lfunc_end6256-_ZN7rocprim17ROCPRIM_400000_NS6detail17trampoline_kernelINS0_14default_configENS1_20scan_config_selectorIiEEZZNS1_9scan_implILNS1_25lookback_scan_determinismE0ELb1ELb1ES3_N6thrust23THRUST_200600_302600_NS6detail15normal_iteratorINS9_10device_ptrIjEEEENSB_INSC_IiEEEEiNS9_4plusIvEEiEEDaPvRmT3_T4_T5_mT6_P12ihipStream_tbENKUlT_T0_E_clISt17integral_constantIbLb1EESW_EEDaSR_SS_EUlSR_E_NS1_11comp_targetILNS1_3genE10ELNS1_11target_archE1200ELNS1_3gpuE4ELNS1_3repE0EEENS1_30default_config_static_selectorELNS0_4arch9wavefront6targetE1EEEvT1_
                                        ; -- End function
	.section	.AMDGPU.csdata,"",@progbits
; Kernel info:
; codeLenInByte = 0
; NumSgprs: 4
; NumVgprs: 0
; NumAgprs: 0
; TotalNumVgprs: 0
; ScratchSize: 0
; MemoryBound: 0
; FloatMode: 240
; IeeeMode: 1
; LDSByteSize: 0 bytes/workgroup (compile time only)
; SGPRBlocks: 0
; VGPRBlocks: 0
; NumSGPRsForWavesPerEU: 4
; NumVGPRsForWavesPerEU: 1
; AccumOffset: 4
; Occupancy: 8
; WaveLimiterHint : 0
; COMPUTE_PGM_RSRC2:SCRATCH_EN: 0
; COMPUTE_PGM_RSRC2:USER_SGPR: 6
; COMPUTE_PGM_RSRC2:TRAP_HANDLER: 0
; COMPUTE_PGM_RSRC2:TGID_X_EN: 1
; COMPUTE_PGM_RSRC2:TGID_Y_EN: 0
; COMPUTE_PGM_RSRC2:TGID_Z_EN: 0
; COMPUTE_PGM_RSRC2:TIDIG_COMP_CNT: 0
; COMPUTE_PGM_RSRC3_GFX90A:ACCUM_OFFSET: 0
; COMPUTE_PGM_RSRC3_GFX90A:TG_SPLIT: 0
	.section	.text._ZN7rocprim17ROCPRIM_400000_NS6detail17trampoline_kernelINS0_14default_configENS1_20scan_config_selectorIiEEZZNS1_9scan_implILNS1_25lookback_scan_determinismE0ELb1ELb1ES3_N6thrust23THRUST_200600_302600_NS6detail15normal_iteratorINS9_10device_ptrIjEEEENSB_INSC_IiEEEEiNS9_4plusIvEEiEEDaPvRmT3_T4_T5_mT6_P12ihipStream_tbENKUlT_T0_E_clISt17integral_constantIbLb1EESW_EEDaSR_SS_EUlSR_E_NS1_11comp_targetILNS1_3genE9ELNS1_11target_archE1100ELNS1_3gpuE3ELNS1_3repE0EEENS1_30default_config_static_selectorELNS0_4arch9wavefront6targetE1EEEvT1_,"axG",@progbits,_ZN7rocprim17ROCPRIM_400000_NS6detail17trampoline_kernelINS0_14default_configENS1_20scan_config_selectorIiEEZZNS1_9scan_implILNS1_25lookback_scan_determinismE0ELb1ELb1ES3_N6thrust23THRUST_200600_302600_NS6detail15normal_iteratorINS9_10device_ptrIjEEEENSB_INSC_IiEEEEiNS9_4plusIvEEiEEDaPvRmT3_T4_T5_mT6_P12ihipStream_tbENKUlT_T0_E_clISt17integral_constantIbLb1EESW_EEDaSR_SS_EUlSR_E_NS1_11comp_targetILNS1_3genE9ELNS1_11target_archE1100ELNS1_3gpuE3ELNS1_3repE0EEENS1_30default_config_static_selectorELNS0_4arch9wavefront6targetE1EEEvT1_,comdat
	.protected	_ZN7rocprim17ROCPRIM_400000_NS6detail17trampoline_kernelINS0_14default_configENS1_20scan_config_selectorIiEEZZNS1_9scan_implILNS1_25lookback_scan_determinismE0ELb1ELb1ES3_N6thrust23THRUST_200600_302600_NS6detail15normal_iteratorINS9_10device_ptrIjEEEENSB_INSC_IiEEEEiNS9_4plusIvEEiEEDaPvRmT3_T4_T5_mT6_P12ihipStream_tbENKUlT_T0_E_clISt17integral_constantIbLb1EESW_EEDaSR_SS_EUlSR_E_NS1_11comp_targetILNS1_3genE9ELNS1_11target_archE1100ELNS1_3gpuE3ELNS1_3repE0EEENS1_30default_config_static_selectorELNS0_4arch9wavefront6targetE1EEEvT1_ ; -- Begin function _ZN7rocprim17ROCPRIM_400000_NS6detail17trampoline_kernelINS0_14default_configENS1_20scan_config_selectorIiEEZZNS1_9scan_implILNS1_25lookback_scan_determinismE0ELb1ELb1ES3_N6thrust23THRUST_200600_302600_NS6detail15normal_iteratorINS9_10device_ptrIjEEEENSB_INSC_IiEEEEiNS9_4plusIvEEiEEDaPvRmT3_T4_T5_mT6_P12ihipStream_tbENKUlT_T0_E_clISt17integral_constantIbLb1EESW_EEDaSR_SS_EUlSR_E_NS1_11comp_targetILNS1_3genE9ELNS1_11target_archE1100ELNS1_3gpuE3ELNS1_3repE0EEENS1_30default_config_static_selectorELNS0_4arch9wavefront6targetE1EEEvT1_
	.globl	_ZN7rocprim17ROCPRIM_400000_NS6detail17trampoline_kernelINS0_14default_configENS1_20scan_config_selectorIiEEZZNS1_9scan_implILNS1_25lookback_scan_determinismE0ELb1ELb1ES3_N6thrust23THRUST_200600_302600_NS6detail15normal_iteratorINS9_10device_ptrIjEEEENSB_INSC_IiEEEEiNS9_4plusIvEEiEEDaPvRmT3_T4_T5_mT6_P12ihipStream_tbENKUlT_T0_E_clISt17integral_constantIbLb1EESW_EEDaSR_SS_EUlSR_E_NS1_11comp_targetILNS1_3genE9ELNS1_11target_archE1100ELNS1_3gpuE3ELNS1_3repE0EEENS1_30default_config_static_selectorELNS0_4arch9wavefront6targetE1EEEvT1_
	.p2align	8
	.type	_ZN7rocprim17ROCPRIM_400000_NS6detail17trampoline_kernelINS0_14default_configENS1_20scan_config_selectorIiEEZZNS1_9scan_implILNS1_25lookback_scan_determinismE0ELb1ELb1ES3_N6thrust23THRUST_200600_302600_NS6detail15normal_iteratorINS9_10device_ptrIjEEEENSB_INSC_IiEEEEiNS9_4plusIvEEiEEDaPvRmT3_T4_T5_mT6_P12ihipStream_tbENKUlT_T0_E_clISt17integral_constantIbLb1EESW_EEDaSR_SS_EUlSR_E_NS1_11comp_targetILNS1_3genE9ELNS1_11target_archE1100ELNS1_3gpuE3ELNS1_3repE0EEENS1_30default_config_static_selectorELNS0_4arch9wavefront6targetE1EEEvT1_,@function
_ZN7rocprim17ROCPRIM_400000_NS6detail17trampoline_kernelINS0_14default_configENS1_20scan_config_selectorIiEEZZNS1_9scan_implILNS1_25lookback_scan_determinismE0ELb1ELb1ES3_N6thrust23THRUST_200600_302600_NS6detail15normal_iteratorINS9_10device_ptrIjEEEENSB_INSC_IiEEEEiNS9_4plusIvEEiEEDaPvRmT3_T4_T5_mT6_P12ihipStream_tbENKUlT_T0_E_clISt17integral_constantIbLb1EESW_EEDaSR_SS_EUlSR_E_NS1_11comp_targetILNS1_3genE9ELNS1_11target_archE1100ELNS1_3gpuE3ELNS1_3repE0EEENS1_30default_config_static_selectorELNS0_4arch9wavefront6targetE1EEEvT1_: ; @_ZN7rocprim17ROCPRIM_400000_NS6detail17trampoline_kernelINS0_14default_configENS1_20scan_config_selectorIiEEZZNS1_9scan_implILNS1_25lookback_scan_determinismE0ELb1ELb1ES3_N6thrust23THRUST_200600_302600_NS6detail15normal_iteratorINS9_10device_ptrIjEEEENSB_INSC_IiEEEEiNS9_4plusIvEEiEEDaPvRmT3_T4_T5_mT6_P12ihipStream_tbENKUlT_T0_E_clISt17integral_constantIbLb1EESW_EEDaSR_SS_EUlSR_E_NS1_11comp_targetILNS1_3genE9ELNS1_11target_archE1100ELNS1_3gpuE3ELNS1_3repE0EEENS1_30default_config_static_selectorELNS0_4arch9wavefront6targetE1EEEvT1_
; %bb.0:
	.section	.rodata,"a",@progbits
	.p2align	6, 0x0
	.amdhsa_kernel _ZN7rocprim17ROCPRIM_400000_NS6detail17trampoline_kernelINS0_14default_configENS1_20scan_config_selectorIiEEZZNS1_9scan_implILNS1_25lookback_scan_determinismE0ELb1ELb1ES3_N6thrust23THRUST_200600_302600_NS6detail15normal_iteratorINS9_10device_ptrIjEEEENSB_INSC_IiEEEEiNS9_4plusIvEEiEEDaPvRmT3_T4_T5_mT6_P12ihipStream_tbENKUlT_T0_E_clISt17integral_constantIbLb1EESW_EEDaSR_SS_EUlSR_E_NS1_11comp_targetILNS1_3genE9ELNS1_11target_archE1100ELNS1_3gpuE3ELNS1_3repE0EEENS1_30default_config_static_selectorELNS0_4arch9wavefront6targetE1EEEvT1_
		.amdhsa_group_segment_fixed_size 0
		.amdhsa_private_segment_fixed_size 0
		.amdhsa_kernarg_size 96
		.amdhsa_user_sgpr_count 6
		.amdhsa_user_sgpr_private_segment_buffer 1
		.amdhsa_user_sgpr_dispatch_ptr 0
		.amdhsa_user_sgpr_queue_ptr 0
		.amdhsa_user_sgpr_kernarg_segment_ptr 1
		.amdhsa_user_sgpr_dispatch_id 0
		.amdhsa_user_sgpr_flat_scratch_init 0
		.amdhsa_user_sgpr_kernarg_preload_length 0
		.amdhsa_user_sgpr_kernarg_preload_offset 0
		.amdhsa_user_sgpr_private_segment_size 0
		.amdhsa_uses_dynamic_stack 0
		.amdhsa_system_sgpr_private_segment_wavefront_offset 0
		.amdhsa_system_sgpr_workgroup_id_x 1
		.amdhsa_system_sgpr_workgroup_id_y 0
		.amdhsa_system_sgpr_workgroup_id_z 0
		.amdhsa_system_sgpr_workgroup_info 0
		.amdhsa_system_vgpr_workitem_id 0
		.amdhsa_next_free_vgpr 1
		.amdhsa_next_free_sgpr 0
		.amdhsa_accum_offset 4
		.amdhsa_reserve_vcc 0
		.amdhsa_reserve_flat_scratch 0
		.amdhsa_float_round_mode_32 0
		.amdhsa_float_round_mode_16_64 0
		.amdhsa_float_denorm_mode_32 3
		.amdhsa_float_denorm_mode_16_64 3
		.amdhsa_dx10_clamp 1
		.amdhsa_ieee_mode 1
		.amdhsa_fp16_overflow 0
		.amdhsa_tg_split 0
		.amdhsa_exception_fp_ieee_invalid_op 0
		.amdhsa_exception_fp_denorm_src 0
		.amdhsa_exception_fp_ieee_div_zero 0
		.amdhsa_exception_fp_ieee_overflow 0
		.amdhsa_exception_fp_ieee_underflow 0
		.amdhsa_exception_fp_ieee_inexact 0
		.amdhsa_exception_int_div_zero 0
	.end_amdhsa_kernel
	.section	.text._ZN7rocprim17ROCPRIM_400000_NS6detail17trampoline_kernelINS0_14default_configENS1_20scan_config_selectorIiEEZZNS1_9scan_implILNS1_25lookback_scan_determinismE0ELb1ELb1ES3_N6thrust23THRUST_200600_302600_NS6detail15normal_iteratorINS9_10device_ptrIjEEEENSB_INSC_IiEEEEiNS9_4plusIvEEiEEDaPvRmT3_T4_T5_mT6_P12ihipStream_tbENKUlT_T0_E_clISt17integral_constantIbLb1EESW_EEDaSR_SS_EUlSR_E_NS1_11comp_targetILNS1_3genE9ELNS1_11target_archE1100ELNS1_3gpuE3ELNS1_3repE0EEENS1_30default_config_static_selectorELNS0_4arch9wavefront6targetE1EEEvT1_,"axG",@progbits,_ZN7rocprim17ROCPRIM_400000_NS6detail17trampoline_kernelINS0_14default_configENS1_20scan_config_selectorIiEEZZNS1_9scan_implILNS1_25lookback_scan_determinismE0ELb1ELb1ES3_N6thrust23THRUST_200600_302600_NS6detail15normal_iteratorINS9_10device_ptrIjEEEENSB_INSC_IiEEEEiNS9_4plusIvEEiEEDaPvRmT3_T4_T5_mT6_P12ihipStream_tbENKUlT_T0_E_clISt17integral_constantIbLb1EESW_EEDaSR_SS_EUlSR_E_NS1_11comp_targetILNS1_3genE9ELNS1_11target_archE1100ELNS1_3gpuE3ELNS1_3repE0EEENS1_30default_config_static_selectorELNS0_4arch9wavefront6targetE1EEEvT1_,comdat
.Lfunc_end6257:
	.size	_ZN7rocprim17ROCPRIM_400000_NS6detail17trampoline_kernelINS0_14default_configENS1_20scan_config_selectorIiEEZZNS1_9scan_implILNS1_25lookback_scan_determinismE0ELb1ELb1ES3_N6thrust23THRUST_200600_302600_NS6detail15normal_iteratorINS9_10device_ptrIjEEEENSB_INSC_IiEEEEiNS9_4plusIvEEiEEDaPvRmT3_T4_T5_mT6_P12ihipStream_tbENKUlT_T0_E_clISt17integral_constantIbLb1EESW_EEDaSR_SS_EUlSR_E_NS1_11comp_targetILNS1_3genE9ELNS1_11target_archE1100ELNS1_3gpuE3ELNS1_3repE0EEENS1_30default_config_static_selectorELNS0_4arch9wavefront6targetE1EEEvT1_, .Lfunc_end6257-_ZN7rocprim17ROCPRIM_400000_NS6detail17trampoline_kernelINS0_14default_configENS1_20scan_config_selectorIiEEZZNS1_9scan_implILNS1_25lookback_scan_determinismE0ELb1ELb1ES3_N6thrust23THRUST_200600_302600_NS6detail15normal_iteratorINS9_10device_ptrIjEEEENSB_INSC_IiEEEEiNS9_4plusIvEEiEEDaPvRmT3_T4_T5_mT6_P12ihipStream_tbENKUlT_T0_E_clISt17integral_constantIbLb1EESW_EEDaSR_SS_EUlSR_E_NS1_11comp_targetILNS1_3genE9ELNS1_11target_archE1100ELNS1_3gpuE3ELNS1_3repE0EEENS1_30default_config_static_selectorELNS0_4arch9wavefront6targetE1EEEvT1_
                                        ; -- End function
	.section	.AMDGPU.csdata,"",@progbits
; Kernel info:
; codeLenInByte = 0
; NumSgprs: 4
; NumVgprs: 0
; NumAgprs: 0
; TotalNumVgprs: 0
; ScratchSize: 0
; MemoryBound: 0
; FloatMode: 240
; IeeeMode: 1
; LDSByteSize: 0 bytes/workgroup (compile time only)
; SGPRBlocks: 0
; VGPRBlocks: 0
; NumSGPRsForWavesPerEU: 4
; NumVGPRsForWavesPerEU: 1
; AccumOffset: 4
; Occupancy: 8
; WaveLimiterHint : 0
; COMPUTE_PGM_RSRC2:SCRATCH_EN: 0
; COMPUTE_PGM_RSRC2:USER_SGPR: 6
; COMPUTE_PGM_RSRC2:TRAP_HANDLER: 0
; COMPUTE_PGM_RSRC2:TGID_X_EN: 1
; COMPUTE_PGM_RSRC2:TGID_Y_EN: 0
; COMPUTE_PGM_RSRC2:TGID_Z_EN: 0
; COMPUTE_PGM_RSRC2:TIDIG_COMP_CNT: 0
; COMPUTE_PGM_RSRC3_GFX90A:ACCUM_OFFSET: 0
; COMPUTE_PGM_RSRC3_GFX90A:TG_SPLIT: 0
	.section	.text._ZN7rocprim17ROCPRIM_400000_NS6detail17trampoline_kernelINS0_14default_configENS1_20scan_config_selectorIiEEZZNS1_9scan_implILNS1_25lookback_scan_determinismE0ELb1ELb1ES3_N6thrust23THRUST_200600_302600_NS6detail15normal_iteratorINS9_10device_ptrIjEEEENSB_INSC_IiEEEEiNS9_4plusIvEEiEEDaPvRmT3_T4_T5_mT6_P12ihipStream_tbENKUlT_T0_E_clISt17integral_constantIbLb1EESW_EEDaSR_SS_EUlSR_E_NS1_11comp_targetILNS1_3genE8ELNS1_11target_archE1030ELNS1_3gpuE2ELNS1_3repE0EEENS1_30default_config_static_selectorELNS0_4arch9wavefront6targetE1EEEvT1_,"axG",@progbits,_ZN7rocprim17ROCPRIM_400000_NS6detail17trampoline_kernelINS0_14default_configENS1_20scan_config_selectorIiEEZZNS1_9scan_implILNS1_25lookback_scan_determinismE0ELb1ELb1ES3_N6thrust23THRUST_200600_302600_NS6detail15normal_iteratorINS9_10device_ptrIjEEEENSB_INSC_IiEEEEiNS9_4plusIvEEiEEDaPvRmT3_T4_T5_mT6_P12ihipStream_tbENKUlT_T0_E_clISt17integral_constantIbLb1EESW_EEDaSR_SS_EUlSR_E_NS1_11comp_targetILNS1_3genE8ELNS1_11target_archE1030ELNS1_3gpuE2ELNS1_3repE0EEENS1_30default_config_static_selectorELNS0_4arch9wavefront6targetE1EEEvT1_,comdat
	.protected	_ZN7rocprim17ROCPRIM_400000_NS6detail17trampoline_kernelINS0_14default_configENS1_20scan_config_selectorIiEEZZNS1_9scan_implILNS1_25lookback_scan_determinismE0ELb1ELb1ES3_N6thrust23THRUST_200600_302600_NS6detail15normal_iteratorINS9_10device_ptrIjEEEENSB_INSC_IiEEEEiNS9_4plusIvEEiEEDaPvRmT3_T4_T5_mT6_P12ihipStream_tbENKUlT_T0_E_clISt17integral_constantIbLb1EESW_EEDaSR_SS_EUlSR_E_NS1_11comp_targetILNS1_3genE8ELNS1_11target_archE1030ELNS1_3gpuE2ELNS1_3repE0EEENS1_30default_config_static_selectorELNS0_4arch9wavefront6targetE1EEEvT1_ ; -- Begin function _ZN7rocprim17ROCPRIM_400000_NS6detail17trampoline_kernelINS0_14default_configENS1_20scan_config_selectorIiEEZZNS1_9scan_implILNS1_25lookback_scan_determinismE0ELb1ELb1ES3_N6thrust23THRUST_200600_302600_NS6detail15normal_iteratorINS9_10device_ptrIjEEEENSB_INSC_IiEEEEiNS9_4plusIvEEiEEDaPvRmT3_T4_T5_mT6_P12ihipStream_tbENKUlT_T0_E_clISt17integral_constantIbLb1EESW_EEDaSR_SS_EUlSR_E_NS1_11comp_targetILNS1_3genE8ELNS1_11target_archE1030ELNS1_3gpuE2ELNS1_3repE0EEENS1_30default_config_static_selectorELNS0_4arch9wavefront6targetE1EEEvT1_
	.globl	_ZN7rocprim17ROCPRIM_400000_NS6detail17trampoline_kernelINS0_14default_configENS1_20scan_config_selectorIiEEZZNS1_9scan_implILNS1_25lookback_scan_determinismE0ELb1ELb1ES3_N6thrust23THRUST_200600_302600_NS6detail15normal_iteratorINS9_10device_ptrIjEEEENSB_INSC_IiEEEEiNS9_4plusIvEEiEEDaPvRmT3_T4_T5_mT6_P12ihipStream_tbENKUlT_T0_E_clISt17integral_constantIbLb1EESW_EEDaSR_SS_EUlSR_E_NS1_11comp_targetILNS1_3genE8ELNS1_11target_archE1030ELNS1_3gpuE2ELNS1_3repE0EEENS1_30default_config_static_selectorELNS0_4arch9wavefront6targetE1EEEvT1_
	.p2align	8
	.type	_ZN7rocprim17ROCPRIM_400000_NS6detail17trampoline_kernelINS0_14default_configENS1_20scan_config_selectorIiEEZZNS1_9scan_implILNS1_25lookback_scan_determinismE0ELb1ELb1ES3_N6thrust23THRUST_200600_302600_NS6detail15normal_iteratorINS9_10device_ptrIjEEEENSB_INSC_IiEEEEiNS9_4plusIvEEiEEDaPvRmT3_T4_T5_mT6_P12ihipStream_tbENKUlT_T0_E_clISt17integral_constantIbLb1EESW_EEDaSR_SS_EUlSR_E_NS1_11comp_targetILNS1_3genE8ELNS1_11target_archE1030ELNS1_3gpuE2ELNS1_3repE0EEENS1_30default_config_static_selectorELNS0_4arch9wavefront6targetE1EEEvT1_,@function
_ZN7rocprim17ROCPRIM_400000_NS6detail17trampoline_kernelINS0_14default_configENS1_20scan_config_selectorIiEEZZNS1_9scan_implILNS1_25lookback_scan_determinismE0ELb1ELb1ES3_N6thrust23THRUST_200600_302600_NS6detail15normal_iteratorINS9_10device_ptrIjEEEENSB_INSC_IiEEEEiNS9_4plusIvEEiEEDaPvRmT3_T4_T5_mT6_P12ihipStream_tbENKUlT_T0_E_clISt17integral_constantIbLb1EESW_EEDaSR_SS_EUlSR_E_NS1_11comp_targetILNS1_3genE8ELNS1_11target_archE1030ELNS1_3gpuE2ELNS1_3repE0EEENS1_30default_config_static_selectorELNS0_4arch9wavefront6targetE1EEEvT1_: ; @_ZN7rocprim17ROCPRIM_400000_NS6detail17trampoline_kernelINS0_14default_configENS1_20scan_config_selectorIiEEZZNS1_9scan_implILNS1_25lookback_scan_determinismE0ELb1ELb1ES3_N6thrust23THRUST_200600_302600_NS6detail15normal_iteratorINS9_10device_ptrIjEEEENSB_INSC_IiEEEEiNS9_4plusIvEEiEEDaPvRmT3_T4_T5_mT6_P12ihipStream_tbENKUlT_T0_E_clISt17integral_constantIbLb1EESW_EEDaSR_SS_EUlSR_E_NS1_11comp_targetILNS1_3genE8ELNS1_11target_archE1030ELNS1_3gpuE2ELNS1_3repE0EEENS1_30default_config_static_selectorELNS0_4arch9wavefront6targetE1EEEvT1_
; %bb.0:
	.section	.rodata,"a",@progbits
	.p2align	6, 0x0
	.amdhsa_kernel _ZN7rocprim17ROCPRIM_400000_NS6detail17trampoline_kernelINS0_14default_configENS1_20scan_config_selectorIiEEZZNS1_9scan_implILNS1_25lookback_scan_determinismE0ELb1ELb1ES3_N6thrust23THRUST_200600_302600_NS6detail15normal_iteratorINS9_10device_ptrIjEEEENSB_INSC_IiEEEEiNS9_4plusIvEEiEEDaPvRmT3_T4_T5_mT6_P12ihipStream_tbENKUlT_T0_E_clISt17integral_constantIbLb1EESW_EEDaSR_SS_EUlSR_E_NS1_11comp_targetILNS1_3genE8ELNS1_11target_archE1030ELNS1_3gpuE2ELNS1_3repE0EEENS1_30default_config_static_selectorELNS0_4arch9wavefront6targetE1EEEvT1_
		.amdhsa_group_segment_fixed_size 0
		.amdhsa_private_segment_fixed_size 0
		.amdhsa_kernarg_size 96
		.amdhsa_user_sgpr_count 6
		.amdhsa_user_sgpr_private_segment_buffer 1
		.amdhsa_user_sgpr_dispatch_ptr 0
		.amdhsa_user_sgpr_queue_ptr 0
		.amdhsa_user_sgpr_kernarg_segment_ptr 1
		.amdhsa_user_sgpr_dispatch_id 0
		.amdhsa_user_sgpr_flat_scratch_init 0
		.amdhsa_user_sgpr_kernarg_preload_length 0
		.amdhsa_user_sgpr_kernarg_preload_offset 0
		.amdhsa_user_sgpr_private_segment_size 0
		.amdhsa_uses_dynamic_stack 0
		.amdhsa_system_sgpr_private_segment_wavefront_offset 0
		.amdhsa_system_sgpr_workgroup_id_x 1
		.amdhsa_system_sgpr_workgroup_id_y 0
		.amdhsa_system_sgpr_workgroup_id_z 0
		.amdhsa_system_sgpr_workgroup_info 0
		.amdhsa_system_vgpr_workitem_id 0
		.amdhsa_next_free_vgpr 1
		.amdhsa_next_free_sgpr 0
		.amdhsa_accum_offset 4
		.amdhsa_reserve_vcc 0
		.amdhsa_reserve_flat_scratch 0
		.amdhsa_float_round_mode_32 0
		.amdhsa_float_round_mode_16_64 0
		.amdhsa_float_denorm_mode_32 3
		.amdhsa_float_denorm_mode_16_64 3
		.amdhsa_dx10_clamp 1
		.amdhsa_ieee_mode 1
		.amdhsa_fp16_overflow 0
		.amdhsa_tg_split 0
		.amdhsa_exception_fp_ieee_invalid_op 0
		.amdhsa_exception_fp_denorm_src 0
		.amdhsa_exception_fp_ieee_div_zero 0
		.amdhsa_exception_fp_ieee_overflow 0
		.amdhsa_exception_fp_ieee_underflow 0
		.amdhsa_exception_fp_ieee_inexact 0
		.amdhsa_exception_int_div_zero 0
	.end_amdhsa_kernel
	.section	.text._ZN7rocprim17ROCPRIM_400000_NS6detail17trampoline_kernelINS0_14default_configENS1_20scan_config_selectorIiEEZZNS1_9scan_implILNS1_25lookback_scan_determinismE0ELb1ELb1ES3_N6thrust23THRUST_200600_302600_NS6detail15normal_iteratorINS9_10device_ptrIjEEEENSB_INSC_IiEEEEiNS9_4plusIvEEiEEDaPvRmT3_T4_T5_mT6_P12ihipStream_tbENKUlT_T0_E_clISt17integral_constantIbLb1EESW_EEDaSR_SS_EUlSR_E_NS1_11comp_targetILNS1_3genE8ELNS1_11target_archE1030ELNS1_3gpuE2ELNS1_3repE0EEENS1_30default_config_static_selectorELNS0_4arch9wavefront6targetE1EEEvT1_,"axG",@progbits,_ZN7rocprim17ROCPRIM_400000_NS6detail17trampoline_kernelINS0_14default_configENS1_20scan_config_selectorIiEEZZNS1_9scan_implILNS1_25lookback_scan_determinismE0ELb1ELb1ES3_N6thrust23THRUST_200600_302600_NS6detail15normal_iteratorINS9_10device_ptrIjEEEENSB_INSC_IiEEEEiNS9_4plusIvEEiEEDaPvRmT3_T4_T5_mT6_P12ihipStream_tbENKUlT_T0_E_clISt17integral_constantIbLb1EESW_EEDaSR_SS_EUlSR_E_NS1_11comp_targetILNS1_3genE8ELNS1_11target_archE1030ELNS1_3gpuE2ELNS1_3repE0EEENS1_30default_config_static_selectorELNS0_4arch9wavefront6targetE1EEEvT1_,comdat
.Lfunc_end6258:
	.size	_ZN7rocprim17ROCPRIM_400000_NS6detail17trampoline_kernelINS0_14default_configENS1_20scan_config_selectorIiEEZZNS1_9scan_implILNS1_25lookback_scan_determinismE0ELb1ELb1ES3_N6thrust23THRUST_200600_302600_NS6detail15normal_iteratorINS9_10device_ptrIjEEEENSB_INSC_IiEEEEiNS9_4plusIvEEiEEDaPvRmT3_T4_T5_mT6_P12ihipStream_tbENKUlT_T0_E_clISt17integral_constantIbLb1EESW_EEDaSR_SS_EUlSR_E_NS1_11comp_targetILNS1_3genE8ELNS1_11target_archE1030ELNS1_3gpuE2ELNS1_3repE0EEENS1_30default_config_static_selectorELNS0_4arch9wavefront6targetE1EEEvT1_, .Lfunc_end6258-_ZN7rocprim17ROCPRIM_400000_NS6detail17trampoline_kernelINS0_14default_configENS1_20scan_config_selectorIiEEZZNS1_9scan_implILNS1_25lookback_scan_determinismE0ELb1ELb1ES3_N6thrust23THRUST_200600_302600_NS6detail15normal_iteratorINS9_10device_ptrIjEEEENSB_INSC_IiEEEEiNS9_4plusIvEEiEEDaPvRmT3_T4_T5_mT6_P12ihipStream_tbENKUlT_T0_E_clISt17integral_constantIbLb1EESW_EEDaSR_SS_EUlSR_E_NS1_11comp_targetILNS1_3genE8ELNS1_11target_archE1030ELNS1_3gpuE2ELNS1_3repE0EEENS1_30default_config_static_selectorELNS0_4arch9wavefront6targetE1EEEvT1_
                                        ; -- End function
	.section	.AMDGPU.csdata,"",@progbits
; Kernel info:
; codeLenInByte = 0
; NumSgprs: 4
; NumVgprs: 0
; NumAgprs: 0
; TotalNumVgprs: 0
; ScratchSize: 0
; MemoryBound: 0
; FloatMode: 240
; IeeeMode: 1
; LDSByteSize: 0 bytes/workgroup (compile time only)
; SGPRBlocks: 0
; VGPRBlocks: 0
; NumSGPRsForWavesPerEU: 4
; NumVGPRsForWavesPerEU: 1
; AccumOffset: 4
; Occupancy: 8
; WaveLimiterHint : 0
; COMPUTE_PGM_RSRC2:SCRATCH_EN: 0
; COMPUTE_PGM_RSRC2:USER_SGPR: 6
; COMPUTE_PGM_RSRC2:TRAP_HANDLER: 0
; COMPUTE_PGM_RSRC2:TGID_X_EN: 1
; COMPUTE_PGM_RSRC2:TGID_Y_EN: 0
; COMPUTE_PGM_RSRC2:TGID_Z_EN: 0
; COMPUTE_PGM_RSRC2:TIDIG_COMP_CNT: 0
; COMPUTE_PGM_RSRC3_GFX90A:ACCUM_OFFSET: 0
; COMPUTE_PGM_RSRC3_GFX90A:TG_SPLIT: 0
	.section	.text._ZN7rocprim17ROCPRIM_400000_NS6detail17trampoline_kernelINS0_14default_configENS1_20scan_config_selectorIiEEZZNS1_9scan_implILNS1_25lookback_scan_determinismE0ELb1ELb1ES3_N6thrust23THRUST_200600_302600_NS6detail15normal_iteratorINS9_10device_ptrIjEEEENSB_INSC_IiEEEEiNS9_4plusIvEEiEEDaPvRmT3_T4_T5_mT6_P12ihipStream_tbENKUlT_T0_E_clISt17integral_constantIbLb1EESW_EEDaSR_SS_EUlSR_E0_NS1_11comp_targetILNS1_3genE0ELNS1_11target_archE4294967295ELNS1_3gpuE0ELNS1_3repE0EEENS1_30default_config_static_selectorELNS0_4arch9wavefront6targetE1EEEvT1_,"axG",@progbits,_ZN7rocprim17ROCPRIM_400000_NS6detail17trampoline_kernelINS0_14default_configENS1_20scan_config_selectorIiEEZZNS1_9scan_implILNS1_25lookback_scan_determinismE0ELb1ELb1ES3_N6thrust23THRUST_200600_302600_NS6detail15normal_iteratorINS9_10device_ptrIjEEEENSB_INSC_IiEEEEiNS9_4plusIvEEiEEDaPvRmT3_T4_T5_mT6_P12ihipStream_tbENKUlT_T0_E_clISt17integral_constantIbLb1EESW_EEDaSR_SS_EUlSR_E0_NS1_11comp_targetILNS1_3genE0ELNS1_11target_archE4294967295ELNS1_3gpuE0ELNS1_3repE0EEENS1_30default_config_static_selectorELNS0_4arch9wavefront6targetE1EEEvT1_,comdat
	.protected	_ZN7rocprim17ROCPRIM_400000_NS6detail17trampoline_kernelINS0_14default_configENS1_20scan_config_selectorIiEEZZNS1_9scan_implILNS1_25lookback_scan_determinismE0ELb1ELb1ES3_N6thrust23THRUST_200600_302600_NS6detail15normal_iteratorINS9_10device_ptrIjEEEENSB_INSC_IiEEEEiNS9_4plusIvEEiEEDaPvRmT3_T4_T5_mT6_P12ihipStream_tbENKUlT_T0_E_clISt17integral_constantIbLb1EESW_EEDaSR_SS_EUlSR_E0_NS1_11comp_targetILNS1_3genE0ELNS1_11target_archE4294967295ELNS1_3gpuE0ELNS1_3repE0EEENS1_30default_config_static_selectorELNS0_4arch9wavefront6targetE1EEEvT1_ ; -- Begin function _ZN7rocprim17ROCPRIM_400000_NS6detail17trampoline_kernelINS0_14default_configENS1_20scan_config_selectorIiEEZZNS1_9scan_implILNS1_25lookback_scan_determinismE0ELb1ELb1ES3_N6thrust23THRUST_200600_302600_NS6detail15normal_iteratorINS9_10device_ptrIjEEEENSB_INSC_IiEEEEiNS9_4plusIvEEiEEDaPvRmT3_T4_T5_mT6_P12ihipStream_tbENKUlT_T0_E_clISt17integral_constantIbLb1EESW_EEDaSR_SS_EUlSR_E0_NS1_11comp_targetILNS1_3genE0ELNS1_11target_archE4294967295ELNS1_3gpuE0ELNS1_3repE0EEENS1_30default_config_static_selectorELNS0_4arch9wavefront6targetE1EEEvT1_
	.globl	_ZN7rocprim17ROCPRIM_400000_NS6detail17trampoline_kernelINS0_14default_configENS1_20scan_config_selectorIiEEZZNS1_9scan_implILNS1_25lookback_scan_determinismE0ELb1ELb1ES3_N6thrust23THRUST_200600_302600_NS6detail15normal_iteratorINS9_10device_ptrIjEEEENSB_INSC_IiEEEEiNS9_4plusIvEEiEEDaPvRmT3_T4_T5_mT6_P12ihipStream_tbENKUlT_T0_E_clISt17integral_constantIbLb1EESW_EEDaSR_SS_EUlSR_E0_NS1_11comp_targetILNS1_3genE0ELNS1_11target_archE4294967295ELNS1_3gpuE0ELNS1_3repE0EEENS1_30default_config_static_selectorELNS0_4arch9wavefront6targetE1EEEvT1_
	.p2align	8
	.type	_ZN7rocprim17ROCPRIM_400000_NS6detail17trampoline_kernelINS0_14default_configENS1_20scan_config_selectorIiEEZZNS1_9scan_implILNS1_25lookback_scan_determinismE0ELb1ELb1ES3_N6thrust23THRUST_200600_302600_NS6detail15normal_iteratorINS9_10device_ptrIjEEEENSB_INSC_IiEEEEiNS9_4plusIvEEiEEDaPvRmT3_T4_T5_mT6_P12ihipStream_tbENKUlT_T0_E_clISt17integral_constantIbLb1EESW_EEDaSR_SS_EUlSR_E0_NS1_11comp_targetILNS1_3genE0ELNS1_11target_archE4294967295ELNS1_3gpuE0ELNS1_3repE0EEENS1_30default_config_static_selectorELNS0_4arch9wavefront6targetE1EEEvT1_,@function
_ZN7rocprim17ROCPRIM_400000_NS6detail17trampoline_kernelINS0_14default_configENS1_20scan_config_selectorIiEEZZNS1_9scan_implILNS1_25lookback_scan_determinismE0ELb1ELb1ES3_N6thrust23THRUST_200600_302600_NS6detail15normal_iteratorINS9_10device_ptrIjEEEENSB_INSC_IiEEEEiNS9_4plusIvEEiEEDaPvRmT3_T4_T5_mT6_P12ihipStream_tbENKUlT_T0_E_clISt17integral_constantIbLb1EESW_EEDaSR_SS_EUlSR_E0_NS1_11comp_targetILNS1_3genE0ELNS1_11target_archE4294967295ELNS1_3gpuE0ELNS1_3repE0EEENS1_30default_config_static_selectorELNS0_4arch9wavefront6targetE1EEEvT1_: ; @_ZN7rocprim17ROCPRIM_400000_NS6detail17trampoline_kernelINS0_14default_configENS1_20scan_config_selectorIiEEZZNS1_9scan_implILNS1_25lookback_scan_determinismE0ELb1ELb1ES3_N6thrust23THRUST_200600_302600_NS6detail15normal_iteratorINS9_10device_ptrIjEEEENSB_INSC_IiEEEEiNS9_4plusIvEEiEEDaPvRmT3_T4_T5_mT6_P12ihipStream_tbENKUlT_T0_E_clISt17integral_constantIbLb1EESW_EEDaSR_SS_EUlSR_E0_NS1_11comp_targetILNS1_3genE0ELNS1_11target_archE4294967295ELNS1_3gpuE0ELNS1_3repE0EEENS1_30default_config_static_selectorELNS0_4arch9wavefront6targetE1EEEvT1_
; %bb.0:
	.section	.rodata,"a",@progbits
	.p2align	6, 0x0
	.amdhsa_kernel _ZN7rocprim17ROCPRIM_400000_NS6detail17trampoline_kernelINS0_14default_configENS1_20scan_config_selectorIiEEZZNS1_9scan_implILNS1_25lookback_scan_determinismE0ELb1ELb1ES3_N6thrust23THRUST_200600_302600_NS6detail15normal_iteratorINS9_10device_ptrIjEEEENSB_INSC_IiEEEEiNS9_4plusIvEEiEEDaPvRmT3_T4_T5_mT6_P12ihipStream_tbENKUlT_T0_E_clISt17integral_constantIbLb1EESW_EEDaSR_SS_EUlSR_E0_NS1_11comp_targetILNS1_3genE0ELNS1_11target_archE4294967295ELNS1_3gpuE0ELNS1_3repE0EEENS1_30default_config_static_selectorELNS0_4arch9wavefront6targetE1EEEvT1_
		.amdhsa_group_segment_fixed_size 0
		.amdhsa_private_segment_fixed_size 0
		.amdhsa_kernarg_size 32
		.amdhsa_user_sgpr_count 6
		.amdhsa_user_sgpr_private_segment_buffer 1
		.amdhsa_user_sgpr_dispatch_ptr 0
		.amdhsa_user_sgpr_queue_ptr 0
		.amdhsa_user_sgpr_kernarg_segment_ptr 1
		.amdhsa_user_sgpr_dispatch_id 0
		.amdhsa_user_sgpr_flat_scratch_init 0
		.amdhsa_user_sgpr_kernarg_preload_length 0
		.amdhsa_user_sgpr_kernarg_preload_offset 0
		.amdhsa_user_sgpr_private_segment_size 0
		.amdhsa_uses_dynamic_stack 0
		.amdhsa_system_sgpr_private_segment_wavefront_offset 0
		.amdhsa_system_sgpr_workgroup_id_x 1
		.amdhsa_system_sgpr_workgroup_id_y 0
		.amdhsa_system_sgpr_workgroup_id_z 0
		.amdhsa_system_sgpr_workgroup_info 0
		.amdhsa_system_vgpr_workitem_id 0
		.amdhsa_next_free_vgpr 1
		.amdhsa_next_free_sgpr 0
		.amdhsa_accum_offset 4
		.amdhsa_reserve_vcc 0
		.amdhsa_reserve_flat_scratch 0
		.amdhsa_float_round_mode_32 0
		.amdhsa_float_round_mode_16_64 0
		.amdhsa_float_denorm_mode_32 3
		.amdhsa_float_denorm_mode_16_64 3
		.amdhsa_dx10_clamp 1
		.amdhsa_ieee_mode 1
		.amdhsa_fp16_overflow 0
		.amdhsa_tg_split 0
		.amdhsa_exception_fp_ieee_invalid_op 0
		.amdhsa_exception_fp_denorm_src 0
		.amdhsa_exception_fp_ieee_div_zero 0
		.amdhsa_exception_fp_ieee_overflow 0
		.amdhsa_exception_fp_ieee_underflow 0
		.amdhsa_exception_fp_ieee_inexact 0
		.amdhsa_exception_int_div_zero 0
	.end_amdhsa_kernel
	.section	.text._ZN7rocprim17ROCPRIM_400000_NS6detail17trampoline_kernelINS0_14default_configENS1_20scan_config_selectorIiEEZZNS1_9scan_implILNS1_25lookback_scan_determinismE0ELb1ELb1ES3_N6thrust23THRUST_200600_302600_NS6detail15normal_iteratorINS9_10device_ptrIjEEEENSB_INSC_IiEEEEiNS9_4plusIvEEiEEDaPvRmT3_T4_T5_mT6_P12ihipStream_tbENKUlT_T0_E_clISt17integral_constantIbLb1EESW_EEDaSR_SS_EUlSR_E0_NS1_11comp_targetILNS1_3genE0ELNS1_11target_archE4294967295ELNS1_3gpuE0ELNS1_3repE0EEENS1_30default_config_static_selectorELNS0_4arch9wavefront6targetE1EEEvT1_,"axG",@progbits,_ZN7rocprim17ROCPRIM_400000_NS6detail17trampoline_kernelINS0_14default_configENS1_20scan_config_selectorIiEEZZNS1_9scan_implILNS1_25lookback_scan_determinismE0ELb1ELb1ES3_N6thrust23THRUST_200600_302600_NS6detail15normal_iteratorINS9_10device_ptrIjEEEENSB_INSC_IiEEEEiNS9_4plusIvEEiEEDaPvRmT3_T4_T5_mT6_P12ihipStream_tbENKUlT_T0_E_clISt17integral_constantIbLb1EESW_EEDaSR_SS_EUlSR_E0_NS1_11comp_targetILNS1_3genE0ELNS1_11target_archE4294967295ELNS1_3gpuE0ELNS1_3repE0EEENS1_30default_config_static_selectorELNS0_4arch9wavefront6targetE1EEEvT1_,comdat
.Lfunc_end6259:
	.size	_ZN7rocprim17ROCPRIM_400000_NS6detail17trampoline_kernelINS0_14default_configENS1_20scan_config_selectorIiEEZZNS1_9scan_implILNS1_25lookback_scan_determinismE0ELb1ELb1ES3_N6thrust23THRUST_200600_302600_NS6detail15normal_iteratorINS9_10device_ptrIjEEEENSB_INSC_IiEEEEiNS9_4plusIvEEiEEDaPvRmT3_T4_T5_mT6_P12ihipStream_tbENKUlT_T0_E_clISt17integral_constantIbLb1EESW_EEDaSR_SS_EUlSR_E0_NS1_11comp_targetILNS1_3genE0ELNS1_11target_archE4294967295ELNS1_3gpuE0ELNS1_3repE0EEENS1_30default_config_static_selectorELNS0_4arch9wavefront6targetE1EEEvT1_, .Lfunc_end6259-_ZN7rocprim17ROCPRIM_400000_NS6detail17trampoline_kernelINS0_14default_configENS1_20scan_config_selectorIiEEZZNS1_9scan_implILNS1_25lookback_scan_determinismE0ELb1ELb1ES3_N6thrust23THRUST_200600_302600_NS6detail15normal_iteratorINS9_10device_ptrIjEEEENSB_INSC_IiEEEEiNS9_4plusIvEEiEEDaPvRmT3_T4_T5_mT6_P12ihipStream_tbENKUlT_T0_E_clISt17integral_constantIbLb1EESW_EEDaSR_SS_EUlSR_E0_NS1_11comp_targetILNS1_3genE0ELNS1_11target_archE4294967295ELNS1_3gpuE0ELNS1_3repE0EEENS1_30default_config_static_selectorELNS0_4arch9wavefront6targetE1EEEvT1_
                                        ; -- End function
	.section	.AMDGPU.csdata,"",@progbits
; Kernel info:
; codeLenInByte = 0
; NumSgprs: 4
; NumVgprs: 0
; NumAgprs: 0
; TotalNumVgprs: 0
; ScratchSize: 0
; MemoryBound: 0
; FloatMode: 240
; IeeeMode: 1
; LDSByteSize: 0 bytes/workgroup (compile time only)
; SGPRBlocks: 0
; VGPRBlocks: 0
; NumSGPRsForWavesPerEU: 4
; NumVGPRsForWavesPerEU: 1
; AccumOffset: 4
; Occupancy: 8
; WaveLimiterHint : 0
; COMPUTE_PGM_RSRC2:SCRATCH_EN: 0
; COMPUTE_PGM_RSRC2:USER_SGPR: 6
; COMPUTE_PGM_RSRC2:TRAP_HANDLER: 0
; COMPUTE_PGM_RSRC2:TGID_X_EN: 1
; COMPUTE_PGM_RSRC2:TGID_Y_EN: 0
; COMPUTE_PGM_RSRC2:TGID_Z_EN: 0
; COMPUTE_PGM_RSRC2:TIDIG_COMP_CNT: 0
; COMPUTE_PGM_RSRC3_GFX90A:ACCUM_OFFSET: 0
; COMPUTE_PGM_RSRC3_GFX90A:TG_SPLIT: 0
	.section	.text._ZN7rocprim17ROCPRIM_400000_NS6detail17trampoline_kernelINS0_14default_configENS1_20scan_config_selectorIiEEZZNS1_9scan_implILNS1_25lookback_scan_determinismE0ELb1ELb1ES3_N6thrust23THRUST_200600_302600_NS6detail15normal_iteratorINS9_10device_ptrIjEEEENSB_INSC_IiEEEEiNS9_4plusIvEEiEEDaPvRmT3_T4_T5_mT6_P12ihipStream_tbENKUlT_T0_E_clISt17integral_constantIbLb1EESW_EEDaSR_SS_EUlSR_E0_NS1_11comp_targetILNS1_3genE5ELNS1_11target_archE942ELNS1_3gpuE9ELNS1_3repE0EEENS1_30default_config_static_selectorELNS0_4arch9wavefront6targetE1EEEvT1_,"axG",@progbits,_ZN7rocprim17ROCPRIM_400000_NS6detail17trampoline_kernelINS0_14default_configENS1_20scan_config_selectorIiEEZZNS1_9scan_implILNS1_25lookback_scan_determinismE0ELb1ELb1ES3_N6thrust23THRUST_200600_302600_NS6detail15normal_iteratorINS9_10device_ptrIjEEEENSB_INSC_IiEEEEiNS9_4plusIvEEiEEDaPvRmT3_T4_T5_mT6_P12ihipStream_tbENKUlT_T0_E_clISt17integral_constantIbLb1EESW_EEDaSR_SS_EUlSR_E0_NS1_11comp_targetILNS1_3genE5ELNS1_11target_archE942ELNS1_3gpuE9ELNS1_3repE0EEENS1_30default_config_static_selectorELNS0_4arch9wavefront6targetE1EEEvT1_,comdat
	.protected	_ZN7rocprim17ROCPRIM_400000_NS6detail17trampoline_kernelINS0_14default_configENS1_20scan_config_selectorIiEEZZNS1_9scan_implILNS1_25lookback_scan_determinismE0ELb1ELb1ES3_N6thrust23THRUST_200600_302600_NS6detail15normal_iteratorINS9_10device_ptrIjEEEENSB_INSC_IiEEEEiNS9_4plusIvEEiEEDaPvRmT3_T4_T5_mT6_P12ihipStream_tbENKUlT_T0_E_clISt17integral_constantIbLb1EESW_EEDaSR_SS_EUlSR_E0_NS1_11comp_targetILNS1_3genE5ELNS1_11target_archE942ELNS1_3gpuE9ELNS1_3repE0EEENS1_30default_config_static_selectorELNS0_4arch9wavefront6targetE1EEEvT1_ ; -- Begin function _ZN7rocprim17ROCPRIM_400000_NS6detail17trampoline_kernelINS0_14default_configENS1_20scan_config_selectorIiEEZZNS1_9scan_implILNS1_25lookback_scan_determinismE0ELb1ELb1ES3_N6thrust23THRUST_200600_302600_NS6detail15normal_iteratorINS9_10device_ptrIjEEEENSB_INSC_IiEEEEiNS9_4plusIvEEiEEDaPvRmT3_T4_T5_mT6_P12ihipStream_tbENKUlT_T0_E_clISt17integral_constantIbLb1EESW_EEDaSR_SS_EUlSR_E0_NS1_11comp_targetILNS1_3genE5ELNS1_11target_archE942ELNS1_3gpuE9ELNS1_3repE0EEENS1_30default_config_static_selectorELNS0_4arch9wavefront6targetE1EEEvT1_
	.globl	_ZN7rocprim17ROCPRIM_400000_NS6detail17trampoline_kernelINS0_14default_configENS1_20scan_config_selectorIiEEZZNS1_9scan_implILNS1_25lookback_scan_determinismE0ELb1ELb1ES3_N6thrust23THRUST_200600_302600_NS6detail15normal_iteratorINS9_10device_ptrIjEEEENSB_INSC_IiEEEEiNS9_4plusIvEEiEEDaPvRmT3_T4_T5_mT6_P12ihipStream_tbENKUlT_T0_E_clISt17integral_constantIbLb1EESW_EEDaSR_SS_EUlSR_E0_NS1_11comp_targetILNS1_3genE5ELNS1_11target_archE942ELNS1_3gpuE9ELNS1_3repE0EEENS1_30default_config_static_selectorELNS0_4arch9wavefront6targetE1EEEvT1_
	.p2align	8
	.type	_ZN7rocprim17ROCPRIM_400000_NS6detail17trampoline_kernelINS0_14default_configENS1_20scan_config_selectorIiEEZZNS1_9scan_implILNS1_25lookback_scan_determinismE0ELb1ELb1ES3_N6thrust23THRUST_200600_302600_NS6detail15normal_iteratorINS9_10device_ptrIjEEEENSB_INSC_IiEEEEiNS9_4plusIvEEiEEDaPvRmT3_T4_T5_mT6_P12ihipStream_tbENKUlT_T0_E_clISt17integral_constantIbLb1EESW_EEDaSR_SS_EUlSR_E0_NS1_11comp_targetILNS1_3genE5ELNS1_11target_archE942ELNS1_3gpuE9ELNS1_3repE0EEENS1_30default_config_static_selectorELNS0_4arch9wavefront6targetE1EEEvT1_,@function
_ZN7rocprim17ROCPRIM_400000_NS6detail17trampoline_kernelINS0_14default_configENS1_20scan_config_selectorIiEEZZNS1_9scan_implILNS1_25lookback_scan_determinismE0ELb1ELb1ES3_N6thrust23THRUST_200600_302600_NS6detail15normal_iteratorINS9_10device_ptrIjEEEENSB_INSC_IiEEEEiNS9_4plusIvEEiEEDaPvRmT3_T4_T5_mT6_P12ihipStream_tbENKUlT_T0_E_clISt17integral_constantIbLb1EESW_EEDaSR_SS_EUlSR_E0_NS1_11comp_targetILNS1_3genE5ELNS1_11target_archE942ELNS1_3gpuE9ELNS1_3repE0EEENS1_30default_config_static_selectorELNS0_4arch9wavefront6targetE1EEEvT1_: ; @_ZN7rocprim17ROCPRIM_400000_NS6detail17trampoline_kernelINS0_14default_configENS1_20scan_config_selectorIiEEZZNS1_9scan_implILNS1_25lookback_scan_determinismE0ELb1ELb1ES3_N6thrust23THRUST_200600_302600_NS6detail15normal_iteratorINS9_10device_ptrIjEEEENSB_INSC_IiEEEEiNS9_4plusIvEEiEEDaPvRmT3_T4_T5_mT6_P12ihipStream_tbENKUlT_T0_E_clISt17integral_constantIbLb1EESW_EEDaSR_SS_EUlSR_E0_NS1_11comp_targetILNS1_3genE5ELNS1_11target_archE942ELNS1_3gpuE9ELNS1_3repE0EEENS1_30default_config_static_selectorELNS0_4arch9wavefront6targetE1EEEvT1_
; %bb.0:
	.section	.rodata,"a",@progbits
	.p2align	6, 0x0
	.amdhsa_kernel _ZN7rocprim17ROCPRIM_400000_NS6detail17trampoline_kernelINS0_14default_configENS1_20scan_config_selectorIiEEZZNS1_9scan_implILNS1_25lookback_scan_determinismE0ELb1ELb1ES3_N6thrust23THRUST_200600_302600_NS6detail15normal_iteratorINS9_10device_ptrIjEEEENSB_INSC_IiEEEEiNS9_4plusIvEEiEEDaPvRmT3_T4_T5_mT6_P12ihipStream_tbENKUlT_T0_E_clISt17integral_constantIbLb1EESW_EEDaSR_SS_EUlSR_E0_NS1_11comp_targetILNS1_3genE5ELNS1_11target_archE942ELNS1_3gpuE9ELNS1_3repE0EEENS1_30default_config_static_selectorELNS0_4arch9wavefront6targetE1EEEvT1_
		.amdhsa_group_segment_fixed_size 0
		.amdhsa_private_segment_fixed_size 0
		.amdhsa_kernarg_size 32
		.amdhsa_user_sgpr_count 6
		.amdhsa_user_sgpr_private_segment_buffer 1
		.amdhsa_user_sgpr_dispatch_ptr 0
		.amdhsa_user_sgpr_queue_ptr 0
		.amdhsa_user_sgpr_kernarg_segment_ptr 1
		.amdhsa_user_sgpr_dispatch_id 0
		.amdhsa_user_sgpr_flat_scratch_init 0
		.amdhsa_user_sgpr_kernarg_preload_length 0
		.amdhsa_user_sgpr_kernarg_preload_offset 0
		.amdhsa_user_sgpr_private_segment_size 0
		.amdhsa_uses_dynamic_stack 0
		.amdhsa_system_sgpr_private_segment_wavefront_offset 0
		.amdhsa_system_sgpr_workgroup_id_x 1
		.amdhsa_system_sgpr_workgroup_id_y 0
		.amdhsa_system_sgpr_workgroup_id_z 0
		.amdhsa_system_sgpr_workgroup_info 0
		.amdhsa_system_vgpr_workitem_id 0
		.amdhsa_next_free_vgpr 1
		.amdhsa_next_free_sgpr 0
		.amdhsa_accum_offset 4
		.amdhsa_reserve_vcc 0
		.amdhsa_reserve_flat_scratch 0
		.amdhsa_float_round_mode_32 0
		.amdhsa_float_round_mode_16_64 0
		.amdhsa_float_denorm_mode_32 3
		.amdhsa_float_denorm_mode_16_64 3
		.amdhsa_dx10_clamp 1
		.amdhsa_ieee_mode 1
		.amdhsa_fp16_overflow 0
		.amdhsa_tg_split 0
		.amdhsa_exception_fp_ieee_invalid_op 0
		.amdhsa_exception_fp_denorm_src 0
		.amdhsa_exception_fp_ieee_div_zero 0
		.amdhsa_exception_fp_ieee_overflow 0
		.amdhsa_exception_fp_ieee_underflow 0
		.amdhsa_exception_fp_ieee_inexact 0
		.amdhsa_exception_int_div_zero 0
	.end_amdhsa_kernel
	.section	.text._ZN7rocprim17ROCPRIM_400000_NS6detail17trampoline_kernelINS0_14default_configENS1_20scan_config_selectorIiEEZZNS1_9scan_implILNS1_25lookback_scan_determinismE0ELb1ELb1ES3_N6thrust23THRUST_200600_302600_NS6detail15normal_iteratorINS9_10device_ptrIjEEEENSB_INSC_IiEEEEiNS9_4plusIvEEiEEDaPvRmT3_T4_T5_mT6_P12ihipStream_tbENKUlT_T0_E_clISt17integral_constantIbLb1EESW_EEDaSR_SS_EUlSR_E0_NS1_11comp_targetILNS1_3genE5ELNS1_11target_archE942ELNS1_3gpuE9ELNS1_3repE0EEENS1_30default_config_static_selectorELNS0_4arch9wavefront6targetE1EEEvT1_,"axG",@progbits,_ZN7rocprim17ROCPRIM_400000_NS6detail17trampoline_kernelINS0_14default_configENS1_20scan_config_selectorIiEEZZNS1_9scan_implILNS1_25lookback_scan_determinismE0ELb1ELb1ES3_N6thrust23THRUST_200600_302600_NS6detail15normal_iteratorINS9_10device_ptrIjEEEENSB_INSC_IiEEEEiNS9_4plusIvEEiEEDaPvRmT3_T4_T5_mT6_P12ihipStream_tbENKUlT_T0_E_clISt17integral_constantIbLb1EESW_EEDaSR_SS_EUlSR_E0_NS1_11comp_targetILNS1_3genE5ELNS1_11target_archE942ELNS1_3gpuE9ELNS1_3repE0EEENS1_30default_config_static_selectorELNS0_4arch9wavefront6targetE1EEEvT1_,comdat
.Lfunc_end6260:
	.size	_ZN7rocprim17ROCPRIM_400000_NS6detail17trampoline_kernelINS0_14default_configENS1_20scan_config_selectorIiEEZZNS1_9scan_implILNS1_25lookback_scan_determinismE0ELb1ELb1ES3_N6thrust23THRUST_200600_302600_NS6detail15normal_iteratorINS9_10device_ptrIjEEEENSB_INSC_IiEEEEiNS9_4plusIvEEiEEDaPvRmT3_T4_T5_mT6_P12ihipStream_tbENKUlT_T0_E_clISt17integral_constantIbLb1EESW_EEDaSR_SS_EUlSR_E0_NS1_11comp_targetILNS1_3genE5ELNS1_11target_archE942ELNS1_3gpuE9ELNS1_3repE0EEENS1_30default_config_static_selectorELNS0_4arch9wavefront6targetE1EEEvT1_, .Lfunc_end6260-_ZN7rocprim17ROCPRIM_400000_NS6detail17trampoline_kernelINS0_14default_configENS1_20scan_config_selectorIiEEZZNS1_9scan_implILNS1_25lookback_scan_determinismE0ELb1ELb1ES3_N6thrust23THRUST_200600_302600_NS6detail15normal_iteratorINS9_10device_ptrIjEEEENSB_INSC_IiEEEEiNS9_4plusIvEEiEEDaPvRmT3_T4_T5_mT6_P12ihipStream_tbENKUlT_T0_E_clISt17integral_constantIbLb1EESW_EEDaSR_SS_EUlSR_E0_NS1_11comp_targetILNS1_3genE5ELNS1_11target_archE942ELNS1_3gpuE9ELNS1_3repE0EEENS1_30default_config_static_selectorELNS0_4arch9wavefront6targetE1EEEvT1_
                                        ; -- End function
	.section	.AMDGPU.csdata,"",@progbits
; Kernel info:
; codeLenInByte = 0
; NumSgprs: 4
; NumVgprs: 0
; NumAgprs: 0
; TotalNumVgprs: 0
; ScratchSize: 0
; MemoryBound: 0
; FloatMode: 240
; IeeeMode: 1
; LDSByteSize: 0 bytes/workgroup (compile time only)
; SGPRBlocks: 0
; VGPRBlocks: 0
; NumSGPRsForWavesPerEU: 4
; NumVGPRsForWavesPerEU: 1
; AccumOffset: 4
; Occupancy: 8
; WaveLimiterHint : 0
; COMPUTE_PGM_RSRC2:SCRATCH_EN: 0
; COMPUTE_PGM_RSRC2:USER_SGPR: 6
; COMPUTE_PGM_RSRC2:TRAP_HANDLER: 0
; COMPUTE_PGM_RSRC2:TGID_X_EN: 1
; COMPUTE_PGM_RSRC2:TGID_Y_EN: 0
; COMPUTE_PGM_RSRC2:TGID_Z_EN: 0
; COMPUTE_PGM_RSRC2:TIDIG_COMP_CNT: 0
; COMPUTE_PGM_RSRC3_GFX90A:ACCUM_OFFSET: 0
; COMPUTE_PGM_RSRC3_GFX90A:TG_SPLIT: 0
	.section	.text._ZN7rocprim17ROCPRIM_400000_NS6detail17trampoline_kernelINS0_14default_configENS1_20scan_config_selectorIiEEZZNS1_9scan_implILNS1_25lookback_scan_determinismE0ELb1ELb1ES3_N6thrust23THRUST_200600_302600_NS6detail15normal_iteratorINS9_10device_ptrIjEEEENSB_INSC_IiEEEEiNS9_4plusIvEEiEEDaPvRmT3_T4_T5_mT6_P12ihipStream_tbENKUlT_T0_E_clISt17integral_constantIbLb1EESW_EEDaSR_SS_EUlSR_E0_NS1_11comp_targetILNS1_3genE4ELNS1_11target_archE910ELNS1_3gpuE8ELNS1_3repE0EEENS1_30default_config_static_selectorELNS0_4arch9wavefront6targetE1EEEvT1_,"axG",@progbits,_ZN7rocprim17ROCPRIM_400000_NS6detail17trampoline_kernelINS0_14default_configENS1_20scan_config_selectorIiEEZZNS1_9scan_implILNS1_25lookback_scan_determinismE0ELb1ELb1ES3_N6thrust23THRUST_200600_302600_NS6detail15normal_iteratorINS9_10device_ptrIjEEEENSB_INSC_IiEEEEiNS9_4plusIvEEiEEDaPvRmT3_T4_T5_mT6_P12ihipStream_tbENKUlT_T0_E_clISt17integral_constantIbLb1EESW_EEDaSR_SS_EUlSR_E0_NS1_11comp_targetILNS1_3genE4ELNS1_11target_archE910ELNS1_3gpuE8ELNS1_3repE0EEENS1_30default_config_static_selectorELNS0_4arch9wavefront6targetE1EEEvT1_,comdat
	.protected	_ZN7rocprim17ROCPRIM_400000_NS6detail17trampoline_kernelINS0_14default_configENS1_20scan_config_selectorIiEEZZNS1_9scan_implILNS1_25lookback_scan_determinismE0ELb1ELb1ES3_N6thrust23THRUST_200600_302600_NS6detail15normal_iteratorINS9_10device_ptrIjEEEENSB_INSC_IiEEEEiNS9_4plusIvEEiEEDaPvRmT3_T4_T5_mT6_P12ihipStream_tbENKUlT_T0_E_clISt17integral_constantIbLb1EESW_EEDaSR_SS_EUlSR_E0_NS1_11comp_targetILNS1_3genE4ELNS1_11target_archE910ELNS1_3gpuE8ELNS1_3repE0EEENS1_30default_config_static_selectorELNS0_4arch9wavefront6targetE1EEEvT1_ ; -- Begin function _ZN7rocprim17ROCPRIM_400000_NS6detail17trampoline_kernelINS0_14default_configENS1_20scan_config_selectorIiEEZZNS1_9scan_implILNS1_25lookback_scan_determinismE0ELb1ELb1ES3_N6thrust23THRUST_200600_302600_NS6detail15normal_iteratorINS9_10device_ptrIjEEEENSB_INSC_IiEEEEiNS9_4plusIvEEiEEDaPvRmT3_T4_T5_mT6_P12ihipStream_tbENKUlT_T0_E_clISt17integral_constantIbLb1EESW_EEDaSR_SS_EUlSR_E0_NS1_11comp_targetILNS1_3genE4ELNS1_11target_archE910ELNS1_3gpuE8ELNS1_3repE0EEENS1_30default_config_static_selectorELNS0_4arch9wavefront6targetE1EEEvT1_
	.globl	_ZN7rocprim17ROCPRIM_400000_NS6detail17trampoline_kernelINS0_14default_configENS1_20scan_config_selectorIiEEZZNS1_9scan_implILNS1_25lookback_scan_determinismE0ELb1ELb1ES3_N6thrust23THRUST_200600_302600_NS6detail15normal_iteratorINS9_10device_ptrIjEEEENSB_INSC_IiEEEEiNS9_4plusIvEEiEEDaPvRmT3_T4_T5_mT6_P12ihipStream_tbENKUlT_T0_E_clISt17integral_constantIbLb1EESW_EEDaSR_SS_EUlSR_E0_NS1_11comp_targetILNS1_3genE4ELNS1_11target_archE910ELNS1_3gpuE8ELNS1_3repE0EEENS1_30default_config_static_selectorELNS0_4arch9wavefront6targetE1EEEvT1_
	.p2align	8
	.type	_ZN7rocprim17ROCPRIM_400000_NS6detail17trampoline_kernelINS0_14default_configENS1_20scan_config_selectorIiEEZZNS1_9scan_implILNS1_25lookback_scan_determinismE0ELb1ELb1ES3_N6thrust23THRUST_200600_302600_NS6detail15normal_iteratorINS9_10device_ptrIjEEEENSB_INSC_IiEEEEiNS9_4plusIvEEiEEDaPvRmT3_T4_T5_mT6_P12ihipStream_tbENKUlT_T0_E_clISt17integral_constantIbLb1EESW_EEDaSR_SS_EUlSR_E0_NS1_11comp_targetILNS1_3genE4ELNS1_11target_archE910ELNS1_3gpuE8ELNS1_3repE0EEENS1_30default_config_static_selectorELNS0_4arch9wavefront6targetE1EEEvT1_,@function
_ZN7rocprim17ROCPRIM_400000_NS6detail17trampoline_kernelINS0_14default_configENS1_20scan_config_selectorIiEEZZNS1_9scan_implILNS1_25lookback_scan_determinismE0ELb1ELb1ES3_N6thrust23THRUST_200600_302600_NS6detail15normal_iteratorINS9_10device_ptrIjEEEENSB_INSC_IiEEEEiNS9_4plusIvEEiEEDaPvRmT3_T4_T5_mT6_P12ihipStream_tbENKUlT_T0_E_clISt17integral_constantIbLb1EESW_EEDaSR_SS_EUlSR_E0_NS1_11comp_targetILNS1_3genE4ELNS1_11target_archE910ELNS1_3gpuE8ELNS1_3repE0EEENS1_30default_config_static_selectorELNS0_4arch9wavefront6targetE1EEEvT1_: ; @_ZN7rocprim17ROCPRIM_400000_NS6detail17trampoline_kernelINS0_14default_configENS1_20scan_config_selectorIiEEZZNS1_9scan_implILNS1_25lookback_scan_determinismE0ELb1ELb1ES3_N6thrust23THRUST_200600_302600_NS6detail15normal_iteratorINS9_10device_ptrIjEEEENSB_INSC_IiEEEEiNS9_4plusIvEEiEEDaPvRmT3_T4_T5_mT6_P12ihipStream_tbENKUlT_T0_E_clISt17integral_constantIbLb1EESW_EEDaSR_SS_EUlSR_E0_NS1_11comp_targetILNS1_3genE4ELNS1_11target_archE910ELNS1_3gpuE8ELNS1_3repE0EEENS1_30default_config_static_selectorELNS0_4arch9wavefront6targetE1EEEvT1_
; %bb.0:
	s_load_dwordx4 s[20:23], s[4:5], 0x0
	v_lshlrev_b32_e32 v14, 2, v0
	s_waitcnt lgkmcnt(0)
	s_load_dword s23, s[20:21], 0x0
	v_cmp_gt_u32_e32 vcc, s22, v0
	s_waitcnt lgkmcnt(0)
	v_mov_b32_e32 v1, s23
	s_and_saveexec_b64 s[0:1], vcc
	s_cbranch_execz .LBB6261_2
; %bb.1:
	global_load_dword v1, v14, s[20:21]
.LBB6261_2:
	s_or_b64 exec, exec, s[0:1]
	v_or_b32_e32 v2, 0x80, v0
	v_cmp_gt_u32_e64 s[0:1], s22, v2
	v_mov_b32_e32 v2, s23
	s_and_saveexec_b64 s[2:3], s[0:1]
	s_cbranch_execz .LBB6261_4
; %bb.3:
	global_load_dword v2, v14, s[20:21] offset:512
.LBB6261_4:
	s_or_b64 exec, exec, s[2:3]
	v_or_b32_e32 v3, 0x100, v0
	v_cmp_gt_u32_e64 s[2:3], s22, v3
	v_mov_b32_e32 v3, s23
	s_and_saveexec_b64 s[6:7], s[2:3]
	s_cbranch_execz .LBB6261_6
; %bb.5:
	global_load_dword v3, v14, s[20:21] offset:1024
.LBB6261_6:
	s_or_b64 exec, exec, s[6:7]
	v_or_b32_e32 v4, 0x180, v0
	v_cmp_gt_u32_e64 s[18:19], s22, v4
	v_mov_b32_e32 v4, s23
	s_and_saveexec_b64 s[6:7], s[18:19]
	s_cbranch_execz .LBB6261_8
; %bb.7:
	global_load_dword v4, v14, s[20:21] offset:1536
.LBB6261_8:
	s_or_b64 exec, exec, s[6:7]
	v_or_b32_e32 v5, 0x200, v0
	v_cmp_gt_u32_e64 s[6:7], s22, v5
	v_mov_b32_e32 v5, s23
	s_and_saveexec_b64 s[8:9], s[6:7]
	s_cbranch_execz .LBB6261_10
; %bb.9:
	global_load_dword v5, v14, s[20:21] offset:2048
.LBB6261_10:
	s_or_b64 exec, exec, s[8:9]
	v_or_b32_e32 v6, 0x280, v0
	v_cmp_gt_u32_e64 s[8:9], s22, v6
	v_mov_b32_e32 v6, s23
	s_and_saveexec_b64 s[10:11], s[8:9]
	s_cbranch_execz .LBB6261_12
; %bb.11:
	global_load_dword v6, v14, s[20:21] offset:2560
.LBB6261_12:
	s_or_b64 exec, exec, s[10:11]
	v_or_b32_e32 v7, 0x300, v0
	v_cmp_gt_u32_e64 s[10:11], s22, v7
	v_mov_b32_e32 v7, s23
	s_and_saveexec_b64 s[12:13], s[10:11]
	s_cbranch_execz .LBB6261_14
; %bb.13:
	global_load_dword v7, v14, s[20:21] offset:3072
.LBB6261_14:
	s_or_b64 exec, exec, s[12:13]
	v_or_b32_e32 v8, 0x380, v0
	v_cmp_gt_u32_e64 s[12:13], s22, v8
	v_mov_b32_e32 v8, s23
	s_and_saveexec_b64 s[14:15], s[12:13]
	s_cbranch_execz .LBB6261_16
; %bb.15:
	global_load_dword v8, v14, s[20:21] offset:3584
.LBB6261_16:
	s_or_b64 exec, exec, s[14:15]
	v_or_b32_e32 v10, 0x400, v0
	v_cmp_gt_u32_e64 s[14:15], s22, v10
	v_mov_b32_e32 v9, s23
	s_and_saveexec_b64 s[16:17], s[14:15]
	s_cbranch_execz .LBB6261_18
; %bb.17:
	v_lshlrev_b32_e32 v9, 2, v10
	global_load_dword v9, v9, s[20:21]
.LBB6261_18:
	s_or_b64 exec, exec, s[16:17]
	s_load_dword s24, s[4:5], 0x10
	v_or_b32_e32 v11, 0x480, v0
	v_cmp_gt_u32_e64 s[16:17], s22, v11
	v_mov_b32_e32 v10, s23
	s_and_saveexec_b64 s[22:23], s[16:17]
	s_cbranch_execz .LBB6261_20
; %bb.19:
	v_lshlrev_b32_e32 v10, 2, v11
	global_load_dword v10, v10, s[20:21]
.LBB6261_20:
	s_or_b64 exec, exec, s[22:23]
	s_waitcnt vmcnt(0)
	ds_write2st64_b32 v14, v1, v2 offset1:2
	ds_write2st64_b32 v14, v3, v4 offset0:4 offset1:6
	ds_write2st64_b32 v14, v5, v6 offset0:8 offset1:10
	;; [unrolled: 1-line block ×4, first 2 shown]
	v_mad_u32_u24 v1, v0, 36, v14
	s_waitcnt lgkmcnt(0)
	s_barrier
	ds_read2_b64 v[6:9], v1 offset1:1
	ds_read2_b64 v[2:5], v1 offset0:2 offset1:3
	ds_read_b64 v[10:11], v1 offset:32
	s_load_dwordx2 s[20:21], s[4:5], 0x18
	v_cmp_gt_u32_e64 s[4:5], 64, v0
	s_waitcnt lgkmcnt(0)
	v_add_u32_e32 v1, v7, v6
	v_add3_u32 v1, v1, v8, v9
	v_add3_u32 v1, v1, v2, v3
	;; [unrolled: 1-line block ×4, first 2 shown]
	v_lshrrev_b32_e32 v11, 3, v0
	v_and_b32_e32 v11, 12, v11
	v_add_u32_e32 v11, v14, v11
	s_barrier
	ds_write_b32 v11, v1
	s_waitcnt lgkmcnt(0)
	s_barrier
	s_and_saveexec_b64 s[22:23], s[4:5]
	s_cbranch_execz .LBB6261_22
; %bb.21:
	v_lshlrev_b32_e32 v11, 1, v0
	v_lshrrev_b32_e32 v12, 4, v0
	v_add_lshl_u32 v11, v12, v11, 2
	ds_read2_b32 v[12:13], v11 offset1:1
	v_mbcnt_lo_u32_b32 v15, -1, 0
	v_mbcnt_hi_u32_b32 v15, -1, v15
	v_and_b32_e32 v16, 15, v15
	v_cmp_ne_u32_e64 s[4:5], 0, v16
	s_waitcnt lgkmcnt(0)
	v_add_u32_e32 v13, v13, v12
	; wave barrier
	s_nop 1
	v_mov_b32_dpp v17, v13 row_shr:1 row_mask:0xf bank_mask:0xf
	v_cndmask_b32_e64 v17, 0, v17, s[4:5]
	v_add_u32_e32 v13, v17, v13
	v_cmp_lt_u32_e64 s[4:5], 1, v16
	s_nop 0
	v_mov_b32_dpp v17, v13 row_shr:2 row_mask:0xf bank_mask:0xf
	v_cndmask_b32_e64 v17, 0, v17, s[4:5]
	v_add_u32_e32 v13, v13, v17
	v_cmp_lt_u32_e64 s[4:5], 3, v16
	;; [unrolled: 5-line block ×3, first 2 shown]
	s_nop 0
	v_mov_b32_dpp v17, v13 row_shr:8 row_mask:0xf bank_mask:0xf
	v_cndmask_b32_e64 v16, 0, v17, s[4:5]
	v_add_u32_e32 v13, v13, v16
	v_bfe_i32 v17, v15, 4, 1
	v_cmp_lt_u32_e64 s[4:5], 31, v15
	v_mov_b32_dpp v16, v13 row_bcast:15 row_mask:0xf bank_mask:0xf
	v_and_b32_e32 v16, v17, v16
	v_add_u32_e32 v13, v13, v16
	v_and_b32_e32 v17, 64, v15
	s_nop 0
	v_mov_b32_dpp v16, v13 row_bcast:31 row_mask:0xf bank_mask:0xf
	v_cndmask_b32_e64 v16, 0, v16, s[4:5]
	v_add_u32_e32 v13, v13, v16
	v_add_u32_e32 v16, -1, v15
	v_cmp_lt_i32_e64 s[4:5], v16, v17
	v_cndmask_b32_e64 v15, v16, v15, s[4:5]
	v_lshlrev_b32_e32 v15, 2, v15
	ds_bpermute_b32 v13, v15, v13
	v_cmp_eq_u32_e64 s[4:5], 0, v0
	s_waitcnt lgkmcnt(0)
	v_add_u32_e32 v12, v13, v12
	v_cndmask_b32_e64 v1, v12, v1, s[4:5]
	ds_write_b32 v11, v1
	; wave barrier
	ds_read_b32 v12, v11 offset:4
	s_waitcnt lgkmcnt(0)
	v_add_u32_e32 v1, v12, v1
	ds_write_b32 v11, v1 offset:4
.LBB6261_22:
	s_or_b64 exec, exec, s[22:23]
	v_mul_u32_u24_e32 v1, 36, v0
	v_cmp_ne_u32_e64 s[4:5], 0, v0
	v_mov_b32_e32 v12, s24
	s_waitcnt lgkmcnt(0)
	s_barrier
	s_and_saveexec_b64 s[22:23], s[4:5]
	s_cbranch_execz .LBB6261_24
; %bb.23:
	v_add_u32_e32 v0, -1, v0
	v_lshrrev_b32_e32 v11, 5, v0
	v_add_lshl_u32 v0, v11, v0, 2
	ds_read_b32 v0, v0
	s_waitcnt lgkmcnt(0)
	v_add_u32_e32 v12, s24, v0
.LBB6261_24:
	s_or_b64 exec, exec, s[22:23]
	v_add_u32_e32 v13, v12, v6
	v_add_u32_e32 v6, v13, v7
	;; [unrolled: 1-line block ×10, first 2 shown]
	s_barrier
	ds_write2_b64 v0, v[12:13], v[6:7] offset1:1
	ds_write2_b64 v0, v[8:9], v[2:3] offset0:2 offset1:3
	ds_write_b64 v0, v[4:5] offset:32
	s_waitcnt lgkmcnt(0)
	s_barrier
	ds_read2st64_b32 v[8:9], v14 offset0:2 offset1:4
	ds_read2st64_b32 v[6:7], v14 offset0:6 offset1:8
	;; [unrolled: 1-line block ×4, first 2 shown]
	ds_read_b32 v10, v14 offset:4608
	v_mov_b32_e32 v1, s21
	v_add_co_u32_e64 v0, s[4:5], s20, v14
	v_addc_co_u32_e64 v1, s[4:5], 0, v1, s[4:5]
	s_and_saveexec_b64 s[4:5], vcc
	s_cbranch_execnz .LBB6261_35
; %bb.25:
	s_or_b64 exec, exec, s[4:5]
	s_and_saveexec_b64 s[4:5], s[0:1]
	s_cbranch_execnz .LBB6261_36
.LBB6261_26:
	s_or_b64 exec, exec, s[4:5]
	s_and_saveexec_b64 s[0:1], s[2:3]
	s_cbranch_execnz .LBB6261_37
.LBB6261_27:
	s_or_b64 exec, exec, s[0:1]
	s_and_saveexec_b64 s[0:1], s[18:19]
	s_cbranch_execnz .LBB6261_38
.LBB6261_28:
	s_or_b64 exec, exec, s[0:1]
	s_and_saveexec_b64 s[0:1], s[6:7]
	s_cbranch_execnz .LBB6261_39
.LBB6261_29:
	s_or_b64 exec, exec, s[0:1]
	s_and_saveexec_b64 s[0:1], s[8:9]
	s_cbranch_execnz .LBB6261_40
.LBB6261_30:
	s_or_b64 exec, exec, s[0:1]
	s_and_saveexec_b64 s[0:1], s[10:11]
	s_cbranch_execnz .LBB6261_41
.LBB6261_31:
	s_or_b64 exec, exec, s[0:1]
	s_and_saveexec_b64 s[0:1], s[12:13]
	s_cbranch_execnz .LBB6261_42
.LBB6261_32:
	s_or_b64 exec, exec, s[0:1]
	s_and_saveexec_b64 s[0:1], s[14:15]
	s_cbranch_execnz .LBB6261_43
.LBB6261_33:
	s_or_b64 exec, exec, s[0:1]
	s_and_saveexec_b64 s[0:1], s[16:17]
	s_cbranch_execnz .LBB6261_44
.LBB6261_34:
	s_endpgm
.LBB6261_35:
	ds_read_b32 v11, v14
	s_waitcnt lgkmcnt(0)
	global_store_dword v[0:1], v11, off
	s_or_b64 exec, exec, s[4:5]
	s_and_saveexec_b64 s[4:5], s[0:1]
	s_cbranch_execz .LBB6261_26
.LBB6261_36:
	s_waitcnt lgkmcnt(4)
	global_store_dword v[0:1], v8, off offset:512
	s_or_b64 exec, exec, s[4:5]
	s_and_saveexec_b64 s[0:1], s[2:3]
	s_cbranch_execz .LBB6261_27
.LBB6261_37:
	s_waitcnt lgkmcnt(4)
	global_store_dword v[0:1], v9, off offset:1024
	s_or_b64 exec, exec, s[0:1]
	s_and_saveexec_b64 s[0:1], s[18:19]
	s_cbranch_execz .LBB6261_28
.LBB6261_38:
	s_waitcnt lgkmcnt(3)
	global_store_dword v[0:1], v6, off offset:1536
	s_or_b64 exec, exec, s[0:1]
	s_and_saveexec_b64 s[0:1], s[6:7]
	s_cbranch_execz .LBB6261_29
.LBB6261_39:
	s_waitcnt lgkmcnt(3)
	global_store_dword v[0:1], v7, off offset:2048
	s_or_b64 exec, exec, s[0:1]
	s_and_saveexec_b64 s[0:1], s[8:9]
	s_cbranch_execz .LBB6261_30
.LBB6261_40:
	s_waitcnt lgkmcnt(2)
	global_store_dword v[0:1], v4, off offset:2560
	s_or_b64 exec, exec, s[0:1]
	s_and_saveexec_b64 s[0:1], s[10:11]
	s_cbranch_execz .LBB6261_31
.LBB6261_41:
	s_waitcnt lgkmcnt(2)
	global_store_dword v[0:1], v5, off offset:3072
	s_or_b64 exec, exec, s[0:1]
	s_and_saveexec_b64 s[0:1], s[12:13]
	s_cbranch_execz .LBB6261_32
.LBB6261_42:
	s_waitcnt lgkmcnt(1)
	global_store_dword v[0:1], v2, off offset:3584
	s_or_b64 exec, exec, s[0:1]
	s_and_saveexec_b64 s[0:1], s[14:15]
	s_cbranch_execz .LBB6261_33
.LBB6261_43:
	s_waitcnt lgkmcnt(2)
	v_add_co_u32_e32 v4, vcc, 0x1000, v0
	v_addc_co_u32_e32 v5, vcc, 0, v1, vcc
	s_waitcnt lgkmcnt(1)
	global_store_dword v[4:5], v3, off
	s_or_b64 exec, exec, s[0:1]
	s_and_saveexec_b64 s[0:1], s[16:17]
	s_cbranch_execz .LBB6261_34
.LBB6261_44:
	v_add_co_u32_e32 v0, vcc, 0x1000, v0
	v_addc_co_u32_e32 v1, vcc, 0, v1, vcc
	s_waitcnt lgkmcnt(0)
	global_store_dword v[0:1], v10, off offset:512
	s_endpgm
	.section	.rodata,"a",@progbits
	.p2align	6, 0x0
	.amdhsa_kernel _ZN7rocprim17ROCPRIM_400000_NS6detail17trampoline_kernelINS0_14default_configENS1_20scan_config_selectorIiEEZZNS1_9scan_implILNS1_25lookback_scan_determinismE0ELb1ELb1ES3_N6thrust23THRUST_200600_302600_NS6detail15normal_iteratorINS9_10device_ptrIjEEEENSB_INSC_IiEEEEiNS9_4plusIvEEiEEDaPvRmT3_T4_T5_mT6_P12ihipStream_tbENKUlT_T0_E_clISt17integral_constantIbLb1EESW_EEDaSR_SS_EUlSR_E0_NS1_11comp_targetILNS1_3genE4ELNS1_11target_archE910ELNS1_3gpuE8ELNS1_3repE0EEENS1_30default_config_static_selectorELNS0_4arch9wavefront6targetE1EEEvT1_
		.amdhsa_group_segment_fixed_size 5120
		.amdhsa_private_segment_fixed_size 0
		.amdhsa_kernarg_size 32
		.amdhsa_user_sgpr_count 6
		.amdhsa_user_sgpr_private_segment_buffer 1
		.amdhsa_user_sgpr_dispatch_ptr 0
		.amdhsa_user_sgpr_queue_ptr 0
		.amdhsa_user_sgpr_kernarg_segment_ptr 1
		.amdhsa_user_sgpr_dispatch_id 0
		.amdhsa_user_sgpr_flat_scratch_init 0
		.amdhsa_user_sgpr_kernarg_preload_length 0
		.amdhsa_user_sgpr_kernarg_preload_offset 0
		.amdhsa_user_sgpr_private_segment_size 0
		.amdhsa_uses_dynamic_stack 0
		.amdhsa_system_sgpr_private_segment_wavefront_offset 0
		.amdhsa_system_sgpr_workgroup_id_x 1
		.amdhsa_system_sgpr_workgroup_id_y 0
		.amdhsa_system_sgpr_workgroup_id_z 0
		.amdhsa_system_sgpr_workgroup_info 0
		.amdhsa_system_vgpr_workitem_id 0
		.amdhsa_next_free_vgpr 18
		.amdhsa_next_free_sgpr 25
		.amdhsa_accum_offset 20
		.amdhsa_reserve_vcc 1
		.amdhsa_reserve_flat_scratch 0
		.amdhsa_float_round_mode_32 0
		.amdhsa_float_round_mode_16_64 0
		.amdhsa_float_denorm_mode_32 3
		.amdhsa_float_denorm_mode_16_64 3
		.amdhsa_dx10_clamp 1
		.amdhsa_ieee_mode 1
		.amdhsa_fp16_overflow 0
		.amdhsa_tg_split 0
		.amdhsa_exception_fp_ieee_invalid_op 0
		.amdhsa_exception_fp_denorm_src 0
		.amdhsa_exception_fp_ieee_div_zero 0
		.amdhsa_exception_fp_ieee_overflow 0
		.amdhsa_exception_fp_ieee_underflow 0
		.amdhsa_exception_fp_ieee_inexact 0
		.amdhsa_exception_int_div_zero 0
	.end_amdhsa_kernel
	.section	.text._ZN7rocprim17ROCPRIM_400000_NS6detail17trampoline_kernelINS0_14default_configENS1_20scan_config_selectorIiEEZZNS1_9scan_implILNS1_25lookback_scan_determinismE0ELb1ELb1ES3_N6thrust23THRUST_200600_302600_NS6detail15normal_iteratorINS9_10device_ptrIjEEEENSB_INSC_IiEEEEiNS9_4plusIvEEiEEDaPvRmT3_T4_T5_mT6_P12ihipStream_tbENKUlT_T0_E_clISt17integral_constantIbLb1EESW_EEDaSR_SS_EUlSR_E0_NS1_11comp_targetILNS1_3genE4ELNS1_11target_archE910ELNS1_3gpuE8ELNS1_3repE0EEENS1_30default_config_static_selectorELNS0_4arch9wavefront6targetE1EEEvT1_,"axG",@progbits,_ZN7rocprim17ROCPRIM_400000_NS6detail17trampoline_kernelINS0_14default_configENS1_20scan_config_selectorIiEEZZNS1_9scan_implILNS1_25lookback_scan_determinismE0ELb1ELb1ES3_N6thrust23THRUST_200600_302600_NS6detail15normal_iteratorINS9_10device_ptrIjEEEENSB_INSC_IiEEEEiNS9_4plusIvEEiEEDaPvRmT3_T4_T5_mT6_P12ihipStream_tbENKUlT_T0_E_clISt17integral_constantIbLb1EESW_EEDaSR_SS_EUlSR_E0_NS1_11comp_targetILNS1_3genE4ELNS1_11target_archE910ELNS1_3gpuE8ELNS1_3repE0EEENS1_30default_config_static_selectorELNS0_4arch9wavefront6targetE1EEEvT1_,comdat
.Lfunc_end6261:
	.size	_ZN7rocprim17ROCPRIM_400000_NS6detail17trampoline_kernelINS0_14default_configENS1_20scan_config_selectorIiEEZZNS1_9scan_implILNS1_25lookback_scan_determinismE0ELb1ELb1ES3_N6thrust23THRUST_200600_302600_NS6detail15normal_iteratorINS9_10device_ptrIjEEEENSB_INSC_IiEEEEiNS9_4plusIvEEiEEDaPvRmT3_T4_T5_mT6_P12ihipStream_tbENKUlT_T0_E_clISt17integral_constantIbLb1EESW_EEDaSR_SS_EUlSR_E0_NS1_11comp_targetILNS1_3genE4ELNS1_11target_archE910ELNS1_3gpuE8ELNS1_3repE0EEENS1_30default_config_static_selectorELNS0_4arch9wavefront6targetE1EEEvT1_, .Lfunc_end6261-_ZN7rocprim17ROCPRIM_400000_NS6detail17trampoline_kernelINS0_14default_configENS1_20scan_config_selectorIiEEZZNS1_9scan_implILNS1_25lookback_scan_determinismE0ELb1ELb1ES3_N6thrust23THRUST_200600_302600_NS6detail15normal_iteratorINS9_10device_ptrIjEEEENSB_INSC_IiEEEEiNS9_4plusIvEEiEEDaPvRmT3_T4_T5_mT6_P12ihipStream_tbENKUlT_T0_E_clISt17integral_constantIbLb1EESW_EEDaSR_SS_EUlSR_E0_NS1_11comp_targetILNS1_3genE4ELNS1_11target_archE910ELNS1_3gpuE8ELNS1_3repE0EEENS1_30default_config_static_selectorELNS0_4arch9wavefront6targetE1EEEvT1_
                                        ; -- End function
	.section	.AMDGPU.csdata,"",@progbits
; Kernel info:
; codeLenInByte = 1536
; NumSgprs: 29
; NumVgprs: 18
; NumAgprs: 0
; TotalNumVgprs: 18
; ScratchSize: 0
; MemoryBound: 0
; FloatMode: 240
; IeeeMode: 1
; LDSByteSize: 5120 bytes/workgroup (compile time only)
; SGPRBlocks: 3
; VGPRBlocks: 2
; NumSGPRsForWavesPerEU: 29
; NumVGPRsForWavesPerEU: 18
; AccumOffset: 20
; Occupancy: 6
; WaveLimiterHint : 0
; COMPUTE_PGM_RSRC2:SCRATCH_EN: 0
; COMPUTE_PGM_RSRC2:USER_SGPR: 6
; COMPUTE_PGM_RSRC2:TRAP_HANDLER: 0
; COMPUTE_PGM_RSRC2:TGID_X_EN: 1
; COMPUTE_PGM_RSRC2:TGID_Y_EN: 0
; COMPUTE_PGM_RSRC2:TGID_Z_EN: 0
; COMPUTE_PGM_RSRC2:TIDIG_COMP_CNT: 0
; COMPUTE_PGM_RSRC3_GFX90A:ACCUM_OFFSET: 4
; COMPUTE_PGM_RSRC3_GFX90A:TG_SPLIT: 0
	.section	.text._ZN7rocprim17ROCPRIM_400000_NS6detail17trampoline_kernelINS0_14default_configENS1_20scan_config_selectorIiEEZZNS1_9scan_implILNS1_25lookback_scan_determinismE0ELb1ELb1ES3_N6thrust23THRUST_200600_302600_NS6detail15normal_iteratorINS9_10device_ptrIjEEEENSB_INSC_IiEEEEiNS9_4plusIvEEiEEDaPvRmT3_T4_T5_mT6_P12ihipStream_tbENKUlT_T0_E_clISt17integral_constantIbLb1EESW_EEDaSR_SS_EUlSR_E0_NS1_11comp_targetILNS1_3genE3ELNS1_11target_archE908ELNS1_3gpuE7ELNS1_3repE0EEENS1_30default_config_static_selectorELNS0_4arch9wavefront6targetE1EEEvT1_,"axG",@progbits,_ZN7rocprim17ROCPRIM_400000_NS6detail17trampoline_kernelINS0_14default_configENS1_20scan_config_selectorIiEEZZNS1_9scan_implILNS1_25lookback_scan_determinismE0ELb1ELb1ES3_N6thrust23THRUST_200600_302600_NS6detail15normal_iteratorINS9_10device_ptrIjEEEENSB_INSC_IiEEEEiNS9_4plusIvEEiEEDaPvRmT3_T4_T5_mT6_P12ihipStream_tbENKUlT_T0_E_clISt17integral_constantIbLb1EESW_EEDaSR_SS_EUlSR_E0_NS1_11comp_targetILNS1_3genE3ELNS1_11target_archE908ELNS1_3gpuE7ELNS1_3repE0EEENS1_30default_config_static_selectorELNS0_4arch9wavefront6targetE1EEEvT1_,comdat
	.protected	_ZN7rocprim17ROCPRIM_400000_NS6detail17trampoline_kernelINS0_14default_configENS1_20scan_config_selectorIiEEZZNS1_9scan_implILNS1_25lookback_scan_determinismE0ELb1ELb1ES3_N6thrust23THRUST_200600_302600_NS6detail15normal_iteratorINS9_10device_ptrIjEEEENSB_INSC_IiEEEEiNS9_4plusIvEEiEEDaPvRmT3_T4_T5_mT6_P12ihipStream_tbENKUlT_T0_E_clISt17integral_constantIbLb1EESW_EEDaSR_SS_EUlSR_E0_NS1_11comp_targetILNS1_3genE3ELNS1_11target_archE908ELNS1_3gpuE7ELNS1_3repE0EEENS1_30default_config_static_selectorELNS0_4arch9wavefront6targetE1EEEvT1_ ; -- Begin function _ZN7rocprim17ROCPRIM_400000_NS6detail17trampoline_kernelINS0_14default_configENS1_20scan_config_selectorIiEEZZNS1_9scan_implILNS1_25lookback_scan_determinismE0ELb1ELb1ES3_N6thrust23THRUST_200600_302600_NS6detail15normal_iteratorINS9_10device_ptrIjEEEENSB_INSC_IiEEEEiNS9_4plusIvEEiEEDaPvRmT3_T4_T5_mT6_P12ihipStream_tbENKUlT_T0_E_clISt17integral_constantIbLb1EESW_EEDaSR_SS_EUlSR_E0_NS1_11comp_targetILNS1_3genE3ELNS1_11target_archE908ELNS1_3gpuE7ELNS1_3repE0EEENS1_30default_config_static_selectorELNS0_4arch9wavefront6targetE1EEEvT1_
	.globl	_ZN7rocprim17ROCPRIM_400000_NS6detail17trampoline_kernelINS0_14default_configENS1_20scan_config_selectorIiEEZZNS1_9scan_implILNS1_25lookback_scan_determinismE0ELb1ELb1ES3_N6thrust23THRUST_200600_302600_NS6detail15normal_iteratorINS9_10device_ptrIjEEEENSB_INSC_IiEEEEiNS9_4plusIvEEiEEDaPvRmT3_T4_T5_mT6_P12ihipStream_tbENKUlT_T0_E_clISt17integral_constantIbLb1EESW_EEDaSR_SS_EUlSR_E0_NS1_11comp_targetILNS1_3genE3ELNS1_11target_archE908ELNS1_3gpuE7ELNS1_3repE0EEENS1_30default_config_static_selectorELNS0_4arch9wavefront6targetE1EEEvT1_
	.p2align	8
	.type	_ZN7rocprim17ROCPRIM_400000_NS6detail17trampoline_kernelINS0_14default_configENS1_20scan_config_selectorIiEEZZNS1_9scan_implILNS1_25lookback_scan_determinismE0ELb1ELb1ES3_N6thrust23THRUST_200600_302600_NS6detail15normal_iteratorINS9_10device_ptrIjEEEENSB_INSC_IiEEEEiNS9_4plusIvEEiEEDaPvRmT3_T4_T5_mT6_P12ihipStream_tbENKUlT_T0_E_clISt17integral_constantIbLb1EESW_EEDaSR_SS_EUlSR_E0_NS1_11comp_targetILNS1_3genE3ELNS1_11target_archE908ELNS1_3gpuE7ELNS1_3repE0EEENS1_30default_config_static_selectorELNS0_4arch9wavefront6targetE1EEEvT1_,@function
_ZN7rocprim17ROCPRIM_400000_NS6detail17trampoline_kernelINS0_14default_configENS1_20scan_config_selectorIiEEZZNS1_9scan_implILNS1_25lookback_scan_determinismE0ELb1ELb1ES3_N6thrust23THRUST_200600_302600_NS6detail15normal_iteratorINS9_10device_ptrIjEEEENSB_INSC_IiEEEEiNS9_4plusIvEEiEEDaPvRmT3_T4_T5_mT6_P12ihipStream_tbENKUlT_T0_E_clISt17integral_constantIbLb1EESW_EEDaSR_SS_EUlSR_E0_NS1_11comp_targetILNS1_3genE3ELNS1_11target_archE908ELNS1_3gpuE7ELNS1_3repE0EEENS1_30default_config_static_selectorELNS0_4arch9wavefront6targetE1EEEvT1_: ; @_ZN7rocprim17ROCPRIM_400000_NS6detail17trampoline_kernelINS0_14default_configENS1_20scan_config_selectorIiEEZZNS1_9scan_implILNS1_25lookback_scan_determinismE0ELb1ELb1ES3_N6thrust23THRUST_200600_302600_NS6detail15normal_iteratorINS9_10device_ptrIjEEEENSB_INSC_IiEEEEiNS9_4plusIvEEiEEDaPvRmT3_T4_T5_mT6_P12ihipStream_tbENKUlT_T0_E_clISt17integral_constantIbLb1EESW_EEDaSR_SS_EUlSR_E0_NS1_11comp_targetILNS1_3genE3ELNS1_11target_archE908ELNS1_3gpuE7ELNS1_3repE0EEENS1_30default_config_static_selectorELNS0_4arch9wavefront6targetE1EEEvT1_
; %bb.0:
	.section	.rodata,"a",@progbits
	.p2align	6, 0x0
	.amdhsa_kernel _ZN7rocprim17ROCPRIM_400000_NS6detail17trampoline_kernelINS0_14default_configENS1_20scan_config_selectorIiEEZZNS1_9scan_implILNS1_25lookback_scan_determinismE0ELb1ELb1ES3_N6thrust23THRUST_200600_302600_NS6detail15normal_iteratorINS9_10device_ptrIjEEEENSB_INSC_IiEEEEiNS9_4plusIvEEiEEDaPvRmT3_T4_T5_mT6_P12ihipStream_tbENKUlT_T0_E_clISt17integral_constantIbLb1EESW_EEDaSR_SS_EUlSR_E0_NS1_11comp_targetILNS1_3genE3ELNS1_11target_archE908ELNS1_3gpuE7ELNS1_3repE0EEENS1_30default_config_static_selectorELNS0_4arch9wavefront6targetE1EEEvT1_
		.amdhsa_group_segment_fixed_size 0
		.amdhsa_private_segment_fixed_size 0
		.amdhsa_kernarg_size 32
		.amdhsa_user_sgpr_count 6
		.amdhsa_user_sgpr_private_segment_buffer 1
		.amdhsa_user_sgpr_dispatch_ptr 0
		.amdhsa_user_sgpr_queue_ptr 0
		.amdhsa_user_sgpr_kernarg_segment_ptr 1
		.amdhsa_user_sgpr_dispatch_id 0
		.amdhsa_user_sgpr_flat_scratch_init 0
		.amdhsa_user_sgpr_kernarg_preload_length 0
		.amdhsa_user_sgpr_kernarg_preload_offset 0
		.amdhsa_user_sgpr_private_segment_size 0
		.amdhsa_uses_dynamic_stack 0
		.amdhsa_system_sgpr_private_segment_wavefront_offset 0
		.amdhsa_system_sgpr_workgroup_id_x 1
		.amdhsa_system_sgpr_workgroup_id_y 0
		.amdhsa_system_sgpr_workgroup_id_z 0
		.amdhsa_system_sgpr_workgroup_info 0
		.amdhsa_system_vgpr_workitem_id 0
		.amdhsa_next_free_vgpr 1
		.amdhsa_next_free_sgpr 0
		.amdhsa_accum_offset 4
		.amdhsa_reserve_vcc 0
		.amdhsa_reserve_flat_scratch 0
		.amdhsa_float_round_mode_32 0
		.amdhsa_float_round_mode_16_64 0
		.amdhsa_float_denorm_mode_32 3
		.amdhsa_float_denorm_mode_16_64 3
		.amdhsa_dx10_clamp 1
		.amdhsa_ieee_mode 1
		.amdhsa_fp16_overflow 0
		.amdhsa_tg_split 0
		.amdhsa_exception_fp_ieee_invalid_op 0
		.amdhsa_exception_fp_denorm_src 0
		.amdhsa_exception_fp_ieee_div_zero 0
		.amdhsa_exception_fp_ieee_overflow 0
		.amdhsa_exception_fp_ieee_underflow 0
		.amdhsa_exception_fp_ieee_inexact 0
		.amdhsa_exception_int_div_zero 0
	.end_amdhsa_kernel
	.section	.text._ZN7rocprim17ROCPRIM_400000_NS6detail17trampoline_kernelINS0_14default_configENS1_20scan_config_selectorIiEEZZNS1_9scan_implILNS1_25lookback_scan_determinismE0ELb1ELb1ES3_N6thrust23THRUST_200600_302600_NS6detail15normal_iteratorINS9_10device_ptrIjEEEENSB_INSC_IiEEEEiNS9_4plusIvEEiEEDaPvRmT3_T4_T5_mT6_P12ihipStream_tbENKUlT_T0_E_clISt17integral_constantIbLb1EESW_EEDaSR_SS_EUlSR_E0_NS1_11comp_targetILNS1_3genE3ELNS1_11target_archE908ELNS1_3gpuE7ELNS1_3repE0EEENS1_30default_config_static_selectorELNS0_4arch9wavefront6targetE1EEEvT1_,"axG",@progbits,_ZN7rocprim17ROCPRIM_400000_NS6detail17trampoline_kernelINS0_14default_configENS1_20scan_config_selectorIiEEZZNS1_9scan_implILNS1_25lookback_scan_determinismE0ELb1ELb1ES3_N6thrust23THRUST_200600_302600_NS6detail15normal_iteratorINS9_10device_ptrIjEEEENSB_INSC_IiEEEEiNS9_4plusIvEEiEEDaPvRmT3_T4_T5_mT6_P12ihipStream_tbENKUlT_T0_E_clISt17integral_constantIbLb1EESW_EEDaSR_SS_EUlSR_E0_NS1_11comp_targetILNS1_3genE3ELNS1_11target_archE908ELNS1_3gpuE7ELNS1_3repE0EEENS1_30default_config_static_selectorELNS0_4arch9wavefront6targetE1EEEvT1_,comdat
.Lfunc_end6262:
	.size	_ZN7rocprim17ROCPRIM_400000_NS6detail17trampoline_kernelINS0_14default_configENS1_20scan_config_selectorIiEEZZNS1_9scan_implILNS1_25lookback_scan_determinismE0ELb1ELb1ES3_N6thrust23THRUST_200600_302600_NS6detail15normal_iteratorINS9_10device_ptrIjEEEENSB_INSC_IiEEEEiNS9_4plusIvEEiEEDaPvRmT3_T4_T5_mT6_P12ihipStream_tbENKUlT_T0_E_clISt17integral_constantIbLb1EESW_EEDaSR_SS_EUlSR_E0_NS1_11comp_targetILNS1_3genE3ELNS1_11target_archE908ELNS1_3gpuE7ELNS1_3repE0EEENS1_30default_config_static_selectorELNS0_4arch9wavefront6targetE1EEEvT1_, .Lfunc_end6262-_ZN7rocprim17ROCPRIM_400000_NS6detail17trampoline_kernelINS0_14default_configENS1_20scan_config_selectorIiEEZZNS1_9scan_implILNS1_25lookback_scan_determinismE0ELb1ELb1ES3_N6thrust23THRUST_200600_302600_NS6detail15normal_iteratorINS9_10device_ptrIjEEEENSB_INSC_IiEEEEiNS9_4plusIvEEiEEDaPvRmT3_T4_T5_mT6_P12ihipStream_tbENKUlT_T0_E_clISt17integral_constantIbLb1EESW_EEDaSR_SS_EUlSR_E0_NS1_11comp_targetILNS1_3genE3ELNS1_11target_archE908ELNS1_3gpuE7ELNS1_3repE0EEENS1_30default_config_static_selectorELNS0_4arch9wavefront6targetE1EEEvT1_
                                        ; -- End function
	.section	.AMDGPU.csdata,"",@progbits
; Kernel info:
; codeLenInByte = 0
; NumSgprs: 4
; NumVgprs: 0
; NumAgprs: 0
; TotalNumVgprs: 0
; ScratchSize: 0
; MemoryBound: 0
; FloatMode: 240
; IeeeMode: 1
; LDSByteSize: 0 bytes/workgroup (compile time only)
; SGPRBlocks: 0
; VGPRBlocks: 0
; NumSGPRsForWavesPerEU: 4
; NumVGPRsForWavesPerEU: 1
; AccumOffset: 4
; Occupancy: 8
; WaveLimiterHint : 0
; COMPUTE_PGM_RSRC2:SCRATCH_EN: 0
; COMPUTE_PGM_RSRC2:USER_SGPR: 6
; COMPUTE_PGM_RSRC2:TRAP_HANDLER: 0
; COMPUTE_PGM_RSRC2:TGID_X_EN: 1
; COMPUTE_PGM_RSRC2:TGID_Y_EN: 0
; COMPUTE_PGM_RSRC2:TGID_Z_EN: 0
; COMPUTE_PGM_RSRC2:TIDIG_COMP_CNT: 0
; COMPUTE_PGM_RSRC3_GFX90A:ACCUM_OFFSET: 0
; COMPUTE_PGM_RSRC3_GFX90A:TG_SPLIT: 0
	.section	.text._ZN7rocprim17ROCPRIM_400000_NS6detail17trampoline_kernelINS0_14default_configENS1_20scan_config_selectorIiEEZZNS1_9scan_implILNS1_25lookback_scan_determinismE0ELb1ELb1ES3_N6thrust23THRUST_200600_302600_NS6detail15normal_iteratorINS9_10device_ptrIjEEEENSB_INSC_IiEEEEiNS9_4plusIvEEiEEDaPvRmT3_T4_T5_mT6_P12ihipStream_tbENKUlT_T0_E_clISt17integral_constantIbLb1EESW_EEDaSR_SS_EUlSR_E0_NS1_11comp_targetILNS1_3genE2ELNS1_11target_archE906ELNS1_3gpuE6ELNS1_3repE0EEENS1_30default_config_static_selectorELNS0_4arch9wavefront6targetE1EEEvT1_,"axG",@progbits,_ZN7rocprim17ROCPRIM_400000_NS6detail17trampoline_kernelINS0_14default_configENS1_20scan_config_selectorIiEEZZNS1_9scan_implILNS1_25lookback_scan_determinismE0ELb1ELb1ES3_N6thrust23THRUST_200600_302600_NS6detail15normal_iteratorINS9_10device_ptrIjEEEENSB_INSC_IiEEEEiNS9_4plusIvEEiEEDaPvRmT3_T4_T5_mT6_P12ihipStream_tbENKUlT_T0_E_clISt17integral_constantIbLb1EESW_EEDaSR_SS_EUlSR_E0_NS1_11comp_targetILNS1_3genE2ELNS1_11target_archE906ELNS1_3gpuE6ELNS1_3repE0EEENS1_30default_config_static_selectorELNS0_4arch9wavefront6targetE1EEEvT1_,comdat
	.protected	_ZN7rocprim17ROCPRIM_400000_NS6detail17trampoline_kernelINS0_14default_configENS1_20scan_config_selectorIiEEZZNS1_9scan_implILNS1_25lookback_scan_determinismE0ELb1ELb1ES3_N6thrust23THRUST_200600_302600_NS6detail15normal_iteratorINS9_10device_ptrIjEEEENSB_INSC_IiEEEEiNS9_4plusIvEEiEEDaPvRmT3_T4_T5_mT6_P12ihipStream_tbENKUlT_T0_E_clISt17integral_constantIbLb1EESW_EEDaSR_SS_EUlSR_E0_NS1_11comp_targetILNS1_3genE2ELNS1_11target_archE906ELNS1_3gpuE6ELNS1_3repE0EEENS1_30default_config_static_selectorELNS0_4arch9wavefront6targetE1EEEvT1_ ; -- Begin function _ZN7rocprim17ROCPRIM_400000_NS6detail17trampoline_kernelINS0_14default_configENS1_20scan_config_selectorIiEEZZNS1_9scan_implILNS1_25lookback_scan_determinismE0ELb1ELb1ES3_N6thrust23THRUST_200600_302600_NS6detail15normal_iteratorINS9_10device_ptrIjEEEENSB_INSC_IiEEEEiNS9_4plusIvEEiEEDaPvRmT3_T4_T5_mT6_P12ihipStream_tbENKUlT_T0_E_clISt17integral_constantIbLb1EESW_EEDaSR_SS_EUlSR_E0_NS1_11comp_targetILNS1_3genE2ELNS1_11target_archE906ELNS1_3gpuE6ELNS1_3repE0EEENS1_30default_config_static_selectorELNS0_4arch9wavefront6targetE1EEEvT1_
	.globl	_ZN7rocprim17ROCPRIM_400000_NS6detail17trampoline_kernelINS0_14default_configENS1_20scan_config_selectorIiEEZZNS1_9scan_implILNS1_25lookback_scan_determinismE0ELb1ELb1ES3_N6thrust23THRUST_200600_302600_NS6detail15normal_iteratorINS9_10device_ptrIjEEEENSB_INSC_IiEEEEiNS9_4plusIvEEiEEDaPvRmT3_T4_T5_mT6_P12ihipStream_tbENKUlT_T0_E_clISt17integral_constantIbLb1EESW_EEDaSR_SS_EUlSR_E0_NS1_11comp_targetILNS1_3genE2ELNS1_11target_archE906ELNS1_3gpuE6ELNS1_3repE0EEENS1_30default_config_static_selectorELNS0_4arch9wavefront6targetE1EEEvT1_
	.p2align	8
	.type	_ZN7rocprim17ROCPRIM_400000_NS6detail17trampoline_kernelINS0_14default_configENS1_20scan_config_selectorIiEEZZNS1_9scan_implILNS1_25lookback_scan_determinismE0ELb1ELb1ES3_N6thrust23THRUST_200600_302600_NS6detail15normal_iteratorINS9_10device_ptrIjEEEENSB_INSC_IiEEEEiNS9_4plusIvEEiEEDaPvRmT3_T4_T5_mT6_P12ihipStream_tbENKUlT_T0_E_clISt17integral_constantIbLb1EESW_EEDaSR_SS_EUlSR_E0_NS1_11comp_targetILNS1_3genE2ELNS1_11target_archE906ELNS1_3gpuE6ELNS1_3repE0EEENS1_30default_config_static_selectorELNS0_4arch9wavefront6targetE1EEEvT1_,@function
_ZN7rocprim17ROCPRIM_400000_NS6detail17trampoline_kernelINS0_14default_configENS1_20scan_config_selectorIiEEZZNS1_9scan_implILNS1_25lookback_scan_determinismE0ELb1ELb1ES3_N6thrust23THRUST_200600_302600_NS6detail15normal_iteratorINS9_10device_ptrIjEEEENSB_INSC_IiEEEEiNS9_4plusIvEEiEEDaPvRmT3_T4_T5_mT6_P12ihipStream_tbENKUlT_T0_E_clISt17integral_constantIbLb1EESW_EEDaSR_SS_EUlSR_E0_NS1_11comp_targetILNS1_3genE2ELNS1_11target_archE906ELNS1_3gpuE6ELNS1_3repE0EEENS1_30default_config_static_selectorELNS0_4arch9wavefront6targetE1EEEvT1_: ; @_ZN7rocprim17ROCPRIM_400000_NS6detail17trampoline_kernelINS0_14default_configENS1_20scan_config_selectorIiEEZZNS1_9scan_implILNS1_25lookback_scan_determinismE0ELb1ELb1ES3_N6thrust23THRUST_200600_302600_NS6detail15normal_iteratorINS9_10device_ptrIjEEEENSB_INSC_IiEEEEiNS9_4plusIvEEiEEDaPvRmT3_T4_T5_mT6_P12ihipStream_tbENKUlT_T0_E_clISt17integral_constantIbLb1EESW_EEDaSR_SS_EUlSR_E0_NS1_11comp_targetILNS1_3genE2ELNS1_11target_archE906ELNS1_3gpuE6ELNS1_3repE0EEENS1_30default_config_static_selectorELNS0_4arch9wavefront6targetE1EEEvT1_
; %bb.0:
	.section	.rodata,"a",@progbits
	.p2align	6, 0x0
	.amdhsa_kernel _ZN7rocprim17ROCPRIM_400000_NS6detail17trampoline_kernelINS0_14default_configENS1_20scan_config_selectorIiEEZZNS1_9scan_implILNS1_25lookback_scan_determinismE0ELb1ELb1ES3_N6thrust23THRUST_200600_302600_NS6detail15normal_iteratorINS9_10device_ptrIjEEEENSB_INSC_IiEEEEiNS9_4plusIvEEiEEDaPvRmT3_T4_T5_mT6_P12ihipStream_tbENKUlT_T0_E_clISt17integral_constantIbLb1EESW_EEDaSR_SS_EUlSR_E0_NS1_11comp_targetILNS1_3genE2ELNS1_11target_archE906ELNS1_3gpuE6ELNS1_3repE0EEENS1_30default_config_static_selectorELNS0_4arch9wavefront6targetE1EEEvT1_
		.amdhsa_group_segment_fixed_size 0
		.amdhsa_private_segment_fixed_size 0
		.amdhsa_kernarg_size 32
		.amdhsa_user_sgpr_count 6
		.amdhsa_user_sgpr_private_segment_buffer 1
		.amdhsa_user_sgpr_dispatch_ptr 0
		.amdhsa_user_sgpr_queue_ptr 0
		.amdhsa_user_sgpr_kernarg_segment_ptr 1
		.amdhsa_user_sgpr_dispatch_id 0
		.amdhsa_user_sgpr_flat_scratch_init 0
		.amdhsa_user_sgpr_kernarg_preload_length 0
		.amdhsa_user_sgpr_kernarg_preload_offset 0
		.amdhsa_user_sgpr_private_segment_size 0
		.amdhsa_uses_dynamic_stack 0
		.amdhsa_system_sgpr_private_segment_wavefront_offset 0
		.amdhsa_system_sgpr_workgroup_id_x 1
		.amdhsa_system_sgpr_workgroup_id_y 0
		.amdhsa_system_sgpr_workgroup_id_z 0
		.amdhsa_system_sgpr_workgroup_info 0
		.amdhsa_system_vgpr_workitem_id 0
		.amdhsa_next_free_vgpr 1
		.amdhsa_next_free_sgpr 0
		.amdhsa_accum_offset 4
		.amdhsa_reserve_vcc 0
		.amdhsa_reserve_flat_scratch 0
		.amdhsa_float_round_mode_32 0
		.amdhsa_float_round_mode_16_64 0
		.amdhsa_float_denorm_mode_32 3
		.amdhsa_float_denorm_mode_16_64 3
		.amdhsa_dx10_clamp 1
		.amdhsa_ieee_mode 1
		.amdhsa_fp16_overflow 0
		.amdhsa_tg_split 0
		.amdhsa_exception_fp_ieee_invalid_op 0
		.amdhsa_exception_fp_denorm_src 0
		.amdhsa_exception_fp_ieee_div_zero 0
		.amdhsa_exception_fp_ieee_overflow 0
		.amdhsa_exception_fp_ieee_underflow 0
		.amdhsa_exception_fp_ieee_inexact 0
		.amdhsa_exception_int_div_zero 0
	.end_amdhsa_kernel
	.section	.text._ZN7rocprim17ROCPRIM_400000_NS6detail17trampoline_kernelINS0_14default_configENS1_20scan_config_selectorIiEEZZNS1_9scan_implILNS1_25lookback_scan_determinismE0ELb1ELb1ES3_N6thrust23THRUST_200600_302600_NS6detail15normal_iteratorINS9_10device_ptrIjEEEENSB_INSC_IiEEEEiNS9_4plusIvEEiEEDaPvRmT3_T4_T5_mT6_P12ihipStream_tbENKUlT_T0_E_clISt17integral_constantIbLb1EESW_EEDaSR_SS_EUlSR_E0_NS1_11comp_targetILNS1_3genE2ELNS1_11target_archE906ELNS1_3gpuE6ELNS1_3repE0EEENS1_30default_config_static_selectorELNS0_4arch9wavefront6targetE1EEEvT1_,"axG",@progbits,_ZN7rocprim17ROCPRIM_400000_NS6detail17trampoline_kernelINS0_14default_configENS1_20scan_config_selectorIiEEZZNS1_9scan_implILNS1_25lookback_scan_determinismE0ELb1ELb1ES3_N6thrust23THRUST_200600_302600_NS6detail15normal_iteratorINS9_10device_ptrIjEEEENSB_INSC_IiEEEEiNS9_4plusIvEEiEEDaPvRmT3_T4_T5_mT6_P12ihipStream_tbENKUlT_T0_E_clISt17integral_constantIbLb1EESW_EEDaSR_SS_EUlSR_E0_NS1_11comp_targetILNS1_3genE2ELNS1_11target_archE906ELNS1_3gpuE6ELNS1_3repE0EEENS1_30default_config_static_selectorELNS0_4arch9wavefront6targetE1EEEvT1_,comdat
.Lfunc_end6263:
	.size	_ZN7rocprim17ROCPRIM_400000_NS6detail17trampoline_kernelINS0_14default_configENS1_20scan_config_selectorIiEEZZNS1_9scan_implILNS1_25lookback_scan_determinismE0ELb1ELb1ES3_N6thrust23THRUST_200600_302600_NS6detail15normal_iteratorINS9_10device_ptrIjEEEENSB_INSC_IiEEEEiNS9_4plusIvEEiEEDaPvRmT3_T4_T5_mT6_P12ihipStream_tbENKUlT_T0_E_clISt17integral_constantIbLb1EESW_EEDaSR_SS_EUlSR_E0_NS1_11comp_targetILNS1_3genE2ELNS1_11target_archE906ELNS1_3gpuE6ELNS1_3repE0EEENS1_30default_config_static_selectorELNS0_4arch9wavefront6targetE1EEEvT1_, .Lfunc_end6263-_ZN7rocprim17ROCPRIM_400000_NS6detail17trampoline_kernelINS0_14default_configENS1_20scan_config_selectorIiEEZZNS1_9scan_implILNS1_25lookback_scan_determinismE0ELb1ELb1ES3_N6thrust23THRUST_200600_302600_NS6detail15normal_iteratorINS9_10device_ptrIjEEEENSB_INSC_IiEEEEiNS9_4plusIvEEiEEDaPvRmT3_T4_T5_mT6_P12ihipStream_tbENKUlT_T0_E_clISt17integral_constantIbLb1EESW_EEDaSR_SS_EUlSR_E0_NS1_11comp_targetILNS1_3genE2ELNS1_11target_archE906ELNS1_3gpuE6ELNS1_3repE0EEENS1_30default_config_static_selectorELNS0_4arch9wavefront6targetE1EEEvT1_
                                        ; -- End function
	.section	.AMDGPU.csdata,"",@progbits
; Kernel info:
; codeLenInByte = 0
; NumSgprs: 4
; NumVgprs: 0
; NumAgprs: 0
; TotalNumVgprs: 0
; ScratchSize: 0
; MemoryBound: 0
; FloatMode: 240
; IeeeMode: 1
; LDSByteSize: 0 bytes/workgroup (compile time only)
; SGPRBlocks: 0
; VGPRBlocks: 0
; NumSGPRsForWavesPerEU: 4
; NumVGPRsForWavesPerEU: 1
; AccumOffset: 4
; Occupancy: 8
; WaveLimiterHint : 0
; COMPUTE_PGM_RSRC2:SCRATCH_EN: 0
; COMPUTE_PGM_RSRC2:USER_SGPR: 6
; COMPUTE_PGM_RSRC2:TRAP_HANDLER: 0
; COMPUTE_PGM_RSRC2:TGID_X_EN: 1
; COMPUTE_PGM_RSRC2:TGID_Y_EN: 0
; COMPUTE_PGM_RSRC2:TGID_Z_EN: 0
; COMPUTE_PGM_RSRC2:TIDIG_COMP_CNT: 0
; COMPUTE_PGM_RSRC3_GFX90A:ACCUM_OFFSET: 0
; COMPUTE_PGM_RSRC3_GFX90A:TG_SPLIT: 0
	.section	.text._ZN7rocprim17ROCPRIM_400000_NS6detail17trampoline_kernelINS0_14default_configENS1_20scan_config_selectorIiEEZZNS1_9scan_implILNS1_25lookback_scan_determinismE0ELb1ELb1ES3_N6thrust23THRUST_200600_302600_NS6detail15normal_iteratorINS9_10device_ptrIjEEEENSB_INSC_IiEEEEiNS9_4plusIvEEiEEDaPvRmT3_T4_T5_mT6_P12ihipStream_tbENKUlT_T0_E_clISt17integral_constantIbLb1EESW_EEDaSR_SS_EUlSR_E0_NS1_11comp_targetILNS1_3genE10ELNS1_11target_archE1201ELNS1_3gpuE5ELNS1_3repE0EEENS1_30default_config_static_selectorELNS0_4arch9wavefront6targetE1EEEvT1_,"axG",@progbits,_ZN7rocprim17ROCPRIM_400000_NS6detail17trampoline_kernelINS0_14default_configENS1_20scan_config_selectorIiEEZZNS1_9scan_implILNS1_25lookback_scan_determinismE0ELb1ELb1ES3_N6thrust23THRUST_200600_302600_NS6detail15normal_iteratorINS9_10device_ptrIjEEEENSB_INSC_IiEEEEiNS9_4plusIvEEiEEDaPvRmT3_T4_T5_mT6_P12ihipStream_tbENKUlT_T0_E_clISt17integral_constantIbLb1EESW_EEDaSR_SS_EUlSR_E0_NS1_11comp_targetILNS1_3genE10ELNS1_11target_archE1201ELNS1_3gpuE5ELNS1_3repE0EEENS1_30default_config_static_selectorELNS0_4arch9wavefront6targetE1EEEvT1_,comdat
	.protected	_ZN7rocprim17ROCPRIM_400000_NS6detail17trampoline_kernelINS0_14default_configENS1_20scan_config_selectorIiEEZZNS1_9scan_implILNS1_25lookback_scan_determinismE0ELb1ELb1ES3_N6thrust23THRUST_200600_302600_NS6detail15normal_iteratorINS9_10device_ptrIjEEEENSB_INSC_IiEEEEiNS9_4plusIvEEiEEDaPvRmT3_T4_T5_mT6_P12ihipStream_tbENKUlT_T0_E_clISt17integral_constantIbLb1EESW_EEDaSR_SS_EUlSR_E0_NS1_11comp_targetILNS1_3genE10ELNS1_11target_archE1201ELNS1_3gpuE5ELNS1_3repE0EEENS1_30default_config_static_selectorELNS0_4arch9wavefront6targetE1EEEvT1_ ; -- Begin function _ZN7rocprim17ROCPRIM_400000_NS6detail17trampoline_kernelINS0_14default_configENS1_20scan_config_selectorIiEEZZNS1_9scan_implILNS1_25lookback_scan_determinismE0ELb1ELb1ES3_N6thrust23THRUST_200600_302600_NS6detail15normal_iteratorINS9_10device_ptrIjEEEENSB_INSC_IiEEEEiNS9_4plusIvEEiEEDaPvRmT3_T4_T5_mT6_P12ihipStream_tbENKUlT_T0_E_clISt17integral_constantIbLb1EESW_EEDaSR_SS_EUlSR_E0_NS1_11comp_targetILNS1_3genE10ELNS1_11target_archE1201ELNS1_3gpuE5ELNS1_3repE0EEENS1_30default_config_static_selectorELNS0_4arch9wavefront6targetE1EEEvT1_
	.globl	_ZN7rocprim17ROCPRIM_400000_NS6detail17trampoline_kernelINS0_14default_configENS1_20scan_config_selectorIiEEZZNS1_9scan_implILNS1_25lookback_scan_determinismE0ELb1ELb1ES3_N6thrust23THRUST_200600_302600_NS6detail15normal_iteratorINS9_10device_ptrIjEEEENSB_INSC_IiEEEEiNS9_4plusIvEEiEEDaPvRmT3_T4_T5_mT6_P12ihipStream_tbENKUlT_T0_E_clISt17integral_constantIbLb1EESW_EEDaSR_SS_EUlSR_E0_NS1_11comp_targetILNS1_3genE10ELNS1_11target_archE1201ELNS1_3gpuE5ELNS1_3repE0EEENS1_30default_config_static_selectorELNS0_4arch9wavefront6targetE1EEEvT1_
	.p2align	8
	.type	_ZN7rocprim17ROCPRIM_400000_NS6detail17trampoline_kernelINS0_14default_configENS1_20scan_config_selectorIiEEZZNS1_9scan_implILNS1_25lookback_scan_determinismE0ELb1ELb1ES3_N6thrust23THRUST_200600_302600_NS6detail15normal_iteratorINS9_10device_ptrIjEEEENSB_INSC_IiEEEEiNS9_4plusIvEEiEEDaPvRmT3_T4_T5_mT6_P12ihipStream_tbENKUlT_T0_E_clISt17integral_constantIbLb1EESW_EEDaSR_SS_EUlSR_E0_NS1_11comp_targetILNS1_3genE10ELNS1_11target_archE1201ELNS1_3gpuE5ELNS1_3repE0EEENS1_30default_config_static_selectorELNS0_4arch9wavefront6targetE1EEEvT1_,@function
_ZN7rocprim17ROCPRIM_400000_NS6detail17trampoline_kernelINS0_14default_configENS1_20scan_config_selectorIiEEZZNS1_9scan_implILNS1_25lookback_scan_determinismE0ELb1ELb1ES3_N6thrust23THRUST_200600_302600_NS6detail15normal_iteratorINS9_10device_ptrIjEEEENSB_INSC_IiEEEEiNS9_4plusIvEEiEEDaPvRmT3_T4_T5_mT6_P12ihipStream_tbENKUlT_T0_E_clISt17integral_constantIbLb1EESW_EEDaSR_SS_EUlSR_E0_NS1_11comp_targetILNS1_3genE10ELNS1_11target_archE1201ELNS1_3gpuE5ELNS1_3repE0EEENS1_30default_config_static_selectorELNS0_4arch9wavefront6targetE1EEEvT1_: ; @_ZN7rocprim17ROCPRIM_400000_NS6detail17trampoline_kernelINS0_14default_configENS1_20scan_config_selectorIiEEZZNS1_9scan_implILNS1_25lookback_scan_determinismE0ELb1ELb1ES3_N6thrust23THRUST_200600_302600_NS6detail15normal_iteratorINS9_10device_ptrIjEEEENSB_INSC_IiEEEEiNS9_4plusIvEEiEEDaPvRmT3_T4_T5_mT6_P12ihipStream_tbENKUlT_T0_E_clISt17integral_constantIbLb1EESW_EEDaSR_SS_EUlSR_E0_NS1_11comp_targetILNS1_3genE10ELNS1_11target_archE1201ELNS1_3gpuE5ELNS1_3repE0EEENS1_30default_config_static_selectorELNS0_4arch9wavefront6targetE1EEEvT1_
; %bb.0:
	.section	.rodata,"a",@progbits
	.p2align	6, 0x0
	.amdhsa_kernel _ZN7rocprim17ROCPRIM_400000_NS6detail17trampoline_kernelINS0_14default_configENS1_20scan_config_selectorIiEEZZNS1_9scan_implILNS1_25lookback_scan_determinismE0ELb1ELb1ES3_N6thrust23THRUST_200600_302600_NS6detail15normal_iteratorINS9_10device_ptrIjEEEENSB_INSC_IiEEEEiNS9_4plusIvEEiEEDaPvRmT3_T4_T5_mT6_P12ihipStream_tbENKUlT_T0_E_clISt17integral_constantIbLb1EESW_EEDaSR_SS_EUlSR_E0_NS1_11comp_targetILNS1_3genE10ELNS1_11target_archE1201ELNS1_3gpuE5ELNS1_3repE0EEENS1_30default_config_static_selectorELNS0_4arch9wavefront6targetE1EEEvT1_
		.amdhsa_group_segment_fixed_size 0
		.amdhsa_private_segment_fixed_size 0
		.amdhsa_kernarg_size 32
		.amdhsa_user_sgpr_count 6
		.amdhsa_user_sgpr_private_segment_buffer 1
		.amdhsa_user_sgpr_dispatch_ptr 0
		.amdhsa_user_sgpr_queue_ptr 0
		.amdhsa_user_sgpr_kernarg_segment_ptr 1
		.amdhsa_user_sgpr_dispatch_id 0
		.amdhsa_user_sgpr_flat_scratch_init 0
		.amdhsa_user_sgpr_kernarg_preload_length 0
		.amdhsa_user_sgpr_kernarg_preload_offset 0
		.amdhsa_user_sgpr_private_segment_size 0
		.amdhsa_uses_dynamic_stack 0
		.amdhsa_system_sgpr_private_segment_wavefront_offset 0
		.amdhsa_system_sgpr_workgroup_id_x 1
		.amdhsa_system_sgpr_workgroup_id_y 0
		.amdhsa_system_sgpr_workgroup_id_z 0
		.amdhsa_system_sgpr_workgroup_info 0
		.amdhsa_system_vgpr_workitem_id 0
		.amdhsa_next_free_vgpr 1
		.amdhsa_next_free_sgpr 0
		.amdhsa_accum_offset 4
		.amdhsa_reserve_vcc 0
		.amdhsa_reserve_flat_scratch 0
		.amdhsa_float_round_mode_32 0
		.amdhsa_float_round_mode_16_64 0
		.amdhsa_float_denorm_mode_32 3
		.amdhsa_float_denorm_mode_16_64 3
		.amdhsa_dx10_clamp 1
		.amdhsa_ieee_mode 1
		.amdhsa_fp16_overflow 0
		.amdhsa_tg_split 0
		.amdhsa_exception_fp_ieee_invalid_op 0
		.amdhsa_exception_fp_denorm_src 0
		.amdhsa_exception_fp_ieee_div_zero 0
		.amdhsa_exception_fp_ieee_overflow 0
		.amdhsa_exception_fp_ieee_underflow 0
		.amdhsa_exception_fp_ieee_inexact 0
		.amdhsa_exception_int_div_zero 0
	.end_amdhsa_kernel
	.section	.text._ZN7rocprim17ROCPRIM_400000_NS6detail17trampoline_kernelINS0_14default_configENS1_20scan_config_selectorIiEEZZNS1_9scan_implILNS1_25lookback_scan_determinismE0ELb1ELb1ES3_N6thrust23THRUST_200600_302600_NS6detail15normal_iteratorINS9_10device_ptrIjEEEENSB_INSC_IiEEEEiNS9_4plusIvEEiEEDaPvRmT3_T4_T5_mT6_P12ihipStream_tbENKUlT_T0_E_clISt17integral_constantIbLb1EESW_EEDaSR_SS_EUlSR_E0_NS1_11comp_targetILNS1_3genE10ELNS1_11target_archE1201ELNS1_3gpuE5ELNS1_3repE0EEENS1_30default_config_static_selectorELNS0_4arch9wavefront6targetE1EEEvT1_,"axG",@progbits,_ZN7rocprim17ROCPRIM_400000_NS6detail17trampoline_kernelINS0_14default_configENS1_20scan_config_selectorIiEEZZNS1_9scan_implILNS1_25lookback_scan_determinismE0ELb1ELb1ES3_N6thrust23THRUST_200600_302600_NS6detail15normal_iteratorINS9_10device_ptrIjEEEENSB_INSC_IiEEEEiNS9_4plusIvEEiEEDaPvRmT3_T4_T5_mT6_P12ihipStream_tbENKUlT_T0_E_clISt17integral_constantIbLb1EESW_EEDaSR_SS_EUlSR_E0_NS1_11comp_targetILNS1_3genE10ELNS1_11target_archE1201ELNS1_3gpuE5ELNS1_3repE0EEENS1_30default_config_static_selectorELNS0_4arch9wavefront6targetE1EEEvT1_,comdat
.Lfunc_end6264:
	.size	_ZN7rocprim17ROCPRIM_400000_NS6detail17trampoline_kernelINS0_14default_configENS1_20scan_config_selectorIiEEZZNS1_9scan_implILNS1_25lookback_scan_determinismE0ELb1ELb1ES3_N6thrust23THRUST_200600_302600_NS6detail15normal_iteratorINS9_10device_ptrIjEEEENSB_INSC_IiEEEEiNS9_4plusIvEEiEEDaPvRmT3_T4_T5_mT6_P12ihipStream_tbENKUlT_T0_E_clISt17integral_constantIbLb1EESW_EEDaSR_SS_EUlSR_E0_NS1_11comp_targetILNS1_3genE10ELNS1_11target_archE1201ELNS1_3gpuE5ELNS1_3repE0EEENS1_30default_config_static_selectorELNS0_4arch9wavefront6targetE1EEEvT1_, .Lfunc_end6264-_ZN7rocprim17ROCPRIM_400000_NS6detail17trampoline_kernelINS0_14default_configENS1_20scan_config_selectorIiEEZZNS1_9scan_implILNS1_25lookback_scan_determinismE0ELb1ELb1ES3_N6thrust23THRUST_200600_302600_NS6detail15normal_iteratorINS9_10device_ptrIjEEEENSB_INSC_IiEEEEiNS9_4plusIvEEiEEDaPvRmT3_T4_T5_mT6_P12ihipStream_tbENKUlT_T0_E_clISt17integral_constantIbLb1EESW_EEDaSR_SS_EUlSR_E0_NS1_11comp_targetILNS1_3genE10ELNS1_11target_archE1201ELNS1_3gpuE5ELNS1_3repE0EEENS1_30default_config_static_selectorELNS0_4arch9wavefront6targetE1EEEvT1_
                                        ; -- End function
	.section	.AMDGPU.csdata,"",@progbits
; Kernel info:
; codeLenInByte = 0
; NumSgprs: 4
; NumVgprs: 0
; NumAgprs: 0
; TotalNumVgprs: 0
; ScratchSize: 0
; MemoryBound: 0
; FloatMode: 240
; IeeeMode: 1
; LDSByteSize: 0 bytes/workgroup (compile time only)
; SGPRBlocks: 0
; VGPRBlocks: 0
; NumSGPRsForWavesPerEU: 4
; NumVGPRsForWavesPerEU: 1
; AccumOffset: 4
; Occupancy: 8
; WaveLimiterHint : 0
; COMPUTE_PGM_RSRC2:SCRATCH_EN: 0
; COMPUTE_PGM_RSRC2:USER_SGPR: 6
; COMPUTE_PGM_RSRC2:TRAP_HANDLER: 0
; COMPUTE_PGM_RSRC2:TGID_X_EN: 1
; COMPUTE_PGM_RSRC2:TGID_Y_EN: 0
; COMPUTE_PGM_RSRC2:TGID_Z_EN: 0
; COMPUTE_PGM_RSRC2:TIDIG_COMP_CNT: 0
; COMPUTE_PGM_RSRC3_GFX90A:ACCUM_OFFSET: 0
; COMPUTE_PGM_RSRC3_GFX90A:TG_SPLIT: 0
	.section	.text._ZN7rocprim17ROCPRIM_400000_NS6detail17trampoline_kernelINS0_14default_configENS1_20scan_config_selectorIiEEZZNS1_9scan_implILNS1_25lookback_scan_determinismE0ELb1ELb1ES3_N6thrust23THRUST_200600_302600_NS6detail15normal_iteratorINS9_10device_ptrIjEEEENSB_INSC_IiEEEEiNS9_4plusIvEEiEEDaPvRmT3_T4_T5_mT6_P12ihipStream_tbENKUlT_T0_E_clISt17integral_constantIbLb1EESW_EEDaSR_SS_EUlSR_E0_NS1_11comp_targetILNS1_3genE10ELNS1_11target_archE1200ELNS1_3gpuE4ELNS1_3repE0EEENS1_30default_config_static_selectorELNS0_4arch9wavefront6targetE1EEEvT1_,"axG",@progbits,_ZN7rocprim17ROCPRIM_400000_NS6detail17trampoline_kernelINS0_14default_configENS1_20scan_config_selectorIiEEZZNS1_9scan_implILNS1_25lookback_scan_determinismE0ELb1ELb1ES3_N6thrust23THRUST_200600_302600_NS6detail15normal_iteratorINS9_10device_ptrIjEEEENSB_INSC_IiEEEEiNS9_4plusIvEEiEEDaPvRmT3_T4_T5_mT6_P12ihipStream_tbENKUlT_T0_E_clISt17integral_constantIbLb1EESW_EEDaSR_SS_EUlSR_E0_NS1_11comp_targetILNS1_3genE10ELNS1_11target_archE1200ELNS1_3gpuE4ELNS1_3repE0EEENS1_30default_config_static_selectorELNS0_4arch9wavefront6targetE1EEEvT1_,comdat
	.protected	_ZN7rocprim17ROCPRIM_400000_NS6detail17trampoline_kernelINS0_14default_configENS1_20scan_config_selectorIiEEZZNS1_9scan_implILNS1_25lookback_scan_determinismE0ELb1ELb1ES3_N6thrust23THRUST_200600_302600_NS6detail15normal_iteratorINS9_10device_ptrIjEEEENSB_INSC_IiEEEEiNS9_4plusIvEEiEEDaPvRmT3_T4_T5_mT6_P12ihipStream_tbENKUlT_T0_E_clISt17integral_constantIbLb1EESW_EEDaSR_SS_EUlSR_E0_NS1_11comp_targetILNS1_3genE10ELNS1_11target_archE1200ELNS1_3gpuE4ELNS1_3repE0EEENS1_30default_config_static_selectorELNS0_4arch9wavefront6targetE1EEEvT1_ ; -- Begin function _ZN7rocprim17ROCPRIM_400000_NS6detail17trampoline_kernelINS0_14default_configENS1_20scan_config_selectorIiEEZZNS1_9scan_implILNS1_25lookback_scan_determinismE0ELb1ELb1ES3_N6thrust23THRUST_200600_302600_NS6detail15normal_iteratorINS9_10device_ptrIjEEEENSB_INSC_IiEEEEiNS9_4plusIvEEiEEDaPvRmT3_T4_T5_mT6_P12ihipStream_tbENKUlT_T0_E_clISt17integral_constantIbLb1EESW_EEDaSR_SS_EUlSR_E0_NS1_11comp_targetILNS1_3genE10ELNS1_11target_archE1200ELNS1_3gpuE4ELNS1_3repE0EEENS1_30default_config_static_selectorELNS0_4arch9wavefront6targetE1EEEvT1_
	.globl	_ZN7rocprim17ROCPRIM_400000_NS6detail17trampoline_kernelINS0_14default_configENS1_20scan_config_selectorIiEEZZNS1_9scan_implILNS1_25lookback_scan_determinismE0ELb1ELb1ES3_N6thrust23THRUST_200600_302600_NS6detail15normal_iteratorINS9_10device_ptrIjEEEENSB_INSC_IiEEEEiNS9_4plusIvEEiEEDaPvRmT3_T4_T5_mT6_P12ihipStream_tbENKUlT_T0_E_clISt17integral_constantIbLb1EESW_EEDaSR_SS_EUlSR_E0_NS1_11comp_targetILNS1_3genE10ELNS1_11target_archE1200ELNS1_3gpuE4ELNS1_3repE0EEENS1_30default_config_static_selectorELNS0_4arch9wavefront6targetE1EEEvT1_
	.p2align	8
	.type	_ZN7rocprim17ROCPRIM_400000_NS6detail17trampoline_kernelINS0_14default_configENS1_20scan_config_selectorIiEEZZNS1_9scan_implILNS1_25lookback_scan_determinismE0ELb1ELb1ES3_N6thrust23THRUST_200600_302600_NS6detail15normal_iteratorINS9_10device_ptrIjEEEENSB_INSC_IiEEEEiNS9_4plusIvEEiEEDaPvRmT3_T4_T5_mT6_P12ihipStream_tbENKUlT_T0_E_clISt17integral_constantIbLb1EESW_EEDaSR_SS_EUlSR_E0_NS1_11comp_targetILNS1_3genE10ELNS1_11target_archE1200ELNS1_3gpuE4ELNS1_3repE0EEENS1_30default_config_static_selectorELNS0_4arch9wavefront6targetE1EEEvT1_,@function
_ZN7rocprim17ROCPRIM_400000_NS6detail17trampoline_kernelINS0_14default_configENS1_20scan_config_selectorIiEEZZNS1_9scan_implILNS1_25lookback_scan_determinismE0ELb1ELb1ES3_N6thrust23THRUST_200600_302600_NS6detail15normal_iteratorINS9_10device_ptrIjEEEENSB_INSC_IiEEEEiNS9_4plusIvEEiEEDaPvRmT3_T4_T5_mT6_P12ihipStream_tbENKUlT_T0_E_clISt17integral_constantIbLb1EESW_EEDaSR_SS_EUlSR_E0_NS1_11comp_targetILNS1_3genE10ELNS1_11target_archE1200ELNS1_3gpuE4ELNS1_3repE0EEENS1_30default_config_static_selectorELNS0_4arch9wavefront6targetE1EEEvT1_: ; @_ZN7rocprim17ROCPRIM_400000_NS6detail17trampoline_kernelINS0_14default_configENS1_20scan_config_selectorIiEEZZNS1_9scan_implILNS1_25lookback_scan_determinismE0ELb1ELb1ES3_N6thrust23THRUST_200600_302600_NS6detail15normal_iteratorINS9_10device_ptrIjEEEENSB_INSC_IiEEEEiNS9_4plusIvEEiEEDaPvRmT3_T4_T5_mT6_P12ihipStream_tbENKUlT_T0_E_clISt17integral_constantIbLb1EESW_EEDaSR_SS_EUlSR_E0_NS1_11comp_targetILNS1_3genE10ELNS1_11target_archE1200ELNS1_3gpuE4ELNS1_3repE0EEENS1_30default_config_static_selectorELNS0_4arch9wavefront6targetE1EEEvT1_
; %bb.0:
	.section	.rodata,"a",@progbits
	.p2align	6, 0x0
	.amdhsa_kernel _ZN7rocprim17ROCPRIM_400000_NS6detail17trampoline_kernelINS0_14default_configENS1_20scan_config_selectorIiEEZZNS1_9scan_implILNS1_25lookback_scan_determinismE0ELb1ELb1ES3_N6thrust23THRUST_200600_302600_NS6detail15normal_iteratorINS9_10device_ptrIjEEEENSB_INSC_IiEEEEiNS9_4plusIvEEiEEDaPvRmT3_T4_T5_mT6_P12ihipStream_tbENKUlT_T0_E_clISt17integral_constantIbLb1EESW_EEDaSR_SS_EUlSR_E0_NS1_11comp_targetILNS1_3genE10ELNS1_11target_archE1200ELNS1_3gpuE4ELNS1_3repE0EEENS1_30default_config_static_selectorELNS0_4arch9wavefront6targetE1EEEvT1_
		.amdhsa_group_segment_fixed_size 0
		.amdhsa_private_segment_fixed_size 0
		.amdhsa_kernarg_size 32
		.amdhsa_user_sgpr_count 6
		.amdhsa_user_sgpr_private_segment_buffer 1
		.amdhsa_user_sgpr_dispatch_ptr 0
		.amdhsa_user_sgpr_queue_ptr 0
		.amdhsa_user_sgpr_kernarg_segment_ptr 1
		.amdhsa_user_sgpr_dispatch_id 0
		.amdhsa_user_sgpr_flat_scratch_init 0
		.amdhsa_user_sgpr_kernarg_preload_length 0
		.amdhsa_user_sgpr_kernarg_preload_offset 0
		.amdhsa_user_sgpr_private_segment_size 0
		.amdhsa_uses_dynamic_stack 0
		.amdhsa_system_sgpr_private_segment_wavefront_offset 0
		.amdhsa_system_sgpr_workgroup_id_x 1
		.amdhsa_system_sgpr_workgroup_id_y 0
		.amdhsa_system_sgpr_workgroup_id_z 0
		.amdhsa_system_sgpr_workgroup_info 0
		.amdhsa_system_vgpr_workitem_id 0
		.amdhsa_next_free_vgpr 1
		.amdhsa_next_free_sgpr 0
		.amdhsa_accum_offset 4
		.amdhsa_reserve_vcc 0
		.amdhsa_reserve_flat_scratch 0
		.amdhsa_float_round_mode_32 0
		.amdhsa_float_round_mode_16_64 0
		.amdhsa_float_denorm_mode_32 3
		.amdhsa_float_denorm_mode_16_64 3
		.amdhsa_dx10_clamp 1
		.amdhsa_ieee_mode 1
		.amdhsa_fp16_overflow 0
		.amdhsa_tg_split 0
		.amdhsa_exception_fp_ieee_invalid_op 0
		.amdhsa_exception_fp_denorm_src 0
		.amdhsa_exception_fp_ieee_div_zero 0
		.amdhsa_exception_fp_ieee_overflow 0
		.amdhsa_exception_fp_ieee_underflow 0
		.amdhsa_exception_fp_ieee_inexact 0
		.amdhsa_exception_int_div_zero 0
	.end_amdhsa_kernel
	.section	.text._ZN7rocprim17ROCPRIM_400000_NS6detail17trampoline_kernelINS0_14default_configENS1_20scan_config_selectorIiEEZZNS1_9scan_implILNS1_25lookback_scan_determinismE0ELb1ELb1ES3_N6thrust23THRUST_200600_302600_NS6detail15normal_iteratorINS9_10device_ptrIjEEEENSB_INSC_IiEEEEiNS9_4plusIvEEiEEDaPvRmT3_T4_T5_mT6_P12ihipStream_tbENKUlT_T0_E_clISt17integral_constantIbLb1EESW_EEDaSR_SS_EUlSR_E0_NS1_11comp_targetILNS1_3genE10ELNS1_11target_archE1200ELNS1_3gpuE4ELNS1_3repE0EEENS1_30default_config_static_selectorELNS0_4arch9wavefront6targetE1EEEvT1_,"axG",@progbits,_ZN7rocprim17ROCPRIM_400000_NS6detail17trampoline_kernelINS0_14default_configENS1_20scan_config_selectorIiEEZZNS1_9scan_implILNS1_25lookback_scan_determinismE0ELb1ELb1ES3_N6thrust23THRUST_200600_302600_NS6detail15normal_iteratorINS9_10device_ptrIjEEEENSB_INSC_IiEEEEiNS9_4plusIvEEiEEDaPvRmT3_T4_T5_mT6_P12ihipStream_tbENKUlT_T0_E_clISt17integral_constantIbLb1EESW_EEDaSR_SS_EUlSR_E0_NS1_11comp_targetILNS1_3genE10ELNS1_11target_archE1200ELNS1_3gpuE4ELNS1_3repE0EEENS1_30default_config_static_selectorELNS0_4arch9wavefront6targetE1EEEvT1_,comdat
.Lfunc_end6265:
	.size	_ZN7rocprim17ROCPRIM_400000_NS6detail17trampoline_kernelINS0_14default_configENS1_20scan_config_selectorIiEEZZNS1_9scan_implILNS1_25lookback_scan_determinismE0ELb1ELb1ES3_N6thrust23THRUST_200600_302600_NS6detail15normal_iteratorINS9_10device_ptrIjEEEENSB_INSC_IiEEEEiNS9_4plusIvEEiEEDaPvRmT3_T4_T5_mT6_P12ihipStream_tbENKUlT_T0_E_clISt17integral_constantIbLb1EESW_EEDaSR_SS_EUlSR_E0_NS1_11comp_targetILNS1_3genE10ELNS1_11target_archE1200ELNS1_3gpuE4ELNS1_3repE0EEENS1_30default_config_static_selectorELNS0_4arch9wavefront6targetE1EEEvT1_, .Lfunc_end6265-_ZN7rocprim17ROCPRIM_400000_NS6detail17trampoline_kernelINS0_14default_configENS1_20scan_config_selectorIiEEZZNS1_9scan_implILNS1_25lookback_scan_determinismE0ELb1ELb1ES3_N6thrust23THRUST_200600_302600_NS6detail15normal_iteratorINS9_10device_ptrIjEEEENSB_INSC_IiEEEEiNS9_4plusIvEEiEEDaPvRmT3_T4_T5_mT6_P12ihipStream_tbENKUlT_T0_E_clISt17integral_constantIbLb1EESW_EEDaSR_SS_EUlSR_E0_NS1_11comp_targetILNS1_3genE10ELNS1_11target_archE1200ELNS1_3gpuE4ELNS1_3repE0EEENS1_30default_config_static_selectorELNS0_4arch9wavefront6targetE1EEEvT1_
                                        ; -- End function
	.section	.AMDGPU.csdata,"",@progbits
; Kernel info:
; codeLenInByte = 0
; NumSgprs: 4
; NumVgprs: 0
; NumAgprs: 0
; TotalNumVgprs: 0
; ScratchSize: 0
; MemoryBound: 0
; FloatMode: 240
; IeeeMode: 1
; LDSByteSize: 0 bytes/workgroup (compile time only)
; SGPRBlocks: 0
; VGPRBlocks: 0
; NumSGPRsForWavesPerEU: 4
; NumVGPRsForWavesPerEU: 1
; AccumOffset: 4
; Occupancy: 8
; WaveLimiterHint : 0
; COMPUTE_PGM_RSRC2:SCRATCH_EN: 0
; COMPUTE_PGM_RSRC2:USER_SGPR: 6
; COMPUTE_PGM_RSRC2:TRAP_HANDLER: 0
; COMPUTE_PGM_RSRC2:TGID_X_EN: 1
; COMPUTE_PGM_RSRC2:TGID_Y_EN: 0
; COMPUTE_PGM_RSRC2:TGID_Z_EN: 0
; COMPUTE_PGM_RSRC2:TIDIG_COMP_CNT: 0
; COMPUTE_PGM_RSRC3_GFX90A:ACCUM_OFFSET: 0
; COMPUTE_PGM_RSRC3_GFX90A:TG_SPLIT: 0
	.section	.text._ZN7rocprim17ROCPRIM_400000_NS6detail17trampoline_kernelINS0_14default_configENS1_20scan_config_selectorIiEEZZNS1_9scan_implILNS1_25lookback_scan_determinismE0ELb1ELb1ES3_N6thrust23THRUST_200600_302600_NS6detail15normal_iteratorINS9_10device_ptrIjEEEENSB_INSC_IiEEEEiNS9_4plusIvEEiEEDaPvRmT3_T4_T5_mT6_P12ihipStream_tbENKUlT_T0_E_clISt17integral_constantIbLb1EESW_EEDaSR_SS_EUlSR_E0_NS1_11comp_targetILNS1_3genE9ELNS1_11target_archE1100ELNS1_3gpuE3ELNS1_3repE0EEENS1_30default_config_static_selectorELNS0_4arch9wavefront6targetE1EEEvT1_,"axG",@progbits,_ZN7rocprim17ROCPRIM_400000_NS6detail17trampoline_kernelINS0_14default_configENS1_20scan_config_selectorIiEEZZNS1_9scan_implILNS1_25lookback_scan_determinismE0ELb1ELb1ES3_N6thrust23THRUST_200600_302600_NS6detail15normal_iteratorINS9_10device_ptrIjEEEENSB_INSC_IiEEEEiNS9_4plusIvEEiEEDaPvRmT3_T4_T5_mT6_P12ihipStream_tbENKUlT_T0_E_clISt17integral_constantIbLb1EESW_EEDaSR_SS_EUlSR_E0_NS1_11comp_targetILNS1_3genE9ELNS1_11target_archE1100ELNS1_3gpuE3ELNS1_3repE0EEENS1_30default_config_static_selectorELNS0_4arch9wavefront6targetE1EEEvT1_,comdat
	.protected	_ZN7rocprim17ROCPRIM_400000_NS6detail17trampoline_kernelINS0_14default_configENS1_20scan_config_selectorIiEEZZNS1_9scan_implILNS1_25lookback_scan_determinismE0ELb1ELb1ES3_N6thrust23THRUST_200600_302600_NS6detail15normal_iteratorINS9_10device_ptrIjEEEENSB_INSC_IiEEEEiNS9_4plusIvEEiEEDaPvRmT3_T4_T5_mT6_P12ihipStream_tbENKUlT_T0_E_clISt17integral_constantIbLb1EESW_EEDaSR_SS_EUlSR_E0_NS1_11comp_targetILNS1_3genE9ELNS1_11target_archE1100ELNS1_3gpuE3ELNS1_3repE0EEENS1_30default_config_static_selectorELNS0_4arch9wavefront6targetE1EEEvT1_ ; -- Begin function _ZN7rocprim17ROCPRIM_400000_NS6detail17trampoline_kernelINS0_14default_configENS1_20scan_config_selectorIiEEZZNS1_9scan_implILNS1_25lookback_scan_determinismE0ELb1ELb1ES3_N6thrust23THRUST_200600_302600_NS6detail15normal_iteratorINS9_10device_ptrIjEEEENSB_INSC_IiEEEEiNS9_4plusIvEEiEEDaPvRmT3_T4_T5_mT6_P12ihipStream_tbENKUlT_T0_E_clISt17integral_constantIbLb1EESW_EEDaSR_SS_EUlSR_E0_NS1_11comp_targetILNS1_3genE9ELNS1_11target_archE1100ELNS1_3gpuE3ELNS1_3repE0EEENS1_30default_config_static_selectorELNS0_4arch9wavefront6targetE1EEEvT1_
	.globl	_ZN7rocprim17ROCPRIM_400000_NS6detail17trampoline_kernelINS0_14default_configENS1_20scan_config_selectorIiEEZZNS1_9scan_implILNS1_25lookback_scan_determinismE0ELb1ELb1ES3_N6thrust23THRUST_200600_302600_NS6detail15normal_iteratorINS9_10device_ptrIjEEEENSB_INSC_IiEEEEiNS9_4plusIvEEiEEDaPvRmT3_T4_T5_mT6_P12ihipStream_tbENKUlT_T0_E_clISt17integral_constantIbLb1EESW_EEDaSR_SS_EUlSR_E0_NS1_11comp_targetILNS1_3genE9ELNS1_11target_archE1100ELNS1_3gpuE3ELNS1_3repE0EEENS1_30default_config_static_selectorELNS0_4arch9wavefront6targetE1EEEvT1_
	.p2align	8
	.type	_ZN7rocprim17ROCPRIM_400000_NS6detail17trampoline_kernelINS0_14default_configENS1_20scan_config_selectorIiEEZZNS1_9scan_implILNS1_25lookback_scan_determinismE0ELb1ELb1ES3_N6thrust23THRUST_200600_302600_NS6detail15normal_iteratorINS9_10device_ptrIjEEEENSB_INSC_IiEEEEiNS9_4plusIvEEiEEDaPvRmT3_T4_T5_mT6_P12ihipStream_tbENKUlT_T0_E_clISt17integral_constantIbLb1EESW_EEDaSR_SS_EUlSR_E0_NS1_11comp_targetILNS1_3genE9ELNS1_11target_archE1100ELNS1_3gpuE3ELNS1_3repE0EEENS1_30default_config_static_selectorELNS0_4arch9wavefront6targetE1EEEvT1_,@function
_ZN7rocprim17ROCPRIM_400000_NS6detail17trampoline_kernelINS0_14default_configENS1_20scan_config_selectorIiEEZZNS1_9scan_implILNS1_25lookback_scan_determinismE0ELb1ELb1ES3_N6thrust23THRUST_200600_302600_NS6detail15normal_iteratorINS9_10device_ptrIjEEEENSB_INSC_IiEEEEiNS9_4plusIvEEiEEDaPvRmT3_T4_T5_mT6_P12ihipStream_tbENKUlT_T0_E_clISt17integral_constantIbLb1EESW_EEDaSR_SS_EUlSR_E0_NS1_11comp_targetILNS1_3genE9ELNS1_11target_archE1100ELNS1_3gpuE3ELNS1_3repE0EEENS1_30default_config_static_selectorELNS0_4arch9wavefront6targetE1EEEvT1_: ; @_ZN7rocprim17ROCPRIM_400000_NS6detail17trampoline_kernelINS0_14default_configENS1_20scan_config_selectorIiEEZZNS1_9scan_implILNS1_25lookback_scan_determinismE0ELb1ELb1ES3_N6thrust23THRUST_200600_302600_NS6detail15normal_iteratorINS9_10device_ptrIjEEEENSB_INSC_IiEEEEiNS9_4plusIvEEiEEDaPvRmT3_T4_T5_mT6_P12ihipStream_tbENKUlT_T0_E_clISt17integral_constantIbLb1EESW_EEDaSR_SS_EUlSR_E0_NS1_11comp_targetILNS1_3genE9ELNS1_11target_archE1100ELNS1_3gpuE3ELNS1_3repE0EEENS1_30default_config_static_selectorELNS0_4arch9wavefront6targetE1EEEvT1_
; %bb.0:
	.section	.rodata,"a",@progbits
	.p2align	6, 0x0
	.amdhsa_kernel _ZN7rocprim17ROCPRIM_400000_NS6detail17trampoline_kernelINS0_14default_configENS1_20scan_config_selectorIiEEZZNS1_9scan_implILNS1_25lookback_scan_determinismE0ELb1ELb1ES3_N6thrust23THRUST_200600_302600_NS6detail15normal_iteratorINS9_10device_ptrIjEEEENSB_INSC_IiEEEEiNS9_4plusIvEEiEEDaPvRmT3_T4_T5_mT6_P12ihipStream_tbENKUlT_T0_E_clISt17integral_constantIbLb1EESW_EEDaSR_SS_EUlSR_E0_NS1_11comp_targetILNS1_3genE9ELNS1_11target_archE1100ELNS1_3gpuE3ELNS1_3repE0EEENS1_30default_config_static_selectorELNS0_4arch9wavefront6targetE1EEEvT1_
		.amdhsa_group_segment_fixed_size 0
		.amdhsa_private_segment_fixed_size 0
		.amdhsa_kernarg_size 32
		.amdhsa_user_sgpr_count 6
		.amdhsa_user_sgpr_private_segment_buffer 1
		.amdhsa_user_sgpr_dispatch_ptr 0
		.amdhsa_user_sgpr_queue_ptr 0
		.amdhsa_user_sgpr_kernarg_segment_ptr 1
		.amdhsa_user_sgpr_dispatch_id 0
		.amdhsa_user_sgpr_flat_scratch_init 0
		.amdhsa_user_sgpr_kernarg_preload_length 0
		.amdhsa_user_sgpr_kernarg_preload_offset 0
		.amdhsa_user_sgpr_private_segment_size 0
		.amdhsa_uses_dynamic_stack 0
		.amdhsa_system_sgpr_private_segment_wavefront_offset 0
		.amdhsa_system_sgpr_workgroup_id_x 1
		.amdhsa_system_sgpr_workgroup_id_y 0
		.amdhsa_system_sgpr_workgroup_id_z 0
		.amdhsa_system_sgpr_workgroup_info 0
		.amdhsa_system_vgpr_workitem_id 0
		.amdhsa_next_free_vgpr 1
		.amdhsa_next_free_sgpr 0
		.amdhsa_accum_offset 4
		.amdhsa_reserve_vcc 0
		.amdhsa_reserve_flat_scratch 0
		.amdhsa_float_round_mode_32 0
		.amdhsa_float_round_mode_16_64 0
		.amdhsa_float_denorm_mode_32 3
		.amdhsa_float_denorm_mode_16_64 3
		.amdhsa_dx10_clamp 1
		.amdhsa_ieee_mode 1
		.amdhsa_fp16_overflow 0
		.amdhsa_tg_split 0
		.amdhsa_exception_fp_ieee_invalid_op 0
		.amdhsa_exception_fp_denorm_src 0
		.amdhsa_exception_fp_ieee_div_zero 0
		.amdhsa_exception_fp_ieee_overflow 0
		.amdhsa_exception_fp_ieee_underflow 0
		.amdhsa_exception_fp_ieee_inexact 0
		.amdhsa_exception_int_div_zero 0
	.end_amdhsa_kernel
	.section	.text._ZN7rocprim17ROCPRIM_400000_NS6detail17trampoline_kernelINS0_14default_configENS1_20scan_config_selectorIiEEZZNS1_9scan_implILNS1_25lookback_scan_determinismE0ELb1ELb1ES3_N6thrust23THRUST_200600_302600_NS6detail15normal_iteratorINS9_10device_ptrIjEEEENSB_INSC_IiEEEEiNS9_4plusIvEEiEEDaPvRmT3_T4_T5_mT6_P12ihipStream_tbENKUlT_T0_E_clISt17integral_constantIbLb1EESW_EEDaSR_SS_EUlSR_E0_NS1_11comp_targetILNS1_3genE9ELNS1_11target_archE1100ELNS1_3gpuE3ELNS1_3repE0EEENS1_30default_config_static_selectorELNS0_4arch9wavefront6targetE1EEEvT1_,"axG",@progbits,_ZN7rocprim17ROCPRIM_400000_NS6detail17trampoline_kernelINS0_14default_configENS1_20scan_config_selectorIiEEZZNS1_9scan_implILNS1_25lookback_scan_determinismE0ELb1ELb1ES3_N6thrust23THRUST_200600_302600_NS6detail15normal_iteratorINS9_10device_ptrIjEEEENSB_INSC_IiEEEEiNS9_4plusIvEEiEEDaPvRmT3_T4_T5_mT6_P12ihipStream_tbENKUlT_T0_E_clISt17integral_constantIbLb1EESW_EEDaSR_SS_EUlSR_E0_NS1_11comp_targetILNS1_3genE9ELNS1_11target_archE1100ELNS1_3gpuE3ELNS1_3repE0EEENS1_30default_config_static_selectorELNS0_4arch9wavefront6targetE1EEEvT1_,comdat
.Lfunc_end6266:
	.size	_ZN7rocprim17ROCPRIM_400000_NS6detail17trampoline_kernelINS0_14default_configENS1_20scan_config_selectorIiEEZZNS1_9scan_implILNS1_25lookback_scan_determinismE0ELb1ELb1ES3_N6thrust23THRUST_200600_302600_NS6detail15normal_iteratorINS9_10device_ptrIjEEEENSB_INSC_IiEEEEiNS9_4plusIvEEiEEDaPvRmT3_T4_T5_mT6_P12ihipStream_tbENKUlT_T0_E_clISt17integral_constantIbLb1EESW_EEDaSR_SS_EUlSR_E0_NS1_11comp_targetILNS1_3genE9ELNS1_11target_archE1100ELNS1_3gpuE3ELNS1_3repE0EEENS1_30default_config_static_selectorELNS0_4arch9wavefront6targetE1EEEvT1_, .Lfunc_end6266-_ZN7rocprim17ROCPRIM_400000_NS6detail17trampoline_kernelINS0_14default_configENS1_20scan_config_selectorIiEEZZNS1_9scan_implILNS1_25lookback_scan_determinismE0ELb1ELb1ES3_N6thrust23THRUST_200600_302600_NS6detail15normal_iteratorINS9_10device_ptrIjEEEENSB_INSC_IiEEEEiNS9_4plusIvEEiEEDaPvRmT3_T4_T5_mT6_P12ihipStream_tbENKUlT_T0_E_clISt17integral_constantIbLb1EESW_EEDaSR_SS_EUlSR_E0_NS1_11comp_targetILNS1_3genE9ELNS1_11target_archE1100ELNS1_3gpuE3ELNS1_3repE0EEENS1_30default_config_static_selectorELNS0_4arch9wavefront6targetE1EEEvT1_
                                        ; -- End function
	.section	.AMDGPU.csdata,"",@progbits
; Kernel info:
; codeLenInByte = 0
; NumSgprs: 4
; NumVgprs: 0
; NumAgprs: 0
; TotalNumVgprs: 0
; ScratchSize: 0
; MemoryBound: 0
; FloatMode: 240
; IeeeMode: 1
; LDSByteSize: 0 bytes/workgroup (compile time only)
; SGPRBlocks: 0
; VGPRBlocks: 0
; NumSGPRsForWavesPerEU: 4
; NumVGPRsForWavesPerEU: 1
; AccumOffset: 4
; Occupancy: 8
; WaveLimiterHint : 0
; COMPUTE_PGM_RSRC2:SCRATCH_EN: 0
; COMPUTE_PGM_RSRC2:USER_SGPR: 6
; COMPUTE_PGM_RSRC2:TRAP_HANDLER: 0
; COMPUTE_PGM_RSRC2:TGID_X_EN: 1
; COMPUTE_PGM_RSRC2:TGID_Y_EN: 0
; COMPUTE_PGM_RSRC2:TGID_Z_EN: 0
; COMPUTE_PGM_RSRC2:TIDIG_COMP_CNT: 0
; COMPUTE_PGM_RSRC3_GFX90A:ACCUM_OFFSET: 0
; COMPUTE_PGM_RSRC3_GFX90A:TG_SPLIT: 0
	.section	.text._ZN7rocprim17ROCPRIM_400000_NS6detail17trampoline_kernelINS0_14default_configENS1_20scan_config_selectorIiEEZZNS1_9scan_implILNS1_25lookback_scan_determinismE0ELb1ELb1ES3_N6thrust23THRUST_200600_302600_NS6detail15normal_iteratorINS9_10device_ptrIjEEEENSB_INSC_IiEEEEiNS9_4plusIvEEiEEDaPvRmT3_T4_T5_mT6_P12ihipStream_tbENKUlT_T0_E_clISt17integral_constantIbLb1EESW_EEDaSR_SS_EUlSR_E0_NS1_11comp_targetILNS1_3genE8ELNS1_11target_archE1030ELNS1_3gpuE2ELNS1_3repE0EEENS1_30default_config_static_selectorELNS0_4arch9wavefront6targetE1EEEvT1_,"axG",@progbits,_ZN7rocprim17ROCPRIM_400000_NS6detail17trampoline_kernelINS0_14default_configENS1_20scan_config_selectorIiEEZZNS1_9scan_implILNS1_25lookback_scan_determinismE0ELb1ELb1ES3_N6thrust23THRUST_200600_302600_NS6detail15normal_iteratorINS9_10device_ptrIjEEEENSB_INSC_IiEEEEiNS9_4plusIvEEiEEDaPvRmT3_T4_T5_mT6_P12ihipStream_tbENKUlT_T0_E_clISt17integral_constantIbLb1EESW_EEDaSR_SS_EUlSR_E0_NS1_11comp_targetILNS1_3genE8ELNS1_11target_archE1030ELNS1_3gpuE2ELNS1_3repE0EEENS1_30default_config_static_selectorELNS0_4arch9wavefront6targetE1EEEvT1_,comdat
	.protected	_ZN7rocprim17ROCPRIM_400000_NS6detail17trampoline_kernelINS0_14default_configENS1_20scan_config_selectorIiEEZZNS1_9scan_implILNS1_25lookback_scan_determinismE0ELb1ELb1ES3_N6thrust23THRUST_200600_302600_NS6detail15normal_iteratorINS9_10device_ptrIjEEEENSB_INSC_IiEEEEiNS9_4plusIvEEiEEDaPvRmT3_T4_T5_mT6_P12ihipStream_tbENKUlT_T0_E_clISt17integral_constantIbLb1EESW_EEDaSR_SS_EUlSR_E0_NS1_11comp_targetILNS1_3genE8ELNS1_11target_archE1030ELNS1_3gpuE2ELNS1_3repE0EEENS1_30default_config_static_selectorELNS0_4arch9wavefront6targetE1EEEvT1_ ; -- Begin function _ZN7rocprim17ROCPRIM_400000_NS6detail17trampoline_kernelINS0_14default_configENS1_20scan_config_selectorIiEEZZNS1_9scan_implILNS1_25lookback_scan_determinismE0ELb1ELb1ES3_N6thrust23THRUST_200600_302600_NS6detail15normal_iteratorINS9_10device_ptrIjEEEENSB_INSC_IiEEEEiNS9_4plusIvEEiEEDaPvRmT3_T4_T5_mT6_P12ihipStream_tbENKUlT_T0_E_clISt17integral_constantIbLb1EESW_EEDaSR_SS_EUlSR_E0_NS1_11comp_targetILNS1_3genE8ELNS1_11target_archE1030ELNS1_3gpuE2ELNS1_3repE0EEENS1_30default_config_static_selectorELNS0_4arch9wavefront6targetE1EEEvT1_
	.globl	_ZN7rocprim17ROCPRIM_400000_NS6detail17trampoline_kernelINS0_14default_configENS1_20scan_config_selectorIiEEZZNS1_9scan_implILNS1_25lookback_scan_determinismE0ELb1ELb1ES3_N6thrust23THRUST_200600_302600_NS6detail15normal_iteratorINS9_10device_ptrIjEEEENSB_INSC_IiEEEEiNS9_4plusIvEEiEEDaPvRmT3_T4_T5_mT6_P12ihipStream_tbENKUlT_T0_E_clISt17integral_constantIbLb1EESW_EEDaSR_SS_EUlSR_E0_NS1_11comp_targetILNS1_3genE8ELNS1_11target_archE1030ELNS1_3gpuE2ELNS1_3repE0EEENS1_30default_config_static_selectorELNS0_4arch9wavefront6targetE1EEEvT1_
	.p2align	8
	.type	_ZN7rocprim17ROCPRIM_400000_NS6detail17trampoline_kernelINS0_14default_configENS1_20scan_config_selectorIiEEZZNS1_9scan_implILNS1_25lookback_scan_determinismE0ELb1ELb1ES3_N6thrust23THRUST_200600_302600_NS6detail15normal_iteratorINS9_10device_ptrIjEEEENSB_INSC_IiEEEEiNS9_4plusIvEEiEEDaPvRmT3_T4_T5_mT6_P12ihipStream_tbENKUlT_T0_E_clISt17integral_constantIbLb1EESW_EEDaSR_SS_EUlSR_E0_NS1_11comp_targetILNS1_3genE8ELNS1_11target_archE1030ELNS1_3gpuE2ELNS1_3repE0EEENS1_30default_config_static_selectorELNS0_4arch9wavefront6targetE1EEEvT1_,@function
_ZN7rocprim17ROCPRIM_400000_NS6detail17trampoline_kernelINS0_14default_configENS1_20scan_config_selectorIiEEZZNS1_9scan_implILNS1_25lookback_scan_determinismE0ELb1ELb1ES3_N6thrust23THRUST_200600_302600_NS6detail15normal_iteratorINS9_10device_ptrIjEEEENSB_INSC_IiEEEEiNS9_4plusIvEEiEEDaPvRmT3_T4_T5_mT6_P12ihipStream_tbENKUlT_T0_E_clISt17integral_constantIbLb1EESW_EEDaSR_SS_EUlSR_E0_NS1_11comp_targetILNS1_3genE8ELNS1_11target_archE1030ELNS1_3gpuE2ELNS1_3repE0EEENS1_30default_config_static_selectorELNS0_4arch9wavefront6targetE1EEEvT1_: ; @_ZN7rocprim17ROCPRIM_400000_NS6detail17trampoline_kernelINS0_14default_configENS1_20scan_config_selectorIiEEZZNS1_9scan_implILNS1_25lookback_scan_determinismE0ELb1ELb1ES3_N6thrust23THRUST_200600_302600_NS6detail15normal_iteratorINS9_10device_ptrIjEEEENSB_INSC_IiEEEEiNS9_4plusIvEEiEEDaPvRmT3_T4_T5_mT6_P12ihipStream_tbENKUlT_T0_E_clISt17integral_constantIbLb1EESW_EEDaSR_SS_EUlSR_E0_NS1_11comp_targetILNS1_3genE8ELNS1_11target_archE1030ELNS1_3gpuE2ELNS1_3repE0EEENS1_30default_config_static_selectorELNS0_4arch9wavefront6targetE1EEEvT1_
; %bb.0:
	.section	.rodata,"a",@progbits
	.p2align	6, 0x0
	.amdhsa_kernel _ZN7rocprim17ROCPRIM_400000_NS6detail17trampoline_kernelINS0_14default_configENS1_20scan_config_selectorIiEEZZNS1_9scan_implILNS1_25lookback_scan_determinismE0ELb1ELb1ES3_N6thrust23THRUST_200600_302600_NS6detail15normal_iteratorINS9_10device_ptrIjEEEENSB_INSC_IiEEEEiNS9_4plusIvEEiEEDaPvRmT3_T4_T5_mT6_P12ihipStream_tbENKUlT_T0_E_clISt17integral_constantIbLb1EESW_EEDaSR_SS_EUlSR_E0_NS1_11comp_targetILNS1_3genE8ELNS1_11target_archE1030ELNS1_3gpuE2ELNS1_3repE0EEENS1_30default_config_static_selectorELNS0_4arch9wavefront6targetE1EEEvT1_
		.amdhsa_group_segment_fixed_size 0
		.amdhsa_private_segment_fixed_size 0
		.amdhsa_kernarg_size 32
		.amdhsa_user_sgpr_count 6
		.amdhsa_user_sgpr_private_segment_buffer 1
		.amdhsa_user_sgpr_dispatch_ptr 0
		.amdhsa_user_sgpr_queue_ptr 0
		.amdhsa_user_sgpr_kernarg_segment_ptr 1
		.amdhsa_user_sgpr_dispatch_id 0
		.amdhsa_user_sgpr_flat_scratch_init 0
		.amdhsa_user_sgpr_kernarg_preload_length 0
		.amdhsa_user_sgpr_kernarg_preload_offset 0
		.amdhsa_user_sgpr_private_segment_size 0
		.amdhsa_uses_dynamic_stack 0
		.amdhsa_system_sgpr_private_segment_wavefront_offset 0
		.amdhsa_system_sgpr_workgroup_id_x 1
		.amdhsa_system_sgpr_workgroup_id_y 0
		.amdhsa_system_sgpr_workgroup_id_z 0
		.amdhsa_system_sgpr_workgroup_info 0
		.amdhsa_system_vgpr_workitem_id 0
		.amdhsa_next_free_vgpr 1
		.amdhsa_next_free_sgpr 0
		.amdhsa_accum_offset 4
		.amdhsa_reserve_vcc 0
		.amdhsa_reserve_flat_scratch 0
		.amdhsa_float_round_mode_32 0
		.amdhsa_float_round_mode_16_64 0
		.amdhsa_float_denorm_mode_32 3
		.amdhsa_float_denorm_mode_16_64 3
		.amdhsa_dx10_clamp 1
		.amdhsa_ieee_mode 1
		.amdhsa_fp16_overflow 0
		.amdhsa_tg_split 0
		.amdhsa_exception_fp_ieee_invalid_op 0
		.amdhsa_exception_fp_denorm_src 0
		.amdhsa_exception_fp_ieee_div_zero 0
		.amdhsa_exception_fp_ieee_overflow 0
		.amdhsa_exception_fp_ieee_underflow 0
		.amdhsa_exception_fp_ieee_inexact 0
		.amdhsa_exception_int_div_zero 0
	.end_amdhsa_kernel
	.section	.text._ZN7rocprim17ROCPRIM_400000_NS6detail17trampoline_kernelINS0_14default_configENS1_20scan_config_selectorIiEEZZNS1_9scan_implILNS1_25lookback_scan_determinismE0ELb1ELb1ES3_N6thrust23THRUST_200600_302600_NS6detail15normal_iteratorINS9_10device_ptrIjEEEENSB_INSC_IiEEEEiNS9_4plusIvEEiEEDaPvRmT3_T4_T5_mT6_P12ihipStream_tbENKUlT_T0_E_clISt17integral_constantIbLb1EESW_EEDaSR_SS_EUlSR_E0_NS1_11comp_targetILNS1_3genE8ELNS1_11target_archE1030ELNS1_3gpuE2ELNS1_3repE0EEENS1_30default_config_static_selectorELNS0_4arch9wavefront6targetE1EEEvT1_,"axG",@progbits,_ZN7rocprim17ROCPRIM_400000_NS6detail17trampoline_kernelINS0_14default_configENS1_20scan_config_selectorIiEEZZNS1_9scan_implILNS1_25lookback_scan_determinismE0ELb1ELb1ES3_N6thrust23THRUST_200600_302600_NS6detail15normal_iteratorINS9_10device_ptrIjEEEENSB_INSC_IiEEEEiNS9_4plusIvEEiEEDaPvRmT3_T4_T5_mT6_P12ihipStream_tbENKUlT_T0_E_clISt17integral_constantIbLb1EESW_EEDaSR_SS_EUlSR_E0_NS1_11comp_targetILNS1_3genE8ELNS1_11target_archE1030ELNS1_3gpuE2ELNS1_3repE0EEENS1_30default_config_static_selectorELNS0_4arch9wavefront6targetE1EEEvT1_,comdat
.Lfunc_end6267:
	.size	_ZN7rocprim17ROCPRIM_400000_NS6detail17trampoline_kernelINS0_14default_configENS1_20scan_config_selectorIiEEZZNS1_9scan_implILNS1_25lookback_scan_determinismE0ELb1ELb1ES3_N6thrust23THRUST_200600_302600_NS6detail15normal_iteratorINS9_10device_ptrIjEEEENSB_INSC_IiEEEEiNS9_4plusIvEEiEEDaPvRmT3_T4_T5_mT6_P12ihipStream_tbENKUlT_T0_E_clISt17integral_constantIbLb1EESW_EEDaSR_SS_EUlSR_E0_NS1_11comp_targetILNS1_3genE8ELNS1_11target_archE1030ELNS1_3gpuE2ELNS1_3repE0EEENS1_30default_config_static_selectorELNS0_4arch9wavefront6targetE1EEEvT1_, .Lfunc_end6267-_ZN7rocprim17ROCPRIM_400000_NS6detail17trampoline_kernelINS0_14default_configENS1_20scan_config_selectorIiEEZZNS1_9scan_implILNS1_25lookback_scan_determinismE0ELb1ELb1ES3_N6thrust23THRUST_200600_302600_NS6detail15normal_iteratorINS9_10device_ptrIjEEEENSB_INSC_IiEEEEiNS9_4plusIvEEiEEDaPvRmT3_T4_T5_mT6_P12ihipStream_tbENKUlT_T0_E_clISt17integral_constantIbLb1EESW_EEDaSR_SS_EUlSR_E0_NS1_11comp_targetILNS1_3genE8ELNS1_11target_archE1030ELNS1_3gpuE2ELNS1_3repE0EEENS1_30default_config_static_selectorELNS0_4arch9wavefront6targetE1EEEvT1_
                                        ; -- End function
	.section	.AMDGPU.csdata,"",@progbits
; Kernel info:
; codeLenInByte = 0
; NumSgprs: 4
; NumVgprs: 0
; NumAgprs: 0
; TotalNumVgprs: 0
; ScratchSize: 0
; MemoryBound: 0
; FloatMode: 240
; IeeeMode: 1
; LDSByteSize: 0 bytes/workgroup (compile time only)
; SGPRBlocks: 0
; VGPRBlocks: 0
; NumSGPRsForWavesPerEU: 4
; NumVGPRsForWavesPerEU: 1
; AccumOffset: 4
; Occupancy: 8
; WaveLimiterHint : 0
; COMPUTE_PGM_RSRC2:SCRATCH_EN: 0
; COMPUTE_PGM_RSRC2:USER_SGPR: 6
; COMPUTE_PGM_RSRC2:TRAP_HANDLER: 0
; COMPUTE_PGM_RSRC2:TGID_X_EN: 1
; COMPUTE_PGM_RSRC2:TGID_Y_EN: 0
; COMPUTE_PGM_RSRC2:TGID_Z_EN: 0
; COMPUTE_PGM_RSRC2:TIDIG_COMP_CNT: 0
; COMPUTE_PGM_RSRC3_GFX90A:ACCUM_OFFSET: 0
; COMPUTE_PGM_RSRC3_GFX90A:TG_SPLIT: 0
	.section	.text._ZN7rocprim17ROCPRIM_400000_NS6detail17trampoline_kernelINS0_14default_configENS1_20scan_config_selectorIiEEZZNS1_9scan_implILNS1_25lookback_scan_determinismE0ELb1ELb1ES3_N6thrust23THRUST_200600_302600_NS6detail15normal_iteratorINS9_10device_ptrIjEEEENSB_INSC_IiEEEEiNS9_4plusIvEEiEEDaPvRmT3_T4_T5_mT6_P12ihipStream_tbENKUlT_T0_E_clISt17integral_constantIbLb1EESV_IbLb0EEEEDaSR_SS_EUlSR_E_NS1_11comp_targetILNS1_3genE0ELNS1_11target_archE4294967295ELNS1_3gpuE0ELNS1_3repE0EEENS1_30default_config_static_selectorELNS0_4arch9wavefront6targetE1EEEvT1_,"axG",@progbits,_ZN7rocprim17ROCPRIM_400000_NS6detail17trampoline_kernelINS0_14default_configENS1_20scan_config_selectorIiEEZZNS1_9scan_implILNS1_25lookback_scan_determinismE0ELb1ELb1ES3_N6thrust23THRUST_200600_302600_NS6detail15normal_iteratorINS9_10device_ptrIjEEEENSB_INSC_IiEEEEiNS9_4plusIvEEiEEDaPvRmT3_T4_T5_mT6_P12ihipStream_tbENKUlT_T0_E_clISt17integral_constantIbLb1EESV_IbLb0EEEEDaSR_SS_EUlSR_E_NS1_11comp_targetILNS1_3genE0ELNS1_11target_archE4294967295ELNS1_3gpuE0ELNS1_3repE0EEENS1_30default_config_static_selectorELNS0_4arch9wavefront6targetE1EEEvT1_,comdat
	.protected	_ZN7rocprim17ROCPRIM_400000_NS6detail17trampoline_kernelINS0_14default_configENS1_20scan_config_selectorIiEEZZNS1_9scan_implILNS1_25lookback_scan_determinismE0ELb1ELb1ES3_N6thrust23THRUST_200600_302600_NS6detail15normal_iteratorINS9_10device_ptrIjEEEENSB_INSC_IiEEEEiNS9_4plusIvEEiEEDaPvRmT3_T4_T5_mT6_P12ihipStream_tbENKUlT_T0_E_clISt17integral_constantIbLb1EESV_IbLb0EEEEDaSR_SS_EUlSR_E_NS1_11comp_targetILNS1_3genE0ELNS1_11target_archE4294967295ELNS1_3gpuE0ELNS1_3repE0EEENS1_30default_config_static_selectorELNS0_4arch9wavefront6targetE1EEEvT1_ ; -- Begin function _ZN7rocprim17ROCPRIM_400000_NS6detail17trampoline_kernelINS0_14default_configENS1_20scan_config_selectorIiEEZZNS1_9scan_implILNS1_25lookback_scan_determinismE0ELb1ELb1ES3_N6thrust23THRUST_200600_302600_NS6detail15normal_iteratorINS9_10device_ptrIjEEEENSB_INSC_IiEEEEiNS9_4plusIvEEiEEDaPvRmT3_T4_T5_mT6_P12ihipStream_tbENKUlT_T0_E_clISt17integral_constantIbLb1EESV_IbLb0EEEEDaSR_SS_EUlSR_E_NS1_11comp_targetILNS1_3genE0ELNS1_11target_archE4294967295ELNS1_3gpuE0ELNS1_3repE0EEENS1_30default_config_static_selectorELNS0_4arch9wavefront6targetE1EEEvT1_
	.globl	_ZN7rocprim17ROCPRIM_400000_NS6detail17trampoline_kernelINS0_14default_configENS1_20scan_config_selectorIiEEZZNS1_9scan_implILNS1_25lookback_scan_determinismE0ELb1ELb1ES3_N6thrust23THRUST_200600_302600_NS6detail15normal_iteratorINS9_10device_ptrIjEEEENSB_INSC_IiEEEEiNS9_4plusIvEEiEEDaPvRmT3_T4_T5_mT6_P12ihipStream_tbENKUlT_T0_E_clISt17integral_constantIbLb1EESV_IbLb0EEEEDaSR_SS_EUlSR_E_NS1_11comp_targetILNS1_3genE0ELNS1_11target_archE4294967295ELNS1_3gpuE0ELNS1_3repE0EEENS1_30default_config_static_selectorELNS0_4arch9wavefront6targetE1EEEvT1_
	.p2align	8
	.type	_ZN7rocprim17ROCPRIM_400000_NS6detail17trampoline_kernelINS0_14default_configENS1_20scan_config_selectorIiEEZZNS1_9scan_implILNS1_25lookback_scan_determinismE0ELb1ELb1ES3_N6thrust23THRUST_200600_302600_NS6detail15normal_iteratorINS9_10device_ptrIjEEEENSB_INSC_IiEEEEiNS9_4plusIvEEiEEDaPvRmT3_T4_T5_mT6_P12ihipStream_tbENKUlT_T0_E_clISt17integral_constantIbLb1EESV_IbLb0EEEEDaSR_SS_EUlSR_E_NS1_11comp_targetILNS1_3genE0ELNS1_11target_archE4294967295ELNS1_3gpuE0ELNS1_3repE0EEENS1_30default_config_static_selectorELNS0_4arch9wavefront6targetE1EEEvT1_,@function
_ZN7rocprim17ROCPRIM_400000_NS6detail17trampoline_kernelINS0_14default_configENS1_20scan_config_selectorIiEEZZNS1_9scan_implILNS1_25lookback_scan_determinismE0ELb1ELb1ES3_N6thrust23THRUST_200600_302600_NS6detail15normal_iteratorINS9_10device_ptrIjEEEENSB_INSC_IiEEEEiNS9_4plusIvEEiEEDaPvRmT3_T4_T5_mT6_P12ihipStream_tbENKUlT_T0_E_clISt17integral_constantIbLb1EESV_IbLb0EEEEDaSR_SS_EUlSR_E_NS1_11comp_targetILNS1_3genE0ELNS1_11target_archE4294967295ELNS1_3gpuE0ELNS1_3repE0EEENS1_30default_config_static_selectorELNS0_4arch9wavefront6targetE1EEEvT1_: ; @_ZN7rocprim17ROCPRIM_400000_NS6detail17trampoline_kernelINS0_14default_configENS1_20scan_config_selectorIiEEZZNS1_9scan_implILNS1_25lookback_scan_determinismE0ELb1ELb1ES3_N6thrust23THRUST_200600_302600_NS6detail15normal_iteratorINS9_10device_ptrIjEEEENSB_INSC_IiEEEEiNS9_4plusIvEEiEEDaPvRmT3_T4_T5_mT6_P12ihipStream_tbENKUlT_T0_E_clISt17integral_constantIbLb1EESV_IbLb0EEEEDaSR_SS_EUlSR_E_NS1_11comp_targetILNS1_3genE0ELNS1_11target_archE4294967295ELNS1_3gpuE0ELNS1_3repE0EEENS1_30default_config_static_selectorELNS0_4arch9wavefront6targetE1EEEvT1_
; %bb.0:
	.section	.rodata,"a",@progbits
	.p2align	6, 0x0
	.amdhsa_kernel _ZN7rocprim17ROCPRIM_400000_NS6detail17trampoline_kernelINS0_14default_configENS1_20scan_config_selectorIiEEZZNS1_9scan_implILNS1_25lookback_scan_determinismE0ELb1ELb1ES3_N6thrust23THRUST_200600_302600_NS6detail15normal_iteratorINS9_10device_ptrIjEEEENSB_INSC_IiEEEEiNS9_4plusIvEEiEEDaPvRmT3_T4_T5_mT6_P12ihipStream_tbENKUlT_T0_E_clISt17integral_constantIbLb1EESV_IbLb0EEEEDaSR_SS_EUlSR_E_NS1_11comp_targetILNS1_3genE0ELNS1_11target_archE4294967295ELNS1_3gpuE0ELNS1_3repE0EEENS1_30default_config_static_selectorELNS0_4arch9wavefront6targetE1EEEvT1_
		.amdhsa_group_segment_fixed_size 0
		.amdhsa_private_segment_fixed_size 0
		.amdhsa_kernarg_size 96
		.amdhsa_user_sgpr_count 6
		.amdhsa_user_sgpr_private_segment_buffer 1
		.amdhsa_user_sgpr_dispatch_ptr 0
		.amdhsa_user_sgpr_queue_ptr 0
		.amdhsa_user_sgpr_kernarg_segment_ptr 1
		.amdhsa_user_sgpr_dispatch_id 0
		.amdhsa_user_sgpr_flat_scratch_init 0
		.amdhsa_user_sgpr_kernarg_preload_length 0
		.amdhsa_user_sgpr_kernarg_preload_offset 0
		.amdhsa_user_sgpr_private_segment_size 0
		.amdhsa_uses_dynamic_stack 0
		.amdhsa_system_sgpr_private_segment_wavefront_offset 0
		.amdhsa_system_sgpr_workgroup_id_x 1
		.amdhsa_system_sgpr_workgroup_id_y 0
		.amdhsa_system_sgpr_workgroup_id_z 0
		.amdhsa_system_sgpr_workgroup_info 0
		.amdhsa_system_vgpr_workitem_id 0
		.amdhsa_next_free_vgpr 1
		.amdhsa_next_free_sgpr 0
		.amdhsa_accum_offset 4
		.amdhsa_reserve_vcc 0
		.amdhsa_reserve_flat_scratch 0
		.amdhsa_float_round_mode_32 0
		.amdhsa_float_round_mode_16_64 0
		.amdhsa_float_denorm_mode_32 3
		.amdhsa_float_denorm_mode_16_64 3
		.amdhsa_dx10_clamp 1
		.amdhsa_ieee_mode 1
		.amdhsa_fp16_overflow 0
		.amdhsa_tg_split 0
		.amdhsa_exception_fp_ieee_invalid_op 0
		.amdhsa_exception_fp_denorm_src 0
		.amdhsa_exception_fp_ieee_div_zero 0
		.amdhsa_exception_fp_ieee_overflow 0
		.amdhsa_exception_fp_ieee_underflow 0
		.amdhsa_exception_fp_ieee_inexact 0
		.amdhsa_exception_int_div_zero 0
	.end_amdhsa_kernel
	.section	.text._ZN7rocprim17ROCPRIM_400000_NS6detail17trampoline_kernelINS0_14default_configENS1_20scan_config_selectorIiEEZZNS1_9scan_implILNS1_25lookback_scan_determinismE0ELb1ELb1ES3_N6thrust23THRUST_200600_302600_NS6detail15normal_iteratorINS9_10device_ptrIjEEEENSB_INSC_IiEEEEiNS9_4plusIvEEiEEDaPvRmT3_T4_T5_mT6_P12ihipStream_tbENKUlT_T0_E_clISt17integral_constantIbLb1EESV_IbLb0EEEEDaSR_SS_EUlSR_E_NS1_11comp_targetILNS1_3genE0ELNS1_11target_archE4294967295ELNS1_3gpuE0ELNS1_3repE0EEENS1_30default_config_static_selectorELNS0_4arch9wavefront6targetE1EEEvT1_,"axG",@progbits,_ZN7rocprim17ROCPRIM_400000_NS6detail17trampoline_kernelINS0_14default_configENS1_20scan_config_selectorIiEEZZNS1_9scan_implILNS1_25lookback_scan_determinismE0ELb1ELb1ES3_N6thrust23THRUST_200600_302600_NS6detail15normal_iteratorINS9_10device_ptrIjEEEENSB_INSC_IiEEEEiNS9_4plusIvEEiEEDaPvRmT3_T4_T5_mT6_P12ihipStream_tbENKUlT_T0_E_clISt17integral_constantIbLb1EESV_IbLb0EEEEDaSR_SS_EUlSR_E_NS1_11comp_targetILNS1_3genE0ELNS1_11target_archE4294967295ELNS1_3gpuE0ELNS1_3repE0EEENS1_30default_config_static_selectorELNS0_4arch9wavefront6targetE1EEEvT1_,comdat
.Lfunc_end6268:
	.size	_ZN7rocprim17ROCPRIM_400000_NS6detail17trampoline_kernelINS0_14default_configENS1_20scan_config_selectorIiEEZZNS1_9scan_implILNS1_25lookback_scan_determinismE0ELb1ELb1ES3_N6thrust23THRUST_200600_302600_NS6detail15normal_iteratorINS9_10device_ptrIjEEEENSB_INSC_IiEEEEiNS9_4plusIvEEiEEDaPvRmT3_T4_T5_mT6_P12ihipStream_tbENKUlT_T0_E_clISt17integral_constantIbLb1EESV_IbLb0EEEEDaSR_SS_EUlSR_E_NS1_11comp_targetILNS1_3genE0ELNS1_11target_archE4294967295ELNS1_3gpuE0ELNS1_3repE0EEENS1_30default_config_static_selectorELNS0_4arch9wavefront6targetE1EEEvT1_, .Lfunc_end6268-_ZN7rocprim17ROCPRIM_400000_NS6detail17trampoline_kernelINS0_14default_configENS1_20scan_config_selectorIiEEZZNS1_9scan_implILNS1_25lookback_scan_determinismE0ELb1ELb1ES3_N6thrust23THRUST_200600_302600_NS6detail15normal_iteratorINS9_10device_ptrIjEEEENSB_INSC_IiEEEEiNS9_4plusIvEEiEEDaPvRmT3_T4_T5_mT6_P12ihipStream_tbENKUlT_T0_E_clISt17integral_constantIbLb1EESV_IbLb0EEEEDaSR_SS_EUlSR_E_NS1_11comp_targetILNS1_3genE0ELNS1_11target_archE4294967295ELNS1_3gpuE0ELNS1_3repE0EEENS1_30default_config_static_selectorELNS0_4arch9wavefront6targetE1EEEvT1_
                                        ; -- End function
	.section	.AMDGPU.csdata,"",@progbits
; Kernel info:
; codeLenInByte = 0
; NumSgprs: 4
; NumVgprs: 0
; NumAgprs: 0
; TotalNumVgprs: 0
; ScratchSize: 0
; MemoryBound: 0
; FloatMode: 240
; IeeeMode: 1
; LDSByteSize: 0 bytes/workgroup (compile time only)
; SGPRBlocks: 0
; VGPRBlocks: 0
; NumSGPRsForWavesPerEU: 4
; NumVGPRsForWavesPerEU: 1
; AccumOffset: 4
; Occupancy: 8
; WaveLimiterHint : 0
; COMPUTE_PGM_RSRC2:SCRATCH_EN: 0
; COMPUTE_PGM_RSRC2:USER_SGPR: 6
; COMPUTE_PGM_RSRC2:TRAP_HANDLER: 0
; COMPUTE_PGM_RSRC2:TGID_X_EN: 1
; COMPUTE_PGM_RSRC2:TGID_Y_EN: 0
; COMPUTE_PGM_RSRC2:TGID_Z_EN: 0
; COMPUTE_PGM_RSRC2:TIDIG_COMP_CNT: 0
; COMPUTE_PGM_RSRC3_GFX90A:ACCUM_OFFSET: 0
; COMPUTE_PGM_RSRC3_GFX90A:TG_SPLIT: 0
	.section	.text._ZN7rocprim17ROCPRIM_400000_NS6detail17trampoline_kernelINS0_14default_configENS1_20scan_config_selectorIiEEZZNS1_9scan_implILNS1_25lookback_scan_determinismE0ELb1ELb1ES3_N6thrust23THRUST_200600_302600_NS6detail15normal_iteratorINS9_10device_ptrIjEEEENSB_INSC_IiEEEEiNS9_4plusIvEEiEEDaPvRmT3_T4_T5_mT6_P12ihipStream_tbENKUlT_T0_E_clISt17integral_constantIbLb1EESV_IbLb0EEEEDaSR_SS_EUlSR_E_NS1_11comp_targetILNS1_3genE5ELNS1_11target_archE942ELNS1_3gpuE9ELNS1_3repE0EEENS1_30default_config_static_selectorELNS0_4arch9wavefront6targetE1EEEvT1_,"axG",@progbits,_ZN7rocprim17ROCPRIM_400000_NS6detail17trampoline_kernelINS0_14default_configENS1_20scan_config_selectorIiEEZZNS1_9scan_implILNS1_25lookback_scan_determinismE0ELb1ELb1ES3_N6thrust23THRUST_200600_302600_NS6detail15normal_iteratorINS9_10device_ptrIjEEEENSB_INSC_IiEEEEiNS9_4plusIvEEiEEDaPvRmT3_T4_T5_mT6_P12ihipStream_tbENKUlT_T0_E_clISt17integral_constantIbLb1EESV_IbLb0EEEEDaSR_SS_EUlSR_E_NS1_11comp_targetILNS1_3genE5ELNS1_11target_archE942ELNS1_3gpuE9ELNS1_3repE0EEENS1_30default_config_static_selectorELNS0_4arch9wavefront6targetE1EEEvT1_,comdat
	.protected	_ZN7rocprim17ROCPRIM_400000_NS6detail17trampoline_kernelINS0_14default_configENS1_20scan_config_selectorIiEEZZNS1_9scan_implILNS1_25lookback_scan_determinismE0ELb1ELb1ES3_N6thrust23THRUST_200600_302600_NS6detail15normal_iteratorINS9_10device_ptrIjEEEENSB_INSC_IiEEEEiNS9_4plusIvEEiEEDaPvRmT3_T4_T5_mT6_P12ihipStream_tbENKUlT_T0_E_clISt17integral_constantIbLb1EESV_IbLb0EEEEDaSR_SS_EUlSR_E_NS1_11comp_targetILNS1_3genE5ELNS1_11target_archE942ELNS1_3gpuE9ELNS1_3repE0EEENS1_30default_config_static_selectorELNS0_4arch9wavefront6targetE1EEEvT1_ ; -- Begin function _ZN7rocprim17ROCPRIM_400000_NS6detail17trampoline_kernelINS0_14default_configENS1_20scan_config_selectorIiEEZZNS1_9scan_implILNS1_25lookback_scan_determinismE0ELb1ELb1ES3_N6thrust23THRUST_200600_302600_NS6detail15normal_iteratorINS9_10device_ptrIjEEEENSB_INSC_IiEEEEiNS9_4plusIvEEiEEDaPvRmT3_T4_T5_mT6_P12ihipStream_tbENKUlT_T0_E_clISt17integral_constantIbLb1EESV_IbLb0EEEEDaSR_SS_EUlSR_E_NS1_11comp_targetILNS1_3genE5ELNS1_11target_archE942ELNS1_3gpuE9ELNS1_3repE0EEENS1_30default_config_static_selectorELNS0_4arch9wavefront6targetE1EEEvT1_
	.globl	_ZN7rocprim17ROCPRIM_400000_NS6detail17trampoline_kernelINS0_14default_configENS1_20scan_config_selectorIiEEZZNS1_9scan_implILNS1_25lookback_scan_determinismE0ELb1ELb1ES3_N6thrust23THRUST_200600_302600_NS6detail15normal_iteratorINS9_10device_ptrIjEEEENSB_INSC_IiEEEEiNS9_4plusIvEEiEEDaPvRmT3_T4_T5_mT6_P12ihipStream_tbENKUlT_T0_E_clISt17integral_constantIbLb1EESV_IbLb0EEEEDaSR_SS_EUlSR_E_NS1_11comp_targetILNS1_3genE5ELNS1_11target_archE942ELNS1_3gpuE9ELNS1_3repE0EEENS1_30default_config_static_selectorELNS0_4arch9wavefront6targetE1EEEvT1_
	.p2align	8
	.type	_ZN7rocprim17ROCPRIM_400000_NS6detail17trampoline_kernelINS0_14default_configENS1_20scan_config_selectorIiEEZZNS1_9scan_implILNS1_25lookback_scan_determinismE0ELb1ELb1ES3_N6thrust23THRUST_200600_302600_NS6detail15normal_iteratorINS9_10device_ptrIjEEEENSB_INSC_IiEEEEiNS9_4plusIvEEiEEDaPvRmT3_T4_T5_mT6_P12ihipStream_tbENKUlT_T0_E_clISt17integral_constantIbLb1EESV_IbLb0EEEEDaSR_SS_EUlSR_E_NS1_11comp_targetILNS1_3genE5ELNS1_11target_archE942ELNS1_3gpuE9ELNS1_3repE0EEENS1_30default_config_static_selectorELNS0_4arch9wavefront6targetE1EEEvT1_,@function
_ZN7rocprim17ROCPRIM_400000_NS6detail17trampoline_kernelINS0_14default_configENS1_20scan_config_selectorIiEEZZNS1_9scan_implILNS1_25lookback_scan_determinismE0ELb1ELb1ES3_N6thrust23THRUST_200600_302600_NS6detail15normal_iteratorINS9_10device_ptrIjEEEENSB_INSC_IiEEEEiNS9_4plusIvEEiEEDaPvRmT3_T4_T5_mT6_P12ihipStream_tbENKUlT_T0_E_clISt17integral_constantIbLb1EESV_IbLb0EEEEDaSR_SS_EUlSR_E_NS1_11comp_targetILNS1_3genE5ELNS1_11target_archE942ELNS1_3gpuE9ELNS1_3repE0EEENS1_30default_config_static_selectorELNS0_4arch9wavefront6targetE1EEEvT1_: ; @_ZN7rocprim17ROCPRIM_400000_NS6detail17trampoline_kernelINS0_14default_configENS1_20scan_config_selectorIiEEZZNS1_9scan_implILNS1_25lookback_scan_determinismE0ELb1ELb1ES3_N6thrust23THRUST_200600_302600_NS6detail15normal_iteratorINS9_10device_ptrIjEEEENSB_INSC_IiEEEEiNS9_4plusIvEEiEEDaPvRmT3_T4_T5_mT6_P12ihipStream_tbENKUlT_T0_E_clISt17integral_constantIbLb1EESV_IbLb0EEEEDaSR_SS_EUlSR_E_NS1_11comp_targetILNS1_3genE5ELNS1_11target_archE942ELNS1_3gpuE9ELNS1_3repE0EEENS1_30default_config_static_selectorELNS0_4arch9wavefront6targetE1EEEvT1_
; %bb.0:
	.section	.rodata,"a",@progbits
	.p2align	6, 0x0
	.amdhsa_kernel _ZN7rocprim17ROCPRIM_400000_NS6detail17trampoline_kernelINS0_14default_configENS1_20scan_config_selectorIiEEZZNS1_9scan_implILNS1_25lookback_scan_determinismE0ELb1ELb1ES3_N6thrust23THRUST_200600_302600_NS6detail15normal_iteratorINS9_10device_ptrIjEEEENSB_INSC_IiEEEEiNS9_4plusIvEEiEEDaPvRmT3_T4_T5_mT6_P12ihipStream_tbENKUlT_T0_E_clISt17integral_constantIbLb1EESV_IbLb0EEEEDaSR_SS_EUlSR_E_NS1_11comp_targetILNS1_3genE5ELNS1_11target_archE942ELNS1_3gpuE9ELNS1_3repE0EEENS1_30default_config_static_selectorELNS0_4arch9wavefront6targetE1EEEvT1_
		.amdhsa_group_segment_fixed_size 0
		.amdhsa_private_segment_fixed_size 0
		.amdhsa_kernarg_size 96
		.amdhsa_user_sgpr_count 6
		.amdhsa_user_sgpr_private_segment_buffer 1
		.amdhsa_user_sgpr_dispatch_ptr 0
		.amdhsa_user_sgpr_queue_ptr 0
		.amdhsa_user_sgpr_kernarg_segment_ptr 1
		.amdhsa_user_sgpr_dispatch_id 0
		.amdhsa_user_sgpr_flat_scratch_init 0
		.amdhsa_user_sgpr_kernarg_preload_length 0
		.amdhsa_user_sgpr_kernarg_preload_offset 0
		.amdhsa_user_sgpr_private_segment_size 0
		.amdhsa_uses_dynamic_stack 0
		.amdhsa_system_sgpr_private_segment_wavefront_offset 0
		.amdhsa_system_sgpr_workgroup_id_x 1
		.amdhsa_system_sgpr_workgroup_id_y 0
		.amdhsa_system_sgpr_workgroup_id_z 0
		.amdhsa_system_sgpr_workgroup_info 0
		.amdhsa_system_vgpr_workitem_id 0
		.amdhsa_next_free_vgpr 1
		.amdhsa_next_free_sgpr 0
		.amdhsa_accum_offset 4
		.amdhsa_reserve_vcc 0
		.amdhsa_reserve_flat_scratch 0
		.amdhsa_float_round_mode_32 0
		.amdhsa_float_round_mode_16_64 0
		.amdhsa_float_denorm_mode_32 3
		.amdhsa_float_denorm_mode_16_64 3
		.amdhsa_dx10_clamp 1
		.amdhsa_ieee_mode 1
		.amdhsa_fp16_overflow 0
		.amdhsa_tg_split 0
		.amdhsa_exception_fp_ieee_invalid_op 0
		.amdhsa_exception_fp_denorm_src 0
		.amdhsa_exception_fp_ieee_div_zero 0
		.amdhsa_exception_fp_ieee_overflow 0
		.amdhsa_exception_fp_ieee_underflow 0
		.amdhsa_exception_fp_ieee_inexact 0
		.amdhsa_exception_int_div_zero 0
	.end_amdhsa_kernel
	.section	.text._ZN7rocprim17ROCPRIM_400000_NS6detail17trampoline_kernelINS0_14default_configENS1_20scan_config_selectorIiEEZZNS1_9scan_implILNS1_25lookback_scan_determinismE0ELb1ELb1ES3_N6thrust23THRUST_200600_302600_NS6detail15normal_iteratorINS9_10device_ptrIjEEEENSB_INSC_IiEEEEiNS9_4plusIvEEiEEDaPvRmT3_T4_T5_mT6_P12ihipStream_tbENKUlT_T0_E_clISt17integral_constantIbLb1EESV_IbLb0EEEEDaSR_SS_EUlSR_E_NS1_11comp_targetILNS1_3genE5ELNS1_11target_archE942ELNS1_3gpuE9ELNS1_3repE0EEENS1_30default_config_static_selectorELNS0_4arch9wavefront6targetE1EEEvT1_,"axG",@progbits,_ZN7rocprim17ROCPRIM_400000_NS6detail17trampoline_kernelINS0_14default_configENS1_20scan_config_selectorIiEEZZNS1_9scan_implILNS1_25lookback_scan_determinismE0ELb1ELb1ES3_N6thrust23THRUST_200600_302600_NS6detail15normal_iteratorINS9_10device_ptrIjEEEENSB_INSC_IiEEEEiNS9_4plusIvEEiEEDaPvRmT3_T4_T5_mT6_P12ihipStream_tbENKUlT_T0_E_clISt17integral_constantIbLb1EESV_IbLb0EEEEDaSR_SS_EUlSR_E_NS1_11comp_targetILNS1_3genE5ELNS1_11target_archE942ELNS1_3gpuE9ELNS1_3repE0EEENS1_30default_config_static_selectorELNS0_4arch9wavefront6targetE1EEEvT1_,comdat
.Lfunc_end6269:
	.size	_ZN7rocprim17ROCPRIM_400000_NS6detail17trampoline_kernelINS0_14default_configENS1_20scan_config_selectorIiEEZZNS1_9scan_implILNS1_25lookback_scan_determinismE0ELb1ELb1ES3_N6thrust23THRUST_200600_302600_NS6detail15normal_iteratorINS9_10device_ptrIjEEEENSB_INSC_IiEEEEiNS9_4plusIvEEiEEDaPvRmT3_T4_T5_mT6_P12ihipStream_tbENKUlT_T0_E_clISt17integral_constantIbLb1EESV_IbLb0EEEEDaSR_SS_EUlSR_E_NS1_11comp_targetILNS1_3genE5ELNS1_11target_archE942ELNS1_3gpuE9ELNS1_3repE0EEENS1_30default_config_static_selectorELNS0_4arch9wavefront6targetE1EEEvT1_, .Lfunc_end6269-_ZN7rocprim17ROCPRIM_400000_NS6detail17trampoline_kernelINS0_14default_configENS1_20scan_config_selectorIiEEZZNS1_9scan_implILNS1_25lookback_scan_determinismE0ELb1ELb1ES3_N6thrust23THRUST_200600_302600_NS6detail15normal_iteratorINS9_10device_ptrIjEEEENSB_INSC_IiEEEEiNS9_4plusIvEEiEEDaPvRmT3_T4_T5_mT6_P12ihipStream_tbENKUlT_T0_E_clISt17integral_constantIbLb1EESV_IbLb0EEEEDaSR_SS_EUlSR_E_NS1_11comp_targetILNS1_3genE5ELNS1_11target_archE942ELNS1_3gpuE9ELNS1_3repE0EEENS1_30default_config_static_selectorELNS0_4arch9wavefront6targetE1EEEvT1_
                                        ; -- End function
	.section	.AMDGPU.csdata,"",@progbits
; Kernel info:
; codeLenInByte = 0
; NumSgprs: 4
; NumVgprs: 0
; NumAgprs: 0
; TotalNumVgprs: 0
; ScratchSize: 0
; MemoryBound: 0
; FloatMode: 240
; IeeeMode: 1
; LDSByteSize: 0 bytes/workgroup (compile time only)
; SGPRBlocks: 0
; VGPRBlocks: 0
; NumSGPRsForWavesPerEU: 4
; NumVGPRsForWavesPerEU: 1
; AccumOffset: 4
; Occupancy: 8
; WaveLimiterHint : 0
; COMPUTE_PGM_RSRC2:SCRATCH_EN: 0
; COMPUTE_PGM_RSRC2:USER_SGPR: 6
; COMPUTE_PGM_RSRC2:TRAP_HANDLER: 0
; COMPUTE_PGM_RSRC2:TGID_X_EN: 1
; COMPUTE_PGM_RSRC2:TGID_Y_EN: 0
; COMPUTE_PGM_RSRC2:TGID_Z_EN: 0
; COMPUTE_PGM_RSRC2:TIDIG_COMP_CNT: 0
; COMPUTE_PGM_RSRC3_GFX90A:ACCUM_OFFSET: 0
; COMPUTE_PGM_RSRC3_GFX90A:TG_SPLIT: 0
	.section	.text._ZN7rocprim17ROCPRIM_400000_NS6detail17trampoline_kernelINS0_14default_configENS1_20scan_config_selectorIiEEZZNS1_9scan_implILNS1_25lookback_scan_determinismE0ELb1ELb1ES3_N6thrust23THRUST_200600_302600_NS6detail15normal_iteratorINS9_10device_ptrIjEEEENSB_INSC_IiEEEEiNS9_4plusIvEEiEEDaPvRmT3_T4_T5_mT6_P12ihipStream_tbENKUlT_T0_E_clISt17integral_constantIbLb1EESV_IbLb0EEEEDaSR_SS_EUlSR_E_NS1_11comp_targetILNS1_3genE4ELNS1_11target_archE910ELNS1_3gpuE8ELNS1_3repE0EEENS1_30default_config_static_selectorELNS0_4arch9wavefront6targetE1EEEvT1_,"axG",@progbits,_ZN7rocprim17ROCPRIM_400000_NS6detail17trampoline_kernelINS0_14default_configENS1_20scan_config_selectorIiEEZZNS1_9scan_implILNS1_25lookback_scan_determinismE0ELb1ELb1ES3_N6thrust23THRUST_200600_302600_NS6detail15normal_iteratorINS9_10device_ptrIjEEEENSB_INSC_IiEEEEiNS9_4plusIvEEiEEDaPvRmT3_T4_T5_mT6_P12ihipStream_tbENKUlT_T0_E_clISt17integral_constantIbLb1EESV_IbLb0EEEEDaSR_SS_EUlSR_E_NS1_11comp_targetILNS1_3genE4ELNS1_11target_archE910ELNS1_3gpuE8ELNS1_3repE0EEENS1_30default_config_static_selectorELNS0_4arch9wavefront6targetE1EEEvT1_,comdat
	.protected	_ZN7rocprim17ROCPRIM_400000_NS6detail17trampoline_kernelINS0_14default_configENS1_20scan_config_selectorIiEEZZNS1_9scan_implILNS1_25lookback_scan_determinismE0ELb1ELb1ES3_N6thrust23THRUST_200600_302600_NS6detail15normal_iteratorINS9_10device_ptrIjEEEENSB_INSC_IiEEEEiNS9_4plusIvEEiEEDaPvRmT3_T4_T5_mT6_P12ihipStream_tbENKUlT_T0_E_clISt17integral_constantIbLb1EESV_IbLb0EEEEDaSR_SS_EUlSR_E_NS1_11comp_targetILNS1_3genE4ELNS1_11target_archE910ELNS1_3gpuE8ELNS1_3repE0EEENS1_30default_config_static_selectorELNS0_4arch9wavefront6targetE1EEEvT1_ ; -- Begin function _ZN7rocprim17ROCPRIM_400000_NS6detail17trampoline_kernelINS0_14default_configENS1_20scan_config_selectorIiEEZZNS1_9scan_implILNS1_25lookback_scan_determinismE0ELb1ELb1ES3_N6thrust23THRUST_200600_302600_NS6detail15normal_iteratorINS9_10device_ptrIjEEEENSB_INSC_IiEEEEiNS9_4plusIvEEiEEDaPvRmT3_T4_T5_mT6_P12ihipStream_tbENKUlT_T0_E_clISt17integral_constantIbLb1EESV_IbLb0EEEEDaSR_SS_EUlSR_E_NS1_11comp_targetILNS1_3genE4ELNS1_11target_archE910ELNS1_3gpuE8ELNS1_3repE0EEENS1_30default_config_static_selectorELNS0_4arch9wavefront6targetE1EEEvT1_
	.globl	_ZN7rocprim17ROCPRIM_400000_NS6detail17trampoline_kernelINS0_14default_configENS1_20scan_config_selectorIiEEZZNS1_9scan_implILNS1_25lookback_scan_determinismE0ELb1ELb1ES3_N6thrust23THRUST_200600_302600_NS6detail15normal_iteratorINS9_10device_ptrIjEEEENSB_INSC_IiEEEEiNS9_4plusIvEEiEEDaPvRmT3_T4_T5_mT6_P12ihipStream_tbENKUlT_T0_E_clISt17integral_constantIbLb1EESV_IbLb0EEEEDaSR_SS_EUlSR_E_NS1_11comp_targetILNS1_3genE4ELNS1_11target_archE910ELNS1_3gpuE8ELNS1_3repE0EEENS1_30default_config_static_selectorELNS0_4arch9wavefront6targetE1EEEvT1_
	.p2align	8
	.type	_ZN7rocprim17ROCPRIM_400000_NS6detail17trampoline_kernelINS0_14default_configENS1_20scan_config_selectorIiEEZZNS1_9scan_implILNS1_25lookback_scan_determinismE0ELb1ELb1ES3_N6thrust23THRUST_200600_302600_NS6detail15normal_iteratorINS9_10device_ptrIjEEEENSB_INSC_IiEEEEiNS9_4plusIvEEiEEDaPvRmT3_T4_T5_mT6_P12ihipStream_tbENKUlT_T0_E_clISt17integral_constantIbLb1EESV_IbLb0EEEEDaSR_SS_EUlSR_E_NS1_11comp_targetILNS1_3genE4ELNS1_11target_archE910ELNS1_3gpuE8ELNS1_3repE0EEENS1_30default_config_static_selectorELNS0_4arch9wavefront6targetE1EEEvT1_,@function
_ZN7rocprim17ROCPRIM_400000_NS6detail17trampoline_kernelINS0_14default_configENS1_20scan_config_selectorIiEEZZNS1_9scan_implILNS1_25lookback_scan_determinismE0ELb1ELb1ES3_N6thrust23THRUST_200600_302600_NS6detail15normal_iteratorINS9_10device_ptrIjEEEENSB_INSC_IiEEEEiNS9_4plusIvEEiEEDaPvRmT3_T4_T5_mT6_P12ihipStream_tbENKUlT_T0_E_clISt17integral_constantIbLb1EESV_IbLb0EEEEDaSR_SS_EUlSR_E_NS1_11comp_targetILNS1_3genE4ELNS1_11target_archE910ELNS1_3gpuE8ELNS1_3repE0EEENS1_30default_config_static_selectorELNS0_4arch9wavefront6targetE1EEEvT1_: ; @_ZN7rocprim17ROCPRIM_400000_NS6detail17trampoline_kernelINS0_14default_configENS1_20scan_config_selectorIiEEZZNS1_9scan_implILNS1_25lookback_scan_determinismE0ELb1ELb1ES3_N6thrust23THRUST_200600_302600_NS6detail15normal_iteratorINS9_10device_ptrIjEEEENSB_INSC_IiEEEEiNS9_4plusIvEEiEEDaPvRmT3_T4_T5_mT6_P12ihipStream_tbENKUlT_T0_E_clISt17integral_constantIbLb1EESV_IbLb0EEEEDaSR_SS_EUlSR_E_NS1_11comp_targetILNS1_3genE4ELNS1_11target_archE910ELNS1_3gpuE8ELNS1_3repE0EEENS1_30default_config_static_selectorELNS0_4arch9wavefront6targetE1EEEvT1_
; %bb.0:
	s_load_dwordx8 s[8:15], s[4:5], 0x0
	s_load_dword s1, s[4:5], 0x30
	s_mul_i32 s0, s6, 0x500
	v_lshlrev_b32_e32 v22, 2, v0
	s_waitcnt lgkmcnt(0)
	s_lshl_b64 s[10:11], s[10:11], 2
	s_add_u32 s27, s8, s10
	s_addc_u32 s28, s9, s11
	s_add_i32 s2, s1, -1
	s_mul_i32 s3, s2, 0x500
	s_sub_u32 s7, s14, s3
	s_subb_u32 s26, s15, 0
	s_mov_b32 s1, 0
	s_cmp_lg_u32 s6, s2
	s_cselect_b64 s[8:9], -1, 0
	s_lshl_b64 s[14:15], s[0:1], 2
	s_add_u32 s2, s27, s14
	s_addc_u32 s3, s28, s15
	s_mov_b64 s[0:1], -1
	s_and_b64 vcc, exec, s[8:9]
	s_cbranch_vccz .LBB6270_2
; %bb.1:
	v_mov_b32_e32 v1, s3
	v_add_co_u32_e32 v2, vcc, s2, v22
	v_addc_co_u32_e32 v3, vcc, 0, v1, vcc
	flat_load_dword v1, v[2:3]
	flat_load_dword v4, v[2:3] offset:512
	flat_load_dword v5, v[2:3] offset:1024
	;; [unrolled: 1-line block ×7, first 2 shown]
	v_add_co_u32_e32 v2, vcc, 0x1000, v2
	v_addc_co_u32_e32 v3, vcc, 0, v3, vcc
	flat_load_dword v11, v[2:3]
	flat_load_dword v12, v[2:3] offset:512
	s_mov_b64 s[0:1], 0
	s_waitcnt vmcnt(0) lgkmcnt(0)
	ds_write2st64_b32 v22, v1, v4 offset1:2
	ds_write2st64_b32 v22, v5, v6 offset0:4 offset1:6
	ds_write2st64_b32 v22, v7, v8 offset0:8 offset1:10
	;; [unrolled: 1-line block ×4, first 2 shown]
	s_waitcnt lgkmcnt(0)
	s_barrier
.LBB6270_2:
	s_load_dwordx2 s[24:25], s[4:5], 0x28
	s_andn2_b64 vcc, exec, s[0:1]
	v_cmp_gt_u32_e64 s[0:1], s7, v0
	s_cbranch_vccnz .LBB6270_24
; %bb.3:
	v_pk_mov_b32 v[2:3], s[2:3], s[2:3] op_sel:[0,1]
	flat_load_dword v1, v[2:3]
	s_waitcnt vmcnt(0) lgkmcnt(0)
	v_mov_b32_e32 v2, v1
	v_mov_b32_e32 v3, v1
	;; [unrolled: 1-line block ×9, first 2 shown]
	s_and_saveexec_b64 s[16:17], s[0:1]
	s_cbranch_execz .LBB6270_5
; %bb.4:
	v_mov_b32_e32 v11, s3
	v_add_co_u32_e32 v10, vcc, s2, v22
	v_addc_co_u32_e32 v11, vcc, 0, v11, vcc
	flat_load_dword v10, v[10:11]
.LBB6270_5:
	s_or_b64 exec, exec, s[16:17]
	v_or_b32_e32 v11, 0x80, v0
	v_cmp_gt_u32_e32 vcc, s7, v11
	s_and_saveexec_b64 s[0:1], vcc
	s_cbranch_execz .LBB6270_7
; %bb.6:
	v_mov_b32_e32 v1, s3
	v_add_co_u32_e32 v12, vcc, s2, v22
	v_addc_co_u32_e32 v13, vcc, 0, v1, vcc
	flat_load_dword v1, v[12:13] offset:512
.LBB6270_7:
	s_or_b64 exec, exec, s[0:1]
	v_or_b32_e32 v11, 0x100, v0
	v_cmp_gt_u32_e32 vcc, s7, v11
	s_and_saveexec_b64 s[0:1], vcc
	s_cbranch_execz .LBB6270_9
; %bb.8:
	v_mov_b32_e32 v2, s3
	v_add_co_u32_e32 v12, vcc, s2, v22
	v_addc_co_u32_e32 v13, vcc, 0, v2, vcc
	flat_load_dword v2, v[12:13] offset:1024
.LBB6270_9:
	;; [unrolled: 11-line block ×7, first 2 shown]
	s_or_b64 exec, exec, s[0:1]
	v_or_b32_e32 v11, 0x400, v0
	v_cmp_gt_u32_e32 vcc, s7, v11
	s_and_saveexec_b64 s[0:1], vcc
	s_cbranch_execz .LBB6270_21
; %bb.20:
	v_lshlrev_b32_e32 v8, 2, v11
	v_mov_b32_e32 v11, s3
	v_add_co_u32_e32 v12, vcc, s2, v8
	v_addc_co_u32_e32 v13, vcc, 0, v11, vcc
	flat_load_dword v8, v[12:13]
.LBB6270_21:
	s_or_b64 exec, exec, s[0:1]
	v_or_b32_e32 v11, 0x480, v0
	v_cmp_gt_u32_e32 vcc, s7, v11
	s_and_saveexec_b64 s[0:1], vcc
	s_cbranch_execz .LBB6270_23
; %bb.22:
	v_lshlrev_b32_e32 v9, 2, v11
	v_mov_b32_e32 v11, s3
	v_add_co_u32_e32 v12, vcc, s2, v9
	v_addc_co_u32_e32 v13, vcc, 0, v11, vcc
	flat_load_dword v9, v[12:13]
.LBB6270_23:
	s_or_b64 exec, exec, s[0:1]
	s_waitcnt vmcnt(0) lgkmcnt(0)
	ds_write2st64_b32 v22, v10, v1 offset1:2
	ds_write2st64_b32 v22, v2, v3 offset0:4 offset1:6
	ds_write2st64_b32 v22, v4, v5 offset0:8 offset1:10
	;; [unrolled: 1-line block ×4, first 2 shown]
	s_waitcnt lgkmcnt(0)
	s_barrier
.LBB6270_24:
	v_mul_u32_u24_e32 v23, 10, v0
	v_lshlrev_b32_e32 v1, 2, v23
	s_waitcnt lgkmcnt(0)
	ds_read2_b64 v[16:19], v1 offset1:1
	ds_read2_b64 v[12:15], v1 offset0:2 offset1:3
	ds_read_b64 v[20:21], v1 offset:32
	s_cmp_lg_u32 s6, 0
	v_lshrrev_b32_e32 v24, 5, v0
	s_waitcnt lgkmcnt(2)
	v_add_u32_e32 v2, v17, v16
	v_add3_u32 v25, v2, v18, v19
	v_cmp_gt_u32_e32 vcc, 64, v0
	s_waitcnt lgkmcnt(0)
	s_barrier
	s_cbranch_scc0 .LBB6270_53
; %bb.25:
	v_add3_u32 v2, v25, v12, v13
	v_add3_u32 v2, v2, v14, v15
	v_add3_u32 v2, v2, v20, v21
	v_add_lshl_u32 v3, v24, v0, 2
	ds_write_b32 v3, v2
	s_waitcnt lgkmcnt(0)
	s_barrier
	s_and_saveexec_b64 s[2:3], vcc
	s_cbranch_execz .LBB6270_27
; %bb.26:
	v_lshlrev_b32_e32 v3, 1, v0
	v_lshrrev_b32_e32 v4, 4, v0
	v_add_lshl_u32 v3, v4, v3, 2
	ds_read2_b32 v[4:5], v3 offset1:1
	v_mbcnt_lo_u32_b32 v6, -1, 0
	v_mbcnt_hi_u32_b32 v6, -1, v6
	v_and_b32_e32 v7, 15, v6
	v_cmp_ne_u32_e64 s[0:1], 0, v7
	s_waitcnt lgkmcnt(0)
	v_add_u32_e32 v5, v5, v4
	; wave barrier
	s_nop 1
	v_mov_b32_dpp v8, v5 row_shr:1 row_mask:0xf bank_mask:0xf
	v_cndmask_b32_e64 v8, 0, v8, s[0:1]
	v_add_u32_e32 v5, v8, v5
	v_cmp_lt_u32_e64 s[0:1], 1, v7
	s_nop 0
	v_mov_b32_dpp v8, v5 row_shr:2 row_mask:0xf bank_mask:0xf
	v_cndmask_b32_e64 v8, 0, v8, s[0:1]
	v_add_u32_e32 v5, v5, v8
	v_cmp_lt_u32_e64 s[0:1], 3, v7
	;; [unrolled: 5-line block ×3, first 2 shown]
	s_nop 0
	v_mov_b32_dpp v8, v5 row_shr:8 row_mask:0xf bank_mask:0xf
	v_cndmask_b32_e64 v7, 0, v8, s[0:1]
	v_add_u32_e32 v5, v5, v7
	v_bfe_i32 v8, v6, 4, 1
	v_cmp_lt_u32_e64 s[0:1], 31, v6
	v_mov_b32_dpp v7, v5 row_bcast:15 row_mask:0xf bank_mask:0xf
	v_and_b32_e32 v7, v8, v7
	v_add_u32_e32 v5, v5, v7
	v_and_b32_e32 v8, 64, v6
	s_nop 0
	v_mov_b32_dpp v7, v5 row_bcast:31 row_mask:0xf bank_mask:0xf
	v_cndmask_b32_e64 v7, 0, v7, s[0:1]
	v_add_u32_e32 v5, v5, v7
	v_add_u32_e32 v7, -1, v6
	v_cmp_lt_i32_e64 s[0:1], v7, v8
	v_cndmask_b32_e64 v6, v7, v6, s[0:1]
	v_lshlrev_b32_e32 v6, 2, v6
	ds_bpermute_b32 v5, v6, v5
	v_cmp_eq_u32_e64 s[0:1], 0, v0
	s_waitcnt lgkmcnt(0)
	v_add_u32_e32 v4, v5, v4
	v_cndmask_b32_e64 v2, v4, v2, s[0:1]
	ds_write_b32 v3, v2
	; wave barrier
	ds_read_b32 v4, v3 offset:4
	s_waitcnt lgkmcnt(0)
	v_add_u32_e32 v2, v4, v2
	ds_write_b32 v3, v2 offset:4
.LBB6270_27:
	s_or_b64 exec, exec, s[2:3]
	v_cmp_eq_u32_e64 s[0:1], 0, v0
	v_cmp_ne_u32_e64 s[2:3], 0, v0
	v_mov_b32_e32 v26, 0
	s_waitcnt lgkmcnt(0)
	s_barrier
	s_and_saveexec_b64 s[16:17], s[2:3]
	s_cbranch_execz .LBB6270_29
; %bb.28:
	v_add_u32_e32 v2, -1, v0
	v_lshrrev_b32_e32 v3, 5, v2
	v_add_lshl_u32 v2, v3, v2, 2
	ds_read_b32 v26, v2
.LBB6270_29:
	s_or_b64 exec, exec, s[16:17]
	s_and_saveexec_b64 s[16:17], vcc
	s_cbranch_execz .LBB6270_52
; %bb.30:
	v_mov_b32_e32 v11, 0
	ds_read_b32 v2, v11 offset:520
	v_mbcnt_lo_u32_b32 v3, -1, 0
	v_mbcnt_hi_u32_b32 v5, -1, v3
	s_mov_b32 s21, 0
	v_cmp_eq_u32_e64 s[2:3], 0, v5
	s_and_saveexec_b64 s[18:19], s[2:3]
	s_cbranch_execz .LBB6270_32
; %bb.31:
	s_add_i32 s20, s6, 64
	s_lshl_b64 s[20:21], s[20:21], 3
	s_add_u32 s20, s24, s20
	v_mov_b32_e32 v3, 1
	s_addc_u32 s21, s25, s21
	s_waitcnt lgkmcnt(0)
	global_store_dwordx2 v11, v[2:3], s[20:21]
.LBB6270_32:
	s_or_b64 exec, exec, s[18:19]
	v_xad_u32 v4, v5, -1, s6
	v_add_u32_e32 v10, 64, v4
	v_lshlrev_b64 v[6:7], 3, v[10:11]
	v_mov_b32_e32 v3, s25
	v_add_co_u32_e32 v6, vcc, s24, v6
	v_addc_co_u32_e32 v7, vcc, v3, v7, vcc
	global_load_dwordx2 v[8:9], v[6:7], off glc
	s_waitcnt vmcnt(0)
	v_cmp_eq_u16_sdwa s[20:21], v9, v11 src0_sel:BYTE_0 src1_sel:DWORD
	s_and_saveexec_b64 s[18:19], s[20:21]
	s_cbranch_execz .LBB6270_38
; %bb.33:
	s_mov_b32 s22, 1
	s_mov_b64 s[20:21], 0
	v_mov_b32_e32 v3, 0
.LBB6270_34:                            ; =>This Loop Header: Depth=1
                                        ;     Child Loop BB6270_35 Depth 2
	s_max_u32 s23, s22, 1
.LBB6270_35:                            ;   Parent Loop BB6270_34 Depth=1
                                        ; =>  This Inner Loop Header: Depth=2
	s_add_i32 s23, s23, -1
	s_cmp_eq_u32 s23, 0
	s_sleep 1
	s_cbranch_scc0 .LBB6270_35
; %bb.36:                               ;   in Loop: Header=BB6270_34 Depth=1
	global_load_dwordx2 v[8:9], v[6:7], off glc
	s_cmp_lt_u32 s22, 32
	s_cselect_b64 s[30:31], -1, 0
	s_cmp_lg_u64 s[30:31], 0
	s_addc_u32 s22, s22, 0
	s_waitcnt vmcnt(0)
	v_cmp_ne_u16_sdwa s[30:31], v9, v3 src0_sel:BYTE_0 src1_sel:DWORD
	s_or_b64 s[20:21], s[30:31], s[20:21]
	s_andn2_b64 exec, exec, s[20:21]
	s_cbranch_execnz .LBB6270_34
; %bb.37:
	s_or_b64 exec, exec, s[20:21]
.LBB6270_38:
	s_or_b64 exec, exec, s[18:19]
	v_and_b32_e32 v27, 63, v5
	v_mov_b32_e32 v3, 2
	v_cmp_ne_u32_e32 vcc, 63, v27
	v_cmp_eq_u16_sdwa s[18:19], v9, v3 src0_sel:BYTE_0 src1_sel:DWORD
	v_lshlrev_b64 v[6:7], v5, -1
	v_addc_co_u32_e32 v28, vcc, 0, v5, vcc
	v_and_b32_e32 v10, s19, v7
	v_lshlrev_b32_e32 v28, 2, v28
	v_or_b32_e32 v10, 0x80000000, v10
	ds_bpermute_b32 v29, v28, v8
	v_and_b32_e32 v11, s18, v6
	v_ffbl_b32_e32 v10, v10
	v_add_u32_e32 v10, 32, v10
	v_ffbl_b32_e32 v11, v11
	v_min_u32_e32 v10, v11, v10
	v_cmp_lt_u32_e32 vcc, v27, v10
	s_waitcnt lgkmcnt(0)
	v_cndmask_b32_e32 v11, 0, v29, vcc
	v_cmp_gt_u32_e32 vcc, 62, v27
	v_add_u32_e32 v8, v11, v8
	v_cndmask_b32_e64 v11, 0, 1, vcc
	v_lshlrev_b32_e32 v11, 1, v11
	v_add_lshl_u32 v29, v11, v5, 2
	ds_bpermute_b32 v11, v29, v8
	v_add_u32_e32 v30, 2, v27
	v_cmp_le_u32_e32 vcc, v30, v10
	v_add_u32_e32 v32, 4, v27
	v_add_u32_e32 v34, 8, v27
	s_waitcnt lgkmcnt(0)
	v_cndmask_b32_e32 v11, 0, v11, vcc
	v_cmp_gt_u32_e32 vcc, 60, v27
	v_add_u32_e32 v8, v8, v11
	v_cndmask_b32_e64 v11, 0, 1, vcc
	v_lshlrev_b32_e32 v11, 2, v11
	v_add_lshl_u32 v31, v11, v5, 2
	ds_bpermute_b32 v11, v31, v8
	v_cmp_le_u32_e32 vcc, v32, v10
	v_add_u32_e32 v37, 16, v27
	v_add_u32_e32 v39, 32, v27
	s_waitcnt lgkmcnt(0)
	v_cndmask_b32_e32 v11, 0, v11, vcc
	v_cmp_gt_u32_e32 vcc, 56, v27
	v_add_u32_e32 v8, v8, v11
	v_cndmask_b32_e64 v11, 0, 1, vcc
	v_lshlrev_b32_e32 v11, 3, v11
	v_add_lshl_u32 v33, v11, v5, 2
	ds_bpermute_b32 v11, v33, v8
	v_cmp_le_u32_e32 vcc, v34, v10
	s_waitcnt lgkmcnt(0)
	v_cndmask_b32_e32 v11, 0, v11, vcc
	v_cmp_gt_u32_e32 vcc, 48, v27
	v_add_u32_e32 v8, v8, v11
	v_cndmask_b32_e64 v11, 0, 1, vcc
	v_lshlrev_b32_e32 v11, 4, v11
	v_add_lshl_u32 v36, v11, v5, 2
	ds_bpermute_b32 v11, v36, v8
	v_cmp_le_u32_e32 vcc, v37, v10
	;; [unrolled: 9-line block ×3, first 2 shown]
	s_waitcnt lgkmcnt(0)
	v_cndmask_b32_e32 v5, 0, v5, vcc
	v_add_u32_e32 v8, v8, v5
	v_mov_b32_e32 v5, 0
	s_branch .LBB6270_40
.LBB6270_39:                            ;   in Loop: Header=BB6270_40 Depth=1
	s_or_b64 exec, exec, s[18:19]
	v_cmp_eq_u16_sdwa s[18:19], v9, v3 src0_sel:BYTE_0 src1_sel:DWORD
	v_and_b32_e32 v10, s19, v7
	v_or_b32_e32 v10, 0x80000000, v10
	ds_bpermute_b32 v40, v28, v8
	v_and_b32_e32 v11, s18, v6
	v_ffbl_b32_e32 v10, v10
	v_add_u32_e32 v10, 32, v10
	v_ffbl_b32_e32 v11, v11
	v_min_u32_e32 v10, v11, v10
	v_cmp_lt_u32_e32 vcc, v27, v10
	s_waitcnt lgkmcnt(0)
	v_cndmask_b32_e32 v11, 0, v40, vcc
	v_add_u32_e32 v8, v11, v8
	ds_bpermute_b32 v11, v29, v8
	v_cmp_le_u32_e32 vcc, v30, v10
	v_subrev_u32_e32 v4, 64, v4
	s_waitcnt lgkmcnt(0)
	v_cndmask_b32_e32 v11, 0, v11, vcc
	v_add_u32_e32 v8, v8, v11
	ds_bpermute_b32 v11, v31, v8
	v_cmp_le_u32_e32 vcc, v32, v10
	s_waitcnt lgkmcnt(0)
	v_cndmask_b32_e32 v11, 0, v11, vcc
	v_add_u32_e32 v8, v8, v11
	ds_bpermute_b32 v11, v33, v8
	v_cmp_le_u32_e32 vcc, v34, v10
	;; [unrolled: 5-line block ×4, first 2 shown]
	s_waitcnt lgkmcnt(0)
	v_cndmask_b32_e32 v10, 0, v11, vcc
	v_add3_u32 v8, v10, v35, v8
.LBB6270_40:                            ; =>This Loop Header: Depth=1
                                        ;     Child Loop BB6270_43 Depth 2
                                        ;       Child Loop BB6270_44 Depth 3
	v_cmp_ne_u16_sdwa s[18:19], v9, v3 src0_sel:BYTE_0 src1_sel:DWORD
	v_cndmask_b32_e64 v9, 0, 1, s[18:19]
	;;#ASMSTART
	;;#ASMEND
	v_cmp_ne_u32_e32 vcc, 0, v9
	s_cmp_lg_u64 vcc, exec
	v_mov_b32_e32 v35, v8
	s_cbranch_scc1 .LBB6270_47
; %bb.41:                               ;   in Loop: Header=BB6270_40 Depth=1
	v_lshlrev_b64 v[8:9], 3, v[4:5]
	v_mov_b32_e32 v11, s25
	v_add_co_u32_e32 v10, vcc, s24, v8
	v_addc_co_u32_e32 v11, vcc, v11, v9, vcc
	global_load_dwordx2 v[8:9], v[10:11], off glc
	s_waitcnt vmcnt(0)
	v_cmp_eq_u16_sdwa s[20:21], v9, v5 src0_sel:BYTE_0 src1_sel:DWORD
	s_and_saveexec_b64 s[18:19], s[20:21]
	s_cbranch_execz .LBB6270_39
; %bb.42:                               ;   in Loop: Header=BB6270_40 Depth=1
	s_mov_b32 s22, 1
	s_mov_b64 s[20:21], 0
.LBB6270_43:                            ;   Parent Loop BB6270_40 Depth=1
                                        ; =>  This Loop Header: Depth=2
                                        ;       Child Loop BB6270_44 Depth 3
	s_max_u32 s23, s22, 1
.LBB6270_44:                            ;   Parent Loop BB6270_40 Depth=1
                                        ;     Parent Loop BB6270_43 Depth=2
                                        ; =>    This Inner Loop Header: Depth=3
	s_add_i32 s23, s23, -1
	s_cmp_eq_u32 s23, 0
	s_sleep 1
	s_cbranch_scc0 .LBB6270_44
; %bb.45:                               ;   in Loop: Header=BB6270_43 Depth=2
	global_load_dwordx2 v[8:9], v[10:11], off glc
	s_cmp_lt_u32 s22, 32
	s_cselect_b64 s[30:31], -1, 0
	s_cmp_lg_u64 s[30:31], 0
	s_addc_u32 s22, s22, 0
	s_waitcnt vmcnt(0)
	v_cmp_ne_u16_sdwa s[30:31], v9, v5 src0_sel:BYTE_0 src1_sel:DWORD
	s_or_b64 s[20:21], s[30:31], s[20:21]
	s_andn2_b64 exec, exec, s[20:21]
	s_cbranch_execnz .LBB6270_43
; %bb.46:                               ;   in Loop: Header=BB6270_40 Depth=1
	s_or_b64 exec, exec, s[20:21]
	s_branch .LBB6270_39
.LBB6270_47:                            ;   in Loop: Header=BB6270_40 Depth=1
                                        ; implicit-def: $vgpr8
                                        ; implicit-def: $vgpr9
	s_cbranch_execz .LBB6270_40
; %bb.48:
	s_and_saveexec_b64 s[18:19], s[2:3]
	s_cbranch_execz .LBB6270_50
; %bb.49:
	s_add_i32 s2, s6, 64
	s_mov_b32 s3, 0
	s_lshl_b64 s[2:3], s[2:3], 3
	s_add_u32 s2, s24, s2
	v_add_u32_e32 v2, v35, v2
	v_mov_b32_e32 v3, 2
	s_addc_u32 s3, s25, s3
	v_mov_b32_e32 v4, 0
	global_store_dwordx2 v4, v[2:3], s[2:3]
.LBB6270_50:
	s_or_b64 exec, exec, s[18:19]
	s_and_b64 exec, exec, s[0:1]
	s_cbranch_execz .LBB6270_52
; %bb.51:
	v_mov_b32_e32 v2, 0
	ds_write_b32 v2, v35
.LBB6270_52:
	s_or_b64 exec, exec, s[16:17]
	v_mov_b32_e32 v2, 0
	s_waitcnt lgkmcnt(0)
	s_barrier
	ds_read_b32 v2, v2
	s_waitcnt lgkmcnt(0)
	v_add_u32_e32 v2, v2, v26
	v_add_u32_e32 v3, v2, v16
	;; [unrolled: 1-line block ×10, first 2 shown]
	s_load_dwordx8 s[16:23], s[4:5], 0x38
	s_branch .LBB6270_63
.LBB6270_53:
                                        ; implicit-def: $vgpr2_vgpr3_vgpr4_vgpr5_vgpr6_vgpr7_vgpr8_vgpr9_vgpr10_vgpr11
	s_load_dwordx8 s[16:23], s[4:5], 0x38
	s_cbranch_execz .LBB6270_63
; %bb.54:
	s_load_dword s0, s[4:5], 0x20
	s_waitcnt lgkmcnt(0)
	s_cmp_eq_u64 s[20:21], 0
	v_mov_b32_e32 v26, s0
	s_cbranch_scc1 .LBB6270_56
; %bb.55:
	v_mov_b32_e32 v3, s28
	v_add_co_u32_e64 v2, vcc, -4, s27
	v_addc_co_u32_e32 v3, vcc, -1, v3, vcc
	v_mov_b32_e32 v4, 0
	flat_load_dword v5, v[2:3]
	global_load_dword v6, v4, s[16:17]
	s_waitcnt vmcnt(0) lgkmcnt(0)
	v_add_u32_e32 v26, v6, v5
.LBB6270_56:
	v_add3_u32 v2, v25, v12, v13
	v_add3_u32 v2, v2, v14, v15
	;; [unrolled: 1-line block ×3, first 2 shown]
	v_add_lshl_u32 v3, v24, v0, 2
	v_cmp_gt_u32_e32 vcc, 64, v0
	ds_write_b32 v3, v2
	s_waitcnt lgkmcnt(0)
	s_barrier
	s_and_saveexec_b64 s[0:1], vcc
	s_cbranch_execz .LBB6270_58
; %bb.57:
	v_lshlrev_b32_e32 v3, 1, v0
	v_lshrrev_b32_e32 v4, 4, v0
	v_add_lshl_u32 v3, v4, v3, 2
	ds_read2_b32 v[4:5], v3 offset1:1
	v_mbcnt_lo_u32_b32 v6, -1, 0
	v_mbcnt_hi_u32_b32 v6, -1, v6
	v_and_b32_e32 v7, 15, v6
	v_cmp_ne_u32_e32 vcc, 0, v7
	s_waitcnt lgkmcnt(0)
	v_add_u32_e32 v5, v5, v4
	; wave barrier
	s_nop 1
	v_mov_b32_dpp v8, v5 row_shr:1 row_mask:0xf bank_mask:0xf
	v_cndmask_b32_e32 v8, 0, v8, vcc
	v_add_u32_e32 v5, v8, v5
	v_cmp_lt_u32_e32 vcc, 1, v7
	s_nop 0
	v_mov_b32_dpp v8, v5 row_shr:2 row_mask:0xf bank_mask:0xf
	v_cndmask_b32_e32 v8, 0, v8, vcc
	v_add_u32_e32 v5, v5, v8
	v_cmp_lt_u32_e32 vcc, 3, v7
	;; [unrolled: 5-line block ×3, first 2 shown]
	s_nop 0
	v_mov_b32_dpp v8, v5 row_shr:8 row_mask:0xf bank_mask:0xf
	v_cndmask_b32_e32 v7, 0, v8, vcc
	v_add_u32_e32 v5, v5, v7
	v_bfe_i32 v8, v6, 4, 1
	v_cmp_lt_u32_e32 vcc, 31, v6
	v_mov_b32_dpp v7, v5 row_bcast:15 row_mask:0xf bank_mask:0xf
	v_and_b32_e32 v7, v8, v7
	v_add_u32_e32 v5, v5, v7
	v_and_b32_e32 v8, 64, v6
	s_nop 0
	v_mov_b32_dpp v7, v5 row_bcast:31 row_mask:0xf bank_mask:0xf
	v_cndmask_b32_e32 v7, 0, v7, vcc
	v_add_u32_e32 v5, v5, v7
	v_add_u32_e32 v7, -1, v6
	v_cmp_lt_i32_e32 vcc, v7, v8
	v_cndmask_b32_e32 v6, v7, v6, vcc
	v_lshlrev_b32_e32 v6, 2, v6
	ds_bpermute_b32 v5, v6, v5
	v_cmp_eq_u32_e32 vcc, 0, v0
	s_waitcnt lgkmcnt(0)
	v_add_u32_e32 v4, v5, v4
	v_cndmask_b32_e32 v2, v4, v2, vcc
	ds_write_b32 v3, v2
	; wave barrier
	ds_read_b32 v4, v3 offset:4
	s_waitcnt lgkmcnt(0)
	v_add_u32_e32 v2, v4, v2
	ds_write_b32 v3, v2 offset:4
.LBB6270_58:
	s_or_b64 exec, exec, s[0:1]
	v_cmp_eq_u32_e32 vcc, 0, v0
	v_cmp_ne_u32_e64 s[0:1], 0, v0
	v_mov_b32_e32 v2, v26
	s_waitcnt lgkmcnt(0)
	s_barrier
	s_and_saveexec_b64 s[2:3], s[0:1]
	s_cbranch_execz .LBB6270_60
; %bb.59:
	v_add_u32_e32 v2, -1, v0
	v_lshrrev_b32_e32 v3, 5, v2
	v_add_lshl_u32 v2, v3, v2, 2
	ds_read_b32 v2, v2
	s_waitcnt lgkmcnt(0)
	v_add_u32_e32 v2, v2, v26
.LBB6270_60:
	s_or_b64 exec, exec, s[2:3]
	v_add_u32_e32 v3, v2, v16
	v_add_u32_e32 v4, v3, v17
	;; [unrolled: 1-line block ×9, first 2 shown]
	s_and_saveexec_b64 s[0:1], vcc
	s_cbranch_execz .LBB6270_62
; %bb.61:
	v_mov_b32_e32 v14, 0
	ds_read_b32 v12, v14 offset:520
	v_mov_b32_e32 v13, 2
	s_waitcnt lgkmcnt(0)
	v_add_u32_e32 v12, v12, v26
	global_store_dwordx2 v14, v[12:13], s[24:25] offset:512
.LBB6270_62:
	s_or_b64 exec, exec, s[0:1]
.LBB6270_63:
	s_add_u32 s0, s12, s10
	s_addc_u32 s1, s13, s11
	s_add_u32 s2, s0, s14
	s_addc_u32 s3, s1, s15
	s_mov_b64 s[0:1], -1
	s_and_b64 vcc, exec, s[8:9]
	s_waitcnt lgkmcnt(0)
	s_barrier
	s_cbranch_vccz .LBB6270_65
; %bb.64:
	ds_write2_b64 v1, v[2:3], v[4:5] offset1:1
	ds_write2_b64 v1, v[6:7], v[8:9] offset0:2 offset1:3
	ds_write_b64 v1, v[10:11] offset:32
	s_waitcnt lgkmcnt(0)
	s_barrier
	ds_read2st64_b32 v[12:13], v22 offset1:2
	ds_read2st64_b32 v[14:15], v22 offset0:4 offset1:6
	ds_read2st64_b32 v[16:17], v22 offset0:8 offset1:10
	ds_read2st64_b32 v[18:19], v22 offset0:12 offset1:14
	ds_read2st64_b32 v[20:21], v22 offset0:16 offset1:18
	v_mov_b32_e32 v25, s3
	v_add_co_u32_e32 v24, vcc, s2, v22
	v_addc_co_u32_e32 v25, vcc, 0, v25, vcc
	s_waitcnt lgkmcnt(4)
	flat_store_dword v[24:25], v12
	flat_store_dword v[24:25], v13 offset:512
	s_waitcnt lgkmcnt(0)
	flat_store_dword v[24:25], v14 offset:1024
	flat_store_dword v[24:25], v15 offset:1536
	;; [unrolled: 1-line block ×6, first 2 shown]
	v_add_co_u32_e32 v12, vcc, 0x1000, v24
	v_addc_co_u32_e32 v13, vcc, 0, v25, vcc
	flat_store_dword v[12:13], v20
	flat_store_dword v[12:13], v21 offset:512
	s_mov_b64 s[0:1], 0
.LBB6270_65:
	s_andn2_b64 vcc, exec, s[0:1]
	s_cbranch_vccnz .LBB6270_121
; %bb.66:
	ds_write2_b64 v1, v[2:3], v[4:5] offset1:1
	ds_write2_b64 v1, v[6:7], v[8:9] offset0:2 offset1:3
	ds_write_b64 v1, v[10:11] offset:32
	s_waitcnt lgkmcnt(0)
	s_barrier
	ds_read2st64_b32 v[2:3], v22 offset1:2
	ds_read2st64_b32 v[6:7], v22 offset0:4 offset1:6
	ds_read2st64_b32 v[4:5], v22 offset0:8 offset1:10
	;; [unrolled: 1-line block ×4, first 2 shown]
	v_mov_b32_e32 v13, s3
	v_add_co_u32_e32 v12, vcc, s2, v22
	v_addc_co_u32_e32 v13, vcc, 0, v13, vcc
	v_mov_b32_e32 v1, 0
	v_cmp_gt_u32_e32 vcc, s7, v0
	s_and_saveexec_b64 s[0:1], vcc
	s_cbranch_execz .LBB6270_68
; %bb.67:
	s_waitcnt lgkmcnt(0)
	flat_store_dword v[12:13], v2
.LBB6270_68:
	s_or_b64 exec, exec, s[0:1]
	v_or_b32_e32 v14, 0x80, v0
	v_cmp_gt_u32_e32 vcc, s7, v14
	s_and_saveexec_b64 s[0:1], vcc
	s_cbranch_execz .LBB6270_70
; %bb.69:
	s_waitcnt lgkmcnt(0)
	flat_store_dword v[12:13], v3 offset:512
.LBB6270_70:
	s_or_b64 exec, exec, s[0:1]
	v_or_b32_e32 v14, 0x100, v0
	v_cmp_gt_u32_e32 vcc, s7, v14
	s_and_saveexec_b64 s[0:1], vcc
	s_cbranch_execz .LBB6270_72
; %bb.71:
	s_waitcnt lgkmcnt(0)
	flat_store_dword v[12:13], v6 offset:1024
.LBB6270_72:
	;; [unrolled: 9-line block ×7, first 2 shown]
	s_or_b64 exec, exec, s[0:1]
	v_or_b32_e32 v14, 0x400, v0
	v_cmp_gt_u32_e32 vcc, s7, v14
	s_and_saveexec_b64 s[0:1], vcc
	s_cbranch_execz .LBB6270_84
; %bb.83:
	v_add_co_u32_e32 v14, vcc, 0x1000, v12
	v_addc_co_u32_e32 v15, vcc, 0, v13, vcc
	s_waitcnt lgkmcnt(0)
	flat_store_dword v[14:15], v10
.LBB6270_84:
	s_or_b64 exec, exec, s[0:1]
	v_or_b32_e32 v14, 0x480, v0
	v_cmp_gt_u32_e32 vcc, s7, v14
	s_and_saveexec_b64 s[0:1], vcc
	s_cbranch_execz .LBB6270_86
; %bb.85:
	v_add_co_u32_e32 v12, vcc, 0x1000, v12
	v_addc_co_u32_e32 v13, vcc, 0, v13, vcc
	s_waitcnt lgkmcnt(0)
	flat_store_dword v[12:13], v11 offset:512
.LBB6270_86:
	s_or_b64 exec, exec, s[0:1]
	v_cmp_lt_u64_e64 s[0:1], s[22:23], 2
	s_and_b64 vcc, exec, s[0:1]
	s_cbranch_vccnz .LBB6270_121
; %bb.87:
	s_add_u32 s0, s7, -1
	s_addc_u32 s1, s26, -1
	s_add_u32 s2, 0, 0x99986000
	s_addc_u32 s3, 0, 0x59
	s_add_i32 s3, s3, 0x19999940
	s_mul_hi_u32 s7, s2, -10
	s_sub_i32 s7, s7, s2
	s_mul_i32 s8, s3, -10
	s_mul_i32 s4, s2, -10
	s_add_i32 s7, s7, s8
	s_mul_hi_u32 s5, s3, s4
	s_mul_i32 s6, s3, s4
	s_mul_i32 s9, s2, s7
	s_mul_hi_u32 s4, s2, s4
	s_mul_hi_u32 s8, s2, s7
	s_add_u32 s4, s4, s9
	s_addc_u32 s8, 0, s8
	s_add_u32 s4, s4, s6
	s_mul_hi_u32 s9, s3, s7
	s_addc_u32 s4, s8, s5
	s_addc_u32 s5, s9, 0
	s_mul_i32 s6, s3, s7
	s_add_u32 s4, s4, s6
	v_mov_b32_e32 v12, s4
	s_addc_u32 s5, 0, s5
	v_add_co_u32_e32 v12, vcc, s2, v12
	s_cmp_lg_u64 vcc, 0
	s_addc_u32 s2, s3, s5
	v_readfirstlane_b32 s5, v12
	s_mul_i32 s4, s0, s2
	s_mul_hi_u32 s6, s0, s5
	s_mul_hi_u32 s3, s0, s2
	s_add_u32 s4, s6, s4
	s_addc_u32 s3, 0, s3
	s_mul_hi_u32 s7, s1, s5
	s_mul_i32 s5, s1, s5
	s_add_u32 s4, s4, s5
	s_mul_hi_u32 s6, s1, s2
	s_addc_u32 s3, s3, s7
	s_addc_u32 s4, s6, 0
	s_mul_i32 s2, s1, s2
	s_add_u32 s2, s3, s2
	s_addc_u32 s3, 0, s4
	s_add_u32 s4, s2, 1
	s_addc_u32 s5, s3, 0
	s_add_u32 s6, s2, 2
	s_mul_i32 s8, s3, 10
	s_mul_hi_u32 s9, s2, 10
	s_addc_u32 s7, s3, 0
	s_add_i32 s9, s9, s8
	s_mul_i32 s8, s2, 10
	v_mov_b32_e32 v12, s8
	v_sub_co_u32_e32 v12, vcc, s0, v12
	s_cmp_lg_u64 vcc, 0
	s_subb_u32 s8, s1, s9
	v_subrev_co_u32_e32 v13, vcc, 10, v12
	s_cmp_lg_u64 vcc, 0
	s_subb_u32 s9, s8, 0
	v_readfirstlane_b32 s10, v13
	s_cmp_gt_u32 s10, 9
	s_cselect_b32 s10, -1, 0
	s_cmp_eq_u32 s9, 0
	s_cselect_b32 s9, s10, -1
	s_cmp_lg_u32 s9, 0
	s_cselect_b32 s4, s6, s4
	v_readfirstlane_b32 s6, v12
	s_cselect_b32 s5, s7, s5
	s_cmp_gt_u32 s6, 9
	s_cselect_b32 s6, -1, 0
	s_cmp_eq_u32 s8, 0
	s_cselect_b32 s6, s6, -1
	s_cmp_lg_u32 s6, 0
	s_cselect_b32 s3, s5, s3
	s_cselect_b32 s2, s4, s2
	v_cmp_eq_u64_e32 vcc, s[2:3], v[0:1]
	s_and_saveexec_b64 s[2:3], vcc
	s_cbranch_execz .LBB6270_121
; %bb.88:
	v_mul_hi_u32_u24_e32 v1, 10, v0
	v_mov_b32_e32 v12, s1
	v_sub_co_u32_e32 v0, vcc, s0, v23
	v_subb_co_u32_e32 v1, vcc, v12, v1, vcc
	v_cmp_lt_i64_e32 vcc, 4, v[0:1]
	s_and_saveexec_b64 s[0:1], vcc
	s_xor_b64 s[0:1], exec, s[0:1]
	s_cbranch_execz .LBB6270_106
; %bb.89:
	v_cmp_lt_i64_e32 vcc, 6, v[0:1]
	s_and_saveexec_b64 s[2:3], vcc
	s_xor_b64 s[2:3], exec, s[2:3]
	s_cbranch_execz .LBB6270_99
; %bb.90:
	;; [unrolled: 5-line block ×4, first 2 shown]
	v_mov_b32_e32 v0, 0
	s_waitcnt lgkmcnt(0)
	global_store_dword v0, v11, s[18:19]
                                        ; implicit-def: $vgpr10_vgpr11
.LBB6270_93:
	s_andn2_saveexec_b64 s[6:7], s[6:7]
	s_cbranch_execz .LBB6270_95
; %bb.94:
	v_mov_b32_e32 v0, 0
	s_waitcnt lgkmcnt(0)
	global_store_dword v0, v10, s[18:19]
.LBB6270_95:
	s_or_b64 exec, exec, s[6:7]
                                        ; implicit-def: $vgpr8_vgpr9
.LBB6270_96:
	s_andn2_saveexec_b64 s[4:5], s[4:5]
	s_cbranch_execz .LBB6270_98
; %bb.97:
	v_mov_b32_e32 v0, 0
	s_waitcnt lgkmcnt(0)
	global_store_dword v0, v9, s[18:19]
.LBB6270_98:
	s_or_b64 exec, exec, s[4:5]
                                        ; implicit-def: $vgpr4_vgpr5
                                        ; implicit-def: $vgpr0_vgpr1
                                        ; implicit-def: $vgpr8_vgpr9
.LBB6270_99:
	s_andn2_saveexec_b64 s[2:3], s[2:3]
	s_cbranch_execz .LBB6270_105
; %bb.100:
	v_cmp_lt_i64_e32 vcc, 5, v[0:1]
	s_and_saveexec_b64 s[4:5], vcc
	s_xor_b64 s[4:5], exec, s[4:5]
	s_cbranch_execz .LBB6270_102
; %bb.101:
	v_mov_b32_e32 v0, 0
	s_waitcnt lgkmcnt(0)
	global_store_dword v0, v8, s[18:19]
                                        ; implicit-def: $vgpr4_vgpr5
.LBB6270_102:
	s_andn2_saveexec_b64 s[4:5], s[4:5]
	s_cbranch_execz .LBB6270_104
; %bb.103:
	v_mov_b32_e32 v0, 0
	s_waitcnt lgkmcnt(0)
	global_store_dword v0, v5, s[18:19]
.LBB6270_104:
	s_or_b64 exec, exec, s[4:5]
.LBB6270_105:
	s_or_b64 exec, exec, s[2:3]
                                        ; implicit-def: $vgpr0_vgpr1
                                        ; implicit-def: $vgpr6_vgpr7
                                        ; implicit-def: $vgpr2_vgpr3
                                        ; implicit-def: $vgpr4_vgpr5
.LBB6270_106:
	s_andn2_saveexec_b64 s[0:1], s[0:1]
	s_cbranch_execz .LBB6270_121
; %bb.107:
	v_cmp_lt_i64_e32 vcc, 2, v[0:1]
	s_and_saveexec_b64 s[0:1], vcc
	s_xor_b64 s[0:1], exec, s[0:1]
	s_cbranch_execz .LBB6270_113
; %bb.108:
	v_cmp_lt_i64_e32 vcc, 3, v[0:1]
	s_and_saveexec_b64 s[2:3], vcc
	s_xor_b64 s[2:3], exec, s[2:3]
	s_cbranch_execz .LBB6270_110
; %bb.109:
	v_mov_b32_e32 v0, 0
	s_waitcnt lgkmcnt(0)
	global_store_dword v0, v4, s[18:19]
                                        ; implicit-def: $vgpr6_vgpr7
.LBB6270_110:
	s_andn2_saveexec_b64 s[2:3], s[2:3]
	s_cbranch_execz .LBB6270_112
; %bb.111:
	v_mov_b32_e32 v0, 0
	s_waitcnt lgkmcnt(0)
	global_store_dword v0, v7, s[18:19]
.LBB6270_112:
	s_or_b64 exec, exec, s[2:3]
                                        ; implicit-def: $vgpr0_vgpr1
                                        ; implicit-def: $vgpr6_vgpr7
                                        ; implicit-def: $vgpr2_vgpr3
.LBB6270_113:
	s_andn2_saveexec_b64 s[0:1], s[0:1]
	s_cbranch_execz .LBB6270_121
; %bb.114:
	v_cmp_lt_i64_e32 vcc, 1, v[0:1]
	s_and_saveexec_b64 s[0:1], vcc
	s_xor_b64 s[0:1], exec, s[0:1]
	s_cbranch_execz .LBB6270_116
; %bb.115:
	v_mov_b32_e32 v0, 0
	s_waitcnt lgkmcnt(0)
	global_store_dword v0, v6, s[18:19]
                                        ; implicit-def: $vgpr2_vgpr3
                                        ; implicit-def: $vgpr0_vgpr1
.LBB6270_116:
	s_andn2_saveexec_b64 s[0:1], s[0:1]
	s_cbranch_execz .LBB6270_121
; %bb.117:
	v_cmp_ne_u64_e32 vcc, 1, v[0:1]
	s_and_saveexec_b64 s[0:1], vcc
	s_xor_b64 s[0:1], exec, s[0:1]
	s_cbranch_execz .LBB6270_119
; %bb.118:
	v_mov_b32_e32 v0, 0
	s_waitcnt lgkmcnt(0)
	global_store_dword v0, v2, s[18:19]
                                        ; implicit-def: $vgpr2_vgpr3
.LBB6270_119:
	s_andn2_saveexec_b64 s[0:1], s[0:1]
	s_cbranch_execz .LBB6270_121
; %bb.120:
	v_mov_b32_e32 v0, 0
	s_waitcnt lgkmcnt(0)
	global_store_dword v0, v3, s[18:19]
.LBB6270_121:
	s_endpgm
	.section	.rodata,"a",@progbits
	.p2align	6, 0x0
	.amdhsa_kernel _ZN7rocprim17ROCPRIM_400000_NS6detail17trampoline_kernelINS0_14default_configENS1_20scan_config_selectorIiEEZZNS1_9scan_implILNS1_25lookback_scan_determinismE0ELb1ELb1ES3_N6thrust23THRUST_200600_302600_NS6detail15normal_iteratorINS9_10device_ptrIjEEEENSB_INSC_IiEEEEiNS9_4plusIvEEiEEDaPvRmT3_T4_T5_mT6_P12ihipStream_tbENKUlT_T0_E_clISt17integral_constantIbLb1EESV_IbLb0EEEEDaSR_SS_EUlSR_E_NS1_11comp_targetILNS1_3genE4ELNS1_11target_archE910ELNS1_3gpuE8ELNS1_3repE0EEENS1_30default_config_static_selectorELNS0_4arch9wavefront6targetE1EEEvT1_
		.amdhsa_group_segment_fixed_size 5120
		.amdhsa_private_segment_fixed_size 0
		.amdhsa_kernarg_size 96
		.amdhsa_user_sgpr_count 6
		.amdhsa_user_sgpr_private_segment_buffer 1
		.amdhsa_user_sgpr_dispatch_ptr 0
		.amdhsa_user_sgpr_queue_ptr 0
		.amdhsa_user_sgpr_kernarg_segment_ptr 1
		.amdhsa_user_sgpr_dispatch_id 0
		.amdhsa_user_sgpr_flat_scratch_init 0
		.amdhsa_user_sgpr_kernarg_preload_length 0
		.amdhsa_user_sgpr_kernarg_preload_offset 0
		.amdhsa_user_sgpr_private_segment_size 0
		.amdhsa_uses_dynamic_stack 0
		.amdhsa_system_sgpr_private_segment_wavefront_offset 0
		.amdhsa_system_sgpr_workgroup_id_x 1
		.amdhsa_system_sgpr_workgroup_id_y 0
		.amdhsa_system_sgpr_workgroup_id_z 0
		.amdhsa_system_sgpr_workgroup_info 0
		.amdhsa_system_vgpr_workitem_id 0
		.amdhsa_next_free_vgpr 41
		.amdhsa_next_free_sgpr 32
		.amdhsa_accum_offset 44
		.amdhsa_reserve_vcc 1
		.amdhsa_reserve_flat_scratch 0
		.amdhsa_float_round_mode_32 0
		.amdhsa_float_round_mode_16_64 0
		.amdhsa_float_denorm_mode_32 3
		.amdhsa_float_denorm_mode_16_64 3
		.amdhsa_dx10_clamp 1
		.amdhsa_ieee_mode 1
		.amdhsa_fp16_overflow 0
		.amdhsa_tg_split 0
		.amdhsa_exception_fp_ieee_invalid_op 0
		.amdhsa_exception_fp_denorm_src 0
		.amdhsa_exception_fp_ieee_div_zero 0
		.amdhsa_exception_fp_ieee_overflow 0
		.amdhsa_exception_fp_ieee_underflow 0
		.amdhsa_exception_fp_ieee_inexact 0
		.amdhsa_exception_int_div_zero 0
	.end_amdhsa_kernel
	.section	.text._ZN7rocprim17ROCPRIM_400000_NS6detail17trampoline_kernelINS0_14default_configENS1_20scan_config_selectorIiEEZZNS1_9scan_implILNS1_25lookback_scan_determinismE0ELb1ELb1ES3_N6thrust23THRUST_200600_302600_NS6detail15normal_iteratorINS9_10device_ptrIjEEEENSB_INSC_IiEEEEiNS9_4plusIvEEiEEDaPvRmT3_T4_T5_mT6_P12ihipStream_tbENKUlT_T0_E_clISt17integral_constantIbLb1EESV_IbLb0EEEEDaSR_SS_EUlSR_E_NS1_11comp_targetILNS1_3genE4ELNS1_11target_archE910ELNS1_3gpuE8ELNS1_3repE0EEENS1_30default_config_static_selectorELNS0_4arch9wavefront6targetE1EEEvT1_,"axG",@progbits,_ZN7rocprim17ROCPRIM_400000_NS6detail17trampoline_kernelINS0_14default_configENS1_20scan_config_selectorIiEEZZNS1_9scan_implILNS1_25lookback_scan_determinismE0ELb1ELb1ES3_N6thrust23THRUST_200600_302600_NS6detail15normal_iteratorINS9_10device_ptrIjEEEENSB_INSC_IiEEEEiNS9_4plusIvEEiEEDaPvRmT3_T4_T5_mT6_P12ihipStream_tbENKUlT_T0_E_clISt17integral_constantIbLb1EESV_IbLb0EEEEDaSR_SS_EUlSR_E_NS1_11comp_targetILNS1_3genE4ELNS1_11target_archE910ELNS1_3gpuE8ELNS1_3repE0EEENS1_30default_config_static_selectorELNS0_4arch9wavefront6targetE1EEEvT1_,comdat
.Lfunc_end6270:
	.size	_ZN7rocprim17ROCPRIM_400000_NS6detail17trampoline_kernelINS0_14default_configENS1_20scan_config_selectorIiEEZZNS1_9scan_implILNS1_25lookback_scan_determinismE0ELb1ELb1ES3_N6thrust23THRUST_200600_302600_NS6detail15normal_iteratorINS9_10device_ptrIjEEEENSB_INSC_IiEEEEiNS9_4plusIvEEiEEDaPvRmT3_T4_T5_mT6_P12ihipStream_tbENKUlT_T0_E_clISt17integral_constantIbLb1EESV_IbLb0EEEEDaSR_SS_EUlSR_E_NS1_11comp_targetILNS1_3genE4ELNS1_11target_archE910ELNS1_3gpuE8ELNS1_3repE0EEENS1_30default_config_static_selectorELNS0_4arch9wavefront6targetE1EEEvT1_, .Lfunc_end6270-_ZN7rocprim17ROCPRIM_400000_NS6detail17trampoline_kernelINS0_14default_configENS1_20scan_config_selectorIiEEZZNS1_9scan_implILNS1_25lookback_scan_determinismE0ELb1ELb1ES3_N6thrust23THRUST_200600_302600_NS6detail15normal_iteratorINS9_10device_ptrIjEEEENSB_INSC_IiEEEEiNS9_4plusIvEEiEEDaPvRmT3_T4_T5_mT6_P12ihipStream_tbENKUlT_T0_E_clISt17integral_constantIbLb1EESV_IbLb0EEEEDaSR_SS_EUlSR_E_NS1_11comp_targetILNS1_3genE4ELNS1_11target_archE910ELNS1_3gpuE8ELNS1_3repE0EEENS1_30default_config_static_selectorELNS0_4arch9wavefront6targetE1EEEvT1_
                                        ; -- End function
	.section	.AMDGPU.csdata,"",@progbits
; Kernel info:
; codeLenInByte = 4484
; NumSgprs: 36
; NumVgprs: 41
; NumAgprs: 0
; TotalNumVgprs: 41
; ScratchSize: 0
; MemoryBound: 0
; FloatMode: 240
; IeeeMode: 1
; LDSByteSize: 5120 bytes/workgroup (compile time only)
; SGPRBlocks: 4
; VGPRBlocks: 5
; NumSGPRsForWavesPerEU: 36
; NumVGPRsForWavesPerEU: 41
; AccumOffset: 44
; Occupancy: 6
; WaveLimiterHint : 1
; COMPUTE_PGM_RSRC2:SCRATCH_EN: 0
; COMPUTE_PGM_RSRC2:USER_SGPR: 6
; COMPUTE_PGM_RSRC2:TRAP_HANDLER: 0
; COMPUTE_PGM_RSRC2:TGID_X_EN: 1
; COMPUTE_PGM_RSRC2:TGID_Y_EN: 0
; COMPUTE_PGM_RSRC2:TGID_Z_EN: 0
; COMPUTE_PGM_RSRC2:TIDIG_COMP_CNT: 0
; COMPUTE_PGM_RSRC3_GFX90A:ACCUM_OFFSET: 10
; COMPUTE_PGM_RSRC3_GFX90A:TG_SPLIT: 0
	.section	.text._ZN7rocprim17ROCPRIM_400000_NS6detail17trampoline_kernelINS0_14default_configENS1_20scan_config_selectorIiEEZZNS1_9scan_implILNS1_25lookback_scan_determinismE0ELb1ELb1ES3_N6thrust23THRUST_200600_302600_NS6detail15normal_iteratorINS9_10device_ptrIjEEEENSB_INSC_IiEEEEiNS9_4plusIvEEiEEDaPvRmT3_T4_T5_mT6_P12ihipStream_tbENKUlT_T0_E_clISt17integral_constantIbLb1EESV_IbLb0EEEEDaSR_SS_EUlSR_E_NS1_11comp_targetILNS1_3genE3ELNS1_11target_archE908ELNS1_3gpuE7ELNS1_3repE0EEENS1_30default_config_static_selectorELNS0_4arch9wavefront6targetE1EEEvT1_,"axG",@progbits,_ZN7rocprim17ROCPRIM_400000_NS6detail17trampoline_kernelINS0_14default_configENS1_20scan_config_selectorIiEEZZNS1_9scan_implILNS1_25lookback_scan_determinismE0ELb1ELb1ES3_N6thrust23THRUST_200600_302600_NS6detail15normal_iteratorINS9_10device_ptrIjEEEENSB_INSC_IiEEEEiNS9_4plusIvEEiEEDaPvRmT3_T4_T5_mT6_P12ihipStream_tbENKUlT_T0_E_clISt17integral_constantIbLb1EESV_IbLb0EEEEDaSR_SS_EUlSR_E_NS1_11comp_targetILNS1_3genE3ELNS1_11target_archE908ELNS1_3gpuE7ELNS1_3repE0EEENS1_30default_config_static_selectorELNS0_4arch9wavefront6targetE1EEEvT1_,comdat
	.protected	_ZN7rocprim17ROCPRIM_400000_NS6detail17trampoline_kernelINS0_14default_configENS1_20scan_config_selectorIiEEZZNS1_9scan_implILNS1_25lookback_scan_determinismE0ELb1ELb1ES3_N6thrust23THRUST_200600_302600_NS6detail15normal_iteratorINS9_10device_ptrIjEEEENSB_INSC_IiEEEEiNS9_4plusIvEEiEEDaPvRmT3_T4_T5_mT6_P12ihipStream_tbENKUlT_T0_E_clISt17integral_constantIbLb1EESV_IbLb0EEEEDaSR_SS_EUlSR_E_NS1_11comp_targetILNS1_3genE3ELNS1_11target_archE908ELNS1_3gpuE7ELNS1_3repE0EEENS1_30default_config_static_selectorELNS0_4arch9wavefront6targetE1EEEvT1_ ; -- Begin function _ZN7rocprim17ROCPRIM_400000_NS6detail17trampoline_kernelINS0_14default_configENS1_20scan_config_selectorIiEEZZNS1_9scan_implILNS1_25lookback_scan_determinismE0ELb1ELb1ES3_N6thrust23THRUST_200600_302600_NS6detail15normal_iteratorINS9_10device_ptrIjEEEENSB_INSC_IiEEEEiNS9_4plusIvEEiEEDaPvRmT3_T4_T5_mT6_P12ihipStream_tbENKUlT_T0_E_clISt17integral_constantIbLb1EESV_IbLb0EEEEDaSR_SS_EUlSR_E_NS1_11comp_targetILNS1_3genE3ELNS1_11target_archE908ELNS1_3gpuE7ELNS1_3repE0EEENS1_30default_config_static_selectorELNS0_4arch9wavefront6targetE1EEEvT1_
	.globl	_ZN7rocprim17ROCPRIM_400000_NS6detail17trampoline_kernelINS0_14default_configENS1_20scan_config_selectorIiEEZZNS1_9scan_implILNS1_25lookback_scan_determinismE0ELb1ELb1ES3_N6thrust23THRUST_200600_302600_NS6detail15normal_iteratorINS9_10device_ptrIjEEEENSB_INSC_IiEEEEiNS9_4plusIvEEiEEDaPvRmT3_T4_T5_mT6_P12ihipStream_tbENKUlT_T0_E_clISt17integral_constantIbLb1EESV_IbLb0EEEEDaSR_SS_EUlSR_E_NS1_11comp_targetILNS1_3genE3ELNS1_11target_archE908ELNS1_3gpuE7ELNS1_3repE0EEENS1_30default_config_static_selectorELNS0_4arch9wavefront6targetE1EEEvT1_
	.p2align	8
	.type	_ZN7rocprim17ROCPRIM_400000_NS6detail17trampoline_kernelINS0_14default_configENS1_20scan_config_selectorIiEEZZNS1_9scan_implILNS1_25lookback_scan_determinismE0ELb1ELb1ES3_N6thrust23THRUST_200600_302600_NS6detail15normal_iteratorINS9_10device_ptrIjEEEENSB_INSC_IiEEEEiNS9_4plusIvEEiEEDaPvRmT3_T4_T5_mT6_P12ihipStream_tbENKUlT_T0_E_clISt17integral_constantIbLb1EESV_IbLb0EEEEDaSR_SS_EUlSR_E_NS1_11comp_targetILNS1_3genE3ELNS1_11target_archE908ELNS1_3gpuE7ELNS1_3repE0EEENS1_30default_config_static_selectorELNS0_4arch9wavefront6targetE1EEEvT1_,@function
_ZN7rocprim17ROCPRIM_400000_NS6detail17trampoline_kernelINS0_14default_configENS1_20scan_config_selectorIiEEZZNS1_9scan_implILNS1_25lookback_scan_determinismE0ELb1ELb1ES3_N6thrust23THRUST_200600_302600_NS6detail15normal_iteratorINS9_10device_ptrIjEEEENSB_INSC_IiEEEEiNS9_4plusIvEEiEEDaPvRmT3_T4_T5_mT6_P12ihipStream_tbENKUlT_T0_E_clISt17integral_constantIbLb1EESV_IbLb0EEEEDaSR_SS_EUlSR_E_NS1_11comp_targetILNS1_3genE3ELNS1_11target_archE908ELNS1_3gpuE7ELNS1_3repE0EEENS1_30default_config_static_selectorELNS0_4arch9wavefront6targetE1EEEvT1_: ; @_ZN7rocprim17ROCPRIM_400000_NS6detail17trampoline_kernelINS0_14default_configENS1_20scan_config_selectorIiEEZZNS1_9scan_implILNS1_25lookback_scan_determinismE0ELb1ELb1ES3_N6thrust23THRUST_200600_302600_NS6detail15normal_iteratorINS9_10device_ptrIjEEEENSB_INSC_IiEEEEiNS9_4plusIvEEiEEDaPvRmT3_T4_T5_mT6_P12ihipStream_tbENKUlT_T0_E_clISt17integral_constantIbLb1EESV_IbLb0EEEEDaSR_SS_EUlSR_E_NS1_11comp_targetILNS1_3genE3ELNS1_11target_archE908ELNS1_3gpuE7ELNS1_3repE0EEENS1_30default_config_static_selectorELNS0_4arch9wavefront6targetE1EEEvT1_
; %bb.0:
	.section	.rodata,"a",@progbits
	.p2align	6, 0x0
	.amdhsa_kernel _ZN7rocprim17ROCPRIM_400000_NS6detail17trampoline_kernelINS0_14default_configENS1_20scan_config_selectorIiEEZZNS1_9scan_implILNS1_25lookback_scan_determinismE0ELb1ELb1ES3_N6thrust23THRUST_200600_302600_NS6detail15normal_iteratorINS9_10device_ptrIjEEEENSB_INSC_IiEEEEiNS9_4plusIvEEiEEDaPvRmT3_T4_T5_mT6_P12ihipStream_tbENKUlT_T0_E_clISt17integral_constantIbLb1EESV_IbLb0EEEEDaSR_SS_EUlSR_E_NS1_11comp_targetILNS1_3genE3ELNS1_11target_archE908ELNS1_3gpuE7ELNS1_3repE0EEENS1_30default_config_static_selectorELNS0_4arch9wavefront6targetE1EEEvT1_
		.amdhsa_group_segment_fixed_size 0
		.amdhsa_private_segment_fixed_size 0
		.amdhsa_kernarg_size 96
		.amdhsa_user_sgpr_count 6
		.amdhsa_user_sgpr_private_segment_buffer 1
		.amdhsa_user_sgpr_dispatch_ptr 0
		.amdhsa_user_sgpr_queue_ptr 0
		.amdhsa_user_sgpr_kernarg_segment_ptr 1
		.amdhsa_user_sgpr_dispatch_id 0
		.amdhsa_user_sgpr_flat_scratch_init 0
		.amdhsa_user_sgpr_kernarg_preload_length 0
		.amdhsa_user_sgpr_kernarg_preload_offset 0
		.amdhsa_user_sgpr_private_segment_size 0
		.amdhsa_uses_dynamic_stack 0
		.amdhsa_system_sgpr_private_segment_wavefront_offset 0
		.amdhsa_system_sgpr_workgroup_id_x 1
		.amdhsa_system_sgpr_workgroup_id_y 0
		.amdhsa_system_sgpr_workgroup_id_z 0
		.amdhsa_system_sgpr_workgroup_info 0
		.amdhsa_system_vgpr_workitem_id 0
		.amdhsa_next_free_vgpr 1
		.amdhsa_next_free_sgpr 0
		.amdhsa_accum_offset 4
		.amdhsa_reserve_vcc 0
		.amdhsa_reserve_flat_scratch 0
		.amdhsa_float_round_mode_32 0
		.amdhsa_float_round_mode_16_64 0
		.amdhsa_float_denorm_mode_32 3
		.amdhsa_float_denorm_mode_16_64 3
		.amdhsa_dx10_clamp 1
		.amdhsa_ieee_mode 1
		.amdhsa_fp16_overflow 0
		.amdhsa_tg_split 0
		.amdhsa_exception_fp_ieee_invalid_op 0
		.amdhsa_exception_fp_denorm_src 0
		.amdhsa_exception_fp_ieee_div_zero 0
		.amdhsa_exception_fp_ieee_overflow 0
		.amdhsa_exception_fp_ieee_underflow 0
		.amdhsa_exception_fp_ieee_inexact 0
		.amdhsa_exception_int_div_zero 0
	.end_amdhsa_kernel
	.section	.text._ZN7rocprim17ROCPRIM_400000_NS6detail17trampoline_kernelINS0_14default_configENS1_20scan_config_selectorIiEEZZNS1_9scan_implILNS1_25lookback_scan_determinismE0ELb1ELb1ES3_N6thrust23THRUST_200600_302600_NS6detail15normal_iteratorINS9_10device_ptrIjEEEENSB_INSC_IiEEEEiNS9_4plusIvEEiEEDaPvRmT3_T4_T5_mT6_P12ihipStream_tbENKUlT_T0_E_clISt17integral_constantIbLb1EESV_IbLb0EEEEDaSR_SS_EUlSR_E_NS1_11comp_targetILNS1_3genE3ELNS1_11target_archE908ELNS1_3gpuE7ELNS1_3repE0EEENS1_30default_config_static_selectorELNS0_4arch9wavefront6targetE1EEEvT1_,"axG",@progbits,_ZN7rocprim17ROCPRIM_400000_NS6detail17trampoline_kernelINS0_14default_configENS1_20scan_config_selectorIiEEZZNS1_9scan_implILNS1_25lookback_scan_determinismE0ELb1ELb1ES3_N6thrust23THRUST_200600_302600_NS6detail15normal_iteratorINS9_10device_ptrIjEEEENSB_INSC_IiEEEEiNS9_4plusIvEEiEEDaPvRmT3_T4_T5_mT6_P12ihipStream_tbENKUlT_T0_E_clISt17integral_constantIbLb1EESV_IbLb0EEEEDaSR_SS_EUlSR_E_NS1_11comp_targetILNS1_3genE3ELNS1_11target_archE908ELNS1_3gpuE7ELNS1_3repE0EEENS1_30default_config_static_selectorELNS0_4arch9wavefront6targetE1EEEvT1_,comdat
.Lfunc_end6271:
	.size	_ZN7rocprim17ROCPRIM_400000_NS6detail17trampoline_kernelINS0_14default_configENS1_20scan_config_selectorIiEEZZNS1_9scan_implILNS1_25lookback_scan_determinismE0ELb1ELb1ES3_N6thrust23THRUST_200600_302600_NS6detail15normal_iteratorINS9_10device_ptrIjEEEENSB_INSC_IiEEEEiNS9_4plusIvEEiEEDaPvRmT3_T4_T5_mT6_P12ihipStream_tbENKUlT_T0_E_clISt17integral_constantIbLb1EESV_IbLb0EEEEDaSR_SS_EUlSR_E_NS1_11comp_targetILNS1_3genE3ELNS1_11target_archE908ELNS1_3gpuE7ELNS1_3repE0EEENS1_30default_config_static_selectorELNS0_4arch9wavefront6targetE1EEEvT1_, .Lfunc_end6271-_ZN7rocprim17ROCPRIM_400000_NS6detail17trampoline_kernelINS0_14default_configENS1_20scan_config_selectorIiEEZZNS1_9scan_implILNS1_25lookback_scan_determinismE0ELb1ELb1ES3_N6thrust23THRUST_200600_302600_NS6detail15normal_iteratorINS9_10device_ptrIjEEEENSB_INSC_IiEEEEiNS9_4plusIvEEiEEDaPvRmT3_T4_T5_mT6_P12ihipStream_tbENKUlT_T0_E_clISt17integral_constantIbLb1EESV_IbLb0EEEEDaSR_SS_EUlSR_E_NS1_11comp_targetILNS1_3genE3ELNS1_11target_archE908ELNS1_3gpuE7ELNS1_3repE0EEENS1_30default_config_static_selectorELNS0_4arch9wavefront6targetE1EEEvT1_
                                        ; -- End function
	.section	.AMDGPU.csdata,"",@progbits
; Kernel info:
; codeLenInByte = 0
; NumSgprs: 4
; NumVgprs: 0
; NumAgprs: 0
; TotalNumVgprs: 0
; ScratchSize: 0
; MemoryBound: 0
; FloatMode: 240
; IeeeMode: 1
; LDSByteSize: 0 bytes/workgroup (compile time only)
; SGPRBlocks: 0
; VGPRBlocks: 0
; NumSGPRsForWavesPerEU: 4
; NumVGPRsForWavesPerEU: 1
; AccumOffset: 4
; Occupancy: 8
; WaveLimiterHint : 0
; COMPUTE_PGM_RSRC2:SCRATCH_EN: 0
; COMPUTE_PGM_RSRC2:USER_SGPR: 6
; COMPUTE_PGM_RSRC2:TRAP_HANDLER: 0
; COMPUTE_PGM_RSRC2:TGID_X_EN: 1
; COMPUTE_PGM_RSRC2:TGID_Y_EN: 0
; COMPUTE_PGM_RSRC2:TGID_Z_EN: 0
; COMPUTE_PGM_RSRC2:TIDIG_COMP_CNT: 0
; COMPUTE_PGM_RSRC3_GFX90A:ACCUM_OFFSET: 0
; COMPUTE_PGM_RSRC3_GFX90A:TG_SPLIT: 0
	.section	.text._ZN7rocprim17ROCPRIM_400000_NS6detail17trampoline_kernelINS0_14default_configENS1_20scan_config_selectorIiEEZZNS1_9scan_implILNS1_25lookback_scan_determinismE0ELb1ELb1ES3_N6thrust23THRUST_200600_302600_NS6detail15normal_iteratorINS9_10device_ptrIjEEEENSB_INSC_IiEEEEiNS9_4plusIvEEiEEDaPvRmT3_T4_T5_mT6_P12ihipStream_tbENKUlT_T0_E_clISt17integral_constantIbLb1EESV_IbLb0EEEEDaSR_SS_EUlSR_E_NS1_11comp_targetILNS1_3genE2ELNS1_11target_archE906ELNS1_3gpuE6ELNS1_3repE0EEENS1_30default_config_static_selectorELNS0_4arch9wavefront6targetE1EEEvT1_,"axG",@progbits,_ZN7rocprim17ROCPRIM_400000_NS6detail17trampoline_kernelINS0_14default_configENS1_20scan_config_selectorIiEEZZNS1_9scan_implILNS1_25lookback_scan_determinismE0ELb1ELb1ES3_N6thrust23THRUST_200600_302600_NS6detail15normal_iteratorINS9_10device_ptrIjEEEENSB_INSC_IiEEEEiNS9_4plusIvEEiEEDaPvRmT3_T4_T5_mT6_P12ihipStream_tbENKUlT_T0_E_clISt17integral_constantIbLb1EESV_IbLb0EEEEDaSR_SS_EUlSR_E_NS1_11comp_targetILNS1_3genE2ELNS1_11target_archE906ELNS1_3gpuE6ELNS1_3repE0EEENS1_30default_config_static_selectorELNS0_4arch9wavefront6targetE1EEEvT1_,comdat
	.protected	_ZN7rocprim17ROCPRIM_400000_NS6detail17trampoline_kernelINS0_14default_configENS1_20scan_config_selectorIiEEZZNS1_9scan_implILNS1_25lookback_scan_determinismE0ELb1ELb1ES3_N6thrust23THRUST_200600_302600_NS6detail15normal_iteratorINS9_10device_ptrIjEEEENSB_INSC_IiEEEEiNS9_4plusIvEEiEEDaPvRmT3_T4_T5_mT6_P12ihipStream_tbENKUlT_T0_E_clISt17integral_constantIbLb1EESV_IbLb0EEEEDaSR_SS_EUlSR_E_NS1_11comp_targetILNS1_3genE2ELNS1_11target_archE906ELNS1_3gpuE6ELNS1_3repE0EEENS1_30default_config_static_selectorELNS0_4arch9wavefront6targetE1EEEvT1_ ; -- Begin function _ZN7rocprim17ROCPRIM_400000_NS6detail17trampoline_kernelINS0_14default_configENS1_20scan_config_selectorIiEEZZNS1_9scan_implILNS1_25lookback_scan_determinismE0ELb1ELb1ES3_N6thrust23THRUST_200600_302600_NS6detail15normal_iteratorINS9_10device_ptrIjEEEENSB_INSC_IiEEEEiNS9_4plusIvEEiEEDaPvRmT3_T4_T5_mT6_P12ihipStream_tbENKUlT_T0_E_clISt17integral_constantIbLb1EESV_IbLb0EEEEDaSR_SS_EUlSR_E_NS1_11comp_targetILNS1_3genE2ELNS1_11target_archE906ELNS1_3gpuE6ELNS1_3repE0EEENS1_30default_config_static_selectorELNS0_4arch9wavefront6targetE1EEEvT1_
	.globl	_ZN7rocprim17ROCPRIM_400000_NS6detail17trampoline_kernelINS0_14default_configENS1_20scan_config_selectorIiEEZZNS1_9scan_implILNS1_25lookback_scan_determinismE0ELb1ELb1ES3_N6thrust23THRUST_200600_302600_NS6detail15normal_iteratorINS9_10device_ptrIjEEEENSB_INSC_IiEEEEiNS9_4plusIvEEiEEDaPvRmT3_T4_T5_mT6_P12ihipStream_tbENKUlT_T0_E_clISt17integral_constantIbLb1EESV_IbLb0EEEEDaSR_SS_EUlSR_E_NS1_11comp_targetILNS1_3genE2ELNS1_11target_archE906ELNS1_3gpuE6ELNS1_3repE0EEENS1_30default_config_static_selectorELNS0_4arch9wavefront6targetE1EEEvT1_
	.p2align	8
	.type	_ZN7rocprim17ROCPRIM_400000_NS6detail17trampoline_kernelINS0_14default_configENS1_20scan_config_selectorIiEEZZNS1_9scan_implILNS1_25lookback_scan_determinismE0ELb1ELb1ES3_N6thrust23THRUST_200600_302600_NS6detail15normal_iteratorINS9_10device_ptrIjEEEENSB_INSC_IiEEEEiNS9_4plusIvEEiEEDaPvRmT3_T4_T5_mT6_P12ihipStream_tbENKUlT_T0_E_clISt17integral_constantIbLb1EESV_IbLb0EEEEDaSR_SS_EUlSR_E_NS1_11comp_targetILNS1_3genE2ELNS1_11target_archE906ELNS1_3gpuE6ELNS1_3repE0EEENS1_30default_config_static_selectorELNS0_4arch9wavefront6targetE1EEEvT1_,@function
_ZN7rocprim17ROCPRIM_400000_NS6detail17trampoline_kernelINS0_14default_configENS1_20scan_config_selectorIiEEZZNS1_9scan_implILNS1_25lookback_scan_determinismE0ELb1ELb1ES3_N6thrust23THRUST_200600_302600_NS6detail15normal_iteratorINS9_10device_ptrIjEEEENSB_INSC_IiEEEEiNS9_4plusIvEEiEEDaPvRmT3_T4_T5_mT6_P12ihipStream_tbENKUlT_T0_E_clISt17integral_constantIbLb1EESV_IbLb0EEEEDaSR_SS_EUlSR_E_NS1_11comp_targetILNS1_3genE2ELNS1_11target_archE906ELNS1_3gpuE6ELNS1_3repE0EEENS1_30default_config_static_selectorELNS0_4arch9wavefront6targetE1EEEvT1_: ; @_ZN7rocprim17ROCPRIM_400000_NS6detail17trampoline_kernelINS0_14default_configENS1_20scan_config_selectorIiEEZZNS1_9scan_implILNS1_25lookback_scan_determinismE0ELb1ELb1ES3_N6thrust23THRUST_200600_302600_NS6detail15normal_iteratorINS9_10device_ptrIjEEEENSB_INSC_IiEEEEiNS9_4plusIvEEiEEDaPvRmT3_T4_T5_mT6_P12ihipStream_tbENKUlT_T0_E_clISt17integral_constantIbLb1EESV_IbLb0EEEEDaSR_SS_EUlSR_E_NS1_11comp_targetILNS1_3genE2ELNS1_11target_archE906ELNS1_3gpuE6ELNS1_3repE0EEENS1_30default_config_static_selectorELNS0_4arch9wavefront6targetE1EEEvT1_
; %bb.0:
	.section	.rodata,"a",@progbits
	.p2align	6, 0x0
	.amdhsa_kernel _ZN7rocprim17ROCPRIM_400000_NS6detail17trampoline_kernelINS0_14default_configENS1_20scan_config_selectorIiEEZZNS1_9scan_implILNS1_25lookback_scan_determinismE0ELb1ELb1ES3_N6thrust23THRUST_200600_302600_NS6detail15normal_iteratorINS9_10device_ptrIjEEEENSB_INSC_IiEEEEiNS9_4plusIvEEiEEDaPvRmT3_T4_T5_mT6_P12ihipStream_tbENKUlT_T0_E_clISt17integral_constantIbLb1EESV_IbLb0EEEEDaSR_SS_EUlSR_E_NS1_11comp_targetILNS1_3genE2ELNS1_11target_archE906ELNS1_3gpuE6ELNS1_3repE0EEENS1_30default_config_static_selectorELNS0_4arch9wavefront6targetE1EEEvT1_
		.amdhsa_group_segment_fixed_size 0
		.amdhsa_private_segment_fixed_size 0
		.amdhsa_kernarg_size 96
		.amdhsa_user_sgpr_count 6
		.amdhsa_user_sgpr_private_segment_buffer 1
		.amdhsa_user_sgpr_dispatch_ptr 0
		.amdhsa_user_sgpr_queue_ptr 0
		.amdhsa_user_sgpr_kernarg_segment_ptr 1
		.amdhsa_user_sgpr_dispatch_id 0
		.amdhsa_user_sgpr_flat_scratch_init 0
		.amdhsa_user_sgpr_kernarg_preload_length 0
		.amdhsa_user_sgpr_kernarg_preload_offset 0
		.amdhsa_user_sgpr_private_segment_size 0
		.amdhsa_uses_dynamic_stack 0
		.amdhsa_system_sgpr_private_segment_wavefront_offset 0
		.amdhsa_system_sgpr_workgroup_id_x 1
		.amdhsa_system_sgpr_workgroup_id_y 0
		.amdhsa_system_sgpr_workgroup_id_z 0
		.amdhsa_system_sgpr_workgroup_info 0
		.amdhsa_system_vgpr_workitem_id 0
		.amdhsa_next_free_vgpr 1
		.amdhsa_next_free_sgpr 0
		.amdhsa_accum_offset 4
		.amdhsa_reserve_vcc 0
		.amdhsa_reserve_flat_scratch 0
		.amdhsa_float_round_mode_32 0
		.amdhsa_float_round_mode_16_64 0
		.amdhsa_float_denorm_mode_32 3
		.amdhsa_float_denorm_mode_16_64 3
		.amdhsa_dx10_clamp 1
		.amdhsa_ieee_mode 1
		.amdhsa_fp16_overflow 0
		.amdhsa_tg_split 0
		.amdhsa_exception_fp_ieee_invalid_op 0
		.amdhsa_exception_fp_denorm_src 0
		.amdhsa_exception_fp_ieee_div_zero 0
		.amdhsa_exception_fp_ieee_overflow 0
		.amdhsa_exception_fp_ieee_underflow 0
		.amdhsa_exception_fp_ieee_inexact 0
		.amdhsa_exception_int_div_zero 0
	.end_amdhsa_kernel
	.section	.text._ZN7rocprim17ROCPRIM_400000_NS6detail17trampoline_kernelINS0_14default_configENS1_20scan_config_selectorIiEEZZNS1_9scan_implILNS1_25lookback_scan_determinismE0ELb1ELb1ES3_N6thrust23THRUST_200600_302600_NS6detail15normal_iteratorINS9_10device_ptrIjEEEENSB_INSC_IiEEEEiNS9_4plusIvEEiEEDaPvRmT3_T4_T5_mT6_P12ihipStream_tbENKUlT_T0_E_clISt17integral_constantIbLb1EESV_IbLb0EEEEDaSR_SS_EUlSR_E_NS1_11comp_targetILNS1_3genE2ELNS1_11target_archE906ELNS1_3gpuE6ELNS1_3repE0EEENS1_30default_config_static_selectorELNS0_4arch9wavefront6targetE1EEEvT1_,"axG",@progbits,_ZN7rocprim17ROCPRIM_400000_NS6detail17trampoline_kernelINS0_14default_configENS1_20scan_config_selectorIiEEZZNS1_9scan_implILNS1_25lookback_scan_determinismE0ELb1ELb1ES3_N6thrust23THRUST_200600_302600_NS6detail15normal_iteratorINS9_10device_ptrIjEEEENSB_INSC_IiEEEEiNS9_4plusIvEEiEEDaPvRmT3_T4_T5_mT6_P12ihipStream_tbENKUlT_T0_E_clISt17integral_constantIbLb1EESV_IbLb0EEEEDaSR_SS_EUlSR_E_NS1_11comp_targetILNS1_3genE2ELNS1_11target_archE906ELNS1_3gpuE6ELNS1_3repE0EEENS1_30default_config_static_selectorELNS0_4arch9wavefront6targetE1EEEvT1_,comdat
.Lfunc_end6272:
	.size	_ZN7rocprim17ROCPRIM_400000_NS6detail17trampoline_kernelINS0_14default_configENS1_20scan_config_selectorIiEEZZNS1_9scan_implILNS1_25lookback_scan_determinismE0ELb1ELb1ES3_N6thrust23THRUST_200600_302600_NS6detail15normal_iteratorINS9_10device_ptrIjEEEENSB_INSC_IiEEEEiNS9_4plusIvEEiEEDaPvRmT3_T4_T5_mT6_P12ihipStream_tbENKUlT_T0_E_clISt17integral_constantIbLb1EESV_IbLb0EEEEDaSR_SS_EUlSR_E_NS1_11comp_targetILNS1_3genE2ELNS1_11target_archE906ELNS1_3gpuE6ELNS1_3repE0EEENS1_30default_config_static_selectorELNS0_4arch9wavefront6targetE1EEEvT1_, .Lfunc_end6272-_ZN7rocprim17ROCPRIM_400000_NS6detail17trampoline_kernelINS0_14default_configENS1_20scan_config_selectorIiEEZZNS1_9scan_implILNS1_25lookback_scan_determinismE0ELb1ELb1ES3_N6thrust23THRUST_200600_302600_NS6detail15normal_iteratorINS9_10device_ptrIjEEEENSB_INSC_IiEEEEiNS9_4plusIvEEiEEDaPvRmT3_T4_T5_mT6_P12ihipStream_tbENKUlT_T0_E_clISt17integral_constantIbLb1EESV_IbLb0EEEEDaSR_SS_EUlSR_E_NS1_11comp_targetILNS1_3genE2ELNS1_11target_archE906ELNS1_3gpuE6ELNS1_3repE0EEENS1_30default_config_static_selectorELNS0_4arch9wavefront6targetE1EEEvT1_
                                        ; -- End function
	.section	.AMDGPU.csdata,"",@progbits
; Kernel info:
; codeLenInByte = 0
; NumSgprs: 4
; NumVgprs: 0
; NumAgprs: 0
; TotalNumVgprs: 0
; ScratchSize: 0
; MemoryBound: 0
; FloatMode: 240
; IeeeMode: 1
; LDSByteSize: 0 bytes/workgroup (compile time only)
; SGPRBlocks: 0
; VGPRBlocks: 0
; NumSGPRsForWavesPerEU: 4
; NumVGPRsForWavesPerEU: 1
; AccumOffset: 4
; Occupancy: 8
; WaveLimiterHint : 0
; COMPUTE_PGM_RSRC2:SCRATCH_EN: 0
; COMPUTE_PGM_RSRC2:USER_SGPR: 6
; COMPUTE_PGM_RSRC2:TRAP_HANDLER: 0
; COMPUTE_PGM_RSRC2:TGID_X_EN: 1
; COMPUTE_PGM_RSRC2:TGID_Y_EN: 0
; COMPUTE_PGM_RSRC2:TGID_Z_EN: 0
; COMPUTE_PGM_RSRC2:TIDIG_COMP_CNT: 0
; COMPUTE_PGM_RSRC3_GFX90A:ACCUM_OFFSET: 0
; COMPUTE_PGM_RSRC3_GFX90A:TG_SPLIT: 0
	.section	.text._ZN7rocprim17ROCPRIM_400000_NS6detail17trampoline_kernelINS0_14default_configENS1_20scan_config_selectorIiEEZZNS1_9scan_implILNS1_25lookback_scan_determinismE0ELb1ELb1ES3_N6thrust23THRUST_200600_302600_NS6detail15normal_iteratorINS9_10device_ptrIjEEEENSB_INSC_IiEEEEiNS9_4plusIvEEiEEDaPvRmT3_T4_T5_mT6_P12ihipStream_tbENKUlT_T0_E_clISt17integral_constantIbLb1EESV_IbLb0EEEEDaSR_SS_EUlSR_E_NS1_11comp_targetILNS1_3genE10ELNS1_11target_archE1201ELNS1_3gpuE5ELNS1_3repE0EEENS1_30default_config_static_selectorELNS0_4arch9wavefront6targetE1EEEvT1_,"axG",@progbits,_ZN7rocprim17ROCPRIM_400000_NS6detail17trampoline_kernelINS0_14default_configENS1_20scan_config_selectorIiEEZZNS1_9scan_implILNS1_25lookback_scan_determinismE0ELb1ELb1ES3_N6thrust23THRUST_200600_302600_NS6detail15normal_iteratorINS9_10device_ptrIjEEEENSB_INSC_IiEEEEiNS9_4plusIvEEiEEDaPvRmT3_T4_T5_mT6_P12ihipStream_tbENKUlT_T0_E_clISt17integral_constantIbLb1EESV_IbLb0EEEEDaSR_SS_EUlSR_E_NS1_11comp_targetILNS1_3genE10ELNS1_11target_archE1201ELNS1_3gpuE5ELNS1_3repE0EEENS1_30default_config_static_selectorELNS0_4arch9wavefront6targetE1EEEvT1_,comdat
	.protected	_ZN7rocprim17ROCPRIM_400000_NS6detail17trampoline_kernelINS0_14default_configENS1_20scan_config_selectorIiEEZZNS1_9scan_implILNS1_25lookback_scan_determinismE0ELb1ELb1ES3_N6thrust23THRUST_200600_302600_NS6detail15normal_iteratorINS9_10device_ptrIjEEEENSB_INSC_IiEEEEiNS9_4plusIvEEiEEDaPvRmT3_T4_T5_mT6_P12ihipStream_tbENKUlT_T0_E_clISt17integral_constantIbLb1EESV_IbLb0EEEEDaSR_SS_EUlSR_E_NS1_11comp_targetILNS1_3genE10ELNS1_11target_archE1201ELNS1_3gpuE5ELNS1_3repE0EEENS1_30default_config_static_selectorELNS0_4arch9wavefront6targetE1EEEvT1_ ; -- Begin function _ZN7rocprim17ROCPRIM_400000_NS6detail17trampoline_kernelINS0_14default_configENS1_20scan_config_selectorIiEEZZNS1_9scan_implILNS1_25lookback_scan_determinismE0ELb1ELb1ES3_N6thrust23THRUST_200600_302600_NS6detail15normal_iteratorINS9_10device_ptrIjEEEENSB_INSC_IiEEEEiNS9_4plusIvEEiEEDaPvRmT3_T4_T5_mT6_P12ihipStream_tbENKUlT_T0_E_clISt17integral_constantIbLb1EESV_IbLb0EEEEDaSR_SS_EUlSR_E_NS1_11comp_targetILNS1_3genE10ELNS1_11target_archE1201ELNS1_3gpuE5ELNS1_3repE0EEENS1_30default_config_static_selectorELNS0_4arch9wavefront6targetE1EEEvT1_
	.globl	_ZN7rocprim17ROCPRIM_400000_NS6detail17trampoline_kernelINS0_14default_configENS1_20scan_config_selectorIiEEZZNS1_9scan_implILNS1_25lookback_scan_determinismE0ELb1ELb1ES3_N6thrust23THRUST_200600_302600_NS6detail15normal_iteratorINS9_10device_ptrIjEEEENSB_INSC_IiEEEEiNS9_4plusIvEEiEEDaPvRmT3_T4_T5_mT6_P12ihipStream_tbENKUlT_T0_E_clISt17integral_constantIbLb1EESV_IbLb0EEEEDaSR_SS_EUlSR_E_NS1_11comp_targetILNS1_3genE10ELNS1_11target_archE1201ELNS1_3gpuE5ELNS1_3repE0EEENS1_30default_config_static_selectorELNS0_4arch9wavefront6targetE1EEEvT1_
	.p2align	8
	.type	_ZN7rocprim17ROCPRIM_400000_NS6detail17trampoline_kernelINS0_14default_configENS1_20scan_config_selectorIiEEZZNS1_9scan_implILNS1_25lookback_scan_determinismE0ELb1ELb1ES3_N6thrust23THRUST_200600_302600_NS6detail15normal_iteratorINS9_10device_ptrIjEEEENSB_INSC_IiEEEEiNS9_4plusIvEEiEEDaPvRmT3_T4_T5_mT6_P12ihipStream_tbENKUlT_T0_E_clISt17integral_constantIbLb1EESV_IbLb0EEEEDaSR_SS_EUlSR_E_NS1_11comp_targetILNS1_3genE10ELNS1_11target_archE1201ELNS1_3gpuE5ELNS1_3repE0EEENS1_30default_config_static_selectorELNS0_4arch9wavefront6targetE1EEEvT1_,@function
_ZN7rocprim17ROCPRIM_400000_NS6detail17trampoline_kernelINS0_14default_configENS1_20scan_config_selectorIiEEZZNS1_9scan_implILNS1_25lookback_scan_determinismE0ELb1ELb1ES3_N6thrust23THRUST_200600_302600_NS6detail15normal_iteratorINS9_10device_ptrIjEEEENSB_INSC_IiEEEEiNS9_4plusIvEEiEEDaPvRmT3_T4_T5_mT6_P12ihipStream_tbENKUlT_T0_E_clISt17integral_constantIbLb1EESV_IbLb0EEEEDaSR_SS_EUlSR_E_NS1_11comp_targetILNS1_3genE10ELNS1_11target_archE1201ELNS1_3gpuE5ELNS1_3repE0EEENS1_30default_config_static_selectorELNS0_4arch9wavefront6targetE1EEEvT1_: ; @_ZN7rocprim17ROCPRIM_400000_NS6detail17trampoline_kernelINS0_14default_configENS1_20scan_config_selectorIiEEZZNS1_9scan_implILNS1_25lookback_scan_determinismE0ELb1ELb1ES3_N6thrust23THRUST_200600_302600_NS6detail15normal_iteratorINS9_10device_ptrIjEEEENSB_INSC_IiEEEEiNS9_4plusIvEEiEEDaPvRmT3_T4_T5_mT6_P12ihipStream_tbENKUlT_T0_E_clISt17integral_constantIbLb1EESV_IbLb0EEEEDaSR_SS_EUlSR_E_NS1_11comp_targetILNS1_3genE10ELNS1_11target_archE1201ELNS1_3gpuE5ELNS1_3repE0EEENS1_30default_config_static_selectorELNS0_4arch9wavefront6targetE1EEEvT1_
; %bb.0:
	.section	.rodata,"a",@progbits
	.p2align	6, 0x0
	.amdhsa_kernel _ZN7rocprim17ROCPRIM_400000_NS6detail17trampoline_kernelINS0_14default_configENS1_20scan_config_selectorIiEEZZNS1_9scan_implILNS1_25lookback_scan_determinismE0ELb1ELb1ES3_N6thrust23THRUST_200600_302600_NS6detail15normal_iteratorINS9_10device_ptrIjEEEENSB_INSC_IiEEEEiNS9_4plusIvEEiEEDaPvRmT3_T4_T5_mT6_P12ihipStream_tbENKUlT_T0_E_clISt17integral_constantIbLb1EESV_IbLb0EEEEDaSR_SS_EUlSR_E_NS1_11comp_targetILNS1_3genE10ELNS1_11target_archE1201ELNS1_3gpuE5ELNS1_3repE0EEENS1_30default_config_static_selectorELNS0_4arch9wavefront6targetE1EEEvT1_
		.amdhsa_group_segment_fixed_size 0
		.amdhsa_private_segment_fixed_size 0
		.amdhsa_kernarg_size 96
		.amdhsa_user_sgpr_count 6
		.amdhsa_user_sgpr_private_segment_buffer 1
		.amdhsa_user_sgpr_dispatch_ptr 0
		.amdhsa_user_sgpr_queue_ptr 0
		.amdhsa_user_sgpr_kernarg_segment_ptr 1
		.amdhsa_user_sgpr_dispatch_id 0
		.amdhsa_user_sgpr_flat_scratch_init 0
		.amdhsa_user_sgpr_kernarg_preload_length 0
		.amdhsa_user_sgpr_kernarg_preload_offset 0
		.amdhsa_user_sgpr_private_segment_size 0
		.amdhsa_uses_dynamic_stack 0
		.amdhsa_system_sgpr_private_segment_wavefront_offset 0
		.amdhsa_system_sgpr_workgroup_id_x 1
		.amdhsa_system_sgpr_workgroup_id_y 0
		.amdhsa_system_sgpr_workgroup_id_z 0
		.amdhsa_system_sgpr_workgroup_info 0
		.amdhsa_system_vgpr_workitem_id 0
		.amdhsa_next_free_vgpr 1
		.amdhsa_next_free_sgpr 0
		.amdhsa_accum_offset 4
		.amdhsa_reserve_vcc 0
		.amdhsa_reserve_flat_scratch 0
		.amdhsa_float_round_mode_32 0
		.amdhsa_float_round_mode_16_64 0
		.amdhsa_float_denorm_mode_32 3
		.amdhsa_float_denorm_mode_16_64 3
		.amdhsa_dx10_clamp 1
		.amdhsa_ieee_mode 1
		.amdhsa_fp16_overflow 0
		.amdhsa_tg_split 0
		.amdhsa_exception_fp_ieee_invalid_op 0
		.amdhsa_exception_fp_denorm_src 0
		.amdhsa_exception_fp_ieee_div_zero 0
		.amdhsa_exception_fp_ieee_overflow 0
		.amdhsa_exception_fp_ieee_underflow 0
		.amdhsa_exception_fp_ieee_inexact 0
		.amdhsa_exception_int_div_zero 0
	.end_amdhsa_kernel
	.section	.text._ZN7rocprim17ROCPRIM_400000_NS6detail17trampoline_kernelINS0_14default_configENS1_20scan_config_selectorIiEEZZNS1_9scan_implILNS1_25lookback_scan_determinismE0ELb1ELb1ES3_N6thrust23THRUST_200600_302600_NS6detail15normal_iteratorINS9_10device_ptrIjEEEENSB_INSC_IiEEEEiNS9_4plusIvEEiEEDaPvRmT3_T4_T5_mT6_P12ihipStream_tbENKUlT_T0_E_clISt17integral_constantIbLb1EESV_IbLb0EEEEDaSR_SS_EUlSR_E_NS1_11comp_targetILNS1_3genE10ELNS1_11target_archE1201ELNS1_3gpuE5ELNS1_3repE0EEENS1_30default_config_static_selectorELNS0_4arch9wavefront6targetE1EEEvT1_,"axG",@progbits,_ZN7rocprim17ROCPRIM_400000_NS6detail17trampoline_kernelINS0_14default_configENS1_20scan_config_selectorIiEEZZNS1_9scan_implILNS1_25lookback_scan_determinismE0ELb1ELb1ES3_N6thrust23THRUST_200600_302600_NS6detail15normal_iteratorINS9_10device_ptrIjEEEENSB_INSC_IiEEEEiNS9_4plusIvEEiEEDaPvRmT3_T4_T5_mT6_P12ihipStream_tbENKUlT_T0_E_clISt17integral_constantIbLb1EESV_IbLb0EEEEDaSR_SS_EUlSR_E_NS1_11comp_targetILNS1_3genE10ELNS1_11target_archE1201ELNS1_3gpuE5ELNS1_3repE0EEENS1_30default_config_static_selectorELNS0_4arch9wavefront6targetE1EEEvT1_,comdat
.Lfunc_end6273:
	.size	_ZN7rocprim17ROCPRIM_400000_NS6detail17trampoline_kernelINS0_14default_configENS1_20scan_config_selectorIiEEZZNS1_9scan_implILNS1_25lookback_scan_determinismE0ELb1ELb1ES3_N6thrust23THRUST_200600_302600_NS6detail15normal_iteratorINS9_10device_ptrIjEEEENSB_INSC_IiEEEEiNS9_4plusIvEEiEEDaPvRmT3_T4_T5_mT6_P12ihipStream_tbENKUlT_T0_E_clISt17integral_constantIbLb1EESV_IbLb0EEEEDaSR_SS_EUlSR_E_NS1_11comp_targetILNS1_3genE10ELNS1_11target_archE1201ELNS1_3gpuE5ELNS1_3repE0EEENS1_30default_config_static_selectorELNS0_4arch9wavefront6targetE1EEEvT1_, .Lfunc_end6273-_ZN7rocprim17ROCPRIM_400000_NS6detail17trampoline_kernelINS0_14default_configENS1_20scan_config_selectorIiEEZZNS1_9scan_implILNS1_25lookback_scan_determinismE0ELb1ELb1ES3_N6thrust23THRUST_200600_302600_NS6detail15normal_iteratorINS9_10device_ptrIjEEEENSB_INSC_IiEEEEiNS9_4plusIvEEiEEDaPvRmT3_T4_T5_mT6_P12ihipStream_tbENKUlT_T0_E_clISt17integral_constantIbLb1EESV_IbLb0EEEEDaSR_SS_EUlSR_E_NS1_11comp_targetILNS1_3genE10ELNS1_11target_archE1201ELNS1_3gpuE5ELNS1_3repE0EEENS1_30default_config_static_selectorELNS0_4arch9wavefront6targetE1EEEvT1_
                                        ; -- End function
	.section	.AMDGPU.csdata,"",@progbits
; Kernel info:
; codeLenInByte = 0
; NumSgprs: 4
; NumVgprs: 0
; NumAgprs: 0
; TotalNumVgprs: 0
; ScratchSize: 0
; MemoryBound: 0
; FloatMode: 240
; IeeeMode: 1
; LDSByteSize: 0 bytes/workgroup (compile time only)
; SGPRBlocks: 0
; VGPRBlocks: 0
; NumSGPRsForWavesPerEU: 4
; NumVGPRsForWavesPerEU: 1
; AccumOffset: 4
; Occupancy: 8
; WaveLimiterHint : 0
; COMPUTE_PGM_RSRC2:SCRATCH_EN: 0
; COMPUTE_PGM_RSRC2:USER_SGPR: 6
; COMPUTE_PGM_RSRC2:TRAP_HANDLER: 0
; COMPUTE_PGM_RSRC2:TGID_X_EN: 1
; COMPUTE_PGM_RSRC2:TGID_Y_EN: 0
; COMPUTE_PGM_RSRC2:TGID_Z_EN: 0
; COMPUTE_PGM_RSRC2:TIDIG_COMP_CNT: 0
; COMPUTE_PGM_RSRC3_GFX90A:ACCUM_OFFSET: 0
; COMPUTE_PGM_RSRC3_GFX90A:TG_SPLIT: 0
	.section	.text._ZN7rocprim17ROCPRIM_400000_NS6detail17trampoline_kernelINS0_14default_configENS1_20scan_config_selectorIiEEZZNS1_9scan_implILNS1_25lookback_scan_determinismE0ELb1ELb1ES3_N6thrust23THRUST_200600_302600_NS6detail15normal_iteratorINS9_10device_ptrIjEEEENSB_INSC_IiEEEEiNS9_4plusIvEEiEEDaPvRmT3_T4_T5_mT6_P12ihipStream_tbENKUlT_T0_E_clISt17integral_constantIbLb1EESV_IbLb0EEEEDaSR_SS_EUlSR_E_NS1_11comp_targetILNS1_3genE10ELNS1_11target_archE1200ELNS1_3gpuE4ELNS1_3repE0EEENS1_30default_config_static_selectorELNS0_4arch9wavefront6targetE1EEEvT1_,"axG",@progbits,_ZN7rocprim17ROCPRIM_400000_NS6detail17trampoline_kernelINS0_14default_configENS1_20scan_config_selectorIiEEZZNS1_9scan_implILNS1_25lookback_scan_determinismE0ELb1ELb1ES3_N6thrust23THRUST_200600_302600_NS6detail15normal_iteratorINS9_10device_ptrIjEEEENSB_INSC_IiEEEEiNS9_4plusIvEEiEEDaPvRmT3_T4_T5_mT6_P12ihipStream_tbENKUlT_T0_E_clISt17integral_constantIbLb1EESV_IbLb0EEEEDaSR_SS_EUlSR_E_NS1_11comp_targetILNS1_3genE10ELNS1_11target_archE1200ELNS1_3gpuE4ELNS1_3repE0EEENS1_30default_config_static_selectorELNS0_4arch9wavefront6targetE1EEEvT1_,comdat
	.protected	_ZN7rocprim17ROCPRIM_400000_NS6detail17trampoline_kernelINS0_14default_configENS1_20scan_config_selectorIiEEZZNS1_9scan_implILNS1_25lookback_scan_determinismE0ELb1ELb1ES3_N6thrust23THRUST_200600_302600_NS6detail15normal_iteratorINS9_10device_ptrIjEEEENSB_INSC_IiEEEEiNS9_4plusIvEEiEEDaPvRmT3_T4_T5_mT6_P12ihipStream_tbENKUlT_T0_E_clISt17integral_constantIbLb1EESV_IbLb0EEEEDaSR_SS_EUlSR_E_NS1_11comp_targetILNS1_3genE10ELNS1_11target_archE1200ELNS1_3gpuE4ELNS1_3repE0EEENS1_30default_config_static_selectorELNS0_4arch9wavefront6targetE1EEEvT1_ ; -- Begin function _ZN7rocprim17ROCPRIM_400000_NS6detail17trampoline_kernelINS0_14default_configENS1_20scan_config_selectorIiEEZZNS1_9scan_implILNS1_25lookback_scan_determinismE0ELb1ELb1ES3_N6thrust23THRUST_200600_302600_NS6detail15normal_iteratorINS9_10device_ptrIjEEEENSB_INSC_IiEEEEiNS9_4plusIvEEiEEDaPvRmT3_T4_T5_mT6_P12ihipStream_tbENKUlT_T0_E_clISt17integral_constantIbLb1EESV_IbLb0EEEEDaSR_SS_EUlSR_E_NS1_11comp_targetILNS1_3genE10ELNS1_11target_archE1200ELNS1_3gpuE4ELNS1_3repE0EEENS1_30default_config_static_selectorELNS0_4arch9wavefront6targetE1EEEvT1_
	.globl	_ZN7rocprim17ROCPRIM_400000_NS6detail17trampoline_kernelINS0_14default_configENS1_20scan_config_selectorIiEEZZNS1_9scan_implILNS1_25lookback_scan_determinismE0ELb1ELb1ES3_N6thrust23THRUST_200600_302600_NS6detail15normal_iteratorINS9_10device_ptrIjEEEENSB_INSC_IiEEEEiNS9_4plusIvEEiEEDaPvRmT3_T4_T5_mT6_P12ihipStream_tbENKUlT_T0_E_clISt17integral_constantIbLb1EESV_IbLb0EEEEDaSR_SS_EUlSR_E_NS1_11comp_targetILNS1_3genE10ELNS1_11target_archE1200ELNS1_3gpuE4ELNS1_3repE0EEENS1_30default_config_static_selectorELNS0_4arch9wavefront6targetE1EEEvT1_
	.p2align	8
	.type	_ZN7rocprim17ROCPRIM_400000_NS6detail17trampoline_kernelINS0_14default_configENS1_20scan_config_selectorIiEEZZNS1_9scan_implILNS1_25lookback_scan_determinismE0ELb1ELb1ES3_N6thrust23THRUST_200600_302600_NS6detail15normal_iteratorINS9_10device_ptrIjEEEENSB_INSC_IiEEEEiNS9_4plusIvEEiEEDaPvRmT3_T4_T5_mT6_P12ihipStream_tbENKUlT_T0_E_clISt17integral_constantIbLb1EESV_IbLb0EEEEDaSR_SS_EUlSR_E_NS1_11comp_targetILNS1_3genE10ELNS1_11target_archE1200ELNS1_3gpuE4ELNS1_3repE0EEENS1_30default_config_static_selectorELNS0_4arch9wavefront6targetE1EEEvT1_,@function
_ZN7rocprim17ROCPRIM_400000_NS6detail17trampoline_kernelINS0_14default_configENS1_20scan_config_selectorIiEEZZNS1_9scan_implILNS1_25lookback_scan_determinismE0ELb1ELb1ES3_N6thrust23THRUST_200600_302600_NS6detail15normal_iteratorINS9_10device_ptrIjEEEENSB_INSC_IiEEEEiNS9_4plusIvEEiEEDaPvRmT3_T4_T5_mT6_P12ihipStream_tbENKUlT_T0_E_clISt17integral_constantIbLb1EESV_IbLb0EEEEDaSR_SS_EUlSR_E_NS1_11comp_targetILNS1_3genE10ELNS1_11target_archE1200ELNS1_3gpuE4ELNS1_3repE0EEENS1_30default_config_static_selectorELNS0_4arch9wavefront6targetE1EEEvT1_: ; @_ZN7rocprim17ROCPRIM_400000_NS6detail17trampoline_kernelINS0_14default_configENS1_20scan_config_selectorIiEEZZNS1_9scan_implILNS1_25lookback_scan_determinismE0ELb1ELb1ES3_N6thrust23THRUST_200600_302600_NS6detail15normal_iteratorINS9_10device_ptrIjEEEENSB_INSC_IiEEEEiNS9_4plusIvEEiEEDaPvRmT3_T4_T5_mT6_P12ihipStream_tbENKUlT_T0_E_clISt17integral_constantIbLb1EESV_IbLb0EEEEDaSR_SS_EUlSR_E_NS1_11comp_targetILNS1_3genE10ELNS1_11target_archE1200ELNS1_3gpuE4ELNS1_3repE0EEENS1_30default_config_static_selectorELNS0_4arch9wavefront6targetE1EEEvT1_
; %bb.0:
	.section	.rodata,"a",@progbits
	.p2align	6, 0x0
	.amdhsa_kernel _ZN7rocprim17ROCPRIM_400000_NS6detail17trampoline_kernelINS0_14default_configENS1_20scan_config_selectorIiEEZZNS1_9scan_implILNS1_25lookback_scan_determinismE0ELb1ELb1ES3_N6thrust23THRUST_200600_302600_NS6detail15normal_iteratorINS9_10device_ptrIjEEEENSB_INSC_IiEEEEiNS9_4plusIvEEiEEDaPvRmT3_T4_T5_mT6_P12ihipStream_tbENKUlT_T0_E_clISt17integral_constantIbLb1EESV_IbLb0EEEEDaSR_SS_EUlSR_E_NS1_11comp_targetILNS1_3genE10ELNS1_11target_archE1200ELNS1_3gpuE4ELNS1_3repE0EEENS1_30default_config_static_selectorELNS0_4arch9wavefront6targetE1EEEvT1_
		.amdhsa_group_segment_fixed_size 0
		.amdhsa_private_segment_fixed_size 0
		.amdhsa_kernarg_size 96
		.amdhsa_user_sgpr_count 6
		.amdhsa_user_sgpr_private_segment_buffer 1
		.amdhsa_user_sgpr_dispatch_ptr 0
		.amdhsa_user_sgpr_queue_ptr 0
		.amdhsa_user_sgpr_kernarg_segment_ptr 1
		.amdhsa_user_sgpr_dispatch_id 0
		.amdhsa_user_sgpr_flat_scratch_init 0
		.amdhsa_user_sgpr_kernarg_preload_length 0
		.amdhsa_user_sgpr_kernarg_preload_offset 0
		.amdhsa_user_sgpr_private_segment_size 0
		.amdhsa_uses_dynamic_stack 0
		.amdhsa_system_sgpr_private_segment_wavefront_offset 0
		.amdhsa_system_sgpr_workgroup_id_x 1
		.amdhsa_system_sgpr_workgroup_id_y 0
		.amdhsa_system_sgpr_workgroup_id_z 0
		.amdhsa_system_sgpr_workgroup_info 0
		.amdhsa_system_vgpr_workitem_id 0
		.amdhsa_next_free_vgpr 1
		.amdhsa_next_free_sgpr 0
		.amdhsa_accum_offset 4
		.amdhsa_reserve_vcc 0
		.amdhsa_reserve_flat_scratch 0
		.amdhsa_float_round_mode_32 0
		.amdhsa_float_round_mode_16_64 0
		.amdhsa_float_denorm_mode_32 3
		.amdhsa_float_denorm_mode_16_64 3
		.amdhsa_dx10_clamp 1
		.amdhsa_ieee_mode 1
		.amdhsa_fp16_overflow 0
		.amdhsa_tg_split 0
		.amdhsa_exception_fp_ieee_invalid_op 0
		.amdhsa_exception_fp_denorm_src 0
		.amdhsa_exception_fp_ieee_div_zero 0
		.amdhsa_exception_fp_ieee_overflow 0
		.amdhsa_exception_fp_ieee_underflow 0
		.amdhsa_exception_fp_ieee_inexact 0
		.amdhsa_exception_int_div_zero 0
	.end_amdhsa_kernel
	.section	.text._ZN7rocprim17ROCPRIM_400000_NS6detail17trampoline_kernelINS0_14default_configENS1_20scan_config_selectorIiEEZZNS1_9scan_implILNS1_25lookback_scan_determinismE0ELb1ELb1ES3_N6thrust23THRUST_200600_302600_NS6detail15normal_iteratorINS9_10device_ptrIjEEEENSB_INSC_IiEEEEiNS9_4plusIvEEiEEDaPvRmT3_T4_T5_mT6_P12ihipStream_tbENKUlT_T0_E_clISt17integral_constantIbLb1EESV_IbLb0EEEEDaSR_SS_EUlSR_E_NS1_11comp_targetILNS1_3genE10ELNS1_11target_archE1200ELNS1_3gpuE4ELNS1_3repE0EEENS1_30default_config_static_selectorELNS0_4arch9wavefront6targetE1EEEvT1_,"axG",@progbits,_ZN7rocprim17ROCPRIM_400000_NS6detail17trampoline_kernelINS0_14default_configENS1_20scan_config_selectorIiEEZZNS1_9scan_implILNS1_25lookback_scan_determinismE0ELb1ELb1ES3_N6thrust23THRUST_200600_302600_NS6detail15normal_iteratorINS9_10device_ptrIjEEEENSB_INSC_IiEEEEiNS9_4plusIvEEiEEDaPvRmT3_T4_T5_mT6_P12ihipStream_tbENKUlT_T0_E_clISt17integral_constantIbLb1EESV_IbLb0EEEEDaSR_SS_EUlSR_E_NS1_11comp_targetILNS1_3genE10ELNS1_11target_archE1200ELNS1_3gpuE4ELNS1_3repE0EEENS1_30default_config_static_selectorELNS0_4arch9wavefront6targetE1EEEvT1_,comdat
.Lfunc_end6274:
	.size	_ZN7rocprim17ROCPRIM_400000_NS6detail17trampoline_kernelINS0_14default_configENS1_20scan_config_selectorIiEEZZNS1_9scan_implILNS1_25lookback_scan_determinismE0ELb1ELb1ES3_N6thrust23THRUST_200600_302600_NS6detail15normal_iteratorINS9_10device_ptrIjEEEENSB_INSC_IiEEEEiNS9_4plusIvEEiEEDaPvRmT3_T4_T5_mT6_P12ihipStream_tbENKUlT_T0_E_clISt17integral_constantIbLb1EESV_IbLb0EEEEDaSR_SS_EUlSR_E_NS1_11comp_targetILNS1_3genE10ELNS1_11target_archE1200ELNS1_3gpuE4ELNS1_3repE0EEENS1_30default_config_static_selectorELNS0_4arch9wavefront6targetE1EEEvT1_, .Lfunc_end6274-_ZN7rocprim17ROCPRIM_400000_NS6detail17trampoline_kernelINS0_14default_configENS1_20scan_config_selectorIiEEZZNS1_9scan_implILNS1_25lookback_scan_determinismE0ELb1ELb1ES3_N6thrust23THRUST_200600_302600_NS6detail15normal_iteratorINS9_10device_ptrIjEEEENSB_INSC_IiEEEEiNS9_4plusIvEEiEEDaPvRmT3_T4_T5_mT6_P12ihipStream_tbENKUlT_T0_E_clISt17integral_constantIbLb1EESV_IbLb0EEEEDaSR_SS_EUlSR_E_NS1_11comp_targetILNS1_3genE10ELNS1_11target_archE1200ELNS1_3gpuE4ELNS1_3repE0EEENS1_30default_config_static_selectorELNS0_4arch9wavefront6targetE1EEEvT1_
                                        ; -- End function
	.section	.AMDGPU.csdata,"",@progbits
; Kernel info:
; codeLenInByte = 0
; NumSgprs: 4
; NumVgprs: 0
; NumAgprs: 0
; TotalNumVgprs: 0
; ScratchSize: 0
; MemoryBound: 0
; FloatMode: 240
; IeeeMode: 1
; LDSByteSize: 0 bytes/workgroup (compile time only)
; SGPRBlocks: 0
; VGPRBlocks: 0
; NumSGPRsForWavesPerEU: 4
; NumVGPRsForWavesPerEU: 1
; AccumOffset: 4
; Occupancy: 8
; WaveLimiterHint : 0
; COMPUTE_PGM_RSRC2:SCRATCH_EN: 0
; COMPUTE_PGM_RSRC2:USER_SGPR: 6
; COMPUTE_PGM_RSRC2:TRAP_HANDLER: 0
; COMPUTE_PGM_RSRC2:TGID_X_EN: 1
; COMPUTE_PGM_RSRC2:TGID_Y_EN: 0
; COMPUTE_PGM_RSRC2:TGID_Z_EN: 0
; COMPUTE_PGM_RSRC2:TIDIG_COMP_CNT: 0
; COMPUTE_PGM_RSRC3_GFX90A:ACCUM_OFFSET: 0
; COMPUTE_PGM_RSRC3_GFX90A:TG_SPLIT: 0
	.section	.text._ZN7rocprim17ROCPRIM_400000_NS6detail17trampoline_kernelINS0_14default_configENS1_20scan_config_selectorIiEEZZNS1_9scan_implILNS1_25lookback_scan_determinismE0ELb1ELb1ES3_N6thrust23THRUST_200600_302600_NS6detail15normal_iteratorINS9_10device_ptrIjEEEENSB_INSC_IiEEEEiNS9_4plusIvEEiEEDaPvRmT3_T4_T5_mT6_P12ihipStream_tbENKUlT_T0_E_clISt17integral_constantIbLb1EESV_IbLb0EEEEDaSR_SS_EUlSR_E_NS1_11comp_targetILNS1_3genE9ELNS1_11target_archE1100ELNS1_3gpuE3ELNS1_3repE0EEENS1_30default_config_static_selectorELNS0_4arch9wavefront6targetE1EEEvT1_,"axG",@progbits,_ZN7rocprim17ROCPRIM_400000_NS6detail17trampoline_kernelINS0_14default_configENS1_20scan_config_selectorIiEEZZNS1_9scan_implILNS1_25lookback_scan_determinismE0ELb1ELb1ES3_N6thrust23THRUST_200600_302600_NS6detail15normal_iteratorINS9_10device_ptrIjEEEENSB_INSC_IiEEEEiNS9_4plusIvEEiEEDaPvRmT3_T4_T5_mT6_P12ihipStream_tbENKUlT_T0_E_clISt17integral_constantIbLb1EESV_IbLb0EEEEDaSR_SS_EUlSR_E_NS1_11comp_targetILNS1_3genE9ELNS1_11target_archE1100ELNS1_3gpuE3ELNS1_3repE0EEENS1_30default_config_static_selectorELNS0_4arch9wavefront6targetE1EEEvT1_,comdat
	.protected	_ZN7rocprim17ROCPRIM_400000_NS6detail17trampoline_kernelINS0_14default_configENS1_20scan_config_selectorIiEEZZNS1_9scan_implILNS1_25lookback_scan_determinismE0ELb1ELb1ES3_N6thrust23THRUST_200600_302600_NS6detail15normal_iteratorINS9_10device_ptrIjEEEENSB_INSC_IiEEEEiNS9_4plusIvEEiEEDaPvRmT3_T4_T5_mT6_P12ihipStream_tbENKUlT_T0_E_clISt17integral_constantIbLb1EESV_IbLb0EEEEDaSR_SS_EUlSR_E_NS1_11comp_targetILNS1_3genE9ELNS1_11target_archE1100ELNS1_3gpuE3ELNS1_3repE0EEENS1_30default_config_static_selectorELNS0_4arch9wavefront6targetE1EEEvT1_ ; -- Begin function _ZN7rocprim17ROCPRIM_400000_NS6detail17trampoline_kernelINS0_14default_configENS1_20scan_config_selectorIiEEZZNS1_9scan_implILNS1_25lookback_scan_determinismE0ELb1ELb1ES3_N6thrust23THRUST_200600_302600_NS6detail15normal_iteratorINS9_10device_ptrIjEEEENSB_INSC_IiEEEEiNS9_4plusIvEEiEEDaPvRmT3_T4_T5_mT6_P12ihipStream_tbENKUlT_T0_E_clISt17integral_constantIbLb1EESV_IbLb0EEEEDaSR_SS_EUlSR_E_NS1_11comp_targetILNS1_3genE9ELNS1_11target_archE1100ELNS1_3gpuE3ELNS1_3repE0EEENS1_30default_config_static_selectorELNS0_4arch9wavefront6targetE1EEEvT1_
	.globl	_ZN7rocprim17ROCPRIM_400000_NS6detail17trampoline_kernelINS0_14default_configENS1_20scan_config_selectorIiEEZZNS1_9scan_implILNS1_25lookback_scan_determinismE0ELb1ELb1ES3_N6thrust23THRUST_200600_302600_NS6detail15normal_iteratorINS9_10device_ptrIjEEEENSB_INSC_IiEEEEiNS9_4plusIvEEiEEDaPvRmT3_T4_T5_mT6_P12ihipStream_tbENKUlT_T0_E_clISt17integral_constantIbLb1EESV_IbLb0EEEEDaSR_SS_EUlSR_E_NS1_11comp_targetILNS1_3genE9ELNS1_11target_archE1100ELNS1_3gpuE3ELNS1_3repE0EEENS1_30default_config_static_selectorELNS0_4arch9wavefront6targetE1EEEvT1_
	.p2align	8
	.type	_ZN7rocprim17ROCPRIM_400000_NS6detail17trampoline_kernelINS0_14default_configENS1_20scan_config_selectorIiEEZZNS1_9scan_implILNS1_25lookback_scan_determinismE0ELb1ELb1ES3_N6thrust23THRUST_200600_302600_NS6detail15normal_iteratorINS9_10device_ptrIjEEEENSB_INSC_IiEEEEiNS9_4plusIvEEiEEDaPvRmT3_T4_T5_mT6_P12ihipStream_tbENKUlT_T0_E_clISt17integral_constantIbLb1EESV_IbLb0EEEEDaSR_SS_EUlSR_E_NS1_11comp_targetILNS1_3genE9ELNS1_11target_archE1100ELNS1_3gpuE3ELNS1_3repE0EEENS1_30default_config_static_selectorELNS0_4arch9wavefront6targetE1EEEvT1_,@function
_ZN7rocprim17ROCPRIM_400000_NS6detail17trampoline_kernelINS0_14default_configENS1_20scan_config_selectorIiEEZZNS1_9scan_implILNS1_25lookback_scan_determinismE0ELb1ELb1ES3_N6thrust23THRUST_200600_302600_NS6detail15normal_iteratorINS9_10device_ptrIjEEEENSB_INSC_IiEEEEiNS9_4plusIvEEiEEDaPvRmT3_T4_T5_mT6_P12ihipStream_tbENKUlT_T0_E_clISt17integral_constantIbLb1EESV_IbLb0EEEEDaSR_SS_EUlSR_E_NS1_11comp_targetILNS1_3genE9ELNS1_11target_archE1100ELNS1_3gpuE3ELNS1_3repE0EEENS1_30default_config_static_selectorELNS0_4arch9wavefront6targetE1EEEvT1_: ; @_ZN7rocprim17ROCPRIM_400000_NS6detail17trampoline_kernelINS0_14default_configENS1_20scan_config_selectorIiEEZZNS1_9scan_implILNS1_25lookback_scan_determinismE0ELb1ELb1ES3_N6thrust23THRUST_200600_302600_NS6detail15normal_iteratorINS9_10device_ptrIjEEEENSB_INSC_IiEEEEiNS9_4plusIvEEiEEDaPvRmT3_T4_T5_mT6_P12ihipStream_tbENKUlT_T0_E_clISt17integral_constantIbLb1EESV_IbLb0EEEEDaSR_SS_EUlSR_E_NS1_11comp_targetILNS1_3genE9ELNS1_11target_archE1100ELNS1_3gpuE3ELNS1_3repE0EEENS1_30default_config_static_selectorELNS0_4arch9wavefront6targetE1EEEvT1_
; %bb.0:
	.section	.rodata,"a",@progbits
	.p2align	6, 0x0
	.amdhsa_kernel _ZN7rocprim17ROCPRIM_400000_NS6detail17trampoline_kernelINS0_14default_configENS1_20scan_config_selectorIiEEZZNS1_9scan_implILNS1_25lookback_scan_determinismE0ELb1ELb1ES3_N6thrust23THRUST_200600_302600_NS6detail15normal_iteratorINS9_10device_ptrIjEEEENSB_INSC_IiEEEEiNS9_4plusIvEEiEEDaPvRmT3_T4_T5_mT6_P12ihipStream_tbENKUlT_T0_E_clISt17integral_constantIbLb1EESV_IbLb0EEEEDaSR_SS_EUlSR_E_NS1_11comp_targetILNS1_3genE9ELNS1_11target_archE1100ELNS1_3gpuE3ELNS1_3repE0EEENS1_30default_config_static_selectorELNS0_4arch9wavefront6targetE1EEEvT1_
		.amdhsa_group_segment_fixed_size 0
		.amdhsa_private_segment_fixed_size 0
		.amdhsa_kernarg_size 96
		.amdhsa_user_sgpr_count 6
		.amdhsa_user_sgpr_private_segment_buffer 1
		.amdhsa_user_sgpr_dispatch_ptr 0
		.amdhsa_user_sgpr_queue_ptr 0
		.amdhsa_user_sgpr_kernarg_segment_ptr 1
		.amdhsa_user_sgpr_dispatch_id 0
		.amdhsa_user_sgpr_flat_scratch_init 0
		.amdhsa_user_sgpr_kernarg_preload_length 0
		.amdhsa_user_sgpr_kernarg_preload_offset 0
		.amdhsa_user_sgpr_private_segment_size 0
		.amdhsa_uses_dynamic_stack 0
		.amdhsa_system_sgpr_private_segment_wavefront_offset 0
		.amdhsa_system_sgpr_workgroup_id_x 1
		.amdhsa_system_sgpr_workgroup_id_y 0
		.amdhsa_system_sgpr_workgroup_id_z 0
		.amdhsa_system_sgpr_workgroup_info 0
		.amdhsa_system_vgpr_workitem_id 0
		.amdhsa_next_free_vgpr 1
		.amdhsa_next_free_sgpr 0
		.amdhsa_accum_offset 4
		.amdhsa_reserve_vcc 0
		.amdhsa_reserve_flat_scratch 0
		.amdhsa_float_round_mode_32 0
		.amdhsa_float_round_mode_16_64 0
		.amdhsa_float_denorm_mode_32 3
		.amdhsa_float_denorm_mode_16_64 3
		.amdhsa_dx10_clamp 1
		.amdhsa_ieee_mode 1
		.amdhsa_fp16_overflow 0
		.amdhsa_tg_split 0
		.amdhsa_exception_fp_ieee_invalid_op 0
		.amdhsa_exception_fp_denorm_src 0
		.amdhsa_exception_fp_ieee_div_zero 0
		.amdhsa_exception_fp_ieee_overflow 0
		.amdhsa_exception_fp_ieee_underflow 0
		.amdhsa_exception_fp_ieee_inexact 0
		.amdhsa_exception_int_div_zero 0
	.end_amdhsa_kernel
	.section	.text._ZN7rocprim17ROCPRIM_400000_NS6detail17trampoline_kernelINS0_14default_configENS1_20scan_config_selectorIiEEZZNS1_9scan_implILNS1_25lookback_scan_determinismE0ELb1ELb1ES3_N6thrust23THRUST_200600_302600_NS6detail15normal_iteratorINS9_10device_ptrIjEEEENSB_INSC_IiEEEEiNS9_4plusIvEEiEEDaPvRmT3_T4_T5_mT6_P12ihipStream_tbENKUlT_T0_E_clISt17integral_constantIbLb1EESV_IbLb0EEEEDaSR_SS_EUlSR_E_NS1_11comp_targetILNS1_3genE9ELNS1_11target_archE1100ELNS1_3gpuE3ELNS1_3repE0EEENS1_30default_config_static_selectorELNS0_4arch9wavefront6targetE1EEEvT1_,"axG",@progbits,_ZN7rocprim17ROCPRIM_400000_NS6detail17trampoline_kernelINS0_14default_configENS1_20scan_config_selectorIiEEZZNS1_9scan_implILNS1_25lookback_scan_determinismE0ELb1ELb1ES3_N6thrust23THRUST_200600_302600_NS6detail15normal_iteratorINS9_10device_ptrIjEEEENSB_INSC_IiEEEEiNS9_4plusIvEEiEEDaPvRmT3_T4_T5_mT6_P12ihipStream_tbENKUlT_T0_E_clISt17integral_constantIbLb1EESV_IbLb0EEEEDaSR_SS_EUlSR_E_NS1_11comp_targetILNS1_3genE9ELNS1_11target_archE1100ELNS1_3gpuE3ELNS1_3repE0EEENS1_30default_config_static_selectorELNS0_4arch9wavefront6targetE1EEEvT1_,comdat
.Lfunc_end6275:
	.size	_ZN7rocprim17ROCPRIM_400000_NS6detail17trampoline_kernelINS0_14default_configENS1_20scan_config_selectorIiEEZZNS1_9scan_implILNS1_25lookback_scan_determinismE0ELb1ELb1ES3_N6thrust23THRUST_200600_302600_NS6detail15normal_iteratorINS9_10device_ptrIjEEEENSB_INSC_IiEEEEiNS9_4plusIvEEiEEDaPvRmT3_T4_T5_mT6_P12ihipStream_tbENKUlT_T0_E_clISt17integral_constantIbLb1EESV_IbLb0EEEEDaSR_SS_EUlSR_E_NS1_11comp_targetILNS1_3genE9ELNS1_11target_archE1100ELNS1_3gpuE3ELNS1_3repE0EEENS1_30default_config_static_selectorELNS0_4arch9wavefront6targetE1EEEvT1_, .Lfunc_end6275-_ZN7rocprim17ROCPRIM_400000_NS6detail17trampoline_kernelINS0_14default_configENS1_20scan_config_selectorIiEEZZNS1_9scan_implILNS1_25lookback_scan_determinismE0ELb1ELb1ES3_N6thrust23THRUST_200600_302600_NS6detail15normal_iteratorINS9_10device_ptrIjEEEENSB_INSC_IiEEEEiNS9_4plusIvEEiEEDaPvRmT3_T4_T5_mT6_P12ihipStream_tbENKUlT_T0_E_clISt17integral_constantIbLb1EESV_IbLb0EEEEDaSR_SS_EUlSR_E_NS1_11comp_targetILNS1_3genE9ELNS1_11target_archE1100ELNS1_3gpuE3ELNS1_3repE0EEENS1_30default_config_static_selectorELNS0_4arch9wavefront6targetE1EEEvT1_
                                        ; -- End function
	.section	.AMDGPU.csdata,"",@progbits
; Kernel info:
; codeLenInByte = 0
; NumSgprs: 4
; NumVgprs: 0
; NumAgprs: 0
; TotalNumVgprs: 0
; ScratchSize: 0
; MemoryBound: 0
; FloatMode: 240
; IeeeMode: 1
; LDSByteSize: 0 bytes/workgroup (compile time only)
; SGPRBlocks: 0
; VGPRBlocks: 0
; NumSGPRsForWavesPerEU: 4
; NumVGPRsForWavesPerEU: 1
; AccumOffset: 4
; Occupancy: 8
; WaveLimiterHint : 0
; COMPUTE_PGM_RSRC2:SCRATCH_EN: 0
; COMPUTE_PGM_RSRC2:USER_SGPR: 6
; COMPUTE_PGM_RSRC2:TRAP_HANDLER: 0
; COMPUTE_PGM_RSRC2:TGID_X_EN: 1
; COMPUTE_PGM_RSRC2:TGID_Y_EN: 0
; COMPUTE_PGM_RSRC2:TGID_Z_EN: 0
; COMPUTE_PGM_RSRC2:TIDIG_COMP_CNT: 0
; COMPUTE_PGM_RSRC3_GFX90A:ACCUM_OFFSET: 0
; COMPUTE_PGM_RSRC3_GFX90A:TG_SPLIT: 0
	.section	.text._ZN7rocprim17ROCPRIM_400000_NS6detail17trampoline_kernelINS0_14default_configENS1_20scan_config_selectorIiEEZZNS1_9scan_implILNS1_25lookback_scan_determinismE0ELb1ELb1ES3_N6thrust23THRUST_200600_302600_NS6detail15normal_iteratorINS9_10device_ptrIjEEEENSB_INSC_IiEEEEiNS9_4plusIvEEiEEDaPvRmT3_T4_T5_mT6_P12ihipStream_tbENKUlT_T0_E_clISt17integral_constantIbLb1EESV_IbLb0EEEEDaSR_SS_EUlSR_E_NS1_11comp_targetILNS1_3genE8ELNS1_11target_archE1030ELNS1_3gpuE2ELNS1_3repE0EEENS1_30default_config_static_selectorELNS0_4arch9wavefront6targetE1EEEvT1_,"axG",@progbits,_ZN7rocprim17ROCPRIM_400000_NS6detail17trampoline_kernelINS0_14default_configENS1_20scan_config_selectorIiEEZZNS1_9scan_implILNS1_25lookback_scan_determinismE0ELb1ELb1ES3_N6thrust23THRUST_200600_302600_NS6detail15normal_iteratorINS9_10device_ptrIjEEEENSB_INSC_IiEEEEiNS9_4plusIvEEiEEDaPvRmT3_T4_T5_mT6_P12ihipStream_tbENKUlT_T0_E_clISt17integral_constantIbLb1EESV_IbLb0EEEEDaSR_SS_EUlSR_E_NS1_11comp_targetILNS1_3genE8ELNS1_11target_archE1030ELNS1_3gpuE2ELNS1_3repE0EEENS1_30default_config_static_selectorELNS0_4arch9wavefront6targetE1EEEvT1_,comdat
	.protected	_ZN7rocprim17ROCPRIM_400000_NS6detail17trampoline_kernelINS0_14default_configENS1_20scan_config_selectorIiEEZZNS1_9scan_implILNS1_25lookback_scan_determinismE0ELb1ELb1ES3_N6thrust23THRUST_200600_302600_NS6detail15normal_iteratorINS9_10device_ptrIjEEEENSB_INSC_IiEEEEiNS9_4plusIvEEiEEDaPvRmT3_T4_T5_mT6_P12ihipStream_tbENKUlT_T0_E_clISt17integral_constantIbLb1EESV_IbLb0EEEEDaSR_SS_EUlSR_E_NS1_11comp_targetILNS1_3genE8ELNS1_11target_archE1030ELNS1_3gpuE2ELNS1_3repE0EEENS1_30default_config_static_selectorELNS0_4arch9wavefront6targetE1EEEvT1_ ; -- Begin function _ZN7rocprim17ROCPRIM_400000_NS6detail17trampoline_kernelINS0_14default_configENS1_20scan_config_selectorIiEEZZNS1_9scan_implILNS1_25lookback_scan_determinismE0ELb1ELb1ES3_N6thrust23THRUST_200600_302600_NS6detail15normal_iteratorINS9_10device_ptrIjEEEENSB_INSC_IiEEEEiNS9_4plusIvEEiEEDaPvRmT3_T4_T5_mT6_P12ihipStream_tbENKUlT_T0_E_clISt17integral_constantIbLb1EESV_IbLb0EEEEDaSR_SS_EUlSR_E_NS1_11comp_targetILNS1_3genE8ELNS1_11target_archE1030ELNS1_3gpuE2ELNS1_3repE0EEENS1_30default_config_static_selectorELNS0_4arch9wavefront6targetE1EEEvT1_
	.globl	_ZN7rocprim17ROCPRIM_400000_NS6detail17trampoline_kernelINS0_14default_configENS1_20scan_config_selectorIiEEZZNS1_9scan_implILNS1_25lookback_scan_determinismE0ELb1ELb1ES3_N6thrust23THRUST_200600_302600_NS6detail15normal_iteratorINS9_10device_ptrIjEEEENSB_INSC_IiEEEEiNS9_4plusIvEEiEEDaPvRmT3_T4_T5_mT6_P12ihipStream_tbENKUlT_T0_E_clISt17integral_constantIbLb1EESV_IbLb0EEEEDaSR_SS_EUlSR_E_NS1_11comp_targetILNS1_3genE8ELNS1_11target_archE1030ELNS1_3gpuE2ELNS1_3repE0EEENS1_30default_config_static_selectorELNS0_4arch9wavefront6targetE1EEEvT1_
	.p2align	8
	.type	_ZN7rocprim17ROCPRIM_400000_NS6detail17trampoline_kernelINS0_14default_configENS1_20scan_config_selectorIiEEZZNS1_9scan_implILNS1_25lookback_scan_determinismE0ELb1ELb1ES3_N6thrust23THRUST_200600_302600_NS6detail15normal_iteratorINS9_10device_ptrIjEEEENSB_INSC_IiEEEEiNS9_4plusIvEEiEEDaPvRmT3_T4_T5_mT6_P12ihipStream_tbENKUlT_T0_E_clISt17integral_constantIbLb1EESV_IbLb0EEEEDaSR_SS_EUlSR_E_NS1_11comp_targetILNS1_3genE8ELNS1_11target_archE1030ELNS1_3gpuE2ELNS1_3repE0EEENS1_30default_config_static_selectorELNS0_4arch9wavefront6targetE1EEEvT1_,@function
_ZN7rocprim17ROCPRIM_400000_NS6detail17trampoline_kernelINS0_14default_configENS1_20scan_config_selectorIiEEZZNS1_9scan_implILNS1_25lookback_scan_determinismE0ELb1ELb1ES3_N6thrust23THRUST_200600_302600_NS6detail15normal_iteratorINS9_10device_ptrIjEEEENSB_INSC_IiEEEEiNS9_4plusIvEEiEEDaPvRmT3_T4_T5_mT6_P12ihipStream_tbENKUlT_T0_E_clISt17integral_constantIbLb1EESV_IbLb0EEEEDaSR_SS_EUlSR_E_NS1_11comp_targetILNS1_3genE8ELNS1_11target_archE1030ELNS1_3gpuE2ELNS1_3repE0EEENS1_30default_config_static_selectorELNS0_4arch9wavefront6targetE1EEEvT1_: ; @_ZN7rocprim17ROCPRIM_400000_NS6detail17trampoline_kernelINS0_14default_configENS1_20scan_config_selectorIiEEZZNS1_9scan_implILNS1_25lookback_scan_determinismE0ELb1ELb1ES3_N6thrust23THRUST_200600_302600_NS6detail15normal_iteratorINS9_10device_ptrIjEEEENSB_INSC_IiEEEEiNS9_4plusIvEEiEEDaPvRmT3_T4_T5_mT6_P12ihipStream_tbENKUlT_T0_E_clISt17integral_constantIbLb1EESV_IbLb0EEEEDaSR_SS_EUlSR_E_NS1_11comp_targetILNS1_3genE8ELNS1_11target_archE1030ELNS1_3gpuE2ELNS1_3repE0EEENS1_30default_config_static_selectorELNS0_4arch9wavefront6targetE1EEEvT1_
; %bb.0:
	.section	.rodata,"a",@progbits
	.p2align	6, 0x0
	.amdhsa_kernel _ZN7rocprim17ROCPRIM_400000_NS6detail17trampoline_kernelINS0_14default_configENS1_20scan_config_selectorIiEEZZNS1_9scan_implILNS1_25lookback_scan_determinismE0ELb1ELb1ES3_N6thrust23THRUST_200600_302600_NS6detail15normal_iteratorINS9_10device_ptrIjEEEENSB_INSC_IiEEEEiNS9_4plusIvEEiEEDaPvRmT3_T4_T5_mT6_P12ihipStream_tbENKUlT_T0_E_clISt17integral_constantIbLb1EESV_IbLb0EEEEDaSR_SS_EUlSR_E_NS1_11comp_targetILNS1_3genE8ELNS1_11target_archE1030ELNS1_3gpuE2ELNS1_3repE0EEENS1_30default_config_static_selectorELNS0_4arch9wavefront6targetE1EEEvT1_
		.amdhsa_group_segment_fixed_size 0
		.amdhsa_private_segment_fixed_size 0
		.amdhsa_kernarg_size 96
		.amdhsa_user_sgpr_count 6
		.amdhsa_user_sgpr_private_segment_buffer 1
		.amdhsa_user_sgpr_dispatch_ptr 0
		.amdhsa_user_sgpr_queue_ptr 0
		.amdhsa_user_sgpr_kernarg_segment_ptr 1
		.amdhsa_user_sgpr_dispatch_id 0
		.amdhsa_user_sgpr_flat_scratch_init 0
		.amdhsa_user_sgpr_kernarg_preload_length 0
		.amdhsa_user_sgpr_kernarg_preload_offset 0
		.amdhsa_user_sgpr_private_segment_size 0
		.amdhsa_uses_dynamic_stack 0
		.amdhsa_system_sgpr_private_segment_wavefront_offset 0
		.amdhsa_system_sgpr_workgroup_id_x 1
		.amdhsa_system_sgpr_workgroup_id_y 0
		.amdhsa_system_sgpr_workgroup_id_z 0
		.amdhsa_system_sgpr_workgroup_info 0
		.amdhsa_system_vgpr_workitem_id 0
		.amdhsa_next_free_vgpr 1
		.amdhsa_next_free_sgpr 0
		.amdhsa_accum_offset 4
		.amdhsa_reserve_vcc 0
		.amdhsa_reserve_flat_scratch 0
		.amdhsa_float_round_mode_32 0
		.amdhsa_float_round_mode_16_64 0
		.amdhsa_float_denorm_mode_32 3
		.amdhsa_float_denorm_mode_16_64 3
		.amdhsa_dx10_clamp 1
		.amdhsa_ieee_mode 1
		.amdhsa_fp16_overflow 0
		.amdhsa_tg_split 0
		.amdhsa_exception_fp_ieee_invalid_op 0
		.amdhsa_exception_fp_denorm_src 0
		.amdhsa_exception_fp_ieee_div_zero 0
		.amdhsa_exception_fp_ieee_overflow 0
		.amdhsa_exception_fp_ieee_underflow 0
		.amdhsa_exception_fp_ieee_inexact 0
		.amdhsa_exception_int_div_zero 0
	.end_amdhsa_kernel
	.section	.text._ZN7rocprim17ROCPRIM_400000_NS6detail17trampoline_kernelINS0_14default_configENS1_20scan_config_selectorIiEEZZNS1_9scan_implILNS1_25lookback_scan_determinismE0ELb1ELb1ES3_N6thrust23THRUST_200600_302600_NS6detail15normal_iteratorINS9_10device_ptrIjEEEENSB_INSC_IiEEEEiNS9_4plusIvEEiEEDaPvRmT3_T4_T5_mT6_P12ihipStream_tbENKUlT_T0_E_clISt17integral_constantIbLb1EESV_IbLb0EEEEDaSR_SS_EUlSR_E_NS1_11comp_targetILNS1_3genE8ELNS1_11target_archE1030ELNS1_3gpuE2ELNS1_3repE0EEENS1_30default_config_static_selectorELNS0_4arch9wavefront6targetE1EEEvT1_,"axG",@progbits,_ZN7rocprim17ROCPRIM_400000_NS6detail17trampoline_kernelINS0_14default_configENS1_20scan_config_selectorIiEEZZNS1_9scan_implILNS1_25lookback_scan_determinismE0ELb1ELb1ES3_N6thrust23THRUST_200600_302600_NS6detail15normal_iteratorINS9_10device_ptrIjEEEENSB_INSC_IiEEEEiNS9_4plusIvEEiEEDaPvRmT3_T4_T5_mT6_P12ihipStream_tbENKUlT_T0_E_clISt17integral_constantIbLb1EESV_IbLb0EEEEDaSR_SS_EUlSR_E_NS1_11comp_targetILNS1_3genE8ELNS1_11target_archE1030ELNS1_3gpuE2ELNS1_3repE0EEENS1_30default_config_static_selectorELNS0_4arch9wavefront6targetE1EEEvT1_,comdat
.Lfunc_end6276:
	.size	_ZN7rocprim17ROCPRIM_400000_NS6detail17trampoline_kernelINS0_14default_configENS1_20scan_config_selectorIiEEZZNS1_9scan_implILNS1_25lookback_scan_determinismE0ELb1ELb1ES3_N6thrust23THRUST_200600_302600_NS6detail15normal_iteratorINS9_10device_ptrIjEEEENSB_INSC_IiEEEEiNS9_4plusIvEEiEEDaPvRmT3_T4_T5_mT6_P12ihipStream_tbENKUlT_T0_E_clISt17integral_constantIbLb1EESV_IbLb0EEEEDaSR_SS_EUlSR_E_NS1_11comp_targetILNS1_3genE8ELNS1_11target_archE1030ELNS1_3gpuE2ELNS1_3repE0EEENS1_30default_config_static_selectorELNS0_4arch9wavefront6targetE1EEEvT1_, .Lfunc_end6276-_ZN7rocprim17ROCPRIM_400000_NS6detail17trampoline_kernelINS0_14default_configENS1_20scan_config_selectorIiEEZZNS1_9scan_implILNS1_25lookback_scan_determinismE0ELb1ELb1ES3_N6thrust23THRUST_200600_302600_NS6detail15normal_iteratorINS9_10device_ptrIjEEEENSB_INSC_IiEEEEiNS9_4plusIvEEiEEDaPvRmT3_T4_T5_mT6_P12ihipStream_tbENKUlT_T0_E_clISt17integral_constantIbLb1EESV_IbLb0EEEEDaSR_SS_EUlSR_E_NS1_11comp_targetILNS1_3genE8ELNS1_11target_archE1030ELNS1_3gpuE2ELNS1_3repE0EEENS1_30default_config_static_selectorELNS0_4arch9wavefront6targetE1EEEvT1_
                                        ; -- End function
	.section	.AMDGPU.csdata,"",@progbits
; Kernel info:
; codeLenInByte = 0
; NumSgprs: 4
; NumVgprs: 0
; NumAgprs: 0
; TotalNumVgprs: 0
; ScratchSize: 0
; MemoryBound: 0
; FloatMode: 240
; IeeeMode: 1
; LDSByteSize: 0 bytes/workgroup (compile time only)
; SGPRBlocks: 0
; VGPRBlocks: 0
; NumSGPRsForWavesPerEU: 4
; NumVGPRsForWavesPerEU: 1
; AccumOffset: 4
; Occupancy: 8
; WaveLimiterHint : 0
; COMPUTE_PGM_RSRC2:SCRATCH_EN: 0
; COMPUTE_PGM_RSRC2:USER_SGPR: 6
; COMPUTE_PGM_RSRC2:TRAP_HANDLER: 0
; COMPUTE_PGM_RSRC2:TGID_X_EN: 1
; COMPUTE_PGM_RSRC2:TGID_Y_EN: 0
; COMPUTE_PGM_RSRC2:TGID_Z_EN: 0
; COMPUTE_PGM_RSRC2:TIDIG_COMP_CNT: 0
; COMPUTE_PGM_RSRC3_GFX90A:ACCUM_OFFSET: 0
; COMPUTE_PGM_RSRC3_GFX90A:TG_SPLIT: 0
	.section	.text._ZN7rocprim17ROCPRIM_400000_NS6detail17trampoline_kernelINS0_14default_configENS1_20scan_config_selectorIiEEZZNS1_9scan_implILNS1_25lookback_scan_determinismE0ELb1ELb1ES3_N6thrust23THRUST_200600_302600_NS6detail15normal_iteratorINS9_10device_ptrIjEEEENSB_INSC_IiEEEEiNS9_4plusIvEEiEEDaPvRmT3_T4_T5_mT6_P12ihipStream_tbENKUlT_T0_E_clISt17integral_constantIbLb1EESV_IbLb0EEEEDaSR_SS_EUlSR_E0_NS1_11comp_targetILNS1_3genE0ELNS1_11target_archE4294967295ELNS1_3gpuE0ELNS1_3repE0EEENS1_30default_config_static_selectorELNS0_4arch9wavefront6targetE1EEEvT1_,"axG",@progbits,_ZN7rocprim17ROCPRIM_400000_NS6detail17trampoline_kernelINS0_14default_configENS1_20scan_config_selectorIiEEZZNS1_9scan_implILNS1_25lookback_scan_determinismE0ELb1ELb1ES3_N6thrust23THRUST_200600_302600_NS6detail15normal_iteratorINS9_10device_ptrIjEEEENSB_INSC_IiEEEEiNS9_4plusIvEEiEEDaPvRmT3_T4_T5_mT6_P12ihipStream_tbENKUlT_T0_E_clISt17integral_constantIbLb1EESV_IbLb0EEEEDaSR_SS_EUlSR_E0_NS1_11comp_targetILNS1_3genE0ELNS1_11target_archE4294967295ELNS1_3gpuE0ELNS1_3repE0EEENS1_30default_config_static_selectorELNS0_4arch9wavefront6targetE1EEEvT1_,comdat
	.protected	_ZN7rocprim17ROCPRIM_400000_NS6detail17trampoline_kernelINS0_14default_configENS1_20scan_config_selectorIiEEZZNS1_9scan_implILNS1_25lookback_scan_determinismE0ELb1ELb1ES3_N6thrust23THRUST_200600_302600_NS6detail15normal_iteratorINS9_10device_ptrIjEEEENSB_INSC_IiEEEEiNS9_4plusIvEEiEEDaPvRmT3_T4_T5_mT6_P12ihipStream_tbENKUlT_T0_E_clISt17integral_constantIbLb1EESV_IbLb0EEEEDaSR_SS_EUlSR_E0_NS1_11comp_targetILNS1_3genE0ELNS1_11target_archE4294967295ELNS1_3gpuE0ELNS1_3repE0EEENS1_30default_config_static_selectorELNS0_4arch9wavefront6targetE1EEEvT1_ ; -- Begin function _ZN7rocprim17ROCPRIM_400000_NS6detail17trampoline_kernelINS0_14default_configENS1_20scan_config_selectorIiEEZZNS1_9scan_implILNS1_25lookback_scan_determinismE0ELb1ELb1ES3_N6thrust23THRUST_200600_302600_NS6detail15normal_iteratorINS9_10device_ptrIjEEEENSB_INSC_IiEEEEiNS9_4plusIvEEiEEDaPvRmT3_T4_T5_mT6_P12ihipStream_tbENKUlT_T0_E_clISt17integral_constantIbLb1EESV_IbLb0EEEEDaSR_SS_EUlSR_E0_NS1_11comp_targetILNS1_3genE0ELNS1_11target_archE4294967295ELNS1_3gpuE0ELNS1_3repE0EEENS1_30default_config_static_selectorELNS0_4arch9wavefront6targetE1EEEvT1_
	.globl	_ZN7rocprim17ROCPRIM_400000_NS6detail17trampoline_kernelINS0_14default_configENS1_20scan_config_selectorIiEEZZNS1_9scan_implILNS1_25lookback_scan_determinismE0ELb1ELb1ES3_N6thrust23THRUST_200600_302600_NS6detail15normal_iteratorINS9_10device_ptrIjEEEENSB_INSC_IiEEEEiNS9_4plusIvEEiEEDaPvRmT3_T4_T5_mT6_P12ihipStream_tbENKUlT_T0_E_clISt17integral_constantIbLb1EESV_IbLb0EEEEDaSR_SS_EUlSR_E0_NS1_11comp_targetILNS1_3genE0ELNS1_11target_archE4294967295ELNS1_3gpuE0ELNS1_3repE0EEENS1_30default_config_static_selectorELNS0_4arch9wavefront6targetE1EEEvT1_
	.p2align	8
	.type	_ZN7rocprim17ROCPRIM_400000_NS6detail17trampoline_kernelINS0_14default_configENS1_20scan_config_selectorIiEEZZNS1_9scan_implILNS1_25lookback_scan_determinismE0ELb1ELb1ES3_N6thrust23THRUST_200600_302600_NS6detail15normal_iteratorINS9_10device_ptrIjEEEENSB_INSC_IiEEEEiNS9_4plusIvEEiEEDaPvRmT3_T4_T5_mT6_P12ihipStream_tbENKUlT_T0_E_clISt17integral_constantIbLb1EESV_IbLb0EEEEDaSR_SS_EUlSR_E0_NS1_11comp_targetILNS1_3genE0ELNS1_11target_archE4294967295ELNS1_3gpuE0ELNS1_3repE0EEENS1_30default_config_static_selectorELNS0_4arch9wavefront6targetE1EEEvT1_,@function
_ZN7rocprim17ROCPRIM_400000_NS6detail17trampoline_kernelINS0_14default_configENS1_20scan_config_selectorIiEEZZNS1_9scan_implILNS1_25lookback_scan_determinismE0ELb1ELb1ES3_N6thrust23THRUST_200600_302600_NS6detail15normal_iteratorINS9_10device_ptrIjEEEENSB_INSC_IiEEEEiNS9_4plusIvEEiEEDaPvRmT3_T4_T5_mT6_P12ihipStream_tbENKUlT_T0_E_clISt17integral_constantIbLb1EESV_IbLb0EEEEDaSR_SS_EUlSR_E0_NS1_11comp_targetILNS1_3genE0ELNS1_11target_archE4294967295ELNS1_3gpuE0ELNS1_3repE0EEENS1_30default_config_static_selectorELNS0_4arch9wavefront6targetE1EEEvT1_: ; @_ZN7rocprim17ROCPRIM_400000_NS6detail17trampoline_kernelINS0_14default_configENS1_20scan_config_selectorIiEEZZNS1_9scan_implILNS1_25lookback_scan_determinismE0ELb1ELb1ES3_N6thrust23THRUST_200600_302600_NS6detail15normal_iteratorINS9_10device_ptrIjEEEENSB_INSC_IiEEEEiNS9_4plusIvEEiEEDaPvRmT3_T4_T5_mT6_P12ihipStream_tbENKUlT_T0_E_clISt17integral_constantIbLb1EESV_IbLb0EEEEDaSR_SS_EUlSR_E0_NS1_11comp_targetILNS1_3genE0ELNS1_11target_archE4294967295ELNS1_3gpuE0ELNS1_3repE0EEENS1_30default_config_static_selectorELNS0_4arch9wavefront6targetE1EEEvT1_
; %bb.0:
	.section	.rodata,"a",@progbits
	.p2align	6, 0x0
	.amdhsa_kernel _ZN7rocprim17ROCPRIM_400000_NS6detail17trampoline_kernelINS0_14default_configENS1_20scan_config_selectorIiEEZZNS1_9scan_implILNS1_25lookback_scan_determinismE0ELb1ELb1ES3_N6thrust23THRUST_200600_302600_NS6detail15normal_iteratorINS9_10device_ptrIjEEEENSB_INSC_IiEEEEiNS9_4plusIvEEiEEDaPvRmT3_T4_T5_mT6_P12ihipStream_tbENKUlT_T0_E_clISt17integral_constantIbLb1EESV_IbLb0EEEEDaSR_SS_EUlSR_E0_NS1_11comp_targetILNS1_3genE0ELNS1_11target_archE4294967295ELNS1_3gpuE0ELNS1_3repE0EEENS1_30default_config_static_selectorELNS0_4arch9wavefront6targetE1EEEvT1_
		.amdhsa_group_segment_fixed_size 0
		.amdhsa_private_segment_fixed_size 0
		.amdhsa_kernarg_size 32
		.amdhsa_user_sgpr_count 6
		.amdhsa_user_sgpr_private_segment_buffer 1
		.amdhsa_user_sgpr_dispatch_ptr 0
		.amdhsa_user_sgpr_queue_ptr 0
		.amdhsa_user_sgpr_kernarg_segment_ptr 1
		.amdhsa_user_sgpr_dispatch_id 0
		.amdhsa_user_sgpr_flat_scratch_init 0
		.amdhsa_user_sgpr_kernarg_preload_length 0
		.amdhsa_user_sgpr_kernarg_preload_offset 0
		.amdhsa_user_sgpr_private_segment_size 0
		.amdhsa_uses_dynamic_stack 0
		.amdhsa_system_sgpr_private_segment_wavefront_offset 0
		.amdhsa_system_sgpr_workgroup_id_x 1
		.amdhsa_system_sgpr_workgroup_id_y 0
		.amdhsa_system_sgpr_workgroup_id_z 0
		.amdhsa_system_sgpr_workgroup_info 0
		.amdhsa_system_vgpr_workitem_id 0
		.amdhsa_next_free_vgpr 1
		.amdhsa_next_free_sgpr 0
		.amdhsa_accum_offset 4
		.amdhsa_reserve_vcc 0
		.amdhsa_reserve_flat_scratch 0
		.amdhsa_float_round_mode_32 0
		.amdhsa_float_round_mode_16_64 0
		.amdhsa_float_denorm_mode_32 3
		.amdhsa_float_denorm_mode_16_64 3
		.amdhsa_dx10_clamp 1
		.amdhsa_ieee_mode 1
		.amdhsa_fp16_overflow 0
		.amdhsa_tg_split 0
		.amdhsa_exception_fp_ieee_invalid_op 0
		.amdhsa_exception_fp_denorm_src 0
		.amdhsa_exception_fp_ieee_div_zero 0
		.amdhsa_exception_fp_ieee_overflow 0
		.amdhsa_exception_fp_ieee_underflow 0
		.amdhsa_exception_fp_ieee_inexact 0
		.amdhsa_exception_int_div_zero 0
	.end_amdhsa_kernel
	.section	.text._ZN7rocprim17ROCPRIM_400000_NS6detail17trampoline_kernelINS0_14default_configENS1_20scan_config_selectorIiEEZZNS1_9scan_implILNS1_25lookback_scan_determinismE0ELb1ELb1ES3_N6thrust23THRUST_200600_302600_NS6detail15normal_iteratorINS9_10device_ptrIjEEEENSB_INSC_IiEEEEiNS9_4plusIvEEiEEDaPvRmT3_T4_T5_mT6_P12ihipStream_tbENKUlT_T0_E_clISt17integral_constantIbLb1EESV_IbLb0EEEEDaSR_SS_EUlSR_E0_NS1_11comp_targetILNS1_3genE0ELNS1_11target_archE4294967295ELNS1_3gpuE0ELNS1_3repE0EEENS1_30default_config_static_selectorELNS0_4arch9wavefront6targetE1EEEvT1_,"axG",@progbits,_ZN7rocprim17ROCPRIM_400000_NS6detail17trampoline_kernelINS0_14default_configENS1_20scan_config_selectorIiEEZZNS1_9scan_implILNS1_25lookback_scan_determinismE0ELb1ELb1ES3_N6thrust23THRUST_200600_302600_NS6detail15normal_iteratorINS9_10device_ptrIjEEEENSB_INSC_IiEEEEiNS9_4plusIvEEiEEDaPvRmT3_T4_T5_mT6_P12ihipStream_tbENKUlT_T0_E_clISt17integral_constantIbLb1EESV_IbLb0EEEEDaSR_SS_EUlSR_E0_NS1_11comp_targetILNS1_3genE0ELNS1_11target_archE4294967295ELNS1_3gpuE0ELNS1_3repE0EEENS1_30default_config_static_selectorELNS0_4arch9wavefront6targetE1EEEvT1_,comdat
.Lfunc_end6277:
	.size	_ZN7rocprim17ROCPRIM_400000_NS6detail17trampoline_kernelINS0_14default_configENS1_20scan_config_selectorIiEEZZNS1_9scan_implILNS1_25lookback_scan_determinismE0ELb1ELb1ES3_N6thrust23THRUST_200600_302600_NS6detail15normal_iteratorINS9_10device_ptrIjEEEENSB_INSC_IiEEEEiNS9_4plusIvEEiEEDaPvRmT3_T4_T5_mT6_P12ihipStream_tbENKUlT_T0_E_clISt17integral_constantIbLb1EESV_IbLb0EEEEDaSR_SS_EUlSR_E0_NS1_11comp_targetILNS1_3genE0ELNS1_11target_archE4294967295ELNS1_3gpuE0ELNS1_3repE0EEENS1_30default_config_static_selectorELNS0_4arch9wavefront6targetE1EEEvT1_, .Lfunc_end6277-_ZN7rocprim17ROCPRIM_400000_NS6detail17trampoline_kernelINS0_14default_configENS1_20scan_config_selectorIiEEZZNS1_9scan_implILNS1_25lookback_scan_determinismE0ELb1ELb1ES3_N6thrust23THRUST_200600_302600_NS6detail15normal_iteratorINS9_10device_ptrIjEEEENSB_INSC_IiEEEEiNS9_4plusIvEEiEEDaPvRmT3_T4_T5_mT6_P12ihipStream_tbENKUlT_T0_E_clISt17integral_constantIbLb1EESV_IbLb0EEEEDaSR_SS_EUlSR_E0_NS1_11comp_targetILNS1_3genE0ELNS1_11target_archE4294967295ELNS1_3gpuE0ELNS1_3repE0EEENS1_30default_config_static_selectorELNS0_4arch9wavefront6targetE1EEEvT1_
                                        ; -- End function
	.section	.AMDGPU.csdata,"",@progbits
; Kernel info:
; codeLenInByte = 0
; NumSgprs: 4
; NumVgprs: 0
; NumAgprs: 0
; TotalNumVgprs: 0
; ScratchSize: 0
; MemoryBound: 0
; FloatMode: 240
; IeeeMode: 1
; LDSByteSize: 0 bytes/workgroup (compile time only)
; SGPRBlocks: 0
; VGPRBlocks: 0
; NumSGPRsForWavesPerEU: 4
; NumVGPRsForWavesPerEU: 1
; AccumOffset: 4
; Occupancy: 8
; WaveLimiterHint : 0
; COMPUTE_PGM_RSRC2:SCRATCH_EN: 0
; COMPUTE_PGM_RSRC2:USER_SGPR: 6
; COMPUTE_PGM_RSRC2:TRAP_HANDLER: 0
; COMPUTE_PGM_RSRC2:TGID_X_EN: 1
; COMPUTE_PGM_RSRC2:TGID_Y_EN: 0
; COMPUTE_PGM_RSRC2:TGID_Z_EN: 0
; COMPUTE_PGM_RSRC2:TIDIG_COMP_CNT: 0
; COMPUTE_PGM_RSRC3_GFX90A:ACCUM_OFFSET: 0
; COMPUTE_PGM_RSRC3_GFX90A:TG_SPLIT: 0
	.section	.text._ZN7rocprim17ROCPRIM_400000_NS6detail17trampoline_kernelINS0_14default_configENS1_20scan_config_selectorIiEEZZNS1_9scan_implILNS1_25lookback_scan_determinismE0ELb1ELb1ES3_N6thrust23THRUST_200600_302600_NS6detail15normal_iteratorINS9_10device_ptrIjEEEENSB_INSC_IiEEEEiNS9_4plusIvEEiEEDaPvRmT3_T4_T5_mT6_P12ihipStream_tbENKUlT_T0_E_clISt17integral_constantIbLb1EESV_IbLb0EEEEDaSR_SS_EUlSR_E0_NS1_11comp_targetILNS1_3genE5ELNS1_11target_archE942ELNS1_3gpuE9ELNS1_3repE0EEENS1_30default_config_static_selectorELNS0_4arch9wavefront6targetE1EEEvT1_,"axG",@progbits,_ZN7rocprim17ROCPRIM_400000_NS6detail17trampoline_kernelINS0_14default_configENS1_20scan_config_selectorIiEEZZNS1_9scan_implILNS1_25lookback_scan_determinismE0ELb1ELb1ES3_N6thrust23THRUST_200600_302600_NS6detail15normal_iteratorINS9_10device_ptrIjEEEENSB_INSC_IiEEEEiNS9_4plusIvEEiEEDaPvRmT3_T4_T5_mT6_P12ihipStream_tbENKUlT_T0_E_clISt17integral_constantIbLb1EESV_IbLb0EEEEDaSR_SS_EUlSR_E0_NS1_11comp_targetILNS1_3genE5ELNS1_11target_archE942ELNS1_3gpuE9ELNS1_3repE0EEENS1_30default_config_static_selectorELNS0_4arch9wavefront6targetE1EEEvT1_,comdat
	.protected	_ZN7rocprim17ROCPRIM_400000_NS6detail17trampoline_kernelINS0_14default_configENS1_20scan_config_selectorIiEEZZNS1_9scan_implILNS1_25lookback_scan_determinismE0ELb1ELb1ES3_N6thrust23THRUST_200600_302600_NS6detail15normal_iteratorINS9_10device_ptrIjEEEENSB_INSC_IiEEEEiNS9_4plusIvEEiEEDaPvRmT3_T4_T5_mT6_P12ihipStream_tbENKUlT_T0_E_clISt17integral_constantIbLb1EESV_IbLb0EEEEDaSR_SS_EUlSR_E0_NS1_11comp_targetILNS1_3genE5ELNS1_11target_archE942ELNS1_3gpuE9ELNS1_3repE0EEENS1_30default_config_static_selectorELNS0_4arch9wavefront6targetE1EEEvT1_ ; -- Begin function _ZN7rocprim17ROCPRIM_400000_NS6detail17trampoline_kernelINS0_14default_configENS1_20scan_config_selectorIiEEZZNS1_9scan_implILNS1_25lookback_scan_determinismE0ELb1ELb1ES3_N6thrust23THRUST_200600_302600_NS6detail15normal_iteratorINS9_10device_ptrIjEEEENSB_INSC_IiEEEEiNS9_4plusIvEEiEEDaPvRmT3_T4_T5_mT6_P12ihipStream_tbENKUlT_T0_E_clISt17integral_constantIbLb1EESV_IbLb0EEEEDaSR_SS_EUlSR_E0_NS1_11comp_targetILNS1_3genE5ELNS1_11target_archE942ELNS1_3gpuE9ELNS1_3repE0EEENS1_30default_config_static_selectorELNS0_4arch9wavefront6targetE1EEEvT1_
	.globl	_ZN7rocprim17ROCPRIM_400000_NS6detail17trampoline_kernelINS0_14default_configENS1_20scan_config_selectorIiEEZZNS1_9scan_implILNS1_25lookback_scan_determinismE0ELb1ELb1ES3_N6thrust23THRUST_200600_302600_NS6detail15normal_iteratorINS9_10device_ptrIjEEEENSB_INSC_IiEEEEiNS9_4plusIvEEiEEDaPvRmT3_T4_T5_mT6_P12ihipStream_tbENKUlT_T0_E_clISt17integral_constantIbLb1EESV_IbLb0EEEEDaSR_SS_EUlSR_E0_NS1_11comp_targetILNS1_3genE5ELNS1_11target_archE942ELNS1_3gpuE9ELNS1_3repE0EEENS1_30default_config_static_selectorELNS0_4arch9wavefront6targetE1EEEvT1_
	.p2align	8
	.type	_ZN7rocprim17ROCPRIM_400000_NS6detail17trampoline_kernelINS0_14default_configENS1_20scan_config_selectorIiEEZZNS1_9scan_implILNS1_25lookback_scan_determinismE0ELb1ELb1ES3_N6thrust23THRUST_200600_302600_NS6detail15normal_iteratorINS9_10device_ptrIjEEEENSB_INSC_IiEEEEiNS9_4plusIvEEiEEDaPvRmT3_T4_T5_mT6_P12ihipStream_tbENKUlT_T0_E_clISt17integral_constantIbLb1EESV_IbLb0EEEEDaSR_SS_EUlSR_E0_NS1_11comp_targetILNS1_3genE5ELNS1_11target_archE942ELNS1_3gpuE9ELNS1_3repE0EEENS1_30default_config_static_selectorELNS0_4arch9wavefront6targetE1EEEvT1_,@function
_ZN7rocprim17ROCPRIM_400000_NS6detail17trampoline_kernelINS0_14default_configENS1_20scan_config_selectorIiEEZZNS1_9scan_implILNS1_25lookback_scan_determinismE0ELb1ELb1ES3_N6thrust23THRUST_200600_302600_NS6detail15normal_iteratorINS9_10device_ptrIjEEEENSB_INSC_IiEEEEiNS9_4plusIvEEiEEDaPvRmT3_T4_T5_mT6_P12ihipStream_tbENKUlT_T0_E_clISt17integral_constantIbLb1EESV_IbLb0EEEEDaSR_SS_EUlSR_E0_NS1_11comp_targetILNS1_3genE5ELNS1_11target_archE942ELNS1_3gpuE9ELNS1_3repE0EEENS1_30default_config_static_selectorELNS0_4arch9wavefront6targetE1EEEvT1_: ; @_ZN7rocprim17ROCPRIM_400000_NS6detail17trampoline_kernelINS0_14default_configENS1_20scan_config_selectorIiEEZZNS1_9scan_implILNS1_25lookback_scan_determinismE0ELb1ELb1ES3_N6thrust23THRUST_200600_302600_NS6detail15normal_iteratorINS9_10device_ptrIjEEEENSB_INSC_IiEEEEiNS9_4plusIvEEiEEDaPvRmT3_T4_T5_mT6_P12ihipStream_tbENKUlT_T0_E_clISt17integral_constantIbLb1EESV_IbLb0EEEEDaSR_SS_EUlSR_E0_NS1_11comp_targetILNS1_3genE5ELNS1_11target_archE942ELNS1_3gpuE9ELNS1_3repE0EEENS1_30default_config_static_selectorELNS0_4arch9wavefront6targetE1EEEvT1_
; %bb.0:
	.section	.rodata,"a",@progbits
	.p2align	6, 0x0
	.amdhsa_kernel _ZN7rocprim17ROCPRIM_400000_NS6detail17trampoline_kernelINS0_14default_configENS1_20scan_config_selectorIiEEZZNS1_9scan_implILNS1_25lookback_scan_determinismE0ELb1ELb1ES3_N6thrust23THRUST_200600_302600_NS6detail15normal_iteratorINS9_10device_ptrIjEEEENSB_INSC_IiEEEEiNS9_4plusIvEEiEEDaPvRmT3_T4_T5_mT6_P12ihipStream_tbENKUlT_T0_E_clISt17integral_constantIbLb1EESV_IbLb0EEEEDaSR_SS_EUlSR_E0_NS1_11comp_targetILNS1_3genE5ELNS1_11target_archE942ELNS1_3gpuE9ELNS1_3repE0EEENS1_30default_config_static_selectorELNS0_4arch9wavefront6targetE1EEEvT1_
		.amdhsa_group_segment_fixed_size 0
		.amdhsa_private_segment_fixed_size 0
		.amdhsa_kernarg_size 32
		.amdhsa_user_sgpr_count 6
		.amdhsa_user_sgpr_private_segment_buffer 1
		.amdhsa_user_sgpr_dispatch_ptr 0
		.amdhsa_user_sgpr_queue_ptr 0
		.amdhsa_user_sgpr_kernarg_segment_ptr 1
		.amdhsa_user_sgpr_dispatch_id 0
		.amdhsa_user_sgpr_flat_scratch_init 0
		.amdhsa_user_sgpr_kernarg_preload_length 0
		.amdhsa_user_sgpr_kernarg_preload_offset 0
		.amdhsa_user_sgpr_private_segment_size 0
		.amdhsa_uses_dynamic_stack 0
		.amdhsa_system_sgpr_private_segment_wavefront_offset 0
		.amdhsa_system_sgpr_workgroup_id_x 1
		.amdhsa_system_sgpr_workgroup_id_y 0
		.amdhsa_system_sgpr_workgroup_id_z 0
		.amdhsa_system_sgpr_workgroup_info 0
		.amdhsa_system_vgpr_workitem_id 0
		.amdhsa_next_free_vgpr 1
		.amdhsa_next_free_sgpr 0
		.amdhsa_accum_offset 4
		.amdhsa_reserve_vcc 0
		.amdhsa_reserve_flat_scratch 0
		.amdhsa_float_round_mode_32 0
		.amdhsa_float_round_mode_16_64 0
		.amdhsa_float_denorm_mode_32 3
		.amdhsa_float_denorm_mode_16_64 3
		.amdhsa_dx10_clamp 1
		.amdhsa_ieee_mode 1
		.amdhsa_fp16_overflow 0
		.amdhsa_tg_split 0
		.amdhsa_exception_fp_ieee_invalid_op 0
		.amdhsa_exception_fp_denorm_src 0
		.amdhsa_exception_fp_ieee_div_zero 0
		.amdhsa_exception_fp_ieee_overflow 0
		.amdhsa_exception_fp_ieee_underflow 0
		.amdhsa_exception_fp_ieee_inexact 0
		.amdhsa_exception_int_div_zero 0
	.end_amdhsa_kernel
	.section	.text._ZN7rocprim17ROCPRIM_400000_NS6detail17trampoline_kernelINS0_14default_configENS1_20scan_config_selectorIiEEZZNS1_9scan_implILNS1_25lookback_scan_determinismE0ELb1ELb1ES3_N6thrust23THRUST_200600_302600_NS6detail15normal_iteratorINS9_10device_ptrIjEEEENSB_INSC_IiEEEEiNS9_4plusIvEEiEEDaPvRmT3_T4_T5_mT6_P12ihipStream_tbENKUlT_T0_E_clISt17integral_constantIbLb1EESV_IbLb0EEEEDaSR_SS_EUlSR_E0_NS1_11comp_targetILNS1_3genE5ELNS1_11target_archE942ELNS1_3gpuE9ELNS1_3repE0EEENS1_30default_config_static_selectorELNS0_4arch9wavefront6targetE1EEEvT1_,"axG",@progbits,_ZN7rocprim17ROCPRIM_400000_NS6detail17trampoline_kernelINS0_14default_configENS1_20scan_config_selectorIiEEZZNS1_9scan_implILNS1_25lookback_scan_determinismE0ELb1ELb1ES3_N6thrust23THRUST_200600_302600_NS6detail15normal_iteratorINS9_10device_ptrIjEEEENSB_INSC_IiEEEEiNS9_4plusIvEEiEEDaPvRmT3_T4_T5_mT6_P12ihipStream_tbENKUlT_T0_E_clISt17integral_constantIbLb1EESV_IbLb0EEEEDaSR_SS_EUlSR_E0_NS1_11comp_targetILNS1_3genE5ELNS1_11target_archE942ELNS1_3gpuE9ELNS1_3repE0EEENS1_30default_config_static_selectorELNS0_4arch9wavefront6targetE1EEEvT1_,comdat
.Lfunc_end6278:
	.size	_ZN7rocprim17ROCPRIM_400000_NS6detail17trampoline_kernelINS0_14default_configENS1_20scan_config_selectorIiEEZZNS1_9scan_implILNS1_25lookback_scan_determinismE0ELb1ELb1ES3_N6thrust23THRUST_200600_302600_NS6detail15normal_iteratorINS9_10device_ptrIjEEEENSB_INSC_IiEEEEiNS9_4plusIvEEiEEDaPvRmT3_T4_T5_mT6_P12ihipStream_tbENKUlT_T0_E_clISt17integral_constantIbLb1EESV_IbLb0EEEEDaSR_SS_EUlSR_E0_NS1_11comp_targetILNS1_3genE5ELNS1_11target_archE942ELNS1_3gpuE9ELNS1_3repE0EEENS1_30default_config_static_selectorELNS0_4arch9wavefront6targetE1EEEvT1_, .Lfunc_end6278-_ZN7rocprim17ROCPRIM_400000_NS6detail17trampoline_kernelINS0_14default_configENS1_20scan_config_selectorIiEEZZNS1_9scan_implILNS1_25lookback_scan_determinismE0ELb1ELb1ES3_N6thrust23THRUST_200600_302600_NS6detail15normal_iteratorINS9_10device_ptrIjEEEENSB_INSC_IiEEEEiNS9_4plusIvEEiEEDaPvRmT3_T4_T5_mT6_P12ihipStream_tbENKUlT_T0_E_clISt17integral_constantIbLb1EESV_IbLb0EEEEDaSR_SS_EUlSR_E0_NS1_11comp_targetILNS1_3genE5ELNS1_11target_archE942ELNS1_3gpuE9ELNS1_3repE0EEENS1_30default_config_static_selectorELNS0_4arch9wavefront6targetE1EEEvT1_
                                        ; -- End function
	.section	.AMDGPU.csdata,"",@progbits
; Kernel info:
; codeLenInByte = 0
; NumSgprs: 4
; NumVgprs: 0
; NumAgprs: 0
; TotalNumVgprs: 0
; ScratchSize: 0
; MemoryBound: 0
; FloatMode: 240
; IeeeMode: 1
; LDSByteSize: 0 bytes/workgroup (compile time only)
; SGPRBlocks: 0
; VGPRBlocks: 0
; NumSGPRsForWavesPerEU: 4
; NumVGPRsForWavesPerEU: 1
; AccumOffset: 4
; Occupancy: 8
; WaveLimiterHint : 0
; COMPUTE_PGM_RSRC2:SCRATCH_EN: 0
; COMPUTE_PGM_RSRC2:USER_SGPR: 6
; COMPUTE_PGM_RSRC2:TRAP_HANDLER: 0
; COMPUTE_PGM_RSRC2:TGID_X_EN: 1
; COMPUTE_PGM_RSRC2:TGID_Y_EN: 0
; COMPUTE_PGM_RSRC2:TGID_Z_EN: 0
; COMPUTE_PGM_RSRC2:TIDIG_COMP_CNT: 0
; COMPUTE_PGM_RSRC3_GFX90A:ACCUM_OFFSET: 0
; COMPUTE_PGM_RSRC3_GFX90A:TG_SPLIT: 0
	.section	.text._ZN7rocprim17ROCPRIM_400000_NS6detail17trampoline_kernelINS0_14default_configENS1_20scan_config_selectorIiEEZZNS1_9scan_implILNS1_25lookback_scan_determinismE0ELb1ELb1ES3_N6thrust23THRUST_200600_302600_NS6detail15normal_iteratorINS9_10device_ptrIjEEEENSB_INSC_IiEEEEiNS9_4plusIvEEiEEDaPvRmT3_T4_T5_mT6_P12ihipStream_tbENKUlT_T0_E_clISt17integral_constantIbLb1EESV_IbLb0EEEEDaSR_SS_EUlSR_E0_NS1_11comp_targetILNS1_3genE4ELNS1_11target_archE910ELNS1_3gpuE8ELNS1_3repE0EEENS1_30default_config_static_selectorELNS0_4arch9wavefront6targetE1EEEvT1_,"axG",@progbits,_ZN7rocprim17ROCPRIM_400000_NS6detail17trampoline_kernelINS0_14default_configENS1_20scan_config_selectorIiEEZZNS1_9scan_implILNS1_25lookback_scan_determinismE0ELb1ELb1ES3_N6thrust23THRUST_200600_302600_NS6detail15normal_iteratorINS9_10device_ptrIjEEEENSB_INSC_IiEEEEiNS9_4plusIvEEiEEDaPvRmT3_T4_T5_mT6_P12ihipStream_tbENKUlT_T0_E_clISt17integral_constantIbLb1EESV_IbLb0EEEEDaSR_SS_EUlSR_E0_NS1_11comp_targetILNS1_3genE4ELNS1_11target_archE910ELNS1_3gpuE8ELNS1_3repE0EEENS1_30default_config_static_selectorELNS0_4arch9wavefront6targetE1EEEvT1_,comdat
	.protected	_ZN7rocprim17ROCPRIM_400000_NS6detail17trampoline_kernelINS0_14default_configENS1_20scan_config_selectorIiEEZZNS1_9scan_implILNS1_25lookback_scan_determinismE0ELb1ELb1ES3_N6thrust23THRUST_200600_302600_NS6detail15normal_iteratorINS9_10device_ptrIjEEEENSB_INSC_IiEEEEiNS9_4plusIvEEiEEDaPvRmT3_T4_T5_mT6_P12ihipStream_tbENKUlT_T0_E_clISt17integral_constantIbLb1EESV_IbLb0EEEEDaSR_SS_EUlSR_E0_NS1_11comp_targetILNS1_3genE4ELNS1_11target_archE910ELNS1_3gpuE8ELNS1_3repE0EEENS1_30default_config_static_selectorELNS0_4arch9wavefront6targetE1EEEvT1_ ; -- Begin function _ZN7rocprim17ROCPRIM_400000_NS6detail17trampoline_kernelINS0_14default_configENS1_20scan_config_selectorIiEEZZNS1_9scan_implILNS1_25lookback_scan_determinismE0ELb1ELb1ES3_N6thrust23THRUST_200600_302600_NS6detail15normal_iteratorINS9_10device_ptrIjEEEENSB_INSC_IiEEEEiNS9_4plusIvEEiEEDaPvRmT3_T4_T5_mT6_P12ihipStream_tbENKUlT_T0_E_clISt17integral_constantIbLb1EESV_IbLb0EEEEDaSR_SS_EUlSR_E0_NS1_11comp_targetILNS1_3genE4ELNS1_11target_archE910ELNS1_3gpuE8ELNS1_3repE0EEENS1_30default_config_static_selectorELNS0_4arch9wavefront6targetE1EEEvT1_
	.globl	_ZN7rocprim17ROCPRIM_400000_NS6detail17trampoline_kernelINS0_14default_configENS1_20scan_config_selectorIiEEZZNS1_9scan_implILNS1_25lookback_scan_determinismE0ELb1ELb1ES3_N6thrust23THRUST_200600_302600_NS6detail15normal_iteratorINS9_10device_ptrIjEEEENSB_INSC_IiEEEEiNS9_4plusIvEEiEEDaPvRmT3_T4_T5_mT6_P12ihipStream_tbENKUlT_T0_E_clISt17integral_constantIbLb1EESV_IbLb0EEEEDaSR_SS_EUlSR_E0_NS1_11comp_targetILNS1_3genE4ELNS1_11target_archE910ELNS1_3gpuE8ELNS1_3repE0EEENS1_30default_config_static_selectorELNS0_4arch9wavefront6targetE1EEEvT1_
	.p2align	8
	.type	_ZN7rocprim17ROCPRIM_400000_NS6detail17trampoline_kernelINS0_14default_configENS1_20scan_config_selectorIiEEZZNS1_9scan_implILNS1_25lookback_scan_determinismE0ELb1ELb1ES3_N6thrust23THRUST_200600_302600_NS6detail15normal_iteratorINS9_10device_ptrIjEEEENSB_INSC_IiEEEEiNS9_4plusIvEEiEEDaPvRmT3_T4_T5_mT6_P12ihipStream_tbENKUlT_T0_E_clISt17integral_constantIbLb1EESV_IbLb0EEEEDaSR_SS_EUlSR_E0_NS1_11comp_targetILNS1_3genE4ELNS1_11target_archE910ELNS1_3gpuE8ELNS1_3repE0EEENS1_30default_config_static_selectorELNS0_4arch9wavefront6targetE1EEEvT1_,@function
_ZN7rocprim17ROCPRIM_400000_NS6detail17trampoline_kernelINS0_14default_configENS1_20scan_config_selectorIiEEZZNS1_9scan_implILNS1_25lookback_scan_determinismE0ELb1ELb1ES3_N6thrust23THRUST_200600_302600_NS6detail15normal_iteratorINS9_10device_ptrIjEEEENSB_INSC_IiEEEEiNS9_4plusIvEEiEEDaPvRmT3_T4_T5_mT6_P12ihipStream_tbENKUlT_T0_E_clISt17integral_constantIbLb1EESV_IbLb0EEEEDaSR_SS_EUlSR_E0_NS1_11comp_targetILNS1_3genE4ELNS1_11target_archE910ELNS1_3gpuE8ELNS1_3repE0EEENS1_30default_config_static_selectorELNS0_4arch9wavefront6targetE1EEEvT1_: ; @_ZN7rocprim17ROCPRIM_400000_NS6detail17trampoline_kernelINS0_14default_configENS1_20scan_config_selectorIiEEZZNS1_9scan_implILNS1_25lookback_scan_determinismE0ELb1ELb1ES3_N6thrust23THRUST_200600_302600_NS6detail15normal_iteratorINS9_10device_ptrIjEEEENSB_INSC_IiEEEEiNS9_4plusIvEEiEEDaPvRmT3_T4_T5_mT6_P12ihipStream_tbENKUlT_T0_E_clISt17integral_constantIbLb1EESV_IbLb0EEEEDaSR_SS_EUlSR_E0_NS1_11comp_targetILNS1_3genE4ELNS1_11target_archE910ELNS1_3gpuE8ELNS1_3repE0EEENS1_30default_config_static_selectorELNS0_4arch9wavefront6targetE1EEEvT1_
; %bb.0:
	s_load_dwordx4 s[20:23], s[4:5], 0x0
	v_lshlrev_b32_e32 v14, 2, v0
	s_waitcnt lgkmcnt(0)
	s_load_dword s23, s[20:21], 0x0
	v_cmp_gt_u32_e32 vcc, s22, v0
	s_waitcnt lgkmcnt(0)
	v_mov_b32_e32 v1, s23
	s_and_saveexec_b64 s[0:1], vcc
	s_cbranch_execz .LBB6279_2
; %bb.1:
	global_load_dword v1, v14, s[20:21]
.LBB6279_2:
	s_or_b64 exec, exec, s[0:1]
	v_or_b32_e32 v2, 0x80, v0
	v_cmp_gt_u32_e64 s[0:1], s22, v2
	v_mov_b32_e32 v2, s23
	s_and_saveexec_b64 s[2:3], s[0:1]
	s_cbranch_execz .LBB6279_4
; %bb.3:
	global_load_dword v2, v14, s[20:21] offset:512
.LBB6279_4:
	s_or_b64 exec, exec, s[2:3]
	v_or_b32_e32 v3, 0x100, v0
	v_cmp_gt_u32_e64 s[2:3], s22, v3
	v_mov_b32_e32 v3, s23
	s_and_saveexec_b64 s[6:7], s[2:3]
	s_cbranch_execz .LBB6279_6
; %bb.5:
	global_load_dword v3, v14, s[20:21] offset:1024
.LBB6279_6:
	;; [unrolled: 9-line block ×7, first 2 shown]
	s_or_b64 exec, exec, s[14:15]
	v_or_b32_e32 v10, 0x400, v0
	v_cmp_gt_u32_e64 s[14:15], s22, v10
	v_mov_b32_e32 v9, s23
	s_and_saveexec_b64 s[16:17], s[14:15]
	s_cbranch_execz .LBB6279_18
; %bb.17:
	v_lshlrev_b32_e32 v9, 2, v10
	global_load_dword v9, v9, s[20:21]
.LBB6279_18:
	s_or_b64 exec, exec, s[16:17]
	s_load_dword s24, s[4:5], 0x10
	v_or_b32_e32 v11, 0x480, v0
	v_cmp_gt_u32_e64 s[16:17], s22, v11
	v_mov_b32_e32 v10, s23
	s_and_saveexec_b64 s[22:23], s[16:17]
	s_cbranch_execz .LBB6279_20
; %bb.19:
	v_lshlrev_b32_e32 v10, 2, v11
	global_load_dword v10, v10, s[20:21]
.LBB6279_20:
	s_or_b64 exec, exec, s[22:23]
	s_waitcnt vmcnt(0)
	ds_write2st64_b32 v14, v1, v2 offset1:2
	ds_write2st64_b32 v14, v3, v4 offset0:4 offset1:6
	ds_write2st64_b32 v14, v5, v6 offset0:8 offset1:10
	ds_write2st64_b32 v14, v7, v8 offset0:12 offset1:14
	ds_write2st64_b32 v14, v9, v10 offset0:16 offset1:18
	v_mad_u32_u24 v1, v0, 36, v14
	s_waitcnt lgkmcnt(0)
	s_barrier
	ds_read2_b64 v[6:9], v1 offset1:1
	ds_read2_b64 v[2:5], v1 offset0:2 offset1:3
	ds_read_b64 v[10:11], v1 offset:32
	s_load_dwordx2 s[20:21], s[4:5], 0x18
	v_cmp_gt_u32_e64 s[4:5], 64, v0
	s_waitcnt lgkmcnt(0)
	v_add_u32_e32 v1, v7, v6
	v_add3_u32 v1, v1, v8, v9
	v_add3_u32 v1, v1, v2, v3
	v_add3_u32 v1, v1, v4, v5
	v_add3_u32 v1, v1, v10, v11
	v_lshrrev_b32_e32 v11, 3, v0
	v_and_b32_e32 v11, 12, v11
	v_add_u32_e32 v11, v14, v11
	s_barrier
	ds_write_b32 v11, v1
	s_waitcnt lgkmcnt(0)
	s_barrier
	s_and_saveexec_b64 s[22:23], s[4:5]
	s_cbranch_execz .LBB6279_22
; %bb.21:
	v_lshlrev_b32_e32 v11, 1, v0
	v_lshrrev_b32_e32 v12, 4, v0
	v_add_lshl_u32 v11, v12, v11, 2
	ds_read2_b32 v[12:13], v11 offset1:1
	v_mbcnt_lo_u32_b32 v15, -1, 0
	v_mbcnt_hi_u32_b32 v15, -1, v15
	v_and_b32_e32 v16, 15, v15
	v_cmp_ne_u32_e64 s[4:5], 0, v16
	s_waitcnt lgkmcnt(0)
	v_add_u32_e32 v13, v13, v12
	; wave barrier
	s_nop 1
	v_mov_b32_dpp v17, v13 row_shr:1 row_mask:0xf bank_mask:0xf
	v_cndmask_b32_e64 v17, 0, v17, s[4:5]
	v_add_u32_e32 v13, v17, v13
	v_cmp_lt_u32_e64 s[4:5], 1, v16
	s_nop 0
	v_mov_b32_dpp v17, v13 row_shr:2 row_mask:0xf bank_mask:0xf
	v_cndmask_b32_e64 v17, 0, v17, s[4:5]
	v_add_u32_e32 v13, v13, v17
	v_cmp_lt_u32_e64 s[4:5], 3, v16
	;; [unrolled: 5-line block ×3, first 2 shown]
	s_nop 0
	v_mov_b32_dpp v17, v13 row_shr:8 row_mask:0xf bank_mask:0xf
	v_cndmask_b32_e64 v16, 0, v17, s[4:5]
	v_add_u32_e32 v13, v13, v16
	v_bfe_i32 v17, v15, 4, 1
	v_cmp_lt_u32_e64 s[4:5], 31, v15
	v_mov_b32_dpp v16, v13 row_bcast:15 row_mask:0xf bank_mask:0xf
	v_and_b32_e32 v16, v17, v16
	v_add_u32_e32 v13, v13, v16
	v_and_b32_e32 v17, 64, v15
	s_nop 0
	v_mov_b32_dpp v16, v13 row_bcast:31 row_mask:0xf bank_mask:0xf
	v_cndmask_b32_e64 v16, 0, v16, s[4:5]
	v_add_u32_e32 v13, v13, v16
	v_add_u32_e32 v16, -1, v15
	v_cmp_lt_i32_e64 s[4:5], v16, v17
	v_cndmask_b32_e64 v15, v16, v15, s[4:5]
	v_lshlrev_b32_e32 v15, 2, v15
	ds_bpermute_b32 v13, v15, v13
	v_cmp_eq_u32_e64 s[4:5], 0, v0
	s_waitcnt lgkmcnt(0)
	v_add_u32_e32 v12, v13, v12
	v_cndmask_b32_e64 v1, v12, v1, s[4:5]
	ds_write_b32 v11, v1
	; wave barrier
	ds_read_b32 v12, v11 offset:4
	s_waitcnt lgkmcnt(0)
	v_add_u32_e32 v1, v12, v1
	ds_write_b32 v11, v1 offset:4
.LBB6279_22:
	s_or_b64 exec, exec, s[22:23]
	v_mul_u32_u24_e32 v1, 36, v0
	v_cmp_ne_u32_e64 s[4:5], 0, v0
	v_mov_b32_e32 v12, s24
	s_waitcnt lgkmcnt(0)
	s_barrier
	s_and_saveexec_b64 s[22:23], s[4:5]
	s_cbranch_execz .LBB6279_24
; %bb.23:
	v_add_u32_e32 v0, -1, v0
	v_lshrrev_b32_e32 v11, 5, v0
	v_add_lshl_u32 v0, v11, v0, 2
	ds_read_b32 v0, v0
	s_waitcnt lgkmcnt(0)
	v_add_u32_e32 v12, s24, v0
.LBB6279_24:
	s_or_b64 exec, exec, s[22:23]
	v_add_u32_e32 v13, v12, v6
	v_add_u32_e32 v6, v13, v7
	;; [unrolled: 1-line block ×10, first 2 shown]
	s_barrier
	ds_write2_b64 v0, v[12:13], v[6:7] offset1:1
	ds_write2_b64 v0, v[8:9], v[2:3] offset0:2 offset1:3
	ds_write_b64 v0, v[4:5] offset:32
	s_waitcnt lgkmcnt(0)
	s_barrier
	ds_read2st64_b32 v[8:9], v14 offset0:2 offset1:4
	ds_read2st64_b32 v[6:7], v14 offset0:6 offset1:8
	;; [unrolled: 1-line block ×4, first 2 shown]
	ds_read_b32 v10, v14 offset:4608
	v_mov_b32_e32 v1, s21
	v_add_co_u32_e64 v0, s[4:5], s20, v14
	v_addc_co_u32_e64 v1, s[4:5], 0, v1, s[4:5]
	s_and_saveexec_b64 s[4:5], vcc
	s_cbranch_execnz .LBB6279_35
; %bb.25:
	s_or_b64 exec, exec, s[4:5]
	s_and_saveexec_b64 s[4:5], s[0:1]
	s_cbranch_execnz .LBB6279_36
.LBB6279_26:
	s_or_b64 exec, exec, s[4:5]
	s_and_saveexec_b64 s[0:1], s[2:3]
	s_cbranch_execnz .LBB6279_37
.LBB6279_27:
	s_or_b64 exec, exec, s[0:1]
	s_and_saveexec_b64 s[0:1], s[18:19]
	s_cbranch_execnz .LBB6279_38
.LBB6279_28:
	s_or_b64 exec, exec, s[0:1]
	s_and_saveexec_b64 s[0:1], s[6:7]
	s_cbranch_execnz .LBB6279_39
.LBB6279_29:
	s_or_b64 exec, exec, s[0:1]
	s_and_saveexec_b64 s[0:1], s[8:9]
	s_cbranch_execnz .LBB6279_40
.LBB6279_30:
	s_or_b64 exec, exec, s[0:1]
	s_and_saveexec_b64 s[0:1], s[10:11]
	s_cbranch_execnz .LBB6279_41
.LBB6279_31:
	s_or_b64 exec, exec, s[0:1]
	s_and_saveexec_b64 s[0:1], s[12:13]
	s_cbranch_execnz .LBB6279_42
.LBB6279_32:
	s_or_b64 exec, exec, s[0:1]
	s_and_saveexec_b64 s[0:1], s[14:15]
	s_cbranch_execnz .LBB6279_43
.LBB6279_33:
	s_or_b64 exec, exec, s[0:1]
	s_and_saveexec_b64 s[0:1], s[16:17]
	s_cbranch_execnz .LBB6279_44
.LBB6279_34:
	s_endpgm
.LBB6279_35:
	ds_read_b32 v11, v14
	s_waitcnt lgkmcnt(0)
	global_store_dword v[0:1], v11, off
	s_or_b64 exec, exec, s[4:5]
	s_and_saveexec_b64 s[4:5], s[0:1]
	s_cbranch_execz .LBB6279_26
.LBB6279_36:
	s_waitcnt lgkmcnt(4)
	global_store_dword v[0:1], v8, off offset:512
	s_or_b64 exec, exec, s[4:5]
	s_and_saveexec_b64 s[0:1], s[2:3]
	s_cbranch_execz .LBB6279_27
.LBB6279_37:
	s_waitcnt lgkmcnt(4)
	global_store_dword v[0:1], v9, off offset:1024
	s_or_b64 exec, exec, s[0:1]
	s_and_saveexec_b64 s[0:1], s[18:19]
	s_cbranch_execz .LBB6279_28
.LBB6279_38:
	s_waitcnt lgkmcnt(3)
	global_store_dword v[0:1], v6, off offset:1536
	s_or_b64 exec, exec, s[0:1]
	s_and_saveexec_b64 s[0:1], s[6:7]
	s_cbranch_execz .LBB6279_29
.LBB6279_39:
	s_waitcnt lgkmcnt(3)
	global_store_dword v[0:1], v7, off offset:2048
	s_or_b64 exec, exec, s[0:1]
	s_and_saveexec_b64 s[0:1], s[8:9]
	s_cbranch_execz .LBB6279_30
.LBB6279_40:
	s_waitcnt lgkmcnt(2)
	global_store_dword v[0:1], v4, off offset:2560
	s_or_b64 exec, exec, s[0:1]
	s_and_saveexec_b64 s[0:1], s[10:11]
	s_cbranch_execz .LBB6279_31
.LBB6279_41:
	s_waitcnt lgkmcnt(2)
	global_store_dword v[0:1], v5, off offset:3072
	s_or_b64 exec, exec, s[0:1]
	s_and_saveexec_b64 s[0:1], s[12:13]
	s_cbranch_execz .LBB6279_32
.LBB6279_42:
	s_waitcnt lgkmcnt(1)
	global_store_dword v[0:1], v2, off offset:3584
	s_or_b64 exec, exec, s[0:1]
	s_and_saveexec_b64 s[0:1], s[14:15]
	s_cbranch_execz .LBB6279_33
.LBB6279_43:
	s_waitcnt lgkmcnt(2)
	v_add_co_u32_e32 v4, vcc, 0x1000, v0
	v_addc_co_u32_e32 v5, vcc, 0, v1, vcc
	s_waitcnt lgkmcnt(1)
	global_store_dword v[4:5], v3, off
	s_or_b64 exec, exec, s[0:1]
	s_and_saveexec_b64 s[0:1], s[16:17]
	s_cbranch_execz .LBB6279_34
.LBB6279_44:
	v_add_co_u32_e32 v0, vcc, 0x1000, v0
	v_addc_co_u32_e32 v1, vcc, 0, v1, vcc
	s_waitcnt lgkmcnt(0)
	global_store_dword v[0:1], v10, off offset:512
	s_endpgm
	.section	.rodata,"a",@progbits
	.p2align	6, 0x0
	.amdhsa_kernel _ZN7rocprim17ROCPRIM_400000_NS6detail17trampoline_kernelINS0_14default_configENS1_20scan_config_selectorIiEEZZNS1_9scan_implILNS1_25lookback_scan_determinismE0ELb1ELb1ES3_N6thrust23THRUST_200600_302600_NS6detail15normal_iteratorINS9_10device_ptrIjEEEENSB_INSC_IiEEEEiNS9_4plusIvEEiEEDaPvRmT3_T4_T5_mT6_P12ihipStream_tbENKUlT_T0_E_clISt17integral_constantIbLb1EESV_IbLb0EEEEDaSR_SS_EUlSR_E0_NS1_11comp_targetILNS1_3genE4ELNS1_11target_archE910ELNS1_3gpuE8ELNS1_3repE0EEENS1_30default_config_static_selectorELNS0_4arch9wavefront6targetE1EEEvT1_
		.amdhsa_group_segment_fixed_size 5120
		.amdhsa_private_segment_fixed_size 0
		.amdhsa_kernarg_size 32
		.amdhsa_user_sgpr_count 6
		.amdhsa_user_sgpr_private_segment_buffer 1
		.amdhsa_user_sgpr_dispatch_ptr 0
		.amdhsa_user_sgpr_queue_ptr 0
		.amdhsa_user_sgpr_kernarg_segment_ptr 1
		.amdhsa_user_sgpr_dispatch_id 0
		.amdhsa_user_sgpr_flat_scratch_init 0
		.amdhsa_user_sgpr_kernarg_preload_length 0
		.amdhsa_user_sgpr_kernarg_preload_offset 0
		.amdhsa_user_sgpr_private_segment_size 0
		.amdhsa_uses_dynamic_stack 0
		.amdhsa_system_sgpr_private_segment_wavefront_offset 0
		.amdhsa_system_sgpr_workgroup_id_x 1
		.amdhsa_system_sgpr_workgroup_id_y 0
		.amdhsa_system_sgpr_workgroup_id_z 0
		.amdhsa_system_sgpr_workgroup_info 0
		.amdhsa_system_vgpr_workitem_id 0
		.amdhsa_next_free_vgpr 18
		.amdhsa_next_free_sgpr 25
		.amdhsa_accum_offset 20
		.amdhsa_reserve_vcc 1
		.amdhsa_reserve_flat_scratch 0
		.amdhsa_float_round_mode_32 0
		.amdhsa_float_round_mode_16_64 0
		.amdhsa_float_denorm_mode_32 3
		.amdhsa_float_denorm_mode_16_64 3
		.amdhsa_dx10_clamp 1
		.amdhsa_ieee_mode 1
		.amdhsa_fp16_overflow 0
		.amdhsa_tg_split 0
		.amdhsa_exception_fp_ieee_invalid_op 0
		.amdhsa_exception_fp_denorm_src 0
		.amdhsa_exception_fp_ieee_div_zero 0
		.amdhsa_exception_fp_ieee_overflow 0
		.amdhsa_exception_fp_ieee_underflow 0
		.amdhsa_exception_fp_ieee_inexact 0
		.amdhsa_exception_int_div_zero 0
	.end_amdhsa_kernel
	.section	.text._ZN7rocprim17ROCPRIM_400000_NS6detail17trampoline_kernelINS0_14default_configENS1_20scan_config_selectorIiEEZZNS1_9scan_implILNS1_25lookback_scan_determinismE0ELb1ELb1ES3_N6thrust23THRUST_200600_302600_NS6detail15normal_iteratorINS9_10device_ptrIjEEEENSB_INSC_IiEEEEiNS9_4plusIvEEiEEDaPvRmT3_T4_T5_mT6_P12ihipStream_tbENKUlT_T0_E_clISt17integral_constantIbLb1EESV_IbLb0EEEEDaSR_SS_EUlSR_E0_NS1_11comp_targetILNS1_3genE4ELNS1_11target_archE910ELNS1_3gpuE8ELNS1_3repE0EEENS1_30default_config_static_selectorELNS0_4arch9wavefront6targetE1EEEvT1_,"axG",@progbits,_ZN7rocprim17ROCPRIM_400000_NS6detail17trampoline_kernelINS0_14default_configENS1_20scan_config_selectorIiEEZZNS1_9scan_implILNS1_25lookback_scan_determinismE0ELb1ELb1ES3_N6thrust23THRUST_200600_302600_NS6detail15normal_iteratorINS9_10device_ptrIjEEEENSB_INSC_IiEEEEiNS9_4plusIvEEiEEDaPvRmT3_T4_T5_mT6_P12ihipStream_tbENKUlT_T0_E_clISt17integral_constantIbLb1EESV_IbLb0EEEEDaSR_SS_EUlSR_E0_NS1_11comp_targetILNS1_3genE4ELNS1_11target_archE910ELNS1_3gpuE8ELNS1_3repE0EEENS1_30default_config_static_selectorELNS0_4arch9wavefront6targetE1EEEvT1_,comdat
.Lfunc_end6279:
	.size	_ZN7rocprim17ROCPRIM_400000_NS6detail17trampoline_kernelINS0_14default_configENS1_20scan_config_selectorIiEEZZNS1_9scan_implILNS1_25lookback_scan_determinismE0ELb1ELb1ES3_N6thrust23THRUST_200600_302600_NS6detail15normal_iteratorINS9_10device_ptrIjEEEENSB_INSC_IiEEEEiNS9_4plusIvEEiEEDaPvRmT3_T4_T5_mT6_P12ihipStream_tbENKUlT_T0_E_clISt17integral_constantIbLb1EESV_IbLb0EEEEDaSR_SS_EUlSR_E0_NS1_11comp_targetILNS1_3genE4ELNS1_11target_archE910ELNS1_3gpuE8ELNS1_3repE0EEENS1_30default_config_static_selectorELNS0_4arch9wavefront6targetE1EEEvT1_, .Lfunc_end6279-_ZN7rocprim17ROCPRIM_400000_NS6detail17trampoline_kernelINS0_14default_configENS1_20scan_config_selectorIiEEZZNS1_9scan_implILNS1_25lookback_scan_determinismE0ELb1ELb1ES3_N6thrust23THRUST_200600_302600_NS6detail15normal_iteratorINS9_10device_ptrIjEEEENSB_INSC_IiEEEEiNS9_4plusIvEEiEEDaPvRmT3_T4_T5_mT6_P12ihipStream_tbENKUlT_T0_E_clISt17integral_constantIbLb1EESV_IbLb0EEEEDaSR_SS_EUlSR_E0_NS1_11comp_targetILNS1_3genE4ELNS1_11target_archE910ELNS1_3gpuE8ELNS1_3repE0EEENS1_30default_config_static_selectorELNS0_4arch9wavefront6targetE1EEEvT1_
                                        ; -- End function
	.section	.AMDGPU.csdata,"",@progbits
; Kernel info:
; codeLenInByte = 1536
; NumSgprs: 29
; NumVgprs: 18
; NumAgprs: 0
; TotalNumVgprs: 18
; ScratchSize: 0
; MemoryBound: 0
; FloatMode: 240
; IeeeMode: 1
; LDSByteSize: 5120 bytes/workgroup (compile time only)
; SGPRBlocks: 3
; VGPRBlocks: 2
; NumSGPRsForWavesPerEU: 29
; NumVGPRsForWavesPerEU: 18
; AccumOffset: 20
; Occupancy: 6
; WaveLimiterHint : 0
; COMPUTE_PGM_RSRC2:SCRATCH_EN: 0
; COMPUTE_PGM_RSRC2:USER_SGPR: 6
; COMPUTE_PGM_RSRC2:TRAP_HANDLER: 0
; COMPUTE_PGM_RSRC2:TGID_X_EN: 1
; COMPUTE_PGM_RSRC2:TGID_Y_EN: 0
; COMPUTE_PGM_RSRC2:TGID_Z_EN: 0
; COMPUTE_PGM_RSRC2:TIDIG_COMP_CNT: 0
; COMPUTE_PGM_RSRC3_GFX90A:ACCUM_OFFSET: 4
; COMPUTE_PGM_RSRC3_GFX90A:TG_SPLIT: 0
	.section	.text._ZN7rocprim17ROCPRIM_400000_NS6detail17trampoline_kernelINS0_14default_configENS1_20scan_config_selectorIiEEZZNS1_9scan_implILNS1_25lookback_scan_determinismE0ELb1ELb1ES3_N6thrust23THRUST_200600_302600_NS6detail15normal_iteratorINS9_10device_ptrIjEEEENSB_INSC_IiEEEEiNS9_4plusIvEEiEEDaPvRmT3_T4_T5_mT6_P12ihipStream_tbENKUlT_T0_E_clISt17integral_constantIbLb1EESV_IbLb0EEEEDaSR_SS_EUlSR_E0_NS1_11comp_targetILNS1_3genE3ELNS1_11target_archE908ELNS1_3gpuE7ELNS1_3repE0EEENS1_30default_config_static_selectorELNS0_4arch9wavefront6targetE1EEEvT1_,"axG",@progbits,_ZN7rocprim17ROCPRIM_400000_NS6detail17trampoline_kernelINS0_14default_configENS1_20scan_config_selectorIiEEZZNS1_9scan_implILNS1_25lookback_scan_determinismE0ELb1ELb1ES3_N6thrust23THRUST_200600_302600_NS6detail15normal_iteratorINS9_10device_ptrIjEEEENSB_INSC_IiEEEEiNS9_4plusIvEEiEEDaPvRmT3_T4_T5_mT6_P12ihipStream_tbENKUlT_T0_E_clISt17integral_constantIbLb1EESV_IbLb0EEEEDaSR_SS_EUlSR_E0_NS1_11comp_targetILNS1_3genE3ELNS1_11target_archE908ELNS1_3gpuE7ELNS1_3repE0EEENS1_30default_config_static_selectorELNS0_4arch9wavefront6targetE1EEEvT1_,comdat
	.protected	_ZN7rocprim17ROCPRIM_400000_NS6detail17trampoline_kernelINS0_14default_configENS1_20scan_config_selectorIiEEZZNS1_9scan_implILNS1_25lookback_scan_determinismE0ELb1ELb1ES3_N6thrust23THRUST_200600_302600_NS6detail15normal_iteratorINS9_10device_ptrIjEEEENSB_INSC_IiEEEEiNS9_4plusIvEEiEEDaPvRmT3_T4_T5_mT6_P12ihipStream_tbENKUlT_T0_E_clISt17integral_constantIbLb1EESV_IbLb0EEEEDaSR_SS_EUlSR_E0_NS1_11comp_targetILNS1_3genE3ELNS1_11target_archE908ELNS1_3gpuE7ELNS1_3repE0EEENS1_30default_config_static_selectorELNS0_4arch9wavefront6targetE1EEEvT1_ ; -- Begin function _ZN7rocprim17ROCPRIM_400000_NS6detail17trampoline_kernelINS0_14default_configENS1_20scan_config_selectorIiEEZZNS1_9scan_implILNS1_25lookback_scan_determinismE0ELb1ELb1ES3_N6thrust23THRUST_200600_302600_NS6detail15normal_iteratorINS9_10device_ptrIjEEEENSB_INSC_IiEEEEiNS9_4plusIvEEiEEDaPvRmT3_T4_T5_mT6_P12ihipStream_tbENKUlT_T0_E_clISt17integral_constantIbLb1EESV_IbLb0EEEEDaSR_SS_EUlSR_E0_NS1_11comp_targetILNS1_3genE3ELNS1_11target_archE908ELNS1_3gpuE7ELNS1_3repE0EEENS1_30default_config_static_selectorELNS0_4arch9wavefront6targetE1EEEvT1_
	.globl	_ZN7rocprim17ROCPRIM_400000_NS6detail17trampoline_kernelINS0_14default_configENS1_20scan_config_selectorIiEEZZNS1_9scan_implILNS1_25lookback_scan_determinismE0ELb1ELb1ES3_N6thrust23THRUST_200600_302600_NS6detail15normal_iteratorINS9_10device_ptrIjEEEENSB_INSC_IiEEEEiNS9_4plusIvEEiEEDaPvRmT3_T4_T5_mT6_P12ihipStream_tbENKUlT_T0_E_clISt17integral_constantIbLb1EESV_IbLb0EEEEDaSR_SS_EUlSR_E0_NS1_11comp_targetILNS1_3genE3ELNS1_11target_archE908ELNS1_3gpuE7ELNS1_3repE0EEENS1_30default_config_static_selectorELNS0_4arch9wavefront6targetE1EEEvT1_
	.p2align	8
	.type	_ZN7rocprim17ROCPRIM_400000_NS6detail17trampoline_kernelINS0_14default_configENS1_20scan_config_selectorIiEEZZNS1_9scan_implILNS1_25lookback_scan_determinismE0ELb1ELb1ES3_N6thrust23THRUST_200600_302600_NS6detail15normal_iteratorINS9_10device_ptrIjEEEENSB_INSC_IiEEEEiNS9_4plusIvEEiEEDaPvRmT3_T4_T5_mT6_P12ihipStream_tbENKUlT_T0_E_clISt17integral_constantIbLb1EESV_IbLb0EEEEDaSR_SS_EUlSR_E0_NS1_11comp_targetILNS1_3genE3ELNS1_11target_archE908ELNS1_3gpuE7ELNS1_3repE0EEENS1_30default_config_static_selectorELNS0_4arch9wavefront6targetE1EEEvT1_,@function
_ZN7rocprim17ROCPRIM_400000_NS6detail17trampoline_kernelINS0_14default_configENS1_20scan_config_selectorIiEEZZNS1_9scan_implILNS1_25lookback_scan_determinismE0ELb1ELb1ES3_N6thrust23THRUST_200600_302600_NS6detail15normal_iteratorINS9_10device_ptrIjEEEENSB_INSC_IiEEEEiNS9_4plusIvEEiEEDaPvRmT3_T4_T5_mT6_P12ihipStream_tbENKUlT_T0_E_clISt17integral_constantIbLb1EESV_IbLb0EEEEDaSR_SS_EUlSR_E0_NS1_11comp_targetILNS1_3genE3ELNS1_11target_archE908ELNS1_3gpuE7ELNS1_3repE0EEENS1_30default_config_static_selectorELNS0_4arch9wavefront6targetE1EEEvT1_: ; @_ZN7rocprim17ROCPRIM_400000_NS6detail17trampoline_kernelINS0_14default_configENS1_20scan_config_selectorIiEEZZNS1_9scan_implILNS1_25lookback_scan_determinismE0ELb1ELb1ES3_N6thrust23THRUST_200600_302600_NS6detail15normal_iteratorINS9_10device_ptrIjEEEENSB_INSC_IiEEEEiNS9_4plusIvEEiEEDaPvRmT3_T4_T5_mT6_P12ihipStream_tbENKUlT_T0_E_clISt17integral_constantIbLb1EESV_IbLb0EEEEDaSR_SS_EUlSR_E0_NS1_11comp_targetILNS1_3genE3ELNS1_11target_archE908ELNS1_3gpuE7ELNS1_3repE0EEENS1_30default_config_static_selectorELNS0_4arch9wavefront6targetE1EEEvT1_
; %bb.0:
	.section	.rodata,"a",@progbits
	.p2align	6, 0x0
	.amdhsa_kernel _ZN7rocprim17ROCPRIM_400000_NS6detail17trampoline_kernelINS0_14default_configENS1_20scan_config_selectorIiEEZZNS1_9scan_implILNS1_25lookback_scan_determinismE0ELb1ELb1ES3_N6thrust23THRUST_200600_302600_NS6detail15normal_iteratorINS9_10device_ptrIjEEEENSB_INSC_IiEEEEiNS9_4plusIvEEiEEDaPvRmT3_T4_T5_mT6_P12ihipStream_tbENKUlT_T0_E_clISt17integral_constantIbLb1EESV_IbLb0EEEEDaSR_SS_EUlSR_E0_NS1_11comp_targetILNS1_3genE3ELNS1_11target_archE908ELNS1_3gpuE7ELNS1_3repE0EEENS1_30default_config_static_selectorELNS0_4arch9wavefront6targetE1EEEvT1_
		.amdhsa_group_segment_fixed_size 0
		.amdhsa_private_segment_fixed_size 0
		.amdhsa_kernarg_size 32
		.amdhsa_user_sgpr_count 6
		.amdhsa_user_sgpr_private_segment_buffer 1
		.amdhsa_user_sgpr_dispatch_ptr 0
		.amdhsa_user_sgpr_queue_ptr 0
		.amdhsa_user_sgpr_kernarg_segment_ptr 1
		.amdhsa_user_sgpr_dispatch_id 0
		.amdhsa_user_sgpr_flat_scratch_init 0
		.amdhsa_user_sgpr_kernarg_preload_length 0
		.amdhsa_user_sgpr_kernarg_preload_offset 0
		.amdhsa_user_sgpr_private_segment_size 0
		.amdhsa_uses_dynamic_stack 0
		.amdhsa_system_sgpr_private_segment_wavefront_offset 0
		.amdhsa_system_sgpr_workgroup_id_x 1
		.amdhsa_system_sgpr_workgroup_id_y 0
		.amdhsa_system_sgpr_workgroup_id_z 0
		.amdhsa_system_sgpr_workgroup_info 0
		.amdhsa_system_vgpr_workitem_id 0
		.amdhsa_next_free_vgpr 1
		.amdhsa_next_free_sgpr 0
		.amdhsa_accum_offset 4
		.amdhsa_reserve_vcc 0
		.amdhsa_reserve_flat_scratch 0
		.amdhsa_float_round_mode_32 0
		.amdhsa_float_round_mode_16_64 0
		.amdhsa_float_denorm_mode_32 3
		.amdhsa_float_denorm_mode_16_64 3
		.amdhsa_dx10_clamp 1
		.amdhsa_ieee_mode 1
		.amdhsa_fp16_overflow 0
		.amdhsa_tg_split 0
		.amdhsa_exception_fp_ieee_invalid_op 0
		.amdhsa_exception_fp_denorm_src 0
		.amdhsa_exception_fp_ieee_div_zero 0
		.amdhsa_exception_fp_ieee_overflow 0
		.amdhsa_exception_fp_ieee_underflow 0
		.amdhsa_exception_fp_ieee_inexact 0
		.amdhsa_exception_int_div_zero 0
	.end_amdhsa_kernel
	.section	.text._ZN7rocprim17ROCPRIM_400000_NS6detail17trampoline_kernelINS0_14default_configENS1_20scan_config_selectorIiEEZZNS1_9scan_implILNS1_25lookback_scan_determinismE0ELb1ELb1ES3_N6thrust23THRUST_200600_302600_NS6detail15normal_iteratorINS9_10device_ptrIjEEEENSB_INSC_IiEEEEiNS9_4plusIvEEiEEDaPvRmT3_T4_T5_mT6_P12ihipStream_tbENKUlT_T0_E_clISt17integral_constantIbLb1EESV_IbLb0EEEEDaSR_SS_EUlSR_E0_NS1_11comp_targetILNS1_3genE3ELNS1_11target_archE908ELNS1_3gpuE7ELNS1_3repE0EEENS1_30default_config_static_selectorELNS0_4arch9wavefront6targetE1EEEvT1_,"axG",@progbits,_ZN7rocprim17ROCPRIM_400000_NS6detail17trampoline_kernelINS0_14default_configENS1_20scan_config_selectorIiEEZZNS1_9scan_implILNS1_25lookback_scan_determinismE0ELb1ELb1ES3_N6thrust23THRUST_200600_302600_NS6detail15normal_iteratorINS9_10device_ptrIjEEEENSB_INSC_IiEEEEiNS9_4plusIvEEiEEDaPvRmT3_T4_T5_mT6_P12ihipStream_tbENKUlT_T0_E_clISt17integral_constantIbLb1EESV_IbLb0EEEEDaSR_SS_EUlSR_E0_NS1_11comp_targetILNS1_3genE3ELNS1_11target_archE908ELNS1_3gpuE7ELNS1_3repE0EEENS1_30default_config_static_selectorELNS0_4arch9wavefront6targetE1EEEvT1_,comdat
.Lfunc_end6280:
	.size	_ZN7rocprim17ROCPRIM_400000_NS6detail17trampoline_kernelINS0_14default_configENS1_20scan_config_selectorIiEEZZNS1_9scan_implILNS1_25lookback_scan_determinismE0ELb1ELb1ES3_N6thrust23THRUST_200600_302600_NS6detail15normal_iteratorINS9_10device_ptrIjEEEENSB_INSC_IiEEEEiNS9_4plusIvEEiEEDaPvRmT3_T4_T5_mT6_P12ihipStream_tbENKUlT_T0_E_clISt17integral_constantIbLb1EESV_IbLb0EEEEDaSR_SS_EUlSR_E0_NS1_11comp_targetILNS1_3genE3ELNS1_11target_archE908ELNS1_3gpuE7ELNS1_3repE0EEENS1_30default_config_static_selectorELNS0_4arch9wavefront6targetE1EEEvT1_, .Lfunc_end6280-_ZN7rocprim17ROCPRIM_400000_NS6detail17trampoline_kernelINS0_14default_configENS1_20scan_config_selectorIiEEZZNS1_9scan_implILNS1_25lookback_scan_determinismE0ELb1ELb1ES3_N6thrust23THRUST_200600_302600_NS6detail15normal_iteratorINS9_10device_ptrIjEEEENSB_INSC_IiEEEEiNS9_4plusIvEEiEEDaPvRmT3_T4_T5_mT6_P12ihipStream_tbENKUlT_T0_E_clISt17integral_constantIbLb1EESV_IbLb0EEEEDaSR_SS_EUlSR_E0_NS1_11comp_targetILNS1_3genE3ELNS1_11target_archE908ELNS1_3gpuE7ELNS1_3repE0EEENS1_30default_config_static_selectorELNS0_4arch9wavefront6targetE1EEEvT1_
                                        ; -- End function
	.section	.AMDGPU.csdata,"",@progbits
; Kernel info:
; codeLenInByte = 0
; NumSgprs: 4
; NumVgprs: 0
; NumAgprs: 0
; TotalNumVgprs: 0
; ScratchSize: 0
; MemoryBound: 0
; FloatMode: 240
; IeeeMode: 1
; LDSByteSize: 0 bytes/workgroup (compile time only)
; SGPRBlocks: 0
; VGPRBlocks: 0
; NumSGPRsForWavesPerEU: 4
; NumVGPRsForWavesPerEU: 1
; AccumOffset: 4
; Occupancy: 8
; WaveLimiterHint : 0
; COMPUTE_PGM_RSRC2:SCRATCH_EN: 0
; COMPUTE_PGM_RSRC2:USER_SGPR: 6
; COMPUTE_PGM_RSRC2:TRAP_HANDLER: 0
; COMPUTE_PGM_RSRC2:TGID_X_EN: 1
; COMPUTE_PGM_RSRC2:TGID_Y_EN: 0
; COMPUTE_PGM_RSRC2:TGID_Z_EN: 0
; COMPUTE_PGM_RSRC2:TIDIG_COMP_CNT: 0
; COMPUTE_PGM_RSRC3_GFX90A:ACCUM_OFFSET: 0
; COMPUTE_PGM_RSRC3_GFX90A:TG_SPLIT: 0
	.section	.text._ZN7rocprim17ROCPRIM_400000_NS6detail17trampoline_kernelINS0_14default_configENS1_20scan_config_selectorIiEEZZNS1_9scan_implILNS1_25lookback_scan_determinismE0ELb1ELb1ES3_N6thrust23THRUST_200600_302600_NS6detail15normal_iteratorINS9_10device_ptrIjEEEENSB_INSC_IiEEEEiNS9_4plusIvEEiEEDaPvRmT3_T4_T5_mT6_P12ihipStream_tbENKUlT_T0_E_clISt17integral_constantIbLb1EESV_IbLb0EEEEDaSR_SS_EUlSR_E0_NS1_11comp_targetILNS1_3genE2ELNS1_11target_archE906ELNS1_3gpuE6ELNS1_3repE0EEENS1_30default_config_static_selectorELNS0_4arch9wavefront6targetE1EEEvT1_,"axG",@progbits,_ZN7rocprim17ROCPRIM_400000_NS6detail17trampoline_kernelINS0_14default_configENS1_20scan_config_selectorIiEEZZNS1_9scan_implILNS1_25lookback_scan_determinismE0ELb1ELb1ES3_N6thrust23THRUST_200600_302600_NS6detail15normal_iteratorINS9_10device_ptrIjEEEENSB_INSC_IiEEEEiNS9_4plusIvEEiEEDaPvRmT3_T4_T5_mT6_P12ihipStream_tbENKUlT_T0_E_clISt17integral_constantIbLb1EESV_IbLb0EEEEDaSR_SS_EUlSR_E0_NS1_11comp_targetILNS1_3genE2ELNS1_11target_archE906ELNS1_3gpuE6ELNS1_3repE0EEENS1_30default_config_static_selectorELNS0_4arch9wavefront6targetE1EEEvT1_,comdat
	.protected	_ZN7rocprim17ROCPRIM_400000_NS6detail17trampoline_kernelINS0_14default_configENS1_20scan_config_selectorIiEEZZNS1_9scan_implILNS1_25lookback_scan_determinismE0ELb1ELb1ES3_N6thrust23THRUST_200600_302600_NS6detail15normal_iteratorINS9_10device_ptrIjEEEENSB_INSC_IiEEEEiNS9_4plusIvEEiEEDaPvRmT3_T4_T5_mT6_P12ihipStream_tbENKUlT_T0_E_clISt17integral_constantIbLb1EESV_IbLb0EEEEDaSR_SS_EUlSR_E0_NS1_11comp_targetILNS1_3genE2ELNS1_11target_archE906ELNS1_3gpuE6ELNS1_3repE0EEENS1_30default_config_static_selectorELNS0_4arch9wavefront6targetE1EEEvT1_ ; -- Begin function _ZN7rocprim17ROCPRIM_400000_NS6detail17trampoline_kernelINS0_14default_configENS1_20scan_config_selectorIiEEZZNS1_9scan_implILNS1_25lookback_scan_determinismE0ELb1ELb1ES3_N6thrust23THRUST_200600_302600_NS6detail15normal_iteratorINS9_10device_ptrIjEEEENSB_INSC_IiEEEEiNS9_4plusIvEEiEEDaPvRmT3_T4_T5_mT6_P12ihipStream_tbENKUlT_T0_E_clISt17integral_constantIbLb1EESV_IbLb0EEEEDaSR_SS_EUlSR_E0_NS1_11comp_targetILNS1_3genE2ELNS1_11target_archE906ELNS1_3gpuE6ELNS1_3repE0EEENS1_30default_config_static_selectorELNS0_4arch9wavefront6targetE1EEEvT1_
	.globl	_ZN7rocprim17ROCPRIM_400000_NS6detail17trampoline_kernelINS0_14default_configENS1_20scan_config_selectorIiEEZZNS1_9scan_implILNS1_25lookback_scan_determinismE0ELb1ELb1ES3_N6thrust23THRUST_200600_302600_NS6detail15normal_iteratorINS9_10device_ptrIjEEEENSB_INSC_IiEEEEiNS9_4plusIvEEiEEDaPvRmT3_T4_T5_mT6_P12ihipStream_tbENKUlT_T0_E_clISt17integral_constantIbLb1EESV_IbLb0EEEEDaSR_SS_EUlSR_E0_NS1_11comp_targetILNS1_3genE2ELNS1_11target_archE906ELNS1_3gpuE6ELNS1_3repE0EEENS1_30default_config_static_selectorELNS0_4arch9wavefront6targetE1EEEvT1_
	.p2align	8
	.type	_ZN7rocprim17ROCPRIM_400000_NS6detail17trampoline_kernelINS0_14default_configENS1_20scan_config_selectorIiEEZZNS1_9scan_implILNS1_25lookback_scan_determinismE0ELb1ELb1ES3_N6thrust23THRUST_200600_302600_NS6detail15normal_iteratorINS9_10device_ptrIjEEEENSB_INSC_IiEEEEiNS9_4plusIvEEiEEDaPvRmT3_T4_T5_mT6_P12ihipStream_tbENKUlT_T0_E_clISt17integral_constantIbLb1EESV_IbLb0EEEEDaSR_SS_EUlSR_E0_NS1_11comp_targetILNS1_3genE2ELNS1_11target_archE906ELNS1_3gpuE6ELNS1_3repE0EEENS1_30default_config_static_selectorELNS0_4arch9wavefront6targetE1EEEvT1_,@function
_ZN7rocprim17ROCPRIM_400000_NS6detail17trampoline_kernelINS0_14default_configENS1_20scan_config_selectorIiEEZZNS1_9scan_implILNS1_25lookback_scan_determinismE0ELb1ELb1ES3_N6thrust23THRUST_200600_302600_NS6detail15normal_iteratorINS9_10device_ptrIjEEEENSB_INSC_IiEEEEiNS9_4plusIvEEiEEDaPvRmT3_T4_T5_mT6_P12ihipStream_tbENKUlT_T0_E_clISt17integral_constantIbLb1EESV_IbLb0EEEEDaSR_SS_EUlSR_E0_NS1_11comp_targetILNS1_3genE2ELNS1_11target_archE906ELNS1_3gpuE6ELNS1_3repE0EEENS1_30default_config_static_selectorELNS0_4arch9wavefront6targetE1EEEvT1_: ; @_ZN7rocprim17ROCPRIM_400000_NS6detail17trampoline_kernelINS0_14default_configENS1_20scan_config_selectorIiEEZZNS1_9scan_implILNS1_25lookback_scan_determinismE0ELb1ELb1ES3_N6thrust23THRUST_200600_302600_NS6detail15normal_iteratorINS9_10device_ptrIjEEEENSB_INSC_IiEEEEiNS9_4plusIvEEiEEDaPvRmT3_T4_T5_mT6_P12ihipStream_tbENKUlT_T0_E_clISt17integral_constantIbLb1EESV_IbLb0EEEEDaSR_SS_EUlSR_E0_NS1_11comp_targetILNS1_3genE2ELNS1_11target_archE906ELNS1_3gpuE6ELNS1_3repE0EEENS1_30default_config_static_selectorELNS0_4arch9wavefront6targetE1EEEvT1_
; %bb.0:
	.section	.rodata,"a",@progbits
	.p2align	6, 0x0
	.amdhsa_kernel _ZN7rocprim17ROCPRIM_400000_NS6detail17trampoline_kernelINS0_14default_configENS1_20scan_config_selectorIiEEZZNS1_9scan_implILNS1_25lookback_scan_determinismE0ELb1ELb1ES3_N6thrust23THRUST_200600_302600_NS6detail15normal_iteratorINS9_10device_ptrIjEEEENSB_INSC_IiEEEEiNS9_4plusIvEEiEEDaPvRmT3_T4_T5_mT6_P12ihipStream_tbENKUlT_T0_E_clISt17integral_constantIbLb1EESV_IbLb0EEEEDaSR_SS_EUlSR_E0_NS1_11comp_targetILNS1_3genE2ELNS1_11target_archE906ELNS1_3gpuE6ELNS1_3repE0EEENS1_30default_config_static_selectorELNS0_4arch9wavefront6targetE1EEEvT1_
		.amdhsa_group_segment_fixed_size 0
		.amdhsa_private_segment_fixed_size 0
		.amdhsa_kernarg_size 32
		.amdhsa_user_sgpr_count 6
		.amdhsa_user_sgpr_private_segment_buffer 1
		.amdhsa_user_sgpr_dispatch_ptr 0
		.amdhsa_user_sgpr_queue_ptr 0
		.amdhsa_user_sgpr_kernarg_segment_ptr 1
		.amdhsa_user_sgpr_dispatch_id 0
		.amdhsa_user_sgpr_flat_scratch_init 0
		.amdhsa_user_sgpr_kernarg_preload_length 0
		.amdhsa_user_sgpr_kernarg_preload_offset 0
		.amdhsa_user_sgpr_private_segment_size 0
		.amdhsa_uses_dynamic_stack 0
		.amdhsa_system_sgpr_private_segment_wavefront_offset 0
		.amdhsa_system_sgpr_workgroup_id_x 1
		.amdhsa_system_sgpr_workgroup_id_y 0
		.amdhsa_system_sgpr_workgroup_id_z 0
		.amdhsa_system_sgpr_workgroup_info 0
		.amdhsa_system_vgpr_workitem_id 0
		.amdhsa_next_free_vgpr 1
		.amdhsa_next_free_sgpr 0
		.amdhsa_accum_offset 4
		.amdhsa_reserve_vcc 0
		.amdhsa_reserve_flat_scratch 0
		.amdhsa_float_round_mode_32 0
		.amdhsa_float_round_mode_16_64 0
		.amdhsa_float_denorm_mode_32 3
		.amdhsa_float_denorm_mode_16_64 3
		.amdhsa_dx10_clamp 1
		.amdhsa_ieee_mode 1
		.amdhsa_fp16_overflow 0
		.amdhsa_tg_split 0
		.amdhsa_exception_fp_ieee_invalid_op 0
		.amdhsa_exception_fp_denorm_src 0
		.amdhsa_exception_fp_ieee_div_zero 0
		.amdhsa_exception_fp_ieee_overflow 0
		.amdhsa_exception_fp_ieee_underflow 0
		.amdhsa_exception_fp_ieee_inexact 0
		.amdhsa_exception_int_div_zero 0
	.end_amdhsa_kernel
	.section	.text._ZN7rocprim17ROCPRIM_400000_NS6detail17trampoline_kernelINS0_14default_configENS1_20scan_config_selectorIiEEZZNS1_9scan_implILNS1_25lookback_scan_determinismE0ELb1ELb1ES3_N6thrust23THRUST_200600_302600_NS6detail15normal_iteratorINS9_10device_ptrIjEEEENSB_INSC_IiEEEEiNS9_4plusIvEEiEEDaPvRmT3_T4_T5_mT6_P12ihipStream_tbENKUlT_T0_E_clISt17integral_constantIbLb1EESV_IbLb0EEEEDaSR_SS_EUlSR_E0_NS1_11comp_targetILNS1_3genE2ELNS1_11target_archE906ELNS1_3gpuE6ELNS1_3repE0EEENS1_30default_config_static_selectorELNS0_4arch9wavefront6targetE1EEEvT1_,"axG",@progbits,_ZN7rocprim17ROCPRIM_400000_NS6detail17trampoline_kernelINS0_14default_configENS1_20scan_config_selectorIiEEZZNS1_9scan_implILNS1_25lookback_scan_determinismE0ELb1ELb1ES3_N6thrust23THRUST_200600_302600_NS6detail15normal_iteratorINS9_10device_ptrIjEEEENSB_INSC_IiEEEEiNS9_4plusIvEEiEEDaPvRmT3_T4_T5_mT6_P12ihipStream_tbENKUlT_T0_E_clISt17integral_constantIbLb1EESV_IbLb0EEEEDaSR_SS_EUlSR_E0_NS1_11comp_targetILNS1_3genE2ELNS1_11target_archE906ELNS1_3gpuE6ELNS1_3repE0EEENS1_30default_config_static_selectorELNS0_4arch9wavefront6targetE1EEEvT1_,comdat
.Lfunc_end6281:
	.size	_ZN7rocprim17ROCPRIM_400000_NS6detail17trampoline_kernelINS0_14default_configENS1_20scan_config_selectorIiEEZZNS1_9scan_implILNS1_25lookback_scan_determinismE0ELb1ELb1ES3_N6thrust23THRUST_200600_302600_NS6detail15normal_iteratorINS9_10device_ptrIjEEEENSB_INSC_IiEEEEiNS9_4plusIvEEiEEDaPvRmT3_T4_T5_mT6_P12ihipStream_tbENKUlT_T0_E_clISt17integral_constantIbLb1EESV_IbLb0EEEEDaSR_SS_EUlSR_E0_NS1_11comp_targetILNS1_3genE2ELNS1_11target_archE906ELNS1_3gpuE6ELNS1_3repE0EEENS1_30default_config_static_selectorELNS0_4arch9wavefront6targetE1EEEvT1_, .Lfunc_end6281-_ZN7rocprim17ROCPRIM_400000_NS6detail17trampoline_kernelINS0_14default_configENS1_20scan_config_selectorIiEEZZNS1_9scan_implILNS1_25lookback_scan_determinismE0ELb1ELb1ES3_N6thrust23THRUST_200600_302600_NS6detail15normal_iteratorINS9_10device_ptrIjEEEENSB_INSC_IiEEEEiNS9_4plusIvEEiEEDaPvRmT3_T4_T5_mT6_P12ihipStream_tbENKUlT_T0_E_clISt17integral_constantIbLb1EESV_IbLb0EEEEDaSR_SS_EUlSR_E0_NS1_11comp_targetILNS1_3genE2ELNS1_11target_archE906ELNS1_3gpuE6ELNS1_3repE0EEENS1_30default_config_static_selectorELNS0_4arch9wavefront6targetE1EEEvT1_
                                        ; -- End function
	.section	.AMDGPU.csdata,"",@progbits
; Kernel info:
; codeLenInByte = 0
; NumSgprs: 4
; NumVgprs: 0
; NumAgprs: 0
; TotalNumVgprs: 0
; ScratchSize: 0
; MemoryBound: 0
; FloatMode: 240
; IeeeMode: 1
; LDSByteSize: 0 bytes/workgroup (compile time only)
; SGPRBlocks: 0
; VGPRBlocks: 0
; NumSGPRsForWavesPerEU: 4
; NumVGPRsForWavesPerEU: 1
; AccumOffset: 4
; Occupancy: 8
; WaveLimiterHint : 0
; COMPUTE_PGM_RSRC2:SCRATCH_EN: 0
; COMPUTE_PGM_RSRC2:USER_SGPR: 6
; COMPUTE_PGM_RSRC2:TRAP_HANDLER: 0
; COMPUTE_PGM_RSRC2:TGID_X_EN: 1
; COMPUTE_PGM_RSRC2:TGID_Y_EN: 0
; COMPUTE_PGM_RSRC2:TGID_Z_EN: 0
; COMPUTE_PGM_RSRC2:TIDIG_COMP_CNT: 0
; COMPUTE_PGM_RSRC3_GFX90A:ACCUM_OFFSET: 0
; COMPUTE_PGM_RSRC3_GFX90A:TG_SPLIT: 0
	.section	.text._ZN7rocprim17ROCPRIM_400000_NS6detail17trampoline_kernelINS0_14default_configENS1_20scan_config_selectorIiEEZZNS1_9scan_implILNS1_25lookback_scan_determinismE0ELb1ELb1ES3_N6thrust23THRUST_200600_302600_NS6detail15normal_iteratorINS9_10device_ptrIjEEEENSB_INSC_IiEEEEiNS9_4plusIvEEiEEDaPvRmT3_T4_T5_mT6_P12ihipStream_tbENKUlT_T0_E_clISt17integral_constantIbLb1EESV_IbLb0EEEEDaSR_SS_EUlSR_E0_NS1_11comp_targetILNS1_3genE10ELNS1_11target_archE1201ELNS1_3gpuE5ELNS1_3repE0EEENS1_30default_config_static_selectorELNS0_4arch9wavefront6targetE1EEEvT1_,"axG",@progbits,_ZN7rocprim17ROCPRIM_400000_NS6detail17trampoline_kernelINS0_14default_configENS1_20scan_config_selectorIiEEZZNS1_9scan_implILNS1_25lookback_scan_determinismE0ELb1ELb1ES3_N6thrust23THRUST_200600_302600_NS6detail15normal_iteratorINS9_10device_ptrIjEEEENSB_INSC_IiEEEEiNS9_4plusIvEEiEEDaPvRmT3_T4_T5_mT6_P12ihipStream_tbENKUlT_T0_E_clISt17integral_constantIbLb1EESV_IbLb0EEEEDaSR_SS_EUlSR_E0_NS1_11comp_targetILNS1_3genE10ELNS1_11target_archE1201ELNS1_3gpuE5ELNS1_3repE0EEENS1_30default_config_static_selectorELNS0_4arch9wavefront6targetE1EEEvT1_,comdat
	.protected	_ZN7rocprim17ROCPRIM_400000_NS6detail17trampoline_kernelINS0_14default_configENS1_20scan_config_selectorIiEEZZNS1_9scan_implILNS1_25lookback_scan_determinismE0ELb1ELb1ES3_N6thrust23THRUST_200600_302600_NS6detail15normal_iteratorINS9_10device_ptrIjEEEENSB_INSC_IiEEEEiNS9_4plusIvEEiEEDaPvRmT3_T4_T5_mT6_P12ihipStream_tbENKUlT_T0_E_clISt17integral_constantIbLb1EESV_IbLb0EEEEDaSR_SS_EUlSR_E0_NS1_11comp_targetILNS1_3genE10ELNS1_11target_archE1201ELNS1_3gpuE5ELNS1_3repE0EEENS1_30default_config_static_selectorELNS0_4arch9wavefront6targetE1EEEvT1_ ; -- Begin function _ZN7rocprim17ROCPRIM_400000_NS6detail17trampoline_kernelINS0_14default_configENS1_20scan_config_selectorIiEEZZNS1_9scan_implILNS1_25lookback_scan_determinismE0ELb1ELb1ES3_N6thrust23THRUST_200600_302600_NS6detail15normal_iteratorINS9_10device_ptrIjEEEENSB_INSC_IiEEEEiNS9_4plusIvEEiEEDaPvRmT3_T4_T5_mT6_P12ihipStream_tbENKUlT_T0_E_clISt17integral_constantIbLb1EESV_IbLb0EEEEDaSR_SS_EUlSR_E0_NS1_11comp_targetILNS1_3genE10ELNS1_11target_archE1201ELNS1_3gpuE5ELNS1_3repE0EEENS1_30default_config_static_selectorELNS0_4arch9wavefront6targetE1EEEvT1_
	.globl	_ZN7rocprim17ROCPRIM_400000_NS6detail17trampoline_kernelINS0_14default_configENS1_20scan_config_selectorIiEEZZNS1_9scan_implILNS1_25lookback_scan_determinismE0ELb1ELb1ES3_N6thrust23THRUST_200600_302600_NS6detail15normal_iteratorINS9_10device_ptrIjEEEENSB_INSC_IiEEEEiNS9_4plusIvEEiEEDaPvRmT3_T4_T5_mT6_P12ihipStream_tbENKUlT_T0_E_clISt17integral_constantIbLb1EESV_IbLb0EEEEDaSR_SS_EUlSR_E0_NS1_11comp_targetILNS1_3genE10ELNS1_11target_archE1201ELNS1_3gpuE5ELNS1_3repE0EEENS1_30default_config_static_selectorELNS0_4arch9wavefront6targetE1EEEvT1_
	.p2align	8
	.type	_ZN7rocprim17ROCPRIM_400000_NS6detail17trampoline_kernelINS0_14default_configENS1_20scan_config_selectorIiEEZZNS1_9scan_implILNS1_25lookback_scan_determinismE0ELb1ELb1ES3_N6thrust23THRUST_200600_302600_NS6detail15normal_iteratorINS9_10device_ptrIjEEEENSB_INSC_IiEEEEiNS9_4plusIvEEiEEDaPvRmT3_T4_T5_mT6_P12ihipStream_tbENKUlT_T0_E_clISt17integral_constantIbLb1EESV_IbLb0EEEEDaSR_SS_EUlSR_E0_NS1_11comp_targetILNS1_3genE10ELNS1_11target_archE1201ELNS1_3gpuE5ELNS1_3repE0EEENS1_30default_config_static_selectorELNS0_4arch9wavefront6targetE1EEEvT1_,@function
_ZN7rocprim17ROCPRIM_400000_NS6detail17trampoline_kernelINS0_14default_configENS1_20scan_config_selectorIiEEZZNS1_9scan_implILNS1_25lookback_scan_determinismE0ELb1ELb1ES3_N6thrust23THRUST_200600_302600_NS6detail15normal_iteratorINS9_10device_ptrIjEEEENSB_INSC_IiEEEEiNS9_4plusIvEEiEEDaPvRmT3_T4_T5_mT6_P12ihipStream_tbENKUlT_T0_E_clISt17integral_constantIbLb1EESV_IbLb0EEEEDaSR_SS_EUlSR_E0_NS1_11comp_targetILNS1_3genE10ELNS1_11target_archE1201ELNS1_3gpuE5ELNS1_3repE0EEENS1_30default_config_static_selectorELNS0_4arch9wavefront6targetE1EEEvT1_: ; @_ZN7rocprim17ROCPRIM_400000_NS6detail17trampoline_kernelINS0_14default_configENS1_20scan_config_selectorIiEEZZNS1_9scan_implILNS1_25lookback_scan_determinismE0ELb1ELb1ES3_N6thrust23THRUST_200600_302600_NS6detail15normal_iteratorINS9_10device_ptrIjEEEENSB_INSC_IiEEEEiNS9_4plusIvEEiEEDaPvRmT3_T4_T5_mT6_P12ihipStream_tbENKUlT_T0_E_clISt17integral_constantIbLb1EESV_IbLb0EEEEDaSR_SS_EUlSR_E0_NS1_11comp_targetILNS1_3genE10ELNS1_11target_archE1201ELNS1_3gpuE5ELNS1_3repE0EEENS1_30default_config_static_selectorELNS0_4arch9wavefront6targetE1EEEvT1_
; %bb.0:
	.section	.rodata,"a",@progbits
	.p2align	6, 0x0
	.amdhsa_kernel _ZN7rocprim17ROCPRIM_400000_NS6detail17trampoline_kernelINS0_14default_configENS1_20scan_config_selectorIiEEZZNS1_9scan_implILNS1_25lookback_scan_determinismE0ELb1ELb1ES3_N6thrust23THRUST_200600_302600_NS6detail15normal_iteratorINS9_10device_ptrIjEEEENSB_INSC_IiEEEEiNS9_4plusIvEEiEEDaPvRmT3_T4_T5_mT6_P12ihipStream_tbENKUlT_T0_E_clISt17integral_constantIbLb1EESV_IbLb0EEEEDaSR_SS_EUlSR_E0_NS1_11comp_targetILNS1_3genE10ELNS1_11target_archE1201ELNS1_3gpuE5ELNS1_3repE0EEENS1_30default_config_static_selectorELNS0_4arch9wavefront6targetE1EEEvT1_
		.amdhsa_group_segment_fixed_size 0
		.amdhsa_private_segment_fixed_size 0
		.amdhsa_kernarg_size 32
		.amdhsa_user_sgpr_count 6
		.amdhsa_user_sgpr_private_segment_buffer 1
		.amdhsa_user_sgpr_dispatch_ptr 0
		.amdhsa_user_sgpr_queue_ptr 0
		.amdhsa_user_sgpr_kernarg_segment_ptr 1
		.amdhsa_user_sgpr_dispatch_id 0
		.amdhsa_user_sgpr_flat_scratch_init 0
		.amdhsa_user_sgpr_kernarg_preload_length 0
		.amdhsa_user_sgpr_kernarg_preload_offset 0
		.amdhsa_user_sgpr_private_segment_size 0
		.amdhsa_uses_dynamic_stack 0
		.amdhsa_system_sgpr_private_segment_wavefront_offset 0
		.amdhsa_system_sgpr_workgroup_id_x 1
		.amdhsa_system_sgpr_workgroup_id_y 0
		.amdhsa_system_sgpr_workgroup_id_z 0
		.amdhsa_system_sgpr_workgroup_info 0
		.amdhsa_system_vgpr_workitem_id 0
		.amdhsa_next_free_vgpr 1
		.amdhsa_next_free_sgpr 0
		.amdhsa_accum_offset 4
		.amdhsa_reserve_vcc 0
		.amdhsa_reserve_flat_scratch 0
		.amdhsa_float_round_mode_32 0
		.amdhsa_float_round_mode_16_64 0
		.amdhsa_float_denorm_mode_32 3
		.amdhsa_float_denorm_mode_16_64 3
		.amdhsa_dx10_clamp 1
		.amdhsa_ieee_mode 1
		.amdhsa_fp16_overflow 0
		.amdhsa_tg_split 0
		.amdhsa_exception_fp_ieee_invalid_op 0
		.amdhsa_exception_fp_denorm_src 0
		.amdhsa_exception_fp_ieee_div_zero 0
		.amdhsa_exception_fp_ieee_overflow 0
		.amdhsa_exception_fp_ieee_underflow 0
		.amdhsa_exception_fp_ieee_inexact 0
		.amdhsa_exception_int_div_zero 0
	.end_amdhsa_kernel
	.section	.text._ZN7rocprim17ROCPRIM_400000_NS6detail17trampoline_kernelINS0_14default_configENS1_20scan_config_selectorIiEEZZNS1_9scan_implILNS1_25lookback_scan_determinismE0ELb1ELb1ES3_N6thrust23THRUST_200600_302600_NS6detail15normal_iteratorINS9_10device_ptrIjEEEENSB_INSC_IiEEEEiNS9_4plusIvEEiEEDaPvRmT3_T4_T5_mT6_P12ihipStream_tbENKUlT_T0_E_clISt17integral_constantIbLb1EESV_IbLb0EEEEDaSR_SS_EUlSR_E0_NS1_11comp_targetILNS1_3genE10ELNS1_11target_archE1201ELNS1_3gpuE5ELNS1_3repE0EEENS1_30default_config_static_selectorELNS0_4arch9wavefront6targetE1EEEvT1_,"axG",@progbits,_ZN7rocprim17ROCPRIM_400000_NS6detail17trampoline_kernelINS0_14default_configENS1_20scan_config_selectorIiEEZZNS1_9scan_implILNS1_25lookback_scan_determinismE0ELb1ELb1ES3_N6thrust23THRUST_200600_302600_NS6detail15normal_iteratorINS9_10device_ptrIjEEEENSB_INSC_IiEEEEiNS9_4plusIvEEiEEDaPvRmT3_T4_T5_mT6_P12ihipStream_tbENKUlT_T0_E_clISt17integral_constantIbLb1EESV_IbLb0EEEEDaSR_SS_EUlSR_E0_NS1_11comp_targetILNS1_3genE10ELNS1_11target_archE1201ELNS1_3gpuE5ELNS1_3repE0EEENS1_30default_config_static_selectorELNS0_4arch9wavefront6targetE1EEEvT1_,comdat
.Lfunc_end6282:
	.size	_ZN7rocprim17ROCPRIM_400000_NS6detail17trampoline_kernelINS0_14default_configENS1_20scan_config_selectorIiEEZZNS1_9scan_implILNS1_25lookback_scan_determinismE0ELb1ELb1ES3_N6thrust23THRUST_200600_302600_NS6detail15normal_iteratorINS9_10device_ptrIjEEEENSB_INSC_IiEEEEiNS9_4plusIvEEiEEDaPvRmT3_T4_T5_mT6_P12ihipStream_tbENKUlT_T0_E_clISt17integral_constantIbLb1EESV_IbLb0EEEEDaSR_SS_EUlSR_E0_NS1_11comp_targetILNS1_3genE10ELNS1_11target_archE1201ELNS1_3gpuE5ELNS1_3repE0EEENS1_30default_config_static_selectorELNS0_4arch9wavefront6targetE1EEEvT1_, .Lfunc_end6282-_ZN7rocprim17ROCPRIM_400000_NS6detail17trampoline_kernelINS0_14default_configENS1_20scan_config_selectorIiEEZZNS1_9scan_implILNS1_25lookback_scan_determinismE0ELb1ELb1ES3_N6thrust23THRUST_200600_302600_NS6detail15normal_iteratorINS9_10device_ptrIjEEEENSB_INSC_IiEEEEiNS9_4plusIvEEiEEDaPvRmT3_T4_T5_mT6_P12ihipStream_tbENKUlT_T0_E_clISt17integral_constantIbLb1EESV_IbLb0EEEEDaSR_SS_EUlSR_E0_NS1_11comp_targetILNS1_3genE10ELNS1_11target_archE1201ELNS1_3gpuE5ELNS1_3repE0EEENS1_30default_config_static_selectorELNS0_4arch9wavefront6targetE1EEEvT1_
                                        ; -- End function
	.section	.AMDGPU.csdata,"",@progbits
; Kernel info:
; codeLenInByte = 0
; NumSgprs: 4
; NumVgprs: 0
; NumAgprs: 0
; TotalNumVgprs: 0
; ScratchSize: 0
; MemoryBound: 0
; FloatMode: 240
; IeeeMode: 1
; LDSByteSize: 0 bytes/workgroup (compile time only)
; SGPRBlocks: 0
; VGPRBlocks: 0
; NumSGPRsForWavesPerEU: 4
; NumVGPRsForWavesPerEU: 1
; AccumOffset: 4
; Occupancy: 8
; WaveLimiterHint : 0
; COMPUTE_PGM_RSRC2:SCRATCH_EN: 0
; COMPUTE_PGM_RSRC2:USER_SGPR: 6
; COMPUTE_PGM_RSRC2:TRAP_HANDLER: 0
; COMPUTE_PGM_RSRC2:TGID_X_EN: 1
; COMPUTE_PGM_RSRC2:TGID_Y_EN: 0
; COMPUTE_PGM_RSRC2:TGID_Z_EN: 0
; COMPUTE_PGM_RSRC2:TIDIG_COMP_CNT: 0
; COMPUTE_PGM_RSRC3_GFX90A:ACCUM_OFFSET: 0
; COMPUTE_PGM_RSRC3_GFX90A:TG_SPLIT: 0
	.section	.text._ZN7rocprim17ROCPRIM_400000_NS6detail17trampoline_kernelINS0_14default_configENS1_20scan_config_selectorIiEEZZNS1_9scan_implILNS1_25lookback_scan_determinismE0ELb1ELb1ES3_N6thrust23THRUST_200600_302600_NS6detail15normal_iteratorINS9_10device_ptrIjEEEENSB_INSC_IiEEEEiNS9_4plusIvEEiEEDaPvRmT3_T4_T5_mT6_P12ihipStream_tbENKUlT_T0_E_clISt17integral_constantIbLb1EESV_IbLb0EEEEDaSR_SS_EUlSR_E0_NS1_11comp_targetILNS1_3genE10ELNS1_11target_archE1200ELNS1_3gpuE4ELNS1_3repE0EEENS1_30default_config_static_selectorELNS0_4arch9wavefront6targetE1EEEvT1_,"axG",@progbits,_ZN7rocprim17ROCPRIM_400000_NS6detail17trampoline_kernelINS0_14default_configENS1_20scan_config_selectorIiEEZZNS1_9scan_implILNS1_25lookback_scan_determinismE0ELb1ELb1ES3_N6thrust23THRUST_200600_302600_NS6detail15normal_iteratorINS9_10device_ptrIjEEEENSB_INSC_IiEEEEiNS9_4plusIvEEiEEDaPvRmT3_T4_T5_mT6_P12ihipStream_tbENKUlT_T0_E_clISt17integral_constantIbLb1EESV_IbLb0EEEEDaSR_SS_EUlSR_E0_NS1_11comp_targetILNS1_3genE10ELNS1_11target_archE1200ELNS1_3gpuE4ELNS1_3repE0EEENS1_30default_config_static_selectorELNS0_4arch9wavefront6targetE1EEEvT1_,comdat
	.protected	_ZN7rocprim17ROCPRIM_400000_NS6detail17trampoline_kernelINS0_14default_configENS1_20scan_config_selectorIiEEZZNS1_9scan_implILNS1_25lookback_scan_determinismE0ELb1ELb1ES3_N6thrust23THRUST_200600_302600_NS6detail15normal_iteratorINS9_10device_ptrIjEEEENSB_INSC_IiEEEEiNS9_4plusIvEEiEEDaPvRmT3_T4_T5_mT6_P12ihipStream_tbENKUlT_T0_E_clISt17integral_constantIbLb1EESV_IbLb0EEEEDaSR_SS_EUlSR_E0_NS1_11comp_targetILNS1_3genE10ELNS1_11target_archE1200ELNS1_3gpuE4ELNS1_3repE0EEENS1_30default_config_static_selectorELNS0_4arch9wavefront6targetE1EEEvT1_ ; -- Begin function _ZN7rocprim17ROCPRIM_400000_NS6detail17trampoline_kernelINS0_14default_configENS1_20scan_config_selectorIiEEZZNS1_9scan_implILNS1_25lookback_scan_determinismE0ELb1ELb1ES3_N6thrust23THRUST_200600_302600_NS6detail15normal_iteratorINS9_10device_ptrIjEEEENSB_INSC_IiEEEEiNS9_4plusIvEEiEEDaPvRmT3_T4_T5_mT6_P12ihipStream_tbENKUlT_T0_E_clISt17integral_constantIbLb1EESV_IbLb0EEEEDaSR_SS_EUlSR_E0_NS1_11comp_targetILNS1_3genE10ELNS1_11target_archE1200ELNS1_3gpuE4ELNS1_3repE0EEENS1_30default_config_static_selectorELNS0_4arch9wavefront6targetE1EEEvT1_
	.globl	_ZN7rocprim17ROCPRIM_400000_NS6detail17trampoline_kernelINS0_14default_configENS1_20scan_config_selectorIiEEZZNS1_9scan_implILNS1_25lookback_scan_determinismE0ELb1ELb1ES3_N6thrust23THRUST_200600_302600_NS6detail15normal_iteratorINS9_10device_ptrIjEEEENSB_INSC_IiEEEEiNS9_4plusIvEEiEEDaPvRmT3_T4_T5_mT6_P12ihipStream_tbENKUlT_T0_E_clISt17integral_constantIbLb1EESV_IbLb0EEEEDaSR_SS_EUlSR_E0_NS1_11comp_targetILNS1_3genE10ELNS1_11target_archE1200ELNS1_3gpuE4ELNS1_3repE0EEENS1_30default_config_static_selectorELNS0_4arch9wavefront6targetE1EEEvT1_
	.p2align	8
	.type	_ZN7rocprim17ROCPRIM_400000_NS6detail17trampoline_kernelINS0_14default_configENS1_20scan_config_selectorIiEEZZNS1_9scan_implILNS1_25lookback_scan_determinismE0ELb1ELb1ES3_N6thrust23THRUST_200600_302600_NS6detail15normal_iteratorINS9_10device_ptrIjEEEENSB_INSC_IiEEEEiNS9_4plusIvEEiEEDaPvRmT3_T4_T5_mT6_P12ihipStream_tbENKUlT_T0_E_clISt17integral_constantIbLb1EESV_IbLb0EEEEDaSR_SS_EUlSR_E0_NS1_11comp_targetILNS1_3genE10ELNS1_11target_archE1200ELNS1_3gpuE4ELNS1_3repE0EEENS1_30default_config_static_selectorELNS0_4arch9wavefront6targetE1EEEvT1_,@function
_ZN7rocprim17ROCPRIM_400000_NS6detail17trampoline_kernelINS0_14default_configENS1_20scan_config_selectorIiEEZZNS1_9scan_implILNS1_25lookback_scan_determinismE0ELb1ELb1ES3_N6thrust23THRUST_200600_302600_NS6detail15normal_iteratorINS9_10device_ptrIjEEEENSB_INSC_IiEEEEiNS9_4plusIvEEiEEDaPvRmT3_T4_T5_mT6_P12ihipStream_tbENKUlT_T0_E_clISt17integral_constantIbLb1EESV_IbLb0EEEEDaSR_SS_EUlSR_E0_NS1_11comp_targetILNS1_3genE10ELNS1_11target_archE1200ELNS1_3gpuE4ELNS1_3repE0EEENS1_30default_config_static_selectorELNS0_4arch9wavefront6targetE1EEEvT1_: ; @_ZN7rocprim17ROCPRIM_400000_NS6detail17trampoline_kernelINS0_14default_configENS1_20scan_config_selectorIiEEZZNS1_9scan_implILNS1_25lookback_scan_determinismE0ELb1ELb1ES3_N6thrust23THRUST_200600_302600_NS6detail15normal_iteratorINS9_10device_ptrIjEEEENSB_INSC_IiEEEEiNS9_4plusIvEEiEEDaPvRmT3_T4_T5_mT6_P12ihipStream_tbENKUlT_T0_E_clISt17integral_constantIbLb1EESV_IbLb0EEEEDaSR_SS_EUlSR_E0_NS1_11comp_targetILNS1_3genE10ELNS1_11target_archE1200ELNS1_3gpuE4ELNS1_3repE0EEENS1_30default_config_static_selectorELNS0_4arch9wavefront6targetE1EEEvT1_
; %bb.0:
	.section	.rodata,"a",@progbits
	.p2align	6, 0x0
	.amdhsa_kernel _ZN7rocprim17ROCPRIM_400000_NS6detail17trampoline_kernelINS0_14default_configENS1_20scan_config_selectorIiEEZZNS1_9scan_implILNS1_25lookback_scan_determinismE0ELb1ELb1ES3_N6thrust23THRUST_200600_302600_NS6detail15normal_iteratorINS9_10device_ptrIjEEEENSB_INSC_IiEEEEiNS9_4plusIvEEiEEDaPvRmT3_T4_T5_mT6_P12ihipStream_tbENKUlT_T0_E_clISt17integral_constantIbLb1EESV_IbLb0EEEEDaSR_SS_EUlSR_E0_NS1_11comp_targetILNS1_3genE10ELNS1_11target_archE1200ELNS1_3gpuE4ELNS1_3repE0EEENS1_30default_config_static_selectorELNS0_4arch9wavefront6targetE1EEEvT1_
		.amdhsa_group_segment_fixed_size 0
		.amdhsa_private_segment_fixed_size 0
		.amdhsa_kernarg_size 32
		.amdhsa_user_sgpr_count 6
		.amdhsa_user_sgpr_private_segment_buffer 1
		.amdhsa_user_sgpr_dispatch_ptr 0
		.amdhsa_user_sgpr_queue_ptr 0
		.amdhsa_user_sgpr_kernarg_segment_ptr 1
		.amdhsa_user_sgpr_dispatch_id 0
		.amdhsa_user_sgpr_flat_scratch_init 0
		.amdhsa_user_sgpr_kernarg_preload_length 0
		.amdhsa_user_sgpr_kernarg_preload_offset 0
		.amdhsa_user_sgpr_private_segment_size 0
		.amdhsa_uses_dynamic_stack 0
		.amdhsa_system_sgpr_private_segment_wavefront_offset 0
		.amdhsa_system_sgpr_workgroup_id_x 1
		.amdhsa_system_sgpr_workgroup_id_y 0
		.amdhsa_system_sgpr_workgroup_id_z 0
		.amdhsa_system_sgpr_workgroup_info 0
		.amdhsa_system_vgpr_workitem_id 0
		.amdhsa_next_free_vgpr 1
		.amdhsa_next_free_sgpr 0
		.amdhsa_accum_offset 4
		.amdhsa_reserve_vcc 0
		.amdhsa_reserve_flat_scratch 0
		.amdhsa_float_round_mode_32 0
		.amdhsa_float_round_mode_16_64 0
		.amdhsa_float_denorm_mode_32 3
		.amdhsa_float_denorm_mode_16_64 3
		.amdhsa_dx10_clamp 1
		.amdhsa_ieee_mode 1
		.amdhsa_fp16_overflow 0
		.amdhsa_tg_split 0
		.amdhsa_exception_fp_ieee_invalid_op 0
		.amdhsa_exception_fp_denorm_src 0
		.amdhsa_exception_fp_ieee_div_zero 0
		.amdhsa_exception_fp_ieee_overflow 0
		.amdhsa_exception_fp_ieee_underflow 0
		.amdhsa_exception_fp_ieee_inexact 0
		.amdhsa_exception_int_div_zero 0
	.end_amdhsa_kernel
	.section	.text._ZN7rocprim17ROCPRIM_400000_NS6detail17trampoline_kernelINS0_14default_configENS1_20scan_config_selectorIiEEZZNS1_9scan_implILNS1_25lookback_scan_determinismE0ELb1ELb1ES3_N6thrust23THRUST_200600_302600_NS6detail15normal_iteratorINS9_10device_ptrIjEEEENSB_INSC_IiEEEEiNS9_4plusIvEEiEEDaPvRmT3_T4_T5_mT6_P12ihipStream_tbENKUlT_T0_E_clISt17integral_constantIbLb1EESV_IbLb0EEEEDaSR_SS_EUlSR_E0_NS1_11comp_targetILNS1_3genE10ELNS1_11target_archE1200ELNS1_3gpuE4ELNS1_3repE0EEENS1_30default_config_static_selectorELNS0_4arch9wavefront6targetE1EEEvT1_,"axG",@progbits,_ZN7rocprim17ROCPRIM_400000_NS6detail17trampoline_kernelINS0_14default_configENS1_20scan_config_selectorIiEEZZNS1_9scan_implILNS1_25lookback_scan_determinismE0ELb1ELb1ES3_N6thrust23THRUST_200600_302600_NS6detail15normal_iteratorINS9_10device_ptrIjEEEENSB_INSC_IiEEEEiNS9_4plusIvEEiEEDaPvRmT3_T4_T5_mT6_P12ihipStream_tbENKUlT_T0_E_clISt17integral_constantIbLb1EESV_IbLb0EEEEDaSR_SS_EUlSR_E0_NS1_11comp_targetILNS1_3genE10ELNS1_11target_archE1200ELNS1_3gpuE4ELNS1_3repE0EEENS1_30default_config_static_selectorELNS0_4arch9wavefront6targetE1EEEvT1_,comdat
.Lfunc_end6283:
	.size	_ZN7rocprim17ROCPRIM_400000_NS6detail17trampoline_kernelINS0_14default_configENS1_20scan_config_selectorIiEEZZNS1_9scan_implILNS1_25lookback_scan_determinismE0ELb1ELb1ES3_N6thrust23THRUST_200600_302600_NS6detail15normal_iteratorINS9_10device_ptrIjEEEENSB_INSC_IiEEEEiNS9_4plusIvEEiEEDaPvRmT3_T4_T5_mT6_P12ihipStream_tbENKUlT_T0_E_clISt17integral_constantIbLb1EESV_IbLb0EEEEDaSR_SS_EUlSR_E0_NS1_11comp_targetILNS1_3genE10ELNS1_11target_archE1200ELNS1_3gpuE4ELNS1_3repE0EEENS1_30default_config_static_selectorELNS0_4arch9wavefront6targetE1EEEvT1_, .Lfunc_end6283-_ZN7rocprim17ROCPRIM_400000_NS6detail17trampoline_kernelINS0_14default_configENS1_20scan_config_selectorIiEEZZNS1_9scan_implILNS1_25lookback_scan_determinismE0ELb1ELb1ES3_N6thrust23THRUST_200600_302600_NS6detail15normal_iteratorINS9_10device_ptrIjEEEENSB_INSC_IiEEEEiNS9_4plusIvEEiEEDaPvRmT3_T4_T5_mT6_P12ihipStream_tbENKUlT_T0_E_clISt17integral_constantIbLb1EESV_IbLb0EEEEDaSR_SS_EUlSR_E0_NS1_11comp_targetILNS1_3genE10ELNS1_11target_archE1200ELNS1_3gpuE4ELNS1_3repE0EEENS1_30default_config_static_selectorELNS0_4arch9wavefront6targetE1EEEvT1_
                                        ; -- End function
	.section	.AMDGPU.csdata,"",@progbits
; Kernel info:
; codeLenInByte = 0
; NumSgprs: 4
; NumVgprs: 0
; NumAgprs: 0
; TotalNumVgprs: 0
; ScratchSize: 0
; MemoryBound: 0
; FloatMode: 240
; IeeeMode: 1
; LDSByteSize: 0 bytes/workgroup (compile time only)
; SGPRBlocks: 0
; VGPRBlocks: 0
; NumSGPRsForWavesPerEU: 4
; NumVGPRsForWavesPerEU: 1
; AccumOffset: 4
; Occupancy: 8
; WaveLimiterHint : 0
; COMPUTE_PGM_RSRC2:SCRATCH_EN: 0
; COMPUTE_PGM_RSRC2:USER_SGPR: 6
; COMPUTE_PGM_RSRC2:TRAP_HANDLER: 0
; COMPUTE_PGM_RSRC2:TGID_X_EN: 1
; COMPUTE_PGM_RSRC2:TGID_Y_EN: 0
; COMPUTE_PGM_RSRC2:TGID_Z_EN: 0
; COMPUTE_PGM_RSRC2:TIDIG_COMP_CNT: 0
; COMPUTE_PGM_RSRC3_GFX90A:ACCUM_OFFSET: 0
; COMPUTE_PGM_RSRC3_GFX90A:TG_SPLIT: 0
	.section	.text._ZN7rocprim17ROCPRIM_400000_NS6detail17trampoline_kernelINS0_14default_configENS1_20scan_config_selectorIiEEZZNS1_9scan_implILNS1_25lookback_scan_determinismE0ELb1ELb1ES3_N6thrust23THRUST_200600_302600_NS6detail15normal_iteratorINS9_10device_ptrIjEEEENSB_INSC_IiEEEEiNS9_4plusIvEEiEEDaPvRmT3_T4_T5_mT6_P12ihipStream_tbENKUlT_T0_E_clISt17integral_constantIbLb1EESV_IbLb0EEEEDaSR_SS_EUlSR_E0_NS1_11comp_targetILNS1_3genE9ELNS1_11target_archE1100ELNS1_3gpuE3ELNS1_3repE0EEENS1_30default_config_static_selectorELNS0_4arch9wavefront6targetE1EEEvT1_,"axG",@progbits,_ZN7rocprim17ROCPRIM_400000_NS6detail17trampoline_kernelINS0_14default_configENS1_20scan_config_selectorIiEEZZNS1_9scan_implILNS1_25lookback_scan_determinismE0ELb1ELb1ES3_N6thrust23THRUST_200600_302600_NS6detail15normal_iteratorINS9_10device_ptrIjEEEENSB_INSC_IiEEEEiNS9_4plusIvEEiEEDaPvRmT3_T4_T5_mT6_P12ihipStream_tbENKUlT_T0_E_clISt17integral_constantIbLb1EESV_IbLb0EEEEDaSR_SS_EUlSR_E0_NS1_11comp_targetILNS1_3genE9ELNS1_11target_archE1100ELNS1_3gpuE3ELNS1_3repE0EEENS1_30default_config_static_selectorELNS0_4arch9wavefront6targetE1EEEvT1_,comdat
	.protected	_ZN7rocprim17ROCPRIM_400000_NS6detail17trampoline_kernelINS0_14default_configENS1_20scan_config_selectorIiEEZZNS1_9scan_implILNS1_25lookback_scan_determinismE0ELb1ELb1ES3_N6thrust23THRUST_200600_302600_NS6detail15normal_iteratorINS9_10device_ptrIjEEEENSB_INSC_IiEEEEiNS9_4plusIvEEiEEDaPvRmT3_T4_T5_mT6_P12ihipStream_tbENKUlT_T0_E_clISt17integral_constantIbLb1EESV_IbLb0EEEEDaSR_SS_EUlSR_E0_NS1_11comp_targetILNS1_3genE9ELNS1_11target_archE1100ELNS1_3gpuE3ELNS1_3repE0EEENS1_30default_config_static_selectorELNS0_4arch9wavefront6targetE1EEEvT1_ ; -- Begin function _ZN7rocprim17ROCPRIM_400000_NS6detail17trampoline_kernelINS0_14default_configENS1_20scan_config_selectorIiEEZZNS1_9scan_implILNS1_25lookback_scan_determinismE0ELb1ELb1ES3_N6thrust23THRUST_200600_302600_NS6detail15normal_iteratorINS9_10device_ptrIjEEEENSB_INSC_IiEEEEiNS9_4plusIvEEiEEDaPvRmT3_T4_T5_mT6_P12ihipStream_tbENKUlT_T0_E_clISt17integral_constantIbLb1EESV_IbLb0EEEEDaSR_SS_EUlSR_E0_NS1_11comp_targetILNS1_3genE9ELNS1_11target_archE1100ELNS1_3gpuE3ELNS1_3repE0EEENS1_30default_config_static_selectorELNS0_4arch9wavefront6targetE1EEEvT1_
	.globl	_ZN7rocprim17ROCPRIM_400000_NS6detail17trampoline_kernelINS0_14default_configENS1_20scan_config_selectorIiEEZZNS1_9scan_implILNS1_25lookback_scan_determinismE0ELb1ELb1ES3_N6thrust23THRUST_200600_302600_NS6detail15normal_iteratorINS9_10device_ptrIjEEEENSB_INSC_IiEEEEiNS9_4plusIvEEiEEDaPvRmT3_T4_T5_mT6_P12ihipStream_tbENKUlT_T0_E_clISt17integral_constantIbLb1EESV_IbLb0EEEEDaSR_SS_EUlSR_E0_NS1_11comp_targetILNS1_3genE9ELNS1_11target_archE1100ELNS1_3gpuE3ELNS1_3repE0EEENS1_30default_config_static_selectorELNS0_4arch9wavefront6targetE1EEEvT1_
	.p2align	8
	.type	_ZN7rocprim17ROCPRIM_400000_NS6detail17trampoline_kernelINS0_14default_configENS1_20scan_config_selectorIiEEZZNS1_9scan_implILNS1_25lookback_scan_determinismE0ELb1ELb1ES3_N6thrust23THRUST_200600_302600_NS6detail15normal_iteratorINS9_10device_ptrIjEEEENSB_INSC_IiEEEEiNS9_4plusIvEEiEEDaPvRmT3_T4_T5_mT6_P12ihipStream_tbENKUlT_T0_E_clISt17integral_constantIbLb1EESV_IbLb0EEEEDaSR_SS_EUlSR_E0_NS1_11comp_targetILNS1_3genE9ELNS1_11target_archE1100ELNS1_3gpuE3ELNS1_3repE0EEENS1_30default_config_static_selectorELNS0_4arch9wavefront6targetE1EEEvT1_,@function
_ZN7rocprim17ROCPRIM_400000_NS6detail17trampoline_kernelINS0_14default_configENS1_20scan_config_selectorIiEEZZNS1_9scan_implILNS1_25lookback_scan_determinismE0ELb1ELb1ES3_N6thrust23THRUST_200600_302600_NS6detail15normal_iteratorINS9_10device_ptrIjEEEENSB_INSC_IiEEEEiNS9_4plusIvEEiEEDaPvRmT3_T4_T5_mT6_P12ihipStream_tbENKUlT_T0_E_clISt17integral_constantIbLb1EESV_IbLb0EEEEDaSR_SS_EUlSR_E0_NS1_11comp_targetILNS1_3genE9ELNS1_11target_archE1100ELNS1_3gpuE3ELNS1_3repE0EEENS1_30default_config_static_selectorELNS0_4arch9wavefront6targetE1EEEvT1_: ; @_ZN7rocprim17ROCPRIM_400000_NS6detail17trampoline_kernelINS0_14default_configENS1_20scan_config_selectorIiEEZZNS1_9scan_implILNS1_25lookback_scan_determinismE0ELb1ELb1ES3_N6thrust23THRUST_200600_302600_NS6detail15normal_iteratorINS9_10device_ptrIjEEEENSB_INSC_IiEEEEiNS9_4plusIvEEiEEDaPvRmT3_T4_T5_mT6_P12ihipStream_tbENKUlT_T0_E_clISt17integral_constantIbLb1EESV_IbLb0EEEEDaSR_SS_EUlSR_E0_NS1_11comp_targetILNS1_3genE9ELNS1_11target_archE1100ELNS1_3gpuE3ELNS1_3repE0EEENS1_30default_config_static_selectorELNS0_4arch9wavefront6targetE1EEEvT1_
; %bb.0:
	.section	.rodata,"a",@progbits
	.p2align	6, 0x0
	.amdhsa_kernel _ZN7rocprim17ROCPRIM_400000_NS6detail17trampoline_kernelINS0_14default_configENS1_20scan_config_selectorIiEEZZNS1_9scan_implILNS1_25lookback_scan_determinismE0ELb1ELb1ES3_N6thrust23THRUST_200600_302600_NS6detail15normal_iteratorINS9_10device_ptrIjEEEENSB_INSC_IiEEEEiNS9_4plusIvEEiEEDaPvRmT3_T4_T5_mT6_P12ihipStream_tbENKUlT_T0_E_clISt17integral_constantIbLb1EESV_IbLb0EEEEDaSR_SS_EUlSR_E0_NS1_11comp_targetILNS1_3genE9ELNS1_11target_archE1100ELNS1_3gpuE3ELNS1_3repE0EEENS1_30default_config_static_selectorELNS0_4arch9wavefront6targetE1EEEvT1_
		.amdhsa_group_segment_fixed_size 0
		.amdhsa_private_segment_fixed_size 0
		.amdhsa_kernarg_size 32
		.amdhsa_user_sgpr_count 6
		.amdhsa_user_sgpr_private_segment_buffer 1
		.amdhsa_user_sgpr_dispatch_ptr 0
		.amdhsa_user_sgpr_queue_ptr 0
		.amdhsa_user_sgpr_kernarg_segment_ptr 1
		.amdhsa_user_sgpr_dispatch_id 0
		.amdhsa_user_sgpr_flat_scratch_init 0
		.amdhsa_user_sgpr_kernarg_preload_length 0
		.amdhsa_user_sgpr_kernarg_preload_offset 0
		.amdhsa_user_sgpr_private_segment_size 0
		.amdhsa_uses_dynamic_stack 0
		.amdhsa_system_sgpr_private_segment_wavefront_offset 0
		.amdhsa_system_sgpr_workgroup_id_x 1
		.amdhsa_system_sgpr_workgroup_id_y 0
		.amdhsa_system_sgpr_workgroup_id_z 0
		.amdhsa_system_sgpr_workgroup_info 0
		.amdhsa_system_vgpr_workitem_id 0
		.amdhsa_next_free_vgpr 1
		.amdhsa_next_free_sgpr 0
		.amdhsa_accum_offset 4
		.amdhsa_reserve_vcc 0
		.amdhsa_reserve_flat_scratch 0
		.amdhsa_float_round_mode_32 0
		.amdhsa_float_round_mode_16_64 0
		.amdhsa_float_denorm_mode_32 3
		.amdhsa_float_denorm_mode_16_64 3
		.amdhsa_dx10_clamp 1
		.amdhsa_ieee_mode 1
		.amdhsa_fp16_overflow 0
		.amdhsa_tg_split 0
		.amdhsa_exception_fp_ieee_invalid_op 0
		.amdhsa_exception_fp_denorm_src 0
		.amdhsa_exception_fp_ieee_div_zero 0
		.amdhsa_exception_fp_ieee_overflow 0
		.amdhsa_exception_fp_ieee_underflow 0
		.amdhsa_exception_fp_ieee_inexact 0
		.amdhsa_exception_int_div_zero 0
	.end_amdhsa_kernel
	.section	.text._ZN7rocprim17ROCPRIM_400000_NS6detail17trampoline_kernelINS0_14default_configENS1_20scan_config_selectorIiEEZZNS1_9scan_implILNS1_25lookback_scan_determinismE0ELb1ELb1ES3_N6thrust23THRUST_200600_302600_NS6detail15normal_iteratorINS9_10device_ptrIjEEEENSB_INSC_IiEEEEiNS9_4plusIvEEiEEDaPvRmT3_T4_T5_mT6_P12ihipStream_tbENKUlT_T0_E_clISt17integral_constantIbLb1EESV_IbLb0EEEEDaSR_SS_EUlSR_E0_NS1_11comp_targetILNS1_3genE9ELNS1_11target_archE1100ELNS1_3gpuE3ELNS1_3repE0EEENS1_30default_config_static_selectorELNS0_4arch9wavefront6targetE1EEEvT1_,"axG",@progbits,_ZN7rocprim17ROCPRIM_400000_NS6detail17trampoline_kernelINS0_14default_configENS1_20scan_config_selectorIiEEZZNS1_9scan_implILNS1_25lookback_scan_determinismE0ELb1ELb1ES3_N6thrust23THRUST_200600_302600_NS6detail15normal_iteratorINS9_10device_ptrIjEEEENSB_INSC_IiEEEEiNS9_4plusIvEEiEEDaPvRmT3_T4_T5_mT6_P12ihipStream_tbENKUlT_T0_E_clISt17integral_constantIbLb1EESV_IbLb0EEEEDaSR_SS_EUlSR_E0_NS1_11comp_targetILNS1_3genE9ELNS1_11target_archE1100ELNS1_3gpuE3ELNS1_3repE0EEENS1_30default_config_static_selectorELNS0_4arch9wavefront6targetE1EEEvT1_,comdat
.Lfunc_end6284:
	.size	_ZN7rocprim17ROCPRIM_400000_NS6detail17trampoline_kernelINS0_14default_configENS1_20scan_config_selectorIiEEZZNS1_9scan_implILNS1_25lookback_scan_determinismE0ELb1ELb1ES3_N6thrust23THRUST_200600_302600_NS6detail15normal_iteratorINS9_10device_ptrIjEEEENSB_INSC_IiEEEEiNS9_4plusIvEEiEEDaPvRmT3_T4_T5_mT6_P12ihipStream_tbENKUlT_T0_E_clISt17integral_constantIbLb1EESV_IbLb0EEEEDaSR_SS_EUlSR_E0_NS1_11comp_targetILNS1_3genE9ELNS1_11target_archE1100ELNS1_3gpuE3ELNS1_3repE0EEENS1_30default_config_static_selectorELNS0_4arch9wavefront6targetE1EEEvT1_, .Lfunc_end6284-_ZN7rocprim17ROCPRIM_400000_NS6detail17trampoline_kernelINS0_14default_configENS1_20scan_config_selectorIiEEZZNS1_9scan_implILNS1_25lookback_scan_determinismE0ELb1ELb1ES3_N6thrust23THRUST_200600_302600_NS6detail15normal_iteratorINS9_10device_ptrIjEEEENSB_INSC_IiEEEEiNS9_4plusIvEEiEEDaPvRmT3_T4_T5_mT6_P12ihipStream_tbENKUlT_T0_E_clISt17integral_constantIbLb1EESV_IbLb0EEEEDaSR_SS_EUlSR_E0_NS1_11comp_targetILNS1_3genE9ELNS1_11target_archE1100ELNS1_3gpuE3ELNS1_3repE0EEENS1_30default_config_static_selectorELNS0_4arch9wavefront6targetE1EEEvT1_
                                        ; -- End function
	.section	.AMDGPU.csdata,"",@progbits
; Kernel info:
; codeLenInByte = 0
; NumSgprs: 4
; NumVgprs: 0
; NumAgprs: 0
; TotalNumVgprs: 0
; ScratchSize: 0
; MemoryBound: 0
; FloatMode: 240
; IeeeMode: 1
; LDSByteSize: 0 bytes/workgroup (compile time only)
; SGPRBlocks: 0
; VGPRBlocks: 0
; NumSGPRsForWavesPerEU: 4
; NumVGPRsForWavesPerEU: 1
; AccumOffset: 4
; Occupancy: 8
; WaveLimiterHint : 0
; COMPUTE_PGM_RSRC2:SCRATCH_EN: 0
; COMPUTE_PGM_RSRC2:USER_SGPR: 6
; COMPUTE_PGM_RSRC2:TRAP_HANDLER: 0
; COMPUTE_PGM_RSRC2:TGID_X_EN: 1
; COMPUTE_PGM_RSRC2:TGID_Y_EN: 0
; COMPUTE_PGM_RSRC2:TGID_Z_EN: 0
; COMPUTE_PGM_RSRC2:TIDIG_COMP_CNT: 0
; COMPUTE_PGM_RSRC3_GFX90A:ACCUM_OFFSET: 0
; COMPUTE_PGM_RSRC3_GFX90A:TG_SPLIT: 0
	.section	.text._ZN7rocprim17ROCPRIM_400000_NS6detail17trampoline_kernelINS0_14default_configENS1_20scan_config_selectorIiEEZZNS1_9scan_implILNS1_25lookback_scan_determinismE0ELb1ELb1ES3_N6thrust23THRUST_200600_302600_NS6detail15normal_iteratorINS9_10device_ptrIjEEEENSB_INSC_IiEEEEiNS9_4plusIvEEiEEDaPvRmT3_T4_T5_mT6_P12ihipStream_tbENKUlT_T0_E_clISt17integral_constantIbLb1EESV_IbLb0EEEEDaSR_SS_EUlSR_E0_NS1_11comp_targetILNS1_3genE8ELNS1_11target_archE1030ELNS1_3gpuE2ELNS1_3repE0EEENS1_30default_config_static_selectorELNS0_4arch9wavefront6targetE1EEEvT1_,"axG",@progbits,_ZN7rocprim17ROCPRIM_400000_NS6detail17trampoline_kernelINS0_14default_configENS1_20scan_config_selectorIiEEZZNS1_9scan_implILNS1_25lookback_scan_determinismE0ELb1ELb1ES3_N6thrust23THRUST_200600_302600_NS6detail15normal_iteratorINS9_10device_ptrIjEEEENSB_INSC_IiEEEEiNS9_4plusIvEEiEEDaPvRmT3_T4_T5_mT6_P12ihipStream_tbENKUlT_T0_E_clISt17integral_constantIbLb1EESV_IbLb0EEEEDaSR_SS_EUlSR_E0_NS1_11comp_targetILNS1_3genE8ELNS1_11target_archE1030ELNS1_3gpuE2ELNS1_3repE0EEENS1_30default_config_static_selectorELNS0_4arch9wavefront6targetE1EEEvT1_,comdat
	.protected	_ZN7rocprim17ROCPRIM_400000_NS6detail17trampoline_kernelINS0_14default_configENS1_20scan_config_selectorIiEEZZNS1_9scan_implILNS1_25lookback_scan_determinismE0ELb1ELb1ES3_N6thrust23THRUST_200600_302600_NS6detail15normal_iteratorINS9_10device_ptrIjEEEENSB_INSC_IiEEEEiNS9_4plusIvEEiEEDaPvRmT3_T4_T5_mT6_P12ihipStream_tbENKUlT_T0_E_clISt17integral_constantIbLb1EESV_IbLb0EEEEDaSR_SS_EUlSR_E0_NS1_11comp_targetILNS1_3genE8ELNS1_11target_archE1030ELNS1_3gpuE2ELNS1_3repE0EEENS1_30default_config_static_selectorELNS0_4arch9wavefront6targetE1EEEvT1_ ; -- Begin function _ZN7rocprim17ROCPRIM_400000_NS6detail17trampoline_kernelINS0_14default_configENS1_20scan_config_selectorIiEEZZNS1_9scan_implILNS1_25lookback_scan_determinismE0ELb1ELb1ES3_N6thrust23THRUST_200600_302600_NS6detail15normal_iteratorINS9_10device_ptrIjEEEENSB_INSC_IiEEEEiNS9_4plusIvEEiEEDaPvRmT3_T4_T5_mT6_P12ihipStream_tbENKUlT_T0_E_clISt17integral_constantIbLb1EESV_IbLb0EEEEDaSR_SS_EUlSR_E0_NS1_11comp_targetILNS1_3genE8ELNS1_11target_archE1030ELNS1_3gpuE2ELNS1_3repE0EEENS1_30default_config_static_selectorELNS0_4arch9wavefront6targetE1EEEvT1_
	.globl	_ZN7rocprim17ROCPRIM_400000_NS6detail17trampoline_kernelINS0_14default_configENS1_20scan_config_selectorIiEEZZNS1_9scan_implILNS1_25lookback_scan_determinismE0ELb1ELb1ES3_N6thrust23THRUST_200600_302600_NS6detail15normal_iteratorINS9_10device_ptrIjEEEENSB_INSC_IiEEEEiNS9_4plusIvEEiEEDaPvRmT3_T4_T5_mT6_P12ihipStream_tbENKUlT_T0_E_clISt17integral_constantIbLb1EESV_IbLb0EEEEDaSR_SS_EUlSR_E0_NS1_11comp_targetILNS1_3genE8ELNS1_11target_archE1030ELNS1_3gpuE2ELNS1_3repE0EEENS1_30default_config_static_selectorELNS0_4arch9wavefront6targetE1EEEvT1_
	.p2align	8
	.type	_ZN7rocprim17ROCPRIM_400000_NS6detail17trampoline_kernelINS0_14default_configENS1_20scan_config_selectorIiEEZZNS1_9scan_implILNS1_25lookback_scan_determinismE0ELb1ELb1ES3_N6thrust23THRUST_200600_302600_NS6detail15normal_iteratorINS9_10device_ptrIjEEEENSB_INSC_IiEEEEiNS9_4plusIvEEiEEDaPvRmT3_T4_T5_mT6_P12ihipStream_tbENKUlT_T0_E_clISt17integral_constantIbLb1EESV_IbLb0EEEEDaSR_SS_EUlSR_E0_NS1_11comp_targetILNS1_3genE8ELNS1_11target_archE1030ELNS1_3gpuE2ELNS1_3repE0EEENS1_30default_config_static_selectorELNS0_4arch9wavefront6targetE1EEEvT1_,@function
_ZN7rocprim17ROCPRIM_400000_NS6detail17trampoline_kernelINS0_14default_configENS1_20scan_config_selectorIiEEZZNS1_9scan_implILNS1_25lookback_scan_determinismE0ELb1ELb1ES3_N6thrust23THRUST_200600_302600_NS6detail15normal_iteratorINS9_10device_ptrIjEEEENSB_INSC_IiEEEEiNS9_4plusIvEEiEEDaPvRmT3_T4_T5_mT6_P12ihipStream_tbENKUlT_T0_E_clISt17integral_constantIbLb1EESV_IbLb0EEEEDaSR_SS_EUlSR_E0_NS1_11comp_targetILNS1_3genE8ELNS1_11target_archE1030ELNS1_3gpuE2ELNS1_3repE0EEENS1_30default_config_static_selectorELNS0_4arch9wavefront6targetE1EEEvT1_: ; @_ZN7rocprim17ROCPRIM_400000_NS6detail17trampoline_kernelINS0_14default_configENS1_20scan_config_selectorIiEEZZNS1_9scan_implILNS1_25lookback_scan_determinismE0ELb1ELb1ES3_N6thrust23THRUST_200600_302600_NS6detail15normal_iteratorINS9_10device_ptrIjEEEENSB_INSC_IiEEEEiNS9_4plusIvEEiEEDaPvRmT3_T4_T5_mT6_P12ihipStream_tbENKUlT_T0_E_clISt17integral_constantIbLb1EESV_IbLb0EEEEDaSR_SS_EUlSR_E0_NS1_11comp_targetILNS1_3genE8ELNS1_11target_archE1030ELNS1_3gpuE2ELNS1_3repE0EEENS1_30default_config_static_selectorELNS0_4arch9wavefront6targetE1EEEvT1_
; %bb.0:
	.section	.rodata,"a",@progbits
	.p2align	6, 0x0
	.amdhsa_kernel _ZN7rocprim17ROCPRIM_400000_NS6detail17trampoline_kernelINS0_14default_configENS1_20scan_config_selectorIiEEZZNS1_9scan_implILNS1_25lookback_scan_determinismE0ELb1ELb1ES3_N6thrust23THRUST_200600_302600_NS6detail15normal_iteratorINS9_10device_ptrIjEEEENSB_INSC_IiEEEEiNS9_4plusIvEEiEEDaPvRmT3_T4_T5_mT6_P12ihipStream_tbENKUlT_T0_E_clISt17integral_constantIbLb1EESV_IbLb0EEEEDaSR_SS_EUlSR_E0_NS1_11comp_targetILNS1_3genE8ELNS1_11target_archE1030ELNS1_3gpuE2ELNS1_3repE0EEENS1_30default_config_static_selectorELNS0_4arch9wavefront6targetE1EEEvT1_
		.amdhsa_group_segment_fixed_size 0
		.amdhsa_private_segment_fixed_size 0
		.amdhsa_kernarg_size 32
		.amdhsa_user_sgpr_count 6
		.amdhsa_user_sgpr_private_segment_buffer 1
		.amdhsa_user_sgpr_dispatch_ptr 0
		.amdhsa_user_sgpr_queue_ptr 0
		.amdhsa_user_sgpr_kernarg_segment_ptr 1
		.amdhsa_user_sgpr_dispatch_id 0
		.amdhsa_user_sgpr_flat_scratch_init 0
		.amdhsa_user_sgpr_kernarg_preload_length 0
		.amdhsa_user_sgpr_kernarg_preload_offset 0
		.amdhsa_user_sgpr_private_segment_size 0
		.amdhsa_uses_dynamic_stack 0
		.amdhsa_system_sgpr_private_segment_wavefront_offset 0
		.amdhsa_system_sgpr_workgroup_id_x 1
		.amdhsa_system_sgpr_workgroup_id_y 0
		.amdhsa_system_sgpr_workgroup_id_z 0
		.amdhsa_system_sgpr_workgroup_info 0
		.amdhsa_system_vgpr_workitem_id 0
		.amdhsa_next_free_vgpr 1
		.amdhsa_next_free_sgpr 0
		.amdhsa_accum_offset 4
		.amdhsa_reserve_vcc 0
		.amdhsa_reserve_flat_scratch 0
		.amdhsa_float_round_mode_32 0
		.amdhsa_float_round_mode_16_64 0
		.amdhsa_float_denorm_mode_32 3
		.amdhsa_float_denorm_mode_16_64 3
		.amdhsa_dx10_clamp 1
		.amdhsa_ieee_mode 1
		.amdhsa_fp16_overflow 0
		.amdhsa_tg_split 0
		.amdhsa_exception_fp_ieee_invalid_op 0
		.amdhsa_exception_fp_denorm_src 0
		.amdhsa_exception_fp_ieee_div_zero 0
		.amdhsa_exception_fp_ieee_overflow 0
		.amdhsa_exception_fp_ieee_underflow 0
		.amdhsa_exception_fp_ieee_inexact 0
		.amdhsa_exception_int_div_zero 0
	.end_amdhsa_kernel
	.section	.text._ZN7rocprim17ROCPRIM_400000_NS6detail17trampoline_kernelINS0_14default_configENS1_20scan_config_selectorIiEEZZNS1_9scan_implILNS1_25lookback_scan_determinismE0ELb1ELb1ES3_N6thrust23THRUST_200600_302600_NS6detail15normal_iteratorINS9_10device_ptrIjEEEENSB_INSC_IiEEEEiNS9_4plusIvEEiEEDaPvRmT3_T4_T5_mT6_P12ihipStream_tbENKUlT_T0_E_clISt17integral_constantIbLb1EESV_IbLb0EEEEDaSR_SS_EUlSR_E0_NS1_11comp_targetILNS1_3genE8ELNS1_11target_archE1030ELNS1_3gpuE2ELNS1_3repE0EEENS1_30default_config_static_selectorELNS0_4arch9wavefront6targetE1EEEvT1_,"axG",@progbits,_ZN7rocprim17ROCPRIM_400000_NS6detail17trampoline_kernelINS0_14default_configENS1_20scan_config_selectorIiEEZZNS1_9scan_implILNS1_25lookback_scan_determinismE0ELb1ELb1ES3_N6thrust23THRUST_200600_302600_NS6detail15normal_iteratorINS9_10device_ptrIjEEEENSB_INSC_IiEEEEiNS9_4plusIvEEiEEDaPvRmT3_T4_T5_mT6_P12ihipStream_tbENKUlT_T0_E_clISt17integral_constantIbLb1EESV_IbLb0EEEEDaSR_SS_EUlSR_E0_NS1_11comp_targetILNS1_3genE8ELNS1_11target_archE1030ELNS1_3gpuE2ELNS1_3repE0EEENS1_30default_config_static_selectorELNS0_4arch9wavefront6targetE1EEEvT1_,comdat
.Lfunc_end6285:
	.size	_ZN7rocprim17ROCPRIM_400000_NS6detail17trampoline_kernelINS0_14default_configENS1_20scan_config_selectorIiEEZZNS1_9scan_implILNS1_25lookback_scan_determinismE0ELb1ELb1ES3_N6thrust23THRUST_200600_302600_NS6detail15normal_iteratorINS9_10device_ptrIjEEEENSB_INSC_IiEEEEiNS9_4plusIvEEiEEDaPvRmT3_T4_T5_mT6_P12ihipStream_tbENKUlT_T0_E_clISt17integral_constantIbLb1EESV_IbLb0EEEEDaSR_SS_EUlSR_E0_NS1_11comp_targetILNS1_3genE8ELNS1_11target_archE1030ELNS1_3gpuE2ELNS1_3repE0EEENS1_30default_config_static_selectorELNS0_4arch9wavefront6targetE1EEEvT1_, .Lfunc_end6285-_ZN7rocprim17ROCPRIM_400000_NS6detail17trampoline_kernelINS0_14default_configENS1_20scan_config_selectorIiEEZZNS1_9scan_implILNS1_25lookback_scan_determinismE0ELb1ELb1ES3_N6thrust23THRUST_200600_302600_NS6detail15normal_iteratorINS9_10device_ptrIjEEEENSB_INSC_IiEEEEiNS9_4plusIvEEiEEDaPvRmT3_T4_T5_mT6_P12ihipStream_tbENKUlT_T0_E_clISt17integral_constantIbLb1EESV_IbLb0EEEEDaSR_SS_EUlSR_E0_NS1_11comp_targetILNS1_3genE8ELNS1_11target_archE1030ELNS1_3gpuE2ELNS1_3repE0EEENS1_30default_config_static_selectorELNS0_4arch9wavefront6targetE1EEEvT1_
                                        ; -- End function
	.section	.AMDGPU.csdata,"",@progbits
; Kernel info:
; codeLenInByte = 0
; NumSgprs: 4
; NumVgprs: 0
; NumAgprs: 0
; TotalNumVgprs: 0
; ScratchSize: 0
; MemoryBound: 0
; FloatMode: 240
; IeeeMode: 1
; LDSByteSize: 0 bytes/workgroup (compile time only)
; SGPRBlocks: 0
; VGPRBlocks: 0
; NumSGPRsForWavesPerEU: 4
; NumVGPRsForWavesPerEU: 1
; AccumOffset: 4
; Occupancy: 8
; WaveLimiterHint : 0
; COMPUTE_PGM_RSRC2:SCRATCH_EN: 0
; COMPUTE_PGM_RSRC2:USER_SGPR: 6
; COMPUTE_PGM_RSRC2:TRAP_HANDLER: 0
; COMPUTE_PGM_RSRC2:TGID_X_EN: 1
; COMPUTE_PGM_RSRC2:TGID_Y_EN: 0
; COMPUTE_PGM_RSRC2:TGID_Z_EN: 0
; COMPUTE_PGM_RSRC2:TIDIG_COMP_CNT: 0
; COMPUTE_PGM_RSRC3_GFX90A:ACCUM_OFFSET: 0
; COMPUTE_PGM_RSRC3_GFX90A:TG_SPLIT: 0
	.section	.text._ZN7rocprim17ROCPRIM_400000_NS6detail17trampoline_kernelINS0_14default_configENS1_20scan_config_selectorIiEEZZNS1_9scan_implILNS1_25lookback_scan_determinismE0ELb1ELb1ES3_N6thrust23THRUST_200600_302600_NS6detail15normal_iteratorINS9_10device_ptrIjEEEENSB_INSC_IiEEEEiNS9_4plusIvEEiEEDaPvRmT3_T4_T5_mT6_P12ihipStream_tbENKUlT_T0_E_clISt17integral_constantIbLb0EESV_IbLb1EEEEDaSR_SS_EUlSR_E_NS1_11comp_targetILNS1_3genE0ELNS1_11target_archE4294967295ELNS1_3gpuE0ELNS1_3repE0EEENS1_30default_config_static_selectorELNS0_4arch9wavefront6targetE1EEEvT1_,"axG",@progbits,_ZN7rocprim17ROCPRIM_400000_NS6detail17trampoline_kernelINS0_14default_configENS1_20scan_config_selectorIiEEZZNS1_9scan_implILNS1_25lookback_scan_determinismE0ELb1ELb1ES3_N6thrust23THRUST_200600_302600_NS6detail15normal_iteratorINS9_10device_ptrIjEEEENSB_INSC_IiEEEEiNS9_4plusIvEEiEEDaPvRmT3_T4_T5_mT6_P12ihipStream_tbENKUlT_T0_E_clISt17integral_constantIbLb0EESV_IbLb1EEEEDaSR_SS_EUlSR_E_NS1_11comp_targetILNS1_3genE0ELNS1_11target_archE4294967295ELNS1_3gpuE0ELNS1_3repE0EEENS1_30default_config_static_selectorELNS0_4arch9wavefront6targetE1EEEvT1_,comdat
	.protected	_ZN7rocprim17ROCPRIM_400000_NS6detail17trampoline_kernelINS0_14default_configENS1_20scan_config_selectorIiEEZZNS1_9scan_implILNS1_25lookback_scan_determinismE0ELb1ELb1ES3_N6thrust23THRUST_200600_302600_NS6detail15normal_iteratorINS9_10device_ptrIjEEEENSB_INSC_IiEEEEiNS9_4plusIvEEiEEDaPvRmT3_T4_T5_mT6_P12ihipStream_tbENKUlT_T0_E_clISt17integral_constantIbLb0EESV_IbLb1EEEEDaSR_SS_EUlSR_E_NS1_11comp_targetILNS1_3genE0ELNS1_11target_archE4294967295ELNS1_3gpuE0ELNS1_3repE0EEENS1_30default_config_static_selectorELNS0_4arch9wavefront6targetE1EEEvT1_ ; -- Begin function _ZN7rocprim17ROCPRIM_400000_NS6detail17trampoline_kernelINS0_14default_configENS1_20scan_config_selectorIiEEZZNS1_9scan_implILNS1_25lookback_scan_determinismE0ELb1ELb1ES3_N6thrust23THRUST_200600_302600_NS6detail15normal_iteratorINS9_10device_ptrIjEEEENSB_INSC_IiEEEEiNS9_4plusIvEEiEEDaPvRmT3_T4_T5_mT6_P12ihipStream_tbENKUlT_T0_E_clISt17integral_constantIbLb0EESV_IbLb1EEEEDaSR_SS_EUlSR_E_NS1_11comp_targetILNS1_3genE0ELNS1_11target_archE4294967295ELNS1_3gpuE0ELNS1_3repE0EEENS1_30default_config_static_selectorELNS0_4arch9wavefront6targetE1EEEvT1_
	.globl	_ZN7rocprim17ROCPRIM_400000_NS6detail17trampoline_kernelINS0_14default_configENS1_20scan_config_selectorIiEEZZNS1_9scan_implILNS1_25lookback_scan_determinismE0ELb1ELb1ES3_N6thrust23THRUST_200600_302600_NS6detail15normal_iteratorINS9_10device_ptrIjEEEENSB_INSC_IiEEEEiNS9_4plusIvEEiEEDaPvRmT3_T4_T5_mT6_P12ihipStream_tbENKUlT_T0_E_clISt17integral_constantIbLb0EESV_IbLb1EEEEDaSR_SS_EUlSR_E_NS1_11comp_targetILNS1_3genE0ELNS1_11target_archE4294967295ELNS1_3gpuE0ELNS1_3repE0EEENS1_30default_config_static_selectorELNS0_4arch9wavefront6targetE1EEEvT1_
	.p2align	8
	.type	_ZN7rocprim17ROCPRIM_400000_NS6detail17trampoline_kernelINS0_14default_configENS1_20scan_config_selectorIiEEZZNS1_9scan_implILNS1_25lookback_scan_determinismE0ELb1ELb1ES3_N6thrust23THRUST_200600_302600_NS6detail15normal_iteratorINS9_10device_ptrIjEEEENSB_INSC_IiEEEEiNS9_4plusIvEEiEEDaPvRmT3_T4_T5_mT6_P12ihipStream_tbENKUlT_T0_E_clISt17integral_constantIbLb0EESV_IbLb1EEEEDaSR_SS_EUlSR_E_NS1_11comp_targetILNS1_3genE0ELNS1_11target_archE4294967295ELNS1_3gpuE0ELNS1_3repE0EEENS1_30default_config_static_selectorELNS0_4arch9wavefront6targetE1EEEvT1_,@function
_ZN7rocprim17ROCPRIM_400000_NS6detail17trampoline_kernelINS0_14default_configENS1_20scan_config_selectorIiEEZZNS1_9scan_implILNS1_25lookback_scan_determinismE0ELb1ELb1ES3_N6thrust23THRUST_200600_302600_NS6detail15normal_iteratorINS9_10device_ptrIjEEEENSB_INSC_IiEEEEiNS9_4plusIvEEiEEDaPvRmT3_T4_T5_mT6_P12ihipStream_tbENKUlT_T0_E_clISt17integral_constantIbLb0EESV_IbLb1EEEEDaSR_SS_EUlSR_E_NS1_11comp_targetILNS1_3genE0ELNS1_11target_archE4294967295ELNS1_3gpuE0ELNS1_3repE0EEENS1_30default_config_static_selectorELNS0_4arch9wavefront6targetE1EEEvT1_: ; @_ZN7rocprim17ROCPRIM_400000_NS6detail17trampoline_kernelINS0_14default_configENS1_20scan_config_selectorIiEEZZNS1_9scan_implILNS1_25lookback_scan_determinismE0ELb1ELb1ES3_N6thrust23THRUST_200600_302600_NS6detail15normal_iteratorINS9_10device_ptrIjEEEENSB_INSC_IiEEEEiNS9_4plusIvEEiEEDaPvRmT3_T4_T5_mT6_P12ihipStream_tbENKUlT_T0_E_clISt17integral_constantIbLb0EESV_IbLb1EEEEDaSR_SS_EUlSR_E_NS1_11comp_targetILNS1_3genE0ELNS1_11target_archE4294967295ELNS1_3gpuE0ELNS1_3repE0EEENS1_30default_config_static_selectorELNS0_4arch9wavefront6targetE1EEEvT1_
; %bb.0:
	.section	.rodata,"a",@progbits
	.p2align	6, 0x0
	.amdhsa_kernel _ZN7rocprim17ROCPRIM_400000_NS6detail17trampoline_kernelINS0_14default_configENS1_20scan_config_selectorIiEEZZNS1_9scan_implILNS1_25lookback_scan_determinismE0ELb1ELb1ES3_N6thrust23THRUST_200600_302600_NS6detail15normal_iteratorINS9_10device_ptrIjEEEENSB_INSC_IiEEEEiNS9_4plusIvEEiEEDaPvRmT3_T4_T5_mT6_P12ihipStream_tbENKUlT_T0_E_clISt17integral_constantIbLb0EESV_IbLb1EEEEDaSR_SS_EUlSR_E_NS1_11comp_targetILNS1_3genE0ELNS1_11target_archE4294967295ELNS1_3gpuE0ELNS1_3repE0EEENS1_30default_config_static_selectorELNS0_4arch9wavefront6targetE1EEEvT1_
		.amdhsa_group_segment_fixed_size 0
		.amdhsa_private_segment_fixed_size 0
		.amdhsa_kernarg_size 96
		.amdhsa_user_sgpr_count 6
		.amdhsa_user_sgpr_private_segment_buffer 1
		.amdhsa_user_sgpr_dispatch_ptr 0
		.amdhsa_user_sgpr_queue_ptr 0
		.amdhsa_user_sgpr_kernarg_segment_ptr 1
		.amdhsa_user_sgpr_dispatch_id 0
		.amdhsa_user_sgpr_flat_scratch_init 0
		.amdhsa_user_sgpr_kernarg_preload_length 0
		.amdhsa_user_sgpr_kernarg_preload_offset 0
		.amdhsa_user_sgpr_private_segment_size 0
		.amdhsa_uses_dynamic_stack 0
		.amdhsa_system_sgpr_private_segment_wavefront_offset 0
		.amdhsa_system_sgpr_workgroup_id_x 1
		.amdhsa_system_sgpr_workgroup_id_y 0
		.amdhsa_system_sgpr_workgroup_id_z 0
		.amdhsa_system_sgpr_workgroup_info 0
		.amdhsa_system_vgpr_workitem_id 0
		.amdhsa_next_free_vgpr 1
		.amdhsa_next_free_sgpr 0
		.amdhsa_accum_offset 4
		.amdhsa_reserve_vcc 0
		.amdhsa_reserve_flat_scratch 0
		.amdhsa_float_round_mode_32 0
		.amdhsa_float_round_mode_16_64 0
		.amdhsa_float_denorm_mode_32 3
		.amdhsa_float_denorm_mode_16_64 3
		.amdhsa_dx10_clamp 1
		.amdhsa_ieee_mode 1
		.amdhsa_fp16_overflow 0
		.amdhsa_tg_split 0
		.amdhsa_exception_fp_ieee_invalid_op 0
		.amdhsa_exception_fp_denorm_src 0
		.amdhsa_exception_fp_ieee_div_zero 0
		.amdhsa_exception_fp_ieee_overflow 0
		.amdhsa_exception_fp_ieee_underflow 0
		.amdhsa_exception_fp_ieee_inexact 0
		.amdhsa_exception_int_div_zero 0
	.end_amdhsa_kernel
	.section	.text._ZN7rocprim17ROCPRIM_400000_NS6detail17trampoline_kernelINS0_14default_configENS1_20scan_config_selectorIiEEZZNS1_9scan_implILNS1_25lookback_scan_determinismE0ELb1ELb1ES3_N6thrust23THRUST_200600_302600_NS6detail15normal_iteratorINS9_10device_ptrIjEEEENSB_INSC_IiEEEEiNS9_4plusIvEEiEEDaPvRmT3_T4_T5_mT6_P12ihipStream_tbENKUlT_T0_E_clISt17integral_constantIbLb0EESV_IbLb1EEEEDaSR_SS_EUlSR_E_NS1_11comp_targetILNS1_3genE0ELNS1_11target_archE4294967295ELNS1_3gpuE0ELNS1_3repE0EEENS1_30default_config_static_selectorELNS0_4arch9wavefront6targetE1EEEvT1_,"axG",@progbits,_ZN7rocprim17ROCPRIM_400000_NS6detail17trampoline_kernelINS0_14default_configENS1_20scan_config_selectorIiEEZZNS1_9scan_implILNS1_25lookback_scan_determinismE0ELb1ELb1ES3_N6thrust23THRUST_200600_302600_NS6detail15normal_iteratorINS9_10device_ptrIjEEEENSB_INSC_IiEEEEiNS9_4plusIvEEiEEDaPvRmT3_T4_T5_mT6_P12ihipStream_tbENKUlT_T0_E_clISt17integral_constantIbLb0EESV_IbLb1EEEEDaSR_SS_EUlSR_E_NS1_11comp_targetILNS1_3genE0ELNS1_11target_archE4294967295ELNS1_3gpuE0ELNS1_3repE0EEENS1_30default_config_static_selectorELNS0_4arch9wavefront6targetE1EEEvT1_,comdat
.Lfunc_end6286:
	.size	_ZN7rocprim17ROCPRIM_400000_NS6detail17trampoline_kernelINS0_14default_configENS1_20scan_config_selectorIiEEZZNS1_9scan_implILNS1_25lookback_scan_determinismE0ELb1ELb1ES3_N6thrust23THRUST_200600_302600_NS6detail15normal_iteratorINS9_10device_ptrIjEEEENSB_INSC_IiEEEEiNS9_4plusIvEEiEEDaPvRmT3_T4_T5_mT6_P12ihipStream_tbENKUlT_T0_E_clISt17integral_constantIbLb0EESV_IbLb1EEEEDaSR_SS_EUlSR_E_NS1_11comp_targetILNS1_3genE0ELNS1_11target_archE4294967295ELNS1_3gpuE0ELNS1_3repE0EEENS1_30default_config_static_selectorELNS0_4arch9wavefront6targetE1EEEvT1_, .Lfunc_end6286-_ZN7rocprim17ROCPRIM_400000_NS6detail17trampoline_kernelINS0_14default_configENS1_20scan_config_selectorIiEEZZNS1_9scan_implILNS1_25lookback_scan_determinismE0ELb1ELb1ES3_N6thrust23THRUST_200600_302600_NS6detail15normal_iteratorINS9_10device_ptrIjEEEENSB_INSC_IiEEEEiNS9_4plusIvEEiEEDaPvRmT3_T4_T5_mT6_P12ihipStream_tbENKUlT_T0_E_clISt17integral_constantIbLb0EESV_IbLb1EEEEDaSR_SS_EUlSR_E_NS1_11comp_targetILNS1_3genE0ELNS1_11target_archE4294967295ELNS1_3gpuE0ELNS1_3repE0EEENS1_30default_config_static_selectorELNS0_4arch9wavefront6targetE1EEEvT1_
                                        ; -- End function
	.section	.AMDGPU.csdata,"",@progbits
; Kernel info:
; codeLenInByte = 0
; NumSgprs: 4
; NumVgprs: 0
; NumAgprs: 0
; TotalNumVgprs: 0
; ScratchSize: 0
; MemoryBound: 0
; FloatMode: 240
; IeeeMode: 1
; LDSByteSize: 0 bytes/workgroup (compile time only)
; SGPRBlocks: 0
; VGPRBlocks: 0
; NumSGPRsForWavesPerEU: 4
; NumVGPRsForWavesPerEU: 1
; AccumOffset: 4
; Occupancy: 8
; WaveLimiterHint : 0
; COMPUTE_PGM_RSRC2:SCRATCH_EN: 0
; COMPUTE_PGM_RSRC2:USER_SGPR: 6
; COMPUTE_PGM_RSRC2:TRAP_HANDLER: 0
; COMPUTE_PGM_RSRC2:TGID_X_EN: 1
; COMPUTE_PGM_RSRC2:TGID_Y_EN: 0
; COMPUTE_PGM_RSRC2:TGID_Z_EN: 0
; COMPUTE_PGM_RSRC2:TIDIG_COMP_CNT: 0
; COMPUTE_PGM_RSRC3_GFX90A:ACCUM_OFFSET: 0
; COMPUTE_PGM_RSRC3_GFX90A:TG_SPLIT: 0
	.section	.text._ZN7rocprim17ROCPRIM_400000_NS6detail17trampoline_kernelINS0_14default_configENS1_20scan_config_selectorIiEEZZNS1_9scan_implILNS1_25lookback_scan_determinismE0ELb1ELb1ES3_N6thrust23THRUST_200600_302600_NS6detail15normal_iteratorINS9_10device_ptrIjEEEENSB_INSC_IiEEEEiNS9_4plusIvEEiEEDaPvRmT3_T4_T5_mT6_P12ihipStream_tbENKUlT_T0_E_clISt17integral_constantIbLb0EESV_IbLb1EEEEDaSR_SS_EUlSR_E_NS1_11comp_targetILNS1_3genE5ELNS1_11target_archE942ELNS1_3gpuE9ELNS1_3repE0EEENS1_30default_config_static_selectorELNS0_4arch9wavefront6targetE1EEEvT1_,"axG",@progbits,_ZN7rocprim17ROCPRIM_400000_NS6detail17trampoline_kernelINS0_14default_configENS1_20scan_config_selectorIiEEZZNS1_9scan_implILNS1_25lookback_scan_determinismE0ELb1ELb1ES3_N6thrust23THRUST_200600_302600_NS6detail15normal_iteratorINS9_10device_ptrIjEEEENSB_INSC_IiEEEEiNS9_4plusIvEEiEEDaPvRmT3_T4_T5_mT6_P12ihipStream_tbENKUlT_T0_E_clISt17integral_constantIbLb0EESV_IbLb1EEEEDaSR_SS_EUlSR_E_NS1_11comp_targetILNS1_3genE5ELNS1_11target_archE942ELNS1_3gpuE9ELNS1_3repE0EEENS1_30default_config_static_selectorELNS0_4arch9wavefront6targetE1EEEvT1_,comdat
	.protected	_ZN7rocprim17ROCPRIM_400000_NS6detail17trampoline_kernelINS0_14default_configENS1_20scan_config_selectorIiEEZZNS1_9scan_implILNS1_25lookback_scan_determinismE0ELb1ELb1ES3_N6thrust23THRUST_200600_302600_NS6detail15normal_iteratorINS9_10device_ptrIjEEEENSB_INSC_IiEEEEiNS9_4plusIvEEiEEDaPvRmT3_T4_T5_mT6_P12ihipStream_tbENKUlT_T0_E_clISt17integral_constantIbLb0EESV_IbLb1EEEEDaSR_SS_EUlSR_E_NS1_11comp_targetILNS1_3genE5ELNS1_11target_archE942ELNS1_3gpuE9ELNS1_3repE0EEENS1_30default_config_static_selectorELNS0_4arch9wavefront6targetE1EEEvT1_ ; -- Begin function _ZN7rocprim17ROCPRIM_400000_NS6detail17trampoline_kernelINS0_14default_configENS1_20scan_config_selectorIiEEZZNS1_9scan_implILNS1_25lookback_scan_determinismE0ELb1ELb1ES3_N6thrust23THRUST_200600_302600_NS6detail15normal_iteratorINS9_10device_ptrIjEEEENSB_INSC_IiEEEEiNS9_4plusIvEEiEEDaPvRmT3_T4_T5_mT6_P12ihipStream_tbENKUlT_T0_E_clISt17integral_constantIbLb0EESV_IbLb1EEEEDaSR_SS_EUlSR_E_NS1_11comp_targetILNS1_3genE5ELNS1_11target_archE942ELNS1_3gpuE9ELNS1_3repE0EEENS1_30default_config_static_selectorELNS0_4arch9wavefront6targetE1EEEvT1_
	.globl	_ZN7rocprim17ROCPRIM_400000_NS6detail17trampoline_kernelINS0_14default_configENS1_20scan_config_selectorIiEEZZNS1_9scan_implILNS1_25lookback_scan_determinismE0ELb1ELb1ES3_N6thrust23THRUST_200600_302600_NS6detail15normal_iteratorINS9_10device_ptrIjEEEENSB_INSC_IiEEEEiNS9_4plusIvEEiEEDaPvRmT3_T4_T5_mT6_P12ihipStream_tbENKUlT_T0_E_clISt17integral_constantIbLb0EESV_IbLb1EEEEDaSR_SS_EUlSR_E_NS1_11comp_targetILNS1_3genE5ELNS1_11target_archE942ELNS1_3gpuE9ELNS1_3repE0EEENS1_30default_config_static_selectorELNS0_4arch9wavefront6targetE1EEEvT1_
	.p2align	8
	.type	_ZN7rocprim17ROCPRIM_400000_NS6detail17trampoline_kernelINS0_14default_configENS1_20scan_config_selectorIiEEZZNS1_9scan_implILNS1_25lookback_scan_determinismE0ELb1ELb1ES3_N6thrust23THRUST_200600_302600_NS6detail15normal_iteratorINS9_10device_ptrIjEEEENSB_INSC_IiEEEEiNS9_4plusIvEEiEEDaPvRmT3_T4_T5_mT6_P12ihipStream_tbENKUlT_T0_E_clISt17integral_constantIbLb0EESV_IbLb1EEEEDaSR_SS_EUlSR_E_NS1_11comp_targetILNS1_3genE5ELNS1_11target_archE942ELNS1_3gpuE9ELNS1_3repE0EEENS1_30default_config_static_selectorELNS0_4arch9wavefront6targetE1EEEvT1_,@function
_ZN7rocprim17ROCPRIM_400000_NS6detail17trampoline_kernelINS0_14default_configENS1_20scan_config_selectorIiEEZZNS1_9scan_implILNS1_25lookback_scan_determinismE0ELb1ELb1ES3_N6thrust23THRUST_200600_302600_NS6detail15normal_iteratorINS9_10device_ptrIjEEEENSB_INSC_IiEEEEiNS9_4plusIvEEiEEDaPvRmT3_T4_T5_mT6_P12ihipStream_tbENKUlT_T0_E_clISt17integral_constantIbLb0EESV_IbLb1EEEEDaSR_SS_EUlSR_E_NS1_11comp_targetILNS1_3genE5ELNS1_11target_archE942ELNS1_3gpuE9ELNS1_3repE0EEENS1_30default_config_static_selectorELNS0_4arch9wavefront6targetE1EEEvT1_: ; @_ZN7rocprim17ROCPRIM_400000_NS6detail17trampoline_kernelINS0_14default_configENS1_20scan_config_selectorIiEEZZNS1_9scan_implILNS1_25lookback_scan_determinismE0ELb1ELb1ES3_N6thrust23THRUST_200600_302600_NS6detail15normal_iteratorINS9_10device_ptrIjEEEENSB_INSC_IiEEEEiNS9_4plusIvEEiEEDaPvRmT3_T4_T5_mT6_P12ihipStream_tbENKUlT_T0_E_clISt17integral_constantIbLb0EESV_IbLb1EEEEDaSR_SS_EUlSR_E_NS1_11comp_targetILNS1_3genE5ELNS1_11target_archE942ELNS1_3gpuE9ELNS1_3repE0EEENS1_30default_config_static_selectorELNS0_4arch9wavefront6targetE1EEEvT1_
; %bb.0:
	.section	.rodata,"a",@progbits
	.p2align	6, 0x0
	.amdhsa_kernel _ZN7rocprim17ROCPRIM_400000_NS6detail17trampoline_kernelINS0_14default_configENS1_20scan_config_selectorIiEEZZNS1_9scan_implILNS1_25lookback_scan_determinismE0ELb1ELb1ES3_N6thrust23THRUST_200600_302600_NS6detail15normal_iteratorINS9_10device_ptrIjEEEENSB_INSC_IiEEEEiNS9_4plusIvEEiEEDaPvRmT3_T4_T5_mT6_P12ihipStream_tbENKUlT_T0_E_clISt17integral_constantIbLb0EESV_IbLb1EEEEDaSR_SS_EUlSR_E_NS1_11comp_targetILNS1_3genE5ELNS1_11target_archE942ELNS1_3gpuE9ELNS1_3repE0EEENS1_30default_config_static_selectorELNS0_4arch9wavefront6targetE1EEEvT1_
		.amdhsa_group_segment_fixed_size 0
		.amdhsa_private_segment_fixed_size 0
		.amdhsa_kernarg_size 96
		.amdhsa_user_sgpr_count 6
		.amdhsa_user_sgpr_private_segment_buffer 1
		.amdhsa_user_sgpr_dispatch_ptr 0
		.amdhsa_user_sgpr_queue_ptr 0
		.amdhsa_user_sgpr_kernarg_segment_ptr 1
		.amdhsa_user_sgpr_dispatch_id 0
		.amdhsa_user_sgpr_flat_scratch_init 0
		.amdhsa_user_sgpr_kernarg_preload_length 0
		.amdhsa_user_sgpr_kernarg_preload_offset 0
		.amdhsa_user_sgpr_private_segment_size 0
		.amdhsa_uses_dynamic_stack 0
		.amdhsa_system_sgpr_private_segment_wavefront_offset 0
		.amdhsa_system_sgpr_workgroup_id_x 1
		.amdhsa_system_sgpr_workgroup_id_y 0
		.amdhsa_system_sgpr_workgroup_id_z 0
		.amdhsa_system_sgpr_workgroup_info 0
		.amdhsa_system_vgpr_workitem_id 0
		.amdhsa_next_free_vgpr 1
		.amdhsa_next_free_sgpr 0
		.amdhsa_accum_offset 4
		.amdhsa_reserve_vcc 0
		.amdhsa_reserve_flat_scratch 0
		.amdhsa_float_round_mode_32 0
		.amdhsa_float_round_mode_16_64 0
		.amdhsa_float_denorm_mode_32 3
		.amdhsa_float_denorm_mode_16_64 3
		.amdhsa_dx10_clamp 1
		.amdhsa_ieee_mode 1
		.amdhsa_fp16_overflow 0
		.amdhsa_tg_split 0
		.amdhsa_exception_fp_ieee_invalid_op 0
		.amdhsa_exception_fp_denorm_src 0
		.amdhsa_exception_fp_ieee_div_zero 0
		.amdhsa_exception_fp_ieee_overflow 0
		.amdhsa_exception_fp_ieee_underflow 0
		.amdhsa_exception_fp_ieee_inexact 0
		.amdhsa_exception_int_div_zero 0
	.end_amdhsa_kernel
	.section	.text._ZN7rocprim17ROCPRIM_400000_NS6detail17trampoline_kernelINS0_14default_configENS1_20scan_config_selectorIiEEZZNS1_9scan_implILNS1_25lookback_scan_determinismE0ELb1ELb1ES3_N6thrust23THRUST_200600_302600_NS6detail15normal_iteratorINS9_10device_ptrIjEEEENSB_INSC_IiEEEEiNS9_4plusIvEEiEEDaPvRmT3_T4_T5_mT6_P12ihipStream_tbENKUlT_T0_E_clISt17integral_constantIbLb0EESV_IbLb1EEEEDaSR_SS_EUlSR_E_NS1_11comp_targetILNS1_3genE5ELNS1_11target_archE942ELNS1_3gpuE9ELNS1_3repE0EEENS1_30default_config_static_selectorELNS0_4arch9wavefront6targetE1EEEvT1_,"axG",@progbits,_ZN7rocprim17ROCPRIM_400000_NS6detail17trampoline_kernelINS0_14default_configENS1_20scan_config_selectorIiEEZZNS1_9scan_implILNS1_25lookback_scan_determinismE0ELb1ELb1ES3_N6thrust23THRUST_200600_302600_NS6detail15normal_iteratorINS9_10device_ptrIjEEEENSB_INSC_IiEEEEiNS9_4plusIvEEiEEDaPvRmT3_T4_T5_mT6_P12ihipStream_tbENKUlT_T0_E_clISt17integral_constantIbLb0EESV_IbLb1EEEEDaSR_SS_EUlSR_E_NS1_11comp_targetILNS1_3genE5ELNS1_11target_archE942ELNS1_3gpuE9ELNS1_3repE0EEENS1_30default_config_static_selectorELNS0_4arch9wavefront6targetE1EEEvT1_,comdat
.Lfunc_end6287:
	.size	_ZN7rocprim17ROCPRIM_400000_NS6detail17trampoline_kernelINS0_14default_configENS1_20scan_config_selectorIiEEZZNS1_9scan_implILNS1_25lookback_scan_determinismE0ELb1ELb1ES3_N6thrust23THRUST_200600_302600_NS6detail15normal_iteratorINS9_10device_ptrIjEEEENSB_INSC_IiEEEEiNS9_4plusIvEEiEEDaPvRmT3_T4_T5_mT6_P12ihipStream_tbENKUlT_T0_E_clISt17integral_constantIbLb0EESV_IbLb1EEEEDaSR_SS_EUlSR_E_NS1_11comp_targetILNS1_3genE5ELNS1_11target_archE942ELNS1_3gpuE9ELNS1_3repE0EEENS1_30default_config_static_selectorELNS0_4arch9wavefront6targetE1EEEvT1_, .Lfunc_end6287-_ZN7rocprim17ROCPRIM_400000_NS6detail17trampoline_kernelINS0_14default_configENS1_20scan_config_selectorIiEEZZNS1_9scan_implILNS1_25lookback_scan_determinismE0ELb1ELb1ES3_N6thrust23THRUST_200600_302600_NS6detail15normal_iteratorINS9_10device_ptrIjEEEENSB_INSC_IiEEEEiNS9_4plusIvEEiEEDaPvRmT3_T4_T5_mT6_P12ihipStream_tbENKUlT_T0_E_clISt17integral_constantIbLb0EESV_IbLb1EEEEDaSR_SS_EUlSR_E_NS1_11comp_targetILNS1_3genE5ELNS1_11target_archE942ELNS1_3gpuE9ELNS1_3repE0EEENS1_30default_config_static_selectorELNS0_4arch9wavefront6targetE1EEEvT1_
                                        ; -- End function
	.section	.AMDGPU.csdata,"",@progbits
; Kernel info:
; codeLenInByte = 0
; NumSgprs: 4
; NumVgprs: 0
; NumAgprs: 0
; TotalNumVgprs: 0
; ScratchSize: 0
; MemoryBound: 0
; FloatMode: 240
; IeeeMode: 1
; LDSByteSize: 0 bytes/workgroup (compile time only)
; SGPRBlocks: 0
; VGPRBlocks: 0
; NumSGPRsForWavesPerEU: 4
; NumVGPRsForWavesPerEU: 1
; AccumOffset: 4
; Occupancy: 8
; WaveLimiterHint : 0
; COMPUTE_PGM_RSRC2:SCRATCH_EN: 0
; COMPUTE_PGM_RSRC2:USER_SGPR: 6
; COMPUTE_PGM_RSRC2:TRAP_HANDLER: 0
; COMPUTE_PGM_RSRC2:TGID_X_EN: 1
; COMPUTE_PGM_RSRC2:TGID_Y_EN: 0
; COMPUTE_PGM_RSRC2:TGID_Z_EN: 0
; COMPUTE_PGM_RSRC2:TIDIG_COMP_CNT: 0
; COMPUTE_PGM_RSRC3_GFX90A:ACCUM_OFFSET: 0
; COMPUTE_PGM_RSRC3_GFX90A:TG_SPLIT: 0
	.section	.text._ZN7rocprim17ROCPRIM_400000_NS6detail17trampoline_kernelINS0_14default_configENS1_20scan_config_selectorIiEEZZNS1_9scan_implILNS1_25lookback_scan_determinismE0ELb1ELb1ES3_N6thrust23THRUST_200600_302600_NS6detail15normal_iteratorINS9_10device_ptrIjEEEENSB_INSC_IiEEEEiNS9_4plusIvEEiEEDaPvRmT3_T4_T5_mT6_P12ihipStream_tbENKUlT_T0_E_clISt17integral_constantIbLb0EESV_IbLb1EEEEDaSR_SS_EUlSR_E_NS1_11comp_targetILNS1_3genE4ELNS1_11target_archE910ELNS1_3gpuE8ELNS1_3repE0EEENS1_30default_config_static_selectorELNS0_4arch9wavefront6targetE1EEEvT1_,"axG",@progbits,_ZN7rocprim17ROCPRIM_400000_NS6detail17trampoline_kernelINS0_14default_configENS1_20scan_config_selectorIiEEZZNS1_9scan_implILNS1_25lookback_scan_determinismE0ELb1ELb1ES3_N6thrust23THRUST_200600_302600_NS6detail15normal_iteratorINS9_10device_ptrIjEEEENSB_INSC_IiEEEEiNS9_4plusIvEEiEEDaPvRmT3_T4_T5_mT6_P12ihipStream_tbENKUlT_T0_E_clISt17integral_constantIbLb0EESV_IbLb1EEEEDaSR_SS_EUlSR_E_NS1_11comp_targetILNS1_3genE4ELNS1_11target_archE910ELNS1_3gpuE8ELNS1_3repE0EEENS1_30default_config_static_selectorELNS0_4arch9wavefront6targetE1EEEvT1_,comdat
	.protected	_ZN7rocprim17ROCPRIM_400000_NS6detail17trampoline_kernelINS0_14default_configENS1_20scan_config_selectorIiEEZZNS1_9scan_implILNS1_25lookback_scan_determinismE0ELb1ELb1ES3_N6thrust23THRUST_200600_302600_NS6detail15normal_iteratorINS9_10device_ptrIjEEEENSB_INSC_IiEEEEiNS9_4plusIvEEiEEDaPvRmT3_T4_T5_mT6_P12ihipStream_tbENKUlT_T0_E_clISt17integral_constantIbLb0EESV_IbLb1EEEEDaSR_SS_EUlSR_E_NS1_11comp_targetILNS1_3genE4ELNS1_11target_archE910ELNS1_3gpuE8ELNS1_3repE0EEENS1_30default_config_static_selectorELNS0_4arch9wavefront6targetE1EEEvT1_ ; -- Begin function _ZN7rocprim17ROCPRIM_400000_NS6detail17trampoline_kernelINS0_14default_configENS1_20scan_config_selectorIiEEZZNS1_9scan_implILNS1_25lookback_scan_determinismE0ELb1ELb1ES3_N6thrust23THRUST_200600_302600_NS6detail15normal_iteratorINS9_10device_ptrIjEEEENSB_INSC_IiEEEEiNS9_4plusIvEEiEEDaPvRmT3_T4_T5_mT6_P12ihipStream_tbENKUlT_T0_E_clISt17integral_constantIbLb0EESV_IbLb1EEEEDaSR_SS_EUlSR_E_NS1_11comp_targetILNS1_3genE4ELNS1_11target_archE910ELNS1_3gpuE8ELNS1_3repE0EEENS1_30default_config_static_selectorELNS0_4arch9wavefront6targetE1EEEvT1_
	.globl	_ZN7rocprim17ROCPRIM_400000_NS6detail17trampoline_kernelINS0_14default_configENS1_20scan_config_selectorIiEEZZNS1_9scan_implILNS1_25lookback_scan_determinismE0ELb1ELb1ES3_N6thrust23THRUST_200600_302600_NS6detail15normal_iteratorINS9_10device_ptrIjEEEENSB_INSC_IiEEEEiNS9_4plusIvEEiEEDaPvRmT3_T4_T5_mT6_P12ihipStream_tbENKUlT_T0_E_clISt17integral_constantIbLb0EESV_IbLb1EEEEDaSR_SS_EUlSR_E_NS1_11comp_targetILNS1_3genE4ELNS1_11target_archE910ELNS1_3gpuE8ELNS1_3repE0EEENS1_30default_config_static_selectorELNS0_4arch9wavefront6targetE1EEEvT1_
	.p2align	8
	.type	_ZN7rocprim17ROCPRIM_400000_NS6detail17trampoline_kernelINS0_14default_configENS1_20scan_config_selectorIiEEZZNS1_9scan_implILNS1_25lookback_scan_determinismE0ELb1ELb1ES3_N6thrust23THRUST_200600_302600_NS6detail15normal_iteratorINS9_10device_ptrIjEEEENSB_INSC_IiEEEEiNS9_4plusIvEEiEEDaPvRmT3_T4_T5_mT6_P12ihipStream_tbENKUlT_T0_E_clISt17integral_constantIbLb0EESV_IbLb1EEEEDaSR_SS_EUlSR_E_NS1_11comp_targetILNS1_3genE4ELNS1_11target_archE910ELNS1_3gpuE8ELNS1_3repE0EEENS1_30default_config_static_selectorELNS0_4arch9wavefront6targetE1EEEvT1_,@function
_ZN7rocprim17ROCPRIM_400000_NS6detail17trampoline_kernelINS0_14default_configENS1_20scan_config_selectorIiEEZZNS1_9scan_implILNS1_25lookback_scan_determinismE0ELb1ELb1ES3_N6thrust23THRUST_200600_302600_NS6detail15normal_iteratorINS9_10device_ptrIjEEEENSB_INSC_IiEEEEiNS9_4plusIvEEiEEDaPvRmT3_T4_T5_mT6_P12ihipStream_tbENKUlT_T0_E_clISt17integral_constantIbLb0EESV_IbLb1EEEEDaSR_SS_EUlSR_E_NS1_11comp_targetILNS1_3genE4ELNS1_11target_archE910ELNS1_3gpuE8ELNS1_3repE0EEENS1_30default_config_static_selectorELNS0_4arch9wavefront6targetE1EEEvT1_: ; @_ZN7rocprim17ROCPRIM_400000_NS6detail17trampoline_kernelINS0_14default_configENS1_20scan_config_selectorIiEEZZNS1_9scan_implILNS1_25lookback_scan_determinismE0ELb1ELb1ES3_N6thrust23THRUST_200600_302600_NS6detail15normal_iteratorINS9_10device_ptrIjEEEENSB_INSC_IiEEEEiNS9_4plusIvEEiEEDaPvRmT3_T4_T5_mT6_P12ihipStream_tbENKUlT_T0_E_clISt17integral_constantIbLb0EESV_IbLb1EEEEDaSR_SS_EUlSR_E_NS1_11comp_targetILNS1_3genE4ELNS1_11target_archE910ELNS1_3gpuE8ELNS1_3repE0EEENS1_30default_config_static_selectorELNS0_4arch9wavefront6targetE1EEEvT1_
; %bb.0:
	s_load_dword s33, s[4:5], 0x20
	s_load_dwordx2 s[6:7], s[4:5], 0x28
	v_cmp_ne_u32_e64 s[2:3], 0, v0
	v_cmp_eq_u32_e64 s[0:1], 0, v0
	s_and_saveexec_b64 s[8:9], s[0:1]
	s_cbranch_execz .LBB6288_4
; %bb.1:
	s_mov_b64 s[12:13], exec
	v_mbcnt_lo_u32_b32 v1, s12, 0
	v_mbcnt_hi_u32_b32 v1, s13, v1
	v_cmp_eq_u32_e32 vcc, 0, v1
                                        ; implicit-def: $vgpr2
	s_and_saveexec_b64 s[10:11], vcc
	s_cbranch_execz .LBB6288_3
; %bb.2:
	s_load_dwordx2 s[14:15], s[4:5], 0x58
	s_bcnt1_i32_b64 s12, s[12:13]
	v_mov_b32_e32 v2, 0
	v_mov_b32_e32 v3, s12
	s_waitcnt lgkmcnt(0)
	global_atomic_add v2, v2, v3, s[14:15] glc
.LBB6288_3:
	s_or_b64 exec, exec, s[10:11]
	s_waitcnt vmcnt(0)
	v_readfirstlane_b32 s10, v2
	v_add_u32_e32 v1, s10, v1
	v_mov_b32_e32 v2, 0
	ds_write_b32 v2, v1
.LBB6288_4:
	s_or_b64 exec, exec, s[8:9]
	s_load_dwordx8 s[16:23], s[4:5], 0x0
	s_load_dword s24, s[4:5], 0x30
	s_load_dwordx8 s[8:15], s[4:5], 0x38
	v_mov_b32_e32 v1, 0
	s_waitcnt lgkmcnt(0)
	s_barrier
	ds_read_b32 v1, v1
	s_lshl_b64 s[18:19], s[18:19], 2
	s_add_u32 s34, s16, s18
	s_addc_u32 s35, s17, s19
	s_add_i32 s16, s24, -1
	s_mul_i32 s17, s16, 0x500
	s_sub_u32 s30, s22, s17
	s_waitcnt lgkmcnt(0)
	v_readfirstlane_b32 s36, v1
	s_subb_u32 s31, s23, 0
	s_mul_i32 s4, s36, 0x500
	s_mov_b32 s5, 0
	s_cmp_lg_u32 s36, s16
	s_cselect_b64 s[16:17], -1, 0
	s_lshl_b64 s[22:23], s[4:5], 2
	s_add_u32 s24, s34, s22
	s_addc_u32 s25, s35, s23
	s_mov_b64 s[4:5], -1
	s_and_b64 vcc, exec, s[16:17]
	v_lshlrev_b32_e32 v22, 2, v0
	s_barrier
	s_cbranch_vccz .LBB6288_6
; %bb.5:
	v_mov_b32_e32 v1, s25
	v_add_co_u32_e32 v2, vcc, s24, v22
	v_addc_co_u32_e32 v3, vcc, 0, v1, vcc
	flat_load_dword v1, v[2:3]
	flat_load_dword v4, v[2:3] offset:512
	flat_load_dword v5, v[2:3] offset:1024
	;; [unrolled: 1-line block ×7, first 2 shown]
	v_add_co_u32_e32 v2, vcc, 0x1000, v2
	v_addc_co_u32_e32 v3, vcc, 0, v3, vcc
	flat_load_dword v11, v[2:3]
	flat_load_dword v12, v[2:3] offset:512
	s_mov_b64 s[4:5], 0
	s_waitcnt vmcnt(0) lgkmcnt(0)
	ds_write2st64_b32 v22, v1, v4 offset1:2
	ds_write2st64_b32 v22, v5, v6 offset0:4 offset1:6
	ds_write2st64_b32 v22, v7, v8 offset0:8 offset1:10
	;; [unrolled: 1-line block ×4, first 2 shown]
	s_waitcnt lgkmcnt(0)
	s_barrier
.LBB6288_6:
	s_andn2_b64 vcc, exec, s[4:5]
	v_cmp_gt_u32_e64 s[4:5], s30, v0
	s_cbranch_vccnz .LBB6288_28
; %bb.7:
	v_pk_mov_b32 v[2:3], s[24:25], s[24:25] op_sel:[0,1]
	flat_load_dword v1, v[2:3]
	s_waitcnt vmcnt(0) lgkmcnt(0)
	v_mov_b32_e32 v2, v1
	v_mov_b32_e32 v3, v1
	;; [unrolled: 1-line block ×9, first 2 shown]
	s_and_saveexec_b64 s[26:27], s[4:5]
	s_cbranch_execz .LBB6288_9
; %bb.8:
	v_mov_b32_e32 v11, s25
	v_add_co_u32_e32 v10, vcc, s24, v22
	v_addc_co_u32_e32 v11, vcc, 0, v11, vcc
	flat_load_dword v10, v[10:11]
.LBB6288_9:
	s_or_b64 exec, exec, s[26:27]
	v_or_b32_e32 v11, 0x80, v0
	v_cmp_gt_u32_e32 vcc, s30, v11
	s_and_saveexec_b64 s[4:5], vcc
	s_cbranch_execz .LBB6288_11
; %bb.10:
	v_mov_b32_e32 v1, s25
	v_add_co_u32_e32 v12, vcc, s24, v22
	v_addc_co_u32_e32 v13, vcc, 0, v1, vcc
	flat_load_dword v1, v[12:13] offset:512
.LBB6288_11:
	s_or_b64 exec, exec, s[4:5]
	v_or_b32_e32 v11, 0x100, v0
	v_cmp_gt_u32_e32 vcc, s30, v11
	s_and_saveexec_b64 s[4:5], vcc
	s_cbranch_execz .LBB6288_13
; %bb.12:
	v_mov_b32_e32 v2, s25
	v_add_co_u32_e32 v12, vcc, s24, v22
	v_addc_co_u32_e32 v13, vcc, 0, v2, vcc
	flat_load_dword v2, v[12:13] offset:1024
.LBB6288_13:
	s_or_b64 exec, exec, s[4:5]
	v_or_b32_e32 v11, 0x180, v0
	v_cmp_gt_u32_e32 vcc, s30, v11
	s_and_saveexec_b64 s[4:5], vcc
	s_cbranch_execz .LBB6288_15
; %bb.14:
	v_mov_b32_e32 v3, s25
	v_add_co_u32_e32 v12, vcc, s24, v22
	v_addc_co_u32_e32 v13, vcc, 0, v3, vcc
	flat_load_dword v3, v[12:13] offset:1536
.LBB6288_15:
	s_or_b64 exec, exec, s[4:5]
	v_or_b32_e32 v11, 0x200, v0
	v_cmp_gt_u32_e32 vcc, s30, v11
	s_and_saveexec_b64 s[4:5], vcc
	s_cbranch_execz .LBB6288_17
; %bb.16:
	v_mov_b32_e32 v4, s25
	v_add_co_u32_e32 v12, vcc, s24, v22
	v_addc_co_u32_e32 v13, vcc, 0, v4, vcc
	flat_load_dword v4, v[12:13] offset:2048
.LBB6288_17:
	s_or_b64 exec, exec, s[4:5]
	v_or_b32_e32 v11, 0x280, v0
	v_cmp_gt_u32_e32 vcc, s30, v11
	s_and_saveexec_b64 s[4:5], vcc
	s_cbranch_execz .LBB6288_19
; %bb.18:
	v_mov_b32_e32 v5, s25
	v_add_co_u32_e32 v12, vcc, s24, v22
	v_addc_co_u32_e32 v13, vcc, 0, v5, vcc
	flat_load_dword v5, v[12:13] offset:2560
.LBB6288_19:
	s_or_b64 exec, exec, s[4:5]
	v_or_b32_e32 v11, 0x300, v0
	v_cmp_gt_u32_e32 vcc, s30, v11
	s_and_saveexec_b64 s[4:5], vcc
	s_cbranch_execz .LBB6288_21
; %bb.20:
	v_mov_b32_e32 v6, s25
	v_add_co_u32_e32 v12, vcc, s24, v22
	v_addc_co_u32_e32 v13, vcc, 0, v6, vcc
	flat_load_dword v6, v[12:13] offset:3072
.LBB6288_21:
	s_or_b64 exec, exec, s[4:5]
	v_or_b32_e32 v11, 0x380, v0
	v_cmp_gt_u32_e32 vcc, s30, v11
	s_and_saveexec_b64 s[4:5], vcc
	s_cbranch_execz .LBB6288_23
; %bb.22:
	v_mov_b32_e32 v7, s25
	v_add_co_u32_e32 v12, vcc, s24, v22
	v_addc_co_u32_e32 v13, vcc, 0, v7, vcc
	flat_load_dword v7, v[12:13] offset:3584
.LBB6288_23:
	s_or_b64 exec, exec, s[4:5]
	v_or_b32_e32 v11, 0x400, v0
	v_cmp_gt_u32_e32 vcc, s30, v11
	s_and_saveexec_b64 s[4:5], vcc
	s_cbranch_execz .LBB6288_25
; %bb.24:
	v_lshlrev_b32_e32 v8, 2, v11
	v_mov_b32_e32 v11, s25
	v_add_co_u32_e32 v12, vcc, s24, v8
	v_addc_co_u32_e32 v13, vcc, 0, v11, vcc
	flat_load_dword v8, v[12:13]
.LBB6288_25:
	s_or_b64 exec, exec, s[4:5]
	v_or_b32_e32 v11, 0x480, v0
	v_cmp_gt_u32_e32 vcc, s30, v11
	s_and_saveexec_b64 s[4:5], vcc
	s_cbranch_execz .LBB6288_27
; %bb.26:
	v_lshlrev_b32_e32 v9, 2, v11
	v_mov_b32_e32 v11, s25
	v_add_co_u32_e32 v12, vcc, s24, v9
	v_addc_co_u32_e32 v13, vcc, 0, v11, vcc
	flat_load_dword v9, v[12:13]
.LBB6288_27:
	s_or_b64 exec, exec, s[4:5]
	s_waitcnt vmcnt(0) lgkmcnt(0)
	ds_write2st64_b32 v22, v10, v1 offset1:2
	ds_write2st64_b32 v22, v2, v3 offset0:4 offset1:6
	ds_write2st64_b32 v22, v4, v5 offset0:8 offset1:10
	;; [unrolled: 1-line block ×4, first 2 shown]
	s_waitcnt lgkmcnt(0)
	s_barrier
.LBB6288_28:
	v_mul_u32_u24_e32 v23, 10, v0
	v_lshlrev_b32_e32 v1, 2, v23
	ds_read2_b64 v[16:19], v1 offset1:1
	ds_read2_b64 v[12:15], v1 offset0:2 offset1:3
	ds_read_b64 v[20:21], v1 offset:32
	s_cmp_lg_u32 s36, 0
	v_lshrrev_b32_e32 v24, 5, v0
	s_waitcnt lgkmcnt(2)
	v_add_u32_e32 v2, v17, v16
	v_add3_u32 v25, v2, v18, v19
	v_cmp_gt_u32_e32 vcc, 64, v0
	s_waitcnt lgkmcnt(0)
	s_barrier
	s_cbranch_scc0 .LBB6288_53
; %bb.29:
	v_add3_u32 v2, v25, v12, v13
	v_add3_u32 v2, v2, v14, v15
	;; [unrolled: 1-line block ×3, first 2 shown]
	v_add_lshl_u32 v3, v24, v0, 2
	ds_write_b32 v3, v2
	s_waitcnt lgkmcnt(0)
	s_barrier
	s_and_saveexec_b64 s[24:25], vcc
	s_cbranch_execz .LBB6288_31
; %bb.30:
	v_lshlrev_b32_e32 v3, 1, v0
	v_lshrrev_b32_e32 v4, 4, v0
	v_add_lshl_u32 v3, v4, v3, 2
	ds_read2_b32 v[4:5], v3 offset1:1
	v_mbcnt_lo_u32_b32 v6, -1, 0
	v_mbcnt_hi_u32_b32 v6, -1, v6
	v_and_b32_e32 v7, 15, v6
	v_cmp_ne_u32_e64 s[4:5], 0, v7
	s_waitcnt lgkmcnt(0)
	v_add_u32_e32 v5, v5, v4
	; wave barrier
	s_nop 1
	v_mov_b32_dpp v8, v5 row_shr:1 row_mask:0xf bank_mask:0xf
	v_cndmask_b32_e64 v8, 0, v8, s[4:5]
	v_add_u32_e32 v5, v8, v5
	v_cmp_lt_u32_e64 s[4:5], 1, v7
	s_nop 0
	v_mov_b32_dpp v8, v5 row_shr:2 row_mask:0xf bank_mask:0xf
	v_cndmask_b32_e64 v8, 0, v8, s[4:5]
	v_add_u32_e32 v5, v5, v8
	v_cmp_lt_u32_e64 s[4:5], 3, v7
	s_nop 0
	v_mov_b32_dpp v8, v5 row_shr:4 row_mask:0xf bank_mask:0xf
	v_cndmask_b32_e64 v8, 0, v8, s[4:5]
	v_add_u32_e32 v5, v5, v8
	v_cmp_lt_u32_e64 s[4:5], 7, v7
	s_nop 0
	v_mov_b32_dpp v8, v5 row_shr:8 row_mask:0xf bank_mask:0xf
	v_cndmask_b32_e64 v7, 0, v8, s[4:5]
	v_add_u32_e32 v5, v5, v7
	v_bfe_i32 v8, v6, 4, 1
	v_cmp_lt_u32_e64 s[4:5], 31, v6
	v_mov_b32_dpp v7, v5 row_bcast:15 row_mask:0xf bank_mask:0xf
	v_and_b32_e32 v7, v8, v7
	v_add_u32_e32 v5, v5, v7
	v_and_b32_e32 v8, 64, v6
	s_nop 0
	v_mov_b32_dpp v7, v5 row_bcast:31 row_mask:0xf bank_mask:0xf
	v_cndmask_b32_e64 v7, 0, v7, s[4:5]
	v_add_u32_e32 v5, v5, v7
	v_add_u32_e32 v7, -1, v6
	v_cmp_lt_i32_e64 s[4:5], v7, v8
	v_cndmask_b32_e64 v6, v7, v6, s[4:5]
	v_lshlrev_b32_e32 v6, 2, v6
	ds_bpermute_b32 v5, v6, v5
	s_waitcnt lgkmcnt(0)
	v_add_u32_e32 v4, v5, v4
	v_cndmask_b32_e64 v2, v4, v2, s[0:1]
	ds_write_b32 v3, v2
	; wave barrier
	ds_read_b32 v4, v3 offset:4
	s_waitcnt lgkmcnt(0)
	v_add_u32_e32 v2, v4, v2
	ds_write_b32 v3, v2 offset:4
.LBB6288_31:
	s_or_b64 exec, exec, s[24:25]
	v_mov_b32_e32 v26, 0
	s_waitcnt lgkmcnt(0)
	s_barrier
	s_and_saveexec_b64 s[4:5], s[2:3]
	s_cbranch_execz .LBB6288_33
; %bb.32:
	v_add_u32_e32 v2, -1, v0
	v_lshrrev_b32_e32 v3, 5, v2
	v_add_lshl_u32 v2, v3, v2, 2
	ds_read_b32 v26, v2
.LBB6288_33:
	s_or_b64 exec, exec, s[4:5]
	s_and_saveexec_b64 s[24:25], vcc
	s_cbranch_execz .LBB6288_52
; %bb.34:
	v_mov_b32_e32 v9, 0
	ds_read_b32 v2, v9 offset:520
	v_mbcnt_lo_u32_b32 v3, -1, 0
	v_mbcnt_hi_u32_b32 v5, -1, v3
	s_mov_b32 s29, 0
	v_cmp_eq_u32_e64 s[4:5], 0, v5
	s_and_saveexec_b64 s[26:27], s[4:5]
	s_cbranch_execz .LBB6288_36
; %bb.35:
	s_add_i32 s28, s36, 64
	s_lshl_b64 s[28:29], s[28:29], 3
	s_add_u32 s28, s6, s28
	v_mov_b32_e32 v3, 1
	s_addc_u32 s29, s7, s29
	s_waitcnt lgkmcnt(0)
	global_store_dwordx2 v9, v[2:3], s[28:29]
.LBB6288_36:
	s_or_b64 exec, exec, s[26:27]
	v_xad_u32 v4, v5, -1, s36
	v_add_u32_e32 v8, 64, v4
	v_lshlrev_b64 v[6:7], 3, v[8:9]
	v_mov_b32_e32 v3, s7
	v_add_co_u32_e32 v10, vcc, s6, v6
	v_addc_co_u32_e32 v11, vcc, v3, v7, vcc
	global_load_dwordx2 v[6:7], v[10:11], off glc
	s_waitcnt vmcnt(0)
	v_cmp_eq_u16_sdwa s[28:29], v7, v9 src0_sel:BYTE_0 src1_sel:DWORD
	s_and_saveexec_b64 s[26:27], s[28:29]
	s_cbranch_execz .LBB6288_40
; %bb.37:
	s_mov_b64 s[28:29], 0
	v_mov_b32_e32 v3, 0
.LBB6288_38:                            ; =>This Inner Loop Header: Depth=1
	global_load_dwordx2 v[6:7], v[10:11], off glc
	s_waitcnt vmcnt(0)
	v_cmp_ne_u16_sdwa s[38:39], v7, v3 src0_sel:BYTE_0 src1_sel:DWORD
	s_or_b64 s[28:29], s[38:39], s[28:29]
	s_andn2_b64 exec, exec, s[28:29]
	s_cbranch_execnz .LBB6288_38
; %bb.39:
	s_or_b64 exec, exec, s[28:29]
.LBB6288_40:
	s_or_b64 exec, exec, s[26:27]
	v_and_b32_e32 v27, 63, v5
	v_mov_b32_e32 v3, 2
	v_cmp_ne_u32_e32 vcc, 63, v27
	v_cmp_eq_u16_sdwa s[26:27], v7, v3 src0_sel:BYTE_0 src1_sel:DWORD
	v_lshlrev_b64 v[8:9], v5, -1
	v_addc_co_u32_e32 v28, vcc, 0, v5, vcc
	v_and_b32_e32 v10, s27, v9
	v_lshlrev_b32_e32 v28, 2, v28
	v_or_b32_e32 v10, 0x80000000, v10
	ds_bpermute_b32 v29, v28, v6
	v_and_b32_e32 v11, s26, v8
	v_ffbl_b32_e32 v10, v10
	v_add_u32_e32 v10, 32, v10
	v_ffbl_b32_e32 v11, v11
	v_min_u32_e32 v10, v11, v10
	v_cmp_lt_u32_e32 vcc, v27, v10
	s_waitcnt lgkmcnt(0)
	v_cndmask_b32_e32 v11, 0, v29, vcc
	v_cmp_gt_u32_e32 vcc, 62, v27
	v_add_u32_e32 v6, v11, v6
	v_cndmask_b32_e64 v11, 0, 1, vcc
	v_lshlrev_b32_e32 v11, 1, v11
	v_add_lshl_u32 v29, v11, v5, 2
	ds_bpermute_b32 v11, v29, v6
	v_add_u32_e32 v30, 2, v27
	v_cmp_le_u32_e32 vcc, v30, v10
	v_add_u32_e32 v32, 4, v27
	v_add_u32_e32 v34, 8, v27
	s_waitcnt lgkmcnt(0)
	v_cndmask_b32_e32 v11, 0, v11, vcc
	v_cmp_gt_u32_e32 vcc, 60, v27
	v_add_u32_e32 v6, v6, v11
	v_cndmask_b32_e64 v11, 0, 1, vcc
	v_lshlrev_b32_e32 v11, 2, v11
	v_add_lshl_u32 v31, v11, v5, 2
	ds_bpermute_b32 v11, v31, v6
	v_cmp_le_u32_e32 vcc, v32, v10
	v_add_u32_e32 v37, 16, v27
	v_add_u32_e32 v39, 32, v27
	s_waitcnt lgkmcnt(0)
	v_cndmask_b32_e32 v11, 0, v11, vcc
	v_cmp_gt_u32_e32 vcc, 56, v27
	v_add_u32_e32 v6, v6, v11
	v_cndmask_b32_e64 v11, 0, 1, vcc
	v_lshlrev_b32_e32 v11, 3, v11
	v_add_lshl_u32 v33, v11, v5, 2
	ds_bpermute_b32 v11, v33, v6
	v_cmp_le_u32_e32 vcc, v34, v10
	s_waitcnt lgkmcnt(0)
	v_cndmask_b32_e32 v11, 0, v11, vcc
	v_cmp_gt_u32_e32 vcc, 48, v27
	v_add_u32_e32 v6, v6, v11
	v_cndmask_b32_e64 v11, 0, 1, vcc
	v_lshlrev_b32_e32 v11, 4, v11
	v_add_lshl_u32 v36, v11, v5, 2
	ds_bpermute_b32 v11, v36, v6
	v_cmp_le_u32_e32 vcc, v37, v10
	;; [unrolled: 9-line block ×3, first 2 shown]
	s_waitcnt lgkmcnt(0)
	v_cndmask_b32_e32 v5, 0, v5, vcc
	v_add_u32_e32 v6, v6, v5
	v_mov_b32_e32 v5, 0
	s_branch .LBB6288_42
.LBB6288_41:                            ;   in Loop: Header=BB6288_42 Depth=1
	s_or_b64 exec, exec, s[26:27]
	v_cmp_eq_u16_sdwa s[26:27], v7, v3 src0_sel:BYTE_0 src1_sel:DWORD
	v_and_b32_e32 v10, s27, v9
	v_or_b32_e32 v10, 0x80000000, v10
	ds_bpermute_b32 v40, v28, v6
	v_and_b32_e32 v11, s26, v8
	v_ffbl_b32_e32 v10, v10
	v_add_u32_e32 v10, 32, v10
	v_ffbl_b32_e32 v11, v11
	v_min_u32_e32 v10, v11, v10
	v_cmp_lt_u32_e32 vcc, v27, v10
	s_waitcnt lgkmcnt(0)
	v_cndmask_b32_e32 v11, 0, v40, vcc
	v_add_u32_e32 v6, v11, v6
	ds_bpermute_b32 v11, v29, v6
	v_cmp_le_u32_e32 vcc, v30, v10
	v_subrev_u32_e32 v4, 64, v4
	s_waitcnt lgkmcnt(0)
	v_cndmask_b32_e32 v11, 0, v11, vcc
	v_add_u32_e32 v6, v6, v11
	ds_bpermute_b32 v11, v31, v6
	v_cmp_le_u32_e32 vcc, v32, v10
	s_waitcnt lgkmcnt(0)
	v_cndmask_b32_e32 v11, 0, v11, vcc
	v_add_u32_e32 v6, v6, v11
	ds_bpermute_b32 v11, v33, v6
	v_cmp_le_u32_e32 vcc, v34, v10
	;; [unrolled: 5-line block ×4, first 2 shown]
	s_waitcnt lgkmcnt(0)
	v_cndmask_b32_e32 v10, 0, v11, vcc
	v_add3_u32 v6, v10, v35, v6
.LBB6288_42:                            ; =>This Loop Header: Depth=1
                                        ;     Child Loop BB6288_45 Depth 2
	v_cmp_ne_u16_sdwa s[26:27], v7, v3 src0_sel:BYTE_0 src1_sel:DWORD
	v_cndmask_b32_e64 v7, 0, 1, s[26:27]
	;;#ASMSTART
	;;#ASMEND
	v_cmp_ne_u32_e32 vcc, 0, v7
	s_cmp_lg_u64 vcc, exec
	v_mov_b32_e32 v35, v6
	s_cbranch_scc1 .LBB6288_47
; %bb.43:                               ;   in Loop: Header=BB6288_42 Depth=1
	v_lshlrev_b64 v[6:7], 3, v[4:5]
	v_mov_b32_e32 v11, s7
	v_add_co_u32_e32 v10, vcc, s6, v6
	v_addc_co_u32_e32 v11, vcc, v11, v7, vcc
	global_load_dwordx2 v[6:7], v[10:11], off glc
	s_waitcnt vmcnt(0)
	v_cmp_eq_u16_sdwa s[28:29], v7, v5 src0_sel:BYTE_0 src1_sel:DWORD
	s_and_saveexec_b64 s[26:27], s[28:29]
	s_cbranch_execz .LBB6288_41
; %bb.44:                               ;   in Loop: Header=BB6288_42 Depth=1
	s_mov_b64 s[28:29], 0
.LBB6288_45:                            ;   Parent Loop BB6288_42 Depth=1
                                        ; =>  This Inner Loop Header: Depth=2
	global_load_dwordx2 v[6:7], v[10:11], off glc
	s_waitcnt vmcnt(0)
	v_cmp_ne_u16_sdwa s[38:39], v7, v5 src0_sel:BYTE_0 src1_sel:DWORD
	s_or_b64 s[28:29], s[38:39], s[28:29]
	s_andn2_b64 exec, exec, s[28:29]
	s_cbranch_execnz .LBB6288_45
; %bb.46:                               ;   in Loop: Header=BB6288_42 Depth=1
	s_or_b64 exec, exec, s[28:29]
	s_branch .LBB6288_41
.LBB6288_47:                            ;   in Loop: Header=BB6288_42 Depth=1
                                        ; implicit-def: $vgpr6
                                        ; implicit-def: $vgpr7
	s_cbranch_execz .LBB6288_42
; %bb.48:
	s_and_saveexec_b64 s[26:27], s[4:5]
	s_cbranch_execz .LBB6288_50
; %bb.49:
	s_add_i32 s4, s36, 64
	s_mov_b32 s5, 0
	s_lshl_b64 s[4:5], s[4:5], 3
	s_add_u32 s4, s6, s4
	v_add_u32_e32 v2, v35, v2
	v_mov_b32_e32 v3, 2
	s_addc_u32 s5, s7, s5
	v_mov_b32_e32 v4, 0
	global_store_dwordx2 v4, v[2:3], s[4:5]
.LBB6288_50:
	s_or_b64 exec, exec, s[26:27]
	s_and_b64 exec, exec, s[0:1]
	s_cbranch_execz .LBB6288_52
; %bb.51:
	v_mov_b32_e32 v2, 0
	ds_write_b32 v2, v35
.LBB6288_52:
	s_or_b64 exec, exec, s[24:25]
	v_mov_b32_e32 v2, 0
	s_waitcnt lgkmcnt(0)
	s_barrier
	ds_read_b32 v2, v2
	s_waitcnt lgkmcnt(0)
	v_add_u32_e32 v2, v2, v26
	v_add_u32_e32 v3, v2, v16
	;; [unrolled: 1-line block ×10, first 2 shown]
	s_branch .LBB6288_63
.LBB6288_53:
                                        ; implicit-def: $vgpr2_vgpr3_vgpr4_vgpr5_vgpr6_vgpr7_vgpr8_vgpr9_vgpr10_vgpr11
	s_cbranch_execz .LBB6288_63
; %bb.54:
	s_cmp_eq_u64 s[12:13], 0
	v_mov_b32_e32 v26, s33
	s_cbranch_scc1 .LBB6288_56
; %bb.55:
	v_mov_b32_e32 v3, s35
	v_add_co_u32_e64 v2, vcc, -4, s34
	v_addc_co_u32_e32 v3, vcc, -1, v3, vcc
	v_mov_b32_e32 v4, 0
	flat_load_dword v5, v[2:3]
	global_load_dword v6, v4, s[8:9]
	s_waitcnt vmcnt(0) lgkmcnt(0)
	v_add_u32_e32 v26, v6, v5
.LBB6288_56:
	v_add3_u32 v2, v25, v12, v13
	v_add3_u32 v2, v2, v14, v15
	;; [unrolled: 1-line block ×3, first 2 shown]
	v_add_lshl_u32 v3, v24, v0, 2
	v_cmp_gt_u32_e32 vcc, 64, v0
	ds_write_b32 v3, v2
	s_waitcnt lgkmcnt(0)
	s_barrier
	s_and_saveexec_b64 s[4:5], vcc
	s_cbranch_execz .LBB6288_58
; %bb.57:
	v_lshlrev_b32_e32 v3, 1, v0
	v_lshrrev_b32_e32 v4, 4, v0
	v_add_lshl_u32 v3, v4, v3, 2
	ds_read2_b32 v[4:5], v3 offset1:1
	v_mbcnt_lo_u32_b32 v6, -1, 0
	v_mbcnt_hi_u32_b32 v6, -1, v6
	v_and_b32_e32 v7, 15, v6
	v_cmp_ne_u32_e32 vcc, 0, v7
	s_waitcnt lgkmcnt(0)
	v_add_u32_e32 v5, v5, v4
	; wave barrier
	s_nop 1
	v_mov_b32_dpp v8, v5 row_shr:1 row_mask:0xf bank_mask:0xf
	v_cndmask_b32_e32 v8, 0, v8, vcc
	v_add_u32_e32 v5, v8, v5
	v_cmp_lt_u32_e32 vcc, 1, v7
	s_nop 0
	v_mov_b32_dpp v8, v5 row_shr:2 row_mask:0xf bank_mask:0xf
	v_cndmask_b32_e32 v8, 0, v8, vcc
	v_add_u32_e32 v5, v5, v8
	v_cmp_lt_u32_e32 vcc, 3, v7
	;; [unrolled: 5-line block ×3, first 2 shown]
	s_nop 0
	v_mov_b32_dpp v8, v5 row_shr:8 row_mask:0xf bank_mask:0xf
	v_cndmask_b32_e32 v7, 0, v8, vcc
	v_add_u32_e32 v5, v5, v7
	v_bfe_i32 v8, v6, 4, 1
	v_cmp_lt_u32_e32 vcc, 31, v6
	v_mov_b32_dpp v7, v5 row_bcast:15 row_mask:0xf bank_mask:0xf
	v_and_b32_e32 v7, v8, v7
	v_add_u32_e32 v5, v5, v7
	v_and_b32_e32 v8, 64, v6
	s_nop 0
	v_mov_b32_dpp v7, v5 row_bcast:31 row_mask:0xf bank_mask:0xf
	v_cndmask_b32_e32 v7, 0, v7, vcc
	v_add_u32_e32 v5, v5, v7
	v_add_u32_e32 v7, -1, v6
	v_cmp_lt_i32_e32 vcc, v7, v8
	v_cndmask_b32_e32 v6, v7, v6, vcc
	v_lshlrev_b32_e32 v6, 2, v6
	ds_bpermute_b32 v5, v6, v5
	s_waitcnt lgkmcnt(0)
	v_add_u32_e32 v4, v5, v4
	v_cndmask_b32_e64 v2, v4, v2, s[0:1]
	ds_write_b32 v3, v2
	; wave barrier
	ds_read_b32 v4, v3 offset:4
	s_waitcnt lgkmcnt(0)
	v_add_u32_e32 v2, v4, v2
	ds_write_b32 v3, v2 offset:4
.LBB6288_58:
	s_or_b64 exec, exec, s[4:5]
	v_mov_b32_e32 v2, v26
	s_waitcnt lgkmcnt(0)
	s_barrier
	s_and_saveexec_b64 s[4:5], s[2:3]
	s_cbranch_execz .LBB6288_60
; %bb.59:
	v_add_u32_e32 v2, -1, v0
	v_lshrrev_b32_e32 v3, 5, v2
	v_add_lshl_u32 v2, v3, v2, 2
	ds_read_b32 v2, v2
	s_waitcnt lgkmcnt(0)
	v_add_u32_e32 v2, v2, v26
.LBB6288_60:
	s_or_b64 exec, exec, s[4:5]
	v_add_u32_e32 v3, v2, v16
	v_add_u32_e32 v4, v3, v17
	;; [unrolled: 1-line block ×9, first 2 shown]
	s_and_saveexec_b64 s[2:3], s[0:1]
	s_cbranch_execz .LBB6288_62
; %bb.61:
	v_mov_b32_e32 v14, 0
	ds_read_b32 v12, v14 offset:520
	v_mov_b32_e32 v13, 2
	s_waitcnt lgkmcnt(0)
	v_add_u32_e32 v12, v12, v26
	global_store_dwordx2 v14, v[12:13], s[6:7] offset:512
.LBB6288_62:
	s_or_b64 exec, exec, s[2:3]
.LBB6288_63:
	s_add_u32 s0, s20, s18
	s_addc_u32 s1, s21, s19
	s_add_u32 s2, s0, s22
	s_addc_u32 s3, s1, s23
	s_mov_b64 s[0:1], -1
	s_and_b64 vcc, exec, s[16:17]
	s_barrier
	s_cbranch_vccz .LBB6288_65
; %bb.64:
	ds_write2_b64 v1, v[2:3], v[4:5] offset1:1
	ds_write2_b64 v1, v[6:7], v[8:9] offset0:2 offset1:3
	ds_write_b64 v1, v[10:11] offset:32
	s_waitcnt lgkmcnt(0)
	s_barrier
	ds_read2st64_b32 v[12:13], v22 offset1:2
	ds_read2st64_b32 v[14:15], v22 offset0:4 offset1:6
	ds_read2st64_b32 v[16:17], v22 offset0:8 offset1:10
	;; [unrolled: 1-line block ×4, first 2 shown]
	v_mov_b32_e32 v25, s3
	v_add_co_u32_e32 v24, vcc, s2, v22
	v_addc_co_u32_e32 v25, vcc, 0, v25, vcc
	s_waitcnt lgkmcnt(4)
	flat_store_dword v[24:25], v12
	flat_store_dword v[24:25], v13 offset:512
	s_waitcnt lgkmcnt(0)
	flat_store_dword v[24:25], v14 offset:1024
	flat_store_dword v[24:25], v15 offset:1536
	flat_store_dword v[24:25], v16 offset:2048
	flat_store_dword v[24:25], v17 offset:2560
	flat_store_dword v[24:25], v18 offset:3072
	flat_store_dword v[24:25], v19 offset:3584
	v_add_co_u32_e32 v12, vcc, 0x1000, v24
	v_addc_co_u32_e32 v13, vcc, 0, v25, vcc
	flat_store_dword v[12:13], v20
	flat_store_dword v[12:13], v21 offset:512
	s_mov_b64 s[0:1], 0
.LBB6288_65:
	s_andn2_b64 vcc, exec, s[0:1]
	s_cbranch_vccnz .LBB6288_121
; %bb.66:
	ds_write2_b64 v1, v[2:3], v[4:5] offset1:1
	ds_write2_b64 v1, v[6:7], v[8:9] offset0:2 offset1:3
	ds_write_b64 v1, v[10:11] offset:32
	s_waitcnt lgkmcnt(0)
	s_barrier
	ds_read2st64_b32 v[2:3], v22 offset1:2
	ds_read2st64_b32 v[6:7], v22 offset0:4 offset1:6
	ds_read2st64_b32 v[4:5], v22 offset0:8 offset1:10
	;; [unrolled: 1-line block ×4, first 2 shown]
	v_mov_b32_e32 v13, s3
	v_add_co_u32_e32 v12, vcc, s2, v22
	v_addc_co_u32_e32 v13, vcc, 0, v13, vcc
	v_mov_b32_e32 v1, 0
	v_cmp_gt_u32_e32 vcc, s30, v0
	s_and_saveexec_b64 s[0:1], vcc
	s_cbranch_execz .LBB6288_68
; %bb.67:
	s_waitcnt lgkmcnt(0)
	flat_store_dword v[12:13], v2
.LBB6288_68:
	s_or_b64 exec, exec, s[0:1]
	v_or_b32_e32 v14, 0x80, v0
	v_cmp_gt_u32_e32 vcc, s30, v14
	s_and_saveexec_b64 s[0:1], vcc
	s_cbranch_execz .LBB6288_70
; %bb.69:
	s_waitcnt lgkmcnt(0)
	flat_store_dword v[12:13], v3 offset:512
.LBB6288_70:
	s_or_b64 exec, exec, s[0:1]
	v_or_b32_e32 v14, 0x100, v0
	v_cmp_gt_u32_e32 vcc, s30, v14
	s_and_saveexec_b64 s[0:1], vcc
	s_cbranch_execz .LBB6288_72
; %bb.71:
	s_waitcnt lgkmcnt(0)
	flat_store_dword v[12:13], v6 offset:1024
.LBB6288_72:
	;; [unrolled: 9-line block ×7, first 2 shown]
	s_or_b64 exec, exec, s[0:1]
	v_or_b32_e32 v14, 0x400, v0
	v_cmp_gt_u32_e32 vcc, s30, v14
	s_and_saveexec_b64 s[0:1], vcc
	s_cbranch_execz .LBB6288_84
; %bb.83:
	v_add_co_u32_e32 v14, vcc, 0x1000, v12
	v_addc_co_u32_e32 v15, vcc, 0, v13, vcc
	s_waitcnt lgkmcnt(0)
	flat_store_dword v[14:15], v10
.LBB6288_84:
	s_or_b64 exec, exec, s[0:1]
	v_or_b32_e32 v14, 0x480, v0
	v_cmp_gt_u32_e32 vcc, s30, v14
	s_and_saveexec_b64 s[0:1], vcc
	s_cbranch_execz .LBB6288_86
; %bb.85:
	v_add_co_u32_e32 v12, vcc, 0x1000, v12
	v_addc_co_u32_e32 v13, vcc, 0, v13, vcc
	s_waitcnt lgkmcnt(0)
	flat_store_dword v[12:13], v11 offset:512
.LBB6288_86:
	s_or_b64 exec, exec, s[0:1]
	v_cmp_lt_u64_e64 s[0:1], s[14:15], 2
	s_and_b64 vcc, exec, s[0:1]
	s_cbranch_vccnz .LBB6288_121
; %bb.87:
	s_add_u32 s0, s30, -1
	s_addc_u32 s1, s31, -1
	s_add_u32 s2, 0, 0x99986000
	s_addc_u32 s3, 0, 0x59
	s_add_i32 s3, s3, 0x19999940
	s_mul_hi_u32 s7, s2, -10
	s_sub_i32 s7, s7, s2
	s_mul_i32 s8, s3, -10
	s_mul_i32 s4, s2, -10
	s_add_i32 s7, s7, s8
	s_mul_hi_u32 s5, s3, s4
	s_mul_i32 s6, s3, s4
	s_mul_i32 s9, s2, s7
	s_mul_hi_u32 s4, s2, s4
	s_mul_hi_u32 s8, s2, s7
	s_add_u32 s4, s4, s9
	s_addc_u32 s8, 0, s8
	s_add_u32 s4, s4, s6
	s_mul_hi_u32 s9, s3, s7
	s_addc_u32 s4, s8, s5
	s_addc_u32 s5, s9, 0
	s_mul_i32 s6, s3, s7
	s_add_u32 s4, s4, s6
	v_mov_b32_e32 v12, s4
	s_addc_u32 s5, 0, s5
	v_add_co_u32_e32 v12, vcc, s2, v12
	s_cmp_lg_u64 vcc, 0
	s_addc_u32 s2, s3, s5
	v_readfirstlane_b32 s5, v12
	s_mul_i32 s4, s0, s2
	s_mul_hi_u32 s6, s0, s5
	s_mul_hi_u32 s3, s0, s2
	s_add_u32 s4, s6, s4
	s_addc_u32 s3, 0, s3
	s_mul_hi_u32 s7, s1, s5
	s_mul_i32 s5, s1, s5
	s_add_u32 s4, s4, s5
	s_mul_hi_u32 s6, s1, s2
	s_addc_u32 s3, s3, s7
	s_addc_u32 s4, s6, 0
	s_mul_i32 s2, s1, s2
	s_add_u32 s2, s3, s2
	s_addc_u32 s3, 0, s4
	s_add_u32 s4, s2, 1
	s_addc_u32 s5, s3, 0
	s_add_u32 s6, s2, 2
	s_mul_i32 s8, s3, 10
	s_mul_hi_u32 s9, s2, 10
	s_addc_u32 s7, s3, 0
	s_add_i32 s9, s9, s8
	s_mul_i32 s8, s2, 10
	v_mov_b32_e32 v12, s8
	v_sub_co_u32_e32 v12, vcc, s0, v12
	s_cmp_lg_u64 vcc, 0
	s_subb_u32 s8, s1, s9
	v_subrev_co_u32_e32 v13, vcc, 10, v12
	s_cmp_lg_u64 vcc, 0
	s_subb_u32 s9, s8, 0
	v_readfirstlane_b32 s12, v13
	s_cmp_gt_u32 s12, 9
	s_cselect_b32 s12, -1, 0
	s_cmp_eq_u32 s9, 0
	s_cselect_b32 s9, s12, -1
	s_cmp_lg_u32 s9, 0
	s_cselect_b32 s4, s6, s4
	v_readfirstlane_b32 s6, v12
	s_cselect_b32 s5, s7, s5
	s_cmp_gt_u32 s6, 9
	s_cselect_b32 s6, -1, 0
	s_cmp_eq_u32 s8, 0
	s_cselect_b32 s6, s6, -1
	s_cmp_lg_u32 s6, 0
	s_cselect_b32 s3, s5, s3
	s_cselect_b32 s2, s4, s2
	v_cmp_eq_u64_e32 vcc, s[2:3], v[0:1]
	s_and_saveexec_b64 s[2:3], vcc
	s_cbranch_execz .LBB6288_121
; %bb.88:
	v_mul_hi_u32_u24_e32 v1, 10, v0
	v_mov_b32_e32 v12, s1
	v_sub_co_u32_e32 v0, vcc, s0, v23
	v_subb_co_u32_e32 v1, vcc, v12, v1, vcc
	v_cmp_lt_i64_e32 vcc, 4, v[0:1]
	s_and_saveexec_b64 s[0:1], vcc
	s_xor_b64 s[0:1], exec, s[0:1]
	s_cbranch_execz .LBB6288_106
; %bb.89:
	v_cmp_lt_i64_e32 vcc, 6, v[0:1]
	s_and_saveexec_b64 s[2:3], vcc
	s_xor_b64 s[2:3], exec, s[2:3]
	s_cbranch_execz .LBB6288_99
; %bb.90:
	;; [unrolled: 5-line block ×4, first 2 shown]
	v_mov_b32_e32 v0, 0
	s_waitcnt lgkmcnt(0)
	global_store_dword v0, v11, s[10:11]
                                        ; implicit-def: $vgpr10_vgpr11
.LBB6288_93:
	s_andn2_saveexec_b64 s[6:7], s[6:7]
	s_cbranch_execz .LBB6288_95
; %bb.94:
	v_mov_b32_e32 v0, 0
	s_waitcnt lgkmcnt(0)
	global_store_dword v0, v10, s[10:11]
.LBB6288_95:
	s_or_b64 exec, exec, s[6:7]
                                        ; implicit-def: $vgpr8_vgpr9
.LBB6288_96:
	s_andn2_saveexec_b64 s[4:5], s[4:5]
	s_cbranch_execz .LBB6288_98
; %bb.97:
	v_mov_b32_e32 v0, 0
	s_waitcnt lgkmcnt(0)
	global_store_dword v0, v9, s[10:11]
.LBB6288_98:
	s_or_b64 exec, exec, s[4:5]
                                        ; implicit-def: $vgpr4_vgpr5
                                        ; implicit-def: $vgpr0_vgpr1
                                        ; implicit-def: $vgpr8_vgpr9
.LBB6288_99:
	s_andn2_saveexec_b64 s[2:3], s[2:3]
	s_cbranch_execz .LBB6288_105
; %bb.100:
	v_cmp_lt_i64_e32 vcc, 5, v[0:1]
	s_and_saveexec_b64 s[4:5], vcc
	s_xor_b64 s[4:5], exec, s[4:5]
	s_cbranch_execz .LBB6288_102
; %bb.101:
	v_mov_b32_e32 v0, 0
	s_waitcnt lgkmcnt(0)
	global_store_dword v0, v8, s[10:11]
                                        ; implicit-def: $vgpr4_vgpr5
.LBB6288_102:
	s_andn2_saveexec_b64 s[4:5], s[4:5]
	s_cbranch_execz .LBB6288_104
; %bb.103:
	v_mov_b32_e32 v0, 0
	s_waitcnt lgkmcnt(0)
	global_store_dword v0, v5, s[10:11]
.LBB6288_104:
	s_or_b64 exec, exec, s[4:5]
.LBB6288_105:
	s_or_b64 exec, exec, s[2:3]
                                        ; implicit-def: $vgpr0_vgpr1
                                        ; implicit-def: $vgpr6_vgpr7
                                        ; implicit-def: $vgpr2_vgpr3
                                        ; implicit-def: $vgpr4_vgpr5
.LBB6288_106:
	s_andn2_saveexec_b64 s[0:1], s[0:1]
	s_cbranch_execz .LBB6288_121
; %bb.107:
	v_cmp_lt_i64_e32 vcc, 2, v[0:1]
	s_and_saveexec_b64 s[0:1], vcc
	s_xor_b64 s[0:1], exec, s[0:1]
	s_cbranch_execz .LBB6288_113
; %bb.108:
	v_cmp_lt_i64_e32 vcc, 3, v[0:1]
	s_and_saveexec_b64 s[2:3], vcc
	s_xor_b64 s[2:3], exec, s[2:3]
	s_cbranch_execz .LBB6288_110
; %bb.109:
	v_mov_b32_e32 v0, 0
	s_waitcnt lgkmcnt(0)
	global_store_dword v0, v4, s[10:11]
                                        ; implicit-def: $vgpr6_vgpr7
.LBB6288_110:
	s_andn2_saveexec_b64 s[2:3], s[2:3]
	s_cbranch_execz .LBB6288_112
; %bb.111:
	v_mov_b32_e32 v0, 0
	s_waitcnt lgkmcnt(0)
	global_store_dword v0, v7, s[10:11]
.LBB6288_112:
	s_or_b64 exec, exec, s[2:3]
                                        ; implicit-def: $vgpr0_vgpr1
                                        ; implicit-def: $vgpr6_vgpr7
                                        ; implicit-def: $vgpr2_vgpr3
.LBB6288_113:
	s_andn2_saveexec_b64 s[0:1], s[0:1]
	s_cbranch_execz .LBB6288_121
; %bb.114:
	v_cmp_lt_i64_e32 vcc, 1, v[0:1]
	s_and_saveexec_b64 s[0:1], vcc
	s_xor_b64 s[0:1], exec, s[0:1]
	s_cbranch_execz .LBB6288_116
; %bb.115:
	v_mov_b32_e32 v0, 0
	s_waitcnt lgkmcnt(0)
	global_store_dword v0, v6, s[10:11]
                                        ; implicit-def: $vgpr2_vgpr3
                                        ; implicit-def: $vgpr0_vgpr1
.LBB6288_116:
	s_andn2_saveexec_b64 s[0:1], s[0:1]
	s_cbranch_execz .LBB6288_121
; %bb.117:
	v_cmp_ne_u64_e32 vcc, 1, v[0:1]
	s_and_saveexec_b64 s[0:1], vcc
	s_xor_b64 s[0:1], exec, s[0:1]
	s_cbranch_execz .LBB6288_119
; %bb.118:
	v_mov_b32_e32 v0, 0
	s_waitcnt lgkmcnt(0)
	global_store_dword v0, v2, s[10:11]
                                        ; implicit-def: $vgpr2_vgpr3
.LBB6288_119:
	s_andn2_saveexec_b64 s[0:1], s[0:1]
	s_cbranch_execz .LBB6288_121
; %bb.120:
	v_mov_b32_e32 v0, 0
	s_waitcnt lgkmcnt(0)
	global_store_dword v0, v3, s[10:11]
.LBB6288_121:
	s_endpgm
	.section	.rodata,"a",@progbits
	.p2align	6, 0x0
	.amdhsa_kernel _ZN7rocprim17ROCPRIM_400000_NS6detail17trampoline_kernelINS0_14default_configENS1_20scan_config_selectorIiEEZZNS1_9scan_implILNS1_25lookback_scan_determinismE0ELb1ELb1ES3_N6thrust23THRUST_200600_302600_NS6detail15normal_iteratorINS9_10device_ptrIjEEEENSB_INSC_IiEEEEiNS9_4plusIvEEiEEDaPvRmT3_T4_T5_mT6_P12ihipStream_tbENKUlT_T0_E_clISt17integral_constantIbLb0EESV_IbLb1EEEEDaSR_SS_EUlSR_E_NS1_11comp_targetILNS1_3genE4ELNS1_11target_archE910ELNS1_3gpuE8ELNS1_3repE0EEENS1_30default_config_static_selectorELNS0_4arch9wavefront6targetE1EEEvT1_
		.amdhsa_group_segment_fixed_size 5120
		.amdhsa_private_segment_fixed_size 0
		.amdhsa_kernarg_size 96
		.amdhsa_user_sgpr_count 6
		.amdhsa_user_sgpr_private_segment_buffer 1
		.amdhsa_user_sgpr_dispatch_ptr 0
		.amdhsa_user_sgpr_queue_ptr 0
		.amdhsa_user_sgpr_kernarg_segment_ptr 1
		.amdhsa_user_sgpr_dispatch_id 0
		.amdhsa_user_sgpr_flat_scratch_init 0
		.amdhsa_user_sgpr_kernarg_preload_length 0
		.amdhsa_user_sgpr_kernarg_preload_offset 0
		.amdhsa_user_sgpr_private_segment_size 0
		.amdhsa_uses_dynamic_stack 0
		.amdhsa_system_sgpr_private_segment_wavefront_offset 0
		.amdhsa_system_sgpr_workgroup_id_x 1
		.amdhsa_system_sgpr_workgroup_id_y 0
		.amdhsa_system_sgpr_workgroup_id_z 0
		.amdhsa_system_sgpr_workgroup_info 0
		.amdhsa_system_vgpr_workitem_id 0
		.amdhsa_next_free_vgpr 41
		.amdhsa_next_free_sgpr 40
		.amdhsa_accum_offset 44
		.amdhsa_reserve_vcc 1
		.amdhsa_reserve_flat_scratch 0
		.amdhsa_float_round_mode_32 0
		.amdhsa_float_round_mode_16_64 0
		.amdhsa_float_denorm_mode_32 3
		.amdhsa_float_denorm_mode_16_64 3
		.amdhsa_dx10_clamp 1
		.amdhsa_ieee_mode 1
		.amdhsa_fp16_overflow 0
		.amdhsa_tg_split 0
		.amdhsa_exception_fp_ieee_invalid_op 0
		.amdhsa_exception_fp_denorm_src 0
		.amdhsa_exception_fp_ieee_div_zero 0
		.amdhsa_exception_fp_ieee_overflow 0
		.amdhsa_exception_fp_ieee_underflow 0
		.amdhsa_exception_fp_ieee_inexact 0
		.amdhsa_exception_int_div_zero 0
	.end_amdhsa_kernel
	.section	.text._ZN7rocprim17ROCPRIM_400000_NS6detail17trampoline_kernelINS0_14default_configENS1_20scan_config_selectorIiEEZZNS1_9scan_implILNS1_25lookback_scan_determinismE0ELb1ELb1ES3_N6thrust23THRUST_200600_302600_NS6detail15normal_iteratorINS9_10device_ptrIjEEEENSB_INSC_IiEEEEiNS9_4plusIvEEiEEDaPvRmT3_T4_T5_mT6_P12ihipStream_tbENKUlT_T0_E_clISt17integral_constantIbLb0EESV_IbLb1EEEEDaSR_SS_EUlSR_E_NS1_11comp_targetILNS1_3genE4ELNS1_11target_archE910ELNS1_3gpuE8ELNS1_3repE0EEENS1_30default_config_static_selectorELNS0_4arch9wavefront6targetE1EEEvT1_,"axG",@progbits,_ZN7rocprim17ROCPRIM_400000_NS6detail17trampoline_kernelINS0_14default_configENS1_20scan_config_selectorIiEEZZNS1_9scan_implILNS1_25lookback_scan_determinismE0ELb1ELb1ES3_N6thrust23THRUST_200600_302600_NS6detail15normal_iteratorINS9_10device_ptrIjEEEENSB_INSC_IiEEEEiNS9_4plusIvEEiEEDaPvRmT3_T4_T5_mT6_P12ihipStream_tbENKUlT_T0_E_clISt17integral_constantIbLb0EESV_IbLb1EEEEDaSR_SS_EUlSR_E_NS1_11comp_targetILNS1_3genE4ELNS1_11target_archE910ELNS1_3gpuE8ELNS1_3repE0EEENS1_30default_config_static_selectorELNS0_4arch9wavefront6targetE1EEEvT1_,comdat
.Lfunc_end6288:
	.size	_ZN7rocprim17ROCPRIM_400000_NS6detail17trampoline_kernelINS0_14default_configENS1_20scan_config_selectorIiEEZZNS1_9scan_implILNS1_25lookback_scan_determinismE0ELb1ELb1ES3_N6thrust23THRUST_200600_302600_NS6detail15normal_iteratorINS9_10device_ptrIjEEEENSB_INSC_IiEEEEiNS9_4plusIvEEiEEDaPvRmT3_T4_T5_mT6_P12ihipStream_tbENKUlT_T0_E_clISt17integral_constantIbLb0EESV_IbLb1EEEEDaSR_SS_EUlSR_E_NS1_11comp_targetILNS1_3genE4ELNS1_11target_archE910ELNS1_3gpuE8ELNS1_3repE0EEENS1_30default_config_static_selectorELNS0_4arch9wavefront6targetE1EEEvT1_, .Lfunc_end6288-_ZN7rocprim17ROCPRIM_400000_NS6detail17trampoline_kernelINS0_14default_configENS1_20scan_config_selectorIiEEZZNS1_9scan_implILNS1_25lookback_scan_determinismE0ELb1ELb1ES3_N6thrust23THRUST_200600_302600_NS6detail15normal_iteratorINS9_10device_ptrIjEEEENSB_INSC_IiEEEEiNS9_4plusIvEEiEEDaPvRmT3_T4_T5_mT6_P12ihipStream_tbENKUlT_T0_E_clISt17integral_constantIbLb0EESV_IbLb1EEEEDaSR_SS_EUlSR_E_NS1_11comp_targetILNS1_3genE4ELNS1_11target_archE910ELNS1_3gpuE8ELNS1_3repE0EEENS1_30default_config_static_selectorELNS0_4arch9wavefront6targetE1EEEvT1_
                                        ; -- End function
	.section	.AMDGPU.csdata,"",@progbits
; Kernel info:
; codeLenInByte = 4496
; NumSgprs: 44
; NumVgprs: 41
; NumAgprs: 0
; TotalNumVgprs: 41
; ScratchSize: 0
; MemoryBound: 0
; FloatMode: 240
; IeeeMode: 1
; LDSByteSize: 5120 bytes/workgroup (compile time only)
; SGPRBlocks: 5
; VGPRBlocks: 5
; NumSGPRsForWavesPerEU: 44
; NumVGPRsForWavesPerEU: 41
; AccumOffset: 44
; Occupancy: 6
; WaveLimiterHint : 1
; COMPUTE_PGM_RSRC2:SCRATCH_EN: 0
; COMPUTE_PGM_RSRC2:USER_SGPR: 6
; COMPUTE_PGM_RSRC2:TRAP_HANDLER: 0
; COMPUTE_PGM_RSRC2:TGID_X_EN: 1
; COMPUTE_PGM_RSRC2:TGID_Y_EN: 0
; COMPUTE_PGM_RSRC2:TGID_Z_EN: 0
; COMPUTE_PGM_RSRC2:TIDIG_COMP_CNT: 0
; COMPUTE_PGM_RSRC3_GFX90A:ACCUM_OFFSET: 10
; COMPUTE_PGM_RSRC3_GFX90A:TG_SPLIT: 0
	.section	.text._ZN7rocprim17ROCPRIM_400000_NS6detail17trampoline_kernelINS0_14default_configENS1_20scan_config_selectorIiEEZZNS1_9scan_implILNS1_25lookback_scan_determinismE0ELb1ELb1ES3_N6thrust23THRUST_200600_302600_NS6detail15normal_iteratorINS9_10device_ptrIjEEEENSB_INSC_IiEEEEiNS9_4plusIvEEiEEDaPvRmT3_T4_T5_mT6_P12ihipStream_tbENKUlT_T0_E_clISt17integral_constantIbLb0EESV_IbLb1EEEEDaSR_SS_EUlSR_E_NS1_11comp_targetILNS1_3genE3ELNS1_11target_archE908ELNS1_3gpuE7ELNS1_3repE0EEENS1_30default_config_static_selectorELNS0_4arch9wavefront6targetE1EEEvT1_,"axG",@progbits,_ZN7rocprim17ROCPRIM_400000_NS6detail17trampoline_kernelINS0_14default_configENS1_20scan_config_selectorIiEEZZNS1_9scan_implILNS1_25lookback_scan_determinismE0ELb1ELb1ES3_N6thrust23THRUST_200600_302600_NS6detail15normal_iteratorINS9_10device_ptrIjEEEENSB_INSC_IiEEEEiNS9_4plusIvEEiEEDaPvRmT3_T4_T5_mT6_P12ihipStream_tbENKUlT_T0_E_clISt17integral_constantIbLb0EESV_IbLb1EEEEDaSR_SS_EUlSR_E_NS1_11comp_targetILNS1_3genE3ELNS1_11target_archE908ELNS1_3gpuE7ELNS1_3repE0EEENS1_30default_config_static_selectorELNS0_4arch9wavefront6targetE1EEEvT1_,comdat
	.protected	_ZN7rocprim17ROCPRIM_400000_NS6detail17trampoline_kernelINS0_14default_configENS1_20scan_config_selectorIiEEZZNS1_9scan_implILNS1_25lookback_scan_determinismE0ELb1ELb1ES3_N6thrust23THRUST_200600_302600_NS6detail15normal_iteratorINS9_10device_ptrIjEEEENSB_INSC_IiEEEEiNS9_4plusIvEEiEEDaPvRmT3_T4_T5_mT6_P12ihipStream_tbENKUlT_T0_E_clISt17integral_constantIbLb0EESV_IbLb1EEEEDaSR_SS_EUlSR_E_NS1_11comp_targetILNS1_3genE3ELNS1_11target_archE908ELNS1_3gpuE7ELNS1_3repE0EEENS1_30default_config_static_selectorELNS0_4arch9wavefront6targetE1EEEvT1_ ; -- Begin function _ZN7rocprim17ROCPRIM_400000_NS6detail17trampoline_kernelINS0_14default_configENS1_20scan_config_selectorIiEEZZNS1_9scan_implILNS1_25lookback_scan_determinismE0ELb1ELb1ES3_N6thrust23THRUST_200600_302600_NS6detail15normal_iteratorINS9_10device_ptrIjEEEENSB_INSC_IiEEEEiNS9_4plusIvEEiEEDaPvRmT3_T4_T5_mT6_P12ihipStream_tbENKUlT_T0_E_clISt17integral_constantIbLb0EESV_IbLb1EEEEDaSR_SS_EUlSR_E_NS1_11comp_targetILNS1_3genE3ELNS1_11target_archE908ELNS1_3gpuE7ELNS1_3repE0EEENS1_30default_config_static_selectorELNS0_4arch9wavefront6targetE1EEEvT1_
	.globl	_ZN7rocprim17ROCPRIM_400000_NS6detail17trampoline_kernelINS0_14default_configENS1_20scan_config_selectorIiEEZZNS1_9scan_implILNS1_25lookback_scan_determinismE0ELb1ELb1ES3_N6thrust23THRUST_200600_302600_NS6detail15normal_iteratorINS9_10device_ptrIjEEEENSB_INSC_IiEEEEiNS9_4plusIvEEiEEDaPvRmT3_T4_T5_mT6_P12ihipStream_tbENKUlT_T0_E_clISt17integral_constantIbLb0EESV_IbLb1EEEEDaSR_SS_EUlSR_E_NS1_11comp_targetILNS1_3genE3ELNS1_11target_archE908ELNS1_3gpuE7ELNS1_3repE0EEENS1_30default_config_static_selectorELNS0_4arch9wavefront6targetE1EEEvT1_
	.p2align	8
	.type	_ZN7rocprim17ROCPRIM_400000_NS6detail17trampoline_kernelINS0_14default_configENS1_20scan_config_selectorIiEEZZNS1_9scan_implILNS1_25lookback_scan_determinismE0ELb1ELb1ES3_N6thrust23THRUST_200600_302600_NS6detail15normal_iteratorINS9_10device_ptrIjEEEENSB_INSC_IiEEEEiNS9_4plusIvEEiEEDaPvRmT3_T4_T5_mT6_P12ihipStream_tbENKUlT_T0_E_clISt17integral_constantIbLb0EESV_IbLb1EEEEDaSR_SS_EUlSR_E_NS1_11comp_targetILNS1_3genE3ELNS1_11target_archE908ELNS1_3gpuE7ELNS1_3repE0EEENS1_30default_config_static_selectorELNS0_4arch9wavefront6targetE1EEEvT1_,@function
_ZN7rocprim17ROCPRIM_400000_NS6detail17trampoline_kernelINS0_14default_configENS1_20scan_config_selectorIiEEZZNS1_9scan_implILNS1_25lookback_scan_determinismE0ELb1ELb1ES3_N6thrust23THRUST_200600_302600_NS6detail15normal_iteratorINS9_10device_ptrIjEEEENSB_INSC_IiEEEEiNS9_4plusIvEEiEEDaPvRmT3_T4_T5_mT6_P12ihipStream_tbENKUlT_T0_E_clISt17integral_constantIbLb0EESV_IbLb1EEEEDaSR_SS_EUlSR_E_NS1_11comp_targetILNS1_3genE3ELNS1_11target_archE908ELNS1_3gpuE7ELNS1_3repE0EEENS1_30default_config_static_selectorELNS0_4arch9wavefront6targetE1EEEvT1_: ; @_ZN7rocprim17ROCPRIM_400000_NS6detail17trampoline_kernelINS0_14default_configENS1_20scan_config_selectorIiEEZZNS1_9scan_implILNS1_25lookback_scan_determinismE0ELb1ELb1ES3_N6thrust23THRUST_200600_302600_NS6detail15normal_iteratorINS9_10device_ptrIjEEEENSB_INSC_IiEEEEiNS9_4plusIvEEiEEDaPvRmT3_T4_T5_mT6_P12ihipStream_tbENKUlT_T0_E_clISt17integral_constantIbLb0EESV_IbLb1EEEEDaSR_SS_EUlSR_E_NS1_11comp_targetILNS1_3genE3ELNS1_11target_archE908ELNS1_3gpuE7ELNS1_3repE0EEENS1_30default_config_static_selectorELNS0_4arch9wavefront6targetE1EEEvT1_
; %bb.0:
	.section	.rodata,"a",@progbits
	.p2align	6, 0x0
	.amdhsa_kernel _ZN7rocprim17ROCPRIM_400000_NS6detail17trampoline_kernelINS0_14default_configENS1_20scan_config_selectorIiEEZZNS1_9scan_implILNS1_25lookback_scan_determinismE0ELb1ELb1ES3_N6thrust23THRUST_200600_302600_NS6detail15normal_iteratorINS9_10device_ptrIjEEEENSB_INSC_IiEEEEiNS9_4plusIvEEiEEDaPvRmT3_T4_T5_mT6_P12ihipStream_tbENKUlT_T0_E_clISt17integral_constantIbLb0EESV_IbLb1EEEEDaSR_SS_EUlSR_E_NS1_11comp_targetILNS1_3genE3ELNS1_11target_archE908ELNS1_3gpuE7ELNS1_3repE0EEENS1_30default_config_static_selectorELNS0_4arch9wavefront6targetE1EEEvT1_
		.amdhsa_group_segment_fixed_size 0
		.amdhsa_private_segment_fixed_size 0
		.amdhsa_kernarg_size 96
		.amdhsa_user_sgpr_count 6
		.amdhsa_user_sgpr_private_segment_buffer 1
		.amdhsa_user_sgpr_dispatch_ptr 0
		.amdhsa_user_sgpr_queue_ptr 0
		.amdhsa_user_sgpr_kernarg_segment_ptr 1
		.amdhsa_user_sgpr_dispatch_id 0
		.amdhsa_user_sgpr_flat_scratch_init 0
		.amdhsa_user_sgpr_kernarg_preload_length 0
		.amdhsa_user_sgpr_kernarg_preload_offset 0
		.amdhsa_user_sgpr_private_segment_size 0
		.amdhsa_uses_dynamic_stack 0
		.amdhsa_system_sgpr_private_segment_wavefront_offset 0
		.amdhsa_system_sgpr_workgroup_id_x 1
		.amdhsa_system_sgpr_workgroup_id_y 0
		.amdhsa_system_sgpr_workgroup_id_z 0
		.amdhsa_system_sgpr_workgroup_info 0
		.amdhsa_system_vgpr_workitem_id 0
		.amdhsa_next_free_vgpr 1
		.amdhsa_next_free_sgpr 0
		.amdhsa_accum_offset 4
		.amdhsa_reserve_vcc 0
		.amdhsa_reserve_flat_scratch 0
		.amdhsa_float_round_mode_32 0
		.amdhsa_float_round_mode_16_64 0
		.amdhsa_float_denorm_mode_32 3
		.amdhsa_float_denorm_mode_16_64 3
		.amdhsa_dx10_clamp 1
		.amdhsa_ieee_mode 1
		.amdhsa_fp16_overflow 0
		.amdhsa_tg_split 0
		.amdhsa_exception_fp_ieee_invalid_op 0
		.amdhsa_exception_fp_denorm_src 0
		.amdhsa_exception_fp_ieee_div_zero 0
		.amdhsa_exception_fp_ieee_overflow 0
		.amdhsa_exception_fp_ieee_underflow 0
		.amdhsa_exception_fp_ieee_inexact 0
		.amdhsa_exception_int_div_zero 0
	.end_amdhsa_kernel
	.section	.text._ZN7rocprim17ROCPRIM_400000_NS6detail17trampoline_kernelINS0_14default_configENS1_20scan_config_selectorIiEEZZNS1_9scan_implILNS1_25lookback_scan_determinismE0ELb1ELb1ES3_N6thrust23THRUST_200600_302600_NS6detail15normal_iteratorINS9_10device_ptrIjEEEENSB_INSC_IiEEEEiNS9_4plusIvEEiEEDaPvRmT3_T4_T5_mT6_P12ihipStream_tbENKUlT_T0_E_clISt17integral_constantIbLb0EESV_IbLb1EEEEDaSR_SS_EUlSR_E_NS1_11comp_targetILNS1_3genE3ELNS1_11target_archE908ELNS1_3gpuE7ELNS1_3repE0EEENS1_30default_config_static_selectorELNS0_4arch9wavefront6targetE1EEEvT1_,"axG",@progbits,_ZN7rocprim17ROCPRIM_400000_NS6detail17trampoline_kernelINS0_14default_configENS1_20scan_config_selectorIiEEZZNS1_9scan_implILNS1_25lookback_scan_determinismE0ELb1ELb1ES3_N6thrust23THRUST_200600_302600_NS6detail15normal_iteratorINS9_10device_ptrIjEEEENSB_INSC_IiEEEEiNS9_4plusIvEEiEEDaPvRmT3_T4_T5_mT6_P12ihipStream_tbENKUlT_T0_E_clISt17integral_constantIbLb0EESV_IbLb1EEEEDaSR_SS_EUlSR_E_NS1_11comp_targetILNS1_3genE3ELNS1_11target_archE908ELNS1_3gpuE7ELNS1_3repE0EEENS1_30default_config_static_selectorELNS0_4arch9wavefront6targetE1EEEvT1_,comdat
.Lfunc_end6289:
	.size	_ZN7rocprim17ROCPRIM_400000_NS6detail17trampoline_kernelINS0_14default_configENS1_20scan_config_selectorIiEEZZNS1_9scan_implILNS1_25lookback_scan_determinismE0ELb1ELb1ES3_N6thrust23THRUST_200600_302600_NS6detail15normal_iteratorINS9_10device_ptrIjEEEENSB_INSC_IiEEEEiNS9_4plusIvEEiEEDaPvRmT3_T4_T5_mT6_P12ihipStream_tbENKUlT_T0_E_clISt17integral_constantIbLb0EESV_IbLb1EEEEDaSR_SS_EUlSR_E_NS1_11comp_targetILNS1_3genE3ELNS1_11target_archE908ELNS1_3gpuE7ELNS1_3repE0EEENS1_30default_config_static_selectorELNS0_4arch9wavefront6targetE1EEEvT1_, .Lfunc_end6289-_ZN7rocprim17ROCPRIM_400000_NS6detail17trampoline_kernelINS0_14default_configENS1_20scan_config_selectorIiEEZZNS1_9scan_implILNS1_25lookback_scan_determinismE0ELb1ELb1ES3_N6thrust23THRUST_200600_302600_NS6detail15normal_iteratorINS9_10device_ptrIjEEEENSB_INSC_IiEEEEiNS9_4plusIvEEiEEDaPvRmT3_T4_T5_mT6_P12ihipStream_tbENKUlT_T0_E_clISt17integral_constantIbLb0EESV_IbLb1EEEEDaSR_SS_EUlSR_E_NS1_11comp_targetILNS1_3genE3ELNS1_11target_archE908ELNS1_3gpuE7ELNS1_3repE0EEENS1_30default_config_static_selectorELNS0_4arch9wavefront6targetE1EEEvT1_
                                        ; -- End function
	.section	.AMDGPU.csdata,"",@progbits
; Kernel info:
; codeLenInByte = 0
; NumSgprs: 4
; NumVgprs: 0
; NumAgprs: 0
; TotalNumVgprs: 0
; ScratchSize: 0
; MemoryBound: 0
; FloatMode: 240
; IeeeMode: 1
; LDSByteSize: 0 bytes/workgroup (compile time only)
; SGPRBlocks: 0
; VGPRBlocks: 0
; NumSGPRsForWavesPerEU: 4
; NumVGPRsForWavesPerEU: 1
; AccumOffset: 4
; Occupancy: 8
; WaveLimiterHint : 0
; COMPUTE_PGM_RSRC2:SCRATCH_EN: 0
; COMPUTE_PGM_RSRC2:USER_SGPR: 6
; COMPUTE_PGM_RSRC2:TRAP_HANDLER: 0
; COMPUTE_PGM_RSRC2:TGID_X_EN: 1
; COMPUTE_PGM_RSRC2:TGID_Y_EN: 0
; COMPUTE_PGM_RSRC2:TGID_Z_EN: 0
; COMPUTE_PGM_RSRC2:TIDIG_COMP_CNT: 0
; COMPUTE_PGM_RSRC3_GFX90A:ACCUM_OFFSET: 0
; COMPUTE_PGM_RSRC3_GFX90A:TG_SPLIT: 0
	.section	.text._ZN7rocprim17ROCPRIM_400000_NS6detail17trampoline_kernelINS0_14default_configENS1_20scan_config_selectorIiEEZZNS1_9scan_implILNS1_25lookback_scan_determinismE0ELb1ELb1ES3_N6thrust23THRUST_200600_302600_NS6detail15normal_iteratorINS9_10device_ptrIjEEEENSB_INSC_IiEEEEiNS9_4plusIvEEiEEDaPvRmT3_T4_T5_mT6_P12ihipStream_tbENKUlT_T0_E_clISt17integral_constantIbLb0EESV_IbLb1EEEEDaSR_SS_EUlSR_E_NS1_11comp_targetILNS1_3genE2ELNS1_11target_archE906ELNS1_3gpuE6ELNS1_3repE0EEENS1_30default_config_static_selectorELNS0_4arch9wavefront6targetE1EEEvT1_,"axG",@progbits,_ZN7rocprim17ROCPRIM_400000_NS6detail17trampoline_kernelINS0_14default_configENS1_20scan_config_selectorIiEEZZNS1_9scan_implILNS1_25lookback_scan_determinismE0ELb1ELb1ES3_N6thrust23THRUST_200600_302600_NS6detail15normal_iteratorINS9_10device_ptrIjEEEENSB_INSC_IiEEEEiNS9_4plusIvEEiEEDaPvRmT3_T4_T5_mT6_P12ihipStream_tbENKUlT_T0_E_clISt17integral_constantIbLb0EESV_IbLb1EEEEDaSR_SS_EUlSR_E_NS1_11comp_targetILNS1_3genE2ELNS1_11target_archE906ELNS1_3gpuE6ELNS1_3repE0EEENS1_30default_config_static_selectorELNS0_4arch9wavefront6targetE1EEEvT1_,comdat
	.protected	_ZN7rocprim17ROCPRIM_400000_NS6detail17trampoline_kernelINS0_14default_configENS1_20scan_config_selectorIiEEZZNS1_9scan_implILNS1_25lookback_scan_determinismE0ELb1ELb1ES3_N6thrust23THRUST_200600_302600_NS6detail15normal_iteratorINS9_10device_ptrIjEEEENSB_INSC_IiEEEEiNS9_4plusIvEEiEEDaPvRmT3_T4_T5_mT6_P12ihipStream_tbENKUlT_T0_E_clISt17integral_constantIbLb0EESV_IbLb1EEEEDaSR_SS_EUlSR_E_NS1_11comp_targetILNS1_3genE2ELNS1_11target_archE906ELNS1_3gpuE6ELNS1_3repE0EEENS1_30default_config_static_selectorELNS0_4arch9wavefront6targetE1EEEvT1_ ; -- Begin function _ZN7rocprim17ROCPRIM_400000_NS6detail17trampoline_kernelINS0_14default_configENS1_20scan_config_selectorIiEEZZNS1_9scan_implILNS1_25lookback_scan_determinismE0ELb1ELb1ES3_N6thrust23THRUST_200600_302600_NS6detail15normal_iteratorINS9_10device_ptrIjEEEENSB_INSC_IiEEEEiNS9_4plusIvEEiEEDaPvRmT3_T4_T5_mT6_P12ihipStream_tbENKUlT_T0_E_clISt17integral_constantIbLb0EESV_IbLb1EEEEDaSR_SS_EUlSR_E_NS1_11comp_targetILNS1_3genE2ELNS1_11target_archE906ELNS1_3gpuE6ELNS1_3repE0EEENS1_30default_config_static_selectorELNS0_4arch9wavefront6targetE1EEEvT1_
	.globl	_ZN7rocprim17ROCPRIM_400000_NS6detail17trampoline_kernelINS0_14default_configENS1_20scan_config_selectorIiEEZZNS1_9scan_implILNS1_25lookback_scan_determinismE0ELb1ELb1ES3_N6thrust23THRUST_200600_302600_NS6detail15normal_iteratorINS9_10device_ptrIjEEEENSB_INSC_IiEEEEiNS9_4plusIvEEiEEDaPvRmT3_T4_T5_mT6_P12ihipStream_tbENKUlT_T0_E_clISt17integral_constantIbLb0EESV_IbLb1EEEEDaSR_SS_EUlSR_E_NS1_11comp_targetILNS1_3genE2ELNS1_11target_archE906ELNS1_3gpuE6ELNS1_3repE0EEENS1_30default_config_static_selectorELNS0_4arch9wavefront6targetE1EEEvT1_
	.p2align	8
	.type	_ZN7rocprim17ROCPRIM_400000_NS6detail17trampoline_kernelINS0_14default_configENS1_20scan_config_selectorIiEEZZNS1_9scan_implILNS1_25lookback_scan_determinismE0ELb1ELb1ES3_N6thrust23THRUST_200600_302600_NS6detail15normal_iteratorINS9_10device_ptrIjEEEENSB_INSC_IiEEEEiNS9_4plusIvEEiEEDaPvRmT3_T4_T5_mT6_P12ihipStream_tbENKUlT_T0_E_clISt17integral_constantIbLb0EESV_IbLb1EEEEDaSR_SS_EUlSR_E_NS1_11comp_targetILNS1_3genE2ELNS1_11target_archE906ELNS1_3gpuE6ELNS1_3repE0EEENS1_30default_config_static_selectorELNS0_4arch9wavefront6targetE1EEEvT1_,@function
_ZN7rocprim17ROCPRIM_400000_NS6detail17trampoline_kernelINS0_14default_configENS1_20scan_config_selectorIiEEZZNS1_9scan_implILNS1_25lookback_scan_determinismE0ELb1ELb1ES3_N6thrust23THRUST_200600_302600_NS6detail15normal_iteratorINS9_10device_ptrIjEEEENSB_INSC_IiEEEEiNS9_4plusIvEEiEEDaPvRmT3_T4_T5_mT6_P12ihipStream_tbENKUlT_T0_E_clISt17integral_constantIbLb0EESV_IbLb1EEEEDaSR_SS_EUlSR_E_NS1_11comp_targetILNS1_3genE2ELNS1_11target_archE906ELNS1_3gpuE6ELNS1_3repE0EEENS1_30default_config_static_selectorELNS0_4arch9wavefront6targetE1EEEvT1_: ; @_ZN7rocprim17ROCPRIM_400000_NS6detail17trampoline_kernelINS0_14default_configENS1_20scan_config_selectorIiEEZZNS1_9scan_implILNS1_25lookback_scan_determinismE0ELb1ELb1ES3_N6thrust23THRUST_200600_302600_NS6detail15normal_iteratorINS9_10device_ptrIjEEEENSB_INSC_IiEEEEiNS9_4plusIvEEiEEDaPvRmT3_T4_T5_mT6_P12ihipStream_tbENKUlT_T0_E_clISt17integral_constantIbLb0EESV_IbLb1EEEEDaSR_SS_EUlSR_E_NS1_11comp_targetILNS1_3genE2ELNS1_11target_archE906ELNS1_3gpuE6ELNS1_3repE0EEENS1_30default_config_static_selectorELNS0_4arch9wavefront6targetE1EEEvT1_
; %bb.0:
	.section	.rodata,"a",@progbits
	.p2align	6, 0x0
	.amdhsa_kernel _ZN7rocprim17ROCPRIM_400000_NS6detail17trampoline_kernelINS0_14default_configENS1_20scan_config_selectorIiEEZZNS1_9scan_implILNS1_25lookback_scan_determinismE0ELb1ELb1ES3_N6thrust23THRUST_200600_302600_NS6detail15normal_iteratorINS9_10device_ptrIjEEEENSB_INSC_IiEEEEiNS9_4plusIvEEiEEDaPvRmT3_T4_T5_mT6_P12ihipStream_tbENKUlT_T0_E_clISt17integral_constantIbLb0EESV_IbLb1EEEEDaSR_SS_EUlSR_E_NS1_11comp_targetILNS1_3genE2ELNS1_11target_archE906ELNS1_3gpuE6ELNS1_3repE0EEENS1_30default_config_static_selectorELNS0_4arch9wavefront6targetE1EEEvT1_
		.amdhsa_group_segment_fixed_size 0
		.amdhsa_private_segment_fixed_size 0
		.amdhsa_kernarg_size 96
		.amdhsa_user_sgpr_count 6
		.amdhsa_user_sgpr_private_segment_buffer 1
		.amdhsa_user_sgpr_dispatch_ptr 0
		.amdhsa_user_sgpr_queue_ptr 0
		.amdhsa_user_sgpr_kernarg_segment_ptr 1
		.amdhsa_user_sgpr_dispatch_id 0
		.amdhsa_user_sgpr_flat_scratch_init 0
		.amdhsa_user_sgpr_kernarg_preload_length 0
		.amdhsa_user_sgpr_kernarg_preload_offset 0
		.amdhsa_user_sgpr_private_segment_size 0
		.amdhsa_uses_dynamic_stack 0
		.amdhsa_system_sgpr_private_segment_wavefront_offset 0
		.amdhsa_system_sgpr_workgroup_id_x 1
		.amdhsa_system_sgpr_workgroup_id_y 0
		.amdhsa_system_sgpr_workgroup_id_z 0
		.amdhsa_system_sgpr_workgroup_info 0
		.amdhsa_system_vgpr_workitem_id 0
		.amdhsa_next_free_vgpr 1
		.amdhsa_next_free_sgpr 0
		.amdhsa_accum_offset 4
		.amdhsa_reserve_vcc 0
		.amdhsa_reserve_flat_scratch 0
		.amdhsa_float_round_mode_32 0
		.amdhsa_float_round_mode_16_64 0
		.amdhsa_float_denorm_mode_32 3
		.amdhsa_float_denorm_mode_16_64 3
		.amdhsa_dx10_clamp 1
		.amdhsa_ieee_mode 1
		.amdhsa_fp16_overflow 0
		.amdhsa_tg_split 0
		.amdhsa_exception_fp_ieee_invalid_op 0
		.amdhsa_exception_fp_denorm_src 0
		.amdhsa_exception_fp_ieee_div_zero 0
		.amdhsa_exception_fp_ieee_overflow 0
		.amdhsa_exception_fp_ieee_underflow 0
		.amdhsa_exception_fp_ieee_inexact 0
		.amdhsa_exception_int_div_zero 0
	.end_amdhsa_kernel
	.section	.text._ZN7rocprim17ROCPRIM_400000_NS6detail17trampoline_kernelINS0_14default_configENS1_20scan_config_selectorIiEEZZNS1_9scan_implILNS1_25lookback_scan_determinismE0ELb1ELb1ES3_N6thrust23THRUST_200600_302600_NS6detail15normal_iteratorINS9_10device_ptrIjEEEENSB_INSC_IiEEEEiNS9_4plusIvEEiEEDaPvRmT3_T4_T5_mT6_P12ihipStream_tbENKUlT_T0_E_clISt17integral_constantIbLb0EESV_IbLb1EEEEDaSR_SS_EUlSR_E_NS1_11comp_targetILNS1_3genE2ELNS1_11target_archE906ELNS1_3gpuE6ELNS1_3repE0EEENS1_30default_config_static_selectorELNS0_4arch9wavefront6targetE1EEEvT1_,"axG",@progbits,_ZN7rocprim17ROCPRIM_400000_NS6detail17trampoline_kernelINS0_14default_configENS1_20scan_config_selectorIiEEZZNS1_9scan_implILNS1_25lookback_scan_determinismE0ELb1ELb1ES3_N6thrust23THRUST_200600_302600_NS6detail15normal_iteratorINS9_10device_ptrIjEEEENSB_INSC_IiEEEEiNS9_4plusIvEEiEEDaPvRmT3_T4_T5_mT6_P12ihipStream_tbENKUlT_T0_E_clISt17integral_constantIbLb0EESV_IbLb1EEEEDaSR_SS_EUlSR_E_NS1_11comp_targetILNS1_3genE2ELNS1_11target_archE906ELNS1_3gpuE6ELNS1_3repE0EEENS1_30default_config_static_selectorELNS0_4arch9wavefront6targetE1EEEvT1_,comdat
.Lfunc_end6290:
	.size	_ZN7rocprim17ROCPRIM_400000_NS6detail17trampoline_kernelINS0_14default_configENS1_20scan_config_selectorIiEEZZNS1_9scan_implILNS1_25lookback_scan_determinismE0ELb1ELb1ES3_N6thrust23THRUST_200600_302600_NS6detail15normal_iteratorINS9_10device_ptrIjEEEENSB_INSC_IiEEEEiNS9_4plusIvEEiEEDaPvRmT3_T4_T5_mT6_P12ihipStream_tbENKUlT_T0_E_clISt17integral_constantIbLb0EESV_IbLb1EEEEDaSR_SS_EUlSR_E_NS1_11comp_targetILNS1_3genE2ELNS1_11target_archE906ELNS1_3gpuE6ELNS1_3repE0EEENS1_30default_config_static_selectorELNS0_4arch9wavefront6targetE1EEEvT1_, .Lfunc_end6290-_ZN7rocprim17ROCPRIM_400000_NS6detail17trampoline_kernelINS0_14default_configENS1_20scan_config_selectorIiEEZZNS1_9scan_implILNS1_25lookback_scan_determinismE0ELb1ELb1ES3_N6thrust23THRUST_200600_302600_NS6detail15normal_iteratorINS9_10device_ptrIjEEEENSB_INSC_IiEEEEiNS9_4plusIvEEiEEDaPvRmT3_T4_T5_mT6_P12ihipStream_tbENKUlT_T0_E_clISt17integral_constantIbLb0EESV_IbLb1EEEEDaSR_SS_EUlSR_E_NS1_11comp_targetILNS1_3genE2ELNS1_11target_archE906ELNS1_3gpuE6ELNS1_3repE0EEENS1_30default_config_static_selectorELNS0_4arch9wavefront6targetE1EEEvT1_
                                        ; -- End function
	.section	.AMDGPU.csdata,"",@progbits
; Kernel info:
; codeLenInByte = 0
; NumSgprs: 4
; NumVgprs: 0
; NumAgprs: 0
; TotalNumVgprs: 0
; ScratchSize: 0
; MemoryBound: 0
; FloatMode: 240
; IeeeMode: 1
; LDSByteSize: 0 bytes/workgroup (compile time only)
; SGPRBlocks: 0
; VGPRBlocks: 0
; NumSGPRsForWavesPerEU: 4
; NumVGPRsForWavesPerEU: 1
; AccumOffset: 4
; Occupancy: 8
; WaveLimiterHint : 0
; COMPUTE_PGM_RSRC2:SCRATCH_EN: 0
; COMPUTE_PGM_RSRC2:USER_SGPR: 6
; COMPUTE_PGM_RSRC2:TRAP_HANDLER: 0
; COMPUTE_PGM_RSRC2:TGID_X_EN: 1
; COMPUTE_PGM_RSRC2:TGID_Y_EN: 0
; COMPUTE_PGM_RSRC2:TGID_Z_EN: 0
; COMPUTE_PGM_RSRC2:TIDIG_COMP_CNT: 0
; COMPUTE_PGM_RSRC3_GFX90A:ACCUM_OFFSET: 0
; COMPUTE_PGM_RSRC3_GFX90A:TG_SPLIT: 0
	.section	.text._ZN7rocprim17ROCPRIM_400000_NS6detail17trampoline_kernelINS0_14default_configENS1_20scan_config_selectorIiEEZZNS1_9scan_implILNS1_25lookback_scan_determinismE0ELb1ELb1ES3_N6thrust23THRUST_200600_302600_NS6detail15normal_iteratorINS9_10device_ptrIjEEEENSB_INSC_IiEEEEiNS9_4plusIvEEiEEDaPvRmT3_T4_T5_mT6_P12ihipStream_tbENKUlT_T0_E_clISt17integral_constantIbLb0EESV_IbLb1EEEEDaSR_SS_EUlSR_E_NS1_11comp_targetILNS1_3genE10ELNS1_11target_archE1201ELNS1_3gpuE5ELNS1_3repE0EEENS1_30default_config_static_selectorELNS0_4arch9wavefront6targetE1EEEvT1_,"axG",@progbits,_ZN7rocprim17ROCPRIM_400000_NS6detail17trampoline_kernelINS0_14default_configENS1_20scan_config_selectorIiEEZZNS1_9scan_implILNS1_25lookback_scan_determinismE0ELb1ELb1ES3_N6thrust23THRUST_200600_302600_NS6detail15normal_iteratorINS9_10device_ptrIjEEEENSB_INSC_IiEEEEiNS9_4plusIvEEiEEDaPvRmT3_T4_T5_mT6_P12ihipStream_tbENKUlT_T0_E_clISt17integral_constantIbLb0EESV_IbLb1EEEEDaSR_SS_EUlSR_E_NS1_11comp_targetILNS1_3genE10ELNS1_11target_archE1201ELNS1_3gpuE5ELNS1_3repE0EEENS1_30default_config_static_selectorELNS0_4arch9wavefront6targetE1EEEvT1_,comdat
	.protected	_ZN7rocprim17ROCPRIM_400000_NS6detail17trampoline_kernelINS0_14default_configENS1_20scan_config_selectorIiEEZZNS1_9scan_implILNS1_25lookback_scan_determinismE0ELb1ELb1ES3_N6thrust23THRUST_200600_302600_NS6detail15normal_iteratorINS9_10device_ptrIjEEEENSB_INSC_IiEEEEiNS9_4plusIvEEiEEDaPvRmT3_T4_T5_mT6_P12ihipStream_tbENKUlT_T0_E_clISt17integral_constantIbLb0EESV_IbLb1EEEEDaSR_SS_EUlSR_E_NS1_11comp_targetILNS1_3genE10ELNS1_11target_archE1201ELNS1_3gpuE5ELNS1_3repE0EEENS1_30default_config_static_selectorELNS0_4arch9wavefront6targetE1EEEvT1_ ; -- Begin function _ZN7rocprim17ROCPRIM_400000_NS6detail17trampoline_kernelINS0_14default_configENS1_20scan_config_selectorIiEEZZNS1_9scan_implILNS1_25lookback_scan_determinismE0ELb1ELb1ES3_N6thrust23THRUST_200600_302600_NS6detail15normal_iteratorINS9_10device_ptrIjEEEENSB_INSC_IiEEEEiNS9_4plusIvEEiEEDaPvRmT3_T4_T5_mT6_P12ihipStream_tbENKUlT_T0_E_clISt17integral_constantIbLb0EESV_IbLb1EEEEDaSR_SS_EUlSR_E_NS1_11comp_targetILNS1_3genE10ELNS1_11target_archE1201ELNS1_3gpuE5ELNS1_3repE0EEENS1_30default_config_static_selectorELNS0_4arch9wavefront6targetE1EEEvT1_
	.globl	_ZN7rocprim17ROCPRIM_400000_NS6detail17trampoline_kernelINS0_14default_configENS1_20scan_config_selectorIiEEZZNS1_9scan_implILNS1_25lookback_scan_determinismE0ELb1ELb1ES3_N6thrust23THRUST_200600_302600_NS6detail15normal_iteratorINS9_10device_ptrIjEEEENSB_INSC_IiEEEEiNS9_4plusIvEEiEEDaPvRmT3_T4_T5_mT6_P12ihipStream_tbENKUlT_T0_E_clISt17integral_constantIbLb0EESV_IbLb1EEEEDaSR_SS_EUlSR_E_NS1_11comp_targetILNS1_3genE10ELNS1_11target_archE1201ELNS1_3gpuE5ELNS1_3repE0EEENS1_30default_config_static_selectorELNS0_4arch9wavefront6targetE1EEEvT1_
	.p2align	8
	.type	_ZN7rocprim17ROCPRIM_400000_NS6detail17trampoline_kernelINS0_14default_configENS1_20scan_config_selectorIiEEZZNS1_9scan_implILNS1_25lookback_scan_determinismE0ELb1ELb1ES3_N6thrust23THRUST_200600_302600_NS6detail15normal_iteratorINS9_10device_ptrIjEEEENSB_INSC_IiEEEEiNS9_4plusIvEEiEEDaPvRmT3_T4_T5_mT6_P12ihipStream_tbENKUlT_T0_E_clISt17integral_constantIbLb0EESV_IbLb1EEEEDaSR_SS_EUlSR_E_NS1_11comp_targetILNS1_3genE10ELNS1_11target_archE1201ELNS1_3gpuE5ELNS1_3repE0EEENS1_30default_config_static_selectorELNS0_4arch9wavefront6targetE1EEEvT1_,@function
_ZN7rocprim17ROCPRIM_400000_NS6detail17trampoline_kernelINS0_14default_configENS1_20scan_config_selectorIiEEZZNS1_9scan_implILNS1_25lookback_scan_determinismE0ELb1ELb1ES3_N6thrust23THRUST_200600_302600_NS6detail15normal_iteratorINS9_10device_ptrIjEEEENSB_INSC_IiEEEEiNS9_4plusIvEEiEEDaPvRmT3_T4_T5_mT6_P12ihipStream_tbENKUlT_T0_E_clISt17integral_constantIbLb0EESV_IbLb1EEEEDaSR_SS_EUlSR_E_NS1_11comp_targetILNS1_3genE10ELNS1_11target_archE1201ELNS1_3gpuE5ELNS1_3repE0EEENS1_30default_config_static_selectorELNS0_4arch9wavefront6targetE1EEEvT1_: ; @_ZN7rocprim17ROCPRIM_400000_NS6detail17trampoline_kernelINS0_14default_configENS1_20scan_config_selectorIiEEZZNS1_9scan_implILNS1_25lookback_scan_determinismE0ELb1ELb1ES3_N6thrust23THRUST_200600_302600_NS6detail15normal_iteratorINS9_10device_ptrIjEEEENSB_INSC_IiEEEEiNS9_4plusIvEEiEEDaPvRmT3_T4_T5_mT6_P12ihipStream_tbENKUlT_T0_E_clISt17integral_constantIbLb0EESV_IbLb1EEEEDaSR_SS_EUlSR_E_NS1_11comp_targetILNS1_3genE10ELNS1_11target_archE1201ELNS1_3gpuE5ELNS1_3repE0EEENS1_30default_config_static_selectorELNS0_4arch9wavefront6targetE1EEEvT1_
; %bb.0:
	.section	.rodata,"a",@progbits
	.p2align	6, 0x0
	.amdhsa_kernel _ZN7rocprim17ROCPRIM_400000_NS6detail17trampoline_kernelINS0_14default_configENS1_20scan_config_selectorIiEEZZNS1_9scan_implILNS1_25lookback_scan_determinismE0ELb1ELb1ES3_N6thrust23THRUST_200600_302600_NS6detail15normal_iteratorINS9_10device_ptrIjEEEENSB_INSC_IiEEEEiNS9_4plusIvEEiEEDaPvRmT3_T4_T5_mT6_P12ihipStream_tbENKUlT_T0_E_clISt17integral_constantIbLb0EESV_IbLb1EEEEDaSR_SS_EUlSR_E_NS1_11comp_targetILNS1_3genE10ELNS1_11target_archE1201ELNS1_3gpuE5ELNS1_3repE0EEENS1_30default_config_static_selectorELNS0_4arch9wavefront6targetE1EEEvT1_
		.amdhsa_group_segment_fixed_size 0
		.amdhsa_private_segment_fixed_size 0
		.amdhsa_kernarg_size 96
		.amdhsa_user_sgpr_count 6
		.amdhsa_user_sgpr_private_segment_buffer 1
		.amdhsa_user_sgpr_dispatch_ptr 0
		.amdhsa_user_sgpr_queue_ptr 0
		.amdhsa_user_sgpr_kernarg_segment_ptr 1
		.amdhsa_user_sgpr_dispatch_id 0
		.amdhsa_user_sgpr_flat_scratch_init 0
		.amdhsa_user_sgpr_kernarg_preload_length 0
		.amdhsa_user_sgpr_kernarg_preload_offset 0
		.amdhsa_user_sgpr_private_segment_size 0
		.amdhsa_uses_dynamic_stack 0
		.amdhsa_system_sgpr_private_segment_wavefront_offset 0
		.amdhsa_system_sgpr_workgroup_id_x 1
		.amdhsa_system_sgpr_workgroup_id_y 0
		.amdhsa_system_sgpr_workgroup_id_z 0
		.amdhsa_system_sgpr_workgroup_info 0
		.amdhsa_system_vgpr_workitem_id 0
		.amdhsa_next_free_vgpr 1
		.amdhsa_next_free_sgpr 0
		.amdhsa_accum_offset 4
		.amdhsa_reserve_vcc 0
		.amdhsa_reserve_flat_scratch 0
		.amdhsa_float_round_mode_32 0
		.amdhsa_float_round_mode_16_64 0
		.amdhsa_float_denorm_mode_32 3
		.amdhsa_float_denorm_mode_16_64 3
		.amdhsa_dx10_clamp 1
		.amdhsa_ieee_mode 1
		.amdhsa_fp16_overflow 0
		.amdhsa_tg_split 0
		.amdhsa_exception_fp_ieee_invalid_op 0
		.amdhsa_exception_fp_denorm_src 0
		.amdhsa_exception_fp_ieee_div_zero 0
		.amdhsa_exception_fp_ieee_overflow 0
		.amdhsa_exception_fp_ieee_underflow 0
		.amdhsa_exception_fp_ieee_inexact 0
		.amdhsa_exception_int_div_zero 0
	.end_amdhsa_kernel
	.section	.text._ZN7rocprim17ROCPRIM_400000_NS6detail17trampoline_kernelINS0_14default_configENS1_20scan_config_selectorIiEEZZNS1_9scan_implILNS1_25lookback_scan_determinismE0ELb1ELb1ES3_N6thrust23THRUST_200600_302600_NS6detail15normal_iteratorINS9_10device_ptrIjEEEENSB_INSC_IiEEEEiNS9_4plusIvEEiEEDaPvRmT3_T4_T5_mT6_P12ihipStream_tbENKUlT_T0_E_clISt17integral_constantIbLb0EESV_IbLb1EEEEDaSR_SS_EUlSR_E_NS1_11comp_targetILNS1_3genE10ELNS1_11target_archE1201ELNS1_3gpuE5ELNS1_3repE0EEENS1_30default_config_static_selectorELNS0_4arch9wavefront6targetE1EEEvT1_,"axG",@progbits,_ZN7rocprim17ROCPRIM_400000_NS6detail17trampoline_kernelINS0_14default_configENS1_20scan_config_selectorIiEEZZNS1_9scan_implILNS1_25lookback_scan_determinismE0ELb1ELb1ES3_N6thrust23THRUST_200600_302600_NS6detail15normal_iteratorINS9_10device_ptrIjEEEENSB_INSC_IiEEEEiNS9_4plusIvEEiEEDaPvRmT3_T4_T5_mT6_P12ihipStream_tbENKUlT_T0_E_clISt17integral_constantIbLb0EESV_IbLb1EEEEDaSR_SS_EUlSR_E_NS1_11comp_targetILNS1_3genE10ELNS1_11target_archE1201ELNS1_3gpuE5ELNS1_3repE0EEENS1_30default_config_static_selectorELNS0_4arch9wavefront6targetE1EEEvT1_,comdat
.Lfunc_end6291:
	.size	_ZN7rocprim17ROCPRIM_400000_NS6detail17trampoline_kernelINS0_14default_configENS1_20scan_config_selectorIiEEZZNS1_9scan_implILNS1_25lookback_scan_determinismE0ELb1ELb1ES3_N6thrust23THRUST_200600_302600_NS6detail15normal_iteratorINS9_10device_ptrIjEEEENSB_INSC_IiEEEEiNS9_4plusIvEEiEEDaPvRmT3_T4_T5_mT6_P12ihipStream_tbENKUlT_T0_E_clISt17integral_constantIbLb0EESV_IbLb1EEEEDaSR_SS_EUlSR_E_NS1_11comp_targetILNS1_3genE10ELNS1_11target_archE1201ELNS1_3gpuE5ELNS1_3repE0EEENS1_30default_config_static_selectorELNS0_4arch9wavefront6targetE1EEEvT1_, .Lfunc_end6291-_ZN7rocprim17ROCPRIM_400000_NS6detail17trampoline_kernelINS0_14default_configENS1_20scan_config_selectorIiEEZZNS1_9scan_implILNS1_25lookback_scan_determinismE0ELb1ELb1ES3_N6thrust23THRUST_200600_302600_NS6detail15normal_iteratorINS9_10device_ptrIjEEEENSB_INSC_IiEEEEiNS9_4plusIvEEiEEDaPvRmT3_T4_T5_mT6_P12ihipStream_tbENKUlT_T0_E_clISt17integral_constantIbLb0EESV_IbLb1EEEEDaSR_SS_EUlSR_E_NS1_11comp_targetILNS1_3genE10ELNS1_11target_archE1201ELNS1_3gpuE5ELNS1_3repE0EEENS1_30default_config_static_selectorELNS0_4arch9wavefront6targetE1EEEvT1_
                                        ; -- End function
	.section	.AMDGPU.csdata,"",@progbits
; Kernel info:
; codeLenInByte = 0
; NumSgprs: 4
; NumVgprs: 0
; NumAgprs: 0
; TotalNumVgprs: 0
; ScratchSize: 0
; MemoryBound: 0
; FloatMode: 240
; IeeeMode: 1
; LDSByteSize: 0 bytes/workgroup (compile time only)
; SGPRBlocks: 0
; VGPRBlocks: 0
; NumSGPRsForWavesPerEU: 4
; NumVGPRsForWavesPerEU: 1
; AccumOffset: 4
; Occupancy: 8
; WaveLimiterHint : 0
; COMPUTE_PGM_RSRC2:SCRATCH_EN: 0
; COMPUTE_PGM_RSRC2:USER_SGPR: 6
; COMPUTE_PGM_RSRC2:TRAP_HANDLER: 0
; COMPUTE_PGM_RSRC2:TGID_X_EN: 1
; COMPUTE_PGM_RSRC2:TGID_Y_EN: 0
; COMPUTE_PGM_RSRC2:TGID_Z_EN: 0
; COMPUTE_PGM_RSRC2:TIDIG_COMP_CNT: 0
; COMPUTE_PGM_RSRC3_GFX90A:ACCUM_OFFSET: 0
; COMPUTE_PGM_RSRC3_GFX90A:TG_SPLIT: 0
	.section	.text._ZN7rocprim17ROCPRIM_400000_NS6detail17trampoline_kernelINS0_14default_configENS1_20scan_config_selectorIiEEZZNS1_9scan_implILNS1_25lookback_scan_determinismE0ELb1ELb1ES3_N6thrust23THRUST_200600_302600_NS6detail15normal_iteratorINS9_10device_ptrIjEEEENSB_INSC_IiEEEEiNS9_4plusIvEEiEEDaPvRmT3_T4_T5_mT6_P12ihipStream_tbENKUlT_T0_E_clISt17integral_constantIbLb0EESV_IbLb1EEEEDaSR_SS_EUlSR_E_NS1_11comp_targetILNS1_3genE10ELNS1_11target_archE1200ELNS1_3gpuE4ELNS1_3repE0EEENS1_30default_config_static_selectorELNS0_4arch9wavefront6targetE1EEEvT1_,"axG",@progbits,_ZN7rocprim17ROCPRIM_400000_NS6detail17trampoline_kernelINS0_14default_configENS1_20scan_config_selectorIiEEZZNS1_9scan_implILNS1_25lookback_scan_determinismE0ELb1ELb1ES3_N6thrust23THRUST_200600_302600_NS6detail15normal_iteratorINS9_10device_ptrIjEEEENSB_INSC_IiEEEEiNS9_4plusIvEEiEEDaPvRmT3_T4_T5_mT6_P12ihipStream_tbENKUlT_T0_E_clISt17integral_constantIbLb0EESV_IbLb1EEEEDaSR_SS_EUlSR_E_NS1_11comp_targetILNS1_3genE10ELNS1_11target_archE1200ELNS1_3gpuE4ELNS1_3repE0EEENS1_30default_config_static_selectorELNS0_4arch9wavefront6targetE1EEEvT1_,comdat
	.protected	_ZN7rocprim17ROCPRIM_400000_NS6detail17trampoline_kernelINS0_14default_configENS1_20scan_config_selectorIiEEZZNS1_9scan_implILNS1_25lookback_scan_determinismE0ELb1ELb1ES3_N6thrust23THRUST_200600_302600_NS6detail15normal_iteratorINS9_10device_ptrIjEEEENSB_INSC_IiEEEEiNS9_4plusIvEEiEEDaPvRmT3_T4_T5_mT6_P12ihipStream_tbENKUlT_T0_E_clISt17integral_constantIbLb0EESV_IbLb1EEEEDaSR_SS_EUlSR_E_NS1_11comp_targetILNS1_3genE10ELNS1_11target_archE1200ELNS1_3gpuE4ELNS1_3repE0EEENS1_30default_config_static_selectorELNS0_4arch9wavefront6targetE1EEEvT1_ ; -- Begin function _ZN7rocprim17ROCPRIM_400000_NS6detail17trampoline_kernelINS0_14default_configENS1_20scan_config_selectorIiEEZZNS1_9scan_implILNS1_25lookback_scan_determinismE0ELb1ELb1ES3_N6thrust23THRUST_200600_302600_NS6detail15normal_iteratorINS9_10device_ptrIjEEEENSB_INSC_IiEEEEiNS9_4plusIvEEiEEDaPvRmT3_T4_T5_mT6_P12ihipStream_tbENKUlT_T0_E_clISt17integral_constantIbLb0EESV_IbLb1EEEEDaSR_SS_EUlSR_E_NS1_11comp_targetILNS1_3genE10ELNS1_11target_archE1200ELNS1_3gpuE4ELNS1_3repE0EEENS1_30default_config_static_selectorELNS0_4arch9wavefront6targetE1EEEvT1_
	.globl	_ZN7rocprim17ROCPRIM_400000_NS6detail17trampoline_kernelINS0_14default_configENS1_20scan_config_selectorIiEEZZNS1_9scan_implILNS1_25lookback_scan_determinismE0ELb1ELb1ES3_N6thrust23THRUST_200600_302600_NS6detail15normal_iteratorINS9_10device_ptrIjEEEENSB_INSC_IiEEEEiNS9_4plusIvEEiEEDaPvRmT3_T4_T5_mT6_P12ihipStream_tbENKUlT_T0_E_clISt17integral_constantIbLb0EESV_IbLb1EEEEDaSR_SS_EUlSR_E_NS1_11comp_targetILNS1_3genE10ELNS1_11target_archE1200ELNS1_3gpuE4ELNS1_3repE0EEENS1_30default_config_static_selectorELNS0_4arch9wavefront6targetE1EEEvT1_
	.p2align	8
	.type	_ZN7rocprim17ROCPRIM_400000_NS6detail17trampoline_kernelINS0_14default_configENS1_20scan_config_selectorIiEEZZNS1_9scan_implILNS1_25lookback_scan_determinismE0ELb1ELb1ES3_N6thrust23THRUST_200600_302600_NS6detail15normal_iteratorINS9_10device_ptrIjEEEENSB_INSC_IiEEEEiNS9_4plusIvEEiEEDaPvRmT3_T4_T5_mT6_P12ihipStream_tbENKUlT_T0_E_clISt17integral_constantIbLb0EESV_IbLb1EEEEDaSR_SS_EUlSR_E_NS1_11comp_targetILNS1_3genE10ELNS1_11target_archE1200ELNS1_3gpuE4ELNS1_3repE0EEENS1_30default_config_static_selectorELNS0_4arch9wavefront6targetE1EEEvT1_,@function
_ZN7rocprim17ROCPRIM_400000_NS6detail17trampoline_kernelINS0_14default_configENS1_20scan_config_selectorIiEEZZNS1_9scan_implILNS1_25lookback_scan_determinismE0ELb1ELb1ES3_N6thrust23THRUST_200600_302600_NS6detail15normal_iteratorINS9_10device_ptrIjEEEENSB_INSC_IiEEEEiNS9_4plusIvEEiEEDaPvRmT3_T4_T5_mT6_P12ihipStream_tbENKUlT_T0_E_clISt17integral_constantIbLb0EESV_IbLb1EEEEDaSR_SS_EUlSR_E_NS1_11comp_targetILNS1_3genE10ELNS1_11target_archE1200ELNS1_3gpuE4ELNS1_3repE0EEENS1_30default_config_static_selectorELNS0_4arch9wavefront6targetE1EEEvT1_: ; @_ZN7rocprim17ROCPRIM_400000_NS6detail17trampoline_kernelINS0_14default_configENS1_20scan_config_selectorIiEEZZNS1_9scan_implILNS1_25lookback_scan_determinismE0ELb1ELb1ES3_N6thrust23THRUST_200600_302600_NS6detail15normal_iteratorINS9_10device_ptrIjEEEENSB_INSC_IiEEEEiNS9_4plusIvEEiEEDaPvRmT3_T4_T5_mT6_P12ihipStream_tbENKUlT_T0_E_clISt17integral_constantIbLb0EESV_IbLb1EEEEDaSR_SS_EUlSR_E_NS1_11comp_targetILNS1_3genE10ELNS1_11target_archE1200ELNS1_3gpuE4ELNS1_3repE0EEENS1_30default_config_static_selectorELNS0_4arch9wavefront6targetE1EEEvT1_
; %bb.0:
	.section	.rodata,"a",@progbits
	.p2align	6, 0x0
	.amdhsa_kernel _ZN7rocprim17ROCPRIM_400000_NS6detail17trampoline_kernelINS0_14default_configENS1_20scan_config_selectorIiEEZZNS1_9scan_implILNS1_25lookback_scan_determinismE0ELb1ELb1ES3_N6thrust23THRUST_200600_302600_NS6detail15normal_iteratorINS9_10device_ptrIjEEEENSB_INSC_IiEEEEiNS9_4plusIvEEiEEDaPvRmT3_T4_T5_mT6_P12ihipStream_tbENKUlT_T0_E_clISt17integral_constantIbLb0EESV_IbLb1EEEEDaSR_SS_EUlSR_E_NS1_11comp_targetILNS1_3genE10ELNS1_11target_archE1200ELNS1_3gpuE4ELNS1_3repE0EEENS1_30default_config_static_selectorELNS0_4arch9wavefront6targetE1EEEvT1_
		.amdhsa_group_segment_fixed_size 0
		.amdhsa_private_segment_fixed_size 0
		.amdhsa_kernarg_size 96
		.amdhsa_user_sgpr_count 6
		.amdhsa_user_sgpr_private_segment_buffer 1
		.amdhsa_user_sgpr_dispatch_ptr 0
		.amdhsa_user_sgpr_queue_ptr 0
		.amdhsa_user_sgpr_kernarg_segment_ptr 1
		.amdhsa_user_sgpr_dispatch_id 0
		.amdhsa_user_sgpr_flat_scratch_init 0
		.amdhsa_user_sgpr_kernarg_preload_length 0
		.amdhsa_user_sgpr_kernarg_preload_offset 0
		.amdhsa_user_sgpr_private_segment_size 0
		.amdhsa_uses_dynamic_stack 0
		.amdhsa_system_sgpr_private_segment_wavefront_offset 0
		.amdhsa_system_sgpr_workgroup_id_x 1
		.amdhsa_system_sgpr_workgroup_id_y 0
		.amdhsa_system_sgpr_workgroup_id_z 0
		.amdhsa_system_sgpr_workgroup_info 0
		.amdhsa_system_vgpr_workitem_id 0
		.amdhsa_next_free_vgpr 1
		.amdhsa_next_free_sgpr 0
		.amdhsa_accum_offset 4
		.amdhsa_reserve_vcc 0
		.amdhsa_reserve_flat_scratch 0
		.amdhsa_float_round_mode_32 0
		.amdhsa_float_round_mode_16_64 0
		.amdhsa_float_denorm_mode_32 3
		.amdhsa_float_denorm_mode_16_64 3
		.amdhsa_dx10_clamp 1
		.amdhsa_ieee_mode 1
		.amdhsa_fp16_overflow 0
		.amdhsa_tg_split 0
		.amdhsa_exception_fp_ieee_invalid_op 0
		.amdhsa_exception_fp_denorm_src 0
		.amdhsa_exception_fp_ieee_div_zero 0
		.amdhsa_exception_fp_ieee_overflow 0
		.amdhsa_exception_fp_ieee_underflow 0
		.amdhsa_exception_fp_ieee_inexact 0
		.amdhsa_exception_int_div_zero 0
	.end_amdhsa_kernel
	.section	.text._ZN7rocprim17ROCPRIM_400000_NS6detail17trampoline_kernelINS0_14default_configENS1_20scan_config_selectorIiEEZZNS1_9scan_implILNS1_25lookback_scan_determinismE0ELb1ELb1ES3_N6thrust23THRUST_200600_302600_NS6detail15normal_iteratorINS9_10device_ptrIjEEEENSB_INSC_IiEEEEiNS9_4plusIvEEiEEDaPvRmT3_T4_T5_mT6_P12ihipStream_tbENKUlT_T0_E_clISt17integral_constantIbLb0EESV_IbLb1EEEEDaSR_SS_EUlSR_E_NS1_11comp_targetILNS1_3genE10ELNS1_11target_archE1200ELNS1_3gpuE4ELNS1_3repE0EEENS1_30default_config_static_selectorELNS0_4arch9wavefront6targetE1EEEvT1_,"axG",@progbits,_ZN7rocprim17ROCPRIM_400000_NS6detail17trampoline_kernelINS0_14default_configENS1_20scan_config_selectorIiEEZZNS1_9scan_implILNS1_25lookback_scan_determinismE0ELb1ELb1ES3_N6thrust23THRUST_200600_302600_NS6detail15normal_iteratorINS9_10device_ptrIjEEEENSB_INSC_IiEEEEiNS9_4plusIvEEiEEDaPvRmT3_T4_T5_mT6_P12ihipStream_tbENKUlT_T0_E_clISt17integral_constantIbLb0EESV_IbLb1EEEEDaSR_SS_EUlSR_E_NS1_11comp_targetILNS1_3genE10ELNS1_11target_archE1200ELNS1_3gpuE4ELNS1_3repE0EEENS1_30default_config_static_selectorELNS0_4arch9wavefront6targetE1EEEvT1_,comdat
.Lfunc_end6292:
	.size	_ZN7rocprim17ROCPRIM_400000_NS6detail17trampoline_kernelINS0_14default_configENS1_20scan_config_selectorIiEEZZNS1_9scan_implILNS1_25lookback_scan_determinismE0ELb1ELb1ES3_N6thrust23THRUST_200600_302600_NS6detail15normal_iteratorINS9_10device_ptrIjEEEENSB_INSC_IiEEEEiNS9_4plusIvEEiEEDaPvRmT3_T4_T5_mT6_P12ihipStream_tbENKUlT_T0_E_clISt17integral_constantIbLb0EESV_IbLb1EEEEDaSR_SS_EUlSR_E_NS1_11comp_targetILNS1_3genE10ELNS1_11target_archE1200ELNS1_3gpuE4ELNS1_3repE0EEENS1_30default_config_static_selectorELNS0_4arch9wavefront6targetE1EEEvT1_, .Lfunc_end6292-_ZN7rocprim17ROCPRIM_400000_NS6detail17trampoline_kernelINS0_14default_configENS1_20scan_config_selectorIiEEZZNS1_9scan_implILNS1_25lookback_scan_determinismE0ELb1ELb1ES3_N6thrust23THRUST_200600_302600_NS6detail15normal_iteratorINS9_10device_ptrIjEEEENSB_INSC_IiEEEEiNS9_4plusIvEEiEEDaPvRmT3_T4_T5_mT6_P12ihipStream_tbENKUlT_T0_E_clISt17integral_constantIbLb0EESV_IbLb1EEEEDaSR_SS_EUlSR_E_NS1_11comp_targetILNS1_3genE10ELNS1_11target_archE1200ELNS1_3gpuE4ELNS1_3repE0EEENS1_30default_config_static_selectorELNS0_4arch9wavefront6targetE1EEEvT1_
                                        ; -- End function
	.section	.AMDGPU.csdata,"",@progbits
; Kernel info:
; codeLenInByte = 0
; NumSgprs: 4
; NumVgprs: 0
; NumAgprs: 0
; TotalNumVgprs: 0
; ScratchSize: 0
; MemoryBound: 0
; FloatMode: 240
; IeeeMode: 1
; LDSByteSize: 0 bytes/workgroup (compile time only)
; SGPRBlocks: 0
; VGPRBlocks: 0
; NumSGPRsForWavesPerEU: 4
; NumVGPRsForWavesPerEU: 1
; AccumOffset: 4
; Occupancy: 8
; WaveLimiterHint : 0
; COMPUTE_PGM_RSRC2:SCRATCH_EN: 0
; COMPUTE_PGM_RSRC2:USER_SGPR: 6
; COMPUTE_PGM_RSRC2:TRAP_HANDLER: 0
; COMPUTE_PGM_RSRC2:TGID_X_EN: 1
; COMPUTE_PGM_RSRC2:TGID_Y_EN: 0
; COMPUTE_PGM_RSRC2:TGID_Z_EN: 0
; COMPUTE_PGM_RSRC2:TIDIG_COMP_CNT: 0
; COMPUTE_PGM_RSRC3_GFX90A:ACCUM_OFFSET: 0
; COMPUTE_PGM_RSRC3_GFX90A:TG_SPLIT: 0
	.section	.text._ZN7rocprim17ROCPRIM_400000_NS6detail17trampoline_kernelINS0_14default_configENS1_20scan_config_selectorIiEEZZNS1_9scan_implILNS1_25lookback_scan_determinismE0ELb1ELb1ES3_N6thrust23THRUST_200600_302600_NS6detail15normal_iteratorINS9_10device_ptrIjEEEENSB_INSC_IiEEEEiNS9_4plusIvEEiEEDaPvRmT3_T4_T5_mT6_P12ihipStream_tbENKUlT_T0_E_clISt17integral_constantIbLb0EESV_IbLb1EEEEDaSR_SS_EUlSR_E_NS1_11comp_targetILNS1_3genE9ELNS1_11target_archE1100ELNS1_3gpuE3ELNS1_3repE0EEENS1_30default_config_static_selectorELNS0_4arch9wavefront6targetE1EEEvT1_,"axG",@progbits,_ZN7rocprim17ROCPRIM_400000_NS6detail17trampoline_kernelINS0_14default_configENS1_20scan_config_selectorIiEEZZNS1_9scan_implILNS1_25lookback_scan_determinismE0ELb1ELb1ES3_N6thrust23THRUST_200600_302600_NS6detail15normal_iteratorINS9_10device_ptrIjEEEENSB_INSC_IiEEEEiNS9_4plusIvEEiEEDaPvRmT3_T4_T5_mT6_P12ihipStream_tbENKUlT_T0_E_clISt17integral_constantIbLb0EESV_IbLb1EEEEDaSR_SS_EUlSR_E_NS1_11comp_targetILNS1_3genE9ELNS1_11target_archE1100ELNS1_3gpuE3ELNS1_3repE0EEENS1_30default_config_static_selectorELNS0_4arch9wavefront6targetE1EEEvT1_,comdat
	.protected	_ZN7rocprim17ROCPRIM_400000_NS6detail17trampoline_kernelINS0_14default_configENS1_20scan_config_selectorIiEEZZNS1_9scan_implILNS1_25lookback_scan_determinismE0ELb1ELb1ES3_N6thrust23THRUST_200600_302600_NS6detail15normal_iteratorINS9_10device_ptrIjEEEENSB_INSC_IiEEEEiNS9_4plusIvEEiEEDaPvRmT3_T4_T5_mT6_P12ihipStream_tbENKUlT_T0_E_clISt17integral_constantIbLb0EESV_IbLb1EEEEDaSR_SS_EUlSR_E_NS1_11comp_targetILNS1_3genE9ELNS1_11target_archE1100ELNS1_3gpuE3ELNS1_3repE0EEENS1_30default_config_static_selectorELNS0_4arch9wavefront6targetE1EEEvT1_ ; -- Begin function _ZN7rocprim17ROCPRIM_400000_NS6detail17trampoline_kernelINS0_14default_configENS1_20scan_config_selectorIiEEZZNS1_9scan_implILNS1_25lookback_scan_determinismE0ELb1ELb1ES3_N6thrust23THRUST_200600_302600_NS6detail15normal_iteratorINS9_10device_ptrIjEEEENSB_INSC_IiEEEEiNS9_4plusIvEEiEEDaPvRmT3_T4_T5_mT6_P12ihipStream_tbENKUlT_T0_E_clISt17integral_constantIbLb0EESV_IbLb1EEEEDaSR_SS_EUlSR_E_NS1_11comp_targetILNS1_3genE9ELNS1_11target_archE1100ELNS1_3gpuE3ELNS1_3repE0EEENS1_30default_config_static_selectorELNS0_4arch9wavefront6targetE1EEEvT1_
	.globl	_ZN7rocprim17ROCPRIM_400000_NS6detail17trampoline_kernelINS0_14default_configENS1_20scan_config_selectorIiEEZZNS1_9scan_implILNS1_25lookback_scan_determinismE0ELb1ELb1ES3_N6thrust23THRUST_200600_302600_NS6detail15normal_iteratorINS9_10device_ptrIjEEEENSB_INSC_IiEEEEiNS9_4plusIvEEiEEDaPvRmT3_T4_T5_mT6_P12ihipStream_tbENKUlT_T0_E_clISt17integral_constantIbLb0EESV_IbLb1EEEEDaSR_SS_EUlSR_E_NS1_11comp_targetILNS1_3genE9ELNS1_11target_archE1100ELNS1_3gpuE3ELNS1_3repE0EEENS1_30default_config_static_selectorELNS0_4arch9wavefront6targetE1EEEvT1_
	.p2align	8
	.type	_ZN7rocprim17ROCPRIM_400000_NS6detail17trampoline_kernelINS0_14default_configENS1_20scan_config_selectorIiEEZZNS1_9scan_implILNS1_25lookback_scan_determinismE0ELb1ELb1ES3_N6thrust23THRUST_200600_302600_NS6detail15normal_iteratorINS9_10device_ptrIjEEEENSB_INSC_IiEEEEiNS9_4plusIvEEiEEDaPvRmT3_T4_T5_mT6_P12ihipStream_tbENKUlT_T0_E_clISt17integral_constantIbLb0EESV_IbLb1EEEEDaSR_SS_EUlSR_E_NS1_11comp_targetILNS1_3genE9ELNS1_11target_archE1100ELNS1_3gpuE3ELNS1_3repE0EEENS1_30default_config_static_selectorELNS0_4arch9wavefront6targetE1EEEvT1_,@function
_ZN7rocprim17ROCPRIM_400000_NS6detail17trampoline_kernelINS0_14default_configENS1_20scan_config_selectorIiEEZZNS1_9scan_implILNS1_25lookback_scan_determinismE0ELb1ELb1ES3_N6thrust23THRUST_200600_302600_NS6detail15normal_iteratorINS9_10device_ptrIjEEEENSB_INSC_IiEEEEiNS9_4plusIvEEiEEDaPvRmT3_T4_T5_mT6_P12ihipStream_tbENKUlT_T0_E_clISt17integral_constantIbLb0EESV_IbLb1EEEEDaSR_SS_EUlSR_E_NS1_11comp_targetILNS1_3genE9ELNS1_11target_archE1100ELNS1_3gpuE3ELNS1_3repE0EEENS1_30default_config_static_selectorELNS0_4arch9wavefront6targetE1EEEvT1_: ; @_ZN7rocprim17ROCPRIM_400000_NS6detail17trampoline_kernelINS0_14default_configENS1_20scan_config_selectorIiEEZZNS1_9scan_implILNS1_25lookback_scan_determinismE0ELb1ELb1ES3_N6thrust23THRUST_200600_302600_NS6detail15normal_iteratorINS9_10device_ptrIjEEEENSB_INSC_IiEEEEiNS9_4plusIvEEiEEDaPvRmT3_T4_T5_mT6_P12ihipStream_tbENKUlT_T0_E_clISt17integral_constantIbLb0EESV_IbLb1EEEEDaSR_SS_EUlSR_E_NS1_11comp_targetILNS1_3genE9ELNS1_11target_archE1100ELNS1_3gpuE3ELNS1_3repE0EEENS1_30default_config_static_selectorELNS0_4arch9wavefront6targetE1EEEvT1_
; %bb.0:
	.section	.rodata,"a",@progbits
	.p2align	6, 0x0
	.amdhsa_kernel _ZN7rocprim17ROCPRIM_400000_NS6detail17trampoline_kernelINS0_14default_configENS1_20scan_config_selectorIiEEZZNS1_9scan_implILNS1_25lookback_scan_determinismE0ELb1ELb1ES3_N6thrust23THRUST_200600_302600_NS6detail15normal_iteratorINS9_10device_ptrIjEEEENSB_INSC_IiEEEEiNS9_4plusIvEEiEEDaPvRmT3_T4_T5_mT6_P12ihipStream_tbENKUlT_T0_E_clISt17integral_constantIbLb0EESV_IbLb1EEEEDaSR_SS_EUlSR_E_NS1_11comp_targetILNS1_3genE9ELNS1_11target_archE1100ELNS1_3gpuE3ELNS1_3repE0EEENS1_30default_config_static_selectorELNS0_4arch9wavefront6targetE1EEEvT1_
		.amdhsa_group_segment_fixed_size 0
		.amdhsa_private_segment_fixed_size 0
		.amdhsa_kernarg_size 96
		.amdhsa_user_sgpr_count 6
		.amdhsa_user_sgpr_private_segment_buffer 1
		.amdhsa_user_sgpr_dispatch_ptr 0
		.amdhsa_user_sgpr_queue_ptr 0
		.amdhsa_user_sgpr_kernarg_segment_ptr 1
		.amdhsa_user_sgpr_dispatch_id 0
		.amdhsa_user_sgpr_flat_scratch_init 0
		.amdhsa_user_sgpr_kernarg_preload_length 0
		.amdhsa_user_sgpr_kernarg_preload_offset 0
		.amdhsa_user_sgpr_private_segment_size 0
		.amdhsa_uses_dynamic_stack 0
		.amdhsa_system_sgpr_private_segment_wavefront_offset 0
		.amdhsa_system_sgpr_workgroup_id_x 1
		.amdhsa_system_sgpr_workgroup_id_y 0
		.amdhsa_system_sgpr_workgroup_id_z 0
		.amdhsa_system_sgpr_workgroup_info 0
		.amdhsa_system_vgpr_workitem_id 0
		.amdhsa_next_free_vgpr 1
		.amdhsa_next_free_sgpr 0
		.amdhsa_accum_offset 4
		.amdhsa_reserve_vcc 0
		.amdhsa_reserve_flat_scratch 0
		.amdhsa_float_round_mode_32 0
		.amdhsa_float_round_mode_16_64 0
		.amdhsa_float_denorm_mode_32 3
		.amdhsa_float_denorm_mode_16_64 3
		.amdhsa_dx10_clamp 1
		.amdhsa_ieee_mode 1
		.amdhsa_fp16_overflow 0
		.amdhsa_tg_split 0
		.amdhsa_exception_fp_ieee_invalid_op 0
		.amdhsa_exception_fp_denorm_src 0
		.amdhsa_exception_fp_ieee_div_zero 0
		.amdhsa_exception_fp_ieee_overflow 0
		.amdhsa_exception_fp_ieee_underflow 0
		.amdhsa_exception_fp_ieee_inexact 0
		.amdhsa_exception_int_div_zero 0
	.end_amdhsa_kernel
	.section	.text._ZN7rocprim17ROCPRIM_400000_NS6detail17trampoline_kernelINS0_14default_configENS1_20scan_config_selectorIiEEZZNS1_9scan_implILNS1_25lookback_scan_determinismE0ELb1ELb1ES3_N6thrust23THRUST_200600_302600_NS6detail15normal_iteratorINS9_10device_ptrIjEEEENSB_INSC_IiEEEEiNS9_4plusIvEEiEEDaPvRmT3_T4_T5_mT6_P12ihipStream_tbENKUlT_T0_E_clISt17integral_constantIbLb0EESV_IbLb1EEEEDaSR_SS_EUlSR_E_NS1_11comp_targetILNS1_3genE9ELNS1_11target_archE1100ELNS1_3gpuE3ELNS1_3repE0EEENS1_30default_config_static_selectorELNS0_4arch9wavefront6targetE1EEEvT1_,"axG",@progbits,_ZN7rocprim17ROCPRIM_400000_NS6detail17trampoline_kernelINS0_14default_configENS1_20scan_config_selectorIiEEZZNS1_9scan_implILNS1_25lookback_scan_determinismE0ELb1ELb1ES3_N6thrust23THRUST_200600_302600_NS6detail15normal_iteratorINS9_10device_ptrIjEEEENSB_INSC_IiEEEEiNS9_4plusIvEEiEEDaPvRmT3_T4_T5_mT6_P12ihipStream_tbENKUlT_T0_E_clISt17integral_constantIbLb0EESV_IbLb1EEEEDaSR_SS_EUlSR_E_NS1_11comp_targetILNS1_3genE9ELNS1_11target_archE1100ELNS1_3gpuE3ELNS1_3repE0EEENS1_30default_config_static_selectorELNS0_4arch9wavefront6targetE1EEEvT1_,comdat
.Lfunc_end6293:
	.size	_ZN7rocprim17ROCPRIM_400000_NS6detail17trampoline_kernelINS0_14default_configENS1_20scan_config_selectorIiEEZZNS1_9scan_implILNS1_25lookback_scan_determinismE0ELb1ELb1ES3_N6thrust23THRUST_200600_302600_NS6detail15normal_iteratorINS9_10device_ptrIjEEEENSB_INSC_IiEEEEiNS9_4plusIvEEiEEDaPvRmT3_T4_T5_mT6_P12ihipStream_tbENKUlT_T0_E_clISt17integral_constantIbLb0EESV_IbLb1EEEEDaSR_SS_EUlSR_E_NS1_11comp_targetILNS1_3genE9ELNS1_11target_archE1100ELNS1_3gpuE3ELNS1_3repE0EEENS1_30default_config_static_selectorELNS0_4arch9wavefront6targetE1EEEvT1_, .Lfunc_end6293-_ZN7rocprim17ROCPRIM_400000_NS6detail17trampoline_kernelINS0_14default_configENS1_20scan_config_selectorIiEEZZNS1_9scan_implILNS1_25lookback_scan_determinismE0ELb1ELb1ES3_N6thrust23THRUST_200600_302600_NS6detail15normal_iteratorINS9_10device_ptrIjEEEENSB_INSC_IiEEEEiNS9_4plusIvEEiEEDaPvRmT3_T4_T5_mT6_P12ihipStream_tbENKUlT_T0_E_clISt17integral_constantIbLb0EESV_IbLb1EEEEDaSR_SS_EUlSR_E_NS1_11comp_targetILNS1_3genE9ELNS1_11target_archE1100ELNS1_3gpuE3ELNS1_3repE0EEENS1_30default_config_static_selectorELNS0_4arch9wavefront6targetE1EEEvT1_
                                        ; -- End function
	.section	.AMDGPU.csdata,"",@progbits
; Kernel info:
; codeLenInByte = 0
; NumSgprs: 4
; NumVgprs: 0
; NumAgprs: 0
; TotalNumVgprs: 0
; ScratchSize: 0
; MemoryBound: 0
; FloatMode: 240
; IeeeMode: 1
; LDSByteSize: 0 bytes/workgroup (compile time only)
; SGPRBlocks: 0
; VGPRBlocks: 0
; NumSGPRsForWavesPerEU: 4
; NumVGPRsForWavesPerEU: 1
; AccumOffset: 4
; Occupancy: 8
; WaveLimiterHint : 0
; COMPUTE_PGM_RSRC2:SCRATCH_EN: 0
; COMPUTE_PGM_RSRC2:USER_SGPR: 6
; COMPUTE_PGM_RSRC2:TRAP_HANDLER: 0
; COMPUTE_PGM_RSRC2:TGID_X_EN: 1
; COMPUTE_PGM_RSRC2:TGID_Y_EN: 0
; COMPUTE_PGM_RSRC2:TGID_Z_EN: 0
; COMPUTE_PGM_RSRC2:TIDIG_COMP_CNT: 0
; COMPUTE_PGM_RSRC3_GFX90A:ACCUM_OFFSET: 0
; COMPUTE_PGM_RSRC3_GFX90A:TG_SPLIT: 0
	.section	.text._ZN7rocprim17ROCPRIM_400000_NS6detail17trampoline_kernelINS0_14default_configENS1_20scan_config_selectorIiEEZZNS1_9scan_implILNS1_25lookback_scan_determinismE0ELb1ELb1ES3_N6thrust23THRUST_200600_302600_NS6detail15normal_iteratorINS9_10device_ptrIjEEEENSB_INSC_IiEEEEiNS9_4plusIvEEiEEDaPvRmT3_T4_T5_mT6_P12ihipStream_tbENKUlT_T0_E_clISt17integral_constantIbLb0EESV_IbLb1EEEEDaSR_SS_EUlSR_E_NS1_11comp_targetILNS1_3genE8ELNS1_11target_archE1030ELNS1_3gpuE2ELNS1_3repE0EEENS1_30default_config_static_selectorELNS0_4arch9wavefront6targetE1EEEvT1_,"axG",@progbits,_ZN7rocprim17ROCPRIM_400000_NS6detail17trampoline_kernelINS0_14default_configENS1_20scan_config_selectorIiEEZZNS1_9scan_implILNS1_25lookback_scan_determinismE0ELb1ELb1ES3_N6thrust23THRUST_200600_302600_NS6detail15normal_iteratorINS9_10device_ptrIjEEEENSB_INSC_IiEEEEiNS9_4plusIvEEiEEDaPvRmT3_T4_T5_mT6_P12ihipStream_tbENKUlT_T0_E_clISt17integral_constantIbLb0EESV_IbLb1EEEEDaSR_SS_EUlSR_E_NS1_11comp_targetILNS1_3genE8ELNS1_11target_archE1030ELNS1_3gpuE2ELNS1_3repE0EEENS1_30default_config_static_selectorELNS0_4arch9wavefront6targetE1EEEvT1_,comdat
	.protected	_ZN7rocprim17ROCPRIM_400000_NS6detail17trampoline_kernelINS0_14default_configENS1_20scan_config_selectorIiEEZZNS1_9scan_implILNS1_25lookback_scan_determinismE0ELb1ELb1ES3_N6thrust23THRUST_200600_302600_NS6detail15normal_iteratorINS9_10device_ptrIjEEEENSB_INSC_IiEEEEiNS9_4plusIvEEiEEDaPvRmT3_T4_T5_mT6_P12ihipStream_tbENKUlT_T0_E_clISt17integral_constantIbLb0EESV_IbLb1EEEEDaSR_SS_EUlSR_E_NS1_11comp_targetILNS1_3genE8ELNS1_11target_archE1030ELNS1_3gpuE2ELNS1_3repE0EEENS1_30default_config_static_selectorELNS0_4arch9wavefront6targetE1EEEvT1_ ; -- Begin function _ZN7rocprim17ROCPRIM_400000_NS6detail17trampoline_kernelINS0_14default_configENS1_20scan_config_selectorIiEEZZNS1_9scan_implILNS1_25lookback_scan_determinismE0ELb1ELb1ES3_N6thrust23THRUST_200600_302600_NS6detail15normal_iteratorINS9_10device_ptrIjEEEENSB_INSC_IiEEEEiNS9_4plusIvEEiEEDaPvRmT3_T4_T5_mT6_P12ihipStream_tbENKUlT_T0_E_clISt17integral_constantIbLb0EESV_IbLb1EEEEDaSR_SS_EUlSR_E_NS1_11comp_targetILNS1_3genE8ELNS1_11target_archE1030ELNS1_3gpuE2ELNS1_3repE0EEENS1_30default_config_static_selectorELNS0_4arch9wavefront6targetE1EEEvT1_
	.globl	_ZN7rocprim17ROCPRIM_400000_NS6detail17trampoline_kernelINS0_14default_configENS1_20scan_config_selectorIiEEZZNS1_9scan_implILNS1_25lookback_scan_determinismE0ELb1ELb1ES3_N6thrust23THRUST_200600_302600_NS6detail15normal_iteratorINS9_10device_ptrIjEEEENSB_INSC_IiEEEEiNS9_4plusIvEEiEEDaPvRmT3_T4_T5_mT6_P12ihipStream_tbENKUlT_T0_E_clISt17integral_constantIbLb0EESV_IbLb1EEEEDaSR_SS_EUlSR_E_NS1_11comp_targetILNS1_3genE8ELNS1_11target_archE1030ELNS1_3gpuE2ELNS1_3repE0EEENS1_30default_config_static_selectorELNS0_4arch9wavefront6targetE1EEEvT1_
	.p2align	8
	.type	_ZN7rocprim17ROCPRIM_400000_NS6detail17trampoline_kernelINS0_14default_configENS1_20scan_config_selectorIiEEZZNS1_9scan_implILNS1_25lookback_scan_determinismE0ELb1ELb1ES3_N6thrust23THRUST_200600_302600_NS6detail15normal_iteratorINS9_10device_ptrIjEEEENSB_INSC_IiEEEEiNS9_4plusIvEEiEEDaPvRmT3_T4_T5_mT6_P12ihipStream_tbENKUlT_T0_E_clISt17integral_constantIbLb0EESV_IbLb1EEEEDaSR_SS_EUlSR_E_NS1_11comp_targetILNS1_3genE8ELNS1_11target_archE1030ELNS1_3gpuE2ELNS1_3repE0EEENS1_30default_config_static_selectorELNS0_4arch9wavefront6targetE1EEEvT1_,@function
_ZN7rocprim17ROCPRIM_400000_NS6detail17trampoline_kernelINS0_14default_configENS1_20scan_config_selectorIiEEZZNS1_9scan_implILNS1_25lookback_scan_determinismE0ELb1ELb1ES3_N6thrust23THRUST_200600_302600_NS6detail15normal_iteratorINS9_10device_ptrIjEEEENSB_INSC_IiEEEEiNS9_4plusIvEEiEEDaPvRmT3_T4_T5_mT6_P12ihipStream_tbENKUlT_T0_E_clISt17integral_constantIbLb0EESV_IbLb1EEEEDaSR_SS_EUlSR_E_NS1_11comp_targetILNS1_3genE8ELNS1_11target_archE1030ELNS1_3gpuE2ELNS1_3repE0EEENS1_30default_config_static_selectorELNS0_4arch9wavefront6targetE1EEEvT1_: ; @_ZN7rocprim17ROCPRIM_400000_NS6detail17trampoline_kernelINS0_14default_configENS1_20scan_config_selectorIiEEZZNS1_9scan_implILNS1_25lookback_scan_determinismE0ELb1ELb1ES3_N6thrust23THRUST_200600_302600_NS6detail15normal_iteratorINS9_10device_ptrIjEEEENSB_INSC_IiEEEEiNS9_4plusIvEEiEEDaPvRmT3_T4_T5_mT6_P12ihipStream_tbENKUlT_T0_E_clISt17integral_constantIbLb0EESV_IbLb1EEEEDaSR_SS_EUlSR_E_NS1_11comp_targetILNS1_3genE8ELNS1_11target_archE1030ELNS1_3gpuE2ELNS1_3repE0EEENS1_30default_config_static_selectorELNS0_4arch9wavefront6targetE1EEEvT1_
; %bb.0:
	.section	.rodata,"a",@progbits
	.p2align	6, 0x0
	.amdhsa_kernel _ZN7rocprim17ROCPRIM_400000_NS6detail17trampoline_kernelINS0_14default_configENS1_20scan_config_selectorIiEEZZNS1_9scan_implILNS1_25lookback_scan_determinismE0ELb1ELb1ES3_N6thrust23THRUST_200600_302600_NS6detail15normal_iteratorINS9_10device_ptrIjEEEENSB_INSC_IiEEEEiNS9_4plusIvEEiEEDaPvRmT3_T4_T5_mT6_P12ihipStream_tbENKUlT_T0_E_clISt17integral_constantIbLb0EESV_IbLb1EEEEDaSR_SS_EUlSR_E_NS1_11comp_targetILNS1_3genE8ELNS1_11target_archE1030ELNS1_3gpuE2ELNS1_3repE0EEENS1_30default_config_static_selectorELNS0_4arch9wavefront6targetE1EEEvT1_
		.amdhsa_group_segment_fixed_size 0
		.amdhsa_private_segment_fixed_size 0
		.amdhsa_kernarg_size 96
		.amdhsa_user_sgpr_count 6
		.amdhsa_user_sgpr_private_segment_buffer 1
		.amdhsa_user_sgpr_dispatch_ptr 0
		.amdhsa_user_sgpr_queue_ptr 0
		.amdhsa_user_sgpr_kernarg_segment_ptr 1
		.amdhsa_user_sgpr_dispatch_id 0
		.amdhsa_user_sgpr_flat_scratch_init 0
		.amdhsa_user_sgpr_kernarg_preload_length 0
		.amdhsa_user_sgpr_kernarg_preload_offset 0
		.amdhsa_user_sgpr_private_segment_size 0
		.amdhsa_uses_dynamic_stack 0
		.amdhsa_system_sgpr_private_segment_wavefront_offset 0
		.amdhsa_system_sgpr_workgroup_id_x 1
		.amdhsa_system_sgpr_workgroup_id_y 0
		.amdhsa_system_sgpr_workgroup_id_z 0
		.amdhsa_system_sgpr_workgroup_info 0
		.amdhsa_system_vgpr_workitem_id 0
		.amdhsa_next_free_vgpr 1
		.amdhsa_next_free_sgpr 0
		.amdhsa_accum_offset 4
		.amdhsa_reserve_vcc 0
		.amdhsa_reserve_flat_scratch 0
		.amdhsa_float_round_mode_32 0
		.amdhsa_float_round_mode_16_64 0
		.amdhsa_float_denorm_mode_32 3
		.amdhsa_float_denorm_mode_16_64 3
		.amdhsa_dx10_clamp 1
		.amdhsa_ieee_mode 1
		.amdhsa_fp16_overflow 0
		.amdhsa_tg_split 0
		.amdhsa_exception_fp_ieee_invalid_op 0
		.amdhsa_exception_fp_denorm_src 0
		.amdhsa_exception_fp_ieee_div_zero 0
		.amdhsa_exception_fp_ieee_overflow 0
		.amdhsa_exception_fp_ieee_underflow 0
		.amdhsa_exception_fp_ieee_inexact 0
		.amdhsa_exception_int_div_zero 0
	.end_amdhsa_kernel
	.section	.text._ZN7rocprim17ROCPRIM_400000_NS6detail17trampoline_kernelINS0_14default_configENS1_20scan_config_selectorIiEEZZNS1_9scan_implILNS1_25lookback_scan_determinismE0ELb1ELb1ES3_N6thrust23THRUST_200600_302600_NS6detail15normal_iteratorINS9_10device_ptrIjEEEENSB_INSC_IiEEEEiNS9_4plusIvEEiEEDaPvRmT3_T4_T5_mT6_P12ihipStream_tbENKUlT_T0_E_clISt17integral_constantIbLb0EESV_IbLb1EEEEDaSR_SS_EUlSR_E_NS1_11comp_targetILNS1_3genE8ELNS1_11target_archE1030ELNS1_3gpuE2ELNS1_3repE0EEENS1_30default_config_static_selectorELNS0_4arch9wavefront6targetE1EEEvT1_,"axG",@progbits,_ZN7rocprim17ROCPRIM_400000_NS6detail17trampoline_kernelINS0_14default_configENS1_20scan_config_selectorIiEEZZNS1_9scan_implILNS1_25lookback_scan_determinismE0ELb1ELb1ES3_N6thrust23THRUST_200600_302600_NS6detail15normal_iteratorINS9_10device_ptrIjEEEENSB_INSC_IiEEEEiNS9_4plusIvEEiEEDaPvRmT3_T4_T5_mT6_P12ihipStream_tbENKUlT_T0_E_clISt17integral_constantIbLb0EESV_IbLb1EEEEDaSR_SS_EUlSR_E_NS1_11comp_targetILNS1_3genE8ELNS1_11target_archE1030ELNS1_3gpuE2ELNS1_3repE0EEENS1_30default_config_static_selectorELNS0_4arch9wavefront6targetE1EEEvT1_,comdat
.Lfunc_end6294:
	.size	_ZN7rocprim17ROCPRIM_400000_NS6detail17trampoline_kernelINS0_14default_configENS1_20scan_config_selectorIiEEZZNS1_9scan_implILNS1_25lookback_scan_determinismE0ELb1ELb1ES3_N6thrust23THRUST_200600_302600_NS6detail15normal_iteratorINS9_10device_ptrIjEEEENSB_INSC_IiEEEEiNS9_4plusIvEEiEEDaPvRmT3_T4_T5_mT6_P12ihipStream_tbENKUlT_T0_E_clISt17integral_constantIbLb0EESV_IbLb1EEEEDaSR_SS_EUlSR_E_NS1_11comp_targetILNS1_3genE8ELNS1_11target_archE1030ELNS1_3gpuE2ELNS1_3repE0EEENS1_30default_config_static_selectorELNS0_4arch9wavefront6targetE1EEEvT1_, .Lfunc_end6294-_ZN7rocprim17ROCPRIM_400000_NS6detail17trampoline_kernelINS0_14default_configENS1_20scan_config_selectorIiEEZZNS1_9scan_implILNS1_25lookback_scan_determinismE0ELb1ELb1ES3_N6thrust23THRUST_200600_302600_NS6detail15normal_iteratorINS9_10device_ptrIjEEEENSB_INSC_IiEEEEiNS9_4plusIvEEiEEDaPvRmT3_T4_T5_mT6_P12ihipStream_tbENKUlT_T0_E_clISt17integral_constantIbLb0EESV_IbLb1EEEEDaSR_SS_EUlSR_E_NS1_11comp_targetILNS1_3genE8ELNS1_11target_archE1030ELNS1_3gpuE2ELNS1_3repE0EEENS1_30default_config_static_selectorELNS0_4arch9wavefront6targetE1EEEvT1_
                                        ; -- End function
	.section	.AMDGPU.csdata,"",@progbits
; Kernel info:
; codeLenInByte = 0
; NumSgprs: 4
; NumVgprs: 0
; NumAgprs: 0
; TotalNumVgprs: 0
; ScratchSize: 0
; MemoryBound: 0
; FloatMode: 240
; IeeeMode: 1
; LDSByteSize: 0 bytes/workgroup (compile time only)
; SGPRBlocks: 0
; VGPRBlocks: 0
; NumSGPRsForWavesPerEU: 4
; NumVGPRsForWavesPerEU: 1
; AccumOffset: 4
; Occupancy: 8
; WaveLimiterHint : 0
; COMPUTE_PGM_RSRC2:SCRATCH_EN: 0
; COMPUTE_PGM_RSRC2:USER_SGPR: 6
; COMPUTE_PGM_RSRC2:TRAP_HANDLER: 0
; COMPUTE_PGM_RSRC2:TGID_X_EN: 1
; COMPUTE_PGM_RSRC2:TGID_Y_EN: 0
; COMPUTE_PGM_RSRC2:TGID_Z_EN: 0
; COMPUTE_PGM_RSRC2:TIDIG_COMP_CNT: 0
; COMPUTE_PGM_RSRC3_GFX90A:ACCUM_OFFSET: 0
; COMPUTE_PGM_RSRC3_GFX90A:TG_SPLIT: 0
	.section	.text._ZN7rocprim17ROCPRIM_400000_NS6detail17trampoline_kernelINS0_14default_configENS1_20scan_config_selectorIiEEZZNS1_9scan_implILNS1_25lookback_scan_determinismE0ELb1ELb1ES3_N6thrust23THRUST_200600_302600_NS6detail15normal_iteratorINS9_10device_ptrIjEEEENSB_INSC_IiEEEEiNS9_4plusIvEEiEEDaPvRmT3_T4_T5_mT6_P12ihipStream_tbENKUlT_T0_E_clISt17integral_constantIbLb0EESV_IbLb1EEEEDaSR_SS_EUlSR_E0_NS1_11comp_targetILNS1_3genE0ELNS1_11target_archE4294967295ELNS1_3gpuE0ELNS1_3repE0EEENS1_30default_config_static_selectorELNS0_4arch9wavefront6targetE1EEEvT1_,"axG",@progbits,_ZN7rocprim17ROCPRIM_400000_NS6detail17trampoline_kernelINS0_14default_configENS1_20scan_config_selectorIiEEZZNS1_9scan_implILNS1_25lookback_scan_determinismE0ELb1ELb1ES3_N6thrust23THRUST_200600_302600_NS6detail15normal_iteratorINS9_10device_ptrIjEEEENSB_INSC_IiEEEEiNS9_4plusIvEEiEEDaPvRmT3_T4_T5_mT6_P12ihipStream_tbENKUlT_T0_E_clISt17integral_constantIbLb0EESV_IbLb1EEEEDaSR_SS_EUlSR_E0_NS1_11comp_targetILNS1_3genE0ELNS1_11target_archE4294967295ELNS1_3gpuE0ELNS1_3repE0EEENS1_30default_config_static_selectorELNS0_4arch9wavefront6targetE1EEEvT1_,comdat
	.protected	_ZN7rocprim17ROCPRIM_400000_NS6detail17trampoline_kernelINS0_14default_configENS1_20scan_config_selectorIiEEZZNS1_9scan_implILNS1_25lookback_scan_determinismE0ELb1ELb1ES3_N6thrust23THRUST_200600_302600_NS6detail15normal_iteratorINS9_10device_ptrIjEEEENSB_INSC_IiEEEEiNS9_4plusIvEEiEEDaPvRmT3_T4_T5_mT6_P12ihipStream_tbENKUlT_T0_E_clISt17integral_constantIbLb0EESV_IbLb1EEEEDaSR_SS_EUlSR_E0_NS1_11comp_targetILNS1_3genE0ELNS1_11target_archE4294967295ELNS1_3gpuE0ELNS1_3repE0EEENS1_30default_config_static_selectorELNS0_4arch9wavefront6targetE1EEEvT1_ ; -- Begin function _ZN7rocprim17ROCPRIM_400000_NS6detail17trampoline_kernelINS0_14default_configENS1_20scan_config_selectorIiEEZZNS1_9scan_implILNS1_25lookback_scan_determinismE0ELb1ELb1ES3_N6thrust23THRUST_200600_302600_NS6detail15normal_iteratorINS9_10device_ptrIjEEEENSB_INSC_IiEEEEiNS9_4plusIvEEiEEDaPvRmT3_T4_T5_mT6_P12ihipStream_tbENKUlT_T0_E_clISt17integral_constantIbLb0EESV_IbLb1EEEEDaSR_SS_EUlSR_E0_NS1_11comp_targetILNS1_3genE0ELNS1_11target_archE4294967295ELNS1_3gpuE0ELNS1_3repE0EEENS1_30default_config_static_selectorELNS0_4arch9wavefront6targetE1EEEvT1_
	.globl	_ZN7rocprim17ROCPRIM_400000_NS6detail17trampoline_kernelINS0_14default_configENS1_20scan_config_selectorIiEEZZNS1_9scan_implILNS1_25lookback_scan_determinismE0ELb1ELb1ES3_N6thrust23THRUST_200600_302600_NS6detail15normal_iteratorINS9_10device_ptrIjEEEENSB_INSC_IiEEEEiNS9_4plusIvEEiEEDaPvRmT3_T4_T5_mT6_P12ihipStream_tbENKUlT_T0_E_clISt17integral_constantIbLb0EESV_IbLb1EEEEDaSR_SS_EUlSR_E0_NS1_11comp_targetILNS1_3genE0ELNS1_11target_archE4294967295ELNS1_3gpuE0ELNS1_3repE0EEENS1_30default_config_static_selectorELNS0_4arch9wavefront6targetE1EEEvT1_
	.p2align	8
	.type	_ZN7rocprim17ROCPRIM_400000_NS6detail17trampoline_kernelINS0_14default_configENS1_20scan_config_selectorIiEEZZNS1_9scan_implILNS1_25lookback_scan_determinismE0ELb1ELb1ES3_N6thrust23THRUST_200600_302600_NS6detail15normal_iteratorINS9_10device_ptrIjEEEENSB_INSC_IiEEEEiNS9_4plusIvEEiEEDaPvRmT3_T4_T5_mT6_P12ihipStream_tbENKUlT_T0_E_clISt17integral_constantIbLb0EESV_IbLb1EEEEDaSR_SS_EUlSR_E0_NS1_11comp_targetILNS1_3genE0ELNS1_11target_archE4294967295ELNS1_3gpuE0ELNS1_3repE0EEENS1_30default_config_static_selectorELNS0_4arch9wavefront6targetE1EEEvT1_,@function
_ZN7rocprim17ROCPRIM_400000_NS6detail17trampoline_kernelINS0_14default_configENS1_20scan_config_selectorIiEEZZNS1_9scan_implILNS1_25lookback_scan_determinismE0ELb1ELb1ES3_N6thrust23THRUST_200600_302600_NS6detail15normal_iteratorINS9_10device_ptrIjEEEENSB_INSC_IiEEEEiNS9_4plusIvEEiEEDaPvRmT3_T4_T5_mT6_P12ihipStream_tbENKUlT_T0_E_clISt17integral_constantIbLb0EESV_IbLb1EEEEDaSR_SS_EUlSR_E0_NS1_11comp_targetILNS1_3genE0ELNS1_11target_archE4294967295ELNS1_3gpuE0ELNS1_3repE0EEENS1_30default_config_static_selectorELNS0_4arch9wavefront6targetE1EEEvT1_: ; @_ZN7rocprim17ROCPRIM_400000_NS6detail17trampoline_kernelINS0_14default_configENS1_20scan_config_selectorIiEEZZNS1_9scan_implILNS1_25lookback_scan_determinismE0ELb1ELb1ES3_N6thrust23THRUST_200600_302600_NS6detail15normal_iteratorINS9_10device_ptrIjEEEENSB_INSC_IiEEEEiNS9_4plusIvEEiEEDaPvRmT3_T4_T5_mT6_P12ihipStream_tbENKUlT_T0_E_clISt17integral_constantIbLb0EESV_IbLb1EEEEDaSR_SS_EUlSR_E0_NS1_11comp_targetILNS1_3genE0ELNS1_11target_archE4294967295ELNS1_3gpuE0ELNS1_3repE0EEENS1_30default_config_static_selectorELNS0_4arch9wavefront6targetE1EEEvT1_
; %bb.0:
	.section	.rodata,"a",@progbits
	.p2align	6, 0x0
	.amdhsa_kernel _ZN7rocprim17ROCPRIM_400000_NS6detail17trampoline_kernelINS0_14default_configENS1_20scan_config_selectorIiEEZZNS1_9scan_implILNS1_25lookback_scan_determinismE0ELb1ELb1ES3_N6thrust23THRUST_200600_302600_NS6detail15normal_iteratorINS9_10device_ptrIjEEEENSB_INSC_IiEEEEiNS9_4plusIvEEiEEDaPvRmT3_T4_T5_mT6_P12ihipStream_tbENKUlT_T0_E_clISt17integral_constantIbLb0EESV_IbLb1EEEEDaSR_SS_EUlSR_E0_NS1_11comp_targetILNS1_3genE0ELNS1_11target_archE4294967295ELNS1_3gpuE0ELNS1_3repE0EEENS1_30default_config_static_selectorELNS0_4arch9wavefront6targetE1EEEvT1_
		.amdhsa_group_segment_fixed_size 0
		.amdhsa_private_segment_fixed_size 0
		.amdhsa_kernarg_size 32
		.amdhsa_user_sgpr_count 6
		.amdhsa_user_sgpr_private_segment_buffer 1
		.amdhsa_user_sgpr_dispatch_ptr 0
		.amdhsa_user_sgpr_queue_ptr 0
		.amdhsa_user_sgpr_kernarg_segment_ptr 1
		.amdhsa_user_sgpr_dispatch_id 0
		.amdhsa_user_sgpr_flat_scratch_init 0
		.amdhsa_user_sgpr_kernarg_preload_length 0
		.amdhsa_user_sgpr_kernarg_preload_offset 0
		.amdhsa_user_sgpr_private_segment_size 0
		.amdhsa_uses_dynamic_stack 0
		.amdhsa_system_sgpr_private_segment_wavefront_offset 0
		.amdhsa_system_sgpr_workgroup_id_x 1
		.amdhsa_system_sgpr_workgroup_id_y 0
		.amdhsa_system_sgpr_workgroup_id_z 0
		.amdhsa_system_sgpr_workgroup_info 0
		.amdhsa_system_vgpr_workitem_id 0
		.amdhsa_next_free_vgpr 1
		.amdhsa_next_free_sgpr 0
		.amdhsa_accum_offset 4
		.amdhsa_reserve_vcc 0
		.amdhsa_reserve_flat_scratch 0
		.amdhsa_float_round_mode_32 0
		.amdhsa_float_round_mode_16_64 0
		.amdhsa_float_denorm_mode_32 3
		.amdhsa_float_denorm_mode_16_64 3
		.amdhsa_dx10_clamp 1
		.amdhsa_ieee_mode 1
		.amdhsa_fp16_overflow 0
		.amdhsa_tg_split 0
		.amdhsa_exception_fp_ieee_invalid_op 0
		.amdhsa_exception_fp_denorm_src 0
		.amdhsa_exception_fp_ieee_div_zero 0
		.amdhsa_exception_fp_ieee_overflow 0
		.amdhsa_exception_fp_ieee_underflow 0
		.amdhsa_exception_fp_ieee_inexact 0
		.amdhsa_exception_int_div_zero 0
	.end_amdhsa_kernel
	.section	.text._ZN7rocprim17ROCPRIM_400000_NS6detail17trampoline_kernelINS0_14default_configENS1_20scan_config_selectorIiEEZZNS1_9scan_implILNS1_25lookback_scan_determinismE0ELb1ELb1ES3_N6thrust23THRUST_200600_302600_NS6detail15normal_iteratorINS9_10device_ptrIjEEEENSB_INSC_IiEEEEiNS9_4plusIvEEiEEDaPvRmT3_T4_T5_mT6_P12ihipStream_tbENKUlT_T0_E_clISt17integral_constantIbLb0EESV_IbLb1EEEEDaSR_SS_EUlSR_E0_NS1_11comp_targetILNS1_3genE0ELNS1_11target_archE4294967295ELNS1_3gpuE0ELNS1_3repE0EEENS1_30default_config_static_selectorELNS0_4arch9wavefront6targetE1EEEvT1_,"axG",@progbits,_ZN7rocprim17ROCPRIM_400000_NS6detail17trampoline_kernelINS0_14default_configENS1_20scan_config_selectorIiEEZZNS1_9scan_implILNS1_25lookback_scan_determinismE0ELb1ELb1ES3_N6thrust23THRUST_200600_302600_NS6detail15normal_iteratorINS9_10device_ptrIjEEEENSB_INSC_IiEEEEiNS9_4plusIvEEiEEDaPvRmT3_T4_T5_mT6_P12ihipStream_tbENKUlT_T0_E_clISt17integral_constantIbLb0EESV_IbLb1EEEEDaSR_SS_EUlSR_E0_NS1_11comp_targetILNS1_3genE0ELNS1_11target_archE4294967295ELNS1_3gpuE0ELNS1_3repE0EEENS1_30default_config_static_selectorELNS0_4arch9wavefront6targetE1EEEvT1_,comdat
.Lfunc_end6295:
	.size	_ZN7rocprim17ROCPRIM_400000_NS6detail17trampoline_kernelINS0_14default_configENS1_20scan_config_selectorIiEEZZNS1_9scan_implILNS1_25lookback_scan_determinismE0ELb1ELb1ES3_N6thrust23THRUST_200600_302600_NS6detail15normal_iteratorINS9_10device_ptrIjEEEENSB_INSC_IiEEEEiNS9_4plusIvEEiEEDaPvRmT3_T4_T5_mT6_P12ihipStream_tbENKUlT_T0_E_clISt17integral_constantIbLb0EESV_IbLb1EEEEDaSR_SS_EUlSR_E0_NS1_11comp_targetILNS1_3genE0ELNS1_11target_archE4294967295ELNS1_3gpuE0ELNS1_3repE0EEENS1_30default_config_static_selectorELNS0_4arch9wavefront6targetE1EEEvT1_, .Lfunc_end6295-_ZN7rocprim17ROCPRIM_400000_NS6detail17trampoline_kernelINS0_14default_configENS1_20scan_config_selectorIiEEZZNS1_9scan_implILNS1_25lookback_scan_determinismE0ELb1ELb1ES3_N6thrust23THRUST_200600_302600_NS6detail15normal_iteratorINS9_10device_ptrIjEEEENSB_INSC_IiEEEEiNS9_4plusIvEEiEEDaPvRmT3_T4_T5_mT6_P12ihipStream_tbENKUlT_T0_E_clISt17integral_constantIbLb0EESV_IbLb1EEEEDaSR_SS_EUlSR_E0_NS1_11comp_targetILNS1_3genE0ELNS1_11target_archE4294967295ELNS1_3gpuE0ELNS1_3repE0EEENS1_30default_config_static_selectorELNS0_4arch9wavefront6targetE1EEEvT1_
                                        ; -- End function
	.section	.AMDGPU.csdata,"",@progbits
; Kernel info:
; codeLenInByte = 0
; NumSgprs: 4
; NumVgprs: 0
; NumAgprs: 0
; TotalNumVgprs: 0
; ScratchSize: 0
; MemoryBound: 0
; FloatMode: 240
; IeeeMode: 1
; LDSByteSize: 0 bytes/workgroup (compile time only)
; SGPRBlocks: 0
; VGPRBlocks: 0
; NumSGPRsForWavesPerEU: 4
; NumVGPRsForWavesPerEU: 1
; AccumOffset: 4
; Occupancy: 8
; WaveLimiterHint : 0
; COMPUTE_PGM_RSRC2:SCRATCH_EN: 0
; COMPUTE_PGM_RSRC2:USER_SGPR: 6
; COMPUTE_PGM_RSRC2:TRAP_HANDLER: 0
; COMPUTE_PGM_RSRC2:TGID_X_EN: 1
; COMPUTE_PGM_RSRC2:TGID_Y_EN: 0
; COMPUTE_PGM_RSRC2:TGID_Z_EN: 0
; COMPUTE_PGM_RSRC2:TIDIG_COMP_CNT: 0
; COMPUTE_PGM_RSRC3_GFX90A:ACCUM_OFFSET: 0
; COMPUTE_PGM_RSRC3_GFX90A:TG_SPLIT: 0
	.section	.text._ZN7rocprim17ROCPRIM_400000_NS6detail17trampoline_kernelINS0_14default_configENS1_20scan_config_selectorIiEEZZNS1_9scan_implILNS1_25lookback_scan_determinismE0ELb1ELb1ES3_N6thrust23THRUST_200600_302600_NS6detail15normal_iteratorINS9_10device_ptrIjEEEENSB_INSC_IiEEEEiNS9_4plusIvEEiEEDaPvRmT3_T4_T5_mT6_P12ihipStream_tbENKUlT_T0_E_clISt17integral_constantIbLb0EESV_IbLb1EEEEDaSR_SS_EUlSR_E0_NS1_11comp_targetILNS1_3genE5ELNS1_11target_archE942ELNS1_3gpuE9ELNS1_3repE0EEENS1_30default_config_static_selectorELNS0_4arch9wavefront6targetE1EEEvT1_,"axG",@progbits,_ZN7rocprim17ROCPRIM_400000_NS6detail17trampoline_kernelINS0_14default_configENS1_20scan_config_selectorIiEEZZNS1_9scan_implILNS1_25lookback_scan_determinismE0ELb1ELb1ES3_N6thrust23THRUST_200600_302600_NS6detail15normal_iteratorINS9_10device_ptrIjEEEENSB_INSC_IiEEEEiNS9_4plusIvEEiEEDaPvRmT3_T4_T5_mT6_P12ihipStream_tbENKUlT_T0_E_clISt17integral_constantIbLb0EESV_IbLb1EEEEDaSR_SS_EUlSR_E0_NS1_11comp_targetILNS1_3genE5ELNS1_11target_archE942ELNS1_3gpuE9ELNS1_3repE0EEENS1_30default_config_static_selectorELNS0_4arch9wavefront6targetE1EEEvT1_,comdat
	.protected	_ZN7rocprim17ROCPRIM_400000_NS6detail17trampoline_kernelINS0_14default_configENS1_20scan_config_selectorIiEEZZNS1_9scan_implILNS1_25lookback_scan_determinismE0ELb1ELb1ES3_N6thrust23THRUST_200600_302600_NS6detail15normal_iteratorINS9_10device_ptrIjEEEENSB_INSC_IiEEEEiNS9_4plusIvEEiEEDaPvRmT3_T4_T5_mT6_P12ihipStream_tbENKUlT_T0_E_clISt17integral_constantIbLb0EESV_IbLb1EEEEDaSR_SS_EUlSR_E0_NS1_11comp_targetILNS1_3genE5ELNS1_11target_archE942ELNS1_3gpuE9ELNS1_3repE0EEENS1_30default_config_static_selectorELNS0_4arch9wavefront6targetE1EEEvT1_ ; -- Begin function _ZN7rocprim17ROCPRIM_400000_NS6detail17trampoline_kernelINS0_14default_configENS1_20scan_config_selectorIiEEZZNS1_9scan_implILNS1_25lookback_scan_determinismE0ELb1ELb1ES3_N6thrust23THRUST_200600_302600_NS6detail15normal_iteratorINS9_10device_ptrIjEEEENSB_INSC_IiEEEEiNS9_4plusIvEEiEEDaPvRmT3_T4_T5_mT6_P12ihipStream_tbENKUlT_T0_E_clISt17integral_constantIbLb0EESV_IbLb1EEEEDaSR_SS_EUlSR_E0_NS1_11comp_targetILNS1_3genE5ELNS1_11target_archE942ELNS1_3gpuE9ELNS1_3repE0EEENS1_30default_config_static_selectorELNS0_4arch9wavefront6targetE1EEEvT1_
	.globl	_ZN7rocprim17ROCPRIM_400000_NS6detail17trampoline_kernelINS0_14default_configENS1_20scan_config_selectorIiEEZZNS1_9scan_implILNS1_25lookback_scan_determinismE0ELb1ELb1ES3_N6thrust23THRUST_200600_302600_NS6detail15normal_iteratorINS9_10device_ptrIjEEEENSB_INSC_IiEEEEiNS9_4plusIvEEiEEDaPvRmT3_T4_T5_mT6_P12ihipStream_tbENKUlT_T0_E_clISt17integral_constantIbLb0EESV_IbLb1EEEEDaSR_SS_EUlSR_E0_NS1_11comp_targetILNS1_3genE5ELNS1_11target_archE942ELNS1_3gpuE9ELNS1_3repE0EEENS1_30default_config_static_selectorELNS0_4arch9wavefront6targetE1EEEvT1_
	.p2align	8
	.type	_ZN7rocprim17ROCPRIM_400000_NS6detail17trampoline_kernelINS0_14default_configENS1_20scan_config_selectorIiEEZZNS1_9scan_implILNS1_25lookback_scan_determinismE0ELb1ELb1ES3_N6thrust23THRUST_200600_302600_NS6detail15normal_iteratorINS9_10device_ptrIjEEEENSB_INSC_IiEEEEiNS9_4plusIvEEiEEDaPvRmT3_T4_T5_mT6_P12ihipStream_tbENKUlT_T0_E_clISt17integral_constantIbLb0EESV_IbLb1EEEEDaSR_SS_EUlSR_E0_NS1_11comp_targetILNS1_3genE5ELNS1_11target_archE942ELNS1_3gpuE9ELNS1_3repE0EEENS1_30default_config_static_selectorELNS0_4arch9wavefront6targetE1EEEvT1_,@function
_ZN7rocprim17ROCPRIM_400000_NS6detail17trampoline_kernelINS0_14default_configENS1_20scan_config_selectorIiEEZZNS1_9scan_implILNS1_25lookback_scan_determinismE0ELb1ELb1ES3_N6thrust23THRUST_200600_302600_NS6detail15normal_iteratorINS9_10device_ptrIjEEEENSB_INSC_IiEEEEiNS9_4plusIvEEiEEDaPvRmT3_T4_T5_mT6_P12ihipStream_tbENKUlT_T0_E_clISt17integral_constantIbLb0EESV_IbLb1EEEEDaSR_SS_EUlSR_E0_NS1_11comp_targetILNS1_3genE5ELNS1_11target_archE942ELNS1_3gpuE9ELNS1_3repE0EEENS1_30default_config_static_selectorELNS0_4arch9wavefront6targetE1EEEvT1_: ; @_ZN7rocprim17ROCPRIM_400000_NS6detail17trampoline_kernelINS0_14default_configENS1_20scan_config_selectorIiEEZZNS1_9scan_implILNS1_25lookback_scan_determinismE0ELb1ELb1ES3_N6thrust23THRUST_200600_302600_NS6detail15normal_iteratorINS9_10device_ptrIjEEEENSB_INSC_IiEEEEiNS9_4plusIvEEiEEDaPvRmT3_T4_T5_mT6_P12ihipStream_tbENKUlT_T0_E_clISt17integral_constantIbLb0EESV_IbLb1EEEEDaSR_SS_EUlSR_E0_NS1_11comp_targetILNS1_3genE5ELNS1_11target_archE942ELNS1_3gpuE9ELNS1_3repE0EEENS1_30default_config_static_selectorELNS0_4arch9wavefront6targetE1EEEvT1_
; %bb.0:
	.section	.rodata,"a",@progbits
	.p2align	6, 0x0
	.amdhsa_kernel _ZN7rocprim17ROCPRIM_400000_NS6detail17trampoline_kernelINS0_14default_configENS1_20scan_config_selectorIiEEZZNS1_9scan_implILNS1_25lookback_scan_determinismE0ELb1ELb1ES3_N6thrust23THRUST_200600_302600_NS6detail15normal_iteratorINS9_10device_ptrIjEEEENSB_INSC_IiEEEEiNS9_4plusIvEEiEEDaPvRmT3_T4_T5_mT6_P12ihipStream_tbENKUlT_T0_E_clISt17integral_constantIbLb0EESV_IbLb1EEEEDaSR_SS_EUlSR_E0_NS1_11comp_targetILNS1_3genE5ELNS1_11target_archE942ELNS1_3gpuE9ELNS1_3repE0EEENS1_30default_config_static_selectorELNS0_4arch9wavefront6targetE1EEEvT1_
		.amdhsa_group_segment_fixed_size 0
		.amdhsa_private_segment_fixed_size 0
		.amdhsa_kernarg_size 32
		.amdhsa_user_sgpr_count 6
		.amdhsa_user_sgpr_private_segment_buffer 1
		.amdhsa_user_sgpr_dispatch_ptr 0
		.amdhsa_user_sgpr_queue_ptr 0
		.amdhsa_user_sgpr_kernarg_segment_ptr 1
		.amdhsa_user_sgpr_dispatch_id 0
		.amdhsa_user_sgpr_flat_scratch_init 0
		.amdhsa_user_sgpr_kernarg_preload_length 0
		.amdhsa_user_sgpr_kernarg_preload_offset 0
		.amdhsa_user_sgpr_private_segment_size 0
		.amdhsa_uses_dynamic_stack 0
		.amdhsa_system_sgpr_private_segment_wavefront_offset 0
		.amdhsa_system_sgpr_workgroup_id_x 1
		.amdhsa_system_sgpr_workgroup_id_y 0
		.amdhsa_system_sgpr_workgroup_id_z 0
		.amdhsa_system_sgpr_workgroup_info 0
		.amdhsa_system_vgpr_workitem_id 0
		.amdhsa_next_free_vgpr 1
		.amdhsa_next_free_sgpr 0
		.amdhsa_accum_offset 4
		.amdhsa_reserve_vcc 0
		.amdhsa_reserve_flat_scratch 0
		.amdhsa_float_round_mode_32 0
		.amdhsa_float_round_mode_16_64 0
		.amdhsa_float_denorm_mode_32 3
		.amdhsa_float_denorm_mode_16_64 3
		.amdhsa_dx10_clamp 1
		.amdhsa_ieee_mode 1
		.amdhsa_fp16_overflow 0
		.amdhsa_tg_split 0
		.amdhsa_exception_fp_ieee_invalid_op 0
		.amdhsa_exception_fp_denorm_src 0
		.amdhsa_exception_fp_ieee_div_zero 0
		.amdhsa_exception_fp_ieee_overflow 0
		.amdhsa_exception_fp_ieee_underflow 0
		.amdhsa_exception_fp_ieee_inexact 0
		.amdhsa_exception_int_div_zero 0
	.end_amdhsa_kernel
	.section	.text._ZN7rocprim17ROCPRIM_400000_NS6detail17trampoline_kernelINS0_14default_configENS1_20scan_config_selectorIiEEZZNS1_9scan_implILNS1_25lookback_scan_determinismE0ELb1ELb1ES3_N6thrust23THRUST_200600_302600_NS6detail15normal_iteratorINS9_10device_ptrIjEEEENSB_INSC_IiEEEEiNS9_4plusIvEEiEEDaPvRmT3_T4_T5_mT6_P12ihipStream_tbENKUlT_T0_E_clISt17integral_constantIbLb0EESV_IbLb1EEEEDaSR_SS_EUlSR_E0_NS1_11comp_targetILNS1_3genE5ELNS1_11target_archE942ELNS1_3gpuE9ELNS1_3repE0EEENS1_30default_config_static_selectorELNS0_4arch9wavefront6targetE1EEEvT1_,"axG",@progbits,_ZN7rocprim17ROCPRIM_400000_NS6detail17trampoline_kernelINS0_14default_configENS1_20scan_config_selectorIiEEZZNS1_9scan_implILNS1_25lookback_scan_determinismE0ELb1ELb1ES3_N6thrust23THRUST_200600_302600_NS6detail15normal_iteratorINS9_10device_ptrIjEEEENSB_INSC_IiEEEEiNS9_4plusIvEEiEEDaPvRmT3_T4_T5_mT6_P12ihipStream_tbENKUlT_T0_E_clISt17integral_constantIbLb0EESV_IbLb1EEEEDaSR_SS_EUlSR_E0_NS1_11comp_targetILNS1_3genE5ELNS1_11target_archE942ELNS1_3gpuE9ELNS1_3repE0EEENS1_30default_config_static_selectorELNS0_4arch9wavefront6targetE1EEEvT1_,comdat
.Lfunc_end6296:
	.size	_ZN7rocprim17ROCPRIM_400000_NS6detail17trampoline_kernelINS0_14default_configENS1_20scan_config_selectorIiEEZZNS1_9scan_implILNS1_25lookback_scan_determinismE0ELb1ELb1ES3_N6thrust23THRUST_200600_302600_NS6detail15normal_iteratorINS9_10device_ptrIjEEEENSB_INSC_IiEEEEiNS9_4plusIvEEiEEDaPvRmT3_T4_T5_mT6_P12ihipStream_tbENKUlT_T0_E_clISt17integral_constantIbLb0EESV_IbLb1EEEEDaSR_SS_EUlSR_E0_NS1_11comp_targetILNS1_3genE5ELNS1_11target_archE942ELNS1_3gpuE9ELNS1_3repE0EEENS1_30default_config_static_selectorELNS0_4arch9wavefront6targetE1EEEvT1_, .Lfunc_end6296-_ZN7rocprim17ROCPRIM_400000_NS6detail17trampoline_kernelINS0_14default_configENS1_20scan_config_selectorIiEEZZNS1_9scan_implILNS1_25lookback_scan_determinismE0ELb1ELb1ES3_N6thrust23THRUST_200600_302600_NS6detail15normal_iteratorINS9_10device_ptrIjEEEENSB_INSC_IiEEEEiNS9_4plusIvEEiEEDaPvRmT3_T4_T5_mT6_P12ihipStream_tbENKUlT_T0_E_clISt17integral_constantIbLb0EESV_IbLb1EEEEDaSR_SS_EUlSR_E0_NS1_11comp_targetILNS1_3genE5ELNS1_11target_archE942ELNS1_3gpuE9ELNS1_3repE0EEENS1_30default_config_static_selectorELNS0_4arch9wavefront6targetE1EEEvT1_
                                        ; -- End function
	.section	.AMDGPU.csdata,"",@progbits
; Kernel info:
; codeLenInByte = 0
; NumSgprs: 4
; NumVgprs: 0
; NumAgprs: 0
; TotalNumVgprs: 0
; ScratchSize: 0
; MemoryBound: 0
; FloatMode: 240
; IeeeMode: 1
; LDSByteSize: 0 bytes/workgroup (compile time only)
; SGPRBlocks: 0
; VGPRBlocks: 0
; NumSGPRsForWavesPerEU: 4
; NumVGPRsForWavesPerEU: 1
; AccumOffset: 4
; Occupancy: 8
; WaveLimiterHint : 0
; COMPUTE_PGM_RSRC2:SCRATCH_EN: 0
; COMPUTE_PGM_RSRC2:USER_SGPR: 6
; COMPUTE_PGM_RSRC2:TRAP_HANDLER: 0
; COMPUTE_PGM_RSRC2:TGID_X_EN: 1
; COMPUTE_PGM_RSRC2:TGID_Y_EN: 0
; COMPUTE_PGM_RSRC2:TGID_Z_EN: 0
; COMPUTE_PGM_RSRC2:TIDIG_COMP_CNT: 0
; COMPUTE_PGM_RSRC3_GFX90A:ACCUM_OFFSET: 0
; COMPUTE_PGM_RSRC3_GFX90A:TG_SPLIT: 0
	.section	.text._ZN7rocprim17ROCPRIM_400000_NS6detail17trampoline_kernelINS0_14default_configENS1_20scan_config_selectorIiEEZZNS1_9scan_implILNS1_25lookback_scan_determinismE0ELb1ELb1ES3_N6thrust23THRUST_200600_302600_NS6detail15normal_iteratorINS9_10device_ptrIjEEEENSB_INSC_IiEEEEiNS9_4plusIvEEiEEDaPvRmT3_T4_T5_mT6_P12ihipStream_tbENKUlT_T0_E_clISt17integral_constantIbLb0EESV_IbLb1EEEEDaSR_SS_EUlSR_E0_NS1_11comp_targetILNS1_3genE4ELNS1_11target_archE910ELNS1_3gpuE8ELNS1_3repE0EEENS1_30default_config_static_selectorELNS0_4arch9wavefront6targetE1EEEvT1_,"axG",@progbits,_ZN7rocprim17ROCPRIM_400000_NS6detail17trampoline_kernelINS0_14default_configENS1_20scan_config_selectorIiEEZZNS1_9scan_implILNS1_25lookback_scan_determinismE0ELb1ELb1ES3_N6thrust23THRUST_200600_302600_NS6detail15normal_iteratorINS9_10device_ptrIjEEEENSB_INSC_IiEEEEiNS9_4plusIvEEiEEDaPvRmT3_T4_T5_mT6_P12ihipStream_tbENKUlT_T0_E_clISt17integral_constantIbLb0EESV_IbLb1EEEEDaSR_SS_EUlSR_E0_NS1_11comp_targetILNS1_3genE4ELNS1_11target_archE910ELNS1_3gpuE8ELNS1_3repE0EEENS1_30default_config_static_selectorELNS0_4arch9wavefront6targetE1EEEvT1_,comdat
	.protected	_ZN7rocprim17ROCPRIM_400000_NS6detail17trampoline_kernelINS0_14default_configENS1_20scan_config_selectorIiEEZZNS1_9scan_implILNS1_25lookback_scan_determinismE0ELb1ELb1ES3_N6thrust23THRUST_200600_302600_NS6detail15normal_iteratorINS9_10device_ptrIjEEEENSB_INSC_IiEEEEiNS9_4plusIvEEiEEDaPvRmT3_T4_T5_mT6_P12ihipStream_tbENKUlT_T0_E_clISt17integral_constantIbLb0EESV_IbLb1EEEEDaSR_SS_EUlSR_E0_NS1_11comp_targetILNS1_3genE4ELNS1_11target_archE910ELNS1_3gpuE8ELNS1_3repE0EEENS1_30default_config_static_selectorELNS0_4arch9wavefront6targetE1EEEvT1_ ; -- Begin function _ZN7rocprim17ROCPRIM_400000_NS6detail17trampoline_kernelINS0_14default_configENS1_20scan_config_selectorIiEEZZNS1_9scan_implILNS1_25lookback_scan_determinismE0ELb1ELb1ES3_N6thrust23THRUST_200600_302600_NS6detail15normal_iteratorINS9_10device_ptrIjEEEENSB_INSC_IiEEEEiNS9_4plusIvEEiEEDaPvRmT3_T4_T5_mT6_P12ihipStream_tbENKUlT_T0_E_clISt17integral_constantIbLb0EESV_IbLb1EEEEDaSR_SS_EUlSR_E0_NS1_11comp_targetILNS1_3genE4ELNS1_11target_archE910ELNS1_3gpuE8ELNS1_3repE0EEENS1_30default_config_static_selectorELNS0_4arch9wavefront6targetE1EEEvT1_
	.globl	_ZN7rocprim17ROCPRIM_400000_NS6detail17trampoline_kernelINS0_14default_configENS1_20scan_config_selectorIiEEZZNS1_9scan_implILNS1_25lookback_scan_determinismE0ELb1ELb1ES3_N6thrust23THRUST_200600_302600_NS6detail15normal_iteratorINS9_10device_ptrIjEEEENSB_INSC_IiEEEEiNS9_4plusIvEEiEEDaPvRmT3_T4_T5_mT6_P12ihipStream_tbENKUlT_T0_E_clISt17integral_constantIbLb0EESV_IbLb1EEEEDaSR_SS_EUlSR_E0_NS1_11comp_targetILNS1_3genE4ELNS1_11target_archE910ELNS1_3gpuE8ELNS1_3repE0EEENS1_30default_config_static_selectorELNS0_4arch9wavefront6targetE1EEEvT1_
	.p2align	8
	.type	_ZN7rocprim17ROCPRIM_400000_NS6detail17trampoline_kernelINS0_14default_configENS1_20scan_config_selectorIiEEZZNS1_9scan_implILNS1_25lookback_scan_determinismE0ELb1ELb1ES3_N6thrust23THRUST_200600_302600_NS6detail15normal_iteratorINS9_10device_ptrIjEEEENSB_INSC_IiEEEEiNS9_4plusIvEEiEEDaPvRmT3_T4_T5_mT6_P12ihipStream_tbENKUlT_T0_E_clISt17integral_constantIbLb0EESV_IbLb1EEEEDaSR_SS_EUlSR_E0_NS1_11comp_targetILNS1_3genE4ELNS1_11target_archE910ELNS1_3gpuE8ELNS1_3repE0EEENS1_30default_config_static_selectorELNS0_4arch9wavefront6targetE1EEEvT1_,@function
_ZN7rocprim17ROCPRIM_400000_NS6detail17trampoline_kernelINS0_14default_configENS1_20scan_config_selectorIiEEZZNS1_9scan_implILNS1_25lookback_scan_determinismE0ELb1ELb1ES3_N6thrust23THRUST_200600_302600_NS6detail15normal_iteratorINS9_10device_ptrIjEEEENSB_INSC_IiEEEEiNS9_4plusIvEEiEEDaPvRmT3_T4_T5_mT6_P12ihipStream_tbENKUlT_T0_E_clISt17integral_constantIbLb0EESV_IbLb1EEEEDaSR_SS_EUlSR_E0_NS1_11comp_targetILNS1_3genE4ELNS1_11target_archE910ELNS1_3gpuE8ELNS1_3repE0EEENS1_30default_config_static_selectorELNS0_4arch9wavefront6targetE1EEEvT1_: ; @_ZN7rocprim17ROCPRIM_400000_NS6detail17trampoline_kernelINS0_14default_configENS1_20scan_config_selectorIiEEZZNS1_9scan_implILNS1_25lookback_scan_determinismE0ELb1ELb1ES3_N6thrust23THRUST_200600_302600_NS6detail15normal_iteratorINS9_10device_ptrIjEEEENSB_INSC_IiEEEEiNS9_4plusIvEEiEEDaPvRmT3_T4_T5_mT6_P12ihipStream_tbENKUlT_T0_E_clISt17integral_constantIbLb0EESV_IbLb1EEEEDaSR_SS_EUlSR_E0_NS1_11comp_targetILNS1_3genE4ELNS1_11target_archE910ELNS1_3gpuE8ELNS1_3repE0EEENS1_30default_config_static_selectorELNS0_4arch9wavefront6targetE1EEEvT1_
; %bb.0:
	s_load_dwordx4 s[20:23], s[4:5], 0x0
	v_lshlrev_b32_e32 v14, 2, v0
	s_waitcnt lgkmcnt(0)
	s_load_dword s23, s[20:21], 0x0
	v_cmp_gt_u32_e32 vcc, s22, v0
	s_waitcnt lgkmcnt(0)
	v_mov_b32_e32 v1, s23
	s_and_saveexec_b64 s[0:1], vcc
	s_cbranch_execz .LBB6297_2
; %bb.1:
	global_load_dword v1, v14, s[20:21]
.LBB6297_2:
	s_or_b64 exec, exec, s[0:1]
	v_or_b32_e32 v2, 0x80, v0
	v_cmp_gt_u32_e64 s[0:1], s22, v2
	v_mov_b32_e32 v2, s23
	s_and_saveexec_b64 s[2:3], s[0:1]
	s_cbranch_execz .LBB6297_4
; %bb.3:
	global_load_dword v2, v14, s[20:21] offset:512
.LBB6297_4:
	s_or_b64 exec, exec, s[2:3]
	v_or_b32_e32 v3, 0x100, v0
	v_cmp_gt_u32_e64 s[2:3], s22, v3
	v_mov_b32_e32 v3, s23
	s_and_saveexec_b64 s[6:7], s[2:3]
	s_cbranch_execz .LBB6297_6
; %bb.5:
	global_load_dword v3, v14, s[20:21] offset:1024
.LBB6297_6:
	;; [unrolled: 9-line block ×7, first 2 shown]
	s_or_b64 exec, exec, s[14:15]
	v_or_b32_e32 v10, 0x400, v0
	v_cmp_gt_u32_e64 s[14:15], s22, v10
	v_mov_b32_e32 v9, s23
	s_and_saveexec_b64 s[16:17], s[14:15]
	s_cbranch_execz .LBB6297_18
; %bb.17:
	v_lshlrev_b32_e32 v9, 2, v10
	global_load_dword v9, v9, s[20:21]
.LBB6297_18:
	s_or_b64 exec, exec, s[16:17]
	s_load_dword s24, s[4:5], 0x10
	v_or_b32_e32 v11, 0x480, v0
	v_cmp_gt_u32_e64 s[16:17], s22, v11
	v_mov_b32_e32 v10, s23
	s_and_saveexec_b64 s[22:23], s[16:17]
	s_cbranch_execz .LBB6297_20
; %bb.19:
	v_lshlrev_b32_e32 v10, 2, v11
	global_load_dword v10, v10, s[20:21]
.LBB6297_20:
	s_or_b64 exec, exec, s[22:23]
	s_waitcnt vmcnt(0)
	ds_write2st64_b32 v14, v1, v2 offset1:2
	ds_write2st64_b32 v14, v3, v4 offset0:4 offset1:6
	ds_write2st64_b32 v14, v5, v6 offset0:8 offset1:10
	;; [unrolled: 1-line block ×4, first 2 shown]
	v_mad_u32_u24 v1, v0, 36, v14
	s_waitcnt lgkmcnt(0)
	s_barrier
	ds_read2_b64 v[6:9], v1 offset1:1
	ds_read2_b64 v[2:5], v1 offset0:2 offset1:3
	ds_read_b64 v[10:11], v1 offset:32
	s_load_dwordx2 s[20:21], s[4:5], 0x18
	v_cmp_gt_u32_e64 s[4:5], 64, v0
	s_waitcnt lgkmcnt(0)
	v_add_u32_e32 v1, v7, v6
	v_add3_u32 v1, v1, v8, v9
	v_add3_u32 v1, v1, v2, v3
	;; [unrolled: 1-line block ×4, first 2 shown]
	v_lshrrev_b32_e32 v11, 3, v0
	v_and_b32_e32 v11, 12, v11
	v_add_u32_e32 v11, v14, v11
	s_barrier
	ds_write_b32 v11, v1
	s_waitcnt lgkmcnt(0)
	s_barrier
	s_and_saveexec_b64 s[22:23], s[4:5]
	s_cbranch_execz .LBB6297_22
; %bb.21:
	v_lshlrev_b32_e32 v11, 1, v0
	v_lshrrev_b32_e32 v12, 4, v0
	v_add_lshl_u32 v11, v12, v11, 2
	ds_read2_b32 v[12:13], v11 offset1:1
	v_mbcnt_lo_u32_b32 v15, -1, 0
	v_mbcnt_hi_u32_b32 v15, -1, v15
	v_and_b32_e32 v16, 15, v15
	v_cmp_ne_u32_e64 s[4:5], 0, v16
	s_waitcnt lgkmcnt(0)
	v_add_u32_e32 v13, v13, v12
	; wave barrier
	s_nop 1
	v_mov_b32_dpp v17, v13 row_shr:1 row_mask:0xf bank_mask:0xf
	v_cndmask_b32_e64 v17, 0, v17, s[4:5]
	v_add_u32_e32 v13, v17, v13
	v_cmp_lt_u32_e64 s[4:5], 1, v16
	s_nop 0
	v_mov_b32_dpp v17, v13 row_shr:2 row_mask:0xf bank_mask:0xf
	v_cndmask_b32_e64 v17, 0, v17, s[4:5]
	v_add_u32_e32 v13, v13, v17
	v_cmp_lt_u32_e64 s[4:5], 3, v16
	;; [unrolled: 5-line block ×3, first 2 shown]
	s_nop 0
	v_mov_b32_dpp v17, v13 row_shr:8 row_mask:0xf bank_mask:0xf
	v_cndmask_b32_e64 v16, 0, v17, s[4:5]
	v_add_u32_e32 v13, v13, v16
	v_bfe_i32 v17, v15, 4, 1
	v_cmp_lt_u32_e64 s[4:5], 31, v15
	v_mov_b32_dpp v16, v13 row_bcast:15 row_mask:0xf bank_mask:0xf
	v_and_b32_e32 v16, v17, v16
	v_add_u32_e32 v13, v13, v16
	v_and_b32_e32 v17, 64, v15
	s_nop 0
	v_mov_b32_dpp v16, v13 row_bcast:31 row_mask:0xf bank_mask:0xf
	v_cndmask_b32_e64 v16, 0, v16, s[4:5]
	v_add_u32_e32 v13, v13, v16
	v_add_u32_e32 v16, -1, v15
	v_cmp_lt_i32_e64 s[4:5], v16, v17
	v_cndmask_b32_e64 v15, v16, v15, s[4:5]
	v_lshlrev_b32_e32 v15, 2, v15
	ds_bpermute_b32 v13, v15, v13
	v_cmp_eq_u32_e64 s[4:5], 0, v0
	s_waitcnt lgkmcnt(0)
	v_add_u32_e32 v12, v13, v12
	v_cndmask_b32_e64 v1, v12, v1, s[4:5]
	ds_write_b32 v11, v1
	; wave barrier
	ds_read_b32 v12, v11 offset:4
	s_waitcnt lgkmcnt(0)
	v_add_u32_e32 v1, v12, v1
	ds_write_b32 v11, v1 offset:4
.LBB6297_22:
	s_or_b64 exec, exec, s[22:23]
	v_mul_u32_u24_e32 v1, 36, v0
	v_cmp_ne_u32_e64 s[4:5], 0, v0
	v_mov_b32_e32 v12, s24
	s_waitcnt lgkmcnt(0)
	s_barrier
	s_and_saveexec_b64 s[22:23], s[4:5]
	s_cbranch_execz .LBB6297_24
; %bb.23:
	v_add_u32_e32 v0, -1, v0
	v_lshrrev_b32_e32 v11, 5, v0
	v_add_lshl_u32 v0, v11, v0, 2
	ds_read_b32 v0, v0
	s_waitcnt lgkmcnt(0)
	v_add_u32_e32 v12, s24, v0
.LBB6297_24:
	s_or_b64 exec, exec, s[22:23]
	v_add_u32_e32 v13, v12, v6
	v_add_u32_e32 v6, v13, v7
	;; [unrolled: 1-line block ×10, first 2 shown]
	s_barrier
	ds_write2_b64 v0, v[12:13], v[6:7] offset1:1
	ds_write2_b64 v0, v[8:9], v[2:3] offset0:2 offset1:3
	ds_write_b64 v0, v[4:5] offset:32
	s_waitcnt lgkmcnt(0)
	s_barrier
	ds_read2st64_b32 v[8:9], v14 offset0:2 offset1:4
	ds_read2st64_b32 v[6:7], v14 offset0:6 offset1:8
	;; [unrolled: 1-line block ×4, first 2 shown]
	ds_read_b32 v10, v14 offset:4608
	v_mov_b32_e32 v1, s21
	v_add_co_u32_e64 v0, s[4:5], s20, v14
	v_addc_co_u32_e64 v1, s[4:5], 0, v1, s[4:5]
	s_and_saveexec_b64 s[4:5], vcc
	s_cbranch_execnz .LBB6297_35
; %bb.25:
	s_or_b64 exec, exec, s[4:5]
	s_and_saveexec_b64 s[4:5], s[0:1]
	s_cbranch_execnz .LBB6297_36
.LBB6297_26:
	s_or_b64 exec, exec, s[4:5]
	s_and_saveexec_b64 s[0:1], s[2:3]
	s_cbranch_execnz .LBB6297_37
.LBB6297_27:
	s_or_b64 exec, exec, s[0:1]
	s_and_saveexec_b64 s[0:1], s[18:19]
	s_cbranch_execnz .LBB6297_38
.LBB6297_28:
	s_or_b64 exec, exec, s[0:1]
	s_and_saveexec_b64 s[0:1], s[6:7]
	s_cbranch_execnz .LBB6297_39
.LBB6297_29:
	s_or_b64 exec, exec, s[0:1]
	s_and_saveexec_b64 s[0:1], s[8:9]
	s_cbranch_execnz .LBB6297_40
.LBB6297_30:
	s_or_b64 exec, exec, s[0:1]
	s_and_saveexec_b64 s[0:1], s[10:11]
	s_cbranch_execnz .LBB6297_41
.LBB6297_31:
	s_or_b64 exec, exec, s[0:1]
	s_and_saveexec_b64 s[0:1], s[12:13]
	s_cbranch_execnz .LBB6297_42
.LBB6297_32:
	s_or_b64 exec, exec, s[0:1]
	s_and_saveexec_b64 s[0:1], s[14:15]
	s_cbranch_execnz .LBB6297_43
.LBB6297_33:
	s_or_b64 exec, exec, s[0:1]
	s_and_saveexec_b64 s[0:1], s[16:17]
	s_cbranch_execnz .LBB6297_44
.LBB6297_34:
	s_endpgm
.LBB6297_35:
	ds_read_b32 v11, v14
	s_waitcnt lgkmcnt(0)
	global_store_dword v[0:1], v11, off
	s_or_b64 exec, exec, s[4:5]
	s_and_saveexec_b64 s[4:5], s[0:1]
	s_cbranch_execz .LBB6297_26
.LBB6297_36:
	s_waitcnt lgkmcnt(4)
	global_store_dword v[0:1], v8, off offset:512
	s_or_b64 exec, exec, s[4:5]
	s_and_saveexec_b64 s[0:1], s[2:3]
	s_cbranch_execz .LBB6297_27
.LBB6297_37:
	s_waitcnt lgkmcnt(4)
	global_store_dword v[0:1], v9, off offset:1024
	s_or_b64 exec, exec, s[0:1]
	s_and_saveexec_b64 s[0:1], s[18:19]
	s_cbranch_execz .LBB6297_28
.LBB6297_38:
	s_waitcnt lgkmcnt(3)
	global_store_dword v[0:1], v6, off offset:1536
	s_or_b64 exec, exec, s[0:1]
	s_and_saveexec_b64 s[0:1], s[6:7]
	s_cbranch_execz .LBB6297_29
.LBB6297_39:
	s_waitcnt lgkmcnt(3)
	global_store_dword v[0:1], v7, off offset:2048
	s_or_b64 exec, exec, s[0:1]
	s_and_saveexec_b64 s[0:1], s[8:9]
	s_cbranch_execz .LBB6297_30
.LBB6297_40:
	s_waitcnt lgkmcnt(2)
	global_store_dword v[0:1], v4, off offset:2560
	s_or_b64 exec, exec, s[0:1]
	s_and_saveexec_b64 s[0:1], s[10:11]
	s_cbranch_execz .LBB6297_31
.LBB6297_41:
	s_waitcnt lgkmcnt(2)
	global_store_dword v[0:1], v5, off offset:3072
	s_or_b64 exec, exec, s[0:1]
	s_and_saveexec_b64 s[0:1], s[12:13]
	s_cbranch_execz .LBB6297_32
.LBB6297_42:
	s_waitcnt lgkmcnt(1)
	global_store_dword v[0:1], v2, off offset:3584
	s_or_b64 exec, exec, s[0:1]
	s_and_saveexec_b64 s[0:1], s[14:15]
	s_cbranch_execz .LBB6297_33
.LBB6297_43:
	s_waitcnt lgkmcnt(2)
	v_add_co_u32_e32 v4, vcc, 0x1000, v0
	v_addc_co_u32_e32 v5, vcc, 0, v1, vcc
	s_waitcnt lgkmcnt(1)
	global_store_dword v[4:5], v3, off
	s_or_b64 exec, exec, s[0:1]
	s_and_saveexec_b64 s[0:1], s[16:17]
	s_cbranch_execz .LBB6297_34
.LBB6297_44:
	v_add_co_u32_e32 v0, vcc, 0x1000, v0
	v_addc_co_u32_e32 v1, vcc, 0, v1, vcc
	s_waitcnt lgkmcnt(0)
	global_store_dword v[0:1], v10, off offset:512
	s_endpgm
	.section	.rodata,"a",@progbits
	.p2align	6, 0x0
	.amdhsa_kernel _ZN7rocprim17ROCPRIM_400000_NS6detail17trampoline_kernelINS0_14default_configENS1_20scan_config_selectorIiEEZZNS1_9scan_implILNS1_25lookback_scan_determinismE0ELb1ELb1ES3_N6thrust23THRUST_200600_302600_NS6detail15normal_iteratorINS9_10device_ptrIjEEEENSB_INSC_IiEEEEiNS9_4plusIvEEiEEDaPvRmT3_T4_T5_mT6_P12ihipStream_tbENKUlT_T0_E_clISt17integral_constantIbLb0EESV_IbLb1EEEEDaSR_SS_EUlSR_E0_NS1_11comp_targetILNS1_3genE4ELNS1_11target_archE910ELNS1_3gpuE8ELNS1_3repE0EEENS1_30default_config_static_selectorELNS0_4arch9wavefront6targetE1EEEvT1_
		.amdhsa_group_segment_fixed_size 5120
		.amdhsa_private_segment_fixed_size 0
		.amdhsa_kernarg_size 32
		.amdhsa_user_sgpr_count 6
		.amdhsa_user_sgpr_private_segment_buffer 1
		.amdhsa_user_sgpr_dispatch_ptr 0
		.amdhsa_user_sgpr_queue_ptr 0
		.amdhsa_user_sgpr_kernarg_segment_ptr 1
		.amdhsa_user_sgpr_dispatch_id 0
		.amdhsa_user_sgpr_flat_scratch_init 0
		.amdhsa_user_sgpr_kernarg_preload_length 0
		.amdhsa_user_sgpr_kernarg_preload_offset 0
		.amdhsa_user_sgpr_private_segment_size 0
		.amdhsa_uses_dynamic_stack 0
		.amdhsa_system_sgpr_private_segment_wavefront_offset 0
		.amdhsa_system_sgpr_workgroup_id_x 1
		.amdhsa_system_sgpr_workgroup_id_y 0
		.amdhsa_system_sgpr_workgroup_id_z 0
		.amdhsa_system_sgpr_workgroup_info 0
		.amdhsa_system_vgpr_workitem_id 0
		.amdhsa_next_free_vgpr 18
		.amdhsa_next_free_sgpr 25
		.amdhsa_accum_offset 20
		.amdhsa_reserve_vcc 1
		.amdhsa_reserve_flat_scratch 0
		.amdhsa_float_round_mode_32 0
		.amdhsa_float_round_mode_16_64 0
		.amdhsa_float_denorm_mode_32 3
		.amdhsa_float_denorm_mode_16_64 3
		.amdhsa_dx10_clamp 1
		.amdhsa_ieee_mode 1
		.amdhsa_fp16_overflow 0
		.amdhsa_tg_split 0
		.amdhsa_exception_fp_ieee_invalid_op 0
		.amdhsa_exception_fp_denorm_src 0
		.amdhsa_exception_fp_ieee_div_zero 0
		.amdhsa_exception_fp_ieee_overflow 0
		.amdhsa_exception_fp_ieee_underflow 0
		.amdhsa_exception_fp_ieee_inexact 0
		.amdhsa_exception_int_div_zero 0
	.end_amdhsa_kernel
	.section	.text._ZN7rocprim17ROCPRIM_400000_NS6detail17trampoline_kernelINS0_14default_configENS1_20scan_config_selectorIiEEZZNS1_9scan_implILNS1_25lookback_scan_determinismE0ELb1ELb1ES3_N6thrust23THRUST_200600_302600_NS6detail15normal_iteratorINS9_10device_ptrIjEEEENSB_INSC_IiEEEEiNS9_4plusIvEEiEEDaPvRmT3_T4_T5_mT6_P12ihipStream_tbENKUlT_T0_E_clISt17integral_constantIbLb0EESV_IbLb1EEEEDaSR_SS_EUlSR_E0_NS1_11comp_targetILNS1_3genE4ELNS1_11target_archE910ELNS1_3gpuE8ELNS1_3repE0EEENS1_30default_config_static_selectorELNS0_4arch9wavefront6targetE1EEEvT1_,"axG",@progbits,_ZN7rocprim17ROCPRIM_400000_NS6detail17trampoline_kernelINS0_14default_configENS1_20scan_config_selectorIiEEZZNS1_9scan_implILNS1_25lookback_scan_determinismE0ELb1ELb1ES3_N6thrust23THRUST_200600_302600_NS6detail15normal_iteratorINS9_10device_ptrIjEEEENSB_INSC_IiEEEEiNS9_4plusIvEEiEEDaPvRmT3_T4_T5_mT6_P12ihipStream_tbENKUlT_T0_E_clISt17integral_constantIbLb0EESV_IbLb1EEEEDaSR_SS_EUlSR_E0_NS1_11comp_targetILNS1_3genE4ELNS1_11target_archE910ELNS1_3gpuE8ELNS1_3repE0EEENS1_30default_config_static_selectorELNS0_4arch9wavefront6targetE1EEEvT1_,comdat
.Lfunc_end6297:
	.size	_ZN7rocprim17ROCPRIM_400000_NS6detail17trampoline_kernelINS0_14default_configENS1_20scan_config_selectorIiEEZZNS1_9scan_implILNS1_25lookback_scan_determinismE0ELb1ELb1ES3_N6thrust23THRUST_200600_302600_NS6detail15normal_iteratorINS9_10device_ptrIjEEEENSB_INSC_IiEEEEiNS9_4plusIvEEiEEDaPvRmT3_T4_T5_mT6_P12ihipStream_tbENKUlT_T0_E_clISt17integral_constantIbLb0EESV_IbLb1EEEEDaSR_SS_EUlSR_E0_NS1_11comp_targetILNS1_3genE4ELNS1_11target_archE910ELNS1_3gpuE8ELNS1_3repE0EEENS1_30default_config_static_selectorELNS0_4arch9wavefront6targetE1EEEvT1_, .Lfunc_end6297-_ZN7rocprim17ROCPRIM_400000_NS6detail17trampoline_kernelINS0_14default_configENS1_20scan_config_selectorIiEEZZNS1_9scan_implILNS1_25lookback_scan_determinismE0ELb1ELb1ES3_N6thrust23THRUST_200600_302600_NS6detail15normal_iteratorINS9_10device_ptrIjEEEENSB_INSC_IiEEEEiNS9_4plusIvEEiEEDaPvRmT3_T4_T5_mT6_P12ihipStream_tbENKUlT_T0_E_clISt17integral_constantIbLb0EESV_IbLb1EEEEDaSR_SS_EUlSR_E0_NS1_11comp_targetILNS1_3genE4ELNS1_11target_archE910ELNS1_3gpuE8ELNS1_3repE0EEENS1_30default_config_static_selectorELNS0_4arch9wavefront6targetE1EEEvT1_
                                        ; -- End function
	.section	.AMDGPU.csdata,"",@progbits
; Kernel info:
; codeLenInByte = 1536
; NumSgprs: 29
; NumVgprs: 18
; NumAgprs: 0
; TotalNumVgprs: 18
; ScratchSize: 0
; MemoryBound: 0
; FloatMode: 240
; IeeeMode: 1
; LDSByteSize: 5120 bytes/workgroup (compile time only)
; SGPRBlocks: 3
; VGPRBlocks: 2
; NumSGPRsForWavesPerEU: 29
; NumVGPRsForWavesPerEU: 18
; AccumOffset: 20
; Occupancy: 6
; WaveLimiterHint : 0
; COMPUTE_PGM_RSRC2:SCRATCH_EN: 0
; COMPUTE_PGM_RSRC2:USER_SGPR: 6
; COMPUTE_PGM_RSRC2:TRAP_HANDLER: 0
; COMPUTE_PGM_RSRC2:TGID_X_EN: 1
; COMPUTE_PGM_RSRC2:TGID_Y_EN: 0
; COMPUTE_PGM_RSRC2:TGID_Z_EN: 0
; COMPUTE_PGM_RSRC2:TIDIG_COMP_CNT: 0
; COMPUTE_PGM_RSRC3_GFX90A:ACCUM_OFFSET: 4
; COMPUTE_PGM_RSRC3_GFX90A:TG_SPLIT: 0
	.section	.text._ZN7rocprim17ROCPRIM_400000_NS6detail17trampoline_kernelINS0_14default_configENS1_20scan_config_selectorIiEEZZNS1_9scan_implILNS1_25lookback_scan_determinismE0ELb1ELb1ES3_N6thrust23THRUST_200600_302600_NS6detail15normal_iteratorINS9_10device_ptrIjEEEENSB_INSC_IiEEEEiNS9_4plusIvEEiEEDaPvRmT3_T4_T5_mT6_P12ihipStream_tbENKUlT_T0_E_clISt17integral_constantIbLb0EESV_IbLb1EEEEDaSR_SS_EUlSR_E0_NS1_11comp_targetILNS1_3genE3ELNS1_11target_archE908ELNS1_3gpuE7ELNS1_3repE0EEENS1_30default_config_static_selectorELNS0_4arch9wavefront6targetE1EEEvT1_,"axG",@progbits,_ZN7rocprim17ROCPRIM_400000_NS6detail17trampoline_kernelINS0_14default_configENS1_20scan_config_selectorIiEEZZNS1_9scan_implILNS1_25lookback_scan_determinismE0ELb1ELb1ES3_N6thrust23THRUST_200600_302600_NS6detail15normal_iteratorINS9_10device_ptrIjEEEENSB_INSC_IiEEEEiNS9_4plusIvEEiEEDaPvRmT3_T4_T5_mT6_P12ihipStream_tbENKUlT_T0_E_clISt17integral_constantIbLb0EESV_IbLb1EEEEDaSR_SS_EUlSR_E0_NS1_11comp_targetILNS1_3genE3ELNS1_11target_archE908ELNS1_3gpuE7ELNS1_3repE0EEENS1_30default_config_static_selectorELNS0_4arch9wavefront6targetE1EEEvT1_,comdat
	.protected	_ZN7rocprim17ROCPRIM_400000_NS6detail17trampoline_kernelINS0_14default_configENS1_20scan_config_selectorIiEEZZNS1_9scan_implILNS1_25lookback_scan_determinismE0ELb1ELb1ES3_N6thrust23THRUST_200600_302600_NS6detail15normal_iteratorINS9_10device_ptrIjEEEENSB_INSC_IiEEEEiNS9_4plusIvEEiEEDaPvRmT3_T4_T5_mT6_P12ihipStream_tbENKUlT_T0_E_clISt17integral_constantIbLb0EESV_IbLb1EEEEDaSR_SS_EUlSR_E0_NS1_11comp_targetILNS1_3genE3ELNS1_11target_archE908ELNS1_3gpuE7ELNS1_3repE0EEENS1_30default_config_static_selectorELNS0_4arch9wavefront6targetE1EEEvT1_ ; -- Begin function _ZN7rocprim17ROCPRIM_400000_NS6detail17trampoline_kernelINS0_14default_configENS1_20scan_config_selectorIiEEZZNS1_9scan_implILNS1_25lookback_scan_determinismE0ELb1ELb1ES3_N6thrust23THRUST_200600_302600_NS6detail15normal_iteratorINS9_10device_ptrIjEEEENSB_INSC_IiEEEEiNS9_4plusIvEEiEEDaPvRmT3_T4_T5_mT6_P12ihipStream_tbENKUlT_T0_E_clISt17integral_constantIbLb0EESV_IbLb1EEEEDaSR_SS_EUlSR_E0_NS1_11comp_targetILNS1_3genE3ELNS1_11target_archE908ELNS1_3gpuE7ELNS1_3repE0EEENS1_30default_config_static_selectorELNS0_4arch9wavefront6targetE1EEEvT1_
	.globl	_ZN7rocprim17ROCPRIM_400000_NS6detail17trampoline_kernelINS0_14default_configENS1_20scan_config_selectorIiEEZZNS1_9scan_implILNS1_25lookback_scan_determinismE0ELb1ELb1ES3_N6thrust23THRUST_200600_302600_NS6detail15normal_iteratorINS9_10device_ptrIjEEEENSB_INSC_IiEEEEiNS9_4plusIvEEiEEDaPvRmT3_T4_T5_mT6_P12ihipStream_tbENKUlT_T0_E_clISt17integral_constantIbLb0EESV_IbLb1EEEEDaSR_SS_EUlSR_E0_NS1_11comp_targetILNS1_3genE3ELNS1_11target_archE908ELNS1_3gpuE7ELNS1_3repE0EEENS1_30default_config_static_selectorELNS0_4arch9wavefront6targetE1EEEvT1_
	.p2align	8
	.type	_ZN7rocprim17ROCPRIM_400000_NS6detail17trampoline_kernelINS0_14default_configENS1_20scan_config_selectorIiEEZZNS1_9scan_implILNS1_25lookback_scan_determinismE0ELb1ELb1ES3_N6thrust23THRUST_200600_302600_NS6detail15normal_iteratorINS9_10device_ptrIjEEEENSB_INSC_IiEEEEiNS9_4plusIvEEiEEDaPvRmT3_T4_T5_mT6_P12ihipStream_tbENKUlT_T0_E_clISt17integral_constantIbLb0EESV_IbLb1EEEEDaSR_SS_EUlSR_E0_NS1_11comp_targetILNS1_3genE3ELNS1_11target_archE908ELNS1_3gpuE7ELNS1_3repE0EEENS1_30default_config_static_selectorELNS0_4arch9wavefront6targetE1EEEvT1_,@function
_ZN7rocprim17ROCPRIM_400000_NS6detail17trampoline_kernelINS0_14default_configENS1_20scan_config_selectorIiEEZZNS1_9scan_implILNS1_25lookback_scan_determinismE0ELb1ELb1ES3_N6thrust23THRUST_200600_302600_NS6detail15normal_iteratorINS9_10device_ptrIjEEEENSB_INSC_IiEEEEiNS9_4plusIvEEiEEDaPvRmT3_T4_T5_mT6_P12ihipStream_tbENKUlT_T0_E_clISt17integral_constantIbLb0EESV_IbLb1EEEEDaSR_SS_EUlSR_E0_NS1_11comp_targetILNS1_3genE3ELNS1_11target_archE908ELNS1_3gpuE7ELNS1_3repE0EEENS1_30default_config_static_selectorELNS0_4arch9wavefront6targetE1EEEvT1_: ; @_ZN7rocprim17ROCPRIM_400000_NS6detail17trampoline_kernelINS0_14default_configENS1_20scan_config_selectorIiEEZZNS1_9scan_implILNS1_25lookback_scan_determinismE0ELb1ELb1ES3_N6thrust23THRUST_200600_302600_NS6detail15normal_iteratorINS9_10device_ptrIjEEEENSB_INSC_IiEEEEiNS9_4plusIvEEiEEDaPvRmT3_T4_T5_mT6_P12ihipStream_tbENKUlT_T0_E_clISt17integral_constantIbLb0EESV_IbLb1EEEEDaSR_SS_EUlSR_E0_NS1_11comp_targetILNS1_3genE3ELNS1_11target_archE908ELNS1_3gpuE7ELNS1_3repE0EEENS1_30default_config_static_selectorELNS0_4arch9wavefront6targetE1EEEvT1_
; %bb.0:
	.section	.rodata,"a",@progbits
	.p2align	6, 0x0
	.amdhsa_kernel _ZN7rocprim17ROCPRIM_400000_NS6detail17trampoline_kernelINS0_14default_configENS1_20scan_config_selectorIiEEZZNS1_9scan_implILNS1_25lookback_scan_determinismE0ELb1ELb1ES3_N6thrust23THRUST_200600_302600_NS6detail15normal_iteratorINS9_10device_ptrIjEEEENSB_INSC_IiEEEEiNS9_4plusIvEEiEEDaPvRmT3_T4_T5_mT6_P12ihipStream_tbENKUlT_T0_E_clISt17integral_constantIbLb0EESV_IbLb1EEEEDaSR_SS_EUlSR_E0_NS1_11comp_targetILNS1_3genE3ELNS1_11target_archE908ELNS1_3gpuE7ELNS1_3repE0EEENS1_30default_config_static_selectorELNS0_4arch9wavefront6targetE1EEEvT1_
		.amdhsa_group_segment_fixed_size 0
		.amdhsa_private_segment_fixed_size 0
		.amdhsa_kernarg_size 32
		.amdhsa_user_sgpr_count 6
		.amdhsa_user_sgpr_private_segment_buffer 1
		.amdhsa_user_sgpr_dispatch_ptr 0
		.amdhsa_user_sgpr_queue_ptr 0
		.amdhsa_user_sgpr_kernarg_segment_ptr 1
		.amdhsa_user_sgpr_dispatch_id 0
		.amdhsa_user_sgpr_flat_scratch_init 0
		.amdhsa_user_sgpr_kernarg_preload_length 0
		.amdhsa_user_sgpr_kernarg_preload_offset 0
		.amdhsa_user_sgpr_private_segment_size 0
		.amdhsa_uses_dynamic_stack 0
		.amdhsa_system_sgpr_private_segment_wavefront_offset 0
		.amdhsa_system_sgpr_workgroup_id_x 1
		.amdhsa_system_sgpr_workgroup_id_y 0
		.amdhsa_system_sgpr_workgroup_id_z 0
		.amdhsa_system_sgpr_workgroup_info 0
		.amdhsa_system_vgpr_workitem_id 0
		.amdhsa_next_free_vgpr 1
		.amdhsa_next_free_sgpr 0
		.amdhsa_accum_offset 4
		.amdhsa_reserve_vcc 0
		.amdhsa_reserve_flat_scratch 0
		.amdhsa_float_round_mode_32 0
		.amdhsa_float_round_mode_16_64 0
		.amdhsa_float_denorm_mode_32 3
		.amdhsa_float_denorm_mode_16_64 3
		.amdhsa_dx10_clamp 1
		.amdhsa_ieee_mode 1
		.amdhsa_fp16_overflow 0
		.amdhsa_tg_split 0
		.amdhsa_exception_fp_ieee_invalid_op 0
		.amdhsa_exception_fp_denorm_src 0
		.amdhsa_exception_fp_ieee_div_zero 0
		.amdhsa_exception_fp_ieee_overflow 0
		.amdhsa_exception_fp_ieee_underflow 0
		.amdhsa_exception_fp_ieee_inexact 0
		.amdhsa_exception_int_div_zero 0
	.end_amdhsa_kernel
	.section	.text._ZN7rocprim17ROCPRIM_400000_NS6detail17trampoline_kernelINS0_14default_configENS1_20scan_config_selectorIiEEZZNS1_9scan_implILNS1_25lookback_scan_determinismE0ELb1ELb1ES3_N6thrust23THRUST_200600_302600_NS6detail15normal_iteratorINS9_10device_ptrIjEEEENSB_INSC_IiEEEEiNS9_4plusIvEEiEEDaPvRmT3_T4_T5_mT6_P12ihipStream_tbENKUlT_T0_E_clISt17integral_constantIbLb0EESV_IbLb1EEEEDaSR_SS_EUlSR_E0_NS1_11comp_targetILNS1_3genE3ELNS1_11target_archE908ELNS1_3gpuE7ELNS1_3repE0EEENS1_30default_config_static_selectorELNS0_4arch9wavefront6targetE1EEEvT1_,"axG",@progbits,_ZN7rocprim17ROCPRIM_400000_NS6detail17trampoline_kernelINS0_14default_configENS1_20scan_config_selectorIiEEZZNS1_9scan_implILNS1_25lookback_scan_determinismE0ELb1ELb1ES3_N6thrust23THRUST_200600_302600_NS6detail15normal_iteratorINS9_10device_ptrIjEEEENSB_INSC_IiEEEEiNS9_4plusIvEEiEEDaPvRmT3_T4_T5_mT6_P12ihipStream_tbENKUlT_T0_E_clISt17integral_constantIbLb0EESV_IbLb1EEEEDaSR_SS_EUlSR_E0_NS1_11comp_targetILNS1_3genE3ELNS1_11target_archE908ELNS1_3gpuE7ELNS1_3repE0EEENS1_30default_config_static_selectorELNS0_4arch9wavefront6targetE1EEEvT1_,comdat
.Lfunc_end6298:
	.size	_ZN7rocprim17ROCPRIM_400000_NS6detail17trampoline_kernelINS0_14default_configENS1_20scan_config_selectorIiEEZZNS1_9scan_implILNS1_25lookback_scan_determinismE0ELb1ELb1ES3_N6thrust23THRUST_200600_302600_NS6detail15normal_iteratorINS9_10device_ptrIjEEEENSB_INSC_IiEEEEiNS9_4plusIvEEiEEDaPvRmT3_T4_T5_mT6_P12ihipStream_tbENKUlT_T0_E_clISt17integral_constantIbLb0EESV_IbLb1EEEEDaSR_SS_EUlSR_E0_NS1_11comp_targetILNS1_3genE3ELNS1_11target_archE908ELNS1_3gpuE7ELNS1_3repE0EEENS1_30default_config_static_selectorELNS0_4arch9wavefront6targetE1EEEvT1_, .Lfunc_end6298-_ZN7rocprim17ROCPRIM_400000_NS6detail17trampoline_kernelINS0_14default_configENS1_20scan_config_selectorIiEEZZNS1_9scan_implILNS1_25lookback_scan_determinismE0ELb1ELb1ES3_N6thrust23THRUST_200600_302600_NS6detail15normal_iteratorINS9_10device_ptrIjEEEENSB_INSC_IiEEEEiNS9_4plusIvEEiEEDaPvRmT3_T4_T5_mT6_P12ihipStream_tbENKUlT_T0_E_clISt17integral_constantIbLb0EESV_IbLb1EEEEDaSR_SS_EUlSR_E0_NS1_11comp_targetILNS1_3genE3ELNS1_11target_archE908ELNS1_3gpuE7ELNS1_3repE0EEENS1_30default_config_static_selectorELNS0_4arch9wavefront6targetE1EEEvT1_
                                        ; -- End function
	.section	.AMDGPU.csdata,"",@progbits
; Kernel info:
; codeLenInByte = 0
; NumSgprs: 4
; NumVgprs: 0
; NumAgprs: 0
; TotalNumVgprs: 0
; ScratchSize: 0
; MemoryBound: 0
; FloatMode: 240
; IeeeMode: 1
; LDSByteSize: 0 bytes/workgroup (compile time only)
; SGPRBlocks: 0
; VGPRBlocks: 0
; NumSGPRsForWavesPerEU: 4
; NumVGPRsForWavesPerEU: 1
; AccumOffset: 4
; Occupancy: 8
; WaveLimiterHint : 0
; COMPUTE_PGM_RSRC2:SCRATCH_EN: 0
; COMPUTE_PGM_RSRC2:USER_SGPR: 6
; COMPUTE_PGM_RSRC2:TRAP_HANDLER: 0
; COMPUTE_PGM_RSRC2:TGID_X_EN: 1
; COMPUTE_PGM_RSRC2:TGID_Y_EN: 0
; COMPUTE_PGM_RSRC2:TGID_Z_EN: 0
; COMPUTE_PGM_RSRC2:TIDIG_COMP_CNT: 0
; COMPUTE_PGM_RSRC3_GFX90A:ACCUM_OFFSET: 0
; COMPUTE_PGM_RSRC3_GFX90A:TG_SPLIT: 0
	.section	.text._ZN7rocprim17ROCPRIM_400000_NS6detail17trampoline_kernelINS0_14default_configENS1_20scan_config_selectorIiEEZZNS1_9scan_implILNS1_25lookback_scan_determinismE0ELb1ELb1ES3_N6thrust23THRUST_200600_302600_NS6detail15normal_iteratorINS9_10device_ptrIjEEEENSB_INSC_IiEEEEiNS9_4plusIvEEiEEDaPvRmT3_T4_T5_mT6_P12ihipStream_tbENKUlT_T0_E_clISt17integral_constantIbLb0EESV_IbLb1EEEEDaSR_SS_EUlSR_E0_NS1_11comp_targetILNS1_3genE2ELNS1_11target_archE906ELNS1_3gpuE6ELNS1_3repE0EEENS1_30default_config_static_selectorELNS0_4arch9wavefront6targetE1EEEvT1_,"axG",@progbits,_ZN7rocprim17ROCPRIM_400000_NS6detail17trampoline_kernelINS0_14default_configENS1_20scan_config_selectorIiEEZZNS1_9scan_implILNS1_25lookback_scan_determinismE0ELb1ELb1ES3_N6thrust23THRUST_200600_302600_NS6detail15normal_iteratorINS9_10device_ptrIjEEEENSB_INSC_IiEEEEiNS9_4plusIvEEiEEDaPvRmT3_T4_T5_mT6_P12ihipStream_tbENKUlT_T0_E_clISt17integral_constantIbLb0EESV_IbLb1EEEEDaSR_SS_EUlSR_E0_NS1_11comp_targetILNS1_3genE2ELNS1_11target_archE906ELNS1_3gpuE6ELNS1_3repE0EEENS1_30default_config_static_selectorELNS0_4arch9wavefront6targetE1EEEvT1_,comdat
	.protected	_ZN7rocprim17ROCPRIM_400000_NS6detail17trampoline_kernelINS0_14default_configENS1_20scan_config_selectorIiEEZZNS1_9scan_implILNS1_25lookback_scan_determinismE0ELb1ELb1ES3_N6thrust23THRUST_200600_302600_NS6detail15normal_iteratorINS9_10device_ptrIjEEEENSB_INSC_IiEEEEiNS9_4plusIvEEiEEDaPvRmT3_T4_T5_mT6_P12ihipStream_tbENKUlT_T0_E_clISt17integral_constantIbLb0EESV_IbLb1EEEEDaSR_SS_EUlSR_E0_NS1_11comp_targetILNS1_3genE2ELNS1_11target_archE906ELNS1_3gpuE6ELNS1_3repE0EEENS1_30default_config_static_selectorELNS0_4arch9wavefront6targetE1EEEvT1_ ; -- Begin function _ZN7rocprim17ROCPRIM_400000_NS6detail17trampoline_kernelINS0_14default_configENS1_20scan_config_selectorIiEEZZNS1_9scan_implILNS1_25lookback_scan_determinismE0ELb1ELb1ES3_N6thrust23THRUST_200600_302600_NS6detail15normal_iteratorINS9_10device_ptrIjEEEENSB_INSC_IiEEEEiNS9_4plusIvEEiEEDaPvRmT3_T4_T5_mT6_P12ihipStream_tbENKUlT_T0_E_clISt17integral_constantIbLb0EESV_IbLb1EEEEDaSR_SS_EUlSR_E0_NS1_11comp_targetILNS1_3genE2ELNS1_11target_archE906ELNS1_3gpuE6ELNS1_3repE0EEENS1_30default_config_static_selectorELNS0_4arch9wavefront6targetE1EEEvT1_
	.globl	_ZN7rocprim17ROCPRIM_400000_NS6detail17trampoline_kernelINS0_14default_configENS1_20scan_config_selectorIiEEZZNS1_9scan_implILNS1_25lookback_scan_determinismE0ELb1ELb1ES3_N6thrust23THRUST_200600_302600_NS6detail15normal_iteratorINS9_10device_ptrIjEEEENSB_INSC_IiEEEEiNS9_4plusIvEEiEEDaPvRmT3_T4_T5_mT6_P12ihipStream_tbENKUlT_T0_E_clISt17integral_constantIbLb0EESV_IbLb1EEEEDaSR_SS_EUlSR_E0_NS1_11comp_targetILNS1_3genE2ELNS1_11target_archE906ELNS1_3gpuE6ELNS1_3repE0EEENS1_30default_config_static_selectorELNS0_4arch9wavefront6targetE1EEEvT1_
	.p2align	8
	.type	_ZN7rocprim17ROCPRIM_400000_NS6detail17trampoline_kernelINS0_14default_configENS1_20scan_config_selectorIiEEZZNS1_9scan_implILNS1_25lookback_scan_determinismE0ELb1ELb1ES3_N6thrust23THRUST_200600_302600_NS6detail15normal_iteratorINS9_10device_ptrIjEEEENSB_INSC_IiEEEEiNS9_4plusIvEEiEEDaPvRmT3_T4_T5_mT6_P12ihipStream_tbENKUlT_T0_E_clISt17integral_constantIbLb0EESV_IbLb1EEEEDaSR_SS_EUlSR_E0_NS1_11comp_targetILNS1_3genE2ELNS1_11target_archE906ELNS1_3gpuE6ELNS1_3repE0EEENS1_30default_config_static_selectorELNS0_4arch9wavefront6targetE1EEEvT1_,@function
_ZN7rocprim17ROCPRIM_400000_NS6detail17trampoline_kernelINS0_14default_configENS1_20scan_config_selectorIiEEZZNS1_9scan_implILNS1_25lookback_scan_determinismE0ELb1ELb1ES3_N6thrust23THRUST_200600_302600_NS6detail15normal_iteratorINS9_10device_ptrIjEEEENSB_INSC_IiEEEEiNS9_4plusIvEEiEEDaPvRmT3_T4_T5_mT6_P12ihipStream_tbENKUlT_T0_E_clISt17integral_constantIbLb0EESV_IbLb1EEEEDaSR_SS_EUlSR_E0_NS1_11comp_targetILNS1_3genE2ELNS1_11target_archE906ELNS1_3gpuE6ELNS1_3repE0EEENS1_30default_config_static_selectorELNS0_4arch9wavefront6targetE1EEEvT1_: ; @_ZN7rocprim17ROCPRIM_400000_NS6detail17trampoline_kernelINS0_14default_configENS1_20scan_config_selectorIiEEZZNS1_9scan_implILNS1_25lookback_scan_determinismE0ELb1ELb1ES3_N6thrust23THRUST_200600_302600_NS6detail15normal_iteratorINS9_10device_ptrIjEEEENSB_INSC_IiEEEEiNS9_4plusIvEEiEEDaPvRmT3_T4_T5_mT6_P12ihipStream_tbENKUlT_T0_E_clISt17integral_constantIbLb0EESV_IbLb1EEEEDaSR_SS_EUlSR_E0_NS1_11comp_targetILNS1_3genE2ELNS1_11target_archE906ELNS1_3gpuE6ELNS1_3repE0EEENS1_30default_config_static_selectorELNS0_4arch9wavefront6targetE1EEEvT1_
; %bb.0:
	.section	.rodata,"a",@progbits
	.p2align	6, 0x0
	.amdhsa_kernel _ZN7rocprim17ROCPRIM_400000_NS6detail17trampoline_kernelINS0_14default_configENS1_20scan_config_selectorIiEEZZNS1_9scan_implILNS1_25lookback_scan_determinismE0ELb1ELb1ES3_N6thrust23THRUST_200600_302600_NS6detail15normal_iteratorINS9_10device_ptrIjEEEENSB_INSC_IiEEEEiNS9_4plusIvEEiEEDaPvRmT3_T4_T5_mT6_P12ihipStream_tbENKUlT_T0_E_clISt17integral_constantIbLb0EESV_IbLb1EEEEDaSR_SS_EUlSR_E0_NS1_11comp_targetILNS1_3genE2ELNS1_11target_archE906ELNS1_3gpuE6ELNS1_3repE0EEENS1_30default_config_static_selectorELNS0_4arch9wavefront6targetE1EEEvT1_
		.amdhsa_group_segment_fixed_size 0
		.amdhsa_private_segment_fixed_size 0
		.amdhsa_kernarg_size 32
		.amdhsa_user_sgpr_count 6
		.amdhsa_user_sgpr_private_segment_buffer 1
		.amdhsa_user_sgpr_dispatch_ptr 0
		.amdhsa_user_sgpr_queue_ptr 0
		.amdhsa_user_sgpr_kernarg_segment_ptr 1
		.amdhsa_user_sgpr_dispatch_id 0
		.amdhsa_user_sgpr_flat_scratch_init 0
		.amdhsa_user_sgpr_kernarg_preload_length 0
		.amdhsa_user_sgpr_kernarg_preload_offset 0
		.amdhsa_user_sgpr_private_segment_size 0
		.amdhsa_uses_dynamic_stack 0
		.amdhsa_system_sgpr_private_segment_wavefront_offset 0
		.amdhsa_system_sgpr_workgroup_id_x 1
		.amdhsa_system_sgpr_workgroup_id_y 0
		.amdhsa_system_sgpr_workgroup_id_z 0
		.amdhsa_system_sgpr_workgroup_info 0
		.amdhsa_system_vgpr_workitem_id 0
		.amdhsa_next_free_vgpr 1
		.amdhsa_next_free_sgpr 0
		.amdhsa_accum_offset 4
		.amdhsa_reserve_vcc 0
		.amdhsa_reserve_flat_scratch 0
		.amdhsa_float_round_mode_32 0
		.amdhsa_float_round_mode_16_64 0
		.amdhsa_float_denorm_mode_32 3
		.amdhsa_float_denorm_mode_16_64 3
		.amdhsa_dx10_clamp 1
		.amdhsa_ieee_mode 1
		.amdhsa_fp16_overflow 0
		.amdhsa_tg_split 0
		.amdhsa_exception_fp_ieee_invalid_op 0
		.amdhsa_exception_fp_denorm_src 0
		.amdhsa_exception_fp_ieee_div_zero 0
		.amdhsa_exception_fp_ieee_overflow 0
		.amdhsa_exception_fp_ieee_underflow 0
		.amdhsa_exception_fp_ieee_inexact 0
		.amdhsa_exception_int_div_zero 0
	.end_amdhsa_kernel
	.section	.text._ZN7rocprim17ROCPRIM_400000_NS6detail17trampoline_kernelINS0_14default_configENS1_20scan_config_selectorIiEEZZNS1_9scan_implILNS1_25lookback_scan_determinismE0ELb1ELb1ES3_N6thrust23THRUST_200600_302600_NS6detail15normal_iteratorINS9_10device_ptrIjEEEENSB_INSC_IiEEEEiNS9_4plusIvEEiEEDaPvRmT3_T4_T5_mT6_P12ihipStream_tbENKUlT_T0_E_clISt17integral_constantIbLb0EESV_IbLb1EEEEDaSR_SS_EUlSR_E0_NS1_11comp_targetILNS1_3genE2ELNS1_11target_archE906ELNS1_3gpuE6ELNS1_3repE0EEENS1_30default_config_static_selectorELNS0_4arch9wavefront6targetE1EEEvT1_,"axG",@progbits,_ZN7rocprim17ROCPRIM_400000_NS6detail17trampoline_kernelINS0_14default_configENS1_20scan_config_selectorIiEEZZNS1_9scan_implILNS1_25lookback_scan_determinismE0ELb1ELb1ES3_N6thrust23THRUST_200600_302600_NS6detail15normal_iteratorINS9_10device_ptrIjEEEENSB_INSC_IiEEEEiNS9_4plusIvEEiEEDaPvRmT3_T4_T5_mT6_P12ihipStream_tbENKUlT_T0_E_clISt17integral_constantIbLb0EESV_IbLb1EEEEDaSR_SS_EUlSR_E0_NS1_11comp_targetILNS1_3genE2ELNS1_11target_archE906ELNS1_3gpuE6ELNS1_3repE0EEENS1_30default_config_static_selectorELNS0_4arch9wavefront6targetE1EEEvT1_,comdat
.Lfunc_end6299:
	.size	_ZN7rocprim17ROCPRIM_400000_NS6detail17trampoline_kernelINS0_14default_configENS1_20scan_config_selectorIiEEZZNS1_9scan_implILNS1_25lookback_scan_determinismE0ELb1ELb1ES3_N6thrust23THRUST_200600_302600_NS6detail15normal_iteratorINS9_10device_ptrIjEEEENSB_INSC_IiEEEEiNS9_4plusIvEEiEEDaPvRmT3_T4_T5_mT6_P12ihipStream_tbENKUlT_T0_E_clISt17integral_constantIbLb0EESV_IbLb1EEEEDaSR_SS_EUlSR_E0_NS1_11comp_targetILNS1_3genE2ELNS1_11target_archE906ELNS1_3gpuE6ELNS1_3repE0EEENS1_30default_config_static_selectorELNS0_4arch9wavefront6targetE1EEEvT1_, .Lfunc_end6299-_ZN7rocprim17ROCPRIM_400000_NS6detail17trampoline_kernelINS0_14default_configENS1_20scan_config_selectorIiEEZZNS1_9scan_implILNS1_25lookback_scan_determinismE0ELb1ELb1ES3_N6thrust23THRUST_200600_302600_NS6detail15normal_iteratorINS9_10device_ptrIjEEEENSB_INSC_IiEEEEiNS9_4plusIvEEiEEDaPvRmT3_T4_T5_mT6_P12ihipStream_tbENKUlT_T0_E_clISt17integral_constantIbLb0EESV_IbLb1EEEEDaSR_SS_EUlSR_E0_NS1_11comp_targetILNS1_3genE2ELNS1_11target_archE906ELNS1_3gpuE6ELNS1_3repE0EEENS1_30default_config_static_selectorELNS0_4arch9wavefront6targetE1EEEvT1_
                                        ; -- End function
	.section	.AMDGPU.csdata,"",@progbits
; Kernel info:
; codeLenInByte = 0
; NumSgprs: 4
; NumVgprs: 0
; NumAgprs: 0
; TotalNumVgprs: 0
; ScratchSize: 0
; MemoryBound: 0
; FloatMode: 240
; IeeeMode: 1
; LDSByteSize: 0 bytes/workgroup (compile time only)
; SGPRBlocks: 0
; VGPRBlocks: 0
; NumSGPRsForWavesPerEU: 4
; NumVGPRsForWavesPerEU: 1
; AccumOffset: 4
; Occupancy: 8
; WaveLimiterHint : 0
; COMPUTE_PGM_RSRC2:SCRATCH_EN: 0
; COMPUTE_PGM_RSRC2:USER_SGPR: 6
; COMPUTE_PGM_RSRC2:TRAP_HANDLER: 0
; COMPUTE_PGM_RSRC2:TGID_X_EN: 1
; COMPUTE_PGM_RSRC2:TGID_Y_EN: 0
; COMPUTE_PGM_RSRC2:TGID_Z_EN: 0
; COMPUTE_PGM_RSRC2:TIDIG_COMP_CNT: 0
; COMPUTE_PGM_RSRC3_GFX90A:ACCUM_OFFSET: 0
; COMPUTE_PGM_RSRC3_GFX90A:TG_SPLIT: 0
	.section	.text._ZN7rocprim17ROCPRIM_400000_NS6detail17trampoline_kernelINS0_14default_configENS1_20scan_config_selectorIiEEZZNS1_9scan_implILNS1_25lookback_scan_determinismE0ELb1ELb1ES3_N6thrust23THRUST_200600_302600_NS6detail15normal_iteratorINS9_10device_ptrIjEEEENSB_INSC_IiEEEEiNS9_4plusIvEEiEEDaPvRmT3_T4_T5_mT6_P12ihipStream_tbENKUlT_T0_E_clISt17integral_constantIbLb0EESV_IbLb1EEEEDaSR_SS_EUlSR_E0_NS1_11comp_targetILNS1_3genE10ELNS1_11target_archE1201ELNS1_3gpuE5ELNS1_3repE0EEENS1_30default_config_static_selectorELNS0_4arch9wavefront6targetE1EEEvT1_,"axG",@progbits,_ZN7rocprim17ROCPRIM_400000_NS6detail17trampoline_kernelINS0_14default_configENS1_20scan_config_selectorIiEEZZNS1_9scan_implILNS1_25lookback_scan_determinismE0ELb1ELb1ES3_N6thrust23THRUST_200600_302600_NS6detail15normal_iteratorINS9_10device_ptrIjEEEENSB_INSC_IiEEEEiNS9_4plusIvEEiEEDaPvRmT3_T4_T5_mT6_P12ihipStream_tbENKUlT_T0_E_clISt17integral_constantIbLb0EESV_IbLb1EEEEDaSR_SS_EUlSR_E0_NS1_11comp_targetILNS1_3genE10ELNS1_11target_archE1201ELNS1_3gpuE5ELNS1_3repE0EEENS1_30default_config_static_selectorELNS0_4arch9wavefront6targetE1EEEvT1_,comdat
	.protected	_ZN7rocprim17ROCPRIM_400000_NS6detail17trampoline_kernelINS0_14default_configENS1_20scan_config_selectorIiEEZZNS1_9scan_implILNS1_25lookback_scan_determinismE0ELb1ELb1ES3_N6thrust23THRUST_200600_302600_NS6detail15normal_iteratorINS9_10device_ptrIjEEEENSB_INSC_IiEEEEiNS9_4plusIvEEiEEDaPvRmT3_T4_T5_mT6_P12ihipStream_tbENKUlT_T0_E_clISt17integral_constantIbLb0EESV_IbLb1EEEEDaSR_SS_EUlSR_E0_NS1_11comp_targetILNS1_3genE10ELNS1_11target_archE1201ELNS1_3gpuE5ELNS1_3repE0EEENS1_30default_config_static_selectorELNS0_4arch9wavefront6targetE1EEEvT1_ ; -- Begin function _ZN7rocprim17ROCPRIM_400000_NS6detail17trampoline_kernelINS0_14default_configENS1_20scan_config_selectorIiEEZZNS1_9scan_implILNS1_25lookback_scan_determinismE0ELb1ELb1ES3_N6thrust23THRUST_200600_302600_NS6detail15normal_iteratorINS9_10device_ptrIjEEEENSB_INSC_IiEEEEiNS9_4plusIvEEiEEDaPvRmT3_T4_T5_mT6_P12ihipStream_tbENKUlT_T0_E_clISt17integral_constantIbLb0EESV_IbLb1EEEEDaSR_SS_EUlSR_E0_NS1_11comp_targetILNS1_3genE10ELNS1_11target_archE1201ELNS1_3gpuE5ELNS1_3repE0EEENS1_30default_config_static_selectorELNS0_4arch9wavefront6targetE1EEEvT1_
	.globl	_ZN7rocprim17ROCPRIM_400000_NS6detail17trampoline_kernelINS0_14default_configENS1_20scan_config_selectorIiEEZZNS1_9scan_implILNS1_25lookback_scan_determinismE0ELb1ELb1ES3_N6thrust23THRUST_200600_302600_NS6detail15normal_iteratorINS9_10device_ptrIjEEEENSB_INSC_IiEEEEiNS9_4plusIvEEiEEDaPvRmT3_T4_T5_mT6_P12ihipStream_tbENKUlT_T0_E_clISt17integral_constantIbLb0EESV_IbLb1EEEEDaSR_SS_EUlSR_E0_NS1_11comp_targetILNS1_3genE10ELNS1_11target_archE1201ELNS1_3gpuE5ELNS1_3repE0EEENS1_30default_config_static_selectorELNS0_4arch9wavefront6targetE1EEEvT1_
	.p2align	8
	.type	_ZN7rocprim17ROCPRIM_400000_NS6detail17trampoline_kernelINS0_14default_configENS1_20scan_config_selectorIiEEZZNS1_9scan_implILNS1_25lookback_scan_determinismE0ELb1ELb1ES3_N6thrust23THRUST_200600_302600_NS6detail15normal_iteratorINS9_10device_ptrIjEEEENSB_INSC_IiEEEEiNS9_4plusIvEEiEEDaPvRmT3_T4_T5_mT6_P12ihipStream_tbENKUlT_T0_E_clISt17integral_constantIbLb0EESV_IbLb1EEEEDaSR_SS_EUlSR_E0_NS1_11comp_targetILNS1_3genE10ELNS1_11target_archE1201ELNS1_3gpuE5ELNS1_3repE0EEENS1_30default_config_static_selectorELNS0_4arch9wavefront6targetE1EEEvT1_,@function
_ZN7rocprim17ROCPRIM_400000_NS6detail17trampoline_kernelINS0_14default_configENS1_20scan_config_selectorIiEEZZNS1_9scan_implILNS1_25lookback_scan_determinismE0ELb1ELb1ES3_N6thrust23THRUST_200600_302600_NS6detail15normal_iteratorINS9_10device_ptrIjEEEENSB_INSC_IiEEEEiNS9_4plusIvEEiEEDaPvRmT3_T4_T5_mT6_P12ihipStream_tbENKUlT_T0_E_clISt17integral_constantIbLb0EESV_IbLb1EEEEDaSR_SS_EUlSR_E0_NS1_11comp_targetILNS1_3genE10ELNS1_11target_archE1201ELNS1_3gpuE5ELNS1_3repE0EEENS1_30default_config_static_selectorELNS0_4arch9wavefront6targetE1EEEvT1_: ; @_ZN7rocprim17ROCPRIM_400000_NS6detail17trampoline_kernelINS0_14default_configENS1_20scan_config_selectorIiEEZZNS1_9scan_implILNS1_25lookback_scan_determinismE0ELb1ELb1ES3_N6thrust23THRUST_200600_302600_NS6detail15normal_iteratorINS9_10device_ptrIjEEEENSB_INSC_IiEEEEiNS9_4plusIvEEiEEDaPvRmT3_T4_T5_mT6_P12ihipStream_tbENKUlT_T0_E_clISt17integral_constantIbLb0EESV_IbLb1EEEEDaSR_SS_EUlSR_E0_NS1_11comp_targetILNS1_3genE10ELNS1_11target_archE1201ELNS1_3gpuE5ELNS1_3repE0EEENS1_30default_config_static_selectorELNS0_4arch9wavefront6targetE1EEEvT1_
; %bb.0:
	.section	.rodata,"a",@progbits
	.p2align	6, 0x0
	.amdhsa_kernel _ZN7rocprim17ROCPRIM_400000_NS6detail17trampoline_kernelINS0_14default_configENS1_20scan_config_selectorIiEEZZNS1_9scan_implILNS1_25lookback_scan_determinismE0ELb1ELb1ES3_N6thrust23THRUST_200600_302600_NS6detail15normal_iteratorINS9_10device_ptrIjEEEENSB_INSC_IiEEEEiNS9_4plusIvEEiEEDaPvRmT3_T4_T5_mT6_P12ihipStream_tbENKUlT_T0_E_clISt17integral_constantIbLb0EESV_IbLb1EEEEDaSR_SS_EUlSR_E0_NS1_11comp_targetILNS1_3genE10ELNS1_11target_archE1201ELNS1_3gpuE5ELNS1_3repE0EEENS1_30default_config_static_selectorELNS0_4arch9wavefront6targetE1EEEvT1_
		.amdhsa_group_segment_fixed_size 0
		.amdhsa_private_segment_fixed_size 0
		.amdhsa_kernarg_size 32
		.amdhsa_user_sgpr_count 6
		.amdhsa_user_sgpr_private_segment_buffer 1
		.amdhsa_user_sgpr_dispatch_ptr 0
		.amdhsa_user_sgpr_queue_ptr 0
		.amdhsa_user_sgpr_kernarg_segment_ptr 1
		.amdhsa_user_sgpr_dispatch_id 0
		.amdhsa_user_sgpr_flat_scratch_init 0
		.amdhsa_user_sgpr_kernarg_preload_length 0
		.amdhsa_user_sgpr_kernarg_preload_offset 0
		.amdhsa_user_sgpr_private_segment_size 0
		.amdhsa_uses_dynamic_stack 0
		.amdhsa_system_sgpr_private_segment_wavefront_offset 0
		.amdhsa_system_sgpr_workgroup_id_x 1
		.amdhsa_system_sgpr_workgroup_id_y 0
		.amdhsa_system_sgpr_workgroup_id_z 0
		.amdhsa_system_sgpr_workgroup_info 0
		.amdhsa_system_vgpr_workitem_id 0
		.amdhsa_next_free_vgpr 1
		.amdhsa_next_free_sgpr 0
		.amdhsa_accum_offset 4
		.amdhsa_reserve_vcc 0
		.amdhsa_reserve_flat_scratch 0
		.amdhsa_float_round_mode_32 0
		.amdhsa_float_round_mode_16_64 0
		.amdhsa_float_denorm_mode_32 3
		.amdhsa_float_denorm_mode_16_64 3
		.amdhsa_dx10_clamp 1
		.amdhsa_ieee_mode 1
		.amdhsa_fp16_overflow 0
		.amdhsa_tg_split 0
		.amdhsa_exception_fp_ieee_invalid_op 0
		.amdhsa_exception_fp_denorm_src 0
		.amdhsa_exception_fp_ieee_div_zero 0
		.amdhsa_exception_fp_ieee_overflow 0
		.amdhsa_exception_fp_ieee_underflow 0
		.amdhsa_exception_fp_ieee_inexact 0
		.amdhsa_exception_int_div_zero 0
	.end_amdhsa_kernel
	.section	.text._ZN7rocprim17ROCPRIM_400000_NS6detail17trampoline_kernelINS0_14default_configENS1_20scan_config_selectorIiEEZZNS1_9scan_implILNS1_25lookback_scan_determinismE0ELb1ELb1ES3_N6thrust23THRUST_200600_302600_NS6detail15normal_iteratorINS9_10device_ptrIjEEEENSB_INSC_IiEEEEiNS9_4plusIvEEiEEDaPvRmT3_T4_T5_mT6_P12ihipStream_tbENKUlT_T0_E_clISt17integral_constantIbLb0EESV_IbLb1EEEEDaSR_SS_EUlSR_E0_NS1_11comp_targetILNS1_3genE10ELNS1_11target_archE1201ELNS1_3gpuE5ELNS1_3repE0EEENS1_30default_config_static_selectorELNS0_4arch9wavefront6targetE1EEEvT1_,"axG",@progbits,_ZN7rocprim17ROCPRIM_400000_NS6detail17trampoline_kernelINS0_14default_configENS1_20scan_config_selectorIiEEZZNS1_9scan_implILNS1_25lookback_scan_determinismE0ELb1ELb1ES3_N6thrust23THRUST_200600_302600_NS6detail15normal_iteratorINS9_10device_ptrIjEEEENSB_INSC_IiEEEEiNS9_4plusIvEEiEEDaPvRmT3_T4_T5_mT6_P12ihipStream_tbENKUlT_T0_E_clISt17integral_constantIbLb0EESV_IbLb1EEEEDaSR_SS_EUlSR_E0_NS1_11comp_targetILNS1_3genE10ELNS1_11target_archE1201ELNS1_3gpuE5ELNS1_3repE0EEENS1_30default_config_static_selectorELNS0_4arch9wavefront6targetE1EEEvT1_,comdat
.Lfunc_end6300:
	.size	_ZN7rocprim17ROCPRIM_400000_NS6detail17trampoline_kernelINS0_14default_configENS1_20scan_config_selectorIiEEZZNS1_9scan_implILNS1_25lookback_scan_determinismE0ELb1ELb1ES3_N6thrust23THRUST_200600_302600_NS6detail15normal_iteratorINS9_10device_ptrIjEEEENSB_INSC_IiEEEEiNS9_4plusIvEEiEEDaPvRmT3_T4_T5_mT6_P12ihipStream_tbENKUlT_T0_E_clISt17integral_constantIbLb0EESV_IbLb1EEEEDaSR_SS_EUlSR_E0_NS1_11comp_targetILNS1_3genE10ELNS1_11target_archE1201ELNS1_3gpuE5ELNS1_3repE0EEENS1_30default_config_static_selectorELNS0_4arch9wavefront6targetE1EEEvT1_, .Lfunc_end6300-_ZN7rocprim17ROCPRIM_400000_NS6detail17trampoline_kernelINS0_14default_configENS1_20scan_config_selectorIiEEZZNS1_9scan_implILNS1_25lookback_scan_determinismE0ELb1ELb1ES3_N6thrust23THRUST_200600_302600_NS6detail15normal_iteratorINS9_10device_ptrIjEEEENSB_INSC_IiEEEEiNS9_4plusIvEEiEEDaPvRmT3_T4_T5_mT6_P12ihipStream_tbENKUlT_T0_E_clISt17integral_constantIbLb0EESV_IbLb1EEEEDaSR_SS_EUlSR_E0_NS1_11comp_targetILNS1_3genE10ELNS1_11target_archE1201ELNS1_3gpuE5ELNS1_3repE0EEENS1_30default_config_static_selectorELNS0_4arch9wavefront6targetE1EEEvT1_
                                        ; -- End function
	.section	.AMDGPU.csdata,"",@progbits
; Kernel info:
; codeLenInByte = 0
; NumSgprs: 4
; NumVgprs: 0
; NumAgprs: 0
; TotalNumVgprs: 0
; ScratchSize: 0
; MemoryBound: 0
; FloatMode: 240
; IeeeMode: 1
; LDSByteSize: 0 bytes/workgroup (compile time only)
; SGPRBlocks: 0
; VGPRBlocks: 0
; NumSGPRsForWavesPerEU: 4
; NumVGPRsForWavesPerEU: 1
; AccumOffset: 4
; Occupancy: 8
; WaveLimiterHint : 0
; COMPUTE_PGM_RSRC2:SCRATCH_EN: 0
; COMPUTE_PGM_RSRC2:USER_SGPR: 6
; COMPUTE_PGM_RSRC2:TRAP_HANDLER: 0
; COMPUTE_PGM_RSRC2:TGID_X_EN: 1
; COMPUTE_PGM_RSRC2:TGID_Y_EN: 0
; COMPUTE_PGM_RSRC2:TGID_Z_EN: 0
; COMPUTE_PGM_RSRC2:TIDIG_COMP_CNT: 0
; COMPUTE_PGM_RSRC3_GFX90A:ACCUM_OFFSET: 0
; COMPUTE_PGM_RSRC3_GFX90A:TG_SPLIT: 0
	.section	.text._ZN7rocprim17ROCPRIM_400000_NS6detail17trampoline_kernelINS0_14default_configENS1_20scan_config_selectorIiEEZZNS1_9scan_implILNS1_25lookback_scan_determinismE0ELb1ELb1ES3_N6thrust23THRUST_200600_302600_NS6detail15normal_iteratorINS9_10device_ptrIjEEEENSB_INSC_IiEEEEiNS9_4plusIvEEiEEDaPvRmT3_T4_T5_mT6_P12ihipStream_tbENKUlT_T0_E_clISt17integral_constantIbLb0EESV_IbLb1EEEEDaSR_SS_EUlSR_E0_NS1_11comp_targetILNS1_3genE10ELNS1_11target_archE1200ELNS1_3gpuE4ELNS1_3repE0EEENS1_30default_config_static_selectorELNS0_4arch9wavefront6targetE1EEEvT1_,"axG",@progbits,_ZN7rocprim17ROCPRIM_400000_NS6detail17trampoline_kernelINS0_14default_configENS1_20scan_config_selectorIiEEZZNS1_9scan_implILNS1_25lookback_scan_determinismE0ELb1ELb1ES3_N6thrust23THRUST_200600_302600_NS6detail15normal_iteratorINS9_10device_ptrIjEEEENSB_INSC_IiEEEEiNS9_4plusIvEEiEEDaPvRmT3_T4_T5_mT6_P12ihipStream_tbENKUlT_T0_E_clISt17integral_constantIbLb0EESV_IbLb1EEEEDaSR_SS_EUlSR_E0_NS1_11comp_targetILNS1_3genE10ELNS1_11target_archE1200ELNS1_3gpuE4ELNS1_3repE0EEENS1_30default_config_static_selectorELNS0_4arch9wavefront6targetE1EEEvT1_,comdat
	.protected	_ZN7rocprim17ROCPRIM_400000_NS6detail17trampoline_kernelINS0_14default_configENS1_20scan_config_selectorIiEEZZNS1_9scan_implILNS1_25lookback_scan_determinismE0ELb1ELb1ES3_N6thrust23THRUST_200600_302600_NS6detail15normal_iteratorINS9_10device_ptrIjEEEENSB_INSC_IiEEEEiNS9_4plusIvEEiEEDaPvRmT3_T4_T5_mT6_P12ihipStream_tbENKUlT_T0_E_clISt17integral_constantIbLb0EESV_IbLb1EEEEDaSR_SS_EUlSR_E0_NS1_11comp_targetILNS1_3genE10ELNS1_11target_archE1200ELNS1_3gpuE4ELNS1_3repE0EEENS1_30default_config_static_selectorELNS0_4arch9wavefront6targetE1EEEvT1_ ; -- Begin function _ZN7rocprim17ROCPRIM_400000_NS6detail17trampoline_kernelINS0_14default_configENS1_20scan_config_selectorIiEEZZNS1_9scan_implILNS1_25lookback_scan_determinismE0ELb1ELb1ES3_N6thrust23THRUST_200600_302600_NS6detail15normal_iteratorINS9_10device_ptrIjEEEENSB_INSC_IiEEEEiNS9_4plusIvEEiEEDaPvRmT3_T4_T5_mT6_P12ihipStream_tbENKUlT_T0_E_clISt17integral_constantIbLb0EESV_IbLb1EEEEDaSR_SS_EUlSR_E0_NS1_11comp_targetILNS1_3genE10ELNS1_11target_archE1200ELNS1_3gpuE4ELNS1_3repE0EEENS1_30default_config_static_selectorELNS0_4arch9wavefront6targetE1EEEvT1_
	.globl	_ZN7rocprim17ROCPRIM_400000_NS6detail17trampoline_kernelINS0_14default_configENS1_20scan_config_selectorIiEEZZNS1_9scan_implILNS1_25lookback_scan_determinismE0ELb1ELb1ES3_N6thrust23THRUST_200600_302600_NS6detail15normal_iteratorINS9_10device_ptrIjEEEENSB_INSC_IiEEEEiNS9_4plusIvEEiEEDaPvRmT3_T4_T5_mT6_P12ihipStream_tbENKUlT_T0_E_clISt17integral_constantIbLb0EESV_IbLb1EEEEDaSR_SS_EUlSR_E0_NS1_11comp_targetILNS1_3genE10ELNS1_11target_archE1200ELNS1_3gpuE4ELNS1_3repE0EEENS1_30default_config_static_selectorELNS0_4arch9wavefront6targetE1EEEvT1_
	.p2align	8
	.type	_ZN7rocprim17ROCPRIM_400000_NS6detail17trampoline_kernelINS0_14default_configENS1_20scan_config_selectorIiEEZZNS1_9scan_implILNS1_25lookback_scan_determinismE0ELb1ELb1ES3_N6thrust23THRUST_200600_302600_NS6detail15normal_iteratorINS9_10device_ptrIjEEEENSB_INSC_IiEEEEiNS9_4plusIvEEiEEDaPvRmT3_T4_T5_mT6_P12ihipStream_tbENKUlT_T0_E_clISt17integral_constantIbLb0EESV_IbLb1EEEEDaSR_SS_EUlSR_E0_NS1_11comp_targetILNS1_3genE10ELNS1_11target_archE1200ELNS1_3gpuE4ELNS1_3repE0EEENS1_30default_config_static_selectorELNS0_4arch9wavefront6targetE1EEEvT1_,@function
_ZN7rocprim17ROCPRIM_400000_NS6detail17trampoline_kernelINS0_14default_configENS1_20scan_config_selectorIiEEZZNS1_9scan_implILNS1_25lookback_scan_determinismE0ELb1ELb1ES3_N6thrust23THRUST_200600_302600_NS6detail15normal_iteratorINS9_10device_ptrIjEEEENSB_INSC_IiEEEEiNS9_4plusIvEEiEEDaPvRmT3_T4_T5_mT6_P12ihipStream_tbENKUlT_T0_E_clISt17integral_constantIbLb0EESV_IbLb1EEEEDaSR_SS_EUlSR_E0_NS1_11comp_targetILNS1_3genE10ELNS1_11target_archE1200ELNS1_3gpuE4ELNS1_3repE0EEENS1_30default_config_static_selectorELNS0_4arch9wavefront6targetE1EEEvT1_: ; @_ZN7rocprim17ROCPRIM_400000_NS6detail17trampoline_kernelINS0_14default_configENS1_20scan_config_selectorIiEEZZNS1_9scan_implILNS1_25lookback_scan_determinismE0ELb1ELb1ES3_N6thrust23THRUST_200600_302600_NS6detail15normal_iteratorINS9_10device_ptrIjEEEENSB_INSC_IiEEEEiNS9_4plusIvEEiEEDaPvRmT3_T4_T5_mT6_P12ihipStream_tbENKUlT_T0_E_clISt17integral_constantIbLb0EESV_IbLb1EEEEDaSR_SS_EUlSR_E0_NS1_11comp_targetILNS1_3genE10ELNS1_11target_archE1200ELNS1_3gpuE4ELNS1_3repE0EEENS1_30default_config_static_selectorELNS0_4arch9wavefront6targetE1EEEvT1_
; %bb.0:
	.section	.rodata,"a",@progbits
	.p2align	6, 0x0
	.amdhsa_kernel _ZN7rocprim17ROCPRIM_400000_NS6detail17trampoline_kernelINS0_14default_configENS1_20scan_config_selectorIiEEZZNS1_9scan_implILNS1_25lookback_scan_determinismE0ELb1ELb1ES3_N6thrust23THRUST_200600_302600_NS6detail15normal_iteratorINS9_10device_ptrIjEEEENSB_INSC_IiEEEEiNS9_4plusIvEEiEEDaPvRmT3_T4_T5_mT6_P12ihipStream_tbENKUlT_T0_E_clISt17integral_constantIbLb0EESV_IbLb1EEEEDaSR_SS_EUlSR_E0_NS1_11comp_targetILNS1_3genE10ELNS1_11target_archE1200ELNS1_3gpuE4ELNS1_3repE0EEENS1_30default_config_static_selectorELNS0_4arch9wavefront6targetE1EEEvT1_
		.amdhsa_group_segment_fixed_size 0
		.amdhsa_private_segment_fixed_size 0
		.amdhsa_kernarg_size 32
		.amdhsa_user_sgpr_count 6
		.amdhsa_user_sgpr_private_segment_buffer 1
		.amdhsa_user_sgpr_dispatch_ptr 0
		.amdhsa_user_sgpr_queue_ptr 0
		.amdhsa_user_sgpr_kernarg_segment_ptr 1
		.amdhsa_user_sgpr_dispatch_id 0
		.amdhsa_user_sgpr_flat_scratch_init 0
		.amdhsa_user_sgpr_kernarg_preload_length 0
		.amdhsa_user_sgpr_kernarg_preload_offset 0
		.amdhsa_user_sgpr_private_segment_size 0
		.amdhsa_uses_dynamic_stack 0
		.amdhsa_system_sgpr_private_segment_wavefront_offset 0
		.amdhsa_system_sgpr_workgroup_id_x 1
		.amdhsa_system_sgpr_workgroup_id_y 0
		.amdhsa_system_sgpr_workgroup_id_z 0
		.amdhsa_system_sgpr_workgroup_info 0
		.amdhsa_system_vgpr_workitem_id 0
		.amdhsa_next_free_vgpr 1
		.amdhsa_next_free_sgpr 0
		.amdhsa_accum_offset 4
		.amdhsa_reserve_vcc 0
		.amdhsa_reserve_flat_scratch 0
		.amdhsa_float_round_mode_32 0
		.amdhsa_float_round_mode_16_64 0
		.amdhsa_float_denorm_mode_32 3
		.amdhsa_float_denorm_mode_16_64 3
		.amdhsa_dx10_clamp 1
		.amdhsa_ieee_mode 1
		.amdhsa_fp16_overflow 0
		.amdhsa_tg_split 0
		.amdhsa_exception_fp_ieee_invalid_op 0
		.amdhsa_exception_fp_denorm_src 0
		.amdhsa_exception_fp_ieee_div_zero 0
		.amdhsa_exception_fp_ieee_overflow 0
		.amdhsa_exception_fp_ieee_underflow 0
		.amdhsa_exception_fp_ieee_inexact 0
		.amdhsa_exception_int_div_zero 0
	.end_amdhsa_kernel
	.section	.text._ZN7rocprim17ROCPRIM_400000_NS6detail17trampoline_kernelINS0_14default_configENS1_20scan_config_selectorIiEEZZNS1_9scan_implILNS1_25lookback_scan_determinismE0ELb1ELb1ES3_N6thrust23THRUST_200600_302600_NS6detail15normal_iteratorINS9_10device_ptrIjEEEENSB_INSC_IiEEEEiNS9_4plusIvEEiEEDaPvRmT3_T4_T5_mT6_P12ihipStream_tbENKUlT_T0_E_clISt17integral_constantIbLb0EESV_IbLb1EEEEDaSR_SS_EUlSR_E0_NS1_11comp_targetILNS1_3genE10ELNS1_11target_archE1200ELNS1_3gpuE4ELNS1_3repE0EEENS1_30default_config_static_selectorELNS0_4arch9wavefront6targetE1EEEvT1_,"axG",@progbits,_ZN7rocprim17ROCPRIM_400000_NS6detail17trampoline_kernelINS0_14default_configENS1_20scan_config_selectorIiEEZZNS1_9scan_implILNS1_25lookback_scan_determinismE0ELb1ELb1ES3_N6thrust23THRUST_200600_302600_NS6detail15normal_iteratorINS9_10device_ptrIjEEEENSB_INSC_IiEEEEiNS9_4plusIvEEiEEDaPvRmT3_T4_T5_mT6_P12ihipStream_tbENKUlT_T0_E_clISt17integral_constantIbLb0EESV_IbLb1EEEEDaSR_SS_EUlSR_E0_NS1_11comp_targetILNS1_3genE10ELNS1_11target_archE1200ELNS1_3gpuE4ELNS1_3repE0EEENS1_30default_config_static_selectorELNS0_4arch9wavefront6targetE1EEEvT1_,comdat
.Lfunc_end6301:
	.size	_ZN7rocprim17ROCPRIM_400000_NS6detail17trampoline_kernelINS0_14default_configENS1_20scan_config_selectorIiEEZZNS1_9scan_implILNS1_25lookback_scan_determinismE0ELb1ELb1ES3_N6thrust23THRUST_200600_302600_NS6detail15normal_iteratorINS9_10device_ptrIjEEEENSB_INSC_IiEEEEiNS9_4plusIvEEiEEDaPvRmT3_T4_T5_mT6_P12ihipStream_tbENKUlT_T0_E_clISt17integral_constantIbLb0EESV_IbLb1EEEEDaSR_SS_EUlSR_E0_NS1_11comp_targetILNS1_3genE10ELNS1_11target_archE1200ELNS1_3gpuE4ELNS1_3repE0EEENS1_30default_config_static_selectorELNS0_4arch9wavefront6targetE1EEEvT1_, .Lfunc_end6301-_ZN7rocprim17ROCPRIM_400000_NS6detail17trampoline_kernelINS0_14default_configENS1_20scan_config_selectorIiEEZZNS1_9scan_implILNS1_25lookback_scan_determinismE0ELb1ELb1ES3_N6thrust23THRUST_200600_302600_NS6detail15normal_iteratorINS9_10device_ptrIjEEEENSB_INSC_IiEEEEiNS9_4plusIvEEiEEDaPvRmT3_T4_T5_mT6_P12ihipStream_tbENKUlT_T0_E_clISt17integral_constantIbLb0EESV_IbLb1EEEEDaSR_SS_EUlSR_E0_NS1_11comp_targetILNS1_3genE10ELNS1_11target_archE1200ELNS1_3gpuE4ELNS1_3repE0EEENS1_30default_config_static_selectorELNS0_4arch9wavefront6targetE1EEEvT1_
                                        ; -- End function
	.section	.AMDGPU.csdata,"",@progbits
; Kernel info:
; codeLenInByte = 0
; NumSgprs: 4
; NumVgprs: 0
; NumAgprs: 0
; TotalNumVgprs: 0
; ScratchSize: 0
; MemoryBound: 0
; FloatMode: 240
; IeeeMode: 1
; LDSByteSize: 0 bytes/workgroup (compile time only)
; SGPRBlocks: 0
; VGPRBlocks: 0
; NumSGPRsForWavesPerEU: 4
; NumVGPRsForWavesPerEU: 1
; AccumOffset: 4
; Occupancy: 8
; WaveLimiterHint : 0
; COMPUTE_PGM_RSRC2:SCRATCH_EN: 0
; COMPUTE_PGM_RSRC2:USER_SGPR: 6
; COMPUTE_PGM_RSRC2:TRAP_HANDLER: 0
; COMPUTE_PGM_RSRC2:TGID_X_EN: 1
; COMPUTE_PGM_RSRC2:TGID_Y_EN: 0
; COMPUTE_PGM_RSRC2:TGID_Z_EN: 0
; COMPUTE_PGM_RSRC2:TIDIG_COMP_CNT: 0
; COMPUTE_PGM_RSRC3_GFX90A:ACCUM_OFFSET: 0
; COMPUTE_PGM_RSRC3_GFX90A:TG_SPLIT: 0
	.section	.text._ZN7rocprim17ROCPRIM_400000_NS6detail17trampoline_kernelINS0_14default_configENS1_20scan_config_selectorIiEEZZNS1_9scan_implILNS1_25lookback_scan_determinismE0ELb1ELb1ES3_N6thrust23THRUST_200600_302600_NS6detail15normal_iteratorINS9_10device_ptrIjEEEENSB_INSC_IiEEEEiNS9_4plusIvEEiEEDaPvRmT3_T4_T5_mT6_P12ihipStream_tbENKUlT_T0_E_clISt17integral_constantIbLb0EESV_IbLb1EEEEDaSR_SS_EUlSR_E0_NS1_11comp_targetILNS1_3genE9ELNS1_11target_archE1100ELNS1_3gpuE3ELNS1_3repE0EEENS1_30default_config_static_selectorELNS0_4arch9wavefront6targetE1EEEvT1_,"axG",@progbits,_ZN7rocprim17ROCPRIM_400000_NS6detail17trampoline_kernelINS0_14default_configENS1_20scan_config_selectorIiEEZZNS1_9scan_implILNS1_25lookback_scan_determinismE0ELb1ELb1ES3_N6thrust23THRUST_200600_302600_NS6detail15normal_iteratorINS9_10device_ptrIjEEEENSB_INSC_IiEEEEiNS9_4plusIvEEiEEDaPvRmT3_T4_T5_mT6_P12ihipStream_tbENKUlT_T0_E_clISt17integral_constantIbLb0EESV_IbLb1EEEEDaSR_SS_EUlSR_E0_NS1_11comp_targetILNS1_3genE9ELNS1_11target_archE1100ELNS1_3gpuE3ELNS1_3repE0EEENS1_30default_config_static_selectorELNS0_4arch9wavefront6targetE1EEEvT1_,comdat
	.protected	_ZN7rocprim17ROCPRIM_400000_NS6detail17trampoline_kernelINS0_14default_configENS1_20scan_config_selectorIiEEZZNS1_9scan_implILNS1_25lookback_scan_determinismE0ELb1ELb1ES3_N6thrust23THRUST_200600_302600_NS6detail15normal_iteratorINS9_10device_ptrIjEEEENSB_INSC_IiEEEEiNS9_4plusIvEEiEEDaPvRmT3_T4_T5_mT6_P12ihipStream_tbENKUlT_T0_E_clISt17integral_constantIbLb0EESV_IbLb1EEEEDaSR_SS_EUlSR_E0_NS1_11comp_targetILNS1_3genE9ELNS1_11target_archE1100ELNS1_3gpuE3ELNS1_3repE0EEENS1_30default_config_static_selectorELNS0_4arch9wavefront6targetE1EEEvT1_ ; -- Begin function _ZN7rocprim17ROCPRIM_400000_NS6detail17trampoline_kernelINS0_14default_configENS1_20scan_config_selectorIiEEZZNS1_9scan_implILNS1_25lookback_scan_determinismE0ELb1ELb1ES3_N6thrust23THRUST_200600_302600_NS6detail15normal_iteratorINS9_10device_ptrIjEEEENSB_INSC_IiEEEEiNS9_4plusIvEEiEEDaPvRmT3_T4_T5_mT6_P12ihipStream_tbENKUlT_T0_E_clISt17integral_constantIbLb0EESV_IbLb1EEEEDaSR_SS_EUlSR_E0_NS1_11comp_targetILNS1_3genE9ELNS1_11target_archE1100ELNS1_3gpuE3ELNS1_3repE0EEENS1_30default_config_static_selectorELNS0_4arch9wavefront6targetE1EEEvT1_
	.globl	_ZN7rocprim17ROCPRIM_400000_NS6detail17trampoline_kernelINS0_14default_configENS1_20scan_config_selectorIiEEZZNS1_9scan_implILNS1_25lookback_scan_determinismE0ELb1ELb1ES3_N6thrust23THRUST_200600_302600_NS6detail15normal_iteratorINS9_10device_ptrIjEEEENSB_INSC_IiEEEEiNS9_4plusIvEEiEEDaPvRmT3_T4_T5_mT6_P12ihipStream_tbENKUlT_T0_E_clISt17integral_constantIbLb0EESV_IbLb1EEEEDaSR_SS_EUlSR_E0_NS1_11comp_targetILNS1_3genE9ELNS1_11target_archE1100ELNS1_3gpuE3ELNS1_3repE0EEENS1_30default_config_static_selectorELNS0_4arch9wavefront6targetE1EEEvT1_
	.p2align	8
	.type	_ZN7rocprim17ROCPRIM_400000_NS6detail17trampoline_kernelINS0_14default_configENS1_20scan_config_selectorIiEEZZNS1_9scan_implILNS1_25lookback_scan_determinismE0ELb1ELb1ES3_N6thrust23THRUST_200600_302600_NS6detail15normal_iteratorINS9_10device_ptrIjEEEENSB_INSC_IiEEEEiNS9_4plusIvEEiEEDaPvRmT3_T4_T5_mT6_P12ihipStream_tbENKUlT_T0_E_clISt17integral_constantIbLb0EESV_IbLb1EEEEDaSR_SS_EUlSR_E0_NS1_11comp_targetILNS1_3genE9ELNS1_11target_archE1100ELNS1_3gpuE3ELNS1_3repE0EEENS1_30default_config_static_selectorELNS0_4arch9wavefront6targetE1EEEvT1_,@function
_ZN7rocprim17ROCPRIM_400000_NS6detail17trampoline_kernelINS0_14default_configENS1_20scan_config_selectorIiEEZZNS1_9scan_implILNS1_25lookback_scan_determinismE0ELb1ELb1ES3_N6thrust23THRUST_200600_302600_NS6detail15normal_iteratorINS9_10device_ptrIjEEEENSB_INSC_IiEEEEiNS9_4plusIvEEiEEDaPvRmT3_T4_T5_mT6_P12ihipStream_tbENKUlT_T0_E_clISt17integral_constantIbLb0EESV_IbLb1EEEEDaSR_SS_EUlSR_E0_NS1_11comp_targetILNS1_3genE9ELNS1_11target_archE1100ELNS1_3gpuE3ELNS1_3repE0EEENS1_30default_config_static_selectorELNS0_4arch9wavefront6targetE1EEEvT1_: ; @_ZN7rocprim17ROCPRIM_400000_NS6detail17trampoline_kernelINS0_14default_configENS1_20scan_config_selectorIiEEZZNS1_9scan_implILNS1_25lookback_scan_determinismE0ELb1ELb1ES3_N6thrust23THRUST_200600_302600_NS6detail15normal_iteratorINS9_10device_ptrIjEEEENSB_INSC_IiEEEEiNS9_4plusIvEEiEEDaPvRmT3_T4_T5_mT6_P12ihipStream_tbENKUlT_T0_E_clISt17integral_constantIbLb0EESV_IbLb1EEEEDaSR_SS_EUlSR_E0_NS1_11comp_targetILNS1_3genE9ELNS1_11target_archE1100ELNS1_3gpuE3ELNS1_3repE0EEENS1_30default_config_static_selectorELNS0_4arch9wavefront6targetE1EEEvT1_
; %bb.0:
	.section	.rodata,"a",@progbits
	.p2align	6, 0x0
	.amdhsa_kernel _ZN7rocprim17ROCPRIM_400000_NS6detail17trampoline_kernelINS0_14default_configENS1_20scan_config_selectorIiEEZZNS1_9scan_implILNS1_25lookback_scan_determinismE0ELb1ELb1ES3_N6thrust23THRUST_200600_302600_NS6detail15normal_iteratorINS9_10device_ptrIjEEEENSB_INSC_IiEEEEiNS9_4plusIvEEiEEDaPvRmT3_T4_T5_mT6_P12ihipStream_tbENKUlT_T0_E_clISt17integral_constantIbLb0EESV_IbLb1EEEEDaSR_SS_EUlSR_E0_NS1_11comp_targetILNS1_3genE9ELNS1_11target_archE1100ELNS1_3gpuE3ELNS1_3repE0EEENS1_30default_config_static_selectorELNS0_4arch9wavefront6targetE1EEEvT1_
		.amdhsa_group_segment_fixed_size 0
		.amdhsa_private_segment_fixed_size 0
		.amdhsa_kernarg_size 32
		.amdhsa_user_sgpr_count 6
		.amdhsa_user_sgpr_private_segment_buffer 1
		.amdhsa_user_sgpr_dispatch_ptr 0
		.amdhsa_user_sgpr_queue_ptr 0
		.amdhsa_user_sgpr_kernarg_segment_ptr 1
		.amdhsa_user_sgpr_dispatch_id 0
		.amdhsa_user_sgpr_flat_scratch_init 0
		.amdhsa_user_sgpr_kernarg_preload_length 0
		.amdhsa_user_sgpr_kernarg_preload_offset 0
		.amdhsa_user_sgpr_private_segment_size 0
		.amdhsa_uses_dynamic_stack 0
		.amdhsa_system_sgpr_private_segment_wavefront_offset 0
		.amdhsa_system_sgpr_workgroup_id_x 1
		.amdhsa_system_sgpr_workgroup_id_y 0
		.amdhsa_system_sgpr_workgroup_id_z 0
		.amdhsa_system_sgpr_workgroup_info 0
		.amdhsa_system_vgpr_workitem_id 0
		.amdhsa_next_free_vgpr 1
		.amdhsa_next_free_sgpr 0
		.amdhsa_accum_offset 4
		.amdhsa_reserve_vcc 0
		.amdhsa_reserve_flat_scratch 0
		.amdhsa_float_round_mode_32 0
		.amdhsa_float_round_mode_16_64 0
		.amdhsa_float_denorm_mode_32 3
		.amdhsa_float_denorm_mode_16_64 3
		.amdhsa_dx10_clamp 1
		.amdhsa_ieee_mode 1
		.amdhsa_fp16_overflow 0
		.amdhsa_tg_split 0
		.amdhsa_exception_fp_ieee_invalid_op 0
		.amdhsa_exception_fp_denorm_src 0
		.amdhsa_exception_fp_ieee_div_zero 0
		.amdhsa_exception_fp_ieee_overflow 0
		.amdhsa_exception_fp_ieee_underflow 0
		.amdhsa_exception_fp_ieee_inexact 0
		.amdhsa_exception_int_div_zero 0
	.end_amdhsa_kernel
	.section	.text._ZN7rocprim17ROCPRIM_400000_NS6detail17trampoline_kernelINS0_14default_configENS1_20scan_config_selectorIiEEZZNS1_9scan_implILNS1_25lookback_scan_determinismE0ELb1ELb1ES3_N6thrust23THRUST_200600_302600_NS6detail15normal_iteratorINS9_10device_ptrIjEEEENSB_INSC_IiEEEEiNS9_4plusIvEEiEEDaPvRmT3_T4_T5_mT6_P12ihipStream_tbENKUlT_T0_E_clISt17integral_constantIbLb0EESV_IbLb1EEEEDaSR_SS_EUlSR_E0_NS1_11comp_targetILNS1_3genE9ELNS1_11target_archE1100ELNS1_3gpuE3ELNS1_3repE0EEENS1_30default_config_static_selectorELNS0_4arch9wavefront6targetE1EEEvT1_,"axG",@progbits,_ZN7rocprim17ROCPRIM_400000_NS6detail17trampoline_kernelINS0_14default_configENS1_20scan_config_selectorIiEEZZNS1_9scan_implILNS1_25lookback_scan_determinismE0ELb1ELb1ES3_N6thrust23THRUST_200600_302600_NS6detail15normal_iteratorINS9_10device_ptrIjEEEENSB_INSC_IiEEEEiNS9_4plusIvEEiEEDaPvRmT3_T4_T5_mT6_P12ihipStream_tbENKUlT_T0_E_clISt17integral_constantIbLb0EESV_IbLb1EEEEDaSR_SS_EUlSR_E0_NS1_11comp_targetILNS1_3genE9ELNS1_11target_archE1100ELNS1_3gpuE3ELNS1_3repE0EEENS1_30default_config_static_selectorELNS0_4arch9wavefront6targetE1EEEvT1_,comdat
.Lfunc_end6302:
	.size	_ZN7rocprim17ROCPRIM_400000_NS6detail17trampoline_kernelINS0_14default_configENS1_20scan_config_selectorIiEEZZNS1_9scan_implILNS1_25lookback_scan_determinismE0ELb1ELb1ES3_N6thrust23THRUST_200600_302600_NS6detail15normal_iteratorINS9_10device_ptrIjEEEENSB_INSC_IiEEEEiNS9_4plusIvEEiEEDaPvRmT3_T4_T5_mT6_P12ihipStream_tbENKUlT_T0_E_clISt17integral_constantIbLb0EESV_IbLb1EEEEDaSR_SS_EUlSR_E0_NS1_11comp_targetILNS1_3genE9ELNS1_11target_archE1100ELNS1_3gpuE3ELNS1_3repE0EEENS1_30default_config_static_selectorELNS0_4arch9wavefront6targetE1EEEvT1_, .Lfunc_end6302-_ZN7rocprim17ROCPRIM_400000_NS6detail17trampoline_kernelINS0_14default_configENS1_20scan_config_selectorIiEEZZNS1_9scan_implILNS1_25lookback_scan_determinismE0ELb1ELb1ES3_N6thrust23THRUST_200600_302600_NS6detail15normal_iteratorINS9_10device_ptrIjEEEENSB_INSC_IiEEEEiNS9_4plusIvEEiEEDaPvRmT3_T4_T5_mT6_P12ihipStream_tbENKUlT_T0_E_clISt17integral_constantIbLb0EESV_IbLb1EEEEDaSR_SS_EUlSR_E0_NS1_11comp_targetILNS1_3genE9ELNS1_11target_archE1100ELNS1_3gpuE3ELNS1_3repE0EEENS1_30default_config_static_selectorELNS0_4arch9wavefront6targetE1EEEvT1_
                                        ; -- End function
	.section	.AMDGPU.csdata,"",@progbits
; Kernel info:
; codeLenInByte = 0
; NumSgprs: 4
; NumVgprs: 0
; NumAgprs: 0
; TotalNumVgprs: 0
; ScratchSize: 0
; MemoryBound: 0
; FloatMode: 240
; IeeeMode: 1
; LDSByteSize: 0 bytes/workgroup (compile time only)
; SGPRBlocks: 0
; VGPRBlocks: 0
; NumSGPRsForWavesPerEU: 4
; NumVGPRsForWavesPerEU: 1
; AccumOffset: 4
; Occupancy: 8
; WaveLimiterHint : 0
; COMPUTE_PGM_RSRC2:SCRATCH_EN: 0
; COMPUTE_PGM_RSRC2:USER_SGPR: 6
; COMPUTE_PGM_RSRC2:TRAP_HANDLER: 0
; COMPUTE_PGM_RSRC2:TGID_X_EN: 1
; COMPUTE_PGM_RSRC2:TGID_Y_EN: 0
; COMPUTE_PGM_RSRC2:TGID_Z_EN: 0
; COMPUTE_PGM_RSRC2:TIDIG_COMP_CNT: 0
; COMPUTE_PGM_RSRC3_GFX90A:ACCUM_OFFSET: 0
; COMPUTE_PGM_RSRC3_GFX90A:TG_SPLIT: 0
	.section	.text._ZN7rocprim17ROCPRIM_400000_NS6detail17trampoline_kernelINS0_14default_configENS1_20scan_config_selectorIiEEZZNS1_9scan_implILNS1_25lookback_scan_determinismE0ELb1ELb1ES3_N6thrust23THRUST_200600_302600_NS6detail15normal_iteratorINS9_10device_ptrIjEEEENSB_INSC_IiEEEEiNS9_4plusIvEEiEEDaPvRmT3_T4_T5_mT6_P12ihipStream_tbENKUlT_T0_E_clISt17integral_constantIbLb0EESV_IbLb1EEEEDaSR_SS_EUlSR_E0_NS1_11comp_targetILNS1_3genE8ELNS1_11target_archE1030ELNS1_3gpuE2ELNS1_3repE0EEENS1_30default_config_static_selectorELNS0_4arch9wavefront6targetE1EEEvT1_,"axG",@progbits,_ZN7rocprim17ROCPRIM_400000_NS6detail17trampoline_kernelINS0_14default_configENS1_20scan_config_selectorIiEEZZNS1_9scan_implILNS1_25lookback_scan_determinismE0ELb1ELb1ES3_N6thrust23THRUST_200600_302600_NS6detail15normal_iteratorINS9_10device_ptrIjEEEENSB_INSC_IiEEEEiNS9_4plusIvEEiEEDaPvRmT3_T4_T5_mT6_P12ihipStream_tbENKUlT_T0_E_clISt17integral_constantIbLb0EESV_IbLb1EEEEDaSR_SS_EUlSR_E0_NS1_11comp_targetILNS1_3genE8ELNS1_11target_archE1030ELNS1_3gpuE2ELNS1_3repE0EEENS1_30default_config_static_selectorELNS0_4arch9wavefront6targetE1EEEvT1_,comdat
	.protected	_ZN7rocprim17ROCPRIM_400000_NS6detail17trampoline_kernelINS0_14default_configENS1_20scan_config_selectorIiEEZZNS1_9scan_implILNS1_25lookback_scan_determinismE0ELb1ELb1ES3_N6thrust23THRUST_200600_302600_NS6detail15normal_iteratorINS9_10device_ptrIjEEEENSB_INSC_IiEEEEiNS9_4plusIvEEiEEDaPvRmT3_T4_T5_mT6_P12ihipStream_tbENKUlT_T0_E_clISt17integral_constantIbLb0EESV_IbLb1EEEEDaSR_SS_EUlSR_E0_NS1_11comp_targetILNS1_3genE8ELNS1_11target_archE1030ELNS1_3gpuE2ELNS1_3repE0EEENS1_30default_config_static_selectorELNS0_4arch9wavefront6targetE1EEEvT1_ ; -- Begin function _ZN7rocprim17ROCPRIM_400000_NS6detail17trampoline_kernelINS0_14default_configENS1_20scan_config_selectorIiEEZZNS1_9scan_implILNS1_25lookback_scan_determinismE0ELb1ELb1ES3_N6thrust23THRUST_200600_302600_NS6detail15normal_iteratorINS9_10device_ptrIjEEEENSB_INSC_IiEEEEiNS9_4plusIvEEiEEDaPvRmT3_T4_T5_mT6_P12ihipStream_tbENKUlT_T0_E_clISt17integral_constantIbLb0EESV_IbLb1EEEEDaSR_SS_EUlSR_E0_NS1_11comp_targetILNS1_3genE8ELNS1_11target_archE1030ELNS1_3gpuE2ELNS1_3repE0EEENS1_30default_config_static_selectorELNS0_4arch9wavefront6targetE1EEEvT1_
	.globl	_ZN7rocprim17ROCPRIM_400000_NS6detail17trampoline_kernelINS0_14default_configENS1_20scan_config_selectorIiEEZZNS1_9scan_implILNS1_25lookback_scan_determinismE0ELb1ELb1ES3_N6thrust23THRUST_200600_302600_NS6detail15normal_iteratorINS9_10device_ptrIjEEEENSB_INSC_IiEEEEiNS9_4plusIvEEiEEDaPvRmT3_T4_T5_mT6_P12ihipStream_tbENKUlT_T0_E_clISt17integral_constantIbLb0EESV_IbLb1EEEEDaSR_SS_EUlSR_E0_NS1_11comp_targetILNS1_3genE8ELNS1_11target_archE1030ELNS1_3gpuE2ELNS1_3repE0EEENS1_30default_config_static_selectorELNS0_4arch9wavefront6targetE1EEEvT1_
	.p2align	8
	.type	_ZN7rocprim17ROCPRIM_400000_NS6detail17trampoline_kernelINS0_14default_configENS1_20scan_config_selectorIiEEZZNS1_9scan_implILNS1_25lookback_scan_determinismE0ELb1ELb1ES3_N6thrust23THRUST_200600_302600_NS6detail15normal_iteratorINS9_10device_ptrIjEEEENSB_INSC_IiEEEEiNS9_4plusIvEEiEEDaPvRmT3_T4_T5_mT6_P12ihipStream_tbENKUlT_T0_E_clISt17integral_constantIbLb0EESV_IbLb1EEEEDaSR_SS_EUlSR_E0_NS1_11comp_targetILNS1_3genE8ELNS1_11target_archE1030ELNS1_3gpuE2ELNS1_3repE0EEENS1_30default_config_static_selectorELNS0_4arch9wavefront6targetE1EEEvT1_,@function
_ZN7rocprim17ROCPRIM_400000_NS6detail17trampoline_kernelINS0_14default_configENS1_20scan_config_selectorIiEEZZNS1_9scan_implILNS1_25lookback_scan_determinismE0ELb1ELb1ES3_N6thrust23THRUST_200600_302600_NS6detail15normal_iteratorINS9_10device_ptrIjEEEENSB_INSC_IiEEEEiNS9_4plusIvEEiEEDaPvRmT3_T4_T5_mT6_P12ihipStream_tbENKUlT_T0_E_clISt17integral_constantIbLb0EESV_IbLb1EEEEDaSR_SS_EUlSR_E0_NS1_11comp_targetILNS1_3genE8ELNS1_11target_archE1030ELNS1_3gpuE2ELNS1_3repE0EEENS1_30default_config_static_selectorELNS0_4arch9wavefront6targetE1EEEvT1_: ; @_ZN7rocprim17ROCPRIM_400000_NS6detail17trampoline_kernelINS0_14default_configENS1_20scan_config_selectorIiEEZZNS1_9scan_implILNS1_25lookback_scan_determinismE0ELb1ELb1ES3_N6thrust23THRUST_200600_302600_NS6detail15normal_iteratorINS9_10device_ptrIjEEEENSB_INSC_IiEEEEiNS9_4plusIvEEiEEDaPvRmT3_T4_T5_mT6_P12ihipStream_tbENKUlT_T0_E_clISt17integral_constantIbLb0EESV_IbLb1EEEEDaSR_SS_EUlSR_E0_NS1_11comp_targetILNS1_3genE8ELNS1_11target_archE1030ELNS1_3gpuE2ELNS1_3repE0EEENS1_30default_config_static_selectorELNS0_4arch9wavefront6targetE1EEEvT1_
; %bb.0:
	.section	.rodata,"a",@progbits
	.p2align	6, 0x0
	.amdhsa_kernel _ZN7rocprim17ROCPRIM_400000_NS6detail17trampoline_kernelINS0_14default_configENS1_20scan_config_selectorIiEEZZNS1_9scan_implILNS1_25lookback_scan_determinismE0ELb1ELb1ES3_N6thrust23THRUST_200600_302600_NS6detail15normal_iteratorINS9_10device_ptrIjEEEENSB_INSC_IiEEEEiNS9_4plusIvEEiEEDaPvRmT3_T4_T5_mT6_P12ihipStream_tbENKUlT_T0_E_clISt17integral_constantIbLb0EESV_IbLb1EEEEDaSR_SS_EUlSR_E0_NS1_11comp_targetILNS1_3genE8ELNS1_11target_archE1030ELNS1_3gpuE2ELNS1_3repE0EEENS1_30default_config_static_selectorELNS0_4arch9wavefront6targetE1EEEvT1_
		.amdhsa_group_segment_fixed_size 0
		.amdhsa_private_segment_fixed_size 0
		.amdhsa_kernarg_size 32
		.amdhsa_user_sgpr_count 6
		.amdhsa_user_sgpr_private_segment_buffer 1
		.amdhsa_user_sgpr_dispatch_ptr 0
		.amdhsa_user_sgpr_queue_ptr 0
		.amdhsa_user_sgpr_kernarg_segment_ptr 1
		.amdhsa_user_sgpr_dispatch_id 0
		.amdhsa_user_sgpr_flat_scratch_init 0
		.amdhsa_user_sgpr_kernarg_preload_length 0
		.amdhsa_user_sgpr_kernarg_preload_offset 0
		.amdhsa_user_sgpr_private_segment_size 0
		.amdhsa_uses_dynamic_stack 0
		.amdhsa_system_sgpr_private_segment_wavefront_offset 0
		.amdhsa_system_sgpr_workgroup_id_x 1
		.amdhsa_system_sgpr_workgroup_id_y 0
		.amdhsa_system_sgpr_workgroup_id_z 0
		.amdhsa_system_sgpr_workgroup_info 0
		.amdhsa_system_vgpr_workitem_id 0
		.amdhsa_next_free_vgpr 1
		.amdhsa_next_free_sgpr 0
		.amdhsa_accum_offset 4
		.amdhsa_reserve_vcc 0
		.amdhsa_reserve_flat_scratch 0
		.amdhsa_float_round_mode_32 0
		.amdhsa_float_round_mode_16_64 0
		.amdhsa_float_denorm_mode_32 3
		.amdhsa_float_denorm_mode_16_64 3
		.amdhsa_dx10_clamp 1
		.amdhsa_ieee_mode 1
		.amdhsa_fp16_overflow 0
		.amdhsa_tg_split 0
		.amdhsa_exception_fp_ieee_invalid_op 0
		.amdhsa_exception_fp_denorm_src 0
		.amdhsa_exception_fp_ieee_div_zero 0
		.amdhsa_exception_fp_ieee_overflow 0
		.amdhsa_exception_fp_ieee_underflow 0
		.amdhsa_exception_fp_ieee_inexact 0
		.amdhsa_exception_int_div_zero 0
	.end_amdhsa_kernel
	.section	.text._ZN7rocprim17ROCPRIM_400000_NS6detail17trampoline_kernelINS0_14default_configENS1_20scan_config_selectorIiEEZZNS1_9scan_implILNS1_25lookback_scan_determinismE0ELb1ELb1ES3_N6thrust23THRUST_200600_302600_NS6detail15normal_iteratorINS9_10device_ptrIjEEEENSB_INSC_IiEEEEiNS9_4plusIvEEiEEDaPvRmT3_T4_T5_mT6_P12ihipStream_tbENKUlT_T0_E_clISt17integral_constantIbLb0EESV_IbLb1EEEEDaSR_SS_EUlSR_E0_NS1_11comp_targetILNS1_3genE8ELNS1_11target_archE1030ELNS1_3gpuE2ELNS1_3repE0EEENS1_30default_config_static_selectorELNS0_4arch9wavefront6targetE1EEEvT1_,"axG",@progbits,_ZN7rocprim17ROCPRIM_400000_NS6detail17trampoline_kernelINS0_14default_configENS1_20scan_config_selectorIiEEZZNS1_9scan_implILNS1_25lookback_scan_determinismE0ELb1ELb1ES3_N6thrust23THRUST_200600_302600_NS6detail15normal_iteratorINS9_10device_ptrIjEEEENSB_INSC_IiEEEEiNS9_4plusIvEEiEEDaPvRmT3_T4_T5_mT6_P12ihipStream_tbENKUlT_T0_E_clISt17integral_constantIbLb0EESV_IbLb1EEEEDaSR_SS_EUlSR_E0_NS1_11comp_targetILNS1_3genE8ELNS1_11target_archE1030ELNS1_3gpuE2ELNS1_3repE0EEENS1_30default_config_static_selectorELNS0_4arch9wavefront6targetE1EEEvT1_,comdat
.Lfunc_end6303:
	.size	_ZN7rocprim17ROCPRIM_400000_NS6detail17trampoline_kernelINS0_14default_configENS1_20scan_config_selectorIiEEZZNS1_9scan_implILNS1_25lookback_scan_determinismE0ELb1ELb1ES3_N6thrust23THRUST_200600_302600_NS6detail15normal_iteratorINS9_10device_ptrIjEEEENSB_INSC_IiEEEEiNS9_4plusIvEEiEEDaPvRmT3_T4_T5_mT6_P12ihipStream_tbENKUlT_T0_E_clISt17integral_constantIbLb0EESV_IbLb1EEEEDaSR_SS_EUlSR_E0_NS1_11comp_targetILNS1_3genE8ELNS1_11target_archE1030ELNS1_3gpuE2ELNS1_3repE0EEENS1_30default_config_static_selectorELNS0_4arch9wavefront6targetE1EEEvT1_, .Lfunc_end6303-_ZN7rocprim17ROCPRIM_400000_NS6detail17trampoline_kernelINS0_14default_configENS1_20scan_config_selectorIiEEZZNS1_9scan_implILNS1_25lookback_scan_determinismE0ELb1ELb1ES3_N6thrust23THRUST_200600_302600_NS6detail15normal_iteratorINS9_10device_ptrIjEEEENSB_INSC_IiEEEEiNS9_4plusIvEEiEEDaPvRmT3_T4_T5_mT6_P12ihipStream_tbENKUlT_T0_E_clISt17integral_constantIbLb0EESV_IbLb1EEEEDaSR_SS_EUlSR_E0_NS1_11comp_targetILNS1_3genE8ELNS1_11target_archE1030ELNS1_3gpuE2ELNS1_3repE0EEENS1_30default_config_static_selectorELNS0_4arch9wavefront6targetE1EEEvT1_
                                        ; -- End function
	.section	.AMDGPU.csdata,"",@progbits
; Kernel info:
; codeLenInByte = 0
; NumSgprs: 4
; NumVgprs: 0
; NumAgprs: 0
; TotalNumVgprs: 0
; ScratchSize: 0
; MemoryBound: 0
; FloatMode: 240
; IeeeMode: 1
; LDSByteSize: 0 bytes/workgroup (compile time only)
; SGPRBlocks: 0
; VGPRBlocks: 0
; NumSGPRsForWavesPerEU: 4
; NumVGPRsForWavesPerEU: 1
; AccumOffset: 4
; Occupancy: 8
; WaveLimiterHint : 0
; COMPUTE_PGM_RSRC2:SCRATCH_EN: 0
; COMPUTE_PGM_RSRC2:USER_SGPR: 6
; COMPUTE_PGM_RSRC2:TRAP_HANDLER: 0
; COMPUTE_PGM_RSRC2:TGID_X_EN: 1
; COMPUTE_PGM_RSRC2:TGID_Y_EN: 0
; COMPUTE_PGM_RSRC2:TGID_Z_EN: 0
; COMPUTE_PGM_RSRC2:TIDIG_COMP_CNT: 0
; COMPUTE_PGM_RSRC3_GFX90A:ACCUM_OFFSET: 0
; COMPUTE_PGM_RSRC3_GFX90A:TG_SPLIT: 0
	.section	.text._ZN7rocprim17ROCPRIM_400000_NS6detail17trampoline_kernelINS0_14default_configENS1_20scan_config_selectorIfEEZZNS1_9scan_implILNS1_25lookback_scan_determinismE0ELb1ELb1ES3_N6thrust23THRUST_200600_302600_NS6detail15normal_iteratorINS9_10device_ptrIjEEEENSB_INSC_IiEEEEfNS9_4plusIvEEfEEDaPvRmT3_T4_T5_mT6_P12ihipStream_tbENKUlT_T0_E_clISt17integral_constantIbLb0EESW_EEDaSR_SS_EUlSR_E_NS1_11comp_targetILNS1_3genE0ELNS1_11target_archE4294967295ELNS1_3gpuE0ELNS1_3repE0EEENS1_30default_config_static_selectorELNS0_4arch9wavefront6targetE1EEEvT1_,"axG",@progbits,_ZN7rocprim17ROCPRIM_400000_NS6detail17trampoline_kernelINS0_14default_configENS1_20scan_config_selectorIfEEZZNS1_9scan_implILNS1_25lookback_scan_determinismE0ELb1ELb1ES3_N6thrust23THRUST_200600_302600_NS6detail15normal_iteratorINS9_10device_ptrIjEEEENSB_INSC_IiEEEEfNS9_4plusIvEEfEEDaPvRmT3_T4_T5_mT6_P12ihipStream_tbENKUlT_T0_E_clISt17integral_constantIbLb0EESW_EEDaSR_SS_EUlSR_E_NS1_11comp_targetILNS1_3genE0ELNS1_11target_archE4294967295ELNS1_3gpuE0ELNS1_3repE0EEENS1_30default_config_static_selectorELNS0_4arch9wavefront6targetE1EEEvT1_,comdat
	.protected	_ZN7rocprim17ROCPRIM_400000_NS6detail17trampoline_kernelINS0_14default_configENS1_20scan_config_selectorIfEEZZNS1_9scan_implILNS1_25lookback_scan_determinismE0ELb1ELb1ES3_N6thrust23THRUST_200600_302600_NS6detail15normal_iteratorINS9_10device_ptrIjEEEENSB_INSC_IiEEEEfNS9_4plusIvEEfEEDaPvRmT3_T4_T5_mT6_P12ihipStream_tbENKUlT_T0_E_clISt17integral_constantIbLb0EESW_EEDaSR_SS_EUlSR_E_NS1_11comp_targetILNS1_3genE0ELNS1_11target_archE4294967295ELNS1_3gpuE0ELNS1_3repE0EEENS1_30default_config_static_selectorELNS0_4arch9wavefront6targetE1EEEvT1_ ; -- Begin function _ZN7rocprim17ROCPRIM_400000_NS6detail17trampoline_kernelINS0_14default_configENS1_20scan_config_selectorIfEEZZNS1_9scan_implILNS1_25lookback_scan_determinismE0ELb1ELb1ES3_N6thrust23THRUST_200600_302600_NS6detail15normal_iteratorINS9_10device_ptrIjEEEENSB_INSC_IiEEEEfNS9_4plusIvEEfEEDaPvRmT3_T4_T5_mT6_P12ihipStream_tbENKUlT_T0_E_clISt17integral_constantIbLb0EESW_EEDaSR_SS_EUlSR_E_NS1_11comp_targetILNS1_3genE0ELNS1_11target_archE4294967295ELNS1_3gpuE0ELNS1_3repE0EEENS1_30default_config_static_selectorELNS0_4arch9wavefront6targetE1EEEvT1_
	.globl	_ZN7rocprim17ROCPRIM_400000_NS6detail17trampoline_kernelINS0_14default_configENS1_20scan_config_selectorIfEEZZNS1_9scan_implILNS1_25lookback_scan_determinismE0ELb1ELb1ES3_N6thrust23THRUST_200600_302600_NS6detail15normal_iteratorINS9_10device_ptrIjEEEENSB_INSC_IiEEEEfNS9_4plusIvEEfEEDaPvRmT3_T4_T5_mT6_P12ihipStream_tbENKUlT_T0_E_clISt17integral_constantIbLb0EESW_EEDaSR_SS_EUlSR_E_NS1_11comp_targetILNS1_3genE0ELNS1_11target_archE4294967295ELNS1_3gpuE0ELNS1_3repE0EEENS1_30default_config_static_selectorELNS0_4arch9wavefront6targetE1EEEvT1_
	.p2align	8
	.type	_ZN7rocprim17ROCPRIM_400000_NS6detail17trampoline_kernelINS0_14default_configENS1_20scan_config_selectorIfEEZZNS1_9scan_implILNS1_25lookback_scan_determinismE0ELb1ELb1ES3_N6thrust23THRUST_200600_302600_NS6detail15normal_iteratorINS9_10device_ptrIjEEEENSB_INSC_IiEEEEfNS9_4plusIvEEfEEDaPvRmT3_T4_T5_mT6_P12ihipStream_tbENKUlT_T0_E_clISt17integral_constantIbLb0EESW_EEDaSR_SS_EUlSR_E_NS1_11comp_targetILNS1_3genE0ELNS1_11target_archE4294967295ELNS1_3gpuE0ELNS1_3repE0EEENS1_30default_config_static_selectorELNS0_4arch9wavefront6targetE1EEEvT1_,@function
_ZN7rocprim17ROCPRIM_400000_NS6detail17trampoline_kernelINS0_14default_configENS1_20scan_config_selectorIfEEZZNS1_9scan_implILNS1_25lookback_scan_determinismE0ELb1ELb1ES3_N6thrust23THRUST_200600_302600_NS6detail15normal_iteratorINS9_10device_ptrIjEEEENSB_INSC_IiEEEEfNS9_4plusIvEEfEEDaPvRmT3_T4_T5_mT6_P12ihipStream_tbENKUlT_T0_E_clISt17integral_constantIbLb0EESW_EEDaSR_SS_EUlSR_E_NS1_11comp_targetILNS1_3genE0ELNS1_11target_archE4294967295ELNS1_3gpuE0ELNS1_3repE0EEENS1_30default_config_static_selectorELNS0_4arch9wavefront6targetE1EEEvT1_: ; @_ZN7rocprim17ROCPRIM_400000_NS6detail17trampoline_kernelINS0_14default_configENS1_20scan_config_selectorIfEEZZNS1_9scan_implILNS1_25lookback_scan_determinismE0ELb1ELb1ES3_N6thrust23THRUST_200600_302600_NS6detail15normal_iteratorINS9_10device_ptrIjEEEENSB_INSC_IiEEEEfNS9_4plusIvEEfEEDaPvRmT3_T4_T5_mT6_P12ihipStream_tbENKUlT_T0_E_clISt17integral_constantIbLb0EESW_EEDaSR_SS_EUlSR_E_NS1_11comp_targetILNS1_3genE0ELNS1_11target_archE4294967295ELNS1_3gpuE0ELNS1_3repE0EEENS1_30default_config_static_selectorELNS0_4arch9wavefront6targetE1EEEvT1_
; %bb.0:
	.section	.rodata,"a",@progbits
	.p2align	6, 0x0
	.amdhsa_kernel _ZN7rocprim17ROCPRIM_400000_NS6detail17trampoline_kernelINS0_14default_configENS1_20scan_config_selectorIfEEZZNS1_9scan_implILNS1_25lookback_scan_determinismE0ELb1ELb1ES3_N6thrust23THRUST_200600_302600_NS6detail15normal_iteratorINS9_10device_ptrIjEEEENSB_INSC_IiEEEEfNS9_4plusIvEEfEEDaPvRmT3_T4_T5_mT6_P12ihipStream_tbENKUlT_T0_E_clISt17integral_constantIbLb0EESW_EEDaSR_SS_EUlSR_E_NS1_11comp_targetILNS1_3genE0ELNS1_11target_archE4294967295ELNS1_3gpuE0ELNS1_3repE0EEENS1_30default_config_static_selectorELNS0_4arch9wavefront6targetE1EEEvT1_
		.amdhsa_group_segment_fixed_size 0
		.amdhsa_private_segment_fixed_size 0
		.amdhsa_kernarg_size 96
		.amdhsa_user_sgpr_count 6
		.amdhsa_user_sgpr_private_segment_buffer 1
		.amdhsa_user_sgpr_dispatch_ptr 0
		.amdhsa_user_sgpr_queue_ptr 0
		.amdhsa_user_sgpr_kernarg_segment_ptr 1
		.amdhsa_user_sgpr_dispatch_id 0
		.amdhsa_user_sgpr_flat_scratch_init 0
		.amdhsa_user_sgpr_kernarg_preload_length 0
		.amdhsa_user_sgpr_kernarg_preload_offset 0
		.amdhsa_user_sgpr_private_segment_size 0
		.amdhsa_uses_dynamic_stack 0
		.amdhsa_system_sgpr_private_segment_wavefront_offset 0
		.amdhsa_system_sgpr_workgroup_id_x 1
		.amdhsa_system_sgpr_workgroup_id_y 0
		.amdhsa_system_sgpr_workgroup_id_z 0
		.amdhsa_system_sgpr_workgroup_info 0
		.amdhsa_system_vgpr_workitem_id 0
		.amdhsa_next_free_vgpr 1
		.amdhsa_next_free_sgpr 0
		.amdhsa_accum_offset 4
		.amdhsa_reserve_vcc 0
		.amdhsa_reserve_flat_scratch 0
		.amdhsa_float_round_mode_32 0
		.amdhsa_float_round_mode_16_64 0
		.amdhsa_float_denorm_mode_32 3
		.amdhsa_float_denorm_mode_16_64 3
		.amdhsa_dx10_clamp 1
		.amdhsa_ieee_mode 1
		.amdhsa_fp16_overflow 0
		.amdhsa_tg_split 0
		.amdhsa_exception_fp_ieee_invalid_op 0
		.amdhsa_exception_fp_denorm_src 0
		.amdhsa_exception_fp_ieee_div_zero 0
		.amdhsa_exception_fp_ieee_overflow 0
		.amdhsa_exception_fp_ieee_underflow 0
		.amdhsa_exception_fp_ieee_inexact 0
		.amdhsa_exception_int_div_zero 0
	.end_amdhsa_kernel
	.section	.text._ZN7rocprim17ROCPRIM_400000_NS6detail17trampoline_kernelINS0_14default_configENS1_20scan_config_selectorIfEEZZNS1_9scan_implILNS1_25lookback_scan_determinismE0ELb1ELb1ES3_N6thrust23THRUST_200600_302600_NS6detail15normal_iteratorINS9_10device_ptrIjEEEENSB_INSC_IiEEEEfNS9_4plusIvEEfEEDaPvRmT3_T4_T5_mT6_P12ihipStream_tbENKUlT_T0_E_clISt17integral_constantIbLb0EESW_EEDaSR_SS_EUlSR_E_NS1_11comp_targetILNS1_3genE0ELNS1_11target_archE4294967295ELNS1_3gpuE0ELNS1_3repE0EEENS1_30default_config_static_selectorELNS0_4arch9wavefront6targetE1EEEvT1_,"axG",@progbits,_ZN7rocprim17ROCPRIM_400000_NS6detail17trampoline_kernelINS0_14default_configENS1_20scan_config_selectorIfEEZZNS1_9scan_implILNS1_25lookback_scan_determinismE0ELb1ELb1ES3_N6thrust23THRUST_200600_302600_NS6detail15normal_iteratorINS9_10device_ptrIjEEEENSB_INSC_IiEEEEfNS9_4plusIvEEfEEDaPvRmT3_T4_T5_mT6_P12ihipStream_tbENKUlT_T0_E_clISt17integral_constantIbLb0EESW_EEDaSR_SS_EUlSR_E_NS1_11comp_targetILNS1_3genE0ELNS1_11target_archE4294967295ELNS1_3gpuE0ELNS1_3repE0EEENS1_30default_config_static_selectorELNS0_4arch9wavefront6targetE1EEEvT1_,comdat
.Lfunc_end6304:
	.size	_ZN7rocprim17ROCPRIM_400000_NS6detail17trampoline_kernelINS0_14default_configENS1_20scan_config_selectorIfEEZZNS1_9scan_implILNS1_25lookback_scan_determinismE0ELb1ELb1ES3_N6thrust23THRUST_200600_302600_NS6detail15normal_iteratorINS9_10device_ptrIjEEEENSB_INSC_IiEEEEfNS9_4plusIvEEfEEDaPvRmT3_T4_T5_mT6_P12ihipStream_tbENKUlT_T0_E_clISt17integral_constantIbLb0EESW_EEDaSR_SS_EUlSR_E_NS1_11comp_targetILNS1_3genE0ELNS1_11target_archE4294967295ELNS1_3gpuE0ELNS1_3repE0EEENS1_30default_config_static_selectorELNS0_4arch9wavefront6targetE1EEEvT1_, .Lfunc_end6304-_ZN7rocprim17ROCPRIM_400000_NS6detail17trampoline_kernelINS0_14default_configENS1_20scan_config_selectorIfEEZZNS1_9scan_implILNS1_25lookback_scan_determinismE0ELb1ELb1ES3_N6thrust23THRUST_200600_302600_NS6detail15normal_iteratorINS9_10device_ptrIjEEEENSB_INSC_IiEEEEfNS9_4plusIvEEfEEDaPvRmT3_T4_T5_mT6_P12ihipStream_tbENKUlT_T0_E_clISt17integral_constantIbLb0EESW_EEDaSR_SS_EUlSR_E_NS1_11comp_targetILNS1_3genE0ELNS1_11target_archE4294967295ELNS1_3gpuE0ELNS1_3repE0EEENS1_30default_config_static_selectorELNS0_4arch9wavefront6targetE1EEEvT1_
                                        ; -- End function
	.section	.AMDGPU.csdata,"",@progbits
; Kernel info:
; codeLenInByte = 0
; NumSgprs: 4
; NumVgprs: 0
; NumAgprs: 0
; TotalNumVgprs: 0
; ScratchSize: 0
; MemoryBound: 0
; FloatMode: 240
; IeeeMode: 1
; LDSByteSize: 0 bytes/workgroup (compile time only)
; SGPRBlocks: 0
; VGPRBlocks: 0
; NumSGPRsForWavesPerEU: 4
; NumVGPRsForWavesPerEU: 1
; AccumOffset: 4
; Occupancy: 8
; WaveLimiterHint : 0
; COMPUTE_PGM_RSRC2:SCRATCH_EN: 0
; COMPUTE_PGM_RSRC2:USER_SGPR: 6
; COMPUTE_PGM_RSRC2:TRAP_HANDLER: 0
; COMPUTE_PGM_RSRC2:TGID_X_EN: 1
; COMPUTE_PGM_RSRC2:TGID_Y_EN: 0
; COMPUTE_PGM_RSRC2:TGID_Z_EN: 0
; COMPUTE_PGM_RSRC2:TIDIG_COMP_CNT: 0
; COMPUTE_PGM_RSRC3_GFX90A:ACCUM_OFFSET: 0
; COMPUTE_PGM_RSRC3_GFX90A:TG_SPLIT: 0
	.section	.text._ZN7rocprim17ROCPRIM_400000_NS6detail17trampoline_kernelINS0_14default_configENS1_20scan_config_selectorIfEEZZNS1_9scan_implILNS1_25lookback_scan_determinismE0ELb1ELb1ES3_N6thrust23THRUST_200600_302600_NS6detail15normal_iteratorINS9_10device_ptrIjEEEENSB_INSC_IiEEEEfNS9_4plusIvEEfEEDaPvRmT3_T4_T5_mT6_P12ihipStream_tbENKUlT_T0_E_clISt17integral_constantIbLb0EESW_EEDaSR_SS_EUlSR_E_NS1_11comp_targetILNS1_3genE5ELNS1_11target_archE942ELNS1_3gpuE9ELNS1_3repE0EEENS1_30default_config_static_selectorELNS0_4arch9wavefront6targetE1EEEvT1_,"axG",@progbits,_ZN7rocprim17ROCPRIM_400000_NS6detail17trampoline_kernelINS0_14default_configENS1_20scan_config_selectorIfEEZZNS1_9scan_implILNS1_25lookback_scan_determinismE0ELb1ELb1ES3_N6thrust23THRUST_200600_302600_NS6detail15normal_iteratorINS9_10device_ptrIjEEEENSB_INSC_IiEEEEfNS9_4plusIvEEfEEDaPvRmT3_T4_T5_mT6_P12ihipStream_tbENKUlT_T0_E_clISt17integral_constantIbLb0EESW_EEDaSR_SS_EUlSR_E_NS1_11comp_targetILNS1_3genE5ELNS1_11target_archE942ELNS1_3gpuE9ELNS1_3repE0EEENS1_30default_config_static_selectorELNS0_4arch9wavefront6targetE1EEEvT1_,comdat
	.protected	_ZN7rocprim17ROCPRIM_400000_NS6detail17trampoline_kernelINS0_14default_configENS1_20scan_config_selectorIfEEZZNS1_9scan_implILNS1_25lookback_scan_determinismE0ELb1ELb1ES3_N6thrust23THRUST_200600_302600_NS6detail15normal_iteratorINS9_10device_ptrIjEEEENSB_INSC_IiEEEEfNS9_4plusIvEEfEEDaPvRmT3_T4_T5_mT6_P12ihipStream_tbENKUlT_T0_E_clISt17integral_constantIbLb0EESW_EEDaSR_SS_EUlSR_E_NS1_11comp_targetILNS1_3genE5ELNS1_11target_archE942ELNS1_3gpuE9ELNS1_3repE0EEENS1_30default_config_static_selectorELNS0_4arch9wavefront6targetE1EEEvT1_ ; -- Begin function _ZN7rocprim17ROCPRIM_400000_NS6detail17trampoline_kernelINS0_14default_configENS1_20scan_config_selectorIfEEZZNS1_9scan_implILNS1_25lookback_scan_determinismE0ELb1ELb1ES3_N6thrust23THRUST_200600_302600_NS6detail15normal_iteratorINS9_10device_ptrIjEEEENSB_INSC_IiEEEEfNS9_4plusIvEEfEEDaPvRmT3_T4_T5_mT6_P12ihipStream_tbENKUlT_T0_E_clISt17integral_constantIbLb0EESW_EEDaSR_SS_EUlSR_E_NS1_11comp_targetILNS1_3genE5ELNS1_11target_archE942ELNS1_3gpuE9ELNS1_3repE0EEENS1_30default_config_static_selectorELNS0_4arch9wavefront6targetE1EEEvT1_
	.globl	_ZN7rocprim17ROCPRIM_400000_NS6detail17trampoline_kernelINS0_14default_configENS1_20scan_config_selectorIfEEZZNS1_9scan_implILNS1_25lookback_scan_determinismE0ELb1ELb1ES3_N6thrust23THRUST_200600_302600_NS6detail15normal_iteratorINS9_10device_ptrIjEEEENSB_INSC_IiEEEEfNS9_4plusIvEEfEEDaPvRmT3_T4_T5_mT6_P12ihipStream_tbENKUlT_T0_E_clISt17integral_constantIbLb0EESW_EEDaSR_SS_EUlSR_E_NS1_11comp_targetILNS1_3genE5ELNS1_11target_archE942ELNS1_3gpuE9ELNS1_3repE0EEENS1_30default_config_static_selectorELNS0_4arch9wavefront6targetE1EEEvT1_
	.p2align	8
	.type	_ZN7rocprim17ROCPRIM_400000_NS6detail17trampoline_kernelINS0_14default_configENS1_20scan_config_selectorIfEEZZNS1_9scan_implILNS1_25lookback_scan_determinismE0ELb1ELb1ES3_N6thrust23THRUST_200600_302600_NS6detail15normal_iteratorINS9_10device_ptrIjEEEENSB_INSC_IiEEEEfNS9_4plusIvEEfEEDaPvRmT3_T4_T5_mT6_P12ihipStream_tbENKUlT_T0_E_clISt17integral_constantIbLb0EESW_EEDaSR_SS_EUlSR_E_NS1_11comp_targetILNS1_3genE5ELNS1_11target_archE942ELNS1_3gpuE9ELNS1_3repE0EEENS1_30default_config_static_selectorELNS0_4arch9wavefront6targetE1EEEvT1_,@function
_ZN7rocprim17ROCPRIM_400000_NS6detail17trampoline_kernelINS0_14default_configENS1_20scan_config_selectorIfEEZZNS1_9scan_implILNS1_25lookback_scan_determinismE0ELb1ELb1ES3_N6thrust23THRUST_200600_302600_NS6detail15normal_iteratorINS9_10device_ptrIjEEEENSB_INSC_IiEEEEfNS9_4plusIvEEfEEDaPvRmT3_T4_T5_mT6_P12ihipStream_tbENKUlT_T0_E_clISt17integral_constantIbLb0EESW_EEDaSR_SS_EUlSR_E_NS1_11comp_targetILNS1_3genE5ELNS1_11target_archE942ELNS1_3gpuE9ELNS1_3repE0EEENS1_30default_config_static_selectorELNS0_4arch9wavefront6targetE1EEEvT1_: ; @_ZN7rocprim17ROCPRIM_400000_NS6detail17trampoline_kernelINS0_14default_configENS1_20scan_config_selectorIfEEZZNS1_9scan_implILNS1_25lookback_scan_determinismE0ELb1ELb1ES3_N6thrust23THRUST_200600_302600_NS6detail15normal_iteratorINS9_10device_ptrIjEEEENSB_INSC_IiEEEEfNS9_4plusIvEEfEEDaPvRmT3_T4_T5_mT6_P12ihipStream_tbENKUlT_T0_E_clISt17integral_constantIbLb0EESW_EEDaSR_SS_EUlSR_E_NS1_11comp_targetILNS1_3genE5ELNS1_11target_archE942ELNS1_3gpuE9ELNS1_3repE0EEENS1_30default_config_static_selectorELNS0_4arch9wavefront6targetE1EEEvT1_
; %bb.0:
	.section	.rodata,"a",@progbits
	.p2align	6, 0x0
	.amdhsa_kernel _ZN7rocprim17ROCPRIM_400000_NS6detail17trampoline_kernelINS0_14default_configENS1_20scan_config_selectorIfEEZZNS1_9scan_implILNS1_25lookback_scan_determinismE0ELb1ELb1ES3_N6thrust23THRUST_200600_302600_NS6detail15normal_iteratorINS9_10device_ptrIjEEEENSB_INSC_IiEEEEfNS9_4plusIvEEfEEDaPvRmT3_T4_T5_mT6_P12ihipStream_tbENKUlT_T0_E_clISt17integral_constantIbLb0EESW_EEDaSR_SS_EUlSR_E_NS1_11comp_targetILNS1_3genE5ELNS1_11target_archE942ELNS1_3gpuE9ELNS1_3repE0EEENS1_30default_config_static_selectorELNS0_4arch9wavefront6targetE1EEEvT1_
		.amdhsa_group_segment_fixed_size 0
		.amdhsa_private_segment_fixed_size 0
		.amdhsa_kernarg_size 96
		.amdhsa_user_sgpr_count 6
		.amdhsa_user_sgpr_private_segment_buffer 1
		.amdhsa_user_sgpr_dispatch_ptr 0
		.amdhsa_user_sgpr_queue_ptr 0
		.amdhsa_user_sgpr_kernarg_segment_ptr 1
		.amdhsa_user_sgpr_dispatch_id 0
		.amdhsa_user_sgpr_flat_scratch_init 0
		.amdhsa_user_sgpr_kernarg_preload_length 0
		.amdhsa_user_sgpr_kernarg_preload_offset 0
		.amdhsa_user_sgpr_private_segment_size 0
		.amdhsa_uses_dynamic_stack 0
		.amdhsa_system_sgpr_private_segment_wavefront_offset 0
		.amdhsa_system_sgpr_workgroup_id_x 1
		.amdhsa_system_sgpr_workgroup_id_y 0
		.amdhsa_system_sgpr_workgroup_id_z 0
		.amdhsa_system_sgpr_workgroup_info 0
		.amdhsa_system_vgpr_workitem_id 0
		.amdhsa_next_free_vgpr 1
		.amdhsa_next_free_sgpr 0
		.amdhsa_accum_offset 4
		.amdhsa_reserve_vcc 0
		.amdhsa_reserve_flat_scratch 0
		.amdhsa_float_round_mode_32 0
		.amdhsa_float_round_mode_16_64 0
		.amdhsa_float_denorm_mode_32 3
		.amdhsa_float_denorm_mode_16_64 3
		.amdhsa_dx10_clamp 1
		.amdhsa_ieee_mode 1
		.amdhsa_fp16_overflow 0
		.amdhsa_tg_split 0
		.amdhsa_exception_fp_ieee_invalid_op 0
		.amdhsa_exception_fp_denorm_src 0
		.amdhsa_exception_fp_ieee_div_zero 0
		.amdhsa_exception_fp_ieee_overflow 0
		.amdhsa_exception_fp_ieee_underflow 0
		.amdhsa_exception_fp_ieee_inexact 0
		.amdhsa_exception_int_div_zero 0
	.end_amdhsa_kernel
	.section	.text._ZN7rocprim17ROCPRIM_400000_NS6detail17trampoline_kernelINS0_14default_configENS1_20scan_config_selectorIfEEZZNS1_9scan_implILNS1_25lookback_scan_determinismE0ELb1ELb1ES3_N6thrust23THRUST_200600_302600_NS6detail15normal_iteratorINS9_10device_ptrIjEEEENSB_INSC_IiEEEEfNS9_4plusIvEEfEEDaPvRmT3_T4_T5_mT6_P12ihipStream_tbENKUlT_T0_E_clISt17integral_constantIbLb0EESW_EEDaSR_SS_EUlSR_E_NS1_11comp_targetILNS1_3genE5ELNS1_11target_archE942ELNS1_3gpuE9ELNS1_3repE0EEENS1_30default_config_static_selectorELNS0_4arch9wavefront6targetE1EEEvT1_,"axG",@progbits,_ZN7rocprim17ROCPRIM_400000_NS6detail17trampoline_kernelINS0_14default_configENS1_20scan_config_selectorIfEEZZNS1_9scan_implILNS1_25lookback_scan_determinismE0ELb1ELb1ES3_N6thrust23THRUST_200600_302600_NS6detail15normal_iteratorINS9_10device_ptrIjEEEENSB_INSC_IiEEEEfNS9_4plusIvEEfEEDaPvRmT3_T4_T5_mT6_P12ihipStream_tbENKUlT_T0_E_clISt17integral_constantIbLb0EESW_EEDaSR_SS_EUlSR_E_NS1_11comp_targetILNS1_3genE5ELNS1_11target_archE942ELNS1_3gpuE9ELNS1_3repE0EEENS1_30default_config_static_selectorELNS0_4arch9wavefront6targetE1EEEvT1_,comdat
.Lfunc_end6305:
	.size	_ZN7rocprim17ROCPRIM_400000_NS6detail17trampoline_kernelINS0_14default_configENS1_20scan_config_selectorIfEEZZNS1_9scan_implILNS1_25lookback_scan_determinismE0ELb1ELb1ES3_N6thrust23THRUST_200600_302600_NS6detail15normal_iteratorINS9_10device_ptrIjEEEENSB_INSC_IiEEEEfNS9_4plusIvEEfEEDaPvRmT3_T4_T5_mT6_P12ihipStream_tbENKUlT_T0_E_clISt17integral_constantIbLb0EESW_EEDaSR_SS_EUlSR_E_NS1_11comp_targetILNS1_3genE5ELNS1_11target_archE942ELNS1_3gpuE9ELNS1_3repE0EEENS1_30default_config_static_selectorELNS0_4arch9wavefront6targetE1EEEvT1_, .Lfunc_end6305-_ZN7rocprim17ROCPRIM_400000_NS6detail17trampoline_kernelINS0_14default_configENS1_20scan_config_selectorIfEEZZNS1_9scan_implILNS1_25lookback_scan_determinismE0ELb1ELb1ES3_N6thrust23THRUST_200600_302600_NS6detail15normal_iteratorINS9_10device_ptrIjEEEENSB_INSC_IiEEEEfNS9_4plusIvEEfEEDaPvRmT3_T4_T5_mT6_P12ihipStream_tbENKUlT_T0_E_clISt17integral_constantIbLb0EESW_EEDaSR_SS_EUlSR_E_NS1_11comp_targetILNS1_3genE5ELNS1_11target_archE942ELNS1_3gpuE9ELNS1_3repE0EEENS1_30default_config_static_selectorELNS0_4arch9wavefront6targetE1EEEvT1_
                                        ; -- End function
	.section	.AMDGPU.csdata,"",@progbits
; Kernel info:
; codeLenInByte = 0
; NumSgprs: 4
; NumVgprs: 0
; NumAgprs: 0
; TotalNumVgprs: 0
; ScratchSize: 0
; MemoryBound: 0
; FloatMode: 240
; IeeeMode: 1
; LDSByteSize: 0 bytes/workgroup (compile time only)
; SGPRBlocks: 0
; VGPRBlocks: 0
; NumSGPRsForWavesPerEU: 4
; NumVGPRsForWavesPerEU: 1
; AccumOffset: 4
; Occupancy: 8
; WaveLimiterHint : 0
; COMPUTE_PGM_RSRC2:SCRATCH_EN: 0
; COMPUTE_PGM_RSRC2:USER_SGPR: 6
; COMPUTE_PGM_RSRC2:TRAP_HANDLER: 0
; COMPUTE_PGM_RSRC2:TGID_X_EN: 1
; COMPUTE_PGM_RSRC2:TGID_Y_EN: 0
; COMPUTE_PGM_RSRC2:TGID_Z_EN: 0
; COMPUTE_PGM_RSRC2:TIDIG_COMP_CNT: 0
; COMPUTE_PGM_RSRC3_GFX90A:ACCUM_OFFSET: 0
; COMPUTE_PGM_RSRC3_GFX90A:TG_SPLIT: 0
	.section	.text._ZN7rocprim17ROCPRIM_400000_NS6detail17trampoline_kernelINS0_14default_configENS1_20scan_config_selectorIfEEZZNS1_9scan_implILNS1_25lookback_scan_determinismE0ELb1ELb1ES3_N6thrust23THRUST_200600_302600_NS6detail15normal_iteratorINS9_10device_ptrIjEEEENSB_INSC_IiEEEEfNS9_4plusIvEEfEEDaPvRmT3_T4_T5_mT6_P12ihipStream_tbENKUlT_T0_E_clISt17integral_constantIbLb0EESW_EEDaSR_SS_EUlSR_E_NS1_11comp_targetILNS1_3genE4ELNS1_11target_archE910ELNS1_3gpuE8ELNS1_3repE0EEENS1_30default_config_static_selectorELNS0_4arch9wavefront6targetE1EEEvT1_,"axG",@progbits,_ZN7rocprim17ROCPRIM_400000_NS6detail17trampoline_kernelINS0_14default_configENS1_20scan_config_selectorIfEEZZNS1_9scan_implILNS1_25lookback_scan_determinismE0ELb1ELb1ES3_N6thrust23THRUST_200600_302600_NS6detail15normal_iteratorINS9_10device_ptrIjEEEENSB_INSC_IiEEEEfNS9_4plusIvEEfEEDaPvRmT3_T4_T5_mT6_P12ihipStream_tbENKUlT_T0_E_clISt17integral_constantIbLb0EESW_EEDaSR_SS_EUlSR_E_NS1_11comp_targetILNS1_3genE4ELNS1_11target_archE910ELNS1_3gpuE8ELNS1_3repE0EEENS1_30default_config_static_selectorELNS0_4arch9wavefront6targetE1EEEvT1_,comdat
	.protected	_ZN7rocprim17ROCPRIM_400000_NS6detail17trampoline_kernelINS0_14default_configENS1_20scan_config_selectorIfEEZZNS1_9scan_implILNS1_25lookback_scan_determinismE0ELb1ELb1ES3_N6thrust23THRUST_200600_302600_NS6detail15normal_iteratorINS9_10device_ptrIjEEEENSB_INSC_IiEEEEfNS9_4plusIvEEfEEDaPvRmT3_T4_T5_mT6_P12ihipStream_tbENKUlT_T0_E_clISt17integral_constantIbLb0EESW_EEDaSR_SS_EUlSR_E_NS1_11comp_targetILNS1_3genE4ELNS1_11target_archE910ELNS1_3gpuE8ELNS1_3repE0EEENS1_30default_config_static_selectorELNS0_4arch9wavefront6targetE1EEEvT1_ ; -- Begin function _ZN7rocprim17ROCPRIM_400000_NS6detail17trampoline_kernelINS0_14default_configENS1_20scan_config_selectorIfEEZZNS1_9scan_implILNS1_25lookback_scan_determinismE0ELb1ELb1ES3_N6thrust23THRUST_200600_302600_NS6detail15normal_iteratorINS9_10device_ptrIjEEEENSB_INSC_IiEEEEfNS9_4plusIvEEfEEDaPvRmT3_T4_T5_mT6_P12ihipStream_tbENKUlT_T0_E_clISt17integral_constantIbLb0EESW_EEDaSR_SS_EUlSR_E_NS1_11comp_targetILNS1_3genE4ELNS1_11target_archE910ELNS1_3gpuE8ELNS1_3repE0EEENS1_30default_config_static_selectorELNS0_4arch9wavefront6targetE1EEEvT1_
	.globl	_ZN7rocprim17ROCPRIM_400000_NS6detail17trampoline_kernelINS0_14default_configENS1_20scan_config_selectorIfEEZZNS1_9scan_implILNS1_25lookback_scan_determinismE0ELb1ELb1ES3_N6thrust23THRUST_200600_302600_NS6detail15normal_iteratorINS9_10device_ptrIjEEEENSB_INSC_IiEEEEfNS9_4plusIvEEfEEDaPvRmT3_T4_T5_mT6_P12ihipStream_tbENKUlT_T0_E_clISt17integral_constantIbLb0EESW_EEDaSR_SS_EUlSR_E_NS1_11comp_targetILNS1_3genE4ELNS1_11target_archE910ELNS1_3gpuE8ELNS1_3repE0EEENS1_30default_config_static_selectorELNS0_4arch9wavefront6targetE1EEEvT1_
	.p2align	8
	.type	_ZN7rocprim17ROCPRIM_400000_NS6detail17trampoline_kernelINS0_14default_configENS1_20scan_config_selectorIfEEZZNS1_9scan_implILNS1_25lookback_scan_determinismE0ELb1ELb1ES3_N6thrust23THRUST_200600_302600_NS6detail15normal_iteratorINS9_10device_ptrIjEEEENSB_INSC_IiEEEEfNS9_4plusIvEEfEEDaPvRmT3_T4_T5_mT6_P12ihipStream_tbENKUlT_T0_E_clISt17integral_constantIbLb0EESW_EEDaSR_SS_EUlSR_E_NS1_11comp_targetILNS1_3genE4ELNS1_11target_archE910ELNS1_3gpuE8ELNS1_3repE0EEENS1_30default_config_static_selectorELNS0_4arch9wavefront6targetE1EEEvT1_,@function
_ZN7rocprim17ROCPRIM_400000_NS6detail17trampoline_kernelINS0_14default_configENS1_20scan_config_selectorIfEEZZNS1_9scan_implILNS1_25lookback_scan_determinismE0ELb1ELb1ES3_N6thrust23THRUST_200600_302600_NS6detail15normal_iteratorINS9_10device_ptrIjEEEENSB_INSC_IiEEEEfNS9_4plusIvEEfEEDaPvRmT3_T4_T5_mT6_P12ihipStream_tbENKUlT_T0_E_clISt17integral_constantIbLb0EESW_EEDaSR_SS_EUlSR_E_NS1_11comp_targetILNS1_3genE4ELNS1_11target_archE910ELNS1_3gpuE8ELNS1_3repE0EEENS1_30default_config_static_selectorELNS0_4arch9wavefront6targetE1EEEvT1_: ; @_ZN7rocprim17ROCPRIM_400000_NS6detail17trampoline_kernelINS0_14default_configENS1_20scan_config_selectorIfEEZZNS1_9scan_implILNS1_25lookback_scan_determinismE0ELb1ELb1ES3_N6thrust23THRUST_200600_302600_NS6detail15normal_iteratorINS9_10device_ptrIjEEEENSB_INSC_IiEEEEfNS9_4plusIvEEfEEDaPvRmT3_T4_T5_mT6_P12ihipStream_tbENKUlT_T0_E_clISt17integral_constantIbLb0EESW_EEDaSR_SS_EUlSR_E_NS1_11comp_targetILNS1_3genE4ELNS1_11target_archE910ELNS1_3gpuE8ELNS1_3repE0EEENS1_30default_config_static_selectorELNS0_4arch9wavefront6targetE1EEEvT1_
; %bb.0:
	s_load_dwordx8 s[12:19], s[4:5], 0x0
	s_load_dword s1, s[4:5], 0x30
	s_mul_i32 s0, s6, 0x700
	v_lshlrev_b32_e32 v32, 2, v0
	s_waitcnt lgkmcnt(0)
	s_lshl_b64 s[20:21], s[14:15], 2
	s_add_u32 s29, s12, s20
	s_addc_u32 s30, s13, s21
	s_add_i32 s2, s1, -1
	s_mul_i32 s3, s2, 0x700
	s_sub_u32 s7, s18, s3
	s_subb_u32 s28, s19, 0
	s_mov_b32 s1, 0
	s_cmp_lg_u32 s6, s2
	s_cselect_b64 s[18:19], -1, 0
	s_lshl_b64 s[22:23], s[0:1], 2
	s_add_u32 s2, s29, s22
	s_addc_u32 s3, s30, s23
	s_mov_b64 s[0:1], -1
	s_and_b64 vcc, exec, s[18:19]
	s_cbranch_vccz .LBB6306_2
; %bb.1:
	v_mov_b32_e32 v1, s3
	v_add_co_u32_e32 v2, vcc, s2, v32
	v_addc_co_u32_e32 v3, vcc, 0, v1, vcc
	s_movk_i32 s0, 0x1000
	flat_load_dword v1, v[2:3]
	flat_load_dword v4, v[2:3] offset:512
	flat_load_dword v5, v[2:3] offset:1024
	;; [unrolled: 1-line block ×7, first 2 shown]
	v_add_co_u32_e32 v2, vcc, s0, v2
	v_addc_co_u32_e32 v3, vcc, 0, v3, vcc
	flat_load_dword v11, v[2:3]
	flat_load_dword v12, v[2:3] offset:512
	flat_load_dword v13, v[2:3] offset:1024
	;; [unrolled: 1-line block ×5, first 2 shown]
	s_mov_b64 s[0:1], 0
	s_waitcnt vmcnt(0) lgkmcnt(0)
	v_cvt_f32_u32_e32 v1, v1
	v_cvt_f32_u32_e32 v2, v4
	;; [unrolled: 1-line block ×14, first 2 shown]
	ds_write2st64_b32 v32, v1, v2 offset1:2
	ds_write2st64_b32 v32, v3, v4 offset0:4 offset1:6
	ds_write2st64_b32 v32, v5, v6 offset0:8 offset1:10
	;; [unrolled: 1-line block ×6, first 2 shown]
	s_waitcnt lgkmcnt(0)
	s_barrier
.LBB6306_2:
	s_load_dwordx2 s[24:25], s[4:5], 0x28
	s_andn2_b64 vcc, exec, s[0:1]
	v_cmp_gt_u32_e64 s[0:1], s7, v0
	s_cbranch_vccnz .LBB6306_32
; %bb.3:
	v_pk_mov_b32 v[2:3], s[2:3], s[2:3] op_sel:[0,1]
	flat_load_dword v1, v[2:3]
	s_waitcnt vmcnt(0) lgkmcnt(0)
	v_cvt_f32_u32_e32 v1, v1
	v_mov_b32_e32 v2, v1
	v_mov_b32_e32 v3, v1
	;; [unrolled: 1-line block ×12, first 2 shown]
	v_pk_mov_b32 v[16:17], v[14:15], v[14:15] op_sel:[0,1]
	v_pk_mov_b32 v[14:15], v[12:13], v[12:13] op_sel:[0,1]
	;; [unrolled: 1-line block ×8, first 2 shown]
	s_and_saveexec_b64 s[8:9], s[0:1]
	s_cbranch_execz .LBB6306_5
; %bb.4:
	v_mov_b32_e32 v3, s3
	v_add_co_u32_e32 v2, vcc, s2, v32
	v_addc_co_u32_e32 v3, vcc, 0, v3, vcc
	flat_load_dword v11, v[2:3]
	v_mov_b32_e32 v2, v1
	v_mov_b32_e32 v3, v1
	;; [unrolled: 1-line block ×11, first 2 shown]
	s_waitcnt vmcnt(0) lgkmcnt(0)
	v_cvt_f32_u32_e32 v18, v11
	v_mov_b32_e32 v11, v1
	v_pk_mov_b32 v[16:17], v[14:15], v[14:15] op_sel:[0,1]
	v_pk_mov_b32 v[14:15], v[12:13], v[12:13] op_sel:[0,1]
	;; [unrolled: 1-line block ×8, first 2 shown]
	v_mov_b32_e32 v1, v18
.LBB6306_5:
	s_or_b64 exec, exec, s[8:9]
	v_or_b32_e32 v2, 0x80, v0
	v_cmp_gt_u32_e32 vcc, s7, v2
	s_and_saveexec_b64 s[0:1], vcc
	s_cbranch_execz .LBB6306_7
; %bb.6:
	v_mov_b32_e32 v3, s3
	v_add_co_u32_e32 v2, vcc, s2, v32
	v_addc_co_u32_e32 v3, vcc, 0, v3, vcc
	flat_load_dword v2, v[2:3] offset:512
	s_waitcnt vmcnt(0) lgkmcnt(0)
	v_cvt_f32_u32_e32 v3, v2
.LBB6306_7:
	s_or_b64 exec, exec, s[0:1]
	v_or_b32_e32 v2, 0x100, v0
	v_cmp_gt_u32_e32 vcc, s7, v2
	s_and_saveexec_b64 s[0:1], vcc
	s_cbranch_execz .LBB6306_9
; %bb.8:
	v_mov_b32_e32 v2, s3
	v_add_co_u32_e32 v16, vcc, s2, v32
	v_addc_co_u32_e32 v17, vcc, 0, v2, vcc
	flat_load_dword v2, v[16:17] offset:1024
	s_waitcnt vmcnt(0) lgkmcnt(0)
	v_cvt_f32_u32_e32 v4, v2
.LBB6306_9:
	;; [unrolled: 13-line block ×7, first 2 shown]
	s_or_b64 exec, exec, s[0:1]
	v_or_b32_e32 v2, 0x400, v0
	v_cmp_gt_u32_e32 vcc, s7, v2
	s_and_saveexec_b64 s[0:1], vcc
	s_cbranch_execz .LBB6306_21
; %bb.20:
	v_lshlrev_b32_e32 v2, 2, v2
	v_mov_b32_e32 v10, s3
	v_add_co_u32_e32 v16, vcc, s2, v2
	v_addc_co_u32_e32 v17, vcc, 0, v10, vcc
	flat_load_dword v2, v[16:17]
	s_waitcnt vmcnt(0) lgkmcnt(0)
	v_cvt_f32_u32_e32 v10, v2
.LBB6306_21:
	s_or_b64 exec, exec, s[0:1]
	v_or_b32_e32 v2, 0x480, v0
	v_cmp_gt_u32_e32 vcc, s7, v2
	s_and_saveexec_b64 s[0:1], vcc
	s_cbranch_execz .LBB6306_23
; %bb.22:
	v_lshlrev_b32_e32 v2, 2, v2
	v_mov_b32_e32 v11, s3
	v_add_co_u32_e32 v16, vcc, s2, v2
	v_addc_co_u32_e32 v17, vcc, 0, v11, vcc
	flat_load_dword v2, v[16:17]
	s_waitcnt vmcnt(0) lgkmcnt(0)
	v_cvt_f32_u32_e32 v11, v2
.LBB6306_23:
	;; [unrolled: 14-line block ×6, first 2 shown]
	s_or_b64 exec, exec, s[0:1]
	ds_write2st64_b32 v32, v1, v3 offset1:2
	ds_write2st64_b32 v32, v4, v5 offset0:4 offset1:6
	ds_write2st64_b32 v32, v6, v7 offset0:8 offset1:10
	;; [unrolled: 1-line block ×6, first 2 shown]
	s_waitcnt lgkmcnt(0)
	s_barrier
.LBB6306_32:
	v_mul_u32_u24_e32 v33, 14, v0
	v_lshlrev_b32_e32 v34, 2, v33
	s_waitcnt lgkmcnt(0)
	ds_read2_b64 v[26:29], v34 offset1:1
	ds_read2_b64 v[22:25], v34 offset0:2 offset1:3
	ds_read2_b64 v[18:21], v34 offset0:4 offset1:5
	ds_read_b64 v[30:31], v34 offset:48
	s_cmp_lg_u32 s6, 0
	s_waitcnt lgkmcnt(3)
	v_add_f32_e32 v35, v26, v27
	v_lshrrev_b32_e32 v1, 5, v0
	v_cmp_gt_u32_e32 vcc, 64, v0
	s_waitcnt lgkmcnt(0)
	s_barrier
	s_cbranch_scc0 .LBB6306_57
; %bb.33:
	v_add_f32_e32 v2, v28, v35
	v_add_f32_e32 v2, v29, v2
	;; [unrolled: 1-line block ×12, first 2 shown]
	v_add_lshl_u32 v2, v1, v0, 2
	ds_write_b32 v2, v12
	s_waitcnt lgkmcnt(0)
	s_barrier
	s_and_saveexec_b64 s[10:11], vcc
	s_cbranch_execz .LBB6306_35
; %bb.34:
	v_lshlrev_b32_e32 v2, 1, v0
	v_lshrrev_b32_e32 v3, 4, v0
	v_add_lshl_u32 v4, v3, v2, 2
	ds_read2_b32 v[2:3], v4 offset1:1
	v_mbcnt_lo_u32_b32 v5, -1, 0
	v_mbcnt_hi_u32_b32 v5, -1, v5
	v_and_b32_e32 v6, 15, v5
	v_cmp_eq_u32_e64 s[0:1], 0, v6
	s_waitcnt lgkmcnt(0)
	v_add_f32_e32 v3, v2, v3
	v_cmp_lt_u32_e64 s[2:3], 3, v6
	v_cmp_lt_u32_e64 s[8:9], 31, v5
	v_mov_b32_dpp v7, v3 row_shr:1 row_mask:0xf bank_mask:0xf
	v_add_f32_e32 v7, v3, v7
	v_cndmask_b32_e64 v3, v7, v3, s[0:1]
	v_cmp_lt_u32_e64 s[0:1], 1, v6
	s_nop 0
	v_mov_b32_dpp v7, v3 row_shr:2 row_mask:0xf bank_mask:0xf
	v_add_f32_e32 v7, v3, v7
	v_cndmask_b32_e64 v7, v3, v7, s[0:1]
	; wave barrier
	s_nop 1
	v_mov_b32_dpp v8, v7 row_shr:4 row_mask:0xf bank_mask:0xf
	v_add_f32_e32 v8, v7, v8
	v_cndmask_b32_e64 v7, v7, v8, s[2:3]
	v_cmp_lt_u32_e64 s[2:3], 7, v6
	s_nop 0
	v_mov_b32_dpp v8, v7 row_shr:8 row_mask:0xf bank_mask:0xf
	v_add_f32_e32 v8, v7, v8
	v_cndmask_b32_e64 v6, v7, v8, s[2:3]
	v_and_b32_e32 v8, 16, v5
	v_cmp_eq_u32_e64 s[2:3], 0, v8
	v_mov_b32_dpp v7, v6 row_bcast:15 row_mask:0xf bank_mask:0xf
	v_add_f32_e32 v7, v6, v7
	v_cndmask_b32_e64 v6, v7, v6, s[2:3]
	v_cmp_lt_u32_e64 s[2:3], 15, v5
	s_or_b64 s[0:1], s[2:3], s[0:1]
	v_mov_b32_dpp v7, v6 row_bcast:31 row_mask:0xf bank_mask:0xf
	v_add_f32_e32 v7, v6, v7
	v_cndmask_b32_e64 v6, v6, v7, s[8:9]
	v_cndmask_b32_e64 v3, v3, v6, s[0:1]
	v_add_u32_e32 v6, -1, v5
	v_and_b32_e32 v7, 64, v5
	v_cmp_lt_i32_e64 s[0:1], v6, v7
	v_cndmask_b32_e64 v5, v6, v5, s[0:1]
	v_lshlrev_b32_e32 v5, 2, v5
	ds_bpermute_b32 v3, v5, v3
	v_cmp_eq_u32_e64 s[0:1], 0, v0
	s_waitcnt lgkmcnt(0)
	v_add_f32_e32 v2, v2, v3
	v_cndmask_b32_e64 v2, v2, v12, s[0:1]
	ds_write_b32 v4, v2
	; wave barrier
	ds_read_b32 v3, v4 offset:4
	s_waitcnt lgkmcnt(0)
	v_add_f32_e32 v2, v2, v3
	ds_write_b32 v4, v2 offset:4
.LBB6306_35:
	s_or_b64 exec, exec, s[10:11]
	v_cmp_eq_u32_e64 s[0:1], 0, v0
	v_cmp_ne_u32_e64 s[2:3], 0, v0
	s_waitcnt lgkmcnt(0)
	s_barrier
	s_and_saveexec_b64 s[8:9], s[2:3]
	s_cbranch_execz .LBB6306_37
; %bb.36:
	v_add_u32_e32 v2, -1, v0
	v_lshrrev_b32_e32 v3, 5, v2
	v_add_lshl_u32 v2, v3, v2, 2
	ds_read_b32 v12, v2
.LBB6306_37:
	s_or_b64 exec, exec, s[8:9]
	s_and_saveexec_b64 s[26:27], vcc
	s_cbranch_execz .LBB6306_56
; %bb.38:
	v_mov_b32_e32 v9, 0
	ds_read_b32 v2, v9 offset:520
	v_mbcnt_lo_u32_b32 v3, -1, 0
	v_mbcnt_hi_u32_b32 v5, -1, v3
	s_mov_b32 s11, 0
	v_cmp_eq_u32_e64 s[2:3], 0, v5
	s_and_saveexec_b64 s[8:9], s[2:3]
	s_cbranch_execz .LBB6306_40
; %bb.39:
	s_add_i32 s10, s6, 64
	s_lshl_b64 s[10:11], s[10:11], 3
	s_add_u32 s10, s24, s10
	v_mov_b32_e32 v3, 1
	s_addc_u32 s11, s25, s11
	s_waitcnt lgkmcnt(0)
	global_store_dwordx2 v9, v[2:3], s[10:11]
.LBB6306_40:
	s_or_b64 exec, exec, s[8:9]
	v_xad_u32 v4, v5, -1, s6
	v_add_u32_e32 v8, 64, v4
	v_lshlrev_b64 v[6:7], 3, v[8:9]
	v_mov_b32_e32 v3, s25
	v_add_co_u32_e32 v10, vcc, s24, v6
	v_addc_co_u32_e32 v11, vcc, v3, v7, vcc
	global_load_dwordx2 v[6:7], v[10:11], off glc
	s_waitcnt vmcnt(0)
	v_cmp_eq_u16_sdwa s[10:11], v7, v9 src0_sel:BYTE_0 src1_sel:DWORD
	s_and_saveexec_b64 s[8:9], s[10:11]
	s_cbranch_execz .LBB6306_44
; %bb.41:
	s_mov_b64 s[10:11], 0
	v_mov_b32_e32 v3, 0
.LBB6306_42:                            ; =>This Inner Loop Header: Depth=1
	global_load_dwordx2 v[6:7], v[10:11], off glc
	s_waitcnt vmcnt(0)
	v_cmp_ne_u16_sdwa s[12:13], v7, v3 src0_sel:BYTE_0 src1_sel:DWORD
	s_or_b64 s[10:11], s[12:13], s[10:11]
	s_andn2_b64 exec, exec, s[10:11]
	s_cbranch_execnz .LBB6306_42
; %bb.43:
	s_or_b64 exec, exec, s[10:11]
.LBB6306_44:
	s_or_b64 exec, exec, s[8:9]
	v_and_b32_e32 v13, 63, v5
	v_cmp_ne_u32_e32 vcc, 63, v13
	v_addc_co_u32_e32 v14, vcc, 0, v5, vcc
	v_mov_b32_e32 v3, 2
	v_lshlrev_b32_e32 v14, 2, v14
	v_cmp_eq_u16_sdwa s[8:9], v7, v3 src0_sel:BYTE_0 src1_sel:DWORD
	v_lshlrev_b64 v[8:9], v5, -1
	ds_bpermute_b32 v15, v14, v6
	v_and_b32_e32 v10, s9, v9
	v_or_b32_e32 v10, 0x80000000, v10
	v_and_b32_e32 v11, s8, v8
	v_ffbl_b32_e32 v10, v10
	v_add_u32_e32 v10, 32, v10
	v_ffbl_b32_e32 v11, v11
	v_cmp_gt_u32_e64 s[8:9], 62, v13
	v_min_u32_e32 v10, v11, v10
	s_waitcnt lgkmcnt(0)
	v_add_f32_e32 v11, v6, v15
	v_cndmask_b32_e64 v15, 0, 1, s[8:9]
	v_cmp_lt_u32_e32 vcc, v13, v10
	v_lshlrev_b32_e32 v15, 1, v15
	v_cndmask_b32_e32 v11, v6, v11, vcc
	v_add_lshl_u32 v15, v15, v5, 2
	ds_bpermute_b32 v17, v15, v11
	v_add_u32_e32 v16, 2, v13
	v_cmp_gt_u32_e64 s[8:9], v16, v10
	v_cmp_gt_u32_e64 s[10:11], 56, v13
	v_add_u32_e32 v36, 4, v13
	s_waitcnt lgkmcnt(0)
	v_add_f32_e32 v17, v11, v17
	v_cndmask_b32_e64 v11, v17, v11, s[8:9]
	v_cmp_gt_u32_e64 s[8:9], 60, v13
	v_cndmask_b32_e64 v17, 0, 1, s[8:9]
	v_lshlrev_b32_e32 v17, 2, v17
	v_add_lshl_u32 v17, v17, v5, 2
	ds_bpermute_b32 v37, v17, v11
	v_cmp_gt_u32_e64 s[8:9], v36, v10
	v_add_u32_e32 v38, 8, v13
	v_cmp_gt_u32_e64 s[12:13], 48, v13
	v_cmp_gt_u32_e64 s[14:15], 32, v13
	s_waitcnt lgkmcnt(0)
	v_add_f32_e32 v41, v11, v37
	v_cndmask_b32_e64 v37, 0, 1, s[10:11]
	v_lshlrev_b32_e32 v37, 3, v37
	v_cndmask_b32_e64 v39, v41, v11, s[8:9]
	v_add_lshl_u32 v37, v37, v5, 2
	ds_bpermute_b32 v40, v37, v39
	v_cmp_gt_u32_e64 s[10:11], v38, v10
	v_cndmask_b32_e32 v6, v6, v11, vcc
	v_cndmask_b32_e64 v6, v41, v6, s[8:9]
	s_waitcnt lgkmcnt(0)
	v_add_f32_e32 v44, v39, v40
	v_cndmask_b32_e64 v42, v44, v39, s[10:11]
	v_cndmask_b32_e64 v39, 0, 1, s[12:13]
	v_lshlrev_b32_e32 v39, 4, v39
	v_add_lshl_u32 v39, v39, v5, 2
	ds_bpermute_b32 v43, v39, v42
	v_add_u32_e32 v40, 16, v13
	v_cmp_gt_u32_e64 s[12:13], v40, v10
	v_cndmask_b32_e64 v6, v44, v6, s[10:11]
	s_waitcnt lgkmcnt(0)
	v_add_f32_e32 v45, v42, v43
	v_cndmask_b32_e64 v46, v45, v42, s[12:13]
	v_cndmask_b32_e64 v42, 0, 1, s[14:15]
	v_lshlrev_b32_e32 v42, 5, v42
	v_add_lshl_u32 v42, v42, v5, 2
	ds_bpermute_b32 v5, v42, v46
	v_add_u32_e32 v43, 32, v13
	v_cndmask_b32_e64 v6, v45, v6, s[12:13]
	v_cmp_gt_u32_e32 vcc, v43, v10
	s_waitcnt lgkmcnt(0)
	v_add_f32_e32 v5, v46, v5
	v_cndmask_b32_e32 v6, v5, v6, vcc
	v_mov_b32_e32 v5, 0
	s_branch .LBB6306_46
.LBB6306_45:                            ;   in Loop: Header=BB6306_46 Depth=1
	s_or_b64 exec, exec, s[8:9]
	v_cmp_eq_u16_sdwa s[8:9], v7, v3 src0_sel:BYTE_0 src1_sel:DWORD
	v_and_b32_e32 v10, s9, v9
	ds_bpermute_b32 v44, v14, v6
	v_or_b32_e32 v10, 0x80000000, v10
	v_and_b32_e32 v11, s8, v8
	v_ffbl_b32_e32 v10, v10
	v_add_u32_e32 v10, 32, v10
	v_ffbl_b32_e32 v11, v11
	v_min_u32_e32 v10, v11, v10
	s_waitcnt lgkmcnt(0)
	v_add_f32_e32 v11, v6, v44
	v_cmp_lt_u32_e32 vcc, v13, v10
	v_cndmask_b32_e32 v11, v6, v11, vcc
	ds_bpermute_b32 v44, v15, v11
	v_cmp_gt_u32_e64 s[8:9], v16, v10
	v_cmp_gt_u32_e64 s[10:11], v38, v10
	;; [unrolled: 1-line block ×3, first 2 shown]
	v_subrev_u32_e32 v4, 64, v4
	s_waitcnt lgkmcnt(0)
	v_add_f32_e32 v44, v11, v44
	v_cndmask_b32_e64 v11, v44, v11, s[8:9]
	ds_bpermute_b32 v44, v17, v11
	v_cmp_gt_u32_e64 s[8:9], v36, v10
	v_cndmask_b32_e32 v6, v6, v11, vcc
	v_cmp_gt_u32_e32 vcc, v43, v10
	s_waitcnt lgkmcnt(0)
	v_add_f32_e32 v44, v11, v44
	v_cndmask_b32_e64 v45, v44, v11, s[8:9]
	ds_bpermute_b32 v46, v37, v45
	v_cndmask_b32_e64 v6, v44, v6, s[8:9]
	s_waitcnt lgkmcnt(0)
	v_add_f32_e32 v46, v45, v46
	v_cndmask_b32_e64 v45, v46, v45, s[10:11]
	ds_bpermute_b32 v47, v39, v45
	v_cndmask_b32_e64 v6, v46, v6, s[10:11]
	;; [unrolled: 5-line block ×3, first 2 shown]
	s_waitcnt lgkmcnt(0)
	v_add_f32_e32 v11, v45, v48
	v_cndmask_b32_e32 v6, v11, v6, vcc
	v_add_f32_e32 v6, v41, v6
.LBB6306_46:                            ; =>This Loop Header: Depth=1
                                        ;     Child Loop BB6306_49 Depth 2
	v_cmp_ne_u16_sdwa s[8:9], v7, v3 src0_sel:BYTE_0 src1_sel:DWORD
	v_cndmask_b32_e64 v7, 0, 1, s[8:9]
	;;#ASMSTART
	;;#ASMEND
	v_cmp_ne_u32_e32 vcc, 0, v7
	s_cmp_lg_u64 vcc, exec
	v_mov_b32_e32 v41, v6
	s_cbranch_scc1 .LBB6306_51
; %bb.47:                               ;   in Loop: Header=BB6306_46 Depth=1
	v_lshlrev_b64 v[6:7], 3, v[4:5]
	v_mov_b32_e32 v11, s25
	v_add_co_u32_e32 v10, vcc, s24, v6
	v_addc_co_u32_e32 v11, vcc, v11, v7, vcc
	global_load_dwordx2 v[6:7], v[10:11], off glc
	s_waitcnt vmcnt(0)
	v_cmp_eq_u16_sdwa s[10:11], v7, v5 src0_sel:BYTE_0 src1_sel:DWORD
	s_and_saveexec_b64 s[8:9], s[10:11]
	s_cbranch_execz .LBB6306_45
; %bb.48:                               ;   in Loop: Header=BB6306_46 Depth=1
	s_mov_b64 s[10:11], 0
.LBB6306_49:                            ;   Parent Loop BB6306_46 Depth=1
                                        ; =>  This Inner Loop Header: Depth=2
	global_load_dwordx2 v[6:7], v[10:11], off glc
	s_waitcnt vmcnt(0)
	v_cmp_ne_u16_sdwa s[12:13], v7, v5 src0_sel:BYTE_0 src1_sel:DWORD
	s_or_b64 s[10:11], s[12:13], s[10:11]
	s_andn2_b64 exec, exec, s[10:11]
	s_cbranch_execnz .LBB6306_49
; %bb.50:                               ;   in Loop: Header=BB6306_46 Depth=1
	s_or_b64 exec, exec, s[10:11]
	s_branch .LBB6306_45
.LBB6306_51:                            ;   in Loop: Header=BB6306_46 Depth=1
                                        ; implicit-def: $vgpr6
                                        ; implicit-def: $vgpr7
	s_cbranch_execz .LBB6306_46
; %bb.52:
	s_and_saveexec_b64 s[8:9], s[2:3]
	s_cbranch_execz .LBB6306_54
; %bb.53:
	s_add_i32 s2, s6, 64
	s_mov_b32 s3, 0
	s_lshl_b64 s[2:3], s[2:3], 3
	s_add_u32 s2, s24, s2
	v_add_f32_e32 v2, v2, v41
	v_mov_b32_e32 v3, 2
	s_addc_u32 s3, s25, s3
	v_mov_b32_e32 v4, 0
	global_store_dwordx2 v4, v[2:3], s[2:3]
.LBB6306_54:
	s_or_b64 exec, exec, s[8:9]
	s_and_b64 exec, exec, s[0:1]
	s_cbranch_execz .LBB6306_56
; %bb.55:
	v_mov_b32_e32 v2, 0
	ds_write_b32 v2, v41
.LBB6306_56:
	s_or_b64 exec, exec, s[26:27]
	v_mov_b32_e32 v2, 0
	s_waitcnt lgkmcnt(0)
	s_barrier
	ds_read_b32 v2, v2
	s_waitcnt lgkmcnt(0)
	v_add_f32_e32 v3, v12, v2
	v_cndmask_b32_e64 v2, v3, v2, s[0:1]
	v_add_f32_e32 v3, v26, v2
	v_add_f32_e32 v4, v27, v3
	;; [unrolled: 1-line block ×13, first 2 shown]
	s_load_dwordx8 s[8:15], s[4:5], 0x38
	s_branch .LBB6306_67
.LBB6306_57:
                                        ; implicit-def: $vgpr2_vgpr3_vgpr4_vgpr5_vgpr6_vgpr7_vgpr8_vgpr9_vgpr10_vgpr11_vgpr12_vgpr13_vgpr14_vgpr15_vgpr16_vgpr17
	s_load_dwordx8 s[8:15], s[4:5], 0x38
	s_cbranch_execz .LBB6306_67
; %bb.58:
	s_load_dword s0, s[4:5], 0x20
	s_waitcnt lgkmcnt(0)
	s_cmp_eq_u64 s[12:13], 0
	v_mov_b32_e32 v16, s0
	s_cbranch_scc1 .LBB6306_60
; %bb.59:
	v_mov_b32_e32 v3, s30
	v_add_co_u32_e64 v2, vcc, -4, s29
	v_addc_co_u32_e32 v3, vcc, -1, v3, vcc
	flat_load_dword v2, v[2:3]
	v_mov_b32_e32 v3, 0
	global_load_dword v3, v3, s[8:9]
	s_waitcnt vmcnt(0) lgkmcnt(0)
	v_cvt_f32_u32_e32 v2, v2
	v_add_f32_e32 v16, v3, v2
.LBB6306_60:
	v_add_f32_e32 v2, v28, v35
	v_add_f32_e32 v2, v29, v2
	;; [unrolled: 1-line block ×12, first 2 shown]
	v_add_lshl_u32 v1, v1, v0, 2
	v_cmp_gt_u32_e32 vcc, 64, v0
	ds_write_b32 v1, v2
	s_waitcnt lgkmcnt(0)
	s_barrier
	s_and_saveexec_b64 s[4:5], vcc
	s_cbranch_execz .LBB6306_62
; %bb.61:
	v_lshlrev_b32_e32 v1, 1, v0
	v_lshrrev_b32_e32 v3, 4, v0
	v_add_lshl_u32 v1, v3, v1, 2
	ds_read2_b32 v[4:5], v1 offset1:1
	v_mbcnt_lo_u32_b32 v3, -1, 0
	v_mbcnt_hi_u32_b32 v3, -1, v3
	v_and_b32_e32 v6, 15, v3
	v_cmp_eq_u32_e32 vcc, 0, v6
	s_waitcnt lgkmcnt(0)
	v_add_f32_e32 v5, v4, v5
	v_cmp_lt_u32_e64 s[0:1], 3, v6
	v_cmp_lt_u32_e64 s[2:3], 31, v3
	v_mov_b32_dpp v7, v5 row_shr:1 row_mask:0xf bank_mask:0xf
	v_add_f32_e32 v7, v5, v7
	v_cndmask_b32_e32 v5, v7, v5, vcc
	v_cmp_lt_u32_e32 vcc, 1, v6
	s_nop 0
	v_mov_b32_dpp v7, v5 row_shr:2 row_mask:0xf bank_mask:0xf
	v_add_f32_e32 v7, v5, v7
	v_cndmask_b32_e32 v7, v5, v7, vcc
	; wave barrier
	s_nop 1
	v_mov_b32_dpp v8, v7 row_shr:4 row_mask:0xf bank_mask:0xf
	v_add_f32_e32 v8, v7, v8
	v_cndmask_b32_e64 v7, v7, v8, s[0:1]
	v_cmp_lt_u32_e64 s[0:1], 7, v6
	s_nop 0
	v_mov_b32_dpp v8, v7 row_shr:8 row_mask:0xf bank_mask:0xf
	v_add_f32_e32 v8, v7, v8
	v_cndmask_b32_e64 v6, v7, v8, s[0:1]
	v_and_b32_e32 v8, 16, v3
	v_cmp_eq_u32_e64 s[0:1], 0, v8
	v_mov_b32_dpp v7, v6 row_bcast:15 row_mask:0xf bank_mask:0xf
	v_add_f32_e32 v7, v6, v7
	v_cndmask_b32_e64 v6, v7, v6, s[0:1]
	v_cmp_lt_u32_e64 s[0:1], 15, v3
	s_or_b64 vcc, s[0:1], vcc
	v_mov_b32_dpp v7, v6 row_bcast:31 row_mask:0xf bank_mask:0xf
	v_add_f32_e32 v7, v6, v7
	v_cndmask_b32_e64 v6, v6, v7, s[2:3]
	v_cndmask_b32_e32 v5, v5, v6, vcc
	v_add_u32_e32 v6, -1, v3
	v_and_b32_e32 v7, 64, v3
	v_cmp_lt_i32_e32 vcc, v6, v7
	v_cndmask_b32_e32 v3, v6, v3, vcc
	v_lshlrev_b32_e32 v3, 2, v3
	ds_bpermute_b32 v3, v3, v5
	v_cmp_eq_u32_e32 vcc, 0, v0
	s_waitcnt lgkmcnt(0)
	v_add_f32_e32 v3, v4, v3
	v_cndmask_b32_e32 v2, v3, v2, vcc
	ds_write_b32 v1, v2
	; wave barrier
	ds_read_b32 v3, v1 offset:4
	s_waitcnt lgkmcnt(0)
	v_add_f32_e32 v2, v2, v3
	ds_write_b32 v1, v2 offset:4
.LBB6306_62:
	s_or_b64 exec, exec, s[4:5]
	v_cmp_eq_u32_e32 vcc, 0, v0
	v_cmp_ne_u32_e64 s[0:1], 0, v0
	v_mov_b32_e32 v2, v16
	s_waitcnt lgkmcnt(0)
	s_barrier
	s_and_saveexec_b64 s[2:3], s[0:1]
	s_cbranch_execz .LBB6306_64
; %bb.63:
	v_add_u32_e32 v1, -1, v0
	v_lshrrev_b32_e32 v2, 5, v1
	v_add_lshl_u32 v1, v2, v1, 2
	ds_read_b32 v1, v1
	s_waitcnt lgkmcnt(0)
	v_add_f32_e32 v2, v16, v1
.LBB6306_64:
	s_or_b64 exec, exec, s[2:3]
	v_add_f32_e32 v3, v26, v2
	v_add_f32_e32 v4, v27, v3
	;; [unrolled: 1-line block ×13, first 2 shown]
	s_and_saveexec_b64 s[0:1], vcc
	s_cbranch_execz .LBB6306_66
; %bb.65:
	v_mov_b32_e32 v1, 0
	ds_read_b32 v17, v1 offset:520
	s_waitcnt lgkmcnt(0)
	v_add_f32_e32 v16, v16, v17
	v_mov_b32_e32 v17, 2
	global_store_dwordx2 v1, v[16:17], s[24:25] offset:512
.LBB6306_66:
	s_or_b64 exec, exec, s[0:1]
.LBB6306_67:
	s_add_u32 s0, s16, s20
	s_addc_u32 s1, s17, s21
	s_add_u32 s2, s0, s22
	s_addc_u32 s3, s1, s23
	s_mov_b64 s[0:1], -1
	s_and_b64 vcc, exec, s[18:19]
	s_waitcnt lgkmcnt(0)
	s_barrier
	s_cbranch_vccz .LBB6306_69
; %bb.68:
	v_mov_b32_e32 v1, s3
	v_add_co_u32_e32 v30, vcc, s2, v32
	ds_write2_b64 v34, v[2:3], v[4:5] offset1:1
	ds_write2_b64 v34, v[6:7], v[8:9] offset0:2 offset1:3
	ds_write2_b64 v34, v[10:11], v[12:13] offset0:4 offset1:5
	ds_write_b64 v34, v[14:15] offset:48
	s_waitcnt lgkmcnt(0)
	s_barrier
	ds_read2st64_b32 v[16:17], v32 offset1:2
	ds_read2st64_b32 v[18:19], v32 offset0:4 offset1:6
	ds_read2st64_b32 v[20:21], v32 offset0:8 offset1:10
	;; [unrolled: 1-line block ×6, first 2 shown]
	v_addc_co_u32_e32 v31, vcc, 0, v1, vcc
	s_waitcnt lgkmcnt(6)
	v_cvt_i32_f32_e32 v1, v16
	v_cvt_i32_f32_e32 v16, v17
	s_waitcnt lgkmcnt(5)
	v_cvt_i32_f32_e32 v17, v18
	v_cvt_i32_f32_e32 v18, v19
	flat_store_dword v[30:31], v1
	flat_store_dword v[30:31], v16 offset:512
	flat_store_dword v[30:31], v17 offset:1024
	;; [unrolled: 1-line block ×3, first 2 shown]
	s_waitcnt lgkmcnt(0)
	v_cvt_i32_f32_e32 v1, v20
	v_cvt_i32_f32_e32 v16, v21
	;; [unrolled: 1-line block ×4, first 2 shown]
	flat_store_dword v[30:31], v1 offset:2048
	flat_store_dword v[30:31], v16 offset:2560
	;; [unrolled: 1-line block ×4, first 2 shown]
	v_cvt_i32_f32_e32 v1, v24
	s_movk_i32 s0, 0x1000
	v_cvt_i32_f32_e32 v18, v25
	v_add_co_u32_e32 v16, vcc, s0, v30
	v_addc_co_u32_e32 v17, vcc, 0, v31, vcc
	flat_store_dword v[16:17], v1
	flat_store_dword v[16:17], v18 offset:512
	v_cvt_i32_f32_e32 v1, v26
	v_cvt_i32_f32_e32 v18, v27
	v_cvt_i32_f32_e32 v19, v28
	v_cvt_i32_f32_e32 v20, v29
	flat_store_dword v[16:17], v1 offset:1024
	flat_store_dword v[16:17], v18 offset:1536
	flat_store_dword v[16:17], v19 offset:2048
	flat_store_dword v[16:17], v20 offset:2560
	s_mov_b64 s[0:1], 0
.LBB6306_69:
	s_andn2_b64 vcc, exec, s[0:1]
	s_cbranch_vccnz .LBB6306_149
; %bb.70:
	s_movk_i32 s0, 0xffcc
	ds_write2_b64 v34, v[2:3], v[4:5] offset1:1
	ds_write2_b64 v34, v[6:7], v[8:9] offset0:2 offset1:3
	ds_write2_b64 v34, v[10:11], v[12:13] offset0:4 offset1:5
	ds_write_b64 v34, v[14:15] offset:48
	v_mad_i32_i24 v14, v0, s0, v34
	s_waitcnt lgkmcnt(0)
	s_barrier
	ds_read2st64_b32 v[4:5], v14 offset1:2
	ds_read2st64_b32 v[6:7], v14 offset0:4 offset1:6
	ds_read2st64_b32 v[8:9], v14 offset0:8 offset1:10
	;; [unrolled: 1-line block ×6, first 2 shown]
	v_mov_b32_e32 v17, s3
	v_add_co_u32_e32 v16, vcc, s2, v32
	v_addc_co_u32_e32 v17, vcc, 0, v17, vcc
	v_mov_b32_e32 v1, 0
	v_cmp_gt_u32_e32 vcc, s7, v0
	s_and_saveexec_b64 s[0:1], vcc
	s_cbranch_execz .LBB6306_72
; %bb.71:
	s_waitcnt lgkmcnt(0)
	v_cvt_i32_f32_e32 v18, v4
	flat_store_dword v[16:17], v18
.LBB6306_72:
	s_or_b64 exec, exec, s[0:1]
	v_or_b32_e32 v18, 0x80, v0
	v_cmp_gt_u32_e32 vcc, s7, v18
	s_and_saveexec_b64 s[0:1], vcc
	s_cbranch_execz .LBB6306_74
; %bb.73:
	s_waitcnt lgkmcnt(0)
	v_cvt_i32_f32_e32 v18, v5
	flat_store_dword v[16:17], v18 offset:512
.LBB6306_74:
	s_or_b64 exec, exec, s[0:1]
	v_or_b32_e32 v18, 0x100, v0
	v_cmp_gt_u32_e32 vcc, s7, v18
	s_and_saveexec_b64 s[0:1], vcc
	s_cbranch_execz .LBB6306_76
; %bb.75:
	s_waitcnt lgkmcnt(0)
	v_cvt_i32_f32_e32 v18, v6
	flat_store_dword v[16:17], v18 offset:1024
.LBB6306_76:
	;; [unrolled: 10-line block ×7, first 2 shown]
	s_or_b64 exec, exec, s[0:1]
	v_or_b32_e32 v18, 0x400, v0
	v_cmp_gt_u32_e32 vcc, s7, v18
	s_and_saveexec_b64 s[0:1], vcc
	s_cbranch_execz .LBB6306_88
; %bb.87:
	s_waitcnt lgkmcnt(0)
	v_cvt_i32_f32_e32 v20, v12
	v_add_co_u32_e32 v18, vcc, 0x1000, v16
	v_addc_co_u32_e32 v19, vcc, 0, v17, vcc
	flat_store_dword v[18:19], v20
.LBB6306_88:
	s_or_b64 exec, exec, s[0:1]
	v_or_b32_e32 v18, 0x480, v0
	v_cmp_gt_u32_e32 vcc, s7, v18
	s_and_saveexec_b64 s[0:1], vcc
	s_cbranch_execz .LBB6306_90
; %bb.89:
	s_waitcnt lgkmcnt(0)
	v_cvt_i32_f32_e32 v20, v13
	v_add_co_u32_e32 v18, vcc, 0x1000, v16
	v_addc_co_u32_e32 v19, vcc, 0, v17, vcc
	flat_store_dword v[18:19], v20 offset:512
.LBB6306_90:
	s_or_b64 exec, exec, s[0:1]
	v_or_b32_e32 v18, 0x500, v0
	v_cmp_gt_u32_e32 vcc, s7, v18
	s_and_saveexec_b64 s[0:1], vcc
	s_cbranch_execz .LBB6306_92
; %bb.91:
	s_waitcnt lgkmcnt(0)
	v_cvt_i32_f32_e32 v20, v10
	v_add_co_u32_e32 v18, vcc, 0x1000, v16
	v_addc_co_u32_e32 v19, vcc, 0, v17, vcc
	flat_store_dword v[18:19], v20 offset:1024
.LBB6306_92:
	;; [unrolled: 12-line block ×5, first 2 shown]
	s_or_b64 exec, exec, s[0:1]
	v_cmp_lt_u64_e64 s[0:1], s[14:15], 2
	s_and_b64 vcc, exec, s[0:1]
	s_cbranch_vccnz .LBB6306_149
; %bb.99:
	s_add_u32 s0, s7, -1
	s_addc_u32 s1, s28, -1
	s_add_u32 s2, 0, 0x49240800
	s_addc_u32 s3, 0, 50
	s_add_i32 s3, s3, 0x12492460
	s_mul_hi_u32 s7, s2, -14
	s_sub_i32 s7, s7, s2
	s_mul_i32 s8, s3, -14
	s_mul_i32 s4, s2, -14
	s_add_i32 s7, s7, s8
	s_mul_hi_u32 s5, s3, s4
	s_mul_i32 s6, s3, s4
	s_mul_i32 s9, s2, s7
	s_mul_hi_u32 s4, s2, s4
	s_mul_hi_u32 s8, s2, s7
	s_add_u32 s4, s4, s9
	s_addc_u32 s8, 0, s8
	s_add_u32 s4, s4, s6
	s_mul_hi_u32 s9, s3, s7
	s_addc_u32 s4, s8, s5
	s_addc_u32 s5, s9, 0
	s_mul_i32 s6, s3, s7
	s_add_u32 s4, s4, s6
	v_mov_b32_e32 v16, s4
	s_addc_u32 s5, 0, s5
	v_add_co_u32_e32 v16, vcc, s2, v16
	s_cmp_lg_u64 vcc, 0
	s_addc_u32 s2, s3, s5
	v_readfirstlane_b32 s5, v16
	s_mul_i32 s4, s0, s2
	s_mul_hi_u32 s6, s0, s5
	s_mul_hi_u32 s3, s0, s2
	s_add_u32 s4, s6, s4
	s_addc_u32 s3, 0, s3
	s_mul_hi_u32 s7, s1, s5
	s_mul_i32 s5, s1, s5
	s_add_u32 s4, s4, s5
	s_mul_hi_u32 s6, s1, s2
	s_addc_u32 s3, s3, s7
	s_addc_u32 s4, s6, 0
	s_mul_i32 s2, s1, s2
	s_add_u32 s2, s3, s2
	s_addc_u32 s3, 0, s4
	s_add_u32 s4, s2, 1
	s_addc_u32 s5, s3, 0
	s_add_u32 s6, s2, 2
	s_mul_i32 s8, s3, 14
	s_mul_hi_u32 s9, s2, 14
	s_addc_u32 s7, s3, 0
	s_add_i32 s9, s9, s8
	s_mul_i32 s8, s2, 14
	v_mov_b32_e32 v16, s8
	v_sub_co_u32_e32 v16, vcc, s0, v16
	s_cmp_lg_u64 vcc, 0
	s_subb_u32 s8, s1, s9
	v_subrev_co_u32_e32 v17, vcc, 14, v16
	s_cmp_lg_u64 vcc, 0
	s_subb_u32 s9, s8, 0
	v_readfirstlane_b32 s12, v17
	s_cmp_gt_u32 s12, 13
	s_cselect_b32 s12, -1, 0
	s_cmp_eq_u32 s9, 0
	s_cselect_b32 s9, s12, -1
	s_cmp_lg_u32 s9, 0
	s_cselect_b32 s4, s6, s4
	v_readfirstlane_b32 s6, v16
	s_cselect_b32 s5, s7, s5
	s_cmp_gt_u32 s6, 13
	s_cselect_b32 s6, -1, 0
	s_cmp_eq_u32 s8, 0
	s_cselect_b32 s6, s6, -1
	s_cmp_lg_u32 s6, 0
	s_cselect_b32 s3, s5, s3
	s_cselect_b32 s2, s4, s2
	v_cmp_eq_u64_e32 vcc, s[2:3], v[0:1]
	s_and_saveexec_b64 s[2:3], vcc
	s_cbranch_execz .LBB6306_149
; %bb.100:
	v_mul_hi_u32_u24_e32 v1, 14, v0
	v_mov_b32_e32 v16, s1
	v_sub_co_u32_e32 v0, vcc, s0, v33
	v_subb_co_u32_e32 v1, vcc, v16, v1, vcc
	v_cmp_lt_i64_e32 vcc, 6, v[0:1]
	s_and_saveexec_b64 s[0:1], vcc
	s_xor_b64 s[0:1], exec, s[0:1]
	s_cbranch_execz .LBB6306_126
; %bb.101:
	v_cmp_lt_i64_e32 vcc, 9, v[0:1]
	s_and_saveexec_b64 s[2:3], vcc
	s_xor_b64 s[2:3], exec, s[2:3]
	s_cbranch_execz .LBB6306_115
; %bb.102:
	;; [unrolled: 5-line block ×4, first 2 shown]
	v_mov_b32_e32 v0, 0
	s_waitcnt lgkmcnt(0)
	global_store_dword v0, v15, s[10:11]
                                        ; implicit-def: $vgpr14_vgpr15
.LBB6306_105:
	s_andn2_saveexec_b64 s[6:7], s[6:7]
	s_cbranch_execz .LBB6306_107
; %bb.106:
	v_mov_b32_e32 v0, 0
	s_waitcnt lgkmcnt(0)
	global_store_dword v0, v14, s[10:11]
.LBB6306_107:
	s_or_b64 exec, exec, s[6:7]
                                        ; implicit-def: $vgpr10_vgpr11
                                        ; implicit-def: $vgpr0_vgpr1
.LBB6306_108:
	s_andn2_saveexec_b64 s[4:5], s[4:5]
	s_cbranch_execz .LBB6306_114
; %bb.109:
	v_cmp_lt_i64_e32 vcc, 10, v[0:1]
	s_and_saveexec_b64 s[6:7], vcc
	s_xor_b64 s[6:7], exec, s[6:7]
	s_cbranch_execz .LBB6306_111
; %bb.110:
	v_mov_b32_e32 v0, 0
	s_waitcnt lgkmcnt(0)
	global_store_dword v0, v11, s[10:11]
                                        ; implicit-def: $vgpr10_vgpr11
.LBB6306_111:
	s_andn2_saveexec_b64 s[6:7], s[6:7]
	s_cbranch_execz .LBB6306_113
; %bb.112:
	v_mov_b32_e32 v0, 0
	s_waitcnt lgkmcnt(0)
	global_store_dword v0, v10, s[10:11]
.LBB6306_113:
	s_or_b64 exec, exec, s[6:7]
.LBB6306_114:
	s_or_b64 exec, exec, s[4:5]
                                        ; implicit-def: $vgpr2_vgpr3
                                        ; implicit-def: $vgpr0_vgpr1
                                        ; implicit-def: $vgpr12_vgpr13
.LBB6306_115:
	s_andn2_saveexec_b64 s[2:3], s[2:3]
	s_cbranch_execz .LBB6306_125
; %bb.116:
	v_cmp_lt_i64_e32 vcc, 7, v[0:1]
	s_and_saveexec_b64 s[4:5], vcc
	s_xor_b64 s[4:5], exec, s[4:5]
	s_cbranch_execz .LBB6306_122
; %bb.117:
	v_cmp_lt_i64_e32 vcc, 8, v[0:1]
	s_and_saveexec_b64 s[6:7], vcc
	s_xor_b64 s[6:7], exec, s[6:7]
	s_cbranch_execz .LBB6306_119
; %bb.118:
	v_mov_b32_e32 v0, 0
	s_waitcnt lgkmcnt(0)
	global_store_dword v0, v13, s[10:11]
                                        ; implicit-def: $vgpr12_vgpr13
.LBB6306_119:
	s_andn2_saveexec_b64 s[6:7], s[6:7]
	s_cbranch_execz .LBB6306_121
; %bb.120:
	v_mov_b32_e32 v0, 0
	s_waitcnt lgkmcnt(0)
	global_store_dword v0, v12, s[10:11]
.LBB6306_121:
	s_or_b64 exec, exec, s[6:7]
                                        ; implicit-def: $vgpr2_vgpr3
.LBB6306_122:
	s_andn2_saveexec_b64 s[4:5], s[4:5]
	s_cbranch_execz .LBB6306_124
; %bb.123:
	v_mov_b32_e32 v0, 0
	s_waitcnt lgkmcnt(0)
	global_store_dword v0, v3, s[10:11]
.LBB6306_124:
	s_or_b64 exec, exec, s[4:5]
.LBB6306_125:
	s_or_b64 exec, exec, s[2:3]
                                        ; implicit-def: $vgpr0_vgpr1
                                        ; implicit-def: $vgpr8_vgpr9
                                        ; implicit-def: $vgpr4_vgpr5
                                        ; implicit-def: $vgpr6_vgpr7
                                        ; implicit-def: $vgpr2_vgpr3
.LBB6306_126:
	s_andn2_saveexec_b64 s[0:1], s[0:1]
	s_cbranch_execz .LBB6306_149
; %bb.127:
	v_cmp_lt_i64_e32 vcc, 3, v[0:1]
	s_and_saveexec_b64 s[0:1], vcc
	s_xor_b64 s[0:1], exec, s[0:1]
	s_cbranch_execz .LBB6306_137
; %bb.128:
	v_cmp_lt_i64_e32 vcc, 4, v[0:1]
	s_and_saveexec_b64 s[2:3], vcc
	s_xor_b64 s[2:3], exec, s[2:3]
	;; [unrolled: 5-line block ×3, first 2 shown]
	s_cbranch_execz .LBB6306_131
; %bb.130:
	v_mov_b32_e32 v0, 0
	s_waitcnt lgkmcnt(0)
	global_store_dword v0, v2, s[10:11]
                                        ; implicit-def: $vgpr8_vgpr9
.LBB6306_131:
	s_andn2_saveexec_b64 s[4:5], s[4:5]
	s_cbranch_execz .LBB6306_133
; %bb.132:
	v_mov_b32_e32 v0, 0
	s_waitcnt lgkmcnt(0)
	global_store_dword v0, v9, s[10:11]
.LBB6306_133:
	s_or_b64 exec, exec, s[4:5]
                                        ; implicit-def: $vgpr8_vgpr9
.LBB6306_134:
	s_andn2_saveexec_b64 s[2:3], s[2:3]
	s_cbranch_execz .LBB6306_136
; %bb.135:
	v_mov_b32_e32 v0, 0
	s_waitcnt lgkmcnt(0)
	global_store_dword v0, v8, s[10:11]
.LBB6306_136:
	s_or_b64 exec, exec, s[2:3]
                                        ; implicit-def: $vgpr0_vgpr1
                                        ; implicit-def: $vgpr4_vgpr5
                                        ; implicit-def: $vgpr6_vgpr7
.LBB6306_137:
	s_andn2_saveexec_b64 s[0:1], s[0:1]
	s_cbranch_execz .LBB6306_149
; %bb.138:
	v_cmp_lt_i64_e32 vcc, 1, v[0:1]
	s_and_saveexec_b64 s[0:1], vcc
	s_xor_b64 s[0:1], exec, s[0:1]
	s_cbranch_execz .LBB6306_144
; %bb.139:
	v_cmp_lt_i64_e32 vcc, 2, v[0:1]
	s_and_saveexec_b64 s[2:3], vcc
	s_xor_b64 s[2:3], exec, s[2:3]
	s_cbranch_execz .LBB6306_141
; %bb.140:
	v_mov_b32_e32 v0, 0
	s_waitcnt lgkmcnt(0)
	global_store_dword v0, v7, s[10:11]
                                        ; implicit-def: $vgpr6_vgpr7
.LBB6306_141:
	s_andn2_saveexec_b64 s[2:3], s[2:3]
	s_cbranch_execz .LBB6306_143
; %bb.142:
	v_mov_b32_e32 v0, 0
	s_waitcnt lgkmcnt(0)
	global_store_dword v0, v6, s[10:11]
.LBB6306_143:
	s_or_b64 exec, exec, s[2:3]
                                        ; implicit-def: $vgpr4_vgpr5
                                        ; implicit-def: $vgpr0_vgpr1
.LBB6306_144:
	s_andn2_saveexec_b64 s[0:1], s[0:1]
	s_cbranch_execz .LBB6306_149
; %bb.145:
	v_cmp_ne_u64_e32 vcc, 1, v[0:1]
	s_and_saveexec_b64 s[0:1], vcc
	s_xor_b64 s[0:1], exec, s[0:1]
	s_cbranch_execz .LBB6306_147
; %bb.146:
	v_mov_b32_e32 v0, 0
	s_waitcnt lgkmcnt(0)
	global_store_dword v0, v4, s[10:11]
                                        ; implicit-def: $vgpr4_vgpr5
.LBB6306_147:
	s_andn2_saveexec_b64 s[0:1], s[0:1]
	s_cbranch_execz .LBB6306_149
; %bb.148:
	v_mov_b32_e32 v0, 0
	s_waitcnt lgkmcnt(0)
	global_store_dword v0, v5, s[10:11]
.LBB6306_149:
	s_endpgm
	.section	.rodata,"a",@progbits
	.p2align	6, 0x0
	.amdhsa_kernel _ZN7rocprim17ROCPRIM_400000_NS6detail17trampoline_kernelINS0_14default_configENS1_20scan_config_selectorIfEEZZNS1_9scan_implILNS1_25lookback_scan_determinismE0ELb1ELb1ES3_N6thrust23THRUST_200600_302600_NS6detail15normal_iteratorINS9_10device_ptrIjEEEENSB_INSC_IiEEEEfNS9_4plusIvEEfEEDaPvRmT3_T4_T5_mT6_P12ihipStream_tbENKUlT_T0_E_clISt17integral_constantIbLb0EESW_EEDaSR_SS_EUlSR_E_NS1_11comp_targetILNS1_3genE4ELNS1_11target_archE910ELNS1_3gpuE8ELNS1_3repE0EEENS1_30default_config_static_selectorELNS0_4arch9wavefront6targetE1EEEvT1_
		.amdhsa_group_segment_fixed_size 7168
		.amdhsa_private_segment_fixed_size 0
		.amdhsa_kernarg_size 96
		.amdhsa_user_sgpr_count 6
		.amdhsa_user_sgpr_private_segment_buffer 1
		.amdhsa_user_sgpr_dispatch_ptr 0
		.amdhsa_user_sgpr_queue_ptr 0
		.amdhsa_user_sgpr_kernarg_segment_ptr 1
		.amdhsa_user_sgpr_dispatch_id 0
		.amdhsa_user_sgpr_flat_scratch_init 0
		.amdhsa_user_sgpr_kernarg_preload_length 0
		.amdhsa_user_sgpr_kernarg_preload_offset 0
		.amdhsa_user_sgpr_private_segment_size 0
		.amdhsa_uses_dynamic_stack 0
		.amdhsa_system_sgpr_private_segment_wavefront_offset 0
		.amdhsa_system_sgpr_workgroup_id_x 1
		.amdhsa_system_sgpr_workgroup_id_y 0
		.amdhsa_system_sgpr_workgroup_id_z 0
		.amdhsa_system_sgpr_workgroup_info 0
		.amdhsa_system_vgpr_workitem_id 0
		.amdhsa_next_free_vgpr 49
		.amdhsa_next_free_sgpr 31
		.amdhsa_accum_offset 52
		.amdhsa_reserve_vcc 1
		.amdhsa_reserve_flat_scratch 0
		.amdhsa_float_round_mode_32 0
		.amdhsa_float_round_mode_16_64 0
		.amdhsa_float_denorm_mode_32 3
		.amdhsa_float_denorm_mode_16_64 3
		.amdhsa_dx10_clamp 1
		.amdhsa_ieee_mode 1
		.amdhsa_fp16_overflow 0
		.amdhsa_tg_split 0
		.amdhsa_exception_fp_ieee_invalid_op 0
		.amdhsa_exception_fp_denorm_src 0
		.amdhsa_exception_fp_ieee_div_zero 0
		.amdhsa_exception_fp_ieee_overflow 0
		.amdhsa_exception_fp_ieee_underflow 0
		.amdhsa_exception_fp_ieee_inexact 0
		.amdhsa_exception_int_div_zero 0
	.end_amdhsa_kernel
	.section	.text._ZN7rocprim17ROCPRIM_400000_NS6detail17trampoline_kernelINS0_14default_configENS1_20scan_config_selectorIfEEZZNS1_9scan_implILNS1_25lookback_scan_determinismE0ELb1ELb1ES3_N6thrust23THRUST_200600_302600_NS6detail15normal_iteratorINS9_10device_ptrIjEEEENSB_INSC_IiEEEEfNS9_4plusIvEEfEEDaPvRmT3_T4_T5_mT6_P12ihipStream_tbENKUlT_T0_E_clISt17integral_constantIbLb0EESW_EEDaSR_SS_EUlSR_E_NS1_11comp_targetILNS1_3genE4ELNS1_11target_archE910ELNS1_3gpuE8ELNS1_3repE0EEENS1_30default_config_static_selectorELNS0_4arch9wavefront6targetE1EEEvT1_,"axG",@progbits,_ZN7rocprim17ROCPRIM_400000_NS6detail17trampoline_kernelINS0_14default_configENS1_20scan_config_selectorIfEEZZNS1_9scan_implILNS1_25lookback_scan_determinismE0ELb1ELb1ES3_N6thrust23THRUST_200600_302600_NS6detail15normal_iteratorINS9_10device_ptrIjEEEENSB_INSC_IiEEEEfNS9_4plusIvEEfEEDaPvRmT3_T4_T5_mT6_P12ihipStream_tbENKUlT_T0_E_clISt17integral_constantIbLb0EESW_EEDaSR_SS_EUlSR_E_NS1_11comp_targetILNS1_3genE4ELNS1_11target_archE910ELNS1_3gpuE8ELNS1_3repE0EEENS1_30default_config_static_selectorELNS0_4arch9wavefront6targetE1EEEvT1_,comdat
.Lfunc_end6306:
	.size	_ZN7rocprim17ROCPRIM_400000_NS6detail17trampoline_kernelINS0_14default_configENS1_20scan_config_selectorIfEEZZNS1_9scan_implILNS1_25lookback_scan_determinismE0ELb1ELb1ES3_N6thrust23THRUST_200600_302600_NS6detail15normal_iteratorINS9_10device_ptrIjEEEENSB_INSC_IiEEEEfNS9_4plusIvEEfEEDaPvRmT3_T4_T5_mT6_P12ihipStream_tbENKUlT_T0_E_clISt17integral_constantIbLb0EESW_EEDaSR_SS_EUlSR_E_NS1_11comp_targetILNS1_3genE4ELNS1_11target_archE910ELNS1_3gpuE8ELNS1_3repE0EEENS1_30default_config_static_selectorELNS0_4arch9wavefront6targetE1EEEvT1_, .Lfunc_end6306-_ZN7rocprim17ROCPRIM_400000_NS6detail17trampoline_kernelINS0_14default_configENS1_20scan_config_selectorIfEEZZNS1_9scan_implILNS1_25lookback_scan_determinismE0ELb1ELb1ES3_N6thrust23THRUST_200600_302600_NS6detail15normal_iteratorINS9_10device_ptrIjEEEENSB_INSC_IiEEEEfNS9_4plusIvEEfEEDaPvRmT3_T4_T5_mT6_P12ihipStream_tbENKUlT_T0_E_clISt17integral_constantIbLb0EESW_EEDaSR_SS_EUlSR_E_NS1_11comp_targetILNS1_3genE4ELNS1_11target_archE910ELNS1_3gpuE8ELNS1_3repE0EEENS1_30default_config_static_selectorELNS0_4arch9wavefront6targetE1EEEvT1_
                                        ; -- End function
	.section	.AMDGPU.csdata,"",@progbits
; Kernel info:
; codeLenInByte = 5880
; NumSgprs: 35
; NumVgprs: 49
; NumAgprs: 0
; TotalNumVgprs: 49
; ScratchSize: 0
; MemoryBound: 0
; FloatMode: 240
; IeeeMode: 1
; LDSByteSize: 7168 bytes/workgroup (compile time only)
; SGPRBlocks: 4
; VGPRBlocks: 6
; NumSGPRsForWavesPerEU: 35
; NumVGPRsForWavesPerEU: 49
; AccumOffset: 52
; Occupancy: 5
; WaveLimiterHint : 1
; COMPUTE_PGM_RSRC2:SCRATCH_EN: 0
; COMPUTE_PGM_RSRC2:USER_SGPR: 6
; COMPUTE_PGM_RSRC2:TRAP_HANDLER: 0
; COMPUTE_PGM_RSRC2:TGID_X_EN: 1
; COMPUTE_PGM_RSRC2:TGID_Y_EN: 0
; COMPUTE_PGM_RSRC2:TGID_Z_EN: 0
; COMPUTE_PGM_RSRC2:TIDIG_COMP_CNT: 0
; COMPUTE_PGM_RSRC3_GFX90A:ACCUM_OFFSET: 12
; COMPUTE_PGM_RSRC3_GFX90A:TG_SPLIT: 0
	.section	.text._ZN7rocprim17ROCPRIM_400000_NS6detail17trampoline_kernelINS0_14default_configENS1_20scan_config_selectorIfEEZZNS1_9scan_implILNS1_25lookback_scan_determinismE0ELb1ELb1ES3_N6thrust23THRUST_200600_302600_NS6detail15normal_iteratorINS9_10device_ptrIjEEEENSB_INSC_IiEEEEfNS9_4plusIvEEfEEDaPvRmT3_T4_T5_mT6_P12ihipStream_tbENKUlT_T0_E_clISt17integral_constantIbLb0EESW_EEDaSR_SS_EUlSR_E_NS1_11comp_targetILNS1_3genE3ELNS1_11target_archE908ELNS1_3gpuE7ELNS1_3repE0EEENS1_30default_config_static_selectorELNS0_4arch9wavefront6targetE1EEEvT1_,"axG",@progbits,_ZN7rocprim17ROCPRIM_400000_NS6detail17trampoline_kernelINS0_14default_configENS1_20scan_config_selectorIfEEZZNS1_9scan_implILNS1_25lookback_scan_determinismE0ELb1ELb1ES3_N6thrust23THRUST_200600_302600_NS6detail15normal_iteratorINS9_10device_ptrIjEEEENSB_INSC_IiEEEEfNS9_4plusIvEEfEEDaPvRmT3_T4_T5_mT6_P12ihipStream_tbENKUlT_T0_E_clISt17integral_constantIbLb0EESW_EEDaSR_SS_EUlSR_E_NS1_11comp_targetILNS1_3genE3ELNS1_11target_archE908ELNS1_3gpuE7ELNS1_3repE0EEENS1_30default_config_static_selectorELNS0_4arch9wavefront6targetE1EEEvT1_,comdat
	.protected	_ZN7rocprim17ROCPRIM_400000_NS6detail17trampoline_kernelINS0_14default_configENS1_20scan_config_selectorIfEEZZNS1_9scan_implILNS1_25lookback_scan_determinismE0ELb1ELb1ES3_N6thrust23THRUST_200600_302600_NS6detail15normal_iteratorINS9_10device_ptrIjEEEENSB_INSC_IiEEEEfNS9_4plusIvEEfEEDaPvRmT3_T4_T5_mT6_P12ihipStream_tbENKUlT_T0_E_clISt17integral_constantIbLb0EESW_EEDaSR_SS_EUlSR_E_NS1_11comp_targetILNS1_3genE3ELNS1_11target_archE908ELNS1_3gpuE7ELNS1_3repE0EEENS1_30default_config_static_selectorELNS0_4arch9wavefront6targetE1EEEvT1_ ; -- Begin function _ZN7rocprim17ROCPRIM_400000_NS6detail17trampoline_kernelINS0_14default_configENS1_20scan_config_selectorIfEEZZNS1_9scan_implILNS1_25lookback_scan_determinismE0ELb1ELb1ES3_N6thrust23THRUST_200600_302600_NS6detail15normal_iteratorINS9_10device_ptrIjEEEENSB_INSC_IiEEEEfNS9_4plusIvEEfEEDaPvRmT3_T4_T5_mT6_P12ihipStream_tbENKUlT_T0_E_clISt17integral_constantIbLb0EESW_EEDaSR_SS_EUlSR_E_NS1_11comp_targetILNS1_3genE3ELNS1_11target_archE908ELNS1_3gpuE7ELNS1_3repE0EEENS1_30default_config_static_selectorELNS0_4arch9wavefront6targetE1EEEvT1_
	.globl	_ZN7rocprim17ROCPRIM_400000_NS6detail17trampoline_kernelINS0_14default_configENS1_20scan_config_selectorIfEEZZNS1_9scan_implILNS1_25lookback_scan_determinismE0ELb1ELb1ES3_N6thrust23THRUST_200600_302600_NS6detail15normal_iteratorINS9_10device_ptrIjEEEENSB_INSC_IiEEEEfNS9_4plusIvEEfEEDaPvRmT3_T4_T5_mT6_P12ihipStream_tbENKUlT_T0_E_clISt17integral_constantIbLb0EESW_EEDaSR_SS_EUlSR_E_NS1_11comp_targetILNS1_3genE3ELNS1_11target_archE908ELNS1_3gpuE7ELNS1_3repE0EEENS1_30default_config_static_selectorELNS0_4arch9wavefront6targetE1EEEvT1_
	.p2align	8
	.type	_ZN7rocprim17ROCPRIM_400000_NS6detail17trampoline_kernelINS0_14default_configENS1_20scan_config_selectorIfEEZZNS1_9scan_implILNS1_25lookback_scan_determinismE0ELb1ELb1ES3_N6thrust23THRUST_200600_302600_NS6detail15normal_iteratorINS9_10device_ptrIjEEEENSB_INSC_IiEEEEfNS9_4plusIvEEfEEDaPvRmT3_T4_T5_mT6_P12ihipStream_tbENKUlT_T0_E_clISt17integral_constantIbLb0EESW_EEDaSR_SS_EUlSR_E_NS1_11comp_targetILNS1_3genE3ELNS1_11target_archE908ELNS1_3gpuE7ELNS1_3repE0EEENS1_30default_config_static_selectorELNS0_4arch9wavefront6targetE1EEEvT1_,@function
_ZN7rocprim17ROCPRIM_400000_NS6detail17trampoline_kernelINS0_14default_configENS1_20scan_config_selectorIfEEZZNS1_9scan_implILNS1_25lookback_scan_determinismE0ELb1ELb1ES3_N6thrust23THRUST_200600_302600_NS6detail15normal_iteratorINS9_10device_ptrIjEEEENSB_INSC_IiEEEEfNS9_4plusIvEEfEEDaPvRmT3_T4_T5_mT6_P12ihipStream_tbENKUlT_T0_E_clISt17integral_constantIbLb0EESW_EEDaSR_SS_EUlSR_E_NS1_11comp_targetILNS1_3genE3ELNS1_11target_archE908ELNS1_3gpuE7ELNS1_3repE0EEENS1_30default_config_static_selectorELNS0_4arch9wavefront6targetE1EEEvT1_: ; @_ZN7rocprim17ROCPRIM_400000_NS6detail17trampoline_kernelINS0_14default_configENS1_20scan_config_selectorIfEEZZNS1_9scan_implILNS1_25lookback_scan_determinismE0ELb1ELb1ES3_N6thrust23THRUST_200600_302600_NS6detail15normal_iteratorINS9_10device_ptrIjEEEENSB_INSC_IiEEEEfNS9_4plusIvEEfEEDaPvRmT3_T4_T5_mT6_P12ihipStream_tbENKUlT_T0_E_clISt17integral_constantIbLb0EESW_EEDaSR_SS_EUlSR_E_NS1_11comp_targetILNS1_3genE3ELNS1_11target_archE908ELNS1_3gpuE7ELNS1_3repE0EEENS1_30default_config_static_selectorELNS0_4arch9wavefront6targetE1EEEvT1_
; %bb.0:
	.section	.rodata,"a",@progbits
	.p2align	6, 0x0
	.amdhsa_kernel _ZN7rocprim17ROCPRIM_400000_NS6detail17trampoline_kernelINS0_14default_configENS1_20scan_config_selectorIfEEZZNS1_9scan_implILNS1_25lookback_scan_determinismE0ELb1ELb1ES3_N6thrust23THRUST_200600_302600_NS6detail15normal_iteratorINS9_10device_ptrIjEEEENSB_INSC_IiEEEEfNS9_4plusIvEEfEEDaPvRmT3_T4_T5_mT6_P12ihipStream_tbENKUlT_T0_E_clISt17integral_constantIbLb0EESW_EEDaSR_SS_EUlSR_E_NS1_11comp_targetILNS1_3genE3ELNS1_11target_archE908ELNS1_3gpuE7ELNS1_3repE0EEENS1_30default_config_static_selectorELNS0_4arch9wavefront6targetE1EEEvT1_
		.amdhsa_group_segment_fixed_size 0
		.amdhsa_private_segment_fixed_size 0
		.amdhsa_kernarg_size 96
		.amdhsa_user_sgpr_count 6
		.amdhsa_user_sgpr_private_segment_buffer 1
		.amdhsa_user_sgpr_dispatch_ptr 0
		.amdhsa_user_sgpr_queue_ptr 0
		.amdhsa_user_sgpr_kernarg_segment_ptr 1
		.amdhsa_user_sgpr_dispatch_id 0
		.amdhsa_user_sgpr_flat_scratch_init 0
		.amdhsa_user_sgpr_kernarg_preload_length 0
		.amdhsa_user_sgpr_kernarg_preload_offset 0
		.amdhsa_user_sgpr_private_segment_size 0
		.amdhsa_uses_dynamic_stack 0
		.amdhsa_system_sgpr_private_segment_wavefront_offset 0
		.amdhsa_system_sgpr_workgroup_id_x 1
		.amdhsa_system_sgpr_workgroup_id_y 0
		.amdhsa_system_sgpr_workgroup_id_z 0
		.amdhsa_system_sgpr_workgroup_info 0
		.amdhsa_system_vgpr_workitem_id 0
		.amdhsa_next_free_vgpr 1
		.amdhsa_next_free_sgpr 0
		.amdhsa_accum_offset 4
		.amdhsa_reserve_vcc 0
		.amdhsa_reserve_flat_scratch 0
		.amdhsa_float_round_mode_32 0
		.amdhsa_float_round_mode_16_64 0
		.amdhsa_float_denorm_mode_32 3
		.amdhsa_float_denorm_mode_16_64 3
		.amdhsa_dx10_clamp 1
		.amdhsa_ieee_mode 1
		.amdhsa_fp16_overflow 0
		.amdhsa_tg_split 0
		.amdhsa_exception_fp_ieee_invalid_op 0
		.amdhsa_exception_fp_denorm_src 0
		.amdhsa_exception_fp_ieee_div_zero 0
		.amdhsa_exception_fp_ieee_overflow 0
		.amdhsa_exception_fp_ieee_underflow 0
		.amdhsa_exception_fp_ieee_inexact 0
		.amdhsa_exception_int_div_zero 0
	.end_amdhsa_kernel
	.section	.text._ZN7rocprim17ROCPRIM_400000_NS6detail17trampoline_kernelINS0_14default_configENS1_20scan_config_selectorIfEEZZNS1_9scan_implILNS1_25lookback_scan_determinismE0ELb1ELb1ES3_N6thrust23THRUST_200600_302600_NS6detail15normal_iteratorINS9_10device_ptrIjEEEENSB_INSC_IiEEEEfNS9_4plusIvEEfEEDaPvRmT3_T4_T5_mT6_P12ihipStream_tbENKUlT_T0_E_clISt17integral_constantIbLb0EESW_EEDaSR_SS_EUlSR_E_NS1_11comp_targetILNS1_3genE3ELNS1_11target_archE908ELNS1_3gpuE7ELNS1_3repE0EEENS1_30default_config_static_selectorELNS0_4arch9wavefront6targetE1EEEvT1_,"axG",@progbits,_ZN7rocprim17ROCPRIM_400000_NS6detail17trampoline_kernelINS0_14default_configENS1_20scan_config_selectorIfEEZZNS1_9scan_implILNS1_25lookback_scan_determinismE0ELb1ELb1ES3_N6thrust23THRUST_200600_302600_NS6detail15normal_iteratorINS9_10device_ptrIjEEEENSB_INSC_IiEEEEfNS9_4plusIvEEfEEDaPvRmT3_T4_T5_mT6_P12ihipStream_tbENKUlT_T0_E_clISt17integral_constantIbLb0EESW_EEDaSR_SS_EUlSR_E_NS1_11comp_targetILNS1_3genE3ELNS1_11target_archE908ELNS1_3gpuE7ELNS1_3repE0EEENS1_30default_config_static_selectorELNS0_4arch9wavefront6targetE1EEEvT1_,comdat
.Lfunc_end6307:
	.size	_ZN7rocprim17ROCPRIM_400000_NS6detail17trampoline_kernelINS0_14default_configENS1_20scan_config_selectorIfEEZZNS1_9scan_implILNS1_25lookback_scan_determinismE0ELb1ELb1ES3_N6thrust23THRUST_200600_302600_NS6detail15normal_iteratorINS9_10device_ptrIjEEEENSB_INSC_IiEEEEfNS9_4plusIvEEfEEDaPvRmT3_T4_T5_mT6_P12ihipStream_tbENKUlT_T0_E_clISt17integral_constantIbLb0EESW_EEDaSR_SS_EUlSR_E_NS1_11comp_targetILNS1_3genE3ELNS1_11target_archE908ELNS1_3gpuE7ELNS1_3repE0EEENS1_30default_config_static_selectorELNS0_4arch9wavefront6targetE1EEEvT1_, .Lfunc_end6307-_ZN7rocprim17ROCPRIM_400000_NS6detail17trampoline_kernelINS0_14default_configENS1_20scan_config_selectorIfEEZZNS1_9scan_implILNS1_25lookback_scan_determinismE0ELb1ELb1ES3_N6thrust23THRUST_200600_302600_NS6detail15normal_iteratorINS9_10device_ptrIjEEEENSB_INSC_IiEEEEfNS9_4plusIvEEfEEDaPvRmT3_T4_T5_mT6_P12ihipStream_tbENKUlT_T0_E_clISt17integral_constantIbLb0EESW_EEDaSR_SS_EUlSR_E_NS1_11comp_targetILNS1_3genE3ELNS1_11target_archE908ELNS1_3gpuE7ELNS1_3repE0EEENS1_30default_config_static_selectorELNS0_4arch9wavefront6targetE1EEEvT1_
                                        ; -- End function
	.section	.AMDGPU.csdata,"",@progbits
; Kernel info:
; codeLenInByte = 0
; NumSgprs: 4
; NumVgprs: 0
; NumAgprs: 0
; TotalNumVgprs: 0
; ScratchSize: 0
; MemoryBound: 0
; FloatMode: 240
; IeeeMode: 1
; LDSByteSize: 0 bytes/workgroup (compile time only)
; SGPRBlocks: 0
; VGPRBlocks: 0
; NumSGPRsForWavesPerEU: 4
; NumVGPRsForWavesPerEU: 1
; AccumOffset: 4
; Occupancy: 8
; WaveLimiterHint : 0
; COMPUTE_PGM_RSRC2:SCRATCH_EN: 0
; COMPUTE_PGM_RSRC2:USER_SGPR: 6
; COMPUTE_PGM_RSRC2:TRAP_HANDLER: 0
; COMPUTE_PGM_RSRC2:TGID_X_EN: 1
; COMPUTE_PGM_RSRC2:TGID_Y_EN: 0
; COMPUTE_PGM_RSRC2:TGID_Z_EN: 0
; COMPUTE_PGM_RSRC2:TIDIG_COMP_CNT: 0
; COMPUTE_PGM_RSRC3_GFX90A:ACCUM_OFFSET: 0
; COMPUTE_PGM_RSRC3_GFX90A:TG_SPLIT: 0
	.section	.text._ZN7rocprim17ROCPRIM_400000_NS6detail17trampoline_kernelINS0_14default_configENS1_20scan_config_selectorIfEEZZNS1_9scan_implILNS1_25lookback_scan_determinismE0ELb1ELb1ES3_N6thrust23THRUST_200600_302600_NS6detail15normal_iteratorINS9_10device_ptrIjEEEENSB_INSC_IiEEEEfNS9_4plusIvEEfEEDaPvRmT3_T4_T5_mT6_P12ihipStream_tbENKUlT_T0_E_clISt17integral_constantIbLb0EESW_EEDaSR_SS_EUlSR_E_NS1_11comp_targetILNS1_3genE2ELNS1_11target_archE906ELNS1_3gpuE6ELNS1_3repE0EEENS1_30default_config_static_selectorELNS0_4arch9wavefront6targetE1EEEvT1_,"axG",@progbits,_ZN7rocprim17ROCPRIM_400000_NS6detail17trampoline_kernelINS0_14default_configENS1_20scan_config_selectorIfEEZZNS1_9scan_implILNS1_25lookback_scan_determinismE0ELb1ELb1ES3_N6thrust23THRUST_200600_302600_NS6detail15normal_iteratorINS9_10device_ptrIjEEEENSB_INSC_IiEEEEfNS9_4plusIvEEfEEDaPvRmT3_T4_T5_mT6_P12ihipStream_tbENKUlT_T0_E_clISt17integral_constantIbLb0EESW_EEDaSR_SS_EUlSR_E_NS1_11comp_targetILNS1_3genE2ELNS1_11target_archE906ELNS1_3gpuE6ELNS1_3repE0EEENS1_30default_config_static_selectorELNS0_4arch9wavefront6targetE1EEEvT1_,comdat
	.protected	_ZN7rocprim17ROCPRIM_400000_NS6detail17trampoline_kernelINS0_14default_configENS1_20scan_config_selectorIfEEZZNS1_9scan_implILNS1_25lookback_scan_determinismE0ELb1ELb1ES3_N6thrust23THRUST_200600_302600_NS6detail15normal_iteratorINS9_10device_ptrIjEEEENSB_INSC_IiEEEEfNS9_4plusIvEEfEEDaPvRmT3_T4_T5_mT6_P12ihipStream_tbENKUlT_T0_E_clISt17integral_constantIbLb0EESW_EEDaSR_SS_EUlSR_E_NS1_11comp_targetILNS1_3genE2ELNS1_11target_archE906ELNS1_3gpuE6ELNS1_3repE0EEENS1_30default_config_static_selectorELNS0_4arch9wavefront6targetE1EEEvT1_ ; -- Begin function _ZN7rocprim17ROCPRIM_400000_NS6detail17trampoline_kernelINS0_14default_configENS1_20scan_config_selectorIfEEZZNS1_9scan_implILNS1_25lookback_scan_determinismE0ELb1ELb1ES3_N6thrust23THRUST_200600_302600_NS6detail15normal_iteratorINS9_10device_ptrIjEEEENSB_INSC_IiEEEEfNS9_4plusIvEEfEEDaPvRmT3_T4_T5_mT6_P12ihipStream_tbENKUlT_T0_E_clISt17integral_constantIbLb0EESW_EEDaSR_SS_EUlSR_E_NS1_11comp_targetILNS1_3genE2ELNS1_11target_archE906ELNS1_3gpuE6ELNS1_3repE0EEENS1_30default_config_static_selectorELNS0_4arch9wavefront6targetE1EEEvT1_
	.globl	_ZN7rocprim17ROCPRIM_400000_NS6detail17trampoline_kernelINS0_14default_configENS1_20scan_config_selectorIfEEZZNS1_9scan_implILNS1_25lookback_scan_determinismE0ELb1ELb1ES3_N6thrust23THRUST_200600_302600_NS6detail15normal_iteratorINS9_10device_ptrIjEEEENSB_INSC_IiEEEEfNS9_4plusIvEEfEEDaPvRmT3_T4_T5_mT6_P12ihipStream_tbENKUlT_T0_E_clISt17integral_constantIbLb0EESW_EEDaSR_SS_EUlSR_E_NS1_11comp_targetILNS1_3genE2ELNS1_11target_archE906ELNS1_3gpuE6ELNS1_3repE0EEENS1_30default_config_static_selectorELNS0_4arch9wavefront6targetE1EEEvT1_
	.p2align	8
	.type	_ZN7rocprim17ROCPRIM_400000_NS6detail17trampoline_kernelINS0_14default_configENS1_20scan_config_selectorIfEEZZNS1_9scan_implILNS1_25lookback_scan_determinismE0ELb1ELb1ES3_N6thrust23THRUST_200600_302600_NS6detail15normal_iteratorINS9_10device_ptrIjEEEENSB_INSC_IiEEEEfNS9_4plusIvEEfEEDaPvRmT3_T4_T5_mT6_P12ihipStream_tbENKUlT_T0_E_clISt17integral_constantIbLb0EESW_EEDaSR_SS_EUlSR_E_NS1_11comp_targetILNS1_3genE2ELNS1_11target_archE906ELNS1_3gpuE6ELNS1_3repE0EEENS1_30default_config_static_selectorELNS0_4arch9wavefront6targetE1EEEvT1_,@function
_ZN7rocprim17ROCPRIM_400000_NS6detail17trampoline_kernelINS0_14default_configENS1_20scan_config_selectorIfEEZZNS1_9scan_implILNS1_25lookback_scan_determinismE0ELb1ELb1ES3_N6thrust23THRUST_200600_302600_NS6detail15normal_iteratorINS9_10device_ptrIjEEEENSB_INSC_IiEEEEfNS9_4plusIvEEfEEDaPvRmT3_T4_T5_mT6_P12ihipStream_tbENKUlT_T0_E_clISt17integral_constantIbLb0EESW_EEDaSR_SS_EUlSR_E_NS1_11comp_targetILNS1_3genE2ELNS1_11target_archE906ELNS1_3gpuE6ELNS1_3repE0EEENS1_30default_config_static_selectorELNS0_4arch9wavefront6targetE1EEEvT1_: ; @_ZN7rocprim17ROCPRIM_400000_NS6detail17trampoline_kernelINS0_14default_configENS1_20scan_config_selectorIfEEZZNS1_9scan_implILNS1_25lookback_scan_determinismE0ELb1ELb1ES3_N6thrust23THRUST_200600_302600_NS6detail15normal_iteratorINS9_10device_ptrIjEEEENSB_INSC_IiEEEEfNS9_4plusIvEEfEEDaPvRmT3_T4_T5_mT6_P12ihipStream_tbENKUlT_T0_E_clISt17integral_constantIbLb0EESW_EEDaSR_SS_EUlSR_E_NS1_11comp_targetILNS1_3genE2ELNS1_11target_archE906ELNS1_3gpuE6ELNS1_3repE0EEENS1_30default_config_static_selectorELNS0_4arch9wavefront6targetE1EEEvT1_
; %bb.0:
	.section	.rodata,"a",@progbits
	.p2align	6, 0x0
	.amdhsa_kernel _ZN7rocprim17ROCPRIM_400000_NS6detail17trampoline_kernelINS0_14default_configENS1_20scan_config_selectorIfEEZZNS1_9scan_implILNS1_25lookback_scan_determinismE0ELb1ELb1ES3_N6thrust23THRUST_200600_302600_NS6detail15normal_iteratorINS9_10device_ptrIjEEEENSB_INSC_IiEEEEfNS9_4plusIvEEfEEDaPvRmT3_T4_T5_mT6_P12ihipStream_tbENKUlT_T0_E_clISt17integral_constantIbLb0EESW_EEDaSR_SS_EUlSR_E_NS1_11comp_targetILNS1_3genE2ELNS1_11target_archE906ELNS1_3gpuE6ELNS1_3repE0EEENS1_30default_config_static_selectorELNS0_4arch9wavefront6targetE1EEEvT1_
		.amdhsa_group_segment_fixed_size 0
		.amdhsa_private_segment_fixed_size 0
		.amdhsa_kernarg_size 96
		.amdhsa_user_sgpr_count 6
		.amdhsa_user_sgpr_private_segment_buffer 1
		.amdhsa_user_sgpr_dispatch_ptr 0
		.amdhsa_user_sgpr_queue_ptr 0
		.amdhsa_user_sgpr_kernarg_segment_ptr 1
		.amdhsa_user_sgpr_dispatch_id 0
		.amdhsa_user_sgpr_flat_scratch_init 0
		.amdhsa_user_sgpr_kernarg_preload_length 0
		.amdhsa_user_sgpr_kernarg_preload_offset 0
		.amdhsa_user_sgpr_private_segment_size 0
		.amdhsa_uses_dynamic_stack 0
		.amdhsa_system_sgpr_private_segment_wavefront_offset 0
		.amdhsa_system_sgpr_workgroup_id_x 1
		.amdhsa_system_sgpr_workgroup_id_y 0
		.amdhsa_system_sgpr_workgroup_id_z 0
		.amdhsa_system_sgpr_workgroup_info 0
		.amdhsa_system_vgpr_workitem_id 0
		.amdhsa_next_free_vgpr 1
		.amdhsa_next_free_sgpr 0
		.amdhsa_accum_offset 4
		.amdhsa_reserve_vcc 0
		.amdhsa_reserve_flat_scratch 0
		.amdhsa_float_round_mode_32 0
		.amdhsa_float_round_mode_16_64 0
		.amdhsa_float_denorm_mode_32 3
		.amdhsa_float_denorm_mode_16_64 3
		.amdhsa_dx10_clamp 1
		.amdhsa_ieee_mode 1
		.amdhsa_fp16_overflow 0
		.amdhsa_tg_split 0
		.amdhsa_exception_fp_ieee_invalid_op 0
		.amdhsa_exception_fp_denorm_src 0
		.amdhsa_exception_fp_ieee_div_zero 0
		.amdhsa_exception_fp_ieee_overflow 0
		.amdhsa_exception_fp_ieee_underflow 0
		.amdhsa_exception_fp_ieee_inexact 0
		.amdhsa_exception_int_div_zero 0
	.end_amdhsa_kernel
	.section	.text._ZN7rocprim17ROCPRIM_400000_NS6detail17trampoline_kernelINS0_14default_configENS1_20scan_config_selectorIfEEZZNS1_9scan_implILNS1_25lookback_scan_determinismE0ELb1ELb1ES3_N6thrust23THRUST_200600_302600_NS6detail15normal_iteratorINS9_10device_ptrIjEEEENSB_INSC_IiEEEEfNS9_4plusIvEEfEEDaPvRmT3_T4_T5_mT6_P12ihipStream_tbENKUlT_T0_E_clISt17integral_constantIbLb0EESW_EEDaSR_SS_EUlSR_E_NS1_11comp_targetILNS1_3genE2ELNS1_11target_archE906ELNS1_3gpuE6ELNS1_3repE0EEENS1_30default_config_static_selectorELNS0_4arch9wavefront6targetE1EEEvT1_,"axG",@progbits,_ZN7rocprim17ROCPRIM_400000_NS6detail17trampoline_kernelINS0_14default_configENS1_20scan_config_selectorIfEEZZNS1_9scan_implILNS1_25lookback_scan_determinismE0ELb1ELb1ES3_N6thrust23THRUST_200600_302600_NS6detail15normal_iteratorINS9_10device_ptrIjEEEENSB_INSC_IiEEEEfNS9_4plusIvEEfEEDaPvRmT3_T4_T5_mT6_P12ihipStream_tbENKUlT_T0_E_clISt17integral_constantIbLb0EESW_EEDaSR_SS_EUlSR_E_NS1_11comp_targetILNS1_3genE2ELNS1_11target_archE906ELNS1_3gpuE6ELNS1_3repE0EEENS1_30default_config_static_selectorELNS0_4arch9wavefront6targetE1EEEvT1_,comdat
.Lfunc_end6308:
	.size	_ZN7rocprim17ROCPRIM_400000_NS6detail17trampoline_kernelINS0_14default_configENS1_20scan_config_selectorIfEEZZNS1_9scan_implILNS1_25lookback_scan_determinismE0ELb1ELb1ES3_N6thrust23THRUST_200600_302600_NS6detail15normal_iteratorINS9_10device_ptrIjEEEENSB_INSC_IiEEEEfNS9_4plusIvEEfEEDaPvRmT3_T4_T5_mT6_P12ihipStream_tbENKUlT_T0_E_clISt17integral_constantIbLb0EESW_EEDaSR_SS_EUlSR_E_NS1_11comp_targetILNS1_3genE2ELNS1_11target_archE906ELNS1_3gpuE6ELNS1_3repE0EEENS1_30default_config_static_selectorELNS0_4arch9wavefront6targetE1EEEvT1_, .Lfunc_end6308-_ZN7rocprim17ROCPRIM_400000_NS6detail17trampoline_kernelINS0_14default_configENS1_20scan_config_selectorIfEEZZNS1_9scan_implILNS1_25lookback_scan_determinismE0ELb1ELb1ES3_N6thrust23THRUST_200600_302600_NS6detail15normal_iteratorINS9_10device_ptrIjEEEENSB_INSC_IiEEEEfNS9_4plusIvEEfEEDaPvRmT3_T4_T5_mT6_P12ihipStream_tbENKUlT_T0_E_clISt17integral_constantIbLb0EESW_EEDaSR_SS_EUlSR_E_NS1_11comp_targetILNS1_3genE2ELNS1_11target_archE906ELNS1_3gpuE6ELNS1_3repE0EEENS1_30default_config_static_selectorELNS0_4arch9wavefront6targetE1EEEvT1_
                                        ; -- End function
	.section	.AMDGPU.csdata,"",@progbits
; Kernel info:
; codeLenInByte = 0
; NumSgprs: 4
; NumVgprs: 0
; NumAgprs: 0
; TotalNumVgprs: 0
; ScratchSize: 0
; MemoryBound: 0
; FloatMode: 240
; IeeeMode: 1
; LDSByteSize: 0 bytes/workgroup (compile time only)
; SGPRBlocks: 0
; VGPRBlocks: 0
; NumSGPRsForWavesPerEU: 4
; NumVGPRsForWavesPerEU: 1
; AccumOffset: 4
; Occupancy: 8
; WaveLimiterHint : 0
; COMPUTE_PGM_RSRC2:SCRATCH_EN: 0
; COMPUTE_PGM_RSRC2:USER_SGPR: 6
; COMPUTE_PGM_RSRC2:TRAP_HANDLER: 0
; COMPUTE_PGM_RSRC2:TGID_X_EN: 1
; COMPUTE_PGM_RSRC2:TGID_Y_EN: 0
; COMPUTE_PGM_RSRC2:TGID_Z_EN: 0
; COMPUTE_PGM_RSRC2:TIDIG_COMP_CNT: 0
; COMPUTE_PGM_RSRC3_GFX90A:ACCUM_OFFSET: 0
; COMPUTE_PGM_RSRC3_GFX90A:TG_SPLIT: 0
	.section	.text._ZN7rocprim17ROCPRIM_400000_NS6detail17trampoline_kernelINS0_14default_configENS1_20scan_config_selectorIfEEZZNS1_9scan_implILNS1_25lookback_scan_determinismE0ELb1ELb1ES3_N6thrust23THRUST_200600_302600_NS6detail15normal_iteratorINS9_10device_ptrIjEEEENSB_INSC_IiEEEEfNS9_4plusIvEEfEEDaPvRmT3_T4_T5_mT6_P12ihipStream_tbENKUlT_T0_E_clISt17integral_constantIbLb0EESW_EEDaSR_SS_EUlSR_E_NS1_11comp_targetILNS1_3genE10ELNS1_11target_archE1201ELNS1_3gpuE5ELNS1_3repE0EEENS1_30default_config_static_selectorELNS0_4arch9wavefront6targetE1EEEvT1_,"axG",@progbits,_ZN7rocprim17ROCPRIM_400000_NS6detail17trampoline_kernelINS0_14default_configENS1_20scan_config_selectorIfEEZZNS1_9scan_implILNS1_25lookback_scan_determinismE0ELb1ELb1ES3_N6thrust23THRUST_200600_302600_NS6detail15normal_iteratorINS9_10device_ptrIjEEEENSB_INSC_IiEEEEfNS9_4plusIvEEfEEDaPvRmT3_T4_T5_mT6_P12ihipStream_tbENKUlT_T0_E_clISt17integral_constantIbLb0EESW_EEDaSR_SS_EUlSR_E_NS1_11comp_targetILNS1_3genE10ELNS1_11target_archE1201ELNS1_3gpuE5ELNS1_3repE0EEENS1_30default_config_static_selectorELNS0_4arch9wavefront6targetE1EEEvT1_,comdat
	.protected	_ZN7rocprim17ROCPRIM_400000_NS6detail17trampoline_kernelINS0_14default_configENS1_20scan_config_selectorIfEEZZNS1_9scan_implILNS1_25lookback_scan_determinismE0ELb1ELb1ES3_N6thrust23THRUST_200600_302600_NS6detail15normal_iteratorINS9_10device_ptrIjEEEENSB_INSC_IiEEEEfNS9_4plusIvEEfEEDaPvRmT3_T4_T5_mT6_P12ihipStream_tbENKUlT_T0_E_clISt17integral_constantIbLb0EESW_EEDaSR_SS_EUlSR_E_NS1_11comp_targetILNS1_3genE10ELNS1_11target_archE1201ELNS1_3gpuE5ELNS1_3repE0EEENS1_30default_config_static_selectorELNS0_4arch9wavefront6targetE1EEEvT1_ ; -- Begin function _ZN7rocprim17ROCPRIM_400000_NS6detail17trampoline_kernelINS0_14default_configENS1_20scan_config_selectorIfEEZZNS1_9scan_implILNS1_25lookback_scan_determinismE0ELb1ELb1ES3_N6thrust23THRUST_200600_302600_NS6detail15normal_iteratorINS9_10device_ptrIjEEEENSB_INSC_IiEEEEfNS9_4plusIvEEfEEDaPvRmT3_T4_T5_mT6_P12ihipStream_tbENKUlT_T0_E_clISt17integral_constantIbLb0EESW_EEDaSR_SS_EUlSR_E_NS1_11comp_targetILNS1_3genE10ELNS1_11target_archE1201ELNS1_3gpuE5ELNS1_3repE0EEENS1_30default_config_static_selectorELNS0_4arch9wavefront6targetE1EEEvT1_
	.globl	_ZN7rocprim17ROCPRIM_400000_NS6detail17trampoline_kernelINS0_14default_configENS1_20scan_config_selectorIfEEZZNS1_9scan_implILNS1_25lookback_scan_determinismE0ELb1ELb1ES3_N6thrust23THRUST_200600_302600_NS6detail15normal_iteratorINS9_10device_ptrIjEEEENSB_INSC_IiEEEEfNS9_4plusIvEEfEEDaPvRmT3_T4_T5_mT6_P12ihipStream_tbENKUlT_T0_E_clISt17integral_constantIbLb0EESW_EEDaSR_SS_EUlSR_E_NS1_11comp_targetILNS1_3genE10ELNS1_11target_archE1201ELNS1_3gpuE5ELNS1_3repE0EEENS1_30default_config_static_selectorELNS0_4arch9wavefront6targetE1EEEvT1_
	.p2align	8
	.type	_ZN7rocprim17ROCPRIM_400000_NS6detail17trampoline_kernelINS0_14default_configENS1_20scan_config_selectorIfEEZZNS1_9scan_implILNS1_25lookback_scan_determinismE0ELb1ELb1ES3_N6thrust23THRUST_200600_302600_NS6detail15normal_iteratorINS9_10device_ptrIjEEEENSB_INSC_IiEEEEfNS9_4plusIvEEfEEDaPvRmT3_T4_T5_mT6_P12ihipStream_tbENKUlT_T0_E_clISt17integral_constantIbLb0EESW_EEDaSR_SS_EUlSR_E_NS1_11comp_targetILNS1_3genE10ELNS1_11target_archE1201ELNS1_3gpuE5ELNS1_3repE0EEENS1_30default_config_static_selectorELNS0_4arch9wavefront6targetE1EEEvT1_,@function
_ZN7rocprim17ROCPRIM_400000_NS6detail17trampoline_kernelINS0_14default_configENS1_20scan_config_selectorIfEEZZNS1_9scan_implILNS1_25lookback_scan_determinismE0ELb1ELb1ES3_N6thrust23THRUST_200600_302600_NS6detail15normal_iteratorINS9_10device_ptrIjEEEENSB_INSC_IiEEEEfNS9_4plusIvEEfEEDaPvRmT3_T4_T5_mT6_P12ihipStream_tbENKUlT_T0_E_clISt17integral_constantIbLb0EESW_EEDaSR_SS_EUlSR_E_NS1_11comp_targetILNS1_3genE10ELNS1_11target_archE1201ELNS1_3gpuE5ELNS1_3repE0EEENS1_30default_config_static_selectorELNS0_4arch9wavefront6targetE1EEEvT1_: ; @_ZN7rocprim17ROCPRIM_400000_NS6detail17trampoline_kernelINS0_14default_configENS1_20scan_config_selectorIfEEZZNS1_9scan_implILNS1_25lookback_scan_determinismE0ELb1ELb1ES3_N6thrust23THRUST_200600_302600_NS6detail15normal_iteratorINS9_10device_ptrIjEEEENSB_INSC_IiEEEEfNS9_4plusIvEEfEEDaPvRmT3_T4_T5_mT6_P12ihipStream_tbENKUlT_T0_E_clISt17integral_constantIbLb0EESW_EEDaSR_SS_EUlSR_E_NS1_11comp_targetILNS1_3genE10ELNS1_11target_archE1201ELNS1_3gpuE5ELNS1_3repE0EEENS1_30default_config_static_selectorELNS0_4arch9wavefront6targetE1EEEvT1_
; %bb.0:
	.section	.rodata,"a",@progbits
	.p2align	6, 0x0
	.amdhsa_kernel _ZN7rocprim17ROCPRIM_400000_NS6detail17trampoline_kernelINS0_14default_configENS1_20scan_config_selectorIfEEZZNS1_9scan_implILNS1_25lookback_scan_determinismE0ELb1ELb1ES3_N6thrust23THRUST_200600_302600_NS6detail15normal_iteratorINS9_10device_ptrIjEEEENSB_INSC_IiEEEEfNS9_4plusIvEEfEEDaPvRmT3_T4_T5_mT6_P12ihipStream_tbENKUlT_T0_E_clISt17integral_constantIbLb0EESW_EEDaSR_SS_EUlSR_E_NS1_11comp_targetILNS1_3genE10ELNS1_11target_archE1201ELNS1_3gpuE5ELNS1_3repE0EEENS1_30default_config_static_selectorELNS0_4arch9wavefront6targetE1EEEvT1_
		.amdhsa_group_segment_fixed_size 0
		.amdhsa_private_segment_fixed_size 0
		.amdhsa_kernarg_size 96
		.amdhsa_user_sgpr_count 6
		.amdhsa_user_sgpr_private_segment_buffer 1
		.amdhsa_user_sgpr_dispatch_ptr 0
		.amdhsa_user_sgpr_queue_ptr 0
		.amdhsa_user_sgpr_kernarg_segment_ptr 1
		.amdhsa_user_sgpr_dispatch_id 0
		.amdhsa_user_sgpr_flat_scratch_init 0
		.amdhsa_user_sgpr_kernarg_preload_length 0
		.amdhsa_user_sgpr_kernarg_preload_offset 0
		.amdhsa_user_sgpr_private_segment_size 0
		.amdhsa_uses_dynamic_stack 0
		.amdhsa_system_sgpr_private_segment_wavefront_offset 0
		.amdhsa_system_sgpr_workgroup_id_x 1
		.amdhsa_system_sgpr_workgroup_id_y 0
		.amdhsa_system_sgpr_workgroup_id_z 0
		.amdhsa_system_sgpr_workgroup_info 0
		.amdhsa_system_vgpr_workitem_id 0
		.amdhsa_next_free_vgpr 1
		.amdhsa_next_free_sgpr 0
		.amdhsa_accum_offset 4
		.amdhsa_reserve_vcc 0
		.amdhsa_reserve_flat_scratch 0
		.amdhsa_float_round_mode_32 0
		.amdhsa_float_round_mode_16_64 0
		.amdhsa_float_denorm_mode_32 3
		.amdhsa_float_denorm_mode_16_64 3
		.amdhsa_dx10_clamp 1
		.amdhsa_ieee_mode 1
		.amdhsa_fp16_overflow 0
		.amdhsa_tg_split 0
		.amdhsa_exception_fp_ieee_invalid_op 0
		.amdhsa_exception_fp_denorm_src 0
		.amdhsa_exception_fp_ieee_div_zero 0
		.amdhsa_exception_fp_ieee_overflow 0
		.amdhsa_exception_fp_ieee_underflow 0
		.amdhsa_exception_fp_ieee_inexact 0
		.amdhsa_exception_int_div_zero 0
	.end_amdhsa_kernel
	.section	.text._ZN7rocprim17ROCPRIM_400000_NS6detail17trampoline_kernelINS0_14default_configENS1_20scan_config_selectorIfEEZZNS1_9scan_implILNS1_25lookback_scan_determinismE0ELb1ELb1ES3_N6thrust23THRUST_200600_302600_NS6detail15normal_iteratorINS9_10device_ptrIjEEEENSB_INSC_IiEEEEfNS9_4plusIvEEfEEDaPvRmT3_T4_T5_mT6_P12ihipStream_tbENKUlT_T0_E_clISt17integral_constantIbLb0EESW_EEDaSR_SS_EUlSR_E_NS1_11comp_targetILNS1_3genE10ELNS1_11target_archE1201ELNS1_3gpuE5ELNS1_3repE0EEENS1_30default_config_static_selectorELNS0_4arch9wavefront6targetE1EEEvT1_,"axG",@progbits,_ZN7rocprim17ROCPRIM_400000_NS6detail17trampoline_kernelINS0_14default_configENS1_20scan_config_selectorIfEEZZNS1_9scan_implILNS1_25lookback_scan_determinismE0ELb1ELb1ES3_N6thrust23THRUST_200600_302600_NS6detail15normal_iteratorINS9_10device_ptrIjEEEENSB_INSC_IiEEEEfNS9_4plusIvEEfEEDaPvRmT3_T4_T5_mT6_P12ihipStream_tbENKUlT_T0_E_clISt17integral_constantIbLb0EESW_EEDaSR_SS_EUlSR_E_NS1_11comp_targetILNS1_3genE10ELNS1_11target_archE1201ELNS1_3gpuE5ELNS1_3repE0EEENS1_30default_config_static_selectorELNS0_4arch9wavefront6targetE1EEEvT1_,comdat
.Lfunc_end6309:
	.size	_ZN7rocprim17ROCPRIM_400000_NS6detail17trampoline_kernelINS0_14default_configENS1_20scan_config_selectorIfEEZZNS1_9scan_implILNS1_25lookback_scan_determinismE0ELb1ELb1ES3_N6thrust23THRUST_200600_302600_NS6detail15normal_iteratorINS9_10device_ptrIjEEEENSB_INSC_IiEEEEfNS9_4plusIvEEfEEDaPvRmT3_T4_T5_mT6_P12ihipStream_tbENKUlT_T0_E_clISt17integral_constantIbLb0EESW_EEDaSR_SS_EUlSR_E_NS1_11comp_targetILNS1_3genE10ELNS1_11target_archE1201ELNS1_3gpuE5ELNS1_3repE0EEENS1_30default_config_static_selectorELNS0_4arch9wavefront6targetE1EEEvT1_, .Lfunc_end6309-_ZN7rocprim17ROCPRIM_400000_NS6detail17trampoline_kernelINS0_14default_configENS1_20scan_config_selectorIfEEZZNS1_9scan_implILNS1_25lookback_scan_determinismE0ELb1ELb1ES3_N6thrust23THRUST_200600_302600_NS6detail15normal_iteratorINS9_10device_ptrIjEEEENSB_INSC_IiEEEEfNS9_4plusIvEEfEEDaPvRmT3_T4_T5_mT6_P12ihipStream_tbENKUlT_T0_E_clISt17integral_constantIbLb0EESW_EEDaSR_SS_EUlSR_E_NS1_11comp_targetILNS1_3genE10ELNS1_11target_archE1201ELNS1_3gpuE5ELNS1_3repE0EEENS1_30default_config_static_selectorELNS0_4arch9wavefront6targetE1EEEvT1_
                                        ; -- End function
	.section	.AMDGPU.csdata,"",@progbits
; Kernel info:
; codeLenInByte = 0
; NumSgprs: 4
; NumVgprs: 0
; NumAgprs: 0
; TotalNumVgprs: 0
; ScratchSize: 0
; MemoryBound: 0
; FloatMode: 240
; IeeeMode: 1
; LDSByteSize: 0 bytes/workgroup (compile time only)
; SGPRBlocks: 0
; VGPRBlocks: 0
; NumSGPRsForWavesPerEU: 4
; NumVGPRsForWavesPerEU: 1
; AccumOffset: 4
; Occupancy: 8
; WaveLimiterHint : 0
; COMPUTE_PGM_RSRC2:SCRATCH_EN: 0
; COMPUTE_PGM_RSRC2:USER_SGPR: 6
; COMPUTE_PGM_RSRC2:TRAP_HANDLER: 0
; COMPUTE_PGM_RSRC2:TGID_X_EN: 1
; COMPUTE_PGM_RSRC2:TGID_Y_EN: 0
; COMPUTE_PGM_RSRC2:TGID_Z_EN: 0
; COMPUTE_PGM_RSRC2:TIDIG_COMP_CNT: 0
; COMPUTE_PGM_RSRC3_GFX90A:ACCUM_OFFSET: 0
; COMPUTE_PGM_RSRC3_GFX90A:TG_SPLIT: 0
	.section	.text._ZN7rocprim17ROCPRIM_400000_NS6detail17trampoline_kernelINS0_14default_configENS1_20scan_config_selectorIfEEZZNS1_9scan_implILNS1_25lookback_scan_determinismE0ELb1ELb1ES3_N6thrust23THRUST_200600_302600_NS6detail15normal_iteratorINS9_10device_ptrIjEEEENSB_INSC_IiEEEEfNS9_4plusIvEEfEEDaPvRmT3_T4_T5_mT6_P12ihipStream_tbENKUlT_T0_E_clISt17integral_constantIbLb0EESW_EEDaSR_SS_EUlSR_E_NS1_11comp_targetILNS1_3genE10ELNS1_11target_archE1200ELNS1_3gpuE4ELNS1_3repE0EEENS1_30default_config_static_selectorELNS0_4arch9wavefront6targetE1EEEvT1_,"axG",@progbits,_ZN7rocprim17ROCPRIM_400000_NS6detail17trampoline_kernelINS0_14default_configENS1_20scan_config_selectorIfEEZZNS1_9scan_implILNS1_25lookback_scan_determinismE0ELb1ELb1ES3_N6thrust23THRUST_200600_302600_NS6detail15normal_iteratorINS9_10device_ptrIjEEEENSB_INSC_IiEEEEfNS9_4plusIvEEfEEDaPvRmT3_T4_T5_mT6_P12ihipStream_tbENKUlT_T0_E_clISt17integral_constantIbLb0EESW_EEDaSR_SS_EUlSR_E_NS1_11comp_targetILNS1_3genE10ELNS1_11target_archE1200ELNS1_3gpuE4ELNS1_3repE0EEENS1_30default_config_static_selectorELNS0_4arch9wavefront6targetE1EEEvT1_,comdat
	.protected	_ZN7rocprim17ROCPRIM_400000_NS6detail17trampoline_kernelINS0_14default_configENS1_20scan_config_selectorIfEEZZNS1_9scan_implILNS1_25lookback_scan_determinismE0ELb1ELb1ES3_N6thrust23THRUST_200600_302600_NS6detail15normal_iteratorINS9_10device_ptrIjEEEENSB_INSC_IiEEEEfNS9_4plusIvEEfEEDaPvRmT3_T4_T5_mT6_P12ihipStream_tbENKUlT_T0_E_clISt17integral_constantIbLb0EESW_EEDaSR_SS_EUlSR_E_NS1_11comp_targetILNS1_3genE10ELNS1_11target_archE1200ELNS1_3gpuE4ELNS1_3repE0EEENS1_30default_config_static_selectorELNS0_4arch9wavefront6targetE1EEEvT1_ ; -- Begin function _ZN7rocprim17ROCPRIM_400000_NS6detail17trampoline_kernelINS0_14default_configENS1_20scan_config_selectorIfEEZZNS1_9scan_implILNS1_25lookback_scan_determinismE0ELb1ELb1ES3_N6thrust23THRUST_200600_302600_NS6detail15normal_iteratorINS9_10device_ptrIjEEEENSB_INSC_IiEEEEfNS9_4plusIvEEfEEDaPvRmT3_T4_T5_mT6_P12ihipStream_tbENKUlT_T0_E_clISt17integral_constantIbLb0EESW_EEDaSR_SS_EUlSR_E_NS1_11comp_targetILNS1_3genE10ELNS1_11target_archE1200ELNS1_3gpuE4ELNS1_3repE0EEENS1_30default_config_static_selectorELNS0_4arch9wavefront6targetE1EEEvT1_
	.globl	_ZN7rocprim17ROCPRIM_400000_NS6detail17trampoline_kernelINS0_14default_configENS1_20scan_config_selectorIfEEZZNS1_9scan_implILNS1_25lookback_scan_determinismE0ELb1ELb1ES3_N6thrust23THRUST_200600_302600_NS6detail15normal_iteratorINS9_10device_ptrIjEEEENSB_INSC_IiEEEEfNS9_4plusIvEEfEEDaPvRmT3_T4_T5_mT6_P12ihipStream_tbENKUlT_T0_E_clISt17integral_constantIbLb0EESW_EEDaSR_SS_EUlSR_E_NS1_11comp_targetILNS1_3genE10ELNS1_11target_archE1200ELNS1_3gpuE4ELNS1_3repE0EEENS1_30default_config_static_selectorELNS0_4arch9wavefront6targetE1EEEvT1_
	.p2align	8
	.type	_ZN7rocprim17ROCPRIM_400000_NS6detail17trampoline_kernelINS0_14default_configENS1_20scan_config_selectorIfEEZZNS1_9scan_implILNS1_25lookback_scan_determinismE0ELb1ELb1ES3_N6thrust23THRUST_200600_302600_NS6detail15normal_iteratorINS9_10device_ptrIjEEEENSB_INSC_IiEEEEfNS9_4plusIvEEfEEDaPvRmT3_T4_T5_mT6_P12ihipStream_tbENKUlT_T0_E_clISt17integral_constantIbLb0EESW_EEDaSR_SS_EUlSR_E_NS1_11comp_targetILNS1_3genE10ELNS1_11target_archE1200ELNS1_3gpuE4ELNS1_3repE0EEENS1_30default_config_static_selectorELNS0_4arch9wavefront6targetE1EEEvT1_,@function
_ZN7rocprim17ROCPRIM_400000_NS6detail17trampoline_kernelINS0_14default_configENS1_20scan_config_selectorIfEEZZNS1_9scan_implILNS1_25lookback_scan_determinismE0ELb1ELb1ES3_N6thrust23THRUST_200600_302600_NS6detail15normal_iteratorINS9_10device_ptrIjEEEENSB_INSC_IiEEEEfNS9_4plusIvEEfEEDaPvRmT3_T4_T5_mT6_P12ihipStream_tbENKUlT_T0_E_clISt17integral_constantIbLb0EESW_EEDaSR_SS_EUlSR_E_NS1_11comp_targetILNS1_3genE10ELNS1_11target_archE1200ELNS1_3gpuE4ELNS1_3repE0EEENS1_30default_config_static_selectorELNS0_4arch9wavefront6targetE1EEEvT1_: ; @_ZN7rocprim17ROCPRIM_400000_NS6detail17trampoline_kernelINS0_14default_configENS1_20scan_config_selectorIfEEZZNS1_9scan_implILNS1_25lookback_scan_determinismE0ELb1ELb1ES3_N6thrust23THRUST_200600_302600_NS6detail15normal_iteratorINS9_10device_ptrIjEEEENSB_INSC_IiEEEEfNS9_4plusIvEEfEEDaPvRmT3_T4_T5_mT6_P12ihipStream_tbENKUlT_T0_E_clISt17integral_constantIbLb0EESW_EEDaSR_SS_EUlSR_E_NS1_11comp_targetILNS1_3genE10ELNS1_11target_archE1200ELNS1_3gpuE4ELNS1_3repE0EEENS1_30default_config_static_selectorELNS0_4arch9wavefront6targetE1EEEvT1_
; %bb.0:
	.section	.rodata,"a",@progbits
	.p2align	6, 0x0
	.amdhsa_kernel _ZN7rocprim17ROCPRIM_400000_NS6detail17trampoline_kernelINS0_14default_configENS1_20scan_config_selectorIfEEZZNS1_9scan_implILNS1_25lookback_scan_determinismE0ELb1ELb1ES3_N6thrust23THRUST_200600_302600_NS6detail15normal_iteratorINS9_10device_ptrIjEEEENSB_INSC_IiEEEEfNS9_4plusIvEEfEEDaPvRmT3_T4_T5_mT6_P12ihipStream_tbENKUlT_T0_E_clISt17integral_constantIbLb0EESW_EEDaSR_SS_EUlSR_E_NS1_11comp_targetILNS1_3genE10ELNS1_11target_archE1200ELNS1_3gpuE4ELNS1_3repE0EEENS1_30default_config_static_selectorELNS0_4arch9wavefront6targetE1EEEvT1_
		.amdhsa_group_segment_fixed_size 0
		.amdhsa_private_segment_fixed_size 0
		.amdhsa_kernarg_size 96
		.amdhsa_user_sgpr_count 6
		.amdhsa_user_sgpr_private_segment_buffer 1
		.amdhsa_user_sgpr_dispatch_ptr 0
		.amdhsa_user_sgpr_queue_ptr 0
		.amdhsa_user_sgpr_kernarg_segment_ptr 1
		.amdhsa_user_sgpr_dispatch_id 0
		.amdhsa_user_sgpr_flat_scratch_init 0
		.amdhsa_user_sgpr_kernarg_preload_length 0
		.amdhsa_user_sgpr_kernarg_preload_offset 0
		.amdhsa_user_sgpr_private_segment_size 0
		.amdhsa_uses_dynamic_stack 0
		.amdhsa_system_sgpr_private_segment_wavefront_offset 0
		.amdhsa_system_sgpr_workgroup_id_x 1
		.amdhsa_system_sgpr_workgroup_id_y 0
		.amdhsa_system_sgpr_workgroup_id_z 0
		.amdhsa_system_sgpr_workgroup_info 0
		.amdhsa_system_vgpr_workitem_id 0
		.amdhsa_next_free_vgpr 1
		.amdhsa_next_free_sgpr 0
		.amdhsa_accum_offset 4
		.amdhsa_reserve_vcc 0
		.amdhsa_reserve_flat_scratch 0
		.amdhsa_float_round_mode_32 0
		.amdhsa_float_round_mode_16_64 0
		.amdhsa_float_denorm_mode_32 3
		.amdhsa_float_denorm_mode_16_64 3
		.amdhsa_dx10_clamp 1
		.amdhsa_ieee_mode 1
		.amdhsa_fp16_overflow 0
		.amdhsa_tg_split 0
		.amdhsa_exception_fp_ieee_invalid_op 0
		.amdhsa_exception_fp_denorm_src 0
		.amdhsa_exception_fp_ieee_div_zero 0
		.amdhsa_exception_fp_ieee_overflow 0
		.amdhsa_exception_fp_ieee_underflow 0
		.amdhsa_exception_fp_ieee_inexact 0
		.amdhsa_exception_int_div_zero 0
	.end_amdhsa_kernel
	.section	.text._ZN7rocprim17ROCPRIM_400000_NS6detail17trampoline_kernelINS0_14default_configENS1_20scan_config_selectorIfEEZZNS1_9scan_implILNS1_25lookback_scan_determinismE0ELb1ELb1ES3_N6thrust23THRUST_200600_302600_NS6detail15normal_iteratorINS9_10device_ptrIjEEEENSB_INSC_IiEEEEfNS9_4plusIvEEfEEDaPvRmT3_T4_T5_mT6_P12ihipStream_tbENKUlT_T0_E_clISt17integral_constantIbLb0EESW_EEDaSR_SS_EUlSR_E_NS1_11comp_targetILNS1_3genE10ELNS1_11target_archE1200ELNS1_3gpuE4ELNS1_3repE0EEENS1_30default_config_static_selectorELNS0_4arch9wavefront6targetE1EEEvT1_,"axG",@progbits,_ZN7rocprim17ROCPRIM_400000_NS6detail17trampoline_kernelINS0_14default_configENS1_20scan_config_selectorIfEEZZNS1_9scan_implILNS1_25lookback_scan_determinismE0ELb1ELb1ES3_N6thrust23THRUST_200600_302600_NS6detail15normal_iteratorINS9_10device_ptrIjEEEENSB_INSC_IiEEEEfNS9_4plusIvEEfEEDaPvRmT3_T4_T5_mT6_P12ihipStream_tbENKUlT_T0_E_clISt17integral_constantIbLb0EESW_EEDaSR_SS_EUlSR_E_NS1_11comp_targetILNS1_3genE10ELNS1_11target_archE1200ELNS1_3gpuE4ELNS1_3repE0EEENS1_30default_config_static_selectorELNS0_4arch9wavefront6targetE1EEEvT1_,comdat
.Lfunc_end6310:
	.size	_ZN7rocprim17ROCPRIM_400000_NS6detail17trampoline_kernelINS0_14default_configENS1_20scan_config_selectorIfEEZZNS1_9scan_implILNS1_25lookback_scan_determinismE0ELb1ELb1ES3_N6thrust23THRUST_200600_302600_NS6detail15normal_iteratorINS9_10device_ptrIjEEEENSB_INSC_IiEEEEfNS9_4plusIvEEfEEDaPvRmT3_T4_T5_mT6_P12ihipStream_tbENKUlT_T0_E_clISt17integral_constantIbLb0EESW_EEDaSR_SS_EUlSR_E_NS1_11comp_targetILNS1_3genE10ELNS1_11target_archE1200ELNS1_3gpuE4ELNS1_3repE0EEENS1_30default_config_static_selectorELNS0_4arch9wavefront6targetE1EEEvT1_, .Lfunc_end6310-_ZN7rocprim17ROCPRIM_400000_NS6detail17trampoline_kernelINS0_14default_configENS1_20scan_config_selectorIfEEZZNS1_9scan_implILNS1_25lookback_scan_determinismE0ELb1ELb1ES3_N6thrust23THRUST_200600_302600_NS6detail15normal_iteratorINS9_10device_ptrIjEEEENSB_INSC_IiEEEEfNS9_4plusIvEEfEEDaPvRmT3_T4_T5_mT6_P12ihipStream_tbENKUlT_T0_E_clISt17integral_constantIbLb0EESW_EEDaSR_SS_EUlSR_E_NS1_11comp_targetILNS1_3genE10ELNS1_11target_archE1200ELNS1_3gpuE4ELNS1_3repE0EEENS1_30default_config_static_selectorELNS0_4arch9wavefront6targetE1EEEvT1_
                                        ; -- End function
	.section	.AMDGPU.csdata,"",@progbits
; Kernel info:
; codeLenInByte = 0
; NumSgprs: 4
; NumVgprs: 0
; NumAgprs: 0
; TotalNumVgprs: 0
; ScratchSize: 0
; MemoryBound: 0
; FloatMode: 240
; IeeeMode: 1
; LDSByteSize: 0 bytes/workgroup (compile time only)
; SGPRBlocks: 0
; VGPRBlocks: 0
; NumSGPRsForWavesPerEU: 4
; NumVGPRsForWavesPerEU: 1
; AccumOffset: 4
; Occupancy: 8
; WaveLimiterHint : 0
; COMPUTE_PGM_RSRC2:SCRATCH_EN: 0
; COMPUTE_PGM_RSRC2:USER_SGPR: 6
; COMPUTE_PGM_RSRC2:TRAP_HANDLER: 0
; COMPUTE_PGM_RSRC2:TGID_X_EN: 1
; COMPUTE_PGM_RSRC2:TGID_Y_EN: 0
; COMPUTE_PGM_RSRC2:TGID_Z_EN: 0
; COMPUTE_PGM_RSRC2:TIDIG_COMP_CNT: 0
; COMPUTE_PGM_RSRC3_GFX90A:ACCUM_OFFSET: 0
; COMPUTE_PGM_RSRC3_GFX90A:TG_SPLIT: 0
	.section	.text._ZN7rocprim17ROCPRIM_400000_NS6detail17trampoline_kernelINS0_14default_configENS1_20scan_config_selectorIfEEZZNS1_9scan_implILNS1_25lookback_scan_determinismE0ELb1ELb1ES3_N6thrust23THRUST_200600_302600_NS6detail15normal_iteratorINS9_10device_ptrIjEEEENSB_INSC_IiEEEEfNS9_4plusIvEEfEEDaPvRmT3_T4_T5_mT6_P12ihipStream_tbENKUlT_T0_E_clISt17integral_constantIbLb0EESW_EEDaSR_SS_EUlSR_E_NS1_11comp_targetILNS1_3genE9ELNS1_11target_archE1100ELNS1_3gpuE3ELNS1_3repE0EEENS1_30default_config_static_selectorELNS0_4arch9wavefront6targetE1EEEvT1_,"axG",@progbits,_ZN7rocprim17ROCPRIM_400000_NS6detail17trampoline_kernelINS0_14default_configENS1_20scan_config_selectorIfEEZZNS1_9scan_implILNS1_25lookback_scan_determinismE0ELb1ELb1ES3_N6thrust23THRUST_200600_302600_NS6detail15normal_iteratorINS9_10device_ptrIjEEEENSB_INSC_IiEEEEfNS9_4plusIvEEfEEDaPvRmT3_T4_T5_mT6_P12ihipStream_tbENKUlT_T0_E_clISt17integral_constantIbLb0EESW_EEDaSR_SS_EUlSR_E_NS1_11comp_targetILNS1_3genE9ELNS1_11target_archE1100ELNS1_3gpuE3ELNS1_3repE0EEENS1_30default_config_static_selectorELNS0_4arch9wavefront6targetE1EEEvT1_,comdat
	.protected	_ZN7rocprim17ROCPRIM_400000_NS6detail17trampoline_kernelINS0_14default_configENS1_20scan_config_selectorIfEEZZNS1_9scan_implILNS1_25lookback_scan_determinismE0ELb1ELb1ES3_N6thrust23THRUST_200600_302600_NS6detail15normal_iteratorINS9_10device_ptrIjEEEENSB_INSC_IiEEEEfNS9_4plusIvEEfEEDaPvRmT3_T4_T5_mT6_P12ihipStream_tbENKUlT_T0_E_clISt17integral_constantIbLb0EESW_EEDaSR_SS_EUlSR_E_NS1_11comp_targetILNS1_3genE9ELNS1_11target_archE1100ELNS1_3gpuE3ELNS1_3repE0EEENS1_30default_config_static_selectorELNS0_4arch9wavefront6targetE1EEEvT1_ ; -- Begin function _ZN7rocprim17ROCPRIM_400000_NS6detail17trampoline_kernelINS0_14default_configENS1_20scan_config_selectorIfEEZZNS1_9scan_implILNS1_25lookback_scan_determinismE0ELb1ELb1ES3_N6thrust23THRUST_200600_302600_NS6detail15normal_iteratorINS9_10device_ptrIjEEEENSB_INSC_IiEEEEfNS9_4plusIvEEfEEDaPvRmT3_T4_T5_mT6_P12ihipStream_tbENKUlT_T0_E_clISt17integral_constantIbLb0EESW_EEDaSR_SS_EUlSR_E_NS1_11comp_targetILNS1_3genE9ELNS1_11target_archE1100ELNS1_3gpuE3ELNS1_3repE0EEENS1_30default_config_static_selectorELNS0_4arch9wavefront6targetE1EEEvT1_
	.globl	_ZN7rocprim17ROCPRIM_400000_NS6detail17trampoline_kernelINS0_14default_configENS1_20scan_config_selectorIfEEZZNS1_9scan_implILNS1_25lookback_scan_determinismE0ELb1ELb1ES3_N6thrust23THRUST_200600_302600_NS6detail15normal_iteratorINS9_10device_ptrIjEEEENSB_INSC_IiEEEEfNS9_4plusIvEEfEEDaPvRmT3_T4_T5_mT6_P12ihipStream_tbENKUlT_T0_E_clISt17integral_constantIbLb0EESW_EEDaSR_SS_EUlSR_E_NS1_11comp_targetILNS1_3genE9ELNS1_11target_archE1100ELNS1_3gpuE3ELNS1_3repE0EEENS1_30default_config_static_selectorELNS0_4arch9wavefront6targetE1EEEvT1_
	.p2align	8
	.type	_ZN7rocprim17ROCPRIM_400000_NS6detail17trampoline_kernelINS0_14default_configENS1_20scan_config_selectorIfEEZZNS1_9scan_implILNS1_25lookback_scan_determinismE0ELb1ELb1ES3_N6thrust23THRUST_200600_302600_NS6detail15normal_iteratorINS9_10device_ptrIjEEEENSB_INSC_IiEEEEfNS9_4plusIvEEfEEDaPvRmT3_T4_T5_mT6_P12ihipStream_tbENKUlT_T0_E_clISt17integral_constantIbLb0EESW_EEDaSR_SS_EUlSR_E_NS1_11comp_targetILNS1_3genE9ELNS1_11target_archE1100ELNS1_3gpuE3ELNS1_3repE0EEENS1_30default_config_static_selectorELNS0_4arch9wavefront6targetE1EEEvT1_,@function
_ZN7rocprim17ROCPRIM_400000_NS6detail17trampoline_kernelINS0_14default_configENS1_20scan_config_selectorIfEEZZNS1_9scan_implILNS1_25lookback_scan_determinismE0ELb1ELb1ES3_N6thrust23THRUST_200600_302600_NS6detail15normal_iteratorINS9_10device_ptrIjEEEENSB_INSC_IiEEEEfNS9_4plusIvEEfEEDaPvRmT3_T4_T5_mT6_P12ihipStream_tbENKUlT_T0_E_clISt17integral_constantIbLb0EESW_EEDaSR_SS_EUlSR_E_NS1_11comp_targetILNS1_3genE9ELNS1_11target_archE1100ELNS1_3gpuE3ELNS1_3repE0EEENS1_30default_config_static_selectorELNS0_4arch9wavefront6targetE1EEEvT1_: ; @_ZN7rocprim17ROCPRIM_400000_NS6detail17trampoline_kernelINS0_14default_configENS1_20scan_config_selectorIfEEZZNS1_9scan_implILNS1_25lookback_scan_determinismE0ELb1ELb1ES3_N6thrust23THRUST_200600_302600_NS6detail15normal_iteratorINS9_10device_ptrIjEEEENSB_INSC_IiEEEEfNS9_4plusIvEEfEEDaPvRmT3_T4_T5_mT6_P12ihipStream_tbENKUlT_T0_E_clISt17integral_constantIbLb0EESW_EEDaSR_SS_EUlSR_E_NS1_11comp_targetILNS1_3genE9ELNS1_11target_archE1100ELNS1_3gpuE3ELNS1_3repE0EEENS1_30default_config_static_selectorELNS0_4arch9wavefront6targetE1EEEvT1_
; %bb.0:
	.section	.rodata,"a",@progbits
	.p2align	6, 0x0
	.amdhsa_kernel _ZN7rocprim17ROCPRIM_400000_NS6detail17trampoline_kernelINS0_14default_configENS1_20scan_config_selectorIfEEZZNS1_9scan_implILNS1_25lookback_scan_determinismE0ELb1ELb1ES3_N6thrust23THRUST_200600_302600_NS6detail15normal_iteratorINS9_10device_ptrIjEEEENSB_INSC_IiEEEEfNS9_4plusIvEEfEEDaPvRmT3_T4_T5_mT6_P12ihipStream_tbENKUlT_T0_E_clISt17integral_constantIbLb0EESW_EEDaSR_SS_EUlSR_E_NS1_11comp_targetILNS1_3genE9ELNS1_11target_archE1100ELNS1_3gpuE3ELNS1_3repE0EEENS1_30default_config_static_selectorELNS0_4arch9wavefront6targetE1EEEvT1_
		.amdhsa_group_segment_fixed_size 0
		.amdhsa_private_segment_fixed_size 0
		.amdhsa_kernarg_size 96
		.amdhsa_user_sgpr_count 6
		.amdhsa_user_sgpr_private_segment_buffer 1
		.amdhsa_user_sgpr_dispatch_ptr 0
		.amdhsa_user_sgpr_queue_ptr 0
		.amdhsa_user_sgpr_kernarg_segment_ptr 1
		.amdhsa_user_sgpr_dispatch_id 0
		.amdhsa_user_sgpr_flat_scratch_init 0
		.amdhsa_user_sgpr_kernarg_preload_length 0
		.amdhsa_user_sgpr_kernarg_preload_offset 0
		.amdhsa_user_sgpr_private_segment_size 0
		.amdhsa_uses_dynamic_stack 0
		.amdhsa_system_sgpr_private_segment_wavefront_offset 0
		.amdhsa_system_sgpr_workgroup_id_x 1
		.amdhsa_system_sgpr_workgroup_id_y 0
		.amdhsa_system_sgpr_workgroup_id_z 0
		.amdhsa_system_sgpr_workgroup_info 0
		.amdhsa_system_vgpr_workitem_id 0
		.amdhsa_next_free_vgpr 1
		.amdhsa_next_free_sgpr 0
		.amdhsa_accum_offset 4
		.amdhsa_reserve_vcc 0
		.amdhsa_reserve_flat_scratch 0
		.amdhsa_float_round_mode_32 0
		.amdhsa_float_round_mode_16_64 0
		.amdhsa_float_denorm_mode_32 3
		.amdhsa_float_denorm_mode_16_64 3
		.amdhsa_dx10_clamp 1
		.amdhsa_ieee_mode 1
		.amdhsa_fp16_overflow 0
		.amdhsa_tg_split 0
		.amdhsa_exception_fp_ieee_invalid_op 0
		.amdhsa_exception_fp_denorm_src 0
		.amdhsa_exception_fp_ieee_div_zero 0
		.amdhsa_exception_fp_ieee_overflow 0
		.amdhsa_exception_fp_ieee_underflow 0
		.amdhsa_exception_fp_ieee_inexact 0
		.amdhsa_exception_int_div_zero 0
	.end_amdhsa_kernel
	.section	.text._ZN7rocprim17ROCPRIM_400000_NS6detail17trampoline_kernelINS0_14default_configENS1_20scan_config_selectorIfEEZZNS1_9scan_implILNS1_25lookback_scan_determinismE0ELb1ELb1ES3_N6thrust23THRUST_200600_302600_NS6detail15normal_iteratorINS9_10device_ptrIjEEEENSB_INSC_IiEEEEfNS9_4plusIvEEfEEDaPvRmT3_T4_T5_mT6_P12ihipStream_tbENKUlT_T0_E_clISt17integral_constantIbLb0EESW_EEDaSR_SS_EUlSR_E_NS1_11comp_targetILNS1_3genE9ELNS1_11target_archE1100ELNS1_3gpuE3ELNS1_3repE0EEENS1_30default_config_static_selectorELNS0_4arch9wavefront6targetE1EEEvT1_,"axG",@progbits,_ZN7rocprim17ROCPRIM_400000_NS6detail17trampoline_kernelINS0_14default_configENS1_20scan_config_selectorIfEEZZNS1_9scan_implILNS1_25lookback_scan_determinismE0ELb1ELb1ES3_N6thrust23THRUST_200600_302600_NS6detail15normal_iteratorINS9_10device_ptrIjEEEENSB_INSC_IiEEEEfNS9_4plusIvEEfEEDaPvRmT3_T4_T5_mT6_P12ihipStream_tbENKUlT_T0_E_clISt17integral_constantIbLb0EESW_EEDaSR_SS_EUlSR_E_NS1_11comp_targetILNS1_3genE9ELNS1_11target_archE1100ELNS1_3gpuE3ELNS1_3repE0EEENS1_30default_config_static_selectorELNS0_4arch9wavefront6targetE1EEEvT1_,comdat
.Lfunc_end6311:
	.size	_ZN7rocprim17ROCPRIM_400000_NS6detail17trampoline_kernelINS0_14default_configENS1_20scan_config_selectorIfEEZZNS1_9scan_implILNS1_25lookback_scan_determinismE0ELb1ELb1ES3_N6thrust23THRUST_200600_302600_NS6detail15normal_iteratorINS9_10device_ptrIjEEEENSB_INSC_IiEEEEfNS9_4plusIvEEfEEDaPvRmT3_T4_T5_mT6_P12ihipStream_tbENKUlT_T0_E_clISt17integral_constantIbLb0EESW_EEDaSR_SS_EUlSR_E_NS1_11comp_targetILNS1_3genE9ELNS1_11target_archE1100ELNS1_3gpuE3ELNS1_3repE0EEENS1_30default_config_static_selectorELNS0_4arch9wavefront6targetE1EEEvT1_, .Lfunc_end6311-_ZN7rocprim17ROCPRIM_400000_NS6detail17trampoline_kernelINS0_14default_configENS1_20scan_config_selectorIfEEZZNS1_9scan_implILNS1_25lookback_scan_determinismE0ELb1ELb1ES3_N6thrust23THRUST_200600_302600_NS6detail15normal_iteratorINS9_10device_ptrIjEEEENSB_INSC_IiEEEEfNS9_4plusIvEEfEEDaPvRmT3_T4_T5_mT6_P12ihipStream_tbENKUlT_T0_E_clISt17integral_constantIbLb0EESW_EEDaSR_SS_EUlSR_E_NS1_11comp_targetILNS1_3genE9ELNS1_11target_archE1100ELNS1_3gpuE3ELNS1_3repE0EEENS1_30default_config_static_selectorELNS0_4arch9wavefront6targetE1EEEvT1_
                                        ; -- End function
	.section	.AMDGPU.csdata,"",@progbits
; Kernel info:
; codeLenInByte = 0
; NumSgprs: 4
; NumVgprs: 0
; NumAgprs: 0
; TotalNumVgprs: 0
; ScratchSize: 0
; MemoryBound: 0
; FloatMode: 240
; IeeeMode: 1
; LDSByteSize: 0 bytes/workgroup (compile time only)
; SGPRBlocks: 0
; VGPRBlocks: 0
; NumSGPRsForWavesPerEU: 4
; NumVGPRsForWavesPerEU: 1
; AccumOffset: 4
; Occupancy: 8
; WaveLimiterHint : 0
; COMPUTE_PGM_RSRC2:SCRATCH_EN: 0
; COMPUTE_PGM_RSRC2:USER_SGPR: 6
; COMPUTE_PGM_RSRC2:TRAP_HANDLER: 0
; COMPUTE_PGM_RSRC2:TGID_X_EN: 1
; COMPUTE_PGM_RSRC2:TGID_Y_EN: 0
; COMPUTE_PGM_RSRC2:TGID_Z_EN: 0
; COMPUTE_PGM_RSRC2:TIDIG_COMP_CNT: 0
; COMPUTE_PGM_RSRC3_GFX90A:ACCUM_OFFSET: 0
; COMPUTE_PGM_RSRC3_GFX90A:TG_SPLIT: 0
	.section	.text._ZN7rocprim17ROCPRIM_400000_NS6detail17trampoline_kernelINS0_14default_configENS1_20scan_config_selectorIfEEZZNS1_9scan_implILNS1_25lookback_scan_determinismE0ELb1ELb1ES3_N6thrust23THRUST_200600_302600_NS6detail15normal_iteratorINS9_10device_ptrIjEEEENSB_INSC_IiEEEEfNS9_4plusIvEEfEEDaPvRmT3_T4_T5_mT6_P12ihipStream_tbENKUlT_T0_E_clISt17integral_constantIbLb0EESW_EEDaSR_SS_EUlSR_E_NS1_11comp_targetILNS1_3genE8ELNS1_11target_archE1030ELNS1_3gpuE2ELNS1_3repE0EEENS1_30default_config_static_selectorELNS0_4arch9wavefront6targetE1EEEvT1_,"axG",@progbits,_ZN7rocprim17ROCPRIM_400000_NS6detail17trampoline_kernelINS0_14default_configENS1_20scan_config_selectorIfEEZZNS1_9scan_implILNS1_25lookback_scan_determinismE0ELb1ELb1ES3_N6thrust23THRUST_200600_302600_NS6detail15normal_iteratorINS9_10device_ptrIjEEEENSB_INSC_IiEEEEfNS9_4plusIvEEfEEDaPvRmT3_T4_T5_mT6_P12ihipStream_tbENKUlT_T0_E_clISt17integral_constantIbLb0EESW_EEDaSR_SS_EUlSR_E_NS1_11comp_targetILNS1_3genE8ELNS1_11target_archE1030ELNS1_3gpuE2ELNS1_3repE0EEENS1_30default_config_static_selectorELNS0_4arch9wavefront6targetE1EEEvT1_,comdat
	.protected	_ZN7rocprim17ROCPRIM_400000_NS6detail17trampoline_kernelINS0_14default_configENS1_20scan_config_selectorIfEEZZNS1_9scan_implILNS1_25lookback_scan_determinismE0ELb1ELb1ES3_N6thrust23THRUST_200600_302600_NS6detail15normal_iteratorINS9_10device_ptrIjEEEENSB_INSC_IiEEEEfNS9_4plusIvEEfEEDaPvRmT3_T4_T5_mT6_P12ihipStream_tbENKUlT_T0_E_clISt17integral_constantIbLb0EESW_EEDaSR_SS_EUlSR_E_NS1_11comp_targetILNS1_3genE8ELNS1_11target_archE1030ELNS1_3gpuE2ELNS1_3repE0EEENS1_30default_config_static_selectorELNS0_4arch9wavefront6targetE1EEEvT1_ ; -- Begin function _ZN7rocprim17ROCPRIM_400000_NS6detail17trampoline_kernelINS0_14default_configENS1_20scan_config_selectorIfEEZZNS1_9scan_implILNS1_25lookback_scan_determinismE0ELb1ELb1ES3_N6thrust23THRUST_200600_302600_NS6detail15normal_iteratorINS9_10device_ptrIjEEEENSB_INSC_IiEEEEfNS9_4plusIvEEfEEDaPvRmT3_T4_T5_mT6_P12ihipStream_tbENKUlT_T0_E_clISt17integral_constantIbLb0EESW_EEDaSR_SS_EUlSR_E_NS1_11comp_targetILNS1_3genE8ELNS1_11target_archE1030ELNS1_3gpuE2ELNS1_3repE0EEENS1_30default_config_static_selectorELNS0_4arch9wavefront6targetE1EEEvT1_
	.globl	_ZN7rocprim17ROCPRIM_400000_NS6detail17trampoline_kernelINS0_14default_configENS1_20scan_config_selectorIfEEZZNS1_9scan_implILNS1_25lookback_scan_determinismE0ELb1ELb1ES3_N6thrust23THRUST_200600_302600_NS6detail15normal_iteratorINS9_10device_ptrIjEEEENSB_INSC_IiEEEEfNS9_4plusIvEEfEEDaPvRmT3_T4_T5_mT6_P12ihipStream_tbENKUlT_T0_E_clISt17integral_constantIbLb0EESW_EEDaSR_SS_EUlSR_E_NS1_11comp_targetILNS1_3genE8ELNS1_11target_archE1030ELNS1_3gpuE2ELNS1_3repE0EEENS1_30default_config_static_selectorELNS0_4arch9wavefront6targetE1EEEvT1_
	.p2align	8
	.type	_ZN7rocprim17ROCPRIM_400000_NS6detail17trampoline_kernelINS0_14default_configENS1_20scan_config_selectorIfEEZZNS1_9scan_implILNS1_25lookback_scan_determinismE0ELb1ELb1ES3_N6thrust23THRUST_200600_302600_NS6detail15normal_iteratorINS9_10device_ptrIjEEEENSB_INSC_IiEEEEfNS9_4plusIvEEfEEDaPvRmT3_T4_T5_mT6_P12ihipStream_tbENKUlT_T0_E_clISt17integral_constantIbLb0EESW_EEDaSR_SS_EUlSR_E_NS1_11comp_targetILNS1_3genE8ELNS1_11target_archE1030ELNS1_3gpuE2ELNS1_3repE0EEENS1_30default_config_static_selectorELNS0_4arch9wavefront6targetE1EEEvT1_,@function
_ZN7rocprim17ROCPRIM_400000_NS6detail17trampoline_kernelINS0_14default_configENS1_20scan_config_selectorIfEEZZNS1_9scan_implILNS1_25lookback_scan_determinismE0ELb1ELb1ES3_N6thrust23THRUST_200600_302600_NS6detail15normal_iteratorINS9_10device_ptrIjEEEENSB_INSC_IiEEEEfNS9_4plusIvEEfEEDaPvRmT3_T4_T5_mT6_P12ihipStream_tbENKUlT_T0_E_clISt17integral_constantIbLb0EESW_EEDaSR_SS_EUlSR_E_NS1_11comp_targetILNS1_3genE8ELNS1_11target_archE1030ELNS1_3gpuE2ELNS1_3repE0EEENS1_30default_config_static_selectorELNS0_4arch9wavefront6targetE1EEEvT1_: ; @_ZN7rocprim17ROCPRIM_400000_NS6detail17trampoline_kernelINS0_14default_configENS1_20scan_config_selectorIfEEZZNS1_9scan_implILNS1_25lookback_scan_determinismE0ELb1ELb1ES3_N6thrust23THRUST_200600_302600_NS6detail15normal_iteratorINS9_10device_ptrIjEEEENSB_INSC_IiEEEEfNS9_4plusIvEEfEEDaPvRmT3_T4_T5_mT6_P12ihipStream_tbENKUlT_T0_E_clISt17integral_constantIbLb0EESW_EEDaSR_SS_EUlSR_E_NS1_11comp_targetILNS1_3genE8ELNS1_11target_archE1030ELNS1_3gpuE2ELNS1_3repE0EEENS1_30default_config_static_selectorELNS0_4arch9wavefront6targetE1EEEvT1_
; %bb.0:
	.section	.rodata,"a",@progbits
	.p2align	6, 0x0
	.amdhsa_kernel _ZN7rocprim17ROCPRIM_400000_NS6detail17trampoline_kernelINS0_14default_configENS1_20scan_config_selectorIfEEZZNS1_9scan_implILNS1_25lookback_scan_determinismE0ELb1ELb1ES3_N6thrust23THRUST_200600_302600_NS6detail15normal_iteratorINS9_10device_ptrIjEEEENSB_INSC_IiEEEEfNS9_4plusIvEEfEEDaPvRmT3_T4_T5_mT6_P12ihipStream_tbENKUlT_T0_E_clISt17integral_constantIbLb0EESW_EEDaSR_SS_EUlSR_E_NS1_11comp_targetILNS1_3genE8ELNS1_11target_archE1030ELNS1_3gpuE2ELNS1_3repE0EEENS1_30default_config_static_selectorELNS0_4arch9wavefront6targetE1EEEvT1_
		.amdhsa_group_segment_fixed_size 0
		.amdhsa_private_segment_fixed_size 0
		.amdhsa_kernarg_size 96
		.amdhsa_user_sgpr_count 6
		.amdhsa_user_sgpr_private_segment_buffer 1
		.amdhsa_user_sgpr_dispatch_ptr 0
		.amdhsa_user_sgpr_queue_ptr 0
		.amdhsa_user_sgpr_kernarg_segment_ptr 1
		.amdhsa_user_sgpr_dispatch_id 0
		.amdhsa_user_sgpr_flat_scratch_init 0
		.amdhsa_user_sgpr_kernarg_preload_length 0
		.amdhsa_user_sgpr_kernarg_preload_offset 0
		.amdhsa_user_sgpr_private_segment_size 0
		.amdhsa_uses_dynamic_stack 0
		.amdhsa_system_sgpr_private_segment_wavefront_offset 0
		.amdhsa_system_sgpr_workgroup_id_x 1
		.amdhsa_system_sgpr_workgroup_id_y 0
		.amdhsa_system_sgpr_workgroup_id_z 0
		.amdhsa_system_sgpr_workgroup_info 0
		.amdhsa_system_vgpr_workitem_id 0
		.amdhsa_next_free_vgpr 1
		.amdhsa_next_free_sgpr 0
		.amdhsa_accum_offset 4
		.amdhsa_reserve_vcc 0
		.amdhsa_reserve_flat_scratch 0
		.amdhsa_float_round_mode_32 0
		.amdhsa_float_round_mode_16_64 0
		.amdhsa_float_denorm_mode_32 3
		.amdhsa_float_denorm_mode_16_64 3
		.amdhsa_dx10_clamp 1
		.amdhsa_ieee_mode 1
		.amdhsa_fp16_overflow 0
		.amdhsa_tg_split 0
		.amdhsa_exception_fp_ieee_invalid_op 0
		.amdhsa_exception_fp_denorm_src 0
		.amdhsa_exception_fp_ieee_div_zero 0
		.amdhsa_exception_fp_ieee_overflow 0
		.amdhsa_exception_fp_ieee_underflow 0
		.amdhsa_exception_fp_ieee_inexact 0
		.amdhsa_exception_int_div_zero 0
	.end_amdhsa_kernel
	.section	.text._ZN7rocprim17ROCPRIM_400000_NS6detail17trampoline_kernelINS0_14default_configENS1_20scan_config_selectorIfEEZZNS1_9scan_implILNS1_25lookback_scan_determinismE0ELb1ELb1ES3_N6thrust23THRUST_200600_302600_NS6detail15normal_iteratorINS9_10device_ptrIjEEEENSB_INSC_IiEEEEfNS9_4plusIvEEfEEDaPvRmT3_T4_T5_mT6_P12ihipStream_tbENKUlT_T0_E_clISt17integral_constantIbLb0EESW_EEDaSR_SS_EUlSR_E_NS1_11comp_targetILNS1_3genE8ELNS1_11target_archE1030ELNS1_3gpuE2ELNS1_3repE0EEENS1_30default_config_static_selectorELNS0_4arch9wavefront6targetE1EEEvT1_,"axG",@progbits,_ZN7rocprim17ROCPRIM_400000_NS6detail17trampoline_kernelINS0_14default_configENS1_20scan_config_selectorIfEEZZNS1_9scan_implILNS1_25lookback_scan_determinismE0ELb1ELb1ES3_N6thrust23THRUST_200600_302600_NS6detail15normal_iteratorINS9_10device_ptrIjEEEENSB_INSC_IiEEEEfNS9_4plusIvEEfEEDaPvRmT3_T4_T5_mT6_P12ihipStream_tbENKUlT_T0_E_clISt17integral_constantIbLb0EESW_EEDaSR_SS_EUlSR_E_NS1_11comp_targetILNS1_3genE8ELNS1_11target_archE1030ELNS1_3gpuE2ELNS1_3repE0EEENS1_30default_config_static_selectorELNS0_4arch9wavefront6targetE1EEEvT1_,comdat
.Lfunc_end6312:
	.size	_ZN7rocprim17ROCPRIM_400000_NS6detail17trampoline_kernelINS0_14default_configENS1_20scan_config_selectorIfEEZZNS1_9scan_implILNS1_25lookback_scan_determinismE0ELb1ELb1ES3_N6thrust23THRUST_200600_302600_NS6detail15normal_iteratorINS9_10device_ptrIjEEEENSB_INSC_IiEEEEfNS9_4plusIvEEfEEDaPvRmT3_T4_T5_mT6_P12ihipStream_tbENKUlT_T0_E_clISt17integral_constantIbLb0EESW_EEDaSR_SS_EUlSR_E_NS1_11comp_targetILNS1_3genE8ELNS1_11target_archE1030ELNS1_3gpuE2ELNS1_3repE0EEENS1_30default_config_static_selectorELNS0_4arch9wavefront6targetE1EEEvT1_, .Lfunc_end6312-_ZN7rocprim17ROCPRIM_400000_NS6detail17trampoline_kernelINS0_14default_configENS1_20scan_config_selectorIfEEZZNS1_9scan_implILNS1_25lookback_scan_determinismE0ELb1ELb1ES3_N6thrust23THRUST_200600_302600_NS6detail15normal_iteratorINS9_10device_ptrIjEEEENSB_INSC_IiEEEEfNS9_4plusIvEEfEEDaPvRmT3_T4_T5_mT6_P12ihipStream_tbENKUlT_T0_E_clISt17integral_constantIbLb0EESW_EEDaSR_SS_EUlSR_E_NS1_11comp_targetILNS1_3genE8ELNS1_11target_archE1030ELNS1_3gpuE2ELNS1_3repE0EEENS1_30default_config_static_selectorELNS0_4arch9wavefront6targetE1EEEvT1_
                                        ; -- End function
	.section	.AMDGPU.csdata,"",@progbits
; Kernel info:
; codeLenInByte = 0
; NumSgprs: 4
; NumVgprs: 0
; NumAgprs: 0
; TotalNumVgprs: 0
; ScratchSize: 0
; MemoryBound: 0
; FloatMode: 240
; IeeeMode: 1
; LDSByteSize: 0 bytes/workgroup (compile time only)
; SGPRBlocks: 0
; VGPRBlocks: 0
; NumSGPRsForWavesPerEU: 4
; NumVGPRsForWavesPerEU: 1
; AccumOffset: 4
; Occupancy: 8
; WaveLimiterHint : 0
; COMPUTE_PGM_RSRC2:SCRATCH_EN: 0
; COMPUTE_PGM_RSRC2:USER_SGPR: 6
; COMPUTE_PGM_RSRC2:TRAP_HANDLER: 0
; COMPUTE_PGM_RSRC2:TGID_X_EN: 1
; COMPUTE_PGM_RSRC2:TGID_Y_EN: 0
; COMPUTE_PGM_RSRC2:TGID_Z_EN: 0
; COMPUTE_PGM_RSRC2:TIDIG_COMP_CNT: 0
; COMPUTE_PGM_RSRC3_GFX90A:ACCUM_OFFSET: 0
; COMPUTE_PGM_RSRC3_GFX90A:TG_SPLIT: 0
	.section	.text._ZN7rocprim17ROCPRIM_400000_NS6detail17trampoline_kernelINS0_14default_configENS1_20scan_config_selectorIfEEZZNS1_9scan_implILNS1_25lookback_scan_determinismE0ELb1ELb1ES3_N6thrust23THRUST_200600_302600_NS6detail15normal_iteratorINS9_10device_ptrIjEEEENSB_INSC_IiEEEEfNS9_4plusIvEEfEEDaPvRmT3_T4_T5_mT6_P12ihipStream_tbENKUlT_T0_E_clISt17integral_constantIbLb0EESW_EEDaSR_SS_EUlSR_E0_NS1_11comp_targetILNS1_3genE0ELNS1_11target_archE4294967295ELNS1_3gpuE0ELNS1_3repE0EEENS1_30default_config_static_selectorELNS0_4arch9wavefront6targetE1EEEvT1_,"axG",@progbits,_ZN7rocprim17ROCPRIM_400000_NS6detail17trampoline_kernelINS0_14default_configENS1_20scan_config_selectorIfEEZZNS1_9scan_implILNS1_25lookback_scan_determinismE0ELb1ELb1ES3_N6thrust23THRUST_200600_302600_NS6detail15normal_iteratorINS9_10device_ptrIjEEEENSB_INSC_IiEEEEfNS9_4plusIvEEfEEDaPvRmT3_T4_T5_mT6_P12ihipStream_tbENKUlT_T0_E_clISt17integral_constantIbLb0EESW_EEDaSR_SS_EUlSR_E0_NS1_11comp_targetILNS1_3genE0ELNS1_11target_archE4294967295ELNS1_3gpuE0ELNS1_3repE0EEENS1_30default_config_static_selectorELNS0_4arch9wavefront6targetE1EEEvT1_,comdat
	.protected	_ZN7rocprim17ROCPRIM_400000_NS6detail17trampoline_kernelINS0_14default_configENS1_20scan_config_selectorIfEEZZNS1_9scan_implILNS1_25lookback_scan_determinismE0ELb1ELb1ES3_N6thrust23THRUST_200600_302600_NS6detail15normal_iteratorINS9_10device_ptrIjEEEENSB_INSC_IiEEEEfNS9_4plusIvEEfEEDaPvRmT3_T4_T5_mT6_P12ihipStream_tbENKUlT_T0_E_clISt17integral_constantIbLb0EESW_EEDaSR_SS_EUlSR_E0_NS1_11comp_targetILNS1_3genE0ELNS1_11target_archE4294967295ELNS1_3gpuE0ELNS1_3repE0EEENS1_30default_config_static_selectorELNS0_4arch9wavefront6targetE1EEEvT1_ ; -- Begin function _ZN7rocprim17ROCPRIM_400000_NS6detail17trampoline_kernelINS0_14default_configENS1_20scan_config_selectorIfEEZZNS1_9scan_implILNS1_25lookback_scan_determinismE0ELb1ELb1ES3_N6thrust23THRUST_200600_302600_NS6detail15normal_iteratorINS9_10device_ptrIjEEEENSB_INSC_IiEEEEfNS9_4plusIvEEfEEDaPvRmT3_T4_T5_mT6_P12ihipStream_tbENKUlT_T0_E_clISt17integral_constantIbLb0EESW_EEDaSR_SS_EUlSR_E0_NS1_11comp_targetILNS1_3genE0ELNS1_11target_archE4294967295ELNS1_3gpuE0ELNS1_3repE0EEENS1_30default_config_static_selectorELNS0_4arch9wavefront6targetE1EEEvT1_
	.globl	_ZN7rocprim17ROCPRIM_400000_NS6detail17trampoline_kernelINS0_14default_configENS1_20scan_config_selectorIfEEZZNS1_9scan_implILNS1_25lookback_scan_determinismE0ELb1ELb1ES3_N6thrust23THRUST_200600_302600_NS6detail15normal_iteratorINS9_10device_ptrIjEEEENSB_INSC_IiEEEEfNS9_4plusIvEEfEEDaPvRmT3_T4_T5_mT6_P12ihipStream_tbENKUlT_T0_E_clISt17integral_constantIbLb0EESW_EEDaSR_SS_EUlSR_E0_NS1_11comp_targetILNS1_3genE0ELNS1_11target_archE4294967295ELNS1_3gpuE0ELNS1_3repE0EEENS1_30default_config_static_selectorELNS0_4arch9wavefront6targetE1EEEvT1_
	.p2align	8
	.type	_ZN7rocprim17ROCPRIM_400000_NS6detail17trampoline_kernelINS0_14default_configENS1_20scan_config_selectorIfEEZZNS1_9scan_implILNS1_25lookback_scan_determinismE0ELb1ELb1ES3_N6thrust23THRUST_200600_302600_NS6detail15normal_iteratorINS9_10device_ptrIjEEEENSB_INSC_IiEEEEfNS9_4plusIvEEfEEDaPvRmT3_T4_T5_mT6_P12ihipStream_tbENKUlT_T0_E_clISt17integral_constantIbLb0EESW_EEDaSR_SS_EUlSR_E0_NS1_11comp_targetILNS1_3genE0ELNS1_11target_archE4294967295ELNS1_3gpuE0ELNS1_3repE0EEENS1_30default_config_static_selectorELNS0_4arch9wavefront6targetE1EEEvT1_,@function
_ZN7rocprim17ROCPRIM_400000_NS6detail17trampoline_kernelINS0_14default_configENS1_20scan_config_selectorIfEEZZNS1_9scan_implILNS1_25lookback_scan_determinismE0ELb1ELb1ES3_N6thrust23THRUST_200600_302600_NS6detail15normal_iteratorINS9_10device_ptrIjEEEENSB_INSC_IiEEEEfNS9_4plusIvEEfEEDaPvRmT3_T4_T5_mT6_P12ihipStream_tbENKUlT_T0_E_clISt17integral_constantIbLb0EESW_EEDaSR_SS_EUlSR_E0_NS1_11comp_targetILNS1_3genE0ELNS1_11target_archE4294967295ELNS1_3gpuE0ELNS1_3repE0EEENS1_30default_config_static_selectorELNS0_4arch9wavefront6targetE1EEEvT1_: ; @_ZN7rocprim17ROCPRIM_400000_NS6detail17trampoline_kernelINS0_14default_configENS1_20scan_config_selectorIfEEZZNS1_9scan_implILNS1_25lookback_scan_determinismE0ELb1ELb1ES3_N6thrust23THRUST_200600_302600_NS6detail15normal_iteratorINS9_10device_ptrIjEEEENSB_INSC_IiEEEEfNS9_4plusIvEEfEEDaPvRmT3_T4_T5_mT6_P12ihipStream_tbENKUlT_T0_E_clISt17integral_constantIbLb0EESW_EEDaSR_SS_EUlSR_E0_NS1_11comp_targetILNS1_3genE0ELNS1_11target_archE4294967295ELNS1_3gpuE0ELNS1_3repE0EEENS1_30default_config_static_selectorELNS0_4arch9wavefront6targetE1EEEvT1_
; %bb.0:
	.section	.rodata,"a",@progbits
	.p2align	6, 0x0
	.amdhsa_kernel _ZN7rocprim17ROCPRIM_400000_NS6detail17trampoline_kernelINS0_14default_configENS1_20scan_config_selectorIfEEZZNS1_9scan_implILNS1_25lookback_scan_determinismE0ELb1ELb1ES3_N6thrust23THRUST_200600_302600_NS6detail15normal_iteratorINS9_10device_ptrIjEEEENSB_INSC_IiEEEEfNS9_4plusIvEEfEEDaPvRmT3_T4_T5_mT6_P12ihipStream_tbENKUlT_T0_E_clISt17integral_constantIbLb0EESW_EEDaSR_SS_EUlSR_E0_NS1_11comp_targetILNS1_3genE0ELNS1_11target_archE4294967295ELNS1_3gpuE0ELNS1_3repE0EEENS1_30default_config_static_selectorELNS0_4arch9wavefront6targetE1EEEvT1_
		.amdhsa_group_segment_fixed_size 0
		.amdhsa_private_segment_fixed_size 0
		.amdhsa_kernarg_size 32
		.amdhsa_user_sgpr_count 6
		.amdhsa_user_sgpr_private_segment_buffer 1
		.amdhsa_user_sgpr_dispatch_ptr 0
		.amdhsa_user_sgpr_queue_ptr 0
		.amdhsa_user_sgpr_kernarg_segment_ptr 1
		.amdhsa_user_sgpr_dispatch_id 0
		.amdhsa_user_sgpr_flat_scratch_init 0
		.amdhsa_user_sgpr_kernarg_preload_length 0
		.amdhsa_user_sgpr_kernarg_preload_offset 0
		.amdhsa_user_sgpr_private_segment_size 0
		.amdhsa_uses_dynamic_stack 0
		.amdhsa_system_sgpr_private_segment_wavefront_offset 0
		.amdhsa_system_sgpr_workgroup_id_x 1
		.amdhsa_system_sgpr_workgroup_id_y 0
		.amdhsa_system_sgpr_workgroup_id_z 0
		.amdhsa_system_sgpr_workgroup_info 0
		.amdhsa_system_vgpr_workitem_id 0
		.amdhsa_next_free_vgpr 1
		.amdhsa_next_free_sgpr 0
		.amdhsa_accum_offset 4
		.amdhsa_reserve_vcc 0
		.amdhsa_reserve_flat_scratch 0
		.amdhsa_float_round_mode_32 0
		.amdhsa_float_round_mode_16_64 0
		.amdhsa_float_denorm_mode_32 3
		.amdhsa_float_denorm_mode_16_64 3
		.amdhsa_dx10_clamp 1
		.amdhsa_ieee_mode 1
		.amdhsa_fp16_overflow 0
		.amdhsa_tg_split 0
		.amdhsa_exception_fp_ieee_invalid_op 0
		.amdhsa_exception_fp_denorm_src 0
		.amdhsa_exception_fp_ieee_div_zero 0
		.amdhsa_exception_fp_ieee_overflow 0
		.amdhsa_exception_fp_ieee_underflow 0
		.amdhsa_exception_fp_ieee_inexact 0
		.amdhsa_exception_int_div_zero 0
	.end_amdhsa_kernel
	.section	.text._ZN7rocprim17ROCPRIM_400000_NS6detail17trampoline_kernelINS0_14default_configENS1_20scan_config_selectorIfEEZZNS1_9scan_implILNS1_25lookback_scan_determinismE0ELb1ELb1ES3_N6thrust23THRUST_200600_302600_NS6detail15normal_iteratorINS9_10device_ptrIjEEEENSB_INSC_IiEEEEfNS9_4plusIvEEfEEDaPvRmT3_T4_T5_mT6_P12ihipStream_tbENKUlT_T0_E_clISt17integral_constantIbLb0EESW_EEDaSR_SS_EUlSR_E0_NS1_11comp_targetILNS1_3genE0ELNS1_11target_archE4294967295ELNS1_3gpuE0ELNS1_3repE0EEENS1_30default_config_static_selectorELNS0_4arch9wavefront6targetE1EEEvT1_,"axG",@progbits,_ZN7rocprim17ROCPRIM_400000_NS6detail17trampoline_kernelINS0_14default_configENS1_20scan_config_selectorIfEEZZNS1_9scan_implILNS1_25lookback_scan_determinismE0ELb1ELb1ES3_N6thrust23THRUST_200600_302600_NS6detail15normal_iteratorINS9_10device_ptrIjEEEENSB_INSC_IiEEEEfNS9_4plusIvEEfEEDaPvRmT3_T4_T5_mT6_P12ihipStream_tbENKUlT_T0_E_clISt17integral_constantIbLb0EESW_EEDaSR_SS_EUlSR_E0_NS1_11comp_targetILNS1_3genE0ELNS1_11target_archE4294967295ELNS1_3gpuE0ELNS1_3repE0EEENS1_30default_config_static_selectorELNS0_4arch9wavefront6targetE1EEEvT1_,comdat
.Lfunc_end6313:
	.size	_ZN7rocprim17ROCPRIM_400000_NS6detail17trampoline_kernelINS0_14default_configENS1_20scan_config_selectorIfEEZZNS1_9scan_implILNS1_25lookback_scan_determinismE0ELb1ELb1ES3_N6thrust23THRUST_200600_302600_NS6detail15normal_iteratorINS9_10device_ptrIjEEEENSB_INSC_IiEEEEfNS9_4plusIvEEfEEDaPvRmT3_T4_T5_mT6_P12ihipStream_tbENKUlT_T0_E_clISt17integral_constantIbLb0EESW_EEDaSR_SS_EUlSR_E0_NS1_11comp_targetILNS1_3genE0ELNS1_11target_archE4294967295ELNS1_3gpuE0ELNS1_3repE0EEENS1_30default_config_static_selectorELNS0_4arch9wavefront6targetE1EEEvT1_, .Lfunc_end6313-_ZN7rocprim17ROCPRIM_400000_NS6detail17trampoline_kernelINS0_14default_configENS1_20scan_config_selectorIfEEZZNS1_9scan_implILNS1_25lookback_scan_determinismE0ELb1ELb1ES3_N6thrust23THRUST_200600_302600_NS6detail15normal_iteratorINS9_10device_ptrIjEEEENSB_INSC_IiEEEEfNS9_4plusIvEEfEEDaPvRmT3_T4_T5_mT6_P12ihipStream_tbENKUlT_T0_E_clISt17integral_constantIbLb0EESW_EEDaSR_SS_EUlSR_E0_NS1_11comp_targetILNS1_3genE0ELNS1_11target_archE4294967295ELNS1_3gpuE0ELNS1_3repE0EEENS1_30default_config_static_selectorELNS0_4arch9wavefront6targetE1EEEvT1_
                                        ; -- End function
	.section	.AMDGPU.csdata,"",@progbits
; Kernel info:
; codeLenInByte = 0
; NumSgprs: 4
; NumVgprs: 0
; NumAgprs: 0
; TotalNumVgprs: 0
; ScratchSize: 0
; MemoryBound: 0
; FloatMode: 240
; IeeeMode: 1
; LDSByteSize: 0 bytes/workgroup (compile time only)
; SGPRBlocks: 0
; VGPRBlocks: 0
; NumSGPRsForWavesPerEU: 4
; NumVGPRsForWavesPerEU: 1
; AccumOffset: 4
; Occupancy: 8
; WaveLimiterHint : 0
; COMPUTE_PGM_RSRC2:SCRATCH_EN: 0
; COMPUTE_PGM_RSRC2:USER_SGPR: 6
; COMPUTE_PGM_RSRC2:TRAP_HANDLER: 0
; COMPUTE_PGM_RSRC2:TGID_X_EN: 1
; COMPUTE_PGM_RSRC2:TGID_Y_EN: 0
; COMPUTE_PGM_RSRC2:TGID_Z_EN: 0
; COMPUTE_PGM_RSRC2:TIDIG_COMP_CNT: 0
; COMPUTE_PGM_RSRC3_GFX90A:ACCUM_OFFSET: 0
; COMPUTE_PGM_RSRC3_GFX90A:TG_SPLIT: 0
	.section	.text._ZN7rocprim17ROCPRIM_400000_NS6detail17trampoline_kernelINS0_14default_configENS1_20scan_config_selectorIfEEZZNS1_9scan_implILNS1_25lookback_scan_determinismE0ELb1ELb1ES3_N6thrust23THRUST_200600_302600_NS6detail15normal_iteratorINS9_10device_ptrIjEEEENSB_INSC_IiEEEEfNS9_4plusIvEEfEEDaPvRmT3_T4_T5_mT6_P12ihipStream_tbENKUlT_T0_E_clISt17integral_constantIbLb0EESW_EEDaSR_SS_EUlSR_E0_NS1_11comp_targetILNS1_3genE5ELNS1_11target_archE942ELNS1_3gpuE9ELNS1_3repE0EEENS1_30default_config_static_selectorELNS0_4arch9wavefront6targetE1EEEvT1_,"axG",@progbits,_ZN7rocprim17ROCPRIM_400000_NS6detail17trampoline_kernelINS0_14default_configENS1_20scan_config_selectorIfEEZZNS1_9scan_implILNS1_25lookback_scan_determinismE0ELb1ELb1ES3_N6thrust23THRUST_200600_302600_NS6detail15normal_iteratorINS9_10device_ptrIjEEEENSB_INSC_IiEEEEfNS9_4plusIvEEfEEDaPvRmT3_T4_T5_mT6_P12ihipStream_tbENKUlT_T0_E_clISt17integral_constantIbLb0EESW_EEDaSR_SS_EUlSR_E0_NS1_11comp_targetILNS1_3genE5ELNS1_11target_archE942ELNS1_3gpuE9ELNS1_3repE0EEENS1_30default_config_static_selectorELNS0_4arch9wavefront6targetE1EEEvT1_,comdat
	.protected	_ZN7rocprim17ROCPRIM_400000_NS6detail17trampoline_kernelINS0_14default_configENS1_20scan_config_selectorIfEEZZNS1_9scan_implILNS1_25lookback_scan_determinismE0ELb1ELb1ES3_N6thrust23THRUST_200600_302600_NS6detail15normal_iteratorINS9_10device_ptrIjEEEENSB_INSC_IiEEEEfNS9_4plusIvEEfEEDaPvRmT3_T4_T5_mT6_P12ihipStream_tbENKUlT_T0_E_clISt17integral_constantIbLb0EESW_EEDaSR_SS_EUlSR_E0_NS1_11comp_targetILNS1_3genE5ELNS1_11target_archE942ELNS1_3gpuE9ELNS1_3repE0EEENS1_30default_config_static_selectorELNS0_4arch9wavefront6targetE1EEEvT1_ ; -- Begin function _ZN7rocprim17ROCPRIM_400000_NS6detail17trampoline_kernelINS0_14default_configENS1_20scan_config_selectorIfEEZZNS1_9scan_implILNS1_25lookback_scan_determinismE0ELb1ELb1ES3_N6thrust23THRUST_200600_302600_NS6detail15normal_iteratorINS9_10device_ptrIjEEEENSB_INSC_IiEEEEfNS9_4plusIvEEfEEDaPvRmT3_T4_T5_mT6_P12ihipStream_tbENKUlT_T0_E_clISt17integral_constantIbLb0EESW_EEDaSR_SS_EUlSR_E0_NS1_11comp_targetILNS1_3genE5ELNS1_11target_archE942ELNS1_3gpuE9ELNS1_3repE0EEENS1_30default_config_static_selectorELNS0_4arch9wavefront6targetE1EEEvT1_
	.globl	_ZN7rocprim17ROCPRIM_400000_NS6detail17trampoline_kernelINS0_14default_configENS1_20scan_config_selectorIfEEZZNS1_9scan_implILNS1_25lookback_scan_determinismE0ELb1ELb1ES3_N6thrust23THRUST_200600_302600_NS6detail15normal_iteratorINS9_10device_ptrIjEEEENSB_INSC_IiEEEEfNS9_4plusIvEEfEEDaPvRmT3_T4_T5_mT6_P12ihipStream_tbENKUlT_T0_E_clISt17integral_constantIbLb0EESW_EEDaSR_SS_EUlSR_E0_NS1_11comp_targetILNS1_3genE5ELNS1_11target_archE942ELNS1_3gpuE9ELNS1_3repE0EEENS1_30default_config_static_selectorELNS0_4arch9wavefront6targetE1EEEvT1_
	.p2align	8
	.type	_ZN7rocprim17ROCPRIM_400000_NS6detail17trampoline_kernelINS0_14default_configENS1_20scan_config_selectorIfEEZZNS1_9scan_implILNS1_25lookback_scan_determinismE0ELb1ELb1ES3_N6thrust23THRUST_200600_302600_NS6detail15normal_iteratorINS9_10device_ptrIjEEEENSB_INSC_IiEEEEfNS9_4plusIvEEfEEDaPvRmT3_T4_T5_mT6_P12ihipStream_tbENKUlT_T0_E_clISt17integral_constantIbLb0EESW_EEDaSR_SS_EUlSR_E0_NS1_11comp_targetILNS1_3genE5ELNS1_11target_archE942ELNS1_3gpuE9ELNS1_3repE0EEENS1_30default_config_static_selectorELNS0_4arch9wavefront6targetE1EEEvT1_,@function
_ZN7rocprim17ROCPRIM_400000_NS6detail17trampoline_kernelINS0_14default_configENS1_20scan_config_selectorIfEEZZNS1_9scan_implILNS1_25lookback_scan_determinismE0ELb1ELb1ES3_N6thrust23THRUST_200600_302600_NS6detail15normal_iteratorINS9_10device_ptrIjEEEENSB_INSC_IiEEEEfNS9_4plusIvEEfEEDaPvRmT3_T4_T5_mT6_P12ihipStream_tbENKUlT_T0_E_clISt17integral_constantIbLb0EESW_EEDaSR_SS_EUlSR_E0_NS1_11comp_targetILNS1_3genE5ELNS1_11target_archE942ELNS1_3gpuE9ELNS1_3repE0EEENS1_30default_config_static_selectorELNS0_4arch9wavefront6targetE1EEEvT1_: ; @_ZN7rocprim17ROCPRIM_400000_NS6detail17trampoline_kernelINS0_14default_configENS1_20scan_config_selectorIfEEZZNS1_9scan_implILNS1_25lookback_scan_determinismE0ELb1ELb1ES3_N6thrust23THRUST_200600_302600_NS6detail15normal_iteratorINS9_10device_ptrIjEEEENSB_INSC_IiEEEEfNS9_4plusIvEEfEEDaPvRmT3_T4_T5_mT6_P12ihipStream_tbENKUlT_T0_E_clISt17integral_constantIbLb0EESW_EEDaSR_SS_EUlSR_E0_NS1_11comp_targetILNS1_3genE5ELNS1_11target_archE942ELNS1_3gpuE9ELNS1_3repE0EEENS1_30default_config_static_selectorELNS0_4arch9wavefront6targetE1EEEvT1_
; %bb.0:
	.section	.rodata,"a",@progbits
	.p2align	6, 0x0
	.amdhsa_kernel _ZN7rocprim17ROCPRIM_400000_NS6detail17trampoline_kernelINS0_14default_configENS1_20scan_config_selectorIfEEZZNS1_9scan_implILNS1_25lookback_scan_determinismE0ELb1ELb1ES3_N6thrust23THRUST_200600_302600_NS6detail15normal_iteratorINS9_10device_ptrIjEEEENSB_INSC_IiEEEEfNS9_4plusIvEEfEEDaPvRmT3_T4_T5_mT6_P12ihipStream_tbENKUlT_T0_E_clISt17integral_constantIbLb0EESW_EEDaSR_SS_EUlSR_E0_NS1_11comp_targetILNS1_3genE5ELNS1_11target_archE942ELNS1_3gpuE9ELNS1_3repE0EEENS1_30default_config_static_selectorELNS0_4arch9wavefront6targetE1EEEvT1_
		.amdhsa_group_segment_fixed_size 0
		.amdhsa_private_segment_fixed_size 0
		.amdhsa_kernarg_size 32
		.amdhsa_user_sgpr_count 6
		.amdhsa_user_sgpr_private_segment_buffer 1
		.amdhsa_user_sgpr_dispatch_ptr 0
		.amdhsa_user_sgpr_queue_ptr 0
		.amdhsa_user_sgpr_kernarg_segment_ptr 1
		.amdhsa_user_sgpr_dispatch_id 0
		.amdhsa_user_sgpr_flat_scratch_init 0
		.amdhsa_user_sgpr_kernarg_preload_length 0
		.amdhsa_user_sgpr_kernarg_preload_offset 0
		.amdhsa_user_sgpr_private_segment_size 0
		.amdhsa_uses_dynamic_stack 0
		.amdhsa_system_sgpr_private_segment_wavefront_offset 0
		.amdhsa_system_sgpr_workgroup_id_x 1
		.amdhsa_system_sgpr_workgroup_id_y 0
		.amdhsa_system_sgpr_workgroup_id_z 0
		.amdhsa_system_sgpr_workgroup_info 0
		.amdhsa_system_vgpr_workitem_id 0
		.amdhsa_next_free_vgpr 1
		.amdhsa_next_free_sgpr 0
		.amdhsa_accum_offset 4
		.amdhsa_reserve_vcc 0
		.amdhsa_reserve_flat_scratch 0
		.amdhsa_float_round_mode_32 0
		.amdhsa_float_round_mode_16_64 0
		.amdhsa_float_denorm_mode_32 3
		.amdhsa_float_denorm_mode_16_64 3
		.amdhsa_dx10_clamp 1
		.amdhsa_ieee_mode 1
		.amdhsa_fp16_overflow 0
		.amdhsa_tg_split 0
		.amdhsa_exception_fp_ieee_invalid_op 0
		.amdhsa_exception_fp_denorm_src 0
		.amdhsa_exception_fp_ieee_div_zero 0
		.amdhsa_exception_fp_ieee_overflow 0
		.amdhsa_exception_fp_ieee_underflow 0
		.amdhsa_exception_fp_ieee_inexact 0
		.amdhsa_exception_int_div_zero 0
	.end_amdhsa_kernel
	.section	.text._ZN7rocprim17ROCPRIM_400000_NS6detail17trampoline_kernelINS0_14default_configENS1_20scan_config_selectorIfEEZZNS1_9scan_implILNS1_25lookback_scan_determinismE0ELb1ELb1ES3_N6thrust23THRUST_200600_302600_NS6detail15normal_iteratorINS9_10device_ptrIjEEEENSB_INSC_IiEEEEfNS9_4plusIvEEfEEDaPvRmT3_T4_T5_mT6_P12ihipStream_tbENKUlT_T0_E_clISt17integral_constantIbLb0EESW_EEDaSR_SS_EUlSR_E0_NS1_11comp_targetILNS1_3genE5ELNS1_11target_archE942ELNS1_3gpuE9ELNS1_3repE0EEENS1_30default_config_static_selectorELNS0_4arch9wavefront6targetE1EEEvT1_,"axG",@progbits,_ZN7rocprim17ROCPRIM_400000_NS6detail17trampoline_kernelINS0_14default_configENS1_20scan_config_selectorIfEEZZNS1_9scan_implILNS1_25lookback_scan_determinismE0ELb1ELb1ES3_N6thrust23THRUST_200600_302600_NS6detail15normal_iteratorINS9_10device_ptrIjEEEENSB_INSC_IiEEEEfNS9_4plusIvEEfEEDaPvRmT3_T4_T5_mT6_P12ihipStream_tbENKUlT_T0_E_clISt17integral_constantIbLb0EESW_EEDaSR_SS_EUlSR_E0_NS1_11comp_targetILNS1_3genE5ELNS1_11target_archE942ELNS1_3gpuE9ELNS1_3repE0EEENS1_30default_config_static_selectorELNS0_4arch9wavefront6targetE1EEEvT1_,comdat
.Lfunc_end6314:
	.size	_ZN7rocprim17ROCPRIM_400000_NS6detail17trampoline_kernelINS0_14default_configENS1_20scan_config_selectorIfEEZZNS1_9scan_implILNS1_25lookback_scan_determinismE0ELb1ELb1ES3_N6thrust23THRUST_200600_302600_NS6detail15normal_iteratorINS9_10device_ptrIjEEEENSB_INSC_IiEEEEfNS9_4plusIvEEfEEDaPvRmT3_T4_T5_mT6_P12ihipStream_tbENKUlT_T0_E_clISt17integral_constantIbLb0EESW_EEDaSR_SS_EUlSR_E0_NS1_11comp_targetILNS1_3genE5ELNS1_11target_archE942ELNS1_3gpuE9ELNS1_3repE0EEENS1_30default_config_static_selectorELNS0_4arch9wavefront6targetE1EEEvT1_, .Lfunc_end6314-_ZN7rocprim17ROCPRIM_400000_NS6detail17trampoline_kernelINS0_14default_configENS1_20scan_config_selectorIfEEZZNS1_9scan_implILNS1_25lookback_scan_determinismE0ELb1ELb1ES3_N6thrust23THRUST_200600_302600_NS6detail15normal_iteratorINS9_10device_ptrIjEEEENSB_INSC_IiEEEEfNS9_4plusIvEEfEEDaPvRmT3_T4_T5_mT6_P12ihipStream_tbENKUlT_T0_E_clISt17integral_constantIbLb0EESW_EEDaSR_SS_EUlSR_E0_NS1_11comp_targetILNS1_3genE5ELNS1_11target_archE942ELNS1_3gpuE9ELNS1_3repE0EEENS1_30default_config_static_selectorELNS0_4arch9wavefront6targetE1EEEvT1_
                                        ; -- End function
	.section	.AMDGPU.csdata,"",@progbits
; Kernel info:
; codeLenInByte = 0
; NumSgprs: 4
; NumVgprs: 0
; NumAgprs: 0
; TotalNumVgprs: 0
; ScratchSize: 0
; MemoryBound: 0
; FloatMode: 240
; IeeeMode: 1
; LDSByteSize: 0 bytes/workgroup (compile time only)
; SGPRBlocks: 0
; VGPRBlocks: 0
; NumSGPRsForWavesPerEU: 4
; NumVGPRsForWavesPerEU: 1
; AccumOffset: 4
; Occupancy: 8
; WaveLimiterHint : 0
; COMPUTE_PGM_RSRC2:SCRATCH_EN: 0
; COMPUTE_PGM_RSRC2:USER_SGPR: 6
; COMPUTE_PGM_RSRC2:TRAP_HANDLER: 0
; COMPUTE_PGM_RSRC2:TGID_X_EN: 1
; COMPUTE_PGM_RSRC2:TGID_Y_EN: 0
; COMPUTE_PGM_RSRC2:TGID_Z_EN: 0
; COMPUTE_PGM_RSRC2:TIDIG_COMP_CNT: 0
; COMPUTE_PGM_RSRC3_GFX90A:ACCUM_OFFSET: 0
; COMPUTE_PGM_RSRC3_GFX90A:TG_SPLIT: 0
	.section	.text._ZN7rocprim17ROCPRIM_400000_NS6detail17trampoline_kernelINS0_14default_configENS1_20scan_config_selectorIfEEZZNS1_9scan_implILNS1_25lookback_scan_determinismE0ELb1ELb1ES3_N6thrust23THRUST_200600_302600_NS6detail15normal_iteratorINS9_10device_ptrIjEEEENSB_INSC_IiEEEEfNS9_4plusIvEEfEEDaPvRmT3_T4_T5_mT6_P12ihipStream_tbENKUlT_T0_E_clISt17integral_constantIbLb0EESW_EEDaSR_SS_EUlSR_E0_NS1_11comp_targetILNS1_3genE4ELNS1_11target_archE910ELNS1_3gpuE8ELNS1_3repE0EEENS1_30default_config_static_selectorELNS0_4arch9wavefront6targetE1EEEvT1_,"axG",@progbits,_ZN7rocprim17ROCPRIM_400000_NS6detail17trampoline_kernelINS0_14default_configENS1_20scan_config_selectorIfEEZZNS1_9scan_implILNS1_25lookback_scan_determinismE0ELb1ELb1ES3_N6thrust23THRUST_200600_302600_NS6detail15normal_iteratorINS9_10device_ptrIjEEEENSB_INSC_IiEEEEfNS9_4plusIvEEfEEDaPvRmT3_T4_T5_mT6_P12ihipStream_tbENKUlT_T0_E_clISt17integral_constantIbLb0EESW_EEDaSR_SS_EUlSR_E0_NS1_11comp_targetILNS1_3genE4ELNS1_11target_archE910ELNS1_3gpuE8ELNS1_3repE0EEENS1_30default_config_static_selectorELNS0_4arch9wavefront6targetE1EEEvT1_,comdat
	.protected	_ZN7rocprim17ROCPRIM_400000_NS6detail17trampoline_kernelINS0_14default_configENS1_20scan_config_selectorIfEEZZNS1_9scan_implILNS1_25lookback_scan_determinismE0ELb1ELb1ES3_N6thrust23THRUST_200600_302600_NS6detail15normal_iteratorINS9_10device_ptrIjEEEENSB_INSC_IiEEEEfNS9_4plusIvEEfEEDaPvRmT3_T4_T5_mT6_P12ihipStream_tbENKUlT_T0_E_clISt17integral_constantIbLb0EESW_EEDaSR_SS_EUlSR_E0_NS1_11comp_targetILNS1_3genE4ELNS1_11target_archE910ELNS1_3gpuE8ELNS1_3repE0EEENS1_30default_config_static_selectorELNS0_4arch9wavefront6targetE1EEEvT1_ ; -- Begin function _ZN7rocprim17ROCPRIM_400000_NS6detail17trampoline_kernelINS0_14default_configENS1_20scan_config_selectorIfEEZZNS1_9scan_implILNS1_25lookback_scan_determinismE0ELb1ELb1ES3_N6thrust23THRUST_200600_302600_NS6detail15normal_iteratorINS9_10device_ptrIjEEEENSB_INSC_IiEEEEfNS9_4plusIvEEfEEDaPvRmT3_T4_T5_mT6_P12ihipStream_tbENKUlT_T0_E_clISt17integral_constantIbLb0EESW_EEDaSR_SS_EUlSR_E0_NS1_11comp_targetILNS1_3genE4ELNS1_11target_archE910ELNS1_3gpuE8ELNS1_3repE0EEENS1_30default_config_static_selectorELNS0_4arch9wavefront6targetE1EEEvT1_
	.globl	_ZN7rocprim17ROCPRIM_400000_NS6detail17trampoline_kernelINS0_14default_configENS1_20scan_config_selectorIfEEZZNS1_9scan_implILNS1_25lookback_scan_determinismE0ELb1ELb1ES3_N6thrust23THRUST_200600_302600_NS6detail15normal_iteratorINS9_10device_ptrIjEEEENSB_INSC_IiEEEEfNS9_4plusIvEEfEEDaPvRmT3_T4_T5_mT6_P12ihipStream_tbENKUlT_T0_E_clISt17integral_constantIbLb0EESW_EEDaSR_SS_EUlSR_E0_NS1_11comp_targetILNS1_3genE4ELNS1_11target_archE910ELNS1_3gpuE8ELNS1_3repE0EEENS1_30default_config_static_selectorELNS0_4arch9wavefront6targetE1EEEvT1_
	.p2align	8
	.type	_ZN7rocprim17ROCPRIM_400000_NS6detail17trampoline_kernelINS0_14default_configENS1_20scan_config_selectorIfEEZZNS1_9scan_implILNS1_25lookback_scan_determinismE0ELb1ELb1ES3_N6thrust23THRUST_200600_302600_NS6detail15normal_iteratorINS9_10device_ptrIjEEEENSB_INSC_IiEEEEfNS9_4plusIvEEfEEDaPvRmT3_T4_T5_mT6_P12ihipStream_tbENKUlT_T0_E_clISt17integral_constantIbLb0EESW_EEDaSR_SS_EUlSR_E0_NS1_11comp_targetILNS1_3genE4ELNS1_11target_archE910ELNS1_3gpuE8ELNS1_3repE0EEENS1_30default_config_static_selectorELNS0_4arch9wavefront6targetE1EEEvT1_,@function
_ZN7rocprim17ROCPRIM_400000_NS6detail17trampoline_kernelINS0_14default_configENS1_20scan_config_selectorIfEEZZNS1_9scan_implILNS1_25lookback_scan_determinismE0ELb1ELb1ES3_N6thrust23THRUST_200600_302600_NS6detail15normal_iteratorINS9_10device_ptrIjEEEENSB_INSC_IiEEEEfNS9_4plusIvEEfEEDaPvRmT3_T4_T5_mT6_P12ihipStream_tbENKUlT_T0_E_clISt17integral_constantIbLb0EESW_EEDaSR_SS_EUlSR_E0_NS1_11comp_targetILNS1_3genE4ELNS1_11target_archE910ELNS1_3gpuE8ELNS1_3repE0EEENS1_30default_config_static_selectorELNS0_4arch9wavefront6targetE1EEEvT1_: ; @_ZN7rocprim17ROCPRIM_400000_NS6detail17trampoline_kernelINS0_14default_configENS1_20scan_config_selectorIfEEZZNS1_9scan_implILNS1_25lookback_scan_determinismE0ELb1ELb1ES3_N6thrust23THRUST_200600_302600_NS6detail15normal_iteratorINS9_10device_ptrIjEEEENSB_INSC_IiEEEEfNS9_4plusIvEEfEEDaPvRmT3_T4_T5_mT6_P12ihipStream_tbENKUlT_T0_E_clISt17integral_constantIbLb0EESW_EEDaSR_SS_EUlSR_E0_NS1_11comp_targetILNS1_3genE4ELNS1_11target_archE910ELNS1_3gpuE8ELNS1_3repE0EEENS1_30default_config_static_selectorELNS0_4arch9wavefront6targetE1EEEvT1_
; %bb.0:
	s_load_dwordx4 s[28:31], s[4:5], 0x0
	v_lshlrev_b32_e32 v18, 2, v0
	s_waitcnt lgkmcnt(0)
	s_load_dword s0, s[28:29], 0x0
	v_cmp_gt_u32_e32 vcc, s30, v0
	s_waitcnt lgkmcnt(0)
	v_cvt_f32_u32_e32 v1, s0
	v_mov_b32_e32 v2, v1
	s_and_saveexec_b64 s[0:1], vcc
	s_cbranch_execz .LBB6315_2
; %bb.1:
	global_load_dword v2, v18, s[28:29]
	s_waitcnt vmcnt(0)
	v_cvt_f32_u32_e32 v2, v2
.LBB6315_2:
	s_or_b64 exec, exec, s[0:1]
	v_or_b32_e32 v3, 0x80, v0
	v_cmp_gt_u32_e64 s[0:1], s30, v3
	v_mov_b32_e32 v3, v1
	s_and_saveexec_b64 s[2:3], s[0:1]
	s_cbranch_execz .LBB6315_4
; %bb.3:
	global_load_dword v3, v18, s[28:29] offset:512
	s_waitcnt vmcnt(0)
	v_cvt_f32_u32_e32 v3, v3
.LBB6315_4:
	s_or_b64 exec, exec, s[2:3]
	v_or_b32_e32 v4, 0x100, v0
	v_cmp_gt_u32_e64 s[2:3], s30, v4
	v_mov_b32_e32 v4, v1
	s_and_saveexec_b64 s[6:7], s[2:3]
	s_cbranch_execz .LBB6315_6
; %bb.5:
	global_load_dword v4, v18, s[28:29] offset:1024
	s_waitcnt vmcnt(0)
	v_cvt_f32_u32_e32 v4, v4
.LBB6315_6:
	;; [unrolled: 11-line block ×7, first 2 shown]
	s_or_b64 exec, exec, s[14:15]
	v_or_b32_e32 v11, 0x400, v0
	v_cmp_gt_u32_e64 s[14:15], s30, v11
	v_mov_b32_e32 v10, v1
	s_and_saveexec_b64 s[16:17], s[14:15]
	s_cbranch_execz .LBB6315_18
; %bb.17:
	v_lshlrev_b32_e32 v10, 2, v11
	global_load_dword v10, v10, s[28:29]
	s_waitcnt vmcnt(0)
	v_cvt_f32_u32_e32 v10, v10
.LBB6315_18:
	s_or_b64 exec, exec, s[16:17]
	v_or_b32_e32 v12, 0x480, v0
	v_cmp_gt_u32_e64 s[16:17], s30, v12
	v_mov_b32_e32 v11, v1
	s_and_saveexec_b64 s[18:19], s[16:17]
	s_cbranch_execz .LBB6315_20
; %bb.19:
	v_lshlrev_b32_e32 v11, 2, v12
	global_load_dword v11, v11, s[28:29]
	s_waitcnt vmcnt(0)
	v_cvt_f32_u32_e32 v11, v11
.LBB6315_20:
	s_or_b64 exec, exec, s[18:19]
	v_or_b32_e32 v13, 0x500, v0
	v_cmp_gt_u32_e64 s[18:19], s30, v13
	v_mov_b32_e32 v12, v1
	s_and_saveexec_b64 s[20:21], s[18:19]
	s_cbranch_execz .LBB6315_22
; %bb.21:
	v_lshlrev_b32_e32 v12, 2, v13
	global_load_dword v12, v12, s[28:29]
	s_waitcnt vmcnt(0)
	v_cvt_f32_u32_e32 v12, v12
.LBB6315_22:
	s_or_b64 exec, exec, s[20:21]
	v_or_b32_e32 v14, 0x580, v0
	v_cmp_gt_u32_e64 s[20:21], s30, v14
	v_mov_b32_e32 v13, v1
	s_and_saveexec_b64 s[22:23], s[20:21]
	s_cbranch_execz .LBB6315_24
; %bb.23:
	v_lshlrev_b32_e32 v13, 2, v14
	global_load_dword v13, v13, s[28:29]
	s_waitcnt vmcnt(0)
	v_cvt_f32_u32_e32 v13, v13
.LBB6315_24:
	s_or_b64 exec, exec, s[22:23]
	v_or_b32_e32 v15, 0x600, v0
	v_cmp_gt_u32_e64 s[22:23], s30, v15
	v_mov_b32_e32 v14, v1
	s_and_saveexec_b64 s[24:25], s[22:23]
	s_cbranch_execz .LBB6315_26
; %bb.25:
	v_lshlrev_b32_e32 v14, 2, v15
	global_load_dword v14, v14, s[28:29]
	s_waitcnt vmcnt(0)
	v_cvt_f32_u32_e32 v14, v14
.LBB6315_26:
	s_or_b64 exec, exec, s[24:25]
	s_load_dword s33, s[4:5], 0x10
	v_or_b32_e32 v15, 0x680, v0
	v_cmp_gt_u32_e64 s[24:25], s30, v15
	s_and_saveexec_b64 s[30:31], s[24:25]
	s_cbranch_execz .LBB6315_28
; %bb.27:
	v_lshlrev_b32_e32 v1, 2, v15
	global_load_dword v1, v1, s[28:29]
	s_waitcnt vmcnt(0)
	v_cvt_f32_u32_e32 v1, v1
.LBB6315_28:
	s_or_b64 exec, exec, s[30:31]
	ds_write2st64_b32 v18, v2, v3 offset1:2
	ds_write2st64_b32 v18, v4, v5 offset0:4 offset1:6
	ds_write2st64_b32 v18, v6, v7 offset0:8 offset1:10
	;; [unrolled: 1-line block ×6, first 2 shown]
	v_mad_u32_u24 v1, v0, 52, v18
	s_waitcnt lgkmcnt(0)
	s_barrier
	ds_read2_b64 v[10:13], v1 offset1:1
	ds_read2_b64 v[6:9], v1 offset0:2 offset1:3
	ds_read2_b64 v[2:5], v1 offset0:4 offset1:5
	ds_read_b64 v[14:15], v1 offset:48
	s_load_dwordx2 s[34:35], s[4:5], 0x18
	s_waitcnt lgkmcnt(0)
	v_add_f32_e32 v16, v10, v11
	v_add_f32_e32 v16, v16, v12
	;; [unrolled: 1-line block ×13, first 2 shown]
	v_lshrrev_b32_e32 v16, 3, v0
	v_and_b32_e32 v16, 12, v16
	v_add_u32_e32 v16, v18, v16
	v_cmp_gt_u32_e64 s[4:5], 64, v0
	s_barrier
	ds_write_b32 v16, v15
	s_waitcnt lgkmcnt(0)
	s_barrier
	s_and_saveexec_b64 s[36:37], s[4:5]
	s_cbranch_execz .LBB6315_30
; %bb.29:
	v_lshlrev_b32_e32 v16, 1, v0
	v_lshrrev_b32_e32 v17, 4, v0
	v_add_lshl_u32 v19, v17, v16, 2
	ds_read2_b32 v[16:17], v19 offset1:1
	v_mbcnt_lo_u32_b32 v20, -1, 0
	v_mbcnt_hi_u32_b32 v20, -1, v20
	v_and_b32_e32 v21, 15, v20
	v_cmp_eq_u32_e64 s[4:5], 0, v21
	s_waitcnt lgkmcnt(0)
	v_add_f32_e32 v17, v16, v17
	v_cmp_lt_u32_e64 s[28:29], 3, v21
	v_cmp_lt_u32_e64 s[30:31], 31, v20
	v_mov_b32_dpp v22, v17 row_shr:1 row_mask:0xf bank_mask:0xf
	v_add_f32_e32 v22, v17, v22
	v_cndmask_b32_e64 v17, v22, v17, s[4:5]
	v_cmp_lt_u32_e64 s[4:5], 1, v21
	s_nop 0
	v_mov_b32_dpp v22, v17 row_shr:2 row_mask:0xf bank_mask:0xf
	v_add_f32_e32 v22, v17, v22
	v_cndmask_b32_e64 v22, v17, v22, s[4:5]
	; wave barrier
	s_nop 1
	v_mov_b32_dpp v23, v22 row_shr:4 row_mask:0xf bank_mask:0xf
	v_add_f32_e32 v23, v22, v23
	v_cndmask_b32_e64 v22, v22, v23, s[28:29]
	v_cmp_lt_u32_e64 s[28:29], 7, v21
	s_nop 0
	v_mov_b32_dpp v23, v22 row_shr:8 row_mask:0xf bank_mask:0xf
	v_add_f32_e32 v23, v22, v23
	v_cndmask_b32_e64 v21, v22, v23, s[28:29]
	v_and_b32_e32 v23, 16, v20
	v_cmp_eq_u32_e64 s[28:29], 0, v23
	v_mov_b32_dpp v22, v21 row_bcast:15 row_mask:0xf bank_mask:0xf
	v_add_f32_e32 v22, v21, v22
	v_cndmask_b32_e64 v21, v22, v21, s[28:29]
	v_cmp_lt_u32_e64 s[28:29], 15, v20
	s_or_b64 s[4:5], s[28:29], s[4:5]
	v_mov_b32_dpp v22, v21 row_bcast:31 row_mask:0xf bank_mask:0xf
	v_add_f32_e32 v22, v21, v22
	v_cndmask_b32_e64 v21, v21, v22, s[30:31]
	v_cndmask_b32_e64 v17, v17, v21, s[4:5]
	v_add_u32_e32 v21, -1, v20
	v_and_b32_e32 v22, 64, v20
	v_cmp_lt_i32_e64 s[4:5], v21, v22
	v_cndmask_b32_e64 v20, v21, v20, s[4:5]
	v_lshlrev_b32_e32 v20, 2, v20
	ds_bpermute_b32 v17, v20, v17
	v_cmp_eq_u32_e64 s[4:5], 0, v0
	s_waitcnt lgkmcnt(0)
	v_add_f32_e32 v16, v16, v17
	v_cndmask_b32_e64 v15, v16, v15, s[4:5]
	ds_write_b32 v19, v15
	; wave barrier
	ds_read_b32 v16, v19 offset:4
	s_waitcnt lgkmcnt(0)
	v_add_f32_e32 v15, v15, v16
	ds_write_b32 v19, v15 offset:4
.LBB6315_30:
	s_or_b64 exec, exec, s[36:37]
	v_cmp_ne_u32_e64 s[4:5], 0, v0
	v_mov_b32_e32 v16, s33
	s_waitcnt lgkmcnt(0)
	s_barrier
	s_and_saveexec_b64 s[28:29], s[4:5]
	s_cbranch_execz .LBB6315_32
; %bb.31:
	v_add_u32_e32 v15, -1, v0
	v_lshrrev_b32_e32 v16, 5, v15
	v_add_lshl_u32 v15, v16, v15, 2
	ds_read_b32 v15, v15
	s_waitcnt lgkmcnt(0)
	v_add_f32_e32 v16, s33, v15
.LBB6315_32:
	s_or_b64 exec, exec, s[28:29]
	v_add_f32_e32 v17, v10, v16
	v_add_f32_e32 v10, v11, v17
	;; [unrolled: 1-line block ×12, first 2 shown]
	s_movk_i32 s4, 0xffcc
	v_add_f32_e32 v5, v14, v4
	v_mad_i32_i24 v0, v0, s4, v1
	s_barrier
	ds_write2_b64 v1, v[16:17], v[10:11] offset1:1
	ds_write2_b64 v1, v[12:13], v[6:7] offset0:2 offset1:3
	ds_write2_b64 v1, v[8:9], v[2:3] offset0:4 offset1:5
	ds_write_b64 v1, v[4:5] offset:48
	s_waitcnt lgkmcnt(0)
	s_barrier
	ds_read2st64_b32 v[12:13], v0 offset0:2 offset1:4
	ds_read2st64_b32 v[10:11], v0 offset0:6 offset1:8
	ds_read2st64_b32 v[8:9], v0 offset0:10 offset1:12
	ds_read2st64_b32 v[6:7], v0 offset0:14 offset1:18
	ds_read_b32 v14, v18 offset:4096
	ds_read2st64_b32 v[4:5], v0 offset0:20 offset1:22
	ds_read2st64_b32 v[2:3], v0 offset0:24 offset1:26
	v_mov_b32_e32 v1, s35
	v_add_co_u32_e64 v0, s[4:5], s34, v18
	v_addc_co_u32_e64 v1, s[4:5], 0, v1, s[4:5]
	s_and_saveexec_b64 s[4:5], vcc
	s_cbranch_execnz .LBB6315_47
; %bb.33:
	s_or_b64 exec, exec, s[4:5]
	s_and_saveexec_b64 s[4:5], s[0:1]
	s_cbranch_execnz .LBB6315_48
.LBB6315_34:
	s_or_b64 exec, exec, s[4:5]
	s_and_saveexec_b64 s[0:1], s[2:3]
	s_cbranch_execnz .LBB6315_49
.LBB6315_35:
	s_or_b64 exec, exec, s[0:1]
	s_and_saveexec_b64 s[0:1], s[26:27]
	s_cbranch_execnz .LBB6315_50
.LBB6315_36:
	s_or_b64 exec, exec, s[0:1]
	s_and_saveexec_b64 s[0:1], s[6:7]
	s_cbranch_execnz .LBB6315_51
.LBB6315_37:
	s_or_b64 exec, exec, s[0:1]
	s_and_saveexec_b64 s[0:1], s[8:9]
	s_cbranch_execnz .LBB6315_52
.LBB6315_38:
	s_or_b64 exec, exec, s[0:1]
	s_and_saveexec_b64 s[0:1], s[10:11]
	s_cbranch_execnz .LBB6315_53
.LBB6315_39:
	s_or_b64 exec, exec, s[0:1]
	s_and_saveexec_b64 s[0:1], s[12:13]
	s_cbranch_execnz .LBB6315_54
.LBB6315_40:
	s_or_b64 exec, exec, s[0:1]
	s_and_saveexec_b64 s[0:1], s[14:15]
	s_cbranch_execnz .LBB6315_55
.LBB6315_41:
	s_or_b64 exec, exec, s[0:1]
	s_and_saveexec_b64 s[0:1], s[16:17]
	s_cbranch_execnz .LBB6315_56
.LBB6315_42:
	s_or_b64 exec, exec, s[0:1]
	s_and_saveexec_b64 s[0:1], s[18:19]
	s_cbranch_execnz .LBB6315_57
.LBB6315_43:
	s_or_b64 exec, exec, s[0:1]
	s_and_saveexec_b64 s[0:1], s[20:21]
	s_cbranch_execnz .LBB6315_58
.LBB6315_44:
	s_or_b64 exec, exec, s[0:1]
	s_and_saveexec_b64 s[0:1], s[22:23]
	s_cbranch_execnz .LBB6315_59
.LBB6315_45:
	s_or_b64 exec, exec, s[0:1]
	s_and_saveexec_b64 s[0:1], s[24:25]
	s_cbranch_execnz .LBB6315_60
.LBB6315_46:
	s_endpgm
.LBB6315_47:
	ds_read_b32 v15, v18
	s_waitcnt lgkmcnt(0)
	v_cvt_i32_f32_e32 v15, v15
	global_store_dword v[0:1], v15, off
	s_or_b64 exec, exec, s[4:5]
	s_and_saveexec_b64 s[4:5], s[0:1]
	s_cbranch_execz .LBB6315_34
.LBB6315_48:
	s_waitcnt lgkmcnt(6)
	v_cvt_i32_f32_e32 v12, v12
	global_store_dword v[0:1], v12, off offset:512
	s_or_b64 exec, exec, s[4:5]
	s_and_saveexec_b64 s[0:1], s[2:3]
	s_cbranch_execz .LBB6315_35
.LBB6315_49:
	s_waitcnt lgkmcnt(6)
	v_cvt_i32_f32_e32 v12, v13
	global_store_dword v[0:1], v12, off offset:1024
	s_or_b64 exec, exec, s[0:1]
	s_and_saveexec_b64 s[0:1], s[26:27]
	s_cbranch_execz .LBB6315_36
.LBB6315_50:
	s_waitcnt lgkmcnt(5)
	v_cvt_i32_f32_e32 v10, v10
	global_store_dword v[0:1], v10, off offset:1536
	s_or_b64 exec, exec, s[0:1]
	s_and_saveexec_b64 s[0:1], s[6:7]
	s_cbranch_execz .LBB6315_37
.LBB6315_51:
	s_waitcnt lgkmcnt(5)
	v_cvt_i32_f32_e32 v10, v11
	global_store_dword v[0:1], v10, off offset:2048
	s_or_b64 exec, exec, s[0:1]
	s_and_saveexec_b64 s[0:1], s[8:9]
	s_cbranch_execz .LBB6315_38
.LBB6315_52:
	s_waitcnt lgkmcnt(4)
	v_cvt_i32_f32_e32 v8, v8
	global_store_dword v[0:1], v8, off offset:2560
	s_or_b64 exec, exec, s[0:1]
	s_and_saveexec_b64 s[0:1], s[10:11]
	s_cbranch_execz .LBB6315_39
.LBB6315_53:
	s_waitcnt lgkmcnt(4)
	v_cvt_i32_f32_e32 v8, v9
	global_store_dword v[0:1], v8, off offset:3072
	s_or_b64 exec, exec, s[0:1]
	s_and_saveexec_b64 s[0:1], s[12:13]
	s_cbranch_execz .LBB6315_40
.LBB6315_54:
	s_waitcnt lgkmcnt(3)
	v_cvt_i32_f32_e32 v6, v6
	global_store_dword v[0:1], v6, off offset:3584
	s_or_b64 exec, exec, s[0:1]
	s_and_saveexec_b64 s[0:1], s[14:15]
	s_cbranch_execz .LBB6315_41
.LBB6315_55:
	s_waitcnt lgkmcnt(2)
	v_cvt_i32_f32_e32 v6, v14
	v_add_co_u32_e32 v8, vcc, 0x1000, v0
	v_addc_co_u32_e32 v9, vcc, 0, v1, vcc
	global_store_dword v[8:9], v6, off
	s_or_b64 exec, exec, s[0:1]
	s_and_saveexec_b64 s[0:1], s[16:17]
	s_cbranch_execz .LBB6315_42
.LBB6315_56:
	s_waitcnt lgkmcnt(3)
	v_cvt_i32_f32_e32 v8, v7
	v_add_co_u32_e32 v6, vcc, 0x1000, v0
	v_addc_co_u32_e32 v7, vcc, 0, v1, vcc
	global_store_dword v[6:7], v8, off offset:512
	s_or_b64 exec, exec, s[0:1]
	s_and_saveexec_b64 s[0:1], s[18:19]
	s_cbranch_execz .LBB6315_43
.LBB6315_57:
	s_waitcnt lgkmcnt(1)
	v_cvt_i32_f32_e32 v4, v4
	v_add_co_u32_e32 v6, vcc, 0x1000, v0
	v_addc_co_u32_e32 v7, vcc, 0, v1, vcc
	global_store_dword v[6:7], v4, off offset:1024
	s_or_b64 exec, exec, s[0:1]
	s_and_saveexec_b64 s[0:1], s[20:21]
	s_cbranch_execz .LBB6315_44
.LBB6315_58:
	s_waitcnt lgkmcnt(1)
	v_cvt_i32_f32_e32 v6, v5
	v_add_co_u32_e32 v4, vcc, 0x1000, v0
	v_addc_co_u32_e32 v5, vcc, 0, v1, vcc
	global_store_dword v[4:5], v6, off offset:1536
	s_or_b64 exec, exec, s[0:1]
	s_and_saveexec_b64 s[0:1], s[22:23]
	s_cbranch_execz .LBB6315_45
.LBB6315_59:
	s_waitcnt lgkmcnt(0)
	v_cvt_i32_f32_e32 v2, v2
	v_add_co_u32_e32 v4, vcc, 0x1000, v0
	v_addc_co_u32_e32 v5, vcc, 0, v1, vcc
	global_store_dword v[4:5], v2, off offset:2048
	s_or_b64 exec, exec, s[0:1]
	s_and_saveexec_b64 s[0:1], s[24:25]
	s_cbranch_execz .LBB6315_46
.LBB6315_60:
	s_waitcnt lgkmcnt(0)
	v_cvt_i32_f32_e32 v2, v3
	v_add_co_u32_e32 v0, vcc, 0x1000, v0
	v_addc_co_u32_e32 v1, vcc, 0, v1, vcc
	global_store_dword v[0:1], v2, off offset:2560
	s_endpgm
	.section	.rodata,"a",@progbits
	.p2align	6, 0x0
	.amdhsa_kernel _ZN7rocprim17ROCPRIM_400000_NS6detail17trampoline_kernelINS0_14default_configENS1_20scan_config_selectorIfEEZZNS1_9scan_implILNS1_25lookback_scan_determinismE0ELb1ELb1ES3_N6thrust23THRUST_200600_302600_NS6detail15normal_iteratorINS9_10device_ptrIjEEEENSB_INSC_IiEEEEfNS9_4plusIvEEfEEDaPvRmT3_T4_T5_mT6_P12ihipStream_tbENKUlT_T0_E_clISt17integral_constantIbLb0EESW_EEDaSR_SS_EUlSR_E0_NS1_11comp_targetILNS1_3genE4ELNS1_11target_archE910ELNS1_3gpuE8ELNS1_3repE0EEENS1_30default_config_static_selectorELNS0_4arch9wavefront6targetE1EEEvT1_
		.amdhsa_group_segment_fixed_size 7168
		.amdhsa_private_segment_fixed_size 0
		.amdhsa_kernarg_size 32
		.amdhsa_user_sgpr_count 6
		.amdhsa_user_sgpr_private_segment_buffer 1
		.amdhsa_user_sgpr_dispatch_ptr 0
		.amdhsa_user_sgpr_queue_ptr 0
		.amdhsa_user_sgpr_kernarg_segment_ptr 1
		.amdhsa_user_sgpr_dispatch_id 0
		.amdhsa_user_sgpr_flat_scratch_init 0
		.amdhsa_user_sgpr_kernarg_preload_length 0
		.amdhsa_user_sgpr_kernarg_preload_offset 0
		.amdhsa_user_sgpr_private_segment_size 0
		.amdhsa_uses_dynamic_stack 0
		.amdhsa_system_sgpr_private_segment_wavefront_offset 0
		.amdhsa_system_sgpr_workgroup_id_x 1
		.amdhsa_system_sgpr_workgroup_id_y 0
		.amdhsa_system_sgpr_workgroup_id_z 0
		.amdhsa_system_sgpr_workgroup_info 0
		.amdhsa_system_vgpr_workitem_id 0
		.amdhsa_next_free_vgpr 24
		.amdhsa_next_free_sgpr 38
		.amdhsa_accum_offset 24
		.amdhsa_reserve_vcc 1
		.amdhsa_reserve_flat_scratch 0
		.amdhsa_float_round_mode_32 0
		.amdhsa_float_round_mode_16_64 0
		.amdhsa_float_denorm_mode_32 3
		.amdhsa_float_denorm_mode_16_64 3
		.amdhsa_dx10_clamp 1
		.amdhsa_ieee_mode 1
		.amdhsa_fp16_overflow 0
		.amdhsa_tg_split 0
		.amdhsa_exception_fp_ieee_invalid_op 0
		.amdhsa_exception_fp_denorm_src 0
		.amdhsa_exception_fp_ieee_div_zero 0
		.amdhsa_exception_fp_ieee_overflow 0
		.amdhsa_exception_fp_ieee_underflow 0
		.amdhsa_exception_fp_ieee_inexact 0
		.amdhsa_exception_int_div_zero 0
	.end_amdhsa_kernel
	.section	.text._ZN7rocprim17ROCPRIM_400000_NS6detail17trampoline_kernelINS0_14default_configENS1_20scan_config_selectorIfEEZZNS1_9scan_implILNS1_25lookback_scan_determinismE0ELb1ELb1ES3_N6thrust23THRUST_200600_302600_NS6detail15normal_iteratorINS9_10device_ptrIjEEEENSB_INSC_IiEEEEfNS9_4plusIvEEfEEDaPvRmT3_T4_T5_mT6_P12ihipStream_tbENKUlT_T0_E_clISt17integral_constantIbLb0EESW_EEDaSR_SS_EUlSR_E0_NS1_11comp_targetILNS1_3genE4ELNS1_11target_archE910ELNS1_3gpuE8ELNS1_3repE0EEENS1_30default_config_static_selectorELNS0_4arch9wavefront6targetE1EEEvT1_,"axG",@progbits,_ZN7rocprim17ROCPRIM_400000_NS6detail17trampoline_kernelINS0_14default_configENS1_20scan_config_selectorIfEEZZNS1_9scan_implILNS1_25lookback_scan_determinismE0ELb1ELb1ES3_N6thrust23THRUST_200600_302600_NS6detail15normal_iteratorINS9_10device_ptrIjEEEENSB_INSC_IiEEEEfNS9_4plusIvEEfEEDaPvRmT3_T4_T5_mT6_P12ihipStream_tbENKUlT_T0_E_clISt17integral_constantIbLb0EESW_EEDaSR_SS_EUlSR_E0_NS1_11comp_targetILNS1_3genE4ELNS1_11target_archE910ELNS1_3gpuE8ELNS1_3repE0EEENS1_30default_config_static_selectorELNS0_4arch9wavefront6targetE1EEEvT1_,comdat
.Lfunc_end6315:
	.size	_ZN7rocprim17ROCPRIM_400000_NS6detail17trampoline_kernelINS0_14default_configENS1_20scan_config_selectorIfEEZZNS1_9scan_implILNS1_25lookback_scan_determinismE0ELb1ELb1ES3_N6thrust23THRUST_200600_302600_NS6detail15normal_iteratorINS9_10device_ptrIjEEEENSB_INSC_IiEEEEfNS9_4plusIvEEfEEDaPvRmT3_T4_T5_mT6_P12ihipStream_tbENKUlT_T0_E_clISt17integral_constantIbLb0EESW_EEDaSR_SS_EUlSR_E0_NS1_11comp_targetILNS1_3genE4ELNS1_11target_archE910ELNS1_3gpuE8ELNS1_3repE0EEENS1_30default_config_static_selectorELNS0_4arch9wavefront6targetE1EEEvT1_, .Lfunc_end6315-_ZN7rocprim17ROCPRIM_400000_NS6detail17trampoline_kernelINS0_14default_configENS1_20scan_config_selectorIfEEZZNS1_9scan_implILNS1_25lookback_scan_determinismE0ELb1ELb1ES3_N6thrust23THRUST_200600_302600_NS6detail15normal_iteratorINS9_10device_ptrIjEEEENSB_INSC_IiEEEEfNS9_4plusIvEEfEEDaPvRmT3_T4_T5_mT6_P12ihipStream_tbENKUlT_T0_E_clISt17integral_constantIbLb0EESW_EEDaSR_SS_EUlSR_E0_NS1_11comp_targetILNS1_3genE4ELNS1_11target_archE910ELNS1_3gpuE8ELNS1_3repE0EEENS1_30default_config_static_selectorELNS0_4arch9wavefront6targetE1EEEvT1_
                                        ; -- End function
	.section	.AMDGPU.csdata,"",@progbits
; Kernel info:
; codeLenInByte = 2168
; NumSgprs: 42
; NumVgprs: 24
; NumAgprs: 0
; TotalNumVgprs: 24
; ScratchSize: 0
; MemoryBound: 0
; FloatMode: 240
; IeeeMode: 1
; LDSByteSize: 7168 bytes/workgroup (compile time only)
; SGPRBlocks: 5
; VGPRBlocks: 2
; NumSGPRsForWavesPerEU: 42
; NumVGPRsForWavesPerEU: 24
; AccumOffset: 24
; Occupancy: 5
; WaveLimiterHint : 0
; COMPUTE_PGM_RSRC2:SCRATCH_EN: 0
; COMPUTE_PGM_RSRC2:USER_SGPR: 6
; COMPUTE_PGM_RSRC2:TRAP_HANDLER: 0
; COMPUTE_PGM_RSRC2:TGID_X_EN: 1
; COMPUTE_PGM_RSRC2:TGID_Y_EN: 0
; COMPUTE_PGM_RSRC2:TGID_Z_EN: 0
; COMPUTE_PGM_RSRC2:TIDIG_COMP_CNT: 0
; COMPUTE_PGM_RSRC3_GFX90A:ACCUM_OFFSET: 5
; COMPUTE_PGM_RSRC3_GFX90A:TG_SPLIT: 0
	.section	.text._ZN7rocprim17ROCPRIM_400000_NS6detail17trampoline_kernelINS0_14default_configENS1_20scan_config_selectorIfEEZZNS1_9scan_implILNS1_25lookback_scan_determinismE0ELb1ELb1ES3_N6thrust23THRUST_200600_302600_NS6detail15normal_iteratorINS9_10device_ptrIjEEEENSB_INSC_IiEEEEfNS9_4plusIvEEfEEDaPvRmT3_T4_T5_mT6_P12ihipStream_tbENKUlT_T0_E_clISt17integral_constantIbLb0EESW_EEDaSR_SS_EUlSR_E0_NS1_11comp_targetILNS1_3genE3ELNS1_11target_archE908ELNS1_3gpuE7ELNS1_3repE0EEENS1_30default_config_static_selectorELNS0_4arch9wavefront6targetE1EEEvT1_,"axG",@progbits,_ZN7rocprim17ROCPRIM_400000_NS6detail17trampoline_kernelINS0_14default_configENS1_20scan_config_selectorIfEEZZNS1_9scan_implILNS1_25lookback_scan_determinismE0ELb1ELb1ES3_N6thrust23THRUST_200600_302600_NS6detail15normal_iteratorINS9_10device_ptrIjEEEENSB_INSC_IiEEEEfNS9_4plusIvEEfEEDaPvRmT3_T4_T5_mT6_P12ihipStream_tbENKUlT_T0_E_clISt17integral_constantIbLb0EESW_EEDaSR_SS_EUlSR_E0_NS1_11comp_targetILNS1_3genE3ELNS1_11target_archE908ELNS1_3gpuE7ELNS1_3repE0EEENS1_30default_config_static_selectorELNS0_4arch9wavefront6targetE1EEEvT1_,comdat
	.protected	_ZN7rocprim17ROCPRIM_400000_NS6detail17trampoline_kernelINS0_14default_configENS1_20scan_config_selectorIfEEZZNS1_9scan_implILNS1_25lookback_scan_determinismE0ELb1ELb1ES3_N6thrust23THRUST_200600_302600_NS6detail15normal_iteratorINS9_10device_ptrIjEEEENSB_INSC_IiEEEEfNS9_4plusIvEEfEEDaPvRmT3_T4_T5_mT6_P12ihipStream_tbENKUlT_T0_E_clISt17integral_constantIbLb0EESW_EEDaSR_SS_EUlSR_E0_NS1_11comp_targetILNS1_3genE3ELNS1_11target_archE908ELNS1_3gpuE7ELNS1_3repE0EEENS1_30default_config_static_selectorELNS0_4arch9wavefront6targetE1EEEvT1_ ; -- Begin function _ZN7rocprim17ROCPRIM_400000_NS6detail17trampoline_kernelINS0_14default_configENS1_20scan_config_selectorIfEEZZNS1_9scan_implILNS1_25lookback_scan_determinismE0ELb1ELb1ES3_N6thrust23THRUST_200600_302600_NS6detail15normal_iteratorINS9_10device_ptrIjEEEENSB_INSC_IiEEEEfNS9_4plusIvEEfEEDaPvRmT3_T4_T5_mT6_P12ihipStream_tbENKUlT_T0_E_clISt17integral_constantIbLb0EESW_EEDaSR_SS_EUlSR_E0_NS1_11comp_targetILNS1_3genE3ELNS1_11target_archE908ELNS1_3gpuE7ELNS1_3repE0EEENS1_30default_config_static_selectorELNS0_4arch9wavefront6targetE1EEEvT1_
	.globl	_ZN7rocprim17ROCPRIM_400000_NS6detail17trampoline_kernelINS0_14default_configENS1_20scan_config_selectorIfEEZZNS1_9scan_implILNS1_25lookback_scan_determinismE0ELb1ELb1ES3_N6thrust23THRUST_200600_302600_NS6detail15normal_iteratorINS9_10device_ptrIjEEEENSB_INSC_IiEEEEfNS9_4plusIvEEfEEDaPvRmT3_T4_T5_mT6_P12ihipStream_tbENKUlT_T0_E_clISt17integral_constantIbLb0EESW_EEDaSR_SS_EUlSR_E0_NS1_11comp_targetILNS1_3genE3ELNS1_11target_archE908ELNS1_3gpuE7ELNS1_3repE0EEENS1_30default_config_static_selectorELNS0_4arch9wavefront6targetE1EEEvT1_
	.p2align	8
	.type	_ZN7rocprim17ROCPRIM_400000_NS6detail17trampoline_kernelINS0_14default_configENS1_20scan_config_selectorIfEEZZNS1_9scan_implILNS1_25lookback_scan_determinismE0ELb1ELb1ES3_N6thrust23THRUST_200600_302600_NS6detail15normal_iteratorINS9_10device_ptrIjEEEENSB_INSC_IiEEEEfNS9_4plusIvEEfEEDaPvRmT3_T4_T5_mT6_P12ihipStream_tbENKUlT_T0_E_clISt17integral_constantIbLb0EESW_EEDaSR_SS_EUlSR_E0_NS1_11comp_targetILNS1_3genE3ELNS1_11target_archE908ELNS1_3gpuE7ELNS1_3repE0EEENS1_30default_config_static_selectorELNS0_4arch9wavefront6targetE1EEEvT1_,@function
_ZN7rocprim17ROCPRIM_400000_NS6detail17trampoline_kernelINS0_14default_configENS1_20scan_config_selectorIfEEZZNS1_9scan_implILNS1_25lookback_scan_determinismE0ELb1ELb1ES3_N6thrust23THRUST_200600_302600_NS6detail15normal_iteratorINS9_10device_ptrIjEEEENSB_INSC_IiEEEEfNS9_4plusIvEEfEEDaPvRmT3_T4_T5_mT6_P12ihipStream_tbENKUlT_T0_E_clISt17integral_constantIbLb0EESW_EEDaSR_SS_EUlSR_E0_NS1_11comp_targetILNS1_3genE3ELNS1_11target_archE908ELNS1_3gpuE7ELNS1_3repE0EEENS1_30default_config_static_selectorELNS0_4arch9wavefront6targetE1EEEvT1_: ; @_ZN7rocprim17ROCPRIM_400000_NS6detail17trampoline_kernelINS0_14default_configENS1_20scan_config_selectorIfEEZZNS1_9scan_implILNS1_25lookback_scan_determinismE0ELb1ELb1ES3_N6thrust23THRUST_200600_302600_NS6detail15normal_iteratorINS9_10device_ptrIjEEEENSB_INSC_IiEEEEfNS9_4plusIvEEfEEDaPvRmT3_T4_T5_mT6_P12ihipStream_tbENKUlT_T0_E_clISt17integral_constantIbLb0EESW_EEDaSR_SS_EUlSR_E0_NS1_11comp_targetILNS1_3genE3ELNS1_11target_archE908ELNS1_3gpuE7ELNS1_3repE0EEENS1_30default_config_static_selectorELNS0_4arch9wavefront6targetE1EEEvT1_
; %bb.0:
	.section	.rodata,"a",@progbits
	.p2align	6, 0x0
	.amdhsa_kernel _ZN7rocprim17ROCPRIM_400000_NS6detail17trampoline_kernelINS0_14default_configENS1_20scan_config_selectorIfEEZZNS1_9scan_implILNS1_25lookback_scan_determinismE0ELb1ELb1ES3_N6thrust23THRUST_200600_302600_NS6detail15normal_iteratorINS9_10device_ptrIjEEEENSB_INSC_IiEEEEfNS9_4plusIvEEfEEDaPvRmT3_T4_T5_mT6_P12ihipStream_tbENKUlT_T0_E_clISt17integral_constantIbLb0EESW_EEDaSR_SS_EUlSR_E0_NS1_11comp_targetILNS1_3genE3ELNS1_11target_archE908ELNS1_3gpuE7ELNS1_3repE0EEENS1_30default_config_static_selectorELNS0_4arch9wavefront6targetE1EEEvT1_
		.amdhsa_group_segment_fixed_size 0
		.amdhsa_private_segment_fixed_size 0
		.amdhsa_kernarg_size 32
		.amdhsa_user_sgpr_count 6
		.amdhsa_user_sgpr_private_segment_buffer 1
		.amdhsa_user_sgpr_dispatch_ptr 0
		.amdhsa_user_sgpr_queue_ptr 0
		.amdhsa_user_sgpr_kernarg_segment_ptr 1
		.amdhsa_user_sgpr_dispatch_id 0
		.amdhsa_user_sgpr_flat_scratch_init 0
		.amdhsa_user_sgpr_kernarg_preload_length 0
		.amdhsa_user_sgpr_kernarg_preload_offset 0
		.amdhsa_user_sgpr_private_segment_size 0
		.amdhsa_uses_dynamic_stack 0
		.amdhsa_system_sgpr_private_segment_wavefront_offset 0
		.amdhsa_system_sgpr_workgroup_id_x 1
		.amdhsa_system_sgpr_workgroup_id_y 0
		.amdhsa_system_sgpr_workgroup_id_z 0
		.amdhsa_system_sgpr_workgroup_info 0
		.amdhsa_system_vgpr_workitem_id 0
		.amdhsa_next_free_vgpr 1
		.amdhsa_next_free_sgpr 0
		.amdhsa_accum_offset 4
		.amdhsa_reserve_vcc 0
		.amdhsa_reserve_flat_scratch 0
		.amdhsa_float_round_mode_32 0
		.amdhsa_float_round_mode_16_64 0
		.amdhsa_float_denorm_mode_32 3
		.amdhsa_float_denorm_mode_16_64 3
		.amdhsa_dx10_clamp 1
		.amdhsa_ieee_mode 1
		.amdhsa_fp16_overflow 0
		.amdhsa_tg_split 0
		.amdhsa_exception_fp_ieee_invalid_op 0
		.amdhsa_exception_fp_denorm_src 0
		.amdhsa_exception_fp_ieee_div_zero 0
		.amdhsa_exception_fp_ieee_overflow 0
		.amdhsa_exception_fp_ieee_underflow 0
		.amdhsa_exception_fp_ieee_inexact 0
		.amdhsa_exception_int_div_zero 0
	.end_amdhsa_kernel
	.section	.text._ZN7rocprim17ROCPRIM_400000_NS6detail17trampoline_kernelINS0_14default_configENS1_20scan_config_selectorIfEEZZNS1_9scan_implILNS1_25lookback_scan_determinismE0ELb1ELb1ES3_N6thrust23THRUST_200600_302600_NS6detail15normal_iteratorINS9_10device_ptrIjEEEENSB_INSC_IiEEEEfNS9_4plusIvEEfEEDaPvRmT3_T4_T5_mT6_P12ihipStream_tbENKUlT_T0_E_clISt17integral_constantIbLb0EESW_EEDaSR_SS_EUlSR_E0_NS1_11comp_targetILNS1_3genE3ELNS1_11target_archE908ELNS1_3gpuE7ELNS1_3repE0EEENS1_30default_config_static_selectorELNS0_4arch9wavefront6targetE1EEEvT1_,"axG",@progbits,_ZN7rocprim17ROCPRIM_400000_NS6detail17trampoline_kernelINS0_14default_configENS1_20scan_config_selectorIfEEZZNS1_9scan_implILNS1_25lookback_scan_determinismE0ELb1ELb1ES3_N6thrust23THRUST_200600_302600_NS6detail15normal_iteratorINS9_10device_ptrIjEEEENSB_INSC_IiEEEEfNS9_4plusIvEEfEEDaPvRmT3_T4_T5_mT6_P12ihipStream_tbENKUlT_T0_E_clISt17integral_constantIbLb0EESW_EEDaSR_SS_EUlSR_E0_NS1_11comp_targetILNS1_3genE3ELNS1_11target_archE908ELNS1_3gpuE7ELNS1_3repE0EEENS1_30default_config_static_selectorELNS0_4arch9wavefront6targetE1EEEvT1_,comdat
.Lfunc_end6316:
	.size	_ZN7rocprim17ROCPRIM_400000_NS6detail17trampoline_kernelINS0_14default_configENS1_20scan_config_selectorIfEEZZNS1_9scan_implILNS1_25lookback_scan_determinismE0ELb1ELb1ES3_N6thrust23THRUST_200600_302600_NS6detail15normal_iteratorINS9_10device_ptrIjEEEENSB_INSC_IiEEEEfNS9_4plusIvEEfEEDaPvRmT3_T4_T5_mT6_P12ihipStream_tbENKUlT_T0_E_clISt17integral_constantIbLb0EESW_EEDaSR_SS_EUlSR_E0_NS1_11comp_targetILNS1_3genE3ELNS1_11target_archE908ELNS1_3gpuE7ELNS1_3repE0EEENS1_30default_config_static_selectorELNS0_4arch9wavefront6targetE1EEEvT1_, .Lfunc_end6316-_ZN7rocprim17ROCPRIM_400000_NS6detail17trampoline_kernelINS0_14default_configENS1_20scan_config_selectorIfEEZZNS1_9scan_implILNS1_25lookback_scan_determinismE0ELb1ELb1ES3_N6thrust23THRUST_200600_302600_NS6detail15normal_iteratorINS9_10device_ptrIjEEEENSB_INSC_IiEEEEfNS9_4plusIvEEfEEDaPvRmT3_T4_T5_mT6_P12ihipStream_tbENKUlT_T0_E_clISt17integral_constantIbLb0EESW_EEDaSR_SS_EUlSR_E0_NS1_11comp_targetILNS1_3genE3ELNS1_11target_archE908ELNS1_3gpuE7ELNS1_3repE0EEENS1_30default_config_static_selectorELNS0_4arch9wavefront6targetE1EEEvT1_
                                        ; -- End function
	.section	.AMDGPU.csdata,"",@progbits
; Kernel info:
; codeLenInByte = 0
; NumSgprs: 4
; NumVgprs: 0
; NumAgprs: 0
; TotalNumVgprs: 0
; ScratchSize: 0
; MemoryBound: 0
; FloatMode: 240
; IeeeMode: 1
; LDSByteSize: 0 bytes/workgroup (compile time only)
; SGPRBlocks: 0
; VGPRBlocks: 0
; NumSGPRsForWavesPerEU: 4
; NumVGPRsForWavesPerEU: 1
; AccumOffset: 4
; Occupancy: 8
; WaveLimiterHint : 0
; COMPUTE_PGM_RSRC2:SCRATCH_EN: 0
; COMPUTE_PGM_RSRC2:USER_SGPR: 6
; COMPUTE_PGM_RSRC2:TRAP_HANDLER: 0
; COMPUTE_PGM_RSRC2:TGID_X_EN: 1
; COMPUTE_PGM_RSRC2:TGID_Y_EN: 0
; COMPUTE_PGM_RSRC2:TGID_Z_EN: 0
; COMPUTE_PGM_RSRC2:TIDIG_COMP_CNT: 0
; COMPUTE_PGM_RSRC3_GFX90A:ACCUM_OFFSET: 0
; COMPUTE_PGM_RSRC3_GFX90A:TG_SPLIT: 0
	.section	.text._ZN7rocprim17ROCPRIM_400000_NS6detail17trampoline_kernelINS0_14default_configENS1_20scan_config_selectorIfEEZZNS1_9scan_implILNS1_25lookback_scan_determinismE0ELb1ELb1ES3_N6thrust23THRUST_200600_302600_NS6detail15normal_iteratorINS9_10device_ptrIjEEEENSB_INSC_IiEEEEfNS9_4plusIvEEfEEDaPvRmT3_T4_T5_mT6_P12ihipStream_tbENKUlT_T0_E_clISt17integral_constantIbLb0EESW_EEDaSR_SS_EUlSR_E0_NS1_11comp_targetILNS1_3genE2ELNS1_11target_archE906ELNS1_3gpuE6ELNS1_3repE0EEENS1_30default_config_static_selectorELNS0_4arch9wavefront6targetE1EEEvT1_,"axG",@progbits,_ZN7rocprim17ROCPRIM_400000_NS6detail17trampoline_kernelINS0_14default_configENS1_20scan_config_selectorIfEEZZNS1_9scan_implILNS1_25lookback_scan_determinismE0ELb1ELb1ES3_N6thrust23THRUST_200600_302600_NS6detail15normal_iteratorINS9_10device_ptrIjEEEENSB_INSC_IiEEEEfNS9_4plusIvEEfEEDaPvRmT3_T4_T5_mT6_P12ihipStream_tbENKUlT_T0_E_clISt17integral_constantIbLb0EESW_EEDaSR_SS_EUlSR_E0_NS1_11comp_targetILNS1_3genE2ELNS1_11target_archE906ELNS1_3gpuE6ELNS1_3repE0EEENS1_30default_config_static_selectorELNS0_4arch9wavefront6targetE1EEEvT1_,comdat
	.protected	_ZN7rocprim17ROCPRIM_400000_NS6detail17trampoline_kernelINS0_14default_configENS1_20scan_config_selectorIfEEZZNS1_9scan_implILNS1_25lookback_scan_determinismE0ELb1ELb1ES3_N6thrust23THRUST_200600_302600_NS6detail15normal_iteratorINS9_10device_ptrIjEEEENSB_INSC_IiEEEEfNS9_4plusIvEEfEEDaPvRmT3_T4_T5_mT6_P12ihipStream_tbENKUlT_T0_E_clISt17integral_constantIbLb0EESW_EEDaSR_SS_EUlSR_E0_NS1_11comp_targetILNS1_3genE2ELNS1_11target_archE906ELNS1_3gpuE6ELNS1_3repE0EEENS1_30default_config_static_selectorELNS0_4arch9wavefront6targetE1EEEvT1_ ; -- Begin function _ZN7rocprim17ROCPRIM_400000_NS6detail17trampoline_kernelINS0_14default_configENS1_20scan_config_selectorIfEEZZNS1_9scan_implILNS1_25lookback_scan_determinismE0ELb1ELb1ES3_N6thrust23THRUST_200600_302600_NS6detail15normal_iteratorINS9_10device_ptrIjEEEENSB_INSC_IiEEEEfNS9_4plusIvEEfEEDaPvRmT3_T4_T5_mT6_P12ihipStream_tbENKUlT_T0_E_clISt17integral_constantIbLb0EESW_EEDaSR_SS_EUlSR_E0_NS1_11comp_targetILNS1_3genE2ELNS1_11target_archE906ELNS1_3gpuE6ELNS1_3repE0EEENS1_30default_config_static_selectorELNS0_4arch9wavefront6targetE1EEEvT1_
	.globl	_ZN7rocprim17ROCPRIM_400000_NS6detail17trampoline_kernelINS0_14default_configENS1_20scan_config_selectorIfEEZZNS1_9scan_implILNS1_25lookback_scan_determinismE0ELb1ELb1ES3_N6thrust23THRUST_200600_302600_NS6detail15normal_iteratorINS9_10device_ptrIjEEEENSB_INSC_IiEEEEfNS9_4plusIvEEfEEDaPvRmT3_T4_T5_mT6_P12ihipStream_tbENKUlT_T0_E_clISt17integral_constantIbLb0EESW_EEDaSR_SS_EUlSR_E0_NS1_11comp_targetILNS1_3genE2ELNS1_11target_archE906ELNS1_3gpuE6ELNS1_3repE0EEENS1_30default_config_static_selectorELNS0_4arch9wavefront6targetE1EEEvT1_
	.p2align	8
	.type	_ZN7rocprim17ROCPRIM_400000_NS6detail17trampoline_kernelINS0_14default_configENS1_20scan_config_selectorIfEEZZNS1_9scan_implILNS1_25lookback_scan_determinismE0ELb1ELb1ES3_N6thrust23THRUST_200600_302600_NS6detail15normal_iteratorINS9_10device_ptrIjEEEENSB_INSC_IiEEEEfNS9_4plusIvEEfEEDaPvRmT3_T4_T5_mT6_P12ihipStream_tbENKUlT_T0_E_clISt17integral_constantIbLb0EESW_EEDaSR_SS_EUlSR_E0_NS1_11comp_targetILNS1_3genE2ELNS1_11target_archE906ELNS1_3gpuE6ELNS1_3repE0EEENS1_30default_config_static_selectorELNS0_4arch9wavefront6targetE1EEEvT1_,@function
_ZN7rocprim17ROCPRIM_400000_NS6detail17trampoline_kernelINS0_14default_configENS1_20scan_config_selectorIfEEZZNS1_9scan_implILNS1_25lookback_scan_determinismE0ELb1ELb1ES3_N6thrust23THRUST_200600_302600_NS6detail15normal_iteratorINS9_10device_ptrIjEEEENSB_INSC_IiEEEEfNS9_4plusIvEEfEEDaPvRmT3_T4_T5_mT6_P12ihipStream_tbENKUlT_T0_E_clISt17integral_constantIbLb0EESW_EEDaSR_SS_EUlSR_E0_NS1_11comp_targetILNS1_3genE2ELNS1_11target_archE906ELNS1_3gpuE6ELNS1_3repE0EEENS1_30default_config_static_selectorELNS0_4arch9wavefront6targetE1EEEvT1_: ; @_ZN7rocprim17ROCPRIM_400000_NS6detail17trampoline_kernelINS0_14default_configENS1_20scan_config_selectorIfEEZZNS1_9scan_implILNS1_25lookback_scan_determinismE0ELb1ELb1ES3_N6thrust23THRUST_200600_302600_NS6detail15normal_iteratorINS9_10device_ptrIjEEEENSB_INSC_IiEEEEfNS9_4plusIvEEfEEDaPvRmT3_T4_T5_mT6_P12ihipStream_tbENKUlT_T0_E_clISt17integral_constantIbLb0EESW_EEDaSR_SS_EUlSR_E0_NS1_11comp_targetILNS1_3genE2ELNS1_11target_archE906ELNS1_3gpuE6ELNS1_3repE0EEENS1_30default_config_static_selectorELNS0_4arch9wavefront6targetE1EEEvT1_
; %bb.0:
	.section	.rodata,"a",@progbits
	.p2align	6, 0x0
	.amdhsa_kernel _ZN7rocprim17ROCPRIM_400000_NS6detail17trampoline_kernelINS0_14default_configENS1_20scan_config_selectorIfEEZZNS1_9scan_implILNS1_25lookback_scan_determinismE0ELb1ELb1ES3_N6thrust23THRUST_200600_302600_NS6detail15normal_iteratorINS9_10device_ptrIjEEEENSB_INSC_IiEEEEfNS9_4plusIvEEfEEDaPvRmT3_T4_T5_mT6_P12ihipStream_tbENKUlT_T0_E_clISt17integral_constantIbLb0EESW_EEDaSR_SS_EUlSR_E0_NS1_11comp_targetILNS1_3genE2ELNS1_11target_archE906ELNS1_3gpuE6ELNS1_3repE0EEENS1_30default_config_static_selectorELNS0_4arch9wavefront6targetE1EEEvT1_
		.amdhsa_group_segment_fixed_size 0
		.amdhsa_private_segment_fixed_size 0
		.amdhsa_kernarg_size 32
		.amdhsa_user_sgpr_count 6
		.amdhsa_user_sgpr_private_segment_buffer 1
		.amdhsa_user_sgpr_dispatch_ptr 0
		.amdhsa_user_sgpr_queue_ptr 0
		.amdhsa_user_sgpr_kernarg_segment_ptr 1
		.amdhsa_user_sgpr_dispatch_id 0
		.amdhsa_user_sgpr_flat_scratch_init 0
		.amdhsa_user_sgpr_kernarg_preload_length 0
		.amdhsa_user_sgpr_kernarg_preload_offset 0
		.amdhsa_user_sgpr_private_segment_size 0
		.amdhsa_uses_dynamic_stack 0
		.amdhsa_system_sgpr_private_segment_wavefront_offset 0
		.amdhsa_system_sgpr_workgroup_id_x 1
		.amdhsa_system_sgpr_workgroup_id_y 0
		.amdhsa_system_sgpr_workgroup_id_z 0
		.amdhsa_system_sgpr_workgroup_info 0
		.amdhsa_system_vgpr_workitem_id 0
		.amdhsa_next_free_vgpr 1
		.amdhsa_next_free_sgpr 0
		.amdhsa_accum_offset 4
		.amdhsa_reserve_vcc 0
		.amdhsa_reserve_flat_scratch 0
		.amdhsa_float_round_mode_32 0
		.amdhsa_float_round_mode_16_64 0
		.amdhsa_float_denorm_mode_32 3
		.amdhsa_float_denorm_mode_16_64 3
		.amdhsa_dx10_clamp 1
		.amdhsa_ieee_mode 1
		.amdhsa_fp16_overflow 0
		.amdhsa_tg_split 0
		.amdhsa_exception_fp_ieee_invalid_op 0
		.amdhsa_exception_fp_denorm_src 0
		.amdhsa_exception_fp_ieee_div_zero 0
		.amdhsa_exception_fp_ieee_overflow 0
		.amdhsa_exception_fp_ieee_underflow 0
		.amdhsa_exception_fp_ieee_inexact 0
		.amdhsa_exception_int_div_zero 0
	.end_amdhsa_kernel
	.section	.text._ZN7rocprim17ROCPRIM_400000_NS6detail17trampoline_kernelINS0_14default_configENS1_20scan_config_selectorIfEEZZNS1_9scan_implILNS1_25lookback_scan_determinismE0ELb1ELb1ES3_N6thrust23THRUST_200600_302600_NS6detail15normal_iteratorINS9_10device_ptrIjEEEENSB_INSC_IiEEEEfNS9_4plusIvEEfEEDaPvRmT3_T4_T5_mT6_P12ihipStream_tbENKUlT_T0_E_clISt17integral_constantIbLb0EESW_EEDaSR_SS_EUlSR_E0_NS1_11comp_targetILNS1_3genE2ELNS1_11target_archE906ELNS1_3gpuE6ELNS1_3repE0EEENS1_30default_config_static_selectorELNS0_4arch9wavefront6targetE1EEEvT1_,"axG",@progbits,_ZN7rocprim17ROCPRIM_400000_NS6detail17trampoline_kernelINS0_14default_configENS1_20scan_config_selectorIfEEZZNS1_9scan_implILNS1_25lookback_scan_determinismE0ELb1ELb1ES3_N6thrust23THRUST_200600_302600_NS6detail15normal_iteratorINS9_10device_ptrIjEEEENSB_INSC_IiEEEEfNS9_4plusIvEEfEEDaPvRmT3_T4_T5_mT6_P12ihipStream_tbENKUlT_T0_E_clISt17integral_constantIbLb0EESW_EEDaSR_SS_EUlSR_E0_NS1_11comp_targetILNS1_3genE2ELNS1_11target_archE906ELNS1_3gpuE6ELNS1_3repE0EEENS1_30default_config_static_selectorELNS0_4arch9wavefront6targetE1EEEvT1_,comdat
.Lfunc_end6317:
	.size	_ZN7rocprim17ROCPRIM_400000_NS6detail17trampoline_kernelINS0_14default_configENS1_20scan_config_selectorIfEEZZNS1_9scan_implILNS1_25lookback_scan_determinismE0ELb1ELb1ES3_N6thrust23THRUST_200600_302600_NS6detail15normal_iteratorINS9_10device_ptrIjEEEENSB_INSC_IiEEEEfNS9_4plusIvEEfEEDaPvRmT3_T4_T5_mT6_P12ihipStream_tbENKUlT_T0_E_clISt17integral_constantIbLb0EESW_EEDaSR_SS_EUlSR_E0_NS1_11comp_targetILNS1_3genE2ELNS1_11target_archE906ELNS1_3gpuE6ELNS1_3repE0EEENS1_30default_config_static_selectorELNS0_4arch9wavefront6targetE1EEEvT1_, .Lfunc_end6317-_ZN7rocprim17ROCPRIM_400000_NS6detail17trampoline_kernelINS0_14default_configENS1_20scan_config_selectorIfEEZZNS1_9scan_implILNS1_25lookback_scan_determinismE0ELb1ELb1ES3_N6thrust23THRUST_200600_302600_NS6detail15normal_iteratorINS9_10device_ptrIjEEEENSB_INSC_IiEEEEfNS9_4plusIvEEfEEDaPvRmT3_T4_T5_mT6_P12ihipStream_tbENKUlT_T0_E_clISt17integral_constantIbLb0EESW_EEDaSR_SS_EUlSR_E0_NS1_11comp_targetILNS1_3genE2ELNS1_11target_archE906ELNS1_3gpuE6ELNS1_3repE0EEENS1_30default_config_static_selectorELNS0_4arch9wavefront6targetE1EEEvT1_
                                        ; -- End function
	.section	.AMDGPU.csdata,"",@progbits
; Kernel info:
; codeLenInByte = 0
; NumSgprs: 4
; NumVgprs: 0
; NumAgprs: 0
; TotalNumVgprs: 0
; ScratchSize: 0
; MemoryBound: 0
; FloatMode: 240
; IeeeMode: 1
; LDSByteSize: 0 bytes/workgroup (compile time only)
; SGPRBlocks: 0
; VGPRBlocks: 0
; NumSGPRsForWavesPerEU: 4
; NumVGPRsForWavesPerEU: 1
; AccumOffset: 4
; Occupancy: 8
; WaveLimiterHint : 0
; COMPUTE_PGM_RSRC2:SCRATCH_EN: 0
; COMPUTE_PGM_RSRC2:USER_SGPR: 6
; COMPUTE_PGM_RSRC2:TRAP_HANDLER: 0
; COMPUTE_PGM_RSRC2:TGID_X_EN: 1
; COMPUTE_PGM_RSRC2:TGID_Y_EN: 0
; COMPUTE_PGM_RSRC2:TGID_Z_EN: 0
; COMPUTE_PGM_RSRC2:TIDIG_COMP_CNT: 0
; COMPUTE_PGM_RSRC3_GFX90A:ACCUM_OFFSET: 0
; COMPUTE_PGM_RSRC3_GFX90A:TG_SPLIT: 0
	.section	.text._ZN7rocprim17ROCPRIM_400000_NS6detail17trampoline_kernelINS0_14default_configENS1_20scan_config_selectorIfEEZZNS1_9scan_implILNS1_25lookback_scan_determinismE0ELb1ELb1ES3_N6thrust23THRUST_200600_302600_NS6detail15normal_iteratorINS9_10device_ptrIjEEEENSB_INSC_IiEEEEfNS9_4plusIvEEfEEDaPvRmT3_T4_T5_mT6_P12ihipStream_tbENKUlT_T0_E_clISt17integral_constantIbLb0EESW_EEDaSR_SS_EUlSR_E0_NS1_11comp_targetILNS1_3genE10ELNS1_11target_archE1201ELNS1_3gpuE5ELNS1_3repE0EEENS1_30default_config_static_selectorELNS0_4arch9wavefront6targetE1EEEvT1_,"axG",@progbits,_ZN7rocprim17ROCPRIM_400000_NS6detail17trampoline_kernelINS0_14default_configENS1_20scan_config_selectorIfEEZZNS1_9scan_implILNS1_25lookback_scan_determinismE0ELb1ELb1ES3_N6thrust23THRUST_200600_302600_NS6detail15normal_iteratorINS9_10device_ptrIjEEEENSB_INSC_IiEEEEfNS9_4plusIvEEfEEDaPvRmT3_T4_T5_mT6_P12ihipStream_tbENKUlT_T0_E_clISt17integral_constantIbLb0EESW_EEDaSR_SS_EUlSR_E0_NS1_11comp_targetILNS1_3genE10ELNS1_11target_archE1201ELNS1_3gpuE5ELNS1_3repE0EEENS1_30default_config_static_selectorELNS0_4arch9wavefront6targetE1EEEvT1_,comdat
	.protected	_ZN7rocprim17ROCPRIM_400000_NS6detail17trampoline_kernelINS0_14default_configENS1_20scan_config_selectorIfEEZZNS1_9scan_implILNS1_25lookback_scan_determinismE0ELb1ELb1ES3_N6thrust23THRUST_200600_302600_NS6detail15normal_iteratorINS9_10device_ptrIjEEEENSB_INSC_IiEEEEfNS9_4plusIvEEfEEDaPvRmT3_T4_T5_mT6_P12ihipStream_tbENKUlT_T0_E_clISt17integral_constantIbLb0EESW_EEDaSR_SS_EUlSR_E0_NS1_11comp_targetILNS1_3genE10ELNS1_11target_archE1201ELNS1_3gpuE5ELNS1_3repE0EEENS1_30default_config_static_selectorELNS0_4arch9wavefront6targetE1EEEvT1_ ; -- Begin function _ZN7rocprim17ROCPRIM_400000_NS6detail17trampoline_kernelINS0_14default_configENS1_20scan_config_selectorIfEEZZNS1_9scan_implILNS1_25lookback_scan_determinismE0ELb1ELb1ES3_N6thrust23THRUST_200600_302600_NS6detail15normal_iteratorINS9_10device_ptrIjEEEENSB_INSC_IiEEEEfNS9_4plusIvEEfEEDaPvRmT3_T4_T5_mT6_P12ihipStream_tbENKUlT_T0_E_clISt17integral_constantIbLb0EESW_EEDaSR_SS_EUlSR_E0_NS1_11comp_targetILNS1_3genE10ELNS1_11target_archE1201ELNS1_3gpuE5ELNS1_3repE0EEENS1_30default_config_static_selectorELNS0_4arch9wavefront6targetE1EEEvT1_
	.globl	_ZN7rocprim17ROCPRIM_400000_NS6detail17trampoline_kernelINS0_14default_configENS1_20scan_config_selectorIfEEZZNS1_9scan_implILNS1_25lookback_scan_determinismE0ELb1ELb1ES3_N6thrust23THRUST_200600_302600_NS6detail15normal_iteratorINS9_10device_ptrIjEEEENSB_INSC_IiEEEEfNS9_4plusIvEEfEEDaPvRmT3_T4_T5_mT6_P12ihipStream_tbENKUlT_T0_E_clISt17integral_constantIbLb0EESW_EEDaSR_SS_EUlSR_E0_NS1_11comp_targetILNS1_3genE10ELNS1_11target_archE1201ELNS1_3gpuE5ELNS1_3repE0EEENS1_30default_config_static_selectorELNS0_4arch9wavefront6targetE1EEEvT1_
	.p2align	8
	.type	_ZN7rocprim17ROCPRIM_400000_NS6detail17trampoline_kernelINS0_14default_configENS1_20scan_config_selectorIfEEZZNS1_9scan_implILNS1_25lookback_scan_determinismE0ELb1ELb1ES3_N6thrust23THRUST_200600_302600_NS6detail15normal_iteratorINS9_10device_ptrIjEEEENSB_INSC_IiEEEEfNS9_4plusIvEEfEEDaPvRmT3_T4_T5_mT6_P12ihipStream_tbENKUlT_T0_E_clISt17integral_constantIbLb0EESW_EEDaSR_SS_EUlSR_E0_NS1_11comp_targetILNS1_3genE10ELNS1_11target_archE1201ELNS1_3gpuE5ELNS1_3repE0EEENS1_30default_config_static_selectorELNS0_4arch9wavefront6targetE1EEEvT1_,@function
_ZN7rocprim17ROCPRIM_400000_NS6detail17trampoline_kernelINS0_14default_configENS1_20scan_config_selectorIfEEZZNS1_9scan_implILNS1_25lookback_scan_determinismE0ELb1ELb1ES3_N6thrust23THRUST_200600_302600_NS6detail15normal_iteratorINS9_10device_ptrIjEEEENSB_INSC_IiEEEEfNS9_4plusIvEEfEEDaPvRmT3_T4_T5_mT6_P12ihipStream_tbENKUlT_T0_E_clISt17integral_constantIbLb0EESW_EEDaSR_SS_EUlSR_E0_NS1_11comp_targetILNS1_3genE10ELNS1_11target_archE1201ELNS1_3gpuE5ELNS1_3repE0EEENS1_30default_config_static_selectorELNS0_4arch9wavefront6targetE1EEEvT1_: ; @_ZN7rocprim17ROCPRIM_400000_NS6detail17trampoline_kernelINS0_14default_configENS1_20scan_config_selectorIfEEZZNS1_9scan_implILNS1_25lookback_scan_determinismE0ELb1ELb1ES3_N6thrust23THRUST_200600_302600_NS6detail15normal_iteratorINS9_10device_ptrIjEEEENSB_INSC_IiEEEEfNS9_4plusIvEEfEEDaPvRmT3_T4_T5_mT6_P12ihipStream_tbENKUlT_T0_E_clISt17integral_constantIbLb0EESW_EEDaSR_SS_EUlSR_E0_NS1_11comp_targetILNS1_3genE10ELNS1_11target_archE1201ELNS1_3gpuE5ELNS1_3repE0EEENS1_30default_config_static_selectorELNS0_4arch9wavefront6targetE1EEEvT1_
; %bb.0:
	.section	.rodata,"a",@progbits
	.p2align	6, 0x0
	.amdhsa_kernel _ZN7rocprim17ROCPRIM_400000_NS6detail17trampoline_kernelINS0_14default_configENS1_20scan_config_selectorIfEEZZNS1_9scan_implILNS1_25lookback_scan_determinismE0ELb1ELb1ES3_N6thrust23THRUST_200600_302600_NS6detail15normal_iteratorINS9_10device_ptrIjEEEENSB_INSC_IiEEEEfNS9_4plusIvEEfEEDaPvRmT3_T4_T5_mT6_P12ihipStream_tbENKUlT_T0_E_clISt17integral_constantIbLb0EESW_EEDaSR_SS_EUlSR_E0_NS1_11comp_targetILNS1_3genE10ELNS1_11target_archE1201ELNS1_3gpuE5ELNS1_3repE0EEENS1_30default_config_static_selectorELNS0_4arch9wavefront6targetE1EEEvT1_
		.amdhsa_group_segment_fixed_size 0
		.amdhsa_private_segment_fixed_size 0
		.amdhsa_kernarg_size 32
		.amdhsa_user_sgpr_count 6
		.amdhsa_user_sgpr_private_segment_buffer 1
		.amdhsa_user_sgpr_dispatch_ptr 0
		.amdhsa_user_sgpr_queue_ptr 0
		.amdhsa_user_sgpr_kernarg_segment_ptr 1
		.amdhsa_user_sgpr_dispatch_id 0
		.amdhsa_user_sgpr_flat_scratch_init 0
		.amdhsa_user_sgpr_kernarg_preload_length 0
		.amdhsa_user_sgpr_kernarg_preload_offset 0
		.amdhsa_user_sgpr_private_segment_size 0
		.amdhsa_uses_dynamic_stack 0
		.amdhsa_system_sgpr_private_segment_wavefront_offset 0
		.amdhsa_system_sgpr_workgroup_id_x 1
		.amdhsa_system_sgpr_workgroup_id_y 0
		.amdhsa_system_sgpr_workgroup_id_z 0
		.amdhsa_system_sgpr_workgroup_info 0
		.amdhsa_system_vgpr_workitem_id 0
		.amdhsa_next_free_vgpr 1
		.amdhsa_next_free_sgpr 0
		.amdhsa_accum_offset 4
		.amdhsa_reserve_vcc 0
		.amdhsa_reserve_flat_scratch 0
		.amdhsa_float_round_mode_32 0
		.amdhsa_float_round_mode_16_64 0
		.amdhsa_float_denorm_mode_32 3
		.amdhsa_float_denorm_mode_16_64 3
		.amdhsa_dx10_clamp 1
		.amdhsa_ieee_mode 1
		.amdhsa_fp16_overflow 0
		.amdhsa_tg_split 0
		.amdhsa_exception_fp_ieee_invalid_op 0
		.amdhsa_exception_fp_denorm_src 0
		.amdhsa_exception_fp_ieee_div_zero 0
		.amdhsa_exception_fp_ieee_overflow 0
		.amdhsa_exception_fp_ieee_underflow 0
		.amdhsa_exception_fp_ieee_inexact 0
		.amdhsa_exception_int_div_zero 0
	.end_amdhsa_kernel
	.section	.text._ZN7rocprim17ROCPRIM_400000_NS6detail17trampoline_kernelINS0_14default_configENS1_20scan_config_selectorIfEEZZNS1_9scan_implILNS1_25lookback_scan_determinismE0ELb1ELb1ES3_N6thrust23THRUST_200600_302600_NS6detail15normal_iteratorINS9_10device_ptrIjEEEENSB_INSC_IiEEEEfNS9_4plusIvEEfEEDaPvRmT3_T4_T5_mT6_P12ihipStream_tbENKUlT_T0_E_clISt17integral_constantIbLb0EESW_EEDaSR_SS_EUlSR_E0_NS1_11comp_targetILNS1_3genE10ELNS1_11target_archE1201ELNS1_3gpuE5ELNS1_3repE0EEENS1_30default_config_static_selectorELNS0_4arch9wavefront6targetE1EEEvT1_,"axG",@progbits,_ZN7rocprim17ROCPRIM_400000_NS6detail17trampoline_kernelINS0_14default_configENS1_20scan_config_selectorIfEEZZNS1_9scan_implILNS1_25lookback_scan_determinismE0ELb1ELb1ES3_N6thrust23THRUST_200600_302600_NS6detail15normal_iteratorINS9_10device_ptrIjEEEENSB_INSC_IiEEEEfNS9_4plusIvEEfEEDaPvRmT3_T4_T5_mT6_P12ihipStream_tbENKUlT_T0_E_clISt17integral_constantIbLb0EESW_EEDaSR_SS_EUlSR_E0_NS1_11comp_targetILNS1_3genE10ELNS1_11target_archE1201ELNS1_3gpuE5ELNS1_3repE0EEENS1_30default_config_static_selectorELNS0_4arch9wavefront6targetE1EEEvT1_,comdat
.Lfunc_end6318:
	.size	_ZN7rocprim17ROCPRIM_400000_NS6detail17trampoline_kernelINS0_14default_configENS1_20scan_config_selectorIfEEZZNS1_9scan_implILNS1_25lookback_scan_determinismE0ELb1ELb1ES3_N6thrust23THRUST_200600_302600_NS6detail15normal_iteratorINS9_10device_ptrIjEEEENSB_INSC_IiEEEEfNS9_4plusIvEEfEEDaPvRmT3_T4_T5_mT6_P12ihipStream_tbENKUlT_T0_E_clISt17integral_constantIbLb0EESW_EEDaSR_SS_EUlSR_E0_NS1_11comp_targetILNS1_3genE10ELNS1_11target_archE1201ELNS1_3gpuE5ELNS1_3repE0EEENS1_30default_config_static_selectorELNS0_4arch9wavefront6targetE1EEEvT1_, .Lfunc_end6318-_ZN7rocprim17ROCPRIM_400000_NS6detail17trampoline_kernelINS0_14default_configENS1_20scan_config_selectorIfEEZZNS1_9scan_implILNS1_25lookback_scan_determinismE0ELb1ELb1ES3_N6thrust23THRUST_200600_302600_NS6detail15normal_iteratorINS9_10device_ptrIjEEEENSB_INSC_IiEEEEfNS9_4plusIvEEfEEDaPvRmT3_T4_T5_mT6_P12ihipStream_tbENKUlT_T0_E_clISt17integral_constantIbLb0EESW_EEDaSR_SS_EUlSR_E0_NS1_11comp_targetILNS1_3genE10ELNS1_11target_archE1201ELNS1_3gpuE5ELNS1_3repE0EEENS1_30default_config_static_selectorELNS0_4arch9wavefront6targetE1EEEvT1_
                                        ; -- End function
	.section	.AMDGPU.csdata,"",@progbits
; Kernel info:
; codeLenInByte = 0
; NumSgprs: 4
; NumVgprs: 0
; NumAgprs: 0
; TotalNumVgprs: 0
; ScratchSize: 0
; MemoryBound: 0
; FloatMode: 240
; IeeeMode: 1
; LDSByteSize: 0 bytes/workgroup (compile time only)
; SGPRBlocks: 0
; VGPRBlocks: 0
; NumSGPRsForWavesPerEU: 4
; NumVGPRsForWavesPerEU: 1
; AccumOffset: 4
; Occupancy: 8
; WaveLimiterHint : 0
; COMPUTE_PGM_RSRC2:SCRATCH_EN: 0
; COMPUTE_PGM_RSRC2:USER_SGPR: 6
; COMPUTE_PGM_RSRC2:TRAP_HANDLER: 0
; COMPUTE_PGM_RSRC2:TGID_X_EN: 1
; COMPUTE_PGM_RSRC2:TGID_Y_EN: 0
; COMPUTE_PGM_RSRC2:TGID_Z_EN: 0
; COMPUTE_PGM_RSRC2:TIDIG_COMP_CNT: 0
; COMPUTE_PGM_RSRC3_GFX90A:ACCUM_OFFSET: 0
; COMPUTE_PGM_RSRC3_GFX90A:TG_SPLIT: 0
	.section	.text._ZN7rocprim17ROCPRIM_400000_NS6detail17trampoline_kernelINS0_14default_configENS1_20scan_config_selectorIfEEZZNS1_9scan_implILNS1_25lookback_scan_determinismE0ELb1ELb1ES3_N6thrust23THRUST_200600_302600_NS6detail15normal_iteratorINS9_10device_ptrIjEEEENSB_INSC_IiEEEEfNS9_4plusIvEEfEEDaPvRmT3_T4_T5_mT6_P12ihipStream_tbENKUlT_T0_E_clISt17integral_constantIbLb0EESW_EEDaSR_SS_EUlSR_E0_NS1_11comp_targetILNS1_3genE10ELNS1_11target_archE1200ELNS1_3gpuE4ELNS1_3repE0EEENS1_30default_config_static_selectorELNS0_4arch9wavefront6targetE1EEEvT1_,"axG",@progbits,_ZN7rocprim17ROCPRIM_400000_NS6detail17trampoline_kernelINS0_14default_configENS1_20scan_config_selectorIfEEZZNS1_9scan_implILNS1_25lookback_scan_determinismE0ELb1ELb1ES3_N6thrust23THRUST_200600_302600_NS6detail15normal_iteratorINS9_10device_ptrIjEEEENSB_INSC_IiEEEEfNS9_4plusIvEEfEEDaPvRmT3_T4_T5_mT6_P12ihipStream_tbENKUlT_T0_E_clISt17integral_constantIbLb0EESW_EEDaSR_SS_EUlSR_E0_NS1_11comp_targetILNS1_3genE10ELNS1_11target_archE1200ELNS1_3gpuE4ELNS1_3repE0EEENS1_30default_config_static_selectorELNS0_4arch9wavefront6targetE1EEEvT1_,comdat
	.protected	_ZN7rocprim17ROCPRIM_400000_NS6detail17trampoline_kernelINS0_14default_configENS1_20scan_config_selectorIfEEZZNS1_9scan_implILNS1_25lookback_scan_determinismE0ELb1ELb1ES3_N6thrust23THRUST_200600_302600_NS6detail15normal_iteratorINS9_10device_ptrIjEEEENSB_INSC_IiEEEEfNS9_4plusIvEEfEEDaPvRmT3_T4_T5_mT6_P12ihipStream_tbENKUlT_T0_E_clISt17integral_constantIbLb0EESW_EEDaSR_SS_EUlSR_E0_NS1_11comp_targetILNS1_3genE10ELNS1_11target_archE1200ELNS1_3gpuE4ELNS1_3repE0EEENS1_30default_config_static_selectorELNS0_4arch9wavefront6targetE1EEEvT1_ ; -- Begin function _ZN7rocprim17ROCPRIM_400000_NS6detail17trampoline_kernelINS0_14default_configENS1_20scan_config_selectorIfEEZZNS1_9scan_implILNS1_25lookback_scan_determinismE0ELb1ELb1ES3_N6thrust23THRUST_200600_302600_NS6detail15normal_iteratorINS9_10device_ptrIjEEEENSB_INSC_IiEEEEfNS9_4plusIvEEfEEDaPvRmT3_T4_T5_mT6_P12ihipStream_tbENKUlT_T0_E_clISt17integral_constantIbLb0EESW_EEDaSR_SS_EUlSR_E0_NS1_11comp_targetILNS1_3genE10ELNS1_11target_archE1200ELNS1_3gpuE4ELNS1_3repE0EEENS1_30default_config_static_selectorELNS0_4arch9wavefront6targetE1EEEvT1_
	.globl	_ZN7rocprim17ROCPRIM_400000_NS6detail17trampoline_kernelINS0_14default_configENS1_20scan_config_selectorIfEEZZNS1_9scan_implILNS1_25lookback_scan_determinismE0ELb1ELb1ES3_N6thrust23THRUST_200600_302600_NS6detail15normal_iteratorINS9_10device_ptrIjEEEENSB_INSC_IiEEEEfNS9_4plusIvEEfEEDaPvRmT3_T4_T5_mT6_P12ihipStream_tbENKUlT_T0_E_clISt17integral_constantIbLb0EESW_EEDaSR_SS_EUlSR_E0_NS1_11comp_targetILNS1_3genE10ELNS1_11target_archE1200ELNS1_3gpuE4ELNS1_3repE0EEENS1_30default_config_static_selectorELNS0_4arch9wavefront6targetE1EEEvT1_
	.p2align	8
	.type	_ZN7rocprim17ROCPRIM_400000_NS6detail17trampoline_kernelINS0_14default_configENS1_20scan_config_selectorIfEEZZNS1_9scan_implILNS1_25lookback_scan_determinismE0ELb1ELb1ES3_N6thrust23THRUST_200600_302600_NS6detail15normal_iteratorINS9_10device_ptrIjEEEENSB_INSC_IiEEEEfNS9_4plusIvEEfEEDaPvRmT3_T4_T5_mT6_P12ihipStream_tbENKUlT_T0_E_clISt17integral_constantIbLb0EESW_EEDaSR_SS_EUlSR_E0_NS1_11comp_targetILNS1_3genE10ELNS1_11target_archE1200ELNS1_3gpuE4ELNS1_3repE0EEENS1_30default_config_static_selectorELNS0_4arch9wavefront6targetE1EEEvT1_,@function
_ZN7rocprim17ROCPRIM_400000_NS6detail17trampoline_kernelINS0_14default_configENS1_20scan_config_selectorIfEEZZNS1_9scan_implILNS1_25lookback_scan_determinismE0ELb1ELb1ES3_N6thrust23THRUST_200600_302600_NS6detail15normal_iteratorINS9_10device_ptrIjEEEENSB_INSC_IiEEEEfNS9_4plusIvEEfEEDaPvRmT3_T4_T5_mT6_P12ihipStream_tbENKUlT_T0_E_clISt17integral_constantIbLb0EESW_EEDaSR_SS_EUlSR_E0_NS1_11comp_targetILNS1_3genE10ELNS1_11target_archE1200ELNS1_3gpuE4ELNS1_3repE0EEENS1_30default_config_static_selectorELNS0_4arch9wavefront6targetE1EEEvT1_: ; @_ZN7rocprim17ROCPRIM_400000_NS6detail17trampoline_kernelINS0_14default_configENS1_20scan_config_selectorIfEEZZNS1_9scan_implILNS1_25lookback_scan_determinismE0ELb1ELb1ES3_N6thrust23THRUST_200600_302600_NS6detail15normal_iteratorINS9_10device_ptrIjEEEENSB_INSC_IiEEEEfNS9_4plusIvEEfEEDaPvRmT3_T4_T5_mT6_P12ihipStream_tbENKUlT_T0_E_clISt17integral_constantIbLb0EESW_EEDaSR_SS_EUlSR_E0_NS1_11comp_targetILNS1_3genE10ELNS1_11target_archE1200ELNS1_3gpuE4ELNS1_3repE0EEENS1_30default_config_static_selectorELNS0_4arch9wavefront6targetE1EEEvT1_
; %bb.0:
	.section	.rodata,"a",@progbits
	.p2align	6, 0x0
	.amdhsa_kernel _ZN7rocprim17ROCPRIM_400000_NS6detail17trampoline_kernelINS0_14default_configENS1_20scan_config_selectorIfEEZZNS1_9scan_implILNS1_25lookback_scan_determinismE0ELb1ELb1ES3_N6thrust23THRUST_200600_302600_NS6detail15normal_iteratorINS9_10device_ptrIjEEEENSB_INSC_IiEEEEfNS9_4plusIvEEfEEDaPvRmT3_T4_T5_mT6_P12ihipStream_tbENKUlT_T0_E_clISt17integral_constantIbLb0EESW_EEDaSR_SS_EUlSR_E0_NS1_11comp_targetILNS1_3genE10ELNS1_11target_archE1200ELNS1_3gpuE4ELNS1_3repE0EEENS1_30default_config_static_selectorELNS0_4arch9wavefront6targetE1EEEvT1_
		.amdhsa_group_segment_fixed_size 0
		.amdhsa_private_segment_fixed_size 0
		.amdhsa_kernarg_size 32
		.amdhsa_user_sgpr_count 6
		.amdhsa_user_sgpr_private_segment_buffer 1
		.amdhsa_user_sgpr_dispatch_ptr 0
		.amdhsa_user_sgpr_queue_ptr 0
		.amdhsa_user_sgpr_kernarg_segment_ptr 1
		.amdhsa_user_sgpr_dispatch_id 0
		.amdhsa_user_sgpr_flat_scratch_init 0
		.amdhsa_user_sgpr_kernarg_preload_length 0
		.amdhsa_user_sgpr_kernarg_preload_offset 0
		.amdhsa_user_sgpr_private_segment_size 0
		.amdhsa_uses_dynamic_stack 0
		.amdhsa_system_sgpr_private_segment_wavefront_offset 0
		.amdhsa_system_sgpr_workgroup_id_x 1
		.amdhsa_system_sgpr_workgroup_id_y 0
		.amdhsa_system_sgpr_workgroup_id_z 0
		.amdhsa_system_sgpr_workgroup_info 0
		.amdhsa_system_vgpr_workitem_id 0
		.amdhsa_next_free_vgpr 1
		.amdhsa_next_free_sgpr 0
		.amdhsa_accum_offset 4
		.amdhsa_reserve_vcc 0
		.amdhsa_reserve_flat_scratch 0
		.amdhsa_float_round_mode_32 0
		.amdhsa_float_round_mode_16_64 0
		.amdhsa_float_denorm_mode_32 3
		.amdhsa_float_denorm_mode_16_64 3
		.amdhsa_dx10_clamp 1
		.amdhsa_ieee_mode 1
		.amdhsa_fp16_overflow 0
		.amdhsa_tg_split 0
		.amdhsa_exception_fp_ieee_invalid_op 0
		.amdhsa_exception_fp_denorm_src 0
		.amdhsa_exception_fp_ieee_div_zero 0
		.amdhsa_exception_fp_ieee_overflow 0
		.amdhsa_exception_fp_ieee_underflow 0
		.amdhsa_exception_fp_ieee_inexact 0
		.amdhsa_exception_int_div_zero 0
	.end_amdhsa_kernel
	.section	.text._ZN7rocprim17ROCPRIM_400000_NS6detail17trampoline_kernelINS0_14default_configENS1_20scan_config_selectorIfEEZZNS1_9scan_implILNS1_25lookback_scan_determinismE0ELb1ELb1ES3_N6thrust23THRUST_200600_302600_NS6detail15normal_iteratorINS9_10device_ptrIjEEEENSB_INSC_IiEEEEfNS9_4plusIvEEfEEDaPvRmT3_T4_T5_mT6_P12ihipStream_tbENKUlT_T0_E_clISt17integral_constantIbLb0EESW_EEDaSR_SS_EUlSR_E0_NS1_11comp_targetILNS1_3genE10ELNS1_11target_archE1200ELNS1_3gpuE4ELNS1_3repE0EEENS1_30default_config_static_selectorELNS0_4arch9wavefront6targetE1EEEvT1_,"axG",@progbits,_ZN7rocprim17ROCPRIM_400000_NS6detail17trampoline_kernelINS0_14default_configENS1_20scan_config_selectorIfEEZZNS1_9scan_implILNS1_25lookback_scan_determinismE0ELb1ELb1ES3_N6thrust23THRUST_200600_302600_NS6detail15normal_iteratorINS9_10device_ptrIjEEEENSB_INSC_IiEEEEfNS9_4plusIvEEfEEDaPvRmT3_T4_T5_mT6_P12ihipStream_tbENKUlT_T0_E_clISt17integral_constantIbLb0EESW_EEDaSR_SS_EUlSR_E0_NS1_11comp_targetILNS1_3genE10ELNS1_11target_archE1200ELNS1_3gpuE4ELNS1_3repE0EEENS1_30default_config_static_selectorELNS0_4arch9wavefront6targetE1EEEvT1_,comdat
.Lfunc_end6319:
	.size	_ZN7rocprim17ROCPRIM_400000_NS6detail17trampoline_kernelINS0_14default_configENS1_20scan_config_selectorIfEEZZNS1_9scan_implILNS1_25lookback_scan_determinismE0ELb1ELb1ES3_N6thrust23THRUST_200600_302600_NS6detail15normal_iteratorINS9_10device_ptrIjEEEENSB_INSC_IiEEEEfNS9_4plusIvEEfEEDaPvRmT3_T4_T5_mT6_P12ihipStream_tbENKUlT_T0_E_clISt17integral_constantIbLb0EESW_EEDaSR_SS_EUlSR_E0_NS1_11comp_targetILNS1_3genE10ELNS1_11target_archE1200ELNS1_3gpuE4ELNS1_3repE0EEENS1_30default_config_static_selectorELNS0_4arch9wavefront6targetE1EEEvT1_, .Lfunc_end6319-_ZN7rocprim17ROCPRIM_400000_NS6detail17trampoline_kernelINS0_14default_configENS1_20scan_config_selectorIfEEZZNS1_9scan_implILNS1_25lookback_scan_determinismE0ELb1ELb1ES3_N6thrust23THRUST_200600_302600_NS6detail15normal_iteratorINS9_10device_ptrIjEEEENSB_INSC_IiEEEEfNS9_4plusIvEEfEEDaPvRmT3_T4_T5_mT6_P12ihipStream_tbENKUlT_T0_E_clISt17integral_constantIbLb0EESW_EEDaSR_SS_EUlSR_E0_NS1_11comp_targetILNS1_3genE10ELNS1_11target_archE1200ELNS1_3gpuE4ELNS1_3repE0EEENS1_30default_config_static_selectorELNS0_4arch9wavefront6targetE1EEEvT1_
                                        ; -- End function
	.section	.AMDGPU.csdata,"",@progbits
; Kernel info:
; codeLenInByte = 0
; NumSgprs: 4
; NumVgprs: 0
; NumAgprs: 0
; TotalNumVgprs: 0
; ScratchSize: 0
; MemoryBound: 0
; FloatMode: 240
; IeeeMode: 1
; LDSByteSize: 0 bytes/workgroup (compile time only)
; SGPRBlocks: 0
; VGPRBlocks: 0
; NumSGPRsForWavesPerEU: 4
; NumVGPRsForWavesPerEU: 1
; AccumOffset: 4
; Occupancy: 8
; WaveLimiterHint : 0
; COMPUTE_PGM_RSRC2:SCRATCH_EN: 0
; COMPUTE_PGM_RSRC2:USER_SGPR: 6
; COMPUTE_PGM_RSRC2:TRAP_HANDLER: 0
; COMPUTE_PGM_RSRC2:TGID_X_EN: 1
; COMPUTE_PGM_RSRC2:TGID_Y_EN: 0
; COMPUTE_PGM_RSRC2:TGID_Z_EN: 0
; COMPUTE_PGM_RSRC2:TIDIG_COMP_CNT: 0
; COMPUTE_PGM_RSRC3_GFX90A:ACCUM_OFFSET: 0
; COMPUTE_PGM_RSRC3_GFX90A:TG_SPLIT: 0
	.section	.text._ZN7rocprim17ROCPRIM_400000_NS6detail17trampoline_kernelINS0_14default_configENS1_20scan_config_selectorIfEEZZNS1_9scan_implILNS1_25lookback_scan_determinismE0ELb1ELb1ES3_N6thrust23THRUST_200600_302600_NS6detail15normal_iteratorINS9_10device_ptrIjEEEENSB_INSC_IiEEEEfNS9_4plusIvEEfEEDaPvRmT3_T4_T5_mT6_P12ihipStream_tbENKUlT_T0_E_clISt17integral_constantIbLb0EESW_EEDaSR_SS_EUlSR_E0_NS1_11comp_targetILNS1_3genE9ELNS1_11target_archE1100ELNS1_3gpuE3ELNS1_3repE0EEENS1_30default_config_static_selectorELNS0_4arch9wavefront6targetE1EEEvT1_,"axG",@progbits,_ZN7rocprim17ROCPRIM_400000_NS6detail17trampoline_kernelINS0_14default_configENS1_20scan_config_selectorIfEEZZNS1_9scan_implILNS1_25lookback_scan_determinismE0ELb1ELb1ES3_N6thrust23THRUST_200600_302600_NS6detail15normal_iteratorINS9_10device_ptrIjEEEENSB_INSC_IiEEEEfNS9_4plusIvEEfEEDaPvRmT3_T4_T5_mT6_P12ihipStream_tbENKUlT_T0_E_clISt17integral_constantIbLb0EESW_EEDaSR_SS_EUlSR_E0_NS1_11comp_targetILNS1_3genE9ELNS1_11target_archE1100ELNS1_3gpuE3ELNS1_3repE0EEENS1_30default_config_static_selectorELNS0_4arch9wavefront6targetE1EEEvT1_,comdat
	.protected	_ZN7rocprim17ROCPRIM_400000_NS6detail17trampoline_kernelINS0_14default_configENS1_20scan_config_selectorIfEEZZNS1_9scan_implILNS1_25lookback_scan_determinismE0ELb1ELb1ES3_N6thrust23THRUST_200600_302600_NS6detail15normal_iteratorINS9_10device_ptrIjEEEENSB_INSC_IiEEEEfNS9_4plusIvEEfEEDaPvRmT3_T4_T5_mT6_P12ihipStream_tbENKUlT_T0_E_clISt17integral_constantIbLb0EESW_EEDaSR_SS_EUlSR_E0_NS1_11comp_targetILNS1_3genE9ELNS1_11target_archE1100ELNS1_3gpuE3ELNS1_3repE0EEENS1_30default_config_static_selectorELNS0_4arch9wavefront6targetE1EEEvT1_ ; -- Begin function _ZN7rocprim17ROCPRIM_400000_NS6detail17trampoline_kernelINS0_14default_configENS1_20scan_config_selectorIfEEZZNS1_9scan_implILNS1_25lookback_scan_determinismE0ELb1ELb1ES3_N6thrust23THRUST_200600_302600_NS6detail15normal_iteratorINS9_10device_ptrIjEEEENSB_INSC_IiEEEEfNS9_4plusIvEEfEEDaPvRmT3_T4_T5_mT6_P12ihipStream_tbENKUlT_T0_E_clISt17integral_constantIbLb0EESW_EEDaSR_SS_EUlSR_E0_NS1_11comp_targetILNS1_3genE9ELNS1_11target_archE1100ELNS1_3gpuE3ELNS1_3repE0EEENS1_30default_config_static_selectorELNS0_4arch9wavefront6targetE1EEEvT1_
	.globl	_ZN7rocprim17ROCPRIM_400000_NS6detail17trampoline_kernelINS0_14default_configENS1_20scan_config_selectorIfEEZZNS1_9scan_implILNS1_25lookback_scan_determinismE0ELb1ELb1ES3_N6thrust23THRUST_200600_302600_NS6detail15normal_iteratorINS9_10device_ptrIjEEEENSB_INSC_IiEEEEfNS9_4plusIvEEfEEDaPvRmT3_T4_T5_mT6_P12ihipStream_tbENKUlT_T0_E_clISt17integral_constantIbLb0EESW_EEDaSR_SS_EUlSR_E0_NS1_11comp_targetILNS1_3genE9ELNS1_11target_archE1100ELNS1_3gpuE3ELNS1_3repE0EEENS1_30default_config_static_selectorELNS0_4arch9wavefront6targetE1EEEvT1_
	.p2align	8
	.type	_ZN7rocprim17ROCPRIM_400000_NS6detail17trampoline_kernelINS0_14default_configENS1_20scan_config_selectorIfEEZZNS1_9scan_implILNS1_25lookback_scan_determinismE0ELb1ELb1ES3_N6thrust23THRUST_200600_302600_NS6detail15normal_iteratorINS9_10device_ptrIjEEEENSB_INSC_IiEEEEfNS9_4plusIvEEfEEDaPvRmT3_T4_T5_mT6_P12ihipStream_tbENKUlT_T0_E_clISt17integral_constantIbLb0EESW_EEDaSR_SS_EUlSR_E0_NS1_11comp_targetILNS1_3genE9ELNS1_11target_archE1100ELNS1_3gpuE3ELNS1_3repE0EEENS1_30default_config_static_selectorELNS0_4arch9wavefront6targetE1EEEvT1_,@function
_ZN7rocprim17ROCPRIM_400000_NS6detail17trampoline_kernelINS0_14default_configENS1_20scan_config_selectorIfEEZZNS1_9scan_implILNS1_25lookback_scan_determinismE0ELb1ELb1ES3_N6thrust23THRUST_200600_302600_NS6detail15normal_iteratorINS9_10device_ptrIjEEEENSB_INSC_IiEEEEfNS9_4plusIvEEfEEDaPvRmT3_T4_T5_mT6_P12ihipStream_tbENKUlT_T0_E_clISt17integral_constantIbLb0EESW_EEDaSR_SS_EUlSR_E0_NS1_11comp_targetILNS1_3genE9ELNS1_11target_archE1100ELNS1_3gpuE3ELNS1_3repE0EEENS1_30default_config_static_selectorELNS0_4arch9wavefront6targetE1EEEvT1_: ; @_ZN7rocprim17ROCPRIM_400000_NS6detail17trampoline_kernelINS0_14default_configENS1_20scan_config_selectorIfEEZZNS1_9scan_implILNS1_25lookback_scan_determinismE0ELb1ELb1ES3_N6thrust23THRUST_200600_302600_NS6detail15normal_iteratorINS9_10device_ptrIjEEEENSB_INSC_IiEEEEfNS9_4plusIvEEfEEDaPvRmT3_T4_T5_mT6_P12ihipStream_tbENKUlT_T0_E_clISt17integral_constantIbLb0EESW_EEDaSR_SS_EUlSR_E0_NS1_11comp_targetILNS1_3genE9ELNS1_11target_archE1100ELNS1_3gpuE3ELNS1_3repE0EEENS1_30default_config_static_selectorELNS0_4arch9wavefront6targetE1EEEvT1_
; %bb.0:
	.section	.rodata,"a",@progbits
	.p2align	6, 0x0
	.amdhsa_kernel _ZN7rocprim17ROCPRIM_400000_NS6detail17trampoline_kernelINS0_14default_configENS1_20scan_config_selectorIfEEZZNS1_9scan_implILNS1_25lookback_scan_determinismE0ELb1ELb1ES3_N6thrust23THRUST_200600_302600_NS6detail15normal_iteratorINS9_10device_ptrIjEEEENSB_INSC_IiEEEEfNS9_4plusIvEEfEEDaPvRmT3_T4_T5_mT6_P12ihipStream_tbENKUlT_T0_E_clISt17integral_constantIbLb0EESW_EEDaSR_SS_EUlSR_E0_NS1_11comp_targetILNS1_3genE9ELNS1_11target_archE1100ELNS1_3gpuE3ELNS1_3repE0EEENS1_30default_config_static_selectorELNS0_4arch9wavefront6targetE1EEEvT1_
		.amdhsa_group_segment_fixed_size 0
		.amdhsa_private_segment_fixed_size 0
		.amdhsa_kernarg_size 32
		.amdhsa_user_sgpr_count 6
		.amdhsa_user_sgpr_private_segment_buffer 1
		.amdhsa_user_sgpr_dispatch_ptr 0
		.amdhsa_user_sgpr_queue_ptr 0
		.amdhsa_user_sgpr_kernarg_segment_ptr 1
		.amdhsa_user_sgpr_dispatch_id 0
		.amdhsa_user_sgpr_flat_scratch_init 0
		.amdhsa_user_sgpr_kernarg_preload_length 0
		.amdhsa_user_sgpr_kernarg_preload_offset 0
		.amdhsa_user_sgpr_private_segment_size 0
		.amdhsa_uses_dynamic_stack 0
		.amdhsa_system_sgpr_private_segment_wavefront_offset 0
		.amdhsa_system_sgpr_workgroup_id_x 1
		.amdhsa_system_sgpr_workgroup_id_y 0
		.amdhsa_system_sgpr_workgroup_id_z 0
		.amdhsa_system_sgpr_workgroup_info 0
		.amdhsa_system_vgpr_workitem_id 0
		.amdhsa_next_free_vgpr 1
		.amdhsa_next_free_sgpr 0
		.amdhsa_accum_offset 4
		.amdhsa_reserve_vcc 0
		.amdhsa_reserve_flat_scratch 0
		.amdhsa_float_round_mode_32 0
		.amdhsa_float_round_mode_16_64 0
		.amdhsa_float_denorm_mode_32 3
		.amdhsa_float_denorm_mode_16_64 3
		.amdhsa_dx10_clamp 1
		.amdhsa_ieee_mode 1
		.amdhsa_fp16_overflow 0
		.amdhsa_tg_split 0
		.amdhsa_exception_fp_ieee_invalid_op 0
		.amdhsa_exception_fp_denorm_src 0
		.amdhsa_exception_fp_ieee_div_zero 0
		.amdhsa_exception_fp_ieee_overflow 0
		.amdhsa_exception_fp_ieee_underflow 0
		.amdhsa_exception_fp_ieee_inexact 0
		.amdhsa_exception_int_div_zero 0
	.end_amdhsa_kernel
	.section	.text._ZN7rocprim17ROCPRIM_400000_NS6detail17trampoline_kernelINS0_14default_configENS1_20scan_config_selectorIfEEZZNS1_9scan_implILNS1_25lookback_scan_determinismE0ELb1ELb1ES3_N6thrust23THRUST_200600_302600_NS6detail15normal_iteratorINS9_10device_ptrIjEEEENSB_INSC_IiEEEEfNS9_4plusIvEEfEEDaPvRmT3_T4_T5_mT6_P12ihipStream_tbENKUlT_T0_E_clISt17integral_constantIbLb0EESW_EEDaSR_SS_EUlSR_E0_NS1_11comp_targetILNS1_3genE9ELNS1_11target_archE1100ELNS1_3gpuE3ELNS1_3repE0EEENS1_30default_config_static_selectorELNS0_4arch9wavefront6targetE1EEEvT1_,"axG",@progbits,_ZN7rocprim17ROCPRIM_400000_NS6detail17trampoline_kernelINS0_14default_configENS1_20scan_config_selectorIfEEZZNS1_9scan_implILNS1_25lookback_scan_determinismE0ELb1ELb1ES3_N6thrust23THRUST_200600_302600_NS6detail15normal_iteratorINS9_10device_ptrIjEEEENSB_INSC_IiEEEEfNS9_4plusIvEEfEEDaPvRmT3_T4_T5_mT6_P12ihipStream_tbENKUlT_T0_E_clISt17integral_constantIbLb0EESW_EEDaSR_SS_EUlSR_E0_NS1_11comp_targetILNS1_3genE9ELNS1_11target_archE1100ELNS1_3gpuE3ELNS1_3repE0EEENS1_30default_config_static_selectorELNS0_4arch9wavefront6targetE1EEEvT1_,comdat
.Lfunc_end6320:
	.size	_ZN7rocprim17ROCPRIM_400000_NS6detail17trampoline_kernelINS0_14default_configENS1_20scan_config_selectorIfEEZZNS1_9scan_implILNS1_25lookback_scan_determinismE0ELb1ELb1ES3_N6thrust23THRUST_200600_302600_NS6detail15normal_iteratorINS9_10device_ptrIjEEEENSB_INSC_IiEEEEfNS9_4plusIvEEfEEDaPvRmT3_T4_T5_mT6_P12ihipStream_tbENKUlT_T0_E_clISt17integral_constantIbLb0EESW_EEDaSR_SS_EUlSR_E0_NS1_11comp_targetILNS1_3genE9ELNS1_11target_archE1100ELNS1_3gpuE3ELNS1_3repE0EEENS1_30default_config_static_selectorELNS0_4arch9wavefront6targetE1EEEvT1_, .Lfunc_end6320-_ZN7rocprim17ROCPRIM_400000_NS6detail17trampoline_kernelINS0_14default_configENS1_20scan_config_selectorIfEEZZNS1_9scan_implILNS1_25lookback_scan_determinismE0ELb1ELb1ES3_N6thrust23THRUST_200600_302600_NS6detail15normal_iteratorINS9_10device_ptrIjEEEENSB_INSC_IiEEEEfNS9_4plusIvEEfEEDaPvRmT3_T4_T5_mT6_P12ihipStream_tbENKUlT_T0_E_clISt17integral_constantIbLb0EESW_EEDaSR_SS_EUlSR_E0_NS1_11comp_targetILNS1_3genE9ELNS1_11target_archE1100ELNS1_3gpuE3ELNS1_3repE0EEENS1_30default_config_static_selectorELNS0_4arch9wavefront6targetE1EEEvT1_
                                        ; -- End function
	.section	.AMDGPU.csdata,"",@progbits
; Kernel info:
; codeLenInByte = 0
; NumSgprs: 4
; NumVgprs: 0
; NumAgprs: 0
; TotalNumVgprs: 0
; ScratchSize: 0
; MemoryBound: 0
; FloatMode: 240
; IeeeMode: 1
; LDSByteSize: 0 bytes/workgroup (compile time only)
; SGPRBlocks: 0
; VGPRBlocks: 0
; NumSGPRsForWavesPerEU: 4
; NumVGPRsForWavesPerEU: 1
; AccumOffset: 4
; Occupancy: 8
; WaveLimiterHint : 0
; COMPUTE_PGM_RSRC2:SCRATCH_EN: 0
; COMPUTE_PGM_RSRC2:USER_SGPR: 6
; COMPUTE_PGM_RSRC2:TRAP_HANDLER: 0
; COMPUTE_PGM_RSRC2:TGID_X_EN: 1
; COMPUTE_PGM_RSRC2:TGID_Y_EN: 0
; COMPUTE_PGM_RSRC2:TGID_Z_EN: 0
; COMPUTE_PGM_RSRC2:TIDIG_COMP_CNT: 0
; COMPUTE_PGM_RSRC3_GFX90A:ACCUM_OFFSET: 0
; COMPUTE_PGM_RSRC3_GFX90A:TG_SPLIT: 0
	.section	.text._ZN7rocprim17ROCPRIM_400000_NS6detail17trampoline_kernelINS0_14default_configENS1_20scan_config_selectorIfEEZZNS1_9scan_implILNS1_25lookback_scan_determinismE0ELb1ELb1ES3_N6thrust23THRUST_200600_302600_NS6detail15normal_iteratorINS9_10device_ptrIjEEEENSB_INSC_IiEEEEfNS9_4plusIvEEfEEDaPvRmT3_T4_T5_mT6_P12ihipStream_tbENKUlT_T0_E_clISt17integral_constantIbLb0EESW_EEDaSR_SS_EUlSR_E0_NS1_11comp_targetILNS1_3genE8ELNS1_11target_archE1030ELNS1_3gpuE2ELNS1_3repE0EEENS1_30default_config_static_selectorELNS0_4arch9wavefront6targetE1EEEvT1_,"axG",@progbits,_ZN7rocprim17ROCPRIM_400000_NS6detail17trampoline_kernelINS0_14default_configENS1_20scan_config_selectorIfEEZZNS1_9scan_implILNS1_25lookback_scan_determinismE0ELb1ELb1ES3_N6thrust23THRUST_200600_302600_NS6detail15normal_iteratorINS9_10device_ptrIjEEEENSB_INSC_IiEEEEfNS9_4plusIvEEfEEDaPvRmT3_T4_T5_mT6_P12ihipStream_tbENKUlT_T0_E_clISt17integral_constantIbLb0EESW_EEDaSR_SS_EUlSR_E0_NS1_11comp_targetILNS1_3genE8ELNS1_11target_archE1030ELNS1_3gpuE2ELNS1_3repE0EEENS1_30default_config_static_selectorELNS0_4arch9wavefront6targetE1EEEvT1_,comdat
	.protected	_ZN7rocprim17ROCPRIM_400000_NS6detail17trampoline_kernelINS0_14default_configENS1_20scan_config_selectorIfEEZZNS1_9scan_implILNS1_25lookback_scan_determinismE0ELb1ELb1ES3_N6thrust23THRUST_200600_302600_NS6detail15normal_iteratorINS9_10device_ptrIjEEEENSB_INSC_IiEEEEfNS9_4plusIvEEfEEDaPvRmT3_T4_T5_mT6_P12ihipStream_tbENKUlT_T0_E_clISt17integral_constantIbLb0EESW_EEDaSR_SS_EUlSR_E0_NS1_11comp_targetILNS1_3genE8ELNS1_11target_archE1030ELNS1_3gpuE2ELNS1_3repE0EEENS1_30default_config_static_selectorELNS0_4arch9wavefront6targetE1EEEvT1_ ; -- Begin function _ZN7rocprim17ROCPRIM_400000_NS6detail17trampoline_kernelINS0_14default_configENS1_20scan_config_selectorIfEEZZNS1_9scan_implILNS1_25lookback_scan_determinismE0ELb1ELb1ES3_N6thrust23THRUST_200600_302600_NS6detail15normal_iteratorINS9_10device_ptrIjEEEENSB_INSC_IiEEEEfNS9_4plusIvEEfEEDaPvRmT3_T4_T5_mT6_P12ihipStream_tbENKUlT_T0_E_clISt17integral_constantIbLb0EESW_EEDaSR_SS_EUlSR_E0_NS1_11comp_targetILNS1_3genE8ELNS1_11target_archE1030ELNS1_3gpuE2ELNS1_3repE0EEENS1_30default_config_static_selectorELNS0_4arch9wavefront6targetE1EEEvT1_
	.globl	_ZN7rocprim17ROCPRIM_400000_NS6detail17trampoline_kernelINS0_14default_configENS1_20scan_config_selectorIfEEZZNS1_9scan_implILNS1_25lookback_scan_determinismE0ELb1ELb1ES3_N6thrust23THRUST_200600_302600_NS6detail15normal_iteratorINS9_10device_ptrIjEEEENSB_INSC_IiEEEEfNS9_4plusIvEEfEEDaPvRmT3_T4_T5_mT6_P12ihipStream_tbENKUlT_T0_E_clISt17integral_constantIbLb0EESW_EEDaSR_SS_EUlSR_E0_NS1_11comp_targetILNS1_3genE8ELNS1_11target_archE1030ELNS1_3gpuE2ELNS1_3repE0EEENS1_30default_config_static_selectorELNS0_4arch9wavefront6targetE1EEEvT1_
	.p2align	8
	.type	_ZN7rocprim17ROCPRIM_400000_NS6detail17trampoline_kernelINS0_14default_configENS1_20scan_config_selectorIfEEZZNS1_9scan_implILNS1_25lookback_scan_determinismE0ELb1ELb1ES3_N6thrust23THRUST_200600_302600_NS6detail15normal_iteratorINS9_10device_ptrIjEEEENSB_INSC_IiEEEEfNS9_4plusIvEEfEEDaPvRmT3_T4_T5_mT6_P12ihipStream_tbENKUlT_T0_E_clISt17integral_constantIbLb0EESW_EEDaSR_SS_EUlSR_E0_NS1_11comp_targetILNS1_3genE8ELNS1_11target_archE1030ELNS1_3gpuE2ELNS1_3repE0EEENS1_30default_config_static_selectorELNS0_4arch9wavefront6targetE1EEEvT1_,@function
_ZN7rocprim17ROCPRIM_400000_NS6detail17trampoline_kernelINS0_14default_configENS1_20scan_config_selectorIfEEZZNS1_9scan_implILNS1_25lookback_scan_determinismE0ELb1ELb1ES3_N6thrust23THRUST_200600_302600_NS6detail15normal_iteratorINS9_10device_ptrIjEEEENSB_INSC_IiEEEEfNS9_4plusIvEEfEEDaPvRmT3_T4_T5_mT6_P12ihipStream_tbENKUlT_T0_E_clISt17integral_constantIbLb0EESW_EEDaSR_SS_EUlSR_E0_NS1_11comp_targetILNS1_3genE8ELNS1_11target_archE1030ELNS1_3gpuE2ELNS1_3repE0EEENS1_30default_config_static_selectorELNS0_4arch9wavefront6targetE1EEEvT1_: ; @_ZN7rocprim17ROCPRIM_400000_NS6detail17trampoline_kernelINS0_14default_configENS1_20scan_config_selectorIfEEZZNS1_9scan_implILNS1_25lookback_scan_determinismE0ELb1ELb1ES3_N6thrust23THRUST_200600_302600_NS6detail15normal_iteratorINS9_10device_ptrIjEEEENSB_INSC_IiEEEEfNS9_4plusIvEEfEEDaPvRmT3_T4_T5_mT6_P12ihipStream_tbENKUlT_T0_E_clISt17integral_constantIbLb0EESW_EEDaSR_SS_EUlSR_E0_NS1_11comp_targetILNS1_3genE8ELNS1_11target_archE1030ELNS1_3gpuE2ELNS1_3repE0EEENS1_30default_config_static_selectorELNS0_4arch9wavefront6targetE1EEEvT1_
; %bb.0:
	.section	.rodata,"a",@progbits
	.p2align	6, 0x0
	.amdhsa_kernel _ZN7rocprim17ROCPRIM_400000_NS6detail17trampoline_kernelINS0_14default_configENS1_20scan_config_selectorIfEEZZNS1_9scan_implILNS1_25lookback_scan_determinismE0ELb1ELb1ES3_N6thrust23THRUST_200600_302600_NS6detail15normal_iteratorINS9_10device_ptrIjEEEENSB_INSC_IiEEEEfNS9_4plusIvEEfEEDaPvRmT3_T4_T5_mT6_P12ihipStream_tbENKUlT_T0_E_clISt17integral_constantIbLb0EESW_EEDaSR_SS_EUlSR_E0_NS1_11comp_targetILNS1_3genE8ELNS1_11target_archE1030ELNS1_3gpuE2ELNS1_3repE0EEENS1_30default_config_static_selectorELNS0_4arch9wavefront6targetE1EEEvT1_
		.amdhsa_group_segment_fixed_size 0
		.amdhsa_private_segment_fixed_size 0
		.amdhsa_kernarg_size 32
		.amdhsa_user_sgpr_count 6
		.amdhsa_user_sgpr_private_segment_buffer 1
		.amdhsa_user_sgpr_dispatch_ptr 0
		.amdhsa_user_sgpr_queue_ptr 0
		.amdhsa_user_sgpr_kernarg_segment_ptr 1
		.amdhsa_user_sgpr_dispatch_id 0
		.amdhsa_user_sgpr_flat_scratch_init 0
		.amdhsa_user_sgpr_kernarg_preload_length 0
		.amdhsa_user_sgpr_kernarg_preload_offset 0
		.amdhsa_user_sgpr_private_segment_size 0
		.amdhsa_uses_dynamic_stack 0
		.amdhsa_system_sgpr_private_segment_wavefront_offset 0
		.amdhsa_system_sgpr_workgroup_id_x 1
		.amdhsa_system_sgpr_workgroup_id_y 0
		.amdhsa_system_sgpr_workgroup_id_z 0
		.amdhsa_system_sgpr_workgroup_info 0
		.amdhsa_system_vgpr_workitem_id 0
		.amdhsa_next_free_vgpr 1
		.amdhsa_next_free_sgpr 0
		.amdhsa_accum_offset 4
		.amdhsa_reserve_vcc 0
		.amdhsa_reserve_flat_scratch 0
		.amdhsa_float_round_mode_32 0
		.amdhsa_float_round_mode_16_64 0
		.amdhsa_float_denorm_mode_32 3
		.amdhsa_float_denorm_mode_16_64 3
		.amdhsa_dx10_clamp 1
		.amdhsa_ieee_mode 1
		.amdhsa_fp16_overflow 0
		.amdhsa_tg_split 0
		.amdhsa_exception_fp_ieee_invalid_op 0
		.amdhsa_exception_fp_denorm_src 0
		.amdhsa_exception_fp_ieee_div_zero 0
		.amdhsa_exception_fp_ieee_overflow 0
		.amdhsa_exception_fp_ieee_underflow 0
		.amdhsa_exception_fp_ieee_inexact 0
		.amdhsa_exception_int_div_zero 0
	.end_amdhsa_kernel
	.section	.text._ZN7rocprim17ROCPRIM_400000_NS6detail17trampoline_kernelINS0_14default_configENS1_20scan_config_selectorIfEEZZNS1_9scan_implILNS1_25lookback_scan_determinismE0ELb1ELb1ES3_N6thrust23THRUST_200600_302600_NS6detail15normal_iteratorINS9_10device_ptrIjEEEENSB_INSC_IiEEEEfNS9_4plusIvEEfEEDaPvRmT3_T4_T5_mT6_P12ihipStream_tbENKUlT_T0_E_clISt17integral_constantIbLb0EESW_EEDaSR_SS_EUlSR_E0_NS1_11comp_targetILNS1_3genE8ELNS1_11target_archE1030ELNS1_3gpuE2ELNS1_3repE0EEENS1_30default_config_static_selectorELNS0_4arch9wavefront6targetE1EEEvT1_,"axG",@progbits,_ZN7rocprim17ROCPRIM_400000_NS6detail17trampoline_kernelINS0_14default_configENS1_20scan_config_selectorIfEEZZNS1_9scan_implILNS1_25lookback_scan_determinismE0ELb1ELb1ES3_N6thrust23THRUST_200600_302600_NS6detail15normal_iteratorINS9_10device_ptrIjEEEENSB_INSC_IiEEEEfNS9_4plusIvEEfEEDaPvRmT3_T4_T5_mT6_P12ihipStream_tbENKUlT_T0_E_clISt17integral_constantIbLb0EESW_EEDaSR_SS_EUlSR_E0_NS1_11comp_targetILNS1_3genE8ELNS1_11target_archE1030ELNS1_3gpuE2ELNS1_3repE0EEENS1_30default_config_static_selectorELNS0_4arch9wavefront6targetE1EEEvT1_,comdat
.Lfunc_end6321:
	.size	_ZN7rocprim17ROCPRIM_400000_NS6detail17trampoline_kernelINS0_14default_configENS1_20scan_config_selectorIfEEZZNS1_9scan_implILNS1_25lookback_scan_determinismE0ELb1ELb1ES3_N6thrust23THRUST_200600_302600_NS6detail15normal_iteratorINS9_10device_ptrIjEEEENSB_INSC_IiEEEEfNS9_4plusIvEEfEEDaPvRmT3_T4_T5_mT6_P12ihipStream_tbENKUlT_T0_E_clISt17integral_constantIbLb0EESW_EEDaSR_SS_EUlSR_E0_NS1_11comp_targetILNS1_3genE8ELNS1_11target_archE1030ELNS1_3gpuE2ELNS1_3repE0EEENS1_30default_config_static_selectorELNS0_4arch9wavefront6targetE1EEEvT1_, .Lfunc_end6321-_ZN7rocprim17ROCPRIM_400000_NS6detail17trampoline_kernelINS0_14default_configENS1_20scan_config_selectorIfEEZZNS1_9scan_implILNS1_25lookback_scan_determinismE0ELb1ELb1ES3_N6thrust23THRUST_200600_302600_NS6detail15normal_iteratorINS9_10device_ptrIjEEEENSB_INSC_IiEEEEfNS9_4plusIvEEfEEDaPvRmT3_T4_T5_mT6_P12ihipStream_tbENKUlT_T0_E_clISt17integral_constantIbLb0EESW_EEDaSR_SS_EUlSR_E0_NS1_11comp_targetILNS1_3genE8ELNS1_11target_archE1030ELNS1_3gpuE2ELNS1_3repE0EEENS1_30default_config_static_selectorELNS0_4arch9wavefront6targetE1EEEvT1_
                                        ; -- End function
	.section	.AMDGPU.csdata,"",@progbits
; Kernel info:
; codeLenInByte = 0
; NumSgprs: 4
; NumVgprs: 0
; NumAgprs: 0
; TotalNumVgprs: 0
; ScratchSize: 0
; MemoryBound: 0
; FloatMode: 240
; IeeeMode: 1
; LDSByteSize: 0 bytes/workgroup (compile time only)
; SGPRBlocks: 0
; VGPRBlocks: 0
; NumSGPRsForWavesPerEU: 4
; NumVGPRsForWavesPerEU: 1
; AccumOffset: 4
; Occupancy: 8
; WaveLimiterHint : 0
; COMPUTE_PGM_RSRC2:SCRATCH_EN: 0
; COMPUTE_PGM_RSRC2:USER_SGPR: 6
; COMPUTE_PGM_RSRC2:TRAP_HANDLER: 0
; COMPUTE_PGM_RSRC2:TGID_X_EN: 1
; COMPUTE_PGM_RSRC2:TGID_Y_EN: 0
; COMPUTE_PGM_RSRC2:TGID_Z_EN: 0
; COMPUTE_PGM_RSRC2:TIDIG_COMP_CNT: 0
; COMPUTE_PGM_RSRC3_GFX90A:ACCUM_OFFSET: 0
; COMPUTE_PGM_RSRC3_GFX90A:TG_SPLIT: 0
	.section	.text._ZN7rocprim17ROCPRIM_400000_NS6detail17trampoline_kernelINS0_14default_configENS1_20scan_config_selectorIfEEZZNS1_9scan_implILNS1_25lookback_scan_determinismE0ELb1ELb1ES3_N6thrust23THRUST_200600_302600_NS6detail15normal_iteratorINS9_10device_ptrIjEEEENSB_INSC_IiEEEEfNS9_4plusIvEEfEEDaPvRmT3_T4_T5_mT6_P12ihipStream_tbENKUlT_T0_E_clISt17integral_constantIbLb1EESW_EEDaSR_SS_EUlSR_E_NS1_11comp_targetILNS1_3genE0ELNS1_11target_archE4294967295ELNS1_3gpuE0ELNS1_3repE0EEENS1_30default_config_static_selectorELNS0_4arch9wavefront6targetE1EEEvT1_,"axG",@progbits,_ZN7rocprim17ROCPRIM_400000_NS6detail17trampoline_kernelINS0_14default_configENS1_20scan_config_selectorIfEEZZNS1_9scan_implILNS1_25lookback_scan_determinismE0ELb1ELb1ES3_N6thrust23THRUST_200600_302600_NS6detail15normal_iteratorINS9_10device_ptrIjEEEENSB_INSC_IiEEEEfNS9_4plusIvEEfEEDaPvRmT3_T4_T5_mT6_P12ihipStream_tbENKUlT_T0_E_clISt17integral_constantIbLb1EESW_EEDaSR_SS_EUlSR_E_NS1_11comp_targetILNS1_3genE0ELNS1_11target_archE4294967295ELNS1_3gpuE0ELNS1_3repE0EEENS1_30default_config_static_selectorELNS0_4arch9wavefront6targetE1EEEvT1_,comdat
	.protected	_ZN7rocprim17ROCPRIM_400000_NS6detail17trampoline_kernelINS0_14default_configENS1_20scan_config_selectorIfEEZZNS1_9scan_implILNS1_25lookback_scan_determinismE0ELb1ELb1ES3_N6thrust23THRUST_200600_302600_NS6detail15normal_iteratorINS9_10device_ptrIjEEEENSB_INSC_IiEEEEfNS9_4plusIvEEfEEDaPvRmT3_T4_T5_mT6_P12ihipStream_tbENKUlT_T0_E_clISt17integral_constantIbLb1EESW_EEDaSR_SS_EUlSR_E_NS1_11comp_targetILNS1_3genE0ELNS1_11target_archE4294967295ELNS1_3gpuE0ELNS1_3repE0EEENS1_30default_config_static_selectorELNS0_4arch9wavefront6targetE1EEEvT1_ ; -- Begin function _ZN7rocprim17ROCPRIM_400000_NS6detail17trampoline_kernelINS0_14default_configENS1_20scan_config_selectorIfEEZZNS1_9scan_implILNS1_25lookback_scan_determinismE0ELb1ELb1ES3_N6thrust23THRUST_200600_302600_NS6detail15normal_iteratorINS9_10device_ptrIjEEEENSB_INSC_IiEEEEfNS9_4plusIvEEfEEDaPvRmT3_T4_T5_mT6_P12ihipStream_tbENKUlT_T0_E_clISt17integral_constantIbLb1EESW_EEDaSR_SS_EUlSR_E_NS1_11comp_targetILNS1_3genE0ELNS1_11target_archE4294967295ELNS1_3gpuE0ELNS1_3repE0EEENS1_30default_config_static_selectorELNS0_4arch9wavefront6targetE1EEEvT1_
	.globl	_ZN7rocprim17ROCPRIM_400000_NS6detail17trampoline_kernelINS0_14default_configENS1_20scan_config_selectorIfEEZZNS1_9scan_implILNS1_25lookback_scan_determinismE0ELb1ELb1ES3_N6thrust23THRUST_200600_302600_NS6detail15normal_iteratorINS9_10device_ptrIjEEEENSB_INSC_IiEEEEfNS9_4plusIvEEfEEDaPvRmT3_T4_T5_mT6_P12ihipStream_tbENKUlT_T0_E_clISt17integral_constantIbLb1EESW_EEDaSR_SS_EUlSR_E_NS1_11comp_targetILNS1_3genE0ELNS1_11target_archE4294967295ELNS1_3gpuE0ELNS1_3repE0EEENS1_30default_config_static_selectorELNS0_4arch9wavefront6targetE1EEEvT1_
	.p2align	8
	.type	_ZN7rocprim17ROCPRIM_400000_NS6detail17trampoline_kernelINS0_14default_configENS1_20scan_config_selectorIfEEZZNS1_9scan_implILNS1_25lookback_scan_determinismE0ELb1ELb1ES3_N6thrust23THRUST_200600_302600_NS6detail15normal_iteratorINS9_10device_ptrIjEEEENSB_INSC_IiEEEEfNS9_4plusIvEEfEEDaPvRmT3_T4_T5_mT6_P12ihipStream_tbENKUlT_T0_E_clISt17integral_constantIbLb1EESW_EEDaSR_SS_EUlSR_E_NS1_11comp_targetILNS1_3genE0ELNS1_11target_archE4294967295ELNS1_3gpuE0ELNS1_3repE0EEENS1_30default_config_static_selectorELNS0_4arch9wavefront6targetE1EEEvT1_,@function
_ZN7rocprim17ROCPRIM_400000_NS6detail17trampoline_kernelINS0_14default_configENS1_20scan_config_selectorIfEEZZNS1_9scan_implILNS1_25lookback_scan_determinismE0ELb1ELb1ES3_N6thrust23THRUST_200600_302600_NS6detail15normal_iteratorINS9_10device_ptrIjEEEENSB_INSC_IiEEEEfNS9_4plusIvEEfEEDaPvRmT3_T4_T5_mT6_P12ihipStream_tbENKUlT_T0_E_clISt17integral_constantIbLb1EESW_EEDaSR_SS_EUlSR_E_NS1_11comp_targetILNS1_3genE0ELNS1_11target_archE4294967295ELNS1_3gpuE0ELNS1_3repE0EEENS1_30default_config_static_selectorELNS0_4arch9wavefront6targetE1EEEvT1_: ; @_ZN7rocprim17ROCPRIM_400000_NS6detail17trampoline_kernelINS0_14default_configENS1_20scan_config_selectorIfEEZZNS1_9scan_implILNS1_25lookback_scan_determinismE0ELb1ELb1ES3_N6thrust23THRUST_200600_302600_NS6detail15normal_iteratorINS9_10device_ptrIjEEEENSB_INSC_IiEEEEfNS9_4plusIvEEfEEDaPvRmT3_T4_T5_mT6_P12ihipStream_tbENKUlT_T0_E_clISt17integral_constantIbLb1EESW_EEDaSR_SS_EUlSR_E_NS1_11comp_targetILNS1_3genE0ELNS1_11target_archE4294967295ELNS1_3gpuE0ELNS1_3repE0EEENS1_30default_config_static_selectorELNS0_4arch9wavefront6targetE1EEEvT1_
; %bb.0:
	.section	.rodata,"a",@progbits
	.p2align	6, 0x0
	.amdhsa_kernel _ZN7rocprim17ROCPRIM_400000_NS6detail17trampoline_kernelINS0_14default_configENS1_20scan_config_selectorIfEEZZNS1_9scan_implILNS1_25lookback_scan_determinismE0ELb1ELb1ES3_N6thrust23THRUST_200600_302600_NS6detail15normal_iteratorINS9_10device_ptrIjEEEENSB_INSC_IiEEEEfNS9_4plusIvEEfEEDaPvRmT3_T4_T5_mT6_P12ihipStream_tbENKUlT_T0_E_clISt17integral_constantIbLb1EESW_EEDaSR_SS_EUlSR_E_NS1_11comp_targetILNS1_3genE0ELNS1_11target_archE4294967295ELNS1_3gpuE0ELNS1_3repE0EEENS1_30default_config_static_selectorELNS0_4arch9wavefront6targetE1EEEvT1_
		.amdhsa_group_segment_fixed_size 0
		.amdhsa_private_segment_fixed_size 0
		.amdhsa_kernarg_size 96
		.amdhsa_user_sgpr_count 6
		.amdhsa_user_sgpr_private_segment_buffer 1
		.amdhsa_user_sgpr_dispatch_ptr 0
		.amdhsa_user_sgpr_queue_ptr 0
		.amdhsa_user_sgpr_kernarg_segment_ptr 1
		.amdhsa_user_sgpr_dispatch_id 0
		.amdhsa_user_sgpr_flat_scratch_init 0
		.amdhsa_user_sgpr_kernarg_preload_length 0
		.amdhsa_user_sgpr_kernarg_preload_offset 0
		.amdhsa_user_sgpr_private_segment_size 0
		.amdhsa_uses_dynamic_stack 0
		.amdhsa_system_sgpr_private_segment_wavefront_offset 0
		.amdhsa_system_sgpr_workgroup_id_x 1
		.amdhsa_system_sgpr_workgroup_id_y 0
		.amdhsa_system_sgpr_workgroup_id_z 0
		.amdhsa_system_sgpr_workgroup_info 0
		.amdhsa_system_vgpr_workitem_id 0
		.amdhsa_next_free_vgpr 1
		.amdhsa_next_free_sgpr 0
		.amdhsa_accum_offset 4
		.amdhsa_reserve_vcc 0
		.amdhsa_reserve_flat_scratch 0
		.amdhsa_float_round_mode_32 0
		.amdhsa_float_round_mode_16_64 0
		.amdhsa_float_denorm_mode_32 3
		.amdhsa_float_denorm_mode_16_64 3
		.amdhsa_dx10_clamp 1
		.amdhsa_ieee_mode 1
		.amdhsa_fp16_overflow 0
		.amdhsa_tg_split 0
		.amdhsa_exception_fp_ieee_invalid_op 0
		.amdhsa_exception_fp_denorm_src 0
		.amdhsa_exception_fp_ieee_div_zero 0
		.amdhsa_exception_fp_ieee_overflow 0
		.amdhsa_exception_fp_ieee_underflow 0
		.amdhsa_exception_fp_ieee_inexact 0
		.amdhsa_exception_int_div_zero 0
	.end_amdhsa_kernel
	.section	.text._ZN7rocprim17ROCPRIM_400000_NS6detail17trampoline_kernelINS0_14default_configENS1_20scan_config_selectorIfEEZZNS1_9scan_implILNS1_25lookback_scan_determinismE0ELb1ELb1ES3_N6thrust23THRUST_200600_302600_NS6detail15normal_iteratorINS9_10device_ptrIjEEEENSB_INSC_IiEEEEfNS9_4plusIvEEfEEDaPvRmT3_T4_T5_mT6_P12ihipStream_tbENKUlT_T0_E_clISt17integral_constantIbLb1EESW_EEDaSR_SS_EUlSR_E_NS1_11comp_targetILNS1_3genE0ELNS1_11target_archE4294967295ELNS1_3gpuE0ELNS1_3repE0EEENS1_30default_config_static_selectorELNS0_4arch9wavefront6targetE1EEEvT1_,"axG",@progbits,_ZN7rocprim17ROCPRIM_400000_NS6detail17trampoline_kernelINS0_14default_configENS1_20scan_config_selectorIfEEZZNS1_9scan_implILNS1_25lookback_scan_determinismE0ELb1ELb1ES3_N6thrust23THRUST_200600_302600_NS6detail15normal_iteratorINS9_10device_ptrIjEEEENSB_INSC_IiEEEEfNS9_4plusIvEEfEEDaPvRmT3_T4_T5_mT6_P12ihipStream_tbENKUlT_T0_E_clISt17integral_constantIbLb1EESW_EEDaSR_SS_EUlSR_E_NS1_11comp_targetILNS1_3genE0ELNS1_11target_archE4294967295ELNS1_3gpuE0ELNS1_3repE0EEENS1_30default_config_static_selectorELNS0_4arch9wavefront6targetE1EEEvT1_,comdat
.Lfunc_end6322:
	.size	_ZN7rocprim17ROCPRIM_400000_NS6detail17trampoline_kernelINS0_14default_configENS1_20scan_config_selectorIfEEZZNS1_9scan_implILNS1_25lookback_scan_determinismE0ELb1ELb1ES3_N6thrust23THRUST_200600_302600_NS6detail15normal_iteratorINS9_10device_ptrIjEEEENSB_INSC_IiEEEEfNS9_4plusIvEEfEEDaPvRmT3_T4_T5_mT6_P12ihipStream_tbENKUlT_T0_E_clISt17integral_constantIbLb1EESW_EEDaSR_SS_EUlSR_E_NS1_11comp_targetILNS1_3genE0ELNS1_11target_archE4294967295ELNS1_3gpuE0ELNS1_3repE0EEENS1_30default_config_static_selectorELNS0_4arch9wavefront6targetE1EEEvT1_, .Lfunc_end6322-_ZN7rocprim17ROCPRIM_400000_NS6detail17trampoline_kernelINS0_14default_configENS1_20scan_config_selectorIfEEZZNS1_9scan_implILNS1_25lookback_scan_determinismE0ELb1ELb1ES3_N6thrust23THRUST_200600_302600_NS6detail15normal_iteratorINS9_10device_ptrIjEEEENSB_INSC_IiEEEEfNS9_4plusIvEEfEEDaPvRmT3_T4_T5_mT6_P12ihipStream_tbENKUlT_T0_E_clISt17integral_constantIbLb1EESW_EEDaSR_SS_EUlSR_E_NS1_11comp_targetILNS1_3genE0ELNS1_11target_archE4294967295ELNS1_3gpuE0ELNS1_3repE0EEENS1_30default_config_static_selectorELNS0_4arch9wavefront6targetE1EEEvT1_
                                        ; -- End function
	.section	.AMDGPU.csdata,"",@progbits
; Kernel info:
; codeLenInByte = 0
; NumSgprs: 4
; NumVgprs: 0
; NumAgprs: 0
; TotalNumVgprs: 0
; ScratchSize: 0
; MemoryBound: 0
; FloatMode: 240
; IeeeMode: 1
; LDSByteSize: 0 bytes/workgroup (compile time only)
; SGPRBlocks: 0
; VGPRBlocks: 0
; NumSGPRsForWavesPerEU: 4
; NumVGPRsForWavesPerEU: 1
; AccumOffset: 4
; Occupancy: 8
; WaveLimiterHint : 0
; COMPUTE_PGM_RSRC2:SCRATCH_EN: 0
; COMPUTE_PGM_RSRC2:USER_SGPR: 6
; COMPUTE_PGM_RSRC2:TRAP_HANDLER: 0
; COMPUTE_PGM_RSRC2:TGID_X_EN: 1
; COMPUTE_PGM_RSRC2:TGID_Y_EN: 0
; COMPUTE_PGM_RSRC2:TGID_Z_EN: 0
; COMPUTE_PGM_RSRC2:TIDIG_COMP_CNT: 0
; COMPUTE_PGM_RSRC3_GFX90A:ACCUM_OFFSET: 0
; COMPUTE_PGM_RSRC3_GFX90A:TG_SPLIT: 0
	.section	.text._ZN7rocprim17ROCPRIM_400000_NS6detail17trampoline_kernelINS0_14default_configENS1_20scan_config_selectorIfEEZZNS1_9scan_implILNS1_25lookback_scan_determinismE0ELb1ELb1ES3_N6thrust23THRUST_200600_302600_NS6detail15normal_iteratorINS9_10device_ptrIjEEEENSB_INSC_IiEEEEfNS9_4plusIvEEfEEDaPvRmT3_T4_T5_mT6_P12ihipStream_tbENKUlT_T0_E_clISt17integral_constantIbLb1EESW_EEDaSR_SS_EUlSR_E_NS1_11comp_targetILNS1_3genE5ELNS1_11target_archE942ELNS1_3gpuE9ELNS1_3repE0EEENS1_30default_config_static_selectorELNS0_4arch9wavefront6targetE1EEEvT1_,"axG",@progbits,_ZN7rocprim17ROCPRIM_400000_NS6detail17trampoline_kernelINS0_14default_configENS1_20scan_config_selectorIfEEZZNS1_9scan_implILNS1_25lookback_scan_determinismE0ELb1ELb1ES3_N6thrust23THRUST_200600_302600_NS6detail15normal_iteratorINS9_10device_ptrIjEEEENSB_INSC_IiEEEEfNS9_4plusIvEEfEEDaPvRmT3_T4_T5_mT6_P12ihipStream_tbENKUlT_T0_E_clISt17integral_constantIbLb1EESW_EEDaSR_SS_EUlSR_E_NS1_11comp_targetILNS1_3genE5ELNS1_11target_archE942ELNS1_3gpuE9ELNS1_3repE0EEENS1_30default_config_static_selectorELNS0_4arch9wavefront6targetE1EEEvT1_,comdat
	.protected	_ZN7rocprim17ROCPRIM_400000_NS6detail17trampoline_kernelINS0_14default_configENS1_20scan_config_selectorIfEEZZNS1_9scan_implILNS1_25lookback_scan_determinismE0ELb1ELb1ES3_N6thrust23THRUST_200600_302600_NS6detail15normal_iteratorINS9_10device_ptrIjEEEENSB_INSC_IiEEEEfNS9_4plusIvEEfEEDaPvRmT3_T4_T5_mT6_P12ihipStream_tbENKUlT_T0_E_clISt17integral_constantIbLb1EESW_EEDaSR_SS_EUlSR_E_NS1_11comp_targetILNS1_3genE5ELNS1_11target_archE942ELNS1_3gpuE9ELNS1_3repE0EEENS1_30default_config_static_selectorELNS0_4arch9wavefront6targetE1EEEvT1_ ; -- Begin function _ZN7rocprim17ROCPRIM_400000_NS6detail17trampoline_kernelINS0_14default_configENS1_20scan_config_selectorIfEEZZNS1_9scan_implILNS1_25lookback_scan_determinismE0ELb1ELb1ES3_N6thrust23THRUST_200600_302600_NS6detail15normal_iteratorINS9_10device_ptrIjEEEENSB_INSC_IiEEEEfNS9_4plusIvEEfEEDaPvRmT3_T4_T5_mT6_P12ihipStream_tbENKUlT_T0_E_clISt17integral_constantIbLb1EESW_EEDaSR_SS_EUlSR_E_NS1_11comp_targetILNS1_3genE5ELNS1_11target_archE942ELNS1_3gpuE9ELNS1_3repE0EEENS1_30default_config_static_selectorELNS0_4arch9wavefront6targetE1EEEvT1_
	.globl	_ZN7rocprim17ROCPRIM_400000_NS6detail17trampoline_kernelINS0_14default_configENS1_20scan_config_selectorIfEEZZNS1_9scan_implILNS1_25lookback_scan_determinismE0ELb1ELb1ES3_N6thrust23THRUST_200600_302600_NS6detail15normal_iteratorINS9_10device_ptrIjEEEENSB_INSC_IiEEEEfNS9_4plusIvEEfEEDaPvRmT3_T4_T5_mT6_P12ihipStream_tbENKUlT_T0_E_clISt17integral_constantIbLb1EESW_EEDaSR_SS_EUlSR_E_NS1_11comp_targetILNS1_3genE5ELNS1_11target_archE942ELNS1_3gpuE9ELNS1_3repE0EEENS1_30default_config_static_selectorELNS0_4arch9wavefront6targetE1EEEvT1_
	.p2align	8
	.type	_ZN7rocprim17ROCPRIM_400000_NS6detail17trampoline_kernelINS0_14default_configENS1_20scan_config_selectorIfEEZZNS1_9scan_implILNS1_25lookback_scan_determinismE0ELb1ELb1ES3_N6thrust23THRUST_200600_302600_NS6detail15normal_iteratorINS9_10device_ptrIjEEEENSB_INSC_IiEEEEfNS9_4plusIvEEfEEDaPvRmT3_T4_T5_mT6_P12ihipStream_tbENKUlT_T0_E_clISt17integral_constantIbLb1EESW_EEDaSR_SS_EUlSR_E_NS1_11comp_targetILNS1_3genE5ELNS1_11target_archE942ELNS1_3gpuE9ELNS1_3repE0EEENS1_30default_config_static_selectorELNS0_4arch9wavefront6targetE1EEEvT1_,@function
_ZN7rocprim17ROCPRIM_400000_NS6detail17trampoline_kernelINS0_14default_configENS1_20scan_config_selectorIfEEZZNS1_9scan_implILNS1_25lookback_scan_determinismE0ELb1ELb1ES3_N6thrust23THRUST_200600_302600_NS6detail15normal_iteratorINS9_10device_ptrIjEEEENSB_INSC_IiEEEEfNS9_4plusIvEEfEEDaPvRmT3_T4_T5_mT6_P12ihipStream_tbENKUlT_T0_E_clISt17integral_constantIbLb1EESW_EEDaSR_SS_EUlSR_E_NS1_11comp_targetILNS1_3genE5ELNS1_11target_archE942ELNS1_3gpuE9ELNS1_3repE0EEENS1_30default_config_static_selectorELNS0_4arch9wavefront6targetE1EEEvT1_: ; @_ZN7rocprim17ROCPRIM_400000_NS6detail17trampoline_kernelINS0_14default_configENS1_20scan_config_selectorIfEEZZNS1_9scan_implILNS1_25lookback_scan_determinismE0ELb1ELb1ES3_N6thrust23THRUST_200600_302600_NS6detail15normal_iteratorINS9_10device_ptrIjEEEENSB_INSC_IiEEEEfNS9_4plusIvEEfEEDaPvRmT3_T4_T5_mT6_P12ihipStream_tbENKUlT_T0_E_clISt17integral_constantIbLb1EESW_EEDaSR_SS_EUlSR_E_NS1_11comp_targetILNS1_3genE5ELNS1_11target_archE942ELNS1_3gpuE9ELNS1_3repE0EEENS1_30default_config_static_selectorELNS0_4arch9wavefront6targetE1EEEvT1_
; %bb.0:
	.section	.rodata,"a",@progbits
	.p2align	6, 0x0
	.amdhsa_kernel _ZN7rocprim17ROCPRIM_400000_NS6detail17trampoline_kernelINS0_14default_configENS1_20scan_config_selectorIfEEZZNS1_9scan_implILNS1_25lookback_scan_determinismE0ELb1ELb1ES3_N6thrust23THRUST_200600_302600_NS6detail15normal_iteratorINS9_10device_ptrIjEEEENSB_INSC_IiEEEEfNS9_4plusIvEEfEEDaPvRmT3_T4_T5_mT6_P12ihipStream_tbENKUlT_T0_E_clISt17integral_constantIbLb1EESW_EEDaSR_SS_EUlSR_E_NS1_11comp_targetILNS1_3genE5ELNS1_11target_archE942ELNS1_3gpuE9ELNS1_3repE0EEENS1_30default_config_static_selectorELNS0_4arch9wavefront6targetE1EEEvT1_
		.amdhsa_group_segment_fixed_size 0
		.amdhsa_private_segment_fixed_size 0
		.amdhsa_kernarg_size 96
		.amdhsa_user_sgpr_count 6
		.amdhsa_user_sgpr_private_segment_buffer 1
		.amdhsa_user_sgpr_dispatch_ptr 0
		.amdhsa_user_sgpr_queue_ptr 0
		.amdhsa_user_sgpr_kernarg_segment_ptr 1
		.amdhsa_user_sgpr_dispatch_id 0
		.amdhsa_user_sgpr_flat_scratch_init 0
		.amdhsa_user_sgpr_kernarg_preload_length 0
		.amdhsa_user_sgpr_kernarg_preload_offset 0
		.amdhsa_user_sgpr_private_segment_size 0
		.amdhsa_uses_dynamic_stack 0
		.amdhsa_system_sgpr_private_segment_wavefront_offset 0
		.amdhsa_system_sgpr_workgroup_id_x 1
		.amdhsa_system_sgpr_workgroup_id_y 0
		.amdhsa_system_sgpr_workgroup_id_z 0
		.amdhsa_system_sgpr_workgroup_info 0
		.amdhsa_system_vgpr_workitem_id 0
		.amdhsa_next_free_vgpr 1
		.amdhsa_next_free_sgpr 0
		.amdhsa_accum_offset 4
		.amdhsa_reserve_vcc 0
		.amdhsa_reserve_flat_scratch 0
		.amdhsa_float_round_mode_32 0
		.amdhsa_float_round_mode_16_64 0
		.amdhsa_float_denorm_mode_32 3
		.amdhsa_float_denorm_mode_16_64 3
		.amdhsa_dx10_clamp 1
		.amdhsa_ieee_mode 1
		.amdhsa_fp16_overflow 0
		.amdhsa_tg_split 0
		.amdhsa_exception_fp_ieee_invalid_op 0
		.amdhsa_exception_fp_denorm_src 0
		.amdhsa_exception_fp_ieee_div_zero 0
		.amdhsa_exception_fp_ieee_overflow 0
		.amdhsa_exception_fp_ieee_underflow 0
		.amdhsa_exception_fp_ieee_inexact 0
		.amdhsa_exception_int_div_zero 0
	.end_amdhsa_kernel
	.section	.text._ZN7rocprim17ROCPRIM_400000_NS6detail17trampoline_kernelINS0_14default_configENS1_20scan_config_selectorIfEEZZNS1_9scan_implILNS1_25lookback_scan_determinismE0ELb1ELb1ES3_N6thrust23THRUST_200600_302600_NS6detail15normal_iteratorINS9_10device_ptrIjEEEENSB_INSC_IiEEEEfNS9_4plusIvEEfEEDaPvRmT3_T4_T5_mT6_P12ihipStream_tbENKUlT_T0_E_clISt17integral_constantIbLb1EESW_EEDaSR_SS_EUlSR_E_NS1_11comp_targetILNS1_3genE5ELNS1_11target_archE942ELNS1_3gpuE9ELNS1_3repE0EEENS1_30default_config_static_selectorELNS0_4arch9wavefront6targetE1EEEvT1_,"axG",@progbits,_ZN7rocprim17ROCPRIM_400000_NS6detail17trampoline_kernelINS0_14default_configENS1_20scan_config_selectorIfEEZZNS1_9scan_implILNS1_25lookback_scan_determinismE0ELb1ELb1ES3_N6thrust23THRUST_200600_302600_NS6detail15normal_iteratorINS9_10device_ptrIjEEEENSB_INSC_IiEEEEfNS9_4plusIvEEfEEDaPvRmT3_T4_T5_mT6_P12ihipStream_tbENKUlT_T0_E_clISt17integral_constantIbLb1EESW_EEDaSR_SS_EUlSR_E_NS1_11comp_targetILNS1_3genE5ELNS1_11target_archE942ELNS1_3gpuE9ELNS1_3repE0EEENS1_30default_config_static_selectorELNS0_4arch9wavefront6targetE1EEEvT1_,comdat
.Lfunc_end6323:
	.size	_ZN7rocprim17ROCPRIM_400000_NS6detail17trampoline_kernelINS0_14default_configENS1_20scan_config_selectorIfEEZZNS1_9scan_implILNS1_25lookback_scan_determinismE0ELb1ELb1ES3_N6thrust23THRUST_200600_302600_NS6detail15normal_iteratorINS9_10device_ptrIjEEEENSB_INSC_IiEEEEfNS9_4plusIvEEfEEDaPvRmT3_T4_T5_mT6_P12ihipStream_tbENKUlT_T0_E_clISt17integral_constantIbLb1EESW_EEDaSR_SS_EUlSR_E_NS1_11comp_targetILNS1_3genE5ELNS1_11target_archE942ELNS1_3gpuE9ELNS1_3repE0EEENS1_30default_config_static_selectorELNS0_4arch9wavefront6targetE1EEEvT1_, .Lfunc_end6323-_ZN7rocprim17ROCPRIM_400000_NS6detail17trampoline_kernelINS0_14default_configENS1_20scan_config_selectorIfEEZZNS1_9scan_implILNS1_25lookback_scan_determinismE0ELb1ELb1ES3_N6thrust23THRUST_200600_302600_NS6detail15normal_iteratorINS9_10device_ptrIjEEEENSB_INSC_IiEEEEfNS9_4plusIvEEfEEDaPvRmT3_T4_T5_mT6_P12ihipStream_tbENKUlT_T0_E_clISt17integral_constantIbLb1EESW_EEDaSR_SS_EUlSR_E_NS1_11comp_targetILNS1_3genE5ELNS1_11target_archE942ELNS1_3gpuE9ELNS1_3repE0EEENS1_30default_config_static_selectorELNS0_4arch9wavefront6targetE1EEEvT1_
                                        ; -- End function
	.section	.AMDGPU.csdata,"",@progbits
; Kernel info:
; codeLenInByte = 0
; NumSgprs: 4
; NumVgprs: 0
; NumAgprs: 0
; TotalNumVgprs: 0
; ScratchSize: 0
; MemoryBound: 0
; FloatMode: 240
; IeeeMode: 1
; LDSByteSize: 0 bytes/workgroup (compile time only)
; SGPRBlocks: 0
; VGPRBlocks: 0
; NumSGPRsForWavesPerEU: 4
; NumVGPRsForWavesPerEU: 1
; AccumOffset: 4
; Occupancy: 8
; WaveLimiterHint : 0
; COMPUTE_PGM_RSRC2:SCRATCH_EN: 0
; COMPUTE_PGM_RSRC2:USER_SGPR: 6
; COMPUTE_PGM_RSRC2:TRAP_HANDLER: 0
; COMPUTE_PGM_RSRC2:TGID_X_EN: 1
; COMPUTE_PGM_RSRC2:TGID_Y_EN: 0
; COMPUTE_PGM_RSRC2:TGID_Z_EN: 0
; COMPUTE_PGM_RSRC2:TIDIG_COMP_CNT: 0
; COMPUTE_PGM_RSRC3_GFX90A:ACCUM_OFFSET: 0
; COMPUTE_PGM_RSRC3_GFX90A:TG_SPLIT: 0
	.section	.text._ZN7rocprim17ROCPRIM_400000_NS6detail17trampoline_kernelINS0_14default_configENS1_20scan_config_selectorIfEEZZNS1_9scan_implILNS1_25lookback_scan_determinismE0ELb1ELb1ES3_N6thrust23THRUST_200600_302600_NS6detail15normal_iteratorINS9_10device_ptrIjEEEENSB_INSC_IiEEEEfNS9_4plusIvEEfEEDaPvRmT3_T4_T5_mT6_P12ihipStream_tbENKUlT_T0_E_clISt17integral_constantIbLb1EESW_EEDaSR_SS_EUlSR_E_NS1_11comp_targetILNS1_3genE4ELNS1_11target_archE910ELNS1_3gpuE8ELNS1_3repE0EEENS1_30default_config_static_selectorELNS0_4arch9wavefront6targetE1EEEvT1_,"axG",@progbits,_ZN7rocprim17ROCPRIM_400000_NS6detail17trampoline_kernelINS0_14default_configENS1_20scan_config_selectorIfEEZZNS1_9scan_implILNS1_25lookback_scan_determinismE0ELb1ELb1ES3_N6thrust23THRUST_200600_302600_NS6detail15normal_iteratorINS9_10device_ptrIjEEEENSB_INSC_IiEEEEfNS9_4plusIvEEfEEDaPvRmT3_T4_T5_mT6_P12ihipStream_tbENKUlT_T0_E_clISt17integral_constantIbLb1EESW_EEDaSR_SS_EUlSR_E_NS1_11comp_targetILNS1_3genE4ELNS1_11target_archE910ELNS1_3gpuE8ELNS1_3repE0EEENS1_30default_config_static_selectorELNS0_4arch9wavefront6targetE1EEEvT1_,comdat
	.protected	_ZN7rocprim17ROCPRIM_400000_NS6detail17trampoline_kernelINS0_14default_configENS1_20scan_config_selectorIfEEZZNS1_9scan_implILNS1_25lookback_scan_determinismE0ELb1ELb1ES3_N6thrust23THRUST_200600_302600_NS6detail15normal_iteratorINS9_10device_ptrIjEEEENSB_INSC_IiEEEEfNS9_4plusIvEEfEEDaPvRmT3_T4_T5_mT6_P12ihipStream_tbENKUlT_T0_E_clISt17integral_constantIbLb1EESW_EEDaSR_SS_EUlSR_E_NS1_11comp_targetILNS1_3genE4ELNS1_11target_archE910ELNS1_3gpuE8ELNS1_3repE0EEENS1_30default_config_static_selectorELNS0_4arch9wavefront6targetE1EEEvT1_ ; -- Begin function _ZN7rocprim17ROCPRIM_400000_NS6detail17trampoline_kernelINS0_14default_configENS1_20scan_config_selectorIfEEZZNS1_9scan_implILNS1_25lookback_scan_determinismE0ELb1ELb1ES3_N6thrust23THRUST_200600_302600_NS6detail15normal_iteratorINS9_10device_ptrIjEEEENSB_INSC_IiEEEEfNS9_4plusIvEEfEEDaPvRmT3_T4_T5_mT6_P12ihipStream_tbENKUlT_T0_E_clISt17integral_constantIbLb1EESW_EEDaSR_SS_EUlSR_E_NS1_11comp_targetILNS1_3genE4ELNS1_11target_archE910ELNS1_3gpuE8ELNS1_3repE0EEENS1_30default_config_static_selectorELNS0_4arch9wavefront6targetE1EEEvT1_
	.globl	_ZN7rocprim17ROCPRIM_400000_NS6detail17trampoline_kernelINS0_14default_configENS1_20scan_config_selectorIfEEZZNS1_9scan_implILNS1_25lookback_scan_determinismE0ELb1ELb1ES3_N6thrust23THRUST_200600_302600_NS6detail15normal_iteratorINS9_10device_ptrIjEEEENSB_INSC_IiEEEEfNS9_4plusIvEEfEEDaPvRmT3_T4_T5_mT6_P12ihipStream_tbENKUlT_T0_E_clISt17integral_constantIbLb1EESW_EEDaSR_SS_EUlSR_E_NS1_11comp_targetILNS1_3genE4ELNS1_11target_archE910ELNS1_3gpuE8ELNS1_3repE0EEENS1_30default_config_static_selectorELNS0_4arch9wavefront6targetE1EEEvT1_
	.p2align	8
	.type	_ZN7rocprim17ROCPRIM_400000_NS6detail17trampoline_kernelINS0_14default_configENS1_20scan_config_selectorIfEEZZNS1_9scan_implILNS1_25lookback_scan_determinismE0ELb1ELb1ES3_N6thrust23THRUST_200600_302600_NS6detail15normal_iteratorINS9_10device_ptrIjEEEENSB_INSC_IiEEEEfNS9_4plusIvEEfEEDaPvRmT3_T4_T5_mT6_P12ihipStream_tbENKUlT_T0_E_clISt17integral_constantIbLb1EESW_EEDaSR_SS_EUlSR_E_NS1_11comp_targetILNS1_3genE4ELNS1_11target_archE910ELNS1_3gpuE8ELNS1_3repE0EEENS1_30default_config_static_selectorELNS0_4arch9wavefront6targetE1EEEvT1_,@function
_ZN7rocprim17ROCPRIM_400000_NS6detail17trampoline_kernelINS0_14default_configENS1_20scan_config_selectorIfEEZZNS1_9scan_implILNS1_25lookback_scan_determinismE0ELb1ELb1ES3_N6thrust23THRUST_200600_302600_NS6detail15normal_iteratorINS9_10device_ptrIjEEEENSB_INSC_IiEEEEfNS9_4plusIvEEfEEDaPvRmT3_T4_T5_mT6_P12ihipStream_tbENKUlT_T0_E_clISt17integral_constantIbLb1EESW_EEDaSR_SS_EUlSR_E_NS1_11comp_targetILNS1_3genE4ELNS1_11target_archE910ELNS1_3gpuE8ELNS1_3repE0EEENS1_30default_config_static_selectorELNS0_4arch9wavefront6targetE1EEEvT1_: ; @_ZN7rocprim17ROCPRIM_400000_NS6detail17trampoline_kernelINS0_14default_configENS1_20scan_config_selectorIfEEZZNS1_9scan_implILNS1_25lookback_scan_determinismE0ELb1ELb1ES3_N6thrust23THRUST_200600_302600_NS6detail15normal_iteratorINS9_10device_ptrIjEEEENSB_INSC_IiEEEEfNS9_4plusIvEEfEEDaPvRmT3_T4_T5_mT6_P12ihipStream_tbENKUlT_T0_E_clISt17integral_constantIbLb1EESW_EEDaSR_SS_EUlSR_E_NS1_11comp_targetILNS1_3genE4ELNS1_11target_archE910ELNS1_3gpuE8ELNS1_3repE0EEENS1_30default_config_static_selectorELNS0_4arch9wavefront6targetE1EEEvT1_
; %bb.0:
	s_load_dword s37, s[4:5], 0x20
	s_load_dwordx2 s[14:15], s[4:5], 0x28
	v_cmp_ne_u32_e64 s[2:3], 0, v0
	v_cmp_eq_u32_e64 s[0:1], 0, v0
	s_and_saveexec_b64 s[6:7], s[0:1]
	s_cbranch_execz .LBB6324_4
; %bb.1:
	s_mov_b64 s[10:11], exec
	v_mbcnt_lo_u32_b32 v1, s10, 0
	v_mbcnt_hi_u32_b32 v1, s11, v1
	v_cmp_eq_u32_e32 vcc, 0, v1
                                        ; implicit-def: $vgpr2
	s_and_saveexec_b64 s[8:9], vcc
	s_cbranch_execz .LBB6324_3
; %bb.2:
	s_load_dwordx2 s[12:13], s[4:5], 0x58
	s_bcnt1_i32_b64 s10, s[10:11]
	v_mov_b32_e32 v2, 0
	v_mov_b32_e32 v3, s10
	s_waitcnt lgkmcnt(0)
	global_atomic_add v2, v2, v3, s[12:13] glc
.LBB6324_3:
	s_or_b64 exec, exec, s[8:9]
	s_waitcnt vmcnt(0)
	v_readfirstlane_b32 s8, v2
	v_add_u32_e32 v1, s8, v1
	v_mov_b32_e32 v2, 0
	ds_write_b32 v2, v1
.LBB6324_4:
	s_or_b64 exec, exec, s[6:7]
	s_load_dwordx8 s[24:31], s[4:5], 0x0
	s_load_dword s6, s[4:5], 0x30
	s_load_dwordx8 s[16:23], s[4:5], 0x38
	v_mov_b32_e32 v1, 0
	s_waitcnt lgkmcnt(0)
	s_barrier
	ds_read_b32 v1, v1
	s_lshl_b64 s[26:27], s[26:27], 2
	s_add_u32 s38, s24, s26
	s_addc_u32 s39, s25, s27
	s_add_i32 s6, s6, -1
	s_mul_i32 s7, s6, 0x700
	s_sub_u32 s33, s30, s7
	s_waitcnt lgkmcnt(0)
	v_readfirstlane_b32 s40, v1
	s_subb_u32 s36, s31, 0
	s_mul_i32 s4, s40, 0x700
	s_mov_b32 s5, 0
	s_cmp_lg_u32 s40, s6
	s_cselect_b64 s[24:25], -1, 0
	s_lshl_b64 s[30:31], s[4:5], 2
	s_add_u32 s6, s38, s30
	s_addc_u32 s7, s39, s31
	s_mov_b64 s[4:5], -1
	s_and_b64 vcc, exec, s[24:25]
	v_lshlrev_b32_e32 v32, 2, v0
	s_barrier
	s_cbranch_vccz .LBB6324_6
; %bb.5:
	v_mov_b32_e32 v1, s7
	v_add_co_u32_e32 v2, vcc, s6, v32
	v_addc_co_u32_e32 v3, vcc, 0, v1, vcc
	s_movk_i32 s4, 0x1000
	flat_load_dword v1, v[2:3]
	flat_load_dword v4, v[2:3] offset:512
	flat_load_dword v5, v[2:3] offset:1024
	;; [unrolled: 1-line block ×7, first 2 shown]
	v_add_co_u32_e32 v2, vcc, s4, v2
	v_addc_co_u32_e32 v3, vcc, 0, v3, vcc
	flat_load_dword v11, v[2:3]
	flat_load_dword v12, v[2:3] offset:512
	flat_load_dword v13, v[2:3] offset:1024
	;; [unrolled: 1-line block ×5, first 2 shown]
	s_mov_b64 s[4:5], 0
	s_waitcnt vmcnt(0) lgkmcnt(0)
	v_cvt_f32_u32_e32 v1, v1
	v_cvt_f32_u32_e32 v2, v4
	;; [unrolled: 1-line block ×14, first 2 shown]
	ds_write2st64_b32 v32, v1, v2 offset1:2
	ds_write2st64_b32 v32, v3, v4 offset0:4 offset1:6
	ds_write2st64_b32 v32, v5, v6 offset0:8 offset1:10
	;; [unrolled: 1-line block ×6, first 2 shown]
	s_waitcnt lgkmcnt(0)
	s_barrier
.LBB6324_6:
	s_andn2_b64 vcc, exec, s[4:5]
	v_cmp_gt_u32_e64 s[4:5], s33, v0
	s_cbranch_vccnz .LBB6324_36
; %bb.7:
	v_pk_mov_b32 v[2:3], s[6:7], s[6:7] op_sel:[0,1]
	flat_load_dword v1, v[2:3]
	s_waitcnt vmcnt(0) lgkmcnt(0)
	v_cvt_f32_u32_e32 v1, v1
	v_mov_b32_e32 v2, v1
	v_mov_b32_e32 v3, v1
	;; [unrolled: 1-line block ×12, first 2 shown]
	v_pk_mov_b32 v[16:17], v[14:15], v[14:15] op_sel:[0,1]
	v_pk_mov_b32 v[14:15], v[12:13], v[12:13] op_sel:[0,1]
	;; [unrolled: 1-line block ×8, first 2 shown]
	s_and_saveexec_b64 s[8:9], s[4:5]
	s_cbranch_execz .LBB6324_9
; %bb.8:
	v_mov_b32_e32 v3, s7
	v_add_co_u32_e32 v2, vcc, s6, v32
	v_addc_co_u32_e32 v3, vcc, 0, v3, vcc
	flat_load_dword v11, v[2:3]
	v_mov_b32_e32 v2, v1
	v_mov_b32_e32 v3, v1
	;; [unrolled: 1-line block ×11, first 2 shown]
	s_waitcnt vmcnt(0) lgkmcnt(0)
	v_cvt_f32_u32_e32 v18, v11
	v_mov_b32_e32 v11, v1
	v_pk_mov_b32 v[16:17], v[14:15], v[14:15] op_sel:[0,1]
	v_pk_mov_b32 v[14:15], v[12:13], v[12:13] op_sel:[0,1]
	;; [unrolled: 1-line block ×8, first 2 shown]
	v_mov_b32_e32 v1, v18
.LBB6324_9:
	s_or_b64 exec, exec, s[8:9]
	v_or_b32_e32 v2, 0x80, v0
	v_cmp_gt_u32_e32 vcc, s33, v2
	s_and_saveexec_b64 s[4:5], vcc
	s_cbranch_execz .LBB6324_11
; %bb.10:
	v_mov_b32_e32 v3, s7
	v_add_co_u32_e32 v2, vcc, s6, v32
	v_addc_co_u32_e32 v3, vcc, 0, v3, vcc
	flat_load_dword v2, v[2:3] offset:512
	s_waitcnt vmcnt(0) lgkmcnt(0)
	v_cvt_f32_u32_e32 v3, v2
.LBB6324_11:
	s_or_b64 exec, exec, s[4:5]
	v_or_b32_e32 v2, 0x100, v0
	v_cmp_gt_u32_e32 vcc, s33, v2
	s_and_saveexec_b64 s[4:5], vcc
	s_cbranch_execz .LBB6324_13
; %bb.12:
	v_mov_b32_e32 v2, s7
	v_add_co_u32_e32 v16, vcc, s6, v32
	v_addc_co_u32_e32 v17, vcc, 0, v2, vcc
	flat_load_dword v2, v[16:17] offset:1024
	s_waitcnt vmcnt(0) lgkmcnt(0)
	v_cvt_f32_u32_e32 v4, v2
.LBB6324_13:
	;; [unrolled: 13-line block ×7, first 2 shown]
	s_or_b64 exec, exec, s[4:5]
	v_or_b32_e32 v2, 0x400, v0
	v_cmp_gt_u32_e32 vcc, s33, v2
	s_and_saveexec_b64 s[4:5], vcc
	s_cbranch_execz .LBB6324_25
; %bb.24:
	v_lshlrev_b32_e32 v2, 2, v2
	v_mov_b32_e32 v10, s7
	v_add_co_u32_e32 v16, vcc, s6, v2
	v_addc_co_u32_e32 v17, vcc, 0, v10, vcc
	flat_load_dword v2, v[16:17]
	s_waitcnt vmcnt(0) lgkmcnt(0)
	v_cvt_f32_u32_e32 v10, v2
.LBB6324_25:
	s_or_b64 exec, exec, s[4:5]
	v_or_b32_e32 v2, 0x480, v0
	v_cmp_gt_u32_e32 vcc, s33, v2
	s_and_saveexec_b64 s[4:5], vcc
	s_cbranch_execz .LBB6324_27
; %bb.26:
	v_lshlrev_b32_e32 v2, 2, v2
	v_mov_b32_e32 v11, s7
	v_add_co_u32_e32 v16, vcc, s6, v2
	v_addc_co_u32_e32 v17, vcc, 0, v11, vcc
	flat_load_dword v2, v[16:17]
	s_waitcnt vmcnt(0) lgkmcnt(0)
	v_cvt_f32_u32_e32 v11, v2
.LBB6324_27:
	;; [unrolled: 14-line block ×6, first 2 shown]
	s_or_b64 exec, exec, s[4:5]
	ds_write2st64_b32 v32, v1, v3 offset1:2
	ds_write2st64_b32 v32, v4, v5 offset0:4 offset1:6
	ds_write2st64_b32 v32, v6, v7 offset0:8 offset1:10
	;; [unrolled: 1-line block ×6, first 2 shown]
	s_waitcnt lgkmcnt(0)
	s_barrier
.LBB6324_36:
	v_mul_u32_u24_e32 v33, 14, v0
	v_lshlrev_b32_e32 v34, 2, v33
	ds_read2_b64 v[26:29], v34 offset1:1
	ds_read2_b64 v[22:25], v34 offset0:2 offset1:3
	ds_read2_b64 v[18:21], v34 offset0:4 offset1:5
	ds_read_b64 v[30:31], v34 offset:48
	s_cmp_lg_u32 s40, 0
	s_waitcnt lgkmcnt(3)
	v_add_f32_e32 v35, v26, v27
	v_lshrrev_b32_e32 v1, 5, v0
	v_cmp_gt_u32_e32 vcc, 64, v0
	s_waitcnt lgkmcnt(0)
	s_barrier
	s_cbranch_scc0 .LBB6324_65
; %bb.37:
	v_add_f32_e32 v2, v28, v35
	v_add_f32_e32 v2, v29, v2
	;; [unrolled: 1-line block ×12, first 2 shown]
	v_add_lshl_u32 v2, v1, v0, 2
	ds_write_b32 v2, v12
	s_waitcnt lgkmcnt(0)
	s_barrier
	s_and_saveexec_b64 s[10:11], vcc
	s_cbranch_execz .LBB6324_39
; %bb.38:
	v_lshlrev_b32_e32 v2, 1, v0
	v_lshrrev_b32_e32 v3, 4, v0
	v_add_lshl_u32 v4, v3, v2, 2
	ds_read2_b32 v[2:3], v4 offset1:1
	v_mbcnt_lo_u32_b32 v5, -1, 0
	v_mbcnt_hi_u32_b32 v5, -1, v5
	v_and_b32_e32 v6, 15, v5
	v_cmp_eq_u32_e64 s[4:5], 0, v6
	s_waitcnt lgkmcnt(0)
	v_add_f32_e32 v3, v2, v3
	v_cmp_lt_u32_e64 s[6:7], 3, v6
	v_cmp_lt_u32_e64 s[8:9], 31, v5
	v_mov_b32_dpp v7, v3 row_shr:1 row_mask:0xf bank_mask:0xf
	v_add_f32_e32 v7, v3, v7
	v_cndmask_b32_e64 v3, v7, v3, s[4:5]
	v_cmp_lt_u32_e64 s[4:5], 1, v6
	s_nop 0
	v_mov_b32_dpp v7, v3 row_shr:2 row_mask:0xf bank_mask:0xf
	v_add_f32_e32 v7, v3, v7
	v_cndmask_b32_e64 v7, v3, v7, s[4:5]
	; wave barrier
	s_nop 1
	v_mov_b32_dpp v8, v7 row_shr:4 row_mask:0xf bank_mask:0xf
	v_add_f32_e32 v8, v7, v8
	v_cndmask_b32_e64 v7, v7, v8, s[6:7]
	v_cmp_lt_u32_e64 s[6:7], 7, v6
	s_nop 0
	v_mov_b32_dpp v8, v7 row_shr:8 row_mask:0xf bank_mask:0xf
	v_add_f32_e32 v8, v7, v8
	v_cndmask_b32_e64 v6, v7, v8, s[6:7]
	v_and_b32_e32 v8, 16, v5
	v_cmp_eq_u32_e64 s[6:7], 0, v8
	v_mov_b32_dpp v7, v6 row_bcast:15 row_mask:0xf bank_mask:0xf
	v_add_f32_e32 v7, v6, v7
	v_cndmask_b32_e64 v6, v7, v6, s[6:7]
	v_cmp_lt_u32_e64 s[6:7], 15, v5
	s_or_b64 s[4:5], s[6:7], s[4:5]
	v_mov_b32_dpp v7, v6 row_bcast:31 row_mask:0xf bank_mask:0xf
	v_add_f32_e32 v7, v6, v7
	v_cndmask_b32_e64 v6, v6, v7, s[8:9]
	v_cndmask_b32_e64 v3, v3, v6, s[4:5]
	v_add_u32_e32 v6, -1, v5
	v_and_b32_e32 v7, 64, v5
	v_cmp_lt_i32_e64 s[4:5], v6, v7
	v_cndmask_b32_e64 v5, v6, v5, s[4:5]
	v_lshlrev_b32_e32 v5, 2, v5
	ds_bpermute_b32 v3, v5, v3
	s_waitcnt lgkmcnt(0)
	v_add_f32_e32 v2, v2, v3
	v_cndmask_b32_e64 v2, v2, v12, s[0:1]
	ds_write_b32 v4, v2
	; wave barrier
	ds_read_b32 v3, v4 offset:4
	s_waitcnt lgkmcnt(0)
	v_add_f32_e32 v2, v2, v3
	ds_write_b32 v4, v2 offset:4
.LBB6324_39:
	s_or_b64 exec, exec, s[10:11]
	s_waitcnt lgkmcnt(0)
	s_barrier
	s_and_saveexec_b64 s[4:5], s[2:3]
	s_cbranch_execz .LBB6324_41
; %bb.40:
	v_add_u32_e32 v2, -1, v0
	v_lshrrev_b32_e32 v3, 5, v2
	v_add_lshl_u32 v2, v3, v2, 2
	ds_read_b32 v12, v2
.LBB6324_41:
	s_or_b64 exec, exec, s[4:5]
	s_and_saveexec_b64 s[34:35], vcc
	s_cbranch_execz .LBB6324_64
; %bb.42:
	v_mov_b32_e32 v11, 0
	ds_read_b32 v2, v11 offset:520
	v_mbcnt_lo_u32_b32 v3, -1, 0
	v_mbcnt_hi_u32_b32 v5, -1, v3
	s_mov_b32 s9, 0
	v_cmp_eq_u32_e64 s[4:5], 0, v5
	s_and_saveexec_b64 s[6:7], s[4:5]
	s_cbranch_execz .LBB6324_44
; %bb.43:
	s_add_i32 s8, s40, 64
	s_lshl_b64 s[8:9], s[8:9], 3
	s_add_u32 s8, s14, s8
	v_mov_b32_e32 v3, 1
	s_addc_u32 s9, s15, s9
	s_waitcnt lgkmcnt(0)
	global_store_dwordx2 v11, v[2:3], s[8:9]
.LBB6324_44:
	s_or_b64 exec, exec, s[6:7]
	v_xad_u32 v4, v5, -1, s40
	v_add_u32_e32 v10, 64, v4
	v_lshlrev_b64 v[6:7], 3, v[10:11]
	v_mov_b32_e32 v3, s15
	v_add_co_u32_e32 v6, vcc, s14, v6
	v_addc_co_u32_e32 v7, vcc, v3, v7, vcc
	global_load_dwordx2 v[8:9], v[6:7], off glc
	s_waitcnt vmcnt(0)
	v_cmp_eq_u16_sdwa s[8:9], v9, v11 src0_sel:BYTE_0 src1_sel:DWORD
	s_and_saveexec_b64 s[6:7], s[8:9]
	s_cbranch_execz .LBB6324_50
; %bb.45:
	s_mov_b32 s10, 1
	s_mov_b64 s[8:9], 0
	v_mov_b32_e32 v3, 0
.LBB6324_46:                            ; =>This Loop Header: Depth=1
                                        ;     Child Loop BB6324_47 Depth 2
	s_max_u32 s11, s10, 1
.LBB6324_47:                            ;   Parent Loop BB6324_46 Depth=1
                                        ; =>  This Inner Loop Header: Depth=2
	s_add_i32 s11, s11, -1
	s_cmp_eq_u32 s11, 0
	s_sleep 1
	s_cbranch_scc0 .LBB6324_47
; %bb.48:                               ;   in Loop: Header=BB6324_46 Depth=1
	global_load_dwordx2 v[8:9], v[6:7], off glc
	s_cmp_lt_u32 s10, 32
	s_cselect_b64 s[12:13], -1, 0
	s_cmp_lg_u64 s[12:13], 0
	s_addc_u32 s10, s10, 0
	s_waitcnt vmcnt(0)
	v_cmp_ne_u16_sdwa s[12:13], v9, v3 src0_sel:BYTE_0 src1_sel:DWORD
	s_or_b64 s[8:9], s[12:13], s[8:9]
	s_andn2_b64 exec, exec, s[8:9]
	s_cbranch_execnz .LBB6324_46
; %bb.49:
	s_or_b64 exec, exec, s[8:9]
.LBB6324_50:
	s_or_b64 exec, exec, s[6:7]
	v_and_b32_e32 v13, 63, v5
	v_cmp_ne_u32_e32 vcc, 63, v13
	v_addc_co_u32_e32 v14, vcc, 0, v5, vcc
	v_mov_b32_e32 v3, 2
	v_lshlrev_b32_e32 v14, 2, v14
	v_cmp_eq_u16_sdwa s[6:7], v9, v3 src0_sel:BYTE_0 src1_sel:DWORD
	v_lshlrev_b64 v[6:7], v5, -1
	ds_bpermute_b32 v15, v14, v8
	v_and_b32_e32 v10, s7, v7
	v_or_b32_e32 v10, 0x80000000, v10
	v_and_b32_e32 v11, s6, v6
	v_ffbl_b32_e32 v10, v10
	v_add_u32_e32 v10, 32, v10
	v_ffbl_b32_e32 v11, v11
	v_cmp_gt_u32_e64 s[6:7], 62, v13
	v_min_u32_e32 v10, v11, v10
	s_waitcnt lgkmcnt(0)
	v_add_f32_e32 v11, v8, v15
	v_cndmask_b32_e64 v15, 0, 1, s[6:7]
	v_cmp_lt_u32_e32 vcc, v13, v10
	v_lshlrev_b32_e32 v15, 1, v15
	v_cndmask_b32_e32 v11, v8, v11, vcc
	v_add_lshl_u32 v15, v15, v5, 2
	ds_bpermute_b32 v17, v15, v11
	v_add_u32_e32 v16, 2, v13
	v_cmp_gt_u32_e64 s[6:7], v16, v10
	v_cmp_gt_u32_e64 s[8:9], 56, v13
	v_add_u32_e32 v36, 4, v13
	s_waitcnt lgkmcnt(0)
	v_add_f32_e32 v17, v11, v17
	v_cndmask_b32_e64 v11, v17, v11, s[6:7]
	v_cmp_gt_u32_e64 s[6:7], 60, v13
	v_cndmask_b32_e64 v17, 0, 1, s[6:7]
	v_lshlrev_b32_e32 v17, 2, v17
	v_add_lshl_u32 v17, v17, v5, 2
	ds_bpermute_b32 v37, v17, v11
	v_cmp_gt_u32_e64 s[6:7], v36, v10
	v_add_u32_e32 v38, 8, v13
	v_cmp_gt_u32_e64 s[10:11], 48, v13
	v_cmp_gt_u32_e64 s[12:13], 32, v13
	s_waitcnt lgkmcnt(0)
	v_add_f32_e32 v41, v11, v37
	v_cndmask_b32_e64 v37, 0, 1, s[8:9]
	v_lshlrev_b32_e32 v37, 3, v37
	v_cndmask_b32_e64 v39, v41, v11, s[6:7]
	v_add_lshl_u32 v37, v37, v5, 2
	ds_bpermute_b32 v40, v37, v39
	v_cmp_gt_u32_e64 s[8:9], v38, v10
	v_cndmask_b32_e32 v8, v8, v11, vcc
	v_cndmask_b32_e64 v8, v41, v8, s[6:7]
	s_waitcnt lgkmcnt(0)
	v_add_f32_e32 v44, v39, v40
	v_cndmask_b32_e64 v42, v44, v39, s[8:9]
	v_cndmask_b32_e64 v39, 0, 1, s[10:11]
	v_lshlrev_b32_e32 v39, 4, v39
	v_add_lshl_u32 v39, v39, v5, 2
	ds_bpermute_b32 v43, v39, v42
	v_add_u32_e32 v40, 16, v13
	v_cmp_gt_u32_e64 s[10:11], v40, v10
	v_cndmask_b32_e64 v8, v44, v8, s[8:9]
	s_waitcnt lgkmcnt(0)
	v_add_f32_e32 v45, v42, v43
	v_cndmask_b32_e64 v46, v45, v42, s[10:11]
	v_cndmask_b32_e64 v42, 0, 1, s[12:13]
	v_lshlrev_b32_e32 v42, 5, v42
	v_add_lshl_u32 v42, v42, v5, 2
	ds_bpermute_b32 v5, v42, v46
	v_add_u32_e32 v43, 32, v13
	v_cndmask_b32_e64 v8, v45, v8, s[10:11]
	v_cmp_gt_u32_e32 vcc, v43, v10
	s_waitcnt lgkmcnt(0)
	v_add_f32_e32 v5, v46, v5
	v_cndmask_b32_e32 v8, v5, v8, vcc
	v_mov_b32_e32 v5, 0
	s_branch .LBB6324_52
.LBB6324_51:                            ;   in Loop: Header=BB6324_52 Depth=1
	s_or_b64 exec, exec, s[6:7]
	v_cmp_eq_u16_sdwa s[6:7], v9, v3 src0_sel:BYTE_0 src1_sel:DWORD
	v_and_b32_e32 v10, s7, v7
	ds_bpermute_b32 v44, v14, v8
	v_or_b32_e32 v10, 0x80000000, v10
	v_and_b32_e32 v11, s6, v6
	v_ffbl_b32_e32 v10, v10
	v_add_u32_e32 v10, 32, v10
	v_ffbl_b32_e32 v11, v11
	v_min_u32_e32 v10, v11, v10
	s_waitcnt lgkmcnt(0)
	v_add_f32_e32 v11, v8, v44
	v_cmp_lt_u32_e32 vcc, v13, v10
	v_cndmask_b32_e32 v11, v8, v11, vcc
	ds_bpermute_b32 v44, v15, v11
	v_cmp_gt_u32_e64 s[6:7], v16, v10
	v_cmp_gt_u32_e64 s[8:9], v38, v10
	;; [unrolled: 1-line block ×3, first 2 shown]
	v_subrev_u32_e32 v4, 64, v4
	s_waitcnt lgkmcnt(0)
	v_add_f32_e32 v44, v11, v44
	v_cndmask_b32_e64 v11, v44, v11, s[6:7]
	ds_bpermute_b32 v44, v17, v11
	v_cmp_gt_u32_e64 s[6:7], v36, v10
	v_cndmask_b32_e32 v8, v8, v11, vcc
	v_cmp_gt_u32_e32 vcc, v43, v10
	s_waitcnt lgkmcnt(0)
	v_add_f32_e32 v44, v11, v44
	v_cndmask_b32_e64 v45, v44, v11, s[6:7]
	ds_bpermute_b32 v46, v37, v45
	v_cndmask_b32_e64 v8, v44, v8, s[6:7]
	s_waitcnt lgkmcnt(0)
	v_add_f32_e32 v46, v45, v46
	v_cndmask_b32_e64 v45, v46, v45, s[8:9]
	ds_bpermute_b32 v47, v39, v45
	v_cndmask_b32_e64 v8, v46, v8, s[8:9]
	s_waitcnt lgkmcnt(0)
	v_add_f32_e32 v47, v45, v47
	v_cndmask_b32_e64 v45, v47, v45, s[10:11]
	ds_bpermute_b32 v48, v42, v45
	v_cndmask_b32_e64 v8, v47, v8, s[10:11]
	s_waitcnt lgkmcnt(0)
	v_add_f32_e32 v11, v45, v48
	v_cndmask_b32_e32 v8, v11, v8, vcc
	v_add_f32_e32 v8, v41, v8
.LBB6324_52:                            ; =>This Loop Header: Depth=1
                                        ;     Child Loop BB6324_55 Depth 2
                                        ;       Child Loop BB6324_56 Depth 3
	v_cmp_ne_u16_sdwa s[6:7], v9, v3 src0_sel:BYTE_0 src1_sel:DWORD
	v_cndmask_b32_e64 v9, 0, 1, s[6:7]
	;;#ASMSTART
	;;#ASMEND
	v_cmp_ne_u32_e32 vcc, 0, v9
	s_cmp_lg_u64 vcc, exec
	v_mov_b32_e32 v41, v8
	s_cbranch_scc1 .LBB6324_59
; %bb.53:                               ;   in Loop: Header=BB6324_52 Depth=1
	v_lshlrev_b64 v[8:9], 3, v[4:5]
	v_mov_b32_e32 v11, s15
	v_add_co_u32_e32 v10, vcc, s14, v8
	v_addc_co_u32_e32 v11, vcc, v11, v9, vcc
	global_load_dwordx2 v[8:9], v[10:11], off glc
	s_waitcnt vmcnt(0)
	v_cmp_eq_u16_sdwa s[8:9], v9, v5 src0_sel:BYTE_0 src1_sel:DWORD
	s_and_saveexec_b64 s[6:7], s[8:9]
	s_cbranch_execz .LBB6324_51
; %bb.54:                               ;   in Loop: Header=BB6324_52 Depth=1
	s_mov_b32 s10, 1
	s_mov_b64 s[8:9], 0
.LBB6324_55:                            ;   Parent Loop BB6324_52 Depth=1
                                        ; =>  This Loop Header: Depth=2
                                        ;       Child Loop BB6324_56 Depth 3
	s_max_u32 s11, s10, 1
.LBB6324_56:                            ;   Parent Loop BB6324_52 Depth=1
                                        ;     Parent Loop BB6324_55 Depth=2
                                        ; =>    This Inner Loop Header: Depth=3
	s_add_i32 s11, s11, -1
	s_cmp_eq_u32 s11, 0
	s_sleep 1
	s_cbranch_scc0 .LBB6324_56
; %bb.57:                               ;   in Loop: Header=BB6324_55 Depth=2
	global_load_dwordx2 v[8:9], v[10:11], off glc
	s_cmp_lt_u32 s10, 32
	s_cselect_b64 s[12:13], -1, 0
	s_cmp_lg_u64 s[12:13], 0
	s_addc_u32 s10, s10, 0
	s_waitcnt vmcnt(0)
	v_cmp_ne_u16_sdwa s[12:13], v9, v5 src0_sel:BYTE_0 src1_sel:DWORD
	s_or_b64 s[8:9], s[12:13], s[8:9]
	s_andn2_b64 exec, exec, s[8:9]
	s_cbranch_execnz .LBB6324_55
; %bb.58:                               ;   in Loop: Header=BB6324_52 Depth=1
	s_or_b64 exec, exec, s[8:9]
	s_branch .LBB6324_51
.LBB6324_59:                            ;   in Loop: Header=BB6324_52 Depth=1
                                        ; implicit-def: $vgpr8
                                        ; implicit-def: $vgpr9
	s_cbranch_execz .LBB6324_52
; %bb.60:
	s_and_saveexec_b64 s[6:7], s[4:5]
	s_cbranch_execz .LBB6324_62
; %bb.61:
	s_add_i32 s4, s40, 64
	s_mov_b32 s5, 0
	s_lshl_b64 s[4:5], s[4:5], 3
	s_add_u32 s4, s14, s4
	v_add_f32_e32 v2, v2, v41
	v_mov_b32_e32 v3, 2
	s_addc_u32 s5, s15, s5
	v_mov_b32_e32 v4, 0
	global_store_dwordx2 v4, v[2:3], s[4:5]
.LBB6324_62:
	s_or_b64 exec, exec, s[6:7]
	s_and_b64 exec, exec, s[0:1]
	s_cbranch_execz .LBB6324_64
; %bb.63:
	v_mov_b32_e32 v2, 0
	ds_write_b32 v2, v41
.LBB6324_64:
	s_or_b64 exec, exec, s[34:35]
	v_mov_b32_e32 v2, 0
	s_waitcnt lgkmcnt(0)
	s_barrier
	ds_read_b32 v2, v2
	s_waitcnt lgkmcnt(0)
	v_add_f32_e32 v3, v12, v2
	v_cndmask_b32_e64 v2, v3, v2, s[0:1]
	v_add_f32_e32 v3, v26, v2
	v_add_f32_e32 v4, v27, v3
	;; [unrolled: 1-line block ×13, first 2 shown]
	s_branch .LBB6324_75
.LBB6324_65:
                                        ; implicit-def: $vgpr2_vgpr3_vgpr4_vgpr5_vgpr6_vgpr7_vgpr8_vgpr9_vgpr10_vgpr11_vgpr12_vgpr13_vgpr14_vgpr15_vgpr16_vgpr17
	s_cbranch_execz .LBB6324_75
; %bb.66:
	s_cmp_eq_u64 s[20:21], 0
	v_mov_b32_e32 v16, s37
	s_cbranch_scc1 .LBB6324_68
; %bb.67:
	v_mov_b32_e32 v3, s39
	v_add_co_u32_e64 v2, vcc, -4, s38
	v_addc_co_u32_e32 v3, vcc, -1, v3, vcc
	flat_load_dword v2, v[2:3]
	v_mov_b32_e32 v3, 0
	global_load_dword v3, v3, s[16:17]
	s_waitcnt vmcnt(0) lgkmcnt(0)
	v_cvt_f32_u32_e32 v2, v2
	v_add_f32_e32 v16, v3, v2
.LBB6324_68:
	v_add_f32_e32 v2, v28, v35
	v_add_f32_e32 v2, v29, v2
	;; [unrolled: 1-line block ×12, first 2 shown]
	v_add_lshl_u32 v1, v1, v0, 2
	v_cmp_gt_u32_e32 vcc, 64, v0
	ds_write_b32 v1, v2
	s_waitcnt lgkmcnt(0)
	s_barrier
	s_and_saveexec_b64 s[8:9], vcc
	s_cbranch_execz .LBB6324_70
; %bb.69:
	v_lshlrev_b32_e32 v1, 1, v0
	v_lshrrev_b32_e32 v3, 4, v0
	v_add_lshl_u32 v1, v3, v1, 2
	ds_read2_b32 v[4:5], v1 offset1:1
	v_mbcnt_lo_u32_b32 v3, -1, 0
	v_mbcnt_hi_u32_b32 v3, -1, v3
	v_and_b32_e32 v6, 15, v3
	v_cmp_eq_u32_e32 vcc, 0, v6
	s_waitcnt lgkmcnt(0)
	v_add_f32_e32 v5, v4, v5
	v_cmp_lt_u32_e64 s[4:5], 3, v6
	v_cmp_lt_u32_e64 s[6:7], 31, v3
	v_mov_b32_dpp v7, v5 row_shr:1 row_mask:0xf bank_mask:0xf
	v_add_f32_e32 v7, v5, v7
	v_cndmask_b32_e32 v5, v7, v5, vcc
	v_cmp_lt_u32_e32 vcc, 1, v6
	s_nop 0
	v_mov_b32_dpp v7, v5 row_shr:2 row_mask:0xf bank_mask:0xf
	v_add_f32_e32 v7, v5, v7
	v_cndmask_b32_e32 v7, v5, v7, vcc
	; wave barrier
	s_nop 1
	v_mov_b32_dpp v8, v7 row_shr:4 row_mask:0xf bank_mask:0xf
	v_add_f32_e32 v8, v7, v8
	v_cndmask_b32_e64 v7, v7, v8, s[4:5]
	v_cmp_lt_u32_e64 s[4:5], 7, v6
	s_nop 0
	v_mov_b32_dpp v8, v7 row_shr:8 row_mask:0xf bank_mask:0xf
	v_add_f32_e32 v8, v7, v8
	v_cndmask_b32_e64 v6, v7, v8, s[4:5]
	v_and_b32_e32 v8, 16, v3
	v_cmp_eq_u32_e64 s[4:5], 0, v8
	v_mov_b32_dpp v7, v6 row_bcast:15 row_mask:0xf bank_mask:0xf
	v_add_f32_e32 v7, v6, v7
	v_cndmask_b32_e64 v6, v7, v6, s[4:5]
	v_cmp_lt_u32_e64 s[4:5], 15, v3
	s_or_b64 vcc, s[4:5], vcc
	v_mov_b32_dpp v7, v6 row_bcast:31 row_mask:0xf bank_mask:0xf
	v_add_f32_e32 v7, v6, v7
	v_cndmask_b32_e64 v6, v6, v7, s[6:7]
	v_cndmask_b32_e32 v5, v5, v6, vcc
	v_add_u32_e32 v6, -1, v3
	v_and_b32_e32 v7, 64, v3
	v_cmp_lt_i32_e32 vcc, v6, v7
	v_cndmask_b32_e32 v3, v6, v3, vcc
	v_lshlrev_b32_e32 v3, 2, v3
	ds_bpermute_b32 v3, v3, v5
	s_waitcnt lgkmcnt(0)
	v_add_f32_e32 v3, v4, v3
	v_cndmask_b32_e64 v2, v3, v2, s[0:1]
	ds_write_b32 v1, v2
	; wave barrier
	ds_read_b32 v3, v1 offset:4
	s_waitcnt lgkmcnt(0)
	v_add_f32_e32 v2, v2, v3
	ds_write_b32 v1, v2 offset:4
.LBB6324_70:
	s_or_b64 exec, exec, s[8:9]
	v_mov_b32_e32 v2, v16
	s_waitcnt lgkmcnt(0)
	s_barrier
	s_and_saveexec_b64 s[4:5], s[2:3]
	s_cbranch_execz .LBB6324_72
; %bb.71:
	v_add_u32_e32 v1, -1, v0
	v_lshrrev_b32_e32 v2, 5, v1
	v_add_lshl_u32 v1, v2, v1, 2
	ds_read_b32 v1, v1
	s_waitcnt lgkmcnt(0)
	v_add_f32_e32 v2, v16, v1
.LBB6324_72:
	s_or_b64 exec, exec, s[4:5]
	v_add_f32_e32 v3, v26, v2
	v_add_f32_e32 v4, v27, v3
	;; [unrolled: 1-line block ×13, first 2 shown]
	s_and_saveexec_b64 s[2:3], s[0:1]
	s_cbranch_execz .LBB6324_74
; %bb.73:
	v_mov_b32_e32 v1, 0
	ds_read_b32 v17, v1 offset:520
	s_waitcnt lgkmcnt(0)
	v_add_f32_e32 v16, v16, v17
	v_mov_b32_e32 v17, 2
	global_store_dwordx2 v1, v[16:17], s[14:15] offset:512
.LBB6324_74:
	s_or_b64 exec, exec, s[2:3]
.LBB6324_75:
	s_add_u32 s0, s28, s26
	s_addc_u32 s1, s29, s27
	s_add_u32 s2, s0, s30
	s_addc_u32 s3, s1, s31
	s_mov_b64 s[0:1], -1
	s_and_b64 vcc, exec, s[24:25]
	s_barrier
	s_cbranch_vccz .LBB6324_77
; %bb.76:
	v_mov_b32_e32 v1, s3
	v_add_co_u32_e32 v30, vcc, s2, v32
	ds_write2_b64 v34, v[2:3], v[4:5] offset1:1
	ds_write2_b64 v34, v[6:7], v[8:9] offset0:2 offset1:3
	ds_write2_b64 v34, v[10:11], v[12:13] offset0:4 offset1:5
	ds_write_b64 v34, v[14:15] offset:48
	s_waitcnt lgkmcnt(0)
	s_barrier
	ds_read2st64_b32 v[16:17], v32 offset1:2
	ds_read2st64_b32 v[18:19], v32 offset0:4 offset1:6
	ds_read2st64_b32 v[20:21], v32 offset0:8 offset1:10
	;; [unrolled: 1-line block ×6, first 2 shown]
	v_addc_co_u32_e32 v31, vcc, 0, v1, vcc
	s_waitcnt lgkmcnt(6)
	v_cvt_i32_f32_e32 v1, v16
	v_cvt_i32_f32_e32 v16, v17
	s_waitcnt lgkmcnt(5)
	v_cvt_i32_f32_e32 v17, v18
	v_cvt_i32_f32_e32 v18, v19
	flat_store_dword v[30:31], v1
	flat_store_dword v[30:31], v16 offset:512
	flat_store_dword v[30:31], v17 offset:1024
	;; [unrolled: 1-line block ×3, first 2 shown]
	s_waitcnt lgkmcnt(0)
	v_cvt_i32_f32_e32 v1, v20
	v_cvt_i32_f32_e32 v16, v21
	;; [unrolled: 1-line block ×4, first 2 shown]
	flat_store_dword v[30:31], v1 offset:2048
	flat_store_dword v[30:31], v16 offset:2560
	;; [unrolled: 1-line block ×4, first 2 shown]
	v_cvt_i32_f32_e32 v1, v24
	s_movk_i32 s0, 0x1000
	v_cvt_i32_f32_e32 v18, v25
	v_add_co_u32_e32 v16, vcc, s0, v30
	v_addc_co_u32_e32 v17, vcc, 0, v31, vcc
	flat_store_dword v[16:17], v1
	flat_store_dword v[16:17], v18 offset:512
	v_cvt_i32_f32_e32 v1, v26
	v_cvt_i32_f32_e32 v18, v27
	;; [unrolled: 1-line block ×4, first 2 shown]
	flat_store_dword v[16:17], v1 offset:1024
	flat_store_dword v[16:17], v18 offset:1536
	;; [unrolled: 1-line block ×4, first 2 shown]
	s_mov_b64 s[0:1], 0
.LBB6324_77:
	s_andn2_b64 vcc, exec, s[0:1]
	s_cbranch_vccnz .LBB6324_157
; %bb.78:
	s_movk_i32 s0, 0xffcc
	ds_write2_b64 v34, v[2:3], v[4:5] offset1:1
	ds_write2_b64 v34, v[6:7], v[8:9] offset0:2 offset1:3
	ds_write2_b64 v34, v[10:11], v[12:13] offset0:4 offset1:5
	ds_write_b64 v34, v[14:15] offset:48
	v_mad_i32_i24 v14, v0, s0, v34
	s_waitcnt lgkmcnt(0)
	s_barrier
	ds_read2st64_b32 v[4:5], v14 offset1:2
	ds_read2st64_b32 v[6:7], v14 offset0:4 offset1:6
	ds_read2st64_b32 v[8:9], v14 offset0:8 offset1:10
	;; [unrolled: 1-line block ×6, first 2 shown]
	v_mov_b32_e32 v17, s3
	v_add_co_u32_e32 v16, vcc, s2, v32
	v_addc_co_u32_e32 v17, vcc, 0, v17, vcc
	v_mov_b32_e32 v1, 0
	v_cmp_gt_u32_e32 vcc, s33, v0
	s_and_saveexec_b64 s[0:1], vcc
	s_cbranch_execz .LBB6324_80
; %bb.79:
	s_waitcnt lgkmcnt(0)
	v_cvt_i32_f32_e32 v18, v4
	flat_store_dword v[16:17], v18
.LBB6324_80:
	s_or_b64 exec, exec, s[0:1]
	v_or_b32_e32 v18, 0x80, v0
	v_cmp_gt_u32_e32 vcc, s33, v18
	s_and_saveexec_b64 s[0:1], vcc
	s_cbranch_execz .LBB6324_82
; %bb.81:
	s_waitcnt lgkmcnt(0)
	v_cvt_i32_f32_e32 v18, v5
	flat_store_dword v[16:17], v18 offset:512
.LBB6324_82:
	s_or_b64 exec, exec, s[0:1]
	v_or_b32_e32 v18, 0x100, v0
	v_cmp_gt_u32_e32 vcc, s33, v18
	s_and_saveexec_b64 s[0:1], vcc
	s_cbranch_execz .LBB6324_84
; %bb.83:
	s_waitcnt lgkmcnt(0)
	v_cvt_i32_f32_e32 v18, v6
	flat_store_dword v[16:17], v18 offset:1024
.LBB6324_84:
	s_or_b64 exec, exec, s[0:1]
	v_or_b32_e32 v18, 0x180, v0
	v_cmp_gt_u32_e32 vcc, s33, v18
	s_and_saveexec_b64 s[0:1], vcc
	s_cbranch_execz .LBB6324_86
; %bb.85:
	s_waitcnt lgkmcnt(0)
	v_cvt_i32_f32_e32 v18, v7
	flat_store_dword v[16:17], v18 offset:1536
.LBB6324_86:
	s_or_b64 exec, exec, s[0:1]
	v_or_b32_e32 v18, 0x200, v0
	v_cmp_gt_u32_e32 vcc, s33, v18
	s_and_saveexec_b64 s[0:1], vcc
	s_cbranch_execz .LBB6324_88
; %bb.87:
	s_waitcnt lgkmcnt(0)
	v_cvt_i32_f32_e32 v18, v8
	flat_store_dword v[16:17], v18 offset:2048
.LBB6324_88:
	s_or_b64 exec, exec, s[0:1]
	v_or_b32_e32 v18, 0x280, v0
	v_cmp_gt_u32_e32 vcc, s33, v18
	s_and_saveexec_b64 s[0:1], vcc
	s_cbranch_execz .LBB6324_90
; %bb.89:
	s_waitcnt lgkmcnt(0)
	v_cvt_i32_f32_e32 v18, v9
	flat_store_dword v[16:17], v18 offset:2560
.LBB6324_90:
	s_or_b64 exec, exec, s[0:1]
	v_or_b32_e32 v18, 0x300, v0
	v_cmp_gt_u32_e32 vcc, s33, v18
	s_and_saveexec_b64 s[0:1], vcc
	s_cbranch_execz .LBB6324_92
; %bb.91:
	s_waitcnt lgkmcnt(0)
	v_cvt_i32_f32_e32 v18, v2
	flat_store_dword v[16:17], v18 offset:3072
.LBB6324_92:
	s_or_b64 exec, exec, s[0:1]
	v_or_b32_e32 v18, 0x380, v0
	v_cmp_gt_u32_e32 vcc, s33, v18
	s_and_saveexec_b64 s[0:1], vcc
	s_cbranch_execz .LBB6324_94
; %bb.93:
	s_waitcnt lgkmcnt(0)
	v_cvt_i32_f32_e32 v18, v3
	flat_store_dword v[16:17], v18 offset:3584
.LBB6324_94:
	s_or_b64 exec, exec, s[0:1]
	v_or_b32_e32 v18, 0x400, v0
	v_cmp_gt_u32_e32 vcc, s33, v18
	s_and_saveexec_b64 s[0:1], vcc
	s_cbranch_execz .LBB6324_96
; %bb.95:
	s_waitcnt lgkmcnt(0)
	v_cvt_i32_f32_e32 v20, v12
	v_add_co_u32_e32 v18, vcc, 0x1000, v16
	v_addc_co_u32_e32 v19, vcc, 0, v17, vcc
	flat_store_dword v[18:19], v20
.LBB6324_96:
	s_or_b64 exec, exec, s[0:1]
	v_or_b32_e32 v18, 0x480, v0
	v_cmp_gt_u32_e32 vcc, s33, v18
	s_and_saveexec_b64 s[0:1], vcc
	s_cbranch_execz .LBB6324_98
; %bb.97:
	s_waitcnt lgkmcnt(0)
	v_cvt_i32_f32_e32 v20, v13
	v_add_co_u32_e32 v18, vcc, 0x1000, v16
	v_addc_co_u32_e32 v19, vcc, 0, v17, vcc
	flat_store_dword v[18:19], v20 offset:512
.LBB6324_98:
	s_or_b64 exec, exec, s[0:1]
	v_or_b32_e32 v18, 0x500, v0
	v_cmp_gt_u32_e32 vcc, s33, v18
	s_and_saveexec_b64 s[0:1], vcc
	s_cbranch_execz .LBB6324_100
; %bb.99:
	s_waitcnt lgkmcnt(0)
	v_cvt_i32_f32_e32 v20, v10
	v_add_co_u32_e32 v18, vcc, 0x1000, v16
	v_addc_co_u32_e32 v19, vcc, 0, v17, vcc
	flat_store_dword v[18:19], v20 offset:1024
.LBB6324_100:
	;; [unrolled: 12-line block ×5, first 2 shown]
	s_or_b64 exec, exec, s[0:1]
	v_cmp_lt_u64_e64 s[0:1], s[22:23], 2
	s_and_b64 vcc, exec, s[0:1]
	s_cbranch_vccnz .LBB6324_157
; %bb.107:
	s_add_u32 s0, s33, -1
	s_addc_u32 s1, s36, -1
	s_add_u32 s2, 0, 0x49240800
	s_addc_u32 s3, 0, 50
	s_add_i32 s3, s3, 0x12492460
	s_mul_hi_u32 s7, s2, -14
	s_sub_i32 s7, s7, s2
	s_mul_i32 s8, s3, -14
	s_mul_i32 s4, s2, -14
	s_add_i32 s7, s7, s8
	s_mul_hi_u32 s5, s3, s4
	s_mul_i32 s6, s3, s4
	s_mul_i32 s9, s2, s7
	s_mul_hi_u32 s4, s2, s4
	s_mul_hi_u32 s8, s2, s7
	s_add_u32 s4, s4, s9
	s_addc_u32 s8, 0, s8
	s_add_u32 s4, s4, s6
	s_mul_hi_u32 s9, s3, s7
	s_addc_u32 s4, s8, s5
	s_addc_u32 s5, s9, 0
	s_mul_i32 s6, s3, s7
	s_add_u32 s4, s4, s6
	v_mov_b32_e32 v16, s4
	s_addc_u32 s5, 0, s5
	v_add_co_u32_e32 v16, vcc, s2, v16
	s_cmp_lg_u64 vcc, 0
	s_addc_u32 s2, s3, s5
	v_readfirstlane_b32 s5, v16
	s_mul_i32 s4, s0, s2
	s_mul_hi_u32 s6, s0, s5
	s_mul_hi_u32 s3, s0, s2
	s_add_u32 s4, s6, s4
	s_addc_u32 s3, 0, s3
	s_mul_hi_u32 s7, s1, s5
	s_mul_i32 s5, s1, s5
	s_add_u32 s4, s4, s5
	s_mul_hi_u32 s6, s1, s2
	s_addc_u32 s3, s3, s7
	s_addc_u32 s4, s6, 0
	s_mul_i32 s2, s1, s2
	s_add_u32 s2, s3, s2
	s_addc_u32 s3, 0, s4
	s_add_u32 s4, s2, 1
	s_addc_u32 s5, s3, 0
	s_add_u32 s6, s2, 2
	s_mul_i32 s8, s3, 14
	s_mul_hi_u32 s9, s2, 14
	s_addc_u32 s7, s3, 0
	s_add_i32 s9, s9, s8
	s_mul_i32 s8, s2, 14
	v_mov_b32_e32 v16, s8
	v_sub_co_u32_e32 v16, vcc, s0, v16
	s_cmp_lg_u64 vcc, 0
	s_subb_u32 s8, s1, s9
	v_subrev_co_u32_e32 v17, vcc, 14, v16
	s_cmp_lg_u64 vcc, 0
	s_subb_u32 s9, s8, 0
	v_readfirstlane_b32 s10, v17
	s_cmp_gt_u32 s10, 13
	s_cselect_b32 s10, -1, 0
	s_cmp_eq_u32 s9, 0
	s_cselect_b32 s9, s10, -1
	s_cmp_lg_u32 s9, 0
	s_cselect_b32 s4, s6, s4
	v_readfirstlane_b32 s6, v16
	s_cselect_b32 s5, s7, s5
	s_cmp_gt_u32 s6, 13
	s_cselect_b32 s6, -1, 0
	s_cmp_eq_u32 s8, 0
	s_cselect_b32 s6, s6, -1
	s_cmp_lg_u32 s6, 0
	s_cselect_b32 s3, s5, s3
	s_cselect_b32 s2, s4, s2
	v_cmp_eq_u64_e32 vcc, s[2:3], v[0:1]
	s_and_saveexec_b64 s[2:3], vcc
	s_cbranch_execz .LBB6324_157
; %bb.108:
	v_mul_hi_u32_u24_e32 v1, 14, v0
	v_mov_b32_e32 v16, s1
	v_sub_co_u32_e32 v0, vcc, s0, v33
	v_subb_co_u32_e32 v1, vcc, v16, v1, vcc
	v_cmp_lt_i64_e32 vcc, 6, v[0:1]
	s_and_saveexec_b64 s[0:1], vcc
	s_xor_b64 s[0:1], exec, s[0:1]
	s_cbranch_execz .LBB6324_134
; %bb.109:
	v_cmp_lt_i64_e32 vcc, 9, v[0:1]
	s_and_saveexec_b64 s[2:3], vcc
	s_xor_b64 s[2:3], exec, s[2:3]
	s_cbranch_execz .LBB6324_123
; %bb.110:
	;; [unrolled: 5-line block ×4, first 2 shown]
	v_mov_b32_e32 v0, 0
	s_waitcnt lgkmcnt(0)
	global_store_dword v0, v15, s[18:19]
                                        ; implicit-def: $vgpr14_vgpr15
.LBB6324_113:
	s_andn2_saveexec_b64 s[6:7], s[6:7]
	s_cbranch_execz .LBB6324_115
; %bb.114:
	v_mov_b32_e32 v0, 0
	s_waitcnt lgkmcnt(0)
	global_store_dword v0, v14, s[18:19]
.LBB6324_115:
	s_or_b64 exec, exec, s[6:7]
                                        ; implicit-def: $vgpr10_vgpr11
                                        ; implicit-def: $vgpr0_vgpr1
.LBB6324_116:
	s_andn2_saveexec_b64 s[4:5], s[4:5]
	s_cbranch_execz .LBB6324_122
; %bb.117:
	v_cmp_lt_i64_e32 vcc, 10, v[0:1]
	s_and_saveexec_b64 s[6:7], vcc
	s_xor_b64 s[6:7], exec, s[6:7]
	s_cbranch_execz .LBB6324_119
; %bb.118:
	v_mov_b32_e32 v0, 0
	s_waitcnt lgkmcnt(0)
	global_store_dword v0, v11, s[18:19]
                                        ; implicit-def: $vgpr10_vgpr11
.LBB6324_119:
	s_andn2_saveexec_b64 s[6:7], s[6:7]
	s_cbranch_execz .LBB6324_121
; %bb.120:
	v_mov_b32_e32 v0, 0
	s_waitcnt lgkmcnt(0)
	global_store_dword v0, v10, s[18:19]
.LBB6324_121:
	s_or_b64 exec, exec, s[6:7]
.LBB6324_122:
	s_or_b64 exec, exec, s[4:5]
                                        ; implicit-def: $vgpr2_vgpr3
                                        ; implicit-def: $vgpr0_vgpr1
                                        ; implicit-def: $vgpr12_vgpr13
.LBB6324_123:
	s_andn2_saveexec_b64 s[2:3], s[2:3]
	s_cbranch_execz .LBB6324_133
; %bb.124:
	v_cmp_lt_i64_e32 vcc, 7, v[0:1]
	s_and_saveexec_b64 s[4:5], vcc
	s_xor_b64 s[4:5], exec, s[4:5]
	s_cbranch_execz .LBB6324_130
; %bb.125:
	v_cmp_lt_i64_e32 vcc, 8, v[0:1]
	s_and_saveexec_b64 s[6:7], vcc
	s_xor_b64 s[6:7], exec, s[6:7]
	s_cbranch_execz .LBB6324_127
; %bb.126:
	v_mov_b32_e32 v0, 0
	s_waitcnt lgkmcnt(0)
	global_store_dword v0, v13, s[18:19]
                                        ; implicit-def: $vgpr12_vgpr13
.LBB6324_127:
	s_andn2_saveexec_b64 s[6:7], s[6:7]
	s_cbranch_execz .LBB6324_129
; %bb.128:
	v_mov_b32_e32 v0, 0
	s_waitcnt lgkmcnt(0)
	global_store_dword v0, v12, s[18:19]
.LBB6324_129:
	s_or_b64 exec, exec, s[6:7]
                                        ; implicit-def: $vgpr2_vgpr3
.LBB6324_130:
	s_andn2_saveexec_b64 s[4:5], s[4:5]
	s_cbranch_execz .LBB6324_132
; %bb.131:
	v_mov_b32_e32 v0, 0
	s_waitcnt lgkmcnt(0)
	global_store_dword v0, v3, s[18:19]
.LBB6324_132:
	s_or_b64 exec, exec, s[4:5]
.LBB6324_133:
	s_or_b64 exec, exec, s[2:3]
                                        ; implicit-def: $vgpr0_vgpr1
                                        ; implicit-def: $vgpr8_vgpr9
                                        ; implicit-def: $vgpr4_vgpr5
                                        ; implicit-def: $vgpr6_vgpr7
                                        ; implicit-def: $vgpr2_vgpr3
.LBB6324_134:
	s_andn2_saveexec_b64 s[0:1], s[0:1]
	s_cbranch_execz .LBB6324_157
; %bb.135:
	v_cmp_lt_i64_e32 vcc, 3, v[0:1]
	s_and_saveexec_b64 s[0:1], vcc
	s_xor_b64 s[0:1], exec, s[0:1]
	s_cbranch_execz .LBB6324_145
; %bb.136:
	v_cmp_lt_i64_e32 vcc, 4, v[0:1]
	s_and_saveexec_b64 s[2:3], vcc
	s_xor_b64 s[2:3], exec, s[2:3]
	s_cbranch_execz .LBB6324_142
; %bb.137:
	v_cmp_lt_i64_e32 vcc, 5, v[0:1]
	s_and_saveexec_b64 s[4:5], vcc
	s_xor_b64 s[4:5], exec, s[4:5]
	s_cbranch_execz .LBB6324_139
; %bb.138:
	v_mov_b32_e32 v0, 0
	s_waitcnt lgkmcnt(0)
	global_store_dword v0, v2, s[18:19]
                                        ; implicit-def: $vgpr8_vgpr9
.LBB6324_139:
	s_andn2_saveexec_b64 s[4:5], s[4:5]
	s_cbranch_execz .LBB6324_141
; %bb.140:
	v_mov_b32_e32 v0, 0
	s_waitcnt lgkmcnt(0)
	global_store_dword v0, v9, s[18:19]
.LBB6324_141:
	s_or_b64 exec, exec, s[4:5]
                                        ; implicit-def: $vgpr8_vgpr9
.LBB6324_142:
	s_andn2_saveexec_b64 s[2:3], s[2:3]
	s_cbranch_execz .LBB6324_144
; %bb.143:
	v_mov_b32_e32 v0, 0
	s_waitcnt lgkmcnt(0)
	global_store_dword v0, v8, s[18:19]
.LBB6324_144:
	s_or_b64 exec, exec, s[2:3]
                                        ; implicit-def: $vgpr0_vgpr1
                                        ; implicit-def: $vgpr4_vgpr5
                                        ; implicit-def: $vgpr6_vgpr7
.LBB6324_145:
	s_andn2_saveexec_b64 s[0:1], s[0:1]
	s_cbranch_execz .LBB6324_157
; %bb.146:
	v_cmp_lt_i64_e32 vcc, 1, v[0:1]
	s_and_saveexec_b64 s[0:1], vcc
	s_xor_b64 s[0:1], exec, s[0:1]
	s_cbranch_execz .LBB6324_152
; %bb.147:
	v_cmp_lt_i64_e32 vcc, 2, v[0:1]
	s_and_saveexec_b64 s[2:3], vcc
	s_xor_b64 s[2:3], exec, s[2:3]
	s_cbranch_execz .LBB6324_149
; %bb.148:
	v_mov_b32_e32 v0, 0
	s_waitcnt lgkmcnt(0)
	global_store_dword v0, v7, s[18:19]
                                        ; implicit-def: $vgpr6_vgpr7
.LBB6324_149:
	s_andn2_saveexec_b64 s[2:3], s[2:3]
	s_cbranch_execz .LBB6324_151
; %bb.150:
	v_mov_b32_e32 v0, 0
	s_waitcnt lgkmcnt(0)
	global_store_dword v0, v6, s[18:19]
.LBB6324_151:
	s_or_b64 exec, exec, s[2:3]
                                        ; implicit-def: $vgpr4_vgpr5
                                        ; implicit-def: $vgpr0_vgpr1
.LBB6324_152:
	s_andn2_saveexec_b64 s[0:1], s[0:1]
	s_cbranch_execz .LBB6324_157
; %bb.153:
	v_cmp_ne_u64_e32 vcc, 1, v[0:1]
	s_and_saveexec_b64 s[0:1], vcc
	s_xor_b64 s[0:1], exec, s[0:1]
	s_cbranch_execz .LBB6324_155
; %bb.154:
	v_mov_b32_e32 v0, 0
	s_waitcnt lgkmcnt(0)
	global_store_dword v0, v4, s[18:19]
                                        ; implicit-def: $vgpr4_vgpr5
.LBB6324_155:
	s_andn2_saveexec_b64 s[0:1], s[0:1]
	s_cbranch_execz .LBB6324_157
; %bb.156:
	v_mov_b32_e32 v0, 0
	s_waitcnt lgkmcnt(0)
	global_store_dword v0, v5, s[18:19]
.LBB6324_157:
	s_endpgm
	.section	.rodata,"a",@progbits
	.p2align	6, 0x0
	.amdhsa_kernel _ZN7rocprim17ROCPRIM_400000_NS6detail17trampoline_kernelINS0_14default_configENS1_20scan_config_selectorIfEEZZNS1_9scan_implILNS1_25lookback_scan_determinismE0ELb1ELb1ES3_N6thrust23THRUST_200600_302600_NS6detail15normal_iteratorINS9_10device_ptrIjEEEENSB_INSC_IiEEEEfNS9_4plusIvEEfEEDaPvRmT3_T4_T5_mT6_P12ihipStream_tbENKUlT_T0_E_clISt17integral_constantIbLb1EESW_EEDaSR_SS_EUlSR_E_NS1_11comp_targetILNS1_3genE4ELNS1_11target_archE910ELNS1_3gpuE8ELNS1_3repE0EEENS1_30default_config_static_selectorELNS0_4arch9wavefront6targetE1EEEvT1_
		.amdhsa_group_segment_fixed_size 7168
		.amdhsa_private_segment_fixed_size 0
		.amdhsa_kernarg_size 96
		.amdhsa_user_sgpr_count 6
		.amdhsa_user_sgpr_private_segment_buffer 1
		.amdhsa_user_sgpr_dispatch_ptr 0
		.amdhsa_user_sgpr_queue_ptr 0
		.amdhsa_user_sgpr_kernarg_segment_ptr 1
		.amdhsa_user_sgpr_dispatch_id 0
		.amdhsa_user_sgpr_flat_scratch_init 0
		.amdhsa_user_sgpr_kernarg_preload_length 0
		.amdhsa_user_sgpr_kernarg_preload_offset 0
		.amdhsa_user_sgpr_private_segment_size 0
		.amdhsa_uses_dynamic_stack 0
		.amdhsa_system_sgpr_private_segment_wavefront_offset 0
		.amdhsa_system_sgpr_workgroup_id_x 1
		.amdhsa_system_sgpr_workgroup_id_y 0
		.amdhsa_system_sgpr_workgroup_id_z 0
		.amdhsa_system_sgpr_workgroup_info 0
		.amdhsa_system_vgpr_workitem_id 0
		.amdhsa_next_free_vgpr 49
		.amdhsa_next_free_sgpr 41
		.amdhsa_accum_offset 52
		.amdhsa_reserve_vcc 1
		.amdhsa_reserve_flat_scratch 0
		.amdhsa_float_round_mode_32 0
		.amdhsa_float_round_mode_16_64 0
		.amdhsa_float_denorm_mode_32 3
		.amdhsa_float_denorm_mode_16_64 3
		.amdhsa_dx10_clamp 1
		.amdhsa_ieee_mode 1
		.amdhsa_fp16_overflow 0
		.amdhsa_tg_split 0
		.amdhsa_exception_fp_ieee_invalid_op 0
		.amdhsa_exception_fp_denorm_src 0
		.amdhsa_exception_fp_ieee_div_zero 0
		.amdhsa_exception_fp_ieee_overflow 0
		.amdhsa_exception_fp_ieee_underflow 0
		.amdhsa_exception_fp_ieee_inexact 0
		.amdhsa_exception_int_div_zero 0
	.end_amdhsa_kernel
	.section	.text._ZN7rocprim17ROCPRIM_400000_NS6detail17trampoline_kernelINS0_14default_configENS1_20scan_config_selectorIfEEZZNS1_9scan_implILNS1_25lookback_scan_determinismE0ELb1ELb1ES3_N6thrust23THRUST_200600_302600_NS6detail15normal_iteratorINS9_10device_ptrIjEEEENSB_INSC_IiEEEEfNS9_4plusIvEEfEEDaPvRmT3_T4_T5_mT6_P12ihipStream_tbENKUlT_T0_E_clISt17integral_constantIbLb1EESW_EEDaSR_SS_EUlSR_E_NS1_11comp_targetILNS1_3genE4ELNS1_11target_archE910ELNS1_3gpuE8ELNS1_3repE0EEENS1_30default_config_static_selectorELNS0_4arch9wavefront6targetE1EEEvT1_,"axG",@progbits,_ZN7rocprim17ROCPRIM_400000_NS6detail17trampoline_kernelINS0_14default_configENS1_20scan_config_selectorIfEEZZNS1_9scan_implILNS1_25lookback_scan_determinismE0ELb1ELb1ES3_N6thrust23THRUST_200600_302600_NS6detail15normal_iteratorINS9_10device_ptrIjEEEENSB_INSC_IiEEEEfNS9_4plusIvEEfEEDaPvRmT3_T4_T5_mT6_P12ihipStream_tbENKUlT_T0_E_clISt17integral_constantIbLb1EESW_EEDaSR_SS_EUlSR_E_NS1_11comp_targetILNS1_3genE4ELNS1_11target_archE910ELNS1_3gpuE8ELNS1_3repE0EEENS1_30default_config_static_selectorELNS0_4arch9wavefront6targetE1EEEvT1_,comdat
.Lfunc_end6324:
	.size	_ZN7rocprim17ROCPRIM_400000_NS6detail17trampoline_kernelINS0_14default_configENS1_20scan_config_selectorIfEEZZNS1_9scan_implILNS1_25lookback_scan_determinismE0ELb1ELb1ES3_N6thrust23THRUST_200600_302600_NS6detail15normal_iteratorINS9_10device_ptrIjEEEENSB_INSC_IiEEEEfNS9_4plusIvEEfEEDaPvRmT3_T4_T5_mT6_P12ihipStream_tbENKUlT_T0_E_clISt17integral_constantIbLb1EESW_EEDaSR_SS_EUlSR_E_NS1_11comp_targetILNS1_3genE4ELNS1_11target_archE910ELNS1_3gpuE8ELNS1_3repE0EEENS1_30default_config_static_selectorELNS0_4arch9wavefront6targetE1EEEvT1_, .Lfunc_end6324-_ZN7rocprim17ROCPRIM_400000_NS6detail17trampoline_kernelINS0_14default_configENS1_20scan_config_selectorIfEEZZNS1_9scan_implILNS1_25lookback_scan_determinismE0ELb1ELb1ES3_N6thrust23THRUST_200600_302600_NS6detail15normal_iteratorINS9_10device_ptrIjEEEENSB_INSC_IiEEEEfNS9_4plusIvEEfEEDaPvRmT3_T4_T5_mT6_P12ihipStream_tbENKUlT_T0_E_clISt17integral_constantIbLb1EESW_EEDaSR_SS_EUlSR_E_NS1_11comp_targetILNS1_3genE4ELNS1_11target_archE910ELNS1_3gpuE8ELNS1_3repE0EEENS1_30default_config_static_selectorELNS0_4arch9wavefront6targetE1EEEvT1_
                                        ; -- End function
	.section	.AMDGPU.csdata,"",@progbits
; Kernel info:
; codeLenInByte = 6052
; NumSgprs: 45
; NumVgprs: 49
; NumAgprs: 0
; TotalNumVgprs: 49
; ScratchSize: 0
; MemoryBound: 0
; FloatMode: 240
; IeeeMode: 1
; LDSByteSize: 7168 bytes/workgroup (compile time only)
; SGPRBlocks: 5
; VGPRBlocks: 6
; NumSGPRsForWavesPerEU: 45
; NumVGPRsForWavesPerEU: 49
; AccumOffset: 52
; Occupancy: 5
; WaveLimiterHint : 1
; COMPUTE_PGM_RSRC2:SCRATCH_EN: 0
; COMPUTE_PGM_RSRC2:USER_SGPR: 6
; COMPUTE_PGM_RSRC2:TRAP_HANDLER: 0
; COMPUTE_PGM_RSRC2:TGID_X_EN: 1
; COMPUTE_PGM_RSRC2:TGID_Y_EN: 0
; COMPUTE_PGM_RSRC2:TGID_Z_EN: 0
; COMPUTE_PGM_RSRC2:TIDIG_COMP_CNT: 0
; COMPUTE_PGM_RSRC3_GFX90A:ACCUM_OFFSET: 12
; COMPUTE_PGM_RSRC3_GFX90A:TG_SPLIT: 0
	.section	.text._ZN7rocprim17ROCPRIM_400000_NS6detail17trampoline_kernelINS0_14default_configENS1_20scan_config_selectorIfEEZZNS1_9scan_implILNS1_25lookback_scan_determinismE0ELb1ELb1ES3_N6thrust23THRUST_200600_302600_NS6detail15normal_iteratorINS9_10device_ptrIjEEEENSB_INSC_IiEEEEfNS9_4plusIvEEfEEDaPvRmT3_T4_T5_mT6_P12ihipStream_tbENKUlT_T0_E_clISt17integral_constantIbLb1EESW_EEDaSR_SS_EUlSR_E_NS1_11comp_targetILNS1_3genE3ELNS1_11target_archE908ELNS1_3gpuE7ELNS1_3repE0EEENS1_30default_config_static_selectorELNS0_4arch9wavefront6targetE1EEEvT1_,"axG",@progbits,_ZN7rocprim17ROCPRIM_400000_NS6detail17trampoline_kernelINS0_14default_configENS1_20scan_config_selectorIfEEZZNS1_9scan_implILNS1_25lookback_scan_determinismE0ELb1ELb1ES3_N6thrust23THRUST_200600_302600_NS6detail15normal_iteratorINS9_10device_ptrIjEEEENSB_INSC_IiEEEEfNS9_4plusIvEEfEEDaPvRmT3_T4_T5_mT6_P12ihipStream_tbENKUlT_T0_E_clISt17integral_constantIbLb1EESW_EEDaSR_SS_EUlSR_E_NS1_11comp_targetILNS1_3genE3ELNS1_11target_archE908ELNS1_3gpuE7ELNS1_3repE0EEENS1_30default_config_static_selectorELNS0_4arch9wavefront6targetE1EEEvT1_,comdat
	.protected	_ZN7rocprim17ROCPRIM_400000_NS6detail17trampoline_kernelINS0_14default_configENS1_20scan_config_selectorIfEEZZNS1_9scan_implILNS1_25lookback_scan_determinismE0ELb1ELb1ES3_N6thrust23THRUST_200600_302600_NS6detail15normal_iteratorINS9_10device_ptrIjEEEENSB_INSC_IiEEEEfNS9_4plusIvEEfEEDaPvRmT3_T4_T5_mT6_P12ihipStream_tbENKUlT_T0_E_clISt17integral_constantIbLb1EESW_EEDaSR_SS_EUlSR_E_NS1_11comp_targetILNS1_3genE3ELNS1_11target_archE908ELNS1_3gpuE7ELNS1_3repE0EEENS1_30default_config_static_selectorELNS0_4arch9wavefront6targetE1EEEvT1_ ; -- Begin function _ZN7rocprim17ROCPRIM_400000_NS6detail17trampoline_kernelINS0_14default_configENS1_20scan_config_selectorIfEEZZNS1_9scan_implILNS1_25lookback_scan_determinismE0ELb1ELb1ES3_N6thrust23THRUST_200600_302600_NS6detail15normal_iteratorINS9_10device_ptrIjEEEENSB_INSC_IiEEEEfNS9_4plusIvEEfEEDaPvRmT3_T4_T5_mT6_P12ihipStream_tbENKUlT_T0_E_clISt17integral_constantIbLb1EESW_EEDaSR_SS_EUlSR_E_NS1_11comp_targetILNS1_3genE3ELNS1_11target_archE908ELNS1_3gpuE7ELNS1_3repE0EEENS1_30default_config_static_selectorELNS0_4arch9wavefront6targetE1EEEvT1_
	.globl	_ZN7rocprim17ROCPRIM_400000_NS6detail17trampoline_kernelINS0_14default_configENS1_20scan_config_selectorIfEEZZNS1_9scan_implILNS1_25lookback_scan_determinismE0ELb1ELb1ES3_N6thrust23THRUST_200600_302600_NS6detail15normal_iteratorINS9_10device_ptrIjEEEENSB_INSC_IiEEEEfNS9_4plusIvEEfEEDaPvRmT3_T4_T5_mT6_P12ihipStream_tbENKUlT_T0_E_clISt17integral_constantIbLb1EESW_EEDaSR_SS_EUlSR_E_NS1_11comp_targetILNS1_3genE3ELNS1_11target_archE908ELNS1_3gpuE7ELNS1_3repE0EEENS1_30default_config_static_selectorELNS0_4arch9wavefront6targetE1EEEvT1_
	.p2align	8
	.type	_ZN7rocprim17ROCPRIM_400000_NS6detail17trampoline_kernelINS0_14default_configENS1_20scan_config_selectorIfEEZZNS1_9scan_implILNS1_25lookback_scan_determinismE0ELb1ELb1ES3_N6thrust23THRUST_200600_302600_NS6detail15normal_iteratorINS9_10device_ptrIjEEEENSB_INSC_IiEEEEfNS9_4plusIvEEfEEDaPvRmT3_T4_T5_mT6_P12ihipStream_tbENKUlT_T0_E_clISt17integral_constantIbLb1EESW_EEDaSR_SS_EUlSR_E_NS1_11comp_targetILNS1_3genE3ELNS1_11target_archE908ELNS1_3gpuE7ELNS1_3repE0EEENS1_30default_config_static_selectorELNS0_4arch9wavefront6targetE1EEEvT1_,@function
_ZN7rocprim17ROCPRIM_400000_NS6detail17trampoline_kernelINS0_14default_configENS1_20scan_config_selectorIfEEZZNS1_9scan_implILNS1_25lookback_scan_determinismE0ELb1ELb1ES3_N6thrust23THRUST_200600_302600_NS6detail15normal_iteratorINS9_10device_ptrIjEEEENSB_INSC_IiEEEEfNS9_4plusIvEEfEEDaPvRmT3_T4_T5_mT6_P12ihipStream_tbENKUlT_T0_E_clISt17integral_constantIbLb1EESW_EEDaSR_SS_EUlSR_E_NS1_11comp_targetILNS1_3genE3ELNS1_11target_archE908ELNS1_3gpuE7ELNS1_3repE0EEENS1_30default_config_static_selectorELNS0_4arch9wavefront6targetE1EEEvT1_: ; @_ZN7rocprim17ROCPRIM_400000_NS6detail17trampoline_kernelINS0_14default_configENS1_20scan_config_selectorIfEEZZNS1_9scan_implILNS1_25lookback_scan_determinismE0ELb1ELb1ES3_N6thrust23THRUST_200600_302600_NS6detail15normal_iteratorINS9_10device_ptrIjEEEENSB_INSC_IiEEEEfNS9_4plusIvEEfEEDaPvRmT3_T4_T5_mT6_P12ihipStream_tbENKUlT_T0_E_clISt17integral_constantIbLb1EESW_EEDaSR_SS_EUlSR_E_NS1_11comp_targetILNS1_3genE3ELNS1_11target_archE908ELNS1_3gpuE7ELNS1_3repE0EEENS1_30default_config_static_selectorELNS0_4arch9wavefront6targetE1EEEvT1_
; %bb.0:
	.section	.rodata,"a",@progbits
	.p2align	6, 0x0
	.amdhsa_kernel _ZN7rocprim17ROCPRIM_400000_NS6detail17trampoline_kernelINS0_14default_configENS1_20scan_config_selectorIfEEZZNS1_9scan_implILNS1_25lookback_scan_determinismE0ELb1ELb1ES3_N6thrust23THRUST_200600_302600_NS6detail15normal_iteratorINS9_10device_ptrIjEEEENSB_INSC_IiEEEEfNS9_4plusIvEEfEEDaPvRmT3_T4_T5_mT6_P12ihipStream_tbENKUlT_T0_E_clISt17integral_constantIbLb1EESW_EEDaSR_SS_EUlSR_E_NS1_11comp_targetILNS1_3genE3ELNS1_11target_archE908ELNS1_3gpuE7ELNS1_3repE0EEENS1_30default_config_static_selectorELNS0_4arch9wavefront6targetE1EEEvT1_
		.amdhsa_group_segment_fixed_size 0
		.amdhsa_private_segment_fixed_size 0
		.amdhsa_kernarg_size 96
		.amdhsa_user_sgpr_count 6
		.amdhsa_user_sgpr_private_segment_buffer 1
		.amdhsa_user_sgpr_dispatch_ptr 0
		.amdhsa_user_sgpr_queue_ptr 0
		.amdhsa_user_sgpr_kernarg_segment_ptr 1
		.amdhsa_user_sgpr_dispatch_id 0
		.amdhsa_user_sgpr_flat_scratch_init 0
		.amdhsa_user_sgpr_kernarg_preload_length 0
		.amdhsa_user_sgpr_kernarg_preload_offset 0
		.amdhsa_user_sgpr_private_segment_size 0
		.amdhsa_uses_dynamic_stack 0
		.amdhsa_system_sgpr_private_segment_wavefront_offset 0
		.amdhsa_system_sgpr_workgroup_id_x 1
		.amdhsa_system_sgpr_workgroup_id_y 0
		.amdhsa_system_sgpr_workgroup_id_z 0
		.amdhsa_system_sgpr_workgroup_info 0
		.amdhsa_system_vgpr_workitem_id 0
		.amdhsa_next_free_vgpr 1
		.amdhsa_next_free_sgpr 0
		.amdhsa_accum_offset 4
		.amdhsa_reserve_vcc 0
		.amdhsa_reserve_flat_scratch 0
		.amdhsa_float_round_mode_32 0
		.amdhsa_float_round_mode_16_64 0
		.amdhsa_float_denorm_mode_32 3
		.amdhsa_float_denorm_mode_16_64 3
		.amdhsa_dx10_clamp 1
		.amdhsa_ieee_mode 1
		.amdhsa_fp16_overflow 0
		.amdhsa_tg_split 0
		.amdhsa_exception_fp_ieee_invalid_op 0
		.amdhsa_exception_fp_denorm_src 0
		.amdhsa_exception_fp_ieee_div_zero 0
		.amdhsa_exception_fp_ieee_overflow 0
		.amdhsa_exception_fp_ieee_underflow 0
		.amdhsa_exception_fp_ieee_inexact 0
		.amdhsa_exception_int_div_zero 0
	.end_amdhsa_kernel
	.section	.text._ZN7rocprim17ROCPRIM_400000_NS6detail17trampoline_kernelINS0_14default_configENS1_20scan_config_selectorIfEEZZNS1_9scan_implILNS1_25lookback_scan_determinismE0ELb1ELb1ES3_N6thrust23THRUST_200600_302600_NS6detail15normal_iteratorINS9_10device_ptrIjEEEENSB_INSC_IiEEEEfNS9_4plusIvEEfEEDaPvRmT3_T4_T5_mT6_P12ihipStream_tbENKUlT_T0_E_clISt17integral_constantIbLb1EESW_EEDaSR_SS_EUlSR_E_NS1_11comp_targetILNS1_3genE3ELNS1_11target_archE908ELNS1_3gpuE7ELNS1_3repE0EEENS1_30default_config_static_selectorELNS0_4arch9wavefront6targetE1EEEvT1_,"axG",@progbits,_ZN7rocprim17ROCPRIM_400000_NS6detail17trampoline_kernelINS0_14default_configENS1_20scan_config_selectorIfEEZZNS1_9scan_implILNS1_25lookback_scan_determinismE0ELb1ELb1ES3_N6thrust23THRUST_200600_302600_NS6detail15normal_iteratorINS9_10device_ptrIjEEEENSB_INSC_IiEEEEfNS9_4plusIvEEfEEDaPvRmT3_T4_T5_mT6_P12ihipStream_tbENKUlT_T0_E_clISt17integral_constantIbLb1EESW_EEDaSR_SS_EUlSR_E_NS1_11comp_targetILNS1_3genE3ELNS1_11target_archE908ELNS1_3gpuE7ELNS1_3repE0EEENS1_30default_config_static_selectorELNS0_4arch9wavefront6targetE1EEEvT1_,comdat
.Lfunc_end6325:
	.size	_ZN7rocprim17ROCPRIM_400000_NS6detail17trampoline_kernelINS0_14default_configENS1_20scan_config_selectorIfEEZZNS1_9scan_implILNS1_25lookback_scan_determinismE0ELb1ELb1ES3_N6thrust23THRUST_200600_302600_NS6detail15normal_iteratorINS9_10device_ptrIjEEEENSB_INSC_IiEEEEfNS9_4plusIvEEfEEDaPvRmT3_T4_T5_mT6_P12ihipStream_tbENKUlT_T0_E_clISt17integral_constantIbLb1EESW_EEDaSR_SS_EUlSR_E_NS1_11comp_targetILNS1_3genE3ELNS1_11target_archE908ELNS1_3gpuE7ELNS1_3repE0EEENS1_30default_config_static_selectorELNS0_4arch9wavefront6targetE1EEEvT1_, .Lfunc_end6325-_ZN7rocprim17ROCPRIM_400000_NS6detail17trampoline_kernelINS0_14default_configENS1_20scan_config_selectorIfEEZZNS1_9scan_implILNS1_25lookback_scan_determinismE0ELb1ELb1ES3_N6thrust23THRUST_200600_302600_NS6detail15normal_iteratorINS9_10device_ptrIjEEEENSB_INSC_IiEEEEfNS9_4plusIvEEfEEDaPvRmT3_T4_T5_mT6_P12ihipStream_tbENKUlT_T0_E_clISt17integral_constantIbLb1EESW_EEDaSR_SS_EUlSR_E_NS1_11comp_targetILNS1_3genE3ELNS1_11target_archE908ELNS1_3gpuE7ELNS1_3repE0EEENS1_30default_config_static_selectorELNS0_4arch9wavefront6targetE1EEEvT1_
                                        ; -- End function
	.section	.AMDGPU.csdata,"",@progbits
; Kernel info:
; codeLenInByte = 0
; NumSgprs: 4
; NumVgprs: 0
; NumAgprs: 0
; TotalNumVgprs: 0
; ScratchSize: 0
; MemoryBound: 0
; FloatMode: 240
; IeeeMode: 1
; LDSByteSize: 0 bytes/workgroup (compile time only)
; SGPRBlocks: 0
; VGPRBlocks: 0
; NumSGPRsForWavesPerEU: 4
; NumVGPRsForWavesPerEU: 1
; AccumOffset: 4
; Occupancy: 8
; WaveLimiterHint : 0
; COMPUTE_PGM_RSRC2:SCRATCH_EN: 0
; COMPUTE_PGM_RSRC2:USER_SGPR: 6
; COMPUTE_PGM_RSRC2:TRAP_HANDLER: 0
; COMPUTE_PGM_RSRC2:TGID_X_EN: 1
; COMPUTE_PGM_RSRC2:TGID_Y_EN: 0
; COMPUTE_PGM_RSRC2:TGID_Z_EN: 0
; COMPUTE_PGM_RSRC2:TIDIG_COMP_CNT: 0
; COMPUTE_PGM_RSRC3_GFX90A:ACCUM_OFFSET: 0
; COMPUTE_PGM_RSRC3_GFX90A:TG_SPLIT: 0
	.section	.text._ZN7rocprim17ROCPRIM_400000_NS6detail17trampoline_kernelINS0_14default_configENS1_20scan_config_selectorIfEEZZNS1_9scan_implILNS1_25lookback_scan_determinismE0ELb1ELb1ES3_N6thrust23THRUST_200600_302600_NS6detail15normal_iteratorINS9_10device_ptrIjEEEENSB_INSC_IiEEEEfNS9_4plusIvEEfEEDaPvRmT3_T4_T5_mT6_P12ihipStream_tbENKUlT_T0_E_clISt17integral_constantIbLb1EESW_EEDaSR_SS_EUlSR_E_NS1_11comp_targetILNS1_3genE2ELNS1_11target_archE906ELNS1_3gpuE6ELNS1_3repE0EEENS1_30default_config_static_selectorELNS0_4arch9wavefront6targetE1EEEvT1_,"axG",@progbits,_ZN7rocprim17ROCPRIM_400000_NS6detail17trampoline_kernelINS0_14default_configENS1_20scan_config_selectorIfEEZZNS1_9scan_implILNS1_25lookback_scan_determinismE0ELb1ELb1ES3_N6thrust23THRUST_200600_302600_NS6detail15normal_iteratorINS9_10device_ptrIjEEEENSB_INSC_IiEEEEfNS9_4plusIvEEfEEDaPvRmT3_T4_T5_mT6_P12ihipStream_tbENKUlT_T0_E_clISt17integral_constantIbLb1EESW_EEDaSR_SS_EUlSR_E_NS1_11comp_targetILNS1_3genE2ELNS1_11target_archE906ELNS1_3gpuE6ELNS1_3repE0EEENS1_30default_config_static_selectorELNS0_4arch9wavefront6targetE1EEEvT1_,comdat
	.protected	_ZN7rocprim17ROCPRIM_400000_NS6detail17trampoline_kernelINS0_14default_configENS1_20scan_config_selectorIfEEZZNS1_9scan_implILNS1_25lookback_scan_determinismE0ELb1ELb1ES3_N6thrust23THRUST_200600_302600_NS6detail15normal_iteratorINS9_10device_ptrIjEEEENSB_INSC_IiEEEEfNS9_4plusIvEEfEEDaPvRmT3_T4_T5_mT6_P12ihipStream_tbENKUlT_T0_E_clISt17integral_constantIbLb1EESW_EEDaSR_SS_EUlSR_E_NS1_11comp_targetILNS1_3genE2ELNS1_11target_archE906ELNS1_3gpuE6ELNS1_3repE0EEENS1_30default_config_static_selectorELNS0_4arch9wavefront6targetE1EEEvT1_ ; -- Begin function _ZN7rocprim17ROCPRIM_400000_NS6detail17trampoline_kernelINS0_14default_configENS1_20scan_config_selectorIfEEZZNS1_9scan_implILNS1_25lookback_scan_determinismE0ELb1ELb1ES3_N6thrust23THRUST_200600_302600_NS6detail15normal_iteratorINS9_10device_ptrIjEEEENSB_INSC_IiEEEEfNS9_4plusIvEEfEEDaPvRmT3_T4_T5_mT6_P12ihipStream_tbENKUlT_T0_E_clISt17integral_constantIbLb1EESW_EEDaSR_SS_EUlSR_E_NS1_11comp_targetILNS1_3genE2ELNS1_11target_archE906ELNS1_3gpuE6ELNS1_3repE0EEENS1_30default_config_static_selectorELNS0_4arch9wavefront6targetE1EEEvT1_
	.globl	_ZN7rocprim17ROCPRIM_400000_NS6detail17trampoline_kernelINS0_14default_configENS1_20scan_config_selectorIfEEZZNS1_9scan_implILNS1_25lookback_scan_determinismE0ELb1ELb1ES3_N6thrust23THRUST_200600_302600_NS6detail15normal_iteratorINS9_10device_ptrIjEEEENSB_INSC_IiEEEEfNS9_4plusIvEEfEEDaPvRmT3_T4_T5_mT6_P12ihipStream_tbENKUlT_T0_E_clISt17integral_constantIbLb1EESW_EEDaSR_SS_EUlSR_E_NS1_11comp_targetILNS1_3genE2ELNS1_11target_archE906ELNS1_3gpuE6ELNS1_3repE0EEENS1_30default_config_static_selectorELNS0_4arch9wavefront6targetE1EEEvT1_
	.p2align	8
	.type	_ZN7rocprim17ROCPRIM_400000_NS6detail17trampoline_kernelINS0_14default_configENS1_20scan_config_selectorIfEEZZNS1_9scan_implILNS1_25lookback_scan_determinismE0ELb1ELb1ES3_N6thrust23THRUST_200600_302600_NS6detail15normal_iteratorINS9_10device_ptrIjEEEENSB_INSC_IiEEEEfNS9_4plusIvEEfEEDaPvRmT3_T4_T5_mT6_P12ihipStream_tbENKUlT_T0_E_clISt17integral_constantIbLb1EESW_EEDaSR_SS_EUlSR_E_NS1_11comp_targetILNS1_3genE2ELNS1_11target_archE906ELNS1_3gpuE6ELNS1_3repE0EEENS1_30default_config_static_selectorELNS0_4arch9wavefront6targetE1EEEvT1_,@function
_ZN7rocprim17ROCPRIM_400000_NS6detail17trampoline_kernelINS0_14default_configENS1_20scan_config_selectorIfEEZZNS1_9scan_implILNS1_25lookback_scan_determinismE0ELb1ELb1ES3_N6thrust23THRUST_200600_302600_NS6detail15normal_iteratorINS9_10device_ptrIjEEEENSB_INSC_IiEEEEfNS9_4plusIvEEfEEDaPvRmT3_T4_T5_mT6_P12ihipStream_tbENKUlT_T0_E_clISt17integral_constantIbLb1EESW_EEDaSR_SS_EUlSR_E_NS1_11comp_targetILNS1_3genE2ELNS1_11target_archE906ELNS1_3gpuE6ELNS1_3repE0EEENS1_30default_config_static_selectorELNS0_4arch9wavefront6targetE1EEEvT1_: ; @_ZN7rocprim17ROCPRIM_400000_NS6detail17trampoline_kernelINS0_14default_configENS1_20scan_config_selectorIfEEZZNS1_9scan_implILNS1_25lookback_scan_determinismE0ELb1ELb1ES3_N6thrust23THRUST_200600_302600_NS6detail15normal_iteratorINS9_10device_ptrIjEEEENSB_INSC_IiEEEEfNS9_4plusIvEEfEEDaPvRmT3_T4_T5_mT6_P12ihipStream_tbENKUlT_T0_E_clISt17integral_constantIbLb1EESW_EEDaSR_SS_EUlSR_E_NS1_11comp_targetILNS1_3genE2ELNS1_11target_archE906ELNS1_3gpuE6ELNS1_3repE0EEENS1_30default_config_static_selectorELNS0_4arch9wavefront6targetE1EEEvT1_
; %bb.0:
	.section	.rodata,"a",@progbits
	.p2align	6, 0x0
	.amdhsa_kernel _ZN7rocprim17ROCPRIM_400000_NS6detail17trampoline_kernelINS0_14default_configENS1_20scan_config_selectorIfEEZZNS1_9scan_implILNS1_25lookback_scan_determinismE0ELb1ELb1ES3_N6thrust23THRUST_200600_302600_NS6detail15normal_iteratorINS9_10device_ptrIjEEEENSB_INSC_IiEEEEfNS9_4plusIvEEfEEDaPvRmT3_T4_T5_mT6_P12ihipStream_tbENKUlT_T0_E_clISt17integral_constantIbLb1EESW_EEDaSR_SS_EUlSR_E_NS1_11comp_targetILNS1_3genE2ELNS1_11target_archE906ELNS1_3gpuE6ELNS1_3repE0EEENS1_30default_config_static_selectorELNS0_4arch9wavefront6targetE1EEEvT1_
		.amdhsa_group_segment_fixed_size 0
		.amdhsa_private_segment_fixed_size 0
		.amdhsa_kernarg_size 96
		.amdhsa_user_sgpr_count 6
		.amdhsa_user_sgpr_private_segment_buffer 1
		.amdhsa_user_sgpr_dispatch_ptr 0
		.amdhsa_user_sgpr_queue_ptr 0
		.amdhsa_user_sgpr_kernarg_segment_ptr 1
		.amdhsa_user_sgpr_dispatch_id 0
		.amdhsa_user_sgpr_flat_scratch_init 0
		.amdhsa_user_sgpr_kernarg_preload_length 0
		.amdhsa_user_sgpr_kernarg_preload_offset 0
		.amdhsa_user_sgpr_private_segment_size 0
		.amdhsa_uses_dynamic_stack 0
		.amdhsa_system_sgpr_private_segment_wavefront_offset 0
		.amdhsa_system_sgpr_workgroup_id_x 1
		.amdhsa_system_sgpr_workgroup_id_y 0
		.amdhsa_system_sgpr_workgroup_id_z 0
		.amdhsa_system_sgpr_workgroup_info 0
		.amdhsa_system_vgpr_workitem_id 0
		.amdhsa_next_free_vgpr 1
		.amdhsa_next_free_sgpr 0
		.amdhsa_accum_offset 4
		.amdhsa_reserve_vcc 0
		.amdhsa_reserve_flat_scratch 0
		.amdhsa_float_round_mode_32 0
		.amdhsa_float_round_mode_16_64 0
		.amdhsa_float_denorm_mode_32 3
		.amdhsa_float_denorm_mode_16_64 3
		.amdhsa_dx10_clamp 1
		.amdhsa_ieee_mode 1
		.amdhsa_fp16_overflow 0
		.amdhsa_tg_split 0
		.amdhsa_exception_fp_ieee_invalid_op 0
		.amdhsa_exception_fp_denorm_src 0
		.amdhsa_exception_fp_ieee_div_zero 0
		.amdhsa_exception_fp_ieee_overflow 0
		.amdhsa_exception_fp_ieee_underflow 0
		.amdhsa_exception_fp_ieee_inexact 0
		.amdhsa_exception_int_div_zero 0
	.end_amdhsa_kernel
	.section	.text._ZN7rocprim17ROCPRIM_400000_NS6detail17trampoline_kernelINS0_14default_configENS1_20scan_config_selectorIfEEZZNS1_9scan_implILNS1_25lookback_scan_determinismE0ELb1ELb1ES3_N6thrust23THRUST_200600_302600_NS6detail15normal_iteratorINS9_10device_ptrIjEEEENSB_INSC_IiEEEEfNS9_4plusIvEEfEEDaPvRmT3_T4_T5_mT6_P12ihipStream_tbENKUlT_T0_E_clISt17integral_constantIbLb1EESW_EEDaSR_SS_EUlSR_E_NS1_11comp_targetILNS1_3genE2ELNS1_11target_archE906ELNS1_3gpuE6ELNS1_3repE0EEENS1_30default_config_static_selectorELNS0_4arch9wavefront6targetE1EEEvT1_,"axG",@progbits,_ZN7rocprim17ROCPRIM_400000_NS6detail17trampoline_kernelINS0_14default_configENS1_20scan_config_selectorIfEEZZNS1_9scan_implILNS1_25lookback_scan_determinismE0ELb1ELb1ES3_N6thrust23THRUST_200600_302600_NS6detail15normal_iteratorINS9_10device_ptrIjEEEENSB_INSC_IiEEEEfNS9_4plusIvEEfEEDaPvRmT3_T4_T5_mT6_P12ihipStream_tbENKUlT_T0_E_clISt17integral_constantIbLb1EESW_EEDaSR_SS_EUlSR_E_NS1_11comp_targetILNS1_3genE2ELNS1_11target_archE906ELNS1_3gpuE6ELNS1_3repE0EEENS1_30default_config_static_selectorELNS0_4arch9wavefront6targetE1EEEvT1_,comdat
.Lfunc_end6326:
	.size	_ZN7rocprim17ROCPRIM_400000_NS6detail17trampoline_kernelINS0_14default_configENS1_20scan_config_selectorIfEEZZNS1_9scan_implILNS1_25lookback_scan_determinismE0ELb1ELb1ES3_N6thrust23THRUST_200600_302600_NS6detail15normal_iteratorINS9_10device_ptrIjEEEENSB_INSC_IiEEEEfNS9_4plusIvEEfEEDaPvRmT3_T4_T5_mT6_P12ihipStream_tbENKUlT_T0_E_clISt17integral_constantIbLb1EESW_EEDaSR_SS_EUlSR_E_NS1_11comp_targetILNS1_3genE2ELNS1_11target_archE906ELNS1_3gpuE6ELNS1_3repE0EEENS1_30default_config_static_selectorELNS0_4arch9wavefront6targetE1EEEvT1_, .Lfunc_end6326-_ZN7rocprim17ROCPRIM_400000_NS6detail17trampoline_kernelINS0_14default_configENS1_20scan_config_selectorIfEEZZNS1_9scan_implILNS1_25lookback_scan_determinismE0ELb1ELb1ES3_N6thrust23THRUST_200600_302600_NS6detail15normal_iteratorINS9_10device_ptrIjEEEENSB_INSC_IiEEEEfNS9_4plusIvEEfEEDaPvRmT3_T4_T5_mT6_P12ihipStream_tbENKUlT_T0_E_clISt17integral_constantIbLb1EESW_EEDaSR_SS_EUlSR_E_NS1_11comp_targetILNS1_3genE2ELNS1_11target_archE906ELNS1_3gpuE6ELNS1_3repE0EEENS1_30default_config_static_selectorELNS0_4arch9wavefront6targetE1EEEvT1_
                                        ; -- End function
	.section	.AMDGPU.csdata,"",@progbits
; Kernel info:
; codeLenInByte = 0
; NumSgprs: 4
; NumVgprs: 0
; NumAgprs: 0
; TotalNumVgprs: 0
; ScratchSize: 0
; MemoryBound: 0
; FloatMode: 240
; IeeeMode: 1
; LDSByteSize: 0 bytes/workgroup (compile time only)
; SGPRBlocks: 0
; VGPRBlocks: 0
; NumSGPRsForWavesPerEU: 4
; NumVGPRsForWavesPerEU: 1
; AccumOffset: 4
; Occupancy: 8
; WaveLimiterHint : 0
; COMPUTE_PGM_RSRC2:SCRATCH_EN: 0
; COMPUTE_PGM_RSRC2:USER_SGPR: 6
; COMPUTE_PGM_RSRC2:TRAP_HANDLER: 0
; COMPUTE_PGM_RSRC2:TGID_X_EN: 1
; COMPUTE_PGM_RSRC2:TGID_Y_EN: 0
; COMPUTE_PGM_RSRC2:TGID_Z_EN: 0
; COMPUTE_PGM_RSRC2:TIDIG_COMP_CNT: 0
; COMPUTE_PGM_RSRC3_GFX90A:ACCUM_OFFSET: 0
; COMPUTE_PGM_RSRC3_GFX90A:TG_SPLIT: 0
	.section	.text._ZN7rocprim17ROCPRIM_400000_NS6detail17trampoline_kernelINS0_14default_configENS1_20scan_config_selectorIfEEZZNS1_9scan_implILNS1_25lookback_scan_determinismE0ELb1ELb1ES3_N6thrust23THRUST_200600_302600_NS6detail15normal_iteratorINS9_10device_ptrIjEEEENSB_INSC_IiEEEEfNS9_4plusIvEEfEEDaPvRmT3_T4_T5_mT6_P12ihipStream_tbENKUlT_T0_E_clISt17integral_constantIbLb1EESW_EEDaSR_SS_EUlSR_E_NS1_11comp_targetILNS1_3genE10ELNS1_11target_archE1201ELNS1_3gpuE5ELNS1_3repE0EEENS1_30default_config_static_selectorELNS0_4arch9wavefront6targetE1EEEvT1_,"axG",@progbits,_ZN7rocprim17ROCPRIM_400000_NS6detail17trampoline_kernelINS0_14default_configENS1_20scan_config_selectorIfEEZZNS1_9scan_implILNS1_25lookback_scan_determinismE0ELb1ELb1ES3_N6thrust23THRUST_200600_302600_NS6detail15normal_iteratorINS9_10device_ptrIjEEEENSB_INSC_IiEEEEfNS9_4plusIvEEfEEDaPvRmT3_T4_T5_mT6_P12ihipStream_tbENKUlT_T0_E_clISt17integral_constantIbLb1EESW_EEDaSR_SS_EUlSR_E_NS1_11comp_targetILNS1_3genE10ELNS1_11target_archE1201ELNS1_3gpuE5ELNS1_3repE0EEENS1_30default_config_static_selectorELNS0_4arch9wavefront6targetE1EEEvT1_,comdat
	.protected	_ZN7rocprim17ROCPRIM_400000_NS6detail17trampoline_kernelINS0_14default_configENS1_20scan_config_selectorIfEEZZNS1_9scan_implILNS1_25lookback_scan_determinismE0ELb1ELb1ES3_N6thrust23THRUST_200600_302600_NS6detail15normal_iteratorINS9_10device_ptrIjEEEENSB_INSC_IiEEEEfNS9_4plusIvEEfEEDaPvRmT3_T4_T5_mT6_P12ihipStream_tbENKUlT_T0_E_clISt17integral_constantIbLb1EESW_EEDaSR_SS_EUlSR_E_NS1_11comp_targetILNS1_3genE10ELNS1_11target_archE1201ELNS1_3gpuE5ELNS1_3repE0EEENS1_30default_config_static_selectorELNS0_4arch9wavefront6targetE1EEEvT1_ ; -- Begin function _ZN7rocprim17ROCPRIM_400000_NS6detail17trampoline_kernelINS0_14default_configENS1_20scan_config_selectorIfEEZZNS1_9scan_implILNS1_25lookback_scan_determinismE0ELb1ELb1ES3_N6thrust23THRUST_200600_302600_NS6detail15normal_iteratorINS9_10device_ptrIjEEEENSB_INSC_IiEEEEfNS9_4plusIvEEfEEDaPvRmT3_T4_T5_mT6_P12ihipStream_tbENKUlT_T0_E_clISt17integral_constantIbLb1EESW_EEDaSR_SS_EUlSR_E_NS1_11comp_targetILNS1_3genE10ELNS1_11target_archE1201ELNS1_3gpuE5ELNS1_3repE0EEENS1_30default_config_static_selectorELNS0_4arch9wavefront6targetE1EEEvT1_
	.globl	_ZN7rocprim17ROCPRIM_400000_NS6detail17trampoline_kernelINS0_14default_configENS1_20scan_config_selectorIfEEZZNS1_9scan_implILNS1_25lookback_scan_determinismE0ELb1ELb1ES3_N6thrust23THRUST_200600_302600_NS6detail15normal_iteratorINS9_10device_ptrIjEEEENSB_INSC_IiEEEEfNS9_4plusIvEEfEEDaPvRmT3_T4_T5_mT6_P12ihipStream_tbENKUlT_T0_E_clISt17integral_constantIbLb1EESW_EEDaSR_SS_EUlSR_E_NS1_11comp_targetILNS1_3genE10ELNS1_11target_archE1201ELNS1_3gpuE5ELNS1_3repE0EEENS1_30default_config_static_selectorELNS0_4arch9wavefront6targetE1EEEvT1_
	.p2align	8
	.type	_ZN7rocprim17ROCPRIM_400000_NS6detail17trampoline_kernelINS0_14default_configENS1_20scan_config_selectorIfEEZZNS1_9scan_implILNS1_25lookback_scan_determinismE0ELb1ELb1ES3_N6thrust23THRUST_200600_302600_NS6detail15normal_iteratorINS9_10device_ptrIjEEEENSB_INSC_IiEEEEfNS9_4plusIvEEfEEDaPvRmT3_T4_T5_mT6_P12ihipStream_tbENKUlT_T0_E_clISt17integral_constantIbLb1EESW_EEDaSR_SS_EUlSR_E_NS1_11comp_targetILNS1_3genE10ELNS1_11target_archE1201ELNS1_3gpuE5ELNS1_3repE0EEENS1_30default_config_static_selectorELNS0_4arch9wavefront6targetE1EEEvT1_,@function
_ZN7rocprim17ROCPRIM_400000_NS6detail17trampoline_kernelINS0_14default_configENS1_20scan_config_selectorIfEEZZNS1_9scan_implILNS1_25lookback_scan_determinismE0ELb1ELb1ES3_N6thrust23THRUST_200600_302600_NS6detail15normal_iteratorINS9_10device_ptrIjEEEENSB_INSC_IiEEEEfNS9_4plusIvEEfEEDaPvRmT3_T4_T5_mT6_P12ihipStream_tbENKUlT_T0_E_clISt17integral_constantIbLb1EESW_EEDaSR_SS_EUlSR_E_NS1_11comp_targetILNS1_3genE10ELNS1_11target_archE1201ELNS1_3gpuE5ELNS1_3repE0EEENS1_30default_config_static_selectorELNS0_4arch9wavefront6targetE1EEEvT1_: ; @_ZN7rocprim17ROCPRIM_400000_NS6detail17trampoline_kernelINS0_14default_configENS1_20scan_config_selectorIfEEZZNS1_9scan_implILNS1_25lookback_scan_determinismE0ELb1ELb1ES3_N6thrust23THRUST_200600_302600_NS6detail15normal_iteratorINS9_10device_ptrIjEEEENSB_INSC_IiEEEEfNS9_4plusIvEEfEEDaPvRmT3_T4_T5_mT6_P12ihipStream_tbENKUlT_T0_E_clISt17integral_constantIbLb1EESW_EEDaSR_SS_EUlSR_E_NS1_11comp_targetILNS1_3genE10ELNS1_11target_archE1201ELNS1_3gpuE5ELNS1_3repE0EEENS1_30default_config_static_selectorELNS0_4arch9wavefront6targetE1EEEvT1_
; %bb.0:
	.section	.rodata,"a",@progbits
	.p2align	6, 0x0
	.amdhsa_kernel _ZN7rocprim17ROCPRIM_400000_NS6detail17trampoline_kernelINS0_14default_configENS1_20scan_config_selectorIfEEZZNS1_9scan_implILNS1_25lookback_scan_determinismE0ELb1ELb1ES3_N6thrust23THRUST_200600_302600_NS6detail15normal_iteratorINS9_10device_ptrIjEEEENSB_INSC_IiEEEEfNS9_4plusIvEEfEEDaPvRmT3_T4_T5_mT6_P12ihipStream_tbENKUlT_T0_E_clISt17integral_constantIbLb1EESW_EEDaSR_SS_EUlSR_E_NS1_11comp_targetILNS1_3genE10ELNS1_11target_archE1201ELNS1_3gpuE5ELNS1_3repE0EEENS1_30default_config_static_selectorELNS0_4arch9wavefront6targetE1EEEvT1_
		.amdhsa_group_segment_fixed_size 0
		.amdhsa_private_segment_fixed_size 0
		.amdhsa_kernarg_size 96
		.amdhsa_user_sgpr_count 6
		.amdhsa_user_sgpr_private_segment_buffer 1
		.amdhsa_user_sgpr_dispatch_ptr 0
		.amdhsa_user_sgpr_queue_ptr 0
		.amdhsa_user_sgpr_kernarg_segment_ptr 1
		.amdhsa_user_sgpr_dispatch_id 0
		.amdhsa_user_sgpr_flat_scratch_init 0
		.amdhsa_user_sgpr_kernarg_preload_length 0
		.amdhsa_user_sgpr_kernarg_preload_offset 0
		.amdhsa_user_sgpr_private_segment_size 0
		.amdhsa_uses_dynamic_stack 0
		.amdhsa_system_sgpr_private_segment_wavefront_offset 0
		.amdhsa_system_sgpr_workgroup_id_x 1
		.amdhsa_system_sgpr_workgroup_id_y 0
		.amdhsa_system_sgpr_workgroup_id_z 0
		.amdhsa_system_sgpr_workgroup_info 0
		.amdhsa_system_vgpr_workitem_id 0
		.amdhsa_next_free_vgpr 1
		.amdhsa_next_free_sgpr 0
		.amdhsa_accum_offset 4
		.amdhsa_reserve_vcc 0
		.amdhsa_reserve_flat_scratch 0
		.amdhsa_float_round_mode_32 0
		.amdhsa_float_round_mode_16_64 0
		.amdhsa_float_denorm_mode_32 3
		.amdhsa_float_denorm_mode_16_64 3
		.amdhsa_dx10_clamp 1
		.amdhsa_ieee_mode 1
		.amdhsa_fp16_overflow 0
		.amdhsa_tg_split 0
		.amdhsa_exception_fp_ieee_invalid_op 0
		.amdhsa_exception_fp_denorm_src 0
		.amdhsa_exception_fp_ieee_div_zero 0
		.amdhsa_exception_fp_ieee_overflow 0
		.amdhsa_exception_fp_ieee_underflow 0
		.amdhsa_exception_fp_ieee_inexact 0
		.amdhsa_exception_int_div_zero 0
	.end_amdhsa_kernel
	.section	.text._ZN7rocprim17ROCPRIM_400000_NS6detail17trampoline_kernelINS0_14default_configENS1_20scan_config_selectorIfEEZZNS1_9scan_implILNS1_25lookback_scan_determinismE0ELb1ELb1ES3_N6thrust23THRUST_200600_302600_NS6detail15normal_iteratorINS9_10device_ptrIjEEEENSB_INSC_IiEEEEfNS9_4plusIvEEfEEDaPvRmT3_T4_T5_mT6_P12ihipStream_tbENKUlT_T0_E_clISt17integral_constantIbLb1EESW_EEDaSR_SS_EUlSR_E_NS1_11comp_targetILNS1_3genE10ELNS1_11target_archE1201ELNS1_3gpuE5ELNS1_3repE0EEENS1_30default_config_static_selectorELNS0_4arch9wavefront6targetE1EEEvT1_,"axG",@progbits,_ZN7rocprim17ROCPRIM_400000_NS6detail17trampoline_kernelINS0_14default_configENS1_20scan_config_selectorIfEEZZNS1_9scan_implILNS1_25lookback_scan_determinismE0ELb1ELb1ES3_N6thrust23THRUST_200600_302600_NS6detail15normal_iteratorINS9_10device_ptrIjEEEENSB_INSC_IiEEEEfNS9_4plusIvEEfEEDaPvRmT3_T4_T5_mT6_P12ihipStream_tbENKUlT_T0_E_clISt17integral_constantIbLb1EESW_EEDaSR_SS_EUlSR_E_NS1_11comp_targetILNS1_3genE10ELNS1_11target_archE1201ELNS1_3gpuE5ELNS1_3repE0EEENS1_30default_config_static_selectorELNS0_4arch9wavefront6targetE1EEEvT1_,comdat
.Lfunc_end6327:
	.size	_ZN7rocprim17ROCPRIM_400000_NS6detail17trampoline_kernelINS0_14default_configENS1_20scan_config_selectorIfEEZZNS1_9scan_implILNS1_25lookback_scan_determinismE0ELb1ELb1ES3_N6thrust23THRUST_200600_302600_NS6detail15normal_iteratorINS9_10device_ptrIjEEEENSB_INSC_IiEEEEfNS9_4plusIvEEfEEDaPvRmT3_T4_T5_mT6_P12ihipStream_tbENKUlT_T0_E_clISt17integral_constantIbLb1EESW_EEDaSR_SS_EUlSR_E_NS1_11comp_targetILNS1_3genE10ELNS1_11target_archE1201ELNS1_3gpuE5ELNS1_3repE0EEENS1_30default_config_static_selectorELNS0_4arch9wavefront6targetE1EEEvT1_, .Lfunc_end6327-_ZN7rocprim17ROCPRIM_400000_NS6detail17trampoline_kernelINS0_14default_configENS1_20scan_config_selectorIfEEZZNS1_9scan_implILNS1_25lookback_scan_determinismE0ELb1ELb1ES3_N6thrust23THRUST_200600_302600_NS6detail15normal_iteratorINS9_10device_ptrIjEEEENSB_INSC_IiEEEEfNS9_4plusIvEEfEEDaPvRmT3_T4_T5_mT6_P12ihipStream_tbENKUlT_T0_E_clISt17integral_constantIbLb1EESW_EEDaSR_SS_EUlSR_E_NS1_11comp_targetILNS1_3genE10ELNS1_11target_archE1201ELNS1_3gpuE5ELNS1_3repE0EEENS1_30default_config_static_selectorELNS0_4arch9wavefront6targetE1EEEvT1_
                                        ; -- End function
	.section	.AMDGPU.csdata,"",@progbits
; Kernel info:
; codeLenInByte = 0
; NumSgprs: 4
; NumVgprs: 0
; NumAgprs: 0
; TotalNumVgprs: 0
; ScratchSize: 0
; MemoryBound: 0
; FloatMode: 240
; IeeeMode: 1
; LDSByteSize: 0 bytes/workgroup (compile time only)
; SGPRBlocks: 0
; VGPRBlocks: 0
; NumSGPRsForWavesPerEU: 4
; NumVGPRsForWavesPerEU: 1
; AccumOffset: 4
; Occupancy: 8
; WaveLimiterHint : 0
; COMPUTE_PGM_RSRC2:SCRATCH_EN: 0
; COMPUTE_PGM_RSRC2:USER_SGPR: 6
; COMPUTE_PGM_RSRC2:TRAP_HANDLER: 0
; COMPUTE_PGM_RSRC2:TGID_X_EN: 1
; COMPUTE_PGM_RSRC2:TGID_Y_EN: 0
; COMPUTE_PGM_RSRC2:TGID_Z_EN: 0
; COMPUTE_PGM_RSRC2:TIDIG_COMP_CNT: 0
; COMPUTE_PGM_RSRC3_GFX90A:ACCUM_OFFSET: 0
; COMPUTE_PGM_RSRC3_GFX90A:TG_SPLIT: 0
	.section	.text._ZN7rocprim17ROCPRIM_400000_NS6detail17trampoline_kernelINS0_14default_configENS1_20scan_config_selectorIfEEZZNS1_9scan_implILNS1_25lookback_scan_determinismE0ELb1ELb1ES3_N6thrust23THRUST_200600_302600_NS6detail15normal_iteratorINS9_10device_ptrIjEEEENSB_INSC_IiEEEEfNS9_4plusIvEEfEEDaPvRmT3_T4_T5_mT6_P12ihipStream_tbENKUlT_T0_E_clISt17integral_constantIbLb1EESW_EEDaSR_SS_EUlSR_E_NS1_11comp_targetILNS1_3genE10ELNS1_11target_archE1200ELNS1_3gpuE4ELNS1_3repE0EEENS1_30default_config_static_selectorELNS0_4arch9wavefront6targetE1EEEvT1_,"axG",@progbits,_ZN7rocprim17ROCPRIM_400000_NS6detail17trampoline_kernelINS0_14default_configENS1_20scan_config_selectorIfEEZZNS1_9scan_implILNS1_25lookback_scan_determinismE0ELb1ELb1ES3_N6thrust23THRUST_200600_302600_NS6detail15normal_iteratorINS9_10device_ptrIjEEEENSB_INSC_IiEEEEfNS9_4plusIvEEfEEDaPvRmT3_T4_T5_mT6_P12ihipStream_tbENKUlT_T0_E_clISt17integral_constantIbLb1EESW_EEDaSR_SS_EUlSR_E_NS1_11comp_targetILNS1_3genE10ELNS1_11target_archE1200ELNS1_3gpuE4ELNS1_3repE0EEENS1_30default_config_static_selectorELNS0_4arch9wavefront6targetE1EEEvT1_,comdat
	.protected	_ZN7rocprim17ROCPRIM_400000_NS6detail17trampoline_kernelINS0_14default_configENS1_20scan_config_selectorIfEEZZNS1_9scan_implILNS1_25lookback_scan_determinismE0ELb1ELb1ES3_N6thrust23THRUST_200600_302600_NS6detail15normal_iteratorINS9_10device_ptrIjEEEENSB_INSC_IiEEEEfNS9_4plusIvEEfEEDaPvRmT3_T4_T5_mT6_P12ihipStream_tbENKUlT_T0_E_clISt17integral_constantIbLb1EESW_EEDaSR_SS_EUlSR_E_NS1_11comp_targetILNS1_3genE10ELNS1_11target_archE1200ELNS1_3gpuE4ELNS1_3repE0EEENS1_30default_config_static_selectorELNS0_4arch9wavefront6targetE1EEEvT1_ ; -- Begin function _ZN7rocprim17ROCPRIM_400000_NS6detail17trampoline_kernelINS0_14default_configENS1_20scan_config_selectorIfEEZZNS1_9scan_implILNS1_25lookback_scan_determinismE0ELb1ELb1ES3_N6thrust23THRUST_200600_302600_NS6detail15normal_iteratorINS9_10device_ptrIjEEEENSB_INSC_IiEEEEfNS9_4plusIvEEfEEDaPvRmT3_T4_T5_mT6_P12ihipStream_tbENKUlT_T0_E_clISt17integral_constantIbLb1EESW_EEDaSR_SS_EUlSR_E_NS1_11comp_targetILNS1_3genE10ELNS1_11target_archE1200ELNS1_3gpuE4ELNS1_3repE0EEENS1_30default_config_static_selectorELNS0_4arch9wavefront6targetE1EEEvT1_
	.globl	_ZN7rocprim17ROCPRIM_400000_NS6detail17trampoline_kernelINS0_14default_configENS1_20scan_config_selectorIfEEZZNS1_9scan_implILNS1_25lookback_scan_determinismE0ELb1ELb1ES3_N6thrust23THRUST_200600_302600_NS6detail15normal_iteratorINS9_10device_ptrIjEEEENSB_INSC_IiEEEEfNS9_4plusIvEEfEEDaPvRmT3_T4_T5_mT6_P12ihipStream_tbENKUlT_T0_E_clISt17integral_constantIbLb1EESW_EEDaSR_SS_EUlSR_E_NS1_11comp_targetILNS1_3genE10ELNS1_11target_archE1200ELNS1_3gpuE4ELNS1_3repE0EEENS1_30default_config_static_selectorELNS0_4arch9wavefront6targetE1EEEvT1_
	.p2align	8
	.type	_ZN7rocprim17ROCPRIM_400000_NS6detail17trampoline_kernelINS0_14default_configENS1_20scan_config_selectorIfEEZZNS1_9scan_implILNS1_25lookback_scan_determinismE0ELb1ELb1ES3_N6thrust23THRUST_200600_302600_NS6detail15normal_iteratorINS9_10device_ptrIjEEEENSB_INSC_IiEEEEfNS9_4plusIvEEfEEDaPvRmT3_T4_T5_mT6_P12ihipStream_tbENKUlT_T0_E_clISt17integral_constantIbLb1EESW_EEDaSR_SS_EUlSR_E_NS1_11comp_targetILNS1_3genE10ELNS1_11target_archE1200ELNS1_3gpuE4ELNS1_3repE0EEENS1_30default_config_static_selectorELNS0_4arch9wavefront6targetE1EEEvT1_,@function
_ZN7rocprim17ROCPRIM_400000_NS6detail17trampoline_kernelINS0_14default_configENS1_20scan_config_selectorIfEEZZNS1_9scan_implILNS1_25lookback_scan_determinismE0ELb1ELb1ES3_N6thrust23THRUST_200600_302600_NS6detail15normal_iteratorINS9_10device_ptrIjEEEENSB_INSC_IiEEEEfNS9_4plusIvEEfEEDaPvRmT3_T4_T5_mT6_P12ihipStream_tbENKUlT_T0_E_clISt17integral_constantIbLb1EESW_EEDaSR_SS_EUlSR_E_NS1_11comp_targetILNS1_3genE10ELNS1_11target_archE1200ELNS1_3gpuE4ELNS1_3repE0EEENS1_30default_config_static_selectorELNS0_4arch9wavefront6targetE1EEEvT1_: ; @_ZN7rocprim17ROCPRIM_400000_NS6detail17trampoline_kernelINS0_14default_configENS1_20scan_config_selectorIfEEZZNS1_9scan_implILNS1_25lookback_scan_determinismE0ELb1ELb1ES3_N6thrust23THRUST_200600_302600_NS6detail15normal_iteratorINS9_10device_ptrIjEEEENSB_INSC_IiEEEEfNS9_4plusIvEEfEEDaPvRmT3_T4_T5_mT6_P12ihipStream_tbENKUlT_T0_E_clISt17integral_constantIbLb1EESW_EEDaSR_SS_EUlSR_E_NS1_11comp_targetILNS1_3genE10ELNS1_11target_archE1200ELNS1_3gpuE4ELNS1_3repE0EEENS1_30default_config_static_selectorELNS0_4arch9wavefront6targetE1EEEvT1_
; %bb.0:
	.section	.rodata,"a",@progbits
	.p2align	6, 0x0
	.amdhsa_kernel _ZN7rocprim17ROCPRIM_400000_NS6detail17trampoline_kernelINS0_14default_configENS1_20scan_config_selectorIfEEZZNS1_9scan_implILNS1_25lookback_scan_determinismE0ELb1ELb1ES3_N6thrust23THRUST_200600_302600_NS6detail15normal_iteratorINS9_10device_ptrIjEEEENSB_INSC_IiEEEEfNS9_4plusIvEEfEEDaPvRmT3_T4_T5_mT6_P12ihipStream_tbENKUlT_T0_E_clISt17integral_constantIbLb1EESW_EEDaSR_SS_EUlSR_E_NS1_11comp_targetILNS1_3genE10ELNS1_11target_archE1200ELNS1_3gpuE4ELNS1_3repE0EEENS1_30default_config_static_selectorELNS0_4arch9wavefront6targetE1EEEvT1_
		.amdhsa_group_segment_fixed_size 0
		.amdhsa_private_segment_fixed_size 0
		.amdhsa_kernarg_size 96
		.amdhsa_user_sgpr_count 6
		.amdhsa_user_sgpr_private_segment_buffer 1
		.amdhsa_user_sgpr_dispatch_ptr 0
		.amdhsa_user_sgpr_queue_ptr 0
		.amdhsa_user_sgpr_kernarg_segment_ptr 1
		.amdhsa_user_sgpr_dispatch_id 0
		.amdhsa_user_sgpr_flat_scratch_init 0
		.amdhsa_user_sgpr_kernarg_preload_length 0
		.amdhsa_user_sgpr_kernarg_preload_offset 0
		.amdhsa_user_sgpr_private_segment_size 0
		.amdhsa_uses_dynamic_stack 0
		.amdhsa_system_sgpr_private_segment_wavefront_offset 0
		.amdhsa_system_sgpr_workgroup_id_x 1
		.amdhsa_system_sgpr_workgroup_id_y 0
		.amdhsa_system_sgpr_workgroup_id_z 0
		.amdhsa_system_sgpr_workgroup_info 0
		.amdhsa_system_vgpr_workitem_id 0
		.amdhsa_next_free_vgpr 1
		.amdhsa_next_free_sgpr 0
		.amdhsa_accum_offset 4
		.amdhsa_reserve_vcc 0
		.amdhsa_reserve_flat_scratch 0
		.amdhsa_float_round_mode_32 0
		.amdhsa_float_round_mode_16_64 0
		.amdhsa_float_denorm_mode_32 3
		.amdhsa_float_denorm_mode_16_64 3
		.amdhsa_dx10_clamp 1
		.amdhsa_ieee_mode 1
		.amdhsa_fp16_overflow 0
		.amdhsa_tg_split 0
		.amdhsa_exception_fp_ieee_invalid_op 0
		.amdhsa_exception_fp_denorm_src 0
		.amdhsa_exception_fp_ieee_div_zero 0
		.amdhsa_exception_fp_ieee_overflow 0
		.amdhsa_exception_fp_ieee_underflow 0
		.amdhsa_exception_fp_ieee_inexact 0
		.amdhsa_exception_int_div_zero 0
	.end_amdhsa_kernel
	.section	.text._ZN7rocprim17ROCPRIM_400000_NS6detail17trampoline_kernelINS0_14default_configENS1_20scan_config_selectorIfEEZZNS1_9scan_implILNS1_25lookback_scan_determinismE0ELb1ELb1ES3_N6thrust23THRUST_200600_302600_NS6detail15normal_iteratorINS9_10device_ptrIjEEEENSB_INSC_IiEEEEfNS9_4plusIvEEfEEDaPvRmT3_T4_T5_mT6_P12ihipStream_tbENKUlT_T0_E_clISt17integral_constantIbLb1EESW_EEDaSR_SS_EUlSR_E_NS1_11comp_targetILNS1_3genE10ELNS1_11target_archE1200ELNS1_3gpuE4ELNS1_3repE0EEENS1_30default_config_static_selectorELNS0_4arch9wavefront6targetE1EEEvT1_,"axG",@progbits,_ZN7rocprim17ROCPRIM_400000_NS6detail17trampoline_kernelINS0_14default_configENS1_20scan_config_selectorIfEEZZNS1_9scan_implILNS1_25lookback_scan_determinismE0ELb1ELb1ES3_N6thrust23THRUST_200600_302600_NS6detail15normal_iteratorINS9_10device_ptrIjEEEENSB_INSC_IiEEEEfNS9_4plusIvEEfEEDaPvRmT3_T4_T5_mT6_P12ihipStream_tbENKUlT_T0_E_clISt17integral_constantIbLb1EESW_EEDaSR_SS_EUlSR_E_NS1_11comp_targetILNS1_3genE10ELNS1_11target_archE1200ELNS1_3gpuE4ELNS1_3repE0EEENS1_30default_config_static_selectorELNS0_4arch9wavefront6targetE1EEEvT1_,comdat
.Lfunc_end6328:
	.size	_ZN7rocprim17ROCPRIM_400000_NS6detail17trampoline_kernelINS0_14default_configENS1_20scan_config_selectorIfEEZZNS1_9scan_implILNS1_25lookback_scan_determinismE0ELb1ELb1ES3_N6thrust23THRUST_200600_302600_NS6detail15normal_iteratorINS9_10device_ptrIjEEEENSB_INSC_IiEEEEfNS9_4plusIvEEfEEDaPvRmT3_T4_T5_mT6_P12ihipStream_tbENKUlT_T0_E_clISt17integral_constantIbLb1EESW_EEDaSR_SS_EUlSR_E_NS1_11comp_targetILNS1_3genE10ELNS1_11target_archE1200ELNS1_3gpuE4ELNS1_3repE0EEENS1_30default_config_static_selectorELNS0_4arch9wavefront6targetE1EEEvT1_, .Lfunc_end6328-_ZN7rocprim17ROCPRIM_400000_NS6detail17trampoline_kernelINS0_14default_configENS1_20scan_config_selectorIfEEZZNS1_9scan_implILNS1_25lookback_scan_determinismE0ELb1ELb1ES3_N6thrust23THRUST_200600_302600_NS6detail15normal_iteratorINS9_10device_ptrIjEEEENSB_INSC_IiEEEEfNS9_4plusIvEEfEEDaPvRmT3_T4_T5_mT6_P12ihipStream_tbENKUlT_T0_E_clISt17integral_constantIbLb1EESW_EEDaSR_SS_EUlSR_E_NS1_11comp_targetILNS1_3genE10ELNS1_11target_archE1200ELNS1_3gpuE4ELNS1_3repE0EEENS1_30default_config_static_selectorELNS0_4arch9wavefront6targetE1EEEvT1_
                                        ; -- End function
	.section	.AMDGPU.csdata,"",@progbits
; Kernel info:
; codeLenInByte = 0
; NumSgprs: 4
; NumVgprs: 0
; NumAgprs: 0
; TotalNumVgprs: 0
; ScratchSize: 0
; MemoryBound: 0
; FloatMode: 240
; IeeeMode: 1
; LDSByteSize: 0 bytes/workgroup (compile time only)
; SGPRBlocks: 0
; VGPRBlocks: 0
; NumSGPRsForWavesPerEU: 4
; NumVGPRsForWavesPerEU: 1
; AccumOffset: 4
; Occupancy: 8
; WaveLimiterHint : 0
; COMPUTE_PGM_RSRC2:SCRATCH_EN: 0
; COMPUTE_PGM_RSRC2:USER_SGPR: 6
; COMPUTE_PGM_RSRC2:TRAP_HANDLER: 0
; COMPUTE_PGM_RSRC2:TGID_X_EN: 1
; COMPUTE_PGM_RSRC2:TGID_Y_EN: 0
; COMPUTE_PGM_RSRC2:TGID_Z_EN: 0
; COMPUTE_PGM_RSRC2:TIDIG_COMP_CNT: 0
; COMPUTE_PGM_RSRC3_GFX90A:ACCUM_OFFSET: 0
; COMPUTE_PGM_RSRC3_GFX90A:TG_SPLIT: 0
	.section	.text._ZN7rocprim17ROCPRIM_400000_NS6detail17trampoline_kernelINS0_14default_configENS1_20scan_config_selectorIfEEZZNS1_9scan_implILNS1_25lookback_scan_determinismE0ELb1ELb1ES3_N6thrust23THRUST_200600_302600_NS6detail15normal_iteratorINS9_10device_ptrIjEEEENSB_INSC_IiEEEEfNS9_4plusIvEEfEEDaPvRmT3_T4_T5_mT6_P12ihipStream_tbENKUlT_T0_E_clISt17integral_constantIbLb1EESW_EEDaSR_SS_EUlSR_E_NS1_11comp_targetILNS1_3genE9ELNS1_11target_archE1100ELNS1_3gpuE3ELNS1_3repE0EEENS1_30default_config_static_selectorELNS0_4arch9wavefront6targetE1EEEvT1_,"axG",@progbits,_ZN7rocprim17ROCPRIM_400000_NS6detail17trampoline_kernelINS0_14default_configENS1_20scan_config_selectorIfEEZZNS1_9scan_implILNS1_25lookback_scan_determinismE0ELb1ELb1ES3_N6thrust23THRUST_200600_302600_NS6detail15normal_iteratorINS9_10device_ptrIjEEEENSB_INSC_IiEEEEfNS9_4plusIvEEfEEDaPvRmT3_T4_T5_mT6_P12ihipStream_tbENKUlT_T0_E_clISt17integral_constantIbLb1EESW_EEDaSR_SS_EUlSR_E_NS1_11comp_targetILNS1_3genE9ELNS1_11target_archE1100ELNS1_3gpuE3ELNS1_3repE0EEENS1_30default_config_static_selectorELNS0_4arch9wavefront6targetE1EEEvT1_,comdat
	.protected	_ZN7rocprim17ROCPRIM_400000_NS6detail17trampoline_kernelINS0_14default_configENS1_20scan_config_selectorIfEEZZNS1_9scan_implILNS1_25lookback_scan_determinismE0ELb1ELb1ES3_N6thrust23THRUST_200600_302600_NS6detail15normal_iteratorINS9_10device_ptrIjEEEENSB_INSC_IiEEEEfNS9_4plusIvEEfEEDaPvRmT3_T4_T5_mT6_P12ihipStream_tbENKUlT_T0_E_clISt17integral_constantIbLb1EESW_EEDaSR_SS_EUlSR_E_NS1_11comp_targetILNS1_3genE9ELNS1_11target_archE1100ELNS1_3gpuE3ELNS1_3repE0EEENS1_30default_config_static_selectorELNS0_4arch9wavefront6targetE1EEEvT1_ ; -- Begin function _ZN7rocprim17ROCPRIM_400000_NS6detail17trampoline_kernelINS0_14default_configENS1_20scan_config_selectorIfEEZZNS1_9scan_implILNS1_25lookback_scan_determinismE0ELb1ELb1ES3_N6thrust23THRUST_200600_302600_NS6detail15normal_iteratorINS9_10device_ptrIjEEEENSB_INSC_IiEEEEfNS9_4plusIvEEfEEDaPvRmT3_T4_T5_mT6_P12ihipStream_tbENKUlT_T0_E_clISt17integral_constantIbLb1EESW_EEDaSR_SS_EUlSR_E_NS1_11comp_targetILNS1_3genE9ELNS1_11target_archE1100ELNS1_3gpuE3ELNS1_3repE0EEENS1_30default_config_static_selectorELNS0_4arch9wavefront6targetE1EEEvT1_
	.globl	_ZN7rocprim17ROCPRIM_400000_NS6detail17trampoline_kernelINS0_14default_configENS1_20scan_config_selectorIfEEZZNS1_9scan_implILNS1_25lookback_scan_determinismE0ELb1ELb1ES3_N6thrust23THRUST_200600_302600_NS6detail15normal_iteratorINS9_10device_ptrIjEEEENSB_INSC_IiEEEEfNS9_4plusIvEEfEEDaPvRmT3_T4_T5_mT6_P12ihipStream_tbENKUlT_T0_E_clISt17integral_constantIbLb1EESW_EEDaSR_SS_EUlSR_E_NS1_11comp_targetILNS1_3genE9ELNS1_11target_archE1100ELNS1_3gpuE3ELNS1_3repE0EEENS1_30default_config_static_selectorELNS0_4arch9wavefront6targetE1EEEvT1_
	.p2align	8
	.type	_ZN7rocprim17ROCPRIM_400000_NS6detail17trampoline_kernelINS0_14default_configENS1_20scan_config_selectorIfEEZZNS1_9scan_implILNS1_25lookback_scan_determinismE0ELb1ELb1ES3_N6thrust23THRUST_200600_302600_NS6detail15normal_iteratorINS9_10device_ptrIjEEEENSB_INSC_IiEEEEfNS9_4plusIvEEfEEDaPvRmT3_T4_T5_mT6_P12ihipStream_tbENKUlT_T0_E_clISt17integral_constantIbLb1EESW_EEDaSR_SS_EUlSR_E_NS1_11comp_targetILNS1_3genE9ELNS1_11target_archE1100ELNS1_3gpuE3ELNS1_3repE0EEENS1_30default_config_static_selectorELNS0_4arch9wavefront6targetE1EEEvT1_,@function
_ZN7rocprim17ROCPRIM_400000_NS6detail17trampoline_kernelINS0_14default_configENS1_20scan_config_selectorIfEEZZNS1_9scan_implILNS1_25lookback_scan_determinismE0ELb1ELb1ES3_N6thrust23THRUST_200600_302600_NS6detail15normal_iteratorINS9_10device_ptrIjEEEENSB_INSC_IiEEEEfNS9_4plusIvEEfEEDaPvRmT3_T4_T5_mT6_P12ihipStream_tbENKUlT_T0_E_clISt17integral_constantIbLb1EESW_EEDaSR_SS_EUlSR_E_NS1_11comp_targetILNS1_3genE9ELNS1_11target_archE1100ELNS1_3gpuE3ELNS1_3repE0EEENS1_30default_config_static_selectorELNS0_4arch9wavefront6targetE1EEEvT1_: ; @_ZN7rocprim17ROCPRIM_400000_NS6detail17trampoline_kernelINS0_14default_configENS1_20scan_config_selectorIfEEZZNS1_9scan_implILNS1_25lookback_scan_determinismE0ELb1ELb1ES3_N6thrust23THRUST_200600_302600_NS6detail15normal_iteratorINS9_10device_ptrIjEEEENSB_INSC_IiEEEEfNS9_4plusIvEEfEEDaPvRmT3_T4_T5_mT6_P12ihipStream_tbENKUlT_T0_E_clISt17integral_constantIbLb1EESW_EEDaSR_SS_EUlSR_E_NS1_11comp_targetILNS1_3genE9ELNS1_11target_archE1100ELNS1_3gpuE3ELNS1_3repE0EEENS1_30default_config_static_selectorELNS0_4arch9wavefront6targetE1EEEvT1_
; %bb.0:
	.section	.rodata,"a",@progbits
	.p2align	6, 0x0
	.amdhsa_kernel _ZN7rocprim17ROCPRIM_400000_NS6detail17trampoline_kernelINS0_14default_configENS1_20scan_config_selectorIfEEZZNS1_9scan_implILNS1_25lookback_scan_determinismE0ELb1ELb1ES3_N6thrust23THRUST_200600_302600_NS6detail15normal_iteratorINS9_10device_ptrIjEEEENSB_INSC_IiEEEEfNS9_4plusIvEEfEEDaPvRmT3_T4_T5_mT6_P12ihipStream_tbENKUlT_T0_E_clISt17integral_constantIbLb1EESW_EEDaSR_SS_EUlSR_E_NS1_11comp_targetILNS1_3genE9ELNS1_11target_archE1100ELNS1_3gpuE3ELNS1_3repE0EEENS1_30default_config_static_selectorELNS0_4arch9wavefront6targetE1EEEvT1_
		.amdhsa_group_segment_fixed_size 0
		.amdhsa_private_segment_fixed_size 0
		.amdhsa_kernarg_size 96
		.amdhsa_user_sgpr_count 6
		.amdhsa_user_sgpr_private_segment_buffer 1
		.amdhsa_user_sgpr_dispatch_ptr 0
		.amdhsa_user_sgpr_queue_ptr 0
		.amdhsa_user_sgpr_kernarg_segment_ptr 1
		.amdhsa_user_sgpr_dispatch_id 0
		.amdhsa_user_sgpr_flat_scratch_init 0
		.amdhsa_user_sgpr_kernarg_preload_length 0
		.amdhsa_user_sgpr_kernarg_preload_offset 0
		.amdhsa_user_sgpr_private_segment_size 0
		.amdhsa_uses_dynamic_stack 0
		.amdhsa_system_sgpr_private_segment_wavefront_offset 0
		.amdhsa_system_sgpr_workgroup_id_x 1
		.amdhsa_system_sgpr_workgroup_id_y 0
		.amdhsa_system_sgpr_workgroup_id_z 0
		.amdhsa_system_sgpr_workgroup_info 0
		.amdhsa_system_vgpr_workitem_id 0
		.amdhsa_next_free_vgpr 1
		.amdhsa_next_free_sgpr 0
		.amdhsa_accum_offset 4
		.amdhsa_reserve_vcc 0
		.amdhsa_reserve_flat_scratch 0
		.amdhsa_float_round_mode_32 0
		.amdhsa_float_round_mode_16_64 0
		.amdhsa_float_denorm_mode_32 3
		.amdhsa_float_denorm_mode_16_64 3
		.amdhsa_dx10_clamp 1
		.amdhsa_ieee_mode 1
		.amdhsa_fp16_overflow 0
		.amdhsa_tg_split 0
		.amdhsa_exception_fp_ieee_invalid_op 0
		.amdhsa_exception_fp_denorm_src 0
		.amdhsa_exception_fp_ieee_div_zero 0
		.amdhsa_exception_fp_ieee_overflow 0
		.amdhsa_exception_fp_ieee_underflow 0
		.amdhsa_exception_fp_ieee_inexact 0
		.amdhsa_exception_int_div_zero 0
	.end_amdhsa_kernel
	.section	.text._ZN7rocprim17ROCPRIM_400000_NS6detail17trampoline_kernelINS0_14default_configENS1_20scan_config_selectorIfEEZZNS1_9scan_implILNS1_25lookback_scan_determinismE0ELb1ELb1ES3_N6thrust23THRUST_200600_302600_NS6detail15normal_iteratorINS9_10device_ptrIjEEEENSB_INSC_IiEEEEfNS9_4plusIvEEfEEDaPvRmT3_T4_T5_mT6_P12ihipStream_tbENKUlT_T0_E_clISt17integral_constantIbLb1EESW_EEDaSR_SS_EUlSR_E_NS1_11comp_targetILNS1_3genE9ELNS1_11target_archE1100ELNS1_3gpuE3ELNS1_3repE0EEENS1_30default_config_static_selectorELNS0_4arch9wavefront6targetE1EEEvT1_,"axG",@progbits,_ZN7rocprim17ROCPRIM_400000_NS6detail17trampoline_kernelINS0_14default_configENS1_20scan_config_selectorIfEEZZNS1_9scan_implILNS1_25lookback_scan_determinismE0ELb1ELb1ES3_N6thrust23THRUST_200600_302600_NS6detail15normal_iteratorINS9_10device_ptrIjEEEENSB_INSC_IiEEEEfNS9_4plusIvEEfEEDaPvRmT3_T4_T5_mT6_P12ihipStream_tbENKUlT_T0_E_clISt17integral_constantIbLb1EESW_EEDaSR_SS_EUlSR_E_NS1_11comp_targetILNS1_3genE9ELNS1_11target_archE1100ELNS1_3gpuE3ELNS1_3repE0EEENS1_30default_config_static_selectorELNS0_4arch9wavefront6targetE1EEEvT1_,comdat
.Lfunc_end6329:
	.size	_ZN7rocprim17ROCPRIM_400000_NS6detail17trampoline_kernelINS0_14default_configENS1_20scan_config_selectorIfEEZZNS1_9scan_implILNS1_25lookback_scan_determinismE0ELb1ELb1ES3_N6thrust23THRUST_200600_302600_NS6detail15normal_iteratorINS9_10device_ptrIjEEEENSB_INSC_IiEEEEfNS9_4plusIvEEfEEDaPvRmT3_T4_T5_mT6_P12ihipStream_tbENKUlT_T0_E_clISt17integral_constantIbLb1EESW_EEDaSR_SS_EUlSR_E_NS1_11comp_targetILNS1_3genE9ELNS1_11target_archE1100ELNS1_3gpuE3ELNS1_3repE0EEENS1_30default_config_static_selectorELNS0_4arch9wavefront6targetE1EEEvT1_, .Lfunc_end6329-_ZN7rocprim17ROCPRIM_400000_NS6detail17trampoline_kernelINS0_14default_configENS1_20scan_config_selectorIfEEZZNS1_9scan_implILNS1_25lookback_scan_determinismE0ELb1ELb1ES3_N6thrust23THRUST_200600_302600_NS6detail15normal_iteratorINS9_10device_ptrIjEEEENSB_INSC_IiEEEEfNS9_4plusIvEEfEEDaPvRmT3_T4_T5_mT6_P12ihipStream_tbENKUlT_T0_E_clISt17integral_constantIbLb1EESW_EEDaSR_SS_EUlSR_E_NS1_11comp_targetILNS1_3genE9ELNS1_11target_archE1100ELNS1_3gpuE3ELNS1_3repE0EEENS1_30default_config_static_selectorELNS0_4arch9wavefront6targetE1EEEvT1_
                                        ; -- End function
	.section	.AMDGPU.csdata,"",@progbits
; Kernel info:
; codeLenInByte = 0
; NumSgprs: 4
; NumVgprs: 0
; NumAgprs: 0
; TotalNumVgprs: 0
; ScratchSize: 0
; MemoryBound: 0
; FloatMode: 240
; IeeeMode: 1
; LDSByteSize: 0 bytes/workgroup (compile time only)
; SGPRBlocks: 0
; VGPRBlocks: 0
; NumSGPRsForWavesPerEU: 4
; NumVGPRsForWavesPerEU: 1
; AccumOffset: 4
; Occupancy: 8
; WaveLimiterHint : 0
; COMPUTE_PGM_RSRC2:SCRATCH_EN: 0
; COMPUTE_PGM_RSRC2:USER_SGPR: 6
; COMPUTE_PGM_RSRC2:TRAP_HANDLER: 0
; COMPUTE_PGM_RSRC2:TGID_X_EN: 1
; COMPUTE_PGM_RSRC2:TGID_Y_EN: 0
; COMPUTE_PGM_RSRC2:TGID_Z_EN: 0
; COMPUTE_PGM_RSRC2:TIDIG_COMP_CNT: 0
; COMPUTE_PGM_RSRC3_GFX90A:ACCUM_OFFSET: 0
; COMPUTE_PGM_RSRC3_GFX90A:TG_SPLIT: 0
	.section	.text._ZN7rocprim17ROCPRIM_400000_NS6detail17trampoline_kernelINS0_14default_configENS1_20scan_config_selectorIfEEZZNS1_9scan_implILNS1_25lookback_scan_determinismE0ELb1ELb1ES3_N6thrust23THRUST_200600_302600_NS6detail15normal_iteratorINS9_10device_ptrIjEEEENSB_INSC_IiEEEEfNS9_4plusIvEEfEEDaPvRmT3_T4_T5_mT6_P12ihipStream_tbENKUlT_T0_E_clISt17integral_constantIbLb1EESW_EEDaSR_SS_EUlSR_E_NS1_11comp_targetILNS1_3genE8ELNS1_11target_archE1030ELNS1_3gpuE2ELNS1_3repE0EEENS1_30default_config_static_selectorELNS0_4arch9wavefront6targetE1EEEvT1_,"axG",@progbits,_ZN7rocprim17ROCPRIM_400000_NS6detail17trampoline_kernelINS0_14default_configENS1_20scan_config_selectorIfEEZZNS1_9scan_implILNS1_25lookback_scan_determinismE0ELb1ELb1ES3_N6thrust23THRUST_200600_302600_NS6detail15normal_iteratorINS9_10device_ptrIjEEEENSB_INSC_IiEEEEfNS9_4plusIvEEfEEDaPvRmT3_T4_T5_mT6_P12ihipStream_tbENKUlT_T0_E_clISt17integral_constantIbLb1EESW_EEDaSR_SS_EUlSR_E_NS1_11comp_targetILNS1_3genE8ELNS1_11target_archE1030ELNS1_3gpuE2ELNS1_3repE0EEENS1_30default_config_static_selectorELNS0_4arch9wavefront6targetE1EEEvT1_,comdat
	.protected	_ZN7rocprim17ROCPRIM_400000_NS6detail17trampoline_kernelINS0_14default_configENS1_20scan_config_selectorIfEEZZNS1_9scan_implILNS1_25lookback_scan_determinismE0ELb1ELb1ES3_N6thrust23THRUST_200600_302600_NS6detail15normal_iteratorINS9_10device_ptrIjEEEENSB_INSC_IiEEEEfNS9_4plusIvEEfEEDaPvRmT3_T4_T5_mT6_P12ihipStream_tbENKUlT_T0_E_clISt17integral_constantIbLb1EESW_EEDaSR_SS_EUlSR_E_NS1_11comp_targetILNS1_3genE8ELNS1_11target_archE1030ELNS1_3gpuE2ELNS1_3repE0EEENS1_30default_config_static_selectorELNS0_4arch9wavefront6targetE1EEEvT1_ ; -- Begin function _ZN7rocprim17ROCPRIM_400000_NS6detail17trampoline_kernelINS0_14default_configENS1_20scan_config_selectorIfEEZZNS1_9scan_implILNS1_25lookback_scan_determinismE0ELb1ELb1ES3_N6thrust23THRUST_200600_302600_NS6detail15normal_iteratorINS9_10device_ptrIjEEEENSB_INSC_IiEEEEfNS9_4plusIvEEfEEDaPvRmT3_T4_T5_mT6_P12ihipStream_tbENKUlT_T0_E_clISt17integral_constantIbLb1EESW_EEDaSR_SS_EUlSR_E_NS1_11comp_targetILNS1_3genE8ELNS1_11target_archE1030ELNS1_3gpuE2ELNS1_3repE0EEENS1_30default_config_static_selectorELNS0_4arch9wavefront6targetE1EEEvT1_
	.globl	_ZN7rocprim17ROCPRIM_400000_NS6detail17trampoline_kernelINS0_14default_configENS1_20scan_config_selectorIfEEZZNS1_9scan_implILNS1_25lookback_scan_determinismE0ELb1ELb1ES3_N6thrust23THRUST_200600_302600_NS6detail15normal_iteratorINS9_10device_ptrIjEEEENSB_INSC_IiEEEEfNS9_4plusIvEEfEEDaPvRmT3_T4_T5_mT6_P12ihipStream_tbENKUlT_T0_E_clISt17integral_constantIbLb1EESW_EEDaSR_SS_EUlSR_E_NS1_11comp_targetILNS1_3genE8ELNS1_11target_archE1030ELNS1_3gpuE2ELNS1_3repE0EEENS1_30default_config_static_selectorELNS0_4arch9wavefront6targetE1EEEvT1_
	.p2align	8
	.type	_ZN7rocprim17ROCPRIM_400000_NS6detail17trampoline_kernelINS0_14default_configENS1_20scan_config_selectorIfEEZZNS1_9scan_implILNS1_25lookback_scan_determinismE0ELb1ELb1ES3_N6thrust23THRUST_200600_302600_NS6detail15normal_iteratorINS9_10device_ptrIjEEEENSB_INSC_IiEEEEfNS9_4plusIvEEfEEDaPvRmT3_T4_T5_mT6_P12ihipStream_tbENKUlT_T0_E_clISt17integral_constantIbLb1EESW_EEDaSR_SS_EUlSR_E_NS1_11comp_targetILNS1_3genE8ELNS1_11target_archE1030ELNS1_3gpuE2ELNS1_3repE0EEENS1_30default_config_static_selectorELNS0_4arch9wavefront6targetE1EEEvT1_,@function
_ZN7rocprim17ROCPRIM_400000_NS6detail17trampoline_kernelINS0_14default_configENS1_20scan_config_selectorIfEEZZNS1_9scan_implILNS1_25lookback_scan_determinismE0ELb1ELb1ES3_N6thrust23THRUST_200600_302600_NS6detail15normal_iteratorINS9_10device_ptrIjEEEENSB_INSC_IiEEEEfNS9_4plusIvEEfEEDaPvRmT3_T4_T5_mT6_P12ihipStream_tbENKUlT_T0_E_clISt17integral_constantIbLb1EESW_EEDaSR_SS_EUlSR_E_NS1_11comp_targetILNS1_3genE8ELNS1_11target_archE1030ELNS1_3gpuE2ELNS1_3repE0EEENS1_30default_config_static_selectorELNS0_4arch9wavefront6targetE1EEEvT1_: ; @_ZN7rocprim17ROCPRIM_400000_NS6detail17trampoline_kernelINS0_14default_configENS1_20scan_config_selectorIfEEZZNS1_9scan_implILNS1_25lookback_scan_determinismE0ELb1ELb1ES3_N6thrust23THRUST_200600_302600_NS6detail15normal_iteratorINS9_10device_ptrIjEEEENSB_INSC_IiEEEEfNS9_4plusIvEEfEEDaPvRmT3_T4_T5_mT6_P12ihipStream_tbENKUlT_T0_E_clISt17integral_constantIbLb1EESW_EEDaSR_SS_EUlSR_E_NS1_11comp_targetILNS1_3genE8ELNS1_11target_archE1030ELNS1_3gpuE2ELNS1_3repE0EEENS1_30default_config_static_selectorELNS0_4arch9wavefront6targetE1EEEvT1_
; %bb.0:
	.section	.rodata,"a",@progbits
	.p2align	6, 0x0
	.amdhsa_kernel _ZN7rocprim17ROCPRIM_400000_NS6detail17trampoline_kernelINS0_14default_configENS1_20scan_config_selectorIfEEZZNS1_9scan_implILNS1_25lookback_scan_determinismE0ELb1ELb1ES3_N6thrust23THRUST_200600_302600_NS6detail15normal_iteratorINS9_10device_ptrIjEEEENSB_INSC_IiEEEEfNS9_4plusIvEEfEEDaPvRmT3_T4_T5_mT6_P12ihipStream_tbENKUlT_T0_E_clISt17integral_constantIbLb1EESW_EEDaSR_SS_EUlSR_E_NS1_11comp_targetILNS1_3genE8ELNS1_11target_archE1030ELNS1_3gpuE2ELNS1_3repE0EEENS1_30default_config_static_selectorELNS0_4arch9wavefront6targetE1EEEvT1_
		.amdhsa_group_segment_fixed_size 0
		.amdhsa_private_segment_fixed_size 0
		.amdhsa_kernarg_size 96
		.amdhsa_user_sgpr_count 6
		.amdhsa_user_sgpr_private_segment_buffer 1
		.amdhsa_user_sgpr_dispatch_ptr 0
		.amdhsa_user_sgpr_queue_ptr 0
		.amdhsa_user_sgpr_kernarg_segment_ptr 1
		.amdhsa_user_sgpr_dispatch_id 0
		.amdhsa_user_sgpr_flat_scratch_init 0
		.amdhsa_user_sgpr_kernarg_preload_length 0
		.amdhsa_user_sgpr_kernarg_preload_offset 0
		.amdhsa_user_sgpr_private_segment_size 0
		.amdhsa_uses_dynamic_stack 0
		.amdhsa_system_sgpr_private_segment_wavefront_offset 0
		.amdhsa_system_sgpr_workgroup_id_x 1
		.amdhsa_system_sgpr_workgroup_id_y 0
		.amdhsa_system_sgpr_workgroup_id_z 0
		.amdhsa_system_sgpr_workgroup_info 0
		.amdhsa_system_vgpr_workitem_id 0
		.amdhsa_next_free_vgpr 1
		.amdhsa_next_free_sgpr 0
		.amdhsa_accum_offset 4
		.amdhsa_reserve_vcc 0
		.amdhsa_reserve_flat_scratch 0
		.amdhsa_float_round_mode_32 0
		.amdhsa_float_round_mode_16_64 0
		.amdhsa_float_denorm_mode_32 3
		.amdhsa_float_denorm_mode_16_64 3
		.amdhsa_dx10_clamp 1
		.amdhsa_ieee_mode 1
		.amdhsa_fp16_overflow 0
		.amdhsa_tg_split 0
		.amdhsa_exception_fp_ieee_invalid_op 0
		.amdhsa_exception_fp_denorm_src 0
		.amdhsa_exception_fp_ieee_div_zero 0
		.amdhsa_exception_fp_ieee_overflow 0
		.amdhsa_exception_fp_ieee_underflow 0
		.amdhsa_exception_fp_ieee_inexact 0
		.amdhsa_exception_int_div_zero 0
	.end_amdhsa_kernel
	.section	.text._ZN7rocprim17ROCPRIM_400000_NS6detail17trampoline_kernelINS0_14default_configENS1_20scan_config_selectorIfEEZZNS1_9scan_implILNS1_25lookback_scan_determinismE0ELb1ELb1ES3_N6thrust23THRUST_200600_302600_NS6detail15normal_iteratorINS9_10device_ptrIjEEEENSB_INSC_IiEEEEfNS9_4plusIvEEfEEDaPvRmT3_T4_T5_mT6_P12ihipStream_tbENKUlT_T0_E_clISt17integral_constantIbLb1EESW_EEDaSR_SS_EUlSR_E_NS1_11comp_targetILNS1_3genE8ELNS1_11target_archE1030ELNS1_3gpuE2ELNS1_3repE0EEENS1_30default_config_static_selectorELNS0_4arch9wavefront6targetE1EEEvT1_,"axG",@progbits,_ZN7rocprim17ROCPRIM_400000_NS6detail17trampoline_kernelINS0_14default_configENS1_20scan_config_selectorIfEEZZNS1_9scan_implILNS1_25lookback_scan_determinismE0ELb1ELb1ES3_N6thrust23THRUST_200600_302600_NS6detail15normal_iteratorINS9_10device_ptrIjEEEENSB_INSC_IiEEEEfNS9_4plusIvEEfEEDaPvRmT3_T4_T5_mT6_P12ihipStream_tbENKUlT_T0_E_clISt17integral_constantIbLb1EESW_EEDaSR_SS_EUlSR_E_NS1_11comp_targetILNS1_3genE8ELNS1_11target_archE1030ELNS1_3gpuE2ELNS1_3repE0EEENS1_30default_config_static_selectorELNS0_4arch9wavefront6targetE1EEEvT1_,comdat
.Lfunc_end6330:
	.size	_ZN7rocprim17ROCPRIM_400000_NS6detail17trampoline_kernelINS0_14default_configENS1_20scan_config_selectorIfEEZZNS1_9scan_implILNS1_25lookback_scan_determinismE0ELb1ELb1ES3_N6thrust23THRUST_200600_302600_NS6detail15normal_iteratorINS9_10device_ptrIjEEEENSB_INSC_IiEEEEfNS9_4plusIvEEfEEDaPvRmT3_T4_T5_mT6_P12ihipStream_tbENKUlT_T0_E_clISt17integral_constantIbLb1EESW_EEDaSR_SS_EUlSR_E_NS1_11comp_targetILNS1_3genE8ELNS1_11target_archE1030ELNS1_3gpuE2ELNS1_3repE0EEENS1_30default_config_static_selectorELNS0_4arch9wavefront6targetE1EEEvT1_, .Lfunc_end6330-_ZN7rocprim17ROCPRIM_400000_NS6detail17trampoline_kernelINS0_14default_configENS1_20scan_config_selectorIfEEZZNS1_9scan_implILNS1_25lookback_scan_determinismE0ELb1ELb1ES3_N6thrust23THRUST_200600_302600_NS6detail15normal_iteratorINS9_10device_ptrIjEEEENSB_INSC_IiEEEEfNS9_4plusIvEEfEEDaPvRmT3_T4_T5_mT6_P12ihipStream_tbENKUlT_T0_E_clISt17integral_constantIbLb1EESW_EEDaSR_SS_EUlSR_E_NS1_11comp_targetILNS1_3genE8ELNS1_11target_archE1030ELNS1_3gpuE2ELNS1_3repE0EEENS1_30default_config_static_selectorELNS0_4arch9wavefront6targetE1EEEvT1_
                                        ; -- End function
	.section	.AMDGPU.csdata,"",@progbits
; Kernel info:
; codeLenInByte = 0
; NumSgprs: 4
; NumVgprs: 0
; NumAgprs: 0
; TotalNumVgprs: 0
; ScratchSize: 0
; MemoryBound: 0
; FloatMode: 240
; IeeeMode: 1
; LDSByteSize: 0 bytes/workgroup (compile time only)
; SGPRBlocks: 0
; VGPRBlocks: 0
; NumSGPRsForWavesPerEU: 4
; NumVGPRsForWavesPerEU: 1
; AccumOffset: 4
; Occupancy: 8
; WaveLimiterHint : 0
; COMPUTE_PGM_RSRC2:SCRATCH_EN: 0
; COMPUTE_PGM_RSRC2:USER_SGPR: 6
; COMPUTE_PGM_RSRC2:TRAP_HANDLER: 0
; COMPUTE_PGM_RSRC2:TGID_X_EN: 1
; COMPUTE_PGM_RSRC2:TGID_Y_EN: 0
; COMPUTE_PGM_RSRC2:TGID_Z_EN: 0
; COMPUTE_PGM_RSRC2:TIDIG_COMP_CNT: 0
; COMPUTE_PGM_RSRC3_GFX90A:ACCUM_OFFSET: 0
; COMPUTE_PGM_RSRC3_GFX90A:TG_SPLIT: 0
	.section	.text._ZN7rocprim17ROCPRIM_400000_NS6detail17trampoline_kernelINS0_14default_configENS1_20scan_config_selectorIfEEZZNS1_9scan_implILNS1_25lookback_scan_determinismE0ELb1ELb1ES3_N6thrust23THRUST_200600_302600_NS6detail15normal_iteratorINS9_10device_ptrIjEEEENSB_INSC_IiEEEEfNS9_4plusIvEEfEEDaPvRmT3_T4_T5_mT6_P12ihipStream_tbENKUlT_T0_E_clISt17integral_constantIbLb1EESW_EEDaSR_SS_EUlSR_E0_NS1_11comp_targetILNS1_3genE0ELNS1_11target_archE4294967295ELNS1_3gpuE0ELNS1_3repE0EEENS1_30default_config_static_selectorELNS0_4arch9wavefront6targetE1EEEvT1_,"axG",@progbits,_ZN7rocprim17ROCPRIM_400000_NS6detail17trampoline_kernelINS0_14default_configENS1_20scan_config_selectorIfEEZZNS1_9scan_implILNS1_25lookback_scan_determinismE0ELb1ELb1ES3_N6thrust23THRUST_200600_302600_NS6detail15normal_iteratorINS9_10device_ptrIjEEEENSB_INSC_IiEEEEfNS9_4plusIvEEfEEDaPvRmT3_T4_T5_mT6_P12ihipStream_tbENKUlT_T0_E_clISt17integral_constantIbLb1EESW_EEDaSR_SS_EUlSR_E0_NS1_11comp_targetILNS1_3genE0ELNS1_11target_archE4294967295ELNS1_3gpuE0ELNS1_3repE0EEENS1_30default_config_static_selectorELNS0_4arch9wavefront6targetE1EEEvT1_,comdat
	.protected	_ZN7rocprim17ROCPRIM_400000_NS6detail17trampoline_kernelINS0_14default_configENS1_20scan_config_selectorIfEEZZNS1_9scan_implILNS1_25lookback_scan_determinismE0ELb1ELb1ES3_N6thrust23THRUST_200600_302600_NS6detail15normal_iteratorINS9_10device_ptrIjEEEENSB_INSC_IiEEEEfNS9_4plusIvEEfEEDaPvRmT3_T4_T5_mT6_P12ihipStream_tbENKUlT_T0_E_clISt17integral_constantIbLb1EESW_EEDaSR_SS_EUlSR_E0_NS1_11comp_targetILNS1_3genE0ELNS1_11target_archE4294967295ELNS1_3gpuE0ELNS1_3repE0EEENS1_30default_config_static_selectorELNS0_4arch9wavefront6targetE1EEEvT1_ ; -- Begin function _ZN7rocprim17ROCPRIM_400000_NS6detail17trampoline_kernelINS0_14default_configENS1_20scan_config_selectorIfEEZZNS1_9scan_implILNS1_25lookback_scan_determinismE0ELb1ELb1ES3_N6thrust23THRUST_200600_302600_NS6detail15normal_iteratorINS9_10device_ptrIjEEEENSB_INSC_IiEEEEfNS9_4plusIvEEfEEDaPvRmT3_T4_T5_mT6_P12ihipStream_tbENKUlT_T0_E_clISt17integral_constantIbLb1EESW_EEDaSR_SS_EUlSR_E0_NS1_11comp_targetILNS1_3genE0ELNS1_11target_archE4294967295ELNS1_3gpuE0ELNS1_3repE0EEENS1_30default_config_static_selectorELNS0_4arch9wavefront6targetE1EEEvT1_
	.globl	_ZN7rocprim17ROCPRIM_400000_NS6detail17trampoline_kernelINS0_14default_configENS1_20scan_config_selectorIfEEZZNS1_9scan_implILNS1_25lookback_scan_determinismE0ELb1ELb1ES3_N6thrust23THRUST_200600_302600_NS6detail15normal_iteratorINS9_10device_ptrIjEEEENSB_INSC_IiEEEEfNS9_4plusIvEEfEEDaPvRmT3_T4_T5_mT6_P12ihipStream_tbENKUlT_T0_E_clISt17integral_constantIbLb1EESW_EEDaSR_SS_EUlSR_E0_NS1_11comp_targetILNS1_3genE0ELNS1_11target_archE4294967295ELNS1_3gpuE0ELNS1_3repE0EEENS1_30default_config_static_selectorELNS0_4arch9wavefront6targetE1EEEvT1_
	.p2align	8
	.type	_ZN7rocprim17ROCPRIM_400000_NS6detail17trampoline_kernelINS0_14default_configENS1_20scan_config_selectorIfEEZZNS1_9scan_implILNS1_25lookback_scan_determinismE0ELb1ELb1ES3_N6thrust23THRUST_200600_302600_NS6detail15normal_iteratorINS9_10device_ptrIjEEEENSB_INSC_IiEEEEfNS9_4plusIvEEfEEDaPvRmT3_T4_T5_mT6_P12ihipStream_tbENKUlT_T0_E_clISt17integral_constantIbLb1EESW_EEDaSR_SS_EUlSR_E0_NS1_11comp_targetILNS1_3genE0ELNS1_11target_archE4294967295ELNS1_3gpuE0ELNS1_3repE0EEENS1_30default_config_static_selectorELNS0_4arch9wavefront6targetE1EEEvT1_,@function
_ZN7rocprim17ROCPRIM_400000_NS6detail17trampoline_kernelINS0_14default_configENS1_20scan_config_selectorIfEEZZNS1_9scan_implILNS1_25lookback_scan_determinismE0ELb1ELb1ES3_N6thrust23THRUST_200600_302600_NS6detail15normal_iteratorINS9_10device_ptrIjEEEENSB_INSC_IiEEEEfNS9_4plusIvEEfEEDaPvRmT3_T4_T5_mT6_P12ihipStream_tbENKUlT_T0_E_clISt17integral_constantIbLb1EESW_EEDaSR_SS_EUlSR_E0_NS1_11comp_targetILNS1_3genE0ELNS1_11target_archE4294967295ELNS1_3gpuE0ELNS1_3repE0EEENS1_30default_config_static_selectorELNS0_4arch9wavefront6targetE1EEEvT1_: ; @_ZN7rocprim17ROCPRIM_400000_NS6detail17trampoline_kernelINS0_14default_configENS1_20scan_config_selectorIfEEZZNS1_9scan_implILNS1_25lookback_scan_determinismE0ELb1ELb1ES3_N6thrust23THRUST_200600_302600_NS6detail15normal_iteratorINS9_10device_ptrIjEEEENSB_INSC_IiEEEEfNS9_4plusIvEEfEEDaPvRmT3_T4_T5_mT6_P12ihipStream_tbENKUlT_T0_E_clISt17integral_constantIbLb1EESW_EEDaSR_SS_EUlSR_E0_NS1_11comp_targetILNS1_3genE0ELNS1_11target_archE4294967295ELNS1_3gpuE0ELNS1_3repE0EEENS1_30default_config_static_selectorELNS0_4arch9wavefront6targetE1EEEvT1_
; %bb.0:
	.section	.rodata,"a",@progbits
	.p2align	6, 0x0
	.amdhsa_kernel _ZN7rocprim17ROCPRIM_400000_NS6detail17trampoline_kernelINS0_14default_configENS1_20scan_config_selectorIfEEZZNS1_9scan_implILNS1_25lookback_scan_determinismE0ELb1ELb1ES3_N6thrust23THRUST_200600_302600_NS6detail15normal_iteratorINS9_10device_ptrIjEEEENSB_INSC_IiEEEEfNS9_4plusIvEEfEEDaPvRmT3_T4_T5_mT6_P12ihipStream_tbENKUlT_T0_E_clISt17integral_constantIbLb1EESW_EEDaSR_SS_EUlSR_E0_NS1_11comp_targetILNS1_3genE0ELNS1_11target_archE4294967295ELNS1_3gpuE0ELNS1_3repE0EEENS1_30default_config_static_selectorELNS0_4arch9wavefront6targetE1EEEvT1_
		.amdhsa_group_segment_fixed_size 0
		.amdhsa_private_segment_fixed_size 0
		.amdhsa_kernarg_size 32
		.amdhsa_user_sgpr_count 6
		.amdhsa_user_sgpr_private_segment_buffer 1
		.amdhsa_user_sgpr_dispatch_ptr 0
		.amdhsa_user_sgpr_queue_ptr 0
		.amdhsa_user_sgpr_kernarg_segment_ptr 1
		.amdhsa_user_sgpr_dispatch_id 0
		.amdhsa_user_sgpr_flat_scratch_init 0
		.amdhsa_user_sgpr_kernarg_preload_length 0
		.amdhsa_user_sgpr_kernarg_preload_offset 0
		.amdhsa_user_sgpr_private_segment_size 0
		.amdhsa_uses_dynamic_stack 0
		.amdhsa_system_sgpr_private_segment_wavefront_offset 0
		.amdhsa_system_sgpr_workgroup_id_x 1
		.amdhsa_system_sgpr_workgroup_id_y 0
		.amdhsa_system_sgpr_workgroup_id_z 0
		.amdhsa_system_sgpr_workgroup_info 0
		.amdhsa_system_vgpr_workitem_id 0
		.amdhsa_next_free_vgpr 1
		.amdhsa_next_free_sgpr 0
		.amdhsa_accum_offset 4
		.amdhsa_reserve_vcc 0
		.amdhsa_reserve_flat_scratch 0
		.amdhsa_float_round_mode_32 0
		.amdhsa_float_round_mode_16_64 0
		.amdhsa_float_denorm_mode_32 3
		.amdhsa_float_denorm_mode_16_64 3
		.amdhsa_dx10_clamp 1
		.amdhsa_ieee_mode 1
		.amdhsa_fp16_overflow 0
		.amdhsa_tg_split 0
		.amdhsa_exception_fp_ieee_invalid_op 0
		.amdhsa_exception_fp_denorm_src 0
		.amdhsa_exception_fp_ieee_div_zero 0
		.amdhsa_exception_fp_ieee_overflow 0
		.amdhsa_exception_fp_ieee_underflow 0
		.amdhsa_exception_fp_ieee_inexact 0
		.amdhsa_exception_int_div_zero 0
	.end_amdhsa_kernel
	.section	.text._ZN7rocprim17ROCPRIM_400000_NS6detail17trampoline_kernelINS0_14default_configENS1_20scan_config_selectorIfEEZZNS1_9scan_implILNS1_25lookback_scan_determinismE0ELb1ELb1ES3_N6thrust23THRUST_200600_302600_NS6detail15normal_iteratorINS9_10device_ptrIjEEEENSB_INSC_IiEEEEfNS9_4plusIvEEfEEDaPvRmT3_T4_T5_mT6_P12ihipStream_tbENKUlT_T0_E_clISt17integral_constantIbLb1EESW_EEDaSR_SS_EUlSR_E0_NS1_11comp_targetILNS1_3genE0ELNS1_11target_archE4294967295ELNS1_3gpuE0ELNS1_3repE0EEENS1_30default_config_static_selectorELNS0_4arch9wavefront6targetE1EEEvT1_,"axG",@progbits,_ZN7rocprim17ROCPRIM_400000_NS6detail17trampoline_kernelINS0_14default_configENS1_20scan_config_selectorIfEEZZNS1_9scan_implILNS1_25lookback_scan_determinismE0ELb1ELb1ES3_N6thrust23THRUST_200600_302600_NS6detail15normal_iteratorINS9_10device_ptrIjEEEENSB_INSC_IiEEEEfNS9_4plusIvEEfEEDaPvRmT3_T4_T5_mT6_P12ihipStream_tbENKUlT_T0_E_clISt17integral_constantIbLb1EESW_EEDaSR_SS_EUlSR_E0_NS1_11comp_targetILNS1_3genE0ELNS1_11target_archE4294967295ELNS1_3gpuE0ELNS1_3repE0EEENS1_30default_config_static_selectorELNS0_4arch9wavefront6targetE1EEEvT1_,comdat
.Lfunc_end6331:
	.size	_ZN7rocprim17ROCPRIM_400000_NS6detail17trampoline_kernelINS0_14default_configENS1_20scan_config_selectorIfEEZZNS1_9scan_implILNS1_25lookback_scan_determinismE0ELb1ELb1ES3_N6thrust23THRUST_200600_302600_NS6detail15normal_iteratorINS9_10device_ptrIjEEEENSB_INSC_IiEEEEfNS9_4plusIvEEfEEDaPvRmT3_T4_T5_mT6_P12ihipStream_tbENKUlT_T0_E_clISt17integral_constantIbLb1EESW_EEDaSR_SS_EUlSR_E0_NS1_11comp_targetILNS1_3genE0ELNS1_11target_archE4294967295ELNS1_3gpuE0ELNS1_3repE0EEENS1_30default_config_static_selectorELNS0_4arch9wavefront6targetE1EEEvT1_, .Lfunc_end6331-_ZN7rocprim17ROCPRIM_400000_NS6detail17trampoline_kernelINS0_14default_configENS1_20scan_config_selectorIfEEZZNS1_9scan_implILNS1_25lookback_scan_determinismE0ELb1ELb1ES3_N6thrust23THRUST_200600_302600_NS6detail15normal_iteratorINS9_10device_ptrIjEEEENSB_INSC_IiEEEEfNS9_4plusIvEEfEEDaPvRmT3_T4_T5_mT6_P12ihipStream_tbENKUlT_T0_E_clISt17integral_constantIbLb1EESW_EEDaSR_SS_EUlSR_E0_NS1_11comp_targetILNS1_3genE0ELNS1_11target_archE4294967295ELNS1_3gpuE0ELNS1_3repE0EEENS1_30default_config_static_selectorELNS0_4arch9wavefront6targetE1EEEvT1_
                                        ; -- End function
	.section	.AMDGPU.csdata,"",@progbits
; Kernel info:
; codeLenInByte = 0
; NumSgprs: 4
; NumVgprs: 0
; NumAgprs: 0
; TotalNumVgprs: 0
; ScratchSize: 0
; MemoryBound: 0
; FloatMode: 240
; IeeeMode: 1
; LDSByteSize: 0 bytes/workgroup (compile time only)
; SGPRBlocks: 0
; VGPRBlocks: 0
; NumSGPRsForWavesPerEU: 4
; NumVGPRsForWavesPerEU: 1
; AccumOffset: 4
; Occupancy: 8
; WaveLimiterHint : 0
; COMPUTE_PGM_RSRC2:SCRATCH_EN: 0
; COMPUTE_PGM_RSRC2:USER_SGPR: 6
; COMPUTE_PGM_RSRC2:TRAP_HANDLER: 0
; COMPUTE_PGM_RSRC2:TGID_X_EN: 1
; COMPUTE_PGM_RSRC2:TGID_Y_EN: 0
; COMPUTE_PGM_RSRC2:TGID_Z_EN: 0
; COMPUTE_PGM_RSRC2:TIDIG_COMP_CNT: 0
; COMPUTE_PGM_RSRC3_GFX90A:ACCUM_OFFSET: 0
; COMPUTE_PGM_RSRC3_GFX90A:TG_SPLIT: 0
	.section	.text._ZN7rocprim17ROCPRIM_400000_NS6detail17trampoline_kernelINS0_14default_configENS1_20scan_config_selectorIfEEZZNS1_9scan_implILNS1_25lookback_scan_determinismE0ELb1ELb1ES3_N6thrust23THRUST_200600_302600_NS6detail15normal_iteratorINS9_10device_ptrIjEEEENSB_INSC_IiEEEEfNS9_4plusIvEEfEEDaPvRmT3_T4_T5_mT6_P12ihipStream_tbENKUlT_T0_E_clISt17integral_constantIbLb1EESW_EEDaSR_SS_EUlSR_E0_NS1_11comp_targetILNS1_3genE5ELNS1_11target_archE942ELNS1_3gpuE9ELNS1_3repE0EEENS1_30default_config_static_selectorELNS0_4arch9wavefront6targetE1EEEvT1_,"axG",@progbits,_ZN7rocprim17ROCPRIM_400000_NS6detail17trampoline_kernelINS0_14default_configENS1_20scan_config_selectorIfEEZZNS1_9scan_implILNS1_25lookback_scan_determinismE0ELb1ELb1ES3_N6thrust23THRUST_200600_302600_NS6detail15normal_iteratorINS9_10device_ptrIjEEEENSB_INSC_IiEEEEfNS9_4plusIvEEfEEDaPvRmT3_T4_T5_mT6_P12ihipStream_tbENKUlT_T0_E_clISt17integral_constantIbLb1EESW_EEDaSR_SS_EUlSR_E0_NS1_11comp_targetILNS1_3genE5ELNS1_11target_archE942ELNS1_3gpuE9ELNS1_3repE0EEENS1_30default_config_static_selectorELNS0_4arch9wavefront6targetE1EEEvT1_,comdat
	.protected	_ZN7rocprim17ROCPRIM_400000_NS6detail17trampoline_kernelINS0_14default_configENS1_20scan_config_selectorIfEEZZNS1_9scan_implILNS1_25lookback_scan_determinismE0ELb1ELb1ES3_N6thrust23THRUST_200600_302600_NS6detail15normal_iteratorINS9_10device_ptrIjEEEENSB_INSC_IiEEEEfNS9_4plusIvEEfEEDaPvRmT3_T4_T5_mT6_P12ihipStream_tbENKUlT_T0_E_clISt17integral_constantIbLb1EESW_EEDaSR_SS_EUlSR_E0_NS1_11comp_targetILNS1_3genE5ELNS1_11target_archE942ELNS1_3gpuE9ELNS1_3repE0EEENS1_30default_config_static_selectorELNS0_4arch9wavefront6targetE1EEEvT1_ ; -- Begin function _ZN7rocprim17ROCPRIM_400000_NS6detail17trampoline_kernelINS0_14default_configENS1_20scan_config_selectorIfEEZZNS1_9scan_implILNS1_25lookback_scan_determinismE0ELb1ELb1ES3_N6thrust23THRUST_200600_302600_NS6detail15normal_iteratorINS9_10device_ptrIjEEEENSB_INSC_IiEEEEfNS9_4plusIvEEfEEDaPvRmT3_T4_T5_mT6_P12ihipStream_tbENKUlT_T0_E_clISt17integral_constantIbLb1EESW_EEDaSR_SS_EUlSR_E0_NS1_11comp_targetILNS1_3genE5ELNS1_11target_archE942ELNS1_3gpuE9ELNS1_3repE0EEENS1_30default_config_static_selectorELNS0_4arch9wavefront6targetE1EEEvT1_
	.globl	_ZN7rocprim17ROCPRIM_400000_NS6detail17trampoline_kernelINS0_14default_configENS1_20scan_config_selectorIfEEZZNS1_9scan_implILNS1_25lookback_scan_determinismE0ELb1ELb1ES3_N6thrust23THRUST_200600_302600_NS6detail15normal_iteratorINS9_10device_ptrIjEEEENSB_INSC_IiEEEEfNS9_4plusIvEEfEEDaPvRmT3_T4_T5_mT6_P12ihipStream_tbENKUlT_T0_E_clISt17integral_constantIbLb1EESW_EEDaSR_SS_EUlSR_E0_NS1_11comp_targetILNS1_3genE5ELNS1_11target_archE942ELNS1_3gpuE9ELNS1_3repE0EEENS1_30default_config_static_selectorELNS0_4arch9wavefront6targetE1EEEvT1_
	.p2align	8
	.type	_ZN7rocprim17ROCPRIM_400000_NS6detail17trampoline_kernelINS0_14default_configENS1_20scan_config_selectorIfEEZZNS1_9scan_implILNS1_25lookback_scan_determinismE0ELb1ELb1ES3_N6thrust23THRUST_200600_302600_NS6detail15normal_iteratorINS9_10device_ptrIjEEEENSB_INSC_IiEEEEfNS9_4plusIvEEfEEDaPvRmT3_T4_T5_mT6_P12ihipStream_tbENKUlT_T0_E_clISt17integral_constantIbLb1EESW_EEDaSR_SS_EUlSR_E0_NS1_11comp_targetILNS1_3genE5ELNS1_11target_archE942ELNS1_3gpuE9ELNS1_3repE0EEENS1_30default_config_static_selectorELNS0_4arch9wavefront6targetE1EEEvT1_,@function
_ZN7rocprim17ROCPRIM_400000_NS6detail17trampoline_kernelINS0_14default_configENS1_20scan_config_selectorIfEEZZNS1_9scan_implILNS1_25lookback_scan_determinismE0ELb1ELb1ES3_N6thrust23THRUST_200600_302600_NS6detail15normal_iteratorINS9_10device_ptrIjEEEENSB_INSC_IiEEEEfNS9_4plusIvEEfEEDaPvRmT3_T4_T5_mT6_P12ihipStream_tbENKUlT_T0_E_clISt17integral_constantIbLb1EESW_EEDaSR_SS_EUlSR_E0_NS1_11comp_targetILNS1_3genE5ELNS1_11target_archE942ELNS1_3gpuE9ELNS1_3repE0EEENS1_30default_config_static_selectorELNS0_4arch9wavefront6targetE1EEEvT1_: ; @_ZN7rocprim17ROCPRIM_400000_NS6detail17trampoline_kernelINS0_14default_configENS1_20scan_config_selectorIfEEZZNS1_9scan_implILNS1_25lookback_scan_determinismE0ELb1ELb1ES3_N6thrust23THRUST_200600_302600_NS6detail15normal_iteratorINS9_10device_ptrIjEEEENSB_INSC_IiEEEEfNS9_4plusIvEEfEEDaPvRmT3_T4_T5_mT6_P12ihipStream_tbENKUlT_T0_E_clISt17integral_constantIbLb1EESW_EEDaSR_SS_EUlSR_E0_NS1_11comp_targetILNS1_3genE5ELNS1_11target_archE942ELNS1_3gpuE9ELNS1_3repE0EEENS1_30default_config_static_selectorELNS0_4arch9wavefront6targetE1EEEvT1_
; %bb.0:
	.section	.rodata,"a",@progbits
	.p2align	6, 0x0
	.amdhsa_kernel _ZN7rocprim17ROCPRIM_400000_NS6detail17trampoline_kernelINS0_14default_configENS1_20scan_config_selectorIfEEZZNS1_9scan_implILNS1_25lookback_scan_determinismE0ELb1ELb1ES3_N6thrust23THRUST_200600_302600_NS6detail15normal_iteratorINS9_10device_ptrIjEEEENSB_INSC_IiEEEEfNS9_4plusIvEEfEEDaPvRmT3_T4_T5_mT6_P12ihipStream_tbENKUlT_T0_E_clISt17integral_constantIbLb1EESW_EEDaSR_SS_EUlSR_E0_NS1_11comp_targetILNS1_3genE5ELNS1_11target_archE942ELNS1_3gpuE9ELNS1_3repE0EEENS1_30default_config_static_selectorELNS0_4arch9wavefront6targetE1EEEvT1_
		.amdhsa_group_segment_fixed_size 0
		.amdhsa_private_segment_fixed_size 0
		.amdhsa_kernarg_size 32
		.amdhsa_user_sgpr_count 6
		.amdhsa_user_sgpr_private_segment_buffer 1
		.amdhsa_user_sgpr_dispatch_ptr 0
		.amdhsa_user_sgpr_queue_ptr 0
		.amdhsa_user_sgpr_kernarg_segment_ptr 1
		.amdhsa_user_sgpr_dispatch_id 0
		.amdhsa_user_sgpr_flat_scratch_init 0
		.amdhsa_user_sgpr_kernarg_preload_length 0
		.amdhsa_user_sgpr_kernarg_preload_offset 0
		.amdhsa_user_sgpr_private_segment_size 0
		.amdhsa_uses_dynamic_stack 0
		.amdhsa_system_sgpr_private_segment_wavefront_offset 0
		.amdhsa_system_sgpr_workgroup_id_x 1
		.amdhsa_system_sgpr_workgroup_id_y 0
		.amdhsa_system_sgpr_workgroup_id_z 0
		.amdhsa_system_sgpr_workgroup_info 0
		.amdhsa_system_vgpr_workitem_id 0
		.amdhsa_next_free_vgpr 1
		.amdhsa_next_free_sgpr 0
		.amdhsa_accum_offset 4
		.amdhsa_reserve_vcc 0
		.amdhsa_reserve_flat_scratch 0
		.amdhsa_float_round_mode_32 0
		.amdhsa_float_round_mode_16_64 0
		.amdhsa_float_denorm_mode_32 3
		.amdhsa_float_denorm_mode_16_64 3
		.amdhsa_dx10_clamp 1
		.amdhsa_ieee_mode 1
		.amdhsa_fp16_overflow 0
		.amdhsa_tg_split 0
		.amdhsa_exception_fp_ieee_invalid_op 0
		.amdhsa_exception_fp_denorm_src 0
		.amdhsa_exception_fp_ieee_div_zero 0
		.amdhsa_exception_fp_ieee_overflow 0
		.amdhsa_exception_fp_ieee_underflow 0
		.amdhsa_exception_fp_ieee_inexact 0
		.amdhsa_exception_int_div_zero 0
	.end_amdhsa_kernel
	.section	.text._ZN7rocprim17ROCPRIM_400000_NS6detail17trampoline_kernelINS0_14default_configENS1_20scan_config_selectorIfEEZZNS1_9scan_implILNS1_25lookback_scan_determinismE0ELb1ELb1ES3_N6thrust23THRUST_200600_302600_NS6detail15normal_iteratorINS9_10device_ptrIjEEEENSB_INSC_IiEEEEfNS9_4plusIvEEfEEDaPvRmT3_T4_T5_mT6_P12ihipStream_tbENKUlT_T0_E_clISt17integral_constantIbLb1EESW_EEDaSR_SS_EUlSR_E0_NS1_11comp_targetILNS1_3genE5ELNS1_11target_archE942ELNS1_3gpuE9ELNS1_3repE0EEENS1_30default_config_static_selectorELNS0_4arch9wavefront6targetE1EEEvT1_,"axG",@progbits,_ZN7rocprim17ROCPRIM_400000_NS6detail17trampoline_kernelINS0_14default_configENS1_20scan_config_selectorIfEEZZNS1_9scan_implILNS1_25lookback_scan_determinismE0ELb1ELb1ES3_N6thrust23THRUST_200600_302600_NS6detail15normal_iteratorINS9_10device_ptrIjEEEENSB_INSC_IiEEEEfNS9_4plusIvEEfEEDaPvRmT3_T4_T5_mT6_P12ihipStream_tbENKUlT_T0_E_clISt17integral_constantIbLb1EESW_EEDaSR_SS_EUlSR_E0_NS1_11comp_targetILNS1_3genE5ELNS1_11target_archE942ELNS1_3gpuE9ELNS1_3repE0EEENS1_30default_config_static_selectorELNS0_4arch9wavefront6targetE1EEEvT1_,comdat
.Lfunc_end6332:
	.size	_ZN7rocprim17ROCPRIM_400000_NS6detail17trampoline_kernelINS0_14default_configENS1_20scan_config_selectorIfEEZZNS1_9scan_implILNS1_25lookback_scan_determinismE0ELb1ELb1ES3_N6thrust23THRUST_200600_302600_NS6detail15normal_iteratorINS9_10device_ptrIjEEEENSB_INSC_IiEEEEfNS9_4plusIvEEfEEDaPvRmT3_T4_T5_mT6_P12ihipStream_tbENKUlT_T0_E_clISt17integral_constantIbLb1EESW_EEDaSR_SS_EUlSR_E0_NS1_11comp_targetILNS1_3genE5ELNS1_11target_archE942ELNS1_3gpuE9ELNS1_3repE0EEENS1_30default_config_static_selectorELNS0_4arch9wavefront6targetE1EEEvT1_, .Lfunc_end6332-_ZN7rocprim17ROCPRIM_400000_NS6detail17trampoline_kernelINS0_14default_configENS1_20scan_config_selectorIfEEZZNS1_9scan_implILNS1_25lookback_scan_determinismE0ELb1ELb1ES3_N6thrust23THRUST_200600_302600_NS6detail15normal_iteratorINS9_10device_ptrIjEEEENSB_INSC_IiEEEEfNS9_4plusIvEEfEEDaPvRmT3_T4_T5_mT6_P12ihipStream_tbENKUlT_T0_E_clISt17integral_constantIbLb1EESW_EEDaSR_SS_EUlSR_E0_NS1_11comp_targetILNS1_3genE5ELNS1_11target_archE942ELNS1_3gpuE9ELNS1_3repE0EEENS1_30default_config_static_selectorELNS0_4arch9wavefront6targetE1EEEvT1_
                                        ; -- End function
	.section	.AMDGPU.csdata,"",@progbits
; Kernel info:
; codeLenInByte = 0
; NumSgprs: 4
; NumVgprs: 0
; NumAgprs: 0
; TotalNumVgprs: 0
; ScratchSize: 0
; MemoryBound: 0
; FloatMode: 240
; IeeeMode: 1
; LDSByteSize: 0 bytes/workgroup (compile time only)
; SGPRBlocks: 0
; VGPRBlocks: 0
; NumSGPRsForWavesPerEU: 4
; NumVGPRsForWavesPerEU: 1
; AccumOffset: 4
; Occupancy: 8
; WaveLimiterHint : 0
; COMPUTE_PGM_RSRC2:SCRATCH_EN: 0
; COMPUTE_PGM_RSRC2:USER_SGPR: 6
; COMPUTE_PGM_RSRC2:TRAP_HANDLER: 0
; COMPUTE_PGM_RSRC2:TGID_X_EN: 1
; COMPUTE_PGM_RSRC2:TGID_Y_EN: 0
; COMPUTE_PGM_RSRC2:TGID_Z_EN: 0
; COMPUTE_PGM_RSRC2:TIDIG_COMP_CNT: 0
; COMPUTE_PGM_RSRC3_GFX90A:ACCUM_OFFSET: 0
; COMPUTE_PGM_RSRC3_GFX90A:TG_SPLIT: 0
	.section	.text._ZN7rocprim17ROCPRIM_400000_NS6detail17trampoline_kernelINS0_14default_configENS1_20scan_config_selectorIfEEZZNS1_9scan_implILNS1_25lookback_scan_determinismE0ELb1ELb1ES3_N6thrust23THRUST_200600_302600_NS6detail15normal_iteratorINS9_10device_ptrIjEEEENSB_INSC_IiEEEEfNS9_4plusIvEEfEEDaPvRmT3_T4_T5_mT6_P12ihipStream_tbENKUlT_T0_E_clISt17integral_constantIbLb1EESW_EEDaSR_SS_EUlSR_E0_NS1_11comp_targetILNS1_3genE4ELNS1_11target_archE910ELNS1_3gpuE8ELNS1_3repE0EEENS1_30default_config_static_selectorELNS0_4arch9wavefront6targetE1EEEvT1_,"axG",@progbits,_ZN7rocprim17ROCPRIM_400000_NS6detail17trampoline_kernelINS0_14default_configENS1_20scan_config_selectorIfEEZZNS1_9scan_implILNS1_25lookback_scan_determinismE0ELb1ELb1ES3_N6thrust23THRUST_200600_302600_NS6detail15normal_iteratorINS9_10device_ptrIjEEEENSB_INSC_IiEEEEfNS9_4plusIvEEfEEDaPvRmT3_T4_T5_mT6_P12ihipStream_tbENKUlT_T0_E_clISt17integral_constantIbLb1EESW_EEDaSR_SS_EUlSR_E0_NS1_11comp_targetILNS1_3genE4ELNS1_11target_archE910ELNS1_3gpuE8ELNS1_3repE0EEENS1_30default_config_static_selectorELNS0_4arch9wavefront6targetE1EEEvT1_,comdat
	.protected	_ZN7rocprim17ROCPRIM_400000_NS6detail17trampoline_kernelINS0_14default_configENS1_20scan_config_selectorIfEEZZNS1_9scan_implILNS1_25lookback_scan_determinismE0ELb1ELb1ES3_N6thrust23THRUST_200600_302600_NS6detail15normal_iteratorINS9_10device_ptrIjEEEENSB_INSC_IiEEEEfNS9_4plusIvEEfEEDaPvRmT3_T4_T5_mT6_P12ihipStream_tbENKUlT_T0_E_clISt17integral_constantIbLb1EESW_EEDaSR_SS_EUlSR_E0_NS1_11comp_targetILNS1_3genE4ELNS1_11target_archE910ELNS1_3gpuE8ELNS1_3repE0EEENS1_30default_config_static_selectorELNS0_4arch9wavefront6targetE1EEEvT1_ ; -- Begin function _ZN7rocprim17ROCPRIM_400000_NS6detail17trampoline_kernelINS0_14default_configENS1_20scan_config_selectorIfEEZZNS1_9scan_implILNS1_25lookback_scan_determinismE0ELb1ELb1ES3_N6thrust23THRUST_200600_302600_NS6detail15normal_iteratorINS9_10device_ptrIjEEEENSB_INSC_IiEEEEfNS9_4plusIvEEfEEDaPvRmT3_T4_T5_mT6_P12ihipStream_tbENKUlT_T0_E_clISt17integral_constantIbLb1EESW_EEDaSR_SS_EUlSR_E0_NS1_11comp_targetILNS1_3genE4ELNS1_11target_archE910ELNS1_3gpuE8ELNS1_3repE0EEENS1_30default_config_static_selectorELNS0_4arch9wavefront6targetE1EEEvT1_
	.globl	_ZN7rocprim17ROCPRIM_400000_NS6detail17trampoline_kernelINS0_14default_configENS1_20scan_config_selectorIfEEZZNS1_9scan_implILNS1_25lookback_scan_determinismE0ELb1ELb1ES3_N6thrust23THRUST_200600_302600_NS6detail15normal_iteratorINS9_10device_ptrIjEEEENSB_INSC_IiEEEEfNS9_4plusIvEEfEEDaPvRmT3_T4_T5_mT6_P12ihipStream_tbENKUlT_T0_E_clISt17integral_constantIbLb1EESW_EEDaSR_SS_EUlSR_E0_NS1_11comp_targetILNS1_3genE4ELNS1_11target_archE910ELNS1_3gpuE8ELNS1_3repE0EEENS1_30default_config_static_selectorELNS0_4arch9wavefront6targetE1EEEvT1_
	.p2align	8
	.type	_ZN7rocprim17ROCPRIM_400000_NS6detail17trampoline_kernelINS0_14default_configENS1_20scan_config_selectorIfEEZZNS1_9scan_implILNS1_25lookback_scan_determinismE0ELb1ELb1ES3_N6thrust23THRUST_200600_302600_NS6detail15normal_iteratorINS9_10device_ptrIjEEEENSB_INSC_IiEEEEfNS9_4plusIvEEfEEDaPvRmT3_T4_T5_mT6_P12ihipStream_tbENKUlT_T0_E_clISt17integral_constantIbLb1EESW_EEDaSR_SS_EUlSR_E0_NS1_11comp_targetILNS1_3genE4ELNS1_11target_archE910ELNS1_3gpuE8ELNS1_3repE0EEENS1_30default_config_static_selectorELNS0_4arch9wavefront6targetE1EEEvT1_,@function
_ZN7rocprim17ROCPRIM_400000_NS6detail17trampoline_kernelINS0_14default_configENS1_20scan_config_selectorIfEEZZNS1_9scan_implILNS1_25lookback_scan_determinismE0ELb1ELb1ES3_N6thrust23THRUST_200600_302600_NS6detail15normal_iteratorINS9_10device_ptrIjEEEENSB_INSC_IiEEEEfNS9_4plusIvEEfEEDaPvRmT3_T4_T5_mT6_P12ihipStream_tbENKUlT_T0_E_clISt17integral_constantIbLb1EESW_EEDaSR_SS_EUlSR_E0_NS1_11comp_targetILNS1_3genE4ELNS1_11target_archE910ELNS1_3gpuE8ELNS1_3repE0EEENS1_30default_config_static_selectorELNS0_4arch9wavefront6targetE1EEEvT1_: ; @_ZN7rocprim17ROCPRIM_400000_NS6detail17trampoline_kernelINS0_14default_configENS1_20scan_config_selectorIfEEZZNS1_9scan_implILNS1_25lookback_scan_determinismE0ELb1ELb1ES3_N6thrust23THRUST_200600_302600_NS6detail15normal_iteratorINS9_10device_ptrIjEEEENSB_INSC_IiEEEEfNS9_4plusIvEEfEEDaPvRmT3_T4_T5_mT6_P12ihipStream_tbENKUlT_T0_E_clISt17integral_constantIbLb1EESW_EEDaSR_SS_EUlSR_E0_NS1_11comp_targetILNS1_3genE4ELNS1_11target_archE910ELNS1_3gpuE8ELNS1_3repE0EEENS1_30default_config_static_selectorELNS0_4arch9wavefront6targetE1EEEvT1_
; %bb.0:
	s_load_dwordx4 s[28:31], s[4:5], 0x0
	v_lshlrev_b32_e32 v18, 2, v0
	s_waitcnt lgkmcnt(0)
	s_load_dword s0, s[28:29], 0x0
	v_cmp_gt_u32_e32 vcc, s30, v0
	s_waitcnt lgkmcnt(0)
	v_cvt_f32_u32_e32 v1, s0
	v_mov_b32_e32 v2, v1
	s_and_saveexec_b64 s[0:1], vcc
	s_cbranch_execz .LBB6333_2
; %bb.1:
	global_load_dword v2, v18, s[28:29]
	s_waitcnt vmcnt(0)
	v_cvt_f32_u32_e32 v2, v2
.LBB6333_2:
	s_or_b64 exec, exec, s[0:1]
	v_or_b32_e32 v3, 0x80, v0
	v_cmp_gt_u32_e64 s[0:1], s30, v3
	v_mov_b32_e32 v3, v1
	s_and_saveexec_b64 s[2:3], s[0:1]
	s_cbranch_execz .LBB6333_4
; %bb.3:
	global_load_dword v3, v18, s[28:29] offset:512
	s_waitcnt vmcnt(0)
	v_cvt_f32_u32_e32 v3, v3
.LBB6333_4:
	s_or_b64 exec, exec, s[2:3]
	v_or_b32_e32 v4, 0x100, v0
	v_cmp_gt_u32_e64 s[2:3], s30, v4
	v_mov_b32_e32 v4, v1
	s_and_saveexec_b64 s[6:7], s[2:3]
	s_cbranch_execz .LBB6333_6
; %bb.5:
	global_load_dword v4, v18, s[28:29] offset:1024
	s_waitcnt vmcnt(0)
	v_cvt_f32_u32_e32 v4, v4
.LBB6333_6:
	;; [unrolled: 11-line block ×7, first 2 shown]
	s_or_b64 exec, exec, s[14:15]
	v_or_b32_e32 v11, 0x400, v0
	v_cmp_gt_u32_e64 s[14:15], s30, v11
	v_mov_b32_e32 v10, v1
	s_and_saveexec_b64 s[16:17], s[14:15]
	s_cbranch_execz .LBB6333_18
; %bb.17:
	v_lshlrev_b32_e32 v10, 2, v11
	global_load_dword v10, v10, s[28:29]
	s_waitcnt vmcnt(0)
	v_cvt_f32_u32_e32 v10, v10
.LBB6333_18:
	s_or_b64 exec, exec, s[16:17]
	v_or_b32_e32 v12, 0x480, v0
	v_cmp_gt_u32_e64 s[16:17], s30, v12
	v_mov_b32_e32 v11, v1
	s_and_saveexec_b64 s[18:19], s[16:17]
	s_cbranch_execz .LBB6333_20
; %bb.19:
	v_lshlrev_b32_e32 v11, 2, v12
	global_load_dword v11, v11, s[28:29]
	s_waitcnt vmcnt(0)
	v_cvt_f32_u32_e32 v11, v11
.LBB6333_20:
	;; [unrolled: 12-line block ×5, first 2 shown]
	s_or_b64 exec, exec, s[24:25]
	s_load_dword s33, s[4:5], 0x10
	v_or_b32_e32 v15, 0x680, v0
	v_cmp_gt_u32_e64 s[24:25], s30, v15
	s_and_saveexec_b64 s[30:31], s[24:25]
	s_cbranch_execz .LBB6333_28
; %bb.27:
	v_lshlrev_b32_e32 v1, 2, v15
	global_load_dword v1, v1, s[28:29]
	s_waitcnt vmcnt(0)
	v_cvt_f32_u32_e32 v1, v1
.LBB6333_28:
	s_or_b64 exec, exec, s[30:31]
	ds_write2st64_b32 v18, v2, v3 offset1:2
	ds_write2st64_b32 v18, v4, v5 offset0:4 offset1:6
	ds_write2st64_b32 v18, v6, v7 offset0:8 offset1:10
	;; [unrolled: 1-line block ×6, first 2 shown]
	v_mad_u32_u24 v1, v0, 52, v18
	s_waitcnt lgkmcnt(0)
	s_barrier
	ds_read2_b64 v[10:13], v1 offset1:1
	ds_read2_b64 v[6:9], v1 offset0:2 offset1:3
	ds_read2_b64 v[2:5], v1 offset0:4 offset1:5
	ds_read_b64 v[14:15], v1 offset:48
	s_load_dwordx2 s[34:35], s[4:5], 0x18
	s_waitcnt lgkmcnt(0)
	v_add_f32_e32 v16, v10, v11
	v_add_f32_e32 v16, v16, v12
	;; [unrolled: 1-line block ×13, first 2 shown]
	v_lshrrev_b32_e32 v16, 3, v0
	v_and_b32_e32 v16, 12, v16
	v_add_u32_e32 v16, v18, v16
	v_cmp_gt_u32_e64 s[4:5], 64, v0
	s_barrier
	ds_write_b32 v16, v15
	s_waitcnt lgkmcnt(0)
	s_barrier
	s_and_saveexec_b64 s[36:37], s[4:5]
	s_cbranch_execz .LBB6333_30
; %bb.29:
	v_lshlrev_b32_e32 v16, 1, v0
	v_lshrrev_b32_e32 v17, 4, v0
	v_add_lshl_u32 v19, v17, v16, 2
	ds_read2_b32 v[16:17], v19 offset1:1
	v_mbcnt_lo_u32_b32 v20, -1, 0
	v_mbcnt_hi_u32_b32 v20, -1, v20
	v_and_b32_e32 v21, 15, v20
	v_cmp_eq_u32_e64 s[4:5], 0, v21
	s_waitcnt lgkmcnt(0)
	v_add_f32_e32 v17, v16, v17
	v_cmp_lt_u32_e64 s[28:29], 3, v21
	v_cmp_lt_u32_e64 s[30:31], 31, v20
	v_mov_b32_dpp v22, v17 row_shr:1 row_mask:0xf bank_mask:0xf
	v_add_f32_e32 v22, v17, v22
	v_cndmask_b32_e64 v17, v22, v17, s[4:5]
	v_cmp_lt_u32_e64 s[4:5], 1, v21
	s_nop 0
	v_mov_b32_dpp v22, v17 row_shr:2 row_mask:0xf bank_mask:0xf
	v_add_f32_e32 v22, v17, v22
	v_cndmask_b32_e64 v22, v17, v22, s[4:5]
	; wave barrier
	s_nop 1
	v_mov_b32_dpp v23, v22 row_shr:4 row_mask:0xf bank_mask:0xf
	v_add_f32_e32 v23, v22, v23
	v_cndmask_b32_e64 v22, v22, v23, s[28:29]
	v_cmp_lt_u32_e64 s[28:29], 7, v21
	s_nop 0
	v_mov_b32_dpp v23, v22 row_shr:8 row_mask:0xf bank_mask:0xf
	v_add_f32_e32 v23, v22, v23
	v_cndmask_b32_e64 v21, v22, v23, s[28:29]
	v_and_b32_e32 v23, 16, v20
	v_cmp_eq_u32_e64 s[28:29], 0, v23
	v_mov_b32_dpp v22, v21 row_bcast:15 row_mask:0xf bank_mask:0xf
	v_add_f32_e32 v22, v21, v22
	v_cndmask_b32_e64 v21, v22, v21, s[28:29]
	v_cmp_lt_u32_e64 s[28:29], 15, v20
	s_or_b64 s[4:5], s[28:29], s[4:5]
	v_mov_b32_dpp v22, v21 row_bcast:31 row_mask:0xf bank_mask:0xf
	v_add_f32_e32 v22, v21, v22
	v_cndmask_b32_e64 v21, v21, v22, s[30:31]
	v_cndmask_b32_e64 v17, v17, v21, s[4:5]
	v_add_u32_e32 v21, -1, v20
	v_and_b32_e32 v22, 64, v20
	v_cmp_lt_i32_e64 s[4:5], v21, v22
	v_cndmask_b32_e64 v20, v21, v20, s[4:5]
	v_lshlrev_b32_e32 v20, 2, v20
	ds_bpermute_b32 v17, v20, v17
	v_cmp_eq_u32_e64 s[4:5], 0, v0
	s_waitcnt lgkmcnt(0)
	v_add_f32_e32 v16, v16, v17
	v_cndmask_b32_e64 v15, v16, v15, s[4:5]
	ds_write_b32 v19, v15
	; wave barrier
	ds_read_b32 v16, v19 offset:4
	s_waitcnt lgkmcnt(0)
	v_add_f32_e32 v15, v15, v16
	ds_write_b32 v19, v15 offset:4
.LBB6333_30:
	s_or_b64 exec, exec, s[36:37]
	v_cmp_ne_u32_e64 s[4:5], 0, v0
	v_mov_b32_e32 v16, s33
	s_waitcnt lgkmcnt(0)
	s_barrier
	s_and_saveexec_b64 s[28:29], s[4:5]
	s_cbranch_execz .LBB6333_32
; %bb.31:
	v_add_u32_e32 v15, -1, v0
	v_lshrrev_b32_e32 v16, 5, v15
	v_add_lshl_u32 v15, v16, v15, 2
	ds_read_b32 v15, v15
	s_waitcnt lgkmcnt(0)
	v_add_f32_e32 v16, s33, v15
.LBB6333_32:
	s_or_b64 exec, exec, s[28:29]
	v_add_f32_e32 v17, v10, v16
	v_add_f32_e32 v10, v11, v17
	;; [unrolled: 1-line block ×12, first 2 shown]
	s_movk_i32 s4, 0xffcc
	v_add_f32_e32 v5, v14, v4
	v_mad_i32_i24 v0, v0, s4, v1
	s_barrier
	ds_write2_b64 v1, v[16:17], v[10:11] offset1:1
	ds_write2_b64 v1, v[12:13], v[6:7] offset0:2 offset1:3
	ds_write2_b64 v1, v[8:9], v[2:3] offset0:4 offset1:5
	ds_write_b64 v1, v[4:5] offset:48
	s_waitcnt lgkmcnt(0)
	s_barrier
	ds_read2st64_b32 v[12:13], v0 offset0:2 offset1:4
	ds_read2st64_b32 v[10:11], v0 offset0:6 offset1:8
	;; [unrolled: 1-line block ×4, first 2 shown]
	ds_read_b32 v14, v18 offset:4096
	ds_read2st64_b32 v[4:5], v0 offset0:20 offset1:22
	ds_read2st64_b32 v[2:3], v0 offset0:24 offset1:26
	v_mov_b32_e32 v1, s35
	v_add_co_u32_e64 v0, s[4:5], s34, v18
	v_addc_co_u32_e64 v1, s[4:5], 0, v1, s[4:5]
	s_and_saveexec_b64 s[4:5], vcc
	s_cbranch_execnz .LBB6333_47
; %bb.33:
	s_or_b64 exec, exec, s[4:5]
	s_and_saveexec_b64 s[4:5], s[0:1]
	s_cbranch_execnz .LBB6333_48
.LBB6333_34:
	s_or_b64 exec, exec, s[4:5]
	s_and_saveexec_b64 s[0:1], s[2:3]
	s_cbranch_execnz .LBB6333_49
.LBB6333_35:
	s_or_b64 exec, exec, s[0:1]
	s_and_saveexec_b64 s[0:1], s[26:27]
	s_cbranch_execnz .LBB6333_50
.LBB6333_36:
	s_or_b64 exec, exec, s[0:1]
	s_and_saveexec_b64 s[0:1], s[6:7]
	s_cbranch_execnz .LBB6333_51
.LBB6333_37:
	s_or_b64 exec, exec, s[0:1]
	s_and_saveexec_b64 s[0:1], s[8:9]
	s_cbranch_execnz .LBB6333_52
.LBB6333_38:
	s_or_b64 exec, exec, s[0:1]
	s_and_saveexec_b64 s[0:1], s[10:11]
	s_cbranch_execnz .LBB6333_53
.LBB6333_39:
	s_or_b64 exec, exec, s[0:1]
	s_and_saveexec_b64 s[0:1], s[12:13]
	s_cbranch_execnz .LBB6333_54
.LBB6333_40:
	s_or_b64 exec, exec, s[0:1]
	s_and_saveexec_b64 s[0:1], s[14:15]
	s_cbranch_execnz .LBB6333_55
.LBB6333_41:
	s_or_b64 exec, exec, s[0:1]
	s_and_saveexec_b64 s[0:1], s[16:17]
	s_cbranch_execnz .LBB6333_56
.LBB6333_42:
	s_or_b64 exec, exec, s[0:1]
	s_and_saveexec_b64 s[0:1], s[18:19]
	s_cbranch_execnz .LBB6333_57
.LBB6333_43:
	s_or_b64 exec, exec, s[0:1]
	s_and_saveexec_b64 s[0:1], s[20:21]
	s_cbranch_execnz .LBB6333_58
.LBB6333_44:
	s_or_b64 exec, exec, s[0:1]
	s_and_saveexec_b64 s[0:1], s[22:23]
	s_cbranch_execnz .LBB6333_59
.LBB6333_45:
	s_or_b64 exec, exec, s[0:1]
	s_and_saveexec_b64 s[0:1], s[24:25]
	s_cbranch_execnz .LBB6333_60
.LBB6333_46:
	s_endpgm
.LBB6333_47:
	ds_read_b32 v15, v18
	s_waitcnt lgkmcnt(0)
	v_cvt_i32_f32_e32 v15, v15
	global_store_dword v[0:1], v15, off
	s_or_b64 exec, exec, s[4:5]
	s_and_saveexec_b64 s[4:5], s[0:1]
	s_cbranch_execz .LBB6333_34
.LBB6333_48:
	s_waitcnt lgkmcnt(6)
	v_cvt_i32_f32_e32 v12, v12
	global_store_dword v[0:1], v12, off offset:512
	s_or_b64 exec, exec, s[4:5]
	s_and_saveexec_b64 s[0:1], s[2:3]
	s_cbranch_execz .LBB6333_35
.LBB6333_49:
	s_waitcnt lgkmcnt(6)
	v_cvt_i32_f32_e32 v12, v13
	global_store_dword v[0:1], v12, off offset:1024
	s_or_b64 exec, exec, s[0:1]
	s_and_saveexec_b64 s[0:1], s[26:27]
	s_cbranch_execz .LBB6333_36
.LBB6333_50:
	s_waitcnt lgkmcnt(5)
	v_cvt_i32_f32_e32 v10, v10
	global_store_dword v[0:1], v10, off offset:1536
	s_or_b64 exec, exec, s[0:1]
	s_and_saveexec_b64 s[0:1], s[6:7]
	s_cbranch_execz .LBB6333_37
.LBB6333_51:
	s_waitcnt lgkmcnt(5)
	v_cvt_i32_f32_e32 v10, v11
	global_store_dword v[0:1], v10, off offset:2048
	s_or_b64 exec, exec, s[0:1]
	s_and_saveexec_b64 s[0:1], s[8:9]
	s_cbranch_execz .LBB6333_38
.LBB6333_52:
	s_waitcnt lgkmcnt(4)
	v_cvt_i32_f32_e32 v8, v8
	global_store_dword v[0:1], v8, off offset:2560
	s_or_b64 exec, exec, s[0:1]
	s_and_saveexec_b64 s[0:1], s[10:11]
	s_cbranch_execz .LBB6333_39
.LBB6333_53:
	s_waitcnt lgkmcnt(4)
	v_cvt_i32_f32_e32 v8, v9
	global_store_dword v[0:1], v8, off offset:3072
	s_or_b64 exec, exec, s[0:1]
	s_and_saveexec_b64 s[0:1], s[12:13]
	s_cbranch_execz .LBB6333_40
.LBB6333_54:
	s_waitcnt lgkmcnt(3)
	v_cvt_i32_f32_e32 v6, v6
	global_store_dword v[0:1], v6, off offset:3584
	s_or_b64 exec, exec, s[0:1]
	s_and_saveexec_b64 s[0:1], s[14:15]
	s_cbranch_execz .LBB6333_41
.LBB6333_55:
	s_waitcnt lgkmcnt(2)
	v_cvt_i32_f32_e32 v6, v14
	v_add_co_u32_e32 v8, vcc, 0x1000, v0
	v_addc_co_u32_e32 v9, vcc, 0, v1, vcc
	global_store_dword v[8:9], v6, off
	s_or_b64 exec, exec, s[0:1]
	s_and_saveexec_b64 s[0:1], s[16:17]
	s_cbranch_execz .LBB6333_42
.LBB6333_56:
	s_waitcnt lgkmcnt(3)
	v_cvt_i32_f32_e32 v8, v7
	v_add_co_u32_e32 v6, vcc, 0x1000, v0
	v_addc_co_u32_e32 v7, vcc, 0, v1, vcc
	global_store_dword v[6:7], v8, off offset:512
	s_or_b64 exec, exec, s[0:1]
	s_and_saveexec_b64 s[0:1], s[18:19]
	s_cbranch_execz .LBB6333_43
.LBB6333_57:
	s_waitcnt lgkmcnt(1)
	v_cvt_i32_f32_e32 v4, v4
	v_add_co_u32_e32 v6, vcc, 0x1000, v0
	v_addc_co_u32_e32 v7, vcc, 0, v1, vcc
	global_store_dword v[6:7], v4, off offset:1024
	s_or_b64 exec, exec, s[0:1]
	s_and_saveexec_b64 s[0:1], s[20:21]
	s_cbranch_execz .LBB6333_44
.LBB6333_58:
	s_waitcnt lgkmcnt(1)
	v_cvt_i32_f32_e32 v6, v5
	v_add_co_u32_e32 v4, vcc, 0x1000, v0
	v_addc_co_u32_e32 v5, vcc, 0, v1, vcc
	global_store_dword v[4:5], v6, off offset:1536
	s_or_b64 exec, exec, s[0:1]
	s_and_saveexec_b64 s[0:1], s[22:23]
	s_cbranch_execz .LBB6333_45
.LBB6333_59:
	s_waitcnt lgkmcnt(0)
	v_cvt_i32_f32_e32 v2, v2
	v_add_co_u32_e32 v4, vcc, 0x1000, v0
	v_addc_co_u32_e32 v5, vcc, 0, v1, vcc
	global_store_dword v[4:5], v2, off offset:2048
	s_or_b64 exec, exec, s[0:1]
	s_and_saveexec_b64 s[0:1], s[24:25]
	s_cbranch_execz .LBB6333_46
.LBB6333_60:
	s_waitcnt lgkmcnt(0)
	v_cvt_i32_f32_e32 v2, v3
	v_add_co_u32_e32 v0, vcc, 0x1000, v0
	v_addc_co_u32_e32 v1, vcc, 0, v1, vcc
	global_store_dword v[0:1], v2, off offset:2560
	s_endpgm
	.section	.rodata,"a",@progbits
	.p2align	6, 0x0
	.amdhsa_kernel _ZN7rocprim17ROCPRIM_400000_NS6detail17trampoline_kernelINS0_14default_configENS1_20scan_config_selectorIfEEZZNS1_9scan_implILNS1_25lookback_scan_determinismE0ELb1ELb1ES3_N6thrust23THRUST_200600_302600_NS6detail15normal_iteratorINS9_10device_ptrIjEEEENSB_INSC_IiEEEEfNS9_4plusIvEEfEEDaPvRmT3_T4_T5_mT6_P12ihipStream_tbENKUlT_T0_E_clISt17integral_constantIbLb1EESW_EEDaSR_SS_EUlSR_E0_NS1_11comp_targetILNS1_3genE4ELNS1_11target_archE910ELNS1_3gpuE8ELNS1_3repE0EEENS1_30default_config_static_selectorELNS0_4arch9wavefront6targetE1EEEvT1_
		.amdhsa_group_segment_fixed_size 7168
		.amdhsa_private_segment_fixed_size 0
		.amdhsa_kernarg_size 32
		.amdhsa_user_sgpr_count 6
		.amdhsa_user_sgpr_private_segment_buffer 1
		.amdhsa_user_sgpr_dispatch_ptr 0
		.amdhsa_user_sgpr_queue_ptr 0
		.amdhsa_user_sgpr_kernarg_segment_ptr 1
		.amdhsa_user_sgpr_dispatch_id 0
		.amdhsa_user_sgpr_flat_scratch_init 0
		.amdhsa_user_sgpr_kernarg_preload_length 0
		.amdhsa_user_sgpr_kernarg_preload_offset 0
		.amdhsa_user_sgpr_private_segment_size 0
		.amdhsa_uses_dynamic_stack 0
		.amdhsa_system_sgpr_private_segment_wavefront_offset 0
		.amdhsa_system_sgpr_workgroup_id_x 1
		.amdhsa_system_sgpr_workgroup_id_y 0
		.amdhsa_system_sgpr_workgroup_id_z 0
		.amdhsa_system_sgpr_workgroup_info 0
		.amdhsa_system_vgpr_workitem_id 0
		.amdhsa_next_free_vgpr 24
		.amdhsa_next_free_sgpr 38
		.amdhsa_accum_offset 24
		.amdhsa_reserve_vcc 1
		.amdhsa_reserve_flat_scratch 0
		.amdhsa_float_round_mode_32 0
		.amdhsa_float_round_mode_16_64 0
		.amdhsa_float_denorm_mode_32 3
		.amdhsa_float_denorm_mode_16_64 3
		.amdhsa_dx10_clamp 1
		.amdhsa_ieee_mode 1
		.amdhsa_fp16_overflow 0
		.amdhsa_tg_split 0
		.amdhsa_exception_fp_ieee_invalid_op 0
		.amdhsa_exception_fp_denorm_src 0
		.amdhsa_exception_fp_ieee_div_zero 0
		.amdhsa_exception_fp_ieee_overflow 0
		.amdhsa_exception_fp_ieee_underflow 0
		.amdhsa_exception_fp_ieee_inexact 0
		.amdhsa_exception_int_div_zero 0
	.end_amdhsa_kernel
	.section	.text._ZN7rocprim17ROCPRIM_400000_NS6detail17trampoline_kernelINS0_14default_configENS1_20scan_config_selectorIfEEZZNS1_9scan_implILNS1_25lookback_scan_determinismE0ELb1ELb1ES3_N6thrust23THRUST_200600_302600_NS6detail15normal_iteratorINS9_10device_ptrIjEEEENSB_INSC_IiEEEEfNS9_4plusIvEEfEEDaPvRmT3_T4_T5_mT6_P12ihipStream_tbENKUlT_T0_E_clISt17integral_constantIbLb1EESW_EEDaSR_SS_EUlSR_E0_NS1_11comp_targetILNS1_3genE4ELNS1_11target_archE910ELNS1_3gpuE8ELNS1_3repE0EEENS1_30default_config_static_selectorELNS0_4arch9wavefront6targetE1EEEvT1_,"axG",@progbits,_ZN7rocprim17ROCPRIM_400000_NS6detail17trampoline_kernelINS0_14default_configENS1_20scan_config_selectorIfEEZZNS1_9scan_implILNS1_25lookback_scan_determinismE0ELb1ELb1ES3_N6thrust23THRUST_200600_302600_NS6detail15normal_iteratorINS9_10device_ptrIjEEEENSB_INSC_IiEEEEfNS9_4plusIvEEfEEDaPvRmT3_T4_T5_mT6_P12ihipStream_tbENKUlT_T0_E_clISt17integral_constantIbLb1EESW_EEDaSR_SS_EUlSR_E0_NS1_11comp_targetILNS1_3genE4ELNS1_11target_archE910ELNS1_3gpuE8ELNS1_3repE0EEENS1_30default_config_static_selectorELNS0_4arch9wavefront6targetE1EEEvT1_,comdat
.Lfunc_end6333:
	.size	_ZN7rocprim17ROCPRIM_400000_NS6detail17trampoline_kernelINS0_14default_configENS1_20scan_config_selectorIfEEZZNS1_9scan_implILNS1_25lookback_scan_determinismE0ELb1ELb1ES3_N6thrust23THRUST_200600_302600_NS6detail15normal_iteratorINS9_10device_ptrIjEEEENSB_INSC_IiEEEEfNS9_4plusIvEEfEEDaPvRmT3_T4_T5_mT6_P12ihipStream_tbENKUlT_T0_E_clISt17integral_constantIbLb1EESW_EEDaSR_SS_EUlSR_E0_NS1_11comp_targetILNS1_3genE4ELNS1_11target_archE910ELNS1_3gpuE8ELNS1_3repE0EEENS1_30default_config_static_selectorELNS0_4arch9wavefront6targetE1EEEvT1_, .Lfunc_end6333-_ZN7rocprim17ROCPRIM_400000_NS6detail17trampoline_kernelINS0_14default_configENS1_20scan_config_selectorIfEEZZNS1_9scan_implILNS1_25lookback_scan_determinismE0ELb1ELb1ES3_N6thrust23THRUST_200600_302600_NS6detail15normal_iteratorINS9_10device_ptrIjEEEENSB_INSC_IiEEEEfNS9_4plusIvEEfEEDaPvRmT3_T4_T5_mT6_P12ihipStream_tbENKUlT_T0_E_clISt17integral_constantIbLb1EESW_EEDaSR_SS_EUlSR_E0_NS1_11comp_targetILNS1_3genE4ELNS1_11target_archE910ELNS1_3gpuE8ELNS1_3repE0EEENS1_30default_config_static_selectorELNS0_4arch9wavefront6targetE1EEEvT1_
                                        ; -- End function
	.section	.AMDGPU.csdata,"",@progbits
; Kernel info:
; codeLenInByte = 2168
; NumSgprs: 42
; NumVgprs: 24
; NumAgprs: 0
; TotalNumVgprs: 24
; ScratchSize: 0
; MemoryBound: 0
; FloatMode: 240
; IeeeMode: 1
; LDSByteSize: 7168 bytes/workgroup (compile time only)
; SGPRBlocks: 5
; VGPRBlocks: 2
; NumSGPRsForWavesPerEU: 42
; NumVGPRsForWavesPerEU: 24
; AccumOffset: 24
; Occupancy: 5
; WaveLimiterHint : 0
; COMPUTE_PGM_RSRC2:SCRATCH_EN: 0
; COMPUTE_PGM_RSRC2:USER_SGPR: 6
; COMPUTE_PGM_RSRC2:TRAP_HANDLER: 0
; COMPUTE_PGM_RSRC2:TGID_X_EN: 1
; COMPUTE_PGM_RSRC2:TGID_Y_EN: 0
; COMPUTE_PGM_RSRC2:TGID_Z_EN: 0
; COMPUTE_PGM_RSRC2:TIDIG_COMP_CNT: 0
; COMPUTE_PGM_RSRC3_GFX90A:ACCUM_OFFSET: 5
; COMPUTE_PGM_RSRC3_GFX90A:TG_SPLIT: 0
	.section	.text._ZN7rocprim17ROCPRIM_400000_NS6detail17trampoline_kernelINS0_14default_configENS1_20scan_config_selectorIfEEZZNS1_9scan_implILNS1_25lookback_scan_determinismE0ELb1ELb1ES3_N6thrust23THRUST_200600_302600_NS6detail15normal_iteratorINS9_10device_ptrIjEEEENSB_INSC_IiEEEEfNS9_4plusIvEEfEEDaPvRmT3_T4_T5_mT6_P12ihipStream_tbENKUlT_T0_E_clISt17integral_constantIbLb1EESW_EEDaSR_SS_EUlSR_E0_NS1_11comp_targetILNS1_3genE3ELNS1_11target_archE908ELNS1_3gpuE7ELNS1_3repE0EEENS1_30default_config_static_selectorELNS0_4arch9wavefront6targetE1EEEvT1_,"axG",@progbits,_ZN7rocprim17ROCPRIM_400000_NS6detail17trampoline_kernelINS0_14default_configENS1_20scan_config_selectorIfEEZZNS1_9scan_implILNS1_25lookback_scan_determinismE0ELb1ELb1ES3_N6thrust23THRUST_200600_302600_NS6detail15normal_iteratorINS9_10device_ptrIjEEEENSB_INSC_IiEEEEfNS9_4plusIvEEfEEDaPvRmT3_T4_T5_mT6_P12ihipStream_tbENKUlT_T0_E_clISt17integral_constantIbLb1EESW_EEDaSR_SS_EUlSR_E0_NS1_11comp_targetILNS1_3genE3ELNS1_11target_archE908ELNS1_3gpuE7ELNS1_3repE0EEENS1_30default_config_static_selectorELNS0_4arch9wavefront6targetE1EEEvT1_,comdat
	.protected	_ZN7rocprim17ROCPRIM_400000_NS6detail17trampoline_kernelINS0_14default_configENS1_20scan_config_selectorIfEEZZNS1_9scan_implILNS1_25lookback_scan_determinismE0ELb1ELb1ES3_N6thrust23THRUST_200600_302600_NS6detail15normal_iteratorINS9_10device_ptrIjEEEENSB_INSC_IiEEEEfNS9_4plusIvEEfEEDaPvRmT3_T4_T5_mT6_P12ihipStream_tbENKUlT_T0_E_clISt17integral_constantIbLb1EESW_EEDaSR_SS_EUlSR_E0_NS1_11comp_targetILNS1_3genE3ELNS1_11target_archE908ELNS1_3gpuE7ELNS1_3repE0EEENS1_30default_config_static_selectorELNS0_4arch9wavefront6targetE1EEEvT1_ ; -- Begin function _ZN7rocprim17ROCPRIM_400000_NS6detail17trampoline_kernelINS0_14default_configENS1_20scan_config_selectorIfEEZZNS1_9scan_implILNS1_25lookback_scan_determinismE0ELb1ELb1ES3_N6thrust23THRUST_200600_302600_NS6detail15normal_iteratorINS9_10device_ptrIjEEEENSB_INSC_IiEEEEfNS9_4plusIvEEfEEDaPvRmT3_T4_T5_mT6_P12ihipStream_tbENKUlT_T0_E_clISt17integral_constantIbLb1EESW_EEDaSR_SS_EUlSR_E0_NS1_11comp_targetILNS1_3genE3ELNS1_11target_archE908ELNS1_3gpuE7ELNS1_3repE0EEENS1_30default_config_static_selectorELNS0_4arch9wavefront6targetE1EEEvT1_
	.globl	_ZN7rocprim17ROCPRIM_400000_NS6detail17trampoline_kernelINS0_14default_configENS1_20scan_config_selectorIfEEZZNS1_9scan_implILNS1_25lookback_scan_determinismE0ELb1ELb1ES3_N6thrust23THRUST_200600_302600_NS6detail15normal_iteratorINS9_10device_ptrIjEEEENSB_INSC_IiEEEEfNS9_4plusIvEEfEEDaPvRmT3_T4_T5_mT6_P12ihipStream_tbENKUlT_T0_E_clISt17integral_constantIbLb1EESW_EEDaSR_SS_EUlSR_E0_NS1_11comp_targetILNS1_3genE3ELNS1_11target_archE908ELNS1_3gpuE7ELNS1_3repE0EEENS1_30default_config_static_selectorELNS0_4arch9wavefront6targetE1EEEvT1_
	.p2align	8
	.type	_ZN7rocprim17ROCPRIM_400000_NS6detail17trampoline_kernelINS0_14default_configENS1_20scan_config_selectorIfEEZZNS1_9scan_implILNS1_25lookback_scan_determinismE0ELb1ELb1ES3_N6thrust23THRUST_200600_302600_NS6detail15normal_iteratorINS9_10device_ptrIjEEEENSB_INSC_IiEEEEfNS9_4plusIvEEfEEDaPvRmT3_T4_T5_mT6_P12ihipStream_tbENKUlT_T0_E_clISt17integral_constantIbLb1EESW_EEDaSR_SS_EUlSR_E0_NS1_11comp_targetILNS1_3genE3ELNS1_11target_archE908ELNS1_3gpuE7ELNS1_3repE0EEENS1_30default_config_static_selectorELNS0_4arch9wavefront6targetE1EEEvT1_,@function
_ZN7rocprim17ROCPRIM_400000_NS6detail17trampoline_kernelINS0_14default_configENS1_20scan_config_selectorIfEEZZNS1_9scan_implILNS1_25lookback_scan_determinismE0ELb1ELb1ES3_N6thrust23THRUST_200600_302600_NS6detail15normal_iteratorINS9_10device_ptrIjEEEENSB_INSC_IiEEEEfNS9_4plusIvEEfEEDaPvRmT3_T4_T5_mT6_P12ihipStream_tbENKUlT_T0_E_clISt17integral_constantIbLb1EESW_EEDaSR_SS_EUlSR_E0_NS1_11comp_targetILNS1_3genE3ELNS1_11target_archE908ELNS1_3gpuE7ELNS1_3repE0EEENS1_30default_config_static_selectorELNS0_4arch9wavefront6targetE1EEEvT1_: ; @_ZN7rocprim17ROCPRIM_400000_NS6detail17trampoline_kernelINS0_14default_configENS1_20scan_config_selectorIfEEZZNS1_9scan_implILNS1_25lookback_scan_determinismE0ELb1ELb1ES3_N6thrust23THRUST_200600_302600_NS6detail15normal_iteratorINS9_10device_ptrIjEEEENSB_INSC_IiEEEEfNS9_4plusIvEEfEEDaPvRmT3_T4_T5_mT6_P12ihipStream_tbENKUlT_T0_E_clISt17integral_constantIbLb1EESW_EEDaSR_SS_EUlSR_E0_NS1_11comp_targetILNS1_3genE3ELNS1_11target_archE908ELNS1_3gpuE7ELNS1_3repE0EEENS1_30default_config_static_selectorELNS0_4arch9wavefront6targetE1EEEvT1_
; %bb.0:
	.section	.rodata,"a",@progbits
	.p2align	6, 0x0
	.amdhsa_kernel _ZN7rocprim17ROCPRIM_400000_NS6detail17trampoline_kernelINS0_14default_configENS1_20scan_config_selectorIfEEZZNS1_9scan_implILNS1_25lookback_scan_determinismE0ELb1ELb1ES3_N6thrust23THRUST_200600_302600_NS6detail15normal_iteratorINS9_10device_ptrIjEEEENSB_INSC_IiEEEEfNS9_4plusIvEEfEEDaPvRmT3_T4_T5_mT6_P12ihipStream_tbENKUlT_T0_E_clISt17integral_constantIbLb1EESW_EEDaSR_SS_EUlSR_E0_NS1_11comp_targetILNS1_3genE3ELNS1_11target_archE908ELNS1_3gpuE7ELNS1_3repE0EEENS1_30default_config_static_selectorELNS0_4arch9wavefront6targetE1EEEvT1_
		.amdhsa_group_segment_fixed_size 0
		.amdhsa_private_segment_fixed_size 0
		.amdhsa_kernarg_size 32
		.amdhsa_user_sgpr_count 6
		.amdhsa_user_sgpr_private_segment_buffer 1
		.amdhsa_user_sgpr_dispatch_ptr 0
		.amdhsa_user_sgpr_queue_ptr 0
		.amdhsa_user_sgpr_kernarg_segment_ptr 1
		.amdhsa_user_sgpr_dispatch_id 0
		.amdhsa_user_sgpr_flat_scratch_init 0
		.amdhsa_user_sgpr_kernarg_preload_length 0
		.amdhsa_user_sgpr_kernarg_preload_offset 0
		.amdhsa_user_sgpr_private_segment_size 0
		.amdhsa_uses_dynamic_stack 0
		.amdhsa_system_sgpr_private_segment_wavefront_offset 0
		.amdhsa_system_sgpr_workgroup_id_x 1
		.amdhsa_system_sgpr_workgroup_id_y 0
		.amdhsa_system_sgpr_workgroup_id_z 0
		.amdhsa_system_sgpr_workgroup_info 0
		.amdhsa_system_vgpr_workitem_id 0
		.amdhsa_next_free_vgpr 1
		.amdhsa_next_free_sgpr 0
		.amdhsa_accum_offset 4
		.amdhsa_reserve_vcc 0
		.amdhsa_reserve_flat_scratch 0
		.amdhsa_float_round_mode_32 0
		.amdhsa_float_round_mode_16_64 0
		.amdhsa_float_denorm_mode_32 3
		.amdhsa_float_denorm_mode_16_64 3
		.amdhsa_dx10_clamp 1
		.amdhsa_ieee_mode 1
		.amdhsa_fp16_overflow 0
		.amdhsa_tg_split 0
		.amdhsa_exception_fp_ieee_invalid_op 0
		.amdhsa_exception_fp_denorm_src 0
		.amdhsa_exception_fp_ieee_div_zero 0
		.amdhsa_exception_fp_ieee_overflow 0
		.amdhsa_exception_fp_ieee_underflow 0
		.amdhsa_exception_fp_ieee_inexact 0
		.amdhsa_exception_int_div_zero 0
	.end_amdhsa_kernel
	.section	.text._ZN7rocprim17ROCPRIM_400000_NS6detail17trampoline_kernelINS0_14default_configENS1_20scan_config_selectorIfEEZZNS1_9scan_implILNS1_25lookback_scan_determinismE0ELb1ELb1ES3_N6thrust23THRUST_200600_302600_NS6detail15normal_iteratorINS9_10device_ptrIjEEEENSB_INSC_IiEEEEfNS9_4plusIvEEfEEDaPvRmT3_T4_T5_mT6_P12ihipStream_tbENKUlT_T0_E_clISt17integral_constantIbLb1EESW_EEDaSR_SS_EUlSR_E0_NS1_11comp_targetILNS1_3genE3ELNS1_11target_archE908ELNS1_3gpuE7ELNS1_3repE0EEENS1_30default_config_static_selectorELNS0_4arch9wavefront6targetE1EEEvT1_,"axG",@progbits,_ZN7rocprim17ROCPRIM_400000_NS6detail17trampoline_kernelINS0_14default_configENS1_20scan_config_selectorIfEEZZNS1_9scan_implILNS1_25lookback_scan_determinismE0ELb1ELb1ES3_N6thrust23THRUST_200600_302600_NS6detail15normal_iteratorINS9_10device_ptrIjEEEENSB_INSC_IiEEEEfNS9_4plusIvEEfEEDaPvRmT3_T4_T5_mT6_P12ihipStream_tbENKUlT_T0_E_clISt17integral_constantIbLb1EESW_EEDaSR_SS_EUlSR_E0_NS1_11comp_targetILNS1_3genE3ELNS1_11target_archE908ELNS1_3gpuE7ELNS1_3repE0EEENS1_30default_config_static_selectorELNS0_4arch9wavefront6targetE1EEEvT1_,comdat
.Lfunc_end6334:
	.size	_ZN7rocprim17ROCPRIM_400000_NS6detail17trampoline_kernelINS0_14default_configENS1_20scan_config_selectorIfEEZZNS1_9scan_implILNS1_25lookback_scan_determinismE0ELb1ELb1ES3_N6thrust23THRUST_200600_302600_NS6detail15normal_iteratorINS9_10device_ptrIjEEEENSB_INSC_IiEEEEfNS9_4plusIvEEfEEDaPvRmT3_T4_T5_mT6_P12ihipStream_tbENKUlT_T0_E_clISt17integral_constantIbLb1EESW_EEDaSR_SS_EUlSR_E0_NS1_11comp_targetILNS1_3genE3ELNS1_11target_archE908ELNS1_3gpuE7ELNS1_3repE0EEENS1_30default_config_static_selectorELNS0_4arch9wavefront6targetE1EEEvT1_, .Lfunc_end6334-_ZN7rocprim17ROCPRIM_400000_NS6detail17trampoline_kernelINS0_14default_configENS1_20scan_config_selectorIfEEZZNS1_9scan_implILNS1_25lookback_scan_determinismE0ELb1ELb1ES3_N6thrust23THRUST_200600_302600_NS6detail15normal_iteratorINS9_10device_ptrIjEEEENSB_INSC_IiEEEEfNS9_4plusIvEEfEEDaPvRmT3_T4_T5_mT6_P12ihipStream_tbENKUlT_T0_E_clISt17integral_constantIbLb1EESW_EEDaSR_SS_EUlSR_E0_NS1_11comp_targetILNS1_3genE3ELNS1_11target_archE908ELNS1_3gpuE7ELNS1_3repE0EEENS1_30default_config_static_selectorELNS0_4arch9wavefront6targetE1EEEvT1_
                                        ; -- End function
	.section	.AMDGPU.csdata,"",@progbits
; Kernel info:
; codeLenInByte = 0
; NumSgprs: 4
; NumVgprs: 0
; NumAgprs: 0
; TotalNumVgprs: 0
; ScratchSize: 0
; MemoryBound: 0
; FloatMode: 240
; IeeeMode: 1
; LDSByteSize: 0 bytes/workgroup (compile time only)
; SGPRBlocks: 0
; VGPRBlocks: 0
; NumSGPRsForWavesPerEU: 4
; NumVGPRsForWavesPerEU: 1
; AccumOffset: 4
; Occupancy: 8
; WaveLimiterHint : 0
; COMPUTE_PGM_RSRC2:SCRATCH_EN: 0
; COMPUTE_PGM_RSRC2:USER_SGPR: 6
; COMPUTE_PGM_RSRC2:TRAP_HANDLER: 0
; COMPUTE_PGM_RSRC2:TGID_X_EN: 1
; COMPUTE_PGM_RSRC2:TGID_Y_EN: 0
; COMPUTE_PGM_RSRC2:TGID_Z_EN: 0
; COMPUTE_PGM_RSRC2:TIDIG_COMP_CNT: 0
; COMPUTE_PGM_RSRC3_GFX90A:ACCUM_OFFSET: 0
; COMPUTE_PGM_RSRC3_GFX90A:TG_SPLIT: 0
	.section	.text._ZN7rocprim17ROCPRIM_400000_NS6detail17trampoline_kernelINS0_14default_configENS1_20scan_config_selectorIfEEZZNS1_9scan_implILNS1_25lookback_scan_determinismE0ELb1ELb1ES3_N6thrust23THRUST_200600_302600_NS6detail15normal_iteratorINS9_10device_ptrIjEEEENSB_INSC_IiEEEEfNS9_4plusIvEEfEEDaPvRmT3_T4_T5_mT6_P12ihipStream_tbENKUlT_T0_E_clISt17integral_constantIbLb1EESW_EEDaSR_SS_EUlSR_E0_NS1_11comp_targetILNS1_3genE2ELNS1_11target_archE906ELNS1_3gpuE6ELNS1_3repE0EEENS1_30default_config_static_selectorELNS0_4arch9wavefront6targetE1EEEvT1_,"axG",@progbits,_ZN7rocprim17ROCPRIM_400000_NS6detail17trampoline_kernelINS0_14default_configENS1_20scan_config_selectorIfEEZZNS1_9scan_implILNS1_25lookback_scan_determinismE0ELb1ELb1ES3_N6thrust23THRUST_200600_302600_NS6detail15normal_iteratorINS9_10device_ptrIjEEEENSB_INSC_IiEEEEfNS9_4plusIvEEfEEDaPvRmT3_T4_T5_mT6_P12ihipStream_tbENKUlT_T0_E_clISt17integral_constantIbLb1EESW_EEDaSR_SS_EUlSR_E0_NS1_11comp_targetILNS1_3genE2ELNS1_11target_archE906ELNS1_3gpuE6ELNS1_3repE0EEENS1_30default_config_static_selectorELNS0_4arch9wavefront6targetE1EEEvT1_,comdat
	.protected	_ZN7rocprim17ROCPRIM_400000_NS6detail17trampoline_kernelINS0_14default_configENS1_20scan_config_selectorIfEEZZNS1_9scan_implILNS1_25lookback_scan_determinismE0ELb1ELb1ES3_N6thrust23THRUST_200600_302600_NS6detail15normal_iteratorINS9_10device_ptrIjEEEENSB_INSC_IiEEEEfNS9_4plusIvEEfEEDaPvRmT3_T4_T5_mT6_P12ihipStream_tbENKUlT_T0_E_clISt17integral_constantIbLb1EESW_EEDaSR_SS_EUlSR_E0_NS1_11comp_targetILNS1_3genE2ELNS1_11target_archE906ELNS1_3gpuE6ELNS1_3repE0EEENS1_30default_config_static_selectorELNS0_4arch9wavefront6targetE1EEEvT1_ ; -- Begin function _ZN7rocprim17ROCPRIM_400000_NS6detail17trampoline_kernelINS0_14default_configENS1_20scan_config_selectorIfEEZZNS1_9scan_implILNS1_25lookback_scan_determinismE0ELb1ELb1ES3_N6thrust23THRUST_200600_302600_NS6detail15normal_iteratorINS9_10device_ptrIjEEEENSB_INSC_IiEEEEfNS9_4plusIvEEfEEDaPvRmT3_T4_T5_mT6_P12ihipStream_tbENKUlT_T0_E_clISt17integral_constantIbLb1EESW_EEDaSR_SS_EUlSR_E0_NS1_11comp_targetILNS1_3genE2ELNS1_11target_archE906ELNS1_3gpuE6ELNS1_3repE0EEENS1_30default_config_static_selectorELNS0_4arch9wavefront6targetE1EEEvT1_
	.globl	_ZN7rocprim17ROCPRIM_400000_NS6detail17trampoline_kernelINS0_14default_configENS1_20scan_config_selectorIfEEZZNS1_9scan_implILNS1_25lookback_scan_determinismE0ELb1ELb1ES3_N6thrust23THRUST_200600_302600_NS6detail15normal_iteratorINS9_10device_ptrIjEEEENSB_INSC_IiEEEEfNS9_4plusIvEEfEEDaPvRmT3_T4_T5_mT6_P12ihipStream_tbENKUlT_T0_E_clISt17integral_constantIbLb1EESW_EEDaSR_SS_EUlSR_E0_NS1_11comp_targetILNS1_3genE2ELNS1_11target_archE906ELNS1_3gpuE6ELNS1_3repE0EEENS1_30default_config_static_selectorELNS0_4arch9wavefront6targetE1EEEvT1_
	.p2align	8
	.type	_ZN7rocprim17ROCPRIM_400000_NS6detail17trampoline_kernelINS0_14default_configENS1_20scan_config_selectorIfEEZZNS1_9scan_implILNS1_25lookback_scan_determinismE0ELb1ELb1ES3_N6thrust23THRUST_200600_302600_NS6detail15normal_iteratorINS9_10device_ptrIjEEEENSB_INSC_IiEEEEfNS9_4plusIvEEfEEDaPvRmT3_T4_T5_mT6_P12ihipStream_tbENKUlT_T0_E_clISt17integral_constantIbLb1EESW_EEDaSR_SS_EUlSR_E0_NS1_11comp_targetILNS1_3genE2ELNS1_11target_archE906ELNS1_3gpuE6ELNS1_3repE0EEENS1_30default_config_static_selectorELNS0_4arch9wavefront6targetE1EEEvT1_,@function
_ZN7rocprim17ROCPRIM_400000_NS6detail17trampoline_kernelINS0_14default_configENS1_20scan_config_selectorIfEEZZNS1_9scan_implILNS1_25lookback_scan_determinismE0ELb1ELb1ES3_N6thrust23THRUST_200600_302600_NS6detail15normal_iteratorINS9_10device_ptrIjEEEENSB_INSC_IiEEEEfNS9_4plusIvEEfEEDaPvRmT3_T4_T5_mT6_P12ihipStream_tbENKUlT_T0_E_clISt17integral_constantIbLb1EESW_EEDaSR_SS_EUlSR_E0_NS1_11comp_targetILNS1_3genE2ELNS1_11target_archE906ELNS1_3gpuE6ELNS1_3repE0EEENS1_30default_config_static_selectorELNS0_4arch9wavefront6targetE1EEEvT1_: ; @_ZN7rocprim17ROCPRIM_400000_NS6detail17trampoline_kernelINS0_14default_configENS1_20scan_config_selectorIfEEZZNS1_9scan_implILNS1_25lookback_scan_determinismE0ELb1ELb1ES3_N6thrust23THRUST_200600_302600_NS6detail15normal_iteratorINS9_10device_ptrIjEEEENSB_INSC_IiEEEEfNS9_4plusIvEEfEEDaPvRmT3_T4_T5_mT6_P12ihipStream_tbENKUlT_T0_E_clISt17integral_constantIbLb1EESW_EEDaSR_SS_EUlSR_E0_NS1_11comp_targetILNS1_3genE2ELNS1_11target_archE906ELNS1_3gpuE6ELNS1_3repE0EEENS1_30default_config_static_selectorELNS0_4arch9wavefront6targetE1EEEvT1_
; %bb.0:
	.section	.rodata,"a",@progbits
	.p2align	6, 0x0
	.amdhsa_kernel _ZN7rocprim17ROCPRIM_400000_NS6detail17trampoline_kernelINS0_14default_configENS1_20scan_config_selectorIfEEZZNS1_9scan_implILNS1_25lookback_scan_determinismE0ELb1ELb1ES3_N6thrust23THRUST_200600_302600_NS6detail15normal_iteratorINS9_10device_ptrIjEEEENSB_INSC_IiEEEEfNS9_4plusIvEEfEEDaPvRmT3_T4_T5_mT6_P12ihipStream_tbENKUlT_T0_E_clISt17integral_constantIbLb1EESW_EEDaSR_SS_EUlSR_E0_NS1_11comp_targetILNS1_3genE2ELNS1_11target_archE906ELNS1_3gpuE6ELNS1_3repE0EEENS1_30default_config_static_selectorELNS0_4arch9wavefront6targetE1EEEvT1_
		.amdhsa_group_segment_fixed_size 0
		.amdhsa_private_segment_fixed_size 0
		.amdhsa_kernarg_size 32
		.amdhsa_user_sgpr_count 6
		.amdhsa_user_sgpr_private_segment_buffer 1
		.amdhsa_user_sgpr_dispatch_ptr 0
		.amdhsa_user_sgpr_queue_ptr 0
		.amdhsa_user_sgpr_kernarg_segment_ptr 1
		.amdhsa_user_sgpr_dispatch_id 0
		.amdhsa_user_sgpr_flat_scratch_init 0
		.amdhsa_user_sgpr_kernarg_preload_length 0
		.amdhsa_user_sgpr_kernarg_preload_offset 0
		.amdhsa_user_sgpr_private_segment_size 0
		.amdhsa_uses_dynamic_stack 0
		.amdhsa_system_sgpr_private_segment_wavefront_offset 0
		.amdhsa_system_sgpr_workgroup_id_x 1
		.amdhsa_system_sgpr_workgroup_id_y 0
		.amdhsa_system_sgpr_workgroup_id_z 0
		.amdhsa_system_sgpr_workgroup_info 0
		.amdhsa_system_vgpr_workitem_id 0
		.amdhsa_next_free_vgpr 1
		.amdhsa_next_free_sgpr 0
		.amdhsa_accum_offset 4
		.amdhsa_reserve_vcc 0
		.amdhsa_reserve_flat_scratch 0
		.amdhsa_float_round_mode_32 0
		.amdhsa_float_round_mode_16_64 0
		.amdhsa_float_denorm_mode_32 3
		.amdhsa_float_denorm_mode_16_64 3
		.amdhsa_dx10_clamp 1
		.amdhsa_ieee_mode 1
		.amdhsa_fp16_overflow 0
		.amdhsa_tg_split 0
		.amdhsa_exception_fp_ieee_invalid_op 0
		.amdhsa_exception_fp_denorm_src 0
		.amdhsa_exception_fp_ieee_div_zero 0
		.amdhsa_exception_fp_ieee_overflow 0
		.amdhsa_exception_fp_ieee_underflow 0
		.amdhsa_exception_fp_ieee_inexact 0
		.amdhsa_exception_int_div_zero 0
	.end_amdhsa_kernel
	.section	.text._ZN7rocprim17ROCPRIM_400000_NS6detail17trampoline_kernelINS0_14default_configENS1_20scan_config_selectorIfEEZZNS1_9scan_implILNS1_25lookback_scan_determinismE0ELb1ELb1ES3_N6thrust23THRUST_200600_302600_NS6detail15normal_iteratorINS9_10device_ptrIjEEEENSB_INSC_IiEEEEfNS9_4plusIvEEfEEDaPvRmT3_T4_T5_mT6_P12ihipStream_tbENKUlT_T0_E_clISt17integral_constantIbLb1EESW_EEDaSR_SS_EUlSR_E0_NS1_11comp_targetILNS1_3genE2ELNS1_11target_archE906ELNS1_3gpuE6ELNS1_3repE0EEENS1_30default_config_static_selectorELNS0_4arch9wavefront6targetE1EEEvT1_,"axG",@progbits,_ZN7rocprim17ROCPRIM_400000_NS6detail17trampoline_kernelINS0_14default_configENS1_20scan_config_selectorIfEEZZNS1_9scan_implILNS1_25lookback_scan_determinismE0ELb1ELb1ES3_N6thrust23THRUST_200600_302600_NS6detail15normal_iteratorINS9_10device_ptrIjEEEENSB_INSC_IiEEEEfNS9_4plusIvEEfEEDaPvRmT3_T4_T5_mT6_P12ihipStream_tbENKUlT_T0_E_clISt17integral_constantIbLb1EESW_EEDaSR_SS_EUlSR_E0_NS1_11comp_targetILNS1_3genE2ELNS1_11target_archE906ELNS1_3gpuE6ELNS1_3repE0EEENS1_30default_config_static_selectorELNS0_4arch9wavefront6targetE1EEEvT1_,comdat
.Lfunc_end6335:
	.size	_ZN7rocprim17ROCPRIM_400000_NS6detail17trampoline_kernelINS0_14default_configENS1_20scan_config_selectorIfEEZZNS1_9scan_implILNS1_25lookback_scan_determinismE0ELb1ELb1ES3_N6thrust23THRUST_200600_302600_NS6detail15normal_iteratorINS9_10device_ptrIjEEEENSB_INSC_IiEEEEfNS9_4plusIvEEfEEDaPvRmT3_T4_T5_mT6_P12ihipStream_tbENKUlT_T0_E_clISt17integral_constantIbLb1EESW_EEDaSR_SS_EUlSR_E0_NS1_11comp_targetILNS1_3genE2ELNS1_11target_archE906ELNS1_3gpuE6ELNS1_3repE0EEENS1_30default_config_static_selectorELNS0_4arch9wavefront6targetE1EEEvT1_, .Lfunc_end6335-_ZN7rocprim17ROCPRIM_400000_NS6detail17trampoline_kernelINS0_14default_configENS1_20scan_config_selectorIfEEZZNS1_9scan_implILNS1_25lookback_scan_determinismE0ELb1ELb1ES3_N6thrust23THRUST_200600_302600_NS6detail15normal_iteratorINS9_10device_ptrIjEEEENSB_INSC_IiEEEEfNS9_4plusIvEEfEEDaPvRmT3_T4_T5_mT6_P12ihipStream_tbENKUlT_T0_E_clISt17integral_constantIbLb1EESW_EEDaSR_SS_EUlSR_E0_NS1_11comp_targetILNS1_3genE2ELNS1_11target_archE906ELNS1_3gpuE6ELNS1_3repE0EEENS1_30default_config_static_selectorELNS0_4arch9wavefront6targetE1EEEvT1_
                                        ; -- End function
	.section	.AMDGPU.csdata,"",@progbits
; Kernel info:
; codeLenInByte = 0
; NumSgprs: 4
; NumVgprs: 0
; NumAgprs: 0
; TotalNumVgprs: 0
; ScratchSize: 0
; MemoryBound: 0
; FloatMode: 240
; IeeeMode: 1
; LDSByteSize: 0 bytes/workgroup (compile time only)
; SGPRBlocks: 0
; VGPRBlocks: 0
; NumSGPRsForWavesPerEU: 4
; NumVGPRsForWavesPerEU: 1
; AccumOffset: 4
; Occupancy: 8
; WaveLimiterHint : 0
; COMPUTE_PGM_RSRC2:SCRATCH_EN: 0
; COMPUTE_PGM_RSRC2:USER_SGPR: 6
; COMPUTE_PGM_RSRC2:TRAP_HANDLER: 0
; COMPUTE_PGM_RSRC2:TGID_X_EN: 1
; COMPUTE_PGM_RSRC2:TGID_Y_EN: 0
; COMPUTE_PGM_RSRC2:TGID_Z_EN: 0
; COMPUTE_PGM_RSRC2:TIDIG_COMP_CNT: 0
; COMPUTE_PGM_RSRC3_GFX90A:ACCUM_OFFSET: 0
; COMPUTE_PGM_RSRC3_GFX90A:TG_SPLIT: 0
	.section	.text._ZN7rocprim17ROCPRIM_400000_NS6detail17trampoline_kernelINS0_14default_configENS1_20scan_config_selectorIfEEZZNS1_9scan_implILNS1_25lookback_scan_determinismE0ELb1ELb1ES3_N6thrust23THRUST_200600_302600_NS6detail15normal_iteratorINS9_10device_ptrIjEEEENSB_INSC_IiEEEEfNS9_4plusIvEEfEEDaPvRmT3_T4_T5_mT6_P12ihipStream_tbENKUlT_T0_E_clISt17integral_constantIbLb1EESW_EEDaSR_SS_EUlSR_E0_NS1_11comp_targetILNS1_3genE10ELNS1_11target_archE1201ELNS1_3gpuE5ELNS1_3repE0EEENS1_30default_config_static_selectorELNS0_4arch9wavefront6targetE1EEEvT1_,"axG",@progbits,_ZN7rocprim17ROCPRIM_400000_NS6detail17trampoline_kernelINS0_14default_configENS1_20scan_config_selectorIfEEZZNS1_9scan_implILNS1_25lookback_scan_determinismE0ELb1ELb1ES3_N6thrust23THRUST_200600_302600_NS6detail15normal_iteratorINS9_10device_ptrIjEEEENSB_INSC_IiEEEEfNS9_4plusIvEEfEEDaPvRmT3_T4_T5_mT6_P12ihipStream_tbENKUlT_T0_E_clISt17integral_constantIbLb1EESW_EEDaSR_SS_EUlSR_E0_NS1_11comp_targetILNS1_3genE10ELNS1_11target_archE1201ELNS1_3gpuE5ELNS1_3repE0EEENS1_30default_config_static_selectorELNS0_4arch9wavefront6targetE1EEEvT1_,comdat
	.protected	_ZN7rocprim17ROCPRIM_400000_NS6detail17trampoline_kernelINS0_14default_configENS1_20scan_config_selectorIfEEZZNS1_9scan_implILNS1_25lookback_scan_determinismE0ELb1ELb1ES3_N6thrust23THRUST_200600_302600_NS6detail15normal_iteratorINS9_10device_ptrIjEEEENSB_INSC_IiEEEEfNS9_4plusIvEEfEEDaPvRmT3_T4_T5_mT6_P12ihipStream_tbENKUlT_T0_E_clISt17integral_constantIbLb1EESW_EEDaSR_SS_EUlSR_E0_NS1_11comp_targetILNS1_3genE10ELNS1_11target_archE1201ELNS1_3gpuE5ELNS1_3repE0EEENS1_30default_config_static_selectorELNS0_4arch9wavefront6targetE1EEEvT1_ ; -- Begin function _ZN7rocprim17ROCPRIM_400000_NS6detail17trampoline_kernelINS0_14default_configENS1_20scan_config_selectorIfEEZZNS1_9scan_implILNS1_25lookback_scan_determinismE0ELb1ELb1ES3_N6thrust23THRUST_200600_302600_NS6detail15normal_iteratorINS9_10device_ptrIjEEEENSB_INSC_IiEEEEfNS9_4plusIvEEfEEDaPvRmT3_T4_T5_mT6_P12ihipStream_tbENKUlT_T0_E_clISt17integral_constantIbLb1EESW_EEDaSR_SS_EUlSR_E0_NS1_11comp_targetILNS1_3genE10ELNS1_11target_archE1201ELNS1_3gpuE5ELNS1_3repE0EEENS1_30default_config_static_selectorELNS0_4arch9wavefront6targetE1EEEvT1_
	.globl	_ZN7rocprim17ROCPRIM_400000_NS6detail17trampoline_kernelINS0_14default_configENS1_20scan_config_selectorIfEEZZNS1_9scan_implILNS1_25lookback_scan_determinismE0ELb1ELb1ES3_N6thrust23THRUST_200600_302600_NS6detail15normal_iteratorINS9_10device_ptrIjEEEENSB_INSC_IiEEEEfNS9_4plusIvEEfEEDaPvRmT3_T4_T5_mT6_P12ihipStream_tbENKUlT_T0_E_clISt17integral_constantIbLb1EESW_EEDaSR_SS_EUlSR_E0_NS1_11comp_targetILNS1_3genE10ELNS1_11target_archE1201ELNS1_3gpuE5ELNS1_3repE0EEENS1_30default_config_static_selectorELNS0_4arch9wavefront6targetE1EEEvT1_
	.p2align	8
	.type	_ZN7rocprim17ROCPRIM_400000_NS6detail17trampoline_kernelINS0_14default_configENS1_20scan_config_selectorIfEEZZNS1_9scan_implILNS1_25lookback_scan_determinismE0ELb1ELb1ES3_N6thrust23THRUST_200600_302600_NS6detail15normal_iteratorINS9_10device_ptrIjEEEENSB_INSC_IiEEEEfNS9_4plusIvEEfEEDaPvRmT3_T4_T5_mT6_P12ihipStream_tbENKUlT_T0_E_clISt17integral_constantIbLb1EESW_EEDaSR_SS_EUlSR_E0_NS1_11comp_targetILNS1_3genE10ELNS1_11target_archE1201ELNS1_3gpuE5ELNS1_3repE0EEENS1_30default_config_static_selectorELNS0_4arch9wavefront6targetE1EEEvT1_,@function
_ZN7rocprim17ROCPRIM_400000_NS6detail17trampoline_kernelINS0_14default_configENS1_20scan_config_selectorIfEEZZNS1_9scan_implILNS1_25lookback_scan_determinismE0ELb1ELb1ES3_N6thrust23THRUST_200600_302600_NS6detail15normal_iteratorINS9_10device_ptrIjEEEENSB_INSC_IiEEEEfNS9_4plusIvEEfEEDaPvRmT3_T4_T5_mT6_P12ihipStream_tbENKUlT_T0_E_clISt17integral_constantIbLb1EESW_EEDaSR_SS_EUlSR_E0_NS1_11comp_targetILNS1_3genE10ELNS1_11target_archE1201ELNS1_3gpuE5ELNS1_3repE0EEENS1_30default_config_static_selectorELNS0_4arch9wavefront6targetE1EEEvT1_: ; @_ZN7rocprim17ROCPRIM_400000_NS6detail17trampoline_kernelINS0_14default_configENS1_20scan_config_selectorIfEEZZNS1_9scan_implILNS1_25lookback_scan_determinismE0ELb1ELb1ES3_N6thrust23THRUST_200600_302600_NS6detail15normal_iteratorINS9_10device_ptrIjEEEENSB_INSC_IiEEEEfNS9_4plusIvEEfEEDaPvRmT3_T4_T5_mT6_P12ihipStream_tbENKUlT_T0_E_clISt17integral_constantIbLb1EESW_EEDaSR_SS_EUlSR_E0_NS1_11comp_targetILNS1_3genE10ELNS1_11target_archE1201ELNS1_3gpuE5ELNS1_3repE0EEENS1_30default_config_static_selectorELNS0_4arch9wavefront6targetE1EEEvT1_
; %bb.0:
	.section	.rodata,"a",@progbits
	.p2align	6, 0x0
	.amdhsa_kernel _ZN7rocprim17ROCPRIM_400000_NS6detail17trampoline_kernelINS0_14default_configENS1_20scan_config_selectorIfEEZZNS1_9scan_implILNS1_25lookback_scan_determinismE0ELb1ELb1ES3_N6thrust23THRUST_200600_302600_NS6detail15normal_iteratorINS9_10device_ptrIjEEEENSB_INSC_IiEEEEfNS9_4plusIvEEfEEDaPvRmT3_T4_T5_mT6_P12ihipStream_tbENKUlT_T0_E_clISt17integral_constantIbLb1EESW_EEDaSR_SS_EUlSR_E0_NS1_11comp_targetILNS1_3genE10ELNS1_11target_archE1201ELNS1_3gpuE5ELNS1_3repE0EEENS1_30default_config_static_selectorELNS0_4arch9wavefront6targetE1EEEvT1_
		.amdhsa_group_segment_fixed_size 0
		.amdhsa_private_segment_fixed_size 0
		.amdhsa_kernarg_size 32
		.amdhsa_user_sgpr_count 6
		.amdhsa_user_sgpr_private_segment_buffer 1
		.amdhsa_user_sgpr_dispatch_ptr 0
		.amdhsa_user_sgpr_queue_ptr 0
		.amdhsa_user_sgpr_kernarg_segment_ptr 1
		.amdhsa_user_sgpr_dispatch_id 0
		.amdhsa_user_sgpr_flat_scratch_init 0
		.amdhsa_user_sgpr_kernarg_preload_length 0
		.amdhsa_user_sgpr_kernarg_preload_offset 0
		.amdhsa_user_sgpr_private_segment_size 0
		.amdhsa_uses_dynamic_stack 0
		.amdhsa_system_sgpr_private_segment_wavefront_offset 0
		.amdhsa_system_sgpr_workgroup_id_x 1
		.amdhsa_system_sgpr_workgroup_id_y 0
		.amdhsa_system_sgpr_workgroup_id_z 0
		.amdhsa_system_sgpr_workgroup_info 0
		.amdhsa_system_vgpr_workitem_id 0
		.amdhsa_next_free_vgpr 1
		.amdhsa_next_free_sgpr 0
		.amdhsa_accum_offset 4
		.amdhsa_reserve_vcc 0
		.amdhsa_reserve_flat_scratch 0
		.amdhsa_float_round_mode_32 0
		.amdhsa_float_round_mode_16_64 0
		.amdhsa_float_denorm_mode_32 3
		.amdhsa_float_denorm_mode_16_64 3
		.amdhsa_dx10_clamp 1
		.amdhsa_ieee_mode 1
		.amdhsa_fp16_overflow 0
		.amdhsa_tg_split 0
		.amdhsa_exception_fp_ieee_invalid_op 0
		.amdhsa_exception_fp_denorm_src 0
		.amdhsa_exception_fp_ieee_div_zero 0
		.amdhsa_exception_fp_ieee_overflow 0
		.amdhsa_exception_fp_ieee_underflow 0
		.amdhsa_exception_fp_ieee_inexact 0
		.amdhsa_exception_int_div_zero 0
	.end_amdhsa_kernel
	.section	.text._ZN7rocprim17ROCPRIM_400000_NS6detail17trampoline_kernelINS0_14default_configENS1_20scan_config_selectorIfEEZZNS1_9scan_implILNS1_25lookback_scan_determinismE0ELb1ELb1ES3_N6thrust23THRUST_200600_302600_NS6detail15normal_iteratorINS9_10device_ptrIjEEEENSB_INSC_IiEEEEfNS9_4plusIvEEfEEDaPvRmT3_T4_T5_mT6_P12ihipStream_tbENKUlT_T0_E_clISt17integral_constantIbLb1EESW_EEDaSR_SS_EUlSR_E0_NS1_11comp_targetILNS1_3genE10ELNS1_11target_archE1201ELNS1_3gpuE5ELNS1_3repE0EEENS1_30default_config_static_selectorELNS0_4arch9wavefront6targetE1EEEvT1_,"axG",@progbits,_ZN7rocprim17ROCPRIM_400000_NS6detail17trampoline_kernelINS0_14default_configENS1_20scan_config_selectorIfEEZZNS1_9scan_implILNS1_25lookback_scan_determinismE0ELb1ELb1ES3_N6thrust23THRUST_200600_302600_NS6detail15normal_iteratorINS9_10device_ptrIjEEEENSB_INSC_IiEEEEfNS9_4plusIvEEfEEDaPvRmT3_T4_T5_mT6_P12ihipStream_tbENKUlT_T0_E_clISt17integral_constantIbLb1EESW_EEDaSR_SS_EUlSR_E0_NS1_11comp_targetILNS1_3genE10ELNS1_11target_archE1201ELNS1_3gpuE5ELNS1_3repE0EEENS1_30default_config_static_selectorELNS0_4arch9wavefront6targetE1EEEvT1_,comdat
.Lfunc_end6336:
	.size	_ZN7rocprim17ROCPRIM_400000_NS6detail17trampoline_kernelINS0_14default_configENS1_20scan_config_selectorIfEEZZNS1_9scan_implILNS1_25lookback_scan_determinismE0ELb1ELb1ES3_N6thrust23THRUST_200600_302600_NS6detail15normal_iteratorINS9_10device_ptrIjEEEENSB_INSC_IiEEEEfNS9_4plusIvEEfEEDaPvRmT3_T4_T5_mT6_P12ihipStream_tbENKUlT_T0_E_clISt17integral_constantIbLb1EESW_EEDaSR_SS_EUlSR_E0_NS1_11comp_targetILNS1_3genE10ELNS1_11target_archE1201ELNS1_3gpuE5ELNS1_3repE0EEENS1_30default_config_static_selectorELNS0_4arch9wavefront6targetE1EEEvT1_, .Lfunc_end6336-_ZN7rocprim17ROCPRIM_400000_NS6detail17trampoline_kernelINS0_14default_configENS1_20scan_config_selectorIfEEZZNS1_9scan_implILNS1_25lookback_scan_determinismE0ELb1ELb1ES3_N6thrust23THRUST_200600_302600_NS6detail15normal_iteratorINS9_10device_ptrIjEEEENSB_INSC_IiEEEEfNS9_4plusIvEEfEEDaPvRmT3_T4_T5_mT6_P12ihipStream_tbENKUlT_T0_E_clISt17integral_constantIbLb1EESW_EEDaSR_SS_EUlSR_E0_NS1_11comp_targetILNS1_3genE10ELNS1_11target_archE1201ELNS1_3gpuE5ELNS1_3repE0EEENS1_30default_config_static_selectorELNS0_4arch9wavefront6targetE1EEEvT1_
                                        ; -- End function
	.section	.AMDGPU.csdata,"",@progbits
; Kernel info:
; codeLenInByte = 0
; NumSgprs: 4
; NumVgprs: 0
; NumAgprs: 0
; TotalNumVgprs: 0
; ScratchSize: 0
; MemoryBound: 0
; FloatMode: 240
; IeeeMode: 1
; LDSByteSize: 0 bytes/workgroup (compile time only)
; SGPRBlocks: 0
; VGPRBlocks: 0
; NumSGPRsForWavesPerEU: 4
; NumVGPRsForWavesPerEU: 1
; AccumOffset: 4
; Occupancy: 8
; WaveLimiterHint : 0
; COMPUTE_PGM_RSRC2:SCRATCH_EN: 0
; COMPUTE_PGM_RSRC2:USER_SGPR: 6
; COMPUTE_PGM_RSRC2:TRAP_HANDLER: 0
; COMPUTE_PGM_RSRC2:TGID_X_EN: 1
; COMPUTE_PGM_RSRC2:TGID_Y_EN: 0
; COMPUTE_PGM_RSRC2:TGID_Z_EN: 0
; COMPUTE_PGM_RSRC2:TIDIG_COMP_CNT: 0
; COMPUTE_PGM_RSRC3_GFX90A:ACCUM_OFFSET: 0
; COMPUTE_PGM_RSRC3_GFX90A:TG_SPLIT: 0
	.section	.text._ZN7rocprim17ROCPRIM_400000_NS6detail17trampoline_kernelINS0_14default_configENS1_20scan_config_selectorIfEEZZNS1_9scan_implILNS1_25lookback_scan_determinismE0ELb1ELb1ES3_N6thrust23THRUST_200600_302600_NS6detail15normal_iteratorINS9_10device_ptrIjEEEENSB_INSC_IiEEEEfNS9_4plusIvEEfEEDaPvRmT3_T4_T5_mT6_P12ihipStream_tbENKUlT_T0_E_clISt17integral_constantIbLb1EESW_EEDaSR_SS_EUlSR_E0_NS1_11comp_targetILNS1_3genE10ELNS1_11target_archE1200ELNS1_3gpuE4ELNS1_3repE0EEENS1_30default_config_static_selectorELNS0_4arch9wavefront6targetE1EEEvT1_,"axG",@progbits,_ZN7rocprim17ROCPRIM_400000_NS6detail17trampoline_kernelINS0_14default_configENS1_20scan_config_selectorIfEEZZNS1_9scan_implILNS1_25lookback_scan_determinismE0ELb1ELb1ES3_N6thrust23THRUST_200600_302600_NS6detail15normal_iteratorINS9_10device_ptrIjEEEENSB_INSC_IiEEEEfNS9_4plusIvEEfEEDaPvRmT3_T4_T5_mT6_P12ihipStream_tbENKUlT_T0_E_clISt17integral_constantIbLb1EESW_EEDaSR_SS_EUlSR_E0_NS1_11comp_targetILNS1_3genE10ELNS1_11target_archE1200ELNS1_3gpuE4ELNS1_3repE0EEENS1_30default_config_static_selectorELNS0_4arch9wavefront6targetE1EEEvT1_,comdat
	.protected	_ZN7rocprim17ROCPRIM_400000_NS6detail17trampoline_kernelINS0_14default_configENS1_20scan_config_selectorIfEEZZNS1_9scan_implILNS1_25lookback_scan_determinismE0ELb1ELb1ES3_N6thrust23THRUST_200600_302600_NS6detail15normal_iteratorINS9_10device_ptrIjEEEENSB_INSC_IiEEEEfNS9_4plusIvEEfEEDaPvRmT3_T4_T5_mT6_P12ihipStream_tbENKUlT_T0_E_clISt17integral_constantIbLb1EESW_EEDaSR_SS_EUlSR_E0_NS1_11comp_targetILNS1_3genE10ELNS1_11target_archE1200ELNS1_3gpuE4ELNS1_3repE0EEENS1_30default_config_static_selectorELNS0_4arch9wavefront6targetE1EEEvT1_ ; -- Begin function _ZN7rocprim17ROCPRIM_400000_NS6detail17trampoline_kernelINS0_14default_configENS1_20scan_config_selectorIfEEZZNS1_9scan_implILNS1_25lookback_scan_determinismE0ELb1ELb1ES3_N6thrust23THRUST_200600_302600_NS6detail15normal_iteratorINS9_10device_ptrIjEEEENSB_INSC_IiEEEEfNS9_4plusIvEEfEEDaPvRmT3_T4_T5_mT6_P12ihipStream_tbENKUlT_T0_E_clISt17integral_constantIbLb1EESW_EEDaSR_SS_EUlSR_E0_NS1_11comp_targetILNS1_3genE10ELNS1_11target_archE1200ELNS1_3gpuE4ELNS1_3repE0EEENS1_30default_config_static_selectorELNS0_4arch9wavefront6targetE1EEEvT1_
	.globl	_ZN7rocprim17ROCPRIM_400000_NS6detail17trampoline_kernelINS0_14default_configENS1_20scan_config_selectorIfEEZZNS1_9scan_implILNS1_25lookback_scan_determinismE0ELb1ELb1ES3_N6thrust23THRUST_200600_302600_NS6detail15normal_iteratorINS9_10device_ptrIjEEEENSB_INSC_IiEEEEfNS9_4plusIvEEfEEDaPvRmT3_T4_T5_mT6_P12ihipStream_tbENKUlT_T0_E_clISt17integral_constantIbLb1EESW_EEDaSR_SS_EUlSR_E0_NS1_11comp_targetILNS1_3genE10ELNS1_11target_archE1200ELNS1_3gpuE4ELNS1_3repE0EEENS1_30default_config_static_selectorELNS0_4arch9wavefront6targetE1EEEvT1_
	.p2align	8
	.type	_ZN7rocprim17ROCPRIM_400000_NS6detail17trampoline_kernelINS0_14default_configENS1_20scan_config_selectorIfEEZZNS1_9scan_implILNS1_25lookback_scan_determinismE0ELb1ELb1ES3_N6thrust23THRUST_200600_302600_NS6detail15normal_iteratorINS9_10device_ptrIjEEEENSB_INSC_IiEEEEfNS9_4plusIvEEfEEDaPvRmT3_T4_T5_mT6_P12ihipStream_tbENKUlT_T0_E_clISt17integral_constantIbLb1EESW_EEDaSR_SS_EUlSR_E0_NS1_11comp_targetILNS1_3genE10ELNS1_11target_archE1200ELNS1_3gpuE4ELNS1_3repE0EEENS1_30default_config_static_selectorELNS0_4arch9wavefront6targetE1EEEvT1_,@function
_ZN7rocprim17ROCPRIM_400000_NS6detail17trampoline_kernelINS0_14default_configENS1_20scan_config_selectorIfEEZZNS1_9scan_implILNS1_25lookback_scan_determinismE0ELb1ELb1ES3_N6thrust23THRUST_200600_302600_NS6detail15normal_iteratorINS9_10device_ptrIjEEEENSB_INSC_IiEEEEfNS9_4plusIvEEfEEDaPvRmT3_T4_T5_mT6_P12ihipStream_tbENKUlT_T0_E_clISt17integral_constantIbLb1EESW_EEDaSR_SS_EUlSR_E0_NS1_11comp_targetILNS1_3genE10ELNS1_11target_archE1200ELNS1_3gpuE4ELNS1_3repE0EEENS1_30default_config_static_selectorELNS0_4arch9wavefront6targetE1EEEvT1_: ; @_ZN7rocprim17ROCPRIM_400000_NS6detail17trampoline_kernelINS0_14default_configENS1_20scan_config_selectorIfEEZZNS1_9scan_implILNS1_25lookback_scan_determinismE0ELb1ELb1ES3_N6thrust23THRUST_200600_302600_NS6detail15normal_iteratorINS9_10device_ptrIjEEEENSB_INSC_IiEEEEfNS9_4plusIvEEfEEDaPvRmT3_T4_T5_mT6_P12ihipStream_tbENKUlT_T0_E_clISt17integral_constantIbLb1EESW_EEDaSR_SS_EUlSR_E0_NS1_11comp_targetILNS1_3genE10ELNS1_11target_archE1200ELNS1_3gpuE4ELNS1_3repE0EEENS1_30default_config_static_selectorELNS0_4arch9wavefront6targetE1EEEvT1_
; %bb.0:
	.section	.rodata,"a",@progbits
	.p2align	6, 0x0
	.amdhsa_kernel _ZN7rocprim17ROCPRIM_400000_NS6detail17trampoline_kernelINS0_14default_configENS1_20scan_config_selectorIfEEZZNS1_9scan_implILNS1_25lookback_scan_determinismE0ELb1ELb1ES3_N6thrust23THRUST_200600_302600_NS6detail15normal_iteratorINS9_10device_ptrIjEEEENSB_INSC_IiEEEEfNS9_4plusIvEEfEEDaPvRmT3_T4_T5_mT6_P12ihipStream_tbENKUlT_T0_E_clISt17integral_constantIbLb1EESW_EEDaSR_SS_EUlSR_E0_NS1_11comp_targetILNS1_3genE10ELNS1_11target_archE1200ELNS1_3gpuE4ELNS1_3repE0EEENS1_30default_config_static_selectorELNS0_4arch9wavefront6targetE1EEEvT1_
		.amdhsa_group_segment_fixed_size 0
		.amdhsa_private_segment_fixed_size 0
		.amdhsa_kernarg_size 32
		.amdhsa_user_sgpr_count 6
		.amdhsa_user_sgpr_private_segment_buffer 1
		.amdhsa_user_sgpr_dispatch_ptr 0
		.amdhsa_user_sgpr_queue_ptr 0
		.amdhsa_user_sgpr_kernarg_segment_ptr 1
		.amdhsa_user_sgpr_dispatch_id 0
		.amdhsa_user_sgpr_flat_scratch_init 0
		.amdhsa_user_sgpr_kernarg_preload_length 0
		.amdhsa_user_sgpr_kernarg_preload_offset 0
		.amdhsa_user_sgpr_private_segment_size 0
		.amdhsa_uses_dynamic_stack 0
		.amdhsa_system_sgpr_private_segment_wavefront_offset 0
		.amdhsa_system_sgpr_workgroup_id_x 1
		.amdhsa_system_sgpr_workgroup_id_y 0
		.amdhsa_system_sgpr_workgroup_id_z 0
		.amdhsa_system_sgpr_workgroup_info 0
		.amdhsa_system_vgpr_workitem_id 0
		.amdhsa_next_free_vgpr 1
		.amdhsa_next_free_sgpr 0
		.amdhsa_accum_offset 4
		.amdhsa_reserve_vcc 0
		.amdhsa_reserve_flat_scratch 0
		.amdhsa_float_round_mode_32 0
		.amdhsa_float_round_mode_16_64 0
		.amdhsa_float_denorm_mode_32 3
		.amdhsa_float_denorm_mode_16_64 3
		.amdhsa_dx10_clamp 1
		.amdhsa_ieee_mode 1
		.amdhsa_fp16_overflow 0
		.amdhsa_tg_split 0
		.amdhsa_exception_fp_ieee_invalid_op 0
		.amdhsa_exception_fp_denorm_src 0
		.amdhsa_exception_fp_ieee_div_zero 0
		.amdhsa_exception_fp_ieee_overflow 0
		.amdhsa_exception_fp_ieee_underflow 0
		.amdhsa_exception_fp_ieee_inexact 0
		.amdhsa_exception_int_div_zero 0
	.end_amdhsa_kernel
	.section	.text._ZN7rocprim17ROCPRIM_400000_NS6detail17trampoline_kernelINS0_14default_configENS1_20scan_config_selectorIfEEZZNS1_9scan_implILNS1_25lookback_scan_determinismE0ELb1ELb1ES3_N6thrust23THRUST_200600_302600_NS6detail15normal_iteratorINS9_10device_ptrIjEEEENSB_INSC_IiEEEEfNS9_4plusIvEEfEEDaPvRmT3_T4_T5_mT6_P12ihipStream_tbENKUlT_T0_E_clISt17integral_constantIbLb1EESW_EEDaSR_SS_EUlSR_E0_NS1_11comp_targetILNS1_3genE10ELNS1_11target_archE1200ELNS1_3gpuE4ELNS1_3repE0EEENS1_30default_config_static_selectorELNS0_4arch9wavefront6targetE1EEEvT1_,"axG",@progbits,_ZN7rocprim17ROCPRIM_400000_NS6detail17trampoline_kernelINS0_14default_configENS1_20scan_config_selectorIfEEZZNS1_9scan_implILNS1_25lookback_scan_determinismE0ELb1ELb1ES3_N6thrust23THRUST_200600_302600_NS6detail15normal_iteratorINS9_10device_ptrIjEEEENSB_INSC_IiEEEEfNS9_4plusIvEEfEEDaPvRmT3_T4_T5_mT6_P12ihipStream_tbENKUlT_T0_E_clISt17integral_constantIbLb1EESW_EEDaSR_SS_EUlSR_E0_NS1_11comp_targetILNS1_3genE10ELNS1_11target_archE1200ELNS1_3gpuE4ELNS1_3repE0EEENS1_30default_config_static_selectorELNS0_4arch9wavefront6targetE1EEEvT1_,comdat
.Lfunc_end6337:
	.size	_ZN7rocprim17ROCPRIM_400000_NS6detail17trampoline_kernelINS0_14default_configENS1_20scan_config_selectorIfEEZZNS1_9scan_implILNS1_25lookback_scan_determinismE0ELb1ELb1ES3_N6thrust23THRUST_200600_302600_NS6detail15normal_iteratorINS9_10device_ptrIjEEEENSB_INSC_IiEEEEfNS9_4plusIvEEfEEDaPvRmT3_T4_T5_mT6_P12ihipStream_tbENKUlT_T0_E_clISt17integral_constantIbLb1EESW_EEDaSR_SS_EUlSR_E0_NS1_11comp_targetILNS1_3genE10ELNS1_11target_archE1200ELNS1_3gpuE4ELNS1_3repE0EEENS1_30default_config_static_selectorELNS0_4arch9wavefront6targetE1EEEvT1_, .Lfunc_end6337-_ZN7rocprim17ROCPRIM_400000_NS6detail17trampoline_kernelINS0_14default_configENS1_20scan_config_selectorIfEEZZNS1_9scan_implILNS1_25lookback_scan_determinismE0ELb1ELb1ES3_N6thrust23THRUST_200600_302600_NS6detail15normal_iteratorINS9_10device_ptrIjEEEENSB_INSC_IiEEEEfNS9_4plusIvEEfEEDaPvRmT3_T4_T5_mT6_P12ihipStream_tbENKUlT_T0_E_clISt17integral_constantIbLb1EESW_EEDaSR_SS_EUlSR_E0_NS1_11comp_targetILNS1_3genE10ELNS1_11target_archE1200ELNS1_3gpuE4ELNS1_3repE0EEENS1_30default_config_static_selectorELNS0_4arch9wavefront6targetE1EEEvT1_
                                        ; -- End function
	.section	.AMDGPU.csdata,"",@progbits
; Kernel info:
; codeLenInByte = 0
; NumSgprs: 4
; NumVgprs: 0
; NumAgprs: 0
; TotalNumVgprs: 0
; ScratchSize: 0
; MemoryBound: 0
; FloatMode: 240
; IeeeMode: 1
; LDSByteSize: 0 bytes/workgroup (compile time only)
; SGPRBlocks: 0
; VGPRBlocks: 0
; NumSGPRsForWavesPerEU: 4
; NumVGPRsForWavesPerEU: 1
; AccumOffset: 4
; Occupancy: 8
; WaveLimiterHint : 0
; COMPUTE_PGM_RSRC2:SCRATCH_EN: 0
; COMPUTE_PGM_RSRC2:USER_SGPR: 6
; COMPUTE_PGM_RSRC2:TRAP_HANDLER: 0
; COMPUTE_PGM_RSRC2:TGID_X_EN: 1
; COMPUTE_PGM_RSRC2:TGID_Y_EN: 0
; COMPUTE_PGM_RSRC2:TGID_Z_EN: 0
; COMPUTE_PGM_RSRC2:TIDIG_COMP_CNT: 0
; COMPUTE_PGM_RSRC3_GFX90A:ACCUM_OFFSET: 0
; COMPUTE_PGM_RSRC3_GFX90A:TG_SPLIT: 0
	.section	.text._ZN7rocprim17ROCPRIM_400000_NS6detail17trampoline_kernelINS0_14default_configENS1_20scan_config_selectorIfEEZZNS1_9scan_implILNS1_25lookback_scan_determinismE0ELb1ELb1ES3_N6thrust23THRUST_200600_302600_NS6detail15normal_iteratorINS9_10device_ptrIjEEEENSB_INSC_IiEEEEfNS9_4plusIvEEfEEDaPvRmT3_T4_T5_mT6_P12ihipStream_tbENKUlT_T0_E_clISt17integral_constantIbLb1EESW_EEDaSR_SS_EUlSR_E0_NS1_11comp_targetILNS1_3genE9ELNS1_11target_archE1100ELNS1_3gpuE3ELNS1_3repE0EEENS1_30default_config_static_selectorELNS0_4arch9wavefront6targetE1EEEvT1_,"axG",@progbits,_ZN7rocprim17ROCPRIM_400000_NS6detail17trampoline_kernelINS0_14default_configENS1_20scan_config_selectorIfEEZZNS1_9scan_implILNS1_25lookback_scan_determinismE0ELb1ELb1ES3_N6thrust23THRUST_200600_302600_NS6detail15normal_iteratorINS9_10device_ptrIjEEEENSB_INSC_IiEEEEfNS9_4plusIvEEfEEDaPvRmT3_T4_T5_mT6_P12ihipStream_tbENKUlT_T0_E_clISt17integral_constantIbLb1EESW_EEDaSR_SS_EUlSR_E0_NS1_11comp_targetILNS1_3genE9ELNS1_11target_archE1100ELNS1_3gpuE3ELNS1_3repE0EEENS1_30default_config_static_selectorELNS0_4arch9wavefront6targetE1EEEvT1_,comdat
	.protected	_ZN7rocprim17ROCPRIM_400000_NS6detail17trampoline_kernelINS0_14default_configENS1_20scan_config_selectorIfEEZZNS1_9scan_implILNS1_25lookback_scan_determinismE0ELb1ELb1ES3_N6thrust23THRUST_200600_302600_NS6detail15normal_iteratorINS9_10device_ptrIjEEEENSB_INSC_IiEEEEfNS9_4plusIvEEfEEDaPvRmT3_T4_T5_mT6_P12ihipStream_tbENKUlT_T0_E_clISt17integral_constantIbLb1EESW_EEDaSR_SS_EUlSR_E0_NS1_11comp_targetILNS1_3genE9ELNS1_11target_archE1100ELNS1_3gpuE3ELNS1_3repE0EEENS1_30default_config_static_selectorELNS0_4arch9wavefront6targetE1EEEvT1_ ; -- Begin function _ZN7rocprim17ROCPRIM_400000_NS6detail17trampoline_kernelINS0_14default_configENS1_20scan_config_selectorIfEEZZNS1_9scan_implILNS1_25lookback_scan_determinismE0ELb1ELb1ES3_N6thrust23THRUST_200600_302600_NS6detail15normal_iteratorINS9_10device_ptrIjEEEENSB_INSC_IiEEEEfNS9_4plusIvEEfEEDaPvRmT3_T4_T5_mT6_P12ihipStream_tbENKUlT_T0_E_clISt17integral_constantIbLb1EESW_EEDaSR_SS_EUlSR_E0_NS1_11comp_targetILNS1_3genE9ELNS1_11target_archE1100ELNS1_3gpuE3ELNS1_3repE0EEENS1_30default_config_static_selectorELNS0_4arch9wavefront6targetE1EEEvT1_
	.globl	_ZN7rocprim17ROCPRIM_400000_NS6detail17trampoline_kernelINS0_14default_configENS1_20scan_config_selectorIfEEZZNS1_9scan_implILNS1_25lookback_scan_determinismE0ELb1ELb1ES3_N6thrust23THRUST_200600_302600_NS6detail15normal_iteratorINS9_10device_ptrIjEEEENSB_INSC_IiEEEEfNS9_4plusIvEEfEEDaPvRmT3_T4_T5_mT6_P12ihipStream_tbENKUlT_T0_E_clISt17integral_constantIbLb1EESW_EEDaSR_SS_EUlSR_E0_NS1_11comp_targetILNS1_3genE9ELNS1_11target_archE1100ELNS1_3gpuE3ELNS1_3repE0EEENS1_30default_config_static_selectorELNS0_4arch9wavefront6targetE1EEEvT1_
	.p2align	8
	.type	_ZN7rocprim17ROCPRIM_400000_NS6detail17trampoline_kernelINS0_14default_configENS1_20scan_config_selectorIfEEZZNS1_9scan_implILNS1_25lookback_scan_determinismE0ELb1ELb1ES3_N6thrust23THRUST_200600_302600_NS6detail15normal_iteratorINS9_10device_ptrIjEEEENSB_INSC_IiEEEEfNS9_4plusIvEEfEEDaPvRmT3_T4_T5_mT6_P12ihipStream_tbENKUlT_T0_E_clISt17integral_constantIbLb1EESW_EEDaSR_SS_EUlSR_E0_NS1_11comp_targetILNS1_3genE9ELNS1_11target_archE1100ELNS1_3gpuE3ELNS1_3repE0EEENS1_30default_config_static_selectorELNS0_4arch9wavefront6targetE1EEEvT1_,@function
_ZN7rocprim17ROCPRIM_400000_NS6detail17trampoline_kernelINS0_14default_configENS1_20scan_config_selectorIfEEZZNS1_9scan_implILNS1_25lookback_scan_determinismE0ELb1ELb1ES3_N6thrust23THRUST_200600_302600_NS6detail15normal_iteratorINS9_10device_ptrIjEEEENSB_INSC_IiEEEEfNS9_4plusIvEEfEEDaPvRmT3_T4_T5_mT6_P12ihipStream_tbENKUlT_T0_E_clISt17integral_constantIbLb1EESW_EEDaSR_SS_EUlSR_E0_NS1_11comp_targetILNS1_3genE9ELNS1_11target_archE1100ELNS1_3gpuE3ELNS1_3repE0EEENS1_30default_config_static_selectorELNS0_4arch9wavefront6targetE1EEEvT1_: ; @_ZN7rocprim17ROCPRIM_400000_NS6detail17trampoline_kernelINS0_14default_configENS1_20scan_config_selectorIfEEZZNS1_9scan_implILNS1_25lookback_scan_determinismE0ELb1ELb1ES3_N6thrust23THRUST_200600_302600_NS6detail15normal_iteratorINS9_10device_ptrIjEEEENSB_INSC_IiEEEEfNS9_4plusIvEEfEEDaPvRmT3_T4_T5_mT6_P12ihipStream_tbENKUlT_T0_E_clISt17integral_constantIbLb1EESW_EEDaSR_SS_EUlSR_E0_NS1_11comp_targetILNS1_3genE9ELNS1_11target_archE1100ELNS1_3gpuE3ELNS1_3repE0EEENS1_30default_config_static_selectorELNS0_4arch9wavefront6targetE1EEEvT1_
; %bb.0:
	.section	.rodata,"a",@progbits
	.p2align	6, 0x0
	.amdhsa_kernel _ZN7rocprim17ROCPRIM_400000_NS6detail17trampoline_kernelINS0_14default_configENS1_20scan_config_selectorIfEEZZNS1_9scan_implILNS1_25lookback_scan_determinismE0ELb1ELb1ES3_N6thrust23THRUST_200600_302600_NS6detail15normal_iteratorINS9_10device_ptrIjEEEENSB_INSC_IiEEEEfNS9_4plusIvEEfEEDaPvRmT3_T4_T5_mT6_P12ihipStream_tbENKUlT_T0_E_clISt17integral_constantIbLb1EESW_EEDaSR_SS_EUlSR_E0_NS1_11comp_targetILNS1_3genE9ELNS1_11target_archE1100ELNS1_3gpuE3ELNS1_3repE0EEENS1_30default_config_static_selectorELNS0_4arch9wavefront6targetE1EEEvT1_
		.amdhsa_group_segment_fixed_size 0
		.amdhsa_private_segment_fixed_size 0
		.amdhsa_kernarg_size 32
		.amdhsa_user_sgpr_count 6
		.amdhsa_user_sgpr_private_segment_buffer 1
		.amdhsa_user_sgpr_dispatch_ptr 0
		.amdhsa_user_sgpr_queue_ptr 0
		.amdhsa_user_sgpr_kernarg_segment_ptr 1
		.amdhsa_user_sgpr_dispatch_id 0
		.amdhsa_user_sgpr_flat_scratch_init 0
		.amdhsa_user_sgpr_kernarg_preload_length 0
		.amdhsa_user_sgpr_kernarg_preload_offset 0
		.amdhsa_user_sgpr_private_segment_size 0
		.amdhsa_uses_dynamic_stack 0
		.amdhsa_system_sgpr_private_segment_wavefront_offset 0
		.amdhsa_system_sgpr_workgroup_id_x 1
		.amdhsa_system_sgpr_workgroup_id_y 0
		.amdhsa_system_sgpr_workgroup_id_z 0
		.amdhsa_system_sgpr_workgroup_info 0
		.amdhsa_system_vgpr_workitem_id 0
		.amdhsa_next_free_vgpr 1
		.amdhsa_next_free_sgpr 0
		.amdhsa_accum_offset 4
		.amdhsa_reserve_vcc 0
		.amdhsa_reserve_flat_scratch 0
		.amdhsa_float_round_mode_32 0
		.amdhsa_float_round_mode_16_64 0
		.amdhsa_float_denorm_mode_32 3
		.amdhsa_float_denorm_mode_16_64 3
		.amdhsa_dx10_clamp 1
		.amdhsa_ieee_mode 1
		.amdhsa_fp16_overflow 0
		.amdhsa_tg_split 0
		.amdhsa_exception_fp_ieee_invalid_op 0
		.amdhsa_exception_fp_denorm_src 0
		.amdhsa_exception_fp_ieee_div_zero 0
		.amdhsa_exception_fp_ieee_overflow 0
		.amdhsa_exception_fp_ieee_underflow 0
		.amdhsa_exception_fp_ieee_inexact 0
		.amdhsa_exception_int_div_zero 0
	.end_amdhsa_kernel
	.section	.text._ZN7rocprim17ROCPRIM_400000_NS6detail17trampoline_kernelINS0_14default_configENS1_20scan_config_selectorIfEEZZNS1_9scan_implILNS1_25lookback_scan_determinismE0ELb1ELb1ES3_N6thrust23THRUST_200600_302600_NS6detail15normal_iteratorINS9_10device_ptrIjEEEENSB_INSC_IiEEEEfNS9_4plusIvEEfEEDaPvRmT3_T4_T5_mT6_P12ihipStream_tbENKUlT_T0_E_clISt17integral_constantIbLb1EESW_EEDaSR_SS_EUlSR_E0_NS1_11comp_targetILNS1_3genE9ELNS1_11target_archE1100ELNS1_3gpuE3ELNS1_3repE0EEENS1_30default_config_static_selectorELNS0_4arch9wavefront6targetE1EEEvT1_,"axG",@progbits,_ZN7rocprim17ROCPRIM_400000_NS6detail17trampoline_kernelINS0_14default_configENS1_20scan_config_selectorIfEEZZNS1_9scan_implILNS1_25lookback_scan_determinismE0ELb1ELb1ES3_N6thrust23THRUST_200600_302600_NS6detail15normal_iteratorINS9_10device_ptrIjEEEENSB_INSC_IiEEEEfNS9_4plusIvEEfEEDaPvRmT3_T4_T5_mT6_P12ihipStream_tbENKUlT_T0_E_clISt17integral_constantIbLb1EESW_EEDaSR_SS_EUlSR_E0_NS1_11comp_targetILNS1_3genE9ELNS1_11target_archE1100ELNS1_3gpuE3ELNS1_3repE0EEENS1_30default_config_static_selectorELNS0_4arch9wavefront6targetE1EEEvT1_,comdat
.Lfunc_end6338:
	.size	_ZN7rocprim17ROCPRIM_400000_NS6detail17trampoline_kernelINS0_14default_configENS1_20scan_config_selectorIfEEZZNS1_9scan_implILNS1_25lookback_scan_determinismE0ELb1ELb1ES3_N6thrust23THRUST_200600_302600_NS6detail15normal_iteratorINS9_10device_ptrIjEEEENSB_INSC_IiEEEEfNS9_4plusIvEEfEEDaPvRmT3_T4_T5_mT6_P12ihipStream_tbENKUlT_T0_E_clISt17integral_constantIbLb1EESW_EEDaSR_SS_EUlSR_E0_NS1_11comp_targetILNS1_3genE9ELNS1_11target_archE1100ELNS1_3gpuE3ELNS1_3repE0EEENS1_30default_config_static_selectorELNS0_4arch9wavefront6targetE1EEEvT1_, .Lfunc_end6338-_ZN7rocprim17ROCPRIM_400000_NS6detail17trampoline_kernelINS0_14default_configENS1_20scan_config_selectorIfEEZZNS1_9scan_implILNS1_25lookback_scan_determinismE0ELb1ELb1ES3_N6thrust23THRUST_200600_302600_NS6detail15normal_iteratorINS9_10device_ptrIjEEEENSB_INSC_IiEEEEfNS9_4plusIvEEfEEDaPvRmT3_T4_T5_mT6_P12ihipStream_tbENKUlT_T0_E_clISt17integral_constantIbLb1EESW_EEDaSR_SS_EUlSR_E0_NS1_11comp_targetILNS1_3genE9ELNS1_11target_archE1100ELNS1_3gpuE3ELNS1_3repE0EEENS1_30default_config_static_selectorELNS0_4arch9wavefront6targetE1EEEvT1_
                                        ; -- End function
	.section	.AMDGPU.csdata,"",@progbits
; Kernel info:
; codeLenInByte = 0
; NumSgprs: 4
; NumVgprs: 0
; NumAgprs: 0
; TotalNumVgprs: 0
; ScratchSize: 0
; MemoryBound: 0
; FloatMode: 240
; IeeeMode: 1
; LDSByteSize: 0 bytes/workgroup (compile time only)
; SGPRBlocks: 0
; VGPRBlocks: 0
; NumSGPRsForWavesPerEU: 4
; NumVGPRsForWavesPerEU: 1
; AccumOffset: 4
; Occupancy: 8
; WaveLimiterHint : 0
; COMPUTE_PGM_RSRC2:SCRATCH_EN: 0
; COMPUTE_PGM_RSRC2:USER_SGPR: 6
; COMPUTE_PGM_RSRC2:TRAP_HANDLER: 0
; COMPUTE_PGM_RSRC2:TGID_X_EN: 1
; COMPUTE_PGM_RSRC2:TGID_Y_EN: 0
; COMPUTE_PGM_RSRC2:TGID_Z_EN: 0
; COMPUTE_PGM_RSRC2:TIDIG_COMP_CNT: 0
; COMPUTE_PGM_RSRC3_GFX90A:ACCUM_OFFSET: 0
; COMPUTE_PGM_RSRC3_GFX90A:TG_SPLIT: 0
	.section	.text._ZN7rocprim17ROCPRIM_400000_NS6detail17trampoline_kernelINS0_14default_configENS1_20scan_config_selectorIfEEZZNS1_9scan_implILNS1_25lookback_scan_determinismE0ELb1ELb1ES3_N6thrust23THRUST_200600_302600_NS6detail15normal_iteratorINS9_10device_ptrIjEEEENSB_INSC_IiEEEEfNS9_4plusIvEEfEEDaPvRmT3_T4_T5_mT6_P12ihipStream_tbENKUlT_T0_E_clISt17integral_constantIbLb1EESW_EEDaSR_SS_EUlSR_E0_NS1_11comp_targetILNS1_3genE8ELNS1_11target_archE1030ELNS1_3gpuE2ELNS1_3repE0EEENS1_30default_config_static_selectorELNS0_4arch9wavefront6targetE1EEEvT1_,"axG",@progbits,_ZN7rocprim17ROCPRIM_400000_NS6detail17trampoline_kernelINS0_14default_configENS1_20scan_config_selectorIfEEZZNS1_9scan_implILNS1_25lookback_scan_determinismE0ELb1ELb1ES3_N6thrust23THRUST_200600_302600_NS6detail15normal_iteratorINS9_10device_ptrIjEEEENSB_INSC_IiEEEEfNS9_4plusIvEEfEEDaPvRmT3_T4_T5_mT6_P12ihipStream_tbENKUlT_T0_E_clISt17integral_constantIbLb1EESW_EEDaSR_SS_EUlSR_E0_NS1_11comp_targetILNS1_3genE8ELNS1_11target_archE1030ELNS1_3gpuE2ELNS1_3repE0EEENS1_30default_config_static_selectorELNS0_4arch9wavefront6targetE1EEEvT1_,comdat
	.protected	_ZN7rocprim17ROCPRIM_400000_NS6detail17trampoline_kernelINS0_14default_configENS1_20scan_config_selectorIfEEZZNS1_9scan_implILNS1_25lookback_scan_determinismE0ELb1ELb1ES3_N6thrust23THRUST_200600_302600_NS6detail15normal_iteratorINS9_10device_ptrIjEEEENSB_INSC_IiEEEEfNS9_4plusIvEEfEEDaPvRmT3_T4_T5_mT6_P12ihipStream_tbENKUlT_T0_E_clISt17integral_constantIbLb1EESW_EEDaSR_SS_EUlSR_E0_NS1_11comp_targetILNS1_3genE8ELNS1_11target_archE1030ELNS1_3gpuE2ELNS1_3repE0EEENS1_30default_config_static_selectorELNS0_4arch9wavefront6targetE1EEEvT1_ ; -- Begin function _ZN7rocprim17ROCPRIM_400000_NS6detail17trampoline_kernelINS0_14default_configENS1_20scan_config_selectorIfEEZZNS1_9scan_implILNS1_25lookback_scan_determinismE0ELb1ELb1ES3_N6thrust23THRUST_200600_302600_NS6detail15normal_iteratorINS9_10device_ptrIjEEEENSB_INSC_IiEEEEfNS9_4plusIvEEfEEDaPvRmT3_T4_T5_mT6_P12ihipStream_tbENKUlT_T0_E_clISt17integral_constantIbLb1EESW_EEDaSR_SS_EUlSR_E0_NS1_11comp_targetILNS1_3genE8ELNS1_11target_archE1030ELNS1_3gpuE2ELNS1_3repE0EEENS1_30default_config_static_selectorELNS0_4arch9wavefront6targetE1EEEvT1_
	.globl	_ZN7rocprim17ROCPRIM_400000_NS6detail17trampoline_kernelINS0_14default_configENS1_20scan_config_selectorIfEEZZNS1_9scan_implILNS1_25lookback_scan_determinismE0ELb1ELb1ES3_N6thrust23THRUST_200600_302600_NS6detail15normal_iteratorINS9_10device_ptrIjEEEENSB_INSC_IiEEEEfNS9_4plusIvEEfEEDaPvRmT3_T4_T5_mT6_P12ihipStream_tbENKUlT_T0_E_clISt17integral_constantIbLb1EESW_EEDaSR_SS_EUlSR_E0_NS1_11comp_targetILNS1_3genE8ELNS1_11target_archE1030ELNS1_3gpuE2ELNS1_3repE0EEENS1_30default_config_static_selectorELNS0_4arch9wavefront6targetE1EEEvT1_
	.p2align	8
	.type	_ZN7rocprim17ROCPRIM_400000_NS6detail17trampoline_kernelINS0_14default_configENS1_20scan_config_selectorIfEEZZNS1_9scan_implILNS1_25lookback_scan_determinismE0ELb1ELb1ES3_N6thrust23THRUST_200600_302600_NS6detail15normal_iteratorINS9_10device_ptrIjEEEENSB_INSC_IiEEEEfNS9_4plusIvEEfEEDaPvRmT3_T4_T5_mT6_P12ihipStream_tbENKUlT_T0_E_clISt17integral_constantIbLb1EESW_EEDaSR_SS_EUlSR_E0_NS1_11comp_targetILNS1_3genE8ELNS1_11target_archE1030ELNS1_3gpuE2ELNS1_3repE0EEENS1_30default_config_static_selectorELNS0_4arch9wavefront6targetE1EEEvT1_,@function
_ZN7rocprim17ROCPRIM_400000_NS6detail17trampoline_kernelINS0_14default_configENS1_20scan_config_selectorIfEEZZNS1_9scan_implILNS1_25lookback_scan_determinismE0ELb1ELb1ES3_N6thrust23THRUST_200600_302600_NS6detail15normal_iteratorINS9_10device_ptrIjEEEENSB_INSC_IiEEEEfNS9_4plusIvEEfEEDaPvRmT3_T4_T5_mT6_P12ihipStream_tbENKUlT_T0_E_clISt17integral_constantIbLb1EESW_EEDaSR_SS_EUlSR_E0_NS1_11comp_targetILNS1_3genE8ELNS1_11target_archE1030ELNS1_3gpuE2ELNS1_3repE0EEENS1_30default_config_static_selectorELNS0_4arch9wavefront6targetE1EEEvT1_: ; @_ZN7rocprim17ROCPRIM_400000_NS6detail17trampoline_kernelINS0_14default_configENS1_20scan_config_selectorIfEEZZNS1_9scan_implILNS1_25lookback_scan_determinismE0ELb1ELb1ES3_N6thrust23THRUST_200600_302600_NS6detail15normal_iteratorINS9_10device_ptrIjEEEENSB_INSC_IiEEEEfNS9_4plusIvEEfEEDaPvRmT3_T4_T5_mT6_P12ihipStream_tbENKUlT_T0_E_clISt17integral_constantIbLb1EESW_EEDaSR_SS_EUlSR_E0_NS1_11comp_targetILNS1_3genE8ELNS1_11target_archE1030ELNS1_3gpuE2ELNS1_3repE0EEENS1_30default_config_static_selectorELNS0_4arch9wavefront6targetE1EEEvT1_
; %bb.0:
	.section	.rodata,"a",@progbits
	.p2align	6, 0x0
	.amdhsa_kernel _ZN7rocprim17ROCPRIM_400000_NS6detail17trampoline_kernelINS0_14default_configENS1_20scan_config_selectorIfEEZZNS1_9scan_implILNS1_25lookback_scan_determinismE0ELb1ELb1ES3_N6thrust23THRUST_200600_302600_NS6detail15normal_iteratorINS9_10device_ptrIjEEEENSB_INSC_IiEEEEfNS9_4plusIvEEfEEDaPvRmT3_T4_T5_mT6_P12ihipStream_tbENKUlT_T0_E_clISt17integral_constantIbLb1EESW_EEDaSR_SS_EUlSR_E0_NS1_11comp_targetILNS1_3genE8ELNS1_11target_archE1030ELNS1_3gpuE2ELNS1_3repE0EEENS1_30default_config_static_selectorELNS0_4arch9wavefront6targetE1EEEvT1_
		.amdhsa_group_segment_fixed_size 0
		.amdhsa_private_segment_fixed_size 0
		.amdhsa_kernarg_size 32
		.amdhsa_user_sgpr_count 6
		.amdhsa_user_sgpr_private_segment_buffer 1
		.amdhsa_user_sgpr_dispatch_ptr 0
		.amdhsa_user_sgpr_queue_ptr 0
		.amdhsa_user_sgpr_kernarg_segment_ptr 1
		.amdhsa_user_sgpr_dispatch_id 0
		.amdhsa_user_sgpr_flat_scratch_init 0
		.amdhsa_user_sgpr_kernarg_preload_length 0
		.amdhsa_user_sgpr_kernarg_preload_offset 0
		.amdhsa_user_sgpr_private_segment_size 0
		.amdhsa_uses_dynamic_stack 0
		.amdhsa_system_sgpr_private_segment_wavefront_offset 0
		.amdhsa_system_sgpr_workgroup_id_x 1
		.amdhsa_system_sgpr_workgroup_id_y 0
		.amdhsa_system_sgpr_workgroup_id_z 0
		.amdhsa_system_sgpr_workgroup_info 0
		.amdhsa_system_vgpr_workitem_id 0
		.amdhsa_next_free_vgpr 1
		.amdhsa_next_free_sgpr 0
		.amdhsa_accum_offset 4
		.amdhsa_reserve_vcc 0
		.amdhsa_reserve_flat_scratch 0
		.amdhsa_float_round_mode_32 0
		.amdhsa_float_round_mode_16_64 0
		.amdhsa_float_denorm_mode_32 3
		.amdhsa_float_denorm_mode_16_64 3
		.amdhsa_dx10_clamp 1
		.amdhsa_ieee_mode 1
		.amdhsa_fp16_overflow 0
		.amdhsa_tg_split 0
		.amdhsa_exception_fp_ieee_invalid_op 0
		.amdhsa_exception_fp_denorm_src 0
		.amdhsa_exception_fp_ieee_div_zero 0
		.amdhsa_exception_fp_ieee_overflow 0
		.amdhsa_exception_fp_ieee_underflow 0
		.amdhsa_exception_fp_ieee_inexact 0
		.amdhsa_exception_int_div_zero 0
	.end_amdhsa_kernel
	.section	.text._ZN7rocprim17ROCPRIM_400000_NS6detail17trampoline_kernelINS0_14default_configENS1_20scan_config_selectorIfEEZZNS1_9scan_implILNS1_25lookback_scan_determinismE0ELb1ELb1ES3_N6thrust23THRUST_200600_302600_NS6detail15normal_iteratorINS9_10device_ptrIjEEEENSB_INSC_IiEEEEfNS9_4plusIvEEfEEDaPvRmT3_T4_T5_mT6_P12ihipStream_tbENKUlT_T0_E_clISt17integral_constantIbLb1EESW_EEDaSR_SS_EUlSR_E0_NS1_11comp_targetILNS1_3genE8ELNS1_11target_archE1030ELNS1_3gpuE2ELNS1_3repE0EEENS1_30default_config_static_selectorELNS0_4arch9wavefront6targetE1EEEvT1_,"axG",@progbits,_ZN7rocprim17ROCPRIM_400000_NS6detail17trampoline_kernelINS0_14default_configENS1_20scan_config_selectorIfEEZZNS1_9scan_implILNS1_25lookback_scan_determinismE0ELb1ELb1ES3_N6thrust23THRUST_200600_302600_NS6detail15normal_iteratorINS9_10device_ptrIjEEEENSB_INSC_IiEEEEfNS9_4plusIvEEfEEDaPvRmT3_T4_T5_mT6_P12ihipStream_tbENKUlT_T0_E_clISt17integral_constantIbLb1EESW_EEDaSR_SS_EUlSR_E0_NS1_11comp_targetILNS1_3genE8ELNS1_11target_archE1030ELNS1_3gpuE2ELNS1_3repE0EEENS1_30default_config_static_selectorELNS0_4arch9wavefront6targetE1EEEvT1_,comdat
.Lfunc_end6339:
	.size	_ZN7rocprim17ROCPRIM_400000_NS6detail17trampoline_kernelINS0_14default_configENS1_20scan_config_selectorIfEEZZNS1_9scan_implILNS1_25lookback_scan_determinismE0ELb1ELb1ES3_N6thrust23THRUST_200600_302600_NS6detail15normal_iteratorINS9_10device_ptrIjEEEENSB_INSC_IiEEEEfNS9_4plusIvEEfEEDaPvRmT3_T4_T5_mT6_P12ihipStream_tbENKUlT_T0_E_clISt17integral_constantIbLb1EESW_EEDaSR_SS_EUlSR_E0_NS1_11comp_targetILNS1_3genE8ELNS1_11target_archE1030ELNS1_3gpuE2ELNS1_3repE0EEENS1_30default_config_static_selectorELNS0_4arch9wavefront6targetE1EEEvT1_, .Lfunc_end6339-_ZN7rocprim17ROCPRIM_400000_NS6detail17trampoline_kernelINS0_14default_configENS1_20scan_config_selectorIfEEZZNS1_9scan_implILNS1_25lookback_scan_determinismE0ELb1ELb1ES3_N6thrust23THRUST_200600_302600_NS6detail15normal_iteratorINS9_10device_ptrIjEEEENSB_INSC_IiEEEEfNS9_4plusIvEEfEEDaPvRmT3_T4_T5_mT6_P12ihipStream_tbENKUlT_T0_E_clISt17integral_constantIbLb1EESW_EEDaSR_SS_EUlSR_E0_NS1_11comp_targetILNS1_3genE8ELNS1_11target_archE1030ELNS1_3gpuE2ELNS1_3repE0EEENS1_30default_config_static_selectorELNS0_4arch9wavefront6targetE1EEEvT1_
                                        ; -- End function
	.section	.AMDGPU.csdata,"",@progbits
; Kernel info:
; codeLenInByte = 0
; NumSgprs: 4
; NumVgprs: 0
; NumAgprs: 0
; TotalNumVgprs: 0
; ScratchSize: 0
; MemoryBound: 0
; FloatMode: 240
; IeeeMode: 1
; LDSByteSize: 0 bytes/workgroup (compile time only)
; SGPRBlocks: 0
; VGPRBlocks: 0
; NumSGPRsForWavesPerEU: 4
; NumVGPRsForWavesPerEU: 1
; AccumOffset: 4
; Occupancy: 8
; WaveLimiterHint : 0
; COMPUTE_PGM_RSRC2:SCRATCH_EN: 0
; COMPUTE_PGM_RSRC2:USER_SGPR: 6
; COMPUTE_PGM_RSRC2:TRAP_HANDLER: 0
; COMPUTE_PGM_RSRC2:TGID_X_EN: 1
; COMPUTE_PGM_RSRC2:TGID_Y_EN: 0
; COMPUTE_PGM_RSRC2:TGID_Z_EN: 0
; COMPUTE_PGM_RSRC2:TIDIG_COMP_CNT: 0
; COMPUTE_PGM_RSRC3_GFX90A:ACCUM_OFFSET: 0
; COMPUTE_PGM_RSRC3_GFX90A:TG_SPLIT: 0
	.section	.text._ZN7rocprim17ROCPRIM_400000_NS6detail17trampoline_kernelINS0_14default_configENS1_20scan_config_selectorIfEEZZNS1_9scan_implILNS1_25lookback_scan_determinismE0ELb1ELb1ES3_N6thrust23THRUST_200600_302600_NS6detail15normal_iteratorINS9_10device_ptrIjEEEENSB_INSC_IiEEEEfNS9_4plusIvEEfEEDaPvRmT3_T4_T5_mT6_P12ihipStream_tbENKUlT_T0_E_clISt17integral_constantIbLb1EESV_IbLb0EEEEDaSR_SS_EUlSR_E_NS1_11comp_targetILNS1_3genE0ELNS1_11target_archE4294967295ELNS1_3gpuE0ELNS1_3repE0EEENS1_30default_config_static_selectorELNS0_4arch9wavefront6targetE1EEEvT1_,"axG",@progbits,_ZN7rocprim17ROCPRIM_400000_NS6detail17trampoline_kernelINS0_14default_configENS1_20scan_config_selectorIfEEZZNS1_9scan_implILNS1_25lookback_scan_determinismE0ELb1ELb1ES3_N6thrust23THRUST_200600_302600_NS6detail15normal_iteratorINS9_10device_ptrIjEEEENSB_INSC_IiEEEEfNS9_4plusIvEEfEEDaPvRmT3_T4_T5_mT6_P12ihipStream_tbENKUlT_T0_E_clISt17integral_constantIbLb1EESV_IbLb0EEEEDaSR_SS_EUlSR_E_NS1_11comp_targetILNS1_3genE0ELNS1_11target_archE4294967295ELNS1_3gpuE0ELNS1_3repE0EEENS1_30default_config_static_selectorELNS0_4arch9wavefront6targetE1EEEvT1_,comdat
	.protected	_ZN7rocprim17ROCPRIM_400000_NS6detail17trampoline_kernelINS0_14default_configENS1_20scan_config_selectorIfEEZZNS1_9scan_implILNS1_25lookback_scan_determinismE0ELb1ELb1ES3_N6thrust23THRUST_200600_302600_NS6detail15normal_iteratorINS9_10device_ptrIjEEEENSB_INSC_IiEEEEfNS9_4plusIvEEfEEDaPvRmT3_T4_T5_mT6_P12ihipStream_tbENKUlT_T0_E_clISt17integral_constantIbLb1EESV_IbLb0EEEEDaSR_SS_EUlSR_E_NS1_11comp_targetILNS1_3genE0ELNS1_11target_archE4294967295ELNS1_3gpuE0ELNS1_3repE0EEENS1_30default_config_static_selectorELNS0_4arch9wavefront6targetE1EEEvT1_ ; -- Begin function _ZN7rocprim17ROCPRIM_400000_NS6detail17trampoline_kernelINS0_14default_configENS1_20scan_config_selectorIfEEZZNS1_9scan_implILNS1_25lookback_scan_determinismE0ELb1ELb1ES3_N6thrust23THRUST_200600_302600_NS6detail15normal_iteratorINS9_10device_ptrIjEEEENSB_INSC_IiEEEEfNS9_4plusIvEEfEEDaPvRmT3_T4_T5_mT6_P12ihipStream_tbENKUlT_T0_E_clISt17integral_constantIbLb1EESV_IbLb0EEEEDaSR_SS_EUlSR_E_NS1_11comp_targetILNS1_3genE0ELNS1_11target_archE4294967295ELNS1_3gpuE0ELNS1_3repE0EEENS1_30default_config_static_selectorELNS0_4arch9wavefront6targetE1EEEvT1_
	.globl	_ZN7rocprim17ROCPRIM_400000_NS6detail17trampoline_kernelINS0_14default_configENS1_20scan_config_selectorIfEEZZNS1_9scan_implILNS1_25lookback_scan_determinismE0ELb1ELb1ES3_N6thrust23THRUST_200600_302600_NS6detail15normal_iteratorINS9_10device_ptrIjEEEENSB_INSC_IiEEEEfNS9_4plusIvEEfEEDaPvRmT3_T4_T5_mT6_P12ihipStream_tbENKUlT_T0_E_clISt17integral_constantIbLb1EESV_IbLb0EEEEDaSR_SS_EUlSR_E_NS1_11comp_targetILNS1_3genE0ELNS1_11target_archE4294967295ELNS1_3gpuE0ELNS1_3repE0EEENS1_30default_config_static_selectorELNS0_4arch9wavefront6targetE1EEEvT1_
	.p2align	8
	.type	_ZN7rocprim17ROCPRIM_400000_NS6detail17trampoline_kernelINS0_14default_configENS1_20scan_config_selectorIfEEZZNS1_9scan_implILNS1_25lookback_scan_determinismE0ELb1ELb1ES3_N6thrust23THRUST_200600_302600_NS6detail15normal_iteratorINS9_10device_ptrIjEEEENSB_INSC_IiEEEEfNS9_4plusIvEEfEEDaPvRmT3_T4_T5_mT6_P12ihipStream_tbENKUlT_T0_E_clISt17integral_constantIbLb1EESV_IbLb0EEEEDaSR_SS_EUlSR_E_NS1_11comp_targetILNS1_3genE0ELNS1_11target_archE4294967295ELNS1_3gpuE0ELNS1_3repE0EEENS1_30default_config_static_selectorELNS0_4arch9wavefront6targetE1EEEvT1_,@function
_ZN7rocprim17ROCPRIM_400000_NS6detail17trampoline_kernelINS0_14default_configENS1_20scan_config_selectorIfEEZZNS1_9scan_implILNS1_25lookback_scan_determinismE0ELb1ELb1ES3_N6thrust23THRUST_200600_302600_NS6detail15normal_iteratorINS9_10device_ptrIjEEEENSB_INSC_IiEEEEfNS9_4plusIvEEfEEDaPvRmT3_T4_T5_mT6_P12ihipStream_tbENKUlT_T0_E_clISt17integral_constantIbLb1EESV_IbLb0EEEEDaSR_SS_EUlSR_E_NS1_11comp_targetILNS1_3genE0ELNS1_11target_archE4294967295ELNS1_3gpuE0ELNS1_3repE0EEENS1_30default_config_static_selectorELNS0_4arch9wavefront6targetE1EEEvT1_: ; @_ZN7rocprim17ROCPRIM_400000_NS6detail17trampoline_kernelINS0_14default_configENS1_20scan_config_selectorIfEEZZNS1_9scan_implILNS1_25lookback_scan_determinismE0ELb1ELb1ES3_N6thrust23THRUST_200600_302600_NS6detail15normal_iteratorINS9_10device_ptrIjEEEENSB_INSC_IiEEEEfNS9_4plusIvEEfEEDaPvRmT3_T4_T5_mT6_P12ihipStream_tbENKUlT_T0_E_clISt17integral_constantIbLb1EESV_IbLb0EEEEDaSR_SS_EUlSR_E_NS1_11comp_targetILNS1_3genE0ELNS1_11target_archE4294967295ELNS1_3gpuE0ELNS1_3repE0EEENS1_30default_config_static_selectorELNS0_4arch9wavefront6targetE1EEEvT1_
; %bb.0:
	.section	.rodata,"a",@progbits
	.p2align	6, 0x0
	.amdhsa_kernel _ZN7rocprim17ROCPRIM_400000_NS6detail17trampoline_kernelINS0_14default_configENS1_20scan_config_selectorIfEEZZNS1_9scan_implILNS1_25lookback_scan_determinismE0ELb1ELb1ES3_N6thrust23THRUST_200600_302600_NS6detail15normal_iteratorINS9_10device_ptrIjEEEENSB_INSC_IiEEEEfNS9_4plusIvEEfEEDaPvRmT3_T4_T5_mT6_P12ihipStream_tbENKUlT_T0_E_clISt17integral_constantIbLb1EESV_IbLb0EEEEDaSR_SS_EUlSR_E_NS1_11comp_targetILNS1_3genE0ELNS1_11target_archE4294967295ELNS1_3gpuE0ELNS1_3repE0EEENS1_30default_config_static_selectorELNS0_4arch9wavefront6targetE1EEEvT1_
		.amdhsa_group_segment_fixed_size 0
		.amdhsa_private_segment_fixed_size 0
		.amdhsa_kernarg_size 96
		.amdhsa_user_sgpr_count 6
		.amdhsa_user_sgpr_private_segment_buffer 1
		.amdhsa_user_sgpr_dispatch_ptr 0
		.amdhsa_user_sgpr_queue_ptr 0
		.amdhsa_user_sgpr_kernarg_segment_ptr 1
		.amdhsa_user_sgpr_dispatch_id 0
		.amdhsa_user_sgpr_flat_scratch_init 0
		.amdhsa_user_sgpr_kernarg_preload_length 0
		.amdhsa_user_sgpr_kernarg_preload_offset 0
		.amdhsa_user_sgpr_private_segment_size 0
		.amdhsa_uses_dynamic_stack 0
		.amdhsa_system_sgpr_private_segment_wavefront_offset 0
		.amdhsa_system_sgpr_workgroup_id_x 1
		.amdhsa_system_sgpr_workgroup_id_y 0
		.amdhsa_system_sgpr_workgroup_id_z 0
		.amdhsa_system_sgpr_workgroup_info 0
		.amdhsa_system_vgpr_workitem_id 0
		.amdhsa_next_free_vgpr 1
		.amdhsa_next_free_sgpr 0
		.amdhsa_accum_offset 4
		.amdhsa_reserve_vcc 0
		.amdhsa_reserve_flat_scratch 0
		.amdhsa_float_round_mode_32 0
		.amdhsa_float_round_mode_16_64 0
		.amdhsa_float_denorm_mode_32 3
		.amdhsa_float_denorm_mode_16_64 3
		.amdhsa_dx10_clamp 1
		.amdhsa_ieee_mode 1
		.amdhsa_fp16_overflow 0
		.amdhsa_tg_split 0
		.amdhsa_exception_fp_ieee_invalid_op 0
		.amdhsa_exception_fp_denorm_src 0
		.amdhsa_exception_fp_ieee_div_zero 0
		.amdhsa_exception_fp_ieee_overflow 0
		.amdhsa_exception_fp_ieee_underflow 0
		.amdhsa_exception_fp_ieee_inexact 0
		.amdhsa_exception_int_div_zero 0
	.end_amdhsa_kernel
	.section	.text._ZN7rocprim17ROCPRIM_400000_NS6detail17trampoline_kernelINS0_14default_configENS1_20scan_config_selectorIfEEZZNS1_9scan_implILNS1_25lookback_scan_determinismE0ELb1ELb1ES3_N6thrust23THRUST_200600_302600_NS6detail15normal_iteratorINS9_10device_ptrIjEEEENSB_INSC_IiEEEEfNS9_4plusIvEEfEEDaPvRmT3_T4_T5_mT6_P12ihipStream_tbENKUlT_T0_E_clISt17integral_constantIbLb1EESV_IbLb0EEEEDaSR_SS_EUlSR_E_NS1_11comp_targetILNS1_3genE0ELNS1_11target_archE4294967295ELNS1_3gpuE0ELNS1_3repE0EEENS1_30default_config_static_selectorELNS0_4arch9wavefront6targetE1EEEvT1_,"axG",@progbits,_ZN7rocprim17ROCPRIM_400000_NS6detail17trampoline_kernelINS0_14default_configENS1_20scan_config_selectorIfEEZZNS1_9scan_implILNS1_25lookback_scan_determinismE0ELb1ELb1ES3_N6thrust23THRUST_200600_302600_NS6detail15normal_iteratorINS9_10device_ptrIjEEEENSB_INSC_IiEEEEfNS9_4plusIvEEfEEDaPvRmT3_T4_T5_mT6_P12ihipStream_tbENKUlT_T0_E_clISt17integral_constantIbLb1EESV_IbLb0EEEEDaSR_SS_EUlSR_E_NS1_11comp_targetILNS1_3genE0ELNS1_11target_archE4294967295ELNS1_3gpuE0ELNS1_3repE0EEENS1_30default_config_static_selectorELNS0_4arch9wavefront6targetE1EEEvT1_,comdat
.Lfunc_end6340:
	.size	_ZN7rocprim17ROCPRIM_400000_NS6detail17trampoline_kernelINS0_14default_configENS1_20scan_config_selectorIfEEZZNS1_9scan_implILNS1_25lookback_scan_determinismE0ELb1ELb1ES3_N6thrust23THRUST_200600_302600_NS6detail15normal_iteratorINS9_10device_ptrIjEEEENSB_INSC_IiEEEEfNS9_4plusIvEEfEEDaPvRmT3_T4_T5_mT6_P12ihipStream_tbENKUlT_T0_E_clISt17integral_constantIbLb1EESV_IbLb0EEEEDaSR_SS_EUlSR_E_NS1_11comp_targetILNS1_3genE0ELNS1_11target_archE4294967295ELNS1_3gpuE0ELNS1_3repE0EEENS1_30default_config_static_selectorELNS0_4arch9wavefront6targetE1EEEvT1_, .Lfunc_end6340-_ZN7rocprim17ROCPRIM_400000_NS6detail17trampoline_kernelINS0_14default_configENS1_20scan_config_selectorIfEEZZNS1_9scan_implILNS1_25lookback_scan_determinismE0ELb1ELb1ES3_N6thrust23THRUST_200600_302600_NS6detail15normal_iteratorINS9_10device_ptrIjEEEENSB_INSC_IiEEEEfNS9_4plusIvEEfEEDaPvRmT3_T4_T5_mT6_P12ihipStream_tbENKUlT_T0_E_clISt17integral_constantIbLb1EESV_IbLb0EEEEDaSR_SS_EUlSR_E_NS1_11comp_targetILNS1_3genE0ELNS1_11target_archE4294967295ELNS1_3gpuE0ELNS1_3repE0EEENS1_30default_config_static_selectorELNS0_4arch9wavefront6targetE1EEEvT1_
                                        ; -- End function
	.section	.AMDGPU.csdata,"",@progbits
; Kernel info:
; codeLenInByte = 0
; NumSgprs: 4
; NumVgprs: 0
; NumAgprs: 0
; TotalNumVgprs: 0
; ScratchSize: 0
; MemoryBound: 0
; FloatMode: 240
; IeeeMode: 1
; LDSByteSize: 0 bytes/workgroup (compile time only)
; SGPRBlocks: 0
; VGPRBlocks: 0
; NumSGPRsForWavesPerEU: 4
; NumVGPRsForWavesPerEU: 1
; AccumOffset: 4
; Occupancy: 8
; WaveLimiterHint : 0
; COMPUTE_PGM_RSRC2:SCRATCH_EN: 0
; COMPUTE_PGM_RSRC2:USER_SGPR: 6
; COMPUTE_PGM_RSRC2:TRAP_HANDLER: 0
; COMPUTE_PGM_RSRC2:TGID_X_EN: 1
; COMPUTE_PGM_RSRC2:TGID_Y_EN: 0
; COMPUTE_PGM_RSRC2:TGID_Z_EN: 0
; COMPUTE_PGM_RSRC2:TIDIG_COMP_CNT: 0
; COMPUTE_PGM_RSRC3_GFX90A:ACCUM_OFFSET: 0
; COMPUTE_PGM_RSRC3_GFX90A:TG_SPLIT: 0
	.section	.text._ZN7rocprim17ROCPRIM_400000_NS6detail17trampoline_kernelINS0_14default_configENS1_20scan_config_selectorIfEEZZNS1_9scan_implILNS1_25lookback_scan_determinismE0ELb1ELb1ES3_N6thrust23THRUST_200600_302600_NS6detail15normal_iteratorINS9_10device_ptrIjEEEENSB_INSC_IiEEEEfNS9_4plusIvEEfEEDaPvRmT3_T4_T5_mT6_P12ihipStream_tbENKUlT_T0_E_clISt17integral_constantIbLb1EESV_IbLb0EEEEDaSR_SS_EUlSR_E_NS1_11comp_targetILNS1_3genE5ELNS1_11target_archE942ELNS1_3gpuE9ELNS1_3repE0EEENS1_30default_config_static_selectorELNS0_4arch9wavefront6targetE1EEEvT1_,"axG",@progbits,_ZN7rocprim17ROCPRIM_400000_NS6detail17trampoline_kernelINS0_14default_configENS1_20scan_config_selectorIfEEZZNS1_9scan_implILNS1_25lookback_scan_determinismE0ELb1ELb1ES3_N6thrust23THRUST_200600_302600_NS6detail15normal_iteratorINS9_10device_ptrIjEEEENSB_INSC_IiEEEEfNS9_4plusIvEEfEEDaPvRmT3_T4_T5_mT6_P12ihipStream_tbENKUlT_T0_E_clISt17integral_constantIbLb1EESV_IbLb0EEEEDaSR_SS_EUlSR_E_NS1_11comp_targetILNS1_3genE5ELNS1_11target_archE942ELNS1_3gpuE9ELNS1_3repE0EEENS1_30default_config_static_selectorELNS0_4arch9wavefront6targetE1EEEvT1_,comdat
	.protected	_ZN7rocprim17ROCPRIM_400000_NS6detail17trampoline_kernelINS0_14default_configENS1_20scan_config_selectorIfEEZZNS1_9scan_implILNS1_25lookback_scan_determinismE0ELb1ELb1ES3_N6thrust23THRUST_200600_302600_NS6detail15normal_iteratorINS9_10device_ptrIjEEEENSB_INSC_IiEEEEfNS9_4plusIvEEfEEDaPvRmT3_T4_T5_mT6_P12ihipStream_tbENKUlT_T0_E_clISt17integral_constantIbLb1EESV_IbLb0EEEEDaSR_SS_EUlSR_E_NS1_11comp_targetILNS1_3genE5ELNS1_11target_archE942ELNS1_3gpuE9ELNS1_3repE0EEENS1_30default_config_static_selectorELNS0_4arch9wavefront6targetE1EEEvT1_ ; -- Begin function _ZN7rocprim17ROCPRIM_400000_NS6detail17trampoline_kernelINS0_14default_configENS1_20scan_config_selectorIfEEZZNS1_9scan_implILNS1_25lookback_scan_determinismE0ELb1ELb1ES3_N6thrust23THRUST_200600_302600_NS6detail15normal_iteratorINS9_10device_ptrIjEEEENSB_INSC_IiEEEEfNS9_4plusIvEEfEEDaPvRmT3_T4_T5_mT6_P12ihipStream_tbENKUlT_T0_E_clISt17integral_constantIbLb1EESV_IbLb0EEEEDaSR_SS_EUlSR_E_NS1_11comp_targetILNS1_3genE5ELNS1_11target_archE942ELNS1_3gpuE9ELNS1_3repE0EEENS1_30default_config_static_selectorELNS0_4arch9wavefront6targetE1EEEvT1_
	.globl	_ZN7rocprim17ROCPRIM_400000_NS6detail17trampoline_kernelINS0_14default_configENS1_20scan_config_selectorIfEEZZNS1_9scan_implILNS1_25lookback_scan_determinismE0ELb1ELb1ES3_N6thrust23THRUST_200600_302600_NS6detail15normal_iteratorINS9_10device_ptrIjEEEENSB_INSC_IiEEEEfNS9_4plusIvEEfEEDaPvRmT3_T4_T5_mT6_P12ihipStream_tbENKUlT_T0_E_clISt17integral_constantIbLb1EESV_IbLb0EEEEDaSR_SS_EUlSR_E_NS1_11comp_targetILNS1_3genE5ELNS1_11target_archE942ELNS1_3gpuE9ELNS1_3repE0EEENS1_30default_config_static_selectorELNS0_4arch9wavefront6targetE1EEEvT1_
	.p2align	8
	.type	_ZN7rocprim17ROCPRIM_400000_NS6detail17trampoline_kernelINS0_14default_configENS1_20scan_config_selectorIfEEZZNS1_9scan_implILNS1_25lookback_scan_determinismE0ELb1ELb1ES3_N6thrust23THRUST_200600_302600_NS6detail15normal_iteratorINS9_10device_ptrIjEEEENSB_INSC_IiEEEEfNS9_4plusIvEEfEEDaPvRmT3_T4_T5_mT6_P12ihipStream_tbENKUlT_T0_E_clISt17integral_constantIbLb1EESV_IbLb0EEEEDaSR_SS_EUlSR_E_NS1_11comp_targetILNS1_3genE5ELNS1_11target_archE942ELNS1_3gpuE9ELNS1_3repE0EEENS1_30default_config_static_selectorELNS0_4arch9wavefront6targetE1EEEvT1_,@function
_ZN7rocprim17ROCPRIM_400000_NS6detail17trampoline_kernelINS0_14default_configENS1_20scan_config_selectorIfEEZZNS1_9scan_implILNS1_25lookback_scan_determinismE0ELb1ELb1ES3_N6thrust23THRUST_200600_302600_NS6detail15normal_iteratorINS9_10device_ptrIjEEEENSB_INSC_IiEEEEfNS9_4plusIvEEfEEDaPvRmT3_T4_T5_mT6_P12ihipStream_tbENKUlT_T0_E_clISt17integral_constantIbLb1EESV_IbLb0EEEEDaSR_SS_EUlSR_E_NS1_11comp_targetILNS1_3genE5ELNS1_11target_archE942ELNS1_3gpuE9ELNS1_3repE0EEENS1_30default_config_static_selectorELNS0_4arch9wavefront6targetE1EEEvT1_: ; @_ZN7rocprim17ROCPRIM_400000_NS6detail17trampoline_kernelINS0_14default_configENS1_20scan_config_selectorIfEEZZNS1_9scan_implILNS1_25lookback_scan_determinismE0ELb1ELb1ES3_N6thrust23THRUST_200600_302600_NS6detail15normal_iteratorINS9_10device_ptrIjEEEENSB_INSC_IiEEEEfNS9_4plusIvEEfEEDaPvRmT3_T4_T5_mT6_P12ihipStream_tbENKUlT_T0_E_clISt17integral_constantIbLb1EESV_IbLb0EEEEDaSR_SS_EUlSR_E_NS1_11comp_targetILNS1_3genE5ELNS1_11target_archE942ELNS1_3gpuE9ELNS1_3repE0EEENS1_30default_config_static_selectorELNS0_4arch9wavefront6targetE1EEEvT1_
; %bb.0:
	.section	.rodata,"a",@progbits
	.p2align	6, 0x0
	.amdhsa_kernel _ZN7rocprim17ROCPRIM_400000_NS6detail17trampoline_kernelINS0_14default_configENS1_20scan_config_selectorIfEEZZNS1_9scan_implILNS1_25lookback_scan_determinismE0ELb1ELb1ES3_N6thrust23THRUST_200600_302600_NS6detail15normal_iteratorINS9_10device_ptrIjEEEENSB_INSC_IiEEEEfNS9_4plusIvEEfEEDaPvRmT3_T4_T5_mT6_P12ihipStream_tbENKUlT_T0_E_clISt17integral_constantIbLb1EESV_IbLb0EEEEDaSR_SS_EUlSR_E_NS1_11comp_targetILNS1_3genE5ELNS1_11target_archE942ELNS1_3gpuE9ELNS1_3repE0EEENS1_30default_config_static_selectorELNS0_4arch9wavefront6targetE1EEEvT1_
		.amdhsa_group_segment_fixed_size 0
		.amdhsa_private_segment_fixed_size 0
		.amdhsa_kernarg_size 96
		.amdhsa_user_sgpr_count 6
		.amdhsa_user_sgpr_private_segment_buffer 1
		.amdhsa_user_sgpr_dispatch_ptr 0
		.amdhsa_user_sgpr_queue_ptr 0
		.amdhsa_user_sgpr_kernarg_segment_ptr 1
		.amdhsa_user_sgpr_dispatch_id 0
		.amdhsa_user_sgpr_flat_scratch_init 0
		.amdhsa_user_sgpr_kernarg_preload_length 0
		.amdhsa_user_sgpr_kernarg_preload_offset 0
		.amdhsa_user_sgpr_private_segment_size 0
		.amdhsa_uses_dynamic_stack 0
		.amdhsa_system_sgpr_private_segment_wavefront_offset 0
		.amdhsa_system_sgpr_workgroup_id_x 1
		.amdhsa_system_sgpr_workgroup_id_y 0
		.amdhsa_system_sgpr_workgroup_id_z 0
		.amdhsa_system_sgpr_workgroup_info 0
		.amdhsa_system_vgpr_workitem_id 0
		.amdhsa_next_free_vgpr 1
		.amdhsa_next_free_sgpr 0
		.amdhsa_accum_offset 4
		.amdhsa_reserve_vcc 0
		.amdhsa_reserve_flat_scratch 0
		.amdhsa_float_round_mode_32 0
		.amdhsa_float_round_mode_16_64 0
		.amdhsa_float_denorm_mode_32 3
		.amdhsa_float_denorm_mode_16_64 3
		.amdhsa_dx10_clamp 1
		.amdhsa_ieee_mode 1
		.amdhsa_fp16_overflow 0
		.amdhsa_tg_split 0
		.amdhsa_exception_fp_ieee_invalid_op 0
		.amdhsa_exception_fp_denorm_src 0
		.amdhsa_exception_fp_ieee_div_zero 0
		.amdhsa_exception_fp_ieee_overflow 0
		.amdhsa_exception_fp_ieee_underflow 0
		.amdhsa_exception_fp_ieee_inexact 0
		.amdhsa_exception_int_div_zero 0
	.end_amdhsa_kernel
	.section	.text._ZN7rocprim17ROCPRIM_400000_NS6detail17trampoline_kernelINS0_14default_configENS1_20scan_config_selectorIfEEZZNS1_9scan_implILNS1_25lookback_scan_determinismE0ELb1ELb1ES3_N6thrust23THRUST_200600_302600_NS6detail15normal_iteratorINS9_10device_ptrIjEEEENSB_INSC_IiEEEEfNS9_4plusIvEEfEEDaPvRmT3_T4_T5_mT6_P12ihipStream_tbENKUlT_T0_E_clISt17integral_constantIbLb1EESV_IbLb0EEEEDaSR_SS_EUlSR_E_NS1_11comp_targetILNS1_3genE5ELNS1_11target_archE942ELNS1_3gpuE9ELNS1_3repE0EEENS1_30default_config_static_selectorELNS0_4arch9wavefront6targetE1EEEvT1_,"axG",@progbits,_ZN7rocprim17ROCPRIM_400000_NS6detail17trampoline_kernelINS0_14default_configENS1_20scan_config_selectorIfEEZZNS1_9scan_implILNS1_25lookback_scan_determinismE0ELb1ELb1ES3_N6thrust23THRUST_200600_302600_NS6detail15normal_iteratorINS9_10device_ptrIjEEEENSB_INSC_IiEEEEfNS9_4plusIvEEfEEDaPvRmT3_T4_T5_mT6_P12ihipStream_tbENKUlT_T0_E_clISt17integral_constantIbLb1EESV_IbLb0EEEEDaSR_SS_EUlSR_E_NS1_11comp_targetILNS1_3genE5ELNS1_11target_archE942ELNS1_3gpuE9ELNS1_3repE0EEENS1_30default_config_static_selectorELNS0_4arch9wavefront6targetE1EEEvT1_,comdat
.Lfunc_end6341:
	.size	_ZN7rocprim17ROCPRIM_400000_NS6detail17trampoline_kernelINS0_14default_configENS1_20scan_config_selectorIfEEZZNS1_9scan_implILNS1_25lookback_scan_determinismE0ELb1ELb1ES3_N6thrust23THRUST_200600_302600_NS6detail15normal_iteratorINS9_10device_ptrIjEEEENSB_INSC_IiEEEEfNS9_4plusIvEEfEEDaPvRmT3_T4_T5_mT6_P12ihipStream_tbENKUlT_T0_E_clISt17integral_constantIbLb1EESV_IbLb0EEEEDaSR_SS_EUlSR_E_NS1_11comp_targetILNS1_3genE5ELNS1_11target_archE942ELNS1_3gpuE9ELNS1_3repE0EEENS1_30default_config_static_selectorELNS0_4arch9wavefront6targetE1EEEvT1_, .Lfunc_end6341-_ZN7rocprim17ROCPRIM_400000_NS6detail17trampoline_kernelINS0_14default_configENS1_20scan_config_selectorIfEEZZNS1_9scan_implILNS1_25lookback_scan_determinismE0ELb1ELb1ES3_N6thrust23THRUST_200600_302600_NS6detail15normal_iteratorINS9_10device_ptrIjEEEENSB_INSC_IiEEEEfNS9_4plusIvEEfEEDaPvRmT3_T4_T5_mT6_P12ihipStream_tbENKUlT_T0_E_clISt17integral_constantIbLb1EESV_IbLb0EEEEDaSR_SS_EUlSR_E_NS1_11comp_targetILNS1_3genE5ELNS1_11target_archE942ELNS1_3gpuE9ELNS1_3repE0EEENS1_30default_config_static_selectorELNS0_4arch9wavefront6targetE1EEEvT1_
                                        ; -- End function
	.section	.AMDGPU.csdata,"",@progbits
; Kernel info:
; codeLenInByte = 0
; NumSgprs: 4
; NumVgprs: 0
; NumAgprs: 0
; TotalNumVgprs: 0
; ScratchSize: 0
; MemoryBound: 0
; FloatMode: 240
; IeeeMode: 1
; LDSByteSize: 0 bytes/workgroup (compile time only)
; SGPRBlocks: 0
; VGPRBlocks: 0
; NumSGPRsForWavesPerEU: 4
; NumVGPRsForWavesPerEU: 1
; AccumOffset: 4
; Occupancy: 8
; WaveLimiterHint : 0
; COMPUTE_PGM_RSRC2:SCRATCH_EN: 0
; COMPUTE_PGM_RSRC2:USER_SGPR: 6
; COMPUTE_PGM_RSRC2:TRAP_HANDLER: 0
; COMPUTE_PGM_RSRC2:TGID_X_EN: 1
; COMPUTE_PGM_RSRC2:TGID_Y_EN: 0
; COMPUTE_PGM_RSRC2:TGID_Z_EN: 0
; COMPUTE_PGM_RSRC2:TIDIG_COMP_CNT: 0
; COMPUTE_PGM_RSRC3_GFX90A:ACCUM_OFFSET: 0
; COMPUTE_PGM_RSRC3_GFX90A:TG_SPLIT: 0
	.section	.text._ZN7rocprim17ROCPRIM_400000_NS6detail17trampoline_kernelINS0_14default_configENS1_20scan_config_selectorIfEEZZNS1_9scan_implILNS1_25lookback_scan_determinismE0ELb1ELb1ES3_N6thrust23THRUST_200600_302600_NS6detail15normal_iteratorINS9_10device_ptrIjEEEENSB_INSC_IiEEEEfNS9_4plusIvEEfEEDaPvRmT3_T4_T5_mT6_P12ihipStream_tbENKUlT_T0_E_clISt17integral_constantIbLb1EESV_IbLb0EEEEDaSR_SS_EUlSR_E_NS1_11comp_targetILNS1_3genE4ELNS1_11target_archE910ELNS1_3gpuE8ELNS1_3repE0EEENS1_30default_config_static_selectorELNS0_4arch9wavefront6targetE1EEEvT1_,"axG",@progbits,_ZN7rocprim17ROCPRIM_400000_NS6detail17trampoline_kernelINS0_14default_configENS1_20scan_config_selectorIfEEZZNS1_9scan_implILNS1_25lookback_scan_determinismE0ELb1ELb1ES3_N6thrust23THRUST_200600_302600_NS6detail15normal_iteratorINS9_10device_ptrIjEEEENSB_INSC_IiEEEEfNS9_4plusIvEEfEEDaPvRmT3_T4_T5_mT6_P12ihipStream_tbENKUlT_T0_E_clISt17integral_constantIbLb1EESV_IbLb0EEEEDaSR_SS_EUlSR_E_NS1_11comp_targetILNS1_3genE4ELNS1_11target_archE910ELNS1_3gpuE8ELNS1_3repE0EEENS1_30default_config_static_selectorELNS0_4arch9wavefront6targetE1EEEvT1_,comdat
	.protected	_ZN7rocprim17ROCPRIM_400000_NS6detail17trampoline_kernelINS0_14default_configENS1_20scan_config_selectorIfEEZZNS1_9scan_implILNS1_25lookback_scan_determinismE0ELb1ELb1ES3_N6thrust23THRUST_200600_302600_NS6detail15normal_iteratorINS9_10device_ptrIjEEEENSB_INSC_IiEEEEfNS9_4plusIvEEfEEDaPvRmT3_T4_T5_mT6_P12ihipStream_tbENKUlT_T0_E_clISt17integral_constantIbLb1EESV_IbLb0EEEEDaSR_SS_EUlSR_E_NS1_11comp_targetILNS1_3genE4ELNS1_11target_archE910ELNS1_3gpuE8ELNS1_3repE0EEENS1_30default_config_static_selectorELNS0_4arch9wavefront6targetE1EEEvT1_ ; -- Begin function _ZN7rocprim17ROCPRIM_400000_NS6detail17trampoline_kernelINS0_14default_configENS1_20scan_config_selectorIfEEZZNS1_9scan_implILNS1_25lookback_scan_determinismE0ELb1ELb1ES3_N6thrust23THRUST_200600_302600_NS6detail15normal_iteratorINS9_10device_ptrIjEEEENSB_INSC_IiEEEEfNS9_4plusIvEEfEEDaPvRmT3_T4_T5_mT6_P12ihipStream_tbENKUlT_T0_E_clISt17integral_constantIbLb1EESV_IbLb0EEEEDaSR_SS_EUlSR_E_NS1_11comp_targetILNS1_3genE4ELNS1_11target_archE910ELNS1_3gpuE8ELNS1_3repE0EEENS1_30default_config_static_selectorELNS0_4arch9wavefront6targetE1EEEvT1_
	.globl	_ZN7rocprim17ROCPRIM_400000_NS6detail17trampoline_kernelINS0_14default_configENS1_20scan_config_selectorIfEEZZNS1_9scan_implILNS1_25lookback_scan_determinismE0ELb1ELb1ES3_N6thrust23THRUST_200600_302600_NS6detail15normal_iteratorINS9_10device_ptrIjEEEENSB_INSC_IiEEEEfNS9_4plusIvEEfEEDaPvRmT3_T4_T5_mT6_P12ihipStream_tbENKUlT_T0_E_clISt17integral_constantIbLb1EESV_IbLb0EEEEDaSR_SS_EUlSR_E_NS1_11comp_targetILNS1_3genE4ELNS1_11target_archE910ELNS1_3gpuE8ELNS1_3repE0EEENS1_30default_config_static_selectorELNS0_4arch9wavefront6targetE1EEEvT1_
	.p2align	8
	.type	_ZN7rocprim17ROCPRIM_400000_NS6detail17trampoline_kernelINS0_14default_configENS1_20scan_config_selectorIfEEZZNS1_9scan_implILNS1_25lookback_scan_determinismE0ELb1ELb1ES3_N6thrust23THRUST_200600_302600_NS6detail15normal_iteratorINS9_10device_ptrIjEEEENSB_INSC_IiEEEEfNS9_4plusIvEEfEEDaPvRmT3_T4_T5_mT6_P12ihipStream_tbENKUlT_T0_E_clISt17integral_constantIbLb1EESV_IbLb0EEEEDaSR_SS_EUlSR_E_NS1_11comp_targetILNS1_3genE4ELNS1_11target_archE910ELNS1_3gpuE8ELNS1_3repE0EEENS1_30default_config_static_selectorELNS0_4arch9wavefront6targetE1EEEvT1_,@function
_ZN7rocprim17ROCPRIM_400000_NS6detail17trampoline_kernelINS0_14default_configENS1_20scan_config_selectorIfEEZZNS1_9scan_implILNS1_25lookback_scan_determinismE0ELb1ELb1ES3_N6thrust23THRUST_200600_302600_NS6detail15normal_iteratorINS9_10device_ptrIjEEEENSB_INSC_IiEEEEfNS9_4plusIvEEfEEDaPvRmT3_T4_T5_mT6_P12ihipStream_tbENKUlT_T0_E_clISt17integral_constantIbLb1EESV_IbLb0EEEEDaSR_SS_EUlSR_E_NS1_11comp_targetILNS1_3genE4ELNS1_11target_archE910ELNS1_3gpuE8ELNS1_3repE0EEENS1_30default_config_static_selectorELNS0_4arch9wavefront6targetE1EEEvT1_: ; @_ZN7rocprim17ROCPRIM_400000_NS6detail17trampoline_kernelINS0_14default_configENS1_20scan_config_selectorIfEEZZNS1_9scan_implILNS1_25lookback_scan_determinismE0ELb1ELb1ES3_N6thrust23THRUST_200600_302600_NS6detail15normal_iteratorINS9_10device_ptrIjEEEENSB_INSC_IiEEEEfNS9_4plusIvEEfEEDaPvRmT3_T4_T5_mT6_P12ihipStream_tbENKUlT_T0_E_clISt17integral_constantIbLb1EESV_IbLb0EEEEDaSR_SS_EUlSR_E_NS1_11comp_targetILNS1_3genE4ELNS1_11target_archE910ELNS1_3gpuE8ELNS1_3repE0EEENS1_30default_config_static_selectorELNS0_4arch9wavefront6targetE1EEEvT1_
; %bb.0:
	s_load_dwordx8 s[12:19], s[4:5], 0x0
	s_load_dword s1, s[4:5], 0x30
	s_mul_i32 s0, s6, 0x700
	v_lshlrev_b32_e32 v32, 2, v0
	s_waitcnt lgkmcnt(0)
	s_lshl_b64 s[20:21], s[14:15], 2
	s_add_u32 s29, s12, s20
	s_addc_u32 s30, s13, s21
	s_add_i32 s2, s1, -1
	s_mul_i32 s3, s2, 0x700
	s_sub_u32 s7, s18, s3
	s_subb_u32 s28, s19, 0
	s_mov_b32 s1, 0
	s_cmp_lg_u32 s6, s2
	s_cselect_b64 s[18:19], -1, 0
	s_lshl_b64 s[22:23], s[0:1], 2
	s_add_u32 s2, s29, s22
	s_addc_u32 s3, s30, s23
	s_mov_b64 s[0:1], -1
	s_and_b64 vcc, exec, s[18:19]
	s_cbranch_vccz .LBB6342_2
; %bb.1:
	v_mov_b32_e32 v1, s3
	v_add_co_u32_e32 v2, vcc, s2, v32
	v_addc_co_u32_e32 v3, vcc, 0, v1, vcc
	s_movk_i32 s0, 0x1000
	flat_load_dword v1, v[2:3]
	flat_load_dword v4, v[2:3] offset:512
	flat_load_dword v5, v[2:3] offset:1024
	;; [unrolled: 1-line block ×7, first 2 shown]
	v_add_co_u32_e32 v2, vcc, s0, v2
	v_addc_co_u32_e32 v3, vcc, 0, v3, vcc
	flat_load_dword v11, v[2:3]
	flat_load_dword v12, v[2:3] offset:512
	flat_load_dword v13, v[2:3] offset:1024
	flat_load_dword v14, v[2:3] offset:1536
	flat_load_dword v15, v[2:3] offset:2048
	flat_load_dword v16, v[2:3] offset:2560
	s_mov_b64 s[0:1], 0
	s_waitcnt vmcnt(0) lgkmcnt(0)
	v_cvt_f32_u32_e32 v1, v1
	v_cvt_f32_u32_e32 v2, v4
	;; [unrolled: 1-line block ×14, first 2 shown]
	ds_write2st64_b32 v32, v1, v2 offset1:2
	ds_write2st64_b32 v32, v3, v4 offset0:4 offset1:6
	ds_write2st64_b32 v32, v5, v6 offset0:8 offset1:10
	ds_write2st64_b32 v32, v7, v8 offset0:12 offset1:14
	ds_write2st64_b32 v32, v9, v10 offset0:16 offset1:18
	ds_write2st64_b32 v32, v11, v12 offset0:20 offset1:22
	ds_write2st64_b32 v32, v13, v14 offset0:24 offset1:26
	s_waitcnt lgkmcnt(0)
	s_barrier
.LBB6342_2:
	s_load_dwordx2 s[24:25], s[4:5], 0x28
	s_andn2_b64 vcc, exec, s[0:1]
	v_cmp_gt_u32_e64 s[0:1], s7, v0
	s_cbranch_vccnz .LBB6342_32
; %bb.3:
	v_pk_mov_b32 v[2:3], s[2:3], s[2:3] op_sel:[0,1]
	flat_load_dword v1, v[2:3]
	s_waitcnt vmcnt(0) lgkmcnt(0)
	v_cvt_f32_u32_e32 v1, v1
	v_mov_b32_e32 v2, v1
	v_mov_b32_e32 v3, v1
	;; [unrolled: 1-line block ×12, first 2 shown]
	v_pk_mov_b32 v[16:17], v[14:15], v[14:15] op_sel:[0,1]
	v_pk_mov_b32 v[14:15], v[12:13], v[12:13] op_sel:[0,1]
	;; [unrolled: 1-line block ×8, first 2 shown]
	s_and_saveexec_b64 s[8:9], s[0:1]
	s_cbranch_execz .LBB6342_5
; %bb.4:
	v_mov_b32_e32 v3, s3
	v_add_co_u32_e32 v2, vcc, s2, v32
	v_addc_co_u32_e32 v3, vcc, 0, v3, vcc
	flat_load_dword v11, v[2:3]
	v_mov_b32_e32 v2, v1
	v_mov_b32_e32 v3, v1
	;; [unrolled: 1-line block ×11, first 2 shown]
	s_waitcnt vmcnt(0) lgkmcnt(0)
	v_cvt_f32_u32_e32 v18, v11
	v_mov_b32_e32 v11, v1
	v_pk_mov_b32 v[16:17], v[14:15], v[14:15] op_sel:[0,1]
	v_pk_mov_b32 v[14:15], v[12:13], v[12:13] op_sel:[0,1]
	;; [unrolled: 1-line block ×8, first 2 shown]
	v_mov_b32_e32 v1, v18
.LBB6342_5:
	s_or_b64 exec, exec, s[8:9]
	v_or_b32_e32 v2, 0x80, v0
	v_cmp_gt_u32_e32 vcc, s7, v2
	s_and_saveexec_b64 s[0:1], vcc
	s_cbranch_execz .LBB6342_7
; %bb.6:
	v_mov_b32_e32 v3, s3
	v_add_co_u32_e32 v2, vcc, s2, v32
	v_addc_co_u32_e32 v3, vcc, 0, v3, vcc
	flat_load_dword v2, v[2:3] offset:512
	s_waitcnt vmcnt(0) lgkmcnt(0)
	v_cvt_f32_u32_e32 v3, v2
.LBB6342_7:
	s_or_b64 exec, exec, s[0:1]
	v_or_b32_e32 v2, 0x100, v0
	v_cmp_gt_u32_e32 vcc, s7, v2
	s_and_saveexec_b64 s[0:1], vcc
	s_cbranch_execz .LBB6342_9
; %bb.8:
	v_mov_b32_e32 v2, s3
	v_add_co_u32_e32 v16, vcc, s2, v32
	v_addc_co_u32_e32 v17, vcc, 0, v2, vcc
	flat_load_dword v2, v[16:17] offset:1024
	s_waitcnt vmcnt(0) lgkmcnt(0)
	v_cvt_f32_u32_e32 v4, v2
.LBB6342_9:
	s_or_b64 exec, exec, s[0:1]
	v_or_b32_e32 v2, 0x180, v0
	v_cmp_gt_u32_e32 vcc, s7, v2
	s_and_saveexec_b64 s[0:1], vcc
	s_cbranch_execz .LBB6342_11
; %bb.10:
	v_mov_b32_e32 v2, s3
	v_add_co_u32_e32 v16, vcc, s2, v32
	v_addc_co_u32_e32 v17, vcc, 0, v2, vcc
	flat_load_dword v2, v[16:17] offset:1536
	s_waitcnt vmcnt(0) lgkmcnt(0)
	v_cvt_f32_u32_e32 v5, v2
.LBB6342_11:
	s_or_b64 exec, exec, s[0:1]
	v_or_b32_e32 v2, 0x200, v0
	v_cmp_gt_u32_e32 vcc, s7, v2
	s_and_saveexec_b64 s[0:1], vcc
	s_cbranch_execz .LBB6342_13
; %bb.12:
	v_mov_b32_e32 v2, s3
	v_add_co_u32_e32 v16, vcc, s2, v32
	v_addc_co_u32_e32 v17, vcc, 0, v2, vcc
	flat_load_dword v2, v[16:17] offset:2048
	s_waitcnt vmcnt(0) lgkmcnt(0)
	v_cvt_f32_u32_e32 v6, v2
.LBB6342_13:
	s_or_b64 exec, exec, s[0:1]
	v_or_b32_e32 v2, 0x280, v0
	v_cmp_gt_u32_e32 vcc, s7, v2
	s_and_saveexec_b64 s[0:1], vcc
	s_cbranch_execz .LBB6342_15
; %bb.14:
	v_mov_b32_e32 v2, s3
	v_add_co_u32_e32 v16, vcc, s2, v32
	v_addc_co_u32_e32 v17, vcc, 0, v2, vcc
	flat_load_dword v2, v[16:17] offset:2560
	s_waitcnt vmcnt(0) lgkmcnt(0)
	v_cvt_f32_u32_e32 v7, v2
.LBB6342_15:
	s_or_b64 exec, exec, s[0:1]
	v_or_b32_e32 v2, 0x300, v0
	v_cmp_gt_u32_e32 vcc, s7, v2
	s_and_saveexec_b64 s[0:1], vcc
	s_cbranch_execz .LBB6342_17
; %bb.16:
	v_mov_b32_e32 v2, s3
	v_add_co_u32_e32 v16, vcc, s2, v32
	v_addc_co_u32_e32 v17, vcc, 0, v2, vcc
	flat_load_dword v2, v[16:17] offset:3072
	s_waitcnt vmcnt(0) lgkmcnt(0)
	v_cvt_f32_u32_e32 v8, v2
.LBB6342_17:
	s_or_b64 exec, exec, s[0:1]
	v_or_b32_e32 v2, 0x380, v0
	v_cmp_gt_u32_e32 vcc, s7, v2
	s_and_saveexec_b64 s[0:1], vcc
	s_cbranch_execz .LBB6342_19
; %bb.18:
	v_mov_b32_e32 v2, s3
	v_add_co_u32_e32 v16, vcc, s2, v32
	v_addc_co_u32_e32 v17, vcc, 0, v2, vcc
	flat_load_dword v2, v[16:17] offset:3584
	s_waitcnt vmcnt(0) lgkmcnt(0)
	v_cvt_f32_u32_e32 v9, v2
.LBB6342_19:
	s_or_b64 exec, exec, s[0:1]
	v_or_b32_e32 v2, 0x400, v0
	v_cmp_gt_u32_e32 vcc, s7, v2
	s_and_saveexec_b64 s[0:1], vcc
	s_cbranch_execz .LBB6342_21
; %bb.20:
	v_lshlrev_b32_e32 v2, 2, v2
	v_mov_b32_e32 v10, s3
	v_add_co_u32_e32 v16, vcc, s2, v2
	v_addc_co_u32_e32 v17, vcc, 0, v10, vcc
	flat_load_dword v2, v[16:17]
	s_waitcnt vmcnt(0) lgkmcnt(0)
	v_cvt_f32_u32_e32 v10, v2
.LBB6342_21:
	s_or_b64 exec, exec, s[0:1]
	v_or_b32_e32 v2, 0x480, v0
	v_cmp_gt_u32_e32 vcc, s7, v2
	s_and_saveexec_b64 s[0:1], vcc
	s_cbranch_execz .LBB6342_23
; %bb.22:
	v_lshlrev_b32_e32 v2, 2, v2
	v_mov_b32_e32 v11, s3
	v_add_co_u32_e32 v16, vcc, s2, v2
	v_addc_co_u32_e32 v17, vcc, 0, v11, vcc
	flat_load_dword v2, v[16:17]
	s_waitcnt vmcnt(0) lgkmcnt(0)
	v_cvt_f32_u32_e32 v11, v2
.LBB6342_23:
	;; [unrolled: 14-line block ×6, first 2 shown]
	s_or_b64 exec, exec, s[0:1]
	ds_write2st64_b32 v32, v1, v3 offset1:2
	ds_write2st64_b32 v32, v4, v5 offset0:4 offset1:6
	ds_write2st64_b32 v32, v6, v7 offset0:8 offset1:10
	;; [unrolled: 1-line block ×6, first 2 shown]
	s_waitcnt lgkmcnt(0)
	s_barrier
.LBB6342_32:
	v_mul_u32_u24_e32 v33, 14, v0
	v_lshlrev_b32_e32 v34, 2, v33
	s_waitcnt lgkmcnt(0)
	ds_read2_b64 v[26:29], v34 offset1:1
	ds_read2_b64 v[22:25], v34 offset0:2 offset1:3
	ds_read2_b64 v[18:21], v34 offset0:4 offset1:5
	ds_read_b64 v[30:31], v34 offset:48
	s_cmp_lg_u32 s6, 0
	s_waitcnt lgkmcnt(3)
	v_add_f32_e32 v35, v26, v27
	v_lshrrev_b32_e32 v1, 5, v0
	v_cmp_gt_u32_e32 vcc, 64, v0
	s_waitcnt lgkmcnt(0)
	s_barrier
	s_cbranch_scc0 .LBB6342_61
; %bb.33:
	v_add_f32_e32 v2, v28, v35
	v_add_f32_e32 v2, v29, v2
	;; [unrolled: 1-line block ×12, first 2 shown]
	v_add_lshl_u32 v2, v1, v0, 2
	ds_write_b32 v2, v12
	s_waitcnt lgkmcnt(0)
	s_barrier
	s_and_saveexec_b64 s[10:11], vcc
	s_cbranch_execz .LBB6342_35
; %bb.34:
	v_lshlrev_b32_e32 v2, 1, v0
	v_lshrrev_b32_e32 v3, 4, v0
	v_add_lshl_u32 v4, v3, v2, 2
	ds_read2_b32 v[2:3], v4 offset1:1
	v_mbcnt_lo_u32_b32 v5, -1, 0
	v_mbcnt_hi_u32_b32 v5, -1, v5
	v_and_b32_e32 v6, 15, v5
	v_cmp_eq_u32_e64 s[0:1], 0, v6
	s_waitcnt lgkmcnt(0)
	v_add_f32_e32 v3, v2, v3
	v_cmp_lt_u32_e64 s[2:3], 3, v6
	v_cmp_lt_u32_e64 s[8:9], 31, v5
	v_mov_b32_dpp v7, v3 row_shr:1 row_mask:0xf bank_mask:0xf
	v_add_f32_e32 v7, v3, v7
	v_cndmask_b32_e64 v3, v7, v3, s[0:1]
	v_cmp_lt_u32_e64 s[0:1], 1, v6
	s_nop 0
	v_mov_b32_dpp v7, v3 row_shr:2 row_mask:0xf bank_mask:0xf
	v_add_f32_e32 v7, v3, v7
	v_cndmask_b32_e64 v7, v3, v7, s[0:1]
	; wave barrier
	s_nop 1
	v_mov_b32_dpp v8, v7 row_shr:4 row_mask:0xf bank_mask:0xf
	v_add_f32_e32 v8, v7, v8
	v_cndmask_b32_e64 v7, v7, v8, s[2:3]
	v_cmp_lt_u32_e64 s[2:3], 7, v6
	s_nop 0
	v_mov_b32_dpp v8, v7 row_shr:8 row_mask:0xf bank_mask:0xf
	v_add_f32_e32 v8, v7, v8
	v_cndmask_b32_e64 v6, v7, v8, s[2:3]
	v_and_b32_e32 v8, 16, v5
	v_cmp_eq_u32_e64 s[2:3], 0, v8
	v_mov_b32_dpp v7, v6 row_bcast:15 row_mask:0xf bank_mask:0xf
	v_add_f32_e32 v7, v6, v7
	v_cndmask_b32_e64 v6, v7, v6, s[2:3]
	v_cmp_lt_u32_e64 s[2:3], 15, v5
	s_or_b64 s[0:1], s[2:3], s[0:1]
	v_mov_b32_dpp v7, v6 row_bcast:31 row_mask:0xf bank_mask:0xf
	v_add_f32_e32 v7, v6, v7
	v_cndmask_b32_e64 v6, v6, v7, s[8:9]
	v_cndmask_b32_e64 v3, v3, v6, s[0:1]
	v_add_u32_e32 v6, -1, v5
	v_and_b32_e32 v7, 64, v5
	v_cmp_lt_i32_e64 s[0:1], v6, v7
	v_cndmask_b32_e64 v5, v6, v5, s[0:1]
	v_lshlrev_b32_e32 v5, 2, v5
	ds_bpermute_b32 v3, v5, v3
	v_cmp_eq_u32_e64 s[0:1], 0, v0
	s_waitcnt lgkmcnt(0)
	v_add_f32_e32 v2, v2, v3
	v_cndmask_b32_e64 v2, v2, v12, s[0:1]
	ds_write_b32 v4, v2
	; wave barrier
	ds_read_b32 v3, v4 offset:4
	s_waitcnt lgkmcnt(0)
	v_add_f32_e32 v2, v2, v3
	ds_write_b32 v4, v2 offset:4
.LBB6342_35:
	s_or_b64 exec, exec, s[10:11]
	v_cmp_eq_u32_e64 s[0:1], 0, v0
	v_cmp_ne_u32_e64 s[2:3], 0, v0
	s_waitcnt lgkmcnt(0)
	s_barrier
	s_and_saveexec_b64 s[8:9], s[2:3]
	s_cbranch_execz .LBB6342_37
; %bb.36:
	v_add_u32_e32 v2, -1, v0
	v_lshrrev_b32_e32 v3, 5, v2
	v_add_lshl_u32 v2, v3, v2, 2
	ds_read_b32 v12, v2
.LBB6342_37:
	s_or_b64 exec, exec, s[8:9]
	s_and_saveexec_b64 s[26:27], vcc
	s_cbranch_execz .LBB6342_60
; %bb.38:
	v_mov_b32_e32 v11, 0
	ds_read_b32 v2, v11 offset:520
	v_mbcnt_lo_u32_b32 v3, -1, 0
	v_mbcnt_hi_u32_b32 v5, -1, v3
	s_mov_b32 s11, 0
	v_cmp_eq_u32_e64 s[2:3], 0, v5
	s_and_saveexec_b64 s[8:9], s[2:3]
	s_cbranch_execz .LBB6342_40
; %bb.39:
	s_add_i32 s10, s6, 64
	s_lshl_b64 s[10:11], s[10:11], 3
	s_add_u32 s10, s24, s10
	v_mov_b32_e32 v3, 1
	s_addc_u32 s11, s25, s11
	s_waitcnt lgkmcnt(0)
	global_store_dwordx2 v11, v[2:3], s[10:11]
.LBB6342_40:
	s_or_b64 exec, exec, s[8:9]
	v_xad_u32 v4, v5, -1, s6
	v_add_u32_e32 v10, 64, v4
	v_lshlrev_b64 v[6:7], 3, v[10:11]
	v_mov_b32_e32 v3, s25
	v_add_co_u32_e32 v6, vcc, s24, v6
	v_addc_co_u32_e32 v7, vcc, v3, v7, vcc
	global_load_dwordx2 v[8:9], v[6:7], off glc
	s_waitcnt vmcnt(0)
	v_cmp_eq_u16_sdwa s[10:11], v9, v11 src0_sel:BYTE_0 src1_sel:DWORD
	s_and_saveexec_b64 s[8:9], s[10:11]
	s_cbranch_execz .LBB6342_46
; %bb.41:
	s_mov_b32 s12, 1
	s_mov_b64 s[10:11], 0
	v_mov_b32_e32 v3, 0
.LBB6342_42:                            ; =>This Loop Header: Depth=1
                                        ;     Child Loop BB6342_43 Depth 2
	s_max_u32 s13, s12, 1
.LBB6342_43:                            ;   Parent Loop BB6342_42 Depth=1
                                        ; =>  This Inner Loop Header: Depth=2
	s_add_i32 s13, s13, -1
	s_cmp_eq_u32 s13, 0
	s_sleep 1
	s_cbranch_scc0 .LBB6342_43
; %bb.44:                               ;   in Loop: Header=BB6342_42 Depth=1
	global_load_dwordx2 v[8:9], v[6:7], off glc
	s_cmp_lt_u32 s12, 32
	s_cselect_b64 s[14:15], -1, 0
	s_cmp_lg_u64 s[14:15], 0
	s_addc_u32 s12, s12, 0
	s_waitcnt vmcnt(0)
	v_cmp_ne_u16_sdwa s[14:15], v9, v3 src0_sel:BYTE_0 src1_sel:DWORD
	s_or_b64 s[10:11], s[14:15], s[10:11]
	s_andn2_b64 exec, exec, s[10:11]
	s_cbranch_execnz .LBB6342_42
; %bb.45:
	s_or_b64 exec, exec, s[10:11]
.LBB6342_46:
	s_or_b64 exec, exec, s[8:9]
	v_and_b32_e32 v13, 63, v5
	v_cmp_ne_u32_e32 vcc, 63, v13
	v_addc_co_u32_e32 v14, vcc, 0, v5, vcc
	v_mov_b32_e32 v3, 2
	v_lshlrev_b32_e32 v14, 2, v14
	v_cmp_eq_u16_sdwa s[8:9], v9, v3 src0_sel:BYTE_0 src1_sel:DWORD
	v_lshlrev_b64 v[6:7], v5, -1
	ds_bpermute_b32 v15, v14, v8
	v_and_b32_e32 v10, s9, v7
	v_or_b32_e32 v10, 0x80000000, v10
	v_and_b32_e32 v11, s8, v6
	v_ffbl_b32_e32 v10, v10
	v_add_u32_e32 v10, 32, v10
	v_ffbl_b32_e32 v11, v11
	v_cmp_gt_u32_e64 s[8:9], 62, v13
	v_min_u32_e32 v10, v11, v10
	s_waitcnt lgkmcnt(0)
	v_add_f32_e32 v11, v8, v15
	v_cndmask_b32_e64 v15, 0, 1, s[8:9]
	v_cmp_lt_u32_e32 vcc, v13, v10
	v_lshlrev_b32_e32 v15, 1, v15
	v_cndmask_b32_e32 v11, v8, v11, vcc
	v_add_lshl_u32 v15, v15, v5, 2
	ds_bpermute_b32 v17, v15, v11
	v_add_u32_e32 v16, 2, v13
	v_cmp_gt_u32_e64 s[8:9], v16, v10
	v_cmp_gt_u32_e64 s[10:11], 56, v13
	v_add_u32_e32 v36, 4, v13
	s_waitcnt lgkmcnt(0)
	v_add_f32_e32 v17, v11, v17
	v_cndmask_b32_e64 v11, v17, v11, s[8:9]
	v_cmp_gt_u32_e64 s[8:9], 60, v13
	v_cndmask_b32_e64 v17, 0, 1, s[8:9]
	v_lshlrev_b32_e32 v17, 2, v17
	v_add_lshl_u32 v17, v17, v5, 2
	ds_bpermute_b32 v37, v17, v11
	v_cmp_gt_u32_e64 s[8:9], v36, v10
	v_add_u32_e32 v38, 8, v13
	v_cmp_gt_u32_e64 s[12:13], 48, v13
	v_cmp_gt_u32_e64 s[14:15], 32, v13
	s_waitcnt lgkmcnt(0)
	v_add_f32_e32 v41, v11, v37
	v_cndmask_b32_e64 v37, 0, 1, s[10:11]
	v_lshlrev_b32_e32 v37, 3, v37
	v_cndmask_b32_e64 v39, v41, v11, s[8:9]
	v_add_lshl_u32 v37, v37, v5, 2
	ds_bpermute_b32 v40, v37, v39
	v_cmp_gt_u32_e64 s[10:11], v38, v10
	v_cndmask_b32_e32 v8, v8, v11, vcc
	v_cndmask_b32_e64 v8, v41, v8, s[8:9]
	s_waitcnt lgkmcnt(0)
	v_add_f32_e32 v44, v39, v40
	v_cndmask_b32_e64 v42, v44, v39, s[10:11]
	v_cndmask_b32_e64 v39, 0, 1, s[12:13]
	v_lshlrev_b32_e32 v39, 4, v39
	v_add_lshl_u32 v39, v39, v5, 2
	ds_bpermute_b32 v43, v39, v42
	v_add_u32_e32 v40, 16, v13
	v_cmp_gt_u32_e64 s[12:13], v40, v10
	v_cndmask_b32_e64 v8, v44, v8, s[10:11]
	s_waitcnt lgkmcnt(0)
	v_add_f32_e32 v45, v42, v43
	v_cndmask_b32_e64 v46, v45, v42, s[12:13]
	v_cndmask_b32_e64 v42, 0, 1, s[14:15]
	v_lshlrev_b32_e32 v42, 5, v42
	v_add_lshl_u32 v42, v42, v5, 2
	ds_bpermute_b32 v5, v42, v46
	v_add_u32_e32 v43, 32, v13
	v_cndmask_b32_e64 v8, v45, v8, s[12:13]
	v_cmp_gt_u32_e32 vcc, v43, v10
	s_waitcnt lgkmcnt(0)
	v_add_f32_e32 v5, v46, v5
	v_cndmask_b32_e32 v8, v5, v8, vcc
	v_mov_b32_e32 v5, 0
	s_branch .LBB6342_48
.LBB6342_47:                            ;   in Loop: Header=BB6342_48 Depth=1
	s_or_b64 exec, exec, s[8:9]
	v_cmp_eq_u16_sdwa s[8:9], v9, v3 src0_sel:BYTE_0 src1_sel:DWORD
	v_and_b32_e32 v10, s9, v7
	ds_bpermute_b32 v44, v14, v8
	v_or_b32_e32 v10, 0x80000000, v10
	v_and_b32_e32 v11, s8, v6
	v_ffbl_b32_e32 v10, v10
	v_add_u32_e32 v10, 32, v10
	v_ffbl_b32_e32 v11, v11
	v_min_u32_e32 v10, v11, v10
	s_waitcnt lgkmcnt(0)
	v_add_f32_e32 v11, v8, v44
	v_cmp_lt_u32_e32 vcc, v13, v10
	v_cndmask_b32_e32 v11, v8, v11, vcc
	ds_bpermute_b32 v44, v15, v11
	v_cmp_gt_u32_e64 s[8:9], v16, v10
	v_cmp_gt_u32_e64 s[10:11], v38, v10
	;; [unrolled: 1-line block ×3, first 2 shown]
	v_subrev_u32_e32 v4, 64, v4
	s_waitcnt lgkmcnt(0)
	v_add_f32_e32 v44, v11, v44
	v_cndmask_b32_e64 v11, v44, v11, s[8:9]
	ds_bpermute_b32 v44, v17, v11
	v_cmp_gt_u32_e64 s[8:9], v36, v10
	v_cndmask_b32_e32 v8, v8, v11, vcc
	v_cmp_gt_u32_e32 vcc, v43, v10
	s_waitcnt lgkmcnt(0)
	v_add_f32_e32 v44, v11, v44
	v_cndmask_b32_e64 v45, v44, v11, s[8:9]
	ds_bpermute_b32 v46, v37, v45
	v_cndmask_b32_e64 v8, v44, v8, s[8:9]
	s_waitcnt lgkmcnt(0)
	v_add_f32_e32 v46, v45, v46
	v_cndmask_b32_e64 v45, v46, v45, s[10:11]
	ds_bpermute_b32 v47, v39, v45
	v_cndmask_b32_e64 v8, v46, v8, s[10:11]
	;; [unrolled: 5-line block ×3, first 2 shown]
	s_waitcnt lgkmcnt(0)
	v_add_f32_e32 v11, v45, v48
	v_cndmask_b32_e32 v8, v11, v8, vcc
	v_add_f32_e32 v8, v41, v8
.LBB6342_48:                            ; =>This Loop Header: Depth=1
                                        ;     Child Loop BB6342_51 Depth 2
                                        ;       Child Loop BB6342_52 Depth 3
	v_cmp_ne_u16_sdwa s[8:9], v9, v3 src0_sel:BYTE_0 src1_sel:DWORD
	v_cndmask_b32_e64 v9, 0, 1, s[8:9]
	;;#ASMSTART
	;;#ASMEND
	v_cmp_ne_u32_e32 vcc, 0, v9
	s_cmp_lg_u64 vcc, exec
	v_mov_b32_e32 v41, v8
	s_cbranch_scc1 .LBB6342_55
; %bb.49:                               ;   in Loop: Header=BB6342_48 Depth=1
	v_lshlrev_b64 v[8:9], 3, v[4:5]
	v_mov_b32_e32 v11, s25
	v_add_co_u32_e32 v10, vcc, s24, v8
	v_addc_co_u32_e32 v11, vcc, v11, v9, vcc
	global_load_dwordx2 v[8:9], v[10:11], off glc
	s_waitcnt vmcnt(0)
	v_cmp_eq_u16_sdwa s[10:11], v9, v5 src0_sel:BYTE_0 src1_sel:DWORD
	s_and_saveexec_b64 s[8:9], s[10:11]
	s_cbranch_execz .LBB6342_47
; %bb.50:                               ;   in Loop: Header=BB6342_48 Depth=1
	s_mov_b32 s12, 1
	s_mov_b64 s[10:11], 0
.LBB6342_51:                            ;   Parent Loop BB6342_48 Depth=1
                                        ; =>  This Loop Header: Depth=2
                                        ;       Child Loop BB6342_52 Depth 3
	s_max_u32 s13, s12, 1
.LBB6342_52:                            ;   Parent Loop BB6342_48 Depth=1
                                        ;     Parent Loop BB6342_51 Depth=2
                                        ; =>    This Inner Loop Header: Depth=3
	s_add_i32 s13, s13, -1
	s_cmp_eq_u32 s13, 0
	s_sleep 1
	s_cbranch_scc0 .LBB6342_52
; %bb.53:                               ;   in Loop: Header=BB6342_51 Depth=2
	global_load_dwordx2 v[8:9], v[10:11], off glc
	s_cmp_lt_u32 s12, 32
	s_cselect_b64 s[14:15], -1, 0
	s_cmp_lg_u64 s[14:15], 0
	s_addc_u32 s12, s12, 0
	s_waitcnt vmcnt(0)
	v_cmp_ne_u16_sdwa s[14:15], v9, v5 src0_sel:BYTE_0 src1_sel:DWORD
	s_or_b64 s[10:11], s[14:15], s[10:11]
	s_andn2_b64 exec, exec, s[10:11]
	s_cbranch_execnz .LBB6342_51
; %bb.54:                               ;   in Loop: Header=BB6342_48 Depth=1
	s_or_b64 exec, exec, s[10:11]
	s_branch .LBB6342_47
.LBB6342_55:                            ;   in Loop: Header=BB6342_48 Depth=1
                                        ; implicit-def: $vgpr8
                                        ; implicit-def: $vgpr9
	s_cbranch_execz .LBB6342_48
; %bb.56:
	s_and_saveexec_b64 s[8:9], s[2:3]
	s_cbranch_execz .LBB6342_58
; %bb.57:
	s_add_i32 s2, s6, 64
	s_mov_b32 s3, 0
	s_lshl_b64 s[2:3], s[2:3], 3
	s_add_u32 s2, s24, s2
	v_add_f32_e32 v2, v2, v41
	v_mov_b32_e32 v3, 2
	s_addc_u32 s3, s25, s3
	v_mov_b32_e32 v4, 0
	global_store_dwordx2 v4, v[2:3], s[2:3]
.LBB6342_58:
	s_or_b64 exec, exec, s[8:9]
	s_and_b64 exec, exec, s[0:1]
	s_cbranch_execz .LBB6342_60
; %bb.59:
	v_mov_b32_e32 v2, 0
	ds_write_b32 v2, v41
.LBB6342_60:
	s_or_b64 exec, exec, s[26:27]
	v_mov_b32_e32 v2, 0
	s_waitcnt lgkmcnt(0)
	s_barrier
	ds_read_b32 v2, v2
	s_waitcnt lgkmcnt(0)
	v_add_f32_e32 v3, v12, v2
	v_cndmask_b32_e64 v2, v3, v2, s[0:1]
	v_add_f32_e32 v3, v26, v2
	v_add_f32_e32 v4, v27, v3
	;; [unrolled: 1-line block ×13, first 2 shown]
	s_load_dwordx8 s[8:15], s[4:5], 0x38
	s_branch .LBB6342_71
.LBB6342_61:
                                        ; implicit-def: $vgpr2_vgpr3_vgpr4_vgpr5_vgpr6_vgpr7_vgpr8_vgpr9_vgpr10_vgpr11_vgpr12_vgpr13_vgpr14_vgpr15_vgpr16_vgpr17
	s_load_dwordx8 s[8:15], s[4:5], 0x38
	s_cbranch_execz .LBB6342_71
; %bb.62:
	s_load_dword s0, s[4:5], 0x20
	s_waitcnt lgkmcnt(0)
	s_cmp_eq_u64 s[12:13], 0
	v_mov_b32_e32 v16, s0
	s_cbranch_scc1 .LBB6342_64
; %bb.63:
	v_mov_b32_e32 v3, s30
	v_add_co_u32_e64 v2, vcc, -4, s29
	v_addc_co_u32_e32 v3, vcc, -1, v3, vcc
	flat_load_dword v2, v[2:3]
	v_mov_b32_e32 v3, 0
	global_load_dword v3, v3, s[8:9]
	s_waitcnt vmcnt(0) lgkmcnt(0)
	v_cvt_f32_u32_e32 v2, v2
	v_add_f32_e32 v16, v3, v2
.LBB6342_64:
	v_add_f32_e32 v2, v28, v35
	v_add_f32_e32 v2, v29, v2
	;; [unrolled: 1-line block ×12, first 2 shown]
	v_add_lshl_u32 v1, v1, v0, 2
	v_cmp_gt_u32_e32 vcc, 64, v0
	ds_write_b32 v1, v2
	s_waitcnt lgkmcnt(0)
	s_barrier
	s_and_saveexec_b64 s[4:5], vcc
	s_cbranch_execz .LBB6342_66
; %bb.65:
	v_lshlrev_b32_e32 v1, 1, v0
	v_lshrrev_b32_e32 v3, 4, v0
	v_add_lshl_u32 v1, v3, v1, 2
	ds_read2_b32 v[4:5], v1 offset1:1
	v_mbcnt_lo_u32_b32 v3, -1, 0
	v_mbcnt_hi_u32_b32 v3, -1, v3
	v_and_b32_e32 v6, 15, v3
	v_cmp_eq_u32_e32 vcc, 0, v6
	s_waitcnt lgkmcnt(0)
	v_add_f32_e32 v5, v4, v5
	v_cmp_lt_u32_e64 s[0:1], 3, v6
	v_cmp_lt_u32_e64 s[2:3], 31, v3
	v_mov_b32_dpp v7, v5 row_shr:1 row_mask:0xf bank_mask:0xf
	v_add_f32_e32 v7, v5, v7
	v_cndmask_b32_e32 v5, v7, v5, vcc
	v_cmp_lt_u32_e32 vcc, 1, v6
	s_nop 0
	v_mov_b32_dpp v7, v5 row_shr:2 row_mask:0xf bank_mask:0xf
	v_add_f32_e32 v7, v5, v7
	v_cndmask_b32_e32 v7, v5, v7, vcc
	; wave barrier
	s_nop 1
	v_mov_b32_dpp v8, v7 row_shr:4 row_mask:0xf bank_mask:0xf
	v_add_f32_e32 v8, v7, v8
	v_cndmask_b32_e64 v7, v7, v8, s[0:1]
	v_cmp_lt_u32_e64 s[0:1], 7, v6
	s_nop 0
	v_mov_b32_dpp v8, v7 row_shr:8 row_mask:0xf bank_mask:0xf
	v_add_f32_e32 v8, v7, v8
	v_cndmask_b32_e64 v6, v7, v8, s[0:1]
	v_and_b32_e32 v8, 16, v3
	v_cmp_eq_u32_e64 s[0:1], 0, v8
	v_mov_b32_dpp v7, v6 row_bcast:15 row_mask:0xf bank_mask:0xf
	v_add_f32_e32 v7, v6, v7
	v_cndmask_b32_e64 v6, v7, v6, s[0:1]
	v_cmp_lt_u32_e64 s[0:1], 15, v3
	s_or_b64 vcc, s[0:1], vcc
	v_mov_b32_dpp v7, v6 row_bcast:31 row_mask:0xf bank_mask:0xf
	v_add_f32_e32 v7, v6, v7
	v_cndmask_b32_e64 v6, v6, v7, s[2:3]
	v_cndmask_b32_e32 v5, v5, v6, vcc
	v_add_u32_e32 v6, -1, v3
	v_and_b32_e32 v7, 64, v3
	v_cmp_lt_i32_e32 vcc, v6, v7
	v_cndmask_b32_e32 v3, v6, v3, vcc
	v_lshlrev_b32_e32 v3, 2, v3
	ds_bpermute_b32 v3, v3, v5
	v_cmp_eq_u32_e32 vcc, 0, v0
	s_waitcnt lgkmcnt(0)
	v_add_f32_e32 v3, v4, v3
	v_cndmask_b32_e32 v2, v3, v2, vcc
	ds_write_b32 v1, v2
	; wave barrier
	ds_read_b32 v3, v1 offset:4
	s_waitcnt lgkmcnt(0)
	v_add_f32_e32 v2, v2, v3
	ds_write_b32 v1, v2 offset:4
.LBB6342_66:
	s_or_b64 exec, exec, s[4:5]
	v_cmp_eq_u32_e32 vcc, 0, v0
	v_cmp_ne_u32_e64 s[0:1], 0, v0
	v_mov_b32_e32 v2, v16
	s_waitcnt lgkmcnt(0)
	s_barrier
	s_and_saveexec_b64 s[2:3], s[0:1]
	s_cbranch_execz .LBB6342_68
; %bb.67:
	v_add_u32_e32 v1, -1, v0
	v_lshrrev_b32_e32 v2, 5, v1
	v_add_lshl_u32 v1, v2, v1, 2
	ds_read_b32 v1, v1
	s_waitcnt lgkmcnt(0)
	v_add_f32_e32 v2, v16, v1
.LBB6342_68:
	s_or_b64 exec, exec, s[2:3]
	v_add_f32_e32 v3, v26, v2
	v_add_f32_e32 v4, v27, v3
	;; [unrolled: 1-line block ×13, first 2 shown]
	s_and_saveexec_b64 s[0:1], vcc
	s_cbranch_execz .LBB6342_70
; %bb.69:
	v_mov_b32_e32 v1, 0
	ds_read_b32 v17, v1 offset:520
	s_waitcnt lgkmcnt(0)
	v_add_f32_e32 v16, v16, v17
	v_mov_b32_e32 v17, 2
	global_store_dwordx2 v1, v[16:17], s[24:25] offset:512
.LBB6342_70:
	s_or_b64 exec, exec, s[0:1]
.LBB6342_71:
	s_add_u32 s0, s16, s20
	s_addc_u32 s1, s17, s21
	s_add_u32 s2, s0, s22
	s_addc_u32 s3, s1, s23
	s_mov_b64 s[0:1], -1
	s_and_b64 vcc, exec, s[18:19]
	s_waitcnt lgkmcnt(0)
	s_barrier
	s_cbranch_vccz .LBB6342_73
; %bb.72:
	v_mov_b32_e32 v1, s3
	v_add_co_u32_e32 v30, vcc, s2, v32
	ds_write2_b64 v34, v[2:3], v[4:5] offset1:1
	ds_write2_b64 v34, v[6:7], v[8:9] offset0:2 offset1:3
	ds_write2_b64 v34, v[10:11], v[12:13] offset0:4 offset1:5
	ds_write_b64 v34, v[14:15] offset:48
	s_waitcnt lgkmcnt(0)
	s_barrier
	ds_read2st64_b32 v[16:17], v32 offset1:2
	ds_read2st64_b32 v[18:19], v32 offset0:4 offset1:6
	ds_read2st64_b32 v[20:21], v32 offset0:8 offset1:10
	;; [unrolled: 1-line block ×6, first 2 shown]
	v_addc_co_u32_e32 v31, vcc, 0, v1, vcc
	s_waitcnt lgkmcnt(6)
	v_cvt_i32_f32_e32 v1, v16
	v_cvt_i32_f32_e32 v16, v17
	s_waitcnt lgkmcnt(5)
	v_cvt_i32_f32_e32 v17, v18
	v_cvt_i32_f32_e32 v18, v19
	flat_store_dword v[30:31], v1
	flat_store_dword v[30:31], v16 offset:512
	flat_store_dword v[30:31], v17 offset:1024
	;; [unrolled: 1-line block ×3, first 2 shown]
	s_waitcnt lgkmcnt(0)
	v_cvt_i32_f32_e32 v1, v20
	v_cvt_i32_f32_e32 v16, v21
	;; [unrolled: 1-line block ×4, first 2 shown]
	flat_store_dword v[30:31], v1 offset:2048
	flat_store_dword v[30:31], v16 offset:2560
	;; [unrolled: 1-line block ×4, first 2 shown]
	v_cvt_i32_f32_e32 v1, v24
	s_movk_i32 s0, 0x1000
	v_cvt_i32_f32_e32 v18, v25
	v_add_co_u32_e32 v16, vcc, s0, v30
	v_addc_co_u32_e32 v17, vcc, 0, v31, vcc
	flat_store_dword v[16:17], v1
	flat_store_dword v[16:17], v18 offset:512
	v_cvt_i32_f32_e32 v1, v26
	v_cvt_i32_f32_e32 v18, v27
	;; [unrolled: 1-line block ×4, first 2 shown]
	flat_store_dword v[16:17], v1 offset:1024
	flat_store_dword v[16:17], v18 offset:1536
	;; [unrolled: 1-line block ×4, first 2 shown]
	s_mov_b64 s[0:1], 0
.LBB6342_73:
	s_andn2_b64 vcc, exec, s[0:1]
	s_cbranch_vccnz .LBB6342_153
; %bb.74:
	s_movk_i32 s0, 0xffcc
	ds_write2_b64 v34, v[2:3], v[4:5] offset1:1
	ds_write2_b64 v34, v[6:7], v[8:9] offset0:2 offset1:3
	ds_write2_b64 v34, v[10:11], v[12:13] offset0:4 offset1:5
	ds_write_b64 v34, v[14:15] offset:48
	v_mad_i32_i24 v14, v0, s0, v34
	s_waitcnt lgkmcnt(0)
	s_barrier
	ds_read2st64_b32 v[4:5], v14 offset1:2
	ds_read2st64_b32 v[6:7], v14 offset0:4 offset1:6
	ds_read2st64_b32 v[8:9], v14 offset0:8 offset1:10
	;; [unrolled: 1-line block ×6, first 2 shown]
	v_mov_b32_e32 v17, s3
	v_add_co_u32_e32 v16, vcc, s2, v32
	v_addc_co_u32_e32 v17, vcc, 0, v17, vcc
	v_mov_b32_e32 v1, 0
	v_cmp_gt_u32_e32 vcc, s7, v0
	s_and_saveexec_b64 s[0:1], vcc
	s_cbranch_execz .LBB6342_76
; %bb.75:
	s_waitcnt lgkmcnt(0)
	v_cvt_i32_f32_e32 v18, v4
	flat_store_dword v[16:17], v18
.LBB6342_76:
	s_or_b64 exec, exec, s[0:1]
	v_or_b32_e32 v18, 0x80, v0
	v_cmp_gt_u32_e32 vcc, s7, v18
	s_and_saveexec_b64 s[0:1], vcc
	s_cbranch_execz .LBB6342_78
; %bb.77:
	s_waitcnt lgkmcnt(0)
	v_cvt_i32_f32_e32 v18, v5
	flat_store_dword v[16:17], v18 offset:512
.LBB6342_78:
	s_or_b64 exec, exec, s[0:1]
	v_or_b32_e32 v18, 0x100, v0
	v_cmp_gt_u32_e32 vcc, s7, v18
	s_and_saveexec_b64 s[0:1], vcc
	s_cbranch_execz .LBB6342_80
; %bb.79:
	s_waitcnt lgkmcnt(0)
	v_cvt_i32_f32_e32 v18, v6
	flat_store_dword v[16:17], v18 offset:1024
.LBB6342_80:
	;; [unrolled: 10-line block ×7, first 2 shown]
	s_or_b64 exec, exec, s[0:1]
	v_or_b32_e32 v18, 0x400, v0
	v_cmp_gt_u32_e32 vcc, s7, v18
	s_and_saveexec_b64 s[0:1], vcc
	s_cbranch_execz .LBB6342_92
; %bb.91:
	s_waitcnt lgkmcnt(0)
	v_cvt_i32_f32_e32 v20, v12
	v_add_co_u32_e32 v18, vcc, 0x1000, v16
	v_addc_co_u32_e32 v19, vcc, 0, v17, vcc
	flat_store_dword v[18:19], v20
.LBB6342_92:
	s_or_b64 exec, exec, s[0:1]
	v_or_b32_e32 v18, 0x480, v0
	v_cmp_gt_u32_e32 vcc, s7, v18
	s_and_saveexec_b64 s[0:1], vcc
	s_cbranch_execz .LBB6342_94
; %bb.93:
	s_waitcnt lgkmcnt(0)
	v_cvt_i32_f32_e32 v20, v13
	v_add_co_u32_e32 v18, vcc, 0x1000, v16
	v_addc_co_u32_e32 v19, vcc, 0, v17, vcc
	flat_store_dword v[18:19], v20 offset:512
.LBB6342_94:
	s_or_b64 exec, exec, s[0:1]
	v_or_b32_e32 v18, 0x500, v0
	v_cmp_gt_u32_e32 vcc, s7, v18
	s_and_saveexec_b64 s[0:1], vcc
	s_cbranch_execz .LBB6342_96
; %bb.95:
	s_waitcnt lgkmcnt(0)
	v_cvt_i32_f32_e32 v20, v10
	v_add_co_u32_e32 v18, vcc, 0x1000, v16
	v_addc_co_u32_e32 v19, vcc, 0, v17, vcc
	flat_store_dword v[18:19], v20 offset:1024
.LBB6342_96:
	;; [unrolled: 12-line block ×5, first 2 shown]
	s_or_b64 exec, exec, s[0:1]
	v_cmp_lt_u64_e64 s[0:1], s[14:15], 2
	s_and_b64 vcc, exec, s[0:1]
	s_cbranch_vccnz .LBB6342_153
; %bb.103:
	s_add_u32 s0, s7, -1
	s_addc_u32 s1, s28, -1
	s_add_u32 s2, 0, 0x49240800
	s_addc_u32 s3, 0, 50
	s_add_i32 s3, s3, 0x12492460
	s_mul_hi_u32 s7, s2, -14
	s_sub_i32 s7, s7, s2
	s_mul_i32 s8, s3, -14
	s_mul_i32 s4, s2, -14
	s_add_i32 s7, s7, s8
	s_mul_hi_u32 s5, s3, s4
	s_mul_i32 s6, s3, s4
	s_mul_i32 s9, s2, s7
	s_mul_hi_u32 s4, s2, s4
	s_mul_hi_u32 s8, s2, s7
	s_add_u32 s4, s4, s9
	s_addc_u32 s8, 0, s8
	s_add_u32 s4, s4, s6
	s_mul_hi_u32 s9, s3, s7
	s_addc_u32 s4, s8, s5
	s_addc_u32 s5, s9, 0
	s_mul_i32 s6, s3, s7
	s_add_u32 s4, s4, s6
	v_mov_b32_e32 v16, s4
	s_addc_u32 s5, 0, s5
	v_add_co_u32_e32 v16, vcc, s2, v16
	s_cmp_lg_u64 vcc, 0
	s_addc_u32 s2, s3, s5
	v_readfirstlane_b32 s5, v16
	s_mul_i32 s4, s0, s2
	s_mul_hi_u32 s6, s0, s5
	s_mul_hi_u32 s3, s0, s2
	s_add_u32 s4, s6, s4
	s_addc_u32 s3, 0, s3
	s_mul_hi_u32 s7, s1, s5
	s_mul_i32 s5, s1, s5
	s_add_u32 s4, s4, s5
	s_mul_hi_u32 s6, s1, s2
	s_addc_u32 s3, s3, s7
	s_addc_u32 s4, s6, 0
	s_mul_i32 s2, s1, s2
	s_add_u32 s2, s3, s2
	s_addc_u32 s3, 0, s4
	s_add_u32 s4, s2, 1
	s_addc_u32 s5, s3, 0
	s_add_u32 s6, s2, 2
	s_mul_i32 s8, s3, 14
	s_mul_hi_u32 s9, s2, 14
	s_addc_u32 s7, s3, 0
	s_add_i32 s9, s9, s8
	s_mul_i32 s8, s2, 14
	v_mov_b32_e32 v16, s8
	v_sub_co_u32_e32 v16, vcc, s0, v16
	s_cmp_lg_u64 vcc, 0
	s_subb_u32 s8, s1, s9
	v_subrev_co_u32_e32 v17, vcc, 14, v16
	s_cmp_lg_u64 vcc, 0
	s_subb_u32 s9, s8, 0
	v_readfirstlane_b32 s12, v17
	s_cmp_gt_u32 s12, 13
	s_cselect_b32 s12, -1, 0
	s_cmp_eq_u32 s9, 0
	s_cselect_b32 s9, s12, -1
	s_cmp_lg_u32 s9, 0
	s_cselect_b32 s4, s6, s4
	v_readfirstlane_b32 s6, v16
	s_cselect_b32 s5, s7, s5
	s_cmp_gt_u32 s6, 13
	s_cselect_b32 s6, -1, 0
	s_cmp_eq_u32 s8, 0
	s_cselect_b32 s6, s6, -1
	s_cmp_lg_u32 s6, 0
	s_cselect_b32 s3, s5, s3
	s_cselect_b32 s2, s4, s2
	v_cmp_eq_u64_e32 vcc, s[2:3], v[0:1]
	s_and_saveexec_b64 s[2:3], vcc
	s_cbranch_execz .LBB6342_153
; %bb.104:
	v_mul_hi_u32_u24_e32 v1, 14, v0
	v_mov_b32_e32 v16, s1
	v_sub_co_u32_e32 v0, vcc, s0, v33
	v_subb_co_u32_e32 v1, vcc, v16, v1, vcc
	v_cmp_lt_i64_e32 vcc, 6, v[0:1]
	s_and_saveexec_b64 s[0:1], vcc
	s_xor_b64 s[0:1], exec, s[0:1]
	s_cbranch_execz .LBB6342_130
; %bb.105:
	v_cmp_lt_i64_e32 vcc, 9, v[0:1]
	s_and_saveexec_b64 s[2:3], vcc
	s_xor_b64 s[2:3], exec, s[2:3]
	s_cbranch_execz .LBB6342_119
; %bb.106:
	;; [unrolled: 5-line block ×4, first 2 shown]
	v_mov_b32_e32 v0, 0
	s_waitcnt lgkmcnt(0)
	global_store_dword v0, v15, s[10:11]
                                        ; implicit-def: $vgpr14_vgpr15
.LBB6342_109:
	s_andn2_saveexec_b64 s[6:7], s[6:7]
	s_cbranch_execz .LBB6342_111
; %bb.110:
	v_mov_b32_e32 v0, 0
	s_waitcnt lgkmcnt(0)
	global_store_dword v0, v14, s[10:11]
.LBB6342_111:
	s_or_b64 exec, exec, s[6:7]
                                        ; implicit-def: $vgpr10_vgpr11
                                        ; implicit-def: $vgpr0_vgpr1
.LBB6342_112:
	s_andn2_saveexec_b64 s[4:5], s[4:5]
	s_cbranch_execz .LBB6342_118
; %bb.113:
	v_cmp_lt_i64_e32 vcc, 10, v[0:1]
	s_and_saveexec_b64 s[6:7], vcc
	s_xor_b64 s[6:7], exec, s[6:7]
	s_cbranch_execz .LBB6342_115
; %bb.114:
	v_mov_b32_e32 v0, 0
	s_waitcnt lgkmcnt(0)
	global_store_dword v0, v11, s[10:11]
                                        ; implicit-def: $vgpr10_vgpr11
.LBB6342_115:
	s_andn2_saveexec_b64 s[6:7], s[6:7]
	s_cbranch_execz .LBB6342_117
; %bb.116:
	v_mov_b32_e32 v0, 0
	s_waitcnt lgkmcnt(0)
	global_store_dword v0, v10, s[10:11]
.LBB6342_117:
	s_or_b64 exec, exec, s[6:7]
.LBB6342_118:
	s_or_b64 exec, exec, s[4:5]
                                        ; implicit-def: $vgpr2_vgpr3
                                        ; implicit-def: $vgpr0_vgpr1
                                        ; implicit-def: $vgpr12_vgpr13
.LBB6342_119:
	s_andn2_saveexec_b64 s[2:3], s[2:3]
	s_cbranch_execz .LBB6342_129
; %bb.120:
	v_cmp_lt_i64_e32 vcc, 7, v[0:1]
	s_and_saveexec_b64 s[4:5], vcc
	s_xor_b64 s[4:5], exec, s[4:5]
	s_cbranch_execz .LBB6342_126
; %bb.121:
	v_cmp_lt_i64_e32 vcc, 8, v[0:1]
	s_and_saveexec_b64 s[6:7], vcc
	s_xor_b64 s[6:7], exec, s[6:7]
	s_cbranch_execz .LBB6342_123
; %bb.122:
	v_mov_b32_e32 v0, 0
	s_waitcnt lgkmcnt(0)
	global_store_dword v0, v13, s[10:11]
                                        ; implicit-def: $vgpr12_vgpr13
.LBB6342_123:
	s_andn2_saveexec_b64 s[6:7], s[6:7]
	s_cbranch_execz .LBB6342_125
; %bb.124:
	v_mov_b32_e32 v0, 0
	s_waitcnt lgkmcnt(0)
	global_store_dword v0, v12, s[10:11]
.LBB6342_125:
	s_or_b64 exec, exec, s[6:7]
                                        ; implicit-def: $vgpr2_vgpr3
.LBB6342_126:
	s_andn2_saveexec_b64 s[4:5], s[4:5]
	s_cbranch_execz .LBB6342_128
; %bb.127:
	v_mov_b32_e32 v0, 0
	s_waitcnt lgkmcnt(0)
	global_store_dword v0, v3, s[10:11]
.LBB6342_128:
	s_or_b64 exec, exec, s[4:5]
.LBB6342_129:
	s_or_b64 exec, exec, s[2:3]
                                        ; implicit-def: $vgpr0_vgpr1
                                        ; implicit-def: $vgpr8_vgpr9
                                        ; implicit-def: $vgpr4_vgpr5
                                        ; implicit-def: $vgpr6_vgpr7
                                        ; implicit-def: $vgpr2_vgpr3
.LBB6342_130:
	s_andn2_saveexec_b64 s[0:1], s[0:1]
	s_cbranch_execz .LBB6342_153
; %bb.131:
	v_cmp_lt_i64_e32 vcc, 3, v[0:1]
	s_and_saveexec_b64 s[0:1], vcc
	s_xor_b64 s[0:1], exec, s[0:1]
	s_cbranch_execz .LBB6342_141
; %bb.132:
	v_cmp_lt_i64_e32 vcc, 4, v[0:1]
	s_and_saveexec_b64 s[2:3], vcc
	s_xor_b64 s[2:3], exec, s[2:3]
	;; [unrolled: 5-line block ×3, first 2 shown]
	s_cbranch_execz .LBB6342_135
; %bb.134:
	v_mov_b32_e32 v0, 0
	s_waitcnt lgkmcnt(0)
	global_store_dword v0, v2, s[10:11]
                                        ; implicit-def: $vgpr8_vgpr9
.LBB6342_135:
	s_andn2_saveexec_b64 s[4:5], s[4:5]
	s_cbranch_execz .LBB6342_137
; %bb.136:
	v_mov_b32_e32 v0, 0
	s_waitcnt lgkmcnt(0)
	global_store_dword v0, v9, s[10:11]
.LBB6342_137:
	s_or_b64 exec, exec, s[4:5]
                                        ; implicit-def: $vgpr8_vgpr9
.LBB6342_138:
	s_andn2_saveexec_b64 s[2:3], s[2:3]
	s_cbranch_execz .LBB6342_140
; %bb.139:
	v_mov_b32_e32 v0, 0
	s_waitcnt lgkmcnt(0)
	global_store_dword v0, v8, s[10:11]
.LBB6342_140:
	s_or_b64 exec, exec, s[2:3]
                                        ; implicit-def: $vgpr0_vgpr1
                                        ; implicit-def: $vgpr4_vgpr5
                                        ; implicit-def: $vgpr6_vgpr7
.LBB6342_141:
	s_andn2_saveexec_b64 s[0:1], s[0:1]
	s_cbranch_execz .LBB6342_153
; %bb.142:
	v_cmp_lt_i64_e32 vcc, 1, v[0:1]
	s_and_saveexec_b64 s[0:1], vcc
	s_xor_b64 s[0:1], exec, s[0:1]
	s_cbranch_execz .LBB6342_148
; %bb.143:
	v_cmp_lt_i64_e32 vcc, 2, v[0:1]
	s_and_saveexec_b64 s[2:3], vcc
	s_xor_b64 s[2:3], exec, s[2:3]
	s_cbranch_execz .LBB6342_145
; %bb.144:
	v_mov_b32_e32 v0, 0
	s_waitcnt lgkmcnt(0)
	global_store_dword v0, v7, s[10:11]
                                        ; implicit-def: $vgpr6_vgpr7
.LBB6342_145:
	s_andn2_saveexec_b64 s[2:3], s[2:3]
	s_cbranch_execz .LBB6342_147
; %bb.146:
	v_mov_b32_e32 v0, 0
	s_waitcnt lgkmcnt(0)
	global_store_dword v0, v6, s[10:11]
.LBB6342_147:
	s_or_b64 exec, exec, s[2:3]
                                        ; implicit-def: $vgpr4_vgpr5
                                        ; implicit-def: $vgpr0_vgpr1
.LBB6342_148:
	s_andn2_saveexec_b64 s[0:1], s[0:1]
	s_cbranch_execz .LBB6342_153
; %bb.149:
	v_cmp_ne_u64_e32 vcc, 1, v[0:1]
	s_and_saveexec_b64 s[0:1], vcc
	s_xor_b64 s[0:1], exec, s[0:1]
	s_cbranch_execz .LBB6342_151
; %bb.150:
	v_mov_b32_e32 v0, 0
	s_waitcnt lgkmcnt(0)
	global_store_dword v0, v4, s[10:11]
                                        ; implicit-def: $vgpr4_vgpr5
.LBB6342_151:
	s_andn2_saveexec_b64 s[0:1], s[0:1]
	s_cbranch_execz .LBB6342_153
; %bb.152:
	v_mov_b32_e32 v0, 0
	s_waitcnt lgkmcnt(0)
	global_store_dword v0, v5, s[10:11]
.LBB6342_153:
	s_endpgm
	.section	.rodata,"a",@progbits
	.p2align	6, 0x0
	.amdhsa_kernel _ZN7rocprim17ROCPRIM_400000_NS6detail17trampoline_kernelINS0_14default_configENS1_20scan_config_selectorIfEEZZNS1_9scan_implILNS1_25lookback_scan_determinismE0ELb1ELb1ES3_N6thrust23THRUST_200600_302600_NS6detail15normal_iteratorINS9_10device_ptrIjEEEENSB_INSC_IiEEEEfNS9_4plusIvEEfEEDaPvRmT3_T4_T5_mT6_P12ihipStream_tbENKUlT_T0_E_clISt17integral_constantIbLb1EESV_IbLb0EEEEDaSR_SS_EUlSR_E_NS1_11comp_targetILNS1_3genE4ELNS1_11target_archE910ELNS1_3gpuE8ELNS1_3repE0EEENS1_30default_config_static_selectorELNS0_4arch9wavefront6targetE1EEEvT1_
		.amdhsa_group_segment_fixed_size 7168
		.amdhsa_private_segment_fixed_size 0
		.amdhsa_kernarg_size 96
		.amdhsa_user_sgpr_count 6
		.amdhsa_user_sgpr_private_segment_buffer 1
		.amdhsa_user_sgpr_dispatch_ptr 0
		.amdhsa_user_sgpr_queue_ptr 0
		.amdhsa_user_sgpr_kernarg_segment_ptr 1
		.amdhsa_user_sgpr_dispatch_id 0
		.amdhsa_user_sgpr_flat_scratch_init 0
		.amdhsa_user_sgpr_kernarg_preload_length 0
		.amdhsa_user_sgpr_kernarg_preload_offset 0
		.amdhsa_user_sgpr_private_segment_size 0
		.amdhsa_uses_dynamic_stack 0
		.amdhsa_system_sgpr_private_segment_wavefront_offset 0
		.amdhsa_system_sgpr_workgroup_id_x 1
		.amdhsa_system_sgpr_workgroup_id_y 0
		.amdhsa_system_sgpr_workgroup_id_z 0
		.amdhsa_system_sgpr_workgroup_info 0
		.amdhsa_system_vgpr_workitem_id 0
		.amdhsa_next_free_vgpr 49
		.amdhsa_next_free_sgpr 31
		.amdhsa_accum_offset 52
		.amdhsa_reserve_vcc 1
		.amdhsa_reserve_flat_scratch 0
		.amdhsa_float_round_mode_32 0
		.amdhsa_float_round_mode_16_64 0
		.amdhsa_float_denorm_mode_32 3
		.amdhsa_float_denorm_mode_16_64 3
		.amdhsa_dx10_clamp 1
		.amdhsa_ieee_mode 1
		.amdhsa_fp16_overflow 0
		.amdhsa_tg_split 0
		.amdhsa_exception_fp_ieee_invalid_op 0
		.amdhsa_exception_fp_denorm_src 0
		.amdhsa_exception_fp_ieee_div_zero 0
		.amdhsa_exception_fp_ieee_overflow 0
		.amdhsa_exception_fp_ieee_underflow 0
		.amdhsa_exception_fp_ieee_inexact 0
		.amdhsa_exception_int_div_zero 0
	.end_amdhsa_kernel
	.section	.text._ZN7rocprim17ROCPRIM_400000_NS6detail17trampoline_kernelINS0_14default_configENS1_20scan_config_selectorIfEEZZNS1_9scan_implILNS1_25lookback_scan_determinismE0ELb1ELb1ES3_N6thrust23THRUST_200600_302600_NS6detail15normal_iteratorINS9_10device_ptrIjEEEENSB_INSC_IiEEEEfNS9_4plusIvEEfEEDaPvRmT3_T4_T5_mT6_P12ihipStream_tbENKUlT_T0_E_clISt17integral_constantIbLb1EESV_IbLb0EEEEDaSR_SS_EUlSR_E_NS1_11comp_targetILNS1_3genE4ELNS1_11target_archE910ELNS1_3gpuE8ELNS1_3repE0EEENS1_30default_config_static_selectorELNS0_4arch9wavefront6targetE1EEEvT1_,"axG",@progbits,_ZN7rocprim17ROCPRIM_400000_NS6detail17trampoline_kernelINS0_14default_configENS1_20scan_config_selectorIfEEZZNS1_9scan_implILNS1_25lookback_scan_determinismE0ELb1ELb1ES3_N6thrust23THRUST_200600_302600_NS6detail15normal_iteratorINS9_10device_ptrIjEEEENSB_INSC_IiEEEEfNS9_4plusIvEEfEEDaPvRmT3_T4_T5_mT6_P12ihipStream_tbENKUlT_T0_E_clISt17integral_constantIbLb1EESV_IbLb0EEEEDaSR_SS_EUlSR_E_NS1_11comp_targetILNS1_3genE4ELNS1_11target_archE910ELNS1_3gpuE8ELNS1_3repE0EEENS1_30default_config_static_selectorELNS0_4arch9wavefront6targetE1EEEvT1_,comdat
.Lfunc_end6342:
	.size	_ZN7rocprim17ROCPRIM_400000_NS6detail17trampoline_kernelINS0_14default_configENS1_20scan_config_selectorIfEEZZNS1_9scan_implILNS1_25lookback_scan_determinismE0ELb1ELb1ES3_N6thrust23THRUST_200600_302600_NS6detail15normal_iteratorINS9_10device_ptrIjEEEENSB_INSC_IiEEEEfNS9_4plusIvEEfEEDaPvRmT3_T4_T5_mT6_P12ihipStream_tbENKUlT_T0_E_clISt17integral_constantIbLb1EESV_IbLb0EEEEDaSR_SS_EUlSR_E_NS1_11comp_targetILNS1_3genE4ELNS1_11target_archE910ELNS1_3gpuE8ELNS1_3repE0EEENS1_30default_config_static_selectorELNS0_4arch9wavefront6targetE1EEEvT1_, .Lfunc_end6342-_ZN7rocprim17ROCPRIM_400000_NS6detail17trampoline_kernelINS0_14default_configENS1_20scan_config_selectorIfEEZZNS1_9scan_implILNS1_25lookback_scan_determinismE0ELb1ELb1ES3_N6thrust23THRUST_200600_302600_NS6detail15normal_iteratorINS9_10device_ptrIjEEEENSB_INSC_IiEEEEfNS9_4plusIvEEfEEDaPvRmT3_T4_T5_mT6_P12ihipStream_tbENKUlT_T0_E_clISt17integral_constantIbLb1EESV_IbLb0EEEEDaSR_SS_EUlSR_E_NS1_11comp_targetILNS1_3genE4ELNS1_11target_archE910ELNS1_3gpuE8ELNS1_3repE0EEENS1_30default_config_static_selectorELNS0_4arch9wavefront6targetE1EEEvT1_
                                        ; -- End function
	.section	.AMDGPU.csdata,"",@progbits
; Kernel info:
; codeLenInByte = 5960
; NumSgprs: 35
; NumVgprs: 49
; NumAgprs: 0
; TotalNumVgprs: 49
; ScratchSize: 0
; MemoryBound: 0
; FloatMode: 240
; IeeeMode: 1
; LDSByteSize: 7168 bytes/workgroup (compile time only)
; SGPRBlocks: 4
; VGPRBlocks: 6
; NumSGPRsForWavesPerEU: 35
; NumVGPRsForWavesPerEU: 49
; AccumOffset: 52
; Occupancy: 5
; WaveLimiterHint : 1
; COMPUTE_PGM_RSRC2:SCRATCH_EN: 0
; COMPUTE_PGM_RSRC2:USER_SGPR: 6
; COMPUTE_PGM_RSRC2:TRAP_HANDLER: 0
; COMPUTE_PGM_RSRC2:TGID_X_EN: 1
; COMPUTE_PGM_RSRC2:TGID_Y_EN: 0
; COMPUTE_PGM_RSRC2:TGID_Z_EN: 0
; COMPUTE_PGM_RSRC2:TIDIG_COMP_CNT: 0
; COMPUTE_PGM_RSRC3_GFX90A:ACCUM_OFFSET: 12
; COMPUTE_PGM_RSRC3_GFX90A:TG_SPLIT: 0
	.section	.text._ZN7rocprim17ROCPRIM_400000_NS6detail17trampoline_kernelINS0_14default_configENS1_20scan_config_selectorIfEEZZNS1_9scan_implILNS1_25lookback_scan_determinismE0ELb1ELb1ES3_N6thrust23THRUST_200600_302600_NS6detail15normal_iteratorINS9_10device_ptrIjEEEENSB_INSC_IiEEEEfNS9_4plusIvEEfEEDaPvRmT3_T4_T5_mT6_P12ihipStream_tbENKUlT_T0_E_clISt17integral_constantIbLb1EESV_IbLb0EEEEDaSR_SS_EUlSR_E_NS1_11comp_targetILNS1_3genE3ELNS1_11target_archE908ELNS1_3gpuE7ELNS1_3repE0EEENS1_30default_config_static_selectorELNS0_4arch9wavefront6targetE1EEEvT1_,"axG",@progbits,_ZN7rocprim17ROCPRIM_400000_NS6detail17trampoline_kernelINS0_14default_configENS1_20scan_config_selectorIfEEZZNS1_9scan_implILNS1_25lookback_scan_determinismE0ELb1ELb1ES3_N6thrust23THRUST_200600_302600_NS6detail15normal_iteratorINS9_10device_ptrIjEEEENSB_INSC_IiEEEEfNS9_4plusIvEEfEEDaPvRmT3_T4_T5_mT6_P12ihipStream_tbENKUlT_T0_E_clISt17integral_constantIbLb1EESV_IbLb0EEEEDaSR_SS_EUlSR_E_NS1_11comp_targetILNS1_3genE3ELNS1_11target_archE908ELNS1_3gpuE7ELNS1_3repE0EEENS1_30default_config_static_selectorELNS0_4arch9wavefront6targetE1EEEvT1_,comdat
	.protected	_ZN7rocprim17ROCPRIM_400000_NS6detail17trampoline_kernelINS0_14default_configENS1_20scan_config_selectorIfEEZZNS1_9scan_implILNS1_25lookback_scan_determinismE0ELb1ELb1ES3_N6thrust23THRUST_200600_302600_NS6detail15normal_iteratorINS9_10device_ptrIjEEEENSB_INSC_IiEEEEfNS9_4plusIvEEfEEDaPvRmT3_T4_T5_mT6_P12ihipStream_tbENKUlT_T0_E_clISt17integral_constantIbLb1EESV_IbLb0EEEEDaSR_SS_EUlSR_E_NS1_11comp_targetILNS1_3genE3ELNS1_11target_archE908ELNS1_3gpuE7ELNS1_3repE0EEENS1_30default_config_static_selectorELNS0_4arch9wavefront6targetE1EEEvT1_ ; -- Begin function _ZN7rocprim17ROCPRIM_400000_NS6detail17trampoline_kernelINS0_14default_configENS1_20scan_config_selectorIfEEZZNS1_9scan_implILNS1_25lookback_scan_determinismE0ELb1ELb1ES3_N6thrust23THRUST_200600_302600_NS6detail15normal_iteratorINS9_10device_ptrIjEEEENSB_INSC_IiEEEEfNS9_4plusIvEEfEEDaPvRmT3_T4_T5_mT6_P12ihipStream_tbENKUlT_T0_E_clISt17integral_constantIbLb1EESV_IbLb0EEEEDaSR_SS_EUlSR_E_NS1_11comp_targetILNS1_3genE3ELNS1_11target_archE908ELNS1_3gpuE7ELNS1_3repE0EEENS1_30default_config_static_selectorELNS0_4arch9wavefront6targetE1EEEvT1_
	.globl	_ZN7rocprim17ROCPRIM_400000_NS6detail17trampoline_kernelINS0_14default_configENS1_20scan_config_selectorIfEEZZNS1_9scan_implILNS1_25lookback_scan_determinismE0ELb1ELb1ES3_N6thrust23THRUST_200600_302600_NS6detail15normal_iteratorINS9_10device_ptrIjEEEENSB_INSC_IiEEEEfNS9_4plusIvEEfEEDaPvRmT3_T4_T5_mT6_P12ihipStream_tbENKUlT_T0_E_clISt17integral_constantIbLb1EESV_IbLb0EEEEDaSR_SS_EUlSR_E_NS1_11comp_targetILNS1_3genE3ELNS1_11target_archE908ELNS1_3gpuE7ELNS1_3repE0EEENS1_30default_config_static_selectorELNS0_4arch9wavefront6targetE1EEEvT1_
	.p2align	8
	.type	_ZN7rocprim17ROCPRIM_400000_NS6detail17trampoline_kernelINS0_14default_configENS1_20scan_config_selectorIfEEZZNS1_9scan_implILNS1_25lookback_scan_determinismE0ELb1ELb1ES3_N6thrust23THRUST_200600_302600_NS6detail15normal_iteratorINS9_10device_ptrIjEEEENSB_INSC_IiEEEEfNS9_4plusIvEEfEEDaPvRmT3_T4_T5_mT6_P12ihipStream_tbENKUlT_T0_E_clISt17integral_constantIbLb1EESV_IbLb0EEEEDaSR_SS_EUlSR_E_NS1_11comp_targetILNS1_3genE3ELNS1_11target_archE908ELNS1_3gpuE7ELNS1_3repE0EEENS1_30default_config_static_selectorELNS0_4arch9wavefront6targetE1EEEvT1_,@function
_ZN7rocprim17ROCPRIM_400000_NS6detail17trampoline_kernelINS0_14default_configENS1_20scan_config_selectorIfEEZZNS1_9scan_implILNS1_25lookback_scan_determinismE0ELb1ELb1ES3_N6thrust23THRUST_200600_302600_NS6detail15normal_iteratorINS9_10device_ptrIjEEEENSB_INSC_IiEEEEfNS9_4plusIvEEfEEDaPvRmT3_T4_T5_mT6_P12ihipStream_tbENKUlT_T0_E_clISt17integral_constantIbLb1EESV_IbLb0EEEEDaSR_SS_EUlSR_E_NS1_11comp_targetILNS1_3genE3ELNS1_11target_archE908ELNS1_3gpuE7ELNS1_3repE0EEENS1_30default_config_static_selectorELNS0_4arch9wavefront6targetE1EEEvT1_: ; @_ZN7rocprim17ROCPRIM_400000_NS6detail17trampoline_kernelINS0_14default_configENS1_20scan_config_selectorIfEEZZNS1_9scan_implILNS1_25lookback_scan_determinismE0ELb1ELb1ES3_N6thrust23THRUST_200600_302600_NS6detail15normal_iteratorINS9_10device_ptrIjEEEENSB_INSC_IiEEEEfNS9_4plusIvEEfEEDaPvRmT3_T4_T5_mT6_P12ihipStream_tbENKUlT_T0_E_clISt17integral_constantIbLb1EESV_IbLb0EEEEDaSR_SS_EUlSR_E_NS1_11comp_targetILNS1_3genE3ELNS1_11target_archE908ELNS1_3gpuE7ELNS1_3repE0EEENS1_30default_config_static_selectorELNS0_4arch9wavefront6targetE1EEEvT1_
; %bb.0:
	.section	.rodata,"a",@progbits
	.p2align	6, 0x0
	.amdhsa_kernel _ZN7rocprim17ROCPRIM_400000_NS6detail17trampoline_kernelINS0_14default_configENS1_20scan_config_selectorIfEEZZNS1_9scan_implILNS1_25lookback_scan_determinismE0ELb1ELb1ES3_N6thrust23THRUST_200600_302600_NS6detail15normal_iteratorINS9_10device_ptrIjEEEENSB_INSC_IiEEEEfNS9_4plusIvEEfEEDaPvRmT3_T4_T5_mT6_P12ihipStream_tbENKUlT_T0_E_clISt17integral_constantIbLb1EESV_IbLb0EEEEDaSR_SS_EUlSR_E_NS1_11comp_targetILNS1_3genE3ELNS1_11target_archE908ELNS1_3gpuE7ELNS1_3repE0EEENS1_30default_config_static_selectorELNS0_4arch9wavefront6targetE1EEEvT1_
		.amdhsa_group_segment_fixed_size 0
		.amdhsa_private_segment_fixed_size 0
		.amdhsa_kernarg_size 96
		.amdhsa_user_sgpr_count 6
		.amdhsa_user_sgpr_private_segment_buffer 1
		.amdhsa_user_sgpr_dispatch_ptr 0
		.amdhsa_user_sgpr_queue_ptr 0
		.amdhsa_user_sgpr_kernarg_segment_ptr 1
		.amdhsa_user_sgpr_dispatch_id 0
		.amdhsa_user_sgpr_flat_scratch_init 0
		.amdhsa_user_sgpr_kernarg_preload_length 0
		.amdhsa_user_sgpr_kernarg_preload_offset 0
		.amdhsa_user_sgpr_private_segment_size 0
		.amdhsa_uses_dynamic_stack 0
		.amdhsa_system_sgpr_private_segment_wavefront_offset 0
		.amdhsa_system_sgpr_workgroup_id_x 1
		.amdhsa_system_sgpr_workgroup_id_y 0
		.amdhsa_system_sgpr_workgroup_id_z 0
		.amdhsa_system_sgpr_workgroup_info 0
		.amdhsa_system_vgpr_workitem_id 0
		.amdhsa_next_free_vgpr 1
		.amdhsa_next_free_sgpr 0
		.amdhsa_accum_offset 4
		.amdhsa_reserve_vcc 0
		.amdhsa_reserve_flat_scratch 0
		.amdhsa_float_round_mode_32 0
		.amdhsa_float_round_mode_16_64 0
		.amdhsa_float_denorm_mode_32 3
		.amdhsa_float_denorm_mode_16_64 3
		.amdhsa_dx10_clamp 1
		.amdhsa_ieee_mode 1
		.amdhsa_fp16_overflow 0
		.amdhsa_tg_split 0
		.amdhsa_exception_fp_ieee_invalid_op 0
		.amdhsa_exception_fp_denorm_src 0
		.amdhsa_exception_fp_ieee_div_zero 0
		.amdhsa_exception_fp_ieee_overflow 0
		.amdhsa_exception_fp_ieee_underflow 0
		.amdhsa_exception_fp_ieee_inexact 0
		.amdhsa_exception_int_div_zero 0
	.end_amdhsa_kernel
	.section	.text._ZN7rocprim17ROCPRIM_400000_NS6detail17trampoline_kernelINS0_14default_configENS1_20scan_config_selectorIfEEZZNS1_9scan_implILNS1_25lookback_scan_determinismE0ELb1ELb1ES3_N6thrust23THRUST_200600_302600_NS6detail15normal_iteratorINS9_10device_ptrIjEEEENSB_INSC_IiEEEEfNS9_4plusIvEEfEEDaPvRmT3_T4_T5_mT6_P12ihipStream_tbENKUlT_T0_E_clISt17integral_constantIbLb1EESV_IbLb0EEEEDaSR_SS_EUlSR_E_NS1_11comp_targetILNS1_3genE3ELNS1_11target_archE908ELNS1_3gpuE7ELNS1_3repE0EEENS1_30default_config_static_selectorELNS0_4arch9wavefront6targetE1EEEvT1_,"axG",@progbits,_ZN7rocprim17ROCPRIM_400000_NS6detail17trampoline_kernelINS0_14default_configENS1_20scan_config_selectorIfEEZZNS1_9scan_implILNS1_25lookback_scan_determinismE0ELb1ELb1ES3_N6thrust23THRUST_200600_302600_NS6detail15normal_iteratorINS9_10device_ptrIjEEEENSB_INSC_IiEEEEfNS9_4plusIvEEfEEDaPvRmT3_T4_T5_mT6_P12ihipStream_tbENKUlT_T0_E_clISt17integral_constantIbLb1EESV_IbLb0EEEEDaSR_SS_EUlSR_E_NS1_11comp_targetILNS1_3genE3ELNS1_11target_archE908ELNS1_3gpuE7ELNS1_3repE0EEENS1_30default_config_static_selectorELNS0_4arch9wavefront6targetE1EEEvT1_,comdat
.Lfunc_end6343:
	.size	_ZN7rocprim17ROCPRIM_400000_NS6detail17trampoline_kernelINS0_14default_configENS1_20scan_config_selectorIfEEZZNS1_9scan_implILNS1_25lookback_scan_determinismE0ELb1ELb1ES3_N6thrust23THRUST_200600_302600_NS6detail15normal_iteratorINS9_10device_ptrIjEEEENSB_INSC_IiEEEEfNS9_4plusIvEEfEEDaPvRmT3_T4_T5_mT6_P12ihipStream_tbENKUlT_T0_E_clISt17integral_constantIbLb1EESV_IbLb0EEEEDaSR_SS_EUlSR_E_NS1_11comp_targetILNS1_3genE3ELNS1_11target_archE908ELNS1_3gpuE7ELNS1_3repE0EEENS1_30default_config_static_selectorELNS0_4arch9wavefront6targetE1EEEvT1_, .Lfunc_end6343-_ZN7rocprim17ROCPRIM_400000_NS6detail17trampoline_kernelINS0_14default_configENS1_20scan_config_selectorIfEEZZNS1_9scan_implILNS1_25lookback_scan_determinismE0ELb1ELb1ES3_N6thrust23THRUST_200600_302600_NS6detail15normal_iteratorINS9_10device_ptrIjEEEENSB_INSC_IiEEEEfNS9_4plusIvEEfEEDaPvRmT3_T4_T5_mT6_P12ihipStream_tbENKUlT_T0_E_clISt17integral_constantIbLb1EESV_IbLb0EEEEDaSR_SS_EUlSR_E_NS1_11comp_targetILNS1_3genE3ELNS1_11target_archE908ELNS1_3gpuE7ELNS1_3repE0EEENS1_30default_config_static_selectorELNS0_4arch9wavefront6targetE1EEEvT1_
                                        ; -- End function
	.section	.AMDGPU.csdata,"",@progbits
; Kernel info:
; codeLenInByte = 0
; NumSgprs: 4
; NumVgprs: 0
; NumAgprs: 0
; TotalNumVgprs: 0
; ScratchSize: 0
; MemoryBound: 0
; FloatMode: 240
; IeeeMode: 1
; LDSByteSize: 0 bytes/workgroup (compile time only)
; SGPRBlocks: 0
; VGPRBlocks: 0
; NumSGPRsForWavesPerEU: 4
; NumVGPRsForWavesPerEU: 1
; AccumOffset: 4
; Occupancy: 8
; WaveLimiterHint : 0
; COMPUTE_PGM_RSRC2:SCRATCH_EN: 0
; COMPUTE_PGM_RSRC2:USER_SGPR: 6
; COMPUTE_PGM_RSRC2:TRAP_HANDLER: 0
; COMPUTE_PGM_RSRC2:TGID_X_EN: 1
; COMPUTE_PGM_RSRC2:TGID_Y_EN: 0
; COMPUTE_PGM_RSRC2:TGID_Z_EN: 0
; COMPUTE_PGM_RSRC2:TIDIG_COMP_CNT: 0
; COMPUTE_PGM_RSRC3_GFX90A:ACCUM_OFFSET: 0
; COMPUTE_PGM_RSRC3_GFX90A:TG_SPLIT: 0
	.section	.text._ZN7rocprim17ROCPRIM_400000_NS6detail17trampoline_kernelINS0_14default_configENS1_20scan_config_selectorIfEEZZNS1_9scan_implILNS1_25lookback_scan_determinismE0ELb1ELb1ES3_N6thrust23THRUST_200600_302600_NS6detail15normal_iteratorINS9_10device_ptrIjEEEENSB_INSC_IiEEEEfNS9_4plusIvEEfEEDaPvRmT3_T4_T5_mT6_P12ihipStream_tbENKUlT_T0_E_clISt17integral_constantIbLb1EESV_IbLb0EEEEDaSR_SS_EUlSR_E_NS1_11comp_targetILNS1_3genE2ELNS1_11target_archE906ELNS1_3gpuE6ELNS1_3repE0EEENS1_30default_config_static_selectorELNS0_4arch9wavefront6targetE1EEEvT1_,"axG",@progbits,_ZN7rocprim17ROCPRIM_400000_NS6detail17trampoline_kernelINS0_14default_configENS1_20scan_config_selectorIfEEZZNS1_9scan_implILNS1_25lookback_scan_determinismE0ELb1ELb1ES3_N6thrust23THRUST_200600_302600_NS6detail15normal_iteratorINS9_10device_ptrIjEEEENSB_INSC_IiEEEEfNS9_4plusIvEEfEEDaPvRmT3_T4_T5_mT6_P12ihipStream_tbENKUlT_T0_E_clISt17integral_constantIbLb1EESV_IbLb0EEEEDaSR_SS_EUlSR_E_NS1_11comp_targetILNS1_3genE2ELNS1_11target_archE906ELNS1_3gpuE6ELNS1_3repE0EEENS1_30default_config_static_selectorELNS0_4arch9wavefront6targetE1EEEvT1_,comdat
	.protected	_ZN7rocprim17ROCPRIM_400000_NS6detail17trampoline_kernelINS0_14default_configENS1_20scan_config_selectorIfEEZZNS1_9scan_implILNS1_25lookback_scan_determinismE0ELb1ELb1ES3_N6thrust23THRUST_200600_302600_NS6detail15normal_iteratorINS9_10device_ptrIjEEEENSB_INSC_IiEEEEfNS9_4plusIvEEfEEDaPvRmT3_T4_T5_mT6_P12ihipStream_tbENKUlT_T0_E_clISt17integral_constantIbLb1EESV_IbLb0EEEEDaSR_SS_EUlSR_E_NS1_11comp_targetILNS1_3genE2ELNS1_11target_archE906ELNS1_3gpuE6ELNS1_3repE0EEENS1_30default_config_static_selectorELNS0_4arch9wavefront6targetE1EEEvT1_ ; -- Begin function _ZN7rocprim17ROCPRIM_400000_NS6detail17trampoline_kernelINS0_14default_configENS1_20scan_config_selectorIfEEZZNS1_9scan_implILNS1_25lookback_scan_determinismE0ELb1ELb1ES3_N6thrust23THRUST_200600_302600_NS6detail15normal_iteratorINS9_10device_ptrIjEEEENSB_INSC_IiEEEEfNS9_4plusIvEEfEEDaPvRmT3_T4_T5_mT6_P12ihipStream_tbENKUlT_T0_E_clISt17integral_constantIbLb1EESV_IbLb0EEEEDaSR_SS_EUlSR_E_NS1_11comp_targetILNS1_3genE2ELNS1_11target_archE906ELNS1_3gpuE6ELNS1_3repE0EEENS1_30default_config_static_selectorELNS0_4arch9wavefront6targetE1EEEvT1_
	.globl	_ZN7rocprim17ROCPRIM_400000_NS6detail17trampoline_kernelINS0_14default_configENS1_20scan_config_selectorIfEEZZNS1_9scan_implILNS1_25lookback_scan_determinismE0ELb1ELb1ES3_N6thrust23THRUST_200600_302600_NS6detail15normal_iteratorINS9_10device_ptrIjEEEENSB_INSC_IiEEEEfNS9_4plusIvEEfEEDaPvRmT3_T4_T5_mT6_P12ihipStream_tbENKUlT_T0_E_clISt17integral_constantIbLb1EESV_IbLb0EEEEDaSR_SS_EUlSR_E_NS1_11comp_targetILNS1_3genE2ELNS1_11target_archE906ELNS1_3gpuE6ELNS1_3repE0EEENS1_30default_config_static_selectorELNS0_4arch9wavefront6targetE1EEEvT1_
	.p2align	8
	.type	_ZN7rocprim17ROCPRIM_400000_NS6detail17trampoline_kernelINS0_14default_configENS1_20scan_config_selectorIfEEZZNS1_9scan_implILNS1_25lookback_scan_determinismE0ELb1ELb1ES3_N6thrust23THRUST_200600_302600_NS6detail15normal_iteratorINS9_10device_ptrIjEEEENSB_INSC_IiEEEEfNS9_4plusIvEEfEEDaPvRmT3_T4_T5_mT6_P12ihipStream_tbENKUlT_T0_E_clISt17integral_constantIbLb1EESV_IbLb0EEEEDaSR_SS_EUlSR_E_NS1_11comp_targetILNS1_3genE2ELNS1_11target_archE906ELNS1_3gpuE6ELNS1_3repE0EEENS1_30default_config_static_selectorELNS0_4arch9wavefront6targetE1EEEvT1_,@function
_ZN7rocprim17ROCPRIM_400000_NS6detail17trampoline_kernelINS0_14default_configENS1_20scan_config_selectorIfEEZZNS1_9scan_implILNS1_25lookback_scan_determinismE0ELb1ELb1ES3_N6thrust23THRUST_200600_302600_NS6detail15normal_iteratorINS9_10device_ptrIjEEEENSB_INSC_IiEEEEfNS9_4plusIvEEfEEDaPvRmT3_T4_T5_mT6_P12ihipStream_tbENKUlT_T0_E_clISt17integral_constantIbLb1EESV_IbLb0EEEEDaSR_SS_EUlSR_E_NS1_11comp_targetILNS1_3genE2ELNS1_11target_archE906ELNS1_3gpuE6ELNS1_3repE0EEENS1_30default_config_static_selectorELNS0_4arch9wavefront6targetE1EEEvT1_: ; @_ZN7rocprim17ROCPRIM_400000_NS6detail17trampoline_kernelINS0_14default_configENS1_20scan_config_selectorIfEEZZNS1_9scan_implILNS1_25lookback_scan_determinismE0ELb1ELb1ES3_N6thrust23THRUST_200600_302600_NS6detail15normal_iteratorINS9_10device_ptrIjEEEENSB_INSC_IiEEEEfNS9_4plusIvEEfEEDaPvRmT3_T4_T5_mT6_P12ihipStream_tbENKUlT_T0_E_clISt17integral_constantIbLb1EESV_IbLb0EEEEDaSR_SS_EUlSR_E_NS1_11comp_targetILNS1_3genE2ELNS1_11target_archE906ELNS1_3gpuE6ELNS1_3repE0EEENS1_30default_config_static_selectorELNS0_4arch9wavefront6targetE1EEEvT1_
; %bb.0:
	.section	.rodata,"a",@progbits
	.p2align	6, 0x0
	.amdhsa_kernel _ZN7rocprim17ROCPRIM_400000_NS6detail17trampoline_kernelINS0_14default_configENS1_20scan_config_selectorIfEEZZNS1_9scan_implILNS1_25lookback_scan_determinismE0ELb1ELb1ES3_N6thrust23THRUST_200600_302600_NS6detail15normal_iteratorINS9_10device_ptrIjEEEENSB_INSC_IiEEEEfNS9_4plusIvEEfEEDaPvRmT3_T4_T5_mT6_P12ihipStream_tbENKUlT_T0_E_clISt17integral_constantIbLb1EESV_IbLb0EEEEDaSR_SS_EUlSR_E_NS1_11comp_targetILNS1_3genE2ELNS1_11target_archE906ELNS1_3gpuE6ELNS1_3repE0EEENS1_30default_config_static_selectorELNS0_4arch9wavefront6targetE1EEEvT1_
		.amdhsa_group_segment_fixed_size 0
		.amdhsa_private_segment_fixed_size 0
		.amdhsa_kernarg_size 96
		.amdhsa_user_sgpr_count 6
		.amdhsa_user_sgpr_private_segment_buffer 1
		.amdhsa_user_sgpr_dispatch_ptr 0
		.amdhsa_user_sgpr_queue_ptr 0
		.amdhsa_user_sgpr_kernarg_segment_ptr 1
		.amdhsa_user_sgpr_dispatch_id 0
		.amdhsa_user_sgpr_flat_scratch_init 0
		.amdhsa_user_sgpr_kernarg_preload_length 0
		.amdhsa_user_sgpr_kernarg_preload_offset 0
		.amdhsa_user_sgpr_private_segment_size 0
		.amdhsa_uses_dynamic_stack 0
		.amdhsa_system_sgpr_private_segment_wavefront_offset 0
		.amdhsa_system_sgpr_workgroup_id_x 1
		.amdhsa_system_sgpr_workgroup_id_y 0
		.amdhsa_system_sgpr_workgroup_id_z 0
		.amdhsa_system_sgpr_workgroup_info 0
		.amdhsa_system_vgpr_workitem_id 0
		.amdhsa_next_free_vgpr 1
		.amdhsa_next_free_sgpr 0
		.amdhsa_accum_offset 4
		.amdhsa_reserve_vcc 0
		.amdhsa_reserve_flat_scratch 0
		.amdhsa_float_round_mode_32 0
		.amdhsa_float_round_mode_16_64 0
		.amdhsa_float_denorm_mode_32 3
		.amdhsa_float_denorm_mode_16_64 3
		.amdhsa_dx10_clamp 1
		.amdhsa_ieee_mode 1
		.amdhsa_fp16_overflow 0
		.amdhsa_tg_split 0
		.amdhsa_exception_fp_ieee_invalid_op 0
		.amdhsa_exception_fp_denorm_src 0
		.amdhsa_exception_fp_ieee_div_zero 0
		.amdhsa_exception_fp_ieee_overflow 0
		.amdhsa_exception_fp_ieee_underflow 0
		.amdhsa_exception_fp_ieee_inexact 0
		.amdhsa_exception_int_div_zero 0
	.end_amdhsa_kernel
	.section	.text._ZN7rocprim17ROCPRIM_400000_NS6detail17trampoline_kernelINS0_14default_configENS1_20scan_config_selectorIfEEZZNS1_9scan_implILNS1_25lookback_scan_determinismE0ELb1ELb1ES3_N6thrust23THRUST_200600_302600_NS6detail15normal_iteratorINS9_10device_ptrIjEEEENSB_INSC_IiEEEEfNS9_4plusIvEEfEEDaPvRmT3_T4_T5_mT6_P12ihipStream_tbENKUlT_T0_E_clISt17integral_constantIbLb1EESV_IbLb0EEEEDaSR_SS_EUlSR_E_NS1_11comp_targetILNS1_3genE2ELNS1_11target_archE906ELNS1_3gpuE6ELNS1_3repE0EEENS1_30default_config_static_selectorELNS0_4arch9wavefront6targetE1EEEvT1_,"axG",@progbits,_ZN7rocprim17ROCPRIM_400000_NS6detail17trampoline_kernelINS0_14default_configENS1_20scan_config_selectorIfEEZZNS1_9scan_implILNS1_25lookback_scan_determinismE0ELb1ELb1ES3_N6thrust23THRUST_200600_302600_NS6detail15normal_iteratorINS9_10device_ptrIjEEEENSB_INSC_IiEEEEfNS9_4plusIvEEfEEDaPvRmT3_T4_T5_mT6_P12ihipStream_tbENKUlT_T0_E_clISt17integral_constantIbLb1EESV_IbLb0EEEEDaSR_SS_EUlSR_E_NS1_11comp_targetILNS1_3genE2ELNS1_11target_archE906ELNS1_3gpuE6ELNS1_3repE0EEENS1_30default_config_static_selectorELNS0_4arch9wavefront6targetE1EEEvT1_,comdat
.Lfunc_end6344:
	.size	_ZN7rocprim17ROCPRIM_400000_NS6detail17trampoline_kernelINS0_14default_configENS1_20scan_config_selectorIfEEZZNS1_9scan_implILNS1_25lookback_scan_determinismE0ELb1ELb1ES3_N6thrust23THRUST_200600_302600_NS6detail15normal_iteratorINS9_10device_ptrIjEEEENSB_INSC_IiEEEEfNS9_4plusIvEEfEEDaPvRmT3_T4_T5_mT6_P12ihipStream_tbENKUlT_T0_E_clISt17integral_constantIbLb1EESV_IbLb0EEEEDaSR_SS_EUlSR_E_NS1_11comp_targetILNS1_3genE2ELNS1_11target_archE906ELNS1_3gpuE6ELNS1_3repE0EEENS1_30default_config_static_selectorELNS0_4arch9wavefront6targetE1EEEvT1_, .Lfunc_end6344-_ZN7rocprim17ROCPRIM_400000_NS6detail17trampoline_kernelINS0_14default_configENS1_20scan_config_selectorIfEEZZNS1_9scan_implILNS1_25lookback_scan_determinismE0ELb1ELb1ES3_N6thrust23THRUST_200600_302600_NS6detail15normal_iteratorINS9_10device_ptrIjEEEENSB_INSC_IiEEEEfNS9_4plusIvEEfEEDaPvRmT3_T4_T5_mT6_P12ihipStream_tbENKUlT_T0_E_clISt17integral_constantIbLb1EESV_IbLb0EEEEDaSR_SS_EUlSR_E_NS1_11comp_targetILNS1_3genE2ELNS1_11target_archE906ELNS1_3gpuE6ELNS1_3repE0EEENS1_30default_config_static_selectorELNS0_4arch9wavefront6targetE1EEEvT1_
                                        ; -- End function
	.section	.AMDGPU.csdata,"",@progbits
; Kernel info:
; codeLenInByte = 0
; NumSgprs: 4
; NumVgprs: 0
; NumAgprs: 0
; TotalNumVgprs: 0
; ScratchSize: 0
; MemoryBound: 0
; FloatMode: 240
; IeeeMode: 1
; LDSByteSize: 0 bytes/workgroup (compile time only)
; SGPRBlocks: 0
; VGPRBlocks: 0
; NumSGPRsForWavesPerEU: 4
; NumVGPRsForWavesPerEU: 1
; AccumOffset: 4
; Occupancy: 8
; WaveLimiterHint : 0
; COMPUTE_PGM_RSRC2:SCRATCH_EN: 0
; COMPUTE_PGM_RSRC2:USER_SGPR: 6
; COMPUTE_PGM_RSRC2:TRAP_HANDLER: 0
; COMPUTE_PGM_RSRC2:TGID_X_EN: 1
; COMPUTE_PGM_RSRC2:TGID_Y_EN: 0
; COMPUTE_PGM_RSRC2:TGID_Z_EN: 0
; COMPUTE_PGM_RSRC2:TIDIG_COMP_CNT: 0
; COMPUTE_PGM_RSRC3_GFX90A:ACCUM_OFFSET: 0
; COMPUTE_PGM_RSRC3_GFX90A:TG_SPLIT: 0
	.section	.text._ZN7rocprim17ROCPRIM_400000_NS6detail17trampoline_kernelINS0_14default_configENS1_20scan_config_selectorIfEEZZNS1_9scan_implILNS1_25lookback_scan_determinismE0ELb1ELb1ES3_N6thrust23THRUST_200600_302600_NS6detail15normal_iteratorINS9_10device_ptrIjEEEENSB_INSC_IiEEEEfNS9_4plusIvEEfEEDaPvRmT3_T4_T5_mT6_P12ihipStream_tbENKUlT_T0_E_clISt17integral_constantIbLb1EESV_IbLb0EEEEDaSR_SS_EUlSR_E_NS1_11comp_targetILNS1_3genE10ELNS1_11target_archE1201ELNS1_3gpuE5ELNS1_3repE0EEENS1_30default_config_static_selectorELNS0_4arch9wavefront6targetE1EEEvT1_,"axG",@progbits,_ZN7rocprim17ROCPRIM_400000_NS6detail17trampoline_kernelINS0_14default_configENS1_20scan_config_selectorIfEEZZNS1_9scan_implILNS1_25lookback_scan_determinismE0ELb1ELb1ES3_N6thrust23THRUST_200600_302600_NS6detail15normal_iteratorINS9_10device_ptrIjEEEENSB_INSC_IiEEEEfNS9_4plusIvEEfEEDaPvRmT3_T4_T5_mT6_P12ihipStream_tbENKUlT_T0_E_clISt17integral_constantIbLb1EESV_IbLb0EEEEDaSR_SS_EUlSR_E_NS1_11comp_targetILNS1_3genE10ELNS1_11target_archE1201ELNS1_3gpuE5ELNS1_3repE0EEENS1_30default_config_static_selectorELNS0_4arch9wavefront6targetE1EEEvT1_,comdat
	.protected	_ZN7rocprim17ROCPRIM_400000_NS6detail17trampoline_kernelINS0_14default_configENS1_20scan_config_selectorIfEEZZNS1_9scan_implILNS1_25lookback_scan_determinismE0ELb1ELb1ES3_N6thrust23THRUST_200600_302600_NS6detail15normal_iteratorINS9_10device_ptrIjEEEENSB_INSC_IiEEEEfNS9_4plusIvEEfEEDaPvRmT3_T4_T5_mT6_P12ihipStream_tbENKUlT_T0_E_clISt17integral_constantIbLb1EESV_IbLb0EEEEDaSR_SS_EUlSR_E_NS1_11comp_targetILNS1_3genE10ELNS1_11target_archE1201ELNS1_3gpuE5ELNS1_3repE0EEENS1_30default_config_static_selectorELNS0_4arch9wavefront6targetE1EEEvT1_ ; -- Begin function _ZN7rocprim17ROCPRIM_400000_NS6detail17trampoline_kernelINS0_14default_configENS1_20scan_config_selectorIfEEZZNS1_9scan_implILNS1_25lookback_scan_determinismE0ELb1ELb1ES3_N6thrust23THRUST_200600_302600_NS6detail15normal_iteratorINS9_10device_ptrIjEEEENSB_INSC_IiEEEEfNS9_4plusIvEEfEEDaPvRmT3_T4_T5_mT6_P12ihipStream_tbENKUlT_T0_E_clISt17integral_constantIbLb1EESV_IbLb0EEEEDaSR_SS_EUlSR_E_NS1_11comp_targetILNS1_3genE10ELNS1_11target_archE1201ELNS1_3gpuE5ELNS1_3repE0EEENS1_30default_config_static_selectorELNS0_4arch9wavefront6targetE1EEEvT1_
	.globl	_ZN7rocprim17ROCPRIM_400000_NS6detail17trampoline_kernelINS0_14default_configENS1_20scan_config_selectorIfEEZZNS1_9scan_implILNS1_25lookback_scan_determinismE0ELb1ELb1ES3_N6thrust23THRUST_200600_302600_NS6detail15normal_iteratorINS9_10device_ptrIjEEEENSB_INSC_IiEEEEfNS9_4plusIvEEfEEDaPvRmT3_T4_T5_mT6_P12ihipStream_tbENKUlT_T0_E_clISt17integral_constantIbLb1EESV_IbLb0EEEEDaSR_SS_EUlSR_E_NS1_11comp_targetILNS1_3genE10ELNS1_11target_archE1201ELNS1_3gpuE5ELNS1_3repE0EEENS1_30default_config_static_selectorELNS0_4arch9wavefront6targetE1EEEvT1_
	.p2align	8
	.type	_ZN7rocprim17ROCPRIM_400000_NS6detail17trampoline_kernelINS0_14default_configENS1_20scan_config_selectorIfEEZZNS1_9scan_implILNS1_25lookback_scan_determinismE0ELb1ELb1ES3_N6thrust23THRUST_200600_302600_NS6detail15normal_iteratorINS9_10device_ptrIjEEEENSB_INSC_IiEEEEfNS9_4plusIvEEfEEDaPvRmT3_T4_T5_mT6_P12ihipStream_tbENKUlT_T0_E_clISt17integral_constantIbLb1EESV_IbLb0EEEEDaSR_SS_EUlSR_E_NS1_11comp_targetILNS1_3genE10ELNS1_11target_archE1201ELNS1_3gpuE5ELNS1_3repE0EEENS1_30default_config_static_selectorELNS0_4arch9wavefront6targetE1EEEvT1_,@function
_ZN7rocprim17ROCPRIM_400000_NS6detail17trampoline_kernelINS0_14default_configENS1_20scan_config_selectorIfEEZZNS1_9scan_implILNS1_25lookback_scan_determinismE0ELb1ELb1ES3_N6thrust23THRUST_200600_302600_NS6detail15normal_iteratorINS9_10device_ptrIjEEEENSB_INSC_IiEEEEfNS9_4plusIvEEfEEDaPvRmT3_T4_T5_mT6_P12ihipStream_tbENKUlT_T0_E_clISt17integral_constantIbLb1EESV_IbLb0EEEEDaSR_SS_EUlSR_E_NS1_11comp_targetILNS1_3genE10ELNS1_11target_archE1201ELNS1_3gpuE5ELNS1_3repE0EEENS1_30default_config_static_selectorELNS0_4arch9wavefront6targetE1EEEvT1_: ; @_ZN7rocprim17ROCPRIM_400000_NS6detail17trampoline_kernelINS0_14default_configENS1_20scan_config_selectorIfEEZZNS1_9scan_implILNS1_25lookback_scan_determinismE0ELb1ELb1ES3_N6thrust23THRUST_200600_302600_NS6detail15normal_iteratorINS9_10device_ptrIjEEEENSB_INSC_IiEEEEfNS9_4plusIvEEfEEDaPvRmT3_T4_T5_mT6_P12ihipStream_tbENKUlT_T0_E_clISt17integral_constantIbLb1EESV_IbLb0EEEEDaSR_SS_EUlSR_E_NS1_11comp_targetILNS1_3genE10ELNS1_11target_archE1201ELNS1_3gpuE5ELNS1_3repE0EEENS1_30default_config_static_selectorELNS0_4arch9wavefront6targetE1EEEvT1_
; %bb.0:
	.section	.rodata,"a",@progbits
	.p2align	6, 0x0
	.amdhsa_kernel _ZN7rocprim17ROCPRIM_400000_NS6detail17trampoline_kernelINS0_14default_configENS1_20scan_config_selectorIfEEZZNS1_9scan_implILNS1_25lookback_scan_determinismE0ELb1ELb1ES3_N6thrust23THRUST_200600_302600_NS6detail15normal_iteratorINS9_10device_ptrIjEEEENSB_INSC_IiEEEEfNS9_4plusIvEEfEEDaPvRmT3_T4_T5_mT6_P12ihipStream_tbENKUlT_T0_E_clISt17integral_constantIbLb1EESV_IbLb0EEEEDaSR_SS_EUlSR_E_NS1_11comp_targetILNS1_3genE10ELNS1_11target_archE1201ELNS1_3gpuE5ELNS1_3repE0EEENS1_30default_config_static_selectorELNS0_4arch9wavefront6targetE1EEEvT1_
		.amdhsa_group_segment_fixed_size 0
		.amdhsa_private_segment_fixed_size 0
		.amdhsa_kernarg_size 96
		.amdhsa_user_sgpr_count 6
		.amdhsa_user_sgpr_private_segment_buffer 1
		.amdhsa_user_sgpr_dispatch_ptr 0
		.amdhsa_user_sgpr_queue_ptr 0
		.amdhsa_user_sgpr_kernarg_segment_ptr 1
		.amdhsa_user_sgpr_dispatch_id 0
		.amdhsa_user_sgpr_flat_scratch_init 0
		.amdhsa_user_sgpr_kernarg_preload_length 0
		.amdhsa_user_sgpr_kernarg_preload_offset 0
		.amdhsa_user_sgpr_private_segment_size 0
		.amdhsa_uses_dynamic_stack 0
		.amdhsa_system_sgpr_private_segment_wavefront_offset 0
		.amdhsa_system_sgpr_workgroup_id_x 1
		.amdhsa_system_sgpr_workgroup_id_y 0
		.amdhsa_system_sgpr_workgroup_id_z 0
		.amdhsa_system_sgpr_workgroup_info 0
		.amdhsa_system_vgpr_workitem_id 0
		.amdhsa_next_free_vgpr 1
		.amdhsa_next_free_sgpr 0
		.amdhsa_accum_offset 4
		.amdhsa_reserve_vcc 0
		.amdhsa_reserve_flat_scratch 0
		.amdhsa_float_round_mode_32 0
		.amdhsa_float_round_mode_16_64 0
		.amdhsa_float_denorm_mode_32 3
		.amdhsa_float_denorm_mode_16_64 3
		.amdhsa_dx10_clamp 1
		.amdhsa_ieee_mode 1
		.amdhsa_fp16_overflow 0
		.amdhsa_tg_split 0
		.amdhsa_exception_fp_ieee_invalid_op 0
		.amdhsa_exception_fp_denorm_src 0
		.amdhsa_exception_fp_ieee_div_zero 0
		.amdhsa_exception_fp_ieee_overflow 0
		.amdhsa_exception_fp_ieee_underflow 0
		.amdhsa_exception_fp_ieee_inexact 0
		.amdhsa_exception_int_div_zero 0
	.end_amdhsa_kernel
	.section	.text._ZN7rocprim17ROCPRIM_400000_NS6detail17trampoline_kernelINS0_14default_configENS1_20scan_config_selectorIfEEZZNS1_9scan_implILNS1_25lookback_scan_determinismE0ELb1ELb1ES3_N6thrust23THRUST_200600_302600_NS6detail15normal_iteratorINS9_10device_ptrIjEEEENSB_INSC_IiEEEEfNS9_4plusIvEEfEEDaPvRmT3_T4_T5_mT6_P12ihipStream_tbENKUlT_T0_E_clISt17integral_constantIbLb1EESV_IbLb0EEEEDaSR_SS_EUlSR_E_NS1_11comp_targetILNS1_3genE10ELNS1_11target_archE1201ELNS1_3gpuE5ELNS1_3repE0EEENS1_30default_config_static_selectorELNS0_4arch9wavefront6targetE1EEEvT1_,"axG",@progbits,_ZN7rocprim17ROCPRIM_400000_NS6detail17trampoline_kernelINS0_14default_configENS1_20scan_config_selectorIfEEZZNS1_9scan_implILNS1_25lookback_scan_determinismE0ELb1ELb1ES3_N6thrust23THRUST_200600_302600_NS6detail15normal_iteratorINS9_10device_ptrIjEEEENSB_INSC_IiEEEEfNS9_4plusIvEEfEEDaPvRmT3_T4_T5_mT6_P12ihipStream_tbENKUlT_T0_E_clISt17integral_constantIbLb1EESV_IbLb0EEEEDaSR_SS_EUlSR_E_NS1_11comp_targetILNS1_3genE10ELNS1_11target_archE1201ELNS1_3gpuE5ELNS1_3repE0EEENS1_30default_config_static_selectorELNS0_4arch9wavefront6targetE1EEEvT1_,comdat
.Lfunc_end6345:
	.size	_ZN7rocprim17ROCPRIM_400000_NS6detail17trampoline_kernelINS0_14default_configENS1_20scan_config_selectorIfEEZZNS1_9scan_implILNS1_25lookback_scan_determinismE0ELb1ELb1ES3_N6thrust23THRUST_200600_302600_NS6detail15normal_iteratorINS9_10device_ptrIjEEEENSB_INSC_IiEEEEfNS9_4plusIvEEfEEDaPvRmT3_T4_T5_mT6_P12ihipStream_tbENKUlT_T0_E_clISt17integral_constantIbLb1EESV_IbLb0EEEEDaSR_SS_EUlSR_E_NS1_11comp_targetILNS1_3genE10ELNS1_11target_archE1201ELNS1_3gpuE5ELNS1_3repE0EEENS1_30default_config_static_selectorELNS0_4arch9wavefront6targetE1EEEvT1_, .Lfunc_end6345-_ZN7rocprim17ROCPRIM_400000_NS6detail17trampoline_kernelINS0_14default_configENS1_20scan_config_selectorIfEEZZNS1_9scan_implILNS1_25lookback_scan_determinismE0ELb1ELb1ES3_N6thrust23THRUST_200600_302600_NS6detail15normal_iteratorINS9_10device_ptrIjEEEENSB_INSC_IiEEEEfNS9_4plusIvEEfEEDaPvRmT3_T4_T5_mT6_P12ihipStream_tbENKUlT_T0_E_clISt17integral_constantIbLb1EESV_IbLb0EEEEDaSR_SS_EUlSR_E_NS1_11comp_targetILNS1_3genE10ELNS1_11target_archE1201ELNS1_3gpuE5ELNS1_3repE0EEENS1_30default_config_static_selectorELNS0_4arch9wavefront6targetE1EEEvT1_
                                        ; -- End function
	.section	.AMDGPU.csdata,"",@progbits
; Kernel info:
; codeLenInByte = 0
; NumSgprs: 4
; NumVgprs: 0
; NumAgprs: 0
; TotalNumVgprs: 0
; ScratchSize: 0
; MemoryBound: 0
; FloatMode: 240
; IeeeMode: 1
; LDSByteSize: 0 bytes/workgroup (compile time only)
; SGPRBlocks: 0
; VGPRBlocks: 0
; NumSGPRsForWavesPerEU: 4
; NumVGPRsForWavesPerEU: 1
; AccumOffset: 4
; Occupancy: 8
; WaveLimiterHint : 0
; COMPUTE_PGM_RSRC2:SCRATCH_EN: 0
; COMPUTE_PGM_RSRC2:USER_SGPR: 6
; COMPUTE_PGM_RSRC2:TRAP_HANDLER: 0
; COMPUTE_PGM_RSRC2:TGID_X_EN: 1
; COMPUTE_PGM_RSRC2:TGID_Y_EN: 0
; COMPUTE_PGM_RSRC2:TGID_Z_EN: 0
; COMPUTE_PGM_RSRC2:TIDIG_COMP_CNT: 0
; COMPUTE_PGM_RSRC3_GFX90A:ACCUM_OFFSET: 0
; COMPUTE_PGM_RSRC3_GFX90A:TG_SPLIT: 0
	.section	.text._ZN7rocprim17ROCPRIM_400000_NS6detail17trampoline_kernelINS0_14default_configENS1_20scan_config_selectorIfEEZZNS1_9scan_implILNS1_25lookback_scan_determinismE0ELb1ELb1ES3_N6thrust23THRUST_200600_302600_NS6detail15normal_iteratorINS9_10device_ptrIjEEEENSB_INSC_IiEEEEfNS9_4plusIvEEfEEDaPvRmT3_T4_T5_mT6_P12ihipStream_tbENKUlT_T0_E_clISt17integral_constantIbLb1EESV_IbLb0EEEEDaSR_SS_EUlSR_E_NS1_11comp_targetILNS1_3genE10ELNS1_11target_archE1200ELNS1_3gpuE4ELNS1_3repE0EEENS1_30default_config_static_selectorELNS0_4arch9wavefront6targetE1EEEvT1_,"axG",@progbits,_ZN7rocprim17ROCPRIM_400000_NS6detail17trampoline_kernelINS0_14default_configENS1_20scan_config_selectorIfEEZZNS1_9scan_implILNS1_25lookback_scan_determinismE0ELb1ELb1ES3_N6thrust23THRUST_200600_302600_NS6detail15normal_iteratorINS9_10device_ptrIjEEEENSB_INSC_IiEEEEfNS9_4plusIvEEfEEDaPvRmT3_T4_T5_mT6_P12ihipStream_tbENKUlT_T0_E_clISt17integral_constantIbLb1EESV_IbLb0EEEEDaSR_SS_EUlSR_E_NS1_11comp_targetILNS1_3genE10ELNS1_11target_archE1200ELNS1_3gpuE4ELNS1_3repE0EEENS1_30default_config_static_selectorELNS0_4arch9wavefront6targetE1EEEvT1_,comdat
	.protected	_ZN7rocprim17ROCPRIM_400000_NS6detail17trampoline_kernelINS0_14default_configENS1_20scan_config_selectorIfEEZZNS1_9scan_implILNS1_25lookback_scan_determinismE0ELb1ELb1ES3_N6thrust23THRUST_200600_302600_NS6detail15normal_iteratorINS9_10device_ptrIjEEEENSB_INSC_IiEEEEfNS9_4plusIvEEfEEDaPvRmT3_T4_T5_mT6_P12ihipStream_tbENKUlT_T0_E_clISt17integral_constantIbLb1EESV_IbLb0EEEEDaSR_SS_EUlSR_E_NS1_11comp_targetILNS1_3genE10ELNS1_11target_archE1200ELNS1_3gpuE4ELNS1_3repE0EEENS1_30default_config_static_selectorELNS0_4arch9wavefront6targetE1EEEvT1_ ; -- Begin function _ZN7rocprim17ROCPRIM_400000_NS6detail17trampoline_kernelINS0_14default_configENS1_20scan_config_selectorIfEEZZNS1_9scan_implILNS1_25lookback_scan_determinismE0ELb1ELb1ES3_N6thrust23THRUST_200600_302600_NS6detail15normal_iteratorINS9_10device_ptrIjEEEENSB_INSC_IiEEEEfNS9_4plusIvEEfEEDaPvRmT3_T4_T5_mT6_P12ihipStream_tbENKUlT_T0_E_clISt17integral_constantIbLb1EESV_IbLb0EEEEDaSR_SS_EUlSR_E_NS1_11comp_targetILNS1_3genE10ELNS1_11target_archE1200ELNS1_3gpuE4ELNS1_3repE0EEENS1_30default_config_static_selectorELNS0_4arch9wavefront6targetE1EEEvT1_
	.globl	_ZN7rocprim17ROCPRIM_400000_NS6detail17trampoline_kernelINS0_14default_configENS1_20scan_config_selectorIfEEZZNS1_9scan_implILNS1_25lookback_scan_determinismE0ELb1ELb1ES3_N6thrust23THRUST_200600_302600_NS6detail15normal_iteratorINS9_10device_ptrIjEEEENSB_INSC_IiEEEEfNS9_4plusIvEEfEEDaPvRmT3_T4_T5_mT6_P12ihipStream_tbENKUlT_T0_E_clISt17integral_constantIbLb1EESV_IbLb0EEEEDaSR_SS_EUlSR_E_NS1_11comp_targetILNS1_3genE10ELNS1_11target_archE1200ELNS1_3gpuE4ELNS1_3repE0EEENS1_30default_config_static_selectorELNS0_4arch9wavefront6targetE1EEEvT1_
	.p2align	8
	.type	_ZN7rocprim17ROCPRIM_400000_NS6detail17trampoline_kernelINS0_14default_configENS1_20scan_config_selectorIfEEZZNS1_9scan_implILNS1_25lookback_scan_determinismE0ELb1ELb1ES3_N6thrust23THRUST_200600_302600_NS6detail15normal_iteratorINS9_10device_ptrIjEEEENSB_INSC_IiEEEEfNS9_4plusIvEEfEEDaPvRmT3_T4_T5_mT6_P12ihipStream_tbENKUlT_T0_E_clISt17integral_constantIbLb1EESV_IbLb0EEEEDaSR_SS_EUlSR_E_NS1_11comp_targetILNS1_3genE10ELNS1_11target_archE1200ELNS1_3gpuE4ELNS1_3repE0EEENS1_30default_config_static_selectorELNS0_4arch9wavefront6targetE1EEEvT1_,@function
_ZN7rocprim17ROCPRIM_400000_NS6detail17trampoline_kernelINS0_14default_configENS1_20scan_config_selectorIfEEZZNS1_9scan_implILNS1_25lookback_scan_determinismE0ELb1ELb1ES3_N6thrust23THRUST_200600_302600_NS6detail15normal_iteratorINS9_10device_ptrIjEEEENSB_INSC_IiEEEEfNS9_4plusIvEEfEEDaPvRmT3_T4_T5_mT6_P12ihipStream_tbENKUlT_T0_E_clISt17integral_constantIbLb1EESV_IbLb0EEEEDaSR_SS_EUlSR_E_NS1_11comp_targetILNS1_3genE10ELNS1_11target_archE1200ELNS1_3gpuE4ELNS1_3repE0EEENS1_30default_config_static_selectorELNS0_4arch9wavefront6targetE1EEEvT1_: ; @_ZN7rocprim17ROCPRIM_400000_NS6detail17trampoline_kernelINS0_14default_configENS1_20scan_config_selectorIfEEZZNS1_9scan_implILNS1_25lookback_scan_determinismE0ELb1ELb1ES3_N6thrust23THRUST_200600_302600_NS6detail15normal_iteratorINS9_10device_ptrIjEEEENSB_INSC_IiEEEEfNS9_4plusIvEEfEEDaPvRmT3_T4_T5_mT6_P12ihipStream_tbENKUlT_T0_E_clISt17integral_constantIbLb1EESV_IbLb0EEEEDaSR_SS_EUlSR_E_NS1_11comp_targetILNS1_3genE10ELNS1_11target_archE1200ELNS1_3gpuE4ELNS1_3repE0EEENS1_30default_config_static_selectorELNS0_4arch9wavefront6targetE1EEEvT1_
; %bb.0:
	.section	.rodata,"a",@progbits
	.p2align	6, 0x0
	.amdhsa_kernel _ZN7rocprim17ROCPRIM_400000_NS6detail17trampoline_kernelINS0_14default_configENS1_20scan_config_selectorIfEEZZNS1_9scan_implILNS1_25lookback_scan_determinismE0ELb1ELb1ES3_N6thrust23THRUST_200600_302600_NS6detail15normal_iteratorINS9_10device_ptrIjEEEENSB_INSC_IiEEEEfNS9_4plusIvEEfEEDaPvRmT3_T4_T5_mT6_P12ihipStream_tbENKUlT_T0_E_clISt17integral_constantIbLb1EESV_IbLb0EEEEDaSR_SS_EUlSR_E_NS1_11comp_targetILNS1_3genE10ELNS1_11target_archE1200ELNS1_3gpuE4ELNS1_3repE0EEENS1_30default_config_static_selectorELNS0_4arch9wavefront6targetE1EEEvT1_
		.amdhsa_group_segment_fixed_size 0
		.amdhsa_private_segment_fixed_size 0
		.amdhsa_kernarg_size 96
		.amdhsa_user_sgpr_count 6
		.amdhsa_user_sgpr_private_segment_buffer 1
		.amdhsa_user_sgpr_dispatch_ptr 0
		.amdhsa_user_sgpr_queue_ptr 0
		.amdhsa_user_sgpr_kernarg_segment_ptr 1
		.amdhsa_user_sgpr_dispatch_id 0
		.amdhsa_user_sgpr_flat_scratch_init 0
		.amdhsa_user_sgpr_kernarg_preload_length 0
		.amdhsa_user_sgpr_kernarg_preload_offset 0
		.amdhsa_user_sgpr_private_segment_size 0
		.amdhsa_uses_dynamic_stack 0
		.amdhsa_system_sgpr_private_segment_wavefront_offset 0
		.amdhsa_system_sgpr_workgroup_id_x 1
		.amdhsa_system_sgpr_workgroup_id_y 0
		.amdhsa_system_sgpr_workgroup_id_z 0
		.amdhsa_system_sgpr_workgroup_info 0
		.amdhsa_system_vgpr_workitem_id 0
		.amdhsa_next_free_vgpr 1
		.amdhsa_next_free_sgpr 0
		.amdhsa_accum_offset 4
		.amdhsa_reserve_vcc 0
		.amdhsa_reserve_flat_scratch 0
		.amdhsa_float_round_mode_32 0
		.amdhsa_float_round_mode_16_64 0
		.amdhsa_float_denorm_mode_32 3
		.amdhsa_float_denorm_mode_16_64 3
		.amdhsa_dx10_clamp 1
		.amdhsa_ieee_mode 1
		.amdhsa_fp16_overflow 0
		.amdhsa_tg_split 0
		.amdhsa_exception_fp_ieee_invalid_op 0
		.amdhsa_exception_fp_denorm_src 0
		.amdhsa_exception_fp_ieee_div_zero 0
		.amdhsa_exception_fp_ieee_overflow 0
		.amdhsa_exception_fp_ieee_underflow 0
		.amdhsa_exception_fp_ieee_inexact 0
		.amdhsa_exception_int_div_zero 0
	.end_amdhsa_kernel
	.section	.text._ZN7rocprim17ROCPRIM_400000_NS6detail17trampoline_kernelINS0_14default_configENS1_20scan_config_selectorIfEEZZNS1_9scan_implILNS1_25lookback_scan_determinismE0ELb1ELb1ES3_N6thrust23THRUST_200600_302600_NS6detail15normal_iteratorINS9_10device_ptrIjEEEENSB_INSC_IiEEEEfNS9_4plusIvEEfEEDaPvRmT3_T4_T5_mT6_P12ihipStream_tbENKUlT_T0_E_clISt17integral_constantIbLb1EESV_IbLb0EEEEDaSR_SS_EUlSR_E_NS1_11comp_targetILNS1_3genE10ELNS1_11target_archE1200ELNS1_3gpuE4ELNS1_3repE0EEENS1_30default_config_static_selectorELNS0_4arch9wavefront6targetE1EEEvT1_,"axG",@progbits,_ZN7rocprim17ROCPRIM_400000_NS6detail17trampoline_kernelINS0_14default_configENS1_20scan_config_selectorIfEEZZNS1_9scan_implILNS1_25lookback_scan_determinismE0ELb1ELb1ES3_N6thrust23THRUST_200600_302600_NS6detail15normal_iteratorINS9_10device_ptrIjEEEENSB_INSC_IiEEEEfNS9_4plusIvEEfEEDaPvRmT3_T4_T5_mT6_P12ihipStream_tbENKUlT_T0_E_clISt17integral_constantIbLb1EESV_IbLb0EEEEDaSR_SS_EUlSR_E_NS1_11comp_targetILNS1_3genE10ELNS1_11target_archE1200ELNS1_3gpuE4ELNS1_3repE0EEENS1_30default_config_static_selectorELNS0_4arch9wavefront6targetE1EEEvT1_,comdat
.Lfunc_end6346:
	.size	_ZN7rocprim17ROCPRIM_400000_NS6detail17trampoline_kernelINS0_14default_configENS1_20scan_config_selectorIfEEZZNS1_9scan_implILNS1_25lookback_scan_determinismE0ELb1ELb1ES3_N6thrust23THRUST_200600_302600_NS6detail15normal_iteratorINS9_10device_ptrIjEEEENSB_INSC_IiEEEEfNS9_4plusIvEEfEEDaPvRmT3_T4_T5_mT6_P12ihipStream_tbENKUlT_T0_E_clISt17integral_constantIbLb1EESV_IbLb0EEEEDaSR_SS_EUlSR_E_NS1_11comp_targetILNS1_3genE10ELNS1_11target_archE1200ELNS1_3gpuE4ELNS1_3repE0EEENS1_30default_config_static_selectorELNS0_4arch9wavefront6targetE1EEEvT1_, .Lfunc_end6346-_ZN7rocprim17ROCPRIM_400000_NS6detail17trampoline_kernelINS0_14default_configENS1_20scan_config_selectorIfEEZZNS1_9scan_implILNS1_25lookback_scan_determinismE0ELb1ELb1ES3_N6thrust23THRUST_200600_302600_NS6detail15normal_iteratorINS9_10device_ptrIjEEEENSB_INSC_IiEEEEfNS9_4plusIvEEfEEDaPvRmT3_T4_T5_mT6_P12ihipStream_tbENKUlT_T0_E_clISt17integral_constantIbLb1EESV_IbLb0EEEEDaSR_SS_EUlSR_E_NS1_11comp_targetILNS1_3genE10ELNS1_11target_archE1200ELNS1_3gpuE4ELNS1_3repE0EEENS1_30default_config_static_selectorELNS0_4arch9wavefront6targetE1EEEvT1_
                                        ; -- End function
	.section	.AMDGPU.csdata,"",@progbits
; Kernel info:
; codeLenInByte = 0
; NumSgprs: 4
; NumVgprs: 0
; NumAgprs: 0
; TotalNumVgprs: 0
; ScratchSize: 0
; MemoryBound: 0
; FloatMode: 240
; IeeeMode: 1
; LDSByteSize: 0 bytes/workgroup (compile time only)
; SGPRBlocks: 0
; VGPRBlocks: 0
; NumSGPRsForWavesPerEU: 4
; NumVGPRsForWavesPerEU: 1
; AccumOffset: 4
; Occupancy: 8
; WaveLimiterHint : 0
; COMPUTE_PGM_RSRC2:SCRATCH_EN: 0
; COMPUTE_PGM_RSRC2:USER_SGPR: 6
; COMPUTE_PGM_RSRC2:TRAP_HANDLER: 0
; COMPUTE_PGM_RSRC2:TGID_X_EN: 1
; COMPUTE_PGM_RSRC2:TGID_Y_EN: 0
; COMPUTE_PGM_RSRC2:TGID_Z_EN: 0
; COMPUTE_PGM_RSRC2:TIDIG_COMP_CNT: 0
; COMPUTE_PGM_RSRC3_GFX90A:ACCUM_OFFSET: 0
; COMPUTE_PGM_RSRC3_GFX90A:TG_SPLIT: 0
	.section	.text._ZN7rocprim17ROCPRIM_400000_NS6detail17trampoline_kernelINS0_14default_configENS1_20scan_config_selectorIfEEZZNS1_9scan_implILNS1_25lookback_scan_determinismE0ELb1ELb1ES3_N6thrust23THRUST_200600_302600_NS6detail15normal_iteratorINS9_10device_ptrIjEEEENSB_INSC_IiEEEEfNS9_4plusIvEEfEEDaPvRmT3_T4_T5_mT6_P12ihipStream_tbENKUlT_T0_E_clISt17integral_constantIbLb1EESV_IbLb0EEEEDaSR_SS_EUlSR_E_NS1_11comp_targetILNS1_3genE9ELNS1_11target_archE1100ELNS1_3gpuE3ELNS1_3repE0EEENS1_30default_config_static_selectorELNS0_4arch9wavefront6targetE1EEEvT1_,"axG",@progbits,_ZN7rocprim17ROCPRIM_400000_NS6detail17trampoline_kernelINS0_14default_configENS1_20scan_config_selectorIfEEZZNS1_9scan_implILNS1_25lookback_scan_determinismE0ELb1ELb1ES3_N6thrust23THRUST_200600_302600_NS6detail15normal_iteratorINS9_10device_ptrIjEEEENSB_INSC_IiEEEEfNS9_4plusIvEEfEEDaPvRmT3_T4_T5_mT6_P12ihipStream_tbENKUlT_T0_E_clISt17integral_constantIbLb1EESV_IbLb0EEEEDaSR_SS_EUlSR_E_NS1_11comp_targetILNS1_3genE9ELNS1_11target_archE1100ELNS1_3gpuE3ELNS1_3repE0EEENS1_30default_config_static_selectorELNS0_4arch9wavefront6targetE1EEEvT1_,comdat
	.protected	_ZN7rocprim17ROCPRIM_400000_NS6detail17trampoline_kernelINS0_14default_configENS1_20scan_config_selectorIfEEZZNS1_9scan_implILNS1_25lookback_scan_determinismE0ELb1ELb1ES3_N6thrust23THRUST_200600_302600_NS6detail15normal_iteratorINS9_10device_ptrIjEEEENSB_INSC_IiEEEEfNS9_4plusIvEEfEEDaPvRmT3_T4_T5_mT6_P12ihipStream_tbENKUlT_T0_E_clISt17integral_constantIbLb1EESV_IbLb0EEEEDaSR_SS_EUlSR_E_NS1_11comp_targetILNS1_3genE9ELNS1_11target_archE1100ELNS1_3gpuE3ELNS1_3repE0EEENS1_30default_config_static_selectorELNS0_4arch9wavefront6targetE1EEEvT1_ ; -- Begin function _ZN7rocprim17ROCPRIM_400000_NS6detail17trampoline_kernelINS0_14default_configENS1_20scan_config_selectorIfEEZZNS1_9scan_implILNS1_25lookback_scan_determinismE0ELb1ELb1ES3_N6thrust23THRUST_200600_302600_NS6detail15normal_iteratorINS9_10device_ptrIjEEEENSB_INSC_IiEEEEfNS9_4plusIvEEfEEDaPvRmT3_T4_T5_mT6_P12ihipStream_tbENKUlT_T0_E_clISt17integral_constantIbLb1EESV_IbLb0EEEEDaSR_SS_EUlSR_E_NS1_11comp_targetILNS1_3genE9ELNS1_11target_archE1100ELNS1_3gpuE3ELNS1_3repE0EEENS1_30default_config_static_selectorELNS0_4arch9wavefront6targetE1EEEvT1_
	.globl	_ZN7rocprim17ROCPRIM_400000_NS6detail17trampoline_kernelINS0_14default_configENS1_20scan_config_selectorIfEEZZNS1_9scan_implILNS1_25lookback_scan_determinismE0ELb1ELb1ES3_N6thrust23THRUST_200600_302600_NS6detail15normal_iteratorINS9_10device_ptrIjEEEENSB_INSC_IiEEEEfNS9_4plusIvEEfEEDaPvRmT3_T4_T5_mT6_P12ihipStream_tbENKUlT_T0_E_clISt17integral_constantIbLb1EESV_IbLb0EEEEDaSR_SS_EUlSR_E_NS1_11comp_targetILNS1_3genE9ELNS1_11target_archE1100ELNS1_3gpuE3ELNS1_3repE0EEENS1_30default_config_static_selectorELNS0_4arch9wavefront6targetE1EEEvT1_
	.p2align	8
	.type	_ZN7rocprim17ROCPRIM_400000_NS6detail17trampoline_kernelINS0_14default_configENS1_20scan_config_selectorIfEEZZNS1_9scan_implILNS1_25lookback_scan_determinismE0ELb1ELb1ES3_N6thrust23THRUST_200600_302600_NS6detail15normal_iteratorINS9_10device_ptrIjEEEENSB_INSC_IiEEEEfNS9_4plusIvEEfEEDaPvRmT3_T4_T5_mT6_P12ihipStream_tbENKUlT_T0_E_clISt17integral_constantIbLb1EESV_IbLb0EEEEDaSR_SS_EUlSR_E_NS1_11comp_targetILNS1_3genE9ELNS1_11target_archE1100ELNS1_3gpuE3ELNS1_3repE0EEENS1_30default_config_static_selectorELNS0_4arch9wavefront6targetE1EEEvT1_,@function
_ZN7rocprim17ROCPRIM_400000_NS6detail17trampoline_kernelINS0_14default_configENS1_20scan_config_selectorIfEEZZNS1_9scan_implILNS1_25lookback_scan_determinismE0ELb1ELb1ES3_N6thrust23THRUST_200600_302600_NS6detail15normal_iteratorINS9_10device_ptrIjEEEENSB_INSC_IiEEEEfNS9_4plusIvEEfEEDaPvRmT3_T4_T5_mT6_P12ihipStream_tbENKUlT_T0_E_clISt17integral_constantIbLb1EESV_IbLb0EEEEDaSR_SS_EUlSR_E_NS1_11comp_targetILNS1_3genE9ELNS1_11target_archE1100ELNS1_3gpuE3ELNS1_3repE0EEENS1_30default_config_static_selectorELNS0_4arch9wavefront6targetE1EEEvT1_: ; @_ZN7rocprim17ROCPRIM_400000_NS6detail17trampoline_kernelINS0_14default_configENS1_20scan_config_selectorIfEEZZNS1_9scan_implILNS1_25lookback_scan_determinismE0ELb1ELb1ES3_N6thrust23THRUST_200600_302600_NS6detail15normal_iteratorINS9_10device_ptrIjEEEENSB_INSC_IiEEEEfNS9_4plusIvEEfEEDaPvRmT3_T4_T5_mT6_P12ihipStream_tbENKUlT_T0_E_clISt17integral_constantIbLb1EESV_IbLb0EEEEDaSR_SS_EUlSR_E_NS1_11comp_targetILNS1_3genE9ELNS1_11target_archE1100ELNS1_3gpuE3ELNS1_3repE0EEENS1_30default_config_static_selectorELNS0_4arch9wavefront6targetE1EEEvT1_
; %bb.0:
	.section	.rodata,"a",@progbits
	.p2align	6, 0x0
	.amdhsa_kernel _ZN7rocprim17ROCPRIM_400000_NS6detail17trampoline_kernelINS0_14default_configENS1_20scan_config_selectorIfEEZZNS1_9scan_implILNS1_25lookback_scan_determinismE0ELb1ELb1ES3_N6thrust23THRUST_200600_302600_NS6detail15normal_iteratorINS9_10device_ptrIjEEEENSB_INSC_IiEEEEfNS9_4plusIvEEfEEDaPvRmT3_T4_T5_mT6_P12ihipStream_tbENKUlT_T0_E_clISt17integral_constantIbLb1EESV_IbLb0EEEEDaSR_SS_EUlSR_E_NS1_11comp_targetILNS1_3genE9ELNS1_11target_archE1100ELNS1_3gpuE3ELNS1_3repE0EEENS1_30default_config_static_selectorELNS0_4arch9wavefront6targetE1EEEvT1_
		.amdhsa_group_segment_fixed_size 0
		.amdhsa_private_segment_fixed_size 0
		.amdhsa_kernarg_size 96
		.amdhsa_user_sgpr_count 6
		.amdhsa_user_sgpr_private_segment_buffer 1
		.amdhsa_user_sgpr_dispatch_ptr 0
		.amdhsa_user_sgpr_queue_ptr 0
		.amdhsa_user_sgpr_kernarg_segment_ptr 1
		.amdhsa_user_sgpr_dispatch_id 0
		.amdhsa_user_sgpr_flat_scratch_init 0
		.amdhsa_user_sgpr_kernarg_preload_length 0
		.amdhsa_user_sgpr_kernarg_preload_offset 0
		.amdhsa_user_sgpr_private_segment_size 0
		.amdhsa_uses_dynamic_stack 0
		.amdhsa_system_sgpr_private_segment_wavefront_offset 0
		.amdhsa_system_sgpr_workgroup_id_x 1
		.amdhsa_system_sgpr_workgroup_id_y 0
		.amdhsa_system_sgpr_workgroup_id_z 0
		.amdhsa_system_sgpr_workgroup_info 0
		.amdhsa_system_vgpr_workitem_id 0
		.amdhsa_next_free_vgpr 1
		.amdhsa_next_free_sgpr 0
		.amdhsa_accum_offset 4
		.amdhsa_reserve_vcc 0
		.amdhsa_reserve_flat_scratch 0
		.amdhsa_float_round_mode_32 0
		.amdhsa_float_round_mode_16_64 0
		.amdhsa_float_denorm_mode_32 3
		.amdhsa_float_denorm_mode_16_64 3
		.amdhsa_dx10_clamp 1
		.amdhsa_ieee_mode 1
		.amdhsa_fp16_overflow 0
		.amdhsa_tg_split 0
		.amdhsa_exception_fp_ieee_invalid_op 0
		.amdhsa_exception_fp_denorm_src 0
		.amdhsa_exception_fp_ieee_div_zero 0
		.amdhsa_exception_fp_ieee_overflow 0
		.amdhsa_exception_fp_ieee_underflow 0
		.amdhsa_exception_fp_ieee_inexact 0
		.amdhsa_exception_int_div_zero 0
	.end_amdhsa_kernel
	.section	.text._ZN7rocprim17ROCPRIM_400000_NS6detail17trampoline_kernelINS0_14default_configENS1_20scan_config_selectorIfEEZZNS1_9scan_implILNS1_25lookback_scan_determinismE0ELb1ELb1ES3_N6thrust23THRUST_200600_302600_NS6detail15normal_iteratorINS9_10device_ptrIjEEEENSB_INSC_IiEEEEfNS9_4plusIvEEfEEDaPvRmT3_T4_T5_mT6_P12ihipStream_tbENKUlT_T0_E_clISt17integral_constantIbLb1EESV_IbLb0EEEEDaSR_SS_EUlSR_E_NS1_11comp_targetILNS1_3genE9ELNS1_11target_archE1100ELNS1_3gpuE3ELNS1_3repE0EEENS1_30default_config_static_selectorELNS0_4arch9wavefront6targetE1EEEvT1_,"axG",@progbits,_ZN7rocprim17ROCPRIM_400000_NS6detail17trampoline_kernelINS0_14default_configENS1_20scan_config_selectorIfEEZZNS1_9scan_implILNS1_25lookback_scan_determinismE0ELb1ELb1ES3_N6thrust23THRUST_200600_302600_NS6detail15normal_iteratorINS9_10device_ptrIjEEEENSB_INSC_IiEEEEfNS9_4plusIvEEfEEDaPvRmT3_T4_T5_mT6_P12ihipStream_tbENKUlT_T0_E_clISt17integral_constantIbLb1EESV_IbLb0EEEEDaSR_SS_EUlSR_E_NS1_11comp_targetILNS1_3genE9ELNS1_11target_archE1100ELNS1_3gpuE3ELNS1_3repE0EEENS1_30default_config_static_selectorELNS0_4arch9wavefront6targetE1EEEvT1_,comdat
.Lfunc_end6347:
	.size	_ZN7rocprim17ROCPRIM_400000_NS6detail17trampoline_kernelINS0_14default_configENS1_20scan_config_selectorIfEEZZNS1_9scan_implILNS1_25lookback_scan_determinismE0ELb1ELb1ES3_N6thrust23THRUST_200600_302600_NS6detail15normal_iteratorINS9_10device_ptrIjEEEENSB_INSC_IiEEEEfNS9_4plusIvEEfEEDaPvRmT3_T4_T5_mT6_P12ihipStream_tbENKUlT_T0_E_clISt17integral_constantIbLb1EESV_IbLb0EEEEDaSR_SS_EUlSR_E_NS1_11comp_targetILNS1_3genE9ELNS1_11target_archE1100ELNS1_3gpuE3ELNS1_3repE0EEENS1_30default_config_static_selectorELNS0_4arch9wavefront6targetE1EEEvT1_, .Lfunc_end6347-_ZN7rocprim17ROCPRIM_400000_NS6detail17trampoline_kernelINS0_14default_configENS1_20scan_config_selectorIfEEZZNS1_9scan_implILNS1_25lookback_scan_determinismE0ELb1ELb1ES3_N6thrust23THRUST_200600_302600_NS6detail15normal_iteratorINS9_10device_ptrIjEEEENSB_INSC_IiEEEEfNS9_4plusIvEEfEEDaPvRmT3_T4_T5_mT6_P12ihipStream_tbENKUlT_T0_E_clISt17integral_constantIbLb1EESV_IbLb0EEEEDaSR_SS_EUlSR_E_NS1_11comp_targetILNS1_3genE9ELNS1_11target_archE1100ELNS1_3gpuE3ELNS1_3repE0EEENS1_30default_config_static_selectorELNS0_4arch9wavefront6targetE1EEEvT1_
                                        ; -- End function
	.section	.AMDGPU.csdata,"",@progbits
; Kernel info:
; codeLenInByte = 0
; NumSgprs: 4
; NumVgprs: 0
; NumAgprs: 0
; TotalNumVgprs: 0
; ScratchSize: 0
; MemoryBound: 0
; FloatMode: 240
; IeeeMode: 1
; LDSByteSize: 0 bytes/workgroup (compile time only)
; SGPRBlocks: 0
; VGPRBlocks: 0
; NumSGPRsForWavesPerEU: 4
; NumVGPRsForWavesPerEU: 1
; AccumOffset: 4
; Occupancy: 8
; WaveLimiterHint : 0
; COMPUTE_PGM_RSRC2:SCRATCH_EN: 0
; COMPUTE_PGM_RSRC2:USER_SGPR: 6
; COMPUTE_PGM_RSRC2:TRAP_HANDLER: 0
; COMPUTE_PGM_RSRC2:TGID_X_EN: 1
; COMPUTE_PGM_RSRC2:TGID_Y_EN: 0
; COMPUTE_PGM_RSRC2:TGID_Z_EN: 0
; COMPUTE_PGM_RSRC2:TIDIG_COMP_CNT: 0
; COMPUTE_PGM_RSRC3_GFX90A:ACCUM_OFFSET: 0
; COMPUTE_PGM_RSRC3_GFX90A:TG_SPLIT: 0
	.section	.text._ZN7rocprim17ROCPRIM_400000_NS6detail17trampoline_kernelINS0_14default_configENS1_20scan_config_selectorIfEEZZNS1_9scan_implILNS1_25lookback_scan_determinismE0ELb1ELb1ES3_N6thrust23THRUST_200600_302600_NS6detail15normal_iteratorINS9_10device_ptrIjEEEENSB_INSC_IiEEEEfNS9_4plusIvEEfEEDaPvRmT3_T4_T5_mT6_P12ihipStream_tbENKUlT_T0_E_clISt17integral_constantIbLb1EESV_IbLb0EEEEDaSR_SS_EUlSR_E_NS1_11comp_targetILNS1_3genE8ELNS1_11target_archE1030ELNS1_3gpuE2ELNS1_3repE0EEENS1_30default_config_static_selectorELNS0_4arch9wavefront6targetE1EEEvT1_,"axG",@progbits,_ZN7rocprim17ROCPRIM_400000_NS6detail17trampoline_kernelINS0_14default_configENS1_20scan_config_selectorIfEEZZNS1_9scan_implILNS1_25lookback_scan_determinismE0ELb1ELb1ES3_N6thrust23THRUST_200600_302600_NS6detail15normal_iteratorINS9_10device_ptrIjEEEENSB_INSC_IiEEEEfNS9_4plusIvEEfEEDaPvRmT3_T4_T5_mT6_P12ihipStream_tbENKUlT_T0_E_clISt17integral_constantIbLb1EESV_IbLb0EEEEDaSR_SS_EUlSR_E_NS1_11comp_targetILNS1_3genE8ELNS1_11target_archE1030ELNS1_3gpuE2ELNS1_3repE0EEENS1_30default_config_static_selectorELNS0_4arch9wavefront6targetE1EEEvT1_,comdat
	.protected	_ZN7rocprim17ROCPRIM_400000_NS6detail17trampoline_kernelINS0_14default_configENS1_20scan_config_selectorIfEEZZNS1_9scan_implILNS1_25lookback_scan_determinismE0ELb1ELb1ES3_N6thrust23THRUST_200600_302600_NS6detail15normal_iteratorINS9_10device_ptrIjEEEENSB_INSC_IiEEEEfNS9_4plusIvEEfEEDaPvRmT3_T4_T5_mT6_P12ihipStream_tbENKUlT_T0_E_clISt17integral_constantIbLb1EESV_IbLb0EEEEDaSR_SS_EUlSR_E_NS1_11comp_targetILNS1_3genE8ELNS1_11target_archE1030ELNS1_3gpuE2ELNS1_3repE0EEENS1_30default_config_static_selectorELNS0_4arch9wavefront6targetE1EEEvT1_ ; -- Begin function _ZN7rocprim17ROCPRIM_400000_NS6detail17trampoline_kernelINS0_14default_configENS1_20scan_config_selectorIfEEZZNS1_9scan_implILNS1_25lookback_scan_determinismE0ELb1ELb1ES3_N6thrust23THRUST_200600_302600_NS6detail15normal_iteratorINS9_10device_ptrIjEEEENSB_INSC_IiEEEEfNS9_4plusIvEEfEEDaPvRmT3_T4_T5_mT6_P12ihipStream_tbENKUlT_T0_E_clISt17integral_constantIbLb1EESV_IbLb0EEEEDaSR_SS_EUlSR_E_NS1_11comp_targetILNS1_3genE8ELNS1_11target_archE1030ELNS1_3gpuE2ELNS1_3repE0EEENS1_30default_config_static_selectorELNS0_4arch9wavefront6targetE1EEEvT1_
	.globl	_ZN7rocprim17ROCPRIM_400000_NS6detail17trampoline_kernelINS0_14default_configENS1_20scan_config_selectorIfEEZZNS1_9scan_implILNS1_25lookback_scan_determinismE0ELb1ELb1ES3_N6thrust23THRUST_200600_302600_NS6detail15normal_iteratorINS9_10device_ptrIjEEEENSB_INSC_IiEEEEfNS9_4plusIvEEfEEDaPvRmT3_T4_T5_mT6_P12ihipStream_tbENKUlT_T0_E_clISt17integral_constantIbLb1EESV_IbLb0EEEEDaSR_SS_EUlSR_E_NS1_11comp_targetILNS1_3genE8ELNS1_11target_archE1030ELNS1_3gpuE2ELNS1_3repE0EEENS1_30default_config_static_selectorELNS0_4arch9wavefront6targetE1EEEvT1_
	.p2align	8
	.type	_ZN7rocprim17ROCPRIM_400000_NS6detail17trampoline_kernelINS0_14default_configENS1_20scan_config_selectorIfEEZZNS1_9scan_implILNS1_25lookback_scan_determinismE0ELb1ELb1ES3_N6thrust23THRUST_200600_302600_NS6detail15normal_iteratorINS9_10device_ptrIjEEEENSB_INSC_IiEEEEfNS9_4plusIvEEfEEDaPvRmT3_T4_T5_mT6_P12ihipStream_tbENKUlT_T0_E_clISt17integral_constantIbLb1EESV_IbLb0EEEEDaSR_SS_EUlSR_E_NS1_11comp_targetILNS1_3genE8ELNS1_11target_archE1030ELNS1_3gpuE2ELNS1_3repE0EEENS1_30default_config_static_selectorELNS0_4arch9wavefront6targetE1EEEvT1_,@function
_ZN7rocprim17ROCPRIM_400000_NS6detail17trampoline_kernelINS0_14default_configENS1_20scan_config_selectorIfEEZZNS1_9scan_implILNS1_25lookback_scan_determinismE0ELb1ELb1ES3_N6thrust23THRUST_200600_302600_NS6detail15normal_iteratorINS9_10device_ptrIjEEEENSB_INSC_IiEEEEfNS9_4plusIvEEfEEDaPvRmT3_T4_T5_mT6_P12ihipStream_tbENKUlT_T0_E_clISt17integral_constantIbLb1EESV_IbLb0EEEEDaSR_SS_EUlSR_E_NS1_11comp_targetILNS1_3genE8ELNS1_11target_archE1030ELNS1_3gpuE2ELNS1_3repE0EEENS1_30default_config_static_selectorELNS0_4arch9wavefront6targetE1EEEvT1_: ; @_ZN7rocprim17ROCPRIM_400000_NS6detail17trampoline_kernelINS0_14default_configENS1_20scan_config_selectorIfEEZZNS1_9scan_implILNS1_25lookback_scan_determinismE0ELb1ELb1ES3_N6thrust23THRUST_200600_302600_NS6detail15normal_iteratorINS9_10device_ptrIjEEEENSB_INSC_IiEEEEfNS9_4plusIvEEfEEDaPvRmT3_T4_T5_mT6_P12ihipStream_tbENKUlT_T0_E_clISt17integral_constantIbLb1EESV_IbLb0EEEEDaSR_SS_EUlSR_E_NS1_11comp_targetILNS1_3genE8ELNS1_11target_archE1030ELNS1_3gpuE2ELNS1_3repE0EEENS1_30default_config_static_selectorELNS0_4arch9wavefront6targetE1EEEvT1_
; %bb.0:
	.section	.rodata,"a",@progbits
	.p2align	6, 0x0
	.amdhsa_kernel _ZN7rocprim17ROCPRIM_400000_NS6detail17trampoline_kernelINS0_14default_configENS1_20scan_config_selectorIfEEZZNS1_9scan_implILNS1_25lookback_scan_determinismE0ELb1ELb1ES3_N6thrust23THRUST_200600_302600_NS6detail15normal_iteratorINS9_10device_ptrIjEEEENSB_INSC_IiEEEEfNS9_4plusIvEEfEEDaPvRmT3_T4_T5_mT6_P12ihipStream_tbENKUlT_T0_E_clISt17integral_constantIbLb1EESV_IbLb0EEEEDaSR_SS_EUlSR_E_NS1_11comp_targetILNS1_3genE8ELNS1_11target_archE1030ELNS1_3gpuE2ELNS1_3repE0EEENS1_30default_config_static_selectorELNS0_4arch9wavefront6targetE1EEEvT1_
		.amdhsa_group_segment_fixed_size 0
		.amdhsa_private_segment_fixed_size 0
		.amdhsa_kernarg_size 96
		.amdhsa_user_sgpr_count 6
		.amdhsa_user_sgpr_private_segment_buffer 1
		.amdhsa_user_sgpr_dispatch_ptr 0
		.amdhsa_user_sgpr_queue_ptr 0
		.amdhsa_user_sgpr_kernarg_segment_ptr 1
		.amdhsa_user_sgpr_dispatch_id 0
		.amdhsa_user_sgpr_flat_scratch_init 0
		.amdhsa_user_sgpr_kernarg_preload_length 0
		.amdhsa_user_sgpr_kernarg_preload_offset 0
		.amdhsa_user_sgpr_private_segment_size 0
		.amdhsa_uses_dynamic_stack 0
		.amdhsa_system_sgpr_private_segment_wavefront_offset 0
		.amdhsa_system_sgpr_workgroup_id_x 1
		.amdhsa_system_sgpr_workgroup_id_y 0
		.amdhsa_system_sgpr_workgroup_id_z 0
		.amdhsa_system_sgpr_workgroup_info 0
		.amdhsa_system_vgpr_workitem_id 0
		.amdhsa_next_free_vgpr 1
		.amdhsa_next_free_sgpr 0
		.amdhsa_accum_offset 4
		.amdhsa_reserve_vcc 0
		.amdhsa_reserve_flat_scratch 0
		.amdhsa_float_round_mode_32 0
		.amdhsa_float_round_mode_16_64 0
		.amdhsa_float_denorm_mode_32 3
		.amdhsa_float_denorm_mode_16_64 3
		.amdhsa_dx10_clamp 1
		.amdhsa_ieee_mode 1
		.amdhsa_fp16_overflow 0
		.amdhsa_tg_split 0
		.amdhsa_exception_fp_ieee_invalid_op 0
		.amdhsa_exception_fp_denorm_src 0
		.amdhsa_exception_fp_ieee_div_zero 0
		.amdhsa_exception_fp_ieee_overflow 0
		.amdhsa_exception_fp_ieee_underflow 0
		.amdhsa_exception_fp_ieee_inexact 0
		.amdhsa_exception_int_div_zero 0
	.end_amdhsa_kernel
	.section	.text._ZN7rocprim17ROCPRIM_400000_NS6detail17trampoline_kernelINS0_14default_configENS1_20scan_config_selectorIfEEZZNS1_9scan_implILNS1_25lookback_scan_determinismE0ELb1ELb1ES3_N6thrust23THRUST_200600_302600_NS6detail15normal_iteratorINS9_10device_ptrIjEEEENSB_INSC_IiEEEEfNS9_4plusIvEEfEEDaPvRmT3_T4_T5_mT6_P12ihipStream_tbENKUlT_T0_E_clISt17integral_constantIbLb1EESV_IbLb0EEEEDaSR_SS_EUlSR_E_NS1_11comp_targetILNS1_3genE8ELNS1_11target_archE1030ELNS1_3gpuE2ELNS1_3repE0EEENS1_30default_config_static_selectorELNS0_4arch9wavefront6targetE1EEEvT1_,"axG",@progbits,_ZN7rocprim17ROCPRIM_400000_NS6detail17trampoline_kernelINS0_14default_configENS1_20scan_config_selectorIfEEZZNS1_9scan_implILNS1_25lookback_scan_determinismE0ELb1ELb1ES3_N6thrust23THRUST_200600_302600_NS6detail15normal_iteratorINS9_10device_ptrIjEEEENSB_INSC_IiEEEEfNS9_4plusIvEEfEEDaPvRmT3_T4_T5_mT6_P12ihipStream_tbENKUlT_T0_E_clISt17integral_constantIbLb1EESV_IbLb0EEEEDaSR_SS_EUlSR_E_NS1_11comp_targetILNS1_3genE8ELNS1_11target_archE1030ELNS1_3gpuE2ELNS1_3repE0EEENS1_30default_config_static_selectorELNS0_4arch9wavefront6targetE1EEEvT1_,comdat
.Lfunc_end6348:
	.size	_ZN7rocprim17ROCPRIM_400000_NS6detail17trampoline_kernelINS0_14default_configENS1_20scan_config_selectorIfEEZZNS1_9scan_implILNS1_25lookback_scan_determinismE0ELb1ELb1ES3_N6thrust23THRUST_200600_302600_NS6detail15normal_iteratorINS9_10device_ptrIjEEEENSB_INSC_IiEEEEfNS9_4plusIvEEfEEDaPvRmT3_T4_T5_mT6_P12ihipStream_tbENKUlT_T0_E_clISt17integral_constantIbLb1EESV_IbLb0EEEEDaSR_SS_EUlSR_E_NS1_11comp_targetILNS1_3genE8ELNS1_11target_archE1030ELNS1_3gpuE2ELNS1_3repE0EEENS1_30default_config_static_selectorELNS0_4arch9wavefront6targetE1EEEvT1_, .Lfunc_end6348-_ZN7rocprim17ROCPRIM_400000_NS6detail17trampoline_kernelINS0_14default_configENS1_20scan_config_selectorIfEEZZNS1_9scan_implILNS1_25lookback_scan_determinismE0ELb1ELb1ES3_N6thrust23THRUST_200600_302600_NS6detail15normal_iteratorINS9_10device_ptrIjEEEENSB_INSC_IiEEEEfNS9_4plusIvEEfEEDaPvRmT3_T4_T5_mT6_P12ihipStream_tbENKUlT_T0_E_clISt17integral_constantIbLb1EESV_IbLb0EEEEDaSR_SS_EUlSR_E_NS1_11comp_targetILNS1_3genE8ELNS1_11target_archE1030ELNS1_3gpuE2ELNS1_3repE0EEENS1_30default_config_static_selectorELNS0_4arch9wavefront6targetE1EEEvT1_
                                        ; -- End function
	.section	.AMDGPU.csdata,"",@progbits
; Kernel info:
; codeLenInByte = 0
; NumSgprs: 4
; NumVgprs: 0
; NumAgprs: 0
; TotalNumVgprs: 0
; ScratchSize: 0
; MemoryBound: 0
; FloatMode: 240
; IeeeMode: 1
; LDSByteSize: 0 bytes/workgroup (compile time only)
; SGPRBlocks: 0
; VGPRBlocks: 0
; NumSGPRsForWavesPerEU: 4
; NumVGPRsForWavesPerEU: 1
; AccumOffset: 4
; Occupancy: 8
; WaveLimiterHint : 0
; COMPUTE_PGM_RSRC2:SCRATCH_EN: 0
; COMPUTE_PGM_RSRC2:USER_SGPR: 6
; COMPUTE_PGM_RSRC2:TRAP_HANDLER: 0
; COMPUTE_PGM_RSRC2:TGID_X_EN: 1
; COMPUTE_PGM_RSRC2:TGID_Y_EN: 0
; COMPUTE_PGM_RSRC2:TGID_Z_EN: 0
; COMPUTE_PGM_RSRC2:TIDIG_COMP_CNT: 0
; COMPUTE_PGM_RSRC3_GFX90A:ACCUM_OFFSET: 0
; COMPUTE_PGM_RSRC3_GFX90A:TG_SPLIT: 0
	.section	.text._ZN7rocprim17ROCPRIM_400000_NS6detail17trampoline_kernelINS0_14default_configENS1_20scan_config_selectorIfEEZZNS1_9scan_implILNS1_25lookback_scan_determinismE0ELb1ELb1ES3_N6thrust23THRUST_200600_302600_NS6detail15normal_iteratorINS9_10device_ptrIjEEEENSB_INSC_IiEEEEfNS9_4plusIvEEfEEDaPvRmT3_T4_T5_mT6_P12ihipStream_tbENKUlT_T0_E_clISt17integral_constantIbLb1EESV_IbLb0EEEEDaSR_SS_EUlSR_E0_NS1_11comp_targetILNS1_3genE0ELNS1_11target_archE4294967295ELNS1_3gpuE0ELNS1_3repE0EEENS1_30default_config_static_selectorELNS0_4arch9wavefront6targetE1EEEvT1_,"axG",@progbits,_ZN7rocprim17ROCPRIM_400000_NS6detail17trampoline_kernelINS0_14default_configENS1_20scan_config_selectorIfEEZZNS1_9scan_implILNS1_25lookback_scan_determinismE0ELb1ELb1ES3_N6thrust23THRUST_200600_302600_NS6detail15normal_iteratorINS9_10device_ptrIjEEEENSB_INSC_IiEEEEfNS9_4plusIvEEfEEDaPvRmT3_T4_T5_mT6_P12ihipStream_tbENKUlT_T0_E_clISt17integral_constantIbLb1EESV_IbLb0EEEEDaSR_SS_EUlSR_E0_NS1_11comp_targetILNS1_3genE0ELNS1_11target_archE4294967295ELNS1_3gpuE0ELNS1_3repE0EEENS1_30default_config_static_selectorELNS0_4arch9wavefront6targetE1EEEvT1_,comdat
	.protected	_ZN7rocprim17ROCPRIM_400000_NS6detail17trampoline_kernelINS0_14default_configENS1_20scan_config_selectorIfEEZZNS1_9scan_implILNS1_25lookback_scan_determinismE0ELb1ELb1ES3_N6thrust23THRUST_200600_302600_NS6detail15normal_iteratorINS9_10device_ptrIjEEEENSB_INSC_IiEEEEfNS9_4plusIvEEfEEDaPvRmT3_T4_T5_mT6_P12ihipStream_tbENKUlT_T0_E_clISt17integral_constantIbLb1EESV_IbLb0EEEEDaSR_SS_EUlSR_E0_NS1_11comp_targetILNS1_3genE0ELNS1_11target_archE4294967295ELNS1_3gpuE0ELNS1_3repE0EEENS1_30default_config_static_selectorELNS0_4arch9wavefront6targetE1EEEvT1_ ; -- Begin function _ZN7rocprim17ROCPRIM_400000_NS6detail17trampoline_kernelINS0_14default_configENS1_20scan_config_selectorIfEEZZNS1_9scan_implILNS1_25lookback_scan_determinismE0ELb1ELb1ES3_N6thrust23THRUST_200600_302600_NS6detail15normal_iteratorINS9_10device_ptrIjEEEENSB_INSC_IiEEEEfNS9_4plusIvEEfEEDaPvRmT3_T4_T5_mT6_P12ihipStream_tbENKUlT_T0_E_clISt17integral_constantIbLb1EESV_IbLb0EEEEDaSR_SS_EUlSR_E0_NS1_11comp_targetILNS1_3genE0ELNS1_11target_archE4294967295ELNS1_3gpuE0ELNS1_3repE0EEENS1_30default_config_static_selectorELNS0_4arch9wavefront6targetE1EEEvT1_
	.globl	_ZN7rocprim17ROCPRIM_400000_NS6detail17trampoline_kernelINS0_14default_configENS1_20scan_config_selectorIfEEZZNS1_9scan_implILNS1_25lookback_scan_determinismE0ELb1ELb1ES3_N6thrust23THRUST_200600_302600_NS6detail15normal_iteratorINS9_10device_ptrIjEEEENSB_INSC_IiEEEEfNS9_4plusIvEEfEEDaPvRmT3_T4_T5_mT6_P12ihipStream_tbENKUlT_T0_E_clISt17integral_constantIbLb1EESV_IbLb0EEEEDaSR_SS_EUlSR_E0_NS1_11comp_targetILNS1_3genE0ELNS1_11target_archE4294967295ELNS1_3gpuE0ELNS1_3repE0EEENS1_30default_config_static_selectorELNS0_4arch9wavefront6targetE1EEEvT1_
	.p2align	8
	.type	_ZN7rocprim17ROCPRIM_400000_NS6detail17trampoline_kernelINS0_14default_configENS1_20scan_config_selectorIfEEZZNS1_9scan_implILNS1_25lookback_scan_determinismE0ELb1ELb1ES3_N6thrust23THRUST_200600_302600_NS6detail15normal_iteratorINS9_10device_ptrIjEEEENSB_INSC_IiEEEEfNS9_4plusIvEEfEEDaPvRmT3_T4_T5_mT6_P12ihipStream_tbENKUlT_T0_E_clISt17integral_constantIbLb1EESV_IbLb0EEEEDaSR_SS_EUlSR_E0_NS1_11comp_targetILNS1_3genE0ELNS1_11target_archE4294967295ELNS1_3gpuE0ELNS1_3repE0EEENS1_30default_config_static_selectorELNS0_4arch9wavefront6targetE1EEEvT1_,@function
_ZN7rocprim17ROCPRIM_400000_NS6detail17trampoline_kernelINS0_14default_configENS1_20scan_config_selectorIfEEZZNS1_9scan_implILNS1_25lookback_scan_determinismE0ELb1ELb1ES3_N6thrust23THRUST_200600_302600_NS6detail15normal_iteratorINS9_10device_ptrIjEEEENSB_INSC_IiEEEEfNS9_4plusIvEEfEEDaPvRmT3_T4_T5_mT6_P12ihipStream_tbENKUlT_T0_E_clISt17integral_constantIbLb1EESV_IbLb0EEEEDaSR_SS_EUlSR_E0_NS1_11comp_targetILNS1_3genE0ELNS1_11target_archE4294967295ELNS1_3gpuE0ELNS1_3repE0EEENS1_30default_config_static_selectorELNS0_4arch9wavefront6targetE1EEEvT1_: ; @_ZN7rocprim17ROCPRIM_400000_NS6detail17trampoline_kernelINS0_14default_configENS1_20scan_config_selectorIfEEZZNS1_9scan_implILNS1_25lookback_scan_determinismE0ELb1ELb1ES3_N6thrust23THRUST_200600_302600_NS6detail15normal_iteratorINS9_10device_ptrIjEEEENSB_INSC_IiEEEEfNS9_4plusIvEEfEEDaPvRmT3_T4_T5_mT6_P12ihipStream_tbENKUlT_T0_E_clISt17integral_constantIbLb1EESV_IbLb0EEEEDaSR_SS_EUlSR_E0_NS1_11comp_targetILNS1_3genE0ELNS1_11target_archE4294967295ELNS1_3gpuE0ELNS1_3repE0EEENS1_30default_config_static_selectorELNS0_4arch9wavefront6targetE1EEEvT1_
; %bb.0:
	.section	.rodata,"a",@progbits
	.p2align	6, 0x0
	.amdhsa_kernel _ZN7rocprim17ROCPRIM_400000_NS6detail17trampoline_kernelINS0_14default_configENS1_20scan_config_selectorIfEEZZNS1_9scan_implILNS1_25lookback_scan_determinismE0ELb1ELb1ES3_N6thrust23THRUST_200600_302600_NS6detail15normal_iteratorINS9_10device_ptrIjEEEENSB_INSC_IiEEEEfNS9_4plusIvEEfEEDaPvRmT3_T4_T5_mT6_P12ihipStream_tbENKUlT_T0_E_clISt17integral_constantIbLb1EESV_IbLb0EEEEDaSR_SS_EUlSR_E0_NS1_11comp_targetILNS1_3genE0ELNS1_11target_archE4294967295ELNS1_3gpuE0ELNS1_3repE0EEENS1_30default_config_static_selectorELNS0_4arch9wavefront6targetE1EEEvT1_
		.amdhsa_group_segment_fixed_size 0
		.amdhsa_private_segment_fixed_size 0
		.amdhsa_kernarg_size 32
		.amdhsa_user_sgpr_count 6
		.amdhsa_user_sgpr_private_segment_buffer 1
		.amdhsa_user_sgpr_dispatch_ptr 0
		.amdhsa_user_sgpr_queue_ptr 0
		.amdhsa_user_sgpr_kernarg_segment_ptr 1
		.amdhsa_user_sgpr_dispatch_id 0
		.amdhsa_user_sgpr_flat_scratch_init 0
		.amdhsa_user_sgpr_kernarg_preload_length 0
		.amdhsa_user_sgpr_kernarg_preload_offset 0
		.amdhsa_user_sgpr_private_segment_size 0
		.amdhsa_uses_dynamic_stack 0
		.amdhsa_system_sgpr_private_segment_wavefront_offset 0
		.amdhsa_system_sgpr_workgroup_id_x 1
		.amdhsa_system_sgpr_workgroup_id_y 0
		.amdhsa_system_sgpr_workgroup_id_z 0
		.amdhsa_system_sgpr_workgroup_info 0
		.amdhsa_system_vgpr_workitem_id 0
		.amdhsa_next_free_vgpr 1
		.amdhsa_next_free_sgpr 0
		.amdhsa_accum_offset 4
		.amdhsa_reserve_vcc 0
		.amdhsa_reserve_flat_scratch 0
		.amdhsa_float_round_mode_32 0
		.amdhsa_float_round_mode_16_64 0
		.amdhsa_float_denorm_mode_32 3
		.amdhsa_float_denorm_mode_16_64 3
		.amdhsa_dx10_clamp 1
		.amdhsa_ieee_mode 1
		.amdhsa_fp16_overflow 0
		.amdhsa_tg_split 0
		.amdhsa_exception_fp_ieee_invalid_op 0
		.amdhsa_exception_fp_denorm_src 0
		.amdhsa_exception_fp_ieee_div_zero 0
		.amdhsa_exception_fp_ieee_overflow 0
		.amdhsa_exception_fp_ieee_underflow 0
		.amdhsa_exception_fp_ieee_inexact 0
		.amdhsa_exception_int_div_zero 0
	.end_amdhsa_kernel
	.section	.text._ZN7rocprim17ROCPRIM_400000_NS6detail17trampoline_kernelINS0_14default_configENS1_20scan_config_selectorIfEEZZNS1_9scan_implILNS1_25lookback_scan_determinismE0ELb1ELb1ES3_N6thrust23THRUST_200600_302600_NS6detail15normal_iteratorINS9_10device_ptrIjEEEENSB_INSC_IiEEEEfNS9_4plusIvEEfEEDaPvRmT3_T4_T5_mT6_P12ihipStream_tbENKUlT_T0_E_clISt17integral_constantIbLb1EESV_IbLb0EEEEDaSR_SS_EUlSR_E0_NS1_11comp_targetILNS1_3genE0ELNS1_11target_archE4294967295ELNS1_3gpuE0ELNS1_3repE0EEENS1_30default_config_static_selectorELNS0_4arch9wavefront6targetE1EEEvT1_,"axG",@progbits,_ZN7rocprim17ROCPRIM_400000_NS6detail17trampoline_kernelINS0_14default_configENS1_20scan_config_selectorIfEEZZNS1_9scan_implILNS1_25lookback_scan_determinismE0ELb1ELb1ES3_N6thrust23THRUST_200600_302600_NS6detail15normal_iteratorINS9_10device_ptrIjEEEENSB_INSC_IiEEEEfNS9_4plusIvEEfEEDaPvRmT3_T4_T5_mT6_P12ihipStream_tbENKUlT_T0_E_clISt17integral_constantIbLb1EESV_IbLb0EEEEDaSR_SS_EUlSR_E0_NS1_11comp_targetILNS1_3genE0ELNS1_11target_archE4294967295ELNS1_3gpuE0ELNS1_3repE0EEENS1_30default_config_static_selectorELNS0_4arch9wavefront6targetE1EEEvT1_,comdat
.Lfunc_end6349:
	.size	_ZN7rocprim17ROCPRIM_400000_NS6detail17trampoline_kernelINS0_14default_configENS1_20scan_config_selectorIfEEZZNS1_9scan_implILNS1_25lookback_scan_determinismE0ELb1ELb1ES3_N6thrust23THRUST_200600_302600_NS6detail15normal_iteratorINS9_10device_ptrIjEEEENSB_INSC_IiEEEEfNS9_4plusIvEEfEEDaPvRmT3_T4_T5_mT6_P12ihipStream_tbENKUlT_T0_E_clISt17integral_constantIbLb1EESV_IbLb0EEEEDaSR_SS_EUlSR_E0_NS1_11comp_targetILNS1_3genE0ELNS1_11target_archE4294967295ELNS1_3gpuE0ELNS1_3repE0EEENS1_30default_config_static_selectorELNS0_4arch9wavefront6targetE1EEEvT1_, .Lfunc_end6349-_ZN7rocprim17ROCPRIM_400000_NS6detail17trampoline_kernelINS0_14default_configENS1_20scan_config_selectorIfEEZZNS1_9scan_implILNS1_25lookback_scan_determinismE0ELb1ELb1ES3_N6thrust23THRUST_200600_302600_NS6detail15normal_iteratorINS9_10device_ptrIjEEEENSB_INSC_IiEEEEfNS9_4plusIvEEfEEDaPvRmT3_T4_T5_mT6_P12ihipStream_tbENKUlT_T0_E_clISt17integral_constantIbLb1EESV_IbLb0EEEEDaSR_SS_EUlSR_E0_NS1_11comp_targetILNS1_3genE0ELNS1_11target_archE4294967295ELNS1_3gpuE0ELNS1_3repE0EEENS1_30default_config_static_selectorELNS0_4arch9wavefront6targetE1EEEvT1_
                                        ; -- End function
	.section	.AMDGPU.csdata,"",@progbits
; Kernel info:
; codeLenInByte = 0
; NumSgprs: 4
; NumVgprs: 0
; NumAgprs: 0
; TotalNumVgprs: 0
; ScratchSize: 0
; MemoryBound: 0
; FloatMode: 240
; IeeeMode: 1
; LDSByteSize: 0 bytes/workgroup (compile time only)
; SGPRBlocks: 0
; VGPRBlocks: 0
; NumSGPRsForWavesPerEU: 4
; NumVGPRsForWavesPerEU: 1
; AccumOffset: 4
; Occupancy: 8
; WaveLimiterHint : 0
; COMPUTE_PGM_RSRC2:SCRATCH_EN: 0
; COMPUTE_PGM_RSRC2:USER_SGPR: 6
; COMPUTE_PGM_RSRC2:TRAP_HANDLER: 0
; COMPUTE_PGM_RSRC2:TGID_X_EN: 1
; COMPUTE_PGM_RSRC2:TGID_Y_EN: 0
; COMPUTE_PGM_RSRC2:TGID_Z_EN: 0
; COMPUTE_PGM_RSRC2:TIDIG_COMP_CNT: 0
; COMPUTE_PGM_RSRC3_GFX90A:ACCUM_OFFSET: 0
; COMPUTE_PGM_RSRC3_GFX90A:TG_SPLIT: 0
	.section	.text._ZN7rocprim17ROCPRIM_400000_NS6detail17trampoline_kernelINS0_14default_configENS1_20scan_config_selectorIfEEZZNS1_9scan_implILNS1_25lookback_scan_determinismE0ELb1ELb1ES3_N6thrust23THRUST_200600_302600_NS6detail15normal_iteratorINS9_10device_ptrIjEEEENSB_INSC_IiEEEEfNS9_4plusIvEEfEEDaPvRmT3_T4_T5_mT6_P12ihipStream_tbENKUlT_T0_E_clISt17integral_constantIbLb1EESV_IbLb0EEEEDaSR_SS_EUlSR_E0_NS1_11comp_targetILNS1_3genE5ELNS1_11target_archE942ELNS1_3gpuE9ELNS1_3repE0EEENS1_30default_config_static_selectorELNS0_4arch9wavefront6targetE1EEEvT1_,"axG",@progbits,_ZN7rocprim17ROCPRIM_400000_NS6detail17trampoline_kernelINS0_14default_configENS1_20scan_config_selectorIfEEZZNS1_9scan_implILNS1_25lookback_scan_determinismE0ELb1ELb1ES3_N6thrust23THRUST_200600_302600_NS6detail15normal_iteratorINS9_10device_ptrIjEEEENSB_INSC_IiEEEEfNS9_4plusIvEEfEEDaPvRmT3_T4_T5_mT6_P12ihipStream_tbENKUlT_T0_E_clISt17integral_constantIbLb1EESV_IbLb0EEEEDaSR_SS_EUlSR_E0_NS1_11comp_targetILNS1_3genE5ELNS1_11target_archE942ELNS1_3gpuE9ELNS1_3repE0EEENS1_30default_config_static_selectorELNS0_4arch9wavefront6targetE1EEEvT1_,comdat
	.protected	_ZN7rocprim17ROCPRIM_400000_NS6detail17trampoline_kernelINS0_14default_configENS1_20scan_config_selectorIfEEZZNS1_9scan_implILNS1_25lookback_scan_determinismE0ELb1ELb1ES3_N6thrust23THRUST_200600_302600_NS6detail15normal_iteratorINS9_10device_ptrIjEEEENSB_INSC_IiEEEEfNS9_4plusIvEEfEEDaPvRmT3_T4_T5_mT6_P12ihipStream_tbENKUlT_T0_E_clISt17integral_constantIbLb1EESV_IbLb0EEEEDaSR_SS_EUlSR_E0_NS1_11comp_targetILNS1_3genE5ELNS1_11target_archE942ELNS1_3gpuE9ELNS1_3repE0EEENS1_30default_config_static_selectorELNS0_4arch9wavefront6targetE1EEEvT1_ ; -- Begin function _ZN7rocprim17ROCPRIM_400000_NS6detail17trampoline_kernelINS0_14default_configENS1_20scan_config_selectorIfEEZZNS1_9scan_implILNS1_25lookback_scan_determinismE0ELb1ELb1ES3_N6thrust23THRUST_200600_302600_NS6detail15normal_iteratorINS9_10device_ptrIjEEEENSB_INSC_IiEEEEfNS9_4plusIvEEfEEDaPvRmT3_T4_T5_mT6_P12ihipStream_tbENKUlT_T0_E_clISt17integral_constantIbLb1EESV_IbLb0EEEEDaSR_SS_EUlSR_E0_NS1_11comp_targetILNS1_3genE5ELNS1_11target_archE942ELNS1_3gpuE9ELNS1_3repE0EEENS1_30default_config_static_selectorELNS0_4arch9wavefront6targetE1EEEvT1_
	.globl	_ZN7rocprim17ROCPRIM_400000_NS6detail17trampoline_kernelINS0_14default_configENS1_20scan_config_selectorIfEEZZNS1_9scan_implILNS1_25lookback_scan_determinismE0ELb1ELb1ES3_N6thrust23THRUST_200600_302600_NS6detail15normal_iteratorINS9_10device_ptrIjEEEENSB_INSC_IiEEEEfNS9_4plusIvEEfEEDaPvRmT3_T4_T5_mT6_P12ihipStream_tbENKUlT_T0_E_clISt17integral_constantIbLb1EESV_IbLb0EEEEDaSR_SS_EUlSR_E0_NS1_11comp_targetILNS1_3genE5ELNS1_11target_archE942ELNS1_3gpuE9ELNS1_3repE0EEENS1_30default_config_static_selectorELNS0_4arch9wavefront6targetE1EEEvT1_
	.p2align	8
	.type	_ZN7rocprim17ROCPRIM_400000_NS6detail17trampoline_kernelINS0_14default_configENS1_20scan_config_selectorIfEEZZNS1_9scan_implILNS1_25lookback_scan_determinismE0ELb1ELb1ES3_N6thrust23THRUST_200600_302600_NS6detail15normal_iteratorINS9_10device_ptrIjEEEENSB_INSC_IiEEEEfNS9_4plusIvEEfEEDaPvRmT3_T4_T5_mT6_P12ihipStream_tbENKUlT_T0_E_clISt17integral_constantIbLb1EESV_IbLb0EEEEDaSR_SS_EUlSR_E0_NS1_11comp_targetILNS1_3genE5ELNS1_11target_archE942ELNS1_3gpuE9ELNS1_3repE0EEENS1_30default_config_static_selectorELNS0_4arch9wavefront6targetE1EEEvT1_,@function
_ZN7rocprim17ROCPRIM_400000_NS6detail17trampoline_kernelINS0_14default_configENS1_20scan_config_selectorIfEEZZNS1_9scan_implILNS1_25lookback_scan_determinismE0ELb1ELb1ES3_N6thrust23THRUST_200600_302600_NS6detail15normal_iteratorINS9_10device_ptrIjEEEENSB_INSC_IiEEEEfNS9_4plusIvEEfEEDaPvRmT3_T4_T5_mT6_P12ihipStream_tbENKUlT_T0_E_clISt17integral_constantIbLb1EESV_IbLb0EEEEDaSR_SS_EUlSR_E0_NS1_11comp_targetILNS1_3genE5ELNS1_11target_archE942ELNS1_3gpuE9ELNS1_3repE0EEENS1_30default_config_static_selectorELNS0_4arch9wavefront6targetE1EEEvT1_: ; @_ZN7rocprim17ROCPRIM_400000_NS6detail17trampoline_kernelINS0_14default_configENS1_20scan_config_selectorIfEEZZNS1_9scan_implILNS1_25lookback_scan_determinismE0ELb1ELb1ES3_N6thrust23THRUST_200600_302600_NS6detail15normal_iteratorINS9_10device_ptrIjEEEENSB_INSC_IiEEEEfNS9_4plusIvEEfEEDaPvRmT3_T4_T5_mT6_P12ihipStream_tbENKUlT_T0_E_clISt17integral_constantIbLb1EESV_IbLb0EEEEDaSR_SS_EUlSR_E0_NS1_11comp_targetILNS1_3genE5ELNS1_11target_archE942ELNS1_3gpuE9ELNS1_3repE0EEENS1_30default_config_static_selectorELNS0_4arch9wavefront6targetE1EEEvT1_
; %bb.0:
	.section	.rodata,"a",@progbits
	.p2align	6, 0x0
	.amdhsa_kernel _ZN7rocprim17ROCPRIM_400000_NS6detail17trampoline_kernelINS0_14default_configENS1_20scan_config_selectorIfEEZZNS1_9scan_implILNS1_25lookback_scan_determinismE0ELb1ELb1ES3_N6thrust23THRUST_200600_302600_NS6detail15normal_iteratorINS9_10device_ptrIjEEEENSB_INSC_IiEEEEfNS9_4plusIvEEfEEDaPvRmT3_T4_T5_mT6_P12ihipStream_tbENKUlT_T0_E_clISt17integral_constantIbLb1EESV_IbLb0EEEEDaSR_SS_EUlSR_E0_NS1_11comp_targetILNS1_3genE5ELNS1_11target_archE942ELNS1_3gpuE9ELNS1_3repE0EEENS1_30default_config_static_selectorELNS0_4arch9wavefront6targetE1EEEvT1_
		.amdhsa_group_segment_fixed_size 0
		.amdhsa_private_segment_fixed_size 0
		.amdhsa_kernarg_size 32
		.amdhsa_user_sgpr_count 6
		.amdhsa_user_sgpr_private_segment_buffer 1
		.amdhsa_user_sgpr_dispatch_ptr 0
		.amdhsa_user_sgpr_queue_ptr 0
		.amdhsa_user_sgpr_kernarg_segment_ptr 1
		.amdhsa_user_sgpr_dispatch_id 0
		.amdhsa_user_sgpr_flat_scratch_init 0
		.amdhsa_user_sgpr_kernarg_preload_length 0
		.amdhsa_user_sgpr_kernarg_preload_offset 0
		.amdhsa_user_sgpr_private_segment_size 0
		.amdhsa_uses_dynamic_stack 0
		.amdhsa_system_sgpr_private_segment_wavefront_offset 0
		.amdhsa_system_sgpr_workgroup_id_x 1
		.amdhsa_system_sgpr_workgroup_id_y 0
		.amdhsa_system_sgpr_workgroup_id_z 0
		.amdhsa_system_sgpr_workgroup_info 0
		.amdhsa_system_vgpr_workitem_id 0
		.amdhsa_next_free_vgpr 1
		.amdhsa_next_free_sgpr 0
		.amdhsa_accum_offset 4
		.amdhsa_reserve_vcc 0
		.amdhsa_reserve_flat_scratch 0
		.amdhsa_float_round_mode_32 0
		.amdhsa_float_round_mode_16_64 0
		.amdhsa_float_denorm_mode_32 3
		.amdhsa_float_denorm_mode_16_64 3
		.amdhsa_dx10_clamp 1
		.amdhsa_ieee_mode 1
		.amdhsa_fp16_overflow 0
		.amdhsa_tg_split 0
		.amdhsa_exception_fp_ieee_invalid_op 0
		.amdhsa_exception_fp_denorm_src 0
		.amdhsa_exception_fp_ieee_div_zero 0
		.amdhsa_exception_fp_ieee_overflow 0
		.amdhsa_exception_fp_ieee_underflow 0
		.amdhsa_exception_fp_ieee_inexact 0
		.amdhsa_exception_int_div_zero 0
	.end_amdhsa_kernel
	.section	.text._ZN7rocprim17ROCPRIM_400000_NS6detail17trampoline_kernelINS0_14default_configENS1_20scan_config_selectorIfEEZZNS1_9scan_implILNS1_25lookback_scan_determinismE0ELb1ELb1ES3_N6thrust23THRUST_200600_302600_NS6detail15normal_iteratorINS9_10device_ptrIjEEEENSB_INSC_IiEEEEfNS9_4plusIvEEfEEDaPvRmT3_T4_T5_mT6_P12ihipStream_tbENKUlT_T0_E_clISt17integral_constantIbLb1EESV_IbLb0EEEEDaSR_SS_EUlSR_E0_NS1_11comp_targetILNS1_3genE5ELNS1_11target_archE942ELNS1_3gpuE9ELNS1_3repE0EEENS1_30default_config_static_selectorELNS0_4arch9wavefront6targetE1EEEvT1_,"axG",@progbits,_ZN7rocprim17ROCPRIM_400000_NS6detail17trampoline_kernelINS0_14default_configENS1_20scan_config_selectorIfEEZZNS1_9scan_implILNS1_25lookback_scan_determinismE0ELb1ELb1ES3_N6thrust23THRUST_200600_302600_NS6detail15normal_iteratorINS9_10device_ptrIjEEEENSB_INSC_IiEEEEfNS9_4plusIvEEfEEDaPvRmT3_T4_T5_mT6_P12ihipStream_tbENKUlT_T0_E_clISt17integral_constantIbLb1EESV_IbLb0EEEEDaSR_SS_EUlSR_E0_NS1_11comp_targetILNS1_3genE5ELNS1_11target_archE942ELNS1_3gpuE9ELNS1_3repE0EEENS1_30default_config_static_selectorELNS0_4arch9wavefront6targetE1EEEvT1_,comdat
.Lfunc_end6350:
	.size	_ZN7rocprim17ROCPRIM_400000_NS6detail17trampoline_kernelINS0_14default_configENS1_20scan_config_selectorIfEEZZNS1_9scan_implILNS1_25lookback_scan_determinismE0ELb1ELb1ES3_N6thrust23THRUST_200600_302600_NS6detail15normal_iteratorINS9_10device_ptrIjEEEENSB_INSC_IiEEEEfNS9_4plusIvEEfEEDaPvRmT3_T4_T5_mT6_P12ihipStream_tbENKUlT_T0_E_clISt17integral_constantIbLb1EESV_IbLb0EEEEDaSR_SS_EUlSR_E0_NS1_11comp_targetILNS1_3genE5ELNS1_11target_archE942ELNS1_3gpuE9ELNS1_3repE0EEENS1_30default_config_static_selectorELNS0_4arch9wavefront6targetE1EEEvT1_, .Lfunc_end6350-_ZN7rocprim17ROCPRIM_400000_NS6detail17trampoline_kernelINS0_14default_configENS1_20scan_config_selectorIfEEZZNS1_9scan_implILNS1_25lookback_scan_determinismE0ELb1ELb1ES3_N6thrust23THRUST_200600_302600_NS6detail15normal_iteratorINS9_10device_ptrIjEEEENSB_INSC_IiEEEEfNS9_4plusIvEEfEEDaPvRmT3_T4_T5_mT6_P12ihipStream_tbENKUlT_T0_E_clISt17integral_constantIbLb1EESV_IbLb0EEEEDaSR_SS_EUlSR_E0_NS1_11comp_targetILNS1_3genE5ELNS1_11target_archE942ELNS1_3gpuE9ELNS1_3repE0EEENS1_30default_config_static_selectorELNS0_4arch9wavefront6targetE1EEEvT1_
                                        ; -- End function
	.section	.AMDGPU.csdata,"",@progbits
; Kernel info:
; codeLenInByte = 0
; NumSgprs: 4
; NumVgprs: 0
; NumAgprs: 0
; TotalNumVgprs: 0
; ScratchSize: 0
; MemoryBound: 0
; FloatMode: 240
; IeeeMode: 1
; LDSByteSize: 0 bytes/workgroup (compile time only)
; SGPRBlocks: 0
; VGPRBlocks: 0
; NumSGPRsForWavesPerEU: 4
; NumVGPRsForWavesPerEU: 1
; AccumOffset: 4
; Occupancy: 8
; WaveLimiterHint : 0
; COMPUTE_PGM_RSRC2:SCRATCH_EN: 0
; COMPUTE_PGM_RSRC2:USER_SGPR: 6
; COMPUTE_PGM_RSRC2:TRAP_HANDLER: 0
; COMPUTE_PGM_RSRC2:TGID_X_EN: 1
; COMPUTE_PGM_RSRC2:TGID_Y_EN: 0
; COMPUTE_PGM_RSRC2:TGID_Z_EN: 0
; COMPUTE_PGM_RSRC2:TIDIG_COMP_CNT: 0
; COMPUTE_PGM_RSRC3_GFX90A:ACCUM_OFFSET: 0
; COMPUTE_PGM_RSRC3_GFX90A:TG_SPLIT: 0
	.section	.text._ZN7rocprim17ROCPRIM_400000_NS6detail17trampoline_kernelINS0_14default_configENS1_20scan_config_selectorIfEEZZNS1_9scan_implILNS1_25lookback_scan_determinismE0ELb1ELb1ES3_N6thrust23THRUST_200600_302600_NS6detail15normal_iteratorINS9_10device_ptrIjEEEENSB_INSC_IiEEEEfNS9_4plusIvEEfEEDaPvRmT3_T4_T5_mT6_P12ihipStream_tbENKUlT_T0_E_clISt17integral_constantIbLb1EESV_IbLb0EEEEDaSR_SS_EUlSR_E0_NS1_11comp_targetILNS1_3genE4ELNS1_11target_archE910ELNS1_3gpuE8ELNS1_3repE0EEENS1_30default_config_static_selectorELNS0_4arch9wavefront6targetE1EEEvT1_,"axG",@progbits,_ZN7rocprim17ROCPRIM_400000_NS6detail17trampoline_kernelINS0_14default_configENS1_20scan_config_selectorIfEEZZNS1_9scan_implILNS1_25lookback_scan_determinismE0ELb1ELb1ES3_N6thrust23THRUST_200600_302600_NS6detail15normal_iteratorINS9_10device_ptrIjEEEENSB_INSC_IiEEEEfNS9_4plusIvEEfEEDaPvRmT3_T4_T5_mT6_P12ihipStream_tbENKUlT_T0_E_clISt17integral_constantIbLb1EESV_IbLb0EEEEDaSR_SS_EUlSR_E0_NS1_11comp_targetILNS1_3genE4ELNS1_11target_archE910ELNS1_3gpuE8ELNS1_3repE0EEENS1_30default_config_static_selectorELNS0_4arch9wavefront6targetE1EEEvT1_,comdat
	.protected	_ZN7rocprim17ROCPRIM_400000_NS6detail17trampoline_kernelINS0_14default_configENS1_20scan_config_selectorIfEEZZNS1_9scan_implILNS1_25lookback_scan_determinismE0ELb1ELb1ES3_N6thrust23THRUST_200600_302600_NS6detail15normal_iteratorINS9_10device_ptrIjEEEENSB_INSC_IiEEEEfNS9_4plusIvEEfEEDaPvRmT3_T4_T5_mT6_P12ihipStream_tbENKUlT_T0_E_clISt17integral_constantIbLb1EESV_IbLb0EEEEDaSR_SS_EUlSR_E0_NS1_11comp_targetILNS1_3genE4ELNS1_11target_archE910ELNS1_3gpuE8ELNS1_3repE0EEENS1_30default_config_static_selectorELNS0_4arch9wavefront6targetE1EEEvT1_ ; -- Begin function _ZN7rocprim17ROCPRIM_400000_NS6detail17trampoline_kernelINS0_14default_configENS1_20scan_config_selectorIfEEZZNS1_9scan_implILNS1_25lookback_scan_determinismE0ELb1ELb1ES3_N6thrust23THRUST_200600_302600_NS6detail15normal_iteratorINS9_10device_ptrIjEEEENSB_INSC_IiEEEEfNS9_4plusIvEEfEEDaPvRmT3_T4_T5_mT6_P12ihipStream_tbENKUlT_T0_E_clISt17integral_constantIbLb1EESV_IbLb0EEEEDaSR_SS_EUlSR_E0_NS1_11comp_targetILNS1_3genE4ELNS1_11target_archE910ELNS1_3gpuE8ELNS1_3repE0EEENS1_30default_config_static_selectorELNS0_4arch9wavefront6targetE1EEEvT1_
	.globl	_ZN7rocprim17ROCPRIM_400000_NS6detail17trampoline_kernelINS0_14default_configENS1_20scan_config_selectorIfEEZZNS1_9scan_implILNS1_25lookback_scan_determinismE0ELb1ELb1ES3_N6thrust23THRUST_200600_302600_NS6detail15normal_iteratorINS9_10device_ptrIjEEEENSB_INSC_IiEEEEfNS9_4plusIvEEfEEDaPvRmT3_T4_T5_mT6_P12ihipStream_tbENKUlT_T0_E_clISt17integral_constantIbLb1EESV_IbLb0EEEEDaSR_SS_EUlSR_E0_NS1_11comp_targetILNS1_3genE4ELNS1_11target_archE910ELNS1_3gpuE8ELNS1_3repE0EEENS1_30default_config_static_selectorELNS0_4arch9wavefront6targetE1EEEvT1_
	.p2align	8
	.type	_ZN7rocprim17ROCPRIM_400000_NS6detail17trampoline_kernelINS0_14default_configENS1_20scan_config_selectorIfEEZZNS1_9scan_implILNS1_25lookback_scan_determinismE0ELb1ELb1ES3_N6thrust23THRUST_200600_302600_NS6detail15normal_iteratorINS9_10device_ptrIjEEEENSB_INSC_IiEEEEfNS9_4plusIvEEfEEDaPvRmT3_T4_T5_mT6_P12ihipStream_tbENKUlT_T0_E_clISt17integral_constantIbLb1EESV_IbLb0EEEEDaSR_SS_EUlSR_E0_NS1_11comp_targetILNS1_3genE4ELNS1_11target_archE910ELNS1_3gpuE8ELNS1_3repE0EEENS1_30default_config_static_selectorELNS0_4arch9wavefront6targetE1EEEvT1_,@function
_ZN7rocprim17ROCPRIM_400000_NS6detail17trampoline_kernelINS0_14default_configENS1_20scan_config_selectorIfEEZZNS1_9scan_implILNS1_25lookback_scan_determinismE0ELb1ELb1ES3_N6thrust23THRUST_200600_302600_NS6detail15normal_iteratorINS9_10device_ptrIjEEEENSB_INSC_IiEEEEfNS9_4plusIvEEfEEDaPvRmT3_T4_T5_mT6_P12ihipStream_tbENKUlT_T0_E_clISt17integral_constantIbLb1EESV_IbLb0EEEEDaSR_SS_EUlSR_E0_NS1_11comp_targetILNS1_3genE4ELNS1_11target_archE910ELNS1_3gpuE8ELNS1_3repE0EEENS1_30default_config_static_selectorELNS0_4arch9wavefront6targetE1EEEvT1_: ; @_ZN7rocprim17ROCPRIM_400000_NS6detail17trampoline_kernelINS0_14default_configENS1_20scan_config_selectorIfEEZZNS1_9scan_implILNS1_25lookback_scan_determinismE0ELb1ELb1ES3_N6thrust23THRUST_200600_302600_NS6detail15normal_iteratorINS9_10device_ptrIjEEEENSB_INSC_IiEEEEfNS9_4plusIvEEfEEDaPvRmT3_T4_T5_mT6_P12ihipStream_tbENKUlT_T0_E_clISt17integral_constantIbLb1EESV_IbLb0EEEEDaSR_SS_EUlSR_E0_NS1_11comp_targetILNS1_3genE4ELNS1_11target_archE910ELNS1_3gpuE8ELNS1_3repE0EEENS1_30default_config_static_selectorELNS0_4arch9wavefront6targetE1EEEvT1_
; %bb.0:
	s_load_dwordx4 s[28:31], s[4:5], 0x0
	v_lshlrev_b32_e32 v18, 2, v0
	s_waitcnt lgkmcnt(0)
	s_load_dword s0, s[28:29], 0x0
	v_cmp_gt_u32_e32 vcc, s30, v0
	s_waitcnt lgkmcnt(0)
	v_cvt_f32_u32_e32 v1, s0
	v_mov_b32_e32 v2, v1
	s_and_saveexec_b64 s[0:1], vcc
	s_cbranch_execz .LBB6351_2
; %bb.1:
	global_load_dword v2, v18, s[28:29]
	s_waitcnt vmcnt(0)
	v_cvt_f32_u32_e32 v2, v2
.LBB6351_2:
	s_or_b64 exec, exec, s[0:1]
	v_or_b32_e32 v3, 0x80, v0
	v_cmp_gt_u32_e64 s[0:1], s30, v3
	v_mov_b32_e32 v3, v1
	s_and_saveexec_b64 s[2:3], s[0:1]
	s_cbranch_execz .LBB6351_4
; %bb.3:
	global_load_dword v3, v18, s[28:29] offset:512
	s_waitcnt vmcnt(0)
	v_cvt_f32_u32_e32 v3, v3
.LBB6351_4:
	s_or_b64 exec, exec, s[2:3]
	v_or_b32_e32 v4, 0x100, v0
	v_cmp_gt_u32_e64 s[2:3], s30, v4
	v_mov_b32_e32 v4, v1
	s_and_saveexec_b64 s[6:7], s[2:3]
	s_cbranch_execz .LBB6351_6
; %bb.5:
	global_load_dword v4, v18, s[28:29] offset:1024
	s_waitcnt vmcnt(0)
	v_cvt_f32_u32_e32 v4, v4
.LBB6351_6:
	;; [unrolled: 11-line block ×7, first 2 shown]
	s_or_b64 exec, exec, s[14:15]
	v_or_b32_e32 v11, 0x400, v0
	v_cmp_gt_u32_e64 s[14:15], s30, v11
	v_mov_b32_e32 v10, v1
	s_and_saveexec_b64 s[16:17], s[14:15]
	s_cbranch_execz .LBB6351_18
; %bb.17:
	v_lshlrev_b32_e32 v10, 2, v11
	global_load_dword v10, v10, s[28:29]
	s_waitcnt vmcnt(0)
	v_cvt_f32_u32_e32 v10, v10
.LBB6351_18:
	s_or_b64 exec, exec, s[16:17]
	v_or_b32_e32 v12, 0x480, v0
	v_cmp_gt_u32_e64 s[16:17], s30, v12
	v_mov_b32_e32 v11, v1
	s_and_saveexec_b64 s[18:19], s[16:17]
	s_cbranch_execz .LBB6351_20
; %bb.19:
	v_lshlrev_b32_e32 v11, 2, v12
	global_load_dword v11, v11, s[28:29]
	s_waitcnt vmcnt(0)
	v_cvt_f32_u32_e32 v11, v11
.LBB6351_20:
	;; [unrolled: 12-line block ×5, first 2 shown]
	s_or_b64 exec, exec, s[24:25]
	s_load_dword s33, s[4:5], 0x10
	v_or_b32_e32 v15, 0x680, v0
	v_cmp_gt_u32_e64 s[24:25], s30, v15
	s_and_saveexec_b64 s[30:31], s[24:25]
	s_cbranch_execz .LBB6351_28
; %bb.27:
	v_lshlrev_b32_e32 v1, 2, v15
	global_load_dword v1, v1, s[28:29]
	s_waitcnt vmcnt(0)
	v_cvt_f32_u32_e32 v1, v1
.LBB6351_28:
	s_or_b64 exec, exec, s[30:31]
	ds_write2st64_b32 v18, v2, v3 offset1:2
	ds_write2st64_b32 v18, v4, v5 offset0:4 offset1:6
	ds_write2st64_b32 v18, v6, v7 offset0:8 offset1:10
	;; [unrolled: 1-line block ×6, first 2 shown]
	v_mad_u32_u24 v1, v0, 52, v18
	s_waitcnt lgkmcnt(0)
	s_barrier
	ds_read2_b64 v[10:13], v1 offset1:1
	ds_read2_b64 v[6:9], v1 offset0:2 offset1:3
	ds_read2_b64 v[2:5], v1 offset0:4 offset1:5
	ds_read_b64 v[14:15], v1 offset:48
	s_load_dwordx2 s[34:35], s[4:5], 0x18
	s_waitcnt lgkmcnt(0)
	v_add_f32_e32 v16, v10, v11
	v_add_f32_e32 v16, v16, v12
	;; [unrolled: 1-line block ×13, first 2 shown]
	v_lshrrev_b32_e32 v16, 3, v0
	v_and_b32_e32 v16, 12, v16
	v_add_u32_e32 v16, v18, v16
	v_cmp_gt_u32_e64 s[4:5], 64, v0
	s_barrier
	ds_write_b32 v16, v15
	s_waitcnt lgkmcnt(0)
	s_barrier
	s_and_saveexec_b64 s[36:37], s[4:5]
	s_cbranch_execz .LBB6351_30
; %bb.29:
	v_lshlrev_b32_e32 v16, 1, v0
	v_lshrrev_b32_e32 v17, 4, v0
	v_add_lshl_u32 v19, v17, v16, 2
	ds_read2_b32 v[16:17], v19 offset1:1
	v_mbcnt_lo_u32_b32 v20, -1, 0
	v_mbcnt_hi_u32_b32 v20, -1, v20
	v_and_b32_e32 v21, 15, v20
	v_cmp_eq_u32_e64 s[4:5], 0, v21
	s_waitcnt lgkmcnt(0)
	v_add_f32_e32 v17, v16, v17
	v_cmp_lt_u32_e64 s[28:29], 3, v21
	v_cmp_lt_u32_e64 s[30:31], 31, v20
	v_mov_b32_dpp v22, v17 row_shr:1 row_mask:0xf bank_mask:0xf
	v_add_f32_e32 v22, v17, v22
	v_cndmask_b32_e64 v17, v22, v17, s[4:5]
	v_cmp_lt_u32_e64 s[4:5], 1, v21
	s_nop 0
	v_mov_b32_dpp v22, v17 row_shr:2 row_mask:0xf bank_mask:0xf
	v_add_f32_e32 v22, v17, v22
	v_cndmask_b32_e64 v22, v17, v22, s[4:5]
	; wave barrier
	s_nop 1
	v_mov_b32_dpp v23, v22 row_shr:4 row_mask:0xf bank_mask:0xf
	v_add_f32_e32 v23, v22, v23
	v_cndmask_b32_e64 v22, v22, v23, s[28:29]
	v_cmp_lt_u32_e64 s[28:29], 7, v21
	s_nop 0
	v_mov_b32_dpp v23, v22 row_shr:8 row_mask:0xf bank_mask:0xf
	v_add_f32_e32 v23, v22, v23
	v_cndmask_b32_e64 v21, v22, v23, s[28:29]
	v_and_b32_e32 v23, 16, v20
	v_cmp_eq_u32_e64 s[28:29], 0, v23
	v_mov_b32_dpp v22, v21 row_bcast:15 row_mask:0xf bank_mask:0xf
	v_add_f32_e32 v22, v21, v22
	v_cndmask_b32_e64 v21, v22, v21, s[28:29]
	v_cmp_lt_u32_e64 s[28:29], 15, v20
	s_or_b64 s[4:5], s[28:29], s[4:5]
	v_mov_b32_dpp v22, v21 row_bcast:31 row_mask:0xf bank_mask:0xf
	v_add_f32_e32 v22, v21, v22
	v_cndmask_b32_e64 v21, v21, v22, s[30:31]
	v_cndmask_b32_e64 v17, v17, v21, s[4:5]
	v_add_u32_e32 v21, -1, v20
	v_and_b32_e32 v22, 64, v20
	v_cmp_lt_i32_e64 s[4:5], v21, v22
	v_cndmask_b32_e64 v20, v21, v20, s[4:5]
	v_lshlrev_b32_e32 v20, 2, v20
	ds_bpermute_b32 v17, v20, v17
	v_cmp_eq_u32_e64 s[4:5], 0, v0
	s_waitcnt lgkmcnt(0)
	v_add_f32_e32 v16, v16, v17
	v_cndmask_b32_e64 v15, v16, v15, s[4:5]
	ds_write_b32 v19, v15
	; wave barrier
	ds_read_b32 v16, v19 offset:4
	s_waitcnt lgkmcnt(0)
	v_add_f32_e32 v15, v15, v16
	ds_write_b32 v19, v15 offset:4
.LBB6351_30:
	s_or_b64 exec, exec, s[36:37]
	v_cmp_ne_u32_e64 s[4:5], 0, v0
	v_mov_b32_e32 v16, s33
	s_waitcnt lgkmcnt(0)
	s_barrier
	s_and_saveexec_b64 s[28:29], s[4:5]
	s_cbranch_execz .LBB6351_32
; %bb.31:
	v_add_u32_e32 v15, -1, v0
	v_lshrrev_b32_e32 v16, 5, v15
	v_add_lshl_u32 v15, v16, v15, 2
	ds_read_b32 v15, v15
	s_waitcnt lgkmcnt(0)
	v_add_f32_e32 v16, s33, v15
.LBB6351_32:
	s_or_b64 exec, exec, s[28:29]
	v_add_f32_e32 v17, v10, v16
	v_add_f32_e32 v10, v11, v17
	;; [unrolled: 1-line block ×12, first 2 shown]
	s_movk_i32 s4, 0xffcc
	v_add_f32_e32 v5, v14, v4
	v_mad_i32_i24 v0, v0, s4, v1
	s_barrier
	ds_write2_b64 v1, v[16:17], v[10:11] offset1:1
	ds_write2_b64 v1, v[12:13], v[6:7] offset0:2 offset1:3
	ds_write2_b64 v1, v[8:9], v[2:3] offset0:4 offset1:5
	ds_write_b64 v1, v[4:5] offset:48
	s_waitcnt lgkmcnt(0)
	s_barrier
	ds_read2st64_b32 v[12:13], v0 offset0:2 offset1:4
	ds_read2st64_b32 v[10:11], v0 offset0:6 offset1:8
	;; [unrolled: 1-line block ×4, first 2 shown]
	ds_read_b32 v14, v18 offset:4096
	ds_read2st64_b32 v[4:5], v0 offset0:20 offset1:22
	ds_read2st64_b32 v[2:3], v0 offset0:24 offset1:26
	v_mov_b32_e32 v1, s35
	v_add_co_u32_e64 v0, s[4:5], s34, v18
	v_addc_co_u32_e64 v1, s[4:5], 0, v1, s[4:5]
	s_and_saveexec_b64 s[4:5], vcc
	s_cbranch_execnz .LBB6351_47
; %bb.33:
	s_or_b64 exec, exec, s[4:5]
	s_and_saveexec_b64 s[4:5], s[0:1]
	s_cbranch_execnz .LBB6351_48
.LBB6351_34:
	s_or_b64 exec, exec, s[4:5]
	s_and_saveexec_b64 s[0:1], s[2:3]
	s_cbranch_execnz .LBB6351_49
.LBB6351_35:
	s_or_b64 exec, exec, s[0:1]
	s_and_saveexec_b64 s[0:1], s[26:27]
	s_cbranch_execnz .LBB6351_50
.LBB6351_36:
	s_or_b64 exec, exec, s[0:1]
	s_and_saveexec_b64 s[0:1], s[6:7]
	s_cbranch_execnz .LBB6351_51
.LBB6351_37:
	s_or_b64 exec, exec, s[0:1]
	s_and_saveexec_b64 s[0:1], s[8:9]
	s_cbranch_execnz .LBB6351_52
.LBB6351_38:
	s_or_b64 exec, exec, s[0:1]
	s_and_saveexec_b64 s[0:1], s[10:11]
	s_cbranch_execnz .LBB6351_53
.LBB6351_39:
	s_or_b64 exec, exec, s[0:1]
	s_and_saveexec_b64 s[0:1], s[12:13]
	s_cbranch_execnz .LBB6351_54
.LBB6351_40:
	s_or_b64 exec, exec, s[0:1]
	s_and_saveexec_b64 s[0:1], s[14:15]
	s_cbranch_execnz .LBB6351_55
.LBB6351_41:
	s_or_b64 exec, exec, s[0:1]
	s_and_saveexec_b64 s[0:1], s[16:17]
	s_cbranch_execnz .LBB6351_56
.LBB6351_42:
	s_or_b64 exec, exec, s[0:1]
	s_and_saveexec_b64 s[0:1], s[18:19]
	s_cbranch_execnz .LBB6351_57
.LBB6351_43:
	s_or_b64 exec, exec, s[0:1]
	s_and_saveexec_b64 s[0:1], s[20:21]
	s_cbranch_execnz .LBB6351_58
.LBB6351_44:
	s_or_b64 exec, exec, s[0:1]
	s_and_saveexec_b64 s[0:1], s[22:23]
	s_cbranch_execnz .LBB6351_59
.LBB6351_45:
	s_or_b64 exec, exec, s[0:1]
	s_and_saveexec_b64 s[0:1], s[24:25]
	s_cbranch_execnz .LBB6351_60
.LBB6351_46:
	s_endpgm
.LBB6351_47:
	ds_read_b32 v15, v18
	s_waitcnt lgkmcnt(0)
	v_cvt_i32_f32_e32 v15, v15
	global_store_dword v[0:1], v15, off
	s_or_b64 exec, exec, s[4:5]
	s_and_saveexec_b64 s[4:5], s[0:1]
	s_cbranch_execz .LBB6351_34
.LBB6351_48:
	s_waitcnt lgkmcnt(6)
	v_cvt_i32_f32_e32 v12, v12
	global_store_dword v[0:1], v12, off offset:512
	s_or_b64 exec, exec, s[4:5]
	s_and_saveexec_b64 s[0:1], s[2:3]
	s_cbranch_execz .LBB6351_35
.LBB6351_49:
	s_waitcnt lgkmcnt(6)
	v_cvt_i32_f32_e32 v12, v13
	global_store_dword v[0:1], v12, off offset:1024
	s_or_b64 exec, exec, s[0:1]
	s_and_saveexec_b64 s[0:1], s[26:27]
	s_cbranch_execz .LBB6351_36
.LBB6351_50:
	s_waitcnt lgkmcnt(5)
	v_cvt_i32_f32_e32 v10, v10
	global_store_dword v[0:1], v10, off offset:1536
	s_or_b64 exec, exec, s[0:1]
	s_and_saveexec_b64 s[0:1], s[6:7]
	s_cbranch_execz .LBB6351_37
.LBB6351_51:
	s_waitcnt lgkmcnt(5)
	v_cvt_i32_f32_e32 v10, v11
	global_store_dword v[0:1], v10, off offset:2048
	s_or_b64 exec, exec, s[0:1]
	s_and_saveexec_b64 s[0:1], s[8:9]
	s_cbranch_execz .LBB6351_38
.LBB6351_52:
	s_waitcnt lgkmcnt(4)
	v_cvt_i32_f32_e32 v8, v8
	global_store_dword v[0:1], v8, off offset:2560
	s_or_b64 exec, exec, s[0:1]
	s_and_saveexec_b64 s[0:1], s[10:11]
	s_cbranch_execz .LBB6351_39
.LBB6351_53:
	s_waitcnt lgkmcnt(4)
	v_cvt_i32_f32_e32 v8, v9
	global_store_dword v[0:1], v8, off offset:3072
	s_or_b64 exec, exec, s[0:1]
	s_and_saveexec_b64 s[0:1], s[12:13]
	s_cbranch_execz .LBB6351_40
.LBB6351_54:
	s_waitcnt lgkmcnt(3)
	v_cvt_i32_f32_e32 v6, v6
	global_store_dword v[0:1], v6, off offset:3584
	s_or_b64 exec, exec, s[0:1]
	s_and_saveexec_b64 s[0:1], s[14:15]
	s_cbranch_execz .LBB6351_41
.LBB6351_55:
	s_waitcnt lgkmcnt(2)
	v_cvt_i32_f32_e32 v6, v14
	v_add_co_u32_e32 v8, vcc, 0x1000, v0
	v_addc_co_u32_e32 v9, vcc, 0, v1, vcc
	global_store_dword v[8:9], v6, off
	s_or_b64 exec, exec, s[0:1]
	s_and_saveexec_b64 s[0:1], s[16:17]
	s_cbranch_execz .LBB6351_42
.LBB6351_56:
	s_waitcnt lgkmcnt(3)
	v_cvt_i32_f32_e32 v8, v7
	v_add_co_u32_e32 v6, vcc, 0x1000, v0
	v_addc_co_u32_e32 v7, vcc, 0, v1, vcc
	global_store_dword v[6:7], v8, off offset:512
	s_or_b64 exec, exec, s[0:1]
	s_and_saveexec_b64 s[0:1], s[18:19]
	s_cbranch_execz .LBB6351_43
.LBB6351_57:
	s_waitcnt lgkmcnt(1)
	v_cvt_i32_f32_e32 v4, v4
	v_add_co_u32_e32 v6, vcc, 0x1000, v0
	v_addc_co_u32_e32 v7, vcc, 0, v1, vcc
	global_store_dword v[6:7], v4, off offset:1024
	s_or_b64 exec, exec, s[0:1]
	s_and_saveexec_b64 s[0:1], s[20:21]
	s_cbranch_execz .LBB6351_44
.LBB6351_58:
	s_waitcnt lgkmcnt(1)
	v_cvt_i32_f32_e32 v6, v5
	v_add_co_u32_e32 v4, vcc, 0x1000, v0
	v_addc_co_u32_e32 v5, vcc, 0, v1, vcc
	global_store_dword v[4:5], v6, off offset:1536
	s_or_b64 exec, exec, s[0:1]
	s_and_saveexec_b64 s[0:1], s[22:23]
	s_cbranch_execz .LBB6351_45
.LBB6351_59:
	s_waitcnt lgkmcnt(0)
	v_cvt_i32_f32_e32 v2, v2
	v_add_co_u32_e32 v4, vcc, 0x1000, v0
	v_addc_co_u32_e32 v5, vcc, 0, v1, vcc
	global_store_dword v[4:5], v2, off offset:2048
	s_or_b64 exec, exec, s[0:1]
	s_and_saveexec_b64 s[0:1], s[24:25]
	s_cbranch_execz .LBB6351_46
.LBB6351_60:
	s_waitcnt lgkmcnt(0)
	v_cvt_i32_f32_e32 v2, v3
	v_add_co_u32_e32 v0, vcc, 0x1000, v0
	v_addc_co_u32_e32 v1, vcc, 0, v1, vcc
	global_store_dword v[0:1], v2, off offset:2560
	s_endpgm
	.section	.rodata,"a",@progbits
	.p2align	6, 0x0
	.amdhsa_kernel _ZN7rocprim17ROCPRIM_400000_NS6detail17trampoline_kernelINS0_14default_configENS1_20scan_config_selectorIfEEZZNS1_9scan_implILNS1_25lookback_scan_determinismE0ELb1ELb1ES3_N6thrust23THRUST_200600_302600_NS6detail15normal_iteratorINS9_10device_ptrIjEEEENSB_INSC_IiEEEEfNS9_4plusIvEEfEEDaPvRmT3_T4_T5_mT6_P12ihipStream_tbENKUlT_T0_E_clISt17integral_constantIbLb1EESV_IbLb0EEEEDaSR_SS_EUlSR_E0_NS1_11comp_targetILNS1_3genE4ELNS1_11target_archE910ELNS1_3gpuE8ELNS1_3repE0EEENS1_30default_config_static_selectorELNS0_4arch9wavefront6targetE1EEEvT1_
		.amdhsa_group_segment_fixed_size 7168
		.amdhsa_private_segment_fixed_size 0
		.amdhsa_kernarg_size 32
		.amdhsa_user_sgpr_count 6
		.amdhsa_user_sgpr_private_segment_buffer 1
		.amdhsa_user_sgpr_dispatch_ptr 0
		.amdhsa_user_sgpr_queue_ptr 0
		.amdhsa_user_sgpr_kernarg_segment_ptr 1
		.amdhsa_user_sgpr_dispatch_id 0
		.amdhsa_user_sgpr_flat_scratch_init 0
		.amdhsa_user_sgpr_kernarg_preload_length 0
		.amdhsa_user_sgpr_kernarg_preload_offset 0
		.amdhsa_user_sgpr_private_segment_size 0
		.amdhsa_uses_dynamic_stack 0
		.amdhsa_system_sgpr_private_segment_wavefront_offset 0
		.amdhsa_system_sgpr_workgroup_id_x 1
		.amdhsa_system_sgpr_workgroup_id_y 0
		.amdhsa_system_sgpr_workgroup_id_z 0
		.amdhsa_system_sgpr_workgroup_info 0
		.amdhsa_system_vgpr_workitem_id 0
		.amdhsa_next_free_vgpr 24
		.amdhsa_next_free_sgpr 38
		.amdhsa_accum_offset 24
		.amdhsa_reserve_vcc 1
		.amdhsa_reserve_flat_scratch 0
		.amdhsa_float_round_mode_32 0
		.amdhsa_float_round_mode_16_64 0
		.amdhsa_float_denorm_mode_32 3
		.amdhsa_float_denorm_mode_16_64 3
		.amdhsa_dx10_clamp 1
		.amdhsa_ieee_mode 1
		.amdhsa_fp16_overflow 0
		.amdhsa_tg_split 0
		.amdhsa_exception_fp_ieee_invalid_op 0
		.amdhsa_exception_fp_denorm_src 0
		.amdhsa_exception_fp_ieee_div_zero 0
		.amdhsa_exception_fp_ieee_overflow 0
		.amdhsa_exception_fp_ieee_underflow 0
		.amdhsa_exception_fp_ieee_inexact 0
		.amdhsa_exception_int_div_zero 0
	.end_amdhsa_kernel
	.section	.text._ZN7rocprim17ROCPRIM_400000_NS6detail17trampoline_kernelINS0_14default_configENS1_20scan_config_selectorIfEEZZNS1_9scan_implILNS1_25lookback_scan_determinismE0ELb1ELb1ES3_N6thrust23THRUST_200600_302600_NS6detail15normal_iteratorINS9_10device_ptrIjEEEENSB_INSC_IiEEEEfNS9_4plusIvEEfEEDaPvRmT3_T4_T5_mT6_P12ihipStream_tbENKUlT_T0_E_clISt17integral_constantIbLb1EESV_IbLb0EEEEDaSR_SS_EUlSR_E0_NS1_11comp_targetILNS1_3genE4ELNS1_11target_archE910ELNS1_3gpuE8ELNS1_3repE0EEENS1_30default_config_static_selectorELNS0_4arch9wavefront6targetE1EEEvT1_,"axG",@progbits,_ZN7rocprim17ROCPRIM_400000_NS6detail17trampoline_kernelINS0_14default_configENS1_20scan_config_selectorIfEEZZNS1_9scan_implILNS1_25lookback_scan_determinismE0ELb1ELb1ES3_N6thrust23THRUST_200600_302600_NS6detail15normal_iteratorINS9_10device_ptrIjEEEENSB_INSC_IiEEEEfNS9_4plusIvEEfEEDaPvRmT3_T4_T5_mT6_P12ihipStream_tbENKUlT_T0_E_clISt17integral_constantIbLb1EESV_IbLb0EEEEDaSR_SS_EUlSR_E0_NS1_11comp_targetILNS1_3genE4ELNS1_11target_archE910ELNS1_3gpuE8ELNS1_3repE0EEENS1_30default_config_static_selectorELNS0_4arch9wavefront6targetE1EEEvT1_,comdat
.Lfunc_end6351:
	.size	_ZN7rocprim17ROCPRIM_400000_NS6detail17trampoline_kernelINS0_14default_configENS1_20scan_config_selectorIfEEZZNS1_9scan_implILNS1_25lookback_scan_determinismE0ELb1ELb1ES3_N6thrust23THRUST_200600_302600_NS6detail15normal_iteratorINS9_10device_ptrIjEEEENSB_INSC_IiEEEEfNS9_4plusIvEEfEEDaPvRmT3_T4_T5_mT6_P12ihipStream_tbENKUlT_T0_E_clISt17integral_constantIbLb1EESV_IbLb0EEEEDaSR_SS_EUlSR_E0_NS1_11comp_targetILNS1_3genE4ELNS1_11target_archE910ELNS1_3gpuE8ELNS1_3repE0EEENS1_30default_config_static_selectorELNS0_4arch9wavefront6targetE1EEEvT1_, .Lfunc_end6351-_ZN7rocprim17ROCPRIM_400000_NS6detail17trampoline_kernelINS0_14default_configENS1_20scan_config_selectorIfEEZZNS1_9scan_implILNS1_25lookback_scan_determinismE0ELb1ELb1ES3_N6thrust23THRUST_200600_302600_NS6detail15normal_iteratorINS9_10device_ptrIjEEEENSB_INSC_IiEEEEfNS9_4plusIvEEfEEDaPvRmT3_T4_T5_mT6_P12ihipStream_tbENKUlT_T0_E_clISt17integral_constantIbLb1EESV_IbLb0EEEEDaSR_SS_EUlSR_E0_NS1_11comp_targetILNS1_3genE4ELNS1_11target_archE910ELNS1_3gpuE8ELNS1_3repE0EEENS1_30default_config_static_selectorELNS0_4arch9wavefront6targetE1EEEvT1_
                                        ; -- End function
	.section	.AMDGPU.csdata,"",@progbits
; Kernel info:
; codeLenInByte = 2168
; NumSgprs: 42
; NumVgprs: 24
; NumAgprs: 0
; TotalNumVgprs: 24
; ScratchSize: 0
; MemoryBound: 0
; FloatMode: 240
; IeeeMode: 1
; LDSByteSize: 7168 bytes/workgroup (compile time only)
; SGPRBlocks: 5
; VGPRBlocks: 2
; NumSGPRsForWavesPerEU: 42
; NumVGPRsForWavesPerEU: 24
; AccumOffset: 24
; Occupancy: 5
; WaveLimiterHint : 0
; COMPUTE_PGM_RSRC2:SCRATCH_EN: 0
; COMPUTE_PGM_RSRC2:USER_SGPR: 6
; COMPUTE_PGM_RSRC2:TRAP_HANDLER: 0
; COMPUTE_PGM_RSRC2:TGID_X_EN: 1
; COMPUTE_PGM_RSRC2:TGID_Y_EN: 0
; COMPUTE_PGM_RSRC2:TGID_Z_EN: 0
; COMPUTE_PGM_RSRC2:TIDIG_COMP_CNT: 0
; COMPUTE_PGM_RSRC3_GFX90A:ACCUM_OFFSET: 5
; COMPUTE_PGM_RSRC3_GFX90A:TG_SPLIT: 0
	.section	.text._ZN7rocprim17ROCPRIM_400000_NS6detail17trampoline_kernelINS0_14default_configENS1_20scan_config_selectorIfEEZZNS1_9scan_implILNS1_25lookback_scan_determinismE0ELb1ELb1ES3_N6thrust23THRUST_200600_302600_NS6detail15normal_iteratorINS9_10device_ptrIjEEEENSB_INSC_IiEEEEfNS9_4plusIvEEfEEDaPvRmT3_T4_T5_mT6_P12ihipStream_tbENKUlT_T0_E_clISt17integral_constantIbLb1EESV_IbLb0EEEEDaSR_SS_EUlSR_E0_NS1_11comp_targetILNS1_3genE3ELNS1_11target_archE908ELNS1_3gpuE7ELNS1_3repE0EEENS1_30default_config_static_selectorELNS0_4arch9wavefront6targetE1EEEvT1_,"axG",@progbits,_ZN7rocprim17ROCPRIM_400000_NS6detail17trampoline_kernelINS0_14default_configENS1_20scan_config_selectorIfEEZZNS1_9scan_implILNS1_25lookback_scan_determinismE0ELb1ELb1ES3_N6thrust23THRUST_200600_302600_NS6detail15normal_iteratorINS9_10device_ptrIjEEEENSB_INSC_IiEEEEfNS9_4plusIvEEfEEDaPvRmT3_T4_T5_mT6_P12ihipStream_tbENKUlT_T0_E_clISt17integral_constantIbLb1EESV_IbLb0EEEEDaSR_SS_EUlSR_E0_NS1_11comp_targetILNS1_3genE3ELNS1_11target_archE908ELNS1_3gpuE7ELNS1_3repE0EEENS1_30default_config_static_selectorELNS0_4arch9wavefront6targetE1EEEvT1_,comdat
	.protected	_ZN7rocprim17ROCPRIM_400000_NS6detail17trampoline_kernelINS0_14default_configENS1_20scan_config_selectorIfEEZZNS1_9scan_implILNS1_25lookback_scan_determinismE0ELb1ELb1ES3_N6thrust23THRUST_200600_302600_NS6detail15normal_iteratorINS9_10device_ptrIjEEEENSB_INSC_IiEEEEfNS9_4plusIvEEfEEDaPvRmT3_T4_T5_mT6_P12ihipStream_tbENKUlT_T0_E_clISt17integral_constantIbLb1EESV_IbLb0EEEEDaSR_SS_EUlSR_E0_NS1_11comp_targetILNS1_3genE3ELNS1_11target_archE908ELNS1_3gpuE7ELNS1_3repE0EEENS1_30default_config_static_selectorELNS0_4arch9wavefront6targetE1EEEvT1_ ; -- Begin function _ZN7rocprim17ROCPRIM_400000_NS6detail17trampoline_kernelINS0_14default_configENS1_20scan_config_selectorIfEEZZNS1_9scan_implILNS1_25lookback_scan_determinismE0ELb1ELb1ES3_N6thrust23THRUST_200600_302600_NS6detail15normal_iteratorINS9_10device_ptrIjEEEENSB_INSC_IiEEEEfNS9_4plusIvEEfEEDaPvRmT3_T4_T5_mT6_P12ihipStream_tbENKUlT_T0_E_clISt17integral_constantIbLb1EESV_IbLb0EEEEDaSR_SS_EUlSR_E0_NS1_11comp_targetILNS1_3genE3ELNS1_11target_archE908ELNS1_3gpuE7ELNS1_3repE0EEENS1_30default_config_static_selectorELNS0_4arch9wavefront6targetE1EEEvT1_
	.globl	_ZN7rocprim17ROCPRIM_400000_NS6detail17trampoline_kernelINS0_14default_configENS1_20scan_config_selectorIfEEZZNS1_9scan_implILNS1_25lookback_scan_determinismE0ELb1ELb1ES3_N6thrust23THRUST_200600_302600_NS6detail15normal_iteratorINS9_10device_ptrIjEEEENSB_INSC_IiEEEEfNS9_4plusIvEEfEEDaPvRmT3_T4_T5_mT6_P12ihipStream_tbENKUlT_T0_E_clISt17integral_constantIbLb1EESV_IbLb0EEEEDaSR_SS_EUlSR_E0_NS1_11comp_targetILNS1_3genE3ELNS1_11target_archE908ELNS1_3gpuE7ELNS1_3repE0EEENS1_30default_config_static_selectorELNS0_4arch9wavefront6targetE1EEEvT1_
	.p2align	8
	.type	_ZN7rocprim17ROCPRIM_400000_NS6detail17trampoline_kernelINS0_14default_configENS1_20scan_config_selectorIfEEZZNS1_9scan_implILNS1_25lookback_scan_determinismE0ELb1ELb1ES3_N6thrust23THRUST_200600_302600_NS6detail15normal_iteratorINS9_10device_ptrIjEEEENSB_INSC_IiEEEEfNS9_4plusIvEEfEEDaPvRmT3_T4_T5_mT6_P12ihipStream_tbENKUlT_T0_E_clISt17integral_constantIbLb1EESV_IbLb0EEEEDaSR_SS_EUlSR_E0_NS1_11comp_targetILNS1_3genE3ELNS1_11target_archE908ELNS1_3gpuE7ELNS1_3repE0EEENS1_30default_config_static_selectorELNS0_4arch9wavefront6targetE1EEEvT1_,@function
_ZN7rocprim17ROCPRIM_400000_NS6detail17trampoline_kernelINS0_14default_configENS1_20scan_config_selectorIfEEZZNS1_9scan_implILNS1_25lookback_scan_determinismE0ELb1ELb1ES3_N6thrust23THRUST_200600_302600_NS6detail15normal_iteratorINS9_10device_ptrIjEEEENSB_INSC_IiEEEEfNS9_4plusIvEEfEEDaPvRmT3_T4_T5_mT6_P12ihipStream_tbENKUlT_T0_E_clISt17integral_constantIbLb1EESV_IbLb0EEEEDaSR_SS_EUlSR_E0_NS1_11comp_targetILNS1_3genE3ELNS1_11target_archE908ELNS1_3gpuE7ELNS1_3repE0EEENS1_30default_config_static_selectorELNS0_4arch9wavefront6targetE1EEEvT1_: ; @_ZN7rocprim17ROCPRIM_400000_NS6detail17trampoline_kernelINS0_14default_configENS1_20scan_config_selectorIfEEZZNS1_9scan_implILNS1_25lookback_scan_determinismE0ELb1ELb1ES3_N6thrust23THRUST_200600_302600_NS6detail15normal_iteratorINS9_10device_ptrIjEEEENSB_INSC_IiEEEEfNS9_4plusIvEEfEEDaPvRmT3_T4_T5_mT6_P12ihipStream_tbENKUlT_T0_E_clISt17integral_constantIbLb1EESV_IbLb0EEEEDaSR_SS_EUlSR_E0_NS1_11comp_targetILNS1_3genE3ELNS1_11target_archE908ELNS1_3gpuE7ELNS1_3repE0EEENS1_30default_config_static_selectorELNS0_4arch9wavefront6targetE1EEEvT1_
; %bb.0:
	.section	.rodata,"a",@progbits
	.p2align	6, 0x0
	.amdhsa_kernel _ZN7rocprim17ROCPRIM_400000_NS6detail17trampoline_kernelINS0_14default_configENS1_20scan_config_selectorIfEEZZNS1_9scan_implILNS1_25lookback_scan_determinismE0ELb1ELb1ES3_N6thrust23THRUST_200600_302600_NS6detail15normal_iteratorINS9_10device_ptrIjEEEENSB_INSC_IiEEEEfNS9_4plusIvEEfEEDaPvRmT3_T4_T5_mT6_P12ihipStream_tbENKUlT_T0_E_clISt17integral_constantIbLb1EESV_IbLb0EEEEDaSR_SS_EUlSR_E0_NS1_11comp_targetILNS1_3genE3ELNS1_11target_archE908ELNS1_3gpuE7ELNS1_3repE0EEENS1_30default_config_static_selectorELNS0_4arch9wavefront6targetE1EEEvT1_
		.amdhsa_group_segment_fixed_size 0
		.amdhsa_private_segment_fixed_size 0
		.amdhsa_kernarg_size 32
		.amdhsa_user_sgpr_count 6
		.amdhsa_user_sgpr_private_segment_buffer 1
		.amdhsa_user_sgpr_dispatch_ptr 0
		.amdhsa_user_sgpr_queue_ptr 0
		.amdhsa_user_sgpr_kernarg_segment_ptr 1
		.amdhsa_user_sgpr_dispatch_id 0
		.amdhsa_user_sgpr_flat_scratch_init 0
		.amdhsa_user_sgpr_kernarg_preload_length 0
		.amdhsa_user_sgpr_kernarg_preload_offset 0
		.amdhsa_user_sgpr_private_segment_size 0
		.amdhsa_uses_dynamic_stack 0
		.amdhsa_system_sgpr_private_segment_wavefront_offset 0
		.amdhsa_system_sgpr_workgroup_id_x 1
		.amdhsa_system_sgpr_workgroup_id_y 0
		.amdhsa_system_sgpr_workgroup_id_z 0
		.amdhsa_system_sgpr_workgroup_info 0
		.amdhsa_system_vgpr_workitem_id 0
		.amdhsa_next_free_vgpr 1
		.amdhsa_next_free_sgpr 0
		.amdhsa_accum_offset 4
		.amdhsa_reserve_vcc 0
		.amdhsa_reserve_flat_scratch 0
		.amdhsa_float_round_mode_32 0
		.amdhsa_float_round_mode_16_64 0
		.amdhsa_float_denorm_mode_32 3
		.amdhsa_float_denorm_mode_16_64 3
		.amdhsa_dx10_clamp 1
		.amdhsa_ieee_mode 1
		.amdhsa_fp16_overflow 0
		.amdhsa_tg_split 0
		.amdhsa_exception_fp_ieee_invalid_op 0
		.amdhsa_exception_fp_denorm_src 0
		.amdhsa_exception_fp_ieee_div_zero 0
		.amdhsa_exception_fp_ieee_overflow 0
		.amdhsa_exception_fp_ieee_underflow 0
		.amdhsa_exception_fp_ieee_inexact 0
		.amdhsa_exception_int_div_zero 0
	.end_amdhsa_kernel
	.section	.text._ZN7rocprim17ROCPRIM_400000_NS6detail17trampoline_kernelINS0_14default_configENS1_20scan_config_selectorIfEEZZNS1_9scan_implILNS1_25lookback_scan_determinismE0ELb1ELb1ES3_N6thrust23THRUST_200600_302600_NS6detail15normal_iteratorINS9_10device_ptrIjEEEENSB_INSC_IiEEEEfNS9_4plusIvEEfEEDaPvRmT3_T4_T5_mT6_P12ihipStream_tbENKUlT_T0_E_clISt17integral_constantIbLb1EESV_IbLb0EEEEDaSR_SS_EUlSR_E0_NS1_11comp_targetILNS1_3genE3ELNS1_11target_archE908ELNS1_3gpuE7ELNS1_3repE0EEENS1_30default_config_static_selectorELNS0_4arch9wavefront6targetE1EEEvT1_,"axG",@progbits,_ZN7rocprim17ROCPRIM_400000_NS6detail17trampoline_kernelINS0_14default_configENS1_20scan_config_selectorIfEEZZNS1_9scan_implILNS1_25lookback_scan_determinismE0ELb1ELb1ES3_N6thrust23THRUST_200600_302600_NS6detail15normal_iteratorINS9_10device_ptrIjEEEENSB_INSC_IiEEEEfNS9_4plusIvEEfEEDaPvRmT3_T4_T5_mT6_P12ihipStream_tbENKUlT_T0_E_clISt17integral_constantIbLb1EESV_IbLb0EEEEDaSR_SS_EUlSR_E0_NS1_11comp_targetILNS1_3genE3ELNS1_11target_archE908ELNS1_3gpuE7ELNS1_3repE0EEENS1_30default_config_static_selectorELNS0_4arch9wavefront6targetE1EEEvT1_,comdat
.Lfunc_end6352:
	.size	_ZN7rocprim17ROCPRIM_400000_NS6detail17trampoline_kernelINS0_14default_configENS1_20scan_config_selectorIfEEZZNS1_9scan_implILNS1_25lookback_scan_determinismE0ELb1ELb1ES3_N6thrust23THRUST_200600_302600_NS6detail15normal_iteratorINS9_10device_ptrIjEEEENSB_INSC_IiEEEEfNS9_4plusIvEEfEEDaPvRmT3_T4_T5_mT6_P12ihipStream_tbENKUlT_T0_E_clISt17integral_constantIbLb1EESV_IbLb0EEEEDaSR_SS_EUlSR_E0_NS1_11comp_targetILNS1_3genE3ELNS1_11target_archE908ELNS1_3gpuE7ELNS1_3repE0EEENS1_30default_config_static_selectorELNS0_4arch9wavefront6targetE1EEEvT1_, .Lfunc_end6352-_ZN7rocprim17ROCPRIM_400000_NS6detail17trampoline_kernelINS0_14default_configENS1_20scan_config_selectorIfEEZZNS1_9scan_implILNS1_25lookback_scan_determinismE0ELb1ELb1ES3_N6thrust23THRUST_200600_302600_NS6detail15normal_iteratorINS9_10device_ptrIjEEEENSB_INSC_IiEEEEfNS9_4plusIvEEfEEDaPvRmT3_T4_T5_mT6_P12ihipStream_tbENKUlT_T0_E_clISt17integral_constantIbLb1EESV_IbLb0EEEEDaSR_SS_EUlSR_E0_NS1_11comp_targetILNS1_3genE3ELNS1_11target_archE908ELNS1_3gpuE7ELNS1_3repE0EEENS1_30default_config_static_selectorELNS0_4arch9wavefront6targetE1EEEvT1_
                                        ; -- End function
	.section	.AMDGPU.csdata,"",@progbits
; Kernel info:
; codeLenInByte = 0
; NumSgprs: 4
; NumVgprs: 0
; NumAgprs: 0
; TotalNumVgprs: 0
; ScratchSize: 0
; MemoryBound: 0
; FloatMode: 240
; IeeeMode: 1
; LDSByteSize: 0 bytes/workgroup (compile time only)
; SGPRBlocks: 0
; VGPRBlocks: 0
; NumSGPRsForWavesPerEU: 4
; NumVGPRsForWavesPerEU: 1
; AccumOffset: 4
; Occupancy: 8
; WaveLimiterHint : 0
; COMPUTE_PGM_RSRC2:SCRATCH_EN: 0
; COMPUTE_PGM_RSRC2:USER_SGPR: 6
; COMPUTE_PGM_RSRC2:TRAP_HANDLER: 0
; COMPUTE_PGM_RSRC2:TGID_X_EN: 1
; COMPUTE_PGM_RSRC2:TGID_Y_EN: 0
; COMPUTE_PGM_RSRC2:TGID_Z_EN: 0
; COMPUTE_PGM_RSRC2:TIDIG_COMP_CNT: 0
; COMPUTE_PGM_RSRC3_GFX90A:ACCUM_OFFSET: 0
; COMPUTE_PGM_RSRC3_GFX90A:TG_SPLIT: 0
	.section	.text._ZN7rocprim17ROCPRIM_400000_NS6detail17trampoline_kernelINS0_14default_configENS1_20scan_config_selectorIfEEZZNS1_9scan_implILNS1_25lookback_scan_determinismE0ELb1ELb1ES3_N6thrust23THRUST_200600_302600_NS6detail15normal_iteratorINS9_10device_ptrIjEEEENSB_INSC_IiEEEEfNS9_4plusIvEEfEEDaPvRmT3_T4_T5_mT6_P12ihipStream_tbENKUlT_T0_E_clISt17integral_constantIbLb1EESV_IbLb0EEEEDaSR_SS_EUlSR_E0_NS1_11comp_targetILNS1_3genE2ELNS1_11target_archE906ELNS1_3gpuE6ELNS1_3repE0EEENS1_30default_config_static_selectorELNS0_4arch9wavefront6targetE1EEEvT1_,"axG",@progbits,_ZN7rocprim17ROCPRIM_400000_NS6detail17trampoline_kernelINS0_14default_configENS1_20scan_config_selectorIfEEZZNS1_9scan_implILNS1_25lookback_scan_determinismE0ELb1ELb1ES3_N6thrust23THRUST_200600_302600_NS6detail15normal_iteratorINS9_10device_ptrIjEEEENSB_INSC_IiEEEEfNS9_4plusIvEEfEEDaPvRmT3_T4_T5_mT6_P12ihipStream_tbENKUlT_T0_E_clISt17integral_constantIbLb1EESV_IbLb0EEEEDaSR_SS_EUlSR_E0_NS1_11comp_targetILNS1_3genE2ELNS1_11target_archE906ELNS1_3gpuE6ELNS1_3repE0EEENS1_30default_config_static_selectorELNS0_4arch9wavefront6targetE1EEEvT1_,comdat
	.protected	_ZN7rocprim17ROCPRIM_400000_NS6detail17trampoline_kernelINS0_14default_configENS1_20scan_config_selectorIfEEZZNS1_9scan_implILNS1_25lookback_scan_determinismE0ELb1ELb1ES3_N6thrust23THRUST_200600_302600_NS6detail15normal_iteratorINS9_10device_ptrIjEEEENSB_INSC_IiEEEEfNS9_4plusIvEEfEEDaPvRmT3_T4_T5_mT6_P12ihipStream_tbENKUlT_T0_E_clISt17integral_constantIbLb1EESV_IbLb0EEEEDaSR_SS_EUlSR_E0_NS1_11comp_targetILNS1_3genE2ELNS1_11target_archE906ELNS1_3gpuE6ELNS1_3repE0EEENS1_30default_config_static_selectorELNS0_4arch9wavefront6targetE1EEEvT1_ ; -- Begin function _ZN7rocprim17ROCPRIM_400000_NS6detail17trampoline_kernelINS0_14default_configENS1_20scan_config_selectorIfEEZZNS1_9scan_implILNS1_25lookback_scan_determinismE0ELb1ELb1ES3_N6thrust23THRUST_200600_302600_NS6detail15normal_iteratorINS9_10device_ptrIjEEEENSB_INSC_IiEEEEfNS9_4plusIvEEfEEDaPvRmT3_T4_T5_mT6_P12ihipStream_tbENKUlT_T0_E_clISt17integral_constantIbLb1EESV_IbLb0EEEEDaSR_SS_EUlSR_E0_NS1_11comp_targetILNS1_3genE2ELNS1_11target_archE906ELNS1_3gpuE6ELNS1_3repE0EEENS1_30default_config_static_selectorELNS0_4arch9wavefront6targetE1EEEvT1_
	.globl	_ZN7rocprim17ROCPRIM_400000_NS6detail17trampoline_kernelINS0_14default_configENS1_20scan_config_selectorIfEEZZNS1_9scan_implILNS1_25lookback_scan_determinismE0ELb1ELb1ES3_N6thrust23THRUST_200600_302600_NS6detail15normal_iteratorINS9_10device_ptrIjEEEENSB_INSC_IiEEEEfNS9_4plusIvEEfEEDaPvRmT3_T4_T5_mT6_P12ihipStream_tbENKUlT_T0_E_clISt17integral_constantIbLb1EESV_IbLb0EEEEDaSR_SS_EUlSR_E0_NS1_11comp_targetILNS1_3genE2ELNS1_11target_archE906ELNS1_3gpuE6ELNS1_3repE0EEENS1_30default_config_static_selectorELNS0_4arch9wavefront6targetE1EEEvT1_
	.p2align	8
	.type	_ZN7rocprim17ROCPRIM_400000_NS6detail17trampoline_kernelINS0_14default_configENS1_20scan_config_selectorIfEEZZNS1_9scan_implILNS1_25lookback_scan_determinismE0ELb1ELb1ES3_N6thrust23THRUST_200600_302600_NS6detail15normal_iteratorINS9_10device_ptrIjEEEENSB_INSC_IiEEEEfNS9_4plusIvEEfEEDaPvRmT3_T4_T5_mT6_P12ihipStream_tbENKUlT_T0_E_clISt17integral_constantIbLb1EESV_IbLb0EEEEDaSR_SS_EUlSR_E0_NS1_11comp_targetILNS1_3genE2ELNS1_11target_archE906ELNS1_3gpuE6ELNS1_3repE0EEENS1_30default_config_static_selectorELNS0_4arch9wavefront6targetE1EEEvT1_,@function
_ZN7rocprim17ROCPRIM_400000_NS6detail17trampoline_kernelINS0_14default_configENS1_20scan_config_selectorIfEEZZNS1_9scan_implILNS1_25lookback_scan_determinismE0ELb1ELb1ES3_N6thrust23THRUST_200600_302600_NS6detail15normal_iteratorINS9_10device_ptrIjEEEENSB_INSC_IiEEEEfNS9_4plusIvEEfEEDaPvRmT3_T4_T5_mT6_P12ihipStream_tbENKUlT_T0_E_clISt17integral_constantIbLb1EESV_IbLb0EEEEDaSR_SS_EUlSR_E0_NS1_11comp_targetILNS1_3genE2ELNS1_11target_archE906ELNS1_3gpuE6ELNS1_3repE0EEENS1_30default_config_static_selectorELNS0_4arch9wavefront6targetE1EEEvT1_: ; @_ZN7rocprim17ROCPRIM_400000_NS6detail17trampoline_kernelINS0_14default_configENS1_20scan_config_selectorIfEEZZNS1_9scan_implILNS1_25lookback_scan_determinismE0ELb1ELb1ES3_N6thrust23THRUST_200600_302600_NS6detail15normal_iteratorINS9_10device_ptrIjEEEENSB_INSC_IiEEEEfNS9_4plusIvEEfEEDaPvRmT3_T4_T5_mT6_P12ihipStream_tbENKUlT_T0_E_clISt17integral_constantIbLb1EESV_IbLb0EEEEDaSR_SS_EUlSR_E0_NS1_11comp_targetILNS1_3genE2ELNS1_11target_archE906ELNS1_3gpuE6ELNS1_3repE0EEENS1_30default_config_static_selectorELNS0_4arch9wavefront6targetE1EEEvT1_
; %bb.0:
	.section	.rodata,"a",@progbits
	.p2align	6, 0x0
	.amdhsa_kernel _ZN7rocprim17ROCPRIM_400000_NS6detail17trampoline_kernelINS0_14default_configENS1_20scan_config_selectorIfEEZZNS1_9scan_implILNS1_25lookback_scan_determinismE0ELb1ELb1ES3_N6thrust23THRUST_200600_302600_NS6detail15normal_iteratorINS9_10device_ptrIjEEEENSB_INSC_IiEEEEfNS9_4plusIvEEfEEDaPvRmT3_T4_T5_mT6_P12ihipStream_tbENKUlT_T0_E_clISt17integral_constantIbLb1EESV_IbLb0EEEEDaSR_SS_EUlSR_E0_NS1_11comp_targetILNS1_3genE2ELNS1_11target_archE906ELNS1_3gpuE6ELNS1_3repE0EEENS1_30default_config_static_selectorELNS0_4arch9wavefront6targetE1EEEvT1_
		.amdhsa_group_segment_fixed_size 0
		.amdhsa_private_segment_fixed_size 0
		.amdhsa_kernarg_size 32
		.amdhsa_user_sgpr_count 6
		.amdhsa_user_sgpr_private_segment_buffer 1
		.amdhsa_user_sgpr_dispatch_ptr 0
		.amdhsa_user_sgpr_queue_ptr 0
		.amdhsa_user_sgpr_kernarg_segment_ptr 1
		.amdhsa_user_sgpr_dispatch_id 0
		.amdhsa_user_sgpr_flat_scratch_init 0
		.amdhsa_user_sgpr_kernarg_preload_length 0
		.amdhsa_user_sgpr_kernarg_preload_offset 0
		.amdhsa_user_sgpr_private_segment_size 0
		.amdhsa_uses_dynamic_stack 0
		.amdhsa_system_sgpr_private_segment_wavefront_offset 0
		.amdhsa_system_sgpr_workgroup_id_x 1
		.amdhsa_system_sgpr_workgroup_id_y 0
		.amdhsa_system_sgpr_workgroup_id_z 0
		.amdhsa_system_sgpr_workgroup_info 0
		.amdhsa_system_vgpr_workitem_id 0
		.amdhsa_next_free_vgpr 1
		.amdhsa_next_free_sgpr 0
		.amdhsa_accum_offset 4
		.amdhsa_reserve_vcc 0
		.amdhsa_reserve_flat_scratch 0
		.amdhsa_float_round_mode_32 0
		.amdhsa_float_round_mode_16_64 0
		.amdhsa_float_denorm_mode_32 3
		.amdhsa_float_denorm_mode_16_64 3
		.amdhsa_dx10_clamp 1
		.amdhsa_ieee_mode 1
		.amdhsa_fp16_overflow 0
		.amdhsa_tg_split 0
		.amdhsa_exception_fp_ieee_invalid_op 0
		.amdhsa_exception_fp_denorm_src 0
		.amdhsa_exception_fp_ieee_div_zero 0
		.amdhsa_exception_fp_ieee_overflow 0
		.amdhsa_exception_fp_ieee_underflow 0
		.amdhsa_exception_fp_ieee_inexact 0
		.amdhsa_exception_int_div_zero 0
	.end_amdhsa_kernel
	.section	.text._ZN7rocprim17ROCPRIM_400000_NS6detail17trampoline_kernelINS0_14default_configENS1_20scan_config_selectorIfEEZZNS1_9scan_implILNS1_25lookback_scan_determinismE0ELb1ELb1ES3_N6thrust23THRUST_200600_302600_NS6detail15normal_iteratorINS9_10device_ptrIjEEEENSB_INSC_IiEEEEfNS9_4plusIvEEfEEDaPvRmT3_T4_T5_mT6_P12ihipStream_tbENKUlT_T0_E_clISt17integral_constantIbLb1EESV_IbLb0EEEEDaSR_SS_EUlSR_E0_NS1_11comp_targetILNS1_3genE2ELNS1_11target_archE906ELNS1_3gpuE6ELNS1_3repE0EEENS1_30default_config_static_selectorELNS0_4arch9wavefront6targetE1EEEvT1_,"axG",@progbits,_ZN7rocprim17ROCPRIM_400000_NS6detail17trampoline_kernelINS0_14default_configENS1_20scan_config_selectorIfEEZZNS1_9scan_implILNS1_25lookback_scan_determinismE0ELb1ELb1ES3_N6thrust23THRUST_200600_302600_NS6detail15normal_iteratorINS9_10device_ptrIjEEEENSB_INSC_IiEEEEfNS9_4plusIvEEfEEDaPvRmT3_T4_T5_mT6_P12ihipStream_tbENKUlT_T0_E_clISt17integral_constantIbLb1EESV_IbLb0EEEEDaSR_SS_EUlSR_E0_NS1_11comp_targetILNS1_3genE2ELNS1_11target_archE906ELNS1_3gpuE6ELNS1_3repE0EEENS1_30default_config_static_selectorELNS0_4arch9wavefront6targetE1EEEvT1_,comdat
.Lfunc_end6353:
	.size	_ZN7rocprim17ROCPRIM_400000_NS6detail17trampoline_kernelINS0_14default_configENS1_20scan_config_selectorIfEEZZNS1_9scan_implILNS1_25lookback_scan_determinismE0ELb1ELb1ES3_N6thrust23THRUST_200600_302600_NS6detail15normal_iteratorINS9_10device_ptrIjEEEENSB_INSC_IiEEEEfNS9_4plusIvEEfEEDaPvRmT3_T4_T5_mT6_P12ihipStream_tbENKUlT_T0_E_clISt17integral_constantIbLb1EESV_IbLb0EEEEDaSR_SS_EUlSR_E0_NS1_11comp_targetILNS1_3genE2ELNS1_11target_archE906ELNS1_3gpuE6ELNS1_3repE0EEENS1_30default_config_static_selectorELNS0_4arch9wavefront6targetE1EEEvT1_, .Lfunc_end6353-_ZN7rocprim17ROCPRIM_400000_NS6detail17trampoline_kernelINS0_14default_configENS1_20scan_config_selectorIfEEZZNS1_9scan_implILNS1_25lookback_scan_determinismE0ELb1ELb1ES3_N6thrust23THRUST_200600_302600_NS6detail15normal_iteratorINS9_10device_ptrIjEEEENSB_INSC_IiEEEEfNS9_4plusIvEEfEEDaPvRmT3_T4_T5_mT6_P12ihipStream_tbENKUlT_T0_E_clISt17integral_constantIbLb1EESV_IbLb0EEEEDaSR_SS_EUlSR_E0_NS1_11comp_targetILNS1_3genE2ELNS1_11target_archE906ELNS1_3gpuE6ELNS1_3repE0EEENS1_30default_config_static_selectorELNS0_4arch9wavefront6targetE1EEEvT1_
                                        ; -- End function
	.section	.AMDGPU.csdata,"",@progbits
; Kernel info:
; codeLenInByte = 0
; NumSgprs: 4
; NumVgprs: 0
; NumAgprs: 0
; TotalNumVgprs: 0
; ScratchSize: 0
; MemoryBound: 0
; FloatMode: 240
; IeeeMode: 1
; LDSByteSize: 0 bytes/workgroup (compile time only)
; SGPRBlocks: 0
; VGPRBlocks: 0
; NumSGPRsForWavesPerEU: 4
; NumVGPRsForWavesPerEU: 1
; AccumOffset: 4
; Occupancy: 8
; WaveLimiterHint : 0
; COMPUTE_PGM_RSRC2:SCRATCH_EN: 0
; COMPUTE_PGM_RSRC2:USER_SGPR: 6
; COMPUTE_PGM_RSRC2:TRAP_HANDLER: 0
; COMPUTE_PGM_RSRC2:TGID_X_EN: 1
; COMPUTE_PGM_RSRC2:TGID_Y_EN: 0
; COMPUTE_PGM_RSRC2:TGID_Z_EN: 0
; COMPUTE_PGM_RSRC2:TIDIG_COMP_CNT: 0
; COMPUTE_PGM_RSRC3_GFX90A:ACCUM_OFFSET: 0
; COMPUTE_PGM_RSRC3_GFX90A:TG_SPLIT: 0
	.section	.text._ZN7rocprim17ROCPRIM_400000_NS6detail17trampoline_kernelINS0_14default_configENS1_20scan_config_selectorIfEEZZNS1_9scan_implILNS1_25lookback_scan_determinismE0ELb1ELb1ES3_N6thrust23THRUST_200600_302600_NS6detail15normal_iteratorINS9_10device_ptrIjEEEENSB_INSC_IiEEEEfNS9_4plusIvEEfEEDaPvRmT3_T4_T5_mT6_P12ihipStream_tbENKUlT_T0_E_clISt17integral_constantIbLb1EESV_IbLb0EEEEDaSR_SS_EUlSR_E0_NS1_11comp_targetILNS1_3genE10ELNS1_11target_archE1201ELNS1_3gpuE5ELNS1_3repE0EEENS1_30default_config_static_selectorELNS0_4arch9wavefront6targetE1EEEvT1_,"axG",@progbits,_ZN7rocprim17ROCPRIM_400000_NS6detail17trampoline_kernelINS0_14default_configENS1_20scan_config_selectorIfEEZZNS1_9scan_implILNS1_25lookback_scan_determinismE0ELb1ELb1ES3_N6thrust23THRUST_200600_302600_NS6detail15normal_iteratorINS9_10device_ptrIjEEEENSB_INSC_IiEEEEfNS9_4plusIvEEfEEDaPvRmT3_T4_T5_mT6_P12ihipStream_tbENKUlT_T0_E_clISt17integral_constantIbLb1EESV_IbLb0EEEEDaSR_SS_EUlSR_E0_NS1_11comp_targetILNS1_3genE10ELNS1_11target_archE1201ELNS1_3gpuE5ELNS1_3repE0EEENS1_30default_config_static_selectorELNS0_4arch9wavefront6targetE1EEEvT1_,comdat
	.protected	_ZN7rocprim17ROCPRIM_400000_NS6detail17trampoline_kernelINS0_14default_configENS1_20scan_config_selectorIfEEZZNS1_9scan_implILNS1_25lookback_scan_determinismE0ELb1ELb1ES3_N6thrust23THRUST_200600_302600_NS6detail15normal_iteratorINS9_10device_ptrIjEEEENSB_INSC_IiEEEEfNS9_4plusIvEEfEEDaPvRmT3_T4_T5_mT6_P12ihipStream_tbENKUlT_T0_E_clISt17integral_constantIbLb1EESV_IbLb0EEEEDaSR_SS_EUlSR_E0_NS1_11comp_targetILNS1_3genE10ELNS1_11target_archE1201ELNS1_3gpuE5ELNS1_3repE0EEENS1_30default_config_static_selectorELNS0_4arch9wavefront6targetE1EEEvT1_ ; -- Begin function _ZN7rocprim17ROCPRIM_400000_NS6detail17trampoline_kernelINS0_14default_configENS1_20scan_config_selectorIfEEZZNS1_9scan_implILNS1_25lookback_scan_determinismE0ELb1ELb1ES3_N6thrust23THRUST_200600_302600_NS6detail15normal_iteratorINS9_10device_ptrIjEEEENSB_INSC_IiEEEEfNS9_4plusIvEEfEEDaPvRmT3_T4_T5_mT6_P12ihipStream_tbENKUlT_T0_E_clISt17integral_constantIbLb1EESV_IbLb0EEEEDaSR_SS_EUlSR_E0_NS1_11comp_targetILNS1_3genE10ELNS1_11target_archE1201ELNS1_3gpuE5ELNS1_3repE0EEENS1_30default_config_static_selectorELNS0_4arch9wavefront6targetE1EEEvT1_
	.globl	_ZN7rocprim17ROCPRIM_400000_NS6detail17trampoline_kernelINS0_14default_configENS1_20scan_config_selectorIfEEZZNS1_9scan_implILNS1_25lookback_scan_determinismE0ELb1ELb1ES3_N6thrust23THRUST_200600_302600_NS6detail15normal_iteratorINS9_10device_ptrIjEEEENSB_INSC_IiEEEEfNS9_4plusIvEEfEEDaPvRmT3_T4_T5_mT6_P12ihipStream_tbENKUlT_T0_E_clISt17integral_constantIbLb1EESV_IbLb0EEEEDaSR_SS_EUlSR_E0_NS1_11comp_targetILNS1_3genE10ELNS1_11target_archE1201ELNS1_3gpuE5ELNS1_3repE0EEENS1_30default_config_static_selectorELNS0_4arch9wavefront6targetE1EEEvT1_
	.p2align	8
	.type	_ZN7rocprim17ROCPRIM_400000_NS6detail17trampoline_kernelINS0_14default_configENS1_20scan_config_selectorIfEEZZNS1_9scan_implILNS1_25lookback_scan_determinismE0ELb1ELb1ES3_N6thrust23THRUST_200600_302600_NS6detail15normal_iteratorINS9_10device_ptrIjEEEENSB_INSC_IiEEEEfNS9_4plusIvEEfEEDaPvRmT3_T4_T5_mT6_P12ihipStream_tbENKUlT_T0_E_clISt17integral_constantIbLb1EESV_IbLb0EEEEDaSR_SS_EUlSR_E0_NS1_11comp_targetILNS1_3genE10ELNS1_11target_archE1201ELNS1_3gpuE5ELNS1_3repE0EEENS1_30default_config_static_selectorELNS0_4arch9wavefront6targetE1EEEvT1_,@function
_ZN7rocprim17ROCPRIM_400000_NS6detail17trampoline_kernelINS0_14default_configENS1_20scan_config_selectorIfEEZZNS1_9scan_implILNS1_25lookback_scan_determinismE0ELb1ELb1ES3_N6thrust23THRUST_200600_302600_NS6detail15normal_iteratorINS9_10device_ptrIjEEEENSB_INSC_IiEEEEfNS9_4plusIvEEfEEDaPvRmT3_T4_T5_mT6_P12ihipStream_tbENKUlT_T0_E_clISt17integral_constantIbLb1EESV_IbLb0EEEEDaSR_SS_EUlSR_E0_NS1_11comp_targetILNS1_3genE10ELNS1_11target_archE1201ELNS1_3gpuE5ELNS1_3repE0EEENS1_30default_config_static_selectorELNS0_4arch9wavefront6targetE1EEEvT1_: ; @_ZN7rocprim17ROCPRIM_400000_NS6detail17trampoline_kernelINS0_14default_configENS1_20scan_config_selectorIfEEZZNS1_9scan_implILNS1_25lookback_scan_determinismE0ELb1ELb1ES3_N6thrust23THRUST_200600_302600_NS6detail15normal_iteratorINS9_10device_ptrIjEEEENSB_INSC_IiEEEEfNS9_4plusIvEEfEEDaPvRmT3_T4_T5_mT6_P12ihipStream_tbENKUlT_T0_E_clISt17integral_constantIbLb1EESV_IbLb0EEEEDaSR_SS_EUlSR_E0_NS1_11comp_targetILNS1_3genE10ELNS1_11target_archE1201ELNS1_3gpuE5ELNS1_3repE0EEENS1_30default_config_static_selectorELNS0_4arch9wavefront6targetE1EEEvT1_
; %bb.0:
	.section	.rodata,"a",@progbits
	.p2align	6, 0x0
	.amdhsa_kernel _ZN7rocprim17ROCPRIM_400000_NS6detail17trampoline_kernelINS0_14default_configENS1_20scan_config_selectorIfEEZZNS1_9scan_implILNS1_25lookback_scan_determinismE0ELb1ELb1ES3_N6thrust23THRUST_200600_302600_NS6detail15normal_iteratorINS9_10device_ptrIjEEEENSB_INSC_IiEEEEfNS9_4plusIvEEfEEDaPvRmT3_T4_T5_mT6_P12ihipStream_tbENKUlT_T0_E_clISt17integral_constantIbLb1EESV_IbLb0EEEEDaSR_SS_EUlSR_E0_NS1_11comp_targetILNS1_3genE10ELNS1_11target_archE1201ELNS1_3gpuE5ELNS1_3repE0EEENS1_30default_config_static_selectorELNS0_4arch9wavefront6targetE1EEEvT1_
		.amdhsa_group_segment_fixed_size 0
		.amdhsa_private_segment_fixed_size 0
		.amdhsa_kernarg_size 32
		.amdhsa_user_sgpr_count 6
		.amdhsa_user_sgpr_private_segment_buffer 1
		.amdhsa_user_sgpr_dispatch_ptr 0
		.amdhsa_user_sgpr_queue_ptr 0
		.amdhsa_user_sgpr_kernarg_segment_ptr 1
		.amdhsa_user_sgpr_dispatch_id 0
		.amdhsa_user_sgpr_flat_scratch_init 0
		.amdhsa_user_sgpr_kernarg_preload_length 0
		.amdhsa_user_sgpr_kernarg_preload_offset 0
		.amdhsa_user_sgpr_private_segment_size 0
		.amdhsa_uses_dynamic_stack 0
		.amdhsa_system_sgpr_private_segment_wavefront_offset 0
		.amdhsa_system_sgpr_workgroup_id_x 1
		.amdhsa_system_sgpr_workgroup_id_y 0
		.amdhsa_system_sgpr_workgroup_id_z 0
		.amdhsa_system_sgpr_workgroup_info 0
		.amdhsa_system_vgpr_workitem_id 0
		.amdhsa_next_free_vgpr 1
		.amdhsa_next_free_sgpr 0
		.amdhsa_accum_offset 4
		.amdhsa_reserve_vcc 0
		.amdhsa_reserve_flat_scratch 0
		.amdhsa_float_round_mode_32 0
		.amdhsa_float_round_mode_16_64 0
		.amdhsa_float_denorm_mode_32 3
		.amdhsa_float_denorm_mode_16_64 3
		.amdhsa_dx10_clamp 1
		.amdhsa_ieee_mode 1
		.amdhsa_fp16_overflow 0
		.amdhsa_tg_split 0
		.amdhsa_exception_fp_ieee_invalid_op 0
		.amdhsa_exception_fp_denorm_src 0
		.amdhsa_exception_fp_ieee_div_zero 0
		.amdhsa_exception_fp_ieee_overflow 0
		.amdhsa_exception_fp_ieee_underflow 0
		.amdhsa_exception_fp_ieee_inexact 0
		.amdhsa_exception_int_div_zero 0
	.end_amdhsa_kernel
	.section	.text._ZN7rocprim17ROCPRIM_400000_NS6detail17trampoline_kernelINS0_14default_configENS1_20scan_config_selectorIfEEZZNS1_9scan_implILNS1_25lookback_scan_determinismE0ELb1ELb1ES3_N6thrust23THRUST_200600_302600_NS6detail15normal_iteratorINS9_10device_ptrIjEEEENSB_INSC_IiEEEEfNS9_4plusIvEEfEEDaPvRmT3_T4_T5_mT6_P12ihipStream_tbENKUlT_T0_E_clISt17integral_constantIbLb1EESV_IbLb0EEEEDaSR_SS_EUlSR_E0_NS1_11comp_targetILNS1_3genE10ELNS1_11target_archE1201ELNS1_3gpuE5ELNS1_3repE0EEENS1_30default_config_static_selectorELNS0_4arch9wavefront6targetE1EEEvT1_,"axG",@progbits,_ZN7rocprim17ROCPRIM_400000_NS6detail17trampoline_kernelINS0_14default_configENS1_20scan_config_selectorIfEEZZNS1_9scan_implILNS1_25lookback_scan_determinismE0ELb1ELb1ES3_N6thrust23THRUST_200600_302600_NS6detail15normal_iteratorINS9_10device_ptrIjEEEENSB_INSC_IiEEEEfNS9_4plusIvEEfEEDaPvRmT3_T4_T5_mT6_P12ihipStream_tbENKUlT_T0_E_clISt17integral_constantIbLb1EESV_IbLb0EEEEDaSR_SS_EUlSR_E0_NS1_11comp_targetILNS1_3genE10ELNS1_11target_archE1201ELNS1_3gpuE5ELNS1_3repE0EEENS1_30default_config_static_selectorELNS0_4arch9wavefront6targetE1EEEvT1_,comdat
.Lfunc_end6354:
	.size	_ZN7rocprim17ROCPRIM_400000_NS6detail17trampoline_kernelINS0_14default_configENS1_20scan_config_selectorIfEEZZNS1_9scan_implILNS1_25lookback_scan_determinismE0ELb1ELb1ES3_N6thrust23THRUST_200600_302600_NS6detail15normal_iteratorINS9_10device_ptrIjEEEENSB_INSC_IiEEEEfNS9_4plusIvEEfEEDaPvRmT3_T4_T5_mT6_P12ihipStream_tbENKUlT_T0_E_clISt17integral_constantIbLb1EESV_IbLb0EEEEDaSR_SS_EUlSR_E0_NS1_11comp_targetILNS1_3genE10ELNS1_11target_archE1201ELNS1_3gpuE5ELNS1_3repE0EEENS1_30default_config_static_selectorELNS0_4arch9wavefront6targetE1EEEvT1_, .Lfunc_end6354-_ZN7rocprim17ROCPRIM_400000_NS6detail17trampoline_kernelINS0_14default_configENS1_20scan_config_selectorIfEEZZNS1_9scan_implILNS1_25lookback_scan_determinismE0ELb1ELb1ES3_N6thrust23THRUST_200600_302600_NS6detail15normal_iteratorINS9_10device_ptrIjEEEENSB_INSC_IiEEEEfNS9_4plusIvEEfEEDaPvRmT3_T4_T5_mT6_P12ihipStream_tbENKUlT_T0_E_clISt17integral_constantIbLb1EESV_IbLb0EEEEDaSR_SS_EUlSR_E0_NS1_11comp_targetILNS1_3genE10ELNS1_11target_archE1201ELNS1_3gpuE5ELNS1_3repE0EEENS1_30default_config_static_selectorELNS0_4arch9wavefront6targetE1EEEvT1_
                                        ; -- End function
	.section	.AMDGPU.csdata,"",@progbits
; Kernel info:
; codeLenInByte = 0
; NumSgprs: 4
; NumVgprs: 0
; NumAgprs: 0
; TotalNumVgprs: 0
; ScratchSize: 0
; MemoryBound: 0
; FloatMode: 240
; IeeeMode: 1
; LDSByteSize: 0 bytes/workgroup (compile time only)
; SGPRBlocks: 0
; VGPRBlocks: 0
; NumSGPRsForWavesPerEU: 4
; NumVGPRsForWavesPerEU: 1
; AccumOffset: 4
; Occupancy: 8
; WaveLimiterHint : 0
; COMPUTE_PGM_RSRC2:SCRATCH_EN: 0
; COMPUTE_PGM_RSRC2:USER_SGPR: 6
; COMPUTE_PGM_RSRC2:TRAP_HANDLER: 0
; COMPUTE_PGM_RSRC2:TGID_X_EN: 1
; COMPUTE_PGM_RSRC2:TGID_Y_EN: 0
; COMPUTE_PGM_RSRC2:TGID_Z_EN: 0
; COMPUTE_PGM_RSRC2:TIDIG_COMP_CNT: 0
; COMPUTE_PGM_RSRC3_GFX90A:ACCUM_OFFSET: 0
; COMPUTE_PGM_RSRC3_GFX90A:TG_SPLIT: 0
	.section	.text._ZN7rocprim17ROCPRIM_400000_NS6detail17trampoline_kernelINS0_14default_configENS1_20scan_config_selectorIfEEZZNS1_9scan_implILNS1_25lookback_scan_determinismE0ELb1ELb1ES3_N6thrust23THRUST_200600_302600_NS6detail15normal_iteratorINS9_10device_ptrIjEEEENSB_INSC_IiEEEEfNS9_4plusIvEEfEEDaPvRmT3_T4_T5_mT6_P12ihipStream_tbENKUlT_T0_E_clISt17integral_constantIbLb1EESV_IbLb0EEEEDaSR_SS_EUlSR_E0_NS1_11comp_targetILNS1_3genE10ELNS1_11target_archE1200ELNS1_3gpuE4ELNS1_3repE0EEENS1_30default_config_static_selectorELNS0_4arch9wavefront6targetE1EEEvT1_,"axG",@progbits,_ZN7rocprim17ROCPRIM_400000_NS6detail17trampoline_kernelINS0_14default_configENS1_20scan_config_selectorIfEEZZNS1_9scan_implILNS1_25lookback_scan_determinismE0ELb1ELb1ES3_N6thrust23THRUST_200600_302600_NS6detail15normal_iteratorINS9_10device_ptrIjEEEENSB_INSC_IiEEEEfNS9_4plusIvEEfEEDaPvRmT3_T4_T5_mT6_P12ihipStream_tbENKUlT_T0_E_clISt17integral_constantIbLb1EESV_IbLb0EEEEDaSR_SS_EUlSR_E0_NS1_11comp_targetILNS1_3genE10ELNS1_11target_archE1200ELNS1_3gpuE4ELNS1_3repE0EEENS1_30default_config_static_selectorELNS0_4arch9wavefront6targetE1EEEvT1_,comdat
	.protected	_ZN7rocprim17ROCPRIM_400000_NS6detail17trampoline_kernelINS0_14default_configENS1_20scan_config_selectorIfEEZZNS1_9scan_implILNS1_25lookback_scan_determinismE0ELb1ELb1ES3_N6thrust23THRUST_200600_302600_NS6detail15normal_iteratorINS9_10device_ptrIjEEEENSB_INSC_IiEEEEfNS9_4plusIvEEfEEDaPvRmT3_T4_T5_mT6_P12ihipStream_tbENKUlT_T0_E_clISt17integral_constantIbLb1EESV_IbLb0EEEEDaSR_SS_EUlSR_E0_NS1_11comp_targetILNS1_3genE10ELNS1_11target_archE1200ELNS1_3gpuE4ELNS1_3repE0EEENS1_30default_config_static_selectorELNS0_4arch9wavefront6targetE1EEEvT1_ ; -- Begin function _ZN7rocprim17ROCPRIM_400000_NS6detail17trampoline_kernelINS0_14default_configENS1_20scan_config_selectorIfEEZZNS1_9scan_implILNS1_25lookback_scan_determinismE0ELb1ELb1ES3_N6thrust23THRUST_200600_302600_NS6detail15normal_iteratorINS9_10device_ptrIjEEEENSB_INSC_IiEEEEfNS9_4plusIvEEfEEDaPvRmT3_T4_T5_mT6_P12ihipStream_tbENKUlT_T0_E_clISt17integral_constantIbLb1EESV_IbLb0EEEEDaSR_SS_EUlSR_E0_NS1_11comp_targetILNS1_3genE10ELNS1_11target_archE1200ELNS1_3gpuE4ELNS1_3repE0EEENS1_30default_config_static_selectorELNS0_4arch9wavefront6targetE1EEEvT1_
	.globl	_ZN7rocprim17ROCPRIM_400000_NS6detail17trampoline_kernelINS0_14default_configENS1_20scan_config_selectorIfEEZZNS1_9scan_implILNS1_25lookback_scan_determinismE0ELb1ELb1ES3_N6thrust23THRUST_200600_302600_NS6detail15normal_iteratorINS9_10device_ptrIjEEEENSB_INSC_IiEEEEfNS9_4plusIvEEfEEDaPvRmT3_T4_T5_mT6_P12ihipStream_tbENKUlT_T0_E_clISt17integral_constantIbLb1EESV_IbLb0EEEEDaSR_SS_EUlSR_E0_NS1_11comp_targetILNS1_3genE10ELNS1_11target_archE1200ELNS1_3gpuE4ELNS1_3repE0EEENS1_30default_config_static_selectorELNS0_4arch9wavefront6targetE1EEEvT1_
	.p2align	8
	.type	_ZN7rocprim17ROCPRIM_400000_NS6detail17trampoline_kernelINS0_14default_configENS1_20scan_config_selectorIfEEZZNS1_9scan_implILNS1_25lookback_scan_determinismE0ELb1ELb1ES3_N6thrust23THRUST_200600_302600_NS6detail15normal_iteratorINS9_10device_ptrIjEEEENSB_INSC_IiEEEEfNS9_4plusIvEEfEEDaPvRmT3_T4_T5_mT6_P12ihipStream_tbENKUlT_T0_E_clISt17integral_constantIbLb1EESV_IbLb0EEEEDaSR_SS_EUlSR_E0_NS1_11comp_targetILNS1_3genE10ELNS1_11target_archE1200ELNS1_3gpuE4ELNS1_3repE0EEENS1_30default_config_static_selectorELNS0_4arch9wavefront6targetE1EEEvT1_,@function
_ZN7rocprim17ROCPRIM_400000_NS6detail17trampoline_kernelINS0_14default_configENS1_20scan_config_selectorIfEEZZNS1_9scan_implILNS1_25lookback_scan_determinismE0ELb1ELb1ES3_N6thrust23THRUST_200600_302600_NS6detail15normal_iteratorINS9_10device_ptrIjEEEENSB_INSC_IiEEEEfNS9_4plusIvEEfEEDaPvRmT3_T4_T5_mT6_P12ihipStream_tbENKUlT_T0_E_clISt17integral_constantIbLb1EESV_IbLb0EEEEDaSR_SS_EUlSR_E0_NS1_11comp_targetILNS1_3genE10ELNS1_11target_archE1200ELNS1_3gpuE4ELNS1_3repE0EEENS1_30default_config_static_selectorELNS0_4arch9wavefront6targetE1EEEvT1_: ; @_ZN7rocprim17ROCPRIM_400000_NS6detail17trampoline_kernelINS0_14default_configENS1_20scan_config_selectorIfEEZZNS1_9scan_implILNS1_25lookback_scan_determinismE0ELb1ELb1ES3_N6thrust23THRUST_200600_302600_NS6detail15normal_iteratorINS9_10device_ptrIjEEEENSB_INSC_IiEEEEfNS9_4plusIvEEfEEDaPvRmT3_T4_T5_mT6_P12ihipStream_tbENKUlT_T0_E_clISt17integral_constantIbLb1EESV_IbLb0EEEEDaSR_SS_EUlSR_E0_NS1_11comp_targetILNS1_3genE10ELNS1_11target_archE1200ELNS1_3gpuE4ELNS1_3repE0EEENS1_30default_config_static_selectorELNS0_4arch9wavefront6targetE1EEEvT1_
; %bb.0:
	.section	.rodata,"a",@progbits
	.p2align	6, 0x0
	.amdhsa_kernel _ZN7rocprim17ROCPRIM_400000_NS6detail17trampoline_kernelINS0_14default_configENS1_20scan_config_selectorIfEEZZNS1_9scan_implILNS1_25lookback_scan_determinismE0ELb1ELb1ES3_N6thrust23THRUST_200600_302600_NS6detail15normal_iteratorINS9_10device_ptrIjEEEENSB_INSC_IiEEEEfNS9_4plusIvEEfEEDaPvRmT3_T4_T5_mT6_P12ihipStream_tbENKUlT_T0_E_clISt17integral_constantIbLb1EESV_IbLb0EEEEDaSR_SS_EUlSR_E0_NS1_11comp_targetILNS1_3genE10ELNS1_11target_archE1200ELNS1_3gpuE4ELNS1_3repE0EEENS1_30default_config_static_selectorELNS0_4arch9wavefront6targetE1EEEvT1_
		.amdhsa_group_segment_fixed_size 0
		.amdhsa_private_segment_fixed_size 0
		.amdhsa_kernarg_size 32
		.amdhsa_user_sgpr_count 6
		.amdhsa_user_sgpr_private_segment_buffer 1
		.amdhsa_user_sgpr_dispatch_ptr 0
		.amdhsa_user_sgpr_queue_ptr 0
		.amdhsa_user_sgpr_kernarg_segment_ptr 1
		.amdhsa_user_sgpr_dispatch_id 0
		.amdhsa_user_sgpr_flat_scratch_init 0
		.amdhsa_user_sgpr_kernarg_preload_length 0
		.amdhsa_user_sgpr_kernarg_preload_offset 0
		.amdhsa_user_sgpr_private_segment_size 0
		.amdhsa_uses_dynamic_stack 0
		.amdhsa_system_sgpr_private_segment_wavefront_offset 0
		.amdhsa_system_sgpr_workgroup_id_x 1
		.amdhsa_system_sgpr_workgroup_id_y 0
		.amdhsa_system_sgpr_workgroup_id_z 0
		.amdhsa_system_sgpr_workgroup_info 0
		.amdhsa_system_vgpr_workitem_id 0
		.amdhsa_next_free_vgpr 1
		.amdhsa_next_free_sgpr 0
		.amdhsa_accum_offset 4
		.amdhsa_reserve_vcc 0
		.amdhsa_reserve_flat_scratch 0
		.amdhsa_float_round_mode_32 0
		.amdhsa_float_round_mode_16_64 0
		.amdhsa_float_denorm_mode_32 3
		.amdhsa_float_denorm_mode_16_64 3
		.amdhsa_dx10_clamp 1
		.amdhsa_ieee_mode 1
		.amdhsa_fp16_overflow 0
		.amdhsa_tg_split 0
		.amdhsa_exception_fp_ieee_invalid_op 0
		.amdhsa_exception_fp_denorm_src 0
		.amdhsa_exception_fp_ieee_div_zero 0
		.amdhsa_exception_fp_ieee_overflow 0
		.amdhsa_exception_fp_ieee_underflow 0
		.amdhsa_exception_fp_ieee_inexact 0
		.amdhsa_exception_int_div_zero 0
	.end_amdhsa_kernel
	.section	.text._ZN7rocprim17ROCPRIM_400000_NS6detail17trampoline_kernelINS0_14default_configENS1_20scan_config_selectorIfEEZZNS1_9scan_implILNS1_25lookback_scan_determinismE0ELb1ELb1ES3_N6thrust23THRUST_200600_302600_NS6detail15normal_iteratorINS9_10device_ptrIjEEEENSB_INSC_IiEEEEfNS9_4plusIvEEfEEDaPvRmT3_T4_T5_mT6_P12ihipStream_tbENKUlT_T0_E_clISt17integral_constantIbLb1EESV_IbLb0EEEEDaSR_SS_EUlSR_E0_NS1_11comp_targetILNS1_3genE10ELNS1_11target_archE1200ELNS1_3gpuE4ELNS1_3repE0EEENS1_30default_config_static_selectorELNS0_4arch9wavefront6targetE1EEEvT1_,"axG",@progbits,_ZN7rocprim17ROCPRIM_400000_NS6detail17trampoline_kernelINS0_14default_configENS1_20scan_config_selectorIfEEZZNS1_9scan_implILNS1_25lookback_scan_determinismE0ELb1ELb1ES3_N6thrust23THRUST_200600_302600_NS6detail15normal_iteratorINS9_10device_ptrIjEEEENSB_INSC_IiEEEEfNS9_4plusIvEEfEEDaPvRmT3_T4_T5_mT6_P12ihipStream_tbENKUlT_T0_E_clISt17integral_constantIbLb1EESV_IbLb0EEEEDaSR_SS_EUlSR_E0_NS1_11comp_targetILNS1_3genE10ELNS1_11target_archE1200ELNS1_3gpuE4ELNS1_3repE0EEENS1_30default_config_static_selectorELNS0_4arch9wavefront6targetE1EEEvT1_,comdat
.Lfunc_end6355:
	.size	_ZN7rocprim17ROCPRIM_400000_NS6detail17trampoline_kernelINS0_14default_configENS1_20scan_config_selectorIfEEZZNS1_9scan_implILNS1_25lookback_scan_determinismE0ELb1ELb1ES3_N6thrust23THRUST_200600_302600_NS6detail15normal_iteratorINS9_10device_ptrIjEEEENSB_INSC_IiEEEEfNS9_4plusIvEEfEEDaPvRmT3_T4_T5_mT6_P12ihipStream_tbENKUlT_T0_E_clISt17integral_constantIbLb1EESV_IbLb0EEEEDaSR_SS_EUlSR_E0_NS1_11comp_targetILNS1_3genE10ELNS1_11target_archE1200ELNS1_3gpuE4ELNS1_3repE0EEENS1_30default_config_static_selectorELNS0_4arch9wavefront6targetE1EEEvT1_, .Lfunc_end6355-_ZN7rocprim17ROCPRIM_400000_NS6detail17trampoline_kernelINS0_14default_configENS1_20scan_config_selectorIfEEZZNS1_9scan_implILNS1_25lookback_scan_determinismE0ELb1ELb1ES3_N6thrust23THRUST_200600_302600_NS6detail15normal_iteratorINS9_10device_ptrIjEEEENSB_INSC_IiEEEEfNS9_4plusIvEEfEEDaPvRmT3_T4_T5_mT6_P12ihipStream_tbENKUlT_T0_E_clISt17integral_constantIbLb1EESV_IbLb0EEEEDaSR_SS_EUlSR_E0_NS1_11comp_targetILNS1_3genE10ELNS1_11target_archE1200ELNS1_3gpuE4ELNS1_3repE0EEENS1_30default_config_static_selectorELNS0_4arch9wavefront6targetE1EEEvT1_
                                        ; -- End function
	.section	.AMDGPU.csdata,"",@progbits
; Kernel info:
; codeLenInByte = 0
; NumSgprs: 4
; NumVgprs: 0
; NumAgprs: 0
; TotalNumVgprs: 0
; ScratchSize: 0
; MemoryBound: 0
; FloatMode: 240
; IeeeMode: 1
; LDSByteSize: 0 bytes/workgroup (compile time only)
; SGPRBlocks: 0
; VGPRBlocks: 0
; NumSGPRsForWavesPerEU: 4
; NumVGPRsForWavesPerEU: 1
; AccumOffset: 4
; Occupancy: 8
; WaveLimiterHint : 0
; COMPUTE_PGM_RSRC2:SCRATCH_EN: 0
; COMPUTE_PGM_RSRC2:USER_SGPR: 6
; COMPUTE_PGM_RSRC2:TRAP_HANDLER: 0
; COMPUTE_PGM_RSRC2:TGID_X_EN: 1
; COMPUTE_PGM_RSRC2:TGID_Y_EN: 0
; COMPUTE_PGM_RSRC2:TGID_Z_EN: 0
; COMPUTE_PGM_RSRC2:TIDIG_COMP_CNT: 0
; COMPUTE_PGM_RSRC3_GFX90A:ACCUM_OFFSET: 0
; COMPUTE_PGM_RSRC3_GFX90A:TG_SPLIT: 0
	.section	.text._ZN7rocprim17ROCPRIM_400000_NS6detail17trampoline_kernelINS0_14default_configENS1_20scan_config_selectorIfEEZZNS1_9scan_implILNS1_25lookback_scan_determinismE0ELb1ELb1ES3_N6thrust23THRUST_200600_302600_NS6detail15normal_iteratorINS9_10device_ptrIjEEEENSB_INSC_IiEEEEfNS9_4plusIvEEfEEDaPvRmT3_T4_T5_mT6_P12ihipStream_tbENKUlT_T0_E_clISt17integral_constantIbLb1EESV_IbLb0EEEEDaSR_SS_EUlSR_E0_NS1_11comp_targetILNS1_3genE9ELNS1_11target_archE1100ELNS1_3gpuE3ELNS1_3repE0EEENS1_30default_config_static_selectorELNS0_4arch9wavefront6targetE1EEEvT1_,"axG",@progbits,_ZN7rocprim17ROCPRIM_400000_NS6detail17trampoline_kernelINS0_14default_configENS1_20scan_config_selectorIfEEZZNS1_9scan_implILNS1_25lookback_scan_determinismE0ELb1ELb1ES3_N6thrust23THRUST_200600_302600_NS6detail15normal_iteratorINS9_10device_ptrIjEEEENSB_INSC_IiEEEEfNS9_4plusIvEEfEEDaPvRmT3_T4_T5_mT6_P12ihipStream_tbENKUlT_T0_E_clISt17integral_constantIbLb1EESV_IbLb0EEEEDaSR_SS_EUlSR_E0_NS1_11comp_targetILNS1_3genE9ELNS1_11target_archE1100ELNS1_3gpuE3ELNS1_3repE0EEENS1_30default_config_static_selectorELNS0_4arch9wavefront6targetE1EEEvT1_,comdat
	.protected	_ZN7rocprim17ROCPRIM_400000_NS6detail17trampoline_kernelINS0_14default_configENS1_20scan_config_selectorIfEEZZNS1_9scan_implILNS1_25lookback_scan_determinismE0ELb1ELb1ES3_N6thrust23THRUST_200600_302600_NS6detail15normal_iteratorINS9_10device_ptrIjEEEENSB_INSC_IiEEEEfNS9_4plusIvEEfEEDaPvRmT3_T4_T5_mT6_P12ihipStream_tbENKUlT_T0_E_clISt17integral_constantIbLb1EESV_IbLb0EEEEDaSR_SS_EUlSR_E0_NS1_11comp_targetILNS1_3genE9ELNS1_11target_archE1100ELNS1_3gpuE3ELNS1_3repE0EEENS1_30default_config_static_selectorELNS0_4arch9wavefront6targetE1EEEvT1_ ; -- Begin function _ZN7rocprim17ROCPRIM_400000_NS6detail17trampoline_kernelINS0_14default_configENS1_20scan_config_selectorIfEEZZNS1_9scan_implILNS1_25lookback_scan_determinismE0ELb1ELb1ES3_N6thrust23THRUST_200600_302600_NS6detail15normal_iteratorINS9_10device_ptrIjEEEENSB_INSC_IiEEEEfNS9_4plusIvEEfEEDaPvRmT3_T4_T5_mT6_P12ihipStream_tbENKUlT_T0_E_clISt17integral_constantIbLb1EESV_IbLb0EEEEDaSR_SS_EUlSR_E0_NS1_11comp_targetILNS1_3genE9ELNS1_11target_archE1100ELNS1_3gpuE3ELNS1_3repE0EEENS1_30default_config_static_selectorELNS0_4arch9wavefront6targetE1EEEvT1_
	.globl	_ZN7rocprim17ROCPRIM_400000_NS6detail17trampoline_kernelINS0_14default_configENS1_20scan_config_selectorIfEEZZNS1_9scan_implILNS1_25lookback_scan_determinismE0ELb1ELb1ES3_N6thrust23THRUST_200600_302600_NS6detail15normal_iteratorINS9_10device_ptrIjEEEENSB_INSC_IiEEEEfNS9_4plusIvEEfEEDaPvRmT3_T4_T5_mT6_P12ihipStream_tbENKUlT_T0_E_clISt17integral_constantIbLb1EESV_IbLb0EEEEDaSR_SS_EUlSR_E0_NS1_11comp_targetILNS1_3genE9ELNS1_11target_archE1100ELNS1_3gpuE3ELNS1_3repE0EEENS1_30default_config_static_selectorELNS0_4arch9wavefront6targetE1EEEvT1_
	.p2align	8
	.type	_ZN7rocprim17ROCPRIM_400000_NS6detail17trampoline_kernelINS0_14default_configENS1_20scan_config_selectorIfEEZZNS1_9scan_implILNS1_25lookback_scan_determinismE0ELb1ELb1ES3_N6thrust23THRUST_200600_302600_NS6detail15normal_iteratorINS9_10device_ptrIjEEEENSB_INSC_IiEEEEfNS9_4plusIvEEfEEDaPvRmT3_T4_T5_mT6_P12ihipStream_tbENKUlT_T0_E_clISt17integral_constantIbLb1EESV_IbLb0EEEEDaSR_SS_EUlSR_E0_NS1_11comp_targetILNS1_3genE9ELNS1_11target_archE1100ELNS1_3gpuE3ELNS1_3repE0EEENS1_30default_config_static_selectorELNS0_4arch9wavefront6targetE1EEEvT1_,@function
_ZN7rocprim17ROCPRIM_400000_NS6detail17trampoline_kernelINS0_14default_configENS1_20scan_config_selectorIfEEZZNS1_9scan_implILNS1_25lookback_scan_determinismE0ELb1ELb1ES3_N6thrust23THRUST_200600_302600_NS6detail15normal_iteratorINS9_10device_ptrIjEEEENSB_INSC_IiEEEEfNS9_4plusIvEEfEEDaPvRmT3_T4_T5_mT6_P12ihipStream_tbENKUlT_T0_E_clISt17integral_constantIbLb1EESV_IbLb0EEEEDaSR_SS_EUlSR_E0_NS1_11comp_targetILNS1_3genE9ELNS1_11target_archE1100ELNS1_3gpuE3ELNS1_3repE0EEENS1_30default_config_static_selectorELNS0_4arch9wavefront6targetE1EEEvT1_: ; @_ZN7rocprim17ROCPRIM_400000_NS6detail17trampoline_kernelINS0_14default_configENS1_20scan_config_selectorIfEEZZNS1_9scan_implILNS1_25lookback_scan_determinismE0ELb1ELb1ES3_N6thrust23THRUST_200600_302600_NS6detail15normal_iteratorINS9_10device_ptrIjEEEENSB_INSC_IiEEEEfNS9_4plusIvEEfEEDaPvRmT3_T4_T5_mT6_P12ihipStream_tbENKUlT_T0_E_clISt17integral_constantIbLb1EESV_IbLb0EEEEDaSR_SS_EUlSR_E0_NS1_11comp_targetILNS1_3genE9ELNS1_11target_archE1100ELNS1_3gpuE3ELNS1_3repE0EEENS1_30default_config_static_selectorELNS0_4arch9wavefront6targetE1EEEvT1_
; %bb.0:
	.section	.rodata,"a",@progbits
	.p2align	6, 0x0
	.amdhsa_kernel _ZN7rocprim17ROCPRIM_400000_NS6detail17trampoline_kernelINS0_14default_configENS1_20scan_config_selectorIfEEZZNS1_9scan_implILNS1_25lookback_scan_determinismE0ELb1ELb1ES3_N6thrust23THRUST_200600_302600_NS6detail15normal_iteratorINS9_10device_ptrIjEEEENSB_INSC_IiEEEEfNS9_4plusIvEEfEEDaPvRmT3_T4_T5_mT6_P12ihipStream_tbENKUlT_T0_E_clISt17integral_constantIbLb1EESV_IbLb0EEEEDaSR_SS_EUlSR_E0_NS1_11comp_targetILNS1_3genE9ELNS1_11target_archE1100ELNS1_3gpuE3ELNS1_3repE0EEENS1_30default_config_static_selectorELNS0_4arch9wavefront6targetE1EEEvT1_
		.amdhsa_group_segment_fixed_size 0
		.amdhsa_private_segment_fixed_size 0
		.amdhsa_kernarg_size 32
		.amdhsa_user_sgpr_count 6
		.amdhsa_user_sgpr_private_segment_buffer 1
		.amdhsa_user_sgpr_dispatch_ptr 0
		.amdhsa_user_sgpr_queue_ptr 0
		.amdhsa_user_sgpr_kernarg_segment_ptr 1
		.amdhsa_user_sgpr_dispatch_id 0
		.amdhsa_user_sgpr_flat_scratch_init 0
		.amdhsa_user_sgpr_kernarg_preload_length 0
		.amdhsa_user_sgpr_kernarg_preload_offset 0
		.amdhsa_user_sgpr_private_segment_size 0
		.amdhsa_uses_dynamic_stack 0
		.amdhsa_system_sgpr_private_segment_wavefront_offset 0
		.amdhsa_system_sgpr_workgroup_id_x 1
		.amdhsa_system_sgpr_workgroup_id_y 0
		.amdhsa_system_sgpr_workgroup_id_z 0
		.amdhsa_system_sgpr_workgroup_info 0
		.amdhsa_system_vgpr_workitem_id 0
		.amdhsa_next_free_vgpr 1
		.amdhsa_next_free_sgpr 0
		.amdhsa_accum_offset 4
		.amdhsa_reserve_vcc 0
		.amdhsa_reserve_flat_scratch 0
		.amdhsa_float_round_mode_32 0
		.amdhsa_float_round_mode_16_64 0
		.amdhsa_float_denorm_mode_32 3
		.amdhsa_float_denorm_mode_16_64 3
		.amdhsa_dx10_clamp 1
		.amdhsa_ieee_mode 1
		.amdhsa_fp16_overflow 0
		.amdhsa_tg_split 0
		.amdhsa_exception_fp_ieee_invalid_op 0
		.amdhsa_exception_fp_denorm_src 0
		.amdhsa_exception_fp_ieee_div_zero 0
		.amdhsa_exception_fp_ieee_overflow 0
		.amdhsa_exception_fp_ieee_underflow 0
		.amdhsa_exception_fp_ieee_inexact 0
		.amdhsa_exception_int_div_zero 0
	.end_amdhsa_kernel
	.section	.text._ZN7rocprim17ROCPRIM_400000_NS6detail17trampoline_kernelINS0_14default_configENS1_20scan_config_selectorIfEEZZNS1_9scan_implILNS1_25lookback_scan_determinismE0ELb1ELb1ES3_N6thrust23THRUST_200600_302600_NS6detail15normal_iteratorINS9_10device_ptrIjEEEENSB_INSC_IiEEEEfNS9_4plusIvEEfEEDaPvRmT3_T4_T5_mT6_P12ihipStream_tbENKUlT_T0_E_clISt17integral_constantIbLb1EESV_IbLb0EEEEDaSR_SS_EUlSR_E0_NS1_11comp_targetILNS1_3genE9ELNS1_11target_archE1100ELNS1_3gpuE3ELNS1_3repE0EEENS1_30default_config_static_selectorELNS0_4arch9wavefront6targetE1EEEvT1_,"axG",@progbits,_ZN7rocprim17ROCPRIM_400000_NS6detail17trampoline_kernelINS0_14default_configENS1_20scan_config_selectorIfEEZZNS1_9scan_implILNS1_25lookback_scan_determinismE0ELb1ELb1ES3_N6thrust23THRUST_200600_302600_NS6detail15normal_iteratorINS9_10device_ptrIjEEEENSB_INSC_IiEEEEfNS9_4plusIvEEfEEDaPvRmT3_T4_T5_mT6_P12ihipStream_tbENKUlT_T0_E_clISt17integral_constantIbLb1EESV_IbLb0EEEEDaSR_SS_EUlSR_E0_NS1_11comp_targetILNS1_3genE9ELNS1_11target_archE1100ELNS1_3gpuE3ELNS1_3repE0EEENS1_30default_config_static_selectorELNS0_4arch9wavefront6targetE1EEEvT1_,comdat
.Lfunc_end6356:
	.size	_ZN7rocprim17ROCPRIM_400000_NS6detail17trampoline_kernelINS0_14default_configENS1_20scan_config_selectorIfEEZZNS1_9scan_implILNS1_25lookback_scan_determinismE0ELb1ELb1ES3_N6thrust23THRUST_200600_302600_NS6detail15normal_iteratorINS9_10device_ptrIjEEEENSB_INSC_IiEEEEfNS9_4plusIvEEfEEDaPvRmT3_T4_T5_mT6_P12ihipStream_tbENKUlT_T0_E_clISt17integral_constantIbLb1EESV_IbLb0EEEEDaSR_SS_EUlSR_E0_NS1_11comp_targetILNS1_3genE9ELNS1_11target_archE1100ELNS1_3gpuE3ELNS1_3repE0EEENS1_30default_config_static_selectorELNS0_4arch9wavefront6targetE1EEEvT1_, .Lfunc_end6356-_ZN7rocprim17ROCPRIM_400000_NS6detail17trampoline_kernelINS0_14default_configENS1_20scan_config_selectorIfEEZZNS1_9scan_implILNS1_25lookback_scan_determinismE0ELb1ELb1ES3_N6thrust23THRUST_200600_302600_NS6detail15normal_iteratorINS9_10device_ptrIjEEEENSB_INSC_IiEEEEfNS9_4plusIvEEfEEDaPvRmT3_T4_T5_mT6_P12ihipStream_tbENKUlT_T0_E_clISt17integral_constantIbLb1EESV_IbLb0EEEEDaSR_SS_EUlSR_E0_NS1_11comp_targetILNS1_3genE9ELNS1_11target_archE1100ELNS1_3gpuE3ELNS1_3repE0EEENS1_30default_config_static_selectorELNS0_4arch9wavefront6targetE1EEEvT1_
                                        ; -- End function
	.section	.AMDGPU.csdata,"",@progbits
; Kernel info:
; codeLenInByte = 0
; NumSgprs: 4
; NumVgprs: 0
; NumAgprs: 0
; TotalNumVgprs: 0
; ScratchSize: 0
; MemoryBound: 0
; FloatMode: 240
; IeeeMode: 1
; LDSByteSize: 0 bytes/workgroup (compile time only)
; SGPRBlocks: 0
; VGPRBlocks: 0
; NumSGPRsForWavesPerEU: 4
; NumVGPRsForWavesPerEU: 1
; AccumOffset: 4
; Occupancy: 8
; WaveLimiterHint : 0
; COMPUTE_PGM_RSRC2:SCRATCH_EN: 0
; COMPUTE_PGM_RSRC2:USER_SGPR: 6
; COMPUTE_PGM_RSRC2:TRAP_HANDLER: 0
; COMPUTE_PGM_RSRC2:TGID_X_EN: 1
; COMPUTE_PGM_RSRC2:TGID_Y_EN: 0
; COMPUTE_PGM_RSRC2:TGID_Z_EN: 0
; COMPUTE_PGM_RSRC2:TIDIG_COMP_CNT: 0
; COMPUTE_PGM_RSRC3_GFX90A:ACCUM_OFFSET: 0
; COMPUTE_PGM_RSRC3_GFX90A:TG_SPLIT: 0
	.section	.text._ZN7rocprim17ROCPRIM_400000_NS6detail17trampoline_kernelINS0_14default_configENS1_20scan_config_selectorIfEEZZNS1_9scan_implILNS1_25lookback_scan_determinismE0ELb1ELb1ES3_N6thrust23THRUST_200600_302600_NS6detail15normal_iteratorINS9_10device_ptrIjEEEENSB_INSC_IiEEEEfNS9_4plusIvEEfEEDaPvRmT3_T4_T5_mT6_P12ihipStream_tbENKUlT_T0_E_clISt17integral_constantIbLb1EESV_IbLb0EEEEDaSR_SS_EUlSR_E0_NS1_11comp_targetILNS1_3genE8ELNS1_11target_archE1030ELNS1_3gpuE2ELNS1_3repE0EEENS1_30default_config_static_selectorELNS0_4arch9wavefront6targetE1EEEvT1_,"axG",@progbits,_ZN7rocprim17ROCPRIM_400000_NS6detail17trampoline_kernelINS0_14default_configENS1_20scan_config_selectorIfEEZZNS1_9scan_implILNS1_25lookback_scan_determinismE0ELb1ELb1ES3_N6thrust23THRUST_200600_302600_NS6detail15normal_iteratorINS9_10device_ptrIjEEEENSB_INSC_IiEEEEfNS9_4plusIvEEfEEDaPvRmT3_T4_T5_mT6_P12ihipStream_tbENKUlT_T0_E_clISt17integral_constantIbLb1EESV_IbLb0EEEEDaSR_SS_EUlSR_E0_NS1_11comp_targetILNS1_3genE8ELNS1_11target_archE1030ELNS1_3gpuE2ELNS1_3repE0EEENS1_30default_config_static_selectorELNS0_4arch9wavefront6targetE1EEEvT1_,comdat
	.protected	_ZN7rocprim17ROCPRIM_400000_NS6detail17trampoline_kernelINS0_14default_configENS1_20scan_config_selectorIfEEZZNS1_9scan_implILNS1_25lookback_scan_determinismE0ELb1ELb1ES3_N6thrust23THRUST_200600_302600_NS6detail15normal_iteratorINS9_10device_ptrIjEEEENSB_INSC_IiEEEEfNS9_4plusIvEEfEEDaPvRmT3_T4_T5_mT6_P12ihipStream_tbENKUlT_T0_E_clISt17integral_constantIbLb1EESV_IbLb0EEEEDaSR_SS_EUlSR_E0_NS1_11comp_targetILNS1_3genE8ELNS1_11target_archE1030ELNS1_3gpuE2ELNS1_3repE0EEENS1_30default_config_static_selectorELNS0_4arch9wavefront6targetE1EEEvT1_ ; -- Begin function _ZN7rocprim17ROCPRIM_400000_NS6detail17trampoline_kernelINS0_14default_configENS1_20scan_config_selectorIfEEZZNS1_9scan_implILNS1_25lookback_scan_determinismE0ELb1ELb1ES3_N6thrust23THRUST_200600_302600_NS6detail15normal_iteratorINS9_10device_ptrIjEEEENSB_INSC_IiEEEEfNS9_4plusIvEEfEEDaPvRmT3_T4_T5_mT6_P12ihipStream_tbENKUlT_T0_E_clISt17integral_constantIbLb1EESV_IbLb0EEEEDaSR_SS_EUlSR_E0_NS1_11comp_targetILNS1_3genE8ELNS1_11target_archE1030ELNS1_3gpuE2ELNS1_3repE0EEENS1_30default_config_static_selectorELNS0_4arch9wavefront6targetE1EEEvT1_
	.globl	_ZN7rocprim17ROCPRIM_400000_NS6detail17trampoline_kernelINS0_14default_configENS1_20scan_config_selectorIfEEZZNS1_9scan_implILNS1_25lookback_scan_determinismE0ELb1ELb1ES3_N6thrust23THRUST_200600_302600_NS6detail15normal_iteratorINS9_10device_ptrIjEEEENSB_INSC_IiEEEEfNS9_4plusIvEEfEEDaPvRmT3_T4_T5_mT6_P12ihipStream_tbENKUlT_T0_E_clISt17integral_constantIbLb1EESV_IbLb0EEEEDaSR_SS_EUlSR_E0_NS1_11comp_targetILNS1_3genE8ELNS1_11target_archE1030ELNS1_3gpuE2ELNS1_3repE0EEENS1_30default_config_static_selectorELNS0_4arch9wavefront6targetE1EEEvT1_
	.p2align	8
	.type	_ZN7rocprim17ROCPRIM_400000_NS6detail17trampoline_kernelINS0_14default_configENS1_20scan_config_selectorIfEEZZNS1_9scan_implILNS1_25lookback_scan_determinismE0ELb1ELb1ES3_N6thrust23THRUST_200600_302600_NS6detail15normal_iteratorINS9_10device_ptrIjEEEENSB_INSC_IiEEEEfNS9_4plusIvEEfEEDaPvRmT3_T4_T5_mT6_P12ihipStream_tbENKUlT_T0_E_clISt17integral_constantIbLb1EESV_IbLb0EEEEDaSR_SS_EUlSR_E0_NS1_11comp_targetILNS1_3genE8ELNS1_11target_archE1030ELNS1_3gpuE2ELNS1_3repE0EEENS1_30default_config_static_selectorELNS0_4arch9wavefront6targetE1EEEvT1_,@function
_ZN7rocprim17ROCPRIM_400000_NS6detail17trampoline_kernelINS0_14default_configENS1_20scan_config_selectorIfEEZZNS1_9scan_implILNS1_25lookback_scan_determinismE0ELb1ELb1ES3_N6thrust23THRUST_200600_302600_NS6detail15normal_iteratorINS9_10device_ptrIjEEEENSB_INSC_IiEEEEfNS9_4plusIvEEfEEDaPvRmT3_T4_T5_mT6_P12ihipStream_tbENKUlT_T0_E_clISt17integral_constantIbLb1EESV_IbLb0EEEEDaSR_SS_EUlSR_E0_NS1_11comp_targetILNS1_3genE8ELNS1_11target_archE1030ELNS1_3gpuE2ELNS1_3repE0EEENS1_30default_config_static_selectorELNS0_4arch9wavefront6targetE1EEEvT1_: ; @_ZN7rocprim17ROCPRIM_400000_NS6detail17trampoline_kernelINS0_14default_configENS1_20scan_config_selectorIfEEZZNS1_9scan_implILNS1_25lookback_scan_determinismE0ELb1ELb1ES3_N6thrust23THRUST_200600_302600_NS6detail15normal_iteratorINS9_10device_ptrIjEEEENSB_INSC_IiEEEEfNS9_4plusIvEEfEEDaPvRmT3_T4_T5_mT6_P12ihipStream_tbENKUlT_T0_E_clISt17integral_constantIbLb1EESV_IbLb0EEEEDaSR_SS_EUlSR_E0_NS1_11comp_targetILNS1_3genE8ELNS1_11target_archE1030ELNS1_3gpuE2ELNS1_3repE0EEENS1_30default_config_static_selectorELNS0_4arch9wavefront6targetE1EEEvT1_
; %bb.0:
	.section	.rodata,"a",@progbits
	.p2align	6, 0x0
	.amdhsa_kernel _ZN7rocprim17ROCPRIM_400000_NS6detail17trampoline_kernelINS0_14default_configENS1_20scan_config_selectorIfEEZZNS1_9scan_implILNS1_25lookback_scan_determinismE0ELb1ELb1ES3_N6thrust23THRUST_200600_302600_NS6detail15normal_iteratorINS9_10device_ptrIjEEEENSB_INSC_IiEEEEfNS9_4plusIvEEfEEDaPvRmT3_T4_T5_mT6_P12ihipStream_tbENKUlT_T0_E_clISt17integral_constantIbLb1EESV_IbLb0EEEEDaSR_SS_EUlSR_E0_NS1_11comp_targetILNS1_3genE8ELNS1_11target_archE1030ELNS1_3gpuE2ELNS1_3repE0EEENS1_30default_config_static_selectorELNS0_4arch9wavefront6targetE1EEEvT1_
		.amdhsa_group_segment_fixed_size 0
		.amdhsa_private_segment_fixed_size 0
		.amdhsa_kernarg_size 32
		.amdhsa_user_sgpr_count 6
		.amdhsa_user_sgpr_private_segment_buffer 1
		.amdhsa_user_sgpr_dispatch_ptr 0
		.amdhsa_user_sgpr_queue_ptr 0
		.amdhsa_user_sgpr_kernarg_segment_ptr 1
		.amdhsa_user_sgpr_dispatch_id 0
		.amdhsa_user_sgpr_flat_scratch_init 0
		.amdhsa_user_sgpr_kernarg_preload_length 0
		.amdhsa_user_sgpr_kernarg_preload_offset 0
		.amdhsa_user_sgpr_private_segment_size 0
		.amdhsa_uses_dynamic_stack 0
		.amdhsa_system_sgpr_private_segment_wavefront_offset 0
		.amdhsa_system_sgpr_workgroup_id_x 1
		.amdhsa_system_sgpr_workgroup_id_y 0
		.amdhsa_system_sgpr_workgroup_id_z 0
		.amdhsa_system_sgpr_workgroup_info 0
		.amdhsa_system_vgpr_workitem_id 0
		.amdhsa_next_free_vgpr 1
		.amdhsa_next_free_sgpr 0
		.amdhsa_accum_offset 4
		.amdhsa_reserve_vcc 0
		.amdhsa_reserve_flat_scratch 0
		.amdhsa_float_round_mode_32 0
		.amdhsa_float_round_mode_16_64 0
		.amdhsa_float_denorm_mode_32 3
		.amdhsa_float_denorm_mode_16_64 3
		.amdhsa_dx10_clamp 1
		.amdhsa_ieee_mode 1
		.amdhsa_fp16_overflow 0
		.amdhsa_tg_split 0
		.amdhsa_exception_fp_ieee_invalid_op 0
		.amdhsa_exception_fp_denorm_src 0
		.amdhsa_exception_fp_ieee_div_zero 0
		.amdhsa_exception_fp_ieee_overflow 0
		.amdhsa_exception_fp_ieee_underflow 0
		.amdhsa_exception_fp_ieee_inexact 0
		.amdhsa_exception_int_div_zero 0
	.end_amdhsa_kernel
	.section	.text._ZN7rocprim17ROCPRIM_400000_NS6detail17trampoline_kernelINS0_14default_configENS1_20scan_config_selectorIfEEZZNS1_9scan_implILNS1_25lookback_scan_determinismE0ELb1ELb1ES3_N6thrust23THRUST_200600_302600_NS6detail15normal_iteratorINS9_10device_ptrIjEEEENSB_INSC_IiEEEEfNS9_4plusIvEEfEEDaPvRmT3_T4_T5_mT6_P12ihipStream_tbENKUlT_T0_E_clISt17integral_constantIbLb1EESV_IbLb0EEEEDaSR_SS_EUlSR_E0_NS1_11comp_targetILNS1_3genE8ELNS1_11target_archE1030ELNS1_3gpuE2ELNS1_3repE0EEENS1_30default_config_static_selectorELNS0_4arch9wavefront6targetE1EEEvT1_,"axG",@progbits,_ZN7rocprim17ROCPRIM_400000_NS6detail17trampoline_kernelINS0_14default_configENS1_20scan_config_selectorIfEEZZNS1_9scan_implILNS1_25lookback_scan_determinismE0ELb1ELb1ES3_N6thrust23THRUST_200600_302600_NS6detail15normal_iteratorINS9_10device_ptrIjEEEENSB_INSC_IiEEEEfNS9_4plusIvEEfEEDaPvRmT3_T4_T5_mT6_P12ihipStream_tbENKUlT_T0_E_clISt17integral_constantIbLb1EESV_IbLb0EEEEDaSR_SS_EUlSR_E0_NS1_11comp_targetILNS1_3genE8ELNS1_11target_archE1030ELNS1_3gpuE2ELNS1_3repE0EEENS1_30default_config_static_selectorELNS0_4arch9wavefront6targetE1EEEvT1_,comdat
.Lfunc_end6357:
	.size	_ZN7rocprim17ROCPRIM_400000_NS6detail17trampoline_kernelINS0_14default_configENS1_20scan_config_selectorIfEEZZNS1_9scan_implILNS1_25lookback_scan_determinismE0ELb1ELb1ES3_N6thrust23THRUST_200600_302600_NS6detail15normal_iteratorINS9_10device_ptrIjEEEENSB_INSC_IiEEEEfNS9_4plusIvEEfEEDaPvRmT3_T4_T5_mT6_P12ihipStream_tbENKUlT_T0_E_clISt17integral_constantIbLb1EESV_IbLb0EEEEDaSR_SS_EUlSR_E0_NS1_11comp_targetILNS1_3genE8ELNS1_11target_archE1030ELNS1_3gpuE2ELNS1_3repE0EEENS1_30default_config_static_selectorELNS0_4arch9wavefront6targetE1EEEvT1_, .Lfunc_end6357-_ZN7rocprim17ROCPRIM_400000_NS6detail17trampoline_kernelINS0_14default_configENS1_20scan_config_selectorIfEEZZNS1_9scan_implILNS1_25lookback_scan_determinismE0ELb1ELb1ES3_N6thrust23THRUST_200600_302600_NS6detail15normal_iteratorINS9_10device_ptrIjEEEENSB_INSC_IiEEEEfNS9_4plusIvEEfEEDaPvRmT3_T4_T5_mT6_P12ihipStream_tbENKUlT_T0_E_clISt17integral_constantIbLb1EESV_IbLb0EEEEDaSR_SS_EUlSR_E0_NS1_11comp_targetILNS1_3genE8ELNS1_11target_archE1030ELNS1_3gpuE2ELNS1_3repE0EEENS1_30default_config_static_selectorELNS0_4arch9wavefront6targetE1EEEvT1_
                                        ; -- End function
	.section	.AMDGPU.csdata,"",@progbits
; Kernel info:
; codeLenInByte = 0
; NumSgprs: 4
; NumVgprs: 0
; NumAgprs: 0
; TotalNumVgprs: 0
; ScratchSize: 0
; MemoryBound: 0
; FloatMode: 240
; IeeeMode: 1
; LDSByteSize: 0 bytes/workgroup (compile time only)
; SGPRBlocks: 0
; VGPRBlocks: 0
; NumSGPRsForWavesPerEU: 4
; NumVGPRsForWavesPerEU: 1
; AccumOffset: 4
; Occupancy: 8
; WaveLimiterHint : 0
; COMPUTE_PGM_RSRC2:SCRATCH_EN: 0
; COMPUTE_PGM_RSRC2:USER_SGPR: 6
; COMPUTE_PGM_RSRC2:TRAP_HANDLER: 0
; COMPUTE_PGM_RSRC2:TGID_X_EN: 1
; COMPUTE_PGM_RSRC2:TGID_Y_EN: 0
; COMPUTE_PGM_RSRC2:TGID_Z_EN: 0
; COMPUTE_PGM_RSRC2:TIDIG_COMP_CNT: 0
; COMPUTE_PGM_RSRC3_GFX90A:ACCUM_OFFSET: 0
; COMPUTE_PGM_RSRC3_GFX90A:TG_SPLIT: 0
	.section	.text._ZN7rocprim17ROCPRIM_400000_NS6detail17trampoline_kernelINS0_14default_configENS1_20scan_config_selectorIfEEZZNS1_9scan_implILNS1_25lookback_scan_determinismE0ELb1ELb1ES3_N6thrust23THRUST_200600_302600_NS6detail15normal_iteratorINS9_10device_ptrIjEEEENSB_INSC_IiEEEEfNS9_4plusIvEEfEEDaPvRmT3_T4_T5_mT6_P12ihipStream_tbENKUlT_T0_E_clISt17integral_constantIbLb0EESV_IbLb1EEEEDaSR_SS_EUlSR_E_NS1_11comp_targetILNS1_3genE0ELNS1_11target_archE4294967295ELNS1_3gpuE0ELNS1_3repE0EEENS1_30default_config_static_selectorELNS0_4arch9wavefront6targetE1EEEvT1_,"axG",@progbits,_ZN7rocprim17ROCPRIM_400000_NS6detail17trampoline_kernelINS0_14default_configENS1_20scan_config_selectorIfEEZZNS1_9scan_implILNS1_25lookback_scan_determinismE0ELb1ELb1ES3_N6thrust23THRUST_200600_302600_NS6detail15normal_iteratorINS9_10device_ptrIjEEEENSB_INSC_IiEEEEfNS9_4plusIvEEfEEDaPvRmT3_T4_T5_mT6_P12ihipStream_tbENKUlT_T0_E_clISt17integral_constantIbLb0EESV_IbLb1EEEEDaSR_SS_EUlSR_E_NS1_11comp_targetILNS1_3genE0ELNS1_11target_archE4294967295ELNS1_3gpuE0ELNS1_3repE0EEENS1_30default_config_static_selectorELNS0_4arch9wavefront6targetE1EEEvT1_,comdat
	.protected	_ZN7rocprim17ROCPRIM_400000_NS6detail17trampoline_kernelINS0_14default_configENS1_20scan_config_selectorIfEEZZNS1_9scan_implILNS1_25lookback_scan_determinismE0ELb1ELb1ES3_N6thrust23THRUST_200600_302600_NS6detail15normal_iteratorINS9_10device_ptrIjEEEENSB_INSC_IiEEEEfNS9_4plusIvEEfEEDaPvRmT3_T4_T5_mT6_P12ihipStream_tbENKUlT_T0_E_clISt17integral_constantIbLb0EESV_IbLb1EEEEDaSR_SS_EUlSR_E_NS1_11comp_targetILNS1_3genE0ELNS1_11target_archE4294967295ELNS1_3gpuE0ELNS1_3repE0EEENS1_30default_config_static_selectorELNS0_4arch9wavefront6targetE1EEEvT1_ ; -- Begin function _ZN7rocprim17ROCPRIM_400000_NS6detail17trampoline_kernelINS0_14default_configENS1_20scan_config_selectorIfEEZZNS1_9scan_implILNS1_25lookback_scan_determinismE0ELb1ELb1ES3_N6thrust23THRUST_200600_302600_NS6detail15normal_iteratorINS9_10device_ptrIjEEEENSB_INSC_IiEEEEfNS9_4plusIvEEfEEDaPvRmT3_T4_T5_mT6_P12ihipStream_tbENKUlT_T0_E_clISt17integral_constantIbLb0EESV_IbLb1EEEEDaSR_SS_EUlSR_E_NS1_11comp_targetILNS1_3genE0ELNS1_11target_archE4294967295ELNS1_3gpuE0ELNS1_3repE0EEENS1_30default_config_static_selectorELNS0_4arch9wavefront6targetE1EEEvT1_
	.globl	_ZN7rocprim17ROCPRIM_400000_NS6detail17trampoline_kernelINS0_14default_configENS1_20scan_config_selectorIfEEZZNS1_9scan_implILNS1_25lookback_scan_determinismE0ELb1ELb1ES3_N6thrust23THRUST_200600_302600_NS6detail15normal_iteratorINS9_10device_ptrIjEEEENSB_INSC_IiEEEEfNS9_4plusIvEEfEEDaPvRmT3_T4_T5_mT6_P12ihipStream_tbENKUlT_T0_E_clISt17integral_constantIbLb0EESV_IbLb1EEEEDaSR_SS_EUlSR_E_NS1_11comp_targetILNS1_3genE0ELNS1_11target_archE4294967295ELNS1_3gpuE0ELNS1_3repE0EEENS1_30default_config_static_selectorELNS0_4arch9wavefront6targetE1EEEvT1_
	.p2align	8
	.type	_ZN7rocprim17ROCPRIM_400000_NS6detail17trampoline_kernelINS0_14default_configENS1_20scan_config_selectorIfEEZZNS1_9scan_implILNS1_25lookback_scan_determinismE0ELb1ELb1ES3_N6thrust23THRUST_200600_302600_NS6detail15normal_iteratorINS9_10device_ptrIjEEEENSB_INSC_IiEEEEfNS9_4plusIvEEfEEDaPvRmT3_T4_T5_mT6_P12ihipStream_tbENKUlT_T0_E_clISt17integral_constantIbLb0EESV_IbLb1EEEEDaSR_SS_EUlSR_E_NS1_11comp_targetILNS1_3genE0ELNS1_11target_archE4294967295ELNS1_3gpuE0ELNS1_3repE0EEENS1_30default_config_static_selectorELNS0_4arch9wavefront6targetE1EEEvT1_,@function
_ZN7rocprim17ROCPRIM_400000_NS6detail17trampoline_kernelINS0_14default_configENS1_20scan_config_selectorIfEEZZNS1_9scan_implILNS1_25lookback_scan_determinismE0ELb1ELb1ES3_N6thrust23THRUST_200600_302600_NS6detail15normal_iteratorINS9_10device_ptrIjEEEENSB_INSC_IiEEEEfNS9_4plusIvEEfEEDaPvRmT3_T4_T5_mT6_P12ihipStream_tbENKUlT_T0_E_clISt17integral_constantIbLb0EESV_IbLb1EEEEDaSR_SS_EUlSR_E_NS1_11comp_targetILNS1_3genE0ELNS1_11target_archE4294967295ELNS1_3gpuE0ELNS1_3repE0EEENS1_30default_config_static_selectorELNS0_4arch9wavefront6targetE1EEEvT1_: ; @_ZN7rocprim17ROCPRIM_400000_NS6detail17trampoline_kernelINS0_14default_configENS1_20scan_config_selectorIfEEZZNS1_9scan_implILNS1_25lookback_scan_determinismE0ELb1ELb1ES3_N6thrust23THRUST_200600_302600_NS6detail15normal_iteratorINS9_10device_ptrIjEEEENSB_INSC_IiEEEEfNS9_4plusIvEEfEEDaPvRmT3_T4_T5_mT6_P12ihipStream_tbENKUlT_T0_E_clISt17integral_constantIbLb0EESV_IbLb1EEEEDaSR_SS_EUlSR_E_NS1_11comp_targetILNS1_3genE0ELNS1_11target_archE4294967295ELNS1_3gpuE0ELNS1_3repE0EEENS1_30default_config_static_selectorELNS0_4arch9wavefront6targetE1EEEvT1_
; %bb.0:
	.section	.rodata,"a",@progbits
	.p2align	6, 0x0
	.amdhsa_kernel _ZN7rocprim17ROCPRIM_400000_NS6detail17trampoline_kernelINS0_14default_configENS1_20scan_config_selectorIfEEZZNS1_9scan_implILNS1_25lookback_scan_determinismE0ELb1ELb1ES3_N6thrust23THRUST_200600_302600_NS6detail15normal_iteratorINS9_10device_ptrIjEEEENSB_INSC_IiEEEEfNS9_4plusIvEEfEEDaPvRmT3_T4_T5_mT6_P12ihipStream_tbENKUlT_T0_E_clISt17integral_constantIbLb0EESV_IbLb1EEEEDaSR_SS_EUlSR_E_NS1_11comp_targetILNS1_3genE0ELNS1_11target_archE4294967295ELNS1_3gpuE0ELNS1_3repE0EEENS1_30default_config_static_selectorELNS0_4arch9wavefront6targetE1EEEvT1_
		.amdhsa_group_segment_fixed_size 0
		.amdhsa_private_segment_fixed_size 0
		.amdhsa_kernarg_size 96
		.amdhsa_user_sgpr_count 6
		.amdhsa_user_sgpr_private_segment_buffer 1
		.amdhsa_user_sgpr_dispatch_ptr 0
		.amdhsa_user_sgpr_queue_ptr 0
		.amdhsa_user_sgpr_kernarg_segment_ptr 1
		.amdhsa_user_sgpr_dispatch_id 0
		.amdhsa_user_sgpr_flat_scratch_init 0
		.amdhsa_user_sgpr_kernarg_preload_length 0
		.amdhsa_user_sgpr_kernarg_preload_offset 0
		.amdhsa_user_sgpr_private_segment_size 0
		.amdhsa_uses_dynamic_stack 0
		.amdhsa_system_sgpr_private_segment_wavefront_offset 0
		.amdhsa_system_sgpr_workgroup_id_x 1
		.amdhsa_system_sgpr_workgroup_id_y 0
		.amdhsa_system_sgpr_workgroup_id_z 0
		.amdhsa_system_sgpr_workgroup_info 0
		.amdhsa_system_vgpr_workitem_id 0
		.amdhsa_next_free_vgpr 1
		.amdhsa_next_free_sgpr 0
		.amdhsa_accum_offset 4
		.amdhsa_reserve_vcc 0
		.amdhsa_reserve_flat_scratch 0
		.amdhsa_float_round_mode_32 0
		.amdhsa_float_round_mode_16_64 0
		.amdhsa_float_denorm_mode_32 3
		.amdhsa_float_denorm_mode_16_64 3
		.amdhsa_dx10_clamp 1
		.amdhsa_ieee_mode 1
		.amdhsa_fp16_overflow 0
		.amdhsa_tg_split 0
		.amdhsa_exception_fp_ieee_invalid_op 0
		.amdhsa_exception_fp_denorm_src 0
		.amdhsa_exception_fp_ieee_div_zero 0
		.amdhsa_exception_fp_ieee_overflow 0
		.amdhsa_exception_fp_ieee_underflow 0
		.amdhsa_exception_fp_ieee_inexact 0
		.amdhsa_exception_int_div_zero 0
	.end_amdhsa_kernel
	.section	.text._ZN7rocprim17ROCPRIM_400000_NS6detail17trampoline_kernelINS0_14default_configENS1_20scan_config_selectorIfEEZZNS1_9scan_implILNS1_25lookback_scan_determinismE0ELb1ELb1ES3_N6thrust23THRUST_200600_302600_NS6detail15normal_iteratorINS9_10device_ptrIjEEEENSB_INSC_IiEEEEfNS9_4plusIvEEfEEDaPvRmT3_T4_T5_mT6_P12ihipStream_tbENKUlT_T0_E_clISt17integral_constantIbLb0EESV_IbLb1EEEEDaSR_SS_EUlSR_E_NS1_11comp_targetILNS1_3genE0ELNS1_11target_archE4294967295ELNS1_3gpuE0ELNS1_3repE0EEENS1_30default_config_static_selectorELNS0_4arch9wavefront6targetE1EEEvT1_,"axG",@progbits,_ZN7rocprim17ROCPRIM_400000_NS6detail17trampoline_kernelINS0_14default_configENS1_20scan_config_selectorIfEEZZNS1_9scan_implILNS1_25lookback_scan_determinismE0ELb1ELb1ES3_N6thrust23THRUST_200600_302600_NS6detail15normal_iteratorINS9_10device_ptrIjEEEENSB_INSC_IiEEEEfNS9_4plusIvEEfEEDaPvRmT3_T4_T5_mT6_P12ihipStream_tbENKUlT_T0_E_clISt17integral_constantIbLb0EESV_IbLb1EEEEDaSR_SS_EUlSR_E_NS1_11comp_targetILNS1_3genE0ELNS1_11target_archE4294967295ELNS1_3gpuE0ELNS1_3repE0EEENS1_30default_config_static_selectorELNS0_4arch9wavefront6targetE1EEEvT1_,comdat
.Lfunc_end6358:
	.size	_ZN7rocprim17ROCPRIM_400000_NS6detail17trampoline_kernelINS0_14default_configENS1_20scan_config_selectorIfEEZZNS1_9scan_implILNS1_25lookback_scan_determinismE0ELb1ELb1ES3_N6thrust23THRUST_200600_302600_NS6detail15normal_iteratorINS9_10device_ptrIjEEEENSB_INSC_IiEEEEfNS9_4plusIvEEfEEDaPvRmT3_T4_T5_mT6_P12ihipStream_tbENKUlT_T0_E_clISt17integral_constantIbLb0EESV_IbLb1EEEEDaSR_SS_EUlSR_E_NS1_11comp_targetILNS1_3genE0ELNS1_11target_archE4294967295ELNS1_3gpuE0ELNS1_3repE0EEENS1_30default_config_static_selectorELNS0_4arch9wavefront6targetE1EEEvT1_, .Lfunc_end6358-_ZN7rocprim17ROCPRIM_400000_NS6detail17trampoline_kernelINS0_14default_configENS1_20scan_config_selectorIfEEZZNS1_9scan_implILNS1_25lookback_scan_determinismE0ELb1ELb1ES3_N6thrust23THRUST_200600_302600_NS6detail15normal_iteratorINS9_10device_ptrIjEEEENSB_INSC_IiEEEEfNS9_4plusIvEEfEEDaPvRmT3_T4_T5_mT6_P12ihipStream_tbENKUlT_T0_E_clISt17integral_constantIbLb0EESV_IbLb1EEEEDaSR_SS_EUlSR_E_NS1_11comp_targetILNS1_3genE0ELNS1_11target_archE4294967295ELNS1_3gpuE0ELNS1_3repE0EEENS1_30default_config_static_selectorELNS0_4arch9wavefront6targetE1EEEvT1_
                                        ; -- End function
	.section	.AMDGPU.csdata,"",@progbits
; Kernel info:
; codeLenInByte = 0
; NumSgprs: 4
; NumVgprs: 0
; NumAgprs: 0
; TotalNumVgprs: 0
; ScratchSize: 0
; MemoryBound: 0
; FloatMode: 240
; IeeeMode: 1
; LDSByteSize: 0 bytes/workgroup (compile time only)
; SGPRBlocks: 0
; VGPRBlocks: 0
; NumSGPRsForWavesPerEU: 4
; NumVGPRsForWavesPerEU: 1
; AccumOffset: 4
; Occupancy: 8
; WaveLimiterHint : 0
; COMPUTE_PGM_RSRC2:SCRATCH_EN: 0
; COMPUTE_PGM_RSRC2:USER_SGPR: 6
; COMPUTE_PGM_RSRC2:TRAP_HANDLER: 0
; COMPUTE_PGM_RSRC2:TGID_X_EN: 1
; COMPUTE_PGM_RSRC2:TGID_Y_EN: 0
; COMPUTE_PGM_RSRC2:TGID_Z_EN: 0
; COMPUTE_PGM_RSRC2:TIDIG_COMP_CNT: 0
; COMPUTE_PGM_RSRC3_GFX90A:ACCUM_OFFSET: 0
; COMPUTE_PGM_RSRC3_GFX90A:TG_SPLIT: 0
	.section	.text._ZN7rocprim17ROCPRIM_400000_NS6detail17trampoline_kernelINS0_14default_configENS1_20scan_config_selectorIfEEZZNS1_9scan_implILNS1_25lookback_scan_determinismE0ELb1ELb1ES3_N6thrust23THRUST_200600_302600_NS6detail15normal_iteratorINS9_10device_ptrIjEEEENSB_INSC_IiEEEEfNS9_4plusIvEEfEEDaPvRmT3_T4_T5_mT6_P12ihipStream_tbENKUlT_T0_E_clISt17integral_constantIbLb0EESV_IbLb1EEEEDaSR_SS_EUlSR_E_NS1_11comp_targetILNS1_3genE5ELNS1_11target_archE942ELNS1_3gpuE9ELNS1_3repE0EEENS1_30default_config_static_selectorELNS0_4arch9wavefront6targetE1EEEvT1_,"axG",@progbits,_ZN7rocprim17ROCPRIM_400000_NS6detail17trampoline_kernelINS0_14default_configENS1_20scan_config_selectorIfEEZZNS1_9scan_implILNS1_25lookback_scan_determinismE0ELb1ELb1ES3_N6thrust23THRUST_200600_302600_NS6detail15normal_iteratorINS9_10device_ptrIjEEEENSB_INSC_IiEEEEfNS9_4plusIvEEfEEDaPvRmT3_T4_T5_mT6_P12ihipStream_tbENKUlT_T0_E_clISt17integral_constantIbLb0EESV_IbLb1EEEEDaSR_SS_EUlSR_E_NS1_11comp_targetILNS1_3genE5ELNS1_11target_archE942ELNS1_3gpuE9ELNS1_3repE0EEENS1_30default_config_static_selectorELNS0_4arch9wavefront6targetE1EEEvT1_,comdat
	.protected	_ZN7rocprim17ROCPRIM_400000_NS6detail17trampoline_kernelINS0_14default_configENS1_20scan_config_selectorIfEEZZNS1_9scan_implILNS1_25lookback_scan_determinismE0ELb1ELb1ES3_N6thrust23THRUST_200600_302600_NS6detail15normal_iteratorINS9_10device_ptrIjEEEENSB_INSC_IiEEEEfNS9_4plusIvEEfEEDaPvRmT3_T4_T5_mT6_P12ihipStream_tbENKUlT_T0_E_clISt17integral_constantIbLb0EESV_IbLb1EEEEDaSR_SS_EUlSR_E_NS1_11comp_targetILNS1_3genE5ELNS1_11target_archE942ELNS1_3gpuE9ELNS1_3repE0EEENS1_30default_config_static_selectorELNS0_4arch9wavefront6targetE1EEEvT1_ ; -- Begin function _ZN7rocprim17ROCPRIM_400000_NS6detail17trampoline_kernelINS0_14default_configENS1_20scan_config_selectorIfEEZZNS1_9scan_implILNS1_25lookback_scan_determinismE0ELb1ELb1ES3_N6thrust23THRUST_200600_302600_NS6detail15normal_iteratorINS9_10device_ptrIjEEEENSB_INSC_IiEEEEfNS9_4plusIvEEfEEDaPvRmT3_T4_T5_mT6_P12ihipStream_tbENKUlT_T0_E_clISt17integral_constantIbLb0EESV_IbLb1EEEEDaSR_SS_EUlSR_E_NS1_11comp_targetILNS1_3genE5ELNS1_11target_archE942ELNS1_3gpuE9ELNS1_3repE0EEENS1_30default_config_static_selectorELNS0_4arch9wavefront6targetE1EEEvT1_
	.globl	_ZN7rocprim17ROCPRIM_400000_NS6detail17trampoline_kernelINS0_14default_configENS1_20scan_config_selectorIfEEZZNS1_9scan_implILNS1_25lookback_scan_determinismE0ELb1ELb1ES3_N6thrust23THRUST_200600_302600_NS6detail15normal_iteratorINS9_10device_ptrIjEEEENSB_INSC_IiEEEEfNS9_4plusIvEEfEEDaPvRmT3_T4_T5_mT6_P12ihipStream_tbENKUlT_T0_E_clISt17integral_constantIbLb0EESV_IbLb1EEEEDaSR_SS_EUlSR_E_NS1_11comp_targetILNS1_3genE5ELNS1_11target_archE942ELNS1_3gpuE9ELNS1_3repE0EEENS1_30default_config_static_selectorELNS0_4arch9wavefront6targetE1EEEvT1_
	.p2align	8
	.type	_ZN7rocprim17ROCPRIM_400000_NS6detail17trampoline_kernelINS0_14default_configENS1_20scan_config_selectorIfEEZZNS1_9scan_implILNS1_25lookback_scan_determinismE0ELb1ELb1ES3_N6thrust23THRUST_200600_302600_NS6detail15normal_iteratorINS9_10device_ptrIjEEEENSB_INSC_IiEEEEfNS9_4plusIvEEfEEDaPvRmT3_T4_T5_mT6_P12ihipStream_tbENKUlT_T0_E_clISt17integral_constantIbLb0EESV_IbLb1EEEEDaSR_SS_EUlSR_E_NS1_11comp_targetILNS1_3genE5ELNS1_11target_archE942ELNS1_3gpuE9ELNS1_3repE0EEENS1_30default_config_static_selectorELNS0_4arch9wavefront6targetE1EEEvT1_,@function
_ZN7rocprim17ROCPRIM_400000_NS6detail17trampoline_kernelINS0_14default_configENS1_20scan_config_selectorIfEEZZNS1_9scan_implILNS1_25lookback_scan_determinismE0ELb1ELb1ES3_N6thrust23THRUST_200600_302600_NS6detail15normal_iteratorINS9_10device_ptrIjEEEENSB_INSC_IiEEEEfNS9_4plusIvEEfEEDaPvRmT3_T4_T5_mT6_P12ihipStream_tbENKUlT_T0_E_clISt17integral_constantIbLb0EESV_IbLb1EEEEDaSR_SS_EUlSR_E_NS1_11comp_targetILNS1_3genE5ELNS1_11target_archE942ELNS1_3gpuE9ELNS1_3repE0EEENS1_30default_config_static_selectorELNS0_4arch9wavefront6targetE1EEEvT1_: ; @_ZN7rocprim17ROCPRIM_400000_NS6detail17trampoline_kernelINS0_14default_configENS1_20scan_config_selectorIfEEZZNS1_9scan_implILNS1_25lookback_scan_determinismE0ELb1ELb1ES3_N6thrust23THRUST_200600_302600_NS6detail15normal_iteratorINS9_10device_ptrIjEEEENSB_INSC_IiEEEEfNS9_4plusIvEEfEEDaPvRmT3_T4_T5_mT6_P12ihipStream_tbENKUlT_T0_E_clISt17integral_constantIbLb0EESV_IbLb1EEEEDaSR_SS_EUlSR_E_NS1_11comp_targetILNS1_3genE5ELNS1_11target_archE942ELNS1_3gpuE9ELNS1_3repE0EEENS1_30default_config_static_selectorELNS0_4arch9wavefront6targetE1EEEvT1_
; %bb.0:
	.section	.rodata,"a",@progbits
	.p2align	6, 0x0
	.amdhsa_kernel _ZN7rocprim17ROCPRIM_400000_NS6detail17trampoline_kernelINS0_14default_configENS1_20scan_config_selectorIfEEZZNS1_9scan_implILNS1_25lookback_scan_determinismE0ELb1ELb1ES3_N6thrust23THRUST_200600_302600_NS6detail15normal_iteratorINS9_10device_ptrIjEEEENSB_INSC_IiEEEEfNS9_4plusIvEEfEEDaPvRmT3_T4_T5_mT6_P12ihipStream_tbENKUlT_T0_E_clISt17integral_constantIbLb0EESV_IbLb1EEEEDaSR_SS_EUlSR_E_NS1_11comp_targetILNS1_3genE5ELNS1_11target_archE942ELNS1_3gpuE9ELNS1_3repE0EEENS1_30default_config_static_selectorELNS0_4arch9wavefront6targetE1EEEvT1_
		.amdhsa_group_segment_fixed_size 0
		.amdhsa_private_segment_fixed_size 0
		.amdhsa_kernarg_size 96
		.amdhsa_user_sgpr_count 6
		.amdhsa_user_sgpr_private_segment_buffer 1
		.amdhsa_user_sgpr_dispatch_ptr 0
		.amdhsa_user_sgpr_queue_ptr 0
		.amdhsa_user_sgpr_kernarg_segment_ptr 1
		.amdhsa_user_sgpr_dispatch_id 0
		.amdhsa_user_sgpr_flat_scratch_init 0
		.amdhsa_user_sgpr_kernarg_preload_length 0
		.amdhsa_user_sgpr_kernarg_preload_offset 0
		.amdhsa_user_sgpr_private_segment_size 0
		.amdhsa_uses_dynamic_stack 0
		.amdhsa_system_sgpr_private_segment_wavefront_offset 0
		.amdhsa_system_sgpr_workgroup_id_x 1
		.amdhsa_system_sgpr_workgroup_id_y 0
		.amdhsa_system_sgpr_workgroup_id_z 0
		.amdhsa_system_sgpr_workgroup_info 0
		.amdhsa_system_vgpr_workitem_id 0
		.amdhsa_next_free_vgpr 1
		.amdhsa_next_free_sgpr 0
		.amdhsa_accum_offset 4
		.amdhsa_reserve_vcc 0
		.amdhsa_reserve_flat_scratch 0
		.amdhsa_float_round_mode_32 0
		.amdhsa_float_round_mode_16_64 0
		.amdhsa_float_denorm_mode_32 3
		.amdhsa_float_denorm_mode_16_64 3
		.amdhsa_dx10_clamp 1
		.amdhsa_ieee_mode 1
		.amdhsa_fp16_overflow 0
		.amdhsa_tg_split 0
		.amdhsa_exception_fp_ieee_invalid_op 0
		.amdhsa_exception_fp_denorm_src 0
		.amdhsa_exception_fp_ieee_div_zero 0
		.amdhsa_exception_fp_ieee_overflow 0
		.amdhsa_exception_fp_ieee_underflow 0
		.amdhsa_exception_fp_ieee_inexact 0
		.amdhsa_exception_int_div_zero 0
	.end_amdhsa_kernel
	.section	.text._ZN7rocprim17ROCPRIM_400000_NS6detail17trampoline_kernelINS0_14default_configENS1_20scan_config_selectorIfEEZZNS1_9scan_implILNS1_25lookback_scan_determinismE0ELb1ELb1ES3_N6thrust23THRUST_200600_302600_NS6detail15normal_iteratorINS9_10device_ptrIjEEEENSB_INSC_IiEEEEfNS9_4plusIvEEfEEDaPvRmT3_T4_T5_mT6_P12ihipStream_tbENKUlT_T0_E_clISt17integral_constantIbLb0EESV_IbLb1EEEEDaSR_SS_EUlSR_E_NS1_11comp_targetILNS1_3genE5ELNS1_11target_archE942ELNS1_3gpuE9ELNS1_3repE0EEENS1_30default_config_static_selectorELNS0_4arch9wavefront6targetE1EEEvT1_,"axG",@progbits,_ZN7rocprim17ROCPRIM_400000_NS6detail17trampoline_kernelINS0_14default_configENS1_20scan_config_selectorIfEEZZNS1_9scan_implILNS1_25lookback_scan_determinismE0ELb1ELb1ES3_N6thrust23THRUST_200600_302600_NS6detail15normal_iteratorINS9_10device_ptrIjEEEENSB_INSC_IiEEEEfNS9_4plusIvEEfEEDaPvRmT3_T4_T5_mT6_P12ihipStream_tbENKUlT_T0_E_clISt17integral_constantIbLb0EESV_IbLb1EEEEDaSR_SS_EUlSR_E_NS1_11comp_targetILNS1_3genE5ELNS1_11target_archE942ELNS1_3gpuE9ELNS1_3repE0EEENS1_30default_config_static_selectorELNS0_4arch9wavefront6targetE1EEEvT1_,comdat
.Lfunc_end6359:
	.size	_ZN7rocprim17ROCPRIM_400000_NS6detail17trampoline_kernelINS0_14default_configENS1_20scan_config_selectorIfEEZZNS1_9scan_implILNS1_25lookback_scan_determinismE0ELb1ELb1ES3_N6thrust23THRUST_200600_302600_NS6detail15normal_iteratorINS9_10device_ptrIjEEEENSB_INSC_IiEEEEfNS9_4plusIvEEfEEDaPvRmT3_T4_T5_mT6_P12ihipStream_tbENKUlT_T0_E_clISt17integral_constantIbLb0EESV_IbLb1EEEEDaSR_SS_EUlSR_E_NS1_11comp_targetILNS1_3genE5ELNS1_11target_archE942ELNS1_3gpuE9ELNS1_3repE0EEENS1_30default_config_static_selectorELNS0_4arch9wavefront6targetE1EEEvT1_, .Lfunc_end6359-_ZN7rocprim17ROCPRIM_400000_NS6detail17trampoline_kernelINS0_14default_configENS1_20scan_config_selectorIfEEZZNS1_9scan_implILNS1_25lookback_scan_determinismE0ELb1ELb1ES3_N6thrust23THRUST_200600_302600_NS6detail15normal_iteratorINS9_10device_ptrIjEEEENSB_INSC_IiEEEEfNS9_4plusIvEEfEEDaPvRmT3_T4_T5_mT6_P12ihipStream_tbENKUlT_T0_E_clISt17integral_constantIbLb0EESV_IbLb1EEEEDaSR_SS_EUlSR_E_NS1_11comp_targetILNS1_3genE5ELNS1_11target_archE942ELNS1_3gpuE9ELNS1_3repE0EEENS1_30default_config_static_selectorELNS0_4arch9wavefront6targetE1EEEvT1_
                                        ; -- End function
	.section	.AMDGPU.csdata,"",@progbits
; Kernel info:
; codeLenInByte = 0
; NumSgprs: 4
; NumVgprs: 0
; NumAgprs: 0
; TotalNumVgprs: 0
; ScratchSize: 0
; MemoryBound: 0
; FloatMode: 240
; IeeeMode: 1
; LDSByteSize: 0 bytes/workgroup (compile time only)
; SGPRBlocks: 0
; VGPRBlocks: 0
; NumSGPRsForWavesPerEU: 4
; NumVGPRsForWavesPerEU: 1
; AccumOffset: 4
; Occupancy: 8
; WaveLimiterHint : 0
; COMPUTE_PGM_RSRC2:SCRATCH_EN: 0
; COMPUTE_PGM_RSRC2:USER_SGPR: 6
; COMPUTE_PGM_RSRC2:TRAP_HANDLER: 0
; COMPUTE_PGM_RSRC2:TGID_X_EN: 1
; COMPUTE_PGM_RSRC2:TGID_Y_EN: 0
; COMPUTE_PGM_RSRC2:TGID_Z_EN: 0
; COMPUTE_PGM_RSRC2:TIDIG_COMP_CNT: 0
; COMPUTE_PGM_RSRC3_GFX90A:ACCUM_OFFSET: 0
; COMPUTE_PGM_RSRC3_GFX90A:TG_SPLIT: 0
	.section	.text._ZN7rocprim17ROCPRIM_400000_NS6detail17trampoline_kernelINS0_14default_configENS1_20scan_config_selectorIfEEZZNS1_9scan_implILNS1_25lookback_scan_determinismE0ELb1ELb1ES3_N6thrust23THRUST_200600_302600_NS6detail15normal_iteratorINS9_10device_ptrIjEEEENSB_INSC_IiEEEEfNS9_4plusIvEEfEEDaPvRmT3_T4_T5_mT6_P12ihipStream_tbENKUlT_T0_E_clISt17integral_constantIbLb0EESV_IbLb1EEEEDaSR_SS_EUlSR_E_NS1_11comp_targetILNS1_3genE4ELNS1_11target_archE910ELNS1_3gpuE8ELNS1_3repE0EEENS1_30default_config_static_selectorELNS0_4arch9wavefront6targetE1EEEvT1_,"axG",@progbits,_ZN7rocprim17ROCPRIM_400000_NS6detail17trampoline_kernelINS0_14default_configENS1_20scan_config_selectorIfEEZZNS1_9scan_implILNS1_25lookback_scan_determinismE0ELb1ELb1ES3_N6thrust23THRUST_200600_302600_NS6detail15normal_iteratorINS9_10device_ptrIjEEEENSB_INSC_IiEEEEfNS9_4plusIvEEfEEDaPvRmT3_T4_T5_mT6_P12ihipStream_tbENKUlT_T0_E_clISt17integral_constantIbLb0EESV_IbLb1EEEEDaSR_SS_EUlSR_E_NS1_11comp_targetILNS1_3genE4ELNS1_11target_archE910ELNS1_3gpuE8ELNS1_3repE0EEENS1_30default_config_static_selectorELNS0_4arch9wavefront6targetE1EEEvT1_,comdat
	.protected	_ZN7rocprim17ROCPRIM_400000_NS6detail17trampoline_kernelINS0_14default_configENS1_20scan_config_selectorIfEEZZNS1_9scan_implILNS1_25lookback_scan_determinismE0ELb1ELb1ES3_N6thrust23THRUST_200600_302600_NS6detail15normal_iteratorINS9_10device_ptrIjEEEENSB_INSC_IiEEEEfNS9_4plusIvEEfEEDaPvRmT3_T4_T5_mT6_P12ihipStream_tbENKUlT_T0_E_clISt17integral_constantIbLb0EESV_IbLb1EEEEDaSR_SS_EUlSR_E_NS1_11comp_targetILNS1_3genE4ELNS1_11target_archE910ELNS1_3gpuE8ELNS1_3repE0EEENS1_30default_config_static_selectorELNS0_4arch9wavefront6targetE1EEEvT1_ ; -- Begin function _ZN7rocprim17ROCPRIM_400000_NS6detail17trampoline_kernelINS0_14default_configENS1_20scan_config_selectorIfEEZZNS1_9scan_implILNS1_25lookback_scan_determinismE0ELb1ELb1ES3_N6thrust23THRUST_200600_302600_NS6detail15normal_iteratorINS9_10device_ptrIjEEEENSB_INSC_IiEEEEfNS9_4plusIvEEfEEDaPvRmT3_T4_T5_mT6_P12ihipStream_tbENKUlT_T0_E_clISt17integral_constantIbLb0EESV_IbLb1EEEEDaSR_SS_EUlSR_E_NS1_11comp_targetILNS1_3genE4ELNS1_11target_archE910ELNS1_3gpuE8ELNS1_3repE0EEENS1_30default_config_static_selectorELNS0_4arch9wavefront6targetE1EEEvT1_
	.globl	_ZN7rocprim17ROCPRIM_400000_NS6detail17trampoline_kernelINS0_14default_configENS1_20scan_config_selectorIfEEZZNS1_9scan_implILNS1_25lookback_scan_determinismE0ELb1ELb1ES3_N6thrust23THRUST_200600_302600_NS6detail15normal_iteratorINS9_10device_ptrIjEEEENSB_INSC_IiEEEEfNS9_4plusIvEEfEEDaPvRmT3_T4_T5_mT6_P12ihipStream_tbENKUlT_T0_E_clISt17integral_constantIbLb0EESV_IbLb1EEEEDaSR_SS_EUlSR_E_NS1_11comp_targetILNS1_3genE4ELNS1_11target_archE910ELNS1_3gpuE8ELNS1_3repE0EEENS1_30default_config_static_selectorELNS0_4arch9wavefront6targetE1EEEvT1_
	.p2align	8
	.type	_ZN7rocprim17ROCPRIM_400000_NS6detail17trampoline_kernelINS0_14default_configENS1_20scan_config_selectorIfEEZZNS1_9scan_implILNS1_25lookback_scan_determinismE0ELb1ELb1ES3_N6thrust23THRUST_200600_302600_NS6detail15normal_iteratorINS9_10device_ptrIjEEEENSB_INSC_IiEEEEfNS9_4plusIvEEfEEDaPvRmT3_T4_T5_mT6_P12ihipStream_tbENKUlT_T0_E_clISt17integral_constantIbLb0EESV_IbLb1EEEEDaSR_SS_EUlSR_E_NS1_11comp_targetILNS1_3genE4ELNS1_11target_archE910ELNS1_3gpuE8ELNS1_3repE0EEENS1_30default_config_static_selectorELNS0_4arch9wavefront6targetE1EEEvT1_,@function
_ZN7rocprim17ROCPRIM_400000_NS6detail17trampoline_kernelINS0_14default_configENS1_20scan_config_selectorIfEEZZNS1_9scan_implILNS1_25lookback_scan_determinismE0ELb1ELb1ES3_N6thrust23THRUST_200600_302600_NS6detail15normal_iteratorINS9_10device_ptrIjEEEENSB_INSC_IiEEEEfNS9_4plusIvEEfEEDaPvRmT3_T4_T5_mT6_P12ihipStream_tbENKUlT_T0_E_clISt17integral_constantIbLb0EESV_IbLb1EEEEDaSR_SS_EUlSR_E_NS1_11comp_targetILNS1_3genE4ELNS1_11target_archE910ELNS1_3gpuE8ELNS1_3repE0EEENS1_30default_config_static_selectorELNS0_4arch9wavefront6targetE1EEEvT1_: ; @_ZN7rocprim17ROCPRIM_400000_NS6detail17trampoline_kernelINS0_14default_configENS1_20scan_config_selectorIfEEZZNS1_9scan_implILNS1_25lookback_scan_determinismE0ELb1ELb1ES3_N6thrust23THRUST_200600_302600_NS6detail15normal_iteratorINS9_10device_ptrIjEEEENSB_INSC_IiEEEEfNS9_4plusIvEEfEEDaPvRmT3_T4_T5_mT6_P12ihipStream_tbENKUlT_T0_E_clISt17integral_constantIbLb0EESV_IbLb1EEEEDaSR_SS_EUlSR_E_NS1_11comp_targetILNS1_3genE4ELNS1_11target_archE910ELNS1_3gpuE8ELNS1_3repE0EEENS1_30default_config_static_selectorELNS0_4arch9wavefront6targetE1EEEvT1_
; %bb.0:
	s_load_dword s37, s[4:5], 0x20
	s_load_dwordx2 s[14:15], s[4:5], 0x28
	v_cmp_ne_u32_e64 s[2:3], 0, v0
	v_cmp_eq_u32_e64 s[0:1], 0, v0
	s_and_saveexec_b64 s[6:7], s[0:1]
	s_cbranch_execz .LBB6360_4
; %bb.1:
	s_mov_b64 s[10:11], exec
	v_mbcnt_lo_u32_b32 v1, s10, 0
	v_mbcnt_hi_u32_b32 v1, s11, v1
	v_cmp_eq_u32_e32 vcc, 0, v1
                                        ; implicit-def: $vgpr2
	s_and_saveexec_b64 s[8:9], vcc
	s_cbranch_execz .LBB6360_3
; %bb.2:
	s_load_dwordx2 s[12:13], s[4:5], 0x58
	s_bcnt1_i32_b64 s10, s[10:11]
	v_mov_b32_e32 v2, 0
	v_mov_b32_e32 v3, s10
	s_waitcnt lgkmcnt(0)
	global_atomic_add v2, v2, v3, s[12:13] glc
.LBB6360_3:
	s_or_b64 exec, exec, s[8:9]
	s_waitcnt vmcnt(0)
	v_readfirstlane_b32 s8, v2
	v_add_u32_e32 v1, s8, v1
	v_mov_b32_e32 v2, 0
	ds_write_b32 v2, v1
.LBB6360_4:
	s_or_b64 exec, exec, s[6:7]
	s_load_dwordx8 s[24:31], s[4:5], 0x0
	s_load_dword s6, s[4:5], 0x30
	s_load_dwordx8 s[16:23], s[4:5], 0x38
	v_mov_b32_e32 v1, 0
	s_waitcnt lgkmcnt(0)
	s_barrier
	ds_read_b32 v1, v1
	s_lshl_b64 s[26:27], s[26:27], 2
	s_add_u32 s38, s24, s26
	s_addc_u32 s39, s25, s27
	s_add_i32 s6, s6, -1
	s_mul_i32 s7, s6, 0x700
	s_sub_u32 s33, s30, s7
	s_waitcnt lgkmcnt(0)
	v_readfirstlane_b32 s40, v1
	s_subb_u32 s36, s31, 0
	s_mul_i32 s4, s40, 0x700
	s_mov_b32 s5, 0
	s_cmp_lg_u32 s40, s6
	s_cselect_b64 s[24:25], -1, 0
	s_lshl_b64 s[30:31], s[4:5], 2
	s_add_u32 s6, s38, s30
	s_addc_u32 s7, s39, s31
	s_mov_b64 s[4:5], -1
	s_and_b64 vcc, exec, s[24:25]
	v_lshlrev_b32_e32 v32, 2, v0
	s_barrier
	s_cbranch_vccz .LBB6360_6
; %bb.5:
	v_mov_b32_e32 v1, s7
	v_add_co_u32_e32 v2, vcc, s6, v32
	v_addc_co_u32_e32 v3, vcc, 0, v1, vcc
	s_movk_i32 s4, 0x1000
	flat_load_dword v1, v[2:3]
	flat_load_dword v4, v[2:3] offset:512
	flat_load_dword v5, v[2:3] offset:1024
	;; [unrolled: 1-line block ×7, first 2 shown]
	v_add_co_u32_e32 v2, vcc, s4, v2
	v_addc_co_u32_e32 v3, vcc, 0, v3, vcc
	flat_load_dword v11, v[2:3]
	flat_load_dword v12, v[2:3] offset:512
	flat_load_dword v13, v[2:3] offset:1024
	flat_load_dword v14, v[2:3] offset:1536
	flat_load_dword v15, v[2:3] offset:2048
	flat_load_dword v16, v[2:3] offset:2560
	s_mov_b64 s[4:5], 0
	s_waitcnt vmcnt(0) lgkmcnt(0)
	v_cvt_f32_u32_e32 v1, v1
	v_cvt_f32_u32_e32 v2, v4
	v_cvt_f32_u32_e32 v3, v5
	v_cvt_f32_u32_e32 v4, v6
	v_cvt_f32_u32_e32 v5, v7
	v_cvt_f32_u32_e32 v6, v8
	v_cvt_f32_u32_e32 v7, v9
	v_cvt_f32_u32_e32 v8, v10
	v_cvt_f32_u32_e32 v9, v11
	v_cvt_f32_u32_e32 v10, v12
	v_cvt_f32_u32_e32 v11, v13
	v_cvt_f32_u32_e32 v12, v14
	v_cvt_f32_u32_e32 v13, v15
	v_cvt_f32_u32_e32 v14, v16
	ds_write2st64_b32 v32, v1, v2 offset1:2
	ds_write2st64_b32 v32, v3, v4 offset0:4 offset1:6
	ds_write2st64_b32 v32, v5, v6 offset0:8 offset1:10
	;; [unrolled: 1-line block ×6, first 2 shown]
	s_waitcnt lgkmcnt(0)
	s_barrier
.LBB6360_6:
	s_andn2_b64 vcc, exec, s[4:5]
	v_cmp_gt_u32_e64 s[4:5], s33, v0
	s_cbranch_vccnz .LBB6360_36
; %bb.7:
	v_pk_mov_b32 v[2:3], s[6:7], s[6:7] op_sel:[0,1]
	flat_load_dword v1, v[2:3]
	s_waitcnt vmcnt(0) lgkmcnt(0)
	v_cvt_f32_u32_e32 v1, v1
	v_mov_b32_e32 v2, v1
	v_mov_b32_e32 v3, v1
	;; [unrolled: 1-line block ×12, first 2 shown]
	v_pk_mov_b32 v[16:17], v[14:15], v[14:15] op_sel:[0,1]
	v_pk_mov_b32 v[14:15], v[12:13], v[12:13] op_sel:[0,1]
	;; [unrolled: 1-line block ×8, first 2 shown]
	s_and_saveexec_b64 s[8:9], s[4:5]
	s_cbranch_execz .LBB6360_9
; %bb.8:
	v_mov_b32_e32 v3, s7
	v_add_co_u32_e32 v2, vcc, s6, v32
	v_addc_co_u32_e32 v3, vcc, 0, v3, vcc
	flat_load_dword v11, v[2:3]
	v_mov_b32_e32 v2, v1
	v_mov_b32_e32 v3, v1
	;; [unrolled: 1-line block ×11, first 2 shown]
	s_waitcnt vmcnt(0) lgkmcnt(0)
	v_cvt_f32_u32_e32 v18, v11
	v_mov_b32_e32 v11, v1
	v_pk_mov_b32 v[16:17], v[14:15], v[14:15] op_sel:[0,1]
	v_pk_mov_b32 v[14:15], v[12:13], v[12:13] op_sel:[0,1]
	;; [unrolled: 1-line block ×8, first 2 shown]
	v_mov_b32_e32 v1, v18
.LBB6360_9:
	s_or_b64 exec, exec, s[8:9]
	v_or_b32_e32 v2, 0x80, v0
	v_cmp_gt_u32_e32 vcc, s33, v2
	s_and_saveexec_b64 s[4:5], vcc
	s_cbranch_execz .LBB6360_11
; %bb.10:
	v_mov_b32_e32 v3, s7
	v_add_co_u32_e32 v2, vcc, s6, v32
	v_addc_co_u32_e32 v3, vcc, 0, v3, vcc
	flat_load_dword v2, v[2:3] offset:512
	s_waitcnt vmcnt(0) lgkmcnt(0)
	v_cvt_f32_u32_e32 v3, v2
.LBB6360_11:
	s_or_b64 exec, exec, s[4:5]
	v_or_b32_e32 v2, 0x100, v0
	v_cmp_gt_u32_e32 vcc, s33, v2
	s_and_saveexec_b64 s[4:5], vcc
	s_cbranch_execz .LBB6360_13
; %bb.12:
	v_mov_b32_e32 v2, s7
	v_add_co_u32_e32 v16, vcc, s6, v32
	v_addc_co_u32_e32 v17, vcc, 0, v2, vcc
	flat_load_dword v2, v[16:17] offset:1024
	s_waitcnt vmcnt(0) lgkmcnt(0)
	v_cvt_f32_u32_e32 v4, v2
.LBB6360_13:
	;; [unrolled: 13-line block ×7, first 2 shown]
	s_or_b64 exec, exec, s[4:5]
	v_or_b32_e32 v2, 0x400, v0
	v_cmp_gt_u32_e32 vcc, s33, v2
	s_and_saveexec_b64 s[4:5], vcc
	s_cbranch_execz .LBB6360_25
; %bb.24:
	v_lshlrev_b32_e32 v2, 2, v2
	v_mov_b32_e32 v10, s7
	v_add_co_u32_e32 v16, vcc, s6, v2
	v_addc_co_u32_e32 v17, vcc, 0, v10, vcc
	flat_load_dword v2, v[16:17]
	s_waitcnt vmcnt(0) lgkmcnt(0)
	v_cvt_f32_u32_e32 v10, v2
.LBB6360_25:
	s_or_b64 exec, exec, s[4:5]
	v_or_b32_e32 v2, 0x480, v0
	v_cmp_gt_u32_e32 vcc, s33, v2
	s_and_saveexec_b64 s[4:5], vcc
	s_cbranch_execz .LBB6360_27
; %bb.26:
	v_lshlrev_b32_e32 v2, 2, v2
	v_mov_b32_e32 v11, s7
	v_add_co_u32_e32 v16, vcc, s6, v2
	v_addc_co_u32_e32 v17, vcc, 0, v11, vcc
	flat_load_dword v2, v[16:17]
	s_waitcnt vmcnt(0) lgkmcnt(0)
	v_cvt_f32_u32_e32 v11, v2
.LBB6360_27:
	s_or_b64 exec, exec, s[4:5]
	v_or_b32_e32 v2, 0x500, v0
	v_cmp_gt_u32_e32 vcc, s33, v2
	s_and_saveexec_b64 s[4:5], vcc
	s_cbranch_execz .LBB6360_29
; %bb.28:
	v_lshlrev_b32_e32 v2, 2, v2
	v_mov_b32_e32 v12, s7
	v_add_co_u32_e32 v16, vcc, s6, v2
	v_addc_co_u32_e32 v17, vcc, 0, v12, vcc
	flat_load_dword v2, v[16:17]
	s_waitcnt vmcnt(0) lgkmcnt(0)
	v_cvt_f32_u32_e32 v12, v2
.LBB6360_29:
	s_or_b64 exec, exec, s[4:5]
	v_or_b32_e32 v2, 0x580, v0
	v_cmp_gt_u32_e32 vcc, s33, v2
	s_and_saveexec_b64 s[4:5], vcc
	s_cbranch_execz .LBB6360_31
; %bb.30:
	v_lshlrev_b32_e32 v2, 2, v2
	v_mov_b32_e32 v13, s7
	v_add_co_u32_e32 v16, vcc, s6, v2
	v_addc_co_u32_e32 v17, vcc, 0, v13, vcc
	flat_load_dword v2, v[16:17]
	s_waitcnt vmcnt(0) lgkmcnt(0)
	v_cvt_f32_u32_e32 v13, v2
.LBB6360_31:
	s_or_b64 exec, exec, s[4:5]
	v_or_b32_e32 v2, 0x600, v0
	v_cmp_gt_u32_e32 vcc, s33, v2
	s_and_saveexec_b64 s[4:5], vcc
	s_cbranch_execz .LBB6360_33
; %bb.32:
	v_lshlrev_b32_e32 v2, 2, v2
	v_mov_b32_e32 v14, s7
	v_add_co_u32_e32 v16, vcc, s6, v2
	v_addc_co_u32_e32 v17, vcc, 0, v14, vcc
	flat_load_dword v2, v[16:17]
	s_waitcnt vmcnt(0) lgkmcnt(0)
	v_cvt_f32_u32_e32 v14, v2
.LBB6360_33:
	s_or_b64 exec, exec, s[4:5]
	v_or_b32_e32 v2, 0x680, v0
	v_cmp_gt_u32_e32 vcc, s33, v2
	s_and_saveexec_b64 s[4:5], vcc
	s_cbranch_execz .LBB6360_35
; %bb.34:
	v_lshlrev_b32_e32 v2, 2, v2
	v_mov_b32_e32 v15, s7
	v_add_co_u32_e32 v16, vcc, s6, v2
	v_addc_co_u32_e32 v17, vcc, 0, v15, vcc
	flat_load_dword v2, v[16:17]
	s_waitcnt vmcnt(0) lgkmcnt(0)
	v_cvt_f32_u32_e32 v15, v2
.LBB6360_35:
	s_or_b64 exec, exec, s[4:5]
	ds_write2st64_b32 v32, v1, v3 offset1:2
	ds_write2st64_b32 v32, v4, v5 offset0:4 offset1:6
	ds_write2st64_b32 v32, v6, v7 offset0:8 offset1:10
	;; [unrolled: 1-line block ×6, first 2 shown]
	s_waitcnt lgkmcnt(0)
	s_barrier
.LBB6360_36:
	v_mul_u32_u24_e32 v33, 14, v0
	v_lshlrev_b32_e32 v34, 2, v33
	ds_read2_b64 v[26:29], v34 offset1:1
	ds_read2_b64 v[22:25], v34 offset0:2 offset1:3
	ds_read2_b64 v[18:21], v34 offset0:4 offset1:5
	ds_read_b64 v[30:31], v34 offset:48
	s_cmp_lg_u32 s40, 0
	s_waitcnt lgkmcnt(3)
	v_add_f32_e32 v35, v26, v27
	v_lshrrev_b32_e32 v1, 5, v0
	v_cmp_gt_u32_e32 vcc, 64, v0
	s_waitcnt lgkmcnt(0)
	s_barrier
	s_cbranch_scc0 .LBB6360_61
; %bb.37:
	v_add_f32_e32 v2, v28, v35
	v_add_f32_e32 v2, v29, v2
	;; [unrolled: 1-line block ×12, first 2 shown]
	v_add_lshl_u32 v2, v1, v0, 2
	ds_write_b32 v2, v12
	s_waitcnt lgkmcnt(0)
	s_barrier
	s_and_saveexec_b64 s[10:11], vcc
	s_cbranch_execz .LBB6360_39
; %bb.38:
	v_lshlrev_b32_e32 v2, 1, v0
	v_lshrrev_b32_e32 v3, 4, v0
	v_add_lshl_u32 v4, v3, v2, 2
	ds_read2_b32 v[2:3], v4 offset1:1
	v_mbcnt_lo_u32_b32 v5, -1, 0
	v_mbcnt_hi_u32_b32 v5, -1, v5
	v_and_b32_e32 v6, 15, v5
	v_cmp_eq_u32_e64 s[4:5], 0, v6
	s_waitcnt lgkmcnt(0)
	v_add_f32_e32 v3, v2, v3
	v_cmp_lt_u32_e64 s[6:7], 3, v6
	v_cmp_lt_u32_e64 s[8:9], 31, v5
	v_mov_b32_dpp v7, v3 row_shr:1 row_mask:0xf bank_mask:0xf
	v_add_f32_e32 v7, v3, v7
	v_cndmask_b32_e64 v3, v7, v3, s[4:5]
	v_cmp_lt_u32_e64 s[4:5], 1, v6
	s_nop 0
	v_mov_b32_dpp v7, v3 row_shr:2 row_mask:0xf bank_mask:0xf
	v_add_f32_e32 v7, v3, v7
	v_cndmask_b32_e64 v7, v3, v7, s[4:5]
	; wave barrier
	s_nop 1
	v_mov_b32_dpp v8, v7 row_shr:4 row_mask:0xf bank_mask:0xf
	v_add_f32_e32 v8, v7, v8
	v_cndmask_b32_e64 v7, v7, v8, s[6:7]
	v_cmp_lt_u32_e64 s[6:7], 7, v6
	s_nop 0
	v_mov_b32_dpp v8, v7 row_shr:8 row_mask:0xf bank_mask:0xf
	v_add_f32_e32 v8, v7, v8
	v_cndmask_b32_e64 v6, v7, v8, s[6:7]
	v_and_b32_e32 v8, 16, v5
	v_cmp_eq_u32_e64 s[6:7], 0, v8
	v_mov_b32_dpp v7, v6 row_bcast:15 row_mask:0xf bank_mask:0xf
	v_add_f32_e32 v7, v6, v7
	v_cndmask_b32_e64 v6, v7, v6, s[6:7]
	v_cmp_lt_u32_e64 s[6:7], 15, v5
	s_or_b64 s[4:5], s[6:7], s[4:5]
	v_mov_b32_dpp v7, v6 row_bcast:31 row_mask:0xf bank_mask:0xf
	v_add_f32_e32 v7, v6, v7
	v_cndmask_b32_e64 v6, v6, v7, s[8:9]
	v_cndmask_b32_e64 v3, v3, v6, s[4:5]
	v_add_u32_e32 v6, -1, v5
	v_and_b32_e32 v7, 64, v5
	v_cmp_lt_i32_e64 s[4:5], v6, v7
	v_cndmask_b32_e64 v5, v6, v5, s[4:5]
	v_lshlrev_b32_e32 v5, 2, v5
	ds_bpermute_b32 v3, v5, v3
	s_waitcnt lgkmcnt(0)
	v_add_f32_e32 v2, v2, v3
	v_cndmask_b32_e64 v2, v2, v12, s[0:1]
	ds_write_b32 v4, v2
	; wave barrier
	ds_read_b32 v3, v4 offset:4
	s_waitcnt lgkmcnt(0)
	v_add_f32_e32 v2, v2, v3
	ds_write_b32 v4, v2 offset:4
.LBB6360_39:
	s_or_b64 exec, exec, s[10:11]
	s_waitcnt lgkmcnt(0)
	s_barrier
	s_and_saveexec_b64 s[4:5], s[2:3]
	s_cbranch_execz .LBB6360_41
; %bb.40:
	v_add_u32_e32 v2, -1, v0
	v_lshrrev_b32_e32 v3, 5, v2
	v_add_lshl_u32 v2, v3, v2, 2
	ds_read_b32 v12, v2
.LBB6360_41:
	s_or_b64 exec, exec, s[4:5]
	s_and_saveexec_b64 s[34:35], vcc
	s_cbranch_execz .LBB6360_60
; %bb.42:
	v_mov_b32_e32 v9, 0
	ds_read_b32 v2, v9 offset:520
	v_mbcnt_lo_u32_b32 v3, -1, 0
	v_mbcnt_hi_u32_b32 v5, -1, v3
	s_mov_b32 s9, 0
	v_cmp_eq_u32_e64 s[4:5], 0, v5
	s_and_saveexec_b64 s[6:7], s[4:5]
	s_cbranch_execz .LBB6360_44
; %bb.43:
	s_add_i32 s8, s40, 64
	s_lshl_b64 s[8:9], s[8:9], 3
	s_add_u32 s8, s14, s8
	v_mov_b32_e32 v3, 1
	s_addc_u32 s9, s15, s9
	s_waitcnt lgkmcnt(0)
	global_store_dwordx2 v9, v[2:3], s[8:9]
.LBB6360_44:
	s_or_b64 exec, exec, s[6:7]
	v_xad_u32 v4, v5, -1, s40
	v_add_u32_e32 v8, 64, v4
	v_lshlrev_b64 v[6:7], 3, v[8:9]
	v_mov_b32_e32 v3, s15
	v_add_co_u32_e32 v10, vcc, s14, v6
	v_addc_co_u32_e32 v11, vcc, v3, v7, vcc
	global_load_dwordx2 v[6:7], v[10:11], off glc
	s_waitcnt vmcnt(0)
	v_cmp_eq_u16_sdwa s[8:9], v7, v9 src0_sel:BYTE_0 src1_sel:DWORD
	s_and_saveexec_b64 s[6:7], s[8:9]
	s_cbranch_execz .LBB6360_48
; %bb.45:
	s_mov_b64 s[8:9], 0
	v_mov_b32_e32 v3, 0
.LBB6360_46:                            ; =>This Inner Loop Header: Depth=1
	global_load_dwordx2 v[6:7], v[10:11], off glc
	s_waitcnt vmcnt(0)
	v_cmp_ne_u16_sdwa s[10:11], v7, v3 src0_sel:BYTE_0 src1_sel:DWORD
	s_or_b64 s[8:9], s[10:11], s[8:9]
	s_andn2_b64 exec, exec, s[8:9]
	s_cbranch_execnz .LBB6360_46
; %bb.47:
	s_or_b64 exec, exec, s[8:9]
.LBB6360_48:
	s_or_b64 exec, exec, s[6:7]
	v_and_b32_e32 v13, 63, v5
	v_cmp_ne_u32_e32 vcc, 63, v13
	v_addc_co_u32_e32 v14, vcc, 0, v5, vcc
	v_mov_b32_e32 v3, 2
	v_lshlrev_b32_e32 v14, 2, v14
	v_cmp_eq_u16_sdwa s[6:7], v7, v3 src0_sel:BYTE_0 src1_sel:DWORD
	v_lshlrev_b64 v[8:9], v5, -1
	ds_bpermute_b32 v15, v14, v6
	v_and_b32_e32 v10, s7, v9
	v_or_b32_e32 v10, 0x80000000, v10
	v_and_b32_e32 v11, s6, v8
	v_ffbl_b32_e32 v10, v10
	v_add_u32_e32 v10, 32, v10
	v_ffbl_b32_e32 v11, v11
	v_cmp_gt_u32_e64 s[6:7], 62, v13
	v_min_u32_e32 v10, v11, v10
	s_waitcnt lgkmcnt(0)
	v_add_f32_e32 v11, v6, v15
	v_cndmask_b32_e64 v15, 0, 1, s[6:7]
	v_cmp_lt_u32_e32 vcc, v13, v10
	v_lshlrev_b32_e32 v15, 1, v15
	v_cndmask_b32_e32 v11, v6, v11, vcc
	v_add_lshl_u32 v15, v15, v5, 2
	ds_bpermute_b32 v17, v15, v11
	v_add_u32_e32 v16, 2, v13
	v_cmp_gt_u32_e64 s[6:7], v16, v10
	v_cmp_gt_u32_e64 s[8:9], 56, v13
	v_add_u32_e32 v36, 4, v13
	s_waitcnt lgkmcnt(0)
	v_add_f32_e32 v17, v11, v17
	v_cndmask_b32_e64 v11, v17, v11, s[6:7]
	v_cmp_gt_u32_e64 s[6:7], 60, v13
	v_cndmask_b32_e64 v17, 0, 1, s[6:7]
	v_lshlrev_b32_e32 v17, 2, v17
	v_add_lshl_u32 v17, v17, v5, 2
	ds_bpermute_b32 v37, v17, v11
	v_cmp_gt_u32_e64 s[6:7], v36, v10
	v_add_u32_e32 v38, 8, v13
	v_cmp_gt_u32_e64 s[10:11], 48, v13
	v_cmp_gt_u32_e64 s[12:13], 32, v13
	s_waitcnt lgkmcnt(0)
	v_add_f32_e32 v41, v11, v37
	v_cndmask_b32_e64 v37, 0, 1, s[8:9]
	v_lshlrev_b32_e32 v37, 3, v37
	v_cndmask_b32_e64 v39, v41, v11, s[6:7]
	v_add_lshl_u32 v37, v37, v5, 2
	ds_bpermute_b32 v40, v37, v39
	v_cmp_gt_u32_e64 s[8:9], v38, v10
	v_cndmask_b32_e32 v6, v6, v11, vcc
	v_cndmask_b32_e64 v6, v41, v6, s[6:7]
	s_waitcnt lgkmcnt(0)
	v_add_f32_e32 v44, v39, v40
	v_cndmask_b32_e64 v42, v44, v39, s[8:9]
	v_cndmask_b32_e64 v39, 0, 1, s[10:11]
	v_lshlrev_b32_e32 v39, 4, v39
	v_add_lshl_u32 v39, v39, v5, 2
	ds_bpermute_b32 v43, v39, v42
	v_add_u32_e32 v40, 16, v13
	v_cmp_gt_u32_e64 s[10:11], v40, v10
	v_cndmask_b32_e64 v6, v44, v6, s[8:9]
	s_waitcnt lgkmcnt(0)
	v_add_f32_e32 v45, v42, v43
	v_cndmask_b32_e64 v46, v45, v42, s[10:11]
	v_cndmask_b32_e64 v42, 0, 1, s[12:13]
	v_lshlrev_b32_e32 v42, 5, v42
	v_add_lshl_u32 v42, v42, v5, 2
	ds_bpermute_b32 v5, v42, v46
	v_add_u32_e32 v43, 32, v13
	v_cndmask_b32_e64 v6, v45, v6, s[10:11]
	v_cmp_gt_u32_e32 vcc, v43, v10
	s_waitcnt lgkmcnt(0)
	v_add_f32_e32 v5, v46, v5
	v_cndmask_b32_e32 v6, v5, v6, vcc
	v_mov_b32_e32 v5, 0
	s_branch .LBB6360_50
.LBB6360_49:                            ;   in Loop: Header=BB6360_50 Depth=1
	s_or_b64 exec, exec, s[6:7]
	v_cmp_eq_u16_sdwa s[6:7], v7, v3 src0_sel:BYTE_0 src1_sel:DWORD
	v_and_b32_e32 v10, s7, v9
	ds_bpermute_b32 v44, v14, v6
	v_or_b32_e32 v10, 0x80000000, v10
	v_and_b32_e32 v11, s6, v8
	v_ffbl_b32_e32 v10, v10
	v_add_u32_e32 v10, 32, v10
	v_ffbl_b32_e32 v11, v11
	v_min_u32_e32 v10, v11, v10
	s_waitcnt lgkmcnt(0)
	v_add_f32_e32 v11, v6, v44
	v_cmp_lt_u32_e32 vcc, v13, v10
	v_cndmask_b32_e32 v11, v6, v11, vcc
	ds_bpermute_b32 v44, v15, v11
	v_cmp_gt_u32_e64 s[6:7], v16, v10
	v_cmp_gt_u32_e64 s[8:9], v38, v10
	;; [unrolled: 1-line block ×3, first 2 shown]
	v_subrev_u32_e32 v4, 64, v4
	s_waitcnt lgkmcnt(0)
	v_add_f32_e32 v44, v11, v44
	v_cndmask_b32_e64 v11, v44, v11, s[6:7]
	ds_bpermute_b32 v44, v17, v11
	v_cmp_gt_u32_e64 s[6:7], v36, v10
	v_cndmask_b32_e32 v6, v6, v11, vcc
	v_cmp_gt_u32_e32 vcc, v43, v10
	s_waitcnt lgkmcnt(0)
	v_add_f32_e32 v44, v11, v44
	v_cndmask_b32_e64 v45, v44, v11, s[6:7]
	ds_bpermute_b32 v46, v37, v45
	v_cndmask_b32_e64 v6, v44, v6, s[6:7]
	s_waitcnt lgkmcnt(0)
	v_add_f32_e32 v46, v45, v46
	v_cndmask_b32_e64 v45, v46, v45, s[8:9]
	ds_bpermute_b32 v47, v39, v45
	v_cndmask_b32_e64 v6, v46, v6, s[8:9]
	;; [unrolled: 5-line block ×3, first 2 shown]
	s_waitcnt lgkmcnt(0)
	v_add_f32_e32 v11, v45, v48
	v_cndmask_b32_e32 v6, v11, v6, vcc
	v_add_f32_e32 v6, v41, v6
.LBB6360_50:                            ; =>This Loop Header: Depth=1
                                        ;     Child Loop BB6360_53 Depth 2
	v_cmp_ne_u16_sdwa s[6:7], v7, v3 src0_sel:BYTE_0 src1_sel:DWORD
	v_cndmask_b32_e64 v7, 0, 1, s[6:7]
	;;#ASMSTART
	;;#ASMEND
	v_cmp_ne_u32_e32 vcc, 0, v7
	s_cmp_lg_u64 vcc, exec
	v_mov_b32_e32 v41, v6
	s_cbranch_scc1 .LBB6360_55
; %bb.51:                               ;   in Loop: Header=BB6360_50 Depth=1
	v_lshlrev_b64 v[6:7], 3, v[4:5]
	v_mov_b32_e32 v11, s15
	v_add_co_u32_e32 v10, vcc, s14, v6
	v_addc_co_u32_e32 v11, vcc, v11, v7, vcc
	global_load_dwordx2 v[6:7], v[10:11], off glc
	s_waitcnt vmcnt(0)
	v_cmp_eq_u16_sdwa s[8:9], v7, v5 src0_sel:BYTE_0 src1_sel:DWORD
	s_and_saveexec_b64 s[6:7], s[8:9]
	s_cbranch_execz .LBB6360_49
; %bb.52:                               ;   in Loop: Header=BB6360_50 Depth=1
	s_mov_b64 s[8:9], 0
.LBB6360_53:                            ;   Parent Loop BB6360_50 Depth=1
                                        ; =>  This Inner Loop Header: Depth=2
	global_load_dwordx2 v[6:7], v[10:11], off glc
	s_waitcnt vmcnt(0)
	v_cmp_ne_u16_sdwa s[10:11], v7, v5 src0_sel:BYTE_0 src1_sel:DWORD
	s_or_b64 s[8:9], s[10:11], s[8:9]
	s_andn2_b64 exec, exec, s[8:9]
	s_cbranch_execnz .LBB6360_53
; %bb.54:                               ;   in Loop: Header=BB6360_50 Depth=1
	s_or_b64 exec, exec, s[8:9]
	s_branch .LBB6360_49
.LBB6360_55:                            ;   in Loop: Header=BB6360_50 Depth=1
                                        ; implicit-def: $vgpr6
                                        ; implicit-def: $vgpr7
	s_cbranch_execz .LBB6360_50
; %bb.56:
	s_and_saveexec_b64 s[6:7], s[4:5]
	s_cbranch_execz .LBB6360_58
; %bb.57:
	s_add_i32 s4, s40, 64
	s_mov_b32 s5, 0
	s_lshl_b64 s[4:5], s[4:5], 3
	s_add_u32 s4, s14, s4
	v_add_f32_e32 v2, v2, v41
	v_mov_b32_e32 v3, 2
	s_addc_u32 s5, s15, s5
	v_mov_b32_e32 v4, 0
	global_store_dwordx2 v4, v[2:3], s[4:5]
.LBB6360_58:
	s_or_b64 exec, exec, s[6:7]
	s_and_b64 exec, exec, s[0:1]
	s_cbranch_execz .LBB6360_60
; %bb.59:
	v_mov_b32_e32 v2, 0
	ds_write_b32 v2, v41
.LBB6360_60:
	s_or_b64 exec, exec, s[34:35]
	v_mov_b32_e32 v2, 0
	s_waitcnt lgkmcnt(0)
	s_barrier
	ds_read_b32 v2, v2
	s_waitcnt lgkmcnt(0)
	v_add_f32_e32 v3, v12, v2
	v_cndmask_b32_e64 v2, v3, v2, s[0:1]
	v_add_f32_e32 v3, v26, v2
	v_add_f32_e32 v4, v27, v3
	;; [unrolled: 1-line block ×13, first 2 shown]
	s_branch .LBB6360_71
.LBB6360_61:
                                        ; implicit-def: $vgpr2_vgpr3_vgpr4_vgpr5_vgpr6_vgpr7_vgpr8_vgpr9_vgpr10_vgpr11_vgpr12_vgpr13_vgpr14_vgpr15_vgpr16_vgpr17
	s_cbranch_execz .LBB6360_71
; %bb.62:
	s_cmp_eq_u64 s[20:21], 0
	v_mov_b32_e32 v16, s37
	s_cbranch_scc1 .LBB6360_64
; %bb.63:
	v_mov_b32_e32 v3, s39
	v_add_co_u32_e64 v2, vcc, -4, s38
	v_addc_co_u32_e32 v3, vcc, -1, v3, vcc
	flat_load_dword v2, v[2:3]
	v_mov_b32_e32 v3, 0
	global_load_dword v3, v3, s[16:17]
	s_waitcnt vmcnt(0) lgkmcnt(0)
	v_cvt_f32_u32_e32 v2, v2
	v_add_f32_e32 v16, v3, v2
.LBB6360_64:
	v_add_f32_e32 v2, v28, v35
	v_add_f32_e32 v2, v29, v2
	;; [unrolled: 1-line block ×12, first 2 shown]
	v_add_lshl_u32 v1, v1, v0, 2
	v_cmp_gt_u32_e32 vcc, 64, v0
	ds_write_b32 v1, v2
	s_waitcnt lgkmcnt(0)
	s_barrier
	s_and_saveexec_b64 s[8:9], vcc
	s_cbranch_execz .LBB6360_66
; %bb.65:
	v_lshlrev_b32_e32 v1, 1, v0
	v_lshrrev_b32_e32 v3, 4, v0
	v_add_lshl_u32 v1, v3, v1, 2
	ds_read2_b32 v[4:5], v1 offset1:1
	v_mbcnt_lo_u32_b32 v3, -1, 0
	v_mbcnt_hi_u32_b32 v3, -1, v3
	v_and_b32_e32 v6, 15, v3
	v_cmp_eq_u32_e32 vcc, 0, v6
	s_waitcnt lgkmcnt(0)
	v_add_f32_e32 v5, v4, v5
	v_cmp_lt_u32_e64 s[4:5], 3, v6
	v_cmp_lt_u32_e64 s[6:7], 31, v3
	v_mov_b32_dpp v7, v5 row_shr:1 row_mask:0xf bank_mask:0xf
	v_add_f32_e32 v7, v5, v7
	v_cndmask_b32_e32 v5, v7, v5, vcc
	v_cmp_lt_u32_e32 vcc, 1, v6
	s_nop 0
	v_mov_b32_dpp v7, v5 row_shr:2 row_mask:0xf bank_mask:0xf
	v_add_f32_e32 v7, v5, v7
	v_cndmask_b32_e32 v7, v5, v7, vcc
	; wave barrier
	s_nop 1
	v_mov_b32_dpp v8, v7 row_shr:4 row_mask:0xf bank_mask:0xf
	v_add_f32_e32 v8, v7, v8
	v_cndmask_b32_e64 v7, v7, v8, s[4:5]
	v_cmp_lt_u32_e64 s[4:5], 7, v6
	s_nop 0
	v_mov_b32_dpp v8, v7 row_shr:8 row_mask:0xf bank_mask:0xf
	v_add_f32_e32 v8, v7, v8
	v_cndmask_b32_e64 v6, v7, v8, s[4:5]
	v_and_b32_e32 v8, 16, v3
	v_cmp_eq_u32_e64 s[4:5], 0, v8
	v_mov_b32_dpp v7, v6 row_bcast:15 row_mask:0xf bank_mask:0xf
	v_add_f32_e32 v7, v6, v7
	v_cndmask_b32_e64 v6, v7, v6, s[4:5]
	v_cmp_lt_u32_e64 s[4:5], 15, v3
	s_or_b64 vcc, s[4:5], vcc
	v_mov_b32_dpp v7, v6 row_bcast:31 row_mask:0xf bank_mask:0xf
	v_add_f32_e32 v7, v6, v7
	v_cndmask_b32_e64 v6, v6, v7, s[6:7]
	v_cndmask_b32_e32 v5, v5, v6, vcc
	v_add_u32_e32 v6, -1, v3
	v_and_b32_e32 v7, 64, v3
	v_cmp_lt_i32_e32 vcc, v6, v7
	v_cndmask_b32_e32 v3, v6, v3, vcc
	v_lshlrev_b32_e32 v3, 2, v3
	ds_bpermute_b32 v3, v3, v5
	s_waitcnt lgkmcnt(0)
	v_add_f32_e32 v3, v4, v3
	v_cndmask_b32_e64 v2, v3, v2, s[0:1]
	ds_write_b32 v1, v2
	; wave barrier
	ds_read_b32 v3, v1 offset:4
	s_waitcnt lgkmcnt(0)
	v_add_f32_e32 v2, v2, v3
	ds_write_b32 v1, v2 offset:4
.LBB6360_66:
	s_or_b64 exec, exec, s[8:9]
	v_mov_b32_e32 v2, v16
	s_waitcnt lgkmcnt(0)
	s_barrier
	s_and_saveexec_b64 s[4:5], s[2:3]
	s_cbranch_execz .LBB6360_68
; %bb.67:
	v_add_u32_e32 v1, -1, v0
	v_lshrrev_b32_e32 v2, 5, v1
	v_add_lshl_u32 v1, v2, v1, 2
	ds_read_b32 v1, v1
	s_waitcnt lgkmcnt(0)
	v_add_f32_e32 v2, v16, v1
.LBB6360_68:
	s_or_b64 exec, exec, s[4:5]
	v_add_f32_e32 v3, v26, v2
	v_add_f32_e32 v4, v27, v3
	;; [unrolled: 1-line block ×13, first 2 shown]
	s_and_saveexec_b64 s[2:3], s[0:1]
	s_cbranch_execz .LBB6360_70
; %bb.69:
	v_mov_b32_e32 v1, 0
	ds_read_b32 v17, v1 offset:520
	s_waitcnt lgkmcnt(0)
	v_add_f32_e32 v16, v16, v17
	v_mov_b32_e32 v17, 2
	global_store_dwordx2 v1, v[16:17], s[14:15] offset:512
.LBB6360_70:
	s_or_b64 exec, exec, s[2:3]
.LBB6360_71:
	s_add_u32 s0, s28, s26
	s_addc_u32 s1, s29, s27
	s_add_u32 s2, s0, s30
	s_addc_u32 s3, s1, s31
	s_mov_b64 s[0:1], -1
	s_and_b64 vcc, exec, s[24:25]
	s_barrier
	s_cbranch_vccz .LBB6360_73
; %bb.72:
	v_mov_b32_e32 v1, s3
	v_add_co_u32_e32 v30, vcc, s2, v32
	ds_write2_b64 v34, v[2:3], v[4:5] offset1:1
	ds_write2_b64 v34, v[6:7], v[8:9] offset0:2 offset1:3
	ds_write2_b64 v34, v[10:11], v[12:13] offset0:4 offset1:5
	ds_write_b64 v34, v[14:15] offset:48
	s_waitcnt lgkmcnt(0)
	s_barrier
	ds_read2st64_b32 v[16:17], v32 offset1:2
	ds_read2st64_b32 v[18:19], v32 offset0:4 offset1:6
	ds_read2st64_b32 v[20:21], v32 offset0:8 offset1:10
	;; [unrolled: 1-line block ×6, first 2 shown]
	v_addc_co_u32_e32 v31, vcc, 0, v1, vcc
	s_waitcnt lgkmcnt(6)
	v_cvt_i32_f32_e32 v1, v16
	v_cvt_i32_f32_e32 v16, v17
	s_waitcnt lgkmcnt(5)
	v_cvt_i32_f32_e32 v17, v18
	v_cvt_i32_f32_e32 v18, v19
	flat_store_dword v[30:31], v1
	flat_store_dword v[30:31], v16 offset:512
	flat_store_dword v[30:31], v17 offset:1024
	;; [unrolled: 1-line block ×3, first 2 shown]
	s_waitcnt lgkmcnt(0)
	v_cvt_i32_f32_e32 v1, v20
	v_cvt_i32_f32_e32 v16, v21
	;; [unrolled: 1-line block ×4, first 2 shown]
	flat_store_dword v[30:31], v1 offset:2048
	flat_store_dword v[30:31], v16 offset:2560
	;; [unrolled: 1-line block ×4, first 2 shown]
	v_cvt_i32_f32_e32 v1, v24
	s_movk_i32 s0, 0x1000
	v_cvt_i32_f32_e32 v18, v25
	v_add_co_u32_e32 v16, vcc, s0, v30
	v_addc_co_u32_e32 v17, vcc, 0, v31, vcc
	flat_store_dword v[16:17], v1
	flat_store_dword v[16:17], v18 offset:512
	v_cvt_i32_f32_e32 v1, v26
	v_cvt_i32_f32_e32 v18, v27
	;; [unrolled: 1-line block ×4, first 2 shown]
	flat_store_dword v[16:17], v1 offset:1024
	flat_store_dword v[16:17], v18 offset:1536
	;; [unrolled: 1-line block ×4, first 2 shown]
	s_mov_b64 s[0:1], 0
.LBB6360_73:
	s_andn2_b64 vcc, exec, s[0:1]
	s_cbranch_vccnz .LBB6360_153
; %bb.74:
	s_movk_i32 s0, 0xffcc
	ds_write2_b64 v34, v[2:3], v[4:5] offset1:1
	ds_write2_b64 v34, v[6:7], v[8:9] offset0:2 offset1:3
	ds_write2_b64 v34, v[10:11], v[12:13] offset0:4 offset1:5
	ds_write_b64 v34, v[14:15] offset:48
	v_mad_i32_i24 v14, v0, s0, v34
	s_waitcnt lgkmcnt(0)
	s_barrier
	ds_read2st64_b32 v[4:5], v14 offset1:2
	ds_read2st64_b32 v[6:7], v14 offset0:4 offset1:6
	ds_read2st64_b32 v[8:9], v14 offset0:8 offset1:10
	;; [unrolled: 1-line block ×6, first 2 shown]
	v_mov_b32_e32 v17, s3
	v_add_co_u32_e32 v16, vcc, s2, v32
	v_addc_co_u32_e32 v17, vcc, 0, v17, vcc
	v_mov_b32_e32 v1, 0
	v_cmp_gt_u32_e32 vcc, s33, v0
	s_and_saveexec_b64 s[0:1], vcc
	s_cbranch_execz .LBB6360_76
; %bb.75:
	s_waitcnt lgkmcnt(0)
	v_cvt_i32_f32_e32 v18, v4
	flat_store_dword v[16:17], v18
.LBB6360_76:
	s_or_b64 exec, exec, s[0:1]
	v_or_b32_e32 v18, 0x80, v0
	v_cmp_gt_u32_e32 vcc, s33, v18
	s_and_saveexec_b64 s[0:1], vcc
	s_cbranch_execz .LBB6360_78
; %bb.77:
	s_waitcnt lgkmcnt(0)
	v_cvt_i32_f32_e32 v18, v5
	flat_store_dword v[16:17], v18 offset:512
.LBB6360_78:
	s_or_b64 exec, exec, s[0:1]
	v_or_b32_e32 v18, 0x100, v0
	v_cmp_gt_u32_e32 vcc, s33, v18
	s_and_saveexec_b64 s[0:1], vcc
	s_cbranch_execz .LBB6360_80
; %bb.79:
	s_waitcnt lgkmcnt(0)
	v_cvt_i32_f32_e32 v18, v6
	flat_store_dword v[16:17], v18 offset:1024
.LBB6360_80:
	;; [unrolled: 10-line block ×7, first 2 shown]
	s_or_b64 exec, exec, s[0:1]
	v_or_b32_e32 v18, 0x400, v0
	v_cmp_gt_u32_e32 vcc, s33, v18
	s_and_saveexec_b64 s[0:1], vcc
	s_cbranch_execz .LBB6360_92
; %bb.91:
	s_waitcnt lgkmcnt(0)
	v_cvt_i32_f32_e32 v20, v12
	v_add_co_u32_e32 v18, vcc, 0x1000, v16
	v_addc_co_u32_e32 v19, vcc, 0, v17, vcc
	flat_store_dword v[18:19], v20
.LBB6360_92:
	s_or_b64 exec, exec, s[0:1]
	v_or_b32_e32 v18, 0x480, v0
	v_cmp_gt_u32_e32 vcc, s33, v18
	s_and_saveexec_b64 s[0:1], vcc
	s_cbranch_execz .LBB6360_94
; %bb.93:
	s_waitcnt lgkmcnt(0)
	v_cvt_i32_f32_e32 v20, v13
	v_add_co_u32_e32 v18, vcc, 0x1000, v16
	v_addc_co_u32_e32 v19, vcc, 0, v17, vcc
	flat_store_dword v[18:19], v20 offset:512
.LBB6360_94:
	s_or_b64 exec, exec, s[0:1]
	v_or_b32_e32 v18, 0x500, v0
	v_cmp_gt_u32_e32 vcc, s33, v18
	s_and_saveexec_b64 s[0:1], vcc
	s_cbranch_execz .LBB6360_96
; %bb.95:
	s_waitcnt lgkmcnt(0)
	v_cvt_i32_f32_e32 v20, v10
	v_add_co_u32_e32 v18, vcc, 0x1000, v16
	v_addc_co_u32_e32 v19, vcc, 0, v17, vcc
	flat_store_dword v[18:19], v20 offset:1024
.LBB6360_96:
	;; [unrolled: 12-line block ×5, first 2 shown]
	s_or_b64 exec, exec, s[0:1]
	v_cmp_lt_u64_e64 s[0:1], s[22:23], 2
	s_and_b64 vcc, exec, s[0:1]
	s_cbranch_vccnz .LBB6360_153
; %bb.103:
	s_add_u32 s0, s33, -1
	s_addc_u32 s1, s36, -1
	s_add_u32 s2, 0, 0x49240800
	s_addc_u32 s3, 0, 50
	s_add_i32 s3, s3, 0x12492460
	s_mul_hi_u32 s7, s2, -14
	s_sub_i32 s7, s7, s2
	s_mul_i32 s8, s3, -14
	s_mul_i32 s4, s2, -14
	s_add_i32 s7, s7, s8
	s_mul_hi_u32 s5, s3, s4
	s_mul_i32 s6, s3, s4
	s_mul_i32 s9, s2, s7
	s_mul_hi_u32 s4, s2, s4
	s_mul_hi_u32 s8, s2, s7
	s_add_u32 s4, s4, s9
	s_addc_u32 s8, 0, s8
	s_add_u32 s4, s4, s6
	s_mul_hi_u32 s9, s3, s7
	s_addc_u32 s4, s8, s5
	s_addc_u32 s5, s9, 0
	s_mul_i32 s6, s3, s7
	s_add_u32 s4, s4, s6
	v_mov_b32_e32 v16, s4
	s_addc_u32 s5, 0, s5
	v_add_co_u32_e32 v16, vcc, s2, v16
	s_cmp_lg_u64 vcc, 0
	s_addc_u32 s2, s3, s5
	v_readfirstlane_b32 s5, v16
	s_mul_i32 s4, s0, s2
	s_mul_hi_u32 s6, s0, s5
	s_mul_hi_u32 s3, s0, s2
	s_add_u32 s4, s6, s4
	s_addc_u32 s3, 0, s3
	s_mul_hi_u32 s7, s1, s5
	s_mul_i32 s5, s1, s5
	s_add_u32 s4, s4, s5
	s_mul_hi_u32 s6, s1, s2
	s_addc_u32 s3, s3, s7
	s_addc_u32 s4, s6, 0
	s_mul_i32 s2, s1, s2
	s_add_u32 s2, s3, s2
	s_addc_u32 s3, 0, s4
	s_add_u32 s4, s2, 1
	s_addc_u32 s5, s3, 0
	s_add_u32 s6, s2, 2
	s_mul_i32 s8, s3, 14
	s_mul_hi_u32 s9, s2, 14
	s_addc_u32 s7, s3, 0
	s_add_i32 s9, s9, s8
	s_mul_i32 s8, s2, 14
	v_mov_b32_e32 v16, s8
	v_sub_co_u32_e32 v16, vcc, s0, v16
	s_cmp_lg_u64 vcc, 0
	s_subb_u32 s8, s1, s9
	v_subrev_co_u32_e32 v17, vcc, 14, v16
	s_cmp_lg_u64 vcc, 0
	s_subb_u32 s9, s8, 0
	v_readfirstlane_b32 s10, v17
	s_cmp_gt_u32 s10, 13
	s_cselect_b32 s10, -1, 0
	s_cmp_eq_u32 s9, 0
	s_cselect_b32 s9, s10, -1
	s_cmp_lg_u32 s9, 0
	s_cselect_b32 s4, s6, s4
	v_readfirstlane_b32 s6, v16
	s_cselect_b32 s5, s7, s5
	s_cmp_gt_u32 s6, 13
	s_cselect_b32 s6, -1, 0
	s_cmp_eq_u32 s8, 0
	s_cselect_b32 s6, s6, -1
	s_cmp_lg_u32 s6, 0
	s_cselect_b32 s3, s5, s3
	s_cselect_b32 s2, s4, s2
	v_cmp_eq_u64_e32 vcc, s[2:3], v[0:1]
	s_and_saveexec_b64 s[2:3], vcc
	s_cbranch_execz .LBB6360_153
; %bb.104:
	v_mul_hi_u32_u24_e32 v1, 14, v0
	v_mov_b32_e32 v16, s1
	v_sub_co_u32_e32 v0, vcc, s0, v33
	v_subb_co_u32_e32 v1, vcc, v16, v1, vcc
	v_cmp_lt_i64_e32 vcc, 6, v[0:1]
	s_and_saveexec_b64 s[0:1], vcc
	s_xor_b64 s[0:1], exec, s[0:1]
	s_cbranch_execz .LBB6360_130
; %bb.105:
	v_cmp_lt_i64_e32 vcc, 9, v[0:1]
	s_and_saveexec_b64 s[2:3], vcc
	s_xor_b64 s[2:3], exec, s[2:3]
	s_cbranch_execz .LBB6360_119
; %bb.106:
	;; [unrolled: 5-line block ×4, first 2 shown]
	v_mov_b32_e32 v0, 0
	s_waitcnt lgkmcnt(0)
	global_store_dword v0, v15, s[18:19]
                                        ; implicit-def: $vgpr14_vgpr15
.LBB6360_109:
	s_andn2_saveexec_b64 s[6:7], s[6:7]
	s_cbranch_execz .LBB6360_111
; %bb.110:
	v_mov_b32_e32 v0, 0
	s_waitcnt lgkmcnt(0)
	global_store_dword v0, v14, s[18:19]
.LBB6360_111:
	s_or_b64 exec, exec, s[6:7]
                                        ; implicit-def: $vgpr10_vgpr11
                                        ; implicit-def: $vgpr0_vgpr1
.LBB6360_112:
	s_andn2_saveexec_b64 s[4:5], s[4:5]
	s_cbranch_execz .LBB6360_118
; %bb.113:
	v_cmp_lt_i64_e32 vcc, 10, v[0:1]
	s_and_saveexec_b64 s[6:7], vcc
	s_xor_b64 s[6:7], exec, s[6:7]
	s_cbranch_execz .LBB6360_115
; %bb.114:
	v_mov_b32_e32 v0, 0
	s_waitcnt lgkmcnt(0)
	global_store_dword v0, v11, s[18:19]
                                        ; implicit-def: $vgpr10_vgpr11
.LBB6360_115:
	s_andn2_saveexec_b64 s[6:7], s[6:7]
	s_cbranch_execz .LBB6360_117
; %bb.116:
	v_mov_b32_e32 v0, 0
	s_waitcnt lgkmcnt(0)
	global_store_dword v0, v10, s[18:19]
.LBB6360_117:
	s_or_b64 exec, exec, s[6:7]
.LBB6360_118:
	s_or_b64 exec, exec, s[4:5]
                                        ; implicit-def: $vgpr2_vgpr3
                                        ; implicit-def: $vgpr0_vgpr1
                                        ; implicit-def: $vgpr12_vgpr13
.LBB6360_119:
	s_andn2_saveexec_b64 s[2:3], s[2:3]
	s_cbranch_execz .LBB6360_129
; %bb.120:
	v_cmp_lt_i64_e32 vcc, 7, v[0:1]
	s_and_saveexec_b64 s[4:5], vcc
	s_xor_b64 s[4:5], exec, s[4:5]
	s_cbranch_execz .LBB6360_126
; %bb.121:
	v_cmp_lt_i64_e32 vcc, 8, v[0:1]
	s_and_saveexec_b64 s[6:7], vcc
	s_xor_b64 s[6:7], exec, s[6:7]
	s_cbranch_execz .LBB6360_123
; %bb.122:
	v_mov_b32_e32 v0, 0
	s_waitcnt lgkmcnt(0)
	global_store_dword v0, v13, s[18:19]
                                        ; implicit-def: $vgpr12_vgpr13
.LBB6360_123:
	s_andn2_saveexec_b64 s[6:7], s[6:7]
	s_cbranch_execz .LBB6360_125
; %bb.124:
	v_mov_b32_e32 v0, 0
	s_waitcnt lgkmcnt(0)
	global_store_dword v0, v12, s[18:19]
.LBB6360_125:
	s_or_b64 exec, exec, s[6:7]
                                        ; implicit-def: $vgpr2_vgpr3
.LBB6360_126:
	s_andn2_saveexec_b64 s[4:5], s[4:5]
	s_cbranch_execz .LBB6360_128
; %bb.127:
	v_mov_b32_e32 v0, 0
	s_waitcnt lgkmcnt(0)
	global_store_dword v0, v3, s[18:19]
.LBB6360_128:
	s_or_b64 exec, exec, s[4:5]
.LBB6360_129:
	s_or_b64 exec, exec, s[2:3]
                                        ; implicit-def: $vgpr0_vgpr1
                                        ; implicit-def: $vgpr8_vgpr9
                                        ; implicit-def: $vgpr4_vgpr5
                                        ; implicit-def: $vgpr6_vgpr7
                                        ; implicit-def: $vgpr2_vgpr3
.LBB6360_130:
	s_andn2_saveexec_b64 s[0:1], s[0:1]
	s_cbranch_execz .LBB6360_153
; %bb.131:
	v_cmp_lt_i64_e32 vcc, 3, v[0:1]
	s_and_saveexec_b64 s[0:1], vcc
	s_xor_b64 s[0:1], exec, s[0:1]
	s_cbranch_execz .LBB6360_141
; %bb.132:
	v_cmp_lt_i64_e32 vcc, 4, v[0:1]
	s_and_saveexec_b64 s[2:3], vcc
	s_xor_b64 s[2:3], exec, s[2:3]
	;; [unrolled: 5-line block ×3, first 2 shown]
	s_cbranch_execz .LBB6360_135
; %bb.134:
	v_mov_b32_e32 v0, 0
	s_waitcnt lgkmcnt(0)
	global_store_dword v0, v2, s[18:19]
                                        ; implicit-def: $vgpr8_vgpr9
.LBB6360_135:
	s_andn2_saveexec_b64 s[4:5], s[4:5]
	s_cbranch_execz .LBB6360_137
; %bb.136:
	v_mov_b32_e32 v0, 0
	s_waitcnt lgkmcnt(0)
	global_store_dword v0, v9, s[18:19]
.LBB6360_137:
	s_or_b64 exec, exec, s[4:5]
                                        ; implicit-def: $vgpr8_vgpr9
.LBB6360_138:
	s_andn2_saveexec_b64 s[2:3], s[2:3]
	s_cbranch_execz .LBB6360_140
; %bb.139:
	v_mov_b32_e32 v0, 0
	s_waitcnt lgkmcnt(0)
	global_store_dword v0, v8, s[18:19]
.LBB6360_140:
	s_or_b64 exec, exec, s[2:3]
                                        ; implicit-def: $vgpr0_vgpr1
                                        ; implicit-def: $vgpr4_vgpr5
                                        ; implicit-def: $vgpr6_vgpr7
.LBB6360_141:
	s_andn2_saveexec_b64 s[0:1], s[0:1]
	s_cbranch_execz .LBB6360_153
; %bb.142:
	v_cmp_lt_i64_e32 vcc, 1, v[0:1]
	s_and_saveexec_b64 s[0:1], vcc
	s_xor_b64 s[0:1], exec, s[0:1]
	s_cbranch_execz .LBB6360_148
; %bb.143:
	v_cmp_lt_i64_e32 vcc, 2, v[0:1]
	s_and_saveexec_b64 s[2:3], vcc
	s_xor_b64 s[2:3], exec, s[2:3]
	s_cbranch_execz .LBB6360_145
; %bb.144:
	v_mov_b32_e32 v0, 0
	s_waitcnt lgkmcnt(0)
	global_store_dword v0, v7, s[18:19]
                                        ; implicit-def: $vgpr6_vgpr7
.LBB6360_145:
	s_andn2_saveexec_b64 s[2:3], s[2:3]
	s_cbranch_execz .LBB6360_147
; %bb.146:
	v_mov_b32_e32 v0, 0
	s_waitcnt lgkmcnt(0)
	global_store_dword v0, v6, s[18:19]
.LBB6360_147:
	s_or_b64 exec, exec, s[2:3]
                                        ; implicit-def: $vgpr4_vgpr5
                                        ; implicit-def: $vgpr0_vgpr1
.LBB6360_148:
	s_andn2_saveexec_b64 s[0:1], s[0:1]
	s_cbranch_execz .LBB6360_153
; %bb.149:
	v_cmp_ne_u64_e32 vcc, 1, v[0:1]
	s_and_saveexec_b64 s[0:1], vcc
	s_xor_b64 s[0:1], exec, s[0:1]
	s_cbranch_execz .LBB6360_151
; %bb.150:
	v_mov_b32_e32 v0, 0
	s_waitcnt lgkmcnt(0)
	global_store_dword v0, v4, s[18:19]
                                        ; implicit-def: $vgpr4_vgpr5
.LBB6360_151:
	s_andn2_saveexec_b64 s[0:1], s[0:1]
	s_cbranch_execz .LBB6360_153
; %bb.152:
	v_mov_b32_e32 v0, 0
	s_waitcnt lgkmcnt(0)
	global_store_dword v0, v5, s[18:19]
.LBB6360_153:
	s_endpgm
	.section	.rodata,"a",@progbits
	.p2align	6, 0x0
	.amdhsa_kernel _ZN7rocprim17ROCPRIM_400000_NS6detail17trampoline_kernelINS0_14default_configENS1_20scan_config_selectorIfEEZZNS1_9scan_implILNS1_25lookback_scan_determinismE0ELb1ELb1ES3_N6thrust23THRUST_200600_302600_NS6detail15normal_iteratorINS9_10device_ptrIjEEEENSB_INSC_IiEEEEfNS9_4plusIvEEfEEDaPvRmT3_T4_T5_mT6_P12ihipStream_tbENKUlT_T0_E_clISt17integral_constantIbLb0EESV_IbLb1EEEEDaSR_SS_EUlSR_E_NS1_11comp_targetILNS1_3genE4ELNS1_11target_archE910ELNS1_3gpuE8ELNS1_3repE0EEENS1_30default_config_static_selectorELNS0_4arch9wavefront6targetE1EEEvT1_
		.amdhsa_group_segment_fixed_size 7168
		.amdhsa_private_segment_fixed_size 0
		.amdhsa_kernarg_size 96
		.amdhsa_user_sgpr_count 6
		.amdhsa_user_sgpr_private_segment_buffer 1
		.amdhsa_user_sgpr_dispatch_ptr 0
		.amdhsa_user_sgpr_queue_ptr 0
		.amdhsa_user_sgpr_kernarg_segment_ptr 1
		.amdhsa_user_sgpr_dispatch_id 0
		.amdhsa_user_sgpr_flat_scratch_init 0
		.amdhsa_user_sgpr_kernarg_preload_length 0
		.amdhsa_user_sgpr_kernarg_preload_offset 0
		.amdhsa_user_sgpr_private_segment_size 0
		.amdhsa_uses_dynamic_stack 0
		.amdhsa_system_sgpr_private_segment_wavefront_offset 0
		.amdhsa_system_sgpr_workgroup_id_x 1
		.amdhsa_system_sgpr_workgroup_id_y 0
		.amdhsa_system_sgpr_workgroup_id_z 0
		.amdhsa_system_sgpr_workgroup_info 0
		.amdhsa_system_vgpr_workitem_id 0
		.amdhsa_next_free_vgpr 49
		.amdhsa_next_free_sgpr 41
		.amdhsa_accum_offset 52
		.amdhsa_reserve_vcc 1
		.amdhsa_reserve_flat_scratch 0
		.amdhsa_float_round_mode_32 0
		.amdhsa_float_round_mode_16_64 0
		.amdhsa_float_denorm_mode_32 3
		.amdhsa_float_denorm_mode_16_64 3
		.amdhsa_dx10_clamp 1
		.amdhsa_ieee_mode 1
		.amdhsa_fp16_overflow 0
		.amdhsa_tg_split 0
		.amdhsa_exception_fp_ieee_invalid_op 0
		.amdhsa_exception_fp_denorm_src 0
		.amdhsa_exception_fp_ieee_div_zero 0
		.amdhsa_exception_fp_ieee_overflow 0
		.amdhsa_exception_fp_ieee_underflow 0
		.amdhsa_exception_fp_ieee_inexact 0
		.amdhsa_exception_int_div_zero 0
	.end_amdhsa_kernel
	.section	.text._ZN7rocprim17ROCPRIM_400000_NS6detail17trampoline_kernelINS0_14default_configENS1_20scan_config_selectorIfEEZZNS1_9scan_implILNS1_25lookback_scan_determinismE0ELb1ELb1ES3_N6thrust23THRUST_200600_302600_NS6detail15normal_iteratorINS9_10device_ptrIjEEEENSB_INSC_IiEEEEfNS9_4plusIvEEfEEDaPvRmT3_T4_T5_mT6_P12ihipStream_tbENKUlT_T0_E_clISt17integral_constantIbLb0EESV_IbLb1EEEEDaSR_SS_EUlSR_E_NS1_11comp_targetILNS1_3genE4ELNS1_11target_archE910ELNS1_3gpuE8ELNS1_3repE0EEENS1_30default_config_static_selectorELNS0_4arch9wavefront6targetE1EEEvT1_,"axG",@progbits,_ZN7rocprim17ROCPRIM_400000_NS6detail17trampoline_kernelINS0_14default_configENS1_20scan_config_selectorIfEEZZNS1_9scan_implILNS1_25lookback_scan_determinismE0ELb1ELb1ES3_N6thrust23THRUST_200600_302600_NS6detail15normal_iteratorINS9_10device_ptrIjEEEENSB_INSC_IiEEEEfNS9_4plusIvEEfEEDaPvRmT3_T4_T5_mT6_P12ihipStream_tbENKUlT_T0_E_clISt17integral_constantIbLb0EESV_IbLb1EEEEDaSR_SS_EUlSR_E_NS1_11comp_targetILNS1_3genE4ELNS1_11target_archE910ELNS1_3gpuE8ELNS1_3repE0EEENS1_30default_config_static_selectorELNS0_4arch9wavefront6targetE1EEEvT1_,comdat
.Lfunc_end6360:
	.size	_ZN7rocprim17ROCPRIM_400000_NS6detail17trampoline_kernelINS0_14default_configENS1_20scan_config_selectorIfEEZZNS1_9scan_implILNS1_25lookback_scan_determinismE0ELb1ELb1ES3_N6thrust23THRUST_200600_302600_NS6detail15normal_iteratorINS9_10device_ptrIjEEEENSB_INSC_IiEEEEfNS9_4plusIvEEfEEDaPvRmT3_T4_T5_mT6_P12ihipStream_tbENKUlT_T0_E_clISt17integral_constantIbLb0EESV_IbLb1EEEEDaSR_SS_EUlSR_E_NS1_11comp_targetILNS1_3genE4ELNS1_11target_archE910ELNS1_3gpuE8ELNS1_3repE0EEENS1_30default_config_static_selectorELNS0_4arch9wavefront6targetE1EEEvT1_, .Lfunc_end6360-_ZN7rocprim17ROCPRIM_400000_NS6detail17trampoline_kernelINS0_14default_configENS1_20scan_config_selectorIfEEZZNS1_9scan_implILNS1_25lookback_scan_determinismE0ELb1ELb1ES3_N6thrust23THRUST_200600_302600_NS6detail15normal_iteratorINS9_10device_ptrIjEEEENSB_INSC_IiEEEEfNS9_4plusIvEEfEEDaPvRmT3_T4_T5_mT6_P12ihipStream_tbENKUlT_T0_E_clISt17integral_constantIbLb0EESV_IbLb1EEEEDaSR_SS_EUlSR_E_NS1_11comp_targetILNS1_3genE4ELNS1_11target_archE910ELNS1_3gpuE8ELNS1_3repE0EEENS1_30default_config_static_selectorELNS0_4arch9wavefront6targetE1EEEvT1_
                                        ; -- End function
	.section	.AMDGPU.csdata,"",@progbits
; Kernel info:
; codeLenInByte = 5972
; NumSgprs: 45
; NumVgprs: 49
; NumAgprs: 0
; TotalNumVgprs: 49
; ScratchSize: 0
; MemoryBound: 0
; FloatMode: 240
; IeeeMode: 1
; LDSByteSize: 7168 bytes/workgroup (compile time only)
; SGPRBlocks: 5
; VGPRBlocks: 6
; NumSGPRsForWavesPerEU: 45
; NumVGPRsForWavesPerEU: 49
; AccumOffset: 52
; Occupancy: 5
; WaveLimiterHint : 1
; COMPUTE_PGM_RSRC2:SCRATCH_EN: 0
; COMPUTE_PGM_RSRC2:USER_SGPR: 6
; COMPUTE_PGM_RSRC2:TRAP_HANDLER: 0
; COMPUTE_PGM_RSRC2:TGID_X_EN: 1
; COMPUTE_PGM_RSRC2:TGID_Y_EN: 0
; COMPUTE_PGM_RSRC2:TGID_Z_EN: 0
; COMPUTE_PGM_RSRC2:TIDIG_COMP_CNT: 0
; COMPUTE_PGM_RSRC3_GFX90A:ACCUM_OFFSET: 12
; COMPUTE_PGM_RSRC3_GFX90A:TG_SPLIT: 0
	.section	.text._ZN7rocprim17ROCPRIM_400000_NS6detail17trampoline_kernelINS0_14default_configENS1_20scan_config_selectorIfEEZZNS1_9scan_implILNS1_25lookback_scan_determinismE0ELb1ELb1ES3_N6thrust23THRUST_200600_302600_NS6detail15normal_iteratorINS9_10device_ptrIjEEEENSB_INSC_IiEEEEfNS9_4plusIvEEfEEDaPvRmT3_T4_T5_mT6_P12ihipStream_tbENKUlT_T0_E_clISt17integral_constantIbLb0EESV_IbLb1EEEEDaSR_SS_EUlSR_E_NS1_11comp_targetILNS1_3genE3ELNS1_11target_archE908ELNS1_3gpuE7ELNS1_3repE0EEENS1_30default_config_static_selectorELNS0_4arch9wavefront6targetE1EEEvT1_,"axG",@progbits,_ZN7rocprim17ROCPRIM_400000_NS6detail17trampoline_kernelINS0_14default_configENS1_20scan_config_selectorIfEEZZNS1_9scan_implILNS1_25lookback_scan_determinismE0ELb1ELb1ES3_N6thrust23THRUST_200600_302600_NS6detail15normal_iteratorINS9_10device_ptrIjEEEENSB_INSC_IiEEEEfNS9_4plusIvEEfEEDaPvRmT3_T4_T5_mT6_P12ihipStream_tbENKUlT_T0_E_clISt17integral_constantIbLb0EESV_IbLb1EEEEDaSR_SS_EUlSR_E_NS1_11comp_targetILNS1_3genE3ELNS1_11target_archE908ELNS1_3gpuE7ELNS1_3repE0EEENS1_30default_config_static_selectorELNS0_4arch9wavefront6targetE1EEEvT1_,comdat
	.protected	_ZN7rocprim17ROCPRIM_400000_NS6detail17trampoline_kernelINS0_14default_configENS1_20scan_config_selectorIfEEZZNS1_9scan_implILNS1_25lookback_scan_determinismE0ELb1ELb1ES3_N6thrust23THRUST_200600_302600_NS6detail15normal_iteratorINS9_10device_ptrIjEEEENSB_INSC_IiEEEEfNS9_4plusIvEEfEEDaPvRmT3_T4_T5_mT6_P12ihipStream_tbENKUlT_T0_E_clISt17integral_constantIbLb0EESV_IbLb1EEEEDaSR_SS_EUlSR_E_NS1_11comp_targetILNS1_3genE3ELNS1_11target_archE908ELNS1_3gpuE7ELNS1_3repE0EEENS1_30default_config_static_selectorELNS0_4arch9wavefront6targetE1EEEvT1_ ; -- Begin function _ZN7rocprim17ROCPRIM_400000_NS6detail17trampoline_kernelINS0_14default_configENS1_20scan_config_selectorIfEEZZNS1_9scan_implILNS1_25lookback_scan_determinismE0ELb1ELb1ES3_N6thrust23THRUST_200600_302600_NS6detail15normal_iteratorINS9_10device_ptrIjEEEENSB_INSC_IiEEEEfNS9_4plusIvEEfEEDaPvRmT3_T4_T5_mT6_P12ihipStream_tbENKUlT_T0_E_clISt17integral_constantIbLb0EESV_IbLb1EEEEDaSR_SS_EUlSR_E_NS1_11comp_targetILNS1_3genE3ELNS1_11target_archE908ELNS1_3gpuE7ELNS1_3repE0EEENS1_30default_config_static_selectorELNS0_4arch9wavefront6targetE1EEEvT1_
	.globl	_ZN7rocprim17ROCPRIM_400000_NS6detail17trampoline_kernelINS0_14default_configENS1_20scan_config_selectorIfEEZZNS1_9scan_implILNS1_25lookback_scan_determinismE0ELb1ELb1ES3_N6thrust23THRUST_200600_302600_NS6detail15normal_iteratorINS9_10device_ptrIjEEEENSB_INSC_IiEEEEfNS9_4plusIvEEfEEDaPvRmT3_T4_T5_mT6_P12ihipStream_tbENKUlT_T0_E_clISt17integral_constantIbLb0EESV_IbLb1EEEEDaSR_SS_EUlSR_E_NS1_11comp_targetILNS1_3genE3ELNS1_11target_archE908ELNS1_3gpuE7ELNS1_3repE0EEENS1_30default_config_static_selectorELNS0_4arch9wavefront6targetE1EEEvT1_
	.p2align	8
	.type	_ZN7rocprim17ROCPRIM_400000_NS6detail17trampoline_kernelINS0_14default_configENS1_20scan_config_selectorIfEEZZNS1_9scan_implILNS1_25lookback_scan_determinismE0ELb1ELb1ES3_N6thrust23THRUST_200600_302600_NS6detail15normal_iteratorINS9_10device_ptrIjEEEENSB_INSC_IiEEEEfNS9_4plusIvEEfEEDaPvRmT3_T4_T5_mT6_P12ihipStream_tbENKUlT_T0_E_clISt17integral_constantIbLb0EESV_IbLb1EEEEDaSR_SS_EUlSR_E_NS1_11comp_targetILNS1_3genE3ELNS1_11target_archE908ELNS1_3gpuE7ELNS1_3repE0EEENS1_30default_config_static_selectorELNS0_4arch9wavefront6targetE1EEEvT1_,@function
_ZN7rocprim17ROCPRIM_400000_NS6detail17trampoline_kernelINS0_14default_configENS1_20scan_config_selectorIfEEZZNS1_9scan_implILNS1_25lookback_scan_determinismE0ELb1ELb1ES3_N6thrust23THRUST_200600_302600_NS6detail15normal_iteratorINS9_10device_ptrIjEEEENSB_INSC_IiEEEEfNS9_4plusIvEEfEEDaPvRmT3_T4_T5_mT6_P12ihipStream_tbENKUlT_T0_E_clISt17integral_constantIbLb0EESV_IbLb1EEEEDaSR_SS_EUlSR_E_NS1_11comp_targetILNS1_3genE3ELNS1_11target_archE908ELNS1_3gpuE7ELNS1_3repE0EEENS1_30default_config_static_selectorELNS0_4arch9wavefront6targetE1EEEvT1_: ; @_ZN7rocprim17ROCPRIM_400000_NS6detail17trampoline_kernelINS0_14default_configENS1_20scan_config_selectorIfEEZZNS1_9scan_implILNS1_25lookback_scan_determinismE0ELb1ELb1ES3_N6thrust23THRUST_200600_302600_NS6detail15normal_iteratorINS9_10device_ptrIjEEEENSB_INSC_IiEEEEfNS9_4plusIvEEfEEDaPvRmT3_T4_T5_mT6_P12ihipStream_tbENKUlT_T0_E_clISt17integral_constantIbLb0EESV_IbLb1EEEEDaSR_SS_EUlSR_E_NS1_11comp_targetILNS1_3genE3ELNS1_11target_archE908ELNS1_3gpuE7ELNS1_3repE0EEENS1_30default_config_static_selectorELNS0_4arch9wavefront6targetE1EEEvT1_
; %bb.0:
	.section	.rodata,"a",@progbits
	.p2align	6, 0x0
	.amdhsa_kernel _ZN7rocprim17ROCPRIM_400000_NS6detail17trampoline_kernelINS0_14default_configENS1_20scan_config_selectorIfEEZZNS1_9scan_implILNS1_25lookback_scan_determinismE0ELb1ELb1ES3_N6thrust23THRUST_200600_302600_NS6detail15normal_iteratorINS9_10device_ptrIjEEEENSB_INSC_IiEEEEfNS9_4plusIvEEfEEDaPvRmT3_T4_T5_mT6_P12ihipStream_tbENKUlT_T0_E_clISt17integral_constantIbLb0EESV_IbLb1EEEEDaSR_SS_EUlSR_E_NS1_11comp_targetILNS1_3genE3ELNS1_11target_archE908ELNS1_3gpuE7ELNS1_3repE0EEENS1_30default_config_static_selectorELNS0_4arch9wavefront6targetE1EEEvT1_
		.amdhsa_group_segment_fixed_size 0
		.amdhsa_private_segment_fixed_size 0
		.amdhsa_kernarg_size 96
		.amdhsa_user_sgpr_count 6
		.amdhsa_user_sgpr_private_segment_buffer 1
		.amdhsa_user_sgpr_dispatch_ptr 0
		.amdhsa_user_sgpr_queue_ptr 0
		.amdhsa_user_sgpr_kernarg_segment_ptr 1
		.amdhsa_user_sgpr_dispatch_id 0
		.amdhsa_user_sgpr_flat_scratch_init 0
		.amdhsa_user_sgpr_kernarg_preload_length 0
		.amdhsa_user_sgpr_kernarg_preload_offset 0
		.amdhsa_user_sgpr_private_segment_size 0
		.amdhsa_uses_dynamic_stack 0
		.amdhsa_system_sgpr_private_segment_wavefront_offset 0
		.amdhsa_system_sgpr_workgroup_id_x 1
		.amdhsa_system_sgpr_workgroup_id_y 0
		.amdhsa_system_sgpr_workgroup_id_z 0
		.amdhsa_system_sgpr_workgroup_info 0
		.amdhsa_system_vgpr_workitem_id 0
		.amdhsa_next_free_vgpr 1
		.amdhsa_next_free_sgpr 0
		.amdhsa_accum_offset 4
		.amdhsa_reserve_vcc 0
		.amdhsa_reserve_flat_scratch 0
		.amdhsa_float_round_mode_32 0
		.amdhsa_float_round_mode_16_64 0
		.amdhsa_float_denorm_mode_32 3
		.amdhsa_float_denorm_mode_16_64 3
		.amdhsa_dx10_clamp 1
		.amdhsa_ieee_mode 1
		.amdhsa_fp16_overflow 0
		.amdhsa_tg_split 0
		.amdhsa_exception_fp_ieee_invalid_op 0
		.amdhsa_exception_fp_denorm_src 0
		.amdhsa_exception_fp_ieee_div_zero 0
		.amdhsa_exception_fp_ieee_overflow 0
		.amdhsa_exception_fp_ieee_underflow 0
		.amdhsa_exception_fp_ieee_inexact 0
		.amdhsa_exception_int_div_zero 0
	.end_amdhsa_kernel
	.section	.text._ZN7rocprim17ROCPRIM_400000_NS6detail17trampoline_kernelINS0_14default_configENS1_20scan_config_selectorIfEEZZNS1_9scan_implILNS1_25lookback_scan_determinismE0ELb1ELb1ES3_N6thrust23THRUST_200600_302600_NS6detail15normal_iteratorINS9_10device_ptrIjEEEENSB_INSC_IiEEEEfNS9_4plusIvEEfEEDaPvRmT3_T4_T5_mT6_P12ihipStream_tbENKUlT_T0_E_clISt17integral_constantIbLb0EESV_IbLb1EEEEDaSR_SS_EUlSR_E_NS1_11comp_targetILNS1_3genE3ELNS1_11target_archE908ELNS1_3gpuE7ELNS1_3repE0EEENS1_30default_config_static_selectorELNS0_4arch9wavefront6targetE1EEEvT1_,"axG",@progbits,_ZN7rocprim17ROCPRIM_400000_NS6detail17trampoline_kernelINS0_14default_configENS1_20scan_config_selectorIfEEZZNS1_9scan_implILNS1_25lookback_scan_determinismE0ELb1ELb1ES3_N6thrust23THRUST_200600_302600_NS6detail15normal_iteratorINS9_10device_ptrIjEEEENSB_INSC_IiEEEEfNS9_4plusIvEEfEEDaPvRmT3_T4_T5_mT6_P12ihipStream_tbENKUlT_T0_E_clISt17integral_constantIbLb0EESV_IbLb1EEEEDaSR_SS_EUlSR_E_NS1_11comp_targetILNS1_3genE3ELNS1_11target_archE908ELNS1_3gpuE7ELNS1_3repE0EEENS1_30default_config_static_selectorELNS0_4arch9wavefront6targetE1EEEvT1_,comdat
.Lfunc_end6361:
	.size	_ZN7rocprim17ROCPRIM_400000_NS6detail17trampoline_kernelINS0_14default_configENS1_20scan_config_selectorIfEEZZNS1_9scan_implILNS1_25lookback_scan_determinismE0ELb1ELb1ES3_N6thrust23THRUST_200600_302600_NS6detail15normal_iteratorINS9_10device_ptrIjEEEENSB_INSC_IiEEEEfNS9_4plusIvEEfEEDaPvRmT3_T4_T5_mT6_P12ihipStream_tbENKUlT_T0_E_clISt17integral_constantIbLb0EESV_IbLb1EEEEDaSR_SS_EUlSR_E_NS1_11comp_targetILNS1_3genE3ELNS1_11target_archE908ELNS1_3gpuE7ELNS1_3repE0EEENS1_30default_config_static_selectorELNS0_4arch9wavefront6targetE1EEEvT1_, .Lfunc_end6361-_ZN7rocprim17ROCPRIM_400000_NS6detail17trampoline_kernelINS0_14default_configENS1_20scan_config_selectorIfEEZZNS1_9scan_implILNS1_25lookback_scan_determinismE0ELb1ELb1ES3_N6thrust23THRUST_200600_302600_NS6detail15normal_iteratorINS9_10device_ptrIjEEEENSB_INSC_IiEEEEfNS9_4plusIvEEfEEDaPvRmT3_T4_T5_mT6_P12ihipStream_tbENKUlT_T0_E_clISt17integral_constantIbLb0EESV_IbLb1EEEEDaSR_SS_EUlSR_E_NS1_11comp_targetILNS1_3genE3ELNS1_11target_archE908ELNS1_3gpuE7ELNS1_3repE0EEENS1_30default_config_static_selectorELNS0_4arch9wavefront6targetE1EEEvT1_
                                        ; -- End function
	.section	.AMDGPU.csdata,"",@progbits
; Kernel info:
; codeLenInByte = 0
; NumSgprs: 4
; NumVgprs: 0
; NumAgprs: 0
; TotalNumVgprs: 0
; ScratchSize: 0
; MemoryBound: 0
; FloatMode: 240
; IeeeMode: 1
; LDSByteSize: 0 bytes/workgroup (compile time only)
; SGPRBlocks: 0
; VGPRBlocks: 0
; NumSGPRsForWavesPerEU: 4
; NumVGPRsForWavesPerEU: 1
; AccumOffset: 4
; Occupancy: 8
; WaveLimiterHint : 0
; COMPUTE_PGM_RSRC2:SCRATCH_EN: 0
; COMPUTE_PGM_RSRC2:USER_SGPR: 6
; COMPUTE_PGM_RSRC2:TRAP_HANDLER: 0
; COMPUTE_PGM_RSRC2:TGID_X_EN: 1
; COMPUTE_PGM_RSRC2:TGID_Y_EN: 0
; COMPUTE_PGM_RSRC2:TGID_Z_EN: 0
; COMPUTE_PGM_RSRC2:TIDIG_COMP_CNT: 0
; COMPUTE_PGM_RSRC3_GFX90A:ACCUM_OFFSET: 0
; COMPUTE_PGM_RSRC3_GFX90A:TG_SPLIT: 0
	.section	.text._ZN7rocprim17ROCPRIM_400000_NS6detail17trampoline_kernelINS0_14default_configENS1_20scan_config_selectorIfEEZZNS1_9scan_implILNS1_25lookback_scan_determinismE0ELb1ELb1ES3_N6thrust23THRUST_200600_302600_NS6detail15normal_iteratorINS9_10device_ptrIjEEEENSB_INSC_IiEEEEfNS9_4plusIvEEfEEDaPvRmT3_T4_T5_mT6_P12ihipStream_tbENKUlT_T0_E_clISt17integral_constantIbLb0EESV_IbLb1EEEEDaSR_SS_EUlSR_E_NS1_11comp_targetILNS1_3genE2ELNS1_11target_archE906ELNS1_3gpuE6ELNS1_3repE0EEENS1_30default_config_static_selectorELNS0_4arch9wavefront6targetE1EEEvT1_,"axG",@progbits,_ZN7rocprim17ROCPRIM_400000_NS6detail17trampoline_kernelINS0_14default_configENS1_20scan_config_selectorIfEEZZNS1_9scan_implILNS1_25lookback_scan_determinismE0ELb1ELb1ES3_N6thrust23THRUST_200600_302600_NS6detail15normal_iteratorINS9_10device_ptrIjEEEENSB_INSC_IiEEEEfNS9_4plusIvEEfEEDaPvRmT3_T4_T5_mT6_P12ihipStream_tbENKUlT_T0_E_clISt17integral_constantIbLb0EESV_IbLb1EEEEDaSR_SS_EUlSR_E_NS1_11comp_targetILNS1_3genE2ELNS1_11target_archE906ELNS1_3gpuE6ELNS1_3repE0EEENS1_30default_config_static_selectorELNS0_4arch9wavefront6targetE1EEEvT1_,comdat
	.protected	_ZN7rocprim17ROCPRIM_400000_NS6detail17trampoline_kernelINS0_14default_configENS1_20scan_config_selectorIfEEZZNS1_9scan_implILNS1_25lookback_scan_determinismE0ELb1ELb1ES3_N6thrust23THRUST_200600_302600_NS6detail15normal_iteratorINS9_10device_ptrIjEEEENSB_INSC_IiEEEEfNS9_4plusIvEEfEEDaPvRmT3_T4_T5_mT6_P12ihipStream_tbENKUlT_T0_E_clISt17integral_constantIbLb0EESV_IbLb1EEEEDaSR_SS_EUlSR_E_NS1_11comp_targetILNS1_3genE2ELNS1_11target_archE906ELNS1_3gpuE6ELNS1_3repE0EEENS1_30default_config_static_selectorELNS0_4arch9wavefront6targetE1EEEvT1_ ; -- Begin function _ZN7rocprim17ROCPRIM_400000_NS6detail17trampoline_kernelINS0_14default_configENS1_20scan_config_selectorIfEEZZNS1_9scan_implILNS1_25lookback_scan_determinismE0ELb1ELb1ES3_N6thrust23THRUST_200600_302600_NS6detail15normal_iteratorINS9_10device_ptrIjEEEENSB_INSC_IiEEEEfNS9_4plusIvEEfEEDaPvRmT3_T4_T5_mT6_P12ihipStream_tbENKUlT_T0_E_clISt17integral_constantIbLb0EESV_IbLb1EEEEDaSR_SS_EUlSR_E_NS1_11comp_targetILNS1_3genE2ELNS1_11target_archE906ELNS1_3gpuE6ELNS1_3repE0EEENS1_30default_config_static_selectorELNS0_4arch9wavefront6targetE1EEEvT1_
	.globl	_ZN7rocprim17ROCPRIM_400000_NS6detail17trampoline_kernelINS0_14default_configENS1_20scan_config_selectorIfEEZZNS1_9scan_implILNS1_25lookback_scan_determinismE0ELb1ELb1ES3_N6thrust23THRUST_200600_302600_NS6detail15normal_iteratorINS9_10device_ptrIjEEEENSB_INSC_IiEEEEfNS9_4plusIvEEfEEDaPvRmT3_T4_T5_mT6_P12ihipStream_tbENKUlT_T0_E_clISt17integral_constantIbLb0EESV_IbLb1EEEEDaSR_SS_EUlSR_E_NS1_11comp_targetILNS1_3genE2ELNS1_11target_archE906ELNS1_3gpuE6ELNS1_3repE0EEENS1_30default_config_static_selectorELNS0_4arch9wavefront6targetE1EEEvT1_
	.p2align	8
	.type	_ZN7rocprim17ROCPRIM_400000_NS6detail17trampoline_kernelINS0_14default_configENS1_20scan_config_selectorIfEEZZNS1_9scan_implILNS1_25lookback_scan_determinismE0ELb1ELb1ES3_N6thrust23THRUST_200600_302600_NS6detail15normal_iteratorINS9_10device_ptrIjEEEENSB_INSC_IiEEEEfNS9_4plusIvEEfEEDaPvRmT3_T4_T5_mT6_P12ihipStream_tbENKUlT_T0_E_clISt17integral_constantIbLb0EESV_IbLb1EEEEDaSR_SS_EUlSR_E_NS1_11comp_targetILNS1_3genE2ELNS1_11target_archE906ELNS1_3gpuE6ELNS1_3repE0EEENS1_30default_config_static_selectorELNS0_4arch9wavefront6targetE1EEEvT1_,@function
_ZN7rocprim17ROCPRIM_400000_NS6detail17trampoline_kernelINS0_14default_configENS1_20scan_config_selectorIfEEZZNS1_9scan_implILNS1_25lookback_scan_determinismE0ELb1ELb1ES3_N6thrust23THRUST_200600_302600_NS6detail15normal_iteratorINS9_10device_ptrIjEEEENSB_INSC_IiEEEEfNS9_4plusIvEEfEEDaPvRmT3_T4_T5_mT6_P12ihipStream_tbENKUlT_T0_E_clISt17integral_constantIbLb0EESV_IbLb1EEEEDaSR_SS_EUlSR_E_NS1_11comp_targetILNS1_3genE2ELNS1_11target_archE906ELNS1_3gpuE6ELNS1_3repE0EEENS1_30default_config_static_selectorELNS0_4arch9wavefront6targetE1EEEvT1_: ; @_ZN7rocprim17ROCPRIM_400000_NS6detail17trampoline_kernelINS0_14default_configENS1_20scan_config_selectorIfEEZZNS1_9scan_implILNS1_25lookback_scan_determinismE0ELb1ELb1ES3_N6thrust23THRUST_200600_302600_NS6detail15normal_iteratorINS9_10device_ptrIjEEEENSB_INSC_IiEEEEfNS9_4plusIvEEfEEDaPvRmT3_T4_T5_mT6_P12ihipStream_tbENKUlT_T0_E_clISt17integral_constantIbLb0EESV_IbLb1EEEEDaSR_SS_EUlSR_E_NS1_11comp_targetILNS1_3genE2ELNS1_11target_archE906ELNS1_3gpuE6ELNS1_3repE0EEENS1_30default_config_static_selectorELNS0_4arch9wavefront6targetE1EEEvT1_
; %bb.0:
	.section	.rodata,"a",@progbits
	.p2align	6, 0x0
	.amdhsa_kernel _ZN7rocprim17ROCPRIM_400000_NS6detail17trampoline_kernelINS0_14default_configENS1_20scan_config_selectorIfEEZZNS1_9scan_implILNS1_25lookback_scan_determinismE0ELb1ELb1ES3_N6thrust23THRUST_200600_302600_NS6detail15normal_iteratorINS9_10device_ptrIjEEEENSB_INSC_IiEEEEfNS9_4plusIvEEfEEDaPvRmT3_T4_T5_mT6_P12ihipStream_tbENKUlT_T0_E_clISt17integral_constantIbLb0EESV_IbLb1EEEEDaSR_SS_EUlSR_E_NS1_11comp_targetILNS1_3genE2ELNS1_11target_archE906ELNS1_3gpuE6ELNS1_3repE0EEENS1_30default_config_static_selectorELNS0_4arch9wavefront6targetE1EEEvT1_
		.amdhsa_group_segment_fixed_size 0
		.amdhsa_private_segment_fixed_size 0
		.amdhsa_kernarg_size 96
		.amdhsa_user_sgpr_count 6
		.amdhsa_user_sgpr_private_segment_buffer 1
		.amdhsa_user_sgpr_dispatch_ptr 0
		.amdhsa_user_sgpr_queue_ptr 0
		.amdhsa_user_sgpr_kernarg_segment_ptr 1
		.amdhsa_user_sgpr_dispatch_id 0
		.amdhsa_user_sgpr_flat_scratch_init 0
		.amdhsa_user_sgpr_kernarg_preload_length 0
		.amdhsa_user_sgpr_kernarg_preload_offset 0
		.amdhsa_user_sgpr_private_segment_size 0
		.amdhsa_uses_dynamic_stack 0
		.amdhsa_system_sgpr_private_segment_wavefront_offset 0
		.amdhsa_system_sgpr_workgroup_id_x 1
		.amdhsa_system_sgpr_workgroup_id_y 0
		.amdhsa_system_sgpr_workgroup_id_z 0
		.amdhsa_system_sgpr_workgroup_info 0
		.amdhsa_system_vgpr_workitem_id 0
		.amdhsa_next_free_vgpr 1
		.amdhsa_next_free_sgpr 0
		.amdhsa_accum_offset 4
		.amdhsa_reserve_vcc 0
		.amdhsa_reserve_flat_scratch 0
		.amdhsa_float_round_mode_32 0
		.amdhsa_float_round_mode_16_64 0
		.amdhsa_float_denorm_mode_32 3
		.amdhsa_float_denorm_mode_16_64 3
		.amdhsa_dx10_clamp 1
		.amdhsa_ieee_mode 1
		.amdhsa_fp16_overflow 0
		.amdhsa_tg_split 0
		.amdhsa_exception_fp_ieee_invalid_op 0
		.amdhsa_exception_fp_denorm_src 0
		.amdhsa_exception_fp_ieee_div_zero 0
		.amdhsa_exception_fp_ieee_overflow 0
		.amdhsa_exception_fp_ieee_underflow 0
		.amdhsa_exception_fp_ieee_inexact 0
		.amdhsa_exception_int_div_zero 0
	.end_amdhsa_kernel
	.section	.text._ZN7rocprim17ROCPRIM_400000_NS6detail17trampoline_kernelINS0_14default_configENS1_20scan_config_selectorIfEEZZNS1_9scan_implILNS1_25lookback_scan_determinismE0ELb1ELb1ES3_N6thrust23THRUST_200600_302600_NS6detail15normal_iteratorINS9_10device_ptrIjEEEENSB_INSC_IiEEEEfNS9_4plusIvEEfEEDaPvRmT3_T4_T5_mT6_P12ihipStream_tbENKUlT_T0_E_clISt17integral_constantIbLb0EESV_IbLb1EEEEDaSR_SS_EUlSR_E_NS1_11comp_targetILNS1_3genE2ELNS1_11target_archE906ELNS1_3gpuE6ELNS1_3repE0EEENS1_30default_config_static_selectorELNS0_4arch9wavefront6targetE1EEEvT1_,"axG",@progbits,_ZN7rocprim17ROCPRIM_400000_NS6detail17trampoline_kernelINS0_14default_configENS1_20scan_config_selectorIfEEZZNS1_9scan_implILNS1_25lookback_scan_determinismE0ELb1ELb1ES3_N6thrust23THRUST_200600_302600_NS6detail15normal_iteratorINS9_10device_ptrIjEEEENSB_INSC_IiEEEEfNS9_4plusIvEEfEEDaPvRmT3_T4_T5_mT6_P12ihipStream_tbENKUlT_T0_E_clISt17integral_constantIbLb0EESV_IbLb1EEEEDaSR_SS_EUlSR_E_NS1_11comp_targetILNS1_3genE2ELNS1_11target_archE906ELNS1_3gpuE6ELNS1_3repE0EEENS1_30default_config_static_selectorELNS0_4arch9wavefront6targetE1EEEvT1_,comdat
.Lfunc_end6362:
	.size	_ZN7rocprim17ROCPRIM_400000_NS6detail17trampoline_kernelINS0_14default_configENS1_20scan_config_selectorIfEEZZNS1_9scan_implILNS1_25lookback_scan_determinismE0ELb1ELb1ES3_N6thrust23THRUST_200600_302600_NS6detail15normal_iteratorINS9_10device_ptrIjEEEENSB_INSC_IiEEEEfNS9_4plusIvEEfEEDaPvRmT3_T4_T5_mT6_P12ihipStream_tbENKUlT_T0_E_clISt17integral_constantIbLb0EESV_IbLb1EEEEDaSR_SS_EUlSR_E_NS1_11comp_targetILNS1_3genE2ELNS1_11target_archE906ELNS1_3gpuE6ELNS1_3repE0EEENS1_30default_config_static_selectorELNS0_4arch9wavefront6targetE1EEEvT1_, .Lfunc_end6362-_ZN7rocprim17ROCPRIM_400000_NS6detail17trampoline_kernelINS0_14default_configENS1_20scan_config_selectorIfEEZZNS1_9scan_implILNS1_25lookback_scan_determinismE0ELb1ELb1ES3_N6thrust23THRUST_200600_302600_NS6detail15normal_iteratorINS9_10device_ptrIjEEEENSB_INSC_IiEEEEfNS9_4plusIvEEfEEDaPvRmT3_T4_T5_mT6_P12ihipStream_tbENKUlT_T0_E_clISt17integral_constantIbLb0EESV_IbLb1EEEEDaSR_SS_EUlSR_E_NS1_11comp_targetILNS1_3genE2ELNS1_11target_archE906ELNS1_3gpuE6ELNS1_3repE0EEENS1_30default_config_static_selectorELNS0_4arch9wavefront6targetE1EEEvT1_
                                        ; -- End function
	.section	.AMDGPU.csdata,"",@progbits
; Kernel info:
; codeLenInByte = 0
; NumSgprs: 4
; NumVgprs: 0
; NumAgprs: 0
; TotalNumVgprs: 0
; ScratchSize: 0
; MemoryBound: 0
; FloatMode: 240
; IeeeMode: 1
; LDSByteSize: 0 bytes/workgroup (compile time only)
; SGPRBlocks: 0
; VGPRBlocks: 0
; NumSGPRsForWavesPerEU: 4
; NumVGPRsForWavesPerEU: 1
; AccumOffset: 4
; Occupancy: 8
; WaveLimiterHint : 0
; COMPUTE_PGM_RSRC2:SCRATCH_EN: 0
; COMPUTE_PGM_RSRC2:USER_SGPR: 6
; COMPUTE_PGM_RSRC2:TRAP_HANDLER: 0
; COMPUTE_PGM_RSRC2:TGID_X_EN: 1
; COMPUTE_PGM_RSRC2:TGID_Y_EN: 0
; COMPUTE_PGM_RSRC2:TGID_Z_EN: 0
; COMPUTE_PGM_RSRC2:TIDIG_COMP_CNT: 0
; COMPUTE_PGM_RSRC3_GFX90A:ACCUM_OFFSET: 0
; COMPUTE_PGM_RSRC3_GFX90A:TG_SPLIT: 0
	.section	.text._ZN7rocprim17ROCPRIM_400000_NS6detail17trampoline_kernelINS0_14default_configENS1_20scan_config_selectorIfEEZZNS1_9scan_implILNS1_25lookback_scan_determinismE0ELb1ELb1ES3_N6thrust23THRUST_200600_302600_NS6detail15normal_iteratorINS9_10device_ptrIjEEEENSB_INSC_IiEEEEfNS9_4plusIvEEfEEDaPvRmT3_T4_T5_mT6_P12ihipStream_tbENKUlT_T0_E_clISt17integral_constantIbLb0EESV_IbLb1EEEEDaSR_SS_EUlSR_E_NS1_11comp_targetILNS1_3genE10ELNS1_11target_archE1201ELNS1_3gpuE5ELNS1_3repE0EEENS1_30default_config_static_selectorELNS0_4arch9wavefront6targetE1EEEvT1_,"axG",@progbits,_ZN7rocprim17ROCPRIM_400000_NS6detail17trampoline_kernelINS0_14default_configENS1_20scan_config_selectorIfEEZZNS1_9scan_implILNS1_25lookback_scan_determinismE0ELb1ELb1ES3_N6thrust23THRUST_200600_302600_NS6detail15normal_iteratorINS9_10device_ptrIjEEEENSB_INSC_IiEEEEfNS9_4plusIvEEfEEDaPvRmT3_T4_T5_mT6_P12ihipStream_tbENKUlT_T0_E_clISt17integral_constantIbLb0EESV_IbLb1EEEEDaSR_SS_EUlSR_E_NS1_11comp_targetILNS1_3genE10ELNS1_11target_archE1201ELNS1_3gpuE5ELNS1_3repE0EEENS1_30default_config_static_selectorELNS0_4arch9wavefront6targetE1EEEvT1_,comdat
	.protected	_ZN7rocprim17ROCPRIM_400000_NS6detail17trampoline_kernelINS0_14default_configENS1_20scan_config_selectorIfEEZZNS1_9scan_implILNS1_25lookback_scan_determinismE0ELb1ELb1ES3_N6thrust23THRUST_200600_302600_NS6detail15normal_iteratorINS9_10device_ptrIjEEEENSB_INSC_IiEEEEfNS9_4plusIvEEfEEDaPvRmT3_T4_T5_mT6_P12ihipStream_tbENKUlT_T0_E_clISt17integral_constantIbLb0EESV_IbLb1EEEEDaSR_SS_EUlSR_E_NS1_11comp_targetILNS1_3genE10ELNS1_11target_archE1201ELNS1_3gpuE5ELNS1_3repE0EEENS1_30default_config_static_selectorELNS0_4arch9wavefront6targetE1EEEvT1_ ; -- Begin function _ZN7rocprim17ROCPRIM_400000_NS6detail17trampoline_kernelINS0_14default_configENS1_20scan_config_selectorIfEEZZNS1_9scan_implILNS1_25lookback_scan_determinismE0ELb1ELb1ES3_N6thrust23THRUST_200600_302600_NS6detail15normal_iteratorINS9_10device_ptrIjEEEENSB_INSC_IiEEEEfNS9_4plusIvEEfEEDaPvRmT3_T4_T5_mT6_P12ihipStream_tbENKUlT_T0_E_clISt17integral_constantIbLb0EESV_IbLb1EEEEDaSR_SS_EUlSR_E_NS1_11comp_targetILNS1_3genE10ELNS1_11target_archE1201ELNS1_3gpuE5ELNS1_3repE0EEENS1_30default_config_static_selectorELNS0_4arch9wavefront6targetE1EEEvT1_
	.globl	_ZN7rocprim17ROCPRIM_400000_NS6detail17trampoline_kernelINS0_14default_configENS1_20scan_config_selectorIfEEZZNS1_9scan_implILNS1_25lookback_scan_determinismE0ELb1ELb1ES3_N6thrust23THRUST_200600_302600_NS6detail15normal_iteratorINS9_10device_ptrIjEEEENSB_INSC_IiEEEEfNS9_4plusIvEEfEEDaPvRmT3_T4_T5_mT6_P12ihipStream_tbENKUlT_T0_E_clISt17integral_constantIbLb0EESV_IbLb1EEEEDaSR_SS_EUlSR_E_NS1_11comp_targetILNS1_3genE10ELNS1_11target_archE1201ELNS1_3gpuE5ELNS1_3repE0EEENS1_30default_config_static_selectorELNS0_4arch9wavefront6targetE1EEEvT1_
	.p2align	8
	.type	_ZN7rocprim17ROCPRIM_400000_NS6detail17trampoline_kernelINS0_14default_configENS1_20scan_config_selectorIfEEZZNS1_9scan_implILNS1_25lookback_scan_determinismE0ELb1ELb1ES3_N6thrust23THRUST_200600_302600_NS6detail15normal_iteratorINS9_10device_ptrIjEEEENSB_INSC_IiEEEEfNS9_4plusIvEEfEEDaPvRmT3_T4_T5_mT6_P12ihipStream_tbENKUlT_T0_E_clISt17integral_constantIbLb0EESV_IbLb1EEEEDaSR_SS_EUlSR_E_NS1_11comp_targetILNS1_3genE10ELNS1_11target_archE1201ELNS1_3gpuE5ELNS1_3repE0EEENS1_30default_config_static_selectorELNS0_4arch9wavefront6targetE1EEEvT1_,@function
_ZN7rocprim17ROCPRIM_400000_NS6detail17trampoline_kernelINS0_14default_configENS1_20scan_config_selectorIfEEZZNS1_9scan_implILNS1_25lookback_scan_determinismE0ELb1ELb1ES3_N6thrust23THRUST_200600_302600_NS6detail15normal_iteratorINS9_10device_ptrIjEEEENSB_INSC_IiEEEEfNS9_4plusIvEEfEEDaPvRmT3_T4_T5_mT6_P12ihipStream_tbENKUlT_T0_E_clISt17integral_constantIbLb0EESV_IbLb1EEEEDaSR_SS_EUlSR_E_NS1_11comp_targetILNS1_3genE10ELNS1_11target_archE1201ELNS1_3gpuE5ELNS1_3repE0EEENS1_30default_config_static_selectorELNS0_4arch9wavefront6targetE1EEEvT1_: ; @_ZN7rocprim17ROCPRIM_400000_NS6detail17trampoline_kernelINS0_14default_configENS1_20scan_config_selectorIfEEZZNS1_9scan_implILNS1_25lookback_scan_determinismE0ELb1ELb1ES3_N6thrust23THRUST_200600_302600_NS6detail15normal_iteratorINS9_10device_ptrIjEEEENSB_INSC_IiEEEEfNS9_4plusIvEEfEEDaPvRmT3_T4_T5_mT6_P12ihipStream_tbENKUlT_T0_E_clISt17integral_constantIbLb0EESV_IbLb1EEEEDaSR_SS_EUlSR_E_NS1_11comp_targetILNS1_3genE10ELNS1_11target_archE1201ELNS1_3gpuE5ELNS1_3repE0EEENS1_30default_config_static_selectorELNS0_4arch9wavefront6targetE1EEEvT1_
; %bb.0:
	.section	.rodata,"a",@progbits
	.p2align	6, 0x0
	.amdhsa_kernel _ZN7rocprim17ROCPRIM_400000_NS6detail17trampoline_kernelINS0_14default_configENS1_20scan_config_selectorIfEEZZNS1_9scan_implILNS1_25lookback_scan_determinismE0ELb1ELb1ES3_N6thrust23THRUST_200600_302600_NS6detail15normal_iteratorINS9_10device_ptrIjEEEENSB_INSC_IiEEEEfNS9_4plusIvEEfEEDaPvRmT3_T4_T5_mT6_P12ihipStream_tbENKUlT_T0_E_clISt17integral_constantIbLb0EESV_IbLb1EEEEDaSR_SS_EUlSR_E_NS1_11comp_targetILNS1_3genE10ELNS1_11target_archE1201ELNS1_3gpuE5ELNS1_3repE0EEENS1_30default_config_static_selectorELNS0_4arch9wavefront6targetE1EEEvT1_
		.amdhsa_group_segment_fixed_size 0
		.amdhsa_private_segment_fixed_size 0
		.amdhsa_kernarg_size 96
		.amdhsa_user_sgpr_count 6
		.amdhsa_user_sgpr_private_segment_buffer 1
		.amdhsa_user_sgpr_dispatch_ptr 0
		.amdhsa_user_sgpr_queue_ptr 0
		.amdhsa_user_sgpr_kernarg_segment_ptr 1
		.amdhsa_user_sgpr_dispatch_id 0
		.amdhsa_user_sgpr_flat_scratch_init 0
		.amdhsa_user_sgpr_kernarg_preload_length 0
		.amdhsa_user_sgpr_kernarg_preload_offset 0
		.amdhsa_user_sgpr_private_segment_size 0
		.amdhsa_uses_dynamic_stack 0
		.amdhsa_system_sgpr_private_segment_wavefront_offset 0
		.amdhsa_system_sgpr_workgroup_id_x 1
		.amdhsa_system_sgpr_workgroup_id_y 0
		.amdhsa_system_sgpr_workgroup_id_z 0
		.amdhsa_system_sgpr_workgroup_info 0
		.amdhsa_system_vgpr_workitem_id 0
		.amdhsa_next_free_vgpr 1
		.amdhsa_next_free_sgpr 0
		.amdhsa_accum_offset 4
		.amdhsa_reserve_vcc 0
		.amdhsa_reserve_flat_scratch 0
		.amdhsa_float_round_mode_32 0
		.amdhsa_float_round_mode_16_64 0
		.amdhsa_float_denorm_mode_32 3
		.amdhsa_float_denorm_mode_16_64 3
		.amdhsa_dx10_clamp 1
		.amdhsa_ieee_mode 1
		.amdhsa_fp16_overflow 0
		.amdhsa_tg_split 0
		.amdhsa_exception_fp_ieee_invalid_op 0
		.amdhsa_exception_fp_denorm_src 0
		.amdhsa_exception_fp_ieee_div_zero 0
		.amdhsa_exception_fp_ieee_overflow 0
		.amdhsa_exception_fp_ieee_underflow 0
		.amdhsa_exception_fp_ieee_inexact 0
		.amdhsa_exception_int_div_zero 0
	.end_amdhsa_kernel
	.section	.text._ZN7rocprim17ROCPRIM_400000_NS6detail17trampoline_kernelINS0_14default_configENS1_20scan_config_selectorIfEEZZNS1_9scan_implILNS1_25lookback_scan_determinismE0ELb1ELb1ES3_N6thrust23THRUST_200600_302600_NS6detail15normal_iteratorINS9_10device_ptrIjEEEENSB_INSC_IiEEEEfNS9_4plusIvEEfEEDaPvRmT3_T4_T5_mT6_P12ihipStream_tbENKUlT_T0_E_clISt17integral_constantIbLb0EESV_IbLb1EEEEDaSR_SS_EUlSR_E_NS1_11comp_targetILNS1_3genE10ELNS1_11target_archE1201ELNS1_3gpuE5ELNS1_3repE0EEENS1_30default_config_static_selectorELNS0_4arch9wavefront6targetE1EEEvT1_,"axG",@progbits,_ZN7rocprim17ROCPRIM_400000_NS6detail17trampoline_kernelINS0_14default_configENS1_20scan_config_selectorIfEEZZNS1_9scan_implILNS1_25lookback_scan_determinismE0ELb1ELb1ES3_N6thrust23THRUST_200600_302600_NS6detail15normal_iteratorINS9_10device_ptrIjEEEENSB_INSC_IiEEEEfNS9_4plusIvEEfEEDaPvRmT3_T4_T5_mT6_P12ihipStream_tbENKUlT_T0_E_clISt17integral_constantIbLb0EESV_IbLb1EEEEDaSR_SS_EUlSR_E_NS1_11comp_targetILNS1_3genE10ELNS1_11target_archE1201ELNS1_3gpuE5ELNS1_3repE0EEENS1_30default_config_static_selectorELNS0_4arch9wavefront6targetE1EEEvT1_,comdat
.Lfunc_end6363:
	.size	_ZN7rocprim17ROCPRIM_400000_NS6detail17trampoline_kernelINS0_14default_configENS1_20scan_config_selectorIfEEZZNS1_9scan_implILNS1_25lookback_scan_determinismE0ELb1ELb1ES3_N6thrust23THRUST_200600_302600_NS6detail15normal_iteratorINS9_10device_ptrIjEEEENSB_INSC_IiEEEEfNS9_4plusIvEEfEEDaPvRmT3_T4_T5_mT6_P12ihipStream_tbENKUlT_T0_E_clISt17integral_constantIbLb0EESV_IbLb1EEEEDaSR_SS_EUlSR_E_NS1_11comp_targetILNS1_3genE10ELNS1_11target_archE1201ELNS1_3gpuE5ELNS1_3repE0EEENS1_30default_config_static_selectorELNS0_4arch9wavefront6targetE1EEEvT1_, .Lfunc_end6363-_ZN7rocprim17ROCPRIM_400000_NS6detail17trampoline_kernelINS0_14default_configENS1_20scan_config_selectorIfEEZZNS1_9scan_implILNS1_25lookback_scan_determinismE0ELb1ELb1ES3_N6thrust23THRUST_200600_302600_NS6detail15normal_iteratorINS9_10device_ptrIjEEEENSB_INSC_IiEEEEfNS9_4plusIvEEfEEDaPvRmT3_T4_T5_mT6_P12ihipStream_tbENKUlT_T0_E_clISt17integral_constantIbLb0EESV_IbLb1EEEEDaSR_SS_EUlSR_E_NS1_11comp_targetILNS1_3genE10ELNS1_11target_archE1201ELNS1_3gpuE5ELNS1_3repE0EEENS1_30default_config_static_selectorELNS0_4arch9wavefront6targetE1EEEvT1_
                                        ; -- End function
	.section	.AMDGPU.csdata,"",@progbits
; Kernel info:
; codeLenInByte = 0
; NumSgprs: 4
; NumVgprs: 0
; NumAgprs: 0
; TotalNumVgprs: 0
; ScratchSize: 0
; MemoryBound: 0
; FloatMode: 240
; IeeeMode: 1
; LDSByteSize: 0 bytes/workgroup (compile time only)
; SGPRBlocks: 0
; VGPRBlocks: 0
; NumSGPRsForWavesPerEU: 4
; NumVGPRsForWavesPerEU: 1
; AccumOffset: 4
; Occupancy: 8
; WaveLimiterHint : 0
; COMPUTE_PGM_RSRC2:SCRATCH_EN: 0
; COMPUTE_PGM_RSRC2:USER_SGPR: 6
; COMPUTE_PGM_RSRC2:TRAP_HANDLER: 0
; COMPUTE_PGM_RSRC2:TGID_X_EN: 1
; COMPUTE_PGM_RSRC2:TGID_Y_EN: 0
; COMPUTE_PGM_RSRC2:TGID_Z_EN: 0
; COMPUTE_PGM_RSRC2:TIDIG_COMP_CNT: 0
; COMPUTE_PGM_RSRC3_GFX90A:ACCUM_OFFSET: 0
; COMPUTE_PGM_RSRC3_GFX90A:TG_SPLIT: 0
	.section	.text._ZN7rocprim17ROCPRIM_400000_NS6detail17trampoline_kernelINS0_14default_configENS1_20scan_config_selectorIfEEZZNS1_9scan_implILNS1_25lookback_scan_determinismE0ELb1ELb1ES3_N6thrust23THRUST_200600_302600_NS6detail15normal_iteratorINS9_10device_ptrIjEEEENSB_INSC_IiEEEEfNS9_4plusIvEEfEEDaPvRmT3_T4_T5_mT6_P12ihipStream_tbENKUlT_T0_E_clISt17integral_constantIbLb0EESV_IbLb1EEEEDaSR_SS_EUlSR_E_NS1_11comp_targetILNS1_3genE10ELNS1_11target_archE1200ELNS1_3gpuE4ELNS1_3repE0EEENS1_30default_config_static_selectorELNS0_4arch9wavefront6targetE1EEEvT1_,"axG",@progbits,_ZN7rocprim17ROCPRIM_400000_NS6detail17trampoline_kernelINS0_14default_configENS1_20scan_config_selectorIfEEZZNS1_9scan_implILNS1_25lookback_scan_determinismE0ELb1ELb1ES3_N6thrust23THRUST_200600_302600_NS6detail15normal_iteratorINS9_10device_ptrIjEEEENSB_INSC_IiEEEEfNS9_4plusIvEEfEEDaPvRmT3_T4_T5_mT6_P12ihipStream_tbENKUlT_T0_E_clISt17integral_constantIbLb0EESV_IbLb1EEEEDaSR_SS_EUlSR_E_NS1_11comp_targetILNS1_3genE10ELNS1_11target_archE1200ELNS1_3gpuE4ELNS1_3repE0EEENS1_30default_config_static_selectorELNS0_4arch9wavefront6targetE1EEEvT1_,comdat
	.protected	_ZN7rocprim17ROCPRIM_400000_NS6detail17trampoline_kernelINS0_14default_configENS1_20scan_config_selectorIfEEZZNS1_9scan_implILNS1_25lookback_scan_determinismE0ELb1ELb1ES3_N6thrust23THRUST_200600_302600_NS6detail15normal_iteratorINS9_10device_ptrIjEEEENSB_INSC_IiEEEEfNS9_4plusIvEEfEEDaPvRmT3_T4_T5_mT6_P12ihipStream_tbENKUlT_T0_E_clISt17integral_constantIbLb0EESV_IbLb1EEEEDaSR_SS_EUlSR_E_NS1_11comp_targetILNS1_3genE10ELNS1_11target_archE1200ELNS1_3gpuE4ELNS1_3repE0EEENS1_30default_config_static_selectorELNS0_4arch9wavefront6targetE1EEEvT1_ ; -- Begin function _ZN7rocprim17ROCPRIM_400000_NS6detail17trampoline_kernelINS0_14default_configENS1_20scan_config_selectorIfEEZZNS1_9scan_implILNS1_25lookback_scan_determinismE0ELb1ELb1ES3_N6thrust23THRUST_200600_302600_NS6detail15normal_iteratorINS9_10device_ptrIjEEEENSB_INSC_IiEEEEfNS9_4plusIvEEfEEDaPvRmT3_T4_T5_mT6_P12ihipStream_tbENKUlT_T0_E_clISt17integral_constantIbLb0EESV_IbLb1EEEEDaSR_SS_EUlSR_E_NS1_11comp_targetILNS1_3genE10ELNS1_11target_archE1200ELNS1_3gpuE4ELNS1_3repE0EEENS1_30default_config_static_selectorELNS0_4arch9wavefront6targetE1EEEvT1_
	.globl	_ZN7rocprim17ROCPRIM_400000_NS6detail17trampoline_kernelINS0_14default_configENS1_20scan_config_selectorIfEEZZNS1_9scan_implILNS1_25lookback_scan_determinismE0ELb1ELb1ES3_N6thrust23THRUST_200600_302600_NS6detail15normal_iteratorINS9_10device_ptrIjEEEENSB_INSC_IiEEEEfNS9_4plusIvEEfEEDaPvRmT3_T4_T5_mT6_P12ihipStream_tbENKUlT_T0_E_clISt17integral_constantIbLb0EESV_IbLb1EEEEDaSR_SS_EUlSR_E_NS1_11comp_targetILNS1_3genE10ELNS1_11target_archE1200ELNS1_3gpuE4ELNS1_3repE0EEENS1_30default_config_static_selectorELNS0_4arch9wavefront6targetE1EEEvT1_
	.p2align	8
	.type	_ZN7rocprim17ROCPRIM_400000_NS6detail17trampoline_kernelINS0_14default_configENS1_20scan_config_selectorIfEEZZNS1_9scan_implILNS1_25lookback_scan_determinismE0ELb1ELb1ES3_N6thrust23THRUST_200600_302600_NS6detail15normal_iteratorINS9_10device_ptrIjEEEENSB_INSC_IiEEEEfNS9_4plusIvEEfEEDaPvRmT3_T4_T5_mT6_P12ihipStream_tbENKUlT_T0_E_clISt17integral_constantIbLb0EESV_IbLb1EEEEDaSR_SS_EUlSR_E_NS1_11comp_targetILNS1_3genE10ELNS1_11target_archE1200ELNS1_3gpuE4ELNS1_3repE0EEENS1_30default_config_static_selectorELNS0_4arch9wavefront6targetE1EEEvT1_,@function
_ZN7rocprim17ROCPRIM_400000_NS6detail17trampoline_kernelINS0_14default_configENS1_20scan_config_selectorIfEEZZNS1_9scan_implILNS1_25lookback_scan_determinismE0ELb1ELb1ES3_N6thrust23THRUST_200600_302600_NS6detail15normal_iteratorINS9_10device_ptrIjEEEENSB_INSC_IiEEEEfNS9_4plusIvEEfEEDaPvRmT3_T4_T5_mT6_P12ihipStream_tbENKUlT_T0_E_clISt17integral_constantIbLb0EESV_IbLb1EEEEDaSR_SS_EUlSR_E_NS1_11comp_targetILNS1_3genE10ELNS1_11target_archE1200ELNS1_3gpuE4ELNS1_3repE0EEENS1_30default_config_static_selectorELNS0_4arch9wavefront6targetE1EEEvT1_: ; @_ZN7rocprim17ROCPRIM_400000_NS6detail17trampoline_kernelINS0_14default_configENS1_20scan_config_selectorIfEEZZNS1_9scan_implILNS1_25lookback_scan_determinismE0ELb1ELb1ES3_N6thrust23THRUST_200600_302600_NS6detail15normal_iteratorINS9_10device_ptrIjEEEENSB_INSC_IiEEEEfNS9_4plusIvEEfEEDaPvRmT3_T4_T5_mT6_P12ihipStream_tbENKUlT_T0_E_clISt17integral_constantIbLb0EESV_IbLb1EEEEDaSR_SS_EUlSR_E_NS1_11comp_targetILNS1_3genE10ELNS1_11target_archE1200ELNS1_3gpuE4ELNS1_3repE0EEENS1_30default_config_static_selectorELNS0_4arch9wavefront6targetE1EEEvT1_
; %bb.0:
	.section	.rodata,"a",@progbits
	.p2align	6, 0x0
	.amdhsa_kernel _ZN7rocprim17ROCPRIM_400000_NS6detail17trampoline_kernelINS0_14default_configENS1_20scan_config_selectorIfEEZZNS1_9scan_implILNS1_25lookback_scan_determinismE0ELb1ELb1ES3_N6thrust23THRUST_200600_302600_NS6detail15normal_iteratorINS9_10device_ptrIjEEEENSB_INSC_IiEEEEfNS9_4plusIvEEfEEDaPvRmT3_T4_T5_mT6_P12ihipStream_tbENKUlT_T0_E_clISt17integral_constantIbLb0EESV_IbLb1EEEEDaSR_SS_EUlSR_E_NS1_11comp_targetILNS1_3genE10ELNS1_11target_archE1200ELNS1_3gpuE4ELNS1_3repE0EEENS1_30default_config_static_selectorELNS0_4arch9wavefront6targetE1EEEvT1_
		.amdhsa_group_segment_fixed_size 0
		.amdhsa_private_segment_fixed_size 0
		.amdhsa_kernarg_size 96
		.amdhsa_user_sgpr_count 6
		.amdhsa_user_sgpr_private_segment_buffer 1
		.amdhsa_user_sgpr_dispatch_ptr 0
		.amdhsa_user_sgpr_queue_ptr 0
		.amdhsa_user_sgpr_kernarg_segment_ptr 1
		.amdhsa_user_sgpr_dispatch_id 0
		.amdhsa_user_sgpr_flat_scratch_init 0
		.amdhsa_user_sgpr_kernarg_preload_length 0
		.amdhsa_user_sgpr_kernarg_preload_offset 0
		.amdhsa_user_sgpr_private_segment_size 0
		.amdhsa_uses_dynamic_stack 0
		.amdhsa_system_sgpr_private_segment_wavefront_offset 0
		.amdhsa_system_sgpr_workgroup_id_x 1
		.amdhsa_system_sgpr_workgroup_id_y 0
		.amdhsa_system_sgpr_workgroup_id_z 0
		.amdhsa_system_sgpr_workgroup_info 0
		.amdhsa_system_vgpr_workitem_id 0
		.amdhsa_next_free_vgpr 1
		.amdhsa_next_free_sgpr 0
		.amdhsa_accum_offset 4
		.amdhsa_reserve_vcc 0
		.amdhsa_reserve_flat_scratch 0
		.amdhsa_float_round_mode_32 0
		.amdhsa_float_round_mode_16_64 0
		.amdhsa_float_denorm_mode_32 3
		.amdhsa_float_denorm_mode_16_64 3
		.amdhsa_dx10_clamp 1
		.amdhsa_ieee_mode 1
		.amdhsa_fp16_overflow 0
		.amdhsa_tg_split 0
		.amdhsa_exception_fp_ieee_invalid_op 0
		.amdhsa_exception_fp_denorm_src 0
		.amdhsa_exception_fp_ieee_div_zero 0
		.amdhsa_exception_fp_ieee_overflow 0
		.amdhsa_exception_fp_ieee_underflow 0
		.amdhsa_exception_fp_ieee_inexact 0
		.amdhsa_exception_int_div_zero 0
	.end_amdhsa_kernel
	.section	.text._ZN7rocprim17ROCPRIM_400000_NS6detail17trampoline_kernelINS0_14default_configENS1_20scan_config_selectorIfEEZZNS1_9scan_implILNS1_25lookback_scan_determinismE0ELb1ELb1ES3_N6thrust23THRUST_200600_302600_NS6detail15normal_iteratorINS9_10device_ptrIjEEEENSB_INSC_IiEEEEfNS9_4plusIvEEfEEDaPvRmT3_T4_T5_mT6_P12ihipStream_tbENKUlT_T0_E_clISt17integral_constantIbLb0EESV_IbLb1EEEEDaSR_SS_EUlSR_E_NS1_11comp_targetILNS1_3genE10ELNS1_11target_archE1200ELNS1_3gpuE4ELNS1_3repE0EEENS1_30default_config_static_selectorELNS0_4arch9wavefront6targetE1EEEvT1_,"axG",@progbits,_ZN7rocprim17ROCPRIM_400000_NS6detail17trampoline_kernelINS0_14default_configENS1_20scan_config_selectorIfEEZZNS1_9scan_implILNS1_25lookback_scan_determinismE0ELb1ELb1ES3_N6thrust23THRUST_200600_302600_NS6detail15normal_iteratorINS9_10device_ptrIjEEEENSB_INSC_IiEEEEfNS9_4plusIvEEfEEDaPvRmT3_T4_T5_mT6_P12ihipStream_tbENKUlT_T0_E_clISt17integral_constantIbLb0EESV_IbLb1EEEEDaSR_SS_EUlSR_E_NS1_11comp_targetILNS1_3genE10ELNS1_11target_archE1200ELNS1_3gpuE4ELNS1_3repE0EEENS1_30default_config_static_selectorELNS0_4arch9wavefront6targetE1EEEvT1_,comdat
.Lfunc_end6364:
	.size	_ZN7rocprim17ROCPRIM_400000_NS6detail17trampoline_kernelINS0_14default_configENS1_20scan_config_selectorIfEEZZNS1_9scan_implILNS1_25lookback_scan_determinismE0ELb1ELb1ES3_N6thrust23THRUST_200600_302600_NS6detail15normal_iteratorINS9_10device_ptrIjEEEENSB_INSC_IiEEEEfNS9_4plusIvEEfEEDaPvRmT3_T4_T5_mT6_P12ihipStream_tbENKUlT_T0_E_clISt17integral_constantIbLb0EESV_IbLb1EEEEDaSR_SS_EUlSR_E_NS1_11comp_targetILNS1_3genE10ELNS1_11target_archE1200ELNS1_3gpuE4ELNS1_3repE0EEENS1_30default_config_static_selectorELNS0_4arch9wavefront6targetE1EEEvT1_, .Lfunc_end6364-_ZN7rocprim17ROCPRIM_400000_NS6detail17trampoline_kernelINS0_14default_configENS1_20scan_config_selectorIfEEZZNS1_9scan_implILNS1_25lookback_scan_determinismE0ELb1ELb1ES3_N6thrust23THRUST_200600_302600_NS6detail15normal_iteratorINS9_10device_ptrIjEEEENSB_INSC_IiEEEEfNS9_4plusIvEEfEEDaPvRmT3_T4_T5_mT6_P12ihipStream_tbENKUlT_T0_E_clISt17integral_constantIbLb0EESV_IbLb1EEEEDaSR_SS_EUlSR_E_NS1_11comp_targetILNS1_3genE10ELNS1_11target_archE1200ELNS1_3gpuE4ELNS1_3repE0EEENS1_30default_config_static_selectorELNS0_4arch9wavefront6targetE1EEEvT1_
                                        ; -- End function
	.section	.AMDGPU.csdata,"",@progbits
; Kernel info:
; codeLenInByte = 0
; NumSgprs: 4
; NumVgprs: 0
; NumAgprs: 0
; TotalNumVgprs: 0
; ScratchSize: 0
; MemoryBound: 0
; FloatMode: 240
; IeeeMode: 1
; LDSByteSize: 0 bytes/workgroup (compile time only)
; SGPRBlocks: 0
; VGPRBlocks: 0
; NumSGPRsForWavesPerEU: 4
; NumVGPRsForWavesPerEU: 1
; AccumOffset: 4
; Occupancy: 8
; WaveLimiterHint : 0
; COMPUTE_PGM_RSRC2:SCRATCH_EN: 0
; COMPUTE_PGM_RSRC2:USER_SGPR: 6
; COMPUTE_PGM_RSRC2:TRAP_HANDLER: 0
; COMPUTE_PGM_RSRC2:TGID_X_EN: 1
; COMPUTE_PGM_RSRC2:TGID_Y_EN: 0
; COMPUTE_PGM_RSRC2:TGID_Z_EN: 0
; COMPUTE_PGM_RSRC2:TIDIG_COMP_CNT: 0
; COMPUTE_PGM_RSRC3_GFX90A:ACCUM_OFFSET: 0
; COMPUTE_PGM_RSRC3_GFX90A:TG_SPLIT: 0
	.section	.text._ZN7rocprim17ROCPRIM_400000_NS6detail17trampoline_kernelINS0_14default_configENS1_20scan_config_selectorIfEEZZNS1_9scan_implILNS1_25lookback_scan_determinismE0ELb1ELb1ES3_N6thrust23THRUST_200600_302600_NS6detail15normal_iteratorINS9_10device_ptrIjEEEENSB_INSC_IiEEEEfNS9_4plusIvEEfEEDaPvRmT3_T4_T5_mT6_P12ihipStream_tbENKUlT_T0_E_clISt17integral_constantIbLb0EESV_IbLb1EEEEDaSR_SS_EUlSR_E_NS1_11comp_targetILNS1_3genE9ELNS1_11target_archE1100ELNS1_3gpuE3ELNS1_3repE0EEENS1_30default_config_static_selectorELNS0_4arch9wavefront6targetE1EEEvT1_,"axG",@progbits,_ZN7rocprim17ROCPRIM_400000_NS6detail17trampoline_kernelINS0_14default_configENS1_20scan_config_selectorIfEEZZNS1_9scan_implILNS1_25lookback_scan_determinismE0ELb1ELb1ES3_N6thrust23THRUST_200600_302600_NS6detail15normal_iteratorINS9_10device_ptrIjEEEENSB_INSC_IiEEEEfNS9_4plusIvEEfEEDaPvRmT3_T4_T5_mT6_P12ihipStream_tbENKUlT_T0_E_clISt17integral_constantIbLb0EESV_IbLb1EEEEDaSR_SS_EUlSR_E_NS1_11comp_targetILNS1_3genE9ELNS1_11target_archE1100ELNS1_3gpuE3ELNS1_3repE0EEENS1_30default_config_static_selectorELNS0_4arch9wavefront6targetE1EEEvT1_,comdat
	.protected	_ZN7rocprim17ROCPRIM_400000_NS6detail17trampoline_kernelINS0_14default_configENS1_20scan_config_selectorIfEEZZNS1_9scan_implILNS1_25lookback_scan_determinismE0ELb1ELb1ES3_N6thrust23THRUST_200600_302600_NS6detail15normal_iteratorINS9_10device_ptrIjEEEENSB_INSC_IiEEEEfNS9_4plusIvEEfEEDaPvRmT3_T4_T5_mT6_P12ihipStream_tbENKUlT_T0_E_clISt17integral_constantIbLb0EESV_IbLb1EEEEDaSR_SS_EUlSR_E_NS1_11comp_targetILNS1_3genE9ELNS1_11target_archE1100ELNS1_3gpuE3ELNS1_3repE0EEENS1_30default_config_static_selectorELNS0_4arch9wavefront6targetE1EEEvT1_ ; -- Begin function _ZN7rocprim17ROCPRIM_400000_NS6detail17trampoline_kernelINS0_14default_configENS1_20scan_config_selectorIfEEZZNS1_9scan_implILNS1_25lookback_scan_determinismE0ELb1ELb1ES3_N6thrust23THRUST_200600_302600_NS6detail15normal_iteratorINS9_10device_ptrIjEEEENSB_INSC_IiEEEEfNS9_4plusIvEEfEEDaPvRmT3_T4_T5_mT6_P12ihipStream_tbENKUlT_T0_E_clISt17integral_constantIbLb0EESV_IbLb1EEEEDaSR_SS_EUlSR_E_NS1_11comp_targetILNS1_3genE9ELNS1_11target_archE1100ELNS1_3gpuE3ELNS1_3repE0EEENS1_30default_config_static_selectorELNS0_4arch9wavefront6targetE1EEEvT1_
	.globl	_ZN7rocprim17ROCPRIM_400000_NS6detail17trampoline_kernelINS0_14default_configENS1_20scan_config_selectorIfEEZZNS1_9scan_implILNS1_25lookback_scan_determinismE0ELb1ELb1ES3_N6thrust23THRUST_200600_302600_NS6detail15normal_iteratorINS9_10device_ptrIjEEEENSB_INSC_IiEEEEfNS9_4plusIvEEfEEDaPvRmT3_T4_T5_mT6_P12ihipStream_tbENKUlT_T0_E_clISt17integral_constantIbLb0EESV_IbLb1EEEEDaSR_SS_EUlSR_E_NS1_11comp_targetILNS1_3genE9ELNS1_11target_archE1100ELNS1_3gpuE3ELNS1_3repE0EEENS1_30default_config_static_selectorELNS0_4arch9wavefront6targetE1EEEvT1_
	.p2align	8
	.type	_ZN7rocprim17ROCPRIM_400000_NS6detail17trampoline_kernelINS0_14default_configENS1_20scan_config_selectorIfEEZZNS1_9scan_implILNS1_25lookback_scan_determinismE0ELb1ELb1ES3_N6thrust23THRUST_200600_302600_NS6detail15normal_iteratorINS9_10device_ptrIjEEEENSB_INSC_IiEEEEfNS9_4plusIvEEfEEDaPvRmT3_T4_T5_mT6_P12ihipStream_tbENKUlT_T0_E_clISt17integral_constantIbLb0EESV_IbLb1EEEEDaSR_SS_EUlSR_E_NS1_11comp_targetILNS1_3genE9ELNS1_11target_archE1100ELNS1_3gpuE3ELNS1_3repE0EEENS1_30default_config_static_selectorELNS0_4arch9wavefront6targetE1EEEvT1_,@function
_ZN7rocprim17ROCPRIM_400000_NS6detail17trampoline_kernelINS0_14default_configENS1_20scan_config_selectorIfEEZZNS1_9scan_implILNS1_25lookback_scan_determinismE0ELb1ELb1ES3_N6thrust23THRUST_200600_302600_NS6detail15normal_iteratorINS9_10device_ptrIjEEEENSB_INSC_IiEEEEfNS9_4plusIvEEfEEDaPvRmT3_T4_T5_mT6_P12ihipStream_tbENKUlT_T0_E_clISt17integral_constantIbLb0EESV_IbLb1EEEEDaSR_SS_EUlSR_E_NS1_11comp_targetILNS1_3genE9ELNS1_11target_archE1100ELNS1_3gpuE3ELNS1_3repE0EEENS1_30default_config_static_selectorELNS0_4arch9wavefront6targetE1EEEvT1_: ; @_ZN7rocprim17ROCPRIM_400000_NS6detail17trampoline_kernelINS0_14default_configENS1_20scan_config_selectorIfEEZZNS1_9scan_implILNS1_25lookback_scan_determinismE0ELb1ELb1ES3_N6thrust23THRUST_200600_302600_NS6detail15normal_iteratorINS9_10device_ptrIjEEEENSB_INSC_IiEEEEfNS9_4plusIvEEfEEDaPvRmT3_T4_T5_mT6_P12ihipStream_tbENKUlT_T0_E_clISt17integral_constantIbLb0EESV_IbLb1EEEEDaSR_SS_EUlSR_E_NS1_11comp_targetILNS1_3genE9ELNS1_11target_archE1100ELNS1_3gpuE3ELNS1_3repE0EEENS1_30default_config_static_selectorELNS0_4arch9wavefront6targetE1EEEvT1_
; %bb.0:
	.section	.rodata,"a",@progbits
	.p2align	6, 0x0
	.amdhsa_kernel _ZN7rocprim17ROCPRIM_400000_NS6detail17trampoline_kernelINS0_14default_configENS1_20scan_config_selectorIfEEZZNS1_9scan_implILNS1_25lookback_scan_determinismE0ELb1ELb1ES3_N6thrust23THRUST_200600_302600_NS6detail15normal_iteratorINS9_10device_ptrIjEEEENSB_INSC_IiEEEEfNS9_4plusIvEEfEEDaPvRmT3_T4_T5_mT6_P12ihipStream_tbENKUlT_T0_E_clISt17integral_constantIbLb0EESV_IbLb1EEEEDaSR_SS_EUlSR_E_NS1_11comp_targetILNS1_3genE9ELNS1_11target_archE1100ELNS1_3gpuE3ELNS1_3repE0EEENS1_30default_config_static_selectorELNS0_4arch9wavefront6targetE1EEEvT1_
		.amdhsa_group_segment_fixed_size 0
		.amdhsa_private_segment_fixed_size 0
		.amdhsa_kernarg_size 96
		.amdhsa_user_sgpr_count 6
		.amdhsa_user_sgpr_private_segment_buffer 1
		.amdhsa_user_sgpr_dispatch_ptr 0
		.amdhsa_user_sgpr_queue_ptr 0
		.amdhsa_user_sgpr_kernarg_segment_ptr 1
		.amdhsa_user_sgpr_dispatch_id 0
		.amdhsa_user_sgpr_flat_scratch_init 0
		.amdhsa_user_sgpr_kernarg_preload_length 0
		.amdhsa_user_sgpr_kernarg_preload_offset 0
		.amdhsa_user_sgpr_private_segment_size 0
		.amdhsa_uses_dynamic_stack 0
		.amdhsa_system_sgpr_private_segment_wavefront_offset 0
		.amdhsa_system_sgpr_workgroup_id_x 1
		.amdhsa_system_sgpr_workgroup_id_y 0
		.amdhsa_system_sgpr_workgroup_id_z 0
		.amdhsa_system_sgpr_workgroup_info 0
		.amdhsa_system_vgpr_workitem_id 0
		.amdhsa_next_free_vgpr 1
		.amdhsa_next_free_sgpr 0
		.amdhsa_accum_offset 4
		.amdhsa_reserve_vcc 0
		.amdhsa_reserve_flat_scratch 0
		.amdhsa_float_round_mode_32 0
		.amdhsa_float_round_mode_16_64 0
		.amdhsa_float_denorm_mode_32 3
		.amdhsa_float_denorm_mode_16_64 3
		.amdhsa_dx10_clamp 1
		.amdhsa_ieee_mode 1
		.amdhsa_fp16_overflow 0
		.amdhsa_tg_split 0
		.amdhsa_exception_fp_ieee_invalid_op 0
		.amdhsa_exception_fp_denorm_src 0
		.amdhsa_exception_fp_ieee_div_zero 0
		.amdhsa_exception_fp_ieee_overflow 0
		.amdhsa_exception_fp_ieee_underflow 0
		.amdhsa_exception_fp_ieee_inexact 0
		.amdhsa_exception_int_div_zero 0
	.end_amdhsa_kernel
	.section	.text._ZN7rocprim17ROCPRIM_400000_NS6detail17trampoline_kernelINS0_14default_configENS1_20scan_config_selectorIfEEZZNS1_9scan_implILNS1_25lookback_scan_determinismE0ELb1ELb1ES3_N6thrust23THRUST_200600_302600_NS6detail15normal_iteratorINS9_10device_ptrIjEEEENSB_INSC_IiEEEEfNS9_4plusIvEEfEEDaPvRmT3_T4_T5_mT6_P12ihipStream_tbENKUlT_T0_E_clISt17integral_constantIbLb0EESV_IbLb1EEEEDaSR_SS_EUlSR_E_NS1_11comp_targetILNS1_3genE9ELNS1_11target_archE1100ELNS1_3gpuE3ELNS1_3repE0EEENS1_30default_config_static_selectorELNS0_4arch9wavefront6targetE1EEEvT1_,"axG",@progbits,_ZN7rocprim17ROCPRIM_400000_NS6detail17trampoline_kernelINS0_14default_configENS1_20scan_config_selectorIfEEZZNS1_9scan_implILNS1_25lookback_scan_determinismE0ELb1ELb1ES3_N6thrust23THRUST_200600_302600_NS6detail15normal_iteratorINS9_10device_ptrIjEEEENSB_INSC_IiEEEEfNS9_4plusIvEEfEEDaPvRmT3_T4_T5_mT6_P12ihipStream_tbENKUlT_T0_E_clISt17integral_constantIbLb0EESV_IbLb1EEEEDaSR_SS_EUlSR_E_NS1_11comp_targetILNS1_3genE9ELNS1_11target_archE1100ELNS1_3gpuE3ELNS1_3repE0EEENS1_30default_config_static_selectorELNS0_4arch9wavefront6targetE1EEEvT1_,comdat
.Lfunc_end6365:
	.size	_ZN7rocprim17ROCPRIM_400000_NS6detail17trampoline_kernelINS0_14default_configENS1_20scan_config_selectorIfEEZZNS1_9scan_implILNS1_25lookback_scan_determinismE0ELb1ELb1ES3_N6thrust23THRUST_200600_302600_NS6detail15normal_iteratorINS9_10device_ptrIjEEEENSB_INSC_IiEEEEfNS9_4plusIvEEfEEDaPvRmT3_T4_T5_mT6_P12ihipStream_tbENKUlT_T0_E_clISt17integral_constantIbLb0EESV_IbLb1EEEEDaSR_SS_EUlSR_E_NS1_11comp_targetILNS1_3genE9ELNS1_11target_archE1100ELNS1_3gpuE3ELNS1_3repE0EEENS1_30default_config_static_selectorELNS0_4arch9wavefront6targetE1EEEvT1_, .Lfunc_end6365-_ZN7rocprim17ROCPRIM_400000_NS6detail17trampoline_kernelINS0_14default_configENS1_20scan_config_selectorIfEEZZNS1_9scan_implILNS1_25lookback_scan_determinismE0ELb1ELb1ES3_N6thrust23THRUST_200600_302600_NS6detail15normal_iteratorINS9_10device_ptrIjEEEENSB_INSC_IiEEEEfNS9_4plusIvEEfEEDaPvRmT3_T4_T5_mT6_P12ihipStream_tbENKUlT_T0_E_clISt17integral_constantIbLb0EESV_IbLb1EEEEDaSR_SS_EUlSR_E_NS1_11comp_targetILNS1_3genE9ELNS1_11target_archE1100ELNS1_3gpuE3ELNS1_3repE0EEENS1_30default_config_static_selectorELNS0_4arch9wavefront6targetE1EEEvT1_
                                        ; -- End function
	.section	.AMDGPU.csdata,"",@progbits
; Kernel info:
; codeLenInByte = 0
; NumSgprs: 4
; NumVgprs: 0
; NumAgprs: 0
; TotalNumVgprs: 0
; ScratchSize: 0
; MemoryBound: 0
; FloatMode: 240
; IeeeMode: 1
; LDSByteSize: 0 bytes/workgroup (compile time only)
; SGPRBlocks: 0
; VGPRBlocks: 0
; NumSGPRsForWavesPerEU: 4
; NumVGPRsForWavesPerEU: 1
; AccumOffset: 4
; Occupancy: 8
; WaveLimiterHint : 0
; COMPUTE_PGM_RSRC2:SCRATCH_EN: 0
; COMPUTE_PGM_RSRC2:USER_SGPR: 6
; COMPUTE_PGM_RSRC2:TRAP_HANDLER: 0
; COMPUTE_PGM_RSRC2:TGID_X_EN: 1
; COMPUTE_PGM_RSRC2:TGID_Y_EN: 0
; COMPUTE_PGM_RSRC2:TGID_Z_EN: 0
; COMPUTE_PGM_RSRC2:TIDIG_COMP_CNT: 0
; COMPUTE_PGM_RSRC3_GFX90A:ACCUM_OFFSET: 0
; COMPUTE_PGM_RSRC3_GFX90A:TG_SPLIT: 0
	.section	.text._ZN7rocprim17ROCPRIM_400000_NS6detail17trampoline_kernelINS0_14default_configENS1_20scan_config_selectorIfEEZZNS1_9scan_implILNS1_25lookback_scan_determinismE0ELb1ELb1ES3_N6thrust23THRUST_200600_302600_NS6detail15normal_iteratorINS9_10device_ptrIjEEEENSB_INSC_IiEEEEfNS9_4plusIvEEfEEDaPvRmT3_T4_T5_mT6_P12ihipStream_tbENKUlT_T0_E_clISt17integral_constantIbLb0EESV_IbLb1EEEEDaSR_SS_EUlSR_E_NS1_11comp_targetILNS1_3genE8ELNS1_11target_archE1030ELNS1_3gpuE2ELNS1_3repE0EEENS1_30default_config_static_selectorELNS0_4arch9wavefront6targetE1EEEvT1_,"axG",@progbits,_ZN7rocprim17ROCPRIM_400000_NS6detail17trampoline_kernelINS0_14default_configENS1_20scan_config_selectorIfEEZZNS1_9scan_implILNS1_25lookback_scan_determinismE0ELb1ELb1ES3_N6thrust23THRUST_200600_302600_NS6detail15normal_iteratorINS9_10device_ptrIjEEEENSB_INSC_IiEEEEfNS9_4plusIvEEfEEDaPvRmT3_T4_T5_mT6_P12ihipStream_tbENKUlT_T0_E_clISt17integral_constantIbLb0EESV_IbLb1EEEEDaSR_SS_EUlSR_E_NS1_11comp_targetILNS1_3genE8ELNS1_11target_archE1030ELNS1_3gpuE2ELNS1_3repE0EEENS1_30default_config_static_selectorELNS0_4arch9wavefront6targetE1EEEvT1_,comdat
	.protected	_ZN7rocprim17ROCPRIM_400000_NS6detail17trampoline_kernelINS0_14default_configENS1_20scan_config_selectorIfEEZZNS1_9scan_implILNS1_25lookback_scan_determinismE0ELb1ELb1ES3_N6thrust23THRUST_200600_302600_NS6detail15normal_iteratorINS9_10device_ptrIjEEEENSB_INSC_IiEEEEfNS9_4plusIvEEfEEDaPvRmT3_T4_T5_mT6_P12ihipStream_tbENKUlT_T0_E_clISt17integral_constantIbLb0EESV_IbLb1EEEEDaSR_SS_EUlSR_E_NS1_11comp_targetILNS1_3genE8ELNS1_11target_archE1030ELNS1_3gpuE2ELNS1_3repE0EEENS1_30default_config_static_selectorELNS0_4arch9wavefront6targetE1EEEvT1_ ; -- Begin function _ZN7rocprim17ROCPRIM_400000_NS6detail17trampoline_kernelINS0_14default_configENS1_20scan_config_selectorIfEEZZNS1_9scan_implILNS1_25lookback_scan_determinismE0ELb1ELb1ES3_N6thrust23THRUST_200600_302600_NS6detail15normal_iteratorINS9_10device_ptrIjEEEENSB_INSC_IiEEEEfNS9_4plusIvEEfEEDaPvRmT3_T4_T5_mT6_P12ihipStream_tbENKUlT_T0_E_clISt17integral_constantIbLb0EESV_IbLb1EEEEDaSR_SS_EUlSR_E_NS1_11comp_targetILNS1_3genE8ELNS1_11target_archE1030ELNS1_3gpuE2ELNS1_3repE0EEENS1_30default_config_static_selectorELNS0_4arch9wavefront6targetE1EEEvT1_
	.globl	_ZN7rocprim17ROCPRIM_400000_NS6detail17trampoline_kernelINS0_14default_configENS1_20scan_config_selectorIfEEZZNS1_9scan_implILNS1_25lookback_scan_determinismE0ELb1ELb1ES3_N6thrust23THRUST_200600_302600_NS6detail15normal_iteratorINS9_10device_ptrIjEEEENSB_INSC_IiEEEEfNS9_4plusIvEEfEEDaPvRmT3_T4_T5_mT6_P12ihipStream_tbENKUlT_T0_E_clISt17integral_constantIbLb0EESV_IbLb1EEEEDaSR_SS_EUlSR_E_NS1_11comp_targetILNS1_3genE8ELNS1_11target_archE1030ELNS1_3gpuE2ELNS1_3repE0EEENS1_30default_config_static_selectorELNS0_4arch9wavefront6targetE1EEEvT1_
	.p2align	8
	.type	_ZN7rocprim17ROCPRIM_400000_NS6detail17trampoline_kernelINS0_14default_configENS1_20scan_config_selectorIfEEZZNS1_9scan_implILNS1_25lookback_scan_determinismE0ELb1ELb1ES3_N6thrust23THRUST_200600_302600_NS6detail15normal_iteratorINS9_10device_ptrIjEEEENSB_INSC_IiEEEEfNS9_4plusIvEEfEEDaPvRmT3_T4_T5_mT6_P12ihipStream_tbENKUlT_T0_E_clISt17integral_constantIbLb0EESV_IbLb1EEEEDaSR_SS_EUlSR_E_NS1_11comp_targetILNS1_3genE8ELNS1_11target_archE1030ELNS1_3gpuE2ELNS1_3repE0EEENS1_30default_config_static_selectorELNS0_4arch9wavefront6targetE1EEEvT1_,@function
_ZN7rocprim17ROCPRIM_400000_NS6detail17trampoline_kernelINS0_14default_configENS1_20scan_config_selectorIfEEZZNS1_9scan_implILNS1_25lookback_scan_determinismE0ELb1ELb1ES3_N6thrust23THRUST_200600_302600_NS6detail15normal_iteratorINS9_10device_ptrIjEEEENSB_INSC_IiEEEEfNS9_4plusIvEEfEEDaPvRmT3_T4_T5_mT6_P12ihipStream_tbENKUlT_T0_E_clISt17integral_constantIbLb0EESV_IbLb1EEEEDaSR_SS_EUlSR_E_NS1_11comp_targetILNS1_3genE8ELNS1_11target_archE1030ELNS1_3gpuE2ELNS1_3repE0EEENS1_30default_config_static_selectorELNS0_4arch9wavefront6targetE1EEEvT1_: ; @_ZN7rocprim17ROCPRIM_400000_NS6detail17trampoline_kernelINS0_14default_configENS1_20scan_config_selectorIfEEZZNS1_9scan_implILNS1_25lookback_scan_determinismE0ELb1ELb1ES3_N6thrust23THRUST_200600_302600_NS6detail15normal_iteratorINS9_10device_ptrIjEEEENSB_INSC_IiEEEEfNS9_4plusIvEEfEEDaPvRmT3_T4_T5_mT6_P12ihipStream_tbENKUlT_T0_E_clISt17integral_constantIbLb0EESV_IbLb1EEEEDaSR_SS_EUlSR_E_NS1_11comp_targetILNS1_3genE8ELNS1_11target_archE1030ELNS1_3gpuE2ELNS1_3repE0EEENS1_30default_config_static_selectorELNS0_4arch9wavefront6targetE1EEEvT1_
; %bb.0:
	.section	.rodata,"a",@progbits
	.p2align	6, 0x0
	.amdhsa_kernel _ZN7rocprim17ROCPRIM_400000_NS6detail17trampoline_kernelINS0_14default_configENS1_20scan_config_selectorIfEEZZNS1_9scan_implILNS1_25lookback_scan_determinismE0ELb1ELb1ES3_N6thrust23THRUST_200600_302600_NS6detail15normal_iteratorINS9_10device_ptrIjEEEENSB_INSC_IiEEEEfNS9_4plusIvEEfEEDaPvRmT3_T4_T5_mT6_P12ihipStream_tbENKUlT_T0_E_clISt17integral_constantIbLb0EESV_IbLb1EEEEDaSR_SS_EUlSR_E_NS1_11comp_targetILNS1_3genE8ELNS1_11target_archE1030ELNS1_3gpuE2ELNS1_3repE0EEENS1_30default_config_static_selectorELNS0_4arch9wavefront6targetE1EEEvT1_
		.amdhsa_group_segment_fixed_size 0
		.amdhsa_private_segment_fixed_size 0
		.amdhsa_kernarg_size 96
		.amdhsa_user_sgpr_count 6
		.amdhsa_user_sgpr_private_segment_buffer 1
		.amdhsa_user_sgpr_dispatch_ptr 0
		.amdhsa_user_sgpr_queue_ptr 0
		.amdhsa_user_sgpr_kernarg_segment_ptr 1
		.amdhsa_user_sgpr_dispatch_id 0
		.amdhsa_user_sgpr_flat_scratch_init 0
		.amdhsa_user_sgpr_kernarg_preload_length 0
		.amdhsa_user_sgpr_kernarg_preload_offset 0
		.amdhsa_user_sgpr_private_segment_size 0
		.amdhsa_uses_dynamic_stack 0
		.amdhsa_system_sgpr_private_segment_wavefront_offset 0
		.amdhsa_system_sgpr_workgroup_id_x 1
		.amdhsa_system_sgpr_workgroup_id_y 0
		.amdhsa_system_sgpr_workgroup_id_z 0
		.amdhsa_system_sgpr_workgroup_info 0
		.amdhsa_system_vgpr_workitem_id 0
		.amdhsa_next_free_vgpr 1
		.amdhsa_next_free_sgpr 0
		.amdhsa_accum_offset 4
		.amdhsa_reserve_vcc 0
		.amdhsa_reserve_flat_scratch 0
		.amdhsa_float_round_mode_32 0
		.amdhsa_float_round_mode_16_64 0
		.amdhsa_float_denorm_mode_32 3
		.amdhsa_float_denorm_mode_16_64 3
		.amdhsa_dx10_clamp 1
		.amdhsa_ieee_mode 1
		.amdhsa_fp16_overflow 0
		.amdhsa_tg_split 0
		.amdhsa_exception_fp_ieee_invalid_op 0
		.amdhsa_exception_fp_denorm_src 0
		.amdhsa_exception_fp_ieee_div_zero 0
		.amdhsa_exception_fp_ieee_overflow 0
		.amdhsa_exception_fp_ieee_underflow 0
		.amdhsa_exception_fp_ieee_inexact 0
		.amdhsa_exception_int_div_zero 0
	.end_amdhsa_kernel
	.section	.text._ZN7rocprim17ROCPRIM_400000_NS6detail17trampoline_kernelINS0_14default_configENS1_20scan_config_selectorIfEEZZNS1_9scan_implILNS1_25lookback_scan_determinismE0ELb1ELb1ES3_N6thrust23THRUST_200600_302600_NS6detail15normal_iteratorINS9_10device_ptrIjEEEENSB_INSC_IiEEEEfNS9_4plusIvEEfEEDaPvRmT3_T4_T5_mT6_P12ihipStream_tbENKUlT_T0_E_clISt17integral_constantIbLb0EESV_IbLb1EEEEDaSR_SS_EUlSR_E_NS1_11comp_targetILNS1_3genE8ELNS1_11target_archE1030ELNS1_3gpuE2ELNS1_3repE0EEENS1_30default_config_static_selectorELNS0_4arch9wavefront6targetE1EEEvT1_,"axG",@progbits,_ZN7rocprim17ROCPRIM_400000_NS6detail17trampoline_kernelINS0_14default_configENS1_20scan_config_selectorIfEEZZNS1_9scan_implILNS1_25lookback_scan_determinismE0ELb1ELb1ES3_N6thrust23THRUST_200600_302600_NS6detail15normal_iteratorINS9_10device_ptrIjEEEENSB_INSC_IiEEEEfNS9_4plusIvEEfEEDaPvRmT3_T4_T5_mT6_P12ihipStream_tbENKUlT_T0_E_clISt17integral_constantIbLb0EESV_IbLb1EEEEDaSR_SS_EUlSR_E_NS1_11comp_targetILNS1_3genE8ELNS1_11target_archE1030ELNS1_3gpuE2ELNS1_3repE0EEENS1_30default_config_static_selectorELNS0_4arch9wavefront6targetE1EEEvT1_,comdat
.Lfunc_end6366:
	.size	_ZN7rocprim17ROCPRIM_400000_NS6detail17trampoline_kernelINS0_14default_configENS1_20scan_config_selectorIfEEZZNS1_9scan_implILNS1_25lookback_scan_determinismE0ELb1ELb1ES3_N6thrust23THRUST_200600_302600_NS6detail15normal_iteratorINS9_10device_ptrIjEEEENSB_INSC_IiEEEEfNS9_4plusIvEEfEEDaPvRmT3_T4_T5_mT6_P12ihipStream_tbENKUlT_T0_E_clISt17integral_constantIbLb0EESV_IbLb1EEEEDaSR_SS_EUlSR_E_NS1_11comp_targetILNS1_3genE8ELNS1_11target_archE1030ELNS1_3gpuE2ELNS1_3repE0EEENS1_30default_config_static_selectorELNS0_4arch9wavefront6targetE1EEEvT1_, .Lfunc_end6366-_ZN7rocprim17ROCPRIM_400000_NS6detail17trampoline_kernelINS0_14default_configENS1_20scan_config_selectorIfEEZZNS1_9scan_implILNS1_25lookback_scan_determinismE0ELb1ELb1ES3_N6thrust23THRUST_200600_302600_NS6detail15normal_iteratorINS9_10device_ptrIjEEEENSB_INSC_IiEEEEfNS9_4plusIvEEfEEDaPvRmT3_T4_T5_mT6_P12ihipStream_tbENKUlT_T0_E_clISt17integral_constantIbLb0EESV_IbLb1EEEEDaSR_SS_EUlSR_E_NS1_11comp_targetILNS1_3genE8ELNS1_11target_archE1030ELNS1_3gpuE2ELNS1_3repE0EEENS1_30default_config_static_selectorELNS0_4arch9wavefront6targetE1EEEvT1_
                                        ; -- End function
	.section	.AMDGPU.csdata,"",@progbits
; Kernel info:
; codeLenInByte = 0
; NumSgprs: 4
; NumVgprs: 0
; NumAgprs: 0
; TotalNumVgprs: 0
; ScratchSize: 0
; MemoryBound: 0
; FloatMode: 240
; IeeeMode: 1
; LDSByteSize: 0 bytes/workgroup (compile time only)
; SGPRBlocks: 0
; VGPRBlocks: 0
; NumSGPRsForWavesPerEU: 4
; NumVGPRsForWavesPerEU: 1
; AccumOffset: 4
; Occupancy: 8
; WaveLimiterHint : 0
; COMPUTE_PGM_RSRC2:SCRATCH_EN: 0
; COMPUTE_PGM_RSRC2:USER_SGPR: 6
; COMPUTE_PGM_RSRC2:TRAP_HANDLER: 0
; COMPUTE_PGM_RSRC2:TGID_X_EN: 1
; COMPUTE_PGM_RSRC2:TGID_Y_EN: 0
; COMPUTE_PGM_RSRC2:TGID_Z_EN: 0
; COMPUTE_PGM_RSRC2:TIDIG_COMP_CNT: 0
; COMPUTE_PGM_RSRC3_GFX90A:ACCUM_OFFSET: 0
; COMPUTE_PGM_RSRC3_GFX90A:TG_SPLIT: 0
	.section	.text._ZN7rocprim17ROCPRIM_400000_NS6detail17trampoline_kernelINS0_14default_configENS1_20scan_config_selectorIfEEZZNS1_9scan_implILNS1_25lookback_scan_determinismE0ELb1ELb1ES3_N6thrust23THRUST_200600_302600_NS6detail15normal_iteratorINS9_10device_ptrIjEEEENSB_INSC_IiEEEEfNS9_4plusIvEEfEEDaPvRmT3_T4_T5_mT6_P12ihipStream_tbENKUlT_T0_E_clISt17integral_constantIbLb0EESV_IbLb1EEEEDaSR_SS_EUlSR_E0_NS1_11comp_targetILNS1_3genE0ELNS1_11target_archE4294967295ELNS1_3gpuE0ELNS1_3repE0EEENS1_30default_config_static_selectorELNS0_4arch9wavefront6targetE1EEEvT1_,"axG",@progbits,_ZN7rocprim17ROCPRIM_400000_NS6detail17trampoline_kernelINS0_14default_configENS1_20scan_config_selectorIfEEZZNS1_9scan_implILNS1_25lookback_scan_determinismE0ELb1ELb1ES3_N6thrust23THRUST_200600_302600_NS6detail15normal_iteratorINS9_10device_ptrIjEEEENSB_INSC_IiEEEEfNS9_4plusIvEEfEEDaPvRmT3_T4_T5_mT6_P12ihipStream_tbENKUlT_T0_E_clISt17integral_constantIbLb0EESV_IbLb1EEEEDaSR_SS_EUlSR_E0_NS1_11comp_targetILNS1_3genE0ELNS1_11target_archE4294967295ELNS1_3gpuE0ELNS1_3repE0EEENS1_30default_config_static_selectorELNS0_4arch9wavefront6targetE1EEEvT1_,comdat
	.protected	_ZN7rocprim17ROCPRIM_400000_NS6detail17trampoline_kernelINS0_14default_configENS1_20scan_config_selectorIfEEZZNS1_9scan_implILNS1_25lookback_scan_determinismE0ELb1ELb1ES3_N6thrust23THRUST_200600_302600_NS6detail15normal_iteratorINS9_10device_ptrIjEEEENSB_INSC_IiEEEEfNS9_4plusIvEEfEEDaPvRmT3_T4_T5_mT6_P12ihipStream_tbENKUlT_T0_E_clISt17integral_constantIbLb0EESV_IbLb1EEEEDaSR_SS_EUlSR_E0_NS1_11comp_targetILNS1_3genE0ELNS1_11target_archE4294967295ELNS1_3gpuE0ELNS1_3repE0EEENS1_30default_config_static_selectorELNS0_4arch9wavefront6targetE1EEEvT1_ ; -- Begin function _ZN7rocprim17ROCPRIM_400000_NS6detail17trampoline_kernelINS0_14default_configENS1_20scan_config_selectorIfEEZZNS1_9scan_implILNS1_25lookback_scan_determinismE0ELb1ELb1ES3_N6thrust23THRUST_200600_302600_NS6detail15normal_iteratorINS9_10device_ptrIjEEEENSB_INSC_IiEEEEfNS9_4plusIvEEfEEDaPvRmT3_T4_T5_mT6_P12ihipStream_tbENKUlT_T0_E_clISt17integral_constantIbLb0EESV_IbLb1EEEEDaSR_SS_EUlSR_E0_NS1_11comp_targetILNS1_3genE0ELNS1_11target_archE4294967295ELNS1_3gpuE0ELNS1_3repE0EEENS1_30default_config_static_selectorELNS0_4arch9wavefront6targetE1EEEvT1_
	.globl	_ZN7rocprim17ROCPRIM_400000_NS6detail17trampoline_kernelINS0_14default_configENS1_20scan_config_selectorIfEEZZNS1_9scan_implILNS1_25lookback_scan_determinismE0ELb1ELb1ES3_N6thrust23THRUST_200600_302600_NS6detail15normal_iteratorINS9_10device_ptrIjEEEENSB_INSC_IiEEEEfNS9_4plusIvEEfEEDaPvRmT3_T4_T5_mT6_P12ihipStream_tbENKUlT_T0_E_clISt17integral_constantIbLb0EESV_IbLb1EEEEDaSR_SS_EUlSR_E0_NS1_11comp_targetILNS1_3genE0ELNS1_11target_archE4294967295ELNS1_3gpuE0ELNS1_3repE0EEENS1_30default_config_static_selectorELNS0_4arch9wavefront6targetE1EEEvT1_
	.p2align	8
	.type	_ZN7rocprim17ROCPRIM_400000_NS6detail17trampoline_kernelINS0_14default_configENS1_20scan_config_selectorIfEEZZNS1_9scan_implILNS1_25lookback_scan_determinismE0ELb1ELb1ES3_N6thrust23THRUST_200600_302600_NS6detail15normal_iteratorINS9_10device_ptrIjEEEENSB_INSC_IiEEEEfNS9_4plusIvEEfEEDaPvRmT3_T4_T5_mT6_P12ihipStream_tbENKUlT_T0_E_clISt17integral_constantIbLb0EESV_IbLb1EEEEDaSR_SS_EUlSR_E0_NS1_11comp_targetILNS1_3genE0ELNS1_11target_archE4294967295ELNS1_3gpuE0ELNS1_3repE0EEENS1_30default_config_static_selectorELNS0_4arch9wavefront6targetE1EEEvT1_,@function
_ZN7rocprim17ROCPRIM_400000_NS6detail17trampoline_kernelINS0_14default_configENS1_20scan_config_selectorIfEEZZNS1_9scan_implILNS1_25lookback_scan_determinismE0ELb1ELb1ES3_N6thrust23THRUST_200600_302600_NS6detail15normal_iteratorINS9_10device_ptrIjEEEENSB_INSC_IiEEEEfNS9_4plusIvEEfEEDaPvRmT3_T4_T5_mT6_P12ihipStream_tbENKUlT_T0_E_clISt17integral_constantIbLb0EESV_IbLb1EEEEDaSR_SS_EUlSR_E0_NS1_11comp_targetILNS1_3genE0ELNS1_11target_archE4294967295ELNS1_3gpuE0ELNS1_3repE0EEENS1_30default_config_static_selectorELNS0_4arch9wavefront6targetE1EEEvT1_: ; @_ZN7rocprim17ROCPRIM_400000_NS6detail17trampoline_kernelINS0_14default_configENS1_20scan_config_selectorIfEEZZNS1_9scan_implILNS1_25lookback_scan_determinismE0ELb1ELb1ES3_N6thrust23THRUST_200600_302600_NS6detail15normal_iteratorINS9_10device_ptrIjEEEENSB_INSC_IiEEEEfNS9_4plusIvEEfEEDaPvRmT3_T4_T5_mT6_P12ihipStream_tbENKUlT_T0_E_clISt17integral_constantIbLb0EESV_IbLb1EEEEDaSR_SS_EUlSR_E0_NS1_11comp_targetILNS1_3genE0ELNS1_11target_archE4294967295ELNS1_3gpuE0ELNS1_3repE0EEENS1_30default_config_static_selectorELNS0_4arch9wavefront6targetE1EEEvT1_
; %bb.0:
	.section	.rodata,"a",@progbits
	.p2align	6, 0x0
	.amdhsa_kernel _ZN7rocprim17ROCPRIM_400000_NS6detail17trampoline_kernelINS0_14default_configENS1_20scan_config_selectorIfEEZZNS1_9scan_implILNS1_25lookback_scan_determinismE0ELb1ELb1ES3_N6thrust23THRUST_200600_302600_NS6detail15normal_iteratorINS9_10device_ptrIjEEEENSB_INSC_IiEEEEfNS9_4plusIvEEfEEDaPvRmT3_T4_T5_mT6_P12ihipStream_tbENKUlT_T0_E_clISt17integral_constantIbLb0EESV_IbLb1EEEEDaSR_SS_EUlSR_E0_NS1_11comp_targetILNS1_3genE0ELNS1_11target_archE4294967295ELNS1_3gpuE0ELNS1_3repE0EEENS1_30default_config_static_selectorELNS0_4arch9wavefront6targetE1EEEvT1_
		.amdhsa_group_segment_fixed_size 0
		.amdhsa_private_segment_fixed_size 0
		.amdhsa_kernarg_size 32
		.amdhsa_user_sgpr_count 6
		.amdhsa_user_sgpr_private_segment_buffer 1
		.amdhsa_user_sgpr_dispatch_ptr 0
		.amdhsa_user_sgpr_queue_ptr 0
		.amdhsa_user_sgpr_kernarg_segment_ptr 1
		.amdhsa_user_sgpr_dispatch_id 0
		.amdhsa_user_sgpr_flat_scratch_init 0
		.amdhsa_user_sgpr_kernarg_preload_length 0
		.amdhsa_user_sgpr_kernarg_preload_offset 0
		.amdhsa_user_sgpr_private_segment_size 0
		.amdhsa_uses_dynamic_stack 0
		.amdhsa_system_sgpr_private_segment_wavefront_offset 0
		.amdhsa_system_sgpr_workgroup_id_x 1
		.amdhsa_system_sgpr_workgroup_id_y 0
		.amdhsa_system_sgpr_workgroup_id_z 0
		.amdhsa_system_sgpr_workgroup_info 0
		.amdhsa_system_vgpr_workitem_id 0
		.amdhsa_next_free_vgpr 1
		.amdhsa_next_free_sgpr 0
		.amdhsa_accum_offset 4
		.amdhsa_reserve_vcc 0
		.amdhsa_reserve_flat_scratch 0
		.amdhsa_float_round_mode_32 0
		.amdhsa_float_round_mode_16_64 0
		.amdhsa_float_denorm_mode_32 3
		.amdhsa_float_denorm_mode_16_64 3
		.amdhsa_dx10_clamp 1
		.amdhsa_ieee_mode 1
		.amdhsa_fp16_overflow 0
		.amdhsa_tg_split 0
		.amdhsa_exception_fp_ieee_invalid_op 0
		.amdhsa_exception_fp_denorm_src 0
		.amdhsa_exception_fp_ieee_div_zero 0
		.amdhsa_exception_fp_ieee_overflow 0
		.amdhsa_exception_fp_ieee_underflow 0
		.amdhsa_exception_fp_ieee_inexact 0
		.amdhsa_exception_int_div_zero 0
	.end_amdhsa_kernel
	.section	.text._ZN7rocprim17ROCPRIM_400000_NS6detail17trampoline_kernelINS0_14default_configENS1_20scan_config_selectorIfEEZZNS1_9scan_implILNS1_25lookback_scan_determinismE0ELb1ELb1ES3_N6thrust23THRUST_200600_302600_NS6detail15normal_iteratorINS9_10device_ptrIjEEEENSB_INSC_IiEEEEfNS9_4plusIvEEfEEDaPvRmT3_T4_T5_mT6_P12ihipStream_tbENKUlT_T0_E_clISt17integral_constantIbLb0EESV_IbLb1EEEEDaSR_SS_EUlSR_E0_NS1_11comp_targetILNS1_3genE0ELNS1_11target_archE4294967295ELNS1_3gpuE0ELNS1_3repE0EEENS1_30default_config_static_selectorELNS0_4arch9wavefront6targetE1EEEvT1_,"axG",@progbits,_ZN7rocprim17ROCPRIM_400000_NS6detail17trampoline_kernelINS0_14default_configENS1_20scan_config_selectorIfEEZZNS1_9scan_implILNS1_25lookback_scan_determinismE0ELb1ELb1ES3_N6thrust23THRUST_200600_302600_NS6detail15normal_iteratorINS9_10device_ptrIjEEEENSB_INSC_IiEEEEfNS9_4plusIvEEfEEDaPvRmT3_T4_T5_mT6_P12ihipStream_tbENKUlT_T0_E_clISt17integral_constantIbLb0EESV_IbLb1EEEEDaSR_SS_EUlSR_E0_NS1_11comp_targetILNS1_3genE0ELNS1_11target_archE4294967295ELNS1_3gpuE0ELNS1_3repE0EEENS1_30default_config_static_selectorELNS0_4arch9wavefront6targetE1EEEvT1_,comdat
.Lfunc_end6367:
	.size	_ZN7rocprim17ROCPRIM_400000_NS6detail17trampoline_kernelINS0_14default_configENS1_20scan_config_selectorIfEEZZNS1_9scan_implILNS1_25lookback_scan_determinismE0ELb1ELb1ES3_N6thrust23THRUST_200600_302600_NS6detail15normal_iteratorINS9_10device_ptrIjEEEENSB_INSC_IiEEEEfNS9_4plusIvEEfEEDaPvRmT3_T4_T5_mT6_P12ihipStream_tbENKUlT_T0_E_clISt17integral_constantIbLb0EESV_IbLb1EEEEDaSR_SS_EUlSR_E0_NS1_11comp_targetILNS1_3genE0ELNS1_11target_archE4294967295ELNS1_3gpuE0ELNS1_3repE0EEENS1_30default_config_static_selectorELNS0_4arch9wavefront6targetE1EEEvT1_, .Lfunc_end6367-_ZN7rocprim17ROCPRIM_400000_NS6detail17trampoline_kernelINS0_14default_configENS1_20scan_config_selectorIfEEZZNS1_9scan_implILNS1_25lookback_scan_determinismE0ELb1ELb1ES3_N6thrust23THRUST_200600_302600_NS6detail15normal_iteratorINS9_10device_ptrIjEEEENSB_INSC_IiEEEEfNS9_4plusIvEEfEEDaPvRmT3_T4_T5_mT6_P12ihipStream_tbENKUlT_T0_E_clISt17integral_constantIbLb0EESV_IbLb1EEEEDaSR_SS_EUlSR_E0_NS1_11comp_targetILNS1_3genE0ELNS1_11target_archE4294967295ELNS1_3gpuE0ELNS1_3repE0EEENS1_30default_config_static_selectorELNS0_4arch9wavefront6targetE1EEEvT1_
                                        ; -- End function
	.section	.AMDGPU.csdata,"",@progbits
; Kernel info:
; codeLenInByte = 0
; NumSgprs: 4
; NumVgprs: 0
; NumAgprs: 0
; TotalNumVgprs: 0
; ScratchSize: 0
; MemoryBound: 0
; FloatMode: 240
; IeeeMode: 1
; LDSByteSize: 0 bytes/workgroup (compile time only)
; SGPRBlocks: 0
; VGPRBlocks: 0
; NumSGPRsForWavesPerEU: 4
; NumVGPRsForWavesPerEU: 1
; AccumOffset: 4
; Occupancy: 8
; WaveLimiterHint : 0
; COMPUTE_PGM_RSRC2:SCRATCH_EN: 0
; COMPUTE_PGM_RSRC2:USER_SGPR: 6
; COMPUTE_PGM_RSRC2:TRAP_HANDLER: 0
; COMPUTE_PGM_RSRC2:TGID_X_EN: 1
; COMPUTE_PGM_RSRC2:TGID_Y_EN: 0
; COMPUTE_PGM_RSRC2:TGID_Z_EN: 0
; COMPUTE_PGM_RSRC2:TIDIG_COMP_CNT: 0
; COMPUTE_PGM_RSRC3_GFX90A:ACCUM_OFFSET: 0
; COMPUTE_PGM_RSRC3_GFX90A:TG_SPLIT: 0
	.section	.text._ZN7rocprim17ROCPRIM_400000_NS6detail17trampoline_kernelINS0_14default_configENS1_20scan_config_selectorIfEEZZNS1_9scan_implILNS1_25lookback_scan_determinismE0ELb1ELb1ES3_N6thrust23THRUST_200600_302600_NS6detail15normal_iteratorINS9_10device_ptrIjEEEENSB_INSC_IiEEEEfNS9_4plusIvEEfEEDaPvRmT3_T4_T5_mT6_P12ihipStream_tbENKUlT_T0_E_clISt17integral_constantIbLb0EESV_IbLb1EEEEDaSR_SS_EUlSR_E0_NS1_11comp_targetILNS1_3genE5ELNS1_11target_archE942ELNS1_3gpuE9ELNS1_3repE0EEENS1_30default_config_static_selectorELNS0_4arch9wavefront6targetE1EEEvT1_,"axG",@progbits,_ZN7rocprim17ROCPRIM_400000_NS6detail17trampoline_kernelINS0_14default_configENS1_20scan_config_selectorIfEEZZNS1_9scan_implILNS1_25lookback_scan_determinismE0ELb1ELb1ES3_N6thrust23THRUST_200600_302600_NS6detail15normal_iteratorINS9_10device_ptrIjEEEENSB_INSC_IiEEEEfNS9_4plusIvEEfEEDaPvRmT3_T4_T5_mT6_P12ihipStream_tbENKUlT_T0_E_clISt17integral_constantIbLb0EESV_IbLb1EEEEDaSR_SS_EUlSR_E0_NS1_11comp_targetILNS1_3genE5ELNS1_11target_archE942ELNS1_3gpuE9ELNS1_3repE0EEENS1_30default_config_static_selectorELNS0_4arch9wavefront6targetE1EEEvT1_,comdat
	.protected	_ZN7rocprim17ROCPRIM_400000_NS6detail17trampoline_kernelINS0_14default_configENS1_20scan_config_selectorIfEEZZNS1_9scan_implILNS1_25lookback_scan_determinismE0ELb1ELb1ES3_N6thrust23THRUST_200600_302600_NS6detail15normal_iteratorINS9_10device_ptrIjEEEENSB_INSC_IiEEEEfNS9_4plusIvEEfEEDaPvRmT3_T4_T5_mT6_P12ihipStream_tbENKUlT_T0_E_clISt17integral_constantIbLb0EESV_IbLb1EEEEDaSR_SS_EUlSR_E0_NS1_11comp_targetILNS1_3genE5ELNS1_11target_archE942ELNS1_3gpuE9ELNS1_3repE0EEENS1_30default_config_static_selectorELNS0_4arch9wavefront6targetE1EEEvT1_ ; -- Begin function _ZN7rocprim17ROCPRIM_400000_NS6detail17trampoline_kernelINS0_14default_configENS1_20scan_config_selectorIfEEZZNS1_9scan_implILNS1_25lookback_scan_determinismE0ELb1ELb1ES3_N6thrust23THRUST_200600_302600_NS6detail15normal_iteratorINS9_10device_ptrIjEEEENSB_INSC_IiEEEEfNS9_4plusIvEEfEEDaPvRmT3_T4_T5_mT6_P12ihipStream_tbENKUlT_T0_E_clISt17integral_constantIbLb0EESV_IbLb1EEEEDaSR_SS_EUlSR_E0_NS1_11comp_targetILNS1_3genE5ELNS1_11target_archE942ELNS1_3gpuE9ELNS1_3repE0EEENS1_30default_config_static_selectorELNS0_4arch9wavefront6targetE1EEEvT1_
	.globl	_ZN7rocprim17ROCPRIM_400000_NS6detail17trampoline_kernelINS0_14default_configENS1_20scan_config_selectorIfEEZZNS1_9scan_implILNS1_25lookback_scan_determinismE0ELb1ELb1ES3_N6thrust23THRUST_200600_302600_NS6detail15normal_iteratorINS9_10device_ptrIjEEEENSB_INSC_IiEEEEfNS9_4plusIvEEfEEDaPvRmT3_T4_T5_mT6_P12ihipStream_tbENKUlT_T0_E_clISt17integral_constantIbLb0EESV_IbLb1EEEEDaSR_SS_EUlSR_E0_NS1_11comp_targetILNS1_3genE5ELNS1_11target_archE942ELNS1_3gpuE9ELNS1_3repE0EEENS1_30default_config_static_selectorELNS0_4arch9wavefront6targetE1EEEvT1_
	.p2align	8
	.type	_ZN7rocprim17ROCPRIM_400000_NS6detail17trampoline_kernelINS0_14default_configENS1_20scan_config_selectorIfEEZZNS1_9scan_implILNS1_25lookback_scan_determinismE0ELb1ELb1ES3_N6thrust23THRUST_200600_302600_NS6detail15normal_iteratorINS9_10device_ptrIjEEEENSB_INSC_IiEEEEfNS9_4plusIvEEfEEDaPvRmT3_T4_T5_mT6_P12ihipStream_tbENKUlT_T0_E_clISt17integral_constantIbLb0EESV_IbLb1EEEEDaSR_SS_EUlSR_E0_NS1_11comp_targetILNS1_3genE5ELNS1_11target_archE942ELNS1_3gpuE9ELNS1_3repE0EEENS1_30default_config_static_selectorELNS0_4arch9wavefront6targetE1EEEvT1_,@function
_ZN7rocprim17ROCPRIM_400000_NS6detail17trampoline_kernelINS0_14default_configENS1_20scan_config_selectorIfEEZZNS1_9scan_implILNS1_25lookback_scan_determinismE0ELb1ELb1ES3_N6thrust23THRUST_200600_302600_NS6detail15normal_iteratorINS9_10device_ptrIjEEEENSB_INSC_IiEEEEfNS9_4plusIvEEfEEDaPvRmT3_T4_T5_mT6_P12ihipStream_tbENKUlT_T0_E_clISt17integral_constantIbLb0EESV_IbLb1EEEEDaSR_SS_EUlSR_E0_NS1_11comp_targetILNS1_3genE5ELNS1_11target_archE942ELNS1_3gpuE9ELNS1_3repE0EEENS1_30default_config_static_selectorELNS0_4arch9wavefront6targetE1EEEvT1_: ; @_ZN7rocprim17ROCPRIM_400000_NS6detail17trampoline_kernelINS0_14default_configENS1_20scan_config_selectorIfEEZZNS1_9scan_implILNS1_25lookback_scan_determinismE0ELb1ELb1ES3_N6thrust23THRUST_200600_302600_NS6detail15normal_iteratorINS9_10device_ptrIjEEEENSB_INSC_IiEEEEfNS9_4plusIvEEfEEDaPvRmT3_T4_T5_mT6_P12ihipStream_tbENKUlT_T0_E_clISt17integral_constantIbLb0EESV_IbLb1EEEEDaSR_SS_EUlSR_E0_NS1_11comp_targetILNS1_3genE5ELNS1_11target_archE942ELNS1_3gpuE9ELNS1_3repE0EEENS1_30default_config_static_selectorELNS0_4arch9wavefront6targetE1EEEvT1_
; %bb.0:
	.section	.rodata,"a",@progbits
	.p2align	6, 0x0
	.amdhsa_kernel _ZN7rocprim17ROCPRIM_400000_NS6detail17trampoline_kernelINS0_14default_configENS1_20scan_config_selectorIfEEZZNS1_9scan_implILNS1_25lookback_scan_determinismE0ELb1ELb1ES3_N6thrust23THRUST_200600_302600_NS6detail15normal_iteratorINS9_10device_ptrIjEEEENSB_INSC_IiEEEEfNS9_4plusIvEEfEEDaPvRmT3_T4_T5_mT6_P12ihipStream_tbENKUlT_T0_E_clISt17integral_constantIbLb0EESV_IbLb1EEEEDaSR_SS_EUlSR_E0_NS1_11comp_targetILNS1_3genE5ELNS1_11target_archE942ELNS1_3gpuE9ELNS1_3repE0EEENS1_30default_config_static_selectorELNS0_4arch9wavefront6targetE1EEEvT1_
		.amdhsa_group_segment_fixed_size 0
		.amdhsa_private_segment_fixed_size 0
		.amdhsa_kernarg_size 32
		.amdhsa_user_sgpr_count 6
		.amdhsa_user_sgpr_private_segment_buffer 1
		.amdhsa_user_sgpr_dispatch_ptr 0
		.amdhsa_user_sgpr_queue_ptr 0
		.amdhsa_user_sgpr_kernarg_segment_ptr 1
		.amdhsa_user_sgpr_dispatch_id 0
		.amdhsa_user_sgpr_flat_scratch_init 0
		.amdhsa_user_sgpr_kernarg_preload_length 0
		.amdhsa_user_sgpr_kernarg_preload_offset 0
		.amdhsa_user_sgpr_private_segment_size 0
		.amdhsa_uses_dynamic_stack 0
		.amdhsa_system_sgpr_private_segment_wavefront_offset 0
		.amdhsa_system_sgpr_workgroup_id_x 1
		.amdhsa_system_sgpr_workgroup_id_y 0
		.amdhsa_system_sgpr_workgroup_id_z 0
		.amdhsa_system_sgpr_workgroup_info 0
		.amdhsa_system_vgpr_workitem_id 0
		.amdhsa_next_free_vgpr 1
		.amdhsa_next_free_sgpr 0
		.amdhsa_accum_offset 4
		.amdhsa_reserve_vcc 0
		.amdhsa_reserve_flat_scratch 0
		.amdhsa_float_round_mode_32 0
		.amdhsa_float_round_mode_16_64 0
		.amdhsa_float_denorm_mode_32 3
		.amdhsa_float_denorm_mode_16_64 3
		.amdhsa_dx10_clamp 1
		.amdhsa_ieee_mode 1
		.amdhsa_fp16_overflow 0
		.amdhsa_tg_split 0
		.amdhsa_exception_fp_ieee_invalid_op 0
		.amdhsa_exception_fp_denorm_src 0
		.amdhsa_exception_fp_ieee_div_zero 0
		.amdhsa_exception_fp_ieee_overflow 0
		.amdhsa_exception_fp_ieee_underflow 0
		.amdhsa_exception_fp_ieee_inexact 0
		.amdhsa_exception_int_div_zero 0
	.end_amdhsa_kernel
	.section	.text._ZN7rocprim17ROCPRIM_400000_NS6detail17trampoline_kernelINS0_14default_configENS1_20scan_config_selectorIfEEZZNS1_9scan_implILNS1_25lookback_scan_determinismE0ELb1ELb1ES3_N6thrust23THRUST_200600_302600_NS6detail15normal_iteratorINS9_10device_ptrIjEEEENSB_INSC_IiEEEEfNS9_4plusIvEEfEEDaPvRmT3_T4_T5_mT6_P12ihipStream_tbENKUlT_T0_E_clISt17integral_constantIbLb0EESV_IbLb1EEEEDaSR_SS_EUlSR_E0_NS1_11comp_targetILNS1_3genE5ELNS1_11target_archE942ELNS1_3gpuE9ELNS1_3repE0EEENS1_30default_config_static_selectorELNS0_4arch9wavefront6targetE1EEEvT1_,"axG",@progbits,_ZN7rocprim17ROCPRIM_400000_NS6detail17trampoline_kernelINS0_14default_configENS1_20scan_config_selectorIfEEZZNS1_9scan_implILNS1_25lookback_scan_determinismE0ELb1ELb1ES3_N6thrust23THRUST_200600_302600_NS6detail15normal_iteratorINS9_10device_ptrIjEEEENSB_INSC_IiEEEEfNS9_4plusIvEEfEEDaPvRmT3_T4_T5_mT6_P12ihipStream_tbENKUlT_T0_E_clISt17integral_constantIbLb0EESV_IbLb1EEEEDaSR_SS_EUlSR_E0_NS1_11comp_targetILNS1_3genE5ELNS1_11target_archE942ELNS1_3gpuE9ELNS1_3repE0EEENS1_30default_config_static_selectorELNS0_4arch9wavefront6targetE1EEEvT1_,comdat
.Lfunc_end6368:
	.size	_ZN7rocprim17ROCPRIM_400000_NS6detail17trampoline_kernelINS0_14default_configENS1_20scan_config_selectorIfEEZZNS1_9scan_implILNS1_25lookback_scan_determinismE0ELb1ELb1ES3_N6thrust23THRUST_200600_302600_NS6detail15normal_iteratorINS9_10device_ptrIjEEEENSB_INSC_IiEEEEfNS9_4plusIvEEfEEDaPvRmT3_T4_T5_mT6_P12ihipStream_tbENKUlT_T0_E_clISt17integral_constantIbLb0EESV_IbLb1EEEEDaSR_SS_EUlSR_E0_NS1_11comp_targetILNS1_3genE5ELNS1_11target_archE942ELNS1_3gpuE9ELNS1_3repE0EEENS1_30default_config_static_selectorELNS0_4arch9wavefront6targetE1EEEvT1_, .Lfunc_end6368-_ZN7rocprim17ROCPRIM_400000_NS6detail17trampoline_kernelINS0_14default_configENS1_20scan_config_selectorIfEEZZNS1_9scan_implILNS1_25lookback_scan_determinismE0ELb1ELb1ES3_N6thrust23THRUST_200600_302600_NS6detail15normal_iteratorINS9_10device_ptrIjEEEENSB_INSC_IiEEEEfNS9_4plusIvEEfEEDaPvRmT3_T4_T5_mT6_P12ihipStream_tbENKUlT_T0_E_clISt17integral_constantIbLb0EESV_IbLb1EEEEDaSR_SS_EUlSR_E0_NS1_11comp_targetILNS1_3genE5ELNS1_11target_archE942ELNS1_3gpuE9ELNS1_3repE0EEENS1_30default_config_static_selectorELNS0_4arch9wavefront6targetE1EEEvT1_
                                        ; -- End function
	.section	.AMDGPU.csdata,"",@progbits
; Kernel info:
; codeLenInByte = 0
; NumSgprs: 4
; NumVgprs: 0
; NumAgprs: 0
; TotalNumVgprs: 0
; ScratchSize: 0
; MemoryBound: 0
; FloatMode: 240
; IeeeMode: 1
; LDSByteSize: 0 bytes/workgroup (compile time only)
; SGPRBlocks: 0
; VGPRBlocks: 0
; NumSGPRsForWavesPerEU: 4
; NumVGPRsForWavesPerEU: 1
; AccumOffset: 4
; Occupancy: 8
; WaveLimiterHint : 0
; COMPUTE_PGM_RSRC2:SCRATCH_EN: 0
; COMPUTE_PGM_RSRC2:USER_SGPR: 6
; COMPUTE_PGM_RSRC2:TRAP_HANDLER: 0
; COMPUTE_PGM_RSRC2:TGID_X_EN: 1
; COMPUTE_PGM_RSRC2:TGID_Y_EN: 0
; COMPUTE_PGM_RSRC2:TGID_Z_EN: 0
; COMPUTE_PGM_RSRC2:TIDIG_COMP_CNT: 0
; COMPUTE_PGM_RSRC3_GFX90A:ACCUM_OFFSET: 0
; COMPUTE_PGM_RSRC3_GFX90A:TG_SPLIT: 0
	.section	.text._ZN7rocprim17ROCPRIM_400000_NS6detail17trampoline_kernelINS0_14default_configENS1_20scan_config_selectorIfEEZZNS1_9scan_implILNS1_25lookback_scan_determinismE0ELb1ELb1ES3_N6thrust23THRUST_200600_302600_NS6detail15normal_iteratorINS9_10device_ptrIjEEEENSB_INSC_IiEEEEfNS9_4plusIvEEfEEDaPvRmT3_T4_T5_mT6_P12ihipStream_tbENKUlT_T0_E_clISt17integral_constantIbLb0EESV_IbLb1EEEEDaSR_SS_EUlSR_E0_NS1_11comp_targetILNS1_3genE4ELNS1_11target_archE910ELNS1_3gpuE8ELNS1_3repE0EEENS1_30default_config_static_selectorELNS0_4arch9wavefront6targetE1EEEvT1_,"axG",@progbits,_ZN7rocprim17ROCPRIM_400000_NS6detail17trampoline_kernelINS0_14default_configENS1_20scan_config_selectorIfEEZZNS1_9scan_implILNS1_25lookback_scan_determinismE0ELb1ELb1ES3_N6thrust23THRUST_200600_302600_NS6detail15normal_iteratorINS9_10device_ptrIjEEEENSB_INSC_IiEEEEfNS9_4plusIvEEfEEDaPvRmT3_T4_T5_mT6_P12ihipStream_tbENKUlT_T0_E_clISt17integral_constantIbLb0EESV_IbLb1EEEEDaSR_SS_EUlSR_E0_NS1_11comp_targetILNS1_3genE4ELNS1_11target_archE910ELNS1_3gpuE8ELNS1_3repE0EEENS1_30default_config_static_selectorELNS0_4arch9wavefront6targetE1EEEvT1_,comdat
	.protected	_ZN7rocprim17ROCPRIM_400000_NS6detail17trampoline_kernelINS0_14default_configENS1_20scan_config_selectorIfEEZZNS1_9scan_implILNS1_25lookback_scan_determinismE0ELb1ELb1ES3_N6thrust23THRUST_200600_302600_NS6detail15normal_iteratorINS9_10device_ptrIjEEEENSB_INSC_IiEEEEfNS9_4plusIvEEfEEDaPvRmT3_T4_T5_mT6_P12ihipStream_tbENKUlT_T0_E_clISt17integral_constantIbLb0EESV_IbLb1EEEEDaSR_SS_EUlSR_E0_NS1_11comp_targetILNS1_3genE4ELNS1_11target_archE910ELNS1_3gpuE8ELNS1_3repE0EEENS1_30default_config_static_selectorELNS0_4arch9wavefront6targetE1EEEvT1_ ; -- Begin function _ZN7rocprim17ROCPRIM_400000_NS6detail17trampoline_kernelINS0_14default_configENS1_20scan_config_selectorIfEEZZNS1_9scan_implILNS1_25lookback_scan_determinismE0ELb1ELb1ES3_N6thrust23THRUST_200600_302600_NS6detail15normal_iteratorINS9_10device_ptrIjEEEENSB_INSC_IiEEEEfNS9_4plusIvEEfEEDaPvRmT3_T4_T5_mT6_P12ihipStream_tbENKUlT_T0_E_clISt17integral_constantIbLb0EESV_IbLb1EEEEDaSR_SS_EUlSR_E0_NS1_11comp_targetILNS1_3genE4ELNS1_11target_archE910ELNS1_3gpuE8ELNS1_3repE0EEENS1_30default_config_static_selectorELNS0_4arch9wavefront6targetE1EEEvT1_
	.globl	_ZN7rocprim17ROCPRIM_400000_NS6detail17trampoline_kernelINS0_14default_configENS1_20scan_config_selectorIfEEZZNS1_9scan_implILNS1_25lookback_scan_determinismE0ELb1ELb1ES3_N6thrust23THRUST_200600_302600_NS6detail15normal_iteratorINS9_10device_ptrIjEEEENSB_INSC_IiEEEEfNS9_4plusIvEEfEEDaPvRmT3_T4_T5_mT6_P12ihipStream_tbENKUlT_T0_E_clISt17integral_constantIbLb0EESV_IbLb1EEEEDaSR_SS_EUlSR_E0_NS1_11comp_targetILNS1_3genE4ELNS1_11target_archE910ELNS1_3gpuE8ELNS1_3repE0EEENS1_30default_config_static_selectorELNS0_4arch9wavefront6targetE1EEEvT1_
	.p2align	8
	.type	_ZN7rocprim17ROCPRIM_400000_NS6detail17trampoline_kernelINS0_14default_configENS1_20scan_config_selectorIfEEZZNS1_9scan_implILNS1_25lookback_scan_determinismE0ELb1ELb1ES3_N6thrust23THRUST_200600_302600_NS6detail15normal_iteratorINS9_10device_ptrIjEEEENSB_INSC_IiEEEEfNS9_4plusIvEEfEEDaPvRmT3_T4_T5_mT6_P12ihipStream_tbENKUlT_T0_E_clISt17integral_constantIbLb0EESV_IbLb1EEEEDaSR_SS_EUlSR_E0_NS1_11comp_targetILNS1_3genE4ELNS1_11target_archE910ELNS1_3gpuE8ELNS1_3repE0EEENS1_30default_config_static_selectorELNS0_4arch9wavefront6targetE1EEEvT1_,@function
_ZN7rocprim17ROCPRIM_400000_NS6detail17trampoline_kernelINS0_14default_configENS1_20scan_config_selectorIfEEZZNS1_9scan_implILNS1_25lookback_scan_determinismE0ELb1ELb1ES3_N6thrust23THRUST_200600_302600_NS6detail15normal_iteratorINS9_10device_ptrIjEEEENSB_INSC_IiEEEEfNS9_4plusIvEEfEEDaPvRmT3_T4_T5_mT6_P12ihipStream_tbENKUlT_T0_E_clISt17integral_constantIbLb0EESV_IbLb1EEEEDaSR_SS_EUlSR_E0_NS1_11comp_targetILNS1_3genE4ELNS1_11target_archE910ELNS1_3gpuE8ELNS1_3repE0EEENS1_30default_config_static_selectorELNS0_4arch9wavefront6targetE1EEEvT1_: ; @_ZN7rocprim17ROCPRIM_400000_NS6detail17trampoline_kernelINS0_14default_configENS1_20scan_config_selectorIfEEZZNS1_9scan_implILNS1_25lookback_scan_determinismE0ELb1ELb1ES3_N6thrust23THRUST_200600_302600_NS6detail15normal_iteratorINS9_10device_ptrIjEEEENSB_INSC_IiEEEEfNS9_4plusIvEEfEEDaPvRmT3_T4_T5_mT6_P12ihipStream_tbENKUlT_T0_E_clISt17integral_constantIbLb0EESV_IbLb1EEEEDaSR_SS_EUlSR_E0_NS1_11comp_targetILNS1_3genE4ELNS1_11target_archE910ELNS1_3gpuE8ELNS1_3repE0EEENS1_30default_config_static_selectorELNS0_4arch9wavefront6targetE1EEEvT1_
; %bb.0:
	s_load_dwordx4 s[28:31], s[4:5], 0x0
	v_lshlrev_b32_e32 v18, 2, v0
	s_waitcnt lgkmcnt(0)
	s_load_dword s0, s[28:29], 0x0
	v_cmp_gt_u32_e32 vcc, s30, v0
	s_waitcnt lgkmcnt(0)
	v_cvt_f32_u32_e32 v1, s0
	v_mov_b32_e32 v2, v1
	s_and_saveexec_b64 s[0:1], vcc
	s_cbranch_execz .LBB6369_2
; %bb.1:
	global_load_dword v2, v18, s[28:29]
	s_waitcnt vmcnt(0)
	v_cvt_f32_u32_e32 v2, v2
.LBB6369_2:
	s_or_b64 exec, exec, s[0:1]
	v_or_b32_e32 v3, 0x80, v0
	v_cmp_gt_u32_e64 s[0:1], s30, v3
	v_mov_b32_e32 v3, v1
	s_and_saveexec_b64 s[2:3], s[0:1]
	s_cbranch_execz .LBB6369_4
; %bb.3:
	global_load_dword v3, v18, s[28:29] offset:512
	s_waitcnt vmcnt(0)
	v_cvt_f32_u32_e32 v3, v3
.LBB6369_4:
	s_or_b64 exec, exec, s[2:3]
	v_or_b32_e32 v4, 0x100, v0
	v_cmp_gt_u32_e64 s[2:3], s30, v4
	v_mov_b32_e32 v4, v1
	s_and_saveexec_b64 s[6:7], s[2:3]
	s_cbranch_execz .LBB6369_6
; %bb.5:
	global_load_dword v4, v18, s[28:29] offset:1024
	s_waitcnt vmcnt(0)
	v_cvt_f32_u32_e32 v4, v4
.LBB6369_6:
	;; [unrolled: 11-line block ×7, first 2 shown]
	s_or_b64 exec, exec, s[14:15]
	v_or_b32_e32 v11, 0x400, v0
	v_cmp_gt_u32_e64 s[14:15], s30, v11
	v_mov_b32_e32 v10, v1
	s_and_saveexec_b64 s[16:17], s[14:15]
	s_cbranch_execz .LBB6369_18
; %bb.17:
	v_lshlrev_b32_e32 v10, 2, v11
	global_load_dword v10, v10, s[28:29]
	s_waitcnt vmcnt(0)
	v_cvt_f32_u32_e32 v10, v10
.LBB6369_18:
	s_or_b64 exec, exec, s[16:17]
	v_or_b32_e32 v12, 0x480, v0
	v_cmp_gt_u32_e64 s[16:17], s30, v12
	v_mov_b32_e32 v11, v1
	s_and_saveexec_b64 s[18:19], s[16:17]
	s_cbranch_execz .LBB6369_20
; %bb.19:
	v_lshlrev_b32_e32 v11, 2, v12
	global_load_dword v11, v11, s[28:29]
	s_waitcnt vmcnt(0)
	v_cvt_f32_u32_e32 v11, v11
.LBB6369_20:
	;; [unrolled: 12-line block ×5, first 2 shown]
	s_or_b64 exec, exec, s[24:25]
	s_load_dword s33, s[4:5], 0x10
	v_or_b32_e32 v15, 0x680, v0
	v_cmp_gt_u32_e64 s[24:25], s30, v15
	s_and_saveexec_b64 s[30:31], s[24:25]
	s_cbranch_execz .LBB6369_28
; %bb.27:
	v_lshlrev_b32_e32 v1, 2, v15
	global_load_dword v1, v1, s[28:29]
	s_waitcnt vmcnt(0)
	v_cvt_f32_u32_e32 v1, v1
.LBB6369_28:
	s_or_b64 exec, exec, s[30:31]
	ds_write2st64_b32 v18, v2, v3 offset1:2
	ds_write2st64_b32 v18, v4, v5 offset0:4 offset1:6
	ds_write2st64_b32 v18, v6, v7 offset0:8 offset1:10
	;; [unrolled: 1-line block ×6, first 2 shown]
	v_mad_u32_u24 v1, v0, 52, v18
	s_waitcnt lgkmcnt(0)
	s_barrier
	ds_read2_b64 v[10:13], v1 offset1:1
	ds_read2_b64 v[6:9], v1 offset0:2 offset1:3
	ds_read2_b64 v[2:5], v1 offset0:4 offset1:5
	ds_read_b64 v[14:15], v1 offset:48
	s_load_dwordx2 s[34:35], s[4:5], 0x18
	s_waitcnt lgkmcnt(0)
	v_add_f32_e32 v16, v10, v11
	v_add_f32_e32 v16, v16, v12
	;; [unrolled: 1-line block ×13, first 2 shown]
	v_lshrrev_b32_e32 v16, 3, v0
	v_and_b32_e32 v16, 12, v16
	v_add_u32_e32 v16, v18, v16
	v_cmp_gt_u32_e64 s[4:5], 64, v0
	s_barrier
	ds_write_b32 v16, v15
	s_waitcnt lgkmcnt(0)
	s_barrier
	s_and_saveexec_b64 s[36:37], s[4:5]
	s_cbranch_execz .LBB6369_30
; %bb.29:
	v_lshlrev_b32_e32 v16, 1, v0
	v_lshrrev_b32_e32 v17, 4, v0
	v_add_lshl_u32 v19, v17, v16, 2
	ds_read2_b32 v[16:17], v19 offset1:1
	v_mbcnt_lo_u32_b32 v20, -1, 0
	v_mbcnt_hi_u32_b32 v20, -1, v20
	v_and_b32_e32 v21, 15, v20
	v_cmp_eq_u32_e64 s[4:5], 0, v21
	s_waitcnt lgkmcnt(0)
	v_add_f32_e32 v17, v16, v17
	v_cmp_lt_u32_e64 s[28:29], 3, v21
	v_cmp_lt_u32_e64 s[30:31], 31, v20
	v_mov_b32_dpp v22, v17 row_shr:1 row_mask:0xf bank_mask:0xf
	v_add_f32_e32 v22, v17, v22
	v_cndmask_b32_e64 v17, v22, v17, s[4:5]
	v_cmp_lt_u32_e64 s[4:5], 1, v21
	s_nop 0
	v_mov_b32_dpp v22, v17 row_shr:2 row_mask:0xf bank_mask:0xf
	v_add_f32_e32 v22, v17, v22
	v_cndmask_b32_e64 v22, v17, v22, s[4:5]
	; wave barrier
	s_nop 1
	v_mov_b32_dpp v23, v22 row_shr:4 row_mask:0xf bank_mask:0xf
	v_add_f32_e32 v23, v22, v23
	v_cndmask_b32_e64 v22, v22, v23, s[28:29]
	v_cmp_lt_u32_e64 s[28:29], 7, v21
	s_nop 0
	v_mov_b32_dpp v23, v22 row_shr:8 row_mask:0xf bank_mask:0xf
	v_add_f32_e32 v23, v22, v23
	v_cndmask_b32_e64 v21, v22, v23, s[28:29]
	v_and_b32_e32 v23, 16, v20
	v_cmp_eq_u32_e64 s[28:29], 0, v23
	v_mov_b32_dpp v22, v21 row_bcast:15 row_mask:0xf bank_mask:0xf
	v_add_f32_e32 v22, v21, v22
	v_cndmask_b32_e64 v21, v22, v21, s[28:29]
	v_cmp_lt_u32_e64 s[28:29], 15, v20
	s_or_b64 s[4:5], s[28:29], s[4:5]
	v_mov_b32_dpp v22, v21 row_bcast:31 row_mask:0xf bank_mask:0xf
	v_add_f32_e32 v22, v21, v22
	v_cndmask_b32_e64 v21, v21, v22, s[30:31]
	v_cndmask_b32_e64 v17, v17, v21, s[4:5]
	v_add_u32_e32 v21, -1, v20
	v_and_b32_e32 v22, 64, v20
	v_cmp_lt_i32_e64 s[4:5], v21, v22
	v_cndmask_b32_e64 v20, v21, v20, s[4:5]
	v_lshlrev_b32_e32 v20, 2, v20
	ds_bpermute_b32 v17, v20, v17
	v_cmp_eq_u32_e64 s[4:5], 0, v0
	s_waitcnt lgkmcnt(0)
	v_add_f32_e32 v16, v16, v17
	v_cndmask_b32_e64 v15, v16, v15, s[4:5]
	ds_write_b32 v19, v15
	; wave barrier
	ds_read_b32 v16, v19 offset:4
	s_waitcnt lgkmcnt(0)
	v_add_f32_e32 v15, v15, v16
	ds_write_b32 v19, v15 offset:4
.LBB6369_30:
	s_or_b64 exec, exec, s[36:37]
	v_cmp_ne_u32_e64 s[4:5], 0, v0
	v_mov_b32_e32 v16, s33
	s_waitcnt lgkmcnt(0)
	s_barrier
	s_and_saveexec_b64 s[28:29], s[4:5]
	s_cbranch_execz .LBB6369_32
; %bb.31:
	v_add_u32_e32 v15, -1, v0
	v_lshrrev_b32_e32 v16, 5, v15
	v_add_lshl_u32 v15, v16, v15, 2
	ds_read_b32 v15, v15
	s_waitcnt lgkmcnt(0)
	v_add_f32_e32 v16, s33, v15
.LBB6369_32:
	s_or_b64 exec, exec, s[28:29]
	v_add_f32_e32 v17, v10, v16
	v_add_f32_e32 v10, v11, v17
	;; [unrolled: 1-line block ×12, first 2 shown]
	s_movk_i32 s4, 0xffcc
	v_add_f32_e32 v5, v14, v4
	v_mad_i32_i24 v0, v0, s4, v1
	s_barrier
	ds_write2_b64 v1, v[16:17], v[10:11] offset1:1
	ds_write2_b64 v1, v[12:13], v[6:7] offset0:2 offset1:3
	ds_write2_b64 v1, v[8:9], v[2:3] offset0:4 offset1:5
	ds_write_b64 v1, v[4:5] offset:48
	s_waitcnt lgkmcnt(0)
	s_barrier
	ds_read2st64_b32 v[12:13], v0 offset0:2 offset1:4
	ds_read2st64_b32 v[10:11], v0 offset0:6 offset1:8
	;; [unrolled: 1-line block ×4, first 2 shown]
	ds_read_b32 v14, v18 offset:4096
	ds_read2st64_b32 v[4:5], v0 offset0:20 offset1:22
	ds_read2st64_b32 v[2:3], v0 offset0:24 offset1:26
	v_mov_b32_e32 v1, s35
	v_add_co_u32_e64 v0, s[4:5], s34, v18
	v_addc_co_u32_e64 v1, s[4:5], 0, v1, s[4:5]
	s_and_saveexec_b64 s[4:5], vcc
	s_cbranch_execnz .LBB6369_47
; %bb.33:
	s_or_b64 exec, exec, s[4:5]
	s_and_saveexec_b64 s[4:5], s[0:1]
	s_cbranch_execnz .LBB6369_48
.LBB6369_34:
	s_or_b64 exec, exec, s[4:5]
	s_and_saveexec_b64 s[0:1], s[2:3]
	s_cbranch_execnz .LBB6369_49
.LBB6369_35:
	s_or_b64 exec, exec, s[0:1]
	s_and_saveexec_b64 s[0:1], s[26:27]
	s_cbranch_execnz .LBB6369_50
.LBB6369_36:
	s_or_b64 exec, exec, s[0:1]
	s_and_saveexec_b64 s[0:1], s[6:7]
	s_cbranch_execnz .LBB6369_51
.LBB6369_37:
	s_or_b64 exec, exec, s[0:1]
	s_and_saveexec_b64 s[0:1], s[8:9]
	s_cbranch_execnz .LBB6369_52
.LBB6369_38:
	s_or_b64 exec, exec, s[0:1]
	s_and_saveexec_b64 s[0:1], s[10:11]
	s_cbranch_execnz .LBB6369_53
.LBB6369_39:
	s_or_b64 exec, exec, s[0:1]
	s_and_saveexec_b64 s[0:1], s[12:13]
	s_cbranch_execnz .LBB6369_54
.LBB6369_40:
	s_or_b64 exec, exec, s[0:1]
	s_and_saveexec_b64 s[0:1], s[14:15]
	s_cbranch_execnz .LBB6369_55
.LBB6369_41:
	s_or_b64 exec, exec, s[0:1]
	s_and_saveexec_b64 s[0:1], s[16:17]
	s_cbranch_execnz .LBB6369_56
.LBB6369_42:
	s_or_b64 exec, exec, s[0:1]
	s_and_saveexec_b64 s[0:1], s[18:19]
	s_cbranch_execnz .LBB6369_57
.LBB6369_43:
	s_or_b64 exec, exec, s[0:1]
	s_and_saveexec_b64 s[0:1], s[20:21]
	s_cbranch_execnz .LBB6369_58
.LBB6369_44:
	s_or_b64 exec, exec, s[0:1]
	s_and_saveexec_b64 s[0:1], s[22:23]
	s_cbranch_execnz .LBB6369_59
.LBB6369_45:
	s_or_b64 exec, exec, s[0:1]
	s_and_saveexec_b64 s[0:1], s[24:25]
	s_cbranch_execnz .LBB6369_60
.LBB6369_46:
	s_endpgm
.LBB6369_47:
	ds_read_b32 v15, v18
	s_waitcnt lgkmcnt(0)
	v_cvt_i32_f32_e32 v15, v15
	global_store_dword v[0:1], v15, off
	s_or_b64 exec, exec, s[4:5]
	s_and_saveexec_b64 s[4:5], s[0:1]
	s_cbranch_execz .LBB6369_34
.LBB6369_48:
	s_waitcnt lgkmcnt(6)
	v_cvt_i32_f32_e32 v12, v12
	global_store_dword v[0:1], v12, off offset:512
	s_or_b64 exec, exec, s[4:5]
	s_and_saveexec_b64 s[0:1], s[2:3]
	s_cbranch_execz .LBB6369_35
.LBB6369_49:
	s_waitcnt lgkmcnt(6)
	v_cvt_i32_f32_e32 v12, v13
	global_store_dword v[0:1], v12, off offset:1024
	s_or_b64 exec, exec, s[0:1]
	s_and_saveexec_b64 s[0:1], s[26:27]
	s_cbranch_execz .LBB6369_36
.LBB6369_50:
	s_waitcnt lgkmcnt(5)
	v_cvt_i32_f32_e32 v10, v10
	global_store_dword v[0:1], v10, off offset:1536
	s_or_b64 exec, exec, s[0:1]
	s_and_saveexec_b64 s[0:1], s[6:7]
	s_cbranch_execz .LBB6369_37
.LBB6369_51:
	s_waitcnt lgkmcnt(5)
	v_cvt_i32_f32_e32 v10, v11
	global_store_dword v[0:1], v10, off offset:2048
	s_or_b64 exec, exec, s[0:1]
	s_and_saveexec_b64 s[0:1], s[8:9]
	s_cbranch_execz .LBB6369_38
.LBB6369_52:
	s_waitcnt lgkmcnt(4)
	v_cvt_i32_f32_e32 v8, v8
	global_store_dword v[0:1], v8, off offset:2560
	s_or_b64 exec, exec, s[0:1]
	s_and_saveexec_b64 s[0:1], s[10:11]
	s_cbranch_execz .LBB6369_39
.LBB6369_53:
	s_waitcnt lgkmcnt(4)
	v_cvt_i32_f32_e32 v8, v9
	global_store_dword v[0:1], v8, off offset:3072
	s_or_b64 exec, exec, s[0:1]
	s_and_saveexec_b64 s[0:1], s[12:13]
	s_cbranch_execz .LBB6369_40
.LBB6369_54:
	s_waitcnt lgkmcnt(3)
	v_cvt_i32_f32_e32 v6, v6
	global_store_dword v[0:1], v6, off offset:3584
	s_or_b64 exec, exec, s[0:1]
	s_and_saveexec_b64 s[0:1], s[14:15]
	s_cbranch_execz .LBB6369_41
.LBB6369_55:
	s_waitcnt lgkmcnt(2)
	v_cvt_i32_f32_e32 v6, v14
	v_add_co_u32_e32 v8, vcc, 0x1000, v0
	v_addc_co_u32_e32 v9, vcc, 0, v1, vcc
	global_store_dword v[8:9], v6, off
	s_or_b64 exec, exec, s[0:1]
	s_and_saveexec_b64 s[0:1], s[16:17]
	s_cbranch_execz .LBB6369_42
.LBB6369_56:
	s_waitcnt lgkmcnt(3)
	v_cvt_i32_f32_e32 v8, v7
	v_add_co_u32_e32 v6, vcc, 0x1000, v0
	v_addc_co_u32_e32 v7, vcc, 0, v1, vcc
	global_store_dword v[6:7], v8, off offset:512
	s_or_b64 exec, exec, s[0:1]
	s_and_saveexec_b64 s[0:1], s[18:19]
	s_cbranch_execz .LBB6369_43
.LBB6369_57:
	s_waitcnt lgkmcnt(1)
	v_cvt_i32_f32_e32 v4, v4
	v_add_co_u32_e32 v6, vcc, 0x1000, v0
	v_addc_co_u32_e32 v7, vcc, 0, v1, vcc
	global_store_dword v[6:7], v4, off offset:1024
	s_or_b64 exec, exec, s[0:1]
	s_and_saveexec_b64 s[0:1], s[20:21]
	s_cbranch_execz .LBB6369_44
.LBB6369_58:
	s_waitcnt lgkmcnt(1)
	v_cvt_i32_f32_e32 v6, v5
	v_add_co_u32_e32 v4, vcc, 0x1000, v0
	v_addc_co_u32_e32 v5, vcc, 0, v1, vcc
	global_store_dword v[4:5], v6, off offset:1536
	s_or_b64 exec, exec, s[0:1]
	s_and_saveexec_b64 s[0:1], s[22:23]
	s_cbranch_execz .LBB6369_45
.LBB6369_59:
	s_waitcnt lgkmcnt(0)
	v_cvt_i32_f32_e32 v2, v2
	v_add_co_u32_e32 v4, vcc, 0x1000, v0
	v_addc_co_u32_e32 v5, vcc, 0, v1, vcc
	global_store_dword v[4:5], v2, off offset:2048
	s_or_b64 exec, exec, s[0:1]
	s_and_saveexec_b64 s[0:1], s[24:25]
	s_cbranch_execz .LBB6369_46
.LBB6369_60:
	s_waitcnt lgkmcnt(0)
	v_cvt_i32_f32_e32 v2, v3
	v_add_co_u32_e32 v0, vcc, 0x1000, v0
	v_addc_co_u32_e32 v1, vcc, 0, v1, vcc
	global_store_dword v[0:1], v2, off offset:2560
	s_endpgm
	.section	.rodata,"a",@progbits
	.p2align	6, 0x0
	.amdhsa_kernel _ZN7rocprim17ROCPRIM_400000_NS6detail17trampoline_kernelINS0_14default_configENS1_20scan_config_selectorIfEEZZNS1_9scan_implILNS1_25lookback_scan_determinismE0ELb1ELb1ES3_N6thrust23THRUST_200600_302600_NS6detail15normal_iteratorINS9_10device_ptrIjEEEENSB_INSC_IiEEEEfNS9_4plusIvEEfEEDaPvRmT3_T4_T5_mT6_P12ihipStream_tbENKUlT_T0_E_clISt17integral_constantIbLb0EESV_IbLb1EEEEDaSR_SS_EUlSR_E0_NS1_11comp_targetILNS1_3genE4ELNS1_11target_archE910ELNS1_3gpuE8ELNS1_3repE0EEENS1_30default_config_static_selectorELNS0_4arch9wavefront6targetE1EEEvT1_
		.amdhsa_group_segment_fixed_size 7168
		.amdhsa_private_segment_fixed_size 0
		.amdhsa_kernarg_size 32
		.amdhsa_user_sgpr_count 6
		.amdhsa_user_sgpr_private_segment_buffer 1
		.amdhsa_user_sgpr_dispatch_ptr 0
		.amdhsa_user_sgpr_queue_ptr 0
		.amdhsa_user_sgpr_kernarg_segment_ptr 1
		.amdhsa_user_sgpr_dispatch_id 0
		.amdhsa_user_sgpr_flat_scratch_init 0
		.amdhsa_user_sgpr_kernarg_preload_length 0
		.amdhsa_user_sgpr_kernarg_preload_offset 0
		.amdhsa_user_sgpr_private_segment_size 0
		.amdhsa_uses_dynamic_stack 0
		.amdhsa_system_sgpr_private_segment_wavefront_offset 0
		.amdhsa_system_sgpr_workgroup_id_x 1
		.amdhsa_system_sgpr_workgroup_id_y 0
		.amdhsa_system_sgpr_workgroup_id_z 0
		.amdhsa_system_sgpr_workgroup_info 0
		.amdhsa_system_vgpr_workitem_id 0
		.amdhsa_next_free_vgpr 24
		.amdhsa_next_free_sgpr 38
		.amdhsa_accum_offset 24
		.amdhsa_reserve_vcc 1
		.amdhsa_reserve_flat_scratch 0
		.amdhsa_float_round_mode_32 0
		.amdhsa_float_round_mode_16_64 0
		.amdhsa_float_denorm_mode_32 3
		.amdhsa_float_denorm_mode_16_64 3
		.amdhsa_dx10_clamp 1
		.amdhsa_ieee_mode 1
		.amdhsa_fp16_overflow 0
		.amdhsa_tg_split 0
		.amdhsa_exception_fp_ieee_invalid_op 0
		.amdhsa_exception_fp_denorm_src 0
		.amdhsa_exception_fp_ieee_div_zero 0
		.amdhsa_exception_fp_ieee_overflow 0
		.amdhsa_exception_fp_ieee_underflow 0
		.amdhsa_exception_fp_ieee_inexact 0
		.amdhsa_exception_int_div_zero 0
	.end_amdhsa_kernel
	.section	.text._ZN7rocprim17ROCPRIM_400000_NS6detail17trampoline_kernelINS0_14default_configENS1_20scan_config_selectorIfEEZZNS1_9scan_implILNS1_25lookback_scan_determinismE0ELb1ELb1ES3_N6thrust23THRUST_200600_302600_NS6detail15normal_iteratorINS9_10device_ptrIjEEEENSB_INSC_IiEEEEfNS9_4plusIvEEfEEDaPvRmT3_T4_T5_mT6_P12ihipStream_tbENKUlT_T0_E_clISt17integral_constantIbLb0EESV_IbLb1EEEEDaSR_SS_EUlSR_E0_NS1_11comp_targetILNS1_3genE4ELNS1_11target_archE910ELNS1_3gpuE8ELNS1_3repE0EEENS1_30default_config_static_selectorELNS0_4arch9wavefront6targetE1EEEvT1_,"axG",@progbits,_ZN7rocprim17ROCPRIM_400000_NS6detail17trampoline_kernelINS0_14default_configENS1_20scan_config_selectorIfEEZZNS1_9scan_implILNS1_25lookback_scan_determinismE0ELb1ELb1ES3_N6thrust23THRUST_200600_302600_NS6detail15normal_iteratorINS9_10device_ptrIjEEEENSB_INSC_IiEEEEfNS9_4plusIvEEfEEDaPvRmT3_T4_T5_mT6_P12ihipStream_tbENKUlT_T0_E_clISt17integral_constantIbLb0EESV_IbLb1EEEEDaSR_SS_EUlSR_E0_NS1_11comp_targetILNS1_3genE4ELNS1_11target_archE910ELNS1_3gpuE8ELNS1_3repE0EEENS1_30default_config_static_selectorELNS0_4arch9wavefront6targetE1EEEvT1_,comdat
.Lfunc_end6369:
	.size	_ZN7rocprim17ROCPRIM_400000_NS6detail17trampoline_kernelINS0_14default_configENS1_20scan_config_selectorIfEEZZNS1_9scan_implILNS1_25lookback_scan_determinismE0ELb1ELb1ES3_N6thrust23THRUST_200600_302600_NS6detail15normal_iteratorINS9_10device_ptrIjEEEENSB_INSC_IiEEEEfNS9_4plusIvEEfEEDaPvRmT3_T4_T5_mT6_P12ihipStream_tbENKUlT_T0_E_clISt17integral_constantIbLb0EESV_IbLb1EEEEDaSR_SS_EUlSR_E0_NS1_11comp_targetILNS1_3genE4ELNS1_11target_archE910ELNS1_3gpuE8ELNS1_3repE0EEENS1_30default_config_static_selectorELNS0_4arch9wavefront6targetE1EEEvT1_, .Lfunc_end6369-_ZN7rocprim17ROCPRIM_400000_NS6detail17trampoline_kernelINS0_14default_configENS1_20scan_config_selectorIfEEZZNS1_9scan_implILNS1_25lookback_scan_determinismE0ELb1ELb1ES3_N6thrust23THRUST_200600_302600_NS6detail15normal_iteratorINS9_10device_ptrIjEEEENSB_INSC_IiEEEEfNS9_4plusIvEEfEEDaPvRmT3_T4_T5_mT6_P12ihipStream_tbENKUlT_T0_E_clISt17integral_constantIbLb0EESV_IbLb1EEEEDaSR_SS_EUlSR_E0_NS1_11comp_targetILNS1_3genE4ELNS1_11target_archE910ELNS1_3gpuE8ELNS1_3repE0EEENS1_30default_config_static_selectorELNS0_4arch9wavefront6targetE1EEEvT1_
                                        ; -- End function
	.section	.AMDGPU.csdata,"",@progbits
; Kernel info:
; codeLenInByte = 2168
; NumSgprs: 42
; NumVgprs: 24
; NumAgprs: 0
; TotalNumVgprs: 24
; ScratchSize: 0
; MemoryBound: 0
; FloatMode: 240
; IeeeMode: 1
; LDSByteSize: 7168 bytes/workgroup (compile time only)
; SGPRBlocks: 5
; VGPRBlocks: 2
; NumSGPRsForWavesPerEU: 42
; NumVGPRsForWavesPerEU: 24
; AccumOffset: 24
; Occupancy: 5
; WaveLimiterHint : 0
; COMPUTE_PGM_RSRC2:SCRATCH_EN: 0
; COMPUTE_PGM_RSRC2:USER_SGPR: 6
; COMPUTE_PGM_RSRC2:TRAP_HANDLER: 0
; COMPUTE_PGM_RSRC2:TGID_X_EN: 1
; COMPUTE_PGM_RSRC2:TGID_Y_EN: 0
; COMPUTE_PGM_RSRC2:TGID_Z_EN: 0
; COMPUTE_PGM_RSRC2:TIDIG_COMP_CNT: 0
; COMPUTE_PGM_RSRC3_GFX90A:ACCUM_OFFSET: 5
; COMPUTE_PGM_RSRC3_GFX90A:TG_SPLIT: 0
	.section	.text._ZN7rocprim17ROCPRIM_400000_NS6detail17trampoline_kernelINS0_14default_configENS1_20scan_config_selectorIfEEZZNS1_9scan_implILNS1_25lookback_scan_determinismE0ELb1ELb1ES3_N6thrust23THRUST_200600_302600_NS6detail15normal_iteratorINS9_10device_ptrIjEEEENSB_INSC_IiEEEEfNS9_4plusIvEEfEEDaPvRmT3_T4_T5_mT6_P12ihipStream_tbENKUlT_T0_E_clISt17integral_constantIbLb0EESV_IbLb1EEEEDaSR_SS_EUlSR_E0_NS1_11comp_targetILNS1_3genE3ELNS1_11target_archE908ELNS1_3gpuE7ELNS1_3repE0EEENS1_30default_config_static_selectorELNS0_4arch9wavefront6targetE1EEEvT1_,"axG",@progbits,_ZN7rocprim17ROCPRIM_400000_NS6detail17trampoline_kernelINS0_14default_configENS1_20scan_config_selectorIfEEZZNS1_9scan_implILNS1_25lookback_scan_determinismE0ELb1ELb1ES3_N6thrust23THRUST_200600_302600_NS6detail15normal_iteratorINS9_10device_ptrIjEEEENSB_INSC_IiEEEEfNS9_4plusIvEEfEEDaPvRmT3_T4_T5_mT6_P12ihipStream_tbENKUlT_T0_E_clISt17integral_constantIbLb0EESV_IbLb1EEEEDaSR_SS_EUlSR_E0_NS1_11comp_targetILNS1_3genE3ELNS1_11target_archE908ELNS1_3gpuE7ELNS1_3repE0EEENS1_30default_config_static_selectorELNS0_4arch9wavefront6targetE1EEEvT1_,comdat
	.protected	_ZN7rocprim17ROCPRIM_400000_NS6detail17trampoline_kernelINS0_14default_configENS1_20scan_config_selectorIfEEZZNS1_9scan_implILNS1_25lookback_scan_determinismE0ELb1ELb1ES3_N6thrust23THRUST_200600_302600_NS6detail15normal_iteratorINS9_10device_ptrIjEEEENSB_INSC_IiEEEEfNS9_4plusIvEEfEEDaPvRmT3_T4_T5_mT6_P12ihipStream_tbENKUlT_T0_E_clISt17integral_constantIbLb0EESV_IbLb1EEEEDaSR_SS_EUlSR_E0_NS1_11comp_targetILNS1_3genE3ELNS1_11target_archE908ELNS1_3gpuE7ELNS1_3repE0EEENS1_30default_config_static_selectorELNS0_4arch9wavefront6targetE1EEEvT1_ ; -- Begin function _ZN7rocprim17ROCPRIM_400000_NS6detail17trampoline_kernelINS0_14default_configENS1_20scan_config_selectorIfEEZZNS1_9scan_implILNS1_25lookback_scan_determinismE0ELb1ELb1ES3_N6thrust23THRUST_200600_302600_NS6detail15normal_iteratorINS9_10device_ptrIjEEEENSB_INSC_IiEEEEfNS9_4plusIvEEfEEDaPvRmT3_T4_T5_mT6_P12ihipStream_tbENKUlT_T0_E_clISt17integral_constantIbLb0EESV_IbLb1EEEEDaSR_SS_EUlSR_E0_NS1_11comp_targetILNS1_3genE3ELNS1_11target_archE908ELNS1_3gpuE7ELNS1_3repE0EEENS1_30default_config_static_selectorELNS0_4arch9wavefront6targetE1EEEvT1_
	.globl	_ZN7rocprim17ROCPRIM_400000_NS6detail17trampoline_kernelINS0_14default_configENS1_20scan_config_selectorIfEEZZNS1_9scan_implILNS1_25lookback_scan_determinismE0ELb1ELb1ES3_N6thrust23THRUST_200600_302600_NS6detail15normal_iteratorINS9_10device_ptrIjEEEENSB_INSC_IiEEEEfNS9_4plusIvEEfEEDaPvRmT3_T4_T5_mT6_P12ihipStream_tbENKUlT_T0_E_clISt17integral_constantIbLb0EESV_IbLb1EEEEDaSR_SS_EUlSR_E0_NS1_11comp_targetILNS1_3genE3ELNS1_11target_archE908ELNS1_3gpuE7ELNS1_3repE0EEENS1_30default_config_static_selectorELNS0_4arch9wavefront6targetE1EEEvT1_
	.p2align	8
	.type	_ZN7rocprim17ROCPRIM_400000_NS6detail17trampoline_kernelINS0_14default_configENS1_20scan_config_selectorIfEEZZNS1_9scan_implILNS1_25lookback_scan_determinismE0ELb1ELb1ES3_N6thrust23THRUST_200600_302600_NS6detail15normal_iteratorINS9_10device_ptrIjEEEENSB_INSC_IiEEEEfNS9_4plusIvEEfEEDaPvRmT3_T4_T5_mT6_P12ihipStream_tbENKUlT_T0_E_clISt17integral_constantIbLb0EESV_IbLb1EEEEDaSR_SS_EUlSR_E0_NS1_11comp_targetILNS1_3genE3ELNS1_11target_archE908ELNS1_3gpuE7ELNS1_3repE0EEENS1_30default_config_static_selectorELNS0_4arch9wavefront6targetE1EEEvT1_,@function
_ZN7rocprim17ROCPRIM_400000_NS6detail17trampoline_kernelINS0_14default_configENS1_20scan_config_selectorIfEEZZNS1_9scan_implILNS1_25lookback_scan_determinismE0ELb1ELb1ES3_N6thrust23THRUST_200600_302600_NS6detail15normal_iteratorINS9_10device_ptrIjEEEENSB_INSC_IiEEEEfNS9_4plusIvEEfEEDaPvRmT3_T4_T5_mT6_P12ihipStream_tbENKUlT_T0_E_clISt17integral_constantIbLb0EESV_IbLb1EEEEDaSR_SS_EUlSR_E0_NS1_11comp_targetILNS1_3genE3ELNS1_11target_archE908ELNS1_3gpuE7ELNS1_3repE0EEENS1_30default_config_static_selectorELNS0_4arch9wavefront6targetE1EEEvT1_: ; @_ZN7rocprim17ROCPRIM_400000_NS6detail17trampoline_kernelINS0_14default_configENS1_20scan_config_selectorIfEEZZNS1_9scan_implILNS1_25lookback_scan_determinismE0ELb1ELb1ES3_N6thrust23THRUST_200600_302600_NS6detail15normal_iteratorINS9_10device_ptrIjEEEENSB_INSC_IiEEEEfNS9_4plusIvEEfEEDaPvRmT3_T4_T5_mT6_P12ihipStream_tbENKUlT_T0_E_clISt17integral_constantIbLb0EESV_IbLb1EEEEDaSR_SS_EUlSR_E0_NS1_11comp_targetILNS1_3genE3ELNS1_11target_archE908ELNS1_3gpuE7ELNS1_3repE0EEENS1_30default_config_static_selectorELNS0_4arch9wavefront6targetE1EEEvT1_
; %bb.0:
	.section	.rodata,"a",@progbits
	.p2align	6, 0x0
	.amdhsa_kernel _ZN7rocprim17ROCPRIM_400000_NS6detail17trampoline_kernelINS0_14default_configENS1_20scan_config_selectorIfEEZZNS1_9scan_implILNS1_25lookback_scan_determinismE0ELb1ELb1ES3_N6thrust23THRUST_200600_302600_NS6detail15normal_iteratorINS9_10device_ptrIjEEEENSB_INSC_IiEEEEfNS9_4plusIvEEfEEDaPvRmT3_T4_T5_mT6_P12ihipStream_tbENKUlT_T0_E_clISt17integral_constantIbLb0EESV_IbLb1EEEEDaSR_SS_EUlSR_E0_NS1_11comp_targetILNS1_3genE3ELNS1_11target_archE908ELNS1_3gpuE7ELNS1_3repE0EEENS1_30default_config_static_selectorELNS0_4arch9wavefront6targetE1EEEvT1_
		.amdhsa_group_segment_fixed_size 0
		.amdhsa_private_segment_fixed_size 0
		.amdhsa_kernarg_size 32
		.amdhsa_user_sgpr_count 6
		.amdhsa_user_sgpr_private_segment_buffer 1
		.amdhsa_user_sgpr_dispatch_ptr 0
		.amdhsa_user_sgpr_queue_ptr 0
		.amdhsa_user_sgpr_kernarg_segment_ptr 1
		.amdhsa_user_sgpr_dispatch_id 0
		.amdhsa_user_sgpr_flat_scratch_init 0
		.amdhsa_user_sgpr_kernarg_preload_length 0
		.amdhsa_user_sgpr_kernarg_preload_offset 0
		.amdhsa_user_sgpr_private_segment_size 0
		.amdhsa_uses_dynamic_stack 0
		.amdhsa_system_sgpr_private_segment_wavefront_offset 0
		.amdhsa_system_sgpr_workgroup_id_x 1
		.amdhsa_system_sgpr_workgroup_id_y 0
		.amdhsa_system_sgpr_workgroup_id_z 0
		.amdhsa_system_sgpr_workgroup_info 0
		.amdhsa_system_vgpr_workitem_id 0
		.amdhsa_next_free_vgpr 1
		.amdhsa_next_free_sgpr 0
		.amdhsa_accum_offset 4
		.amdhsa_reserve_vcc 0
		.amdhsa_reserve_flat_scratch 0
		.amdhsa_float_round_mode_32 0
		.amdhsa_float_round_mode_16_64 0
		.amdhsa_float_denorm_mode_32 3
		.amdhsa_float_denorm_mode_16_64 3
		.amdhsa_dx10_clamp 1
		.amdhsa_ieee_mode 1
		.amdhsa_fp16_overflow 0
		.amdhsa_tg_split 0
		.amdhsa_exception_fp_ieee_invalid_op 0
		.amdhsa_exception_fp_denorm_src 0
		.amdhsa_exception_fp_ieee_div_zero 0
		.amdhsa_exception_fp_ieee_overflow 0
		.amdhsa_exception_fp_ieee_underflow 0
		.amdhsa_exception_fp_ieee_inexact 0
		.amdhsa_exception_int_div_zero 0
	.end_amdhsa_kernel
	.section	.text._ZN7rocprim17ROCPRIM_400000_NS6detail17trampoline_kernelINS0_14default_configENS1_20scan_config_selectorIfEEZZNS1_9scan_implILNS1_25lookback_scan_determinismE0ELb1ELb1ES3_N6thrust23THRUST_200600_302600_NS6detail15normal_iteratorINS9_10device_ptrIjEEEENSB_INSC_IiEEEEfNS9_4plusIvEEfEEDaPvRmT3_T4_T5_mT6_P12ihipStream_tbENKUlT_T0_E_clISt17integral_constantIbLb0EESV_IbLb1EEEEDaSR_SS_EUlSR_E0_NS1_11comp_targetILNS1_3genE3ELNS1_11target_archE908ELNS1_3gpuE7ELNS1_3repE0EEENS1_30default_config_static_selectorELNS0_4arch9wavefront6targetE1EEEvT1_,"axG",@progbits,_ZN7rocprim17ROCPRIM_400000_NS6detail17trampoline_kernelINS0_14default_configENS1_20scan_config_selectorIfEEZZNS1_9scan_implILNS1_25lookback_scan_determinismE0ELb1ELb1ES3_N6thrust23THRUST_200600_302600_NS6detail15normal_iteratorINS9_10device_ptrIjEEEENSB_INSC_IiEEEEfNS9_4plusIvEEfEEDaPvRmT3_T4_T5_mT6_P12ihipStream_tbENKUlT_T0_E_clISt17integral_constantIbLb0EESV_IbLb1EEEEDaSR_SS_EUlSR_E0_NS1_11comp_targetILNS1_3genE3ELNS1_11target_archE908ELNS1_3gpuE7ELNS1_3repE0EEENS1_30default_config_static_selectorELNS0_4arch9wavefront6targetE1EEEvT1_,comdat
.Lfunc_end6370:
	.size	_ZN7rocprim17ROCPRIM_400000_NS6detail17trampoline_kernelINS0_14default_configENS1_20scan_config_selectorIfEEZZNS1_9scan_implILNS1_25lookback_scan_determinismE0ELb1ELb1ES3_N6thrust23THRUST_200600_302600_NS6detail15normal_iteratorINS9_10device_ptrIjEEEENSB_INSC_IiEEEEfNS9_4plusIvEEfEEDaPvRmT3_T4_T5_mT6_P12ihipStream_tbENKUlT_T0_E_clISt17integral_constantIbLb0EESV_IbLb1EEEEDaSR_SS_EUlSR_E0_NS1_11comp_targetILNS1_3genE3ELNS1_11target_archE908ELNS1_3gpuE7ELNS1_3repE0EEENS1_30default_config_static_selectorELNS0_4arch9wavefront6targetE1EEEvT1_, .Lfunc_end6370-_ZN7rocprim17ROCPRIM_400000_NS6detail17trampoline_kernelINS0_14default_configENS1_20scan_config_selectorIfEEZZNS1_9scan_implILNS1_25lookback_scan_determinismE0ELb1ELb1ES3_N6thrust23THRUST_200600_302600_NS6detail15normal_iteratorINS9_10device_ptrIjEEEENSB_INSC_IiEEEEfNS9_4plusIvEEfEEDaPvRmT3_T4_T5_mT6_P12ihipStream_tbENKUlT_T0_E_clISt17integral_constantIbLb0EESV_IbLb1EEEEDaSR_SS_EUlSR_E0_NS1_11comp_targetILNS1_3genE3ELNS1_11target_archE908ELNS1_3gpuE7ELNS1_3repE0EEENS1_30default_config_static_selectorELNS0_4arch9wavefront6targetE1EEEvT1_
                                        ; -- End function
	.section	.AMDGPU.csdata,"",@progbits
; Kernel info:
; codeLenInByte = 0
; NumSgprs: 4
; NumVgprs: 0
; NumAgprs: 0
; TotalNumVgprs: 0
; ScratchSize: 0
; MemoryBound: 0
; FloatMode: 240
; IeeeMode: 1
; LDSByteSize: 0 bytes/workgroup (compile time only)
; SGPRBlocks: 0
; VGPRBlocks: 0
; NumSGPRsForWavesPerEU: 4
; NumVGPRsForWavesPerEU: 1
; AccumOffset: 4
; Occupancy: 8
; WaveLimiterHint : 0
; COMPUTE_PGM_RSRC2:SCRATCH_EN: 0
; COMPUTE_PGM_RSRC2:USER_SGPR: 6
; COMPUTE_PGM_RSRC2:TRAP_HANDLER: 0
; COMPUTE_PGM_RSRC2:TGID_X_EN: 1
; COMPUTE_PGM_RSRC2:TGID_Y_EN: 0
; COMPUTE_PGM_RSRC2:TGID_Z_EN: 0
; COMPUTE_PGM_RSRC2:TIDIG_COMP_CNT: 0
; COMPUTE_PGM_RSRC3_GFX90A:ACCUM_OFFSET: 0
; COMPUTE_PGM_RSRC3_GFX90A:TG_SPLIT: 0
	.section	.text._ZN7rocprim17ROCPRIM_400000_NS6detail17trampoline_kernelINS0_14default_configENS1_20scan_config_selectorIfEEZZNS1_9scan_implILNS1_25lookback_scan_determinismE0ELb1ELb1ES3_N6thrust23THRUST_200600_302600_NS6detail15normal_iteratorINS9_10device_ptrIjEEEENSB_INSC_IiEEEEfNS9_4plusIvEEfEEDaPvRmT3_T4_T5_mT6_P12ihipStream_tbENKUlT_T0_E_clISt17integral_constantIbLb0EESV_IbLb1EEEEDaSR_SS_EUlSR_E0_NS1_11comp_targetILNS1_3genE2ELNS1_11target_archE906ELNS1_3gpuE6ELNS1_3repE0EEENS1_30default_config_static_selectorELNS0_4arch9wavefront6targetE1EEEvT1_,"axG",@progbits,_ZN7rocprim17ROCPRIM_400000_NS6detail17trampoline_kernelINS0_14default_configENS1_20scan_config_selectorIfEEZZNS1_9scan_implILNS1_25lookback_scan_determinismE0ELb1ELb1ES3_N6thrust23THRUST_200600_302600_NS6detail15normal_iteratorINS9_10device_ptrIjEEEENSB_INSC_IiEEEEfNS9_4plusIvEEfEEDaPvRmT3_T4_T5_mT6_P12ihipStream_tbENKUlT_T0_E_clISt17integral_constantIbLb0EESV_IbLb1EEEEDaSR_SS_EUlSR_E0_NS1_11comp_targetILNS1_3genE2ELNS1_11target_archE906ELNS1_3gpuE6ELNS1_3repE0EEENS1_30default_config_static_selectorELNS0_4arch9wavefront6targetE1EEEvT1_,comdat
	.protected	_ZN7rocprim17ROCPRIM_400000_NS6detail17trampoline_kernelINS0_14default_configENS1_20scan_config_selectorIfEEZZNS1_9scan_implILNS1_25lookback_scan_determinismE0ELb1ELb1ES3_N6thrust23THRUST_200600_302600_NS6detail15normal_iteratorINS9_10device_ptrIjEEEENSB_INSC_IiEEEEfNS9_4plusIvEEfEEDaPvRmT3_T4_T5_mT6_P12ihipStream_tbENKUlT_T0_E_clISt17integral_constantIbLb0EESV_IbLb1EEEEDaSR_SS_EUlSR_E0_NS1_11comp_targetILNS1_3genE2ELNS1_11target_archE906ELNS1_3gpuE6ELNS1_3repE0EEENS1_30default_config_static_selectorELNS0_4arch9wavefront6targetE1EEEvT1_ ; -- Begin function _ZN7rocprim17ROCPRIM_400000_NS6detail17trampoline_kernelINS0_14default_configENS1_20scan_config_selectorIfEEZZNS1_9scan_implILNS1_25lookback_scan_determinismE0ELb1ELb1ES3_N6thrust23THRUST_200600_302600_NS6detail15normal_iteratorINS9_10device_ptrIjEEEENSB_INSC_IiEEEEfNS9_4plusIvEEfEEDaPvRmT3_T4_T5_mT6_P12ihipStream_tbENKUlT_T0_E_clISt17integral_constantIbLb0EESV_IbLb1EEEEDaSR_SS_EUlSR_E0_NS1_11comp_targetILNS1_3genE2ELNS1_11target_archE906ELNS1_3gpuE6ELNS1_3repE0EEENS1_30default_config_static_selectorELNS0_4arch9wavefront6targetE1EEEvT1_
	.globl	_ZN7rocprim17ROCPRIM_400000_NS6detail17trampoline_kernelINS0_14default_configENS1_20scan_config_selectorIfEEZZNS1_9scan_implILNS1_25lookback_scan_determinismE0ELb1ELb1ES3_N6thrust23THRUST_200600_302600_NS6detail15normal_iteratorINS9_10device_ptrIjEEEENSB_INSC_IiEEEEfNS9_4plusIvEEfEEDaPvRmT3_T4_T5_mT6_P12ihipStream_tbENKUlT_T0_E_clISt17integral_constantIbLb0EESV_IbLb1EEEEDaSR_SS_EUlSR_E0_NS1_11comp_targetILNS1_3genE2ELNS1_11target_archE906ELNS1_3gpuE6ELNS1_3repE0EEENS1_30default_config_static_selectorELNS0_4arch9wavefront6targetE1EEEvT1_
	.p2align	8
	.type	_ZN7rocprim17ROCPRIM_400000_NS6detail17trampoline_kernelINS0_14default_configENS1_20scan_config_selectorIfEEZZNS1_9scan_implILNS1_25lookback_scan_determinismE0ELb1ELb1ES3_N6thrust23THRUST_200600_302600_NS6detail15normal_iteratorINS9_10device_ptrIjEEEENSB_INSC_IiEEEEfNS9_4plusIvEEfEEDaPvRmT3_T4_T5_mT6_P12ihipStream_tbENKUlT_T0_E_clISt17integral_constantIbLb0EESV_IbLb1EEEEDaSR_SS_EUlSR_E0_NS1_11comp_targetILNS1_3genE2ELNS1_11target_archE906ELNS1_3gpuE6ELNS1_3repE0EEENS1_30default_config_static_selectorELNS0_4arch9wavefront6targetE1EEEvT1_,@function
_ZN7rocprim17ROCPRIM_400000_NS6detail17trampoline_kernelINS0_14default_configENS1_20scan_config_selectorIfEEZZNS1_9scan_implILNS1_25lookback_scan_determinismE0ELb1ELb1ES3_N6thrust23THRUST_200600_302600_NS6detail15normal_iteratorINS9_10device_ptrIjEEEENSB_INSC_IiEEEEfNS9_4plusIvEEfEEDaPvRmT3_T4_T5_mT6_P12ihipStream_tbENKUlT_T0_E_clISt17integral_constantIbLb0EESV_IbLb1EEEEDaSR_SS_EUlSR_E0_NS1_11comp_targetILNS1_3genE2ELNS1_11target_archE906ELNS1_3gpuE6ELNS1_3repE0EEENS1_30default_config_static_selectorELNS0_4arch9wavefront6targetE1EEEvT1_: ; @_ZN7rocprim17ROCPRIM_400000_NS6detail17trampoline_kernelINS0_14default_configENS1_20scan_config_selectorIfEEZZNS1_9scan_implILNS1_25lookback_scan_determinismE0ELb1ELb1ES3_N6thrust23THRUST_200600_302600_NS6detail15normal_iteratorINS9_10device_ptrIjEEEENSB_INSC_IiEEEEfNS9_4plusIvEEfEEDaPvRmT3_T4_T5_mT6_P12ihipStream_tbENKUlT_T0_E_clISt17integral_constantIbLb0EESV_IbLb1EEEEDaSR_SS_EUlSR_E0_NS1_11comp_targetILNS1_3genE2ELNS1_11target_archE906ELNS1_3gpuE6ELNS1_3repE0EEENS1_30default_config_static_selectorELNS0_4arch9wavefront6targetE1EEEvT1_
; %bb.0:
	.section	.rodata,"a",@progbits
	.p2align	6, 0x0
	.amdhsa_kernel _ZN7rocprim17ROCPRIM_400000_NS6detail17trampoline_kernelINS0_14default_configENS1_20scan_config_selectorIfEEZZNS1_9scan_implILNS1_25lookback_scan_determinismE0ELb1ELb1ES3_N6thrust23THRUST_200600_302600_NS6detail15normal_iteratorINS9_10device_ptrIjEEEENSB_INSC_IiEEEEfNS9_4plusIvEEfEEDaPvRmT3_T4_T5_mT6_P12ihipStream_tbENKUlT_T0_E_clISt17integral_constantIbLb0EESV_IbLb1EEEEDaSR_SS_EUlSR_E0_NS1_11comp_targetILNS1_3genE2ELNS1_11target_archE906ELNS1_3gpuE6ELNS1_3repE0EEENS1_30default_config_static_selectorELNS0_4arch9wavefront6targetE1EEEvT1_
		.amdhsa_group_segment_fixed_size 0
		.amdhsa_private_segment_fixed_size 0
		.amdhsa_kernarg_size 32
		.amdhsa_user_sgpr_count 6
		.amdhsa_user_sgpr_private_segment_buffer 1
		.amdhsa_user_sgpr_dispatch_ptr 0
		.amdhsa_user_sgpr_queue_ptr 0
		.amdhsa_user_sgpr_kernarg_segment_ptr 1
		.amdhsa_user_sgpr_dispatch_id 0
		.amdhsa_user_sgpr_flat_scratch_init 0
		.amdhsa_user_sgpr_kernarg_preload_length 0
		.amdhsa_user_sgpr_kernarg_preload_offset 0
		.amdhsa_user_sgpr_private_segment_size 0
		.amdhsa_uses_dynamic_stack 0
		.amdhsa_system_sgpr_private_segment_wavefront_offset 0
		.amdhsa_system_sgpr_workgroup_id_x 1
		.amdhsa_system_sgpr_workgroup_id_y 0
		.amdhsa_system_sgpr_workgroup_id_z 0
		.amdhsa_system_sgpr_workgroup_info 0
		.amdhsa_system_vgpr_workitem_id 0
		.amdhsa_next_free_vgpr 1
		.amdhsa_next_free_sgpr 0
		.amdhsa_accum_offset 4
		.amdhsa_reserve_vcc 0
		.amdhsa_reserve_flat_scratch 0
		.amdhsa_float_round_mode_32 0
		.amdhsa_float_round_mode_16_64 0
		.amdhsa_float_denorm_mode_32 3
		.amdhsa_float_denorm_mode_16_64 3
		.amdhsa_dx10_clamp 1
		.amdhsa_ieee_mode 1
		.amdhsa_fp16_overflow 0
		.amdhsa_tg_split 0
		.amdhsa_exception_fp_ieee_invalid_op 0
		.amdhsa_exception_fp_denorm_src 0
		.amdhsa_exception_fp_ieee_div_zero 0
		.amdhsa_exception_fp_ieee_overflow 0
		.amdhsa_exception_fp_ieee_underflow 0
		.amdhsa_exception_fp_ieee_inexact 0
		.amdhsa_exception_int_div_zero 0
	.end_amdhsa_kernel
	.section	.text._ZN7rocprim17ROCPRIM_400000_NS6detail17trampoline_kernelINS0_14default_configENS1_20scan_config_selectorIfEEZZNS1_9scan_implILNS1_25lookback_scan_determinismE0ELb1ELb1ES3_N6thrust23THRUST_200600_302600_NS6detail15normal_iteratorINS9_10device_ptrIjEEEENSB_INSC_IiEEEEfNS9_4plusIvEEfEEDaPvRmT3_T4_T5_mT6_P12ihipStream_tbENKUlT_T0_E_clISt17integral_constantIbLb0EESV_IbLb1EEEEDaSR_SS_EUlSR_E0_NS1_11comp_targetILNS1_3genE2ELNS1_11target_archE906ELNS1_3gpuE6ELNS1_3repE0EEENS1_30default_config_static_selectorELNS0_4arch9wavefront6targetE1EEEvT1_,"axG",@progbits,_ZN7rocprim17ROCPRIM_400000_NS6detail17trampoline_kernelINS0_14default_configENS1_20scan_config_selectorIfEEZZNS1_9scan_implILNS1_25lookback_scan_determinismE0ELb1ELb1ES3_N6thrust23THRUST_200600_302600_NS6detail15normal_iteratorINS9_10device_ptrIjEEEENSB_INSC_IiEEEEfNS9_4plusIvEEfEEDaPvRmT3_T4_T5_mT6_P12ihipStream_tbENKUlT_T0_E_clISt17integral_constantIbLb0EESV_IbLb1EEEEDaSR_SS_EUlSR_E0_NS1_11comp_targetILNS1_3genE2ELNS1_11target_archE906ELNS1_3gpuE6ELNS1_3repE0EEENS1_30default_config_static_selectorELNS0_4arch9wavefront6targetE1EEEvT1_,comdat
.Lfunc_end6371:
	.size	_ZN7rocprim17ROCPRIM_400000_NS6detail17trampoline_kernelINS0_14default_configENS1_20scan_config_selectorIfEEZZNS1_9scan_implILNS1_25lookback_scan_determinismE0ELb1ELb1ES3_N6thrust23THRUST_200600_302600_NS6detail15normal_iteratorINS9_10device_ptrIjEEEENSB_INSC_IiEEEEfNS9_4plusIvEEfEEDaPvRmT3_T4_T5_mT6_P12ihipStream_tbENKUlT_T0_E_clISt17integral_constantIbLb0EESV_IbLb1EEEEDaSR_SS_EUlSR_E0_NS1_11comp_targetILNS1_3genE2ELNS1_11target_archE906ELNS1_3gpuE6ELNS1_3repE0EEENS1_30default_config_static_selectorELNS0_4arch9wavefront6targetE1EEEvT1_, .Lfunc_end6371-_ZN7rocprim17ROCPRIM_400000_NS6detail17trampoline_kernelINS0_14default_configENS1_20scan_config_selectorIfEEZZNS1_9scan_implILNS1_25lookback_scan_determinismE0ELb1ELb1ES3_N6thrust23THRUST_200600_302600_NS6detail15normal_iteratorINS9_10device_ptrIjEEEENSB_INSC_IiEEEEfNS9_4plusIvEEfEEDaPvRmT3_T4_T5_mT6_P12ihipStream_tbENKUlT_T0_E_clISt17integral_constantIbLb0EESV_IbLb1EEEEDaSR_SS_EUlSR_E0_NS1_11comp_targetILNS1_3genE2ELNS1_11target_archE906ELNS1_3gpuE6ELNS1_3repE0EEENS1_30default_config_static_selectorELNS0_4arch9wavefront6targetE1EEEvT1_
                                        ; -- End function
	.section	.AMDGPU.csdata,"",@progbits
; Kernel info:
; codeLenInByte = 0
; NumSgprs: 4
; NumVgprs: 0
; NumAgprs: 0
; TotalNumVgprs: 0
; ScratchSize: 0
; MemoryBound: 0
; FloatMode: 240
; IeeeMode: 1
; LDSByteSize: 0 bytes/workgroup (compile time only)
; SGPRBlocks: 0
; VGPRBlocks: 0
; NumSGPRsForWavesPerEU: 4
; NumVGPRsForWavesPerEU: 1
; AccumOffset: 4
; Occupancy: 8
; WaveLimiterHint : 0
; COMPUTE_PGM_RSRC2:SCRATCH_EN: 0
; COMPUTE_PGM_RSRC2:USER_SGPR: 6
; COMPUTE_PGM_RSRC2:TRAP_HANDLER: 0
; COMPUTE_PGM_RSRC2:TGID_X_EN: 1
; COMPUTE_PGM_RSRC2:TGID_Y_EN: 0
; COMPUTE_PGM_RSRC2:TGID_Z_EN: 0
; COMPUTE_PGM_RSRC2:TIDIG_COMP_CNT: 0
; COMPUTE_PGM_RSRC3_GFX90A:ACCUM_OFFSET: 0
; COMPUTE_PGM_RSRC3_GFX90A:TG_SPLIT: 0
	.section	.text._ZN7rocprim17ROCPRIM_400000_NS6detail17trampoline_kernelINS0_14default_configENS1_20scan_config_selectorIfEEZZNS1_9scan_implILNS1_25lookback_scan_determinismE0ELb1ELb1ES3_N6thrust23THRUST_200600_302600_NS6detail15normal_iteratorINS9_10device_ptrIjEEEENSB_INSC_IiEEEEfNS9_4plusIvEEfEEDaPvRmT3_T4_T5_mT6_P12ihipStream_tbENKUlT_T0_E_clISt17integral_constantIbLb0EESV_IbLb1EEEEDaSR_SS_EUlSR_E0_NS1_11comp_targetILNS1_3genE10ELNS1_11target_archE1201ELNS1_3gpuE5ELNS1_3repE0EEENS1_30default_config_static_selectorELNS0_4arch9wavefront6targetE1EEEvT1_,"axG",@progbits,_ZN7rocprim17ROCPRIM_400000_NS6detail17trampoline_kernelINS0_14default_configENS1_20scan_config_selectorIfEEZZNS1_9scan_implILNS1_25lookback_scan_determinismE0ELb1ELb1ES3_N6thrust23THRUST_200600_302600_NS6detail15normal_iteratorINS9_10device_ptrIjEEEENSB_INSC_IiEEEEfNS9_4plusIvEEfEEDaPvRmT3_T4_T5_mT6_P12ihipStream_tbENKUlT_T0_E_clISt17integral_constantIbLb0EESV_IbLb1EEEEDaSR_SS_EUlSR_E0_NS1_11comp_targetILNS1_3genE10ELNS1_11target_archE1201ELNS1_3gpuE5ELNS1_3repE0EEENS1_30default_config_static_selectorELNS0_4arch9wavefront6targetE1EEEvT1_,comdat
	.protected	_ZN7rocprim17ROCPRIM_400000_NS6detail17trampoline_kernelINS0_14default_configENS1_20scan_config_selectorIfEEZZNS1_9scan_implILNS1_25lookback_scan_determinismE0ELb1ELb1ES3_N6thrust23THRUST_200600_302600_NS6detail15normal_iteratorINS9_10device_ptrIjEEEENSB_INSC_IiEEEEfNS9_4plusIvEEfEEDaPvRmT3_T4_T5_mT6_P12ihipStream_tbENKUlT_T0_E_clISt17integral_constantIbLb0EESV_IbLb1EEEEDaSR_SS_EUlSR_E0_NS1_11comp_targetILNS1_3genE10ELNS1_11target_archE1201ELNS1_3gpuE5ELNS1_3repE0EEENS1_30default_config_static_selectorELNS0_4arch9wavefront6targetE1EEEvT1_ ; -- Begin function _ZN7rocprim17ROCPRIM_400000_NS6detail17trampoline_kernelINS0_14default_configENS1_20scan_config_selectorIfEEZZNS1_9scan_implILNS1_25lookback_scan_determinismE0ELb1ELb1ES3_N6thrust23THRUST_200600_302600_NS6detail15normal_iteratorINS9_10device_ptrIjEEEENSB_INSC_IiEEEEfNS9_4plusIvEEfEEDaPvRmT3_T4_T5_mT6_P12ihipStream_tbENKUlT_T0_E_clISt17integral_constantIbLb0EESV_IbLb1EEEEDaSR_SS_EUlSR_E0_NS1_11comp_targetILNS1_3genE10ELNS1_11target_archE1201ELNS1_3gpuE5ELNS1_3repE0EEENS1_30default_config_static_selectorELNS0_4arch9wavefront6targetE1EEEvT1_
	.globl	_ZN7rocprim17ROCPRIM_400000_NS6detail17trampoline_kernelINS0_14default_configENS1_20scan_config_selectorIfEEZZNS1_9scan_implILNS1_25lookback_scan_determinismE0ELb1ELb1ES3_N6thrust23THRUST_200600_302600_NS6detail15normal_iteratorINS9_10device_ptrIjEEEENSB_INSC_IiEEEEfNS9_4plusIvEEfEEDaPvRmT3_T4_T5_mT6_P12ihipStream_tbENKUlT_T0_E_clISt17integral_constantIbLb0EESV_IbLb1EEEEDaSR_SS_EUlSR_E0_NS1_11comp_targetILNS1_3genE10ELNS1_11target_archE1201ELNS1_3gpuE5ELNS1_3repE0EEENS1_30default_config_static_selectorELNS0_4arch9wavefront6targetE1EEEvT1_
	.p2align	8
	.type	_ZN7rocprim17ROCPRIM_400000_NS6detail17trampoline_kernelINS0_14default_configENS1_20scan_config_selectorIfEEZZNS1_9scan_implILNS1_25lookback_scan_determinismE0ELb1ELb1ES3_N6thrust23THRUST_200600_302600_NS6detail15normal_iteratorINS9_10device_ptrIjEEEENSB_INSC_IiEEEEfNS9_4plusIvEEfEEDaPvRmT3_T4_T5_mT6_P12ihipStream_tbENKUlT_T0_E_clISt17integral_constantIbLb0EESV_IbLb1EEEEDaSR_SS_EUlSR_E0_NS1_11comp_targetILNS1_3genE10ELNS1_11target_archE1201ELNS1_3gpuE5ELNS1_3repE0EEENS1_30default_config_static_selectorELNS0_4arch9wavefront6targetE1EEEvT1_,@function
_ZN7rocprim17ROCPRIM_400000_NS6detail17trampoline_kernelINS0_14default_configENS1_20scan_config_selectorIfEEZZNS1_9scan_implILNS1_25lookback_scan_determinismE0ELb1ELb1ES3_N6thrust23THRUST_200600_302600_NS6detail15normal_iteratorINS9_10device_ptrIjEEEENSB_INSC_IiEEEEfNS9_4plusIvEEfEEDaPvRmT3_T4_T5_mT6_P12ihipStream_tbENKUlT_T0_E_clISt17integral_constantIbLb0EESV_IbLb1EEEEDaSR_SS_EUlSR_E0_NS1_11comp_targetILNS1_3genE10ELNS1_11target_archE1201ELNS1_3gpuE5ELNS1_3repE0EEENS1_30default_config_static_selectorELNS0_4arch9wavefront6targetE1EEEvT1_: ; @_ZN7rocprim17ROCPRIM_400000_NS6detail17trampoline_kernelINS0_14default_configENS1_20scan_config_selectorIfEEZZNS1_9scan_implILNS1_25lookback_scan_determinismE0ELb1ELb1ES3_N6thrust23THRUST_200600_302600_NS6detail15normal_iteratorINS9_10device_ptrIjEEEENSB_INSC_IiEEEEfNS9_4plusIvEEfEEDaPvRmT3_T4_T5_mT6_P12ihipStream_tbENKUlT_T0_E_clISt17integral_constantIbLb0EESV_IbLb1EEEEDaSR_SS_EUlSR_E0_NS1_11comp_targetILNS1_3genE10ELNS1_11target_archE1201ELNS1_3gpuE5ELNS1_3repE0EEENS1_30default_config_static_selectorELNS0_4arch9wavefront6targetE1EEEvT1_
; %bb.0:
	.section	.rodata,"a",@progbits
	.p2align	6, 0x0
	.amdhsa_kernel _ZN7rocprim17ROCPRIM_400000_NS6detail17trampoline_kernelINS0_14default_configENS1_20scan_config_selectorIfEEZZNS1_9scan_implILNS1_25lookback_scan_determinismE0ELb1ELb1ES3_N6thrust23THRUST_200600_302600_NS6detail15normal_iteratorINS9_10device_ptrIjEEEENSB_INSC_IiEEEEfNS9_4plusIvEEfEEDaPvRmT3_T4_T5_mT6_P12ihipStream_tbENKUlT_T0_E_clISt17integral_constantIbLb0EESV_IbLb1EEEEDaSR_SS_EUlSR_E0_NS1_11comp_targetILNS1_3genE10ELNS1_11target_archE1201ELNS1_3gpuE5ELNS1_3repE0EEENS1_30default_config_static_selectorELNS0_4arch9wavefront6targetE1EEEvT1_
		.amdhsa_group_segment_fixed_size 0
		.amdhsa_private_segment_fixed_size 0
		.amdhsa_kernarg_size 32
		.amdhsa_user_sgpr_count 6
		.amdhsa_user_sgpr_private_segment_buffer 1
		.amdhsa_user_sgpr_dispatch_ptr 0
		.amdhsa_user_sgpr_queue_ptr 0
		.amdhsa_user_sgpr_kernarg_segment_ptr 1
		.amdhsa_user_sgpr_dispatch_id 0
		.amdhsa_user_sgpr_flat_scratch_init 0
		.amdhsa_user_sgpr_kernarg_preload_length 0
		.amdhsa_user_sgpr_kernarg_preload_offset 0
		.amdhsa_user_sgpr_private_segment_size 0
		.amdhsa_uses_dynamic_stack 0
		.amdhsa_system_sgpr_private_segment_wavefront_offset 0
		.amdhsa_system_sgpr_workgroup_id_x 1
		.amdhsa_system_sgpr_workgroup_id_y 0
		.amdhsa_system_sgpr_workgroup_id_z 0
		.amdhsa_system_sgpr_workgroup_info 0
		.amdhsa_system_vgpr_workitem_id 0
		.amdhsa_next_free_vgpr 1
		.amdhsa_next_free_sgpr 0
		.amdhsa_accum_offset 4
		.amdhsa_reserve_vcc 0
		.amdhsa_reserve_flat_scratch 0
		.amdhsa_float_round_mode_32 0
		.amdhsa_float_round_mode_16_64 0
		.amdhsa_float_denorm_mode_32 3
		.amdhsa_float_denorm_mode_16_64 3
		.amdhsa_dx10_clamp 1
		.amdhsa_ieee_mode 1
		.amdhsa_fp16_overflow 0
		.amdhsa_tg_split 0
		.amdhsa_exception_fp_ieee_invalid_op 0
		.amdhsa_exception_fp_denorm_src 0
		.amdhsa_exception_fp_ieee_div_zero 0
		.amdhsa_exception_fp_ieee_overflow 0
		.amdhsa_exception_fp_ieee_underflow 0
		.amdhsa_exception_fp_ieee_inexact 0
		.amdhsa_exception_int_div_zero 0
	.end_amdhsa_kernel
	.section	.text._ZN7rocprim17ROCPRIM_400000_NS6detail17trampoline_kernelINS0_14default_configENS1_20scan_config_selectorIfEEZZNS1_9scan_implILNS1_25lookback_scan_determinismE0ELb1ELb1ES3_N6thrust23THRUST_200600_302600_NS6detail15normal_iteratorINS9_10device_ptrIjEEEENSB_INSC_IiEEEEfNS9_4plusIvEEfEEDaPvRmT3_T4_T5_mT6_P12ihipStream_tbENKUlT_T0_E_clISt17integral_constantIbLb0EESV_IbLb1EEEEDaSR_SS_EUlSR_E0_NS1_11comp_targetILNS1_3genE10ELNS1_11target_archE1201ELNS1_3gpuE5ELNS1_3repE0EEENS1_30default_config_static_selectorELNS0_4arch9wavefront6targetE1EEEvT1_,"axG",@progbits,_ZN7rocprim17ROCPRIM_400000_NS6detail17trampoline_kernelINS0_14default_configENS1_20scan_config_selectorIfEEZZNS1_9scan_implILNS1_25lookback_scan_determinismE0ELb1ELb1ES3_N6thrust23THRUST_200600_302600_NS6detail15normal_iteratorINS9_10device_ptrIjEEEENSB_INSC_IiEEEEfNS9_4plusIvEEfEEDaPvRmT3_T4_T5_mT6_P12ihipStream_tbENKUlT_T0_E_clISt17integral_constantIbLb0EESV_IbLb1EEEEDaSR_SS_EUlSR_E0_NS1_11comp_targetILNS1_3genE10ELNS1_11target_archE1201ELNS1_3gpuE5ELNS1_3repE0EEENS1_30default_config_static_selectorELNS0_4arch9wavefront6targetE1EEEvT1_,comdat
.Lfunc_end6372:
	.size	_ZN7rocprim17ROCPRIM_400000_NS6detail17trampoline_kernelINS0_14default_configENS1_20scan_config_selectorIfEEZZNS1_9scan_implILNS1_25lookback_scan_determinismE0ELb1ELb1ES3_N6thrust23THRUST_200600_302600_NS6detail15normal_iteratorINS9_10device_ptrIjEEEENSB_INSC_IiEEEEfNS9_4plusIvEEfEEDaPvRmT3_T4_T5_mT6_P12ihipStream_tbENKUlT_T0_E_clISt17integral_constantIbLb0EESV_IbLb1EEEEDaSR_SS_EUlSR_E0_NS1_11comp_targetILNS1_3genE10ELNS1_11target_archE1201ELNS1_3gpuE5ELNS1_3repE0EEENS1_30default_config_static_selectorELNS0_4arch9wavefront6targetE1EEEvT1_, .Lfunc_end6372-_ZN7rocprim17ROCPRIM_400000_NS6detail17trampoline_kernelINS0_14default_configENS1_20scan_config_selectorIfEEZZNS1_9scan_implILNS1_25lookback_scan_determinismE0ELb1ELb1ES3_N6thrust23THRUST_200600_302600_NS6detail15normal_iteratorINS9_10device_ptrIjEEEENSB_INSC_IiEEEEfNS9_4plusIvEEfEEDaPvRmT3_T4_T5_mT6_P12ihipStream_tbENKUlT_T0_E_clISt17integral_constantIbLb0EESV_IbLb1EEEEDaSR_SS_EUlSR_E0_NS1_11comp_targetILNS1_3genE10ELNS1_11target_archE1201ELNS1_3gpuE5ELNS1_3repE0EEENS1_30default_config_static_selectorELNS0_4arch9wavefront6targetE1EEEvT1_
                                        ; -- End function
	.section	.AMDGPU.csdata,"",@progbits
; Kernel info:
; codeLenInByte = 0
; NumSgprs: 4
; NumVgprs: 0
; NumAgprs: 0
; TotalNumVgprs: 0
; ScratchSize: 0
; MemoryBound: 0
; FloatMode: 240
; IeeeMode: 1
; LDSByteSize: 0 bytes/workgroup (compile time only)
; SGPRBlocks: 0
; VGPRBlocks: 0
; NumSGPRsForWavesPerEU: 4
; NumVGPRsForWavesPerEU: 1
; AccumOffset: 4
; Occupancy: 8
; WaveLimiterHint : 0
; COMPUTE_PGM_RSRC2:SCRATCH_EN: 0
; COMPUTE_PGM_RSRC2:USER_SGPR: 6
; COMPUTE_PGM_RSRC2:TRAP_HANDLER: 0
; COMPUTE_PGM_RSRC2:TGID_X_EN: 1
; COMPUTE_PGM_RSRC2:TGID_Y_EN: 0
; COMPUTE_PGM_RSRC2:TGID_Z_EN: 0
; COMPUTE_PGM_RSRC2:TIDIG_COMP_CNT: 0
; COMPUTE_PGM_RSRC3_GFX90A:ACCUM_OFFSET: 0
; COMPUTE_PGM_RSRC3_GFX90A:TG_SPLIT: 0
	.section	.text._ZN7rocprim17ROCPRIM_400000_NS6detail17trampoline_kernelINS0_14default_configENS1_20scan_config_selectorIfEEZZNS1_9scan_implILNS1_25lookback_scan_determinismE0ELb1ELb1ES3_N6thrust23THRUST_200600_302600_NS6detail15normal_iteratorINS9_10device_ptrIjEEEENSB_INSC_IiEEEEfNS9_4plusIvEEfEEDaPvRmT3_T4_T5_mT6_P12ihipStream_tbENKUlT_T0_E_clISt17integral_constantIbLb0EESV_IbLb1EEEEDaSR_SS_EUlSR_E0_NS1_11comp_targetILNS1_3genE10ELNS1_11target_archE1200ELNS1_3gpuE4ELNS1_3repE0EEENS1_30default_config_static_selectorELNS0_4arch9wavefront6targetE1EEEvT1_,"axG",@progbits,_ZN7rocprim17ROCPRIM_400000_NS6detail17trampoline_kernelINS0_14default_configENS1_20scan_config_selectorIfEEZZNS1_9scan_implILNS1_25lookback_scan_determinismE0ELb1ELb1ES3_N6thrust23THRUST_200600_302600_NS6detail15normal_iteratorINS9_10device_ptrIjEEEENSB_INSC_IiEEEEfNS9_4plusIvEEfEEDaPvRmT3_T4_T5_mT6_P12ihipStream_tbENKUlT_T0_E_clISt17integral_constantIbLb0EESV_IbLb1EEEEDaSR_SS_EUlSR_E0_NS1_11comp_targetILNS1_3genE10ELNS1_11target_archE1200ELNS1_3gpuE4ELNS1_3repE0EEENS1_30default_config_static_selectorELNS0_4arch9wavefront6targetE1EEEvT1_,comdat
	.protected	_ZN7rocprim17ROCPRIM_400000_NS6detail17trampoline_kernelINS0_14default_configENS1_20scan_config_selectorIfEEZZNS1_9scan_implILNS1_25lookback_scan_determinismE0ELb1ELb1ES3_N6thrust23THRUST_200600_302600_NS6detail15normal_iteratorINS9_10device_ptrIjEEEENSB_INSC_IiEEEEfNS9_4plusIvEEfEEDaPvRmT3_T4_T5_mT6_P12ihipStream_tbENKUlT_T0_E_clISt17integral_constantIbLb0EESV_IbLb1EEEEDaSR_SS_EUlSR_E0_NS1_11comp_targetILNS1_3genE10ELNS1_11target_archE1200ELNS1_3gpuE4ELNS1_3repE0EEENS1_30default_config_static_selectorELNS0_4arch9wavefront6targetE1EEEvT1_ ; -- Begin function _ZN7rocprim17ROCPRIM_400000_NS6detail17trampoline_kernelINS0_14default_configENS1_20scan_config_selectorIfEEZZNS1_9scan_implILNS1_25lookback_scan_determinismE0ELb1ELb1ES3_N6thrust23THRUST_200600_302600_NS6detail15normal_iteratorINS9_10device_ptrIjEEEENSB_INSC_IiEEEEfNS9_4plusIvEEfEEDaPvRmT3_T4_T5_mT6_P12ihipStream_tbENKUlT_T0_E_clISt17integral_constantIbLb0EESV_IbLb1EEEEDaSR_SS_EUlSR_E0_NS1_11comp_targetILNS1_3genE10ELNS1_11target_archE1200ELNS1_3gpuE4ELNS1_3repE0EEENS1_30default_config_static_selectorELNS0_4arch9wavefront6targetE1EEEvT1_
	.globl	_ZN7rocprim17ROCPRIM_400000_NS6detail17trampoline_kernelINS0_14default_configENS1_20scan_config_selectorIfEEZZNS1_9scan_implILNS1_25lookback_scan_determinismE0ELb1ELb1ES3_N6thrust23THRUST_200600_302600_NS6detail15normal_iteratorINS9_10device_ptrIjEEEENSB_INSC_IiEEEEfNS9_4plusIvEEfEEDaPvRmT3_T4_T5_mT6_P12ihipStream_tbENKUlT_T0_E_clISt17integral_constantIbLb0EESV_IbLb1EEEEDaSR_SS_EUlSR_E0_NS1_11comp_targetILNS1_3genE10ELNS1_11target_archE1200ELNS1_3gpuE4ELNS1_3repE0EEENS1_30default_config_static_selectorELNS0_4arch9wavefront6targetE1EEEvT1_
	.p2align	8
	.type	_ZN7rocprim17ROCPRIM_400000_NS6detail17trampoline_kernelINS0_14default_configENS1_20scan_config_selectorIfEEZZNS1_9scan_implILNS1_25lookback_scan_determinismE0ELb1ELb1ES3_N6thrust23THRUST_200600_302600_NS6detail15normal_iteratorINS9_10device_ptrIjEEEENSB_INSC_IiEEEEfNS9_4plusIvEEfEEDaPvRmT3_T4_T5_mT6_P12ihipStream_tbENKUlT_T0_E_clISt17integral_constantIbLb0EESV_IbLb1EEEEDaSR_SS_EUlSR_E0_NS1_11comp_targetILNS1_3genE10ELNS1_11target_archE1200ELNS1_3gpuE4ELNS1_3repE0EEENS1_30default_config_static_selectorELNS0_4arch9wavefront6targetE1EEEvT1_,@function
_ZN7rocprim17ROCPRIM_400000_NS6detail17trampoline_kernelINS0_14default_configENS1_20scan_config_selectorIfEEZZNS1_9scan_implILNS1_25lookback_scan_determinismE0ELb1ELb1ES3_N6thrust23THRUST_200600_302600_NS6detail15normal_iteratorINS9_10device_ptrIjEEEENSB_INSC_IiEEEEfNS9_4plusIvEEfEEDaPvRmT3_T4_T5_mT6_P12ihipStream_tbENKUlT_T0_E_clISt17integral_constantIbLb0EESV_IbLb1EEEEDaSR_SS_EUlSR_E0_NS1_11comp_targetILNS1_3genE10ELNS1_11target_archE1200ELNS1_3gpuE4ELNS1_3repE0EEENS1_30default_config_static_selectorELNS0_4arch9wavefront6targetE1EEEvT1_: ; @_ZN7rocprim17ROCPRIM_400000_NS6detail17trampoline_kernelINS0_14default_configENS1_20scan_config_selectorIfEEZZNS1_9scan_implILNS1_25lookback_scan_determinismE0ELb1ELb1ES3_N6thrust23THRUST_200600_302600_NS6detail15normal_iteratorINS9_10device_ptrIjEEEENSB_INSC_IiEEEEfNS9_4plusIvEEfEEDaPvRmT3_T4_T5_mT6_P12ihipStream_tbENKUlT_T0_E_clISt17integral_constantIbLb0EESV_IbLb1EEEEDaSR_SS_EUlSR_E0_NS1_11comp_targetILNS1_3genE10ELNS1_11target_archE1200ELNS1_3gpuE4ELNS1_3repE0EEENS1_30default_config_static_selectorELNS0_4arch9wavefront6targetE1EEEvT1_
; %bb.0:
	.section	.rodata,"a",@progbits
	.p2align	6, 0x0
	.amdhsa_kernel _ZN7rocprim17ROCPRIM_400000_NS6detail17trampoline_kernelINS0_14default_configENS1_20scan_config_selectorIfEEZZNS1_9scan_implILNS1_25lookback_scan_determinismE0ELb1ELb1ES3_N6thrust23THRUST_200600_302600_NS6detail15normal_iteratorINS9_10device_ptrIjEEEENSB_INSC_IiEEEEfNS9_4plusIvEEfEEDaPvRmT3_T4_T5_mT6_P12ihipStream_tbENKUlT_T0_E_clISt17integral_constantIbLb0EESV_IbLb1EEEEDaSR_SS_EUlSR_E0_NS1_11comp_targetILNS1_3genE10ELNS1_11target_archE1200ELNS1_3gpuE4ELNS1_3repE0EEENS1_30default_config_static_selectorELNS0_4arch9wavefront6targetE1EEEvT1_
		.amdhsa_group_segment_fixed_size 0
		.amdhsa_private_segment_fixed_size 0
		.amdhsa_kernarg_size 32
		.amdhsa_user_sgpr_count 6
		.amdhsa_user_sgpr_private_segment_buffer 1
		.amdhsa_user_sgpr_dispatch_ptr 0
		.amdhsa_user_sgpr_queue_ptr 0
		.amdhsa_user_sgpr_kernarg_segment_ptr 1
		.amdhsa_user_sgpr_dispatch_id 0
		.amdhsa_user_sgpr_flat_scratch_init 0
		.amdhsa_user_sgpr_kernarg_preload_length 0
		.amdhsa_user_sgpr_kernarg_preload_offset 0
		.amdhsa_user_sgpr_private_segment_size 0
		.amdhsa_uses_dynamic_stack 0
		.amdhsa_system_sgpr_private_segment_wavefront_offset 0
		.amdhsa_system_sgpr_workgroup_id_x 1
		.amdhsa_system_sgpr_workgroup_id_y 0
		.amdhsa_system_sgpr_workgroup_id_z 0
		.amdhsa_system_sgpr_workgroup_info 0
		.amdhsa_system_vgpr_workitem_id 0
		.amdhsa_next_free_vgpr 1
		.amdhsa_next_free_sgpr 0
		.amdhsa_accum_offset 4
		.amdhsa_reserve_vcc 0
		.amdhsa_reserve_flat_scratch 0
		.amdhsa_float_round_mode_32 0
		.amdhsa_float_round_mode_16_64 0
		.amdhsa_float_denorm_mode_32 3
		.amdhsa_float_denorm_mode_16_64 3
		.amdhsa_dx10_clamp 1
		.amdhsa_ieee_mode 1
		.amdhsa_fp16_overflow 0
		.amdhsa_tg_split 0
		.amdhsa_exception_fp_ieee_invalid_op 0
		.amdhsa_exception_fp_denorm_src 0
		.amdhsa_exception_fp_ieee_div_zero 0
		.amdhsa_exception_fp_ieee_overflow 0
		.amdhsa_exception_fp_ieee_underflow 0
		.amdhsa_exception_fp_ieee_inexact 0
		.amdhsa_exception_int_div_zero 0
	.end_amdhsa_kernel
	.section	.text._ZN7rocprim17ROCPRIM_400000_NS6detail17trampoline_kernelINS0_14default_configENS1_20scan_config_selectorIfEEZZNS1_9scan_implILNS1_25lookback_scan_determinismE0ELb1ELb1ES3_N6thrust23THRUST_200600_302600_NS6detail15normal_iteratorINS9_10device_ptrIjEEEENSB_INSC_IiEEEEfNS9_4plusIvEEfEEDaPvRmT3_T4_T5_mT6_P12ihipStream_tbENKUlT_T0_E_clISt17integral_constantIbLb0EESV_IbLb1EEEEDaSR_SS_EUlSR_E0_NS1_11comp_targetILNS1_3genE10ELNS1_11target_archE1200ELNS1_3gpuE4ELNS1_3repE0EEENS1_30default_config_static_selectorELNS0_4arch9wavefront6targetE1EEEvT1_,"axG",@progbits,_ZN7rocprim17ROCPRIM_400000_NS6detail17trampoline_kernelINS0_14default_configENS1_20scan_config_selectorIfEEZZNS1_9scan_implILNS1_25lookback_scan_determinismE0ELb1ELb1ES3_N6thrust23THRUST_200600_302600_NS6detail15normal_iteratorINS9_10device_ptrIjEEEENSB_INSC_IiEEEEfNS9_4plusIvEEfEEDaPvRmT3_T4_T5_mT6_P12ihipStream_tbENKUlT_T0_E_clISt17integral_constantIbLb0EESV_IbLb1EEEEDaSR_SS_EUlSR_E0_NS1_11comp_targetILNS1_3genE10ELNS1_11target_archE1200ELNS1_3gpuE4ELNS1_3repE0EEENS1_30default_config_static_selectorELNS0_4arch9wavefront6targetE1EEEvT1_,comdat
.Lfunc_end6373:
	.size	_ZN7rocprim17ROCPRIM_400000_NS6detail17trampoline_kernelINS0_14default_configENS1_20scan_config_selectorIfEEZZNS1_9scan_implILNS1_25lookback_scan_determinismE0ELb1ELb1ES3_N6thrust23THRUST_200600_302600_NS6detail15normal_iteratorINS9_10device_ptrIjEEEENSB_INSC_IiEEEEfNS9_4plusIvEEfEEDaPvRmT3_T4_T5_mT6_P12ihipStream_tbENKUlT_T0_E_clISt17integral_constantIbLb0EESV_IbLb1EEEEDaSR_SS_EUlSR_E0_NS1_11comp_targetILNS1_3genE10ELNS1_11target_archE1200ELNS1_3gpuE4ELNS1_3repE0EEENS1_30default_config_static_selectorELNS0_4arch9wavefront6targetE1EEEvT1_, .Lfunc_end6373-_ZN7rocprim17ROCPRIM_400000_NS6detail17trampoline_kernelINS0_14default_configENS1_20scan_config_selectorIfEEZZNS1_9scan_implILNS1_25lookback_scan_determinismE0ELb1ELb1ES3_N6thrust23THRUST_200600_302600_NS6detail15normal_iteratorINS9_10device_ptrIjEEEENSB_INSC_IiEEEEfNS9_4plusIvEEfEEDaPvRmT3_T4_T5_mT6_P12ihipStream_tbENKUlT_T0_E_clISt17integral_constantIbLb0EESV_IbLb1EEEEDaSR_SS_EUlSR_E0_NS1_11comp_targetILNS1_3genE10ELNS1_11target_archE1200ELNS1_3gpuE4ELNS1_3repE0EEENS1_30default_config_static_selectorELNS0_4arch9wavefront6targetE1EEEvT1_
                                        ; -- End function
	.section	.AMDGPU.csdata,"",@progbits
; Kernel info:
; codeLenInByte = 0
; NumSgprs: 4
; NumVgprs: 0
; NumAgprs: 0
; TotalNumVgprs: 0
; ScratchSize: 0
; MemoryBound: 0
; FloatMode: 240
; IeeeMode: 1
; LDSByteSize: 0 bytes/workgroup (compile time only)
; SGPRBlocks: 0
; VGPRBlocks: 0
; NumSGPRsForWavesPerEU: 4
; NumVGPRsForWavesPerEU: 1
; AccumOffset: 4
; Occupancy: 8
; WaveLimiterHint : 0
; COMPUTE_PGM_RSRC2:SCRATCH_EN: 0
; COMPUTE_PGM_RSRC2:USER_SGPR: 6
; COMPUTE_PGM_RSRC2:TRAP_HANDLER: 0
; COMPUTE_PGM_RSRC2:TGID_X_EN: 1
; COMPUTE_PGM_RSRC2:TGID_Y_EN: 0
; COMPUTE_PGM_RSRC2:TGID_Z_EN: 0
; COMPUTE_PGM_RSRC2:TIDIG_COMP_CNT: 0
; COMPUTE_PGM_RSRC3_GFX90A:ACCUM_OFFSET: 0
; COMPUTE_PGM_RSRC3_GFX90A:TG_SPLIT: 0
	.section	.text._ZN7rocprim17ROCPRIM_400000_NS6detail17trampoline_kernelINS0_14default_configENS1_20scan_config_selectorIfEEZZNS1_9scan_implILNS1_25lookback_scan_determinismE0ELb1ELb1ES3_N6thrust23THRUST_200600_302600_NS6detail15normal_iteratorINS9_10device_ptrIjEEEENSB_INSC_IiEEEEfNS9_4plusIvEEfEEDaPvRmT3_T4_T5_mT6_P12ihipStream_tbENKUlT_T0_E_clISt17integral_constantIbLb0EESV_IbLb1EEEEDaSR_SS_EUlSR_E0_NS1_11comp_targetILNS1_3genE9ELNS1_11target_archE1100ELNS1_3gpuE3ELNS1_3repE0EEENS1_30default_config_static_selectorELNS0_4arch9wavefront6targetE1EEEvT1_,"axG",@progbits,_ZN7rocprim17ROCPRIM_400000_NS6detail17trampoline_kernelINS0_14default_configENS1_20scan_config_selectorIfEEZZNS1_9scan_implILNS1_25lookback_scan_determinismE0ELb1ELb1ES3_N6thrust23THRUST_200600_302600_NS6detail15normal_iteratorINS9_10device_ptrIjEEEENSB_INSC_IiEEEEfNS9_4plusIvEEfEEDaPvRmT3_T4_T5_mT6_P12ihipStream_tbENKUlT_T0_E_clISt17integral_constantIbLb0EESV_IbLb1EEEEDaSR_SS_EUlSR_E0_NS1_11comp_targetILNS1_3genE9ELNS1_11target_archE1100ELNS1_3gpuE3ELNS1_3repE0EEENS1_30default_config_static_selectorELNS0_4arch9wavefront6targetE1EEEvT1_,comdat
	.protected	_ZN7rocprim17ROCPRIM_400000_NS6detail17trampoline_kernelINS0_14default_configENS1_20scan_config_selectorIfEEZZNS1_9scan_implILNS1_25lookback_scan_determinismE0ELb1ELb1ES3_N6thrust23THRUST_200600_302600_NS6detail15normal_iteratorINS9_10device_ptrIjEEEENSB_INSC_IiEEEEfNS9_4plusIvEEfEEDaPvRmT3_T4_T5_mT6_P12ihipStream_tbENKUlT_T0_E_clISt17integral_constantIbLb0EESV_IbLb1EEEEDaSR_SS_EUlSR_E0_NS1_11comp_targetILNS1_3genE9ELNS1_11target_archE1100ELNS1_3gpuE3ELNS1_3repE0EEENS1_30default_config_static_selectorELNS0_4arch9wavefront6targetE1EEEvT1_ ; -- Begin function _ZN7rocprim17ROCPRIM_400000_NS6detail17trampoline_kernelINS0_14default_configENS1_20scan_config_selectorIfEEZZNS1_9scan_implILNS1_25lookback_scan_determinismE0ELb1ELb1ES3_N6thrust23THRUST_200600_302600_NS6detail15normal_iteratorINS9_10device_ptrIjEEEENSB_INSC_IiEEEEfNS9_4plusIvEEfEEDaPvRmT3_T4_T5_mT6_P12ihipStream_tbENKUlT_T0_E_clISt17integral_constantIbLb0EESV_IbLb1EEEEDaSR_SS_EUlSR_E0_NS1_11comp_targetILNS1_3genE9ELNS1_11target_archE1100ELNS1_3gpuE3ELNS1_3repE0EEENS1_30default_config_static_selectorELNS0_4arch9wavefront6targetE1EEEvT1_
	.globl	_ZN7rocprim17ROCPRIM_400000_NS6detail17trampoline_kernelINS0_14default_configENS1_20scan_config_selectorIfEEZZNS1_9scan_implILNS1_25lookback_scan_determinismE0ELb1ELb1ES3_N6thrust23THRUST_200600_302600_NS6detail15normal_iteratorINS9_10device_ptrIjEEEENSB_INSC_IiEEEEfNS9_4plusIvEEfEEDaPvRmT3_T4_T5_mT6_P12ihipStream_tbENKUlT_T0_E_clISt17integral_constantIbLb0EESV_IbLb1EEEEDaSR_SS_EUlSR_E0_NS1_11comp_targetILNS1_3genE9ELNS1_11target_archE1100ELNS1_3gpuE3ELNS1_3repE0EEENS1_30default_config_static_selectorELNS0_4arch9wavefront6targetE1EEEvT1_
	.p2align	8
	.type	_ZN7rocprim17ROCPRIM_400000_NS6detail17trampoline_kernelINS0_14default_configENS1_20scan_config_selectorIfEEZZNS1_9scan_implILNS1_25lookback_scan_determinismE0ELb1ELb1ES3_N6thrust23THRUST_200600_302600_NS6detail15normal_iteratorINS9_10device_ptrIjEEEENSB_INSC_IiEEEEfNS9_4plusIvEEfEEDaPvRmT3_T4_T5_mT6_P12ihipStream_tbENKUlT_T0_E_clISt17integral_constantIbLb0EESV_IbLb1EEEEDaSR_SS_EUlSR_E0_NS1_11comp_targetILNS1_3genE9ELNS1_11target_archE1100ELNS1_3gpuE3ELNS1_3repE0EEENS1_30default_config_static_selectorELNS0_4arch9wavefront6targetE1EEEvT1_,@function
_ZN7rocprim17ROCPRIM_400000_NS6detail17trampoline_kernelINS0_14default_configENS1_20scan_config_selectorIfEEZZNS1_9scan_implILNS1_25lookback_scan_determinismE0ELb1ELb1ES3_N6thrust23THRUST_200600_302600_NS6detail15normal_iteratorINS9_10device_ptrIjEEEENSB_INSC_IiEEEEfNS9_4plusIvEEfEEDaPvRmT3_T4_T5_mT6_P12ihipStream_tbENKUlT_T0_E_clISt17integral_constantIbLb0EESV_IbLb1EEEEDaSR_SS_EUlSR_E0_NS1_11comp_targetILNS1_3genE9ELNS1_11target_archE1100ELNS1_3gpuE3ELNS1_3repE0EEENS1_30default_config_static_selectorELNS0_4arch9wavefront6targetE1EEEvT1_: ; @_ZN7rocprim17ROCPRIM_400000_NS6detail17trampoline_kernelINS0_14default_configENS1_20scan_config_selectorIfEEZZNS1_9scan_implILNS1_25lookback_scan_determinismE0ELb1ELb1ES3_N6thrust23THRUST_200600_302600_NS6detail15normal_iteratorINS9_10device_ptrIjEEEENSB_INSC_IiEEEEfNS9_4plusIvEEfEEDaPvRmT3_T4_T5_mT6_P12ihipStream_tbENKUlT_T0_E_clISt17integral_constantIbLb0EESV_IbLb1EEEEDaSR_SS_EUlSR_E0_NS1_11comp_targetILNS1_3genE9ELNS1_11target_archE1100ELNS1_3gpuE3ELNS1_3repE0EEENS1_30default_config_static_selectorELNS0_4arch9wavefront6targetE1EEEvT1_
; %bb.0:
	.section	.rodata,"a",@progbits
	.p2align	6, 0x0
	.amdhsa_kernel _ZN7rocprim17ROCPRIM_400000_NS6detail17trampoline_kernelINS0_14default_configENS1_20scan_config_selectorIfEEZZNS1_9scan_implILNS1_25lookback_scan_determinismE0ELb1ELb1ES3_N6thrust23THRUST_200600_302600_NS6detail15normal_iteratorINS9_10device_ptrIjEEEENSB_INSC_IiEEEEfNS9_4plusIvEEfEEDaPvRmT3_T4_T5_mT6_P12ihipStream_tbENKUlT_T0_E_clISt17integral_constantIbLb0EESV_IbLb1EEEEDaSR_SS_EUlSR_E0_NS1_11comp_targetILNS1_3genE9ELNS1_11target_archE1100ELNS1_3gpuE3ELNS1_3repE0EEENS1_30default_config_static_selectorELNS0_4arch9wavefront6targetE1EEEvT1_
		.amdhsa_group_segment_fixed_size 0
		.amdhsa_private_segment_fixed_size 0
		.amdhsa_kernarg_size 32
		.amdhsa_user_sgpr_count 6
		.amdhsa_user_sgpr_private_segment_buffer 1
		.amdhsa_user_sgpr_dispatch_ptr 0
		.amdhsa_user_sgpr_queue_ptr 0
		.amdhsa_user_sgpr_kernarg_segment_ptr 1
		.amdhsa_user_sgpr_dispatch_id 0
		.amdhsa_user_sgpr_flat_scratch_init 0
		.amdhsa_user_sgpr_kernarg_preload_length 0
		.amdhsa_user_sgpr_kernarg_preload_offset 0
		.amdhsa_user_sgpr_private_segment_size 0
		.amdhsa_uses_dynamic_stack 0
		.amdhsa_system_sgpr_private_segment_wavefront_offset 0
		.amdhsa_system_sgpr_workgroup_id_x 1
		.amdhsa_system_sgpr_workgroup_id_y 0
		.amdhsa_system_sgpr_workgroup_id_z 0
		.amdhsa_system_sgpr_workgroup_info 0
		.amdhsa_system_vgpr_workitem_id 0
		.amdhsa_next_free_vgpr 1
		.amdhsa_next_free_sgpr 0
		.amdhsa_accum_offset 4
		.amdhsa_reserve_vcc 0
		.amdhsa_reserve_flat_scratch 0
		.amdhsa_float_round_mode_32 0
		.amdhsa_float_round_mode_16_64 0
		.amdhsa_float_denorm_mode_32 3
		.amdhsa_float_denorm_mode_16_64 3
		.amdhsa_dx10_clamp 1
		.amdhsa_ieee_mode 1
		.amdhsa_fp16_overflow 0
		.amdhsa_tg_split 0
		.amdhsa_exception_fp_ieee_invalid_op 0
		.amdhsa_exception_fp_denorm_src 0
		.amdhsa_exception_fp_ieee_div_zero 0
		.amdhsa_exception_fp_ieee_overflow 0
		.amdhsa_exception_fp_ieee_underflow 0
		.amdhsa_exception_fp_ieee_inexact 0
		.amdhsa_exception_int_div_zero 0
	.end_amdhsa_kernel
	.section	.text._ZN7rocprim17ROCPRIM_400000_NS6detail17trampoline_kernelINS0_14default_configENS1_20scan_config_selectorIfEEZZNS1_9scan_implILNS1_25lookback_scan_determinismE0ELb1ELb1ES3_N6thrust23THRUST_200600_302600_NS6detail15normal_iteratorINS9_10device_ptrIjEEEENSB_INSC_IiEEEEfNS9_4plusIvEEfEEDaPvRmT3_T4_T5_mT6_P12ihipStream_tbENKUlT_T0_E_clISt17integral_constantIbLb0EESV_IbLb1EEEEDaSR_SS_EUlSR_E0_NS1_11comp_targetILNS1_3genE9ELNS1_11target_archE1100ELNS1_3gpuE3ELNS1_3repE0EEENS1_30default_config_static_selectorELNS0_4arch9wavefront6targetE1EEEvT1_,"axG",@progbits,_ZN7rocprim17ROCPRIM_400000_NS6detail17trampoline_kernelINS0_14default_configENS1_20scan_config_selectorIfEEZZNS1_9scan_implILNS1_25lookback_scan_determinismE0ELb1ELb1ES3_N6thrust23THRUST_200600_302600_NS6detail15normal_iteratorINS9_10device_ptrIjEEEENSB_INSC_IiEEEEfNS9_4plusIvEEfEEDaPvRmT3_T4_T5_mT6_P12ihipStream_tbENKUlT_T0_E_clISt17integral_constantIbLb0EESV_IbLb1EEEEDaSR_SS_EUlSR_E0_NS1_11comp_targetILNS1_3genE9ELNS1_11target_archE1100ELNS1_3gpuE3ELNS1_3repE0EEENS1_30default_config_static_selectorELNS0_4arch9wavefront6targetE1EEEvT1_,comdat
.Lfunc_end6374:
	.size	_ZN7rocprim17ROCPRIM_400000_NS6detail17trampoline_kernelINS0_14default_configENS1_20scan_config_selectorIfEEZZNS1_9scan_implILNS1_25lookback_scan_determinismE0ELb1ELb1ES3_N6thrust23THRUST_200600_302600_NS6detail15normal_iteratorINS9_10device_ptrIjEEEENSB_INSC_IiEEEEfNS9_4plusIvEEfEEDaPvRmT3_T4_T5_mT6_P12ihipStream_tbENKUlT_T0_E_clISt17integral_constantIbLb0EESV_IbLb1EEEEDaSR_SS_EUlSR_E0_NS1_11comp_targetILNS1_3genE9ELNS1_11target_archE1100ELNS1_3gpuE3ELNS1_3repE0EEENS1_30default_config_static_selectorELNS0_4arch9wavefront6targetE1EEEvT1_, .Lfunc_end6374-_ZN7rocprim17ROCPRIM_400000_NS6detail17trampoline_kernelINS0_14default_configENS1_20scan_config_selectorIfEEZZNS1_9scan_implILNS1_25lookback_scan_determinismE0ELb1ELb1ES3_N6thrust23THRUST_200600_302600_NS6detail15normal_iteratorINS9_10device_ptrIjEEEENSB_INSC_IiEEEEfNS9_4plusIvEEfEEDaPvRmT3_T4_T5_mT6_P12ihipStream_tbENKUlT_T0_E_clISt17integral_constantIbLb0EESV_IbLb1EEEEDaSR_SS_EUlSR_E0_NS1_11comp_targetILNS1_3genE9ELNS1_11target_archE1100ELNS1_3gpuE3ELNS1_3repE0EEENS1_30default_config_static_selectorELNS0_4arch9wavefront6targetE1EEEvT1_
                                        ; -- End function
	.section	.AMDGPU.csdata,"",@progbits
; Kernel info:
; codeLenInByte = 0
; NumSgprs: 4
; NumVgprs: 0
; NumAgprs: 0
; TotalNumVgprs: 0
; ScratchSize: 0
; MemoryBound: 0
; FloatMode: 240
; IeeeMode: 1
; LDSByteSize: 0 bytes/workgroup (compile time only)
; SGPRBlocks: 0
; VGPRBlocks: 0
; NumSGPRsForWavesPerEU: 4
; NumVGPRsForWavesPerEU: 1
; AccumOffset: 4
; Occupancy: 8
; WaveLimiterHint : 0
; COMPUTE_PGM_RSRC2:SCRATCH_EN: 0
; COMPUTE_PGM_RSRC2:USER_SGPR: 6
; COMPUTE_PGM_RSRC2:TRAP_HANDLER: 0
; COMPUTE_PGM_RSRC2:TGID_X_EN: 1
; COMPUTE_PGM_RSRC2:TGID_Y_EN: 0
; COMPUTE_PGM_RSRC2:TGID_Z_EN: 0
; COMPUTE_PGM_RSRC2:TIDIG_COMP_CNT: 0
; COMPUTE_PGM_RSRC3_GFX90A:ACCUM_OFFSET: 0
; COMPUTE_PGM_RSRC3_GFX90A:TG_SPLIT: 0
	.section	.text._ZN7rocprim17ROCPRIM_400000_NS6detail17trampoline_kernelINS0_14default_configENS1_20scan_config_selectorIfEEZZNS1_9scan_implILNS1_25lookback_scan_determinismE0ELb1ELb1ES3_N6thrust23THRUST_200600_302600_NS6detail15normal_iteratorINS9_10device_ptrIjEEEENSB_INSC_IiEEEEfNS9_4plusIvEEfEEDaPvRmT3_T4_T5_mT6_P12ihipStream_tbENKUlT_T0_E_clISt17integral_constantIbLb0EESV_IbLb1EEEEDaSR_SS_EUlSR_E0_NS1_11comp_targetILNS1_3genE8ELNS1_11target_archE1030ELNS1_3gpuE2ELNS1_3repE0EEENS1_30default_config_static_selectorELNS0_4arch9wavefront6targetE1EEEvT1_,"axG",@progbits,_ZN7rocprim17ROCPRIM_400000_NS6detail17trampoline_kernelINS0_14default_configENS1_20scan_config_selectorIfEEZZNS1_9scan_implILNS1_25lookback_scan_determinismE0ELb1ELb1ES3_N6thrust23THRUST_200600_302600_NS6detail15normal_iteratorINS9_10device_ptrIjEEEENSB_INSC_IiEEEEfNS9_4plusIvEEfEEDaPvRmT3_T4_T5_mT6_P12ihipStream_tbENKUlT_T0_E_clISt17integral_constantIbLb0EESV_IbLb1EEEEDaSR_SS_EUlSR_E0_NS1_11comp_targetILNS1_3genE8ELNS1_11target_archE1030ELNS1_3gpuE2ELNS1_3repE0EEENS1_30default_config_static_selectorELNS0_4arch9wavefront6targetE1EEEvT1_,comdat
	.protected	_ZN7rocprim17ROCPRIM_400000_NS6detail17trampoline_kernelINS0_14default_configENS1_20scan_config_selectorIfEEZZNS1_9scan_implILNS1_25lookback_scan_determinismE0ELb1ELb1ES3_N6thrust23THRUST_200600_302600_NS6detail15normal_iteratorINS9_10device_ptrIjEEEENSB_INSC_IiEEEEfNS9_4plusIvEEfEEDaPvRmT3_T4_T5_mT6_P12ihipStream_tbENKUlT_T0_E_clISt17integral_constantIbLb0EESV_IbLb1EEEEDaSR_SS_EUlSR_E0_NS1_11comp_targetILNS1_3genE8ELNS1_11target_archE1030ELNS1_3gpuE2ELNS1_3repE0EEENS1_30default_config_static_selectorELNS0_4arch9wavefront6targetE1EEEvT1_ ; -- Begin function _ZN7rocprim17ROCPRIM_400000_NS6detail17trampoline_kernelINS0_14default_configENS1_20scan_config_selectorIfEEZZNS1_9scan_implILNS1_25lookback_scan_determinismE0ELb1ELb1ES3_N6thrust23THRUST_200600_302600_NS6detail15normal_iteratorINS9_10device_ptrIjEEEENSB_INSC_IiEEEEfNS9_4plusIvEEfEEDaPvRmT3_T4_T5_mT6_P12ihipStream_tbENKUlT_T0_E_clISt17integral_constantIbLb0EESV_IbLb1EEEEDaSR_SS_EUlSR_E0_NS1_11comp_targetILNS1_3genE8ELNS1_11target_archE1030ELNS1_3gpuE2ELNS1_3repE0EEENS1_30default_config_static_selectorELNS0_4arch9wavefront6targetE1EEEvT1_
	.globl	_ZN7rocprim17ROCPRIM_400000_NS6detail17trampoline_kernelINS0_14default_configENS1_20scan_config_selectorIfEEZZNS1_9scan_implILNS1_25lookback_scan_determinismE0ELb1ELb1ES3_N6thrust23THRUST_200600_302600_NS6detail15normal_iteratorINS9_10device_ptrIjEEEENSB_INSC_IiEEEEfNS9_4plusIvEEfEEDaPvRmT3_T4_T5_mT6_P12ihipStream_tbENKUlT_T0_E_clISt17integral_constantIbLb0EESV_IbLb1EEEEDaSR_SS_EUlSR_E0_NS1_11comp_targetILNS1_3genE8ELNS1_11target_archE1030ELNS1_3gpuE2ELNS1_3repE0EEENS1_30default_config_static_selectorELNS0_4arch9wavefront6targetE1EEEvT1_
	.p2align	8
	.type	_ZN7rocprim17ROCPRIM_400000_NS6detail17trampoline_kernelINS0_14default_configENS1_20scan_config_selectorIfEEZZNS1_9scan_implILNS1_25lookback_scan_determinismE0ELb1ELb1ES3_N6thrust23THRUST_200600_302600_NS6detail15normal_iteratorINS9_10device_ptrIjEEEENSB_INSC_IiEEEEfNS9_4plusIvEEfEEDaPvRmT3_T4_T5_mT6_P12ihipStream_tbENKUlT_T0_E_clISt17integral_constantIbLb0EESV_IbLb1EEEEDaSR_SS_EUlSR_E0_NS1_11comp_targetILNS1_3genE8ELNS1_11target_archE1030ELNS1_3gpuE2ELNS1_3repE0EEENS1_30default_config_static_selectorELNS0_4arch9wavefront6targetE1EEEvT1_,@function
_ZN7rocprim17ROCPRIM_400000_NS6detail17trampoline_kernelINS0_14default_configENS1_20scan_config_selectorIfEEZZNS1_9scan_implILNS1_25lookback_scan_determinismE0ELb1ELb1ES3_N6thrust23THRUST_200600_302600_NS6detail15normal_iteratorINS9_10device_ptrIjEEEENSB_INSC_IiEEEEfNS9_4plusIvEEfEEDaPvRmT3_T4_T5_mT6_P12ihipStream_tbENKUlT_T0_E_clISt17integral_constantIbLb0EESV_IbLb1EEEEDaSR_SS_EUlSR_E0_NS1_11comp_targetILNS1_3genE8ELNS1_11target_archE1030ELNS1_3gpuE2ELNS1_3repE0EEENS1_30default_config_static_selectorELNS0_4arch9wavefront6targetE1EEEvT1_: ; @_ZN7rocprim17ROCPRIM_400000_NS6detail17trampoline_kernelINS0_14default_configENS1_20scan_config_selectorIfEEZZNS1_9scan_implILNS1_25lookback_scan_determinismE0ELb1ELb1ES3_N6thrust23THRUST_200600_302600_NS6detail15normal_iteratorINS9_10device_ptrIjEEEENSB_INSC_IiEEEEfNS9_4plusIvEEfEEDaPvRmT3_T4_T5_mT6_P12ihipStream_tbENKUlT_T0_E_clISt17integral_constantIbLb0EESV_IbLb1EEEEDaSR_SS_EUlSR_E0_NS1_11comp_targetILNS1_3genE8ELNS1_11target_archE1030ELNS1_3gpuE2ELNS1_3repE0EEENS1_30default_config_static_selectorELNS0_4arch9wavefront6targetE1EEEvT1_
; %bb.0:
	.section	.rodata,"a",@progbits
	.p2align	6, 0x0
	.amdhsa_kernel _ZN7rocprim17ROCPRIM_400000_NS6detail17trampoline_kernelINS0_14default_configENS1_20scan_config_selectorIfEEZZNS1_9scan_implILNS1_25lookback_scan_determinismE0ELb1ELb1ES3_N6thrust23THRUST_200600_302600_NS6detail15normal_iteratorINS9_10device_ptrIjEEEENSB_INSC_IiEEEEfNS9_4plusIvEEfEEDaPvRmT3_T4_T5_mT6_P12ihipStream_tbENKUlT_T0_E_clISt17integral_constantIbLb0EESV_IbLb1EEEEDaSR_SS_EUlSR_E0_NS1_11comp_targetILNS1_3genE8ELNS1_11target_archE1030ELNS1_3gpuE2ELNS1_3repE0EEENS1_30default_config_static_selectorELNS0_4arch9wavefront6targetE1EEEvT1_
		.amdhsa_group_segment_fixed_size 0
		.amdhsa_private_segment_fixed_size 0
		.amdhsa_kernarg_size 32
		.amdhsa_user_sgpr_count 6
		.amdhsa_user_sgpr_private_segment_buffer 1
		.amdhsa_user_sgpr_dispatch_ptr 0
		.amdhsa_user_sgpr_queue_ptr 0
		.amdhsa_user_sgpr_kernarg_segment_ptr 1
		.amdhsa_user_sgpr_dispatch_id 0
		.amdhsa_user_sgpr_flat_scratch_init 0
		.amdhsa_user_sgpr_kernarg_preload_length 0
		.amdhsa_user_sgpr_kernarg_preload_offset 0
		.amdhsa_user_sgpr_private_segment_size 0
		.amdhsa_uses_dynamic_stack 0
		.amdhsa_system_sgpr_private_segment_wavefront_offset 0
		.amdhsa_system_sgpr_workgroup_id_x 1
		.amdhsa_system_sgpr_workgroup_id_y 0
		.amdhsa_system_sgpr_workgroup_id_z 0
		.amdhsa_system_sgpr_workgroup_info 0
		.amdhsa_system_vgpr_workitem_id 0
		.amdhsa_next_free_vgpr 1
		.amdhsa_next_free_sgpr 0
		.amdhsa_accum_offset 4
		.amdhsa_reserve_vcc 0
		.amdhsa_reserve_flat_scratch 0
		.amdhsa_float_round_mode_32 0
		.amdhsa_float_round_mode_16_64 0
		.amdhsa_float_denorm_mode_32 3
		.amdhsa_float_denorm_mode_16_64 3
		.amdhsa_dx10_clamp 1
		.amdhsa_ieee_mode 1
		.amdhsa_fp16_overflow 0
		.amdhsa_tg_split 0
		.amdhsa_exception_fp_ieee_invalid_op 0
		.amdhsa_exception_fp_denorm_src 0
		.amdhsa_exception_fp_ieee_div_zero 0
		.amdhsa_exception_fp_ieee_overflow 0
		.amdhsa_exception_fp_ieee_underflow 0
		.amdhsa_exception_fp_ieee_inexact 0
		.amdhsa_exception_int_div_zero 0
	.end_amdhsa_kernel
	.section	.text._ZN7rocprim17ROCPRIM_400000_NS6detail17trampoline_kernelINS0_14default_configENS1_20scan_config_selectorIfEEZZNS1_9scan_implILNS1_25lookback_scan_determinismE0ELb1ELb1ES3_N6thrust23THRUST_200600_302600_NS6detail15normal_iteratorINS9_10device_ptrIjEEEENSB_INSC_IiEEEEfNS9_4plusIvEEfEEDaPvRmT3_T4_T5_mT6_P12ihipStream_tbENKUlT_T0_E_clISt17integral_constantIbLb0EESV_IbLb1EEEEDaSR_SS_EUlSR_E0_NS1_11comp_targetILNS1_3genE8ELNS1_11target_archE1030ELNS1_3gpuE2ELNS1_3repE0EEENS1_30default_config_static_selectorELNS0_4arch9wavefront6targetE1EEEvT1_,"axG",@progbits,_ZN7rocprim17ROCPRIM_400000_NS6detail17trampoline_kernelINS0_14default_configENS1_20scan_config_selectorIfEEZZNS1_9scan_implILNS1_25lookback_scan_determinismE0ELb1ELb1ES3_N6thrust23THRUST_200600_302600_NS6detail15normal_iteratorINS9_10device_ptrIjEEEENSB_INSC_IiEEEEfNS9_4plusIvEEfEEDaPvRmT3_T4_T5_mT6_P12ihipStream_tbENKUlT_T0_E_clISt17integral_constantIbLb0EESV_IbLb1EEEEDaSR_SS_EUlSR_E0_NS1_11comp_targetILNS1_3genE8ELNS1_11target_archE1030ELNS1_3gpuE2ELNS1_3repE0EEENS1_30default_config_static_selectorELNS0_4arch9wavefront6targetE1EEEvT1_,comdat
.Lfunc_end6375:
	.size	_ZN7rocprim17ROCPRIM_400000_NS6detail17trampoline_kernelINS0_14default_configENS1_20scan_config_selectorIfEEZZNS1_9scan_implILNS1_25lookback_scan_determinismE0ELb1ELb1ES3_N6thrust23THRUST_200600_302600_NS6detail15normal_iteratorINS9_10device_ptrIjEEEENSB_INSC_IiEEEEfNS9_4plusIvEEfEEDaPvRmT3_T4_T5_mT6_P12ihipStream_tbENKUlT_T0_E_clISt17integral_constantIbLb0EESV_IbLb1EEEEDaSR_SS_EUlSR_E0_NS1_11comp_targetILNS1_3genE8ELNS1_11target_archE1030ELNS1_3gpuE2ELNS1_3repE0EEENS1_30default_config_static_selectorELNS0_4arch9wavefront6targetE1EEEvT1_, .Lfunc_end6375-_ZN7rocprim17ROCPRIM_400000_NS6detail17trampoline_kernelINS0_14default_configENS1_20scan_config_selectorIfEEZZNS1_9scan_implILNS1_25lookback_scan_determinismE0ELb1ELb1ES3_N6thrust23THRUST_200600_302600_NS6detail15normal_iteratorINS9_10device_ptrIjEEEENSB_INSC_IiEEEEfNS9_4plusIvEEfEEDaPvRmT3_T4_T5_mT6_P12ihipStream_tbENKUlT_T0_E_clISt17integral_constantIbLb0EESV_IbLb1EEEEDaSR_SS_EUlSR_E0_NS1_11comp_targetILNS1_3genE8ELNS1_11target_archE1030ELNS1_3gpuE2ELNS1_3repE0EEENS1_30default_config_static_selectorELNS0_4arch9wavefront6targetE1EEEvT1_
                                        ; -- End function
	.section	.AMDGPU.csdata,"",@progbits
; Kernel info:
; codeLenInByte = 0
; NumSgprs: 4
; NumVgprs: 0
; NumAgprs: 0
; TotalNumVgprs: 0
; ScratchSize: 0
; MemoryBound: 0
; FloatMode: 240
; IeeeMode: 1
; LDSByteSize: 0 bytes/workgroup (compile time only)
; SGPRBlocks: 0
; VGPRBlocks: 0
; NumSGPRsForWavesPerEU: 4
; NumVGPRsForWavesPerEU: 1
; AccumOffset: 4
; Occupancy: 8
; WaveLimiterHint : 0
; COMPUTE_PGM_RSRC2:SCRATCH_EN: 0
; COMPUTE_PGM_RSRC2:USER_SGPR: 6
; COMPUTE_PGM_RSRC2:TRAP_HANDLER: 0
; COMPUTE_PGM_RSRC2:TGID_X_EN: 1
; COMPUTE_PGM_RSRC2:TGID_Y_EN: 0
; COMPUTE_PGM_RSRC2:TGID_Z_EN: 0
; COMPUTE_PGM_RSRC2:TIDIG_COMP_CNT: 0
; COMPUTE_PGM_RSRC3_GFX90A:ACCUM_OFFSET: 0
; COMPUTE_PGM_RSRC3_GFX90A:TG_SPLIT: 0
	.section	.text._ZN6thrust23THRUST_200600_302600_NS11hip_rocprim14__parallel_for6kernelILj256ENS1_10for_each_fINS0_10device_ptrI11FixedVectorIiLj1EEEENS0_6detail16wrapped_functionINS9_23allocator_traits_detail5gozerEvEEEElLj1EEEvT0_T1_SG_,"axG",@progbits,_ZN6thrust23THRUST_200600_302600_NS11hip_rocprim14__parallel_for6kernelILj256ENS1_10for_each_fINS0_10device_ptrI11FixedVectorIiLj1EEEENS0_6detail16wrapped_functionINS9_23allocator_traits_detail5gozerEvEEEElLj1EEEvT0_T1_SG_,comdat
	.protected	_ZN6thrust23THRUST_200600_302600_NS11hip_rocprim14__parallel_for6kernelILj256ENS1_10for_each_fINS0_10device_ptrI11FixedVectorIiLj1EEEENS0_6detail16wrapped_functionINS9_23allocator_traits_detail5gozerEvEEEElLj1EEEvT0_T1_SG_ ; -- Begin function _ZN6thrust23THRUST_200600_302600_NS11hip_rocprim14__parallel_for6kernelILj256ENS1_10for_each_fINS0_10device_ptrI11FixedVectorIiLj1EEEENS0_6detail16wrapped_functionINS9_23allocator_traits_detail5gozerEvEEEElLj1EEEvT0_T1_SG_
	.globl	_ZN6thrust23THRUST_200600_302600_NS11hip_rocprim14__parallel_for6kernelILj256ENS1_10for_each_fINS0_10device_ptrI11FixedVectorIiLj1EEEENS0_6detail16wrapped_functionINS9_23allocator_traits_detail5gozerEvEEEElLj1EEEvT0_T1_SG_
	.p2align	8
	.type	_ZN6thrust23THRUST_200600_302600_NS11hip_rocprim14__parallel_for6kernelILj256ENS1_10for_each_fINS0_10device_ptrI11FixedVectorIiLj1EEEENS0_6detail16wrapped_functionINS9_23allocator_traits_detail5gozerEvEEEElLj1EEEvT0_T1_SG_,@function
_ZN6thrust23THRUST_200600_302600_NS11hip_rocprim14__parallel_for6kernelILj256ENS1_10for_each_fINS0_10device_ptrI11FixedVectorIiLj1EEEENS0_6detail16wrapped_functionINS9_23allocator_traits_detail5gozerEvEEEElLj1EEEvT0_T1_SG_: ; @_ZN6thrust23THRUST_200600_302600_NS11hip_rocprim14__parallel_for6kernelILj256ENS1_10for_each_fINS0_10device_ptrI11FixedVectorIiLj1EEEENS0_6detail16wrapped_functionINS9_23allocator_traits_detail5gozerEvEEEElLj1EEEvT0_T1_SG_
; %bb.0:
	s_endpgm
	.section	.rodata,"a",@progbits
	.p2align	6, 0x0
	.amdhsa_kernel _ZN6thrust23THRUST_200600_302600_NS11hip_rocprim14__parallel_for6kernelILj256ENS1_10for_each_fINS0_10device_ptrI11FixedVectorIiLj1EEEENS0_6detail16wrapped_functionINS9_23allocator_traits_detail5gozerEvEEEElLj1EEEvT0_T1_SG_
		.amdhsa_group_segment_fixed_size 0
		.amdhsa_private_segment_fixed_size 0
		.amdhsa_kernarg_size 32
		.amdhsa_user_sgpr_count 6
		.amdhsa_user_sgpr_private_segment_buffer 1
		.amdhsa_user_sgpr_dispatch_ptr 0
		.amdhsa_user_sgpr_queue_ptr 0
		.amdhsa_user_sgpr_kernarg_segment_ptr 1
		.amdhsa_user_sgpr_dispatch_id 0
		.amdhsa_user_sgpr_flat_scratch_init 0
		.amdhsa_user_sgpr_kernarg_preload_length 0
		.amdhsa_user_sgpr_kernarg_preload_offset 0
		.amdhsa_user_sgpr_private_segment_size 0
		.amdhsa_uses_dynamic_stack 0
		.amdhsa_system_sgpr_private_segment_wavefront_offset 0
		.amdhsa_system_sgpr_workgroup_id_x 1
		.amdhsa_system_sgpr_workgroup_id_y 0
		.amdhsa_system_sgpr_workgroup_id_z 0
		.amdhsa_system_sgpr_workgroup_info 0
		.amdhsa_system_vgpr_workitem_id 0
		.amdhsa_next_free_vgpr 1
		.amdhsa_next_free_sgpr 0
		.amdhsa_accum_offset 4
		.amdhsa_reserve_vcc 0
		.amdhsa_reserve_flat_scratch 0
		.amdhsa_float_round_mode_32 0
		.amdhsa_float_round_mode_16_64 0
		.amdhsa_float_denorm_mode_32 3
		.amdhsa_float_denorm_mode_16_64 3
		.amdhsa_dx10_clamp 1
		.amdhsa_ieee_mode 1
		.amdhsa_fp16_overflow 0
		.amdhsa_tg_split 0
		.amdhsa_exception_fp_ieee_invalid_op 0
		.amdhsa_exception_fp_denorm_src 0
		.amdhsa_exception_fp_ieee_div_zero 0
		.amdhsa_exception_fp_ieee_overflow 0
		.amdhsa_exception_fp_ieee_underflow 0
		.amdhsa_exception_fp_ieee_inexact 0
		.amdhsa_exception_int_div_zero 0
	.end_amdhsa_kernel
	.section	.text._ZN6thrust23THRUST_200600_302600_NS11hip_rocprim14__parallel_for6kernelILj256ENS1_10for_each_fINS0_10device_ptrI11FixedVectorIiLj1EEEENS0_6detail16wrapped_functionINS9_23allocator_traits_detail5gozerEvEEEElLj1EEEvT0_T1_SG_,"axG",@progbits,_ZN6thrust23THRUST_200600_302600_NS11hip_rocprim14__parallel_for6kernelILj256ENS1_10for_each_fINS0_10device_ptrI11FixedVectorIiLj1EEEENS0_6detail16wrapped_functionINS9_23allocator_traits_detail5gozerEvEEEElLj1EEEvT0_T1_SG_,comdat
.Lfunc_end6376:
	.size	_ZN6thrust23THRUST_200600_302600_NS11hip_rocprim14__parallel_for6kernelILj256ENS1_10for_each_fINS0_10device_ptrI11FixedVectorIiLj1EEEENS0_6detail16wrapped_functionINS9_23allocator_traits_detail5gozerEvEEEElLj1EEEvT0_T1_SG_, .Lfunc_end6376-_ZN6thrust23THRUST_200600_302600_NS11hip_rocprim14__parallel_for6kernelILj256ENS1_10for_each_fINS0_10device_ptrI11FixedVectorIiLj1EEEENS0_6detail16wrapped_functionINS9_23allocator_traits_detail5gozerEvEEEElLj1EEEvT0_T1_SG_
                                        ; -- End function
	.section	.AMDGPU.csdata,"",@progbits
; Kernel info:
; codeLenInByte = 4
; NumSgprs: 4
; NumVgprs: 0
; NumAgprs: 0
; TotalNumVgprs: 0
; ScratchSize: 0
; MemoryBound: 0
; FloatMode: 240
; IeeeMode: 1
; LDSByteSize: 0 bytes/workgroup (compile time only)
; SGPRBlocks: 0
; VGPRBlocks: 0
; NumSGPRsForWavesPerEU: 4
; NumVGPRsForWavesPerEU: 1
; AccumOffset: 4
; Occupancy: 8
; WaveLimiterHint : 0
; COMPUTE_PGM_RSRC2:SCRATCH_EN: 0
; COMPUTE_PGM_RSRC2:USER_SGPR: 6
; COMPUTE_PGM_RSRC2:TRAP_HANDLER: 0
; COMPUTE_PGM_RSRC2:TGID_X_EN: 1
; COMPUTE_PGM_RSRC2:TGID_Y_EN: 0
; COMPUTE_PGM_RSRC2:TGID_Z_EN: 0
; COMPUTE_PGM_RSRC2:TIDIG_COMP_CNT: 0
; COMPUTE_PGM_RSRC3_GFX90A:ACCUM_OFFSET: 0
; COMPUTE_PGM_RSRC3_GFX90A:TG_SPLIT: 0
	.section	.text._ZN6thrust23THRUST_200600_302600_NS11hip_rocprim14__parallel_for6kernelILj256ENS1_10for_each_fINS0_10device_ptrI11FixedVectorIiLj1EEEENS0_6detail16wrapped_functionINS9_23allocator_traits_detail24construct1_via_allocatorINS0_16device_allocatorIS7_EEEEvEEEEmLj1EEEvT0_T1_SJ_,"axG",@progbits,_ZN6thrust23THRUST_200600_302600_NS11hip_rocprim14__parallel_for6kernelILj256ENS1_10for_each_fINS0_10device_ptrI11FixedVectorIiLj1EEEENS0_6detail16wrapped_functionINS9_23allocator_traits_detail24construct1_via_allocatorINS0_16device_allocatorIS7_EEEEvEEEEmLj1EEEvT0_T1_SJ_,comdat
	.protected	_ZN6thrust23THRUST_200600_302600_NS11hip_rocprim14__parallel_for6kernelILj256ENS1_10for_each_fINS0_10device_ptrI11FixedVectorIiLj1EEEENS0_6detail16wrapped_functionINS9_23allocator_traits_detail24construct1_via_allocatorINS0_16device_allocatorIS7_EEEEvEEEEmLj1EEEvT0_T1_SJ_ ; -- Begin function _ZN6thrust23THRUST_200600_302600_NS11hip_rocprim14__parallel_for6kernelILj256ENS1_10for_each_fINS0_10device_ptrI11FixedVectorIiLj1EEEENS0_6detail16wrapped_functionINS9_23allocator_traits_detail24construct1_via_allocatorINS0_16device_allocatorIS7_EEEEvEEEEmLj1EEEvT0_T1_SJ_
	.globl	_ZN6thrust23THRUST_200600_302600_NS11hip_rocprim14__parallel_for6kernelILj256ENS1_10for_each_fINS0_10device_ptrI11FixedVectorIiLj1EEEENS0_6detail16wrapped_functionINS9_23allocator_traits_detail24construct1_via_allocatorINS0_16device_allocatorIS7_EEEEvEEEEmLj1EEEvT0_T1_SJ_
	.p2align	8
	.type	_ZN6thrust23THRUST_200600_302600_NS11hip_rocprim14__parallel_for6kernelILj256ENS1_10for_each_fINS0_10device_ptrI11FixedVectorIiLj1EEEENS0_6detail16wrapped_functionINS9_23allocator_traits_detail24construct1_via_allocatorINS0_16device_allocatorIS7_EEEEvEEEEmLj1EEEvT0_T1_SJ_,@function
_ZN6thrust23THRUST_200600_302600_NS11hip_rocprim14__parallel_for6kernelILj256ENS1_10for_each_fINS0_10device_ptrI11FixedVectorIiLj1EEEENS0_6detail16wrapped_functionINS9_23allocator_traits_detail24construct1_via_allocatorINS0_16device_allocatorIS7_EEEEvEEEEmLj1EEEvT0_T1_SJ_: ; @_ZN6thrust23THRUST_200600_302600_NS11hip_rocprim14__parallel_for6kernelILj256ENS1_10for_each_fINS0_10device_ptrI11FixedVectorIiLj1EEEENS0_6detail16wrapped_functionINS9_23allocator_traits_detail24construct1_via_allocatorINS0_16device_allocatorIS7_EEEEvEEEEmLj1EEEvT0_T1_SJ_
; %bb.0:
	s_load_dwordx4 s[8:11], s[4:5], 0x10
	s_lshl_b32 s0, s6, 8
	v_mov_b32_e32 v2, 0x100
	v_mov_b32_e32 v3, 0
	s_waitcnt lgkmcnt(0)
	s_add_u32 s0, s0, s10
	s_addc_u32 s1, 0, s11
	s_sub_u32 s2, s8, s0
	s_subb_u32 s3, s9, s1
	v_cmp_lt_u64_e32 vcc, s[2:3], v[2:3]
	s_cbranch_vccz .LBB6377_2
; %bb.1:
	v_cmp_gt_u32_e32 vcc, s2, v0
	s_and_b64 s[2:3], vcc, exec
	s_cbranch_execz .LBB6377_3
	s_branch .LBB6377_4
.LBB6377_2:
	s_mov_b64 s[2:3], 0
.LBB6377_3:
	s_or_b64 s[2:3], s[2:3], exec
.LBB6377_4:
	s_and_saveexec_b64 s[6:7], s[2:3]
	s_cbranch_execnz .LBB6377_6
; %bb.5:
	s_endpgm
.LBB6377_6:
	s_load_dwordx2 s[2:3], s[4:5], 0x0
	s_lshl_b64 s[0:1], s[0:1], 2
	v_mov_b32_e32 v1, 0
	v_lshlrev_b64 v[2:3], 2, v[0:1]
	s_waitcnt lgkmcnt(0)
	s_add_u32 s0, s2, s0
	s_addc_u32 s1, s3, s1
	v_mov_b32_e32 v0, s1
	v_add_co_u32_e32 v2, vcc, s0, v2
	v_addc_co_u32_e32 v3, vcc, v0, v3, vcc
	flat_store_dword v[2:3], v1
	s_endpgm
	.section	.rodata,"a",@progbits
	.p2align	6, 0x0
	.amdhsa_kernel _ZN6thrust23THRUST_200600_302600_NS11hip_rocprim14__parallel_for6kernelILj256ENS1_10for_each_fINS0_10device_ptrI11FixedVectorIiLj1EEEENS0_6detail16wrapped_functionINS9_23allocator_traits_detail24construct1_via_allocatorINS0_16device_allocatorIS7_EEEEvEEEEmLj1EEEvT0_T1_SJ_
		.amdhsa_group_segment_fixed_size 0
		.amdhsa_private_segment_fixed_size 0
		.amdhsa_kernarg_size 32
		.amdhsa_user_sgpr_count 6
		.amdhsa_user_sgpr_private_segment_buffer 1
		.amdhsa_user_sgpr_dispatch_ptr 0
		.amdhsa_user_sgpr_queue_ptr 0
		.amdhsa_user_sgpr_kernarg_segment_ptr 1
		.amdhsa_user_sgpr_dispatch_id 0
		.amdhsa_user_sgpr_flat_scratch_init 0
		.amdhsa_user_sgpr_kernarg_preload_length 0
		.amdhsa_user_sgpr_kernarg_preload_offset 0
		.amdhsa_user_sgpr_private_segment_size 0
		.amdhsa_uses_dynamic_stack 0
		.amdhsa_system_sgpr_private_segment_wavefront_offset 0
		.amdhsa_system_sgpr_workgroup_id_x 1
		.amdhsa_system_sgpr_workgroup_id_y 0
		.amdhsa_system_sgpr_workgroup_id_z 0
		.amdhsa_system_sgpr_workgroup_info 0
		.amdhsa_system_vgpr_workitem_id 0
		.amdhsa_next_free_vgpr 4
		.amdhsa_next_free_sgpr 12
		.amdhsa_accum_offset 4
		.amdhsa_reserve_vcc 1
		.amdhsa_reserve_flat_scratch 0
		.amdhsa_float_round_mode_32 0
		.amdhsa_float_round_mode_16_64 0
		.amdhsa_float_denorm_mode_32 3
		.amdhsa_float_denorm_mode_16_64 3
		.amdhsa_dx10_clamp 1
		.amdhsa_ieee_mode 1
		.amdhsa_fp16_overflow 0
		.amdhsa_tg_split 0
		.amdhsa_exception_fp_ieee_invalid_op 0
		.amdhsa_exception_fp_denorm_src 0
		.amdhsa_exception_fp_ieee_div_zero 0
		.amdhsa_exception_fp_ieee_overflow 0
		.amdhsa_exception_fp_ieee_underflow 0
		.amdhsa_exception_fp_ieee_inexact 0
		.amdhsa_exception_int_div_zero 0
	.end_amdhsa_kernel
	.section	.text._ZN6thrust23THRUST_200600_302600_NS11hip_rocprim14__parallel_for6kernelILj256ENS1_10for_each_fINS0_10device_ptrI11FixedVectorIiLj1EEEENS0_6detail16wrapped_functionINS9_23allocator_traits_detail24construct1_via_allocatorINS0_16device_allocatorIS7_EEEEvEEEEmLj1EEEvT0_T1_SJ_,"axG",@progbits,_ZN6thrust23THRUST_200600_302600_NS11hip_rocprim14__parallel_for6kernelILj256ENS1_10for_each_fINS0_10device_ptrI11FixedVectorIiLj1EEEENS0_6detail16wrapped_functionINS9_23allocator_traits_detail24construct1_via_allocatorINS0_16device_allocatorIS7_EEEEvEEEEmLj1EEEvT0_T1_SJ_,comdat
.Lfunc_end6377:
	.size	_ZN6thrust23THRUST_200600_302600_NS11hip_rocprim14__parallel_for6kernelILj256ENS1_10for_each_fINS0_10device_ptrI11FixedVectorIiLj1EEEENS0_6detail16wrapped_functionINS9_23allocator_traits_detail24construct1_via_allocatorINS0_16device_allocatorIS7_EEEEvEEEEmLj1EEEvT0_T1_SJ_, .Lfunc_end6377-_ZN6thrust23THRUST_200600_302600_NS11hip_rocprim14__parallel_for6kernelILj256ENS1_10for_each_fINS0_10device_ptrI11FixedVectorIiLj1EEEENS0_6detail16wrapped_functionINS9_23allocator_traits_detail24construct1_via_allocatorINS0_16device_allocatorIS7_EEEEvEEEEmLj1EEEvT0_T1_SJ_
                                        ; -- End function
	.section	.AMDGPU.csdata,"",@progbits
; Kernel info:
; codeLenInByte = 148
; NumSgprs: 16
; NumVgprs: 4
; NumAgprs: 0
; TotalNumVgprs: 4
; ScratchSize: 0
; MemoryBound: 0
; FloatMode: 240
; IeeeMode: 1
; LDSByteSize: 0 bytes/workgroup (compile time only)
; SGPRBlocks: 1
; VGPRBlocks: 0
; NumSGPRsForWavesPerEU: 16
; NumVGPRsForWavesPerEU: 4
; AccumOffset: 4
; Occupancy: 8
; WaveLimiterHint : 0
; COMPUTE_PGM_RSRC2:SCRATCH_EN: 0
; COMPUTE_PGM_RSRC2:USER_SGPR: 6
; COMPUTE_PGM_RSRC2:TRAP_HANDLER: 0
; COMPUTE_PGM_RSRC2:TGID_X_EN: 1
; COMPUTE_PGM_RSRC2:TGID_Y_EN: 0
; COMPUTE_PGM_RSRC2:TGID_Z_EN: 0
; COMPUTE_PGM_RSRC2:TIDIG_COMP_CNT: 0
; COMPUTE_PGM_RSRC3_GFX90A:ACCUM_OFFSET: 0
; COMPUTE_PGM_RSRC3_GFX90A:TG_SPLIT: 0
	.section	.text._ZN7rocprim17ROCPRIM_400000_NS6detail31init_lookback_scan_state_kernelINS1_19lookback_scan_stateI11FixedVectorIiLj1EELb0ELb1EEENS1_16block_id_wrapperIjLb0EEEEEvT_jT0_jPNS9_10value_typeE,"axG",@progbits,_ZN7rocprim17ROCPRIM_400000_NS6detail31init_lookback_scan_state_kernelINS1_19lookback_scan_stateI11FixedVectorIiLj1EELb0ELb1EEENS1_16block_id_wrapperIjLb0EEEEEvT_jT0_jPNS9_10value_typeE,comdat
	.protected	_ZN7rocprim17ROCPRIM_400000_NS6detail31init_lookback_scan_state_kernelINS1_19lookback_scan_stateI11FixedVectorIiLj1EELb0ELb1EEENS1_16block_id_wrapperIjLb0EEEEEvT_jT0_jPNS9_10value_typeE ; -- Begin function _ZN7rocprim17ROCPRIM_400000_NS6detail31init_lookback_scan_state_kernelINS1_19lookback_scan_stateI11FixedVectorIiLj1EELb0ELb1EEENS1_16block_id_wrapperIjLb0EEEEEvT_jT0_jPNS9_10value_typeE
	.globl	_ZN7rocprim17ROCPRIM_400000_NS6detail31init_lookback_scan_state_kernelINS1_19lookback_scan_stateI11FixedVectorIiLj1EELb0ELb1EEENS1_16block_id_wrapperIjLb0EEEEEvT_jT0_jPNS9_10value_typeE
	.p2align	8
	.type	_ZN7rocprim17ROCPRIM_400000_NS6detail31init_lookback_scan_state_kernelINS1_19lookback_scan_stateI11FixedVectorIiLj1EELb0ELb1EEENS1_16block_id_wrapperIjLb0EEEEEvT_jT0_jPNS9_10value_typeE,@function
_ZN7rocprim17ROCPRIM_400000_NS6detail31init_lookback_scan_state_kernelINS1_19lookback_scan_stateI11FixedVectorIiLj1EELb0ELb1EEENS1_16block_id_wrapperIjLb0EEEEEvT_jT0_jPNS9_10value_typeE: ; @_ZN7rocprim17ROCPRIM_400000_NS6detail31init_lookback_scan_state_kernelINS1_19lookback_scan_stateI11FixedVectorIiLj1EELb0ELb1EEENS1_16block_id_wrapperIjLb0EEEEEvT_jT0_jPNS9_10value_typeE
; %bb.0:
	s_load_dword s7, s[4:5], 0x2c
	s_load_dwordx2 s[2:3], s[4:5], 0x18
	s_load_dwordx2 s[0:1], s[4:5], 0x0
	s_load_dword s8, s[4:5], 0x8
	s_waitcnt lgkmcnt(0)
	s_and_b32 s7, s7, 0xffff
	s_mul_i32 s6, s6, s7
	s_cmp_eq_u64 s[2:3], 0
	v_add_u32_e32 v0, s6, v0
	s_cbranch_scc1 .LBB6378_6
; %bb.1:
	s_load_dword s6, s[4:5], 0x10
	s_mov_b32 s7, 0
	s_waitcnt lgkmcnt(0)
	s_cmp_lt_u32 s6, s8
	s_cselect_b32 s4, s6, 0
	v_cmp_eq_u32_e32 vcc, s4, v0
	s_and_saveexec_b64 s[4:5], vcc
	s_cbranch_execz .LBB6378_5
; %bb.2:
	s_add_i32 s6, s6, 64
	s_lshl_b64 s[6:7], s[6:7], 3
	s_add_u32 s6, s0, s6
	s_addc_u32 s7, s1, s7
	v_mov_b32_e32 v4, 0
	global_load_dwordx2 v[2:3], v4, s[6:7] glc
	s_waitcnt vmcnt(0)
	v_and_b32_e32 v5, 0xff, v3
	v_cmp_ne_u64_e32 vcc, 0, v[4:5]
	s_cbranch_vccnz .LBB6378_4
.LBB6378_3:                             ; =>This Inner Loop Header: Depth=1
	global_load_dwordx2 v[2:3], v4, s[6:7] glc
	s_waitcnt vmcnt(0)
	v_and_b32_e32 v5, 0xff, v3
	v_cmp_eq_u64_e32 vcc, 0, v[4:5]
	s_cbranch_vccnz .LBB6378_3
.LBB6378_4:
	v_mov_b32_e32 v1, 0
	global_store_dword v1, v2, s[2:3]
.LBB6378_5:
	s_or_b64 exec, exec, s[4:5]
.LBB6378_6:
	v_cmp_gt_u32_e32 vcc, s8, v0
	s_and_saveexec_b64 s[2:3], vcc
	s_cbranch_execnz .LBB6378_9
; %bb.7:
	s_or_b64 exec, exec, s[2:3]
	v_cmp_gt_u32_e32 vcc, 64, v0
	s_and_saveexec_b64 s[2:3], vcc
	s_cbranch_execnz .LBB6378_10
.LBB6378_8:
	s_endpgm
.LBB6378_9:
	v_add_u32_e32 v2, 64, v0
	v_mov_b32_e32 v3, 0
	v_lshlrev_b64 v[4:5], 3, v[2:3]
	v_mov_b32_e32 v1, s1
	v_add_co_u32_e32 v4, vcc, s0, v4
	v_addc_co_u32_e32 v5, vcc, v1, v5, vcc
	v_mov_b32_e32 v2, v3
	global_store_dwordx2 v[4:5], v[2:3], off
	s_or_b64 exec, exec, s[2:3]
	v_cmp_gt_u32_e32 vcc, 64, v0
	s_and_saveexec_b64 s[2:3], vcc
	s_cbranch_execz .LBB6378_8
.LBB6378_10:
	v_mov_b32_e32 v1, 0
	v_lshlrev_b64 v[2:3], 3, v[0:1]
	v_mov_b32_e32 v0, s1
	v_add_co_u32_e32 v2, vcc, s0, v2
	v_addc_co_u32_e32 v3, vcc, v0, v3, vcc
	v_mov_b32_e32 v5, 0xff
	v_mov_b32_e32 v4, v1
	global_store_dwordx2 v[2:3], v[4:5], off
	s_endpgm
	.section	.rodata,"a",@progbits
	.p2align	6, 0x0
	.amdhsa_kernel _ZN7rocprim17ROCPRIM_400000_NS6detail31init_lookback_scan_state_kernelINS1_19lookback_scan_stateI11FixedVectorIiLj1EELb0ELb1EEENS1_16block_id_wrapperIjLb0EEEEEvT_jT0_jPNS9_10value_typeE
		.amdhsa_group_segment_fixed_size 0
		.amdhsa_private_segment_fixed_size 0
		.amdhsa_kernarg_size 288
		.amdhsa_user_sgpr_count 6
		.amdhsa_user_sgpr_private_segment_buffer 1
		.amdhsa_user_sgpr_dispatch_ptr 0
		.amdhsa_user_sgpr_queue_ptr 0
		.amdhsa_user_sgpr_kernarg_segment_ptr 1
		.amdhsa_user_sgpr_dispatch_id 0
		.amdhsa_user_sgpr_flat_scratch_init 0
		.amdhsa_user_sgpr_kernarg_preload_length 0
		.amdhsa_user_sgpr_kernarg_preload_offset 0
		.amdhsa_user_sgpr_private_segment_size 0
		.amdhsa_uses_dynamic_stack 0
		.amdhsa_system_sgpr_private_segment_wavefront_offset 0
		.amdhsa_system_sgpr_workgroup_id_x 1
		.amdhsa_system_sgpr_workgroup_id_y 0
		.amdhsa_system_sgpr_workgroup_id_z 0
		.amdhsa_system_sgpr_workgroup_info 0
		.amdhsa_system_vgpr_workitem_id 0
		.amdhsa_next_free_vgpr 6
		.amdhsa_next_free_sgpr 9
		.amdhsa_accum_offset 8
		.amdhsa_reserve_vcc 1
		.amdhsa_reserve_flat_scratch 0
		.amdhsa_float_round_mode_32 0
		.amdhsa_float_round_mode_16_64 0
		.amdhsa_float_denorm_mode_32 3
		.amdhsa_float_denorm_mode_16_64 3
		.amdhsa_dx10_clamp 1
		.amdhsa_ieee_mode 1
		.amdhsa_fp16_overflow 0
		.amdhsa_tg_split 0
		.amdhsa_exception_fp_ieee_invalid_op 0
		.amdhsa_exception_fp_denorm_src 0
		.amdhsa_exception_fp_ieee_div_zero 0
		.amdhsa_exception_fp_ieee_overflow 0
		.amdhsa_exception_fp_ieee_underflow 0
		.amdhsa_exception_fp_ieee_inexact 0
		.amdhsa_exception_int_div_zero 0
	.end_amdhsa_kernel
	.section	.text._ZN7rocprim17ROCPRIM_400000_NS6detail31init_lookback_scan_state_kernelINS1_19lookback_scan_stateI11FixedVectorIiLj1EELb0ELb1EEENS1_16block_id_wrapperIjLb0EEEEEvT_jT0_jPNS9_10value_typeE,"axG",@progbits,_ZN7rocprim17ROCPRIM_400000_NS6detail31init_lookback_scan_state_kernelINS1_19lookback_scan_stateI11FixedVectorIiLj1EELb0ELb1EEENS1_16block_id_wrapperIjLb0EEEEEvT_jT0_jPNS9_10value_typeE,comdat
.Lfunc_end6378:
	.size	_ZN7rocprim17ROCPRIM_400000_NS6detail31init_lookback_scan_state_kernelINS1_19lookback_scan_stateI11FixedVectorIiLj1EELb0ELb1EEENS1_16block_id_wrapperIjLb0EEEEEvT_jT0_jPNS9_10value_typeE, .Lfunc_end6378-_ZN7rocprim17ROCPRIM_400000_NS6detail31init_lookback_scan_state_kernelINS1_19lookback_scan_stateI11FixedVectorIiLj1EELb0ELb1EEENS1_16block_id_wrapperIjLb0EEEEEvT_jT0_jPNS9_10value_typeE
                                        ; -- End function
	.section	.AMDGPU.csdata,"",@progbits
; Kernel info:
; codeLenInByte = 324
; NumSgprs: 13
; NumVgprs: 6
; NumAgprs: 0
; TotalNumVgprs: 6
; ScratchSize: 0
; MemoryBound: 0
; FloatMode: 240
; IeeeMode: 1
; LDSByteSize: 0 bytes/workgroup (compile time only)
; SGPRBlocks: 1
; VGPRBlocks: 0
; NumSGPRsForWavesPerEU: 13
; NumVGPRsForWavesPerEU: 6
; AccumOffset: 8
; Occupancy: 8
; WaveLimiterHint : 0
; COMPUTE_PGM_RSRC2:SCRATCH_EN: 0
; COMPUTE_PGM_RSRC2:USER_SGPR: 6
; COMPUTE_PGM_RSRC2:TRAP_HANDLER: 0
; COMPUTE_PGM_RSRC2:TGID_X_EN: 1
; COMPUTE_PGM_RSRC2:TGID_Y_EN: 0
; COMPUTE_PGM_RSRC2:TGID_Z_EN: 0
; COMPUTE_PGM_RSRC2:TIDIG_COMP_CNT: 0
; COMPUTE_PGM_RSRC3_GFX90A:ACCUM_OFFSET: 1
; COMPUTE_PGM_RSRC3_GFX90A:TG_SPLIT: 0
	.section	.text._ZN7rocprim17ROCPRIM_400000_NS6detail17trampoline_kernelINS0_14default_configENS1_20scan_config_selectorI11FixedVectorIiLj1EEEEZZNS1_9scan_implILNS1_25lookback_scan_determinismE0ELb0ELb0ES3_N6thrust23THRUST_200600_302600_NS6detail15normal_iteratorINSB_10device_ptrIS6_EEEESG_S6_NSB_4plusIvEES6_EEDaPvRmT3_T4_T5_mT6_P12ihipStream_tbENKUlT_T0_E_clISt17integral_constantIbLb0EESW_EEDaSR_SS_EUlSR_E_NS1_11comp_targetILNS1_3genE0ELNS1_11target_archE4294967295ELNS1_3gpuE0ELNS1_3repE0EEENS1_30default_config_static_selectorELNS0_4arch9wavefront6targetE1EEEvT1_,"axG",@progbits,_ZN7rocprim17ROCPRIM_400000_NS6detail17trampoline_kernelINS0_14default_configENS1_20scan_config_selectorI11FixedVectorIiLj1EEEEZZNS1_9scan_implILNS1_25lookback_scan_determinismE0ELb0ELb0ES3_N6thrust23THRUST_200600_302600_NS6detail15normal_iteratorINSB_10device_ptrIS6_EEEESG_S6_NSB_4plusIvEES6_EEDaPvRmT3_T4_T5_mT6_P12ihipStream_tbENKUlT_T0_E_clISt17integral_constantIbLb0EESW_EEDaSR_SS_EUlSR_E_NS1_11comp_targetILNS1_3genE0ELNS1_11target_archE4294967295ELNS1_3gpuE0ELNS1_3repE0EEENS1_30default_config_static_selectorELNS0_4arch9wavefront6targetE1EEEvT1_,comdat
	.protected	_ZN7rocprim17ROCPRIM_400000_NS6detail17trampoline_kernelINS0_14default_configENS1_20scan_config_selectorI11FixedVectorIiLj1EEEEZZNS1_9scan_implILNS1_25lookback_scan_determinismE0ELb0ELb0ES3_N6thrust23THRUST_200600_302600_NS6detail15normal_iteratorINSB_10device_ptrIS6_EEEESG_S6_NSB_4plusIvEES6_EEDaPvRmT3_T4_T5_mT6_P12ihipStream_tbENKUlT_T0_E_clISt17integral_constantIbLb0EESW_EEDaSR_SS_EUlSR_E_NS1_11comp_targetILNS1_3genE0ELNS1_11target_archE4294967295ELNS1_3gpuE0ELNS1_3repE0EEENS1_30default_config_static_selectorELNS0_4arch9wavefront6targetE1EEEvT1_ ; -- Begin function _ZN7rocprim17ROCPRIM_400000_NS6detail17trampoline_kernelINS0_14default_configENS1_20scan_config_selectorI11FixedVectorIiLj1EEEEZZNS1_9scan_implILNS1_25lookback_scan_determinismE0ELb0ELb0ES3_N6thrust23THRUST_200600_302600_NS6detail15normal_iteratorINSB_10device_ptrIS6_EEEESG_S6_NSB_4plusIvEES6_EEDaPvRmT3_T4_T5_mT6_P12ihipStream_tbENKUlT_T0_E_clISt17integral_constantIbLb0EESW_EEDaSR_SS_EUlSR_E_NS1_11comp_targetILNS1_3genE0ELNS1_11target_archE4294967295ELNS1_3gpuE0ELNS1_3repE0EEENS1_30default_config_static_selectorELNS0_4arch9wavefront6targetE1EEEvT1_
	.globl	_ZN7rocprim17ROCPRIM_400000_NS6detail17trampoline_kernelINS0_14default_configENS1_20scan_config_selectorI11FixedVectorIiLj1EEEEZZNS1_9scan_implILNS1_25lookback_scan_determinismE0ELb0ELb0ES3_N6thrust23THRUST_200600_302600_NS6detail15normal_iteratorINSB_10device_ptrIS6_EEEESG_S6_NSB_4plusIvEES6_EEDaPvRmT3_T4_T5_mT6_P12ihipStream_tbENKUlT_T0_E_clISt17integral_constantIbLb0EESW_EEDaSR_SS_EUlSR_E_NS1_11comp_targetILNS1_3genE0ELNS1_11target_archE4294967295ELNS1_3gpuE0ELNS1_3repE0EEENS1_30default_config_static_selectorELNS0_4arch9wavefront6targetE1EEEvT1_
	.p2align	8
	.type	_ZN7rocprim17ROCPRIM_400000_NS6detail17trampoline_kernelINS0_14default_configENS1_20scan_config_selectorI11FixedVectorIiLj1EEEEZZNS1_9scan_implILNS1_25lookback_scan_determinismE0ELb0ELb0ES3_N6thrust23THRUST_200600_302600_NS6detail15normal_iteratorINSB_10device_ptrIS6_EEEESG_S6_NSB_4plusIvEES6_EEDaPvRmT3_T4_T5_mT6_P12ihipStream_tbENKUlT_T0_E_clISt17integral_constantIbLb0EESW_EEDaSR_SS_EUlSR_E_NS1_11comp_targetILNS1_3genE0ELNS1_11target_archE4294967295ELNS1_3gpuE0ELNS1_3repE0EEENS1_30default_config_static_selectorELNS0_4arch9wavefront6targetE1EEEvT1_,@function
_ZN7rocprim17ROCPRIM_400000_NS6detail17trampoline_kernelINS0_14default_configENS1_20scan_config_selectorI11FixedVectorIiLj1EEEEZZNS1_9scan_implILNS1_25lookback_scan_determinismE0ELb0ELb0ES3_N6thrust23THRUST_200600_302600_NS6detail15normal_iteratorINSB_10device_ptrIS6_EEEESG_S6_NSB_4plusIvEES6_EEDaPvRmT3_T4_T5_mT6_P12ihipStream_tbENKUlT_T0_E_clISt17integral_constantIbLb0EESW_EEDaSR_SS_EUlSR_E_NS1_11comp_targetILNS1_3genE0ELNS1_11target_archE4294967295ELNS1_3gpuE0ELNS1_3repE0EEENS1_30default_config_static_selectorELNS0_4arch9wavefront6targetE1EEEvT1_: ; @_ZN7rocprim17ROCPRIM_400000_NS6detail17trampoline_kernelINS0_14default_configENS1_20scan_config_selectorI11FixedVectorIiLj1EEEEZZNS1_9scan_implILNS1_25lookback_scan_determinismE0ELb0ELb0ES3_N6thrust23THRUST_200600_302600_NS6detail15normal_iteratorINSB_10device_ptrIS6_EEEESG_S6_NSB_4plusIvEES6_EEDaPvRmT3_T4_T5_mT6_P12ihipStream_tbENKUlT_T0_E_clISt17integral_constantIbLb0EESW_EEDaSR_SS_EUlSR_E_NS1_11comp_targetILNS1_3genE0ELNS1_11target_archE4294967295ELNS1_3gpuE0ELNS1_3repE0EEENS1_30default_config_static_selectorELNS0_4arch9wavefront6targetE1EEEvT1_
; %bb.0:
	.section	.rodata,"a",@progbits
	.p2align	6, 0x0
	.amdhsa_kernel _ZN7rocprim17ROCPRIM_400000_NS6detail17trampoline_kernelINS0_14default_configENS1_20scan_config_selectorI11FixedVectorIiLj1EEEEZZNS1_9scan_implILNS1_25lookback_scan_determinismE0ELb0ELb0ES3_N6thrust23THRUST_200600_302600_NS6detail15normal_iteratorINSB_10device_ptrIS6_EEEESG_S6_NSB_4plusIvEES6_EEDaPvRmT3_T4_T5_mT6_P12ihipStream_tbENKUlT_T0_E_clISt17integral_constantIbLb0EESW_EEDaSR_SS_EUlSR_E_NS1_11comp_targetILNS1_3genE0ELNS1_11target_archE4294967295ELNS1_3gpuE0ELNS1_3repE0EEENS1_30default_config_static_selectorELNS0_4arch9wavefront6targetE1EEEvT1_
		.amdhsa_group_segment_fixed_size 0
		.amdhsa_private_segment_fixed_size 0
		.amdhsa_kernarg_size 96
		.amdhsa_user_sgpr_count 6
		.amdhsa_user_sgpr_private_segment_buffer 1
		.amdhsa_user_sgpr_dispatch_ptr 0
		.amdhsa_user_sgpr_queue_ptr 0
		.amdhsa_user_sgpr_kernarg_segment_ptr 1
		.amdhsa_user_sgpr_dispatch_id 0
		.amdhsa_user_sgpr_flat_scratch_init 0
		.amdhsa_user_sgpr_kernarg_preload_length 0
		.amdhsa_user_sgpr_kernarg_preload_offset 0
		.amdhsa_user_sgpr_private_segment_size 0
		.amdhsa_uses_dynamic_stack 0
		.amdhsa_system_sgpr_private_segment_wavefront_offset 0
		.amdhsa_system_sgpr_workgroup_id_x 1
		.amdhsa_system_sgpr_workgroup_id_y 0
		.amdhsa_system_sgpr_workgroup_id_z 0
		.amdhsa_system_sgpr_workgroup_info 0
		.amdhsa_system_vgpr_workitem_id 0
		.amdhsa_next_free_vgpr 1
		.amdhsa_next_free_sgpr 0
		.amdhsa_accum_offset 4
		.amdhsa_reserve_vcc 0
		.amdhsa_reserve_flat_scratch 0
		.amdhsa_float_round_mode_32 0
		.amdhsa_float_round_mode_16_64 0
		.amdhsa_float_denorm_mode_32 3
		.amdhsa_float_denorm_mode_16_64 3
		.amdhsa_dx10_clamp 1
		.amdhsa_ieee_mode 1
		.amdhsa_fp16_overflow 0
		.amdhsa_tg_split 0
		.amdhsa_exception_fp_ieee_invalid_op 0
		.amdhsa_exception_fp_denorm_src 0
		.amdhsa_exception_fp_ieee_div_zero 0
		.amdhsa_exception_fp_ieee_overflow 0
		.amdhsa_exception_fp_ieee_underflow 0
		.amdhsa_exception_fp_ieee_inexact 0
		.amdhsa_exception_int_div_zero 0
	.end_amdhsa_kernel
	.section	.text._ZN7rocprim17ROCPRIM_400000_NS6detail17trampoline_kernelINS0_14default_configENS1_20scan_config_selectorI11FixedVectorIiLj1EEEEZZNS1_9scan_implILNS1_25lookback_scan_determinismE0ELb0ELb0ES3_N6thrust23THRUST_200600_302600_NS6detail15normal_iteratorINSB_10device_ptrIS6_EEEESG_S6_NSB_4plusIvEES6_EEDaPvRmT3_T4_T5_mT6_P12ihipStream_tbENKUlT_T0_E_clISt17integral_constantIbLb0EESW_EEDaSR_SS_EUlSR_E_NS1_11comp_targetILNS1_3genE0ELNS1_11target_archE4294967295ELNS1_3gpuE0ELNS1_3repE0EEENS1_30default_config_static_selectorELNS0_4arch9wavefront6targetE1EEEvT1_,"axG",@progbits,_ZN7rocprim17ROCPRIM_400000_NS6detail17trampoline_kernelINS0_14default_configENS1_20scan_config_selectorI11FixedVectorIiLj1EEEEZZNS1_9scan_implILNS1_25lookback_scan_determinismE0ELb0ELb0ES3_N6thrust23THRUST_200600_302600_NS6detail15normal_iteratorINSB_10device_ptrIS6_EEEESG_S6_NSB_4plusIvEES6_EEDaPvRmT3_T4_T5_mT6_P12ihipStream_tbENKUlT_T0_E_clISt17integral_constantIbLb0EESW_EEDaSR_SS_EUlSR_E_NS1_11comp_targetILNS1_3genE0ELNS1_11target_archE4294967295ELNS1_3gpuE0ELNS1_3repE0EEENS1_30default_config_static_selectorELNS0_4arch9wavefront6targetE1EEEvT1_,comdat
.Lfunc_end6379:
	.size	_ZN7rocprim17ROCPRIM_400000_NS6detail17trampoline_kernelINS0_14default_configENS1_20scan_config_selectorI11FixedVectorIiLj1EEEEZZNS1_9scan_implILNS1_25lookback_scan_determinismE0ELb0ELb0ES3_N6thrust23THRUST_200600_302600_NS6detail15normal_iteratorINSB_10device_ptrIS6_EEEESG_S6_NSB_4plusIvEES6_EEDaPvRmT3_T4_T5_mT6_P12ihipStream_tbENKUlT_T0_E_clISt17integral_constantIbLb0EESW_EEDaSR_SS_EUlSR_E_NS1_11comp_targetILNS1_3genE0ELNS1_11target_archE4294967295ELNS1_3gpuE0ELNS1_3repE0EEENS1_30default_config_static_selectorELNS0_4arch9wavefront6targetE1EEEvT1_, .Lfunc_end6379-_ZN7rocprim17ROCPRIM_400000_NS6detail17trampoline_kernelINS0_14default_configENS1_20scan_config_selectorI11FixedVectorIiLj1EEEEZZNS1_9scan_implILNS1_25lookback_scan_determinismE0ELb0ELb0ES3_N6thrust23THRUST_200600_302600_NS6detail15normal_iteratorINSB_10device_ptrIS6_EEEESG_S6_NSB_4plusIvEES6_EEDaPvRmT3_T4_T5_mT6_P12ihipStream_tbENKUlT_T0_E_clISt17integral_constantIbLb0EESW_EEDaSR_SS_EUlSR_E_NS1_11comp_targetILNS1_3genE0ELNS1_11target_archE4294967295ELNS1_3gpuE0ELNS1_3repE0EEENS1_30default_config_static_selectorELNS0_4arch9wavefront6targetE1EEEvT1_
                                        ; -- End function
	.section	.AMDGPU.csdata,"",@progbits
; Kernel info:
; codeLenInByte = 0
; NumSgprs: 4
; NumVgprs: 0
; NumAgprs: 0
; TotalNumVgprs: 0
; ScratchSize: 0
; MemoryBound: 0
; FloatMode: 240
; IeeeMode: 1
; LDSByteSize: 0 bytes/workgroup (compile time only)
; SGPRBlocks: 0
; VGPRBlocks: 0
; NumSGPRsForWavesPerEU: 4
; NumVGPRsForWavesPerEU: 1
; AccumOffset: 4
; Occupancy: 8
; WaveLimiterHint : 0
; COMPUTE_PGM_RSRC2:SCRATCH_EN: 0
; COMPUTE_PGM_RSRC2:USER_SGPR: 6
; COMPUTE_PGM_RSRC2:TRAP_HANDLER: 0
; COMPUTE_PGM_RSRC2:TGID_X_EN: 1
; COMPUTE_PGM_RSRC2:TGID_Y_EN: 0
; COMPUTE_PGM_RSRC2:TGID_Z_EN: 0
; COMPUTE_PGM_RSRC2:TIDIG_COMP_CNT: 0
; COMPUTE_PGM_RSRC3_GFX90A:ACCUM_OFFSET: 0
; COMPUTE_PGM_RSRC3_GFX90A:TG_SPLIT: 0
	.section	.text._ZN7rocprim17ROCPRIM_400000_NS6detail17trampoline_kernelINS0_14default_configENS1_20scan_config_selectorI11FixedVectorIiLj1EEEEZZNS1_9scan_implILNS1_25lookback_scan_determinismE0ELb0ELb0ES3_N6thrust23THRUST_200600_302600_NS6detail15normal_iteratorINSB_10device_ptrIS6_EEEESG_S6_NSB_4plusIvEES6_EEDaPvRmT3_T4_T5_mT6_P12ihipStream_tbENKUlT_T0_E_clISt17integral_constantIbLb0EESW_EEDaSR_SS_EUlSR_E_NS1_11comp_targetILNS1_3genE5ELNS1_11target_archE942ELNS1_3gpuE9ELNS1_3repE0EEENS1_30default_config_static_selectorELNS0_4arch9wavefront6targetE1EEEvT1_,"axG",@progbits,_ZN7rocprim17ROCPRIM_400000_NS6detail17trampoline_kernelINS0_14default_configENS1_20scan_config_selectorI11FixedVectorIiLj1EEEEZZNS1_9scan_implILNS1_25lookback_scan_determinismE0ELb0ELb0ES3_N6thrust23THRUST_200600_302600_NS6detail15normal_iteratorINSB_10device_ptrIS6_EEEESG_S6_NSB_4plusIvEES6_EEDaPvRmT3_T4_T5_mT6_P12ihipStream_tbENKUlT_T0_E_clISt17integral_constantIbLb0EESW_EEDaSR_SS_EUlSR_E_NS1_11comp_targetILNS1_3genE5ELNS1_11target_archE942ELNS1_3gpuE9ELNS1_3repE0EEENS1_30default_config_static_selectorELNS0_4arch9wavefront6targetE1EEEvT1_,comdat
	.protected	_ZN7rocprim17ROCPRIM_400000_NS6detail17trampoline_kernelINS0_14default_configENS1_20scan_config_selectorI11FixedVectorIiLj1EEEEZZNS1_9scan_implILNS1_25lookback_scan_determinismE0ELb0ELb0ES3_N6thrust23THRUST_200600_302600_NS6detail15normal_iteratorINSB_10device_ptrIS6_EEEESG_S6_NSB_4plusIvEES6_EEDaPvRmT3_T4_T5_mT6_P12ihipStream_tbENKUlT_T0_E_clISt17integral_constantIbLb0EESW_EEDaSR_SS_EUlSR_E_NS1_11comp_targetILNS1_3genE5ELNS1_11target_archE942ELNS1_3gpuE9ELNS1_3repE0EEENS1_30default_config_static_selectorELNS0_4arch9wavefront6targetE1EEEvT1_ ; -- Begin function _ZN7rocprim17ROCPRIM_400000_NS6detail17trampoline_kernelINS0_14default_configENS1_20scan_config_selectorI11FixedVectorIiLj1EEEEZZNS1_9scan_implILNS1_25lookback_scan_determinismE0ELb0ELb0ES3_N6thrust23THRUST_200600_302600_NS6detail15normal_iteratorINSB_10device_ptrIS6_EEEESG_S6_NSB_4plusIvEES6_EEDaPvRmT3_T4_T5_mT6_P12ihipStream_tbENKUlT_T0_E_clISt17integral_constantIbLb0EESW_EEDaSR_SS_EUlSR_E_NS1_11comp_targetILNS1_3genE5ELNS1_11target_archE942ELNS1_3gpuE9ELNS1_3repE0EEENS1_30default_config_static_selectorELNS0_4arch9wavefront6targetE1EEEvT1_
	.globl	_ZN7rocprim17ROCPRIM_400000_NS6detail17trampoline_kernelINS0_14default_configENS1_20scan_config_selectorI11FixedVectorIiLj1EEEEZZNS1_9scan_implILNS1_25lookback_scan_determinismE0ELb0ELb0ES3_N6thrust23THRUST_200600_302600_NS6detail15normal_iteratorINSB_10device_ptrIS6_EEEESG_S6_NSB_4plusIvEES6_EEDaPvRmT3_T4_T5_mT6_P12ihipStream_tbENKUlT_T0_E_clISt17integral_constantIbLb0EESW_EEDaSR_SS_EUlSR_E_NS1_11comp_targetILNS1_3genE5ELNS1_11target_archE942ELNS1_3gpuE9ELNS1_3repE0EEENS1_30default_config_static_selectorELNS0_4arch9wavefront6targetE1EEEvT1_
	.p2align	8
	.type	_ZN7rocprim17ROCPRIM_400000_NS6detail17trampoline_kernelINS0_14default_configENS1_20scan_config_selectorI11FixedVectorIiLj1EEEEZZNS1_9scan_implILNS1_25lookback_scan_determinismE0ELb0ELb0ES3_N6thrust23THRUST_200600_302600_NS6detail15normal_iteratorINSB_10device_ptrIS6_EEEESG_S6_NSB_4plusIvEES6_EEDaPvRmT3_T4_T5_mT6_P12ihipStream_tbENKUlT_T0_E_clISt17integral_constantIbLb0EESW_EEDaSR_SS_EUlSR_E_NS1_11comp_targetILNS1_3genE5ELNS1_11target_archE942ELNS1_3gpuE9ELNS1_3repE0EEENS1_30default_config_static_selectorELNS0_4arch9wavefront6targetE1EEEvT1_,@function
_ZN7rocprim17ROCPRIM_400000_NS6detail17trampoline_kernelINS0_14default_configENS1_20scan_config_selectorI11FixedVectorIiLj1EEEEZZNS1_9scan_implILNS1_25lookback_scan_determinismE0ELb0ELb0ES3_N6thrust23THRUST_200600_302600_NS6detail15normal_iteratorINSB_10device_ptrIS6_EEEESG_S6_NSB_4plusIvEES6_EEDaPvRmT3_T4_T5_mT6_P12ihipStream_tbENKUlT_T0_E_clISt17integral_constantIbLb0EESW_EEDaSR_SS_EUlSR_E_NS1_11comp_targetILNS1_3genE5ELNS1_11target_archE942ELNS1_3gpuE9ELNS1_3repE0EEENS1_30default_config_static_selectorELNS0_4arch9wavefront6targetE1EEEvT1_: ; @_ZN7rocprim17ROCPRIM_400000_NS6detail17trampoline_kernelINS0_14default_configENS1_20scan_config_selectorI11FixedVectorIiLj1EEEEZZNS1_9scan_implILNS1_25lookback_scan_determinismE0ELb0ELb0ES3_N6thrust23THRUST_200600_302600_NS6detail15normal_iteratorINSB_10device_ptrIS6_EEEESG_S6_NSB_4plusIvEES6_EEDaPvRmT3_T4_T5_mT6_P12ihipStream_tbENKUlT_T0_E_clISt17integral_constantIbLb0EESW_EEDaSR_SS_EUlSR_E_NS1_11comp_targetILNS1_3genE5ELNS1_11target_archE942ELNS1_3gpuE9ELNS1_3repE0EEENS1_30default_config_static_selectorELNS0_4arch9wavefront6targetE1EEEvT1_
; %bb.0:
	.section	.rodata,"a",@progbits
	.p2align	6, 0x0
	.amdhsa_kernel _ZN7rocprim17ROCPRIM_400000_NS6detail17trampoline_kernelINS0_14default_configENS1_20scan_config_selectorI11FixedVectorIiLj1EEEEZZNS1_9scan_implILNS1_25lookback_scan_determinismE0ELb0ELb0ES3_N6thrust23THRUST_200600_302600_NS6detail15normal_iteratorINSB_10device_ptrIS6_EEEESG_S6_NSB_4plusIvEES6_EEDaPvRmT3_T4_T5_mT6_P12ihipStream_tbENKUlT_T0_E_clISt17integral_constantIbLb0EESW_EEDaSR_SS_EUlSR_E_NS1_11comp_targetILNS1_3genE5ELNS1_11target_archE942ELNS1_3gpuE9ELNS1_3repE0EEENS1_30default_config_static_selectorELNS0_4arch9wavefront6targetE1EEEvT1_
		.amdhsa_group_segment_fixed_size 0
		.amdhsa_private_segment_fixed_size 0
		.amdhsa_kernarg_size 96
		.amdhsa_user_sgpr_count 6
		.amdhsa_user_sgpr_private_segment_buffer 1
		.amdhsa_user_sgpr_dispatch_ptr 0
		.amdhsa_user_sgpr_queue_ptr 0
		.amdhsa_user_sgpr_kernarg_segment_ptr 1
		.amdhsa_user_sgpr_dispatch_id 0
		.amdhsa_user_sgpr_flat_scratch_init 0
		.amdhsa_user_sgpr_kernarg_preload_length 0
		.amdhsa_user_sgpr_kernarg_preload_offset 0
		.amdhsa_user_sgpr_private_segment_size 0
		.amdhsa_uses_dynamic_stack 0
		.amdhsa_system_sgpr_private_segment_wavefront_offset 0
		.amdhsa_system_sgpr_workgroup_id_x 1
		.amdhsa_system_sgpr_workgroup_id_y 0
		.amdhsa_system_sgpr_workgroup_id_z 0
		.amdhsa_system_sgpr_workgroup_info 0
		.amdhsa_system_vgpr_workitem_id 0
		.amdhsa_next_free_vgpr 1
		.amdhsa_next_free_sgpr 0
		.amdhsa_accum_offset 4
		.amdhsa_reserve_vcc 0
		.amdhsa_reserve_flat_scratch 0
		.amdhsa_float_round_mode_32 0
		.amdhsa_float_round_mode_16_64 0
		.amdhsa_float_denorm_mode_32 3
		.amdhsa_float_denorm_mode_16_64 3
		.amdhsa_dx10_clamp 1
		.amdhsa_ieee_mode 1
		.amdhsa_fp16_overflow 0
		.amdhsa_tg_split 0
		.amdhsa_exception_fp_ieee_invalid_op 0
		.amdhsa_exception_fp_denorm_src 0
		.amdhsa_exception_fp_ieee_div_zero 0
		.amdhsa_exception_fp_ieee_overflow 0
		.amdhsa_exception_fp_ieee_underflow 0
		.amdhsa_exception_fp_ieee_inexact 0
		.amdhsa_exception_int_div_zero 0
	.end_amdhsa_kernel
	.section	.text._ZN7rocprim17ROCPRIM_400000_NS6detail17trampoline_kernelINS0_14default_configENS1_20scan_config_selectorI11FixedVectorIiLj1EEEEZZNS1_9scan_implILNS1_25lookback_scan_determinismE0ELb0ELb0ES3_N6thrust23THRUST_200600_302600_NS6detail15normal_iteratorINSB_10device_ptrIS6_EEEESG_S6_NSB_4plusIvEES6_EEDaPvRmT3_T4_T5_mT6_P12ihipStream_tbENKUlT_T0_E_clISt17integral_constantIbLb0EESW_EEDaSR_SS_EUlSR_E_NS1_11comp_targetILNS1_3genE5ELNS1_11target_archE942ELNS1_3gpuE9ELNS1_3repE0EEENS1_30default_config_static_selectorELNS0_4arch9wavefront6targetE1EEEvT1_,"axG",@progbits,_ZN7rocprim17ROCPRIM_400000_NS6detail17trampoline_kernelINS0_14default_configENS1_20scan_config_selectorI11FixedVectorIiLj1EEEEZZNS1_9scan_implILNS1_25lookback_scan_determinismE0ELb0ELb0ES3_N6thrust23THRUST_200600_302600_NS6detail15normal_iteratorINSB_10device_ptrIS6_EEEESG_S6_NSB_4plusIvEES6_EEDaPvRmT3_T4_T5_mT6_P12ihipStream_tbENKUlT_T0_E_clISt17integral_constantIbLb0EESW_EEDaSR_SS_EUlSR_E_NS1_11comp_targetILNS1_3genE5ELNS1_11target_archE942ELNS1_3gpuE9ELNS1_3repE0EEENS1_30default_config_static_selectorELNS0_4arch9wavefront6targetE1EEEvT1_,comdat
.Lfunc_end6380:
	.size	_ZN7rocprim17ROCPRIM_400000_NS6detail17trampoline_kernelINS0_14default_configENS1_20scan_config_selectorI11FixedVectorIiLj1EEEEZZNS1_9scan_implILNS1_25lookback_scan_determinismE0ELb0ELb0ES3_N6thrust23THRUST_200600_302600_NS6detail15normal_iteratorINSB_10device_ptrIS6_EEEESG_S6_NSB_4plusIvEES6_EEDaPvRmT3_T4_T5_mT6_P12ihipStream_tbENKUlT_T0_E_clISt17integral_constantIbLb0EESW_EEDaSR_SS_EUlSR_E_NS1_11comp_targetILNS1_3genE5ELNS1_11target_archE942ELNS1_3gpuE9ELNS1_3repE0EEENS1_30default_config_static_selectorELNS0_4arch9wavefront6targetE1EEEvT1_, .Lfunc_end6380-_ZN7rocprim17ROCPRIM_400000_NS6detail17trampoline_kernelINS0_14default_configENS1_20scan_config_selectorI11FixedVectorIiLj1EEEEZZNS1_9scan_implILNS1_25lookback_scan_determinismE0ELb0ELb0ES3_N6thrust23THRUST_200600_302600_NS6detail15normal_iteratorINSB_10device_ptrIS6_EEEESG_S6_NSB_4plusIvEES6_EEDaPvRmT3_T4_T5_mT6_P12ihipStream_tbENKUlT_T0_E_clISt17integral_constantIbLb0EESW_EEDaSR_SS_EUlSR_E_NS1_11comp_targetILNS1_3genE5ELNS1_11target_archE942ELNS1_3gpuE9ELNS1_3repE0EEENS1_30default_config_static_selectorELNS0_4arch9wavefront6targetE1EEEvT1_
                                        ; -- End function
	.section	.AMDGPU.csdata,"",@progbits
; Kernel info:
; codeLenInByte = 0
; NumSgprs: 4
; NumVgprs: 0
; NumAgprs: 0
; TotalNumVgprs: 0
; ScratchSize: 0
; MemoryBound: 0
; FloatMode: 240
; IeeeMode: 1
; LDSByteSize: 0 bytes/workgroup (compile time only)
; SGPRBlocks: 0
; VGPRBlocks: 0
; NumSGPRsForWavesPerEU: 4
; NumVGPRsForWavesPerEU: 1
; AccumOffset: 4
; Occupancy: 8
; WaveLimiterHint : 0
; COMPUTE_PGM_RSRC2:SCRATCH_EN: 0
; COMPUTE_PGM_RSRC2:USER_SGPR: 6
; COMPUTE_PGM_RSRC2:TRAP_HANDLER: 0
; COMPUTE_PGM_RSRC2:TGID_X_EN: 1
; COMPUTE_PGM_RSRC2:TGID_Y_EN: 0
; COMPUTE_PGM_RSRC2:TGID_Z_EN: 0
; COMPUTE_PGM_RSRC2:TIDIG_COMP_CNT: 0
; COMPUTE_PGM_RSRC3_GFX90A:ACCUM_OFFSET: 0
; COMPUTE_PGM_RSRC3_GFX90A:TG_SPLIT: 0
	.section	.text._ZN7rocprim17ROCPRIM_400000_NS6detail17trampoline_kernelINS0_14default_configENS1_20scan_config_selectorI11FixedVectorIiLj1EEEEZZNS1_9scan_implILNS1_25lookback_scan_determinismE0ELb0ELb0ES3_N6thrust23THRUST_200600_302600_NS6detail15normal_iteratorINSB_10device_ptrIS6_EEEESG_S6_NSB_4plusIvEES6_EEDaPvRmT3_T4_T5_mT6_P12ihipStream_tbENKUlT_T0_E_clISt17integral_constantIbLb0EESW_EEDaSR_SS_EUlSR_E_NS1_11comp_targetILNS1_3genE4ELNS1_11target_archE910ELNS1_3gpuE8ELNS1_3repE0EEENS1_30default_config_static_selectorELNS0_4arch9wavefront6targetE1EEEvT1_,"axG",@progbits,_ZN7rocprim17ROCPRIM_400000_NS6detail17trampoline_kernelINS0_14default_configENS1_20scan_config_selectorI11FixedVectorIiLj1EEEEZZNS1_9scan_implILNS1_25lookback_scan_determinismE0ELb0ELb0ES3_N6thrust23THRUST_200600_302600_NS6detail15normal_iteratorINSB_10device_ptrIS6_EEEESG_S6_NSB_4plusIvEES6_EEDaPvRmT3_T4_T5_mT6_P12ihipStream_tbENKUlT_T0_E_clISt17integral_constantIbLb0EESW_EEDaSR_SS_EUlSR_E_NS1_11comp_targetILNS1_3genE4ELNS1_11target_archE910ELNS1_3gpuE8ELNS1_3repE0EEENS1_30default_config_static_selectorELNS0_4arch9wavefront6targetE1EEEvT1_,comdat
	.protected	_ZN7rocprim17ROCPRIM_400000_NS6detail17trampoline_kernelINS0_14default_configENS1_20scan_config_selectorI11FixedVectorIiLj1EEEEZZNS1_9scan_implILNS1_25lookback_scan_determinismE0ELb0ELb0ES3_N6thrust23THRUST_200600_302600_NS6detail15normal_iteratorINSB_10device_ptrIS6_EEEESG_S6_NSB_4plusIvEES6_EEDaPvRmT3_T4_T5_mT6_P12ihipStream_tbENKUlT_T0_E_clISt17integral_constantIbLb0EESW_EEDaSR_SS_EUlSR_E_NS1_11comp_targetILNS1_3genE4ELNS1_11target_archE910ELNS1_3gpuE8ELNS1_3repE0EEENS1_30default_config_static_selectorELNS0_4arch9wavefront6targetE1EEEvT1_ ; -- Begin function _ZN7rocprim17ROCPRIM_400000_NS6detail17trampoline_kernelINS0_14default_configENS1_20scan_config_selectorI11FixedVectorIiLj1EEEEZZNS1_9scan_implILNS1_25lookback_scan_determinismE0ELb0ELb0ES3_N6thrust23THRUST_200600_302600_NS6detail15normal_iteratorINSB_10device_ptrIS6_EEEESG_S6_NSB_4plusIvEES6_EEDaPvRmT3_T4_T5_mT6_P12ihipStream_tbENKUlT_T0_E_clISt17integral_constantIbLb0EESW_EEDaSR_SS_EUlSR_E_NS1_11comp_targetILNS1_3genE4ELNS1_11target_archE910ELNS1_3gpuE8ELNS1_3repE0EEENS1_30default_config_static_selectorELNS0_4arch9wavefront6targetE1EEEvT1_
	.globl	_ZN7rocprim17ROCPRIM_400000_NS6detail17trampoline_kernelINS0_14default_configENS1_20scan_config_selectorI11FixedVectorIiLj1EEEEZZNS1_9scan_implILNS1_25lookback_scan_determinismE0ELb0ELb0ES3_N6thrust23THRUST_200600_302600_NS6detail15normal_iteratorINSB_10device_ptrIS6_EEEESG_S6_NSB_4plusIvEES6_EEDaPvRmT3_T4_T5_mT6_P12ihipStream_tbENKUlT_T0_E_clISt17integral_constantIbLb0EESW_EEDaSR_SS_EUlSR_E_NS1_11comp_targetILNS1_3genE4ELNS1_11target_archE910ELNS1_3gpuE8ELNS1_3repE0EEENS1_30default_config_static_selectorELNS0_4arch9wavefront6targetE1EEEvT1_
	.p2align	8
	.type	_ZN7rocprim17ROCPRIM_400000_NS6detail17trampoline_kernelINS0_14default_configENS1_20scan_config_selectorI11FixedVectorIiLj1EEEEZZNS1_9scan_implILNS1_25lookback_scan_determinismE0ELb0ELb0ES3_N6thrust23THRUST_200600_302600_NS6detail15normal_iteratorINSB_10device_ptrIS6_EEEESG_S6_NSB_4plusIvEES6_EEDaPvRmT3_T4_T5_mT6_P12ihipStream_tbENKUlT_T0_E_clISt17integral_constantIbLb0EESW_EEDaSR_SS_EUlSR_E_NS1_11comp_targetILNS1_3genE4ELNS1_11target_archE910ELNS1_3gpuE8ELNS1_3repE0EEENS1_30default_config_static_selectorELNS0_4arch9wavefront6targetE1EEEvT1_,@function
_ZN7rocprim17ROCPRIM_400000_NS6detail17trampoline_kernelINS0_14default_configENS1_20scan_config_selectorI11FixedVectorIiLj1EEEEZZNS1_9scan_implILNS1_25lookback_scan_determinismE0ELb0ELb0ES3_N6thrust23THRUST_200600_302600_NS6detail15normal_iteratorINSB_10device_ptrIS6_EEEESG_S6_NSB_4plusIvEES6_EEDaPvRmT3_T4_T5_mT6_P12ihipStream_tbENKUlT_T0_E_clISt17integral_constantIbLb0EESW_EEDaSR_SS_EUlSR_E_NS1_11comp_targetILNS1_3genE4ELNS1_11target_archE910ELNS1_3gpuE8ELNS1_3repE0EEENS1_30default_config_static_selectorELNS0_4arch9wavefront6targetE1EEEvT1_: ; @_ZN7rocprim17ROCPRIM_400000_NS6detail17trampoline_kernelINS0_14default_configENS1_20scan_config_selectorI11FixedVectorIiLj1EEEEZZNS1_9scan_implILNS1_25lookback_scan_determinismE0ELb0ELb0ES3_N6thrust23THRUST_200600_302600_NS6detail15normal_iteratorINSB_10device_ptrIS6_EEEESG_S6_NSB_4plusIvEES6_EEDaPvRmT3_T4_T5_mT6_P12ihipStream_tbENKUlT_T0_E_clISt17integral_constantIbLb0EESW_EEDaSR_SS_EUlSR_E_NS1_11comp_targetILNS1_3genE4ELNS1_11target_archE910ELNS1_3gpuE8ELNS1_3repE0EEENS1_30default_config_static_selectorELNS0_4arch9wavefront6targetE1EEEvT1_
; %bb.0:
	s_load_dwordx8 s[8:15], s[4:5], 0x0
	s_load_dword s0, s[4:5], 0x30
	s_mov_b32 s1, 0
	v_lshlrev_b32_e32 v26, 2, v0
	s_waitcnt lgkmcnt(0)
	s_lshl_b64 s[16:17], s[10:11], 2
	s_add_u32 s2, s8, s16
	s_addc_u32 s3, s9, s17
	s_add_i32 s7, s0, -1
	s_mul_i32 s8, s7, 0x500
	s_sub_u32 s24, s14, s8
	s_subb_u32 s25, s15, 0
	s_mul_i32 s0, s6, 0x500
	s_cmp_lg_u32 s6, s7
	s_cselect_b64 s[14:15], -1, 0
	s_lshl_b64 s[18:19], s[0:1], 2
	s_add_u32 s2, s2, s18
	s_addc_u32 s3, s3, s19
	s_mov_b64 s[0:1], -1
	s_and_b64 vcc, exec, s[14:15]
	s_cbranch_vccz .LBB6381_2
; %bb.1:
	v_mov_b32_e32 v1, s3
	v_add_co_u32_e32 v2, vcc, s2, v26
	v_addc_co_u32_e32 v3, vcc, 0, v1, vcc
	flat_load_dword v1, v[2:3]
	flat_load_dword v4, v[2:3] offset:512
	flat_load_dword v5, v[2:3] offset:1024
	;; [unrolled: 1-line block ×7, first 2 shown]
	v_add_co_u32_e32 v2, vcc, 0x1000, v2
	v_addc_co_u32_e32 v3, vcc, 0, v3, vcc
	flat_load_dword v11, v[2:3]
	flat_load_dword v12, v[2:3] offset:512
	s_mov_b64 s[0:1], 0
	s_waitcnt vmcnt(0) lgkmcnt(0)
	ds_write2st64_b32 v26, v1, v4 offset1:2
	ds_write2st64_b32 v26, v5, v6 offset0:4 offset1:6
	ds_write2st64_b32 v26, v7, v8 offset0:8 offset1:10
	;; [unrolled: 1-line block ×4, first 2 shown]
	s_waitcnt lgkmcnt(0)
	s_barrier
.LBB6381_2:
	s_load_dwordx2 s[20:21], s[4:5], 0x28
	s_andn2_b64 vcc, exec, s[0:1]
	v_cmp_gt_u32_e64 s[0:1], s24, v0
	s_cbranch_vccnz .LBB6381_24
; %bb.3:
	v_pk_mov_b32 v[2:3], s[2:3], s[2:3] op_sel:[0,1]
	flat_load_dword v1, v[2:3]
	s_waitcnt vmcnt(0) lgkmcnt(0)
	v_mov_b32_e32 v2, v1
	s_and_saveexec_b64 s[8:9], s[0:1]
	s_cbranch_execz .LBB6381_5
; %bb.4:
	v_mov_b32_e32 v3, s3
	v_add_co_u32_e32 v2, vcc, s2, v26
	v_addc_co_u32_e32 v3, vcc, 0, v3, vcc
	flat_load_dword v2, v[2:3]
.LBB6381_5:
	s_or_b64 exec, exec, s[8:9]
	v_or_b32_e32 v3, 0x80, v0
	v_cmp_gt_u32_e32 vcc, s24, v3
	v_mov_b32_e32 v3, v1
	s_and_saveexec_b64 s[0:1], vcc
	s_cbranch_execz .LBB6381_7
; %bb.6:
	v_mov_b32_e32 v3, s3
	v_add_co_u32_e32 v4, vcc, s2, v26
	v_addc_co_u32_e32 v5, vcc, 0, v3, vcc
	flat_load_dword v3, v[4:5] offset:512
.LBB6381_7:
	s_or_b64 exec, exec, s[0:1]
	v_or_b32_e32 v4, 0x100, v0
	v_cmp_gt_u32_e32 vcc, s24, v4
	v_mov_b32_e32 v4, v1
	s_and_saveexec_b64 s[0:1], vcc
	s_cbranch_execz .LBB6381_9
; %bb.8:
	v_mov_b32_e32 v5, s3
	v_add_co_u32_e32 v4, vcc, s2, v26
	v_addc_co_u32_e32 v5, vcc, 0, v5, vcc
	flat_load_dword v4, v[4:5] offset:1024
.LBB6381_9:
	;; [unrolled: 12-line block ×7, first 2 shown]
	s_or_b64 exec, exec, s[0:1]
	v_or_b32_e32 v11, 0x400, v0
	v_cmp_gt_u32_e32 vcc, s24, v11
	v_mov_b32_e32 v10, v1
	s_and_saveexec_b64 s[0:1], vcc
	s_cbranch_execz .LBB6381_21
; %bb.20:
	v_lshlrev_b32_e32 v10, 2, v11
	v_mov_b32_e32 v11, s3
	v_add_co_u32_e32 v10, vcc, s2, v10
	v_addc_co_u32_e32 v11, vcc, 0, v11, vcc
	flat_load_dword v10, v[10:11]
.LBB6381_21:
	s_or_b64 exec, exec, s[0:1]
	v_or_b32_e32 v11, 0x480, v0
	v_cmp_gt_u32_e32 vcc, s24, v11
	s_and_saveexec_b64 s[0:1], vcc
	s_cbranch_execz .LBB6381_23
; %bb.22:
	v_lshlrev_b32_e32 v1, 2, v11
	v_mov_b32_e32 v11, s3
	v_add_co_u32_e32 v12, vcc, s2, v1
	v_addc_co_u32_e32 v13, vcc, 0, v11, vcc
	flat_load_dword v1, v[12:13]
.LBB6381_23:
	s_or_b64 exec, exec, s[0:1]
	s_waitcnt vmcnt(0) lgkmcnt(0)
	ds_write2st64_b32 v26, v2, v3 offset1:2
	ds_write2st64_b32 v26, v4, v5 offset0:4 offset1:6
	ds_write2st64_b32 v26, v6, v7 offset0:8 offset1:10
	;; [unrolled: 1-line block ×4, first 2 shown]
	s_waitcnt lgkmcnt(0)
	s_barrier
.LBB6381_24:
	v_mul_u32_u24_e32 v27, 10, v0
	v_lshlrev_b32_e32 v1, 2, v27
	s_waitcnt lgkmcnt(0)
	ds_read2_b64 v[6:9], v1 offset1:1
	ds_read2_b64 v[2:5], v1 offset0:2 offset1:3
	ds_read_b64 v[18:19], v1 offset:32
	s_cmp_lg_u32 s6, 0
	v_lshrrev_b32_e32 v28, 5, v0
	v_cmp_gt_u32_e32 vcc, 64, v0
	s_waitcnt lgkmcnt(0)
	s_barrier
	s_cbranch_scc0 .LBB6381_49
; %bb.25:
	v_add_u32_e32 v10, v7, v6
	v_add3_u32 v10, v10, v8, v9
	v_add3_u32 v10, v10, v2, v3
	;; [unrolled: 1-line block ×4, first 2 shown]
	v_add_lshl_u32 v11, v28, v0, 2
	ds_write_b32 v11, v10
	s_waitcnt lgkmcnt(0)
	s_barrier
	s_and_saveexec_b64 s[2:3], vcc
	s_cbranch_execz .LBB6381_27
; %bb.26:
	v_lshlrev_b32_e32 v11, 1, v0
	v_lshrrev_b32_e32 v12, 4, v0
	v_add_lshl_u32 v11, v12, v11, 2
	ds_read2_b32 v[12:13], v11 offset1:1
	v_mbcnt_lo_u32_b32 v14, -1, 0
	v_mbcnt_hi_u32_b32 v14, -1, v14
	v_and_b32_e32 v15, 15, v14
	v_cmp_ne_u32_e64 s[0:1], 0, v15
	s_waitcnt lgkmcnt(0)
	v_add_u32_e32 v13, v13, v12
	; wave barrier
	s_nop 1
	v_mov_b32_dpp v16, v13 row_shr:1 row_mask:0xf bank_mask:0xf
	v_cndmask_b32_e64 v16, 0, v16, s[0:1]
	v_add_u32_e32 v13, v16, v13
	v_cmp_lt_u32_e64 s[0:1], 1, v15
	s_nop 0
	v_mov_b32_dpp v16, v13 row_shr:2 row_mask:0xf bank_mask:0xf
	v_cndmask_b32_e64 v16, 0, v16, s[0:1]
	v_add_u32_e32 v13, v13, v16
	v_cmp_lt_u32_e64 s[0:1], 3, v15
	s_nop 0
	v_mov_b32_dpp v16, v13 row_shr:4 row_mask:0xf bank_mask:0xf
	v_cndmask_b32_e64 v16, 0, v16, s[0:1]
	v_add_u32_e32 v13, v13, v16
	v_cmp_lt_u32_e64 s[0:1], 7, v15
	s_nop 0
	v_mov_b32_dpp v16, v13 row_shr:8 row_mask:0xf bank_mask:0xf
	v_cndmask_b32_e64 v15, 0, v16, s[0:1]
	v_add_u32_e32 v13, v13, v15
	v_bfe_i32 v16, v14, 4, 1
	v_cmp_lt_u32_e64 s[0:1], 31, v14
	v_mov_b32_dpp v15, v13 row_bcast:15 row_mask:0xf bank_mask:0xf
	v_and_b32_e32 v15, v16, v15
	v_add_u32_e32 v13, v13, v15
	v_and_b32_e32 v16, 64, v14
	s_nop 0
	v_mov_b32_dpp v15, v13 row_bcast:31 row_mask:0xf bank_mask:0xf
	v_cndmask_b32_e64 v15, 0, v15, s[0:1]
	v_add_u32_e32 v13, v13, v15
	v_add_u32_e32 v15, -1, v14
	v_cmp_lt_i32_e64 s[0:1], v15, v16
	v_cndmask_b32_e64 v14, v15, v14, s[0:1]
	v_lshlrev_b32_e32 v14, 2, v14
	ds_bpermute_b32 v13, v14, v13
	v_cmp_eq_u32_e64 s[0:1], 0, v0
	s_waitcnt lgkmcnt(0)
	v_add_u32_e32 v12, v13, v12
	v_cndmask_b32_e64 v10, v12, v10, s[0:1]
	ds_write_b32 v11, v10
	; wave barrier
	ds_read_b32 v12, v11 offset:4
	s_waitcnt lgkmcnt(0)
	v_add_u32_e32 v10, v12, v10
	ds_write_b32 v11, v10 offset:4
.LBB6381_27:
	s_or_b64 exec, exec, s[2:3]
	v_cmp_eq_u32_e64 s[0:1], 0, v0
	v_cmp_ne_u32_e64 s[2:3], 0, v0
	v_mov_b32_e32 v22, 0
	s_waitcnt lgkmcnt(0)
	s_barrier
	s_and_saveexec_b64 s[8:9], s[2:3]
	s_cbranch_execz .LBB6381_29
; %bb.28:
	v_add_u32_e32 v10, -1, v0
	v_lshrrev_b32_e32 v11, 5, v10
	v_add_lshl_u32 v10, v11, v10, 2
	ds_read_b32 v22, v10
.LBB6381_29:
	s_or_b64 exec, exec, s[8:9]
	s_and_saveexec_b64 s[8:9], vcc
	s_cbranch_execz .LBB6381_48
; %bb.30:
	v_mov_b32_e32 v17, 0
	ds_read_b32 v10, v17 offset:520
	v_mbcnt_lo_u32_b32 v11, -1, 0
	v_mbcnt_hi_u32_b32 v13, -1, v11
	s_mov_b32 s23, 0
	v_cmp_eq_u32_e64 s[2:3], 0, v13
	s_and_saveexec_b64 s[10:11], s[2:3]
	s_cbranch_execz .LBB6381_32
; %bb.31:
	s_add_i32 s22, s6, 64
	s_lshl_b64 s[22:23], s[22:23], 3
	s_add_u32 s22, s20, s22
	v_mov_b32_e32 v11, 1
	s_addc_u32 s23, s21, s23
	s_waitcnt lgkmcnt(0)
	global_store_dwordx2 v17, v[10:11], s[22:23]
.LBB6381_32:
	s_or_b64 exec, exec, s[10:11]
	v_xad_u32 v12, v13, -1, s6
	v_add_u32_e32 v16, 64, v12
	v_lshlrev_b64 v[14:15], 3, v[16:17]
	v_mov_b32_e32 v11, s21
	v_add_co_u32_e32 v20, vcc, s20, v14
	v_addc_co_u32_e32 v21, vcc, v11, v15, vcc
	global_load_dwordx2 v[14:15], v[20:21], off glc
	s_waitcnt vmcnt(0)
	v_cmp_eq_u16_sdwa s[22:23], v15, v17 src0_sel:BYTE_0 src1_sel:DWORD
	s_and_saveexec_b64 s[10:11], s[22:23]
	s_cbranch_execz .LBB6381_36
; %bb.33:
	s_mov_b64 s[22:23], 0
	v_mov_b32_e32 v11, 0
.LBB6381_34:                            ; =>This Inner Loop Header: Depth=1
	global_load_dwordx2 v[14:15], v[20:21], off glc
	s_waitcnt vmcnt(0)
	v_cmp_ne_u16_sdwa s[26:27], v15, v11 src0_sel:BYTE_0 src1_sel:DWORD
	s_or_b64 s[22:23], s[26:27], s[22:23]
	s_andn2_b64 exec, exec, s[22:23]
	s_cbranch_execnz .LBB6381_34
; %bb.35:
	s_or_b64 exec, exec, s[22:23]
.LBB6381_36:
	s_or_b64 exec, exec, s[10:11]
	v_and_b32_e32 v23, 63, v13
	v_mov_b32_e32 v11, 2
	v_cmp_ne_u32_e32 vcc, 63, v23
	v_cmp_eq_u16_sdwa s[10:11], v15, v11 src0_sel:BYTE_0 src1_sel:DWORD
	v_lshlrev_b64 v[16:17], v13, -1
	v_addc_co_u32_e32 v24, vcc, 0, v13, vcc
	v_and_b32_e32 v20, s11, v17
	v_lshlrev_b32_e32 v24, 2, v24
	v_or_b32_e32 v20, 0x80000000, v20
	ds_bpermute_b32 v25, v24, v14
	v_and_b32_e32 v21, s10, v16
	v_ffbl_b32_e32 v20, v20
	v_add_u32_e32 v20, 32, v20
	v_ffbl_b32_e32 v21, v21
	v_min_u32_e32 v20, v21, v20
	v_cmp_lt_u32_e32 vcc, v23, v20
	s_waitcnt lgkmcnt(0)
	v_cndmask_b32_e32 v21, 0, v25, vcc
	v_cmp_gt_u32_e32 vcc, 62, v23
	v_add_u32_e32 v14, v21, v14
	v_cndmask_b32_e64 v21, 0, 1, vcc
	v_lshlrev_b32_e32 v21, 1, v21
	v_add_lshl_u32 v25, v21, v13, 2
	ds_bpermute_b32 v21, v25, v14
	v_add_u32_e32 v29, 2, v23
	v_cmp_le_u32_e32 vcc, v29, v20
	v_add_u32_e32 v31, 4, v23
	v_add_u32_e32 v33, 8, v23
	s_waitcnt lgkmcnt(0)
	v_cndmask_b32_e32 v21, 0, v21, vcc
	v_cmp_gt_u32_e32 vcc, 60, v23
	v_add_u32_e32 v14, v14, v21
	v_cndmask_b32_e64 v21, 0, 1, vcc
	v_lshlrev_b32_e32 v21, 2, v21
	v_add_lshl_u32 v30, v21, v13, 2
	ds_bpermute_b32 v21, v30, v14
	v_cmp_le_u32_e32 vcc, v31, v20
	v_add_u32_e32 v36, 16, v23
	v_add_u32_e32 v38, 32, v23
	s_waitcnt lgkmcnt(0)
	v_cndmask_b32_e32 v21, 0, v21, vcc
	v_cmp_gt_u32_e32 vcc, 56, v23
	v_add_u32_e32 v14, v14, v21
	v_cndmask_b32_e64 v21, 0, 1, vcc
	v_lshlrev_b32_e32 v21, 3, v21
	v_add_lshl_u32 v32, v21, v13, 2
	ds_bpermute_b32 v21, v32, v14
	v_cmp_le_u32_e32 vcc, v33, v20
	s_waitcnt lgkmcnt(0)
	v_cndmask_b32_e32 v21, 0, v21, vcc
	v_cmp_gt_u32_e32 vcc, 48, v23
	v_add_u32_e32 v14, v14, v21
	v_cndmask_b32_e64 v21, 0, 1, vcc
	v_lshlrev_b32_e32 v21, 4, v21
	v_add_lshl_u32 v35, v21, v13, 2
	ds_bpermute_b32 v21, v35, v14
	v_cmp_le_u32_e32 vcc, v36, v20
	s_waitcnt lgkmcnt(0)
	v_cndmask_b32_e32 v21, 0, v21, vcc
	v_cmp_gt_u32_e32 vcc, 32, v23
	v_add_u32_e32 v14, v14, v21
	v_cndmask_b32_e64 v21, 0, 1, vcc
	v_lshlrev_b32_e32 v21, 5, v21
	v_add_lshl_u32 v37, v21, v13, 2
	ds_bpermute_b32 v13, v37, v14
	v_cmp_le_u32_e32 vcc, v38, v20
	s_waitcnt lgkmcnt(0)
	v_cndmask_b32_e32 v13, 0, v13, vcc
	v_add_u32_e32 v14, v14, v13
	v_mov_b32_e32 v13, 0
	s_branch .LBB6381_38
.LBB6381_37:                            ;   in Loop: Header=BB6381_38 Depth=1
	s_or_b64 exec, exec, s[10:11]
	v_cmp_eq_u16_sdwa s[10:11], v15, v11 src0_sel:BYTE_0 src1_sel:DWORD
	v_and_b32_e32 v20, s11, v17
	v_or_b32_e32 v20, 0x80000000, v20
	ds_bpermute_b32 v39, v24, v14
	v_and_b32_e32 v21, s10, v16
	v_ffbl_b32_e32 v20, v20
	v_add_u32_e32 v20, 32, v20
	v_ffbl_b32_e32 v21, v21
	v_min_u32_e32 v20, v21, v20
	v_cmp_lt_u32_e32 vcc, v23, v20
	s_waitcnt lgkmcnt(0)
	v_cndmask_b32_e32 v21, 0, v39, vcc
	v_add_u32_e32 v14, v21, v14
	ds_bpermute_b32 v21, v25, v14
	v_cmp_le_u32_e32 vcc, v29, v20
	v_subrev_u32_e32 v12, 64, v12
	s_waitcnt lgkmcnt(0)
	v_cndmask_b32_e32 v21, 0, v21, vcc
	v_add_u32_e32 v14, v14, v21
	ds_bpermute_b32 v21, v30, v14
	v_cmp_le_u32_e32 vcc, v31, v20
	s_waitcnt lgkmcnt(0)
	v_cndmask_b32_e32 v21, 0, v21, vcc
	v_add_u32_e32 v14, v14, v21
	ds_bpermute_b32 v21, v32, v14
	v_cmp_le_u32_e32 vcc, v33, v20
	;; [unrolled: 5-line block ×4, first 2 shown]
	s_waitcnt lgkmcnt(0)
	v_cndmask_b32_e32 v20, 0, v21, vcc
	v_add3_u32 v14, v20, v34, v14
.LBB6381_38:                            ; =>This Loop Header: Depth=1
                                        ;     Child Loop BB6381_41 Depth 2
	v_cmp_ne_u16_sdwa s[10:11], v15, v11 src0_sel:BYTE_0 src1_sel:DWORD
	v_cndmask_b32_e64 v15, 0, 1, s[10:11]
	;;#ASMSTART
	;;#ASMEND
	v_cmp_ne_u32_e32 vcc, 0, v15
	s_cmp_lg_u64 vcc, exec
	v_mov_b32_e32 v34, v14
	s_cbranch_scc1 .LBB6381_43
; %bb.39:                               ;   in Loop: Header=BB6381_38 Depth=1
	v_lshlrev_b64 v[14:15], 3, v[12:13]
	v_mov_b32_e32 v21, s21
	v_add_co_u32_e32 v20, vcc, s20, v14
	v_addc_co_u32_e32 v21, vcc, v21, v15, vcc
	global_load_dwordx2 v[14:15], v[20:21], off glc
	s_waitcnt vmcnt(0)
	v_cmp_eq_u16_sdwa s[22:23], v15, v13 src0_sel:BYTE_0 src1_sel:DWORD
	s_and_saveexec_b64 s[10:11], s[22:23]
	s_cbranch_execz .LBB6381_37
; %bb.40:                               ;   in Loop: Header=BB6381_38 Depth=1
	s_mov_b64 s[22:23], 0
.LBB6381_41:                            ;   Parent Loop BB6381_38 Depth=1
                                        ; =>  This Inner Loop Header: Depth=2
	global_load_dwordx2 v[14:15], v[20:21], off glc
	s_waitcnt vmcnt(0)
	v_cmp_ne_u16_sdwa s[26:27], v15, v13 src0_sel:BYTE_0 src1_sel:DWORD
	s_or_b64 s[22:23], s[26:27], s[22:23]
	s_andn2_b64 exec, exec, s[22:23]
	s_cbranch_execnz .LBB6381_41
; %bb.42:                               ;   in Loop: Header=BB6381_38 Depth=1
	s_or_b64 exec, exec, s[22:23]
	s_branch .LBB6381_37
.LBB6381_43:                            ;   in Loop: Header=BB6381_38 Depth=1
                                        ; implicit-def: $vgpr14
                                        ; implicit-def: $vgpr15
	s_cbranch_execz .LBB6381_38
; %bb.44:
	s_and_saveexec_b64 s[10:11], s[2:3]
	s_cbranch_execz .LBB6381_46
; %bb.45:
	s_add_i32 s2, s6, 64
	s_mov_b32 s3, 0
	s_lshl_b64 s[2:3], s[2:3], 3
	s_add_u32 s2, s20, s2
	v_add_u32_e32 v10, v34, v10
	v_mov_b32_e32 v11, 2
	s_addc_u32 s3, s21, s3
	v_mov_b32_e32 v12, 0
	global_store_dwordx2 v12, v[10:11], s[2:3]
.LBB6381_46:
	s_or_b64 exec, exec, s[10:11]
	s_and_b64 exec, exec, s[0:1]
	s_cbranch_execz .LBB6381_48
; %bb.47:
	v_mov_b32_e32 v10, 0
	ds_write_b32 v10, v34
.LBB6381_48:
	s_or_b64 exec, exec, s[8:9]
	v_mov_b32_e32 v10, 0
	s_waitcnt lgkmcnt(0)
	s_barrier
	ds_read_b32 v10, v10
	s_waitcnt lgkmcnt(0)
	v_add3_u32 v10, v22, v6, v10
	v_add_u32_e32 v11, v10, v7
	v_add_u32_e32 v20, v11, v8
	;; [unrolled: 1-line block ×9, first 2 shown]
	s_load_dwordx8 s[4:11], s[4:5], 0x38
	s_branch .LBB6381_61
.LBB6381_49:
                                        ; implicit-def: $vgpr24_vgpr25
                                        ; implicit-def: $vgpr22_vgpr23
                                        ; implicit-def: $vgpr20_vgpr21
                                        ; implicit-def: $vgpr14_vgpr15_vgpr16_vgpr17
                                        ; implicit-def: $vgpr10_vgpr11_vgpr12_vgpr13
	s_load_dwordx8 s[4:11], s[4:5], 0x38
	s_cbranch_execz .LBB6381_61
; %bb.50:
	s_waitcnt lgkmcnt(0)
	s_cmp_lg_u64 s[8:9], 0
	s_cselect_b64 s[2:3], -1, 0
	v_cmp_eq_u32_e64 s[0:1], 0, v0
	v_cmp_ne_u32_e32 vcc, 0, v0
	s_and_b64 s[8:9], s[0:1], s[2:3]
	s_and_saveexec_b64 s[2:3], s[8:9]
	s_cbranch_execz .LBB6381_52
; %bb.51:
	v_mov_b32_e32 v10, 0
	global_load_dword v10, v10, s[4:5]
	s_waitcnt vmcnt(0)
	v_add_u32_e32 v6, v10, v6
.LBB6381_52:
	s_or_b64 exec, exec, s[2:3]
	v_add_u32_e32 v11, v6, v7
	v_add_u32_e32 v20, v11, v8
	;; [unrolled: 1-line block ×9, first 2 shown]
	v_add_lshl_u32 v10, v28, v0, 2
	v_cmp_gt_u32_e64 s[2:3], 64, v0
	ds_write_b32 v10, v25
	s_waitcnt lgkmcnt(0)
	s_barrier
	s_and_saveexec_b64 s[4:5], s[2:3]
	s_cbranch_execz .LBB6381_54
; %bb.53:
	v_lshlrev_b32_e32 v10, 1, v0
	v_lshrrev_b32_e32 v12, 4, v0
	v_add_lshl_u32 v10, v12, v10, 2
	ds_read2_b32 v[12:13], v10 offset1:1
	v_mbcnt_lo_u32_b32 v16, -1, 0
	v_mbcnt_hi_u32_b32 v16, -1, v16
	v_and_b32_e32 v17, 15, v16
	v_cmp_ne_u32_e64 s[2:3], 0, v17
	s_waitcnt lgkmcnt(0)
	v_add_u32_e32 v13, v13, v12
	; wave barrier
	s_nop 1
	v_mov_b32_dpp v28, v13 row_shr:1 row_mask:0xf bank_mask:0xf
	v_cndmask_b32_e64 v28, 0, v28, s[2:3]
	v_add_u32_e32 v13, v28, v13
	v_cmp_lt_u32_e64 s[2:3], 1, v17
	s_nop 0
	v_mov_b32_dpp v28, v13 row_shr:2 row_mask:0xf bank_mask:0xf
	v_cndmask_b32_e64 v28, 0, v28, s[2:3]
	v_add_u32_e32 v13, v13, v28
	v_cmp_lt_u32_e64 s[2:3], 3, v17
	;; [unrolled: 5-line block ×3, first 2 shown]
	s_nop 0
	v_mov_b32_dpp v28, v13 row_shr:8 row_mask:0xf bank_mask:0xf
	v_cndmask_b32_e64 v17, 0, v28, s[2:3]
	v_add_u32_e32 v13, v13, v17
	v_bfe_i32 v28, v16, 4, 1
	v_cmp_lt_u32_e64 s[2:3], 31, v16
	v_mov_b32_dpp v17, v13 row_bcast:15 row_mask:0xf bank_mask:0xf
	v_and_b32_e32 v17, v28, v17
	v_add_u32_e32 v13, v13, v17
	v_and_b32_e32 v28, 64, v16
	s_nop 0
	v_mov_b32_dpp v17, v13 row_bcast:31 row_mask:0xf bank_mask:0xf
	v_cndmask_b32_e64 v17, 0, v17, s[2:3]
	v_add_u32_e32 v13, v13, v17
	v_add_u32_e32 v17, -1, v16
	v_cmp_lt_i32_e64 s[2:3], v17, v28
	v_cndmask_b32_e64 v16, v17, v16, s[2:3]
	v_lshlrev_b32_e32 v16, 2, v16
	ds_bpermute_b32 v13, v16, v13
	s_waitcnt lgkmcnt(0)
	v_add_u32_e32 v12, v13, v12
	v_cndmask_b32_e64 v12, v12, v25, s[0:1]
	ds_write_b32 v10, v12
	; wave barrier
	ds_read_b32 v13, v10 offset:4
	s_waitcnt lgkmcnt(0)
	v_add_u32_e32 v12, v13, v12
	ds_write_b32 v10, v12 offset:4
.LBB6381_54:
	s_or_b64 exec, exec, s[4:5]
	v_mov_b32_e32 v12, v25
	s_waitcnt lgkmcnt(0)
	s_barrier
	s_and_saveexec_b64 s[0:1], vcc
	s_cbranch_execz .LBB6381_56
; %bb.55:
	v_add_u32_e32 v10, -1, v0
	v_lshrrev_b32_e32 v12, 5, v10
	v_add_lshl_u32 v10, v12, v10, 2
	ds_read_b32 v12, v10
.LBB6381_56:
	s_or_b64 exec, exec, s[0:1]
	v_mov_b32_e32 v10, v6
	s_and_saveexec_b64 s[0:1], vcc
	s_cbranch_execz .LBB6381_58
; %bb.57:
	s_waitcnt lgkmcnt(0)
	v_add_u32_e32 v10, v12, v6
	v_add_u32_e32 v11, v10, v7
	;; [unrolled: 1-line block ×10, first 2 shown]
	;;#ASMSTART
	;;#ASMEND
.LBB6381_58:
	s_or_b64 exec, exec, s[0:1]
	s_movk_i32 s0, 0x7f
	v_cmp_eq_u32_e32 vcc, s0, v0
	s_and_saveexec_b64 s[0:1], vcc
	s_cbranch_execz .LBB6381_60
; %bb.59:
	v_mov_b32_e32 v4, 0
	v_mov_b32_e32 v3, 2
	;; [unrolled: 1-line block ×3, first 2 shown]
	global_store_dwordx2 v4, v[2:3], s[20:21] offset:512
.LBB6381_60:
	s_or_b64 exec, exec, s[0:1]
.LBB6381_61:
	s_add_u32 s0, s12, s16
	s_addc_u32 s1, s13, s17
	s_add_u32 s2, s0, s18
	s_addc_u32 s3, s1, s19
	s_mov_b64 s[0:1], -1
	s_and_b64 vcc, exec, s[14:15]
	s_waitcnt lgkmcnt(0)
	s_barrier
	s_cbranch_vccz .LBB6381_63
; %bb.62:
	ds_write2_b64 v1, v[10:11], v[20:21] offset1:1
	ds_write2_b64 v1, v[14:15], v[22:23] offset0:2 offset1:3
	ds_write_b64 v1, v[24:25] offset:32
	s_waitcnt lgkmcnt(0)
	s_barrier
	ds_read2st64_b32 v[2:3], v26 offset1:2
	ds_read2st64_b32 v[4:5], v26 offset0:4 offset1:6
	ds_read2st64_b32 v[6:7], v26 offset0:8 offset1:10
	;; [unrolled: 1-line block ×4, first 2 shown]
	v_mov_b32_e32 v17, s3
	v_add_co_u32_e32 v16, vcc, s2, v26
	v_addc_co_u32_e32 v17, vcc, 0, v17, vcc
	s_waitcnt lgkmcnt(4)
	flat_store_dword v[16:17], v2
	flat_store_dword v[16:17], v3 offset:512
	s_waitcnt lgkmcnt(0)
	flat_store_dword v[16:17], v4 offset:1024
	flat_store_dword v[16:17], v5 offset:1536
	;; [unrolled: 1-line block ×6, first 2 shown]
	v_add_co_u32_e32 v2, vcc, 0x1000, v16
	v_addc_co_u32_e32 v3, vcc, 0, v17, vcc
	flat_store_dword v[2:3], v12
	flat_store_dword v[2:3], v13 offset:512
	s_mov_b64 s[0:1], 0
.LBB6381_63:
	s_andn2_b64 vcc, exec, s[0:1]
	s_cbranch_vccnz .LBB6381_119
; %bb.64:
	ds_write2_b64 v1, v[10:11], v[20:21] offset1:1
	ds_write2_b64 v1, v[14:15], v[22:23] offset0:2 offset1:3
	ds_write_b64 v1, v[24:25] offset:32
	s_waitcnt lgkmcnt(0)
	s_barrier
	ds_read2st64_b32 v[2:3], v26 offset1:2
	ds_read2st64_b32 v[6:7], v26 offset0:4 offset1:6
	ds_read2st64_b32 v[4:5], v26 offset0:8 offset1:10
	;; [unrolled: 1-line block ×4, first 2 shown]
	v_mov_b32_e32 v13, s3
	v_add_co_u32_e32 v12, vcc, s2, v26
	v_addc_co_u32_e32 v13, vcc, 0, v13, vcc
	v_mov_b32_e32 v1, 0
	v_cmp_gt_u32_e32 vcc, s24, v0
	s_and_saveexec_b64 s[0:1], vcc
	s_cbranch_execz .LBB6381_66
; %bb.65:
	s_waitcnt lgkmcnt(0)
	flat_store_dword v[12:13], v2
.LBB6381_66:
	s_or_b64 exec, exec, s[0:1]
	v_or_b32_e32 v14, 0x80, v0
	v_cmp_gt_u32_e32 vcc, s24, v14
	s_and_saveexec_b64 s[0:1], vcc
	s_cbranch_execz .LBB6381_68
; %bb.67:
	s_waitcnt lgkmcnt(0)
	flat_store_dword v[12:13], v3 offset:512
.LBB6381_68:
	s_or_b64 exec, exec, s[0:1]
	v_or_b32_e32 v14, 0x100, v0
	v_cmp_gt_u32_e32 vcc, s24, v14
	s_and_saveexec_b64 s[0:1], vcc
	s_cbranch_execz .LBB6381_70
; %bb.69:
	s_waitcnt lgkmcnt(0)
	flat_store_dword v[12:13], v6 offset:1024
.LBB6381_70:
	;; [unrolled: 9-line block ×7, first 2 shown]
	s_or_b64 exec, exec, s[0:1]
	v_or_b32_e32 v14, 0x400, v0
	v_cmp_gt_u32_e32 vcc, s24, v14
	s_and_saveexec_b64 s[0:1], vcc
	s_cbranch_execz .LBB6381_82
; %bb.81:
	v_add_co_u32_e32 v14, vcc, 0x1000, v12
	v_addc_co_u32_e32 v15, vcc, 0, v13, vcc
	s_waitcnt lgkmcnt(0)
	flat_store_dword v[14:15], v10
.LBB6381_82:
	s_or_b64 exec, exec, s[0:1]
	v_or_b32_e32 v14, 0x480, v0
	v_cmp_gt_u32_e32 vcc, s24, v14
	s_and_saveexec_b64 s[0:1], vcc
	s_cbranch_execz .LBB6381_84
; %bb.83:
	v_add_co_u32_e32 v12, vcc, 0x1000, v12
	v_addc_co_u32_e32 v13, vcc, 0, v13, vcc
	s_waitcnt lgkmcnt(0)
	flat_store_dword v[12:13], v11 offset:512
.LBB6381_84:
	s_or_b64 exec, exec, s[0:1]
	v_cmp_lt_u64_e64 s[0:1], s[10:11], 2
	s_and_b64 vcc, exec, s[0:1]
	s_cbranch_vccnz .LBB6381_119
; %bb.85:
	s_add_u32 s0, s24, -1
	s_addc_u32 s1, s25, -1
	s_add_u32 s2, 0, 0x99986000
	s_addc_u32 s3, 0, 0x59
	s_add_i32 s3, s3, 0x19999940
	s_mul_hi_u32 s9, s2, -10
	s_sub_i32 s9, s9, s2
	s_mul_i32 s10, s3, -10
	s_mul_i32 s4, s2, -10
	s_add_i32 s9, s9, s10
	s_mul_hi_u32 s5, s3, s4
	s_mul_i32 s8, s3, s4
	s_mul_i32 s11, s2, s9
	s_mul_hi_u32 s4, s2, s4
	s_mul_hi_u32 s10, s2, s9
	s_add_u32 s4, s4, s11
	s_addc_u32 s10, 0, s10
	s_add_u32 s4, s4, s8
	s_mul_hi_u32 s11, s3, s9
	s_addc_u32 s4, s10, s5
	s_addc_u32 s5, s11, 0
	s_mul_i32 s8, s3, s9
	s_add_u32 s4, s4, s8
	v_mov_b32_e32 v12, s4
	s_addc_u32 s5, 0, s5
	v_add_co_u32_e32 v12, vcc, s2, v12
	s_cmp_lg_u64 vcc, 0
	s_addc_u32 s2, s3, s5
	v_readfirstlane_b32 s5, v12
	s_mul_i32 s4, s0, s2
	s_mul_hi_u32 s8, s0, s5
	s_mul_hi_u32 s3, s0, s2
	s_add_u32 s4, s8, s4
	s_addc_u32 s3, 0, s3
	s_mul_hi_u32 s9, s1, s5
	s_mul_i32 s5, s1, s5
	s_add_u32 s4, s4, s5
	s_mul_hi_u32 s8, s1, s2
	s_addc_u32 s3, s3, s9
	s_addc_u32 s4, s8, 0
	s_mul_i32 s2, s1, s2
	s_add_u32 s2, s3, s2
	s_addc_u32 s3, 0, s4
	s_add_u32 s4, s2, 1
	s_addc_u32 s5, s3, 0
	s_add_u32 s8, s2, 2
	s_mul_i32 s10, s3, 10
	s_mul_hi_u32 s11, s2, 10
	s_addc_u32 s9, s3, 0
	s_add_i32 s11, s11, s10
	s_mul_i32 s10, s2, 10
	v_mov_b32_e32 v12, s10
	v_sub_co_u32_e32 v12, vcc, s0, v12
	s_cmp_lg_u64 vcc, 0
	s_subb_u32 s10, s1, s11
	v_subrev_co_u32_e32 v13, vcc, 10, v12
	s_cmp_lg_u64 vcc, 0
	s_subb_u32 s11, s10, 0
	v_readfirstlane_b32 s12, v13
	s_cmp_gt_u32 s12, 9
	s_cselect_b32 s12, -1, 0
	s_cmp_eq_u32 s11, 0
	s_cselect_b32 s11, s12, -1
	s_cmp_lg_u32 s11, 0
	s_cselect_b32 s4, s8, s4
	v_readfirstlane_b32 s8, v12
	s_cselect_b32 s5, s9, s5
	s_cmp_gt_u32 s8, 9
	s_cselect_b32 s8, -1, 0
	s_cmp_eq_u32 s10, 0
	s_cselect_b32 s8, s8, -1
	s_cmp_lg_u32 s8, 0
	s_cselect_b32 s3, s5, s3
	s_cselect_b32 s2, s4, s2
	v_cmp_eq_u64_e32 vcc, s[2:3], v[0:1]
	s_and_saveexec_b64 s[2:3], vcc
	s_cbranch_execz .LBB6381_119
; %bb.86:
	v_mul_hi_u32_u24_e32 v1, 10, v0
	v_mov_b32_e32 v12, s1
	v_sub_co_u32_e32 v0, vcc, s0, v27
	v_subb_co_u32_e32 v1, vcc, v12, v1, vcc
	v_cmp_lt_i64_e32 vcc, 4, v[0:1]
	s_and_saveexec_b64 s[0:1], vcc
	s_xor_b64 s[0:1], exec, s[0:1]
	s_cbranch_execz .LBB6381_104
; %bb.87:
	v_cmp_lt_i64_e32 vcc, 6, v[0:1]
	s_and_saveexec_b64 s[2:3], vcc
	s_xor_b64 s[2:3], exec, s[2:3]
	s_cbranch_execz .LBB6381_97
; %bb.88:
	;; [unrolled: 5-line block ×4, first 2 shown]
	v_mov_b32_e32 v0, 0
	s_waitcnt lgkmcnt(0)
	global_store_dword v0, v11, s[6:7]
                                        ; implicit-def: $vgpr10_vgpr11
.LBB6381_91:
	s_andn2_saveexec_b64 s[8:9], s[8:9]
	s_cbranch_execz .LBB6381_93
; %bb.92:
	v_mov_b32_e32 v0, 0
	s_waitcnt lgkmcnt(0)
	global_store_dword v0, v10, s[6:7]
.LBB6381_93:
	s_or_b64 exec, exec, s[8:9]
                                        ; implicit-def: $vgpr8_vgpr9
.LBB6381_94:
	s_andn2_saveexec_b64 s[4:5], s[4:5]
	s_cbranch_execz .LBB6381_96
; %bb.95:
	v_mov_b32_e32 v0, 0
	s_waitcnt lgkmcnt(0)
	global_store_dword v0, v9, s[6:7]
.LBB6381_96:
	s_or_b64 exec, exec, s[4:5]
                                        ; implicit-def: $vgpr4_vgpr5
                                        ; implicit-def: $vgpr0_vgpr1
                                        ; implicit-def: $vgpr8_vgpr9
.LBB6381_97:
	s_andn2_saveexec_b64 s[2:3], s[2:3]
	s_cbranch_execz .LBB6381_103
; %bb.98:
	v_cmp_lt_i64_e32 vcc, 5, v[0:1]
	s_and_saveexec_b64 s[4:5], vcc
	s_xor_b64 s[4:5], exec, s[4:5]
	s_cbranch_execz .LBB6381_100
; %bb.99:
	v_mov_b32_e32 v0, 0
	s_waitcnt lgkmcnt(0)
	global_store_dword v0, v8, s[6:7]
                                        ; implicit-def: $vgpr4_vgpr5
.LBB6381_100:
	s_andn2_saveexec_b64 s[4:5], s[4:5]
	s_cbranch_execz .LBB6381_102
; %bb.101:
	v_mov_b32_e32 v0, 0
	s_waitcnt lgkmcnt(0)
	global_store_dword v0, v5, s[6:7]
.LBB6381_102:
	s_or_b64 exec, exec, s[4:5]
.LBB6381_103:
	s_or_b64 exec, exec, s[2:3]
                                        ; implicit-def: $vgpr0_vgpr1
                                        ; implicit-def: $vgpr6_vgpr7
                                        ; implicit-def: $vgpr2_vgpr3
                                        ; implicit-def: $vgpr4_vgpr5
.LBB6381_104:
	s_andn2_saveexec_b64 s[0:1], s[0:1]
	s_cbranch_execz .LBB6381_119
; %bb.105:
	v_cmp_lt_i64_e32 vcc, 2, v[0:1]
	s_and_saveexec_b64 s[0:1], vcc
	s_xor_b64 s[0:1], exec, s[0:1]
	s_cbranch_execz .LBB6381_111
; %bb.106:
	v_cmp_lt_i64_e32 vcc, 3, v[0:1]
	s_and_saveexec_b64 s[2:3], vcc
	s_xor_b64 s[2:3], exec, s[2:3]
	s_cbranch_execz .LBB6381_108
; %bb.107:
	v_mov_b32_e32 v0, 0
	s_waitcnt lgkmcnt(0)
	global_store_dword v0, v4, s[6:7]
                                        ; implicit-def: $vgpr6_vgpr7
.LBB6381_108:
	s_andn2_saveexec_b64 s[2:3], s[2:3]
	s_cbranch_execz .LBB6381_110
; %bb.109:
	v_mov_b32_e32 v0, 0
	s_waitcnt lgkmcnt(0)
	global_store_dword v0, v7, s[6:7]
.LBB6381_110:
	s_or_b64 exec, exec, s[2:3]
                                        ; implicit-def: $vgpr0_vgpr1
                                        ; implicit-def: $vgpr6_vgpr7
                                        ; implicit-def: $vgpr2_vgpr3
.LBB6381_111:
	s_andn2_saveexec_b64 s[0:1], s[0:1]
	s_cbranch_execz .LBB6381_119
; %bb.112:
	v_cmp_lt_i64_e32 vcc, 1, v[0:1]
	s_and_saveexec_b64 s[0:1], vcc
	s_xor_b64 s[0:1], exec, s[0:1]
	s_cbranch_execz .LBB6381_114
; %bb.113:
	v_mov_b32_e32 v0, 0
	s_waitcnt lgkmcnt(0)
	global_store_dword v0, v6, s[6:7]
                                        ; implicit-def: $vgpr2_vgpr3
                                        ; implicit-def: $vgpr0_vgpr1
.LBB6381_114:
	s_andn2_saveexec_b64 s[0:1], s[0:1]
	s_cbranch_execz .LBB6381_119
; %bb.115:
	v_cmp_ne_u64_e32 vcc, 1, v[0:1]
	s_and_saveexec_b64 s[0:1], vcc
	s_xor_b64 s[0:1], exec, s[0:1]
	s_cbranch_execz .LBB6381_117
; %bb.116:
	v_mov_b32_e32 v0, 0
	s_waitcnt lgkmcnt(0)
	global_store_dword v0, v2, s[6:7]
                                        ; implicit-def: $vgpr2_vgpr3
.LBB6381_117:
	s_andn2_saveexec_b64 s[0:1], s[0:1]
	s_cbranch_execz .LBB6381_119
; %bb.118:
	v_mov_b32_e32 v0, 0
	s_waitcnt lgkmcnt(0)
	global_store_dword v0, v3, s[6:7]
.LBB6381_119:
	s_endpgm
	.section	.rodata,"a",@progbits
	.p2align	6, 0x0
	.amdhsa_kernel _ZN7rocprim17ROCPRIM_400000_NS6detail17trampoline_kernelINS0_14default_configENS1_20scan_config_selectorI11FixedVectorIiLj1EEEEZZNS1_9scan_implILNS1_25lookback_scan_determinismE0ELb0ELb0ES3_N6thrust23THRUST_200600_302600_NS6detail15normal_iteratorINSB_10device_ptrIS6_EEEESG_S6_NSB_4plusIvEES6_EEDaPvRmT3_T4_T5_mT6_P12ihipStream_tbENKUlT_T0_E_clISt17integral_constantIbLb0EESW_EEDaSR_SS_EUlSR_E_NS1_11comp_targetILNS1_3genE4ELNS1_11target_archE910ELNS1_3gpuE8ELNS1_3repE0EEENS1_30default_config_static_selectorELNS0_4arch9wavefront6targetE1EEEvT1_
		.amdhsa_group_segment_fixed_size 5120
		.amdhsa_private_segment_fixed_size 0
		.amdhsa_kernarg_size 96
		.amdhsa_user_sgpr_count 6
		.amdhsa_user_sgpr_private_segment_buffer 1
		.amdhsa_user_sgpr_dispatch_ptr 0
		.amdhsa_user_sgpr_queue_ptr 0
		.amdhsa_user_sgpr_kernarg_segment_ptr 1
		.amdhsa_user_sgpr_dispatch_id 0
		.amdhsa_user_sgpr_flat_scratch_init 0
		.amdhsa_user_sgpr_kernarg_preload_length 0
		.amdhsa_user_sgpr_kernarg_preload_offset 0
		.amdhsa_user_sgpr_private_segment_size 0
		.amdhsa_uses_dynamic_stack 0
		.amdhsa_system_sgpr_private_segment_wavefront_offset 0
		.amdhsa_system_sgpr_workgroup_id_x 1
		.amdhsa_system_sgpr_workgroup_id_y 0
		.amdhsa_system_sgpr_workgroup_id_z 0
		.amdhsa_system_sgpr_workgroup_info 0
		.amdhsa_system_vgpr_workitem_id 0
		.amdhsa_next_free_vgpr 40
		.amdhsa_next_free_sgpr 28
		.amdhsa_accum_offset 40
		.amdhsa_reserve_vcc 1
		.amdhsa_reserve_flat_scratch 0
		.amdhsa_float_round_mode_32 0
		.amdhsa_float_round_mode_16_64 0
		.amdhsa_float_denorm_mode_32 3
		.amdhsa_float_denorm_mode_16_64 3
		.amdhsa_dx10_clamp 1
		.amdhsa_ieee_mode 1
		.amdhsa_fp16_overflow 0
		.amdhsa_tg_split 0
		.amdhsa_exception_fp_ieee_invalid_op 0
		.amdhsa_exception_fp_denorm_src 0
		.amdhsa_exception_fp_ieee_div_zero 0
		.amdhsa_exception_fp_ieee_overflow 0
		.amdhsa_exception_fp_ieee_underflow 0
		.amdhsa_exception_fp_ieee_inexact 0
		.amdhsa_exception_int_div_zero 0
	.end_amdhsa_kernel
	.section	.text._ZN7rocprim17ROCPRIM_400000_NS6detail17trampoline_kernelINS0_14default_configENS1_20scan_config_selectorI11FixedVectorIiLj1EEEEZZNS1_9scan_implILNS1_25lookback_scan_determinismE0ELb0ELb0ES3_N6thrust23THRUST_200600_302600_NS6detail15normal_iteratorINSB_10device_ptrIS6_EEEESG_S6_NSB_4plusIvEES6_EEDaPvRmT3_T4_T5_mT6_P12ihipStream_tbENKUlT_T0_E_clISt17integral_constantIbLb0EESW_EEDaSR_SS_EUlSR_E_NS1_11comp_targetILNS1_3genE4ELNS1_11target_archE910ELNS1_3gpuE8ELNS1_3repE0EEENS1_30default_config_static_selectorELNS0_4arch9wavefront6targetE1EEEvT1_,"axG",@progbits,_ZN7rocprim17ROCPRIM_400000_NS6detail17trampoline_kernelINS0_14default_configENS1_20scan_config_selectorI11FixedVectorIiLj1EEEEZZNS1_9scan_implILNS1_25lookback_scan_determinismE0ELb0ELb0ES3_N6thrust23THRUST_200600_302600_NS6detail15normal_iteratorINSB_10device_ptrIS6_EEEESG_S6_NSB_4plusIvEES6_EEDaPvRmT3_T4_T5_mT6_P12ihipStream_tbENKUlT_T0_E_clISt17integral_constantIbLb0EESW_EEDaSR_SS_EUlSR_E_NS1_11comp_targetILNS1_3genE4ELNS1_11target_archE910ELNS1_3gpuE8ELNS1_3repE0EEENS1_30default_config_static_selectorELNS0_4arch9wavefront6targetE1EEEvT1_,comdat
.Lfunc_end6381:
	.size	_ZN7rocprim17ROCPRIM_400000_NS6detail17trampoline_kernelINS0_14default_configENS1_20scan_config_selectorI11FixedVectorIiLj1EEEEZZNS1_9scan_implILNS1_25lookback_scan_determinismE0ELb0ELb0ES3_N6thrust23THRUST_200600_302600_NS6detail15normal_iteratorINSB_10device_ptrIS6_EEEESG_S6_NSB_4plusIvEES6_EEDaPvRmT3_T4_T5_mT6_P12ihipStream_tbENKUlT_T0_E_clISt17integral_constantIbLb0EESW_EEDaSR_SS_EUlSR_E_NS1_11comp_targetILNS1_3genE4ELNS1_11target_archE910ELNS1_3gpuE8ELNS1_3repE0EEENS1_30default_config_static_selectorELNS0_4arch9wavefront6targetE1EEEvT1_, .Lfunc_end6381-_ZN7rocprim17ROCPRIM_400000_NS6detail17trampoline_kernelINS0_14default_configENS1_20scan_config_selectorI11FixedVectorIiLj1EEEEZZNS1_9scan_implILNS1_25lookback_scan_determinismE0ELb0ELb0ES3_N6thrust23THRUST_200600_302600_NS6detail15normal_iteratorINSB_10device_ptrIS6_EEEESG_S6_NSB_4plusIvEES6_EEDaPvRmT3_T4_T5_mT6_P12ihipStream_tbENKUlT_T0_E_clISt17integral_constantIbLb0EESW_EEDaSR_SS_EUlSR_E_NS1_11comp_targetILNS1_3genE4ELNS1_11target_archE910ELNS1_3gpuE8ELNS1_3repE0EEENS1_30default_config_static_selectorELNS0_4arch9wavefront6targetE1EEEvT1_
                                        ; -- End function
	.section	.AMDGPU.csdata,"",@progbits
; Kernel info:
; codeLenInByte = 4460
; NumSgprs: 32
; NumVgprs: 40
; NumAgprs: 0
; TotalNumVgprs: 40
; ScratchSize: 0
; MemoryBound: 0
; FloatMode: 240
; IeeeMode: 1
; LDSByteSize: 5120 bytes/workgroup (compile time only)
; SGPRBlocks: 3
; VGPRBlocks: 4
; NumSGPRsForWavesPerEU: 32
; NumVGPRsForWavesPerEU: 40
; AccumOffset: 40
; Occupancy: 6
; WaveLimiterHint : 1
; COMPUTE_PGM_RSRC2:SCRATCH_EN: 0
; COMPUTE_PGM_RSRC2:USER_SGPR: 6
; COMPUTE_PGM_RSRC2:TRAP_HANDLER: 0
; COMPUTE_PGM_RSRC2:TGID_X_EN: 1
; COMPUTE_PGM_RSRC2:TGID_Y_EN: 0
; COMPUTE_PGM_RSRC2:TGID_Z_EN: 0
; COMPUTE_PGM_RSRC2:TIDIG_COMP_CNT: 0
; COMPUTE_PGM_RSRC3_GFX90A:ACCUM_OFFSET: 9
; COMPUTE_PGM_RSRC3_GFX90A:TG_SPLIT: 0
	.section	.text._ZN7rocprim17ROCPRIM_400000_NS6detail17trampoline_kernelINS0_14default_configENS1_20scan_config_selectorI11FixedVectorIiLj1EEEEZZNS1_9scan_implILNS1_25lookback_scan_determinismE0ELb0ELb0ES3_N6thrust23THRUST_200600_302600_NS6detail15normal_iteratorINSB_10device_ptrIS6_EEEESG_S6_NSB_4plusIvEES6_EEDaPvRmT3_T4_T5_mT6_P12ihipStream_tbENKUlT_T0_E_clISt17integral_constantIbLb0EESW_EEDaSR_SS_EUlSR_E_NS1_11comp_targetILNS1_3genE3ELNS1_11target_archE908ELNS1_3gpuE7ELNS1_3repE0EEENS1_30default_config_static_selectorELNS0_4arch9wavefront6targetE1EEEvT1_,"axG",@progbits,_ZN7rocprim17ROCPRIM_400000_NS6detail17trampoline_kernelINS0_14default_configENS1_20scan_config_selectorI11FixedVectorIiLj1EEEEZZNS1_9scan_implILNS1_25lookback_scan_determinismE0ELb0ELb0ES3_N6thrust23THRUST_200600_302600_NS6detail15normal_iteratorINSB_10device_ptrIS6_EEEESG_S6_NSB_4plusIvEES6_EEDaPvRmT3_T4_T5_mT6_P12ihipStream_tbENKUlT_T0_E_clISt17integral_constantIbLb0EESW_EEDaSR_SS_EUlSR_E_NS1_11comp_targetILNS1_3genE3ELNS1_11target_archE908ELNS1_3gpuE7ELNS1_3repE0EEENS1_30default_config_static_selectorELNS0_4arch9wavefront6targetE1EEEvT1_,comdat
	.protected	_ZN7rocprim17ROCPRIM_400000_NS6detail17trampoline_kernelINS0_14default_configENS1_20scan_config_selectorI11FixedVectorIiLj1EEEEZZNS1_9scan_implILNS1_25lookback_scan_determinismE0ELb0ELb0ES3_N6thrust23THRUST_200600_302600_NS6detail15normal_iteratorINSB_10device_ptrIS6_EEEESG_S6_NSB_4plusIvEES6_EEDaPvRmT3_T4_T5_mT6_P12ihipStream_tbENKUlT_T0_E_clISt17integral_constantIbLb0EESW_EEDaSR_SS_EUlSR_E_NS1_11comp_targetILNS1_3genE3ELNS1_11target_archE908ELNS1_3gpuE7ELNS1_3repE0EEENS1_30default_config_static_selectorELNS0_4arch9wavefront6targetE1EEEvT1_ ; -- Begin function _ZN7rocprim17ROCPRIM_400000_NS6detail17trampoline_kernelINS0_14default_configENS1_20scan_config_selectorI11FixedVectorIiLj1EEEEZZNS1_9scan_implILNS1_25lookback_scan_determinismE0ELb0ELb0ES3_N6thrust23THRUST_200600_302600_NS6detail15normal_iteratorINSB_10device_ptrIS6_EEEESG_S6_NSB_4plusIvEES6_EEDaPvRmT3_T4_T5_mT6_P12ihipStream_tbENKUlT_T0_E_clISt17integral_constantIbLb0EESW_EEDaSR_SS_EUlSR_E_NS1_11comp_targetILNS1_3genE3ELNS1_11target_archE908ELNS1_3gpuE7ELNS1_3repE0EEENS1_30default_config_static_selectorELNS0_4arch9wavefront6targetE1EEEvT1_
	.globl	_ZN7rocprim17ROCPRIM_400000_NS6detail17trampoline_kernelINS0_14default_configENS1_20scan_config_selectorI11FixedVectorIiLj1EEEEZZNS1_9scan_implILNS1_25lookback_scan_determinismE0ELb0ELb0ES3_N6thrust23THRUST_200600_302600_NS6detail15normal_iteratorINSB_10device_ptrIS6_EEEESG_S6_NSB_4plusIvEES6_EEDaPvRmT3_T4_T5_mT6_P12ihipStream_tbENKUlT_T0_E_clISt17integral_constantIbLb0EESW_EEDaSR_SS_EUlSR_E_NS1_11comp_targetILNS1_3genE3ELNS1_11target_archE908ELNS1_3gpuE7ELNS1_3repE0EEENS1_30default_config_static_selectorELNS0_4arch9wavefront6targetE1EEEvT1_
	.p2align	8
	.type	_ZN7rocprim17ROCPRIM_400000_NS6detail17trampoline_kernelINS0_14default_configENS1_20scan_config_selectorI11FixedVectorIiLj1EEEEZZNS1_9scan_implILNS1_25lookback_scan_determinismE0ELb0ELb0ES3_N6thrust23THRUST_200600_302600_NS6detail15normal_iteratorINSB_10device_ptrIS6_EEEESG_S6_NSB_4plusIvEES6_EEDaPvRmT3_T4_T5_mT6_P12ihipStream_tbENKUlT_T0_E_clISt17integral_constantIbLb0EESW_EEDaSR_SS_EUlSR_E_NS1_11comp_targetILNS1_3genE3ELNS1_11target_archE908ELNS1_3gpuE7ELNS1_3repE0EEENS1_30default_config_static_selectorELNS0_4arch9wavefront6targetE1EEEvT1_,@function
_ZN7rocprim17ROCPRIM_400000_NS6detail17trampoline_kernelINS0_14default_configENS1_20scan_config_selectorI11FixedVectorIiLj1EEEEZZNS1_9scan_implILNS1_25lookback_scan_determinismE0ELb0ELb0ES3_N6thrust23THRUST_200600_302600_NS6detail15normal_iteratorINSB_10device_ptrIS6_EEEESG_S6_NSB_4plusIvEES6_EEDaPvRmT3_T4_T5_mT6_P12ihipStream_tbENKUlT_T0_E_clISt17integral_constantIbLb0EESW_EEDaSR_SS_EUlSR_E_NS1_11comp_targetILNS1_3genE3ELNS1_11target_archE908ELNS1_3gpuE7ELNS1_3repE0EEENS1_30default_config_static_selectorELNS0_4arch9wavefront6targetE1EEEvT1_: ; @_ZN7rocprim17ROCPRIM_400000_NS6detail17trampoline_kernelINS0_14default_configENS1_20scan_config_selectorI11FixedVectorIiLj1EEEEZZNS1_9scan_implILNS1_25lookback_scan_determinismE0ELb0ELb0ES3_N6thrust23THRUST_200600_302600_NS6detail15normal_iteratorINSB_10device_ptrIS6_EEEESG_S6_NSB_4plusIvEES6_EEDaPvRmT3_T4_T5_mT6_P12ihipStream_tbENKUlT_T0_E_clISt17integral_constantIbLb0EESW_EEDaSR_SS_EUlSR_E_NS1_11comp_targetILNS1_3genE3ELNS1_11target_archE908ELNS1_3gpuE7ELNS1_3repE0EEENS1_30default_config_static_selectorELNS0_4arch9wavefront6targetE1EEEvT1_
; %bb.0:
	.section	.rodata,"a",@progbits
	.p2align	6, 0x0
	.amdhsa_kernel _ZN7rocprim17ROCPRIM_400000_NS6detail17trampoline_kernelINS0_14default_configENS1_20scan_config_selectorI11FixedVectorIiLj1EEEEZZNS1_9scan_implILNS1_25lookback_scan_determinismE0ELb0ELb0ES3_N6thrust23THRUST_200600_302600_NS6detail15normal_iteratorINSB_10device_ptrIS6_EEEESG_S6_NSB_4plusIvEES6_EEDaPvRmT3_T4_T5_mT6_P12ihipStream_tbENKUlT_T0_E_clISt17integral_constantIbLb0EESW_EEDaSR_SS_EUlSR_E_NS1_11comp_targetILNS1_3genE3ELNS1_11target_archE908ELNS1_3gpuE7ELNS1_3repE0EEENS1_30default_config_static_selectorELNS0_4arch9wavefront6targetE1EEEvT1_
		.amdhsa_group_segment_fixed_size 0
		.amdhsa_private_segment_fixed_size 0
		.amdhsa_kernarg_size 96
		.amdhsa_user_sgpr_count 6
		.amdhsa_user_sgpr_private_segment_buffer 1
		.amdhsa_user_sgpr_dispatch_ptr 0
		.amdhsa_user_sgpr_queue_ptr 0
		.amdhsa_user_sgpr_kernarg_segment_ptr 1
		.amdhsa_user_sgpr_dispatch_id 0
		.amdhsa_user_sgpr_flat_scratch_init 0
		.amdhsa_user_sgpr_kernarg_preload_length 0
		.amdhsa_user_sgpr_kernarg_preload_offset 0
		.amdhsa_user_sgpr_private_segment_size 0
		.amdhsa_uses_dynamic_stack 0
		.amdhsa_system_sgpr_private_segment_wavefront_offset 0
		.amdhsa_system_sgpr_workgroup_id_x 1
		.amdhsa_system_sgpr_workgroup_id_y 0
		.amdhsa_system_sgpr_workgroup_id_z 0
		.amdhsa_system_sgpr_workgroup_info 0
		.amdhsa_system_vgpr_workitem_id 0
		.amdhsa_next_free_vgpr 1
		.amdhsa_next_free_sgpr 0
		.amdhsa_accum_offset 4
		.amdhsa_reserve_vcc 0
		.amdhsa_reserve_flat_scratch 0
		.amdhsa_float_round_mode_32 0
		.amdhsa_float_round_mode_16_64 0
		.amdhsa_float_denorm_mode_32 3
		.amdhsa_float_denorm_mode_16_64 3
		.amdhsa_dx10_clamp 1
		.amdhsa_ieee_mode 1
		.amdhsa_fp16_overflow 0
		.amdhsa_tg_split 0
		.amdhsa_exception_fp_ieee_invalid_op 0
		.amdhsa_exception_fp_denorm_src 0
		.amdhsa_exception_fp_ieee_div_zero 0
		.amdhsa_exception_fp_ieee_overflow 0
		.amdhsa_exception_fp_ieee_underflow 0
		.amdhsa_exception_fp_ieee_inexact 0
		.amdhsa_exception_int_div_zero 0
	.end_amdhsa_kernel
	.section	.text._ZN7rocprim17ROCPRIM_400000_NS6detail17trampoline_kernelINS0_14default_configENS1_20scan_config_selectorI11FixedVectorIiLj1EEEEZZNS1_9scan_implILNS1_25lookback_scan_determinismE0ELb0ELb0ES3_N6thrust23THRUST_200600_302600_NS6detail15normal_iteratorINSB_10device_ptrIS6_EEEESG_S6_NSB_4plusIvEES6_EEDaPvRmT3_T4_T5_mT6_P12ihipStream_tbENKUlT_T0_E_clISt17integral_constantIbLb0EESW_EEDaSR_SS_EUlSR_E_NS1_11comp_targetILNS1_3genE3ELNS1_11target_archE908ELNS1_3gpuE7ELNS1_3repE0EEENS1_30default_config_static_selectorELNS0_4arch9wavefront6targetE1EEEvT1_,"axG",@progbits,_ZN7rocprim17ROCPRIM_400000_NS6detail17trampoline_kernelINS0_14default_configENS1_20scan_config_selectorI11FixedVectorIiLj1EEEEZZNS1_9scan_implILNS1_25lookback_scan_determinismE0ELb0ELb0ES3_N6thrust23THRUST_200600_302600_NS6detail15normal_iteratorINSB_10device_ptrIS6_EEEESG_S6_NSB_4plusIvEES6_EEDaPvRmT3_T4_T5_mT6_P12ihipStream_tbENKUlT_T0_E_clISt17integral_constantIbLb0EESW_EEDaSR_SS_EUlSR_E_NS1_11comp_targetILNS1_3genE3ELNS1_11target_archE908ELNS1_3gpuE7ELNS1_3repE0EEENS1_30default_config_static_selectorELNS0_4arch9wavefront6targetE1EEEvT1_,comdat
.Lfunc_end6382:
	.size	_ZN7rocprim17ROCPRIM_400000_NS6detail17trampoline_kernelINS0_14default_configENS1_20scan_config_selectorI11FixedVectorIiLj1EEEEZZNS1_9scan_implILNS1_25lookback_scan_determinismE0ELb0ELb0ES3_N6thrust23THRUST_200600_302600_NS6detail15normal_iteratorINSB_10device_ptrIS6_EEEESG_S6_NSB_4plusIvEES6_EEDaPvRmT3_T4_T5_mT6_P12ihipStream_tbENKUlT_T0_E_clISt17integral_constantIbLb0EESW_EEDaSR_SS_EUlSR_E_NS1_11comp_targetILNS1_3genE3ELNS1_11target_archE908ELNS1_3gpuE7ELNS1_3repE0EEENS1_30default_config_static_selectorELNS0_4arch9wavefront6targetE1EEEvT1_, .Lfunc_end6382-_ZN7rocprim17ROCPRIM_400000_NS6detail17trampoline_kernelINS0_14default_configENS1_20scan_config_selectorI11FixedVectorIiLj1EEEEZZNS1_9scan_implILNS1_25lookback_scan_determinismE0ELb0ELb0ES3_N6thrust23THRUST_200600_302600_NS6detail15normal_iteratorINSB_10device_ptrIS6_EEEESG_S6_NSB_4plusIvEES6_EEDaPvRmT3_T4_T5_mT6_P12ihipStream_tbENKUlT_T0_E_clISt17integral_constantIbLb0EESW_EEDaSR_SS_EUlSR_E_NS1_11comp_targetILNS1_3genE3ELNS1_11target_archE908ELNS1_3gpuE7ELNS1_3repE0EEENS1_30default_config_static_selectorELNS0_4arch9wavefront6targetE1EEEvT1_
                                        ; -- End function
	.section	.AMDGPU.csdata,"",@progbits
; Kernel info:
; codeLenInByte = 0
; NumSgprs: 4
; NumVgprs: 0
; NumAgprs: 0
; TotalNumVgprs: 0
; ScratchSize: 0
; MemoryBound: 0
; FloatMode: 240
; IeeeMode: 1
; LDSByteSize: 0 bytes/workgroup (compile time only)
; SGPRBlocks: 0
; VGPRBlocks: 0
; NumSGPRsForWavesPerEU: 4
; NumVGPRsForWavesPerEU: 1
; AccumOffset: 4
; Occupancy: 8
; WaveLimiterHint : 0
; COMPUTE_PGM_RSRC2:SCRATCH_EN: 0
; COMPUTE_PGM_RSRC2:USER_SGPR: 6
; COMPUTE_PGM_RSRC2:TRAP_HANDLER: 0
; COMPUTE_PGM_RSRC2:TGID_X_EN: 1
; COMPUTE_PGM_RSRC2:TGID_Y_EN: 0
; COMPUTE_PGM_RSRC2:TGID_Z_EN: 0
; COMPUTE_PGM_RSRC2:TIDIG_COMP_CNT: 0
; COMPUTE_PGM_RSRC3_GFX90A:ACCUM_OFFSET: 0
; COMPUTE_PGM_RSRC3_GFX90A:TG_SPLIT: 0
	.section	.text._ZN7rocprim17ROCPRIM_400000_NS6detail17trampoline_kernelINS0_14default_configENS1_20scan_config_selectorI11FixedVectorIiLj1EEEEZZNS1_9scan_implILNS1_25lookback_scan_determinismE0ELb0ELb0ES3_N6thrust23THRUST_200600_302600_NS6detail15normal_iteratorINSB_10device_ptrIS6_EEEESG_S6_NSB_4plusIvEES6_EEDaPvRmT3_T4_T5_mT6_P12ihipStream_tbENKUlT_T0_E_clISt17integral_constantIbLb0EESW_EEDaSR_SS_EUlSR_E_NS1_11comp_targetILNS1_3genE2ELNS1_11target_archE906ELNS1_3gpuE6ELNS1_3repE0EEENS1_30default_config_static_selectorELNS0_4arch9wavefront6targetE1EEEvT1_,"axG",@progbits,_ZN7rocprim17ROCPRIM_400000_NS6detail17trampoline_kernelINS0_14default_configENS1_20scan_config_selectorI11FixedVectorIiLj1EEEEZZNS1_9scan_implILNS1_25lookback_scan_determinismE0ELb0ELb0ES3_N6thrust23THRUST_200600_302600_NS6detail15normal_iteratorINSB_10device_ptrIS6_EEEESG_S6_NSB_4plusIvEES6_EEDaPvRmT3_T4_T5_mT6_P12ihipStream_tbENKUlT_T0_E_clISt17integral_constantIbLb0EESW_EEDaSR_SS_EUlSR_E_NS1_11comp_targetILNS1_3genE2ELNS1_11target_archE906ELNS1_3gpuE6ELNS1_3repE0EEENS1_30default_config_static_selectorELNS0_4arch9wavefront6targetE1EEEvT1_,comdat
	.protected	_ZN7rocprim17ROCPRIM_400000_NS6detail17trampoline_kernelINS0_14default_configENS1_20scan_config_selectorI11FixedVectorIiLj1EEEEZZNS1_9scan_implILNS1_25lookback_scan_determinismE0ELb0ELb0ES3_N6thrust23THRUST_200600_302600_NS6detail15normal_iteratorINSB_10device_ptrIS6_EEEESG_S6_NSB_4plusIvEES6_EEDaPvRmT3_T4_T5_mT6_P12ihipStream_tbENKUlT_T0_E_clISt17integral_constantIbLb0EESW_EEDaSR_SS_EUlSR_E_NS1_11comp_targetILNS1_3genE2ELNS1_11target_archE906ELNS1_3gpuE6ELNS1_3repE0EEENS1_30default_config_static_selectorELNS0_4arch9wavefront6targetE1EEEvT1_ ; -- Begin function _ZN7rocprim17ROCPRIM_400000_NS6detail17trampoline_kernelINS0_14default_configENS1_20scan_config_selectorI11FixedVectorIiLj1EEEEZZNS1_9scan_implILNS1_25lookback_scan_determinismE0ELb0ELb0ES3_N6thrust23THRUST_200600_302600_NS6detail15normal_iteratorINSB_10device_ptrIS6_EEEESG_S6_NSB_4plusIvEES6_EEDaPvRmT3_T4_T5_mT6_P12ihipStream_tbENKUlT_T0_E_clISt17integral_constantIbLb0EESW_EEDaSR_SS_EUlSR_E_NS1_11comp_targetILNS1_3genE2ELNS1_11target_archE906ELNS1_3gpuE6ELNS1_3repE0EEENS1_30default_config_static_selectorELNS0_4arch9wavefront6targetE1EEEvT1_
	.globl	_ZN7rocprim17ROCPRIM_400000_NS6detail17trampoline_kernelINS0_14default_configENS1_20scan_config_selectorI11FixedVectorIiLj1EEEEZZNS1_9scan_implILNS1_25lookback_scan_determinismE0ELb0ELb0ES3_N6thrust23THRUST_200600_302600_NS6detail15normal_iteratorINSB_10device_ptrIS6_EEEESG_S6_NSB_4plusIvEES6_EEDaPvRmT3_T4_T5_mT6_P12ihipStream_tbENKUlT_T0_E_clISt17integral_constantIbLb0EESW_EEDaSR_SS_EUlSR_E_NS1_11comp_targetILNS1_3genE2ELNS1_11target_archE906ELNS1_3gpuE6ELNS1_3repE0EEENS1_30default_config_static_selectorELNS0_4arch9wavefront6targetE1EEEvT1_
	.p2align	8
	.type	_ZN7rocprim17ROCPRIM_400000_NS6detail17trampoline_kernelINS0_14default_configENS1_20scan_config_selectorI11FixedVectorIiLj1EEEEZZNS1_9scan_implILNS1_25lookback_scan_determinismE0ELb0ELb0ES3_N6thrust23THRUST_200600_302600_NS6detail15normal_iteratorINSB_10device_ptrIS6_EEEESG_S6_NSB_4plusIvEES6_EEDaPvRmT3_T4_T5_mT6_P12ihipStream_tbENKUlT_T0_E_clISt17integral_constantIbLb0EESW_EEDaSR_SS_EUlSR_E_NS1_11comp_targetILNS1_3genE2ELNS1_11target_archE906ELNS1_3gpuE6ELNS1_3repE0EEENS1_30default_config_static_selectorELNS0_4arch9wavefront6targetE1EEEvT1_,@function
_ZN7rocprim17ROCPRIM_400000_NS6detail17trampoline_kernelINS0_14default_configENS1_20scan_config_selectorI11FixedVectorIiLj1EEEEZZNS1_9scan_implILNS1_25lookback_scan_determinismE0ELb0ELb0ES3_N6thrust23THRUST_200600_302600_NS6detail15normal_iteratorINSB_10device_ptrIS6_EEEESG_S6_NSB_4plusIvEES6_EEDaPvRmT3_T4_T5_mT6_P12ihipStream_tbENKUlT_T0_E_clISt17integral_constantIbLb0EESW_EEDaSR_SS_EUlSR_E_NS1_11comp_targetILNS1_3genE2ELNS1_11target_archE906ELNS1_3gpuE6ELNS1_3repE0EEENS1_30default_config_static_selectorELNS0_4arch9wavefront6targetE1EEEvT1_: ; @_ZN7rocprim17ROCPRIM_400000_NS6detail17trampoline_kernelINS0_14default_configENS1_20scan_config_selectorI11FixedVectorIiLj1EEEEZZNS1_9scan_implILNS1_25lookback_scan_determinismE0ELb0ELb0ES3_N6thrust23THRUST_200600_302600_NS6detail15normal_iteratorINSB_10device_ptrIS6_EEEESG_S6_NSB_4plusIvEES6_EEDaPvRmT3_T4_T5_mT6_P12ihipStream_tbENKUlT_T0_E_clISt17integral_constantIbLb0EESW_EEDaSR_SS_EUlSR_E_NS1_11comp_targetILNS1_3genE2ELNS1_11target_archE906ELNS1_3gpuE6ELNS1_3repE0EEENS1_30default_config_static_selectorELNS0_4arch9wavefront6targetE1EEEvT1_
; %bb.0:
	.section	.rodata,"a",@progbits
	.p2align	6, 0x0
	.amdhsa_kernel _ZN7rocprim17ROCPRIM_400000_NS6detail17trampoline_kernelINS0_14default_configENS1_20scan_config_selectorI11FixedVectorIiLj1EEEEZZNS1_9scan_implILNS1_25lookback_scan_determinismE0ELb0ELb0ES3_N6thrust23THRUST_200600_302600_NS6detail15normal_iteratorINSB_10device_ptrIS6_EEEESG_S6_NSB_4plusIvEES6_EEDaPvRmT3_T4_T5_mT6_P12ihipStream_tbENKUlT_T0_E_clISt17integral_constantIbLb0EESW_EEDaSR_SS_EUlSR_E_NS1_11comp_targetILNS1_3genE2ELNS1_11target_archE906ELNS1_3gpuE6ELNS1_3repE0EEENS1_30default_config_static_selectorELNS0_4arch9wavefront6targetE1EEEvT1_
		.amdhsa_group_segment_fixed_size 0
		.amdhsa_private_segment_fixed_size 0
		.amdhsa_kernarg_size 96
		.amdhsa_user_sgpr_count 6
		.amdhsa_user_sgpr_private_segment_buffer 1
		.amdhsa_user_sgpr_dispatch_ptr 0
		.amdhsa_user_sgpr_queue_ptr 0
		.amdhsa_user_sgpr_kernarg_segment_ptr 1
		.amdhsa_user_sgpr_dispatch_id 0
		.amdhsa_user_sgpr_flat_scratch_init 0
		.amdhsa_user_sgpr_kernarg_preload_length 0
		.amdhsa_user_sgpr_kernarg_preload_offset 0
		.amdhsa_user_sgpr_private_segment_size 0
		.amdhsa_uses_dynamic_stack 0
		.amdhsa_system_sgpr_private_segment_wavefront_offset 0
		.amdhsa_system_sgpr_workgroup_id_x 1
		.amdhsa_system_sgpr_workgroup_id_y 0
		.amdhsa_system_sgpr_workgroup_id_z 0
		.amdhsa_system_sgpr_workgroup_info 0
		.amdhsa_system_vgpr_workitem_id 0
		.amdhsa_next_free_vgpr 1
		.amdhsa_next_free_sgpr 0
		.amdhsa_accum_offset 4
		.amdhsa_reserve_vcc 0
		.amdhsa_reserve_flat_scratch 0
		.amdhsa_float_round_mode_32 0
		.amdhsa_float_round_mode_16_64 0
		.amdhsa_float_denorm_mode_32 3
		.amdhsa_float_denorm_mode_16_64 3
		.amdhsa_dx10_clamp 1
		.amdhsa_ieee_mode 1
		.amdhsa_fp16_overflow 0
		.amdhsa_tg_split 0
		.amdhsa_exception_fp_ieee_invalid_op 0
		.amdhsa_exception_fp_denorm_src 0
		.amdhsa_exception_fp_ieee_div_zero 0
		.amdhsa_exception_fp_ieee_overflow 0
		.amdhsa_exception_fp_ieee_underflow 0
		.amdhsa_exception_fp_ieee_inexact 0
		.amdhsa_exception_int_div_zero 0
	.end_amdhsa_kernel
	.section	.text._ZN7rocprim17ROCPRIM_400000_NS6detail17trampoline_kernelINS0_14default_configENS1_20scan_config_selectorI11FixedVectorIiLj1EEEEZZNS1_9scan_implILNS1_25lookback_scan_determinismE0ELb0ELb0ES3_N6thrust23THRUST_200600_302600_NS6detail15normal_iteratorINSB_10device_ptrIS6_EEEESG_S6_NSB_4plusIvEES6_EEDaPvRmT3_T4_T5_mT6_P12ihipStream_tbENKUlT_T0_E_clISt17integral_constantIbLb0EESW_EEDaSR_SS_EUlSR_E_NS1_11comp_targetILNS1_3genE2ELNS1_11target_archE906ELNS1_3gpuE6ELNS1_3repE0EEENS1_30default_config_static_selectorELNS0_4arch9wavefront6targetE1EEEvT1_,"axG",@progbits,_ZN7rocprim17ROCPRIM_400000_NS6detail17trampoline_kernelINS0_14default_configENS1_20scan_config_selectorI11FixedVectorIiLj1EEEEZZNS1_9scan_implILNS1_25lookback_scan_determinismE0ELb0ELb0ES3_N6thrust23THRUST_200600_302600_NS6detail15normal_iteratorINSB_10device_ptrIS6_EEEESG_S6_NSB_4plusIvEES6_EEDaPvRmT3_T4_T5_mT6_P12ihipStream_tbENKUlT_T0_E_clISt17integral_constantIbLb0EESW_EEDaSR_SS_EUlSR_E_NS1_11comp_targetILNS1_3genE2ELNS1_11target_archE906ELNS1_3gpuE6ELNS1_3repE0EEENS1_30default_config_static_selectorELNS0_4arch9wavefront6targetE1EEEvT1_,comdat
.Lfunc_end6383:
	.size	_ZN7rocprim17ROCPRIM_400000_NS6detail17trampoline_kernelINS0_14default_configENS1_20scan_config_selectorI11FixedVectorIiLj1EEEEZZNS1_9scan_implILNS1_25lookback_scan_determinismE0ELb0ELb0ES3_N6thrust23THRUST_200600_302600_NS6detail15normal_iteratorINSB_10device_ptrIS6_EEEESG_S6_NSB_4plusIvEES6_EEDaPvRmT3_T4_T5_mT6_P12ihipStream_tbENKUlT_T0_E_clISt17integral_constantIbLb0EESW_EEDaSR_SS_EUlSR_E_NS1_11comp_targetILNS1_3genE2ELNS1_11target_archE906ELNS1_3gpuE6ELNS1_3repE0EEENS1_30default_config_static_selectorELNS0_4arch9wavefront6targetE1EEEvT1_, .Lfunc_end6383-_ZN7rocprim17ROCPRIM_400000_NS6detail17trampoline_kernelINS0_14default_configENS1_20scan_config_selectorI11FixedVectorIiLj1EEEEZZNS1_9scan_implILNS1_25lookback_scan_determinismE0ELb0ELb0ES3_N6thrust23THRUST_200600_302600_NS6detail15normal_iteratorINSB_10device_ptrIS6_EEEESG_S6_NSB_4plusIvEES6_EEDaPvRmT3_T4_T5_mT6_P12ihipStream_tbENKUlT_T0_E_clISt17integral_constantIbLb0EESW_EEDaSR_SS_EUlSR_E_NS1_11comp_targetILNS1_3genE2ELNS1_11target_archE906ELNS1_3gpuE6ELNS1_3repE0EEENS1_30default_config_static_selectorELNS0_4arch9wavefront6targetE1EEEvT1_
                                        ; -- End function
	.section	.AMDGPU.csdata,"",@progbits
; Kernel info:
; codeLenInByte = 0
; NumSgprs: 4
; NumVgprs: 0
; NumAgprs: 0
; TotalNumVgprs: 0
; ScratchSize: 0
; MemoryBound: 0
; FloatMode: 240
; IeeeMode: 1
; LDSByteSize: 0 bytes/workgroup (compile time only)
; SGPRBlocks: 0
; VGPRBlocks: 0
; NumSGPRsForWavesPerEU: 4
; NumVGPRsForWavesPerEU: 1
; AccumOffset: 4
; Occupancy: 8
; WaveLimiterHint : 0
; COMPUTE_PGM_RSRC2:SCRATCH_EN: 0
; COMPUTE_PGM_RSRC2:USER_SGPR: 6
; COMPUTE_PGM_RSRC2:TRAP_HANDLER: 0
; COMPUTE_PGM_RSRC2:TGID_X_EN: 1
; COMPUTE_PGM_RSRC2:TGID_Y_EN: 0
; COMPUTE_PGM_RSRC2:TGID_Z_EN: 0
; COMPUTE_PGM_RSRC2:TIDIG_COMP_CNT: 0
; COMPUTE_PGM_RSRC3_GFX90A:ACCUM_OFFSET: 0
; COMPUTE_PGM_RSRC3_GFX90A:TG_SPLIT: 0
	.section	.text._ZN7rocprim17ROCPRIM_400000_NS6detail17trampoline_kernelINS0_14default_configENS1_20scan_config_selectorI11FixedVectorIiLj1EEEEZZNS1_9scan_implILNS1_25lookback_scan_determinismE0ELb0ELb0ES3_N6thrust23THRUST_200600_302600_NS6detail15normal_iteratorINSB_10device_ptrIS6_EEEESG_S6_NSB_4plusIvEES6_EEDaPvRmT3_T4_T5_mT6_P12ihipStream_tbENKUlT_T0_E_clISt17integral_constantIbLb0EESW_EEDaSR_SS_EUlSR_E_NS1_11comp_targetILNS1_3genE10ELNS1_11target_archE1201ELNS1_3gpuE5ELNS1_3repE0EEENS1_30default_config_static_selectorELNS0_4arch9wavefront6targetE1EEEvT1_,"axG",@progbits,_ZN7rocprim17ROCPRIM_400000_NS6detail17trampoline_kernelINS0_14default_configENS1_20scan_config_selectorI11FixedVectorIiLj1EEEEZZNS1_9scan_implILNS1_25lookback_scan_determinismE0ELb0ELb0ES3_N6thrust23THRUST_200600_302600_NS6detail15normal_iteratorINSB_10device_ptrIS6_EEEESG_S6_NSB_4plusIvEES6_EEDaPvRmT3_T4_T5_mT6_P12ihipStream_tbENKUlT_T0_E_clISt17integral_constantIbLb0EESW_EEDaSR_SS_EUlSR_E_NS1_11comp_targetILNS1_3genE10ELNS1_11target_archE1201ELNS1_3gpuE5ELNS1_3repE0EEENS1_30default_config_static_selectorELNS0_4arch9wavefront6targetE1EEEvT1_,comdat
	.protected	_ZN7rocprim17ROCPRIM_400000_NS6detail17trampoline_kernelINS0_14default_configENS1_20scan_config_selectorI11FixedVectorIiLj1EEEEZZNS1_9scan_implILNS1_25lookback_scan_determinismE0ELb0ELb0ES3_N6thrust23THRUST_200600_302600_NS6detail15normal_iteratorINSB_10device_ptrIS6_EEEESG_S6_NSB_4plusIvEES6_EEDaPvRmT3_T4_T5_mT6_P12ihipStream_tbENKUlT_T0_E_clISt17integral_constantIbLb0EESW_EEDaSR_SS_EUlSR_E_NS1_11comp_targetILNS1_3genE10ELNS1_11target_archE1201ELNS1_3gpuE5ELNS1_3repE0EEENS1_30default_config_static_selectorELNS0_4arch9wavefront6targetE1EEEvT1_ ; -- Begin function _ZN7rocprim17ROCPRIM_400000_NS6detail17trampoline_kernelINS0_14default_configENS1_20scan_config_selectorI11FixedVectorIiLj1EEEEZZNS1_9scan_implILNS1_25lookback_scan_determinismE0ELb0ELb0ES3_N6thrust23THRUST_200600_302600_NS6detail15normal_iteratorINSB_10device_ptrIS6_EEEESG_S6_NSB_4plusIvEES6_EEDaPvRmT3_T4_T5_mT6_P12ihipStream_tbENKUlT_T0_E_clISt17integral_constantIbLb0EESW_EEDaSR_SS_EUlSR_E_NS1_11comp_targetILNS1_3genE10ELNS1_11target_archE1201ELNS1_3gpuE5ELNS1_3repE0EEENS1_30default_config_static_selectorELNS0_4arch9wavefront6targetE1EEEvT1_
	.globl	_ZN7rocprim17ROCPRIM_400000_NS6detail17trampoline_kernelINS0_14default_configENS1_20scan_config_selectorI11FixedVectorIiLj1EEEEZZNS1_9scan_implILNS1_25lookback_scan_determinismE0ELb0ELb0ES3_N6thrust23THRUST_200600_302600_NS6detail15normal_iteratorINSB_10device_ptrIS6_EEEESG_S6_NSB_4plusIvEES6_EEDaPvRmT3_T4_T5_mT6_P12ihipStream_tbENKUlT_T0_E_clISt17integral_constantIbLb0EESW_EEDaSR_SS_EUlSR_E_NS1_11comp_targetILNS1_3genE10ELNS1_11target_archE1201ELNS1_3gpuE5ELNS1_3repE0EEENS1_30default_config_static_selectorELNS0_4arch9wavefront6targetE1EEEvT1_
	.p2align	8
	.type	_ZN7rocprim17ROCPRIM_400000_NS6detail17trampoline_kernelINS0_14default_configENS1_20scan_config_selectorI11FixedVectorIiLj1EEEEZZNS1_9scan_implILNS1_25lookback_scan_determinismE0ELb0ELb0ES3_N6thrust23THRUST_200600_302600_NS6detail15normal_iteratorINSB_10device_ptrIS6_EEEESG_S6_NSB_4plusIvEES6_EEDaPvRmT3_T4_T5_mT6_P12ihipStream_tbENKUlT_T0_E_clISt17integral_constantIbLb0EESW_EEDaSR_SS_EUlSR_E_NS1_11comp_targetILNS1_3genE10ELNS1_11target_archE1201ELNS1_3gpuE5ELNS1_3repE0EEENS1_30default_config_static_selectorELNS0_4arch9wavefront6targetE1EEEvT1_,@function
_ZN7rocprim17ROCPRIM_400000_NS6detail17trampoline_kernelINS0_14default_configENS1_20scan_config_selectorI11FixedVectorIiLj1EEEEZZNS1_9scan_implILNS1_25lookback_scan_determinismE0ELb0ELb0ES3_N6thrust23THRUST_200600_302600_NS6detail15normal_iteratorINSB_10device_ptrIS6_EEEESG_S6_NSB_4plusIvEES6_EEDaPvRmT3_T4_T5_mT6_P12ihipStream_tbENKUlT_T0_E_clISt17integral_constantIbLb0EESW_EEDaSR_SS_EUlSR_E_NS1_11comp_targetILNS1_3genE10ELNS1_11target_archE1201ELNS1_3gpuE5ELNS1_3repE0EEENS1_30default_config_static_selectorELNS0_4arch9wavefront6targetE1EEEvT1_: ; @_ZN7rocprim17ROCPRIM_400000_NS6detail17trampoline_kernelINS0_14default_configENS1_20scan_config_selectorI11FixedVectorIiLj1EEEEZZNS1_9scan_implILNS1_25lookback_scan_determinismE0ELb0ELb0ES3_N6thrust23THRUST_200600_302600_NS6detail15normal_iteratorINSB_10device_ptrIS6_EEEESG_S6_NSB_4plusIvEES6_EEDaPvRmT3_T4_T5_mT6_P12ihipStream_tbENKUlT_T0_E_clISt17integral_constantIbLb0EESW_EEDaSR_SS_EUlSR_E_NS1_11comp_targetILNS1_3genE10ELNS1_11target_archE1201ELNS1_3gpuE5ELNS1_3repE0EEENS1_30default_config_static_selectorELNS0_4arch9wavefront6targetE1EEEvT1_
; %bb.0:
	.section	.rodata,"a",@progbits
	.p2align	6, 0x0
	.amdhsa_kernel _ZN7rocprim17ROCPRIM_400000_NS6detail17trampoline_kernelINS0_14default_configENS1_20scan_config_selectorI11FixedVectorIiLj1EEEEZZNS1_9scan_implILNS1_25lookback_scan_determinismE0ELb0ELb0ES3_N6thrust23THRUST_200600_302600_NS6detail15normal_iteratorINSB_10device_ptrIS6_EEEESG_S6_NSB_4plusIvEES6_EEDaPvRmT3_T4_T5_mT6_P12ihipStream_tbENKUlT_T0_E_clISt17integral_constantIbLb0EESW_EEDaSR_SS_EUlSR_E_NS1_11comp_targetILNS1_3genE10ELNS1_11target_archE1201ELNS1_3gpuE5ELNS1_3repE0EEENS1_30default_config_static_selectorELNS0_4arch9wavefront6targetE1EEEvT1_
		.amdhsa_group_segment_fixed_size 0
		.amdhsa_private_segment_fixed_size 0
		.amdhsa_kernarg_size 96
		.amdhsa_user_sgpr_count 6
		.amdhsa_user_sgpr_private_segment_buffer 1
		.amdhsa_user_sgpr_dispatch_ptr 0
		.amdhsa_user_sgpr_queue_ptr 0
		.amdhsa_user_sgpr_kernarg_segment_ptr 1
		.amdhsa_user_sgpr_dispatch_id 0
		.amdhsa_user_sgpr_flat_scratch_init 0
		.amdhsa_user_sgpr_kernarg_preload_length 0
		.amdhsa_user_sgpr_kernarg_preload_offset 0
		.amdhsa_user_sgpr_private_segment_size 0
		.amdhsa_uses_dynamic_stack 0
		.amdhsa_system_sgpr_private_segment_wavefront_offset 0
		.amdhsa_system_sgpr_workgroup_id_x 1
		.amdhsa_system_sgpr_workgroup_id_y 0
		.amdhsa_system_sgpr_workgroup_id_z 0
		.amdhsa_system_sgpr_workgroup_info 0
		.amdhsa_system_vgpr_workitem_id 0
		.amdhsa_next_free_vgpr 1
		.amdhsa_next_free_sgpr 0
		.amdhsa_accum_offset 4
		.amdhsa_reserve_vcc 0
		.amdhsa_reserve_flat_scratch 0
		.amdhsa_float_round_mode_32 0
		.amdhsa_float_round_mode_16_64 0
		.amdhsa_float_denorm_mode_32 3
		.amdhsa_float_denorm_mode_16_64 3
		.amdhsa_dx10_clamp 1
		.amdhsa_ieee_mode 1
		.amdhsa_fp16_overflow 0
		.amdhsa_tg_split 0
		.amdhsa_exception_fp_ieee_invalid_op 0
		.amdhsa_exception_fp_denorm_src 0
		.amdhsa_exception_fp_ieee_div_zero 0
		.amdhsa_exception_fp_ieee_overflow 0
		.amdhsa_exception_fp_ieee_underflow 0
		.amdhsa_exception_fp_ieee_inexact 0
		.amdhsa_exception_int_div_zero 0
	.end_amdhsa_kernel
	.section	.text._ZN7rocprim17ROCPRIM_400000_NS6detail17trampoline_kernelINS0_14default_configENS1_20scan_config_selectorI11FixedVectorIiLj1EEEEZZNS1_9scan_implILNS1_25lookback_scan_determinismE0ELb0ELb0ES3_N6thrust23THRUST_200600_302600_NS6detail15normal_iteratorINSB_10device_ptrIS6_EEEESG_S6_NSB_4plusIvEES6_EEDaPvRmT3_T4_T5_mT6_P12ihipStream_tbENKUlT_T0_E_clISt17integral_constantIbLb0EESW_EEDaSR_SS_EUlSR_E_NS1_11comp_targetILNS1_3genE10ELNS1_11target_archE1201ELNS1_3gpuE5ELNS1_3repE0EEENS1_30default_config_static_selectorELNS0_4arch9wavefront6targetE1EEEvT1_,"axG",@progbits,_ZN7rocprim17ROCPRIM_400000_NS6detail17trampoline_kernelINS0_14default_configENS1_20scan_config_selectorI11FixedVectorIiLj1EEEEZZNS1_9scan_implILNS1_25lookback_scan_determinismE0ELb0ELb0ES3_N6thrust23THRUST_200600_302600_NS6detail15normal_iteratorINSB_10device_ptrIS6_EEEESG_S6_NSB_4plusIvEES6_EEDaPvRmT3_T4_T5_mT6_P12ihipStream_tbENKUlT_T0_E_clISt17integral_constantIbLb0EESW_EEDaSR_SS_EUlSR_E_NS1_11comp_targetILNS1_3genE10ELNS1_11target_archE1201ELNS1_3gpuE5ELNS1_3repE0EEENS1_30default_config_static_selectorELNS0_4arch9wavefront6targetE1EEEvT1_,comdat
.Lfunc_end6384:
	.size	_ZN7rocprim17ROCPRIM_400000_NS6detail17trampoline_kernelINS0_14default_configENS1_20scan_config_selectorI11FixedVectorIiLj1EEEEZZNS1_9scan_implILNS1_25lookback_scan_determinismE0ELb0ELb0ES3_N6thrust23THRUST_200600_302600_NS6detail15normal_iteratorINSB_10device_ptrIS6_EEEESG_S6_NSB_4plusIvEES6_EEDaPvRmT3_T4_T5_mT6_P12ihipStream_tbENKUlT_T0_E_clISt17integral_constantIbLb0EESW_EEDaSR_SS_EUlSR_E_NS1_11comp_targetILNS1_3genE10ELNS1_11target_archE1201ELNS1_3gpuE5ELNS1_3repE0EEENS1_30default_config_static_selectorELNS0_4arch9wavefront6targetE1EEEvT1_, .Lfunc_end6384-_ZN7rocprim17ROCPRIM_400000_NS6detail17trampoline_kernelINS0_14default_configENS1_20scan_config_selectorI11FixedVectorIiLj1EEEEZZNS1_9scan_implILNS1_25lookback_scan_determinismE0ELb0ELb0ES3_N6thrust23THRUST_200600_302600_NS6detail15normal_iteratorINSB_10device_ptrIS6_EEEESG_S6_NSB_4plusIvEES6_EEDaPvRmT3_T4_T5_mT6_P12ihipStream_tbENKUlT_T0_E_clISt17integral_constantIbLb0EESW_EEDaSR_SS_EUlSR_E_NS1_11comp_targetILNS1_3genE10ELNS1_11target_archE1201ELNS1_3gpuE5ELNS1_3repE0EEENS1_30default_config_static_selectorELNS0_4arch9wavefront6targetE1EEEvT1_
                                        ; -- End function
	.section	.AMDGPU.csdata,"",@progbits
; Kernel info:
; codeLenInByte = 0
; NumSgprs: 4
; NumVgprs: 0
; NumAgprs: 0
; TotalNumVgprs: 0
; ScratchSize: 0
; MemoryBound: 0
; FloatMode: 240
; IeeeMode: 1
; LDSByteSize: 0 bytes/workgroup (compile time only)
; SGPRBlocks: 0
; VGPRBlocks: 0
; NumSGPRsForWavesPerEU: 4
; NumVGPRsForWavesPerEU: 1
; AccumOffset: 4
; Occupancy: 8
; WaveLimiterHint : 0
; COMPUTE_PGM_RSRC2:SCRATCH_EN: 0
; COMPUTE_PGM_RSRC2:USER_SGPR: 6
; COMPUTE_PGM_RSRC2:TRAP_HANDLER: 0
; COMPUTE_PGM_RSRC2:TGID_X_EN: 1
; COMPUTE_PGM_RSRC2:TGID_Y_EN: 0
; COMPUTE_PGM_RSRC2:TGID_Z_EN: 0
; COMPUTE_PGM_RSRC2:TIDIG_COMP_CNT: 0
; COMPUTE_PGM_RSRC3_GFX90A:ACCUM_OFFSET: 0
; COMPUTE_PGM_RSRC3_GFX90A:TG_SPLIT: 0
	.section	.text._ZN7rocprim17ROCPRIM_400000_NS6detail17trampoline_kernelINS0_14default_configENS1_20scan_config_selectorI11FixedVectorIiLj1EEEEZZNS1_9scan_implILNS1_25lookback_scan_determinismE0ELb0ELb0ES3_N6thrust23THRUST_200600_302600_NS6detail15normal_iteratorINSB_10device_ptrIS6_EEEESG_S6_NSB_4plusIvEES6_EEDaPvRmT3_T4_T5_mT6_P12ihipStream_tbENKUlT_T0_E_clISt17integral_constantIbLb0EESW_EEDaSR_SS_EUlSR_E_NS1_11comp_targetILNS1_3genE10ELNS1_11target_archE1200ELNS1_3gpuE4ELNS1_3repE0EEENS1_30default_config_static_selectorELNS0_4arch9wavefront6targetE1EEEvT1_,"axG",@progbits,_ZN7rocprim17ROCPRIM_400000_NS6detail17trampoline_kernelINS0_14default_configENS1_20scan_config_selectorI11FixedVectorIiLj1EEEEZZNS1_9scan_implILNS1_25lookback_scan_determinismE0ELb0ELb0ES3_N6thrust23THRUST_200600_302600_NS6detail15normal_iteratorINSB_10device_ptrIS6_EEEESG_S6_NSB_4plusIvEES6_EEDaPvRmT3_T4_T5_mT6_P12ihipStream_tbENKUlT_T0_E_clISt17integral_constantIbLb0EESW_EEDaSR_SS_EUlSR_E_NS1_11comp_targetILNS1_3genE10ELNS1_11target_archE1200ELNS1_3gpuE4ELNS1_3repE0EEENS1_30default_config_static_selectorELNS0_4arch9wavefront6targetE1EEEvT1_,comdat
	.protected	_ZN7rocprim17ROCPRIM_400000_NS6detail17trampoline_kernelINS0_14default_configENS1_20scan_config_selectorI11FixedVectorIiLj1EEEEZZNS1_9scan_implILNS1_25lookback_scan_determinismE0ELb0ELb0ES3_N6thrust23THRUST_200600_302600_NS6detail15normal_iteratorINSB_10device_ptrIS6_EEEESG_S6_NSB_4plusIvEES6_EEDaPvRmT3_T4_T5_mT6_P12ihipStream_tbENKUlT_T0_E_clISt17integral_constantIbLb0EESW_EEDaSR_SS_EUlSR_E_NS1_11comp_targetILNS1_3genE10ELNS1_11target_archE1200ELNS1_3gpuE4ELNS1_3repE0EEENS1_30default_config_static_selectorELNS0_4arch9wavefront6targetE1EEEvT1_ ; -- Begin function _ZN7rocprim17ROCPRIM_400000_NS6detail17trampoline_kernelINS0_14default_configENS1_20scan_config_selectorI11FixedVectorIiLj1EEEEZZNS1_9scan_implILNS1_25lookback_scan_determinismE0ELb0ELb0ES3_N6thrust23THRUST_200600_302600_NS6detail15normal_iteratorINSB_10device_ptrIS6_EEEESG_S6_NSB_4plusIvEES6_EEDaPvRmT3_T4_T5_mT6_P12ihipStream_tbENKUlT_T0_E_clISt17integral_constantIbLb0EESW_EEDaSR_SS_EUlSR_E_NS1_11comp_targetILNS1_3genE10ELNS1_11target_archE1200ELNS1_3gpuE4ELNS1_3repE0EEENS1_30default_config_static_selectorELNS0_4arch9wavefront6targetE1EEEvT1_
	.globl	_ZN7rocprim17ROCPRIM_400000_NS6detail17trampoline_kernelINS0_14default_configENS1_20scan_config_selectorI11FixedVectorIiLj1EEEEZZNS1_9scan_implILNS1_25lookback_scan_determinismE0ELb0ELb0ES3_N6thrust23THRUST_200600_302600_NS6detail15normal_iteratorINSB_10device_ptrIS6_EEEESG_S6_NSB_4plusIvEES6_EEDaPvRmT3_T4_T5_mT6_P12ihipStream_tbENKUlT_T0_E_clISt17integral_constantIbLb0EESW_EEDaSR_SS_EUlSR_E_NS1_11comp_targetILNS1_3genE10ELNS1_11target_archE1200ELNS1_3gpuE4ELNS1_3repE0EEENS1_30default_config_static_selectorELNS0_4arch9wavefront6targetE1EEEvT1_
	.p2align	8
	.type	_ZN7rocprim17ROCPRIM_400000_NS6detail17trampoline_kernelINS0_14default_configENS1_20scan_config_selectorI11FixedVectorIiLj1EEEEZZNS1_9scan_implILNS1_25lookback_scan_determinismE0ELb0ELb0ES3_N6thrust23THRUST_200600_302600_NS6detail15normal_iteratorINSB_10device_ptrIS6_EEEESG_S6_NSB_4plusIvEES6_EEDaPvRmT3_T4_T5_mT6_P12ihipStream_tbENKUlT_T0_E_clISt17integral_constantIbLb0EESW_EEDaSR_SS_EUlSR_E_NS1_11comp_targetILNS1_3genE10ELNS1_11target_archE1200ELNS1_3gpuE4ELNS1_3repE0EEENS1_30default_config_static_selectorELNS0_4arch9wavefront6targetE1EEEvT1_,@function
_ZN7rocprim17ROCPRIM_400000_NS6detail17trampoline_kernelINS0_14default_configENS1_20scan_config_selectorI11FixedVectorIiLj1EEEEZZNS1_9scan_implILNS1_25lookback_scan_determinismE0ELb0ELb0ES3_N6thrust23THRUST_200600_302600_NS6detail15normal_iteratorINSB_10device_ptrIS6_EEEESG_S6_NSB_4plusIvEES6_EEDaPvRmT3_T4_T5_mT6_P12ihipStream_tbENKUlT_T0_E_clISt17integral_constantIbLb0EESW_EEDaSR_SS_EUlSR_E_NS1_11comp_targetILNS1_3genE10ELNS1_11target_archE1200ELNS1_3gpuE4ELNS1_3repE0EEENS1_30default_config_static_selectorELNS0_4arch9wavefront6targetE1EEEvT1_: ; @_ZN7rocprim17ROCPRIM_400000_NS6detail17trampoline_kernelINS0_14default_configENS1_20scan_config_selectorI11FixedVectorIiLj1EEEEZZNS1_9scan_implILNS1_25lookback_scan_determinismE0ELb0ELb0ES3_N6thrust23THRUST_200600_302600_NS6detail15normal_iteratorINSB_10device_ptrIS6_EEEESG_S6_NSB_4plusIvEES6_EEDaPvRmT3_T4_T5_mT6_P12ihipStream_tbENKUlT_T0_E_clISt17integral_constantIbLb0EESW_EEDaSR_SS_EUlSR_E_NS1_11comp_targetILNS1_3genE10ELNS1_11target_archE1200ELNS1_3gpuE4ELNS1_3repE0EEENS1_30default_config_static_selectorELNS0_4arch9wavefront6targetE1EEEvT1_
; %bb.0:
	.section	.rodata,"a",@progbits
	.p2align	6, 0x0
	.amdhsa_kernel _ZN7rocprim17ROCPRIM_400000_NS6detail17trampoline_kernelINS0_14default_configENS1_20scan_config_selectorI11FixedVectorIiLj1EEEEZZNS1_9scan_implILNS1_25lookback_scan_determinismE0ELb0ELb0ES3_N6thrust23THRUST_200600_302600_NS6detail15normal_iteratorINSB_10device_ptrIS6_EEEESG_S6_NSB_4plusIvEES6_EEDaPvRmT3_T4_T5_mT6_P12ihipStream_tbENKUlT_T0_E_clISt17integral_constantIbLb0EESW_EEDaSR_SS_EUlSR_E_NS1_11comp_targetILNS1_3genE10ELNS1_11target_archE1200ELNS1_3gpuE4ELNS1_3repE0EEENS1_30default_config_static_selectorELNS0_4arch9wavefront6targetE1EEEvT1_
		.amdhsa_group_segment_fixed_size 0
		.amdhsa_private_segment_fixed_size 0
		.amdhsa_kernarg_size 96
		.amdhsa_user_sgpr_count 6
		.amdhsa_user_sgpr_private_segment_buffer 1
		.amdhsa_user_sgpr_dispatch_ptr 0
		.amdhsa_user_sgpr_queue_ptr 0
		.amdhsa_user_sgpr_kernarg_segment_ptr 1
		.amdhsa_user_sgpr_dispatch_id 0
		.amdhsa_user_sgpr_flat_scratch_init 0
		.amdhsa_user_sgpr_kernarg_preload_length 0
		.amdhsa_user_sgpr_kernarg_preload_offset 0
		.amdhsa_user_sgpr_private_segment_size 0
		.amdhsa_uses_dynamic_stack 0
		.amdhsa_system_sgpr_private_segment_wavefront_offset 0
		.amdhsa_system_sgpr_workgroup_id_x 1
		.amdhsa_system_sgpr_workgroup_id_y 0
		.amdhsa_system_sgpr_workgroup_id_z 0
		.amdhsa_system_sgpr_workgroup_info 0
		.amdhsa_system_vgpr_workitem_id 0
		.amdhsa_next_free_vgpr 1
		.amdhsa_next_free_sgpr 0
		.amdhsa_accum_offset 4
		.amdhsa_reserve_vcc 0
		.amdhsa_reserve_flat_scratch 0
		.amdhsa_float_round_mode_32 0
		.amdhsa_float_round_mode_16_64 0
		.amdhsa_float_denorm_mode_32 3
		.amdhsa_float_denorm_mode_16_64 3
		.amdhsa_dx10_clamp 1
		.amdhsa_ieee_mode 1
		.amdhsa_fp16_overflow 0
		.amdhsa_tg_split 0
		.amdhsa_exception_fp_ieee_invalid_op 0
		.amdhsa_exception_fp_denorm_src 0
		.amdhsa_exception_fp_ieee_div_zero 0
		.amdhsa_exception_fp_ieee_overflow 0
		.amdhsa_exception_fp_ieee_underflow 0
		.amdhsa_exception_fp_ieee_inexact 0
		.amdhsa_exception_int_div_zero 0
	.end_amdhsa_kernel
	.section	.text._ZN7rocprim17ROCPRIM_400000_NS6detail17trampoline_kernelINS0_14default_configENS1_20scan_config_selectorI11FixedVectorIiLj1EEEEZZNS1_9scan_implILNS1_25lookback_scan_determinismE0ELb0ELb0ES3_N6thrust23THRUST_200600_302600_NS6detail15normal_iteratorINSB_10device_ptrIS6_EEEESG_S6_NSB_4plusIvEES6_EEDaPvRmT3_T4_T5_mT6_P12ihipStream_tbENKUlT_T0_E_clISt17integral_constantIbLb0EESW_EEDaSR_SS_EUlSR_E_NS1_11comp_targetILNS1_3genE10ELNS1_11target_archE1200ELNS1_3gpuE4ELNS1_3repE0EEENS1_30default_config_static_selectorELNS0_4arch9wavefront6targetE1EEEvT1_,"axG",@progbits,_ZN7rocprim17ROCPRIM_400000_NS6detail17trampoline_kernelINS0_14default_configENS1_20scan_config_selectorI11FixedVectorIiLj1EEEEZZNS1_9scan_implILNS1_25lookback_scan_determinismE0ELb0ELb0ES3_N6thrust23THRUST_200600_302600_NS6detail15normal_iteratorINSB_10device_ptrIS6_EEEESG_S6_NSB_4plusIvEES6_EEDaPvRmT3_T4_T5_mT6_P12ihipStream_tbENKUlT_T0_E_clISt17integral_constantIbLb0EESW_EEDaSR_SS_EUlSR_E_NS1_11comp_targetILNS1_3genE10ELNS1_11target_archE1200ELNS1_3gpuE4ELNS1_3repE0EEENS1_30default_config_static_selectorELNS0_4arch9wavefront6targetE1EEEvT1_,comdat
.Lfunc_end6385:
	.size	_ZN7rocprim17ROCPRIM_400000_NS6detail17trampoline_kernelINS0_14default_configENS1_20scan_config_selectorI11FixedVectorIiLj1EEEEZZNS1_9scan_implILNS1_25lookback_scan_determinismE0ELb0ELb0ES3_N6thrust23THRUST_200600_302600_NS6detail15normal_iteratorINSB_10device_ptrIS6_EEEESG_S6_NSB_4plusIvEES6_EEDaPvRmT3_T4_T5_mT6_P12ihipStream_tbENKUlT_T0_E_clISt17integral_constantIbLb0EESW_EEDaSR_SS_EUlSR_E_NS1_11comp_targetILNS1_3genE10ELNS1_11target_archE1200ELNS1_3gpuE4ELNS1_3repE0EEENS1_30default_config_static_selectorELNS0_4arch9wavefront6targetE1EEEvT1_, .Lfunc_end6385-_ZN7rocprim17ROCPRIM_400000_NS6detail17trampoline_kernelINS0_14default_configENS1_20scan_config_selectorI11FixedVectorIiLj1EEEEZZNS1_9scan_implILNS1_25lookback_scan_determinismE0ELb0ELb0ES3_N6thrust23THRUST_200600_302600_NS6detail15normal_iteratorINSB_10device_ptrIS6_EEEESG_S6_NSB_4plusIvEES6_EEDaPvRmT3_T4_T5_mT6_P12ihipStream_tbENKUlT_T0_E_clISt17integral_constantIbLb0EESW_EEDaSR_SS_EUlSR_E_NS1_11comp_targetILNS1_3genE10ELNS1_11target_archE1200ELNS1_3gpuE4ELNS1_3repE0EEENS1_30default_config_static_selectorELNS0_4arch9wavefront6targetE1EEEvT1_
                                        ; -- End function
	.section	.AMDGPU.csdata,"",@progbits
; Kernel info:
; codeLenInByte = 0
; NumSgprs: 4
; NumVgprs: 0
; NumAgprs: 0
; TotalNumVgprs: 0
; ScratchSize: 0
; MemoryBound: 0
; FloatMode: 240
; IeeeMode: 1
; LDSByteSize: 0 bytes/workgroup (compile time only)
; SGPRBlocks: 0
; VGPRBlocks: 0
; NumSGPRsForWavesPerEU: 4
; NumVGPRsForWavesPerEU: 1
; AccumOffset: 4
; Occupancy: 8
; WaveLimiterHint : 0
; COMPUTE_PGM_RSRC2:SCRATCH_EN: 0
; COMPUTE_PGM_RSRC2:USER_SGPR: 6
; COMPUTE_PGM_RSRC2:TRAP_HANDLER: 0
; COMPUTE_PGM_RSRC2:TGID_X_EN: 1
; COMPUTE_PGM_RSRC2:TGID_Y_EN: 0
; COMPUTE_PGM_RSRC2:TGID_Z_EN: 0
; COMPUTE_PGM_RSRC2:TIDIG_COMP_CNT: 0
; COMPUTE_PGM_RSRC3_GFX90A:ACCUM_OFFSET: 0
; COMPUTE_PGM_RSRC3_GFX90A:TG_SPLIT: 0
	.section	.text._ZN7rocprim17ROCPRIM_400000_NS6detail17trampoline_kernelINS0_14default_configENS1_20scan_config_selectorI11FixedVectorIiLj1EEEEZZNS1_9scan_implILNS1_25lookback_scan_determinismE0ELb0ELb0ES3_N6thrust23THRUST_200600_302600_NS6detail15normal_iteratorINSB_10device_ptrIS6_EEEESG_S6_NSB_4plusIvEES6_EEDaPvRmT3_T4_T5_mT6_P12ihipStream_tbENKUlT_T0_E_clISt17integral_constantIbLb0EESW_EEDaSR_SS_EUlSR_E_NS1_11comp_targetILNS1_3genE9ELNS1_11target_archE1100ELNS1_3gpuE3ELNS1_3repE0EEENS1_30default_config_static_selectorELNS0_4arch9wavefront6targetE1EEEvT1_,"axG",@progbits,_ZN7rocprim17ROCPRIM_400000_NS6detail17trampoline_kernelINS0_14default_configENS1_20scan_config_selectorI11FixedVectorIiLj1EEEEZZNS1_9scan_implILNS1_25lookback_scan_determinismE0ELb0ELb0ES3_N6thrust23THRUST_200600_302600_NS6detail15normal_iteratorINSB_10device_ptrIS6_EEEESG_S6_NSB_4plusIvEES6_EEDaPvRmT3_T4_T5_mT6_P12ihipStream_tbENKUlT_T0_E_clISt17integral_constantIbLb0EESW_EEDaSR_SS_EUlSR_E_NS1_11comp_targetILNS1_3genE9ELNS1_11target_archE1100ELNS1_3gpuE3ELNS1_3repE0EEENS1_30default_config_static_selectorELNS0_4arch9wavefront6targetE1EEEvT1_,comdat
	.protected	_ZN7rocprim17ROCPRIM_400000_NS6detail17trampoline_kernelINS0_14default_configENS1_20scan_config_selectorI11FixedVectorIiLj1EEEEZZNS1_9scan_implILNS1_25lookback_scan_determinismE0ELb0ELb0ES3_N6thrust23THRUST_200600_302600_NS6detail15normal_iteratorINSB_10device_ptrIS6_EEEESG_S6_NSB_4plusIvEES6_EEDaPvRmT3_T4_T5_mT6_P12ihipStream_tbENKUlT_T0_E_clISt17integral_constantIbLb0EESW_EEDaSR_SS_EUlSR_E_NS1_11comp_targetILNS1_3genE9ELNS1_11target_archE1100ELNS1_3gpuE3ELNS1_3repE0EEENS1_30default_config_static_selectorELNS0_4arch9wavefront6targetE1EEEvT1_ ; -- Begin function _ZN7rocprim17ROCPRIM_400000_NS6detail17trampoline_kernelINS0_14default_configENS1_20scan_config_selectorI11FixedVectorIiLj1EEEEZZNS1_9scan_implILNS1_25lookback_scan_determinismE0ELb0ELb0ES3_N6thrust23THRUST_200600_302600_NS6detail15normal_iteratorINSB_10device_ptrIS6_EEEESG_S6_NSB_4plusIvEES6_EEDaPvRmT3_T4_T5_mT6_P12ihipStream_tbENKUlT_T0_E_clISt17integral_constantIbLb0EESW_EEDaSR_SS_EUlSR_E_NS1_11comp_targetILNS1_3genE9ELNS1_11target_archE1100ELNS1_3gpuE3ELNS1_3repE0EEENS1_30default_config_static_selectorELNS0_4arch9wavefront6targetE1EEEvT1_
	.globl	_ZN7rocprim17ROCPRIM_400000_NS6detail17trampoline_kernelINS0_14default_configENS1_20scan_config_selectorI11FixedVectorIiLj1EEEEZZNS1_9scan_implILNS1_25lookback_scan_determinismE0ELb0ELb0ES3_N6thrust23THRUST_200600_302600_NS6detail15normal_iteratorINSB_10device_ptrIS6_EEEESG_S6_NSB_4plusIvEES6_EEDaPvRmT3_T4_T5_mT6_P12ihipStream_tbENKUlT_T0_E_clISt17integral_constantIbLb0EESW_EEDaSR_SS_EUlSR_E_NS1_11comp_targetILNS1_3genE9ELNS1_11target_archE1100ELNS1_3gpuE3ELNS1_3repE0EEENS1_30default_config_static_selectorELNS0_4arch9wavefront6targetE1EEEvT1_
	.p2align	8
	.type	_ZN7rocprim17ROCPRIM_400000_NS6detail17trampoline_kernelINS0_14default_configENS1_20scan_config_selectorI11FixedVectorIiLj1EEEEZZNS1_9scan_implILNS1_25lookback_scan_determinismE0ELb0ELb0ES3_N6thrust23THRUST_200600_302600_NS6detail15normal_iteratorINSB_10device_ptrIS6_EEEESG_S6_NSB_4plusIvEES6_EEDaPvRmT3_T4_T5_mT6_P12ihipStream_tbENKUlT_T0_E_clISt17integral_constantIbLb0EESW_EEDaSR_SS_EUlSR_E_NS1_11comp_targetILNS1_3genE9ELNS1_11target_archE1100ELNS1_3gpuE3ELNS1_3repE0EEENS1_30default_config_static_selectorELNS0_4arch9wavefront6targetE1EEEvT1_,@function
_ZN7rocprim17ROCPRIM_400000_NS6detail17trampoline_kernelINS0_14default_configENS1_20scan_config_selectorI11FixedVectorIiLj1EEEEZZNS1_9scan_implILNS1_25lookback_scan_determinismE0ELb0ELb0ES3_N6thrust23THRUST_200600_302600_NS6detail15normal_iteratorINSB_10device_ptrIS6_EEEESG_S6_NSB_4plusIvEES6_EEDaPvRmT3_T4_T5_mT6_P12ihipStream_tbENKUlT_T0_E_clISt17integral_constantIbLb0EESW_EEDaSR_SS_EUlSR_E_NS1_11comp_targetILNS1_3genE9ELNS1_11target_archE1100ELNS1_3gpuE3ELNS1_3repE0EEENS1_30default_config_static_selectorELNS0_4arch9wavefront6targetE1EEEvT1_: ; @_ZN7rocprim17ROCPRIM_400000_NS6detail17trampoline_kernelINS0_14default_configENS1_20scan_config_selectorI11FixedVectorIiLj1EEEEZZNS1_9scan_implILNS1_25lookback_scan_determinismE0ELb0ELb0ES3_N6thrust23THRUST_200600_302600_NS6detail15normal_iteratorINSB_10device_ptrIS6_EEEESG_S6_NSB_4plusIvEES6_EEDaPvRmT3_T4_T5_mT6_P12ihipStream_tbENKUlT_T0_E_clISt17integral_constantIbLb0EESW_EEDaSR_SS_EUlSR_E_NS1_11comp_targetILNS1_3genE9ELNS1_11target_archE1100ELNS1_3gpuE3ELNS1_3repE0EEENS1_30default_config_static_selectorELNS0_4arch9wavefront6targetE1EEEvT1_
; %bb.0:
	.section	.rodata,"a",@progbits
	.p2align	6, 0x0
	.amdhsa_kernel _ZN7rocprim17ROCPRIM_400000_NS6detail17trampoline_kernelINS0_14default_configENS1_20scan_config_selectorI11FixedVectorIiLj1EEEEZZNS1_9scan_implILNS1_25lookback_scan_determinismE0ELb0ELb0ES3_N6thrust23THRUST_200600_302600_NS6detail15normal_iteratorINSB_10device_ptrIS6_EEEESG_S6_NSB_4plusIvEES6_EEDaPvRmT3_T4_T5_mT6_P12ihipStream_tbENKUlT_T0_E_clISt17integral_constantIbLb0EESW_EEDaSR_SS_EUlSR_E_NS1_11comp_targetILNS1_3genE9ELNS1_11target_archE1100ELNS1_3gpuE3ELNS1_3repE0EEENS1_30default_config_static_selectorELNS0_4arch9wavefront6targetE1EEEvT1_
		.amdhsa_group_segment_fixed_size 0
		.amdhsa_private_segment_fixed_size 0
		.amdhsa_kernarg_size 96
		.amdhsa_user_sgpr_count 6
		.amdhsa_user_sgpr_private_segment_buffer 1
		.amdhsa_user_sgpr_dispatch_ptr 0
		.amdhsa_user_sgpr_queue_ptr 0
		.amdhsa_user_sgpr_kernarg_segment_ptr 1
		.amdhsa_user_sgpr_dispatch_id 0
		.amdhsa_user_sgpr_flat_scratch_init 0
		.amdhsa_user_sgpr_kernarg_preload_length 0
		.amdhsa_user_sgpr_kernarg_preload_offset 0
		.amdhsa_user_sgpr_private_segment_size 0
		.amdhsa_uses_dynamic_stack 0
		.amdhsa_system_sgpr_private_segment_wavefront_offset 0
		.amdhsa_system_sgpr_workgroup_id_x 1
		.amdhsa_system_sgpr_workgroup_id_y 0
		.amdhsa_system_sgpr_workgroup_id_z 0
		.amdhsa_system_sgpr_workgroup_info 0
		.amdhsa_system_vgpr_workitem_id 0
		.amdhsa_next_free_vgpr 1
		.amdhsa_next_free_sgpr 0
		.amdhsa_accum_offset 4
		.amdhsa_reserve_vcc 0
		.amdhsa_reserve_flat_scratch 0
		.amdhsa_float_round_mode_32 0
		.amdhsa_float_round_mode_16_64 0
		.amdhsa_float_denorm_mode_32 3
		.amdhsa_float_denorm_mode_16_64 3
		.amdhsa_dx10_clamp 1
		.amdhsa_ieee_mode 1
		.amdhsa_fp16_overflow 0
		.amdhsa_tg_split 0
		.amdhsa_exception_fp_ieee_invalid_op 0
		.amdhsa_exception_fp_denorm_src 0
		.amdhsa_exception_fp_ieee_div_zero 0
		.amdhsa_exception_fp_ieee_overflow 0
		.amdhsa_exception_fp_ieee_underflow 0
		.amdhsa_exception_fp_ieee_inexact 0
		.amdhsa_exception_int_div_zero 0
	.end_amdhsa_kernel
	.section	.text._ZN7rocprim17ROCPRIM_400000_NS6detail17trampoline_kernelINS0_14default_configENS1_20scan_config_selectorI11FixedVectorIiLj1EEEEZZNS1_9scan_implILNS1_25lookback_scan_determinismE0ELb0ELb0ES3_N6thrust23THRUST_200600_302600_NS6detail15normal_iteratorINSB_10device_ptrIS6_EEEESG_S6_NSB_4plusIvEES6_EEDaPvRmT3_T4_T5_mT6_P12ihipStream_tbENKUlT_T0_E_clISt17integral_constantIbLb0EESW_EEDaSR_SS_EUlSR_E_NS1_11comp_targetILNS1_3genE9ELNS1_11target_archE1100ELNS1_3gpuE3ELNS1_3repE0EEENS1_30default_config_static_selectorELNS0_4arch9wavefront6targetE1EEEvT1_,"axG",@progbits,_ZN7rocprim17ROCPRIM_400000_NS6detail17trampoline_kernelINS0_14default_configENS1_20scan_config_selectorI11FixedVectorIiLj1EEEEZZNS1_9scan_implILNS1_25lookback_scan_determinismE0ELb0ELb0ES3_N6thrust23THRUST_200600_302600_NS6detail15normal_iteratorINSB_10device_ptrIS6_EEEESG_S6_NSB_4plusIvEES6_EEDaPvRmT3_T4_T5_mT6_P12ihipStream_tbENKUlT_T0_E_clISt17integral_constantIbLb0EESW_EEDaSR_SS_EUlSR_E_NS1_11comp_targetILNS1_3genE9ELNS1_11target_archE1100ELNS1_3gpuE3ELNS1_3repE0EEENS1_30default_config_static_selectorELNS0_4arch9wavefront6targetE1EEEvT1_,comdat
.Lfunc_end6386:
	.size	_ZN7rocprim17ROCPRIM_400000_NS6detail17trampoline_kernelINS0_14default_configENS1_20scan_config_selectorI11FixedVectorIiLj1EEEEZZNS1_9scan_implILNS1_25lookback_scan_determinismE0ELb0ELb0ES3_N6thrust23THRUST_200600_302600_NS6detail15normal_iteratorINSB_10device_ptrIS6_EEEESG_S6_NSB_4plusIvEES6_EEDaPvRmT3_T4_T5_mT6_P12ihipStream_tbENKUlT_T0_E_clISt17integral_constantIbLb0EESW_EEDaSR_SS_EUlSR_E_NS1_11comp_targetILNS1_3genE9ELNS1_11target_archE1100ELNS1_3gpuE3ELNS1_3repE0EEENS1_30default_config_static_selectorELNS0_4arch9wavefront6targetE1EEEvT1_, .Lfunc_end6386-_ZN7rocprim17ROCPRIM_400000_NS6detail17trampoline_kernelINS0_14default_configENS1_20scan_config_selectorI11FixedVectorIiLj1EEEEZZNS1_9scan_implILNS1_25lookback_scan_determinismE0ELb0ELb0ES3_N6thrust23THRUST_200600_302600_NS6detail15normal_iteratorINSB_10device_ptrIS6_EEEESG_S6_NSB_4plusIvEES6_EEDaPvRmT3_T4_T5_mT6_P12ihipStream_tbENKUlT_T0_E_clISt17integral_constantIbLb0EESW_EEDaSR_SS_EUlSR_E_NS1_11comp_targetILNS1_3genE9ELNS1_11target_archE1100ELNS1_3gpuE3ELNS1_3repE0EEENS1_30default_config_static_selectorELNS0_4arch9wavefront6targetE1EEEvT1_
                                        ; -- End function
	.section	.AMDGPU.csdata,"",@progbits
; Kernel info:
; codeLenInByte = 0
; NumSgprs: 4
; NumVgprs: 0
; NumAgprs: 0
; TotalNumVgprs: 0
; ScratchSize: 0
; MemoryBound: 0
; FloatMode: 240
; IeeeMode: 1
; LDSByteSize: 0 bytes/workgroup (compile time only)
; SGPRBlocks: 0
; VGPRBlocks: 0
; NumSGPRsForWavesPerEU: 4
; NumVGPRsForWavesPerEU: 1
; AccumOffset: 4
; Occupancy: 8
; WaveLimiterHint : 0
; COMPUTE_PGM_RSRC2:SCRATCH_EN: 0
; COMPUTE_PGM_RSRC2:USER_SGPR: 6
; COMPUTE_PGM_RSRC2:TRAP_HANDLER: 0
; COMPUTE_PGM_RSRC2:TGID_X_EN: 1
; COMPUTE_PGM_RSRC2:TGID_Y_EN: 0
; COMPUTE_PGM_RSRC2:TGID_Z_EN: 0
; COMPUTE_PGM_RSRC2:TIDIG_COMP_CNT: 0
; COMPUTE_PGM_RSRC3_GFX90A:ACCUM_OFFSET: 0
; COMPUTE_PGM_RSRC3_GFX90A:TG_SPLIT: 0
	.section	.text._ZN7rocprim17ROCPRIM_400000_NS6detail17trampoline_kernelINS0_14default_configENS1_20scan_config_selectorI11FixedVectorIiLj1EEEEZZNS1_9scan_implILNS1_25lookback_scan_determinismE0ELb0ELb0ES3_N6thrust23THRUST_200600_302600_NS6detail15normal_iteratorINSB_10device_ptrIS6_EEEESG_S6_NSB_4plusIvEES6_EEDaPvRmT3_T4_T5_mT6_P12ihipStream_tbENKUlT_T0_E_clISt17integral_constantIbLb0EESW_EEDaSR_SS_EUlSR_E_NS1_11comp_targetILNS1_3genE8ELNS1_11target_archE1030ELNS1_3gpuE2ELNS1_3repE0EEENS1_30default_config_static_selectorELNS0_4arch9wavefront6targetE1EEEvT1_,"axG",@progbits,_ZN7rocprim17ROCPRIM_400000_NS6detail17trampoline_kernelINS0_14default_configENS1_20scan_config_selectorI11FixedVectorIiLj1EEEEZZNS1_9scan_implILNS1_25lookback_scan_determinismE0ELb0ELb0ES3_N6thrust23THRUST_200600_302600_NS6detail15normal_iteratorINSB_10device_ptrIS6_EEEESG_S6_NSB_4plusIvEES6_EEDaPvRmT3_T4_T5_mT6_P12ihipStream_tbENKUlT_T0_E_clISt17integral_constantIbLb0EESW_EEDaSR_SS_EUlSR_E_NS1_11comp_targetILNS1_3genE8ELNS1_11target_archE1030ELNS1_3gpuE2ELNS1_3repE0EEENS1_30default_config_static_selectorELNS0_4arch9wavefront6targetE1EEEvT1_,comdat
	.protected	_ZN7rocprim17ROCPRIM_400000_NS6detail17trampoline_kernelINS0_14default_configENS1_20scan_config_selectorI11FixedVectorIiLj1EEEEZZNS1_9scan_implILNS1_25lookback_scan_determinismE0ELb0ELb0ES3_N6thrust23THRUST_200600_302600_NS6detail15normal_iteratorINSB_10device_ptrIS6_EEEESG_S6_NSB_4plusIvEES6_EEDaPvRmT3_T4_T5_mT6_P12ihipStream_tbENKUlT_T0_E_clISt17integral_constantIbLb0EESW_EEDaSR_SS_EUlSR_E_NS1_11comp_targetILNS1_3genE8ELNS1_11target_archE1030ELNS1_3gpuE2ELNS1_3repE0EEENS1_30default_config_static_selectorELNS0_4arch9wavefront6targetE1EEEvT1_ ; -- Begin function _ZN7rocprim17ROCPRIM_400000_NS6detail17trampoline_kernelINS0_14default_configENS1_20scan_config_selectorI11FixedVectorIiLj1EEEEZZNS1_9scan_implILNS1_25lookback_scan_determinismE0ELb0ELb0ES3_N6thrust23THRUST_200600_302600_NS6detail15normal_iteratorINSB_10device_ptrIS6_EEEESG_S6_NSB_4plusIvEES6_EEDaPvRmT3_T4_T5_mT6_P12ihipStream_tbENKUlT_T0_E_clISt17integral_constantIbLb0EESW_EEDaSR_SS_EUlSR_E_NS1_11comp_targetILNS1_3genE8ELNS1_11target_archE1030ELNS1_3gpuE2ELNS1_3repE0EEENS1_30default_config_static_selectorELNS0_4arch9wavefront6targetE1EEEvT1_
	.globl	_ZN7rocprim17ROCPRIM_400000_NS6detail17trampoline_kernelINS0_14default_configENS1_20scan_config_selectorI11FixedVectorIiLj1EEEEZZNS1_9scan_implILNS1_25lookback_scan_determinismE0ELb0ELb0ES3_N6thrust23THRUST_200600_302600_NS6detail15normal_iteratorINSB_10device_ptrIS6_EEEESG_S6_NSB_4plusIvEES6_EEDaPvRmT3_T4_T5_mT6_P12ihipStream_tbENKUlT_T0_E_clISt17integral_constantIbLb0EESW_EEDaSR_SS_EUlSR_E_NS1_11comp_targetILNS1_3genE8ELNS1_11target_archE1030ELNS1_3gpuE2ELNS1_3repE0EEENS1_30default_config_static_selectorELNS0_4arch9wavefront6targetE1EEEvT1_
	.p2align	8
	.type	_ZN7rocprim17ROCPRIM_400000_NS6detail17trampoline_kernelINS0_14default_configENS1_20scan_config_selectorI11FixedVectorIiLj1EEEEZZNS1_9scan_implILNS1_25lookback_scan_determinismE0ELb0ELb0ES3_N6thrust23THRUST_200600_302600_NS6detail15normal_iteratorINSB_10device_ptrIS6_EEEESG_S6_NSB_4plusIvEES6_EEDaPvRmT3_T4_T5_mT6_P12ihipStream_tbENKUlT_T0_E_clISt17integral_constantIbLb0EESW_EEDaSR_SS_EUlSR_E_NS1_11comp_targetILNS1_3genE8ELNS1_11target_archE1030ELNS1_3gpuE2ELNS1_3repE0EEENS1_30default_config_static_selectorELNS0_4arch9wavefront6targetE1EEEvT1_,@function
_ZN7rocprim17ROCPRIM_400000_NS6detail17trampoline_kernelINS0_14default_configENS1_20scan_config_selectorI11FixedVectorIiLj1EEEEZZNS1_9scan_implILNS1_25lookback_scan_determinismE0ELb0ELb0ES3_N6thrust23THRUST_200600_302600_NS6detail15normal_iteratorINSB_10device_ptrIS6_EEEESG_S6_NSB_4plusIvEES6_EEDaPvRmT3_T4_T5_mT6_P12ihipStream_tbENKUlT_T0_E_clISt17integral_constantIbLb0EESW_EEDaSR_SS_EUlSR_E_NS1_11comp_targetILNS1_3genE8ELNS1_11target_archE1030ELNS1_3gpuE2ELNS1_3repE0EEENS1_30default_config_static_selectorELNS0_4arch9wavefront6targetE1EEEvT1_: ; @_ZN7rocprim17ROCPRIM_400000_NS6detail17trampoline_kernelINS0_14default_configENS1_20scan_config_selectorI11FixedVectorIiLj1EEEEZZNS1_9scan_implILNS1_25lookback_scan_determinismE0ELb0ELb0ES3_N6thrust23THRUST_200600_302600_NS6detail15normal_iteratorINSB_10device_ptrIS6_EEEESG_S6_NSB_4plusIvEES6_EEDaPvRmT3_T4_T5_mT6_P12ihipStream_tbENKUlT_T0_E_clISt17integral_constantIbLb0EESW_EEDaSR_SS_EUlSR_E_NS1_11comp_targetILNS1_3genE8ELNS1_11target_archE1030ELNS1_3gpuE2ELNS1_3repE0EEENS1_30default_config_static_selectorELNS0_4arch9wavefront6targetE1EEEvT1_
; %bb.0:
	.section	.rodata,"a",@progbits
	.p2align	6, 0x0
	.amdhsa_kernel _ZN7rocprim17ROCPRIM_400000_NS6detail17trampoline_kernelINS0_14default_configENS1_20scan_config_selectorI11FixedVectorIiLj1EEEEZZNS1_9scan_implILNS1_25lookback_scan_determinismE0ELb0ELb0ES3_N6thrust23THRUST_200600_302600_NS6detail15normal_iteratorINSB_10device_ptrIS6_EEEESG_S6_NSB_4plusIvEES6_EEDaPvRmT3_T4_T5_mT6_P12ihipStream_tbENKUlT_T0_E_clISt17integral_constantIbLb0EESW_EEDaSR_SS_EUlSR_E_NS1_11comp_targetILNS1_3genE8ELNS1_11target_archE1030ELNS1_3gpuE2ELNS1_3repE0EEENS1_30default_config_static_selectorELNS0_4arch9wavefront6targetE1EEEvT1_
		.amdhsa_group_segment_fixed_size 0
		.amdhsa_private_segment_fixed_size 0
		.amdhsa_kernarg_size 96
		.amdhsa_user_sgpr_count 6
		.amdhsa_user_sgpr_private_segment_buffer 1
		.amdhsa_user_sgpr_dispatch_ptr 0
		.amdhsa_user_sgpr_queue_ptr 0
		.amdhsa_user_sgpr_kernarg_segment_ptr 1
		.amdhsa_user_sgpr_dispatch_id 0
		.amdhsa_user_sgpr_flat_scratch_init 0
		.amdhsa_user_sgpr_kernarg_preload_length 0
		.amdhsa_user_sgpr_kernarg_preload_offset 0
		.amdhsa_user_sgpr_private_segment_size 0
		.amdhsa_uses_dynamic_stack 0
		.amdhsa_system_sgpr_private_segment_wavefront_offset 0
		.amdhsa_system_sgpr_workgroup_id_x 1
		.amdhsa_system_sgpr_workgroup_id_y 0
		.amdhsa_system_sgpr_workgroup_id_z 0
		.amdhsa_system_sgpr_workgroup_info 0
		.amdhsa_system_vgpr_workitem_id 0
		.amdhsa_next_free_vgpr 1
		.amdhsa_next_free_sgpr 0
		.amdhsa_accum_offset 4
		.amdhsa_reserve_vcc 0
		.amdhsa_reserve_flat_scratch 0
		.amdhsa_float_round_mode_32 0
		.amdhsa_float_round_mode_16_64 0
		.amdhsa_float_denorm_mode_32 3
		.amdhsa_float_denorm_mode_16_64 3
		.amdhsa_dx10_clamp 1
		.amdhsa_ieee_mode 1
		.amdhsa_fp16_overflow 0
		.amdhsa_tg_split 0
		.amdhsa_exception_fp_ieee_invalid_op 0
		.amdhsa_exception_fp_denorm_src 0
		.amdhsa_exception_fp_ieee_div_zero 0
		.amdhsa_exception_fp_ieee_overflow 0
		.amdhsa_exception_fp_ieee_underflow 0
		.amdhsa_exception_fp_ieee_inexact 0
		.amdhsa_exception_int_div_zero 0
	.end_amdhsa_kernel
	.section	.text._ZN7rocprim17ROCPRIM_400000_NS6detail17trampoline_kernelINS0_14default_configENS1_20scan_config_selectorI11FixedVectorIiLj1EEEEZZNS1_9scan_implILNS1_25lookback_scan_determinismE0ELb0ELb0ES3_N6thrust23THRUST_200600_302600_NS6detail15normal_iteratorINSB_10device_ptrIS6_EEEESG_S6_NSB_4plusIvEES6_EEDaPvRmT3_T4_T5_mT6_P12ihipStream_tbENKUlT_T0_E_clISt17integral_constantIbLb0EESW_EEDaSR_SS_EUlSR_E_NS1_11comp_targetILNS1_3genE8ELNS1_11target_archE1030ELNS1_3gpuE2ELNS1_3repE0EEENS1_30default_config_static_selectorELNS0_4arch9wavefront6targetE1EEEvT1_,"axG",@progbits,_ZN7rocprim17ROCPRIM_400000_NS6detail17trampoline_kernelINS0_14default_configENS1_20scan_config_selectorI11FixedVectorIiLj1EEEEZZNS1_9scan_implILNS1_25lookback_scan_determinismE0ELb0ELb0ES3_N6thrust23THRUST_200600_302600_NS6detail15normal_iteratorINSB_10device_ptrIS6_EEEESG_S6_NSB_4plusIvEES6_EEDaPvRmT3_T4_T5_mT6_P12ihipStream_tbENKUlT_T0_E_clISt17integral_constantIbLb0EESW_EEDaSR_SS_EUlSR_E_NS1_11comp_targetILNS1_3genE8ELNS1_11target_archE1030ELNS1_3gpuE2ELNS1_3repE0EEENS1_30default_config_static_selectorELNS0_4arch9wavefront6targetE1EEEvT1_,comdat
.Lfunc_end6387:
	.size	_ZN7rocprim17ROCPRIM_400000_NS6detail17trampoline_kernelINS0_14default_configENS1_20scan_config_selectorI11FixedVectorIiLj1EEEEZZNS1_9scan_implILNS1_25lookback_scan_determinismE0ELb0ELb0ES3_N6thrust23THRUST_200600_302600_NS6detail15normal_iteratorINSB_10device_ptrIS6_EEEESG_S6_NSB_4plusIvEES6_EEDaPvRmT3_T4_T5_mT6_P12ihipStream_tbENKUlT_T0_E_clISt17integral_constantIbLb0EESW_EEDaSR_SS_EUlSR_E_NS1_11comp_targetILNS1_3genE8ELNS1_11target_archE1030ELNS1_3gpuE2ELNS1_3repE0EEENS1_30default_config_static_selectorELNS0_4arch9wavefront6targetE1EEEvT1_, .Lfunc_end6387-_ZN7rocprim17ROCPRIM_400000_NS6detail17trampoline_kernelINS0_14default_configENS1_20scan_config_selectorI11FixedVectorIiLj1EEEEZZNS1_9scan_implILNS1_25lookback_scan_determinismE0ELb0ELb0ES3_N6thrust23THRUST_200600_302600_NS6detail15normal_iteratorINSB_10device_ptrIS6_EEEESG_S6_NSB_4plusIvEES6_EEDaPvRmT3_T4_T5_mT6_P12ihipStream_tbENKUlT_T0_E_clISt17integral_constantIbLb0EESW_EEDaSR_SS_EUlSR_E_NS1_11comp_targetILNS1_3genE8ELNS1_11target_archE1030ELNS1_3gpuE2ELNS1_3repE0EEENS1_30default_config_static_selectorELNS0_4arch9wavefront6targetE1EEEvT1_
                                        ; -- End function
	.section	.AMDGPU.csdata,"",@progbits
; Kernel info:
; codeLenInByte = 0
; NumSgprs: 4
; NumVgprs: 0
; NumAgprs: 0
; TotalNumVgprs: 0
; ScratchSize: 0
; MemoryBound: 0
; FloatMode: 240
; IeeeMode: 1
; LDSByteSize: 0 bytes/workgroup (compile time only)
; SGPRBlocks: 0
; VGPRBlocks: 0
; NumSGPRsForWavesPerEU: 4
; NumVGPRsForWavesPerEU: 1
; AccumOffset: 4
; Occupancy: 8
; WaveLimiterHint : 0
; COMPUTE_PGM_RSRC2:SCRATCH_EN: 0
; COMPUTE_PGM_RSRC2:USER_SGPR: 6
; COMPUTE_PGM_RSRC2:TRAP_HANDLER: 0
; COMPUTE_PGM_RSRC2:TGID_X_EN: 1
; COMPUTE_PGM_RSRC2:TGID_Y_EN: 0
; COMPUTE_PGM_RSRC2:TGID_Z_EN: 0
; COMPUTE_PGM_RSRC2:TIDIG_COMP_CNT: 0
; COMPUTE_PGM_RSRC3_GFX90A:ACCUM_OFFSET: 0
; COMPUTE_PGM_RSRC3_GFX90A:TG_SPLIT: 0
	.section	.text._ZN7rocprim17ROCPRIM_400000_NS6detail17trampoline_kernelINS0_14default_configENS1_25transform_config_selectorI11FixedVectorIiLj1EELb1EEEZNS1_14transform_implILb1ES3_S7_PS6_S9_NS0_8identityIS6_EEEE10hipError_tT2_T3_mT4_P12ihipStream_tbEUlT_E_NS1_11comp_targetILNS1_3genE0ELNS1_11target_archE4294967295ELNS1_3gpuE0ELNS1_3repE0EEENS1_30default_config_static_selectorELNS0_4arch9wavefront6targetE1EEEvT1_,"axG",@progbits,_ZN7rocprim17ROCPRIM_400000_NS6detail17trampoline_kernelINS0_14default_configENS1_25transform_config_selectorI11FixedVectorIiLj1EELb1EEEZNS1_14transform_implILb1ES3_S7_PS6_S9_NS0_8identityIS6_EEEE10hipError_tT2_T3_mT4_P12ihipStream_tbEUlT_E_NS1_11comp_targetILNS1_3genE0ELNS1_11target_archE4294967295ELNS1_3gpuE0ELNS1_3repE0EEENS1_30default_config_static_selectorELNS0_4arch9wavefront6targetE1EEEvT1_,comdat
	.protected	_ZN7rocprim17ROCPRIM_400000_NS6detail17trampoline_kernelINS0_14default_configENS1_25transform_config_selectorI11FixedVectorIiLj1EELb1EEEZNS1_14transform_implILb1ES3_S7_PS6_S9_NS0_8identityIS6_EEEE10hipError_tT2_T3_mT4_P12ihipStream_tbEUlT_E_NS1_11comp_targetILNS1_3genE0ELNS1_11target_archE4294967295ELNS1_3gpuE0ELNS1_3repE0EEENS1_30default_config_static_selectorELNS0_4arch9wavefront6targetE1EEEvT1_ ; -- Begin function _ZN7rocprim17ROCPRIM_400000_NS6detail17trampoline_kernelINS0_14default_configENS1_25transform_config_selectorI11FixedVectorIiLj1EELb1EEEZNS1_14transform_implILb1ES3_S7_PS6_S9_NS0_8identityIS6_EEEE10hipError_tT2_T3_mT4_P12ihipStream_tbEUlT_E_NS1_11comp_targetILNS1_3genE0ELNS1_11target_archE4294967295ELNS1_3gpuE0ELNS1_3repE0EEENS1_30default_config_static_selectorELNS0_4arch9wavefront6targetE1EEEvT1_
	.globl	_ZN7rocprim17ROCPRIM_400000_NS6detail17trampoline_kernelINS0_14default_configENS1_25transform_config_selectorI11FixedVectorIiLj1EELb1EEEZNS1_14transform_implILb1ES3_S7_PS6_S9_NS0_8identityIS6_EEEE10hipError_tT2_T3_mT4_P12ihipStream_tbEUlT_E_NS1_11comp_targetILNS1_3genE0ELNS1_11target_archE4294967295ELNS1_3gpuE0ELNS1_3repE0EEENS1_30default_config_static_selectorELNS0_4arch9wavefront6targetE1EEEvT1_
	.p2align	8
	.type	_ZN7rocprim17ROCPRIM_400000_NS6detail17trampoline_kernelINS0_14default_configENS1_25transform_config_selectorI11FixedVectorIiLj1EELb1EEEZNS1_14transform_implILb1ES3_S7_PS6_S9_NS0_8identityIS6_EEEE10hipError_tT2_T3_mT4_P12ihipStream_tbEUlT_E_NS1_11comp_targetILNS1_3genE0ELNS1_11target_archE4294967295ELNS1_3gpuE0ELNS1_3repE0EEENS1_30default_config_static_selectorELNS0_4arch9wavefront6targetE1EEEvT1_,@function
_ZN7rocprim17ROCPRIM_400000_NS6detail17trampoline_kernelINS0_14default_configENS1_25transform_config_selectorI11FixedVectorIiLj1EELb1EEEZNS1_14transform_implILb1ES3_S7_PS6_S9_NS0_8identityIS6_EEEE10hipError_tT2_T3_mT4_P12ihipStream_tbEUlT_E_NS1_11comp_targetILNS1_3genE0ELNS1_11target_archE4294967295ELNS1_3gpuE0ELNS1_3repE0EEENS1_30default_config_static_selectorELNS0_4arch9wavefront6targetE1EEEvT1_: ; @_ZN7rocprim17ROCPRIM_400000_NS6detail17trampoline_kernelINS0_14default_configENS1_25transform_config_selectorI11FixedVectorIiLj1EELb1EEEZNS1_14transform_implILb1ES3_S7_PS6_S9_NS0_8identityIS6_EEEE10hipError_tT2_T3_mT4_P12ihipStream_tbEUlT_E_NS1_11comp_targetILNS1_3genE0ELNS1_11target_archE4294967295ELNS1_3gpuE0ELNS1_3repE0EEENS1_30default_config_static_selectorELNS0_4arch9wavefront6targetE1EEEvT1_
; %bb.0:
	.section	.rodata,"a",@progbits
	.p2align	6, 0x0
	.amdhsa_kernel _ZN7rocprim17ROCPRIM_400000_NS6detail17trampoline_kernelINS0_14default_configENS1_25transform_config_selectorI11FixedVectorIiLj1EELb1EEEZNS1_14transform_implILb1ES3_S7_PS6_S9_NS0_8identityIS6_EEEE10hipError_tT2_T3_mT4_P12ihipStream_tbEUlT_E_NS1_11comp_targetILNS1_3genE0ELNS1_11target_archE4294967295ELNS1_3gpuE0ELNS1_3repE0EEENS1_30default_config_static_selectorELNS0_4arch9wavefront6targetE1EEEvT1_
		.amdhsa_group_segment_fixed_size 0
		.amdhsa_private_segment_fixed_size 0
		.amdhsa_kernarg_size 40
		.amdhsa_user_sgpr_count 6
		.amdhsa_user_sgpr_private_segment_buffer 1
		.amdhsa_user_sgpr_dispatch_ptr 0
		.amdhsa_user_sgpr_queue_ptr 0
		.amdhsa_user_sgpr_kernarg_segment_ptr 1
		.amdhsa_user_sgpr_dispatch_id 0
		.amdhsa_user_sgpr_flat_scratch_init 0
		.amdhsa_user_sgpr_kernarg_preload_length 0
		.amdhsa_user_sgpr_kernarg_preload_offset 0
		.amdhsa_user_sgpr_private_segment_size 0
		.amdhsa_uses_dynamic_stack 0
		.amdhsa_system_sgpr_private_segment_wavefront_offset 0
		.amdhsa_system_sgpr_workgroup_id_x 1
		.amdhsa_system_sgpr_workgroup_id_y 0
		.amdhsa_system_sgpr_workgroup_id_z 0
		.amdhsa_system_sgpr_workgroup_info 0
		.amdhsa_system_vgpr_workitem_id 0
		.amdhsa_next_free_vgpr 1
		.amdhsa_next_free_sgpr 0
		.amdhsa_accum_offset 4
		.amdhsa_reserve_vcc 0
		.amdhsa_reserve_flat_scratch 0
		.amdhsa_float_round_mode_32 0
		.amdhsa_float_round_mode_16_64 0
		.amdhsa_float_denorm_mode_32 3
		.amdhsa_float_denorm_mode_16_64 3
		.amdhsa_dx10_clamp 1
		.amdhsa_ieee_mode 1
		.amdhsa_fp16_overflow 0
		.amdhsa_tg_split 0
		.amdhsa_exception_fp_ieee_invalid_op 0
		.amdhsa_exception_fp_denorm_src 0
		.amdhsa_exception_fp_ieee_div_zero 0
		.amdhsa_exception_fp_ieee_overflow 0
		.amdhsa_exception_fp_ieee_underflow 0
		.amdhsa_exception_fp_ieee_inexact 0
		.amdhsa_exception_int_div_zero 0
	.end_amdhsa_kernel
	.section	.text._ZN7rocprim17ROCPRIM_400000_NS6detail17trampoline_kernelINS0_14default_configENS1_25transform_config_selectorI11FixedVectorIiLj1EELb1EEEZNS1_14transform_implILb1ES3_S7_PS6_S9_NS0_8identityIS6_EEEE10hipError_tT2_T3_mT4_P12ihipStream_tbEUlT_E_NS1_11comp_targetILNS1_3genE0ELNS1_11target_archE4294967295ELNS1_3gpuE0ELNS1_3repE0EEENS1_30default_config_static_selectorELNS0_4arch9wavefront6targetE1EEEvT1_,"axG",@progbits,_ZN7rocprim17ROCPRIM_400000_NS6detail17trampoline_kernelINS0_14default_configENS1_25transform_config_selectorI11FixedVectorIiLj1EELb1EEEZNS1_14transform_implILb1ES3_S7_PS6_S9_NS0_8identityIS6_EEEE10hipError_tT2_T3_mT4_P12ihipStream_tbEUlT_E_NS1_11comp_targetILNS1_3genE0ELNS1_11target_archE4294967295ELNS1_3gpuE0ELNS1_3repE0EEENS1_30default_config_static_selectorELNS0_4arch9wavefront6targetE1EEEvT1_,comdat
.Lfunc_end6388:
	.size	_ZN7rocprim17ROCPRIM_400000_NS6detail17trampoline_kernelINS0_14default_configENS1_25transform_config_selectorI11FixedVectorIiLj1EELb1EEEZNS1_14transform_implILb1ES3_S7_PS6_S9_NS0_8identityIS6_EEEE10hipError_tT2_T3_mT4_P12ihipStream_tbEUlT_E_NS1_11comp_targetILNS1_3genE0ELNS1_11target_archE4294967295ELNS1_3gpuE0ELNS1_3repE0EEENS1_30default_config_static_selectorELNS0_4arch9wavefront6targetE1EEEvT1_, .Lfunc_end6388-_ZN7rocprim17ROCPRIM_400000_NS6detail17trampoline_kernelINS0_14default_configENS1_25transform_config_selectorI11FixedVectorIiLj1EELb1EEEZNS1_14transform_implILb1ES3_S7_PS6_S9_NS0_8identityIS6_EEEE10hipError_tT2_T3_mT4_P12ihipStream_tbEUlT_E_NS1_11comp_targetILNS1_3genE0ELNS1_11target_archE4294967295ELNS1_3gpuE0ELNS1_3repE0EEENS1_30default_config_static_selectorELNS0_4arch9wavefront6targetE1EEEvT1_
                                        ; -- End function
	.section	.AMDGPU.csdata,"",@progbits
; Kernel info:
; codeLenInByte = 0
; NumSgprs: 4
; NumVgprs: 0
; NumAgprs: 0
; TotalNumVgprs: 0
; ScratchSize: 0
; MemoryBound: 0
; FloatMode: 240
; IeeeMode: 1
; LDSByteSize: 0 bytes/workgroup (compile time only)
; SGPRBlocks: 0
; VGPRBlocks: 0
; NumSGPRsForWavesPerEU: 4
; NumVGPRsForWavesPerEU: 1
; AccumOffset: 4
; Occupancy: 8
; WaveLimiterHint : 0
; COMPUTE_PGM_RSRC2:SCRATCH_EN: 0
; COMPUTE_PGM_RSRC2:USER_SGPR: 6
; COMPUTE_PGM_RSRC2:TRAP_HANDLER: 0
; COMPUTE_PGM_RSRC2:TGID_X_EN: 1
; COMPUTE_PGM_RSRC2:TGID_Y_EN: 0
; COMPUTE_PGM_RSRC2:TGID_Z_EN: 0
; COMPUTE_PGM_RSRC2:TIDIG_COMP_CNT: 0
; COMPUTE_PGM_RSRC3_GFX90A:ACCUM_OFFSET: 0
; COMPUTE_PGM_RSRC3_GFX90A:TG_SPLIT: 0
	.section	.text._ZN7rocprim17ROCPRIM_400000_NS6detail17trampoline_kernelINS0_14default_configENS1_25transform_config_selectorI11FixedVectorIiLj1EELb1EEEZNS1_14transform_implILb1ES3_S7_PS6_S9_NS0_8identityIS6_EEEE10hipError_tT2_T3_mT4_P12ihipStream_tbEUlT_E_NS1_11comp_targetILNS1_3genE10ELNS1_11target_archE1201ELNS1_3gpuE5ELNS1_3repE0EEENS1_30default_config_static_selectorELNS0_4arch9wavefront6targetE1EEEvT1_,"axG",@progbits,_ZN7rocprim17ROCPRIM_400000_NS6detail17trampoline_kernelINS0_14default_configENS1_25transform_config_selectorI11FixedVectorIiLj1EELb1EEEZNS1_14transform_implILb1ES3_S7_PS6_S9_NS0_8identityIS6_EEEE10hipError_tT2_T3_mT4_P12ihipStream_tbEUlT_E_NS1_11comp_targetILNS1_3genE10ELNS1_11target_archE1201ELNS1_3gpuE5ELNS1_3repE0EEENS1_30default_config_static_selectorELNS0_4arch9wavefront6targetE1EEEvT1_,comdat
	.protected	_ZN7rocprim17ROCPRIM_400000_NS6detail17trampoline_kernelINS0_14default_configENS1_25transform_config_selectorI11FixedVectorIiLj1EELb1EEEZNS1_14transform_implILb1ES3_S7_PS6_S9_NS0_8identityIS6_EEEE10hipError_tT2_T3_mT4_P12ihipStream_tbEUlT_E_NS1_11comp_targetILNS1_3genE10ELNS1_11target_archE1201ELNS1_3gpuE5ELNS1_3repE0EEENS1_30default_config_static_selectorELNS0_4arch9wavefront6targetE1EEEvT1_ ; -- Begin function _ZN7rocprim17ROCPRIM_400000_NS6detail17trampoline_kernelINS0_14default_configENS1_25transform_config_selectorI11FixedVectorIiLj1EELb1EEEZNS1_14transform_implILb1ES3_S7_PS6_S9_NS0_8identityIS6_EEEE10hipError_tT2_T3_mT4_P12ihipStream_tbEUlT_E_NS1_11comp_targetILNS1_3genE10ELNS1_11target_archE1201ELNS1_3gpuE5ELNS1_3repE0EEENS1_30default_config_static_selectorELNS0_4arch9wavefront6targetE1EEEvT1_
	.globl	_ZN7rocprim17ROCPRIM_400000_NS6detail17trampoline_kernelINS0_14default_configENS1_25transform_config_selectorI11FixedVectorIiLj1EELb1EEEZNS1_14transform_implILb1ES3_S7_PS6_S9_NS0_8identityIS6_EEEE10hipError_tT2_T3_mT4_P12ihipStream_tbEUlT_E_NS1_11comp_targetILNS1_3genE10ELNS1_11target_archE1201ELNS1_3gpuE5ELNS1_3repE0EEENS1_30default_config_static_selectorELNS0_4arch9wavefront6targetE1EEEvT1_
	.p2align	8
	.type	_ZN7rocprim17ROCPRIM_400000_NS6detail17trampoline_kernelINS0_14default_configENS1_25transform_config_selectorI11FixedVectorIiLj1EELb1EEEZNS1_14transform_implILb1ES3_S7_PS6_S9_NS0_8identityIS6_EEEE10hipError_tT2_T3_mT4_P12ihipStream_tbEUlT_E_NS1_11comp_targetILNS1_3genE10ELNS1_11target_archE1201ELNS1_3gpuE5ELNS1_3repE0EEENS1_30default_config_static_selectorELNS0_4arch9wavefront6targetE1EEEvT1_,@function
_ZN7rocprim17ROCPRIM_400000_NS6detail17trampoline_kernelINS0_14default_configENS1_25transform_config_selectorI11FixedVectorIiLj1EELb1EEEZNS1_14transform_implILb1ES3_S7_PS6_S9_NS0_8identityIS6_EEEE10hipError_tT2_T3_mT4_P12ihipStream_tbEUlT_E_NS1_11comp_targetILNS1_3genE10ELNS1_11target_archE1201ELNS1_3gpuE5ELNS1_3repE0EEENS1_30default_config_static_selectorELNS0_4arch9wavefront6targetE1EEEvT1_: ; @_ZN7rocprim17ROCPRIM_400000_NS6detail17trampoline_kernelINS0_14default_configENS1_25transform_config_selectorI11FixedVectorIiLj1EELb1EEEZNS1_14transform_implILb1ES3_S7_PS6_S9_NS0_8identityIS6_EEEE10hipError_tT2_T3_mT4_P12ihipStream_tbEUlT_E_NS1_11comp_targetILNS1_3genE10ELNS1_11target_archE1201ELNS1_3gpuE5ELNS1_3repE0EEENS1_30default_config_static_selectorELNS0_4arch9wavefront6targetE1EEEvT1_
; %bb.0:
	.section	.rodata,"a",@progbits
	.p2align	6, 0x0
	.amdhsa_kernel _ZN7rocprim17ROCPRIM_400000_NS6detail17trampoline_kernelINS0_14default_configENS1_25transform_config_selectorI11FixedVectorIiLj1EELb1EEEZNS1_14transform_implILb1ES3_S7_PS6_S9_NS0_8identityIS6_EEEE10hipError_tT2_T3_mT4_P12ihipStream_tbEUlT_E_NS1_11comp_targetILNS1_3genE10ELNS1_11target_archE1201ELNS1_3gpuE5ELNS1_3repE0EEENS1_30default_config_static_selectorELNS0_4arch9wavefront6targetE1EEEvT1_
		.amdhsa_group_segment_fixed_size 0
		.amdhsa_private_segment_fixed_size 0
		.amdhsa_kernarg_size 40
		.amdhsa_user_sgpr_count 6
		.amdhsa_user_sgpr_private_segment_buffer 1
		.amdhsa_user_sgpr_dispatch_ptr 0
		.amdhsa_user_sgpr_queue_ptr 0
		.amdhsa_user_sgpr_kernarg_segment_ptr 1
		.amdhsa_user_sgpr_dispatch_id 0
		.amdhsa_user_sgpr_flat_scratch_init 0
		.amdhsa_user_sgpr_kernarg_preload_length 0
		.amdhsa_user_sgpr_kernarg_preload_offset 0
		.amdhsa_user_sgpr_private_segment_size 0
		.amdhsa_uses_dynamic_stack 0
		.amdhsa_system_sgpr_private_segment_wavefront_offset 0
		.amdhsa_system_sgpr_workgroup_id_x 1
		.amdhsa_system_sgpr_workgroup_id_y 0
		.amdhsa_system_sgpr_workgroup_id_z 0
		.amdhsa_system_sgpr_workgroup_info 0
		.amdhsa_system_vgpr_workitem_id 0
		.amdhsa_next_free_vgpr 1
		.amdhsa_next_free_sgpr 0
		.amdhsa_accum_offset 4
		.amdhsa_reserve_vcc 0
		.amdhsa_reserve_flat_scratch 0
		.amdhsa_float_round_mode_32 0
		.amdhsa_float_round_mode_16_64 0
		.amdhsa_float_denorm_mode_32 3
		.amdhsa_float_denorm_mode_16_64 3
		.amdhsa_dx10_clamp 1
		.amdhsa_ieee_mode 1
		.amdhsa_fp16_overflow 0
		.amdhsa_tg_split 0
		.amdhsa_exception_fp_ieee_invalid_op 0
		.amdhsa_exception_fp_denorm_src 0
		.amdhsa_exception_fp_ieee_div_zero 0
		.amdhsa_exception_fp_ieee_overflow 0
		.amdhsa_exception_fp_ieee_underflow 0
		.amdhsa_exception_fp_ieee_inexact 0
		.amdhsa_exception_int_div_zero 0
	.end_amdhsa_kernel
	.section	.text._ZN7rocprim17ROCPRIM_400000_NS6detail17trampoline_kernelINS0_14default_configENS1_25transform_config_selectorI11FixedVectorIiLj1EELb1EEEZNS1_14transform_implILb1ES3_S7_PS6_S9_NS0_8identityIS6_EEEE10hipError_tT2_T3_mT4_P12ihipStream_tbEUlT_E_NS1_11comp_targetILNS1_3genE10ELNS1_11target_archE1201ELNS1_3gpuE5ELNS1_3repE0EEENS1_30default_config_static_selectorELNS0_4arch9wavefront6targetE1EEEvT1_,"axG",@progbits,_ZN7rocprim17ROCPRIM_400000_NS6detail17trampoline_kernelINS0_14default_configENS1_25transform_config_selectorI11FixedVectorIiLj1EELb1EEEZNS1_14transform_implILb1ES3_S7_PS6_S9_NS0_8identityIS6_EEEE10hipError_tT2_T3_mT4_P12ihipStream_tbEUlT_E_NS1_11comp_targetILNS1_3genE10ELNS1_11target_archE1201ELNS1_3gpuE5ELNS1_3repE0EEENS1_30default_config_static_selectorELNS0_4arch9wavefront6targetE1EEEvT1_,comdat
.Lfunc_end6389:
	.size	_ZN7rocprim17ROCPRIM_400000_NS6detail17trampoline_kernelINS0_14default_configENS1_25transform_config_selectorI11FixedVectorIiLj1EELb1EEEZNS1_14transform_implILb1ES3_S7_PS6_S9_NS0_8identityIS6_EEEE10hipError_tT2_T3_mT4_P12ihipStream_tbEUlT_E_NS1_11comp_targetILNS1_3genE10ELNS1_11target_archE1201ELNS1_3gpuE5ELNS1_3repE0EEENS1_30default_config_static_selectorELNS0_4arch9wavefront6targetE1EEEvT1_, .Lfunc_end6389-_ZN7rocprim17ROCPRIM_400000_NS6detail17trampoline_kernelINS0_14default_configENS1_25transform_config_selectorI11FixedVectorIiLj1EELb1EEEZNS1_14transform_implILb1ES3_S7_PS6_S9_NS0_8identityIS6_EEEE10hipError_tT2_T3_mT4_P12ihipStream_tbEUlT_E_NS1_11comp_targetILNS1_3genE10ELNS1_11target_archE1201ELNS1_3gpuE5ELNS1_3repE0EEENS1_30default_config_static_selectorELNS0_4arch9wavefront6targetE1EEEvT1_
                                        ; -- End function
	.section	.AMDGPU.csdata,"",@progbits
; Kernel info:
; codeLenInByte = 0
; NumSgprs: 4
; NumVgprs: 0
; NumAgprs: 0
; TotalNumVgprs: 0
; ScratchSize: 0
; MemoryBound: 0
; FloatMode: 240
; IeeeMode: 1
; LDSByteSize: 0 bytes/workgroup (compile time only)
; SGPRBlocks: 0
; VGPRBlocks: 0
; NumSGPRsForWavesPerEU: 4
; NumVGPRsForWavesPerEU: 1
; AccumOffset: 4
; Occupancy: 8
; WaveLimiterHint : 0
; COMPUTE_PGM_RSRC2:SCRATCH_EN: 0
; COMPUTE_PGM_RSRC2:USER_SGPR: 6
; COMPUTE_PGM_RSRC2:TRAP_HANDLER: 0
; COMPUTE_PGM_RSRC2:TGID_X_EN: 1
; COMPUTE_PGM_RSRC2:TGID_Y_EN: 0
; COMPUTE_PGM_RSRC2:TGID_Z_EN: 0
; COMPUTE_PGM_RSRC2:TIDIG_COMP_CNT: 0
; COMPUTE_PGM_RSRC3_GFX90A:ACCUM_OFFSET: 0
; COMPUTE_PGM_RSRC3_GFX90A:TG_SPLIT: 0
	.section	.text._ZN7rocprim17ROCPRIM_400000_NS6detail17trampoline_kernelINS0_14default_configENS1_25transform_config_selectorI11FixedVectorIiLj1EELb1EEEZNS1_14transform_implILb1ES3_S7_PS6_S9_NS0_8identityIS6_EEEE10hipError_tT2_T3_mT4_P12ihipStream_tbEUlT_E_NS1_11comp_targetILNS1_3genE5ELNS1_11target_archE942ELNS1_3gpuE9ELNS1_3repE0EEENS1_30default_config_static_selectorELNS0_4arch9wavefront6targetE1EEEvT1_,"axG",@progbits,_ZN7rocprim17ROCPRIM_400000_NS6detail17trampoline_kernelINS0_14default_configENS1_25transform_config_selectorI11FixedVectorIiLj1EELb1EEEZNS1_14transform_implILb1ES3_S7_PS6_S9_NS0_8identityIS6_EEEE10hipError_tT2_T3_mT4_P12ihipStream_tbEUlT_E_NS1_11comp_targetILNS1_3genE5ELNS1_11target_archE942ELNS1_3gpuE9ELNS1_3repE0EEENS1_30default_config_static_selectorELNS0_4arch9wavefront6targetE1EEEvT1_,comdat
	.protected	_ZN7rocprim17ROCPRIM_400000_NS6detail17trampoline_kernelINS0_14default_configENS1_25transform_config_selectorI11FixedVectorIiLj1EELb1EEEZNS1_14transform_implILb1ES3_S7_PS6_S9_NS0_8identityIS6_EEEE10hipError_tT2_T3_mT4_P12ihipStream_tbEUlT_E_NS1_11comp_targetILNS1_3genE5ELNS1_11target_archE942ELNS1_3gpuE9ELNS1_3repE0EEENS1_30default_config_static_selectorELNS0_4arch9wavefront6targetE1EEEvT1_ ; -- Begin function _ZN7rocprim17ROCPRIM_400000_NS6detail17trampoline_kernelINS0_14default_configENS1_25transform_config_selectorI11FixedVectorIiLj1EELb1EEEZNS1_14transform_implILb1ES3_S7_PS6_S9_NS0_8identityIS6_EEEE10hipError_tT2_T3_mT4_P12ihipStream_tbEUlT_E_NS1_11comp_targetILNS1_3genE5ELNS1_11target_archE942ELNS1_3gpuE9ELNS1_3repE0EEENS1_30default_config_static_selectorELNS0_4arch9wavefront6targetE1EEEvT1_
	.globl	_ZN7rocprim17ROCPRIM_400000_NS6detail17trampoline_kernelINS0_14default_configENS1_25transform_config_selectorI11FixedVectorIiLj1EELb1EEEZNS1_14transform_implILb1ES3_S7_PS6_S9_NS0_8identityIS6_EEEE10hipError_tT2_T3_mT4_P12ihipStream_tbEUlT_E_NS1_11comp_targetILNS1_3genE5ELNS1_11target_archE942ELNS1_3gpuE9ELNS1_3repE0EEENS1_30default_config_static_selectorELNS0_4arch9wavefront6targetE1EEEvT1_
	.p2align	8
	.type	_ZN7rocprim17ROCPRIM_400000_NS6detail17trampoline_kernelINS0_14default_configENS1_25transform_config_selectorI11FixedVectorIiLj1EELb1EEEZNS1_14transform_implILb1ES3_S7_PS6_S9_NS0_8identityIS6_EEEE10hipError_tT2_T3_mT4_P12ihipStream_tbEUlT_E_NS1_11comp_targetILNS1_3genE5ELNS1_11target_archE942ELNS1_3gpuE9ELNS1_3repE0EEENS1_30default_config_static_selectorELNS0_4arch9wavefront6targetE1EEEvT1_,@function
_ZN7rocprim17ROCPRIM_400000_NS6detail17trampoline_kernelINS0_14default_configENS1_25transform_config_selectorI11FixedVectorIiLj1EELb1EEEZNS1_14transform_implILb1ES3_S7_PS6_S9_NS0_8identityIS6_EEEE10hipError_tT2_T3_mT4_P12ihipStream_tbEUlT_E_NS1_11comp_targetILNS1_3genE5ELNS1_11target_archE942ELNS1_3gpuE9ELNS1_3repE0EEENS1_30default_config_static_selectorELNS0_4arch9wavefront6targetE1EEEvT1_: ; @_ZN7rocprim17ROCPRIM_400000_NS6detail17trampoline_kernelINS0_14default_configENS1_25transform_config_selectorI11FixedVectorIiLj1EELb1EEEZNS1_14transform_implILb1ES3_S7_PS6_S9_NS0_8identityIS6_EEEE10hipError_tT2_T3_mT4_P12ihipStream_tbEUlT_E_NS1_11comp_targetILNS1_3genE5ELNS1_11target_archE942ELNS1_3gpuE9ELNS1_3repE0EEENS1_30default_config_static_selectorELNS0_4arch9wavefront6targetE1EEEvT1_
; %bb.0:
	.section	.rodata,"a",@progbits
	.p2align	6, 0x0
	.amdhsa_kernel _ZN7rocprim17ROCPRIM_400000_NS6detail17trampoline_kernelINS0_14default_configENS1_25transform_config_selectorI11FixedVectorIiLj1EELb1EEEZNS1_14transform_implILb1ES3_S7_PS6_S9_NS0_8identityIS6_EEEE10hipError_tT2_T3_mT4_P12ihipStream_tbEUlT_E_NS1_11comp_targetILNS1_3genE5ELNS1_11target_archE942ELNS1_3gpuE9ELNS1_3repE0EEENS1_30default_config_static_selectorELNS0_4arch9wavefront6targetE1EEEvT1_
		.amdhsa_group_segment_fixed_size 0
		.amdhsa_private_segment_fixed_size 0
		.amdhsa_kernarg_size 40
		.amdhsa_user_sgpr_count 6
		.amdhsa_user_sgpr_private_segment_buffer 1
		.amdhsa_user_sgpr_dispatch_ptr 0
		.amdhsa_user_sgpr_queue_ptr 0
		.amdhsa_user_sgpr_kernarg_segment_ptr 1
		.amdhsa_user_sgpr_dispatch_id 0
		.amdhsa_user_sgpr_flat_scratch_init 0
		.amdhsa_user_sgpr_kernarg_preload_length 0
		.amdhsa_user_sgpr_kernarg_preload_offset 0
		.amdhsa_user_sgpr_private_segment_size 0
		.amdhsa_uses_dynamic_stack 0
		.amdhsa_system_sgpr_private_segment_wavefront_offset 0
		.amdhsa_system_sgpr_workgroup_id_x 1
		.amdhsa_system_sgpr_workgroup_id_y 0
		.amdhsa_system_sgpr_workgroup_id_z 0
		.amdhsa_system_sgpr_workgroup_info 0
		.amdhsa_system_vgpr_workitem_id 0
		.amdhsa_next_free_vgpr 1
		.amdhsa_next_free_sgpr 0
		.amdhsa_accum_offset 4
		.amdhsa_reserve_vcc 0
		.amdhsa_reserve_flat_scratch 0
		.amdhsa_float_round_mode_32 0
		.amdhsa_float_round_mode_16_64 0
		.amdhsa_float_denorm_mode_32 3
		.amdhsa_float_denorm_mode_16_64 3
		.amdhsa_dx10_clamp 1
		.amdhsa_ieee_mode 1
		.amdhsa_fp16_overflow 0
		.amdhsa_tg_split 0
		.amdhsa_exception_fp_ieee_invalid_op 0
		.amdhsa_exception_fp_denorm_src 0
		.amdhsa_exception_fp_ieee_div_zero 0
		.amdhsa_exception_fp_ieee_overflow 0
		.amdhsa_exception_fp_ieee_underflow 0
		.amdhsa_exception_fp_ieee_inexact 0
		.amdhsa_exception_int_div_zero 0
	.end_amdhsa_kernel
	.section	.text._ZN7rocprim17ROCPRIM_400000_NS6detail17trampoline_kernelINS0_14default_configENS1_25transform_config_selectorI11FixedVectorIiLj1EELb1EEEZNS1_14transform_implILb1ES3_S7_PS6_S9_NS0_8identityIS6_EEEE10hipError_tT2_T3_mT4_P12ihipStream_tbEUlT_E_NS1_11comp_targetILNS1_3genE5ELNS1_11target_archE942ELNS1_3gpuE9ELNS1_3repE0EEENS1_30default_config_static_selectorELNS0_4arch9wavefront6targetE1EEEvT1_,"axG",@progbits,_ZN7rocprim17ROCPRIM_400000_NS6detail17trampoline_kernelINS0_14default_configENS1_25transform_config_selectorI11FixedVectorIiLj1EELb1EEEZNS1_14transform_implILb1ES3_S7_PS6_S9_NS0_8identityIS6_EEEE10hipError_tT2_T3_mT4_P12ihipStream_tbEUlT_E_NS1_11comp_targetILNS1_3genE5ELNS1_11target_archE942ELNS1_3gpuE9ELNS1_3repE0EEENS1_30default_config_static_selectorELNS0_4arch9wavefront6targetE1EEEvT1_,comdat
.Lfunc_end6390:
	.size	_ZN7rocprim17ROCPRIM_400000_NS6detail17trampoline_kernelINS0_14default_configENS1_25transform_config_selectorI11FixedVectorIiLj1EELb1EEEZNS1_14transform_implILb1ES3_S7_PS6_S9_NS0_8identityIS6_EEEE10hipError_tT2_T3_mT4_P12ihipStream_tbEUlT_E_NS1_11comp_targetILNS1_3genE5ELNS1_11target_archE942ELNS1_3gpuE9ELNS1_3repE0EEENS1_30default_config_static_selectorELNS0_4arch9wavefront6targetE1EEEvT1_, .Lfunc_end6390-_ZN7rocprim17ROCPRIM_400000_NS6detail17trampoline_kernelINS0_14default_configENS1_25transform_config_selectorI11FixedVectorIiLj1EELb1EEEZNS1_14transform_implILb1ES3_S7_PS6_S9_NS0_8identityIS6_EEEE10hipError_tT2_T3_mT4_P12ihipStream_tbEUlT_E_NS1_11comp_targetILNS1_3genE5ELNS1_11target_archE942ELNS1_3gpuE9ELNS1_3repE0EEENS1_30default_config_static_selectorELNS0_4arch9wavefront6targetE1EEEvT1_
                                        ; -- End function
	.section	.AMDGPU.csdata,"",@progbits
; Kernel info:
; codeLenInByte = 0
; NumSgprs: 4
; NumVgprs: 0
; NumAgprs: 0
; TotalNumVgprs: 0
; ScratchSize: 0
; MemoryBound: 0
; FloatMode: 240
; IeeeMode: 1
; LDSByteSize: 0 bytes/workgroup (compile time only)
; SGPRBlocks: 0
; VGPRBlocks: 0
; NumSGPRsForWavesPerEU: 4
; NumVGPRsForWavesPerEU: 1
; AccumOffset: 4
; Occupancy: 8
; WaveLimiterHint : 0
; COMPUTE_PGM_RSRC2:SCRATCH_EN: 0
; COMPUTE_PGM_RSRC2:USER_SGPR: 6
; COMPUTE_PGM_RSRC2:TRAP_HANDLER: 0
; COMPUTE_PGM_RSRC2:TGID_X_EN: 1
; COMPUTE_PGM_RSRC2:TGID_Y_EN: 0
; COMPUTE_PGM_RSRC2:TGID_Z_EN: 0
; COMPUTE_PGM_RSRC2:TIDIG_COMP_CNT: 0
; COMPUTE_PGM_RSRC3_GFX90A:ACCUM_OFFSET: 0
; COMPUTE_PGM_RSRC3_GFX90A:TG_SPLIT: 0
	.section	.text._ZN7rocprim17ROCPRIM_400000_NS6detail17trampoline_kernelINS0_14default_configENS1_25transform_config_selectorI11FixedVectorIiLj1EELb1EEEZNS1_14transform_implILb1ES3_S7_PS6_S9_NS0_8identityIS6_EEEE10hipError_tT2_T3_mT4_P12ihipStream_tbEUlT_E_NS1_11comp_targetILNS1_3genE4ELNS1_11target_archE910ELNS1_3gpuE8ELNS1_3repE0EEENS1_30default_config_static_selectorELNS0_4arch9wavefront6targetE1EEEvT1_,"axG",@progbits,_ZN7rocprim17ROCPRIM_400000_NS6detail17trampoline_kernelINS0_14default_configENS1_25transform_config_selectorI11FixedVectorIiLj1EELb1EEEZNS1_14transform_implILb1ES3_S7_PS6_S9_NS0_8identityIS6_EEEE10hipError_tT2_T3_mT4_P12ihipStream_tbEUlT_E_NS1_11comp_targetILNS1_3genE4ELNS1_11target_archE910ELNS1_3gpuE8ELNS1_3repE0EEENS1_30default_config_static_selectorELNS0_4arch9wavefront6targetE1EEEvT1_,comdat
	.protected	_ZN7rocprim17ROCPRIM_400000_NS6detail17trampoline_kernelINS0_14default_configENS1_25transform_config_selectorI11FixedVectorIiLj1EELb1EEEZNS1_14transform_implILb1ES3_S7_PS6_S9_NS0_8identityIS6_EEEE10hipError_tT2_T3_mT4_P12ihipStream_tbEUlT_E_NS1_11comp_targetILNS1_3genE4ELNS1_11target_archE910ELNS1_3gpuE8ELNS1_3repE0EEENS1_30default_config_static_selectorELNS0_4arch9wavefront6targetE1EEEvT1_ ; -- Begin function _ZN7rocprim17ROCPRIM_400000_NS6detail17trampoline_kernelINS0_14default_configENS1_25transform_config_selectorI11FixedVectorIiLj1EELb1EEEZNS1_14transform_implILb1ES3_S7_PS6_S9_NS0_8identityIS6_EEEE10hipError_tT2_T3_mT4_P12ihipStream_tbEUlT_E_NS1_11comp_targetILNS1_3genE4ELNS1_11target_archE910ELNS1_3gpuE8ELNS1_3repE0EEENS1_30default_config_static_selectorELNS0_4arch9wavefront6targetE1EEEvT1_
	.globl	_ZN7rocprim17ROCPRIM_400000_NS6detail17trampoline_kernelINS0_14default_configENS1_25transform_config_selectorI11FixedVectorIiLj1EELb1EEEZNS1_14transform_implILb1ES3_S7_PS6_S9_NS0_8identityIS6_EEEE10hipError_tT2_T3_mT4_P12ihipStream_tbEUlT_E_NS1_11comp_targetILNS1_3genE4ELNS1_11target_archE910ELNS1_3gpuE8ELNS1_3repE0EEENS1_30default_config_static_selectorELNS0_4arch9wavefront6targetE1EEEvT1_
	.p2align	8
	.type	_ZN7rocprim17ROCPRIM_400000_NS6detail17trampoline_kernelINS0_14default_configENS1_25transform_config_selectorI11FixedVectorIiLj1EELb1EEEZNS1_14transform_implILb1ES3_S7_PS6_S9_NS0_8identityIS6_EEEE10hipError_tT2_T3_mT4_P12ihipStream_tbEUlT_E_NS1_11comp_targetILNS1_3genE4ELNS1_11target_archE910ELNS1_3gpuE8ELNS1_3repE0EEENS1_30default_config_static_selectorELNS0_4arch9wavefront6targetE1EEEvT1_,@function
_ZN7rocprim17ROCPRIM_400000_NS6detail17trampoline_kernelINS0_14default_configENS1_25transform_config_selectorI11FixedVectorIiLj1EELb1EEEZNS1_14transform_implILb1ES3_S7_PS6_S9_NS0_8identityIS6_EEEE10hipError_tT2_T3_mT4_P12ihipStream_tbEUlT_E_NS1_11comp_targetILNS1_3genE4ELNS1_11target_archE910ELNS1_3gpuE8ELNS1_3repE0EEENS1_30default_config_static_selectorELNS0_4arch9wavefront6targetE1EEEvT1_: ; @_ZN7rocprim17ROCPRIM_400000_NS6detail17trampoline_kernelINS0_14default_configENS1_25transform_config_selectorI11FixedVectorIiLj1EELb1EEEZNS1_14transform_implILb1ES3_S7_PS6_S9_NS0_8identityIS6_EEEE10hipError_tT2_T3_mT4_P12ihipStream_tbEUlT_E_NS1_11comp_targetILNS1_3genE4ELNS1_11target_archE910ELNS1_3gpuE8ELNS1_3repE0EEENS1_30default_config_static_selectorELNS0_4arch9wavefront6targetE1EEEvT1_
; %bb.0:
	s_load_dwordx8 s[8:15], s[4:5], 0x0
	s_load_dword s2, s[4:5], 0x28
	s_waitcnt lgkmcnt(0)
	s_lshl_b64 s[0:1], s[10:11], 2
	s_add_u32 s3, s8, s0
	s_addc_u32 s4, s9, s1
	s_add_u32 s13, s14, s0
	s_addc_u32 s14, s15, s1
	s_lshl_b32 s0, s6, 12
	s_mov_b32 s1, 0
	s_add_i32 s2, s2, -1
	s_lshl_b64 s[8:9], s[0:1], 2
	s_add_u32 s10, s3, s8
	s_addc_u32 s11, s4, s9
	s_cmp_lg_u32 s6, s2
	s_mov_b64 s[2:3], -1
	s_cbranch_scc0 .LBB6391_2
; %bb.1:
	v_lshlrev_b32_e32 v1, 4, v0
	global_load_dwordx4 v[2:5], v1, s[10:11]
	s_add_u32 s2, s13, s8
	s_addc_u32 s3, s14, s9
	s_waitcnt vmcnt(0)
	global_store_dwordx4 v1, v[2:5], s[2:3]
	s_mov_b64 s[2:3], 0
.LBB6391_2:
	s_andn2_b64 vcc, exec, s[2:3]
	s_cbranch_vccnz .LBB6391_16
; %bb.3:
	s_sub_i32 s6, s12, s0
	v_cmp_gt_u32_e32 vcc, s6, v0
	v_mov_b32_e32 v2, 0
	v_lshlrev_b32_e32 v1, 2, v0
	v_mov_b32_e32 v4, 0
	s_and_saveexec_b64 s[0:1], vcc
	s_cbranch_execz .LBB6391_5
; %bb.4:
	global_load_dword v4, v1, s[10:11]
.LBB6391_5:
	s_or_b64 exec, exec, s[0:1]
	v_or_b32_e32 v3, 0x400, v0
	v_cmp_gt_u32_e64 s[0:1], s6, v3
	s_and_saveexec_b64 s[2:3], s[0:1]
	s_cbranch_execz .LBB6391_7
; %bb.6:
	v_lshlrev_b32_e32 v2, 2, v3
	global_load_dword v2, v2, s[10:11]
.LBB6391_7:
	s_or_b64 exec, exec, s[2:3]
	v_or_b32_e32 v6, 0x800, v0
	v_cmp_gt_u32_e64 s[2:3], s6, v6
	v_mov_b32_e32 v3, 0
	v_mov_b32_e32 v5, 0
	s_and_saveexec_b64 s[4:5], s[2:3]
	s_cbranch_execz .LBB6391_9
; %bb.8:
	v_lshlrev_b32_e32 v5, 2, v6
	global_load_dword v5, v5, s[10:11]
.LBB6391_9:
	s_or_b64 exec, exec, s[4:5]
	v_or_b32_e32 v0, 0xc00, v0
	v_cmp_gt_u32_e64 s[4:5], s6, v0
	s_and_saveexec_b64 s[6:7], s[4:5]
	s_cbranch_execz .LBB6391_11
; %bb.10:
	v_lshlrev_b32_e32 v0, 2, v0
	global_load_dword v3, v0, s[10:11]
.LBB6391_11:
	s_or_b64 exec, exec, s[6:7]
	s_add_u32 s6, s13, s8
	s_addc_u32 s7, s14, s9
	v_mov_b32_e32 v6, s7
	v_add_co_u32_e64 v0, s[6:7], s6, v1
	v_addc_co_u32_e64 v1, s[6:7], 0, v6, s[6:7]
	s_and_saveexec_b64 s[6:7], vcc
	s_cbranch_execnz .LBB6391_17
; %bb.12:
	s_or_b64 exec, exec, s[6:7]
	s_and_saveexec_b64 s[6:7], s[0:1]
	s_cbranch_execnz .LBB6391_18
.LBB6391_13:
	s_or_b64 exec, exec, s[6:7]
	s_and_saveexec_b64 s[0:1], s[2:3]
	s_cbranch_execnz .LBB6391_19
.LBB6391_14:
	s_or_b64 exec, exec, s[0:1]
	s_and_saveexec_b64 s[0:1], s[4:5]
	s_cbranch_execz .LBB6391_16
.LBB6391_15:
	v_add_co_u32_e32 v0, vcc, 0x3000, v0
	v_addc_co_u32_e32 v1, vcc, 0, v1, vcc
	s_waitcnt vmcnt(0)
	global_store_dword v[0:1], v3, off
.LBB6391_16:
	s_endpgm
.LBB6391_17:
	s_waitcnt vmcnt(0)
	global_store_dword v[0:1], v4, off
	s_or_b64 exec, exec, s[6:7]
	s_and_saveexec_b64 s[6:7], s[0:1]
	s_cbranch_execz .LBB6391_13
.LBB6391_18:
	v_add_co_u32_e32 v6, vcc, 0x1000, v0
	v_addc_co_u32_e32 v7, vcc, 0, v1, vcc
	s_waitcnt vmcnt(0)
	global_store_dword v[6:7], v2, off
	s_or_b64 exec, exec, s[6:7]
	s_and_saveexec_b64 s[0:1], s[2:3]
	s_cbranch_execz .LBB6391_14
.LBB6391_19:
	v_add_co_u32_e32 v6, vcc, 0x2000, v0
	v_addc_co_u32_e32 v7, vcc, 0, v1, vcc
	s_waitcnt vmcnt(0)
	global_store_dword v[6:7], v5, off
	s_or_b64 exec, exec, s[0:1]
	s_and_saveexec_b64 s[0:1], s[4:5]
	s_cbranch_execnz .LBB6391_15
	s_branch .LBB6391_16
	.section	.rodata,"a",@progbits
	.p2align	6, 0x0
	.amdhsa_kernel _ZN7rocprim17ROCPRIM_400000_NS6detail17trampoline_kernelINS0_14default_configENS1_25transform_config_selectorI11FixedVectorIiLj1EELb1EEEZNS1_14transform_implILb1ES3_S7_PS6_S9_NS0_8identityIS6_EEEE10hipError_tT2_T3_mT4_P12ihipStream_tbEUlT_E_NS1_11comp_targetILNS1_3genE4ELNS1_11target_archE910ELNS1_3gpuE8ELNS1_3repE0EEENS1_30default_config_static_selectorELNS0_4arch9wavefront6targetE1EEEvT1_
		.amdhsa_group_segment_fixed_size 0
		.amdhsa_private_segment_fixed_size 0
		.amdhsa_kernarg_size 296
		.amdhsa_user_sgpr_count 6
		.amdhsa_user_sgpr_private_segment_buffer 1
		.amdhsa_user_sgpr_dispatch_ptr 0
		.amdhsa_user_sgpr_queue_ptr 0
		.amdhsa_user_sgpr_kernarg_segment_ptr 1
		.amdhsa_user_sgpr_dispatch_id 0
		.amdhsa_user_sgpr_flat_scratch_init 0
		.amdhsa_user_sgpr_kernarg_preload_length 0
		.amdhsa_user_sgpr_kernarg_preload_offset 0
		.amdhsa_user_sgpr_private_segment_size 0
		.amdhsa_uses_dynamic_stack 0
		.amdhsa_system_sgpr_private_segment_wavefront_offset 0
		.amdhsa_system_sgpr_workgroup_id_x 1
		.amdhsa_system_sgpr_workgroup_id_y 0
		.amdhsa_system_sgpr_workgroup_id_z 0
		.amdhsa_system_sgpr_workgroup_info 0
		.amdhsa_system_vgpr_workitem_id 0
		.amdhsa_next_free_vgpr 8
		.amdhsa_next_free_sgpr 16
		.amdhsa_accum_offset 8
		.amdhsa_reserve_vcc 1
		.amdhsa_reserve_flat_scratch 0
		.amdhsa_float_round_mode_32 0
		.amdhsa_float_round_mode_16_64 0
		.amdhsa_float_denorm_mode_32 3
		.amdhsa_float_denorm_mode_16_64 3
		.amdhsa_dx10_clamp 1
		.amdhsa_ieee_mode 1
		.amdhsa_fp16_overflow 0
		.amdhsa_tg_split 0
		.amdhsa_exception_fp_ieee_invalid_op 0
		.amdhsa_exception_fp_denorm_src 0
		.amdhsa_exception_fp_ieee_div_zero 0
		.amdhsa_exception_fp_ieee_overflow 0
		.amdhsa_exception_fp_ieee_underflow 0
		.amdhsa_exception_fp_ieee_inexact 0
		.amdhsa_exception_int_div_zero 0
	.end_amdhsa_kernel
	.section	.text._ZN7rocprim17ROCPRIM_400000_NS6detail17trampoline_kernelINS0_14default_configENS1_25transform_config_selectorI11FixedVectorIiLj1EELb1EEEZNS1_14transform_implILb1ES3_S7_PS6_S9_NS0_8identityIS6_EEEE10hipError_tT2_T3_mT4_P12ihipStream_tbEUlT_E_NS1_11comp_targetILNS1_3genE4ELNS1_11target_archE910ELNS1_3gpuE8ELNS1_3repE0EEENS1_30default_config_static_selectorELNS0_4arch9wavefront6targetE1EEEvT1_,"axG",@progbits,_ZN7rocprim17ROCPRIM_400000_NS6detail17trampoline_kernelINS0_14default_configENS1_25transform_config_selectorI11FixedVectorIiLj1EELb1EEEZNS1_14transform_implILb1ES3_S7_PS6_S9_NS0_8identityIS6_EEEE10hipError_tT2_T3_mT4_P12ihipStream_tbEUlT_E_NS1_11comp_targetILNS1_3genE4ELNS1_11target_archE910ELNS1_3gpuE8ELNS1_3repE0EEENS1_30default_config_static_selectorELNS0_4arch9wavefront6targetE1EEEvT1_,comdat
.Lfunc_end6391:
	.size	_ZN7rocprim17ROCPRIM_400000_NS6detail17trampoline_kernelINS0_14default_configENS1_25transform_config_selectorI11FixedVectorIiLj1EELb1EEEZNS1_14transform_implILb1ES3_S7_PS6_S9_NS0_8identityIS6_EEEE10hipError_tT2_T3_mT4_P12ihipStream_tbEUlT_E_NS1_11comp_targetILNS1_3genE4ELNS1_11target_archE910ELNS1_3gpuE8ELNS1_3repE0EEENS1_30default_config_static_selectorELNS0_4arch9wavefront6targetE1EEEvT1_, .Lfunc_end6391-_ZN7rocprim17ROCPRIM_400000_NS6detail17trampoline_kernelINS0_14default_configENS1_25transform_config_selectorI11FixedVectorIiLj1EELb1EEEZNS1_14transform_implILb1ES3_S7_PS6_S9_NS0_8identityIS6_EEEE10hipError_tT2_T3_mT4_P12ihipStream_tbEUlT_E_NS1_11comp_targetILNS1_3genE4ELNS1_11target_archE910ELNS1_3gpuE8ELNS1_3repE0EEENS1_30default_config_static_selectorELNS0_4arch9wavefront6targetE1EEEvT1_
                                        ; -- End function
	.section	.AMDGPU.csdata,"",@progbits
; Kernel info:
; codeLenInByte = 488
; NumSgprs: 20
; NumVgprs: 8
; NumAgprs: 0
; TotalNumVgprs: 8
; ScratchSize: 0
; MemoryBound: 1
; FloatMode: 240
; IeeeMode: 1
; LDSByteSize: 0 bytes/workgroup (compile time only)
; SGPRBlocks: 2
; VGPRBlocks: 0
; NumSGPRsForWavesPerEU: 20
; NumVGPRsForWavesPerEU: 8
; AccumOffset: 8
; Occupancy: 8
; WaveLimiterHint : 0
; COMPUTE_PGM_RSRC2:SCRATCH_EN: 0
; COMPUTE_PGM_RSRC2:USER_SGPR: 6
; COMPUTE_PGM_RSRC2:TRAP_HANDLER: 0
; COMPUTE_PGM_RSRC2:TGID_X_EN: 1
; COMPUTE_PGM_RSRC2:TGID_Y_EN: 0
; COMPUTE_PGM_RSRC2:TGID_Z_EN: 0
; COMPUTE_PGM_RSRC2:TIDIG_COMP_CNT: 0
; COMPUTE_PGM_RSRC3_GFX90A:ACCUM_OFFSET: 1
; COMPUTE_PGM_RSRC3_GFX90A:TG_SPLIT: 0
	.section	.text._ZN7rocprim17ROCPRIM_400000_NS6detail17trampoline_kernelINS0_14default_configENS1_25transform_config_selectorI11FixedVectorIiLj1EELb1EEEZNS1_14transform_implILb1ES3_S7_PS6_S9_NS0_8identityIS6_EEEE10hipError_tT2_T3_mT4_P12ihipStream_tbEUlT_E_NS1_11comp_targetILNS1_3genE3ELNS1_11target_archE908ELNS1_3gpuE7ELNS1_3repE0EEENS1_30default_config_static_selectorELNS0_4arch9wavefront6targetE1EEEvT1_,"axG",@progbits,_ZN7rocprim17ROCPRIM_400000_NS6detail17trampoline_kernelINS0_14default_configENS1_25transform_config_selectorI11FixedVectorIiLj1EELb1EEEZNS1_14transform_implILb1ES3_S7_PS6_S9_NS0_8identityIS6_EEEE10hipError_tT2_T3_mT4_P12ihipStream_tbEUlT_E_NS1_11comp_targetILNS1_3genE3ELNS1_11target_archE908ELNS1_3gpuE7ELNS1_3repE0EEENS1_30default_config_static_selectorELNS0_4arch9wavefront6targetE1EEEvT1_,comdat
	.protected	_ZN7rocprim17ROCPRIM_400000_NS6detail17trampoline_kernelINS0_14default_configENS1_25transform_config_selectorI11FixedVectorIiLj1EELb1EEEZNS1_14transform_implILb1ES3_S7_PS6_S9_NS0_8identityIS6_EEEE10hipError_tT2_T3_mT4_P12ihipStream_tbEUlT_E_NS1_11comp_targetILNS1_3genE3ELNS1_11target_archE908ELNS1_3gpuE7ELNS1_3repE0EEENS1_30default_config_static_selectorELNS0_4arch9wavefront6targetE1EEEvT1_ ; -- Begin function _ZN7rocprim17ROCPRIM_400000_NS6detail17trampoline_kernelINS0_14default_configENS1_25transform_config_selectorI11FixedVectorIiLj1EELb1EEEZNS1_14transform_implILb1ES3_S7_PS6_S9_NS0_8identityIS6_EEEE10hipError_tT2_T3_mT4_P12ihipStream_tbEUlT_E_NS1_11comp_targetILNS1_3genE3ELNS1_11target_archE908ELNS1_3gpuE7ELNS1_3repE0EEENS1_30default_config_static_selectorELNS0_4arch9wavefront6targetE1EEEvT1_
	.globl	_ZN7rocprim17ROCPRIM_400000_NS6detail17trampoline_kernelINS0_14default_configENS1_25transform_config_selectorI11FixedVectorIiLj1EELb1EEEZNS1_14transform_implILb1ES3_S7_PS6_S9_NS0_8identityIS6_EEEE10hipError_tT2_T3_mT4_P12ihipStream_tbEUlT_E_NS1_11comp_targetILNS1_3genE3ELNS1_11target_archE908ELNS1_3gpuE7ELNS1_3repE0EEENS1_30default_config_static_selectorELNS0_4arch9wavefront6targetE1EEEvT1_
	.p2align	8
	.type	_ZN7rocprim17ROCPRIM_400000_NS6detail17trampoline_kernelINS0_14default_configENS1_25transform_config_selectorI11FixedVectorIiLj1EELb1EEEZNS1_14transform_implILb1ES3_S7_PS6_S9_NS0_8identityIS6_EEEE10hipError_tT2_T3_mT4_P12ihipStream_tbEUlT_E_NS1_11comp_targetILNS1_3genE3ELNS1_11target_archE908ELNS1_3gpuE7ELNS1_3repE0EEENS1_30default_config_static_selectorELNS0_4arch9wavefront6targetE1EEEvT1_,@function
_ZN7rocprim17ROCPRIM_400000_NS6detail17trampoline_kernelINS0_14default_configENS1_25transform_config_selectorI11FixedVectorIiLj1EELb1EEEZNS1_14transform_implILb1ES3_S7_PS6_S9_NS0_8identityIS6_EEEE10hipError_tT2_T3_mT4_P12ihipStream_tbEUlT_E_NS1_11comp_targetILNS1_3genE3ELNS1_11target_archE908ELNS1_3gpuE7ELNS1_3repE0EEENS1_30default_config_static_selectorELNS0_4arch9wavefront6targetE1EEEvT1_: ; @_ZN7rocprim17ROCPRIM_400000_NS6detail17trampoline_kernelINS0_14default_configENS1_25transform_config_selectorI11FixedVectorIiLj1EELb1EEEZNS1_14transform_implILb1ES3_S7_PS6_S9_NS0_8identityIS6_EEEE10hipError_tT2_T3_mT4_P12ihipStream_tbEUlT_E_NS1_11comp_targetILNS1_3genE3ELNS1_11target_archE908ELNS1_3gpuE7ELNS1_3repE0EEENS1_30default_config_static_selectorELNS0_4arch9wavefront6targetE1EEEvT1_
; %bb.0:
	.section	.rodata,"a",@progbits
	.p2align	6, 0x0
	.amdhsa_kernel _ZN7rocprim17ROCPRIM_400000_NS6detail17trampoline_kernelINS0_14default_configENS1_25transform_config_selectorI11FixedVectorIiLj1EELb1EEEZNS1_14transform_implILb1ES3_S7_PS6_S9_NS0_8identityIS6_EEEE10hipError_tT2_T3_mT4_P12ihipStream_tbEUlT_E_NS1_11comp_targetILNS1_3genE3ELNS1_11target_archE908ELNS1_3gpuE7ELNS1_3repE0EEENS1_30default_config_static_selectorELNS0_4arch9wavefront6targetE1EEEvT1_
		.amdhsa_group_segment_fixed_size 0
		.amdhsa_private_segment_fixed_size 0
		.amdhsa_kernarg_size 40
		.amdhsa_user_sgpr_count 6
		.amdhsa_user_sgpr_private_segment_buffer 1
		.amdhsa_user_sgpr_dispatch_ptr 0
		.amdhsa_user_sgpr_queue_ptr 0
		.amdhsa_user_sgpr_kernarg_segment_ptr 1
		.amdhsa_user_sgpr_dispatch_id 0
		.amdhsa_user_sgpr_flat_scratch_init 0
		.amdhsa_user_sgpr_kernarg_preload_length 0
		.amdhsa_user_sgpr_kernarg_preload_offset 0
		.amdhsa_user_sgpr_private_segment_size 0
		.amdhsa_uses_dynamic_stack 0
		.amdhsa_system_sgpr_private_segment_wavefront_offset 0
		.amdhsa_system_sgpr_workgroup_id_x 1
		.amdhsa_system_sgpr_workgroup_id_y 0
		.amdhsa_system_sgpr_workgroup_id_z 0
		.amdhsa_system_sgpr_workgroup_info 0
		.amdhsa_system_vgpr_workitem_id 0
		.amdhsa_next_free_vgpr 1
		.amdhsa_next_free_sgpr 0
		.amdhsa_accum_offset 4
		.amdhsa_reserve_vcc 0
		.amdhsa_reserve_flat_scratch 0
		.amdhsa_float_round_mode_32 0
		.amdhsa_float_round_mode_16_64 0
		.amdhsa_float_denorm_mode_32 3
		.amdhsa_float_denorm_mode_16_64 3
		.amdhsa_dx10_clamp 1
		.amdhsa_ieee_mode 1
		.amdhsa_fp16_overflow 0
		.amdhsa_tg_split 0
		.amdhsa_exception_fp_ieee_invalid_op 0
		.amdhsa_exception_fp_denorm_src 0
		.amdhsa_exception_fp_ieee_div_zero 0
		.amdhsa_exception_fp_ieee_overflow 0
		.amdhsa_exception_fp_ieee_underflow 0
		.amdhsa_exception_fp_ieee_inexact 0
		.amdhsa_exception_int_div_zero 0
	.end_amdhsa_kernel
	.section	.text._ZN7rocprim17ROCPRIM_400000_NS6detail17trampoline_kernelINS0_14default_configENS1_25transform_config_selectorI11FixedVectorIiLj1EELb1EEEZNS1_14transform_implILb1ES3_S7_PS6_S9_NS0_8identityIS6_EEEE10hipError_tT2_T3_mT4_P12ihipStream_tbEUlT_E_NS1_11comp_targetILNS1_3genE3ELNS1_11target_archE908ELNS1_3gpuE7ELNS1_3repE0EEENS1_30default_config_static_selectorELNS0_4arch9wavefront6targetE1EEEvT1_,"axG",@progbits,_ZN7rocprim17ROCPRIM_400000_NS6detail17trampoline_kernelINS0_14default_configENS1_25transform_config_selectorI11FixedVectorIiLj1EELb1EEEZNS1_14transform_implILb1ES3_S7_PS6_S9_NS0_8identityIS6_EEEE10hipError_tT2_T3_mT4_P12ihipStream_tbEUlT_E_NS1_11comp_targetILNS1_3genE3ELNS1_11target_archE908ELNS1_3gpuE7ELNS1_3repE0EEENS1_30default_config_static_selectorELNS0_4arch9wavefront6targetE1EEEvT1_,comdat
.Lfunc_end6392:
	.size	_ZN7rocprim17ROCPRIM_400000_NS6detail17trampoline_kernelINS0_14default_configENS1_25transform_config_selectorI11FixedVectorIiLj1EELb1EEEZNS1_14transform_implILb1ES3_S7_PS6_S9_NS0_8identityIS6_EEEE10hipError_tT2_T3_mT4_P12ihipStream_tbEUlT_E_NS1_11comp_targetILNS1_3genE3ELNS1_11target_archE908ELNS1_3gpuE7ELNS1_3repE0EEENS1_30default_config_static_selectorELNS0_4arch9wavefront6targetE1EEEvT1_, .Lfunc_end6392-_ZN7rocprim17ROCPRIM_400000_NS6detail17trampoline_kernelINS0_14default_configENS1_25transform_config_selectorI11FixedVectorIiLj1EELb1EEEZNS1_14transform_implILb1ES3_S7_PS6_S9_NS0_8identityIS6_EEEE10hipError_tT2_T3_mT4_P12ihipStream_tbEUlT_E_NS1_11comp_targetILNS1_3genE3ELNS1_11target_archE908ELNS1_3gpuE7ELNS1_3repE0EEENS1_30default_config_static_selectorELNS0_4arch9wavefront6targetE1EEEvT1_
                                        ; -- End function
	.section	.AMDGPU.csdata,"",@progbits
; Kernel info:
; codeLenInByte = 0
; NumSgprs: 4
; NumVgprs: 0
; NumAgprs: 0
; TotalNumVgprs: 0
; ScratchSize: 0
; MemoryBound: 0
; FloatMode: 240
; IeeeMode: 1
; LDSByteSize: 0 bytes/workgroup (compile time only)
; SGPRBlocks: 0
; VGPRBlocks: 0
; NumSGPRsForWavesPerEU: 4
; NumVGPRsForWavesPerEU: 1
; AccumOffset: 4
; Occupancy: 8
; WaveLimiterHint : 0
; COMPUTE_PGM_RSRC2:SCRATCH_EN: 0
; COMPUTE_PGM_RSRC2:USER_SGPR: 6
; COMPUTE_PGM_RSRC2:TRAP_HANDLER: 0
; COMPUTE_PGM_RSRC2:TGID_X_EN: 1
; COMPUTE_PGM_RSRC2:TGID_Y_EN: 0
; COMPUTE_PGM_RSRC2:TGID_Z_EN: 0
; COMPUTE_PGM_RSRC2:TIDIG_COMP_CNT: 0
; COMPUTE_PGM_RSRC3_GFX90A:ACCUM_OFFSET: 0
; COMPUTE_PGM_RSRC3_GFX90A:TG_SPLIT: 0
	.section	.text._ZN7rocprim17ROCPRIM_400000_NS6detail17trampoline_kernelINS0_14default_configENS1_25transform_config_selectorI11FixedVectorIiLj1EELb1EEEZNS1_14transform_implILb1ES3_S7_PS6_S9_NS0_8identityIS6_EEEE10hipError_tT2_T3_mT4_P12ihipStream_tbEUlT_E_NS1_11comp_targetILNS1_3genE2ELNS1_11target_archE906ELNS1_3gpuE6ELNS1_3repE0EEENS1_30default_config_static_selectorELNS0_4arch9wavefront6targetE1EEEvT1_,"axG",@progbits,_ZN7rocprim17ROCPRIM_400000_NS6detail17trampoline_kernelINS0_14default_configENS1_25transform_config_selectorI11FixedVectorIiLj1EELb1EEEZNS1_14transform_implILb1ES3_S7_PS6_S9_NS0_8identityIS6_EEEE10hipError_tT2_T3_mT4_P12ihipStream_tbEUlT_E_NS1_11comp_targetILNS1_3genE2ELNS1_11target_archE906ELNS1_3gpuE6ELNS1_3repE0EEENS1_30default_config_static_selectorELNS0_4arch9wavefront6targetE1EEEvT1_,comdat
	.protected	_ZN7rocprim17ROCPRIM_400000_NS6detail17trampoline_kernelINS0_14default_configENS1_25transform_config_selectorI11FixedVectorIiLj1EELb1EEEZNS1_14transform_implILb1ES3_S7_PS6_S9_NS0_8identityIS6_EEEE10hipError_tT2_T3_mT4_P12ihipStream_tbEUlT_E_NS1_11comp_targetILNS1_3genE2ELNS1_11target_archE906ELNS1_3gpuE6ELNS1_3repE0EEENS1_30default_config_static_selectorELNS0_4arch9wavefront6targetE1EEEvT1_ ; -- Begin function _ZN7rocprim17ROCPRIM_400000_NS6detail17trampoline_kernelINS0_14default_configENS1_25transform_config_selectorI11FixedVectorIiLj1EELb1EEEZNS1_14transform_implILb1ES3_S7_PS6_S9_NS0_8identityIS6_EEEE10hipError_tT2_T3_mT4_P12ihipStream_tbEUlT_E_NS1_11comp_targetILNS1_3genE2ELNS1_11target_archE906ELNS1_3gpuE6ELNS1_3repE0EEENS1_30default_config_static_selectorELNS0_4arch9wavefront6targetE1EEEvT1_
	.globl	_ZN7rocprim17ROCPRIM_400000_NS6detail17trampoline_kernelINS0_14default_configENS1_25transform_config_selectorI11FixedVectorIiLj1EELb1EEEZNS1_14transform_implILb1ES3_S7_PS6_S9_NS0_8identityIS6_EEEE10hipError_tT2_T3_mT4_P12ihipStream_tbEUlT_E_NS1_11comp_targetILNS1_3genE2ELNS1_11target_archE906ELNS1_3gpuE6ELNS1_3repE0EEENS1_30default_config_static_selectorELNS0_4arch9wavefront6targetE1EEEvT1_
	.p2align	8
	.type	_ZN7rocprim17ROCPRIM_400000_NS6detail17trampoline_kernelINS0_14default_configENS1_25transform_config_selectorI11FixedVectorIiLj1EELb1EEEZNS1_14transform_implILb1ES3_S7_PS6_S9_NS0_8identityIS6_EEEE10hipError_tT2_T3_mT4_P12ihipStream_tbEUlT_E_NS1_11comp_targetILNS1_3genE2ELNS1_11target_archE906ELNS1_3gpuE6ELNS1_3repE0EEENS1_30default_config_static_selectorELNS0_4arch9wavefront6targetE1EEEvT1_,@function
_ZN7rocprim17ROCPRIM_400000_NS6detail17trampoline_kernelINS0_14default_configENS1_25transform_config_selectorI11FixedVectorIiLj1EELb1EEEZNS1_14transform_implILb1ES3_S7_PS6_S9_NS0_8identityIS6_EEEE10hipError_tT2_T3_mT4_P12ihipStream_tbEUlT_E_NS1_11comp_targetILNS1_3genE2ELNS1_11target_archE906ELNS1_3gpuE6ELNS1_3repE0EEENS1_30default_config_static_selectorELNS0_4arch9wavefront6targetE1EEEvT1_: ; @_ZN7rocprim17ROCPRIM_400000_NS6detail17trampoline_kernelINS0_14default_configENS1_25transform_config_selectorI11FixedVectorIiLj1EELb1EEEZNS1_14transform_implILb1ES3_S7_PS6_S9_NS0_8identityIS6_EEEE10hipError_tT2_T3_mT4_P12ihipStream_tbEUlT_E_NS1_11comp_targetILNS1_3genE2ELNS1_11target_archE906ELNS1_3gpuE6ELNS1_3repE0EEENS1_30default_config_static_selectorELNS0_4arch9wavefront6targetE1EEEvT1_
; %bb.0:
	.section	.rodata,"a",@progbits
	.p2align	6, 0x0
	.amdhsa_kernel _ZN7rocprim17ROCPRIM_400000_NS6detail17trampoline_kernelINS0_14default_configENS1_25transform_config_selectorI11FixedVectorIiLj1EELb1EEEZNS1_14transform_implILb1ES3_S7_PS6_S9_NS0_8identityIS6_EEEE10hipError_tT2_T3_mT4_P12ihipStream_tbEUlT_E_NS1_11comp_targetILNS1_3genE2ELNS1_11target_archE906ELNS1_3gpuE6ELNS1_3repE0EEENS1_30default_config_static_selectorELNS0_4arch9wavefront6targetE1EEEvT1_
		.amdhsa_group_segment_fixed_size 0
		.amdhsa_private_segment_fixed_size 0
		.amdhsa_kernarg_size 40
		.amdhsa_user_sgpr_count 6
		.amdhsa_user_sgpr_private_segment_buffer 1
		.amdhsa_user_sgpr_dispatch_ptr 0
		.amdhsa_user_sgpr_queue_ptr 0
		.amdhsa_user_sgpr_kernarg_segment_ptr 1
		.amdhsa_user_sgpr_dispatch_id 0
		.amdhsa_user_sgpr_flat_scratch_init 0
		.amdhsa_user_sgpr_kernarg_preload_length 0
		.amdhsa_user_sgpr_kernarg_preload_offset 0
		.amdhsa_user_sgpr_private_segment_size 0
		.amdhsa_uses_dynamic_stack 0
		.amdhsa_system_sgpr_private_segment_wavefront_offset 0
		.amdhsa_system_sgpr_workgroup_id_x 1
		.amdhsa_system_sgpr_workgroup_id_y 0
		.amdhsa_system_sgpr_workgroup_id_z 0
		.amdhsa_system_sgpr_workgroup_info 0
		.amdhsa_system_vgpr_workitem_id 0
		.amdhsa_next_free_vgpr 1
		.amdhsa_next_free_sgpr 0
		.amdhsa_accum_offset 4
		.amdhsa_reserve_vcc 0
		.amdhsa_reserve_flat_scratch 0
		.amdhsa_float_round_mode_32 0
		.amdhsa_float_round_mode_16_64 0
		.amdhsa_float_denorm_mode_32 3
		.amdhsa_float_denorm_mode_16_64 3
		.amdhsa_dx10_clamp 1
		.amdhsa_ieee_mode 1
		.amdhsa_fp16_overflow 0
		.amdhsa_tg_split 0
		.amdhsa_exception_fp_ieee_invalid_op 0
		.amdhsa_exception_fp_denorm_src 0
		.amdhsa_exception_fp_ieee_div_zero 0
		.amdhsa_exception_fp_ieee_overflow 0
		.amdhsa_exception_fp_ieee_underflow 0
		.amdhsa_exception_fp_ieee_inexact 0
		.amdhsa_exception_int_div_zero 0
	.end_amdhsa_kernel
	.section	.text._ZN7rocprim17ROCPRIM_400000_NS6detail17trampoline_kernelINS0_14default_configENS1_25transform_config_selectorI11FixedVectorIiLj1EELb1EEEZNS1_14transform_implILb1ES3_S7_PS6_S9_NS0_8identityIS6_EEEE10hipError_tT2_T3_mT4_P12ihipStream_tbEUlT_E_NS1_11comp_targetILNS1_3genE2ELNS1_11target_archE906ELNS1_3gpuE6ELNS1_3repE0EEENS1_30default_config_static_selectorELNS0_4arch9wavefront6targetE1EEEvT1_,"axG",@progbits,_ZN7rocprim17ROCPRIM_400000_NS6detail17trampoline_kernelINS0_14default_configENS1_25transform_config_selectorI11FixedVectorIiLj1EELb1EEEZNS1_14transform_implILb1ES3_S7_PS6_S9_NS0_8identityIS6_EEEE10hipError_tT2_T3_mT4_P12ihipStream_tbEUlT_E_NS1_11comp_targetILNS1_3genE2ELNS1_11target_archE906ELNS1_3gpuE6ELNS1_3repE0EEENS1_30default_config_static_selectorELNS0_4arch9wavefront6targetE1EEEvT1_,comdat
.Lfunc_end6393:
	.size	_ZN7rocprim17ROCPRIM_400000_NS6detail17trampoline_kernelINS0_14default_configENS1_25transform_config_selectorI11FixedVectorIiLj1EELb1EEEZNS1_14transform_implILb1ES3_S7_PS6_S9_NS0_8identityIS6_EEEE10hipError_tT2_T3_mT4_P12ihipStream_tbEUlT_E_NS1_11comp_targetILNS1_3genE2ELNS1_11target_archE906ELNS1_3gpuE6ELNS1_3repE0EEENS1_30default_config_static_selectorELNS0_4arch9wavefront6targetE1EEEvT1_, .Lfunc_end6393-_ZN7rocprim17ROCPRIM_400000_NS6detail17trampoline_kernelINS0_14default_configENS1_25transform_config_selectorI11FixedVectorIiLj1EELb1EEEZNS1_14transform_implILb1ES3_S7_PS6_S9_NS0_8identityIS6_EEEE10hipError_tT2_T3_mT4_P12ihipStream_tbEUlT_E_NS1_11comp_targetILNS1_3genE2ELNS1_11target_archE906ELNS1_3gpuE6ELNS1_3repE0EEENS1_30default_config_static_selectorELNS0_4arch9wavefront6targetE1EEEvT1_
                                        ; -- End function
	.section	.AMDGPU.csdata,"",@progbits
; Kernel info:
; codeLenInByte = 0
; NumSgprs: 4
; NumVgprs: 0
; NumAgprs: 0
; TotalNumVgprs: 0
; ScratchSize: 0
; MemoryBound: 0
; FloatMode: 240
; IeeeMode: 1
; LDSByteSize: 0 bytes/workgroup (compile time only)
; SGPRBlocks: 0
; VGPRBlocks: 0
; NumSGPRsForWavesPerEU: 4
; NumVGPRsForWavesPerEU: 1
; AccumOffset: 4
; Occupancy: 8
; WaveLimiterHint : 0
; COMPUTE_PGM_RSRC2:SCRATCH_EN: 0
; COMPUTE_PGM_RSRC2:USER_SGPR: 6
; COMPUTE_PGM_RSRC2:TRAP_HANDLER: 0
; COMPUTE_PGM_RSRC2:TGID_X_EN: 1
; COMPUTE_PGM_RSRC2:TGID_Y_EN: 0
; COMPUTE_PGM_RSRC2:TGID_Z_EN: 0
; COMPUTE_PGM_RSRC2:TIDIG_COMP_CNT: 0
; COMPUTE_PGM_RSRC3_GFX90A:ACCUM_OFFSET: 0
; COMPUTE_PGM_RSRC3_GFX90A:TG_SPLIT: 0
	.section	.text._ZN7rocprim17ROCPRIM_400000_NS6detail17trampoline_kernelINS0_14default_configENS1_25transform_config_selectorI11FixedVectorIiLj1EELb1EEEZNS1_14transform_implILb1ES3_S7_PS6_S9_NS0_8identityIS6_EEEE10hipError_tT2_T3_mT4_P12ihipStream_tbEUlT_E_NS1_11comp_targetILNS1_3genE9ELNS1_11target_archE1100ELNS1_3gpuE3ELNS1_3repE0EEENS1_30default_config_static_selectorELNS0_4arch9wavefront6targetE1EEEvT1_,"axG",@progbits,_ZN7rocprim17ROCPRIM_400000_NS6detail17trampoline_kernelINS0_14default_configENS1_25transform_config_selectorI11FixedVectorIiLj1EELb1EEEZNS1_14transform_implILb1ES3_S7_PS6_S9_NS0_8identityIS6_EEEE10hipError_tT2_T3_mT4_P12ihipStream_tbEUlT_E_NS1_11comp_targetILNS1_3genE9ELNS1_11target_archE1100ELNS1_3gpuE3ELNS1_3repE0EEENS1_30default_config_static_selectorELNS0_4arch9wavefront6targetE1EEEvT1_,comdat
	.protected	_ZN7rocprim17ROCPRIM_400000_NS6detail17trampoline_kernelINS0_14default_configENS1_25transform_config_selectorI11FixedVectorIiLj1EELb1EEEZNS1_14transform_implILb1ES3_S7_PS6_S9_NS0_8identityIS6_EEEE10hipError_tT2_T3_mT4_P12ihipStream_tbEUlT_E_NS1_11comp_targetILNS1_3genE9ELNS1_11target_archE1100ELNS1_3gpuE3ELNS1_3repE0EEENS1_30default_config_static_selectorELNS0_4arch9wavefront6targetE1EEEvT1_ ; -- Begin function _ZN7rocprim17ROCPRIM_400000_NS6detail17trampoline_kernelINS0_14default_configENS1_25transform_config_selectorI11FixedVectorIiLj1EELb1EEEZNS1_14transform_implILb1ES3_S7_PS6_S9_NS0_8identityIS6_EEEE10hipError_tT2_T3_mT4_P12ihipStream_tbEUlT_E_NS1_11comp_targetILNS1_3genE9ELNS1_11target_archE1100ELNS1_3gpuE3ELNS1_3repE0EEENS1_30default_config_static_selectorELNS0_4arch9wavefront6targetE1EEEvT1_
	.globl	_ZN7rocprim17ROCPRIM_400000_NS6detail17trampoline_kernelINS0_14default_configENS1_25transform_config_selectorI11FixedVectorIiLj1EELb1EEEZNS1_14transform_implILb1ES3_S7_PS6_S9_NS0_8identityIS6_EEEE10hipError_tT2_T3_mT4_P12ihipStream_tbEUlT_E_NS1_11comp_targetILNS1_3genE9ELNS1_11target_archE1100ELNS1_3gpuE3ELNS1_3repE0EEENS1_30default_config_static_selectorELNS0_4arch9wavefront6targetE1EEEvT1_
	.p2align	8
	.type	_ZN7rocprim17ROCPRIM_400000_NS6detail17trampoline_kernelINS0_14default_configENS1_25transform_config_selectorI11FixedVectorIiLj1EELb1EEEZNS1_14transform_implILb1ES3_S7_PS6_S9_NS0_8identityIS6_EEEE10hipError_tT2_T3_mT4_P12ihipStream_tbEUlT_E_NS1_11comp_targetILNS1_3genE9ELNS1_11target_archE1100ELNS1_3gpuE3ELNS1_3repE0EEENS1_30default_config_static_selectorELNS0_4arch9wavefront6targetE1EEEvT1_,@function
_ZN7rocprim17ROCPRIM_400000_NS6detail17trampoline_kernelINS0_14default_configENS1_25transform_config_selectorI11FixedVectorIiLj1EELb1EEEZNS1_14transform_implILb1ES3_S7_PS6_S9_NS0_8identityIS6_EEEE10hipError_tT2_T3_mT4_P12ihipStream_tbEUlT_E_NS1_11comp_targetILNS1_3genE9ELNS1_11target_archE1100ELNS1_3gpuE3ELNS1_3repE0EEENS1_30default_config_static_selectorELNS0_4arch9wavefront6targetE1EEEvT1_: ; @_ZN7rocprim17ROCPRIM_400000_NS6detail17trampoline_kernelINS0_14default_configENS1_25transform_config_selectorI11FixedVectorIiLj1EELb1EEEZNS1_14transform_implILb1ES3_S7_PS6_S9_NS0_8identityIS6_EEEE10hipError_tT2_T3_mT4_P12ihipStream_tbEUlT_E_NS1_11comp_targetILNS1_3genE9ELNS1_11target_archE1100ELNS1_3gpuE3ELNS1_3repE0EEENS1_30default_config_static_selectorELNS0_4arch9wavefront6targetE1EEEvT1_
; %bb.0:
	.section	.rodata,"a",@progbits
	.p2align	6, 0x0
	.amdhsa_kernel _ZN7rocprim17ROCPRIM_400000_NS6detail17trampoline_kernelINS0_14default_configENS1_25transform_config_selectorI11FixedVectorIiLj1EELb1EEEZNS1_14transform_implILb1ES3_S7_PS6_S9_NS0_8identityIS6_EEEE10hipError_tT2_T3_mT4_P12ihipStream_tbEUlT_E_NS1_11comp_targetILNS1_3genE9ELNS1_11target_archE1100ELNS1_3gpuE3ELNS1_3repE0EEENS1_30default_config_static_selectorELNS0_4arch9wavefront6targetE1EEEvT1_
		.amdhsa_group_segment_fixed_size 0
		.amdhsa_private_segment_fixed_size 0
		.amdhsa_kernarg_size 40
		.amdhsa_user_sgpr_count 6
		.amdhsa_user_sgpr_private_segment_buffer 1
		.amdhsa_user_sgpr_dispatch_ptr 0
		.amdhsa_user_sgpr_queue_ptr 0
		.amdhsa_user_sgpr_kernarg_segment_ptr 1
		.amdhsa_user_sgpr_dispatch_id 0
		.amdhsa_user_sgpr_flat_scratch_init 0
		.amdhsa_user_sgpr_kernarg_preload_length 0
		.amdhsa_user_sgpr_kernarg_preload_offset 0
		.amdhsa_user_sgpr_private_segment_size 0
		.amdhsa_uses_dynamic_stack 0
		.amdhsa_system_sgpr_private_segment_wavefront_offset 0
		.amdhsa_system_sgpr_workgroup_id_x 1
		.amdhsa_system_sgpr_workgroup_id_y 0
		.amdhsa_system_sgpr_workgroup_id_z 0
		.amdhsa_system_sgpr_workgroup_info 0
		.amdhsa_system_vgpr_workitem_id 0
		.amdhsa_next_free_vgpr 1
		.amdhsa_next_free_sgpr 0
		.amdhsa_accum_offset 4
		.amdhsa_reserve_vcc 0
		.amdhsa_reserve_flat_scratch 0
		.amdhsa_float_round_mode_32 0
		.amdhsa_float_round_mode_16_64 0
		.amdhsa_float_denorm_mode_32 3
		.amdhsa_float_denorm_mode_16_64 3
		.amdhsa_dx10_clamp 1
		.amdhsa_ieee_mode 1
		.amdhsa_fp16_overflow 0
		.amdhsa_tg_split 0
		.amdhsa_exception_fp_ieee_invalid_op 0
		.amdhsa_exception_fp_denorm_src 0
		.amdhsa_exception_fp_ieee_div_zero 0
		.amdhsa_exception_fp_ieee_overflow 0
		.amdhsa_exception_fp_ieee_underflow 0
		.amdhsa_exception_fp_ieee_inexact 0
		.amdhsa_exception_int_div_zero 0
	.end_amdhsa_kernel
	.section	.text._ZN7rocprim17ROCPRIM_400000_NS6detail17trampoline_kernelINS0_14default_configENS1_25transform_config_selectorI11FixedVectorIiLj1EELb1EEEZNS1_14transform_implILb1ES3_S7_PS6_S9_NS0_8identityIS6_EEEE10hipError_tT2_T3_mT4_P12ihipStream_tbEUlT_E_NS1_11comp_targetILNS1_3genE9ELNS1_11target_archE1100ELNS1_3gpuE3ELNS1_3repE0EEENS1_30default_config_static_selectorELNS0_4arch9wavefront6targetE1EEEvT1_,"axG",@progbits,_ZN7rocprim17ROCPRIM_400000_NS6detail17trampoline_kernelINS0_14default_configENS1_25transform_config_selectorI11FixedVectorIiLj1EELb1EEEZNS1_14transform_implILb1ES3_S7_PS6_S9_NS0_8identityIS6_EEEE10hipError_tT2_T3_mT4_P12ihipStream_tbEUlT_E_NS1_11comp_targetILNS1_3genE9ELNS1_11target_archE1100ELNS1_3gpuE3ELNS1_3repE0EEENS1_30default_config_static_selectorELNS0_4arch9wavefront6targetE1EEEvT1_,comdat
.Lfunc_end6394:
	.size	_ZN7rocprim17ROCPRIM_400000_NS6detail17trampoline_kernelINS0_14default_configENS1_25transform_config_selectorI11FixedVectorIiLj1EELb1EEEZNS1_14transform_implILb1ES3_S7_PS6_S9_NS0_8identityIS6_EEEE10hipError_tT2_T3_mT4_P12ihipStream_tbEUlT_E_NS1_11comp_targetILNS1_3genE9ELNS1_11target_archE1100ELNS1_3gpuE3ELNS1_3repE0EEENS1_30default_config_static_selectorELNS0_4arch9wavefront6targetE1EEEvT1_, .Lfunc_end6394-_ZN7rocprim17ROCPRIM_400000_NS6detail17trampoline_kernelINS0_14default_configENS1_25transform_config_selectorI11FixedVectorIiLj1EELb1EEEZNS1_14transform_implILb1ES3_S7_PS6_S9_NS0_8identityIS6_EEEE10hipError_tT2_T3_mT4_P12ihipStream_tbEUlT_E_NS1_11comp_targetILNS1_3genE9ELNS1_11target_archE1100ELNS1_3gpuE3ELNS1_3repE0EEENS1_30default_config_static_selectorELNS0_4arch9wavefront6targetE1EEEvT1_
                                        ; -- End function
	.section	.AMDGPU.csdata,"",@progbits
; Kernel info:
; codeLenInByte = 0
; NumSgprs: 4
; NumVgprs: 0
; NumAgprs: 0
; TotalNumVgprs: 0
; ScratchSize: 0
; MemoryBound: 0
; FloatMode: 240
; IeeeMode: 1
; LDSByteSize: 0 bytes/workgroup (compile time only)
; SGPRBlocks: 0
; VGPRBlocks: 0
; NumSGPRsForWavesPerEU: 4
; NumVGPRsForWavesPerEU: 1
; AccumOffset: 4
; Occupancy: 8
; WaveLimiterHint : 0
; COMPUTE_PGM_RSRC2:SCRATCH_EN: 0
; COMPUTE_PGM_RSRC2:USER_SGPR: 6
; COMPUTE_PGM_RSRC2:TRAP_HANDLER: 0
; COMPUTE_PGM_RSRC2:TGID_X_EN: 1
; COMPUTE_PGM_RSRC2:TGID_Y_EN: 0
; COMPUTE_PGM_RSRC2:TGID_Z_EN: 0
; COMPUTE_PGM_RSRC2:TIDIG_COMP_CNT: 0
; COMPUTE_PGM_RSRC3_GFX90A:ACCUM_OFFSET: 0
; COMPUTE_PGM_RSRC3_GFX90A:TG_SPLIT: 0
	.section	.text._ZN7rocprim17ROCPRIM_400000_NS6detail17trampoline_kernelINS0_14default_configENS1_25transform_config_selectorI11FixedVectorIiLj1EELb1EEEZNS1_14transform_implILb1ES3_S7_PS6_S9_NS0_8identityIS6_EEEE10hipError_tT2_T3_mT4_P12ihipStream_tbEUlT_E_NS1_11comp_targetILNS1_3genE8ELNS1_11target_archE1030ELNS1_3gpuE2ELNS1_3repE0EEENS1_30default_config_static_selectorELNS0_4arch9wavefront6targetE1EEEvT1_,"axG",@progbits,_ZN7rocprim17ROCPRIM_400000_NS6detail17trampoline_kernelINS0_14default_configENS1_25transform_config_selectorI11FixedVectorIiLj1EELb1EEEZNS1_14transform_implILb1ES3_S7_PS6_S9_NS0_8identityIS6_EEEE10hipError_tT2_T3_mT4_P12ihipStream_tbEUlT_E_NS1_11comp_targetILNS1_3genE8ELNS1_11target_archE1030ELNS1_3gpuE2ELNS1_3repE0EEENS1_30default_config_static_selectorELNS0_4arch9wavefront6targetE1EEEvT1_,comdat
	.protected	_ZN7rocprim17ROCPRIM_400000_NS6detail17trampoline_kernelINS0_14default_configENS1_25transform_config_selectorI11FixedVectorIiLj1EELb1EEEZNS1_14transform_implILb1ES3_S7_PS6_S9_NS0_8identityIS6_EEEE10hipError_tT2_T3_mT4_P12ihipStream_tbEUlT_E_NS1_11comp_targetILNS1_3genE8ELNS1_11target_archE1030ELNS1_3gpuE2ELNS1_3repE0EEENS1_30default_config_static_selectorELNS0_4arch9wavefront6targetE1EEEvT1_ ; -- Begin function _ZN7rocprim17ROCPRIM_400000_NS6detail17trampoline_kernelINS0_14default_configENS1_25transform_config_selectorI11FixedVectorIiLj1EELb1EEEZNS1_14transform_implILb1ES3_S7_PS6_S9_NS0_8identityIS6_EEEE10hipError_tT2_T3_mT4_P12ihipStream_tbEUlT_E_NS1_11comp_targetILNS1_3genE8ELNS1_11target_archE1030ELNS1_3gpuE2ELNS1_3repE0EEENS1_30default_config_static_selectorELNS0_4arch9wavefront6targetE1EEEvT1_
	.globl	_ZN7rocprim17ROCPRIM_400000_NS6detail17trampoline_kernelINS0_14default_configENS1_25transform_config_selectorI11FixedVectorIiLj1EELb1EEEZNS1_14transform_implILb1ES3_S7_PS6_S9_NS0_8identityIS6_EEEE10hipError_tT2_T3_mT4_P12ihipStream_tbEUlT_E_NS1_11comp_targetILNS1_3genE8ELNS1_11target_archE1030ELNS1_3gpuE2ELNS1_3repE0EEENS1_30default_config_static_selectorELNS0_4arch9wavefront6targetE1EEEvT1_
	.p2align	8
	.type	_ZN7rocprim17ROCPRIM_400000_NS6detail17trampoline_kernelINS0_14default_configENS1_25transform_config_selectorI11FixedVectorIiLj1EELb1EEEZNS1_14transform_implILb1ES3_S7_PS6_S9_NS0_8identityIS6_EEEE10hipError_tT2_T3_mT4_P12ihipStream_tbEUlT_E_NS1_11comp_targetILNS1_3genE8ELNS1_11target_archE1030ELNS1_3gpuE2ELNS1_3repE0EEENS1_30default_config_static_selectorELNS0_4arch9wavefront6targetE1EEEvT1_,@function
_ZN7rocprim17ROCPRIM_400000_NS6detail17trampoline_kernelINS0_14default_configENS1_25transform_config_selectorI11FixedVectorIiLj1EELb1EEEZNS1_14transform_implILb1ES3_S7_PS6_S9_NS0_8identityIS6_EEEE10hipError_tT2_T3_mT4_P12ihipStream_tbEUlT_E_NS1_11comp_targetILNS1_3genE8ELNS1_11target_archE1030ELNS1_3gpuE2ELNS1_3repE0EEENS1_30default_config_static_selectorELNS0_4arch9wavefront6targetE1EEEvT1_: ; @_ZN7rocprim17ROCPRIM_400000_NS6detail17trampoline_kernelINS0_14default_configENS1_25transform_config_selectorI11FixedVectorIiLj1EELb1EEEZNS1_14transform_implILb1ES3_S7_PS6_S9_NS0_8identityIS6_EEEE10hipError_tT2_T3_mT4_P12ihipStream_tbEUlT_E_NS1_11comp_targetILNS1_3genE8ELNS1_11target_archE1030ELNS1_3gpuE2ELNS1_3repE0EEENS1_30default_config_static_selectorELNS0_4arch9wavefront6targetE1EEEvT1_
; %bb.0:
	.section	.rodata,"a",@progbits
	.p2align	6, 0x0
	.amdhsa_kernel _ZN7rocprim17ROCPRIM_400000_NS6detail17trampoline_kernelINS0_14default_configENS1_25transform_config_selectorI11FixedVectorIiLj1EELb1EEEZNS1_14transform_implILb1ES3_S7_PS6_S9_NS0_8identityIS6_EEEE10hipError_tT2_T3_mT4_P12ihipStream_tbEUlT_E_NS1_11comp_targetILNS1_3genE8ELNS1_11target_archE1030ELNS1_3gpuE2ELNS1_3repE0EEENS1_30default_config_static_selectorELNS0_4arch9wavefront6targetE1EEEvT1_
		.amdhsa_group_segment_fixed_size 0
		.amdhsa_private_segment_fixed_size 0
		.amdhsa_kernarg_size 40
		.amdhsa_user_sgpr_count 6
		.amdhsa_user_sgpr_private_segment_buffer 1
		.amdhsa_user_sgpr_dispatch_ptr 0
		.amdhsa_user_sgpr_queue_ptr 0
		.amdhsa_user_sgpr_kernarg_segment_ptr 1
		.amdhsa_user_sgpr_dispatch_id 0
		.amdhsa_user_sgpr_flat_scratch_init 0
		.amdhsa_user_sgpr_kernarg_preload_length 0
		.amdhsa_user_sgpr_kernarg_preload_offset 0
		.amdhsa_user_sgpr_private_segment_size 0
		.amdhsa_uses_dynamic_stack 0
		.amdhsa_system_sgpr_private_segment_wavefront_offset 0
		.amdhsa_system_sgpr_workgroup_id_x 1
		.amdhsa_system_sgpr_workgroup_id_y 0
		.amdhsa_system_sgpr_workgroup_id_z 0
		.amdhsa_system_sgpr_workgroup_info 0
		.amdhsa_system_vgpr_workitem_id 0
		.amdhsa_next_free_vgpr 1
		.amdhsa_next_free_sgpr 0
		.amdhsa_accum_offset 4
		.amdhsa_reserve_vcc 0
		.amdhsa_reserve_flat_scratch 0
		.amdhsa_float_round_mode_32 0
		.amdhsa_float_round_mode_16_64 0
		.amdhsa_float_denorm_mode_32 3
		.amdhsa_float_denorm_mode_16_64 3
		.amdhsa_dx10_clamp 1
		.amdhsa_ieee_mode 1
		.amdhsa_fp16_overflow 0
		.amdhsa_tg_split 0
		.amdhsa_exception_fp_ieee_invalid_op 0
		.amdhsa_exception_fp_denorm_src 0
		.amdhsa_exception_fp_ieee_div_zero 0
		.amdhsa_exception_fp_ieee_overflow 0
		.amdhsa_exception_fp_ieee_underflow 0
		.amdhsa_exception_fp_ieee_inexact 0
		.amdhsa_exception_int_div_zero 0
	.end_amdhsa_kernel
	.section	.text._ZN7rocprim17ROCPRIM_400000_NS6detail17trampoline_kernelINS0_14default_configENS1_25transform_config_selectorI11FixedVectorIiLj1EELb1EEEZNS1_14transform_implILb1ES3_S7_PS6_S9_NS0_8identityIS6_EEEE10hipError_tT2_T3_mT4_P12ihipStream_tbEUlT_E_NS1_11comp_targetILNS1_3genE8ELNS1_11target_archE1030ELNS1_3gpuE2ELNS1_3repE0EEENS1_30default_config_static_selectorELNS0_4arch9wavefront6targetE1EEEvT1_,"axG",@progbits,_ZN7rocprim17ROCPRIM_400000_NS6detail17trampoline_kernelINS0_14default_configENS1_25transform_config_selectorI11FixedVectorIiLj1EELb1EEEZNS1_14transform_implILb1ES3_S7_PS6_S9_NS0_8identityIS6_EEEE10hipError_tT2_T3_mT4_P12ihipStream_tbEUlT_E_NS1_11comp_targetILNS1_3genE8ELNS1_11target_archE1030ELNS1_3gpuE2ELNS1_3repE0EEENS1_30default_config_static_selectorELNS0_4arch9wavefront6targetE1EEEvT1_,comdat
.Lfunc_end6395:
	.size	_ZN7rocprim17ROCPRIM_400000_NS6detail17trampoline_kernelINS0_14default_configENS1_25transform_config_selectorI11FixedVectorIiLj1EELb1EEEZNS1_14transform_implILb1ES3_S7_PS6_S9_NS0_8identityIS6_EEEE10hipError_tT2_T3_mT4_P12ihipStream_tbEUlT_E_NS1_11comp_targetILNS1_3genE8ELNS1_11target_archE1030ELNS1_3gpuE2ELNS1_3repE0EEENS1_30default_config_static_selectorELNS0_4arch9wavefront6targetE1EEEvT1_, .Lfunc_end6395-_ZN7rocprim17ROCPRIM_400000_NS6detail17trampoline_kernelINS0_14default_configENS1_25transform_config_selectorI11FixedVectorIiLj1EELb1EEEZNS1_14transform_implILb1ES3_S7_PS6_S9_NS0_8identityIS6_EEEE10hipError_tT2_T3_mT4_P12ihipStream_tbEUlT_E_NS1_11comp_targetILNS1_3genE8ELNS1_11target_archE1030ELNS1_3gpuE2ELNS1_3repE0EEENS1_30default_config_static_selectorELNS0_4arch9wavefront6targetE1EEEvT1_
                                        ; -- End function
	.section	.AMDGPU.csdata,"",@progbits
; Kernel info:
; codeLenInByte = 0
; NumSgprs: 4
; NumVgprs: 0
; NumAgprs: 0
; TotalNumVgprs: 0
; ScratchSize: 0
; MemoryBound: 0
; FloatMode: 240
; IeeeMode: 1
; LDSByteSize: 0 bytes/workgroup (compile time only)
; SGPRBlocks: 0
; VGPRBlocks: 0
; NumSGPRsForWavesPerEU: 4
; NumVGPRsForWavesPerEU: 1
; AccumOffset: 4
; Occupancy: 8
; WaveLimiterHint : 0
; COMPUTE_PGM_RSRC2:SCRATCH_EN: 0
; COMPUTE_PGM_RSRC2:USER_SGPR: 6
; COMPUTE_PGM_RSRC2:TRAP_HANDLER: 0
; COMPUTE_PGM_RSRC2:TGID_X_EN: 1
; COMPUTE_PGM_RSRC2:TGID_Y_EN: 0
; COMPUTE_PGM_RSRC2:TGID_Z_EN: 0
; COMPUTE_PGM_RSRC2:TIDIG_COMP_CNT: 0
; COMPUTE_PGM_RSRC3_GFX90A:ACCUM_OFFSET: 0
; COMPUTE_PGM_RSRC3_GFX90A:TG_SPLIT: 0
	.section	.text._ZN7rocprim17ROCPRIM_400000_NS6detail17trampoline_kernelINS0_14default_configENS1_20scan_config_selectorI11FixedVectorIiLj1EEEEZZNS1_9scan_implILNS1_25lookback_scan_determinismE0ELb0ELb0ES3_N6thrust23THRUST_200600_302600_NS6detail15normal_iteratorINSB_10device_ptrIS6_EEEESG_S6_NSB_4plusIvEES6_EEDaPvRmT3_T4_T5_mT6_P12ihipStream_tbENKUlT_T0_E_clISt17integral_constantIbLb0EESW_EEDaSR_SS_EUlSR_E0_NS1_11comp_targetILNS1_3genE0ELNS1_11target_archE4294967295ELNS1_3gpuE0ELNS1_3repE0EEENS1_30default_config_static_selectorELNS0_4arch9wavefront6targetE1EEEvT1_,"axG",@progbits,_ZN7rocprim17ROCPRIM_400000_NS6detail17trampoline_kernelINS0_14default_configENS1_20scan_config_selectorI11FixedVectorIiLj1EEEEZZNS1_9scan_implILNS1_25lookback_scan_determinismE0ELb0ELb0ES3_N6thrust23THRUST_200600_302600_NS6detail15normal_iteratorINSB_10device_ptrIS6_EEEESG_S6_NSB_4plusIvEES6_EEDaPvRmT3_T4_T5_mT6_P12ihipStream_tbENKUlT_T0_E_clISt17integral_constantIbLb0EESW_EEDaSR_SS_EUlSR_E0_NS1_11comp_targetILNS1_3genE0ELNS1_11target_archE4294967295ELNS1_3gpuE0ELNS1_3repE0EEENS1_30default_config_static_selectorELNS0_4arch9wavefront6targetE1EEEvT1_,comdat
	.protected	_ZN7rocprim17ROCPRIM_400000_NS6detail17trampoline_kernelINS0_14default_configENS1_20scan_config_selectorI11FixedVectorIiLj1EEEEZZNS1_9scan_implILNS1_25lookback_scan_determinismE0ELb0ELb0ES3_N6thrust23THRUST_200600_302600_NS6detail15normal_iteratorINSB_10device_ptrIS6_EEEESG_S6_NSB_4plusIvEES6_EEDaPvRmT3_T4_T5_mT6_P12ihipStream_tbENKUlT_T0_E_clISt17integral_constantIbLb0EESW_EEDaSR_SS_EUlSR_E0_NS1_11comp_targetILNS1_3genE0ELNS1_11target_archE4294967295ELNS1_3gpuE0ELNS1_3repE0EEENS1_30default_config_static_selectorELNS0_4arch9wavefront6targetE1EEEvT1_ ; -- Begin function _ZN7rocprim17ROCPRIM_400000_NS6detail17trampoline_kernelINS0_14default_configENS1_20scan_config_selectorI11FixedVectorIiLj1EEEEZZNS1_9scan_implILNS1_25lookback_scan_determinismE0ELb0ELb0ES3_N6thrust23THRUST_200600_302600_NS6detail15normal_iteratorINSB_10device_ptrIS6_EEEESG_S6_NSB_4plusIvEES6_EEDaPvRmT3_T4_T5_mT6_P12ihipStream_tbENKUlT_T0_E_clISt17integral_constantIbLb0EESW_EEDaSR_SS_EUlSR_E0_NS1_11comp_targetILNS1_3genE0ELNS1_11target_archE4294967295ELNS1_3gpuE0ELNS1_3repE0EEENS1_30default_config_static_selectorELNS0_4arch9wavefront6targetE1EEEvT1_
	.globl	_ZN7rocprim17ROCPRIM_400000_NS6detail17trampoline_kernelINS0_14default_configENS1_20scan_config_selectorI11FixedVectorIiLj1EEEEZZNS1_9scan_implILNS1_25lookback_scan_determinismE0ELb0ELb0ES3_N6thrust23THRUST_200600_302600_NS6detail15normal_iteratorINSB_10device_ptrIS6_EEEESG_S6_NSB_4plusIvEES6_EEDaPvRmT3_T4_T5_mT6_P12ihipStream_tbENKUlT_T0_E_clISt17integral_constantIbLb0EESW_EEDaSR_SS_EUlSR_E0_NS1_11comp_targetILNS1_3genE0ELNS1_11target_archE4294967295ELNS1_3gpuE0ELNS1_3repE0EEENS1_30default_config_static_selectorELNS0_4arch9wavefront6targetE1EEEvT1_
	.p2align	8
	.type	_ZN7rocprim17ROCPRIM_400000_NS6detail17trampoline_kernelINS0_14default_configENS1_20scan_config_selectorI11FixedVectorIiLj1EEEEZZNS1_9scan_implILNS1_25lookback_scan_determinismE0ELb0ELb0ES3_N6thrust23THRUST_200600_302600_NS6detail15normal_iteratorINSB_10device_ptrIS6_EEEESG_S6_NSB_4plusIvEES6_EEDaPvRmT3_T4_T5_mT6_P12ihipStream_tbENKUlT_T0_E_clISt17integral_constantIbLb0EESW_EEDaSR_SS_EUlSR_E0_NS1_11comp_targetILNS1_3genE0ELNS1_11target_archE4294967295ELNS1_3gpuE0ELNS1_3repE0EEENS1_30default_config_static_selectorELNS0_4arch9wavefront6targetE1EEEvT1_,@function
_ZN7rocprim17ROCPRIM_400000_NS6detail17trampoline_kernelINS0_14default_configENS1_20scan_config_selectorI11FixedVectorIiLj1EEEEZZNS1_9scan_implILNS1_25lookback_scan_determinismE0ELb0ELb0ES3_N6thrust23THRUST_200600_302600_NS6detail15normal_iteratorINSB_10device_ptrIS6_EEEESG_S6_NSB_4plusIvEES6_EEDaPvRmT3_T4_T5_mT6_P12ihipStream_tbENKUlT_T0_E_clISt17integral_constantIbLb0EESW_EEDaSR_SS_EUlSR_E0_NS1_11comp_targetILNS1_3genE0ELNS1_11target_archE4294967295ELNS1_3gpuE0ELNS1_3repE0EEENS1_30default_config_static_selectorELNS0_4arch9wavefront6targetE1EEEvT1_: ; @_ZN7rocprim17ROCPRIM_400000_NS6detail17trampoline_kernelINS0_14default_configENS1_20scan_config_selectorI11FixedVectorIiLj1EEEEZZNS1_9scan_implILNS1_25lookback_scan_determinismE0ELb0ELb0ES3_N6thrust23THRUST_200600_302600_NS6detail15normal_iteratorINSB_10device_ptrIS6_EEEESG_S6_NSB_4plusIvEES6_EEDaPvRmT3_T4_T5_mT6_P12ihipStream_tbENKUlT_T0_E_clISt17integral_constantIbLb0EESW_EEDaSR_SS_EUlSR_E0_NS1_11comp_targetILNS1_3genE0ELNS1_11target_archE4294967295ELNS1_3gpuE0ELNS1_3repE0EEENS1_30default_config_static_selectorELNS0_4arch9wavefront6targetE1EEEvT1_
; %bb.0:
	.section	.rodata,"a",@progbits
	.p2align	6, 0x0
	.amdhsa_kernel _ZN7rocprim17ROCPRIM_400000_NS6detail17trampoline_kernelINS0_14default_configENS1_20scan_config_selectorI11FixedVectorIiLj1EEEEZZNS1_9scan_implILNS1_25lookback_scan_determinismE0ELb0ELb0ES3_N6thrust23THRUST_200600_302600_NS6detail15normal_iteratorINSB_10device_ptrIS6_EEEESG_S6_NSB_4plusIvEES6_EEDaPvRmT3_T4_T5_mT6_P12ihipStream_tbENKUlT_T0_E_clISt17integral_constantIbLb0EESW_EEDaSR_SS_EUlSR_E0_NS1_11comp_targetILNS1_3genE0ELNS1_11target_archE4294967295ELNS1_3gpuE0ELNS1_3repE0EEENS1_30default_config_static_selectorELNS0_4arch9wavefront6targetE1EEEvT1_
		.amdhsa_group_segment_fixed_size 0
		.amdhsa_private_segment_fixed_size 0
		.amdhsa_kernarg_size 32
		.amdhsa_user_sgpr_count 6
		.amdhsa_user_sgpr_private_segment_buffer 1
		.amdhsa_user_sgpr_dispatch_ptr 0
		.amdhsa_user_sgpr_queue_ptr 0
		.amdhsa_user_sgpr_kernarg_segment_ptr 1
		.amdhsa_user_sgpr_dispatch_id 0
		.amdhsa_user_sgpr_flat_scratch_init 0
		.amdhsa_user_sgpr_kernarg_preload_length 0
		.amdhsa_user_sgpr_kernarg_preload_offset 0
		.amdhsa_user_sgpr_private_segment_size 0
		.amdhsa_uses_dynamic_stack 0
		.amdhsa_system_sgpr_private_segment_wavefront_offset 0
		.amdhsa_system_sgpr_workgroup_id_x 1
		.amdhsa_system_sgpr_workgroup_id_y 0
		.amdhsa_system_sgpr_workgroup_id_z 0
		.amdhsa_system_sgpr_workgroup_info 0
		.amdhsa_system_vgpr_workitem_id 0
		.amdhsa_next_free_vgpr 1
		.amdhsa_next_free_sgpr 0
		.amdhsa_accum_offset 4
		.amdhsa_reserve_vcc 0
		.amdhsa_reserve_flat_scratch 0
		.amdhsa_float_round_mode_32 0
		.amdhsa_float_round_mode_16_64 0
		.amdhsa_float_denorm_mode_32 3
		.amdhsa_float_denorm_mode_16_64 3
		.amdhsa_dx10_clamp 1
		.amdhsa_ieee_mode 1
		.amdhsa_fp16_overflow 0
		.amdhsa_tg_split 0
		.amdhsa_exception_fp_ieee_invalid_op 0
		.amdhsa_exception_fp_denorm_src 0
		.amdhsa_exception_fp_ieee_div_zero 0
		.amdhsa_exception_fp_ieee_overflow 0
		.amdhsa_exception_fp_ieee_underflow 0
		.amdhsa_exception_fp_ieee_inexact 0
		.amdhsa_exception_int_div_zero 0
	.end_amdhsa_kernel
	.section	.text._ZN7rocprim17ROCPRIM_400000_NS6detail17trampoline_kernelINS0_14default_configENS1_20scan_config_selectorI11FixedVectorIiLj1EEEEZZNS1_9scan_implILNS1_25lookback_scan_determinismE0ELb0ELb0ES3_N6thrust23THRUST_200600_302600_NS6detail15normal_iteratorINSB_10device_ptrIS6_EEEESG_S6_NSB_4plusIvEES6_EEDaPvRmT3_T4_T5_mT6_P12ihipStream_tbENKUlT_T0_E_clISt17integral_constantIbLb0EESW_EEDaSR_SS_EUlSR_E0_NS1_11comp_targetILNS1_3genE0ELNS1_11target_archE4294967295ELNS1_3gpuE0ELNS1_3repE0EEENS1_30default_config_static_selectorELNS0_4arch9wavefront6targetE1EEEvT1_,"axG",@progbits,_ZN7rocprim17ROCPRIM_400000_NS6detail17trampoline_kernelINS0_14default_configENS1_20scan_config_selectorI11FixedVectorIiLj1EEEEZZNS1_9scan_implILNS1_25lookback_scan_determinismE0ELb0ELb0ES3_N6thrust23THRUST_200600_302600_NS6detail15normal_iteratorINSB_10device_ptrIS6_EEEESG_S6_NSB_4plusIvEES6_EEDaPvRmT3_T4_T5_mT6_P12ihipStream_tbENKUlT_T0_E_clISt17integral_constantIbLb0EESW_EEDaSR_SS_EUlSR_E0_NS1_11comp_targetILNS1_3genE0ELNS1_11target_archE4294967295ELNS1_3gpuE0ELNS1_3repE0EEENS1_30default_config_static_selectorELNS0_4arch9wavefront6targetE1EEEvT1_,comdat
.Lfunc_end6396:
	.size	_ZN7rocprim17ROCPRIM_400000_NS6detail17trampoline_kernelINS0_14default_configENS1_20scan_config_selectorI11FixedVectorIiLj1EEEEZZNS1_9scan_implILNS1_25lookback_scan_determinismE0ELb0ELb0ES3_N6thrust23THRUST_200600_302600_NS6detail15normal_iteratorINSB_10device_ptrIS6_EEEESG_S6_NSB_4plusIvEES6_EEDaPvRmT3_T4_T5_mT6_P12ihipStream_tbENKUlT_T0_E_clISt17integral_constantIbLb0EESW_EEDaSR_SS_EUlSR_E0_NS1_11comp_targetILNS1_3genE0ELNS1_11target_archE4294967295ELNS1_3gpuE0ELNS1_3repE0EEENS1_30default_config_static_selectorELNS0_4arch9wavefront6targetE1EEEvT1_, .Lfunc_end6396-_ZN7rocprim17ROCPRIM_400000_NS6detail17trampoline_kernelINS0_14default_configENS1_20scan_config_selectorI11FixedVectorIiLj1EEEEZZNS1_9scan_implILNS1_25lookback_scan_determinismE0ELb0ELb0ES3_N6thrust23THRUST_200600_302600_NS6detail15normal_iteratorINSB_10device_ptrIS6_EEEESG_S6_NSB_4plusIvEES6_EEDaPvRmT3_T4_T5_mT6_P12ihipStream_tbENKUlT_T0_E_clISt17integral_constantIbLb0EESW_EEDaSR_SS_EUlSR_E0_NS1_11comp_targetILNS1_3genE0ELNS1_11target_archE4294967295ELNS1_3gpuE0ELNS1_3repE0EEENS1_30default_config_static_selectorELNS0_4arch9wavefront6targetE1EEEvT1_
                                        ; -- End function
	.section	.AMDGPU.csdata,"",@progbits
; Kernel info:
; codeLenInByte = 0
; NumSgprs: 4
; NumVgprs: 0
; NumAgprs: 0
; TotalNumVgprs: 0
; ScratchSize: 0
; MemoryBound: 0
; FloatMode: 240
; IeeeMode: 1
; LDSByteSize: 0 bytes/workgroup (compile time only)
; SGPRBlocks: 0
; VGPRBlocks: 0
; NumSGPRsForWavesPerEU: 4
; NumVGPRsForWavesPerEU: 1
; AccumOffset: 4
; Occupancy: 8
; WaveLimiterHint : 0
; COMPUTE_PGM_RSRC2:SCRATCH_EN: 0
; COMPUTE_PGM_RSRC2:USER_SGPR: 6
; COMPUTE_PGM_RSRC2:TRAP_HANDLER: 0
; COMPUTE_PGM_RSRC2:TGID_X_EN: 1
; COMPUTE_PGM_RSRC2:TGID_Y_EN: 0
; COMPUTE_PGM_RSRC2:TGID_Z_EN: 0
; COMPUTE_PGM_RSRC2:TIDIG_COMP_CNT: 0
; COMPUTE_PGM_RSRC3_GFX90A:ACCUM_OFFSET: 0
; COMPUTE_PGM_RSRC3_GFX90A:TG_SPLIT: 0
	.section	.text._ZN7rocprim17ROCPRIM_400000_NS6detail17trampoline_kernelINS0_14default_configENS1_20scan_config_selectorI11FixedVectorIiLj1EEEEZZNS1_9scan_implILNS1_25lookback_scan_determinismE0ELb0ELb0ES3_N6thrust23THRUST_200600_302600_NS6detail15normal_iteratorINSB_10device_ptrIS6_EEEESG_S6_NSB_4plusIvEES6_EEDaPvRmT3_T4_T5_mT6_P12ihipStream_tbENKUlT_T0_E_clISt17integral_constantIbLb0EESW_EEDaSR_SS_EUlSR_E0_NS1_11comp_targetILNS1_3genE5ELNS1_11target_archE942ELNS1_3gpuE9ELNS1_3repE0EEENS1_30default_config_static_selectorELNS0_4arch9wavefront6targetE1EEEvT1_,"axG",@progbits,_ZN7rocprim17ROCPRIM_400000_NS6detail17trampoline_kernelINS0_14default_configENS1_20scan_config_selectorI11FixedVectorIiLj1EEEEZZNS1_9scan_implILNS1_25lookback_scan_determinismE0ELb0ELb0ES3_N6thrust23THRUST_200600_302600_NS6detail15normal_iteratorINSB_10device_ptrIS6_EEEESG_S6_NSB_4plusIvEES6_EEDaPvRmT3_T4_T5_mT6_P12ihipStream_tbENKUlT_T0_E_clISt17integral_constantIbLb0EESW_EEDaSR_SS_EUlSR_E0_NS1_11comp_targetILNS1_3genE5ELNS1_11target_archE942ELNS1_3gpuE9ELNS1_3repE0EEENS1_30default_config_static_selectorELNS0_4arch9wavefront6targetE1EEEvT1_,comdat
	.protected	_ZN7rocprim17ROCPRIM_400000_NS6detail17trampoline_kernelINS0_14default_configENS1_20scan_config_selectorI11FixedVectorIiLj1EEEEZZNS1_9scan_implILNS1_25lookback_scan_determinismE0ELb0ELb0ES3_N6thrust23THRUST_200600_302600_NS6detail15normal_iteratorINSB_10device_ptrIS6_EEEESG_S6_NSB_4plusIvEES6_EEDaPvRmT3_T4_T5_mT6_P12ihipStream_tbENKUlT_T0_E_clISt17integral_constantIbLb0EESW_EEDaSR_SS_EUlSR_E0_NS1_11comp_targetILNS1_3genE5ELNS1_11target_archE942ELNS1_3gpuE9ELNS1_3repE0EEENS1_30default_config_static_selectorELNS0_4arch9wavefront6targetE1EEEvT1_ ; -- Begin function _ZN7rocprim17ROCPRIM_400000_NS6detail17trampoline_kernelINS0_14default_configENS1_20scan_config_selectorI11FixedVectorIiLj1EEEEZZNS1_9scan_implILNS1_25lookback_scan_determinismE0ELb0ELb0ES3_N6thrust23THRUST_200600_302600_NS6detail15normal_iteratorINSB_10device_ptrIS6_EEEESG_S6_NSB_4plusIvEES6_EEDaPvRmT3_T4_T5_mT6_P12ihipStream_tbENKUlT_T0_E_clISt17integral_constantIbLb0EESW_EEDaSR_SS_EUlSR_E0_NS1_11comp_targetILNS1_3genE5ELNS1_11target_archE942ELNS1_3gpuE9ELNS1_3repE0EEENS1_30default_config_static_selectorELNS0_4arch9wavefront6targetE1EEEvT1_
	.globl	_ZN7rocprim17ROCPRIM_400000_NS6detail17trampoline_kernelINS0_14default_configENS1_20scan_config_selectorI11FixedVectorIiLj1EEEEZZNS1_9scan_implILNS1_25lookback_scan_determinismE0ELb0ELb0ES3_N6thrust23THRUST_200600_302600_NS6detail15normal_iteratorINSB_10device_ptrIS6_EEEESG_S6_NSB_4plusIvEES6_EEDaPvRmT3_T4_T5_mT6_P12ihipStream_tbENKUlT_T0_E_clISt17integral_constantIbLb0EESW_EEDaSR_SS_EUlSR_E0_NS1_11comp_targetILNS1_3genE5ELNS1_11target_archE942ELNS1_3gpuE9ELNS1_3repE0EEENS1_30default_config_static_selectorELNS0_4arch9wavefront6targetE1EEEvT1_
	.p2align	8
	.type	_ZN7rocprim17ROCPRIM_400000_NS6detail17trampoline_kernelINS0_14default_configENS1_20scan_config_selectorI11FixedVectorIiLj1EEEEZZNS1_9scan_implILNS1_25lookback_scan_determinismE0ELb0ELb0ES3_N6thrust23THRUST_200600_302600_NS6detail15normal_iteratorINSB_10device_ptrIS6_EEEESG_S6_NSB_4plusIvEES6_EEDaPvRmT3_T4_T5_mT6_P12ihipStream_tbENKUlT_T0_E_clISt17integral_constantIbLb0EESW_EEDaSR_SS_EUlSR_E0_NS1_11comp_targetILNS1_3genE5ELNS1_11target_archE942ELNS1_3gpuE9ELNS1_3repE0EEENS1_30default_config_static_selectorELNS0_4arch9wavefront6targetE1EEEvT1_,@function
_ZN7rocprim17ROCPRIM_400000_NS6detail17trampoline_kernelINS0_14default_configENS1_20scan_config_selectorI11FixedVectorIiLj1EEEEZZNS1_9scan_implILNS1_25lookback_scan_determinismE0ELb0ELb0ES3_N6thrust23THRUST_200600_302600_NS6detail15normal_iteratorINSB_10device_ptrIS6_EEEESG_S6_NSB_4plusIvEES6_EEDaPvRmT3_T4_T5_mT6_P12ihipStream_tbENKUlT_T0_E_clISt17integral_constantIbLb0EESW_EEDaSR_SS_EUlSR_E0_NS1_11comp_targetILNS1_3genE5ELNS1_11target_archE942ELNS1_3gpuE9ELNS1_3repE0EEENS1_30default_config_static_selectorELNS0_4arch9wavefront6targetE1EEEvT1_: ; @_ZN7rocprim17ROCPRIM_400000_NS6detail17trampoline_kernelINS0_14default_configENS1_20scan_config_selectorI11FixedVectorIiLj1EEEEZZNS1_9scan_implILNS1_25lookback_scan_determinismE0ELb0ELb0ES3_N6thrust23THRUST_200600_302600_NS6detail15normal_iteratorINSB_10device_ptrIS6_EEEESG_S6_NSB_4plusIvEES6_EEDaPvRmT3_T4_T5_mT6_P12ihipStream_tbENKUlT_T0_E_clISt17integral_constantIbLb0EESW_EEDaSR_SS_EUlSR_E0_NS1_11comp_targetILNS1_3genE5ELNS1_11target_archE942ELNS1_3gpuE9ELNS1_3repE0EEENS1_30default_config_static_selectorELNS0_4arch9wavefront6targetE1EEEvT1_
; %bb.0:
	.section	.rodata,"a",@progbits
	.p2align	6, 0x0
	.amdhsa_kernel _ZN7rocprim17ROCPRIM_400000_NS6detail17trampoline_kernelINS0_14default_configENS1_20scan_config_selectorI11FixedVectorIiLj1EEEEZZNS1_9scan_implILNS1_25lookback_scan_determinismE0ELb0ELb0ES3_N6thrust23THRUST_200600_302600_NS6detail15normal_iteratorINSB_10device_ptrIS6_EEEESG_S6_NSB_4plusIvEES6_EEDaPvRmT3_T4_T5_mT6_P12ihipStream_tbENKUlT_T0_E_clISt17integral_constantIbLb0EESW_EEDaSR_SS_EUlSR_E0_NS1_11comp_targetILNS1_3genE5ELNS1_11target_archE942ELNS1_3gpuE9ELNS1_3repE0EEENS1_30default_config_static_selectorELNS0_4arch9wavefront6targetE1EEEvT1_
		.amdhsa_group_segment_fixed_size 0
		.amdhsa_private_segment_fixed_size 0
		.amdhsa_kernarg_size 32
		.amdhsa_user_sgpr_count 6
		.amdhsa_user_sgpr_private_segment_buffer 1
		.amdhsa_user_sgpr_dispatch_ptr 0
		.amdhsa_user_sgpr_queue_ptr 0
		.amdhsa_user_sgpr_kernarg_segment_ptr 1
		.amdhsa_user_sgpr_dispatch_id 0
		.amdhsa_user_sgpr_flat_scratch_init 0
		.amdhsa_user_sgpr_kernarg_preload_length 0
		.amdhsa_user_sgpr_kernarg_preload_offset 0
		.amdhsa_user_sgpr_private_segment_size 0
		.amdhsa_uses_dynamic_stack 0
		.amdhsa_system_sgpr_private_segment_wavefront_offset 0
		.amdhsa_system_sgpr_workgroup_id_x 1
		.amdhsa_system_sgpr_workgroup_id_y 0
		.amdhsa_system_sgpr_workgroup_id_z 0
		.amdhsa_system_sgpr_workgroup_info 0
		.amdhsa_system_vgpr_workitem_id 0
		.amdhsa_next_free_vgpr 1
		.amdhsa_next_free_sgpr 0
		.amdhsa_accum_offset 4
		.amdhsa_reserve_vcc 0
		.amdhsa_reserve_flat_scratch 0
		.amdhsa_float_round_mode_32 0
		.amdhsa_float_round_mode_16_64 0
		.amdhsa_float_denorm_mode_32 3
		.amdhsa_float_denorm_mode_16_64 3
		.amdhsa_dx10_clamp 1
		.amdhsa_ieee_mode 1
		.amdhsa_fp16_overflow 0
		.amdhsa_tg_split 0
		.amdhsa_exception_fp_ieee_invalid_op 0
		.amdhsa_exception_fp_denorm_src 0
		.amdhsa_exception_fp_ieee_div_zero 0
		.amdhsa_exception_fp_ieee_overflow 0
		.amdhsa_exception_fp_ieee_underflow 0
		.amdhsa_exception_fp_ieee_inexact 0
		.amdhsa_exception_int_div_zero 0
	.end_amdhsa_kernel
	.section	.text._ZN7rocprim17ROCPRIM_400000_NS6detail17trampoline_kernelINS0_14default_configENS1_20scan_config_selectorI11FixedVectorIiLj1EEEEZZNS1_9scan_implILNS1_25lookback_scan_determinismE0ELb0ELb0ES3_N6thrust23THRUST_200600_302600_NS6detail15normal_iteratorINSB_10device_ptrIS6_EEEESG_S6_NSB_4plusIvEES6_EEDaPvRmT3_T4_T5_mT6_P12ihipStream_tbENKUlT_T0_E_clISt17integral_constantIbLb0EESW_EEDaSR_SS_EUlSR_E0_NS1_11comp_targetILNS1_3genE5ELNS1_11target_archE942ELNS1_3gpuE9ELNS1_3repE0EEENS1_30default_config_static_selectorELNS0_4arch9wavefront6targetE1EEEvT1_,"axG",@progbits,_ZN7rocprim17ROCPRIM_400000_NS6detail17trampoline_kernelINS0_14default_configENS1_20scan_config_selectorI11FixedVectorIiLj1EEEEZZNS1_9scan_implILNS1_25lookback_scan_determinismE0ELb0ELb0ES3_N6thrust23THRUST_200600_302600_NS6detail15normal_iteratorINSB_10device_ptrIS6_EEEESG_S6_NSB_4plusIvEES6_EEDaPvRmT3_T4_T5_mT6_P12ihipStream_tbENKUlT_T0_E_clISt17integral_constantIbLb0EESW_EEDaSR_SS_EUlSR_E0_NS1_11comp_targetILNS1_3genE5ELNS1_11target_archE942ELNS1_3gpuE9ELNS1_3repE0EEENS1_30default_config_static_selectorELNS0_4arch9wavefront6targetE1EEEvT1_,comdat
.Lfunc_end6397:
	.size	_ZN7rocprim17ROCPRIM_400000_NS6detail17trampoline_kernelINS0_14default_configENS1_20scan_config_selectorI11FixedVectorIiLj1EEEEZZNS1_9scan_implILNS1_25lookback_scan_determinismE0ELb0ELb0ES3_N6thrust23THRUST_200600_302600_NS6detail15normal_iteratorINSB_10device_ptrIS6_EEEESG_S6_NSB_4plusIvEES6_EEDaPvRmT3_T4_T5_mT6_P12ihipStream_tbENKUlT_T0_E_clISt17integral_constantIbLb0EESW_EEDaSR_SS_EUlSR_E0_NS1_11comp_targetILNS1_3genE5ELNS1_11target_archE942ELNS1_3gpuE9ELNS1_3repE0EEENS1_30default_config_static_selectorELNS0_4arch9wavefront6targetE1EEEvT1_, .Lfunc_end6397-_ZN7rocprim17ROCPRIM_400000_NS6detail17trampoline_kernelINS0_14default_configENS1_20scan_config_selectorI11FixedVectorIiLj1EEEEZZNS1_9scan_implILNS1_25lookback_scan_determinismE0ELb0ELb0ES3_N6thrust23THRUST_200600_302600_NS6detail15normal_iteratorINSB_10device_ptrIS6_EEEESG_S6_NSB_4plusIvEES6_EEDaPvRmT3_T4_T5_mT6_P12ihipStream_tbENKUlT_T0_E_clISt17integral_constantIbLb0EESW_EEDaSR_SS_EUlSR_E0_NS1_11comp_targetILNS1_3genE5ELNS1_11target_archE942ELNS1_3gpuE9ELNS1_3repE0EEENS1_30default_config_static_selectorELNS0_4arch9wavefront6targetE1EEEvT1_
                                        ; -- End function
	.section	.AMDGPU.csdata,"",@progbits
; Kernel info:
; codeLenInByte = 0
; NumSgprs: 4
; NumVgprs: 0
; NumAgprs: 0
; TotalNumVgprs: 0
; ScratchSize: 0
; MemoryBound: 0
; FloatMode: 240
; IeeeMode: 1
; LDSByteSize: 0 bytes/workgroup (compile time only)
; SGPRBlocks: 0
; VGPRBlocks: 0
; NumSGPRsForWavesPerEU: 4
; NumVGPRsForWavesPerEU: 1
; AccumOffset: 4
; Occupancy: 8
; WaveLimiterHint : 0
; COMPUTE_PGM_RSRC2:SCRATCH_EN: 0
; COMPUTE_PGM_RSRC2:USER_SGPR: 6
; COMPUTE_PGM_RSRC2:TRAP_HANDLER: 0
; COMPUTE_PGM_RSRC2:TGID_X_EN: 1
; COMPUTE_PGM_RSRC2:TGID_Y_EN: 0
; COMPUTE_PGM_RSRC2:TGID_Z_EN: 0
; COMPUTE_PGM_RSRC2:TIDIG_COMP_CNT: 0
; COMPUTE_PGM_RSRC3_GFX90A:ACCUM_OFFSET: 0
; COMPUTE_PGM_RSRC3_GFX90A:TG_SPLIT: 0
	.section	.text._ZN7rocprim17ROCPRIM_400000_NS6detail17trampoline_kernelINS0_14default_configENS1_20scan_config_selectorI11FixedVectorIiLj1EEEEZZNS1_9scan_implILNS1_25lookback_scan_determinismE0ELb0ELb0ES3_N6thrust23THRUST_200600_302600_NS6detail15normal_iteratorINSB_10device_ptrIS6_EEEESG_S6_NSB_4plusIvEES6_EEDaPvRmT3_T4_T5_mT6_P12ihipStream_tbENKUlT_T0_E_clISt17integral_constantIbLb0EESW_EEDaSR_SS_EUlSR_E0_NS1_11comp_targetILNS1_3genE4ELNS1_11target_archE910ELNS1_3gpuE8ELNS1_3repE0EEENS1_30default_config_static_selectorELNS0_4arch9wavefront6targetE1EEEvT1_,"axG",@progbits,_ZN7rocprim17ROCPRIM_400000_NS6detail17trampoline_kernelINS0_14default_configENS1_20scan_config_selectorI11FixedVectorIiLj1EEEEZZNS1_9scan_implILNS1_25lookback_scan_determinismE0ELb0ELb0ES3_N6thrust23THRUST_200600_302600_NS6detail15normal_iteratorINSB_10device_ptrIS6_EEEESG_S6_NSB_4plusIvEES6_EEDaPvRmT3_T4_T5_mT6_P12ihipStream_tbENKUlT_T0_E_clISt17integral_constantIbLb0EESW_EEDaSR_SS_EUlSR_E0_NS1_11comp_targetILNS1_3genE4ELNS1_11target_archE910ELNS1_3gpuE8ELNS1_3repE0EEENS1_30default_config_static_selectorELNS0_4arch9wavefront6targetE1EEEvT1_,comdat
	.protected	_ZN7rocprim17ROCPRIM_400000_NS6detail17trampoline_kernelINS0_14default_configENS1_20scan_config_selectorI11FixedVectorIiLj1EEEEZZNS1_9scan_implILNS1_25lookback_scan_determinismE0ELb0ELb0ES3_N6thrust23THRUST_200600_302600_NS6detail15normal_iteratorINSB_10device_ptrIS6_EEEESG_S6_NSB_4plusIvEES6_EEDaPvRmT3_T4_T5_mT6_P12ihipStream_tbENKUlT_T0_E_clISt17integral_constantIbLb0EESW_EEDaSR_SS_EUlSR_E0_NS1_11comp_targetILNS1_3genE4ELNS1_11target_archE910ELNS1_3gpuE8ELNS1_3repE0EEENS1_30default_config_static_selectorELNS0_4arch9wavefront6targetE1EEEvT1_ ; -- Begin function _ZN7rocprim17ROCPRIM_400000_NS6detail17trampoline_kernelINS0_14default_configENS1_20scan_config_selectorI11FixedVectorIiLj1EEEEZZNS1_9scan_implILNS1_25lookback_scan_determinismE0ELb0ELb0ES3_N6thrust23THRUST_200600_302600_NS6detail15normal_iteratorINSB_10device_ptrIS6_EEEESG_S6_NSB_4plusIvEES6_EEDaPvRmT3_T4_T5_mT6_P12ihipStream_tbENKUlT_T0_E_clISt17integral_constantIbLb0EESW_EEDaSR_SS_EUlSR_E0_NS1_11comp_targetILNS1_3genE4ELNS1_11target_archE910ELNS1_3gpuE8ELNS1_3repE0EEENS1_30default_config_static_selectorELNS0_4arch9wavefront6targetE1EEEvT1_
	.globl	_ZN7rocprim17ROCPRIM_400000_NS6detail17trampoline_kernelINS0_14default_configENS1_20scan_config_selectorI11FixedVectorIiLj1EEEEZZNS1_9scan_implILNS1_25lookback_scan_determinismE0ELb0ELb0ES3_N6thrust23THRUST_200600_302600_NS6detail15normal_iteratorINSB_10device_ptrIS6_EEEESG_S6_NSB_4plusIvEES6_EEDaPvRmT3_T4_T5_mT6_P12ihipStream_tbENKUlT_T0_E_clISt17integral_constantIbLb0EESW_EEDaSR_SS_EUlSR_E0_NS1_11comp_targetILNS1_3genE4ELNS1_11target_archE910ELNS1_3gpuE8ELNS1_3repE0EEENS1_30default_config_static_selectorELNS0_4arch9wavefront6targetE1EEEvT1_
	.p2align	8
	.type	_ZN7rocprim17ROCPRIM_400000_NS6detail17trampoline_kernelINS0_14default_configENS1_20scan_config_selectorI11FixedVectorIiLj1EEEEZZNS1_9scan_implILNS1_25lookback_scan_determinismE0ELb0ELb0ES3_N6thrust23THRUST_200600_302600_NS6detail15normal_iteratorINSB_10device_ptrIS6_EEEESG_S6_NSB_4plusIvEES6_EEDaPvRmT3_T4_T5_mT6_P12ihipStream_tbENKUlT_T0_E_clISt17integral_constantIbLb0EESW_EEDaSR_SS_EUlSR_E0_NS1_11comp_targetILNS1_3genE4ELNS1_11target_archE910ELNS1_3gpuE8ELNS1_3repE0EEENS1_30default_config_static_selectorELNS0_4arch9wavefront6targetE1EEEvT1_,@function
_ZN7rocprim17ROCPRIM_400000_NS6detail17trampoline_kernelINS0_14default_configENS1_20scan_config_selectorI11FixedVectorIiLj1EEEEZZNS1_9scan_implILNS1_25lookback_scan_determinismE0ELb0ELb0ES3_N6thrust23THRUST_200600_302600_NS6detail15normal_iteratorINSB_10device_ptrIS6_EEEESG_S6_NSB_4plusIvEES6_EEDaPvRmT3_T4_T5_mT6_P12ihipStream_tbENKUlT_T0_E_clISt17integral_constantIbLb0EESW_EEDaSR_SS_EUlSR_E0_NS1_11comp_targetILNS1_3genE4ELNS1_11target_archE910ELNS1_3gpuE8ELNS1_3repE0EEENS1_30default_config_static_selectorELNS0_4arch9wavefront6targetE1EEEvT1_: ; @_ZN7rocprim17ROCPRIM_400000_NS6detail17trampoline_kernelINS0_14default_configENS1_20scan_config_selectorI11FixedVectorIiLj1EEEEZZNS1_9scan_implILNS1_25lookback_scan_determinismE0ELb0ELb0ES3_N6thrust23THRUST_200600_302600_NS6detail15normal_iteratorINSB_10device_ptrIS6_EEEESG_S6_NSB_4plusIvEES6_EEDaPvRmT3_T4_T5_mT6_P12ihipStream_tbENKUlT_T0_E_clISt17integral_constantIbLb0EESW_EEDaSR_SS_EUlSR_E0_NS1_11comp_targetILNS1_3genE4ELNS1_11target_archE910ELNS1_3gpuE8ELNS1_3repE0EEENS1_30default_config_static_selectorELNS0_4arch9wavefront6targetE1EEEvT1_
; %bb.0:
	s_load_dwordx4 s[20:23], s[4:5], 0x0
	v_lshlrev_b32_e32 v20, 2, v0
	s_waitcnt lgkmcnt(0)
	s_load_dword s23, s[20:21], 0x0
	v_cmp_gt_u32_e32 vcc, s22, v0
	s_waitcnt lgkmcnt(0)
	v_mov_b32_e32 v1, s23
	s_and_saveexec_b64 s[0:1], vcc
	s_cbranch_execz .LBB6398_2
; %bb.1:
	global_load_dword v1, v20, s[20:21]
.LBB6398_2:
	s_or_b64 exec, exec, s[0:1]
	v_or_b32_e32 v2, 0x80, v0
	v_cmp_gt_u32_e64 s[0:1], s22, v2
	v_mov_b32_e32 v2, s23
	s_and_saveexec_b64 s[2:3], s[0:1]
	s_cbranch_execz .LBB6398_4
; %bb.3:
	global_load_dword v2, v20, s[20:21] offset:512
.LBB6398_4:
	s_or_b64 exec, exec, s[2:3]
	v_or_b32_e32 v3, 0x100, v0
	v_cmp_gt_u32_e64 s[2:3], s22, v3
	v_mov_b32_e32 v3, s23
	s_and_saveexec_b64 s[6:7], s[2:3]
	s_cbranch_execz .LBB6398_6
; %bb.5:
	global_load_dword v3, v20, s[20:21] offset:1024
.LBB6398_6:
	;; [unrolled: 9-line block ×7, first 2 shown]
	s_or_b64 exec, exec, s[14:15]
	v_or_b32_e32 v10, 0x400, v0
	v_cmp_gt_u32_e64 s[14:15], s22, v10
	v_mov_b32_e32 v9, s23
	s_and_saveexec_b64 s[16:17], s[14:15]
	s_cbranch_execz .LBB6398_18
; %bb.17:
	v_lshlrev_b32_e32 v9, 2, v10
	global_load_dword v9, v9, s[20:21]
.LBB6398_18:
	s_or_b64 exec, exec, s[16:17]
	v_or_b32_e32 v11, 0x480, v0
	v_cmp_gt_u32_e64 s[16:17], s22, v11
	v_mov_b32_e32 v10, s23
	s_and_saveexec_b64 s[22:23], s[16:17]
	s_cbranch_execz .LBB6398_20
; %bb.19:
	v_lshlrev_b32_e32 v10, 2, v11
	global_load_dword v10, v10, s[20:21]
.LBB6398_20:
	s_or_b64 exec, exec, s[22:23]
	s_waitcnt vmcnt(0)
	ds_write2st64_b32 v20, v1, v2 offset1:2
	ds_write2st64_b32 v20, v3, v4 offset0:4 offset1:6
	ds_write2st64_b32 v20, v5, v6 offset0:8 offset1:10
	;; [unrolled: 1-line block ×4, first 2 shown]
	v_mad_u32_u24 v1, v0, 36, v20
	s_waitcnt lgkmcnt(0)
	s_barrier
	ds_read2_b64 v[6:9], v1 offset1:1
	ds_read2_b64 v[2:5], v1 offset0:2 offset1:3
	ds_read_b64 v[18:19], v1 offset:32
	v_lshrrev_b32_e32 v21, 3, v0
	v_and_b32_e32 v21, 12, v21
	s_waitcnt lgkmcnt(2)
	v_add_u32_e32 v1, v7, v6
	v_add_u32_e32 v14, v1, v8
	;; [unrolled: 1-line block ×3, first 2 shown]
	s_waitcnt lgkmcnt(1)
	v_add_u32_e32 v10, v15, v2
	v_add_u32_e32 v11, v10, v3
	;; [unrolled: 1-line block ×4, first 2 shown]
	s_waitcnt lgkmcnt(0)
	v_add_u32_e32 v16, v13, v18
	v_add_u32_e32 v17, v16, v19
	;; [unrolled: 1-line block ×3, first 2 shown]
	v_cmp_gt_u32_e64 s[20:21], 64, v0
	s_barrier
	ds_write_b32 v21, v17
	s_waitcnt lgkmcnt(0)
	s_barrier
	s_and_saveexec_b64 s[22:23], s[20:21]
	s_cbranch_execz .LBB6398_22
; %bb.21:
	v_lshlrev_b32_e32 v21, 1, v0
	v_lshrrev_b32_e32 v22, 4, v0
	v_add_lshl_u32 v21, v22, v21, 2
	ds_read2_b32 v[22:23], v21 offset1:1
	v_mbcnt_lo_u32_b32 v24, -1, 0
	v_mbcnt_hi_u32_b32 v24, -1, v24
	v_and_b32_e32 v25, 15, v24
	v_cmp_ne_u32_e64 s[20:21], 0, v25
	s_waitcnt lgkmcnt(0)
	v_add_u32_e32 v23, v23, v22
	; wave barrier
	s_nop 1
	v_mov_b32_dpp v26, v23 row_shr:1 row_mask:0xf bank_mask:0xf
	v_cndmask_b32_e64 v26, 0, v26, s[20:21]
	v_add_u32_e32 v23, v26, v23
	v_cmp_lt_u32_e64 s[20:21], 1, v25
	s_nop 0
	v_mov_b32_dpp v26, v23 row_shr:2 row_mask:0xf bank_mask:0xf
	v_cndmask_b32_e64 v26, 0, v26, s[20:21]
	v_add_u32_e32 v23, v23, v26
	v_cmp_lt_u32_e64 s[20:21], 3, v25
	;; [unrolled: 5-line block ×3, first 2 shown]
	s_nop 0
	v_mov_b32_dpp v26, v23 row_shr:8 row_mask:0xf bank_mask:0xf
	v_cndmask_b32_e64 v25, 0, v26, s[20:21]
	v_add_u32_e32 v23, v23, v25
	v_bfe_i32 v26, v24, 4, 1
	v_cmp_lt_u32_e64 s[20:21], 31, v24
	v_mov_b32_dpp v25, v23 row_bcast:15 row_mask:0xf bank_mask:0xf
	v_and_b32_e32 v25, v26, v25
	v_add_u32_e32 v23, v23, v25
	v_and_b32_e32 v26, 64, v24
	s_nop 0
	v_mov_b32_dpp v25, v23 row_bcast:31 row_mask:0xf bank_mask:0xf
	v_cndmask_b32_e64 v25, 0, v25, s[20:21]
	v_add_u32_e32 v23, v23, v25
	v_add_u32_e32 v25, -1, v24
	v_cmp_lt_i32_e64 s[20:21], v25, v26
	v_cndmask_b32_e64 v24, v25, v24, s[20:21]
	v_lshlrev_b32_e32 v24, 2, v24
	ds_bpermute_b32 v23, v24, v23
	v_cmp_eq_u32_e64 s[20:21], 0, v0
	s_waitcnt lgkmcnt(0)
	v_add_u32_e32 v22, v23, v22
	v_cndmask_b32_e64 v22, v22, v17, s[20:21]
	ds_write_b32 v21, v22
	; wave barrier
	ds_read_b32 v23, v21 offset:4
	s_waitcnt lgkmcnt(0)
	v_add_u32_e32 v22, v23, v22
	ds_write_b32 v21, v22 offset:4
.LBB6398_22:
	s_or_b64 exec, exec, s[22:23]
	s_load_dwordx2 s[20:21], s[4:5], 0x18
	v_cmp_ne_u32_e64 s[4:5], 0, v0
	v_mov_b32_e32 v22, v17
	s_waitcnt lgkmcnt(0)
	s_barrier
	s_and_saveexec_b64 s[22:23], s[4:5]
	s_cbranch_execz .LBB6398_24
; %bb.23:
	v_add_u32_e32 v21, -1, v0
	v_lshrrev_b32_e32 v22, 5, v21
	v_add_lshl_u32 v21, v22, v21, 2
	ds_read_b32 v22, v21
.LBB6398_24:
	s_or_b64 exec, exec, s[22:23]
	v_mul_u32_u24_e32 v21, 36, v0
	v_mov_b32_e32 v0, v6
	s_and_saveexec_b64 s[22:23], s[4:5]
	s_cbranch_execz .LBB6398_26
; %bb.25:
	s_waitcnt lgkmcnt(0)
	v_add_u32_e32 v0, v22, v6
	v_add_u32_e32 v1, v0, v7
	;; [unrolled: 1-line block ×10, first 2 shown]
	;;#ASMSTART
	;;#ASMEND
.LBB6398_26:
	s_or_b64 exec, exec, s[22:23]
	v_add_u32_e32 v2, v20, v21
	s_waitcnt lgkmcnt(0)
	s_barrier
	ds_write2_b64 v2, v[0:1], v[14:15] offset1:1
	ds_write2_b64 v2, v[10:11], v[12:13] offset0:2 offset1:3
	ds_write_b64 v2, v[16:17] offset:32
	s_waitcnt lgkmcnt(0)
	s_barrier
	ds_read2st64_b32 v[8:9], v20 offset0:2 offset1:4
	ds_read2st64_b32 v[6:7], v20 offset0:6 offset1:8
	;; [unrolled: 1-line block ×4, first 2 shown]
	ds_read_b32 v10, v20 offset:4608
	v_mov_b32_e32 v1, s21
	v_add_co_u32_e64 v0, s[4:5], s20, v20
	v_addc_co_u32_e64 v1, s[4:5], 0, v1, s[4:5]
	s_and_saveexec_b64 s[4:5], vcc
	s_cbranch_execnz .LBB6398_37
; %bb.27:
	s_or_b64 exec, exec, s[4:5]
	s_and_saveexec_b64 s[4:5], s[0:1]
	s_cbranch_execnz .LBB6398_38
.LBB6398_28:
	s_or_b64 exec, exec, s[4:5]
	s_and_saveexec_b64 s[0:1], s[2:3]
	s_cbranch_execnz .LBB6398_39
.LBB6398_29:
	s_or_b64 exec, exec, s[0:1]
	s_and_saveexec_b64 s[0:1], s[18:19]
	s_cbranch_execnz .LBB6398_40
.LBB6398_30:
	s_or_b64 exec, exec, s[0:1]
	s_and_saveexec_b64 s[0:1], s[6:7]
	s_cbranch_execnz .LBB6398_41
.LBB6398_31:
	s_or_b64 exec, exec, s[0:1]
	s_and_saveexec_b64 s[0:1], s[8:9]
	s_cbranch_execnz .LBB6398_42
.LBB6398_32:
	s_or_b64 exec, exec, s[0:1]
	s_and_saveexec_b64 s[0:1], s[10:11]
	s_cbranch_execnz .LBB6398_43
.LBB6398_33:
	s_or_b64 exec, exec, s[0:1]
	s_and_saveexec_b64 s[0:1], s[12:13]
	s_cbranch_execnz .LBB6398_44
.LBB6398_34:
	s_or_b64 exec, exec, s[0:1]
	s_and_saveexec_b64 s[0:1], s[14:15]
	s_cbranch_execnz .LBB6398_45
.LBB6398_35:
	s_or_b64 exec, exec, s[0:1]
	s_and_saveexec_b64 s[0:1], s[16:17]
	s_cbranch_execnz .LBB6398_46
.LBB6398_36:
	s_endpgm
.LBB6398_37:
	ds_read_b32 v11, v20
	s_waitcnt lgkmcnt(0)
	global_store_dword v[0:1], v11, off
	s_or_b64 exec, exec, s[4:5]
	s_and_saveexec_b64 s[4:5], s[0:1]
	s_cbranch_execz .LBB6398_28
.LBB6398_38:
	s_waitcnt lgkmcnt(4)
	global_store_dword v[0:1], v8, off offset:512
	s_or_b64 exec, exec, s[4:5]
	s_and_saveexec_b64 s[0:1], s[2:3]
	s_cbranch_execz .LBB6398_29
.LBB6398_39:
	s_waitcnt lgkmcnt(4)
	global_store_dword v[0:1], v9, off offset:1024
	s_or_b64 exec, exec, s[0:1]
	s_and_saveexec_b64 s[0:1], s[18:19]
	s_cbranch_execz .LBB6398_30
.LBB6398_40:
	s_waitcnt lgkmcnt(3)
	global_store_dword v[0:1], v6, off offset:1536
	s_or_b64 exec, exec, s[0:1]
	s_and_saveexec_b64 s[0:1], s[6:7]
	s_cbranch_execz .LBB6398_31
.LBB6398_41:
	s_waitcnt lgkmcnt(3)
	global_store_dword v[0:1], v7, off offset:2048
	s_or_b64 exec, exec, s[0:1]
	s_and_saveexec_b64 s[0:1], s[8:9]
	s_cbranch_execz .LBB6398_32
.LBB6398_42:
	s_waitcnt lgkmcnt(2)
	global_store_dword v[0:1], v4, off offset:2560
	s_or_b64 exec, exec, s[0:1]
	s_and_saveexec_b64 s[0:1], s[10:11]
	s_cbranch_execz .LBB6398_33
.LBB6398_43:
	s_waitcnt lgkmcnt(2)
	global_store_dword v[0:1], v5, off offset:3072
	s_or_b64 exec, exec, s[0:1]
	s_and_saveexec_b64 s[0:1], s[12:13]
	s_cbranch_execz .LBB6398_34
.LBB6398_44:
	s_waitcnt lgkmcnt(1)
	global_store_dword v[0:1], v2, off offset:3584
	s_or_b64 exec, exec, s[0:1]
	s_and_saveexec_b64 s[0:1], s[14:15]
	s_cbranch_execz .LBB6398_35
.LBB6398_45:
	s_waitcnt lgkmcnt(2)
	v_add_co_u32_e32 v4, vcc, 0x1000, v0
	v_addc_co_u32_e32 v5, vcc, 0, v1, vcc
	s_waitcnt lgkmcnt(1)
	global_store_dword v[4:5], v3, off
	s_or_b64 exec, exec, s[0:1]
	s_and_saveexec_b64 s[0:1], s[16:17]
	s_cbranch_execz .LBB6398_36
.LBB6398_46:
	v_add_co_u32_e32 v0, vcc, 0x1000, v0
	v_addc_co_u32_e32 v1, vcc, 0, v1, vcc
	s_waitcnt lgkmcnt(0)
	global_store_dword v[0:1], v10, off offset:512
	s_endpgm
	.section	.rodata,"a",@progbits
	.p2align	6, 0x0
	.amdhsa_kernel _ZN7rocprim17ROCPRIM_400000_NS6detail17trampoline_kernelINS0_14default_configENS1_20scan_config_selectorI11FixedVectorIiLj1EEEEZZNS1_9scan_implILNS1_25lookback_scan_determinismE0ELb0ELb0ES3_N6thrust23THRUST_200600_302600_NS6detail15normal_iteratorINSB_10device_ptrIS6_EEEESG_S6_NSB_4plusIvEES6_EEDaPvRmT3_T4_T5_mT6_P12ihipStream_tbENKUlT_T0_E_clISt17integral_constantIbLb0EESW_EEDaSR_SS_EUlSR_E0_NS1_11comp_targetILNS1_3genE4ELNS1_11target_archE910ELNS1_3gpuE8ELNS1_3repE0EEENS1_30default_config_static_selectorELNS0_4arch9wavefront6targetE1EEEvT1_
		.amdhsa_group_segment_fixed_size 5120
		.amdhsa_private_segment_fixed_size 0
		.amdhsa_kernarg_size 32
		.amdhsa_user_sgpr_count 6
		.amdhsa_user_sgpr_private_segment_buffer 1
		.amdhsa_user_sgpr_dispatch_ptr 0
		.amdhsa_user_sgpr_queue_ptr 0
		.amdhsa_user_sgpr_kernarg_segment_ptr 1
		.amdhsa_user_sgpr_dispatch_id 0
		.amdhsa_user_sgpr_flat_scratch_init 0
		.amdhsa_user_sgpr_kernarg_preload_length 0
		.amdhsa_user_sgpr_kernarg_preload_offset 0
		.amdhsa_user_sgpr_private_segment_size 0
		.amdhsa_uses_dynamic_stack 0
		.amdhsa_system_sgpr_private_segment_wavefront_offset 0
		.amdhsa_system_sgpr_workgroup_id_x 1
		.amdhsa_system_sgpr_workgroup_id_y 0
		.amdhsa_system_sgpr_workgroup_id_z 0
		.amdhsa_system_sgpr_workgroup_info 0
		.amdhsa_system_vgpr_workitem_id 0
		.amdhsa_next_free_vgpr 27
		.amdhsa_next_free_sgpr 24
		.amdhsa_accum_offset 28
		.amdhsa_reserve_vcc 1
		.amdhsa_reserve_flat_scratch 0
		.amdhsa_float_round_mode_32 0
		.amdhsa_float_round_mode_16_64 0
		.amdhsa_float_denorm_mode_32 3
		.amdhsa_float_denorm_mode_16_64 3
		.amdhsa_dx10_clamp 1
		.amdhsa_ieee_mode 1
		.amdhsa_fp16_overflow 0
		.amdhsa_tg_split 0
		.amdhsa_exception_fp_ieee_invalid_op 0
		.amdhsa_exception_fp_denorm_src 0
		.amdhsa_exception_fp_ieee_div_zero 0
		.amdhsa_exception_fp_ieee_overflow 0
		.amdhsa_exception_fp_ieee_underflow 0
		.amdhsa_exception_fp_ieee_inexact 0
		.amdhsa_exception_int_div_zero 0
	.end_amdhsa_kernel
	.section	.text._ZN7rocprim17ROCPRIM_400000_NS6detail17trampoline_kernelINS0_14default_configENS1_20scan_config_selectorI11FixedVectorIiLj1EEEEZZNS1_9scan_implILNS1_25lookback_scan_determinismE0ELb0ELb0ES3_N6thrust23THRUST_200600_302600_NS6detail15normal_iteratorINSB_10device_ptrIS6_EEEESG_S6_NSB_4plusIvEES6_EEDaPvRmT3_T4_T5_mT6_P12ihipStream_tbENKUlT_T0_E_clISt17integral_constantIbLb0EESW_EEDaSR_SS_EUlSR_E0_NS1_11comp_targetILNS1_3genE4ELNS1_11target_archE910ELNS1_3gpuE8ELNS1_3repE0EEENS1_30default_config_static_selectorELNS0_4arch9wavefront6targetE1EEEvT1_,"axG",@progbits,_ZN7rocprim17ROCPRIM_400000_NS6detail17trampoline_kernelINS0_14default_configENS1_20scan_config_selectorI11FixedVectorIiLj1EEEEZZNS1_9scan_implILNS1_25lookback_scan_determinismE0ELb0ELb0ES3_N6thrust23THRUST_200600_302600_NS6detail15normal_iteratorINSB_10device_ptrIS6_EEEESG_S6_NSB_4plusIvEES6_EEDaPvRmT3_T4_T5_mT6_P12ihipStream_tbENKUlT_T0_E_clISt17integral_constantIbLb0EESW_EEDaSR_SS_EUlSR_E0_NS1_11comp_targetILNS1_3genE4ELNS1_11target_archE910ELNS1_3gpuE8ELNS1_3repE0EEENS1_30default_config_static_selectorELNS0_4arch9wavefront6targetE1EEEvT1_,comdat
.Lfunc_end6398:
	.size	_ZN7rocprim17ROCPRIM_400000_NS6detail17trampoline_kernelINS0_14default_configENS1_20scan_config_selectorI11FixedVectorIiLj1EEEEZZNS1_9scan_implILNS1_25lookback_scan_determinismE0ELb0ELb0ES3_N6thrust23THRUST_200600_302600_NS6detail15normal_iteratorINSB_10device_ptrIS6_EEEESG_S6_NSB_4plusIvEES6_EEDaPvRmT3_T4_T5_mT6_P12ihipStream_tbENKUlT_T0_E_clISt17integral_constantIbLb0EESW_EEDaSR_SS_EUlSR_E0_NS1_11comp_targetILNS1_3genE4ELNS1_11target_archE910ELNS1_3gpuE8ELNS1_3repE0EEENS1_30default_config_static_selectorELNS0_4arch9wavefront6targetE1EEEvT1_, .Lfunc_end6398-_ZN7rocprim17ROCPRIM_400000_NS6detail17trampoline_kernelINS0_14default_configENS1_20scan_config_selectorI11FixedVectorIiLj1EEEEZZNS1_9scan_implILNS1_25lookback_scan_determinismE0ELb0ELb0ES3_N6thrust23THRUST_200600_302600_NS6detail15normal_iteratorINSB_10device_ptrIS6_EEEESG_S6_NSB_4plusIvEES6_EEDaPvRmT3_T4_T5_mT6_P12ihipStream_tbENKUlT_T0_E_clISt17integral_constantIbLb0EESW_EEDaSR_SS_EUlSR_E0_NS1_11comp_targetILNS1_3genE4ELNS1_11target_archE910ELNS1_3gpuE8ELNS1_3repE0EEENS1_30default_config_static_selectorELNS0_4arch9wavefront6targetE1EEEvT1_
                                        ; -- End function
	.section	.AMDGPU.csdata,"",@progbits
; Kernel info:
; codeLenInByte = 1556
; NumSgprs: 28
; NumVgprs: 27
; NumAgprs: 0
; TotalNumVgprs: 27
; ScratchSize: 0
; MemoryBound: 0
; FloatMode: 240
; IeeeMode: 1
; LDSByteSize: 5120 bytes/workgroup (compile time only)
; SGPRBlocks: 3
; VGPRBlocks: 3
; NumSGPRsForWavesPerEU: 28
; NumVGPRsForWavesPerEU: 27
; AccumOffset: 28
; Occupancy: 6
; WaveLimiterHint : 0
; COMPUTE_PGM_RSRC2:SCRATCH_EN: 0
; COMPUTE_PGM_RSRC2:USER_SGPR: 6
; COMPUTE_PGM_RSRC2:TRAP_HANDLER: 0
; COMPUTE_PGM_RSRC2:TGID_X_EN: 1
; COMPUTE_PGM_RSRC2:TGID_Y_EN: 0
; COMPUTE_PGM_RSRC2:TGID_Z_EN: 0
; COMPUTE_PGM_RSRC2:TIDIG_COMP_CNT: 0
; COMPUTE_PGM_RSRC3_GFX90A:ACCUM_OFFSET: 6
; COMPUTE_PGM_RSRC3_GFX90A:TG_SPLIT: 0
	.section	.text._ZN7rocprim17ROCPRIM_400000_NS6detail17trampoline_kernelINS0_14default_configENS1_20scan_config_selectorI11FixedVectorIiLj1EEEEZZNS1_9scan_implILNS1_25lookback_scan_determinismE0ELb0ELb0ES3_N6thrust23THRUST_200600_302600_NS6detail15normal_iteratorINSB_10device_ptrIS6_EEEESG_S6_NSB_4plusIvEES6_EEDaPvRmT3_T4_T5_mT6_P12ihipStream_tbENKUlT_T0_E_clISt17integral_constantIbLb0EESW_EEDaSR_SS_EUlSR_E0_NS1_11comp_targetILNS1_3genE3ELNS1_11target_archE908ELNS1_3gpuE7ELNS1_3repE0EEENS1_30default_config_static_selectorELNS0_4arch9wavefront6targetE1EEEvT1_,"axG",@progbits,_ZN7rocprim17ROCPRIM_400000_NS6detail17trampoline_kernelINS0_14default_configENS1_20scan_config_selectorI11FixedVectorIiLj1EEEEZZNS1_9scan_implILNS1_25lookback_scan_determinismE0ELb0ELb0ES3_N6thrust23THRUST_200600_302600_NS6detail15normal_iteratorINSB_10device_ptrIS6_EEEESG_S6_NSB_4plusIvEES6_EEDaPvRmT3_T4_T5_mT6_P12ihipStream_tbENKUlT_T0_E_clISt17integral_constantIbLb0EESW_EEDaSR_SS_EUlSR_E0_NS1_11comp_targetILNS1_3genE3ELNS1_11target_archE908ELNS1_3gpuE7ELNS1_3repE0EEENS1_30default_config_static_selectorELNS0_4arch9wavefront6targetE1EEEvT1_,comdat
	.protected	_ZN7rocprim17ROCPRIM_400000_NS6detail17trampoline_kernelINS0_14default_configENS1_20scan_config_selectorI11FixedVectorIiLj1EEEEZZNS1_9scan_implILNS1_25lookback_scan_determinismE0ELb0ELb0ES3_N6thrust23THRUST_200600_302600_NS6detail15normal_iteratorINSB_10device_ptrIS6_EEEESG_S6_NSB_4plusIvEES6_EEDaPvRmT3_T4_T5_mT6_P12ihipStream_tbENKUlT_T0_E_clISt17integral_constantIbLb0EESW_EEDaSR_SS_EUlSR_E0_NS1_11comp_targetILNS1_3genE3ELNS1_11target_archE908ELNS1_3gpuE7ELNS1_3repE0EEENS1_30default_config_static_selectorELNS0_4arch9wavefront6targetE1EEEvT1_ ; -- Begin function _ZN7rocprim17ROCPRIM_400000_NS6detail17trampoline_kernelINS0_14default_configENS1_20scan_config_selectorI11FixedVectorIiLj1EEEEZZNS1_9scan_implILNS1_25lookback_scan_determinismE0ELb0ELb0ES3_N6thrust23THRUST_200600_302600_NS6detail15normal_iteratorINSB_10device_ptrIS6_EEEESG_S6_NSB_4plusIvEES6_EEDaPvRmT3_T4_T5_mT6_P12ihipStream_tbENKUlT_T0_E_clISt17integral_constantIbLb0EESW_EEDaSR_SS_EUlSR_E0_NS1_11comp_targetILNS1_3genE3ELNS1_11target_archE908ELNS1_3gpuE7ELNS1_3repE0EEENS1_30default_config_static_selectorELNS0_4arch9wavefront6targetE1EEEvT1_
	.globl	_ZN7rocprim17ROCPRIM_400000_NS6detail17trampoline_kernelINS0_14default_configENS1_20scan_config_selectorI11FixedVectorIiLj1EEEEZZNS1_9scan_implILNS1_25lookback_scan_determinismE0ELb0ELb0ES3_N6thrust23THRUST_200600_302600_NS6detail15normal_iteratorINSB_10device_ptrIS6_EEEESG_S6_NSB_4plusIvEES6_EEDaPvRmT3_T4_T5_mT6_P12ihipStream_tbENKUlT_T0_E_clISt17integral_constantIbLb0EESW_EEDaSR_SS_EUlSR_E0_NS1_11comp_targetILNS1_3genE3ELNS1_11target_archE908ELNS1_3gpuE7ELNS1_3repE0EEENS1_30default_config_static_selectorELNS0_4arch9wavefront6targetE1EEEvT1_
	.p2align	8
	.type	_ZN7rocprim17ROCPRIM_400000_NS6detail17trampoline_kernelINS0_14default_configENS1_20scan_config_selectorI11FixedVectorIiLj1EEEEZZNS1_9scan_implILNS1_25lookback_scan_determinismE0ELb0ELb0ES3_N6thrust23THRUST_200600_302600_NS6detail15normal_iteratorINSB_10device_ptrIS6_EEEESG_S6_NSB_4plusIvEES6_EEDaPvRmT3_T4_T5_mT6_P12ihipStream_tbENKUlT_T0_E_clISt17integral_constantIbLb0EESW_EEDaSR_SS_EUlSR_E0_NS1_11comp_targetILNS1_3genE3ELNS1_11target_archE908ELNS1_3gpuE7ELNS1_3repE0EEENS1_30default_config_static_selectorELNS0_4arch9wavefront6targetE1EEEvT1_,@function
_ZN7rocprim17ROCPRIM_400000_NS6detail17trampoline_kernelINS0_14default_configENS1_20scan_config_selectorI11FixedVectorIiLj1EEEEZZNS1_9scan_implILNS1_25lookback_scan_determinismE0ELb0ELb0ES3_N6thrust23THRUST_200600_302600_NS6detail15normal_iteratorINSB_10device_ptrIS6_EEEESG_S6_NSB_4plusIvEES6_EEDaPvRmT3_T4_T5_mT6_P12ihipStream_tbENKUlT_T0_E_clISt17integral_constantIbLb0EESW_EEDaSR_SS_EUlSR_E0_NS1_11comp_targetILNS1_3genE3ELNS1_11target_archE908ELNS1_3gpuE7ELNS1_3repE0EEENS1_30default_config_static_selectorELNS0_4arch9wavefront6targetE1EEEvT1_: ; @_ZN7rocprim17ROCPRIM_400000_NS6detail17trampoline_kernelINS0_14default_configENS1_20scan_config_selectorI11FixedVectorIiLj1EEEEZZNS1_9scan_implILNS1_25lookback_scan_determinismE0ELb0ELb0ES3_N6thrust23THRUST_200600_302600_NS6detail15normal_iteratorINSB_10device_ptrIS6_EEEESG_S6_NSB_4plusIvEES6_EEDaPvRmT3_T4_T5_mT6_P12ihipStream_tbENKUlT_T0_E_clISt17integral_constantIbLb0EESW_EEDaSR_SS_EUlSR_E0_NS1_11comp_targetILNS1_3genE3ELNS1_11target_archE908ELNS1_3gpuE7ELNS1_3repE0EEENS1_30default_config_static_selectorELNS0_4arch9wavefront6targetE1EEEvT1_
; %bb.0:
	.section	.rodata,"a",@progbits
	.p2align	6, 0x0
	.amdhsa_kernel _ZN7rocprim17ROCPRIM_400000_NS6detail17trampoline_kernelINS0_14default_configENS1_20scan_config_selectorI11FixedVectorIiLj1EEEEZZNS1_9scan_implILNS1_25lookback_scan_determinismE0ELb0ELb0ES3_N6thrust23THRUST_200600_302600_NS6detail15normal_iteratorINSB_10device_ptrIS6_EEEESG_S6_NSB_4plusIvEES6_EEDaPvRmT3_T4_T5_mT6_P12ihipStream_tbENKUlT_T0_E_clISt17integral_constantIbLb0EESW_EEDaSR_SS_EUlSR_E0_NS1_11comp_targetILNS1_3genE3ELNS1_11target_archE908ELNS1_3gpuE7ELNS1_3repE0EEENS1_30default_config_static_selectorELNS0_4arch9wavefront6targetE1EEEvT1_
		.amdhsa_group_segment_fixed_size 0
		.amdhsa_private_segment_fixed_size 0
		.amdhsa_kernarg_size 32
		.amdhsa_user_sgpr_count 6
		.amdhsa_user_sgpr_private_segment_buffer 1
		.amdhsa_user_sgpr_dispatch_ptr 0
		.amdhsa_user_sgpr_queue_ptr 0
		.amdhsa_user_sgpr_kernarg_segment_ptr 1
		.amdhsa_user_sgpr_dispatch_id 0
		.amdhsa_user_sgpr_flat_scratch_init 0
		.amdhsa_user_sgpr_kernarg_preload_length 0
		.amdhsa_user_sgpr_kernarg_preload_offset 0
		.amdhsa_user_sgpr_private_segment_size 0
		.amdhsa_uses_dynamic_stack 0
		.amdhsa_system_sgpr_private_segment_wavefront_offset 0
		.amdhsa_system_sgpr_workgroup_id_x 1
		.amdhsa_system_sgpr_workgroup_id_y 0
		.amdhsa_system_sgpr_workgroup_id_z 0
		.amdhsa_system_sgpr_workgroup_info 0
		.amdhsa_system_vgpr_workitem_id 0
		.amdhsa_next_free_vgpr 1
		.amdhsa_next_free_sgpr 0
		.amdhsa_accum_offset 4
		.amdhsa_reserve_vcc 0
		.amdhsa_reserve_flat_scratch 0
		.amdhsa_float_round_mode_32 0
		.amdhsa_float_round_mode_16_64 0
		.amdhsa_float_denorm_mode_32 3
		.amdhsa_float_denorm_mode_16_64 3
		.amdhsa_dx10_clamp 1
		.amdhsa_ieee_mode 1
		.amdhsa_fp16_overflow 0
		.amdhsa_tg_split 0
		.amdhsa_exception_fp_ieee_invalid_op 0
		.amdhsa_exception_fp_denorm_src 0
		.amdhsa_exception_fp_ieee_div_zero 0
		.amdhsa_exception_fp_ieee_overflow 0
		.amdhsa_exception_fp_ieee_underflow 0
		.amdhsa_exception_fp_ieee_inexact 0
		.amdhsa_exception_int_div_zero 0
	.end_amdhsa_kernel
	.section	.text._ZN7rocprim17ROCPRIM_400000_NS6detail17trampoline_kernelINS0_14default_configENS1_20scan_config_selectorI11FixedVectorIiLj1EEEEZZNS1_9scan_implILNS1_25lookback_scan_determinismE0ELb0ELb0ES3_N6thrust23THRUST_200600_302600_NS6detail15normal_iteratorINSB_10device_ptrIS6_EEEESG_S6_NSB_4plusIvEES6_EEDaPvRmT3_T4_T5_mT6_P12ihipStream_tbENKUlT_T0_E_clISt17integral_constantIbLb0EESW_EEDaSR_SS_EUlSR_E0_NS1_11comp_targetILNS1_3genE3ELNS1_11target_archE908ELNS1_3gpuE7ELNS1_3repE0EEENS1_30default_config_static_selectorELNS0_4arch9wavefront6targetE1EEEvT1_,"axG",@progbits,_ZN7rocprim17ROCPRIM_400000_NS6detail17trampoline_kernelINS0_14default_configENS1_20scan_config_selectorI11FixedVectorIiLj1EEEEZZNS1_9scan_implILNS1_25lookback_scan_determinismE0ELb0ELb0ES3_N6thrust23THRUST_200600_302600_NS6detail15normal_iteratorINSB_10device_ptrIS6_EEEESG_S6_NSB_4plusIvEES6_EEDaPvRmT3_T4_T5_mT6_P12ihipStream_tbENKUlT_T0_E_clISt17integral_constantIbLb0EESW_EEDaSR_SS_EUlSR_E0_NS1_11comp_targetILNS1_3genE3ELNS1_11target_archE908ELNS1_3gpuE7ELNS1_3repE0EEENS1_30default_config_static_selectorELNS0_4arch9wavefront6targetE1EEEvT1_,comdat
.Lfunc_end6399:
	.size	_ZN7rocprim17ROCPRIM_400000_NS6detail17trampoline_kernelINS0_14default_configENS1_20scan_config_selectorI11FixedVectorIiLj1EEEEZZNS1_9scan_implILNS1_25lookback_scan_determinismE0ELb0ELb0ES3_N6thrust23THRUST_200600_302600_NS6detail15normal_iteratorINSB_10device_ptrIS6_EEEESG_S6_NSB_4plusIvEES6_EEDaPvRmT3_T4_T5_mT6_P12ihipStream_tbENKUlT_T0_E_clISt17integral_constantIbLb0EESW_EEDaSR_SS_EUlSR_E0_NS1_11comp_targetILNS1_3genE3ELNS1_11target_archE908ELNS1_3gpuE7ELNS1_3repE0EEENS1_30default_config_static_selectorELNS0_4arch9wavefront6targetE1EEEvT1_, .Lfunc_end6399-_ZN7rocprim17ROCPRIM_400000_NS6detail17trampoline_kernelINS0_14default_configENS1_20scan_config_selectorI11FixedVectorIiLj1EEEEZZNS1_9scan_implILNS1_25lookback_scan_determinismE0ELb0ELb0ES3_N6thrust23THRUST_200600_302600_NS6detail15normal_iteratorINSB_10device_ptrIS6_EEEESG_S6_NSB_4plusIvEES6_EEDaPvRmT3_T4_T5_mT6_P12ihipStream_tbENKUlT_T0_E_clISt17integral_constantIbLb0EESW_EEDaSR_SS_EUlSR_E0_NS1_11comp_targetILNS1_3genE3ELNS1_11target_archE908ELNS1_3gpuE7ELNS1_3repE0EEENS1_30default_config_static_selectorELNS0_4arch9wavefront6targetE1EEEvT1_
                                        ; -- End function
	.section	.AMDGPU.csdata,"",@progbits
; Kernel info:
; codeLenInByte = 0
; NumSgprs: 4
; NumVgprs: 0
; NumAgprs: 0
; TotalNumVgprs: 0
; ScratchSize: 0
; MemoryBound: 0
; FloatMode: 240
; IeeeMode: 1
; LDSByteSize: 0 bytes/workgroup (compile time only)
; SGPRBlocks: 0
; VGPRBlocks: 0
; NumSGPRsForWavesPerEU: 4
; NumVGPRsForWavesPerEU: 1
; AccumOffset: 4
; Occupancy: 8
; WaveLimiterHint : 0
; COMPUTE_PGM_RSRC2:SCRATCH_EN: 0
; COMPUTE_PGM_RSRC2:USER_SGPR: 6
; COMPUTE_PGM_RSRC2:TRAP_HANDLER: 0
; COMPUTE_PGM_RSRC2:TGID_X_EN: 1
; COMPUTE_PGM_RSRC2:TGID_Y_EN: 0
; COMPUTE_PGM_RSRC2:TGID_Z_EN: 0
; COMPUTE_PGM_RSRC2:TIDIG_COMP_CNT: 0
; COMPUTE_PGM_RSRC3_GFX90A:ACCUM_OFFSET: 0
; COMPUTE_PGM_RSRC3_GFX90A:TG_SPLIT: 0
	.section	.text._ZN7rocprim17ROCPRIM_400000_NS6detail17trampoline_kernelINS0_14default_configENS1_20scan_config_selectorI11FixedVectorIiLj1EEEEZZNS1_9scan_implILNS1_25lookback_scan_determinismE0ELb0ELb0ES3_N6thrust23THRUST_200600_302600_NS6detail15normal_iteratorINSB_10device_ptrIS6_EEEESG_S6_NSB_4plusIvEES6_EEDaPvRmT3_T4_T5_mT6_P12ihipStream_tbENKUlT_T0_E_clISt17integral_constantIbLb0EESW_EEDaSR_SS_EUlSR_E0_NS1_11comp_targetILNS1_3genE2ELNS1_11target_archE906ELNS1_3gpuE6ELNS1_3repE0EEENS1_30default_config_static_selectorELNS0_4arch9wavefront6targetE1EEEvT1_,"axG",@progbits,_ZN7rocprim17ROCPRIM_400000_NS6detail17trampoline_kernelINS0_14default_configENS1_20scan_config_selectorI11FixedVectorIiLj1EEEEZZNS1_9scan_implILNS1_25lookback_scan_determinismE0ELb0ELb0ES3_N6thrust23THRUST_200600_302600_NS6detail15normal_iteratorINSB_10device_ptrIS6_EEEESG_S6_NSB_4plusIvEES6_EEDaPvRmT3_T4_T5_mT6_P12ihipStream_tbENKUlT_T0_E_clISt17integral_constantIbLb0EESW_EEDaSR_SS_EUlSR_E0_NS1_11comp_targetILNS1_3genE2ELNS1_11target_archE906ELNS1_3gpuE6ELNS1_3repE0EEENS1_30default_config_static_selectorELNS0_4arch9wavefront6targetE1EEEvT1_,comdat
	.protected	_ZN7rocprim17ROCPRIM_400000_NS6detail17trampoline_kernelINS0_14default_configENS1_20scan_config_selectorI11FixedVectorIiLj1EEEEZZNS1_9scan_implILNS1_25lookback_scan_determinismE0ELb0ELb0ES3_N6thrust23THRUST_200600_302600_NS6detail15normal_iteratorINSB_10device_ptrIS6_EEEESG_S6_NSB_4plusIvEES6_EEDaPvRmT3_T4_T5_mT6_P12ihipStream_tbENKUlT_T0_E_clISt17integral_constantIbLb0EESW_EEDaSR_SS_EUlSR_E0_NS1_11comp_targetILNS1_3genE2ELNS1_11target_archE906ELNS1_3gpuE6ELNS1_3repE0EEENS1_30default_config_static_selectorELNS0_4arch9wavefront6targetE1EEEvT1_ ; -- Begin function _ZN7rocprim17ROCPRIM_400000_NS6detail17trampoline_kernelINS0_14default_configENS1_20scan_config_selectorI11FixedVectorIiLj1EEEEZZNS1_9scan_implILNS1_25lookback_scan_determinismE0ELb0ELb0ES3_N6thrust23THRUST_200600_302600_NS6detail15normal_iteratorINSB_10device_ptrIS6_EEEESG_S6_NSB_4plusIvEES6_EEDaPvRmT3_T4_T5_mT6_P12ihipStream_tbENKUlT_T0_E_clISt17integral_constantIbLb0EESW_EEDaSR_SS_EUlSR_E0_NS1_11comp_targetILNS1_3genE2ELNS1_11target_archE906ELNS1_3gpuE6ELNS1_3repE0EEENS1_30default_config_static_selectorELNS0_4arch9wavefront6targetE1EEEvT1_
	.globl	_ZN7rocprim17ROCPRIM_400000_NS6detail17trampoline_kernelINS0_14default_configENS1_20scan_config_selectorI11FixedVectorIiLj1EEEEZZNS1_9scan_implILNS1_25lookback_scan_determinismE0ELb0ELb0ES3_N6thrust23THRUST_200600_302600_NS6detail15normal_iteratorINSB_10device_ptrIS6_EEEESG_S6_NSB_4plusIvEES6_EEDaPvRmT3_T4_T5_mT6_P12ihipStream_tbENKUlT_T0_E_clISt17integral_constantIbLb0EESW_EEDaSR_SS_EUlSR_E0_NS1_11comp_targetILNS1_3genE2ELNS1_11target_archE906ELNS1_3gpuE6ELNS1_3repE0EEENS1_30default_config_static_selectorELNS0_4arch9wavefront6targetE1EEEvT1_
	.p2align	8
	.type	_ZN7rocprim17ROCPRIM_400000_NS6detail17trampoline_kernelINS0_14default_configENS1_20scan_config_selectorI11FixedVectorIiLj1EEEEZZNS1_9scan_implILNS1_25lookback_scan_determinismE0ELb0ELb0ES3_N6thrust23THRUST_200600_302600_NS6detail15normal_iteratorINSB_10device_ptrIS6_EEEESG_S6_NSB_4plusIvEES6_EEDaPvRmT3_T4_T5_mT6_P12ihipStream_tbENKUlT_T0_E_clISt17integral_constantIbLb0EESW_EEDaSR_SS_EUlSR_E0_NS1_11comp_targetILNS1_3genE2ELNS1_11target_archE906ELNS1_3gpuE6ELNS1_3repE0EEENS1_30default_config_static_selectorELNS0_4arch9wavefront6targetE1EEEvT1_,@function
_ZN7rocprim17ROCPRIM_400000_NS6detail17trampoline_kernelINS0_14default_configENS1_20scan_config_selectorI11FixedVectorIiLj1EEEEZZNS1_9scan_implILNS1_25lookback_scan_determinismE0ELb0ELb0ES3_N6thrust23THRUST_200600_302600_NS6detail15normal_iteratorINSB_10device_ptrIS6_EEEESG_S6_NSB_4plusIvEES6_EEDaPvRmT3_T4_T5_mT6_P12ihipStream_tbENKUlT_T0_E_clISt17integral_constantIbLb0EESW_EEDaSR_SS_EUlSR_E0_NS1_11comp_targetILNS1_3genE2ELNS1_11target_archE906ELNS1_3gpuE6ELNS1_3repE0EEENS1_30default_config_static_selectorELNS0_4arch9wavefront6targetE1EEEvT1_: ; @_ZN7rocprim17ROCPRIM_400000_NS6detail17trampoline_kernelINS0_14default_configENS1_20scan_config_selectorI11FixedVectorIiLj1EEEEZZNS1_9scan_implILNS1_25lookback_scan_determinismE0ELb0ELb0ES3_N6thrust23THRUST_200600_302600_NS6detail15normal_iteratorINSB_10device_ptrIS6_EEEESG_S6_NSB_4plusIvEES6_EEDaPvRmT3_T4_T5_mT6_P12ihipStream_tbENKUlT_T0_E_clISt17integral_constantIbLb0EESW_EEDaSR_SS_EUlSR_E0_NS1_11comp_targetILNS1_3genE2ELNS1_11target_archE906ELNS1_3gpuE6ELNS1_3repE0EEENS1_30default_config_static_selectorELNS0_4arch9wavefront6targetE1EEEvT1_
; %bb.0:
	.section	.rodata,"a",@progbits
	.p2align	6, 0x0
	.amdhsa_kernel _ZN7rocprim17ROCPRIM_400000_NS6detail17trampoline_kernelINS0_14default_configENS1_20scan_config_selectorI11FixedVectorIiLj1EEEEZZNS1_9scan_implILNS1_25lookback_scan_determinismE0ELb0ELb0ES3_N6thrust23THRUST_200600_302600_NS6detail15normal_iteratorINSB_10device_ptrIS6_EEEESG_S6_NSB_4plusIvEES6_EEDaPvRmT3_T4_T5_mT6_P12ihipStream_tbENKUlT_T0_E_clISt17integral_constantIbLb0EESW_EEDaSR_SS_EUlSR_E0_NS1_11comp_targetILNS1_3genE2ELNS1_11target_archE906ELNS1_3gpuE6ELNS1_3repE0EEENS1_30default_config_static_selectorELNS0_4arch9wavefront6targetE1EEEvT1_
		.amdhsa_group_segment_fixed_size 0
		.amdhsa_private_segment_fixed_size 0
		.amdhsa_kernarg_size 32
		.amdhsa_user_sgpr_count 6
		.amdhsa_user_sgpr_private_segment_buffer 1
		.amdhsa_user_sgpr_dispatch_ptr 0
		.amdhsa_user_sgpr_queue_ptr 0
		.amdhsa_user_sgpr_kernarg_segment_ptr 1
		.amdhsa_user_sgpr_dispatch_id 0
		.amdhsa_user_sgpr_flat_scratch_init 0
		.amdhsa_user_sgpr_kernarg_preload_length 0
		.amdhsa_user_sgpr_kernarg_preload_offset 0
		.amdhsa_user_sgpr_private_segment_size 0
		.amdhsa_uses_dynamic_stack 0
		.amdhsa_system_sgpr_private_segment_wavefront_offset 0
		.amdhsa_system_sgpr_workgroup_id_x 1
		.amdhsa_system_sgpr_workgroup_id_y 0
		.amdhsa_system_sgpr_workgroup_id_z 0
		.amdhsa_system_sgpr_workgroup_info 0
		.amdhsa_system_vgpr_workitem_id 0
		.amdhsa_next_free_vgpr 1
		.amdhsa_next_free_sgpr 0
		.amdhsa_accum_offset 4
		.amdhsa_reserve_vcc 0
		.amdhsa_reserve_flat_scratch 0
		.amdhsa_float_round_mode_32 0
		.amdhsa_float_round_mode_16_64 0
		.amdhsa_float_denorm_mode_32 3
		.amdhsa_float_denorm_mode_16_64 3
		.amdhsa_dx10_clamp 1
		.amdhsa_ieee_mode 1
		.amdhsa_fp16_overflow 0
		.amdhsa_tg_split 0
		.amdhsa_exception_fp_ieee_invalid_op 0
		.amdhsa_exception_fp_denorm_src 0
		.amdhsa_exception_fp_ieee_div_zero 0
		.amdhsa_exception_fp_ieee_overflow 0
		.amdhsa_exception_fp_ieee_underflow 0
		.amdhsa_exception_fp_ieee_inexact 0
		.amdhsa_exception_int_div_zero 0
	.end_amdhsa_kernel
	.section	.text._ZN7rocprim17ROCPRIM_400000_NS6detail17trampoline_kernelINS0_14default_configENS1_20scan_config_selectorI11FixedVectorIiLj1EEEEZZNS1_9scan_implILNS1_25lookback_scan_determinismE0ELb0ELb0ES3_N6thrust23THRUST_200600_302600_NS6detail15normal_iteratorINSB_10device_ptrIS6_EEEESG_S6_NSB_4plusIvEES6_EEDaPvRmT3_T4_T5_mT6_P12ihipStream_tbENKUlT_T0_E_clISt17integral_constantIbLb0EESW_EEDaSR_SS_EUlSR_E0_NS1_11comp_targetILNS1_3genE2ELNS1_11target_archE906ELNS1_3gpuE6ELNS1_3repE0EEENS1_30default_config_static_selectorELNS0_4arch9wavefront6targetE1EEEvT1_,"axG",@progbits,_ZN7rocprim17ROCPRIM_400000_NS6detail17trampoline_kernelINS0_14default_configENS1_20scan_config_selectorI11FixedVectorIiLj1EEEEZZNS1_9scan_implILNS1_25lookback_scan_determinismE0ELb0ELb0ES3_N6thrust23THRUST_200600_302600_NS6detail15normal_iteratorINSB_10device_ptrIS6_EEEESG_S6_NSB_4plusIvEES6_EEDaPvRmT3_T4_T5_mT6_P12ihipStream_tbENKUlT_T0_E_clISt17integral_constantIbLb0EESW_EEDaSR_SS_EUlSR_E0_NS1_11comp_targetILNS1_3genE2ELNS1_11target_archE906ELNS1_3gpuE6ELNS1_3repE0EEENS1_30default_config_static_selectorELNS0_4arch9wavefront6targetE1EEEvT1_,comdat
.Lfunc_end6400:
	.size	_ZN7rocprim17ROCPRIM_400000_NS6detail17trampoline_kernelINS0_14default_configENS1_20scan_config_selectorI11FixedVectorIiLj1EEEEZZNS1_9scan_implILNS1_25lookback_scan_determinismE0ELb0ELb0ES3_N6thrust23THRUST_200600_302600_NS6detail15normal_iteratorINSB_10device_ptrIS6_EEEESG_S6_NSB_4plusIvEES6_EEDaPvRmT3_T4_T5_mT6_P12ihipStream_tbENKUlT_T0_E_clISt17integral_constantIbLb0EESW_EEDaSR_SS_EUlSR_E0_NS1_11comp_targetILNS1_3genE2ELNS1_11target_archE906ELNS1_3gpuE6ELNS1_3repE0EEENS1_30default_config_static_selectorELNS0_4arch9wavefront6targetE1EEEvT1_, .Lfunc_end6400-_ZN7rocprim17ROCPRIM_400000_NS6detail17trampoline_kernelINS0_14default_configENS1_20scan_config_selectorI11FixedVectorIiLj1EEEEZZNS1_9scan_implILNS1_25lookback_scan_determinismE0ELb0ELb0ES3_N6thrust23THRUST_200600_302600_NS6detail15normal_iteratorINSB_10device_ptrIS6_EEEESG_S6_NSB_4plusIvEES6_EEDaPvRmT3_T4_T5_mT6_P12ihipStream_tbENKUlT_T0_E_clISt17integral_constantIbLb0EESW_EEDaSR_SS_EUlSR_E0_NS1_11comp_targetILNS1_3genE2ELNS1_11target_archE906ELNS1_3gpuE6ELNS1_3repE0EEENS1_30default_config_static_selectorELNS0_4arch9wavefront6targetE1EEEvT1_
                                        ; -- End function
	.section	.AMDGPU.csdata,"",@progbits
; Kernel info:
; codeLenInByte = 0
; NumSgprs: 4
; NumVgprs: 0
; NumAgprs: 0
; TotalNumVgprs: 0
; ScratchSize: 0
; MemoryBound: 0
; FloatMode: 240
; IeeeMode: 1
; LDSByteSize: 0 bytes/workgroup (compile time only)
; SGPRBlocks: 0
; VGPRBlocks: 0
; NumSGPRsForWavesPerEU: 4
; NumVGPRsForWavesPerEU: 1
; AccumOffset: 4
; Occupancy: 8
; WaveLimiterHint : 0
; COMPUTE_PGM_RSRC2:SCRATCH_EN: 0
; COMPUTE_PGM_RSRC2:USER_SGPR: 6
; COMPUTE_PGM_RSRC2:TRAP_HANDLER: 0
; COMPUTE_PGM_RSRC2:TGID_X_EN: 1
; COMPUTE_PGM_RSRC2:TGID_Y_EN: 0
; COMPUTE_PGM_RSRC2:TGID_Z_EN: 0
; COMPUTE_PGM_RSRC2:TIDIG_COMP_CNT: 0
; COMPUTE_PGM_RSRC3_GFX90A:ACCUM_OFFSET: 0
; COMPUTE_PGM_RSRC3_GFX90A:TG_SPLIT: 0
	.section	.text._ZN7rocprim17ROCPRIM_400000_NS6detail17trampoline_kernelINS0_14default_configENS1_20scan_config_selectorI11FixedVectorIiLj1EEEEZZNS1_9scan_implILNS1_25lookback_scan_determinismE0ELb0ELb0ES3_N6thrust23THRUST_200600_302600_NS6detail15normal_iteratorINSB_10device_ptrIS6_EEEESG_S6_NSB_4plusIvEES6_EEDaPvRmT3_T4_T5_mT6_P12ihipStream_tbENKUlT_T0_E_clISt17integral_constantIbLb0EESW_EEDaSR_SS_EUlSR_E0_NS1_11comp_targetILNS1_3genE10ELNS1_11target_archE1201ELNS1_3gpuE5ELNS1_3repE0EEENS1_30default_config_static_selectorELNS0_4arch9wavefront6targetE1EEEvT1_,"axG",@progbits,_ZN7rocprim17ROCPRIM_400000_NS6detail17trampoline_kernelINS0_14default_configENS1_20scan_config_selectorI11FixedVectorIiLj1EEEEZZNS1_9scan_implILNS1_25lookback_scan_determinismE0ELb0ELb0ES3_N6thrust23THRUST_200600_302600_NS6detail15normal_iteratorINSB_10device_ptrIS6_EEEESG_S6_NSB_4plusIvEES6_EEDaPvRmT3_T4_T5_mT6_P12ihipStream_tbENKUlT_T0_E_clISt17integral_constantIbLb0EESW_EEDaSR_SS_EUlSR_E0_NS1_11comp_targetILNS1_3genE10ELNS1_11target_archE1201ELNS1_3gpuE5ELNS1_3repE0EEENS1_30default_config_static_selectorELNS0_4arch9wavefront6targetE1EEEvT1_,comdat
	.protected	_ZN7rocprim17ROCPRIM_400000_NS6detail17trampoline_kernelINS0_14default_configENS1_20scan_config_selectorI11FixedVectorIiLj1EEEEZZNS1_9scan_implILNS1_25lookback_scan_determinismE0ELb0ELb0ES3_N6thrust23THRUST_200600_302600_NS6detail15normal_iteratorINSB_10device_ptrIS6_EEEESG_S6_NSB_4plusIvEES6_EEDaPvRmT3_T4_T5_mT6_P12ihipStream_tbENKUlT_T0_E_clISt17integral_constantIbLb0EESW_EEDaSR_SS_EUlSR_E0_NS1_11comp_targetILNS1_3genE10ELNS1_11target_archE1201ELNS1_3gpuE5ELNS1_3repE0EEENS1_30default_config_static_selectorELNS0_4arch9wavefront6targetE1EEEvT1_ ; -- Begin function _ZN7rocprim17ROCPRIM_400000_NS6detail17trampoline_kernelINS0_14default_configENS1_20scan_config_selectorI11FixedVectorIiLj1EEEEZZNS1_9scan_implILNS1_25lookback_scan_determinismE0ELb0ELb0ES3_N6thrust23THRUST_200600_302600_NS6detail15normal_iteratorINSB_10device_ptrIS6_EEEESG_S6_NSB_4plusIvEES6_EEDaPvRmT3_T4_T5_mT6_P12ihipStream_tbENKUlT_T0_E_clISt17integral_constantIbLb0EESW_EEDaSR_SS_EUlSR_E0_NS1_11comp_targetILNS1_3genE10ELNS1_11target_archE1201ELNS1_3gpuE5ELNS1_3repE0EEENS1_30default_config_static_selectorELNS0_4arch9wavefront6targetE1EEEvT1_
	.globl	_ZN7rocprim17ROCPRIM_400000_NS6detail17trampoline_kernelINS0_14default_configENS1_20scan_config_selectorI11FixedVectorIiLj1EEEEZZNS1_9scan_implILNS1_25lookback_scan_determinismE0ELb0ELb0ES3_N6thrust23THRUST_200600_302600_NS6detail15normal_iteratorINSB_10device_ptrIS6_EEEESG_S6_NSB_4plusIvEES6_EEDaPvRmT3_T4_T5_mT6_P12ihipStream_tbENKUlT_T0_E_clISt17integral_constantIbLb0EESW_EEDaSR_SS_EUlSR_E0_NS1_11comp_targetILNS1_3genE10ELNS1_11target_archE1201ELNS1_3gpuE5ELNS1_3repE0EEENS1_30default_config_static_selectorELNS0_4arch9wavefront6targetE1EEEvT1_
	.p2align	8
	.type	_ZN7rocprim17ROCPRIM_400000_NS6detail17trampoline_kernelINS0_14default_configENS1_20scan_config_selectorI11FixedVectorIiLj1EEEEZZNS1_9scan_implILNS1_25lookback_scan_determinismE0ELb0ELb0ES3_N6thrust23THRUST_200600_302600_NS6detail15normal_iteratorINSB_10device_ptrIS6_EEEESG_S6_NSB_4plusIvEES6_EEDaPvRmT3_T4_T5_mT6_P12ihipStream_tbENKUlT_T0_E_clISt17integral_constantIbLb0EESW_EEDaSR_SS_EUlSR_E0_NS1_11comp_targetILNS1_3genE10ELNS1_11target_archE1201ELNS1_3gpuE5ELNS1_3repE0EEENS1_30default_config_static_selectorELNS0_4arch9wavefront6targetE1EEEvT1_,@function
_ZN7rocprim17ROCPRIM_400000_NS6detail17trampoline_kernelINS0_14default_configENS1_20scan_config_selectorI11FixedVectorIiLj1EEEEZZNS1_9scan_implILNS1_25lookback_scan_determinismE0ELb0ELb0ES3_N6thrust23THRUST_200600_302600_NS6detail15normal_iteratorINSB_10device_ptrIS6_EEEESG_S6_NSB_4plusIvEES6_EEDaPvRmT3_T4_T5_mT6_P12ihipStream_tbENKUlT_T0_E_clISt17integral_constantIbLb0EESW_EEDaSR_SS_EUlSR_E0_NS1_11comp_targetILNS1_3genE10ELNS1_11target_archE1201ELNS1_3gpuE5ELNS1_3repE0EEENS1_30default_config_static_selectorELNS0_4arch9wavefront6targetE1EEEvT1_: ; @_ZN7rocprim17ROCPRIM_400000_NS6detail17trampoline_kernelINS0_14default_configENS1_20scan_config_selectorI11FixedVectorIiLj1EEEEZZNS1_9scan_implILNS1_25lookback_scan_determinismE0ELb0ELb0ES3_N6thrust23THRUST_200600_302600_NS6detail15normal_iteratorINSB_10device_ptrIS6_EEEESG_S6_NSB_4plusIvEES6_EEDaPvRmT3_T4_T5_mT6_P12ihipStream_tbENKUlT_T0_E_clISt17integral_constantIbLb0EESW_EEDaSR_SS_EUlSR_E0_NS1_11comp_targetILNS1_3genE10ELNS1_11target_archE1201ELNS1_3gpuE5ELNS1_3repE0EEENS1_30default_config_static_selectorELNS0_4arch9wavefront6targetE1EEEvT1_
; %bb.0:
	.section	.rodata,"a",@progbits
	.p2align	6, 0x0
	.amdhsa_kernel _ZN7rocprim17ROCPRIM_400000_NS6detail17trampoline_kernelINS0_14default_configENS1_20scan_config_selectorI11FixedVectorIiLj1EEEEZZNS1_9scan_implILNS1_25lookback_scan_determinismE0ELb0ELb0ES3_N6thrust23THRUST_200600_302600_NS6detail15normal_iteratorINSB_10device_ptrIS6_EEEESG_S6_NSB_4plusIvEES6_EEDaPvRmT3_T4_T5_mT6_P12ihipStream_tbENKUlT_T0_E_clISt17integral_constantIbLb0EESW_EEDaSR_SS_EUlSR_E0_NS1_11comp_targetILNS1_3genE10ELNS1_11target_archE1201ELNS1_3gpuE5ELNS1_3repE0EEENS1_30default_config_static_selectorELNS0_4arch9wavefront6targetE1EEEvT1_
		.amdhsa_group_segment_fixed_size 0
		.amdhsa_private_segment_fixed_size 0
		.amdhsa_kernarg_size 32
		.amdhsa_user_sgpr_count 6
		.amdhsa_user_sgpr_private_segment_buffer 1
		.amdhsa_user_sgpr_dispatch_ptr 0
		.amdhsa_user_sgpr_queue_ptr 0
		.amdhsa_user_sgpr_kernarg_segment_ptr 1
		.amdhsa_user_sgpr_dispatch_id 0
		.amdhsa_user_sgpr_flat_scratch_init 0
		.amdhsa_user_sgpr_kernarg_preload_length 0
		.amdhsa_user_sgpr_kernarg_preload_offset 0
		.amdhsa_user_sgpr_private_segment_size 0
		.amdhsa_uses_dynamic_stack 0
		.amdhsa_system_sgpr_private_segment_wavefront_offset 0
		.amdhsa_system_sgpr_workgroup_id_x 1
		.amdhsa_system_sgpr_workgroup_id_y 0
		.amdhsa_system_sgpr_workgroup_id_z 0
		.amdhsa_system_sgpr_workgroup_info 0
		.amdhsa_system_vgpr_workitem_id 0
		.amdhsa_next_free_vgpr 1
		.amdhsa_next_free_sgpr 0
		.amdhsa_accum_offset 4
		.amdhsa_reserve_vcc 0
		.amdhsa_reserve_flat_scratch 0
		.amdhsa_float_round_mode_32 0
		.amdhsa_float_round_mode_16_64 0
		.amdhsa_float_denorm_mode_32 3
		.amdhsa_float_denorm_mode_16_64 3
		.amdhsa_dx10_clamp 1
		.amdhsa_ieee_mode 1
		.amdhsa_fp16_overflow 0
		.amdhsa_tg_split 0
		.amdhsa_exception_fp_ieee_invalid_op 0
		.amdhsa_exception_fp_denorm_src 0
		.amdhsa_exception_fp_ieee_div_zero 0
		.amdhsa_exception_fp_ieee_overflow 0
		.amdhsa_exception_fp_ieee_underflow 0
		.amdhsa_exception_fp_ieee_inexact 0
		.amdhsa_exception_int_div_zero 0
	.end_amdhsa_kernel
	.section	.text._ZN7rocprim17ROCPRIM_400000_NS6detail17trampoline_kernelINS0_14default_configENS1_20scan_config_selectorI11FixedVectorIiLj1EEEEZZNS1_9scan_implILNS1_25lookback_scan_determinismE0ELb0ELb0ES3_N6thrust23THRUST_200600_302600_NS6detail15normal_iteratorINSB_10device_ptrIS6_EEEESG_S6_NSB_4plusIvEES6_EEDaPvRmT3_T4_T5_mT6_P12ihipStream_tbENKUlT_T0_E_clISt17integral_constantIbLb0EESW_EEDaSR_SS_EUlSR_E0_NS1_11comp_targetILNS1_3genE10ELNS1_11target_archE1201ELNS1_3gpuE5ELNS1_3repE0EEENS1_30default_config_static_selectorELNS0_4arch9wavefront6targetE1EEEvT1_,"axG",@progbits,_ZN7rocprim17ROCPRIM_400000_NS6detail17trampoline_kernelINS0_14default_configENS1_20scan_config_selectorI11FixedVectorIiLj1EEEEZZNS1_9scan_implILNS1_25lookback_scan_determinismE0ELb0ELb0ES3_N6thrust23THRUST_200600_302600_NS6detail15normal_iteratorINSB_10device_ptrIS6_EEEESG_S6_NSB_4plusIvEES6_EEDaPvRmT3_T4_T5_mT6_P12ihipStream_tbENKUlT_T0_E_clISt17integral_constantIbLb0EESW_EEDaSR_SS_EUlSR_E0_NS1_11comp_targetILNS1_3genE10ELNS1_11target_archE1201ELNS1_3gpuE5ELNS1_3repE0EEENS1_30default_config_static_selectorELNS0_4arch9wavefront6targetE1EEEvT1_,comdat
.Lfunc_end6401:
	.size	_ZN7rocprim17ROCPRIM_400000_NS6detail17trampoline_kernelINS0_14default_configENS1_20scan_config_selectorI11FixedVectorIiLj1EEEEZZNS1_9scan_implILNS1_25lookback_scan_determinismE0ELb0ELb0ES3_N6thrust23THRUST_200600_302600_NS6detail15normal_iteratorINSB_10device_ptrIS6_EEEESG_S6_NSB_4plusIvEES6_EEDaPvRmT3_T4_T5_mT6_P12ihipStream_tbENKUlT_T0_E_clISt17integral_constantIbLb0EESW_EEDaSR_SS_EUlSR_E0_NS1_11comp_targetILNS1_3genE10ELNS1_11target_archE1201ELNS1_3gpuE5ELNS1_3repE0EEENS1_30default_config_static_selectorELNS0_4arch9wavefront6targetE1EEEvT1_, .Lfunc_end6401-_ZN7rocprim17ROCPRIM_400000_NS6detail17trampoline_kernelINS0_14default_configENS1_20scan_config_selectorI11FixedVectorIiLj1EEEEZZNS1_9scan_implILNS1_25lookback_scan_determinismE0ELb0ELb0ES3_N6thrust23THRUST_200600_302600_NS6detail15normal_iteratorINSB_10device_ptrIS6_EEEESG_S6_NSB_4plusIvEES6_EEDaPvRmT3_T4_T5_mT6_P12ihipStream_tbENKUlT_T0_E_clISt17integral_constantIbLb0EESW_EEDaSR_SS_EUlSR_E0_NS1_11comp_targetILNS1_3genE10ELNS1_11target_archE1201ELNS1_3gpuE5ELNS1_3repE0EEENS1_30default_config_static_selectorELNS0_4arch9wavefront6targetE1EEEvT1_
                                        ; -- End function
	.section	.AMDGPU.csdata,"",@progbits
; Kernel info:
; codeLenInByte = 0
; NumSgprs: 4
; NumVgprs: 0
; NumAgprs: 0
; TotalNumVgprs: 0
; ScratchSize: 0
; MemoryBound: 0
; FloatMode: 240
; IeeeMode: 1
; LDSByteSize: 0 bytes/workgroup (compile time only)
; SGPRBlocks: 0
; VGPRBlocks: 0
; NumSGPRsForWavesPerEU: 4
; NumVGPRsForWavesPerEU: 1
; AccumOffset: 4
; Occupancy: 8
; WaveLimiterHint : 0
; COMPUTE_PGM_RSRC2:SCRATCH_EN: 0
; COMPUTE_PGM_RSRC2:USER_SGPR: 6
; COMPUTE_PGM_RSRC2:TRAP_HANDLER: 0
; COMPUTE_PGM_RSRC2:TGID_X_EN: 1
; COMPUTE_PGM_RSRC2:TGID_Y_EN: 0
; COMPUTE_PGM_RSRC2:TGID_Z_EN: 0
; COMPUTE_PGM_RSRC2:TIDIG_COMP_CNT: 0
; COMPUTE_PGM_RSRC3_GFX90A:ACCUM_OFFSET: 0
; COMPUTE_PGM_RSRC3_GFX90A:TG_SPLIT: 0
	.section	.text._ZN7rocprim17ROCPRIM_400000_NS6detail17trampoline_kernelINS0_14default_configENS1_20scan_config_selectorI11FixedVectorIiLj1EEEEZZNS1_9scan_implILNS1_25lookback_scan_determinismE0ELb0ELb0ES3_N6thrust23THRUST_200600_302600_NS6detail15normal_iteratorINSB_10device_ptrIS6_EEEESG_S6_NSB_4plusIvEES6_EEDaPvRmT3_T4_T5_mT6_P12ihipStream_tbENKUlT_T0_E_clISt17integral_constantIbLb0EESW_EEDaSR_SS_EUlSR_E0_NS1_11comp_targetILNS1_3genE10ELNS1_11target_archE1200ELNS1_3gpuE4ELNS1_3repE0EEENS1_30default_config_static_selectorELNS0_4arch9wavefront6targetE1EEEvT1_,"axG",@progbits,_ZN7rocprim17ROCPRIM_400000_NS6detail17trampoline_kernelINS0_14default_configENS1_20scan_config_selectorI11FixedVectorIiLj1EEEEZZNS1_9scan_implILNS1_25lookback_scan_determinismE0ELb0ELb0ES3_N6thrust23THRUST_200600_302600_NS6detail15normal_iteratorINSB_10device_ptrIS6_EEEESG_S6_NSB_4plusIvEES6_EEDaPvRmT3_T4_T5_mT6_P12ihipStream_tbENKUlT_T0_E_clISt17integral_constantIbLb0EESW_EEDaSR_SS_EUlSR_E0_NS1_11comp_targetILNS1_3genE10ELNS1_11target_archE1200ELNS1_3gpuE4ELNS1_3repE0EEENS1_30default_config_static_selectorELNS0_4arch9wavefront6targetE1EEEvT1_,comdat
	.protected	_ZN7rocprim17ROCPRIM_400000_NS6detail17trampoline_kernelINS0_14default_configENS1_20scan_config_selectorI11FixedVectorIiLj1EEEEZZNS1_9scan_implILNS1_25lookback_scan_determinismE0ELb0ELb0ES3_N6thrust23THRUST_200600_302600_NS6detail15normal_iteratorINSB_10device_ptrIS6_EEEESG_S6_NSB_4plusIvEES6_EEDaPvRmT3_T4_T5_mT6_P12ihipStream_tbENKUlT_T0_E_clISt17integral_constantIbLb0EESW_EEDaSR_SS_EUlSR_E0_NS1_11comp_targetILNS1_3genE10ELNS1_11target_archE1200ELNS1_3gpuE4ELNS1_3repE0EEENS1_30default_config_static_selectorELNS0_4arch9wavefront6targetE1EEEvT1_ ; -- Begin function _ZN7rocprim17ROCPRIM_400000_NS6detail17trampoline_kernelINS0_14default_configENS1_20scan_config_selectorI11FixedVectorIiLj1EEEEZZNS1_9scan_implILNS1_25lookback_scan_determinismE0ELb0ELb0ES3_N6thrust23THRUST_200600_302600_NS6detail15normal_iteratorINSB_10device_ptrIS6_EEEESG_S6_NSB_4plusIvEES6_EEDaPvRmT3_T4_T5_mT6_P12ihipStream_tbENKUlT_T0_E_clISt17integral_constantIbLb0EESW_EEDaSR_SS_EUlSR_E0_NS1_11comp_targetILNS1_3genE10ELNS1_11target_archE1200ELNS1_3gpuE4ELNS1_3repE0EEENS1_30default_config_static_selectorELNS0_4arch9wavefront6targetE1EEEvT1_
	.globl	_ZN7rocprim17ROCPRIM_400000_NS6detail17trampoline_kernelINS0_14default_configENS1_20scan_config_selectorI11FixedVectorIiLj1EEEEZZNS1_9scan_implILNS1_25lookback_scan_determinismE0ELb0ELb0ES3_N6thrust23THRUST_200600_302600_NS6detail15normal_iteratorINSB_10device_ptrIS6_EEEESG_S6_NSB_4plusIvEES6_EEDaPvRmT3_T4_T5_mT6_P12ihipStream_tbENKUlT_T0_E_clISt17integral_constantIbLb0EESW_EEDaSR_SS_EUlSR_E0_NS1_11comp_targetILNS1_3genE10ELNS1_11target_archE1200ELNS1_3gpuE4ELNS1_3repE0EEENS1_30default_config_static_selectorELNS0_4arch9wavefront6targetE1EEEvT1_
	.p2align	8
	.type	_ZN7rocprim17ROCPRIM_400000_NS6detail17trampoline_kernelINS0_14default_configENS1_20scan_config_selectorI11FixedVectorIiLj1EEEEZZNS1_9scan_implILNS1_25lookback_scan_determinismE0ELb0ELb0ES3_N6thrust23THRUST_200600_302600_NS6detail15normal_iteratorINSB_10device_ptrIS6_EEEESG_S6_NSB_4plusIvEES6_EEDaPvRmT3_T4_T5_mT6_P12ihipStream_tbENKUlT_T0_E_clISt17integral_constantIbLb0EESW_EEDaSR_SS_EUlSR_E0_NS1_11comp_targetILNS1_3genE10ELNS1_11target_archE1200ELNS1_3gpuE4ELNS1_3repE0EEENS1_30default_config_static_selectorELNS0_4arch9wavefront6targetE1EEEvT1_,@function
_ZN7rocprim17ROCPRIM_400000_NS6detail17trampoline_kernelINS0_14default_configENS1_20scan_config_selectorI11FixedVectorIiLj1EEEEZZNS1_9scan_implILNS1_25lookback_scan_determinismE0ELb0ELb0ES3_N6thrust23THRUST_200600_302600_NS6detail15normal_iteratorINSB_10device_ptrIS6_EEEESG_S6_NSB_4plusIvEES6_EEDaPvRmT3_T4_T5_mT6_P12ihipStream_tbENKUlT_T0_E_clISt17integral_constantIbLb0EESW_EEDaSR_SS_EUlSR_E0_NS1_11comp_targetILNS1_3genE10ELNS1_11target_archE1200ELNS1_3gpuE4ELNS1_3repE0EEENS1_30default_config_static_selectorELNS0_4arch9wavefront6targetE1EEEvT1_: ; @_ZN7rocprim17ROCPRIM_400000_NS6detail17trampoline_kernelINS0_14default_configENS1_20scan_config_selectorI11FixedVectorIiLj1EEEEZZNS1_9scan_implILNS1_25lookback_scan_determinismE0ELb0ELb0ES3_N6thrust23THRUST_200600_302600_NS6detail15normal_iteratorINSB_10device_ptrIS6_EEEESG_S6_NSB_4plusIvEES6_EEDaPvRmT3_T4_T5_mT6_P12ihipStream_tbENKUlT_T0_E_clISt17integral_constantIbLb0EESW_EEDaSR_SS_EUlSR_E0_NS1_11comp_targetILNS1_3genE10ELNS1_11target_archE1200ELNS1_3gpuE4ELNS1_3repE0EEENS1_30default_config_static_selectorELNS0_4arch9wavefront6targetE1EEEvT1_
; %bb.0:
	.section	.rodata,"a",@progbits
	.p2align	6, 0x0
	.amdhsa_kernel _ZN7rocprim17ROCPRIM_400000_NS6detail17trampoline_kernelINS0_14default_configENS1_20scan_config_selectorI11FixedVectorIiLj1EEEEZZNS1_9scan_implILNS1_25lookback_scan_determinismE0ELb0ELb0ES3_N6thrust23THRUST_200600_302600_NS6detail15normal_iteratorINSB_10device_ptrIS6_EEEESG_S6_NSB_4plusIvEES6_EEDaPvRmT3_T4_T5_mT6_P12ihipStream_tbENKUlT_T0_E_clISt17integral_constantIbLb0EESW_EEDaSR_SS_EUlSR_E0_NS1_11comp_targetILNS1_3genE10ELNS1_11target_archE1200ELNS1_3gpuE4ELNS1_3repE0EEENS1_30default_config_static_selectorELNS0_4arch9wavefront6targetE1EEEvT1_
		.amdhsa_group_segment_fixed_size 0
		.amdhsa_private_segment_fixed_size 0
		.amdhsa_kernarg_size 32
		.amdhsa_user_sgpr_count 6
		.amdhsa_user_sgpr_private_segment_buffer 1
		.amdhsa_user_sgpr_dispatch_ptr 0
		.amdhsa_user_sgpr_queue_ptr 0
		.amdhsa_user_sgpr_kernarg_segment_ptr 1
		.amdhsa_user_sgpr_dispatch_id 0
		.amdhsa_user_sgpr_flat_scratch_init 0
		.amdhsa_user_sgpr_kernarg_preload_length 0
		.amdhsa_user_sgpr_kernarg_preload_offset 0
		.amdhsa_user_sgpr_private_segment_size 0
		.amdhsa_uses_dynamic_stack 0
		.amdhsa_system_sgpr_private_segment_wavefront_offset 0
		.amdhsa_system_sgpr_workgroup_id_x 1
		.amdhsa_system_sgpr_workgroup_id_y 0
		.amdhsa_system_sgpr_workgroup_id_z 0
		.amdhsa_system_sgpr_workgroup_info 0
		.amdhsa_system_vgpr_workitem_id 0
		.amdhsa_next_free_vgpr 1
		.amdhsa_next_free_sgpr 0
		.amdhsa_accum_offset 4
		.amdhsa_reserve_vcc 0
		.amdhsa_reserve_flat_scratch 0
		.amdhsa_float_round_mode_32 0
		.amdhsa_float_round_mode_16_64 0
		.amdhsa_float_denorm_mode_32 3
		.amdhsa_float_denorm_mode_16_64 3
		.amdhsa_dx10_clamp 1
		.amdhsa_ieee_mode 1
		.amdhsa_fp16_overflow 0
		.amdhsa_tg_split 0
		.amdhsa_exception_fp_ieee_invalid_op 0
		.amdhsa_exception_fp_denorm_src 0
		.amdhsa_exception_fp_ieee_div_zero 0
		.amdhsa_exception_fp_ieee_overflow 0
		.amdhsa_exception_fp_ieee_underflow 0
		.amdhsa_exception_fp_ieee_inexact 0
		.amdhsa_exception_int_div_zero 0
	.end_amdhsa_kernel
	.section	.text._ZN7rocprim17ROCPRIM_400000_NS6detail17trampoline_kernelINS0_14default_configENS1_20scan_config_selectorI11FixedVectorIiLj1EEEEZZNS1_9scan_implILNS1_25lookback_scan_determinismE0ELb0ELb0ES3_N6thrust23THRUST_200600_302600_NS6detail15normal_iteratorINSB_10device_ptrIS6_EEEESG_S6_NSB_4plusIvEES6_EEDaPvRmT3_T4_T5_mT6_P12ihipStream_tbENKUlT_T0_E_clISt17integral_constantIbLb0EESW_EEDaSR_SS_EUlSR_E0_NS1_11comp_targetILNS1_3genE10ELNS1_11target_archE1200ELNS1_3gpuE4ELNS1_3repE0EEENS1_30default_config_static_selectorELNS0_4arch9wavefront6targetE1EEEvT1_,"axG",@progbits,_ZN7rocprim17ROCPRIM_400000_NS6detail17trampoline_kernelINS0_14default_configENS1_20scan_config_selectorI11FixedVectorIiLj1EEEEZZNS1_9scan_implILNS1_25lookback_scan_determinismE0ELb0ELb0ES3_N6thrust23THRUST_200600_302600_NS6detail15normal_iteratorINSB_10device_ptrIS6_EEEESG_S6_NSB_4plusIvEES6_EEDaPvRmT3_T4_T5_mT6_P12ihipStream_tbENKUlT_T0_E_clISt17integral_constantIbLb0EESW_EEDaSR_SS_EUlSR_E0_NS1_11comp_targetILNS1_3genE10ELNS1_11target_archE1200ELNS1_3gpuE4ELNS1_3repE0EEENS1_30default_config_static_selectorELNS0_4arch9wavefront6targetE1EEEvT1_,comdat
.Lfunc_end6402:
	.size	_ZN7rocprim17ROCPRIM_400000_NS6detail17trampoline_kernelINS0_14default_configENS1_20scan_config_selectorI11FixedVectorIiLj1EEEEZZNS1_9scan_implILNS1_25lookback_scan_determinismE0ELb0ELb0ES3_N6thrust23THRUST_200600_302600_NS6detail15normal_iteratorINSB_10device_ptrIS6_EEEESG_S6_NSB_4plusIvEES6_EEDaPvRmT3_T4_T5_mT6_P12ihipStream_tbENKUlT_T0_E_clISt17integral_constantIbLb0EESW_EEDaSR_SS_EUlSR_E0_NS1_11comp_targetILNS1_3genE10ELNS1_11target_archE1200ELNS1_3gpuE4ELNS1_3repE0EEENS1_30default_config_static_selectorELNS0_4arch9wavefront6targetE1EEEvT1_, .Lfunc_end6402-_ZN7rocprim17ROCPRIM_400000_NS6detail17trampoline_kernelINS0_14default_configENS1_20scan_config_selectorI11FixedVectorIiLj1EEEEZZNS1_9scan_implILNS1_25lookback_scan_determinismE0ELb0ELb0ES3_N6thrust23THRUST_200600_302600_NS6detail15normal_iteratorINSB_10device_ptrIS6_EEEESG_S6_NSB_4plusIvEES6_EEDaPvRmT3_T4_T5_mT6_P12ihipStream_tbENKUlT_T0_E_clISt17integral_constantIbLb0EESW_EEDaSR_SS_EUlSR_E0_NS1_11comp_targetILNS1_3genE10ELNS1_11target_archE1200ELNS1_3gpuE4ELNS1_3repE0EEENS1_30default_config_static_selectorELNS0_4arch9wavefront6targetE1EEEvT1_
                                        ; -- End function
	.section	.AMDGPU.csdata,"",@progbits
; Kernel info:
; codeLenInByte = 0
; NumSgprs: 4
; NumVgprs: 0
; NumAgprs: 0
; TotalNumVgprs: 0
; ScratchSize: 0
; MemoryBound: 0
; FloatMode: 240
; IeeeMode: 1
; LDSByteSize: 0 bytes/workgroup (compile time only)
; SGPRBlocks: 0
; VGPRBlocks: 0
; NumSGPRsForWavesPerEU: 4
; NumVGPRsForWavesPerEU: 1
; AccumOffset: 4
; Occupancy: 8
; WaveLimiterHint : 0
; COMPUTE_PGM_RSRC2:SCRATCH_EN: 0
; COMPUTE_PGM_RSRC2:USER_SGPR: 6
; COMPUTE_PGM_RSRC2:TRAP_HANDLER: 0
; COMPUTE_PGM_RSRC2:TGID_X_EN: 1
; COMPUTE_PGM_RSRC2:TGID_Y_EN: 0
; COMPUTE_PGM_RSRC2:TGID_Z_EN: 0
; COMPUTE_PGM_RSRC2:TIDIG_COMP_CNT: 0
; COMPUTE_PGM_RSRC3_GFX90A:ACCUM_OFFSET: 0
; COMPUTE_PGM_RSRC3_GFX90A:TG_SPLIT: 0
	.section	.text._ZN7rocprim17ROCPRIM_400000_NS6detail17trampoline_kernelINS0_14default_configENS1_20scan_config_selectorI11FixedVectorIiLj1EEEEZZNS1_9scan_implILNS1_25lookback_scan_determinismE0ELb0ELb0ES3_N6thrust23THRUST_200600_302600_NS6detail15normal_iteratorINSB_10device_ptrIS6_EEEESG_S6_NSB_4plusIvEES6_EEDaPvRmT3_T4_T5_mT6_P12ihipStream_tbENKUlT_T0_E_clISt17integral_constantIbLb0EESW_EEDaSR_SS_EUlSR_E0_NS1_11comp_targetILNS1_3genE9ELNS1_11target_archE1100ELNS1_3gpuE3ELNS1_3repE0EEENS1_30default_config_static_selectorELNS0_4arch9wavefront6targetE1EEEvT1_,"axG",@progbits,_ZN7rocprim17ROCPRIM_400000_NS6detail17trampoline_kernelINS0_14default_configENS1_20scan_config_selectorI11FixedVectorIiLj1EEEEZZNS1_9scan_implILNS1_25lookback_scan_determinismE0ELb0ELb0ES3_N6thrust23THRUST_200600_302600_NS6detail15normal_iteratorINSB_10device_ptrIS6_EEEESG_S6_NSB_4plusIvEES6_EEDaPvRmT3_T4_T5_mT6_P12ihipStream_tbENKUlT_T0_E_clISt17integral_constantIbLb0EESW_EEDaSR_SS_EUlSR_E0_NS1_11comp_targetILNS1_3genE9ELNS1_11target_archE1100ELNS1_3gpuE3ELNS1_3repE0EEENS1_30default_config_static_selectorELNS0_4arch9wavefront6targetE1EEEvT1_,comdat
	.protected	_ZN7rocprim17ROCPRIM_400000_NS6detail17trampoline_kernelINS0_14default_configENS1_20scan_config_selectorI11FixedVectorIiLj1EEEEZZNS1_9scan_implILNS1_25lookback_scan_determinismE0ELb0ELb0ES3_N6thrust23THRUST_200600_302600_NS6detail15normal_iteratorINSB_10device_ptrIS6_EEEESG_S6_NSB_4plusIvEES6_EEDaPvRmT3_T4_T5_mT6_P12ihipStream_tbENKUlT_T0_E_clISt17integral_constantIbLb0EESW_EEDaSR_SS_EUlSR_E0_NS1_11comp_targetILNS1_3genE9ELNS1_11target_archE1100ELNS1_3gpuE3ELNS1_3repE0EEENS1_30default_config_static_selectorELNS0_4arch9wavefront6targetE1EEEvT1_ ; -- Begin function _ZN7rocprim17ROCPRIM_400000_NS6detail17trampoline_kernelINS0_14default_configENS1_20scan_config_selectorI11FixedVectorIiLj1EEEEZZNS1_9scan_implILNS1_25lookback_scan_determinismE0ELb0ELb0ES3_N6thrust23THRUST_200600_302600_NS6detail15normal_iteratorINSB_10device_ptrIS6_EEEESG_S6_NSB_4plusIvEES6_EEDaPvRmT3_T4_T5_mT6_P12ihipStream_tbENKUlT_T0_E_clISt17integral_constantIbLb0EESW_EEDaSR_SS_EUlSR_E0_NS1_11comp_targetILNS1_3genE9ELNS1_11target_archE1100ELNS1_3gpuE3ELNS1_3repE0EEENS1_30default_config_static_selectorELNS0_4arch9wavefront6targetE1EEEvT1_
	.globl	_ZN7rocprim17ROCPRIM_400000_NS6detail17trampoline_kernelINS0_14default_configENS1_20scan_config_selectorI11FixedVectorIiLj1EEEEZZNS1_9scan_implILNS1_25lookback_scan_determinismE0ELb0ELb0ES3_N6thrust23THRUST_200600_302600_NS6detail15normal_iteratorINSB_10device_ptrIS6_EEEESG_S6_NSB_4plusIvEES6_EEDaPvRmT3_T4_T5_mT6_P12ihipStream_tbENKUlT_T0_E_clISt17integral_constantIbLb0EESW_EEDaSR_SS_EUlSR_E0_NS1_11comp_targetILNS1_3genE9ELNS1_11target_archE1100ELNS1_3gpuE3ELNS1_3repE0EEENS1_30default_config_static_selectorELNS0_4arch9wavefront6targetE1EEEvT1_
	.p2align	8
	.type	_ZN7rocprim17ROCPRIM_400000_NS6detail17trampoline_kernelINS0_14default_configENS1_20scan_config_selectorI11FixedVectorIiLj1EEEEZZNS1_9scan_implILNS1_25lookback_scan_determinismE0ELb0ELb0ES3_N6thrust23THRUST_200600_302600_NS6detail15normal_iteratorINSB_10device_ptrIS6_EEEESG_S6_NSB_4plusIvEES6_EEDaPvRmT3_T4_T5_mT6_P12ihipStream_tbENKUlT_T0_E_clISt17integral_constantIbLb0EESW_EEDaSR_SS_EUlSR_E0_NS1_11comp_targetILNS1_3genE9ELNS1_11target_archE1100ELNS1_3gpuE3ELNS1_3repE0EEENS1_30default_config_static_selectorELNS0_4arch9wavefront6targetE1EEEvT1_,@function
_ZN7rocprim17ROCPRIM_400000_NS6detail17trampoline_kernelINS0_14default_configENS1_20scan_config_selectorI11FixedVectorIiLj1EEEEZZNS1_9scan_implILNS1_25lookback_scan_determinismE0ELb0ELb0ES3_N6thrust23THRUST_200600_302600_NS6detail15normal_iteratorINSB_10device_ptrIS6_EEEESG_S6_NSB_4plusIvEES6_EEDaPvRmT3_T4_T5_mT6_P12ihipStream_tbENKUlT_T0_E_clISt17integral_constantIbLb0EESW_EEDaSR_SS_EUlSR_E0_NS1_11comp_targetILNS1_3genE9ELNS1_11target_archE1100ELNS1_3gpuE3ELNS1_3repE0EEENS1_30default_config_static_selectorELNS0_4arch9wavefront6targetE1EEEvT1_: ; @_ZN7rocprim17ROCPRIM_400000_NS6detail17trampoline_kernelINS0_14default_configENS1_20scan_config_selectorI11FixedVectorIiLj1EEEEZZNS1_9scan_implILNS1_25lookback_scan_determinismE0ELb0ELb0ES3_N6thrust23THRUST_200600_302600_NS6detail15normal_iteratorINSB_10device_ptrIS6_EEEESG_S6_NSB_4plusIvEES6_EEDaPvRmT3_T4_T5_mT6_P12ihipStream_tbENKUlT_T0_E_clISt17integral_constantIbLb0EESW_EEDaSR_SS_EUlSR_E0_NS1_11comp_targetILNS1_3genE9ELNS1_11target_archE1100ELNS1_3gpuE3ELNS1_3repE0EEENS1_30default_config_static_selectorELNS0_4arch9wavefront6targetE1EEEvT1_
; %bb.0:
	.section	.rodata,"a",@progbits
	.p2align	6, 0x0
	.amdhsa_kernel _ZN7rocprim17ROCPRIM_400000_NS6detail17trampoline_kernelINS0_14default_configENS1_20scan_config_selectorI11FixedVectorIiLj1EEEEZZNS1_9scan_implILNS1_25lookback_scan_determinismE0ELb0ELb0ES3_N6thrust23THRUST_200600_302600_NS6detail15normal_iteratorINSB_10device_ptrIS6_EEEESG_S6_NSB_4plusIvEES6_EEDaPvRmT3_T4_T5_mT6_P12ihipStream_tbENKUlT_T0_E_clISt17integral_constantIbLb0EESW_EEDaSR_SS_EUlSR_E0_NS1_11comp_targetILNS1_3genE9ELNS1_11target_archE1100ELNS1_3gpuE3ELNS1_3repE0EEENS1_30default_config_static_selectorELNS0_4arch9wavefront6targetE1EEEvT1_
		.amdhsa_group_segment_fixed_size 0
		.amdhsa_private_segment_fixed_size 0
		.amdhsa_kernarg_size 32
		.amdhsa_user_sgpr_count 6
		.amdhsa_user_sgpr_private_segment_buffer 1
		.amdhsa_user_sgpr_dispatch_ptr 0
		.amdhsa_user_sgpr_queue_ptr 0
		.amdhsa_user_sgpr_kernarg_segment_ptr 1
		.amdhsa_user_sgpr_dispatch_id 0
		.amdhsa_user_sgpr_flat_scratch_init 0
		.amdhsa_user_sgpr_kernarg_preload_length 0
		.amdhsa_user_sgpr_kernarg_preload_offset 0
		.amdhsa_user_sgpr_private_segment_size 0
		.amdhsa_uses_dynamic_stack 0
		.amdhsa_system_sgpr_private_segment_wavefront_offset 0
		.amdhsa_system_sgpr_workgroup_id_x 1
		.amdhsa_system_sgpr_workgroup_id_y 0
		.amdhsa_system_sgpr_workgroup_id_z 0
		.amdhsa_system_sgpr_workgroup_info 0
		.amdhsa_system_vgpr_workitem_id 0
		.amdhsa_next_free_vgpr 1
		.amdhsa_next_free_sgpr 0
		.amdhsa_accum_offset 4
		.amdhsa_reserve_vcc 0
		.amdhsa_reserve_flat_scratch 0
		.amdhsa_float_round_mode_32 0
		.amdhsa_float_round_mode_16_64 0
		.amdhsa_float_denorm_mode_32 3
		.amdhsa_float_denorm_mode_16_64 3
		.amdhsa_dx10_clamp 1
		.amdhsa_ieee_mode 1
		.amdhsa_fp16_overflow 0
		.amdhsa_tg_split 0
		.amdhsa_exception_fp_ieee_invalid_op 0
		.amdhsa_exception_fp_denorm_src 0
		.amdhsa_exception_fp_ieee_div_zero 0
		.amdhsa_exception_fp_ieee_overflow 0
		.amdhsa_exception_fp_ieee_underflow 0
		.amdhsa_exception_fp_ieee_inexact 0
		.amdhsa_exception_int_div_zero 0
	.end_amdhsa_kernel
	.section	.text._ZN7rocprim17ROCPRIM_400000_NS6detail17trampoline_kernelINS0_14default_configENS1_20scan_config_selectorI11FixedVectorIiLj1EEEEZZNS1_9scan_implILNS1_25lookback_scan_determinismE0ELb0ELb0ES3_N6thrust23THRUST_200600_302600_NS6detail15normal_iteratorINSB_10device_ptrIS6_EEEESG_S6_NSB_4plusIvEES6_EEDaPvRmT3_T4_T5_mT6_P12ihipStream_tbENKUlT_T0_E_clISt17integral_constantIbLb0EESW_EEDaSR_SS_EUlSR_E0_NS1_11comp_targetILNS1_3genE9ELNS1_11target_archE1100ELNS1_3gpuE3ELNS1_3repE0EEENS1_30default_config_static_selectorELNS0_4arch9wavefront6targetE1EEEvT1_,"axG",@progbits,_ZN7rocprim17ROCPRIM_400000_NS6detail17trampoline_kernelINS0_14default_configENS1_20scan_config_selectorI11FixedVectorIiLj1EEEEZZNS1_9scan_implILNS1_25lookback_scan_determinismE0ELb0ELb0ES3_N6thrust23THRUST_200600_302600_NS6detail15normal_iteratorINSB_10device_ptrIS6_EEEESG_S6_NSB_4plusIvEES6_EEDaPvRmT3_T4_T5_mT6_P12ihipStream_tbENKUlT_T0_E_clISt17integral_constantIbLb0EESW_EEDaSR_SS_EUlSR_E0_NS1_11comp_targetILNS1_3genE9ELNS1_11target_archE1100ELNS1_3gpuE3ELNS1_3repE0EEENS1_30default_config_static_selectorELNS0_4arch9wavefront6targetE1EEEvT1_,comdat
.Lfunc_end6403:
	.size	_ZN7rocprim17ROCPRIM_400000_NS6detail17trampoline_kernelINS0_14default_configENS1_20scan_config_selectorI11FixedVectorIiLj1EEEEZZNS1_9scan_implILNS1_25lookback_scan_determinismE0ELb0ELb0ES3_N6thrust23THRUST_200600_302600_NS6detail15normal_iteratorINSB_10device_ptrIS6_EEEESG_S6_NSB_4plusIvEES6_EEDaPvRmT3_T4_T5_mT6_P12ihipStream_tbENKUlT_T0_E_clISt17integral_constantIbLb0EESW_EEDaSR_SS_EUlSR_E0_NS1_11comp_targetILNS1_3genE9ELNS1_11target_archE1100ELNS1_3gpuE3ELNS1_3repE0EEENS1_30default_config_static_selectorELNS0_4arch9wavefront6targetE1EEEvT1_, .Lfunc_end6403-_ZN7rocprim17ROCPRIM_400000_NS6detail17trampoline_kernelINS0_14default_configENS1_20scan_config_selectorI11FixedVectorIiLj1EEEEZZNS1_9scan_implILNS1_25lookback_scan_determinismE0ELb0ELb0ES3_N6thrust23THRUST_200600_302600_NS6detail15normal_iteratorINSB_10device_ptrIS6_EEEESG_S6_NSB_4plusIvEES6_EEDaPvRmT3_T4_T5_mT6_P12ihipStream_tbENKUlT_T0_E_clISt17integral_constantIbLb0EESW_EEDaSR_SS_EUlSR_E0_NS1_11comp_targetILNS1_3genE9ELNS1_11target_archE1100ELNS1_3gpuE3ELNS1_3repE0EEENS1_30default_config_static_selectorELNS0_4arch9wavefront6targetE1EEEvT1_
                                        ; -- End function
	.section	.AMDGPU.csdata,"",@progbits
; Kernel info:
; codeLenInByte = 0
; NumSgprs: 4
; NumVgprs: 0
; NumAgprs: 0
; TotalNumVgprs: 0
; ScratchSize: 0
; MemoryBound: 0
; FloatMode: 240
; IeeeMode: 1
; LDSByteSize: 0 bytes/workgroup (compile time only)
; SGPRBlocks: 0
; VGPRBlocks: 0
; NumSGPRsForWavesPerEU: 4
; NumVGPRsForWavesPerEU: 1
; AccumOffset: 4
; Occupancy: 8
; WaveLimiterHint : 0
; COMPUTE_PGM_RSRC2:SCRATCH_EN: 0
; COMPUTE_PGM_RSRC2:USER_SGPR: 6
; COMPUTE_PGM_RSRC2:TRAP_HANDLER: 0
; COMPUTE_PGM_RSRC2:TGID_X_EN: 1
; COMPUTE_PGM_RSRC2:TGID_Y_EN: 0
; COMPUTE_PGM_RSRC2:TGID_Z_EN: 0
; COMPUTE_PGM_RSRC2:TIDIG_COMP_CNT: 0
; COMPUTE_PGM_RSRC3_GFX90A:ACCUM_OFFSET: 0
; COMPUTE_PGM_RSRC3_GFX90A:TG_SPLIT: 0
	.section	.text._ZN7rocprim17ROCPRIM_400000_NS6detail17trampoline_kernelINS0_14default_configENS1_20scan_config_selectorI11FixedVectorIiLj1EEEEZZNS1_9scan_implILNS1_25lookback_scan_determinismE0ELb0ELb0ES3_N6thrust23THRUST_200600_302600_NS6detail15normal_iteratorINSB_10device_ptrIS6_EEEESG_S6_NSB_4plusIvEES6_EEDaPvRmT3_T4_T5_mT6_P12ihipStream_tbENKUlT_T0_E_clISt17integral_constantIbLb0EESW_EEDaSR_SS_EUlSR_E0_NS1_11comp_targetILNS1_3genE8ELNS1_11target_archE1030ELNS1_3gpuE2ELNS1_3repE0EEENS1_30default_config_static_selectorELNS0_4arch9wavefront6targetE1EEEvT1_,"axG",@progbits,_ZN7rocprim17ROCPRIM_400000_NS6detail17trampoline_kernelINS0_14default_configENS1_20scan_config_selectorI11FixedVectorIiLj1EEEEZZNS1_9scan_implILNS1_25lookback_scan_determinismE0ELb0ELb0ES3_N6thrust23THRUST_200600_302600_NS6detail15normal_iteratorINSB_10device_ptrIS6_EEEESG_S6_NSB_4plusIvEES6_EEDaPvRmT3_T4_T5_mT6_P12ihipStream_tbENKUlT_T0_E_clISt17integral_constantIbLb0EESW_EEDaSR_SS_EUlSR_E0_NS1_11comp_targetILNS1_3genE8ELNS1_11target_archE1030ELNS1_3gpuE2ELNS1_3repE0EEENS1_30default_config_static_selectorELNS0_4arch9wavefront6targetE1EEEvT1_,comdat
	.protected	_ZN7rocprim17ROCPRIM_400000_NS6detail17trampoline_kernelINS0_14default_configENS1_20scan_config_selectorI11FixedVectorIiLj1EEEEZZNS1_9scan_implILNS1_25lookback_scan_determinismE0ELb0ELb0ES3_N6thrust23THRUST_200600_302600_NS6detail15normal_iteratorINSB_10device_ptrIS6_EEEESG_S6_NSB_4plusIvEES6_EEDaPvRmT3_T4_T5_mT6_P12ihipStream_tbENKUlT_T0_E_clISt17integral_constantIbLb0EESW_EEDaSR_SS_EUlSR_E0_NS1_11comp_targetILNS1_3genE8ELNS1_11target_archE1030ELNS1_3gpuE2ELNS1_3repE0EEENS1_30default_config_static_selectorELNS0_4arch9wavefront6targetE1EEEvT1_ ; -- Begin function _ZN7rocprim17ROCPRIM_400000_NS6detail17trampoline_kernelINS0_14default_configENS1_20scan_config_selectorI11FixedVectorIiLj1EEEEZZNS1_9scan_implILNS1_25lookback_scan_determinismE0ELb0ELb0ES3_N6thrust23THRUST_200600_302600_NS6detail15normal_iteratorINSB_10device_ptrIS6_EEEESG_S6_NSB_4plusIvEES6_EEDaPvRmT3_T4_T5_mT6_P12ihipStream_tbENKUlT_T0_E_clISt17integral_constantIbLb0EESW_EEDaSR_SS_EUlSR_E0_NS1_11comp_targetILNS1_3genE8ELNS1_11target_archE1030ELNS1_3gpuE2ELNS1_3repE0EEENS1_30default_config_static_selectorELNS0_4arch9wavefront6targetE1EEEvT1_
	.globl	_ZN7rocprim17ROCPRIM_400000_NS6detail17trampoline_kernelINS0_14default_configENS1_20scan_config_selectorI11FixedVectorIiLj1EEEEZZNS1_9scan_implILNS1_25lookback_scan_determinismE0ELb0ELb0ES3_N6thrust23THRUST_200600_302600_NS6detail15normal_iteratorINSB_10device_ptrIS6_EEEESG_S6_NSB_4plusIvEES6_EEDaPvRmT3_T4_T5_mT6_P12ihipStream_tbENKUlT_T0_E_clISt17integral_constantIbLb0EESW_EEDaSR_SS_EUlSR_E0_NS1_11comp_targetILNS1_3genE8ELNS1_11target_archE1030ELNS1_3gpuE2ELNS1_3repE0EEENS1_30default_config_static_selectorELNS0_4arch9wavefront6targetE1EEEvT1_
	.p2align	8
	.type	_ZN7rocprim17ROCPRIM_400000_NS6detail17trampoline_kernelINS0_14default_configENS1_20scan_config_selectorI11FixedVectorIiLj1EEEEZZNS1_9scan_implILNS1_25lookback_scan_determinismE0ELb0ELb0ES3_N6thrust23THRUST_200600_302600_NS6detail15normal_iteratorINSB_10device_ptrIS6_EEEESG_S6_NSB_4plusIvEES6_EEDaPvRmT3_T4_T5_mT6_P12ihipStream_tbENKUlT_T0_E_clISt17integral_constantIbLb0EESW_EEDaSR_SS_EUlSR_E0_NS1_11comp_targetILNS1_3genE8ELNS1_11target_archE1030ELNS1_3gpuE2ELNS1_3repE0EEENS1_30default_config_static_selectorELNS0_4arch9wavefront6targetE1EEEvT1_,@function
_ZN7rocprim17ROCPRIM_400000_NS6detail17trampoline_kernelINS0_14default_configENS1_20scan_config_selectorI11FixedVectorIiLj1EEEEZZNS1_9scan_implILNS1_25lookback_scan_determinismE0ELb0ELb0ES3_N6thrust23THRUST_200600_302600_NS6detail15normal_iteratorINSB_10device_ptrIS6_EEEESG_S6_NSB_4plusIvEES6_EEDaPvRmT3_T4_T5_mT6_P12ihipStream_tbENKUlT_T0_E_clISt17integral_constantIbLb0EESW_EEDaSR_SS_EUlSR_E0_NS1_11comp_targetILNS1_3genE8ELNS1_11target_archE1030ELNS1_3gpuE2ELNS1_3repE0EEENS1_30default_config_static_selectorELNS0_4arch9wavefront6targetE1EEEvT1_: ; @_ZN7rocprim17ROCPRIM_400000_NS6detail17trampoline_kernelINS0_14default_configENS1_20scan_config_selectorI11FixedVectorIiLj1EEEEZZNS1_9scan_implILNS1_25lookback_scan_determinismE0ELb0ELb0ES3_N6thrust23THRUST_200600_302600_NS6detail15normal_iteratorINSB_10device_ptrIS6_EEEESG_S6_NSB_4plusIvEES6_EEDaPvRmT3_T4_T5_mT6_P12ihipStream_tbENKUlT_T0_E_clISt17integral_constantIbLb0EESW_EEDaSR_SS_EUlSR_E0_NS1_11comp_targetILNS1_3genE8ELNS1_11target_archE1030ELNS1_3gpuE2ELNS1_3repE0EEENS1_30default_config_static_selectorELNS0_4arch9wavefront6targetE1EEEvT1_
; %bb.0:
	.section	.rodata,"a",@progbits
	.p2align	6, 0x0
	.amdhsa_kernel _ZN7rocprim17ROCPRIM_400000_NS6detail17trampoline_kernelINS0_14default_configENS1_20scan_config_selectorI11FixedVectorIiLj1EEEEZZNS1_9scan_implILNS1_25lookback_scan_determinismE0ELb0ELb0ES3_N6thrust23THRUST_200600_302600_NS6detail15normal_iteratorINSB_10device_ptrIS6_EEEESG_S6_NSB_4plusIvEES6_EEDaPvRmT3_T4_T5_mT6_P12ihipStream_tbENKUlT_T0_E_clISt17integral_constantIbLb0EESW_EEDaSR_SS_EUlSR_E0_NS1_11comp_targetILNS1_3genE8ELNS1_11target_archE1030ELNS1_3gpuE2ELNS1_3repE0EEENS1_30default_config_static_selectorELNS0_4arch9wavefront6targetE1EEEvT1_
		.amdhsa_group_segment_fixed_size 0
		.amdhsa_private_segment_fixed_size 0
		.amdhsa_kernarg_size 32
		.amdhsa_user_sgpr_count 6
		.amdhsa_user_sgpr_private_segment_buffer 1
		.amdhsa_user_sgpr_dispatch_ptr 0
		.amdhsa_user_sgpr_queue_ptr 0
		.amdhsa_user_sgpr_kernarg_segment_ptr 1
		.amdhsa_user_sgpr_dispatch_id 0
		.amdhsa_user_sgpr_flat_scratch_init 0
		.amdhsa_user_sgpr_kernarg_preload_length 0
		.amdhsa_user_sgpr_kernarg_preload_offset 0
		.amdhsa_user_sgpr_private_segment_size 0
		.amdhsa_uses_dynamic_stack 0
		.amdhsa_system_sgpr_private_segment_wavefront_offset 0
		.amdhsa_system_sgpr_workgroup_id_x 1
		.amdhsa_system_sgpr_workgroup_id_y 0
		.amdhsa_system_sgpr_workgroup_id_z 0
		.amdhsa_system_sgpr_workgroup_info 0
		.amdhsa_system_vgpr_workitem_id 0
		.amdhsa_next_free_vgpr 1
		.amdhsa_next_free_sgpr 0
		.amdhsa_accum_offset 4
		.amdhsa_reserve_vcc 0
		.amdhsa_reserve_flat_scratch 0
		.amdhsa_float_round_mode_32 0
		.amdhsa_float_round_mode_16_64 0
		.amdhsa_float_denorm_mode_32 3
		.amdhsa_float_denorm_mode_16_64 3
		.amdhsa_dx10_clamp 1
		.amdhsa_ieee_mode 1
		.amdhsa_fp16_overflow 0
		.amdhsa_tg_split 0
		.amdhsa_exception_fp_ieee_invalid_op 0
		.amdhsa_exception_fp_denorm_src 0
		.amdhsa_exception_fp_ieee_div_zero 0
		.amdhsa_exception_fp_ieee_overflow 0
		.amdhsa_exception_fp_ieee_underflow 0
		.amdhsa_exception_fp_ieee_inexact 0
		.amdhsa_exception_int_div_zero 0
	.end_amdhsa_kernel
	.section	.text._ZN7rocprim17ROCPRIM_400000_NS6detail17trampoline_kernelINS0_14default_configENS1_20scan_config_selectorI11FixedVectorIiLj1EEEEZZNS1_9scan_implILNS1_25lookback_scan_determinismE0ELb0ELb0ES3_N6thrust23THRUST_200600_302600_NS6detail15normal_iteratorINSB_10device_ptrIS6_EEEESG_S6_NSB_4plusIvEES6_EEDaPvRmT3_T4_T5_mT6_P12ihipStream_tbENKUlT_T0_E_clISt17integral_constantIbLb0EESW_EEDaSR_SS_EUlSR_E0_NS1_11comp_targetILNS1_3genE8ELNS1_11target_archE1030ELNS1_3gpuE2ELNS1_3repE0EEENS1_30default_config_static_selectorELNS0_4arch9wavefront6targetE1EEEvT1_,"axG",@progbits,_ZN7rocprim17ROCPRIM_400000_NS6detail17trampoline_kernelINS0_14default_configENS1_20scan_config_selectorI11FixedVectorIiLj1EEEEZZNS1_9scan_implILNS1_25lookback_scan_determinismE0ELb0ELb0ES3_N6thrust23THRUST_200600_302600_NS6detail15normal_iteratorINSB_10device_ptrIS6_EEEESG_S6_NSB_4plusIvEES6_EEDaPvRmT3_T4_T5_mT6_P12ihipStream_tbENKUlT_T0_E_clISt17integral_constantIbLb0EESW_EEDaSR_SS_EUlSR_E0_NS1_11comp_targetILNS1_3genE8ELNS1_11target_archE1030ELNS1_3gpuE2ELNS1_3repE0EEENS1_30default_config_static_selectorELNS0_4arch9wavefront6targetE1EEEvT1_,comdat
.Lfunc_end6404:
	.size	_ZN7rocprim17ROCPRIM_400000_NS6detail17trampoline_kernelINS0_14default_configENS1_20scan_config_selectorI11FixedVectorIiLj1EEEEZZNS1_9scan_implILNS1_25lookback_scan_determinismE0ELb0ELb0ES3_N6thrust23THRUST_200600_302600_NS6detail15normal_iteratorINSB_10device_ptrIS6_EEEESG_S6_NSB_4plusIvEES6_EEDaPvRmT3_T4_T5_mT6_P12ihipStream_tbENKUlT_T0_E_clISt17integral_constantIbLb0EESW_EEDaSR_SS_EUlSR_E0_NS1_11comp_targetILNS1_3genE8ELNS1_11target_archE1030ELNS1_3gpuE2ELNS1_3repE0EEENS1_30default_config_static_selectorELNS0_4arch9wavefront6targetE1EEEvT1_, .Lfunc_end6404-_ZN7rocprim17ROCPRIM_400000_NS6detail17trampoline_kernelINS0_14default_configENS1_20scan_config_selectorI11FixedVectorIiLj1EEEEZZNS1_9scan_implILNS1_25lookback_scan_determinismE0ELb0ELb0ES3_N6thrust23THRUST_200600_302600_NS6detail15normal_iteratorINSB_10device_ptrIS6_EEEESG_S6_NSB_4plusIvEES6_EEDaPvRmT3_T4_T5_mT6_P12ihipStream_tbENKUlT_T0_E_clISt17integral_constantIbLb0EESW_EEDaSR_SS_EUlSR_E0_NS1_11comp_targetILNS1_3genE8ELNS1_11target_archE1030ELNS1_3gpuE2ELNS1_3repE0EEENS1_30default_config_static_selectorELNS0_4arch9wavefront6targetE1EEEvT1_
                                        ; -- End function
	.section	.AMDGPU.csdata,"",@progbits
; Kernel info:
; codeLenInByte = 0
; NumSgprs: 4
; NumVgprs: 0
; NumAgprs: 0
; TotalNumVgprs: 0
; ScratchSize: 0
; MemoryBound: 0
; FloatMode: 240
; IeeeMode: 1
; LDSByteSize: 0 bytes/workgroup (compile time only)
; SGPRBlocks: 0
; VGPRBlocks: 0
; NumSGPRsForWavesPerEU: 4
; NumVGPRsForWavesPerEU: 1
; AccumOffset: 4
; Occupancy: 8
; WaveLimiterHint : 0
; COMPUTE_PGM_RSRC2:SCRATCH_EN: 0
; COMPUTE_PGM_RSRC2:USER_SGPR: 6
; COMPUTE_PGM_RSRC2:TRAP_HANDLER: 0
; COMPUTE_PGM_RSRC2:TGID_X_EN: 1
; COMPUTE_PGM_RSRC2:TGID_Y_EN: 0
; COMPUTE_PGM_RSRC2:TGID_Z_EN: 0
; COMPUTE_PGM_RSRC2:TIDIG_COMP_CNT: 0
; COMPUTE_PGM_RSRC3_GFX90A:ACCUM_OFFSET: 0
; COMPUTE_PGM_RSRC3_GFX90A:TG_SPLIT: 0
	.section	.text._ZN7rocprim17ROCPRIM_400000_NS6detail31init_lookback_scan_state_kernelINS1_19lookback_scan_stateI11FixedVectorIiLj1EELb1ELb1EEENS1_16block_id_wrapperIjLb1EEEEEvT_jT0_jPNS9_10value_typeE,"axG",@progbits,_ZN7rocprim17ROCPRIM_400000_NS6detail31init_lookback_scan_state_kernelINS1_19lookback_scan_stateI11FixedVectorIiLj1EELb1ELb1EEENS1_16block_id_wrapperIjLb1EEEEEvT_jT0_jPNS9_10value_typeE,comdat
	.protected	_ZN7rocprim17ROCPRIM_400000_NS6detail31init_lookback_scan_state_kernelINS1_19lookback_scan_stateI11FixedVectorIiLj1EELb1ELb1EEENS1_16block_id_wrapperIjLb1EEEEEvT_jT0_jPNS9_10value_typeE ; -- Begin function _ZN7rocprim17ROCPRIM_400000_NS6detail31init_lookback_scan_state_kernelINS1_19lookback_scan_stateI11FixedVectorIiLj1EELb1ELb1EEENS1_16block_id_wrapperIjLb1EEEEEvT_jT0_jPNS9_10value_typeE
	.globl	_ZN7rocprim17ROCPRIM_400000_NS6detail31init_lookback_scan_state_kernelINS1_19lookback_scan_stateI11FixedVectorIiLj1EELb1ELb1EEENS1_16block_id_wrapperIjLb1EEEEEvT_jT0_jPNS9_10value_typeE
	.p2align	8
	.type	_ZN7rocprim17ROCPRIM_400000_NS6detail31init_lookback_scan_state_kernelINS1_19lookback_scan_stateI11FixedVectorIiLj1EELb1ELb1EEENS1_16block_id_wrapperIjLb1EEEEEvT_jT0_jPNS9_10value_typeE,@function
_ZN7rocprim17ROCPRIM_400000_NS6detail31init_lookback_scan_state_kernelINS1_19lookback_scan_stateI11FixedVectorIiLj1EELb1ELb1EEENS1_16block_id_wrapperIjLb1EEEEEvT_jT0_jPNS9_10value_typeE: ; @_ZN7rocprim17ROCPRIM_400000_NS6detail31init_lookback_scan_state_kernelINS1_19lookback_scan_stateI11FixedVectorIiLj1EELb1ELb1EEENS1_16block_id_wrapperIjLb1EEEEEvT_jT0_jPNS9_10value_typeE
; %bb.0:
	s_load_dword s7, s[4:5], 0x34
	s_load_dwordx2 s[2:3], s[4:5], 0x20
	s_load_dwordx2 s[0:1], s[4:5], 0x0
	s_load_dword s10, s[4:5], 0x8
	s_waitcnt lgkmcnt(0)
	s_and_b32 s7, s7, 0xffff
	s_mul_i32 s6, s6, s7
	s_cmp_eq_u64 s[2:3], 0
	v_add_u32_e32 v0, s6, v0
	s_cbranch_scc1 .LBB6405_9
; %bb.1:
	s_load_dword s8, s[4:5], 0x18
	s_mov_b32 s9, 0
	s_waitcnt lgkmcnt(0)
	s_cmp_lt_u32 s8, s10
	s_cselect_b32 s6, s8, 0
	v_cmp_eq_u32_e32 vcc, s6, v0
	s_and_saveexec_b64 s[6:7], vcc
	s_cbranch_execz .LBB6405_8
; %bb.2:
	s_add_i32 s8, s8, 64
	s_lshl_b64 s[8:9], s[8:9], 3
	s_add_u32 s8, s0, s8
	s_addc_u32 s9, s1, s9
	v_mov_b32_e32 v2, 0
	global_load_dwordx2 v[4:5], v2, s[8:9] glc
	s_waitcnt vmcnt(0)
	v_and_b32_e32 v3, 0xff, v5
	v_cmp_ne_u64_e32 vcc, 0, v[2:3]
	s_cbranch_vccnz .LBB6405_7
; %bb.3:
	s_mov_b32 s11, 1
.LBB6405_4:                             ; =>This Loop Header: Depth=1
                                        ;     Child Loop BB6405_5 Depth 2
	s_max_u32 s12, s11, 1
.LBB6405_5:                             ;   Parent Loop BB6405_4 Depth=1
                                        ; =>  This Inner Loop Header: Depth=2
	s_add_i32 s12, s12, -1
	s_cmp_eq_u32 s12, 0
	s_sleep 1
	s_cbranch_scc0 .LBB6405_5
; %bb.6:                                ;   in Loop: Header=BB6405_4 Depth=1
	global_load_dwordx2 v[4:5], v2, s[8:9] glc
	s_cmp_lt_u32 s11, 32
	s_cselect_b64 s[12:13], -1, 0
	s_cmp_lg_u64 s[12:13], 0
	s_addc_u32 s11, s11, 0
	s_waitcnt vmcnt(0)
	v_and_b32_e32 v3, 0xff, v5
	v_cmp_ne_u64_e32 vcc, 0, v[2:3]
	s_cbranch_vccz .LBB6405_4
.LBB6405_7:
	v_mov_b32_e32 v1, 0
	global_store_dword v1, v4, s[2:3]
.LBB6405_8:
	s_or_b64 exec, exec, s[6:7]
.LBB6405_9:
	v_cmp_eq_u32_e32 vcc, 0, v0
	s_and_saveexec_b64 s[2:3], vcc
	s_cbranch_execnz .LBB6405_13
; %bb.10:
	s_or_b64 exec, exec, s[2:3]
	v_cmp_gt_u32_e32 vcc, s10, v0
	s_and_saveexec_b64 s[2:3], vcc
	s_cbranch_execnz .LBB6405_14
.LBB6405_11:
	s_or_b64 exec, exec, s[2:3]
	v_cmp_gt_u32_e32 vcc, 64, v0
	s_and_saveexec_b64 s[2:3], vcc
	s_cbranch_execnz .LBB6405_15
.LBB6405_12:
	s_endpgm
.LBB6405_13:
	s_load_dwordx2 s[4:5], s[4:5], 0x10
	v_mov_b32_e32 v1, 0
	s_waitcnt lgkmcnt(0)
	global_store_dword v1, v1, s[4:5]
	s_or_b64 exec, exec, s[2:3]
	v_cmp_gt_u32_e32 vcc, s10, v0
	s_and_saveexec_b64 s[2:3], vcc
	s_cbranch_execz .LBB6405_11
.LBB6405_14:
	v_add_u32_e32 v2, 64, v0
	v_mov_b32_e32 v3, 0
	v_lshlrev_b64 v[4:5], 3, v[2:3]
	v_mov_b32_e32 v1, s1
	v_add_co_u32_e32 v4, vcc, s0, v4
	v_addc_co_u32_e32 v5, vcc, v1, v5, vcc
	v_mov_b32_e32 v2, v3
	global_store_dwordx2 v[4:5], v[2:3], off
	s_or_b64 exec, exec, s[2:3]
	v_cmp_gt_u32_e32 vcc, 64, v0
	s_and_saveexec_b64 s[2:3], vcc
	s_cbranch_execz .LBB6405_12
.LBB6405_15:
	v_mov_b32_e32 v1, 0
	v_lshlrev_b64 v[2:3], 3, v[0:1]
	v_mov_b32_e32 v0, s1
	v_add_co_u32_e32 v2, vcc, s0, v2
	v_addc_co_u32_e32 v3, vcc, v0, v3, vcc
	v_mov_b32_e32 v5, 0xff
	v_mov_b32_e32 v4, v1
	global_store_dwordx2 v[2:3], v[4:5], off
	s_endpgm
	.section	.rodata,"a",@progbits
	.p2align	6, 0x0
	.amdhsa_kernel _ZN7rocprim17ROCPRIM_400000_NS6detail31init_lookback_scan_state_kernelINS1_19lookback_scan_stateI11FixedVectorIiLj1EELb1ELb1EEENS1_16block_id_wrapperIjLb1EEEEEvT_jT0_jPNS9_10value_typeE
		.amdhsa_group_segment_fixed_size 0
		.amdhsa_private_segment_fixed_size 0
		.amdhsa_kernarg_size 296
		.amdhsa_user_sgpr_count 6
		.amdhsa_user_sgpr_private_segment_buffer 1
		.amdhsa_user_sgpr_dispatch_ptr 0
		.amdhsa_user_sgpr_queue_ptr 0
		.amdhsa_user_sgpr_kernarg_segment_ptr 1
		.amdhsa_user_sgpr_dispatch_id 0
		.amdhsa_user_sgpr_flat_scratch_init 0
		.amdhsa_user_sgpr_kernarg_preload_length 0
		.amdhsa_user_sgpr_kernarg_preload_offset 0
		.amdhsa_user_sgpr_private_segment_size 0
		.amdhsa_uses_dynamic_stack 0
		.amdhsa_system_sgpr_private_segment_wavefront_offset 0
		.amdhsa_system_sgpr_workgroup_id_x 1
		.amdhsa_system_sgpr_workgroup_id_y 0
		.amdhsa_system_sgpr_workgroup_id_z 0
		.amdhsa_system_sgpr_workgroup_info 0
		.amdhsa_system_vgpr_workitem_id 0
		.amdhsa_next_free_vgpr 6
		.amdhsa_next_free_sgpr 14
		.amdhsa_accum_offset 8
		.amdhsa_reserve_vcc 1
		.amdhsa_reserve_flat_scratch 0
		.amdhsa_float_round_mode_32 0
		.amdhsa_float_round_mode_16_64 0
		.amdhsa_float_denorm_mode_32 3
		.amdhsa_float_denorm_mode_16_64 3
		.amdhsa_dx10_clamp 1
		.amdhsa_ieee_mode 1
		.amdhsa_fp16_overflow 0
		.amdhsa_tg_split 0
		.amdhsa_exception_fp_ieee_invalid_op 0
		.amdhsa_exception_fp_denorm_src 0
		.amdhsa_exception_fp_ieee_div_zero 0
		.amdhsa_exception_fp_ieee_overflow 0
		.amdhsa_exception_fp_ieee_underflow 0
		.amdhsa_exception_fp_ieee_inexact 0
		.amdhsa_exception_int_div_zero 0
	.end_amdhsa_kernel
	.section	.text._ZN7rocprim17ROCPRIM_400000_NS6detail31init_lookback_scan_state_kernelINS1_19lookback_scan_stateI11FixedVectorIiLj1EELb1ELb1EEENS1_16block_id_wrapperIjLb1EEEEEvT_jT0_jPNS9_10value_typeE,"axG",@progbits,_ZN7rocprim17ROCPRIM_400000_NS6detail31init_lookback_scan_state_kernelINS1_19lookback_scan_stateI11FixedVectorIiLj1EELb1ELb1EEENS1_16block_id_wrapperIjLb1EEEEEvT_jT0_jPNS9_10value_typeE,comdat
.Lfunc_end6405:
	.size	_ZN7rocprim17ROCPRIM_400000_NS6detail31init_lookback_scan_state_kernelINS1_19lookback_scan_stateI11FixedVectorIiLj1EELb1ELb1EEENS1_16block_id_wrapperIjLb1EEEEEvT_jT0_jPNS9_10value_typeE, .Lfunc_end6405-_ZN7rocprim17ROCPRIM_400000_NS6detail31init_lookback_scan_state_kernelINS1_19lookback_scan_stateI11FixedVectorIiLj1EELb1ELb1EEENS1_16block_id_wrapperIjLb1EEEEEvT_jT0_jPNS9_10value_typeE
                                        ; -- End function
	.section	.AMDGPU.csdata,"",@progbits
; Kernel info:
; codeLenInByte = 420
; NumSgprs: 18
; NumVgprs: 6
; NumAgprs: 0
; TotalNumVgprs: 6
; ScratchSize: 0
; MemoryBound: 0
; FloatMode: 240
; IeeeMode: 1
; LDSByteSize: 0 bytes/workgroup (compile time only)
; SGPRBlocks: 2
; VGPRBlocks: 0
; NumSGPRsForWavesPerEU: 18
; NumVGPRsForWavesPerEU: 6
; AccumOffset: 8
; Occupancy: 8
; WaveLimiterHint : 0
; COMPUTE_PGM_RSRC2:SCRATCH_EN: 0
; COMPUTE_PGM_RSRC2:USER_SGPR: 6
; COMPUTE_PGM_RSRC2:TRAP_HANDLER: 0
; COMPUTE_PGM_RSRC2:TGID_X_EN: 1
; COMPUTE_PGM_RSRC2:TGID_Y_EN: 0
; COMPUTE_PGM_RSRC2:TGID_Z_EN: 0
; COMPUTE_PGM_RSRC2:TIDIG_COMP_CNT: 0
; COMPUTE_PGM_RSRC3_GFX90A:ACCUM_OFFSET: 1
; COMPUTE_PGM_RSRC3_GFX90A:TG_SPLIT: 0
	.section	.text._ZN7rocprim17ROCPRIM_400000_NS6detail17trampoline_kernelINS0_14default_configENS1_20scan_config_selectorI11FixedVectorIiLj1EEEEZZNS1_9scan_implILNS1_25lookback_scan_determinismE0ELb0ELb0ES3_N6thrust23THRUST_200600_302600_NS6detail15normal_iteratorINSB_10device_ptrIS6_EEEESG_S6_NSB_4plusIvEES6_EEDaPvRmT3_T4_T5_mT6_P12ihipStream_tbENKUlT_T0_E_clISt17integral_constantIbLb1EESW_EEDaSR_SS_EUlSR_E_NS1_11comp_targetILNS1_3genE0ELNS1_11target_archE4294967295ELNS1_3gpuE0ELNS1_3repE0EEENS1_30default_config_static_selectorELNS0_4arch9wavefront6targetE1EEEvT1_,"axG",@progbits,_ZN7rocprim17ROCPRIM_400000_NS6detail17trampoline_kernelINS0_14default_configENS1_20scan_config_selectorI11FixedVectorIiLj1EEEEZZNS1_9scan_implILNS1_25lookback_scan_determinismE0ELb0ELb0ES3_N6thrust23THRUST_200600_302600_NS6detail15normal_iteratorINSB_10device_ptrIS6_EEEESG_S6_NSB_4plusIvEES6_EEDaPvRmT3_T4_T5_mT6_P12ihipStream_tbENKUlT_T0_E_clISt17integral_constantIbLb1EESW_EEDaSR_SS_EUlSR_E_NS1_11comp_targetILNS1_3genE0ELNS1_11target_archE4294967295ELNS1_3gpuE0ELNS1_3repE0EEENS1_30default_config_static_selectorELNS0_4arch9wavefront6targetE1EEEvT1_,comdat
	.protected	_ZN7rocprim17ROCPRIM_400000_NS6detail17trampoline_kernelINS0_14default_configENS1_20scan_config_selectorI11FixedVectorIiLj1EEEEZZNS1_9scan_implILNS1_25lookback_scan_determinismE0ELb0ELb0ES3_N6thrust23THRUST_200600_302600_NS6detail15normal_iteratorINSB_10device_ptrIS6_EEEESG_S6_NSB_4plusIvEES6_EEDaPvRmT3_T4_T5_mT6_P12ihipStream_tbENKUlT_T0_E_clISt17integral_constantIbLb1EESW_EEDaSR_SS_EUlSR_E_NS1_11comp_targetILNS1_3genE0ELNS1_11target_archE4294967295ELNS1_3gpuE0ELNS1_3repE0EEENS1_30default_config_static_selectorELNS0_4arch9wavefront6targetE1EEEvT1_ ; -- Begin function _ZN7rocprim17ROCPRIM_400000_NS6detail17trampoline_kernelINS0_14default_configENS1_20scan_config_selectorI11FixedVectorIiLj1EEEEZZNS1_9scan_implILNS1_25lookback_scan_determinismE0ELb0ELb0ES3_N6thrust23THRUST_200600_302600_NS6detail15normal_iteratorINSB_10device_ptrIS6_EEEESG_S6_NSB_4plusIvEES6_EEDaPvRmT3_T4_T5_mT6_P12ihipStream_tbENKUlT_T0_E_clISt17integral_constantIbLb1EESW_EEDaSR_SS_EUlSR_E_NS1_11comp_targetILNS1_3genE0ELNS1_11target_archE4294967295ELNS1_3gpuE0ELNS1_3repE0EEENS1_30default_config_static_selectorELNS0_4arch9wavefront6targetE1EEEvT1_
	.globl	_ZN7rocprim17ROCPRIM_400000_NS6detail17trampoline_kernelINS0_14default_configENS1_20scan_config_selectorI11FixedVectorIiLj1EEEEZZNS1_9scan_implILNS1_25lookback_scan_determinismE0ELb0ELb0ES3_N6thrust23THRUST_200600_302600_NS6detail15normal_iteratorINSB_10device_ptrIS6_EEEESG_S6_NSB_4plusIvEES6_EEDaPvRmT3_T4_T5_mT6_P12ihipStream_tbENKUlT_T0_E_clISt17integral_constantIbLb1EESW_EEDaSR_SS_EUlSR_E_NS1_11comp_targetILNS1_3genE0ELNS1_11target_archE4294967295ELNS1_3gpuE0ELNS1_3repE0EEENS1_30default_config_static_selectorELNS0_4arch9wavefront6targetE1EEEvT1_
	.p2align	8
	.type	_ZN7rocprim17ROCPRIM_400000_NS6detail17trampoline_kernelINS0_14default_configENS1_20scan_config_selectorI11FixedVectorIiLj1EEEEZZNS1_9scan_implILNS1_25lookback_scan_determinismE0ELb0ELb0ES3_N6thrust23THRUST_200600_302600_NS6detail15normal_iteratorINSB_10device_ptrIS6_EEEESG_S6_NSB_4plusIvEES6_EEDaPvRmT3_T4_T5_mT6_P12ihipStream_tbENKUlT_T0_E_clISt17integral_constantIbLb1EESW_EEDaSR_SS_EUlSR_E_NS1_11comp_targetILNS1_3genE0ELNS1_11target_archE4294967295ELNS1_3gpuE0ELNS1_3repE0EEENS1_30default_config_static_selectorELNS0_4arch9wavefront6targetE1EEEvT1_,@function
_ZN7rocprim17ROCPRIM_400000_NS6detail17trampoline_kernelINS0_14default_configENS1_20scan_config_selectorI11FixedVectorIiLj1EEEEZZNS1_9scan_implILNS1_25lookback_scan_determinismE0ELb0ELb0ES3_N6thrust23THRUST_200600_302600_NS6detail15normal_iteratorINSB_10device_ptrIS6_EEEESG_S6_NSB_4plusIvEES6_EEDaPvRmT3_T4_T5_mT6_P12ihipStream_tbENKUlT_T0_E_clISt17integral_constantIbLb1EESW_EEDaSR_SS_EUlSR_E_NS1_11comp_targetILNS1_3genE0ELNS1_11target_archE4294967295ELNS1_3gpuE0ELNS1_3repE0EEENS1_30default_config_static_selectorELNS0_4arch9wavefront6targetE1EEEvT1_: ; @_ZN7rocprim17ROCPRIM_400000_NS6detail17trampoline_kernelINS0_14default_configENS1_20scan_config_selectorI11FixedVectorIiLj1EEEEZZNS1_9scan_implILNS1_25lookback_scan_determinismE0ELb0ELb0ES3_N6thrust23THRUST_200600_302600_NS6detail15normal_iteratorINSB_10device_ptrIS6_EEEESG_S6_NSB_4plusIvEES6_EEDaPvRmT3_T4_T5_mT6_P12ihipStream_tbENKUlT_T0_E_clISt17integral_constantIbLb1EESW_EEDaSR_SS_EUlSR_E_NS1_11comp_targetILNS1_3genE0ELNS1_11target_archE4294967295ELNS1_3gpuE0ELNS1_3repE0EEENS1_30default_config_static_selectorELNS0_4arch9wavefront6targetE1EEEvT1_
; %bb.0:
	.section	.rodata,"a",@progbits
	.p2align	6, 0x0
	.amdhsa_kernel _ZN7rocprim17ROCPRIM_400000_NS6detail17trampoline_kernelINS0_14default_configENS1_20scan_config_selectorI11FixedVectorIiLj1EEEEZZNS1_9scan_implILNS1_25lookback_scan_determinismE0ELb0ELb0ES3_N6thrust23THRUST_200600_302600_NS6detail15normal_iteratorINSB_10device_ptrIS6_EEEESG_S6_NSB_4plusIvEES6_EEDaPvRmT3_T4_T5_mT6_P12ihipStream_tbENKUlT_T0_E_clISt17integral_constantIbLb1EESW_EEDaSR_SS_EUlSR_E_NS1_11comp_targetILNS1_3genE0ELNS1_11target_archE4294967295ELNS1_3gpuE0ELNS1_3repE0EEENS1_30default_config_static_selectorELNS0_4arch9wavefront6targetE1EEEvT1_
		.amdhsa_group_segment_fixed_size 0
		.amdhsa_private_segment_fixed_size 0
		.amdhsa_kernarg_size 96
		.amdhsa_user_sgpr_count 6
		.amdhsa_user_sgpr_private_segment_buffer 1
		.amdhsa_user_sgpr_dispatch_ptr 0
		.amdhsa_user_sgpr_queue_ptr 0
		.amdhsa_user_sgpr_kernarg_segment_ptr 1
		.amdhsa_user_sgpr_dispatch_id 0
		.amdhsa_user_sgpr_flat_scratch_init 0
		.amdhsa_user_sgpr_kernarg_preload_length 0
		.amdhsa_user_sgpr_kernarg_preload_offset 0
		.amdhsa_user_sgpr_private_segment_size 0
		.amdhsa_uses_dynamic_stack 0
		.amdhsa_system_sgpr_private_segment_wavefront_offset 0
		.amdhsa_system_sgpr_workgroup_id_x 1
		.amdhsa_system_sgpr_workgroup_id_y 0
		.amdhsa_system_sgpr_workgroup_id_z 0
		.amdhsa_system_sgpr_workgroup_info 0
		.amdhsa_system_vgpr_workitem_id 0
		.amdhsa_next_free_vgpr 1
		.amdhsa_next_free_sgpr 0
		.amdhsa_accum_offset 4
		.amdhsa_reserve_vcc 0
		.amdhsa_reserve_flat_scratch 0
		.amdhsa_float_round_mode_32 0
		.amdhsa_float_round_mode_16_64 0
		.amdhsa_float_denorm_mode_32 3
		.amdhsa_float_denorm_mode_16_64 3
		.amdhsa_dx10_clamp 1
		.amdhsa_ieee_mode 1
		.amdhsa_fp16_overflow 0
		.amdhsa_tg_split 0
		.amdhsa_exception_fp_ieee_invalid_op 0
		.amdhsa_exception_fp_denorm_src 0
		.amdhsa_exception_fp_ieee_div_zero 0
		.amdhsa_exception_fp_ieee_overflow 0
		.amdhsa_exception_fp_ieee_underflow 0
		.amdhsa_exception_fp_ieee_inexact 0
		.amdhsa_exception_int_div_zero 0
	.end_amdhsa_kernel
	.section	.text._ZN7rocprim17ROCPRIM_400000_NS6detail17trampoline_kernelINS0_14default_configENS1_20scan_config_selectorI11FixedVectorIiLj1EEEEZZNS1_9scan_implILNS1_25lookback_scan_determinismE0ELb0ELb0ES3_N6thrust23THRUST_200600_302600_NS6detail15normal_iteratorINSB_10device_ptrIS6_EEEESG_S6_NSB_4plusIvEES6_EEDaPvRmT3_T4_T5_mT6_P12ihipStream_tbENKUlT_T0_E_clISt17integral_constantIbLb1EESW_EEDaSR_SS_EUlSR_E_NS1_11comp_targetILNS1_3genE0ELNS1_11target_archE4294967295ELNS1_3gpuE0ELNS1_3repE0EEENS1_30default_config_static_selectorELNS0_4arch9wavefront6targetE1EEEvT1_,"axG",@progbits,_ZN7rocprim17ROCPRIM_400000_NS6detail17trampoline_kernelINS0_14default_configENS1_20scan_config_selectorI11FixedVectorIiLj1EEEEZZNS1_9scan_implILNS1_25lookback_scan_determinismE0ELb0ELb0ES3_N6thrust23THRUST_200600_302600_NS6detail15normal_iteratorINSB_10device_ptrIS6_EEEESG_S6_NSB_4plusIvEES6_EEDaPvRmT3_T4_T5_mT6_P12ihipStream_tbENKUlT_T0_E_clISt17integral_constantIbLb1EESW_EEDaSR_SS_EUlSR_E_NS1_11comp_targetILNS1_3genE0ELNS1_11target_archE4294967295ELNS1_3gpuE0ELNS1_3repE0EEENS1_30default_config_static_selectorELNS0_4arch9wavefront6targetE1EEEvT1_,comdat
.Lfunc_end6406:
	.size	_ZN7rocprim17ROCPRIM_400000_NS6detail17trampoline_kernelINS0_14default_configENS1_20scan_config_selectorI11FixedVectorIiLj1EEEEZZNS1_9scan_implILNS1_25lookback_scan_determinismE0ELb0ELb0ES3_N6thrust23THRUST_200600_302600_NS6detail15normal_iteratorINSB_10device_ptrIS6_EEEESG_S6_NSB_4plusIvEES6_EEDaPvRmT3_T4_T5_mT6_P12ihipStream_tbENKUlT_T0_E_clISt17integral_constantIbLb1EESW_EEDaSR_SS_EUlSR_E_NS1_11comp_targetILNS1_3genE0ELNS1_11target_archE4294967295ELNS1_3gpuE0ELNS1_3repE0EEENS1_30default_config_static_selectorELNS0_4arch9wavefront6targetE1EEEvT1_, .Lfunc_end6406-_ZN7rocprim17ROCPRIM_400000_NS6detail17trampoline_kernelINS0_14default_configENS1_20scan_config_selectorI11FixedVectorIiLj1EEEEZZNS1_9scan_implILNS1_25lookback_scan_determinismE0ELb0ELb0ES3_N6thrust23THRUST_200600_302600_NS6detail15normal_iteratorINSB_10device_ptrIS6_EEEESG_S6_NSB_4plusIvEES6_EEDaPvRmT3_T4_T5_mT6_P12ihipStream_tbENKUlT_T0_E_clISt17integral_constantIbLb1EESW_EEDaSR_SS_EUlSR_E_NS1_11comp_targetILNS1_3genE0ELNS1_11target_archE4294967295ELNS1_3gpuE0ELNS1_3repE0EEENS1_30default_config_static_selectorELNS0_4arch9wavefront6targetE1EEEvT1_
                                        ; -- End function
	.section	.AMDGPU.csdata,"",@progbits
; Kernel info:
; codeLenInByte = 0
; NumSgprs: 4
; NumVgprs: 0
; NumAgprs: 0
; TotalNumVgprs: 0
; ScratchSize: 0
; MemoryBound: 0
; FloatMode: 240
; IeeeMode: 1
; LDSByteSize: 0 bytes/workgroup (compile time only)
; SGPRBlocks: 0
; VGPRBlocks: 0
; NumSGPRsForWavesPerEU: 4
; NumVGPRsForWavesPerEU: 1
; AccumOffset: 4
; Occupancy: 8
; WaveLimiterHint : 0
; COMPUTE_PGM_RSRC2:SCRATCH_EN: 0
; COMPUTE_PGM_RSRC2:USER_SGPR: 6
; COMPUTE_PGM_RSRC2:TRAP_HANDLER: 0
; COMPUTE_PGM_RSRC2:TGID_X_EN: 1
; COMPUTE_PGM_RSRC2:TGID_Y_EN: 0
; COMPUTE_PGM_RSRC2:TGID_Z_EN: 0
; COMPUTE_PGM_RSRC2:TIDIG_COMP_CNT: 0
; COMPUTE_PGM_RSRC3_GFX90A:ACCUM_OFFSET: 0
; COMPUTE_PGM_RSRC3_GFX90A:TG_SPLIT: 0
	.section	.text._ZN7rocprim17ROCPRIM_400000_NS6detail17trampoline_kernelINS0_14default_configENS1_20scan_config_selectorI11FixedVectorIiLj1EEEEZZNS1_9scan_implILNS1_25lookback_scan_determinismE0ELb0ELb0ES3_N6thrust23THRUST_200600_302600_NS6detail15normal_iteratorINSB_10device_ptrIS6_EEEESG_S6_NSB_4plusIvEES6_EEDaPvRmT3_T4_T5_mT6_P12ihipStream_tbENKUlT_T0_E_clISt17integral_constantIbLb1EESW_EEDaSR_SS_EUlSR_E_NS1_11comp_targetILNS1_3genE5ELNS1_11target_archE942ELNS1_3gpuE9ELNS1_3repE0EEENS1_30default_config_static_selectorELNS0_4arch9wavefront6targetE1EEEvT1_,"axG",@progbits,_ZN7rocprim17ROCPRIM_400000_NS6detail17trampoline_kernelINS0_14default_configENS1_20scan_config_selectorI11FixedVectorIiLj1EEEEZZNS1_9scan_implILNS1_25lookback_scan_determinismE0ELb0ELb0ES3_N6thrust23THRUST_200600_302600_NS6detail15normal_iteratorINSB_10device_ptrIS6_EEEESG_S6_NSB_4plusIvEES6_EEDaPvRmT3_T4_T5_mT6_P12ihipStream_tbENKUlT_T0_E_clISt17integral_constantIbLb1EESW_EEDaSR_SS_EUlSR_E_NS1_11comp_targetILNS1_3genE5ELNS1_11target_archE942ELNS1_3gpuE9ELNS1_3repE0EEENS1_30default_config_static_selectorELNS0_4arch9wavefront6targetE1EEEvT1_,comdat
	.protected	_ZN7rocprim17ROCPRIM_400000_NS6detail17trampoline_kernelINS0_14default_configENS1_20scan_config_selectorI11FixedVectorIiLj1EEEEZZNS1_9scan_implILNS1_25lookback_scan_determinismE0ELb0ELb0ES3_N6thrust23THRUST_200600_302600_NS6detail15normal_iteratorINSB_10device_ptrIS6_EEEESG_S6_NSB_4plusIvEES6_EEDaPvRmT3_T4_T5_mT6_P12ihipStream_tbENKUlT_T0_E_clISt17integral_constantIbLb1EESW_EEDaSR_SS_EUlSR_E_NS1_11comp_targetILNS1_3genE5ELNS1_11target_archE942ELNS1_3gpuE9ELNS1_3repE0EEENS1_30default_config_static_selectorELNS0_4arch9wavefront6targetE1EEEvT1_ ; -- Begin function _ZN7rocprim17ROCPRIM_400000_NS6detail17trampoline_kernelINS0_14default_configENS1_20scan_config_selectorI11FixedVectorIiLj1EEEEZZNS1_9scan_implILNS1_25lookback_scan_determinismE0ELb0ELb0ES3_N6thrust23THRUST_200600_302600_NS6detail15normal_iteratorINSB_10device_ptrIS6_EEEESG_S6_NSB_4plusIvEES6_EEDaPvRmT3_T4_T5_mT6_P12ihipStream_tbENKUlT_T0_E_clISt17integral_constantIbLb1EESW_EEDaSR_SS_EUlSR_E_NS1_11comp_targetILNS1_3genE5ELNS1_11target_archE942ELNS1_3gpuE9ELNS1_3repE0EEENS1_30default_config_static_selectorELNS0_4arch9wavefront6targetE1EEEvT1_
	.globl	_ZN7rocprim17ROCPRIM_400000_NS6detail17trampoline_kernelINS0_14default_configENS1_20scan_config_selectorI11FixedVectorIiLj1EEEEZZNS1_9scan_implILNS1_25lookback_scan_determinismE0ELb0ELb0ES3_N6thrust23THRUST_200600_302600_NS6detail15normal_iteratorINSB_10device_ptrIS6_EEEESG_S6_NSB_4plusIvEES6_EEDaPvRmT3_T4_T5_mT6_P12ihipStream_tbENKUlT_T0_E_clISt17integral_constantIbLb1EESW_EEDaSR_SS_EUlSR_E_NS1_11comp_targetILNS1_3genE5ELNS1_11target_archE942ELNS1_3gpuE9ELNS1_3repE0EEENS1_30default_config_static_selectorELNS0_4arch9wavefront6targetE1EEEvT1_
	.p2align	8
	.type	_ZN7rocprim17ROCPRIM_400000_NS6detail17trampoline_kernelINS0_14default_configENS1_20scan_config_selectorI11FixedVectorIiLj1EEEEZZNS1_9scan_implILNS1_25lookback_scan_determinismE0ELb0ELb0ES3_N6thrust23THRUST_200600_302600_NS6detail15normal_iteratorINSB_10device_ptrIS6_EEEESG_S6_NSB_4plusIvEES6_EEDaPvRmT3_T4_T5_mT6_P12ihipStream_tbENKUlT_T0_E_clISt17integral_constantIbLb1EESW_EEDaSR_SS_EUlSR_E_NS1_11comp_targetILNS1_3genE5ELNS1_11target_archE942ELNS1_3gpuE9ELNS1_3repE0EEENS1_30default_config_static_selectorELNS0_4arch9wavefront6targetE1EEEvT1_,@function
_ZN7rocprim17ROCPRIM_400000_NS6detail17trampoline_kernelINS0_14default_configENS1_20scan_config_selectorI11FixedVectorIiLj1EEEEZZNS1_9scan_implILNS1_25lookback_scan_determinismE0ELb0ELb0ES3_N6thrust23THRUST_200600_302600_NS6detail15normal_iteratorINSB_10device_ptrIS6_EEEESG_S6_NSB_4plusIvEES6_EEDaPvRmT3_T4_T5_mT6_P12ihipStream_tbENKUlT_T0_E_clISt17integral_constantIbLb1EESW_EEDaSR_SS_EUlSR_E_NS1_11comp_targetILNS1_3genE5ELNS1_11target_archE942ELNS1_3gpuE9ELNS1_3repE0EEENS1_30default_config_static_selectorELNS0_4arch9wavefront6targetE1EEEvT1_: ; @_ZN7rocprim17ROCPRIM_400000_NS6detail17trampoline_kernelINS0_14default_configENS1_20scan_config_selectorI11FixedVectorIiLj1EEEEZZNS1_9scan_implILNS1_25lookback_scan_determinismE0ELb0ELb0ES3_N6thrust23THRUST_200600_302600_NS6detail15normal_iteratorINSB_10device_ptrIS6_EEEESG_S6_NSB_4plusIvEES6_EEDaPvRmT3_T4_T5_mT6_P12ihipStream_tbENKUlT_T0_E_clISt17integral_constantIbLb1EESW_EEDaSR_SS_EUlSR_E_NS1_11comp_targetILNS1_3genE5ELNS1_11target_archE942ELNS1_3gpuE9ELNS1_3repE0EEENS1_30default_config_static_selectorELNS0_4arch9wavefront6targetE1EEEvT1_
; %bb.0:
	.section	.rodata,"a",@progbits
	.p2align	6, 0x0
	.amdhsa_kernel _ZN7rocprim17ROCPRIM_400000_NS6detail17trampoline_kernelINS0_14default_configENS1_20scan_config_selectorI11FixedVectorIiLj1EEEEZZNS1_9scan_implILNS1_25lookback_scan_determinismE0ELb0ELb0ES3_N6thrust23THRUST_200600_302600_NS6detail15normal_iteratorINSB_10device_ptrIS6_EEEESG_S6_NSB_4plusIvEES6_EEDaPvRmT3_T4_T5_mT6_P12ihipStream_tbENKUlT_T0_E_clISt17integral_constantIbLb1EESW_EEDaSR_SS_EUlSR_E_NS1_11comp_targetILNS1_3genE5ELNS1_11target_archE942ELNS1_3gpuE9ELNS1_3repE0EEENS1_30default_config_static_selectorELNS0_4arch9wavefront6targetE1EEEvT1_
		.amdhsa_group_segment_fixed_size 0
		.amdhsa_private_segment_fixed_size 0
		.amdhsa_kernarg_size 96
		.amdhsa_user_sgpr_count 6
		.amdhsa_user_sgpr_private_segment_buffer 1
		.amdhsa_user_sgpr_dispatch_ptr 0
		.amdhsa_user_sgpr_queue_ptr 0
		.amdhsa_user_sgpr_kernarg_segment_ptr 1
		.amdhsa_user_sgpr_dispatch_id 0
		.amdhsa_user_sgpr_flat_scratch_init 0
		.amdhsa_user_sgpr_kernarg_preload_length 0
		.amdhsa_user_sgpr_kernarg_preload_offset 0
		.amdhsa_user_sgpr_private_segment_size 0
		.amdhsa_uses_dynamic_stack 0
		.amdhsa_system_sgpr_private_segment_wavefront_offset 0
		.amdhsa_system_sgpr_workgroup_id_x 1
		.amdhsa_system_sgpr_workgroup_id_y 0
		.amdhsa_system_sgpr_workgroup_id_z 0
		.amdhsa_system_sgpr_workgroup_info 0
		.amdhsa_system_vgpr_workitem_id 0
		.amdhsa_next_free_vgpr 1
		.amdhsa_next_free_sgpr 0
		.amdhsa_accum_offset 4
		.amdhsa_reserve_vcc 0
		.amdhsa_reserve_flat_scratch 0
		.amdhsa_float_round_mode_32 0
		.amdhsa_float_round_mode_16_64 0
		.amdhsa_float_denorm_mode_32 3
		.amdhsa_float_denorm_mode_16_64 3
		.amdhsa_dx10_clamp 1
		.amdhsa_ieee_mode 1
		.amdhsa_fp16_overflow 0
		.amdhsa_tg_split 0
		.amdhsa_exception_fp_ieee_invalid_op 0
		.amdhsa_exception_fp_denorm_src 0
		.amdhsa_exception_fp_ieee_div_zero 0
		.amdhsa_exception_fp_ieee_overflow 0
		.amdhsa_exception_fp_ieee_underflow 0
		.amdhsa_exception_fp_ieee_inexact 0
		.amdhsa_exception_int_div_zero 0
	.end_amdhsa_kernel
	.section	.text._ZN7rocprim17ROCPRIM_400000_NS6detail17trampoline_kernelINS0_14default_configENS1_20scan_config_selectorI11FixedVectorIiLj1EEEEZZNS1_9scan_implILNS1_25lookback_scan_determinismE0ELb0ELb0ES3_N6thrust23THRUST_200600_302600_NS6detail15normal_iteratorINSB_10device_ptrIS6_EEEESG_S6_NSB_4plusIvEES6_EEDaPvRmT3_T4_T5_mT6_P12ihipStream_tbENKUlT_T0_E_clISt17integral_constantIbLb1EESW_EEDaSR_SS_EUlSR_E_NS1_11comp_targetILNS1_3genE5ELNS1_11target_archE942ELNS1_3gpuE9ELNS1_3repE0EEENS1_30default_config_static_selectorELNS0_4arch9wavefront6targetE1EEEvT1_,"axG",@progbits,_ZN7rocprim17ROCPRIM_400000_NS6detail17trampoline_kernelINS0_14default_configENS1_20scan_config_selectorI11FixedVectorIiLj1EEEEZZNS1_9scan_implILNS1_25lookback_scan_determinismE0ELb0ELb0ES3_N6thrust23THRUST_200600_302600_NS6detail15normal_iteratorINSB_10device_ptrIS6_EEEESG_S6_NSB_4plusIvEES6_EEDaPvRmT3_T4_T5_mT6_P12ihipStream_tbENKUlT_T0_E_clISt17integral_constantIbLb1EESW_EEDaSR_SS_EUlSR_E_NS1_11comp_targetILNS1_3genE5ELNS1_11target_archE942ELNS1_3gpuE9ELNS1_3repE0EEENS1_30default_config_static_selectorELNS0_4arch9wavefront6targetE1EEEvT1_,comdat
.Lfunc_end6407:
	.size	_ZN7rocprim17ROCPRIM_400000_NS6detail17trampoline_kernelINS0_14default_configENS1_20scan_config_selectorI11FixedVectorIiLj1EEEEZZNS1_9scan_implILNS1_25lookback_scan_determinismE0ELb0ELb0ES3_N6thrust23THRUST_200600_302600_NS6detail15normal_iteratorINSB_10device_ptrIS6_EEEESG_S6_NSB_4plusIvEES6_EEDaPvRmT3_T4_T5_mT6_P12ihipStream_tbENKUlT_T0_E_clISt17integral_constantIbLb1EESW_EEDaSR_SS_EUlSR_E_NS1_11comp_targetILNS1_3genE5ELNS1_11target_archE942ELNS1_3gpuE9ELNS1_3repE0EEENS1_30default_config_static_selectorELNS0_4arch9wavefront6targetE1EEEvT1_, .Lfunc_end6407-_ZN7rocprim17ROCPRIM_400000_NS6detail17trampoline_kernelINS0_14default_configENS1_20scan_config_selectorI11FixedVectorIiLj1EEEEZZNS1_9scan_implILNS1_25lookback_scan_determinismE0ELb0ELb0ES3_N6thrust23THRUST_200600_302600_NS6detail15normal_iteratorINSB_10device_ptrIS6_EEEESG_S6_NSB_4plusIvEES6_EEDaPvRmT3_T4_T5_mT6_P12ihipStream_tbENKUlT_T0_E_clISt17integral_constantIbLb1EESW_EEDaSR_SS_EUlSR_E_NS1_11comp_targetILNS1_3genE5ELNS1_11target_archE942ELNS1_3gpuE9ELNS1_3repE0EEENS1_30default_config_static_selectorELNS0_4arch9wavefront6targetE1EEEvT1_
                                        ; -- End function
	.section	.AMDGPU.csdata,"",@progbits
; Kernel info:
; codeLenInByte = 0
; NumSgprs: 4
; NumVgprs: 0
; NumAgprs: 0
; TotalNumVgprs: 0
; ScratchSize: 0
; MemoryBound: 0
; FloatMode: 240
; IeeeMode: 1
; LDSByteSize: 0 bytes/workgroup (compile time only)
; SGPRBlocks: 0
; VGPRBlocks: 0
; NumSGPRsForWavesPerEU: 4
; NumVGPRsForWavesPerEU: 1
; AccumOffset: 4
; Occupancy: 8
; WaveLimiterHint : 0
; COMPUTE_PGM_RSRC2:SCRATCH_EN: 0
; COMPUTE_PGM_RSRC2:USER_SGPR: 6
; COMPUTE_PGM_RSRC2:TRAP_HANDLER: 0
; COMPUTE_PGM_RSRC2:TGID_X_EN: 1
; COMPUTE_PGM_RSRC2:TGID_Y_EN: 0
; COMPUTE_PGM_RSRC2:TGID_Z_EN: 0
; COMPUTE_PGM_RSRC2:TIDIG_COMP_CNT: 0
; COMPUTE_PGM_RSRC3_GFX90A:ACCUM_OFFSET: 0
; COMPUTE_PGM_RSRC3_GFX90A:TG_SPLIT: 0
	.section	.text._ZN7rocprim17ROCPRIM_400000_NS6detail17trampoline_kernelINS0_14default_configENS1_20scan_config_selectorI11FixedVectorIiLj1EEEEZZNS1_9scan_implILNS1_25lookback_scan_determinismE0ELb0ELb0ES3_N6thrust23THRUST_200600_302600_NS6detail15normal_iteratorINSB_10device_ptrIS6_EEEESG_S6_NSB_4plusIvEES6_EEDaPvRmT3_T4_T5_mT6_P12ihipStream_tbENKUlT_T0_E_clISt17integral_constantIbLb1EESW_EEDaSR_SS_EUlSR_E_NS1_11comp_targetILNS1_3genE4ELNS1_11target_archE910ELNS1_3gpuE8ELNS1_3repE0EEENS1_30default_config_static_selectorELNS0_4arch9wavefront6targetE1EEEvT1_,"axG",@progbits,_ZN7rocprim17ROCPRIM_400000_NS6detail17trampoline_kernelINS0_14default_configENS1_20scan_config_selectorI11FixedVectorIiLj1EEEEZZNS1_9scan_implILNS1_25lookback_scan_determinismE0ELb0ELb0ES3_N6thrust23THRUST_200600_302600_NS6detail15normal_iteratorINSB_10device_ptrIS6_EEEESG_S6_NSB_4plusIvEES6_EEDaPvRmT3_T4_T5_mT6_P12ihipStream_tbENKUlT_T0_E_clISt17integral_constantIbLb1EESW_EEDaSR_SS_EUlSR_E_NS1_11comp_targetILNS1_3genE4ELNS1_11target_archE910ELNS1_3gpuE8ELNS1_3repE0EEENS1_30default_config_static_selectorELNS0_4arch9wavefront6targetE1EEEvT1_,comdat
	.protected	_ZN7rocprim17ROCPRIM_400000_NS6detail17trampoline_kernelINS0_14default_configENS1_20scan_config_selectorI11FixedVectorIiLj1EEEEZZNS1_9scan_implILNS1_25lookback_scan_determinismE0ELb0ELb0ES3_N6thrust23THRUST_200600_302600_NS6detail15normal_iteratorINSB_10device_ptrIS6_EEEESG_S6_NSB_4plusIvEES6_EEDaPvRmT3_T4_T5_mT6_P12ihipStream_tbENKUlT_T0_E_clISt17integral_constantIbLb1EESW_EEDaSR_SS_EUlSR_E_NS1_11comp_targetILNS1_3genE4ELNS1_11target_archE910ELNS1_3gpuE8ELNS1_3repE0EEENS1_30default_config_static_selectorELNS0_4arch9wavefront6targetE1EEEvT1_ ; -- Begin function _ZN7rocprim17ROCPRIM_400000_NS6detail17trampoline_kernelINS0_14default_configENS1_20scan_config_selectorI11FixedVectorIiLj1EEEEZZNS1_9scan_implILNS1_25lookback_scan_determinismE0ELb0ELb0ES3_N6thrust23THRUST_200600_302600_NS6detail15normal_iteratorINSB_10device_ptrIS6_EEEESG_S6_NSB_4plusIvEES6_EEDaPvRmT3_T4_T5_mT6_P12ihipStream_tbENKUlT_T0_E_clISt17integral_constantIbLb1EESW_EEDaSR_SS_EUlSR_E_NS1_11comp_targetILNS1_3genE4ELNS1_11target_archE910ELNS1_3gpuE8ELNS1_3repE0EEENS1_30default_config_static_selectorELNS0_4arch9wavefront6targetE1EEEvT1_
	.globl	_ZN7rocprim17ROCPRIM_400000_NS6detail17trampoline_kernelINS0_14default_configENS1_20scan_config_selectorI11FixedVectorIiLj1EEEEZZNS1_9scan_implILNS1_25lookback_scan_determinismE0ELb0ELb0ES3_N6thrust23THRUST_200600_302600_NS6detail15normal_iteratorINSB_10device_ptrIS6_EEEESG_S6_NSB_4plusIvEES6_EEDaPvRmT3_T4_T5_mT6_P12ihipStream_tbENKUlT_T0_E_clISt17integral_constantIbLb1EESW_EEDaSR_SS_EUlSR_E_NS1_11comp_targetILNS1_3genE4ELNS1_11target_archE910ELNS1_3gpuE8ELNS1_3repE0EEENS1_30default_config_static_selectorELNS0_4arch9wavefront6targetE1EEEvT1_
	.p2align	8
	.type	_ZN7rocprim17ROCPRIM_400000_NS6detail17trampoline_kernelINS0_14default_configENS1_20scan_config_selectorI11FixedVectorIiLj1EEEEZZNS1_9scan_implILNS1_25lookback_scan_determinismE0ELb0ELb0ES3_N6thrust23THRUST_200600_302600_NS6detail15normal_iteratorINSB_10device_ptrIS6_EEEESG_S6_NSB_4plusIvEES6_EEDaPvRmT3_T4_T5_mT6_P12ihipStream_tbENKUlT_T0_E_clISt17integral_constantIbLb1EESW_EEDaSR_SS_EUlSR_E_NS1_11comp_targetILNS1_3genE4ELNS1_11target_archE910ELNS1_3gpuE8ELNS1_3repE0EEENS1_30default_config_static_selectorELNS0_4arch9wavefront6targetE1EEEvT1_,@function
_ZN7rocprim17ROCPRIM_400000_NS6detail17trampoline_kernelINS0_14default_configENS1_20scan_config_selectorI11FixedVectorIiLj1EEEEZZNS1_9scan_implILNS1_25lookback_scan_determinismE0ELb0ELb0ES3_N6thrust23THRUST_200600_302600_NS6detail15normal_iteratorINSB_10device_ptrIS6_EEEESG_S6_NSB_4plusIvEES6_EEDaPvRmT3_T4_T5_mT6_P12ihipStream_tbENKUlT_T0_E_clISt17integral_constantIbLb1EESW_EEDaSR_SS_EUlSR_E_NS1_11comp_targetILNS1_3genE4ELNS1_11target_archE910ELNS1_3gpuE8ELNS1_3repE0EEENS1_30default_config_static_selectorELNS0_4arch9wavefront6targetE1EEEvT1_: ; @_ZN7rocprim17ROCPRIM_400000_NS6detail17trampoline_kernelINS0_14default_configENS1_20scan_config_selectorI11FixedVectorIiLj1EEEEZZNS1_9scan_implILNS1_25lookback_scan_determinismE0ELb0ELb0ES3_N6thrust23THRUST_200600_302600_NS6detail15normal_iteratorINSB_10device_ptrIS6_EEEESG_S6_NSB_4plusIvEES6_EEDaPvRmT3_T4_T5_mT6_P12ihipStream_tbENKUlT_T0_E_clISt17integral_constantIbLb1EESW_EEDaSR_SS_EUlSR_E_NS1_11comp_targetILNS1_3genE4ELNS1_11target_archE910ELNS1_3gpuE8ELNS1_3repE0EEENS1_30default_config_static_selectorELNS0_4arch9wavefront6targetE1EEEvT1_
; %bb.0:
	s_load_dwordx2 s[6:7], s[4:5], 0x28
	v_cmp_ne_u32_e64 s[0:1], 0, v0
	v_cmp_eq_u32_e64 s[2:3], 0, v0
	s_and_saveexec_b64 s[8:9], s[2:3]
	s_cbranch_execz .LBB6408_4
; %bb.1:
	s_mov_b64 s[12:13], exec
	v_mbcnt_lo_u32_b32 v1, s12, 0
	v_mbcnt_hi_u32_b32 v1, s13, v1
	v_cmp_eq_u32_e32 vcc, 0, v1
                                        ; implicit-def: $vgpr2
	s_and_saveexec_b64 s[10:11], vcc
	s_cbranch_execz .LBB6408_3
; %bb.2:
	s_load_dwordx2 s[14:15], s[4:5], 0x58
	s_bcnt1_i32_b64 s12, s[12:13]
	v_mov_b32_e32 v2, 0
	v_mov_b32_e32 v3, s12
	s_waitcnt lgkmcnt(0)
	global_atomic_add v2, v2, v3, s[14:15] glc
.LBB6408_3:
	s_or_b64 exec, exec, s[10:11]
	s_waitcnt vmcnt(0)
	v_readfirstlane_b32 s10, v2
	v_add_u32_e32 v1, s10, v1
	v_mov_b32_e32 v2, 0
	ds_write_b32 v2, v1
.LBB6408_4:
	s_or_b64 exec, exec, s[8:9]
	s_load_dwordx8 s[16:23], s[4:5], 0x0
	s_load_dword s24, s[4:5], 0x30
	s_load_dwordx8 s[8:15], s[4:5], 0x38
	v_mov_b32_e32 v1, 0
	s_waitcnt lgkmcnt(0)
	s_barrier
	ds_read_b32 v1, v1
	s_lshl_b64 s[18:19], s[18:19], 2
	s_add_u32 s25, s16, s18
	s_addc_u32 s26, s17, s19
	s_add_i32 s16, s24, -1
	s_mul_i32 s17, s16, 0x500
	s_sub_u32 s30, s22, s17
	s_waitcnt lgkmcnt(0)
	v_readfirstlane_b32 s33, v1
	s_subb_u32 s31, s23, 0
	s_mov_b32 s5, 0
	s_mul_i32 s4, s33, 0x500
	s_cmp_lg_u32 s33, s16
	s_cselect_b64 s[16:17], -1, 0
	s_lshl_b64 s[22:23], s[4:5], 2
	s_add_u32 s24, s25, s22
	s_addc_u32 s25, s26, s23
	s_mov_b64 s[4:5], -1
	s_and_b64 vcc, exec, s[16:17]
	v_lshlrev_b32_e32 v26, 2, v0
	s_barrier
	s_cbranch_vccz .LBB6408_6
; %bb.5:
	v_mov_b32_e32 v1, s25
	v_add_co_u32_e32 v2, vcc, s24, v26
	v_addc_co_u32_e32 v3, vcc, 0, v1, vcc
	flat_load_dword v1, v[2:3]
	flat_load_dword v4, v[2:3] offset:512
	flat_load_dword v5, v[2:3] offset:1024
	;; [unrolled: 1-line block ×7, first 2 shown]
	v_add_co_u32_e32 v2, vcc, 0x1000, v2
	v_addc_co_u32_e32 v3, vcc, 0, v3, vcc
	flat_load_dword v11, v[2:3]
	flat_load_dword v12, v[2:3] offset:512
	s_mov_b64 s[4:5], 0
	s_waitcnt vmcnt(0) lgkmcnt(0)
	ds_write2st64_b32 v26, v1, v4 offset1:2
	ds_write2st64_b32 v26, v5, v6 offset0:4 offset1:6
	ds_write2st64_b32 v26, v7, v8 offset0:8 offset1:10
	ds_write2st64_b32 v26, v9, v10 offset0:12 offset1:14
	ds_write2st64_b32 v26, v11, v12 offset0:16 offset1:18
	s_waitcnt lgkmcnt(0)
	s_barrier
.LBB6408_6:
	s_andn2_b64 vcc, exec, s[4:5]
	v_cmp_gt_u32_e64 s[4:5], s30, v0
	s_cbranch_vccnz .LBB6408_28
; %bb.7:
	v_pk_mov_b32 v[2:3], s[24:25], s[24:25] op_sel:[0,1]
	flat_load_dword v1, v[2:3]
	s_waitcnt vmcnt(0) lgkmcnt(0)
	v_mov_b32_e32 v2, v1
	s_and_saveexec_b64 s[26:27], s[4:5]
	s_cbranch_execz .LBB6408_9
; %bb.8:
	v_mov_b32_e32 v3, s25
	v_add_co_u32_e32 v2, vcc, s24, v26
	v_addc_co_u32_e32 v3, vcc, 0, v3, vcc
	flat_load_dword v2, v[2:3]
.LBB6408_9:
	s_or_b64 exec, exec, s[26:27]
	v_or_b32_e32 v3, 0x80, v0
	v_cmp_gt_u32_e32 vcc, s30, v3
	v_mov_b32_e32 v3, v1
	s_and_saveexec_b64 s[4:5], vcc
	s_cbranch_execz .LBB6408_11
; %bb.10:
	v_mov_b32_e32 v3, s25
	v_add_co_u32_e32 v4, vcc, s24, v26
	v_addc_co_u32_e32 v5, vcc, 0, v3, vcc
	flat_load_dword v3, v[4:5] offset:512
.LBB6408_11:
	s_or_b64 exec, exec, s[4:5]
	v_or_b32_e32 v4, 0x100, v0
	v_cmp_gt_u32_e32 vcc, s30, v4
	v_mov_b32_e32 v4, v1
	s_and_saveexec_b64 s[4:5], vcc
	s_cbranch_execz .LBB6408_13
; %bb.12:
	v_mov_b32_e32 v5, s25
	v_add_co_u32_e32 v4, vcc, s24, v26
	v_addc_co_u32_e32 v5, vcc, 0, v5, vcc
	flat_load_dword v4, v[4:5] offset:1024
.LBB6408_13:
	;; [unrolled: 12-line block ×7, first 2 shown]
	s_or_b64 exec, exec, s[4:5]
	v_or_b32_e32 v11, 0x400, v0
	v_cmp_gt_u32_e32 vcc, s30, v11
	v_mov_b32_e32 v10, v1
	s_and_saveexec_b64 s[4:5], vcc
	s_cbranch_execz .LBB6408_25
; %bb.24:
	v_lshlrev_b32_e32 v10, 2, v11
	v_mov_b32_e32 v11, s25
	v_add_co_u32_e32 v10, vcc, s24, v10
	v_addc_co_u32_e32 v11, vcc, 0, v11, vcc
	flat_load_dword v10, v[10:11]
.LBB6408_25:
	s_or_b64 exec, exec, s[4:5]
	v_or_b32_e32 v11, 0x480, v0
	v_cmp_gt_u32_e32 vcc, s30, v11
	s_and_saveexec_b64 s[4:5], vcc
	s_cbranch_execz .LBB6408_27
; %bb.26:
	v_lshlrev_b32_e32 v1, 2, v11
	v_mov_b32_e32 v11, s25
	v_add_co_u32_e32 v12, vcc, s24, v1
	v_addc_co_u32_e32 v13, vcc, 0, v11, vcc
	flat_load_dword v1, v[12:13]
.LBB6408_27:
	s_or_b64 exec, exec, s[4:5]
	s_waitcnt vmcnt(0) lgkmcnt(0)
	ds_write2st64_b32 v26, v2, v3 offset1:2
	ds_write2st64_b32 v26, v4, v5 offset0:4 offset1:6
	ds_write2st64_b32 v26, v6, v7 offset0:8 offset1:10
	;; [unrolled: 1-line block ×4, first 2 shown]
	s_waitcnt lgkmcnt(0)
	s_barrier
.LBB6408_28:
	v_mul_u32_u24_e32 v27, 10, v0
	v_lshlrev_b32_e32 v1, 2, v27
	ds_read2_b64 v[6:9], v1 offset1:1
	ds_read2_b64 v[2:5], v1 offset0:2 offset1:3
	ds_read_b64 v[18:19], v1 offset:32
	s_cmp_lg_u32 s33, 0
	v_lshrrev_b32_e32 v28, 5, v0
	v_cmp_gt_u32_e32 vcc, 64, v0
	s_waitcnt lgkmcnt(0)
	s_barrier
	s_cbranch_scc0 .LBB6408_57
; %bb.29:
	v_add_u32_e32 v10, v7, v6
	v_add3_u32 v10, v10, v8, v9
	v_add3_u32 v10, v10, v2, v3
	;; [unrolled: 1-line block ×4, first 2 shown]
	v_add_lshl_u32 v11, v28, v0, 2
	ds_write_b32 v11, v10
	s_waitcnt lgkmcnt(0)
	s_barrier
	s_and_saveexec_b64 s[24:25], vcc
	s_cbranch_execz .LBB6408_31
; %bb.30:
	v_lshlrev_b32_e32 v11, 1, v0
	v_lshrrev_b32_e32 v12, 4, v0
	v_add_lshl_u32 v11, v12, v11, 2
	ds_read2_b32 v[12:13], v11 offset1:1
	v_mbcnt_lo_u32_b32 v14, -1, 0
	v_mbcnt_hi_u32_b32 v14, -1, v14
	v_and_b32_e32 v15, 15, v14
	v_cmp_ne_u32_e64 s[4:5], 0, v15
	s_waitcnt lgkmcnt(0)
	v_add_u32_e32 v13, v13, v12
	; wave barrier
	s_nop 1
	v_mov_b32_dpp v16, v13 row_shr:1 row_mask:0xf bank_mask:0xf
	v_cndmask_b32_e64 v16, 0, v16, s[4:5]
	v_add_u32_e32 v13, v16, v13
	v_cmp_lt_u32_e64 s[4:5], 1, v15
	s_nop 0
	v_mov_b32_dpp v16, v13 row_shr:2 row_mask:0xf bank_mask:0xf
	v_cndmask_b32_e64 v16, 0, v16, s[4:5]
	v_add_u32_e32 v13, v13, v16
	v_cmp_lt_u32_e64 s[4:5], 3, v15
	;; [unrolled: 5-line block ×3, first 2 shown]
	s_nop 0
	v_mov_b32_dpp v16, v13 row_shr:8 row_mask:0xf bank_mask:0xf
	v_cndmask_b32_e64 v15, 0, v16, s[4:5]
	v_add_u32_e32 v13, v13, v15
	v_bfe_i32 v16, v14, 4, 1
	v_cmp_lt_u32_e64 s[4:5], 31, v14
	v_mov_b32_dpp v15, v13 row_bcast:15 row_mask:0xf bank_mask:0xf
	v_and_b32_e32 v15, v16, v15
	v_add_u32_e32 v13, v13, v15
	v_and_b32_e32 v16, 64, v14
	s_nop 0
	v_mov_b32_dpp v15, v13 row_bcast:31 row_mask:0xf bank_mask:0xf
	v_cndmask_b32_e64 v15, 0, v15, s[4:5]
	v_add_u32_e32 v13, v13, v15
	v_add_u32_e32 v15, -1, v14
	v_cmp_lt_i32_e64 s[4:5], v15, v16
	v_cndmask_b32_e64 v14, v15, v14, s[4:5]
	v_lshlrev_b32_e32 v14, 2, v14
	ds_bpermute_b32 v13, v14, v13
	s_waitcnt lgkmcnt(0)
	v_add_u32_e32 v12, v13, v12
	v_cndmask_b32_e64 v10, v12, v10, s[2:3]
	ds_write_b32 v11, v10
	; wave barrier
	ds_read_b32 v12, v11 offset:4
	s_waitcnt lgkmcnt(0)
	v_add_u32_e32 v10, v12, v10
	ds_write_b32 v11, v10 offset:4
.LBB6408_31:
	s_or_b64 exec, exec, s[24:25]
	v_mov_b32_e32 v22, 0
	s_waitcnt lgkmcnt(0)
	s_barrier
	s_and_saveexec_b64 s[4:5], s[0:1]
	s_cbranch_execz .LBB6408_33
; %bb.32:
	v_add_u32_e32 v10, -1, v0
	v_lshrrev_b32_e32 v11, 5, v10
	v_add_lshl_u32 v10, v11, v10, 2
	ds_read_b32 v22, v10
.LBB6408_33:
	s_or_b64 exec, exec, s[4:5]
	s_and_saveexec_b64 s[24:25], vcc
	s_cbranch_execz .LBB6408_56
; %bb.34:
	v_mov_b32_e32 v21, 0
	ds_read_b32 v10, v21 offset:520
	v_mbcnt_lo_u32_b32 v11, -1, 0
	v_mbcnt_hi_u32_b32 v13, -1, v11
	s_mov_b32 s29, 0
	v_cmp_eq_u32_e64 s[4:5], 0, v13
	s_and_saveexec_b64 s[26:27], s[4:5]
	s_cbranch_execz .LBB6408_36
; %bb.35:
	s_add_i32 s28, s33, 64
	s_lshl_b64 s[28:29], s[28:29], 3
	s_add_u32 s28, s6, s28
	v_mov_b32_e32 v11, 1
	s_addc_u32 s29, s7, s29
	s_waitcnt lgkmcnt(0)
	global_store_dwordx2 v21, v[10:11], s[28:29]
.LBB6408_36:
	s_or_b64 exec, exec, s[26:27]
	v_xad_u32 v12, v13, -1, s33
	v_add_u32_e32 v20, 64, v12
	v_lshlrev_b64 v[14:15], 3, v[20:21]
	v_mov_b32_e32 v11, s7
	v_add_co_u32_e32 v14, vcc, s6, v14
	v_addc_co_u32_e32 v15, vcc, v11, v15, vcc
	global_load_dwordx2 v[16:17], v[14:15], off glc
	s_waitcnt vmcnt(0)
	v_cmp_eq_u16_sdwa s[28:29], v17, v21 src0_sel:BYTE_0 src1_sel:DWORD
	s_and_saveexec_b64 s[26:27], s[28:29]
	s_cbranch_execz .LBB6408_42
; %bb.37:
	s_mov_b32 s34, 1
	s_mov_b64 s[28:29], 0
	v_mov_b32_e32 v11, 0
.LBB6408_38:                            ; =>This Loop Header: Depth=1
                                        ;     Child Loop BB6408_39 Depth 2
	s_max_u32 s35, s34, 1
.LBB6408_39:                            ;   Parent Loop BB6408_38 Depth=1
                                        ; =>  This Inner Loop Header: Depth=2
	s_add_i32 s35, s35, -1
	s_cmp_eq_u32 s35, 0
	s_sleep 1
	s_cbranch_scc0 .LBB6408_39
; %bb.40:                               ;   in Loop: Header=BB6408_38 Depth=1
	global_load_dwordx2 v[16:17], v[14:15], off glc
	s_cmp_lt_u32 s34, 32
	s_cselect_b64 s[36:37], -1, 0
	s_cmp_lg_u64 s[36:37], 0
	s_addc_u32 s34, s34, 0
	s_waitcnt vmcnt(0)
	v_cmp_ne_u16_sdwa s[36:37], v17, v11 src0_sel:BYTE_0 src1_sel:DWORD
	s_or_b64 s[28:29], s[36:37], s[28:29]
	s_andn2_b64 exec, exec, s[28:29]
	s_cbranch_execnz .LBB6408_38
; %bb.41:
	s_or_b64 exec, exec, s[28:29]
.LBB6408_42:
	s_or_b64 exec, exec, s[26:27]
	v_and_b32_e32 v23, 63, v13
	v_mov_b32_e32 v11, 2
	v_cmp_ne_u32_e32 vcc, 63, v23
	v_cmp_eq_u16_sdwa s[26:27], v17, v11 src0_sel:BYTE_0 src1_sel:DWORD
	v_lshlrev_b64 v[14:15], v13, -1
	v_addc_co_u32_e32 v24, vcc, 0, v13, vcc
	v_and_b32_e32 v20, s27, v15
	v_lshlrev_b32_e32 v24, 2, v24
	v_or_b32_e32 v20, 0x80000000, v20
	ds_bpermute_b32 v25, v24, v16
	v_and_b32_e32 v21, s26, v14
	v_ffbl_b32_e32 v20, v20
	v_add_u32_e32 v20, 32, v20
	v_ffbl_b32_e32 v21, v21
	v_min_u32_e32 v20, v21, v20
	v_cmp_lt_u32_e32 vcc, v23, v20
	s_waitcnt lgkmcnt(0)
	v_cndmask_b32_e32 v21, 0, v25, vcc
	v_cmp_gt_u32_e32 vcc, 62, v23
	v_add_u32_e32 v16, v21, v16
	v_cndmask_b32_e64 v21, 0, 1, vcc
	v_lshlrev_b32_e32 v21, 1, v21
	v_add_lshl_u32 v25, v21, v13, 2
	ds_bpermute_b32 v21, v25, v16
	v_add_u32_e32 v29, 2, v23
	v_cmp_le_u32_e32 vcc, v29, v20
	v_add_u32_e32 v31, 4, v23
	v_add_u32_e32 v33, 8, v23
	s_waitcnt lgkmcnt(0)
	v_cndmask_b32_e32 v21, 0, v21, vcc
	v_cmp_gt_u32_e32 vcc, 60, v23
	v_add_u32_e32 v16, v16, v21
	v_cndmask_b32_e64 v21, 0, 1, vcc
	v_lshlrev_b32_e32 v21, 2, v21
	v_add_lshl_u32 v30, v21, v13, 2
	ds_bpermute_b32 v21, v30, v16
	v_cmp_le_u32_e32 vcc, v31, v20
	v_add_u32_e32 v36, 16, v23
	v_add_u32_e32 v38, 32, v23
	s_waitcnt lgkmcnt(0)
	v_cndmask_b32_e32 v21, 0, v21, vcc
	v_cmp_gt_u32_e32 vcc, 56, v23
	v_add_u32_e32 v16, v16, v21
	v_cndmask_b32_e64 v21, 0, 1, vcc
	v_lshlrev_b32_e32 v21, 3, v21
	v_add_lshl_u32 v32, v21, v13, 2
	ds_bpermute_b32 v21, v32, v16
	v_cmp_le_u32_e32 vcc, v33, v20
	s_waitcnt lgkmcnt(0)
	v_cndmask_b32_e32 v21, 0, v21, vcc
	v_cmp_gt_u32_e32 vcc, 48, v23
	v_add_u32_e32 v16, v16, v21
	v_cndmask_b32_e64 v21, 0, 1, vcc
	v_lshlrev_b32_e32 v21, 4, v21
	v_add_lshl_u32 v35, v21, v13, 2
	ds_bpermute_b32 v21, v35, v16
	v_cmp_le_u32_e32 vcc, v36, v20
	;; [unrolled: 9-line block ×3, first 2 shown]
	s_waitcnt lgkmcnt(0)
	v_cndmask_b32_e32 v13, 0, v13, vcc
	v_add_u32_e32 v16, v16, v13
	v_mov_b32_e32 v13, 0
	s_branch .LBB6408_44
.LBB6408_43:                            ;   in Loop: Header=BB6408_44 Depth=1
	s_or_b64 exec, exec, s[26:27]
	v_cmp_eq_u16_sdwa s[26:27], v17, v11 src0_sel:BYTE_0 src1_sel:DWORD
	v_and_b32_e32 v20, s27, v15
	v_or_b32_e32 v20, 0x80000000, v20
	ds_bpermute_b32 v39, v24, v16
	v_and_b32_e32 v21, s26, v14
	v_ffbl_b32_e32 v20, v20
	v_add_u32_e32 v20, 32, v20
	v_ffbl_b32_e32 v21, v21
	v_min_u32_e32 v20, v21, v20
	v_cmp_lt_u32_e32 vcc, v23, v20
	s_waitcnt lgkmcnt(0)
	v_cndmask_b32_e32 v21, 0, v39, vcc
	v_add_u32_e32 v16, v21, v16
	ds_bpermute_b32 v21, v25, v16
	v_cmp_le_u32_e32 vcc, v29, v20
	v_subrev_u32_e32 v12, 64, v12
	s_waitcnt lgkmcnt(0)
	v_cndmask_b32_e32 v21, 0, v21, vcc
	v_add_u32_e32 v16, v16, v21
	ds_bpermute_b32 v21, v30, v16
	v_cmp_le_u32_e32 vcc, v31, v20
	s_waitcnt lgkmcnt(0)
	v_cndmask_b32_e32 v21, 0, v21, vcc
	v_add_u32_e32 v16, v16, v21
	ds_bpermute_b32 v21, v32, v16
	v_cmp_le_u32_e32 vcc, v33, v20
	;; [unrolled: 5-line block ×4, first 2 shown]
	s_waitcnt lgkmcnt(0)
	v_cndmask_b32_e32 v20, 0, v21, vcc
	v_add3_u32 v16, v20, v34, v16
.LBB6408_44:                            ; =>This Loop Header: Depth=1
                                        ;     Child Loop BB6408_47 Depth 2
                                        ;       Child Loop BB6408_48 Depth 3
	v_cmp_ne_u16_sdwa s[26:27], v17, v11 src0_sel:BYTE_0 src1_sel:DWORD
	v_cndmask_b32_e64 v17, 0, 1, s[26:27]
	;;#ASMSTART
	;;#ASMEND
	v_cmp_ne_u32_e32 vcc, 0, v17
	s_cmp_lg_u64 vcc, exec
	v_mov_b32_e32 v34, v16
	s_cbranch_scc1 .LBB6408_51
; %bb.45:                               ;   in Loop: Header=BB6408_44 Depth=1
	v_lshlrev_b64 v[16:17], 3, v[12:13]
	v_mov_b32_e32 v21, s7
	v_add_co_u32_e32 v20, vcc, s6, v16
	v_addc_co_u32_e32 v21, vcc, v21, v17, vcc
	global_load_dwordx2 v[16:17], v[20:21], off glc
	s_waitcnt vmcnt(0)
	v_cmp_eq_u16_sdwa s[28:29], v17, v13 src0_sel:BYTE_0 src1_sel:DWORD
	s_and_saveexec_b64 s[26:27], s[28:29]
	s_cbranch_execz .LBB6408_43
; %bb.46:                               ;   in Loop: Header=BB6408_44 Depth=1
	s_mov_b32 s34, 1
	s_mov_b64 s[28:29], 0
.LBB6408_47:                            ;   Parent Loop BB6408_44 Depth=1
                                        ; =>  This Loop Header: Depth=2
                                        ;       Child Loop BB6408_48 Depth 3
	s_max_u32 s35, s34, 1
.LBB6408_48:                            ;   Parent Loop BB6408_44 Depth=1
                                        ;     Parent Loop BB6408_47 Depth=2
                                        ; =>    This Inner Loop Header: Depth=3
	s_add_i32 s35, s35, -1
	s_cmp_eq_u32 s35, 0
	s_sleep 1
	s_cbranch_scc0 .LBB6408_48
; %bb.49:                               ;   in Loop: Header=BB6408_47 Depth=2
	global_load_dwordx2 v[16:17], v[20:21], off glc
	s_cmp_lt_u32 s34, 32
	s_cselect_b64 s[36:37], -1, 0
	s_cmp_lg_u64 s[36:37], 0
	s_addc_u32 s34, s34, 0
	s_waitcnt vmcnt(0)
	v_cmp_ne_u16_sdwa s[36:37], v17, v13 src0_sel:BYTE_0 src1_sel:DWORD
	s_or_b64 s[28:29], s[36:37], s[28:29]
	s_andn2_b64 exec, exec, s[28:29]
	s_cbranch_execnz .LBB6408_47
; %bb.50:                               ;   in Loop: Header=BB6408_44 Depth=1
	s_or_b64 exec, exec, s[28:29]
	s_branch .LBB6408_43
.LBB6408_51:                            ;   in Loop: Header=BB6408_44 Depth=1
                                        ; implicit-def: $vgpr16
                                        ; implicit-def: $vgpr17
	s_cbranch_execz .LBB6408_44
; %bb.52:
	s_and_saveexec_b64 s[26:27], s[4:5]
	s_cbranch_execz .LBB6408_54
; %bb.53:
	s_add_i32 s4, s33, 64
	s_mov_b32 s5, 0
	s_lshl_b64 s[4:5], s[4:5], 3
	s_add_u32 s4, s6, s4
	v_add_u32_e32 v10, v34, v10
	v_mov_b32_e32 v11, 2
	s_addc_u32 s5, s7, s5
	v_mov_b32_e32 v12, 0
	global_store_dwordx2 v12, v[10:11], s[4:5]
.LBB6408_54:
	s_or_b64 exec, exec, s[26:27]
	s_and_b64 exec, exec, s[2:3]
	s_cbranch_execz .LBB6408_56
; %bb.55:
	v_mov_b32_e32 v10, 0
	ds_write_b32 v10, v34
.LBB6408_56:
	s_or_b64 exec, exec, s[24:25]
	v_mov_b32_e32 v10, 0
	s_waitcnt lgkmcnt(0)
	s_barrier
	ds_read_b32 v10, v10
	s_waitcnt lgkmcnt(0)
	v_add3_u32 v10, v22, v6, v10
	v_add_u32_e32 v11, v10, v7
	v_add_u32_e32 v20, v11, v8
	;; [unrolled: 1-line block ×9, first 2 shown]
	s_branch .LBB6408_69
.LBB6408_57:
                                        ; implicit-def: $vgpr24_vgpr25
                                        ; implicit-def: $vgpr22_vgpr23
                                        ; implicit-def: $vgpr20_vgpr21
                                        ; implicit-def: $vgpr14_vgpr15_vgpr16_vgpr17
                                        ; implicit-def: $vgpr10_vgpr11_vgpr12_vgpr13
	s_cbranch_execz .LBB6408_69
; %bb.58:
	s_cmp_lg_u64 s[12:13], 0
	s_cselect_b64 s[4:5], -1, 0
	s_and_b64 s[12:13], s[2:3], s[4:5]
	s_and_saveexec_b64 s[4:5], s[12:13]
	s_cbranch_execz .LBB6408_60
; %bb.59:
	v_mov_b32_e32 v10, 0
	global_load_dword v10, v10, s[8:9]
	s_waitcnt vmcnt(0)
	v_add_u32_e32 v6, v10, v6
.LBB6408_60:
	s_or_b64 exec, exec, s[4:5]
	v_add_u32_e32 v11, v6, v7
	v_add_u32_e32 v20, v11, v8
	;; [unrolled: 1-line block ×9, first 2 shown]
	v_add_lshl_u32 v10, v28, v0, 2
	v_cmp_gt_u32_e32 vcc, 64, v0
	ds_write_b32 v10, v25
	s_waitcnt lgkmcnt(0)
	s_barrier
	s_and_saveexec_b64 s[4:5], vcc
	s_cbranch_execz .LBB6408_62
; %bb.61:
	v_lshlrev_b32_e32 v10, 1, v0
	v_lshrrev_b32_e32 v12, 4, v0
	v_add_lshl_u32 v10, v12, v10, 2
	ds_read2_b32 v[12:13], v10 offset1:1
	v_mbcnt_lo_u32_b32 v16, -1, 0
	v_mbcnt_hi_u32_b32 v16, -1, v16
	v_and_b32_e32 v17, 15, v16
	v_cmp_ne_u32_e32 vcc, 0, v17
	s_waitcnt lgkmcnt(0)
	v_add_u32_e32 v13, v13, v12
	; wave barrier
	s_nop 1
	v_mov_b32_dpp v28, v13 row_shr:1 row_mask:0xf bank_mask:0xf
	v_cndmask_b32_e32 v28, 0, v28, vcc
	v_add_u32_e32 v13, v28, v13
	v_cmp_lt_u32_e32 vcc, 1, v17
	s_nop 0
	v_mov_b32_dpp v28, v13 row_shr:2 row_mask:0xf bank_mask:0xf
	v_cndmask_b32_e32 v28, 0, v28, vcc
	v_add_u32_e32 v13, v13, v28
	v_cmp_lt_u32_e32 vcc, 3, v17
	;; [unrolled: 5-line block ×3, first 2 shown]
	s_nop 0
	v_mov_b32_dpp v28, v13 row_shr:8 row_mask:0xf bank_mask:0xf
	v_cndmask_b32_e32 v17, 0, v28, vcc
	v_add_u32_e32 v13, v13, v17
	v_bfe_i32 v28, v16, 4, 1
	v_cmp_lt_u32_e32 vcc, 31, v16
	v_mov_b32_dpp v17, v13 row_bcast:15 row_mask:0xf bank_mask:0xf
	v_and_b32_e32 v17, v28, v17
	v_add_u32_e32 v13, v13, v17
	v_and_b32_e32 v28, 64, v16
	s_nop 0
	v_mov_b32_dpp v17, v13 row_bcast:31 row_mask:0xf bank_mask:0xf
	v_cndmask_b32_e32 v17, 0, v17, vcc
	v_add_u32_e32 v13, v13, v17
	v_add_u32_e32 v17, -1, v16
	v_cmp_lt_i32_e32 vcc, v17, v28
	v_cndmask_b32_e32 v16, v17, v16, vcc
	v_lshlrev_b32_e32 v16, 2, v16
	ds_bpermute_b32 v13, v16, v13
	s_waitcnt lgkmcnt(0)
	v_add_u32_e32 v12, v13, v12
	v_cndmask_b32_e64 v12, v12, v25, s[2:3]
	ds_write_b32 v10, v12
	; wave barrier
	ds_read_b32 v13, v10 offset:4
	s_waitcnt lgkmcnt(0)
	v_add_u32_e32 v12, v13, v12
	ds_write_b32 v10, v12 offset:4
.LBB6408_62:
	s_or_b64 exec, exec, s[4:5]
	v_mov_b32_e32 v12, v25
	s_waitcnt lgkmcnt(0)
	s_barrier
	s_and_saveexec_b64 s[2:3], s[0:1]
	s_cbranch_execz .LBB6408_64
; %bb.63:
	v_add_u32_e32 v10, -1, v0
	v_lshrrev_b32_e32 v12, 5, v10
	v_add_lshl_u32 v10, v12, v10, 2
	ds_read_b32 v12, v10
.LBB6408_64:
	s_or_b64 exec, exec, s[2:3]
	v_mov_b32_e32 v10, v6
	s_and_saveexec_b64 s[2:3], s[0:1]
	s_cbranch_execz .LBB6408_66
; %bb.65:
	s_waitcnt lgkmcnt(0)
	v_add_u32_e32 v10, v12, v6
	v_add_u32_e32 v11, v10, v7
	;; [unrolled: 1-line block ×10, first 2 shown]
	;;#ASMSTART
	;;#ASMEND
.LBB6408_66:
	s_or_b64 exec, exec, s[2:3]
	s_movk_i32 s0, 0x7f
	v_cmp_eq_u32_e32 vcc, s0, v0
	s_and_saveexec_b64 s[0:1], vcc
	s_cbranch_execz .LBB6408_68
; %bb.67:
	v_mov_b32_e32 v4, 0
	v_mov_b32_e32 v3, 2
	v_mov_b32_e32 v2, v25
	global_store_dwordx2 v4, v[2:3], s[6:7] offset:512
.LBB6408_68:
	s_or_b64 exec, exec, s[0:1]
.LBB6408_69:
	s_add_u32 s0, s20, s18
	s_addc_u32 s1, s21, s19
	s_add_u32 s2, s0, s22
	s_addc_u32 s3, s1, s23
	s_mov_b64 s[0:1], -1
	s_and_b64 vcc, exec, s[16:17]
	s_waitcnt lgkmcnt(0)
	s_barrier
	s_cbranch_vccz .LBB6408_71
; %bb.70:
	ds_write2_b64 v1, v[10:11], v[20:21] offset1:1
	ds_write2_b64 v1, v[14:15], v[22:23] offset0:2 offset1:3
	ds_write_b64 v1, v[24:25] offset:32
	s_waitcnt lgkmcnt(0)
	s_barrier
	ds_read2st64_b32 v[2:3], v26 offset1:2
	ds_read2st64_b32 v[4:5], v26 offset0:4 offset1:6
	ds_read2st64_b32 v[6:7], v26 offset0:8 offset1:10
	;; [unrolled: 1-line block ×4, first 2 shown]
	v_mov_b32_e32 v17, s3
	v_add_co_u32_e32 v16, vcc, s2, v26
	v_addc_co_u32_e32 v17, vcc, 0, v17, vcc
	s_waitcnt lgkmcnt(4)
	flat_store_dword v[16:17], v2
	flat_store_dword v[16:17], v3 offset:512
	s_waitcnt lgkmcnt(0)
	flat_store_dword v[16:17], v4 offset:1024
	flat_store_dword v[16:17], v5 offset:1536
	;; [unrolled: 1-line block ×6, first 2 shown]
	v_add_co_u32_e32 v2, vcc, 0x1000, v16
	v_addc_co_u32_e32 v3, vcc, 0, v17, vcc
	flat_store_dword v[2:3], v12
	flat_store_dword v[2:3], v13 offset:512
	s_mov_b64 s[0:1], 0
.LBB6408_71:
	s_andn2_b64 vcc, exec, s[0:1]
	s_cbranch_vccnz .LBB6408_127
; %bb.72:
	ds_write2_b64 v1, v[10:11], v[20:21] offset1:1
	ds_write2_b64 v1, v[14:15], v[22:23] offset0:2 offset1:3
	ds_write_b64 v1, v[24:25] offset:32
	s_waitcnt lgkmcnt(0)
	s_barrier
	ds_read2st64_b32 v[2:3], v26 offset1:2
	ds_read2st64_b32 v[6:7], v26 offset0:4 offset1:6
	ds_read2st64_b32 v[4:5], v26 offset0:8 offset1:10
	;; [unrolled: 1-line block ×4, first 2 shown]
	v_mov_b32_e32 v13, s3
	v_add_co_u32_e32 v12, vcc, s2, v26
	v_addc_co_u32_e32 v13, vcc, 0, v13, vcc
	v_mov_b32_e32 v1, 0
	v_cmp_gt_u32_e32 vcc, s30, v0
	s_and_saveexec_b64 s[0:1], vcc
	s_cbranch_execz .LBB6408_74
; %bb.73:
	s_waitcnt lgkmcnt(0)
	flat_store_dword v[12:13], v2
.LBB6408_74:
	s_or_b64 exec, exec, s[0:1]
	v_or_b32_e32 v14, 0x80, v0
	v_cmp_gt_u32_e32 vcc, s30, v14
	s_and_saveexec_b64 s[0:1], vcc
	s_cbranch_execz .LBB6408_76
; %bb.75:
	s_waitcnt lgkmcnt(0)
	flat_store_dword v[12:13], v3 offset:512
.LBB6408_76:
	s_or_b64 exec, exec, s[0:1]
	v_or_b32_e32 v14, 0x100, v0
	v_cmp_gt_u32_e32 vcc, s30, v14
	s_and_saveexec_b64 s[0:1], vcc
	s_cbranch_execz .LBB6408_78
; %bb.77:
	s_waitcnt lgkmcnt(0)
	flat_store_dword v[12:13], v6 offset:1024
.LBB6408_78:
	;; [unrolled: 9-line block ×7, first 2 shown]
	s_or_b64 exec, exec, s[0:1]
	v_or_b32_e32 v14, 0x400, v0
	v_cmp_gt_u32_e32 vcc, s30, v14
	s_and_saveexec_b64 s[0:1], vcc
	s_cbranch_execz .LBB6408_90
; %bb.89:
	v_add_co_u32_e32 v14, vcc, 0x1000, v12
	v_addc_co_u32_e32 v15, vcc, 0, v13, vcc
	s_waitcnt lgkmcnt(0)
	flat_store_dword v[14:15], v10
.LBB6408_90:
	s_or_b64 exec, exec, s[0:1]
	v_or_b32_e32 v14, 0x480, v0
	v_cmp_gt_u32_e32 vcc, s30, v14
	s_and_saveexec_b64 s[0:1], vcc
	s_cbranch_execz .LBB6408_92
; %bb.91:
	v_add_co_u32_e32 v12, vcc, 0x1000, v12
	v_addc_co_u32_e32 v13, vcc, 0, v13, vcc
	s_waitcnt lgkmcnt(0)
	flat_store_dword v[12:13], v11 offset:512
.LBB6408_92:
	s_or_b64 exec, exec, s[0:1]
	v_cmp_lt_u64_e64 s[0:1], s[14:15], 2
	s_and_b64 vcc, exec, s[0:1]
	s_cbranch_vccnz .LBB6408_127
; %bb.93:
	s_add_u32 s0, s30, -1
	s_addc_u32 s1, s31, -1
	s_add_u32 s2, 0, 0x99986000
	s_addc_u32 s3, 0, 0x59
	s_add_i32 s3, s3, 0x19999940
	s_mul_hi_u32 s7, s2, -10
	s_sub_i32 s7, s7, s2
	s_mul_i32 s8, s3, -10
	s_mul_i32 s4, s2, -10
	s_add_i32 s7, s7, s8
	s_mul_hi_u32 s5, s3, s4
	s_mul_i32 s6, s3, s4
	s_mul_i32 s9, s2, s7
	s_mul_hi_u32 s4, s2, s4
	s_mul_hi_u32 s8, s2, s7
	s_add_u32 s4, s4, s9
	s_addc_u32 s8, 0, s8
	s_add_u32 s4, s4, s6
	s_mul_hi_u32 s9, s3, s7
	s_addc_u32 s4, s8, s5
	s_addc_u32 s5, s9, 0
	s_mul_i32 s6, s3, s7
	s_add_u32 s4, s4, s6
	v_mov_b32_e32 v12, s4
	s_addc_u32 s5, 0, s5
	v_add_co_u32_e32 v12, vcc, s2, v12
	s_cmp_lg_u64 vcc, 0
	s_addc_u32 s2, s3, s5
	v_readfirstlane_b32 s5, v12
	s_mul_i32 s4, s0, s2
	s_mul_hi_u32 s6, s0, s5
	s_mul_hi_u32 s3, s0, s2
	s_add_u32 s4, s6, s4
	s_addc_u32 s3, 0, s3
	s_mul_hi_u32 s7, s1, s5
	s_mul_i32 s5, s1, s5
	s_add_u32 s4, s4, s5
	s_mul_hi_u32 s6, s1, s2
	s_addc_u32 s3, s3, s7
	s_addc_u32 s4, s6, 0
	s_mul_i32 s2, s1, s2
	s_add_u32 s2, s3, s2
	s_addc_u32 s3, 0, s4
	s_add_u32 s4, s2, 1
	s_addc_u32 s5, s3, 0
	s_add_u32 s6, s2, 2
	s_mul_i32 s8, s3, 10
	s_mul_hi_u32 s9, s2, 10
	s_addc_u32 s7, s3, 0
	s_add_i32 s9, s9, s8
	s_mul_i32 s8, s2, 10
	v_mov_b32_e32 v12, s8
	v_sub_co_u32_e32 v12, vcc, s0, v12
	s_cmp_lg_u64 vcc, 0
	s_subb_u32 s8, s1, s9
	v_subrev_co_u32_e32 v13, vcc, 10, v12
	s_cmp_lg_u64 vcc, 0
	s_subb_u32 s9, s8, 0
	v_readfirstlane_b32 s12, v13
	s_cmp_gt_u32 s12, 9
	s_cselect_b32 s12, -1, 0
	s_cmp_eq_u32 s9, 0
	s_cselect_b32 s9, s12, -1
	s_cmp_lg_u32 s9, 0
	s_cselect_b32 s4, s6, s4
	v_readfirstlane_b32 s6, v12
	s_cselect_b32 s5, s7, s5
	s_cmp_gt_u32 s6, 9
	s_cselect_b32 s6, -1, 0
	s_cmp_eq_u32 s8, 0
	s_cselect_b32 s6, s6, -1
	s_cmp_lg_u32 s6, 0
	s_cselect_b32 s3, s5, s3
	s_cselect_b32 s2, s4, s2
	v_cmp_eq_u64_e32 vcc, s[2:3], v[0:1]
	s_and_saveexec_b64 s[2:3], vcc
	s_cbranch_execz .LBB6408_127
; %bb.94:
	v_mul_hi_u32_u24_e32 v1, 10, v0
	v_mov_b32_e32 v12, s1
	v_sub_co_u32_e32 v0, vcc, s0, v27
	v_subb_co_u32_e32 v1, vcc, v12, v1, vcc
	v_cmp_lt_i64_e32 vcc, 4, v[0:1]
	s_and_saveexec_b64 s[0:1], vcc
	s_xor_b64 s[0:1], exec, s[0:1]
	s_cbranch_execz .LBB6408_112
; %bb.95:
	v_cmp_lt_i64_e32 vcc, 6, v[0:1]
	s_and_saveexec_b64 s[2:3], vcc
	s_xor_b64 s[2:3], exec, s[2:3]
	s_cbranch_execz .LBB6408_105
; %bb.96:
	;; [unrolled: 5-line block ×4, first 2 shown]
	v_mov_b32_e32 v0, 0
	s_waitcnt lgkmcnt(0)
	global_store_dword v0, v11, s[10:11]
                                        ; implicit-def: $vgpr10_vgpr11
.LBB6408_99:
	s_andn2_saveexec_b64 s[6:7], s[6:7]
	s_cbranch_execz .LBB6408_101
; %bb.100:
	v_mov_b32_e32 v0, 0
	s_waitcnt lgkmcnt(0)
	global_store_dword v0, v10, s[10:11]
.LBB6408_101:
	s_or_b64 exec, exec, s[6:7]
                                        ; implicit-def: $vgpr8_vgpr9
.LBB6408_102:
	s_andn2_saveexec_b64 s[4:5], s[4:5]
	s_cbranch_execz .LBB6408_104
; %bb.103:
	v_mov_b32_e32 v0, 0
	s_waitcnt lgkmcnt(0)
	global_store_dword v0, v9, s[10:11]
.LBB6408_104:
	s_or_b64 exec, exec, s[4:5]
                                        ; implicit-def: $vgpr4_vgpr5
                                        ; implicit-def: $vgpr0_vgpr1
                                        ; implicit-def: $vgpr8_vgpr9
.LBB6408_105:
	s_andn2_saveexec_b64 s[2:3], s[2:3]
	s_cbranch_execz .LBB6408_111
; %bb.106:
	v_cmp_lt_i64_e32 vcc, 5, v[0:1]
	s_and_saveexec_b64 s[4:5], vcc
	s_xor_b64 s[4:5], exec, s[4:5]
	s_cbranch_execz .LBB6408_108
; %bb.107:
	v_mov_b32_e32 v0, 0
	s_waitcnt lgkmcnt(0)
	global_store_dword v0, v8, s[10:11]
                                        ; implicit-def: $vgpr4_vgpr5
.LBB6408_108:
	s_andn2_saveexec_b64 s[4:5], s[4:5]
	s_cbranch_execz .LBB6408_110
; %bb.109:
	v_mov_b32_e32 v0, 0
	s_waitcnt lgkmcnt(0)
	global_store_dword v0, v5, s[10:11]
.LBB6408_110:
	s_or_b64 exec, exec, s[4:5]
.LBB6408_111:
	s_or_b64 exec, exec, s[2:3]
                                        ; implicit-def: $vgpr0_vgpr1
                                        ; implicit-def: $vgpr6_vgpr7
                                        ; implicit-def: $vgpr2_vgpr3
                                        ; implicit-def: $vgpr4_vgpr5
.LBB6408_112:
	s_andn2_saveexec_b64 s[0:1], s[0:1]
	s_cbranch_execz .LBB6408_127
; %bb.113:
	v_cmp_lt_i64_e32 vcc, 2, v[0:1]
	s_and_saveexec_b64 s[0:1], vcc
	s_xor_b64 s[0:1], exec, s[0:1]
	s_cbranch_execz .LBB6408_119
; %bb.114:
	v_cmp_lt_i64_e32 vcc, 3, v[0:1]
	s_and_saveexec_b64 s[2:3], vcc
	s_xor_b64 s[2:3], exec, s[2:3]
	s_cbranch_execz .LBB6408_116
; %bb.115:
	v_mov_b32_e32 v0, 0
	s_waitcnt lgkmcnt(0)
	global_store_dword v0, v4, s[10:11]
                                        ; implicit-def: $vgpr6_vgpr7
.LBB6408_116:
	s_andn2_saveexec_b64 s[2:3], s[2:3]
	s_cbranch_execz .LBB6408_118
; %bb.117:
	v_mov_b32_e32 v0, 0
	s_waitcnt lgkmcnt(0)
	global_store_dword v0, v7, s[10:11]
.LBB6408_118:
	s_or_b64 exec, exec, s[2:3]
                                        ; implicit-def: $vgpr0_vgpr1
                                        ; implicit-def: $vgpr6_vgpr7
                                        ; implicit-def: $vgpr2_vgpr3
.LBB6408_119:
	s_andn2_saveexec_b64 s[0:1], s[0:1]
	s_cbranch_execz .LBB6408_127
; %bb.120:
	v_cmp_lt_i64_e32 vcc, 1, v[0:1]
	s_and_saveexec_b64 s[0:1], vcc
	s_xor_b64 s[0:1], exec, s[0:1]
	s_cbranch_execz .LBB6408_122
; %bb.121:
	v_mov_b32_e32 v0, 0
	s_waitcnt lgkmcnt(0)
	global_store_dword v0, v6, s[10:11]
                                        ; implicit-def: $vgpr2_vgpr3
                                        ; implicit-def: $vgpr0_vgpr1
.LBB6408_122:
	s_andn2_saveexec_b64 s[0:1], s[0:1]
	s_cbranch_execz .LBB6408_127
; %bb.123:
	v_cmp_ne_u64_e32 vcc, 1, v[0:1]
	s_and_saveexec_b64 s[0:1], vcc
	s_xor_b64 s[0:1], exec, s[0:1]
	s_cbranch_execz .LBB6408_125
; %bb.124:
	v_mov_b32_e32 v0, 0
	s_waitcnt lgkmcnt(0)
	global_store_dword v0, v2, s[10:11]
                                        ; implicit-def: $vgpr2_vgpr3
.LBB6408_125:
	s_andn2_saveexec_b64 s[0:1], s[0:1]
	s_cbranch_execz .LBB6408_127
; %bb.126:
	v_mov_b32_e32 v0, 0
	s_waitcnt lgkmcnt(0)
	global_store_dword v0, v3, s[10:11]
.LBB6408_127:
	s_endpgm
	.section	.rodata,"a",@progbits
	.p2align	6, 0x0
	.amdhsa_kernel _ZN7rocprim17ROCPRIM_400000_NS6detail17trampoline_kernelINS0_14default_configENS1_20scan_config_selectorI11FixedVectorIiLj1EEEEZZNS1_9scan_implILNS1_25lookback_scan_determinismE0ELb0ELb0ES3_N6thrust23THRUST_200600_302600_NS6detail15normal_iteratorINSB_10device_ptrIS6_EEEESG_S6_NSB_4plusIvEES6_EEDaPvRmT3_T4_T5_mT6_P12ihipStream_tbENKUlT_T0_E_clISt17integral_constantIbLb1EESW_EEDaSR_SS_EUlSR_E_NS1_11comp_targetILNS1_3genE4ELNS1_11target_archE910ELNS1_3gpuE8ELNS1_3repE0EEENS1_30default_config_static_selectorELNS0_4arch9wavefront6targetE1EEEvT1_
		.amdhsa_group_segment_fixed_size 5120
		.amdhsa_private_segment_fixed_size 0
		.amdhsa_kernarg_size 96
		.amdhsa_user_sgpr_count 6
		.amdhsa_user_sgpr_private_segment_buffer 1
		.amdhsa_user_sgpr_dispatch_ptr 0
		.amdhsa_user_sgpr_queue_ptr 0
		.amdhsa_user_sgpr_kernarg_segment_ptr 1
		.amdhsa_user_sgpr_dispatch_id 0
		.amdhsa_user_sgpr_flat_scratch_init 0
		.amdhsa_user_sgpr_kernarg_preload_length 0
		.amdhsa_user_sgpr_kernarg_preload_offset 0
		.amdhsa_user_sgpr_private_segment_size 0
		.amdhsa_uses_dynamic_stack 0
		.amdhsa_system_sgpr_private_segment_wavefront_offset 0
		.amdhsa_system_sgpr_workgroup_id_x 1
		.amdhsa_system_sgpr_workgroup_id_y 0
		.amdhsa_system_sgpr_workgroup_id_z 0
		.amdhsa_system_sgpr_workgroup_info 0
		.amdhsa_system_vgpr_workitem_id 0
		.amdhsa_next_free_vgpr 40
		.amdhsa_next_free_sgpr 38
		.amdhsa_accum_offset 40
		.amdhsa_reserve_vcc 1
		.amdhsa_reserve_flat_scratch 0
		.amdhsa_float_round_mode_32 0
		.amdhsa_float_round_mode_16_64 0
		.amdhsa_float_denorm_mode_32 3
		.amdhsa_float_denorm_mode_16_64 3
		.amdhsa_dx10_clamp 1
		.amdhsa_ieee_mode 1
		.amdhsa_fp16_overflow 0
		.amdhsa_tg_split 0
		.amdhsa_exception_fp_ieee_invalid_op 0
		.amdhsa_exception_fp_denorm_src 0
		.amdhsa_exception_fp_ieee_div_zero 0
		.amdhsa_exception_fp_ieee_overflow 0
		.amdhsa_exception_fp_ieee_underflow 0
		.amdhsa_exception_fp_ieee_inexact 0
		.amdhsa_exception_int_div_zero 0
	.end_amdhsa_kernel
	.section	.text._ZN7rocprim17ROCPRIM_400000_NS6detail17trampoline_kernelINS0_14default_configENS1_20scan_config_selectorI11FixedVectorIiLj1EEEEZZNS1_9scan_implILNS1_25lookback_scan_determinismE0ELb0ELb0ES3_N6thrust23THRUST_200600_302600_NS6detail15normal_iteratorINSB_10device_ptrIS6_EEEESG_S6_NSB_4plusIvEES6_EEDaPvRmT3_T4_T5_mT6_P12ihipStream_tbENKUlT_T0_E_clISt17integral_constantIbLb1EESW_EEDaSR_SS_EUlSR_E_NS1_11comp_targetILNS1_3genE4ELNS1_11target_archE910ELNS1_3gpuE8ELNS1_3repE0EEENS1_30default_config_static_selectorELNS0_4arch9wavefront6targetE1EEEvT1_,"axG",@progbits,_ZN7rocprim17ROCPRIM_400000_NS6detail17trampoline_kernelINS0_14default_configENS1_20scan_config_selectorI11FixedVectorIiLj1EEEEZZNS1_9scan_implILNS1_25lookback_scan_determinismE0ELb0ELb0ES3_N6thrust23THRUST_200600_302600_NS6detail15normal_iteratorINSB_10device_ptrIS6_EEEESG_S6_NSB_4plusIvEES6_EEDaPvRmT3_T4_T5_mT6_P12ihipStream_tbENKUlT_T0_E_clISt17integral_constantIbLb1EESW_EEDaSR_SS_EUlSR_E_NS1_11comp_targetILNS1_3genE4ELNS1_11target_archE910ELNS1_3gpuE8ELNS1_3repE0EEENS1_30default_config_static_selectorELNS0_4arch9wavefront6targetE1EEEvT1_,comdat
.Lfunc_end6408:
	.size	_ZN7rocprim17ROCPRIM_400000_NS6detail17trampoline_kernelINS0_14default_configENS1_20scan_config_selectorI11FixedVectorIiLj1EEEEZZNS1_9scan_implILNS1_25lookback_scan_determinismE0ELb0ELb0ES3_N6thrust23THRUST_200600_302600_NS6detail15normal_iteratorINSB_10device_ptrIS6_EEEESG_S6_NSB_4plusIvEES6_EEDaPvRmT3_T4_T5_mT6_P12ihipStream_tbENKUlT_T0_E_clISt17integral_constantIbLb1EESW_EEDaSR_SS_EUlSR_E_NS1_11comp_targetILNS1_3genE4ELNS1_11target_archE910ELNS1_3gpuE8ELNS1_3repE0EEENS1_30default_config_static_selectorELNS0_4arch9wavefront6targetE1EEEvT1_, .Lfunc_end6408-_ZN7rocprim17ROCPRIM_400000_NS6detail17trampoline_kernelINS0_14default_configENS1_20scan_config_selectorI11FixedVectorIiLj1EEEEZZNS1_9scan_implILNS1_25lookback_scan_determinismE0ELb0ELb0ES3_N6thrust23THRUST_200600_302600_NS6detail15normal_iteratorINSB_10device_ptrIS6_EEEESG_S6_NSB_4plusIvEES6_EEDaPvRmT3_T4_T5_mT6_P12ihipStream_tbENKUlT_T0_E_clISt17integral_constantIbLb1EESW_EEDaSR_SS_EUlSR_E_NS1_11comp_targetILNS1_3genE4ELNS1_11target_archE910ELNS1_3gpuE8ELNS1_3repE0EEENS1_30default_config_static_selectorELNS0_4arch9wavefront6targetE1EEEvT1_
                                        ; -- End function
	.section	.AMDGPU.csdata,"",@progbits
; Kernel info:
; codeLenInByte = 4584
; NumSgprs: 42
; NumVgprs: 40
; NumAgprs: 0
; TotalNumVgprs: 40
; ScratchSize: 0
; MemoryBound: 0
; FloatMode: 240
; IeeeMode: 1
; LDSByteSize: 5120 bytes/workgroup (compile time only)
; SGPRBlocks: 5
; VGPRBlocks: 4
; NumSGPRsForWavesPerEU: 42
; NumVGPRsForWavesPerEU: 40
; AccumOffset: 40
; Occupancy: 6
; WaveLimiterHint : 1
; COMPUTE_PGM_RSRC2:SCRATCH_EN: 0
; COMPUTE_PGM_RSRC2:USER_SGPR: 6
; COMPUTE_PGM_RSRC2:TRAP_HANDLER: 0
; COMPUTE_PGM_RSRC2:TGID_X_EN: 1
; COMPUTE_PGM_RSRC2:TGID_Y_EN: 0
; COMPUTE_PGM_RSRC2:TGID_Z_EN: 0
; COMPUTE_PGM_RSRC2:TIDIG_COMP_CNT: 0
; COMPUTE_PGM_RSRC3_GFX90A:ACCUM_OFFSET: 9
; COMPUTE_PGM_RSRC3_GFX90A:TG_SPLIT: 0
	.section	.text._ZN7rocprim17ROCPRIM_400000_NS6detail17trampoline_kernelINS0_14default_configENS1_20scan_config_selectorI11FixedVectorIiLj1EEEEZZNS1_9scan_implILNS1_25lookback_scan_determinismE0ELb0ELb0ES3_N6thrust23THRUST_200600_302600_NS6detail15normal_iteratorINSB_10device_ptrIS6_EEEESG_S6_NSB_4plusIvEES6_EEDaPvRmT3_T4_T5_mT6_P12ihipStream_tbENKUlT_T0_E_clISt17integral_constantIbLb1EESW_EEDaSR_SS_EUlSR_E_NS1_11comp_targetILNS1_3genE3ELNS1_11target_archE908ELNS1_3gpuE7ELNS1_3repE0EEENS1_30default_config_static_selectorELNS0_4arch9wavefront6targetE1EEEvT1_,"axG",@progbits,_ZN7rocprim17ROCPRIM_400000_NS6detail17trampoline_kernelINS0_14default_configENS1_20scan_config_selectorI11FixedVectorIiLj1EEEEZZNS1_9scan_implILNS1_25lookback_scan_determinismE0ELb0ELb0ES3_N6thrust23THRUST_200600_302600_NS6detail15normal_iteratorINSB_10device_ptrIS6_EEEESG_S6_NSB_4plusIvEES6_EEDaPvRmT3_T4_T5_mT6_P12ihipStream_tbENKUlT_T0_E_clISt17integral_constantIbLb1EESW_EEDaSR_SS_EUlSR_E_NS1_11comp_targetILNS1_3genE3ELNS1_11target_archE908ELNS1_3gpuE7ELNS1_3repE0EEENS1_30default_config_static_selectorELNS0_4arch9wavefront6targetE1EEEvT1_,comdat
	.protected	_ZN7rocprim17ROCPRIM_400000_NS6detail17trampoline_kernelINS0_14default_configENS1_20scan_config_selectorI11FixedVectorIiLj1EEEEZZNS1_9scan_implILNS1_25lookback_scan_determinismE0ELb0ELb0ES3_N6thrust23THRUST_200600_302600_NS6detail15normal_iteratorINSB_10device_ptrIS6_EEEESG_S6_NSB_4plusIvEES6_EEDaPvRmT3_T4_T5_mT6_P12ihipStream_tbENKUlT_T0_E_clISt17integral_constantIbLb1EESW_EEDaSR_SS_EUlSR_E_NS1_11comp_targetILNS1_3genE3ELNS1_11target_archE908ELNS1_3gpuE7ELNS1_3repE0EEENS1_30default_config_static_selectorELNS0_4arch9wavefront6targetE1EEEvT1_ ; -- Begin function _ZN7rocprim17ROCPRIM_400000_NS6detail17trampoline_kernelINS0_14default_configENS1_20scan_config_selectorI11FixedVectorIiLj1EEEEZZNS1_9scan_implILNS1_25lookback_scan_determinismE0ELb0ELb0ES3_N6thrust23THRUST_200600_302600_NS6detail15normal_iteratorINSB_10device_ptrIS6_EEEESG_S6_NSB_4plusIvEES6_EEDaPvRmT3_T4_T5_mT6_P12ihipStream_tbENKUlT_T0_E_clISt17integral_constantIbLb1EESW_EEDaSR_SS_EUlSR_E_NS1_11comp_targetILNS1_3genE3ELNS1_11target_archE908ELNS1_3gpuE7ELNS1_3repE0EEENS1_30default_config_static_selectorELNS0_4arch9wavefront6targetE1EEEvT1_
	.globl	_ZN7rocprim17ROCPRIM_400000_NS6detail17trampoline_kernelINS0_14default_configENS1_20scan_config_selectorI11FixedVectorIiLj1EEEEZZNS1_9scan_implILNS1_25lookback_scan_determinismE0ELb0ELb0ES3_N6thrust23THRUST_200600_302600_NS6detail15normal_iteratorINSB_10device_ptrIS6_EEEESG_S6_NSB_4plusIvEES6_EEDaPvRmT3_T4_T5_mT6_P12ihipStream_tbENKUlT_T0_E_clISt17integral_constantIbLb1EESW_EEDaSR_SS_EUlSR_E_NS1_11comp_targetILNS1_3genE3ELNS1_11target_archE908ELNS1_3gpuE7ELNS1_3repE0EEENS1_30default_config_static_selectorELNS0_4arch9wavefront6targetE1EEEvT1_
	.p2align	8
	.type	_ZN7rocprim17ROCPRIM_400000_NS6detail17trampoline_kernelINS0_14default_configENS1_20scan_config_selectorI11FixedVectorIiLj1EEEEZZNS1_9scan_implILNS1_25lookback_scan_determinismE0ELb0ELb0ES3_N6thrust23THRUST_200600_302600_NS6detail15normal_iteratorINSB_10device_ptrIS6_EEEESG_S6_NSB_4plusIvEES6_EEDaPvRmT3_T4_T5_mT6_P12ihipStream_tbENKUlT_T0_E_clISt17integral_constantIbLb1EESW_EEDaSR_SS_EUlSR_E_NS1_11comp_targetILNS1_3genE3ELNS1_11target_archE908ELNS1_3gpuE7ELNS1_3repE0EEENS1_30default_config_static_selectorELNS0_4arch9wavefront6targetE1EEEvT1_,@function
_ZN7rocprim17ROCPRIM_400000_NS6detail17trampoline_kernelINS0_14default_configENS1_20scan_config_selectorI11FixedVectorIiLj1EEEEZZNS1_9scan_implILNS1_25lookback_scan_determinismE0ELb0ELb0ES3_N6thrust23THRUST_200600_302600_NS6detail15normal_iteratorINSB_10device_ptrIS6_EEEESG_S6_NSB_4plusIvEES6_EEDaPvRmT3_T4_T5_mT6_P12ihipStream_tbENKUlT_T0_E_clISt17integral_constantIbLb1EESW_EEDaSR_SS_EUlSR_E_NS1_11comp_targetILNS1_3genE3ELNS1_11target_archE908ELNS1_3gpuE7ELNS1_3repE0EEENS1_30default_config_static_selectorELNS0_4arch9wavefront6targetE1EEEvT1_: ; @_ZN7rocprim17ROCPRIM_400000_NS6detail17trampoline_kernelINS0_14default_configENS1_20scan_config_selectorI11FixedVectorIiLj1EEEEZZNS1_9scan_implILNS1_25lookback_scan_determinismE0ELb0ELb0ES3_N6thrust23THRUST_200600_302600_NS6detail15normal_iteratorINSB_10device_ptrIS6_EEEESG_S6_NSB_4plusIvEES6_EEDaPvRmT3_T4_T5_mT6_P12ihipStream_tbENKUlT_T0_E_clISt17integral_constantIbLb1EESW_EEDaSR_SS_EUlSR_E_NS1_11comp_targetILNS1_3genE3ELNS1_11target_archE908ELNS1_3gpuE7ELNS1_3repE0EEENS1_30default_config_static_selectorELNS0_4arch9wavefront6targetE1EEEvT1_
; %bb.0:
	.section	.rodata,"a",@progbits
	.p2align	6, 0x0
	.amdhsa_kernel _ZN7rocprim17ROCPRIM_400000_NS6detail17trampoline_kernelINS0_14default_configENS1_20scan_config_selectorI11FixedVectorIiLj1EEEEZZNS1_9scan_implILNS1_25lookback_scan_determinismE0ELb0ELb0ES3_N6thrust23THRUST_200600_302600_NS6detail15normal_iteratorINSB_10device_ptrIS6_EEEESG_S6_NSB_4plusIvEES6_EEDaPvRmT3_T4_T5_mT6_P12ihipStream_tbENKUlT_T0_E_clISt17integral_constantIbLb1EESW_EEDaSR_SS_EUlSR_E_NS1_11comp_targetILNS1_3genE3ELNS1_11target_archE908ELNS1_3gpuE7ELNS1_3repE0EEENS1_30default_config_static_selectorELNS0_4arch9wavefront6targetE1EEEvT1_
		.amdhsa_group_segment_fixed_size 0
		.amdhsa_private_segment_fixed_size 0
		.amdhsa_kernarg_size 96
		.amdhsa_user_sgpr_count 6
		.amdhsa_user_sgpr_private_segment_buffer 1
		.amdhsa_user_sgpr_dispatch_ptr 0
		.amdhsa_user_sgpr_queue_ptr 0
		.amdhsa_user_sgpr_kernarg_segment_ptr 1
		.amdhsa_user_sgpr_dispatch_id 0
		.amdhsa_user_sgpr_flat_scratch_init 0
		.amdhsa_user_sgpr_kernarg_preload_length 0
		.amdhsa_user_sgpr_kernarg_preload_offset 0
		.amdhsa_user_sgpr_private_segment_size 0
		.amdhsa_uses_dynamic_stack 0
		.amdhsa_system_sgpr_private_segment_wavefront_offset 0
		.amdhsa_system_sgpr_workgroup_id_x 1
		.amdhsa_system_sgpr_workgroup_id_y 0
		.amdhsa_system_sgpr_workgroup_id_z 0
		.amdhsa_system_sgpr_workgroup_info 0
		.amdhsa_system_vgpr_workitem_id 0
		.amdhsa_next_free_vgpr 1
		.amdhsa_next_free_sgpr 0
		.amdhsa_accum_offset 4
		.amdhsa_reserve_vcc 0
		.amdhsa_reserve_flat_scratch 0
		.amdhsa_float_round_mode_32 0
		.amdhsa_float_round_mode_16_64 0
		.amdhsa_float_denorm_mode_32 3
		.amdhsa_float_denorm_mode_16_64 3
		.amdhsa_dx10_clamp 1
		.amdhsa_ieee_mode 1
		.amdhsa_fp16_overflow 0
		.amdhsa_tg_split 0
		.amdhsa_exception_fp_ieee_invalid_op 0
		.amdhsa_exception_fp_denorm_src 0
		.amdhsa_exception_fp_ieee_div_zero 0
		.amdhsa_exception_fp_ieee_overflow 0
		.amdhsa_exception_fp_ieee_underflow 0
		.amdhsa_exception_fp_ieee_inexact 0
		.amdhsa_exception_int_div_zero 0
	.end_amdhsa_kernel
	.section	.text._ZN7rocprim17ROCPRIM_400000_NS6detail17trampoline_kernelINS0_14default_configENS1_20scan_config_selectorI11FixedVectorIiLj1EEEEZZNS1_9scan_implILNS1_25lookback_scan_determinismE0ELb0ELb0ES3_N6thrust23THRUST_200600_302600_NS6detail15normal_iteratorINSB_10device_ptrIS6_EEEESG_S6_NSB_4plusIvEES6_EEDaPvRmT3_T4_T5_mT6_P12ihipStream_tbENKUlT_T0_E_clISt17integral_constantIbLb1EESW_EEDaSR_SS_EUlSR_E_NS1_11comp_targetILNS1_3genE3ELNS1_11target_archE908ELNS1_3gpuE7ELNS1_3repE0EEENS1_30default_config_static_selectorELNS0_4arch9wavefront6targetE1EEEvT1_,"axG",@progbits,_ZN7rocprim17ROCPRIM_400000_NS6detail17trampoline_kernelINS0_14default_configENS1_20scan_config_selectorI11FixedVectorIiLj1EEEEZZNS1_9scan_implILNS1_25lookback_scan_determinismE0ELb0ELb0ES3_N6thrust23THRUST_200600_302600_NS6detail15normal_iteratorINSB_10device_ptrIS6_EEEESG_S6_NSB_4plusIvEES6_EEDaPvRmT3_T4_T5_mT6_P12ihipStream_tbENKUlT_T0_E_clISt17integral_constantIbLb1EESW_EEDaSR_SS_EUlSR_E_NS1_11comp_targetILNS1_3genE3ELNS1_11target_archE908ELNS1_3gpuE7ELNS1_3repE0EEENS1_30default_config_static_selectorELNS0_4arch9wavefront6targetE1EEEvT1_,comdat
.Lfunc_end6409:
	.size	_ZN7rocprim17ROCPRIM_400000_NS6detail17trampoline_kernelINS0_14default_configENS1_20scan_config_selectorI11FixedVectorIiLj1EEEEZZNS1_9scan_implILNS1_25lookback_scan_determinismE0ELb0ELb0ES3_N6thrust23THRUST_200600_302600_NS6detail15normal_iteratorINSB_10device_ptrIS6_EEEESG_S6_NSB_4plusIvEES6_EEDaPvRmT3_T4_T5_mT6_P12ihipStream_tbENKUlT_T0_E_clISt17integral_constantIbLb1EESW_EEDaSR_SS_EUlSR_E_NS1_11comp_targetILNS1_3genE3ELNS1_11target_archE908ELNS1_3gpuE7ELNS1_3repE0EEENS1_30default_config_static_selectorELNS0_4arch9wavefront6targetE1EEEvT1_, .Lfunc_end6409-_ZN7rocprim17ROCPRIM_400000_NS6detail17trampoline_kernelINS0_14default_configENS1_20scan_config_selectorI11FixedVectorIiLj1EEEEZZNS1_9scan_implILNS1_25lookback_scan_determinismE0ELb0ELb0ES3_N6thrust23THRUST_200600_302600_NS6detail15normal_iteratorINSB_10device_ptrIS6_EEEESG_S6_NSB_4plusIvEES6_EEDaPvRmT3_T4_T5_mT6_P12ihipStream_tbENKUlT_T0_E_clISt17integral_constantIbLb1EESW_EEDaSR_SS_EUlSR_E_NS1_11comp_targetILNS1_3genE3ELNS1_11target_archE908ELNS1_3gpuE7ELNS1_3repE0EEENS1_30default_config_static_selectorELNS0_4arch9wavefront6targetE1EEEvT1_
                                        ; -- End function
	.section	.AMDGPU.csdata,"",@progbits
; Kernel info:
; codeLenInByte = 0
; NumSgprs: 4
; NumVgprs: 0
; NumAgprs: 0
; TotalNumVgprs: 0
; ScratchSize: 0
; MemoryBound: 0
; FloatMode: 240
; IeeeMode: 1
; LDSByteSize: 0 bytes/workgroup (compile time only)
; SGPRBlocks: 0
; VGPRBlocks: 0
; NumSGPRsForWavesPerEU: 4
; NumVGPRsForWavesPerEU: 1
; AccumOffset: 4
; Occupancy: 8
; WaveLimiterHint : 0
; COMPUTE_PGM_RSRC2:SCRATCH_EN: 0
; COMPUTE_PGM_RSRC2:USER_SGPR: 6
; COMPUTE_PGM_RSRC2:TRAP_HANDLER: 0
; COMPUTE_PGM_RSRC2:TGID_X_EN: 1
; COMPUTE_PGM_RSRC2:TGID_Y_EN: 0
; COMPUTE_PGM_RSRC2:TGID_Z_EN: 0
; COMPUTE_PGM_RSRC2:TIDIG_COMP_CNT: 0
; COMPUTE_PGM_RSRC3_GFX90A:ACCUM_OFFSET: 0
; COMPUTE_PGM_RSRC3_GFX90A:TG_SPLIT: 0
	.section	.text._ZN7rocprim17ROCPRIM_400000_NS6detail17trampoline_kernelINS0_14default_configENS1_20scan_config_selectorI11FixedVectorIiLj1EEEEZZNS1_9scan_implILNS1_25lookback_scan_determinismE0ELb0ELb0ES3_N6thrust23THRUST_200600_302600_NS6detail15normal_iteratorINSB_10device_ptrIS6_EEEESG_S6_NSB_4plusIvEES6_EEDaPvRmT3_T4_T5_mT6_P12ihipStream_tbENKUlT_T0_E_clISt17integral_constantIbLb1EESW_EEDaSR_SS_EUlSR_E_NS1_11comp_targetILNS1_3genE2ELNS1_11target_archE906ELNS1_3gpuE6ELNS1_3repE0EEENS1_30default_config_static_selectorELNS0_4arch9wavefront6targetE1EEEvT1_,"axG",@progbits,_ZN7rocprim17ROCPRIM_400000_NS6detail17trampoline_kernelINS0_14default_configENS1_20scan_config_selectorI11FixedVectorIiLj1EEEEZZNS1_9scan_implILNS1_25lookback_scan_determinismE0ELb0ELb0ES3_N6thrust23THRUST_200600_302600_NS6detail15normal_iteratorINSB_10device_ptrIS6_EEEESG_S6_NSB_4plusIvEES6_EEDaPvRmT3_T4_T5_mT6_P12ihipStream_tbENKUlT_T0_E_clISt17integral_constantIbLb1EESW_EEDaSR_SS_EUlSR_E_NS1_11comp_targetILNS1_3genE2ELNS1_11target_archE906ELNS1_3gpuE6ELNS1_3repE0EEENS1_30default_config_static_selectorELNS0_4arch9wavefront6targetE1EEEvT1_,comdat
	.protected	_ZN7rocprim17ROCPRIM_400000_NS6detail17trampoline_kernelINS0_14default_configENS1_20scan_config_selectorI11FixedVectorIiLj1EEEEZZNS1_9scan_implILNS1_25lookback_scan_determinismE0ELb0ELb0ES3_N6thrust23THRUST_200600_302600_NS6detail15normal_iteratorINSB_10device_ptrIS6_EEEESG_S6_NSB_4plusIvEES6_EEDaPvRmT3_T4_T5_mT6_P12ihipStream_tbENKUlT_T0_E_clISt17integral_constantIbLb1EESW_EEDaSR_SS_EUlSR_E_NS1_11comp_targetILNS1_3genE2ELNS1_11target_archE906ELNS1_3gpuE6ELNS1_3repE0EEENS1_30default_config_static_selectorELNS0_4arch9wavefront6targetE1EEEvT1_ ; -- Begin function _ZN7rocprim17ROCPRIM_400000_NS6detail17trampoline_kernelINS0_14default_configENS1_20scan_config_selectorI11FixedVectorIiLj1EEEEZZNS1_9scan_implILNS1_25lookback_scan_determinismE0ELb0ELb0ES3_N6thrust23THRUST_200600_302600_NS6detail15normal_iteratorINSB_10device_ptrIS6_EEEESG_S6_NSB_4plusIvEES6_EEDaPvRmT3_T4_T5_mT6_P12ihipStream_tbENKUlT_T0_E_clISt17integral_constantIbLb1EESW_EEDaSR_SS_EUlSR_E_NS1_11comp_targetILNS1_3genE2ELNS1_11target_archE906ELNS1_3gpuE6ELNS1_3repE0EEENS1_30default_config_static_selectorELNS0_4arch9wavefront6targetE1EEEvT1_
	.globl	_ZN7rocprim17ROCPRIM_400000_NS6detail17trampoline_kernelINS0_14default_configENS1_20scan_config_selectorI11FixedVectorIiLj1EEEEZZNS1_9scan_implILNS1_25lookback_scan_determinismE0ELb0ELb0ES3_N6thrust23THRUST_200600_302600_NS6detail15normal_iteratorINSB_10device_ptrIS6_EEEESG_S6_NSB_4plusIvEES6_EEDaPvRmT3_T4_T5_mT6_P12ihipStream_tbENKUlT_T0_E_clISt17integral_constantIbLb1EESW_EEDaSR_SS_EUlSR_E_NS1_11comp_targetILNS1_3genE2ELNS1_11target_archE906ELNS1_3gpuE6ELNS1_3repE0EEENS1_30default_config_static_selectorELNS0_4arch9wavefront6targetE1EEEvT1_
	.p2align	8
	.type	_ZN7rocprim17ROCPRIM_400000_NS6detail17trampoline_kernelINS0_14default_configENS1_20scan_config_selectorI11FixedVectorIiLj1EEEEZZNS1_9scan_implILNS1_25lookback_scan_determinismE0ELb0ELb0ES3_N6thrust23THRUST_200600_302600_NS6detail15normal_iteratorINSB_10device_ptrIS6_EEEESG_S6_NSB_4plusIvEES6_EEDaPvRmT3_T4_T5_mT6_P12ihipStream_tbENKUlT_T0_E_clISt17integral_constantIbLb1EESW_EEDaSR_SS_EUlSR_E_NS1_11comp_targetILNS1_3genE2ELNS1_11target_archE906ELNS1_3gpuE6ELNS1_3repE0EEENS1_30default_config_static_selectorELNS0_4arch9wavefront6targetE1EEEvT1_,@function
_ZN7rocprim17ROCPRIM_400000_NS6detail17trampoline_kernelINS0_14default_configENS1_20scan_config_selectorI11FixedVectorIiLj1EEEEZZNS1_9scan_implILNS1_25lookback_scan_determinismE0ELb0ELb0ES3_N6thrust23THRUST_200600_302600_NS6detail15normal_iteratorINSB_10device_ptrIS6_EEEESG_S6_NSB_4plusIvEES6_EEDaPvRmT3_T4_T5_mT6_P12ihipStream_tbENKUlT_T0_E_clISt17integral_constantIbLb1EESW_EEDaSR_SS_EUlSR_E_NS1_11comp_targetILNS1_3genE2ELNS1_11target_archE906ELNS1_3gpuE6ELNS1_3repE0EEENS1_30default_config_static_selectorELNS0_4arch9wavefront6targetE1EEEvT1_: ; @_ZN7rocprim17ROCPRIM_400000_NS6detail17trampoline_kernelINS0_14default_configENS1_20scan_config_selectorI11FixedVectorIiLj1EEEEZZNS1_9scan_implILNS1_25lookback_scan_determinismE0ELb0ELb0ES3_N6thrust23THRUST_200600_302600_NS6detail15normal_iteratorINSB_10device_ptrIS6_EEEESG_S6_NSB_4plusIvEES6_EEDaPvRmT3_T4_T5_mT6_P12ihipStream_tbENKUlT_T0_E_clISt17integral_constantIbLb1EESW_EEDaSR_SS_EUlSR_E_NS1_11comp_targetILNS1_3genE2ELNS1_11target_archE906ELNS1_3gpuE6ELNS1_3repE0EEENS1_30default_config_static_selectorELNS0_4arch9wavefront6targetE1EEEvT1_
; %bb.0:
	.section	.rodata,"a",@progbits
	.p2align	6, 0x0
	.amdhsa_kernel _ZN7rocprim17ROCPRIM_400000_NS6detail17trampoline_kernelINS0_14default_configENS1_20scan_config_selectorI11FixedVectorIiLj1EEEEZZNS1_9scan_implILNS1_25lookback_scan_determinismE0ELb0ELb0ES3_N6thrust23THRUST_200600_302600_NS6detail15normal_iteratorINSB_10device_ptrIS6_EEEESG_S6_NSB_4plusIvEES6_EEDaPvRmT3_T4_T5_mT6_P12ihipStream_tbENKUlT_T0_E_clISt17integral_constantIbLb1EESW_EEDaSR_SS_EUlSR_E_NS1_11comp_targetILNS1_3genE2ELNS1_11target_archE906ELNS1_3gpuE6ELNS1_3repE0EEENS1_30default_config_static_selectorELNS0_4arch9wavefront6targetE1EEEvT1_
		.amdhsa_group_segment_fixed_size 0
		.amdhsa_private_segment_fixed_size 0
		.amdhsa_kernarg_size 96
		.amdhsa_user_sgpr_count 6
		.amdhsa_user_sgpr_private_segment_buffer 1
		.amdhsa_user_sgpr_dispatch_ptr 0
		.amdhsa_user_sgpr_queue_ptr 0
		.amdhsa_user_sgpr_kernarg_segment_ptr 1
		.amdhsa_user_sgpr_dispatch_id 0
		.amdhsa_user_sgpr_flat_scratch_init 0
		.amdhsa_user_sgpr_kernarg_preload_length 0
		.amdhsa_user_sgpr_kernarg_preload_offset 0
		.amdhsa_user_sgpr_private_segment_size 0
		.amdhsa_uses_dynamic_stack 0
		.amdhsa_system_sgpr_private_segment_wavefront_offset 0
		.amdhsa_system_sgpr_workgroup_id_x 1
		.amdhsa_system_sgpr_workgroup_id_y 0
		.amdhsa_system_sgpr_workgroup_id_z 0
		.amdhsa_system_sgpr_workgroup_info 0
		.amdhsa_system_vgpr_workitem_id 0
		.amdhsa_next_free_vgpr 1
		.amdhsa_next_free_sgpr 0
		.amdhsa_accum_offset 4
		.amdhsa_reserve_vcc 0
		.amdhsa_reserve_flat_scratch 0
		.amdhsa_float_round_mode_32 0
		.amdhsa_float_round_mode_16_64 0
		.amdhsa_float_denorm_mode_32 3
		.amdhsa_float_denorm_mode_16_64 3
		.amdhsa_dx10_clamp 1
		.amdhsa_ieee_mode 1
		.amdhsa_fp16_overflow 0
		.amdhsa_tg_split 0
		.amdhsa_exception_fp_ieee_invalid_op 0
		.amdhsa_exception_fp_denorm_src 0
		.amdhsa_exception_fp_ieee_div_zero 0
		.amdhsa_exception_fp_ieee_overflow 0
		.amdhsa_exception_fp_ieee_underflow 0
		.amdhsa_exception_fp_ieee_inexact 0
		.amdhsa_exception_int_div_zero 0
	.end_amdhsa_kernel
	.section	.text._ZN7rocprim17ROCPRIM_400000_NS6detail17trampoline_kernelINS0_14default_configENS1_20scan_config_selectorI11FixedVectorIiLj1EEEEZZNS1_9scan_implILNS1_25lookback_scan_determinismE0ELb0ELb0ES3_N6thrust23THRUST_200600_302600_NS6detail15normal_iteratorINSB_10device_ptrIS6_EEEESG_S6_NSB_4plusIvEES6_EEDaPvRmT3_T4_T5_mT6_P12ihipStream_tbENKUlT_T0_E_clISt17integral_constantIbLb1EESW_EEDaSR_SS_EUlSR_E_NS1_11comp_targetILNS1_3genE2ELNS1_11target_archE906ELNS1_3gpuE6ELNS1_3repE0EEENS1_30default_config_static_selectorELNS0_4arch9wavefront6targetE1EEEvT1_,"axG",@progbits,_ZN7rocprim17ROCPRIM_400000_NS6detail17trampoline_kernelINS0_14default_configENS1_20scan_config_selectorI11FixedVectorIiLj1EEEEZZNS1_9scan_implILNS1_25lookback_scan_determinismE0ELb0ELb0ES3_N6thrust23THRUST_200600_302600_NS6detail15normal_iteratorINSB_10device_ptrIS6_EEEESG_S6_NSB_4plusIvEES6_EEDaPvRmT3_T4_T5_mT6_P12ihipStream_tbENKUlT_T0_E_clISt17integral_constantIbLb1EESW_EEDaSR_SS_EUlSR_E_NS1_11comp_targetILNS1_3genE2ELNS1_11target_archE906ELNS1_3gpuE6ELNS1_3repE0EEENS1_30default_config_static_selectorELNS0_4arch9wavefront6targetE1EEEvT1_,comdat
.Lfunc_end6410:
	.size	_ZN7rocprim17ROCPRIM_400000_NS6detail17trampoline_kernelINS0_14default_configENS1_20scan_config_selectorI11FixedVectorIiLj1EEEEZZNS1_9scan_implILNS1_25lookback_scan_determinismE0ELb0ELb0ES3_N6thrust23THRUST_200600_302600_NS6detail15normal_iteratorINSB_10device_ptrIS6_EEEESG_S6_NSB_4plusIvEES6_EEDaPvRmT3_T4_T5_mT6_P12ihipStream_tbENKUlT_T0_E_clISt17integral_constantIbLb1EESW_EEDaSR_SS_EUlSR_E_NS1_11comp_targetILNS1_3genE2ELNS1_11target_archE906ELNS1_3gpuE6ELNS1_3repE0EEENS1_30default_config_static_selectorELNS0_4arch9wavefront6targetE1EEEvT1_, .Lfunc_end6410-_ZN7rocprim17ROCPRIM_400000_NS6detail17trampoline_kernelINS0_14default_configENS1_20scan_config_selectorI11FixedVectorIiLj1EEEEZZNS1_9scan_implILNS1_25lookback_scan_determinismE0ELb0ELb0ES3_N6thrust23THRUST_200600_302600_NS6detail15normal_iteratorINSB_10device_ptrIS6_EEEESG_S6_NSB_4plusIvEES6_EEDaPvRmT3_T4_T5_mT6_P12ihipStream_tbENKUlT_T0_E_clISt17integral_constantIbLb1EESW_EEDaSR_SS_EUlSR_E_NS1_11comp_targetILNS1_3genE2ELNS1_11target_archE906ELNS1_3gpuE6ELNS1_3repE0EEENS1_30default_config_static_selectorELNS0_4arch9wavefront6targetE1EEEvT1_
                                        ; -- End function
	.section	.AMDGPU.csdata,"",@progbits
; Kernel info:
; codeLenInByte = 0
; NumSgprs: 4
; NumVgprs: 0
; NumAgprs: 0
; TotalNumVgprs: 0
; ScratchSize: 0
; MemoryBound: 0
; FloatMode: 240
; IeeeMode: 1
; LDSByteSize: 0 bytes/workgroup (compile time only)
; SGPRBlocks: 0
; VGPRBlocks: 0
; NumSGPRsForWavesPerEU: 4
; NumVGPRsForWavesPerEU: 1
; AccumOffset: 4
; Occupancy: 8
; WaveLimiterHint : 0
; COMPUTE_PGM_RSRC2:SCRATCH_EN: 0
; COMPUTE_PGM_RSRC2:USER_SGPR: 6
; COMPUTE_PGM_RSRC2:TRAP_HANDLER: 0
; COMPUTE_PGM_RSRC2:TGID_X_EN: 1
; COMPUTE_PGM_RSRC2:TGID_Y_EN: 0
; COMPUTE_PGM_RSRC2:TGID_Z_EN: 0
; COMPUTE_PGM_RSRC2:TIDIG_COMP_CNT: 0
; COMPUTE_PGM_RSRC3_GFX90A:ACCUM_OFFSET: 0
; COMPUTE_PGM_RSRC3_GFX90A:TG_SPLIT: 0
	.section	.text._ZN7rocprim17ROCPRIM_400000_NS6detail17trampoline_kernelINS0_14default_configENS1_20scan_config_selectorI11FixedVectorIiLj1EEEEZZNS1_9scan_implILNS1_25lookback_scan_determinismE0ELb0ELb0ES3_N6thrust23THRUST_200600_302600_NS6detail15normal_iteratorINSB_10device_ptrIS6_EEEESG_S6_NSB_4plusIvEES6_EEDaPvRmT3_T4_T5_mT6_P12ihipStream_tbENKUlT_T0_E_clISt17integral_constantIbLb1EESW_EEDaSR_SS_EUlSR_E_NS1_11comp_targetILNS1_3genE10ELNS1_11target_archE1201ELNS1_3gpuE5ELNS1_3repE0EEENS1_30default_config_static_selectorELNS0_4arch9wavefront6targetE1EEEvT1_,"axG",@progbits,_ZN7rocprim17ROCPRIM_400000_NS6detail17trampoline_kernelINS0_14default_configENS1_20scan_config_selectorI11FixedVectorIiLj1EEEEZZNS1_9scan_implILNS1_25lookback_scan_determinismE0ELb0ELb0ES3_N6thrust23THRUST_200600_302600_NS6detail15normal_iteratorINSB_10device_ptrIS6_EEEESG_S6_NSB_4plusIvEES6_EEDaPvRmT3_T4_T5_mT6_P12ihipStream_tbENKUlT_T0_E_clISt17integral_constantIbLb1EESW_EEDaSR_SS_EUlSR_E_NS1_11comp_targetILNS1_3genE10ELNS1_11target_archE1201ELNS1_3gpuE5ELNS1_3repE0EEENS1_30default_config_static_selectorELNS0_4arch9wavefront6targetE1EEEvT1_,comdat
	.protected	_ZN7rocprim17ROCPRIM_400000_NS6detail17trampoline_kernelINS0_14default_configENS1_20scan_config_selectorI11FixedVectorIiLj1EEEEZZNS1_9scan_implILNS1_25lookback_scan_determinismE0ELb0ELb0ES3_N6thrust23THRUST_200600_302600_NS6detail15normal_iteratorINSB_10device_ptrIS6_EEEESG_S6_NSB_4plusIvEES6_EEDaPvRmT3_T4_T5_mT6_P12ihipStream_tbENKUlT_T0_E_clISt17integral_constantIbLb1EESW_EEDaSR_SS_EUlSR_E_NS1_11comp_targetILNS1_3genE10ELNS1_11target_archE1201ELNS1_3gpuE5ELNS1_3repE0EEENS1_30default_config_static_selectorELNS0_4arch9wavefront6targetE1EEEvT1_ ; -- Begin function _ZN7rocprim17ROCPRIM_400000_NS6detail17trampoline_kernelINS0_14default_configENS1_20scan_config_selectorI11FixedVectorIiLj1EEEEZZNS1_9scan_implILNS1_25lookback_scan_determinismE0ELb0ELb0ES3_N6thrust23THRUST_200600_302600_NS6detail15normal_iteratorINSB_10device_ptrIS6_EEEESG_S6_NSB_4plusIvEES6_EEDaPvRmT3_T4_T5_mT6_P12ihipStream_tbENKUlT_T0_E_clISt17integral_constantIbLb1EESW_EEDaSR_SS_EUlSR_E_NS1_11comp_targetILNS1_3genE10ELNS1_11target_archE1201ELNS1_3gpuE5ELNS1_3repE0EEENS1_30default_config_static_selectorELNS0_4arch9wavefront6targetE1EEEvT1_
	.globl	_ZN7rocprim17ROCPRIM_400000_NS6detail17trampoline_kernelINS0_14default_configENS1_20scan_config_selectorI11FixedVectorIiLj1EEEEZZNS1_9scan_implILNS1_25lookback_scan_determinismE0ELb0ELb0ES3_N6thrust23THRUST_200600_302600_NS6detail15normal_iteratorINSB_10device_ptrIS6_EEEESG_S6_NSB_4plusIvEES6_EEDaPvRmT3_T4_T5_mT6_P12ihipStream_tbENKUlT_T0_E_clISt17integral_constantIbLb1EESW_EEDaSR_SS_EUlSR_E_NS1_11comp_targetILNS1_3genE10ELNS1_11target_archE1201ELNS1_3gpuE5ELNS1_3repE0EEENS1_30default_config_static_selectorELNS0_4arch9wavefront6targetE1EEEvT1_
	.p2align	8
	.type	_ZN7rocprim17ROCPRIM_400000_NS6detail17trampoline_kernelINS0_14default_configENS1_20scan_config_selectorI11FixedVectorIiLj1EEEEZZNS1_9scan_implILNS1_25lookback_scan_determinismE0ELb0ELb0ES3_N6thrust23THRUST_200600_302600_NS6detail15normal_iteratorINSB_10device_ptrIS6_EEEESG_S6_NSB_4plusIvEES6_EEDaPvRmT3_T4_T5_mT6_P12ihipStream_tbENKUlT_T0_E_clISt17integral_constantIbLb1EESW_EEDaSR_SS_EUlSR_E_NS1_11comp_targetILNS1_3genE10ELNS1_11target_archE1201ELNS1_3gpuE5ELNS1_3repE0EEENS1_30default_config_static_selectorELNS0_4arch9wavefront6targetE1EEEvT1_,@function
_ZN7rocprim17ROCPRIM_400000_NS6detail17trampoline_kernelINS0_14default_configENS1_20scan_config_selectorI11FixedVectorIiLj1EEEEZZNS1_9scan_implILNS1_25lookback_scan_determinismE0ELb0ELb0ES3_N6thrust23THRUST_200600_302600_NS6detail15normal_iteratorINSB_10device_ptrIS6_EEEESG_S6_NSB_4plusIvEES6_EEDaPvRmT3_T4_T5_mT6_P12ihipStream_tbENKUlT_T0_E_clISt17integral_constantIbLb1EESW_EEDaSR_SS_EUlSR_E_NS1_11comp_targetILNS1_3genE10ELNS1_11target_archE1201ELNS1_3gpuE5ELNS1_3repE0EEENS1_30default_config_static_selectorELNS0_4arch9wavefront6targetE1EEEvT1_: ; @_ZN7rocprim17ROCPRIM_400000_NS6detail17trampoline_kernelINS0_14default_configENS1_20scan_config_selectorI11FixedVectorIiLj1EEEEZZNS1_9scan_implILNS1_25lookback_scan_determinismE0ELb0ELb0ES3_N6thrust23THRUST_200600_302600_NS6detail15normal_iteratorINSB_10device_ptrIS6_EEEESG_S6_NSB_4plusIvEES6_EEDaPvRmT3_T4_T5_mT6_P12ihipStream_tbENKUlT_T0_E_clISt17integral_constantIbLb1EESW_EEDaSR_SS_EUlSR_E_NS1_11comp_targetILNS1_3genE10ELNS1_11target_archE1201ELNS1_3gpuE5ELNS1_3repE0EEENS1_30default_config_static_selectorELNS0_4arch9wavefront6targetE1EEEvT1_
; %bb.0:
	.section	.rodata,"a",@progbits
	.p2align	6, 0x0
	.amdhsa_kernel _ZN7rocprim17ROCPRIM_400000_NS6detail17trampoline_kernelINS0_14default_configENS1_20scan_config_selectorI11FixedVectorIiLj1EEEEZZNS1_9scan_implILNS1_25lookback_scan_determinismE0ELb0ELb0ES3_N6thrust23THRUST_200600_302600_NS6detail15normal_iteratorINSB_10device_ptrIS6_EEEESG_S6_NSB_4plusIvEES6_EEDaPvRmT3_T4_T5_mT6_P12ihipStream_tbENKUlT_T0_E_clISt17integral_constantIbLb1EESW_EEDaSR_SS_EUlSR_E_NS1_11comp_targetILNS1_3genE10ELNS1_11target_archE1201ELNS1_3gpuE5ELNS1_3repE0EEENS1_30default_config_static_selectorELNS0_4arch9wavefront6targetE1EEEvT1_
		.amdhsa_group_segment_fixed_size 0
		.amdhsa_private_segment_fixed_size 0
		.amdhsa_kernarg_size 96
		.amdhsa_user_sgpr_count 6
		.amdhsa_user_sgpr_private_segment_buffer 1
		.amdhsa_user_sgpr_dispatch_ptr 0
		.amdhsa_user_sgpr_queue_ptr 0
		.amdhsa_user_sgpr_kernarg_segment_ptr 1
		.amdhsa_user_sgpr_dispatch_id 0
		.amdhsa_user_sgpr_flat_scratch_init 0
		.amdhsa_user_sgpr_kernarg_preload_length 0
		.amdhsa_user_sgpr_kernarg_preload_offset 0
		.amdhsa_user_sgpr_private_segment_size 0
		.amdhsa_uses_dynamic_stack 0
		.amdhsa_system_sgpr_private_segment_wavefront_offset 0
		.amdhsa_system_sgpr_workgroup_id_x 1
		.amdhsa_system_sgpr_workgroup_id_y 0
		.amdhsa_system_sgpr_workgroup_id_z 0
		.amdhsa_system_sgpr_workgroup_info 0
		.amdhsa_system_vgpr_workitem_id 0
		.amdhsa_next_free_vgpr 1
		.amdhsa_next_free_sgpr 0
		.amdhsa_accum_offset 4
		.amdhsa_reserve_vcc 0
		.amdhsa_reserve_flat_scratch 0
		.amdhsa_float_round_mode_32 0
		.amdhsa_float_round_mode_16_64 0
		.amdhsa_float_denorm_mode_32 3
		.amdhsa_float_denorm_mode_16_64 3
		.amdhsa_dx10_clamp 1
		.amdhsa_ieee_mode 1
		.amdhsa_fp16_overflow 0
		.amdhsa_tg_split 0
		.amdhsa_exception_fp_ieee_invalid_op 0
		.amdhsa_exception_fp_denorm_src 0
		.amdhsa_exception_fp_ieee_div_zero 0
		.amdhsa_exception_fp_ieee_overflow 0
		.amdhsa_exception_fp_ieee_underflow 0
		.amdhsa_exception_fp_ieee_inexact 0
		.amdhsa_exception_int_div_zero 0
	.end_amdhsa_kernel
	.section	.text._ZN7rocprim17ROCPRIM_400000_NS6detail17trampoline_kernelINS0_14default_configENS1_20scan_config_selectorI11FixedVectorIiLj1EEEEZZNS1_9scan_implILNS1_25lookback_scan_determinismE0ELb0ELb0ES3_N6thrust23THRUST_200600_302600_NS6detail15normal_iteratorINSB_10device_ptrIS6_EEEESG_S6_NSB_4plusIvEES6_EEDaPvRmT3_T4_T5_mT6_P12ihipStream_tbENKUlT_T0_E_clISt17integral_constantIbLb1EESW_EEDaSR_SS_EUlSR_E_NS1_11comp_targetILNS1_3genE10ELNS1_11target_archE1201ELNS1_3gpuE5ELNS1_3repE0EEENS1_30default_config_static_selectorELNS0_4arch9wavefront6targetE1EEEvT1_,"axG",@progbits,_ZN7rocprim17ROCPRIM_400000_NS6detail17trampoline_kernelINS0_14default_configENS1_20scan_config_selectorI11FixedVectorIiLj1EEEEZZNS1_9scan_implILNS1_25lookback_scan_determinismE0ELb0ELb0ES3_N6thrust23THRUST_200600_302600_NS6detail15normal_iteratorINSB_10device_ptrIS6_EEEESG_S6_NSB_4plusIvEES6_EEDaPvRmT3_T4_T5_mT6_P12ihipStream_tbENKUlT_T0_E_clISt17integral_constantIbLb1EESW_EEDaSR_SS_EUlSR_E_NS1_11comp_targetILNS1_3genE10ELNS1_11target_archE1201ELNS1_3gpuE5ELNS1_3repE0EEENS1_30default_config_static_selectorELNS0_4arch9wavefront6targetE1EEEvT1_,comdat
.Lfunc_end6411:
	.size	_ZN7rocprim17ROCPRIM_400000_NS6detail17trampoline_kernelINS0_14default_configENS1_20scan_config_selectorI11FixedVectorIiLj1EEEEZZNS1_9scan_implILNS1_25lookback_scan_determinismE0ELb0ELb0ES3_N6thrust23THRUST_200600_302600_NS6detail15normal_iteratorINSB_10device_ptrIS6_EEEESG_S6_NSB_4plusIvEES6_EEDaPvRmT3_T4_T5_mT6_P12ihipStream_tbENKUlT_T0_E_clISt17integral_constantIbLb1EESW_EEDaSR_SS_EUlSR_E_NS1_11comp_targetILNS1_3genE10ELNS1_11target_archE1201ELNS1_3gpuE5ELNS1_3repE0EEENS1_30default_config_static_selectorELNS0_4arch9wavefront6targetE1EEEvT1_, .Lfunc_end6411-_ZN7rocprim17ROCPRIM_400000_NS6detail17trampoline_kernelINS0_14default_configENS1_20scan_config_selectorI11FixedVectorIiLj1EEEEZZNS1_9scan_implILNS1_25lookback_scan_determinismE0ELb0ELb0ES3_N6thrust23THRUST_200600_302600_NS6detail15normal_iteratorINSB_10device_ptrIS6_EEEESG_S6_NSB_4plusIvEES6_EEDaPvRmT3_T4_T5_mT6_P12ihipStream_tbENKUlT_T0_E_clISt17integral_constantIbLb1EESW_EEDaSR_SS_EUlSR_E_NS1_11comp_targetILNS1_3genE10ELNS1_11target_archE1201ELNS1_3gpuE5ELNS1_3repE0EEENS1_30default_config_static_selectorELNS0_4arch9wavefront6targetE1EEEvT1_
                                        ; -- End function
	.section	.AMDGPU.csdata,"",@progbits
; Kernel info:
; codeLenInByte = 0
; NumSgprs: 4
; NumVgprs: 0
; NumAgprs: 0
; TotalNumVgprs: 0
; ScratchSize: 0
; MemoryBound: 0
; FloatMode: 240
; IeeeMode: 1
; LDSByteSize: 0 bytes/workgroup (compile time only)
; SGPRBlocks: 0
; VGPRBlocks: 0
; NumSGPRsForWavesPerEU: 4
; NumVGPRsForWavesPerEU: 1
; AccumOffset: 4
; Occupancy: 8
; WaveLimiterHint : 0
; COMPUTE_PGM_RSRC2:SCRATCH_EN: 0
; COMPUTE_PGM_RSRC2:USER_SGPR: 6
; COMPUTE_PGM_RSRC2:TRAP_HANDLER: 0
; COMPUTE_PGM_RSRC2:TGID_X_EN: 1
; COMPUTE_PGM_RSRC2:TGID_Y_EN: 0
; COMPUTE_PGM_RSRC2:TGID_Z_EN: 0
; COMPUTE_PGM_RSRC2:TIDIG_COMP_CNT: 0
; COMPUTE_PGM_RSRC3_GFX90A:ACCUM_OFFSET: 0
; COMPUTE_PGM_RSRC3_GFX90A:TG_SPLIT: 0
	.section	.text._ZN7rocprim17ROCPRIM_400000_NS6detail17trampoline_kernelINS0_14default_configENS1_20scan_config_selectorI11FixedVectorIiLj1EEEEZZNS1_9scan_implILNS1_25lookback_scan_determinismE0ELb0ELb0ES3_N6thrust23THRUST_200600_302600_NS6detail15normal_iteratorINSB_10device_ptrIS6_EEEESG_S6_NSB_4plusIvEES6_EEDaPvRmT3_T4_T5_mT6_P12ihipStream_tbENKUlT_T0_E_clISt17integral_constantIbLb1EESW_EEDaSR_SS_EUlSR_E_NS1_11comp_targetILNS1_3genE10ELNS1_11target_archE1200ELNS1_3gpuE4ELNS1_3repE0EEENS1_30default_config_static_selectorELNS0_4arch9wavefront6targetE1EEEvT1_,"axG",@progbits,_ZN7rocprim17ROCPRIM_400000_NS6detail17trampoline_kernelINS0_14default_configENS1_20scan_config_selectorI11FixedVectorIiLj1EEEEZZNS1_9scan_implILNS1_25lookback_scan_determinismE0ELb0ELb0ES3_N6thrust23THRUST_200600_302600_NS6detail15normal_iteratorINSB_10device_ptrIS6_EEEESG_S6_NSB_4plusIvEES6_EEDaPvRmT3_T4_T5_mT6_P12ihipStream_tbENKUlT_T0_E_clISt17integral_constantIbLb1EESW_EEDaSR_SS_EUlSR_E_NS1_11comp_targetILNS1_3genE10ELNS1_11target_archE1200ELNS1_3gpuE4ELNS1_3repE0EEENS1_30default_config_static_selectorELNS0_4arch9wavefront6targetE1EEEvT1_,comdat
	.protected	_ZN7rocprim17ROCPRIM_400000_NS6detail17trampoline_kernelINS0_14default_configENS1_20scan_config_selectorI11FixedVectorIiLj1EEEEZZNS1_9scan_implILNS1_25lookback_scan_determinismE0ELb0ELb0ES3_N6thrust23THRUST_200600_302600_NS6detail15normal_iteratorINSB_10device_ptrIS6_EEEESG_S6_NSB_4plusIvEES6_EEDaPvRmT3_T4_T5_mT6_P12ihipStream_tbENKUlT_T0_E_clISt17integral_constantIbLb1EESW_EEDaSR_SS_EUlSR_E_NS1_11comp_targetILNS1_3genE10ELNS1_11target_archE1200ELNS1_3gpuE4ELNS1_3repE0EEENS1_30default_config_static_selectorELNS0_4arch9wavefront6targetE1EEEvT1_ ; -- Begin function _ZN7rocprim17ROCPRIM_400000_NS6detail17trampoline_kernelINS0_14default_configENS1_20scan_config_selectorI11FixedVectorIiLj1EEEEZZNS1_9scan_implILNS1_25lookback_scan_determinismE0ELb0ELb0ES3_N6thrust23THRUST_200600_302600_NS6detail15normal_iteratorINSB_10device_ptrIS6_EEEESG_S6_NSB_4plusIvEES6_EEDaPvRmT3_T4_T5_mT6_P12ihipStream_tbENKUlT_T0_E_clISt17integral_constantIbLb1EESW_EEDaSR_SS_EUlSR_E_NS1_11comp_targetILNS1_3genE10ELNS1_11target_archE1200ELNS1_3gpuE4ELNS1_3repE0EEENS1_30default_config_static_selectorELNS0_4arch9wavefront6targetE1EEEvT1_
	.globl	_ZN7rocprim17ROCPRIM_400000_NS6detail17trampoline_kernelINS0_14default_configENS1_20scan_config_selectorI11FixedVectorIiLj1EEEEZZNS1_9scan_implILNS1_25lookback_scan_determinismE0ELb0ELb0ES3_N6thrust23THRUST_200600_302600_NS6detail15normal_iteratorINSB_10device_ptrIS6_EEEESG_S6_NSB_4plusIvEES6_EEDaPvRmT3_T4_T5_mT6_P12ihipStream_tbENKUlT_T0_E_clISt17integral_constantIbLb1EESW_EEDaSR_SS_EUlSR_E_NS1_11comp_targetILNS1_3genE10ELNS1_11target_archE1200ELNS1_3gpuE4ELNS1_3repE0EEENS1_30default_config_static_selectorELNS0_4arch9wavefront6targetE1EEEvT1_
	.p2align	8
	.type	_ZN7rocprim17ROCPRIM_400000_NS6detail17trampoline_kernelINS0_14default_configENS1_20scan_config_selectorI11FixedVectorIiLj1EEEEZZNS1_9scan_implILNS1_25lookback_scan_determinismE0ELb0ELb0ES3_N6thrust23THRUST_200600_302600_NS6detail15normal_iteratorINSB_10device_ptrIS6_EEEESG_S6_NSB_4plusIvEES6_EEDaPvRmT3_T4_T5_mT6_P12ihipStream_tbENKUlT_T0_E_clISt17integral_constantIbLb1EESW_EEDaSR_SS_EUlSR_E_NS1_11comp_targetILNS1_3genE10ELNS1_11target_archE1200ELNS1_3gpuE4ELNS1_3repE0EEENS1_30default_config_static_selectorELNS0_4arch9wavefront6targetE1EEEvT1_,@function
_ZN7rocprim17ROCPRIM_400000_NS6detail17trampoline_kernelINS0_14default_configENS1_20scan_config_selectorI11FixedVectorIiLj1EEEEZZNS1_9scan_implILNS1_25lookback_scan_determinismE0ELb0ELb0ES3_N6thrust23THRUST_200600_302600_NS6detail15normal_iteratorINSB_10device_ptrIS6_EEEESG_S6_NSB_4plusIvEES6_EEDaPvRmT3_T4_T5_mT6_P12ihipStream_tbENKUlT_T0_E_clISt17integral_constantIbLb1EESW_EEDaSR_SS_EUlSR_E_NS1_11comp_targetILNS1_3genE10ELNS1_11target_archE1200ELNS1_3gpuE4ELNS1_3repE0EEENS1_30default_config_static_selectorELNS0_4arch9wavefront6targetE1EEEvT1_: ; @_ZN7rocprim17ROCPRIM_400000_NS6detail17trampoline_kernelINS0_14default_configENS1_20scan_config_selectorI11FixedVectorIiLj1EEEEZZNS1_9scan_implILNS1_25lookback_scan_determinismE0ELb0ELb0ES3_N6thrust23THRUST_200600_302600_NS6detail15normal_iteratorINSB_10device_ptrIS6_EEEESG_S6_NSB_4plusIvEES6_EEDaPvRmT3_T4_T5_mT6_P12ihipStream_tbENKUlT_T0_E_clISt17integral_constantIbLb1EESW_EEDaSR_SS_EUlSR_E_NS1_11comp_targetILNS1_3genE10ELNS1_11target_archE1200ELNS1_3gpuE4ELNS1_3repE0EEENS1_30default_config_static_selectorELNS0_4arch9wavefront6targetE1EEEvT1_
; %bb.0:
	.section	.rodata,"a",@progbits
	.p2align	6, 0x0
	.amdhsa_kernel _ZN7rocprim17ROCPRIM_400000_NS6detail17trampoline_kernelINS0_14default_configENS1_20scan_config_selectorI11FixedVectorIiLj1EEEEZZNS1_9scan_implILNS1_25lookback_scan_determinismE0ELb0ELb0ES3_N6thrust23THRUST_200600_302600_NS6detail15normal_iteratorINSB_10device_ptrIS6_EEEESG_S6_NSB_4plusIvEES6_EEDaPvRmT3_T4_T5_mT6_P12ihipStream_tbENKUlT_T0_E_clISt17integral_constantIbLb1EESW_EEDaSR_SS_EUlSR_E_NS1_11comp_targetILNS1_3genE10ELNS1_11target_archE1200ELNS1_3gpuE4ELNS1_3repE0EEENS1_30default_config_static_selectorELNS0_4arch9wavefront6targetE1EEEvT1_
		.amdhsa_group_segment_fixed_size 0
		.amdhsa_private_segment_fixed_size 0
		.amdhsa_kernarg_size 96
		.amdhsa_user_sgpr_count 6
		.amdhsa_user_sgpr_private_segment_buffer 1
		.amdhsa_user_sgpr_dispatch_ptr 0
		.amdhsa_user_sgpr_queue_ptr 0
		.amdhsa_user_sgpr_kernarg_segment_ptr 1
		.amdhsa_user_sgpr_dispatch_id 0
		.amdhsa_user_sgpr_flat_scratch_init 0
		.amdhsa_user_sgpr_kernarg_preload_length 0
		.amdhsa_user_sgpr_kernarg_preload_offset 0
		.amdhsa_user_sgpr_private_segment_size 0
		.amdhsa_uses_dynamic_stack 0
		.amdhsa_system_sgpr_private_segment_wavefront_offset 0
		.amdhsa_system_sgpr_workgroup_id_x 1
		.amdhsa_system_sgpr_workgroup_id_y 0
		.amdhsa_system_sgpr_workgroup_id_z 0
		.amdhsa_system_sgpr_workgroup_info 0
		.amdhsa_system_vgpr_workitem_id 0
		.amdhsa_next_free_vgpr 1
		.amdhsa_next_free_sgpr 0
		.amdhsa_accum_offset 4
		.amdhsa_reserve_vcc 0
		.amdhsa_reserve_flat_scratch 0
		.amdhsa_float_round_mode_32 0
		.amdhsa_float_round_mode_16_64 0
		.amdhsa_float_denorm_mode_32 3
		.amdhsa_float_denorm_mode_16_64 3
		.amdhsa_dx10_clamp 1
		.amdhsa_ieee_mode 1
		.amdhsa_fp16_overflow 0
		.amdhsa_tg_split 0
		.amdhsa_exception_fp_ieee_invalid_op 0
		.amdhsa_exception_fp_denorm_src 0
		.amdhsa_exception_fp_ieee_div_zero 0
		.amdhsa_exception_fp_ieee_overflow 0
		.amdhsa_exception_fp_ieee_underflow 0
		.amdhsa_exception_fp_ieee_inexact 0
		.amdhsa_exception_int_div_zero 0
	.end_amdhsa_kernel
	.section	.text._ZN7rocprim17ROCPRIM_400000_NS6detail17trampoline_kernelINS0_14default_configENS1_20scan_config_selectorI11FixedVectorIiLj1EEEEZZNS1_9scan_implILNS1_25lookback_scan_determinismE0ELb0ELb0ES3_N6thrust23THRUST_200600_302600_NS6detail15normal_iteratorINSB_10device_ptrIS6_EEEESG_S6_NSB_4plusIvEES6_EEDaPvRmT3_T4_T5_mT6_P12ihipStream_tbENKUlT_T0_E_clISt17integral_constantIbLb1EESW_EEDaSR_SS_EUlSR_E_NS1_11comp_targetILNS1_3genE10ELNS1_11target_archE1200ELNS1_3gpuE4ELNS1_3repE0EEENS1_30default_config_static_selectorELNS0_4arch9wavefront6targetE1EEEvT1_,"axG",@progbits,_ZN7rocprim17ROCPRIM_400000_NS6detail17trampoline_kernelINS0_14default_configENS1_20scan_config_selectorI11FixedVectorIiLj1EEEEZZNS1_9scan_implILNS1_25lookback_scan_determinismE0ELb0ELb0ES3_N6thrust23THRUST_200600_302600_NS6detail15normal_iteratorINSB_10device_ptrIS6_EEEESG_S6_NSB_4plusIvEES6_EEDaPvRmT3_T4_T5_mT6_P12ihipStream_tbENKUlT_T0_E_clISt17integral_constantIbLb1EESW_EEDaSR_SS_EUlSR_E_NS1_11comp_targetILNS1_3genE10ELNS1_11target_archE1200ELNS1_3gpuE4ELNS1_3repE0EEENS1_30default_config_static_selectorELNS0_4arch9wavefront6targetE1EEEvT1_,comdat
.Lfunc_end6412:
	.size	_ZN7rocprim17ROCPRIM_400000_NS6detail17trampoline_kernelINS0_14default_configENS1_20scan_config_selectorI11FixedVectorIiLj1EEEEZZNS1_9scan_implILNS1_25lookback_scan_determinismE0ELb0ELb0ES3_N6thrust23THRUST_200600_302600_NS6detail15normal_iteratorINSB_10device_ptrIS6_EEEESG_S6_NSB_4plusIvEES6_EEDaPvRmT3_T4_T5_mT6_P12ihipStream_tbENKUlT_T0_E_clISt17integral_constantIbLb1EESW_EEDaSR_SS_EUlSR_E_NS1_11comp_targetILNS1_3genE10ELNS1_11target_archE1200ELNS1_3gpuE4ELNS1_3repE0EEENS1_30default_config_static_selectorELNS0_4arch9wavefront6targetE1EEEvT1_, .Lfunc_end6412-_ZN7rocprim17ROCPRIM_400000_NS6detail17trampoline_kernelINS0_14default_configENS1_20scan_config_selectorI11FixedVectorIiLj1EEEEZZNS1_9scan_implILNS1_25lookback_scan_determinismE0ELb0ELb0ES3_N6thrust23THRUST_200600_302600_NS6detail15normal_iteratorINSB_10device_ptrIS6_EEEESG_S6_NSB_4plusIvEES6_EEDaPvRmT3_T4_T5_mT6_P12ihipStream_tbENKUlT_T0_E_clISt17integral_constantIbLb1EESW_EEDaSR_SS_EUlSR_E_NS1_11comp_targetILNS1_3genE10ELNS1_11target_archE1200ELNS1_3gpuE4ELNS1_3repE0EEENS1_30default_config_static_selectorELNS0_4arch9wavefront6targetE1EEEvT1_
                                        ; -- End function
	.section	.AMDGPU.csdata,"",@progbits
; Kernel info:
; codeLenInByte = 0
; NumSgprs: 4
; NumVgprs: 0
; NumAgprs: 0
; TotalNumVgprs: 0
; ScratchSize: 0
; MemoryBound: 0
; FloatMode: 240
; IeeeMode: 1
; LDSByteSize: 0 bytes/workgroup (compile time only)
; SGPRBlocks: 0
; VGPRBlocks: 0
; NumSGPRsForWavesPerEU: 4
; NumVGPRsForWavesPerEU: 1
; AccumOffset: 4
; Occupancy: 8
; WaveLimiterHint : 0
; COMPUTE_PGM_RSRC2:SCRATCH_EN: 0
; COMPUTE_PGM_RSRC2:USER_SGPR: 6
; COMPUTE_PGM_RSRC2:TRAP_HANDLER: 0
; COMPUTE_PGM_RSRC2:TGID_X_EN: 1
; COMPUTE_PGM_RSRC2:TGID_Y_EN: 0
; COMPUTE_PGM_RSRC2:TGID_Z_EN: 0
; COMPUTE_PGM_RSRC2:TIDIG_COMP_CNT: 0
; COMPUTE_PGM_RSRC3_GFX90A:ACCUM_OFFSET: 0
; COMPUTE_PGM_RSRC3_GFX90A:TG_SPLIT: 0
	.section	.text._ZN7rocprim17ROCPRIM_400000_NS6detail17trampoline_kernelINS0_14default_configENS1_20scan_config_selectorI11FixedVectorIiLj1EEEEZZNS1_9scan_implILNS1_25lookback_scan_determinismE0ELb0ELb0ES3_N6thrust23THRUST_200600_302600_NS6detail15normal_iteratorINSB_10device_ptrIS6_EEEESG_S6_NSB_4plusIvEES6_EEDaPvRmT3_T4_T5_mT6_P12ihipStream_tbENKUlT_T0_E_clISt17integral_constantIbLb1EESW_EEDaSR_SS_EUlSR_E_NS1_11comp_targetILNS1_3genE9ELNS1_11target_archE1100ELNS1_3gpuE3ELNS1_3repE0EEENS1_30default_config_static_selectorELNS0_4arch9wavefront6targetE1EEEvT1_,"axG",@progbits,_ZN7rocprim17ROCPRIM_400000_NS6detail17trampoline_kernelINS0_14default_configENS1_20scan_config_selectorI11FixedVectorIiLj1EEEEZZNS1_9scan_implILNS1_25lookback_scan_determinismE0ELb0ELb0ES3_N6thrust23THRUST_200600_302600_NS6detail15normal_iteratorINSB_10device_ptrIS6_EEEESG_S6_NSB_4plusIvEES6_EEDaPvRmT3_T4_T5_mT6_P12ihipStream_tbENKUlT_T0_E_clISt17integral_constantIbLb1EESW_EEDaSR_SS_EUlSR_E_NS1_11comp_targetILNS1_3genE9ELNS1_11target_archE1100ELNS1_3gpuE3ELNS1_3repE0EEENS1_30default_config_static_selectorELNS0_4arch9wavefront6targetE1EEEvT1_,comdat
	.protected	_ZN7rocprim17ROCPRIM_400000_NS6detail17trampoline_kernelINS0_14default_configENS1_20scan_config_selectorI11FixedVectorIiLj1EEEEZZNS1_9scan_implILNS1_25lookback_scan_determinismE0ELb0ELb0ES3_N6thrust23THRUST_200600_302600_NS6detail15normal_iteratorINSB_10device_ptrIS6_EEEESG_S6_NSB_4plusIvEES6_EEDaPvRmT3_T4_T5_mT6_P12ihipStream_tbENKUlT_T0_E_clISt17integral_constantIbLb1EESW_EEDaSR_SS_EUlSR_E_NS1_11comp_targetILNS1_3genE9ELNS1_11target_archE1100ELNS1_3gpuE3ELNS1_3repE0EEENS1_30default_config_static_selectorELNS0_4arch9wavefront6targetE1EEEvT1_ ; -- Begin function _ZN7rocprim17ROCPRIM_400000_NS6detail17trampoline_kernelINS0_14default_configENS1_20scan_config_selectorI11FixedVectorIiLj1EEEEZZNS1_9scan_implILNS1_25lookback_scan_determinismE0ELb0ELb0ES3_N6thrust23THRUST_200600_302600_NS6detail15normal_iteratorINSB_10device_ptrIS6_EEEESG_S6_NSB_4plusIvEES6_EEDaPvRmT3_T4_T5_mT6_P12ihipStream_tbENKUlT_T0_E_clISt17integral_constantIbLb1EESW_EEDaSR_SS_EUlSR_E_NS1_11comp_targetILNS1_3genE9ELNS1_11target_archE1100ELNS1_3gpuE3ELNS1_3repE0EEENS1_30default_config_static_selectorELNS0_4arch9wavefront6targetE1EEEvT1_
	.globl	_ZN7rocprim17ROCPRIM_400000_NS6detail17trampoline_kernelINS0_14default_configENS1_20scan_config_selectorI11FixedVectorIiLj1EEEEZZNS1_9scan_implILNS1_25lookback_scan_determinismE0ELb0ELb0ES3_N6thrust23THRUST_200600_302600_NS6detail15normal_iteratorINSB_10device_ptrIS6_EEEESG_S6_NSB_4plusIvEES6_EEDaPvRmT3_T4_T5_mT6_P12ihipStream_tbENKUlT_T0_E_clISt17integral_constantIbLb1EESW_EEDaSR_SS_EUlSR_E_NS1_11comp_targetILNS1_3genE9ELNS1_11target_archE1100ELNS1_3gpuE3ELNS1_3repE0EEENS1_30default_config_static_selectorELNS0_4arch9wavefront6targetE1EEEvT1_
	.p2align	8
	.type	_ZN7rocprim17ROCPRIM_400000_NS6detail17trampoline_kernelINS0_14default_configENS1_20scan_config_selectorI11FixedVectorIiLj1EEEEZZNS1_9scan_implILNS1_25lookback_scan_determinismE0ELb0ELb0ES3_N6thrust23THRUST_200600_302600_NS6detail15normal_iteratorINSB_10device_ptrIS6_EEEESG_S6_NSB_4plusIvEES6_EEDaPvRmT3_T4_T5_mT6_P12ihipStream_tbENKUlT_T0_E_clISt17integral_constantIbLb1EESW_EEDaSR_SS_EUlSR_E_NS1_11comp_targetILNS1_3genE9ELNS1_11target_archE1100ELNS1_3gpuE3ELNS1_3repE0EEENS1_30default_config_static_selectorELNS0_4arch9wavefront6targetE1EEEvT1_,@function
_ZN7rocprim17ROCPRIM_400000_NS6detail17trampoline_kernelINS0_14default_configENS1_20scan_config_selectorI11FixedVectorIiLj1EEEEZZNS1_9scan_implILNS1_25lookback_scan_determinismE0ELb0ELb0ES3_N6thrust23THRUST_200600_302600_NS6detail15normal_iteratorINSB_10device_ptrIS6_EEEESG_S6_NSB_4plusIvEES6_EEDaPvRmT3_T4_T5_mT6_P12ihipStream_tbENKUlT_T0_E_clISt17integral_constantIbLb1EESW_EEDaSR_SS_EUlSR_E_NS1_11comp_targetILNS1_3genE9ELNS1_11target_archE1100ELNS1_3gpuE3ELNS1_3repE0EEENS1_30default_config_static_selectorELNS0_4arch9wavefront6targetE1EEEvT1_: ; @_ZN7rocprim17ROCPRIM_400000_NS6detail17trampoline_kernelINS0_14default_configENS1_20scan_config_selectorI11FixedVectorIiLj1EEEEZZNS1_9scan_implILNS1_25lookback_scan_determinismE0ELb0ELb0ES3_N6thrust23THRUST_200600_302600_NS6detail15normal_iteratorINSB_10device_ptrIS6_EEEESG_S6_NSB_4plusIvEES6_EEDaPvRmT3_T4_T5_mT6_P12ihipStream_tbENKUlT_T0_E_clISt17integral_constantIbLb1EESW_EEDaSR_SS_EUlSR_E_NS1_11comp_targetILNS1_3genE9ELNS1_11target_archE1100ELNS1_3gpuE3ELNS1_3repE0EEENS1_30default_config_static_selectorELNS0_4arch9wavefront6targetE1EEEvT1_
; %bb.0:
	.section	.rodata,"a",@progbits
	.p2align	6, 0x0
	.amdhsa_kernel _ZN7rocprim17ROCPRIM_400000_NS6detail17trampoline_kernelINS0_14default_configENS1_20scan_config_selectorI11FixedVectorIiLj1EEEEZZNS1_9scan_implILNS1_25lookback_scan_determinismE0ELb0ELb0ES3_N6thrust23THRUST_200600_302600_NS6detail15normal_iteratorINSB_10device_ptrIS6_EEEESG_S6_NSB_4plusIvEES6_EEDaPvRmT3_T4_T5_mT6_P12ihipStream_tbENKUlT_T0_E_clISt17integral_constantIbLb1EESW_EEDaSR_SS_EUlSR_E_NS1_11comp_targetILNS1_3genE9ELNS1_11target_archE1100ELNS1_3gpuE3ELNS1_3repE0EEENS1_30default_config_static_selectorELNS0_4arch9wavefront6targetE1EEEvT1_
		.amdhsa_group_segment_fixed_size 0
		.amdhsa_private_segment_fixed_size 0
		.amdhsa_kernarg_size 96
		.amdhsa_user_sgpr_count 6
		.amdhsa_user_sgpr_private_segment_buffer 1
		.amdhsa_user_sgpr_dispatch_ptr 0
		.amdhsa_user_sgpr_queue_ptr 0
		.amdhsa_user_sgpr_kernarg_segment_ptr 1
		.amdhsa_user_sgpr_dispatch_id 0
		.amdhsa_user_sgpr_flat_scratch_init 0
		.amdhsa_user_sgpr_kernarg_preload_length 0
		.amdhsa_user_sgpr_kernarg_preload_offset 0
		.amdhsa_user_sgpr_private_segment_size 0
		.amdhsa_uses_dynamic_stack 0
		.amdhsa_system_sgpr_private_segment_wavefront_offset 0
		.amdhsa_system_sgpr_workgroup_id_x 1
		.amdhsa_system_sgpr_workgroup_id_y 0
		.amdhsa_system_sgpr_workgroup_id_z 0
		.amdhsa_system_sgpr_workgroup_info 0
		.amdhsa_system_vgpr_workitem_id 0
		.amdhsa_next_free_vgpr 1
		.amdhsa_next_free_sgpr 0
		.amdhsa_accum_offset 4
		.amdhsa_reserve_vcc 0
		.amdhsa_reserve_flat_scratch 0
		.amdhsa_float_round_mode_32 0
		.amdhsa_float_round_mode_16_64 0
		.amdhsa_float_denorm_mode_32 3
		.amdhsa_float_denorm_mode_16_64 3
		.amdhsa_dx10_clamp 1
		.amdhsa_ieee_mode 1
		.amdhsa_fp16_overflow 0
		.amdhsa_tg_split 0
		.amdhsa_exception_fp_ieee_invalid_op 0
		.amdhsa_exception_fp_denorm_src 0
		.amdhsa_exception_fp_ieee_div_zero 0
		.amdhsa_exception_fp_ieee_overflow 0
		.amdhsa_exception_fp_ieee_underflow 0
		.amdhsa_exception_fp_ieee_inexact 0
		.amdhsa_exception_int_div_zero 0
	.end_amdhsa_kernel
	.section	.text._ZN7rocprim17ROCPRIM_400000_NS6detail17trampoline_kernelINS0_14default_configENS1_20scan_config_selectorI11FixedVectorIiLj1EEEEZZNS1_9scan_implILNS1_25lookback_scan_determinismE0ELb0ELb0ES3_N6thrust23THRUST_200600_302600_NS6detail15normal_iteratorINSB_10device_ptrIS6_EEEESG_S6_NSB_4plusIvEES6_EEDaPvRmT3_T4_T5_mT6_P12ihipStream_tbENKUlT_T0_E_clISt17integral_constantIbLb1EESW_EEDaSR_SS_EUlSR_E_NS1_11comp_targetILNS1_3genE9ELNS1_11target_archE1100ELNS1_3gpuE3ELNS1_3repE0EEENS1_30default_config_static_selectorELNS0_4arch9wavefront6targetE1EEEvT1_,"axG",@progbits,_ZN7rocprim17ROCPRIM_400000_NS6detail17trampoline_kernelINS0_14default_configENS1_20scan_config_selectorI11FixedVectorIiLj1EEEEZZNS1_9scan_implILNS1_25lookback_scan_determinismE0ELb0ELb0ES3_N6thrust23THRUST_200600_302600_NS6detail15normal_iteratorINSB_10device_ptrIS6_EEEESG_S6_NSB_4plusIvEES6_EEDaPvRmT3_T4_T5_mT6_P12ihipStream_tbENKUlT_T0_E_clISt17integral_constantIbLb1EESW_EEDaSR_SS_EUlSR_E_NS1_11comp_targetILNS1_3genE9ELNS1_11target_archE1100ELNS1_3gpuE3ELNS1_3repE0EEENS1_30default_config_static_selectorELNS0_4arch9wavefront6targetE1EEEvT1_,comdat
.Lfunc_end6413:
	.size	_ZN7rocprim17ROCPRIM_400000_NS6detail17trampoline_kernelINS0_14default_configENS1_20scan_config_selectorI11FixedVectorIiLj1EEEEZZNS1_9scan_implILNS1_25lookback_scan_determinismE0ELb0ELb0ES3_N6thrust23THRUST_200600_302600_NS6detail15normal_iteratorINSB_10device_ptrIS6_EEEESG_S6_NSB_4plusIvEES6_EEDaPvRmT3_T4_T5_mT6_P12ihipStream_tbENKUlT_T0_E_clISt17integral_constantIbLb1EESW_EEDaSR_SS_EUlSR_E_NS1_11comp_targetILNS1_3genE9ELNS1_11target_archE1100ELNS1_3gpuE3ELNS1_3repE0EEENS1_30default_config_static_selectorELNS0_4arch9wavefront6targetE1EEEvT1_, .Lfunc_end6413-_ZN7rocprim17ROCPRIM_400000_NS6detail17trampoline_kernelINS0_14default_configENS1_20scan_config_selectorI11FixedVectorIiLj1EEEEZZNS1_9scan_implILNS1_25lookback_scan_determinismE0ELb0ELb0ES3_N6thrust23THRUST_200600_302600_NS6detail15normal_iteratorINSB_10device_ptrIS6_EEEESG_S6_NSB_4plusIvEES6_EEDaPvRmT3_T4_T5_mT6_P12ihipStream_tbENKUlT_T0_E_clISt17integral_constantIbLb1EESW_EEDaSR_SS_EUlSR_E_NS1_11comp_targetILNS1_3genE9ELNS1_11target_archE1100ELNS1_3gpuE3ELNS1_3repE0EEENS1_30default_config_static_selectorELNS0_4arch9wavefront6targetE1EEEvT1_
                                        ; -- End function
	.section	.AMDGPU.csdata,"",@progbits
; Kernel info:
; codeLenInByte = 0
; NumSgprs: 4
; NumVgprs: 0
; NumAgprs: 0
; TotalNumVgprs: 0
; ScratchSize: 0
; MemoryBound: 0
; FloatMode: 240
; IeeeMode: 1
; LDSByteSize: 0 bytes/workgroup (compile time only)
; SGPRBlocks: 0
; VGPRBlocks: 0
; NumSGPRsForWavesPerEU: 4
; NumVGPRsForWavesPerEU: 1
; AccumOffset: 4
; Occupancy: 8
; WaveLimiterHint : 0
; COMPUTE_PGM_RSRC2:SCRATCH_EN: 0
; COMPUTE_PGM_RSRC2:USER_SGPR: 6
; COMPUTE_PGM_RSRC2:TRAP_HANDLER: 0
; COMPUTE_PGM_RSRC2:TGID_X_EN: 1
; COMPUTE_PGM_RSRC2:TGID_Y_EN: 0
; COMPUTE_PGM_RSRC2:TGID_Z_EN: 0
; COMPUTE_PGM_RSRC2:TIDIG_COMP_CNT: 0
; COMPUTE_PGM_RSRC3_GFX90A:ACCUM_OFFSET: 0
; COMPUTE_PGM_RSRC3_GFX90A:TG_SPLIT: 0
	.section	.text._ZN7rocprim17ROCPRIM_400000_NS6detail17trampoline_kernelINS0_14default_configENS1_20scan_config_selectorI11FixedVectorIiLj1EEEEZZNS1_9scan_implILNS1_25lookback_scan_determinismE0ELb0ELb0ES3_N6thrust23THRUST_200600_302600_NS6detail15normal_iteratorINSB_10device_ptrIS6_EEEESG_S6_NSB_4plusIvEES6_EEDaPvRmT3_T4_T5_mT6_P12ihipStream_tbENKUlT_T0_E_clISt17integral_constantIbLb1EESW_EEDaSR_SS_EUlSR_E_NS1_11comp_targetILNS1_3genE8ELNS1_11target_archE1030ELNS1_3gpuE2ELNS1_3repE0EEENS1_30default_config_static_selectorELNS0_4arch9wavefront6targetE1EEEvT1_,"axG",@progbits,_ZN7rocprim17ROCPRIM_400000_NS6detail17trampoline_kernelINS0_14default_configENS1_20scan_config_selectorI11FixedVectorIiLj1EEEEZZNS1_9scan_implILNS1_25lookback_scan_determinismE0ELb0ELb0ES3_N6thrust23THRUST_200600_302600_NS6detail15normal_iteratorINSB_10device_ptrIS6_EEEESG_S6_NSB_4plusIvEES6_EEDaPvRmT3_T4_T5_mT6_P12ihipStream_tbENKUlT_T0_E_clISt17integral_constantIbLb1EESW_EEDaSR_SS_EUlSR_E_NS1_11comp_targetILNS1_3genE8ELNS1_11target_archE1030ELNS1_3gpuE2ELNS1_3repE0EEENS1_30default_config_static_selectorELNS0_4arch9wavefront6targetE1EEEvT1_,comdat
	.protected	_ZN7rocprim17ROCPRIM_400000_NS6detail17trampoline_kernelINS0_14default_configENS1_20scan_config_selectorI11FixedVectorIiLj1EEEEZZNS1_9scan_implILNS1_25lookback_scan_determinismE0ELb0ELb0ES3_N6thrust23THRUST_200600_302600_NS6detail15normal_iteratorINSB_10device_ptrIS6_EEEESG_S6_NSB_4plusIvEES6_EEDaPvRmT3_T4_T5_mT6_P12ihipStream_tbENKUlT_T0_E_clISt17integral_constantIbLb1EESW_EEDaSR_SS_EUlSR_E_NS1_11comp_targetILNS1_3genE8ELNS1_11target_archE1030ELNS1_3gpuE2ELNS1_3repE0EEENS1_30default_config_static_selectorELNS0_4arch9wavefront6targetE1EEEvT1_ ; -- Begin function _ZN7rocprim17ROCPRIM_400000_NS6detail17trampoline_kernelINS0_14default_configENS1_20scan_config_selectorI11FixedVectorIiLj1EEEEZZNS1_9scan_implILNS1_25lookback_scan_determinismE0ELb0ELb0ES3_N6thrust23THRUST_200600_302600_NS6detail15normal_iteratorINSB_10device_ptrIS6_EEEESG_S6_NSB_4plusIvEES6_EEDaPvRmT3_T4_T5_mT6_P12ihipStream_tbENKUlT_T0_E_clISt17integral_constantIbLb1EESW_EEDaSR_SS_EUlSR_E_NS1_11comp_targetILNS1_3genE8ELNS1_11target_archE1030ELNS1_3gpuE2ELNS1_3repE0EEENS1_30default_config_static_selectorELNS0_4arch9wavefront6targetE1EEEvT1_
	.globl	_ZN7rocprim17ROCPRIM_400000_NS6detail17trampoline_kernelINS0_14default_configENS1_20scan_config_selectorI11FixedVectorIiLj1EEEEZZNS1_9scan_implILNS1_25lookback_scan_determinismE0ELb0ELb0ES3_N6thrust23THRUST_200600_302600_NS6detail15normal_iteratorINSB_10device_ptrIS6_EEEESG_S6_NSB_4plusIvEES6_EEDaPvRmT3_T4_T5_mT6_P12ihipStream_tbENKUlT_T0_E_clISt17integral_constantIbLb1EESW_EEDaSR_SS_EUlSR_E_NS1_11comp_targetILNS1_3genE8ELNS1_11target_archE1030ELNS1_3gpuE2ELNS1_3repE0EEENS1_30default_config_static_selectorELNS0_4arch9wavefront6targetE1EEEvT1_
	.p2align	8
	.type	_ZN7rocprim17ROCPRIM_400000_NS6detail17trampoline_kernelINS0_14default_configENS1_20scan_config_selectorI11FixedVectorIiLj1EEEEZZNS1_9scan_implILNS1_25lookback_scan_determinismE0ELb0ELb0ES3_N6thrust23THRUST_200600_302600_NS6detail15normal_iteratorINSB_10device_ptrIS6_EEEESG_S6_NSB_4plusIvEES6_EEDaPvRmT3_T4_T5_mT6_P12ihipStream_tbENKUlT_T0_E_clISt17integral_constantIbLb1EESW_EEDaSR_SS_EUlSR_E_NS1_11comp_targetILNS1_3genE8ELNS1_11target_archE1030ELNS1_3gpuE2ELNS1_3repE0EEENS1_30default_config_static_selectorELNS0_4arch9wavefront6targetE1EEEvT1_,@function
_ZN7rocprim17ROCPRIM_400000_NS6detail17trampoline_kernelINS0_14default_configENS1_20scan_config_selectorI11FixedVectorIiLj1EEEEZZNS1_9scan_implILNS1_25lookback_scan_determinismE0ELb0ELb0ES3_N6thrust23THRUST_200600_302600_NS6detail15normal_iteratorINSB_10device_ptrIS6_EEEESG_S6_NSB_4plusIvEES6_EEDaPvRmT3_T4_T5_mT6_P12ihipStream_tbENKUlT_T0_E_clISt17integral_constantIbLb1EESW_EEDaSR_SS_EUlSR_E_NS1_11comp_targetILNS1_3genE8ELNS1_11target_archE1030ELNS1_3gpuE2ELNS1_3repE0EEENS1_30default_config_static_selectorELNS0_4arch9wavefront6targetE1EEEvT1_: ; @_ZN7rocprim17ROCPRIM_400000_NS6detail17trampoline_kernelINS0_14default_configENS1_20scan_config_selectorI11FixedVectorIiLj1EEEEZZNS1_9scan_implILNS1_25lookback_scan_determinismE0ELb0ELb0ES3_N6thrust23THRUST_200600_302600_NS6detail15normal_iteratorINSB_10device_ptrIS6_EEEESG_S6_NSB_4plusIvEES6_EEDaPvRmT3_T4_T5_mT6_P12ihipStream_tbENKUlT_T0_E_clISt17integral_constantIbLb1EESW_EEDaSR_SS_EUlSR_E_NS1_11comp_targetILNS1_3genE8ELNS1_11target_archE1030ELNS1_3gpuE2ELNS1_3repE0EEENS1_30default_config_static_selectorELNS0_4arch9wavefront6targetE1EEEvT1_
; %bb.0:
	.section	.rodata,"a",@progbits
	.p2align	6, 0x0
	.amdhsa_kernel _ZN7rocprim17ROCPRIM_400000_NS6detail17trampoline_kernelINS0_14default_configENS1_20scan_config_selectorI11FixedVectorIiLj1EEEEZZNS1_9scan_implILNS1_25lookback_scan_determinismE0ELb0ELb0ES3_N6thrust23THRUST_200600_302600_NS6detail15normal_iteratorINSB_10device_ptrIS6_EEEESG_S6_NSB_4plusIvEES6_EEDaPvRmT3_T4_T5_mT6_P12ihipStream_tbENKUlT_T0_E_clISt17integral_constantIbLb1EESW_EEDaSR_SS_EUlSR_E_NS1_11comp_targetILNS1_3genE8ELNS1_11target_archE1030ELNS1_3gpuE2ELNS1_3repE0EEENS1_30default_config_static_selectorELNS0_4arch9wavefront6targetE1EEEvT1_
		.amdhsa_group_segment_fixed_size 0
		.amdhsa_private_segment_fixed_size 0
		.amdhsa_kernarg_size 96
		.amdhsa_user_sgpr_count 6
		.amdhsa_user_sgpr_private_segment_buffer 1
		.amdhsa_user_sgpr_dispatch_ptr 0
		.amdhsa_user_sgpr_queue_ptr 0
		.amdhsa_user_sgpr_kernarg_segment_ptr 1
		.amdhsa_user_sgpr_dispatch_id 0
		.amdhsa_user_sgpr_flat_scratch_init 0
		.amdhsa_user_sgpr_kernarg_preload_length 0
		.amdhsa_user_sgpr_kernarg_preload_offset 0
		.amdhsa_user_sgpr_private_segment_size 0
		.amdhsa_uses_dynamic_stack 0
		.amdhsa_system_sgpr_private_segment_wavefront_offset 0
		.amdhsa_system_sgpr_workgroup_id_x 1
		.amdhsa_system_sgpr_workgroup_id_y 0
		.amdhsa_system_sgpr_workgroup_id_z 0
		.amdhsa_system_sgpr_workgroup_info 0
		.amdhsa_system_vgpr_workitem_id 0
		.amdhsa_next_free_vgpr 1
		.amdhsa_next_free_sgpr 0
		.amdhsa_accum_offset 4
		.amdhsa_reserve_vcc 0
		.amdhsa_reserve_flat_scratch 0
		.amdhsa_float_round_mode_32 0
		.amdhsa_float_round_mode_16_64 0
		.amdhsa_float_denorm_mode_32 3
		.amdhsa_float_denorm_mode_16_64 3
		.amdhsa_dx10_clamp 1
		.amdhsa_ieee_mode 1
		.amdhsa_fp16_overflow 0
		.amdhsa_tg_split 0
		.amdhsa_exception_fp_ieee_invalid_op 0
		.amdhsa_exception_fp_denorm_src 0
		.amdhsa_exception_fp_ieee_div_zero 0
		.amdhsa_exception_fp_ieee_overflow 0
		.amdhsa_exception_fp_ieee_underflow 0
		.amdhsa_exception_fp_ieee_inexact 0
		.amdhsa_exception_int_div_zero 0
	.end_amdhsa_kernel
	.section	.text._ZN7rocprim17ROCPRIM_400000_NS6detail17trampoline_kernelINS0_14default_configENS1_20scan_config_selectorI11FixedVectorIiLj1EEEEZZNS1_9scan_implILNS1_25lookback_scan_determinismE0ELb0ELb0ES3_N6thrust23THRUST_200600_302600_NS6detail15normal_iteratorINSB_10device_ptrIS6_EEEESG_S6_NSB_4plusIvEES6_EEDaPvRmT3_T4_T5_mT6_P12ihipStream_tbENKUlT_T0_E_clISt17integral_constantIbLb1EESW_EEDaSR_SS_EUlSR_E_NS1_11comp_targetILNS1_3genE8ELNS1_11target_archE1030ELNS1_3gpuE2ELNS1_3repE0EEENS1_30default_config_static_selectorELNS0_4arch9wavefront6targetE1EEEvT1_,"axG",@progbits,_ZN7rocprim17ROCPRIM_400000_NS6detail17trampoline_kernelINS0_14default_configENS1_20scan_config_selectorI11FixedVectorIiLj1EEEEZZNS1_9scan_implILNS1_25lookback_scan_determinismE0ELb0ELb0ES3_N6thrust23THRUST_200600_302600_NS6detail15normal_iteratorINSB_10device_ptrIS6_EEEESG_S6_NSB_4plusIvEES6_EEDaPvRmT3_T4_T5_mT6_P12ihipStream_tbENKUlT_T0_E_clISt17integral_constantIbLb1EESW_EEDaSR_SS_EUlSR_E_NS1_11comp_targetILNS1_3genE8ELNS1_11target_archE1030ELNS1_3gpuE2ELNS1_3repE0EEENS1_30default_config_static_selectorELNS0_4arch9wavefront6targetE1EEEvT1_,comdat
.Lfunc_end6414:
	.size	_ZN7rocprim17ROCPRIM_400000_NS6detail17trampoline_kernelINS0_14default_configENS1_20scan_config_selectorI11FixedVectorIiLj1EEEEZZNS1_9scan_implILNS1_25lookback_scan_determinismE0ELb0ELb0ES3_N6thrust23THRUST_200600_302600_NS6detail15normal_iteratorINSB_10device_ptrIS6_EEEESG_S6_NSB_4plusIvEES6_EEDaPvRmT3_T4_T5_mT6_P12ihipStream_tbENKUlT_T0_E_clISt17integral_constantIbLb1EESW_EEDaSR_SS_EUlSR_E_NS1_11comp_targetILNS1_3genE8ELNS1_11target_archE1030ELNS1_3gpuE2ELNS1_3repE0EEENS1_30default_config_static_selectorELNS0_4arch9wavefront6targetE1EEEvT1_, .Lfunc_end6414-_ZN7rocprim17ROCPRIM_400000_NS6detail17trampoline_kernelINS0_14default_configENS1_20scan_config_selectorI11FixedVectorIiLj1EEEEZZNS1_9scan_implILNS1_25lookback_scan_determinismE0ELb0ELb0ES3_N6thrust23THRUST_200600_302600_NS6detail15normal_iteratorINSB_10device_ptrIS6_EEEESG_S6_NSB_4plusIvEES6_EEDaPvRmT3_T4_T5_mT6_P12ihipStream_tbENKUlT_T0_E_clISt17integral_constantIbLb1EESW_EEDaSR_SS_EUlSR_E_NS1_11comp_targetILNS1_3genE8ELNS1_11target_archE1030ELNS1_3gpuE2ELNS1_3repE0EEENS1_30default_config_static_selectorELNS0_4arch9wavefront6targetE1EEEvT1_
                                        ; -- End function
	.section	.AMDGPU.csdata,"",@progbits
; Kernel info:
; codeLenInByte = 0
; NumSgprs: 4
; NumVgprs: 0
; NumAgprs: 0
; TotalNumVgprs: 0
; ScratchSize: 0
; MemoryBound: 0
; FloatMode: 240
; IeeeMode: 1
; LDSByteSize: 0 bytes/workgroup (compile time only)
; SGPRBlocks: 0
; VGPRBlocks: 0
; NumSGPRsForWavesPerEU: 4
; NumVGPRsForWavesPerEU: 1
; AccumOffset: 4
; Occupancy: 8
; WaveLimiterHint : 0
; COMPUTE_PGM_RSRC2:SCRATCH_EN: 0
; COMPUTE_PGM_RSRC2:USER_SGPR: 6
; COMPUTE_PGM_RSRC2:TRAP_HANDLER: 0
; COMPUTE_PGM_RSRC2:TGID_X_EN: 1
; COMPUTE_PGM_RSRC2:TGID_Y_EN: 0
; COMPUTE_PGM_RSRC2:TGID_Z_EN: 0
; COMPUTE_PGM_RSRC2:TIDIG_COMP_CNT: 0
; COMPUTE_PGM_RSRC3_GFX90A:ACCUM_OFFSET: 0
; COMPUTE_PGM_RSRC3_GFX90A:TG_SPLIT: 0
	.section	.text._ZN7rocprim17ROCPRIM_400000_NS6detail17trampoline_kernelINS0_14default_configENS1_20scan_config_selectorI11FixedVectorIiLj1EEEEZZNS1_9scan_implILNS1_25lookback_scan_determinismE0ELb0ELb0ES3_N6thrust23THRUST_200600_302600_NS6detail15normal_iteratorINSB_10device_ptrIS6_EEEESG_S6_NSB_4plusIvEES6_EEDaPvRmT3_T4_T5_mT6_P12ihipStream_tbENKUlT_T0_E_clISt17integral_constantIbLb1EESW_EEDaSR_SS_EUlSR_E0_NS1_11comp_targetILNS1_3genE0ELNS1_11target_archE4294967295ELNS1_3gpuE0ELNS1_3repE0EEENS1_30default_config_static_selectorELNS0_4arch9wavefront6targetE1EEEvT1_,"axG",@progbits,_ZN7rocprim17ROCPRIM_400000_NS6detail17trampoline_kernelINS0_14default_configENS1_20scan_config_selectorI11FixedVectorIiLj1EEEEZZNS1_9scan_implILNS1_25lookback_scan_determinismE0ELb0ELb0ES3_N6thrust23THRUST_200600_302600_NS6detail15normal_iteratorINSB_10device_ptrIS6_EEEESG_S6_NSB_4plusIvEES6_EEDaPvRmT3_T4_T5_mT6_P12ihipStream_tbENKUlT_T0_E_clISt17integral_constantIbLb1EESW_EEDaSR_SS_EUlSR_E0_NS1_11comp_targetILNS1_3genE0ELNS1_11target_archE4294967295ELNS1_3gpuE0ELNS1_3repE0EEENS1_30default_config_static_selectorELNS0_4arch9wavefront6targetE1EEEvT1_,comdat
	.protected	_ZN7rocprim17ROCPRIM_400000_NS6detail17trampoline_kernelINS0_14default_configENS1_20scan_config_selectorI11FixedVectorIiLj1EEEEZZNS1_9scan_implILNS1_25lookback_scan_determinismE0ELb0ELb0ES3_N6thrust23THRUST_200600_302600_NS6detail15normal_iteratorINSB_10device_ptrIS6_EEEESG_S6_NSB_4plusIvEES6_EEDaPvRmT3_T4_T5_mT6_P12ihipStream_tbENKUlT_T0_E_clISt17integral_constantIbLb1EESW_EEDaSR_SS_EUlSR_E0_NS1_11comp_targetILNS1_3genE0ELNS1_11target_archE4294967295ELNS1_3gpuE0ELNS1_3repE0EEENS1_30default_config_static_selectorELNS0_4arch9wavefront6targetE1EEEvT1_ ; -- Begin function _ZN7rocprim17ROCPRIM_400000_NS6detail17trampoline_kernelINS0_14default_configENS1_20scan_config_selectorI11FixedVectorIiLj1EEEEZZNS1_9scan_implILNS1_25lookback_scan_determinismE0ELb0ELb0ES3_N6thrust23THRUST_200600_302600_NS6detail15normal_iteratorINSB_10device_ptrIS6_EEEESG_S6_NSB_4plusIvEES6_EEDaPvRmT3_T4_T5_mT6_P12ihipStream_tbENKUlT_T0_E_clISt17integral_constantIbLb1EESW_EEDaSR_SS_EUlSR_E0_NS1_11comp_targetILNS1_3genE0ELNS1_11target_archE4294967295ELNS1_3gpuE0ELNS1_3repE0EEENS1_30default_config_static_selectorELNS0_4arch9wavefront6targetE1EEEvT1_
	.globl	_ZN7rocprim17ROCPRIM_400000_NS6detail17trampoline_kernelINS0_14default_configENS1_20scan_config_selectorI11FixedVectorIiLj1EEEEZZNS1_9scan_implILNS1_25lookback_scan_determinismE0ELb0ELb0ES3_N6thrust23THRUST_200600_302600_NS6detail15normal_iteratorINSB_10device_ptrIS6_EEEESG_S6_NSB_4plusIvEES6_EEDaPvRmT3_T4_T5_mT6_P12ihipStream_tbENKUlT_T0_E_clISt17integral_constantIbLb1EESW_EEDaSR_SS_EUlSR_E0_NS1_11comp_targetILNS1_3genE0ELNS1_11target_archE4294967295ELNS1_3gpuE0ELNS1_3repE0EEENS1_30default_config_static_selectorELNS0_4arch9wavefront6targetE1EEEvT1_
	.p2align	8
	.type	_ZN7rocprim17ROCPRIM_400000_NS6detail17trampoline_kernelINS0_14default_configENS1_20scan_config_selectorI11FixedVectorIiLj1EEEEZZNS1_9scan_implILNS1_25lookback_scan_determinismE0ELb0ELb0ES3_N6thrust23THRUST_200600_302600_NS6detail15normal_iteratorINSB_10device_ptrIS6_EEEESG_S6_NSB_4plusIvEES6_EEDaPvRmT3_T4_T5_mT6_P12ihipStream_tbENKUlT_T0_E_clISt17integral_constantIbLb1EESW_EEDaSR_SS_EUlSR_E0_NS1_11comp_targetILNS1_3genE0ELNS1_11target_archE4294967295ELNS1_3gpuE0ELNS1_3repE0EEENS1_30default_config_static_selectorELNS0_4arch9wavefront6targetE1EEEvT1_,@function
_ZN7rocprim17ROCPRIM_400000_NS6detail17trampoline_kernelINS0_14default_configENS1_20scan_config_selectorI11FixedVectorIiLj1EEEEZZNS1_9scan_implILNS1_25lookback_scan_determinismE0ELb0ELb0ES3_N6thrust23THRUST_200600_302600_NS6detail15normal_iteratorINSB_10device_ptrIS6_EEEESG_S6_NSB_4plusIvEES6_EEDaPvRmT3_T4_T5_mT6_P12ihipStream_tbENKUlT_T0_E_clISt17integral_constantIbLb1EESW_EEDaSR_SS_EUlSR_E0_NS1_11comp_targetILNS1_3genE0ELNS1_11target_archE4294967295ELNS1_3gpuE0ELNS1_3repE0EEENS1_30default_config_static_selectorELNS0_4arch9wavefront6targetE1EEEvT1_: ; @_ZN7rocprim17ROCPRIM_400000_NS6detail17trampoline_kernelINS0_14default_configENS1_20scan_config_selectorI11FixedVectorIiLj1EEEEZZNS1_9scan_implILNS1_25lookback_scan_determinismE0ELb0ELb0ES3_N6thrust23THRUST_200600_302600_NS6detail15normal_iteratorINSB_10device_ptrIS6_EEEESG_S6_NSB_4plusIvEES6_EEDaPvRmT3_T4_T5_mT6_P12ihipStream_tbENKUlT_T0_E_clISt17integral_constantIbLb1EESW_EEDaSR_SS_EUlSR_E0_NS1_11comp_targetILNS1_3genE0ELNS1_11target_archE4294967295ELNS1_3gpuE0ELNS1_3repE0EEENS1_30default_config_static_selectorELNS0_4arch9wavefront6targetE1EEEvT1_
; %bb.0:
	.section	.rodata,"a",@progbits
	.p2align	6, 0x0
	.amdhsa_kernel _ZN7rocprim17ROCPRIM_400000_NS6detail17trampoline_kernelINS0_14default_configENS1_20scan_config_selectorI11FixedVectorIiLj1EEEEZZNS1_9scan_implILNS1_25lookback_scan_determinismE0ELb0ELb0ES3_N6thrust23THRUST_200600_302600_NS6detail15normal_iteratorINSB_10device_ptrIS6_EEEESG_S6_NSB_4plusIvEES6_EEDaPvRmT3_T4_T5_mT6_P12ihipStream_tbENKUlT_T0_E_clISt17integral_constantIbLb1EESW_EEDaSR_SS_EUlSR_E0_NS1_11comp_targetILNS1_3genE0ELNS1_11target_archE4294967295ELNS1_3gpuE0ELNS1_3repE0EEENS1_30default_config_static_selectorELNS0_4arch9wavefront6targetE1EEEvT1_
		.amdhsa_group_segment_fixed_size 0
		.amdhsa_private_segment_fixed_size 0
		.amdhsa_kernarg_size 32
		.amdhsa_user_sgpr_count 6
		.amdhsa_user_sgpr_private_segment_buffer 1
		.amdhsa_user_sgpr_dispatch_ptr 0
		.amdhsa_user_sgpr_queue_ptr 0
		.amdhsa_user_sgpr_kernarg_segment_ptr 1
		.amdhsa_user_sgpr_dispatch_id 0
		.amdhsa_user_sgpr_flat_scratch_init 0
		.amdhsa_user_sgpr_kernarg_preload_length 0
		.amdhsa_user_sgpr_kernarg_preload_offset 0
		.amdhsa_user_sgpr_private_segment_size 0
		.amdhsa_uses_dynamic_stack 0
		.amdhsa_system_sgpr_private_segment_wavefront_offset 0
		.amdhsa_system_sgpr_workgroup_id_x 1
		.amdhsa_system_sgpr_workgroup_id_y 0
		.amdhsa_system_sgpr_workgroup_id_z 0
		.amdhsa_system_sgpr_workgroup_info 0
		.amdhsa_system_vgpr_workitem_id 0
		.amdhsa_next_free_vgpr 1
		.amdhsa_next_free_sgpr 0
		.amdhsa_accum_offset 4
		.amdhsa_reserve_vcc 0
		.amdhsa_reserve_flat_scratch 0
		.amdhsa_float_round_mode_32 0
		.amdhsa_float_round_mode_16_64 0
		.amdhsa_float_denorm_mode_32 3
		.amdhsa_float_denorm_mode_16_64 3
		.amdhsa_dx10_clamp 1
		.amdhsa_ieee_mode 1
		.amdhsa_fp16_overflow 0
		.amdhsa_tg_split 0
		.amdhsa_exception_fp_ieee_invalid_op 0
		.amdhsa_exception_fp_denorm_src 0
		.amdhsa_exception_fp_ieee_div_zero 0
		.amdhsa_exception_fp_ieee_overflow 0
		.amdhsa_exception_fp_ieee_underflow 0
		.amdhsa_exception_fp_ieee_inexact 0
		.amdhsa_exception_int_div_zero 0
	.end_amdhsa_kernel
	.section	.text._ZN7rocprim17ROCPRIM_400000_NS6detail17trampoline_kernelINS0_14default_configENS1_20scan_config_selectorI11FixedVectorIiLj1EEEEZZNS1_9scan_implILNS1_25lookback_scan_determinismE0ELb0ELb0ES3_N6thrust23THRUST_200600_302600_NS6detail15normal_iteratorINSB_10device_ptrIS6_EEEESG_S6_NSB_4plusIvEES6_EEDaPvRmT3_T4_T5_mT6_P12ihipStream_tbENKUlT_T0_E_clISt17integral_constantIbLb1EESW_EEDaSR_SS_EUlSR_E0_NS1_11comp_targetILNS1_3genE0ELNS1_11target_archE4294967295ELNS1_3gpuE0ELNS1_3repE0EEENS1_30default_config_static_selectorELNS0_4arch9wavefront6targetE1EEEvT1_,"axG",@progbits,_ZN7rocprim17ROCPRIM_400000_NS6detail17trampoline_kernelINS0_14default_configENS1_20scan_config_selectorI11FixedVectorIiLj1EEEEZZNS1_9scan_implILNS1_25lookback_scan_determinismE0ELb0ELb0ES3_N6thrust23THRUST_200600_302600_NS6detail15normal_iteratorINSB_10device_ptrIS6_EEEESG_S6_NSB_4plusIvEES6_EEDaPvRmT3_T4_T5_mT6_P12ihipStream_tbENKUlT_T0_E_clISt17integral_constantIbLb1EESW_EEDaSR_SS_EUlSR_E0_NS1_11comp_targetILNS1_3genE0ELNS1_11target_archE4294967295ELNS1_3gpuE0ELNS1_3repE0EEENS1_30default_config_static_selectorELNS0_4arch9wavefront6targetE1EEEvT1_,comdat
.Lfunc_end6415:
	.size	_ZN7rocprim17ROCPRIM_400000_NS6detail17trampoline_kernelINS0_14default_configENS1_20scan_config_selectorI11FixedVectorIiLj1EEEEZZNS1_9scan_implILNS1_25lookback_scan_determinismE0ELb0ELb0ES3_N6thrust23THRUST_200600_302600_NS6detail15normal_iteratorINSB_10device_ptrIS6_EEEESG_S6_NSB_4plusIvEES6_EEDaPvRmT3_T4_T5_mT6_P12ihipStream_tbENKUlT_T0_E_clISt17integral_constantIbLb1EESW_EEDaSR_SS_EUlSR_E0_NS1_11comp_targetILNS1_3genE0ELNS1_11target_archE4294967295ELNS1_3gpuE0ELNS1_3repE0EEENS1_30default_config_static_selectorELNS0_4arch9wavefront6targetE1EEEvT1_, .Lfunc_end6415-_ZN7rocprim17ROCPRIM_400000_NS6detail17trampoline_kernelINS0_14default_configENS1_20scan_config_selectorI11FixedVectorIiLj1EEEEZZNS1_9scan_implILNS1_25lookback_scan_determinismE0ELb0ELb0ES3_N6thrust23THRUST_200600_302600_NS6detail15normal_iteratorINSB_10device_ptrIS6_EEEESG_S6_NSB_4plusIvEES6_EEDaPvRmT3_T4_T5_mT6_P12ihipStream_tbENKUlT_T0_E_clISt17integral_constantIbLb1EESW_EEDaSR_SS_EUlSR_E0_NS1_11comp_targetILNS1_3genE0ELNS1_11target_archE4294967295ELNS1_3gpuE0ELNS1_3repE0EEENS1_30default_config_static_selectorELNS0_4arch9wavefront6targetE1EEEvT1_
                                        ; -- End function
	.section	.AMDGPU.csdata,"",@progbits
; Kernel info:
; codeLenInByte = 0
; NumSgprs: 4
; NumVgprs: 0
; NumAgprs: 0
; TotalNumVgprs: 0
; ScratchSize: 0
; MemoryBound: 0
; FloatMode: 240
; IeeeMode: 1
; LDSByteSize: 0 bytes/workgroup (compile time only)
; SGPRBlocks: 0
; VGPRBlocks: 0
; NumSGPRsForWavesPerEU: 4
; NumVGPRsForWavesPerEU: 1
; AccumOffset: 4
; Occupancy: 8
; WaveLimiterHint : 0
; COMPUTE_PGM_RSRC2:SCRATCH_EN: 0
; COMPUTE_PGM_RSRC2:USER_SGPR: 6
; COMPUTE_PGM_RSRC2:TRAP_HANDLER: 0
; COMPUTE_PGM_RSRC2:TGID_X_EN: 1
; COMPUTE_PGM_RSRC2:TGID_Y_EN: 0
; COMPUTE_PGM_RSRC2:TGID_Z_EN: 0
; COMPUTE_PGM_RSRC2:TIDIG_COMP_CNT: 0
; COMPUTE_PGM_RSRC3_GFX90A:ACCUM_OFFSET: 0
; COMPUTE_PGM_RSRC3_GFX90A:TG_SPLIT: 0
	.section	.text._ZN7rocprim17ROCPRIM_400000_NS6detail17trampoline_kernelINS0_14default_configENS1_20scan_config_selectorI11FixedVectorIiLj1EEEEZZNS1_9scan_implILNS1_25lookback_scan_determinismE0ELb0ELb0ES3_N6thrust23THRUST_200600_302600_NS6detail15normal_iteratorINSB_10device_ptrIS6_EEEESG_S6_NSB_4plusIvEES6_EEDaPvRmT3_T4_T5_mT6_P12ihipStream_tbENKUlT_T0_E_clISt17integral_constantIbLb1EESW_EEDaSR_SS_EUlSR_E0_NS1_11comp_targetILNS1_3genE5ELNS1_11target_archE942ELNS1_3gpuE9ELNS1_3repE0EEENS1_30default_config_static_selectorELNS0_4arch9wavefront6targetE1EEEvT1_,"axG",@progbits,_ZN7rocprim17ROCPRIM_400000_NS6detail17trampoline_kernelINS0_14default_configENS1_20scan_config_selectorI11FixedVectorIiLj1EEEEZZNS1_9scan_implILNS1_25lookback_scan_determinismE0ELb0ELb0ES3_N6thrust23THRUST_200600_302600_NS6detail15normal_iteratorINSB_10device_ptrIS6_EEEESG_S6_NSB_4plusIvEES6_EEDaPvRmT3_T4_T5_mT6_P12ihipStream_tbENKUlT_T0_E_clISt17integral_constantIbLb1EESW_EEDaSR_SS_EUlSR_E0_NS1_11comp_targetILNS1_3genE5ELNS1_11target_archE942ELNS1_3gpuE9ELNS1_3repE0EEENS1_30default_config_static_selectorELNS0_4arch9wavefront6targetE1EEEvT1_,comdat
	.protected	_ZN7rocprim17ROCPRIM_400000_NS6detail17trampoline_kernelINS0_14default_configENS1_20scan_config_selectorI11FixedVectorIiLj1EEEEZZNS1_9scan_implILNS1_25lookback_scan_determinismE0ELb0ELb0ES3_N6thrust23THRUST_200600_302600_NS6detail15normal_iteratorINSB_10device_ptrIS6_EEEESG_S6_NSB_4plusIvEES6_EEDaPvRmT3_T4_T5_mT6_P12ihipStream_tbENKUlT_T0_E_clISt17integral_constantIbLb1EESW_EEDaSR_SS_EUlSR_E0_NS1_11comp_targetILNS1_3genE5ELNS1_11target_archE942ELNS1_3gpuE9ELNS1_3repE0EEENS1_30default_config_static_selectorELNS0_4arch9wavefront6targetE1EEEvT1_ ; -- Begin function _ZN7rocprim17ROCPRIM_400000_NS6detail17trampoline_kernelINS0_14default_configENS1_20scan_config_selectorI11FixedVectorIiLj1EEEEZZNS1_9scan_implILNS1_25lookback_scan_determinismE0ELb0ELb0ES3_N6thrust23THRUST_200600_302600_NS6detail15normal_iteratorINSB_10device_ptrIS6_EEEESG_S6_NSB_4plusIvEES6_EEDaPvRmT3_T4_T5_mT6_P12ihipStream_tbENKUlT_T0_E_clISt17integral_constantIbLb1EESW_EEDaSR_SS_EUlSR_E0_NS1_11comp_targetILNS1_3genE5ELNS1_11target_archE942ELNS1_3gpuE9ELNS1_3repE0EEENS1_30default_config_static_selectorELNS0_4arch9wavefront6targetE1EEEvT1_
	.globl	_ZN7rocprim17ROCPRIM_400000_NS6detail17trampoline_kernelINS0_14default_configENS1_20scan_config_selectorI11FixedVectorIiLj1EEEEZZNS1_9scan_implILNS1_25lookback_scan_determinismE0ELb0ELb0ES3_N6thrust23THRUST_200600_302600_NS6detail15normal_iteratorINSB_10device_ptrIS6_EEEESG_S6_NSB_4plusIvEES6_EEDaPvRmT3_T4_T5_mT6_P12ihipStream_tbENKUlT_T0_E_clISt17integral_constantIbLb1EESW_EEDaSR_SS_EUlSR_E0_NS1_11comp_targetILNS1_3genE5ELNS1_11target_archE942ELNS1_3gpuE9ELNS1_3repE0EEENS1_30default_config_static_selectorELNS0_4arch9wavefront6targetE1EEEvT1_
	.p2align	8
	.type	_ZN7rocprim17ROCPRIM_400000_NS6detail17trampoline_kernelINS0_14default_configENS1_20scan_config_selectorI11FixedVectorIiLj1EEEEZZNS1_9scan_implILNS1_25lookback_scan_determinismE0ELb0ELb0ES3_N6thrust23THRUST_200600_302600_NS6detail15normal_iteratorINSB_10device_ptrIS6_EEEESG_S6_NSB_4plusIvEES6_EEDaPvRmT3_T4_T5_mT6_P12ihipStream_tbENKUlT_T0_E_clISt17integral_constantIbLb1EESW_EEDaSR_SS_EUlSR_E0_NS1_11comp_targetILNS1_3genE5ELNS1_11target_archE942ELNS1_3gpuE9ELNS1_3repE0EEENS1_30default_config_static_selectorELNS0_4arch9wavefront6targetE1EEEvT1_,@function
_ZN7rocprim17ROCPRIM_400000_NS6detail17trampoline_kernelINS0_14default_configENS1_20scan_config_selectorI11FixedVectorIiLj1EEEEZZNS1_9scan_implILNS1_25lookback_scan_determinismE0ELb0ELb0ES3_N6thrust23THRUST_200600_302600_NS6detail15normal_iteratorINSB_10device_ptrIS6_EEEESG_S6_NSB_4plusIvEES6_EEDaPvRmT3_T4_T5_mT6_P12ihipStream_tbENKUlT_T0_E_clISt17integral_constantIbLb1EESW_EEDaSR_SS_EUlSR_E0_NS1_11comp_targetILNS1_3genE5ELNS1_11target_archE942ELNS1_3gpuE9ELNS1_3repE0EEENS1_30default_config_static_selectorELNS0_4arch9wavefront6targetE1EEEvT1_: ; @_ZN7rocprim17ROCPRIM_400000_NS6detail17trampoline_kernelINS0_14default_configENS1_20scan_config_selectorI11FixedVectorIiLj1EEEEZZNS1_9scan_implILNS1_25lookback_scan_determinismE0ELb0ELb0ES3_N6thrust23THRUST_200600_302600_NS6detail15normal_iteratorINSB_10device_ptrIS6_EEEESG_S6_NSB_4plusIvEES6_EEDaPvRmT3_T4_T5_mT6_P12ihipStream_tbENKUlT_T0_E_clISt17integral_constantIbLb1EESW_EEDaSR_SS_EUlSR_E0_NS1_11comp_targetILNS1_3genE5ELNS1_11target_archE942ELNS1_3gpuE9ELNS1_3repE0EEENS1_30default_config_static_selectorELNS0_4arch9wavefront6targetE1EEEvT1_
; %bb.0:
	.section	.rodata,"a",@progbits
	.p2align	6, 0x0
	.amdhsa_kernel _ZN7rocprim17ROCPRIM_400000_NS6detail17trampoline_kernelINS0_14default_configENS1_20scan_config_selectorI11FixedVectorIiLj1EEEEZZNS1_9scan_implILNS1_25lookback_scan_determinismE0ELb0ELb0ES3_N6thrust23THRUST_200600_302600_NS6detail15normal_iteratorINSB_10device_ptrIS6_EEEESG_S6_NSB_4plusIvEES6_EEDaPvRmT3_T4_T5_mT6_P12ihipStream_tbENKUlT_T0_E_clISt17integral_constantIbLb1EESW_EEDaSR_SS_EUlSR_E0_NS1_11comp_targetILNS1_3genE5ELNS1_11target_archE942ELNS1_3gpuE9ELNS1_3repE0EEENS1_30default_config_static_selectorELNS0_4arch9wavefront6targetE1EEEvT1_
		.amdhsa_group_segment_fixed_size 0
		.amdhsa_private_segment_fixed_size 0
		.amdhsa_kernarg_size 32
		.amdhsa_user_sgpr_count 6
		.amdhsa_user_sgpr_private_segment_buffer 1
		.amdhsa_user_sgpr_dispatch_ptr 0
		.amdhsa_user_sgpr_queue_ptr 0
		.amdhsa_user_sgpr_kernarg_segment_ptr 1
		.amdhsa_user_sgpr_dispatch_id 0
		.amdhsa_user_sgpr_flat_scratch_init 0
		.amdhsa_user_sgpr_kernarg_preload_length 0
		.amdhsa_user_sgpr_kernarg_preload_offset 0
		.amdhsa_user_sgpr_private_segment_size 0
		.amdhsa_uses_dynamic_stack 0
		.amdhsa_system_sgpr_private_segment_wavefront_offset 0
		.amdhsa_system_sgpr_workgroup_id_x 1
		.amdhsa_system_sgpr_workgroup_id_y 0
		.amdhsa_system_sgpr_workgroup_id_z 0
		.amdhsa_system_sgpr_workgroup_info 0
		.amdhsa_system_vgpr_workitem_id 0
		.amdhsa_next_free_vgpr 1
		.amdhsa_next_free_sgpr 0
		.amdhsa_accum_offset 4
		.amdhsa_reserve_vcc 0
		.amdhsa_reserve_flat_scratch 0
		.amdhsa_float_round_mode_32 0
		.amdhsa_float_round_mode_16_64 0
		.amdhsa_float_denorm_mode_32 3
		.amdhsa_float_denorm_mode_16_64 3
		.amdhsa_dx10_clamp 1
		.amdhsa_ieee_mode 1
		.amdhsa_fp16_overflow 0
		.amdhsa_tg_split 0
		.amdhsa_exception_fp_ieee_invalid_op 0
		.amdhsa_exception_fp_denorm_src 0
		.amdhsa_exception_fp_ieee_div_zero 0
		.amdhsa_exception_fp_ieee_overflow 0
		.amdhsa_exception_fp_ieee_underflow 0
		.amdhsa_exception_fp_ieee_inexact 0
		.amdhsa_exception_int_div_zero 0
	.end_amdhsa_kernel
	.section	.text._ZN7rocprim17ROCPRIM_400000_NS6detail17trampoline_kernelINS0_14default_configENS1_20scan_config_selectorI11FixedVectorIiLj1EEEEZZNS1_9scan_implILNS1_25lookback_scan_determinismE0ELb0ELb0ES3_N6thrust23THRUST_200600_302600_NS6detail15normal_iteratorINSB_10device_ptrIS6_EEEESG_S6_NSB_4plusIvEES6_EEDaPvRmT3_T4_T5_mT6_P12ihipStream_tbENKUlT_T0_E_clISt17integral_constantIbLb1EESW_EEDaSR_SS_EUlSR_E0_NS1_11comp_targetILNS1_3genE5ELNS1_11target_archE942ELNS1_3gpuE9ELNS1_3repE0EEENS1_30default_config_static_selectorELNS0_4arch9wavefront6targetE1EEEvT1_,"axG",@progbits,_ZN7rocprim17ROCPRIM_400000_NS6detail17trampoline_kernelINS0_14default_configENS1_20scan_config_selectorI11FixedVectorIiLj1EEEEZZNS1_9scan_implILNS1_25lookback_scan_determinismE0ELb0ELb0ES3_N6thrust23THRUST_200600_302600_NS6detail15normal_iteratorINSB_10device_ptrIS6_EEEESG_S6_NSB_4plusIvEES6_EEDaPvRmT3_T4_T5_mT6_P12ihipStream_tbENKUlT_T0_E_clISt17integral_constantIbLb1EESW_EEDaSR_SS_EUlSR_E0_NS1_11comp_targetILNS1_3genE5ELNS1_11target_archE942ELNS1_3gpuE9ELNS1_3repE0EEENS1_30default_config_static_selectorELNS0_4arch9wavefront6targetE1EEEvT1_,comdat
.Lfunc_end6416:
	.size	_ZN7rocprim17ROCPRIM_400000_NS6detail17trampoline_kernelINS0_14default_configENS1_20scan_config_selectorI11FixedVectorIiLj1EEEEZZNS1_9scan_implILNS1_25lookback_scan_determinismE0ELb0ELb0ES3_N6thrust23THRUST_200600_302600_NS6detail15normal_iteratorINSB_10device_ptrIS6_EEEESG_S6_NSB_4plusIvEES6_EEDaPvRmT3_T4_T5_mT6_P12ihipStream_tbENKUlT_T0_E_clISt17integral_constantIbLb1EESW_EEDaSR_SS_EUlSR_E0_NS1_11comp_targetILNS1_3genE5ELNS1_11target_archE942ELNS1_3gpuE9ELNS1_3repE0EEENS1_30default_config_static_selectorELNS0_4arch9wavefront6targetE1EEEvT1_, .Lfunc_end6416-_ZN7rocprim17ROCPRIM_400000_NS6detail17trampoline_kernelINS0_14default_configENS1_20scan_config_selectorI11FixedVectorIiLj1EEEEZZNS1_9scan_implILNS1_25lookback_scan_determinismE0ELb0ELb0ES3_N6thrust23THRUST_200600_302600_NS6detail15normal_iteratorINSB_10device_ptrIS6_EEEESG_S6_NSB_4plusIvEES6_EEDaPvRmT3_T4_T5_mT6_P12ihipStream_tbENKUlT_T0_E_clISt17integral_constantIbLb1EESW_EEDaSR_SS_EUlSR_E0_NS1_11comp_targetILNS1_3genE5ELNS1_11target_archE942ELNS1_3gpuE9ELNS1_3repE0EEENS1_30default_config_static_selectorELNS0_4arch9wavefront6targetE1EEEvT1_
                                        ; -- End function
	.section	.AMDGPU.csdata,"",@progbits
; Kernel info:
; codeLenInByte = 0
; NumSgprs: 4
; NumVgprs: 0
; NumAgprs: 0
; TotalNumVgprs: 0
; ScratchSize: 0
; MemoryBound: 0
; FloatMode: 240
; IeeeMode: 1
; LDSByteSize: 0 bytes/workgroup (compile time only)
; SGPRBlocks: 0
; VGPRBlocks: 0
; NumSGPRsForWavesPerEU: 4
; NumVGPRsForWavesPerEU: 1
; AccumOffset: 4
; Occupancy: 8
; WaveLimiterHint : 0
; COMPUTE_PGM_RSRC2:SCRATCH_EN: 0
; COMPUTE_PGM_RSRC2:USER_SGPR: 6
; COMPUTE_PGM_RSRC2:TRAP_HANDLER: 0
; COMPUTE_PGM_RSRC2:TGID_X_EN: 1
; COMPUTE_PGM_RSRC2:TGID_Y_EN: 0
; COMPUTE_PGM_RSRC2:TGID_Z_EN: 0
; COMPUTE_PGM_RSRC2:TIDIG_COMP_CNT: 0
; COMPUTE_PGM_RSRC3_GFX90A:ACCUM_OFFSET: 0
; COMPUTE_PGM_RSRC3_GFX90A:TG_SPLIT: 0
	.section	.text._ZN7rocprim17ROCPRIM_400000_NS6detail17trampoline_kernelINS0_14default_configENS1_20scan_config_selectorI11FixedVectorIiLj1EEEEZZNS1_9scan_implILNS1_25lookback_scan_determinismE0ELb0ELb0ES3_N6thrust23THRUST_200600_302600_NS6detail15normal_iteratorINSB_10device_ptrIS6_EEEESG_S6_NSB_4plusIvEES6_EEDaPvRmT3_T4_T5_mT6_P12ihipStream_tbENKUlT_T0_E_clISt17integral_constantIbLb1EESW_EEDaSR_SS_EUlSR_E0_NS1_11comp_targetILNS1_3genE4ELNS1_11target_archE910ELNS1_3gpuE8ELNS1_3repE0EEENS1_30default_config_static_selectorELNS0_4arch9wavefront6targetE1EEEvT1_,"axG",@progbits,_ZN7rocprim17ROCPRIM_400000_NS6detail17trampoline_kernelINS0_14default_configENS1_20scan_config_selectorI11FixedVectorIiLj1EEEEZZNS1_9scan_implILNS1_25lookback_scan_determinismE0ELb0ELb0ES3_N6thrust23THRUST_200600_302600_NS6detail15normal_iteratorINSB_10device_ptrIS6_EEEESG_S6_NSB_4plusIvEES6_EEDaPvRmT3_T4_T5_mT6_P12ihipStream_tbENKUlT_T0_E_clISt17integral_constantIbLb1EESW_EEDaSR_SS_EUlSR_E0_NS1_11comp_targetILNS1_3genE4ELNS1_11target_archE910ELNS1_3gpuE8ELNS1_3repE0EEENS1_30default_config_static_selectorELNS0_4arch9wavefront6targetE1EEEvT1_,comdat
	.protected	_ZN7rocprim17ROCPRIM_400000_NS6detail17trampoline_kernelINS0_14default_configENS1_20scan_config_selectorI11FixedVectorIiLj1EEEEZZNS1_9scan_implILNS1_25lookback_scan_determinismE0ELb0ELb0ES3_N6thrust23THRUST_200600_302600_NS6detail15normal_iteratorINSB_10device_ptrIS6_EEEESG_S6_NSB_4plusIvEES6_EEDaPvRmT3_T4_T5_mT6_P12ihipStream_tbENKUlT_T0_E_clISt17integral_constantIbLb1EESW_EEDaSR_SS_EUlSR_E0_NS1_11comp_targetILNS1_3genE4ELNS1_11target_archE910ELNS1_3gpuE8ELNS1_3repE0EEENS1_30default_config_static_selectorELNS0_4arch9wavefront6targetE1EEEvT1_ ; -- Begin function _ZN7rocprim17ROCPRIM_400000_NS6detail17trampoline_kernelINS0_14default_configENS1_20scan_config_selectorI11FixedVectorIiLj1EEEEZZNS1_9scan_implILNS1_25lookback_scan_determinismE0ELb0ELb0ES3_N6thrust23THRUST_200600_302600_NS6detail15normal_iteratorINSB_10device_ptrIS6_EEEESG_S6_NSB_4plusIvEES6_EEDaPvRmT3_T4_T5_mT6_P12ihipStream_tbENKUlT_T0_E_clISt17integral_constantIbLb1EESW_EEDaSR_SS_EUlSR_E0_NS1_11comp_targetILNS1_3genE4ELNS1_11target_archE910ELNS1_3gpuE8ELNS1_3repE0EEENS1_30default_config_static_selectorELNS0_4arch9wavefront6targetE1EEEvT1_
	.globl	_ZN7rocprim17ROCPRIM_400000_NS6detail17trampoline_kernelINS0_14default_configENS1_20scan_config_selectorI11FixedVectorIiLj1EEEEZZNS1_9scan_implILNS1_25lookback_scan_determinismE0ELb0ELb0ES3_N6thrust23THRUST_200600_302600_NS6detail15normal_iteratorINSB_10device_ptrIS6_EEEESG_S6_NSB_4plusIvEES6_EEDaPvRmT3_T4_T5_mT6_P12ihipStream_tbENKUlT_T0_E_clISt17integral_constantIbLb1EESW_EEDaSR_SS_EUlSR_E0_NS1_11comp_targetILNS1_3genE4ELNS1_11target_archE910ELNS1_3gpuE8ELNS1_3repE0EEENS1_30default_config_static_selectorELNS0_4arch9wavefront6targetE1EEEvT1_
	.p2align	8
	.type	_ZN7rocprim17ROCPRIM_400000_NS6detail17trampoline_kernelINS0_14default_configENS1_20scan_config_selectorI11FixedVectorIiLj1EEEEZZNS1_9scan_implILNS1_25lookback_scan_determinismE0ELb0ELb0ES3_N6thrust23THRUST_200600_302600_NS6detail15normal_iteratorINSB_10device_ptrIS6_EEEESG_S6_NSB_4plusIvEES6_EEDaPvRmT3_T4_T5_mT6_P12ihipStream_tbENKUlT_T0_E_clISt17integral_constantIbLb1EESW_EEDaSR_SS_EUlSR_E0_NS1_11comp_targetILNS1_3genE4ELNS1_11target_archE910ELNS1_3gpuE8ELNS1_3repE0EEENS1_30default_config_static_selectorELNS0_4arch9wavefront6targetE1EEEvT1_,@function
_ZN7rocprim17ROCPRIM_400000_NS6detail17trampoline_kernelINS0_14default_configENS1_20scan_config_selectorI11FixedVectorIiLj1EEEEZZNS1_9scan_implILNS1_25lookback_scan_determinismE0ELb0ELb0ES3_N6thrust23THRUST_200600_302600_NS6detail15normal_iteratorINSB_10device_ptrIS6_EEEESG_S6_NSB_4plusIvEES6_EEDaPvRmT3_T4_T5_mT6_P12ihipStream_tbENKUlT_T0_E_clISt17integral_constantIbLb1EESW_EEDaSR_SS_EUlSR_E0_NS1_11comp_targetILNS1_3genE4ELNS1_11target_archE910ELNS1_3gpuE8ELNS1_3repE0EEENS1_30default_config_static_selectorELNS0_4arch9wavefront6targetE1EEEvT1_: ; @_ZN7rocprim17ROCPRIM_400000_NS6detail17trampoline_kernelINS0_14default_configENS1_20scan_config_selectorI11FixedVectorIiLj1EEEEZZNS1_9scan_implILNS1_25lookback_scan_determinismE0ELb0ELb0ES3_N6thrust23THRUST_200600_302600_NS6detail15normal_iteratorINSB_10device_ptrIS6_EEEESG_S6_NSB_4plusIvEES6_EEDaPvRmT3_T4_T5_mT6_P12ihipStream_tbENKUlT_T0_E_clISt17integral_constantIbLb1EESW_EEDaSR_SS_EUlSR_E0_NS1_11comp_targetILNS1_3genE4ELNS1_11target_archE910ELNS1_3gpuE8ELNS1_3repE0EEENS1_30default_config_static_selectorELNS0_4arch9wavefront6targetE1EEEvT1_
; %bb.0:
	s_load_dwordx4 s[20:23], s[4:5], 0x0
	v_lshlrev_b32_e32 v20, 2, v0
	s_waitcnt lgkmcnt(0)
	s_load_dword s23, s[20:21], 0x0
	v_cmp_gt_u32_e32 vcc, s22, v0
	s_waitcnt lgkmcnt(0)
	v_mov_b32_e32 v1, s23
	s_and_saveexec_b64 s[0:1], vcc
	s_cbranch_execz .LBB6417_2
; %bb.1:
	global_load_dword v1, v20, s[20:21]
.LBB6417_2:
	s_or_b64 exec, exec, s[0:1]
	v_or_b32_e32 v2, 0x80, v0
	v_cmp_gt_u32_e64 s[0:1], s22, v2
	v_mov_b32_e32 v2, s23
	s_and_saveexec_b64 s[2:3], s[0:1]
	s_cbranch_execz .LBB6417_4
; %bb.3:
	global_load_dword v2, v20, s[20:21] offset:512
.LBB6417_4:
	s_or_b64 exec, exec, s[2:3]
	v_or_b32_e32 v3, 0x100, v0
	v_cmp_gt_u32_e64 s[2:3], s22, v3
	v_mov_b32_e32 v3, s23
	s_and_saveexec_b64 s[6:7], s[2:3]
	s_cbranch_execz .LBB6417_6
; %bb.5:
	global_load_dword v3, v20, s[20:21] offset:1024
.LBB6417_6:
	;; [unrolled: 9-line block ×7, first 2 shown]
	s_or_b64 exec, exec, s[14:15]
	v_or_b32_e32 v10, 0x400, v0
	v_cmp_gt_u32_e64 s[14:15], s22, v10
	v_mov_b32_e32 v9, s23
	s_and_saveexec_b64 s[16:17], s[14:15]
	s_cbranch_execz .LBB6417_18
; %bb.17:
	v_lshlrev_b32_e32 v9, 2, v10
	global_load_dword v9, v9, s[20:21]
.LBB6417_18:
	s_or_b64 exec, exec, s[16:17]
	v_or_b32_e32 v11, 0x480, v0
	v_cmp_gt_u32_e64 s[16:17], s22, v11
	v_mov_b32_e32 v10, s23
	s_and_saveexec_b64 s[22:23], s[16:17]
	s_cbranch_execz .LBB6417_20
; %bb.19:
	v_lshlrev_b32_e32 v10, 2, v11
	global_load_dword v10, v10, s[20:21]
.LBB6417_20:
	s_or_b64 exec, exec, s[22:23]
	s_waitcnt vmcnt(0)
	ds_write2st64_b32 v20, v1, v2 offset1:2
	ds_write2st64_b32 v20, v3, v4 offset0:4 offset1:6
	ds_write2st64_b32 v20, v5, v6 offset0:8 offset1:10
	ds_write2st64_b32 v20, v7, v8 offset0:12 offset1:14
	ds_write2st64_b32 v20, v9, v10 offset0:16 offset1:18
	v_mad_u32_u24 v1, v0, 36, v20
	s_waitcnt lgkmcnt(0)
	s_barrier
	ds_read2_b64 v[6:9], v1 offset1:1
	ds_read2_b64 v[2:5], v1 offset0:2 offset1:3
	ds_read_b64 v[18:19], v1 offset:32
	v_lshrrev_b32_e32 v21, 3, v0
	v_and_b32_e32 v21, 12, v21
	s_waitcnt lgkmcnt(2)
	v_add_u32_e32 v1, v7, v6
	v_add_u32_e32 v14, v1, v8
	;; [unrolled: 1-line block ×3, first 2 shown]
	s_waitcnt lgkmcnt(1)
	v_add_u32_e32 v10, v15, v2
	v_add_u32_e32 v11, v10, v3
	;; [unrolled: 1-line block ×4, first 2 shown]
	s_waitcnt lgkmcnt(0)
	v_add_u32_e32 v16, v13, v18
	v_add_u32_e32 v17, v16, v19
	;; [unrolled: 1-line block ×3, first 2 shown]
	v_cmp_gt_u32_e64 s[20:21], 64, v0
	s_barrier
	ds_write_b32 v21, v17
	s_waitcnt lgkmcnt(0)
	s_barrier
	s_and_saveexec_b64 s[22:23], s[20:21]
	s_cbranch_execz .LBB6417_22
; %bb.21:
	v_lshlrev_b32_e32 v21, 1, v0
	v_lshrrev_b32_e32 v22, 4, v0
	v_add_lshl_u32 v21, v22, v21, 2
	ds_read2_b32 v[22:23], v21 offset1:1
	v_mbcnt_lo_u32_b32 v24, -1, 0
	v_mbcnt_hi_u32_b32 v24, -1, v24
	v_and_b32_e32 v25, 15, v24
	v_cmp_ne_u32_e64 s[20:21], 0, v25
	s_waitcnt lgkmcnt(0)
	v_add_u32_e32 v23, v23, v22
	; wave barrier
	s_nop 1
	v_mov_b32_dpp v26, v23 row_shr:1 row_mask:0xf bank_mask:0xf
	v_cndmask_b32_e64 v26, 0, v26, s[20:21]
	v_add_u32_e32 v23, v26, v23
	v_cmp_lt_u32_e64 s[20:21], 1, v25
	s_nop 0
	v_mov_b32_dpp v26, v23 row_shr:2 row_mask:0xf bank_mask:0xf
	v_cndmask_b32_e64 v26, 0, v26, s[20:21]
	v_add_u32_e32 v23, v23, v26
	v_cmp_lt_u32_e64 s[20:21], 3, v25
	s_nop 0
	v_mov_b32_dpp v26, v23 row_shr:4 row_mask:0xf bank_mask:0xf
	v_cndmask_b32_e64 v26, 0, v26, s[20:21]
	v_add_u32_e32 v23, v23, v26
	v_cmp_lt_u32_e64 s[20:21], 7, v25
	s_nop 0
	v_mov_b32_dpp v26, v23 row_shr:8 row_mask:0xf bank_mask:0xf
	v_cndmask_b32_e64 v25, 0, v26, s[20:21]
	v_add_u32_e32 v23, v23, v25
	v_bfe_i32 v26, v24, 4, 1
	v_cmp_lt_u32_e64 s[20:21], 31, v24
	v_mov_b32_dpp v25, v23 row_bcast:15 row_mask:0xf bank_mask:0xf
	v_and_b32_e32 v25, v26, v25
	v_add_u32_e32 v23, v23, v25
	v_and_b32_e32 v26, 64, v24
	s_nop 0
	v_mov_b32_dpp v25, v23 row_bcast:31 row_mask:0xf bank_mask:0xf
	v_cndmask_b32_e64 v25, 0, v25, s[20:21]
	v_add_u32_e32 v23, v23, v25
	v_add_u32_e32 v25, -1, v24
	v_cmp_lt_i32_e64 s[20:21], v25, v26
	v_cndmask_b32_e64 v24, v25, v24, s[20:21]
	v_lshlrev_b32_e32 v24, 2, v24
	ds_bpermute_b32 v23, v24, v23
	v_cmp_eq_u32_e64 s[20:21], 0, v0
	s_waitcnt lgkmcnt(0)
	v_add_u32_e32 v22, v23, v22
	v_cndmask_b32_e64 v22, v22, v17, s[20:21]
	ds_write_b32 v21, v22
	; wave barrier
	ds_read_b32 v23, v21 offset:4
	s_waitcnt lgkmcnt(0)
	v_add_u32_e32 v22, v23, v22
	ds_write_b32 v21, v22 offset:4
.LBB6417_22:
	s_or_b64 exec, exec, s[22:23]
	s_load_dwordx2 s[20:21], s[4:5], 0x18
	v_cmp_ne_u32_e64 s[4:5], 0, v0
	v_mov_b32_e32 v22, v17
	s_waitcnt lgkmcnt(0)
	s_barrier
	s_and_saveexec_b64 s[22:23], s[4:5]
	s_cbranch_execz .LBB6417_24
; %bb.23:
	v_add_u32_e32 v21, -1, v0
	v_lshrrev_b32_e32 v22, 5, v21
	v_add_lshl_u32 v21, v22, v21, 2
	ds_read_b32 v22, v21
.LBB6417_24:
	s_or_b64 exec, exec, s[22:23]
	v_mul_u32_u24_e32 v21, 36, v0
	v_mov_b32_e32 v0, v6
	s_and_saveexec_b64 s[22:23], s[4:5]
	s_cbranch_execz .LBB6417_26
; %bb.25:
	s_waitcnt lgkmcnt(0)
	v_add_u32_e32 v0, v22, v6
	v_add_u32_e32 v1, v0, v7
	;; [unrolled: 1-line block ×10, first 2 shown]
	;;#ASMSTART
	;;#ASMEND
.LBB6417_26:
	s_or_b64 exec, exec, s[22:23]
	v_add_u32_e32 v2, v20, v21
	s_waitcnt lgkmcnt(0)
	s_barrier
	ds_write2_b64 v2, v[0:1], v[14:15] offset1:1
	ds_write2_b64 v2, v[10:11], v[12:13] offset0:2 offset1:3
	ds_write_b64 v2, v[16:17] offset:32
	s_waitcnt lgkmcnt(0)
	s_barrier
	ds_read2st64_b32 v[8:9], v20 offset0:2 offset1:4
	ds_read2st64_b32 v[6:7], v20 offset0:6 offset1:8
	;; [unrolled: 1-line block ×4, first 2 shown]
	ds_read_b32 v10, v20 offset:4608
	v_mov_b32_e32 v1, s21
	v_add_co_u32_e64 v0, s[4:5], s20, v20
	v_addc_co_u32_e64 v1, s[4:5], 0, v1, s[4:5]
	s_and_saveexec_b64 s[4:5], vcc
	s_cbranch_execnz .LBB6417_37
; %bb.27:
	s_or_b64 exec, exec, s[4:5]
	s_and_saveexec_b64 s[4:5], s[0:1]
	s_cbranch_execnz .LBB6417_38
.LBB6417_28:
	s_or_b64 exec, exec, s[4:5]
	s_and_saveexec_b64 s[0:1], s[2:3]
	s_cbranch_execnz .LBB6417_39
.LBB6417_29:
	s_or_b64 exec, exec, s[0:1]
	s_and_saveexec_b64 s[0:1], s[18:19]
	s_cbranch_execnz .LBB6417_40
.LBB6417_30:
	s_or_b64 exec, exec, s[0:1]
	s_and_saveexec_b64 s[0:1], s[6:7]
	s_cbranch_execnz .LBB6417_41
.LBB6417_31:
	s_or_b64 exec, exec, s[0:1]
	s_and_saveexec_b64 s[0:1], s[8:9]
	s_cbranch_execnz .LBB6417_42
.LBB6417_32:
	s_or_b64 exec, exec, s[0:1]
	s_and_saveexec_b64 s[0:1], s[10:11]
	s_cbranch_execnz .LBB6417_43
.LBB6417_33:
	s_or_b64 exec, exec, s[0:1]
	s_and_saveexec_b64 s[0:1], s[12:13]
	s_cbranch_execnz .LBB6417_44
.LBB6417_34:
	s_or_b64 exec, exec, s[0:1]
	s_and_saveexec_b64 s[0:1], s[14:15]
	s_cbranch_execnz .LBB6417_45
.LBB6417_35:
	s_or_b64 exec, exec, s[0:1]
	s_and_saveexec_b64 s[0:1], s[16:17]
	s_cbranch_execnz .LBB6417_46
.LBB6417_36:
	s_endpgm
.LBB6417_37:
	ds_read_b32 v11, v20
	s_waitcnt lgkmcnt(0)
	global_store_dword v[0:1], v11, off
	s_or_b64 exec, exec, s[4:5]
	s_and_saveexec_b64 s[4:5], s[0:1]
	s_cbranch_execz .LBB6417_28
.LBB6417_38:
	s_waitcnt lgkmcnt(4)
	global_store_dword v[0:1], v8, off offset:512
	s_or_b64 exec, exec, s[4:5]
	s_and_saveexec_b64 s[0:1], s[2:3]
	s_cbranch_execz .LBB6417_29
.LBB6417_39:
	s_waitcnt lgkmcnt(4)
	global_store_dword v[0:1], v9, off offset:1024
	s_or_b64 exec, exec, s[0:1]
	s_and_saveexec_b64 s[0:1], s[18:19]
	s_cbranch_execz .LBB6417_30
.LBB6417_40:
	s_waitcnt lgkmcnt(3)
	global_store_dword v[0:1], v6, off offset:1536
	s_or_b64 exec, exec, s[0:1]
	s_and_saveexec_b64 s[0:1], s[6:7]
	s_cbranch_execz .LBB6417_31
.LBB6417_41:
	s_waitcnt lgkmcnt(3)
	global_store_dword v[0:1], v7, off offset:2048
	s_or_b64 exec, exec, s[0:1]
	s_and_saveexec_b64 s[0:1], s[8:9]
	s_cbranch_execz .LBB6417_32
.LBB6417_42:
	s_waitcnt lgkmcnt(2)
	global_store_dword v[0:1], v4, off offset:2560
	s_or_b64 exec, exec, s[0:1]
	s_and_saveexec_b64 s[0:1], s[10:11]
	s_cbranch_execz .LBB6417_33
.LBB6417_43:
	s_waitcnt lgkmcnt(2)
	global_store_dword v[0:1], v5, off offset:3072
	s_or_b64 exec, exec, s[0:1]
	s_and_saveexec_b64 s[0:1], s[12:13]
	s_cbranch_execz .LBB6417_34
.LBB6417_44:
	s_waitcnt lgkmcnt(1)
	global_store_dword v[0:1], v2, off offset:3584
	s_or_b64 exec, exec, s[0:1]
	s_and_saveexec_b64 s[0:1], s[14:15]
	s_cbranch_execz .LBB6417_35
.LBB6417_45:
	s_waitcnt lgkmcnt(2)
	v_add_co_u32_e32 v4, vcc, 0x1000, v0
	v_addc_co_u32_e32 v5, vcc, 0, v1, vcc
	s_waitcnt lgkmcnt(1)
	global_store_dword v[4:5], v3, off
	s_or_b64 exec, exec, s[0:1]
	s_and_saveexec_b64 s[0:1], s[16:17]
	s_cbranch_execz .LBB6417_36
.LBB6417_46:
	v_add_co_u32_e32 v0, vcc, 0x1000, v0
	v_addc_co_u32_e32 v1, vcc, 0, v1, vcc
	s_waitcnt lgkmcnt(0)
	global_store_dword v[0:1], v10, off offset:512
	s_endpgm
	.section	.rodata,"a",@progbits
	.p2align	6, 0x0
	.amdhsa_kernel _ZN7rocprim17ROCPRIM_400000_NS6detail17trampoline_kernelINS0_14default_configENS1_20scan_config_selectorI11FixedVectorIiLj1EEEEZZNS1_9scan_implILNS1_25lookback_scan_determinismE0ELb0ELb0ES3_N6thrust23THRUST_200600_302600_NS6detail15normal_iteratorINSB_10device_ptrIS6_EEEESG_S6_NSB_4plusIvEES6_EEDaPvRmT3_T4_T5_mT6_P12ihipStream_tbENKUlT_T0_E_clISt17integral_constantIbLb1EESW_EEDaSR_SS_EUlSR_E0_NS1_11comp_targetILNS1_3genE4ELNS1_11target_archE910ELNS1_3gpuE8ELNS1_3repE0EEENS1_30default_config_static_selectorELNS0_4arch9wavefront6targetE1EEEvT1_
		.amdhsa_group_segment_fixed_size 5120
		.amdhsa_private_segment_fixed_size 0
		.amdhsa_kernarg_size 32
		.amdhsa_user_sgpr_count 6
		.amdhsa_user_sgpr_private_segment_buffer 1
		.amdhsa_user_sgpr_dispatch_ptr 0
		.amdhsa_user_sgpr_queue_ptr 0
		.amdhsa_user_sgpr_kernarg_segment_ptr 1
		.amdhsa_user_sgpr_dispatch_id 0
		.amdhsa_user_sgpr_flat_scratch_init 0
		.amdhsa_user_sgpr_kernarg_preload_length 0
		.amdhsa_user_sgpr_kernarg_preload_offset 0
		.amdhsa_user_sgpr_private_segment_size 0
		.amdhsa_uses_dynamic_stack 0
		.amdhsa_system_sgpr_private_segment_wavefront_offset 0
		.amdhsa_system_sgpr_workgroup_id_x 1
		.amdhsa_system_sgpr_workgroup_id_y 0
		.amdhsa_system_sgpr_workgroup_id_z 0
		.amdhsa_system_sgpr_workgroup_info 0
		.amdhsa_system_vgpr_workitem_id 0
		.amdhsa_next_free_vgpr 27
		.amdhsa_next_free_sgpr 24
		.amdhsa_accum_offset 28
		.amdhsa_reserve_vcc 1
		.amdhsa_reserve_flat_scratch 0
		.amdhsa_float_round_mode_32 0
		.amdhsa_float_round_mode_16_64 0
		.amdhsa_float_denorm_mode_32 3
		.amdhsa_float_denorm_mode_16_64 3
		.amdhsa_dx10_clamp 1
		.amdhsa_ieee_mode 1
		.amdhsa_fp16_overflow 0
		.amdhsa_tg_split 0
		.amdhsa_exception_fp_ieee_invalid_op 0
		.amdhsa_exception_fp_denorm_src 0
		.amdhsa_exception_fp_ieee_div_zero 0
		.amdhsa_exception_fp_ieee_overflow 0
		.amdhsa_exception_fp_ieee_underflow 0
		.amdhsa_exception_fp_ieee_inexact 0
		.amdhsa_exception_int_div_zero 0
	.end_amdhsa_kernel
	.section	.text._ZN7rocprim17ROCPRIM_400000_NS6detail17trampoline_kernelINS0_14default_configENS1_20scan_config_selectorI11FixedVectorIiLj1EEEEZZNS1_9scan_implILNS1_25lookback_scan_determinismE0ELb0ELb0ES3_N6thrust23THRUST_200600_302600_NS6detail15normal_iteratorINSB_10device_ptrIS6_EEEESG_S6_NSB_4plusIvEES6_EEDaPvRmT3_T4_T5_mT6_P12ihipStream_tbENKUlT_T0_E_clISt17integral_constantIbLb1EESW_EEDaSR_SS_EUlSR_E0_NS1_11comp_targetILNS1_3genE4ELNS1_11target_archE910ELNS1_3gpuE8ELNS1_3repE0EEENS1_30default_config_static_selectorELNS0_4arch9wavefront6targetE1EEEvT1_,"axG",@progbits,_ZN7rocprim17ROCPRIM_400000_NS6detail17trampoline_kernelINS0_14default_configENS1_20scan_config_selectorI11FixedVectorIiLj1EEEEZZNS1_9scan_implILNS1_25lookback_scan_determinismE0ELb0ELb0ES3_N6thrust23THRUST_200600_302600_NS6detail15normal_iteratorINSB_10device_ptrIS6_EEEESG_S6_NSB_4plusIvEES6_EEDaPvRmT3_T4_T5_mT6_P12ihipStream_tbENKUlT_T0_E_clISt17integral_constantIbLb1EESW_EEDaSR_SS_EUlSR_E0_NS1_11comp_targetILNS1_3genE4ELNS1_11target_archE910ELNS1_3gpuE8ELNS1_3repE0EEENS1_30default_config_static_selectorELNS0_4arch9wavefront6targetE1EEEvT1_,comdat
.Lfunc_end6417:
	.size	_ZN7rocprim17ROCPRIM_400000_NS6detail17trampoline_kernelINS0_14default_configENS1_20scan_config_selectorI11FixedVectorIiLj1EEEEZZNS1_9scan_implILNS1_25lookback_scan_determinismE0ELb0ELb0ES3_N6thrust23THRUST_200600_302600_NS6detail15normal_iteratorINSB_10device_ptrIS6_EEEESG_S6_NSB_4plusIvEES6_EEDaPvRmT3_T4_T5_mT6_P12ihipStream_tbENKUlT_T0_E_clISt17integral_constantIbLb1EESW_EEDaSR_SS_EUlSR_E0_NS1_11comp_targetILNS1_3genE4ELNS1_11target_archE910ELNS1_3gpuE8ELNS1_3repE0EEENS1_30default_config_static_selectorELNS0_4arch9wavefront6targetE1EEEvT1_, .Lfunc_end6417-_ZN7rocprim17ROCPRIM_400000_NS6detail17trampoline_kernelINS0_14default_configENS1_20scan_config_selectorI11FixedVectorIiLj1EEEEZZNS1_9scan_implILNS1_25lookback_scan_determinismE0ELb0ELb0ES3_N6thrust23THRUST_200600_302600_NS6detail15normal_iteratorINSB_10device_ptrIS6_EEEESG_S6_NSB_4plusIvEES6_EEDaPvRmT3_T4_T5_mT6_P12ihipStream_tbENKUlT_T0_E_clISt17integral_constantIbLb1EESW_EEDaSR_SS_EUlSR_E0_NS1_11comp_targetILNS1_3genE4ELNS1_11target_archE910ELNS1_3gpuE8ELNS1_3repE0EEENS1_30default_config_static_selectorELNS0_4arch9wavefront6targetE1EEEvT1_
                                        ; -- End function
	.section	.AMDGPU.csdata,"",@progbits
; Kernel info:
; codeLenInByte = 1556
; NumSgprs: 28
; NumVgprs: 27
; NumAgprs: 0
; TotalNumVgprs: 27
; ScratchSize: 0
; MemoryBound: 0
; FloatMode: 240
; IeeeMode: 1
; LDSByteSize: 5120 bytes/workgroup (compile time only)
; SGPRBlocks: 3
; VGPRBlocks: 3
; NumSGPRsForWavesPerEU: 28
; NumVGPRsForWavesPerEU: 27
; AccumOffset: 28
; Occupancy: 6
; WaveLimiterHint : 0
; COMPUTE_PGM_RSRC2:SCRATCH_EN: 0
; COMPUTE_PGM_RSRC2:USER_SGPR: 6
; COMPUTE_PGM_RSRC2:TRAP_HANDLER: 0
; COMPUTE_PGM_RSRC2:TGID_X_EN: 1
; COMPUTE_PGM_RSRC2:TGID_Y_EN: 0
; COMPUTE_PGM_RSRC2:TGID_Z_EN: 0
; COMPUTE_PGM_RSRC2:TIDIG_COMP_CNT: 0
; COMPUTE_PGM_RSRC3_GFX90A:ACCUM_OFFSET: 6
; COMPUTE_PGM_RSRC3_GFX90A:TG_SPLIT: 0
	.section	.text._ZN7rocprim17ROCPRIM_400000_NS6detail17trampoline_kernelINS0_14default_configENS1_20scan_config_selectorI11FixedVectorIiLj1EEEEZZNS1_9scan_implILNS1_25lookback_scan_determinismE0ELb0ELb0ES3_N6thrust23THRUST_200600_302600_NS6detail15normal_iteratorINSB_10device_ptrIS6_EEEESG_S6_NSB_4plusIvEES6_EEDaPvRmT3_T4_T5_mT6_P12ihipStream_tbENKUlT_T0_E_clISt17integral_constantIbLb1EESW_EEDaSR_SS_EUlSR_E0_NS1_11comp_targetILNS1_3genE3ELNS1_11target_archE908ELNS1_3gpuE7ELNS1_3repE0EEENS1_30default_config_static_selectorELNS0_4arch9wavefront6targetE1EEEvT1_,"axG",@progbits,_ZN7rocprim17ROCPRIM_400000_NS6detail17trampoline_kernelINS0_14default_configENS1_20scan_config_selectorI11FixedVectorIiLj1EEEEZZNS1_9scan_implILNS1_25lookback_scan_determinismE0ELb0ELb0ES3_N6thrust23THRUST_200600_302600_NS6detail15normal_iteratorINSB_10device_ptrIS6_EEEESG_S6_NSB_4plusIvEES6_EEDaPvRmT3_T4_T5_mT6_P12ihipStream_tbENKUlT_T0_E_clISt17integral_constantIbLb1EESW_EEDaSR_SS_EUlSR_E0_NS1_11comp_targetILNS1_3genE3ELNS1_11target_archE908ELNS1_3gpuE7ELNS1_3repE0EEENS1_30default_config_static_selectorELNS0_4arch9wavefront6targetE1EEEvT1_,comdat
	.protected	_ZN7rocprim17ROCPRIM_400000_NS6detail17trampoline_kernelINS0_14default_configENS1_20scan_config_selectorI11FixedVectorIiLj1EEEEZZNS1_9scan_implILNS1_25lookback_scan_determinismE0ELb0ELb0ES3_N6thrust23THRUST_200600_302600_NS6detail15normal_iteratorINSB_10device_ptrIS6_EEEESG_S6_NSB_4plusIvEES6_EEDaPvRmT3_T4_T5_mT6_P12ihipStream_tbENKUlT_T0_E_clISt17integral_constantIbLb1EESW_EEDaSR_SS_EUlSR_E0_NS1_11comp_targetILNS1_3genE3ELNS1_11target_archE908ELNS1_3gpuE7ELNS1_3repE0EEENS1_30default_config_static_selectorELNS0_4arch9wavefront6targetE1EEEvT1_ ; -- Begin function _ZN7rocprim17ROCPRIM_400000_NS6detail17trampoline_kernelINS0_14default_configENS1_20scan_config_selectorI11FixedVectorIiLj1EEEEZZNS1_9scan_implILNS1_25lookback_scan_determinismE0ELb0ELb0ES3_N6thrust23THRUST_200600_302600_NS6detail15normal_iteratorINSB_10device_ptrIS6_EEEESG_S6_NSB_4plusIvEES6_EEDaPvRmT3_T4_T5_mT6_P12ihipStream_tbENKUlT_T0_E_clISt17integral_constantIbLb1EESW_EEDaSR_SS_EUlSR_E0_NS1_11comp_targetILNS1_3genE3ELNS1_11target_archE908ELNS1_3gpuE7ELNS1_3repE0EEENS1_30default_config_static_selectorELNS0_4arch9wavefront6targetE1EEEvT1_
	.globl	_ZN7rocprim17ROCPRIM_400000_NS6detail17trampoline_kernelINS0_14default_configENS1_20scan_config_selectorI11FixedVectorIiLj1EEEEZZNS1_9scan_implILNS1_25lookback_scan_determinismE0ELb0ELb0ES3_N6thrust23THRUST_200600_302600_NS6detail15normal_iteratorINSB_10device_ptrIS6_EEEESG_S6_NSB_4plusIvEES6_EEDaPvRmT3_T4_T5_mT6_P12ihipStream_tbENKUlT_T0_E_clISt17integral_constantIbLb1EESW_EEDaSR_SS_EUlSR_E0_NS1_11comp_targetILNS1_3genE3ELNS1_11target_archE908ELNS1_3gpuE7ELNS1_3repE0EEENS1_30default_config_static_selectorELNS0_4arch9wavefront6targetE1EEEvT1_
	.p2align	8
	.type	_ZN7rocprim17ROCPRIM_400000_NS6detail17trampoline_kernelINS0_14default_configENS1_20scan_config_selectorI11FixedVectorIiLj1EEEEZZNS1_9scan_implILNS1_25lookback_scan_determinismE0ELb0ELb0ES3_N6thrust23THRUST_200600_302600_NS6detail15normal_iteratorINSB_10device_ptrIS6_EEEESG_S6_NSB_4plusIvEES6_EEDaPvRmT3_T4_T5_mT6_P12ihipStream_tbENKUlT_T0_E_clISt17integral_constantIbLb1EESW_EEDaSR_SS_EUlSR_E0_NS1_11comp_targetILNS1_3genE3ELNS1_11target_archE908ELNS1_3gpuE7ELNS1_3repE0EEENS1_30default_config_static_selectorELNS0_4arch9wavefront6targetE1EEEvT1_,@function
_ZN7rocprim17ROCPRIM_400000_NS6detail17trampoline_kernelINS0_14default_configENS1_20scan_config_selectorI11FixedVectorIiLj1EEEEZZNS1_9scan_implILNS1_25lookback_scan_determinismE0ELb0ELb0ES3_N6thrust23THRUST_200600_302600_NS6detail15normal_iteratorINSB_10device_ptrIS6_EEEESG_S6_NSB_4plusIvEES6_EEDaPvRmT3_T4_T5_mT6_P12ihipStream_tbENKUlT_T0_E_clISt17integral_constantIbLb1EESW_EEDaSR_SS_EUlSR_E0_NS1_11comp_targetILNS1_3genE3ELNS1_11target_archE908ELNS1_3gpuE7ELNS1_3repE0EEENS1_30default_config_static_selectorELNS0_4arch9wavefront6targetE1EEEvT1_: ; @_ZN7rocprim17ROCPRIM_400000_NS6detail17trampoline_kernelINS0_14default_configENS1_20scan_config_selectorI11FixedVectorIiLj1EEEEZZNS1_9scan_implILNS1_25lookback_scan_determinismE0ELb0ELb0ES3_N6thrust23THRUST_200600_302600_NS6detail15normal_iteratorINSB_10device_ptrIS6_EEEESG_S6_NSB_4plusIvEES6_EEDaPvRmT3_T4_T5_mT6_P12ihipStream_tbENKUlT_T0_E_clISt17integral_constantIbLb1EESW_EEDaSR_SS_EUlSR_E0_NS1_11comp_targetILNS1_3genE3ELNS1_11target_archE908ELNS1_3gpuE7ELNS1_3repE0EEENS1_30default_config_static_selectorELNS0_4arch9wavefront6targetE1EEEvT1_
; %bb.0:
	.section	.rodata,"a",@progbits
	.p2align	6, 0x0
	.amdhsa_kernel _ZN7rocprim17ROCPRIM_400000_NS6detail17trampoline_kernelINS0_14default_configENS1_20scan_config_selectorI11FixedVectorIiLj1EEEEZZNS1_9scan_implILNS1_25lookback_scan_determinismE0ELb0ELb0ES3_N6thrust23THRUST_200600_302600_NS6detail15normal_iteratorINSB_10device_ptrIS6_EEEESG_S6_NSB_4plusIvEES6_EEDaPvRmT3_T4_T5_mT6_P12ihipStream_tbENKUlT_T0_E_clISt17integral_constantIbLb1EESW_EEDaSR_SS_EUlSR_E0_NS1_11comp_targetILNS1_3genE3ELNS1_11target_archE908ELNS1_3gpuE7ELNS1_3repE0EEENS1_30default_config_static_selectorELNS0_4arch9wavefront6targetE1EEEvT1_
		.amdhsa_group_segment_fixed_size 0
		.amdhsa_private_segment_fixed_size 0
		.amdhsa_kernarg_size 32
		.amdhsa_user_sgpr_count 6
		.amdhsa_user_sgpr_private_segment_buffer 1
		.amdhsa_user_sgpr_dispatch_ptr 0
		.amdhsa_user_sgpr_queue_ptr 0
		.amdhsa_user_sgpr_kernarg_segment_ptr 1
		.amdhsa_user_sgpr_dispatch_id 0
		.amdhsa_user_sgpr_flat_scratch_init 0
		.amdhsa_user_sgpr_kernarg_preload_length 0
		.amdhsa_user_sgpr_kernarg_preload_offset 0
		.amdhsa_user_sgpr_private_segment_size 0
		.amdhsa_uses_dynamic_stack 0
		.amdhsa_system_sgpr_private_segment_wavefront_offset 0
		.amdhsa_system_sgpr_workgroup_id_x 1
		.amdhsa_system_sgpr_workgroup_id_y 0
		.amdhsa_system_sgpr_workgroup_id_z 0
		.amdhsa_system_sgpr_workgroup_info 0
		.amdhsa_system_vgpr_workitem_id 0
		.amdhsa_next_free_vgpr 1
		.amdhsa_next_free_sgpr 0
		.amdhsa_accum_offset 4
		.amdhsa_reserve_vcc 0
		.amdhsa_reserve_flat_scratch 0
		.amdhsa_float_round_mode_32 0
		.amdhsa_float_round_mode_16_64 0
		.amdhsa_float_denorm_mode_32 3
		.amdhsa_float_denorm_mode_16_64 3
		.amdhsa_dx10_clamp 1
		.amdhsa_ieee_mode 1
		.amdhsa_fp16_overflow 0
		.amdhsa_tg_split 0
		.amdhsa_exception_fp_ieee_invalid_op 0
		.amdhsa_exception_fp_denorm_src 0
		.amdhsa_exception_fp_ieee_div_zero 0
		.amdhsa_exception_fp_ieee_overflow 0
		.amdhsa_exception_fp_ieee_underflow 0
		.amdhsa_exception_fp_ieee_inexact 0
		.amdhsa_exception_int_div_zero 0
	.end_amdhsa_kernel
	.section	.text._ZN7rocprim17ROCPRIM_400000_NS6detail17trampoline_kernelINS0_14default_configENS1_20scan_config_selectorI11FixedVectorIiLj1EEEEZZNS1_9scan_implILNS1_25lookback_scan_determinismE0ELb0ELb0ES3_N6thrust23THRUST_200600_302600_NS6detail15normal_iteratorINSB_10device_ptrIS6_EEEESG_S6_NSB_4plusIvEES6_EEDaPvRmT3_T4_T5_mT6_P12ihipStream_tbENKUlT_T0_E_clISt17integral_constantIbLb1EESW_EEDaSR_SS_EUlSR_E0_NS1_11comp_targetILNS1_3genE3ELNS1_11target_archE908ELNS1_3gpuE7ELNS1_3repE0EEENS1_30default_config_static_selectorELNS0_4arch9wavefront6targetE1EEEvT1_,"axG",@progbits,_ZN7rocprim17ROCPRIM_400000_NS6detail17trampoline_kernelINS0_14default_configENS1_20scan_config_selectorI11FixedVectorIiLj1EEEEZZNS1_9scan_implILNS1_25lookback_scan_determinismE0ELb0ELb0ES3_N6thrust23THRUST_200600_302600_NS6detail15normal_iteratorINSB_10device_ptrIS6_EEEESG_S6_NSB_4plusIvEES6_EEDaPvRmT3_T4_T5_mT6_P12ihipStream_tbENKUlT_T0_E_clISt17integral_constantIbLb1EESW_EEDaSR_SS_EUlSR_E0_NS1_11comp_targetILNS1_3genE3ELNS1_11target_archE908ELNS1_3gpuE7ELNS1_3repE0EEENS1_30default_config_static_selectorELNS0_4arch9wavefront6targetE1EEEvT1_,comdat
.Lfunc_end6418:
	.size	_ZN7rocprim17ROCPRIM_400000_NS6detail17trampoline_kernelINS0_14default_configENS1_20scan_config_selectorI11FixedVectorIiLj1EEEEZZNS1_9scan_implILNS1_25lookback_scan_determinismE0ELb0ELb0ES3_N6thrust23THRUST_200600_302600_NS6detail15normal_iteratorINSB_10device_ptrIS6_EEEESG_S6_NSB_4plusIvEES6_EEDaPvRmT3_T4_T5_mT6_P12ihipStream_tbENKUlT_T0_E_clISt17integral_constantIbLb1EESW_EEDaSR_SS_EUlSR_E0_NS1_11comp_targetILNS1_3genE3ELNS1_11target_archE908ELNS1_3gpuE7ELNS1_3repE0EEENS1_30default_config_static_selectorELNS0_4arch9wavefront6targetE1EEEvT1_, .Lfunc_end6418-_ZN7rocprim17ROCPRIM_400000_NS6detail17trampoline_kernelINS0_14default_configENS1_20scan_config_selectorI11FixedVectorIiLj1EEEEZZNS1_9scan_implILNS1_25lookback_scan_determinismE0ELb0ELb0ES3_N6thrust23THRUST_200600_302600_NS6detail15normal_iteratorINSB_10device_ptrIS6_EEEESG_S6_NSB_4plusIvEES6_EEDaPvRmT3_T4_T5_mT6_P12ihipStream_tbENKUlT_T0_E_clISt17integral_constantIbLb1EESW_EEDaSR_SS_EUlSR_E0_NS1_11comp_targetILNS1_3genE3ELNS1_11target_archE908ELNS1_3gpuE7ELNS1_3repE0EEENS1_30default_config_static_selectorELNS0_4arch9wavefront6targetE1EEEvT1_
                                        ; -- End function
	.section	.AMDGPU.csdata,"",@progbits
; Kernel info:
; codeLenInByte = 0
; NumSgprs: 4
; NumVgprs: 0
; NumAgprs: 0
; TotalNumVgprs: 0
; ScratchSize: 0
; MemoryBound: 0
; FloatMode: 240
; IeeeMode: 1
; LDSByteSize: 0 bytes/workgroup (compile time only)
; SGPRBlocks: 0
; VGPRBlocks: 0
; NumSGPRsForWavesPerEU: 4
; NumVGPRsForWavesPerEU: 1
; AccumOffset: 4
; Occupancy: 8
; WaveLimiterHint : 0
; COMPUTE_PGM_RSRC2:SCRATCH_EN: 0
; COMPUTE_PGM_RSRC2:USER_SGPR: 6
; COMPUTE_PGM_RSRC2:TRAP_HANDLER: 0
; COMPUTE_PGM_RSRC2:TGID_X_EN: 1
; COMPUTE_PGM_RSRC2:TGID_Y_EN: 0
; COMPUTE_PGM_RSRC2:TGID_Z_EN: 0
; COMPUTE_PGM_RSRC2:TIDIG_COMP_CNT: 0
; COMPUTE_PGM_RSRC3_GFX90A:ACCUM_OFFSET: 0
; COMPUTE_PGM_RSRC3_GFX90A:TG_SPLIT: 0
	.section	.text._ZN7rocprim17ROCPRIM_400000_NS6detail17trampoline_kernelINS0_14default_configENS1_20scan_config_selectorI11FixedVectorIiLj1EEEEZZNS1_9scan_implILNS1_25lookback_scan_determinismE0ELb0ELb0ES3_N6thrust23THRUST_200600_302600_NS6detail15normal_iteratorINSB_10device_ptrIS6_EEEESG_S6_NSB_4plusIvEES6_EEDaPvRmT3_T4_T5_mT6_P12ihipStream_tbENKUlT_T0_E_clISt17integral_constantIbLb1EESW_EEDaSR_SS_EUlSR_E0_NS1_11comp_targetILNS1_3genE2ELNS1_11target_archE906ELNS1_3gpuE6ELNS1_3repE0EEENS1_30default_config_static_selectorELNS0_4arch9wavefront6targetE1EEEvT1_,"axG",@progbits,_ZN7rocprim17ROCPRIM_400000_NS6detail17trampoline_kernelINS0_14default_configENS1_20scan_config_selectorI11FixedVectorIiLj1EEEEZZNS1_9scan_implILNS1_25lookback_scan_determinismE0ELb0ELb0ES3_N6thrust23THRUST_200600_302600_NS6detail15normal_iteratorINSB_10device_ptrIS6_EEEESG_S6_NSB_4plusIvEES6_EEDaPvRmT3_T4_T5_mT6_P12ihipStream_tbENKUlT_T0_E_clISt17integral_constantIbLb1EESW_EEDaSR_SS_EUlSR_E0_NS1_11comp_targetILNS1_3genE2ELNS1_11target_archE906ELNS1_3gpuE6ELNS1_3repE0EEENS1_30default_config_static_selectorELNS0_4arch9wavefront6targetE1EEEvT1_,comdat
	.protected	_ZN7rocprim17ROCPRIM_400000_NS6detail17trampoline_kernelINS0_14default_configENS1_20scan_config_selectorI11FixedVectorIiLj1EEEEZZNS1_9scan_implILNS1_25lookback_scan_determinismE0ELb0ELb0ES3_N6thrust23THRUST_200600_302600_NS6detail15normal_iteratorINSB_10device_ptrIS6_EEEESG_S6_NSB_4plusIvEES6_EEDaPvRmT3_T4_T5_mT6_P12ihipStream_tbENKUlT_T0_E_clISt17integral_constantIbLb1EESW_EEDaSR_SS_EUlSR_E0_NS1_11comp_targetILNS1_3genE2ELNS1_11target_archE906ELNS1_3gpuE6ELNS1_3repE0EEENS1_30default_config_static_selectorELNS0_4arch9wavefront6targetE1EEEvT1_ ; -- Begin function _ZN7rocprim17ROCPRIM_400000_NS6detail17trampoline_kernelINS0_14default_configENS1_20scan_config_selectorI11FixedVectorIiLj1EEEEZZNS1_9scan_implILNS1_25lookback_scan_determinismE0ELb0ELb0ES3_N6thrust23THRUST_200600_302600_NS6detail15normal_iteratorINSB_10device_ptrIS6_EEEESG_S6_NSB_4plusIvEES6_EEDaPvRmT3_T4_T5_mT6_P12ihipStream_tbENKUlT_T0_E_clISt17integral_constantIbLb1EESW_EEDaSR_SS_EUlSR_E0_NS1_11comp_targetILNS1_3genE2ELNS1_11target_archE906ELNS1_3gpuE6ELNS1_3repE0EEENS1_30default_config_static_selectorELNS0_4arch9wavefront6targetE1EEEvT1_
	.globl	_ZN7rocprim17ROCPRIM_400000_NS6detail17trampoline_kernelINS0_14default_configENS1_20scan_config_selectorI11FixedVectorIiLj1EEEEZZNS1_9scan_implILNS1_25lookback_scan_determinismE0ELb0ELb0ES3_N6thrust23THRUST_200600_302600_NS6detail15normal_iteratorINSB_10device_ptrIS6_EEEESG_S6_NSB_4plusIvEES6_EEDaPvRmT3_T4_T5_mT6_P12ihipStream_tbENKUlT_T0_E_clISt17integral_constantIbLb1EESW_EEDaSR_SS_EUlSR_E0_NS1_11comp_targetILNS1_3genE2ELNS1_11target_archE906ELNS1_3gpuE6ELNS1_3repE0EEENS1_30default_config_static_selectorELNS0_4arch9wavefront6targetE1EEEvT1_
	.p2align	8
	.type	_ZN7rocprim17ROCPRIM_400000_NS6detail17trampoline_kernelINS0_14default_configENS1_20scan_config_selectorI11FixedVectorIiLj1EEEEZZNS1_9scan_implILNS1_25lookback_scan_determinismE0ELb0ELb0ES3_N6thrust23THRUST_200600_302600_NS6detail15normal_iteratorINSB_10device_ptrIS6_EEEESG_S6_NSB_4plusIvEES6_EEDaPvRmT3_T4_T5_mT6_P12ihipStream_tbENKUlT_T0_E_clISt17integral_constantIbLb1EESW_EEDaSR_SS_EUlSR_E0_NS1_11comp_targetILNS1_3genE2ELNS1_11target_archE906ELNS1_3gpuE6ELNS1_3repE0EEENS1_30default_config_static_selectorELNS0_4arch9wavefront6targetE1EEEvT1_,@function
_ZN7rocprim17ROCPRIM_400000_NS6detail17trampoline_kernelINS0_14default_configENS1_20scan_config_selectorI11FixedVectorIiLj1EEEEZZNS1_9scan_implILNS1_25lookback_scan_determinismE0ELb0ELb0ES3_N6thrust23THRUST_200600_302600_NS6detail15normal_iteratorINSB_10device_ptrIS6_EEEESG_S6_NSB_4plusIvEES6_EEDaPvRmT3_T4_T5_mT6_P12ihipStream_tbENKUlT_T0_E_clISt17integral_constantIbLb1EESW_EEDaSR_SS_EUlSR_E0_NS1_11comp_targetILNS1_3genE2ELNS1_11target_archE906ELNS1_3gpuE6ELNS1_3repE0EEENS1_30default_config_static_selectorELNS0_4arch9wavefront6targetE1EEEvT1_: ; @_ZN7rocprim17ROCPRIM_400000_NS6detail17trampoline_kernelINS0_14default_configENS1_20scan_config_selectorI11FixedVectorIiLj1EEEEZZNS1_9scan_implILNS1_25lookback_scan_determinismE0ELb0ELb0ES3_N6thrust23THRUST_200600_302600_NS6detail15normal_iteratorINSB_10device_ptrIS6_EEEESG_S6_NSB_4plusIvEES6_EEDaPvRmT3_T4_T5_mT6_P12ihipStream_tbENKUlT_T0_E_clISt17integral_constantIbLb1EESW_EEDaSR_SS_EUlSR_E0_NS1_11comp_targetILNS1_3genE2ELNS1_11target_archE906ELNS1_3gpuE6ELNS1_3repE0EEENS1_30default_config_static_selectorELNS0_4arch9wavefront6targetE1EEEvT1_
; %bb.0:
	.section	.rodata,"a",@progbits
	.p2align	6, 0x0
	.amdhsa_kernel _ZN7rocprim17ROCPRIM_400000_NS6detail17trampoline_kernelINS0_14default_configENS1_20scan_config_selectorI11FixedVectorIiLj1EEEEZZNS1_9scan_implILNS1_25lookback_scan_determinismE0ELb0ELb0ES3_N6thrust23THRUST_200600_302600_NS6detail15normal_iteratorINSB_10device_ptrIS6_EEEESG_S6_NSB_4plusIvEES6_EEDaPvRmT3_T4_T5_mT6_P12ihipStream_tbENKUlT_T0_E_clISt17integral_constantIbLb1EESW_EEDaSR_SS_EUlSR_E0_NS1_11comp_targetILNS1_3genE2ELNS1_11target_archE906ELNS1_3gpuE6ELNS1_3repE0EEENS1_30default_config_static_selectorELNS0_4arch9wavefront6targetE1EEEvT1_
		.amdhsa_group_segment_fixed_size 0
		.amdhsa_private_segment_fixed_size 0
		.amdhsa_kernarg_size 32
		.amdhsa_user_sgpr_count 6
		.amdhsa_user_sgpr_private_segment_buffer 1
		.amdhsa_user_sgpr_dispatch_ptr 0
		.amdhsa_user_sgpr_queue_ptr 0
		.amdhsa_user_sgpr_kernarg_segment_ptr 1
		.amdhsa_user_sgpr_dispatch_id 0
		.amdhsa_user_sgpr_flat_scratch_init 0
		.amdhsa_user_sgpr_kernarg_preload_length 0
		.amdhsa_user_sgpr_kernarg_preload_offset 0
		.amdhsa_user_sgpr_private_segment_size 0
		.amdhsa_uses_dynamic_stack 0
		.amdhsa_system_sgpr_private_segment_wavefront_offset 0
		.amdhsa_system_sgpr_workgroup_id_x 1
		.amdhsa_system_sgpr_workgroup_id_y 0
		.amdhsa_system_sgpr_workgroup_id_z 0
		.amdhsa_system_sgpr_workgroup_info 0
		.amdhsa_system_vgpr_workitem_id 0
		.amdhsa_next_free_vgpr 1
		.amdhsa_next_free_sgpr 0
		.amdhsa_accum_offset 4
		.amdhsa_reserve_vcc 0
		.amdhsa_reserve_flat_scratch 0
		.amdhsa_float_round_mode_32 0
		.amdhsa_float_round_mode_16_64 0
		.amdhsa_float_denorm_mode_32 3
		.amdhsa_float_denorm_mode_16_64 3
		.amdhsa_dx10_clamp 1
		.amdhsa_ieee_mode 1
		.amdhsa_fp16_overflow 0
		.amdhsa_tg_split 0
		.amdhsa_exception_fp_ieee_invalid_op 0
		.amdhsa_exception_fp_denorm_src 0
		.amdhsa_exception_fp_ieee_div_zero 0
		.amdhsa_exception_fp_ieee_overflow 0
		.amdhsa_exception_fp_ieee_underflow 0
		.amdhsa_exception_fp_ieee_inexact 0
		.amdhsa_exception_int_div_zero 0
	.end_amdhsa_kernel
	.section	.text._ZN7rocprim17ROCPRIM_400000_NS6detail17trampoline_kernelINS0_14default_configENS1_20scan_config_selectorI11FixedVectorIiLj1EEEEZZNS1_9scan_implILNS1_25lookback_scan_determinismE0ELb0ELb0ES3_N6thrust23THRUST_200600_302600_NS6detail15normal_iteratorINSB_10device_ptrIS6_EEEESG_S6_NSB_4plusIvEES6_EEDaPvRmT3_T4_T5_mT6_P12ihipStream_tbENKUlT_T0_E_clISt17integral_constantIbLb1EESW_EEDaSR_SS_EUlSR_E0_NS1_11comp_targetILNS1_3genE2ELNS1_11target_archE906ELNS1_3gpuE6ELNS1_3repE0EEENS1_30default_config_static_selectorELNS0_4arch9wavefront6targetE1EEEvT1_,"axG",@progbits,_ZN7rocprim17ROCPRIM_400000_NS6detail17trampoline_kernelINS0_14default_configENS1_20scan_config_selectorI11FixedVectorIiLj1EEEEZZNS1_9scan_implILNS1_25lookback_scan_determinismE0ELb0ELb0ES3_N6thrust23THRUST_200600_302600_NS6detail15normal_iteratorINSB_10device_ptrIS6_EEEESG_S6_NSB_4plusIvEES6_EEDaPvRmT3_T4_T5_mT6_P12ihipStream_tbENKUlT_T0_E_clISt17integral_constantIbLb1EESW_EEDaSR_SS_EUlSR_E0_NS1_11comp_targetILNS1_3genE2ELNS1_11target_archE906ELNS1_3gpuE6ELNS1_3repE0EEENS1_30default_config_static_selectorELNS0_4arch9wavefront6targetE1EEEvT1_,comdat
.Lfunc_end6419:
	.size	_ZN7rocprim17ROCPRIM_400000_NS6detail17trampoline_kernelINS0_14default_configENS1_20scan_config_selectorI11FixedVectorIiLj1EEEEZZNS1_9scan_implILNS1_25lookback_scan_determinismE0ELb0ELb0ES3_N6thrust23THRUST_200600_302600_NS6detail15normal_iteratorINSB_10device_ptrIS6_EEEESG_S6_NSB_4plusIvEES6_EEDaPvRmT3_T4_T5_mT6_P12ihipStream_tbENKUlT_T0_E_clISt17integral_constantIbLb1EESW_EEDaSR_SS_EUlSR_E0_NS1_11comp_targetILNS1_3genE2ELNS1_11target_archE906ELNS1_3gpuE6ELNS1_3repE0EEENS1_30default_config_static_selectorELNS0_4arch9wavefront6targetE1EEEvT1_, .Lfunc_end6419-_ZN7rocprim17ROCPRIM_400000_NS6detail17trampoline_kernelINS0_14default_configENS1_20scan_config_selectorI11FixedVectorIiLj1EEEEZZNS1_9scan_implILNS1_25lookback_scan_determinismE0ELb0ELb0ES3_N6thrust23THRUST_200600_302600_NS6detail15normal_iteratorINSB_10device_ptrIS6_EEEESG_S6_NSB_4plusIvEES6_EEDaPvRmT3_T4_T5_mT6_P12ihipStream_tbENKUlT_T0_E_clISt17integral_constantIbLb1EESW_EEDaSR_SS_EUlSR_E0_NS1_11comp_targetILNS1_3genE2ELNS1_11target_archE906ELNS1_3gpuE6ELNS1_3repE0EEENS1_30default_config_static_selectorELNS0_4arch9wavefront6targetE1EEEvT1_
                                        ; -- End function
	.section	.AMDGPU.csdata,"",@progbits
; Kernel info:
; codeLenInByte = 0
; NumSgprs: 4
; NumVgprs: 0
; NumAgprs: 0
; TotalNumVgprs: 0
; ScratchSize: 0
; MemoryBound: 0
; FloatMode: 240
; IeeeMode: 1
; LDSByteSize: 0 bytes/workgroup (compile time only)
; SGPRBlocks: 0
; VGPRBlocks: 0
; NumSGPRsForWavesPerEU: 4
; NumVGPRsForWavesPerEU: 1
; AccumOffset: 4
; Occupancy: 8
; WaveLimiterHint : 0
; COMPUTE_PGM_RSRC2:SCRATCH_EN: 0
; COMPUTE_PGM_RSRC2:USER_SGPR: 6
; COMPUTE_PGM_RSRC2:TRAP_HANDLER: 0
; COMPUTE_PGM_RSRC2:TGID_X_EN: 1
; COMPUTE_PGM_RSRC2:TGID_Y_EN: 0
; COMPUTE_PGM_RSRC2:TGID_Z_EN: 0
; COMPUTE_PGM_RSRC2:TIDIG_COMP_CNT: 0
; COMPUTE_PGM_RSRC3_GFX90A:ACCUM_OFFSET: 0
; COMPUTE_PGM_RSRC3_GFX90A:TG_SPLIT: 0
	.section	.text._ZN7rocprim17ROCPRIM_400000_NS6detail17trampoline_kernelINS0_14default_configENS1_20scan_config_selectorI11FixedVectorIiLj1EEEEZZNS1_9scan_implILNS1_25lookback_scan_determinismE0ELb0ELb0ES3_N6thrust23THRUST_200600_302600_NS6detail15normal_iteratorINSB_10device_ptrIS6_EEEESG_S6_NSB_4plusIvEES6_EEDaPvRmT3_T4_T5_mT6_P12ihipStream_tbENKUlT_T0_E_clISt17integral_constantIbLb1EESW_EEDaSR_SS_EUlSR_E0_NS1_11comp_targetILNS1_3genE10ELNS1_11target_archE1201ELNS1_3gpuE5ELNS1_3repE0EEENS1_30default_config_static_selectorELNS0_4arch9wavefront6targetE1EEEvT1_,"axG",@progbits,_ZN7rocprim17ROCPRIM_400000_NS6detail17trampoline_kernelINS0_14default_configENS1_20scan_config_selectorI11FixedVectorIiLj1EEEEZZNS1_9scan_implILNS1_25lookback_scan_determinismE0ELb0ELb0ES3_N6thrust23THRUST_200600_302600_NS6detail15normal_iteratorINSB_10device_ptrIS6_EEEESG_S6_NSB_4plusIvEES6_EEDaPvRmT3_T4_T5_mT6_P12ihipStream_tbENKUlT_T0_E_clISt17integral_constantIbLb1EESW_EEDaSR_SS_EUlSR_E0_NS1_11comp_targetILNS1_3genE10ELNS1_11target_archE1201ELNS1_3gpuE5ELNS1_3repE0EEENS1_30default_config_static_selectorELNS0_4arch9wavefront6targetE1EEEvT1_,comdat
	.protected	_ZN7rocprim17ROCPRIM_400000_NS6detail17trampoline_kernelINS0_14default_configENS1_20scan_config_selectorI11FixedVectorIiLj1EEEEZZNS1_9scan_implILNS1_25lookback_scan_determinismE0ELb0ELb0ES3_N6thrust23THRUST_200600_302600_NS6detail15normal_iteratorINSB_10device_ptrIS6_EEEESG_S6_NSB_4plusIvEES6_EEDaPvRmT3_T4_T5_mT6_P12ihipStream_tbENKUlT_T0_E_clISt17integral_constantIbLb1EESW_EEDaSR_SS_EUlSR_E0_NS1_11comp_targetILNS1_3genE10ELNS1_11target_archE1201ELNS1_3gpuE5ELNS1_3repE0EEENS1_30default_config_static_selectorELNS0_4arch9wavefront6targetE1EEEvT1_ ; -- Begin function _ZN7rocprim17ROCPRIM_400000_NS6detail17trampoline_kernelINS0_14default_configENS1_20scan_config_selectorI11FixedVectorIiLj1EEEEZZNS1_9scan_implILNS1_25lookback_scan_determinismE0ELb0ELb0ES3_N6thrust23THRUST_200600_302600_NS6detail15normal_iteratorINSB_10device_ptrIS6_EEEESG_S6_NSB_4plusIvEES6_EEDaPvRmT3_T4_T5_mT6_P12ihipStream_tbENKUlT_T0_E_clISt17integral_constantIbLb1EESW_EEDaSR_SS_EUlSR_E0_NS1_11comp_targetILNS1_3genE10ELNS1_11target_archE1201ELNS1_3gpuE5ELNS1_3repE0EEENS1_30default_config_static_selectorELNS0_4arch9wavefront6targetE1EEEvT1_
	.globl	_ZN7rocprim17ROCPRIM_400000_NS6detail17trampoline_kernelINS0_14default_configENS1_20scan_config_selectorI11FixedVectorIiLj1EEEEZZNS1_9scan_implILNS1_25lookback_scan_determinismE0ELb0ELb0ES3_N6thrust23THRUST_200600_302600_NS6detail15normal_iteratorINSB_10device_ptrIS6_EEEESG_S6_NSB_4plusIvEES6_EEDaPvRmT3_T4_T5_mT6_P12ihipStream_tbENKUlT_T0_E_clISt17integral_constantIbLb1EESW_EEDaSR_SS_EUlSR_E0_NS1_11comp_targetILNS1_3genE10ELNS1_11target_archE1201ELNS1_3gpuE5ELNS1_3repE0EEENS1_30default_config_static_selectorELNS0_4arch9wavefront6targetE1EEEvT1_
	.p2align	8
	.type	_ZN7rocprim17ROCPRIM_400000_NS6detail17trampoline_kernelINS0_14default_configENS1_20scan_config_selectorI11FixedVectorIiLj1EEEEZZNS1_9scan_implILNS1_25lookback_scan_determinismE0ELb0ELb0ES3_N6thrust23THRUST_200600_302600_NS6detail15normal_iteratorINSB_10device_ptrIS6_EEEESG_S6_NSB_4plusIvEES6_EEDaPvRmT3_T4_T5_mT6_P12ihipStream_tbENKUlT_T0_E_clISt17integral_constantIbLb1EESW_EEDaSR_SS_EUlSR_E0_NS1_11comp_targetILNS1_3genE10ELNS1_11target_archE1201ELNS1_3gpuE5ELNS1_3repE0EEENS1_30default_config_static_selectorELNS0_4arch9wavefront6targetE1EEEvT1_,@function
_ZN7rocprim17ROCPRIM_400000_NS6detail17trampoline_kernelINS0_14default_configENS1_20scan_config_selectorI11FixedVectorIiLj1EEEEZZNS1_9scan_implILNS1_25lookback_scan_determinismE0ELb0ELb0ES3_N6thrust23THRUST_200600_302600_NS6detail15normal_iteratorINSB_10device_ptrIS6_EEEESG_S6_NSB_4plusIvEES6_EEDaPvRmT3_T4_T5_mT6_P12ihipStream_tbENKUlT_T0_E_clISt17integral_constantIbLb1EESW_EEDaSR_SS_EUlSR_E0_NS1_11comp_targetILNS1_3genE10ELNS1_11target_archE1201ELNS1_3gpuE5ELNS1_3repE0EEENS1_30default_config_static_selectorELNS0_4arch9wavefront6targetE1EEEvT1_: ; @_ZN7rocprim17ROCPRIM_400000_NS6detail17trampoline_kernelINS0_14default_configENS1_20scan_config_selectorI11FixedVectorIiLj1EEEEZZNS1_9scan_implILNS1_25lookback_scan_determinismE0ELb0ELb0ES3_N6thrust23THRUST_200600_302600_NS6detail15normal_iteratorINSB_10device_ptrIS6_EEEESG_S6_NSB_4plusIvEES6_EEDaPvRmT3_T4_T5_mT6_P12ihipStream_tbENKUlT_T0_E_clISt17integral_constantIbLb1EESW_EEDaSR_SS_EUlSR_E0_NS1_11comp_targetILNS1_3genE10ELNS1_11target_archE1201ELNS1_3gpuE5ELNS1_3repE0EEENS1_30default_config_static_selectorELNS0_4arch9wavefront6targetE1EEEvT1_
; %bb.0:
	.section	.rodata,"a",@progbits
	.p2align	6, 0x0
	.amdhsa_kernel _ZN7rocprim17ROCPRIM_400000_NS6detail17trampoline_kernelINS0_14default_configENS1_20scan_config_selectorI11FixedVectorIiLj1EEEEZZNS1_9scan_implILNS1_25lookback_scan_determinismE0ELb0ELb0ES3_N6thrust23THRUST_200600_302600_NS6detail15normal_iteratorINSB_10device_ptrIS6_EEEESG_S6_NSB_4plusIvEES6_EEDaPvRmT3_T4_T5_mT6_P12ihipStream_tbENKUlT_T0_E_clISt17integral_constantIbLb1EESW_EEDaSR_SS_EUlSR_E0_NS1_11comp_targetILNS1_3genE10ELNS1_11target_archE1201ELNS1_3gpuE5ELNS1_3repE0EEENS1_30default_config_static_selectorELNS0_4arch9wavefront6targetE1EEEvT1_
		.amdhsa_group_segment_fixed_size 0
		.amdhsa_private_segment_fixed_size 0
		.amdhsa_kernarg_size 32
		.amdhsa_user_sgpr_count 6
		.amdhsa_user_sgpr_private_segment_buffer 1
		.amdhsa_user_sgpr_dispatch_ptr 0
		.amdhsa_user_sgpr_queue_ptr 0
		.amdhsa_user_sgpr_kernarg_segment_ptr 1
		.amdhsa_user_sgpr_dispatch_id 0
		.amdhsa_user_sgpr_flat_scratch_init 0
		.amdhsa_user_sgpr_kernarg_preload_length 0
		.amdhsa_user_sgpr_kernarg_preload_offset 0
		.amdhsa_user_sgpr_private_segment_size 0
		.amdhsa_uses_dynamic_stack 0
		.amdhsa_system_sgpr_private_segment_wavefront_offset 0
		.amdhsa_system_sgpr_workgroup_id_x 1
		.amdhsa_system_sgpr_workgroup_id_y 0
		.amdhsa_system_sgpr_workgroup_id_z 0
		.amdhsa_system_sgpr_workgroup_info 0
		.amdhsa_system_vgpr_workitem_id 0
		.amdhsa_next_free_vgpr 1
		.amdhsa_next_free_sgpr 0
		.amdhsa_accum_offset 4
		.amdhsa_reserve_vcc 0
		.amdhsa_reserve_flat_scratch 0
		.amdhsa_float_round_mode_32 0
		.amdhsa_float_round_mode_16_64 0
		.amdhsa_float_denorm_mode_32 3
		.amdhsa_float_denorm_mode_16_64 3
		.amdhsa_dx10_clamp 1
		.amdhsa_ieee_mode 1
		.amdhsa_fp16_overflow 0
		.amdhsa_tg_split 0
		.amdhsa_exception_fp_ieee_invalid_op 0
		.amdhsa_exception_fp_denorm_src 0
		.amdhsa_exception_fp_ieee_div_zero 0
		.amdhsa_exception_fp_ieee_overflow 0
		.amdhsa_exception_fp_ieee_underflow 0
		.amdhsa_exception_fp_ieee_inexact 0
		.amdhsa_exception_int_div_zero 0
	.end_amdhsa_kernel
	.section	.text._ZN7rocprim17ROCPRIM_400000_NS6detail17trampoline_kernelINS0_14default_configENS1_20scan_config_selectorI11FixedVectorIiLj1EEEEZZNS1_9scan_implILNS1_25lookback_scan_determinismE0ELb0ELb0ES3_N6thrust23THRUST_200600_302600_NS6detail15normal_iteratorINSB_10device_ptrIS6_EEEESG_S6_NSB_4plusIvEES6_EEDaPvRmT3_T4_T5_mT6_P12ihipStream_tbENKUlT_T0_E_clISt17integral_constantIbLb1EESW_EEDaSR_SS_EUlSR_E0_NS1_11comp_targetILNS1_3genE10ELNS1_11target_archE1201ELNS1_3gpuE5ELNS1_3repE0EEENS1_30default_config_static_selectorELNS0_4arch9wavefront6targetE1EEEvT1_,"axG",@progbits,_ZN7rocprim17ROCPRIM_400000_NS6detail17trampoline_kernelINS0_14default_configENS1_20scan_config_selectorI11FixedVectorIiLj1EEEEZZNS1_9scan_implILNS1_25lookback_scan_determinismE0ELb0ELb0ES3_N6thrust23THRUST_200600_302600_NS6detail15normal_iteratorINSB_10device_ptrIS6_EEEESG_S6_NSB_4plusIvEES6_EEDaPvRmT3_T4_T5_mT6_P12ihipStream_tbENKUlT_T0_E_clISt17integral_constantIbLb1EESW_EEDaSR_SS_EUlSR_E0_NS1_11comp_targetILNS1_3genE10ELNS1_11target_archE1201ELNS1_3gpuE5ELNS1_3repE0EEENS1_30default_config_static_selectorELNS0_4arch9wavefront6targetE1EEEvT1_,comdat
.Lfunc_end6420:
	.size	_ZN7rocprim17ROCPRIM_400000_NS6detail17trampoline_kernelINS0_14default_configENS1_20scan_config_selectorI11FixedVectorIiLj1EEEEZZNS1_9scan_implILNS1_25lookback_scan_determinismE0ELb0ELb0ES3_N6thrust23THRUST_200600_302600_NS6detail15normal_iteratorINSB_10device_ptrIS6_EEEESG_S6_NSB_4plusIvEES6_EEDaPvRmT3_T4_T5_mT6_P12ihipStream_tbENKUlT_T0_E_clISt17integral_constantIbLb1EESW_EEDaSR_SS_EUlSR_E0_NS1_11comp_targetILNS1_3genE10ELNS1_11target_archE1201ELNS1_3gpuE5ELNS1_3repE0EEENS1_30default_config_static_selectorELNS0_4arch9wavefront6targetE1EEEvT1_, .Lfunc_end6420-_ZN7rocprim17ROCPRIM_400000_NS6detail17trampoline_kernelINS0_14default_configENS1_20scan_config_selectorI11FixedVectorIiLj1EEEEZZNS1_9scan_implILNS1_25lookback_scan_determinismE0ELb0ELb0ES3_N6thrust23THRUST_200600_302600_NS6detail15normal_iteratorINSB_10device_ptrIS6_EEEESG_S6_NSB_4plusIvEES6_EEDaPvRmT3_T4_T5_mT6_P12ihipStream_tbENKUlT_T0_E_clISt17integral_constantIbLb1EESW_EEDaSR_SS_EUlSR_E0_NS1_11comp_targetILNS1_3genE10ELNS1_11target_archE1201ELNS1_3gpuE5ELNS1_3repE0EEENS1_30default_config_static_selectorELNS0_4arch9wavefront6targetE1EEEvT1_
                                        ; -- End function
	.section	.AMDGPU.csdata,"",@progbits
; Kernel info:
; codeLenInByte = 0
; NumSgprs: 4
; NumVgprs: 0
; NumAgprs: 0
; TotalNumVgprs: 0
; ScratchSize: 0
; MemoryBound: 0
; FloatMode: 240
; IeeeMode: 1
; LDSByteSize: 0 bytes/workgroup (compile time only)
; SGPRBlocks: 0
; VGPRBlocks: 0
; NumSGPRsForWavesPerEU: 4
; NumVGPRsForWavesPerEU: 1
; AccumOffset: 4
; Occupancy: 8
; WaveLimiterHint : 0
; COMPUTE_PGM_RSRC2:SCRATCH_EN: 0
; COMPUTE_PGM_RSRC2:USER_SGPR: 6
; COMPUTE_PGM_RSRC2:TRAP_HANDLER: 0
; COMPUTE_PGM_RSRC2:TGID_X_EN: 1
; COMPUTE_PGM_RSRC2:TGID_Y_EN: 0
; COMPUTE_PGM_RSRC2:TGID_Z_EN: 0
; COMPUTE_PGM_RSRC2:TIDIG_COMP_CNT: 0
; COMPUTE_PGM_RSRC3_GFX90A:ACCUM_OFFSET: 0
; COMPUTE_PGM_RSRC3_GFX90A:TG_SPLIT: 0
	.section	.text._ZN7rocprim17ROCPRIM_400000_NS6detail17trampoline_kernelINS0_14default_configENS1_20scan_config_selectorI11FixedVectorIiLj1EEEEZZNS1_9scan_implILNS1_25lookback_scan_determinismE0ELb0ELb0ES3_N6thrust23THRUST_200600_302600_NS6detail15normal_iteratorINSB_10device_ptrIS6_EEEESG_S6_NSB_4plusIvEES6_EEDaPvRmT3_T4_T5_mT6_P12ihipStream_tbENKUlT_T0_E_clISt17integral_constantIbLb1EESW_EEDaSR_SS_EUlSR_E0_NS1_11comp_targetILNS1_3genE10ELNS1_11target_archE1200ELNS1_3gpuE4ELNS1_3repE0EEENS1_30default_config_static_selectorELNS0_4arch9wavefront6targetE1EEEvT1_,"axG",@progbits,_ZN7rocprim17ROCPRIM_400000_NS6detail17trampoline_kernelINS0_14default_configENS1_20scan_config_selectorI11FixedVectorIiLj1EEEEZZNS1_9scan_implILNS1_25lookback_scan_determinismE0ELb0ELb0ES3_N6thrust23THRUST_200600_302600_NS6detail15normal_iteratorINSB_10device_ptrIS6_EEEESG_S6_NSB_4plusIvEES6_EEDaPvRmT3_T4_T5_mT6_P12ihipStream_tbENKUlT_T0_E_clISt17integral_constantIbLb1EESW_EEDaSR_SS_EUlSR_E0_NS1_11comp_targetILNS1_3genE10ELNS1_11target_archE1200ELNS1_3gpuE4ELNS1_3repE0EEENS1_30default_config_static_selectorELNS0_4arch9wavefront6targetE1EEEvT1_,comdat
	.protected	_ZN7rocprim17ROCPRIM_400000_NS6detail17trampoline_kernelINS0_14default_configENS1_20scan_config_selectorI11FixedVectorIiLj1EEEEZZNS1_9scan_implILNS1_25lookback_scan_determinismE0ELb0ELb0ES3_N6thrust23THRUST_200600_302600_NS6detail15normal_iteratorINSB_10device_ptrIS6_EEEESG_S6_NSB_4plusIvEES6_EEDaPvRmT3_T4_T5_mT6_P12ihipStream_tbENKUlT_T0_E_clISt17integral_constantIbLb1EESW_EEDaSR_SS_EUlSR_E0_NS1_11comp_targetILNS1_3genE10ELNS1_11target_archE1200ELNS1_3gpuE4ELNS1_3repE0EEENS1_30default_config_static_selectorELNS0_4arch9wavefront6targetE1EEEvT1_ ; -- Begin function _ZN7rocprim17ROCPRIM_400000_NS6detail17trampoline_kernelINS0_14default_configENS1_20scan_config_selectorI11FixedVectorIiLj1EEEEZZNS1_9scan_implILNS1_25lookback_scan_determinismE0ELb0ELb0ES3_N6thrust23THRUST_200600_302600_NS6detail15normal_iteratorINSB_10device_ptrIS6_EEEESG_S6_NSB_4plusIvEES6_EEDaPvRmT3_T4_T5_mT6_P12ihipStream_tbENKUlT_T0_E_clISt17integral_constantIbLb1EESW_EEDaSR_SS_EUlSR_E0_NS1_11comp_targetILNS1_3genE10ELNS1_11target_archE1200ELNS1_3gpuE4ELNS1_3repE0EEENS1_30default_config_static_selectorELNS0_4arch9wavefront6targetE1EEEvT1_
	.globl	_ZN7rocprim17ROCPRIM_400000_NS6detail17trampoline_kernelINS0_14default_configENS1_20scan_config_selectorI11FixedVectorIiLj1EEEEZZNS1_9scan_implILNS1_25lookback_scan_determinismE0ELb0ELb0ES3_N6thrust23THRUST_200600_302600_NS6detail15normal_iteratorINSB_10device_ptrIS6_EEEESG_S6_NSB_4plusIvEES6_EEDaPvRmT3_T4_T5_mT6_P12ihipStream_tbENKUlT_T0_E_clISt17integral_constantIbLb1EESW_EEDaSR_SS_EUlSR_E0_NS1_11comp_targetILNS1_3genE10ELNS1_11target_archE1200ELNS1_3gpuE4ELNS1_3repE0EEENS1_30default_config_static_selectorELNS0_4arch9wavefront6targetE1EEEvT1_
	.p2align	8
	.type	_ZN7rocprim17ROCPRIM_400000_NS6detail17trampoline_kernelINS0_14default_configENS1_20scan_config_selectorI11FixedVectorIiLj1EEEEZZNS1_9scan_implILNS1_25lookback_scan_determinismE0ELb0ELb0ES3_N6thrust23THRUST_200600_302600_NS6detail15normal_iteratorINSB_10device_ptrIS6_EEEESG_S6_NSB_4plusIvEES6_EEDaPvRmT3_T4_T5_mT6_P12ihipStream_tbENKUlT_T0_E_clISt17integral_constantIbLb1EESW_EEDaSR_SS_EUlSR_E0_NS1_11comp_targetILNS1_3genE10ELNS1_11target_archE1200ELNS1_3gpuE4ELNS1_3repE0EEENS1_30default_config_static_selectorELNS0_4arch9wavefront6targetE1EEEvT1_,@function
_ZN7rocprim17ROCPRIM_400000_NS6detail17trampoline_kernelINS0_14default_configENS1_20scan_config_selectorI11FixedVectorIiLj1EEEEZZNS1_9scan_implILNS1_25lookback_scan_determinismE0ELb0ELb0ES3_N6thrust23THRUST_200600_302600_NS6detail15normal_iteratorINSB_10device_ptrIS6_EEEESG_S6_NSB_4plusIvEES6_EEDaPvRmT3_T4_T5_mT6_P12ihipStream_tbENKUlT_T0_E_clISt17integral_constantIbLb1EESW_EEDaSR_SS_EUlSR_E0_NS1_11comp_targetILNS1_3genE10ELNS1_11target_archE1200ELNS1_3gpuE4ELNS1_3repE0EEENS1_30default_config_static_selectorELNS0_4arch9wavefront6targetE1EEEvT1_: ; @_ZN7rocprim17ROCPRIM_400000_NS6detail17trampoline_kernelINS0_14default_configENS1_20scan_config_selectorI11FixedVectorIiLj1EEEEZZNS1_9scan_implILNS1_25lookback_scan_determinismE0ELb0ELb0ES3_N6thrust23THRUST_200600_302600_NS6detail15normal_iteratorINSB_10device_ptrIS6_EEEESG_S6_NSB_4plusIvEES6_EEDaPvRmT3_T4_T5_mT6_P12ihipStream_tbENKUlT_T0_E_clISt17integral_constantIbLb1EESW_EEDaSR_SS_EUlSR_E0_NS1_11comp_targetILNS1_3genE10ELNS1_11target_archE1200ELNS1_3gpuE4ELNS1_3repE0EEENS1_30default_config_static_selectorELNS0_4arch9wavefront6targetE1EEEvT1_
; %bb.0:
	.section	.rodata,"a",@progbits
	.p2align	6, 0x0
	.amdhsa_kernel _ZN7rocprim17ROCPRIM_400000_NS6detail17trampoline_kernelINS0_14default_configENS1_20scan_config_selectorI11FixedVectorIiLj1EEEEZZNS1_9scan_implILNS1_25lookback_scan_determinismE0ELb0ELb0ES3_N6thrust23THRUST_200600_302600_NS6detail15normal_iteratorINSB_10device_ptrIS6_EEEESG_S6_NSB_4plusIvEES6_EEDaPvRmT3_T4_T5_mT6_P12ihipStream_tbENKUlT_T0_E_clISt17integral_constantIbLb1EESW_EEDaSR_SS_EUlSR_E0_NS1_11comp_targetILNS1_3genE10ELNS1_11target_archE1200ELNS1_3gpuE4ELNS1_3repE0EEENS1_30default_config_static_selectorELNS0_4arch9wavefront6targetE1EEEvT1_
		.amdhsa_group_segment_fixed_size 0
		.amdhsa_private_segment_fixed_size 0
		.amdhsa_kernarg_size 32
		.amdhsa_user_sgpr_count 6
		.amdhsa_user_sgpr_private_segment_buffer 1
		.amdhsa_user_sgpr_dispatch_ptr 0
		.amdhsa_user_sgpr_queue_ptr 0
		.amdhsa_user_sgpr_kernarg_segment_ptr 1
		.amdhsa_user_sgpr_dispatch_id 0
		.amdhsa_user_sgpr_flat_scratch_init 0
		.amdhsa_user_sgpr_kernarg_preload_length 0
		.amdhsa_user_sgpr_kernarg_preload_offset 0
		.amdhsa_user_sgpr_private_segment_size 0
		.amdhsa_uses_dynamic_stack 0
		.amdhsa_system_sgpr_private_segment_wavefront_offset 0
		.amdhsa_system_sgpr_workgroup_id_x 1
		.amdhsa_system_sgpr_workgroup_id_y 0
		.amdhsa_system_sgpr_workgroup_id_z 0
		.amdhsa_system_sgpr_workgroup_info 0
		.amdhsa_system_vgpr_workitem_id 0
		.amdhsa_next_free_vgpr 1
		.amdhsa_next_free_sgpr 0
		.amdhsa_accum_offset 4
		.amdhsa_reserve_vcc 0
		.amdhsa_reserve_flat_scratch 0
		.amdhsa_float_round_mode_32 0
		.amdhsa_float_round_mode_16_64 0
		.amdhsa_float_denorm_mode_32 3
		.amdhsa_float_denorm_mode_16_64 3
		.amdhsa_dx10_clamp 1
		.amdhsa_ieee_mode 1
		.amdhsa_fp16_overflow 0
		.amdhsa_tg_split 0
		.amdhsa_exception_fp_ieee_invalid_op 0
		.amdhsa_exception_fp_denorm_src 0
		.amdhsa_exception_fp_ieee_div_zero 0
		.amdhsa_exception_fp_ieee_overflow 0
		.amdhsa_exception_fp_ieee_underflow 0
		.amdhsa_exception_fp_ieee_inexact 0
		.amdhsa_exception_int_div_zero 0
	.end_amdhsa_kernel
	.section	.text._ZN7rocprim17ROCPRIM_400000_NS6detail17trampoline_kernelINS0_14default_configENS1_20scan_config_selectorI11FixedVectorIiLj1EEEEZZNS1_9scan_implILNS1_25lookback_scan_determinismE0ELb0ELb0ES3_N6thrust23THRUST_200600_302600_NS6detail15normal_iteratorINSB_10device_ptrIS6_EEEESG_S6_NSB_4plusIvEES6_EEDaPvRmT3_T4_T5_mT6_P12ihipStream_tbENKUlT_T0_E_clISt17integral_constantIbLb1EESW_EEDaSR_SS_EUlSR_E0_NS1_11comp_targetILNS1_3genE10ELNS1_11target_archE1200ELNS1_3gpuE4ELNS1_3repE0EEENS1_30default_config_static_selectorELNS0_4arch9wavefront6targetE1EEEvT1_,"axG",@progbits,_ZN7rocprim17ROCPRIM_400000_NS6detail17trampoline_kernelINS0_14default_configENS1_20scan_config_selectorI11FixedVectorIiLj1EEEEZZNS1_9scan_implILNS1_25lookback_scan_determinismE0ELb0ELb0ES3_N6thrust23THRUST_200600_302600_NS6detail15normal_iteratorINSB_10device_ptrIS6_EEEESG_S6_NSB_4plusIvEES6_EEDaPvRmT3_T4_T5_mT6_P12ihipStream_tbENKUlT_T0_E_clISt17integral_constantIbLb1EESW_EEDaSR_SS_EUlSR_E0_NS1_11comp_targetILNS1_3genE10ELNS1_11target_archE1200ELNS1_3gpuE4ELNS1_3repE0EEENS1_30default_config_static_selectorELNS0_4arch9wavefront6targetE1EEEvT1_,comdat
.Lfunc_end6421:
	.size	_ZN7rocprim17ROCPRIM_400000_NS6detail17trampoline_kernelINS0_14default_configENS1_20scan_config_selectorI11FixedVectorIiLj1EEEEZZNS1_9scan_implILNS1_25lookback_scan_determinismE0ELb0ELb0ES3_N6thrust23THRUST_200600_302600_NS6detail15normal_iteratorINSB_10device_ptrIS6_EEEESG_S6_NSB_4plusIvEES6_EEDaPvRmT3_T4_T5_mT6_P12ihipStream_tbENKUlT_T0_E_clISt17integral_constantIbLb1EESW_EEDaSR_SS_EUlSR_E0_NS1_11comp_targetILNS1_3genE10ELNS1_11target_archE1200ELNS1_3gpuE4ELNS1_3repE0EEENS1_30default_config_static_selectorELNS0_4arch9wavefront6targetE1EEEvT1_, .Lfunc_end6421-_ZN7rocprim17ROCPRIM_400000_NS6detail17trampoline_kernelINS0_14default_configENS1_20scan_config_selectorI11FixedVectorIiLj1EEEEZZNS1_9scan_implILNS1_25lookback_scan_determinismE0ELb0ELb0ES3_N6thrust23THRUST_200600_302600_NS6detail15normal_iteratorINSB_10device_ptrIS6_EEEESG_S6_NSB_4plusIvEES6_EEDaPvRmT3_T4_T5_mT6_P12ihipStream_tbENKUlT_T0_E_clISt17integral_constantIbLb1EESW_EEDaSR_SS_EUlSR_E0_NS1_11comp_targetILNS1_3genE10ELNS1_11target_archE1200ELNS1_3gpuE4ELNS1_3repE0EEENS1_30default_config_static_selectorELNS0_4arch9wavefront6targetE1EEEvT1_
                                        ; -- End function
	.section	.AMDGPU.csdata,"",@progbits
; Kernel info:
; codeLenInByte = 0
; NumSgprs: 4
; NumVgprs: 0
; NumAgprs: 0
; TotalNumVgprs: 0
; ScratchSize: 0
; MemoryBound: 0
; FloatMode: 240
; IeeeMode: 1
; LDSByteSize: 0 bytes/workgroup (compile time only)
; SGPRBlocks: 0
; VGPRBlocks: 0
; NumSGPRsForWavesPerEU: 4
; NumVGPRsForWavesPerEU: 1
; AccumOffset: 4
; Occupancy: 8
; WaveLimiterHint : 0
; COMPUTE_PGM_RSRC2:SCRATCH_EN: 0
; COMPUTE_PGM_RSRC2:USER_SGPR: 6
; COMPUTE_PGM_RSRC2:TRAP_HANDLER: 0
; COMPUTE_PGM_RSRC2:TGID_X_EN: 1
; COMPUTE_PGM_RSRC2:TGID_Y_EN: 0
; COMPUTE_PGM_RSRC2:TGID_Z_EN: 0
; COMPUTE_PGM_RSRC2:TIDIG_COMP_CNT: 0
; COMPUTE_PGM_RSRC3_GFX90A:ACCUM_OFFSET: 0
; COMPUTE_PGM_RSRC3_GFX90A:TG_SPLIT: 0
	.section	.text._ZN7rocprim17ROCPRIM_400000_NS6detail17trampoline_kernelINS0_14default_configENS1_20scan_config_selectorI11FixedVectorIiLj1EEEEZZNS1_9scan_implILNS1_25lookback_scan_determinismE0ELb0ELb0ES3_N6thrust23THRUST_200600_302600_NS6detail15normal_iteratorINSB_10device_ptrIS6_EEEESG_S6_NSB_4plusIvEES6_EEDaPvRmT3_T4_T5_mT6_P12ihipStream_tbENKUlT_T0_E_clISt17integral_constantIbLb1EESW_EEDaSR_SS_EUlSR_E0_NS1_11comp_targetILNS1_3genE9ELNS1_11target_archE1100ELNS1_3gpuE3ELNS1_3repE0EEENS1_30default_config_static_selectorELNS0_4arch9wavefront6targetE1EEEvT1_,"axG",@progbits,_ZN7rocprim17ROCPRIM_400000_NS6detail17trampoline_kernelINS0_14default_configENS1_20scan_config_selectorI11FixedVectorIiLj1EEEEZZNS1_9scan_implILNS1_25lookback_scan_determinismE0ELb0ELb0ES3_N6thrust23THRUST_200600_302600_NS6detail15normal_iteratorINSB_10device_ptrIS6_EEEESG_S6_NSB_4plusIvEES6_EEDaPvRmT3_T4_T5_mT6_P12ihipStream_tbENKUlT_T0_E_clISt17integral_constantIbLb1EESW_EEDaSR_SS_EUlSR_E0_NS1_11comp_targetILNS1_3genE9ELNS1_11target_archE1100ELNS1_3gpuE3ELNS1_3repE0EEENS1_30default_config_static_selectorELNS0_4arch9wavefront6targetE1EEEvT1_,comdat
	.protected	_ZN7rocprim17ROCPRIM_400000_NS6detail17trampoline_kernelINS0_14default_configENS1_20scan_config_selectorI11FixedVectorIiLj1EEEEZZNS1_9scan_implILNS1_25lookback_scan_determinismE0ELb0ELb0ES3_N6thrust23THRUST_200600_302600_NS6detail15normal_iteratorINSB_10device_ptrIS6_EEEESG_S6_NSB_4plusIvEES6_EEDaPvRmT3_T4_T5_mT6_P12ihipStream_tbENKUlT_T0_E_clISt17integral_constantIbLb1EESW_EEDaSR_SS_EUlSR_E0_NS1_11comp_targetILNS1_3genE9ELNS1_11target_archE1100ELNS1_3gpuE3ELNS1_3repE0EEENS1_30default_config_static_selectorELNS0_4arch9wavefront6targetE1EEEvT1_ ; -- Begin function _ZN7rocprim17ROCPRIM_400000_NS6detail17trampoline_kernelINS0_14default_configENS1_20scan_config_selectorI11FixedVectorIiLj1EEEEZZNS1_9scan_implILNS1_25lookback_scan_determinismE0ELb0ELb0ES3_N6thrust23THRUST_200600_302600_NS6detail15normal_iteratorINSB_10device_ptrIS6_EEEESG_S6_NSB_4plusIvEES6_EEDaPvRmT3_T4_T5_mT6_P12ihipStream_tbENKUlT_T0_E_clISt17integral_constantIbLb1EESW_EEDaSR_SS_EUlSR_E0_NS1_11comp_targetILNS1_3genE9ELNS1_11target_archE1100ELNS1_3gpuE3ELNS1_3repE0EEENS1_30default_config_static_selectorELNS0_4arch9wavefront6targetE1EEEvT1_
	.globl	_ZN7rocprim17ROCPRIM_400000_NS6detail17trampoline_kernelINS0_14default_configENS1_20scan_config_selectorI11FixedVectorIiLj1EEEEZZNS1_9scan_implILNS1_25lookback_scan_determinismE0ELb0ELb0ES3_N6thrust23THRUST_200600_302600_NS6detail15normal_iteratorINSB_10device_ptrIS6_EEEESG_S6_NSB_4plusIvEES6_EEDaPvRmT3_T4_T5_mT6_P12ihipStream_tbENKUlT_T0_E_clISt17integral_constantIbLb1EESW_EEDaSR_SS_EUlSR_E0_NS1_11comp_targetILNS1_3genE9ELNS1_11target_archE1100ELNS1_3gpuE3ELNS1_3repE0EEENS1_30default_config_static_selectorELNS0_4arch9wavefront6targetE1EEEvT1_
	.p2align	8
	.type	_ZN7rocprim17ROCPRIM_400000_NS6detail17trampoline_kernelINS0_14default_configENS1_20scan_config_selectorI11FixedVectorIiLj1EEEEZZNS1_9scan_implILNS1_25lookback_scan_determinismE0ELb0ELb0ES3_N6thrust23THRUST_200600_302600_NS6detail15normal_iteratorINSB_10device_ptrIS6_EEEESG_S6_NSB_4plusIvEES6_EEDaPvRmT3_T4_T5_mT6_P12ihipStream_tbENKUlT_T0_E_clISt17integral_constantIbLb1EESW_EEDaSR_SS_EUlSR_E0_NS1_11comp_targetILNS1_3genE9ELNS1_11target_archE1100ELNS1_3gpuE3ELNS1_3repE0EEENS1_30default_config_static_selectorELNS0_4arch9wavefront6targetE1EEEvT1_,@function
_ZN7rocprim17ROCPRIM_400000_NS6detail17trampoline_kernelINS0_14default_configENS1_20scan_config_selectorI11FixedVectorIiLj1EEEEZZNS1_9scan_implILNS1_25lookback_scan_determinismE0ELb0ELb0ES3_N6thrust23THRUST_200600_302600_NS6detail15normal_iteratorINSB_10device_ptrIS6_EEEESG_S6_NSB_4plusIvEES6_EEDaPvRmT3_T4_T5_mT6_P12ihipStream_tbENKUlT_T0_E_clISt17integral_constantIbLb1EESW_EEDaSR_SS_EUlSR_E0_NS1_11comp_targetILNS1_3genE9ELNS1_11target_archE1100ELNS1_3gpuE3ELNS1_3repE0EEENS1_30default_config_static_selectorELNS0_4arch9wavefront6targetE1EEEvT1_: ; @_ZN7rocprim17ROCPRIM_400000_NS6detail17trampoline_kernelINS0_14default_configENS1_20scan_config_selectorI11FixedVectorIiLj1EEEEZZNS1_9scan_implILNS1_25lookback_scan_determinismE0ELb0ELb0ES3_N6thrust23THRUST_200600_302600_NS6detail15normal_iteratorINSB_10device_ptrIS6_EEEESG_S6_NSB_4plusIvEES6_EEDaPvRmT3_T4_T5_mT6_P12ihipStream_tbENKUlT_T0_E_clISt17integral_constantIbLb1EESW_EEDaSR_SS_EUlSR_E0_NS1_11comp_targetILNS1_3genE9ELNS1_11target_archE1100ELNS1_3gpuE3ELNS1_3repE0EEENS1_30default_config_static_selectorELNS0_4arch9wavefront6targetE1EEEvT1_
; %bb.0:
	.section	.rodata,"a",@progbits
	.p2align	6, 0x0
	.amdhsa_kernel _ZN7rocprim17ROCPRIM_400000_NS6detail17trampoline_kernelINS0_14default_configENS1_20scan_config_selectorI11FixedVectorIiLj1EEEEZZNS1_9scan_implILNS1_25lookback_scan_determinismE0ELb0ELb0ES3_N6thrust23THRUST_200600_302600_NS6detail15normal_iteratorINSB_10device_ptrIS6_EEEESG_S6_NSB_4plusIvEES6_EEDaPvRmT3_T4_T5_mT6_P12ihipStream_tbENKUlT_T0_E_clISt17integral_constantIbLb1EESW_EEDaSR_SS_EUlSR_E0_NS1_11comp_targetILNS1_3genE9ELNS1_11target_archE1100ELNS1_3gpuE3ELNS1_3repE0EEENS1_30default_config_static_selectorELNS0_4arch9wavefront6targetE1EEEvT1_
		.amdhsa_group_segment_fixed_size 0
		.amdhsa_private_segment_fixed_size 0
		.amdhsa_kernarg_size 32
		.amdhsa_user_sgpr_count 6
		.amdhsa_user_sgpr_private_segment_buffer 1
		.amdhsa_user_sgpr_dispatch_ptr 0
		.amdhsa_user_sgpr_queue_ptr 0
		.amdhsa_user_sgpr_kernarg_segment_ptr 1
		.amdhsa_user_sgpr_dispatch_id 0
		.amdhsa_user_sgpr_flat_scratch_init 0
		.amdhsa_user_sgpr_kernarg_preload_length 0
		.amdhsa_user_sgpr_kernarg_preload_offset 0
		.amdhsa_user_sgpr_private_segment_size 0
		.amdhsa_uses_dynamic_stack 0
		.amdhsa_system_sgpr_private_segment_wavefront_offset 0
		.amdhsa_system_sgpr_workgroup_id_x 1
		.amdhsa_system_sgpr_workgroup_id_y 0
		.amdhsa_system_sgpr_workgroup_id_z 0
		.amdhsa_system_sgpr_workgroup_info 0
		.amdhsa_system_vgpr_workitem_id 0
		.amdhsa_next_free_vgpr 1
		.amdhsa_next_free_sgpr 0
		.amdhsa_accum_offset 4
		.amdhsa_reserve_vcc 0
		.amdhsa_reserve_flat_scratch 0
		.amdhsa_float_round_mode_32 0
		.amdhsa_float_round_mode_16_64 0
		.amdhsa_float_denorm_mode_32 3
		.amdhsa_float_denorm_mode_16_64 3
		.amdhsa_dx10_clamp 1
		.amdhsa_ieee_mode 1
		.amdhsa_fp16_overflow 0
		.amdhsa_tg_split 0
		.amdhsa_exception_fp_ieee_invalid_op 0
		.amdhsa_exception_fp_denorm_src 0
		.amdhsa_exception_fp_ieee_div_zero 0
		.amdhsa_exception_fp_ieee_overflow 0
		.amdhsa_exception_fp_ieee_underflow 0
		.amdhsa_exception_fp_ieee_inexact 0
		.amdhsa_exception_int_div_zero 0
	.end_amdhsa_kernel
	.section	.text._ZN7rocprim17ROCPRIM_400000_NS6detail17trampoline_kernelINS0_14default_configENS1_20scan_config_selectorI11FixedVectorIiLj1EEEEZZNS1_9scan_implILNS1_25lookback_scan_determinismE0ELb0ELb0ES3_N6thrust23THRUST_200600_302600_NS6detail15normal_iteratorINSB_10device_ptrIS6_EEEESG_S6_NSB_4plusIvEES6_EEDaPvRmT3_T4_T5_mT6_P12ihipStream_tbENKUlT_T0_E_clISt17integral_constantIbLb1EESW_EEDaSR_SS_EUlSR_E0_NS1_11comp_targetILNS1_3genE9ELNS1_11target_archE1100ELNS1_3gpuE3ELNS1_3repE0EEENS1_30default_config_static_selectorELNS0_4arch9wavefront6targetE1EEEvT1_,"axG",@progbits,_ZN7rocprim17ROCPRIM_400000_NS6detail17trampoline_kernelINS0_14default_configENS1_20scan_config_selectorI11FixedVectorIiLj1EEEEZZNS1_9scan_implILNS1_25lookback_scan_determinismE0ELb0ELb0ES3_N6thrust23THRUST_200600_302600_NS6detail15normal_iteratorINSB_10device_ptrIS6_EEEESG_S6_NSB_4plusIvEES6_EEDaPvRmT3_T4_T5_mT6_P12ihipStream_tbENKUlT_T0_E_clISt17integral_constantIbLb1EESW_EEDaSR_SS_EUlSR_E0_NS1_11comp_targetILNS1_3genE9ELNS1_11target_archE1100ELNS1_3gpuE3ELNS1_3repE0EEENS1_30default_config_static_selectorELNS0_4arch9wavefront6targetE1EEEvT1_,comdat
.Lfunc_end6422:
	.size	_ZN7rocprim17ROCPRIM_400000_NS6detail17trampoline_kernelINS0_14default_configENS1_20scan_config_selectorI11FixedVectorIiLj1EEEEZZNS1_9scan_implILNS1_25lookback_scan_determinismE0ELb0ELb0ES3_N6thrust23THRUST_200600_302600_NS6detail15normal_iteratorINSB_10device_ptrIS6_EEEESG_S6_NSB_4plusIvEES6_EEDaPvRmT3_T4_T5_mT6_P12ihipStream_tbENKUlT_T0_E_clISt17integral_constantIbLb1EESW_EEDaSR_SS_EUlSR_E0_NS1_11comp_targetILNS1_3genE9ELNS1_11target_archE1100ELNS1_3gpuE3ELNS1_3repE0EEENS1_30default_config_static_selectorELNS0_4arch9wavefront6targetE1EEEvT1_, .Lfunc_end6422-_ZN7rocprim17ROCPRIM_400000_NS6detail17trampoline_kernelINS0_14default_configENS1_20scan_config_selectorI11FixedVectorIiLj1EEEEZZNS1_9scan_implILNS1_25lookback_scan_determinismE0ELb0ELb0ES3_N6thrust23THRUST_200600_302600_NS6detail15normal_iteratorINSB_10device_ptrIS6_EEEESG_S6_NSB_4plusIvEES6_EEDaPvRmT3_T4_T5_mT6_P12ihipStream_tbENKUlT_T0_E_clISt17integral_constantIbLb1EESW_EEDaSR_SS_EUlSR_E0_NS1_11comp_targetILNS1_3genE9ELNS1_11target_archE1100ELNS1_3gpuE3ELNS1_3repE0EEENS1_30default_config_static_selectorELNS0_4arch9wavefront6targetE1EEEvT1_
                                        ; -- End function
	.section	.AMDGPU.csdata,"",@progbits
; Kernel info:
; codeLenInByte = 0
; NumSgprs: 4
; NumVgprs: 0
; NumAgprs: 0
; TotalNumVgprs: 0
; ScratchSize: 0
; MemoryBound: 0
; FloatMode: 240
; IeeeMode: 1
; LDSByteSize: 0 bytes/workgroup (compile time only)
; SGPRBlocks: 0
; VGPRBlocks: 0
; NumSGPRsForWavesPerEU: 4
; NumVGPRsForWavesPerEU: 1
; AccumOffset: 4
; Occupancy: 8
; WaveLimiterHint : 0
; COMPUTE_PGM_RSRC2:SCRATCH_EN: 0
; COMPUTE_PGM_RSRC2:USER_SGPR: 6
; COMPUTE_PGM_RSRC2:TRAP_HANDLER: 0
; COMPUTE_PGM_RSRC2:TGID_X_EN: 1
; COMPUTE_PGM_RSRC2:TGID_Y_EN: 0
; COMPUTE_PGM_RSRC2:TGID_Z_EN: 0
; COMPUTE_PGM_RSRC2:TIDIG_COMP_CNT: 0
; COMPUTE_PGM_RSRC3_GFX90A:ACCUM_OFFSET: 0
; COMPUTE_PGM_RSRC3_GFX90A:TG_SPLIT: 0
	.section	.text._ZN7rocprim17ROCPRIM_400000_NS6detail17trampoline_kernelINS0_14default_configENS1_20scan_config_selectorI11FixedVectorIiLj1EEEEZZNS1_9scan_implILNS1_25lookback_scan_determinismE0ELb0ELb0ES3_N6thrust23THRUST_200600_302600_NS6detail15normal_iteratorINSB_10device_ptrIS6_EEEESG_S6_NSB_4plusIvEES6_EEDaPvRmT3_T4_T5_mT6_P12ihipStream_tbENKUlT_T0_E_clISt17integral_constantIbLb1EESW_EEDaSR_SS_EUlSR_E0_NS1_11comp_targetILNS1_3genE8ELNS1_11target_archE1030ELNS1_3gpuE2ELNS1_3repE0EEENS1_30default_config_static_selectorELNS0_4arch9wavefront6targetE1EEEvT1_,"axG",@progbits,_ZN7rocprim17ROCPRIM_400000_NS6detail17trampoline_kernelINS0_14default_configENS1_20scan_config_selectorI11FixedVectorIiLj1EEEEZZNS1_9scan_implILNS1_25lookback_scan_determinismE0ELb0ELb0ES3_N6thrust23THRUST_200600_302600_NS6detail15normal_iteratorINSB_10device_ptrIS6_EEEESG_S6_NSB_4plusIvEES6_EEDaPvRmT3_T4_T5_mT6_P12ihipStream_tbENKUlT_T0_E_clISt17integral_constantIbLb1EESW_EEDaSR_SS_EUlSR_E0_NS1_11comp_targetILNS1_3genE8ELNS1_11target_archE1030ELNS1_3gpuE2ELNS1_3repE0EEENS1_30default_config_static_selectorELNS0_4arch9wavefront6targetE1EEEvT1_,comdat
	.protected	_ZN7rocprim17ROCPRIM_400000_NS6detail17trampoline_kernelINS0_14default_configENS1_20scan_config_selectorI11FixedVectorIiLj1EEEEZZNS1_9scan_implILNS1_25lookback_scan_determinismE0ELb0ELb0ES3_N6thrust23THRUST_200600_302600_NS6detail15normal_iteratorINSB_10device_ptrIS6_EEEESG_S6_NSB_4plusIvEES6_EEDaPvRmT3_T4_T5_mT6_P12ihipStream_tbENKUlT_T0_E_clISt17integral_constantIbLb1EESW_EEDaSR_SS_EUlSR_E0_NS1_11comp_targetILNS1_3genE8ELNS1_11target_archE1030ELNS1_3gpuE2ELNS1_3repE0EEENS1_30default_config_static_selectorELNS0_4arch9wavefront6targetE1EEEvT1_ ; -- Begin function _ZN7rocprim17ROCPRIM_400000_NS6detail17trampoline_kernelINS0_14default_configENS1_20scan_config_selectorI11FixedVectorIiLj1EEEEZZNS1_9scan_implILNS1_25lookback_scan_determinismE0ELb0ELb0ES3_N6thrust23THRUST_200600_302600_NS6detail15normal_iteratorINSB_10device_ptrIS6_EEEESG_S6_NSB_4plusIvEES6_EEDaPvRmT3_T4_T5_mT6_P12ihipStream_tbENKUlT_T0_E_clISt17integral_constantIbLb1EESW_EEDaSR_SS_EUlSR_E0_NS1_11comp_targetILNS1_3genE8ELNS1_11target_archE1030ELNS1_3gpuE2ELNS1_3repE0EEENS1_30default_config_static_selectorELNS0_4arch9wavefront6targetE1EEEvT1_
	.globl	_ZN7rocprim17ROCPRIM_400000_NS6detail17trampoline_kernelINS0_14default_configENS1_20scan_config_selectorI11FixedVectorIiLj1EEEEZZNS1_9scan_implILNS1_25lookback_scan_determinismE0ELb0ELb0ES3_N6thrust23THRUST_200600_302600_NS6detail15normal_iteratorINSB_10device_ptrIS6_EEEESG_S6_NSB_4plusIvEES6_EEDaPvRmT3_T4_T5_mT6_P12ihipStream_tbENKUlT_T0_E_clISt17integral_constantIbLb1EESW_EEDaSR_SS_EUlSR_E0_NS1_11comp_targetILNS1_3genE8ELNS1_11target_archE1030ELNS1_3gpuE2ELNS1_3repE0EEENS1_30default_config_static_selectorELNS0_4arch9wavefront6targetE1EEEvT1_
	.p2align	8
	.type	_ZN7rocprim17ROCPRIM_400000_NS6detail17trampoline_kernelINS0_14default_configENS1_20scan_config_selectorI11FixedVectorIiLj1EEEEZZNS1_9scan_implILNS1_25lookback_scan_determinismE0ELb0ELb0ES3_N6thrust23THRUST_200600_302600_NS6detail15normal_iteratorINSB_10device_ptrIS6_EEEESG_S6_NSB_4plusIvEES6_EEDaPvRmT3_T4_T5_mT6_P12ihipStream_tbENKUlT_T0_E_clISt17integral_constantIbLb1EESW_EEDaSR_SS_EUlSR_E0_NS1_11comp_targetILNS1_3genE8ELNS1_11target_archE1030ELNS1_3gpuE2ELNS1_3repE0EEENS1_30default_config_static_selectorELNS0_4arch9wavefront6targetE1EEEvT1_,@function
_ZN7rocprim17ROCPRIM_400000_NS6detail17trampoline_kernelINS0_14default_configENS1_20scan_config_selectorI11FixedVectorIiLj1EEEEZZNS1_9scan_implILNS1_25lookback_scan_determinismE0ELb0ELb0ES3_N6thrust23THRUST_200600_302600_NS6detail15normal_iteratorINSB_10device_ptrIS6_EEEESG_S6_NSB_4plusIvEES6_EEDaPvRmT3_T4_T5_mT6_P12ihipStream_tbENKUlT_T0_E_clISt17integral_constantIbLb1EESW_EEDaSR_SS_EUlSR_E0_NS1_11comp_targetILNS1_3genE8ELNS1_11target_archE1030ELNS1_3gpuE2ELNS1_3repE0EEENS1_30default_config_static_selectorELNS0_4arch9wavefront6targetE1EEEvT1_: ; @_ZN7rocprim17ROCPRIM_400000_NS6detail17trampoline_kernelINS0_14default_configENS1_20scan_config_selectorI11FixedVectorIiLj1EEEEZZNS1_9scan_implILNS1_25lookback_scan_determinismE0ELb0ELb0ES3_N6thrust23THRUST_200600_302600_NS6detail15normal_iteratorINSB_10device_ptrIS6_EEEESG_S6_NSB_4plusIvEES6_EEDaPvRmT3_T4_T5_mT6_P12ihipStream_tbENKUlT_T0_E_clISt17integral_constantIbLb1EESW_EEDaSR_SS_EUlSR_E0_NS1_11comp_targetILNS1_3genE8ELNS1_11target_archE1030ELNS1_3gpuE2ELNS1_3repE0EEENS1_30default_config_static_selectorELNS0_4arch9wavefront6targetE1EEEvT1_
; %bb.0:
	.section	.rodata,"a",@progbits
	.p2align	6, 0x0
	.amdhsa_kernel _ZN7rocprim17ROCPRIM_400000_NS6detail17trampoline_kernelINS0_14default_configENS1_20scan_config_selectorI11FixedVectorIiLj1EEEEZZNS1_9scan_implILNS1_25lookback_scan_determinismE0ELb0ELb0ES3_N6thrust23THRUST_200600_302600_NS6detail15normal_iteratorINSB_10device_ptrIS6_EEEESG_S6_NSB_4plusIvEES6_EEDaPvRmT3_T4_T5_mT6_P12ihipStream_tbENKUlT_T0_E_clISt17integral_constantIbLb1EESW_EEDaSR_SS_EUlSR_E0_NS1_11comp_targetILNS1_3genE8ELNS1_11target_archE1030ELNS1_3gpuE2ELNS1_3repE0EEENS1_30default_config_static_selectorELNS0_4arch9wavefront6targetE1EEEvT1_
		.amdhsa_group_segment_fixed_size 0
		.amdhsa_private_segment_fixed_size 0
		.amdhsa_kernarg_size 32
		.amdhsa_user_sgpr_count 6
		.amdhsa_user_sgpr_private_segment_buffer 1
		.amdhsa_user_sgpr_dispatch_ptr 0
		.amdhsa_user_sgpr_queue_ptr 0
		.amdhsa_user_sgpr_kernarg_segment_ptr 1
		.amdhsa_user_sgpr_dispatch_id 0
		.amdhsa_user_sgpr_flat_scratch_init 0
		.amdhsa_user_sgpr_kernarg_preload_length 0
		.amdhsa_user_sgpr_kernarg_preload_offset 0
		.amdhsa_user_sgpr_private_segment_size 0
		.amdhsa_uses_dynamic_stack 0
		.amdhsa_system_sgpr_private_segment_wavefront_offset 0
		.amdhsa_system_sgpr_workgroup_id_x 1
		.amdhsa_system_sgpr_workgroup_id_y 0
		.amdhsa_system_sgpr_workgroup_id_z 0
		.amdhsa_system_sgpr_workgroup_info 0
		.amdhsa_system_vgpr_workitem_id 0
		.amdhsa_next_free_vgpr 1
		.amdhsa_next_free_sgpr 0
		.amdhsa_accum_offset 4
		.amdhsa_reserve_vcc 0
		.amdhsa_reserve_flat_scratch 0
		.amdhsa_float_round_mode_32 0
		.amdhsa_float_round_mode_16_64 0
		.amdhsa_float_denorm_mode_32 3
		.amdhsa_float_denorm_mode_16_64 3
		.amdhsa_dx10_clamp 1
		.amdhsa_ieee_mode 1
		.amdhsa_fp16_overflow 0
		.amdhsa_tg_split 0
		.amdhsa_exception_fp_ieee_invalid_op 0
		.amdhsa_exception_fp_denorm_src 0
		.amdhsa_exception_fp_ieee_div_zero 0
		.amdhsa_exception_fp_ieee_overflow 0
		.amdhsa_exception_fp_ieee_underflow 0
		.amdhsa_exception_fp_ieee_inexact 0
		.amdhsa_exception_int_div_zero 0
	.end_amdhsa_kernel
	.section	.text._ZN7rocprim17ROCPRIM_400000_NS6detail17trampoline_kernelINS0_14default_configENS1_20scan_config_selectorI11FixedVectorIiLj1EEEEZZNS1_9scan_implILNS1_25lookback_scan_determinismE0ELb0ELb0ES3_N6thrust23THRUST_200600_302600_NS6detail15normal_iteratorINSB_10device_ptrIS6_EEEESG_S6_NSB_4plusIvEES6_EEDaPvRmT3_T4_T5_mT6_P12ihipStream_tbENKUlT_T0_E_clISt17integral_constantIbLb1EESW_EEDaSR_SS_EUlSR_E0_NS1_11comp_targetILNS1_3genE8ELNS1_11target_archE1030ELNS1_3gpuE2ELNS1_3repE0EEENS1_30default_config_static_selectorELNS0_4arch9wavefront6targetE1EEEvT1_,"axG",@progbits,_ZN7rocprim17ROCPRIM_400000_NS6detail17trampoline_kernelINS0_14default_configENS1_20scan_config_selectorI11FixedVectorIiLj1EEEEZZNS1_9scan_implILNS1_25lookback_scan_determinismE0ELb0ELb0ES3_N6thrust23THRUST_200600_302600_NS6detail15normal_iteratorINSB_10device_ptrIS6_EEEESG_S6_NSB_4plusIvEES6_EEDaPvRmT3_T4_T5_mT6_P12ihipStream_tbENKUlT_T0_E_clISt17integral_constantIbLb1EESW_EEDaSR_SS_EUlSR_E0_NS1_11comp_targetILNS1_3genE8ELNS1_11target_archE1030ELNS1_3gpuE2ELNS1_3repE0EEENS1_30default_config_static_selectorELNS0_4arch9wavefront6targetE1EEEvT1_,comdat
.Lfunc_end6423:
	.size	_ZN7rocprim17ROCPRIM_400000_NS6detail17trampoline_kernelINS0_14default_configENS1_20scan_config_selectorI11FixedVectorIiLj1EEEEZZNS1_9scan_implILNS1_25lookback_scan_determinismE0ELb0ELb0ES3_N6thrust23THRUST_200600_302600_NS6detail15normal_iteratorINSB_10device_ptrIS6_EEEESG_S6_NSB_4plusIvEES6_EEDaPvRmT3_T4_T5_mT6_P12ihipStream_tbENKUlT_T0_E_clISt17integral_constantIbLb1EESW_EEDaSR_SS_EUlSR_E0_NS1_11comp_targetILNS1_3genE8ELNS1_11target_archE1030ELNS1_3gpuE2ELNS1_3repE0EEENS1_30default_config_static_selectorELNS0_4arch9wavefront6targetE1EEEvT1_, .Lfunc_end6423-_ZN7rocprim17ROCPRIM_400000_NS6detail17trampoline_kernelINS0_14default_configENS1_20scan_config_selectorI11FixedVectorIiLj1EEEEZZNS1_9scan_implILNS1_25lookback_scan_determinismE0ELb0ELb0ES3_N6thrust23THRUST_200600_302600_NS6detail15normal_iteratorINSB_10device_ptrIS6_EEEESG_S6_NSB_4plusIvEES6_EEDaPvRmT3_T4_T5_mT6_P12ihipStream_tbENKUlT_T0_E_clISt17integral_constantIbLb1EESW_EEDaSR_SS_EUlSR_E0_NS1_11comp_targetILNS1_3genE8ELNS1_11target_archE1030ELNS1_3gpuE2ELNS1_3repE0EEENS1_30default_config_static_selectorELNS0_4arch9wavefront6targetE1EEEvT1_
                                        ; -- End function
	.section	.AMDGPU.csdata,"",@progbits
; Kernel info:
; codeLenInByte = 0
; NumSgprs: 4
; NumVgprs: 0
; NumAgprs: 0
; TotalNumVgprs: 0
; ScratchSize: 0
; MemoryBound: 0
; FloatMode: 240
; IeeeMode: 1
; LDSByteSize: 0 bytes/workgroup (compile time only)
; SGPRBlocks: 0
; VGPRBlocks: 0
; NumSGPRsForWavesPerEU: 4
; NumVGPRsForWavesPerEU: 1
; AccumOffset: 4
; Occupancy: 8
; WaveLimiterHint : 0
; COMPUTE_PGM_RSRC2:SCRATCH_EN: 0
; COMPUTE_PGM_RSRC2:USER_SGPR: 6
; COMPUTE_PGM_RSRC2:TRAP_HANDLER: 0
; COMPUTE_PGM_RSRC2:TGID_X_EN: 1
; COMPUTE_PGM_RSRC2:TGID_Y_EN: 0
; COMPUTE_PGM_RSRC2:TGID_Z_EN: 0
; COMPUTE_PGM_RSRC2:TIDIG_COMP_CNT: 0
; COMPUTE_PGM_RSRC3_GFX90A:ACCUM_OFFSET: 0
; COMPUTE_PGM_RSRC3_GFX90A:TG_SPLIT: 0
	.section	.text._ZN7rocprim17ROCPRIM_400000_NS6detail31init_lookback_scan_state_kernelINS1_19lookback_scan_stateI11FixedVectorIiLj1EELb1ELb1EEENS1_16block_id_wrapperIjLb0EEEEEvT_jT0_jPNS9_10value_typeE,"axG",@progbits,_ZN7rocprim17ROCPRIM_400000_NS6detail31init_lookback_scan_state_kernelINS1_19lookback_scan_stateI11FixedVectorIiLj1EELb1ELb1EEENS1_16block_id_wrapperIjLb0EEEEEvT_jT0_jPNS9_10value_typeE,comdat
	.protected	_ZN7rocprim17ROCPRIM_400000_NS6detail31init_lookback_scan_state_kernelINS1_19lookback_scan_stateI11FixedVectorIiLj1EELb1ELb1EEENS1_16block_id_wrapperIjLb0EEEEEvT_jT0_jPNS9_10value_typeE ; -- Begin function _ZN7rocprim17ROCPRIM_400000_NS6detail31init_lookback_scan_state_kernelINS1_19lookback_scan_stateI11FixedVectorIiLj1EELb1ELb1EEENS1_16block_id_wrapperIjLb0EEEEEvT_jT0_jPNS9_10value_typeE
	.globl	_ZN7rocprim17ROCPRIM_400000_NS6detail31init_lookback_scan_state_kernelINS1_19lookback_scan_stateI11FixedVectorIiLj1EELb1ELb1EEENS1_16block_id_wrapperIjLb0EEEEEvT_jT0_jPNS9_10value_typeE
	.p2align	8
	.type	_ZN7rocprim17ROCPRIM_400000_NS6detail31init_lookback_scan_state_kernelINS1_19lookback_scan_stateI11FixedVectorIiLj1EELb1ELb1EEENS1_16block_id_wrapperIjLb0EEEEEvT_jT0_jPNS9_10value_typeE,@function
_ZN7rocprim17ROCPRIM_400000_NS6detail31init_lookback_scan_state_kernelINS1_19lookback_scan_stateI11FixedVectorIiLj1EELb1ELb1EEENS1_16block_id_wrapperIjLb0EEEEEvT_jT0_jPNS9_10value_typeE: ; @_ZN7rocprim17ROCPRIM_400000_NS6detail31init_lookback_scan_state_kernelINS1_19lookback_scan_stateI11FixedVectorIiLj1EELb1ELb1EEENS1_16block_id_wrapperIjLb0EEEEEvT_jT0_jPNS9_10value_typeE
; %bb.0:
	s_load_dword s7, s[4:5], 0x2c
	s_load_dwordx2 s[2:3], s[4:5], 0x18
	s_load_dwordx2 s[0:1], s[4:5], 0x0
	s_load_dword s8, s[4:5], 0x8
	s_waitcnt lgkmcnt(0)
	s_and_b32 s7, s7, 0xffff
	s_mul_i32 s6, s6, s7
	s_cmp_eq_u64 s[2:3], 0
	v_add_u32_e32 v0, s6, v0
	s_cbranch_scc1 .LBB6424_9
; %bb.1:
	s_load_dword s6, s[4:5], 0x10
	s_mov_b32 s7, 0
	s_waitcnt lgkmcnt(0)
	s_cmp_lt_u32 s6, s8
	s_cselect_b32 s4, s6, 0
	v_cmp_eq_u32_e32 vcc, s4, v0
	s_and_saveexec_b64 s[4:5], vcc
	s_cbranch_execz .LBB6424_8
; %bb.2:
	s_add_i32 s6, s6, 64
	s_lshl_b64 s[6:7], s[6:7], 3
	s_add_u32 s6, s0, s6
	s_addc_u32 s7, s1, s7
	v_mov_b32_e32 v2, 0
	global_load_dwordx2 v[4:5], v2, s[6:7] glc
	s_waitcnt vmcnt(0)
	v_and_b32_e32 v3, 0xff, v5
	v_cmp_ne_u64_e32 vcc, 0, v[2:3]
	s_cbranch_vccnz .LBB6424_7
; %bb.3:
	s_mov_b32 s9, 1
.LBB6424_4:                             ; =>This Loop Header: Depth=1
                                        ;     Child Loop BB6424_5 Depth 2
	s_max_u32 s10, s9, 1
.LBB6424_5:                             ;   Parent Loop BB6424_4 Depth=1
                                        ; =>  This Inner Loop Header: Depth=2
	s_add_i32 s10, s10, -1
	s_cmp_eq_u32 s10, 0
	s_sleep 1
	s_cbranch_scc0 .LBB6424_5
; %bb.6:                                ;   in Loop: Header=BB6424_4 Depth=1
	global_load_dwordx2 v[4:5], v2, s[6:7] glc
	s_cmp_lt_u32 s9, 32
	s_cselect_b64 s[10:11], -1, 0
	s_cmp_lg_u64 s[10:11], 0
	s_addc_u32 s9, s9, 0
	s_waitcnt vmcnt(0)
	v_and_b32_e32 v3, 0xff, v5
	v_cmp_ne_u64_e32 vcc, 0, v[2:3]
	s_cbranch_vccz .LBB6424_4
.LBB6424_7:
	v_mov_b32_e32 v1, 0
	global_store_dword v1, v4, s[2:3]
.LBB6424_8:
	s_or_b64 exec, exec, s[4:5]
.LBB6424_9:
	v_cmp_gt_u32_e32 vcc, s8, v0
	s_and_saveexec_b64 s[2:3], vcc
	s_cbranch_execnz .LBB6424_12
; %bb.10:
	s_or_b64 exec, exec, s[2:3]
	v_cmp_gt_u32_e32 vcc, 64, v0
	s_and_saveexec_b64 s[2:3], vcc
	s_cbranch_execnz .LBB6424_13
.LBB6424_11:
	s_endpgm
.LBB6424_12:
	v_add_u32_e32 v2, 64, v0
	v_mov_b32_e32 v3, 0
	v_lshlrev_b64 v[4:5], 3, v[2:3]
	v_mov_b32_e32 v1, s1
	v_add_co_u32_e32 v4, vcc, s0, v4
	v_addc_co_u32_e32 v5, vcc, v1, v5, vcc
	v_mov_b32_e32 v2, v3
	global_store_dwordx2 v[4:5], v[2:3], off
	s_or_b64 exec, exec, s[2:3]
	v_cmp_gt_u32_e32 vcc, 64, v0
	s_and_saveexec_b64 s[2:3], vcc
	s_cbranch_execz .LBB6424_11
.LBB6424_13:
	v_mov_b32_e32 v1, 0
	v_lshlrev_b64 v[2:3], 3, v[0:1]
	v_mov_b32_e32 v0, s1
	v_add_co_u32_e32 v2, vcc, s0, v2
	v_addc_co_u32_e32 v3, vcc, v0, v3, vcc
	v_mov_b32_e32 v5, 0xff
	v_mov_b32_e32 v4, v1
	global_store_dwordx2 v[2:3], v[4:5], off
	s_endpgm
	.section	.rodata,"a",@progbits
	.p2align	6, 0x0
	.amdhsa_kernel _ZN7rocprim17ROCPRIM_400000_NS6detail31init_lookback_scan_state_kernelINS1_19lookback_scan_stateI11FixedVectorIiLj1EELb1ELb1EEENS1_16block_id_wrapperIjLb0EEEEEvT_jT0_jPNS9_10value_typeE
		.amdhsa_group_segment_fixed_size 0
		.amdhsa_private_segment_fixed_size 0
		.amdhsa_kernarg_size 288
		.amdhsa_user_sgpr_count 6
		.amdhsa_user_sgpr_private_segment_buffer 1
		.amdhsa_user_sgpr_dispatch_ptr 0
		.amdhsa_user_sgpr_queue_ptr 0
		.amdhsa_user_sgpr_kernarg_segment_ptr 1
		.amdhsa_user_sgpr_dispatch_id 0
		.amdhsa_user_sgpr_flat_scratch_init 0
		.amdhsa_user_sgpr_kernarg_preload_length 0
		.amdhsa_user_sgpr_kernarg_preload_offset 0
		.amdhsa_user_sgpr_private_segment_size 0
		.amdhsa_uses_dynamic_stack 0
		.amdhsa_system_sgpr_private_segment_wavefront_offset 0
		.amdhsa_system_sgpr_workgroup_id_x 1
		.amdhsa_system_sgpr_workgroup_id_y 0
		.amdhsa_system_sgpr_workgroup_id_z 0
		.amdhsa_system_sgpr_workgroup_info 0
		.amdhsa_system_vgpr_workitem_id 0
		.amdhsa_next_free_vgpr 6
		.amdhsa_next_free_sgpr 12
		.amdhsa_accum_offset 8
		.amdhsa_reserve_vcc 1
		.amdhsa_reserve_flat_scratch 0
		.amdhsa_float_round_mode_32 0
		.amdhsa_float_round_mode_16_64 0
		.amdhsa_float_denorm_mode_32 3
		.amdhsa_float_denorm_mode_16_64 3
		.amdhsa_dx10_clamp 1
		.amdhsa_ieee_mode 1
		.amdhsa_fp16_overflow 0
		.amdhsa_tg_split 0
		.amdhsa_exception_fp_ieee_invalid_op 0
		.amdhsa_exception_fp_denorm_src 0
		.amdhsa_exception_fp_ieee_div_zero 0
		.amdhsa_exception_fp_ieee_overflow 0
		.amdhsa_exception_fp_ieee_underflow 0
		.amdhsa_exception_fp_ieee_inexact 0
		.amdhsa_exception_int_div_zero 0
	.end_amdhsa_kernel
	.section	.text._ZN7rocprim17ROCPRIM_400000_NS6detail31init_lookback_scan_state_kernelINS1_19lookback_scan_stateI11FixedVectorIiLj1EELb1ELb1EEENS1_16block_id_wrapperIjLb0EEEEEvT_jT0_jPNS9_10value_typeE,"axG",@progbits,_ZN7rocprim17ROCPRIM_400000_NS6detail31init_lookback_scan_state_kernelINS1_19lookback_scan_stateI11FixedVectorIiLj1EELb1ELb1EEENS1_16block_id_wrapperIjLb0EEEEEvT_jT0_jPNS9_10value_typeE,comdat
.Lfunc_end6424:
	.size	_ZN7rocprim17ROCPRIM_400000_NS6detail31init_lookback_scan_state_kernelINS1_19lookback_scan_stateI11FixedVectorIiLj1EELb1ELb1EEENS1_16block_id_wrapperIjLb0EEEEEvT_jT0_jPNS9_10value_typeE, .Lfunc_end6424-_ZN7rocprim17ROCPRIM_400000_NS6detail31init_lookback_scan_state_kernelINS1_19lookback_scan_stateI11FixedVectorIiLj1EELb1ELb1EEENS1_16block_id_wrapperIjLb0EEEEEvT_jT0_jPNS9_10value_typeE
                                        ; -- End function
	.section	.AMDGPU.csdata,"",@progbits
; Kernel info:
; codeLenInByte = 364
; NumSgprs: 16
; NumVgprs: 6
; NumAgprs: 0
; TotalNumVgprs: 6
; ScratchSize: 0
; MemoryBound: 0
; FloatMode: 240
; IeeeMode: 1
; LDSByteSize: 0 bytes/workgroup (compile time only)
; SGPRBlocks: 1
; VGPRBlocks: 0
; NumSGPRsForWavesPerEU: 16
; NumVGPRsForWavesPerEU: 6
; AccumOffset: 8
; Occupancy: 8
; WaveLimiterHint : 0
; COMPUTE_PGM_RSRC2:SCRATCH_EN: 0
; COMPUTE_PGM_RSRC2:USER_SGPR: 6
; COMPUTE_PGM_RSRC2:TRAP_HANDLER: 0
; COMPUTE_PGM_RSRC2:TGID_X_EN: 1
; COMPUTE_PGM_RSRC2:TGID_Y_EN: 0
; COMPUTE_PGM_RSRC2:TGID_Z_EN: 0
; COMPUTE_PGM_RSRC2:TIDIG_COMP_CNT: 0
; COMPUTE_PGM_RSRC3_GFX90A:ACCUM_OFFSET: 1
; COMPUTE_PGM_RSRC3_GFX90A:TG_SPLIT: 0
	.section	.text._ZN7rocprim17ROCPRIM_400000_NS6detail17trampoline_kernelINS0_14default_configENS1_20scan_config_selectorI11FixedVectorIiLj1EEEEZZNS1_9scan_implILNS1_25lookback_scan_determinismE0ELb0ELb0ES3_N6thrust23THRUST_200600_302600_NS6detail15normal_iteratorINSB_10device_ptrIS6_EEEESG_S6_NSB_4plusIvEES6_EEDaPvRmT3_T4_T5_mT6_P12ihipStream_tbENKUlT_T0_E_clISt17integral_constantIbLb1EESV_IbLb0EEEEDaSR_SS_EUlSR_E_NS1_11comp_targetILNS1_3genE0ELNS1_11target_archE4294967295ELNS1_3gpuE0ELNS1_3repE0EEENS1_30default_config_static_selectorELNS0_4arch9wavefront6targetE1EEEvT1_,"axG",@progbits,_ZN7rocprim17ROCPRIM_400000_NS6detail17trampoline_kernelINS0_14default_configENS1_20scan_config_selectorI11FixedVectorIiLj1EEEEZZNS1_9scan_implILNS1_25lookback_scan_determinismE0ELb0ELb0ES3_N6thrust23THRUST_200600_302600_NS6detail15normal_iteratorINSB_10device_ptrIS6_EEEESG_S6_NSB_4plusIvEES6_EEDaPvRmT3_T4_T5_mT6_P12ihipStream_tbENKUlT_T0_E_clISt17integral_constantIbLb1EESV_IbLb0EEEEDaSR_SS_EUlSR_E_NS1_11comp_targetILNS1_3genE0ELNS1_11target_archE4294967295ELNS1_3gpuE0ELNS1_3repE0EEENS1_30default_config_static_selectorELNS0_4arch9wavefront6targetE1EEEvT1_,comdat
	.protected	_ZN7rocprim17ROCPRIM_400000_NS6detail17trampoline_kernelINS0_14default_configENS1_20scan_config_selectorI11FixedVectorIiLj1EEEEZZNS1_9scan_implILNS1_25lookback_scan_determinismE0ELb0ELb0ES3_N6thrust23THRUST_200600_302600_NS6detail15normal_iteratorINSB_10device_ptrIS6_EEEESG_S6_NSB_4plusIvEES6_EEDaPvRmT3_T4_T5_mT6_P12ihipStream_tbENKUlT_T0_E_clISt17integral_constantIbLb1EESV_IbLb0EEEEDaSR_SS_EUlSR_E_NS1_11comp_targetILNS1_3genE0ELNS1_11target_archE4294967295ELNS1_3gpuE0ELNS1_3repE0EEENS1_30default_config_static_selectorELNS0_4arch9wavefront6targetE1EEEvT1_ ; -- Begin function _ZN7rocprim17ROCPRIM_400000_NS6detail17trampoline_kernelINS0_14default_configENS1_20scan_config_selectorI11FixedVectorIiLj1EEEEZZNS1_9scan_implILNS1_25lookback_scan_determinismE0ELb0ELb0ES3_N6thrust23THRUST_200600_302600_NS6detail15normal_iteratorINSB_10device_ptrIS6_EEEESG_S6_NSB_4plusIvEES6_EEDaPvRmT3_T4_T5_mT6_P12ihipStream_tbENKUlT_T0_E_clISt17integral_constantIbLb1EESV_IbLb0EEEEDaSR_SS_EUlSR_E_NS1_11comp_targetILNS1_3genE0ELNS1_11target_archE4294967295ELNS1_3gpuE0ELNS1_3repE0EEENS1_30default_config_static_selectorELNS0_4arch9wavefront6targetE1EEEvT1_
	.globl	_ZN7rocprim17ROCPRIM_400000_NS6detail17trampoline_kernelINS0_14default_configENS1_20scan_config_selectorI11FixedVectorIiLj1EEEEZZNS1_9scan_implILNS1_25lookback_scan_determinismE0ELb0ELb0ES3_N6thrust23THRUST_200600_302600_NS6detail15normal_iteratorINSB_10device_ptrIS6_EEEESG_S6_NSB_4plusIvEES6_EEDaPvRmT3_T4_T5_mT6_P12ihipStream_tbENKUlT_T0_E_clISt17integral_constantIbLb1EESV_IbLb0EEEEDaSR_SS_EUlSR_E_NS1_11comp_targetILNS1_3genE0ELNS1_11target_archE4294967295ELNS1_3gpuE0ELNS1_3repE0EEENS1_30default_config_static_selectorELNS0_4arch9wavefront6targetE1EEEvT1_
	.p2align	8
	.type	_ZN7rocprim17ROCPRIM_400000_NS6detail17trampoline_kernelINS0_14default_configENS1_20scan_config_selectorI11FixedVectorIiLj1EEEEZZNS1_9scan_implILNS1_25lookback_scan_determinismE0ELb0ELb0ES3_N6thrust23THRUST_200600_302600_NS6detail15normal_iteratorINSB_10device_ptrIS6_EEEESG_S6_NSB_4plusIvEES6_EEDaPvRmT3_T4_T5_mT6_P12ihipStream_tbENKUlT_T0_E_clISt17integral_constantIbLb1EESV_IbLb0EEEEDaSR_SS_EUlSR_E_NS1_11comp_targetILNS1_3genE0ELNS1_11target_archE4294967295ELNS1_3gpuE0ELNS1_3repE0EEENS1_30default_config_static_selectorELNS0_4arch9wavefront6targetE1EEEvT1_,@function
_ZN7rocprim17ROCPRIM_400000_NS6detail17trampoline_kernelINS0_14default_configENS1_20scan_config_selectorI11FixedVectorIiLj1EEEEZZNS1_9scan_implILNS1_25lookback_scan_determinismE0ELb0ELb0ES3_N6thrust23THRUST_200600_302600_NS6detail15normal_iteratorINSB_10device_ptrIS6_EEEESG_S6_NSB_4plusIvEES6_EEDaPvRmT3_T4_T5_mT6_P12ihipStream_tbENKUlT_T0_E_clISt17integral_constantIbLb1EESV_IbLb0EEEEDaSR_SS_EUlSR_E_NS1_11comp_targetILNS1_3genE0ELNS1_11target_archE4294967295ELNS1_3gpuE0ELNS1_3repE0EEENS1_30default_config_static_selectorELNS0_4arch9wavefront6targetE1EEEvT1_: ; @_ZN7rocprim17ROCPRIM_400000_NS6detail17trampoline_kernelINS0_14default_configENS1_20scan_config_selectorI11FixedVectorIiLj1EEEEZZNS1_9scan_implILNS1_25lookback_scan_determinismE0ELb0ELb0ES3_N6thrust23THRUST_200600_302600_NS6detail15normal_iteratorINSB_10device_ptrIS6_EEEESG_S6_NSB_4plusIvEES6_EEDaPvRmT3_T4_T5_mT6_P12ihipStream_tbENKUlT_T0_E_clISt17integral_constantIbLb1EESV_IbLb0EEEEDaSR_SS_EUlSR_E_NS1_11comp_targetILNS1_3genE0ELNS1_11target_archE4294967295ELNS1_3gpuE0ELNS1_3repE0EEENS1_30default_config_static_selectorELNS0_4arch9wavefront6targetE1EEEvT1_
; %bb.0:
	.section	.rodata,"a",@progbits
	.p2align	6, 0x0
	.amdhsa_kernel _ZN7rocprim17ROCPRIM_400000_NS6detail17trampoline_kernelINS0_14default_configENS1_20scan_config_selectorI11FixedVectorIiLj1EEEEZZNS1_9scan_implILNS1_25lookback_scan_determinismE0ELb0ELb0ES3_N6thrust23THRUST_200600_302600_NS6detail15normal_iteratorINSB_10device_ptrIS6_EEEESG_S6_NSB_4plusIvEES6_EEDaPvRmT3_T4_T5_mT6_P12ihipStream_tbENKUlT_T0_E_clISt17integral_constantIbLb1EESV_IbLb0EEEEDaSR_SS_EUlSR_E_NS1_11comp_targetILNS1_3genE0ELNS1_11target_archE4294967295ELNS1_3gpuE0ELNS1_3repE0EEENS1_30default_config_static_selectorELNS0_4arch9wavefront6targetE1EEEvT1_
		.amdhsa_group_segment_fixed_size 0
		.amdhsa_private_segment_fixed_size 0
		.amdhsa_kernarg_size 96
		.amdhsa_user_sgpr_count 6
		.amdhsa_user_sgpr_private_segment_buffer 1
		.amdhsa_user_sgpr_dispatch_ptr 0
		.amdhsa_user_sgpr_queue_ptr 0
		.amdhsa_user_sgpr_kernarg_segment_ptr 1
		.amdhsa_user_sgpr_dispatch_id 0
		.amdhsa_user_sgpr_flat_scratch_init 0
		.amdhsa_user_sgpr_kernarg_preload_length 0
		.amdhsa_user_sgpr_kernarg_preload_offset 0
		.amdhsa_user_sgpr_private_segment_size 0
		.amdhsa_uses_dynamic_stack 0
		.amdhsa_system_sgpr_private_segment_wavefront_offset 0
		.amdhsa_system_sgpr_workgroup_id_x 1
		.amdhsa_system_sgpr_workgroup_id_y 0
		.amdhsa_system_sgpr_workgroup_id_z 0
		.amdhsa_system_sgpr_workgroup_info 0
		.amdhsa_system_vgpr_workitem_id 0
		.amdhsa_next_free_vgpr 1
		.amdhsa_next_free_sgpr 0
		.amdhsa_accum_offset 4
		.amdhsa_reserve_vcc 0
		.amdhsa_reserve_flat_scratch 0
		.amdhsa_float_round_mode_32 0
		.amdhsa_float_round_mode_16_64 0
		.amdhsa_float_denorm_mode_32 3
		.amdhsa_float_denorm_mode_16_64 3
		.amdhsa_dx10_clamp 1
		.amdhsa_ieee_mode 1
		.amdhsa_fp16_overflow 0
		.amdhsa_tg_split 0
		.amdhsa_exception_fp_ieee_invalid_op 0
		.amdhsa_exception_fp_denorm_src 0
		.amdhsa_exception_fp_ieee_div_zero 0
		.amdhsa_exception_fp_ieee_overflow 0
		.amdhsa_exception_fp_ieee_underflow 0
		.amdhsa_exception_fp_ieee_inexact 0
		.amdhsa_exception_int_div_zero 0
	.end_amdhsa_kernel
	.section	.text._ZN7rocprim17ROCPRIM_400000_NS6detail17trampoline_kernelINS0_14default_configENS1_20scan_config_selectorI11FixedVectorIiLj1EEEEZZNS1_9scan_implILNS1_25lookback_scan_determinismE0ELb0ELb0ES3_N6thrust23THRUST_200600_302600_NS6detail15normal_iteratorINSB_10device_ptrIS6_EEEESG_S6_NSB_4plusIvEES6_EEDaPvRmT3_T4_T5_mT6_P12ihipStream_tbENKUlT_T0_E_clISt17integral_constantIbLb1EESV_IbLb0EEEEDaSR_SS_EUlSR_E_NS1_11comp_targetILNS1_3genE0ELNS1_11target_archE4294967295ELNS1_3gpuE0ELNS1_3repE0EEENS1_30default_config_static_selectorELNS0_4arch9wavefront6targetE1EEEvT1_,"axG",@progbits,_ZN7rocprim17ROCPRIM_400000_NS6detail17trampoline_kernelINS0_14default_configENS1_20scan_config_selectorI11FixedVectorIiLj1EEEEZZNS1_9scan_implILNS1_25lookback_scan_determinismE0ELb0ELb0ES3_N6thrust23THRUST_200600_302600_NS6detail15normal_iteratorINSB_10device_ptrIS6_EEEESG_S6_NSB_4plusIvEES6_EEDaPvRmT3_T4_T5_mT6_P12ihipStream_tbENKUlT_T0_E_clISt17integral_constantIbLb1EESV_IbLb0EEEEDaSR_SS_EUlSR_E_NS1_11comp_targetILNS1_3genE0ELNS1_11target_archE4294967295ELNS1_3gpuE0ELNS1_3repE0EEENS1_30default_config_static_selectorELNS0_4arch9wavefront6targetE1EEEvT1_,comdat
.Lfunc_end6425:
	.size	_ZN7rocprim17ROCPRIM_400000_NS6detail17trampoline_kernelINS0_14default_configENS1_20scan_config_selectorI11FixedVectorIiLj1EEEEZZNS1_9scan_implILNS1_25lookback_scan_determinismE0ELb0ELb0ES3_N6thrust23THRUST_200600_302600_NS6detail15normal_iteratorINSB_10device_ptrIS6_EEEESG_S6_NSB_4plusIvEES6_EEDaPvRmT3_T4_T5_mT6_P12ihipStream_tbENKUlT_T0_E_clISt17integral_constantIbLb1EESV_IbLb0EEEEDaSR_SS_EUlSR_E_NS1_11comp_targetILNS1_3genE0ELNS1_11target_archE4294967295ELNS1_3gpuE0ELNS1_3repE0EEENS1_30default_config_static_selectorELNS0_4arch9wavefront6targetE1EEEvT1_, .Lfunc_end6425-_ZN7rocprim17ROCPRIM_400000_NS6detail17trampoline_kernelINS0_14default_configENS1_20scan_config_selectorI11FixedVectorIiLj1EEEEZZNS1_9scan_implILNS1_25lookback_scan_determinismE0ELb0ELb0ES3_N6thrust23THRUST_200600_302600_NS6detail15normal_iteratorINSB_10device_ptrIS6_EEEESG_S6_NSB_4plusIvEES6_EEDaPvRmT3_T4_T5_mT6_P12ihipStream_tbENKUlT_T0_E_clISt17integral_constantIbLb1EESV_IbLb0EEEEDaSR_SS_EUlSR_E_NS1_11comp_targetILNS1_3genE0ELNS1_11target_archE4294967295ELNS1_3gpuE0ELNS1_3repE0EEENS1_30default_config_static_selectorELNS0_4arch9wavefront6targetE1EEEvT1_
                                        ; -- End function
	.section	.AMDGPU.csdata,"",@progbits
; Kernel info:
; codeLenInByte = 0
; NumSgprs: 4
; NumVgprs: 0
; NumAgprs: 0
; TotalNumVgprs: 0
; ScratchSize: 0
; MemoryBound: 0
; FloatMode: 240
; IeeeMode: 1
; LDSByteSize: 0 bytes/workgroup (compile time only)
; SGPRBlocks: 0
; VGPRBlocks: 0
; NumSGPRsForWavesPerEU: 4
; NumVGPRsForWavesPerEU: 1
; AccumOffset: 4
; Occupancy: 8
; WaveLimiterHint : 0
; COMPUTE_PGM_RSRC2:SCRATCH_EN: 0
; COMPUTE_PGM_RSRC2:USER_SGPR: 6
; COMPUTE_PGM_RSRC2:TRAP_HANDLER: 0
; COMPUTE_PGM_RSRC2:TGID_X_EN: 1
; COMPUTE_PGM_RSRC2:TGID_Y_EN: 0
; COMPUTE_PGM_RSRC2:TGID_Z_EN: 0
; COMPUTE_PGM_RSRC2:TIDIG_COMP_CNT: 0
; COMPUTE_PGM_RSRC3_GFX90A:ACCUM_OFFSET: 0
; COMPUTE_PGM_RSRC3_GFX90A:TG_SPLIT: 0
	.section	.text._ZN7rocprim17ROCPRIM_400000_NS6detail17trampoline_kernelINS0_14default_configENS1_20scan_config_selectorI11FixedVectorIiLj1EEEEZZNS1_9scan_implILNS1_25lookback_scan_determinismE0ELb0ELb0ES3_N6thrust23THRUST_200600_302600_NS6detail15normal_iteratorINSB_10device_ptrIS6_EEEESG_S6_NSB_4plusIvEES6_EEDaPvRmT3_T4_T5_mT6_P12ihipStream_tbENKUlT_T0_E_clISt17integral_constantIbLb1EESV_IbLb0EEEEDaSR_SS_EUlSR_E_NS1_11comp_targetILNS1_3genE5ELNS1_11target_archE942ELNS1_3gpuE9ELNS1_3repE0EEENS1_30default_config_static_selectorELNS0_4arch9wavefront6targetE1EEEvT1_,"axG",@progbits,_ZN7rocprim17ROCPRIM_400000_NS6detail17trampoline_kernelINS0_14default_configENS1_20scan_config_selectorI11FixedVectorIiLj1EEEEZZNS1_9scan_implILNS1_25lookback_scan_determinismE0ELb0ELb0ES3_N6thrust23THRUST_200600_302600_NS6detail15normal_iteratorINSB_10device_ptrIS6_EEEESG_S6_NSB_4plusIvEES6_EEDaPvRmT3_T4_T5_mT6_P12ihipStream_tbENKUlT_T0_E_clISt17integral_constantIbLb1EESV_IbLb0EEEEDaSR_SS_EUlSR_E_NS1_11comp_targetILNS1_3genE5ELNS1_11target_archE942ELNS1_3gpuE9ELNS1_3repE0EEENS1_30default_config_static_selectorELNS0_4arch9wavefront6targetE1EEEvT1_,comdat
	.protected	_ZN7rocprim17ROCPRIM_400000_NS6detail17trampoline_kernelINS0_14default_configENS1_20scan_config_selectorI11FixedVectorIiLj1EEEEZZNS1_9scan_implILNS1_25lookback_scan_determinismE0ELb0ELb0ES3_N6thrust23THRUST_200600_302600_NS6detail15normal_iteratorINSB_10device_ptrIS6_EEEESG_S6_NSB_4plusIvEES6_EEDaPvRmT3_T4_T5_mT6_P12ihipStream_tbENKUlT_T0_E_clISt17integral_constantIbLb1EESV_IbLb0EEEEDaSR_SS_EUlSR_E_NS1_11comp_targetILNS1_3genE5ELNS1_11target_archE942ELNS1_3gpuE9ELNS1_3repE0EEENS1_30default_config_static_selectorELNS0_4arch9wavefront6targetE1EEEvT1_ ; -- Begin function _ZN7rocprim17ROCPRIM_400000_NS6detail17trampoline_kernelINS0_14default_configENS1_20scan_config_selectorI11FixedVectorIiLj1EEEEZZNS1_9scan_implILNS1_25lookback_scan_determinismE0ELb0ELb0ES3_N6thrust23THRUST_200600_302600_NS6detail15normal_iteratorINSB_10device_ptrIS6_EEEESG_S6_NSB_4plusIvEES6_EEDaPvRmT3_T4_T5_mT6_P12ihipStream_tbENKUlT_T0_E_clISt17integral_constantIbLb1EESV_IbLb0EEEEDaSR_SS_EUlSR_E_NS1_11comp_targetILNS1_3genE5ELNS1_11target_archE942ELNS1_3gpuE9ELNS1_3repE0EEENS1_30default_config_static_selectorELNS0_4arch9wavefront6targetE1EEEvT1_
	.globl	_ZN7rocprim17ROCPRIM_400000_NS6detail17trampoline_kernelINS0_14default_configENS1_20scan_config_selectorI11FixedVectorIiLj1EEEEZZNS1_9scan_implILNS1_25lookback_scan_determinismE0ELb0ELb0ES3_N6thrust23THRUST_200600_302600_NS6detail15normal_iteratorINSB_10device_ptrIS6_EEEESG_S6_NSB_4plusIvEES6_EEDaPvRmT3_T4_T5_mT6_P12ihipStream_tbENKUlT_T0_E_clISt17integral_constantIbLb1EESV_IbLb0EEEEDaSR_SS_EUlSR_E_NS1_11comp_targetILNS1_3genE5ELNS1_11target_archE942ELNS1_3gpuE9ELNS1_3repE0EEENS1_30default_config_static_selectorELNS0_4arch9wavefront6targetE1EEEvT1_
	.p2align	8
	.type	_ZN7rocprim17ROCPRIM_400000_NS6detail17trampoline_kernelINS0_14default_configENS1_20scan_config_selectorI11FixedVectorIiLj1EEEEZZNS1_9scan_implILNS1_25lookback_scan_determinismE0ELb0ELb0ES3_N6thrust23THRUST_200600_302600_NS6detail15normal_iteratorINSB_10device_ptrIS6_EEEESG_S6_NSB_4plusIvEES6_EEDaPvRmT3_T4_T5_mT6_P12ihipStream_tbENKUlT_T0_E_clISt17integral_constantIbLb1EESV_IbLb0EEEEDaSR_SS_EUlSR_E_NS1_11comp_targetILNS1_3genE5ELNS1_11target_archE942ELNS1_3gpuE9ELNS1_3repE0EEENS1_30default_config_static_selectorELNS0_4arch9wavefront6targetE1EEEvT1_,@function
_ZN7rocprim17ROCPRIM_400000_NS6detail17trampoline_kernelINS0_14default_configENS1_20scan_config_selectorI11FixedVectorIiLj1EEEEZZNS1_9scan_implILNS1_25lookback_scan_determinismE0ELb0ELb0ES3_N6thrust23THRUST_200600_302600_NS6detail15normal_iteratorINSB_10device_ptrIS6_EEEESG_S6_NSB_4plusIvEES6_EEDaPvRmT3_T4_T5_mT6_P12ihipStream_tbENKUlT_T0_E_clISt17integral_constantIbLb1EESV_IbLb0EEEEDaSR_SS_EUlSR_E_NS1_11comp_targetILNS1_3genE5ELNS1_11target_archE942ELNS1_3gpuE9ELNS1_3repE0EEENS1_30default_config_static_selectorELNS0_4arch9wavefront6targetE1EEEvT1_: ; @_ZN7rocprim17ROCPRIM_400000_NS6detail17trampoline_kernelINS0_14default_configENS1_20scan_config_selectorI11FixedVectorIiLj1EEEEZZNS1_9scan_implILNS1_25lookback_scan_determinismE0ELb0ELb0ES3_N6thrust23THRUST_200600_302600_NS6detail15normal_iteratorINSB_10device_ptrIS6_EEEESG_S6_NSB_4plusIvEES6_EEDaPvRmT3_T4_T5_mT6_P12ihipStream_tbENKUlT_T0_E_clISt17integral_constantIbLb1EESV_IbLb0EEEEDaSR_SS_EUlSR_E_NS1_11comp_targetILNS1_3genE5ELNS1_11target_archE942ELNS1_3gpuE9ELNS1_3repE0EEENS1_30default_config_static_selectorELNS0_4arch9wavefront6targetE1EEEvT1_
; %bb.0:
	.section	.rodata,"a",@progbits
	.p2align	6, 0x0
	.amdhsa_kernel _ZN7rocprim17ROCPRIM_400000_NS6detail17trampoline_kernelINS0_14default_configENS1_20scan_config_selectorI11FixedVectorIiLj1EEEEZZNS1_9scan_implILNS1_25lookback_scan_determinismE0ELb0ELb0ES3_N6thrust23THRUST_200600_302600_NS6detail15normal_iteratorINSB_10device_ptrIS6_EEEESG_S6_NSB_4plusIvEES6_EEDaPvRmT3_T4_T5_mT6_P12ihipStream_tbENKUlT_T0_E_clISt17integral_constantIbLb1EESV_IbLb0EEEEDaSR_SS_EUlSR_E_NS1_11comp_targetILNS1_3genE5ELNS1_11target_archE942ELNS1_3gpuE9ELNS1_3repE0EEENS1_30default_config_static_selectorELNS0_4arch9wavefront6targetE1EEEvT1_
		.amdhsa_group_segment_fixed_size 0
		.amdhsa_private_segment_fixed_size 0
		.amdhsa_kernarg_size 96
		.amdhsa_user_sgpr_count 6
		.amdhsa_user_sgpr_private_segment_buffer 1
		.amdhsa_user_sgpr_dispatch_ptr 0
		.amdhsa_user_sgpr_queue_ptr 0
		.amdhsa_user_sgpr_kernarg_segment_ptr 1
		.amdhsa_user_sgpr_dispatch_id 0
		.amdhsa_user_sgpr_flat_scratch_init 0
		.amdhsa_user_sgpr_kernarg_preload_length 0
		.amdhsa_user_sgpr_kernarg_preload_offset 0
		.amdhsa_user_sgpr_private_segment_size 0
		.amdhsa_uses_dynamic_stack 0
		.amdhsa_system_sgpr_private_segment_wavefront_offset 0
		.amdhsa_system_sgpr_workgroup_id_x 1
		.amdhsa_system_sgpr_workgroup_id_y 0
		.amdhsa_system_sgpr_workgroup_id_z 0
		.amdhsa_system_sgpr_workgroup_info 0
		.amdhsa_system_vgpr_workitem_id 0
		.amdhsa_next_free_vgpr 1
		.amdhsa_next_free_sgpr 0
		.amdhsa_accum_offset 4
		.amdhsa_reserve_vcc 0
		.amdhsa_reserve_flat_scratch 0
		.amdhsa_float_round_mode_32 0
		.amdhsa_float_round_mode_16_64 0
		.amdhsa_float_denorm_mode_32 3
		.amdhsa_float_denorm_mode_16_64 3
		.amdhsa_dx10_clamp 1
		.amdhsa_ieee_mode 1
		.amdhsa_fp16_overflow 0
		.amdhsa_tg_split 0
		.amdhsa_exception_fp_ieee_invalid_op 0
		.amdhsa_exception_fp_denorm_src 0
		.amdhsa_exception_fp_ieee_div_zero 0
		.amdhsa_exception_fp_ieee_overflow 0
		.amdhsa_exception_fp_ieee_underflow 0
		.amdhsa_exception_fp_ieee_inexact 0
		.amdhsa_exception_int_div_zero 0
	.end_amdhsa_kernel
	.section	.text._ZN7rocprim17ROCPRIM_400000_NS6detail17trampoline_kernelINS0_14default_configENS1_20scan_config_selectorI11FixedVectorIiLj1EEEEZZNS1_9scan_implILNS1_25lookback_scan_determinismE0ELb0ELb0ES3_N6thrust23THRUST_200600_302600_NS6detail15normal_iteratorINSB_10device_ptrIS6_EEEESG_S6_NSB_4plusIvEES6_EEDaPvRmT3_T4_T5_mT6_P12ihipStream_tbENKUlT_T0_E_clISt17integral_constantIbLb1EESV_IbLb0EEEEDaSR_SS_EUlSR_E_NS1_11comp_targetILNS1_3genE5ELNS1_11target_archE942ELNS1_3gpuE9ELNS1_3repE0EEENS1_30default_config_static_selectorELNS0_4arch9wavefront6targetE1EEEvT1_,"axG",@progbits,_ZN7rocprim17ROCPRIM_400000_NS6detail17trampoline_kernelINS0_14default_configENS1_20scan_config_selectorI11FixedVectorIiLj1EEEEZZNS1_9scan_implILNS1_25lookback_scan_determinismE0ELb0ELb0ES3_N6thrust23THRUST_200600_302600_NS6detail15normal_iteratorINSB_10device_ptrIS6_EEEESG_S6_NSB_4plusIvEES6_EEDaPvRmT3_T4_T5_mT6_P12ihipStream_tbENKUlT_T0_E_clISt17integral_constantIbLb1EESV_IbLb0EEEEDaSR_SS_EUlSR_E_NS1_11comp_targetILNS1_3genE5ELNS1_11target_archE942ELNS1_3gpuE9ELNS1_3repE0EEENS1_30default_config_static_selectorELNS0_4arch9wavefront6targetE1EEEvT1_,comdat
.Lfunc_end6426:
	.size	_ZN7rocprim17ROCPRIM_400000_NS6detail17trampoline_kernelINS0_14default_configENS1_20scan_config_selectorI11FixedVectorIiLj1EEEEZZNS1_9scan_implILNS1_25lookback_scan_determinismE0ELb0ELb0ES3_N6thrust23THRUST_200600_302600_NS6detail15normal_iteratorINSB_10device_ptrIS6_EEEESG_S6_NSB_4plusIvEES6_EEDaPvRmT3_T4_T5_mT6_P12ihipStream_tbENKUlT_T0_E_clISt17integral_constantIbLb1EESV_IbLb0EEEEDaSR_SS_EUlSR_E_NS1_11comp_targetILNS1_3genE5ELNS1_11target_archE942ELNS1_3gpuE9ELNS1_3repE0EEENS1_30default_config_static_selectorELNS0_4arch9wavefront6targetE1EEEvT1_, .Lfunc_end6426-_ZN7rocprim17ROCPRIM_400000_NS6detail17trampoline_kernelINS0_14default_configENS1_20scan_config_selectorI11FixedVectorIiLj1EEEEZZNS1_9scan_implILNS1_25lookback_scan_determinismE0ELb0ELb0ES3_N6thrust23THRUST_200600_302600_NS6detail15normal_iteratorINSB_10device_ptrIS6_EEEESG_S6_NSB_4plusIvEES6_EEDaPvRmT3_T4_T5_mT6_P12ihipStream_tbENKUlT_T0_E_clISt17integral_constantIbLb1EESV_IbLb0EEEEDaSR_SS_EUlSR_E_NS1_11comp_targetILNS1_3genE5ELNS1_11target_archE942ELNS1_3gpuE9ELNS1_3repE0EEENS1_30default_config_static_selectorELNS0_4arch9wavefront6targetE1EEEvT1_
                                        ; -- End function
	.section	.AMDGPU.csdata,"",@progbits
; Kernel info:
; codeLenInByte = 0
; NumSgprs: 4
; NumVgprs: 0
; NumAgprs: 0
; TotalNumVgprs: 0
; ScratchSize: 0
; MemoryBound: 0
; FloatMode: 240
; IeeeMode: 1
; LDSByteSize: 0 bytes/workgroup (compile time only)
; SGPRBlocks: 0
; VGPRBlocks: 0
; NumSGPRsForWavesPerEU: 4
; NumVGPRsForWavesPerEU: 1
; AccumOffset: 4
; Occupancy: 8
; WaveLimiterHint : 0
; COMPUTE_PGM_RSRC2:SCRATCH_EN: 0
; COMPUTE_PGM_RSRC2:USER_SGPR: 6
; COMPUTE_PGM_RSRC2:TRAP_HANDLER: 0
; COMPUTE_PGM_RSRC2:TGID_X_EN: 1
; COMPUTE_PGM_RSRC2:TGID_Y_EN: 0
; COMPUTE_PGM_RSRC2:TGID_Z_EN: 0
; COMPUTE_PGM_RSRC2:TIDIG_COMP_CNT: 0
; COMPUTE_PGM_RSRC3_GFX90A:ACCUM_OFFSET: 0
; COMPUTE_PGM_RSRC3_GFX90A:TG_SPLIT: 0
	.section	.text._ZN7rocprim17ROCPRIM_400000_NS6detail17trampoline_kernelINS0_14default_configENS1_20scan_config_selectorI11FixedVectorIiLj1EEEEZZNS1_9scan_implILNS1_25lookback_scan_determinismE0ELb0ELb0ES3_N6thrust23THRUST_200600_302600_NS6detail15normal_iteratorINSB_10device_ptrIS6_EEEESG_S6_NSB_4plusIvEES6_EEDaPvRmT3_T4_T5_mT6_P12ihipStream_tbENKUlT_T0_E_clISt17integral_constantIbLb1EESV_IbLb0EEEEDaSR_SS_EUlSR_E_NS1_11comp_targetILNS1_3genE4ELNS1_11target_archE910ELNS1_3gpuE8ELNS1_3repE0EEENS1_30default_config_static_selectorELNS0_4arch9wavefront6targetE1EEEvT1_,"axG",@progbits,_ZN7rocprim17ROCPRIM_400000_NS6detail17trampoline_kernelINS0_14default_configENS1_20scan_config_selectorI11FixedVectorIiLj1EEEEZZNS1_9scan_implILNS1_25lookback_scan_determinismE0ELb0ELb0ES3_N6thrust23THRUST_200600_302600_NS6detail15normal_iteratorINSB_10device_ptrIS6_EEEESG_S6_NSB_4plusIvEES6_EEDaPvRmT3_T4_T5_mT6_P12ihipStream_tbENKUlT_T0_E_clISt17integral_constantIbLb1EESV_IbLb0EEEEDaSR_SS_EUlSR_E_NS1_11comp_targetILNS1_3genE4ELNS1_11target_archE910ELNS1_3gpuE8ELNS1_3repE0EEENS1_30default_config_static_selectorELNS0_4arch9wavefront6targetE1EEEvT1_,comdat
	.protected	_ZN7rocprim17ROCPRIM_400000_NS6detail17trampoline_kernelINS0_14default_configENS1_20scan_config_selectorI11FixedVectorIiLj1EEEEZZNS1_9scan_implILNS1_25lookback_scan_determinismE0ELb0ELb0ES3_N6thrust23THRUST_200600_302600_NS6detail15normal_iteratorINSB_10device_ptrIS6_EEEESG_S6_NSB_4plusIvEES6_EEDaPvRmT3_T4_T5_mT6_P12ihipStream_tbENKUlT_T0_E_clISt17integral_constantIbLb1EESV_IbLb0EEEEDaSR_SS_EUlSR_E_NS1_11comp_targetILNS1_3genE4ELNS1_11target_archE910ELNS1_3gpuE8ELNS1_3repE0EEENS1_30default_config_static_selectorELNS0_4arch9wavefront6targetE1EEEvT1_ ; -- Begin function _ZN7rocprim17ROCPRIM_400000_NS6detail17trampoline_kernelINS0_14default_configENS1_20scan_config_selectorI11FixedVectorIiLj1EEEEZZNS1_9scan_implILNS1_25lookback_scan_determinismE0ELb0ELb0ES3_N6thrust23THRUST_200600_302600_NS6detail15normal_iteratorINSB_10device_ptrIS6_EEEESG_S6_NSB_4plusIvEES6_EEDaPvRmT3_T4_T5_mT6_P12ihipStream_tbENKUlT_T0_E_clISt17integral_constantIbLb1EESV_IbLb0EEEEDaSR_SS_EUlSR_E_NS1_11comp_targetILNS1_3genE4ELNS1_11target_archE910ELNS1_3gpuE8ELNS1_3repE0EEENS1_30default_config_static_selectorELNS0_4arch9wavefront6targetE1EEEvT1_
	.globl	_ZN7rocprim17ROCPRIM_400000_NS6detail17trampoline_kernelINS0_14default_configENS1_20scan_config_selectorI11FixedVectorIiLj1EEEEZZNS1_9scan_implILNS1_25lookback_scan_determinismE0ELb0ELb0ES3_N6thrust23THRUST_200600_302600_NS6detail15normal_iteratorINSB_10device_ptrIS6_EEEESG_S6_NSB_4plusIvEES6_EEDaPvRmT3_T4_T5_mT6_P12ihipStream_tbENKUlT_T0_E_clISt17integral_constantIbLb1EESV_IbLb0EEEEDaSR_SS_EUlSR_E_NS1_11comp_targetILNS1_3genE4ELNS1_11target_archE910ELNS1_3gpuE8ELNS1_3repE0EEENS1_30default_config_static_selectorELNS0_4arch9wavefront6targetE1EEEvT1_
	.p2align	8
	.type	_ZN7rocprim17ROCPRIM_400000_NS6detail17trampoline_kernelINS0_14default_configENS1_20scan_config_selectorI11FixedVectorIiLj1EEEEZZNS1_9scan_implILNS1_25lookback_scan_determinismE0ELb0ELb0ES3_N6thrust23THRUST_200600_302600_NS6detail15normal_iteratorINSB_10device_ptrIS6_EEEESG_S6_NSB_4plusIvEES6_EEDaPvRmT3_T4_T5_mT6_P12ihipStream_tbENKUlT_T0_E_clISt17integral_constantIbLb1EESV_IbLb0EEEEDaSR_SS_EUlSR_E_NS1_11comp_targetILNS1_3genE4ELNS1_11target_archE910ELNS1_3gpuE8ELNS1_3repE0EEENS1_30default_config_static_selectorELNS0_4arch9wavefront6targetE1EEEvT1_,@function
_ZN7rocprim17ROCPRIM_400000_NS6detail17trampoline_kernelINS0_14default_configENS1_20scan_config_selectorI11FixedVectorIiLj1EEEEZZNS1_9scan_implILNS1_25lookback_scan_determinismE0ELb0ELb0ES3_N6thrust23THRUST_200600_302600_NS6detail15normal_iteratorINSB_10device_ptrIS6_EEEESG_S6_NSB_4plusIvEES6_EEDaPvRmT3_T4_T5_mT6_P12ihipStream_tbENKUlT_T0_E_clISt17integral_constantIbLb1EESV_IbLb0EEEEDaSR_SS_EUlSR_E_NS1_11comp_targetILNS1_3genE4ELNS1_11target_archE910ELNS1_3gpuE8ELNS1_3repE0EEENS1_30default_config_static_selectorELNS0_4arch9wavefront6targetE1EEEvT1_: ; @_ZN7rocprim17ROCPRIM_400000_NS6detail17trampoline_kernelINS0_14default_configENS1_20scan_config_selectorI11FixedVectorIiLj1EEEEZZNS1_9scan_implILNS1_25lookback_scan_determinismE0ELb0ELb0ES3_N6thrust23THRUST_200600_302600_NS6detail15normal_iteratorINSB_10device_ptrIS6_EEEESG_S6_NSB_4plusIvEES6_EEDaPvRmT3_T4_T5_mT6_P12ihipStream_tbENKUlT_T0_E_clISt17integral_constantIbLb1EESV_IbLb0EEEEDaSR_SS_EUlSR_E_NS1_11comp_targetILNS1_3genE4ELNS1_11target_archE910ELNS1_3gpuE8ELNS1_3repE0EEENS1_30default_config_static_selectorELNS0_4arch9wavefront6targetE1EEEvT1_
; %bb.0:
	s_load_dwordx8 s[8:15], s[4:5], 0x0
	s_load_dword s0, s[4:5], 0x30
	s_mov_b32 s1, 0
	v_lshlrev_b32_e32 v26, 2, v0
	s_waitcnt lgkmcnt(0)
	s_lshl_b64 s[16:17], s[10:11], 2
	s_add_u32 s2, s8, s16
	s_addc_u32 s3, s9, s17
	s_add_i32 s7, s0, -1
	s_mul_i32 s8, s7, 0x500
	s_sub_u32 s24, s14, s8
	s_subb_u32 s25, s15, 0
	s_mul_i32 s0, s6, 0x500
	s_cmp_lg_u32 s6, s7
	s_cselect_b64 s[14:15], -1, 0
	s_lshl_b64 s[18:19], s[0:1], 2
	s_add_u32 s2, s2, s18
	s_addc_u32 s3, s3, s19
	s_mov_b64 s[0:1], -1
	s_and_b64 vcc, exec, s[14:15]
	s_cbranch_vccz .LBB6427_2
; %bb.1:
	v_mov_b32_e32 v1, s3
	v_add_co_u32_e32 v2, vcc, s2, v26
	v_addc_co_u32_e32 v3, vcc, 0, v1, vcc
	flat_load_dword v1, v[2:3]
	flat_load_dword v4, v[2:3] offset:512
	flat_load_dword v5, v[2:3] offset:1024
	;; [unrolled: 1-line block ×7, first 2 shown]
	v_add_co_u32_e32 v2, vcc, 0x1000, v2
	v_addc_co_u32_e32 v3, vcc, 0, v3, vcc
	flat_load_dword v11, v[2:3]
	flat_load_dword v12, v[2:3] offset:512
	s_mov_b64 s[0:1], 0
	s_waitcnt vmcnt(0) lgkmcnt(0)
	ds_write2st64_b32 v26, v1, v4 offset1:2
	ds_write2st64_b32 v26, v5, v6 offset0:4 offset1:6
	ds_write2st64_b32 v26, v7, v8 offset0:8 offset1:10
	;; [unrolled: 1-line block ×4, first 2 shown]
	s_waitcnt lgkmcnt(0)
	s_barrier
.LBB6427_2:
	s_load_dwordx2 s[20:21], s[4:5], 0x28
	s_andn2_b64 vcc, exec, s[0:1]
	v_cmp_gt_u32_e64 s[0:1], s24, v0
	s_cbranch_vccnz .LBB6427_24
; %bb.3:
	v_pk_mov_b32 v[2:3], s[2:3], s[2:3] op_sel:[0,1]
	flat_load_dword v1, v[2:3]
	s_waitcnt vmcnt(0) lgkmcnt(0)
	v_mov_b32_e32 v2, v1
	s_and_saveexec_b64 s[8:9], s[0:1]
	s_cbranch_execz .LBB6427_5
; %bb.4:
	v_mov_b32_e32 v3, s3
	v_add_co_u32_e32 v2, vcc, s2, v26
	v_addc_co_u32_e32 v3, vcc, 0, v3, vcc
	flat_load_dword v2, v[2:3]
.LBB6427_5:
	s_or_b64 exec, exec, s[8:9]
	v_or_b32_e32 v3, 0x80, v0
	v_cmp_gt_u32_e32 vcc, s24, v3
	v_mov_b32_e32 v3, v1
	s_and_saveexec_b64 s[0:1], vcc
	s_cbranch_execz .LBB6427_7
; %bb.6:
	v_mov_b32_e32 v3, s3
	v_add_co_u32_e32 v4, vcc, s2, v26
	v_addc_co_u32_e32 v5, vcc, 0, v3, vcc
	flat_load_dword v3, v[4:5] offset:512
.LBB6427_7:
	s_or_b64 exec, exec, s[0:1]
	v_or_b32_e32 v4, 0x100, v0
	v_cmp_gt_u32_e32 vcc, s24, v4
	v_mov_b32_e32 v4, v1
	s_and_saveexec_b64 s[0:1], vcc
	s_cbranch_execz .LBB6427_9
; %bb.8:
	v_mov_b32_e32 v5, s3
	v_add_co_u32_e32 v4, vcc, s2, v26
	v_addc_co_u32_e32 v5, vcc, 0, v5, vcc
	flat_load_dword v4, v[4:5] offset:1024
.LBB6427_9:
	;; [unrolled: 12-line block ×7, first 2 shown]
	s_or_b64 exec, exec, s[0:1]
	v_or_b32_e32 v11, 0x400, v0
	v_cmp_gt_u32_e32 vcc, s24, v11
	v_mov_b32_e32 v10, v1
	s_and_saveexec_b64 s[0:1], vcc
	s_cbranch_execz .LBB6427_21
; %bb.20:
	v_lshlrev_b32_e32 v10, 2, v11
	v_mov_b32_e32 v11, s3
	v_add_co_u32_e32 v10, vcc, s2, v10
	v_addc_co_u32_e32 v11, vcc, 0, v11, vcc
	flat_load_dword v10, v[10:11]
.LBB6427_21:
	s_or_b64 exec, exec, s[0:1]
	v_or_b32_e32 v11, 0x480, v0
	v_cmp_gt_u32_e32 vcc, s24, v11
	s_and_saveexec_b64 s[0:1], vcc
	s_cbranch_execz .LBB6427_23
; %bb.22:
	v_lshlrev_b32_e32 v1, 2, v11
	v_mov_b32_e32 v11, s3
	v_add_co_u32_e32 v12, vcc, s2, v1
	v_addc_co_u32_e32 v13, vcc, 0, v11, vcc
	flat_load_dword v1, v[12:13]
.LBB6427_23:
	s_or_b64 exec, exec, s[0:1]
	s_waitcnt vmcnt(0) lgkmcnt(0)
	ds_write2st64_b32 v26, v2, v3 offset1:2
	ds_write2st64_b32 v26, v4, v5 offset0:4 offset1:6
	ds_write2st64_b32 v26, v6, v7 offset0:8 offset1:10
	;; [unrolled: 1-line block ×4, first 2 shown]
	s_waitcnt lgkmcnt(0)
	s_barrier
.LBB6427_24:
	v_mul_u32_u24_e32 v27, 10, v0
	v_lshlrev_b32_e32 v1, 2, v27
	s_waitcnt lgkmcnt(0)
	ds_read2_b64 v[6:9], v1 offset1:1
	ds_read2_b64 v[2:5], v1 offset0:2 offset1:3
	ds_read_b64 v[18:19], v1 offset:32
	s_cmp_lg_u32 s6, 0
	v_lshrrev_b32_e32 v28, 5, v0
	v_cmp_gt_u32_e32 vcc, 64, v0
	s_waitcnt lgkmcnt(0)
	s_barrier
	s_cbranch_scc0 .LBB6427_53
; %bb.25:
	v_add_u32_e32 v10, v7, v6
	v_add3_u32 v10, v10, v8, v9
	v_add3_u32 v10, v10, v2, v3
	;; [unrolled: 1-line block ×4, first 2 shown]
	v_add_lshl_u32 v11, v28, v0, 2
	ds_write_b32 v11, v10
	s_waitcnt lgkmcnt(0)
	s_barrier
	s_and_saveexec_b64 s[2:3], vcc
	s_cbranch_execz .LBB6427_27
; %bb.26:
	v_lshlrev_b32_e32 v11, 1, v0
	v_lshrrev_b32_e32 v12, 4, v0
	v_add_lshl_u32 v11, v12, v11, 2
	ds_read2_b32 v[12:13], v11 offset1:1
	v_mbcnt_lo_u32_b32 v14, -1, 0
	v_mbcnt_hi_u32_b32 v14, -1, v14
	v_and_b32_e32 v15, 15, v14
	v_cmp_ne_u32_e64 s[0:1], 0, v15
	s_waitcnt lgkmcnt(0)
	v_add_u32_e32 v13, v13, v12
	; wave barrier
	s_nop 1
	v_mov_b32_dpp v16, v13 row_shr:1 row_mask:0xf bank_mask:0xf
	v_cndmask_b32_e64 v16, 0, v16, s[0:1]
	v_add_u32_e32 v13, v16, v13
	v_cmp_lt_u32_e64 s[0:1], 1, v15
	s_nop 0
	v_mov_b32_dpp v16, v13 row_shr:2 row_mask:0xf bank_mask:0xf
	v_cndmask_b32_e64 v16, 0, v16, s[0:1]
	v_add_u32_e32 v13, v13, v16
	v_cmp_lt_u32_e64 s[0:1], 3, v15
	s_nop 0
	v_mov_b32_dpp v16, v13 row_shr:4 row_mask:0xf bank_mask:0xf
	v_cndmask_b32_e64 v16, 0, v16, s[0:1]
	v_add_u32_e32 v13, v13, v16
	v_cmp_lt_u32_e64 s[0:1], 7, v15
	s_nop 0
	v_mov_b32_dpp v16, v13 row_shr:8 row_mask:0xf bank_mask:0xf
	v_cndmask_b32_e64 v15, 0, v16, s[0:1]
	v_add_u32_e32 v13, v13, v15
	v_bfe_i32 v16, v14, 4, 1
	v_cmp_lt_u32_e64 s[0:1], 31, v14
	v_mov_b32_dpp v15, v13 row_bcast:15 row_mask:0xf bank_mask:0xf
	v_and_b32_e32 v15, v16, v15
	v_add_u32_e32 v13, v13, v15
	v_and_b32_e32 v16, 64, v14
	s_nop 0
	v_mov_b32_dpp v15, v13 row_bcast:31 row_mask:0xf bank_mask:0xf
	v_cndmask_b32_e64 v15, 0, v15, s[0:1]
	v_add_u32_e32 v13, v13, v15
	v_add_u32_e32 v15, -1, v14
	v_cmp_lt_i32_e64 s[0:1], v15, v16
	v_cndmask_b32_e64 v14, v15, v14, s[0:1]
	v_lshlrev_b32_e32 v14, 2, v14
	ds_bpermute_b32 v13, v14, v13
	v_cmp_eq_u32_e64 s[0:1], 0, v0
	s_waitcnt lgkmcnt(0)
	v_add_u32_e32 v12, v13, v12
	v_cndmask_b32_e64 v10, v12, v10, s[0:1]
	ds_write_b32 v11, v10
	; wave barrier
	ds_read_b32 v12, v11 offset:4
	s_waitcnt lgkmcnt(0)
	v_add_u32_e32 v10, v12, v10
	ds_write_b32 v11, v10 offset:4
.LBB6427_27:
	s_or_b64 exec, exec, s[2:3]
	v_cmp_eq_u32_e64 s[0:1], 0, v0
	v_cmp_ne_u32_e64 s[2:3], 0, v0
	v_mov_b32_e32 v22, 0
	s_waitcnt lgkmcnt(0)
	s_barrier
	s_and_saveexec_b64 s[8:9], s[2:3]
	s_cbranch_execz .LBB6427_29
; %bb.28:
	v_add_u32_e32 v10, -1, v0
	v_lshrrev_b32_e32 v11, 5, v10
	v_add_lshl_u32 v10, v11, v10, 2
	ds_read_b32 v22, v10
.LBB6427_29:
	s_or_b64 exec, exec, s[8:9]
	s_and_saveexec_b64 s[8:9], vcc
	s_cbranch_execz .LBB6427_52
; %bb.30:
	v_mov_b32_e32 v21, 0
	ds_read_b32 v10, v21 offset:520
	v_mbcnt_lo_u32_b32 v11, -1, 0
	v_mbcnt_hi_u32_b32 v13, -1, v11
	s_mov_b32 s23, 0
	v_cmp_eq_u32_e64 s[2:3], 0, v13
	s_and_saveexec_b64 s[10:11], s[2:3]
	s_cbranch_execz .LBB6427_32
; %bb.31:
	s_add_i32 s22, s6, 64
	s_lshl_b64 s[22:23], s[22:23], 3
	s_add_u32 s22, s20, s22
	v_mov_b32_e32 v11, 1
	s_addc_u32 s23, s21, s23
	s_waitcnt lgkmcnt(0)
	global_store_dwordx2 v21, v[10:11], s[22:23]
.LBB6427_32:
	s_or_b64 exec, exec, s[10:11]
	v_xad_u32 v12, v13, -1, s6
	v_add_u32_e32 v20, 64, v12
	v_lshlrev_b64 v[14:15], 3, v[20:21]
	v_mov_b32_e32 v11, s21
	v_add_co_u32_e32 v14, vcc, s20, v14
	v_addc_co_u32_e32 v15, vcc, v11, v15, vcc
	global_load_dwordx2 v[16:17], v[14:15], off glc
	s_waitcnt vmcnt(0)
	v_cmp_eq_u16_sdwa s[22:23], v17, v21 src0_sel:BYTE_0 src1_sel:DWORD
	s_and_saveexec_b64 s[10:11], s[22:23]
	s_cbranch_execz .LBB6427_38
; %bb.33:
	s_mov_b32 s7, 1
	s_mov_b64 s[22:23], 0
	v_mov_b32_e32 v11, 0
.LBB6427_34:                            ; =>This Loop Header: Depth=1
                                        ;     Child Loop BB6427_35 Depth 2
	s_max_u32 s26, s7, 1
.LBB6427_35:                            ;   Parent Loop BB6427_34 Depth=1
                                        ; =>  This Inner Loop Header: Depth=2
	s_add_i32 s26, s26, -1
	s_cmp_eq_u32 s26, 0
	s_sleep 1
	s_cbranch_scc0 .LBB6427_35
; %bb.36:                               ;   in Loop: Header=BB6427_34 Depth=1
	global_load_dwordx2 v[16:17], v[14:15], off glc
	s_cmp_lt_u32 s7, 32
	s_cselect_b64 s[26:27], -1, 0
	s_cmp_lg_u64 s[26:27], 0
	s_addc_u32 s7, s7, 0
	s_waitcnt vmcnt(0)
	v_cmp_ne_u16_sdwa s[26:27], v17, v11 src0_sel:BYTE_0 src1_sel:DWORD
	s_or_b64 s[22:23], s[26:27], s[22:23]
	s_andn2_b64 exec, exec, s[22:23]
	s_cbranch_execnz .LBB6427_34
; %bb.37:
	s_or_b64 exec, exec, s[22:23]
.LBB6427_38:
	s_or_b64 exec, exec, s[10:11]
	v_and_b32_e32 v23, 63, v13
	v_mov_b32_e32 v11, 2
	v_cmp_ne_u32_e32 vcc, 63, v23
	v_cmp_eq_u16_sdwa s[10:11], v17, v11 src0_sel:BYTE_0 src1_sel:DWORD
	v_lshlrev_b64 v[14:15], v13, -1
	v_addc_co_u32_e32 v24, vcc, 0, v13, vcc
	v_and_b32_e32 v20, s11, v15
	v_lshlrev_b32_e32 v24, 2, v24
	v_or_b32_e32 v20, 0x80000000, v20
	ds_bpermute_b32 v25, v24, v16
	v_and_b32_e32 v21, s10, v14
	v_ffbl_b32_e32 v20, v20
	v_add_u32_e32 v20, 32, v20
	v_ffbl_b32_e32 v21, v21
	v_min_u32_e32 v20, v21, v20
	v_cmp_lt_u32_e32 vcc, v23, v20
	s_waitcnt lgkmcnt(0)
	v_cndmask_b32_e32 v21, 0, v25, vcc
	v_cmp_gt_u32_e32 vcc, 62, v23
	v_add_u32_e32 v16, v21, v16
	v_cndmask_b32_e64 v21, 0, 1, vcc
	v_lshlrev_b32_e32 v21, 1, v21
	v_add_lshl_u32 v25, v21, v13, 2
	ds_bpermute_b32 v21, v25, v16
	v_add_u32_e32 v29, 2, v23
	v_cmp_le_u32_e32 vcc, v29, v20
	v_add_u32_e32 v31, 4, v23
	v_add_u32_e32 v33, 8, v23
	s_waitcnt lgkmcnt(0)
	v_cndmask_b32_e32 v21, 0, v21, vcc
	v_cmp_gt_u32_e32 vcc, 60, v23
	v_add_u32_e32 v16, v16, v21
	v_cndmask_b32_e64 v21, 0, 1, vcc
	v_lshlrev_b32_e32 v21, 2, v21
	v_add_lshl_u32 v30, v21, v13, 2
	ds_bpermute_b32 v21, v30, v16
	v_cmp_le_u32_e32 vcc, v31, v20
	v_add_u32_e32 v36, 16, v23
	v_add_u32_e32 v38, 32, v23
	s_waitcnt lgkmcnt(0)
	v_cndmask_b32_e32 v21, 0, v21, vcc
	v_cmp_gt_u32_e32 vcc, 56, v23
	v_add_u32_e32 v16, v16, v21
	v_cndmask_b32_e64 v21, 0, 1, vcc
	v_lshlrev_b32_e32 v21, 3, v21
	v_add_lshl_u32 v32, v21, v13, 2
	ds_bpermute_b32 v21, v32, v16
	v_cmp_le_u32_e32 vcc, v33, v20
	s_waitcnt lgkmcnt(0)
	v_cndmask_b32_e32 v21, 0, v21, vcc
	v_cmp_gt_u32_e32 vcc, 48, v23
	v_add_u32_e32 v16, v16, v21
	v_cndmask_b32_e64 v21, 0, 1, vcc
	v_lshlrev_b32_e32 v21, 4, v21
	v_add_lshl_u32 v35, v21, v13, 2
	ds_bpermute_b32 v21, v35, v16
	v_cmp_le_u32_e32 vcc, v36, v20
	;; [unrolled: 9-line block ×3, first 2 shown]
	s_waitcnt lgkmcnt(0)
	v_cndmask_b32_e32 v13, 0, v13, vcc
	v_add_u32_e32 v16, v16, v13
	v_mov_b32_e32 v13, 0
	s_branch .LBB6427_40
.LBB6427_39:                            ;   in Loop: Header=BB6427_40 Depth=1
	s_or_b64 exec, exec, s[10:11]
	v_cmp_eq_u16_sdwa s[10:11], v17, v11 src0_sel:BYTE_0 src1_sel:DWORD
	v_and_b32_e32 v20, s11, v15
	v_or_b32_e32 v20, 0x80000000, v20
	ds_bpermute_b32 v39, v24, v16
	v_and_b32_e32 v21, s10, v14
	v_ffbl_b32_e32 v20, v20
	v_add_u32_e32 v20, 32, v20
	v_ffbl_b32_e32 v21, v21
	v_min_u32_e32 v20, v21, v20
	v_cmp_lt_u32_e32 vcc, v23, v20
	s_waitcnt lgkmcnt(0)
	v_cndmask_b32_e32 v21, 0, v39, vcc
	v_add_u32_e32 v16, v21, v16
	ds_bpermute_b32 v21, v25, v16
	v_cmp_le_u32_e32 vcc, v29, v20
	v_subrev_u32_e32 v12, 64, v12
	s_waitcnt lgkmcnt(0)
	v_cndmask_b32_e32 v21, 0, v21, vcc
	v_add_u32_e32 v16, v16, v21
	ds_bpermute_b32 v21, v30, v16
	v_cmp_le_u32_e32 vcc, v31, v20
	s_waitcnt lgkmcnt(0)
	v_cndmask_b32_e32 v21, 0, v21, vcc
	v_add_u32_e32 v16, v16, v21
	ds_bpermute_b32 v21, v32, v16
	v_cmp_le_u32_e32 vcc, v33, v20
	;; [unrolled: 5-line block ×4, first 2 shown]
	s_waitcnt lgkmcnt(0)
	v_cndmask_b32_e32 v20, 0, v21, vcc
	v_add3_u32 v16, v20, v34, v16
.LBB6427_40:                            ; =>This Loop Header: Depth=1
                                        ;     Child Loop BB6427_43 Depth 2
                                        ;       Child Loop BB6427_44 Depth 3
	v_cmp_ne_u16_sdwa s[10:11], v17, v11 src0_sel:BYTE_0 src1_sel:DWORD
	v_cndmask_b32_e64 v17, 0, 1, s[10:11]
	;;#ASMSTART
	;;#ASMEND
	v_cmp_ne_u32_e32 vcc, 0, v17
	s_cmp_lg_u64 vcc, exec
	v_mov_b32_e32 v34, v16
	s_cbranch_scc1 .LBB6427_47
; %bb.41:                               ;   in Loop: Header=BB6427_40 Depth=1
	v_lshlrev_b64 v[16:17], 3, v[12:13]
	v_mov_b32_e32 v21, s21
	v_add_co_u32_e32 v20, vcc, s20, v16
	v_addc_co_u32_e32 v21, vcc, v21, v17, vcc
	global_load_dwordx2 v[16:17], v[20:21], off glc
	s_waitcnt vmcnt(0)
	v_cmp_eq_u16_sdwa s[22:23], v17, v13 src0_sel:BYTE_0 src1_sel:DWORD
	s_and_saveexec_b64 s[10:11], s[22:23]
	s_cbranch_execz .LBB6427_39
; %bb.42:                               ;   in Loop: Header=BB6427_40 Depth=1
	s_mov_b32 s7, 1
	s_mov_b64 s[22:23], 0
.LBB6427_43:                            ;   Parent Loop BB6427_40 Depth=1
                                        ; =>  This Loop Header: Depth=2
                                        ;       Child Loop BB6427_44 Depth 3
	s_max_u32 s26, s7, 1
.LBB6427_44:                            ;   Parent Loop BB6427_40 Depth=1
                                        ;     Parent Loop BB6427_43 Depth=2
                                        ; =>    This Inner Loop Header: Depth=3
	s_add_i32 s26, s26, -1
	s_cmp_eq_u32 s26, 0
	s_sleep 1
	s_cbranch_scc0 .LBB6427_44
; %bb.45:                               ;   in Loop: Header=BB6427_43 Depth=2
	global_load_dwordx2 v[16:17], v[20:21], off glc
	s_cmp_lt_u32 s7, 32
	s_cselect_b64 s[26:27], -1, 0
	s_cmp_lg_u64 s[26:27], 0
	s_addc_u32 s7, s7, 0
	s_waitcnt vmcnt(0)
	v_cmp_ne_u16_sdwa s[26:27], v17, v13 src0_sel:BYTE_0 src1_sel:DWORD
	s_or_b64 s[22:23], s[26:27], s[22:23]
	s_andn2_b64 exec, exec, s[22:23]
	s_cbranch_execnz .LBB6427_43
; %bb.46:                               ;   in Loop: Header=BB6427_40 Depth=1
	s_or_b64 exec, exec, s[22:23]
	s_branch .LBB6427_39
.LBB6427_47:                            ;   in Loop: Header=BB6427_40 Depth=1
                                        ; implicit-def: $vgpr16
                                        ; implicit-def: $vgpr17
	s_cbranch_execz .LBB6427_40
; %bb.48:
	s_and_saveexec_b64 s[10:11], s[2:3]
	s_cbranch_execz .LBB6427_50
; %bb.49:
	s_add_i32 s2, s6, 64
	s_mov_b32 s3, 0
	s_lshl_b64 s[2:3], s[2:3], 3
	s_add_u32 s2, s20, s2
	v_add_u32_e32 v10, v34, v10
	v_mov_b32_e32 v11, 2
	s_addc_u32 s3, s21, s3
	v_mov_b32_e32 v12, 0
	global_store_dwordx2 v12, v[10:11], s[2:3]
.LBB6427_50:
	s_or_b64 exec, exec, s[10:11]
	s_and_b64 exec, exec, s[0:1]
	s_cbranch_execz .LBB6427_52
; %bb.51:
	v_mov_b32_e32 v10, 0
	ds_write_b32 v10, v34
.LBB6427_52:
	s_or_b64 exec, exec, s[8:9]
	v_mov_b32_e32 v10, 0
	s_waitcnt lgkmcnt(0)
	s_barrier
	ds_read_b32 v10, v10
	s_waitcnt lgkmcnt(0)
	v_add3_u32 v10, v22, v6, v10
	v_add_u32_e32 v11, v10, v7
	v_add_u32_e32 v20, v11, v8
	;; [unrolled: 1-line block ×9, first 2 shown]
	s_load_dwordx8 s[4:11], s[4:5], 0x38
	s_branch .LBB6427_65
.LBB6427_53:
                                        ; implicit-def: $vgpr24_vgpr25
                                        ; implicit-def: $vgpr22_vgpr23
                                        ; implicit-def: $vgpr20_vgpr21
                                        ; implicit-def: $vgpr14_vgpr15_vgpr16_vgpr17
                                        ; implicit-def: $vgpr10_vgpr11_vgpr12_vgpr13
	s_load_dwordx8 s[4:11], s[4:5], 0x38
	s_cbranch_execz .LBB6427_65
; %bb.54:
	s_waitcnt lgkmcnt(0)
	s_cmp_lg_u64 s[8:9], 0
	s_cselect_b64 s[2:3], -1, 0
	v_cmp_eq_u32_e64 s[0:1], 0, v0
	v_cmp_ne_u32_e32 vcc, 0, v0
	s_and_b64 s[8:9], s[0:1], s[2:3]
	s_and_saveexec_b64 s[2:3], s[8:9]
	s_cbranch_execz .LBB6427_56
; %bb.55:
	v_mov_b32_e32 v10, 0
	global_load_dword v10, v10, s[4:5]
	s_waitcnt vmcnt(0)
	v_add_u32_e32 v6, v10, v6
.LBB6427_56:
	s_or_b64 exec, exec, s[2:3]
	v_add_u32_e32 v11, v6, v7
	v_add_u32_e32 v20, v11, v8
	;; [unrolled: 1-line block ×9, first 2 shown]
	v_add_lshl_u32 v10, v28, v0, 2
	v_cmp_gt_u32_e64 s[2:3], 64, v0
	ds_write_b32 v10, v25
	s_waitcnt lgkmcnt(0)
	s_barrier
	s_and_saveexec_b64 s[4:5], s[2:3]
	s_cbranch_execz .LBB6427_58
; %bb.57:
	v_lshlrev_b32_e32 v10, 1, v0
	v_lshrrev_b32_e32 v12, 4, v0
	v_add_lshl_u32 v10, v12, v10, 2
	ds_read2_b32 v[12:13], v10 offset1:1
	v_mbcnt_lo_u32_b32 v16, -1, 0
	v_mbcnt_hi_u32_b32 v16, -1, v16
	v_and_b32_e32 v17, 15, v16
	v_cmp_ne_u32_e64 s[2:3], 0, v17
	s_waitcnt lgkmcnt(0)
	v_add_u32_e32 v13, v13, v12
	; wave barrier
	s_nop 1
	v_mov_b32_dpp v28, v13 row_shr:1 row_mask:0xf bank_mask:0xf
	v_cndmask_b32_e64 v28, 0, v28, s[2:3]
	v_add_u32_e32 v13, v28, v13
	v_cmp_lt_u32_e64 s[2:3], 1, v17
	s_nop 0
	v_mov_b32_dpp v28, v13 row_shr:2 row_mask:0xf bank_mask:0xf
	v_cndmask_b32_e64 v28, 0, v28, s[2:3]
	v_add_u32_e32 v13, v13, v28
	v_cmp_lt_u32_e64 s[2:3], 3, v17
	s_nop 0
	v_mov_b32_dpp v28, v13 row_shr:4 row_mask:0xf bank_mask:0xf
	v_cndmask_b32_e64 v28, 0, v28, s[2:3]
	v_add_u32_e32 v13, v13, v28
	v_cmp_lt_u32_e64 s[2:3], 7, v17
	s_nop 0
	v_mov_b32_dpp v28, v13 row_shr:8 row_mask:0xf bank_mask:0xf
	v_cndmask_b32_e64 v17, 0, v28, s[2:3]
	v_add_u32_e32 v13, v13, v17
	v_bfe_i32 v28, v16, 4, 1
	v_cmp_lt_u32_e64 s[2:3], 31, v16
	v_mov_b32_dpp v17, v13 row_bcast:15 row_mask:0xf bank_mask:0xf
	v_and_b32_e32 v17, v28, v17
	v_add_u32_e32 v13, v13, v17
	v_and_b32_e32 v28, 64, v16
	s_nop 0
	v_mov_b32_dpp v17, v13 row_bcast:31 row_mask:0xf bank_mask:0xf
	v_cndmask_b32_e64 v17, 0, v17, s[2:3]
	v_add_u32_e32 v13, v13, v17
	v_add_u32_e32 v17, -1, v16
	v_cmp_lt_i32_e64 s[2:3], v17, v28
	v_cndmask_b32_e64 v16, v17, v16, s[2:3]
	v_lshlrev_b32_e32 v16, 2, v16
	ds_bpermute_b32 v13, v16, v13
	s_waitcnt lgkmcnt(0)
	v_add_u32_e32 v12, v13, v12
	v_cndmask_b32_e64 v12, v12, v25, s[0:1]
	ds_write_b32 v10, v12
	; wave barrier
	ds_read_b32 v13, v10 offset:4
	s_waitcnt lgkmcnt(0)
	v_add_u32_e32 v12, v13, v12
	ds_write_b32 v10, v12 offset:4
.LBB6427_58:
	s_or_b64 exec, exec, s[4:5]
	v_mov_b32_e32 v12, v25
	s_waitcnt lgkmcnt(0)
	s_barrier
	s_and_saveexec_b64 s[0:1], vcc
	s_cbranch_execz .LBB6427_60
; %bb.59:
	v_add_u32_e32 v10, -1, v0
	v_lshrrev_b32_e32 v12, 5, v10
	v_add_lshl_u32 v10, v12, v10, 2
	ds_read_b32 v12, v10
.LBB6427_60:
	s_or_b64 exec, exec, s[0:1]
	v_mov_b32_e32 v10, v6
	s_and_saveexec_b64 s[0:1], vcc
	s_cbranch_execz .LBB6427_62
; %bb.61:
	s_waitcnt lgkmcnt(0)
	v_add_u32_e32 v10, v12, v6
	v_add_u32_e32 v11, v10, v7
	;; [unrolled: 1-line block ×10, first 2 shown]
	;;#ASMSTART
	;;#ASMEND
.LBB6427_62:
	s_or_b64 exec, exec, s[0:1]
	s_movk_i32 s0, 0x7f
	v_cmp_eq_u32_e32 vcc, s0, v0
	s_and_saveexec_b64 s[0:1], vcc
	s_cbranch_execz .LBB6427_64
; %bb.63:
	v_mov_b32_e32 v4, 0
	v_mov_b32_e32 v3, 2
	;; [unrolled: 1-line block ×3, first 2 shown]
	global_store_dwordx2 v4, v[2:3], s[20:21] offset:512
.LBB6427_64:
	s_or_b64 exec, exec, s[0:1]
.LBB6427_65:
	s_add_u32 s0, s12, s16
	s_addc_u32 s1, s13, s17
	s_add_u32 s2, s0, s18
	s_addc_u32 s3, s1, s19
	s_mov_b64 s[0:1], -1
	s_and_b64 vcc, exec, s[14:15]
	s_waitcnt lgkmcnt(0)
	s_barrier
	s_cbranch_vccz .LBB6427_67
; %bb.66:
	ds_write2_b64 v1, v[10:11], v[20:21] offset1:1
	ds_write2_b64 v1, v[14:15], v[22:23] offset0:2 offset1:3
	ds_write_b64 v1, v[24:25] offset:32
	s_waitcnt lgkmcnt(0)
	s_barrier
	ds_read2st64_b32 v[2:3], v26 offset1:2
	ds_read2st64_b32 v[4:5], v26 offset0:4 offset1:6
	ds_read2st64_b32 v[6:7], v26 offset0:8 offset1:10
	;; [unrolled: 1-line block ×4, first 2 shown]
	v_mov_b32_e32 v17, s3
	v_add_co_u32_e32 v16, vcc, s2, v26
	v_addc_co_u32_e32 v17, vcc, 0, v17, vcc
	s_waitcnt lgkmcnt(4)
	flat_store_dword v[16:17], v2
	flat_store_dword v[16:17], v3 offset:512
	s_waitcnt lgkmcnt(0)
	flat_store_dword v[16:17], v4 offset:1024
	flat_store_dword v[16:17], v5 offset:1536
	;; [unrolled: 1-line block ×6, first 2 shown]
	v_add_co_u32_e32 v2, vcc, 0x1000, v16
	v_addc_co_u32_e32 v3, vcc, 0, v17, vcc
	flat_store_dword v[2:3], v12
	flat_store_dword v[2:3], v13 offset:512
	s_mov_b64 s[0:1], 0
.LBB6427_67:
	s_andn2_b64 vcc, exec, s[0:1]
	s_cbranch_vccnz .LBB6427_123
; %bb.68:
	ds_write2_b64 v1, v[10:11], v[20:21] offset1:1
	ds_write2_b64 v1, v[14:15], v[22:23] offset0:2 offset1:3
	ds_write_b64 v1, v[24:25] offset:32
	s_waitcnt lgkmcnt(0)
	s_barrier
	ds_read2st64_b32 v[2:3], v26 offset1:2
	ds_read2st64_b32 v[6:7], v26 offset0:4 offset1:6
	ds_read2st64_b32 v[4:5], v26 offset0:8 offset1:10
	;; [unrolled: 1-line block ×4, first 2 shown]
	v_mov_b32_e32 v13, s3
	v_add_co_u32_e32 v12, vcc, s2, v26
	v_addc_co_u32_e32 v13, vcc, 0, v13, vcc
	v_mov_b32_e32 v1, 0
	v_cmp_gt_u32_e32 vcc, s24, v0
	s_and_saveexec_b64 s[0:1], vcc
	s_cbranch_execz .LBB6427_70
; %bb.69:
	s_waitcnt lgkmcnt(0)
	flat_store_dword v[12:13], v2
.LBB6427_70:
	s_or_b64 exec, exec, s[0:1]
	v_or_b32_e32 v14, 0x80, v0
	v_cmp_gt_u32_e32 vcc, s24, v14
	s_and_saveexec_b64 s[0:1], vcc
	s_cbranch_execz .LBB6427_72
; %bb.71:
	s_waitcnt lgkmcnt(0)
	flat_store_dword v[12:13], v3 offset:512
.LBB6427_72:
	s_or_b64 exec, exec, s[0:1]
	v_or_b32_e32 v14, 0x100, v0
	v_cmp_gt_u32_e32 vcc, s24, v14
	s_and_saveexec_b64 s[0:1], vcc
	s_cbranch_execz .LBB6427_74
; %bb.73:
	s_waitcnt lgkmcnt(0)
	flat_store_dword v[12:13], v6 offset:1024
.LBB6427_74:
	;; [unrolled: 9-line block ×7, first 2 shown]
	s_or_b64 exec, exec, s[0:1]
	v_or_b32_e32 v14, 0x400, v0
	v_cmp_gt_u32_e32 vcc, s24, v14
	s_and_saveexec_b64 s[0:1], vcc
	s_cbranch_execz .LBB6427_86
; %bb.85:
	v_add_co_u32_e32 v14, vcc, 0x1000, v12
	v_addc_co_u32_e32 v15, vcc, 0, v13, vcc
	s_waitcnt lgkmcnt(0)
	flat_store_dword v[14:15], v10
.LBB6427_86:
	s_or_b64 exec, exec, s[0:1]
	v_or_b32_e32 v14, 0x480, v0
	v_cmp_gt_u32_e32 vcc, s24, v14
	s_and_saveexec_b64 s[0:1], vcc
	s_cbranch_execz .LBB6427_88
; %bb.87:
	v_add_co_u32_e32 v12, vcc, 0x1000, v12
	v_addc_co_u32_e32 v13, vcc, 0, v13, vcc
	s_waitcnt lgkmcnt(0)
	flat_store_dword v[12:13], v11 offset:512
.LBB6427_88:
	s_or_b64 exec, exec, s[0:1]
	v_cmp_lt_u64_e64 s[0:1], s[10:11], 2
	s_and_b64 vcc, exec, s[0:1]
	s_cbranch_vccnz .LBB6427_123
; %bb.89:
	s_add_u32 s0, s24, -1
	s_addc_u32 s1, s25, -1
	s_add_u32 s2, 0, 0x99986000
	s_addc_u32 s3, 0, 0x59
	s_add_i32 s3, s3, 0x19999940
	s_mul_hi_u32 s9, s2, -10
	s_sub_i32 s9, s9, s2
	s_mul_i32 s10, s3, -10
	s_mul_i32 s4, s2, -10
	s_add_i32 s9, s9, s10
	s_mul_hi_u32 s5, s3, s4
	s_mul_i32 s8, s3, s4
	s_mul_i32 s11, s2, s9
	s_mul_hi_u32 s4, s2, s4
	s_mul_hi_u32 s10, s2, s9
	s_add_u32 s4, s4, s11
	s_addc_u32 s10, 0, s10
	s_add_u32 s4, s4, s8
	s_mul_hi_u32 s11, s3, s9
	s_addc_u32 s4, s10, s5
	s_addc_u32 s5, s11, 0
	s_mul_i32 s8, s3, s9
	s_add_u32 s4, s4, s8
	v_mov_b32_e32 v12, s4
	s_addc_u32 s5, 0, s5
	v_add_co_u32_e32 v12, vcc, s2, v12
	s_cmp_lg_u64 vcc, 0
	s_addc_u32 s2, s3, s5
	v_readfirstlane_b32 s5, v12
	s_mul_i32 s4, s0, s2
	s_mul_hi_u32 s8, s0, s5
	s_mul_hi_u32 s3, s0, s2
	s_add_u32 s4, s8, s4
	s_addc_u32 s3, 0, s3
	s_mul_hi_u32 s9, s1, s5
	s_mul_i32 s5, s1, s5
	s_add_u32 s4, s4, s5
	s_mul_hi_u32 s8, s1, s2
	s_addc_u32 s3, s3, s9
	s_addc_u32 s4, s8, 0
	s_mul_i32 s2, s1, s2
	s_add_u32 s2, s3, s2
	s_addc_u32 s3, 0, s4
	s_add_u32 s4, s2, 1
	s_addc_u32 s5, s3, 0
	s_add_u32 s8, s2, 2
	s_mul_i32 s10, s3, 10
	s_mul_hi_u32 s11, s2, 10
	s_addc_u32 s9, s3, 0
	s_add_i32 s11, s11, s10
	s_mul_i32 s10, s2, 10
	v_mov_b32_e32 v12, s10
	v_sub_co_u32_e32 v12, vcc, s0, v12
	s_cmp_lg_u64 vcc, 0
	s_subb_u32 s10, s1, s11
	v_subrev_co_u32_e32 v13, vcc, 10, v12
	s_cmp_lg_u64 vcc, 0
	s_subb_u32 s11, s10, 0
	v_readfirstlane_b32 s12, v13
	s_cmp_gt_u32 s12, 9
	s_cselect_b32 s12, -1, 0
	s_cmp_eq_u32 s11, 0
	s_cselect_b32 s11, s12, -1
	s_cmp_lg_u32 s11, 0
	s_cselect_b32 s4, s8, s4
	v_readfirstlane_b32 s8, v12
	s_cselect_b32 s5, s9, s5
	s_cmp_gt_u32 s8, 9
	s_cselect_b32 s8, -1, 0
	s_cmp_eq_u32 s10, 0
	s_cselect_b32 s8, s8, -1
	s_cmp_lg_u32 s8, 0
	s_cselect_b32 s3, s5, s3
	s_cselect_b32 s2, s4, s2
	v_cmp_eq_u64_e32 vcc, s[2:3], v[0:1]
	s_and_saveexec_b64 s[2:3], vcc
	s_cbranch_execz .LBB6427_123
; %bb.90:
	v_mul_hi_u32_u24_e32 v1, 10, v0
	v_mov_b32_e32 v12, s1
	v_sub_co_u32_e32 v0, vcc, s0, v27
	v_subb_co_u32_e32 v1, vcc, v12, v1, vcc
	v_cmp_lt_i64_e32 vcc, 4, v[0:1]
	s_and_saveexec_b64 s[0:1], vcc
	s_xor_b64 s[0:1], exec, s[0:1]
	s_cbranch_execz .LBB6427_108
; %bb.91:
	v_cmp_lt_i64_e32 vcc, 6, v[0:1]
	s_and_saveexec_b64 s[2:3], vcc
	s_xor_b64 s[2:3], exec, s[2:3]
	s_cbranch_execz .LBB6427_101
; %bb.92:
	;; [unrolled: 5-line block ×4, first 2 shown]
	v_mov_b32_e32 v0, 0
	s_waitcnt lgkmcnt(0)
	global_store_dword v0, v11, s[6:7]
                                        ; implicit-def: $vgpr10_vgpr11
.LBB6427_95:
	s_andn2_saveexec_b64 s[8:9], s[8:9]
	s_cbranch_execz .LBB6427_97
; %bb.96:
	v_mov_b32_e32 v0, 0
	s_waitcnt lgkmcnt(0)
	global_store_dword v0, v10, s[6:7]
.LBB6427_97:
	s_or_b64 exec, exec, s[8:9]
                                        ; implicit-def: $vgpr8_vgpr9
.LBB6427_98:
	s_andn2_saveexec_b64 s[4:5], s[4:5]
	s_cbranch_execz .LBB6427_100
; %bb.99:
	v_mov_b32_e32 v0, 0
	s_waitcnt lgkmcnt(0)
	global_store_dword v0, v9, s[6:7]
.LBB6427_100:
	s_or_b64 exec, exec, s[4:5]
                                        ; implicit-def: $vgpr4_vgpr5
                                        ; implicit-def: $vgpr0_vgpr1
                                        ; implicit-def: $vgpr8_vgpr9
.LBB6427_101:
	s_andn2_saveexec_b64 s[2:3], s[2:3]
	s_cbranch_execz .LBB6427_107
; %bb.102:
	v_cmp_lt_i64_e32 vcc, 5, v[0:1]
	s_and_saveexec_b64 s[4:5], vcc
	s_xor_b64 s[4:5], exec, s[4:5]
	s_cbranch_execz .LBB6427_104
; %bb.103:
	v_mov_b32_e32 v0, 0
	s_waitcnt lgkmcnt(0)
	global_store_dword v0, v8, s[6:7]
                                        ; implicit-def: $vgpr4_vgpr5
.LBB6427_104:
	s_andn2_saveexec_b64 s[4:5], s[4:5]
	s_cbranch_execz .LBB6427_106
; %bb.105:
	v_mov_b32_e32 v0, 0
	s_waitcnt lgkmcnt(0)
	global_store_dword v0, v5, s[6:7]
.LBB6427_106:
	s_or_b64 exec, exec, s[4:5]
.LBB6427_107:
	s_or_b64 exec, exec, s[2:3]
                                        ; implicit-def: $vgpr0_vgpr1
                                        ; implicit-def: $vgpr6_vgpr7
                                        ; implicit-def: $vgpr2_vgpr3
                                        ; implicit-def: $vgpr4_vgpr5
.LBB6427_108:
	s_andn2_saveexec_b64 s[0:1], s[0:1]
	s_cbranch_execz .LBB6427_123
; %bb.109:
	v_cmp_lt_i64_e32 vcc, 2, v[0:1]
	s_and_saveexec_b64 s[0:1], vcc
	s_xor_b64 s[0:1], exec, s[0:1]
	s_cbranch_execz .LBB6427_115
; %bb.110:
	v_cmp_lt_i64_e32 vcc, 3, v[0:1]
	s_and_saveexec_b64 s[2:3], vcc
	s_xor_b64 s[2:3], exec, s[2:3]
	s_cbranch_execz .LBB6427_112
; %bb.111:
	v_mov_b32_e32 v0, 0
	s_waitcnt lgkmcnt(0)
	global_store_dword v0, v4, s[6:7]
                                        ; implicit-def: $vgpr6_vgpr7
.LBB6427_112:
	s_andn2_saveexec_b64 s[2:3], s[2:3]
	s_cbranch_execz .LBB6427_114
; %bb.113:
	v_mov_b32_e32 v0, 0
	s_waitcnt lgkmcnt(0)
	global_store_dword v0, v7, s[6:7]
.LBB6427_114:
	s_or_b64 exec, exec, s[2:3]
                                        ; implicit-def: $vgpr0_vgpr1
                                        ; implicit-def: $vgpr6_vgpr7
                                        ; implicit-def: $vgpr2_vgpr3
.LBB6427_115:
	s_andn2_saveexec_b64 s[0:1], s[0:1]
	s_cbranch_execz .LBB6427_123
; %bb.116:
	v_cmp_lt_i64_e32 vcc, 1, v[0:1]
	s_and_saveexec_b64 s[0:1], vcc
	s_xor_b64 s[0:1], exec, s[0:1]
	s_cbranch_execz .LBB6427_118
; %bb.117:
	v_mov_b32_e32 v0, 0
	s_waitcnt lgkmcnt(0)
	global_store_dword v0, v6, s[6:7]
                                        ; implicit-def: $vgpr2_vgpr3
                                        ; implicit-def: $vgpr0_vgpr1
.LBB6427_118:
	s_andn2_saveexec_b64 s[0:1], s[0:1]
	s_cbranch_execz .LBB6427_123
; %bb.119:
	v_cmp_ne_u64_e32 vcc, 1, v[0:1]
	s_and_saveexec_b64 s[0:1], vcc
	s_xor_b64 s[0:1], exec, s[0:1]
	s_cbranch_execz .LBB6427_121
; %bb.120:
	v_mov_b32_e32 v0, 0
	s_waitcnt lgkmcnt(0)
	global_store_dword v0, v2, s[6:7]
                                        ; implicit-def: $vgpr2_vgpr3
.LBB6427_121:
	s_andn2_saveexec_b64 s[0:1], s[0:1]
	s_cbranch_execz .LBB6427_123
; %bb.122:
	v_mov_b32_e32 v0, 0
	s_waitcnt lgkmcnt(0)
	global_store_dword v0, v3, s[6:7]
.LBB6427_123:
	s_endpgm
	.section	.rodata,"a",@progbits
	.p2align	6, 0x0
	.amdhsa_kernel _ZN7rocprim17ROCPRIM_400000_NS6detail17trampoline_kernelINS0_14default_configENS1_20scan_config_selectorI11FixedVectorIiLj1EEEEZZNS1_9scan_implILNS1_25lookback_scan_determinismE0ELb0ELb0ES3_N6thrust23THRUST_200600_302600_NS6detail15normal_iteratorINSB_10device_ptrIS6_EEEESG_S6_NSB_4plusIvEES6_EEDaPvRmT3_T4_T5_mT6_P12ihipStream_tbENKUlT_T0_E_clISt17integral_constantIbLb1EESV_IbLb0EEEEDaSR_SS_EUlSR_E_NS1_11comp_targetILNS1_3genE4ELNS1_11target_archE910ELNS1_3gpuE8ELNS1_3repE0EEENS1_30default_config_static_selectorELNS0_4arch9wavefront6targetE1EEEvT1_
		.amdhsa_group_segment_fixed_size 5120
		.amdhsa_private_segment_fixed_size 0
		.amdhsa_kernarg_size 96
		.amdhsa_user_sgpr_count 6
		.amdhsa_user_sgpr_private_segment_buffer 1
		.amdhsa_user_sgpr_dispatch_ptr 0
		.amdhsa_user_sgpr_queue_ptr 0
		.amdhsa_user_sgpr_kernarg_segment_ptr 1
		.amdhsa_user_sgpr_dispatch_id 0
		.amdhsa_user_sgpr_flat_scratch_init 0
		.amdhsa_user_sgpr_kernarg_preload_length 0
		.amdhsa_user_sgpr_kernarg_preload_offset 0
		.amdhsa_user_sgpr_private_segment_size 0
		.amdhsa_uses_dynamic_stack 0
		.amdhsa_system_sgpr_private_segment_wavefront_offset 0
		.amdhsa_system_sgpr_workgroup_id_x 1
		.amdhsa_system_sgpr_workgroup_id_y 0
		.amdhsa_system_sgpr_workgroup_id_z 0
		.amdhsa_system_sgpr_workgroup_info 0
		.amdhsa_system_vgpr_workitem_id 0
		.amdhsa_next_free_vgpr 40
		.amdhsa_next_free_sgpr 28
		.amdhsa_accum_offset 40
		.amdhsa_reserve_vcc 1
		.amdhsa_reserve_flat_scratch 0
		.amdhsa_float_round_mode_32 0
		.amdhsa_float_round_mode_16_64 0
		.amdhsa_float_denorm_mode_32 3
		.amdhsa_float_denorm_mode_16_64 3
		.amdhsa_dx10_clamp 1
		.amdhsa_ieee_mode 1
		.amdhsa_fp16_overflow 0
		.amdhsa_tg_split 0
		.amdhsa_exception_fp_ieee_invalid_op 0
		.amdhsa_exception_fp_denorm_src 0
		.amdhsa_exception_fp_ieee_div_zero 0
		.amdhsa_exception_fp_ieee_overflow 0
		.amdhsa_exception_fp_ieee_underflow 0
		.amdhsa_exception_fp_ieee_inexact 0
		.amdhsa_exception_int_div_zero 0
	.end_amdhsa_kernel
	.section	.text._ZN7rocprim17ROCPRIM_400000_NS6detail17trampoline_kernelINS0_14default_configENS1_20scan_config_selectorI11FixedVectorIiLj1EEEEZZNS1_9scan_implILNS1_25lookback_scan_determinismE0ELb0ELb0ES3_N6thrust23THRUST_200600_302600_NS6detail15normal_iteratorINSB_10device_ptrIS6_EEEESG_S6_NSB_4plusIvEES6_EEDaPvRmT3_T4_T5_mT6_P12ihipStream_tbENKUlT_T0_E_clISt17integral_constantIbLb1EESV_IbLb0EEEEDaSR_SS_EUlSR_E_NS1_11comp_targetILNS1_3genE4ELNS1_11target_archE910ELNS1_3gpuE8ELNS1_3repE0EEENS1_30default_config_static_selectorELNS0_4arch9wavefront6targetE1EEEvT1_,"axG",@progbits,_ZN7rocprim17ROCPRIM_400000_NS6detail17trampoline_kernelINS0_14default_configENS1_20scan_config_selectorI11FixedVectorIiLj1EEEEZZNS1_9scan_implILNS1_25lookback_scan_determinismE0ELb0ELb0ES3_N6thrust23THRUST_200600_302600_NS6detail15normal_iteratorINSB_10device_ptrIS6_EEEESG_S6_NSB_4plusIvEES6_EEDaPvRmT3_T4_T5_mT6_P12ihipStream_tbENKUlT_T0_E_clISt17integral_constantIbLb1EESV_IbLb0EEEEDaSR_SS_EUlSR_E_NS1_11comp_targetILNS1_3genE4ELNS1_11target_archE910ELNS1_3gpuE8ELNS1_3repE0EEENS1_30default_config_static_selectorELNS0_4arch9wavefront6targetE1EEEvT1_,comdat
.Lfunc_end6427:
	.size	_ZN7rocprim17ROCPRIM_400000_NS6detail17trampoline_kernelINS0_14default_configENS1_20scan_config_selectorI11FixedVectorIiLj1EEEEZZNS1_9scan_implILNS1_25lookback_scan_determinismE0ELb0ELb0ES3_N6thrust23THRUST_200600_302600_NS6detail15normal_iteratorINSB_10device_ptrIS6_EEEESG_S6_NSB_4plusIvEES6_EEDaPvRmT3_T4_T5_mT6_P12ihipStream_tbENKUlT_T0_E_clISt17integral_constantIbLb1EESV_IbLb0EEEEDaSR_SS_EUlSR_E_NS1_11comp_targetILNS1_3genE4ELNS1_11target_archE910ELNS1_3gpuE8ELNS1_3repE0EEENS1_30default_config_static_selectorELNS0_4arch9wavefront6targetE1EEEvT1_, .Lfunc_end6427-_ZN7rocprim17ROCPRIM_400000_NS6detail17trampoline_kernelINS0_14default_configENS1_20scan_config_selectorI11FixedVectorIiLj1EEEEZZNS1_9scan_implILNS1_25lookback_scan_determinismE0ELb0ELb0ES3_N6thrust23THRUST_200600_302600_NS6detail15normal_iteratorINSB_10device_ptrIS6_EEEESG_S6_NSB_4plusIvEES6_EEDaPvRmT3_T4_T5_mT6_P12ihipStream_tbENKUlT_T0_E_clISt17integral_constantIbLb1EESV_IbLb0EEEEDaSR_SS_EUlSR_E_NS1_11comp_targetILNS1_3genE4ELNS1_11target_archE910ELNS1_3gpuE8ELNS1_3repE0EEENS1_30default_config_static_selectorELNS0_4arch9wavefront6targetE1EEEvT1_
                                        ; -- End function
	.section	.AMDGPU.csdata,"",@progbits
; Kernel info:
; codeLenInByte = 4540
; NumSgprs: 32
; NumVgprs: 40
; NumAgprs: 0
; TotalNumVgprs: 40
; ScratchSize: 0
; MemoryBound: 0
; FloatMode: 240
; IeeeMode: 1
; LDSByteSize: 5120 bytes/workgroup (compile time only)
; SGPRBlocks: 3
; VGPRBlocks: 4
; NumSGPRsForWavesPerEU: 32
; NumVGPRsForWavesPerEU: 40
; AccumOffset: 40
; Occupancy: 6
; WaveLimiterHint : 1
; COMPUTE_PGM_RSRC2:SCRATCH_EN: 0
; COMPUTE_PGM_RSRC2:USER_SGPR: 6
; COMPUTE_PGM_RSRC2:TRAP_HANDLER: 0
; COMPUTE_PGM_RSRC2:TGID_X_EN: 1
; COMPUTE_PGM_RSRC2:TGID_Y_EN: 0
; COMPUTE_PGM_RSRC2:TGID_Z_EN: 0
; COMPUTE_PGM_RSRC2:TIDIG_COMP_CNT: 0
; COMPUTE_PGM_RSRC3_GFX90A:ACCUM_OFFSET: 9
; COMPUTE_PGM_RSRC3_GFX90A:TG_SPLIT: 0
	.section	.text._ZN7rocprim17ROCPRIM_400000_NS6detail17trampoline_kernelINS0_14default_configENS1_20scan_config_selectorI11FixedVectorIiLj1EEEEZZNS1_9scan_implILNS1_25lookback_scan_determinismE0ELb0ELb0ES3_N6thrust23THRUST_200600_302600_NS6detail15normal_iteratorINSB_10device_ptrIS6_EEEESG_S6_NSB_4plusIvEES6_EEDaPvRmT3_T4_T5_mT6_P12ihipStream_tbENKUlT_T0_E_clISt17integral_constantIbLb1EESV_IbLb0EEEEDaSR_SS_EUlSR_E_NS1_11comp_targetILNS1_3genE3ELNS1_11target_archE908ELNS1_3gpuE7ELNS1_3repE0EEENS1_30default_config_static_selectorELNS0_4arch9wavefront6targetE1EEEvT1_,"axG",@progbits,_ZN7rocprim17ROCPRIM_400000_NS6detail17trampoline_kernelINS0_14default_configENS1_20scan_config_selectorI11FixedVectorIiLj1EEEEZZNS1_9scan_implILNS1_25lookback_scan_determinismE0ELb0ELb0ES3_N6thrust23THRUST_200600_302600_NS6detail15normal_iteratorINSB_10device_ptrIS6_EEEESG_S6_NSB_4plusIvEES6_EEDaPvRmT3_T4_T5_mT6_P12ihipStream_tbENKUlT_T0_E_clISt17integral_constantIbLb1EESV_IbLb0EEEEDaSR_SS_EUlSR_E_NS1_11comp_targetILNS1_3genE3ELNS1_11target_archE908ELNS1_3gpuE7ELNS1_3repE0EEENS1_30default_config_static_selectorELNS0_4arch9wavefront6targetE1EEEvT1_,comdat
	.protected	_ZN7rocprim17ROCPRIM_400000_NS6detail17trampoline_kernelINS0_14default_configENS1_20scan_config_selectorI11FixedVectorIiLj1EEEEZZNS1_9scan_implILNS1_25lookback_scan_determinismE0ELb0ELb0ES3_N6thrust23THRUST_200600_302600_NS6detail15normal_iteratorINSB_10device_ptrIS6_EEEESG_S6_NSB_4plusIvEES6_EEDaPvRmT3_T4_T5_mT6_P12ihipStream_tbENKUlT_T0_E_clISt17integral_constantIbLb1EESV_IbLb0EEEEDaSR_SS_EUlSR_E_NS1_11comp_targetILNS1_3genE3ELNS1_11target_archE908ELNS1_3gpuE7ELNS1_3repE0EEENS1_30default_config_static_selectorELNS0_4arch9wavefront6targetE1EEEvT1_ ; -- Begin function _ZN7rocprim17ROCPRIM_400000_NS6detail17trampoline_kernelINS0_14default_configENS1_20scan_config_selectorI11FixedVectorIiLj1EEEEZZNS1_9scan_implILNS1_25lookback_scan_determinismE0ELb0ELb0ES3_N6thrust23THRUST_200600_302600_NS6detail15normal_iteratorINSB_10device_ptrIS6_EEEESG_S6_NSB_4plusIvEES6_EEDaPvRmT3_T4_T5_mT6_P12ihipStream_tbENKUlT_T0_E_clISt17integral_constantIbLb1EESV_IbLb0EEEEDaSR_SS_EUlSR_E_NS1_11comp_targetILNS1_3genE3ELNS1_11target_archE908ELNS1_3gpuE7ELNS1_3repE0EEENS1_30default_config_static_selectorELNS0_4arch9wavefront6targetE1EEEvT1_
	.globl	_ZN7rocprim17ROCPRIM_400000_NS6detail17trampoline_kernelINS0_14default_configENS1_20scan_config_selectorI11FixedVectorIiLj1EEEEZZNS1_9scan_implILNS1_25lookback_scan_determinismE0ELb0ELb0ES3_N6thrust23THRUST_200600_302600_NS6detail15normal_iteratorINSB_10device_ptrIS6_EEEESG_S6_NSB_4plusIvEES6_EEDaPvRmT3_T4_T5_mT6_P12ihipStream_tbENKUlT_T0_E_clISt17integral_constantIbLb1EESV_IbLb0EEEEDaSR_SS_EUlSR_E_NS1_11comp_targetILNS1_3genE3ELNS1_11target_archE908ELNS1_3gpuE7ELNS1_3repE0EEENS1_30default_config_static_selectorELNS0_4arch9wavefront6targetE1EEEvT1_
	.p2align	8
	.type	_ZN7rocprim17ROCPRIM_400000_NS6detail17trampoline_kernelINS0_14default_configENS1_20scan_config_selectorI11FixedVectorIiLj1EEEEZZNS1_9scan_implILNS1_25lookback_scan_determinismE0ELb0ELb0ES3_N6thrust23THRUST_200600_302600_NS6detail15normal_iteratorINSB_10device_ptrIS6_EEEESG_S6_NSB_4plusIvEES6_EEDaPvRmT3_T4_T5_mT6_P12ihipStream_tbENKUlT_T0_E_clISt17integral_constantIbLb1EESV_IbLb0EEEEDaSR_SS_EUlSR_E_NS1_11comp_targetILNS1_3genE3ELNS1_11target_archE908ELNS1_3gpuE7ELNS1_3repE0EEENS1_30default_config_static_selectorELNS0_4arch9wavefront6targetE1EEEvT1_,@function
_ZN7rocprim17ROCPRIM_400000_NS6detail17trampoline_kernelINS0_14default_configENS1_20scan_config_selectorI11FixedVectorIiLj1EEEEZZNS1_9scan_implILNS1_25lookback_scan_determinismE0ELb0ELb0ES3_N6thrust23THRUST_200600_302600_NS6detail15normal_iteratorINSB_10device_ptrIS6_EEEESG_S6_NSB_4plusIvEES6_EEDaPvRmT3_T4_T5_mT6_P12ihipStream_tbENKUlT_T0_E_clISt17integral_constantIbLb1EESV_IbLb0EEEEDaSR_SS_EUlSR_E_NS1_11comp_targetILNS1_3genE3ELNS1_11target_archE908ELNS1_3gpuE7ELNS1_3repE0EEENS1_30default_config_static_selectorELNS0_4arch9wavefront6targetE1EEEvT1_: ; @_ZN7rocprim17ROCPRIM_400000_NS6detail17trampoline_kernelINS0_14default_configENS1_20scan_config_selectorI11FixedVectorIiLj1EEEEZZNS1_9scan_implILNS1_25lookback_scan_determinismE0ELb0ELb0ES3_N6thrust23THRUST_200600_302600_NS6detail15normal_iteratorINSB_10device_ptrIS6_EEEESG_S6_NSB_4plusIvEES6_EEDaPvRmT3_T4_T5_mT6_P12ihipStream_tbENKUlT_T0_E_clISt17integral_constantIbLb1EESV_IbLb0EEEEDaSR_SS_EUlSR_E_NS1_11comp_targetILNS1_3genE3ELNS1_11target_archE908ELNS1_3gpuE7ELNS1_3repE0EEENS1_30default_config_static_selectorELNS0_4arch9wavefront6targetE1EEEvT1_
; %bb.0:
	.section	.rodata,"a",@progbits
	.p2align	6, 0x0
	.amdhsa_kernel _ZN7rocprim17ROCPRIM_400000_NS6detail17trampoline_kernelINS0_14default_configENS1_20scan_config_selectorI11FixedVectorIiLj1EEEEZZNS1_9scan_implILNS1_25lookback_scan_determinismE0ELb0ELb0ES3_N6thrust23THRUST_200600_302600_NS6detail15normal_iteratorINSB_10device_ptrIS6_EEEESG_S6_NSB_4plusIvEES6_EEDaPvRmT3_T4_T5_mT6_P12ihipStream_tbENKUlT_T0_E_clISt17integral_constantIbLb1EESV_IbLb0EEEEDaSR_SS_EUlSR_E_NS1_11comp_targetILNS1_3genE3ELNS1_11target_archE908ELNS1_3gpuE7ELNS1_3repE0EEENS1_30default_config_static_selectorELNS0_4arch9wavefront6targetE1EEEvT1_
		.amdhsa_group_segment_fixed_size 0
		.amdhsa_private_segment_fixed_size 0
		.amdhsa_kernarg_size 96
		.amdhsa_user_sgpr_count 6
		.amdhsa_user_sgpr_private_segment_buffer 1
		.amdhsa_user_sgpr_dispatch_ptr 0
		.amdhsa_user_sgpr_queue_ptr 0
		.amdhsa_user_sgpr_kernarg_segment_ptr 1
		.amdhsa_user_sgpr_dispatch_id 0
		.amdhsa_user_sgpr_flat_scratch_init 0
		.amdhsa_user_sgpr_kernarg_preload_length 0
		.amdhsa_user_sgpr_kernarg_preload_offset 0
		.amdhsa_user_sgpr_private_segment_size 0
		.amdhsa_uses_dynamic_stack 0
		.amdhsa_system_sgpr_private_segment_wavefront_offset 0
		.amdhsa_system_sgpr_workgroup_id_x 1
		.amdhsa_system_sgpr_workgroup_id_y 0
		.amdhsa_system_sgpr_workgroup_id_z 0
		.amdhsa_system_sgpr_workgroup_info 0
		.amdhsa_system_vgpr_workitem_id 0
		.amdhsa_next_free_vgpr 1
		.amdhsa_next_free_sgpr 0
		.amdhsa_accum_offset 4
		.amdhsa_reserve_vcc 0
		.amdhsa_reserve_flat_scratch 0
		.amdhsa_float_round_mode_32 0
		.amdhsa_float_round_mode_16_64 0
		.amdhsa_float_denorm_mode_32 3
		.amdhsa_float_denorm_mode_16_64 3
		.amdhsa_dx10_clamp 1
		.amdhsa_ieee_mode 1
		.amdhsa_fp16_overflow 0
		.amdhsa_tg_split 0
		.amdhsa_exception_fp_ieee_invalid_op 0
		.amdhsa_exception_fp_denorm_src 0
		.amdhsa_exception_fp_ieee_div_zero 0
		.amdhsa_exception_fp_ieee_overflow 0
		.amdhsa_exception_fp_ieee_underflow 0
		.amdhsa_exception_fp_ieee_inexact 0
		.amdhsa_exception_int_div_zero 0
	.end_amdhsa_kernel
	.section	.text._ZN7rocprim17ROCPRIM_400000_NS6detail17trampoline_kernelINS0_14default_configENS1_20scan_config_selectorI11FixedVectorIiLj1EEEEZZNS1_9scan_implILNS1_25lookback_scan_determinismE0ELb0ELb0ES3_N6thrust23THRUST_200600_302600_NS6detail15normal_iteratorINSB_10device_ptrIS6_EEEESG_S6_NSB_4plusIvEES6_EEDaPvRmT3_T4_T5_mT6_P12ihipStream_tbENKUlT_T0_E_clISt17integral_constantIbLb1EESV_IbLb0EEEEDaSR_SS_EUlSR_E_NS1_11comp_targetILNS1_3genE3ELNS1_11target_archE908ELNS1_3gpuE7ELNS1_3repE0EEENS1_30default_config_static_selectorELNS0_4arch9wavefront6targetE1EEEvT1_,"axG",@progbits,_ZN7rocprim17ROCPRIM_400000_NS6detail17trampoline_kernelINS0_14default_configENS1_20scan_config_selectorI11FixedVectorIiLj1EEEEZZNS1_9scan_implILNS1_25lookback_scan_determinismE0ELb0ELb0ES3_N6thrust23THRUST_200600_302600_NS6detail15normal_iteratorINSB_10device_ptrIS6_EEEESG_S6_NSB_4plusIvEES6_EEDaPvRmT3_T4_T5_mT6_P12ihipStream_tbENKUlT_T0_E_clISt17integral_constantIbLb1EESV_IbLb0EEEEDaSR_SS_EUlSR_E_NS1_11comp_targetILNS1_3genE3ELNS1_11target_archE908ELNS1_3gpuE7ELNS1_3repE0EEENS1_30default_config_static_selectorELNS0_4arch9wavefront6targetE1EEEvT1_,comdat
.Lfunc_end6428:
	.size	_ZN7rocprim17ROCPRIM_400000_NS6detail17trampoline_kernelINS0_14default_configENS1_20scan_config_selectorI11FixedVectorIiLj1EEEEZZNS1_9scan_implILNS1_25lookback_scan_determinismE0ELb0ELb0ES3_N6thrust23THRUST_200600_302600_NS6detail15normal_iteratorINSB_10device_ptrIS6_EEEESG_S6_NSB_4plusIvEES6_EEDaPvRmT3_T4_T5_mT6_P12ihipStream_tbENKUlT_T0_E_clISt17integral_constantIbLb1EESV_IbLb0EEEEDaSR_SS_EUlSR_E_NS1_11comp_targetILNS1_3genE3ELNS1_11target_archE908ELNS1_3gpuE7ELNS1_3repE0EEENS1_30default_config_static_selectorELNS0_4arch9wavefront6targetE1EEEvT1_, .Lfunc_end6428-_ZN7rocprim17ROCPRIM_400000_NS6detail17trampoline_kernelINS0_14default_configENS1_20scan_config_selectorI11FixedVectorIiLj1EEEEZZNS1_9scan_implILNS1_25lookback_scan_determinismE0ELb0ELb0ES3_N6thrust23THRUST_200600_302600_NS6detail15normal_iteratorINSB_10device_ptrIS6_EEEESG_S6_NSB_4plusIvEES6_EEDaPvRmT3_T4_T5_mT6_P12ihipStream_tbENKUlT_T0_E_clISt17integral_constantIbLb1EESV_IbLb0EEEEDaSR_SS_EUlSR_E_NS1_11comp_targetILNS1_3genE3ELNS1_11target_archE908ELNS1_3gpuE7ELNS1_3repE0EEENS1_30default_config_static_selectorELNS0_4arch9wavefront6targetE1EEEvT1_
                                        ; -- End function
	.section	.AMDGPU.csdata,"",@progbits
; Kernel info:
; codeLenInByte = 0
; NumSgprs: 4
; NumVgprs: 0
; NumAgprs: 0
; TotalNumVgprs: 0
; ScratchSize: 0
; MemoryBound: 0
; FloatMode: 240
; IeeeMode: 1
; LDSByteSize: 0 bytes/workgroup (compile time only)
; SGPRBlocks: 0
; VGPRBlocks: 0
; NumSGPRsForWavesPerEU: 4
; NumVGPRsForWavesPerEU: 1
; AccumOffset: 4
; Occupancy: 8
; WaveLimiterHint : 0
; COMPUTE_PGM_RSRC2:SCRATCH_EN: 0
; COMPUTE_PGM_RSRC2:USER_SGPR: 6
; COMPUTE_PGM_RSRC2:TRAP_HANDLER: 0
; COMPUTE_PGM_RSRC2:TGID_X_EN: 1
; COMPUTE_PGM_RSRC2:TGID_Y_EN: 0
; COMPUTE_PGM_RSRC2:TGID_Z_EN: 0
; COMPUTE_PGM_RSRC2:TIDIG_COMP_CNT: 0
; COMPUTE_PGM_RSRC3_GFX90A:ACCUM_OFFSET: 0
; COMPUTE_PGM_RSRC3_GFX90A:TG_SPLIT: 0
	.section	.text._ZN7rocprim17ROCPRIM_400000_NS6detail17trampoline_kernelINS0_14default_configENS1_20scan_config_selectorI11FixedVectorIiLj1EEEEZZNS1_9scan_implILNS1_25lookback_scan_determinismE0ELb0ELb0ES3_N6thrust23THRUST_200600_302600_NS6detail15normal_iteratorINSB_10device_ptrIS6_EEEESG_S6_NSB_4plusIvEES6_EEDaPvRmT3_T4_T5_mT6_P12ihipStream_tbENKUlT_T0_E_clISt17integral_constantIbLb1EESV_IbLb0EEEEDaSR_SS_EUlSR_E_NS1_11comp_targetILNS1_3genE2ELNS1_11target_archE906ELNS1_3gpuE6ELNS1_3repE0EEENS1_30default_config_static_selectorELNS0_4arch9wavefront6targetE1EEEvT1_,"axG",@progbits,_ZN7rocprim17ROCPRIM_400000_NS6detail17trampoline_kernelINS0_14default_configENS1_20scan_config_selectorI11FixedVectorIiLj1EEEEZZNS1_9scan_implILNS1_25lookback_scan_determinismE0ELb0ELb0ES3_N6thrust23THRUST_200600_302600_NS6detail15normal_iteratorINSB_10device_ptrIS6_EEEESG_S6_NSB_4plusIvEES6_EEDaPvRmT3_T4_T5_mT6_P12ihipStream_tbENKUlT_T0_E_clISt17integral_constantIbLb1EESV_IbLb0EEEEDaSR_SS_EUlSR_E_NS1_11comp_targetILNS1_3genE2ELNS1_11target_archE906ELNS1_3gpuE6ELNS1_3repE0EEENS1_30default_config_static_selectorELNS0_4arch9wavefront6targetE1EEEvT1_,comdat
	.protected	_ZN7rocprim17ROCPRIM_400000_NS6detail17trampoline_kernelINS0_14default_configENS1_20scan_config_selectorI11FixedVectorIiLj1EEEEZZNS1_9scan_implILNS1_25lookback_scan_determinismE0ELb0ELb0ES3_N6thrust23THRUST_200600_302600_NS6detail15normal_iteratorINSB_10device_ptrIS6_EEEESG_S6_NSB_4plusIvEES6_EEDaPvRmT3_T4_T5_mT6_P12ihipStream_tbENKUlT_T0_E_clISt17integral_constantIbLb1EESV_IbLb0EEEEDaSR_SS_EUlSR_E_NS1_11comp_targetILNS1_3genE2ELNS1_11target_archE906ELNS1_3gpuE6ELNS1_3repE0EEENS1_30default_config_static_selectorELNS0_4arch9wavefront6targetE1EEEvT1_ ; -- Begin function _ZN7rocprim17ROCPRIM_400000_NS6detail17trampoline_kernelINS0_14default_configENS1_20scan_config_selectorI11FixedVectorIiLj1EEEEZZNS1_9scan_implILNS1_25lookback_scan_determinismE0ELb0ELb0ES3_N6thrust23THRUST_200600_302600_NS6detail15normal_iteratorINSB_10device_ptrIS6_EEEESG_S6_NSB_4plusIvEES6_EEDaPvRmT3_T4_T5_mT6_P12ihipStream_tbENKUlT_T0_E_clISt17integral_constantIbLb1EESV_IbLb0EEEEDaSR_SS_EUlSR_E_NS1_11comp_targetILNS1_3genE2ELNS1_11target_archE906ELNS1_3gpuE6ELNS1_3repE0EEENS1_30default_config_static_selectorELNS0_4arch9wavefront6targetE1EEEvT1_
	.globl	_ZN7rocprim17ROCPRIM_400000_NS6detail17trampoline_kernelINS0_14default_configENS1_20scan_config_selectorI11FixedVectorIiLj1EEEEZZNS1_9scan_implILNS1_25lookback_scan_determinismE0ELb0ELb0ES3_N6thrust23THRUST_200600_302600_NS6detail15normal_iteratorINSB_10device_ptrIS6_EEEESG_S6_NSB_4plusIvEES6_EEDaPvRmT3_T4_T5_mT6_P12ihipStream_tbENKUlT_T0_E_clISt17integral_constantIbLb1EESV_IbLb0EEEEDaSR_SS_EUlSR_E_NS1_11comp_targetILNS1_3genE2ELNS1_11target_archE906ELNS1_3gpuE6ELNS1_3repE0EEENS1_30default_config_static_selectorELNS0_4arch9wavefront6targetE1EEEvT1_
	.p2align	8
	.type	_ZN7rocprim17ROCPRIM_400000_NS6detail17trampoline_kernelINS0_14default_configENS1_20scan_config_selectorI11FixedVectorIiLj1EEEEZZNS1_9scan_implILNS1_25lookback_scan_determinismE0ELb0ELb0ES3_N6thrust23THRUST_200600_302600_NS6detail15normal_iteratorINSB_10device_ptrIS6_EEEESG_S6_NSB_4plusIvEES6_EEDaPvRmT3_T4_T5_mT6_P12ihipStream_tbENKUlT_T0_E_clISt17integral_constantIbLb1EESV_IbLb0EEEEDaSR_SS_EUlSR_E_NS1_11comp_targetILNS1_3genE2ELNS1_11target_archE906ELNS1_3gpuE6ELNS1_3repE0EEENS1_30default_config_static_selectorELNS0_4arch9wavefront6targetE1EEEvT1_,@function
_ZN7rocprim17ROCPRIM_400000_NS6detail17trampoline_kernelINS0_14default_configENS1_20scan_config_selectorI11FixedVectorIiLj1EEEEZZNS1_9scan_implILNS1_25lookback_scan_determinismE0ELb0ELb0ES3_N6thrust23THRUST_200600_302600_NS6detail15normal_iteratorINSB_10device_ptrIS6_EEEESG_S6_NSB_4plusIvEES6_EEDaPvRmT3_T4_T5_mT6_P12ihipStream_tbENKUlT_T0_E_clISt17integral_constantIbLb1EESV_IbLb0EEEEDaSR_SS_EUlSR_E_NS1_11comp_targetILNS1_3genE2ELNS1_11target_archE906ELNS1_3gpuE6ELNS1_3repE0EEENS1_30default_config_static_selectorELNS0_4arch9wavefront6targetE1EEEvT1_: ; @_ZN7rocprim17ROCPRIM_400000_NS6detail17trampoline_kernelINS0_14default_configENS1_20scan_config_selectorI11FixedVectorIiLj1EEEEZZNS1_9scan_implILNS1_25lookback_scan_determinismE0ELb0ELb0ES3_N6thrust23THRUST_200600_302600_NS6detail15normal_iteratorINSB_10device_ptrIS6_EEEESG_S6_NSB_4plusIvEES6_EEDaPvRmT3_T4_T5_mT6_P12ihipStream_tbENKUlT_T0_E_clISt17integral_constantIbLb1EESV_IbLb0EEEEDaSR_SS_EUlSR_E_NS1_11comp_targetILNS1_3genE2ELNS1_11target_archE906ELNS1_3gpuE6ELNS1_3repE0EEENS1_30default_config_static_selectorELNS0_4arch9wavefront6targetE1EEEvT1_
; %bb.0:
	.section	.rodata,"a",@progbits
	.p2align	6, 0x0
	.amdhsa_kernel _ZN7rocprim17ROCPRIM_400000_NS6detail17trampoline_kernelINS0_14default_configENS1_20scan_config_selectorI11FixedVectorIiLj1EEEEZZNS1_9scan_implILNS1_25lookback_scan_determinismE0ELb0ELb0ES3_N6thrust23THRUST_200600_302600_NS6detail15normal_iteratorINSB_10device_ptrIS6_EEEESG_S6_NSB_4plusIvEES6_EEDaPvRmT3_T4_T5_mT6_P12ihipStream_tbENKUlT_T0_E_clISt17integral_constantIbLb1EESV_IbLb0EEEEDaSR_SS_EUlSR_E_NS1_11comp_targetILNS1_3genE2ELNS1_11target_archE906ELNS1_3gpuE6ELNS1_3repE0EEENS1_30default_config_static_selectorELNS0_4arch9wavefront6targetE1EEEvT1_
		.amdhsa_group_segment_fixed_size 0
		.amdhsa_private_segment_fixed_size 0
		.amdhsa_kernarg_size 96
		.amdhsa_user_sgpr_count 6
		.amdhsa_user_sgpr_private_segment_buffer 1
		.amdhsa_user_sgpr_dispatch_ptr 0
		.amdhsa_user_sgpr_queue_ptr 0
		.amdhsa_user_sgpr_kernarg_segment_ptr 1
		.amdhsa_user_sgpr_dispatch_id 0
		.amdhsa_user_sgpr_flat_scratch_init 0
		.amdhsa_user_sgpr_kernarg_preload_length 0
		.amdhsa_user_sgpr_kernarg_preload_offset 0
		.amdhsa_user_sgpr_private_segment_size 0
		.amdhsa_uses_dynamic_stack 0
		.amdhsa_system_sgpr_private_segment_wavefront_offset 0
		.amdhsa_system_sgpr_workgroup_id_x 1
		.amdhsa_system_sgpr_workgroup_id_y 0
		.amdhsa_system_sgpr_workgroup_id_z 0
		.amdhsa_system_sgpr_workgroup_info 0
		.amdhsa_system_vgpr_workitem_id 0
		.amdhsa_next_free_vgpr 1
		.amdhsa_next_free_sgpr 0
		.amdhsa_accum_offset 4
		.amdhsa_reserve_vcc 0
		.amdhsa_reserve_flat_scratch 0
		.amdhsa_float_round_mode_32 0
		.amdhsa_float_round_mode_16_64 0
		.amdhsa_float_denorm_mode_32 3
		.amdhsa_float_denorm_mode_16_64 3
		.amdhsa_dx10_clamp 1
		.amdhsa_ieee_mode 1
		.amdhsa_fp16_overflow 0
		.amdhsa_tg_split 0
		.amdhsa_exception_fp_ieee_invalid_op 0
		.amdhsa_exception_fp_denorm_src 0
		.amdhsa_exception_fp_ieee_div_zero 0
		.amdhsa_exception_fp_ieee_overflow 0
		.amdhsa_exception_fp_ieee_underflow 0
		.amdhsa_exception_fp_ieee_inexact 0
		.amdhsa_exception_int_div_zero 0
	.end_amdhsa_kernel
	.section	.text._ZN7rocprim17ROCPRIM_400000_NS6detail17trampoline_kernelINS0_14default_configENS1_20scan_config_selectorI11FixedVectorIiLj1EEEEZZNS1_9scan_implILNS1_25lookback_scan_determinismE0ELb0ELb0ES3_N6thrust23THRUST_200600_302600_NS6detail15normal_iteratorINSB_10device_ptrIS6_EEEESG_S6_NSB_4plusIvEES6_EEDaPvRmT3_T4_T5_mT6_P12ihipStream_tbENKUlT_T0_E_clISt17integral_constantIbLb1EESV_IbLb0EEEEDaSR_SS_EUlSR_E_NS1_11comp_targetILNS1_3genE2ELNS1_11target_archE906ELNS1_3gpuE6ELNS1_3repE0EEENS1_30default_config_static_selectorELNS0_4arch9wavefront6targetE1EEEvT1_,"axG",@progbits,_ZN7rocprim17ROCPRIM_400000_NS6detail17trampoline_kernelINS0_14default_configENS1_20scan_config_selectorI11FixedVectorIiLj1EEEEZZNS1_9scan_implILNS1_25lookback_scan_determinismE0ELb0ELb0ES3_N6thrust23THRUST_200600_302600_NS6detail15normal_iteratorINSB_10device_ptrIS6_EEEESG_S6_NSB_4plusIvEES6_EEDaPvRmT3_T4_T5_mT6_P12ihipStream_tbENKUlT_T0_E_clISt17integral_constantIbLb1EESV_IbLb0EEEEDaSR_SS_EUlSR_E_NS1_11comp_targetILNS1_3genE2ELNS1_11target_archE906ELNS1_3gpuE6ELNS1_3repE0EEENS1_30default_config_static_selectorELNS0_4arch9wavefront6targetE1EEEvT1_,comdat
.Lfunc_end6429:
	.size	_ZN7rocprim17ROCPRIM_400000_NS6detail17trampoline_kernelINS0_14default_configENS1_20scan_config_selectorI11FixedVectorIiLj1EEEEZZNS1_9scan_implILNS1_25lookback_scan_determinismE0ELb0ELb0ES3_N6thrust23THRUST_200600_302600_NS6detail15normal_iteratorINSB_10device_ptrIS6_EEEESG_S6_NSB_4plusIvEES6_EEDaPvRmT3_T4_T5_mT6_P12ihipStream_tbENKUlT_T0_E_clISt17integral_constantIbLb1EESV_IbLb0EEEEDaSR_SS_EUlSR_E_NS1_11comp_targetILNS1_3genE2ELNS1_11target_archE906ELNS1_3gpuE6ELNS1_3repE0EEENS1_30default_config_static_selectorELNS0_4arch9wavefront6targetE1EEEvT1_, .Lfunc_end6429-_ZN7rocprim17ROCPRIM_400000_NS6detail17trampoline_kernelINS0_14default_configENS1_20scan_config_selectorI11FixedVectorIiLj1EEEEZZNS1_9scan_implILNS1_25lookback_scan_determinismE0ELb0ELb0ES3_N6thrust23THRUST_200600_302600_NS6detail15normal_iteratorINSB_10device_ptrIS6_EEEESG_S6_NSB_4plusIvEES6_EEDaPvRmT3_T4_T5_mT6_P12ihipStream_tbENKUlT_T0_E_clISt17integral_constantIbLb1EESV_IbLb0EEEEDaSR_SS_EUlSR_E_NS1_11comp_targetILNS1_3genE2ELNS1_11target_archE906ELNS1_3gpuE6ELNS1_3repE0EEENS1_30default_config_static_selectorELNS0_4arch9wavefront6targetE1EEEvT1_
                                        ; -- End function
	.section	.AMDGPU.csdata,"",@progbits
; Kernel info:
; codeLenInByte = 0
; NumSgprs: 4
; NumVgprs: 0
; NumAgprs: 0
; TotalNumVgprs: 0
; ScratchSize: 0
; MemoryBound: 0
; FloatMode: 240
; IeeeMode: 1
; LDSByteSize: 0 bytes/workgroup (compile time only)
; SGPRBlocks: 0
; VGPRBlocks: 0
; NumSGPRsForWavesPerEU: 4
; NumVGPRsForWavesPerEU: 1
; AccumOffset: 4
; Occupancy: 8
; WaveLimiterHint : 0
; COMPUTE_PGM_RSRC2:SCRATCH_EN: 0
; COMPUTE_PGM_RSRC2:USER_SGPR: 6
; COMPUTE_PGM_RSRC2:TRAP_HANDLER: 0
; COMPUTE_PGM_RSRC2:TGID_X_EN: 1
; COMPUTE_PGM_RSRC2:TGID_Y_EN: 0
; COMPUTE_PGM_RSRC2:TGID_Z_EN: 0
; COMPUTE_PGM_RSRC2:TIDIG_COMP_CNT: 0
; COMPUTE_PGM_RSRC3_GFX90A:ACCUM_OFFSET: 0
; COMPUTE_PGM_RSRC3_GFX90A:TG_SPLIT: 0
	.section	.text._ZN7rocprim17ROCPRIM_400000_NS6detail17trampoline_kernelINS0_14default_configENS1_20scan_config_selectorI11FixedVectorIiLj1EEEEZZNS1_9scan_implILNS1_25lookback_scan_determinismE0ELb0ELb0ES3_N6thrust23THRUST_200600_302600_NS6detail15normal_iteratorINSB_10device_ptrIS6_EEEESG_S6_NSB_4plusIvEES6_EEDaPvRmT3_T4_T5_mT6_P12ihipStream_tbENKUlT_T0_E_clISt17integral_constantIbLb1EESV_IbLb0EEEEDaSR_SS_EUlSR_E_NS1_11comp_targetILNS1_3genE10ELNS1_11target_archE1201ELNS1_3gpuE5ELNS1_3repE0EEENS1_30default_config_static_selectorELNS0_4arch9wavefront6targetE1EEEvT1_,"axG",@progbits,_ZN7rocprim17ROCPRIM_400000_NS6detail17trampoline_kernelINS0_14default_configENS1_20scan_config_selectorI11FixedVectorIiLj1EEEEZZNS1_9scan_implILNS1_25lookback_scan_determinismE0ELb0ELb0ES3_N6thrust23THRUST_200600_302600_NS6detail15normal_iteratorINSB_10device_ptrIS6_EEEESG_S6_NSB_4plusIvEES6_EEDaPvRmT3_T4_T5_mT6_P12ihipStream_tbENKUlT_T0_E_clISt17integral_constantIbLb1EESV_IbLb0EEEEDaSR_SS_EUlSR_E_NS1_11comp_targetILNS1_3genE10ELNS1_11target_archE1201ELNS1_3gpuE5ELNS1_3repE0EEENS1_30default_config_static_selectorELNS0_4arch9wavefront6targetE1EEEvT1_,comdat
	.protected	_ZN7rocprim17ROCPRIM_400000_NS6detail17trampoline_kernelINS0_14default_configENS1_20scan_config_selectorI11FixedVectorIiLj1EEEEZZNS1_9scan_implILNS1_25lookback_scan_determinismE0ELb0ELb0ES3_N6thrust23THRUST_200600_302600_NS6detail15normal_iteratorINSB_10device_ptrIS6_EEEESG_S6_NSB_4plusIvEES6_EEDaPvRmT3_T4_T5_mT6_P12ihipStream_tbENKUlT_T0_E_clISt17integral_constantIbLb1EESV_IbLb0EEEEDaSR_SS_EUlSR_E_NS1_11comp_targetILNS1_3genE10ELNS1_11target_archE1201ELNS1_3gpuE5ELNS1_3repE0EEENS1_30default_config_static_selectorELNS0_4arch9wavefront6targetE1EEEvT1_ ; -- Begin function _ZN7rocprim17ROCPRIM_400000_NS6detail17trampoline_kernelINS0_14default_configENS1_20scan_config_selectorI11FixedVectorIiLj1EEEEZZNS1_9scan_implILNS1_25lookback_scan_determinismE0ELb0ELb0ES3_N6thrust23THRUST_200600_302600_NS6detail15normal_iteratorINSB_10device_ptrIS6_EEEESG_S6_NSB_4plusIvEES6_EEDaPvRmT3_T4_T5_mT6_P12ihipStream_tbENKUlT_T0_E_clISt17integral_constantIbLb1EESV_IbLb0EEEEDaSR_SS_EUlSR_E_NS1_11comp_targetILNS1_3genE10ELNS1_11target_archE1201ELNS1_3gpuE5ELNS1_3repE0EEENS1_30default_config_static_selectorELNS0_4arch9wavefront6targetE1EEEvT1_
	.globl	_ZN7rocprim17ROCPRIM_400000_NS6detail17trampoline_kernelINS0_14default_configENS1_20scan_config_selectorI11FixedVectorIiLj1EEEEZZNS1_9scan_implILNS1_25lookback_scan_determinismE0ELb0ELb0ES3_N6thrust23THRUST_200600_302600_NS6detail15normal_iteratorINSB_10device_ptrIS6_EEEESG_S6_NSB_4plusIvEES6_EEDaPvRmT3_T4_T5_mT6_P12ihipStream_tbENKUlT_T0_E_clISt17integral_constantIbLb1EESV_IbLb0EEEEDaSR_SS_EUlSR_E_NS1_11comp_targetILNS1_3genE10ELNS1_11target_archE1201ELNS1_3gpuE5ELNS1_3repE0EEENS1_30default_config_static_selectorELNS0_4arch9wavefront6targetE1EEEvT1_
	.p2align	8
	.type	_ZN7rocprim17ROCPRIM_400000_NS6detail17trampoline_kernelINS0_14default_configENS1_20scan_config_selectorI11FixedVectorIiLj1EEEEZZNS1_9scan_implILNS1_25lookback_scan_determinismE0ELb0ELb0ES3_N6thrust23THRUST_200600_302600_NS6detail15normal_iteratorINSB_10device_ptrIS6_EEEESG_S6_NSB_4plusIvEES6_EEDaPvRmT3_T4_T5_mT6_P12ihipStream_tbENKUlT_T0_E_clISt17integral_constantIbLb1EESV_IbLb0EEEEDaSR_SS_EUlSR_E_NS1_11comp_targetILNS1_3genE10ELNS1_11target_archE1201ELNS1_3gpuE5ELNS1_3repE0EEENS1_30default_config_static_selectorELNS0_4arch9wavefront6targetE1EEEvT1_,@function
_ZN7rocprim17ROCPRIM_400000_NS6detail17trampoline_kernelINS0_14default_configENS1_20scan_config_selectorI11FixedVectorIiLj1EEEEZZNS1_9scan_implILNS1_25lookback_scan_determinismE0ELb0ELb0ES3_N6thrust23THRUST_200600_302600_NS6detail15normal_iteratorINSB_10device_ptrIS6_EEEESG_S6_NSB_4plusIvEES6_EEDaPvRmT3_T4_T5_mT6_P12ihipStream_tbENKUlT_T0_E_clISt17integral_constantIbLb1EESV_IbLb0EEEEDaSR_SS_EUlSR_E_NS1_11comp_targetILNS1_3genE10ELNS1_11target_archE1201ELNS1_3gpuE5ELNS1_3repE0EEENS1_30default_config_static_selectorELNS0_4arch9wavefront6targetE1EEEvT1_: ; @_ZN7rocprim17ROCPRIM_400000_NS6detail17trampoline_kernelINS0_14default_configENS1_20scan_config_selectorI11FixedVectorIiLj1EEEEZZNS1_9scan_implILNS1_25lookback_scan_determinismE0ELb0ELb0ES3_N6thrust23THRUST_200600_302600_NS6detail15normal_iteratorINSB_10device_ptrIS6_EEEESG_S6_NSB_4plusIvEES6_EEDaPvRmT3_T4_T5_mT6_P12ihipStream_tbENKUlT_T0_E_clISt17integral_constantIbLb1EESV_IbLb0EEEEDaSR_SS_EUlSR_E_NS1_11comp_targetILNS1_3genE10ELNS1_11target_archE1201ELNS1_3gpuE5ELNS1_3repE0EEENS1_30default_config_static_selectorELNS0_4arch9wavefront6targetE1EEEvT1_
; %bb.0:
	.section	.rodata,"a",@progbits
	.p2align	6, 0x0
	.amdhsa_kernel _ZN7rocprim17ROCPRIM_400000_NS6detail17trampoline_kernelINS0_14default_configENS1_20scan_config_selectorI11FixedVectorIiLj1EEEEZZNS1_9scan_implILNS1_25lookback_scan_determinismE0ELb0ELb0ES3_N6thrust23THRUST_200600_302600_NS6detail15normal_iteratorINSB_10device_ptrIS6_EEEESG_S6_NSB_4plusIvEES6_EEDaPvRmT3_T4_T5_mT6_P12ihipStream_tbENKUlT_T0_E_clISt17integral_constantIbLb1EESV_IbLb0EEEEDaSR_SS_EUlSR_E_NS1_11comp_targetILNS1_3genE10ELNS1_11target_archE1201ELNS1_3gpuE5ELNS1_3repE0EEENS1_30default_config_static_selectorELNS0_4arch9wavefront6targetE1EEEvT1_
		.amdhsa_group_segment_fixed_size 0
		.amdhsa_private_segment_fixed_size 0
		.amdhsa_kernarg_size 96
		.amdhsa_user_sgpr_count 6
		.amdhsa_user_sgpr_private_segment_buffer 1
		.amdhsa_user_sgpr_dispatch_ptr 0
		.amdhsa_user_sgpr_queue_ptr 0
		.amdhsa_user_sgpr_kernarg_segment_ptr 1
		.amdhsa_user_sgpr_dispatch_id 0
		.amdhsa_user_sgpr_flat_scratch_init 0
		.amdhsa_user_sgpr_kernarg_preload_length 0
		.amdhsa_user_sgpr_kernarg_preload_offset 0
		.amdhsa_user_sgpr_private_segment_size 0
		.amdhsa_uses_dynamic_stack 0
		.amdhsa_system_sgpr_private_segment_wavefront_offset 0
		.amdhsa_system_sgpr_workgroup_id_x 1
		.amdhsa_system_sgpr_workgroup_id_y 0
		.amdhsa_system_sgpr_workgroup_id_z 0
		.amdhsa_system_sgpr_workgroup_info 0
		.amdhsa_system_vgpr_workitem_id 0
		.amdhsa_next_free_vgpr 1
		.amdhsa_next_free_sgpr 0
		.amdhsa_accum_offset 4
		.amdhsa_reserve_vcc 0
		.amdhsa_reserve_flat_scratch 0
		.amdhsa_float_round_mode_32 0
		.amdhsa_float_round_mode_16_64 0
		.amdhsa_float_denorm_mode_32 3
		.amdhsa_float_denorm_mode_16_64 3
		.amdhsa_dx10_clamp 1
		.amdhsa_ieee_mode 1
		.amdhsa_fp16_overflow 0
		.amdhsa_tg_split 0
		.amdhsa_exception_fp_ieee_invalid_op 0
		.amdhsa_exception_fp_denorm_src 0
		.amdhsa_exception_fp_ieee_div_zero 0
		.amdhsa_exception_fp_ieee_overflow 0
		.amdhsa_exception_fp_ieee_underflow 0
		.amdhsa_exception_fp_ieee_inexact 0
		.amdhsa_exception_int_div_zero 0
	.end_amdhsa_kernel
	.section	.text._ZN7rocprim17ROCPRIM_400000_NS6detail17trampoline_kernelINS0_14default_configENS1_20scan_config_selectorI11FixedVectorIiLj1EEEEZZNS1_9scan_implILNS1_25lookback_scan_determinismE0ELb0ELb0ES3_N6thrust23THRUST_200600_302600_NS6detail15normal_iteratorINSB_10device_ptrIS6_EEEESG_S6_NSB_4plusIvEES6_EEDaPvRmT3_T4_T5_mT6_P12ihipStream_tbENKUlT_T0_E_clISt17integral_constantIbLb1EESV_IbLb0EEEEDaSR_SS_EUlSR_E_NS1_11comp_targetILNS1_3genE10ELNS1_11target_archE1201ELNS1_3gpuE5ELNS1_3repE0EEENS1_30default_config_static_selectorELNS0_4arch9wavefront6targetE1EEEvT1_,"axG",@progbits,_ZN7rocprim17ROCPRIM_400000_NS6detail17trampoline_kernelINS0_14default_configENS1_20scan_config_selectorI11FixedVectorIiLj1EEEEZZNS1_9scan_implILNS1_25lookback_scan_determinismE0ELb0ELb0ES3_N6thrust23THRUST_200600_302600_NS6detail15normal_iteratorINSB_10device_ptrIS6_EEEESG_S6_NSB_4plusIvEES6_EEDaPvRmT3_T4_T5_mT6_P12ihipStream_tbENKUlT_T0_E_clISt17integral_constantIbLb1EESV_IbLb0EEEEDaSR_SS_EUlSR_E_NS1_11comp_targetILNS1_3genE10ELNS1_11target_archE1201ELNS1_3gpuE5ELNS1_3repE0EEENS1_30default_config_static_selectorELNS0_4arch9wavefront6targetE1EEEvT1_,comdat
.Lfunc_end6430:
	.size	_ZN7rocprim17ROCPRIM_400000_NS6detail17trampoline_kernelINS0_14default_configENS1_20scan_config_selectorI11FixedVectorIiLj1EEEEZZNS1_9scan_implILNS1_25lookback_scan_determinismE0ELb0ELb0ES3_N6thrust23THRUST_200600_302600_NS6detail15normal_iteratorINSB_10device_ptrIS6_EEEESG_S6_NSB_4plusIvEES6_EEDaPvRmT3_T4_T5_mT6_P12ihipStream_tbENKUlT_T0_E_clISt17integral_constantIbLb1EESV_IbLb0EEEEDaSR_SS_EUlSR_E_NS1_11comp_targetILNS1_3genE10ELNS1_11target_archE1201ELNS1_3gpuE5ELNS1_3repE0EEENS1_30default_config_static_selectorELNS0_4arch9wavefront6targetE1EEEvT1_, .Lfunc_end6430-_ZN7rocprim17ROCPRIM_400000_NS6detail17trampoline_kernelINS0_14default_configENS1_20scan_config_selectorI11FixedVectorIiLj1EEEEZZNS1_9scan_implILNS1_25lookback_scan_determinismE0ELb0ELb0ES3_N6thrust23THRUST_200600_302600_NS6detail15normal_iteratorINSB_10device_ptrIS6_EEEESG_S6_NSB_4plusIvEES6_EEDaPvRmT3_T4_T5_mT6_P12ihipStream_tbENKUlT_T0_E_clISt17integral_constantIbLb1EESV_IbLb0EEEEDaSR_SS_EUlSR_E_NS1_11comp_targetILNS1_3genE10ELNS1_11target_archE1201ELNS1_3gpuE5ELNS1_3repE0EEENS1_30default_config_static_selectorELNS0_4arch9wavefront6targetE1EEEvT1_
                                        ; -- End function
	.section	.AMDGPU.csdata,"",@progbits
; Kernel info:
; codeLenInByte = 0
; NumSgprs: 4
; NumVgprs: 0
; NumAgprs: 0
; TotalNumVgprs: 0
; ScratchSize: 0
; MemoryBound: 0
; FloatMode: 240
; IeeeMode: 1
; LDSByteSize: 0 bytes/workgroup (compile time only)
; SGPRBlocks: 0
; VGPRBlocks: 0
; NumSGPRsForWavesPerEU: 4
; NumVGPRsForWavesPerEU: 1
; AccumOffset: 4
; Occupancy: 8
; WaveLimiterHint : 0
; COMPUTE_PGM_RSRC2:SCRATCH_EN: 0
; COMPUTE_PGM_RSRC2:USER_SGPR: 6
; COMPUTE_PGM_RSRC2:TRAP_HANDLER: 0
; COMPUTE_PGM_RSRC2:TGID_X_EN: 1
; COMPUTE_PGM_RSRC2:TGID_Y_EN: 0
; COMPUTE_PGM_RSRC2:TGID_Z_EN: 0
; COMPUTE_PGM_RSRC2:TIDIG_COMP_CNT: 0
; COMPUTE_PGM_RSRC3_GFX90A:ACCUM_OFFSET: 0
; COMPUTE_PGM_RSRC3_GFX90A:TG_SPLIT: 0
	.section	.text._ZN7rocprim17ROCPRIM_400000_NS6detail17trampoline_kernelINS0_14default_configENS1_20scan_config_selectorI11FixedVectorIiLj1EEEEZZNS1_9scan_implILNS1_25lookback_scan_determinismE0ELb0ELb0ES3_N6thrust23THRUST_200600_302600_NS6detail15normal_iteratorINSB_10device_ptrIS6_EEEESG_S6_NSB_4plusIvEES6_EEDaPvRmT3_T4_T5_mT6_P12ihipStream_tbENKUlT_T0_E_clISt17integral_constantIbLb1EESV_IbLb0EEEEDaSR_SS_EUlSR_E_NS1_11comp_targetILNS1_3genE10ELNS1_11target_archE1200ELNS1_3gpuE4ELNS1_3repE0EEENS1_30default_config_static_selectorELNS0_4arch9wavefront6targetE1EEEvT1_,"axG",@progbits,_ZN7rocprim17ROCPRIM_400000_NS6detail17trampoline_kernelINS0_14default_configENS1_20scan_config_selectorI11FixedVectorIiLj1EEEEZZNS1_9scan_implILNS1_25lookback_scan_determinismE0ELb0ELb0ES3_N6thrust23THRUST_200600_302600_NS6detail15normal_iteratorINSB_10device_ptrIS6_EEEESG_S6_NSB_4plusIvEES6_EEDaPvRmT3_T4_T5_mT6_P12ihipStream_tbENKUlT_T0_E_clISt17integral_constantIbLb1EESV_IbLb0EEEEDaSR_SS_EUlSR_E_NS1_11comp_targetILNS1_3genE10ELNS1_11target_archE1200ELNS1_3gpuE4ELNS1_3repE0EEENS1_30default_config_static_selectorELNS0_4arch9wavefront6targetE1EEEvT1_,comdat
	.protected	_ZN7rocprim17ROCPRIM_400000_NS6detail17trampoline_kernelINS0_14default_configENS1_20scan_config_selectorI11FixedVectorIiLj1EEEEZZNS1_9scan_implILNS1_25lookback_scan_determinismE0ELb0ELb0ES3_N6thrust23THRUST_200600_302600_NS6detail15normal_iteratorINSB_10device_ptrIS6_EEEESG_S6_NSB_4plusIvEES6_EEDaPvRmT3_T4_T5_mT6_P12ihipStream_tbENKUlT_T0_E_clISt17integral_constantIbLb1EESV_IbLb0EEEEDaSR_SS_EUlSR_E_NS1_11comp_targetILNS1_3genE10ELNS1_11target_archE1200ELNS1_3gpuE4ELNS1_3repE0EEENS1_30default_config_static_selectorELNS0_4arch9wavefront6targetE1EEEvT1_ ; -- Begin function _ZN7rocprim17ROCPRIM_400000_NS6detail17trampoline_kernelINS0_14default_configENS1_20scan_config_selectorI11FixedVectorIiLj1EEEEZZNS1_9scan_implILNS1_25lookback_scan_determinismE0ELb0ELb0ES3_N6thrust23THRUST_200600_302600_NS6detail15normal_iteratorINSB_10device_ptrIS6_EEEESG_S6_NSB_4plusIvEES6_EEDaPvRmT3_T4_T5_mT6_P12ihipStream_tbENKUlT_T0_E_clISt17integral_constantIbLb1EESV_IbLb0EEEEDaSR_SS_EUlSR_E_NS1_11comp_targetILNS1_3genE10ELNS1_11target_archE1200ELNS1_3gpuE4ELNS1_3repE0EEENS1_30default_config_static_selectorELNS0_4arch9wavefront6targetE1EEEvT1_
	.globl	_ZN7rocprim17ROCPRIM_400000_NS6detail17trampoline_kernelINS0_14default_configENS1_20scan_config_selectorI11FixedVectorIiLj1EEEEZZNS1_9scan_implILNS1_25lookback_scan_determinismE0ELb0ELb0ES3_N6thrust23THRUST_200600_302600_NS6detail15normal_iteratorINSB_10device_ptrIS6_EEEESG_S6_NSB_4plusIvEES6_EEDaPvRmT3_T4_T5_mT6_P12ihipStream_tbENKUlT_T0_E_clISt17integral_constantIbLb1EESV_IbLb0EEEEDaSR_SS_EUlSR_E_NS1_11comp_targetILNS1_3genE10ELNS1_11target_archE1200ELNS1_3gpuE4ELNS1_3repE0EEENS1_30default_config_static_selectorELNS0_4arch9wavefront6targetE1EEEvT1_
	.p2align	8
	.type	_ZN7rocprim17ROCPRIM_400000_NS6detail17trampoline_kernelINS0_14default_configENS1_20scan_config_selectorI11FixedVectorIiLj1EEEEZZNS1_9scan_implILNS1_25lookback_scan_determinismE0ELb0ELb0ES3_N6thrust23THRUST_200600_302600_NS6detail15normal_iteratorINSB_10device_ptrIS6_EEEESG_S6_NSB_4plusIvEES6_EEDaPvRmT3_T4_T5_mT6_P12ihipStream_tbENKUlT_T0_E_clISt17integral_constantIbLb1EESV_IbLb0EEEEDaSR_SS_EUlSR_E_NS1_11comp_targetILNS1_3genE10ELNS1_11target_archE1200ELNS1_3gpuE4ELNS1_3repE0EEENS1_30default_config_static_selectorELNS0_4arch9wavefront6targetE1EEEvT1_,@function
_ZN7rocprim17ROCPRIM_400000_NS6detail17trampoline_kernelINS0_14default_configENS1_20scan_config_selectorI11FixedVectorIiLj1EEEEZZNS1_9scan_implILNS1_25lookback_scan_determinismE0ELb0ELb0ES3_N6thrust23THRUST_200600_302600_NS6detail15normal_iteratorINSB_10device_ptrIS6_EEEESG_S6_NSB_4plusIvEES6_EEDaPvRmT3_T4_T5_mT6_P12ihipStream_tbENKUlT_T0_E_clISt17integral_constantIbLb1EESV_IbLb0EEEEDaSR_SS_EUlSR_E_NS1_11comp_targetILNS1_3genE10ELNS1_11target_archE1200ELNS1_3gpuE4ELNS1_3repE0EEENS1_30default_config_static_selectorELNS0_4arch9wavefront6targetE1EEEvT1_: ; @_ZN7rocprim17ROCPRIM_400000_NS6detail17trampoline_kernelINS0_14default_configENS1_20scan_config_selectorI11FixedVectorIiLj1EEEEZZNS1_9scan_implILNS1_25lookback_scan_determinismE0ELb0ELb0ES3_N6thrust23THRUST_200600_302600_NS6detail15normal_iteratorINSB_10device_ptrIS6_EEEESG_S6_NSB_4plusIvEES6_EEDaPvRmT3_T4_T5_mT6_P12ihipStream_tbENKUlT_T0_E_clISt17integral_constantIbLb1EESV_IbLb0EEEEDaSR_SS_EUlSR_E_NS1_11comp_targetILNS1_3genE10ELNS1_11target_archE1200ELNS1_3gpuE4ELNS1_3repE0EEENS1_30default_config_static_selectorELNS0_4arch9wavefront6targetE1EEEvT1_
; %bb.0:
	.section	.rodata,"a",@progbits
	.p2align	6, 0x0
	.amdhsa_kernel _ZN7rocprim17ROCPRIM_400000_NS6detail17trampoline_kernelINS0_14default_configENS1_20scan_config_selectorI11FixedVectorIiLj1EEEEZZNS1_9scan_implILNS1_25lookback_scan_determinismE0ELb0ELb0ES3_N6thrust23THRUST_200600_302600_NS6detail15normal_iteratorINSB_10device_ptrIS6_EEEESG_S6_NSB_4plusIvEES6_EEDaPvRmT3_T4_T5_mT6_P12ihipStream_tbENKUlT_T0_E_clISt17integral_constantIbLb1EESV_IbLb0EEEEDaSR_SS_EUlSR_E_NS1_11comp_targetILNS1_3genE10ELNS1_11target_archE1200ELNS1_3gpuE4ELNS1_3repE0EEENS1_30default_config_static_selectorELNS0_4arch9wavefront6targetE1EEEvT1_
		.amdhsa_group_segment_fixed_size 0
		.amdhsa_private_segment_fixed_size 0
		.amdhsa_kernarg_size 96
		.amdhsa_user_sgpr_count 6
		.amdhsa_user_sgpr_private_segment_buffer 1
		.amdhsa_user_sgpr_dispatch_ptr 0
		.amdhsa_user_sgpr_queue_ptr 0
		.amdhsa_user_sgpr_kernarg_segment_ptr 1
		.amdhsa_user_sgpr_dispatch_id 0
		.amdhsa_user_sgpr_flat_scratch_init 0
		.amdhsa_user_sgpr_kernarg_preload_length 0
		.amdhsa_user_sgpr_kernarg_preload_offset 0
		.amdhsa_user_sgpr_private_segment_size 0
		.amdhsa_uses_dynamic_stack 0
		.amdhsa_system_sgpr_private_segment_wavefront_offset 0
		.amdhsa_system_sgpr_workgroup_id_x 1
		.amdhsa_system_sgpr_workgroup_id_y 0
		.amdhsa_system_sgpr_workgroup_id_z 0
		.amdhsa_system_sgpr_workgroup_info 0
		.amdhsa_system_vgpr_workitem_id 0
		.amdhsa_next_free_vgpr 1
		.amdhsa_next_free_sgpr 0
		.amdhsa_accum_offset 4
		.amdhsa_reserve_vcc 0
		.amdhsa_reserve_flat_scratch 0
		.amdhsa_float_round_mode_32 0
		.amdhsa_float_round_mode_16_64 0
		.amdhsa_float_denorm_mode_32 3
		.amdhsa_float_denorm_mode_16_64 3
		.amdhsa_dx10_clamp 1
		.amdhsa_ieee_mode 1
		.amdhsa_fp16_overflow 0
		.amdhsa_tg_split 0
		.amdhsa_exception_fp_ieee_invalid_op 0
		.amdhsa_exception_fp_denorm_src 0
		.amdhsa_exception_fp_ieee_div_zero 0
		.amdhsa_exception_fp_ieee_overflow 0
		.amdhsa_exception_fp_ieee_underflow 0
		.amdhsa_exception_fp_ieee_inexact 0
		.amdhsa_exception_int_div_zero 0
	.end_amdhsa_kernel
	.section	.text._ZN7rocprim17ROCPRIM_400000_NS6detail17trampoline_kernelINS0_14default_configENS1_20scan_config_selectorI11FixedVectorIiLj1EEEEZZNS1_9scan_implILNS1_25lookback_scan_determinismE0ELb0ELb0ES3_N6thrust23THRUST_200600_302600_NS6detail15normal_iteratorINSB_10device_ptrIS6_EEEESG_S6_NSB_4plusIvEES6_EEDaPvRmT3_T4_T5_mT6_P12ihipStream_tbENKUlT_T0_E_clISt17integral_constantIbLb1EESV_IbLb0EEEEDaSR_SS_EUlSR_E_NS1_11comp_targetILNS1_3genE10ELNS1_11target_archE1200ELNS1_3gpuE4ELNS1_3repE0EEENS1_30default_config_static_selectorELNS0_4arch9wavefront6targetE1EEEvT1_,"axG",@progbits,_ZN7rocprim17ROCPRIM_400000_NS6detail17trampoline_kernelINS0_14default_configENS1_20scan_config_selectorI11FixedVectorIiLj1EEEEZZNS1_9scan_implILNS1_25lookback_scan_determinismE0ELb0ELb0ES3_N6thrust23THRUST_200600_302600_NS6detail15normal_iteratorINSB_10device_ptrIS6_EEEESG_S6_NSB_4plusIvEES6_EEDaPvRmT3_T4_T5_mT6_P12ihipStream_tbENKUlT_T0_E_clISt17integral_constantIbLb1EESV_IbLb0EEEEDaSR_SS_EUlSR_E_NS1_11comp_targetILNS1_3genE10ELNS1_11target_archE1200ELNS1_3gpuE4ELNS1_3repE0EEENS1_30default_config_static_selectorELNS0_4arch9wavefront6targetE1EEEvT1_,comdat
.Lfunc_end6431:
	.size	_ZN7rocprim17ROCPRIM_400000_NS6detail17trampoline_kernelINS0_14default_configENS1_20scan_config_selectorI11FixedVectorIiLj1EEEEZZNS1_9scan_implILNS1_25lookback_scan_determinismE0ELb0ELb0ES3_N6thrust23THRUST_200600_302600_NS6detail15normal_iteratorINSB_10device_ptrIS6_EEEESG_S6_NSB_4plusIvEES6_EEDaPvRmT3_T4_T5_mT6_P12ihipStream_tbENKUlT_T0_E_clISt17integral_constantIbLb1EESV_IbLb0EEEEDaSR_SS_EUlSR_E_NS1_11comp_targetILNS1_3genE10ELNS1_11target_archE1200ELNS1_3gpuE4ELNS1_3repE0EEENS1_30default_config_static_selectorELNS0_4arch9wavefront6targetE1EEEvT1_, .Lfunc_end6431-_ZN7rocprim17ROCPRIM_400000_NS6detail17trampoline_kernelINS0_14default_configENS1_20scan_config_selectorI11FixedVectorIiLj1EEEEZZNS1_9scan_implILNS1_25lookback_scan_determinismE0ELb0ELb0ES3_N6thrust23THRUST_200600_302600_NS6detail15normal_iteratorINSB_10device_ptrIS6_EEEESG_S6_NSB_4plusIvEES6_EEDaPvRmT3_T4_T5_mT6_P12ihipStream_tbENKUlT_T0_E_clISt17integral_constantIbLb1EESV_IbLb0EEEEDaSR_SS_EUlSR_E_NS1_11comp_targetILNS1_3genE10ELNS1_11target_archE1200ELNS1_3gpuE4ELNS1_3repE0EEENS1_30default_config_static_selectorELNS0_4arch9wavefront6targetE1EEEvT1_
                                        ; -- End function
	.section	.AMDGPU.csdata,"",@progbits
; Kernel info:
; codeLenInByte = 0
; NumSgprs: 4
; NumVgprs: 0
; NumAgprs: 0
; TotalNumVgprs: 0
; ScratchSize: 0
; MemoryBound: 0
; FloatMode: 240
; IeeeMode: 1
; LDSByteSize: 0 bytes/workgroup (compile time only)
; SGPRBlocks: 0
; VGPRBlocks: 0
; NumSGPRsForWavesPerEU: 4
; NumVGPRsForWavesPerEU: 1
; AccumOffset: 4
; Occupancy: 8
; WaveLimiterHint : 0
; COMPUTE_PGM_RSRC2:SCRATCH_EN: 0
; COMPUTE_PGM_RSRC2:USER_SGPR: 6
; COMPUTE_PGM_RSRC2:TRAP_HANDLER: 0
; COMPUTE_PGM_RSRC2:TGID_X_EN: 1
; COMPUTE_PGM_RSRC2:TGID_Y_EN: 0
; COMPUTE_PGM_RSRC2:TGID_Z_EN: 0
; COMPUTE_PGM_RSRC2:TIDIG_COMP_CNT: 0
; COMPUTE_PGM_RSRC3_GFX90A:ACCUM_OFFSET: 0
; COMPUTE_PGM_RSRC3_GFX90A:TG_SPLIT: 0
	.section	.text._ZN7rocprim17ROCPRIM_400000_NS6detail17trampoline_kernelINS0_14default_configENS1_20scan_config_selectorI11FixedVectorIiLj1EEEEZZNS1_9scan_implILNS1_25lookback_scan_determinismE0ELb0ELb0ES3_N6thrust23THRUST_200600_302600_NS6detail15normal_iteratorINSB_10device_ptrIS6_EEEESG_S6_NSB_4plusIvEES6_EEDaPvRmT3_T4_T5_mT6_P12ihipStream_tbENKUlT_T0_E_clISt17integral_constantIbLb1EESV_IbLb0EEEEDaSR_SS_EUlSR_E_NS1_11comp_targetILNS1_3genE9ELNS1_11target_archE1100ELNS1_3gpuE3ELNS1_3repE0EEENS1_30default_config_static_selectorELNS0_4arch9wavefront6targetE1EEEvT1_,"axG",@progbits,_ZN7rocprim17ROCPRIM_400000_NS6detail17trampoline_kernelINS0_14default_configENS1_20scan_config_selectorI11FixedVectorIiLj1EEEEZZNS1_9scan_implILNS1_25lookback_scan_determinismE0ELb0ELb0ES3_N6thrust23THRUST_200600_302600_NS6detail15normal_iteratorINSB_10device_ptrIS6_EEEESG_S6_NSB_4plusIvEES6_EEDaPvRmT3_T4_T5_mT6_P12ihipStream_tbENKUlT_T0_E_clISt17integral_constantIbLb1EESV_IbLb0EEEEDaSR_SS_EUlSR_E_NS1_11comp_targetILNS1_3genE9ELNS1_11target_archE1100ELNS1_3gpuE3ELNS1_3repE0EEENS1_30default_config_static_selectorELNS0_4arch9wavefront6targetE1EEEvT1_,comdat
	.protected	_ZN7rocprim17ROCPRIM_400000_NS6detail17trampoline_kernelINS0_14default_configENS1_20scan_config_selectorI11FixedVectorIiLj1EEEEZZNS1_9scan_implILNS1_25lookback_scan_determinismE0ELb0ELb0ES3_N6thrust23THRUST_200600_302600_NS6detail15normal_iteratorINSB_10device_ptrIS6_EEEESG_S6_NSB_4plusIvEES6_EEDaPvRmT3_T4_T5_mT6_P12ihipStream_tbENKUlT_T0_E_clISt17integral_constantIbLb1EESV_IbLb0EEEEDaSR_SS_EUlSR_E_NS1_11comp_targetILNS1_3genE9ELNS1_11target_archE1100ELNS1_3gpuE3ELNS1_3repE0EEENS1_30default_config_static_selectorELNS0_4arch9wavefront6targetE1EEEvT1_ ; -- Begin function _ZN7rocprim17ROCPRIM_400000_NS6detail17trampoline_kernelINS0_14default_configENS1_20scan_config_selectorI11FixedVectorIiLj1EEEEZZNS1_9scan_implILNS1_25lookback_scan_determinismE0ELb0ELb0ES3_N6thrust23THRUST_200600_302600_NS6detail15normal_iteratorINSB_10device_ptrIS6_EEEESG_S6_NSB_4plusIvEES6_EEDaPvRmT3_T4_T5_mT6_P12ihipStream_tbENKUlT_T0_E_clISt17integral_constantIbLb1EESV_IbLb0EEEEDaSR_SS_EUlSR_E_NS1_11comp_targetILNS1_3genE9ELNS1_11target_archE1100ELNS1_3gpuE3ELNS1_3repE0EEENS1_30default_config_static_selectorELNS0_4arch9wavefront6targetE1EEEvT1_
	.globl	_ZN7rocprim17ROCPRIM_400000_NS6detail17trampoline_kernelINS0_14default_configENS1_20scan_config_selectorI11FixedVectorIiLj1EEEEZZNS1_9scan_implILNS1_25lookback_scan_determinismE0ELb0ELb0ES3_N6thrust23THRUST_200600_302600_NS6detail15normal_iteratorINSB_10device_ptrIS6_EEEESG_S6_NSB_4plusIvEES6_EEDaPvRmT3_T4_T5_mT6_P12ihipStream_tbENKUlT_T0_E_clISt17integral_constantIbLb1EESV_IbLb0EEEEDaSR_SS_EUlSR_E_NS1_11comp_targetILNS1_3genE9ELNS1_11target_archE1100ELNS1_3gpuE3ELNS1_3repE0EEENS1_30default_config_static_selectorELNS0_4arch9wavefront6targetE1EEEvT1_
	.p2align	8
	.type	_ZN7rocprim17ROCPRIM_400000_NS6detail17trampoline_kernelINS0_14default_configENS1_20scan_config_selectorI11FixedVectorIiLj1EEEEZZNS1_9scan_implILNS1_25lookback_scan_determinismE0ELb0ELb0ES3_N6thrust23THRUST_200600_302600_NS6detail15normal_iteratorINSB_10device_ptrIS6_EEEESG_S6_NSB_4plusIvEES6_EEDaPvRmT3_T4_T5_mT6_P12ihipStream_tbENKUlT_T0_E_clISt17integral_constantIbLb1EESV_IbLb0EEEEDaSR_SS_EUlSR_E_NS1_11comp_targetILNS1_3genE9ELNS1_11target_archE1100ELNS1_3gpuE3ELNS1_3repE0EEENS1_30default_config_static_selectorELNS0_4arch9wavefront6targetE1EEEvT1_,@function
_ZN7rocprim17ROCPRIM_400000_NS6detail17trampoline_kernelINS0_14default_configENS1_20scan_config_selectorI11FixedVectorIiLj1EEEEZZNS1_9scan_implILNS1_25lookback_scan_determinismE0ELb0ELb0ES3_N6thrust23THRUST_200600_302600_NS6detail15normal_iteratorINSB_10device_ptrIS6_EEEESG_S6_NSB_4plusIvEES6_EEDaPvRmT3_T4_T5_mT6_P12ihipStream_tbENKUlT_T0_E_clISt17integral_constantIbLb1EESV_IbLb0EEEEDaSR_SS_EUlSR_E_NS1_11comp_targetILNS1_3genE9ELNS1_11target_archE1100ELNS1_3gpuE3ELNS1_3repE0EEENS1_30default_config_static_selectorELNS0_4arch9wavefront6targetE1EEEvT1_: ; @_ZN7rocprim17ROCPRIM_400000_NS6detail17trampoline_kernelINS0_14default_configENS1_20scan_config_selectorI11FixedVectorIiLj1EEEEZZNS1_9scan_implILNS1_25lookback_scan_determinismE0ELb0ELb0ES3_N6thrust23THRUST_200600_302600_NS6detail15normal_iteratorINSB_10device_ptrIS6_EEEESG_S6_NSB_4plusIvEES6_EEDaPvRmT3_T4_T5_mT6_P12ihipStream_tbENKUlT_T0_E_clISt17integral_constantIbLb1EESV_IbLb0EEEEDaSR_SS_EUlSR_E_NS1_11comp_targetILNS1_3genE9ELNS1_11target_archE1100ELNS1_3gpuE3ELNS1_3repE0EEENS1_30default_config_static_selectorELNS0_4arch9wavefront6targetE1EEEvT1_
; %bb.0:
	.section	.rodata,"a",@progbits
	.p2align	6, 0x0
	.amdhsa_kernel _ZN7rocprim17ROCPRIM_400000_NS6detail17trampoline_kernelINS0_14default_configENS1_20scan_config_selectorI11FixedVectorIiLj1EEEEZZNS1_9scan_implILNS1_25lookback_scan_determinismE0ELb0ELb0ES3_N6thrust23THRUST_200600_302600_NS6detail15normal_iteratorINSB_10device_ptrIS6_EEEESG_S6_NSB_4plusIvEES6_EEDaPvRmT3_T4_T5_mT6_P12ihipStream_tbENKUlT_T0_E_clISt17integral_constantIbLb1EESV_IbLb0EEEEDaSR_SS_EUlSR_E_NS1_11comp_targetILNS1_3genE9ELNS1_11target_archE1100ELNS1_3gpuE3ELNS1_3repE0EEENS1_30default_config_static_selectorELNS0_4arch9wavefront6targetE1EEEvT1_
		.amdhsa_group_segment_fixed_size 0
		.amdhsa_private_segment_fixed_size 0
		.amdhsa_kernarg_size 96
		.amdhsa_user_sgpr_count 6
		.amdhsa_user_sgpr_private_segment_buffer 1
		.amdhsa_user_sgpr_dispatch_ptr 0
		.amdhsa_user_sgpr_queue_ptr 0
		.amdhsa_user_sgpr_kernarg_segment_ptr 1
		.amdhsa_user_sgpr_dispatch_id 0
		.amdhsa_user_sgpr_flat_scratch_init 0
		.amdhsa_user_sgpr_kernarg_preload_length 0
		.amdhsa_user_sgpr_kernarg_preload_offset 0
		.amdhsa_user_sgpr_private_segment_size 0
		.amdhsa_uses_dynamic_stack 0
		.amdhsa_system_sgpr_private_segment_wavefront_offset 0
		.amdhsa_system_sgpr_workgroup_id_x 1
		.amdhsa_system_sgpr_workgroup_id_y 0
		.amdhsa_system_sgpr_workgroup_id_z 0
		.amdhsa_system_sgpr_workgroup_info 0
		.amdhsa_system_vgpr_workitem_id 0
		.amdhsa_next_free_vgpr 1
		.amdhsa_next_free_sgpr 0
		.amdhsa_accum_offset 4
		.amdhsa_reserve_vcc 0
		.amdhsa_reserve_flat_scratch 0
		.amdhsa_float_round_mode_32 0
		.amdhsa_float_round_mode_16_64 0
		.amdhsa_float_denorm_mode_32 3
		.amdhsa_float_denorm_mode_16_64 3
		.amdhsa_dx10_clamp 1
		.amdhsa_ieee_mode 1
		.amdhsa_fp16_overflow 0
		.amdhsa_tg_split 0
		.amdhsa_exception_fp_ieee_invalid_op 0
		.amdhsa_exception_fp_denorm_src 0
		.amdhsa_exception_fp_ieee_div_zero 0
		.amdhsa_exception_fp_ieee_overflow 0
		.amdhsa_exception_fp_ieee_underflow 0
		.amdhsa_exception_fp_ieee_inexact 0
		.amdhsa_exception_int_div_zero 0
	.end_amdhsa_kernel
	.section	.text._ZN7rocprim17ROCPRIM_400000_NS6detail17trampoline_kernelINS0_14default_configENS1_20scan_config_selectorI11FixedVectorIiLj1EEEEZZNS1_9scan_implILNS1_25lookback_scan_determinismE0ELb0ELb0ES3_N6thrust23THRUST_200600_302600_NS6detail15normal_iteratorINSB_10device_ptrIS6_EEEESG_S6_NSB_4plusIvEES6_EEDaPvRmT3_T4_T5_mT6_P12ihipStream_tbENKUlT_T0_E_clISt17integral_constantIbLb1EESV_IbLb0EEEEDaSR_SS_EUlSR_E_NS1_11comp_targetILNS1_3genE9ELNS1_11target_archE1100ELNS1_3gpuE3ELNS1_3repE0EEENS1_30default_config_static_selectorELNS0_4arch9wavefront6targetE1EEEvT1_,"axG",@progbits,_ZN7rocprim17ROCPRIM_400000_NS6detail17trampoline_kernelINS0_14default_configENS1_20scan_config_selectorI11FixedVectorIiLj1EEEEZZNS1_9scan_implILNS1_25lookback_scan_determinismE0ELb0ELb0ES3_N6thrust23THRUST_200600_302600_NS6detail15normal_iteratorINSB_10device_ptrIS6_EEEESG_S6_NSB_4plusIvEES6_EEDaPvRmT3_T4_T5_mT6_P12ihipStream_tbENKUlT_T0_E_clISt17integral_constantIbLb1EESV_IbLb0EEEEDaSR_SS_EUlSR_E_NS1_11comp_targetILNS1_3genE9ELNS1_11target_archE1100ELNS1_3gpuE3ELNS1_3repE0EEENS1_30default_config_static_selectorELNS0_4arch9wavefront6targetE1EEEvT1_,comdat
.Lfunc_end6432:
	.size	_ZN7rocprim17ROCPRIM_400000_NS6detail17trampoline_kernelINS0_14default_configENS1_20scan_config_selectorI11FixedVectorIiLj1EEEEZZNS1_9scan_implILNS1_25lookback_scan_determinismE0ELb0ELb0ES3_N6thrust23THRUST_200600_302600_NS6detail15normal_iteratorINSB_10device_ptrIS6_EEEESG_S6_NSB_4plusIvEES6_EEDaPvRmT3_T4_T5_mT6_P12ihipStream_tbENKUlT_T0_E_clISt17integral_constantIbLb1EESV_IbLb0EEEEDaSR_SS_EUlSR_E_NS1_11comp_targetILNS1_3genE9ELNS1_11target_archE1100ELNS1_3gpuE3ELNS1_3repE0EEENS1_30default_config_static_selectorELNS0_4arch9wavefront6targetE1EEEvT1_, .Lfunc_end6432-_ZN7rocprim17ROCPRIM_400000_NS6detail17trampoline_kernelINS0_14default_configENS1_20scan_config_selectorI11FixedVectorIiLj1EEEEZZNS1_9scan_implILNS1_25lookback_scan_determinismE0ELb0ELb0ES3_N6thrust23THRUST_200600_302600_NS6detail15normal_iteratorINSB_10device_ptrIS6_EEEESG_S6_NSB_4plusIvEES6_EEDaPvRmT3_T4_T5_mT6_P12ihipStream_tbENKUlT_T0_E_clISt17integral_constantIbLb1EESV_IbLb0EEEEDaSR_SS_EUlSR_E_NS1_11comp_targetILNS1_3genE9ELNS1_11target_archE1100ELNS1_3gpuE3ELNS1_3repE0EEENS1_30default_config_static_selectorELNS0_4arch9wavefront6targetE1EEEvT1_
                                        ; -- End function
	.section	.AMDGPU.csdata,"",@progbits
; Kernel info:
; codeLenInByte = 0
; NumSgprs: 4
; NumVgprs: 0
; NumAgprs: 0
; TotalNumVgprs: 0
; ScratchSize: 0
; MemoryBound: 0
; FloatMode: 240
; IeeeMode: 1
; LDSByteSize: 0 bytes/workgroup (compile time only)
; SGPRBlocks: 0
; VGPRBlocks: 0
; NumSGPRsForWavesPerEU: 4
; NumVGPRsForWavesPerEU: 1
; AccumOffset: 4
; Occupancy: 8
; WaveLimiterHint : 0
; COMPUTE_PGM_RSRC2:SCRATCH_EN: 0
; COMPUTE_PGM_RSRC2:USER_SGPR: 6
; COMPUTE_PGM_RSRC2:TRAP_HANDLER: 0
; COMPUTE_PGM_RSRC2:TGID_X_EN: 1
; COMPUTE_PGM_RSRC2:TGID_Y_EN: 0
; COMPUTE_PGM_RSRC2:TGID_Z_EN: 0
; COMPUTE_PGM_RSRC2:TIDIG_COMP_CNT: 0
; COMPUTE_PGM_RSRC3_GFX90A:ACCUM_OFFSET: 0
; COMPUTE_PGM_RSRC3_GFX90A:TG_SPLIT: 0
	.section	.text._ZN7rocprim17ROCPRIM_400000_NS6detail17trampoline_kernelINS0_14default_configENS1_20scan_config_selectorI11FixedVectorIiLj1EEEEZZNS1_9scan_implILNS1_25lookback_scan_determinismE0ELb0ELb0ES3_N6thrust23THRUST_200600_302600_NS6detail15normal_iteratorINSB_10device_ptrIS6_EEEESG_S6_NSB_4plusIvEES6_EEDaPvRmT3_T4_T5_mT6_P12ihipStream_tbENKUlT_T0_E_clISt17integral_constantIbLb1EESV_IbLb0EEEEDaSR_SS_EUlSR_E_NS1_11comp_targetILNS1_3genE8ELNS1_11target_archE1030ELNS1_3gpuE2ELNS1_3repE0EEENS1_30default_config_static_selectorELNS0_4arch9wavefront6targetE1EEEvT1_,"axG",@progbits,_ZN7rocprim17ROCPRIM_400000_NS6detail17trampoline_kernelINS0_14default_configENS1_20scan_config_selectorI11FixedVectorIiLj1EEEEZZNS1_9scan_implILNS1_25lookback_scan_determinismE0ELb0ELb0ES3_N6thrust23THRUST_200600_302600_NS6detail15normal_iteratorINSB_10device_ptrIS6_EEEESG_S6_NSB_4plusIvEES6_EEDaPvRmT3_T4_T5_mT6_P12ihipStream_tbENKUlT_T0_E_clISt17integral_constantIbLb1EESV_IbLb0EEEEDaSR_SS_EUlSR_E_NS1_11comp_targetILNS1_3genE8ELNS1_11target_archE1030ELNS1_3gpuE2ELNS1_3repE0EEENS1_30default_config_static_selectorELNS0_4arch9wavefront6targetE1EEEvT1_,comdat
	.protected	_ZN7rocprim17ROCPRIM_400000_NS6detail17trampoline_kernelINS0_14default_configENS1_20scan_config_selectorI11FixedVectorIiLj1EEEEZZNS1_9scan_implILNS1_25lookback_scan_determinismE0ELb0ELb0ES3_N6thrust23THRUST_200600_302600_NS6detail15normal_iteratorINSB_10device_ptrIS6_EEEESG_S6_NSB_4plusIvEES6_EEDaPvRmT3_T4_T5_mT6_P12ihipStream_tbENKUlT_T0_E_clISt17integral_constantIbLb1EESV_IbLb0EEEEDaSR_SS_EUlSR_E_NS1_11comp_targetILNS1_3genE8ELNS1_11target_archE1030ELNS1_3gpuE2ELNS1_3repE0EEENS1_30default_config_static_selectorELNS0_4arch9wavefront6targetE1EEEvT1_ ; -- Begin function _ZN7rocprim17ROCPRIM_400000_NS6detail17trampoline_kernelINS0_14default_configENS1_20scan_config_selectorI11FixedVectorIiLj1EEEEZZNS1_9scan_implILNS1_25lookback_scan_determinismE0ELb0ELb0ES3_N6thrust23THRUST_200600_302600_NS6detail15normal_iteratorINSB_10device_ptrIS6_EEEESG_S6_NSB_4plusIvEES6_EEDaPvRmT3_T4_T5_mT6_P12ihipStream_tbENKUlT_T0_E_clISt17integral_constantIbLb1EESV_IbLb0EEEEDaSR_SS_EUlSR_E_NS1_11comp_targetILNS1_3genE8ELNS1_11target_archE1030ELNS1_3gpuE2ELNS1_3repE0EEENS1_30default_config_static_selectorELNS0_4arch9wavefront6targetE1EEEvT1_
	.globl	_ZN7rocprim17ROCPRIM_400000_NS6detail17trampoline_kernelINS0_14default_configENS1_20scan_config_selectorI11FixedVectorIiLj1EEEEZZNS1_9scan_implILNS1_25lookback_scan_determinismE0ELb0ELb0ES3_N6thrust23THRUST_200600_302600_NS6detail15normal_iteratorINSB_10device_ptrIS6_EEEESG_S6_NSB_4plusIvEES6_EEDaPvRmT3_T4_T5_mT6_P12ihipStream_tbENKUlT_T0_E_clISt17integral_constantIbLb1EESV_IbLb0EEEEDaSR_SS_EUlSR_E_NS1_11comp_targetILNS1_3genE8ELNS1_11target_archE1030ELNS1_3gpuE2ELNS1_3repE0EEENS1_30default_config_static_selectorELNS0_4arch9wavefront6targetE1EEEvT1_
	.p2align	8
	.type	_ZN7rocprim17ROCPRIM_400000_NS6detail17trampoline_kernelINS0_14default_configENS1_20scan_config_selectorI11FixedVectorIiLj1EEEEZZNS1_9scan_implILNS1_25lookback_scan_determinismE0ELb0ELb0ES3_N6thrust23THRUST_200600_302600_NS6detail15normal_iteratorINSB_10device_ptrIS6_EEEESG_S6_NSB_4plusIvEES6_EEDaPvRmT3_T4_T5_mT6_P12ihipStream_tbENKUlT_T0_E_clISt17integral_constantIbLb1EESV_IbLb0EEEEDaSR_SS_EUlSR_E_NS1_11comp_targetILNS1_3genE8ELNS1_11target_archE1030ELNS1_3gpuE2ELNS1_3repE0EEENS1_30default_config_static_selectorELNS0_4arch9wavefront6targetE1EEEvT1_,@function
_ZN7rocprim17ROCPRIM_400000_NS6detail17trampoline_kernelINS0_14default_configENS1_20scan_config_selectorI11FixedVectorIiLj1EEEEZZNS1_9scan_implILNS1_25lookback_scan_determinismE0ELb0ELb0ES3_N6thrust23THRUST_200600_302600_NS6detail15normal_iteratorINSB_10device_ptrIS6_EEEESG_S6_NSB_4plusIvEES6_EEDaPvRmT3_T4_T5_mT6_P12ihipStream_tbENKUlT_T0_E_clISt17integral_constantIbLb1EESV_IbLb0EEEEDaSR_SS_EUlSR_E_NS1_11comp_targetILNS1_3genE8ELNS1_11target_archE1030ELNS1_3gpuE2ELNS1_3repE0EEENS1_30default_config_static_selectorELNS0_4arch9wavefront6targetE1EEEvT1_: ; @_ZN7rocprim17ROCPRIM_400000_NS6detail17trampoline_kernelINS0_14default_configENS1_20scan_config_selectorI11FixedVectorIiLj1EEEEZZNS1_9scan_implILNS1_25lookback_scan_determinismE0ELb0ELb0ES3_N6thrust23THRUST_200600_302600_NS6detail15normal_iteratorINSB_10device_ptrIS6_EEEESG_S6_NSB_4plusIvEES6_EEDaPvRmT3_T4_T5_mT6_P12ihipStream_tbENKUlT_T0_E_clISt17integral_constantIbLb1EESV_IbLb0EEEEDaSR_SS_EUlSR_E_NS1_11comp_targetILNS1_3genE8ELNS1_11target_archE1030ELNS1_3gpuE2ELNS1_3repE0EEENS1_30default_config_static_selectorELNS0_4arch9wavefront6targetE1EEEvT1_
; %bb.0:
	.section	.rodata,"a",@progbits
	.p2align	6, 0x0
	.amdhsa_kernel _ZN7rocprim17ROCPRIM_400000_NS6detail17trampoline_kernelINS0_14default_configENS1_20scan_config_selectorI11FixedVectorIiLj1EEEEZZNS1_9scan_implILNS1_25lookback_scan_determinismE0ELb0ELb0ES3_N6thrust23THRUST_200600_302600_NS6detail15normal_iteratorINSB_10device_ptrIS6_EEEESG_S6_NSB_4plusIvEES6_EEDaPvRmT3_T4_T5_mT6_P12ihipStream_tbENKUlT_T0_E_clISt17integral_constantIbLb1EESV_IbLb0EEEEDaSR_SS_EUlSR_E_NS1_11comp_targetILNS1_3genE8ELNS1_11target_archE1030ELNS1_3gpuE2ELNS1_3repE0EEENS1_30default_config_static_selectorELNS0_4arch9wavefront6targetE1EEEvT1_
		.amdhsa_group_segment_fixed_size 0
		.amdhsa_private_segment_fixed_size 0
		.amdhsa_kernarg_size 96
		.amdhsa_user_sgpr_count 6
		.amdhsa_user_sgpr_private_segment_buffer 1
		.amdhsa_user_sgpr_dispatch_ptr 0
		.amdhsa_user_sgpr_queue_ptr 0
		.amdhsa_user_sgpr_kernarg_segment_ptr 1
		.amdhsa_user_sgpr_dispatch_id 0
		.amdhsa_user_sgpr_flat_scratch_init 0
		.amdhsa_user_sgpr_kernarg_preload_length 0
		.amdhsa_user_sgpr_kernarg_preload_offset 0
		.amdhsa_user_sgpr_private_segment_size 0
		.amdhsa_uses_dynamic_stack 0
		.amdhsa_system_sgpr_private_segment_wavefront_offset 0
		.amdhsa_system_sgpr_workgroup_id_x 1
		.amdhsa_system_sgpr_workgroup_id_y 0
		.amdhsa_system_sgpr_workgroup_id_z 0
		.amdhsa_system_sgpr_workgroup_info 0
		.amdhsa_system_vgpr_workitem_id 0
		.amdhsa_next_free_vgpr 1
		.amdhsa_next_free_sgpr 0
		.amdhsa_accum_offset 4
		.amdhsa_reserve_vcc 0
		.amdhsa_reserve_flat_scratch 0
		.amdhsa_float_round_mode_32 0
		.amdhsa_float_round_mode_16_64 0
		.amdhsa_float_denorm_mode_32 3
		.amdhsa_float_denorm_mode_16_64 3
		.amdhsa_dx10_clamp 1
		.amdhsa_ieee_mode 1
		.amdhsa_fp16_overflow 0
		.amdhsa_tg_split 0
		.amdhsa_exception_fp_ieee_invalid_op 0
		.amdhsa_exception_fp_denorm_src 0
		.amdhsa_exception_fp_ieee_div_zero 0
		.amdhsa_exception_fp_ieee_overflow 0
		.amdhsa_exception_fp_ieee_underflow 0
		.amdhsa_exception_fp_ieee_inexact 0
		.amdhsa_exception_int_div_zero 0
	.end_amdhsa_kernel
	.section	.text._ZN7rocprim17ROCPRIM_400000_NS6detail17trampoline_kernelINS0_14default_configENS1_20scan_config_selectorI11FixedVectorIiLj1EEEEZZNS1_9scan_implILNS1_25lookback_scan_determinismE0ELb0ELb0ES3_N6thrust23THRUST_200600_302600_NS6detail15normal_iteratorINSB_10device_ptrIS6_EEEESG_S6_NSB_4plusIvEES6_EEDaPvRmT3_T4_T5_mT6_P12ihipStream_tbENKUlT_T0_E_clISt17integral_constantIbLb1EESV_IbLb0EEEEDaSR_SS_EUlSR_E_NS1_11comp_targetILNS1_3genE8ELNS1_11target_archE1030ELNS1_3gpuE2ELNS1_3repE0EEENS1_30default_config_static_selectorELNS0_4arch9wavefront6targetE1EEEvT1_,"axG",@progbits,_ZN7rocprim17ROCPRIM_400000_NS6detail17trampoline_kernelINS0_14default_configENS1_20scan_config_selectorI11FixedVectorIiLj1EEEEZZNS1_9scan_implILNS1_25lookback_scan_determinismE0ELb0ELb0ES3_N6thrust23THRUST_200600_302600_NS6detail15normal_iteratorINSB_10device_ptrIS6_EEEESG_S6_NSB_4plusIvEES6_EEDaPvRmT3_T4_T5_mT6_P12ihipStream_tbENKUlT_T0_E_clISt17integral_constantIbLb1EESV_IbLb0EEEEDaSR_SS_EUlSR_E_NS1_11comp_targetILNS1_3genE8ELNS1_11target_archE1030ELNS1_3gpuE2ELNS1_3repE0EEENS1_30default_config_static_selectorELNS0_4arch9wavefront6targetE1EEEvT1_,comdat
.Lfunc_end6433:
	.size	_ZN7rocprim17ROCPRIM_400000_NS6detail17trampoline_kernelINS0_14default_configENS1_20scan_config_selectorI11FixedVectorIiLj1EEEEZZNS1_9scan_implILNS1_25lookback_scan_determinismE0ELb0ELb0ES3_N6thrust23THRUST_200600_302600_NS6detail15normal_iteratorINSB_10device_ptrIS6_EEEESG_S6_NSB_4plusIvEES6_EEDaPvRmT3_T4_T5_mT6_P12ihipStream_tbENKUlT_T0_E_clISt17integral_constantIbLb1EESV_IbLb0EEEEDaSR_SS_EUlSR_E_NS1_11comp_targetILNS1_3genE8ELNS1_11target_archE1030ELNS1_3gpuE2ELNS1_3repE0EEENS1_30default_config_static_selectorELNS0_4arch9wavefront6targetE1EEEvT1_, .Lfunc_end6433-_ZN7rocprim17ROCPRIM_400000_NS6detail17trampoline_kernelINS0_14default_configENS1_20scan_config_selectorI11FixedVectorIiLj1EEEEZZNS1_9scan_implILNS1_25lookback_scan_determinismE0ELb0ELb0ES3_N6thrust23THRUST_200600_302600_NS6detail15normal_iteratorINSB_10device_ptrIS6_EEEESG_S6_NSB_4plusIvEES6_EEDaPvRmT3_T4_T5_mT6_P12ihipStream_tbENKUlT_T0_E_clISt17integral_constantIbLb1EESV_IbLb0EEEEDaSR_SS_EUlSR_E_NS1_11comp_targetILNS1_3genE8ELNS1_11target_archE1030ELNS1_3gpuE2ELNS1_3repE0EEENS1_30default_config_static_selectorELNS0_4arch9wavefront6targetE1EEEvT1_
                                        ; -- End function
	.section	.AMDGPU.csdata,"",@progbits
; Kernel info:
; codeLenInByte = 0
; NumSgprs: 4
; NumVgprs: 0
; NumAgprs: 0
; TotalNumVgprs: 0
; ScratchSize: 0
; MemoryBound: 0
; FloatMode: 240
; IeeeMode: 1
; LDSByteSize: 0 bytes/workgroup (compile time only)
; SGPRBlocks: 0
; VGPRBlocks: 0
; NumSGPRsForWavesPerEU: 4
; NumVGPRsForWavesPerEU: 1
; AccumOffset: 4
; Occupancy: 8
; WaveLimiterHint : 0
; COMPUTE_PGM_RSRC2:SCRATCH_EN: 0
; COMPUTE_PGM_RSRC2:USER_SGPR: 6
; COMPUTE_PGM_RSRC2:TRAP_HANDLER: 0
; COMPUTE_PGM_RSRC2:TGID_X_EN: 1
; COMPUTE_PGM_RSRC2:TGID_Y_EN: 0
; COMPUTE_PGM_RSRC2:TGID_Z_EN: 0
; COMPUTE_PGM_RSRC2:TIDIG_COMP_CNT: 0
; COMPUTE_PGM_RSRC3_GFX90A:ACCUM_OFFSET: 0
; COMPUTE_PGM_RSRC3_GFX90A:TG_SPLIT: 0
	.section	.text._ZN7rocprim17ROCPRIM_400000_NS6detail17trampoline_kernelINS0_14default_configENS1_20scan_config_selectorI11FixedVectorIiLj1EEEEZZNS1_9scan_implILNS1_25lookback_scan_determinismE0ELb0ELb0ES3_N6thrust23THRUST_200600_302600_NS6detail15normal_iteratorINSB_10device_ptrIS6_EEEESG_S6_NSB_4plusIvEES6_EEDaPvRmT3_T4_T5_mT6_P12ihipStream_tbENKUlT_T0_E_clISt17integral_constantIbLb1EESV_IbLb0EEEEDaSR_SS_EUlSR_E0_NS1_11comp_targetILNS1_3genE0ELNS1_11target_archE4294967295ELNS1_3gpuE0ELNS1_3repE0EEENS1_30default_config_static_selectorELNS0_4arch9wavefront6targetE1EEEvT1_,"axG",@progbits,_ZN7rocprim17ROCPRIM_400000_NS6detail17trampoline_kernelINS0_14default_configENS1_20scan_config_selectorI11FixedVectorIiLj1EEEEZZNS1_9scan_implILNS1_25lookback_scan_determinismE0ELb0ELb0ES3_N6thrust23THRUST_200600_302600_NS6detail15normal_iteratorINSB_10device_ptrIS6_EEEESG_S6_NSB_4plusIvEES6_EEDaPvRmT3_T4_T5_mT6_P12ihipStream_tbENKUlT_T0_E_clISt17integral_constantIbLb1EESV_IbLb0EEEEDaSR_SS_EUlSR_E0_NS1_11comp_targetILNS1_3genE0ELNS1_11target_archE4294967295ELNS1_3gpuE0ELNS1_3repE0EEENS1_30default_config_static_selectorELNS0_4arch9wavefront6targetE1EEEvT1_,comdat
	.protected	_ZN7rocprim17ROCPRIM_400000_NS6detail17trampoline_kernelINS0_14default_configENS1_20scan_config_selectorI11FixedVectorIiLj1EEEEZZNS1_9scan_implILNS1_25lookback_scan_determinismE0ELb0ELb0ES3_N6thrust23THRUST_200600_302600_NS6detail15normal_iteratorINSB_10device_ptrIS6_EEEESG_S6_NSB_4plusIvEES6_EEDaPvRmT3_T4_T5_mT6_P12ihipStream_tbENKUlT_T0_E_clISt17integral_constantIbLb1EESV_IbLb0EEEEDaSR_SS_EUlSR_E0_NS1_11comp_targetILNS1_3genE0ELNS1_11target_archE4294967295ELNS1_3gpuE0ELNS1_3repE0EEENS1_30default_config_static_selectorELNS0_4arch9wavefront6targetE1EEEvT1_ ; -- Begin function _ZN7rocprim17ROCPRIM_400000_NS6detail17trampoline_kernelINS0_14default_configENS1_20scan_config_selectorI11FixedVectorIiLj1EEEEZZNS1_9scan_implILNS1_25lookback_scan_determinismE0ELb0ELb0ES3_N6thrust23THRUST_200600_302600_NS6detail15normal_iteratorINSB_10device_ptrIS6_EEEESG_S6_NSB_4plusIvEES6_EEDaPvRmT3_T4_T5_mT6_P12ihipStream_tbENKUlT_T0_E_clISt17integral_constantIbLb1EESV_IbLb0EEEEDaSR_SS_EUlSR_E0_NS1_11comp_targetILNS1_3genE0ELNS1_11target_archE4294967295ELNS1_3gpuE0ELNS1_3repE0EEENS1_30default_config_static_selectorELNS0_4arch9wavefront6targetE1EEEvT1_
	.globl	_ZN7rocprim17ROCPRIM_400000_NS6detail17trampoline_kernelINS0_14default_configENS1_20scan_config_selectorI11FixedVectorIiLj1EEEEZZNS1_9scan_implILNS1_25lookback_scan_determinismE0ELb0ELb0ES3_N6thrust23THRUST_200600_302600_NS6detail15normal_iteratorINSB_10device_ptrIS6_EEEESG_S6_NSB_4plusIvEES6_EEDaPvRmT3_T4_T5_mT6_P12ihipStream_tbENKUlT_T0_E_clISt17integral_constantIbLb1EESV_IbLb0EEEEDaSR_SS_EUlSR_E0_NS1_11comp_targetILNS1_3genE0ELNS1_11target_archE4294967295ELNS1_3gpuE0ELNS1_3repE0EEENS1_30default_config_static_selectorELNS0_4arch9wavefront6targetE1EEEvT1_
	.p2align	8
	.type	_ZN7rocprim17ROCPRIM_400000_NS6detail17trampoline_kernelINS0_14default_configENS1_20scan_config_selectorI11FixedVectorIiLj1EEEEZZNS1_9scan_implILNS1_25lookback_scan_determinismE0ELb0ELb0ES3_N6thrust23THRUST_200600_302600_NS6detail15normal_iteratorINSB_10device_ptrIS6_EEEESG_S6_NSB_4plusIvEES6_EEDaPvRmT3_T4_T5_mT6_P12ihipStream_tbENKUlT_T0_E_clISt17integral_constantIbLb1EESV_IbLb0EEEEDaSR_SS_EUlSR_E0_NS1_11comp_targetILNS1_3genE0ELNS1_11target_archE4294967295ELNS1_3gpuE0ELNS1_3repE0EEENS1_30default_config_static_selectorELNS0_4arch9wavefront6targetE1EEEvT1_,@function
_ZN7rocprim17ROCPRIM_400000_NS6detail17trampoline_kernelINS0_14default_configENS1_20scan_config_selectorI11FixedVectorIiLj1EEEEZZNS1_9scan_implILNS1_25lookback_scan_determinismE0ELb0ELb0ES3_N6thrust23THRUST_200600_302600_NS6detail15normal_iteratorINSB_10device_ptrIS6_EEEESG_S6_NSB_4plusIvEES6_EEDaPvRmT3_T4_T5_mT6_P12ihipStream_tbENKUlT_T0_E_clISt17integral_constantIbLb1EESV_IbLb0EEEEDaSR_SS_EUlSR_E0_NS1_11comp_targetILNS1_3genE0ELNS1_11target_archE4294967295ELNS1_3gpuE0ELNS1_3repE0EEENS1_30default_config_static_selectorELNS0_4arch9wavefront6targetE1EEEvT1_: ; @_ZN7rocprim17ROCPRIM_400000_NS6detail17trampoline_kernelINS0_14default_configENS1_20scan_config_selectorI11FixedVectorIiLj1EEEEZZNS1_9scan_implILNS1_25lookback_scan_determinismE0ELb0ELb0ES3_N6thrust23THRUST_200600_302600_NS6detail15normal_iteratorINSB_10device_ptrIS6_EEEESG_S6_NSB_4plusIvEES6_EEDaPvRmT3_T4_T5_mT6_P12ihipStream_tbENKUlT_T0_E_clISt17integral_constantIbLb1EESV_IbLb0EEEEDaSR_SS_EUlSR_E0_NS1_11comp_targetILNS1_3genE0ELNS1_11target_archE4294967295ELNS1_3gpuE0ELNS1_3repE0EEENS1_30default_config_static_selectorELNS0_4arch9wavefront6targetE1EEEvT1_
; %bb.0:
	.section	.rodata,"a",@progbits
	.p2align	6, 0x0
	.amdhsa_kernel _ZN7rocprim17ROCPRIM_400000_NS6detail17trampoline_kernelINS0_14default_configENS1_20scan_config_selectorI11FixedVectorIiLj1EEEEZZNS1_9scan_implILNS1_25lookback_scan_determinismE0ELb0ELb0ES3_N6thrust23THRUST_200600_302600_NS6detail15normal_iteratorINSB_10device_ptrIS6_EEEESG_S6_NSB_4plusIvEES6_EEDaPvRmT3_T4_T5_mT6_P12ihipStream_tbENKUlT_T0_E_clISt17integral_constantIbLb1EESV_IbLb0EEEEDaSR_SS_EUlSR_E0_NS1_11comp_targetILNS1_3genE0ELNS1_11target_archE4294967295ELNS1_3gpuE0ELNS1_3repE0EEENS1_30default_config_static_selectorELNS0_4arch9wavefront6targetE1EEEvT1_
		.amdhsa_group_segment_fixed_size 0
		.amdhsa_private_segment_fixed_size 0
		.amdhsa_kernarg_size 32
		.amdhsa_user_sgpr_count 6
		.amdhsa_user_sgpr_private_segment_buffer 1
		.amdhsa_user_sgpr_dispatch_ptr 0
		.amdhsa_user_sgpr_queue_ptr 0
		.amdhsa_user_sgpr_kernarg_segment_ptr 1
		.amdhsa_user_sgpr_dispatch_id 0
		.amdhsa_user_sgpr_flat_scratch_init 0
		.amdhsa_user_sgpr_kernarg_preload_length 0
		.amdhsa_user_sgpr_kernarg_preload_offset 0
		.amdhsa_user_sgpr_private_segment_size 0
		.amdhsa_uses_dynamic_stack 0
		.amdhsa_system_sgpr_private_segment_wavefront_offset 0
		.amdhsa_system_sgpr_workgroup_id_x 1
		.amdhsa_system_sgpr_workgroup_id_y 0
		.amdhsa_system_sgpr_workgroup_id_z 0
		.amdhsa_system_sgpr_workgroup_info 0
		.amdhsa_system_vgpr_workitem_id 0
		.amdhsa_next_free_vgpr 1
		.amdhsa_next_free_sgpr 0
		.amdhsa_accum_offset 4
		.amdhsa_reserve_vcc 0
		.amdhsa_reserve_flat_scratch 0
		.amdhsa_float_round_mode_32 0
		.amdhsa_float_round_mode_16_64 0
		.amdhsa_float_denorm_mode_32 3
		.amdhsa_float_denorm_mode_16_64 3
		.amdhsa_dx10_clamp 1
		.amdhsa_ieee_mode 1
		.amdhsa_fp16_overflow 0
		.amdhsa_tg_split 0
		.amdhsa_exception_fp_ieee_invalid_op 0
		.amdhsa_exception_fp_denorm_src 0
		.amdhsa_exception_fp_ieee_div_zero 0
		.amdhsa_exception_fp_ieee_overflow 0
		.amdhsa_exception_fp_ieee_underflow 0
		.amdhsa_exception_fp_ieee_inexact 0
		.amdhsa_exception_int_div_zero 0
	.end_amdhsa_kernel
	.section	.text._ZN7rocprim17ROCPRIM_400000_NS6detail17trampoline_kernelINS0_14default_configENS1_20scan_config_selectorI11FixedVectorIiLj1EEEEZZNS1_9scan_implILNS1_25lookback_scan_determinismE0ELb0ELb0ES3_N6thrust23THRUST_200600_302600_NS6detail15normal_iteratorINSB_10device_ptrIS6_EEEESG_S6_NSB_4plusIvEES6_EEDaPvRmT3_T4_T5_mT6_P12ihipStream_tbENKUlT_T0_E_clISt17integral_constantIbLb1EESV_IbLb0EEEEDaSR_SS_EUlSR_E0_NS1_11comp_targetILNS1_3genE0ELNS1_11target_archE4294967295ELNS1_3gpuE0ELNS1_3repE0EEENS1_30default_config_static_selectorELNS0_4arch9wavefront6targetE1EEEvT1_,"axG",@progbits,_ZN7rocprim17ROCPRIM_400000_NS6detail17trampoline_kernelINS0_14default_configENS1_20scan_config_selectorI11FixedVectorIiLj1EEEEZZNS1_9scan_implILNS1_25lookback_scan_determinismE0ELb0ELb0ES3_N6thrust23THRUST_200600_302600_NS6detail15normal_iteratorINSB_10device_ptrIS6_EEEESG_S6_NSB_4plusIvEES6_EEDaPvRmT3_T4_T5_mT6_P12ihipStream_tbENKUlT_T0_E_clISt17integral_constantIbLb1EESV_IbLb0EEEEDaSR_SS_EUlSR_E0_NS1_11comp_targetILNS1_3genE0ELNS1_11target_archE4294967295ELNS1_3gpuE0ELNS1_3repE0EEENS1_30default_config_static_selectorELNS0_4arch9wavefront6targetE1EEEvT1_,comdat
.Lfunc_end6434:
	.size	_ZN7rocprim17ROCPRIM_400000_NS6detail17trampoline_kernelINS0_14default_configENS1_20scan_config_selectorI11FixedVectorIiLj1EEEEZZNS1_9scan_implILNS1_25lookback_scan_determinismE0ELb0ELb0ES3_N6thrust23THRUST_200600_302600_NS6detail15normal_iteratorINSB_10device_ptrIS6_EEEESG_S6_NSB_4plusIvEES6_EEDaPvRmT3_T4_T5_mT6_P12ihipStream_tbENKUlT_T0_E_clISt17integral_constantIbLb1EESV_IbLb0EEEEDaSR_SS_EUlSR_E0_NS1_11comp_targetILNS1_3genE0ELNS1_11target_archE4294967295ELNS1_3gpuE0ELNS1_3repE0EEENS1_30default_config_static_selectorELNS0_4arch9wavefront6targetE1EEEvT1_, .Lfunc_end6434-_ZN7rocprim17ROCPRIM_400000_NS6detail17trampoline_kernelINS0_14default_configENS1_20scan_config_selectorI11FixedVectorIiLj1EEEEZZNS1_9scan_implILNS1_25lookback_scan_determinismE0ELb0ELb0ES3_N6thrust23THRUST_200600_302600_NS6detail15normal_iteratorINSB_10device_ptrIS6_EEEESG_S6_NSB_4plusIvEES6_EEDaPvRmT3_T4_T5_mT6_P12ihipStream_tbENKUlT_T0_E_clISt17integral_constantIbLb1EESV_IbLb0EEEEDaSR_SS_EUlSR_E0_NS1_11comp_targetILNS1_3genE0ELNS1_11target_archE4294967295ELNS1_3gpuE0ELNS1_3repE0EEENS1_30default_config_static_selectorELNS0_4arch9wavefront6targetE1EEEvT1_
                                        ; -- End function
	.section	.AMDGPU.csdata,"",@progbits
; Kernel info:
; codeLenInByte = 0
; NumSgprs: 4
; NumVgprs: 0
; NumAgprs: 0
; TotalNumVgprs: 0
; ScratchSize: 0
; MemoryBound: 0
; FloatMode: 240
; IeeeMode: 1
; LDSByteSize: 0 bytes/workgroup (compile time only)
; SGPRBlocks: 0
; VGPRBlocks: 0
; NumSGPRsForWavesPerEU: 4
; NumVGPRsForWavesPerEU: 1
; AccumOffset: 4
; Occupancy: 8
; WaveLimiterHint : 0
; COMPUTE_PGM_RSRC2:SCRATCH_EN: 0
; COMPUTE_PGM_RSRC2:USER_SGPR: 6
; COMPUTE_PGM_RSRC2:TRAP_HANDLER: 0
; COMPUTE_PGM_RSRC2:TGID_X_EN: 1
; COMPUTE_PGM_RSRC2:TGID_Y_EN: 0
; COMPUTE_PGM_RSRC2:TGID_Z_EN: 0
; COMPUTE_PGM_RSRC2:TIDIG_COMP_CNT: 0
; COMPUTE_PGM_RSRC3_GFX90A:ACCUM_OFFSET: 0
; COMPUTE_PGM_RSRC3_GFX90A:TG_SPLIT: 0
	.section	.text._ZN7rocprim17ROCPRIM_400000_NS6detail17trampoline_kernelINS0_14default_configENS1_20scan_config_selectorI11FixedVectorIiLj1EEEEZZNS1_9scan_implILNS1_25lookback_scan_determinismE0ELb0ELb0ES3_N6thrust23THRUST_200600_302600_NS6detail15normal_iteratorINSB_10device_ptrIS6_EEEESG_S6_NSB_4plusIvEES6_EEDaPvRmT3_T4_T5_mT6_P12ihipStream_tbENKUlT_T0_E_clISt17integral_constantIbLb1EESV_IbLb0EEEEDaSR_SS_EUlSR_E0_NS1_11comp_targetILNS1_3genE5ELNS1_11target_archE942ELNS1_3gpuE9ELNS1_3repE0EEENS1_30default_config_static_selectorELNS0_4arch9wavefront6targetE1EEEvT1_,"axG",@progbits,_ZN7rocprim17ROCPRIM_400000_NS6detail17trampoline_kernelINS0_14default_configENS1_20scan_config_selectorI11FixedVectorIiLj1EEEEZZNS1_9scan_implILNS1_25lookback_scan_determinismE0ELb0ELb0ES3_N6thrust23THRUST_200600_302600_NS6detail15normal_iteratorINSB_10device_ptrIS6_EEEESG_S6_NSB_4plusIvEES6_EEDaPvRmT3_T4_T5_mT6_P12ihipStream_tbENKUlT_T0_E_clISt17integral_constantIbLb1EESV_IbLb0EEEEDaSR_SS_EUlSR_E0_NS1_11comp_targetILNS1_3genE5ELNS1_11target_archE942ELNS1_3gpuE9ELNS1_3repE0EEENS1_30default_config_static_selectorELNS0_4arch9wavefront6targetE1EEEvT1_,comdat
	.protected	_ZN7rocprim17ROCPRIM_400000_NS6detail17trampoline_kernelINS0_14default_configENS1_20scan_config_selectorI11FixedVectorIiLj1EEEEZZNS1_9scan_implILNS1_25lookback_scan_determinismE0ELb0ELb0ES3_N6thrust23THRUST_200600_302600_NS6detail15normal_iteratorINSB_10device_ptrIS6_EEEESG_S6_NSB_4plusIvEES6_EEDaPvRmT3_T4_T5_mT6_P12ihipStream_tbENKUlT_T0_E_clISt17integral_constantIbLb1EESV_IbLb0EEEEDaSR_SS_EUlSR_E0_NS1_11comp_targetILNS1_3genE5ELNS1_11target_archE942ELNS1_3gpuE9ELNS1_3repE0EEENS1_30default_config_static_selectorELNS0_4arch9wavefront6targetE1EEEvT1_ ; -- Begin function _ZN7rocprim17ROCPRIM_400000_NS6detail17trampoline_kernelINS0_14default_configENS1_20scan_config_selectorI11FixedVectorIiLj1EEEEZZNS1_9scan_implILNS1_25lookback_scan_determinismE0ELb0ELb0ES3_N6thrust23THRUST_200600_302600_NS6detail15normal_iteratorINSB_10device_ptrIS6_EEEESG_S6_NSB_4plusIvEES6_EEDaPvRmT3_T4_T5_mT6_P12ihipStream_tbENKUlT_T0_E_clISt17integral_constantIbLb1EESV_IbLb0EEEEDaSR_SS_EUlSR_E0_NS1_11comp_targetILNS1_3genE5ELNS1_11target_archE942ELNS1_3gpuE9ELNS1_3repE0EEENS1_30default_config_static_selectorELNS0_4arch9wavefront6targetE1EEEvT1_
	.globl	_ZN7rocprim17ROCPRIM_400000_NS6detail17trampoline_kernelINS0_14default_configENS1_20scan_config_selectorI11FixedVectorIiLj1EEEEZZNS1_9scan_implILNS1_25lookback_scan_determinismE0ELb0ELb0ES3_N6thrust23THRUST_200600_302600_NS6detail15normal_iteratorINSB_10device_ptrIS6_EEEESG_S6_NSB_4plusIvEES6_EEDaPvRmT3_T4_T5_mT6_P12ihipStream_tbENKUlT_T0_E_clISt17integral_constantIbLb1EESV_IbLb0EEEEDaSR_SS_EUlSR_E0_NS1_11comp_targetILNS1_3genE5ELNS1_11target_archE942ELNS1_3gpuE9ELNS1_3repE0EEENS1_30default_config_static_selectorELNS0_4arch9wavefront6targetE1EEEvT1_
	.p2align	8
	.type	_ZN7rocprim17ROCPRIM_400000_NS6detail17trampoline_kernelINS0_14default_configENS1_20scan_config_selectorI11FixedVectorIiLj1EEEEZZNS1_9scan_implILNS1_25lookback_scan_determinismE0ELb0ELb0ES3_N6thrust23THRUST_200600_302600_NS6detail15normal_iteratorINSB_10device_ptrIS6_EEEESG_S6_NSB_4plusIvEES6_EEDaPvRmT3_T4_T5_mT6_P12ihipStream_tbENKUlT_T0_E_clISt17integral_constantIbLb1EESV_IbLb0EEEEDaSR_SS_EUlSR_E0_NS1_11comp_targetILNS1_3genE5ELNS1_11target_archE942ELNS1_3gpuE9ELNS1_3repE0EEENS1_30default_config_static_selectorELNS0_4arch9wavefront6targetE1EEEvT1_,@function
_ZN7rocprim17ROCPRIM_400000_NS6detail17trampoline_kernelINS0_14default_configENS1_20scan_config_selectorI11FixedVectorIiLj1EEEEZZNS1_9scan_implILNS1_25lookback_scan_determinismE0ELb0ELb0ES3_N6thrust23THRUST_200600_302600_NS6detail15normal_iteratorINSB_10device_ptrIS6_EEEESG_S6_NSB_4plusIvEES6_EEDaPvRmT3_T4_T5_mT6_P12ihipStream_tbENKUlT_T0_E_clISt17integral_constantIbLb1EESV_IbLb0EEEEDaSR_SS_EUlSR_E0_NS1_11comp_targetILNS1_3genE5ELNS1_11target_archE942ELNS1_3gpuE9ELNS1_3repE0EEENS1_30default_config_static_selectorELNS0_4arch9wavefront6targetE1EEEvT1_: ; @_ZN7rocprim17ROCPRIM_400000_NS6detail17trampoline_kernelINS0_14default_configENS1_20scan_config_selectorI11FixedVectorIiLj1EEEEZZNS1_9scan_implILNS1_25lookback_scan_determinismE0ELb0ELb0ES3_N6thrust23THRUST_200600_302600_NS6detail15normal_iteratorINSB_10device_ptrIS6_EEEESG_S6_NSB_4plusIvEES6_EEDaPvRmT3_T4_T5_mT6_P12ihipStream_tbENKUlT_T0_E_clISt17integral_constantIbLb1EESV_IbLb0EEEEDaSR_SS_EUlSR_E0_NS1_11comp_targetILNS1_3genE5ELNS1_11target_archE942ELNS1_3gpuE9ELNS1_3repE0EEENS1_30default_config_static_selectorELNS0_4arch9wavefront6targetE1EEEvT1_
; %bb.0:
	.section	.rodata,"a",@progbits
	.p2align	6, 0x0
	.amdhsa_kernel _ZN7rocprim17ROCPRIM_400000_NS6detail17trampoline_kernelINS0_14default_configENS1_20scan_config_selectorI11FixedVectorIiLj1EEEEZZNS1_9scan_implILNS1_25lookback_scan_determinismE0ELb0ELb0ES3_N6thrust23THRUST_200600_302600_NS6detail15normal_iteratorINSB_10device_ptrIS6_EEEESG_S6_NSB_4plusIvEES6_EEDaPvRmT3_T4_T5_mT6_P12ihipStream_tbENKUlT_T0_E_clISt17integral_constantIbLb1EESV_IbLb0EEEEDaSR_SS_EUlSR_E0_NS1_11comp_targetILNS1_3genE5ELNS1_11target_archE942ELNS1_3gpuE9ELNS1_3repE0EEENS1_30default_config_static_selectorELNS0_4arch9wavefront6targetE1EEEvT1_
		.amdhsa_group_segment_fixed_size 0
		.amdhsa_private_segment_fixed_size 0
		.amdhsa_kernarg_size 32
		.amdhsa_user_sgpr_count 6
		.amdhsa_user_sgpr_private_segment_buffer 1
		.amdhsa_user_sgpr_dispatch_ptr 0
		.amdhsa_user_sgpr_queue_ptr 0
		.amdhsa_user_sgpr_kernarg_segment_ptr 1
		.amdhsa_user_sgpr_dispatch_id 0
		.amdhsa_user_sgpr_flat_scratch_init 0
		.amdhsa_user_sgpr_kernarg_preload_length 0
		.amdhsa_user_sgpr_kernarg_preload_offset 0
		.amdhsa_user_sgpr_private_segment_size 0
		.amdhsa_uses_dynamic_stack 0
		.amdhsa_system_sgpr_private_segment_wavefront_offset 0
		.amdhsa_system_sgpr_workgroup_id_x 1
		.amdhsa_system_sgpr_workgroup_id_y 0
		.amdhsa_system_sgpr_workgroup_id_z 0
		.amdhsa_system_sgpr_workgroup_info 0
		.amdhsa_system_vgpr_workitem_id 0
		.amdhsa_next_free_vgpr 1
		.amdhsa_next_free_sgpr 0
		.amdhsa_accum_offset 4
		.amdhsa_reserve_vcc 0
		.amdhsa_reserve_flat_scratch 0
		.amdhsa_float_round_mode_32 0
		.amdhsa_float_round_mode_16_64 0
		.amdhsa_float_denorm_mode_32 3
		.amdhsa_float_denorm_mode_16_64 3
		.amdhsa_dx10_clamp 1
		.amdhsa_ieee_mode 1
		.amdhsa_fp16_overflow 0
		.amdhsa_tg_split 0
		.amdhsa_exception_fp_ieee_invalid_op 0
		.amdhsa_exception_fp_denorm_src 0
		.amdhsa_exception_fp_ieee_div_zero 0
		.amdhsa_exception_fp_ieee_overflow 0
		.amdhsa_exception_fp_ieee_underflow 0
		.amdhsa_exception_fp_ieee_inexact 0
		.amdhsa_exception_int_div_zero 0
	.end_amdhsa_kernel
	.section	.text._ZN7rocprim17ROCPRIM_400000_NS6detail17trampoline_kernelINS0_14default_configENS1_20scan_config_selectorI11FixedVectorIiLj1EEEEZZNS1_9scan_implILNS1_25lookback_scan_determinismE0ELb0ELb0ES3_N6thrust23THRUST_200600_302600_NS6detail15normal_iteratorINSB_10device_ptrIS6_EEEESG_S6_NSB_4plusIvEES6_EEDaPvRmT3_T4_T5_mT6_P12ihipStream_tbENKUlT_T0_E_clISt17integral_constantIbLb1EESV_IbLb0EEEEDaSR_SS_EUlSR_E0_NS1_11comp_targetILNS1_3genE5ELNS1_11target_archE942ELNS1_3gpuE9ELNS1_3repE0EEENS1_30default_config_static_selectorELNS0_4arch9wavefront6targetE1EEEvT1_,"axG",@progbits,_ZN7rocprim17ROCPRIM_400000_NS6detail17trampoline_kernelINS0_14default_configENS1_20scan_config_selectorI11FixedVectorIiLj1EEEEZZNS1_9scan_implILNS1_25lookback_scan_determinismE0ELb0ELb0ES3_N6thrust23THRUST_200600_302600_NS6detail15normal_iteratorINSB_10device_ptrIS6_EEEESG_S6_NSB_4plusIvEES6_EEDaPvRmT3_T4_T5_mT6_P12ihipStream_tbENKUlT_T0_E_clISt17integral_constantIbLb1EESV_IbLb0EEEEDaSR_SS_EUlSR_E0_NS1_11comp_targetILNS1_3genE5ELNS1_11target_archE942ELNS1_3gpuE9ELNS1_3repE0EEENS1_30default_config_static_selectorELNS0_4arch9wavefront6targetE1EEEvT1_,comdat
.Lfunc_end6435:
	.size	_ZN7rocprim17ROCPRIM_400000_NS6detail17trampoline_kernelINS0_14default_configENS1_20scan_config_selectorI11FixedVectorIiLj1EEEEZZNS1_9scan_implILNS1_25lookback_scan_determinismE0ELb0ELb0ES3_N6thrust23THRUST_200600_302600_NS6detail15normal_iteratorINSB_10device_ptrIS6_EEEESG_S6_NSB_4plusIvEES6_EEDaPvRmT3_T4_T5_mT6_P12ihipStream_tbENKUlT_T0_E_clISt17integral_constantIbLb1EESV_IbLb0EEEEDaSR_SS_EUlSR_E0_NS1_11comp_targetILNS1_3genE5ELNS1_11target_archE942ELNS1_3gpuE9ELNS1_3repE0EEENS1_30default_config_static_selectorELNS0_4arch9wavefront6targetE1EEEvT1_, .Lfunc_end6435-_ZN7rocprim17ROCPRIM_400000_NS6detail17trampoline_kernelINS0_14default_configENS1_20scan_config_selectorI11FixedVectorIiLj1EEEEZZNS1_9scan_implILNS1_25lookback_scan_determinismE0ELb0ELb0ES3_N6thrust23THRUST_200600_302600_NS6detail15normal_iteratorINSB_10device_ptrIS6_EEEESG_S6_NSB_4plusIvEES6_EEDaPvRmT3_T4_T5_mT6_P12ihipStream_tbENKUlT_T0_E_clISt17integral_constantIbLb1EESV_IbLb0EEEEDaSR_SS_EUlSR_E0_NS1_11comp_targetILNS1_3genE5ELNS1_11target_archE942ELNS1_3gpuE9ELNS1_3repE0EEENS1_30default_config_static_selectorELNS0_4arch9wavefront6targetE1EEEvT1_
                                        ; -- End function
	.section	.AMDGPU.csdata,"",@progbits
; Kernel info:
; codeLenInByte = 0
; NumSgprs: 4
; NumVgprs: 0
; NumAgprs: 0
; TotalNumVgprs: 0
; ScratchSize: 0
; MemoryBound: 0
; FloatMode: 240
; IeeeMode: 1
; LDSByteSize: 0 bytes/workgroup (compile time only)
; SGPRBlocks: 0
; VGPRBlocks: 0
; NumSGPRsForWavesPerEU: 4
; NumVGPRsForWavesPerEU: 1
; AccumOffset: 4
; Occupancy: 8
; WaveLimiterHint : 0
; COMPUTE_PGM_RSRC2:SCRATCH_EN: 0
; COMPUTE_PGM_RSRC2:USER_SGPR: 6
; COMPUTE_PGM_RSRC2:TRAP_HANDLER: 0
; COMPUTE_PGM_RSRC2:TGID_X_EN: 1
; COMPUTE_PGM_RSRC2:TGID_Y_EN: 0
; COMPUTE_PGM_RSRC2:TGID_Z_EN: 0
; COMPUTE_PGM_RSRC2:TIDIG_COMP_CNT: 0
; COMPUTE_PGM_RSRC3_GFX90A:ACCUM_OFFSET: 0
; COMPUTE_PGM_RSRC3_GFX90A:TG_SPLIT: 0
	.section	.text._ZN7rocprim17ROCPRIM_400000_NS6detail17trampoline_kernelINS0_14default_configENS1_20scan_config_selectorI11FixedVectorIiLj1EEEEZZNS1_9scan_implILNS1_25lookback_scan_determinismE0ELb0ELb0ES3_N6thrust23THRUST_200600_302600_NS6detail15normal_iteratorINSB_10device_ptrIS6_EEEESG_S6_NSB_4plusIvEES6_EEDaPvRmT3_T4_T5_mT6_P12ihipStream_tbENKUlT_T0_E_clISt17integral_constantIbLb1EESV_IbLb0EEEEDaSR_SS_EUlSR_E0_NS1_11comp_targetILNS1_3genE4ELNS1_11target_archE910ELNS1_3gpuE8ELNS1_3repE0EEENS1_30default_config_static_selectorELNS0_4arch9wavefront6targetE1EEEvT1_,"axG",@progbits,_ZN7rocprim17ROCPRIM_400000_NS6detail17trampoline_kernelINS0_14default_configENS1_20scan_config_selectorI11FixedVectorIiLj1EEEEZZNS1_9scan_implILNS1_25lookback_scan_determinismE0ELb0ELb0ES3_N6thrust23THRUST_200600_302600_NS6detail15normal_iteratorINSB_10device_ptrIS6_EEEESG_S6_NSB_4plusIvEES6_EEDaPvRmT3_T4_T5_mT6_P12ihipStream_tbENKUlT_T0_E_clISt17integral_constantIbLb1EESV_IbLb0EEEEDaSR_SS_EUlSR_E0_NS1_11comp_targetILNS1_3genE4ELNS1_11target_archE910ELNS1_3gpuE8ELNS1_3repE0EEENS1_30default_config_static_selectorELNS0_4arch9wavefront6targetE1EEEvT1_,comdat
	.protected	_ZN7rocprim17ROCPRIM_400000_NS6detail17trampoline_kernelINS0_14default_configENS1_20scan_config_selectorI11FixedVectorIiLj1EEEEZZNS1_9scan_implILNS1_25lookback_scan_determinismE0ELb0ELb0ES3_N6thrust23THRUST_200600_302600_NS6detail15normal_iteratorINSB_10device_ptrIS6_EEEESG_S6_NSB_4plusIvEES6_EEDaPvRmT3_T4_T5_mT6_P12ihipStream_tbENKUlT_T0_E_clISt17integral_constantIbLb1EESV_IbLb0EEEEDaSR_SS_EUlSR_E0_NS1_11comp_targetILNS1_3genE4ELNS1_11target_archE910ELNS1_3gpuE8ELNS1_3repE0EEENS1_30default_config_static_selectorELNS0_4arch9wavefront6targetE1EEEvT1_ ; -- Begin function _ZN7rocprim17ROCPRIM_400000_NS6detail17trampoline_kernelINS0_14default_configENS1_20scan_config_selectorI11FixedVectorIiLj1EEEEZZNS1_9scan_implILNS1_25lookback_scan_determinismE0ELb0ELb0ES3_N6thrust23THRUST_200600_302600_NS6detail15normal_iteratorINSB_10device_ptrIS6_EEEESG_S6_NSB_4plusIvEES6_EEDaPvRmT3_T4_T5_mT6_P12ihipStream_tbENKUlT_T0_E_clISt17integral_constantIbLb1EESV_IbLb0EEEEDaSR_SS_EUlSR_E0_NS1_11comp_targetILNS1_3genE4ELNS1_11target_archE910ELNS1_3gpuE8ELNS1_3repE0EEENS1_30default_config_static_selectorELNS0_4arch9wavefront6targetE1EEEvT1_
	.globl	_ZN7rocprim17ROCPRIM_400000_NS6detail17trampoline_kernelINS0_14default_configENS1_20scan_config_selectorI11FixedVectorIiLj1EEEEZZNS1_9scan_implILNS1_25lookback_scan_determinismE0ELb0ELb0ES3_N6thrust23THRUST_200600_302600_NS6detail15normal_iteratorINSB_10device_ptrIS6_EEEESG_S6_NSB_4plusIvEES6_EEDaPvRmT3_T4_T5_mT6_P12ihipStream_tbENKUlT_T0_E_clISt17integral_constantIbLb1EESV_IbLb0EEEEDaSR_SS_EUlSR_E0_NS1_11comp_targetILNS1_3genE4ELNS1_11target_archE910ELNS1_3gpuE8ELNS1_3repE0EEENS1_30default_config_static_selectorELNS0_4arch9wavefront6targetE1EEEvT1_
	.p2align	8
	.type	_ZN7rocprim17ROCPRIM_400000_NS6detail17trampoline_kernelINS0_14default_configENS1_20scan_config_selectorI11FixedVectorIiLj1EEEEZZNS1_9scan_implILNS1_25lookback_scan_determinismE0ELb0ELb0ES3_N6thrust23THRUST_200600_302600_NS6detail15normal_iteratorINSB_10device_ptrIS6_EEEESG_S6_NSB_4plusIvEES6_EEDaPvRmT3_T4_T5_mT6_P12ihipStream_tbENKUlT_T0_E_clISt17integral_constantIbLb1EESV_IbLb0EEEEDaSR_SS_EUlSR_E0_NS1_11comp_targetILNS1_3genE4ELNS1_11target_archE910ELNS1_3gpuE8ELNS1_3repE0EEENS1_30default_config_static_selectorELNS0_4arch9wavefront6targetE1EEEvT1_,@function
_ZN7rocprim17ROCPRIM_400000_NS6detail17trampoline_kernelINS0_14default_configENS1_20scan_config_selectorI11FixedVectorIiLj1EEEEZZNS1_9scan_implILNS1_25lookback_scan_determinismE0ELb0ELb0ES3_N6thrust23THRUST_200600_302600_NS6detail15normal_iteratorINSB_10device_ptrIS6_EEEESG_S6_NSB_4plusIvEES6_EEDaPvRmT3_T4_T5_mT6_P12ihipStream_tbENKUlT_T0_E_clISt17integral_constantIbLb1EESV_IbLb0EEEEDaSR_SS_EUlSR_E0_NS1_11comp_targetILNS1_3genE4ELNS1_11target_archE910ELNS1_3gpuE8ELNS1_3repE0EEENS1_30default_config_static_selectorELNS0_4arch9wavefront6targetE1EEEvT1_: ; @_ZN7rocprim17ROCPRIM_400000_NS6detail17trampoline_kernelINS0_14default_configENS1_20scan_config_selectorI11FixedVectorIiLj1EEEEZZNS1_9scan_implILNS1_25lookback_scan_determinismE0ELb0ELb0ES3_N6thrust23THRUST_200600_302600_NS6detail15normal_iteratorINSB_10device_ptrIS6_EEEESG_S6_NSB_4plusIvEES6_EEDaPvRmT3_T4_T5_mT6_P12ihipStream_tbENKUlT_T0_E_clISt17integral_constantIbLb1EESV_IbLb0EEEEDaSR_SS_EUlSR_E0_NS1_11comp_targetILNS1_3genE4ELNS1_11target_archE910ELNS1_3gpuE8ELNS1_3repE0EEENS1_30default_config_static_selectorELNS0_4arch9wavefront6targetE1EEEvT1_
; %bb.0:
	s_load_dwordx4 s[20:23], s[4:5], 0x0
	v_lshlrev_b32_e32 v20, 2, v0
	s_waitcnt lgkmcnt(0)
	s_load_dword s23, s[20:21], 0x0
	v_cmp_gt_u32_e32 vcc, s22, v0
	s_waitcnt lgkmcnt(0)
	v_mov_b32_e32 v1, s23
	s_and_saveexec_b64 s[0:1], vcc
	s_cbranch_execz .LBB6436_2
; %bb.1:
	global_load_dword v1, v20, s[20:21]
.LBB6436_2:
	s_or_b64 exec, exec, s[0:1]
	v_or_b32_e32 v2, 0x80, v0
	v_cmp_gt_u32_e64 s[0:1], s22, v2
	v_mov_b32_e32 v2, s23
	s_and_saveexec_b64 s[2:3], s[0:1]
	s_cbranch_execz .LBB6436_4
; %bb.3:
	global_load_dword v2, v20, s[20:21] offset:512
.LBB6436_4:
	s_or_b64 exec, exec, s[2:3]
	v_or_b32_e32 v3, 0x100, v0
	v_cmp_gt_u32_e64 s[2:3], s22, v3
	v_mov_b32_e32 v3, s23
	s_and_saveexec_b64 s[6:7], s[2:3]
	s_cbranch_execz .LBB6436_6
; %bb.5:
	global_load_dword v3, v20, s[20:21] offset:1024
.LBB6436_6:
	;; [unrolled: 9-line block ×7, first 2 shown]
	s_or_b64 exec, exec, s[14:15]
	v_or_b32_e32 v10, 0x400, v0
	v_cmp_gt_u32_e64 s[14:15], s22, v10
	v_mov_b32_e32 v9, s23
	s_and_saveexec_b64 s[16:17], s[14:15]
	s_cbranch_execz .LBB6436_18
; %bb.17:
	v_lshlrev_b32_e32 v9, 2, v10
	global_load_dword v9, v9, s[20:21]
.LBB6436_18:
	s_or_b64 exec, exec, s[16:17]
	v_or_b32_e32 v11, 0x480, v0
	v_cmp_gt_u32_e64 s[16:17], s22, v11
	v_mov_b32_e32 v10, s23
	s_and_saveexec_b64 s[22:23], s[16:17]
	s_cbranch_execz .LBB6436_20
; %bb.19:
	v_lshlrev_b32_e32 v10, 2, v11
	global_load_dword v10, v10, s[20:21]
.LBB6436_20:
	s_or_b64 exec, exec, s[22:23]
	s_waitcnt vmcnt(0)
	ds_write2st64_b32 v20, v1, v2 offset1:2
	ds_write2st64_b32 v20, v3, v4 offset0:4 offset1:6
	ds_write2st64_b32 v20, v5, v6 offset0:8 offset1:10
	;; [unrolled: 1-line block ×4, first 2 shown]
	v_mad_u32_u24 v1, v0, 36, v20
	s_waitcnt lgkmcnt(0)
	s_barrier
	ds_read2_b64 v[6:9], v1 offset1:1
	ds_read2_b64 v[2:5], v1 offset0:2 offset1:3
	ds_read_b64 v[18:19], v1 offset:32
	v_lshrrev_b32_e32 v21, 3, v0
	v_and_b32_e32 v21, 12, v21
	s_waitcnt lgkmcnt(2)
	v_add_u32_e32 v1, v7, v6
	v_add_u32_e32 v14, v1, v8
	;; [unrolled: 1-line block ×3, first 2 shown]
	s_waitcnt lgkmcnt(1)
	v_add_u32_e32 v10, v15, v2
	v_add_u32_e32 v11, v10, v3
	;; [unrolled: 1-line block ×4, first 2 shown]
	s_waitcnt lgkmcnt(0)
	v_add_u32_e32 v16, v13, v18
	v_add_u32_e32 v17, v16, v19
	;; [unrolled: 1-line block ×3, first 2 shown]
	v_cmp_gt_u32_e64 s[20:21], 64, v0
	s_barrier
	ds_write_b32 v21, v17
	s_waitcnt lgkmcnt(0)
	s_barrier
	s_and_saveexec_b64 s[22:23], s[20:21]
	s_cbranch_execz .LBB6436_22
; %bb.21:
	v_lshlrev_b32_e32 v21, 1, v0
	v_lshrrev_b32_e32 v22, 4, v0
	v_add_lshl_u32 v21, v22, v21, 2
	ds_read2_b32 v[22:23], v21 offset1:1
	v_mbcnt_lo_u32_b32 v24, -1, 0
	v_mbcnt_hi_u32_b32 v24, -1, v24
	v_and_b32_e32 v25, 15, v24
	v_cmp_ne_u32_e64 s[20:21], 0, v25
	s_waitcnt lgkmcnt(0)
	v_add_u32_e32 v23, v23, v22
	; wave barrier
	s_nop 1
	v_mov_b32_dpp v26, v23 row_shr:1 row_mask:0xf bank_mask:0xf
	v_cndmask_b32_e64 v26, 0, v26, s[20:21]
	v_add_u32_e32 v23, v26, v23
	v_cmp_lt_u32_e64 s[20:21], 1, v25
	s_nop 0
	v_mov_b32_dpp v26, v23 row_shr:2 row_mask:0xf bank_mask:0xf
	v_cndmask_b32_e64 v26, 0, v26, s[20:21]
	v_add_u32_e32 v23, v23, v26
	v_cmp_lt_u32_e64 s[20:21], 3, v25
	;; [unrolled: 5-line block ×3, first 2 shown]
	s_nop 0
	v_mov_b32_dpp v26, v23 row_shr:8 row_mask:0xf bank_mask:0xf
	v_cndmask_b32_e64 v25, 0, v26, s[20:21]
	v_add_u32_e32 v23, v23, v25
	v_bfe_i32 v26, v24, 4, 1
	v_cmp_lt_u32_e64 s[20:21], 31, v24
	v_mov_b32_dpp v25, v23 row_bcast:15 row_mask:0xf bank_mask:0xf
	v_and_b32_e32 v25, v26, v25
	v_add_u32_e32 v23, v23, v25
	v_and_b32_e32 v26, 64, v24
	s_nop 0
	v_mov_b32_dpp v25, v23 row_bcast:31 row_mask:0xf bank_mask:0xf
	v_cndmask_b32_e64 v25, 0, v25, s[20:21]
	v_add_u32_e32 v23, v23, v25
	v_add_u32_e32 v25, -1, v24
	v_cmp_lt_i32_e64 s[20:21], v25, v26
	v_cndmask_b32_e64 v24, v25, v24, s[20:21]
	v_lshlrev_b32_e32 v24, 2, v24
	ds_bpermute_b32 v23, v24, v23
	v_cmp_eq_u32_e64 s[20:21], 0, v0
	s_waitcnt lgkmcnt(0)
	v_add_u32_e32 v22, v23, v22
	v_cndmask_b32_e64 v22, v22, v17, s[20:21]
	ds_write_b32 v21, v22
	; wave barrier
	ds_read_b32 v23, v21 offset:4
	s_waitcnt lgkmcnt(0)
	v_add_u32_e32 v22, v23, v22
	ds_write_b32 v21, v22 offset:4
.LBB6436_22:
	s_or_b64 exec, exec, s[22:23]
	s_load_dwordx2 s[20:21], s[4:5], 0x18
	v_cmp_ne_u32_e64 s[4:5], 0, v0
	v_mov_b32_e32 v22, v17
	s_waitcnt lgkmcnt(0)
	s_barrier
	s_and_saveexec_b64 s[22:23], s[4:5]
	s_cbranch_execz .LBB6436_24
; %bb.23:
	v_add_u32_e32 v21, -1, v0
	v_lshrrev_b32_e32 v22, 5, v21
	v_add_lshl_u32 v21, v22, v21, 2
	ds_read_b32 v22, v21
.LBB6436_24:
	s_or_b64 exec, exec, s[22:23]
	v_mul_u32_u24_e32 v21, 36, v0
	v_mov_b32_e32 v0, v6
	s_and_saveexec_b64 s[22:23], s[4:5]
	s_cbranch_execz .LBB6436_26
; %bb.25:
	s_waitcnt lgkmcnt(0)
	v_add_u32_e32 v0, v22, v6
	v_add_u32_e32 v1, v0, v7
	;; [unrolled: 1-line block ×10, first 2 shown]
	;;#ASMSTART
	;;#ASMEND
.LBB6436_26:
	s_or_b64 exec, exec, s[22:23]
	v_add_u32_e32 v2, v20, v21
	s_waitcnt lgkmcnt(0)
	s_barrier
	ds_write2_b64 v2, v[0:1], v[14:15] offset1:1
	ds_write2_b64 v2, v[10:11], v[12:13] offset0:2 offset1:3
	ds_write_b64 v2, v[16:17] offset:32
	s_waitcnt lgkmcnt(0)
	s_barrier
	ds_read2st64_b32 v[8:9], v20 offset0:2 offset1:4
	ds_read2st64_b32 v[6:7], v20 offset0:6 offset1:8
	ds_read2st64_b32 v[4:5], v20 offset0:10 offset1:12
	ds_read2st64_b32 v[2:3], v20 offset0:14 offset1:16
	ds_read_b32 v10, v20 offset:4608
	v_mov_b32_e32 v1, s21
	v_add_co_u32_e64 v0, s[4:5], s20, v20
	v_addc_co_u32_e64 v1, s[4:5], 0, v1, s[4:5]
	s_and_saveexec_b64 s[4:5], vcc
	s_cbranch_execnz .LBB6436_37
; %bb.27:
	s_or_b64 exec, exec, s[4:5]
	s_and_saveexec_b64 s[4:5], s[0:1]
	s_cbranch_execnz .LBB6436_38
.LBB6436_28:
	s_or_b64 exec, exec, s[4:5]
	s_and_saveexec_b64 s[0:1], s[2:3]
	s_cbranch_execnz .LBB6436_39
.LBB6436_29:
	s_or_b64 exec, exec, s[0:1]
	s_and_saveexec_b64 s[0:1], s[18:19]
	s_cbranch_execnz .LBB6436_40
.LBB6436_30:
	s_or_b64 exec, exec, s[0:1]
	s_and_saveexec_b64 s[0:1], s[6:7]
	s_cbranch_execnz .LBB6436_41
.LBB6436_31:
	s_or_b64 exec, exec, s[0:1]
	s_and_saveexec_b64 s[0:1], s[8:9]
	s_cbranch_execnz .LBB6436_42
.LBB6436_32:
	s_or_b64 exec, exec, s[0:1]
	s_and_saveexec_b64 s[0:1], s[10:11]
	s_cbranch_execnz .LBB6436_43
.LBB6436_33:
	s_or_b64 exec, exec, s[0:1]
	s_and_saveexec_b64 s[0:1], s[12:13]
	s_cbranch_execnz .LBB6436_44
.LBB6436_34:
	s_or_b64 exec, exec, s[0:1]
	s_and_saveexec_b64 s[0:1], s[14:15]
	s_cbranch_execnz .LBB6436_45
.LBB6436_35:
	s_or_b64 exec, exec, s[0:1]
	s_and_saveexec_b64 s[0:1], s[16:17]
	s_cbranch_execnz .LBB6436_46
.LBB6436_36:
	s_endpgm
.LBB6436_37:
	ds_read_b32 v11, v20
	s_waitcnt lgkmcnt(0)
	global_store_dword v[0:1], v11, off
	s_or_b64 exec, exec, s[4:5]
	s_and_saveexec_b64 s[4:5], s[0:1]
	s_cbranch_execz .LBB6436_28
.LBB6436_38:
	s_waitcnt lgkmcnt(4)
	global_store_dword v[0:1], v8, off offset:512
	s_or_b64 exec, exec, s[4:5]
	s_and_saveexec_b64 s[0:1], s[2:3]
	s_cbranch_execz .LBB6436_29
.LBB6436_39:
	s_waitcnt lgkmcnt(4)
	global_store_dword v[0:1], v9, off offset:1024
	s_or_b64 exec, exec, s[0:1]
	s_and_saveexec_b64 s[0:1], s[18:19]
	s_cbranch_execz .LBB6436_30
.LBB6436_40:
	s_waitcnt lgkmcnt(3)
	global_store_dword v[0:1], v6, off offset:1536
	s_or_b64 exec, exec, s[0:1]
	s_and_saveexec_b64 s[0:1], s[6:7]
	s_cbranch_execz .LBB6436_31
.LBB6436_41:
	s_waitcnt lgkmcnt(3)
	global_store_dword v[0:1], v7, off offset:2048
	s_or_b64 exec, exec, s[0:1]
	s_and_saveexec_b64 s[0:1], s[8:9]
	s_cbranch_execz .LBB6436_32
.LBB6436_42:
	s_waitcnt lgkmcnt(2)
	global_store_dword v[0:1], v4, off offset:2560
	s_or_b64 exec, exec, s[0:1]
	s_and_saveexec_b64 s[0:1], s[10:11]
	s_cbranch_execz .LBB6436_33
.LBB6436_43:
	s_waitcnt lgkmcnt(2)
	global_store_dword v[0:1], v5, off offset:3072
	s_or_b64 exec, exec, s[0:1]
	s_and_saveexec_b64 s[0:1], s[12:13]
	s_cbranch_execz .LBB6436_34
.LBB6436_44:
	s_waitcnt lgkmcnt(1)
	global_store_dword v[0:1], v2, off offset:3584
	s_or_b64 exec, exec, s[0:1]
	s_and_saveexec_b64 s[0:1], s[14:15]
	s_cbranch_execz .LBB6436_35
.LBB6436_45:
	s_waitcnt lgkmcnt(2)
	v_add_co_u32_e32 v4, vcc, 0x1000, v0
	v_addc_co_u32_e32 v5, vcc, 0, v1, vcc
	s_waitcnt lgkmcnt(1)
	global_store_dword v[4:5], v3, off
	s_or_b64 exec, exec, s[0:1]
	s_and_saveexec_b64 s[0:1], s[16:17]
	s_cbranch_execz .LBB6436_36
.LBB6436_46:
	v_add_co_u32_e32 v0, vcc, 0x1000, v0
	v_addc_co_u32_e32 v1, vcc, 0, v1, vcc
	s_waitcnt lgkmcnt(0)
	global_store_dword v[0:1], v10, off offset:512
	s_endpgm
	.section	.rodata,"a",@progbits
	.p2align	6, 0x0
	.amdhsa_kernel _ZN7rocprim17ROCPRIM_400000_NS6detail17trampoline_kernelINS0_14default_configENS1_20scan_config_selectorI11FixedVectorIiLj1EEEEZZNS1_9scan_implILNS1_25lookback_scan_determinismE0ELb0ELb0ES3_N6thrust23THRUST_200600_302600_NS6detail15normal_iteratorINSB_10device_ptrIS6_EEEESG_S6_NSB_4plusIvEES6_EEDaPvRmT3_T4_T5_mT6_P12ihipStream_tbENKUlT_T0_E_clISt17integral_constantIbLb1EESV_IbLb0EEEEDaSR_SS_EUlSR_E0_NS1_11comp_targetILNS1_3genE4ELNS1_11target_archE910ELNS1_3gpuE8ELNS1_3repE0EEENS1_30default_config_static_selectorELNS0_4arch9wavefront6targetE1EEEvT1_
		.amdhsa_group_segment_fixed_size 5120
		.amdhsa_private_segment_fixed_size 0
		.amdhsa_kernarg_size 32
		.amdhsa_user_sgpr_count 6
		.amdhsa_user_sgpr_private_segment_buffer 1
		.amdhsa_user_sgpr_dispatch_ptr 0
		.amdhsa_user_sgpr_queue_ptr 0
		.amdhsa_user_sgpr_kernarg_segment_ptr 1
		.amdhsa_user_sgpr_dispatch_id 0
		.amdhsa_user_sgpr_flat_scratch_init 0
		.amdhsa_user_sgpr_kernarg_preload_length 0
		.amdhsa_user_sgpr_kernarg_preload_offset 0
		.amdhsa_user_sgpr_private_segment_size 0
		.amdhsa_uses_dynamic_stack 0
		.amdhsa_system_sgpr_private_segment_wavefront_offset 0
		.amdhsa_system_sgpr_workgroup_id_x 1
		.amdhsa_system_sgpr_workgroup_id_y 0
		.amdhsa_system_sgpr_workgroup_id_z 0
		.amdhsa_system_sgpr_workgroup_info 0
		.amdhsa_system_vgpr_workitem_id 0
		.amdhsa_next_free_vgpr 27
		.amdhsa_next_free_sgpr 24
		.amdhsa_accum_offset 28
		.amdhsa_reserve_vcc 1
		.amdhsa_reserve_flat_scratch 0
		.amdhsa_float_round_mode_32 0
		.amdhsa_float_round_mode_16_64 0
		.amdhsa_float_denorm_mode_32 3
		.amdhsa_float_denorm_mode_16_64 3
		.amdhsa_dx10_clamp 1
		.amdhsa_ieee_mode 1
		.amdhsa_fp16_overflow 0
		.amdhsa_tg_split 0
		.amdhsa_exception_fp_ieee_invalid_op 0
		.amdhsa_exception_fp_denorm_src 0
		.amdhsa_exception_fp_ieee_div_zero 0
		.amdhsa_exception_fp_ieee_overflow 0
		.amdhsa_exception_fp_ieee_underflow 0
		.amdhsa_exception_fp_ieee_inexact 0
		.amdhsa_exception_int_div_zero 0
	.end_amdhsa_kernel
	.section	.text._ZN7rocprim17ROCPRIM_400000_NS6detail17trampoline_kernelINS0_14default_configENS1_20scan_config_selectorI11FixedVectorIiLj1EEEEZZNS1_9scan_implILNS1_25lookback_scan_determinismE0ELb0ELb0ES3_N6thrust23THRUST_200600_302600_NS6detail15normal_iteratorINSB_10device_ptrIS6_EEEESG_S6_NSB_4plusIvEES6_EEDaPvRmT3_T4_T5_mT6_P12ihipStream_tbENKUlT_T0_E_clISt17integral_constantIbLb1EESV_IbLb0EEEEDaSR_SS_EUlSR_E0_NS1_11comp_targetILNS1_3genE4ELNS1_11target_archE910ELNS1_3gpuE8ELNS1_3repE0EEENS1_30default_config_static_selectorELNS0_4arch9wavefront6targetE1EEEvT1_,"axG",@progbits,_ZN7rocprim17ROCPRIM_400000_NS6detail17trampoline_kernelINS0_14default_configENS1_20scan_config_selectorI11FixedVectorIiLj1EEEEZZNS1_9scan_implILNS1_25lookback_scan_determinismE0ELb0ELb0ES3_N6thrust23THRUST_200600_302600_NS6detail15normal_iteratorINSB_10device_ptrIS6_EEEESG_S6_NSB_4plusIvEES6_EEDaPvRmT3_T4_T5_mT6_P12ihipStream_tbENKUlT_T0_E_clISt17integral_constantIbLb1EESV_IbLb0EEEEDaSR_SS_EUlSR_E0_NS1_11comp_targetILNS1_3genE4ELNS1_11target_archE910ELNS1_3gpuE8ELNS1_3repE0EEENS1_30default_config_static_selectorELNS0_4arch9wavefront6targetE1EEEvT1_,comdat
.Lfunc_end6436:
	.size	_ZN7rocprim17ROCPRIM_400000_NS6detail17trampoline_kernelINS0_14default_configENS1_20scan_config_selectorI11FixedVectorIiLj1EEEEZZNS1_9scan_implILNS1_25lookback_scan_determinismE0ELb0ELb0ES3_N6thrust23THRUST_200600_302600_NS6detail15normal_iteratorINSB_10device_ptrIS6_EEEESG_S6_NSB_4plusIvEES6_EEDaPvRmT3_T4_T5_mT6_P12ihipStream_tbENKUlT_T0_E_clISt17integral_constantIbLb1EESV_IbLb0EEEEDaSR_SS_EUlSR_E0_NS1_11comp_targetILNS1_3genE4ELNS1_11target_archE910ELNS1_3gpuE8ELNS1_3repE0EEENS1_30default_config_static_selectorELNS0_4arch9wavefront6targetE1EEEvT1_, .Lfunc_end6436-_ZN7rocprim17ROCPRIM_400000_NS6detail17trampoline_kernelINS0_14default_configENS1_20scan_config_selectorI11FixedVectorIiLj1EEEEZZNS1_9scan_implILNS1_25lookback_scan_determinismE0ELb0ELb0ES3_N6thrust23THRUST_200600_302600_NS6detail15normal_iteratorINSB_10device_ptrIS6_EEEESG_S6_NSB_4plusIvEES6_EEDaPvRmT3_T4_T5_mT6_P12ihipStream_tbENKUlT_T0_E_clISt17integral_constantIbLb1EESV_IbLb0EEEEDaSR_SS_EUlSR_E0_NS1_11comp_targetILNS1_3genE4ELNS1_11target_archE910ELNS1_3gpuE8ELNS1_3repE0EEENS1_30default_config_static_selectorELNS0_4arch9wavefront6targetE1EEEvT1_
                                        ; -- End function
	.section	.AMDGPU.csdata,"",@progbits
; Kernel info:
; codeLenInByte = 1556
; NumSgprs: 28
; NumVgprs: 27
; NumAgprs: 0
; TotalNumVgprs: 27
; ScratchSize: 0
; MemoryBound: 0
; FloatMode: 240
; IeeeMode: 1
; LDSByteSize: 5120 bytes/workgroup (compile time only)
; SGPRBlocks: 3
; VGPRBlocks: 3
; NumSGPRsForWavesPerEU: 28
; NumVGPRsForWavesPerEU: 27
; AccumOffset: 28
; Occupancy: 6
; WaveLimiterHint : 0
; COMPUTE_PGM_RSRC2:SCRATCH_EN: 0
; COMPUTE_PGM_RSRC2:USER_SGPR: 6
; COMPUTE_PGM_RSRC2:TRAP_HANDLER: 0
; COMPUTE_PGM_RSRC2:TGID_X_EN: 1
; COMPUTE_PGM_RSRC2:TGID_Y_EN: 0
; COMPUTE_PGM_RSRC2:TGID_Z_EN: 0
; COMPUTE_PGM_RSRC2:TIDIG_COMP_CNT: 0
; COMPUTE_PGM_RSRC3_GFX90A:ACCUM_OFFSET: 6
; COMPUTE_PGM_RSRC3_GFX90A:TG_SPLIT: 0
	.section	.text._ZN7rocprim17ROCPRIM_400000_NS6detail17trampoline_kernelINS0_14default_configENS1_20scan_config_selectorI11FixedVectorIiLj1EEEEZZNS1_9scan_implILNS1_25lookback_scan_determinismE0ELb0ELb0ES3_N6thrust23THRUST_200600_302600_NS6detail15normal_iteratorINSB_10device_ptrIS6_EEEESG_S6_NSB_4plusIvEES6_EEDaPvRmT3_T4_T5_mT6_P12ihipStream_tbENKUlT_T0_E_clISt17integral_constantIbLb1EESV_IbLb0EEEEDaSR_SS_EUlSR_E0_NS1_11comp_targetILNS1_3genE3ELNS1_11target_archE908ELNS1_3gpuE7ELNS1_3repE0EEENS1_30default_config_static_selectorELNS0_4arch9wavefront6targetE1EEEvT1_,"axG",@progbits,_ZN7rocprim17ROCPRIM_400000_NS6detail17trampoline_kernelINS0_14default_configENS1_20scan_config_selectorI11FixedVectorIiLj1EEEEZZNS1_9scan_implILNS1_25lookback_scan_determinismE0ELb0ELb0ES3_N6thrust23THRUST_200600_302600_NS6detail15normal_iteratorINSB_10device_ptrIS6_EEEESG_S6_NSB_4plusIvEES6_EEDaPvRmT3_T4_T5_mT6_P12ihipStream_tbENKUlT_T0_E_clISt17integral_constantIbLb1EESV_IbLb0EEEEDaSR_SS_EUlSR_E0_NS1_11comp_targetILNS1_3genE3ELNS1_11target_archE908ELNS1_3gpuE7ELNS1_3repE0EEENS1_30default_config_static_selectorELNS0_4arch9wavefront6targetE1EEEvT1_,comdat
	.protected	_ZN7rocprim17ROCPRIM_400000_NS6detail17trampoline_kernelINS0_14default_configENS1_20scan_config_selectorI11FixedVectorIiLj1EEEEZZNS1_9scan_implILNS1_25lookback_scan_determinismE0ELb0ELb0ES3_N6thrust23THRUST_200600_302600_NS6detail15normal_iteratorINSB_10device_ptrIS6_EEEESG_S6_NSB_4plusIvEES6_EEDaPvRmT3_T4_T5_mT6_P12ihipStream_tbENKUlT_T0_E_clISt17integral_constantIbLb1EESV_IbLb0EEEEDaSR_SS_EUlSR_E0_NS1_11comp_targetILNS1_3genE3ELNS1_11target_archE908ELNS1_3gpuE7ELNS1_3repE0EEENS1_30default_config_static_selectorELNS0_4arch9wavefront6targetE1EEEvT1_ ; -- Begin function _ZN7rocprim17ROCPRIM_400000_NS6detail17trampoline_kernelINS0_14default_configENS1_20scan_config_selectorI11FixedVectorIiLj1EEEEZZNS1_9scan_implILNS1_25lookback_scan_determinismE0ELb0ELb0ES3_N6thrust23THRUST_200600_302600_NS6detail15normal_iteratorINSB_10device_ptrIS6_EEEESG_S6_NSB_4plusIvEES6_EEDaPvRmT3_T4_T5_mT6_P12ihipStream_tbENKUlT_T0_E_clISt17integral_constantIbLb1EESV_IbLb0EEEEDaSR_SS_EUlSR_E0_NS1_11comp_targetILNS1_3genE3ELNS1_11target_archE908ELNS1_3gpuE7ELNS1_3repE0EEENS1_30default_config_static_selectorELNS0_4arch9wavefront6targetE1EEEvT1_
	.globl	_ZN7rocprim17ROCPRIM_400000_NS6detail17trampoline_kernelINS0_14default_configENS1_20scan_config_selectorI11FixedVectorIiLj1EEEEZZNS1_9scan_implILNS1_25lookback_scan_determinismE0ELb0ELb0ES3_N6thrust23THRUST_200600_302600_NS6detail15normal_iteratorINSB_10device_ptrIS6_EEEESG_S6_NSB_4plusIvEES6_EEDaPvRmT3_T4_T5_mT6_P12ihipStream_tbENKUlT_T0_E_clISt17integral_constantIbLb1EESV_IbLb0EEEEDaSR_SS_EUlSR_E0_NS1_11comp_targetILNS1_3genE3ELNS1_11target_archE908ELNS1_3gpuE7ELNS1_3repE0EEENS1_30default_config_static_selectorELNS0_4arch9wavefront6targetE1EEEvT1_
	.p2align	8
	.type	_ZN7rocprim17ROCPRIM_400000_NS6detail17trampoline_kernelINS0_14default_configENS1_20scan_config_selectorI11FixedVectorIiLj1EEEEZZNS1_9scan_implILNS1_25lookback_scan_determinismE0ELb0ELb0ES3_N6thrust23THRUST_200600_302600_NS6detail15normal_iteratorINSB_10device_ptrIS6_EEEESG_S6_NSB_4plusIvEES6_EEDaPvRmT3_T4_T5_mT6_P12ihipStream_tbENKUlT_T0_E_clISt17integral_constantIbLb1EESV_IbLb0EEEEDaSR_SS_EUlSR_E0_NS1_11comp_targetILNS1_3genE3ELNS1_11target_archE908ELNS1_3gpuE7ELNS1_3repE0EEENS1_30default_config_static_selectorELNS0_4arch9wavefront6targetE1EEEvT1_,@function
_ZN7rocprim17ROCPRIM_400000_NS6detail17trampoline_kernelINS0_14default_configENS1_20scan_config_selectorI11FixedVectorIiLj1EEEEZZNS1_9scan_implILNS1_25lookback_scan_determinismE0ELb0ELb0ES3_N6thrust23THRUST_200600_302600_NS6detail15normal_iteratorINSB_10device_ptrIS6_EEEESG_S6_NSB_4plusIvEES6_EEDaPvRmT3_T4_T5_mT6_P12ihipStream_tbENKUlT_T0_E_clISt17integral_constantIbLb1EESV_IbLb0EEEEDaSR_SS_EUlSR_E0_NS1_11comp_targetILNS1_3genE3ELNS1_11target_archE908ELNS1_3gpuE7ELNS1_3repE0EEENS1_30default_config_static_selectorELNS0_4arch9wavefront6targetE1EEEvT1_: ; @_ZN7rocprim17ROCPRIM_400000_NS6detail17trampoline_kernelINS0_14default_configENS1_20scan_config_selectorI11FixedVectorIiLj1EEEEZZNS1_9scan_implILNS1_25lookback_scan_determinismE0ELb0ELb0ES3_N6thrust23THRUST_200600_302600_NS6detail15normal_iteratorINSB_10device_ptrIS6_EEEESG_S6_NSB_4plusIvEES6_EEDaPvRmT3_T4_T5_mT6_P12ihipStream_tbENKUlT_T0_E_clISt17integral_constantIbLb1EESV_IbLb0EEEEDaSR_SS_EUlSR_E0_NS1_11comp_targetILNS1_3genE3ELNS1_11target_archE908ELNS1_3gpuE7ELNS1_3repE0EEENS1_30default_config_static_selectorELNS0_4arch9wavefront6targetE1EEEvT1_
; %bb.0:
	.section	.rodata,"a",@progbits
	.p2align	6, 0x0
	.amdhsa_kernel _ZN7rocprim17ROCPRIM_400000_NS6detail17trampoline_kernelINS0_14default_configENS1_20scan_config_selectorI11FixedVectorIiLj1EEEEZZNS1_9scan_implILNS1_25lookback_scan_determinismE0ELb0ELb0ES3_N6thrust23THRUST_200600_302600_NS6detail15normal_iteratorINSB_10device_ptrIS6_EEEESG_S6_NSB_4plusIvEES6_EEDaPvRmT3_T4_T5_mT6_P12ihipStream_tbENKUlT_T0_E_clISt17integral_constantIbLb1EESV_IbLb0EEEEDaSR_SS_EUlSR_E0_NS1_11comp_targetILNS1_3genE3ELNS1_11target_archE908ELNS1_3gpuE7ELNS1_3repE0EEENS1_30default_config_static_selectorELNS0_4arch9wavefront6targetE1EEEvT1_
		.amdhsa_group_segment_fixed_size 0
		.amdhsa_private_segment_fixed_size 0
		.amdhsa_kernarg_size 32
		.amdhsa_user_sgpr_count 6
		.amdhsa_user_sgpr_private_segment_buffer 1
		.amdhsa_user_sgpr_dispatch_ptr 0
		.amdhsa_user_sgpr_queue_ptr 0
		.amdhsa_user_sgpr_kernarg_segment_ptr 1
		.amdhsa_user_sgpr_dispatch_id 0
		.amdhsa_user_sgpr_flat_scratch_init 0
		.amdhsa_user_sgpr_kernarg_preload_length 0
		.amdhsa_user_sgpr_kernarg_preload_offset 0
		.amdhsa_user_sgpr_private_segment_size 0
		.amdhsa_uses_dynamic_stack 0
		.amdhsa_system_sgpr_private_segment_wavefront_offset 0
		.amdhsa_system_sgpr_workgroup_id_x 1
		.amdhsa_system_sgpr_workgroup_id_y 0
		.amdhsa_system_sgpr_workgroup_id_z 0
		.amdhsa_system_sgpr_workgroup_info 0
		.amdhsa_system_vgpr_workitem_id 0
		.amdhsa_next_free_vgpr 1
		.amdhsa_next_free_sgpr 0
		.amdhsa_accum_offset 4
		.amdhsa_reserve_vcc 0
		.amdhsa_reserve_flat_scratch 0
		.amdhsa_float_round_mode_32 0
		.amdhsa_float_round_mode_16_64 0
		.amdhsa_float_denorm_mode_32 3
		.amdhsa_float_denorm_mode_16_64 3
		.amdhsa_dx10_clamp 1
		.amdhsa_ieee_mode 1
		.amdhsa_fp16_overflow 0
		.amdhsa_tg_split 0
		.amdhsa_exception_fp_ieee_invalid_op 0
		.amdhsa_exception_fp_denorm_src 0
		.amdhsa_exception_fp_ieee_div_zero 0
		.amdhsa_exception_fp_ieee_overflow 0
		.amdhsa_exception_fp_ieee_underflow 0
		.amdhsa_exception_fp_ieee_inexact 0
		.amdhsa_exception_int_div_zero 0
	.end_amdhsa_kernel
	.section	.text._ZN7rocprim17ROCPRIM_400000_NS6detail17trampoline_kernelINS0_14default_configENS1_20scan_config_selectorI11FixedVectorIiLj1EEEEZZNS1_9scan_implILNS1_25lookback_scan_determinismE0ELb0ELb0ES3_N6thrust23THRUST_200600_302600_NS6detail15normal_iteratorINSB_10device_ptrIS6_EEEESG_S6_NSB_4plusIvEES6_EEDaPvRmT3_T4_T5_mT6_P12ihipStream_tbENKUlT_T0_E_clISt17integral_constantIbLb1EESV_IbLb0EEEEDaSR_SS_EUlSR_E0_NS1_11comp_targetILNS1_3genE3ELNS1_11target_archE908ELNS1_3gpuE7ELNS1_3repE0EEENS1_30default_config_static_selectorELNS0_4arch9wavefront6targetE1EEEvT1_,"axG",@progbits,_ZN7rocprim17ROCPRIM_400000_NS6detail17trampoline_kernelINS0_14default_configENS1_20scan_config_selectorI11FixedVectorIiLj1EEEEZZNS1_9scan_implILNS1_25lookback_scan_determinismE0ELb0ELb0ES3_N6thrust23THRUST_200600_302600_NS6detail15normal_iteratorINSB_10device_ptrIS6_EEEESG_S6_NSB_4plusIvEES6_EEDaPvRmT3_T4_T5_mT6_P12ihipStream_tbENKUlT_T0_E_clISt17integral_constantIbLb1EESV_IbLb0EEEEDaSR_SS_EUlSR_E0_NS1_11comp_targetILNS1_3genE3ELNS1_11target_archE908ELNS1_3gpuE7ELNS1_3repE0EEENS1_30default_config_static_selectorELNS0_4arch9wavefront6targetE1EEEvT1_,comdat
.Lfunc_end6437:
	.size	_ZN7rocprim17ROCPRIM_400000_NS6detail17trampoline_kernelINS0_14default_configENS1_20scan_config_selectorI11FixedVectorIiLj1EEEEZZNS1_9scan_implILNS1_25lookback_scan_determinismE0ELb0ELb0ES3_N6thrust23THRUST_200600_302600_NS6detail15normal_iteratorINSB_10device_ptrIS6_EEEESG_S6_NSB_4plusIvEES6_EEDaPvRmT3_T4_T5_mT6_P12ihipStream_tbENKUlT_T0_E_clISt17integral_constantIbLb1EESV_IbLb0EEEEDaSR_SS_EUlSR_E0_NS1_11comp_targetILNS1_3genE3ELNS1_11target_archE908ELNS1_3gpuE7ELNS1_3repE0EEENS1_30default_config_static_selectorELNS0_4arch9wavefront6targetE1EEEvT1_, .Lfunc_end6437-_ZN7rocprim17ROCPRIM_400000_NS6detail17trampoline_kernelINS0_14default_configENS1_20scan_config_selectorI11FixedVectorIiLj1EEEEZZNS1_9scan_implILNS1_25lookback_scan_determinismE0ELb0ELb0ES3_N6thrust23THRUST_200600_302600_NS6detail15normal_iteratorINSB_10device_ptrIS6_EEEESG_S6_NSB_4plusIvEES6_EEDaPvRmT3_T4_T5_mT6_P12ihipStream_tbENKUlT_T0_E_clISt17integral_constantIbLb1EESV_IbLb0EEEEDaSR_SS_EUlSR_E0_NS1_11comp_targetILNS1_3genE3ELNS1_11target_archE908ELNS1_3gpuE7ELNS1_3repE0EEENS1_30default_config_static_selectorELNS0_4arch9wavefront6targetE1EEEvT1_
                                        ; -- End function
	.section	.AMDGPU.csdata,"",@progbits
; Kernel info:
; codeLenInByte = 0
; NumSgprs: 4
; NumVgprs: 0
; NumAgprs: 0
; TotalNumVgprs: 0
; ScratchSize: 0
; MemoryBound: 0
; FloatMode: 240
; IeeeMode: 1
; LDSByteSize: 0 bytes/workgroup (compile time only)
; SGPRBlocks: 0
; VGPRBlocks: 0
; NumSGPRsForWavesPerEU: 4
; NumVGPRsForWavesPerEU: 1
; AccumOffset: 4
; Occupancy: 8
; WaveLimiterHint : 0
; COMPUTE_PGM_RSRC2:SCRATCH_EN: 0
; COMPUTE_PGM_RSRC2:USER_SGPR: 6
; COMPUTE_PGM_RSRC2:TRAP_HANDLER: 0
; COMPUTE_PGM_RSRC2:TGID_X_EN: 1
; COMPUTE_PGM_RSRC2:TGID_Y_EN: 0
; COMPUTE_PGM_RSRC2:TGID_Z_EN: 0
; COMPUTE_PGM_RSRC2:TIDIG_COMP_CNT: 0
; COMPUTE_PGM_RSRC3_GFX90A:ACCUM_OFFSET: 0
; COMPUTE_PGM_RSRC3_GFX90A:TG_SPLIT: 0
	.section	.text._ZN7rocprim17ROCPRIM_400000_NS6detail17trampoline_kernelINS0_14default_configENS1_20scan_config_selectorI11FixedVectorIiLj1EEEEZZNS1_9scan_implILNS1_25lookback_scan_determinismE0ELb0ELb0ES3_N6thrust23THRUST_200600_302600_NS6detail15normal_iteratorINSB_10device_ptrIS6_EEEESG_S6_NSB_4plusIvEES6_EEDaPvRmT3_T4_T5_mT6_P12ihipStream_tbENKUlT_T0_E_clISt17integral_constantIbLb1EESV_IbLb0EEEEDaSR_SS_EUlSR_E0_NS1_11comp_targetILNS1_3genE2ELNS1_11target_archE906ELNS1_3gpuE6ELNS1_3repE0EEENS1_30default_config_static_selectorELNS0_4arch9wavefront6targetE1EEEvT1_,"axG",@progbits,_ZN7rocprim17ROCPRIM_400000_NS6detail17trampoline_kernelINS0_14default_configENS1_20scan_config_selectorI11FixedVectorIiLj1EEEEZZNS1_9scan_implILNS1_25lookback_scan_determinismE0ELb0ELb0ES3_N6thrust23THRUST_200600_302600_NS6detail15normal_iteratorINSB_10device_ptrIS6_EEEESG_S6_NSB_4plusIvEES6_EEDaPvRmT3_T4_T5_mT6_P12ihipStream_tbENKUlT_T0_E_clISt17integral_constantIbLb1EESV_IbLb0EEEEDaSR_SS_EUlSR_E0_NS1_11comp_targetILNS1_3genE2ELNS1_11target_archE906ELNS1_3gpuE6ELNS1_3repE0EEENS1_30default_config_static_selectorELNS0_4arch9wavefront6targetE1EEEvT1_,comdat
	.protected	_ZN7rocprim17ROCPRIM_400000_NS6detail17trampoline_kernelINS0_14default_configENS1_20scan_config_selectorI11FixedVectorIiLj1EEEEZZNS1_9scan_implILNS1_25lookback_scan_determinismE0ELb0ELb0ES3_N6thrust23THRUST_200600_302600_NS6detail15normal_iteratorINSB_10device_ptrIS6_EEEESG_S6_NSB_4plusIvEES6_EEDaPvRmT3_T4_T5_mT6_P12ihipStream_tbENKUlT_T0_E_clISt17integral_constantIbLb1EESV_IbLb0EEEEDaSR_SS_EUlSR_E0_NS1_11comp_targetILNS1_3genE2ELNS1_11target_archE906ELNS1_3gpuE6ELNS1_3repE0EEENS1_30default_config_static_selectorELNS0_4arch9wavefront6targetE1EEEvT1_ ; -- Begin function _ZN7rocprim17ROCPRIM_400000_NS6detail17trampoline_kernelINS0_14default_configENS1_20scan_config_selectorI11FixedVectorIiLj1EEEEZZNS1_9scan_implILNS1_25lookback_scan_determinismE0ELb0ELb0ES3_N6thrust23THRUST_200600_302600_NS6detail15normal_iteratorINSB_10device_ptrIS6_EEEESG_S6_NSB_4plusIvEES6_EEDaPvRmT3_T4_T5_mT6_P12ihipStream_tbENKUlT_T0_E_clISt17integral_constantIbLb1EESV_IbLb0EEEEDaSR_SS_EUlSR_E0_NS1_11comp_targetILNS1_3genE2ELNS1_11target_archE906ELNS1_3gpuE6ELNS1_3repE0EEENS1_30default_config_static_selectorELNS0_4arch9wavefront6targetE1EEEvT1_
	.globl	_ZN7rocprim17ROCPRIM_400000_NS6detail17trampoline_kernelINS0_14default_configENS1_20scan_config_selectorI11FixedVectorIiLj1EEEEZZNS1_9scan_implILNS1_25lookback_scan_determinismE0ELb0ELb0ES3_N6thrust23THRUST_200600_302600_NS6detail15normal_iteratorINSB_10device_ptrIS6_EEEESG_S6_NSB_4plusIvEES6_EEDaPvRmT3_T4_T5_mT6_P12ihipStream_tbENKUlT_T0_E_clISt17integral_constantIbLb1EESV_IbLb0EEEEDaSR_SS_EUlSR_E0_NS1_11comp_targetILNS1_3genE2ELNS1_11target_archE906ELNS1_3gpuE6ELNS1_3repE0EEENS1_30default_config_static_selectorELNS0_4arch9wavefront6targetE1EEEvT1_
	.p2align	8
	.type	_ZN7rocprim17ROCPRIM_400000_NS6detail17trampoline_kernelINS0_14default_configENS1_20scan_config_selectorI11FixedVectorIiLj1EEEEZZNS1_9scan_implILNS1_25lookback_scan_determinismE0ELb0ELb0ES3_N6thrust23THRUST_200600_302600_NS6detail15normal_iteratorINSB_10device_ptrIS6_EEEESG_S6_NSB_4plusIvEES6_EEDaPvRmT3_T4_T5_mT6_P12ihipStream_tbENKUlT_T0_E_clISt17integral_constantIbLb1EESV_IbLb0EEEEDaSR_SS_EUlSR_E0_NS1_11comp_targetILNS1_3genE2ELNS1_11target_archE906ELNS1_3gpuE6ELNS1_3repE0EEENS1_30default_config_static_selectorELNS0_4arch9wavefront6targetE1EEEvT1_,@function
_ZN7rocprim17ROCPRIM_400000_NS6detail17trampoline_kernelINS0_14default_configENS1_20scan_config_selectorI11FixedVectorIiLj1EEEEZZNS1_9scan_implILNS1_25lookback_scan_determinismE0ELb0ELb0ES3_N6thrust23THRUST_200600_302600_NS6detail15normal_iteratorINSB_10device_ptrIS6_EEEESG_S6_NSB_4plusIvEES6_EEDaPvRmT3_T4_T5_mT6_P12ihipStream_tbENKUlT_T0_E_clISt17integral_constantIbLb1EESV_IbLb0EEEEDaSR_SS_EUlSR_E0_NS1_11comp_targetILNS1_3genE2ELNS1_11target_archE906ELNS1_3gpuE6ELNS1_3repE0EEENS1_30default_config_static_selectorELNS0_4arch9wavefront6targetE1EEEvT1_: ; @_ZN7rocprim17ROCPRIM_400000_NS6detail17trampoline_kernelINS0_14default_configENS1_20scan_config_selectorI11FixedVectorIiLj1EEEEZZNS1_9scan_implILNS1_25lookback_scan_determinismE0ELb0ELb0ES3_N6thrust23THRUST_200600_302600_NS6detail15normal_iteratorINSB_10device_ptrIS6_EEEESG_S6_NSB_4plusIvEES6_EEDaPvRmT3_T4_T5_mT6_P12ihipStream_tbENKUlT_T0_E_clISt17integral_constantIbLb1EESV_IbLb0EEEEDaSR_SS_EUlSR_E0_NS1_11comp_targetILNS1_3genE2ELNS1_11target_archE906ELNS1_3gpuE6ELNS1_3repE0EEENS1_30default_config_static_selectorELNS0_4arch9wavefront6targetE1EEEvT1_
; %bb.0:
	.section	.rodata,"a",@progbits
	.p2align	6, 0x0
	.amdhsa_kernel _ZN7rocprim17ROCPRIM_400000_NS6detail17trampoline_kernelINS0_14default_configENS1_20scan_config_selectorI11FixedVectorIiLj1EEEEZZNS1_9scan_implILNS1_25lookback_scan_determinismE0ELb0ELb0ES3_N6thrust23THRUST_200600_302600_NS6detail15normal_iteratorINSB_10device_ptrIS6_EEEESG_S6_NSB_4plusIvEES6_EEDaPvRmT3_T4_T5_mT6_P12ihipStream_tbENKUlT_T0_E_clISt17integral_constantIbLb1EESV_IbLb0EEEEDaSR_SS_EUlSR_E0_NS1_11comp_targetILNS1_3genE2ELNS1_11target_archE906ELNS1_3gpuE6ELNS1_3repE0EEENS1_30default_config_static_selectorELNS0_4arch9wavefront6targetE1EEEvT1_
		.amdhsa_group_segment_fixed_size 0
		.amdhsa_private_segment_fixed_size 0
		.amdhsa_kernarg_size 32
		.amdhsa_user_sgpr_count 6
		.amdhsa_user_sgpr_private_segment_buffer 1
		.amdhsa_user_sgpr_dispatch_ptr 0
		.amdhsa_user_sgpr_queue_ptr 0
		.amdhsa_user_sgpr_kernarg_segment_ptr 1
		.amdhsa_user_sgpr_dispatch_id 0
		.amdhsa_user_sgpr_flat_scratch_init 0
		.amdhsa_user_sgpr_kernarg_preload_length 0
		.amdhsa_user_sgpr_kernarg_preload_offset 0
		.amdhsa_user_sgpr_private_segment_size 0
		.amdhsa_uses_dynamic_stack 0
		.amdhsa_system_sgpr_private_segment_wavefront_offset 0
		.amdhsa_system_sgpr_workgroup_id_x 1
		.amdhsa_system_sgpr_workgroup_id_y 0
		.amdhsa_system_sgpr_workgroup_id_z 0
		.amdhsa_system_sgpr_workgroup_info 0
		.amdhsa_system_vgpr_workitem_id 0
		.amdhsa_next_free_vgpr 1
		.amdhsa_next_free_sgpr 0
		.amdhsa_accum_offset 4
		.amdhsa_reserve_vcc 0
		.amdhsa_reserve_flat_scratch 0
		.amdhsa_float_round_mode_32 0
		.amdhsa_float_round_mode_16_64 0
		.amdhsa_float_denorm_mode_32 3
		.amdhsa_float_denorm_mode_16_64 3
		.amdhsa_dx10_clamp 1
		.amdhsa_ieee_mode 1
		.amdhsa_fp16_overflow 0
		.amdhsa_tg_split 0
		.amdhsa_exception_fp_ieee_invalid_op 0
		.amdhsa_exception_fp_denorm_src 0
		.amdhsa_exception_fp_ieee_div_zero 0
		.amdhsa_exception_fp_ieee_overflow 0
		.amdhsa_exception_fp_ieee_underflow 0
		.amdhsa_exception_fp_ieee_inexact 0
		.amdhsa_exception_int_div_zero 0
	.end_amdhsa_kernel
	.section	.text._ZN7rocprim17ROCPRIM_400000_NS6detail17trampoline_kernelINS0_14default_configENS1_20scan_config_selectorI11FixedVectorIiLj1EEEEZZNS1_9scan_implILNS1_25lookback_scan_determinismE0ELb0ELb0ES3_N6thrust23THRUST_200600_302600_NS6detail15normal_iteratorINSB_10device_ptrIS6_EEEESG_S6_NSB_4plusIvEES6_EEDaPvRmT3_T4_T5_mT6_P12ihipStream_tbENKUlT_T0_E_clISt17integral_constantIbLb1EESV_IbLb0EEEEDaSR_SS_EUlSR_E0_NS1_11comp_targetILNS1_3genE2ELNS1_11target_archE906ELNS1_3gpuE6ELNS1_3repE0EEENS1_30default_config_static_selectorELNS0_4arch9wavefront6targetE1EEEvT1_,"axG",@progbits,_ZN7rocprim17ROCPRIM_400000_NS6detail17trampoline_kernelINS0_14default_configENS1_20scan_config_selectorI11FixedVectorIiLj1EEEEZZNS1_9scan_implILNS1_25lookback_scan_determinismE0ELb0ELb0ES3_N6thrust23THRUST_200600_302600_NS6detail15normal_iteratorINSB_10device_ptrIS6_EEEESG_S6_NSB_4plusIvEES6_EEDaPvRmT3_T4_T5_mT6_P12ihipStream_tbENKUlT_T0_E_clISt17integral_constantIbLb1EESV_IbLb0EEEEDaSR_SS_EUlSR_E0_NS1_11comp_targetILNS1_3genE2ELNS1_11target_archE906ELNS1_3gpuE6ELNS1_3repE0EEENS1_30default_config_static_selectorELNS0_4arch9wavefront6targetE1EEEvT1_,comdat
.Lfunc_end6438:
	.size	_ZN7rocprim17ROCPRIM_400000_NS6detail17trampoline_kernelINS0_14default_configENS1_20scan_config_selectorI11FixedVectorIiLj1EEEEZZNS1_9scan_implILNS1_25lookback_scan_determinismE0ELb0ELb0ES3_N6thrust23THRUST_200600_302600_NS6detail15normal_iteratorINSB_10device_ptrIS6_EEEESG_S6_NSB_4plusIvEES6_EEDaPvRmT3_T4_T5_mT6_P12ihipStream_tbENKUlT_T0_E_clISt17integral_constantIbLb1EESV_IbLb0EEEEDaSR_SS_EUlSR_E0_NS1_11comp_targetILNS1_3genE2ELNS1_11target_archE906ELNS1_3gpuE6ELNS1_3repE0EEENS1_30default_config_static_selectorELNS0_4arch9wavefront6targetE1EEEvT1_, .Lfunc_end6438-_ZN7rocprim17ROCPRIM_400000_NS6detail17trampoline_kernelINS0_14default_configENS1_20scan_config_selectorI11FixedVectorIiLj1EEEEZZNS1_9scan_implILNS1_25lookback_scan_determinismE0ELb0ELb0ES3_N6thrust23THRUST_200600_302600_NS6detail15normal_iteratorINSB_10device_ptrIS6_EEEESG_S6_NSB_4plusIvEES6_EEDaPvRmT3_T4_T5_mT6_P12ihipStream_tbENKUlT_T0_E_clISt17integral_constantIbLb1EESV_IbLb0EEEEDaSR_SS_EUlSR_E0_NS1_11comp_targetILNS1_3genE2ELNS1_11target_archE906ELNS1_3gpuE6ELNS1_3repE0EEENS1_30default_config_static_selectorELNS0_4arch9wavefront6targetE1EEEvT1_
                                        ; -- End function
	.section	.AMDGPU.csdata,"",@progbits
; Kernel info:
; codeLenInByte = 0
; NumSgprs: 4
; NumVgprs: 0
; NumAgprs: 0
; TotalNumVgprs: 0
; ScratchSize: 0
; MemoryBound: 0
; FloatMode: 240
; IeeeMode: 1
; LDSByteSize: 0 bytes/workgroup (compile time only)
; SGPRBlocks: 0
; VGPRBlocks: 0
; NumSGPRsForWavesPerEU: 4
; NumVGPRsForWavesPerEU: 1
; AccumOffset: 4
; Occupancy: 8
; WaveLimiterHint : 0
; COMPUTE_PGM_RSRC2:SCRATCH_EN: 0
; COMPUTE_PGM_RSRC2:USER_SGPR: 6
; COMPUTE_PGM_RSRC2:TRAP_HANDLER: 0
; COMPUTE_PGM_RSRC2:TGID_X_EN: 1
; COMPUTE_PGM_RSRC2:TGID_Y_EN: 0
; COMPUTE_PGM_RSRC2:TGID_Z_EN: 0
; COMPUTE_PGM_RSRC2:TIDIG_COMP_CNT: 0
; COMPUTE_PGM_RSRC3_GFX90A:ACCUM_OFFSET: 0
; COMPUTE_PGM_RSRC3_GFX90A:TG_SPLIT: 0
	.section	.text._ZN7rocprim17ROCPRIM_400000_NS6detail17trampoline_kernelINS0_14default_configENS1_20scan_config_selectorI11FixedVectorIiLj1EEEEZZNS1_9scan_implILNS1_25lookback_scan_determinismE0ELb0ELb0ES3_N6thrust23THRUST_200600_302600_NS6detail15normal_iteratorINSB_10device_ptrIS6_EEEESG_S6_NSB_4plusIvEES6_EEDaPvRmT3_T4_T5_mT6_P12ihipStream_tbENKUlT_T0_E_clISt17integral_constantIbLb1EESV_IbLb0EEEEDaSR_SS_EUlSR_E0_NS1_11comp_targetILNS1_3genE10ELNS1_11target_archE1201ELNS1_3gpuE5ELNS1_3repE0EEENS1_30default_config_static_selectorELNS0_4arch9wavefront6targetE1EEEvT1_,"axG",@progbits,_ZN7rocprim17ROCPRIM_400000_NS6detail17trampoline_kernelINS0_14default_configENS1_20scan_config_selectorI11FixedVectorIiLj1EEEEZZNS1_9scan_implILNS1_25lookback_scan_determinismE0ELb0ELb0ES3_N6thrust23THRUST_200600_302600_NS6detail15normal_iteratorINSB_10device_ptrIS6_EEEESG_S6_NSB_4plusIvEES6_EEDaPvRmT3_T4_T5_mT6_P12ihipStream_tbENKUlT_T0_E_clISt17integral_constantIbLb1EESV_IbLb0EEEEDaSR_SS_EUlSR_E0_NS1_11comp_targetILNS1_3genE10ELNS1_11target_archE1201ELNS1_3gpuE5ELNS1_3repE0EEENS1_30default_config_static_selectorELNS0_4arch9wavefront6targetE1EEEvT1_,comdat
	.protected	_ZN7rocprim17ROCPRIM_400000_NS6detail17trampoline_kernelINS0_14default_configENS1_20scan_config_selectorI11FixedVectorIiLj1EEEEZZNS1_9scan_implILNS1_25lookback_scan_determinismE0ELb0ELb0ES3_N6thrust23THRUST_200600_302600_NS6detail15normal_iteratorINSB_10device_ptrIS6_EEEESG_S6_NSB_4plusIvEES6_EEDaPvRmT3_T4_T5_mT6_P12ihipStream_tbENKUlT_T0_E_clISt17integral_constantIbLb1EESV_IbLb0EEEEDaSR_SS_EUlSR_E0_NS1_11comp_targetILNS1_3genE10ELNS1_11target_archE1201ELNS1_3gpuE5ELNS1_3repE0EEENS1_30default_config_static_selectorELNS0_4arch9wavefront6targetE1EEEvT1_ ; -- Begin function _ZN7rocprim17ROCPRIM_400000_NS6detail17trampoline_kernelINS0_14default_configENS1_20scan_config_selectorI11FixedVectorIiLj1EEEEZZNS1_9scan_implILNS1_25lookback_scan_determinismE0ELb0ELb0ES3_N6thrust23THRUST_200600_302600_NS6detail15normal_iteratorINSB_10device_ptrIS6_EEEESG_S6_NSB_4plusIvEES6_EEDaPvRmT3_T4_T5_mT6_P12ihipStream_tbENKUlT_T0_E_clISt17integral_constantIbLb1EESV_IbLb0EEEEDaSR_SS_EUlSR_E0_NS1_11comp_targetILNS1_3genE10ELNS1_11target_archE1201ELNS1_3gpuE5ELNS1_3repE0EEENS1_30default_config_static_selectorELNS0_4arch9wavefront6targetE1EEEvT1_
	.globl	_ZN7rocprim17ROCPRIM_400000_NS6detail17trampoline_kernelINS0_14default_configENS1_20scan_config_selectorI11FixedVectorIiLj1EEEEZZNS1_9scan_implILNS1_25lookback_scan_determinismE0ELb0ELb0ES3_N6thrust23THRUST_200600_302600_NS6detail15normal_iteratorINSB_10device_ptrIS6_EEEESG_S6_NSB_4plusIvEES6_EEDaPvRmT3_T4_T5_mT6_P12ihipStream_tbENKUlT_T0_E_clISt17integral_constantIbLb1EESV_IbLb0EEEEDaSR_SS_EUlSR_E0_NS1_11comp_targetILNS1_3genE10ELNS1_11target_archE1201ELNS1_3gpuE5ELNS1_3repE0EEENS1_30default_config_static_selectorELNS0_4arch9wavefront6targetE1EEEvT1_
	.p2align	8
	.type	_ZN7rocprim17ROCPRIM_400000_NS6detail17trampoline_kernelINS0_14default_configENS1_20scan_config_selectorI11FixedVectorIiLj1EEEEZZNS1_9scan_implILNS1_25lookback_scan_determinismE0ELb0ELb0ES3_N6thrust23THRUST_200600_302600_NS6detail15normal_iteratorINSB_10device_ptrIS6_EEEESG_S6_NSB_4plusIvEES6_EEDaPvRmT3_T4_T5_mT6_P12ihipStream_tbENKUlT_T0_E_clISt17integral_constantIbLb1EESV_IbLb0EEEEDaSR_SS_EUlSR_E0_NS1_11comp_targetILNS1_3genE10ELNS1_11target_archE1201ELNS1_3gpuE5ELNS1_3repE0EEENS1_30default_config_static_selectorELNS0_4arch9wavefront6targetE1EEEvT1_,@function
_ZN7rocprim17ROCPRIM_400000_NS6detail17trampoline_kernelINS0_14default_configENS1_20scan_config_selectorI11FixedVectorIiLj1EEEEZZNS1_9scan_implILNS1_25lookback_scan_determinismE0ELb0ELb0ES3_N6thrust23THRUST_200600_302600_NS6detail15normal_iteratorINSB_10device_ptrIS6_EEEESG_S6_NSB_4plusIvEES6_EEDaPvRmT3_T4_T5_mT6_P12ihipStream_tbENKUlT_T0_E_clISt17integral_constantIbLb1EESV_IbLb0EEEEDaSR_SS_EUlSR_E0_NS1_11comp_targetILNS1_3genE10ELNS1_11target_archE1201ELNS1_3gpuE5ELNS1_3repE0EEENS1_30default_config_static_selectorELNS0_4arch9wavefront6targetE1EEEvT1_: ; @_ZN7rocprim17ROCPRIM_400000_NS6detail17trampoline_kernelINS0_14default_configENS1_20scan_config_selectorI11FixedVectorIiLj1EEEEZZNS1_9scan_implILNS1_25lookback_scan_determinismE0ELb0ELb0ES3_N6thrust23THRUST_200600_302600_NS6detail15normal_iteratorINSB_10device_ptrIS6_EEEESG_S6_NSB_4plusIvEES6_EEDaPvRmT3_T4_T5_mT6_P12ihipStream_tbENKUlT_T0_E_clISt17integral_constantIbLb1EESV_IbLb0EEEEDaSR_SS_EUlSR_E0_NS1_11comp_targetILNS1_3genE10ELNS1_11target_archE1201ELNS1_3gpuE5ELNS1_3repE0EEENS1_30default_config_static_selectorELNS0_4arch9wavefront6targetE1EEEvT1_
; %bb.0:
	.section	.rodata,"a",@progbits
	.p2align	6, 0x0
	.amdhsa_kernel _ZN7rocprim17ROCPRIM_400000_NS6detail17trampoline_kernelINS0_14default_configENS1_20scan_config_selectorI11FixedVectorIiLj1EEEEZZNS1_9scan_implILNS1_25lookback_scan_determinismE0ELb0ELb0ES3_N6thrust23THRUST_200600_302600_NS6detail15normal_iteratorINSB_10device_ptrIS6_EEEESG_S6_NSB_4plusIvEES6_EEDaPvRmT3_T4_T5_mT6_P12ihipStream_tbENKUlT_T0_E_clISt17integral_constantIbLb1EESV_IbLb0EEEEDaSR_SS_EUlSR_E0_NS1_11comp_targetILNS1_3genE10ELNS1_11target_archE1201ELNS1_3gpuE5ELNS1_3repE0EEENS1_30default_config_static_selectorELNS0_4arch9wavefront6targetE1EEEvT1_
		.amdhsa_group_segment_fixed_size 0
		.amdhsa_private_segment_fixed_size 0
		.amdhsa_kernarg_size 32
		.amdhsa_user_sgpr_count 6
		.amdhsa_user_sgpr_private_segment_buffer 1
		.amdhsa_user_sgpr_dispatch_ptr 0
		.amdhsa_user_sgpr_queue_ptr 0
		.amdhsa_user_sgpr_kernarg_segment_ptr 1
		.amdhsa_user_sgpr_dispatch_id 0
		.amdhsa_user_sgpr_flat_scratch_init 0
		.amdhsa_user_sgpr_kernarg_preload_length 0
		.amdhsa_user_sgpr_kernarg_preload_offset 0
		.amdhsa_user_sgpr_private_segment_size 0
		.amdhsa_uses_dynamic_stack 0
		.amdhsa_system_sgpr_private_segment_wavefront_offset 0
		.amdhsa_system_sgpr_workgroup_id_x 1
		.amdhsa_system_sgpr_workgroup_id_y 0
		.amdhsa_system_sgpr_workgroup_id_z 0
		.amdhsa_system_sgpr_workgroup_info 0
		.amdhsa_system_vgpr_workitem_id 0
		.amdhsa_next_free_vgpr 1
		.amdhsa_next_free_sgpr 0
		.amdhsa_accum_offset 4
		.amdhsa_reserve_vcc 0
		.amdhsa_reserve_flat_scratch 0
		.amdhsa_float_round_mode_32 0
		.amdhsa_float_round_mode_16_64 0
		.amdhsa_float_denorm_mode_32 3
		.amdhsa_float_denorm_mode_16_64 3
		.amdhsa_dx10_clamp 1
		.amdhsa_ieee_mode 1
		.amdhsa_fp16_overflow 0
		.amdhsa_tg_split 0
		.amdhsa_exception_fp_ieee_invalid_op 0
		.amdhsa_exception_fp_denorm_src 0
		.amdhsa_exception_fp_ieee_div_zero 0
		.amdhsa_exception_fp_ieee_overflow 0
		.amdhsa_exception_fp_ieee_underflow 0
		.amdhsa_exception_fp_ieee_inexact 0
		.amdhsa_exception_int_div_zero 0
	.end_amdhsa_kernel
	.section	.text._ZN7rocprim17ROCPRIM_400000_NS6detail17trampoline_kernelINS0_14default_configENS1_20scan_config_selectorI11FixedVectorIiLj1EEEEZZNS1_9scan_implILNS1_25lookback_scan_determinismE0ELb0ELb0ES3_N6thrust23THRUST_200600_302600_NS6detail15normal_iteratorINSB_10device_ptrIS6_EEEESG_S6_NSB_4plusIvEES6_EEDaPvRmT3_T4_T5_mT6_P12ihipStream_tbENKUlT_T0_E_clISt17integral_constantIbLb1EESV_IbLb0EEEEDaSR_SS_EUlSR_E0_NS1_11comp_targetILNS1_3genE10ELNS1_11target_archE1201ELNS1_3gpuE5ELNS1_3repE0EEENS1_30default_config_static_selectorELNS0_4arch9wavefront6targetE1EEEvT1_,"axG",@progbits,_ZN7rocprim17ROCPRIM_400000_NS6detail17trampoline_kernelINS0_14default_configENS1_20scan_config_selectorI11FixedVectorIiLj1EEEEZZNS1_9scan_implILNS1_25lookback_scan_determinismE0ELb0ELb0ES3_N6thrust23THRUST_200600_302600_NS6detail15normal_iteratorINSB_10device_ptrIS6_EEEESG_S6_NSB_4plusIvEES6_EEDaPvRmT3_T4_T5_mT6_P12ihipStream_tbENKUlT_T0_E_clISt17integral_constantIbLb1EESV_IbLb0EEEEDaSR_SS_EUlSR_E0_NS1_11comp_targetILNS1_3genE10ELNS1_11target_archE1201ELNS1_3gpuE5ELNS1_3repE0EEENS1_30default_config_static_selectorELNS0_4arch9wavefront6targetE1EEEvT1_,comdat
.Lfunc_end6439:
	.size	_ZN7rocprim17ROCPRIM_400000_NS6detail17trampoline_kernelINS0_14default_configENS1_20scan_config_selectorI11FixedVectorIiLj1EEEEZZNS1_9scan_implILNS1_25lookback_scan_determinismE0ELb0ELb0ES3_N6thrust23THRUST_200600_302600_NS6detail15normal_iteratorINSB_10device_ptrIS6_EEEESG_S6_NSB_4plusIvEES6_EEDaPvRmT3_T4_T5_mT6_P12ihipStream_tbENKUlT_T0_E_clISt17integral_constantIbLb1EESV_IbLb0EEEEDaSR_SS_EUlSR_E0_NS1_11comp_targetILNS1_3genE10ELNS1_11target_archE1201ELNS1_3gpuE5ELNS1_3repE0EEENS1_30default_config_static_selectorELNS0_4arch9wavefront6targetE1EEEvT1_, .Lfunc_end6439-_ZN7rocprim17ROCPRIM_400000_NS6detail17trampoline_kernelINS0_14default_configENS1_20scan_config_selectorI11FixedVectorIiLj1EEEEZZNS1_9scan_implILNS1_25lookback_scan_determinismE0ELb0ELb0ES3_N6thrust23THRUST_200600_302600_NS6detail15normal_iteratorINSB_10device_ptrIS6_EEEESG_S6_NSB_4plusIvEES6_EEDaPvRmT3_T4_T5_mT6_P12ihipStream_tbENKUlT_T0_E_clISt17integral_constantIbLb1EESV_IbLb0EEEEDaSR_SS_EUlSR_E0_NS1_11comp_targetILNS1_3genE10ELNS1_11target_archE1201ELNS1_3gpuE5ELNS1_3repE0EEENS1_30default_config_static_selectorELNS0_4arch9wavefront6targetE1EEEvT1_
                                        ; -- End function
	.section	.AMDGPU.csdata,"",@progbits
; Kernel info:
; codeLenInByte = 0
; NumSgprs: 4
; NumVgprs: 0
; NumAgprs: 0
; TotalNumVgprs: 0
; ScratchSize: 0
; MemoryBound: 0
; FloatMode: 240
; IeeeMode: 1
; LDSByteSize: 0 bytes/workgroup (compile time only)
; SGPRBlocks: 0
; VGPRBlocks: 0
; NumSGPRsForWavesPerEU: 4
; NumVGPRsForWavesPerEU: 1
; AccumOffset: 4
; Occupancy: 8
; WaveLimiterHint : 0
; COMPUTE_PGM_RSRC2:SCRATCH_EN: 0
; COMPUTE_PGM_RSRC2:USER_SGPR: 6
; COMPUTE_PGM_RSRC2:TRAP_HANDLER: 0
; COMPUTE_PGM_RSRC2:TGID_X_EN: 1
; COMPUTE_PGM_RSRC2:TGID_Y_EN: 0
; COMPUTE_PGM_RSRC2:TGID_Z_EN: 0
; COMPUTE_PGM_RSRC2:TIDIG_COMP_CNT: 0
; COMPUTE_PGM_RSRC3_GFX90A:ACCUM_OFFSET: 0
; COMPUTE_PGM_RSRC3_GFX90A:TG_SPLIT: 0
	.section	.text._ZN7rocprim17ROCPRIM_400000_NS6detail17trampoline_kernelINS0_14default_configENS1_20scan_config_selectorI11FixedVectorIiLj1EEEEZZNS1_9scan_implILNS1_25lookback_scan_determinismE0ELb0ELb0ES3_N6thrust23THRUST_200600_302600_NS6detail15normal_iteratorINSB_10device_ptrIS6_EEEESG_S6_NSB_4plusIvEES6_EEDaPvRmT3_T4_T5_mT6_P12ihipStream_tbENKUlT_T0_E_clISt17integral_constantIbLb1EESV_IbLb0EEEEDaSR_SS_EUlSR_E0_NS1_11comp_targetILNS1_3genE10ELNS1_11target_archE1200ELNS1_3gpuE4ELNS1_3repE0EEENS1_30default_config_static_selectorELNS0_4arch9wavefront6targetE1EEEvT1_,"axG",@progbits,_ZN7rocprim17ROCPRIM_400000_NS6detail17trampoline_kernelINS0_14default_configENS1_20scan_config_selectorI11FixedVectorIiLj1EEEEZZNS1_9scan_implILNS1_25lookback_scan_determinismE0ELb0ELb0ES3_N6thrust23THRUST_200600_302600_NS6detail15normal_iteratorINSB_10device_ptrIS6_EEEESG_S6_NSB_4plusIvEES6_EEDaPvRmT3_T4_T5_mT6_P12ihipStream_tbENKUlT_T0_E_clISt17integral_constantIbLb1EESV_IbLb0EEEEDaSR_SS_EUlSR_E0_NS1_11comp_targetILNS1_3genE10ELNS1_11target_archE1200ELNS1_3gpuE4ELNS1_3repE0EEENS1_30default_config_static_selectorELNS0_4arch9wavefront6targetE1EEEvT1_,comdat
	.protected	_ZN7rocprim17ROCPRIM_400000_NS6detail17trampoline_kernelINS0_14default_configENS1_20scan_config_selectorI11FixedVectorIiLj1EEEEZZNS1_9scan_implILNS1_25lookback_scan_determinismE0ELb0ELb0ES3_N6thrust23THRUST_200600_302600_NS6detail15normal_iteratorINSB_10device_ptrIS6_EEEESG_S6_NSB_4plusIvEES6_EEDaPvRmT3_T4_T5_mT6_P12ihipStream_tbENKUlT_T0_E_clISt17integral_constantIbLb1EESV_IbLb0EEEEDaSR_SS_EUlSR_E0_NS1_11comp_targetILNS1_3genE10ELNS1_11target_archE1200ELNS1_3gpuE4ELNS1_3repE0EEENS1_30default_config_static_selectorELNS0_4arch9wavefront6targetE1EEEvT1_ ; -- Begin function _ZN7rocprim17ROCPRIM_400000_NS6detail17trampoline_kernelINS0_14default_configENS1_20scan_config_selectorI11FixedVectorIiLj1EEEEZZNS1_9scan_implILNS1_25lookback_scan_determinismE0ELb0ELb0ES3_N6thrust23THRUST_200600_302600_NS6detail15normal_iteratorINSB_10device_ptrIS6_EEEESG_S6_NSB_4plusIvEES6_EEDaPvRmT3_T4_T5_mT6_P12ihipStream_tbENKUlT_T0_E_clISt17integral_constantIbLb1EESV_IbLb0EEEEDaSR_SS_EUlSR_E0_NS1_11comp_targetILNS1_3genE10ELNS1_11target_archE1200ELNS1_3gpuE4ELNS1_3repE0EEENS1_30default_config_static_selectorELNS0_4arch9wavefront6targetE1EEEvT1_
	.globl	_ZN7rocprim17ROCPRIM_400000_NS6detail17trampoline_kernelINS0_14default_configENS1_20scan_config_selectorI11FixedVectorIiLj1EEEEZZNS1_9scan_implILNS1_25lookback_scan_determinismE0ELb0ELb0ES3_N6thrust23THRUST_200600_302600_NS6detail15normal_iteratorINSB_10device_ptrIS6_EEEESG_S6_NSB_4plusIvEES6_EEDaPvRmT3_T4_T5_mT6_P12ihipStream_tbENKUlT_T0_E_clISt17integral_constantIbLb1EESV_IbLb0EEEEDaSR_SS_EUlSR_E0_NS1_11comp_targetILNS1_3genE10ELNS1_11target_archE1200ELNS1_3gpuE4ELNS1_3repE0EEENS1_30default_config_static_selectorELNS0_4arch9wavefront6targetE1EEEvT1_
	.p2align	8
	.type	_ZN7rocprim17ROCPRIM_400000_NS6detail17trampoline_kernelINS0_14default_configENS1_20scan_config_selectorI11FixedVectorIiLj1EEEEZZNS1_9scan_implILNS1_25lookback_scan_determinismE0ELb0ELb0ES3_N6thrust23THRUST_200600_302600_NS6detail15normal_iteratorINSB_10device_ptrIS6_EEEESG_S6_NSB_4plusIvEES6_EEDaPvRmT3_T4_T5_mT6_P12ihipStream_tbENKUlT_T0_E_clISt17integral_constantIbLb1EESV_IbLb0EEEEDaSR_SS_EUlSR_E0_NS1_11comp_targetILNS1_3genE10ELNS1_11target_archE1200ELNS1_3gpuE4ELNS1_3repE0EEENS1_30default_config_static_selectorELNS0_4arch9wavefront6targetE1EEEvT1_,@function
_ZN7rocprim17ROCPRIM_400000_NS6detail17trampoline_kernelINS0_14default_configENS1_20scan_config_selectorI11FixedVectorIiLj1EEEEZZNS1_9scan_implILNS1_25lookback_scan_determinismE0ELb0ELb0ES3_N6thrust23THRUST_200600_302600_NS6detail15normal_iteratorINSB_10device_ptrIS6_EEEESG_S6_NSB_4plusIvEES6_EEDaPvRmT3_T4_T5_mT6_P12ihipStream_tbENKUlT_T0_E_clISt17integral_constantIbLb1EESV_IbLb0EEEEDaSR_SS_EUlSR_E0_NS1_11comp_targetILNS1_3genE10ELNS1_11target_archE1200ELNS1_3gpuE4ELNS1_3repE0EEENS1_30default_config_static_selectorELNS0_4arch9wavefront6targetE1EEEvT1_: ; @_ZN7rocprim17ROCPRIM_400000_NS6detail17trampoline_kernelINS0_14default_configENS1_20scan_config_selectorI11FixedVectorIiLj1EEEEZZNS1_9scan_implILNS1_25lookback_scan_determinismE0ELb0ELb0ES3_N6thrust23THRUST_200600_302600_NS6detail15normal_iteratorINSB_10device_ptrIS6_EEEESG_S6_NSB_4plusIvEES6_EEDaPvRmT3_T4_T5_mT6_P12ihipStream_tbENKUlT_T0_E_clISt17integral_constantIbLb1EESV_IbLb0EEEEDaSR_SS_EUlSR_E0_NS1_11comp_targetILNS1_3genE10ELNS1_11target_archE1200ELNS1_3gpuE4ELNS1_3repE0EEENS1_30default_config_static_selectorELNS0_4arch9wavefront6targetE1EEEvT1_
; %bb.0:
	.section	.rodata,"a",@progbits
	.p2align	6, 0x0
	.amdhsa_kernel _ZN7rocprim17ROCPRIM_400000_NS6detail17trampoline_kernelINS0_14default_configENS1_20scan_config_selectorI11FixedVectorIiLj1EEEEZZNS1_9scan_implILNS1_25lookback_scan_determinismE0ELb0ELb0ES3_N6thrust23THRUST_200600_302600_NS6detail15normal_iteratorINSB_10device_ptrIS6_EEEESG_S6_NSB_4plusIvEES6_EEDaPvRmT3_T4_T5_mT6_P12ihipStream_tbENKUlT_T0_E_clISt17integral_constantIbLb1EESV_IbLb0EEEEDaSR_SS_EUlSR_E0_NS1_11comp_targetILNS1_3genE10ELNS1_11target_archE1200ELNS1_3gpuE4ELNS1_3repE0EEENS1_30default_config_static_selectorELNS0_4arch9wavefront6targetE1EEEvT1_
		.amdhsa_group_segment_fixed_size 0
		.amdhsa_private_segment_fixed_size 0
		.amdhsa_kernarg_size 32
		.amdhsa_user_sgpr_count 6
		.amdhsa_user_sgpr_private_segment_buffer 1
		.amdhsa_user_sgpr_dispatch_ptr 0
		.amdhsa_user_sgpr_queue_ptr 0
		.amdhsa_user_sgpr_kernarg_segment_ptr 1
		.amdhsa_user_sgpr_dispatch_id 0
		.amdhsa_user_sgpr_flat_scratch_init 0
		.amdhsa_user_sgpr_kernarg_preload_length 0
		.amdhsa_user_sgpr_kernarg_preload_offset 0
		.amdhsa_user_sgpr_private_segment_size 0
		.amdhsa_uses_dynamic_stack 0
		.amdhsa_system_sgpr_private_segment_wavefront_offset 0
		.amdhsa_system_sgpr_workgroup_id_x 1
		.amdhsa_system_sgpr_workgroup_id_y 0
		.amdhsa_system_sgpr_workgroup_id_z 0
		.amdhsa_system_sgpr_workgroup_info 0
		.amdhsa_system_vgpr_workitem_id 0
		.amdhsa_next_free_vgpr 1
		.amdhsa_next_free_sgpr 0
		.amdhsa_accum_offset 4
		.amdhsa_reserve_vcc 0
		.amdhsa_reserve_flat_scratch 0
		.amdhsa_float_round_mode_32 0
		.amdhsa_float_round_mode_16_64 0
		.amdhsa_float_denorm_mode_32 3
		.amdhsa_float_denorm_mode_16_64 3
		.amdhsa_dx10_clamp 1
		.amdhsa_ieee_mode 1
		.amdhsa_fp16_overflow 0
		.amdhsa_tg_split 0
		.amdhsa_exception_fp_ieee_invalid_op 0
		.amdhsa_exception_fp_denorm_src 0
		.amdhsa_exception_fp_ieee_div_zero 0
		.amdhsa_exception_fp_ieee_overflow 0
		.amdhsa_exception_fp_ieee_underflow 0
		.amdhsa_exception_fp_ieee_inexact 0
		.amdhsa_exception_int_div_zero 0
	.end_amdhsa_kernel
	.section	.text._ZN7rocprim17ROCPRIM_400000_NS6detail17trampoline_kernelINS0_14default_configENS1_20scan_config_selectorI11FixedVectorIiLj1EEEEZZNS1_9scan_implILNS1_25lookback_scan_determinismE0ELb0ELb0ES3_N6thrust23THRUST_200600_302600_NS6detail15normal_iteratorINSB_10device_ptrIS6_EEEESG_S6_NSB_4plusIvEES6_EEDaPvRmT3_T4_T5_mT6_P12ihipStream_tbENKUlT_T0_E_clISt17integral_constantIbLb1EESV_IbLb0EEEEDaSR_SS_EUlSR_E0_NS1_11comp_targetILNS1_3genE10ELNS1_11target_archE1200ELNS1_3gpuE4ELNS1_3repE0EEENS1_30default_config_static_selectorELNS0_4arch9wavefront6targetE1EEEvT1_,"axG",@progbits,_ZN7rocprim17ROCPRIM_400000_NS6detail17trampoline_kernelINS0_14default_configENS1_20scan_config_selectorI11FixedVectorIiLj1EEEEZZNS1_9scan_implILNS1_25lookback_scan_determinismE0ELb0ELb0ES3_N6thrust23THRUST_200600_302600_NS6detail15normal_iteratorINSB_10device_ptrIS6_EEEESG_S6_NSB_4plusIvEES6_EEDaPvRmT3_T4_T5_mT6_P12ihipStream_tbENKUlT_T0_E_clISt17integral_constantIbLb1EESV_IbLb0EEEEDaSR_SS_EUlSR_E0_NS1_11comp_targetILNS1_3genE10ELNS1_11target_archE1200ELNS1_3gpuE4ELNS1_3repE0EEENS1_30default_config_static_selectorELNS0_4arch9wavefront6targetE1EEEvT1_,comdat
.Lfunc_end6440:
	.size	_ZN7rocprim17ROCPRIM_400000_NS6detail17trampoline_kernelINS0_14default_configENS1_20scan_config_selectorI11FixedVectorIiLj1EEEEZZNS1_9scan_implILNS1_25lookback_scan_determinismE0ELb0ELb0ES3_N6thrust23THRUST_200600_302600_NS6detail15normal_iteratorINSB_10device_ptrIS6_EEEESG_S6_NSB_4plusIvEES6_EEDaPvRmT3_T4_T5_mT6_P12ihipStream_tbENKUlT_T0_E_clISt17integral_constantIbLb1EESV_IbLb0EEEEDaSR_SS_EUlSR_E0_NS1_11comp_targetILNS1_3genE10ELNS1_11target_archE1200ELNS1_3gpuE4ELNS1_3repE0EEENS1_30default_config_static_selectorELNS0_4arch9wavefront6targetE1EEEvT1_, .Lfunc_end6440-_ZN7rocprim17ROCPRIM_400000_NS6detail17trampoline_kernelINS0_14default_configENS1_20scan_config_selectorI11FixedVectorIiLj1EEEEZZNS1_9scan_implILNS1_25lookback_scan_determinismE0ELb0ELb0ES3_N6thrust23THRUST_200600_302600_NS6detail15normal_iteratorINSB_10device_ptrIS6_EEEESG_S6_NSB_4plusIvEES6_EEDaPvRmT3_T4_T5_mT6_P12ihipStream_tbENKUlT_T0_E_clISt17integral_constantIbLb1EESV_IbLb0EEEEDaSR_SS_EUlSR_E0_NS1_11comp_targetILNS1_3genE10ELNS1_11target_archE1200ELNS1_3gpuE4ELNS1_3repE0EEENS1_30default_config_static_selectorELNS0_4arch9wavefront6targetE1EEEvT1_
                                        ; -- End function
	.section	.AMDGPU.csdata,"",@progbits
; Kernel info:
; codeLenInByte = 0
; NumSgprs: 4
; NumVgprs: 0
; NumAgprs: 0
; TotalNumVgprs: 0
; ScratchSize: 0
; MemoryBound: 0
; FloatMode: 240
; IeeeMode: 1
; LDSByteSize: 0 bytes/workgroup (compile time only)
; SGPRBlocks: 0
; VGPRBlocks: 0
; NumSGPRsForWavesPerEU: 4
; NumVGPRsForWavesPerEU: 1
; AccumOffset: 4
; Occupancy: 8
; WaveLimiterHint : 0
; COMPUTE_PGM_RSRC2:SCRATCH_EN: 0
; COMPUTE_PGM_RSRC2:USER_SGPR: 6
; COMPUTE_PGM_RSRC2:TRAP_HANDLER: 0
; COMPUTE_PGM_RSRC2:TGID_X_EN: 1
; COMPUTE_PGM_RSRC2:TGID_Y_EN: 0
; COMPUTE_PGM_RSRC2:TGID_Z_EN: 0
; COMPUTE_PGM_RSRC2:TIDIG_COMP_CNT: 0
; COMPUTE_PGM_RSRC3_GFX90A:ACCUM_OFFSET: 0
; COMPUTE_PGM_RSRC3_GFX90A:TG_SPLIT: 0
	.section	.text._ZN7rocprim17ROCPRIM_400000_NS6detail17trampoline_kernelINS0_14default_configENS1_20scan_config_selectorI11FixedVectorIiLj1EEEEZZNS1_9scan_implILNS1_25lookback_scan_determinismE0ELb0ELb0ES3_N6thrust23THRUST_200600_302600_NS6detail15normal_iteratorINSB_10device_ptrIS6_EEEESG_S6_NSB_4plusIvEES6_EEDaPvRmT3_T4_T5_mT6_P12ihipStream_tbENKUlT_T0_E_clISt17integral_constantIbLb1EESV_IbLb0EEEEDaSR_SS_EUlSR_E0_NS1_11comp_targetILNS1_3genE9ELNS1_11target_archE1100ELNS1_3gpuE3ELNS1_3repE0EEENS1_30default_config_static_selectorELNS0_4arch9wavefront6targetE1EEEvT1_,"axG",@progbits,_ZN7rocprim17ROCPRIM_400000_NS6detail17trampoline_kernelINS0_14default_configENS1_20scan_config_selectorI11FixedVectorIiLj1EEEEZZNS1_9scan_implILNS1_25lookback_scan_determinismE0ELb0ELb0ES3_N6thrust23THRUST_200600_302600_NS6detail15normal_iteratorINSB_10device_ptrIS6_EEEESG_S6_NSB_4plusIvEES6_EEDaPvRmT3_T4_T5_mT6_P12ihipStream_tbENKUlT_T0_E_clISt17integral_constantIbLb1EESV_IbLb0EEEEDaSR_SS_EUlSR_E0_NS1_11comp_targetILNS1_3genE9ELNS1_11target_archE1100ELNS1_3gpuE3ELNS1_3repE0EEENS1_30default_config_static_selectorELNS0_4arch9wavefront6targetE1EEEvT1_,comdat
	.protected	_ZN7rocprim17ROCPRIM_400000_NS6detail17trampoline_kernelINS0_14default_configENS1_20scan_config_selectorI11FixedVectorIiLj1EEEEZZNS1_9scan_implILNS1_25lookback_scan_determinismE0ELb0ELb0ES3_N6thrust23THRUST_200600_302600_NS6detail15normal_iteratorINSB_10device_ptrIS6_EEEESG_S6_NSB_4plusIvEES6_EEDaPvRmT3_T4_T5_mT6_P12ihipStream_tbENKUlT_T0_E_clISt17integral_constantIbLb1EESV_IbLb0EEEEDaSR_SS_EUlSR_E0_NS1_11comp_targetILNS1_3genE9ELNS1_11target_archE1100ELNS1_3gpuE3ELNS1_3repE0EEENS1_30default_config_static_selectorELNS0_4arch9wavefront6targetE1EEEvT1_ ; -- Begin function _ZN7rocprim17ROCPRIM_400000_NS6detail17trampoline_kernelINS0_14default_configENS1_20scan_config_selectorI11FixedVectorIiLj1EEEEZZNS1_9scan_implILNS1_25lookback_scan_determinismE0ELb0ELb0ES3_N6thrust23THRUST_200600_302600_NS6detail15normal_iteratorINSB_10device_ptrIS6_EEEESG_S6_NSB_4plusIvEES6_EEDaPvRmT3_T4_T5_mT6_P12ihipStream_tbENKUlT_T0_E_clISt17integral_constantIbLb1EESV_IbLb0EEEEDaSR_SS_EUlSR_E0_NS1_11comp_targetILNS1_3genE9ELNS1_11target_archE1100ELNS1_3gpuE3ELNS1_3repE0EEENS1_30default_config_static_selectorELNS0_4arch9wavefront6targetE1EEEvT1_
	.globl	_ZN7rocprim17ROCPRIM_400000_NS6detail17trampoline_kernelINS0_14default_configENS1_20scan_config_selectorI11FixedVectorIiLj1EEEEZZNS1_9scan_implILNS1_25lookback_scan_determinismE0ELb0ELb0ES3_N6thrust23THRUST_200600_302600_NS6detail15normal_iteratorINSB_10device_ptrIS6_EEEESG_S6_NSB_4plusIvEES6_EEDaPvRmT3_T4_T5_mT6_P12ihipStream_tbENKUlT_T0_E_clISt17integral_constantIbLb1EESV_IbLb0EEEEDaSR_SS_EUlSR_E0_NS1_11comp_targetILNS1_3genE9ELNS1_11target_archE1100ELNS1_3gpuE3ELNS1_3repE0EEENS1_30default_config_static_selectorELNS0_4arch9wavefront6targetE1EEEvT1_
	.p2align	8
	.type	_ZN7rocprim17ROCPRIM_400000_NS6detail17trampoline_kernelINS0_14default_configENS1_20scan_config_selectorI11FixedVectorIiLj1EEEEZZNS1_9scan_implILNS1_25lookback_scan_determinismE0ELb0ELb0ES3_N6thrust23THRUST_200600_302600_NS6detail15normal_iteratorINSB_10device_ptrIS6_EEEESG_S6_NSB_4plusIvEES6_EEDaPvRmT3_T4_T5_mT6_P12ihipStream_tbENKUlT_T0_E_clISt17integral_constantIbLb1EESV_IbLb0EEEEDaSR_SS_EUlSR_E0_NS1_11comp_targetILNS1_3genE9ELNS1_11target_archE1100ELNS1_3gpuE3ELNS1_3repE0EEENS1_30default_config_static_selectorELNS0_4arch9wavefront6targetE1EEEvT1_,@function
_ZN7rocprim17ROCPRIM_400000_NS6detail17trampoline_kernelINS0_14default_configENS1_20scan_config_selectorI11FixedVectorIiLj1EEEEZZNS1_9scan_implILNS1_25lookback_scan_determinismE0ELb0ELb0ES3_N6thrust23THRUST_200600_302600_NS6detail15normal_iteratorINSB_10device_ptrIS6_EEEESG_S6_NSB_4plusIvEES6_EEDaPvRmT3_T4_T5_mT6_P12ihipStream_tbENKUlT_T0_E_clISt17integral_constantIbLb1EESV_IbLb0EEEEDaSR_SS_EUlSR_E0_NS1_11comp_targetILNS1_3genE9ELNS1_11target_archE1100ELNS1_3gpuE3ELNS1_3repE0EEENS1_30default_config_static_selectorELNS0_4arch9wavefront6targetE1EEEvT1_: ; @_ZN7rocprim17ROCPRIM_400000_NS6detail17trampoline_kernelINS0_14default_configENS1_20scan_config_selectorI11FixedVectorIiLj1EEEEZZNS1_9scan_implILNS1_25lookback_scan_determinismE0ELb0ELb0ES3_N6thrust23THRUST_200600_302600_NS6detail15normal_iteratorINSB_10device_ptrIS6_EEEESG_S6_NSB_4plusIvEES6_EEDaPvRmT3_T4_T5_mT6_P12ihipStream_tbENKUlT_T0_E_clISt17integral_constantIbLb1EESV_IbLb0EEEEDaSR_SS_EUlSR_E0_NS1_11comp_targetILNS1_3genE9ELNS1_11target_archE1100ELNS1_3gpuE3ELNS1_3repE0EEENS1_30default_config_static_selectorELNS0_4arch9wavefront6targetE1EEEvT1_
; %bb.0:
	.section	.rodata,"a",@progbits
	.p2align	6, 0x0
	.amdhsa_kernel _ZN7rocprim17ROCPRIM_400000_NS6detail17trampoline_kernelINS0_14default_configENS1_20scan_config_selectorI11FixedVectorIiLj1EEEEZZNS1_9scan_implILNS1_25lookback_scan_determinismE0ELb0ELb0ES3_N6thrust23THRUST_200600_302600_NS6detail15normal_iteratorINSB_10device_ptrIS6_EEEESG_S6_NSB_4plusIvEES6_EEDaPvRmT3_T4_T5_mT6_P12ihipStream_tbENKUlT_T0_E_clISt17integral_constantIbLb1EESV_IbLb0EEEEDaSR_SS_EUlSR_E0_NS1_11comp_targetILNS1_3genE9ELNS1_11target_archE1100ELNS1_3gpuE3ELNS1_3repE0EEENS1_30default_config_static_selectorELNS0_4arch9wavefront6targetE1EEEvT1_
		.amdhsa_group_segment_fixed_size 0
		.amdhsa_private_segment_fixed_size 0
		.amdhsa_kernarg_size 32
		.amdhsa_user_sgpr_count 6
		.amdhsa_user_sgpr_private_segment_buffer 1
		.amdhsa_user_sgpr_dispatch_ptr 0
		.amdhsa_user_sgpr_queue_ptr 0
		.amdhsa_user_sgpr_kernarg_segment_ptr 1
		.amdhsa_user_sgpr_dispatch_id 0
		.amdhsa_user_sgpr_flat_scratch_init 0
		.amdhsa_user_sgpr_kernarg_preload_length 0
		.amdhsa_user_sgpr_kernarg_preload_offset 0
		.amdhsa_user_sgpr_private_segment_size 0
		.amdhsa_uses_dynamic_stack 0
		.amdhsa_system_sgpr_private_segment_wavefront_offset 0
		.amdhsa_system_sgpr_workgroup_id_x 1
		.amdhsa_system_sgpr_workgroup_id_y 0
		.amdhsa_system_sgpr_workgroup_id_z 0
		.amdhsa_system_sgpr_workgroup_info 0
		.amdhsa_system_vgpr_workitem_id 0
		.amdhsa_next_free_vgpr 1
		.amdhsa_next_free_sgpr 0
		.amdhsa_accum_offset 4
		.amdhsa_reserve_vcc 0
		.amdhsa_reserve_flat_scratch 0
		.amdhsa_float_round_mode_32 0
		.amdhsa_float_round_mode_16_64 0
		.amdhsa_float_denorm_mode_32 3
		.amdhsa_float_denorm_mode_16_64 3
		.amdhsa_dx10_clamp 1
		.amdhsa_ieee_mode 1
		.amdhsa_fp16_overflow 0
		.amdhsa_tg_split 0
		.amdhsa_exception_fp_ieee_invalid_op 0
		.amdhsa_exception_fp_denorm_src 0
		.amdhsa_exception_fp_ieee_div_zero 0
		.amdhsa_exception_fp_ieee_overflow 0
		.amdhsa_exception_fp_ieee_underflow 0
		.amdhsa_exception_fp_ieee_inexact 0
		.amdhsa_exception_int_div_zero 0
	.end_amdhsa_kernel
	.section	.text._ZN7rocprim17ROCPRIM_400000_NS6detail17trampoline_kernelINS0_14default_configENS1_20scan_config_selectorI11FixedVectorIiLj1EEEEZZNS1_9scan_implILNS1_25lookback_scan_determinismE0ELb0ELb0ES3_N6thrust23THRUST_200600_302600_NS6detail15normal_iteratorINSB_10device_ptrIS6_EEEESG_S6_NSB_4plusIvEES6_EEDaPvRmT3_T4_T5_mT6_P12ihipStream_tbENKUlT_T0_E_clISt17integral_constantIbLb1EESV_IbLb0EEEEDaSR_SS_EUlSR_E0_NS1_11comp_targetILNS1_3genE9ELNS1_11target_archE1100ELNS1_3gpuE3ELNS1_3repE0EEENS1_30default_config_static_selectorELNS0_4arch9wavefront6targetE1EEEvT1_,"axG",@progbits,_ZN7rocprim17ROCPRIM_400000_NS6detail17trampoline_kernelINS0_14default_configENS1_20scan_config_selectorI11FixedVectorIiLj1EEEEZZNS1_9scan_implILNS1_25lookback_scan_determinismE0ELb0ELb0ES3_N6thrust23THRUST_200600_302600_NS6detail15normal_iteratorINSB_10device_ptrIS6_EEEESG_S6_NSB_4plusIvEES6_EEDaPvRmT3_T4_T5_mT6_P12ihipStream_tbENKUlT_T0_E_clISt17integral_constantIbLb1EESV_IbLb0EEEEDaSR_SS_EUlSR_E0_NS1_11comp_targetILNS1_3genE9ELNS1_11target_archE1100ELNS1_3gpuE3ELNS1_3repE0EEENS1_30default_config_static_selectorELNS0_4arch9wavefront6targetE1EEEvT1_,comdat
.Lfunc_end6441:
	.size	_ZN7rocprim17ROCPRIM_400000_NS6detail17trampoline_kernelINS0_14default_configENS1_20scan_config_selectorI11FixedVectorIiLj1EEEEZZNS1_9scan_implILNS1_25lookback_scan_determinismE0ELb0ELb0ES3_N6thrust23THRUST_200600_302600_NS6detail15normal_iteratorINSB_10device_ptrIS6_EEEESG_S6_NSB_4plusIvEES6_EEDaPvRmT3_T4_T5_mT6_P12ihipStream_tbENKUlT_T0_E_clISt17integral_constantIbLb1EESV_IbLb0EEEEDaSR_SS_EUlSR_E0_NS1_11comp_targetILNS1_3genE9ELNS1_11target_archE1100ELNS1_3gpuE3ELNS1_3repE0EEENS1_30default_config_static_selectorELNS0_4arch9wavefront6targetE1EEEvT1_, .Lfunc_end6441-_ZN7rocprim17ROCPRIM_400000_NS6detail17trampoline_kernelINS0_14default_configENS1_20scan_config_selectorI11FixedVectorIiLj1EEEEZZNS1_9scan_implILNS1_25lookback_scan_determinismE0ELb0ELb0ES3_N6thrust23THRUST_200600_302600_NS6detail15normal_iteratorINSB_10device_ptrIS6_EEEESG_S6_NSB_4plusIvEES6_EEDaPvRmT3_T4_T5_mT6_P12ihipStream_tbENKUlT_T0_E_clISt17integral_constantIbLb1EESV_IbLb0EEEEDaSR_SS_EUlSR_E0_NS1_11comp_targetILNS1_3genE9ELNS1_11target_archE1100ELNS1_3gpuE3ELNS1_3repE0EEENS1_30default_config_static_selectorELNS0_4arch9wavefront6targetE1EEEvT1_
                                        ; -- End function
	.section	.AMDGPU.csdata,"",@progbits
; Kernel info:
; codeLenInByte = 0
; NumSgprs: 4
; NumVgprs: 0
; NumAgprs: 0
; TotalNumVgprs: 0
; ScratchSize: 0
; MemoryBound: 0
; FloatMode: 240
; IeeeMode: 1
; LDSByteSize: 0 bytes/workgroup (compile time only)
; SGPRBlocks: 0
; VGPRBlocks: 0
; NumSGPRsForWavesPerEU: 4
; NumVGPRsForWavesPerEU: 1
; AccumOffset: 4
; Occupancy: 8
; WaveLimiterHint : 0
; COMPUTE_PGM_RSRC2:SCRATCH_EN: 0
; COMPUTE_PGM_RSRC2:USER_SGPR: 6
; COMPUTE_PGM_RSRC2:TRAP_HANDLER: 0
; COMPUTE_PGM_RSRC2:TGID_X_EN: 1
; COMPUTE_PGM_RSRC2:TGID_Y_EN: 0
; COMPUTE_PGM_RSRC2:TGID_Z_EN: 0
; COMPUTE_PGM_RSRC2:TIDIG_COMP_CNT: 0
; COMPUTE_PGM_RSRC3_GFX90A:ACCUM_OFFSET: 0
; COMPUTE_PGM_RSRC3_GFX90A:TG_SPLIT: 0
	.section	.text._ZN7rocprim17ROCPRIM_400000_NS6detail17trampoline_kernelINS0_14default_configENS1_20scan_config_selectorI11FixedVectorIiLj1EEEEZZNS1_9scan_implILNS1_25lookback_scan_determinismE0ELb0ELb0ES3_N6thrust23THRUST_200600_302600_NS6detail15normal_iteratorINSB_10device_ptrIS6_EEEESG_S6_NSB_4plusIvEES6_EEDaPvRmT3_T4_T5_mT6_P12ihipStream_tbENKUlT_T0_E_clISt17integral_constantIbLb1EESV_IbLb0EEEEDaSR_SS_EUlSR_E0_NS1_11comp_targetILNS1_3genE8ELNS1_11target_archE1030ELNS1_3gpuE2ELNS1_3repE0EEENS1_30default_config_static_selectorELNS0_4arch9wavefront6targetE1EEEvT1_,"axG",@progbits,_ZN7rocprim17ROCPRIM_400000_NS6detail17trampoline_kernelINS0_14default_configENS1_20scan_config_selectorI11FixedVectorIiLj1EEEEZZNS1_9scan_implILNS1_25lookback_scan_determinismE0ELb0ELb0ES3_N6thrust23THRUST_200600_302600_NS6detail15normal_iteratorINSB_10device_ptrIS6_EEEESG_S6_NSB_4plusIvEES6_EEDaPvRmT3_T4_T5_mT6_P12ihipStream_tbENKUlT_T0_E_clISt17integral_constantIbLb1EESV_IbLb0EEEEDaSR_SS_EUlSR_E0_NS1_11comp_targetILNS1_3genE8ELNS1_11target_archE1030ELNS1_3gpuE2ELNS1_3repE0EEENS1_30default_config_static_selectorELNS0_4arch9wavefront6targetE1EEEvT1_,comdat
	.protected	_ZN7rocprim17ROCPRIM_400000_NS6detail17trampoline_kernelINS0_14default_configENS1_20scan_config_selectorI11FixedVectorIiLj1EEEEZZNS1_9scan_implILNS1_25lookback_scan_determinismE0ELb0ELb0ES3_N6thrust23THRUST_200600_302600_NS6detail15normal_iteratorINSB_10device_ptrIS6_EEEESG_S6_NSB_4plusIvEES6_EEDaPvRmT3_T4_T5_mT6_P12ihipStream_tbENKUlT_T0_E_clISt17integral_constantIbLb1EESV_IbLb0EEEEDaSR_SS_EUlSR_E0_NS1_11comp_targetILNS1_3genE8ELNS1_11target_archE1030ELNS1_3gpuE2ELNS1_3repE0EEENS1_30default_config_static_selectorELNS0_4arch9wavefront6targetE1EEEvT1_ ; -- Begin function _ZN7rocprim17ROCPRIM_400000_NS6detail17trampoline_kernelINS0_14default_configENS1_20scan_config_selectorI11FixedVectorIiLj1EEEEZZNS1_9scan_implILNS1_25lookback_scan_determinismE0ELb0ELb0ES3_N6thrust23THRUST_200600_302600_NS6detail15normal_iteratorINSB_10device_ptrIS6_EEEESG_S6_NSB_4plusIvEES6_EEDaPvRmT3_T4_T5_mT6_P12ihipStream_tbENKUlT_T0_E_clISt17integral_constantIbLb1EESV_IbLb0EEEEDaSR_SS_EUlSR_E0_NS1_11comp_targetILNS1_3genE8ELNS1_11target_archE1030ELNS1_3gpuE2ELNS1_3repE0EEENS1_30default_config_static_selectorELNS0_4arch9wavefront6targetE1EEEvT1_
	.globl	_ZN7rocprim17ROCPRIM_400000_NS6detail17trampoline_kernelINS0_14default_configENS1_20scan_config_selectorI11FixedVectorIiLj1EEEEZZNS1_9scan_implILNS1_25lookback_scan_determinismE0ELb0ELb0ES3_N6thrust23THRUST_200600_302600_NS6detail15normal_iteratorINSB_10device_ptrIS6_EEEESG_S6_NSB_4plusIvEES6_EEDaPvRmT3_T4_T5_mT6_P12ihipStream_tbENKUlT_T0_E_clISt17integral_constantIbLb1EESV_IbLb0EEEEDaSR_SS_EUlSR_E0_NS1_11comp_targetILNS1_3genE8ELNS1_11target_archE1030ELNS1_3gpuE2ELNS1_3repE0EEENS1_30default_config_static_selectorELNS0_4arch9wavefront6targetE1EEEvT1_
	.p2align	8
	.type	_ZN7rocprim17ROCPRIM_400000_NS6detail17trampoline_kernelINS0_14default_configENS1_20scan_config_selectorI11FixedVectorIiLj1EEEEZZNS1_9scan_implILNS1_25lookback_scan_determinismE0ELb0ELb0ES3_N6thrust23THRUST_200600_302600_NS6detail15normal_iteratorINSB_10device_ptrIS6_EEEESG_S6_NSB_4plusIvEES6_EEDaPvRmT3_T4_T5_mT6_P12ihipStream_tbENKUlT_T0_E_clISt17integral_constantIbLb1EESV_IbLb0EEEEDaSR_SS_EUlSR_E0_NS1_11comp_targetILNS1_3genE8ELNS1_11target_archE1030ELNS1_3gpuE2ELNS1_3repE0EEENS1_30default_config_static_selectorELNS0_4arch9wavefront6targetE1EEEvT1_,@function
_ZN7rocprim17ROCPRIM_400000_NS6detail17trampoline_kernelINS0_14default_configENS1_20scan_config_selectorI11FixedVectorIiLj1EEEEZZNS1_9scan_implILNS1_25lookback_scan_determinismE0ELb0ELb0ES3_N6thrust23THRUST_200600_302600_NS6detail15normal_iteratorINSB_10device_ptrIS6_EEEESG_S6_NSB_4plusIvEES6_EEDaPvRmT3_T4_T5_mT6_P12ihipStream_tbENKUlT_T0_E_clISt17integral_constantIbLb1EESV_IbLb0EEEEDaSR_SS_EUlSR_E0_NS1_11comp_targetILNS1_3genE8ELNS1_11target_archE1030ELNS1_3gpuE2ELNS1_3repE0EEENS1_30default_config_static_selectorELNS0_4arch9wavefront6targetE1EEEvT1_: ; @_ZN7rocprim17ROCPRIM_400000_NS6detail17trampoline_kernelINS0_14default_configENS1_20scan_config_selectorI11FixedVectorIiLj1EEEEZZNS1_9scan_implILNS1_25lookback_scan_determinismE0ELb0ELb0ES3_N6thrust23THRUST_200600_302600_NS6detail15normal_iteratorINSB_10device_ptrIS6_EEEESG_S6_NSB_4plusIvEES6_EEDaPvRmT3_T4_T5_mT6_P12ihipStream_tbENKUlT_T0_E_clISt17integral_constantIbLb1EESV_IbLb0EEEEDaSR_SS_EUlSR_E0_NS1_11comp_targetILNS1_3genE8ELNS1_11target_archE1030ELNS1_3gpuE2ELNS1_3repE0EEENS1_30default_config_static_selectorELNS0_4arch9wavefront6targetE1EEEvT1_
; %bb.0:
	.section	.rodata,"a",@progbits
	.p2align	6, 0x0
	.amdhsa_kernel _ZN7rocprim17ROCPRIM_400000_NS6detail17trampoline_kernelINS0_14default_configENS1_20scan_config_selectorI11FixedVectorIiLj1EEEEZZNS1_9scan_implILNS1_25lookback_scan_determinismE0ELb0ELb0ES3_N6thrust23THRUST_200600_302600_NS6detail15normal_iteratorINSB_10device_ptrIS6_EEEESG_S6_NSB_4plusIvEES6_EEDaPvRmT3_T4_T5_mT6_P12ihipStream_tbENKUlT_T0_E_clISt17integral_constantIbLb1EESV_IbLb0EEEEDaSR_SS_EUlSR_E0_NS1_11comp_targetILNS1_3genE8ELNS1_11target_archE1030ELNS1_3gpuE2ELNS1_3repE0EEENS1_30default_config_static_selectorELNS0_4arch9wavefront6targetE1EEEvT1_
		.amdhsa_group_segment_fixed_size 0
		.amdhsa_private_segment_fixed_size 0
		.amdhsa_kernarg_size 32
		.amdhsa_user_sgpr_count 6
		.amdhsa_user_sgpr_private_segment_buffer 1
		.amdhsa_user_sgpr_dispatch_ptr 0
		.amdhsa_user_sgpr_queue_ptr 0
		.amdhsa_user_sgpr_kernarg_segment_ptr 1
		.amdhsa_user_sgpr_dispatch_id 0
		.amdhsa_user_sgpr_flat_scratch_init 0
		.amdhsa_user_sgpr_kernarg_preload_length 0
		.amdhsa_user_sgpr_kernarg_preload_offset 0
		.amdhsa_user_sgpr_private_segment_size 0
		.amdhsa_uses_dynamic_stack 0
		.amdhsa_system_sgpr_private_segment_wavefront_offset 0
		.amdhsa_system_sgpr_workgroup_id_x 1
		.amdhsa_system_sgpr_workgroup_id_y 0
		.amdhsa_system_sgpr_workgroup_id_z 0
		.amdhsa_system_sgpr_workgroup_info 0
		.amdhsa_system_vgpr_workitem_id 0
		.amdhsa_next_free_vgpr 1
		.amdhsa_next_free_sgpr 0
		.amdhsa_accum_offset 4
		.amdhsa_reserve_vcc 0
		.amdhsa_reserve_flat_scratch 0
		.amdhsa_float_round_mode_32 0
		.amdhsa_float_round_mode_16_64 0
		.amdhsa_float_denorm_mode_32 3
		.amdhsa_float_denorm_mode_16_64 3
		.amdhsa_dx10_clamp 1
		.amdhsa_ieee_mode 1
		.amdhsa_fp16_overflow 0
		.amdhsa_tg_split 0
		.amdhsa_exception_fp_ieee_invalid_op 0
		.amdhsa_exception_fp_denorm_src 0
		.amdhsa_exception_fp_ieee_div_zero 0
		.amdhsa_exception_fp_ieee_overflow 0
		.amdhsa_exception_fp_ieee_underflow 0
		.amdhsa_exception_fp_ieee_inexact 0
		.amdhsa_exception_int_div_zero 0
	.end_amdhsa_kernel
	.section	.text._ZN7rocprim17ROCPRIM_400000_NS6detail17trampoline_kernelINS0_14default_configENS1_20scan_config_selectorI11FixedVectorIiLj1EEEEZZNS1_9scan_implILNS1_25lookback_scan_determinismE0ELb0ELb0ES3_N6thrust23THRUST_200600_302600_NS6detail15normal_iteratorINSB_10device_ptrIS6_EEEESG_S6_NSB_4plusIvEES6_EEDaPvRmT3_T4_T5_mT6_P12ihipStream_tbENKUlT_T0_E_clISt17integral_constantIbLb1EESV_IbLb0EEEEDaSR_SS_EUlSR_E0_NS1_11comp_targetILNS1_3genE8ELNS1_11target_archE1030ELNS1_3gpuE2ELNS1_3repE0EEENS1_30default_config_static_selectorELNS0_4arch9wavefront6targetE1EEEvT1_,"axG",@progbits,_ZN7rocprim17ROCPRIM_400000_NS6detail17trampoline_kernelINS0_14default_configENS1_20scan_config_selectorI11FixedVectorIiLj1EEEEZZNS1_9scan_implILNS1_25lookback_scan_determinismE0ELb0ELb0ES3_N6thrust23THRUST_200600_302600_NS6detail15normal_iteratorINSB_10device_ptrIS6_EEEESG_S6_NSB_4plusIvEES6_EEDaPvRmT3_T4_T5_mT6_P12ihipStream_tbENKUlT_T0_E_clISt17integral_constantIbLb1EESV_IbLb0EEEEDaSR_SS_EUlSR_E0_NS1_11comp_targetILNS1_3genE8ELNS1_11target_archE1030ELNS1_3gpuE2ELNS1_3repE0EEENS1_30default_config_static_selectorELNS0_4arch9wavefront6targetE1EEEvT1_,comdat
.Lfunc_end6442:
	.size	_ZN7rocprim17ROCPRIM_400000_NS6detail17trampoline_kernelINS0_14default_configENS1_20scan_config_selectorI11FixedVectorIiLj1EEEEZZNS1_9scan_implILNS1_25lookback_scan_determinismE0ELb0ELb0ES3_N6thrust23THRUST_200600_302600_NS6detail15normal_iteratorINSB_10device_ptrIS6_EEEESG_S6_NSB_4plusIvEES6_EEDaPvRmT3_T4_T5_mT6_P12ihipStream_tbENKUlT_T0_E_clISt17integral_constantIbLb1EESV_IbLb0EEEEDaSR_SS_EUlSR_E0_NS1_11comp_targetILNS1_3genE8ELNS1_11target_archE1030ELNS1_3gpuE2ELNS1_3repE0EEENS1_30default_config_static_selectorELNS0_4arch9wavefront6targetE1EEEvT1_, .Lfunc_end6442-_ZN7rocprim17ROCPRIM_400000_NS6detail17trampoline_kernelINS0_14default_configENS1_20scan_config_selectorI11FixedVectorIiLj1EEEEZZNS1_9scan_implILNS1_25lookback_scan_determinismE0ELb0ELb0ES3_N6thrust23THRUST_200600_302600_NS6detail15normal_iteratorINSB_10device_ptrIS6_EEEESG_S6_NSB_4plusIvEES6_EEDaPvRmT3_T4_T5_mT6_P12ihipStream_tbENKUlT_T0_E_clISt17integral_constantIbLb1EESV_IbLb0EEEEDaSR_SS_EUlSR_E0_NS1_11comp_targetILNS1_3genE8ELNS1_11target_archE1030ELNS1_3gpuE2ELNS1_3repE0EEENS1_30default_config_static_selectorELNS0_4arch9wavefront6targetE1EEEvT1_
                                        ; -- End function
	.section	.AMDGPU.csdata,"",@progbits
; Kernel info:
; codeLenInByte = 0
; NumSgprs: 4
; NumVgprs: 0
; NumAgprs: 0
; TotalNumVgprs: 0
; ScratchSize: 0
; MemoryBound: 0
; FloatMode: 240
; IeeeMode: 1
; LDSByteSize: 0 bytes/workgroup (compile time only)
; SGPRBlocks: 0
; VGPRBlocks: 0
; NumSGPRsForWavesPerEU: 4
; NumVGPRsForWavesPerEU: 1
; AccumOffset: 4
; Occupancy: 8
; WaveLimiterHint : 0
; COMPUTE_PGM_RSRC2:SCRATCH_EN: 0
; COMPUTE_PGM_RSRC2:USER_SGPR: 6
; COMPUTE_PGM_RSRC2:TRAP_HANDLER: 0
; COMPUTE_PGM_RSRC2:TGID_X_EN: 1
; COMPUTE_PGM_RSRC2:TGID_Y_EN: 0
; COMPUTE_PGM_RSRC2:TGID_Z_EN: 0
; COMPUTE_PGM_RSRC2:TIDIG_COMP_CNT: 0
; COMPUTE_PGM_RSRC3_GFX90A:ACCUM_OFFSET: 0
; COMPUTE_PGM_RSRC3_GFX90A:TG_SPLIT: 0
	.section	.text._ZN7rocprim17ROCPRIM_400000_NS6detail31init_lookback_scan_state_kernelINS1_19lookback_scan_stateI11FixedVectorIiLj1EELb0ELb1EEENS1_16block_id_wrapperIjLb1EEEEEvT_jT0_jPNS9_10value_typeE,"axG",@progbits,_ZN7rocprim17ROCPRIM_400000_NS6detail31init_lookback_scan_state_kernelINS1_19lookback_scan_stateI11FixedVectorIiLj1EELb0ELb1EEENS1_16block_id_wrapperIjLb1EEEEEvT_jT0_jPNS9_10value_typeE,comdat
	.protected	_ZN7rocprim17ROCPRIM_400000_NS6detail31init_lookback_scan_state_kernelINS1_19lookback_scan_stateI11FixedVectorIiLj1EELb0ELb1EEENS1_16block_id_wrapperIjLb1EEEEEvT_jT0_jPNS9_10value_typeE ; -- Begin function _ZN7rocprim17ROCPRIM_400000_NS6detail31init_lookback_scan_state_kernelINS1_19lookback_scan_stateI11FixedVectorIiLj1EELb0ELb1EEENS1_16block_id_wrapperIjLb1EEEEEvT_jT0_jPNS9_10value_typeE
	.globl	_ZN7rocprim17ROCPRIM_400000_NS6detail31init_lookback_scan_state_kernelINS1_19lookback_scan_stateI11FixedVectorIiLj1EELb0ELb1EEENS1_16block_id_wrapperIjLb1EEEEEvT_jT0_jPNS9_10value_typeE
	.p2align	8
	.type	_ZN7rocprim17ROCPRIM_400000_NS6detail31init_lookback_scan_state_kernelINS1_19lookback_scan_stateI11FixedVectorIiLj1EELb0ELb1EEENS1_16block_id_wrapperIjLb1EEEEEvT_jT0_jPNS9_10value_typeE,@function
_ZN7rocprim17ROCPRIM_400000_NS6detail31init_lookback_scan_state_kernelINS1_19lookback_scan_stateI11FixedVectorIiLj1EELb0ELb1EEENS1_16block_id_wrapperIjLb1EEEEEvT_jT0_jPNS9_10value_typeE: ; @_ZN7rocprim17ROCPRIM_400000_NS6detail31init_lookback_scan_state_kernelINS1_19lookback_scan_stateI11FixedVectorIiLj1EELb0ELb1EEENS1_16block_id_wrapperIjLb1EEEEEvT_jT0_jPNS9_10value_typeE
; %bb.0:
	s_load_dword s7, s[4:5], 0x34
	s_load_dwordx2 s[2:3], s[4:5], 0x20
	s_load_dwordx2 s[0:1], s[4:5], 0x0
	s_load_dword s10, s[4:5], 0x8
	s_waitcnt lgkmcnt(0)
	s_and_b32 s7, s7, 0xffff
	s_mul_i32 s6, s6, s7
	s_cmp_eq_u64 s[2:3], 0
	v_add_u32_e32 v0, s6, v0
	s_cbranch_scc1 .LBB6443_6
; %bb.1:
	s_load_dword s8, s[4:5], 0x18
	s_mov_b32 s9, 0
	s_waitcnt lgkmcnt(0)
	s_cmp_lt_u32 s8, s10
	s_cselect_b32 s6, s8, 0
	v_cmp_eq_u32_e32 vcc, s6, v0
	s_and_saveexec_b64 s[6:7], vcc
	s_cbranch_execz .LBB6443_5
; %bb.2:
	s_add_i32 s8, s8, 64
	s_lshl_b64 s[8:9], s[8:9], 3
	s_add_u32 s8, s0, s8
	s_addc_u32 s9, s1, s9
	v_mov_b32_e32 v4, 0
	global_load_dwordx2 v[2:3], v4, s[8:9] glc
	s_waitcnt vmcnt(0)
	v_and_b32_e32 v5, 0xff, v3
	v_cmp_ne_u64_e32 vcc, 0, v[4:5]
	s_cbranch_vccnz .LBB6443_4
.LBB6443_3:                             ; =>This Inner Loop Header: Depth=1
	global_load_dwordx2 v[2:3], v4, s[8:9] glc
	s_waitcnt vmcnt(0)
	v_and_b32_e32 v5, 0xff, v3
	v_cmp_eq_u64_e32 vcc, 0, v[4:5]
	s_cbranch_vccnz .LBB6443_3
.LBB6443_4:
	v_mov_b32_e32 v1, 0
	global_store_dword v1, v2, s[2:3]
.LBB6443_5:
	s_or_b64 exec, exec, s[6:7]
.LBB6443_6:
	v_cmp_eq_u32_e32 vcc, 0, v0
	s_and_saveexec_b64 s[2:3], vcc
	s_cbranch_execnz .LBB6443_10
; %bb.7:
	s_or_b64 exec, exec, s[2:3]
	v_cmp_gt_u32_e32 vcc, s10, v0
	s_and_saveexec_b64 s[2:3], vcc
	s_cbranch_execnz .LBB6443_11
.LBB6443_8:
	s_or_b64 exec, exec, s[2:3]
	v_cmp_gt_u32_e32 vcc, 64, v0
	s_and_saveexec_b64 s[2:3], vcc
	s_cbranch_execnz .LBB6443_12
.LBB6443_9:
	s_endpgm
.LBB6443_10:
	s_load_dwordx2 s[4:5], s[4:5], 0x10
	v_mov_b32_e32 v1, 0
	s_waitcnt lgkmcnt(0)
	global_store_dword v1, v1, s[4:5]
	s_or_b64 exec, exec, s[2:3]
	v_cmp_gt_u32_e32 vcc, s10, v0
	s_and_saveexec_b64 s[2:3], vcc
	s_cbranch_execz .LBB6443_8
.LBB6443_11:
	v_add_u32_e32 v2, 64, v0
	v_mov_b32_e32 v3, 0
	v_lshlrev_b64 v[4:5], 3, v[2:3]
	v_mov_b32_e32 v1, s1
	v_add_co_u32_e32 v4, vcc, s0, v4
	v_addc_co_u32_e32 v5, vcc, v1, v5, vcc
	v_mov_b32_e32 v2, v3
	global_store_dwordx2 v[4:5], v[2:3], off
	s_or_b64 exec, exec, s[2:3]
	v_cmp_gt_u32_e32 vcc, 64, v0
	s_and_saveexec_b64 s[2:3], vcc
	s_cbranch_execz .LBB6443_9
.LBB6443_12:
	v_mov_b32_e32 v1, 0
	v_lshlrev_b64 v[2:3], 3, v[0:1]
	v_mov_b32_e32 v0, s1
	v_add_co_u32_e32 v2, vcc, s0, v2
	v_addc_co_u32_e32 v3, vcc, v0, v3, vcc
	v_mov_b32_e32 v5, 0xff
	v_mov_b32_e32 v4, v1
	global_store_dwordx2 v[2:3], v[4:5], off
	s_endpgm
	.section	.rodata,"a",@progbits
	.p2align	6, 0x0
	.amdhsa_kernel _ZN7rocprim17ROCPRIM_400000_NS6detail31init_lookback_scan_state_kernelINS1_19lookback_scan_stateI11FixedVectorIiLj1EELb0ELb1EEENS1_16block_id_wrapperIjLb1EEEEEvT_jT0_jPNS9_10value_typeE
		.amdhsa_group_segment_fixed_size 0
		.amdhsa_private_segment_fixed_size 0
		.amdhsa_kernarg_size 296
		.amdhsa_user_sgpr_count 6
		.amdhsa_user_sgpr_private_segment_buffer 1
		.amdhsa_user_sgpr_dispatch_ptr 0
		.amdhsa_user_sgpr_queue_ptr 0
		.amdhsa_user_sgpr_kernarg_segment_ptr 1
		.amdhsa_user_sgpr_dispatch_id 0
		.amdhsa_user_sgpr_flat_scratch_init 0
		.amdhsa_user_sgpr_kernarg_preload_length 0
		.amdhsa_user_sgpr_kernarg_preload_offset 0
		.amdhsa_user_sgpr_private_segment_size 0
		.amdhsa_uses_dynamic_stack 0
		.amdhsa_system_sgpr_private_segment_wavefront_offset 0
		.amdhsa_system_sgpr_workgroup_id_x 1
		.amdhsa_system_sgpr_workgroup_id_y 0
		.amdhsa_system_sgpr_workgroup_id_z 0
		.amdhsa_system_sgpr_workgroup_info 0
		.amdhsa_system_vgpr_workitem_id 0
		.amdhsa_next_free_vgpr 6
		.amdhsa_next_free_sgpr 11
		.amdhsa_accum_offset 8
		.amdhsa_reserve_vcc 1
		.amdhsa_reserve_flat_scratch 0
		.amdhsa_float_round_mode_32 0
		.amdhsa_float_round_mode_16_64 0
		.amdhsa_float_denorm_mode_32 3
		.amdhsa_float_denorm_mode_16_64 3
		.amdhsa_dx10_clamp 1
		.amdhsa_ieee_mode 1
		.amdhsa_fp16_overflow 0
		.amdhsa_tg_split 0
		.amdhsa_exception_fp_ieee_invalid_op 0
		.amdhsa_exception_fp_denorm_src 0
		.amdhsa_exception_fp_ieee_div_zero 0
		.amdhsa_exception_fp_ieee_overflow 0
		.amdhsa_exception_fp_ieee_underflow 0
		.amdhsa_exception_fp_ieee_inexact 0
		.amdhsa_exception_int_div_zero 0
	.end_amdhsa_kernel
	.section	.text._ZN7rocprim17ROCPRIM_400000_NS6detail31init_lookback_scan_state_kernelINS1_19lookback_scan_stateI11FixedVectorIiLj1EELb0ELb1EEENS1_16block_id_wrapperIjLb1EEEEEvT_jT0_jPNS9_10value_typeE,"axG",@progbits,_ZN7rocprim17ROCPRIM_400000_NS6detail31init_lookback_scan_state_kernelINS1_19lookback_scan_stateI11FixedVectorIiLj1EELb0ELb1EEENS1_16block_id_wrapperIjLb1EEEEEvT_jT0_jPNS9_10value_typeE,comdat
.Lfunc_end6443:
	.size	_ZN7rocprim17ROCPRIM_400000_NS6detail31init_lookback_scan_state_kernelINS1_19lookback_scan_stateI11FixedVectorIiLj1EELb0ELb1EEENS1_16block_id_wrapperIjLb1EEEEEvT_jT0_jPNS9_10value_typeE, .Lfunc_end6443-_ZN7rocprim17ROCPRIM_400000_NS6detail31init_lookback_scan_state_kernelINS1_19lookback_scan_stateI11FixedVectorIiLj1EELb0ELb1EEENS1_16block_id_wrapperIjLb1EEEEEvT_jT0_jPNS9_10value_typeE
                                        ; -- End function
	.section	.AMDGPU.csdata,"",@progbits
; Kernel info:
; codeLenInByte = 380
; NumSgprs: 15
; NumVgprs: 6
; NumAgprs: 0
; TotalNumVgprs: 6
; ScratchSize: 0
; MemoryBound: 0
; FloatMode: 240
; IeeeMode: 1
; LDSByteSize: 0 bytes/workgroup (compile time only)
; SGPRBlocks: 1
; VGPRBlocks: 0
; NumSGPRsForWavesPerEU: 15
; NumVGPRsForWavesPerEU: 6
; AccumOffset: 8
; Occupancy: 8
; WaveLimiterHint : 0
; COMPUTE_PGM_RSRC2:SCRATCH_EN: 0
; COMPUTE_PGM_RSRC2:USER_SGPR: 6
; COMPUTE_PGM_RSRC2:TRAP_HANDLER: 0
; COMPUTE_PGM_RSRC2:TGID_X_EN: 1
; COMPUTE_PGM_RSRC2:TGID_Y_EN: 0
; COMPUTE_PGM_RSRC2:TGID_Z_EN: 0
; COMPUTE_PGM_RSRC2:TIDIG_COMP_CNT: 0
; COMPUTE_PGM_RSRC3_GFX90A:ACCUM_OFFSET: 1
; COMPUTE_PGM_RSRC3_GFX90A:TG_SPLIT: 0
	.section	.text._ZN7rocprim17ROCPRIM_400000_NS6detail17trampoline_kernelINS0_14default_configENS1_20scan_config_selectorI11FixedVectorIiLj1EEEEZZNS1_9scan_implILNS1_25lookback_scan_determinismE0ELb0ELb0ES3_N6thrust23THRUST_200600_302600_NS6detail15normal_iteratorINSB_10device_ptrIS6_EEEESG_S6_NSB_4plusIvEES6_EEDaPvRmT3_T4_T5_mT6_P12ihipStream_tbENKUlT_T0_E_clISt17integral_constantIbLb0EESV_IbLb1EEEEDaSR_SS_EUlSR_E_NS1_11comp_targetILNS1_3genE0ELNS1_11target_archE4294967295ELNS1_3gpuE0ELNS1_3repE0EEENS1_30default_config_static_selectorELNS0_4arch9wavefront6targetE1EEEvT1_,"axG",@progbits,_ZN7rocprim17ROCPRIM_400000_NS6detail17trampoline_kernelINS0_14default_configENS1_20scan_config_selectorI11FixedVectorIiLj1EEEEZZNS1_9scan_implILNS1_25lookback_scan_determinismE0ELb0ELb0ES3_N6thrust23THRUST_200600_302600_NS6detail15normal_iteratorINSB_10device_ptrIS6_EEEESG_S6_NSB_4plusIvEES6_EEDaPvRmT3_T4_T5_mT6_P12ihipStream_tbENKUlT_T0_E_clISt17integral_constantIbLb0EESV_IbLb1EEEEDaSR_SS_EUlSR_E_NS1_11comp_targetILNS1_3genE0ELNS1_11target_archE4294967295ELNS1_3gpuE0ELNS1_3repE0EEENS1_30default_config_static_selectorELNS0_4arch9wavefront6targetE1EEEvT1_,comdat
	.protected	_ZN7rocprim17ROCPRIM_400000_NS6detail17trampoline_kernelINS0_14default_configENS1_20scan_config_selectorI11FixedVectorIiLj1EEEEZZNS1_9scan_implILNS1_25lookback_scan_determinismE0ELb0ELb0ES3_N6thrust23THRUST_200600_302600_NS6detail15normal_iteratorINSB_10device_ptrIS6_EEEESG_S6_NSB_4plusIvEES6_EEDaPvRmT3_T4_T5_mT6_P12ihipStream_tbENKUlT_T0_E_clISt17integral_constantIbLb0EESV_IbLb1EEEEDaSR_SS_EUlSR_E_NS1_11comp_targetILNS1_3genE0ELNS1_11target_archE4294967295ELNS1_3gpuE0ELNS1_3repE0EEENS1_30default_config_static_selectorELNS0_4arch9wavefront6targetE1EEEvT1_ ; -- Begin function _ZN7rocprim17ROCPRIM_400000_NS6detail17trampoline_kernelINS0_14default_configENS1_20scan_config_selectorI11FixedVectorIiLj1EEEEZZNS1_9scan_implILNS1_25lookback_scan_determinismE0ELb0ELb0ES3_N6thrust23THRUST_200600_302600_NS6detail15normal_iteratorINSB_10device_ptrIS6_EEEESG_S6_NSB_4plusIvEES6_EEDaPvRmT3_T4_T5_mT6_P12ihipStream_tbENKUlT_T0_E_clISt17integral_constantIbLb0EESV_IbLb1EEEEDaSR_SS_EUlSR_E_NS1_11comp_targetILNS1_3genE0ELNS1_11target_archE4294967295ELNS1_3gpuE0ELNS1_3repE0EEENS1_30default_config_static_selectorELNS0_4arch9wavefront6targetE1EEEvT1_
	.globl	_ZN7rocprim17ROCPRIM_400000_NS6detail17trampoline_kernelINS0_14default_configENS1_20scan_config_selectorI11FixedVectorIiLj1EEEEZZNS1_9scan_implILNS1_25lookback_scan_determinismE0ELb0ELb0ES3_N6thrust23THRUST_200600_302600_NS6detail15normal_iteratorINSB_10device_ptrIS6_EEEESG_S6_NSB_4plusIvEES6_EEDaPvRmT3_T4_T5_mT6_P12ihipStream_tbENKUlT_T0_E_clISt17integral_constantIbLb0EESV_IbLb1EEEEDaSR_SS_EUlSR_E_NS1_11comp_targetILNS1_3genE0ELNS1_11target_archE4294967295ELNS1_3gpuE0ELNS1_3repE0EEENS1_30default_config_static_selectorELNS0_4arch9wavefront6targetE1EEEvT1_
	.p2align	8
	.type	_ZN7rocprim17ROCPRIM_400000_NS6detail17trampoline_kernelINS0_14default_configENS1_20scan_config_selectorI11FixedVectorIiLj1EEEEZZNS1_9scan_implILNS1_25lookback_scan_determinismE0ELb0ELb0ES3_N6thrust23THRUST_200600_302600_NS6detail15normal_iteratorINSB_10device_ptrIS6_EEEESG_S6_NSB_4plusIvEES6_EEDaPvRmT3_T4_T5_mT6_P12ihipStream_tbENKUlT_T0_E_clISt17integral_constantIbLb0EESV_IbLb1EEEEDaSR_SS_EUlSR_E_NS1_11comp_targetILNS1_3genE0ELNS1_11target_archE4294967295ELNS1_3gpuE0ELNS1_3repE0EEENS1_30default_config_static_selectorELNS0_4arch9wavefront6targetE1EEEvT1_,@function
_ZN7rocprim17ROCPRIM_400000_NS6detail17trampoline_kernelINS0_14default_configENS1_20scan_config_selectorI11FixedVectorIiLj1EEEEZZNS1_9scan_implILNS1_25lookback_scan_determinismE0ELb0ELb0ES3_N6thrust23THRUST_200600_302600_NS6detail15normal_iteratorINSB_10device_ptrIS6_EEEESG_S6_NSB_4plusIvEES6_EEDaPvRmT3_T4_T5_mT6_P12ihipStream_tbENKUlT_T0_E_clISt17integral_constantIbLb0EESV_IbLb1EEEEDaSR_SS_EUlSR_E_NS1_11comp_targetILNS1_3genE0ELNS1_11target_archE4294967295ELNS1_3gpuE0ELNS1_3repE0EEENS1_30default_config_static_selectorELNS0_4arch9wavefront6targetE1EEEvT1_: ; @_ZN7rocprim17ROCPRIM_400000_NS6detail17trampoline_kernelINS0_14default_configENS1_20scan_config_selectorI11FixedVectorIiLj1EEEEZZNS1_9scan_implILNS1_25lookback_scan_determinismE0ELb0ELb0ES3_N6thrust23THRUST_200600_302600_NS6detail15normal_iteratorINSB_10device_ptrIS6_EEEESG_S6_NSB_4plusIvEES6_EEDaPvRmT3_T4_T5_mT6_P12ihipStream_tbENKUlT_T0_E_clISt17integral_constantIbLb0EESV_IbLb1EEEEDaSR_SS_EUlSR_E_NS1_11comp_targetILNS1_3genE0ELNS1_11target_archE4294967295ELNS1_3gpuE0ELNS1_3repE0EEENS1_30default_config_static_selectorELNS0_4arch9wavefront6targetE1EEEvT1_
; %bb.0:
	.section	.rodata,"a",@progbits
	.p2align	6, 0x0
	.amdhsa_kernel _ZN7rocprim17ROCPRIM_400000_NS6detail17trampoline_kernelINS0_14default_configENS1_20scan_config_selectorI11FixedVectorIiLj1EEEEZZNS1_9scan_implILNS1_25lookback_scan_determinismE0ELb0ELb0ES3_N6thrust23THRUST_200600_302600_NS6detail15normal_iteratorINSB_10device_ptrIS6_EEEESG_S6_NSB_4plusIvEES6_EEDaPvRmT3_T4_T5_mT6_P12ihipStream_tbENKUlT_T0_E_clISt17integral_constantIbLb0EESV_IbLb1EEEEDaSR_SS_EUlSR_E_NS1_11comp_targetILNS1_3genE0ELNS1_11target_archE4294967295ELNS1_3gpuE0ELNS1_3repE0EEENS1_30default_config_static_selectorELNS0_4arch9wavefront6targetE1EEEvT1_
		.amdhsa_group_segment_fixed_size 0
		.amdhsa_private_segment_fixed_size 0
		.amdhsa_kernarg_size 96
		.amdhsa_user_sgpr_count 6
		.amdhsa_user_sgpr_private_segment_buffer 1
		.amdhsa_user_sgpr_dispatch_ptr 0
		.amdhsa_user_sgpr_queue_ptr 0
		.amdhsa_user_sgpr_kernarg_segment_ptr 1
		.amdhsa_user_sgpr_dispatch_id 0
		.amdhsa_user_sgpr_flat_scratch_init 0
		.amdhsa_user_sgpr_kernarg_preload_length 0
		.amdhsa_user_sgpr_kernarg_preload_offset 0
		.amdhsa_user_sgpr_private_segment_size 0
		.amdhsa_uses_dynamic_stack 0
		.amdhsa_system_sgpr_private_segment_wavefront_offset 0
		.amdhsa_system_sgpr_workgroup_id_x 1
		.amdhsa_system_sgpr_workgroup_id_y 0
		.amdhsa_system_sgpr_workgroup_id_z 0
		.amdhsa_system_sgpr_workgroup_info 0
		.amdhsa_system_vgpr_workitem_id 0
		.amdhsa_next_free_vgpr 1
		.amdhsa_next_free_sgpr 0
		.amdhsa_accum_offset 4
		.amdhsa_reserve_vcc 0
		.amdhsa_reserve_flat_scratch 0
		.amdhsa_float_round_mode_32 0
		.amdhsa_float_round_mode_16_64 0
		.amdhsa_float_denorm_mode_32 3
		.amdhsa_float_denorm_mode_16_64 3
		.amdhsa_dx10_clamp 1
		.amdhsa_ieee_mode 1
		.amdhsa_fp16_overflow 0
		.amdhsa_tg_split 0
		.amdhsa_exception_fp_ieee_invalid_op 0
		.amdhsa_exception_fp_denorm_src 0
		.amdhsa_exception_fp_ieee_div_zero 0
		.amdhsa_exception_fp_ieee_overflow 0
		.amdhsa_exception_fp_ieee_underflow 0
		.amdhsa_exception_fp_ieee_inexact 0
		.amdhsa_exception_int_div_zero 0
	.end_amdhsa_kernel
	.section	.text._ZN7rocprim17ROCPRIM_400000_NS6detail17trampoline_kernelINS0_14default_configENS1_20scan_config_selectorI11FixedVectorIiLj1EEEEZZNS1_9scan_implILNS1_25lookback_scan_determinismE0ELb0ELb0ES3_N6thrust23THRUST_200600_302600_NS6detail15normal_iteratorINSB_10device_ptrIS6_EEEESG_S6_NSB_4plusIvEES6_EEDaPvRmT3_T4_T5_mT6_P12ihipStream_tbENKUlT_T0_E_clISt17integral_constantIbLb0EESV_IbLb1EEEEDaSR_SS_EUlSR_E_NS1_11comp_targetILNS1_3genE0ELNS1_11target_archE4294967295ELNS1_3gpuE0ELNS1_3repE0EEENS1_30default_config_static_selectorELNS0_4arch9wavefront6targetE1EEEvT1_,"axG",@progbits,_ZN7rocprim17ROCPRIM_400000_NS6detail17trampoline_kernelINS0_14default_configENS1_20scan_config_selectorI11FixedVectorIiLj1EEEEZZNS1_9scan_implILNS1_25lookback_scan_determinismE0ELb0ELb0ES3_N6thrust23THRUST_200600_302600_NS6detail15normal_iteratorINSB_10device_ptrIS6_EEEESG_S6_NSB_4plusIvEES6_EEDaPvRmT3_T4_T5_mT6_P12ihipStream_tbENKUlT_T0_E_clISt17integral_constantIbLb0EESV_IbLb1EEEEDaSR_SS_EUlSR_E_NS1_11comp_targetILNS1_3genE0ELNS1_11target_archE4294967295ELNS1_3gpuE0ELNS1_3repE0EEENS1_30default_config_static_selectorELNS0_4arch9wavefront6targetE1EEEvT1_,comdat
.Lfunc_end6444:
	.size	_ZN7rocprim17ROCPRIM_400000_NS6detail17trampoline_kernelINS0_14default_configENS1_20scan_config_selectorI11FixedVectorIiLj1EEEEZZNS1_9scan_implILNS1_25lookback_scan_determinismE0ELb0ELb0ES3_N6thrust23THRUST_200600_302600_NS6detail15normal_iteratorINSB_10device_ptrIS6_EEEESG_S6_NSB_4plusIvEES6_EEDaPvRmT3_T4_T5_mT6_P12ihipStream_tbENKUlT_T0_E_clISt17integral_constantIbLb0EESV_IbLb1EEEEDaSR_SS_EUlSR_E_NS1_11comp_targetILNS1_3genE0ELNS1_11target_archE4294967295ELNS1_3gpuE0ELNS1_3repE0EEENS1_30default_config_static_selectorELNS0_4arch9wavefront6targetE1EEEvT1_, .Lfunc_end6444-_ZN7rocprim17ROCPRIM_400000_NS6detail17trampoline_kernelINS0_14default_configENS1_20scan_config_selectorI11FixedVectorIiLj1EEEEZZNS1_9scan_implILNS1_25lookback_scan_determinismE0ELb0ELb0ES3_N6thrust23THRUST_200600_302600_NS6detail15normal_iteratorINSB_10device_ptrIS6_EEEESG_S6_NSB_4plusIvEES6_EEDaPvRmT3_T4_T5_mT6_P12ihipStream_tbENKUlT_T0_E_clISt17integral_constantIbLb0EESV_IbLb1EEEEDaSR_SS_EUlSR_E_NS1_11comp_targetILNS1_3genE0ELNS1_11target_archE4294967295ELNS1_3gpuE0ELNS1_3repE0EEENS1_30default_config_static_selectorELNS0_4arch9wavefront6targetE1EEEvT1_
                                        ; -- End function
	.section	.AMDGPU.csdata,"",@progbits
; Kernel info:
; codeLenInByte = 0
; NumSgprs: 4
; NumVgprs: 0
; NumAgprs: 0
; TotalNumVgprs: 0
; ScratchSize: 0
; MemoryBound: 0
; FloatMode: 240
; IeeeMode: 1
; LDSByteSize: 0 bytes/workgroup (compile time only)
; SGPRBlocks: 0
; VGPRBlocks: 0
; NumSGPRsForWavesPerEU: 4
; NumVGPRsForWavesPerEU: 1
; AccumOffset: 4
; Occupancy: 8
; WaveLimiterHint : 0
; COMPUTE_PGM_RSRC2:SCRATCH_EN: 0
; COMPUTE_PGM_RSRC2:USER_SGPR: 6
; COMPUTE_PGM_RSRC2:TRAP_HANDLER: 0
; COMPUTE_PGM_RSRC2:TGID_X_EN: 1
; COMPUTE_PGM_RSRC2:TGID_Y_EN: 0
; COMPUTE_PGM_RSRC2:TGID_Z_EN: 0
; COMPUTE_PGM_RSRC2:TIDIG_COMP_CNT: 0
; COMPUTE_PGM_RSRC3_GFX90A:ACCUM_OFFSET: 0
; COMPUTE_PGM_RSRC3_GFX90A:TG_SPLIT: 0
	.section	.text._ZN7rocprim17ROCPRIM_400000_NS6detail17trampoline_kernelINS0_14default_configENS1_20scan_config_selectorI11FixedVectorIiLj1EEEEZZNS1_9scan_implILNS1_25lookback_scan_determinismE0ELb0ELb0ES3_N6thrust23THRUST_200600_302600_NS6detail15normal_iteratorINSB_10device_ptrIS6_EEEESG_S6_NSB_4plusIvEES6_EEDaPvRmT3_T4_T5_mT6_P12ihipStream_tbENKUlT_T0_E_clISt17integral_constantIbLb0EESV_IbLb1EEEEDaSR_SS_EUlSR_E_NS1_11comp_targetILNS1_3genE5ELNS1_11target_archE942ELNS1_3gpuE9ELNS1_3repE0EEENS1_30default_config_static_selectorELNS0_4arch9wavefront6targetE1EEEvT1_,"axG",@progbits,_ZN7rocprim17ROCPRIM_400000_NS6detail17trampoline_kernelINS0_14default_configENS1_20scan_config_selectorI11FixedVectorIiLj1EEEEZZNS1_9scan_implILNS1_25lookback_scan_determinismE0ELb0ELb0ES3_N6thrust23THRUST_200600_302600_NS6detail15normal_iteratorINSB_10device_ptrIS6_EEEESG_S6_NSB_4plusIvEES6_EEDaPvRmT3_T4_T5_mT6_P12ihipStream_tbENKUlT_T0_E_clISt17integral_constantIbLb0EESV_IbLb1EEEEDaSR_SS_EUlSR_E_NS1_11comp_targetILNS1_3genE5ELNS1_11target_archE942ELNS1_3gpuE9ELNS1_3repE0EEENS1_30default_config_static_selectorELNS0_4arch9wavefront6targetE1EEEvT1_,comdat
	.protected	_ZN7rocprim17ROCPRIM_400000_NS6detail17trampoline_kernelINS0_14default_configENS1_20scan_config_selectorI11FixedVectorIiLj1EEEEZZNS1_9scan_implILNS1_25lookback_scan_determinismE0ELb0ELb0ES3_N6thrust23THRUST_200600_302600_NS6detail15normal_iteratorINSB_10device_ptrIS6_EEEESG_S6_NSB_4plusIvEES6_EEDaPvRmT3_T4_T5_mT6_P12ihipStream_tbENKUlT_T0_E_clISt17integral_constantIbLb0EESV_IbLb1EEEEDaSR_SS_EUlSR_E_NS1_11comp_targetILNS1_3genE5ELNS1_11target_archE942ELNS1_3gpuE9ELNS1_3repE0EEENS1_30default_config_static_selectorELNS0_4arch9wavefront6targetE1EEEvT1_ ; -- Begin function _ZN7rocprim17ROCPRIM_400000_NS6detail17trampoline_kernelINS0_14default_configENS1_20scan_config_selectorI11FixedVectorIiLj1EEEEZZNS1_9scan_implILNS1_25lookback_scan_determinismE0ELb0ELb0ES3_N6thrust23THRUST_200600_302600_NS6detail15normal_iteratorINSB_10device_ptrIS6_EEEESG_S6_NSB_4plusIvEES6_EEDaPvRmT3_T4_T5_mT6_P12ihipStream_tbENKUlT_T0_E_clISt17integral_constantIbLb0EESV_IbLb1EEEEDaSR_SS_EUlSR_E_NS1_11comp_targetILNS1_3genE5ELNS1_11target_archE942ELNS1_3gpuE9ELNS1_3repE0EEENS1_30default_config_static_selectorELNS0_4arch9wavefront6targetE1EEEvT1_
	.globl	_ZN7rocprim17ROCPRIM_400000_NS6detail17trampoline_kernelINS0_14default_configENS1_20scan_config_selectorI11FixedVectorIiLj1EEEEZZNS1_9scan_implILNS1_25lookback_scan_determinismE0ELb0ELb0ES3_N6thrust23THRUST_200600_302600_NS6detail15normal_iteratorINSB_10device_ptrIS6_EEEESG_S6_NSB_4plusIvEES6_EEDaPvRmT3_T4_T5_mT6_P12ihipStream_tbENKUlT_T0_E_clISt17integral_constantIbLb0EESV_IbLb1EEEEDaSR_SS_EUlSR_E_NS1_11comp_targetILNS1_3genE5ELNS1_11target_archE942ELNS1_3gpuE9ELNS1_3repE0EEENS1_30default_config_static_selectorELNS0_4arch9wavefront6targetE1EEEvT1_
	.p2align	8
	.type	_ZN7rocprim17ROCPRIM_400000_NS6detail17trampoline_kernelINS0_14default_configENS1_20scan_config_selectorI11FixedVectorIiLj1EEEEZZNS1_9scan_implILNS1_25lookback_scan_determinismE0ELb0ELb0ES3_N6thrust23THRUST_200600_302600_NS6detail15normal_iteratorINSB_10device_ptrIS6_EEEESG_S6_NSB_4plusIvEES6_EEDaPvRmT3_T4_T5_mT6_P12ihipStream_tbENKUlT_T0_E_clISt17integral_constantIbLb0EESV_IbLb1EEEEDaSR_SS_EUlSR_E_NS1_11comp_targetILNS1_3genE5ELNS1_11target_archE942ELNS1_3gpuE9ELNS1_3repE0EEENS1_30default_config_static_selectorELNS0_4arch9wavefront6targetE1EEEvT1_,@function
_ZN7rocprim17ROCPRIM_400000_NS6detail17trampoline_kernelINS0_14default_configENS1_20scan_config_selectorI11FixedVectorIiLj1EEEEZZNS1_9scan_implILNS1_25lookback_scan_determinismE0ELb0ELb0ES3_N6thrust23THRUST_200600_302600_NS6detail15normal_iteratorINSB_10device_ptrIS6_EEEESG_S6_NSB_4plusIvEES6_EEDaPvRmT3_T4_T5_mT6_P12ihipStream_tbENKUlT_T0_E_clISt17integral_constantIbLb0EESV_IbLb1EEEEDaSR_SS_EUlSR_E_NS1_11comp_targetILNS1_3genE5ELNS1_11target_archE942ELNS1_3gpuE9ELNS1_3repE0EEENS1_30default_config_static_selectorELNS0_4arch9wavefront6targetE1EEEvT1_: ; @_ZN7rocprim17ROCPRIM_400000_NS6detail17trampoline_kernelINS0_14default_configENS1_20scan_config_selectorI11FixedVectorIiLj1EEEEZZNS1_9scan_implILNS1_25lookback_scan_determinismE0ELb0ELb0ES3_N6thrust23THRUST_200600_302600_NS6detail15normal_iteratorINSB_10device_ptrIS6_EEEESG_S6_NSB_4plusIvEES6_EEDaPvRmT3_T4_T5_mT6_P12ihipStream_tbENKUlT_T0_E_clISt17integral_constantIbLb0EESV_IbLb1EEEEDaSR_SS_EUlSR_E_NS1_11comp_targetILNS1_3genE5ELNS1_11target_archE942ELNS1_3gpuE9ELNS1_3repE0EEENS1_30default_config_static_selectorELNS0_4arch9wavefront6targetE1EEEvT1_
; %bb.0:
	.section	.rodata,"a",@progbits
	.p2align	6, 0x0
	.amdhsa_kernel _ZN7rocprim17ROCPRIM_400000_NS6detail17trampoline_kernelINS0_14default_configENS1_20scan_config_selectorI11FixedVectorIiLj1EEEEZZNS1_9scan_implILNS1_25lookback_scan_determinismE0ELb0ELb0ES3_N6thrust23THRUST_200600_302600_NS6detail15normal_iteratorINSB_10device_ptrIS6_EEEESG_S6_NSB_4plusIvEES6_EEDaPvRmT3_T4_T5_mT6_P12ihipStream_tbENKUlT_T0_E_clISt17integral_constantIbLb0EESV_IbLb1EEEEDaSR_SS_EUlSR_E_NS1_11comp_targetILNS1_3genE5ELNS1_11target_archE942ELNS1_3gpuE9ELNS1_3repE0EEENS1_30default_config_static_selectorELNS0_4arch9wavefront6targetE1EEEvT1_
		.amdhsa_group_segment_fixed_size 0
		.amdhsa_private_segment_fixed_size 0
		.amdhsa_kernarg_size 96
		.amdhsa_user_sgpr_count 6
		.amdhsa_user_sgpr_private_segment_buffer 1
		.amdhsa_user_sgpr_dispatch_ptr 0
		.amdhsa_user_sgpr_queue_ptr 0
		.amdhsa_user_sgpr_kernarg_segment_ptr 1
		.amdhsa_user_sgpr_dispatch_id 0
		.amdhsa_user_sgpr_flat_scratch_init 0
		.amdhsa_user_sgpr_kernarg_preload_length 0
		.amdhsa_user_sgpr_kernarg_preload_offset 0
		.amdhsa_user_sgpr_private_segment_size 0
		.amdhsa_uses_dynamic_stack 0
		.amdhsa_system_sgpr_private_segment_wavefront_offset 0
		.amdhsa_system_sgpr_workgroup_id_x 1
		.amdhsa_system_sgpr_workgroup_id_y 0
		.amdhsa_system_sgpr_workgroup_id_z 0
		.amdhsa_system_sgpr_workgroup_info 0
		.amdhsa_system_vgpr_workitem_id 0
		.amdhsa_next_free_vgpr 1
		.amdhsa_next_free_sgpr 0
		.amdhsa_accum_offset 4
		.amdhsa_reserve_vcc 0
		.amdhsa_reserve_flat_scratch 0
		.amdhsa_float_round_mode_32 0
		.amdhsa_float_round_mode_16_64 0
		.amdhsa_float_denorm_mode_32 3
		.amdhsa_float_denorm_mode_16_64 3
		.amdhsa_dx10_clamp 1
		.amdhsa_ieee_mode 1
		.amdhsa_fp16_overflow 0
		.amdhsa_tg_split 0
		.amdhsa_exception_fp_ieee_invalid_op 0
		.amdhsa_exception_fp_denorm_src 0
		.amdhsa_exception_fp_ieee_div_zero 0
		.amdhsa_exception_fp_ieee_overflow 0
		.amdhsa_exception_fp_ieee_underflow 0
		.amdhsa_exception_fp_ieee_inexact 0
		.amdhsa_exception_int_div_zero 0
	.end_amdhsa_kernel
	.section	.text._ZN7rocprim17ROCPRIM_400000_NS6detail17trampoline_kernelINS0_14default_configENS1_20scan_config_selectorI11FixedVectorIiLj1EEEEZZNS1_9scan_implILNS1_25lookback_scan_determinismE0ELb0ELb0ES3_N6thrust23THRUST_200600_302600_NS6detail15normal_iteratorINSB_10device_ptrIS6_EEEESG_S6_NSB_4plusIvEES6_EEDaPvRmT3_T4_T5_mT6_P12ihipStream_tbENKUlT_T0_E_clISt17integral_constantIbLb0EESV_IbLb1EEEEDaSR_SS_EUlSR_E_NS1_11comp_targetILNS1_3genE5ELNS1_11target_archE942ELNS1_3gpuE9ELNS1_3repE0EEENS1_30default_config_static_selectorELNS0_4arch9wavefront6targetE1EEEvT1_,"axG",@progbits,_ZN7rocprim17ROCPRIM_400000_NS6detail17trampoline_kernelINS0_14default_configENS1_20scan_config_selectorI11FixedVectorIiLj1EEEEZZNS1_9scan_implILNS1_25lookback_scan_determinismE0ELb0ELb0ES3_N6thrust23THRUST_200600_302600_NS6detail15normal_iteratorINSB_10device_ptrIS6_EEEESG_S6_NSB_4plusIvEES6_EEDaPvRmT3_T4_T5_mT6_P12ihipStream_tbENKUlT_T0_E_clISt17integral_constantIbLb0EESV_IbLb1EEEEDaSR_SS_EUlSR_E_NS1_11comp_targetILNS1_3genE5ELNS1_11target_archE942ELNS1_3gpuE9ELNS1_3repE0EEENS1_30default_config_static_selectorELNS0_4arch9wavefront6targetE1EEEvT1_,comdat
.Lfunc_end6445:
	.size	_ZN7rocprim17ROCPRIM_400000_NS6detail17trampoline_kernelINS0_14default_configENS1_20scan_config_selectorI11FixedVectorIiLj1EEEEZZNS1_9scan_implILNS1_25lookback_scan_determinismE0ELb0ELb0ES3_N6thrust23THRUST_200600_302600_NS6detail15normal_iteratorINSB_10device_ptrIS6_EEEESG_S6_NSB_4plusIvEES6_EEDaPvRmT3_T4_T5_mT6_P12ihipStream_tbENKUlT_T0_E_clISt17integral_constantIbLb0EESV_IbLb1EEEEDaSR_SS_EUlSR_E_NS1_11comp_targetILNS1_3genE5ELNS1_11target_archE942ELNS1_3gpuE9ELNS1_3repE0EEENS1_30default_config_static_selectorELNS0_4arch9wavefront6targetE1EEEvT1_, .Lfunc_end6445-_ZN7rocprim17ROCPRIM_400000_NS6detail17trampoline_kernelINS0_14default_configENS1_20scan_config_selectorI11FixedVectorIiLj1EEEEZZNS1_9scan_implILNS1_25lookback_scan_determinismE0ELb0ELb0ES3_N6thrust23THRUST_200600_302600_NS6detail15normal_iteratorINSB_10device_ptrIS6_EEEESG_S6_NSB_4plusIvEES6_EEDaPvRmT3_T4_T5_mT6_P12ihipStream_tbENKUlT_T0_E_clISt17integral_constantIbLb0EESV_IbLb1EEEEDaSR_SS_EUlSR_E_NS1_11comp_targetILNS1_3genE5ELNS1_11target_archE942ELNS1_3gpuE9ELNS1_3repE0EEENS1_30default_config_static_selectorELNS0_4arch9wavefront6targetE1EEEvT1_
                                        ; -- End function
	.section	.AMDGPU.csdata,"",@progbits
; Kernel info:
; codeLenInByte = 0
; NumSgprs: 4
; NumVgprs: 0
; NumAgprs: 0
; TotalNumVgprs: 0
; ScratchSize: 0
; MemoryBound: 0
; FloatMode: 240
; IeeeMode: 1
; LDSByteSize: 0 bytes/workgroup (compile time only)
; SGPRBlocks: 0
; VGPRBlocks: 0
; NumSGPRsForWavesPerEU: 4
; NumVGPRsForWavesPerEU: 1
; AccumOffset: 4
; Occupancy: 8
; WaveLimiterHint : 0
; COMPUTE_PGM_RSRC2:SCRATCH_EN: 0
; COMPUTE_PGM_RSRC2:USER_SGPR: 6
; COMPUTE_PGM_RSRC2:TRAP_HANDLER: 0
; COMPUTE_PGM_RSRC2:TGID_X_EN: 1
; COMPUTE_PGM_RSRC2:TGID_Y_EN: 0
; COMPUTE_PGM_RSRC2:TGID_Z_EN: 0
; COMPUTE_PGM_RSRC2:TIDIG_COMP_CNT: 0
; COMPUTE_PGM_RSRC3_GFX90A:ACCUM_OFFSET: 0
; COMPUTE_PGM_RSRC3_GFX90A:TG_SPLIT: 0
	.section	.text._ZN7rocprim17ROCPRIM_400000_NS6detail17trampoline_kernelINS0_14default_configENS1_20scan_config_selectorI11FixedVectorIiLj1EEEEZZNS1_9scan_implILNS1_25lookback_scan_determinismE0ELb0ELb0ES3_N6thrust23THRUST_200600_302600_NS6detail15normal_iteratorINSB_10device_ptrIS6_EEEESG_S6_NSB_4plusIvEES6_EEDaPvRmT3_T4_T5_mT6_P12ihipStream_tbENKUlT_T0_E_clISt17integral_constantIbLb0EESV_IbLb1EEEEDaSR_SS_EUlSR_E_NS1_11comp_targetILNS1_3genE4ELNS1_11target_archE910ELNS1_3gpuE8ELNS1_3repE0EEENS1_30default_config_static_selectorELNS0_4arch9wavefront6targetE1EEEvT1_,"axG",@progbits,_ZN7rocprim17ROCPRIM_400000_NS6detail17trampoline_kernelINS0_14default_configENS1_20scan_config_selectorI11FixedVectorIiLj1EEEEZZNS1_9scan_implILNS1_25lookback_scan_determinismE0ELb0ELb0ES3_N6thrust23THRUST_200600_302600_NS6detail15normal_iteratorINSB_10device_ptrIS6_EEEESG_S6_NSB_4plusIvEES6_EEDaPvRmT3_T4_T5_mT6_P12ihipStream_tbENKUlT_T0_E_clISt17integral_constantIbLb0EESV_IbLb1EEEEDaSR_SS_EUlSR_E_NS1_11comp_targetILNS1_3genE4ELNS1_11target_archE910ELNS1_3gpuE8ELNS1_3repE0EEENS1_30default_config_static_selectorELNS0_4arch9wavefront6targetE1EEEvT1_,comdat
	.protected	_ZN7rocprim17ROCPRIM_400000_NS6detail17trampoline_kernelINS0_14default_configENS1_20scan_config_selectorI11FixedVectorIiLj1EEEEZZNS1_9scan_implILNS1_25lookback_scan_determinismE0ELb0ELb0ES3_N6thrust23THRUST_200600_302600_NS6detail15normal_iteratorINSB_10device_ptrIS6_EEEESG_S6_NSB_4plusIvEES6_EEDaPvRmT3_T4_T5_mT6_P12ihipStream_tbENKUlT_T0_E_clISt17integral_constantIbLb0EESV_IbLb1EEEEDaSR_SS_EUlSR_E_NS1_11comp_targetILNS1_3genE4ELNS1_11target_archE910ELNS1_3gpuE8ELNS1_3repE0EEENS1_30default_config_static_selectorELNS0_4arch9wavefront6targetE1EEEvT1_ ; -- Begin function _ZN7rocprim17ROCPRIM_400000_NS6detail17trampoline_kernelINS0_14default_configENS1_20scan_config_selectorI11FixedVectorIiLj1EEEEZZNS1_9scan_implILNS1_25lookback_scan_determinismE0ELb0ELb0ES3_N6thrust23THRUST_200600_302600_NS6detail15normal_iteratorINSB_10device_ptrIS6_EEEESG_S6_NSB_4plusIvEES6_EEDaPvRmT3_T4_T5_mT6_P12ihipStream_tbENKUlT_T0_E_clISt17integral_constantIbLb0EESV_IbLb1EEEEDaSR_SS_EUlSR_E_NS1_11comp_targetILNS1_3genE4ELNS1_11target_archE910ELNS1_3gpuE8ELNS1_3repE0EEENS1_30default_config_static_selectorELNS0_4arch9wavefront6targetE1EEEvT1_
	.globl	_ZN7rocprim17ROCPRIM_400000_NS6detail17trampoline_kernelINS0_14default_configENS1_20scan_config_selectorI11FixedVectorIiLj1EEEEZZNS1_9scan_implILNS1_25lookback_scan_determinismE0ELb0ELb0ES3_N6thrust23THRUST_200600_302600_NS6detail15normal_iteratorINSB_10device_ptrIS6_EEEESG_S6_NSB_4plusIvEES6_EEDaPvRmT3_T4_T5_mT6_P12ihipStream_tbENKUlT_T0_E_clISt17integral_constantIbLb0EESV_IbLb1EEEEDaSR_SS_EUlSR_E_NS1_11comp_targetILNS1_3genE4ELNS1_11target_archE910ELNS1_3gpuE8ELNS1_3repE0EEENS1_30default_config_static_selectorELNS0_4arch9wavefront6targetE1EEEvT1_
	.p2align	8
	.type	_ZN7rocprim17ROCPRIM_400000_NS6detail17trampoline_kernelINS0_14default_configENS1_20scan_config_selectorI11FixedVectorIiLj1EEEEZZNS1_9scan_implILNS1_25lookback_scan_determinismE0ELb0ELb0ES3_N6thrust23THRUST_200600_302600_NS6detail15normal_iteratorINSB_10device_ptrIS6_EEEESG_S6_NSB_4plusIvEES6_EEDaPvRmT3_T4_T5_mT6_P12ihipStream_tbENKUlT_T0_E_clISt17integral_constantIbLb0EESV_IbLb1EEEEDaSR_SS_EUlSR_E_NS1_11comp_targetILNS1_3genE4ELNS1_11target_archE910ELNS1_3gpuE8ELNS1_3repE0EEENS1_30default_config_static_selectorELNS0_4arch9wavefront6targetE1EEEvT1_,@function
_ZN7rocprim17ROCPRIM_400000_NS6detail17trampoline_kernelINS0_14default_configENS1_20scan_config_selectorI11FixedVectorIiLj1EEEEZZNS1_9scan_implILNS1_25lookback_scan_determinismE0ELb0ELb0ES3_N6thrust23THRUST_200600_302600_NS6detail15normal_iteratorINSB_10device_ptrIS6_EEEESG_S6_NSB_4plusIvEES6_EEDaPvRmT3_T4_T5_mT6_P12ihipStream_tbENKUlT_T0_E_clISt17integral_constantIbLb0EESV_IbLb1EEEEDaSR_SS_EUlSR_E_NS1_11comp_targetILNS1_3genE4ELNS1_11target_archE910ELNS1_3gpuE8ELNS1_3repE0EEENS1_30default_config_static_selectorELNS0_4arch9wavefront6targetE1EEEvT1_: ; @_ZN7rocprim17ROCPRIM_400000_NS6detail17trampoline_kernelINS0_14default_configENS1_20scan_config_selectorI11FixedVectorIiLj1EEEEZZNS1_9scan_implILNS1_25lookback_scan_determinismE0ELb0ELb0ES3_N6thrust23THRUST_200600_302600_NS6detail15normal_iteratorINSB_10device_ptrIS6_EEEESG_S6_NSB_4plusIvEES6_EEDaPvRmT3_T4_T5_mT6_P12ihipStream_tbENKUlT_T0_E_clISt17integral_constantIbLb0EESV_IbLb1EEEEDaSR_SS_EUlSR_E_NS1_11comp_targetILNS1_3genE4ELNS1_11target_archE910ELNS1_3gpuE8ELNS1_3repE0EEENS1_30default_config_static_selectorELNS0_4arch9wavefront6targetE1EEEvT1_
; %bb.0:
	s_load_dwordx2 s[6:7], s[4:5], 0x28
	v_cmp_ne_u32_e64 s[0:1], 0, v0
	v_cmp_eq_u32_e64 s[2:3], 0, v0
	s_and_saveexec_b64 s[8:9], s[2:3]
	s_cbranch_execz .LBB6446_4
; %bb.1:
	s_mov_b64 s[12:13], exec
	v_mbcnt_lo_u32_b32 v1, s12, 0
	v_mbcnt_hi_u32_b32 v1, s13, v1
	v_cmp_eq_u32_e32 vcc, 0, v1
                                        ; implicit-def: $vgpr2
	s_and_saveexec_b64 s[10:11], vcc
	s_cbranch_execz .LBB6446_3
; %bb.2:
	s_load_dwordx2 s[14:15], s[4:5], 0x58
	s_bcnt1_i32_b64 s12, s[12:13]
	v_mov_b32_e32 v2, 0
	v_mov_b32_e32 v3, s12
	s_waitcnt lgkmcnt(0)
	global_atomic_add v2, v2, v3, s[14:15] glc
.LBB6446_3:
	s_or_b64 exec, exec, s[10:11]
	s_waitcnt vmcnt(0)
	v_readfirstlane_b32 s10, v2
	v_add_u32_e32 v1, s10, v1
	v_mov_b32_e32 v2, 0
	ds_write_b32 v2, v1
.LBB6446_4:
	s_or_b64 exec, exec, s[8:9]
	s_load_dwordx8 s[16:23], s[4:5], 0x0
	s_load_dword s24, s[4:5], 0x30
	s_load_dwordx8 s[8:15], s[4:5], 0x38
	v_mov_b32_e32 v1, 0
	s_waitcnt lgkmcnt(0)
	s_barrier
	ds_read_b32 v1, v1
	s_lshl_b64 s[18:19], s[18:19], 2
	s_add_u32 s25, s16, s18
	s_addc_u32 s26, s17, s19
	s_add_i32 s16, s24, -1
	s_mul_i32 s17, s16, 0x500
	s_sub_u32 s30, s22, s17
	s_waitcnt lgkmcnt(0)
	v_readfirstlane_b32 s33, v1
	s_subb_u32 s31, s23, 0
	s_mov_b32 s5, 0
	s_mul_i32 s4, s33, 0x500
	s_cmp_lg_u32 s33, s16
	s_cselect_b64 s[16:17], -1, 0
	s_lshl_b64 s[22:23], s[4:5], 2
	s_add_u32 s24, s25, s22
	s_addc_u32 s25, s26, s23
	s_mov_b64 s[4:5], -1
	s_and_b64 vcc, exec, s[16:17]
	v_lshlrev_b32_e32 v26, 2, v0
	s_barrier
	s_cbranch_vccz .LBB6446_6
; %bb.5:
	v_mov_b32_e32 v1, s25
	v_add_co_u32_e32 v2, vcc, s24, v26
	v_addc_co_u32_e32 v3, vcc, 0, v1, vcc
	flat_load_dword v1, v[2:3]
	flat_load_dword v4, v[2:3] offset:512
	flat_load_dword v5, v[2:3] offset:1024
	;; [unrolled: 1-line block ×7, first 2 shown]
	v_add_co_u32_e32 v2, vcc, 0x1000, v2
	v_addc_co_u32_e32 v3, vcc, 0, v3, vcc
	flat_load_dword v11, v[2:3]
	flat_load_dword v12, v[2:3] offset:512
	s_mov_b64 s[4:5], 0
	s_waitcnt vmcnt(0) lgkmcnt(0)
	ds_write2st64_b32 v26, v1, v4 offset1:2
	ds_write2st64_b32 v26, v5, v6 offset0:4 offset1:6
	ds_write2st64_b32 v26, v7, v8 offset0:8 offset1:10
	;; [unrolled: 1-line block ×4, first 2 shown]
	s_waitcnt lgkmcnt(0)
	s_barrier
.LBB6446_6:
	s_andn2_b64 vcc, exec, s[4:5]
	v_cmp_gt_u32_e64 s[4:5], s30, v0
	s_cbranch_vccnz .LBB6446_28
; %bb.7:
	v_pk_mov_b32 v[2:3], s[24:25], s[24:25] op_sel:[0,1]
	flat_load_dword v1, v[2:3]
	s_waitcnt vmcnt(0) lgkmcnt(0)
	v_mov_b32_e32 v2, v1
	s_and_saveexec_b64 s[26:27], s[4:5]
	s_cbranch_execz .LBB6446_9
; %bb.8:
	v_mov_b32_e32 v3, s25
	v_add_co_u32_e32 v2, vcc, s24, v26
	v_addc_co_u32_e32 v3, vcc, 0, v3, vcc
	flat_load_dword v2, v[2:3]
.LBB6446_9:
	s_or_b64 exec, exec, s[26:27]
	v_or_b32_e32 v3, 0x80, v0
	v_cmp_gt_u32_e32 vcc, s30, v3
	v_mov_b32_e32 v3, v1
	s_and_saveexec_b64 s[4:5], vcc
	s_cbranch_execz .LBB6446_11
; %bb.10:
	v_mov_b32_e32 v3, s25
	v_add_co_u32_e32 v4, vcc, s24, v26
	v_addc_co_u32_e32 v5, vcc, 0, v3, vcc
	flat_load_dword v3, v[4:5] offset:512
.LBB6446_11:
	s_or_b64 exec, exec, s[4:5]
	v_or_b32_e32 v4, 0x100, v0
	v_cmp_gt_u32_e32 vcc, s30, v4
	v_mov_b32_e32 v4, v1
	s_and_saveexec_b64 s[4:5], vcc
	s_cbranch_execz .LBB6446_13
; %bb.12:
	v_mov_b32_e32 v5, s25
	v_add_co_u32_e32 v4, vcc, s24, v26
	v_addc_co_u32_e32 v5, vcc, 0, v5, vcc
	flat_load_dword v4, v[4:5] offset:1024
.LBB6446_13:
	;; [unrolled: 12-line block ×7, first 2 shown]
	s_or_b64 exec, exec, s[4:5]
	v_or_b32_e32 v11, 0x400, v0
	v_cmp_gt_u32_e32 vcc, s30, v11
	v_mov_b32_e32 v10, v1
	s_and_saveexec_b64 s[4:5], vcc
	s_cbranch_execz .LBB6446_25
; %bb.24:
	v_lshlrev_b32_e32 v10, 2, v11
	v_mov_b32_e32 v11, s25
	v_add_co_u32_e32 v10, vcc, s24, v10
	v_addc_co_u32_e32 v11, vcc, 0, v11, vcc
	flat_load_dword v10, v[10:11]
.LBB6446_25:
	s_or_b64 exec, exec, s[4:5]
	v_or_b32_e32 v11, 0x480, v0
	v_cmp_gt_u32_e32 vcc, s30, v11
	s_and_saveexec_b64 s[4:5], vcc
	s_cbranch_execz .LBB6446_27
; %bb.26:
	v_lshlrev_b32_e32 v1, 2, v11
	v_mov_b32_e32 v11, s25
	v_add_co_u32_e32 v12, vcc, s24, v1
	v_addc_co_u32_e32 v13, vcc, 0, v11, vcc
	flat_load_dword v1, v[12:13]
.LBB6446_27:
	s_or_b64 exec, exec, s[4:5]
	s_waitcnt vmcnt(0) lgkmcnt(0)
	ds_write2st64_b32 v26, v2, v3 offset1:2
	ds_write2st64_b32 v26, v4, v5 offset0:4 offset1:6
	ds_write2st64_b32 v26, v6, v7 offset0:8 offset1:10
	;; [unrolled: 1-line block ×4, first 2 shown]
	s_waitcnt lgkmcnt(0)
	s_barrier
.LBB6446_28:
	v_mul_u32_u24_e32 v27, 10, v0
	v_lshlrev_b32_e32 v1, 2, v27
	ds_read2_b64 v[6:9], v1 offset1:1
	ds_read2_b64 v[2:5], v1 offset0:2 offset1:3
	ds_read_b64 v[18:19], v1 offset:32
	s_cmp_lg_u32 s33, 0
	v_lshrrev_b32_e32 v28, 5, v0
	v_cmp_gt_u32_e32 vcc, 64, v0
	s_waitcnt lgkmcnt(0)
	s_barrier
	s_cbranch_scc0 .LBB6446_53
; %bb.29:
	v_add_u32_e32 v10, v7, v6
	v_add3_u32 v10, v10, v8, v9
	v_add3_u32 v10, v10, v2, v3
	;; [unrolled: 1-line block ×4, first 2 shown]
	v_add_lshl_u32 v11, v28, v0, 2
	ds_write_b32 v11, v10
	s_waitcnt lgkmcnt(0)
	s_barrier
	s_and_saveexec_b64 s[24:25], vcc
	s_cbranch_execz .LBB6446_31
; %bb.30:
	v_lshlrev_b32_e32 v11, 1, v0
	v_lshrrev_b32_e32 v12, 4, v0
	v_add_lshl_u32 v11, v12, v11, 2
	ds_read2_b32 v[12:13], v11 offset1:1
	v_mbcnt_lo_u32_b32 v14, -1, 0
	v_mbcnt_hi_u32_b32 v14, -1, v14
	v_and_b32_e32 v15, 15, v14
	v_cmp_ne_u32_e64 s[4:5], 0, v15
	s_waitcnt lgkmcnt(0)
	v_add_u32_e32 v13, v13, v12
	; wave barrier
	s_nop 1
	v_mov_b32_dpp v16, v13 row_shr:1 row_mask:0xf bank_mask:0xf
	v_cndmask_b32_e64 v16, 0, v16, s[4:5]
	v_add_u32_e32 v13, v16, v13
	v_cmp_lt_u32_e64 s[4:5], 1, v15
	s_nop 0
	v_mov_b32_dpp v16, v13 row_shr:2 row_mask:0xf bank_mask:0xf
	v_cndmask_b32_e64 v16, 0, v16, s[4:5]
	v_add_u32_e32 v13, v13, v16
	v_cmp_lt_u32_e64 s[4:5], 3, v15
	;; [unrolled: 5-line block ×3, first 2 shown]
	s_nop 0
	v_mov_b32_dpp v16, v13 row_shr:8 row_mask:0xf bank_mask:0xf
	v_cndmask_b32_e64 v15, 0, v16, s[4:5]
	v_add_u32_e32 v13, v13, v15
	v_bfe_i32 v16, v14, 4, 1
	v_cmp_lt_u32_e64 s[4:5], 31, v14
	v_mov_b32_dpp v15, v13 row_bcast:15 row_mask:0xf bank_mask:0xf
	v_and_b32_e32 v15, v16, v15
	v_add_u32_e32 v13, v13, v15
	v_and_b32_e32 v16, 64, v14
	s_nop 0
	v_mov_b32_dpp v15, v13 row_bcast:31 row_mask:0xf bank_mask:0xf
	v_cndmask_b32_e64 v15, 0, v15, s[4:5]
	v_add_u32_e32 v13, v13, v15
	v_add_u32_e32 v15, -1, v14
	v_cmp_lt_i32_e64 s[4:5], v15, v16
	v_cndmask_b32_e64 v14, v15, v14, s[4:5]
	v_lshlrev_b32_e32 v14, 2, v14
	ds_bpermute_b32 v13, v14, v13
	s_waitcnt lgkmcnt(0)
	v_add_u32_e32 v12, v13, v12
	v_cndmask_b32_e64 v10, v12, v10, s[2:3]
	ds_write_b32 v11, v10
	; wave barrier
	ds_read_b32 v12, v11 offset:4
	s_waitcnt lgkmcnt(0)
	v_add_u32_e32 v10, v12, v10
	ds_write_b32 v11, v10 offset:4
.LBB6446_31:
	s_or_b64 exec, exec, s[24:25]
	v_mov_b32_e32 v22, 0
	s_waitcnt lgkmcnt(0)
	s_barrier
	s_and_saveexec_b64 s[4:5], s[0:1]
	s_cbranch_execz .LBB6446_33
; %bb.32:
	v_add_u32_e32 v10, -1, v0
	v_lshrrev_b32_e32 v11, 5, v10
	v_add_lshl_u32 v10, v11, v10, 2
	ds_read_b32 v22, v10
.LBB6446_33:
	s_or_b64 exec, exec, s[4:5]
	s_and_saveexec_b64 s[24:25], vcc
	s_cbranch_execz .LBB6446_52
; %bb.34:
	v_mov_b32_e32 v17, 0
	ds_read_b32 v10, v17 offset:520
	v_mbcnt_lo_u32_b32 v11, -1, 0
	v_mbcnt_hi_u32_b32 v13, -1, v11
	s_mov_b32 s29, 0
	v_cmp_eq_u32_e64 s[4:5], 0, v13
	s_and_saveexec_b64 s[26:27], s[4:5]
	s_cbranch_execz .LBB6446_36
; %bb.35:
	s_add_i32 s28, s33, 64
	s_lshl_b64 s[28:29], s[28:29], 3
	s_add_u32 s28, s6, s28
	v_mov_b32_e32 v11, 1
	s_addc_u32 s29, s7, s29
	s_waitcnt lgkmcnt(0)
	global_store_dwordx2 v17, v[10:11], s[28:29]
.LBB6446_36:
	s_or_b64 exec, exec, s[26:27]
	v_xad_u32 v12, v13, -1, s33
	v_add_u32_e32 v16, 64, v12
	v_lshlrev_b64 v[14:15], 3, v[16:17]
	v_mov_b32_e32 v11, s7
	v_add_co_u32_e32 v20, vcc, s6, v14
	v_addc_co_u32_e32 v21, vcc, v11, v15, vcc
	global_load_dwordx2 v[14:15], v[20:21], off glc
	s_waitcnt vmcnt(0)
	v_cmp_eq_u16_sdwa s[28:29], v15, v17 src0_sel:BYTE_0 src1_sel:DWORD
	s_and_saveexec_b64 s[26:27], s[28:29]
	s_cbranch_execz .LBB6446_40
; %bb.37:
	s_mov_b64 s[28:29], 0
	v_mov_b32_e32 v11, 0
.LBB6446_38:                            ; =>This Inner Loop Header: Depth=1
	global_load_dwordx2 v[14:15], v[20:21], off glc
	s_waitcnt vmcnt(0)
	v_cmp_ne_u16_sdwa s[34:35], v15, v11 src0_sel:BYTE_0 src1_sel:DWORD
	s_or_b64 s[28:29], s[34:35], s[28:29]
	s_andn2_b64 exec, exec, s[28:29]
	s_cbranch_execnz .LBB6446_38
; %bb.39:
	s_or_b64 exec, exec, s[28:29]
.LBB6446_40:
	s_or_b64 exec, exec, s[26:27]
	v_and_b32_e32 v23, 63, v13
	v_mov_b32_e32 v11, 2
	v_cmp_ne_u32_e32 vcc, 63, v23
	v_cmp_eq_u16_sdwa s[26:27], v15, v11 src0_sel:BYTE_0 src1_sel:DWORD
	v_lshlrev_b64 v[16:17], v13, -1
	v_addc_co_u32_e32 v24, vcc, 0, v13, vcc
	v_and_b32_e32 v20, s27, v17
	v_lshlrev_b32_e32 v24, 2, v24
	v_or_b32_e32 v20, 0x80000000, v20
	ds_bpermute_b32 v25, v24, v14
	v_and_b32_e32 v21, s26, v16
	v_ffbl_b32_e32 v20, v20
	v_add_u32_e32 v20, 32, v20
	v_ffbl_b32_e32 v21, v21
	v_min_u32_e32 v20, v21, v20
	v_cmp_lt_u32_e32 vcc, v23, v20
	s_waitcnt lgkmcnt(0)
	v_cndmask_b32_e32 v21, 0, v25, vcc
	v_cmp_gt_u32_e32 vcc, 62, v23
	v_add_u32_e32 v14, v21, v14
	v_cndmask_b32_e64 v21, 0, 1, vcc
	v_lshlrev_b32_e32 v21, 1, v21
	v_add_lshl_u32 v25, v21, v13, 2
	ds_bpermute_b32 v21, v25, v14
	v_add_u32_e32 v29, 2, v23
	v_cmp_le_u32_e32 vcc, v29, v20
	v_add_u32_e32 v31, 4, v23
	v_add_u32_e32 v33, 8, v23
	s_waitcnt lgkmcnt(0)
	v_cndmask_b32_e32 v21, 0, v21, vcc
	v_cmp_gt_u32_e32 vcc, 60, v23
	v_add_u32_e32 v14, v14, v21
	v_cndmask_b32_e64 v21, 0, 1, vcc
	v_lshlrev_b32_e32 v21, 2, v21
	v_add_lshl_u32 v30, v21, v13, 2
	ds_bpermute_b32 v21, v30, v14
	v_cmp_le_u32_e32 vcc, v31, v20
	v_add_u32_e32 v36, 16, v23
	v_add_u32_e32 v38, 32, v23
	s_waitcnt lgkmcnt(0)
	v_cndmask_b32_e32 v21, 0, v21, vcc
	v_cmp_gt_u32_e32 vcc, 56, v23
	v_add_u32_e32 v14, v14, v21
	v_cndmask_b32_e64 v21, 0, 1, vcc
	v_lshlrev_b32_e32 v21, 3, v21
	v_add_lshl_u32 v32, v21, v13, 2
	ds_bpermute_b32 v21, v32, v14
	v_cmp_le_u32_e32 vcc, v33, v20
	s_waitcnt lgkmcnt(0)
	v_cndmask_b32_e32 v21, 0, v21, vcc
	v_cmp_gt_u32_e32 vcc, 48, v23
	v_add_u32_e32 v14, v14, v21
	v_cndmask_b32_e64 v21, 0, 1, vcc
	v_lshlrev_b32_e32 v21, 4, v21
	v_add_lshl_u32 v35, v21, v13, 2
	ds_bpermute_b32 v21, v35, v14
	v_cmp_le_u32_e32 vcc, v36, v20
	;; [unrolled: 9-line block ×3, first 2 shown]
	s_waitcnt lgkmcnt(0)
	v_cndmask_b32_e32 v13, 0, v13, vcc
	v_add_u32_e32 v14, v14, v13
	v_mov_b32_e32 v13, 0
	s_branch .LBB6446_42
.LBB6446_41:                            ;   in Loop: Header=BB6446_42 Depth=1
	s_or_b64 exec, exec, s[26:27]
	v_cmp_eq_u16_sdwa s[26:27], v15, v11 src0_sel:BYTE_0 src1_sel:DWORD
	v_and_b32_e32 v20, s27, v17
	v_or_b32_e32 v20, 0x80000000, v20
	ds_bpermute_b32 v39, v24, v14
	v_and_b32_e32 v21, s26, v16
	v_ffbl_b32_e32 v20, v20
	v_add_u32_e32 v20, 32, v20
	v_ffbl_b32_e32 v21, v21
	v_min_u32_e32 v20, v21, v20
	v_cmp_lt_u32_e32 vcc, v23, v20
	s_waitcnt lgkmcnt(0)
	v_cndmask_b32_e32 v21, 0, v39, vcc
	v_add_u32_e32 v14, v21, v14
	ds_bpermute_b32 v21, v25, v14
	v_cmp_le_u32_e32 vcc, v29, v20
	v_subrev_u32_e32 v12, 64, v12
	s_waitcnt lgkmcnt(0)
	v_cndmask_b32_e32 v21, 0, v21, vcc
	v_add_u32_e32 v14, v14, v21
	ds_bpermute_b32 v21, v30, v14
	v_cmp_le_u32_e32 vcc, v31, v20
	s_waitcnt lgkmcnt(0)
	v_cndmask_b32_e32 v21, 0, v21, vcc
	v_add_u32_e32 v14, v14, v21
	ds_bpermute_b32 v21, v32, v14
	v_cmp_le_u32_e32 vcc, v33, v20
	;; [unrolled: 5-line block ×4, first 2 shown]
	s_waitcnt lgkmcnt(0)
	v_cndmask_b32_e32 v20, 0, v21, vcc
	v_add3_u32 v14, v20, v34, v14
.LBB6446_42:                            ; =>This Loop Header: Depth=1
                                        ;     Child Loop BB6446_45 Depth 2
	v_cmp_ne_u16_sdwa s[26:27], v15, v11 src0_sel:BYTE_0 src1_sel:DWORD
	v_cndmask_b32_e64 v15, 0, 1, s[26:27]
	;;#ASMSTART
	;;#ASMEND
	v_cmp_ne_u32_e32 vcc, 0, v15
	s_cmp_lg_u64 vcc, exec
	v_mov_b32_e32 v34, v14
	s_cbranch_scc1 .LBB6446_47
; %bb.43:                               ;   in Loop: Header=BB6446_42 Depth=1
	v_lshlrev_b64 v[14:15], 3, v[12:13]
	v_mov_b32_e32 v21, s7
	v_add_co_u32_e32 v20, vcc, s6, v14
	v_addc_co_u32_e32 v21, vcc, v21, v15, vcc
	global_load_dwordx2 v[14:15], v[20:21], off glc
	s_waitcnt vmcnt(0)
	v_cmp_eq_u16_sdwa s[28:29], v15, v13 src0_sel:BYTE_0 src1_sel:DWORD
	s_and_saveexec_b64 s[26:27], s[28:29]
	s_cbranch_execz .LBB6446_41
; %bb.44:                               ;   in Loop: Header=BB6446_42 Depth=1
	s_mov_b64 s[28:29], 0
.LBB6446_45:                            ;   Parent Loop BB6446_42 Depth=1
                                        ; =>  This Inner Loop Header: Depth=2
	global_load_dwordx2 v[14:15], v[20:21], off glc
	s_waitcnt vmcnt(0)
	v_cmp_ne_u16_sdwa s[34:35], v15, v13 src0_sel:BYTE_0 src1_sel:DWORD
	s_or_b64 s[28:29], s[34:35], s[28:29]
	s_andn2_b64 exec, exec, s[28:29]
	s_cbranch_execnz .LBB6446_45
; %bb.46:                               ;   in Loop: Header=BB6446_42 Depth=1
	s_or_b64 exec, exec, s[28:29]
	s_branch .LBB6446_41
.LBB6446_47:                            ;   in Loop: Header=BB6446_42 Depth=1
                                        ; implicit-def: $vgpr14
                                        ; implicit-def: $vgpr15
	s_cbranch_execz .LBB6446_42
; %bb.48:
	s_and_saveexec_b64 s[26:27], s[4:5]
	s_cbranch_execz .LBB6446_50
; %bb.49:
	s_add_i32 s4, s33, 64
	s_mov_b32 s5, 0
	s_lshl_b64 s[4:5], s[4:5], 3
	s_add_u32 s4, s6, s4
	v_add_u32_e32 v10, v34, v10
	v_mov_b32_e32 v11, 2
	s_addc_u32 s5, s7, s5
	v_mov_b32_e32 v12, 0
	global_store_dwordx2 v12, v[10:11], s[4:5]
.LBB6446_50:
	s_or_b64 exec, exec, s[26:27]
	s_and_b64 exec, exec, s[2:3]
	s_cbranch_execz .LBB6446_52
; %bb.51:
	v_mov_b32_e32 v10, 0
	ds_write_b32 v10, v34
.LBB6446_52:
	s_or_b64 exec, exec, s[24:25]
	v_mov_b32_e32 v10, 0
	s_waitcnt lgkmcnt(0)
	s_barrier
	ds_read_b32 v10, v10
	s_waitcnt lgkmcnt(0)
	v_add3_u32 v10, v22, v6, v10
	v_add_u32_e32 v11, v10, v7
	v_add_u32_e32 v20, v11, v8
	;; [unrolled: 1-line block ×9, first 2 shown]
	s_branch .LBB6446_65
.LBB6446_53:
                                        ; implicit-def: $vgpr24_vgpr25
                                        ; implicit-def: $vgpr22_vgpr23
                                        ; implicit-def: $vgpr20_vgpr21
                                        ; implicit-def: $vgpr14_vgpr15_vgpr16_vgpr17
                                        ; implicit-def: $vgpr10_vgpr11_vgpr12_vgpr13
	s_cbranch_execz .LBB6446_65
; %bb.54:
	s_cmp_lg_u64 s[12:13], 0
	s_cselect_b64 s[4:5], -1, 0
	s_and_b64 s[12:13], s[2:3], s[4:5]
	s_and_saveexec_b64 s[4:5], s[12:13]
	s_cbranch_execz .LBB6446_56
; %bb.55:
	v_mov_b32_e32 v10, 0
	global_load_dword v10, v10, s[8:9]
	s_waitcnt vmcnt(0)
	v_add_u32_e32 v6, v10, v6
.LBB6446_56:
	s_or_b64 exec, exec, s[4:5]
	v_add_u32_e32 v11, v6, v7
	v_add_u32_e32 v20, v11, v8
	;; [unrolled: 1-line block ×9, first 2 shown]
	v_add_lshl_u32 v10, v28, v0, 2
	v_cmp_gt_u32_e32 vcc, 64, v0
	ds_write_b32 v10, v25
	s_waitcnt lgkmcnt(0)
	s_barrier
	s_and_saveexec_b64 s[4:5], vcc
	s_cbranch_execz .LBB6446_58
; %bb.57:
	v_lshlrev_b32_e32 v10, 1, v0
	v_lshrrev_b32_e32 v12, 4, v0
	v_add_lshl_u32 v10, v12, v10, 2
	ds_read2_b32 v[12:13], v10 offset1:1
	v_mbcnt_lo_u32_b32 v16, -1, 0
	v_mbcnt_hi_u32_b32 v16, -1, v16
	v_and_b32_e32 v17, 15, v16
	v_cmp_ne_u32_e32 vcc, 0, v17
	s_waitcnt lgkmcnt(0)
	v_add_u32_e32 v13, v13, v12
	; wave barrier
	s_nop 1
	v_mov_b32_dpp v28, v13 row_shr:1 row_mask:0xf bank_mask:0xf
	v_cndmask_b32_e32 v28, 0, v28, vcc
	v_add_u32_e32 v13, v28, v13
	v_cmp_lt_u32_e32 vcc, 1, v17
	s_nop 0
	v_mov_b32_dpp v28, v13 row_shr:2 row_mask:0xf bank_mask:0xf
	v_cndmask_b32_e32 v28, 0, v28, vcc
	v_add_u32_e32 v13, v13, v28
	v_cmp_lt_u32_e32 vcc, 3, v17
	;; [unrolled: 5-line block ×3, first 2 shown]
	s_nop 0
	v_mov_b32_dpp v28, v13 row_shr:8 row_mask:0xf bank_mask:0xf
	v_cndmask_b32_e32 v17, 0, v28, vcc
	v_add_u32_e32 v13, v13, v17
	v_bfe_i32 v28, v16, 4, 1
	v_cmp_lt_u32_e32 vcc, 31, v16
	v_mov_b32_dpp v17, v13 row_bcast:15 row_mask:0xf bank_mask:0xf
	v_and_b32_e32 v17, v28, v17
	v_add_u32_e32 v13, v13, v17
	v_and_b32_e32 v28, 64, v16
	s_nop 0
	v_mov_b32_dpp v17, v13 row_bcast:31 row_mask:0xf bank_mask:0xf
	v_cndmask_b32_e32 v17, 0, v17, vcc
	v_add_u32_e32 v13, v13, v17
	v_add_u32_e32 v17, -1, v16
	v_cmp_lt_i32_e32 vcc, v17, v28
	v_cndmask_b32_e32 v16, v17, v16, vcc
	v_lshlrev_b32_e32 v16, 2, v16
	ds_bpermute_b32 v13, v16, v13
	s_waitcnt lgkmcnt(0)
	v_add_u32_e32 v12, v13, v12
	v_cndmask_b32_e64 v12, v12, v25, s[2:3]
	ds_write_b32 v10, v12
	; wave barrier
	ds_read_b32 v13, v10 offset:4
	s_waitcnt lgkmcnt(0)
	v_add_u32_e32 v12, v13, v12
	ds_write_b32 v10, v12 offset:4
.LBB6446_58:
	s_or_b64 exec, exec, s[4:5]
	v_mov_b32_e32 v12, v25
	s_waitcnt lgkmcnt(0)
	s_barrier
	s_and_saveexec_b64 s[2:3], s[0:1]
	s_cbranch_execz .LBB6446_60
; %bb.59:
	v_add_u32_e32 v10, -1, v0
	v_lshrrev_b32_e32 v12, 5, v10
	v_add_lshl_u32 v10, v12, v10, 2
	ds_read_b32 v12, v10
.LBB6446_60:
	s_or_b64 exec, exec, s[2:3]
	v_mov_b32_e32 v10, v6
	s_and_saveexec_b64 s[2:3], s[0:1]
	s_cbranch_execz .LBB6446_62
; %bb.61:
	s_waitcnt lgkmcnt(0)
	v_add_u32_e32 v10, v12, v6
	v_add_u32_e32 v11, v10, v7
	;; [unrolled: 1-line block ×10, first 2 shown]
	;;#ASMSTART
	;;#ASMEND
.LBB6446_62:
	s_or_b64 exec, exec, s[2:3]
	s_movk_i32 s0, 0x7f
	v_cmp_eq_u32_e32 vcc, s0, v0
	s_and_saveexec_b64 s[0:1], vcc
	s_cbranch_execz .LBB6446_64
; %bb.63:
	v_mov_b32_e32 v4, 0
	v_mov_b32_e32 v3, 2
	;; [unrolled: 1-line block ×3, first 2 shown]
	global_store_dwordx2 v4, v[2:3], s[6:7] offset:512
.LBB6446_64:
	s_or_b64 exec, exec, s[0:1]
.LBB6446_65:
	s_add_u32 s0, s20, s18
	s_addc_u32 s1, s21, s19
	s_add_u32 s2, s0, s22
	s_addc_u32 s3, s1, s23
	s_mov_b64 s[0:1], -1
	s_and_b64 vcc, exec, s[16:17]
	s_waitcnt lgkmcnt(0)
	s_barrier
	s_cbranch_vccz .LBB6446_67
; %bb.66:
	ds_write2_b64 v1, v[10:11], v[20:21] offset1:1
	ds_write2_b64 v1, v[14:15], v[22:23] offset0:2 offset1:3
	ds_write_b64 v1, v[24:25] offset:32
	s_waitcnt lgkmcnt(0)
	s_barrier
	ds_read2st64_b32 v[2:3], v26 offset1:2
	ds_read2st64_b32 v[4:5], v26 offset0:4 offset1:6
	ds_read2st64_b32 v[6:7], v26 offset0:8 offset1:10
	;; [unrolled: 1-line block ×4, first 2 shown]
	v_mov_b32_e32 v17, s3
	v_add_co_u32_e32 v16, vcc, s2, v26
	v_addc_co_u32_e32 v17, vcc, 0, v17, vcc
	s_waitcnt lgkmcnt(4)
	flat_store_dword v[16:17], v2
	flat_store_dword v[16:17], v3 offset:512
	s_waitcnt lgkmcnt(0)
	flat_store_dword v[16:17], v4 offset:1024
	flat_store_dword v[16:17], v5 offset:1536
	;; [unrolled: 1-line block ×6, first 2 shown]
	v_add_co_u32_e32 v2, vcc, 0x1000, v16
	v_addc_co_u32_e32 v3, vcc, 0, v17, vcc
	flat_store_dword v[2:3], v12
	flat_store_dword v[2:3], v13 offset:512
	s_mov_b64 s[0:1], 0
.LBB6446_67:
	s_andn2_b64 vcc, exec, s[0:1]
	s_cbranch_vccnz .LBB6446_123
; %bb.68:
	ds_write2_b64 v1, v[10:11], v[20:21] offset1:1
	ds_write2_b64 v1, v[14:15], v[22:23] offset0:2 offset1:3
	ds_write_b64 v1, v[24:25] offset:32
	s_waitcnt lgkmcnt(0)
	s_barrier
	ds_read2st64_b32 v[2:3], v26 offset1:2
	ds_read2st64_b32 v[6:7], v26 offset0:4 offset1:6
	ds_read2st64_b32 v[4:5], v26 offset0:8 offset1:10
	;; [unrolled: 1-line block ×4, first 2 shown]
	v_mov_b32_e32 v13, s3
	v_add_co_u32_e32 v12, vcc, s2, v26
	v_addc_co_u32_e32 v13, vcc, 0, v13, vcc
	v_mov_b32_e32 v1, 0
	v_cmp_gt_u32_e32 vcc, s30, v0
	s_and_saveexec_b64 s[0:1], vcc
	s_cbranch_execz .LBB6446_70
; %bb.69:
	s_waitcnt lgkmcnt(0)
	flat_store_dword v[12:13], v2
.LBB6446_70:
	s_or_b64 exec, exec, s[0:1]
	v_or_b32_e32 v14, 0x80, v0
	v_cmp_gt_u32_e32 vcc, s30, v14
	s_and_saveexec_b64 s[0:1], vcc
	s_cbranch_execz .LBB6446_72
; %bb.71:
	s_waitcnt lgkmcnt(0)
	flat_store_dword v[12:13], v3 offset:512
.LBB6446_72:
	s_or_b64 exec, exec, s[0:1]
	v_or_b32_e32 v14, 0x100, v0
	v_cmp_gt_u32_e32 vcc, s30, v14
	s_and_saveexec_b64 s[0:1], vcc
	s_cbranch_execz .LBB6446_74
; %bb.73:
	s_waitcnt lgkmcnt(0)
	flat_store_dword v[12:13], v6 offset:1024
.LBB6446_74:
	;; [unrolled: 9-line block ×7, first 2 shown]
	s_or_b64 exec, exec, s[0:1]
	v_or_b32_e32 v14, 0x400, v0
	v_cmp_gt_u32_e32 vcc, s30, v14
	s_and_saveexec_b64 s[0:1], vcc
	s_cbranch_execz .LBB6446_86
; %bb.85:
	v_add_co_u32_e32 v14, vcc, 0x1000, v12
	v_addc_co_u32_e32 v15, vcc, 0, v13, vcc
	s_waitcnt lgkmcnt(0)
	flat_store_dword v[14:15], v10
.LBB6446_86:
	s_or_b64 exec, exec, s[0:1]
	v_or_b32_e32 v14, 0x480, v0
	v_cmp_gt_u32_e32 vcc, s30, v14
	s_and_saveexec_b64 s[0:1], vcc
	s_cbranch_execz .LBB6446_88
; %bb.87:
	v_add_co_u32_e32 v12, vcc, 0x1000, v12
	v_addc_co_u32_e32 v13, vcc, 0, v13, vcc
	s_waitcnt lgkmcnt(0)
	flat_store_dword v[12:13], v11 offset:512
.LBB6446_88:
	s_or_b64 exec, exec, s[0:1]
	v_cmp_lt_u64_e64 s[0:1], s[14:15], 2
	s_and_b64 vcc, exec, s[0:1]
	s_cbranch_vccnz .LBB6446_123
; %bb.89:
	s_add_u32 s0, s30, -1
	s_addc_u32 s1, s31, -1
	s_add_u32 s2, 0, 0x99986000
	s_addc_u32 s3, 0, 0x59
	s_add_i32 s3, s3, 0x19999940
	s_mul_hi_u32 s7, s2, -10
	s_sub_i32 s7, s7, s2
	s_mul_i32 s8, s3, -10
	s_mul_i32 s4, s2, -10
	s_add_i32 s7, s7, s8
	s_mul_hi_u32 s5, s3, s4
	s_mul_i32 s6, s3, s4
	s_mul_i32 s9, s2, s7
	s_mul_hi_u32 s4, s2, s4
	s_mul_hi_u32 s8, s2, s7
	s_add_u32 s4, s4, s9
	s_addc_u32 s8, 0, s8
	s_add_u32 s4, s4, s6
	s_mul_hi_u32 s9, s3, s7
	s_addc_u32 s4, s8, s5
	s_addc_u32 s5, s9, 0
	s_mul_i32 s6, s3, s7
	s_add_u32 s4, s4, s6
	v_mov_b32_e32 v12, s4
	s_addc_u32 s5, 0, s5
	v_add_co_u32_e32 v12, vcc, s2, v12
	s_cmp_lg_u64 vcc, 0
	s_addc_u32 s2, s3, s5
	v_readfirstlane_b32 s5, v12
	s_mul_i32 s4, s0, s2
	s_mul_hi_u32 s6, s0, s5
	s_mul_hi_u32 s3, s0, s2
	s_add_u32 s4, s6, s4
	s_addc_u32 s3, 0, s3
	s_mul_hi_u32 s7, s1, s5
	s_mul_i32 s5, s1, s5
	s_add_u32 s4, s4, s5
	s_mul_hi_u32 s6, s1, s2
	s_addc_u32 s3, s3, s7
	s_addc_u32 s4, s6, 0
	s_mul_i32 s2, s1, s2
	s_add_u32 s2, s3, s2
	s_addc_u32 s3, 0, s4
	s_add_u32 s4, s2, 1
	s_addc_u32 s5, s3, 0
	s_add_u32 s6, s2, 2
	s_mul_i32 s8, s3, 10
	s_mul_hi_u32 s9, s2, 10
	s_addc_u32 s7, s3, 0
	s_add_i32 s9, s9, s8
	s_mul_i32 s8, s2, 10
	v_mov_b32_e32 v12, s8
	v_sub_co_u32_e32 v12, vcc, s0, v12
	s_cmp_lg_u64 vcc, 0
	s_subb_u32 s8, s1, s9
	v_subrev_co_u32_e32 v13, vcc, 10, v12
	s_cmp_lg_u64 vcc, 0
	s_subb_u32 s9, s8, 0
	v_readfirstlane_b32 s12, v13
	s_cmp_gt_u32 s12, 9
	s_cselect_b32 s12, -1, 0
	s_cmp_eq_u32 s9, 0
	s_cselect_b32 s9, s12, -1
	s_cmp_lg_u32 s9, 0
	s_cselect_b32 s4, s6, s4
	v_readfirstlane_b32 s6, v12
	s_cselect_b32 s5, s7, s5
	s_cmp_gt_u32 s6, 9
	s_cselect_b32 s6, -1, 0
	s_cmp_eq_u32 s8, 0
	s_cselect_b32 s6, s6, -1
	s_cmp_lg_u32 s6, 0
	s_cselect_b32 s3, s5, s3
	s_cselect_b32 s2, s4, s2
	v_cmp_eq_u64_e32 vcc, s[2:3], v[0:1]
	s_and_saveexec_b64 s[2:3], vcc
	s_cbranch_execz .LBB6446_123
; %bb.90:
	v_mul_hi_u32_u24_e32 v1, 10, v0
	v_mov_b32_e32 v12, s1
	v_sub_co_u32_e32 v0, vcc, s0, v27
	v_subb_co_u32_e32 v1, vcc, v12, v1, vcc
	v_cmp_lt_i64_e32 vcc, 4, v[0:1]
	s_and_saveexec_b64 s[0:1], vcc
	s_xor_b64 s[0:1], exec, s[0:1]
	s_cbranch_execz .LBB6446_108
; %bb.91:
	v_cmp_lt_i64_e32 vcc, 6, v[0:1]
	s_and_saveexec_b64 s[2:3], vcc
	s_xor_b64 s[2:3], exec, s[2:3]
	s_cbranch_execz .LBB6446_101
; %bb.92:
	;; [unrolled: 5-line block ×4, first 2 shown]
	v_mov_b32_e32 v0, 0
	s_waitcnt lgkmcnt(0)
	global_store_dword v0, v11, s[10:11]
                                        ; implicit-def: $vgpr10_vgpr11
.LBB6446_95:
	s_andn2_saveexec_b64 s[6:7], s[6:7]
	s_cbranch_execz .LBB6446_97
; %bb.96:
	v_mov_b32_e32 v0, 0
	s_waitcnt lgkmcnt(0)
	global_store_dword v0, v10, s[10:11]
.LBB6446_97:
	s_or_b64 exec, exec, s[6:7]
                                        ; implicit-def: $vgpr8_vgpr9
.LBB6446_98:
	s_andn2_saveexec_b64 s[4:5], s[4:5]
	s_cbranch_execz .LBB6446_100
; %bb.99:
	v_mov_b32_e32 v0, 0
	s_waitcnt lgkmcnt(0)
	global_store_dword v0, v9, s[10:11]
.LBB6446_100:
	s_or_b64 exec, exec, s[4:5]
                                        ; implicit-def: $vgpr4_vgpr5
                                        ; implicit-def: $vgpr0_vgpr1
                                        ; implicit-def: $vgpr8_vgpr9
.LBB6446_101:
	s_andn2_saveexec_b64 s[2:3], s[2:3]
	s_cbranch_execz .LBB6446_107
; %bb.102:
	v_cmp_lt_i64_e32 vcc, 5, v[0:1]
	s_and_saveexec_b64 s[4:5], vcc
	s_xor_b64 s[4:5], exec, s[4:5]
	s_cbranch_execz .LBB6446_104
; %bb.103:
	v_mov_b32_e32 v0, 0
	s_waitcnt lgkmcnt(0)
	global_store_dword v0, v8, s[10:11]
                                        ; implicit-def: $vgpr4_vgpr5
.LBB6446_104:
	s_andn2_saveexec_b64 s[4:5], s[4:5]
	s_cbranch_execz .LBB6446_106
; %bb.105:
	v_mov_b32_e32 v0, 0
	s_waitcnt lgkmcnt(0)
	global_store_dword v0, v5, s[10:11]
.LBB6446_106:
	s_or_b64 exec, exec, s[4:5]
.LBB6446_107:
	s_or_b64 exec, exec, s[2:3]
                                        ; implicit-def: $vgpr0_vgpr1
                                        ; implicit-def: $vgpr6_vgpr7
                                        ; implicit-def: $vgpr2_vgpr3
                                        ; implicit-def: $vgpr4_vgpr5
.LBB6446_108:
	s_andn2_saveexec_b64 s[0:1], s[0:1]
	s_cbranch_execz .LBB6446_123
; %bb.109:
	v_cmp_lt_i64_e32 vcc, 2, v[0:1]
	s_and_saveexec_b64 s[0:1], vcc
	s_xor_b64 s[0:1], exec, s[0:1]
	s_cbranch_execz .LBB6446_115
; %bb.110:
	v_cmp_lt_i64_e32 vcc, 3, v[0:1]
	s_and_saveexec_b64 s[2:3], vcc
	s_xor_b64 s[2:3], exec, s[2:3]
	s_cbranch_execz .LBB6446_112
; %bb.111:
	v_mov_b32_e32 v0, 0
	s_waitcnt lgkmcnt(0)
	global_store_dword v0, v4, s[10:11]
                                        ; implicit-def: $vgpr6_vgpr7
.LBB6446_112:
	s_andn2_saveexec_b64 s[2:3], s[2:3]
	s_cbranch_execz .LBB6446_114
; %bb.113:
	v_mov_b32_e32 v0, 0
	s_waitcnt lgkmcnt(0)
	global_store_dword v0, v7, s[10:11]
.LBB6446_114:
	s_or_b64 exec, exec, s[2:3]
                                        ; implicit-def: $vgpr0_vgpr1
                                        ; implicit-def: $vgpr6_vgpr7
                                        ; implicit-def: $vgpr2_vgpr3
.LBB6446_115:
	s_andn2_saveexec_b64 s[0:1], s[0:1]
	s_cbranch_execz .LBB6446_123
; %bb.116:
	v_cmp_lt_i64_e32 vcc, 1, v[0:1]
	s_and_saveexec_b64 s[0:1], vcc
	s_xor_b64 s[0:1], exec, s[0:1]
	s_cbranch_execz .LBB6446_118
; %bb.117:
	v_mov_b32_e32 v0, 0
	s_waitcnt lgkmcnt(0)
	global_store_dword v0, v6, s[10:11]
                                        ; implicit-def: $vgpr2_vgpr3
                                        ; implicit-def: $vgpr0_vgpr1
.LBB6446_118:
	s_andn2_saveexec_b64 s[0:1], s[0:1]
	s_cbranch_execz .LBB6446_123
; %bb.119:
	v_cmp_ne_u64_e32 vcc, 1, v[0:1]
	s_and_saveexec_b64 s[0:1], vcc
	s_xor_b64 s[0:1], exec, s[0:1]
	s_cbranch_execz .LBB6446_121
; %bb.120:
	v_mov_b32_e32 v0, 0
	s_waitcnt lgkmcnt(0)
	global_store_dword v0, v2, s[10:11]
                                        ; implicit-def: $vgpr2_vgpr3
.LBB6446_121:
	s_andn2_saveexec_b64 s[0:1], s[0:1]
	s_cbranch_execz .LBB6446_123
; %bb.122:
	v_mov_b32_e32 v0, 0
	s_waitcnt lgkmcnt(0)
	global_store_dword v0, v3, s[10:11]
.LBB6446_123:
	s_endpgm
	.section	.rodata,"a",@progbits
	.p2align	6, 0x0
	.amdhsa_kernel _ZN7rocprim17ROCPRIM_400000_NS6detail17trampoline_kernelINS0_14default_configENS1_20scan_config_selectorI11FixedVectorIiLj1EEEEZZNS1_9scan_implILNS1_25lookback_scan_determinismE0ELb0ELb0ES3_N6thrust23THRUST_200600_302600_NS6detail15normal_iteratorINSB_10device_ptrIS6_EEEESG_S6_NSB_4plusIvEES6_EEDaPvRmT3_T4_T5_mT6_P12ihipStream_tbENKUlT_T0_E_clISt17integral_constantIbLb0EESV_IbLb1EEEEDaSR_SS_EUlSR_E_NS1_11comp_targetILNS1_3genE4ELNS1_11target_archE910ELNS1_3gpuE8ELNS1_3repE0EEENS1_30default_config_static_selectorELNS0_4arch9wavefront6targetE1EEEvT1_
		.amdhsa_group_segment_fixed_size 5120
		.amdhsa_private_segment_fixed_size 0
		.amdhsa_kernarg_size 96
		.amdhsa_user_sgpr_count 6
		.amdhsa_user_sgpr_private_segment_buffer 1
		.amdhsa_user_sgpr_dispatch_ptr 0
		.amdhsa_user_sgpr_queue_ptr 0
		.amdhsa_user_sgpr_kernarg_segment_ptr 1
		.amdhsa_user_sgpr_dispatch_id 0
		.amdhsa_user_sgpr_flat_scratch_init 0
		.amdhsa_user_sgpr_kernarg_preload_length 0
		.amdhsa_user_sgpr_kernarg_preload_offset 0
		.amdhsa_user_sgpr_private_segment_size 0
		.amdhsa_uses_dynamic_stack 0
		.amdhsa_system_sgpr_private_segment_wavefront_offset 0
		.amdhsa_system_sgpr_workgroup_id_x 1
		.amdhsa_system_sgpr_workgroup_id_y 0
		.amdhsa_system_sgpr_workgroup_id_z 0
		.amdhsa_system_sgpr_workgroup_info 0
		.amdhsa_system_vgpr_workitem_id 0
		.amdhsa_next_free_vgpr 40
		.amdhsa_next_free_sgpr 36
		.amdhsa_accum_offset 40
		.amdhsa_reserve_vcc 1
		.amdhsa_reserve_flat_scratch 0
		.amdhsa_float_round_mode_32 0
		.amdhsa_float_round_mode_16_64 0
		.amdhsa_float_denorm_mode_32 3
		.amdhsa_float_denorm_mode_16_64 3
		.amdhsa_dx10_clamp 1
		.amdhsa_ieee_mode 1
		.amdhsa_fp16_overflow 0
		.amdhsa_tg_split 0
		.amdhsa_exception_fp_ieee_invalid_op 0
		.amdhsa_exception_fp_denorm_src 0
		.amdhsa_exception_fp_ieee_div_zero 0
		.amdhsa_exception_fp_ieee_overflow 0
		.amdhsa_exception_fp_ieee_underflow 0
		.amdhsa_exception_fp_ieee_inexact 0
		.amdhsa_exception_int_div_zero 0
	.end_amdhsa_kernel
	.section	.text._ZN7rocprim17ROCPRIM_400000_NS6detail17trampoline_kernelINS0_14default_configENS1_20scan_config_selectorI11FixedVectorIiLj1EEEEZZNS1_9scan_implILNS1_25lookback_scan_determinismE0ELb0ELb0ES3_N6thrust23THRUST_200600_302600_NS6detail15normal_iteratorINSB_10device_ptrIS6_EEEESG_S6_NSB_4plusIvEES6_EEDaPvRmT3_T4_T5_mT6_P12ihipStream_tbENKUlT_T0_E_clISt17integral_constantIbLb0EESV_IbLb1EEEEDaSR_SS_EUlSR_E_NS1_11comp_targetILNS1_3genE4ELNS1_11target_archE910ELNS1_3gpuE8ELNS1_3repE0EEENS1_30default_config_static_selectorELNS0_4arch9wavefront6targetE1EEEvT1_,"axG",@progbits,_ZN7rocprim17ROCPRIM_400000_NS6detail17trampoline_kernelINS0_14default_configENS1_20scan_config_selectorI11FixedVectorIiLj1EEEEZZNS1_9scan_implILNS1_25lookback_scan_determinismE0ELb0ELb0ES3_N6thrust23THRUST_200600_302600_NS6detail15normal_iteratorINSB_10device_ptrIS6_EEEESG_S6_NSB_4plusIvEES6_EEDaPvRmT3_T4_T5_mT6_P12ihipStream_tbENKUlT_T0_E_clISt17integral_constantIbLb0EESV_IbLb1EEEEDaSR_SS_EUlSR_E_NS1_11comp_targetILNS1_3genE4ELNS1_11target_archE910ELNS1_3gpuE8ELNS1_3repE0EEENS1_30default_config_static_selectorELNS0_4arch9wavefront6targetE1EEEvT1_,comdat
.Lfunc_end6446:
	.size	_ZN7rocprim17ROCPRIM_400000_NS6detail17trampoline_kernelINS0_14default_configENS1_20scan_config_selectorI11FixedVectorIiLj1EEEEZZNS1_9scan_implILNS1_25lookback_scan_determinismE0ELb0ELb0ES3_N6thrust23THRUST_200600_302600_NS6detail15normal_iteratorINSB_10device_ptrIS6_EEEESG_S6_NSB_4plusIvEES6_EEDaPvRmT3_T4_T5_mT6_P12ihipStream_tbENKUlT_T0_E_clISt17integral_constantIbLb0EESV_IbLb1EEEEDaSR_SS_EUlSR_E_NS1_11comp_targetILNS1_3genE4ELNS1_11target_archE910ELNS1_3gpuE8ELNS1_3repE0EEENS1_30default_config_static_selectorELNS0_4arch9wavefront6targetE1EEEvT1_, .Lfunc_end6446-_ZN7rocprim17ROCPRIM_400000_NS6detail17trampoline_kernelINS0_14default_configENS1_20scan_config_selectorI11FixedVectorIiLj1EEEEZZNS1_9scan_implILNS1_25lookback_scan_determinismE0ELb0ELb0ES3_N6thrust23THRUST_200600_302600_NS6detail15normal_iteratorINSB_10device_ptrIS6_EEEESG_S6_NSB_4plusIvEES6_EEDaPvRmT3_T4_T5_mT6_P12ihipStream_tbENKUlT_T0_E_clISt17integral_constantIbLb0EESV_IbLb1EEEEDaSR_SS_EUlSR_E_NS1_11comp_targetILNS1_3genE4ELNS1_11target_archE910ELNS1_3gpuE8ELNS1_3repE0EEENS1_30default_config_static_selectorELNS0_4arch9wavefront6targetE1EEEvT1_
                                        ; -- End function
	.section	.AMDGPU.csdata,"",@progbits
; Kernel info:
; codeLenInByte = 4504
; NumSgprs: 40
; NumVgprs: 40
; NumAgprs: 0
; TotalNumVgprs: 40
; ScratchSize: 0
; MemoryBound: 0
; FloatMode: 240
; IeeeMode: 1
; LDSByteSize: 5120 bytes/workgroup (compile time only)
; SGPRBlocks: 4
; VGPRBlocks: 4
; NumSGPRsForWavesPerEU: 40
; NumVGPRsForWavesPerEU: 40
; AccumOffset: 40
; Occupancy: 6
; WaveLimiterHint : 1
; COMPUTE_PGM_RSRC2:SCRATCH_EN: 0
; COMPUTE_PGM_RSRC2:USER_SGPR: 6
; COMPUTE_PGM_RSRC2:TRAP_HANDLER: 0
; COMPUTE_PGM_RSRC2:TGID_X_EN: 1
; COMPUTE_PGM_RSRC2:TGID_Y_EN: 0
; COMPUTE_PGM_RSRC2:TGID_Z_EN: 0
; COMPUTE_PGM_RSRC2:TIDIG_COMP_CNT: 0
; COMPUTE_PGM_RSRC3_GFX90A:ACCUM_OFFSET: 9
; COMPUTE_PGM_RSRC3_GFX90A:TG_SPLIT: 0
	.section	.text._ZN7rocprim17ROCPRIM_400000_NS6detail17trampoline_kernelINS0_14default_configENS1_20scan_config_selectorI11FixedVectorIiLj1EEEEZZNS1_9scan_implILNS1_25lookback_scan_determinismE0ELb0ELb0ES3_N6thrust23THRUST_200600_302600_NS6detail15normal_iteratorINSB_10device_ptrIS6_EEEESG_S6_NSB_4plusIvEES6_EEDaPvRmT3_T4_T5_mT6_P12ihipStream_tbENKUlT_T0_E_clISt17integral_constantIbLb0EESV_IbLb1EEEEDaSR_SS_EUlSR_E_NS1_11comp_targetILNS1_3genE3ELNS1_11target_archE908ELNS1_3gpuE7ELNS1_3repE0EEENS1_30default_config_static_selectorELNS0_4arch9wavefront6targetE1EEEvT1_,"axG",@progbits,_ZN7rocprim17ROCPRIM_400000_NS6detail17trampoline_kernelINS0_14default_configENS1_20scan_config_selectorI11FixedVectorIiLj1EEEEZZNS1_9scan_implILNS1_25lookback_scan_determinismE0ELb0ELb0ES3_N6thrust23THRUST_200600_302600_NS6detail15normal_iteratorINSB_10device_ptrIS6_EEEESG_S6_NSB_4plusIvEES6_EEDaPvRmT3_T4_T5_mT6_P12ihipStream_tbENKUlT_T0_E_clISt17integral_constantIbLb0EESV_IbLb1EEEEDaSR_SS_EUlSR_E_NS1_11comp_targetILNS1_3genE3ELNS1_11target_archE908ELNS1_3gpuE7ELNS1_3repE0EEENS1_30default_config_static_selectorELNS0_4arch9wavefront6targetE1EEEvT1_,comdat
	.protected	_ZN7rocprim17ROCPRIM_400000_NS6detail17trampoline_kernelINS0_14default_configENS1_20scan_config_selectorI11FixedVectorIiLj1EEEEZZNS1_9scan_implILNS1_25lookback_scan_determinismE0ELb0ELb0ES3_N6thrust23THRUST_200600_302600_NS6detail15normal_iteratorINSB_10device_ptrIS6_EEEESG_S6_NSB_4plusIvEES6_EEDaPvRmT3_T4_T5_mT6_P12ihipStream_tbENKUlT_T0_E_clISt17integral_constantIbLb0EESV_IbLb1EEEEDaSR_SS_EUlSR_E_NS1_11comp_targetILNS1_3genE3ELNS1_11target_archE908ELNS1_3gpuE7ELNS1_3repE0EEENS1_30default_config_static_selectorELNS0_4arch9wavefront6targetE1EEEvT1_ ; -- Begin function _ZN7rocprim17ROCPRIM_400000_NS6detail17trampoline_kernelINS0_14default_configENS1_20scan_config_selectorI11FixedVectorIiLj1EEEEZZNS1_9scan_implILNS1_25lookback_scan_determinismE0ELb0ELb0ES3_N6thrust23THRUST_200600_302600_NS6detail15normal_iteratorINSB_10device_ptrIS6_EEEESG_S6_NSB_4plusIvEES6_EEDaPvRmT3_T4_T5_mT6_P12ihipStream_tbENKUlT_T0_E_clISt17integral_constantIbLb0EESV_IbLb1EEEEDaSR_SS_EUlSR_E_NS1_11comp_targetILNS1_3genE3ELNS1_11target_archE908ELNS1_3gpuE7ELNS1_3repE0EEENS1_30default_config_static_selectorELNS0_4arch9wavefront6targetE1EEEvT1_
	.globl	_ZN7rocprim17ROCPRIM_400000_NS6detail17trampoline_kernelINS0_14default_configENS1_20scan_config_selectorI11FixedVectorIiLj1EEEEZZNS1_9scan_implILNS1_25lookback_scan_determinismE0ELb0ELb0ES3_N6thrust23THRUST_200600_302600_NS6detail15normal_iteratorINSB_10device_ptrIS6_EEEESG_S6_NSB_4plusIvEES6_EEDaPvRmT3_T4_T5_mT6_P12ihipStream_tbENKUlT_T0_E_clISt17integral_constantIbLb0EESV_IbLb1EEEEDaSR_SS_EUlSR_E_NS1_11comp_targetILNS1_3genE3ELNS1_11target_archE908ELNS1_3gpuE7ELNS1_3repE0EEENS1_30default_config_static_selectorELNS0_4arch9wavefront6targetE1EEEvT1_
	.p2align	8
	.type	_ZN7rocprim17ROCPRIM_400000_NS6detail17trampoline_kernelINS0_14default_configENS1_20scan_config_selectorI11FixedVectorIiLj1EEEEZZNS1_9scan_implILNS1_25lookback_scan_determinismE0ELb0ELb0ES3_N6thrust23THRUST_200600_302600_NS6detail15normal_iteratorINSB_10device_ptrIS6_EEEESG_S6_NSB_4plusIvEES6_EEDaPvRmT3_T4_T5_mT6_P12ihipStream_tbENKUlT_T0_E_clISt17integral_constantIbLb0EESV_IbLb1EEEEDaSR_SS_EUlSR_E_NS1_11comp_targetILNS1_3genE3ELNS1_11target_archE908ELNS1_3gpuE7ELNS1_3repE0EEENS1_30default_config_static_selectorELNS0_4arch9wavefront6targetE1EEEvT1_,@function
_ZN7rocprim17ROCPRIM_400000_NS6detail17trampoline_kernelINS0_14default_configENS1_20scan_config_selectorI11FixedVectorIiLj1EEEEZZNS1_9scan_implILNS1_25lookback_scan_determinismE0ELb0ELb0ES3_N6thrust23THRUST_200600_302600_NS6detail15normal_iteratorINSB_10device_ptrIS6_EEEESG_S6_NSB_4plusIvEES6_EEDaPvRmT3_T4_T5_mT6_P12ihipStream_tbENKUlT_T0_E_clISt17integral_constantIbLb0EESV_IbLb1EEEEDaSR_SS_EUlSR_E_NS1_11comp_targetILNS1_3genE3ELNS1_11target_archE908ELNS1_3gpuE7ELNS1_3repE0EEENS1_30default_config_static_selectorELNS0_4arch9wavefront6targetE1EEEvT1_: ; @_ZN7rocprim17ROCPRIM_400000_NS6detail17trampoline_kernelINS0_14default_configENS1_20scan_config_selectorI11FixedVectorIiLj1EEEEZZNS1_9scan_implILNS1_25lookback_scan_determinismE0ELb0ELb0ES3_N6thrust23THRUST_200600_302600_NS6detail15normal_iteratorINSB_10device_ptrIS6_EEEESG_S6_NSB_4plusIvEES6_EEDaPvRmT3_T4_T5_mT6_P12ihipStream_tbENKUlT_T0_E_clISt17integral_constantIbLb0EESV_IbLb1EEEEDaSR_SS_EUlSR_E_NS1_11comp_targetILNS1_3genE3ELNS1_11target_archE908ELNS1_3gpuE7ELNS1_3repE0EEENS1_30default_config_static_selectorELNS0_4arch9wavefront6targetE1EEEvT1_
; %bb.0:
	.section	.rodata,"a",@progbits
	.p2align	6, 0x0
	.amdhsa_kernel _ZN7rocprim17ROCPRIM_400000_NS6detail17trampoline_kernelINS0_14default_configENS1_20scan_config_selectorI11FixedVectorIiLj1EEEEZZNS1_9scan_implILNS1_25lookback_scan_determinismE0ELb0ELb0ES3_N6thrust23THRUST_200600_302600_NS6detail15normal_iteratorINSB_10device_ptrIS6_EEEESG_S6_NSB_4plusIvEES6_EEDaPvRmT3_T4_T5_mT6_P12ihipStream_tbENKUlT_T0_E_clISt17integral_constantIbLb0EESV_IbLb1EEEEDaSR_SS_EUlSR_E_NS1_11comp_targetILNS1_3genE3ELNS1_11target_archE908ELNS1_3gpuE7ELNS1_3repE0EEENS1_30default_config_static_selectorELNS0_4arch9wavefront6targetE1EEEvT1_
		.amdhsa_group_segment_fixed_size 0
		.amdhsa_private_segment_fixed_size 0
		.amdhsa_kernarg_size 96
		.amdhsa_user_sgpr_count 6
		.amdhsa_user_sgpr_private_segment_buffer 1
		.amdhsa_user_sgpr_dispatch_ptr 0
		.amdhsa_user_sgpr_queue_ptr 0
		.amdhsa_user_sgpr_kernarg_segment_ptr 1
		.amdhsa_user_sgpr_dispatch_id 0
		.amdhsa_user_sgpr_flat_scratch_init 0
		.amdhsa_user_sgpr_kernarg_preload_length 0
		.amdhsa_user_sgpr_kernarg_preload_offset 0
		.amdhsa_user_sgpr_private_segment_size 0
		.amdhsa_uses_dynamic_stack 0
		.amdhsa_system_sgpr_private_segment_wavefront_offset 0
		.amdhsa_system_sgpr_workgroup_id_x 1
		.amdhsa_system_sgpr_workgroup_id_y 0
		.amdhsa_system_sgpr_workgroup_id_z 0
		.amdhsa_system_sgpr_workgroup_info 0
		.amdhsa_system_vgpr_workitem_id 0
		.amdhsa_next_free_vgpr 1
		.amdhsa_next_free_sgpr 0
		.amdhsa_accum_offset 4
		.amdhsa_reserve_vcc 0
		.amdhsa_reserve_flat_scratch 0
		.amdhsa_float_round_mode_32 0
		.amdhsa_float_round_mode_16_64 0
		.amdhsa_float_denorm_mode_32 3
		.amdhsa_float_denorm_mode_16_64 3
		.amdhsa_dx10_clamp 1
		.amdhsa_ieee_mode 1
		.amdhsa_fp16_overflow 0
		.amdhsa_tg_split 0
		.amdhsa_exception_fp_ieee_invalid_op 0
		.amdhsa_exception_fp_denorm_src 0
		.amdhsa_exception_fp_ieee_div_zero 0
		.amdhsa_exception_fp_ieee_overflow 0
		.amdhsa_exception_fp_ieee_underflow 0
		.amdhsa_exception_fp_ieee_inexact 0
		.amdhsa_exception_int_div_zero 0
	.end_amdhsa_kernel
	.section	.text._ZN7rocprim17ROCPRIM_400000_NS6detail17trampoline_kernelINS0_14default_configENS1_20scan_config_selectorI11FixedVectorIiLj1EEEEZZNS1_9scan_implILNS1_25lookback_scan_determinismE0ELb0ELb0ES3_N6thrust23THRUST_200600_302600_NS6detail15normal_iteratorINSB_10device_ptrIS6_EEEESG_S6_NSB_4plusIvEES6_EEDaPvRmT3_T4_T5_mT6_P12ihipStream_tbENKUlT_T0_E_clISt17integral_constantIbLb0EESV_IbLb1EEEEDaSR_SS_EUlSR_E_NS1_11comp_targetILNS1_3genE3ELNS1_11target_archE908ELNS1_3gpuE7ELNS1_3repE0EEENS1_30default_config_static_selectorELNS0_4arch9wavefront6targetE1EEEvT1_,"axG",@progbits,_ZN7rocprim17ROCPRIM_400000_NS6detail17trampoline_kernelINS0_14default_configENS1_20scan_config_selectorI11FixedVectorIiLj1EEEEZZNS1_9scan_implILNS1_25lookback_scan_determinismE0ELb0ELb0ES3_N6thrust23THRUST_200600_302600_NS6detail15normal_iteratorINSB_10device_ptrIS6_EEEESG_S6_NSB_4plusIvEES6_EEDaPvRmT3_T4_T5_mT6_P12ihipStream_tbENKUlT_T0_E_clISt17integral_constantIbLb0EESV_IbLb1EEEEDaSR_SS_EUlSR_E_NS1_11comp_targetILNS1_3genE3ELNS1_11target_archE908ELNS1_3gpuE7ELNS1_3repE0EEENS1_30default_config_static_selectorELNS0_4arch9wavefront6targetE1EEEvT1_,comdat
.Lfunc_end6447:
	.size	_ZN7rocprim17ROCPRIM_400000_NS6detail17trampoline_kernelINS0_14default_configENS1_20scan_config_selectorI11FixedVectorIiLj1EEEEZZNS1_9scan_implILNS1_25lookback_scan_determinismE0ELb0ELb0ES3_N6thrust23THRUST_200600_302600_NS6detail15normal_iteratorINSB_10device_ptrIS6_EEEESG_S6_NSB_4plusIvEES6_EEDaPvRmT3_T4_T5_mT6_P12ihipStream_tbENKUlT_T0_E_clISt17integral_constantIbLb0EESV_IbLb1EEEEDaSR_SS_EUlSR_E_NS1_11comp_targetILNS1_3genE3ELNS1_11target_archE908ELNS1_3gpuE7ELNS1_3repE0EEENS1_30default_config_static_selectorELNS0_4arch9wavefront6targetE1EEEvT1_, .Lfunc_end6447-_ZN7rocprim17ROCPRIM_400000_NS6detail17trampoline_kernelINS0_14default_configENS1_20scan_config_selectorI11FixedVectorIiLj1EEEEZZNS1_9scan_implILNS1_25lookback_scan_determinismE0ELb0ELb0ES3_N6thrust23THRUST_200600_302600_NS6detail15normal_iteratorINSB_10device_ptrIS6_EEEESG_S6_NSB_4plusIvEES6_EEDaPvRmT3_T4_T5_mT6_P12ihipStream_tbENKUlT_T0_E_clISt17integral_constantIbLb0EESV_IbLb1EEEEDaSR_SS_EUlSR_E_NS1_11comp_targetILNS1_3genE3ELNS1_11target_archE908ELNS1_3gpuE7ELNS1_3repE0EEENS1_30default_config_static_selectorELNS0_4arch9wavefront6targetE1EEEvT1_
                                        ; -- End function
	.section	.AMDGPU.csdata,"",@progbits
; Kernel info:
; codeLenInByte = 0
; NumSgprs: 4
; NumVgprs: 0
; NumAgprs: 0
; TotalNumVgprs: 0
; ScratchSize: 0
; MemoryBound: 0
; FloatMode: 240
; IeeeMode: 1
; LDSByteSize: 0 bytes/workgroup (compile time only)
; SGPRBlocks: 0
; VGPRBlocks: 0
; NumSGPRsForWavesPerEU: 4
; NumVGPRsForWavesPerEU: 1
; AccumOffset: 4
; Occupancy: 8
; WaveLimiterHint : 0
; COMPUTE_PGM_RSRC2:SCRATCH_EN: 0
; COMPUTE_PGM_RSRC2:USER_SGPR: 6
; COMPUTE_PGM_RSRC2:TRAP_HANDLER: 0
; COMPUTE_PGM_RSRC2:TGID_X_EN: 1
; COMPUTE_PGM_RSRC2:TGID_Y_EN: 0
; COMPUTE_PGM_RSRC2:TGID_Z_EN: 0
; COMPUTE_PGM_RSRC2:TIDIG_COMP_CNT: 0
; COMPUTE_PGM_RSRC3_GFX90A:ACCUM_OFFSET: 0
; COMPUTE_PGM_RSRC3_GFX90A:TG_SPLIT: 0
	.section	.text._ZN7rocprim17ROCPRIM_400000_NS6detail17trampoline_kernelINS0_14default_configENS1_20scan_config_selectorI11FixedVectorIiLj1EEEEZZNS1_9scan_implILNS1_25lookback_scan_determinismE0ELb0ELb0ES3_N6thrust23THRUST_200600_302600_NS6detail15normal_iteratorINSB_10device_ptrIS6_EEEESG_S6_NSB_4plusIvEES6_EEDaPvRmT3_T4_T5_mT6_P12ihipStream_tbENKUlT_T0_E_clISt17integral_constantIbLb0EESV_IbLb1EEEEDaSR_SS_EUlSR_E_NS1_11comp_targetILNS1_3genE2ELNS1_11target_archE906ELNS1_3gpuE6ELNS1_3repE0EEENS1_30default_config_static_selectorELNS0_4arch9wavefront6targetE1EEEvT1_,"axG",@progbits,_ZN7rocprim17ROCPRIM_400000_NS6detail17trampoline_kernelINS0_14default_configENS1_20scan_config_selectorI11FixedVectorIiLj1EEEEZZNS1_9scan_implILNS1_25lookback_scan_determinismE0ELb0ELb0ES3_N6thrust23THRUST_200600_302600_NS6detail15normal_iteratorINSB_10device_ptrIS6_EEEESG_S6_NSB_4plusIvEES6_EEDaPvRmT3_T4_T5_mT6_P12ihipStream_tbENKUlT_T0_E_clISt17integral_constantIbLb0EESV_IbLb1EEEEDaSR_SS_EUlSR_E_NS1_11comp_targetILNS1_3genE2ELNS1_11target_archE906ELNS1_3gpuE6ELNS1_3repE0EEENS1_30default_config_static_selectorELNS0_4arch9wavefront6targetE1EEEvT1_,comdat
	.protected	_ZN7rocprim17ROCPRIM_400000_NS6detail17trampoline_kernelINS0_14default_configENS1_20scan_config_selectorI11FixedVectorIiLj1EEEEZZNS1_9scan_implILNS1_25lookback_scan_determinismE0ELb0ELb0ES3_N6thrust23THRUST_200600_302600_NS6detail15normal_iteratorINSB_10device_ptrIS6_EEEESG_S6_NSB_4plusIvEES6_EEDaPvRmT3_T4_T5_mT6_P12ihipStream_tbENKUlT_T0_E_clISt17integral_constantIbLb0EESV_IbLb1EEEEDaSR_SS_EUlSR_E_NS1_11comp_targetILNS1_3genE2ELNS1_11target_archE906ELNS1_3gpuE6ELNS1_3repE0EEENS1_30default_config_static_selectorELNS0_4arch9wavefront6targetE1EEEvT1_ ; -- Begin function _ZN7rocprim17ROCPRIM_400000_NS6detail17trampoline_kernelINS0_14default_configENS1_20scan_config_selectorI11FixedVectorIiLj1EEEEZZNS1_9scan_implILNS1_25lookback_scan_determinismE0ELb0ELb0ES3_N6thrust23THRUST_200600_302600_NS6detail15normal_iteratorINSB_10device_ptrIS6_EEEESG_S6_NSB_4plusIvEES6_EEDaPvRmT3_T4_T5_mT6_P12ihipStream_tbENKUlT_T0_E_clISt17integral_constantIbLb0EESV_IbLb1EEEEDaSR_SS_EUlSR_E_NS1_11comp_targetILNS1_3genE2ELNS1_11target_archE906ELNS1_3gpuE6ELNS1_3repE0EEENS1_30default_config_static_selectorELNS0_4arch9wavefront6targetE1EEEvT1_
	.globl	_ZN7rocprim17ROCPRIM_400000_NS6detail17trampoline_kernelINS0_14default_configENS1_20scan_config_selectorI11FixedVectorIiLj1EEEEZZNS1_9scan_implILNS1_25lookback_scan_determinismE0ELb0ELb0ES3_N6thrust23THRUST_200600_302600_NS6detail15normal_iteratorINSB_10device_ptrIS6_EEEESG_S6_NSB_4plusIvEES6_EEDaPvRmT3_T4_T5_mT6_P12ihipStream_tbENKUlT_T0_E_clISt17integral_constantIbLb0EESV_IbLb1EEEEDaSR_SS_EUlSR_E_NS1_11comp_targetILNS1_3genE2ELNS1_11target_archE906ELNS1_3gpuE6ELNS1_3repE0EEENS1_30default_config_static_selectorELNS0_4arch9wavefront6targetE1EEEvT1_
	.p2align	8
	.type	_ZN7rocprim17ROCPRIM_400000_NS6detail17trampoline_kernelINS0_14default_configENS1_20scan_config_selectorI11FixedVectorIiLj1EEEEZZNS1_9scan_implILNS1_25lookback_scan_determinismE0ELb0ELb0ES3_N6thrust23THRUST_200600_302600_NS6detail15normal_iteratorINSB_10device_ptrIS6_EEEESG_S6_NSB_4plusIvEES6_EEDaPvRmT3_T4_T5_mT6_P12ihipStream_tbENKUlT_T0_E_clISt17integral_constantIbLb0EESV_IbLb1EEEEDaSR_SS_EUlSR_E_NS1_11comp_targetILNS1_3genE2ELNS1_11target_archE906ELNS1_3gpuE6ELNS1_3repE0EEENS1_30default_config_static_selectorELNS0_4arch9wavefront6targetE1EEEvT1_,@function
_ZN7rocprim17ROCPRIM_400000_NS6detail17trampoline_kernelINS0_14default_configENS1_20scan_config_selectorI11FixedVectorIiLj1EEEEZZNS1_9scan_implILNS1_25lookback_scan_determinismE0ELb0ELb0ES3_N6thrust23THRUST_200600_302600_NS6detail15normal_iteratorINSB_10device_ptrIS6_EEEESG_S6_NSB_4plusIvEES6_EEDaPvRmT3_T4_T5_mT6_P12ihipStream_tbENKUlT_T0_E_clISt17integral_constantIbLb0EESV_IbLb1EEEEDaSR_SS_EUlSR_E_NS1_11comp_targetILNS1_3genE2ELNS1_11target_archE906ELNS1_3gpuE6ELNS1_3repE0EEENS1_30default_config_static_selectorELNS0_4arch9wavefront6targetE1EEEvT1_: ; @_ZN7rocprim17ROCPRIM_400000_NS6detail17trampoline_kernelINS0_14default_configENS1_20scan_config_selectorI11FixedVectorIiLj1EEEEZZNS1_9scan_implILNS1_25lookback_scan_determinismE0ELb0ELb0ES3_N6thrust23THRUST_200600_302600_NS6detail15normal_iteratorINSB_10device_ptrIS6_EEEESG_S6_NSB_4plusIvEES6_EEDaPvRmT3_T4_T5_mT6_P12ihipStream_tbENKUlT_T0_E_clISt17integral_constantIbLb0EESV_IbLb1EEEEDaSR_SS_EUlSR_E_NS1_11comp_targetILNS1_3genE2ELNS1_11target_archE906ELNS1_3gpuE6ELNS1_3repE0EEENS1_30default_config_static_selectorELNS0_4arch9wavefront6targetE1EEEvT1_
; %bb.0:
	.section	.rodata,"a",@progbits
	.p2align	6, 0x0
	.amdhsa_kernel _ZN7rocprim17ROCPRIM_400000_NS6detail17trampoline_kernelINS0_14default_configENS1_20scan_config_selectorI11FixedVectorIiLj1EEEEZZNS1_9scan_implILNS1_25lookback_scan_determinismE0ELb0ELb0ES3_N6thrust23THRUST_200600_302600_NS6detail15normal_iteratorINSB_10device_ptrIS6_EEEESG_S6_NSB_4plusIvEES6_EEDaPvRmT3_T4_T5_mT6_P12ihipStream_tbENKUlT_T0_E_clISt17integral_constantIbLb0EESV_IbLb1EEEEDaSR_SS_EUlSR_E_NS1_11comp_targetILNS1_3genE2ELNS1_11target_archE906ELNS1_3gpuE6ELNS1_3repE0EEENS1_30default_config_static_selectorELNS0_4arch9wavefront6targetE1EEEvT1_
		.amdhsa_group_segment_fixed_size 0
		.amdhsa_private_segment_fixed_size 0
		.amdhsa_kernarg_size 96
		.amdhsa_user_sgpr_count 6
		.amdhsa_user_sgpr_private_segment_buffer 1
		.amdhsa_user_sgpr_dispatch_ptr 0
		.amdhsa_user_sgpr_queue_ptr 0
		.amdhsa_user_sgpr_kernarg_segment_ptr 1
		.amdhsa_user_sgpr_dispatch_id 0
		.amdhsa_user_sgpr_flat_scratch_init 0
		.amdhsa_user_sgpr_kernarg_preload_length 0
		.amdhsa_user_sgpr_kernarg_preload_offset 0
		.amdhsa_user_sgpr_private_segment_size 0
		.amdhsa_uses_dynamic_stack 0
		.amdhsa_system_sgpr_private_segment_wavefront_offset 0
		.amdhsa_system_sgpr_workgroup_id_x 1
		.amdhsa_system_sgpr_workgroup_id_y 0
		.amdhsa_system_sgpr_workgroup_id_z 0
		.amdhsa_system_sgpr_workgroup_info 0
		.amdhsa_system_vgpr_workitem_id 0
		.amdhsa_next_free_vgpr 1
		.amdhsa_next_free_sgpr 0
		.amdhsa_accum_offset 4
		.amdhsa_reserve_vcc 0
		.amdhsa_reserve_flat_scratch 0
		.amdhsa_float_round_mode_32 0
		.amdhsa_float_round_mode_16_64 0
		.amdhsa_float_denorm_mode_32 3
		.amdhsa_float_denorm_mode_16_64 3
		.amdhsa_dx10_clamp 1
		.amdhsa_ieee_mode 1
		.amdhsa_fp16_overflow 0
		.amdhsa_tg_split 0
		.amdhsa_exception_fp_ieee_invalid_op 0
		.amdhsa_exception_fp_denorm_src 0
		.amdhsa_exception_fp_ieee_div_zero 0
		.amdhsa_exception_fp_ieee_overflow 0
		.amdhsa_exception_fp_ieee_underflow 0
		.amdhsa_exception_fp_ieee_inexact 0
		.amdhsa_exception_int_div_zero 0
	.end_amdhsa_kernel
	.section	.text._ZN7rocprim17ROCPRIM_400000_NS6detail17trampoline_kernelINS0_14default_configENS1_20scan_config_selectorI11FixedVectorIiLj1EEEEZZNS1_9scan_implILNS1_25lookback_scan_determinismE0ELb0ELb0ES3_N6thrust23THRUST_200600_302600_NS6detail15normal_iteratorINSB_10device_ptrIS6_EEEESG_S6_NSB_4plusIvEES6_EEDaPvRmT3_T4_T5_mT6_P12ihipStream_tbENKUlT_T0_E_clISt17integral_constantIbLb0EESV_IbLb1EEEEDaSR_SS_EUlSR_E_NS1_11comp_targetILNS1_3genE2ELNS1_11target_archE906ELNS1_3gpuE6ELNS1_3repE0EEENS1_30default_config_static_selectorELNS0_4arch9wavefront6targetE1EEEvT1_,"axG",@progbits,_ZN7rocprim17ROCPRIM_400000_NS6detail17trampoline_kernelINS0_14default_configENS1_20scan_config_selectorI11FixedVectorIiLj1EEEEZZNS1_9scan_implILNS1_25lookback_scan_determinismE0ELb0ELb0ES3_N6thrust23THRUST_200600_302600_NS6detail15normal_iteratorINSB_10device_ptrIS6_EEEESG_S6_NSB_4plusIvEES6_EEDaPvRmT3_T4_T5_mT6_P12ihipStream_tbENKUlT_T0_E_clISt17integral_constantIbLb0EESV_IbLb1EEEEDaSR_SS_EUlSR_E_NS1_11comp_targetILNS1_3genE2ELNS1_11target_archE906ELNS1_3gpuE6ELNS1_3repE0EEENS1_30default_config_static_selectorELNS0_4arch9wavefront6targetE1EEEvT1_,comdat
.Lfunc_end6448:
	.size	_ZN7rocprim17ROCPRIM_400000_NS6detail17trampoline_kernelINS0_14default_configENS1_20scan_config_selectorI11FixedVectorIiLj1EEEEZZNS1_9scan_implILNS1_25lookback_scan_determinismE0ELb0ELb0ES3_N6thrust23THRUST_200600_302600_NS6detail15normal_iteratorINSB_10device_ptrIS6_EEEESG_S6_NSB_4plusIvEES6_EEDaPvRmT3_T4_T5_mT6_P12ihipStream_tbENKUlT_T0_E_clISt17integral_constantIbLb0EESV_IbLb1EEEEDaSR_SS_EUlSR_E_NS1_11comp_targetILNS1_3genE2ELNS1_11target_archE906ELNS1_3gpuE6ELNS1_3repE0EEENS1_30default_config_static_selectorELNS0_4arch9wavefront6targetE1EEEvT1_, .Lfunc_end6448-_ZN7rocprim17ROCPRIM_400000_NS6detail17trampoline_kernelINS0_14default_configENS1_20scan_config_selectorI11FixedVectorIiLj1EEEEZZNS1_9scan_implILNS1_25lookback_scan_determinismE0ELb0ELb0ES3_N6thrust23THRUST_200600_302600_NS6detail15normal_iteratorINSB_10device_ptrIS6_EEEESG_S6_NSB_4plusIvEES6_EEDaPvRmT3_T4_T5_mT6_P12ihipStream_tbENKUlT_T0_E_clISt17integral_constantIbLb0EESV_IbLb1EEEEDaSR_SS_EUlSR_E_NS1_11comp_targetILNS1_3genE2ELNS1_11target_archE906ELNS1_3gpuE6ELNS1_3repE0EEENS1_30default_config_static_selectorELNS0_4arch9wavefront6targetE1EEEvT1_
                                        ; -- End function
	.section	.AMDGPU.csdata,"",@progbits
; Kernel info:
; codeLenInByte = 0
; NumSgprs: 4
; NumVgprs: 0
; NumAgprs: 0
; TotalNumVgprs: 0
; ScratchSize: 0
; MemoryBound: 0
; FloatMode: 240
; IeeeMode: 1
; LDSByteSize: 0 bytes/workgroup (compile time only)
; SGPRBlocks: 0
; VGPRBlocks: 0
; NumSGPRsForWavesPerEU: 4
; NumVGPRsForWavesPerEU: 1
; AccumOffset: 4
; Occupancy: 8
; WaveLimiterHint : 0
; COMPUTE_PGM_RSRC2:SCRATCH_EN: 0
; COMPUTE_PGM_RSRC2:USER_SGPR: 6
; COMPUTE_PGM_RSRC2:TRAP_HANDLER: 0
; COMPUTE_PGM_RSRC2:TGID_X_EN: 1
; COMPUTE_PGM_RSRC2:TGID_Y_EN: 0
; COMPUTE_PGM_RSRC2:TGID_Z_EN: 0
; COMPUTE_PGM_RSRC2:TIDIG_COMP_CNT: 0
; COMPUTE_PGM_RSRC3_GFX90A:ACCUM_OFFSET: 0
; COMPUTE_PGM_RSRC3_GFX90A:TG_SPLIT: 0
	.section	.text._ZN7rocprim17ROCPRIM_400000_NS6detail17trampoline_kernelINS0_14default_configENS1_20scan_config_selectorI11FixedVectorIiLj1EEEEZZNS1_9scan_implILNS1_25lookback_scan_determinismE0ELb0ELb0ES3_N6thrust23THRUST_200600_302600_NS6detail15normal_iteratorINSB_10device_ptrIS6_EEEESG_S6_NSB_4plusIvEES6_EEDaPvRmT3_T4_T5_mT6_P12ihipStream_tbENKUlT_T0_E_clISt17integral_constantIbLb0EESV_IbLb1EEEEDaSR_SS_EUlSR_E_NS1_11comp_targetILNS1_3genE10ELNS1_11target_archE1201ELNS1_3gpuE5ELNS1_3repE0EEENS1_30default_config_static_selectorELNS0_4arch9wavefront6targetE1EEEvT1_,"axG",@progbits,_ZN7rocprim17ROCPRIM_400000_NS6detail17trampoline_kernelINS0_14default_configENS1_20scan_config_selectorI11FixedVectorIiLj1EEEEZZNS1_9scan_implILNS1_25lookback_scan_determinismE0ELb0ELb0ES3_N6thrust23THRUST_200600_302600_NS6detail15normal_iteratorINSB_10device_ptrIS6_EEEESG_S6_NSB_4plusIvEES6_EEDaPvRmT3_T4_T5_mT6_P12ihipStream_tbENKUlT_T0_E_clISt17integral_constantIbLb0EESV_IbLb1EEEEDaSR_SS_EUlSR_E_NS1_11comp_targetILNS1_3genE10ELNS1_11target_archE1201ELNS1_3gpuE5ELNS1_3repE0EEENS1_30default_config_static_selectorELNS0_4arch9wavefront6targetE1EEEvT1_,comdat
	.protected	_ZN7rocprim17ROCPRIM_400000_NS6detail17trampoline_kernelINS0_14default_configENS1_20scan_config_selectorI11FixedVectorIiLj1EEEEZZNS1_9scan_implILNS1_25lookback_scan_determinismE0ELb0ELb0ES3_N6thrust23THRUST_200600_302600_NS6detail15normal_iteratorINSB_10device_ptrIS6_EEEESG_S6_NSB_4plusIvEES6_EEDaPvRmT3_T4_T5_mT6_P12ihipStream_tbENKUlT_T0_E_clISt17integral_constantIbLb0EESV_IbLb1EEEEDaSR_SS_EUlSR_E_NS1_11comp_targetILNS1_3genE10ELNS1_11target_archE1201ELNS1_3gpuE5ELNS1_3repE0EEENS1_30default_config_static_selectorELNS0_4arch9wavefront6targetE1EEEvT1_ ; -- Begin function _ZN7rocprim17ROCPRIM_400000_NS6detail17trampoline_kernelINS0_14default_configENS1_20scan_config_selectorI11FixedVectorIiLj1EEEEZZNS1_9scan_implILNS1_25lookback_scan_determinismE0ELb0ELb0ES3_N6thrust23THRUST_200600_302600_NS6detail15normal_iteratorINSB_10device_ptrIS6_EEEESG_S6_NSB_4plusIvEES6_EEDaPvRmT3_T4_T5_mT6_P12ihipStream_tbENKUlT_T0_E_clISt17integral_constantIbLb0EESV_IbLb1EEEEDaSR_SS_EUlSR_E_NS1_11comp_targetILNS1_3genE10ELNS1_11target_archE1201ELNS1_3gpuE5ELNS1_3repE0EEENS1_30default_config_static_selectorELNS0_4arch9wavefront6targetE1EEEvT1_
	.globl	_ZN7rocprim17ROCPRIM_400000_NS6detail17trampoline_kernelINS0_14default_configENS1_20scan_config_selectorI11FixedVectorIiLj1EEEEZZNS1_9scan_implILNS1_25lookback_scan_determinismE0ELb0ELb0ES3_N6thrust23THRUST_200600_302600_NS6detail15normal_iteratorINSB_10device_ptrIS6_EEEESG_S6_NSB_4plusIvEES6_EEDaPvRmT3_T4_T5_mT6_P12ihipStream_tbENKUlT_T0_E_clISt17integral_constantIbLb0EESV_IbLb1EEEEDaSR_SS_EUlSR_E_NS1_11comp_targetILNS1_3genE10ELNS1_11target_archE1201ELNS1_3gpuE5ELNS1_3repE0EEENS1_30default_config_static_selectorELNS0_4arch9wavefront6targetE1EEEvT1_
	.p2align	8
	.type	_ZN7rocprim17ROCPRIM_400000_NS6detail17trampoline_kernelINS0_14default_configENS1_20scan_config_selectorI11FixedVectorIiLj1EEEEZZNS1_9scan_implILNS1_25lookback_scan_determinismE0ELb0ELb0ES3_N6thrust23THRUST_200600_302600_NS6detail15normal_iteratorINSB_10device_ptrIS6_EEEESG_S6_NSB_4plusIvEES6_EEDaPvRmT3_T4_T5_mT6_P12ihipStream_tbENKUlT_T0_E_clISt17integral_constantIbLb0EESV_IbLb1EEEEDaSR_SS_EUlSR_E_NS1_11comp_targetILNS1_3genE10ELNS1_11target_archE1201ELNS1_3gpuE5ELNS1_3repE0EEENS1_30default_config_static_selectorELNS0_4arch9wavefront6targetE1EEEvT1_,@function
_ZN7rocprim17ROCPRIM_400000_NS6detail17trampoline_kernelINS0_14default_configENS1_20scan_config_selectorI11FixedVectorIiLj1EEEEZZNS1_9scan_implILNS1_25lookback_scan_determinismE0ELb0ELb0ES3_N6thrust23THRUST_200600_302600_NS6detail15normal_iteratorINSB_10device_ptrIS6_EEEESG_S6_NSB_4plusIvEES6_EEDaPvRmT3_T4_T5_mT6_P12ihipStream_tbENKUlT_T0_E_clISt17integral_constantIbLb0EESV_IbLb1EEEEDaSR_SS_EUlSR_E_NS1_11comp_targetILNS1_3genE10ELNS1_11target_archE1201ELNS1_3gpuE5ELNS1_3repE0EEENS1_30default_config_static_selectorELNS0_4arch9wavefront6targetE1EEEvT1_: ; @_ZN7rocprim17ROCPRIM_400000_NS6detail17trampoline_kernelINS0_14default_configENS1_20scan_config_selectorI11FixedVectorIiLj1EEEEZZNS1_9scan_implILNS1_25lookback_scan_determinismE0ELb0ELb0ES3_N6thrust23THRUST_200600_302600_NS6detail15normal_iteratorINSB_10device_ptrIS6_EEEESG_S6_NSB_4plusIvEES6_EEDaPvRmT3_T4_T5_mT6_P12ihipStream_tbENKUlT_T0_E_clISt17integral_constantIbLb0EESV_IbLb1EEEEDaSR_SS_EUlSR_E_NS1_11comp_targetILNS1_3genE10ELNS1_11target_archE1201ELNS1_3gpuE5ELNS1_3repE0EEENS1_30default_config_static_selectorELNS0_4arch9wavefront6targetE1EEEvT1_
; %bb.0:
	.section	.rodata,"a",@progbits
	.p2align	6, 0x0
	.amdhsa_kernel _ZN7rocprim17ROCPRIM_400000_NS6detail17trampoline_kernelINS0_14default_configENS1_20scan_config_selectorI11FixedVectorIiLj1EEEEZZNS1_9scan_implILNS1_25lookback_scan_determinismE0ELb0ELb0ES3_N6thrust23THRUST_200600_302600_NS6detail15normal_iteratorINSB_10device_ptrIS6_EEEESG_S6_NSB_4plusIvEES6_EEDaPvRmT3_T4_T5_mT6_P12ihipStream_tbENKUlT_T0_E_clISt17integral_constantIbLb0EESV_IbLb1EEEEDaSR_SS_EUlSR_E_NS1_11comp_targetILNS1_3genE10ELNS1_11target_archE1201ELNS1_3gpuE5ELNS1_3repE0EEENS1_30default_config_static_selectorELNS0_4arch9wavefront6targetE1EEEvT1_
		.amdhsa_group_segment_fixed_size 0
		.amdhsa_private_segment_fixed_size 0
		.amdhsa_kernarg_size 96
		.amdhsa_user_sgpr_count 6
		.amdhsa_user_sgpr_private_segment_buffer 1
		.amdhsa_user_sgpr_dispatch_ptr 0
		.amdhsa_user_sgpr_queue_ptr 0
		.amdhsa_user_sgpr_kernarg_segment_ptr 1
		.amdhsa_user_sgpr_dispatch_id 0
		.amdhsa_user_sgpr_flat_scratch_init 0
		.amdhsa_user_sgpr_kernarg_preload_length 0
		.amdhsa_user_sgpr_kernarg_preload_offset 0
		.amdhsa_user_sgpr_private_segment_size 0
		.amdhsa_uses_dynamic_stack 0
		.amdhsa_system_sgpr_private_segment_wavefront_offset 0
		.amdhsa_system_sgpr_workgroup_id_x 1
		.amdhsa_system_sgpr_workgroup_id_y 0
		.amdhsa_system_sgpr_workgroup_id_z 0
		.amdhsa_system_sgpr_workgroup_info 0
		.amdhsa_system_vgpr_workitem_id 0
		.amdhsa_next_free_vgpr 1
		.amdhsa_next_free_sgpr 0
		.amdhsa_accum_offset 4
		.amdhsa_reserve_vcc 0
		.amdhsa_reserve_flat_scratch 0
		.amdhsa_float_round_mode_32 0
		.amdhsa_float_round_mode_16_64 0
		.amdhsa_float_denorm_mode_32 3
		.amdhsa_float_denorm_mode_16_64 3
		.amdhsa_dx10_clamp 1
		.amdhsa_ieee_mode 1
		.amdhsa_fp16_overflow 0
		.amdhsa_tg_split 0
		.amdhsa_exception_fp_ieee_invalid_op 0
		.amdhsa_exception_fp_denorm_src 0
		.amdhsa_exception_fp_ieee_div_zero 0
		.amdhsa_exception_fp_ieee_overflow 0
		.amdhsa_exception_fp_ieee_underflow 0
		.amdhsa_exception_fp_ieee_inexact 0
		.amdhsa_exception_int_div_zero 0
	.end_amdhsa_kernel
	.section	.text._ZN7rocprim17ROCPRIM_400000_NS6detail17trampoline_kernelINS0_14default_configENS1_20scan_config_selectorI11FixedVectorIiLj1EEEEZZNS1_9scan_implILNS1_25lookback_scan_determinismE0ELb0ELb0ES3_N6thrust23THRUST_200600_302600_NS6detail15normal_iteratorINSB_10device_ptrIS6_EEEESG_S6_NSB_4plusIvEES6_EEDaPvRmT3_T4_T5_mT6_P12ihipStream_tbENKUlT_T0_E_clISt17integral_constantIbLb0EESV_IbLb1EEEEDaSR_SS_EUlSR_E_NS1_11comp_targetILNS1_3genE10ELNS1_11target_archE1201ELNS1_3gpuE5ELNS1_3repE0EEENS1_30default_config_static_selectorELNS0_4arch9wavefront6targetE1EEEvT1_,"axG",@progbits,_ZN7rocprim17ROCPRIM_400000_NS6detail17trampoline_kernelINS0_14default_configENS1_20scan_config_selectorI11FixedVectorIiLj1EEEEZZNS1_9scan_implILNS1_25lookback_scan_determinismE0ELb0ELb0ES3_N6thrust23THRUST_200600_302600_NS6detail15normal_iteratorINSB_10device_ptrIS6_EEEESG_S6_NSB_4plusIvEES6_EEDaPvRmT3_T4_T5_mT6_P12ihipStream_tbENKUlT_T0_E_clISt17integral_constantIbLb0EESV_IbLb1EEEEDaSR_SS_EUlSR_E_NS1_11comp_targetILNS1_3genE10ELNS1_11target_archE1201ELNS1_3gpuE5ELNS1_3repE0EEENS1_30default_config_static_selectorELNS0_4arch9wavefront6targetE1EEEvT1_,comdat
.Lfunc_end6449:
	.size	_ZN7rocprim17ROCPRIM_400000_NS6detail17trampoline_kernelINS0_14default_configENS1_20scan_config_selectorI11FixedVectorIiLj1EEEEZZNS1_9scan_implILNS1_25lookback_scan_determinismE0ELb0ELb0ES3_N6thrust23THRUST_200600_302600_NS6detail15normal_iteratorINSB_10device_ptrIS6_EEEESG_S6_NSB_4plusIvEES6_EEDaPvRmT3_T4_T5_mT6_P12ihipStream_tbENKUlT_T0_E_clISt17integral_constantIbLb0EESV_IbLb1EEEEDaSR_SS_EUlSR_E_NS1_11comp_targetILNS1_3genE10ELNS1_11target_archE1201ELNS1_3gpuE5ELNS1_3repE0EEENS1_30default_config_static_selectorELNS0_4arch9wavefront6targetE1EEEvT1_, .Lfunc_end6449-_ZN7rocprim17ROCPRIM_400000_NS6detail17trampoline_kernelINS0_14default_configENS1_20scan_config_selectorI11FixedVectorIiLj1EEEEZZNS1_9scan_implILNS1_25lookback_scan_determinismE0ELb0ELb0ES3_N6thrust23THRUST_200600_302600_NS6detail15normal_iteratorINSB_10device_ptrIS6_EEEESG_S6_NSB_4plusIvEES6_EEDaPvRmT3_T4_T5_mT6_P12ihipStream_tbENKUlT_T0_E_clISt17integral_constantIbLb0EESV_IbLb1EEEEDaSR_SS_EUlSR_E_NS1_11comp_targetILNS1_3genE10ELNS1_11target_archE1201ELNS1_3gpuE5ELNS1_3repE0EEENS1_30default_config_static_selectorELNS0_4arch9wavefront6targetE1EEEvT1_
                                        ; -- End function
	.section	.AMDGPU.csdata,"",@progbits
; Kernel info:
; codeLenInByte = 0
; NumSgprs: 4
; NumVgprs: 0
; NumAgprs: 0
; TotalNumVgprs: 0
; ScratchSize: 0
; MemoryBound: 0
; FloatMode: 240
; IeeeMode: 1
; LDSByteSize: 0 bytes/workgroup (compile time only)
; SGPRBlocks: 0
; VGPRBlocks: 0
; NumSGPRsForWavesPerEU: 4
; NumVGPRsForWavesPerEU: 1
; AccumOffset: 4
; Occupancy: 8
; WaveLimiterHint : 0
; COMPUTE_PGM_RSRC2:SCRATCH_EN: 0
; COMPUTE_PGM_RSRC2:USER_SGPR: 6
; COMPUTE_PGM_RSRC2:TRAP_HANDLER: 0
; COMPUTE_PGM_RSRC2:TGID_X_EN: 1
; COMPUTE_PGM_RSRC2:TGID_Y_EN: 0
; COMPUTE_PGM_RSRC2:TGID_Z_EN: 0
; COMPUTE_PGM_RSRC2:TIDIG_COMP_CNT: 0
; COMPUTE_PGM_RSRC3_GFX90A:ACCUM_OFFSET: 0
; COMPUTE_PGM_RSRC3_GFX90A:TG_SPLIT: 0
	.section	.text._ZN7rocprim17ROCPRIM_400000_NS6detail17trampoline_kernelINS0_14default_configENS1_20scan_config_selectorI11FixedVectorIiLj1EEEEZZNS1_9scan_implILNS1_25lookback_scan_determinismE0ELb0ELb0ES3_N6thrust23THRUST_200600_302600_NS6detail15normal_iteratorINSB_10device_ptrIS6_EEEESG_S6_NSB_4plusIvEES6_EEDaPvRmT3_T4_T5_mT6_P12ihipStream_tbENKUlT_T0_E_clISt17integral_constantIbLb0EESV_IbLb1EEEEDaSR_SS_EUlSR_E_NS1_11comp_targetILNS1_3genE10ELNS1_11target_archE1200ELNS1_3gpuE4ELNS1_3repE0EEENS1_30default_config_static_selectorELNS0_4arch9wavefront6targetE1EEEvT1_,"axG",@progbits,_ZN7rocprim17ROCPRIM_400000_NS6detail17trampoline_kernelINS0_14default_configENS1_20scan_config_selectorI11FixedVectorIiLj1EEEEZZNS1_9scan_implILNS1_25lookback_scan_determinismE0ELb0ELb0ES3_N6thrust23THRUST_200600_302600_NS6detail15normal_iteratorINSB_10device_ptrIS6_EEEESG_S6_NSB_4plusIvEES6_EEDaPvRmT3_T4_T5_mT6_P12ihipStream_tbENKUlT_T0_E_clISt17integral_constantIbLb0EESV_IbLb1EEEEDaSR_SS_EUlSR_E_NS1_11comp_targetILNS1_3genE10ELNS1_11target_archE1200ELNS1_3gpuE4ELNS1_3repE0EEENS1_30default_config_static_selectorELNS0_4arch9wavefront6targetE1EEEvT1_,comdat
	.protected	_ZN7rocprim17ROCPRIM_400000_NS6detail17trampoline_kernelINS0_14default_configENS1_20scan_config_selectorI11FixedVectorIiLj1EEEEZZNS1_9scan_implILNS1_25lookback_scan_determinismE0ELb0ELb0ES3_N6thrust23THRUST_200600_302600_NS6detail15normal_iteratorINSB_10device_ptrIS6_EEEESG_S6_NSB_4plusIvEES6_EEDaPvRmT3_T4_T5_mT6_P12ihipStream_tbENKUlT_T0_E_clISt17integral_constantIbLb0EESV_IbLb1EEEEDaSR_SS_EUlSR_E_NS1_11comp_targetILNS1_3genE10ELNS1_11target_archE1200ELNS1_3gpuE4ELNS1_3repE0EEENS1_30default_config_static_selectorELNS0_4arch9wavefront6targetE1EEEvT1_ ; -- Begin function _ZN7rocprim17ROCPRIM_400000_NS6detail17trampoline_kernelINS0_14default_configENS1_20scan_config_selectorI11FixedVectorIiLj1EEEEZZNS1_9scan_implILNS1_25lookback_scan_determinismE0ELb0ELb0ES3_N6thrust23THRUST_200600_302600_NS6detail15normal_iteratorINSB_10device_ptrIS6_EEEESG_S6_NSB_4plusIvEES6_EEDaPvRmT3_T4_T5_mT6_P12ihipStream_tbENKUlT_T0_E_clISt17integral_constantIbLb0EESV_IbLb1EEEEDaSR_SS_EUlSR_E_NS1_11comp_targetILNS1_3genE10ELNS1_11target_archE1200ELNS1_3gpuE4ELNS1_3repE0EEENS1_30default_config_static_selectorELNS0_4arch9wavefront6targetE1EEEvT1_
	.globl	_ZN7rocprim17ROCPRIM_400000_NS6detail17trampoline_kernelINS0_14default_configENS1_20scan_config_selectorI11FixedVectorIiLj1EEEEZZNS1_9scan_implILNS1_25lookback_scan_determinismE0ELb0ELb0ES3_N6thrust23THRUST_200600_302600_NS6detail15normal_iteratorINSB_10device_ptrIS6_EEEESG_S6_NSB_4plusIvEES6_EEDaPvRmT3_T4_T5_mT6_P12ihipStream_tbENKUlT_T0_E_clISt17integral_constantIbLb0EESV_IbLb1EEEEDaSR_SS_EUlSR_E_NS1_11comp_targetILNS1_3genE10ELNS1_11target_archE1200ELNS1_3gpuE4ELNS1_3repE0EEENS1_30default_config_static_selectorELNS0_4arch9wavefront6targetE1EEEvT1_
	.p2align	8
	.type	_ZN7rocprim17ROCPRIM_400000_NS6detail17trampoline_kernelINS0_14default_configENS1_20scan_config_selectorI11FixedVectorIiLj1EEEEZZNS1_9scan_implILNS1_25lookback_scan_determinismE0ELb0ELb0ES3_N6thrust23THRUST_200600_302600_NS6detail15normal_iteratorINSB_10device_ptrIS6_EEEESG_S6_NSB_4plusIvEES6_EEDaPvRmT3_T4_T5_mT6_P12ihipStream_tbENKUlT_T0_E_clISt17integral_constantIbLb0EESV_IbLb1EEEEDaSR_SS_EUlSR_E_NS1_11comp_targetILNS1_3genE10ELNS1_11target_archE1200ELNS1_3gpuE4ELNS1_3repE0EEENS1_30default_config_static_selectorELNS0_4arch9wavefront6targetE1EEEvT1_,@function
_ZN7rocprim17ROCPRIM_400000_NS6detail17trampoline_kernelINS0_14default_configENS1_20scan_config_selectorI11FixedVectorIiLj1EEEEZZNS1_9scan_implILNS1_25lookback_scan_determinismE0ELb0ELb0ES3_N6thrust23THRUST_200600_302600_NS6detail15normal_iteratorINSB_10device_ptrIS6_EEEESG_S6_NSB_4plusIvEES6_EEDaPvRmT3_T4_T5_mT6_P12ihipStream_tbENKUlT_T0_E_clISt17integral_constantIbLb0EESV_IbLb1EEEEDaSR_SS_EUlSR_E_NS1_11comp_targetILNS1_3genE10ELNS1_11target_archE1200ELNS1_3gpuE4ELNS1_3repE0EEENS1_30default_config_static_selectorELNS0_4arch9wavefront6targetE1EEEvT1_: ; @_ZN7rocprim17ROCPRIM_400000_NS6detail17trampoline_kernelINS0_14default_configENS1_20scan_config_selectorI11FixedVectorIiLj1EEEEZZNS1_9scan_implILNS1_25lookback_scan_determinismE0ELb0ELb0ES3_N6thrust23THRUST_200600_302600_NS6detail15normal_iteratorINSB_10device_ptrIS6_EEEESG_S6_NSB_4plusIvEES6_EEDaPvRmT3_T4_T5_mT6_P12ihipStream_tbENKUlT_T0_E_clISt17integral_constantIbLb0EESV_IbLb1EEEEDaSR_SS_EUlSR_E_NS1_11comp_targetILNS1_3genE10ELNS1_11target_archE1200ELNS1_3gpuE4ELNS1_3repE0EEENS1_30default_config_static_selectorELNS0_4arch9wavefront6targetE1EEEvT1_
; %bb.0:
	.section	.rodata,"a",@progbits
	.p2align	6, 0x0
	.amdhsa_kernel _ZN7rocprim17ROCPRIM_400000_NS6detail17trampoline_kernelINS0_14default_configENS1_20scan_config_selectorI11FixedVectorIiLj1EEEEZZNS1_9scan_implILNS1_25lookback_scan_determinismE0ELb0ELb0ES3_N6thrust23THRUST_200600_302600_NS6detail15normal_iteratorINSB_10device_ptrIS6_EEEESG_S6_NSB_4plusIvEES6_EEDaPvRmT3_T4_T5_mT6_P12ihipStream_tbENKUlT_T0_E_clISt17integral_constantIbLb0EESV_IbLb1EEEEDaSR_SS_EUlSR_E_NS1_11comp_targetILNS1_3genE10ELNS1_11target_archE1200ELNS1_3gpuE4ELNS1_3repE0EEENS1_30default_config_static_selectorELNS0_4arch9wavefront6targetE1EEEvT1_
		.amdhsa_group_segment_fixed_size 0
		.amdhsa_private_segment_fixed_size 0
		.amdhsa_kernarg_size 96
		.amdhsa_user_sgpr_count 6
		.amdhsa_user_sgpr_private_segment_buffer 1
		.amdhsa_user_sgpr_dispatch_ptr 0
		.amdhsa_user_sgpr_queue_ptr 0
		.amdhsa_user_sgpr_kernarg_segment_ptr 1
		.amdhsa_user_sgpr_dispatch_id 0
		.amdhsa_user_sgpr_flat_scratch_init 0
		.amdhsa_user_sgpr_kernarg_preload_length 0
		.amdhsa_user_sgpr_kernarg_preload_offset 0
		.amdhsa_user_sgpr_private_segment_size 0
		.amdhsa_uses_dynamic_stack 0
		.amdhsa_system_sgpr_private_segment_wavefront_offset 0
		.amdhsa_system_sgpr_workgroup_id_x 1
		.amdhsa_system_sgpr_workgroup_id_y 0
		.amdhsa_system_sgpr_workgroup_id_z 0
		.amdhsa_system_sgpr_workgroup_info 0
		.amdhsa_system_vgpr_workitem_id 0
		.amdhsa_next_free_vgpr 1
		.amdhsa_next_free_sgpr 0
		.amdhsa_accum_offset 4
		.amdhsa_reserve_vcc 0
		.amdhsa_reserve_flat_scratch 0
		.amdhsa_float_round_mode_32 0
		.amdhsa_float_round_mode_16_64 0
		.amdhsa_float_denorm_mode_32 3
		.amdhsa_float_denorm_mode_16_64 3
		.amdhsa_dx10_clamp 1
		.amdhsa_ieee_mode 1
		.amdhsa_fp16_overflow 0
		.amdhsa_tg_split 0
		.amdhsa_exception_fp_ieee_invalid_op 0
		.amdhsa_exception_fp_denorm_src 0
		.amdhsa_exception_fp_ieee_div_zero 0
		.amdhsa_exception_fp_ieee_overflow 0
		.amdhsa_exception_fp_ieee_underflow 0
		.amdhsa_exception_fp_ieee_inexact 0
		.amdhsa_exception_int_div_zero 0
	.end_amdhsa_kernel
	.section	.text._ZN7rocprim17ROCPRIM_400000_NS6detail17trampoline_kernelINS0_14default_configENS1_20scan_config_selectorI11FixedVectorIiLj1EEEEZZNS1_9scan_implILNS1_25lookback_scan_determinismE0ELb0ELb0ES3_N6thrust23THRUST_200600_302600_NS6detail15normal_iteratorINSB_10device_ptrIS6_EEEESG_S6_NSB_4plusIvEES6_EEDaPvRmT3_T4_T5_mT6_P12ihipStream_tbENKUlT_T0_E_clISt17integral_constantIbLb0EESV_IbLb1EEEEDaSR_SS_EUlSR_E_NS1_11comp_targetILNS1_3genE10ELNS1_11target_archE1200ELNS1_3gpuE4ELNS1_3repE0EEENS1_30default_config_static_selectorELNS0_4arch9wavefront6targetE1EEEvT1_,"axG",@progbits,_ZN7rocprim17ROCPRIM_400000_NS6detail17trampoline_kernelINS0_14default_configENS1_20scan_config_selectorI11FixedVectorIiLj1EEEEZZNS1_9scan_implILNS1_25lookback_scan_determinismE0ELb0ELb0ES3_N6thrust23THRUST_200600_302600_NS6detail15normal_iteratorINSB_10device_ptrIS6_EEEESG_S6_NSB_4plusIvEES6_EEDaPvRmT3_T4_T5_mT6_P12ihipStream_tbENKUlT_T0_E_clISt17integral_constantIbLb0EESV_IbLb1EEEEDaSR_SS_EUlSR_E_NS1_11comp_targetILNS1_3genE10ELNS1_11target_archE1200ELNS1_3gpuE4ELNS1_3repE0EEENS1_30default_config_static_selectorELNS0_4arch9wavefront6targetE1EEEvT1_,comdat
.Lfunc_end6450:
	.size	_ZN7rocprim17ROCPRIM_400000_NS6detail17trampoline_kernelINS0_14default_configENS1_20scan_config_selectorI11FixedVectorIiLj1EEEEZZNS1_9scan_implILNS1_25lookback_scan_determinismE0ELb0ELb0ES3_N6thrust23THRUST_200600_302600_NS6detail15normal_iteratorINSB_10device_ptrIS6_EEEESG_S6_NSB_4plusIvEES6_EEDaPvRmT3_T4_T5_mT6_P12ihipStream_tbENKUlT_T0_E_clISt17integral_constantIbLb0EESV_IbLb1EEEEDaSR_SS_EUlSR_E_NS1_11comp_targetILNS1_3genE10ELNS1_11target_archE1200ELNS1_3gpuE4ELNS1_3repE0EEENS1_30default_config_static_selectorELNS0_4arch9wavefront6targetE1EEEvT1_, .Lfunc_end6450-_ZN7rocprim17ROCPRIM_400000_NS6detail17trampoline_kernelINS0_14default_configENS1_20scan_config_selectorI11FixedVectorIiLj1EEEEZZNS1_9scan_implILNS1_25lookback_scan_determinismE0ELb0ELb0ES3_N6thrust23THRUST_200600_302600_NS6detail15normal_iteratorINSB_10device_ptrIS6_EEEESG_S6_NSB_4plusIvEES6_EEDaPvRmT3_T4_T5_mT6_P12ihipStream_tbENKUlT_T0_E_clISt17integral_constantIbLb0EESV_IbLb1EEEEDaSR_SS_EUlSR_E_NS1_11comp_targetILNS1_3genE10ELNS1_11target_archE1200ELNS1_3gpuE4ELNS1_3repE0EEENS1_30default_config_static_selectorELNS0_4arch9wavefront6targetE1EEEvT1_
                                        ; -- End function
	.section	.AMDGPU.csdata,"",@progbits
; Kernel info:
; codeLenInByte = 0
; NumSgprs: 4
; NumVgprs: 0
; NumAgprs: 0
; TotalNumVgprs: 0
; ScratchSize: 0
; MemoryBound: 0
; FloatMode: 240
; IeeeMode: 1
; LDSByteSize: 0 bytes/workgroup (compile time only)
; SGPRBlocks: 0
; VGPRBlocks: 0
; NumSGPRsForWavesPerEU: 4
; NumVGPRsForWavesPerEU: 1
; AccumOffset: 4
; Occupancy: 8
; WaveLimiterHint : 0
; COMPUTE_PGM_RSRC2:SCRATCH_EN: 0
; COMPUTE_PGM_RSRC2:USER_SGPR: 6
; COMPUTE_PGM_RSRC2:TRAP_HANDLER: 0
; COMPUTE_PGM_RSRC2:TGID_X_EN: 1
; COMPUTE_PGM_RSRC2:TGID_Y_EN: 0
; COMPUTE_PGM_RSRC2:TGID_Z_EN: 0
; COMPUTE_PGM_RSRC2:TIDIG_COMP_CNT: 0
; COMPUTE_PGM_RSRC3_GFX90A:ACCUM_OFFSET: 0
; COMPUTE_PGM_RSRC3_GFX90A:TG_SPLIT: 0
	.section	.text._ZN7rocprim17ROCPRIM_400000_NS6detail17trampoline_kernelINS0_14default_configENS1_20scan_config_selectorI11FixedVectorIiLj1EEEEZZNS1_9scan_implILNS1_25lookback_scan_determinismE0ELb0ELb0ES3_N6thrust23THRUST_200600_302600_NS6detail15normal_iteratorINSB_10device_ptrIS6_EEEESG_S6_NSB_4plusIvEES6_EEDaPvRmT3_T4_T5_mT6_P12ihipStream_tbENKUlT_T0_E_clISt17integral_constantIbLb0EESV_IbLb1EEEEDaSR_SS_EUlSR_E_NS1_11comp_targetILNS1_3genE9ELNS1_11target_archE1100ELNS1_3gpuE3ELNS1_3repE0EEENS1_30default_config_static_selectorELNS0_4arch9wavefront6targetE1EEEvT1_,"axG",@progbits,_ZN7rocprim17ROCPRIM_400000_NS6detail17trampoline_kernelINS0_14default_configENS1_20scan_config_selectorI11FixedVectorIiLj1EEEEZZNS1_9scan_implILNS1_25lookback_scan_determinismE0ELb0ELb0ES3_N6thrust23THRUST_200600_302600_NS6detail15normal_iteratorINSB_10device_ptrIS6_EEEESG_S6_NSB_4plusIvEES6_EEDaPvRmT3_T4_T5_mT6_P12ihipStream_tbENKUlT_T0_E_clISt17integral_constantIbLb0EESV_IbLb1EEEEDaSR_SS_EUlSR_E_NS1_11comp_targetILNS1_3genE9ELNS1_11target_archE1100ELNS1_3gpuE3ELNS1_3repE0EEENS1_30default_config_static_selectorELNS0_4arch9wavefront6targetE1EEEvT1_,comdat
	.protected	_ZN7rocprim17ROCPRIM_400000_NS6detail17trampoline_kernelINS0_14default_configENS1_20scan_config_selectorI11FixedVectorIiLj1EEEEZZNS1_9scan_implILNS1_25lookback_scan_determinismE0ELb0ELb0ES3_N6thrust23THRUST_200600_302600_NS6detail15normal_iteratorINSB_10device_ptrIS6_EEEESG_S6_NSB_4plusIvEES6_EEDaPvRmT3_T4_T5_mT6_P12ihipStream_tbENKUlT_T0_E_clISt17integral_constantIbLb0EESV_IbLb1EEEEDaSR_SS_EUlSR_E_NS1_11comp_targetILNS1_3genE9ELNS1_11target_archE1100ELNS1_3gpuE3ELNS1_3repE0EEENS1_30default_config_static_selectorELNS0_4arch9wavefront6targetE1EEEvT1_ ; -- Begin function _ZN7rocprim17ROCPRIM_400000_NS6detail17trampoline_kernelINS0_14default_configENS1_20scan_config_selectorI11FixedVectorIiLj1EEEEZZNS1_9scan_implILNS1_25lookback_scan_determinismE0ELb0ELb0ES3_N6thrust23THRUST_200600_302600_NS6detail15normal_iteratorINSB_10device_ptrIS6_EEEESG_S6_NSB_4plusIvEES6_EEDaPvRmT3_T4_T5_mT6_P12ihipStream_tbENKUlT_T0_E_clISt17integral_constantIbLb0EESV_IbLb1EEEEDaSR_SS_EUlSR_E_NS1_11comp_targetILNS1_3genE9ELNS1_11target_archE1100ELNS1_3gpuE3ELNS1_3repE0EEENS1_30default_config_static_selectorELNS0_4arch9wavefront6targetE1EEEvT1_
	.globl	_ZN7rocprim17ROCPRIM_400000_NS6detail17trampoline_kernelINS0_14default_configENS1_20scan_config_selectorI11FixedVectorIiLj1EEEEZZNS1_9scan_implILNS1_25lookback_scan_determinismE0ELb0ELb0ES3_N6thrust23THRUST_200600_302600_NS6detail15normal_iteratorINSB_10device_ptrIS6_EEEESG_S6_NSB_4plusIvEES6_EEDaPvRmT3_T4_T5_mT6_P12ihipStream_tbENKUlT_T0_E_clISt17integral_constantIbLb0EESV_IbLb1EEEEDaSR_SS_EUlSR_E_NS1_11comp_targetILNS1_3genE9ELNS1_11target_archE1100ELNS1_3gpuE3ELNS1_3repE0EEENS1_30default_config_static_selectorELNS0_4arch9wavefront6targetE1EEEvT1_
	.p2align	8
	.type	_ZN7rocprim17ROCPRIM_400000_NS6detail17trampoline_kernelINS0_14default_configENS1_20scan_config_selectorI11FixedVectorIiLj1EEEEZZNS1_9scan_implILNS1_25lookback_scan_determinismE0ELb0ELb0ES3_N6thrust23THRUST_200600_302600_NS6detail15normal_iteratorINSB_10device_ptrIS6_EEEESG_S6_NSB_4plusIvEES6_EEDaPvRmT3_T4_T5_mT6_P12ihipStream_tbENKUlT_T0_E_clISt17integral_constantIbLb0EESV_IbLb1EEEEDaSR_SS_EUlSR_E_NS1_11comp_targetILNS1_3genE9ELNS1_11target_archE1100ELNS1_3gpuE3ELNS1_3repE0EEENS1_30default_config_static_selectorELNS0_4arch9wavefront6targetE1EEEvT1_,@function
_ZN7rocprim17ROCPRIM_400000_NS6detail17trampoline_kernelINS0_14default_configENS1_20scan_config_selectorI11FixedVectorIiLj1EEEEZZNS1_9scan_implILNS1_25lookback_scan_determinismE0ELb0ELb0ES3_N6thrust23THRUST_200600_302600_NS6detail15normal_iteratorINSB_10device_ptrIS6_EEEESG_S6_NSB_4plusIvEES6_EEDaPvRmT3_T4_T5_mT6_P12ihipStream_tbENKUlT_T0_E_clISt17integral_constantIbLb0EESV_IbLb1EEEEDaSR_SS_EUlSR_E_NS1_11comp_targetILNS1_3genE9ELNS1_11target_archE1100ELNS1_3gpuE3ELNS1_3repE0EEENS1_30default_config_static_selectorELNS0_4arch9wavefront6targetE1EEEvT1_: ; @_ZN7rocprim17ROCPRIM_400000_NS6detail17trampoline_kernelINS0_14default_configENS1_20scan_config_selectorI11FixedVectorIiLj1EEEEZZNS1_9scan_implILNS1_25lookback_scan_determinismE0ELb0ELb0ES3_N6thrust23THRUST_200600_302600_NS6detail15normal_iteratorINSB_10device_ptrIS6_EEEESG_S6_NSB_4plusIvEES6_EEDaPvRmT3_T4_T5_mT6_P12ihipStream_tbENKUlT_T0_E_clISt17integral_constantIbLb0EESV_IbLb1EEEEDaSR_SS_EUlSR_E_NS1_11comp_targetILNS1_3genE9ELNS1_11target_archE1100ELNS1_3gpuE3ELNS1_3repE0EEENS1_30default_config_static_selectorELNS0_4arch9wavefront6targetE1EEEvT1_
; %bb.0:
	.section	.rodata,"a",@progbits
	.p2align	6, 0x0
	.amdhsa_kernel _ZN7rocprim17ROCPRIM_400000_NS6detail17trampoline_kernelINS0_14default_configENS1_20scan_config_selectorI11FixedVectorIiLj1EEEEZZNS1_9scan_implILNS1_25lookback_scan_determinismE0ELb0ELb0ES3_N6thrust23THRUST_200600_302600_NS6detail15normal_iteratorINSB_10device_ptrIS6_EEEESG_S6_NSB_4plusIvEES6_EEDaPvRmT3_T4_T5_mT6_P12ihipStream_tbENKUlT_T0_E_clISt17integral_constantIbLb0EESV_IbLb1EEEEDaSR_SS_EUlSR_E_NS1_11comp_targetILNS1_3genE9ELNS1_11target_archE1100ELNS1_3gpuE3ELNS1_3repE0EEENS1_30default_config_static_selectorELNS0_4arch9wavefront6targetE1EEEvT1_
		.amdhsa_group_segment_fixed_size 0
		.amdhsa_private_segment_fixed_size 0
		.amdhsa_kernarg_size 96
		.amdhsa_user_sgpr_count 6
		.amdhsa_user_sgpr_private_segment_buffer 1
		.amdhsa_user_sgpr_dispatch_ptr 0
		.amdhsa_user_sgpr_queue_ptr 0
		.amdhsa_user_sgpr_kernarg_segment_ptr 1
		.amdhsa_user_sgpr_dispatch_id 0
		.amdhsa_user_sgpr_flat_scratch_init 0
		.amdhsa_user_sgpr_kernarg_preload_length 0
		.amdhsa_user_sgpr_kernarg_preload_offset 0
		.amdhsa_user_sgpr_private_segment_size 0
		.amdhsa_uses_dynamic_stack 0
		.amdhsa_system_sgpr_private_segment_wavefront_offset 0
		.amdhsa_system_sgpr_workgroup_id_x 1
		.amdhsa_system_sgpr_workgroup_id_y 0
		.amdhsa_system_sgpr_workgroup_id_z 0
		.amdhsa_system_sgpr_workgroup_info 0
		.amdhsa_system_vgpr_workitem_id 0
		.amdhsa_next_free_vgpr 1
		.amdhsa_next_free_sgpr 0
		.amdhsa_accum_offset 4
		.amdhsa_reserve_vcc 0
		.amdhsa_reserve_flat_scratch 0
		.amdhsa_float_round_mode_32 0
		.amdhsa_float_round_mode_16_64 0
		.amdhsa_float_denorm_mode_32 3
		.amdhsa_float_denorm_mode_16_64 3
		.amdhsa_dx10_clamp 1
		.amdhsa_ieee_mode 1
		.amdhsa_fp16_overflow 0
		.amdhsa_tg_split 0
		.amdhsa_exception_fp_ieee_invalid_op 0
		.amdhsa_exception_fp_denorm_src 0
		.amdhsa_exception_fp_ieee_div_zero 0
		.amdhsa_exception_fp_ieee_overflow 0
		.amdhsa_exception_fp_ieee_underflow 0
		.amdhsa_exception_fp_ieee_inexact 0
		.amdhsa_exception_int_div_zero 0
	.end_amdhsa_kernel
	.section	.text._ZN7rocprim17ROCPRIM_400000_NS6detail17trampoline_kernelINS0_14default_configENS1_20scan_config_selectorI11FixedVectorIiLj1EEEEZZNS1_9scan_implILNS1_25lookback_scan_determinismE0ELb0ELb0ES3_N6thrust23THRUST_200600_302600_NS6detail15normal_iteratorINSB_10device_ptrIS6_EEEESG_S6_NSB_4plusIvEES6_EEDaPvRmT3_T4_T5_mT6_P12ihipStream_tbENKUlT_T0_E_clISt17integral_constantIbLb0EESV_IbLb1EEEEDaSR_SS_EUlSR_E_NS1_11comp_targetILNS1_3genE9ELNS1_11target_archE1100ELNS1_3gpuE3ELNS1_3repE0EEENS1_30default_config_static_selectorELNS0_4arch9wavefront6targetE1EEEvT1_,"axG",@progbits,_ZN7rocprim17ROCPRIM_400000_NS6detail17trampoline_kernelINS0_14default_configENS1_20scan_config_selectorI11FixedVectorIiLj1EEEEZZNS1_9scan_implILNS1_25lookback_scan_determinismE0ELb0ELb0ES3_N6thrust23THRUST_200600_302600_NS6detail15normal_iteratorINSB_10device_ptrIS6_EEEESG_S6_NSB_4plusIvEES6_EEDaPvRmT3_T4_T5_mT6_P12ihipStream_tbENKUlT_T0_E_clISt17integral_constantIbLb0EESV_IbLb1EEEEDaSR_SS_EUlSR_E_NS1_11comp_targetILNS1_3genE9ELNS1_11target_archE1100ELNS1_3gpuE3ELNS1_3repE0EEENS1_30default_config_static_selectorELNS0_4arch9wavefront6targetE1EEEvT1_,comdat
.Lfunc_end6451:
	.size	_ZN7rocprim17ROCPRIM_400000_NS6detail17trampoline_kernelINS0_14default_configENS1_20scan_config_selectorI11FixedVectorIiLj1EEEEZZNS1_9scan_implILNS1_25lookback_scan_determinismE0ELb0ELb0ES3_N6thrust23THRUST_200600_302600_NS6detail15normal_iteratorINSB_10device_ptrIS6_EEEESG_S6_NSB_4plusIvEES6_EEDaPvRmT3_T4_T5_mT6_P12ihipStream_tbENKUlT_T0_E_clISt17integral_constantIbLb0EESV_IbLb1EEEEDaSR_SS_EUlSR_E_NS1_11comp_targetILNS1_3genE9ELNS1_11target_archE1100ELNS1_3gpuE3ELNS1_3repE0EEENS1_30default_config_static_selectorELNS0_4arch9wavefront6targetE1EEEvT1_, .Lfunc_end6451-_ZN7rocprim17ROCPRIM_400000_NS6detail17trampoline_kernelINS0_14default_configENS1_20scan_config_selectorI11FixedVectorIiLj1EEEEZZNS1_9scan_implILNS1_25lookback_scan_determinismE0ELb0ELb0ES3_N6thrust23THRUST_200600_302600_NS6detail15normal_iteratorINSB_10device_ptrIS6_EEEESG_S6_NSB_4plusIvEES6_EEDaPvRmT3_T4_T5_mT6_P12ihipStream_tbENKUlT_T0_E_clISt17integral_constantIbLb0EESV_IbLb1EEEEDaSR_SS_EUlSR_E_NS1_11comp_targetILNS1_3genE9ELNS1_11target_archE1100ELNS1_3gpuE3ELNS1_3repE0EEENS1_30default_config_static_selectorELNS0_4arch9wavefront6targetE1EEEvT1_
                                        ; -- End function
	.section	.AMDGPU.csdata,"",@progbits
; Kernel info:
; codeLenInByte = 0
; NumSgprs: 4
; NumVgprs: 0
; NumAgprs: 0
; TotalNumVgprs: 0
; ScratchSize: 0
; MemoryBound: 0
; FloatMode: 240
; IeeeMode: 1
; LDSByteSize: 0 bytes/workgroup (compile time only)
; SGPRBlocks: 0
; VGPRBlocks: 0
; NumSGPRsForWavesPerEU: 4
; NumVGPRsForWavesPerEU: 1
; AccumOffset: 4
; Occupancy: 8
; WaveLimiterHint : 0
; COMPUTE_PGM_RSRC2:SCRATCH_EN: 0
; COMPUTE_PGM_RSRC2:USER_SGPR: 6
; COMPUTE_PGM_RSRC2:TRAP_HANDLER: 0
; COMPUTE_PGM_RSRC2:TGID_X_EN: 1
; COMPUTE_PGM_RSRC2:TGID_Y_EN: 0
; COMPUTE_PGM_RSRC2:TGID_Z_EN: 0
; COMPUTE_PGM_RSRC2:TIDIG_COMP_CNT: 0
; COMPUTE_PGM_RSRC3_GFX90A:ACCUM_OFFSET: 0
; COMPUTE_PGM_RSRC3_GFX90A:TG_SPLIT: 0
	.section	.text._ZN7rocprim17ROCPRIM_400000_NS6detail17trampoline_kernelINS0_14default_configENS1_20scan_config_selectorI11FixedVectorIiLj1EEEEZZNS1_9scan_implILNS1_25lookback_scan_determinismE0ELb0ELb0ES3_N6thrust23THRUST_200600_302600_NS6detail15normal_iteratorINSB_10device_ptrIS6_EEEESG_S6_NSB_4plusIvEES6_EEDaPvRmT3_T4_T5_mT6_P12ihipStream_tbENKUlT_T0_E_clISt17integral_constantIbLb0EESV_IbLb1EEEEDaSR_SS_EUlSR_E_NS1_11comp_targetILNS1_3genE8ELNS1_11target_archE1030ELNS1_3gpuE2ELNS1_3repE0EEENS1_30default_config_static_selectorELNS0_4arch9wavefront6targetE1EEEvT1_,"axG",@progbits,_ZN7rocprim17ROCPRIM_400000_NS6detail17trampoline_kernelINS0_14default_configENS1_20scan_config_selectorI11FixedVectorIiLj1EEEEZZNS1_9scan_implILNS1_25lookback_scan_determinismE0ELb0ELb0ES3_N6thrust23THRUST_200600_302600_NS6detail15normal_iteratorINSB_10device_ptrIS6_EEEESG_S6_NSB_4plusIvEES6_EEDaPvRmT3_T4_T5_mT6_P12ihipStream_tbENKUlT_T0_E_clISt17integral_constantIbLb0EESV_IbLb1EEEEDaSR_SS_EUlSR_E_NS1_11comp_targetILNS1_3genE8ELNS1_11target_archE1030ELNS1_3gpuE2ELNS1_3repE0EEENS1_30default_config_static_selectorELNS0_4arch9wavefront6targetE1EEEvT1_,comdat
	.protected	_ZN7rocprim17ROCPRIM_400000_NS6detail17trampoline_kernelINS0_14default_configENS1_20scan_config_selectorI11FixedVectorIiLj1EEEEZZNS1_9scan_implILNS1_25lookback_scan_determinismE0ELb0ELb0ES3_N6thrust23THRUST_200600_302600_NS6detail15normal_iteratorINSB_10device_ptrIS6_EEEESG_S6_NSB_4plusIvEES6_EEDaPvRmT3_T4_T5_mT6_P12ihipStream_tbENKUlT_T0_E_clISt17integral_constantIbLb0EESV_IbLb1EEEEDaSR_SS_EUlSR_E_NS1_11comp_targetILNS1_3genE8ELNS1_11target_archE1030ELNS1_3gpuE2ELNS1_3repE0EEENS1_30default_config_static_selectorELNS0_4arch9wavefront6targetE1EEEvT1_ ; -- Begin function _ZN7rocprim17ROCPRIM_400000_NS6detail17trampoline_kernelINS0_14default_configENS1_20scan_config_selectorI11FixedVectorIiLj1EEEEZZNS1_9scan_implILNS1_25lookback_scan_determinismE0ELb0ELb0ES3_N6thrust23THRUST_200600_302600_NS6detail15normal_iteratorINSB_10device_ptrIS6_EEEESG_S6_NSB_4plusIvEES6_EEDaPvRmT3_T4_T5_mT6_P12ihipStream_tbENKUlT_T0_E_clISt17integral_constantIbLb0EESV_IbLb1EEEEDaSR_SS_EUlSR_E_NS1_11comp_targetILNS1_3genE8ELNS1_11target_archE1030ELNS1_3gpuE2ELNS1_3repE0EEENS1_30default_config_static_selectorELNS0_4arch9wavefront6targetE1EEEvT1_
	.globl	_ZN7rocprim17ROCPRIM_400000_NS6detail17trampoline_kernelINS0_14default_configENS1_20scan_config_selectorI11FixedVectorIiLj1EEEEZZNS1_9scan_implILNS1_25lookback_scan_determinismE0ELb0ELb0ES3_N6thrust23THRUST_200600_302600_NS6detail15normal_iteratorINSB_10device_ptrIS6_EEEESG_S6_NSB_4plusIvEES6_EEDaPvRmT3_T4_T5_mT6_P12ihipStream_tbENKUlT_T0_E_clISt17integral_constantIbLb0EESV_IbLb1EEEEDaSR_SS_EUlSR_E_NS1_11comp_targetILNS1_3genE8ELNS1_11target_archE1030ELNS1_3gpuE2ELNS1_3repE0EEENS1_30default_config_static_selectorELNS0_4arch9wavefront6targetE1EEEvT1_
	.p2align	8
	.type	_ZN7rocprim17ROCPRIM_400000_NS6detail17trampoline_kernelINS0_14default_configENS1_20scan_config_selectorI11FixedVectorIiLj1EEEEZZNS1_9scan_implILNS1_25lookback_scan_determinismE0ELb0ELb0ES3_N6thrust23THRUST_200600_302600_NS6detail15normal_iteratorINSB_10device_ptrIS6_EEEESG_S6_NSB_4plusIvEES6_EEDaPvRmT3_T4_T5_mT6_P12ihipStream_tbENKUlT_T0_E_clISt17integral_constantIbLb0EESV_IbLb1EEEEDaSR_SS_EUlSR_E_NS1_11comp_targetILNS1_3genE8ELNS1_11target_archE1030ELNS1_3gpuE2ELNS1_3repE0EEENS1_30default_config_static_selectorELNS0_4arch9wavefront6targetE1EEEvT1_,@function
_ZN7rocprim17ROCPRIM_400000_NS6detail17trampoline_kernelINS0_14default_configENS1_20scan_config_selectorI11FixedVectorIiLj1EEEEZZNS1_9scan_implILNS1_25lookback_scan_determinismE0ELb0ELb0ES3_N6thrust23THRUST_200600_302600_NS6detail15normal_iteratorINSB_10device_ptrIS6_EEEESG_S6_NSB_4plusIvEES6_EEDaPvRmT3_T4_T5_mT6_P12ihipStream_tbENKUlT_T0_E_clISt17integral_constantIbLb0EESV_IbLb1EEEEDaSR_SS_EUlSR_E_NS1_11comp_targetILNS1_3genE8ELNS1_11target_archE1030ELNS1_3gpuE2ELNS1_3repE0EEENS1_30default_config_static_selectorELNS0_4arch9wavefront6targetE1EEEvT1_: ; @_ZN7rocprim17ROCPRIM_400000_NS6detail17trampoline_kernelINS0_14default_configENS1_20scan_config_selectorI11FixedVectorIiLj1EEEEZZNS1_9scan_implILNS1_25lookback_scan_determinismE0ELb0ELb0ES3_N6thrust23THRUST_200600_302600_NS6detail15normal_iteratorINSB_10device_ptrIS6_EEEESG_S6_NSB_4plusIvEES6_EEDaPvRmT3_T4_T5_mT6_P12ihipStream_tbENKUlT_T0_E_clISt17integral_constantIbLb0EESV_IbLb1EEEEDaSR_SS_EUlSR_E_NS1_11comp_targetILNS1_3genE8ELNS1_11target_archE1030ELNS1_3gpuE2ELNS1_3repE0EEENS1_30default_config_static_selectorELNS0_4arch9wavefront6targetE1EEEvT1_
; %bb.0:
	.section	.rodata,"a",@progbits
	.p2align	6, 0x0
	.amdhsa_kernel _ZN7rocprim17ROCPRIM_400000_NS6detail17trampoline_kernelINS0_14default_configENS1_20scan_config_selectorI11FixedVectorIiLj1EEEEZZNS1_9scan_implILNS1_25lookback_scan_determinismE0ELb0ELb0ES3_N6thrust23THRUST_200600_302600_NS6detail15normal_iteratorINSB_10device_ptrIS6_EEEESG_S6_NSB_4plusIvEES6_EEDaPvRmT3_T4_T5_mT6_P12ihipStream_tbENKUlT_T0_E_clISt17integral_constantIbLb0EESV_IbLb1EEEEDaSR_SS_EUlSR_E_NS1_11comp_targetILNS1_3genE8ELNS1_11target_archE1030ELNS1_3gpuE2ELNS1_3repE0EEENS1_30default_config_static_selectorELNS0_4arch9wavefront6targetE1EEEvT1_
		.amdhsa_group_segment_fixed_size 0
		.amdhsa_private_segment_fixed_size 0
		.amdhsa_kernarg_size 96
		.amdhsa_user_sgpr_count 6
		.amdhsa_user_sgpr_private_segment_buffer 1
		.amdhsa_user_sgpr_dispatch_ptr 0
		.amdhsa_user_sgpr_queue_ptr 0
		.amdhsa_user_sgpr_kernarg_segment_ptr 1
		.amdhsa_user_sgpr_dispatch_id 0
		.amdhsa_user_sgpr_flat_scratch_init 0
		.amdhsa_user_sgpr_kernarg_preload_length 0
		.amdhsa_user_sgpr_kernarg_preload_offset 0
		.amdhsa_user_sgpr_private_segment_size 0
		.amdhsa_uses_dynamic_stack 0
		.amdhsa_system_sgpr_private_segment_wavefront_offset 0
		.amdhsa_system_sgpr_workgroup_id_x 1
		.amdhsa_system_sgpr_workgroup_id_y 0
		.amdhsa_system_sgpr_workgroup_id_z 0
		.amdhsa_system_sgpr_workgroup_info 0
		.amdhsa_system_vgpr_workitem_id 0
		.amdhsa_next_free_vgpr 1
		.amdhsa_next_free_sgpr 0
		.amdhsa_accum_offset 4
		.amdhsa_reserve_vcc 0
		.amdhsa_reserve_flat_scratch 0
		.amdhsa_float_round_mode_32 0
		.amdhsa_float_round_mode_16_64 0
		.amdhsa_float_denorm_mode_32 3
		.amdhsa_float_denorm_mode_16_64 3
		.amdhsa_dx10_clamp 1
		.amdhsa_ieee_mode 1
		.amdhsa_fp16_overflow 0
		.amdhsa_tg_split 0
		.amdhsa_exception_fp_ieee_invalid_op 0
		.amdhsa_exception_fp_denorm_src 0
		.amdhsa_exception_fp_ieee_div_zero 0
		.amdhsa_exception_fp_ieee_overflow 0
		.amdhsa_exception_fp_ieee_underflow 0
		.amdhsa_exception_fp_ieee_inexact 0
		.amdhsa_exception_int_div_zero 0
	.end_amdhsa_kernel
	.section	.text._ZN7rocprim17ROCPRIM_400000_NS6detail17trampoline_kernelINS0_14default_configENS1_20scan_config_selectorI11FixedVectorIiLj1EEEEZZNS1_9scan_implILNS1_25lookback_scan_determinismE0ELb0ELb0ES3_N6thrust23THRUST_200600_302600_NS6detail15normal_iteratorINSB_10device_ptrIS6_EEEESG_S6_NSB_4plusIvEES6_EEDaPvRmT3_T4_T5_mT6_P12ihipStream_tbENKUlT_T0_E_clISt17integral_constantIbLb0EESV_IbLb1EEEEDaSR_SS_EUlSR_E_NS1_11comp_targetILNS1_3genE8ELNS1_11target_archE1030ELNS1_3gpuE2ELNS1_3repE0EEENS1_30default_config_static_selectorELNS0_4arch9wavefront6targetE1EEEvT1_,"axG",@progbits,_ZN7rocprim17ROCPRIM_400000_NS6detail17trampoline_kernelINS0_14default_configENS1_20scan_config_selectorI11FixedVectorIiLj1EEEEZZNS1_9scan_implILNS1_25lookback_scan_determinismE0ELb0ELb0ES3_N6thrust23THRUST_200600_302600_NS6detail15normal_iteratorINSB_10device_ptrIS6_EEEESG_S6_NSB_4plusIvEES6_EEDaPvRmT3_T4_T5_mT6_P12ihipStream_tbENKUlT_T0_E_clISt17integral_constantIbLb0EESV_IbLb1EEEEDaSR_SS_EUlSR_E_NS1_11comp_targetILNS1_3genE8ELNS1_11target_archE1030ELNS1_3gpuE2ELNS1_3repE0EEENS1_30default_config_static_selectorELNS0_4arch9wavefront6targetE1EEEvT1_,comdat
.Lfunc_end6452:
	.size	_ZN7rocprim17ROCPRIM_400000_NS6detail17trampoline_kernelINS0_14default_configENS1_20scan_config_selectorI11FixedVectorIiLj1EEEEZZNS1_9scan_implILNS1_25lookback_scan_determinismE0ELb0ELb0ES3_N6thrust23THRUST_200600_302600_NS6detail15normal_iteratorINSB_10device_ptrIS6_EEEESG_S6_NSB_4plusIvEES6_EEDaPvRmT3_T4_T5_mT6_P12ihipStream_tbENKUlT_T0_E_clISt17integral_constantIbLb0EESV_IbLb1EEEEDaSR_SS_EUlSR_E_NS1_11comp_targetILNS1_3genE8ELNS1_11target_archE1030ELNS1_3gpuE2ELNS1_3repE0EEENS1_30default_config_static_selectorELNS0_4arch9wavefront6targetE1EEEvT1_, .Lfunc_end6452-_ZN7rocprim17ROCPRIM_400000_NS6detail17trampoline_kernelINS0_14default_configENS1_20scan_config_selectorI11FixedVectorIiLj1EEEEZZNS1_9scan_implILNS1_25lookback_scan_determinismE0ELb0ELb0ES3_N6thrust23THRUST_200600_302600_NS6detail15normal_iteratorINSB_10device_ptrIS6_EEEESG_S6_NSB_4plusIvEES6_EEDaPvRmT3_T4_T5_mT6_P12ihipStream_tbENKUlT_T0_E_clISt17integral_constantIbLb0EESV_IbLb1EEEEDaSR_SS_EUlSR_E_NS1_11comp_targetILNS1_3genE8ELNS1_11target_archE1030ELNS1_3gpuE2ELNS1_3repE0EEENS1_30default_config_static_selectorELNS0_4arch9wavefront6targetE1EEEvT1_
                                        ; -- End function
	.section	.AMDGPU.csdata,"",@progbits
; Kernel info:
; codeLenInByte = 0
; NumSgprs: 4
; NumVgprs: 0
; NumAgprs: 0
; TotalNumVgprs: 0
; ScratchSize: 0
; MemoryBound: 0
; FloatMode: 240
; IeeeMode: 1
; LDSByteSize: 0 bytes/workgroup (compile time only)
; SGPRBlocks: 0
; VGPRBlocks: 0
; NumSGPRsForWavesPerEU: 4
; NumVGPRsForWavesPerEU: 1
; AccumOffset: 4
; Occupancy: 8
; WaveLimiterHint : 0
; COMPUTE_PGM_RSRC2:SCRATCH_EN: 0
; COMPUTE_PGM_RSRC2:USER_SGPR: 6
; COMPUTE_PGM_RSRC2:TRAP_HANDLER: 0
; COMPUTE_PGM_RSRC2:TGID_X_EN: 1
; COMPUTE_PGM_RSRC2:TGID_Y_EN: 0
; COMPUTE_PGM_RSRC2:TGID_Z_EN: 0
; COMPUTE_PGM_RSRC2:TIDIG_COMP_CNT: 0
; COMPUTE_PGM_RSRC3_GFX90A:ACCUM_OFFSET: 0
; COMPUTE_PGM_RSRC3_GFX90A:TG_SPLIT: 0
	.section	.text._ZN7rocprim17ROCPRIM_400000_NS6detail17trampoline_kernelINS0_14default_configENS1_20scan_config_selectorI11FixedVectorIiLj1EEEEZZNS1_9scan_implILNS1_25lookback_scan_determinismE0ELb0ELb0ES3_N6thrust23THRUST_200600_302600_NS6detail15normal_iteratorINSB_10device_ptrIS6_EEEESG_S6_NSB_4plusIvEES6_EEDaPvRmT3_T4_T5_mT6_P12ihipStream_tbENKUlT_T0_E_clISt17integral_constantIbLb0EESV_IbLb1EEEEDaSR_SS_EUlSR_E0_NS1_11comp_targetILNS1_3genE0ELNS1_11target_archE4294967295ELNS1_3gpuE0ELNS1_3repE0EEENS1_30default_config_static_selectorELNS0_4arch9wavefront6targetE1EEEvT1_,"axG",@progbits,_ZN7rocprim17ROCPRIM_400000_NS6detail17trampoline_kernelINS0_14default_configENS1_20scan_config_selectorI11FixedVectorIiLj1EEEEZZNS1_9scan_implILNS1_25lookback_scan_determinismE0ELb0ELb0ES3_N6thrust23THRUST_200600_302600_NS6detail15normal_iteratorINSB_10device_ptrIS6_EEEESG_S6_NSB_4plusIvEES6_EEDaPvRmT3_T4_T5_mT6_P12ihipStream_tbENKUlT_T0_E_clISt17integral_constantIbLb0EESV_IbLb1EEEEDaSR_SS_EUlSR_E0_NS1_11comp_targetILNS1_3genE0ELNS1_11target_archE4294967295ELNS1_3gpuE0ELNS1_3repE0EEENS1_30default_config_static_selectorELNS0_4arch9wavefront6targetE1EEEvT1_,comdat
	.protected	_ZN7rocprim17ROCPRIM_400000_NS6detail17trampoline_kernelINS0_14default_configENS1_20scan_config_selectorI11FixedVectorIiLj1EEEEZZNS1_9scan_implILNS1_25lookback_scan_determinismE0ELb0ELb0ES3_N6thrust23THRUST_200600_302600_NS6detail15normal_iteratorINSB_10device_ptrIS6_EEEESG_S6_NSB_4plusIvEES6_EEDaPvRmT3_T4_T5_mT6_P12ihipStream_tbENKUlT_T0_E_clISt17integral_constantIbLb0EESV_IbLb1EEEEDaSR_SS_EUlSR_E0_NS1_11comp_targetILNS1_3genE0ELNS1_11target_archE4294967295ELNS1_3gpuE0ELNS1_3repE0EEENS1_30default_config_static_selectorELNS0_4arch9wavefront6targetE1EEEvT1_ ; -- Begin function _ZN7rocprim17ROCPRIM_400000_NS6detail17trampoline_kernelINS0_14default_configENS1_20scan_config_selectorI11FixedVectorIiLj1EEEEZZNS1_9scan_implILNS1_25lookback_scan_determinismE0ELb0ELb0ES3_N6thrust23THRUST_200600_302600_NS6detail15normal_iteratorINSB_10device_ptrIS6_EEEESG_S6_NSB_4plusIvEES6_EEDaPvRmT3_T4_T5_mT6_P12ihipStream_tbENKUlT_T0_E_clISt17integral_constantIbLb0EESV_IbLb1EEEEDaSR_SS_EUlSR_E0_NS1_11comp_targetILNS1_3genE0ELNS1_11target_archE4294967295ELNS1_3gpuE0ELNS1_3repE0EEENS1_30default_config_static_selectorELNS0_4arch9wavefront6targetE1EEEvT1_
	.globl	_ZN7rocprim17ROCPRIM_400000_NS6detail17trampoline_kernelINS0_14default_configENS1_20scan_config_selectorI11FixedVectorIiLj1EEEEZZNS1_9scan_implILNS1_25lookback_scan_determinismE0ELb0ELb0ES3_N6thrust23THRUST_200600_302600_NS6detail15normal_iteratorINSB_10device_ptrIS6_EEEESG_S6_NSB_4plusIvEES6_EEDaPvRmT3_T4_T5_mT6_P12ihipStream_tbENKUlT_T0_E_clISt17integral_constantIbLb0EESV_IbLb1EEEEDaSR_SS_EUlSR_E0_NS1_11comp_targetILNS1_3genE0ELNS1_11target_archE4294967295ELNS1_3gpuE0ELNS1_3repE0EEENS1_30default_config_static_selectorELNS0_4arch9wavefront6targetE1EEEvT1_
	.p2align	8
	.type	_ZN7rocprim17ROCPRIM_400000_NS6detail17trampoline_kernelINS0_14default_configENS1_20scan_config_selectorI11FixedVectorIiLj1EEEEZZNS1_9scan_implILNS1_25lookback_scan_determinismE0ELb0ELb0ES3_N6thrust23THRUST_200600_302600_NS6detail15normal_iteratorINSB_10device_ptrIS6_EEEESG_S6_NSB_4plusIvEES6_EEDaPvRmT3_T4_T5_mT6_P12ihipStream_tbENKUlT_T0_E_clISt17integral_constantIbLb0EESV_IbLb1EEEEDaSR_SS_EUlSR_E0_NS1_11comp_targetILNS1_3genE0ELNS1_11target_archE4294967295ELNS1_3gpuE0ELNS1_3repE0EEENS1_30default_config_static_selectorELNS0_4arch9wavefront6targetE1EEEvT1_,@function
_ZN7rocprim17ROCPRIM_400000_NS6detail17trampoline_kernelINS0_14default_configENS1_20scan_config_selectorI11FixedVectorIiLj1EEEEZZNS1_9scan_implILNS1_25lookback_scan_determinismE0ELb0ELb0ES3_N6thrust23THRUST_200600_302600_NS6detail15normal_iteratorINSB_10device_ptrIS6_EEEESG_S6_NSB_4plusIvEES6_EEDaPvRmT3_T4_T5_mT6_P12ihipStream_tbENKUlT_T0_E_clISt17integral_constantIbLb0EESV_IbLb1EEEEDaSR_SS_EUlSR_E0_NS1_11comp_targetILNS1_3genE0ELNS1_11target_archE4294967295ELNS1_3gpuE0ELNS1_3repE0EEENS1_30default_config_static_selectorELNS0_4arch9wavefront6targetE1EEEvT1_: ; @_ZN7rocprim17ROCPRIM_400000_NS6detail17trampoline_kernelINS0_14default_configENS1_20scan_config_selectorI11FixedVectorIiLj1EEEEZZNS1_9scan_implILNS1_25lookback_scan_determinismE0ELb0ELb0ES3_N6thrust23THRUST_200600_302600_NS6detail15normal_iteratorINSB_10device_ptrIS6_EEEESG_S6_NSB_4plusIvEES6_EEDaPvRmT3_T4_T5_mT6_P12ihipStream_tbENKUlT_T0_E_clISt17integral_constantIbLb0EESV_IbLb1EEEEDaSR_SS_EUlSR_E0_NS1_11comp_targetILNS1_3genE0ELNS1_11target_archE4294967295ELNS1_3gpuE0ELNS1_3repE0EEENS1_30default_config_static_selectorELNS0_4arch9wavefront6targetE1EEEvT1_
; %bb.0:
	.section	.rodata,"a",@progbits
	.p2align	6, 0x0
	.amdhsa_kernel _ZN7rocprim17ROCPRIM_400000_NS6detail17trampoline_kernelINS0_14default_configENS1_20scan_config_selectorI11FixedVectorIiLj1EEEEZZNS1_9scan_implILNS1_25lookback_scan_determinismE0ELb0ELb0ES3_N6thrust23THRUST_200600_302600_NS6detail15normal_iteratorINSB_10device_ptrIS6_EEEESG_S6_NSB_4plusIvEES6_EEDaPvRmT3_T4_T5_mT6_P12ihipStream_tbENKUlT_T0_E_clISt17integral_constantIbLb0EESV_IbLb1EEEEDaSR_SS_EUlSR_E0_NS1_11comp_targetILNS1_3genE0ELNS1_11target_archE4294967295ELNS1_3gpuE0ELNS1_3repE0EEENS1_30default_config_static_selectorELNS0_4arch9wavefront6targetE1EEEvT1_
		.amdhsa_group_segment_fixed_size 0
		.amdhsa_private_segment_fixed_size 0
		.amdhsa_kernarg_size 32
		.amdhsa_user_sgpr_count 6
		.amdhsa_user_sgpr_private_segment_buffer 1
		.amdhsa_user_sgpr_dispatch_ptr 0
		.amdhsa_user_sgpr_queue_ptr 0
		.amdhsa_user_sgpr_kernarg_segment_ptr 1
		.amdhsa_user_sgpr_dispatch_id 0
		.amdhsa_user_sgpr_flat_scratch_init 0
		.amdhsa_user_sgpr_kernarg_preload_length 0
		.amdhsa_user_sgpr_kernarg_preload_offset 0
		.amdhsa_user_sgpr_private_segment_size 0
		.amdhsa_uses_dynamic_stack 0
		.amdhsa_system_sgpr_private_segment_wavefront_offset 0
		.amdhsa_system_sgpr_workgroup_id_x 1
		.amdhsa_system_sgpr_workgroup_id_y 0
		.amdhsa_system_sgpr_workgroup_id_z 0
		.amdhsa_system_sgpr_workgroup_info 0
		.amdhsa_system_vgpr_workitem_id 0
		.amdhsa_next_free_vgpr 1
		.amdhsa_next_free_sgpr 0
		.amdhsa_accum_offset 4
		.amdhsa_reserve_vcc 0
		.amdhsa_reserve_flat_scratch 0
		.amdhsa_float_round_mode_32 0
		.amdhsa_float_round_mode_16_64 0
		.amdhsa_float_denorm_mode_32 3
		.amdhsa_float_denorm_mode_16_64 3
		.amdhsa_dx10_clamp 1
		.amdhsa_ieee_mode 1
		.amdhsa_fp16_overflow 0
		.amdhsa_tg_split 0
		.amdhsa_exception_fp_ieee_invalid_op 0
		.amdhsa_exception_fp_denorm_src 0
		.amdhsa_exception_fp_ieee_div_zero 0
		.amdhsa_exception_fp_ieee_overflow 0
		.amdhsa_exception_fp_ieee_underflow 0
		.amdhsa_exception_fp_ieee_inexact 0
		.amdhsa_exception_int_div_zero 0
	.end_amdhsa_kernel
	.section	.text._ZN7rocprim17ROCPRIM_400000_NS6detail17trampoline_kernelINS0_14default_configENS1_20scan_config_selectorI11FixedVectorIiLj1EEEEZZNS1_9scan_implILNS1_25lookback_scan_determinismE0ELb0ELb0ES3_N6thrust23THRUST_200600_302600_NS6detail15normal_iteratorINSB_10device_ptrIS6_EEEESG_S6_NSB_4plusIvEES6_EEDaPvRmT3_T4_T5_mT6_P12ihipStream_tbENKUlT_T0_E_clISt17integral_constantIbLb0EESV_IbLb1EEEEDaSR_SS_EUlSR_E0_NS1_11comp_targetILNS1_3genE0ELNS1_11target_archE4294967295ELNS1_3gpuE0ELNS1_3repE0EEENS1_30default_config_static_selectorELNS0_4arch9wavefront6targetE1EEEvT1_,"axG",@progbits,_ZN7rocprim17ROCPRIM_400000_NS6detail17trampoline_kernelINS0_14default_configENS1_20scan_config_selectorI11FixedVectorIiLj1EEEEZZNS1_9scan_implILNS1_25lookback_scan_determinismE0ELb0ELb0ES3_N6thrust23THRUST_200600_302600_NS6detail15normal_iteratorINSB_10device_ptrIS6_EEEESG_S6_NSB_4plusIvEES6_EEDaPvRmT3_T4_T5_mT6_P12ihipStream_tbENKUlT_T0_E_clISt17integral_constantIbLb0EESV_IbLb1EEEEDaSR_SS_EUlSR_E0_NS1_11comp_targetILNS1_3genE0ELNS1_11target_archE4294967295ELNS1_3gpuE0ELNS1_3repE0EEENS1_30default_config_static_selectorELNS0_4arch9wavefront6targetE1EEEvT1_,comdat
.Lfunc_end6453:
	.size	_ZN7rocprim17ROCPRIM_400000_NS6detail17trampoline_kernelINS0_14default_configENS1_20scan_config_selectorI11FixedVectorIiLj1EEEEZZNS1_9scan_implILNS1_25lookback_scan_determinismE0ELb0ELb0ES3_N6thrust23THRUST_200600_302600_NS6detail15normal_iteratorINSB_10device_ptrIS6_EEEESG_S6_NSB_4plusIvEES6_EEDaPvRmT3_T4_T5_mT6_P12ihipStream_tbENKUlT_T0_E_clISt17integral_constantIbLb0EESV_IbLb1EEEEDaSR_SS_EUlSR_E0_NS1_11comp_targetILNS1_3genE0ELNS1_11target_archE4294967295ELNS1_3gpuE0ELNS1_3repE0EEENS1_30default_config_static_selectorELNS0_4arch9wavefront6targetE1EEEvT1_, .Lfunc_end6453-_ZN7rocprim17ROCPRIM_400000_NS6detail17trampoline_kernelINS0_14default_configENS1_20scan_config_selectorI11FixedVectorIiLj1EEEEZZNS1_9scan_implILNS1_25lookback_scan_determinismE0ELb0ELb0ES3_N6thrust23THRUST_200600_302600_NS6detail15normal_iteratorINSB_10device_ptrIS6_EEEESG_S6_NSB_4plusIvEES6_EEDaPvRmT3_T4_T5_mT6_P12ihipStream_tbENKUlT_T0_E_clISt17integral_constantIbLb0EESV_IbLb1EEEEDaSR_SS_EUlSR_E0_NS1_11comp_targetILNS1_3genE0ELNS1_11target_archE4294967295ELNS1_3gpuE0ELNS1_3repE0EEENS1_30default_config_static_selectorELNS0_4arch9wavefront6targetE1EEEvT1_
                                        ; -- End function
	.section	.AMDGPU.csdata,"",@progbits
; Kernel info:
; codeLenInByte = 0
; NumSgprs: 4
; NumVgprs: 0
; NumAgprs: 0
; TotalNumVgprs: 0
; ScratchSize: 0
; MemoryBound: 0
; FloatMode: 240
; IeeeMode: 1
; LDSByteSize: 0 bytes/workgroup (compile time only)
; SGPRBlocks: 0
; VGPRBlocks: 0
; NumSGPRsForWavesPerEU: 4
; NumVGPRsForWavesPerEU: 1
; AccumOffset: 4
; Occupancy: 8
; WaveLimiterHint : 0
; COMPUTE_PGM_RSRC2:SCRATCH_EN: 0
; COMPUTE_PGM_RSRC2:USER_SGPR: 6
; COMPUTE_PGM_RSRC2:TRAP_HANDLER: 0
; COMPUTE_PGM_RSRC2:TGID_X_EN: 1
; COMPUTE_PGM_RSRC2:TGID_Y_EN: 0
; COMPUTE_PGM_RSRC2:TGID_Z_EN: 0
; COMPUTE_PGM_RSRC2:TIDIG_COMP_CNT: 0
; COMPUTE_PGM_RSRC3_GFX90A:ACCUM_OFFSET: 0
; COMPUTE_PGM_RSRC3_GFX90A:TG_SPLIT: 0
	.section	.text._ZN7rocprim17ROCPRIM_400000_NS6detail17trampoline_kernelINS0_14default_configENS1_20scan_config_selectorI11FixedVectorIiLj1EEEEZZNS1_9scan_implILNS1_25lookback_scan_determinismE0ELb0ELb0ES3_N6thrust23THRUST_200600_302600_NS6detail15normal_iteratorINSB_10device_ptrIS6_EEEESG_S6_NSB_4plusIvEES6_EEDaPvRmT3_T4_T5_mT6_P12ihipStream_tbENKUlT_T0_E_clISt17integral_constantIbLb0EESV_IbLb1EEEEDaSR_SS_EUlSR_E0_NS1_11comp_targetILNS1_3genE5ELNS1_11target_archE942ELNS1_3gpuE9ELNS1_3repE0EEENS1_30default_config_static_selectorELNS0_4arch9wavefront6targetE1EEEvT1_,"axG",@progbits,_ZN7rocprim17ROCPRIM_400000_NS6detail17trampoline_kernelINS0_14default_configENS1_20scan_config_selectorI11FixedVectorIiLj1EEEEZZNS1_9scan_implILNS1_25lookback_scan_determinismE0ELb0ELb0ES3_N6thrust23THRUST_200600_302600_NS6detail15normal_iteratorINSB_10device_ptrIS6_EEEESG_S6_NSB_4plusIvEES6_EEDaPvRmT3_T4_T5_mT6_P12ihipStream_tbENKUlT_T0_E_clISt17integral_constantIbLb0EESV_IbLb1EEEEDaSR_SS_EUlSR_E0_NS1_11comp_targetILNS1_3genE5ELNS1_11target_archE942ELNS1_3gpuE9ELNS1_3repE0EEENS1_30default_config_static_selectorELNS0_4arch9wavefront6targetE1EEEvT1_,comdat
	.protected	_ZN7rocprim17ROCPRIM_400000_NS6detail17trampoline_kernelINS0_14default_configENS1_20scan_config_selectorI11FixedVectorIiLj1EEEEZZNS1_9scan_implILNS1_25lookback_scan_determinismE0ELb0ELb0ES3_N6thrust23THRUST_200600_302600_NS6detail15normal_iteratorINSB_10device_ptrIS6_EEEESG_S6_NSB_4plusIvEES6_EEDaPvRmT3_T4_T5_mT6_P12ihipStream_tbENKUlT_T0_E_clISt17integral_constantIbLb0EESV_IbLb1EEEEDaSR_SS_EUlSR_E0_NS1_11comp_targetILNS1_3genE5ELNS1_11target_archE942ELNS1_3gpuE9ELNS1_3repE0EEENS1_30default_config_static_selectorELNS0_4arch9wavefront6targetE1EEEvT1_ ; -- Begin function _ZN7rocprim17ROCPRIM_400000_NS6detail17trampoline_kernelINS0_14default_configENS1_20scan_config_selectorI11FixedVectorIiLj1EEEEZZNS1_9scan_implILNS1_25lookback_scan_determinismE0ELb0ELb0ES3_N6thrust23THRUST_200600_302600_NS6detail15normal_iteratorINSB_10device_ptrIS6_EEEESG_S6_NSB_4plusIvEES6_EEDaPvRmT3_T4_T5_mT6_P12ihipStream_tbENKUlT_T0_E_clISt17integral_constantIbLb0EESV_IbLb1EEEEDaSR_SS_EUlSR_E0_NS1_11comp_targetILNS1_3genE5ELNS1_11target_archE942ELNS1_3gpuE9ELNS1_3repE0EEENS1_30default_config_static_selectorELNS0_4arch9wavefront6targetE1EEEvT1_
	.globl	_ZN7rocprim17ROCPRIM_400000_NS6detail17trampoline_kernelINS0_14default_configENS1_20scan_config_selectorI11FixedVectorIiLj1EEEEZZNS1_9scan_implILNS1_25lookback_scan_determinismE0ELb0ELb0ES3_N6thrust23THRUST_200600_302600_NS6detail15normal_iteratorINSB_10device_ptrIS6_EEEESG_S6_NSB_4plusIvEES6_EEDaPvRmT3_T4_T5_mT6_P12ihipStream_tbENKUlT_T0_E_clISt17integral_constantIbLb0EESV_IbLb1EEEEDaSR_SS_EUlSR_E0_NS1_11comp_targetILNS1_3genE5ELNS1_11target_archE942ELNS1_3gpuE9ELNS1_3repE0EEENS1_30default_config_static_selectorELNS0_4arch9wavefront6targetE1EEEvT1_
	.p2align	8
	.type	_ZN7rocprim17ROCPRIM_400000_NS6detail17trampoline_kernelINS0_14default_configENS1_20scan_config_selectorI11FixedVectorIiLj1EEEEZZNS1_9scan_implILNS1_25lookback_scan_determinismE0ELb0ELb0ES3_N6thrust23THRUST_200600_302600_NS6detail15normal_iteratorINSB_10device_ptrIS6_EEEESG_S6_NSB_4plusIvEES6_EEDaPvRmT3_T4_T5_mT6_P12ihipStream_tbENKUlT_T0_E_clISt17integral_constantIbLb0EESV_IbLb1EEEEDaSR_SS_EUlSR_E0_NS1_11comp_targetILNS1_3genE5ELNS1_11target_archE942ELNS1_3gpuE9ELNS1_3repE0EEENS1_30default_config_static_selectorELNS0_4arch9wavefront6targetE1EEEvT1_,@function
_ZN7rocprim17ROCPRIM_400000_NS6detail17trampoline_kernelINS0_14default_configENS1_20scan_config_selectorI11FixedVectorIiLj1EEEEZZNS1_9scan_implILNS1_25lookback_scan_determinismE0ELb0ELb0ES3_N6thrust23THRUST_200600_302600_NS6detail15normal_iteratorINSB_10device_ptrIS6_EEEESG_S6_NSB_4plusIvEES6_EEDaPvRmT3_T4_T5_mT6_P12ihipStream_tbENKUlT_T0_E_clISt17integral_constantIbLb0EESV_IbLb1EEEEDaSR_SS_EUlSR_E0_NS1_11comp_targetILNS1_3genE5ELNS1_11target_archE942ELNS1_3gpuE9ELNS1_3repE0EEENS1_30default_config_static_selectorELNS0_4arch9wavefront6targetE1EEEvT1_: ; @_ZN7rocprim17ROCPRIM_400000_NS6detail17trampoline_kernelINS0_14default_configENS1_20scan_config_selectorI11FixedVectorIiLj1EEEEZZNS1_9scan_implILNS1_25lookback_scan_determinismE0ELb0ELb0ES3_N6thrust23THRUST_200600_302600_NS6detail15normal_iteratorINSB_10device_ptrIS6_EEEESG_S6_NSB_4plusIvEES6_EEDaPvRmT3_T4_T5_mT6_P12ihipStream_tbENKUlT_T0_E_clISt17integral_constantIbLb0EESV_IbLb1EEEEDaSR_SS_EUlSR_E0_NS1_11comp_targetILNS1_3genE5ELNS1_11target_archE942ELNS1_3gpuE9ELNS1_3repE0EEENS1_30default_config_static_selectorELNS0_4arch9wavefront6targetE1EEEvT1_
; %bb.0:
	.section	.rodata,"a",@progbits
	.p2align	6, 0x0
	.amdhsa_kernel _ZN7rocprim17ROCPRIM_400000_NS6detail17trampoline_kernelINS0_14default_configENS1_20scan_config_selectorI11FixedVectorIiLj1EEEEZZNS1_9scan_implILNS1_25lookback_scan_determinismE0ELb0ELb0ES3_N6thrust23THRUST_200600_302600_NS6detail15normal_iteratorINSB_10device_ptrIS6_EEEESG_S6_NSB_4plusIvEES6_EEDaPvRmT3_T4_T5_mT6_P12ihipStream_tbENKUlT_T0_E_clISt17integral_constantIbLb0EESV_IbLb1EEEEDaSR_SS_EUlSR_E0_NS1_11comp_targetILNS1_3genE5ELNS1_11target_archE942ELNS1_3gpuE9ELNS1_3repE0EEENS1_30default_config_static_selectorELNS0_4arch9wavefront6targetE1EEEvT1_
		.amdhsa_group_segment_fixed_size 0
		.amdhsa_private_segment_fixed_size 0
		.amdhsa_kernarg_size 32
		.amdhsa_user_sgpr_count 6
		.amdhsa_user_sgpr_private_segment_buffer 1
		.amdhsa_user_sgpr_dispatch_ptr 0
		.amdhsa_user_sgpr_queue_ptr 0
		.amdhsa_user_sgpr_kernarg_segment_ptr 1
		.amdhsa_user_sgpr_dispatch_id 0
		.amdhsa_user_sgpr_flat_scratch_init 0
		.amdhsa_user_sgpr_kernarg_preload_length 0
		.amdhsa_user_sgpr_kernarg_preload_offset 0
		.amdhsa_user_sgpr_private_segment_size 0
		.amdhsa_uses_dynamic_stack 0
		.amdhsa_system_sgpr_private_segment_wavefront_offset 0
		.amdhsa_system_sgpr_workgroup_id_x 1
		.amdhsa_system_sgpr_workgroup_id_y 0
		.amdhsa_system_sgpr_workgroup_id_z 0
		.amdhsa_system_sgpr_workgroup_info 0
		.amdhsa_system_vgpr_workitem_id 0
		.amdhsa_next_free_vgpr 1
		.amdhsa_next_free_sgpr 0
		.amdhsa_accum_offset 4
		.amdhsa_reserve_vcc 0
		.amdhsa_reserve_flat_scratch 0
		.amdhsa_float_round_mode_32 0
		.amdhsa_float_round_mode_16_64 0
		.amdhsa_float_denorm_mode_32 3
		.amdhsa_float_denorm_mode_16_64 3
		.amdhsa_dx10_clamp 1
		.amdhsa_ieee_mode 1
		.amdhsa_fp16_overflow 0
		.amdhsa_tg_split 0
		.amdhsa_exception_fp_ieee_invalid_op 0
		.amdhsa_exception_fp_denorm_src 0
		.amdhsa_exception_fp_ieee_div_zero 0
		.amdhsa_exception_fp_ieee_overflow 0
		.amdhsa_exception_fp_ieee_underflow 0
		.amdhsa_exception_fp_ieee_inexact 0
		.amdhsa_exception_int_div_zero 0
	.end_amdhsa_kernel
	.section	.text._ZN7rocprim17ROCPRIM_400000_NS6detail17trampoline_kernelINS0_14default_configENS1_20scan_config_selectorI11FixedVectorIiLj1EEEEZZNS1_9scan_implILNS1_25lookback_scan_determinismE0ELb0ELb0ES3_N6thrust23THRUST_200600_302600_NS6detail15normal_iteratorINSB_10device_ptrIS6_EEEESG_S6_NSB_4plusIvEES6_EEDaPvRmT3_T4_T5_mT6_P12ihipStream_tbENKUlT_T0_E_clISt17integral_constantIbLb0EESV_IbLb1EEEEDaSR_SS_EUlSR_E0_NS1_11comp_targetILNS1_3genE5ELNS1_11target_archE942ELNS1_3gpuE9ELNS1_3repE0EEENS1_30default_config_static_selectorELNS0_4arch9wavefront6targetE1EEEvT1_,"axG",@progbits,_ZN7rocprim17ROCPRIM_400000_NS6detail17trampoline_kernelINS0_14default_configENS1_20scan_config_selectorI11FixedVectorIiLj1EEEEZZNS1_9scan_implILNS1_25lookback_scan_determinismE0ELb0ELb0ES3_N6thrust23THRUST_200600_302600_NS6detail15normal_iteratorINSB_10device_ptrIS6_EEEESG_S6_NSB_4plusIvEES6_EEDaPvRmT3_T4_T5_mT6_P12ihipStream_tbENKUlT_T0_E_clISt17integral_constantIbLb0EESV_IbLb1EEEEDaSR_SS_EUlSR_E0_NS1_11comp_targetILNS1_3genE5ELNS1_11target_archE942ELNS1_3gpuE9ELNS1_3repE0EEENS1_30default_config_static_selectorELNS0_4arch9wavefront6targetE1EEEvT1_,comdat
.Lfunc_end6454:
	.size	_ZN7rocprim17ROCPRIM_400000_NS6detail17trampoline_kernelINS0_14default_configENS1_20scan_config_selectorI11FixedVectorIiLj1EEEEZZNS1_9scan_implILNS1_25lookback_scan_determinismE0ELb0ELb0ES3_N6thrust23THRUST_200600_302600_NS6detail15normal_iteratorINSB_10device_ptrIS6_EEEESG_S6_NSB_4plusIvEES6_EEDaPvRmT3_T4_T5_mT6_P12ihipStream_tbENKUlT_T0_E_clISt17integral_constantIbLb0EESV_IbLb1EEEEDaSR_SS_EUlSR_E0_NS1_11comp_targetILNS1_3genE5ELNS1_11target_archE942ELNS1_3gpuE9ELNS1_3repE0EEENS1_30default_config_static_selectorELNS0_4arch9wavefront6targetE1EEEvT1_, .Lfunc_end6454-_ZN7rocprim17ROCPRIM_400000_NS6detail17trampoline_kernelINS0_14default_configENS1_20scan_config_selectorI11FixedVectorIiLj1EEEEZZNS1_9scan_implILNS1_25lookback_scan_determinismE0ELb0ELb0ES3_N6thrust23THRUST_200600_302600_NS6detail15normal_iteratorINSB_10device_ptrIS6_EEEESG_S6_NSB_4plusIvEES6_EEDaPvRmT3_T4_T5_mT6_P12ihipStream_tbENKUlT_T0_E_clISt17integral_constantIbLb0EESV_IbLb1EEEEDaSR_SS_EUlSR_E0_NS1_11comp_targetILNS1_3genE5ELNS1_11target_archE942ELNS1_3gpuE9ELNS1_3repE0EEENS1_30default_config_static_selectorELNS0_4arch9wavefront6targetE1EEEvT1_
                                        ; -- End function
	.section	.AMDGPU.csdata,"",@progbits
; Kernel info:
; codeLenInByte = 0
; NumSgprs: 4
; NumVgprs: 0
; NumAgprs: 0
; TotalNumVgprs: 0
; ScratchSize: 0
; MemoryBound: 0
; FloatMode: 240
; IeeeMode: 1
; LDSByteSize: 0 bytes/workgroup (compile time only)
; SGPRBlocks: 0
; VGPRBlocks: 0
; NumSGPRsForWavesPerEU: 4
; NumVGPRsForWavesPerEU: 1
; AccumOffset: 4
; Occupancy: 8
; WaveLimiterHint : 0
; COMPUTE_PGM_RSRC2:SCRATCH_EN: 0
; COMPUTE_PGM_RSRC2:USER_SGPR: 6
; COMPUTE_PGM_RSRC2:TRAP_HANDLER: 0
; COMPUTE_PGM_RSRC2:TGID_X_EN: 1
; COMPUTE_PGM_RSRC2:TGID_Y_EN: 0
; COMPUTE_PGM_RSRC2:TGID_Z_EN: 0
; COMPUTE_PGM_RSRC2:TIDIG_COMP_CNT: 0
; COMPUTE_PGM_RSRC3_GFX90A:ACCUM_OFFSET: 0
; COMPUTE_PGM_RSRC3_GFX90A:TG_SPLIT: 0
	.section	.text._ZN7rocprim17ROCPRIM_400000_NS6detail17trampoline_kernelINS0_14default_configENS1_20scan_config_selectorI11FixedVectorIiLj1EEEEZZNS1_9scan_implILNS1_25lookback_scan_determinismE0ELb0ELb0ES3_N6thrust23THRUST_200600_302600_NS6detail15normal_iteratorINSB_10device_ptrIS6_EEEESG_S6_NSB_4plusIvEES6_EEDaPvRmT3_T4_T5_mT6_P12ihipStream_tbENKUlT_T0_E_clISt17integral_constantIbLb0EESV_IbLb1EEEEDaSR_SS_EUlSR_E0_NS1_11comp_targetILNS1_3genE4ELNS1_11target_archE910ELNS1_3gpuE8ELNS1_3repE0EEENS1_30default_config_static_selectorELNS0_4arch9wavefront6targetE1EEEvT1_,"axG",@progbits,_ZN7rocprim17ROCPRIM_400000_NS6detail17trampoline_kernelINS0_14default_configENS1_20scan_config_selectorI11FixedVectorIiLj1EEEEZZNS1_9scan_implILNS1_25lookback_scan_determinismE0ELb0ELb0ES3_N6thrust23THRUST_200600_302600_NS6detail15normal_iteratorINSB_10device_ptrIS6_EEEESG_S6_NSB_4plusIvEES6_EEDaPvRmT3_T4_T5_mT6_P12ihipStream_tbENKUlT_T0_E_clISt17integral_constantIbLb0EESV_IbLb1EEEEDaSR_SS_EUlSR_E0_NS1_11comp_targetILNS1_3genE4ELNS1_11target_archE910ELNS1_3gpuE8ELNS1_3repE0EEENS1_30default_config_static_selectorELNS0_4arch9wavefront6targetE1EEEvT1_,comdat
	.protected	_ZN7rocprim17ROCPRIM_400000_NS6detail17trampoline_kernelINS0_14default_configENS1_20scan_config_selectorI11FixedVectorIiLj1EEEEZZNS1_9scan_implILNS1_25lookback_scan_determinismE0ELb0ELb0ES3_N6thrust23THRUST_200600_302600_NS6detail15normal_iteratorINSB_10device_ptrIS6_EEEESG_S6_NSB_4plusIvEES6_EEDaPvRmT3_T4_T5_mT6_P12ihipStream_tbENKUlT_T0_E_clISt17integral_constantIbLb0EESV_IbLb1EEEEDaSR_SS_EUlSR_E0_NS1_11comp_targetILNS1_3genE4ELNS1_11target_archE910ELNS1_3gpuE8ELNS1_3repE0EEENS1_30default_config_static_selectorELNS0_4arch9wavefront6targetE1EEEvT1_ ; -- Begin function _ZN7rocprim17ROCPRIM_400000_NS6detail17trampoline_kernelINS0_14default_configENS1_20scan_config_selectorI11FixedVectorIiLj1EEEEZZNS1_9scan_implILNS1_25lookback_scan_determinismE0ELb0ELb0ES3_N6thrust23THRUST_200600_302600_NS6detail15normal_iteratorINSB_10device_ptrIS6_EEEESG_S6_NSB_4plusIvEES6_EEDaPvRmT3_T4_T5_mT6_P12ihipStream_tbENKUlT_T0_E_clISt17integral_constantIbLb0EESV_IbLb1EEEEDaSR_SS_EUlSR_E0_NS1_11comp_targetILNS1_3genE4ELNS1_11target_archE910ELNS1_3gpuE8ELNS1_3repE0EEENS1_30default_config_static_selectorELNS0_4arch9wavefront6targetE1EEEvT1_
	.globl	_ZN7rocprim17ROCPRIM_400000_NS6detail17trampoline_kernelINS0_14default_configENS1_20scan_config_selectorI11FixedVectorIiLj1EEEEZZNS1_9scan_implILNS1_25lookback_scan_determinismE0ELb0ELb0ES3_N6thrust23THRUST_200600_302600_NS6detail15normal_iteratorINSB_10device_ptrIS6_EEEESG_S6_NSB_4plusIvEES6_EEDaPvRmT3_T4_T5_mT6_P12ihipStream_tbENKUlT_T0_E_clISt17integral_constantIbLb0EESV_IbLb1EEEEDaSR_SS_EUlSR_E0_NS1_11comp_targetILNS1_3genE4ELNS1_11target_archE910ELNS1_3gpuE8ELNS1_3repE0EEENS1_30default_config_static_selectorELNS0_4arch9wavefront6targetE1EEEvT1_
	.p2align	8
	.type	_ZN7rocprim17ROCPRIM_400000_NS6detail17trampoline_kernelINS0_14default_configENS1_20scan_config_selectorI11FixedVectorIiLj1EEEEZZNS1_9scan_implILNS1_25lookback_scan_determinismE0ELb0ELb0ES3_N6thrust23THRUST_200600_302600_NS6detail15normal_iteratorINSB_10device_ptrIS6_EEEESG_S6_NSB_4plusIvEES6_EEDaPvRmT3_T4_T5_mT6_P12ihipStream_tbENKUlT_T0_E_clISt17integral_constantIbLb0EESV_IbLb1EEEEDaSR_SS_EUlSR_E0_NS1_11comp_targetILNS1_3genE4ELNS1_11target_archE910ELNS1_3gpuE8ELNS1_3repE0EEENS1_30default_config_static_selectorELNS0_4arch9wavefront6targetE1EEEvT1_,@function
_ZN7rocprim17ROCPRIM_400000_NS6detail17trampoline_kernelINS0_14default_configENS1_20scan_config_selectorI11FixedVectorIiLj1EEEEZZNS1_9scan_implILNS1_25lookback_scan_determinismE0ELb0ELb0ES3_N6thrust23THRUST_200600_302600_NS6detail15normal_iteratorINSB_10device_ptrIS6_EEEESG_S6_NSB_4plusIvEES6_EEDaPvRmT3_T4_T5_mT6_P12ihipStream_tbENKUlT_T0_E_clISt17integral_constantIbLb0EESV_IbLb1EEEEDaSR_SS_EUlSR_E0_NS1_11comp_targetILNS1_3genE4ELNS1_11target_archE910ELNS1_3gpuE8ELNS1_3repE0EEENS1_30default_config_static_selectorELNS0_4arch9wavefront6targetE1EEEvT1_: ; @_ZN7rocprim17ROCPRIM_400000_NS6detail17trampoline_kernelINS0_14default_configENS1_20scan_config_selectorI11FixedVectorIiLj1EEEEZZNS1_9scan_implILNS1_25lookback_scan_determinismE0ELb0ELb0ES3_N6thrust23THRUST_200600_302600_NS6detail15normal_iteratorINSB_10device_ptrIS6_EEEESG_S6_NSB_4plusIvEES6_EEDaPvRmT3_T4_T5_mT6_P12ihipStream_tbENKUlT_T0_E_clISt17integral_constantIbLb0EESV_IbLb1EEEEDaSR_SS_EUlSR_E0_NS1_11comp_targetILNS1_3genE4ELNS1_11target_archE910ELNS1_3gpuE8ELNS1_3repE0EEENS1_30default_config_static_selectorELNS0_4arch9wavefront6targetE1EEEvT1_
; %bb.0:
	s_load_dwordx4 s[20:23], s[4:5], 0x0
	v_lshlrev_b32_e32 v20, 2, v0
	s_waitcnt lgkmcnt(0)
	s_load_dword s23, s[20:21], 0x0
	v_cmp_gt_u32_e32 vcc, s22, v0
	s_waitcnt lgkmcnt(0)
	v_mov_b32_e32 v1, s23
	s_and_saveexec_b64 s[0:1], vcc
	s_cbranch_execz .LBB6455_2
; %bb.1:
	global_load_dword v1, v20, s[20:21]
.LBB6455_2:
	s_or_b64 exec, exec, s[0:1]
	v_or_b32_e32 v2, 0x80, v0
	v_cmp_gt_u32_e64 s[0:1], s22, v2
	v_mov_b32_e32 v2, s23
	s_and_saveexec_b64 s[2:3], s[0:1]
	s_cbranch_execz .LBB6455_4
; %bb.3:
	global_load_dword v2, v20, s[20:21] offset:512
.LBB6455_4:
	s_or_b64 exec, exec, s[2:3]
	v_or_b32_e32 v3, 0x100, v0
	v_cmp_gt_u32_e64 s[2:3], s22, v3
	v_mov_b32_e32 v3, s23
	s_and_saveexec_b64 s[6:7], s[2:3]
	s_cbranch_execz .LBB6455_6
; %bb.5:
	global_load_dword v3, v20, s[20:21] offset:1024
.LBB6455_6:
	;; [unrolled: 9-line block ×7, first 2 shown]
	s_or_b64 exec, exec, s[14:15]
	v_or_b32_e32 v10, 0x400, v0
	v_cmp_gt_u32_e64 s[14:15], s22, v10
	v_mov_b32_e32 v9, s23
	s_and_saveexec_b64 s[16:17], s[14:15]
	s_cbranch_execz .LBB6455_18
; %bb.17:
	v_lshlrev_b32_e32 v9, 2, v10
	global_load_dword v9, v9, s[20:21]
.LBB6455_18:
	s_or_b64 exec, exec, s[16:17]
	v_or_b32_e32 v11, 0x480, v0
	v_cmp_gt_u32_e64 s[16:17], s22, v11
	v_mov_b32_e32 v10, s23
	s_and_saveexec_b64 s[22:23], s[16:17]
	s_cbranch_execz .LBB6455_20
; %bb.19:
	v_lshlrev_b32_e32 v10, 2, v11
	global_load_dword v10, v10, s[20:21]
.LBB6455_20:
	s_or_b64 exec, exec, s[22:23]
	s_waitcnt vmcnt(0)
	ds_write2st64_b32 v20, v1, v2 offset1:2
	ds_write2st64_b32 v20, v3, v4 offset0:4 offset1:6
	ds_write2st64_b32 v20, v5, v6 offset0:8 offset1:10
	;; [unrolled: 1-line block ×4, first 2 shown]
	v_mad_u32_u24 v1, v0, 36, v20
	s_waitcnt lgkmcnt(0)
	s_barrier
	ds_read2_b64 v[6:9], v1 offset1:1
	ds_read2_b64 v[2:5], v1 offset0:2 offset1:3
	ds_read_b64 v[18:19], v1 offset:32
	v_lshrrev_b32_e32 v21, 3, v0
	v_and_b32_e32 v21, 12, v21
	s_waitcnt lgkmcnt(2)
	v_add_u32_e32 v1, v7, v6
	v_add_u32_e32 v14, v1, v8
	;; [unrolled: 1-line block ×3, first 2 shown]
	s_waitcnt lgkmcnt(1)
	v_add_u32_e32 v10, v15, v2
	v_add_u32_e32 v11, v10, v3
	;; [unrolled: 1-line block ×4, first 2 shown]
	s_waitcnt lgkmcnt(0)
	v_add_u32_e32 v16, v13, v18
	v_add_u32_e32 v17, v16, v19
	;; [unrolled: 1-line block ×3, first 2 shown]
	v_cmp_gt_u32_e64 s[20:21], 64, v0
	s_barrier
	ds_write_b32 v21, v17
	s_waitcnt lgkmcnt(0)
	s_barrier
	s_and_saveexec_b64 s[22:23], s[20:21]
	s_cbranch_execz .LBB6455_22
; %bb.21:
	v_lshlrev_b32_e32 v21, 1, v0
	v_lshrrev_b32_e32 v22, 4, v0
	v_add_lshl_u32 v21, v22, v21, 2
	ds_read2_b32 v[22:23], v21 offset1:1
	v_mbcnt_lo_u32_b32 v24, -1, 0
	v_mbcnt_hi_u32_b32 v24, -1, v24
	v_and_b32_e32 v25, 15, v24
	v_cmp_ne_u32_e64 s[20:21], 0, v25
	s_waitcnt lgkmcnt(0)
	v_add_u32_e32 v23, v23, v22
	; wave barrier
	s_nop 1
	v_mov_b32_dpp v26, v23 row_shr:1 row_mask:0xf bank_mask:0xf
	v_cndmask_b32_e64 v26, 0, v26, s[20:21]
	v_add_u32_e32 v23, v26, v23
	v_cmp_lt_u32_e64 s[20:21], 1, v25
	s_nop 0
	v_mov_b32_dpp v26, v23 row_shr:2 row_mask:0xf bank_mask:0xf
	v_cndmask_b32_e64 v26, 0, v26, s[20:21]
	v_add_u32_e32 v23, v23, v26
	v_cmp_lt_u32_e64 s[20:21], 3, v25
	;; [unrolled: 5-line block ×3, first 2 shown]
	s_nop 0
	v_mov_b32_dpp v26, v23 row_shr:8 row_mask:0xf bank_mask:0xf
	v_cndmask_b32_e64 v25, 0, v26, s[20:21]
	v_add_u32_e32 v23, v23, v25
	v_bfe_i32 v26, v24, 4, 1
	v_cmp_lt_u32_e64 s[20:21], 31, v24
	v_mov_b32_dpp v25, v23 row_bcast:15 row_mask:0xf bank_mask:0xf
	v_and_b32_e32 v25, v26, v25
	v_add_u32_e32 v23, v23, v25
	v_and_b32_e32 v26, 64, v24
	s_nop 0
	v_mov_b32_dpp v25, v23 row_bcast:31 row_mask:0xf bank_mask:0xf
	v_cndmask_b32_e64 v25, 0, v25, s[20:21]
	v_add_u32_e32 v23, v23, v25
	v_add_u32_e32 v25, -1, v24
	v_cmp_lt_i32_e64 s[20:21], v25, v26
	v_cndmask_b32_e64 v24, v25, v24, s[20:21]
	v_lshlrev_b32_e32 v24, 2, v24
	ds_bpermute_b32 v23, v24, v23
	v_cmp_eq_u32_e64 s[20:21], 0, v0
	s_waitcnt lgkmcnt(0)
	v_add_u32_e32 v22, v23, v22
	v_cndmask_b32_e64 v22, v22, v17, s[20:21]
	ds_write_b32 v21, v22
	; wave barrier
	ds_read_b32 v23, v21 offset:4
	s_waitcnt lgkmcnt(0)
	v_add_u32_e32 v22, v23, v22
	ds_write_b32 v21, v22 offset:4
.LBB6455_22:
	s_or_b64 exec, exec, s[22:23]
	s_load_dwordx2 s[20:21], s[4:5], 0x18
	v_cmp_ne_u32_e64 s[4:5], 0, v0
	v_mov_b32_e32 v22, v17
	s_waitcnt lgkmcnt(0)
	s_barrier
	s_and_saveexec_b64 s[22:23], s[4:5]
	s_cbranch_execz .LBB6455_24
; %bb.23:
	v_add_u32_e32 v21, -1, v0
	v_lshrrev_b32_e32 v22, 5, v21
	v_add_lshl_u32 v21, v22, v21, 2
	ds_read_b32 v22, v21
.LBB6455_24:
	s_or_b64 exec, exec, s[22:23]
	v_mul_u32_u24_e32 v21, 36, v0
	v_mov_b32_e32 v0, v6
	s_and_saveexec_b64 s[22:23], s[4:5]
	s_cbranch_execz .LBB6455_26
; %bb.25:
	s_waitcnt lgkmcnt(0)
	v_add_u32_e32 v0, v22, v6
	v_add_u32_e32 v1, v0, v7
	;; [unrolled: 1-line block ×10, first 2 shown]
	;;#ASMSTART
	;;#ASMEND
.LBB6455_26:
	s_or_b64 exec, exec, s[22:23]
	v_add_u32_e32 v2, v20, v21
	s_waitcnt lgkmcnt(0)
	s_barrier
	ds_write2_b64 v2, v[0:1], v[14:15] offset1:1
	ds_write2_b64 v2, v[10:11], v[12:13] offset0:2 offset1:3
	ds_write_b64 v2, v[16:17] offset:32
	s_waitcnt lgkmcnt(0)
	s_barrier
	ds_read2st64_b32 v[8:9], v20 offset0:2 offset1:4
	ds_read2st64_b32 v[6:7], v20 offset0:6 offset1:8
	;; [unrolled: 1-line block ×4, first 2 shown]
	ds_read_b32 v10, v20 offset:4608
	v_mov_b32_e32 v1, s21
	v_add_co_u32_e64 v0, s[4:5], s20, v20
	v_addc_co_u32_e64 v1, s[4:5], 0, v1, s[4:5]
	s_and_saveexec_b64 s[4:5], vcc
	s_cbranch_execnz .LBB6455_37
; %bb.27:
	s_or_b64 exec, exec, s[4:5]
	s_and_saveexec_b64 s[4:5], s[0:1]
	s_cbranch_execnz .LBB6455_38
.LBB6455_28:
	s_or_b64 exec, exec, s[4:5]
	s_and_saveexec_b64 s[0:1], s[2:3]
	s_cbranch_execnz .LBB6455_39
.LBB6455_29:
	s_or_b64 exec, exec, s[0:1]
	s_and_saveexec_b64 s[0:1], s[18:19]
	s_cbranch_execnz .LBB6455_40
.LBB6455_30:
	s_or_b64 exec, exec, s[0:1]
	s_and_saveexec_b64 s[0:1], s[6:7]
	s_cbranch_execnz .LBB6455_41
.LBB6455_31:
	s_or_b64 exec, exec, s[0:1]
	s_and_saveexec_b64 s[0:1], s[8:9]
	s_cbranch_execnz .LBB6455_42
.LBB6455_32:
	s_or_b64 exec, exec, s[0:1]
	s_and_saveexec_b64 s[0:1], s[10:11]
	s_cbranch_execnz .LBB6455_43
.LBB6455_33:
	s_or_b64 exec, exec, s[0:1]
	s_and_saveexec_b64 s[0:1], s[12:13]
	s_cbranch_execnz .LBB6455_44
.LBB6455_34:
	s_or_b64 exec, exec, s[0:1]
	s_and_saveexec_b64 s[0:1], s[14:15]
	s_cbranch_execnz .LBB6455_45
.LBB6455_35:
	s_or_b64 exec, exec, s[0:1]
	s_and_saveexec_b64 s[0:1], s[16:17]
	s_cbranch_execnz .LBB6455_46
.LBB6455_36:
	s_endpgm
.LBB6455_37:
	ds_read_b32 v11, v20
	s_waitcnt lgkmcnt(0)
	global_store_dword v[0:1], v11, off
	s_or_b64 exec, exec, s[4:5]
	s_and_saveexec_b64 s[4:5], s[0:1]
	s_cbranch_execz .LBB6455_28
.LBB6455_38:
	s_waitcnt lgkmcnt(4)
	global_store_dword v[0:1], v8, off offset:512
	s_or_b64 exec, exec, s[4:5]
	s_and_saveexec_b64 s[0:1], s[2:3]
	s_cbranch_execz .LBB6455_29
.LBB6455_39:
	s_waitcnt lgkmcnt(4)
	global_store_dword v[0:1], v9, off offset:1024
	s_or_b64 exec, exec, s[0:1]
	s_and_saveexec_b64 s[0:1], s[18:19]
	s_cbranch_execz .LBB6455_30
.LBB6455_40:
	s_waitcnt lgkmcnt(3)
	global_store_dword v[0:1], v6, off offset:1536
	s_or_b64 exec, exec, s[0:1]
	s_and_saveexec_b64 s[0:1], s[6:7]
	s_cbranch_execz .LBB6455_31
.LBB6455_41:
	s_waitcnt lgkmcnt(3)
	global_store_dword v[0:1], v7, off offset:2048
	s_or_b64 exec, exec, s[0:1]
	s_and_saveexec_b64 s[0:1], s[8:9]
	s_cbranch_execz .LBB6455_32
.LBB6455_42:
	s_waitcnt lgkmcnt(2)
	global_store_dword v[0:1], v4, off offset:2560
	s_or_b64 exec, exec, s[0:1]
	s_and_saveexec_b64 s[0:1], s[10:11]
	s_cbranch_execz .LBB6455_33
.LBB6455_43:
	s_waitcnt lgkmcnt(2)
	global_store_dword v[0:1], v5, off offset:3072
	s_or_b64 exec, exec, s[0:1]
	s_and_saveexec_b64 s[0:1], s[12:13]
	s_cbranch_execz .LBB6455_34
.LBB6455_44:
	s_waitcnt lgkmcnt(1)
	global_store_dword v[0:1], v2, off offset:3584
	s_or_b64 exec, exec, s[0:1]
	s_and_saveexec_b64 s[0:1], s[14:15]
	s_cbranch_execz .LBB6455_35
.LBB6455_45:
	s_waitcnt lgkmcnt(2)
	v_add_co_u32_e32 v4, vcc, 0x1000, v0
	v_addc_co_u32_e32 v5, vcc, 0, v1, vcc
	s_waitcnt lgkmcnt(1)
	global_store_dword v[4:5], v3, off
	s_or_b64 exec, exec, s[0:1]
	s_and_saveexec_b64 s[0:1], s[16:17]
	s_cbranch_execz .LBB6455_36
.LBB6455_46:
	v_add_co_u32_e32 v0, vcc, 0x1000, v0
	v_addc_co_u32_e32 v1, vcc, 0, v1, vcc
	s_waitcnt lgkmcnt(0)
	global_store_dword v[0:1], v10, off offset:512
	s_endpgm
	.section	.rodata,"a",@progbits
	.p2align	6, 0x0
	.amdhsa_kernel _ZN7rocprim17ROCPRIM_400000_NS6detail17trampoline_kernelINS0_14default_configENS1_20scan_config_selectorI11FixedVectorIiLj1EEEEZZNS1_9scan_implILNS1_25lookback_scan_determinismE0ELb0ELb0ES3_N6thrust23THRUST_200600_302600_NS6detail15normal_iteratorINSB_10device_ptrIS6_EEEESG_S6_NSB_4plusIvEES6_EEDaPvRmT3_T4_T5_mT6_P12ihipStream_tbENKUlT_T0_E_clISt17integral_constantIbLb0EESV_IbLb1EEEEDaSR_SS_EUlSR_E0_NS1_11comp_targetILNS1_3genE4ELNS1_11target_archE910ELNS1_3gpuE8ELNS1_3repE0EEENS1_30default_config_static_selectorELNS0_4arch9wavefront6targetE1EEEvT1_
		.amdhsa_group_segment_fixed_size 5120
		.amdhsa_private_segment_fixed_size 0
		.amdhsa_kernarg_size 32
		.amdhsa_user_sgpr_count 6
		.amdhsa_user_sgpr_private_segment_buffer 1
		.amdhsa_user_sgpr_dispatch_ptr 0
		.amdhsa_user_sgpr_queue_ptr 0
		.amdhsa_user_sgpr_kernarg_segment_ptr 1
		.amdhsa_user_sgpr_dispatch_id 0
		.amdhsa_user_sgpr_flat_scratch_init 0
		.amdhsa_user_sgpr_kernarg_preload_length 0
		.amdhsa_user_sgpr_kernarg_preload_offset 0
		.amdhsa_user_sgpr_private_segment_size 0
		.amdhsa_uses_dynamic_stack 0
		.amdhsa_system_sgpr_private_segment_wavefront_offset 0
		.amdhsa_system_sgpr_workgroup_id_x 1
		.amdhsa_system_sgpr_workgroup_id_y 0
		.amdhsa_system_sgpr_workgroup_id_z 0
		.amdhsa_system_sgpr_workgroup_info 0
		.amdhsa_system_vgpr_workitem_id 0
		.amdhsa_next_free_vgpr 27
		.amdhsa_next_free_sgpr 24
		.amdhsa_accum_offset 28
		.amdhsa_reserve_vcc 1
		.amdhsa_reserve_flat_scratch 0
		.amdhsa_float_round_mode_32 0
		.amdhsa_float_round_mode_16_64 0
		.amdhsa_float_denorm_mode_32 3
		.amdhsa_float_denorm_mode_16_64 3
		.amdhsa_dx10_clamp 1
		.amdhsa_ieee_mode 1
		.amdhsa_fp16_overflow 0
		.amdhsa_tg_split 0
		.amdhsa_exception_fp_ieee_invalid_op 0
		.amdhsa_exception_fp_denorm_src 0
		.amdhsa_exception_fp_ieee_div_zero 0
		.amdhsa_exception_fp_ieee_overflow 0
		.amdhsa_exception_fp_ieee_underflow 0
		.amdhsa_exception_fp_ieee_inexact 0
		.amdhsa_exception_int_div_zero 0
	.end_amdhsa_kernel
	.section	.text._ZN7rocprim17ROCPRIM_400000_NS6detail17trampoline_kernelINS0_14default_configENS1_20scan_config_selectorI11FixedVectorIiLj1EEEEZZNS1_9scan_implILNS1_25lookback_scan_determinismE0ELb0ELb0ES3_N6thrust23THRUST_200600_302600_NS6detail15normal_iteratorINSB_10device_ptrIS6_EEEESG_S6_NSB_4plusIvEES6_EEDaPvRmT3_T4_T5_mT6_P12ihipStream_tbENKUlT_T0_E_clISt17integral_constantIbLb0EESV_IbLb1EEEEDaSR_SS_EUlSR_E0_NS1_11comp_targetILNS1_3genE4ELNS1_11target_archE910ELNS1_3gpuE8ELNS1_3repE0EEENS1_30default_config_static_selectorELNS0_4arch9wavefront6targetE1EEEvT1_,"axG",@progbits,_ZN7rocprim17ROCPRIM_400000_NS6detail17trampoline_kernelINS0_14default_configENS1_20scan_config_selectorI11FixedVectorIiLj1EEEEZZNS1_9scan_implILNS1_25lookback_scan_determinismE0ELb0ELb0ES3_N6thrust23THRUST_200600_302600_NS6detail15normal_iteratorINSB_10device_ptrIS6_EEEESG_S6_NSB_4plusIvEES6_EEDaPvRmT3_T4_T5_mT6_P12ihipStream_tbENKUlT_T0_E_clISt17integral_constantIbLb0EESV_IbLb1EEEEDaSR_SS_EUlSR_E0_NS1_11comp_targetILNS1_3genE4ELNS1_11target_archE910ELNS1_3gpuE8ELNS1_3repE0EEENS1_30default_config_static_selectorELNS0_4arch9wavefront6targetE1EEEvT1_,comdat
.Lfunc_end6455:
	.size	_ZN7rocprim17ROCPRIM_400000_NS6detail17trampoline_kernelINS0_14default_configENS1_20scan_config_selectorI11FixedVectorIiLj1EEEEZZNS1_9scan_implILNS1_25lookback_scan_determinismE0ELb0ELb0ES3_N6thrust23THRUST_200600_302600_NS6detail15normal_iteratorINSB_10device_ptrIS6_EEEESG_S6_NSB_4plusIvEES6_EEDaPvRmT3_T4_T5_mT6_P12ihipStream_tbENKUlT_T0_E_clISt17integral_constantIbLb0EESV_IbLb1EEEEDaSR_SS_EUlSR_E0_NS1_11comp_targetILNS1_3genE4ELNS1_11target_archE910ELNS1_3gpuE8ELNS1_3repE0EEENS1_30default_config_static_selectorELNS0_4arch9wavefront6targetE1EEEvT1_, .Lfunc_end6455-_ZN7rocprim17ROCPRIM_400000_NS6detail17trampoline_kernelINS0_14default_configENS1_20scan_config_selectorI11FixedVectorIiLj1EEEEZZNS1_9scan_implILNS1_25lookback_scan_determinismE0ELb0ELb0ES3_N6thrust23THRUST_200600_302600_NS6detail15normal_iteratorINSB_10device_ptrIS6_EEEESG_S6_NSB_4plusIvEES6_EEDaPvRmT3_T4_T5_mT6_P12ihipStream_tbENKUlT_T0_E_clISt17integral_constantIbLb0EESV_IbLb1EEEEDaSR_SS_EUlSR_E0_NS1_11comp_targetILNS1_3genE4ELNS1_11target_archE910ELNS1_3gpuE8ELNS1_3repE0EEENS1_30default_config_static_selectorELNS0_4arch9wavefront6targetE1EEEvT1_
                                        ; -- End function
	.section	.AMDGPU.csdata,"",@progbits
; Kernel info:
; codeLenInByte = 1556
; NumSgprs: 28
; NumVgprs: 27
; NumAgprs: 0
; TotalNumVgprs: 27
; ScratchSize: 0
; MemoryBound: 0
; FloatMode: 240
; IeeeMode: 1
; LDSByteSize: 5120 bytes/workgroup (compile time only)
; SGPRBlocks: 3
; VGPRBlocks: 3
; NumSGPRsForWavesPerEU: 28
; NumVGPRsForWavesPerEU: 27
; AccumOffset: 28
; Occupancy: 6
; WaveLimiterHint : 0
; COMPUTE_PGM_RSRC2:SCRATCH_EN: 0
; COMPUTE_PGM_RSRC2:USER_SGPR: 6
; COMPUTE_PGM_RSRC2:TRAP_HANDLER: 0
; COMPUTE_PGM_RSRC2:TGID_X_EN: 1
; COMPUTE_PGM_RSRC2:TGID_Y_EN: 0
; COMPUTE_PGM_RSRC2:TGID_Z_EN: 0
; COMPUTE_PGM_RSRC2:TIDIG_COMP_CNT: 0
; COMPUTE_PGM_RSRC3_GFX90A:ACCUM_OFFSET: 6
; COMPUTE_PGM_RSRC3_GFX90A:TG_SPLIT: 0
	.section	.text._ZN7rocprim17ROCPRIM_400000_NS6detail17trampoline_kernelINS0_14default_configENS1_20scan_config_selectorI11FixedVectorIiLj1EEEEZZNS1_9scan_implILNS1_25lookback_scan_determinismE0ELb0ELb0ES3_N6thrust23THRUST_200600_302600_NS6detail15normal_iteratorINSB_10device_ptrIS6_EEEESG_S6_NSB_4plusIvEES6_EEDaPvRmT3_T4_T5_mT6_P12ihipStream_tbENKUlT_T0_E_clISt17integral_constantIbLb0EESV_IbLb1EEEEDaSR_SS_EUlSR_E0_NS1_11comp_targetILNS1_3genE3ELNS1_11target_archE908ELNS1_3gpuE7ELNS1_3repE0EEENS1_30default_config_static_selectorELNS0_4arch9wavefront6targetE1EEEvT1_,"axG",@progbits,_ZN7rocprim17ROCPRIM_400000_NS6detail17trampoline_kernelINS0_14default_configENS1_20scan_config_selectorI11FixedVectorIiLj1EEEEZZNS1_9scan_implILNS1_25lookback_scan_determinismE0ELb0ELb0ES3_N6thrust23THRUST_200600_302600_NS6detail15normal_iteratorINSB_10device_ptrIS6_EEEESG_S6_NSB_4plusIvEES6_EEDaPvRmT3_T4_T5_mT6_P12ihipStream_tbENKUlT_T0_E_clISt17integral_constantIbLb0EESV_IbLb1EEEEDaSR_SS_EUlSR_E0_NS1_11comp_targetILNS1_3genE3ELNS1_11target_archE908ELNS1_3gpuE7ELNS1_3repE0EEENS1_30default_config_static_selectorELNS0_4arch9wavefront6targetE1EEEvT1_,comdat
	.protected	_ZN7rocprim17ROCPRIM_400000_NS6detail17trampoline_kernelINS0_14default_configENS1_20scan_config_selectorI11FixedVectorIiLj1EEEEZZNS1_9scan_implILNS1_25lookback_scan_determinismE0ELb0ELb0ES3_N6thrust23THRUST_200600_302600_NS6detail15normal_iteratorINSB_10device_ptrIS6_EEEESG_S6_NSB_4plusIvEES6_EEDaPvRmT3_T4_T5_mT6_P12ihipStream_tbENKUlT_T0_E_clISt17integral_constantIbLb0EESV_IbLb1EEEEDaSR_SS_EUlSR_E0_NS1_11comp_targetILNS1_3genE3ELNS1_11target_archE908ELNS1_3gpuE7ELNS1_3repE0EEENS1_30default_config_static_selectorELNS0_4arch9wavefront6targetE1EEEvT1_ ; -- Begin function _ZN7rocprim17ROCPRIM_400000_NS6detail17trampoline_kernelINS0_14default_configENS1_20scan_config_selectorI11FixedVectorIiLj1EEEEZZNS1_9scan_implILNS1_25lookback_scan_determinismE0ELb0ELb0ES3_N6thrust23THRUST_200600_302600_NS6detail15normal_iteratorINSB_10device_ptrIS6_EEEESG_S6_NSB_4plusIvEES6_EEDaPvRmT3_T4_T5_mT6_P12ihipStream_tbENKUlT_T0_E_clISt17integral_constantIbLb0EESV_IbLb1EEEEDaSR_SS_EUlSR_E0_NS1_11comp_targetILNS1_3genE3ELNS1_11target_archE908ELNS1_3gpuE7ELNS1_3repE0EEENS1_30default_config_static_selectorELNS0_4arch9wavefront6targetE1EEEvT1_
	.globl	_ZN7rocprim17ROCPRIM_400000_NS6detail17trampoline_kernelINS0_14default_configENS1_20scan_config_selectorI11FixedVectorIiLj1EEEEZZNS1_9scan_implILNS1_25lookback_scan_determinismE0ELb0ELb0ES3_N6thrust23THRUST_200600_302600_NS6detail15normal_iteratorINSB_10device_ptrIS6_EEEESG_S6_NSB_4plusIvEES6_EEDaPvRmT3_T4_T5_mT6_P12ihipStream_tbENKUlT_T0_E_clISt17integral_constantIbLb0EESV_IbLb1EEEEDaSR_SS_EUlSR_E0_NS1_11comp_targetILNS1_3genE3ELNS1_11target_archE908ELNS1_3gpuE7ELNS1_3repE0EEENS1_30default_config_static_selectorELNS0_4arch9wavefront6targetE1EEEvT1_
	.p2align	8
	.type	_ZN7rocprim17ROCPRIM_400000_NS6detail17trampoline_kernelINS0_14default_configENS1_20scan_config_selectorI11FixedVectorIiLj1EEEEZZNS1_9scan_implILNS1_25lookback_scan_determinismE0ELb0ELb0ES3_N6thrust23THRUST_200600_302600_NS6detail15normal_iteratorINSB_10device_ptrIS6_EEEESG_S6_NSB_4plusIvEES6_EEDaPvRmT3_T4_T5_mT6_P12ihipStream_tbENKUlT_T0_E_clISt17integral_constantIbLb0EESV_IbLb1EEEEDaSR_SS_EUlSR_E0_NS1_11comp_targetILNS1_3genE3ELNS1_11target_archE908ELNS1_3gpuE7ELNS1_3repE0EEENS1_30default_config_static_selectorELNS0_4arch9wavefront6targetE1EEEvT1_,@function
_ZN7rocprim17ROCPRIM_400000_NS6detail17trampoline_kernelINS0_14default_configENS1_20scan_config_selectorI11FixedVectorIiLj1EEEEZZNS1_9scan_implILNS1_25lookback_scan_determinismE0ELb0ELb0ES3_N6thrust23THRUST_200600_302600_NS6detail15normal_iteratorINSB_10device_ptrIS6_EEEESG_S6_NSB_4plusIvEES6_EEDaPvRmT3_T4_T5_mT6_P12ihipStream_tbENKUlT_T0_E_clISt17integral_constantIbLb0EESV_IbLb1EEEEDaSR_SS_EUlSR_E0_NS1_11comp_targetILNS1_3genE3ELNS1_11target_archE908ELNS1_3gpuE7ELNS1_3repE0EEENS1_30default_config_static_selectorELNS0_4arch9wavefront6targetE1EEEvT1_: ; @_ZN7rocprim17ROCPRIM_400000_NS6detail17trampoline_kernelINS0_14default_configENS1_20scan_config_selectorI11FixedVectorIiLj1EEEEZZNS1_9scan_implILNS1_25lookback_scan_determinismE0ELb0ELb0ES3_N6thrust23THRUST_200600_302600_NS6detail15normal_iteratorINSB_10device_ptrIS6_EEEESG_S6_NSB_4plusIvEES6_EEDaPvRmT3_T4_T5_mT6_P12ihipStream_tbENKUlT_T0_E_clISt17integral_constantIbLb0EESV_IbLb1EEEEDaSR_SS_EUlSR_E0_NS1_11comp_targetILNS1_3genE3ELNS1_11target_archE908ELNS1_3gpuE7ELNS1_3repE0EEENS1_30default_config_static_selectorELNS0_4arch9wavefront6targetE1EEEvT1_
; %bb.0:
	.section	.rodata,"a",@progbits
	.p2align	6, 0x0
	.amdhsa_kernel _ZN7rocprim17ROCPRIM_400000_NS6detail17trampoline_kernelINS0_14default_configENS1_20scan_config_selectorI11FixedVectorIiLj1EEEEZZNS1_9scan_implILNS1_25lookback_scan_determinismE0ELb0ELb0ES3_N6thrust23THRUST_200600_302600_NS6detail15normal_iteratorINSB_10device_ptrIS6_EEEESG_S6_NSB_4plusIvEES6_EEDaPvRmT3_T4_T5_mT6_P12ihipStream_tbENKUlT_T0_E_clISt17integral_constantIbLb0EESV_IbLb1EEEEDaSR_SS_EUlSR_E0_NS1_11comp_targetILNS1_3genE3ELNS1_11target_archE908ELNS1_3gpuE7ELNS1_3repE0EEENS1_30default_config_static_selectorELNS0_4arch9wavefront6targetE1EEEvT1_
		.amdhsa_group_segment_fixed_size 0
		.amdhsa_private_segment_fixed_size 0
		.amdhsa_kernarg_size 32
		.amdhsa_user_sgpr_count 6
		.amdhsa_user_sgpr_private_segment_buffer 1
		.amdhsa_user_sgpr_dispatch_ptr 0
		.amdhsa_user_sgpr_queue_ptr 0
		.amdhsa_user_sgpr_kernarg_segment_ptr 1
		.amdhsa_user_sgpr_dispatch_id 0
		.amdhsa_user_sgpr_flat_scratch_init 0
		.amdhsa_user_sgpr_kernarg_preload_length 0
		.amdhsa_user_sgpr_kernarg_preload_offset 0
		.amdhsa_user_sgpr_private_segment_size 0
		.amdhsa_uses_dynamic_stack 0
		.amdhsa_system_sgpr_private_segment_wavefront_offset 0
		.amdhsa_system_sgpr_workgroup_id_x 1
		.amdhsa_system_sgpr_workgroup_id_y 0
		.amdhsa_system_sgpr_workgroup_id_z 0
		.amdhsa_system_sgpr_workgroup_info 0
		.amdhsa_system_vgpr_workitem_id 0
		.amdhsa_next_free_vgpr 1
		.amdhsa_next_free_sgpr 0
		.amdhsa_accum_offset 4
		.amdhsa_reserve_vcc 0
		.amdhsa_reserve_flat_scratch 0
		.amdhsa_float_round_mode_32 0
		.amdhsa_float_round_mode_16_64 0
		.amdhsa_float_denorm_mode_32 3
		.amdhsa_float_denorm_mode_16_64 3
		.amdhsa_dx10_clamp 1
		.amdhsa_ieee_mode 1
		.amdhsa_fp16_overflow 0
		.amdhsa_tg_split 0
		.amdhsa_exception_fp_ieee_invalid_op 0
		.amdhsa_exception_fp_denorm_src 0
		.amdhsa_exception_fp_ieee_div_zero 0
		.amdhsa_exception_fp_ieee_overflow 0
		.amdhsa_exception_fp_ieee_underflow 0
		.amdhsa_exception_fp_ieee_inexact 0
		.amdhsa_exception_int_div_zero 0
	.end_amdhsa_kernel
	.section	.text._ZN7rocprim17ROCPRIM_400000_NS6detail17trampoline_kernelINS0_14default_configENS1_20scan_config_selectorI11FixedVectorIiLj1EEEEZZNS1_9scan_implILNS1_25lookback_scan_determinismE0ELb0ELb0ES3_N6thrust23THRUST_200600_302600_NS6detail15normal_iteratorINSB_10device_ptrIS6_EEEESG_S6_NSB_4plusIvEES6_EEDaPvRmT3_T4_T5_mT6_P12ihipStream_tbENKUlT_T0_E_clISt17integral_constantIbLb0EESV_IbLb1EEEEDaSR_SS_EUlSR_E0_NS1_11comp_targetILNS1_3genE3ELNS1_11target_archE908ELNS1_3gpuE7ELNS1_3repE0EEENS1_30default_config_static_selectorELNS0_4arch9wavefront6targetE1EEEvT1_,"axG",@progbits,_ZN7rocprim17ROCPRIM_400000_NS6detail17trampoline_kernelINS0_14default_configENS1_20scan_config_selectorI11FixedVectorIiLj1EEEEZZNS1_9scan_implILNS1_25lookback_scan_determinismE0ELb0ELb0ES3_N6thrust23THRUST_200600_302600_NS6detail15normal_iteratorINSB_10device_ptrIS6_EEEESG_S6_NSB_4plusIvEES6_EEDaPvRmT3_T4_T5_mT6_P12ihipStream_tbENKUlT_T0_E_clISt17integral_constantIbLb0EESV_IbLb1EEEEDaSR_SS_EUlSR_E0_NS1_11comp_targetILNS1_3genE3ELNS1_11target_archE908ELNS1_3gpuE7ELNS1_3repE0EEENS1_30default_config_static_selectorELNS0_4arch9wavefront6targetE1EEEvT1_,comdat
.Lfunc_end6456:
	.size	_ZN7rocprim17ROCPRIM_400000_NS6detail17trampoline_kernelINS0_14default_configENS1_20scan_config_selectorI11FixedVectorIiLj1EEEEZZNS1_9scan_implILNS1_25lookback_scan_determinismE0ELb0ELb0ES3_N6thrust23THRUST_200600_302600_NS6detail15normal_iteratorINSB_10device_ptrIS6_EEEESG_S6_NSB_4plusIvEES6_EEDaPvRmT3_T4_T5_mT6_P12ihipStream_tbENKUlT_T0_E_clISt17integral_constantIbLb0EESV_IbLb1EEEEDaSR_SS_EUlSR_E0_NS1_11comp_targetILNS1_3genE3ELNS1_11target_archE908ELNS1_3gpuE7ELNS1_3repE0EEENS1_30default_config_static_selectorELNS0_4arch9wavefront6targetE1EEEvT1_, .Lfunc_end6456-_ZN7rocprim17ROCPRIM_400000_NS6detail17trampoline_kernelINS0_14default_configENS1_20scan_config_selectorI11FixedVectorIiLj1EEEEZZNS1_9scan_implILNS1_25lookback_scan_determinismE0ELb0ELb0ES3_N6thrust23THRUST_200600_302600_NS6detail15normal_iteratorINSB_10device_ptrIS6_EEEESG_S6_NSB_4plusIvEES6_EEDaPvRmT3_T4_T5_mT6_P12ihipStream_tbENKUlT_T0_E_clISt17integral_constantIbLb0EESV_IbLb1EEEEDaSR_SS_EUlSR_E0_NS1_11comp_targetILNS1_3genE3ELNS1_11target_archE908ELNS1_3gpuE7ELNS1_3repE0EEENS1_30default_config_static_selectorELNS0_4arch9wavefront6targetE1EEEvT1_
                                        ; -- End function
	.section	.AMDGPU.csdata,"",@progbits
; Kernel info:
; codeLenInByte = 0
; NumSgprs: 4
; NumVgprs: 0
; NumAgprs: 0
; TotalNumVgprs: 0
; ScratchSize: 0
; MemoryBound: 0
; FloatMode: 240
; IeeeMode: 1
; LDSByteSize: 0 bytes/workgroup (compile time only)
; SGPRBlocks: 0
; VGPRBlocks: 0
; NumSGPRsForWavesPerEU: 4
; NumVGPRsForWavesPerEU: 1
; AccumOffset: 4
; Occupancy: 8
; WaveLimiterHint : 0
; COMPUTE_PGM_RSRC2:SCRATCH_EN: 0
; COMPUTE_PGM_RSRC2:USER_SGPR: 6
; COMPUTE_PGM_RSRC2:TRAP_HANDLER: 0
; COMPUTE_PGM_RSRC2:TGID_X_EN: 1
; COMPUTE_PGM_RSRC2:TGID_Y_EN: 0
; COMPUTE_PGM_RSRC2:TGID_Z_EN: 0
; COMPUTE_PGM_RSRC2:TIDIG_COMP_CNT: 0
; COMPUTE_PGM_RSRC3_GFX90A:ACCUM_OFFSET: 0
; COMPUTE_PGM_RSRC3_GFX90A:TG_SPLIT: 0
	.section	.text._ZN7rocprim17ROCPRIM_400000_NS6detail17trampoline_kernelINS0_14default_configENS1_20scan_config_selectorI11FixedVectorIiLj1EEEEZZNS1_9scan_implILNS1_25lookback_scan_determinismE0ELb0ELb0ES3_N6thrust23THRUST_200600_302600_NS6detail15normal_iteratorINSB_10device_ptrIS6_EEEESG_S6_NSB_4plusIvEES6_EEDaPvRmT3_T4_T5_mT6_P12ihipStream_tbENKUlT_T0_E_clISt17integral_constantIbLb0EESV_IbLb1EEEEDaSR_SS_EUlSR_E0_NS1_11comp_targetILNS1_3genE2ELNS1_11target_archE906ELNS1_3gpuE6ELNS1_3repE0EEENS1_30default_config_static_selectorELNS0_4arch9wavefront6targetE1EEEvT1_,"axG",@progbits,_ZN7rocprim17ROCPRIM_400000_NS6detail17trampoline_kernelINS0_14default_configENS1_20scan_config_selectorI11FixedVectorIiLj1EEEEZZNS1_9scan_implILNS1_25lookback_scan_determinismE0ELb0ELb0ES3_N6thrust23THRUST_200600_302600_NS6detail15normal_iteratorINSB_10device_ptrIS6_EEEESG_S6_NSB_4plusIvEES6_EEDaPvRmT3_T4_T5_mT6_P12ihipStream_tbENKUlT_T0_E_clISt17integral_constantIbLb0EESV_IbLb1EEEEDaSR_SS_EUlSR_E0_NS1_11comp_targetILNS1_3genE2ELNS1_11target_archE906ELNS1_3gpuE6ELNS1_3repE0EEENS1_30default_config_static_selectorELNS0_4arch9wavefront6targetE1EEEvT1_,comdat
	.protected	_ZN7rocprim17ROCPRIM_400000_NS6detail17trampoline_kernelINS0_14default_configENS1_20scan_config_selectorI11FixedVectorIiLj1EEEEZZNS1_9scan_implILNS1_25lookback_scan_determinismE0ELb0ELb0ES3_N6thrust23THRUST_200600_302600_NS6detail15normal_iteratorINSB_10device_ptrIS6_EEEESG_S6_NSB_4plusIvEES6_EEDaPvRmT3_T4_T5_mT6_P12ihipStream_tbENKUlT_T0_E_clISt17integral_constantIbLb0EESV_IbLb1EEEEDaSR_SS_EUlSR_E0_NS1_11comp_targetILNS1_3genE2ELNS1_11target_archE906ELNS1_3gpuE6ELNS1_3repE0EEENS1_30default_config_static_selectorELNS0_4arch9wavefront6targetE1EEEvT1_ ; -- Begin function _ZN7rocprim17ROCPRIM_400000_NS6detail17trampoline_kernelINS0_14default_configENS1_20scan_config_selectorI11FixedVectorIiLj1EEEEZZNS1_9scan_implILNS1_25lookback_scan_determinismE0ELb0ELb0ES3_N6thrust23THRUST_200600_302600_NS6detail15normal_iteratorINSB_10device_ptrIS6_EEEESG_S6_NSB_4plusIvEES6_EEDaPvRmT3_T4_T5_mT6_P12ihipStream_tbENKUlT_T0_E_clISt17integral_constantIbLb0EESV_IbLb1EEEEDaSR_SS_EUlSR_E0_NS1_11comp_targetILNS1_3genE2ELNS1_11target_archE906ELNS1_3gpuE6ELNS1_3repE0EEENS1_30default_config_static_selectorELNS0_4arch9wavefront6targetE1EEEvT1_
	.globl	_ZN7rocprim17ROCPRIM_400000_NS6detail17trampoline_kernelINS0_14default_configENS1_20scan_config_selectorI11FixedVectorIiLj1EEEEZZNS1_9scan_implILNS1_25lookback_scan_determinismE0ELb0ELb0ES3_N6thrust23THRUST_200600_302600_NS6detail15normal_iteratorINSB_10device_ptrIS6_EEEESG_S6_NSB_4plusIvEES6_EEDaPvRmT3_T4_T5_mT6_P12ihipStream_tbENKUlT_T0_E_clISt17integral_constantIbLb0EESV_IbLb1EEEEDaSR_SS_EUlSR_E0_NS1_11comp_targetILNS1_3genE2ELNS1_11target_archE906ELNS1_3gpuE6ELNS1_3repE0EEENS1_30default_config_static_selectorELNS0_4arch9wavefront6targetE1EEEvT1_
	.p2align	8
	.type	_ZN7rocprim17ROCPRIM_400000_NS6detail17trampoline_kernelINS0_14default_configENS1_20scan_config_selectorI11FixedVectorIiLj1EEEEZZNS1_9scan_implILNS1_25lookback_scan_determinismE0ELb0ELb0ES3_N6thrust23THRUST_200600_302600_NS6detail15normal_iteratorINSB_10device_ptrIS6_EEEESG_S6_NSB_4plusIvEES6_EEDaPvRmT3_T4_T5_mT6_P12ihipStream_tbENKUlT_T0_E_clISt17integral_constantIbLb0EESV_IbLb1EEEEDaSR_SS_EUlSR_E0_NS1_11comp_targetILNS1_3genE2ELNS1_11target_archE906ELNS1_3gpuE6ELNS1_3repE0EEENS1_30default_config_static_selectorELNS0_4arch9wavefront6targetE1EEEvT1_,@function
_ZN7rocprim17ROCPRIM_400000_NS6detail17trampoline_kernelINS0_14default_configENS1_20scan_config_selectorI11FixedVectorIiLj1EEEEZZNS1_9scan_implILNS1_25lookback_scan_determinismE0ELb0ELb0ES3_N6thrust23THRUST_200600_302600_NS6detail15normal_iteratorINSB_10device_ptrIS6_EEEESG_S6_NSB_4plusIvEES6_EEDaPvRmT3_T4_T5_mT6_P12ihipStream_tbENKUlT_T0_E_clISt17integral_constantIbLb0EESV_IbLb1EEEEDaSR_SS_EUlSR_E0_NS1_11comp_targetILNS1_3genE2ELNS1_11target_archE906ELNS1_3gpuE6ELNS1_3repE0EEENS1_30default_config_static_selectorELNS0_4arch9wavefront6targetE1EEEvT1_: ; @_ZN7rocprim17ROCPRIM_400000_NS6detail17trampoline_kernelINS0_14default_configENS1_20scan_config_selectorI11FixedVectorIiLj1EEEEZZNS1_9scan_implILNS1_25lookback_scan_determinismE0ELb0ELb0ES3_N6thrust23THRUST_200600_302600_NS6detail15normal_iteratorINSB_10device_ptrIS6_EEEESG_S6_NSB_4plusIvEES6_EEDaPvRmT3_T4_T5_mT6_P12ihipStream_tbENKUlT_T0_E_clISt17integral_constantIbLb0EESV_IbLb1EEEEDaSR_SS_EUlSR_E0_NS1_11comp_targetILNS1_3genE2ELNS1_11target_archE906ELNS1_3gpuE6ELNS1_3repE0EEENS1_30default_config_static_selectorELNS0_4arch9wavefront6targetE1EEEvT1_
; %bb.0:
	.section	.rodata,"a",@progbits
	.p2align	6, 0x0
	.amdhsa_kernel _ZN7rocprim17ROCPRIM_400000_NS6detail17trampoline_kernelINS0_14default_configENS1_20scan_config_selectorI11FixedVectorIiLj1EEEEZZNS1_9scan_implILNS1_25lookback_scan_determinismE0ELb0ELb0ES3_N6thrust23THRUST_200600_302600_NS6detail15normal_iteratorINSB_10device_ptrIS6_EEEESG_S6_NSB_4plusIvEES6_EEDaPvRmT3_T4_T5_mT6_P12ihipStream_tbENKUlT_T0_E_clISt17integral_constantIbLb0EESV_IbLb1EEEEDaSR_SS_EUlSR_E0_NS1_11comp_targetILNS1_3genE2ELNS1_11target_archE906ELNS1_3gpuE6ELNS1_3repE0EEENS1_30default_config_static_selectorELNS0_4arch9wavefront6targetE1EEEvT1_
		.amdhsa_group_segment_fixed_size 0
		.amdhsa_private_segment_fixed_size 0
		.amdhsa_kernarg_size 32
		.amdhsa_user_sgpr_count 6
		.amdhsa_user_sgpr_private_segment_buffer 1
		.amdhsa_user_sgpr_dispatch_ptr 0
		.amdhsa_user_sgpr_queue_ptr 0
		.amdhsa_user_sgpr_kernarg_segment_ptr 1
		.amdhsa_user_sgpr_dispatch_id 0
		.amdhsa_user_sgpr_flat_scratch_init 0
		.amdhsa_user_sgpr_kernarg_preload_length 0
		.amdhsa_user_sgpr_kernarg_preload_offset 0
		.amdhsa_user_sgpr_private_segment_size 0
		.amdhsa_uses_dynamic_stack 0
		.amdhsa_system_sgpr_private_segment_wavefront_offset 0
		.amdhsa_system_sgpr_workgroup_id_x 1
		.amdhsa_system_sgpr_workgroup_id_y 0
		.amdhsa_system_sgpr_workgroup_id_z 0
		.amdhsa_system_sgpr_workgroup_info 0
		.amdhsa_system_vgpr_workitem_id 0
		.amdhsa_next_free_vgpr 1
		.amdhsa_next_free_sgpr 0
		.amdhsa_accum_offset 4
		.amdhsa_reserve_vcc 0
		.amdhsa_reserve_flat_scratch 0
		.amdhsa_float_round_mode_32 0
		.amdhsa_float_round_mode_16_64 0
		.amdhsa_float_denorm_mode_32 3
		.amdhsa_float_denorm_mode_16_64 3
		.amdhsa_dx10_clamp 1
		.amdhsa_ieee_mode 1
		.amdhsa_fp16_overflow 0
		.amdhsa_tg_split 0
		.amdhsa_exception_fp_ieee_invalid_op 0
		.amdhsa_exception_fp_denorm_src 0
		.amdhsa_exception_fp_ieee_div_zero 0
		.amdhsa_exception_fp_ieee_overflow 0
		.amdhsa_exception_fp_ieee_underflow 0
		.amdhsa_exception_fp_ieee_inexact 0
		.amdhsa_exception_int_div_zero 0
	.end_amdhsa_kernel
	.section	.text._ZN7rocprim17ROCPRIM_400000_NS6detail17trampoline_kernelINS0_14default_configENS1_20scan_config_selectorI11FixedVectorIiLj1EEEEZZNS1_9scan_implILNS1_25lookback_scan_determinismE0ELb0ELb0ES3_N6thrust23THRUST_200600_302600_NS6detail15normal_iteratorINSB_10device_ptrIS6_EEEESG_S6_NSB_4plusIvEES6_EEDaPvRmT3_T4_T5_mT6_P12ihipStream_tbENKUlT_T0_E_clISt17integral_constantIbLb0EESV_IbLb1EEEEDaSR_SS_EUlSR_E0_NS1_11comp_targetILNS1_3genE2ELNS1_11target_archE906ELNS1_3gpuE6ELNS1_3repE0EEENS1_30default_config_static_selectorELNS0_4arch9wavefront6targetE1EEEvT1_,"axG",@progbits,_ZN7rocprim17ROCPRIM_400000_NS6detail17trampoline_kernelINS0_14default_configENS1_20scan_config_selectorI11FixedVectorIiLj1EEEEZZNS1_9scan_implILNS1_25lookback_scan_determinismE0ELb0ELb0ES3_N6thrust23THRUST_200600_302600_NS6detail15normal_iteratorINSB_10device_ptrIS6_EEEESG_S6_NSB_4plusIvEES6_EEDaPvRmT3_T4_T5_mT6_P12ihipStream_tbENKUlT_T0_E_clISt17integral_constantIbLb0EESV_IbLb1EEEEDaSR_SS_EUlSR_E0_NS1_11comp_targetILNS1_3genE2ELNS1_11target_archE906ELNS1_3gpuE6ELNS1_3repE0EEENS1_30default_config_static_selectorELNS0_4arch9wavefront6targetE1EEEvT1_,comdat
.Lfunc_end6457:
	.size	_ZN7rocprim17ROCPRIM_400000_NS6detail17trampoline_kernelINS0_14default_configENS1_20scan_config_selectorI11FixedVectorIiLj1EEEEZZNS1_9scan_implILNS1_25lookback_scan_determinismE0ELb0ELb0ES3_N6thrust23THRUST_200600_302600_NS6detail15normal_iteratorINSB_10device_ptrIS6_EEEESG_S6_NSB_4plusIvEES6_EEDaPvRmT3_T4_T5_mT6_P12ihipStream_tbENKUlT_T0_E_clISt17integral_constantIbLb0EESV_IbLb1EEEEDaSR_SS_EUlSR_E0_NS1_11comp_targetILNS1_3genE2ELNS1_11target_archE906ELNS1_3gpuE6ELNS1_3repE0EEENS1_30default_config_static_selectorELNS0_4arch9wavefront6targetE1EEEvT1_, .Lfunc_end6457-_ZN7rocprim17ROCPRIM_400000_NS6detail17trampoline_kernelINS0_14default_configENS1_20scan_config_selectorI11FixedVectorIiLj1EEEEZZNS1_9scan_implILNS1_25lookback_scan_determinismE0ELb0ELb0ES3_N6thrust23THRUST_200600_302600_NS6detail15normal_iteratorINSB_10device_ptrIS6_EEEESG_S6_NSB_4plusIvEES6_EEDaPvRmT3_T4_T5_mT6_P12ihipStream_tbENKUlT_T0_E_clISt17integral_constantIbLb0EESV_IbLb1EEEEDaSR_SS_EUlSR_E0_NS1_11comp_targetILNS1_3genE2ELNS1_11target_archE906ELNS1_3gpuE6ELNS1_3repE0EEENS1_30default_config_static_selectorELNS0_4arch9wavefront6targetE1EEEvT1_
                                        ; -- End function
	.section	.AMDGPU.csdata,"",@progbits
; Kernel info:
; codeLenInByte = 0
; NumSgprs: 4
; NumVgprs: 0
; NumAgprs: 0
; TotalNumVgprs: 0
; ScratchSize: 0
; MemoryBound: 0
; FloatMode: 240
; IeeeMode: 1
; LDSByteSize: 0 bytes/workgroup (compile time only)
; SGPRBlocks: 0
; VGPRBlocks: 0
; NumSGPRsForWavesPerEU: 4
; NumVGPRsForWavesPerEU: 1
; AccumOffset: 4
; Occupancy: 8
; WaveLimiterHint : 0
; COMPUTE_PGM_RSRC2:SCRATCH_EN: 0
; COMPUTE_PGM_RSRC2:USER_SGPR: 6
; COMPUTE_PGM_RSRC2:TRAP_HANDLER: 0
; COMPUTE_PGM_RSRC2:TGID_X_EN: 1
; COMPUTE_PGM_RSRC2:TGID_Y_EN: 0
; COMPUTE_PGM_RSRC2:TGID_Z_EN: 0
; COMPUTE_PGM_RSRC2:TIDIG_COMP_CNT: 0
; COMPUTE_PGM_RSRC3_GFX90A:ACCUM_OFFSET: 0
; COMPUTE_PGM_RSRC3_GFX90A:TG_SPLIT: 0
	.section	.text._ZN7rocprim17ROCPRIM_400000_NS6detail17trampoline_kernelINS0_14default_configENS1_20scan_config_selectorI11FixedVectorIiLj1EEEEZZNS1_9scan_implILNS1_25lookback_scan_determinismE0ELb0ELb0ES3_N6thrust23THRUST_200600_302600_NS6detail15normal_iteratorINSB_10device_ptrIS6_EEEESG_S6_NSB_4plusIvEES6_EEDaPvRmT3_T4_T5_mT6_P12ihipStream_tbENKUlT_T0_E_clISt17integral_constantIbLb0EESV_IbLb1EEEEDaSR_SS_EUlSR_E0_NS1_11comp_targetILNS1_3genE10ELNS1_11target_archE1201ELNS1_3gpuE5ELNS1_3repE0EEENS1_30default_config_static_selectorELNS0_4arch9wavefront6targetE1EEEvT1_,"axG",@progbits,_ZN7rocprim17ROCPRIM_400000_NS6detail17trampoline_kernelINS0_14default_configENS1_20scan_config_selectorI11FixedVectorIiLj1EEEEZZNS1_9scan_implILNS1_25lookback_scan_determinismE0ELb0ELb0ES3_N6thrust23THRUST_200600_302600_NS6detail15normal_iteratorINSB_10device_ptrIS6_EEEESG_S6_NSB_4plusIvEES6_EEDaPvRmT3_T4_T5_mT6_P12ihipStream_tbENKUlT_T0_E_clISt17integral_constantIbLb0EESV_IbLb1EEEEDaSR_SS_EUlSR_E0_NS1_11comp_targetILNS1_3genE10ELNS1_11target_archE1201ELNS1_3gpuE5ELNS1_3repE0EEENS1_30default_config_static_selectorELNS0_4arch9wavefront6targetE1EEEvT1_,comdat
	.protected	_ZN7rocprim17ROCPRIM_400000_NS6detail17trampoline_kernelINS0_14default_configENS1_20scan_config_selectorI11FixedVectorIiLj1EEEEZZNS1_9scan_implILNS1_25lookback_scan_determinismE0ELb0ELb0ES3_N6thrust23THRUST_200600_302600_NS6detail15normal_iteratorINSB_10device_ptrIS6_EEEESG_S6_NSB_4plusIvEES6_EEDaPvRmT3_T4_T5_mT6_P12ihipStream_tbENKUlT_T0_E_clISt17integral_constantIbLb0EESV_IbLb1EEEEDaSR_SS_EUlSR_E0_NS1_11comp_targetILNS1_3genE10ELNS1_11target_archE1201ELNS1_3gpuE5ELNS1_3repE0EEENS1_30default_config_static_selectorELNS0_4arch9wavefront6targetE1EEEvT1_ ; -- Begin function _ZN7rocprim17ROCPRIM_400000_NS6detail17trampoline_kernelINS0_14default_configENS1_20scan_config_selectorI11FixedVectorIiLj1EEEEZZNS1_9scan_implILNS1_25lookback_scan_determinismE0ELb0ELb0ES3_N6thrust23THRUST_200600_302600_NS6detail15normal_iteratorINSB_10device_ptrIS6_EEEESG_S6_NSB_4plusIvEES6_EEDaPvRmT3_T4_T5_mT6_P12ihipStream_tbENKUlT_T0_E_clISt17integral_constantIbLb0EESV_IbLb1EEEEDaSR_SS_EUlSR_E0_NS1_11comp_targetILNS1_3genE10ELNS1_11target_archE1201ELNS1_3gpuE5ELNS1_3repE0EEENS1_30default_config_static_selectorELNS0_4arch9wavefront6targetE1EEEvT1_
	.globl	_ZN7rocprim17ROCPRIM_400000_NS6detail17trampoline_kernelINS0_14default_configENS1_20scan_config_selectorI11FixedVectorIiLj1EEEEZZNS1_9scan_implILNS1_25lookback_scan_determinismE0ELb0ELb0ES3_N6thrust23THRUST_200600_302600_NS6detail15normal_iteratorINSB_10device_ptrIS6_EEEESG_S6_NSB_4plusIvEES6_EEDaPvRmT3_T4_T5_mT6_P12ihipStream_tbENKUlT_T0_E_clISt17integral_constantIbLb0EESV_IbLb1EEEEDaSR_SS_EUlSR_E0_NS1_11comp_targetILNS1_3genE10ELNS1_11target_archE1201ELNS1_3gpuE5ELNS1_3repE0EEENS1_30default_config_static_selectorELNS0_4arch9wavefront6targetE1EEEvT1_
	.p2align	8
	.type	_ZN7rocprim17ROCPRIM_400000_NS6detail17trampoline_kernelINS0_14default_configENS1_20scan_config_selectorI11FixedVectorIiLj1EEEEZZNS1_9scan_implILNS1_25lookback_scan_determinismE0ELb0ELb0ES3_N6thrust23THRUST_200600_302600_NS6detail15normal_iteratorINSB_10device_ptrIS6_EEEESG_S6_NSB_4plusIvEES6_EEDaPvRmT3_T4_T5_mT6_P12ihipStream_tbENKUlT_T0_E_clISt17integral_constantIbLb0EESV_IbLb1EEEEDaSR_SS_EUlSR_E0_NS1_11comp_targetILNS1_3genE10ELNS1_11target_archE1201ELNS1_3gpuE5ELNS1_3repE0EEENS1_30default_config_static_selectorELNS0_4arch9wavefront6targetE1EEEvT1_,@function
_ZN7rocprim17ROCPRIM_400000_NS6detail17trampoline_kernelINS0_14default_configENS1_20scan_config_selectorI11FixedVectorIiLj1EEEEZZNS1_9scan_implILNS1_25lookback_scan_determinismE0ELb0ELb0ES3_N6thrust23THRUST_200600_302600_NS6detail15normal_iteratorINSB_10device_ptrIS6_EEEESG_S6_NSB_4plusIvEES6_EEDaPvRmT3_T4_T5_mT6_P12ihipStream_tbENKUlT_T0_E_clISt17integral_constantIbLb0EESV_IbLb1EEEEDaSR_SS_EUlSR_E0_NS1_11comp_targetILNS1_3genE10ELNS1_11target_archE1201ELNS1_3gpuE5ELNS1_3repE0EEENS1_30default_config_static_selectorELNS0_4arch9wavefront6targetE1EEEvT1_: ; @_ZN7rocprim17ROCPRIM_400000_NS6detail17trampoline_kernelINS0_14default_configENS1_20scan_config_selectorI11FixedVectorIiLj1EEEEZZNS1_9scan_implILNS1_25lookback_scan_determinismE0ELb0ELb0ES3_N6thrust23THRUST_200600_302600_NS6detail15normal_iteratorINSB_10device_ptrIS6_EEEESG_S6_NSB_4plusIvEES6_EEDaPvRmT3_T4_T5_mT6_P12ihipStream_tbENKUlT_T0_E_clISt17integral_constantIbLb0EESV_IbLb1EEEEDaSR_SS_EUlSR_E0_NS1_11comp_targetILNS1_3genE10ELNS1_11target_archE1201ELNS1_3gpuE5ELNS1_3repE0EEENS1_30default_config_static_selectorELNS0_4arch9wavefront6targetE1EEEvT1_
; %bb.0:
	.section	.rodata,"a",@progbits
	.p2align	6, 0x0
	.amdhsa_kernel _ZN7rocprim17ROCPRIM_400000_NS6detail17trampoline_kernelINS0_14default_configENS1_20scan_config_selectorI11FixedVectorIiLj1EEEEZZNS1_9scan_implILNS1_25lookback_scan_determinismE0ELb0ELb0ES3_N6thrust23THRUST_200600_302600_NS6detail15normal_iteratorINSB_10device_ptrIS6_EEEESG_S6_NSB_4plusIvEES6_EEDaPvRmT3_T4_T5_mT6_P12ihipStream_tbENKUlT_T0_E_clISt17integral_constantIbLb0EESV_IbLb1EEEEDaSR_SS_EUlSR_E0_NS1_11comp_targetILNS1_3genE10ELNS1_11target_archE1201ELNS1_3gpuE5ELNS1_3repE0EEENS1_30default_config_static_selectorELNS0_4arch9wavefront6targetE1EEEvT1_
		.amdhsa_group_segment_fixed_size 0
		.amdhsa_private_segment_fixed_size 0
		.amdhsa_kernarg_size 32
		.amdhsa_user_sgpr_count 6
		.amdhsa_user_sgpr_private_segment_buffer 1
		.amdhsa_user_sgpr_dispatch_ptr 0
		.amdhsa_user_sgpr_queue_ptr 0
		.amdhsa_user_sgpr_kernarg_segment_ptr 1
		.amdhsa_user_sgpr_dispatch_id 0
		.amdhsa_user_sgpr_flat_scratch_init 0
		.amdhsa_user_sgpr_kernarg_preload_length 0
		.amdhsa_user_sgpr_kernarg_preload_offset 0
		.amdhsa_user_sgpr_private_segment_size 0
		.amdhsa_uses_dynamic_stack 0
		.amdhsa_system_sgpr_private_segment_wavefront_offset 0
		.amdhsa_system_sgpr_workgroup_id_x 1
		.amdhsa_system_sgpr_workgroup_id_y 0
		.amdhsa_system_sgpr_workgroup_id_z 0
		.amdhsa_system_sgpr_workgroup_info 0
		.amdhsa_system_vgpr_workitem_id 0
		.amdhsa_next_free_vgpr 1
		.amdhsa_next_free_sgpr 0
		.amdhsa_accum_offset 4
		.amdhsa_reserve_vcc 0
		.amdhsa_reserve_flat_scratch 0
		.amdhsa_float_round_mode_32 0
		.amdhsa_float_round_mode_16_64 0
		.amdhsa_float_denorm_mode_32 3
		.amdhsa_float_denorm_mode_16_64 3
		.amdhsa_dx10_clamp 1
		.amdhsa_ieee_mode 1
		.amdhsa_fp16_overflow 0
		.amdhsa_tg_split 0
		.amdhsa_exception_fp_ieee_invalid_op 0
		.amdhsa_exception_fp_denorm_src 0
		.amdhsa_exception_fp_ieee_div_zero 0
		.amdhsa_exception_fp_ieee_overflow 0
		.amdhsa_exception_fp_ieee_underflow 0
		.amdhsa_exception_fp_ieee_inexact 0
		.amdhsa_exception_int_div_zero 0
	.end_amdhsa_kernel
	.section	.text._ZN7rocprim17ROCPRIM_400000_NS6detail17trampoline_kernelINS0_14default_configENS1_20scan_config_selectorI11FixedVectorIiLj1EEEEZZNS1_9scan_implILNS1_25lookback_scan_determinismE0ELb0ELb0ES3_N6thrust23THRUST_200600_302600_NS6detail15normal_iteratorINSB_10device_ptrIS6_EEEESG_S6_NSB_4plusIvEES6_EEDaPvRmT3_T4_T5_mT6_P12ihipStream_tbENKUlT_T0_E_clISt17integral_constantIbLb0EESV_IbLb1EEEEDaSR_SS_EUlSR_E0_NS1_11comp_targetILNS1_3genE10ELNS1_11target_archE1201ELNS1_3gpuE5ELNS1_3repE0EEENS1_30default_config_static_selectorELNS0_4arch9wavefront6targetE1EEEvT1_,"axG",@progbits,_ZN7rocprim17ROCPRIM_400000_NS6detail17trampoline_kernelINS0_14default_configENS1_20scan_config_selectorI11FixedVectorIiLj1EEEEZZNS1_9scan_implILNS1_25lookback_scan_determinismE0ELb0ELb0ES3_N6thrust23THRUST_200600_302600_NS6detail15normal_iteratorINSB_10device_ptrIS6_EEEESG_S6_NSB_4plusIvEES6_EEDaPvRmT3_T4_T5_mT6_P12ihipStream_tbENKUlT_T0_E_clISt17integral_constantIbLb0EESV_IbLb1EEEEDaSR_SS_EUlSR_E0_NS1_11comp_targetILNS1_3genE10ELNS1_11target_archE1201ELNS1_3gpuE5ELNS1_3repE0EEENS1_30default_config_static_selectorELNS0_4arch9wavefront6targetE1EEEvT1_,comdat
.Lfunc_end6458:
	.size	_ZN7rocprim17ROCPRIM_400000_NS6detail17trampoline_kernelINS0_14default_configENS1_20scan_config_selectorI11FixedVectorIiLj1EEEEZZNS1_9scan_implILNS1_25lookback_scan_determinismE0ELb0ELb0ES3_N6thrust23THRUST_200600_302600_NS6detail15normal_iteratorINSB_10device_ptrIS6_EEEESG_S6_NSB_4plusIvEES6_EEDaPvRmT3_T4_T5_mT6_P12ihipStream_tbENKUlT_T0_E_clISt17integral_constantIbLb0EESV_IbLb1EEEEDaSR_SS_EUlSR_E0_NS1_11comp_targetILNS1_3genE10ELNS1_11target_archE1201ELNS1_3gpuE5ELNS1_3repE0EEENS1_30default_config_static_selectorELNS0_4arch9wavefront6targetE1EEEvT1_, .Lfunc_end6458-_ZN7rocprim17ROCPRIM_400000_NS6detail17trampoline_kernelINS0_14default_configENS1_20scan_config_selectorI11FixedVectorIiLj1EEEEZZNS1_9scan_implILNS1_25lookback_scan_determinismE0ELb0ELb0ES3_N6thrust23THRUST_200600_302600_NS6detail15normal_iteratorINSB_10device_ptrIS6_EEEESG_S6_NSB_4plusIvEES6_EEDaPvRmT3_T4_T5_mT6_P12ihipStream_tbENKUlT_T0_E_clISt17integral_constantIbLb0EESV_IbLb1EEEEDaSR_SS_EUlSR_E0_NS1_11comp_targetILNS1_3genE10ELNS1_11target_archE1201ELNS1_3gpuE5ELNS1_3repE0EEENS1_30default_config_static_selectorELNS0_4arch9wavefront6targetE1EEEvT1_
                                        ; -- End function
	.section	.AMDGPU.csdata,"",@progbits
; Kernel info:
; codeLenInByte = 0
; NumSgprs: 4
; NumVgprs: 0
; NumAgprs: 0
; TotalNumVgprs: 0
; ScratchSize: 0
; MemoryBound: 0
; FloatMode: 240
; IeeeMode: 1
; LDSByteSize: 0 bytes/workgroup (compile time only)
; SGPRBlocks: 0
; VGPRBlocks: 0
; NumSGPRsForWavesPerEU: 4
; NumVGPRsForWavesPerEU: 1
; AccumOffset: 4
; Occupancy: 8
; WaveLimiterHint : 0
; COMPUTE_PGM_RSRC2:SCRATCH_EN: 0
; COMPUTE_PGM_RSRC2:USER_SGPR: 6
; COMPUTE_PGM_RSRC2:TRAP_HANDLER: 0
; COMPUTE_PGM_RSRC2:TGID_X_EN: 1
; COMPUTE_PGM_RSRC2:TGID_Y_EN: 0
; COMPUTE_PGM_RSRC2:TGID_Z_EN: 0
; COMPUTE_PGM_RSRC2:TIDIG_COMP_CNT: 0
; COMPUTE_PGM_RSRC3_GFX90A:ACCUM_OFFSET: 0
; COMPUTE_PGM_RSRC3_GFX90A:TG_SPLIT: 0
	.section	.text._ZN7rocprim17ROCPRIM_400000_NS6detail17trampoline_kernelINS0_14default_configENS1_20scan_config_selectorI11FixedVectorIiLj1EEEEZZNS1_9scan_implILNS1_25lookback_scan_determinismE0ELb0ELb0ES3_N6thrust23THRUST_200600_302600_NS6detail15normal_iteratorINSB_10device_ptrIS6_EEEESG_S6_NSB_4plusIvEES6_EEDaPvRmT3_T4_T5_mT6_P12ihipStream_tbENKUlT_T0_E_clISt17integral_constantIbLb0EESV_IbLb1EEEEDaSR_SS_EUlSR_E0_NS1_11comp_targetILNS1_3genE10ELNS1_11target_archE1200ELNS1_3gpuE4ELNS1_3repE0EEENS1_30default_config_static_selectorELNS0_4arch9wavefront6targetE1EEEvT1_,"axG",@progbits,_ZN7rocprim17ROCPRIM_400000_NS6detail17trampoline_kernelINS0_14default_configENS1_20scan_config_selectorI11FixedVectorIiLj1EEEEZZNS1_9scan_implILNS1_25lookback_scan_determinismE0ELb0ELb0ES3_N6thrust23THRUST_200600_302600_NS6detail15normal_iteratorINSB_10device_ptrIS6_EEEESG_S6_NSB_4plusIvEES6_EEDaPvRmT3_T4_T5_mT6_P12ihipStream_tbENKUlT_T0_E_clISt17integral_constantIbLb0EESV_IbLb1EEEEDaSR_SS_EUlSR_E0_NS1_11comp_targetILNS1_3genE10ELNS1_11target_archE1200ELNS1_3gpuE4ELNS1_3repE0EEENS1_30default_config_static_selectorELNS0_4arch9wavefront6targetE1EEEvT1_,comdat
	.protected	_ZN7rocprim17ROCPRIM_400000_NS6detail17trampoline_kernelINS0_14default_configENS1_20scan_config_selectorI11FixedVectorIiLj1EEEEZZNS1_9scan_implILNS1_25lookback_scan_determinismE0ELb0ELb0ES3_N6thrust23THRUST_200600_302600_NS6detail15normal_iteratorINSB_10device_ptrIS6_EEEESG_S6_NSB_4plusIvEES6_EEDaPvRmT3_T4_T5_mT6_P12ihipStream_tbENKUlT_T0_E_clISt17integral_constantIbLb0EESV_IbLb1EEEEDaSR_SS_EUlSR_E0_NS1_11comp_targetILNS1_3genE10ELNS1_11target_archE1200ELNS1_3gpuE4ELNS1_3repE0EEENS1_30default_config_static_selectorELNS0_4arch9wavefront6targetE1EEEvT1_ ; -- Begin function _ZN7rocprim17ROCPRIM_400000_NS6detail17trampoline_kernelINS0_14default_configENS1_20scan_config_selectorI11FixedVectorIiLj1EEEEZZNS1_9scan_implILNS1_25lookback_scan_determinismE0ELb0ELb0ES3_N6thrust23THRUST_200600_302600_NS6detail15normal_iteratorINSB_10device_ptrIS6_EEEESG_S6_NSB_4plusIvEES6_EEDaPvRmT3_T4_T5_mT6_P12ihipStream_tbENKUlT_T0_E_clISt17integral_constantIbLb0EESV_IbLb1EEEEDaSR_SS_EUlSR_E0_NS1_11comp_targetILNS1_3genE10ELNS1_11target_archE1200ELNS1_3gpuE4ELNS1_3repE0EEENS1_30default_config_static_selectorELNS0_4arch9wavefront6targetE1EEEvT1_
	.globl	_ZN7rocprim17ROCPRIM_400000_NS6detail17trampoline_kernelINS0_14default_configENS1_20scan_config_selectorI11FixedVectorIiLj1EEEEZZNS1_9scan_implILNS1_25lookback_scan_determinismE0ELb0ELb0ES3_N6thrust23THRUST_200600_302600_NS6detail15normal_iteratorINSB_10device_ptrIS6_EEEESG_S6_NSB_4plusIvEES6_EEDaPvRmT3_T4_T5_mT6_P12ihipStream_tbENKUlT_T0_E_clISt17integral_constantIbLb0EESV_IbLb1EEEEDaSR_SS_EUlSR_E0_NS1_11comp_targetILNS1_3genE10ELNS1_11target_archE1200ELNS1_3gpuE4ELNS1_3repE0EEENS1_30default_config_static_selectorELNS0_4arch9wavefront6targetE1EEEvT1_
	.p2align	8
	.type	_ZN7rocprim17ROCPRIM_400000_NS6detail17trampoline_kernelINS0_14default_configENS1_20scan_config_selectorI11FixedVectorIiLj1EEEEZZNS1_9scan_implILNS1_25lookback_scan_determinismE0ELb0ELb0ES3_N6thrust23THRUST_200600_302600_NS6detail15normal_iteratorINSB_10device_ptrIS6_EEEESG_S6_NSB_4plusIvEES6_EEDaPvRmT3_T4_T5_mT6_P12ihipStream_tbENKUlT_T0_E_clISt17integral_constantIbLb0EESV_IbLb1EEEEDaSR_SS_EUlSR_E0_NS1_11comp_targetILNS1_3genE10ELNS1_11target_archE1200ELNS1_3gpuE4ELNS1_3repE0EEENS1_30default_config_static_selectorELNS0_4arch9wavefront6targetE1EEEvT1_,@function
_ZN7rocprim17ROCPRIM_400000_NS6detail17trampoline_kernelINS0_14default_configENS1_20scan_config_selectorI11FixedVectorIiLj1EEEEZZNS1_9scan_implILNS1_25lookback_scan_determinismE0ELb0ELb0ES3_N6thrust23THRUST_200600_302600_NS6detail15normal_iteratorINSB_10device_ptrIS6_EEEESG_S6_NSB_4plusIvEES6_EEDaPvRmT3_T4_T5_mT6_P12ihipStream_tbENKUlT_T0_E_clISt17integral_constantIbLb0EESV_IbLb1EEEEDaSR_SS_EUlSR_E0_NS1_11comp_targetILNS1_3genE10ELNS1_11target_archE1200ELNS1_3gpuE4ELNS1_3repE0EEENS1_30default_config_static_selectorELNS0_4arch9wavefront6targetE1EEEvT1_: ; @_ZN7rocprim17ROCPRIM_400000_NS6detail17trampoline_kernelINS0_14default_configENS1_20scan_config_selectorI11FixedVectorIiLj1EEEEZZNS1_9scan_implILNS1_25lookback_scan_determinismE0ELb0ELb0ES3_N6thrust23THRUST_200600_302600_NS6detail15normal_iteratorINSB_10device_ptrIS6_EEEESG_S6_NSB_4plusIvEES6_EEDaPvRmT3_T4_T5_mT6_P12ihipStream_tbENKUlT_T0_E_clISt17integral_constantIbLb0EESV_IbLb1EEEEDaSR_SS_EUlSR_E0_NS1_11comp_targetILNS1_3genE10ELNS1_11target_archE1200ELNS1_3gpuE4ELNS1_3repE0EEENS1_30default_config_static_selectorELNS0_4arch9wavefront6targetE1EEEvT1_
; %bb.0:
	.section	.rodata,"a",@progbits
	.p2align	6, 0x0
	.amdhsa_kernel _ZN7rocprim17ROCPRIM_400000_NS6detail17trampoline_kernelINS0_14default_configENS1_20scan_config_selectorI11FixedVectorIiLj1EEEEZZNS1_9scan_implILNS1_25lookback_scan_determinismE0ELb0ELb0ES3_N6thrust23THRUST_200600_302600_NS6detail15normal_iteratorINSB_10device_ptrIS6_EEEESG_S6_NSB_4plusIvEES6_EEDaPvRmT3_T4_T5_mT6_P12ihipStream_tbENKUlT_T0_E_clISt17integral_constantIbLb0EESV_IbLb1EEEEDaSR_SS_EUlSR_E0_NS1_11comp_targetILNS1_3genE10ELNS1_11target_archE1200ELNS1_3gpuE4ELNS1_3repE0EEENS1_30default_config_static_selectorELNS0_4arch9wavefront6targetE1EEEvT1_
		.amdhsa_group_segment_fixed_size 0
		.amdhsa_private_segment_fixed_size 0
		.amdhsa_kernarg_size 32
		.amdhsa_user_sgpr_count 6
		.amdhsa_user_sgpr_private_segment_buffer 1
		.amdhsa_user_sgpr_dispatch_ptr 0
		.amdhsa_user_sgpr_queue_ptr 0
		.amdhsa_user_sgpr_kernarg_segment_ptr 1
		.amdhsa_user_sgpr_dispatch_id 0
		.amdhsa_user_sgpr_flat_scratch_init 0
		.amdhsa_user_sgpr_kernarg_preload_length 0
		.amdhsa_user_sgpr_kernarg_preload_offset 0
		.amdhsa_user_sgpr_private_segment_size 0
		.amdhsa_uses_dynamic_stack 0
		.amdhsa_system_sgpr_private_segment_wavefront_offset 0
		.amdhsa_system_sgpr_workgroup_id_x 1
		.amdhsa_system_sgpr_workgroup_id_y 0
		.amdhsa_system_sgpr_workgroup_id_z 0
		.amdhsa_system_sgpr_workgroup_info 0
		.amdhsa_system_vgpr_workitem_id 0
		.amdhsa_next_free_vgpr 1
		.amdhsa_next_free_sgpr 0
		.amdhsa_accum_offset 4
		.amdhsa_reserve_vcc 0
		.amdhsa_reserve_flat_scratch 0
		.amdhsa_float_round_mode_32 0
		.amdhsa_float_round_mode_16_64 0
		.amdhsa_float_denorm_mode_32 3
		.amdhsa_float_denorm_mode_16_64 3
		.amdhsa_dx10_clamp 1
		.amdhsa_ieee_mode 1
		.amdhsa_fp16_overflow 0
		.amdhsa_tg_split 0
		.amdhsa_exception_fp_ieee_invalid_op 0
		.amdhsa_exception_fp_denorm_src 0
		.amdhsa_exception_fp_ieee_div_zero 0
		.amdhsa_exception_fp_ieee_overflow 0
		.amdhsa_exception_fp_ieee_underflow 0
		.amdhsa_exception_fp_ieee_inexact 0
		.amdhsa_exception_int_div_zero 0
	.end_amdhsa_kernel
	.section	.text._ZN7rocprim17ROCPRIM_400000_NS6detail17trampoline_kernelINS0_14default_configENS1_20scan_config_selectorI11FixedVectorIiLj1EEEEZZNS1_9scan_implILNS1_25lookback_scan_determinismE0ELb0ELb0ES3_N6thrust23THRUST_200600_302600_NS6detail15normal_iteratorINSB_10device_ptrIS6_EEEESG_S6_NSB_4plusIvEES6_EEDaPvRmT3_T4_T5_mT6_P12ihipStream_tbENKUlT_T0_E_clISt17integral_constantIbLb0EESV_IbLb1EEEEDaSR_SS_EUlSR_E0_NS1_11comp_targetILNS1_3genE10ELNS1_11target_archE1200ELNS1_3gpuE4ELNS1_3repE0EEENS1_30default_config_static_selectorELNS0_4arch9wavefront6targetE1EEEvT1_,"axG",@progbits,_ZN7rocprim17ROCPRIM_400000_NS6detail17trampoline_kernelINS0_14default_configENS1_20scan_config_selectorI11FixedVectorIiLj1EEEEZZNS1_9scan_implILNS1_25lookback_scan_determinismE0ELb0ELb0ES3_N6thrust23THRUST_200600_302600_NS6detail15normal_iteratorINSB_10device_ptrIS6_EEEESG_S6_NSB_4plusIvEES6_EEDaPvRmT3_T4_T5_mT6_P12ihipStream_tbENKUlT_T0_E_clISt17integral_constantIbLb0EESV_IbLb1EEEEDaSR_SS_EUlSR_E0_NS1_11comp_targetILNS1_3genE10ELNS1_11target_archE1200ELNS1_3gpuE4ELNS1_3repE0EEENS1_30default_config_static_selectorELNS0_4arch9wavefront6targetE1EEEvT1_,comdat
.Lfunc_end6459:
	.size	_ZN7rocprim17ROCPRIM_400000_NS6detail17trampoline_kernelINS0_14default_configENS1_20scan_config_selectorI11FixedVectorIiLj1EEEEZZNS1_9scan_implILNS1_25lookback_scan_determinismE0ELb0ELb0ES3_N6thrust23THRUST_200600_302600_NS6detail15normal_iteratorINSB_10device_ptrIS6_EEEESG_S6_NSB_4plusIvEES6_EEDaPvRmT3_T4_T5_mT6_P12ihipStream_tbENKUlT_T0_E_clISt17integral_constantIbLb0EESV_IbLb1EEEEDaSR_SS_EUlSR_E0_NS1_11comp_targetILNS1_3genE10ELNS1_11target_archE1200ELNS1_3gpuE4ELNS1_3repE0EEENS1_30default_config_static_selectorELNS0_4arch9wavefront6targetE1EEEvT1_, .Lfunc_end6459-_ZN7rocprim17ROCPRIM_400000_NS6detail17trampoline_kernelINS0_14default_configENS1_20scan_config_selectorI11FixedVectorIiLj1EEEEZZNS1_9scan_implILNS1_25lookback_scan_determinismE0ELb0ELb0ES3_N6thrust23THRUST_200600_302600_NS6detail15normal_iteratorINSB_10device_ptrIS6_EEEESG_S6_NSB_4plusIvEES6_EEDaPvRmT3_T4_T5_mT6_P12ihipStream_tbENKUlT_T0_E_clISt17integral_constantIbLb0EESV_IbLb1EEEEDaSR_SS_EUlSR_E0_NS1_11comp_targetILNS1_3genE10ELNS1_11target_archE1200ELNS1_3gpuE4ELNS1_3repE0EEENS1_30default_config_static_selectorELNS0_4arch9wavefront6targetE1EEEvT1_
                                        ; -- End function
	.section	.AMDGPU.csdata,"",@progbits
; Kernel info:
; codeLenInByte = 0
; NumSgprs: 4
; NumVgprs: 0
; NumAgprs: 0
; TotalNumVgprs: 0
; ScratchSize: 0
; MemoryBound: 0
; FloatMode: 240
; IeeeMode: 1
; LDSByteSize: 0 bytes/workgroup (compile time only)
; SGPRBlocks: 0
; VGPRBlocks: 0
; NumSGPRsForWavesPerEU: 4
; NumVGPRsForWavesPerEU: 1
; AccumOffset: 4
; Occupancy: 8
; WaveLimiterHint : 0
; COMPUTE_PGM_RSRC2:SCRATCH_EN: 0
; COMPUTE_PGM_RSRC2:USER_SGPR: 6
; COMPUTE_PGM_RSRC2:TRAP_HANDLER: 0
; COMPUTE_PGM_RSRC2:TGID_X_EN: 1
; COMPUTE_PGM_RSRC2:TGID_Y_EN: 0
; COMPUTE_PGM_RSRC2:TGID_Z_EN: 0
; COMPUTE_PGM_RSRC2:TIDIG_COMP_CNT: 0
; COMPUTE_PGM_RSRC3_GFX90A:ACCUM_OFFSET: 0
; COMPUTE_PGM_RSRC3_GFX90A:TG_SPLIT: 0
	.section	.text._ZN7rocprim17ROCPRIM_400000_NS6detail17trampoline_kernelINS0_14default_configENS1_20scan_config_selectorI11FixedVectorIiLj1EEEEZZNS1_9scan_implILNS1_25lookback_scan_determinismE0ELb0ELb0ES3_N6thrust23THRUST_200600_302600_NS6detail15normal_iteratorINSB_10device_ptrIS6_EEEESG_S6_NSB_4plusIvEES6_EEDaPvRmT3_T4_T5_mT6_P12ihipStream_tbENKUlT_T0_E_clISt17integral_constantIbLb0EESV_IbLb1EEEEDaSR_SS_EUlSR_E0_NS1_11comp_targetILNS1_3genE9ELNS1_11target_archE1100ELNS1_3gpuE3ELNS1_3repE0EEENS1_30default_config_static_selectorELNS0_4arch9wavefront6targetE1EEEvT1_,"axG",@progbits,_ZN7rocprim17ROCPRIM_400000_NS6detail17trampoline_kernelINS0_14default_configENS1_20scan_config_selectorI11FixedVectorIiLj1EEEEZZNS1_9scan_implILNS1_25lookback_scan_determinismE0ELb0ELb0ES3_N6thrust23THRUST_200600_302600_NS6detail15normal_iteratorINSB_10device_ptrIS6_EEEESG_S6_NSB_4plusIvEES6_EEDaPvRmT3_T4_T5_mT6_P12ihipStream_tbENKUlT_T0_E_clISt17integral_constantIbLb0EESV_IbLb1EEEEDaSR_SS_EUlSR_E0_NS1_11comp_targetILNS1_3genE9ELNS1_11target_archE1100ELNS1_3gpuE3ELNS1_3repE0EEENS1_30default_config_static_selectorELNS0_4arch9wavefront6targetE1EEEvT1_,comdat
	.protected	_ZN7rocprim17ROCPRIM_400000_NS6detail17trampoline_kernelINS0_14default_configENS1_20scan_config_selectorI11FixedVectorIiLj1EEEEZZNS1_9scan_implILNS1_25lookback_scan_determinismE0ELb0ELb0ES3_N6thrust23THRUST_200600_302600_NS6detail15normal_iteratorINSB_10device_ptrIS6_EEEESG_S6_NSB_4plusIvEES6_EEDaPvRmT3_T4_T5_mT6_P12ihipStream_tbENKUlT_T0_E_clISt17integral_constantIbLb0EESV_IbLb1EEEEDaSR_SS_EUlSR_E0_NS1_11comp_targetILNS1_3genE9ELNS1_11target_archE1100ELNS1_3gpuE3ELNS1_3repE0EEENS1_30default_config_static_selectorELNS0_4arch9wavefront6targetE1EEEvT1_ ; -- Begin function _ZN7rocprim17ROCPRIM_400000_NS6detail17trampoline_kernelINS0_14default_configENS1_20scan_config_selectorI11FixedVectorIiLj1EEEEZZNS1_9scan_implILNS1_25lookback_scan_determinismE0ELb0ELb0ES3_N6thrust23THRUST_200600_302600_NS6detail15normal_iteratorINSB_10device_ptrIS6_EEEESG_S6_NSB_4plusIvEES6_EEDaPvRmT3_T4_T5_mT6_P12ihipStream_tbENKUlT_T0_E_clISt17integral_constantIbLb0EESV_IbLb1EEEEDaSR_SS_EUlSR_E0_NS1_11comp_targetILNS1_3genE9ELNS1_11target_archE1100ELNS1_3gpuE3ELNS1_3repE0EEENS1_30default_config_static_selectorELNS0_4arch9wavefront6targetE1EEEvT1_
	.globl	_ZN7rocprim17ROCPRIM_400000_NS6detail17trampoline_kernelINS0_14default_configENS1_20scan_config_selectorI11FixedVectorIiLj1EEEEZZNS1_9scan_implILNS1_25lookback_scan_determinismE0ELb0ELb0ES3_N6thrust23THRUST_200600_302600_NS6detail15normal_iteratorINSB_10device_ptrIS6_EEEESG_S6_NSB_4plusIvEES6_EEDaPvRmT3_T4_T5_mT6_P12ihipStream_tbENKUlT_T0_E_clISt17integral_constantIbLb0EESV_IbLb1EEEEDaSR_SS_EUlSR_E0_NS1_11comp_targetILNS1_3genE9ELNS1_11target_archE1100ELNS1_3gpuE3ELNS1_3repE0EEENS1_30default_config_static_selectorELNS0_4arch9wavefront6targetE1EEEvT1_
	.p2align	8
	.type	_ZN7rocprim17ROCPRIM_400000_NS6detail17trampoline_kernelINS0_14default_configENS1_20scan_config_selectorI11FixedVectorIiLj1EEEEZZNS1_9scan_implILNS1_25lookback_scan_determinismE0ELb0ELb0ES3_N6thrust23THRUST_200600_302600_NS6detail15normal_iteratorINSB_10device_ptrIS6_EEEESG_S6_NSB_4plusIvEES6_EEDaPvRmT3_T4_T5_mT6_P12ihipStream_tbENKUlT_T0_E_clISt17integral_constantIbLb0EESV_IbLb1EEEEDaSR_SS_EUlSR_E0_NS1_11comp_targetILNS1_3genE9ELNS1_11target_archE1100ELNS1_3gpuE3ELNS1_3repE0EEENS1_30default_config_static_selectorELNS0_4arch9wavefront6targetE1EEEvT1_,@function
_ZN7rocprim17ROCPRIM_400000_NS6detail17trampoline_kernelINS0_14default_configENS1_20scan_config_selectorI11FixedVectorIiLj1EEEEZZNS1_9scan_implILNS1_25lookback_scan_determinismE0ELb0ELb0ES3_N6thrust23THRUST_200600_302600_NS6detail15normal_iteratorINSB_10device_ptrIS6_EEEESG_S6_NSB_4plusIvEES6_EEDaPvRmT3_T4_T5_mT6_P12ihipStream_tbENKUlT_T0_E_clISt17integral_constantIbLb0EESV_IbLb1EEEEDaSR_SS_EUlSR_E0_NS1_11comp_targetILNS1_3genE9ELNS1_11target_archE1100ELNS1_3gpuE3ELNS1_3repE0EEENS1_30default_config_static_selectorELNS0_4arch9wavefront6targetE1EEEvT1_: ; @_ZN7rocprim17ROCPRIM_400000_NS6detail17trampoline_kernelINS0_14default_configENS1_20scan_config_selectorI11FixedVectorIiLj1EEEEZZNS1_9scan_implILNS1_25lookback_scan_determinismE0ELb0ELb0ES3_N6thrust23THRUST_200600_302600_NS6detail15normal_iteratorINSB_10device_ptrIS6_EEEESG_S6_NSB_4plusIvEES6_EEDaPvRmT3_T4_T5_mT6_P12ihipStream_tbENKUlT_T0_E_clISt17integral_constantIbLb0EESV_IbLb1EEEEDaSR_SS_EUlSR_E0_NS1_11comp_targetILNS1_3genE9ELNS1_11target_archE1100ELNS1_3gpuE3ELNS1_3repE0EEENS1_30default_config_static_selectorELNS0_4arch9wavefront6targetE1EEEvT1_
; %bb.0:
	.section	.rodata,"a",@progbits
	.p2align	6, 0x0
	.amdhsa_kernel _ZN7rocprim17ROCPRIM_400000_NS6detail17trampoline_kernelINS0_14default_configENS1_20scan_config_selectorI11FixedVectorIiLj1EEEEZZNS1_9scan_implILNS1_25lookback_scan_determinismE0ELb0ELb0ES3_N6thrust23THRUST_200600_302600_NS6detail15normal_iteratorINSB_10device_ptrIS6_EEEESG_S6_NSB_4plusIvEES6_EEDaPvRmT3_T4_T5_mT6_P12ihipStream_tbENKUlT_T0_E_clISt17integral_constantIbLb0EESV_IbLb1EEEEDaSR_SS_EUlSR_E0_NS1_11comp_targetILNS1_3genE9ELNS1_11target_archE1100ELNS1_3gpuE3ELNS1_3repE0EEENS1_30default_config_static_selectorELNS0_4arch9wavefront6targetE1EEEvT1_
		.amdhsa_group_segment_fixed_size 0
		.amdhsa_private_segment_fixed_size 0
		.amdhsa_kernarg_size 32
		.amdhsa_user_sgpr_count 6
		.amdhsa_user_sgpr_private_segment_buffer 1
		.amdhsa_user_sgpr_dispatch_ptr 0
		.amdhsa_user_sgpr_queue_ptr 0
		.amdhsa_user_sgpr_kernarg_segment_ptr 1
		.amdhsa_user_sgpr_dispatch_id 0
		.amdhsa_user_sgpr_flat_scratch_init 0
		.amdhsa_user_sgpr_kernarg_preload_length 0
		.amdhsa_user_sgpr_kernarg_preload_offset 0
		.amdhsa_user_sgpr_private_segment_size 0
		.amdhsa_uses_dynamic_stack 0
		.amdhsa_system_sgpr_private_segment_wavefront_offset 0
		.amdhsa_system_sgpr_workgroup_id_x 1
		.amdhsa_system_sgpr_workgroup_id_y 0
		.amdhsa_system_sgpr_workgroup_id_z 0
		.amdhsa_system_sgpr_workgroup_info 0
		.amdhsa_system_vgpr_workitem_id 0
		.amdhsa_next_free_vgpr 1
		.amdhsa_next_free_sgpr 0
		.amdhsa_accum_offset 4
		.amdhsa_reserve_vcc 0
		.amdhsa_reserve_flat_scratch 0
		.amdhsa_float_round_mode_32 0
		.amdhsa_float_round_mode_16_64 0
		.amdhsa_float_denorm_mode_32 3
		.amdhsa_float_denorm_mode_16_64 3
		.amdhsa_dx10_clamp 1
		.amdhsa_ieee_mode 1
		.amdhsa_fp16_overflow 0
		.amdhsa_tg_split 0
		.amdhsa_exception_fp_ieee_invalid_op 0
		.amdhsa_exception_fp_denorm_src 0
		.amdhsa_exception_fp_ieee_div_zero 0
		.amdhsa_exception_fp_ieee_overflow 0
		.amdhsa_exception_fp_ieee_underflow 0
		.amdhsa_exception_fp_ieee_inexact 0
		.amdhsa_exception_int_div_zero 0
	.end_amdhsa_kernel
	.section	.text._ZN7rocprim17ROCPRIM_400000_NS6detail17trampoline_kernelINS0_14default_configENS1_20scan_config_selectorI11FixedVectorIiLj1EEEEZZNS1_9scan_implILNS1_25lookback_scan_determinismE0ELb0ELb0ES3_N6thrust23THRUST_200600_302600_NS6detail15normal_iteratorINSB_10device_ptrIS6_EEEESG_S6_NSB_4plusIvEES6_EEDaPvRmT3_T4_T5_mT6_P12ihipStream_tbENKUlT_T0_E_clISt17integral_constantIbLb0EESV_IbLb1EEEEDaSR_SS_EUlSR_E0_NS1_11comp_targetILNS1_3genE9ELNS1_11target_archE1100ELNS1_3gpuE3ELNS1_3repE0EEENS1_30default_config_static_selectorELNS0_4arch9wavefront6targetE1EEEvT1_,"axG",@progbits,_ZN7rocprim17ROCPRIM_400000_NS6detail17trampoline_kernelINS0_14default_configENS1_20scan_config_selectorI11FixedVectorIiLj1EEEEZZNS1_9scan_implILNS1_25lookback_scan_determinismE0ELb0ELb0ES3_N6thrust23THRUST_200600_302600_NS6detail15normal_iteratorINSB_10device_ptrIS6_EEEESG_S6_NSB_4plusIvEES6_EEDaPvRmT3_T4_T5_mT6_P12ihipStream_tbENKUlT_T0_E_clISt17integral_constantIbLb0EESV_IbLb1EEEEDaSR_SS_EUlSR_E0_NS1_11comp_targetILNS1_3genE9ELNS1_11target_archE1100ELNS1_3gpuE3ELNS1_3repE0EEENS1_30default_config_static_selectorELNS0_4arch9wavefront6targetE1EEEvT1_,comdat
.Lfunc_end6460:
	.size	_ZN7rocprim17ROCPRIM_400000_NS6detail17trampoline_kernelINS0_14default_configENS1_20scan_config_selectorI11FixedVectorIiLj1EEEEZZNS1_9scan_implILNS1_25lookback_scan_determinismE0ELb0ELb0ES3_N6thrust23THRUST_200600_302600_NS6detail15normal_iteratorINSB_10device_ptrIS6_EEEESG_S6_NSB_4plusIvEES6_EEDaPvRmT3_T4_T5_mT6_P12ihipStream_tbENKUlT_T0_E_clISt17integral_constantIbLb0EESV_IbLb1EEEEDaSR_SS_EUlSR_E0_NS1_11comp_targetILNS1_3genE9ELNS1_11target_archE1100ELNS1_3gpuE3ELNS1_3repE0EEENS1_30default_config_static_selectorELNS0_4arch9wavefront6targetE1EEEvT1_, .Lfunc_end6460-_ZN7rocprim17ROCPRIM_400000_NS6detail17trampoline_kernelINS0_14default_configENS1_20scan_config_selectorI11FixedVectorIiLj1EEEEZZNS1_9scan_implILNS1_25lookback_scan_determinismE0ELb0ELb0ES3_N6thrust23THRUST_200600_302600_NS6detail15normal_iteratorINSB_10device_ptrIS6_EEEESG_S6_NSB_4plusIvEES6_EEDaPvRmT3_T4_T5_mT6_P12ihipStream_tbENKUlT_T0_E_clISt17integral_constantIbLb0EESV_IbLb1EEEEDaSR_SS_EUlSR_E0_NS1_11comp_targetILNS1_3genE9ELNS1_11target_archE1100ELNS1_3gpuE3ELNS1_3repE0EEENS1_30default_config_static_selectorELNS0_4arch9wavefront6targetE1EEEvT1_
                                        ; -- End function
	.section	.AMDGPU.csdata,"",@progbits
; Kernel info:
; codeLenInByte = 0
; NumSgprs: 4
; NumVgprs: 0
; NumAgprs: 0
; TotalNumVgprs: 0
; ScratchSize: 0
; MemoryBound: 0
; FloatMode: 240
; IeeeMode: 1
; LDSByteSize: 0 bytes/workgroup (compile time only)
; SGPRBlocks: 0
; VGPRBlocks: 0
; NumSGPRsForWavesPerEU: 4
; NumVGPRsForWavesPerEU: 1
; AccumOffset: 4
; Occupancy: 8
; WaveLimiterHint : 0
; COMPUTE_PGM_RSRC2:SCRATCH_EN: 0
; COMPUTE_PGM_RSRC2:USER_SGPR: 6
; COMPUTE_PGM_RSRC2:TRAP_HANDLER: 0
; COMPUTE_PGM_RSRC2:TGID_X_EN: 1
; COMPUTE_PGM_RSRC2:TGID_Y_EN: 0
; COMPUTE_PGM_RSRC2:TGID_Z_EN: 0
; COMPUTE_PGM_RSRC2:TIDIG_COMP_CNT: 0
; COMPUTE_PGM_RSRC3_GFX90A:ACCUM_OFFSET: 0
; COMPUTE_PGM_RSRC3_GFX90A:TG_SPLIT: 0
	.section	.text._ZN7rocprim17ROCPRIM_400000_NS6detail17trampoline_kernelINS0_14default_configENS1_20scan_config_selectorI11FixedVectorIiLj1EEEEZZNS1_9scan_implILNS1_25lookback_scan_determinismE0ELb0ELb0ES3_N6thrust23THRUST_200600_302600_NS6detail15normal_iteratorINSB_10device_ptrIS6_EEEESG_S6_NSB_4plusIvEES6_EEDaPvRmT3_T4_T5_mT6_P12ihipStream_tbENKUlT_T0_E_clISt17integral_constantIbLb0EESV_IbLb1EEEEDaSR_SS_EUlSR_E0_NS1_11comp_targetILNS1_3genE8ELNS1_11target_archE1030ELNS1_3gpuE2ELNS1_3repE0EEENS1_30default_config_static_selectorELNS0_4arch9wavefront6targetE1EEEvT1_,"axG",@progbits,_ZN7rocprim17ROCPRIM_400000_NS6detail17trampoline_kernelINS0_14default_configENS1_20scan_config_selectorI11FixedVectorIiLj1EEEEZZNS1_9scan_implILNS1_25lookback_scan_determinismE0ELb0ELb0ES3_N6thrust23THRUST_200600_302600_NS6detail15normal_iteratorINSB_10device_ptrIS6_EEEESG_S6_NSB_4plusIvEES6_EEDaPvRmT3_T4_T5_mT6_P12ihipStream_tbENKUlT_T0_E_clISt17integral_constantIbLb0EESV_IbLb1EEEEDaSR_SS_EUlSR_E0_NS1_11comp_targetILNS1_3genE8ELNS1_11target_archE1030ELNS1_3gpuE2ELNS1_3repE0EEENS1_30default_config_static_selectorELNS0_4arch9wavefront6targetE1EEEvT1_,comdat
	.protected	_ZN7rocprim17ROCPRIM_400000_NS6detail17trampoline_kernelINS0_14default_configENS1_20scan_config_selectorI11FixedVectorIiLj1EEEEZZNS1_9scan_implILNS1_25lookback_scan_determinismE0ELb0ELb0ES3_N6thrust23THRUST_200600_302600_NS6detail15normal_iteratorINSB_10device_ptrIS6_EEEESG_S6_NSB_4plusIvEES6_EEDaPvRmT3_T4_T5_mT6_P12ihipStream_tbENKUlT_T0_E_clISt17integral_constantIbLb0EESV_IbLb1EEEEDaSR_SS_EUlSR_E0_NS1_11comp_targetILNS1_3genE8ELNS1_11target_archE1030ELNS1_3gpuE2ELNS1_3repE0EEENS1_30default_config_static_selectorELNS0_4arch9wavefront6targetE1EEEvT1_ ; -- Begin function _ZN7rocprim17ROCPRIM_400000_NS6detail17trampoline_kernelINS0_14default_configENS1_20scan_config_selectorI11FixedVectorIiLj1EEEEZZNS1_9scan_implILNS1_25lookback_scan_determinismE0ELb0ELb0ES3_N6thrust23THRUST_200600_302600_NS6detail15normal_iteratorINSB_10device_ptrIS6_EEEESG_S6_NSB_4plusIvEES6_EEDaPvRmT3_T4_T5_mT6_P12ihipStream_tbENKUlT_T0_E_clISt17integral_constantIbLb0EESV_IbLb1EEEEDaSR_SS_EUlSR_E0_NS1_11comp_targetILNS1_3genE8ELNS1_11target_archE1030ELNS1_3gpuE2ELNS1_3repE0EEENS1_30default_config_static_selectorELNS0_4arch9wavefront6targetE1EEEvT1_
	.globl	_ZN7rocprim17ROCPRIM_400000_NS6detail17trampoline_kernelINS0_14default_configENS1_20scan_config_selectorI11FixedVectorIiLj1EEEEZZNS1_9scan_implILNS1_25lookback_scan_determinismE0ELb0ELb0ES3_N6thrust23THRUST_200600_302600_NS6detail15normal_iteratorINSB_10device_ptrIS6_EEEESG_S6_NSB_4plusIvEES6_EEDaPvRmT3_T4_T5_mT6_P12ihipStream_tbENKUlT_T0_E_clISt17integral_constantIbLb0EESV_IbLb1EEEEDaSR_SS_EUlSR_E0_NS1_11comp_targetILNS1_3genE8ELNS1_11target_archE1030ELNS1_3gpuE2ELNS1_3repE0EEENS1_30default_config_static_selectorELNS0_4arch9wavefront6targetE1EEEvT1_
	.p2align	8
	.type	_ZN7rocprim17ROCPRIM_400000_NS6detail17trampoline_kernelINS0_14default_configENS1_20scan_config_selectorI11FixedVectorIiLj1EEEEZZNS1_9scan_implILNS1_25lookback_scan_determinismE0ELb0ELb0ES3_N6thrust23THRUST_200600_302600_NS6detail15normal_iteratorINSB_10device_ptrIS6_EEEESG_S6_NSB_4plusIvEES6_EEDaPvRmT3_T4_T5_mT6_P12ihipStream_tbENKUlT_T0_E_clISt17integral_constantIbLb0EESV_IbLb1EEEEDaSR_SS_EUlSR_E0_NS1_11comp_targetILNS1_3genE8ELNS1_11target_archE1030ELNS1_3gpuE2ELNS1_3repE0EEENS1_30default_config_static_selectorELNS0_4arch9wavefront6targetE1EEEvT1_,@function
_ZN7rocprim17ROCPRIM_400000_NS6detail17trampoline_kernelINS0_14default_configENS1_20scan_config_selectorI11FixedVectorIiLj1EEEEZZNS1_9scan_implILNS1_25lookback_scan_determinismE0ELb0ELb0ES3_N6thrust23THRUST_200600_302600_NS6detail15normal_iteratorINSB_10device_ptrIS6_EEEESG_S6_NSB_4plusIvEES6_EEDaPvRmT3_T4_T5_mT6_P12ihipStream_tbENKUlT_T0_E_clISt17integral_constantIbLb0EESV_IbLb1EEEEDaSR_SS_EUlSR_E0_NS1_11comp_targetILNS1_3genE8ELNS1_11target_archE1030ELNS1_3gpuE2ELNS1_3repE0EEENS1_30default_config_static_selectorELNS0_4arch9wavefront6targetE1EEEvT1_: ; @_ZN7rocprim17ROCPRIM_400000_NS6detail17trampoline_kernelINS0_14default_configENS1_20scan_config_selectorI11FixedVectorIiLj1EEEEZZNS1_9scan_implILNS1_25lookback_scan_determinismE0ELb0ELb0ES3_N6thrust23THRUST_200600_302600_NS6detail15normal_iteratorINSB_10device_ptrIS6_EEEESG_S6_NSB_4plusIvEES6_EEDaPvRmT3_T4_T5_mT6_P12ihipStream_tbENKUlT_T0_E_clISt17integral_constantIbLb0EESV_IbLb1EEEEDaSR_SS_EUlSR_E0_NS1_11comp_targetILNS1_3genE8ELNS1_11target_archE1030ELNS1_3gpuE2ELNS1_3repE0EEENS1_30default_config_static_selectorELNS0_4arch9wavefront6targetE1EEEvT1_
; %bb.0:
	.section	.rodata,"a",@progbits
	.p2align	6, 0x0
	.amdhsa_kernel _ZN7rocprim17ROCPRIM_400000_NS6detail17trampoline_kernelINS0_14default_configENS1_20scan_config_selectorI11FixedVectorIiLj1EEEEZZNS1_9scan_implILNS1_25lookback_scan_determinismE0ELb0ELb0ES3_N6thrust23THRUST_200600_302600_NS6detail15normal_iteratorINSB_10device_ptrIS6_EEEESG_S6_NSB_4plusIvEES6_EEDaPvRmT3_T4_T5_mT6_P12ihipStream_tbENKUlT_T0_E_clISt17integral_constantIbLb0EESV_IbLb1EEEEDaSR_SS_EUlSR_E0_NS1_11comp_targetILNS1_3genE8ELNS1_11target_archE1030ELNS1_3gpuE2ELNS1_3repE0EEENS1_30default_config_static_selectorELNS0_4arch9wavefront6targetE1EEEvT1_
		.amdhsa_group_segment_fixed_size 0
		.amdhsa_private_segment_fixed_size 0
		.amdhsa_kernarg_size 32
		.amdhsa_user_sgpr_count 6
		.amdhsa_user_sgpr_private_segment_buffer 1
		.amdhsa_user_sgpr_dispatch_ptr 0
		.amdhsa_user_sgpr_queue_ptr 0
		.amdhsa_user_sgpr_kernarg_segment_ptr 1
		.amdhsa_user_sgpr_dispatch_id 0
		.amdhsa_user_sgpr_flat_scratch_init 0
		.amdhsa_user_sgpr_kernarg_preload_length 0
		.amdhsa_user_sgpr_kernarg_preload_offset 0
		.amdhsa_user_sgpr_private_segment_size 0
		.amdhsa_uses_dynamic_stack 0
		.amdhsa_system_sgpr_private_segment_wavefront_offset 0
		.amdhsa_system_sgpr_workgroup_id_x 1
		.amdhsa_system_sgpr_workgroup_id_y 0
		.amdhsa_system_sgpr_workgroup_id_z 0
		.amdhsa_system_sgpr_workgroup_info 0
		.amdhsa_system_vgpr_workitem_id 0
		.amdhsa_next_free_vgpr 1
		.amdhsa_next_free_sgpr 0
		.amdhsa_accum_offset 4
		.amdhsa_reserve_vcc 0
		.amdhsa_reserve_flat_scratch 0
		.amdhsa_float_round_mode_32 0
		.amdhsa_float_round_mode_16_64 0
		.amdhsa_float_denorm_mode_32 3
		.amdhsa_float_denorm_mode_16_64 3
		.amdhsa_dx10_clamp 1
		.amdhsa_ieee_mode 1
		.amdhsa_fp16_overflow 0
		.amdhsa_tg_split 0
		.amdhsa_exception_fp_ieee_invalid_op 0
		.amdhsa_exception_fp_denorm_src 0
		.amdhsa_exception_fp_ieee_div_zero 0
		.amdhsa_exception_fp_ieee_overflow 0
		.amdhsa_exception_fp_ieee_underflow 0
		.amdhsa_exception_fp_ieee_inexact 0
		.amdhsa_exception_int_div_zero 0
	.end_amdhsa_kernel
	.section	.text._ZN7rocprim17ROCPRIM_400000_NS6detail17trampoline_kernelINS0_14default_configENS1_20scan_config_selectorI11FixedVectorIiLj1EEEEZZNS1_9scan_implILNS1_25lookback_scan_determinismE0ELb0ELb0ES3_N6thrust23THRUST_200600_302600_NS6detail15normal_iteratorINSB_10device_ptrIS6_EEEESG_S6_NSB_4plusIvEES6_EEDaPvRmT3_T4_T5_mT6_P12ihipStream_tbENKUlT_T0_E_clISt17integral_constantIbLb0EESV_IbLb1EEEEDaSR_SS_EUlSR_E0_NS1_11comp_targetILNS1_3genE8ELNS1_11target_archE1030ELNS1_3gpuE2ELNS1_3repE0EEENS1_30default_config_static_selectorELNS0_4arch9wavefront6targetE1EEEvT1_,"axG",@progbits,_ZN7rocprim17ROCPRIM_400000_NS6detail17trampoline_kernelINS0_14default_configENS1_20scan_config_selectorI11FixedVectorIiLj1EEEEZZNS1_9scan_implILNS1_25lookback_scan_determinismE0ELb0ELb0ES3_N6thrust23THRUST_200600_302600_NS6detail15normal_iteratorINSB_10device_ptrIS6_EEEESG_S6_NSB_4plusIvEES6_EEDaPvRmT3_T4_T5_mT6_P12ihipStream_tbENKUlT_T0_E_clISt17integral_constantIbLb0EESV_IbLb1EEEEDaSR_SS_EUlSR_E0_NS1_11comp_targetILNS1_3genE8ELNS1_11target_archE1030ELNS1_3gpuE2ELNS1_3repE0EEENS1_30default_config_static_selectorELNS0_4arch9wavefront6targetE1EEEvT1_,comdat
.Lfunc_end6461:
	.size	_ZN7rocprim17ROCPRIM_400000_NS6detail17trampoline_kernelINS0_14default_configENS1_20scan_config_selectorI11FixedVectorIiLj1EEEEZZNS1_9scan_implILNS1_25lookback_scan_determinismE0ELb0ELb0ES3_N6thrust23THRUST_200600_302600_NS6detail15normal_iteratorINSB_10device_ptrIS6_EEEESG_S6_NSB_4plusIvEES6_EEDaPvRmT3_T4_T5_mT6_P12ihipStream_tbENKUlT_T0_E_clISt17integral_constantIbLb0EESV_IbLb1EEEEDaSR_SS_EUlSR_E0_NS1_11comp_targetILNS1_3genE8ELNS1_11target_archE1030ELNS1_3gpuE2ELNS1_3repE0EEENS1_30default_config_static_selectorELNS0_4arch9wavefront6targetE1EEEvT1_, .Lfunc_end6461-_ZN7rocprim17ROCPRIM_400000_NS6detail17trampoline_kernelINS0_14default_configENS1_20scan_config_selectorI11FixedVectorIiLj1EEEEZZNS1_9scan_implILNS1_25lookback_scan_determinismE0ELb0ELb0ES3_N6thrust23THRUST_200600_302600_NS6detail15normal_iteratorINSB_10device_ptrIS6_EEEESG_S6_NSB_4plusIvEES6_EEDaPvRmT3_T4_T5_mT6_P12ihipStream_tbENKUlT_T0_E_clISt17integral_constantIbLb0EESV_IbLb1EEEEDaSR_SS_EUlSR_E0_NS1_11comp_targetILNS1_3genE8ELNS1_11target_archE1030ELNS1_3gpuE2ELNS1_3repE0EEENS1_30default_config_static_selectorELNS0_4arch9wavefront6targetE1EEEvT1_
                                        ; -- End function
	.section	.AMDGPU.csdata,"",@progbits
; Kernel info:
; codeLenInByte = 0
; NumSgprs: 4
; NumVgprs: 0
; NumAgprs: 0
; TotalNumVgprs: 0
; ScratchSize: 0
; MemoryBound: 0
; FloatMode: 240
; IeeeMode: 1
; LDSByteSize: 0 bytes/workgroup (compile time only)
; SGPRBlocks: 0
; VGPRBlocks: 0
; NumSGPRsForWavesPerEU: 4
; NumVGPRsForWavesPerEU: 1
; AccumOffset: 4
; Occupancy: 8
; WaveLimiterHint : 0
; COMPUTE_PGM_RSRC2:SCRATCH_EN: 0
; COMPUTE_PGM_RSRC2:USER_SGPR: 6
; COMPUTE_PGM_RSRC2:TRAP_HANDLER: 0
; COMPUTE_PGM_RSRC2:TGID_X_EN: 1
; COMPUTE_PGM_RSRC2:TGID_Y_EN: 0
; COMPUTE_PGM_RSRC2:TGID_Z_EN: 0
; COMPUTE_PGM_RSRC2:TIDIG_COMP_CNT: 0
; COMPUTE_PGM_RSRC3_GFX90A:ACCUM_OFFSET: 0
; COMPUTE_PGM_RSRC3_GFX90A:TG_SPLIT: 0
	.section	.text._ZN7rocprim17ROCPRIM_400000_NS6detail17trampoline_kernelINS0_14default_configENS1_20scan_config_selectorI11FixedVectorIiLj1EEEEZZNS1_9scan_implILNS1_25lookback_scan_determinismE0ELb1ELb1ES3_N6thrust23THRUST_200600_302600_NS6detail15normal_iteratorINSB_10device_ptrIS6_EEEESG_S6_NSB_4plusIvEES6_EEDaPvRmT3_T4_T5_mT6_P12ihipStream_tbENKUlT_T0_E_clISt17integral_constantIbLb0EESW_EEDaSR_SS_EUlSR_E_NS1_11comp_targetILNS1_3genE0ELNS1_11target_archE4294967295ELNS1_3gpuE0ELNS1_3repE0EEENS1_30default_config_static_selectorELNS0_4arch9wavefront6targetE1EEEvT1_,"axG",@progbits,_ZN7rocprim17ROCPRIM_400000_NS6detail17trampoline_kernelINS0_14default_configENS1_20scan_config_selectorI11FixedVectorIiLj1EEEEZZNS1_9scan_implILNS1_25lookback_scan_determinismE0ELb1ELb1ES3_N6thrust23THRUST_200600_302600_NS6detail15normal_iteratorINSB_10device_ptrIS6_EEEESG_S6_NSB_4plusIvEES6_EEDaPvRmT3_T4_T5_mT6_P12ihipStream_tbENKUlT_T0_E_clISt17integral_constantIbLb0EESW_EEDaSR_SS_EUlSR_E_NS1_11comp_targetILNS1_3genE0ELNS1_11target_archE4294967295ELNS1_3gpuE0ELNS1_3repE0EEENS1_30default_config_static_selectorELNS0_4arch9wavefront6targetE1EEEvT1_,comdat
	.protected	_ZN7rocprim17ROCPRIM_400000_NS6detail17trampoline_kernelINS0_14default_configENS1_20scan_config_selectorI11FixedVectorIiLj1EEEEZZNS1_9scan_implILNS1_25lookback_scan_determinismE0ELb1ELb1ES3_N6thrust23THRUST_200600_302600_NS6detail15normal_iteratorINSB_10device_ptrIS6_EEEESG_S6_NSB_4plusIvEES6_EEDaPvRmT3_T4_T5_mT6_P12ihipStream_tbENKUlT_T0_E_clISt17integral_constantIbLb0EESW_EEDaSR_SS_EUlSR_E_NS1_11comp_targetILNS1_3genE0ELNS1_11target_archE4294967295ELNS1_3gpuE0ELNS1_3repE0EEENS1_30default_config_static_selectorELNS0_4arch9wavefront6targetE1EEEvT1_ ; -- Begin function _ZN7rocprim17ROCPRIM_400000_NS6detail17trampoline_kernelINS0_14default_configENS1_20scan_config_selectorI11FixedVectorIiLj1EEEEZZNS1_9scan_implILNS1_25lookback_scan_determinismE0ELb1ELb1ES3_N6thrust23THRUST_200600_302600_NS6detail15normal_iteratorINSB_10device_ptrIS6_EEEESG_S6_NSB_4plusIvEES6_EEDaPvRmT3_T4_T5_mT6_P12ihipStream_tbENKUlT_T0_E_clISt17integral_constantIbLb0EESW_EEDaSR_SS_EUlSR_E_NS1_11comp_targetILNS1_3genE0ELNS1_11target_archE4294967295ELNS1_3gpuE0ELNS1_3repE0EEENS1_30default_config_static_selectorELNS0_4arch9wavefront6targetE1EEEvT1_
	.globl	_ZN7rocprim17ROCPRIM_400000_NS6detail17trampoline_kernelINS0_14default_configENS1_20scan_config_selectorI11FixedVectorIiLj1EEEEZZNS1_9scan_implILNS1_25lookback_scan_determinismE0ELb1ELb1ES3_N6thrust23THRUST_200600_302600_NS6detail15normal_iteratorINSB_10device_ptrIS6_EEEESG_S6_NSB_4plusIvEES6_EEDaPvRmT3_T4_T5_mT6_P12ihipStream_tbENKUlT_T0_E_clISt17integral_constantIbLb0EESW_EEDaSR_SS_EUlSR_E_NS1_11comp_targetILNS1_3genE0ELNS1_11target_archE4294967295ELNS1_3gpuE0ELNS1_3repE0EEENS1_30default_config_static_selectorELNS0_4arch9wavefront6targetE1EEEvT1_
	.p2align	8
	.type	_ZN7rocprim17ROCPRIM_400000_NS6detail17trampoline_kernelINS0_14default_configENS1_20scan_config_selectorI11FixedVectorIiLj1EEEEZZNS1_9scan_implILNS1_25lookback_scan_determinismE0ELb1ELb1ES3_N6thrust23THRUST_200600_302600_NS6detail15normal_iteratorINSB_10device_ptrIS6_EEEESG_S6_NSB_4plusIvEES6_EEDaPvRmT3_T4_T5_mT6_P12ihipStream_tbENKUlT_T0_E_clISt17integral_constantIbLb0EESW_EEDaSR_SS_EUlSR_E_NS1_11comp_targetILNS1_3genE0ELNS1_11target_archE4294967295ELNS1_3gpuE0ELNS1_3repE0EEENS1_30default_config_static_selectorELNS0_4arch9wavefront6targetE1EEEvT1_,@function
_ZN7rocprim17ROCPRIM_400000_NS6detail17trampoline_kernelINS0_14default_configENS1_20scan_config_selectorI11FixedVectorIiLj1EEEEZZNS1_9scan_implILNS1_25lookback_scan_determinismE0ELb1ELb1ES3_N6thrust23THRUST_200600_302600_NS6detail15normal_iteratorINSB_10device_ptrIS6_EEEESG_S6_NSB_4plusIvEES6_EEDaPvRmT3_T4_T5_mT6_P12ihipStream_tbENKUlT_T0_E_clISt17integral_constantIbLb0EESW_EEDaSR_SS_EUlSR_E_NS1_11comp_targetILNS1_3genE0ELNS1_11target_archE4294967295ELNS1_3gpuE0ELNS1_3repE0EEENS1_30default_config_static_selectorELNS0_4arch9wavefront6targetE1EEEvT1_: ; @_ZN7rocprim17ROCPRIM_400000_NS6detail17trampoline_kernelINS0_14default_configENS1_20scan_config_selectorI11FixedVectorIiLj1EEEEZZNS1_9scan_implILNS1_25lookback_scan_determinismE0ELb1ELb1ES3_N6thrust23THRUST_200600_302600_NS6detail15normal_iteratorINSB_10device_ptrIS6_EEEESG_S6_NSB_4plusIvEES6_EEDaPvRmT3_T4_T5_mT6_P12ihipStream_tbENKUlT_T0_E_clISt17integral_constantIbLb0EESW_EEDaSR_SS_EUlSR_E_NS1_11comp_targetILNS1_3genE0ELNS1_11target_archE4294967295ELNS1_3gpuE0ELNS1_3repE0EEENS1_30default_config_static_selectorELNS0_4arch9wavefront6targetE1EEEvT1_
; %bb.0:
	.section	.rodata,"a",@progbits
	.p2align	6, 0x0
	.amdhsa_kernel _ZN7rocprim17ROCPRIM_400000_NS6detail17trampoline_kernelINS0_14default_configENS1_20scan_config_selectorI11FixedVectorIiLj1EEEEZZNS1_9scan_implILNS1_25lookback_scan_determinismE0ELb1ELb1ES3_N6thrust23THRUST_200600_302600_NS6detail15normal_iteratorINSB_10device_ptrIS6_EEEESG_S6_NSB_4plusIvEES6_EEDaPvRmT3_T4_T5_mT6_P12ihipStream_tbENKUlT_T0_E_clISt17integral_constantIbLb0EESW_EEDaSR_SS_EUlSR_E_NS1_11comp_targetILNS1_3genE0ELNS1_11target_archE4294967295ELNS1_3gpuE0ELNS1_3repE0EEENS1_30default_config_static_selectorELNS0_4arch9wavefront6targetE1EEEvT1_
		.amdhsa_group_segment_fixed_size 0
		.amdhsa_private_segment_fixed_size 0
		.amdhsa_kernarg_size 96
		.amdhsa_user_sgpr_count 6
		.amdhsa_user_sgpr_private_segment_buffer 1
		.amdhsa_user_sgpr_dispatch_ptr 0
		.amdhsa_user_sgpr_queue_ptr 0
		.amdhsa_user_sgpr_kernarg_segment_ptr 1
		.amdhsa_user_sgpr_dispatch_id 0
		.amdhsa_user_sgpr_flat_scratch_init 0
		.amdhsa_user_sgpr_kernarg_preload_length 0
		.amdhsa_user_sgpr_kernarg_preload_offset 0
		.amdhsa_user_sgpr_private_segment_size 0
		.amdhsa_uses_dynamic_stack 0
		.amdhsa_system_sgpr_private_segment_wavefront_offset 0
		.amdhsa_system_sgpr_workgroup_id_x 1
		.amdhsa_system_sgpr_workgroup_id_y 0
		.amdhsa_system_sgpr_workgroup_id_z 0
		.amdhsa_system_sgpr_workgroup_info 0
		.amdhsa_system_vgpr_workitem_id 0
		.amdhsa_next_free_vgpr 1
		.amdhsa_next_free_sgpr 0
		.amdhsa_accum_offset 4
		.amdhsa_reserve_vcc 0
		.amdhsa_reserve_flat_scratch 0
		.amdhsa_float_round_mode_32 0
		.amdhsa_float_round_mode_16_64 0
		.amdhsa_float_denorm_mode_32 3
		.amdhsa_float_denorm_mode_16_64 3
		.amdhsa_dx10_clamp 1
		.amdhsa_ieee_mode 1
		.amdhsa_fp16_overflow 0
		.amdhsa_tg_split 0
		.amdhsa_exception_fp_ieee_invalid_op 0
		.amdhsa_exception_fp_denorm_src 0
		.amdhsa_exception_fp_ieee_div_zero 0
		.amdhsa_exception_fp_ieee_overflow 0
		.amdhsa_exception_fp_ieee_underflow 0
		.amdhsa_exception_fp_ieee_inexact 0
		.amdhsa_exception_int_div_zero 0
	.end_amdhsa_kernel
	.section	.text._ZN7rocprim17ROCPRIM_400000_NS6detail17trampoline_kernelINS0_14default_configENS1_20scan_config_selectorI11FixedVectorIiLj1EEEEZZNS1_9scan_implILNS1_25lookback_scan_determinismE0ELb1ELb1ES3_N6thrust23THRUST_200600_302600_NS6detail15normal_iteratorINSB_10device_ptrIS6_EEEESG_S6_NSB_4plusIvEES6_EEDaPvRmT3_T4_T5_mT6_P12ihipStream_tbENKUlT_T0_E_clISt17integral_constantIbLb0EESW_EEDaSR_SS_EUlSR_E_NS1_11comp_targetILNS1_3genE0ELNS1_11target_archE4294967295ELNS1_3gpuE0ELNS1_3repE0EEENS1_30default_config_static_selectorELNS0_4arch9wavefront6targetE1EEEvT1_,"axG",@progbits,_ZN7rocprim17ROCPRIM_400000_NS6detail17trampoline_kernelINS0_14default_configENS1_20scan_config_selectorI11FixedVectorIiLj1EEEEZZNS1_9scan_implILNS1_25lookback_scan_determinismE0ELb1ELb1ES3_N6thrust23THRUST_200600_302600_NS6detail15normal_iteratorINSB_10device_ptrIS6_EEEESG_S6_NSB_4plusIvEES6_EEDaPvRmT3_T4_T5_mT6_P12ihipStream_tbENKUlT_T0_E_clISt17integral_constantIbLb0EESW_EEDaSR_SS_EUlSR_E_NS1_11comp_targetILNS1_3genE0ELNS1_11target_archE4294967295ELNS1_3gpuE0ELNS1_3repE0EEENS1_30default_config_static_selectorELNS0_4arch9wavefront6targetE1EEEvT1_,comdat
.Lfunc_end6462:
	.size	_ZN7rocprim17ROCPRIM_400000_NS6detail17trampoline_kernelINS0_14default_configENS1_20scan_config_selectorI11FixedVectorIiLj1EEEEZZNS1_9scan_implILNS1_25lookback_scan_determinismE0ELb1ELb1ES3_N6thrust23THRUST_200600_302600_NS6detail15normal_iteratorINSB_10device_ptrIS6_EEEESG_S6_NSB_4plusIvEES6_EEDaPvRmT3_T4_T5_mT6_P12ihipStream_tbENKUlT_T0_E_clISt17integral_constantIbLb0EESW_EEDaSR_SS_EUlSR_E_NS1_11comp_targetILNS1_3genE0ELNS1_11target_archE4294967295ELNS1_3gpuE0ELNS1_3repE0EEENS1_30default_config_static_selectorELNS0_4arch9wavefront6targetE1EEEvT1_, .Lfunc_end6462-_ZN7rocprim17ROCPRIM_400000_NS6detail17trampoline_kernelINS0_14default_configENS1_20scan_config_selectorI11FixedVectorIiLj1EEEEZZNS1_9scan_implILNS1_25lookback_scan_determinismE0ELb1ELb1ES3_N6thrust23THRUST_200600_302600_NS6detail15normal_iteratorINSB_10device_ptrIS6_EEEESG_S6_NSB_4plusIvEES6_EEDaPvRmT3_T4_T5_mT6_P12ihipStream_tbENKUlT_T0_E_clISt17integral_constantIbLb0EESW_EEDaSR_SS_EUlSR_E_NS1_11comp_targetILNS1_3genE0ELNS1_11target_archE4294967295ELNS1_3gpuE0ELNS1_3repE0EEENS1_30default_config_static_selectorELNS0_4arch9wavefront6targetE1EEEvT1_
                                        ; -- End function
	.section	.AMDGPU.csdata,"",@progbits
; Kernel info:
; codeLenInByte = 0
; NumSgprs: 4
; NumVgprs: 0
; NumAgprs: 0
; TotalNumVgprs: 0
; ScratchSize: 0
; MemoryBound: 0
; FloatMode: 240
; IeeeMode: 1
; LDSByteSize: 0 bytes/workgroup (compile time only)
; SGPRBlocks: 0
; VGPRBlocks: 0
; NumSGPRsForWavesPerEU: 4
; NumVGPRsForWavesPerEU: 1
; AccumOffset: 4
; Occupancy: 8
; WaveLimiterHint : 0
; COMPUTE_PGM_RSRC2:SCRATCH_EN: 0
; COMPUTE_PGM_RSRC2:USER_SGPR: 6
; COMPUTE_PGM_RSRC2:TRAP_HANDLER: 0
; COMPUTE_PGM_RSRC2:TGID_X_EN: 1
; COMPUTE_PGM_RSRC2:TGID_Y_EN: 0
; COMPUTE_PGM_RSRC2:TGID_Z_EN: 0
; COMPUTE_PGM_RSRC2:TIDIG_COMP_CNT: 0
; COMPUTE_PGM_RSRC3_GFX90A:ACCUM_OFFSET: 0
; COMPUTE_PGM_RSRC3_GFX90A:TG_SPLIT: 0
	.section	.text._ZN7rocprim17ROCPRIM_400000_NS6detail17trampoline_kernelINS0_14default_configENS1_20scan_config_selectorI11FixedVectorIiLj1EEEEZZNS1_9scan_implILNS1_25lookback_scan_determinismE0ELb1ELb1ES3_N6thrust23THRUST_200600_302600_NS6detail15normal_iteratorINSB_10device_ptrIS6_EEEESG_S6_NSB_4plusIvEES6_EEDaPvRmT3_T4_T5_mT6_P12ihipStream_tbENKUlT_T0_E_clISt17integral_constantIbLb0EESW_EEDaSR_SS_EUlSR_E_NS1_11comp_targetILNS1_3genE5ELNS1_11target_archE942ELNS1_3gpuE9ELNS1_3repE0EEENS1_30default_config_static_selectorELNS0_4arch9wavefront6targetE1EEEvT1_,"axG",@progbits,_ZN7rocprim17ROCPRIM_400000_NS6detail17trampoline_kernelINS0_14default_configENS1_20scan_config_selectorI11FixedVectorIiLj1EEEEZZNS1_9scan_implILNS1_25lookback_scan_determinismE0ELb1ELb1ES3_N6thrust23THRUST_200600_302600_NS6detail15normal_iteratorINSB_10device_ptrIS6_EEEESG_S6_NSB_4plusIvEES6_EEDaPvRmT3_T4_T5_mT6_P12ihipStream_tbENKUlT_T0_E_clISt17integral_constantIbLb0EESW_EEDaSR_SS_EUlSR_E_NS1_11comp_targetILNS1_3genE5ELNS1_11target_archE942ELNS1_3gpuE9ELNS1_3repE0EEENS1_30default_config_static_selectorELNS0_4arch9wavefront6targetE1EEEvT1_,comdat
	.protected	_ZN7rocprim17ROCPRIM_400000_NS6detail17trampoline_kernelINS0_14default_configENS1_20scan_config_selectorI11FixedVectorIiLj1EEEEZZNS1_9scan_implILNS1_25lookback_scan_determinismE0ELb1ELb1ES3_N6thrust23THRUST_200600_302600_NS6detail15normal_iteratorINSB_10device_ptrIS6_EEEESG_S6_NSB_4plusIvEES6_EEDaPvRmT3_T4_T5_mT6_P12ihipStream_tbENKUlT_T0_E_clISt17integral_constantIbLb0EESW_EEDaSR_SS_EUlSR_E_NS1_11comp_targetILNS1_3genE5ELNS1_11target_archE942ELNS1_3gpuE9ELNS1_3repE0EEENS1_30default_config_static_selectorELNS0_4arch9wavefront6targetE1EEEvT1_ ; -- Begin function _ZN7rocprim17ROCPRIM_400000_NS6detail17trampoline_kernelINS0_14default_configENS1_20scan_config_selectorI11FixedVectorIiLj1EEEEZZNS1_9scan_implILNS1_25lookback_scan_determinismE0ELb1ELb1ES3_N6thrust23THRUST_200600_302600_NS6detail15normal_iteratorINSB_10device_ptrIS6_EEEESG_S6_NSB_4plusIvEES6_EEDaPvRmT3_T4_T5_mT6_P12ihipStream_tbENKUlT_T0_E_clISt17integral_constantIbLb0EESW_EEDaSR_SS_EUlSR_E_NS1_11comp_targetILNS1_3genE5ELNS1_11target_archE942ELNS1_3gpuE9ELNS1_3repE0EEENS1_30default_config_static_selectorELNS0_4arch9wavefront6targetE1EEEvT1_
	.globl	_ZN7rocprim17ROCPRIM_400000_NS6detail17trampoline_kernelINS0_14default_configENS1_20scan_config_selectorI11FixedVectorIiLj1EEEEZZNS1_9scan_implILNS1_25lookback_scan_determinismE0ELb1ELb1ES3_N6thrust23THRUST_200600_302600_NS6detail15normal_iteratorINSB_10device_ptrIS6_EEEESG_S6_NSB_4plusIvEES6_EEDaPvRmT3_T4_T5_mT6_P12ihipStream_tbENKUlT_T0_E_clISt17integral_constantIbLb0EESW_EEDaSR_SS_EUlSR_E_NS1_11comp_targetILNS1_3genE5ELNS1_11target_archE942ELNS1_3gpuE9ELNS1_3repE0EEENS1_30default_config_static_selectorELNS0_4arch9wavefront6targetE1EEEvT1_
	.p2align	8
	.type	_ZN7rocprim17ROCPRIM_400000_NS6detail17trampoline_kernelINS0_14default_configENS1_20scan_config_selectorI11FixedVectorIiLj1EEEEZZNS1_9scan_implILNS1_25lookback_scan_determinismE0ELb1ELb1ES3_N6thrust23THRUST_200600_302600_NS6detail15normal_iteratorINSB_10device_ptrIS6_EEEESG_S6_NSB_4plusIvEES6_EEDaPvRmT3_T4_T5_mT6_P12ihipStream_tbENKUlT_T0_E_clISt17integral_constantIbLb0EESW_EEDaSR_SS_EUlSR_E_NS1_11comp_targetILNS1_3genE5ELNS1_11target_archE942ELNS1_3gpuE9ELNS1_3repE0EEENS1_30default_config_static_selectorELNS0_4arch9wavefront6targetE1EEEvT1_,@function
_ZN7rocprim17ROCPRIM_400000_NS6detail17trampoline_kernelINS0_14default_configENS1_20scan_config_selectorI11FixedVectorIiLj1EEEEZZNS1_9scan_implILNS1_25lookback_scan_determinismE0ELb1ELb1ES3_N6thrust23THRUST_200600_302600_NS6detail15normal_iteratorINSB_10device_ptrIS6_EEEESG_S6_NSB_4plusIvEES6_EEDaPvRmT3_T4_T5_mT6_P12ihipStream_tbENKUlT_T0_E_clISt17integral_constantIbLb0EESW_EEDaSR_SS_EUlSR_E_NS1_11comp_targetILNS1_3genE5ELNS1_11target_archE942ELNS1_3gpuE9ELNS1_3repE0EEENS1_30default_config_static_selectorELNS0_4arch9wavefront6targetE1EEEvT1_: ; @_ZN7rocprim17ROCPRIM_400000_NS6detail17trampoline_kernelINS0_14default_configENS1_20scan_config_selectorI11FixedVectorIiLj1EEEEZZNS1_9scan_implILNS1_25lookback_scan_determinismE0ELb1ELb1ES3_N6thrust23THRUST_200600_302600_NS6detail15normal_iteratorINSB_10device_ptrIS6_EEEESG_S6_NSB_4plusIvEES6_EEDaPvRmT3_T4_T5_mT6_P12ihipStream_tbENKUlT_T0_E_clISt17integral_constantIbLb0EESW_EEDaSR_SS_EUlSR_E_NS1_11comp_targetILNS1_3genE5ELNS1_11target_archE942ELNS1_3gpuE9ELNS1_3repE0EEENS1_30default_config_static_selectorELNS0_4arch9wavefront6targetE1EEEvT1_
; %bb.0:
	.section	.rodata,"a",@progbits
	.p2align	6, 0x0
	.amdhsa_kernel _ZN7rocprim17ROCPRIM_400000_NS6detail17trampoline_kernelINS0_14default_configENS1_20scan_config_selectorI11FixedVectorIiLj1EEEEZZNS1_9scan_implILNS1_25lookback_scan_determinismE0ELb1ELb1ES3_N6thrust23THRUST_200600_302600_NS6detail15normal_iteratorINSB_10device_ptrIS6_EEEESG_S6_NSB_4plusIvEES6_EEDaPvRmT3_T4_T5_mT6_P12ihipStream_tbENKUlT_T0_E_clISt17integral_constantIbLb0EESW_EEDaSR_SS_EUlSR_E_NS1_11comp_targetILNS1_3genE5ELNS1_11target_archE942ELNS1_3gpuE9ELNS1_3repE0EEENS1_30default_config_static_selectorELNS0_4arch9wavefront6targetE1EEEvT1_
		.amdhsa_group_segment_fixed_size 0
		.amdhsa_private_segment_fixed_size 0
		.amdhsa_kernarg_size 96
		.amdhsa_user_sgpr_count 6
		.amdhsa_user_sgpr_private_segment_buffer 1
		.amdhsa_user_sgpr_dispatch_ptr 0
		.amdhsa_user_sgpr_queue_ptr 0
		.amdhsa_user_sgpr_kernarg_segment_ptr 1
		.amdhsa_user_sgpr_dispatch_id 0
		.amdhsa_user_sgpr_flat_scratch_init 0
		.amdhsa_user_sgpr_kernarg_preload_length 0
		.amdhsa_user_sgpr_kernarg_preload_offset 0
		.amdhsa_user_sgpr_private_segment_size 0
		.amdhsa_uses_dynamic_stack 0
		.amdhsa_system_sgpr_private_segment_wavefront_offset 0
		.amdhsa_system_sgpr_workgroup_id_x 1
		.amdhsa_system_sgpr_workgroup_id_y 0
		.amdhsa_system_sgpr_workgroup_id_z 0
		.amdhsa_system_sgpr_workgroup_info 0
		.amdhsa_system_vgpr_workitem_id 0
		.amdhsa_next_free_vgpr 1
		.amdhsa_next_free_sgpr 0
		.amdhsa_accum_offset 4
		.amdhsa_reserve_vcc 0
		.amdhsa_reserve_flat_scratch 0
		.amdhsa_float_round_mode_32 0
		.amdhsa_float_round_mode_16_64 0
		.amdhsa_float_denorm_mode_32 3
		.amdhsa_float_denorm_mode_16_64 3
		.amdhsa_dx10_clamp 1
		.amdhsa_ieee_mode 1
		.amdhsa_fp16_overflow 0
		.amdhsa_tg_split 0
		.amdhsa_exception_fp_ieee_invalid_op 0
		.amdhsa_exception_fp_denorm_src 0
		.amdhsa_exception_fp_ieee_div_zero 0
		.amdhsa_exception_fp_ieee_overflow 0
		.amdhsa_exception_fp_ieee_underflow 0
		.amdhsa_exception_fp_ieee_inexact 0
		.amdhsa_exception_int_div_zero 0
	.end_amdhsa_kernel
	.section	.text._ZN7rocprim17ROCPRIM_400000_NS6detail17trampoline_kernelINS0_14default_configENS1_20scan_config_selectorI11FixedVectorIiLj1EEEEZZNS1_9scan_implILNS1_25lookback_scan_determinismE0ELb1ELb1ES3_N6thrust23THRUST_200600_302600_NS6detail15normal_iteratorINSB_10device_ptrIS6_EEEESG_S6_NSB_4plusIvEES6_EEDaPvRmT3_T4_T5_mT6_P12ihipStream_tbENKUlT_T0_E_clISt17integral_constantIbLb0EESW_EEDaSR_SS_EUlSR_E_NS1_11comp_targetILNS1_3genE5ELNS1_11target_archE942ELNS1_3gpuE9ELNS1_3repE0EEENS1_30default_config_static_selectorELNS0_4arch9wavefront6targetE1EEEvT1_,"axG",@progbits,_ZN7rocprim17ROCPRIM_400000_NS6detail17trampoline_kernelINS0_14default_configENS1_20scan_config_selectorI11FixedVectorIiLj1EEEEZZNS1_9scan_implILNS1_25lookback_scan_determinismE0ELb1ELb1ES3_N6thrust23THRUST_200600_302600_NS6detail15normal_iteratorINSB_10device_ptrIS6_EEEESG_S6_NSB_4plusIvEES6_EEDaPvRmT3_T4_T5_mT6_P12ihipStream_tbENKUlT_T0_E_clISt17integral_constantIbLb0EESW_EEDaSR_SS_EUlSR_E_NS1_11comp_targetILNS1_3genE5ELNS1_11target_archE942ELNS1_3gpuE9ELNS1_3repE0EEENS1_30default_config_static_selectorELNS0_4arch9wavefront6targetE1EEEvT1_,comdat
.Lfunc_end6463:
	.size	_ZN7rocprim17ROCPRIM_400000_NS6detail17trampoline_kernelINS0_14default_configENS1_20scan_config_selectorI11FixedVectorIiLj1EEEEZZNS1_9scan_implILNS1_25lookback_scan_determinismE0ELb1ELb1ES3_N6thrust23THRUST_200600_302600_NS6detail15normal_iteratorINSB_10device_ptrIS6_EEEESG_S6_NSB_4plusIvEES6_EEDaPvRmT3_T4_T5_mT6_P12ihipStream_tbENKUlT_T0_E_clISt17integral_constantIbLb0EESW_EEDaSR_SS_EUlSR_E_NS1_11comp_targetILNS1_3genE5ELNS1_11target_archE942ELNS1_3gpuE9ELNS1_3repE0EEENS1_30default_config_static_selectorELNS0_4arch9wavefront6targetE1EEEvT1_, .Lfunc_end6463-_ZN7rocprim17ROCPRIM_400000_NS6detail17trampoline_kernelINS0_14default_configENS1_20scan_config_selectorI11FixedVectorIiLj1EEEEZZNS1_9scan_implILNS1_25lookback_scan_determinismE0ELb1ELb1ES3_N6thrust23THRUST_200600_302600_NS6detail15normal_iteratorINSB_10device_ptrIS6_EEEESG_S6_NSB_4plusIvEES6_EEDaPvRmT3_T4_T5_mT6_P12ihipStream_tbENKUlT_T0_E_clISt17integral_constantIbLb0EESW_EEDaSR_SS_EUlSR_E_NS1_11comp_targetILNS1_3genE5ELNS1_11target_archE942ELNS1_3gpuE9ELNS1_3repE0EEENS1_30default_config_static_selectorELNS0_4arch9wavefront6targetE1EEEvT1_
                                        ; -- End function
	.section	.AMDGPU.csdata,"",@progbits
; Kernel info:
; codeLenInByte = 0
; NumSgprs: 4
; NumVgprs: 0
; NumAgprs: 0
; TotalNumVgprs: 0
; ScratchSize: 0
; MemoryBound: 0
; FloatMode: 240
; IeeeMode: 1
; LDSByteSize: 0 bytes/workgroup (compile time only)
; SGPRBlocks: 0
; VGPRBlocks: 0
; NumSGPRsForWavesPerEU: 4
; NumVGPRsForWavesPerEU: 1
; AccumOffset: 4
; Occupancy: 8
; WaveLimiterHint : 0
; COMPUTE_PGM_RSRC2:SCRATCH_EN: 0
; COMPUTE_PGM_RSRC2:USER_SGPR: 6
; COMPUTE_PGM_RSRC2:TRAP_HANDLER: 0
; COMPUTE_PGM_RSRC2:TGID_X_EN: 1
; COMPUTE_PGM_RSRC2:TGID_Y_EN: 0
; COMPUTE_PGM_RSRC2:TGID_Z_EN: 0
; COMPUTE_PGM_RSRC2:TIDIG_COMP_CNT: 0
; COMPUTE_PGM_RSRC3_GFX90A:ACCUM_OFFSET: 0
; COMPUTE_PGM_RSRC3_GFX90A:TG_SPLIT: 0
	.section	.text._ZN7rocprim17ROCPRIM_400000_NS6detail17trampoline_kernelINS0_14default_configENS1_20scan_config_selectorI11FixedVectorIiLj1EEEEZZNS1_9scan_implILNS1_25lookback_scan_determinismE0ELb1ELb1ES3_N6thrust23THRUST_200600_302600_NS6detail15normal_iteratorINSB_10device_ptrIS6_EEEESG_S6_NSB_4plusIvEES6_EEDaPvRmT3_T4_T5_mT6_P12ihipStream_tbENKUlT_T0_E_clISt17integral_constantIbLb0EESW_EEDaSR_SS_EUlSR_E_NS1_11comp_targetILNS1_3genE4ELNS1_11target_archE910ELNS1_3gpuE8ELNS1_3repE0EEENS1_30default_config_static_selectorELNS0_4arch9wavefront6targetE1EEEvT1_,"axG",@progbits,_ZN7rocprim17ROCPRIM_400000_NS6detail17trampoline_kernelINS0_14default_configENS1_20scan_config_selectorI11FixedVectorIiLj1EEEEZZNS1_9scan_implILNS1_25lookback_scan_determinismE0ELb1ELb1ES3_N6thrust23THRUST_200600_302600_NS6detail15normal_iteratorINSB_10device_ptrIS6_EEEESG_S6_NSB_4plusIvEES6_EEDaPvRmT3_T4_T5_mT6_P12ihipStream_tbENKUlT_T0_E_clISt17integral_constantIbLb0EESW_EEDaSR_SS_EUlSR_E_NS1_11comp_targetILNS1_3genE4ELNS1_11target_archE910ELNS1_3gpuE8ELNS1_3repE0EEENS1_30default_config_static_selectorELNS0_4arch9wavefront6targetE1EEEvT1_,comdat
	.protected	_ZN7rocprim17ROCPRIM_400000_NS6detail17trampoline_kernelINS0_14default_configENS1_20scan_config_selectorI11FixedVectorIiLj1EEEEZZNS1_9scan_implILNS1_25lookback_scan_determinismE0ELb1ELb1ES3_N6thrust23THRUST_200600_302600_NS6detail15normal_iteratorINSB_10device_ptrIS6_EEEESG_S6_NSB_4plusIvEES6_EEDaPvRmT3_T4_T5_mT6_P12ihipStream_tbENKUlT_T0_E_clISt17integral_constantIbLb0EESW_EEDaSR_SS_EUlSR_E_NS1_11comp_targetILNS1_3genE4ELNS1_11target_archE910ELNS1_3gpuE8ELNS1_3repE0EEENS1_30default_config_static_selectorELNS0_4arch9wavefront6targetE1EEEvT1_ ; -- Begin function _ZN7rocprim17ROCPRIM_400000_NS6detail17trampoline_kernelINS0_14default_configENS1_20scan_config_selectorI11FixedVectorIiLj1EEEEZZNS1_9scan_implILNS1_25lookback_scan_determinismE0ELb1ELb1ES3_N6thrust23THRUST_200600_302600_NS6detail15normal_iteratorINSB_10device_ptrIS6_EEEESG_S6_NSB_4plusIvEES6_EEDaPvRmT3_T4_T5_mT6_P12ihipStream_tbENKUlT_T0_E_clISt17integral_constantIbLb0EESW_EEDaSR_SS_EUlSR_E_NS1_11comp_targetILNS1_3genE4ELNS1_11target_archE910ELNS1_3gpuE8ELNS1_3repE0EEENS1_30default_config_static_selectorELNS0_4arch9wavefront6targetE1EEEvT1_
	.globl	_ZN7rocprim17ROCPRIM_400000_NS6detail17trampoline_kernelINS0_14default_configENS1_20scan_config_selectorI11FixedVectorIiLj1EEEEZZNS1_9scan_implILNS1_25lookback_scan_determinismE0ELb1ELb1ES3_N6thrust23THRUST_200600_302600_NS6detail15normal_iteratorINSB_10device_ptrIS6_EEEESG_S6_NSB_4plusIvEES6_EEDaPvRmT3_T4_T5_mT6_P12ihipStream_tbENKUlT_T0_E_clISt17integral_constantIbLb0EESW_EEDaSR_SS_EUlSR_E_NS1_11comp_targetILNS1_3genE4ELNS1_11target_archE910ELNS1_3gpuE8ELNS1_3repE0EEENS1_30default_config_static_selectorELNS0_4arch9wavefront6targetE1EEEvT1_
	.p2align	8
	.type	_ZN7rocprim17ROCPRIM_400000_NS6detail17trampoline_kernelINS0_14default_configENS1_20scan_config_selectorI11FixedVectorIiLj1EEEEZZNS1_9scan_implILNS1_25lookback_scan_determinismE0ELb1ELb1ES3_N6thrust23THRUST_200600_302600_NS6detail15normal_iteratorINSB_10device_ptrIS6_EEEESG_S6_NSB_4plusIvEES6_EEDaPvRmT3_T4_T5_mT6_P12ihipStream_tbENKUlT_T0_E_clISt17integral_constantIbLb0EESW_EEDaSR_SS_EUlSR_E_NS1_11comp_targetILNS1_3genE4ELNS1_11target_archE910ELNS1_3gpuE8ELNS1_3repE0EEENS1_30default_config_static_selectorELNS0_4arch9wavefront6targetE1EEEvT1_,@function
_ZN7rocprim17ROCPRIM_400000_NS6detail17trampoline_kernelINS0_14default_configENS1_20scan_config_selectorI11FixedVectorIiLj1EEEEZZNS1_9scan_implILNS1_25lookback_scan_determinismE0ELb1ELb1ES3_N6thrust23THRUST_200600_302600_NS6detail15normal_iteratorINSB_10device_ptrIS6_EEEESG_S6_NSB_4plusIvEES6_EEDaPvRmT3_T4_T5_mT6_P12ihipStream_tbENKUlT_T0_E_clISt17integral_constantIbLb0EESW_EEDaSR_SS_EUlSR_E_NS1_11comp_targetILNS1_3genE4ELNS1_11target_archE910ELNS1_3gpuE8ELNS1_3repE0EEENS1_30default_config_static_selectorELNS0_4arch9wavefront6targetE1EEEvT1_: ; @_ZN7rocprim17ROCPRIM_400000_NS6detail17trampoline_kernelINS0_14default_configENS1_20scan_config_selectorI11FixedVectorIiLj1EEEEZZNS1_9scan_implILNS1_25lookback_scan_determinismE0ELb1ELb1ES3_N6thrust23THRUST_200600_302600_NS6detail15normal_iteratorINSB_10device_ptrIS6_EEEESG_S6_NSB_4plusIvEES6_EEDaPvRmT3_T4_T5_mT6_P12ihipStream_tbENKUlT_T0_E_clISt17integral_constantIbLb0EESW_EEDaSR_SS_EUlSR_E_NS1_11comp_targetILNS1_3genE4ELNS1_11target_archE910ELNS1_3gpuE8ELNS1_3repE0EEENS1_30default_config_static_selectorELNS0_4arch9wavefront6targetE1EEEvT1_
; %bb.0:
	s_load_dwordx8 s[8:15], s[4:5], 0x0
	s_load_dword s0, s[4:5], 0x30
	s_mov_b32 s1, 0
	v_lshlrev_b32_e32 v22, 2, v0
	s_waitcnt lgkmcnt(0)
	s_lshl_b64 s[24:25], s[10:11], 2
	s_add_u32 s27, s8, s24
	s_addc_u32 s28, s9, s25
	s_add_i32 s2, s0, -1
	s_mul_i32 s3, s2, 0x500
	s_sub_u32 s7, s14, s3
	s_subb_u32 s26, s15, 0
	s_mul_i32 s0, s6, 0x500
	s_cmp_lg_u32 s6, s2
	s_cselect_b64 s[8:9], -1, 0
	s_lshl_b64 s[10:11], s[0:1], 2
	s_add_u32 s2, s27, s10
	s_addc_u32 s3, s28, s11
	s_mov_b64 s[0:1], -1
	s_and_b64 vcc, exec, s[8:9]
	s_cbranch_vccz .LBB6464_2
; %bb.1:
	v_mov_b32_e32 v1, s3
	v_add_co_u32_e32 v2, vcc, s2, v22
	v_addc_co_u32_e32 v3, vcc, 0, v1, vcc
	flat_load_dword v1, v[2:3]
	flat_load_dword v4, v[2:3] offset:512
	flat_load_dword v5, v[2:3] offset:1024
	flat_load_dword v6, v[2:3] offset:1536
	flat_load_dword v7, v[2:3] offset:2048
	flat_load_dword v8, v[2:3] offset:2560
	flat_load_dword v9, v[2:3] offset:3072
	flat_load_dword v10, v[2:3] offset:3584
	v_add_co_u32_e32 v2, vcc, 0x1000, v2
	v_addc_co_u32_e32 v3, vcc, 0, v3, vcc
	flat_load_dword v11, v[2:3]
	flat_load_dword v12, v[2:3] offset:512
	s_mov_b64 s[0:1], 0
	s_waitcnt vmcnt(0) lgkmcnt(0)
	ds_write2st64_b32 v22, v1, v4 offset1:2
	ds_write2st64_b32 v22, v5, v6 offset0:4 offset1:6
	ds_write2st64_b32 v22, v7, v8 offset0:8 offset1:10
	;; [unrolled: 1-line block ×4, first 2 shown]
	s_waitcnt lgkmcnt(0)
	s_barrier
.LBB6464_2:
	s_load_dwordx2 s[14:15], s[4:5], 0x28
	s_andn2_b64 vcc, exec, s[0:1]
	v_cmp_gt_u32_e64 s[0:1], s7, v0
	s_cbranch_vccnz .LBB6464_24
; %bb.3:
	v_pk_mov_b32 v[2:3], s[2:3], s[2:3] op_sel:[0,1]
	flat_load_dword v1, v[2:3]
	s_waitcnt vmcnt(0) lgkmcnt(0)
	v_mov_b32_e32 v2, v1
	s_and_saveexec_b64 s[16:17], s[0:1]
	s_cbranch_execz .LBB6464_5
; %bb.4:
	v_mov_b32_e32 v3, s3
	v_add_co_u32_e32 v2, vcc, s2, v22
	v_addc_co_u32_e32 v3, vcc, 0, v3, vcc
	flat_load_dword v2, v[2:3]
.LBB6464_5:
	s_or_b64 exec, exec, s[16:17]
	v_or_b32_e32 v3, 0x80, v0
	v_cmp_gt_u32_e32 vcc, s7, v3
	v_mov_b32_e32 v3, v1
	s_and_saveexec_b64 s[0:1], vcc
	s_cbranch_execz .LBB6464_7
; %bb.6:
	v_mov_b32_e32 v3, s3
	v_add_co_u32_e32 v4, vcc, s2, v22
	v_addc_co_u32_e32 v5, vcc, 0, v3, vcc
	flat_load_dword v3, v[4:5] offset:512
.LBB6464_7:
	s_or_b64 exec, exec, s[0:1]
	v_or_b32_e32 v4, 0x100, v0
	v_cmp_gt_u32_e32 vcc, s7, v4
	v_mov_b32_e32 v4, v1
	s_and_saveexec_b64 s[0:1], vcc
	s_cbranch_execz .LBB6464_9
; %bb.8:
	v_mov_b32_e32 v5, s3
	v_add_co_u32_e32 v4, vcc, s2, v22
	v_addc_co_u32_e32 v5, vcc, 0, v5, vcc
	flat_load_dword v4, v[4:5] offset:1024
.LBB6464_9:
	;; [unrolled: 12-line block ×7, first 2 shown]
	s_or_b64 exec, exec, s[0:1]
	v_or_b32_e32 v11, 0x400, v0
	v_cmp_gt_u32_e32 vcc, s7, v11
	v_mov_b32_e32 v10, v1
	s_and_saveexec_b64 s[0:1], vcc
	s_cbranch_execz .LBB6464_21
; %bb.20:
	v_lshlrev_b32_e32 v10, 2, v11
	v_mov_b32_e32 v11, s3
	v_add_co_u32_e32 v10, vcc, s2, v10
	v_addc_co_u32_e32 v11, vcc, 0, v11, vcc
	flat_load_dword v10, v[10:11]
.LBB6464_21:
	s_or_b64 exec, exec, s[0:1]
	v_or_b32_e32 v11, 0x480, v0
	v_cmp_gt_u32_e32 vcc, s7, v11
	s_and_saveexec_b64 s[0:1], vcc
	s_cbranch_execz .LBB6464_23
; %bb.22:
	v_lshlrev_b32_e32 v1, 2, v11
	v_mov_b32_e32 v11, s3
	v_add_co_u32_e32 v12, vcc, s2, v1
	v_addc_co_u32_e32 v13, vcc, 0, v11, vcc
	flat_load_dword v1, v[12:13]
.LBB6464_23:
	s_or_b64 exec, exec, s[0:1]
	s_waitcnt vmcnt(0) lgkmcnt(0)
	ds_write2st64_b32 v22, v2, v3 offset1:2
	ds_write2st64_b32 v22, v4, v5 offset0:4 offset1:6
	ds_write2st64_b32 v22, v6, v7 offset0:8 offset1:10
	ds_write2st64_b32 v22, v8, v9 offset0:12 offset1:14
	ds_write2st64_b32 v22, v10, v1 offset0:16 offset1:18
	s_waitcnt lgkmcnt(0)
	s_barrier
.LBB6464_24:
	v_mul_u32_u24_e32 v23, 10, v0
	v_lshlrev_b32_e32 v1, 2, v23
	s_waitcnt lgkmcnt(0)
	ds_read2_b64 v[6:9], v1 offset1:1
	ds_read2_b64 v[2:5], v1 offset0:2 offset1:3
	ds_read_b64 v[10:11], v1 offset:32
	s_cmp_lg_u32 s6, 0
	v_lshrrev_b32_e32 v24, 5, v0
	s_waitcnt lgkmcnt(2)
	v_add_u32_e32 v12, v7, v6
	v_add3_u32 v25, v12, v8, v9
	v_cmp_gt_u32_e32 vcc, 64, v0
	s_waitcnt lgkmcnt(0)
	s_barrier
	s_cbranch_scc0 .LBB6464_49
; %bb.25:
	v_add3_u32 v12, v25, v2, v3
	v_add3_u32 v12, v12, v4, v5
	;; [unrolled: 1-line block ×3, first 2 shown]
	v_add_lshl_u32 v13, v24, v0, 2
	ds_write_b32 v13, v12
	s_waitcnt lgkmcnt(0)
	s_barrier
	s_and_saveexec_b64 s[2:3], vcc
	s_cbranch_execz .LBB6464_27
; %bb.26:
	v_lshlrev_b32_e32 v13, 1, v0
	v_lshrrev_b32_e32 v14, 4, v0
	v_add_lshl_u32 v13, v14, v13, 2
	ds_read2_b32 v[14:15], v13 offset1:1
	v_mbcnt_lo_u32_b32 v16, -1, 0
	v_mbcnt_hi_u32_b32 v16, -1, v16
	v_and_b32_e32 v17, 15, v16
	v_cmp_ne_u32_e64 s[0:1], 0, v17
	s_waitcnt lgkmcnt(0)
	v_add_u32_e32 v15, v15, v14
	; wave barrier
	s_nop 1
	v_mov_b32_dpp v18, v15 row_shr:1 row_mask:0xf bank_mask:0xf
	v_cndmask_b32_e64 v18, 0, v18, s[0:1]
	v_add_u32_e32 v15, v18, v15
	v_cmp_lt_u32_e64 s[0:1], 1, v17
	s_nop 0
	v_mov_b32_dpp v18, v15 row_shr:2 row_mask:0xf bank_mask:0xf
	v_cndmask_b32_e64 v18, 0, v18, s[0:1]
	v_add_u32_e32 v15, v15, v18
	v_cmp_lt_u32_e64 s[0:1], 3, v17
	s_nop 0
	v_mov_b32_dpp v18, v15 row_shr:4 row_mask:0xf bank_mask:0xf
	v_cndmask_b32_e64 v18, 0, v18, s[0:1]
	v_add_u32_e32 v15, v15, v18
	v_cmp_lt_u32_e64 s[0:1], 7, v17
	s_nop 0
	v_mov_b32_dpp v18, v15 row_shr:8 row_mask:0xf bank_mask:0xf
	v_cndmask_b32_e64 v17, 0, v18, s[0:1]
	v_add_u32_e32 v15, v15, v17
	v_bfe_i32 v18, v16, 4, 1
	v_cmp_lt_u32_e64 s[0:1], 31, v16
	v_mov_b32_dpp v17, v15 row_bcast:15 row_mask:0xf bank_mask:0xf
	v_and_b32_e32 v17, v18, v17
	v_add_u32_e32 v15, v15, v17
	v_and_b32_e32 v18, 64, v16
	s_nop 0
	v_mov_b32_dpp v17, v15 row_bcast:31 row_mask:0xf bank_mask:0xf
	v_cndmask_b32_e64 v17, 0, v17, s[0:1]
	v_add_u32_e32 v15, v15, v17
	v_add_u32_e32 v17, -1, v16
	v_cmp_lt_i32_e64 s[0:1], v17, v18
	v_cndmask_b32_e64 v16, v17, v16, s[0:1]
	v_lshlrev_b32_e32 v16, 2, v16
	ds_bpermute_b32 v15, v16, v15
	v_cmp_eq_u32_e64 s[0:1], 0, v0
	s_waitcnt lgkmcnt(0)
	v_add_u32_e32 v14, v15, v14
	v_cndmask_b32_e64 v12, v14, v12, s[0:1]
	ds_write_b32 v13, v12
	; wave barrier
	ds_read_b32 v14, v13 offset:4
	s_waitcnt lgkmcnt(0)
	v_add_u32_e32 v12, v14, v12
	ds_write_b32 v13, v12 offset:4
.LBB6464_27:
	s_or_b64 exec, exec, s[2:3]
	v_cmp_eq_u32_e64 s[0:1], 0, v0
	v_cmp_ne_u32_e64 s[2:3], 0, v0
	v_mov_b32_e32 v26, 0
	s_waitcnt lgkmcnt(0)
	s_barrier
	s_and_saveexec_b64 s[16:17], s[2:3]
	s_cbranch_execz .LBB6464_29
; %bb.28:
	v_add_u32_e32 v12, -1, v0
	v_lshrrev_b32_e32 v13, 5, v12
	v_add_lshl_u32 v12, v13, v12, 2
	ds_read_b32 v26, v12
.LBB6464_29:
	s_or_b64 exec, exec, s[16:17]
	s_and_saveexec_b64 s[16:17], vcc
	s_cbranch_execz .LBB6464_48
; %bb.30:
	v_mov_b32_e32 v19, 0
	ds_read_b32 v12, v19 offset:520
	v_mbcnt_lo_u32_b32 v13, -1, 0
	v_mbcnt_hi_u32_b32 v15, -1, v13
	s_mov_b32 s21, 0
	v_cmp_eq_u32_e64 s[2:3], 0, v15
	s_and_saveexec_b64 s[18:19], s[2:3]
	s_cbranch_execz .LBB6464_32
; %bb.31:
	s_add_i32 s20, s6, 64
	s_lshl_b64 s[20:21], s[20:21], 3
	s_add_u32 s20, s14, s20
	v_mov_b32_e32 v13, 1
	s_addc_u32 s21, s15, s21
	s_waitcnt lgkmcnt(0)
	global_store_dwordx2 v19, v[12:13], s[20:21]
.LBB6464_32:
	s_or_b64 exec, exec, s[18:19]
	v_xad_u32 v14, v15, -1, s6
	v_add_u32_e32 v18, 64, v14
	v_lshlrev_b64 v[16:17], 3, v[18:19]
	v_mov_b32_e32 v13, s15
	v_add_co_u32_e32 v20, vcc, s14, v16
	v_addc_co_u32_e32 v21, vcc, v13, v17, vcc
	global_load_dwordx2 v[16:17], v[20:21], off glc
	s_waitcnt vmcnt(0)
	v_cmp_eq_u16_sdwa s[20:21], v17, v19 src0_sel:BYTE_0 src1_sel:DWORD
	s_and_saveexec_b64 s[18:19], s[20:21]
	s_cbranch_execz .LBB6464_36
; %bb.33:
	s_mov_b64 s[20:21], 0
	v_mov_b32_e32 v13, 0
.LBB6464_34:                            ; =>This Inner Loop Header: Depth=1
	global_load_dwordx2 v[16:17], v[20:21], off glc
	s_waitcnt vmcnt(0)
	v_cmp_ne_u16_sdwa s[22:23], v17, v13 src0_sel:BYTE_0 src1_sel:DWORD
	s_or_b64 s[20:21], s[22:23], s[20:21]
	s_andn2_b64 exec, exec, s[20:21]
	s_cbranch_execnz .LBB6464_34
; %bb.35:
	s_or_b64 exec, exec, s[20:21]
.LBB6464_36:
	s_or_b64 exec, exec, s[18:19]
	v_and_b32_e32 v27, 63, v15
	v_mov_b32_e32 v13, 2
	v_cmp_ne_u32_e32 vcc, 63, v27
	v_cmp_eq_u16_sdwa s[18:19], v17, v13 src0_sel:BYTE_0 src1_sel:DWORD
	v_lshlrev_b64 v[18:19], v15, -1
	v_addc_co_u32_e32 v28, vcc, 0, v15, vcc
	v_and_b32_e32 v20, s19, v19
	v_lshlrev_b32_e32 v28, 2, v28
	v_or_b32_e32 v20, 0x80000000, v20
	ds_bpermute_b32 v29, v28, v16
	v_and_b32_e32 v21, s18, v18
	v_ffbl_b32_e32 v20, v20
	v_add_u32_e32 v20, 32, v20
	v_ffbl_b32_e32 v21, v21
	v_min_u32_e32 v20, v21, v20
	v_cmp_lt_u32_e32 vcc, v27, v20
	s_waitcnt lgkmcnt(0)
	v_cndmask_b32_e32 v21, 0, v29, vcc
	v_cmp_gt_u32_e32 vcc, 62, v27
	v_add_u32_e32 v16, v21, v16
	v_cndmask_b32_e64 v21, 0, 1, vcc
	v_lshlrev_b32_e32 v21, 1, v21
	v_add_lshl_u32 v29, v21, v15, 2
	ds_bpermute_b32 v21, v29, v16
	v_add_u32_e32 v30, 2, v27
	v_cmp_le_u32_e32 vcc, v30, v20
	v_add_u32_e32 v32, 4, v27
	v_add_u32_e32 v34, 8, v27
	s_waitcnt lgkmcnt(0)
	v_cndmask_b32_e32 v21, 0, v21, vcc
	v_cmp_gt_u32_e32 vcc, 60, v27
	v_add_u32_e32 v16, v16, v21
	v_cndmask_b32_e64 v21, 0, 1, vcc
	v_lshlrev_b32_e32 v21, 2, v21
	v_add_lshl_u32 v31, v21, v15, 2
	ds_bpermute_b32 v21, v31, v16
	v_cmp_le_u32_e32 vcc, v32, v20
	v_add_u32_e32 v37, 16, v27
	v_add_u32_e32 v39, 32, v27
	s_waitcnt lgkmcnt(0)
	v_cndmask_b32_e32 v21, 0, v21, vcc
	v_cmp_gt_u32_e32 vcc, 56, v27
	v_add_u32_e32 v16, v16, v21
	v_cndmask_b32_e64 v21, 0, 1, vcc
	v_lshlrev_b32_e32 v21, 3, v21
	v_add_lshl_u32 v33, v21, v15, 2
	ds_bpermute_b32 v21, v33, v16
	v_cmp_le_u32_e32 vcc, v34, v20
	s_waitcnt lgkmcnt(0)
	v_cndmask_b32_e32 v21, 0, v21, vcc
	v_cmp_gt_u32_e32 vcc, 48, v27
	v_add_u32_e32 v16, v16, v21
	v_cndmask_b32_e64 v21, 0, 1, vcc
	v_lshlrev_b32_e32 v21, 4, v21
	v_add_lshl_u32 v36, v21, v15, 2
	ds_bpermute_b32 v21, v36, v16
	v_cmp_le_u32_e32 vcc, v37, v20
	;; [unrolled: 9-line block ×3, first 2 shown]
	s_waitcnt lgkmcnt(0)
	v_cndmask_b32_e32 v15, 0, v15, vcc
	v_add_u32_e32 v16, v16, v15
	v_mov_b32_e32 v15, 0
	s_branch .LBB6464_38
.LBB6464_37:                            ;   in Loop: Header=BB6464_38 Depth=1
	s_or_b64 exec, exec, s[18:19]
	v_cmp_eq_u16_sdwa s[18:19], v17, v13 src0_sel:BYTE_0 src1_sel:DWORD
	v_and_b32_e32 v20, s19, v19
	v_or_b32_e32 v20, 0x80000000, v20
	ds_bpermute_b32 v40, v28, v16
	v_and_b32_e32 v21, s18, v18
	v_ffbl_b32_e32 v20, v20
	v_add_u32_e32 v20, 32, v20
	v_ffbl_b32_e32 v21, v21
	v_min_u32_e32 v20, v21, v20
	v_cmp_lt_u32_e32 vcc, v27, v20
	s_waitcnt lgkmcnt(0)
	v_cndmask_b32_e32 v21, 0, v40, vcc
	v_add_u32_e32 v16, v21, v16
	ds_bpermute_b32 v21, v29, v16
	v_cmp_le_u32_e32 vcc, v30, v20
	v_subrev_u32_e32 v14, 64, v14
	s_waitcnt lgkmcnt(0)
	v_cndmask_b32_e32 v21, 0, v21, vcc
	v_add_u32_e32 v16, v16, v21
	ds_bpermute_b32 v21, v31, v16
	v_cmp_le_u32_e32 vcc, v32, v20
	s_waitcnt lgkmcnt(0)
	v_cndmask_b32_e32 v21, 0, v21, vcc
	v_add_u32_e32 v16, v16, v21
	ds_bpermute_b32 v21, v33, v16
	v_cmp_le_u32_e32 vcc, v34, v20
	;; [unrolled: 5-line block ×4, first 2 shown]
	s_waitcnt lgkmcnt(0)
	v_cndmask_b32_e32 v20, 0, v21, vcc
	v_add3_u32 v16, v20, v35, v16
.LBB6464_38:                            ; =>This Loop Header: Depth=1
                                        ;     Child Loop BB6464_41 Depth 2
	v_cmp_ne_u16_sdwa s[18:19], v17, v13 src0_sel:BYTE_0 src1_sel:DWORD
	v_cndmask_b32_e64 v17, 0, 1, s[18:19]
	;;#ASMSTART
	;;#ASMEND
	v_cmp_ne_u32_e32 vcc, 0, v17
	s_cmp_lg_u64 vcc, exec
	v_mov_b32_e32 v35, v16
	s_cbranch_scc1 .LBB6464_43
; %bb.39:                               ;   in Loop: Header=BB6464_38 Depth=1
	v_lshlrev_b64 v[16:17], 3, v[14:15]
	v_mov_b32_e32 v21, s15
	v_add_co_u32_e32 v20, vcc, s14, v16
	v_addc_co_u32_e32 v21, vcc, v21, v17, vcc
	global_load_dwordx2 v[16:17], v[20:21], off glc
	s_waitcnt vmcnt(0)
	v_cmp_eq_u16_sdwa s[20:21], v17, v15 src0_sel:BYTE_0 src1_sel:DWORD
	s_and_saveexec_b64 s[18:19], s[20:21]
	s_cbranch_execz .LBB6464_37
; %bb.40:                               ;   in Loop: Header=BB6464_38 Depth=1
	s_mov_b64 s[20:21], 0
.LBB6464_41:                            ;   Parent Loop BB6464_38 Depth=1
                                        ; =>  This Inner Loop Header: Depth=2
	global_load_dwordx2 v[16:17], v[20:21], off glc
	s_waitcnt vmcnt(0)
	v_cmp_ne_u16_sdwa s[22:23], v17, v15 src0_sel:BYTE_0 src1_sel:DWORD
	s_or_b64 s[20:21], s[22:23], s[20:21]
	s_andn2_b64 exec, exec, s[20:21]
	s_cbranch_execnz .LBB6464_41
; %bb.42:                               ;   in Loop: Header=BB6464_38 Depth=1
	s_or_b64 exec, exec, s[20:21]
	s_branch .LBB6464_37
.LBB6464_43:                            ;   in Loop: Header=BB6464_38 Depth=1
                                        ; implicit-def: $vgpr16
                                        ; implicit-def: $vgpr17
	s_cbranch_execz .LBB6464_38
; %bb.44:
	s_and_saveexec_b64 s[18:19], s[2:3]
	s_cbranch_execz .LBB6464_46
; %bb.45:
	s_add_i32 s2, s6, 64
	s_mov_b32 s3, 0
	s_lshl_b64 s[2:3], s[2:3], 3
	s_add_u32 s2, s14, s2
	v_add_u32_e32 v12, v35, v12
	v_mov_b32_e32 v13, 2
	s_addc_u32 s3, s15, s3
	v_mov_b32_e32 v14, 0
	global_store_dwordx2 v14, v[12:13], s[2:3]
.LBB6464_46:
	s_or_b64 exec, exec, s[18:19]
	s_and_b64 exec, exec, s[0:1]
	s_cbranch_execz .LBB6464_48
; %bb.47:
	v_mov_b32_e32 v12, 0
	ds_write_b32 v12, v35
.LBB6464_48:
	s_or_b64 exec, exec, s[16:17]
	v_mov_b32_e32 v12, 0
	s_waitcnt lgkmcnt(0)
	s_barrier
	ds_read_b32 v12, v12
	s_waitcnt lgkmcnt(0)
	v_add_u32_e32 v12, v12, v26
	s_load_dwordx8 s[16:23], s[4:5], 0x38
	s_branch .LBB6464_59
.LBB6464_49:
                                        ; implicit-def: $vgpr12
	s_load_dwordx8 s[16:23], s[4:5], 0x38
	s_cbranch_execz .LBB6464_59
; %bb.50:
	s_load_dword s0, s[4:5], 0x20
	s_waitcnt lgkmcnt(0)
	s_cmp_eq_u64 s[20:21], 0
	v_mov_b32_e32 v13, s0
	s_cbranch_scc1 .LBB6464_52
; %bb.51:
	v_mov_b32_e32 v13, s28
	v_add_co_u32_e64 v12, vcc, -4, s27
	v_addc_co_u32_e32 v13, vcc, -1, v13, vcc
	v_mov_b32_e32 v14, 0
	flat_load_dword v15, v[12:13]
	global_load_dword v16, v14, s[16:17]
	s_waitcnt vmcnt(0) lgkmcnt(0)
	v_add_u32_e32 v13, v16, v15
.LBB6464_52:
	v_add3_u32 v12, v25, v2, v3
	v_add3_u32 v12, v12, v4, v5
	;; [unrolled: 1-line block ×3, first 2 shown]
	v_add_lshl_u32 v12, v24, v0, 2
	v_cmp_gt_u32_e32 vcc, 64, v0
	ds_write_b32 v12, v11
	s_waitcnt lgkmcnt(0)
	s_barrier
	s_and_saveexec_b64 s[0:1], vcc
	s_cbranch_execz .LBB6464_54
; %bb.53:
	v_lshlrev_b32_e32 v12, 1, v0
	v_lshrrev_b32_e32 v14, 4, v0
	v_add_lshl_u32 v12, v14, v12, 2
	ds_read2_b32 v[14:15], v12 offset1:1
	v_mbcnt_lo_u32_b32 v16, -1, 0
	v_mbcnt_hi_u32_b32 v16, -1, v16
	v_and_b32_e32 v17, 15, v16
	v_cmp_ne_u32_e32 vcc, 0, v17
	s_waitcnt lgkmcnt(0)
	v_add_u32_e32 v15, v15, v14
	; wave barrier
	s_nop 1
	v_mov_b32_dpp v18, v15 row_shr:1 row_mask:0xf bank_mask:0xf
	v_cndmask_b32_e32 v18, 0, v18, vcc
	v_add_u32_e32 v15, v18, v15
	v_cmp_lt_u32_e32 vcc, 1, v17
	s_nop 0
	v_mov_b32_dpp v18, v15 row_shr:2 row_mask:0xf bank_mask:0xf
	v_cndmask_b32_e32 v18, 0, v18, vcc
	v_add_u32_e32 v15, v15, v18
	v_cmp_lt_u32_e32 vcc, 3, v17
	;; [unrolled: 5-line block ×3, first 2 shown]
	s_nop 0
	v_mov_b32_dpp v18, v15 row_shr:8 row_mask:0xf bank_mask:0xf
	v_cndmask_b32_e32 v17, 0, v18, vcc
	v_add_u32_e32 v15, v15, v17
	v_bfe_i32 v18, v16, 4, 1
	v_cmp_lt_u32_e32 vcc, 31, v16
	v_mov_b32_dpp v17, v15 row_bcast:15 row_mask:0xf bank_mask:0xf
	v_and_b32_e32 v17, v18, v17
	v_add_u32_e32 v15, v15, v17
	v_and_b32_e32 v18, 64, v16
	s_nop 0
	v_mov_b32_dpp v17, v15 row_bcast:31 row_mask:0xf bank_mask:0xf
	v_cndmask_b32_e32 v17, 0, v17, vcc
	v_add_u32_e32 v15, v15, v17
	v_add_u32_e32 v17, -1, v16
	v_cmp_lt_i32_e32 vcc, v17, v18
	v_cndmask_b32_e32 v16, v17, v16, vcc
	v_lshlrev_b32_e32 v16, 2, v16
	ds_bpermute_b32 v15, v16, v15
	v_cmp_eq_u32_e32 vcc, 0, v0
	s_waitcnt lgkmcnt(0)
	v_add_u32_e32 v14, v15, v14
	v_cndmask_b32_e32 v11, v14, v11, vcc
	ds_write_b32 v12, v11
	; wave barrier
	ds_read_b32 v14, v12 offset:4
	s_waitcnt lgkmcnt(0)
	v_add_u32_e32 v11, v14, v11
	ds_write_b32 v12, v11 offset:4
.LBB6464_54:
	s_or_b64 exec, exec, s[0:1]
	v_cmp_eq_u32_e32 vcc, 0, v0
	v_cmp_ne_u32_e64 s[0:1], 0, v0
	v_mov_b32_e32 v12, v13
	s_waitcnt lgkmcnt(0)
	s_barrier
	s_and_saveexec_b64 s[2:3], s[0:1]
	s_cbranch_execz .LBB6464_56
; %bb.55:
	v_add_u32_e32 v11, -1, v0
	v_lshrrev_b32_e32 v12, 5, v11
	v_add_lshl_u32 v11, v12, v11, 2
	ds_read_b32 v11, v11
	s_waitcnt lgkmcnt(0)
	v_add_u32_e32 v12, v11, v13
.LBB6464_56:
	s_or_b64 exec, exec, s[2:3]
	s_and_saveexec_b64 s[0:1], vcc
	s_cbranch_execz .LBB6464_58
; %bb.57:
	v_mov_b32_e32 v11, 0
	ds_read_b32 v14, v11 offset:520
	v_mov_b32_e32 v15, 2
	s_waitcnt lgkmcnt(0)
	v_add_u32_e32 v14, v14, v13
	global_store_dwordx2 v11, v[14:15], s[14:15] offset:512
.LBB6464_58:
	s_or_b64 exec, exec, s[0:1]
.LBB6464_59:
	v_add_u32_e32 v13, v12, v6
	v_add_u32_e32 v14, v13, v7
	;; [unrolled: 1-line block ×5, first 2 shown]
	s_add_u32 s0, s12, s24
	v_add_u32_e32 v8, v7, v3
	s_addc_u32 s1, s13, s25
	v_add_u32_e32 v9, v8, v4
	v_add_u32_e32 v2, v9, v5
	s_add_u32 s2, s0, s10
	v_add_u32_e32 v3, v2, v10
	s_addc_u32 s3, s1, s11
	s_mov_b64 s[0:1], -1
	s_and_b64 vcc, exec, s[8:9]
	s_waitcnt lgkmcnt(0)
	s_barrier
	s_cbranch_vccz .LBB6464_61
; %bb.60:
	ds_write2_b64 v1, v[12:13], v[14:15] offset1:1
	ds_write2_b64 v1, v[6:7], v[8:9] offset0:2 offset1:3
	ds_write_b64 v1, v[2:3] offset:32
	s_waitcnt lgkmcnt(0)
	s_barrier
	ds_read2st64_b32 v[4:5], v22 offset1:2
	ds_read2st64_b32 v[10:11], v22 offset0:4 offset1:6
	ds_read2st64_b32 v[16:17], v22 offset0:8 offset1:10
	ds_read2st64_b32 v[18:19], v22 offset0:12 offset1:14
	ds_read2st64_b32 v[20:21], v22 offset0:16 offset1:18
	v_mov_b32_e32 v25, s3
	v_add_co_u32_e32 v24, vcc, s2, v22
	v_addc_co_u32_e32 v25, vcc, 0, v25, vcc
	s_waitcnt lgkmcnt(4)
	flat_store_dword v[24:25], v4
	flat_store_dword v[24:25], v5 offset:512
	s_waitcnt lgkmcnt(0)
	flat_store_dword v[24:25], v10 offset:1024
	flat_store_dword v[24:25], v11 offset:1536
	;; [unrolled: 1-line block ×6, first 2 shown]
	v_add_co_u32_e32 v4, vcc, 0x1000, v24
	v_addc_co_u32_e32 v5, vcc, 0, v25, vcc
	flat_store_dword v[4:5], v20
	flat_store_dword v[4:5], v21 offset:512
	s_mov_b64 s[0:1], 0
.LBB6464_61:
	s_andn2_b64 vcc, exec, s[0:1]
	s_cbranch_vccnz .LBB6464_117
; %bb.62:
	ds_write2_b64 v1, v[12:13], v[14:15] offset1:1
	ds_write2_b64 v1, v[6:7], v[8:9] offset0:2 offset1:3
	ds_write_b64 v1, v[2:3] offset:32
	s_waitcnt lgkmcnt(0)
	s_barrier
	ds_read2st64_b32 v[2:3], v22 offset1:2
	ds_read2st64_b32 v[6:7], v22 offset0:4 offset1:6
	ds_read2st64_b32 v[4:5], v22 offset0:8 offset1:10
	;; [unrolled: 1-line block ×4, first 2 shown]
	v_mov_b32_e32 v13, s3
	v_add_co_u32_e32 v12, vcc, s2, v22
	v_addc_co_u32_e32 v13, vcc, 0, v13, vcc
	v_mov_b32_e32 v1, 0
	v_cmp_gt_u32_e32 vcc, s7, v0
	s_and_saveexec_b64 s[0:1], vcc
	s_cbranch_execz .LBB6464_64
; %bb.63:
	s_waitcnt lgkmcnt(0)
	flat_store_dword v[12:13], v2
.LBB6464_64:
	s_or_b64 exec, exec, s[0:1]
	v_or_b32_e32 v14, 0x80, v0
	v_cmp_gt_u32_e32 vcc, s7, v14
	s_and_saveexec_b64 s[0:1], vcc
	s_cbranch_execz .LBB6464_66
; %bb.65:
	s_waitcnt lgkmcnt(0)
	flat_store_dword v[12:13], v3 offset:512
.LBB6464_66:
	s_or_b64 exec, exec, s[0:1]
	v_or_b32_e32 v14, 0x100, v0
	v_cmp_gt_u32_e32 vcc, s7, v14
	s_and_saveexec_b64 s[0:1], vcc
	s_cbranch_execz .LBB6464_68
; %bb.67:
	s_waitcnt lgkmcnt(0)
	flat_store_dword v[12:13], v6 offset:1024
.LBB6464_68:
	;; [unrolled: 9-line block ×7, first 2 shown]
	s_or_b64 exec, exec, s[0:1]
	v_or_b32_e32 v14, 0x400, v0
	v_cmp_gt_u32_e32 vcc, s7, v14
	s_and_saveexec_b64 s[0:1], vcc
	s_cbranch_execz .LBB6464_80
; %bb.79:
	v_add_co_u32_e32 v14, vcc, 0x1000, v12
	v_addc_co_u32_e32 v15, vcc, 0, v13, vcc
	s_waitcnt lgkmcnt(0)
	flat_store_dword v[14:15], v10
.LBB6464_80:
	s_or_b64 exec, exec, s[0:1]
	v_or_b32_e32 v14, 0x480, v0
	v_cmp_gt_u32_e32 vcc, s7, v14
	s_and_saveexec_b64 s[0:1], vcc
	s_cbranch_execz .LBB6464_82
; %bb.81:
	v_add_co_u32_e32 v12, vcc, 0x1000, v12
	v_addc_co_u32_e32 v13, vcc, 0, v13, vcc
	s_waitcnt lgkmcnt(0)
	flat_store_dword v[12:13], v11 offset:512
.LBB6464_82:
	s_or_b64 exec, exec, s[0:1]
	v_cmp_lt_u64_e64 s[0:1], s[22:23], 2
	s_and_b64 vcc, exec, s[0:1]
	s_cbranch_vccnz .LBB6464_117
; %bb.83:
	s_add_u32 s0, s7, -1
	s_addc_u32 s1, s26, -1
	s_add_u32 s2, 0, 0x99986000
	s_addc_u32 s3, 0, 0x59
	s_add_i32 s3, s3, 0x19999940
	s_mul_hi_u32 s7, s2, -10
	s_sub_i32 s7, s7, s2
	s_mul_i32 s8, s3, -10
	s_mul_i32 s4, s2, -10
	s_add_i32 s7, s7, s8
	s_mul_hi_u32 s5, s3, s4
	s_mul_i32 s6, s3, s4
	s_mul_i32 s9, s2, s7
	s_mul_hi_u32 s4, s2, s4
	s_mul_hi_u32 s8, s2, s7
	s_add_u32 s4, s4, s9
	s_addc_u32 s8, 0, s8
	s_add_u32 s4, s4, s6
	s_mul_hi_u32 s9, s3, s7
	s_addc_u32 s4, s8, s5
	s_addc_u32 s5, s9, 0
	s_mul_i32 s6, s3, s7
	s_add_u32 s4, s4, s6
	v_mov_b32_e32 v12, s4
	s_addc_u32 s5, 0, s5
	v_add_co_u32_e32 v12, vcc, s2, v12
	s_cmp_lg_u64 vcc, 0
	s_addc_u32 s2, s3, s5
	v_readfirstlane_b32 s5, v12
	s_mul_i32 s4, s0, s2
	s_mul_hi_u32 s6, s0, s5
	s_mul_hi_u32 s3, s0, s2
	s_add_u32 s4, s6, s4
	s_addc_u32 s3, 0, s3
	s_mul_hi_u32 s7, s1, s5
	s_mul_i32 s5, s1, s5
	s_add_u32 s4, s4, s5
	s_mul_hi_u32 s6, s1, s2
	s_addc_u32 s3, s3, s7
	s_addc_u32 s4, s6, 0
	s_mul_i32 s2, s1, s2
	s_add_u32 s2, s3, s2
	s_addc_u32 s3, 0, s4
	s_add_u32 s4, s2, 1
	s_addc_u32 s5, s3, 0
	s_add_u32 s6, s2, 2
	s_mul_i32 s8, s3, 10
	s_mul_hi_u32 s9, s2, 10
	s_addc_u32 s7, s3, 0
	s_add_i32 s9, s9, s8
	s_mul_i32 s8, s2, 10
	v_mov_b32_e32 v12, s8
	v_sub_co_u32_e32 v12, vcc, s0, v12
	s_cmp_lg_u64 vcc, 0
	s_subb_u32 s8, s1, s9
	v_subrev_co_u32_e32 v13, vcc, 10, v12
	s_cmp_lg_u64 vcc, 0
	s_subb_u32 s9, s8, 0
	v_readfirstlane_b32 s10, v13
	s_cmp_gt_u32 s10, 9
	s_cselect_b32 s10, -1, 0
	s_cmp_eq_u32 s9, 0
	s_cselect_b32 s9, s10, -1
	s_cmp_lg_u32 s9, 0
	s_cselect_b32 s4, s6, s4
	v_readfirstlane_b32 s6, v12
	s_cselect_b32 s5, s7, s5
	s_cmp_gt_u32 s6, 9
	s_cselect_b32 s6, -1, 0
	s_cmp_eq_u32 s8, 0
	s_cselect_b32 s6, s6, -1
	s_cmp_lg_u32 s6, 0
	s_cselect_b32 s3, s5, s3
	s_cselect_b32 s2, s4, s2
	v_cmp_eq_u64_e32 vcc, s[2:3], v[0:1]
	s_and_saveexec_b64 s[2:3], vcc
	s_cbranch_execz .LBB6464_117
; %bb.84:
	v_mul_hi_u32_u24_e32 v1, 10, v0
	v_mov_b32_e32 v12, s1
	v_sub_co_u32_e32 v0, vcc, s0, v23
	v_subb_co_u32_e32 v1, vcc, v12, v1, vcc
	v_cmp_lt_i64_e32 vcc, 4, v[0:1]
	s_and_saveexec_b64 s[0:1], vcc
	s_xor_b64 s[0:1], exec, s[0:1]
	s_cbranch_execz .LBB6464_102
; %bb.85:
	v_cmp_lt_i64_e32 vcc, 6, v[0:1]
	s_and_saveexec_b64 s[2:3], vcc
	s_xor_b64 s[2:3], exec, s[2:3]
	s_cbranch_execz .LBB6464_95
; %bb.86:
	;; [unrolled: 5-line block ×4, first 2 shown]
	v_mov_b32_e32 v0, 0
	s_waitcnt lgkmcnt(0)
	global_store_dword v0, v11, s[18:19]
                                        ; implicit-def: $vgpr10_vgpr11
.LBB6464_89:
	s_andn2_saveexec_b64 s[6:7], s[6:7]
	s_cbranch_execz .LBB6464_91
; %bb.90:
	v_mov_b32_e32 v0, 0
	s_waitcnt lgkmcnt(0)
	global_store_dword v0, v10, s[18:19]
.LBB6464_91:
	s_or_b64 exec, exec, s[6:7]
                                        ; implicit-def: $vgpr8_vgpr9
.LBB6464_92:
	s_andn2_saveexec_b64 s[4:5], s[4:5]
	s_cbranch_execz .LBB6464_94
; %bb.93:
	v_mov_b32_e32 v0, 0
	s_waitcnt lgkmcnt(0)
	global_store_dword v0, v9, s[18:19]
.LBB6464_94:
	s_or_b64 exec, exec, s[4:5]
                                        ; implicit-def: $vgpr4_vgpr5
                                        ; implicit-def: $vgpr0_vgpr1
                                        ; implicit-def: $vgpr8_vgpr9
.LBB6464_95:
	s_andn2_saveexec_b64 s[2:3], s[2:3]
	s_cbranch_execz .LBB6464_101
; %bb.96:
	v_cmp_lt_i64_e32 vcc, 5, v[0:1]
	s_and_saveexec_b64 s[4:5], vcc
	s_xor_b64 s[4:5], exec, s[4:5]
	s_cbranch_execz .LBB6464_98
; %bb.97:
	v_mov_b32_e32 v0, 0
	s_waitcnt lgkmcnt(0)
	global_store_dword v0, v8, s[18:19]
                                        ; implicit-def: $vgpr4_vgpr5
.LBB6464_98:
	s_andn2_saveexec_b64 s[4:5], s[4:5]
	s_cbranch_execz .LBB6464_100
; %bb.99:
	v_mov_b32_e32 v0, 0
	s_waitcnt lgkmcnt(0)
	global_store_dword v0, v5, s[18:19]
.LBB6464_100:
	s_or_b64 exec, exec, s[4:5]
.LBB6464_101:
	s_or_b64 exec, exec, s[2:3]
                                        ; implicit-def: $vgpr0_vgpr1
                                        ; implicit-def: $vgpr6_vgpr7
                                        ; implicit-def: $vgpr2_vgpr3
                                        ; implicit-def: $vgpr4_vgpr5
.LBB6464_102:
	s_andn2_saveexec_b64 s[0:1], s[0:1]
	s_cbranch_execz .LBB6464_117
; %bb.103:
	v_cmp_lt_i64_e32 vcc, 2, v[0:1]
	s_and_saveexec_b64 s[0:1], vcc
	s_xor_b64 s[0:1], exec, s[0:1]
	s_cbranch_execz .LBB6464_109
; %bb.104:
	v_cmp_lt_i64_e32 vcc, 3, v[0:1]
	s_and_saveexec_b64 s[2:3], vcc
	s_xor_b64 s[2:3], exec, s[2:3]
	s_cbranch_execz .LBB6464_106
; %bb.105:
	v_mov_b32_e32 v0, 0
	s_waitcnt lgkmcnt(0)
	global_store_dword v0, v4, s[18:19]
                                        ; implicit-def: $vgpr6_vgpr7
.LBB6464_106:
	s_andn2_saveexec_b64 s[2:3], s[2:3]
	s_cbranch_execz .LBB6464_108
; %bb.107:
	v_mov_b32_e32 v0, 0
	s_waitcnt lgkmcnt(0)
	global_store_dword v0, v7, s[18:19]
.LBB6464_108:
	s_or_b64 exec, exec, s[2:3]
                                        ; implicit-def: $vgpr0_vgpr1
                                        ; implicit-def: $vgpr6_vgpr7
                                        ; implicit-def: $vgpr2_vgpr3
.LBB6464_109:
	s_andn2_saveexec_b64 s[0:1], s[0:1]
	s_cbranch_execz .LBB6464_117
; %bb.110:
	v_cmp_lt_i64_e32 vcc, 1, v[0:1]
	s_and_saveexec_b64 s[0:1], vcc
	s_xor_b64 s[0:1], exec, s[0:1]
	s_cbranch_execz .LBB6464_112
; %bb.111:
	v_mov_b32_e32 v0, 0
	s_waitcnt lgkmcnt(0)
	global_store_dword v0, v6, s[18:19]
                                        ; implicit-def: $vgpr2_vgpr3
                                        ; implicit-def: $vgpr0_vgpr1
.LBB6464_112:
	s_andn2_saveexec_b64 s[0:1], s[0:1]
	s_cbranch_execz .LBB6464_117
; %bb.113:
	v_cmp_ne_u64_e32 vcc, 1, v[0:1]
	s_and_saveexec_b64 s[0:1], vcc
	s_xor_b64 s[0:1], exec, s[0:1]
	s_cbranch_execz .LBB6464_115
; %bb.114:
	v_mov_b32_e32 v0, 0
	s_waitcnt lgkmcnt(0)
	global_store_dword v0, v2, s[18:19]
                                        ; implicit-def: $vgpr2_vgpr3
.LBB6464_115:
	s_andn2_saveexec_b64 s[0:1], s[0:1]
	s_cbranch_execz .LBB6464_117
; %bb.116:
	v_mov_b32_e32 v0, 0
	s_waitcnt lgkmcnt(0)
	global_store_dword v0, v3, s[18:19]
.LBB6464_117:
	s_endpgm
	.section	.rodata,"a",@progbits
	.p2align	6, 0x0
	.amdhsa_kernel _ZN7rocprim17ROCPRIM_400000_NS6detail17trampoline_kernelINS0_14default_configENS1_20scan_config_selectorI11FixedVectorIiLj1EEEEZZNS1_9scan_implILNS1_25lookback_scan_determinismE0ELb1ELb1ES3_N6thrust23THRUST_200600_302600_NS6detail15normal_iteratorINSB_10device_ptrIS6_EEEESG_S6_NSB_4plusIvEES6_EEDaPvRmT3_T4_T5_mT6_P12ihipStream_tbENKUlT_T0_E_clISt17integral_constantIbLb0EESW_EEDaSR_SS_EUlSR_E_NS1_11comp_targetILNS1_3genE4ELNS1_11target_archE910ELNS1_3gpuE8ELNS1_3repE0EEENS1_30default_config_static_selectorELNS0_4arch9wavefront6targetE1EEEvT1_
		.amdhsa_group_segment_fixed_size 5120
		.amdhsa_private_segment_fixed_size 0
		.amdhsa_kernarg_size 96
		.amdhsa_user_sgpr_count 6
		.amdhsa_user_sgpr_private_segment_buffer 1
		.amdhsa_user_sgpr_dispatch_ptr 0
		.amdhsa_user_sgpr_queue_ptr 0
		.amdhsa_user_sgpr_kernarg_segment_ptr 1
		.amdhsa_user_sgpr_dispatch_id 0
		.amdhsa_user_sgpr_flat_scratch_init 0
		.amdhsa_user_sgpr_kernarg_preload_length 0
		.amdhsa_user_sgpr_kernarg_preload_offset 0
		.amdhsa_user_sgpr_private_segment_size 0
		.amdhsa_uses_dynamic_stack 0
		.amdhsa_system_sgpr_private_segment_wavefront_offset 0
		.amdhsa_system_sgpr_workgroup_id_x 1
		.amdhsa_system_sgpr_workgroup_id_y 0
		.amdhsa_system_sgpr_workgroup_id_z 0
		.amdhsa_system_sgpr_workgroup_info 0
		.amdhsa_system_vgpr_workitem_id 0
		.amdhsa_next_free_vgpr 41
		.amdhsa_next_free_sgpr 29
		.amdhsa_accum_offset 44
		.amdhsa_reserve_vcc 1
		.amdhsa_reserve_flat_scratch 0
		.amdhsa_float_round_mode_32 0
		.amdhsa_float_round_mode_16_64 0
		.amdhsa_float_denorm_mode_32 3
		.amdhsa_float_denorm_mode_16_64 3
		.amdhsa_dx10_clamp 1
		.amdhsa_ieee_mode 1
		.amdhsa_fp16_overflow 0
		.amdhsa_tg_split 0
		.amdhsa_exception_fp_ieee_invalid_op 0
		.amdhsa_exception_fp_denorm_src 0
		.amdhsa_exception_fp_ieee_div_zero 0
		.amdhsa_exception_fp_ieee_overflow 0
		.amdhsa_exception_fp_ieee_underflow 0
		.amdhsa_exception_fp_ieee_inexact 0
		.amdhsa_exception_int_div_zero 0
	.end_amdhsa_kernel
	.section	.text._ZN7rocprim17ROCPRIM_400000_NS6detail17trampoline_kernelINS0_14default_configENS1_20scan_config_selectorI11FixedVectorIiLj1EEEEZZNS1_9scan_implILNS1_25lookback_scan_determinismE0ELb1ELb1ES3_N6thrust23THRUST_200600_302600_NS6detail15normal_iteratorINSB_10device_ptrIS6_EEEESG_S6_NSB_4plusIvEES6_EEDaPvRmT3_T4_T5_mT6_P12ihipStream_tbENKUlT_T0_E_clISt17integral_constantIbLb0EESW_EEDaSR_SS_EUlSR_E_NS1_11comp_targetILNS1_3genE4ELNS1_11target_archE910ELNS1_3gpuE8ELNS1_3repE0EEENS1_30default_config_static_selectorELNS0_4arch9wavefront6targetE1EEEvT1_,"axG",@progbits,_ZN7rocprim17ROCPRIM_400000_NS6detail17trampoline_kernelINS0_14default_configENS1_20scan_config_selectorI11FixedVectorIiLj1EEEEZZNS1_9scan_implILNS1_25lookback_scan_determinismE0ELb1ELb1ES3_N6thrust23THRUST_200600_302600_NS6detail15normal_iteratorINSB_10device_ptrIS6_EEEESG_S6_NSB_4plusIvEES6_EEDaPvRmT3_T4_T5_mT6_P12ihipStream_tbENKUlT_T0_E_clISt17integral_constantIbLb0EESW_EEDaSR_SS_EUlSR_E_NS1_11comp_targetILNS1_3genE4ELNS1_11target_archE910ELNS1_3gpuE8ELNS1_3repE0EEENS1_30default_config_static_selectorELNS0_4arch9wavefront6targetE1EEEvT1_,comdat
.Lfunc_end6464:
	.size	_ZN7rocprim17ROCPRIM_400000_NS6detail17trampoline_kernelINS0_14default_configENS1_20scan_config_selectorI11FixedVectorIiLj1EEEEZZNS1_9scan_implILNS1_25lookback_scan_determinismE0ELb1ELb1ES3_N6thrust23THRUST_200600_302600_NS6detail15normal_iteratorINSB_10device_ptrIS6_EEEESG_S6_NSB_4plusIvEES6_EEDaPvRmT3_T4_T5_mT6_P12ihipStream_tbENKUlT_T0_E_clISt17integral_constantIbLb0EESW_EEDaSR_SS_EUlSR_E_NS1_11comp_targetILNS1_3genE4ELNS1_11target_archE910ELNS1_3gpuE8ELNS1_3repE0EEENS1_30default_config_static_selectorELNS0_4arch9wavefront6targetE1EEEvT1_, .Lfunc_end6464-_ZN7rocprim17ROCPRIM_400000_NS6detail17trampoline_kernelINS0_14default_configENS1_20scan_config_selectorI11FixedVectorIiLj1EEEEZZNS1_9scan_implILNS1_25lookback_scan_determinismE0ELb1ELb1ES3_N6thrust23THRUST_200600_302600_NS6detail15normal_iteratorINSB_10device_ptrIS6_EEEESG_S6_NSB_4plusIvEES6_EEDaPvRmT3_T4_T5_mT6_P12ihipStream_tbENKUlT_T0_E_clISt17integral_constantIbLb0EESW_EEDaSR_SS_EUlSR_E_NS1_11comp_targetILNS1_3genE4ELNS1_11target_archE910ELNS1_3gpuE8ELNS1_3repE0EEENS1_30default_config_static_selectorELNS0_4arch9wavefront6targetE1EEEvT1_
                                        ; -- End function
	.section	.AMDGPU.csdata,"",@progbits
; Kernel info:
; codeLenInByte = 4368
; NumSgprs: 33
; NumVgprs: 41
; NumAgprs: 0
; TotalNumVgprs: 41
; ScratchSize: 0
; MemoryBound: 0
; FloatMode: 240
; IeeeMode: 1
; LDSByteSize: 5120 bytes/workgroup (compile time only)
; SGPRBlocks: 4
; VGPRBlocks: 5
; NumSGPRsForWavesPerEU: 33
; NumVGPRsForWavesPerEU: 41
; AccumOffset: 44
; Occupancy: 6
; WaveLimiterHint : 1
; COMPUTE_PGM_RSRC2:SCRATCH_EN: 0
; COMPUTE_PGM_RSRC2:USER_SGPR: 6
; COMPUTE_PGM_RSRC2:TRAP_HANDLER: 0
; COMPUTE_PGM_RSRC2:TGID_X_EN: 1
; COMPUTE_PGM_RSRC2:TGID_Y_EN: 0
; COMPUTE_PGM_RSRC2:TGID_Z_EN: 0
; COMPUTE_PGM_RSRC2:TIDIG_COMP_CNT: 0
; COMPUTE_PGM_RSRC3_GFX90A:ACCUM_OFFSET: 10
; COMPUTE_PGM_RSRC3_GFX90A:TG_SPLIT: 0
	.section	.text._ZN7rocprim17ROCPRIM_400000_NS6detail17trampoline_kernelINS0_14default_configENS1_20scan_config_selectorI11FixedVectorIiLj1EEEEZZNS1_9scan_implILNS1_25lookback_scan_determinismE0ELb1ELb1ES3_N6thrust23THRUST_200600_302600_NS6detail15normal_iteratorINSB_10device_ptrIS6_EEEESG_S6_NSB_4plusIvEES6_EEDaPvRmT3_T4_T5_mT6_P12ihipStream_tbENKUlT_T0_E_clISt17integral_constantIbLb0EESW_EEDaSR_SS_EUlSR_E_NS1_11comp_targetILNS1_3genE3ELNS1_11target_archE908ELNS1_3gpuE7ELNS1_3repE0EEENS1_30default_config_static_selectorELNS0_4arch9wavefront6targetE1EEEvT1_,"axG",@progbits,_ZN7rocprim17ROCPRIM_400000_NS6detail17trampoline_kernelINS0_14default_configENS1_20scan_config_selectorI11FixedVectorIiLj1EEEEZZNS1_9scan_implILNS1_25lookback_scan_determinismE0ELb1ELb1ES3_N6thrust23THRUST_200600_302600_NS6detail15normal_iteratorINSB_10device_ptrIS6_EEEESG_S6_NSB_4plusIvEES6_EEDaPvRmT3_T4_T5_mT6_P12ihipStream_tbENKUlT_T0_E_clISt17integral_constantIbLb0EESW_EEDaSR_SS_EUlSR_E_NS1_11comp_targetILNS1_3genE3ELNS1_11target_archE908ELNS1_3gpuE7ELNS1_3repE0EEENS1_30default_config_static_selectorELNS0_4arch9wavefront6targetE1EEEvT1_,comdat
	.protected	_ZN7rocprim17ROCPRIM_400000_NS6detail17trampoline_kernelINS0_14default_configENS1_20scan_config_selectorI11FixedVectorIiLj1EEEEZZNS1_9scan_implILNS1_25lookback_scan_determinismE0ELb1ELb1ES3_N6thrust23THRUST_200600_302600_NS6detail15normal_iteratorINSB_10device_ptrIS6_EEEESG_S6_NSB_4plusIvEES6_EEDaPvRmT3_T4_T5_mT6_P12ihipStream_tbENKUlT_T0_E_clISt17integral_constantIbLb0EESW_EEDaSR_SS_EUlSR_E_NS1_11comp_targetILNS1_3genE3ELNS1_11target_archE908ELNS1_3gpuE7ELNS1_3repE0EEENS1_30default_config_static_selectorELNS0_4arch9wavefront6targetE1EEEvT1_ ; -- Begin function _ZN7rocprim17ROCPRIM_400000_NS6detail17trampoline_kernelINS0_14default_configENS1_20scan_config_selectorI11FixedVectorIiLj1EEEEZZNS1_9scan_implILNS1_25lookback_scan_determinismE0ELb1ELb1ES3_N6thrust23THRUST_200600_302600_NS6detail15normal_iteratorINSB_10device_ptrIS6_EEEESG_S6_NSB_4plusIvEES6_EEDaPvRmT3_T4_T5_mT6_P12ihipStream_tbENKUlT_T0_E_clISt17integral_constantIbLb0EESW_EEDaSR_SS_EUlSR_E_NS1_11comp_targetILNS1_3genE3ELNS1_11target_archE908ELNS1_3gpuE7ELNS1_3repE0EEENS1_30default_config_static_selectorELNS0_4arch9wavefront6targetE1EEEvT1_
	.globl	_ZN7rocprim17ROCPRIM_400000_NS6detail17trampoline_kernelINS0_14default_configENS1_20scan_config_selectorI11FixedVectorIiLj1EEEEZZNS1_9scan_implILNS1_25lookback_scan_determinismE0ELb1ELb1ES3_N6thrust23THRUST_200600_302600_NS6detail15normal_iteratorINSB_10device_ptrIS6_EEEESG_S6_NSB_4plusIvEES6_EEDaPvRmT3_T4_T5_mT6_P12ihipStream_tbENKUlT_T0_E_clISt17integral_constantIbLb0EESW_EEDaSR_SS_EUlSR_E_NS1_11comp_targetILNS1_3genE3ELNS1_11target_archE908ELNS1_3gpuE7ELNS1_3repE0EEENS1_30default_config_static_selectorELNS0_4arch9wavefront6targetE1EEEvT1_
	.p2align	8
	.type	_ZN7rocprim17ROCPRIM_400000_NS6detail17trampoline_kernelINS0_14default_configENS1_20scan_config_selectorI11FixedVectorIiLj1EEEEZZNS1_9scan_implILNS1_25lookback_scan_determinismE0ELb1ELb1ES3_N6thrust23THRUST_200600_302600_NS6detail15normal_iteratorINSB_10device_ptrIS6_EEEESG_S6_NSB_4plusIvEES6_EEDaPvRmT3_T4_T5_mT6_P12ihipStream_tbENKUlT_T0_E_clISt17integral_constantIbLb0EESW_EEDaSR_SS_EUlSR_E_NS1_11comp_targetILNS1_3genE3ELNS1_11target_archE908ELNS1_3gpuE7ELNS1_3repE0EEENS1_30default_config_static_selectorELNS0_4arch9wavefront6targetE1EEEvT1_,@function
_ZN7rocprim17ROCPRIM_400000_NS6detail17trampoline_kernelINS0_14default_configENS1_20scan_config_selectorI11FixedVectorIiLj1EEEEZZNS1_9scan_implILNS1_25lookback_scan_determinismE0ELb1ELb1ES3_N6thrust23THRUST_200600_302600_NS6detail15normal_iteratorINSB_10device_ptrIS6_EEEESG_S6_NSB_4plusIvEES6_EEDaPvRmT3_T4_T5_mT6_P12ihipStream_tbENKUlT_T0_E_clISt17integral_constantIbLb0EESW_EEDaSR_SS_EUlSR_E_NS1_11comp_targetILNS1_3genE3ELNS1_11target_archE908ELNS1_3gpuE7ELNS1_3repE0EEENS1_30default_config_static_selectorELNS0_4arch9wavefront6targetE1EEEvT1_: ; @_ZN7rocprim17ROCPRIM_400000_NS6detail17trampoline_kernelINS0_14default_configENS1_20scan_config_selectorI11FixedVectorIiLj1EEEEZZNS1_9scan_implILNS1_25lookback_scan_determinismE0ELb1ELb1ES3_N6thrust23THRUST_200600_302600_NS6detail15normal_iteratorINSB_10device_ptrIS6_EEEESG_S6_NSB_4plusIvEES6_EEDaPvRmT3_T4_T5_mT6_P12ihipStream_tbENKUlT_T0_E_clISt17integral_constantIbLb0EESW_EEDaSR_SS_EUlSR_E_NS1_11comp_targetILNS1_3genE3ELNS1_11target_archE908ELNS1_3gpuE7ELNS1_3repE0EEENS1_30default_config_static_selectorELNS0_4arch9wavefront6targetE1EEEvT1_
; %bb.0:
	.section	.rodata,"a",@progbits
	.p2align	6, 0x0
	.amdhsa_kernel _ZN7rocprim17ROCPRIM_400000_NS6detail17trampoline_kernelINS0_14default_configENS1_20scan_config_selectorI11FixedVectorIiLj1EEEEZZNS1_9scan_implILNS1_25lookback_scan_determinismE0ELb1ELb1ES3_N6thrust23THRUST_200600_302600_NS6detail15normal_iteratorINSB_10device_ptrIS6_EEEESG_S6_NSB_4plusIvEES6_EEDaPvRmT3_T4_T5_mT6_P12ihipStream_tbENKUlT_T0_E_clISt17integral_constantIbLb0EESW_EEDaSR_SS_EUlSR_E_NS1_11comp_targetILNS1_3genE3ELNS1_11target_archE908ELNS1_3gpuE7ELNS1_3repE0EEENS1_30default_config_static_selectorELNS0_4arch9wavefront6targetE1EEEvT1_
		.amdhsa_group_segment_fixed_size 0
		.amdhsa_private_segment_fixed_size 0
		.amdhsa_kernarg_size 96
		.amdhsa_user_sgpr_count 6
		.amdhsa_user_sgpr_private_segment_buffer 1
		.amdhsa_user_sgpr_dispatch_ptr 0
		.amdhsa_user_sgpr_queue_ptr 0
		.amdhsa_user_sgpr_kernarg_segment_ptr 1
		.amdhsa_user_sgpr_dispatch_id 0
		.amdhsa_user_sgpr_flat_scratch_init 0
		.amdhsa_user_sgpr_kernarg_preload_length 0
		.amdhsa_user_sgpr_kernarg_preload_offset 0
		.amdhsa_user_sgpr_private_segment_size 0
		.amdhsa_uses_dynamic_stack 0
		.amdhsa_system_sgpr_private_segment_wavefront_offset 0
		.amdhsa_system_sgpr_workgroup_id_x 1
		.amdhsa_system_sgpr_workgroup_id_y 0
		.amdhsa_system_sgpr_workgroup_id_z 0
		.amdhsa_system_sgpr_workgroup_info 0
		.amdhsa_system_vgpr_workitem_id 0
		.amdhsa_next_free_vgpr 1
		.amdhsa_next_free_sgpr 0
		.amdhsa_accum_offset 4
		.amdhsa_reserve_vcc 0
		.amdhsa_reserve_flat_scratch 0
		.amdhsa_float_round_mode_32 0
		.amdhsa_float_round_mode_16_64 0
		.amdhsa_float_denorm_mode_32 3
		.amdhsa_float_denorm_mode_16_64 3
		.amdhsa_dx10_clamp 1
		.amdhsa_ieee_mode 1
		.amdhsa_fp16_overflow 0
		.amdhsa_tg_split 0
		.amdhsa_exception_fp_ieee_invalid_op 0
		.amdhsa_exception_fp_denorm_src 0
		.amdhsa_exception_fp_ieee_div_zero 0
		.amdhsa_exception_fp_ieee_overflow 0
		.amdhsa_exception_fp_ieee_underflow 0
		.amdhsa_exception_fp_ieee_inexact 0
		.amdhsa_exception_int_div_zero 0
	.end_amdhsa_kernel
	.section	.text._ZN7rocprim17ROCPRIM_400000_NS6detail17trampoline_kernelINS0_14default_configENS1_20scan_config_selectorI11FixedVectorIiLj1EEEEZZNS1_9scan_implILNS1_25lookback_scan_determinismE0ELb1ELb1ES3_N6thrust23THRUST_200600_302600_NS6detail15normal_iteratorINSB_10device_ptrIS6_EEEESG_S6_NSB_4plusIvEES6_EEDaPvRmT3_T4_T5_mT6_P12ihipStream_tbENKUlT_T0_E_clISt17integral_constantIbLb0EESW_EEDaSR_SS_EUlSR_E_NS1_11comp_targetILNS1_3genE3ELNS1_11target_archE908ELNS1_3gpuE7ELNS1_3repE0EEENS1_30default_config_static_selectorELNS0_4arch9wavefront6targetE1EEEvT1_,"axG",@progbits,_ZN7rocprim17ROCPRIM_400000_NS6detail17trampoline_kernelINS0_14default_configENS1_20scan_config_selectorI11FixedVectorIiLj1EEEEZZNS1_9scan_implILNS1_25lookback_scan_determinismE0ELb1ELb1ES3_N6thrust23THRUST_200600_302600_NS6detail15normal_iteratorINSB_10device_ptrIS6_EEEESG_S6_NSB_4plusIvEES6_EEDaPvRmT3_T4_T5_mT6_P12ihipStream_tbENKUlT_T0_E_clISt17integral_constantIbLb0EESW_EEDaSR_SS_EUlSR_E_NS1_11comp_targetILNS1_3genE3ELNS1_11target_archE908ELNS1_3gpuE7ELNS1_3repE0EEENS1_30default_config_static_selectorELNS0_4arch9wavefront6targetE1EEEvT1_,comdat
.Lfunc_end6465:
	.size	_ZN7rocprim17ROCPRIM_400000_NS6detail17trampoline_kernelINS0_14default_configENS1_20scan_config_selectorI11FixedVectorIiLj1EEEEZZNS1_9scan_implILNS1_25lookback_scan_determinismE0ELb1ELb1ES3_N6thrust23THRUST_200600_302600_NS6detail15normal_iteratorINSB_10device_ptrIS6_EEEESG_S6_NSB_4plusIvEES6_EEDaPvRmT3_T4_T5_mT6_P12ihipStream_tbENKUlT_T0_E_clISt17integral_constantIbLb0EESW_EEDaSR_SS_EUlSR_E_NS1_11comp_targetILNS1_3genE3ELNS1_11target_archE908ELNS1_3gpuE7ELNS1_3repE0EEENS1_30default_config_static_selectorELNS0_4arch9wavefront6targetE1EEEvT1_, .Lfunc_end6465-_ZN7rocprim17ROCPRIM_400000_NS6detail17trampoline_kernelINS0_14default_configENS1_20scan_config_selectorI11FixedVectorIiLj1EEEEZZNS1_9scan_implILNS1_25lookback_scan_determinismE0ELb1ELb1ES3_N6thrust23THRUST_200600_302600_NS6detail15normal_iteratorINSB_10device_ptrIS6_EEEESG_S6_NSB_4plusIvEES6_EEDaPvRmT3_T4_T5_mT6_P12ihipStream_tbENKUlT_T0_E_clISt17integral_constantIbLb0EESW_EEDaSR_SS_EUlSR_E_NS1_11comp_targetILNS1_3genE3ELNS1_11target_archE908ELNS1_3gpuE7ELNS1_3repE0EEENS1_30default_config_static_selectorELNS0_4arch9wavefront6targetE1EEEvT1_
                                        ; -- End function
	.section	.AMDGPU.csdata,"",@progbits
; Kernel info:
; codeLenInByte = 0
; NumSgprs: 4
; NumVgprs: 0
; NumAgprs: 0
; TotalNumVgprs: 0
; ScratchSize: 0
; MemoryBound: 0
; FloatMode: 240
; IeeeMode: 1
; LDSByteSize: 0 bytes/workgroup (compile time only)
; SGPRBlocks: 0
; VGPRBlocks: 0
; NumSGPRsForWavesPerEU: 4
; NumVGPRsForWavesPerEU: 1
; AccumOffset: 4
; Occupancy: 8
; WaveLimiterHint : 0
; COMPUTE_PGM_RSRC2:SCRATCH_EN: 0
; COMPUTE_PGM_RSRC2:USER_SGPR: 6
; COMPUTE_PGM_RSRC2:TRAP_HANDLER: 0
; COMPUTE_PGM_RSRC2:TGID_X_EN: 1
; COMPUTE_PGM_RSRC2:TGID_Y_EN: 0
; COMPUTE_PGM_RSRC2:TGID_Z_EN: 0
; COMPUTE_PGM_RSRC2:TIDIG_COMP_CNT: 0
; COMPUTE_PGM_RSRC3_GFX90A:ACCUM_OFFSET: 0
; COMPUTE_PGM_RSRC3_GFX90A:TG_SPLIT: 0
	.section	.text._ZN7rocprim17ROCPRIM_400000_NS6detail17trampoline_kernelINS0_14default_configENS1_20scan_config_selectorI11FixedVectorIiLj1EEEEZZNS1_9scan_implILNS1_25lookback_scan_determinismE0ELb1ELb1ES3_N6thrust23THRUST_200600_302600_NS6detail15normal_iteratorINSB_10device_ptrIS6_EEEESG_S6_NSB_4plusIvEES6_EEDaPvRmT3_T4_T5_mT6_P12ihipStream_tbENKUlT_T0_E_clISt17integral_constantIbLb0EESW_EEDaSR_SS_EUlSR_E_NS1_11comp_targetILNS1_3genE2ELNS1_11target_archE906ELNS1_3gpuE6ELNS1_3repE0EEENS1_30default_config_static_selectorELNS0_4arch9wavefront6targetE1EEEvT1_,"axG",@progbits,_ZN7rocprim17ROCPRIM_400000_NS6detail17trampoline_kernelINS0_14default_configENS1_20scan_config_selectorI11FixedVectorIiLj1EEEEZZNS1_9scan_implILNS1_25lookback_scan_determinismE0ELb1ELb1ES3_N6thrust23THRUST_200600_302600_NS6detail15normal_iteratorINSB_10device_ptrIS6_EEEESG_S6_NSB_4plusIvEES6_EEDaPvRmT3_T4_T5_mT6_P12ihipStream_tbENKUlT_T0_E_clISt17integral_constantIbLb0EESW_EEDaSR_SS_EUlSR_E_NS1_11comp_targetILNS1_3genE2ELNS1_11target_archE906ELNS1_3gpuE6ELNS1_3repE0EEENS1_30default_config_static_selectorELNS0_4arch9wavefront6targetE1EEEvT1_,comdat
	.protected	_ZN7rocprim17ROCPRIM_400000_NS6detail17trampoline_kernelINS0_14default_configENS1_20scan_config_selectorI11FixedVectorIiLj1EEEEZZNS1_9scan_implILNS1_25lookback_scan_determinismE0ELb1ELb1ES3_N6thrust23THRUST_200600_302600_NS6detail15normal_iteratorINSB_10device_ptrIS6_EEEESG_S6_NSB_4plusIvEES6_EEDaPvRmT3_T4_T5_mT6_P12ihipStream_tbENKUlT_T0_E_clISt17integral_constantIbLb0EESW_EEDaSR_SS_EUlSR_E_NS1_11comp_targetILNS1_3genE2ELNS1_11target_archE906ELNS1_3gpuE6ELNS1_3repE0EEENS1_30default_config_static_selectorELNS0_4arch9wavefront6targetE1EEEvT1_ ; -- Begin function _ZN7rocprim17ROCPRIM_400000_NS6detail17trampoline_kernelINS0_14default_configENS1_20scan_config_selectorI11FixedVectorIiLj1EEEEZZNS1_9scan_implILNS1_25lookback_scan_determinismE0ELb1ELb1ES3_N6thrust23THRUST_200600_302600_NS6detail15normal_iteratorINSB_10device_ptrIS6_EEEESG_S6_NSB_4plusIvEES6_EEDaPvRmT3_T4_T5_mT6_P12ihipStream_tbENKUlT_T0_E_clISt17integral_constantIbLb0EESW_EEDaSR_SS_EUlSR_E_NS1_11comp_targetILNS1_3genE2ELNS1_11target_archE906ELNS1_3gpuE6ELNS1_3repE0EEENS1_30default_config_static_selectorELNS0_4arch9wavefront6targetE1EEEvT1_
	.globl	_ZN7rocprim17ROCPRIM_400000_NS6detail17trampoline_kernelINS0_14default_configENS1_20scan_config_selectorI11FixedVectorIiLj1EEEEZZNS1_9scan_implILNS1_25lookback_scan_determinismE0ELb1ELb1ES3_N6thrust23THRUST_200600_302600_NS6detail15normal_iteratorINSB_10device_ptrIS6_EEEESG_S6_NSB_4plusIvEES6_EEDaPvRmT3_T4_T5_mT6_P12ihipStream_tbENKUlT_T0_E_clISt17integral_constantIbLb0EESW_EEDaSR_SS_EUlSR_E_NS1_11comp_targetILNS1_3genE2ELNS1_11target_archE906ELNS1_3gpuE6ELNS1_3repE0EEENS1_30default_config_static_selectorELNS0_4arch9wavefront6targetE1EEEvT1_
	.p2align	8
	.type	_ZN7rocprim17ROCPRIM_400000_NS6detail17trampoline_kernelINS0_14default_configENS1_20scan_config_selectorI11FixedVectorIiLj1EEEEZZNS1_9scan_implILNS1_25lookback_scan_determinismE0ELb1ELb1ES3_N6thrust23THRUST_200600_302600_NS6detail15normal_iteratorINSB_10device_ptrIS6_EEEESG_S6_NSB_4plusIvEES6_EEDaPvRmT3_T4_T5_mT6_P12ihipStream_tbENKUlT_T0_E_clISt17integral_constantIbLb0EESW_EEDaSR_SS_EUlSR_E_NS1_11comp_targetILNS1_3genE2ELNS1_11target_archE906ELNS1_3gpuE6ELNS1_3repE0EEENS1_30default_config_static_selectorELNS0_4arch9wavefront6targetE1EEEvT1_,@function
_ZN7rocprim17ROCPRIM_400000_NS6detail17trampoline_kernelINS0_14default_configENS1_20scan_config_selectorI11FixedVectorIiLj1EEEEZZNS1_9scan_implILNS1_25lookback_scan_determinismE0ELb1ELb1ES3_N6thrust23THRUST_200600_302600_NS6detail15normal_iteratorINSB_10device_ptrIS6_EEEESG_S6_NSB_4plusIvEES6_EEDaPvRmT3_T4_T5_mT6_P12ihipStream_tbENKUlT_T0_E_clISt17integral_constantIbLb0EESW_EEDaSR_SS_EUlSR_E_NS1_11comp_targetILNS1_3genE2ELNS1_11target_archE906ELNS1_3gpuE6ELNS1_3repE0EEENS1_30default_config_static_selectorELNS0_4arch9wavefront6targetE1EEEvT1_: ; @_ZN7rocprim17ROCPRIM_400000_NS6detail17trampoline_kernelINS0_14default_configENS1_20scan_config_selectorI11FixedVectorIiLj1EEEEZZNS1_9scan_implILNS1_25lookback_scan_determinismE0ELb1ELb1ES3_N6thrust23THRUST_200600_302600_NS6detail15normal_iteratorINSB_10device_ptrIS6_EEEESG_S6_NSB_4plusIvEES6_EEDaPvRmT3_T4_T5_mT6_P12ihipStream_tbENKUlT_T0_E_clISt17integral_constantIbLb0EESW_EEDaSR_SS_EUlSR_E_NS1_11comp_targetILNS1_3genE2ELNS1_11target_archE906ELNS1_3gpuE6ELNS1_3repE0EEENS1_30default_config_static_selectorELNS0_4arch9wavefront6targetE1EEEvT1_
; %bb.0:
	.section	.rodata,"a",@progbits
	.p2align	6, 0x0
	.amdhsa_kernel _ZN7rocprim17ROCPRIM_400000_NS6detail17trampoline_kernelINS0_14default_configENS1_20scan_config_selectorI11FixedVectorIiLj1EEEEZZNS1_9scan_implILNS1_25lookback_scan_determinismE0ELb1ELb1ES3_N6thrust23THRUST_200600_302600_NS6detail15normal_iteratorINSB_10device_ptrIS6_EEEESG_S6_NSB_4plusIvEES6_EEDaPvRmT3_T4_T5_mT6_P12ihipStream_tbENKUlT_T0_E_clISt17integral_constantIbLb0EESW_EEDaSR_SS_EUlSR_E_NS1_11comp_targetILNS1_3genE2ELNS1_11target_archE906ELNS1_3gpuE6ELNS1_3repE0EEENS1_30default_config_static_selectorELNS0_4arch9wavefront6targetE1EEEvT1_
		.amdhsa_group_segment_fixed_size 0
		.amdhsa_private_segment_fixed_size 0
		.amdhsa_kernarg_size 96
		.amdhsa_user_sgpr_count 6
		.amdhsa_user_sgpr_private_segment_buffer 1
		.amdhsa_user_sgpr_dispatch_ptr 0
		.amdhsa_user_sgpr_queue_ptr 0
		.amdhsa_user_sgpr_kernarg_segment_ptr 1
		.amdhsa_user_sgpr_dispatch_id 0
		.amdhsa_user_sgpr_flat_scratch_init 0
		.amdhsa_user_sgpr_kernarg_preload_length 0
		.amdhsa_user_sgpr_kernarg_preload_offset 0
		.amdhsa_user_sgpr_private_segment_size 0
		.amdhsa_uses_dynamic_stack 0
		.amdhsa_system_sgpr_private_segment_wavefront_offset 0
		.amdhsa_system_sgpr_workgroup_id_x 1
		.amdhsa_system_sgpr_workgroup_id_y 0
		.amdhsa_system_sgpr_workgroup_id_z 0
		.amdhsa_system_sgpr_workgroup_info 0
		.amdhsa_system_vgpr_workitem_id 0
		.amdhsa_next_free_vgpr 1
		.amdhsa_next_free_sgpr 0
		.amdhsa_accum_offset 4
		.amdhsa_reserve_vcc 0
		.amdhsa_reserve_flat_scratch 0
		.amdhsa_float_round_mode_32 0
		.amdhsa_float_round_mode_16_64 0
		.amdhsa_float_denorm_mode_32 3
		.amdhsa_float_denorm_mode_16_64 3
		.amdhsa_dx10_clamp 1
		.amdhsa_ieee_mode 1
		.amdhsa_fp16_overflow 0
		.amdhsa_tg_split 0
		.amdhsa_exception_fp_ieee_invalid_op 0
		.amdhsa_exception_fp_denorm_src 0
		.amdhsa_exception_fp_ieee_div_zero 0
		.amdhsa_exception_fp_ieee_overflow 0
		.amdhsa_exception_fp_ieee_underflow 0
		.amdhsa_exception_fp_ieee_inexact 0
		.amdhsa_exception_int_div_zero 0
	.end_amdhsa_kernel
	.section	.text._ZN7rocprim17ROCPRIM_400000_NS6detail17trampoline_kernelINS0_14default_configENS1_20scan_config_selectorI11FixedVectorIiLj1EEEEZZNS1_9scan_implILNS1_25lookback_scan_determinismE0ELb1ELb1ES3_N6thrust23THRUST_200600_302600_NS6detail15normal_iteratorINSB_10device_ptrIS6_EEEESG_S6_NSB_4plusIvEES6_EEDaPvRmT3_T4_T5_mT6_P12ihipStream_tbENKUlT_T0_E_clISt17integral_constantIbLb0EESW_EEDaSR_SS_EUlSR_E_NS1_11comp_targetILNS1_3genE2ELNS1_11target_archE906ELNS1_3gpuE6ELNS1_3repE0EEENS1_30default_config_static_selectorELNS0_4arch9wavefront6targetE1EEEvT1_,"axG",@progbits,_ZN7rocprim17ROCPRIM_400000_NS6detail17trampoline_kernelINS0_14default_configENS1_20scan_config_selectorI11FixedVectorIiLj1EEEEZZNS1_9scan_implILNS1_25lookback_scan_determinismE0ELb1ELb1ES3_N6thrust23THRUST_200600_302600_NS6detail15normal_iteratorINSB_10device_ptrIS6_EEEESG_S6_NSB_4plusIvEES6_EEDaPvRmT3_T4_T5_mT6_P12ihipStream_tbENKUlT_T0_E_clISt17integral_constantIbLb0EESW_EEDaSR_SS_EUlSR_E_NS1_11comp_targetILNS1_3genE2ELNS1_11target_archE906ELNS1_3gpuE6ELNS1_3repE0EEENS1_30default_config_static_selectorELNS0_4arch9wavefront6targetE1EEEvT1_,comdat
.Lfunc_end6466:
	.size	_ZN7rocprim17ROCPRIM_400000_NS6detail17trampoline_kernelINS0_14default_configENS1_20scan_config_selectorI11FixedVectorIiLj1EEEEZZNS1_9scan_implILNS1_25lookback_scan_determinismE0ELb1ELb1ES3_N6thrust23THRUST_200600_302600_NS6detail15normal_iteratorINSB_10device_ptrIS6_EEEESG_S6_NSB_4plusIvEES6_EEDaPvRmT3_T4_T5_mT6_P12ihipStream_tbENKUlT_T0_E_clISt17integral_constantIbLb0EESW_EEDaSR_SS_EUlSR_E_NS1_11comp_targetILNS1_3genE2ELNS1_11target_archE906ELNS1_3gpuE6ELNS1_3repE0EEENS1_30default_config_static_selectorELNS0_4arch9wavefront6targetE1EEEvT1_, .Lfunc_end6466-_ZN7rocprim17ROCPRIM_400000_NS6detail17trampoline_kernelINS0_14default_configENS1_20scan_config_selectorI11FixedVectorIiLj1EEEEZZNS1_9scan_implILNS1_25lookback_scan_determinismE0ELb1ELb1ES3_N6thrust23THRUST_200600_302600_NS6detail15normal_iteratorINSB_10device_ptrIS6_EEEESG_S6_NSB_4plusIvEES6_EEDaPvRmT3_T4_T5_mT6_P12ihipStream_tbENKUlT_T0_E_clISt17integral_constantIbLb0EESW_EEDaSR_SS_EUlSR_E_NS1_11comp_targetILNS1_3genE2ELNS1_11target_archE906ELNS1_3gpuE6ELNS1_3repE0EEENS1_30default_config_static_selectorELNS0_4arch9wavefront6targetE1EEEvT1_
                                        ; -- End function
	.section	.AMDGPU.csdata,"",@progbits
; Kernel info:
; codeLenInByte = 0
; NumSgprs: 4
; NumVgprs: 0
; NumAgprs: 0
; TotalNumVgprs: 0
; ScratchSize: 0
; MemoryBound: 0
; FloatMode: 240
; IeeeMode: 1
; LDSByteSize: 0 bytes/workgroup (compile time only)
; SGPRBlocks: 0
; VGPRBlocks: 0
; NumSGPRsForWavesPerEU: 4
; NumVGPRsForWavesPerEU: 1
; AccumOffset: 4
; Occupancy: 8
; WaveLimiterHint : 0
; COMPUTE_PGM_RSRC2:SCRATCH_EN: 0
; COMPUTE_PGM_RSRC2:USER_SGPR: 6
; COMPUTE_PGM_RSRC2:TRAP_HANDLER: 0
; COMPUTE_PGM_RSRC2:TGID_X_EN: 1
; COMPUTE_PGM_RSRC2:TGID_Y_EN: 0
; COMPUTE_PGM_RSRC2:TGID_Z_EN: 0
; COMPUTE_PGM_RSRC2:TIDIG_COMP_CNT: 0
; COMPUTE_PGM_RSRC3_GFX90A:ACCUM_OFFSET: 0
; COMPUTE_PGM_RSRC3_GFX90A:TG_SPLIT: 0
	.section	.text._ZN7rocprim17ROCPRIM_400000_NS6detail17trampoline_kernelINS0_14default_configENS1_20scan_config_selectorI11FixedVectorIiLj1EEEEZZNS1_9scan_implILNS1_25lookback_scan_determinismE0ELb1ELb1ES3_N6thrust23THRUST_200600_302600_NS6detail15normal_iteratorINSB_10device_ptrIS6_EEEESG_S6_NSB_4plusIvEES6_EEDaPvRmT3_T4_T5_mT6_P12ihipStream_tbENKUlT_T0_E_clISt17integral_constantIbLb0EESW_EEDaSR_SS_EUlSR_E_NS1_11comp_targetILNS1_3genE10ELNS1_11target_archE1201ELNS1_3gpuE5ELNS1_3repE0EEENS1_30default_config_static_selectorELNS0_4arch9wavefront6targetE1EEEvT1_,"axG",@progbits,_ZN7rocprim17ROCPRIM_400000_NS6detail17trampoline_kernelINS0_14default_configENS1_20scan_config_selectorI11FixedVectorIiLj1EEEEZZNS1_9scan_implILNS1_25lookback_scan_determinismE0ELb1ELb1ES3_N6thrust23THRUST_200600_302600_NS6detail15normal_iteratorINSB_10device_ptrIS6_EEEESG_S6_NSB_4plusIvEES6_EEDaPvRmT3_T4_T5_mT6_P12ihipStream_tbENKUlT_T0_E_clISt17integral_constantIbLb0EESW_EEDaSR_SS_EUlSR_E_NS1_11comp_targetILNS1_3genE10ELNS1_11target_archE1201ELNS1_3gpuE5ELNS1_3repE0EEENS1_30default_config_static_selectorELNS0_4arch9wavefront6targetE1EEEvT1_,comdat
	.protected	_ZN7rocprim17ROCPRIM_400000_NS6detail17trampoline_kernelINS0_14default_configENS1_20scan_config_selectorI11FixedVectorIiLj1EEEEZZNS1_9scan_implILNS1_25lookback_scan_determinismE0ELb1ELb1ES3_N6thrust23THRUST_200600_302600_NS6detail15normal_iteratorINSB_10device_ptrIS6_EEEESG_S6_NSB_4plusIvEES6_EEDaPvRmT3_T4_T5_mT6_P12ihipStream_tbENKUlT_T0_E_clISt17integral_constantIbLb0EESW_EEDaSR_SS_EUlSR_E_NS1_11comp_targetILNS1_3genE10ELNS1_11target_archE1201ELNS1_3gpuE5ELNS1_3repE0EEENS1_30default_config_static_selectorELNS0_4arch9wavefront6targetE1EEEvT1_ ; -- Begin function _ZN7rocprim17ROCPRIM_400000_NS6detail17trampoline_kernelINS0_14default_configENS1_20scan_config_selectorI11FixedVectorIiLj1EEEEZZNS1_9scan_implILNS1_25lookback_scan_determinismE0ELb1ELb1ES3_N6thrust23THRUST_200600_302600_NS6detail15normal_iteratorINSB_10device_ptrIS6_EEEESG_S6_NSB_4plusIvEES6_EEDaPvRmT3_T4_T5_mT6_P12ihipStream_tbENKUlT_T0_E_clISt17integral_constantIbLb0EESW_EEDaSR_SS_EUlSR_E_NS1_11comp_targetILNS1_3genE10ELNS1_11target_archE1201ELNS1_3gpuE5ELNS1_3repE0EEENS1_30default_config_static_selectorELNS0_4arch9wavefront6targetE1EEEvT1_
	.globl	_ZN7rocprim17ROCPRIM_400000_NS6detail17trampoline_kernelINS0_14default_configENS1_20scan_config_selectorI11FixedVectorIiLj1EEEEZZNS1_9scan_implILNS1_25lookback_scan_determinismE0ELb1ELb1ES3_N6thrust23THRUST_200600_302600_NS6detail15normal_iteratorINSB_10device_ptrIS6_EEEESG_S6_NSB_4plusIvEES6_EEDaPvRmT3_T4_T5_mT6_P12ihipStream_tbENKUlT_T0_E_clISt17integral_constantIbLb0EESW_EEDaSR_SS_EUlSR_E_NS1_11comp_targetILNS1_3genE10ELNS1_11target_archE1201ELNS1_3gpuE5ELNS1_3repE0EEENS1_30default_config_static_selectorELNS0_4arch9wavefront6targetE1EEEvT1_
	.p2align	8
	.type	_ZN7rocprim17ROCPRIM_400000_NS6detail17trampoline_kernelINS0_14default_configENS1_20scan_config_selectorI11FixedVectorIiLj1EEEEZZNS1_9scan_implILNS1_25lookback_scan_determinismE0ELb1ELb1ES3_N6thrust23THRUST_200600_302600_NS6detail15normal_iteratorINSB_10device_ptrIS6_EEEESG_S6_NSB_4plusIvEES6_EEDaPvRmT3_T4_T5_mT6_P12ihipStream_tbENKUlT_T0_E_clISt17integral_constantIbLb0EESW_EEDaSR_SS_EUlSR_E_NS1_11comp_targetILNS1_3genE10ELNS1_11target_archE1201ELNS1_3gpuE5ELNS1_3repE0EEENS1_30default_config_static_selectorELNS0_4arch9wavefront6targetE1EEEvT1_,@function
_ZN7rocprim17ROCPRIM_400000_NS6detail17trampoline_kernelINS0_14default_configENS1_20scan_config_selectorI11FixedVectorIiLj1EEEEZZNS1_9scan_implILNS1_25lookback_scan_determinismE0ELb1ELb1ES3_N6thrust23THRUST_200600_302600_NS6detail15normal_iteratorINSB_10device_ptrIS6_EEEESG_S6_NSB_4plusIvEES6_EEDaPvRmT3_T4_T5_mT6_P12ihipStream_tbENKUlT_T0_E_clISt17integral_constantIbLb0EESW_EEDaSR_SS_EUlSR_E_NS1_11comp_targetILNS1_3genE10ELNS1_11target_archE1201ELNS1_3gpuE5ELNS1_3repE0EEENS1_30default_config_static_selectorELNS0_4arch9wavefront6targetE1EEEvT1_: ; @_ZN7rocprim17ROCPRIM_400000_NS6detail17trampoline_kernelINS0_14default_configENS1_20scan_config_selectorI11FixedVectorIiLj1EEEEZZNS1_9scan_implILNS1_25lookback_scan_determinismE0ELb1ELb1ES3_N6thrust23THRUST_200600_302600_NS6detail15normal_iteratorINSB_10device_ptrIS6_EEEESG_S6_NSB_4plusIvEES6_EEDaPvRmT3_T4_T5_mT6_P12ihipStream_tbENKUlT_T0_E_clISt17integral_constantIbLb0EESW_EEDaSR_SS_EUlSR_E_NS1_11comp_targetILNS1_3genE10ELNS1_11target_archE1201ELNS1_3gpuE5ELNS1_3repE0EEENS1_30default_config_static_selectorELNS0_4arch9wavefront6targetE1EEEvT1_
; %bb.0:
	.section	.rodata,"a",@progbits
	.p2align	6, 0x0
	.amdhsa_kernel _ZN7rocprim17ROCPRIM_400000_NS6detail17trampoline_kernelINS0_14default_configENS1_20scan_config_selectorI11FixedVectorIiLj1EEEEZZNS1_9scan_implILNS1_25lookback_scan_determinismE0ELb1ELb1ES3_N6thrust23THRUST_200600_302600_NS6detail15normal_iteratorINSB_10device_ptrIS6_EEEESG_S6_NSB_4plusIvEES6_EEDaPvRmT3_T4_T5_mT6_P12ihipStream_tbENKUlT_T0_E_clISt17integral_constantIbLb0EESW_EEDaSR_SS_EUlSR_E_NS1_11comp_targetILNS1_3genE10ELNS1_11target_archE1201ELNS1_3gpuE5ELNS1_3repE0EEENS1_30default_config_static_selectorELNS0_4arch9wavefront6targetE1EEEvT1_
		.amdhsa_group_segment_fixed_size 0
		.amdhsa_private_segment_fixed_size 0
		.amdhsa_kernarg_size 96
		.amdhsa_user_sgpr_count 6
		.amdhsa_user_sgpr_private_segment_buffer 1
		.amdhsa_user_sgpr_dispatch_ptr 0
		.amdhsa_user_sgpr_queue_ptr 0
		.amdhsa_user_sgpr_kernarg_segment_ptr 1
		.amdhsa_user_sgpr_dispatch_id 0
		.amdhsa_user_sgpr_flat_scratch_init 0
		.amdhsa_user_sgpr_kernarg_preload_length 0
		.amdhsa_user_sgpr_kernarg_preload_offset 0
		.amdhsa_user_sgpr_private_segment_size 0
		.amdhsa_uses_dynamic_stack 0
		.amdhsa_system_sgpr_private_segment_wavefront_offset 0
		.amdhsa_system_sgpr_workgroup_id_x 1
		.amdhsa_system_sgpr_workgroup_id_y 0
		.amdhsa_system_sgpr_workgroup_id_z 0
		.amdhsa_system_sgpr_workgroup_info 0
		.amdhsa_system_vgpr_workitem_id 0
		.amdhsa_next_free_vgpr 1
		.amdhsa_next_free_sgpr 0
		.amdhsa_accum_offset 4
		.amdhsa_reserve_vcc 0
		.amdhsa_reserve_flat_scratch 0
		.amdhsa_float_round_mode_32 0
		.amdhsa_float_round_mode_16_64 0
		.amdhsa_float_denorm_mode_32 3
		.amdhsa_float_denorm_mode_16_64 3
		.amdhsa_dx10_clamp 1
		.amdhsa_ieee_mode 1
		.amdhsa_fp16_overflow 0
		.amdhsa_tg_split 0
		.amdhsa_exception_fp_ieee_invalid_op 0
		.amdhsa_exception_fp_denorm_src 0
		.amdhsa_exception_fp_ieee_div_zero 0
		.amdhsa_exception_fp_ieee_overflow 0
		.amdhsa_exception_fp_ieee_underflow 0
		.amdhsa_exception_fp_ieee_inexact 0
		.amdhsa_exception_int_div_zero 0
	.end_amdhsa_kernel
	.section	.text._ZN7rocprim17ROCPRIM_400000_NS6detail17trampoline_kernelINS0_14default_configENS1_20scan_config_selectorI11FixedVectorIiLj1EEEEZZNS1_9scan_implILNS1_25lookback_scan_determinismE0ELb1ELb1ES3_N6thrust23THRUST_200600_302600_NS6detail15normal_iteratorINSB_10device_ptrIS6_EEEESG_S6_NSB_4plusIvEES6_EEDaPvRmT3_T4_T5_mT6_P12ihipStream_tbENKUlT_T0_E_clISt17integral_constantIbLb0EESW_EEDaSR_SS_EUlSR_E_NS1_11comp_targetILNS1_3genE10ELNS1_11target_archE1201ELNS1_3gpuE5ELNS1_3repE0EEENS1_30default_config_static_selectorELNS0_4arch9wavefront6targetE1EEEvT1_,"axG",@progbits,_ZN7rocprim17ROCPRIM_400000_NS6detail17trampoline_kernelINS0_14default_configENS1_20scan_config_selectorI11FixedVectorIiLj1EEEEZZNS1_9scan_implILNS1_25lookback_scan_determinismE0ELb1ELb1ES3_N6thrust23THRUST_200600_302600_NS6detail15normal_iteratorINSB_10device_ptrIS6_EEEESG_S6_NSB_4plusIvEES6_EEDaPvRmT3_T4_T5_mT6_P12ihipStream_tbENKUlT_T0_E_clISt17integral_constantIbLb0EESW_EEDaSR_SS_EUlSR_E_NS1_11comp_targetILNS1_3genE10ELNS1_11target_archE1201ELNS1_3gpuE5ELNS1_3repE0EEENS1_30default_config_static_selectorELNS0_4arch9wavefront6targetE1EEEvT1_,comdat
.Lfunc_end6467:
	.size	_ZN7rocprim17ROCPRIM_400000_NS6detail17trampoline_kernelINS0_14default_configENS1_20scan_config_selectorI11FixedVectorIiLj1EEEEZZNS1_9scan_implILNS1_25lookback_scan_determinismE0ELb1ELb1ES3_N6thrust23THRUST_200600_302600_NS6detail15normal_iteratorINSB_10device_ptrIS6_EEEESG_S6_NSB_4plusIvEES6_EEDaPvRmT3_T4_T5_mT6_P12ihipStream_tbENKUlT_T0_E_clISt17integral_constantIbLb0EESW_EEDaSR_SS_EUlSR_E_NS1_11comp_targetILNS1_3genE10ELNS1_11target_archE1201ELNS1_3gpuE5ELNS1_3repE0EEENS1_30default_config_static_selectorELNS0_4arch9wavefront6targetE1EEEvT1_, .Lfunc_end6467-_ZN7rocprim17ROCPRIM_400000_NS6detail17trampoline_kernelINS0_14default_configENS1_20scan_config_selectorI11FixedVectorIiLj1EEEEZZNS1_9scan_implILNS1_25lookback_scan_determinismE0ELb1ELb1ES3_N6thrust23THRUST_200600_302600_NS6detail15normal_iteratorINSB_10device_ptrIS6_EEEESG_S6_NSB_4plusIvEES6_EEDaPvRmT3_T4_T5_mT6_P12ihipStream_tbENKUlT_T0_E_clISt17integral_constantIbLb0EESW_EEDaSR_SS_EUlSR_E_NS1_11comp_targetILNS1_3genE10ELNS1_11target_archE1201ELNS1_3gpuE5ELNS1_3repE0EEENS1_30default_config_static_selectorELNS0_4arch9wavefront6targetE1EEEvT1_
                                        ; -- End function
	.section	.AMDGPU.csdata,"",@progbits
; Kernel info:
; codeLenInByte = 0
; NumSgprs: 4
; NumVgprs: 0
; NumAgprs: 0
; TotalNumVgprs: 0
; ScratchSize: 0
; MemoryBound: 0
; FloatMode: 240
; IeeeMode: 1
; LDSByteSize: 0 bytes/workgroup (compile time only)
; SGPRBlocks: 0
; VGPRBlocks: 0
; NumSGPRsForWavesPerEU: 4
; NumVGPRsForWavesPerEU: 1
; AccumOffset: 4
; Occupancy: 8
; WaveLimiterHint : 0
; COMPUTE_PGM_RSRC2:SCRATCH_EN: 0
; COMPUTE_PGM_RSRC2:USER_SGPR: 6
; COMPUTE_PGM_RSRC2:TRAP_HANDLER: 0
; COMPUTE_PGM_RSRC2:TGID_X_EN: 1
; COMPUTE_PGM_RSRC2:TGID_Y_EN: 0
; COMPUTE_PGM_RSRC2:TGID_Z_EN: 0
; COMPUTE_PGM_RSRC2:TIDIG_COMP_CNT: 0
; COMPUTE_PGM_RSRC3_GFX90A:ACCUM_OFFSET: 0
; COMPUTE_PGM_RSRC3_GFX90A:TG_SPLIT: 0
	.section	.text._ZN7rocprim17ROCPRIM_400000_NS6detail17trampoline_kernelINS0_14default_configENS1_20scan_config_selectorI11FixedVectorIiLj1EEEEZZNS1_9scan_implILNS1_25lookback_scan_determinismE0ELb1ELb1ES3_N6thrust23THRUST_200600_302600_NS6detail15normal_iteratorINSB_10device_ptrIS6_EEEESG_S6_NSB_4plusIvEES6_EEDaPvRmT3_T4_T5_mT6_P12ihipStream_tbENKUlT_T0_E_clISt17integral_constantIbLb0EESW_EEDaSR_SS_EUlSR_E_NS1_11comp_targetILNS1_3genE10ELNS1_11target_archE1200ELNS1_3gpuE4ELNS1_3repE0EEENS1_30default_config_static_selectorELNS0_4arch9wavefront6targetE1EEEvT1_,"axG",@progbits,_ZN7rocprim17ROCPRIM_400000_NS6detail17trampoline_kernelINS0_14default_configENS1_20scan_config_selectorI11FixedVectorIiLj1EEEEZZNS1_9scan_implILNS1_25lookback_scan_determinismE0ELb1ELb1ES3_N6thrust23THRUST_200600_302600_NS6detail15normal_iteratorINSB_10device_ptrIS6_EEEESG_S6_NSB_4plusIvEES6_EEDaPvRmT3_T4_T5_mT6_P12ihipStream_tbENKUlT_T0_E_clISt17integral_constantIbLb0EESW_EEDaSR_SS_EUlSR_E_NS1_11comp_targetILNS1_3genE10ELNS1_11target_archE1200ELNS1_3gpuE4ELNS1_3repE0EEENS1_30default_config_static_selectorELNS0_4arch9wavefront6targetE1EEEvT1_,comdat
	.protected	_ZN7rocprim17ROCPRIM_400000_NS6detail17trampoline_kernelINS0_14default_configENS1_20scan_config_selectorI11FixedVectorIiLj1EEEEZZNS1_9scan_implILNS1_25lookback_scan_determinismE0ELb1ELb1ES3_N6thrust23THRUST_200600_302600_NS6detail15normal_iteratorINSB_10device_ptrIS6_EEEESG_S6_NSB_4plusIvEES6_EEDaPvRmT3_T4_T5_mT6_P12ihipStream_tbENKUlT_T0_E_clISt17integral_constantIbLb0EESW_EEDaSR_SS_EUlSR_E_NS1_11comp_targetILNS1_3genE10ELNS1_11target_archE1200ELNS1_3gpuE4ELNS1_3repE0EEENS1_30default_config_static_selectorELNS0_4arch9wavefront6targetE1EEEvT1_ ; -- Begin function _ZN7rocprim17ROCPRIM_400000_NS6detail17trampoline_kernelINS0_14default_configENS1_20scan_config_selectorI11FixedVectorIiLj1EEEEZZNS1_9scan_implILNS1_25lookback_scan_determinismE0ELb1ELb1ES3_N6thrust23THRUST_200600_302600_NS6detail15normal_iteratorINSB_10device_ptrIS6_EEEESG_S6_NSB_4plusIvEES6_EEDaPvRmT3_T4_T5_mT6_P12ihipStream_tbENKUlT_T0_E_clISt17integral_constantIbLb0EESW_EEDaSR_SS_EUlSR_E_NS1_11comp_targetILNS1_3genE10ELNS1_11target_archE1200ELNS1_3gpuE4ELNS1_3repE0EEENS1_30default_config_static_selectorELNS0_4arch9wavefront6targetE1EEEvT1_
	.globl	_ZN7rocprim17ROCPRIM_400000_NS6detail17trampoline_kernelINS0_14default_configENS1_20scan_config_selectorI11FixedVectorIiLj1EEEEZZNS1_9scan_implILNS1_25lookback_scan_determinismE0ELb1ELb1ES3_N6thrust23THRUST_200600_302600_NS6detail15normal_iteratorINSB_10device_ptrIS6_EEEESG_S6_NSB_4plusIvEES6_EEDaPvRmT3_T4_T5_mT6_P12ihipStream_tbENKUlT_T0_E_clISt17integral_constantIbLb0EESW_EEDaSR_SS_EUlSR_E_NS1_11comp_targetILNS1_3genE10ELNS1_11target_archE1200ELNS1_3gpuE4ELNS1_3repE0EEENS1_30default_config_static_selectorELNS0_4arch9wavefront6targetE1EEEvT1_
	.p2align	8
	.type	_ZN7rocprim17ROCPRIM_400000_NS6detail17trampoline_kernelINS0_14default_configENS1_20scan_config_selectorI11FixedVectorIiLj1EEEEZZNS1_9scan_implILNS1_25lookback_scan_determinismE0ELb1ELb1ES3_N6thrust23THRUST_200600_302600_NS6detail15normal_iteratorINSB_10device_ptrIS6_EEEESG_S6_NSB_4plusIvEES6_EEDaPvRmT3_T4_T5_mT6_P12ihipStream_tbENKUlT_T0_E_clISt17integral_constantIbLb0EESW_EEDaSR_SS_EUlSR_E_NS1_11comp_targetILNS1_3genE10ELNS1_11target_archE1200ELNS1_3gpuE4ELNS1_3repE0EEENS1_30default_config_static_selectorELNS0_4arch9wavefront6targetE1EEEvT1_,@function
_ZN7rocprim17ROCPRIM_400000_NS6detail17trampoline_kernelINS0_14default_configENS1_20scan_config_selectorI11FixedVectorIiLj1EEEEZZNS1_9scan_implILNS1_25lookback_scan_determinismE0ELb1ELb1ES3_N6thrust23THRUST_200600_302600_NS6detail15normal_iteratorINSB_10device_ptrIS6_EEEESG_S6_NSB_4plusIvEES6_EEDaPvRmT3_T4_T5_mT6_P12ihipStream_tbENKUlT_T0_E_clISt17integral_constantIbLb0EESW_EEDaSR_SS_EUlSR_E_NS1_11comp_targetILNS1_3genE10ELNS1_11target_archE1200ELNS1_3gpuE4ELNS1_3repE0EEENS1_30default_config_static_selectorELNS0_4arch9wavefront6targetE1EEEvT1_: ; @_ZN7rocprim17ROCPRIM_400000_NS6detail17trampoline_kernelINS0_14default_configENS1_20scan_config_selectorI11FixedVectorIiLj1EEEEZZNS1_9scan_implILNS1_25lookback_scan_determinismE0ELb1ELb1ES3_N6thrust23THRUST_200600_302600_NS6detail15normal_iteratorINSB_10device_ptrIS6_EEEESG_S6_NSB_4plusIvEES6_EEDaPvRmT3_T4_T5_mT6_P12ihipStream_tbENKUlT_T0_E_clISt17integral_constantIbLb0EESW_EEDaSR_SS_EUlSR_E_NS1_11comp_targetILNS1_3genE10ELNS1_11target_archE1200ELNS1_3gpuE4ELNS1_3repE0EEENS1_30default_config_static_selectorELNS0_4arch9wavefront6targetE1EEEvT1_
; %bb.0:
	.section	.rodata,"a",@progbits
	.p2align	6, 0x0
	.amdhsa_kernel _ZN7rocprim17ROCPRIM_400000_NS6detail17trampoline_kernelINS0_14default_configENS1_20scan_config_selectorI11FixedVectorIiLj1EEEEZZNS1_9scan_implILNS1_25lookback_scan_determinismE0ELb1ELb1ES3_N6thrust23THRUST_200600_302600_NS6detail15normal_iteratorINSB_10device_ptrIS6_EEEESG_S6_NSB_4plusIvEES6_EEDaPvRmT3_T4_T5_mT6_P12ihipStream_tbENKUlT_T0_E_clISt17integral_constantIbLb0EESW_EEDaSR_SS_EUlSR_E_NS1_11comp_targetILNS1_3genE10ELNS1_11target_archE1200ELNS1_3gpuE4ELNS1_3repE0EEENS1_30default_config_static_selectorELNS0_4arch9wavefront6targetE1EEEvT1_
		.amdhsa_group_segment_fixed_size 0
		.amdhsa_private_segment_fixed_size 0
		.amdhsa_kernarg_size 96
		.amdhsa_user_sgpr_count 6
		.amdhsa_user_sgpr_private_segment_buffer 1
		.amdhsa_user_sgpr_dispatch_ptr 0
		.amdhsa_user_sgpr_queue_ptr 0
		.amdhsa_user_sgpr_kernarg_segment_ptr 1
		.amdhsa_user_sgpr_dispatch_id 0
		.amdhsa_user_sgpr_flat_scratch_init 0
		.amdhsa_user_sgpr_kernarg_preload_length 0
		.amdhsa_user_sgpr_kernarg_preload_offset 0
		.amdhsa_user_sgpr_private_segment_size 0
		.amdhsa_uses_dynamic_stack 0
		.amdhsa_system_sgpr_private_segment_wavefront_offset 0
		.amdhsa_system_sgpr_workgroup_id_x 1
		.amdhsa_system_sgpr_workgroup_id_y 0
		.amdhsa_system_sgpr_workgroup_id_z 0
		.amdhsa_system_sgpr_workgroup_info 0
		.amdhsa_system_vgpr_workitem_id 0
		.amdhsa_next_free_vgpr 1
		.amdhsa_next_free_sgpr 0
		.amdhsa_accum_offset 4
		.amdhsa_reserve_vcc 0
		.amdhsa_reserve_flat_scratch 0
		.amdhsa_float_round_mode_32 0
		.amdhsa_float_round_mode_16_64 0
		.amdhsa_float_denorm_mode_32 3
		.amdhsa_float_denorm_mode_16_64 3
		.amdhsa_dx10_clamp 1
		.amdhsa_ieee_mode 1
		.amdhsa_fp16_overflow 0
		.amdhsa_tg_split 0
		.amdhsa_exception_fp_ieee_invalid_op 0
		.amdhsa_exception_fp_denorm_src 0
		.amdhsa_exception_fp_ieee_div_zero 0
		.amdhsa_exception_fp_ieee_overflow 0
		.amdhsa_exception_fp_ieee_underflow 0
		.amdhsa_exception_fp_ieee_inexact 0
		.amdhsa_exception_int_div_zero 0
	.end_amdhsa_kernel
	.section	.text._ZN7rocprim17ROCPRIM_400000_NS6detail17trampoline_kernelINS0_14default_configENS1_20scan_config_selectorI11FixedVectorIiLj1EEEEZZNS1_9scan_implILNS1_25lookback_scan_determinismE0ELb1ELb1ES3_N6thrust23THRUST_200600_302600_NS6detail15normal_iteratorINSB_10device_ptrIS6_EEEESG_S6_NSB_4plusIvEES6_EEDaPvRmT3_T4_T5_mT6_P12ihipStream_tbENKUlT_T0_E_clISt17integral_constantIbLb0EESW_EEDaSR_SS_EUlSR_E_NS1_11comp_targetILNS1_3genE10ELNS1_11target_archE1200ELNS1_3gpuE4ELNS1_3repE0EEENS1_30default_config_static_selectorELNS0_4arch9wavefront6targetE1EEEvT1_,"axG",@progbits,_ZN7rocprim17ROCPRIM_400000_NS6detail17trampoline_kernelINS0_14default_configENS1_20scan_config_selectorI11FixedVectorIiLj1EEEEZZNS1_9scan_implILNS1_25lookback_scan_determinismE0ELb1ELb1ES3_N6thrust23THRUST_200600_302600_NS6detail15normal_iteratorINSB_10device_ptrIS6_EEEESG_S6_NSB_4plusIvEES6_EEDaPvRmT3_T4_T5_mT6_P12ihipStream_tbENKUlT_T0_E_clISt17integral_constantIbLb0EESW_EEDaSR_SS_EUlSR_E_NS1_11comp_targetILNS1_3genE10ELNS1_11target_archE1200ELNS1_3gpuE4ELNS1_3repE0EEENS1_30default_config_static_selectorELNS0_4arch9wavefront6targetE1EEEvT1_,comdat
.Lfunc_end6468:
	.size	_ZN7rocprim17ROCPRIM_400000_NS6detail17trampoline_kernelINS0_14default_configENS1_20scan_config_selectorI11FixedVectorIiLj1EEEEZZNS1_9scan_implILNS1_25lookback_scan_determinismE0ELb1ELb1ES3_N6thrust23THRUST_200600_302600_NS6detail15normal_iteratorINSB_10device_ptrIS6_EEEESG_S6_NSB_4plusIvEES6_EEDaPvRmT3_T4_T5_mT6_P12ihipStream_tbENKUlT_T0_E_clISt17integral_constantIbLb0EESW_EEDaSR_SS_EUlSR_E_NS1_11comp_targetILNS1_3genE10ELNS1_11target_archE1200ELNS1_3gpuE4ELNS1_3repE0EEENS1_30default_config_static_selectorELNS0_4arch9wavefront6targetE1EEEvT1_, .Lfunc_end6468-_ZN7rocprim17ROCPRIM_400000_NS6detail17trampoline_kernelINS0_14default_configENS1_20scan_config_selectorI11FixedVectorIiLj1EEEEZZNS1_9scan_implILNS1_25lookback_scan_determinismE0ELb1ELb1ES3_N6thrust23THRUST_200600_302600_NS6detail15normal_iteratorINSB_10device_ptrIS6_EEEESG_S6_NSB_4plusIvEES6_EEDaPvRmT3_T4_T5_mT6_P12ihipStream_tbENKUlT_T0_E_clISt17integral_constantIbLb0EESW_EEDaSR_SS_EUlSR_E_NS1_11comp_targetILNS1_3genE10ELNS1_11target_archE1200ELNS1_3gpuE4ELNS1_3repE0EEENS1_30default_config_static_selectorELNS0_4arch9wavefront6targetE1EEEvT1_
                                        ; -- End function
	.section	.AMDGPU.csdata,"",@progbits
; Kernel info:
; codeLenInByte = 0
; NumSgprs: 4
; NumVgprs: 0
; NumAgprs: 0
; TotalNumVgprs: 0
; ScratchSize: 0
; MemoryBound: 0
; FloatMode: 240
; IeeeMode: 1
; LDSByteSize: 0 bytes/workgroup (compile time only)
; SGPRBlocks: 0
; VGPRBlocks: 0
; NumSGPRsForWavesPerEU: 4
; NumVGPRsForWavesPerEU: 1
; AccumOffset: 4
; Occupancy: 8
; WaveLimiterHint : 0
; COMPUTE_PGM_RSRC2:SCRATCH_EN: 0
; COMPUTE_PGM_RSRC2:USER_SGPR: 6
; COMPUTE_PGM_RSRC2:TRAP_HANDLER: 0
; COMPUTE_PGM_RSRC2:TGID_X_EN: 1
; COMPUTE_PGM_RSRC2:TGID_Y_EN: 0
; COMPUTE_PGM_RSRC2:TGID_Z_EN: 0
; COMPUTE_PGM_RSRC2:TIDIG_COMP_CNT: 0
; COMPUTE_PGM_RSRC3_GFX90A:ACCUM_OFFSET: 0
; COMPUTE_PGM_RSRC3_GFX90A:TG_SPLIT: 0
	.section	.text._ZN7rocprim17ROCPRIM_400000_NS6detail17trampoline_kernelINS0_14default_configENS1_20scan_config_selectorI11FixedVectorIiLj1EEEEZZNS1_9scan_implILNS1_25lookback_scan_determinismE0ELb1ELb1ES3_N6thrust23THRUST_200600_302600_NS6detail15normal_iteratorINSB_10device_ptrIS6_EEEESG_S6_NSB_4plusIvEES6_EEDaPvRmT3_T4_T5_mT6_P12ihipStream_tbENKUlT_T0_E_clISt17integral_constantIbLb0EESW_EEDaSR_SS_EUlSR_E_NS1_11comp_targetILNS1_3genE9ELNS1_11target_archE1100ELNS1_3gpuE3ELNS1_3repE0EEENS1_30default_config_static_selectorELNS0_4arch9wavefront6targetE1EEEvT1_,"axG",@progbits,_ZN7rocprim17ROCPRIM_400000_NS6detail17trampoline_kernelINS0_14default_configENS1_20scan_config_selectorI11FixedVectorIiLj1EEEEZZNS1_9scan_implILNS1_25lookback_scan_determinismE0ELb1ELb1ES3_N6thrust23THRUST_200600_302600_NS6detail15normal_iteratorINSB_10device_ptrIS6_EEEESG_S6_NSB_4plusIvEES6_EEDaPvRmT3_T4_T5_mT6_P12ihipStream_tbENKUlT_T0_E_clISt17integral_constantIbLb0EESW_EEDaSR_SS_EUlSR_E_NS1_11comp_targetILNS1_3genE9ELNS1_11target_archE1100ELNS1_3gpuE3ELNS1_3repE0EEENS1_30default_config_static_selectorELNS0_4arch9wavefront6targetE1EEEvT1_,comdat
	.protected	_ZN7rocprim17ROCPRIM_400000_NS6detail17trampoline_kernelINS0_14default_configENS1_20scan_config_selectorI11FixedVectorIiLj1EEEEZZNS1_9scan_implILNS1_25lookback_scan_determinismE0ELb1ELb1ES3_N6thrust23THRUST_200600_302600_NS6detail15normal_iteratorINSB_10device_ptrIS6_EEEESG_S6_NSB_4plusIvEES6_EEDaPvRmT3_T4_T5_mT6_P12ihipStream_tbENKUlT_T0_E_clISt17integral_constantIbLb0EESW_EEDaSR_SS_EUlSR_E_NS1_11comp_targetILNS1_3genE9ELNS1_11target_archE1100ELNS1_3gpuE3ELNS1_3repE0EEENS1_30default_config_static_selectorELNS0_4arch9wavefront6targetE1EEEvT1_ ; -- Begin function _ZN7rocprim17ROCPRIM_400000_NS6detail17trampoline_kernelINS0_14default_configENS1_20scan_config_selectorI11FixedVectorIiLj1EEEEZZNS1_9scan_implILNS1_25lookback_scan_determinismE0ELb1ELb1ES3_N6thrust23THRUST_200600_302600_NS6detail15normal_iteratorINSB_10device_ptrIS6_EEEESG_S6_NSB_4plusIvEES6_EEDaPvRmT3_T4_T5_mT6_P12ihipStream_tbENKUlT_T0_E_clISt17integral_constantIbLb0EESW_EEDaSR_SS_EUlSR_E_NS1_11comp_targetILNS1_3genE9ELNS1_11target_archE1100ELNS1_3gpuE3ELNS1_3repE0EEENS1_30default_config_static_selectorELNS0_4arch9wavefront6targetE1EEEvT1_
	.globl	_ZN7rocprim17ROCPRIM_400000_NS6detail17trampoline_kernelINS0_14default_configENS1_20scan_config_selectorI11FixedVectorIiLj1EEEEZZNS1_9scan_implILNS1_25lookback_scan_determinismE0ELb1ELb1ES3_N6thrust23THRUST_200600_302600_NS6detail15normal_iteratorINSB_10device_ptrIS6_EEEESG_S6_NSB_4plusIvEES6_EEDaPvRmT3_T4_T5_mT6_P12ihipStream_tbENKUlT_T0_E_clISt17integral_constantIbLb0EESW_EEDaSR_SS_EUlSR_E_NS1_11comp_targetILNS1_3genE9ELNS1_11target_archE1100ELNS1_3gpuE3ELNS1_3repE0EEENS1_30default_config_static_selectorELNS0_4arch9wavefront6targetE1EEEvT1_
	.p2align	8
	.type	_ZN7rocprim17ROCPRIM_400000_NS6detail17trampoline_kernelINS0_14default_configENS1_20scan_config_selectorI11FixedVectorIiLj1EEEEZZNS1_9scan_implILNS1_25lookback_scan_determinismE0ELb1ELb1ES3_N6thrust23THRUST_200600_302600_NS6detail15normal_iteratorINSB_10device_ptrIS6_EEEESG_S6_NSB_4plusIvEES6_EEDaPvRmT3_T4_T5_mT6_P12ihipStream_tbENKUlT_T0_E_clISt17integral_constantIbLb0EESW_EEDaSR_SS_EUlSR_E_NS1_11comp_targetILNS1_3genE9ELNS1_11target_archE1100ELNS1_3gpuE3ELNS1_3repE0EEENS1_30default_config_static_selectorELNS0_4arch9wavefront6targetE1EEEvT1_,@function
_ZN7rocprim17ROCPRIM_400000_NS6detail17trampoline_kernelINS0_14default_configENS1_20scan_config_selectorI11FixedVectorIiLj1EEEEZZNS1_9scan_implILNS1_25lookback_scan_determinismE0ELb1ELb1ES3_N6thrust23THRUST_200600_302600_NS6detail15normal_iteratorINSB_10device_ptrIS6_EEEESG_S6_NSB_4plusIvEES6_EEDaPvRmT3_T4_T5_mT6_P12ihipStream_tbENKUlT_T0_E_clISt17integral_constantIbLb0EESW_EEDaSR_SS_EUlSR_E_NS1_11comp_targetILNS1_3genE9ELNS1_11target_archE1100ELNS1_3gpuE3ELNS1_3repE0EEENS1_30default_config_static_selectorELNS0_4arch9wavefront6targetE1EEEvT1_: ; @_ZN7rocprim17ROCPRIM_400000_NS6detail17trampoline_kernelINS0_14default_configENS1_20scan_config_selectorI11FixedVectorIiLj1EEEEZZNS1_9scan_implILNS1_25lookback_scan_determinismE0ELb1ELb1ES3_N6thrust23THRUST_200600_302600_NS6detail15normal_iteratorINSB_10device_ptrIS6_EEEESG_S6_NSB_4plusIvEES6_EEDaPvRmT3_T4_T5_mT6_P12ihipStream_tbENKUlT_T0_E_clISt17integral_constantIbLb0EESW_EEDaSR_SS_EUlSR_E_NS1_11comp_targetILNS1_3genE9ELNS1_11target_archE1100ELNS1_3gpuE3ELNS1_3repE0EEENS1_30default_config_static_selectorELNS0_4arch9wavefront6targetE1EEEvT1_
; %bb.0:
	.section	.rodata,"a",@progbits
	.p2align	6, 0x0
	.amdhsa_kernel _ZN7rocprim17ROCPRIM_400000_NS6detail17trampoline_kernelINS0_14default_configENS1_20scan_config_selectorI11FixedVectorIiLj1EEEEZZNS1_9scan_implILNS1_25lookback_scan_determinismE0ELb1ELb1ES3_N6thrust23THRUST_200600_302600_NS6detail15normal_iteratorINSB_10device_ptrIS6_EEEESG_S6_NSB_4plusIvEES6_EEDaPvRmT3_T4_T5_mT6_P12ihipStream_tbENKUlT_T0_E_clISt17integral_constantIbLb0EESW_EEDaSR_SS_EUlSR_E_NS1_11comp_targetILNS1_3genE9ELNS1_11target_archE1100ELNS1_3gpuE3ELNS1_3repE0EEENS1_30default_config_static_selectorELNS0_4arch9wavefront6targetE1EEEvT1_
		.amdhsa_group_segment_fixed_size 0
		.amdhsa_private_segment_fixed_size 0
		.amdhsa_kernarg_size 96
		.amdhsa_user_sgpr_count 6
		.amdhsa_user_sgpr_private_segment_buffer 1
		.amdhsa_user_sgpr_dispatch_ptr 0
		.amdhsa_user_sgpr_queue_ptr 0
		.amdhsa_user_sgpr_kernarg_segment_ptr 1
		.amdhsa_user_sgpr_dispatch_id 0
		.amdhsa_user_sgpr_flat_scratch_init 0
		.amdhsa_user_sgpr_kernarg_preload_length 0
		.amdhsa_user_sgpr_kernarg_preload_offset 0
		.amdhsa_user_sgpr_private_segment_size 0
		.amdhsa_uses_dynamic_stack 0
		.amdhsa_system_sgpr_private_segment_wavefront_offset 0
		.amdhsa_system_sgpr_workgroup_id_x 1
		.amdhsa_system_sgpr_workgroup_id_y 0
		.amdhsa_system_sgpr_workgroup_id_z 0
		.amdhsa_system_sgpr_workgroup_info 0
		.amdhsa_system_vgpr_workitem_id 0
		.amdhsa_next_free_vgpr 1
		.amdhsa_next_free_sgpr 0
		.amdhsa_accum_offset 4
		.amdhsa_reserve_vcc 0
		.amdhsa_reserve_flat_scratch 0
		.amdhsa_float_round_mode_32 0
		.amdhsa_float_round_mode_16_64 0
		.amdhsa_float_denorm_mode_32 3
		.amdhsa_float_denorm_mode_16_64 3
		.amdhsa_dx10_clamp 1
		.amdhsa_ieee_mode 1
		.amdhsa_fp16_overflow 0
		.amdhsa_tg_split 0
		.amdhsa_exception_fp_ieee_invalid_op 0
		.amdhsa_exception_fp_denorm_src 0
		.amdhsa_exception_fp_ieee_div_zero 0
		.amdhsa_exception_fp_ieee_overflow 0
		.amdhsa_exception_fp_ieee_underflow 0
		.amdhsa_exception_fp_ieee_inexact 0
		.amdhsa_exception_int_div_zero 0
	.end_amdhsa_kernel
	.section	.text._ZN7rocprim17ROCPRIM_400000_NS6detail17trampoline_kernelINS0_14default_configENS1_20scan_config_selectorI11FixedVectorIiLj1EEEEZZNS1_9scan_implILNS1_25lookback_scan_determinismE0ELb1ELb1ES3_N6thrust23THRUST_200600_302600_NS6detail15normal_iteratorINSB_10device_ptrIS6_EEEESG_S6_NSB_4plusIvEES6_EEDaPvRmT3_T4_T5_mT6_P12ihipStream_tbENKUlT_T0_E_clISt17integral_constantIbLb0EESW_EEDaSR_SS_EUlSR_E_NS1_11comp_targetILNS1_3genE9ELNS1_11target_archE1100ELNS1_3gpuE3ELNS1_3repE0EEENS1_30default_config_static_selectorELNS0_4arch9wavefront6targetE1EEEvT1_,"axG",@progbits,_ZN7rocprim17ROCPRIM_400000_NS6detail17trampoline_kernelINS0_14default_configENS1_20scan_config_selectorI11FixedVectorIiLj1EEEEZZNS1_9scan_implILNS1_25lookback_scan_determinismE0ELb1ELb1ES3_N6thrust23THRUST_200600_302600_NS6detail15normal_iteratorINSB_10device_ptrIS6_EEEESG_S6_NSB_4plusIvEES6_EEDaPvRmT3_T4_T5_mT6_P12ihipStream_tbENKUlT_T0_E_clISt17integral_constantIbLb0EESW_EEDaSR_SS_EUlSR_E_NS1_11comp_targetILNS1_3genE9ELNS1_11target_archE1100ELNS1_3gpuE3ELNS1_3repE0EEENS1_30default_config_static_selectorELNS0_4arch9wavefront6targetE1EEEvT1_,comdat
.Lfunc_end6469:
	.size	_ZN7rocprim17ROCPRIM_400000_NS6detail17trampoline_kernelINS0_14default_configENS1_20scan_config_selectorI11FixedVectorIiLj1EEEEZZNS1_9scan_implILNS1_25lookback_scan_determinismE0ELb1ELb1ES3_N6thrust23THRUST_200600_302600_NS6detail15normal_iteratorINSB_10device_ptrIS6_EEEESG_S6_NSB_4plusIvEES6_EEDaPvRmT3_T4_T5_mT6_P12ihipStream_tbENKUlT_T0_E_clISt17integral_constantIbLb0EESW_EEDaSR_SS_EUlSR_E_NS1_11comp_targetILNS1_3genE9ELNS1_11target_archE1100ELNS1_3gpuE3ELNS1_3repE0EEENS1_30default_config_static_selectorELNS0_4arch9wavefront6targetE1EEEvT1_, .Lfunc_end6469-_ZN7rocprim17ROCPRIM_400000_NS6detail17trampoline_kernelINS0_14default_configENS1_20scan_config_selectorI11FixedVectorIiLj1EEEEZZNS1_9scan_implILNS1_25lookback_scan_determinismE0ELb1ELb1ES3_N6thrust23THRUST_200600_302600_NS6detail15normal_iteratorINSB_10device_ptrIS6_EEEESG_S6_NSB_4plusIvEES6_EEDaPvRmT3_T4_T5_mT6_P12ihipStream_tbENKUlT_T0_E_clISt17integral_constantIbLb0EESW_EEDaSR_SS_EUlSR_E_NS1_11comp_targetILNS1_3genE9ELNS1_11target_archE1100ELNS1_3gpuE3ELNS1_3repE0EEENS1_30default_config_static_selectorELNS0_4arch9wavefront6targetE1EEEvT1_
                                        ; -- End function
	.section	.AMDGPU.csdata,"",@progbits
; Kernel info:
; codeLenInByte = 0
; NumSgprs: 4
; NumVgprs: 0
; NumAgprs: 0
; TotalNumVgprs: 0
; ScratchSize: 0
; MemoryBound: 0
; FloatMode: 240
; IeeeMode: 1
; LDSByteSize: 0 bytes/workgroup (compile time only)
; SGPRBlocks: 0
; VGPRBlocks: 0
; NumSGPRsForWavesPerEU: 4
; NumVGPRsForWavesPerEU: 1
; AccumOffset: 4
; Occupancy: 8
; WaveLimiterHint : 0
; COMPUTE_PGM_RSRC2:SCRATCH_EN: 0
; COMPUTE_PGM_RSRC2:USER_SGPR: 6
; COMPUTE_PGM_RSRC2:TRAP_HANDLER: 0
; COMPUTE_PGM_RSRC2:TGID_X_EN: 1
; COMPUTE_PGM_RSRC2:TGID_Y_EN: 0
; COMPUTE_PGM_RSRC2:TGID_Z_EN: 0
; COMPUTE_PGM_RSRC2:TIDIG_COMP_CNT: 0
; COMPUTE_PGM_RSRC3_GFX90A:ACCUM_OFFSET: 0
; COMPUTE_PGM_RSRC3_GFX90A:TG_SPLIT: 0
	.section	.text._ZN7rocprim17ROCPRIM_400000_NS6detail17trampoline_kernelINS0_14default_configENS1_20scan_config_selectorI11FixedVectorIiLj1EEEEZZNS1_9scan_implILNS1_25lookback_scan_determinismE0ELb1ELb1ES3_N6thrust23THRUST_200600_302600_NS6detail15normal_iteratorINSB_10device_ptrIS6_EEEESG_S6_NSB_4plusIvEES6_EEDaPvRmT3_T4_T5_mT6_P12ihipStream_tbENKUlT_T0_E_clISt17integral_constantIbLb0EESW_EEDaSR_SS_EUlSR_E_NS1_11comp_targetILNS1_3genE8ELNS1_11target_archE1030ELNS1_3gpuE2ELNS1_3repE0EEENS1_30default_config_static_selectorELNS0_4arch9wavefront6targetE1EEEvT1_,"axG",@progbits,_ZN7rocprim17ROCPRIM_400000_NS6detail17trampoline_kernelINS0_14default_configENS1_20scan_config_selectorI11FixedVectorIiLj1EEEEZZNS1_9scan_implILNS1_25lookback_scan_determinismE0ELb1ELb1ES3_N6thrust23THRUST_200600_302600_NS6detail15normal_iteratorINSB_10device_ptrIS6_EEEESG_S6_NSB_4plusIvEES6_EEDaPvRmT3_T4_T5_mT6_P12ihipStream_tbENKUlT_T0_E_clISt17integral_constantIbLb0EESW_EEDaSR_SS_EUlSR_E_NS1_11comp_targetILNS1_3genE8ELNS1_11target_archE1030ELNS1_3gpuE2ELNS1_3repE0EEENS1_30default_config_static_selectorELNS0_4arch9wavefront6targetE1EEEvT1_,comdat
	.protected	_ZN7rocprim17ROCPRIM_400000_NS6detail17trampoline_kernelINS0_14default_configENS1_20scan_config_selectorI11FixedVectorIiLj1EEEEZZNS1_9scan_implILNS1_25lookback_scan_determinismE0ELb1ELb1ES3_N6thrust23THRUST_200600_302600_NS6detail15normal_iteratorINSB_10device_ptrIS6_EEEESG_S6_NSB_4plusIvEES6_EEDaPvRmT3_T4_T5_mT6_P12ihipStream_tbENKUlT_T0_E_clISt17integral_constantIbLb0EESW_EEDaSR_SS_EUlSR_E_NS1_11comp_targetILNS1_3genE8ELNS1_11target_archE1030ELNS1_3gpuE2ELNS1_3repE0EEENS1_30default_config_static_selectorELNS0_4arch9wavefront6targetE1EEEvT1_ ; -- Begin function _ZN7rocprim17ROCPRIM_400000_NS6detail17trampoline_kernelINS0_14default_configENS1_20scan_config_selectorI11FixedVectorIiLj1EEEEZZNS1_9scan_implILNS1_25lookback_scan_determinismE0ELb1ELb1ES3_N6thrust23THRUST_200600_302600_NS6detail15normal_iteratorINSB_10device_ptrIS6_EEEESG_S6_NSB_4plusIvEES6_EEDaPvRmT3_T4_T5_mT6_P12ihipStream_tbENKUlT_T0_E_clISt17integral_constantIbLb0EESW_EEDaSR_SS_EUlSR_E_NS1_11comp_targetILNS1_3genE8ELNS1_11target_archE1030ELNS1_3gpuE2ELNS1_3repE0EEENS1_30default_config_static_selectorELNS0_4arch9wavefront6targetE1EEEvT1_
	.globl	_ZN7rocprim17ROCPRIM_400000_NS6detail17trampoline_kernelINS0_14default_configENS1_20scan_config_selectorI11FixedVectorIiLj1EEEEZZNS1_9scan_implILNS1_25lookback_scan_determinismE0ELb1ELb1ES3_N6thrust23THRUST_200600_302600_NS6detail15normal_iteratorINSB_10device_ptrIS6_EEEESG_S6_NSB_4plusIvEES6_EEDaPvRmT3_T4_T5_mT6_P12ihipStream_tbENKUlT_T0_E_clISt17integral_constantIbLb0EESW_EEDaSR_SS_EUlSR_E_NS1_11comp_targetILNS1_3genE8ELNS1_11target_archE1030ELNS1_3gpuE2ELNS1_3repE0EEENS1_30default_config_static_selectorELNS0_4arch9wavefront6targetE1EEEvT1_
	.p2align	8
	.type	_ZN7rocprim17ROCPRIM_400000_NS6detail17trampoline_kernelINS0_14default_configENS1_20scan_config_selectorI11FixedVectorIiLj1EEEEZZNS1_9scan_implILNS1_25lookback_scan_determinismE0ELb1ELb1ES3_N6thrust23THRUST_200600_302600_NS6detail15normal_iteratorINSB_10device_ptrIS6_EEEESG_S6_NSB_4plusIvEES6_EEDaPvRmT3_T4_T5_mT6_P12ihipStream_tbENKUlT_T0_E_clISt17integral_constantIbLb0EESW_EEDaSR_SS_EUlSR_E_NS1_11comp_targetILNS1_3genE8ELNS1_11target_archE1030ELNS1_3gpuE2ELNS1_3repE0EEENS1_30default_config_static_selectorELNS0_4arch9wavefront6targetE1EEEvT1_,@function
_ZN7rocprim17ROCPRIM_400000_NS6detail17trampoline_kernelINS0_14default_configENS1_20scan_config_selectorI11FixedVectorIiLj1EEEEZZNS1_9scan_implILNS1_25lookback_scan_determinismE0ELb1ELb1ES3_N6thrust23THRUST_200600_302600_NS6detail15normal_iteratorINSB_10device_ptrIS6_EEEESG_S6_NSB_4plusIvEES6_EEDaPvRmT3_T4_T5_mT6_P12ihipStream_tbENKUlT_T0_E_clISt17integral_constantIbLb0EESW_EEDaSR_SS_EUlSR_E_NS1_11comp_targetILNS1_3genE8ELNS1_11target_archE1030ELNS1_3gpuE2ELNS1_3repE0EEENS1_30default_config_static_selectorELNS0_4arch9wavefront6targetE1EEEvT1_: ; @_ZN7rocprim17ROCPRIM_400000_NS6detail17trampoline_kernelINS0_14default_configENS1_20scan_config_selectorI11FixedVectorIiLj1EEEEZZNS1_9scan_implILNS1_25lookback_scan_determinismE0ELb1ELb1ES3_N6thrust23THRUST_200600_302600_NS6detail15normal_iteratorINSB_10device_ptrIS6_EEEESG_S6_NSB_4plusIvEES6_EEDaPvRmT3_T4_T5_mT6_P12ihipStream_tbENKUlT_T0_E_clISt17integral_constantIbLb0EESW_EEDaSR_SS_EUlSR_E_NS1_11comp_targetILNS1_3genE8ELNS1_11target_archE1030ELNS1_3gpuE2ELNS1_3repE0EEENS1_30default_config_static_selectorELNS0_4arch9wavefront6targetE1EEEvT1_
; %bb.0:
	.section	.rodata,"a",@progbits
	.p2align	6, 0x0
	.amdhsa_kernel _ZN7rocprim17ROCPRIM_400000_NS6detail17trampoline_kernelINS0_14default_configENS1_20scan_config_selectorI11FixedVectorIiLj1EEEEZZNS1_9scan_implILNS1_25lookback_scan_determinismE0ELb1ELb1ES3_N6thrust23THRUST_200600_302600_NS6detail15normal_iteratorINSB_10device_ptrIS6_EEEESG_S6_NSB_4plusIvEES6_EEDaPvRmT3_T4_T5_mT6_P12ihipStream_tbENKUlT_T0_E_clISt17integral_constantIbLb0EESW_EEDaSR_SS_EUlSR_E_NS1_11comp_targetILNS1_3genE8ELNS1_11target_archE1030ELNS1_3gpuE2ELNS1_3repE0EEENS1_30default_config_static_selectorELNS0_4arch9wavefront6targetE1EEEvT1_
		.amdhsa_group_segment_fixed_size 0
		.amdhsa_private_segment_fixed_size 0
		.amdhsa_kernarg_size 96
		.amdhsa_user_sgpr_count 6
		.amdhsa_user_sgpr_private_segment_buffer 1
		.amdhsa_user_sgpr_dispatch_ptr 0
		.amdhsa_user_sgpr_queue_ptr 0
		.amdhsa_user_sgpr_kernarg_segment_ptr 1
		.amdhsa_user_sgpr_dispatch_id 0
		.amdhsa_user_sgpr_flat_scratch_init 0
		.amdhsa_user_sgpr_kernarg_preload_length 0
		.amdhsa_user_sgpr_kernarg_preload_offset 0
		.amdhsa_user_sgpr_private_segment_size 0
		.amdhsa_uses_dynamic_stack 0
		.amdhsa_system_sgpr_private_segment_wavefront_offset 0
		.amdhsa_system_sgpr_workgroup_id_x 1
		.amdhsa_system_sgpr_workgroup_id_y 0
		.amdhsa_system_sgpr_workgroup_id_z 0
		.amdhsa_system_sgpr_workgroup_info 0
		.amdhsa_system_vgpr_workitem_id 0
		.amdhsa_next_free_vgpr 1
		.amdhsa_next_free_sgpr 0
		.amdhsa_accum_offset 4
		.amdhsa_reserve_vcc 0
		.amdhsa_reserve_flat_scratch 0
		.amdhsa_float_round_mode_32 0
		.amdhsa_float_round_mode_16_64 0
		.amdhsa_float_denorm_mode_32 3
		.amdhsa_float_denorm_mode_16_64 3
		.amdhsa_dx10_clamp 1
		.amdhsa_ieee_mode 1
		.amdhsa_fp16_overflow 0
		.amdhsa_tg_split 0
		.amdhsa_exception_fp_ieee_invalid_op 0
		.amdhsa_exception_fp_denorm_src 0
		.amdhsa_exception_fp_ieee_div_zero 0
		.amdhsa_exception_fp_ieee_overflow 0
		.amdhsa_exception_fp_ieee_underflow 0
		.amdhsa_exception_fp_ieee_inexact 0
		.amdhsa_exception_int_div_zero 0
	.end_amdhsa_kernel
	.section	.text._ZN7rocprim17ROCPRIM_400000_NS6detail17trampoline_kernelINS0_14default_configENS1_20scan_config_selectorI11FixedVectorIiLj1EEEEZZNS1_9scan_implILNS1_25lookback_scan_determinismE0ELb1ELb1ES3_N6thrust23THRUST_200600_302600_NS6detail15normal_iteratorINSB_10device_ptrIS6_EEEESG_S6_NSB_4plusIvEES6_EEDaPvRmT3_T4_T5_mT6_P12ihipStream_tbENKUlT_T0_E_clISt17integral_constantIbLb0EESW_EEDaSR_SS_EUlSR_E_NS1_11comp_targetILNS1_3genE8ELNS1_11target_archE1030ELNS1_3gpuE2ELNS1_3repE0EEENS1_30default_config_static_selectorELNS0_4arch9wavefront6targetE1EEEvT1_,"axG",@progbits,_ZN7rocprim17ROCPRIM_400000_NS6detail17trampoline_kernelINS0_14default_configENS1_20scan_config_selectorI11FixedVectorIiLj1EEEEZZNS1_9scan_implILNS1_25lookback_scan_determinismE0ELb1ELb1ES3_N6thrust23THRUST_200600_302600_NS6detail15normal_iteratorINSB_10device_ptrIS6_EEEESG_S6_NSB_4plusIvEES6_EEDaPvRmT3_T4_T5_mT6_P12ihipStream_tbENKUlT_T0_E_clISt17integral_constantIbLb0EESW_EEDaSR_SS_EUlSR_E_NS1_11comp_targetILNS1_3genE8ELNS1_11target_archE1030ELNS1_3gpuE2ELNS1_3repE0EEENS1_30default_config_static_selectorELNS0_4arch9wavefront6targetE1EEEvT1_,comdat
.Lfunc_end6470:
	.size	_ZN7rocprim17ROCPRIM_400000_NS6detail17trampoline_kernelINS0_14default_configENS1_20scan_config_selectorI11FixedVectorIiLj1EEEEZZNS1_9scan_implILNS1_25lookback_scan_determinismE0ELb1ELb1ES3_N6thrust23THRUST_200600_302600_NS6detail15normal_iteratorINSB_10device_ptrIS6_EEEESG_S6_NSB_4plusIvEES6_EEDaPvRmT3_T4_T5_mT6_P12ihipStream_tbENKUlT_T0_E_clISt17integral_constantIbLb0EESW_EEDaSR_SS_EUlSR_E_NS1_11comp_targetILNS1_3genE8ELNS1_11target_archE1030ELNS1_3gpuE2ELNS1_3repE0EEENS1_30default_config_static_selectorELNS0_4arch9wavefront6targetE1EEEvT1_, .Lfunc_end6470-_ZN7rocprim17ROCPRIM_400000_NS6detail17trampoline_kernelINS0_14default_configENS1_20scan_config_selectorI11FixedVectorIiLj1EEEEZZNS1_9scan_implILNS1_25lookback_scan_determinismE0ELb1ELb1ES3_N6thrust23THRUST_200600_302600_NS6detail15normal_iteratorINSB_10device_ptrIS6_EEEESG_S6_NSB_4plusIvEES6_EEDaPvRmT3_T4_T5_mT6_P12ihipStream_tbENKUlT_T0_E_clISt17integral_constantIbLb0EESW_EEDaSR_SS_EUlSR_E_NS1_11comp_targetILNS1_3genE8ELNS1_11target_archE1030ELNS1_3gpuE2ELNS1_3repE0EEENS1_30default_config_static_selectorELNS0_4arch9wavefront6targetE1EEEvT1_
                                        ; -- End function
	.section	.AMDGPU.csdata,"",@progbits
; Kernel info:
; codeLenInByte = 0
; NumSgprs: 4
; NumVgprs: 0
; NumAgprs: 0
; TotalNumVgprs: 0
; ScratchSize: 0
; MemoryBound: 0
; FloatMode: 240
; IeeeMode: 1
; LDSByteSize: 0 bytes/workgroup (compile time only)
; SGPRBlocks: 0
; VGPRBlocks: 0
; NumSGPRsForWavesPerEU: 4
; NumVGPRsForWavesPerEU: 1
; AccumOffset: 4
; Occupancy: 8
; WaveLimiterHint : 0
; COMPUTE_PGM_RSRC2:SCRATCH_EN: 0
; COMPUTE_PGM_RSRC2:USER_SGPR: 6
; COMPUTE_PGM_RSRC2:TRAP_HANDLER: 0
; COMPUTE_PGM_RSRC2:TGID_X_EN: 1
; COMPUTE_PGM_RSRC2:TGID_Y_EN: 0
; COMPUTE_PGM_RSRC2:TGID_Z_EN: 0
; COMPUTE_PGM_RSRC2:TIDIG_COMP_CNT: 0
; COMPUTE_PGM_RSRC3_GFX90A:ACCUM_OFFSET: 0
; COMPUTE_PGM_RSRC3_GFX90A:TG_SPLIT: 0
	.section	.text._ZN7rocprim17ROCPRIM_400000_NS6detail17trampoline_kernelINS0_14default_configENS1_20scan_config_selectorI11FixedVectorIiLj1EEEEZZNS1_9scan_implILNS1_25lookback_scan_determinismE0ELb1ELb1ES3_N6thrust23THRUST_200600_302600_NS6detail15normal_iteratorINSB_10device_ptrIS6_EEEESG_S6_NSB_4plusIvEES6_EEDaPvRmT3_T4_T5_mT6_P12ihipStream_tbENKUlT_T0_E_clISt17integral_constantIbLb0EESW_EEDaSR_SS_EUlSR_E0_NS1_11comp_targetILNS1_3genE0ELNS1_11target_archE4294967295ELNS1_3gpuE0ELNS1_3repE0EEENS1_30default_config_static_selectorELNS0_4arch9wavefront6targetE1EEEvT1_,"axG",@progbits,_ZN7rocprim17ROCPRIM_400000_NS6detail17trampoline_kernelINS0_14default_configENS1_20scan_config_selectorI11FixedVectorIiLj1EEEEZZNS1_9scan_implILNS1_25lookback_scan_determinismE0ELb1ELb1ES3_N6thrust23THRUST_200600_302600_NS6detail15normal_iteratorINSB_10device_ptrIS6_EEEESG_S6_NSB_4plusIvEES6_EEDaPvRmT3_T4_T5_mT6_P12ihipStream_tbENKUlT_T0_E_clISt17integral_constantIbLb0EESW_EEDaSR_SS_EUlSR_E0_NS1_11comp_targetILNS1_3genE0ELNS1_11target_archE4294967295ELNS1_3gpuE0ELNS1_3repE0EEENS1_30default_config_static_selectorELNS0_4arch9wavefront6targetE1EEEvT1_,comdat
	.protected	_ZN7rocprim17ROCPRIM_400000_NS6detail17trampoline_kernelINS0_14default_configENS1_20scan_config_selectorI11FixedVectorIiLj1EEEEZZNS1_9scan_implILNS1_25lookback_scan_determinismE0ELb1ELb1ES3_N6thrust23THRUST_200600_302600_NS6detail15normal_iteratorINSB_10device_ptrIS6_EEEESG_S6_NSB_4plusIvEES6_EEDaPvRmT3_T4_T5_mT6_P12ihipStream_tbENKUlT_T0_E_clISt17integral_constantIbLb0EESW_EEDaSR_SS_EUlSR_E0_NS1_11comp_targetILNS1_3genE0ELNS1_11target_archE4294967295ELNS1_3gpuE0ELNS1_3repE0EEENS1_30default_config_static_selectorELNS0_4arch9wavefront6targetE1EEEvT1_ ; -- Begin function _ZN7rocprim17ROCPRIM_400000_NS6detail17trampoline_kernelINS0_14default_configENS1_20scan_config_selectorI11FixedVectorIiLj1EEEEZZNS1_9scan_implILNS1_25lookback_scan_determinismE0ELb1ELb1ES3_N6thrust23THRUST_200600_302600_NS6detail15normal_iteratorINSB_10device_ptrIS6_EEEESG_S6_NSB_4plusIvEES6_EEDaPvRmT3_T4_T5_mT6_P12ihipStream_tbENKUlT_T0_E_clISt17integral_constantIbLb0EESW_EEDaSR_SS_EUlSR_E0_NS1_11comp_targetILNS1_3genE0ELNS1_11target_archE4294967295ELNS1_3gpuE0ELNS1_3repE0EEENS1_30default_config_static_selectorELNS0_4arch9wavefront6targetE1EEEvT1_
	.globl	_ZN7rocprim17ROCPRIM_400000_NS6detail17trampoline_kernelINS0_14default_configENS1_20scan_config_selectorI11FixedVectorIiLj1EEEEZZNS1_9scan_implILNS1_25lookback_scan_determinismE0ELb1ELb1ES3_N6thrust23THRUST_200600_302600_NS6detail15normal_iteratorINSB_10device_ptrIS6_EEEESG_S6_NSB_4plusIvEES6_EEDaPvRmT3_T4_T5_mT6_P12ihipStream_tbENKUlT_T0_E_clISt17integral_constantIbLb0EESW_EEDaSR_SS_EUlSR_E0_NS1_11comp_targetILNS1_3genE0ELNS1_11target_archE4294967295ELNS1_3gpuE0ELNS1_3repE0EEENS1_30default_config_static_selectorELNS0_4arch9wavefront6targetE1EEEvT1_
	.p2align	8
	.type	_ZN7rocprim17ROCPRIM_400000_NS6detail17trampoline_kernelINS0_14default_configENS1_20scan_config_selectorI11FixedVectorIiLj1EEEEZZNS1_9scan_implILNS1_25lookback_scan_determinismE0ELb1ELb1ES3_N6thrust23THRUST_200600_302600_NS6detail15normal_iteratorINSB_10device_ptrIS6_EEEESG_S6_NSB_4plusIvEES6_EEDaPvRmT3_T4_T5_mT6_P12ihipStream_tbENKUlT_T0_E_clISt17integral_constantIbLb0EESW_EEDaSR_SS_EUlSR_E0_NS1_11comp_targetILNS1_3genE0ELNS1_11target_archE4294967295ELNS1_3gpuE0ELNS1_3repE0EEENS1_30default_config_static_selectorELNS0_4arch9wavefront6targetE1EEEvT1_,@function
_ZN7rocprim17ROCPRIM_400000_NS6detail17trampoline_kernelINS0_14default_configENS1_20scan_config_selectorI11FixedVectorIiLj1EEEEZZNS1_9scan_implILNS1_25lookback_scan_determinismE0ELb1ELb1ES3_N6thrust23THRUST_200600_302600_NS6detail15normal_iteratorINSB_10device_ptrIS6_EEEESG_S6_NSB_4plusIvEES6_EEDaPvRmT3_T4_T5_mT6_P12ihipStream_tbENKUlT_T0_E_clISt17integral_constantIbLb0EESW_EEDaSR_SS_EUlSR_E0_NS1_11comp_targetILNS1_3genE0ELNS1_11target_archE4294967295ELNS1_3gpuE0ELNS1_3repE0EEENS1_30default_config_static_selectorELNS0_4arch9wavefront6targetE1EEEvT1_: ; @_ZN7rocprim17ROCPRIM_400000_NS6detail17trampoline_kernelINS0_14default_configENS1_20scan_config_selectorI11FixedVectorIiLj1EEEEZZNS1_9scan_implILNS1_25lookback_scan_determinismE0ELb1ELb1ES3_N6thrust23THRUST_200600_302600_NS6detail15normal_iteratorINSB_10device_ptrIS6_EEEESG_S6_NSB_4plusIvEES6_EEDaPvRmT3_T4_T5_mT6_P12ihipStream_tbENKUlT_T0_E_clISt17integral_constantIbLb0EESW_EEDaSR_SS_EUlSR_E0_NS1_11comp_targetILNS1_3genE0ELNS1_11target_archE4294967295ELNS1_3gpuE0ELNS1_3repE0EEENS1_30default_config_static_selectorELNS0_4arch9wavefront6targetE1EEEvT1_
; %bb.0:
	.section	.rodata,"a",@progbits
	.p2align	6, 0x0
	.amdhsa_kernel _ZN7rocprim17ROCPRIM_400000_NS6detail17trampoline_kernelINS0_14default_configENS1_20scan_config_selectorI11FixedVectorIiLj1EEEEZZNS1_9scan_implILNS1_25lookback_scan_determinismE0ELb1ELb1ES3_N6thrust23THRUST_200600_302600_NS6detail15normal_iteratorINSB_10device_ptrIS6_EEEESG_S6_NSB_4plusIvEES6_EEDaPvRmT3_T4_T5_mT6_P12ihipStream_tbENKUlT_T0_E_clISt17integral_constantIbLb0EESW_EEDaSR_SS_EUlSR_E0_NS1_11comp_targetILNS1_3genE0ELNS1_11target_archE4294967295ELNS1_3gpuE0ELNS1_3repE0EEENS1_30default_config_static_selectorELNS0_4arch9wavefront6targetE1EEEvT1_
		.amdhsa_group_segment_fixed_size 0
		.amdhsa_private_segment_fixed_size 0
		.amdhsa_kernarg_size 32
		.amdhsa_user_sgpr_count 6
		.amdhsa_user_sgpr_private_segment_buffer 1
		.amdhsa_user_sgpr_dispatch_ptr 0
		.amdhsa_user_sgpr_queue_ptr 0
		.amdhsa_user_sgpr_kernarg_segment_ptr 1
		.amdhsa_user_sgpr_dispatch_id 0
		.amdhsa_user_sgpr_flat_scratch_init 0
		.amdhsa_user_sgpr_kernarg_preload_length 0
		.amdhsa_user_sgpr_kernarg_preload_offset 0
		.amdhsa_user_sgpr_private_segment_size 0
		.amdhsa_uses_dynamic_stack 0
		.amdhsa_system_sgpr_private_segment_wavefront_offset 0
		.amdhsa_system_sgpr_workgroup_id_x 1
		.amdhsa_system_sgpr_workgroup_id_y 0
		.amdhsa_system_sgpr_workgroup_id_z 0
		.amdhsa_system_sgpr_workgroup_info 0
		.amdhsa_system_vgpr_workitem_id 0
		.amdhsa_next_free_vgpr 1
		.amdhsa_next_free_sgpr 0
		.amdhsa_accum_offset 4
		.amdhsa_reserve_vcc 0
		.amdhsa_reserve_flat_scratch 0
		.amdhsa_float_round_mode_32 0
		.amdhsa_float_round_mode_16_64 0
		.amdhsa_float_denorm_mode_32 3
		.amdhsa_float_denorm_mode_16_64 3
		.amdhsa_dx10_clamp 1
		.amdhsa_ieee_mode 1
		.amdhsa_fp16_overflow 0
		.amdhsa_tg_split 0
		.amdhsa_exception_fp_ieee_invalid_op 0
		.amdhsa_exception_fp_denorm_src 0
		.amdhsa_exception_fp_ieee_div_zero 0
		.amdhsa_exception_fp_ieee_overflow 0
		.amdhsa_exception_fp_ieee_underflow 0
		.amdhsa_exception_fp_ieee_inexact 0
		.amdhsa_exception_int_div_zero 0
	.end_amdhsa_kernel
	.section	.text._ZN7rocprim17ROCPRIM_400000_NS6detail17trampoline_kernelINS0_14default_configENS1_20scan_config_selectorI11FixedVectorIiLj1EEEEZZNS1_9scan_implILNS1_25lookback_scan_determinismE0ELb1ELb1ES3_N6thrust23THRUST_200600_302600_NS6detail15normal_iteratorINSB_10device_ptrIS6_EEEESG_S6_NSB_4plusIvEES6_EEDaPvRmT3_T4_T5_mT6_P12ihipStream_tbENKUlT_T0_E_clISt17integral_constantIbLb0EESW_EEDaSR_SS_EUlSR_E0_NS1_11comp_targetILNS1_3genE0ELNS1_11target_archE4294967295ELNS1_3gpuE0ELNS1_3repE0EEENS1_30default_config_static_selectorELNS0_4arch9wavefront6targetE1EEEvT1_,"axG",@progbits,_ZN7rocprim17ROCPRIM_400000_NS6detail17trampoline_kernelINS0_14default_configENS1_20scan_config_selectorI11FixedVectorIiLj1EEEEZZNS1_9scan_implILNS1_25lookback_scan_determinismE0ELb1ELb1ES3_N6thrust23THRUST_200600_302600_NS6detail15normal_iteratorINSB_10device_ptrIS6_EEEESG_S6_NSB_4plusIvEES6_EEDaPvRmT3_T4_T5_mT6_P12ihipStream_tbENKUlT_T0_E_clISt17integral_constantIbLb0EESW_EEDaSR_SS_EUlSR_E0_NS1_11comp_targetILNS1_3genE0ELNS1_11target_archE4294967295ELNS1_3gpuE0ELNS1_3repE0EEENS1_30default_config_static_selectorELNS0_4arch9wavefront6targetE1EEEvT1_,comdat
.Lfunc_end6471:
	.size	_ZN7rocprim17ROCPRIM_400000_NS6detail17trampoline_kernelINS0_14default_configENS1_20scan_config_selectorI11FixedVectorIiLj1EEEEZZNS1_9scan_implILNS1_25lookback_scan_determinismE0ELb1ELb1ES3_N6thrust23THRUST_200600_302600_NS6detail15normal_iteratorINSB_10device_ptrIS6_EEEESG_S6_NSB_4plusIvEES6_EEDaPvRmT3_T4_T5_mT6_P12ihipStream_tbENKUlT_T0_E_clISt17integral_constantIbLb0EESW_EEDaSR_SS_EUlSR_E0_NS1_11comp_targetILNS1_3genE0ELNS1_11target_archE4294967295ELNS1_3gpuE0ELNS1_3repE0EEENS1_30default_config_static_selectorELNS0_4arch9wavefront6targetE1EEEvT1_, .Lfunc_end6471-_ZN7rocprim17ROCPRIM_400000_NS6detail17trampoline_kernelINS0_14default_configENS1_20scan_config_selectorI11FixedVectorIiLj1EEEEZZNS1_9scan_implILNS1_25lookback_scan_determinismE0ELb1ELb1ES3_N6thrust23THRUST_200600_302600_NS6detail15normal_iteratorINSB_10device_ptrIS6_EEEESG_S6_NSB_4plusIvEES6_EEDaPvRmT3_T4_T5_mT6_P12ihipStream_tbENKUlT_T0_E_clISt17integral_constantIbLb0EESW_EEDaSR_SS_EUlSR_E0_NS1_11comp_targetILNS1_3genE0ELNS1_11target_archE4294967295ELNS1_3gpuE0ELNS1_3repE0EEENS1_30default_config_static_selectorELNS0_4arch9wavefront6targetE1EEEvT1_
                                        ; -- End function
	.section	.AMDGPU.csdata,"",@progbits
; Kernel info:
; codeLenInByte = 0
; NumSgprs: 4
; NumVgprs: 0
; NumAgprs: 0
; TotalNumVgprs: 0
; ScratchSize: 0
; MemoryBound: 0
; FloatMode: 240
; IeeeMode: 1
; LDSByteSize: 0 bytes/workgroup (compile time only)
; SGPRBlocks: 0
; VGPRBlocks: 0
; NumSGPRsForWavesPerEU: 4
; NumVGPRsForWavesPerEU: 1
; AccumOffset: 4
; Occupancy: 8
; WaveLimiterHint : 0
; COMPUTE_PGM_RSRC2:SCRATCH_EN: 0
; COMPUTE_PGM_RSRC2:USER_SGPR: 6
; COMPUTE_PGM_RSRC2:TRAP_HANDLER: 0
; COMPUTE_PGM_RSRC2:TGID_X_EN: 1
; COMPUTE_PGM_RSRC2:TGID_Y_EN: 0
; COMPUTE_PGM_RSRC2:TGID_Z_EN: 0
; COMPUTE_PGM_RSRC2:TIDIG_COMP_CNT: 0
; COMPUTE_PGM_RSRC3_GFX90A:ACCUM_OFFSET: 0
; COMPUTE_PGM_RSRC3_GFX90A:TG_SPLIT: 0
	.section	.text._ZN7rocprim17ROCPRIM_400000_NS6detail17trampoline_kernelINS0_14default_configENS1_20scan_config_selectorI11FixedVectorIiLj1EEEEZZNS1_9scan_implILNS1_25lookback_scan_determinismE0ELb1ELb1ES3_N6thrust23THRUST_200600_302600_NS6detail15normal_iteratorINSB_10device_ptrIS6_EEEESG_S6_NSB_4plusIvEES6_EEDaPvRmT3_T4_T5_mT6_P12ihipStream_tbENKUlT_T0_E_clISt17integral_constantIbLb0EESW_EEDaSR_SS_EUlSR_E0_NS1_11comp_targetILNS1_3genE5ELNS1_11target_archE942ELNS1_3gpuE9ELNS1_3repE0EEENS1_30default_config_static_selectorELNS0_4arch9wavefront6targetE1EEEvT1_,"axG",@progbits,_ZN7rocprim17ROCPRIM_400000_NS6detail17trampoline_kernelINS0_14default_configENS1_20scan_config_selectorI11FixedVectorIiLj1EEEEZZNS1_9scan_implILNS1_25lookback_scan_determinismE0ELb1ELb1ES3_N6thrust23THRUST_200600_302600_NS6detail15normal_iteratorINSB_10device_ptrIS6_EEEESG_S6_NSB_4plusIvEES6_EEDaPvRmT3_T4_T5_mT6_P12ihipStream_tbENKUlT_T0_E_clISt17integral_constantIbLb0EESW_EEDaSR_SS_EUlSR_E0_NS1_11comp_targetILNS1_3genE5ELNS1_11target_archE942ELNS1_3gpuE9ELNS1_3repE0EEENS1_30default_config_static_selectorELNS0_4arch9wavefront6targetE1EEEvT1_,comdat
	.protected	_ZN7rocprim17ROCPRIM_400000_NS6detail17trampoline_kernelINS0_14default_configENS1_20scan_config_selectorI11FixedVectorIiLj1EEEEZZNS1_9scan_implILNS1_25lookback_scan_determinismE0ELb1ELb1ES3_N6thrust23THRUST_200600_302600_NS6detail15normal_iteratorINSB_10device_ptrIS6_EEEESG_S6_NSB_4plusIvEES6_EEDaPvRmT3_T4_T5_mT6_P12ihipStream_tbENKUlT_T0_E_clISt17integral_constantIbLb0EESW_EEDaSR_SS_EUlSR_E0_NS1_11comp_targetILNS1_3genE5ELNS1_11target_archE942ELNS1_3gpuE9ELNS1_3repE0EEENS1_30default_config_static_selectorELNS0_4arch9wavefront6targetE1EEEvT1_ ; -- Begin function _ZN7rocprim17ROCPRIM_400000_NS6detail17trampoline_kernelINS0_14default_configENS1_20scan_config_selectorI11FixedVectorIiLj1EEEEZZNS1_9scan_implILNS1_25lookback_scan_determinismE0ELb1ELb1ES3_N6thrust23THRUST_200600_302600_NS6detail15normal_iteratorINSB_10device_ptrIS6_EEEESG_S6_NSB_4plusIvEES6_EEDaPvRmT3_T4_T5_mT6_P12ihipStream_tbENKUlT_T0_E_clISt17integral_constantIbLb0EESW_EEDaSR_SS_EUlSR_E0_NS1_11comp_targetILNS1_3genE5ELNS1_11target_archE942ELNS1_3gpuE9ELNS1_3repE0EEENS1_30default_config_static_selectorELNS0_4arch9wavefront6targetE1EEEvT1_
	.globl	_ZN7rocprim17ROCPRIM_400000_NS6detail17trampoline_kernelINS0_14default_configENS1_20scan_config_selectorI11FixedVectorIiLj1EEEEZZNS1_9scan_implILNS1_25lookback_scan_determinismE0ELb1ELb1ES3_N6thrust23THRUST_200600_302600_NS6detail15normal_iteratorINSB_10device_ptrIS6_EEEESG_S6_NSB_4plusIvEES6_EEDaPvRmT3_T4_T5_mT6_P12ihipStream_tbENKUlT_T0_E_clISt17integral_constantIbLb0EESW_EEDaSR_SS_EUlSR_E0_NS1_11comp_targetILNS1_3genE5ELNS1_11target_archE942ELNS1_3gpuE9ELNS1_3repE0EEENS1_30default_config_static_selectorELNS0_4arch9wavefront6targetE1EEEvT1_
	.p2align	8
	.type	_ZN7rocprim17ROCPRIM_400000_NS6detail17trampoline_kernelINS0_14default_configENS1_20scan_config_selectorI11FixedVectorIiLj1EEEEZZNS1_9scan_implILNS1_25lookback_scan_determinismE0ELb1ELb1ES3_N6thrust23THRUST_200600_302600_NS6detail15normal_iteratorINSB_10device_ptrIS6_EEEESG_S6_NSB_4plusIvEES6_EEDaPvRmT3_T4_T5_mT6_P12ihipStream_tbENKUlT_T0_E_clISt17integral_constantIbLb0EESW_EEDaSR_SS_EUlSR_E0_NS1_11comp_targetILNS1_3genE5ELNS1_11target_archE942ELNS1_3gpuE9ELNS1_3repE0EEENS1_30default_config_static_selectorELNS0_4arch9wavefront6targetE1EEEvT1_,@function
_ZN7rocprim17ROCPRIM_400000_NS6detail17trampoline_kernelINS0_14default_configENS1_20scan_config_selectorI11FixedVectorIiLj1EEEEZZNS1_9scan_implILNS1_25lookback_scan_determinismE0ELb1ELb1ES3_N6thrust23THRUST_200600_302600_NS6detail15normal_iteratorINSB_10device_ptrIS6_EEEESG_S6_NSB_4plusIvEES6_EEDaPvRmT3_T4_T5_mT6_P12ihipStream_tbENKUlT_T0_E_clISt17integral_constantIbLb0EESW_EEDaSR_SS_EUlSR_E0_NS1_11comp_targetILNS1_3genE5ELNS1_11target_archE942ELNS1_3gpuE9ELNS1_3repE0EEENS1_30default_config_static_selectorELNS0_4arch9wavefront6targetE1EEEvT1_: ; @_ZN7rocprim17ROCPRIM_400000_NS6detail17trampoline_kernelINS0_14default_configENS1_20scan_config_selectorI11FixedVectorIiLj1EEEEZZNS1_9scan_implILNS1_25lookback_scan_determinismE0ELb1ELb1ES3_N6thrust23THRUST_200600_302600_NS6detail15normal_iteratorINSB_10device_ptrIS6_EEEESG_S6_NSB_4plusIvEES6_EEDaPvRmT3_T4_T5_mT6_P12ihipStream_tbENKUlT_T0_E_clISt17integral_constantIbLb0EESW_EEDaSR_SS_EUlSR_E0_NS1_11comp_targetILNS1_3genE5ELNS1_11target_archE942ELNS1_3gpuE9ELNS1_3repE0EEENS1_30default_config_static_selectorELNS0_4arch9wavefront6targetE1EEEvT1_
; %bb.0:
	.section	.rodata,"a",@progbits
	.p2align	6, 0x0
	.amdhsa_kernel _ZN7rocprim17ROCPRIM_400000_NS6detail17trampoline_kernelINS0_14default_configENS1_20scan_config_selectorI11FixedVectorIiLj1EEEEZZNS1_9scan_implILNS1_25lookback_scan_determinismE0ELb1ELb1ES3_N6thrust23THRUST_200600_302600_NS6detail15normal_iteratorINSB_10device_ptrIS6_EEEESG_S6_NSB_4plusIvEES6_EEDaPvRmT3_T4_T5_mT6_P12ihipStream_tbENKUlT_T0_E_clISt17integral_constantIbLb0EESW_EEDaSR_SS_EUlSR_E0_NS1_11comp_targetILNS1_3genE5ELNS1_11target_archE942ELNS1_3gpuE9ELNS1_3repE0EEENS1_30default_config_static_selectorELNS0_4arch9wavefront6targetE1EEEvT1_
		.amdhsa_group_segment_fixed_size 0
		.amdhsa_private_segment_fixed_size 0
		.amdhsa_kernarg_size 32
		.amdhsa_user_sgpr_count 6
		.amdhsa_user_sgpr_private_segment_buffer 1
		.amdhsa_user_sgpr_dispatch_ptr 0
		.amdhsa_user_sgpr_queue_ptr 0
		.amdhsa_user_sgpr_kernarg_segment_ptr 1
		.amdhsa_user_sgpr_dispatch_id 0
		.amdhsa_user_sgpr_flat_scratch_init 0
		.amdhsa_user_sgpr_kernarg_preload_length 0
		.amdhsa_user_sgpr_kernarg_preload_offset 0
		.amdhsa_user_sgpr_private_segment_size 0
		.amdhsa_uses_dynamic_stack 0
		.amdhsa_system_sgpr_private_segment_wavefront_offset 0
		.amdhsa_system_sgpr_workgroup_id_x 1
		.amdhsa_system_sgpr_workgroup_id_y 0
		.amdhsa_system_sgpr_workgroup_id_z 0
		.amdhsa_system_sgpr_workgroup_info 0
		.amdhsa_system_vgpr_workitem_id 0
		.amdhsa_next_free_vgpr 1
		.amdhsa_next_free_sgpr 0
		.amdhsa_accum_offset 4
		.amdhsa_reserve_vcc 0
		.amdhsa_reserve_flat_scratch 0
		.amdhsa_float_round_mode_32 0
		.amdhsa_float_round_mode_16_64 0
		.amdhsa_float_denorm_mode_32 3
		.amdhsa_float_denorm_mode_16_64 3
		.amdhsa_dx10_clamp 1
		.amdhsa_ieee_mode 1
		.amdhsa_fp16_overflow 0
		.amdhsa_tg_split 0
		.amdhsa_exception_fp_ieee_invalid_op 0
		.amdhsa_exception_fp_denorm_src 0
		.amdhsa_exception_fp_ieee_div_zero 0
		.amdhsa_exception_fp_ieee_overflow 0
		.amdhsa_exception_fp_ieee_underflow 0
		.amdhsa_exception_fp_ieee_inexact 0
		.amdhsa_exception_int_div_zero 0
	.end_amdhsa_kernel
	.section	.text._ZN7rocprim17ROCPRIM_400000_NS6detail17trampoline_kernelINS0_14default_configENS1_20scan_config_selectorI11FixedVectorIiLj1EEEEZZNS1_9scan_implILNS1_25lookback_scan_determinismE0ELb1ELb1ES3_N6thrust23THRUST_200600_302600_NS6detail15normal_iteratorINSB_10device_ptrIS6_EEEESG_S6_NSB_4plusIvEES6_EEDaPvRmT3_T4_T5_mT6_P12ihipStream_tbENKUlT_T0_E_clISt17integral_constantIbLb0EESW_EEDaSR_SS_EUlSR_E0_NS1_11comp_targetILNS1_3genE5ELNS1_11target_archE942ELNS1_3gpuE9ELNS1_3repE0EEENS1_30default_config_static_selectorELNS0_4arch9wavefront6targetE1EEEvT1_,"axG",@progbits,_ZN7rocprim17ROCPRIM_400000_NS6detail17trampoline_kernelINS0_14default_configENS1_20scan_config_selectorI11FixedVectorIiLj1EEEEZZNS1_9scan_implILNS1_25lookback_scan_determinismE0ELb1ELb1ES3_N6thrust23THRUST_200600_302600_NS6detail15normal_iteratorINSB_10device_ptrIS6_EEEESG_S6_NSB_4plusIvEES6_EEDaPvRmT3_T4_T5_mT6_P12ihipStream_tbENKUlT_T0_E_clISt17integral_constantIbLb0EESW_EEDaSR_SS_EUlSR_E0_NS1_11comp_targetILNS1_3genE5ELNS1_11target_archE942ELNS1_3gpuE9ELNS1_3repE0EEENS1_30default_config_static_selectorELNS0_4arch9wavefront6targetE1EEEvT1_,comdat
.Lfunc_end6472:
	.size	_ZN7rocprim17ROCPRIM_400000_NS6detail17trampoline_kernelINS0_14default_configENS1_20scan_config_selectorI11FixedVectorIiLj1EEEEZZNS1_9scan_implILNS1_25lookback_scan_determinismE0ELb1ELb1ES3_N6thrust23THRUST_200600_302600_NS6detail15normal_iteratorINSB_10device_ptrIS6_EEEESG_S6_NSB_4plusIvEES6_EEDaPvRmT3_T4_T5_mT6_P12ihipStream_tbENKUlT_T0_E_clISt17integral_constantIbLb0EESW_EEDaSR_SS_EUlSR_E0_NS1_11comp_targetILNS1_3genE5ELNS1_11target_archE942ELNS1_3gpuE9ELNS1_3repE0EEENS1_30default_config_static_selectorELNS0_4arch9wavefront6targetE1EEEvT1_, .Lfunc_end6472-_ZN7rocprim17ROCPRIM_400000_NS6detail17trampoline_kernelINS0_14default_configENS1_20scan_config_selectorI11FixedVectorIiLj1EEEEZZNS1_9scan_implILNS1_25lookback_scan_determinismE0ELb1ELb1ES3_N6thrust23THRUST_200600_302600_NS6detail15normal_iteratorINSB_10device_ptrIS6_EEEESG_S6_NSB_4plusIvEES6_EEDaPvRmT3_T4_T5_mT6_P12ihipStream_tbENKUlT_T0_E_clISt17integral_constantIbLb0EESW_EEDaSR_SS_EUlSR_E0_NS1_11comp_targetILNS1_3genE5ELNS1_11target_archE942ELNS1_3gpuE9ELNS1_3repE0EEENS1_30default_config_static_selectorELNS0_4arch9wavefront6targetE1EEEvT1_
                                        ; -- End function
	.section	.AMDGPU.csdata,"",@progbits
; Kernel info:
; codeLenInByte = 0
; NumSgprs: 4
; NumVgprs: 0
; NumAgprs: 0
; TotalNumVgprs: 0
; ScratchSize: 0
; MemoryBound: 0
; FloatMode: 240
; IeeeMode: 1
; LDSByteSize: 0 bytes/workgroup (compile time only)
; SGPRBlocks: 0
; VGPRBlocks: 0
; NumSGPRsForWavesPerEU: 4
; NumVGPRsForWavesPerEU: 1
; AccumOffset: 4
; Occupancy: 8
; WaveLimiterHint : 0
; COMPUTE_PGM_RSRC2:SCRATCH_EN: 0
; COMPUTE_PGM_RSRC2:USER_SGPR: 6
; COMPUTE_PGM_RSRC2:TRAP_HANDLER: 0
; COMPUTE_PGM_RSRC2:TGID_X_EN: 1
; COMPUTE_PGM_RSRC2:TGID_Y_EN: 0
; COMPUTE_PGM_RSRC2:TGID_Z_EN: 0
; COMPUTE_PGM_RSRC2:TIDIG_COMP_CNT: 0
; COMPUTE_PGM_RSRC3_GFX90A:ACCUM_OFFSET: 0
; COMPUTE_PGM_RSRC3_GFX90A:TG_SPLIT: 0
	.section	.text._ZN7rocprim17ROCPRIM_400000_NS6detail17trampoline_kernelINS0_14default_configENS1_20scan_config_selectorI11FixedVectorIiLj1EEEEZZNS1_9scan_implILNS1_25lookback_scan_determinismE0ELb1ELb1ES3_N6thrust23THRUST_200600_302600_NS6detail15normal_iteratorINSB_10device_ptrIS6_EEEESG_S6_NSB_4plusIvEES6_EEDaPvRmT3_T4_T5_mT6_P12ihipStream_tbENKUlT_T0_E_clISt17integral_constantIbLb0EESW_EEDaSR_SS_EUlSR_E0_NS1_11comp_targetILNS1_3genE4ELNS1_11target_archE910ELNS1_3gpuE8ELNS1_3repE0EEENS1_30default_config_static_selectorELNS0_4arch9wavefront6targetE1EEEvT1_,"axG",@progbits,_ZN7rocprim17ROCPRIM_400000_NS6detail17trampoline_kernelINS0_14default_configENS1_20scan_config_selectorI11FixedVectorIiLj1EEEEZZNS1_9scan_implILNS1_25lookback_scan_determinismE0ELb1ELb1ES3_N6thrust23THRUST_200600_302600_NS6detail15normal_iteratorINSB_10device_ptrIS6_EEEESG_S6_NSB_4plusIvEES6_EEDaPvRmT3_T4_T5_mT6_P12ihipStream_tbENKUlT_T0_E_clISt17integral_constantIbLb0EESW_EEDaSR_SS_EUlSR_E0_NS1_11comp_targetILNS1_3genE4ELNS1_11target_archE910ELNS1_3gpuE8ELNS1_3repE0EEENS1_30default_config_static_selectorELNS0_4arch9wavefront6targetE1EEEvT1_,comdat
	.protected	_ZN7rocprim17ROCPRIM_400000_NS6detail17trampoline_kernelINS0_14default_configENS1_20scan_config_selectorI11FixedVectorIiLj1EEEEZZNS1_9scan_implILNS1_25lookback_scan_determinismE0ELb1ELb1ES3_N6thrust23THRUST_200600_302600_NS6detail15normal_iteratorINSB_10device_ptrIS6_EEEESG_S6_NSB_4plusIvEES6_EEDaPvRmT3_T4_T5_mT6_P12ihipStream_tbENKUlT_T0_E_clISt17integral_constantIbLb0EESW_EEDaSR_SS_EUlSR_E0_NS1_11comp_targetILNS1_3genE4ELNS1_11target_archE910ELNS1_3gpuE8ELNS1_3repE0EEENS1_30default_config_static_selectorELNS0_4arch9wavefront6targetE1EEEvT1_ ; -- Begin function _ZN7rocprim17ROCPRIM_400000_NS6detail17trampoline_kernelINS0_14default_configENS1_20scan_config_selectorI11FixedVectorIiLj1EEEEZZNS1_9scan_implILNS1_25lookback_scan_determinismE0ELb1ELb1ES3_N6thrust23THRUST_200600_302600_NS6detail15normal_iteratorINSB_10device_ptrIS6_EEEESG_S6_NSB_4plusIvEES6_EEDaPvRmT3_T4_T5_mT6_P12ihipStream_tbENKUlT_T0_E_clISt17integral_constantIbLb0EESW_EEDaSR_SS_EUlSR_E0_NS1_11comp_targetILNS1_3genE4ELNS1_11target_archE910ELNS1_3gpuE8ELNS1_3repE0EEENS1_30default_config_static_selectorELNS0_4arch9wavefront6targetE1EEEvT1_
	.globl	_ZN7rocprim17ROCPRIM_400000_NS6detail17trampoline_kernelINS0_14default_configENS1_20scan_config_selectorI11FixedVectorIiLj1EEEEZZNS1_9scan_implILNS1_25lookback_scan_determinismE0ELb1ELb1ES3_N6thrust23THRUST_200600_302600_NS6detail15normal_iteratorINSB_10device_ptrIS6_EEEESG_S6_NSB_4plusIvEES6_EEDaPvRmT3_T4_T5_mT6_P12ihipStream_tbENKUlT_T0_E_clISt17integral_constantIbLb0EESW_EEDaSR_SS_EUlSR_E0_NS1_11comp_targetILNS1_3genE4ELNS1_11target_archE910ELNS1_3gpuE8ELNS1_3repE0EEENS1_30default_config_static_selectorELNS0_4arch9wavefront6targetE1EEEvT1_
	.p2align	8
	.type	_ZN7rocprim17ROCPRIM_400000_NS6detail17trampoline_kernelINS0_14default_configENS1_20scan_config_selectorI11FixedVectorIiLj1EEEEZZNS1_9scan_implILNS1_25lookback_scan_determinismE0ELb1ELb1ES3_N6thrust23THRUST_200600_302600_NS6detail15normal_iteratorINSB_10device_ptrIS6_EEEESG_S6_NSB_4plusIvEES6_EEDaPvRmT3_T4_T5_mT6_P12ihipStream_tbENKUlT_T0_E_clISt17integral_constantIbLb0EESW_EEDaSR_SS_EUlSR_E0_NS1_11comp_targetILNS1_3genE4ELNS1_11target_archE910ELNS1_3gpuE8ELNS1_3repE0EEENS1_30default_config_static_selectorELNS0_4arch9wavefront6targetE1EEEvT1_,@function
_ZN7rocprim17ROCPRIM_400000_NS6detail17trampoline_kernelINS0_14default_configENS1_20scan_config_selectorI11FixedVectorIiLj1EEEEZZNS1_9scan_implILNS1_25lookback_scan_determinismE0ELb1ELb1ES3_N6thrust23THRUST_200600_302600_NS6detail15normal_iteratorINSB_10device_ptrIS6_EEEESG_S6_NSB_4plusIvEES6_EEDaPvRmT3_T4_T5_mT6_P12ihipStream_tbENKUlT_T0_E_clISt17integral_constantIbLb0EESW_EEDaSR_SS_EUlSR_E0_NS1_11comp_targetILNS1_3genE4ELNS1_11target_archE910ELNS1_3gpuE8ELNS1_3repE0EEENS1_30default_config_static_selectorELNS0_4arch9wavefront6targetE1EEEvT1_: ; @_ZN7rocprim17ROCPRIM_400000_NS6detail17trampoline_kernelINS0_14default_configENS1_20scan_config_selectorI11FixedVectorIiLj1EEEEZZNS1_9scan_implILNS1_25lookback_scan_determinismE0ELb1ELb1ES3_N6thrust23THRUST_200600_302600_NS6detail15normal_iteratorINSB_10device_ptrIS6_EEEESG_S6_NSB_4plusIvEES6_EEDaPvRmT3_T4_T5_mT6_P12ihipStream_tbENKUlT_T0_E_clISt17integral_constantIbLb0EESW_EEDaSR_SS_EUlSR_E0_NS1_11comp_targetILNS1_3genE4ELNS1_11target_archE910ELNS1_3gpuE8ELNS1_3repE0EEENS1_30default_config_static_selectorELNS0_4arch9wavefront6targetE1EEEvT1_
; %bb.0:
	s_load_dwordx4 s[20:23], s[4:5], 0x0
	v_lshlrev_b32_e32 v14, 2, v0
	s_waitcnt lgkmcnt(0)
	s_load_dword s23, s[20:21], 0x0
	v_cmp_gt_u32_e32 vcc, s22, v0
	s_waitcnt lgkmcnt(0)
	v_mov_b32_e32 v1, s23
	s_and_saveexec_b64 s[0:1], vcc
	s_cbranch_execz .LBB6473_2
; %bb.1:
	global_load_dword v1, v14, s[20:21]
.LBB6473_2:
	s_or_b64 exec, exec, s[0:1]
	v_or_b32_e32 v2, 0x80, v0
	v_cmp_gt_u32_e64 s[0:1], s22, v2
	v_mov_b32_e32 v2, s23
	s_and_saveexec_b64 s[2:3], s[0:1]
	s_cbranch_execz .LBB6473_4
; %bb.3:
	global_load_dword v2, v14, s[20:21] offset:512
.LBB6473_4:
	s_or_b64 exec, exec, s[2:3]
	v_or_b32_e32 v3, 0x100, v0
	v_cmp_gt_u32_e64 s[2:3], s22, v3
	v_mov_b32_e32 v3, s23
	s_and_saveexec_b64 s[6:7], s[2:3]
	s_cbranch_execz .LBB6473_6
; %bb.5:
	global_load_dword v3, v14, s[20:21] offset:1024
.LBB6473_6:
	;; [unrolled: 9-line block ×7, first 2 shown]
	s_or_b64 exec, exec, s[14:15]
	v_or_b32_e32 v10, 0x400, v0
	v_cmp_gt_u32_e64 s[14:15], s22, v10
	v_mov_b32_e32 v9, s23
	s_and_saveexec_b64 s[16:17], s[14:15]
	s_cbranch_execz .LBB6473_18
; %bb.17:
	v_lshlrev_b32_e32 v9, 2, v10
	global_load_dword v9, v9, s[20:21]
.LBB6473_18:
	s_or_b64 exec, exec, s[16:17]
	s_load_dword s24, s[4:5], 0x10
	v_or_b32_e32 v11, 0x480, v0
	v_cmp_gt_u32_e64 s[16:17], s22, v11
	v_mov_b32_e32 v10, s23
	s_and_saveexec_b64 s[22:23], s[16:17]
	s_cbranch_execz .LBB6473_20
; %bb.19:
	v_lshlrev_b32_e32 v10, 2, v11
	global_load_dword v10, v10, s[20:21]
.LBB6473_20:
	s_or_b64 exec, exec, s[22:23]
	s_waitcnt vmcnt(0)
	ds_write2st64_b32 v14, v1, v2 offset1:2
	ds_write2st64_b32 v14, v3, v4 offset0:4 offset1:6
	ds_write2st64_b32 v14, v5, v6 offset0:8 offset1:10
	;; [unrolled: 1-line block ×4, first 2 shown]
	v_mad_u32_u24 v1, v0, 36, v14
	s_waitcnt lgkmcnt(0)
	s_barrier
	ds_read2_b64 v[6:9], v1 offset1:1
	ds_read2_b64 v[2:5], v1 offset0:2 offset1:3
	ds_read_b64 v[10:11], v1 offset:32
	s_load_dwordx2 s[20:21], s[4:5], 0x18
	v_cmp_gt_u32_e64 s[4:5], 64, v0
	s_waitcnt lgkmcnt(0)
	v_add_u32_e32 v1, v7, v6
	v_add3_u32 v1, v1, v8, v9
	v_add3_u32 v1, v1, v2, v3
	;; [unrolled: 1-line block ×4, first 2 shown]
	v_lshrrev_b32_e32 v11, 3, v0
	v_and_b32_e32 v11, 12, v11
	v_add_u32_e32 v11, v14, v11
	s_barrier
	ds_write_b32 v11, v1
	s_waitcnt lgkmcnt(0)
	s_barrier
	s_and_saveexec_b64 s[22:23], s[4:5]
	s_cbranch_execz .LBB6473_22
; %bb.21:
	v_lshlrev_b32_e32 v11, 1, v0
	v_lshrrev_b32_e32 v12, 4, v0
	v_add_lshl_u32 v11, v12, v11, 2
	ds_read2_b32 v[12:13], v11 offset1:1
	v_mbcnt_lo_u32_b32 v15, -1, 0
	v_mbcnt_hi_u32_b32 v15, -1, v15
	v_and_b32_e32 v16, 15, v15
	v_cmp_ne_u32_e64 s[4:5], 0, v16
	s_waitcnt lgkmcnt(0)
	v_add_u32_e32 v13, v13, v12
	; wave barrier
	s_nop 1
	v_mov_b32_dpp v17, v13 row_shr:1 row_mask:0xf bank_mask:0xf
	v_cndmask_b32_e64 v17, 0, v17, s[4:5]
	v_add_u32_e32 v13, v17, v13
	v_cmp_lt_u32_e64 s[4:5], 1, v16
	s_nop 0
	v_mov_b32_dpp v17, v13 row_shr:2 row_mask:0xf bank_mask:0xf
	v_cndmask_b32_e64 v17, 0, v17, s[4:5]
	v_add_u32_e32 v13, v13, v17
	v_cmp_lt_u32_e64 s[4:5], 3, v16
	s_nop 0
	v_mov_b32_dpp v17, v13 row_shr:4 row_mask:0xf bank_mask:0xf
	v_cndmask_b32_e64 v17, 0, v17, s[4:5]
	v_add_u32_e32 v13, v13, v17
	v_cmp_lt_u32_e64 s[4:5], 7, v16
	s_nop 0
	v_mov_b32_dpp v17, v13 row_shr:8 row_mask:0xf bank_mask:0xf
	v_cndmask_b32_e64 v16, 0, v17, s[4:5]
	v_add_u32_e32 v13, v13, v16
	v_bfe_i32 v17, v15, 4, 1
	v_cmp_lt_u32_e64 s[4:5], 31, v15
	v_mov_b32_dpp v16, v13 row_bcast:15 row_mask:0xf bank_mask:0xf
	v_and_b32_e32 v16, v17, v16
	v_add_u32_e32 v13, v13, v16
	v_and_b32_e32 v17, 64, v15
	s_nop 0
	v_mov_b32_dpp v16, v13 row_bcast:31 row_mask:0xf bank_mask:0xf
	v_cndmask_b32_e64 v16, 0, v16, s[4:5]
	v_add_u32_e32 v13, v13, v16
	v_add_u32_e32 v16, -1, v15
	v_cmp_lt_i32_e64 s[4:5], v16, v17
	v_cndmask_b32_e64 v15, v16, v15, s[4:5]
	v_lshlrev_b32_e32 v15, 2, v15
	ds_bpermute_b32 v13, v15, v13
	v_cmp_eq_u32_e64 s[4:5], 0, v0
	s_waitcnt lgkmcnt(0)
	v_add_u32_e32 v12, v13, v12
	v_cndmask_b32_e64 v1, v12, v1, s[4:5]
	ds_write_b32 v11, v1
	; wave barrier
	ds_read_b32 v12, v11 offset:4
	s_waitcnt lgkmcnt(0)
	v_add_u32_e32 v1, v12, v1
	ds_write_b32 v11, v1 offset:4
.LBB6473_22:
	s_or_b64 exec, exec, s[22:23]
	v_mul_u32_u24_e32 v1, 36, v0
	v_cmp_ne_u32_e64 s[4:5], 0, v0
	v_mov_b32_e32 v12, s24
	s_waitcnt lgkmcnt(0)
	s_barrier
	s_and_saveexec_b64 s[22:23], s[4:5]
	s_cbranch_execz .LBB6473_24
; %bb.23:
	v_add_u32_e32 v0, -1, v0
	v_lshrrev_b32_e32 v11, 5, v0
	v_add_lshl_u32 v0, v11, v0, 2
	ds_read_b32 v0, v0
	s_waitcnt lgkmcnt(0)
	v_add_u32_e32 v12, s24, v0
.LBB6473_24:
	s_or_b64 exec, exec, s[22:23]
	v_add_u32_e32 v13, v12, v6
	v_add_u32_e32 v6, v13, v7
	;; [unrolled: 1-line block ×10, first 2 shown]
	s_barrier
	ds_write2_b64 v0, v[12:13], v[6:7] offset1:1
	ds_write2_b64 v0, v[8:9], v[2:3] offset0:2 offset1:3
	ds_write_b64 v0, v[4:5] offset:32
	s_waitcnt lgkmcnt(0)
	s_barrier
	ds_read2st64_b32 v[8:9], v14 offset0:2 offset1:4
	ds_read2st64_b32 v[6:7], v14 offset0:6 offset1:8
	;; [unrolled: 1-line block ×4, first 2 shown]
	ds_read_b32 v10, v14 offset:4608
	v_mov_b32_e32 v1, s21
	v_add_co_u32_e64 v0, s[4:5], s20, v14
	v_addc_co_u32_e64 v1, s[4:5], 0, v1, s[4:5]
	s_and_saveexec_b64 s[4:5], vcc
	s_cbranch_execnz .LBB6473_35
; %bb.25:
	s_or_b64 exec, exec, s[4:5]
	s_and_saveexec_b64 s[4:5], s[0:1]
	s_cbranch_execnz .LBB6473_36
.LBB6473_26:
	s_or_b64 exec, exec, s[4:5]
	s_and_saveexec_b64 s[0:1], s[2:3]
	s_cbranch_execnz .LBB6473_37
.LBB6473_27:
	s_or_b64 exec, exec, s[0:1]
	s_and_saveexec_b64 s[0:1], s[18:19]
	s_cbranch_execnz .LBB6473_38
.LBB6473_28:
	s_or_b64 exec, exec, s[0:1]
	s_and_saveexec_b64 s[0:1], s[6:7]
	s_cbranch_execnz .LBB6473_39
.LBB6473_29:
	s_or_b64 exec, exec, s[0:1]
	s_and_saveexec_b64 s[0:1], s[8:9]
	s_cbranch_execnz .LBB6473_40
.LBB6473_30:
	s_or_b64 exec, exec, s[0:1]
	s_and_saveexec_b64 s[0:1], s[10:11]
	s_cbranch_execnz .LBB6473_41
.LBB6473_31:
	s_or_b64 exec, exec, s[0:1]
	s_and_saveexec_b64 s[0:1], s[12:13]
	s_cbranch_execnz .LBB6473_42
.LBB6473_32:
	s_or_b64 exec, exec, s[0:1]
	s_and_saveexec_b64 s[0:1], s[14:15]
	s_cbranch_execnz .LBB6473_43
.LBB6473_33:
	s_or_b64 exec, exec, s[0:1]
	s_and_saveexec_b64 s[0:1], s[16:17]
	s_cbranch_execnz .LBB6473_44
.LBB6473_34:
	s_endpgm
.LBB6473_35:
	ds_read_b32 v11, v14
	s_waitcnt lgkmcnt(0)
	global_store_dword v[0:1], v11, off
	s_or_b64 exec, exec, s[4:5]
	s_and_saveexec_b64 s[4:5], s[0:1]
	s_cbranch_execz .LBB6473_26
.LBB6473_36:
	s_waitcnt lgkmcnt(4)
	global_store_dword v[0:1], v8, off offset:512
	s_or_b64 exec, exec, s[4:5]
	s_and_saveexec_b64 s[0:1], s[2:3]
	s_cbranch_execz .LBB6473_27
.LBB6473_37:
	s_waitcnt lgkmcnt(4)
	global_store_dword v[0:1], v9, off offset:1024
	s_or_b64 exec, exec, s[0:1]
	s_and_saveexec_b64 s[0:1], s[18:19]
	s_cbranch_execz .LBB6473_28
.LBB6473_38:
	s_waitcnt lgkmcnt(3)
	global_store_dword v[0:1], v6, off offset:1536
	s_or_b64 exec, exec, s[0:1]
	s_and_saveexec_b64 s[0:1], s[6:7]
	s_cbranch_execz .LBB6473_29
.LBB6473_39:
	s_waitcnt lgkmcnt(3)
	global_store_dword v[0:1], v7, off offset:2048
	s_or_b64 exec, exec, s[0:1]
	s_and_saveexec_b64 s[0:1], s[8:9]
	s_cbranch_execz .LBB6473_30
.LBB6473_40:
	s_waitcnt lgkmcnt(2)
	global_store_dword v[0:1], v4, off offset:2560
	s_or_b64 exec, exec, s[0:1]
	s_and_saveexec_b64 s[0:1], s[10:11]
	s_cbranch_execz .LBB6473_31
.LBB6473_41:
	s_waitcnt lgkmcnt(2)
	global_store_dword v[0:1], v5, off offset:3072
	s_or_b64 exec, exec, s[0:1]
	s_and_saveexec_b64 s[0:1], s[12:13]
	s_cbranch_execz .LBB6473_32
.LBB6473_42:
	s_waitcnt lgkmcnt(1)
	global_store_dword v[0:1], v2, off offset:3584
	s_or_b64 exec, exec, s[0:1]
	s_and_saveexec_b64 s[0:1], s[14:15]
	s_cbranch_execz .LBB6473_33
.LBB6473_43:
	s_waitcnt lgkmcnt(2)
	v_add_co_u32_e32 v4, vcc, 0x1000, v0
	v_addc_co_u32_e32 v5, vcc, 0, v1, vcc
	s_waitcnt lgkmcnt(1)
	global_store_dword v[4:5], v3, off
	s_or_b64 exec, exec, s[0:1]
	s_and_saveexec_b64 s[0:1], s[16:17]
	s_cbranch_execz .LBB6473_34
.LBB6473_44:
	v_add_co_u32_e32 v0, vcc, 0x1000, v0
	v_addc_co_u32_e32 v1, vcc, 0, v1, vcc
	s_waitcnt lgkmcnt(0)
	global_store_dword v[0:1], v10, off offset:512
	s_endpgm
	.section	.rodata,"a",@progbits
	.p2align	6, 0x0
	.amdhsa_kernel _ZN7rocprim17ROCPRIM_400000_NS6detail17trampoline_kernelINS0_14default_configENS1_20scan_config_selectorI11FixedVectorIiLj1EEEEZZNS1_9scan_implILNS1_25lookback_scan_determinismE0ELb1ELb1ES3_N6thrust23THRUST_200600_302600_NS6detail15normal_iteratorINSB_10device_ptrIS6_EEEESG_S6_NSB_4plusIvEES6_EEDaPvRmT3_T4_T5_mT6_P12ihipStream_tbENKUlT_T0_E_clISt17integral_constantIbLb0EESW_EEDaSR_SS_EUlSR_E0_NS1_11comp_targetILNS1_3genE4ELNS1_11target_archE910ELNS1_3gpuE8ELNS1_3repE0EEENS1_30default_config_static_selectorELNS0_4arch9wavefront6targetE1EEEvT1_
		.amdhsa_group_segment_fixed_size 5120
		.amdhsa_private_segment_fixed_size 0
		.amdhsa_kernarg_size 32
		.amdhsa_user_sgpr_count 6
		.amdhsa_user_sgpr_private_segment_buffer 1
		.amdhsa_user_sgpr_dispatch_ptr 0
		.amdhsa_user_sgpr_queue_ptr 0
		.amdhsa_user_sgpr_kernarg_segment_ptr 1
		.amdhsa_user_sgpr_dispatch_id 0
		.amdhsa_user_sgpr_flat_scratch_init 0
		.amdhsa_user_sgpr_kernarg_preload_length 0
		.amdhsa_user_sgpr_kernarg_preload_offset 0
		.amdhsa_user_sgpr_private_segment_size 0
		.amdhsa_uses_dynamic_stack 0
		.amdhsa_system_sgpr_private_segment_wavefront_offset 0
		.amdhsa_system_sgpr_workgroup_id_x 1
		.amdhsa_system_sgpr_workgroup_id_y 0
		.amdhsa_system_sgpr_workgroup_id_z 0
		.amdhsa_system_sgpr_workgroup_info 0
		.amdhsa_system_vgpr_workitem_id 0
		.amdhsa_next_free_vgpr 18
		.amdhsa_next_free_sgpr 25
		.amdhsa_accum_offset 20
		.amdhsa_reserve_vcc 1
		.amdhsa_reserve_flat_scratch 0
		.amdhsa_float_round_mode_32 0
		.amdhsa_float_round_mode_16_64 0
		.amdhsa_float_denorm_mode_32 3
		.amdhsa_float_denorm_mode_16_64 3
		.amdhsa_dx10_clamp 1
		.amdhsa_ieee_mode 1
		.amdhsa_fp16_overflow 0
		.amdhsa_tg_split 0
		.amdhsa_exception_fp_ieee_invalid_op 0
		.amdhsa_exception_fp_denorm_src 0
		.amdhsa_exception_fp_ieee_div_zero 0
		.amdhsa_exception_fp_ieee_overflow 0
		.amdhsa_exception_fp_ieee_underflow 0
		.amdhsa_exception_fp_ieee_inexact 0
		.amdhsa_exception_int_div_zero 0
	.end_amdhsa_kernel
	.section	.text._ZN7rocprim17ROCPRIM_400000_NS6detail17trampoline_kernelINS0_14default_configENS1_20scan_config_selectorI11FixedVectorIiLj1EEEEZZNS1_9scan_implILNS1_25lookback_scan_determinismE0ELb1ELb1ES3_N6thrust23THRUST_200600_302600_NS6detail15normal_iteratorINSB_10device_ptrIS6_EEEESG_S6_NSB_4plusIvEES6_EEDaPvRmT3_T4_T5_mT6_P12ihipStream_tbENKUlT_T0_E_clISt17integral_constantIbLb0EESW_EEDaSR_SS_EUlSR_E0_NS1_11comp_targetILNS1_3genE4ELNS1_11target_archE910ELNS1_3gpuE8ELNS1_3repE0EEENS1_30default_config_static_selectorELNS0_4arch9wavefront6targetE1EEEvT1_,"axG",@progbits,_ZN7rocprim17ROCPRIM_400000_NS6detail17trampoline_kernelINS0_14default_configENS1_20scan_config_selectorI11FixedVectorIiLj1EEEEZZNS1_9scan_implILNS1_25lookback_scan_determinismE0ELb1ELb1ES3_N6thrust23THRUST_200600_302600_NS6detail15normal_iteratorINSB_10device_ptrIS6_EEEESG_S6_NSB_4plusIvEES6_EEDaPvRmT3_T4_T5_mT6_P12ihipStream_tbENKUlT_T0_E_clISt17integral_constantIbLb0EESW_EEDaSR_SS_EUlSR_E0_NS1_11comp_targetILNS1_3genE4ELNS1_11target_archE910ELNS1_3gpuE8ELNS1_3repE0EEENS1_30default_config_static_selectorELNS0_4arch9wavefront6targetE1EEEvT1_,comdat
.Lfunc_end6473:
	.size	_ZN7rocprim17ROCPRIM_400000_NS6detail17trampoline_kernelINS0_14default_configENS1_20scan_config_selectorI11FixedVectorIiLj1EEEEZZNS1_9scan_implILNS1_25lookback_scan_determinismE0ELb1ELb1ES3_N6thrust23THRUST_200600_302600_NS6detail15normal_iteratorINSB_10device_ptrIS6_EEEESG_S6_NSB_4plusIvEES6_EEDaPvRmT3_T4_T5_mT6_P12ihipStream_tbENKUlT_T0_E_clISt17integral_constantIbLb0EESW_EEDaSR_SS_EUlSR_E0_NS1_11comp_targetILNS1_3genE4ELNS1_11target_archE910ELNS1_3gpuE8ELNS1_3repE0EEENS1_30default_config_static_selectorELNS0_4arch9wavefront6targetE1EEEvT1_, .Lfunc_end6473-_ZN7rocprim17ROCPRIM_400000_NS6detail17trampoline_kernelINS0_14default_configENS1_20scan_config_selectorI11FixedVectorIiLj1EEEEZZNS1_9scan_implILNS1_25lookback_scan_determinismE0ELb1ELb1ES3_N6thrust23THRUST_200600_302600_NS6detail15normal_iteratorINSB_10device_ptrIS6_EEEESG_S6_NSB_4plusIvEES6_EEDaPvRmT3_T4_T5_mT6_P12ihipStream_tbENKUlT_T0_E_clISt17integral_constantIbLb0EESW_EEDaSR_SS_EUlSR_E0_NS1_11comp_targetILNS1_3genE4ELNS1_11target_archE910ELNS1_3gpuE8ELNS1_3repE0EEENS1_30default_config_static_selectorELNS0_4arch9wavefront6targetE1EEEvT1_
                                        ; -- End function
	.section	.AMDGPU.csdata,"",@progbits
; Kernel info:
; codeLenInByte = 1536
; NumSgprs: 29
; NumVgprs: 18
; NumAgprs: 0
; TotalNumVgprs: 18
; ScratchSize: 0
; MemoryBound: 0
; FloatMode: 240
; IeeeMode: 1
; LDSByteSize: 5120 bytes/workgroup (compile time only)
; SGPRBlocks: 3
; VGPRBlocks: 2
; NumSGPRsForWavesPerEU: 29
; NumVGPRsForWavesPerEU: 18
; AccumOffset: 20
; Occupancy: 6
; WaveLimiterHint : 0
; COMPUTE_PGM_RSRC2:SCRATCH_EN: 0
; COMPUTE_PGM_RSRC2:USER_SGPR: 6
; COMPUTE_PGM_RSRC2:TRAP_HANDLER: 0
; COMPUTE_PGM_RSRC2:TGID_X_EN: 1
; COMPUTE_PGM_RSRC2:TGID_Y_EN: 0
; COMPUTE_PGM_RSRC2:TGID_Z_EN: 0
; COMPUTE_PGM_RSRC2:TIDIG_COMP_CNT: 0
; COMPUTE_PGM_RSRC3_GFX90A:ACCUM_OFFSET: 4
; COMPUTE_PGM_RSRC3_GFX90A:TG_SPLIT: 0
	.section	.text._ZN7rocprim17ROCPRIM_400000_NS6detail17trampoline_kernelINS0_14default_configENS1_20scan_config_selectorI11FixedVectorIiLj1EEEEZZNS1_9scan_implILNS1_25lookback_scan_determinismE0ELb1ELb1ES3_N6thrust23THRUST_200600_302600_NS6detail15normal_iteratorINSB_10device_ptrIS6_EEEESG_S6_NSB_4plusIvEES6_EEDaPvRmT3_T4_T5_mT6_P12ihipStream_tbENKUlT_T0_E_clISt17integral_constantIbLb0EESW_EEDaSR_SS_EUlSR_E0_NS1_11comp_targetILNS1_3genE3ELNS1_11target_archE908ELNS1_3gpuE7ELNS1_3repE0EEENS1_30default_config_static_selectorELNS0_4arch9wavefront6targetE1EEEvT1_,"axG",@progbits,_ZN7rocprim17ROCPRIM_400000_NS6detail17trampoline_kernelINS0_14default_configENS1_20scan_config_selectorI11FixedVectorIiLj1EEEEZZNS1_9scan_implILNS1_25lookback_scan_determinismE0ELb1ELb1ES3_N6thrust23THRUST_200600_302600_NS6detail15normal_iteratorINSB_10device_ptrIS6_EEEESG_S6_NSB_4plusIvEES6_EEDaPvRmT3_T4_T5_mT6_P12ihipStream_tbENKUlT_T0_E_clISt17integral_constantIbLb0EESW_EEDaSR_SS_EUlSR_E0_NS1_11comp_targetILNS1_3genE3ELNS1_11target_archE908ELNS1_3gpuE7ELNS1_3repE0EEENS1_30default_config_static_selectorELNS0_4arch9wavefront6targetE1EEEvT1_,comdat
	.protected	_ZN7rocprim17ROCPRIM_400000_NS6detail17trampoline_kernelINS0_14default_configENS1_20scan_config_selectorI11FixedVectorIiLj1EEEEZZNS1_9scan_implILNS1_25lookback_scan_determinismE0ELb1ELb1ES3_N6thrust23THRUST_200600_302600_NS6detail15normal_iteratorINSB_10device_ptrIS6_EEEESG_S6_NSB_4plusIvEES6_EEDaPvRmT3_T4_T5_mT6_P12ihipStream_tbENKUlT_T0_E_clISt17integral_constantIbLb0EESW_EEDaSR_SS_EUlSR_E0_NS1_11comp_targetILNS1_3genE3ELNS1_11target_archE908ELNS1_3gpuE7ELNS1_3repE0EEENS1_30default_config_static_selectorELNS0_4arch9wavefront6targetE1EEEvT1_ ; -- Begin function _ZN7rocprim17ROCPRIM_400000_NS6detail17trampoline_kernelINS0_14default_configENS1_20scan_config_selectorI11FixedVectorIiLj1EEEEZZNS1_9scan_implILNS1_25lookback_scan_determinismE0ELb1ELb1ES3_N6thrust23THRUST_200600_302600_NS6detail15normal_iteratorINSB_10device_ptrIS6_EEEESG_S6_NSB_4plusIvEES6_EEDaPvRmT3_T4_T5_mT6_P12ihipStream_tbENKUlT_T0_E_clISt17integral_constantIbLb0EESW_EEDaSR_SS_EUlSR_E0_NS1_11comp_targetILNS1_3genE3ELNS1_11target_archE908ELNS1_3gpuE7ELNS1_3repE0EEENS1_30default_config_static_selectorELNS0_4arch9wavefront6targetE1EEEvT1_
	.globl	_ZN7rocprim17ROCPRIM_400000_NS6detail17trampoline_kernelINS0_14default_configENS1_20scan_config_selectorI11FixedVectorIiLj1EEEEZZNS1_9scan_implILNS1_25lookback_scan_determinismE0ELb1ELb1ES3_N6thrust23THRUST_200600_302600_NS6detail15normal_iteratorINSB_10device_ptrIS6_EEEESG_S6_NSB_4plusIvEES6_EEDaPvRmT3_T4_T5_mT6_P12ihipStream_tbENKUlT_T0_E_clISt17integral_constantIbLb0EESW_EEDaSR_SS_EUlSR_E0_NS1_11comp_targetILNS1_3genE3ELNS1_11target_archE908ELNS1_3gpuE7ELNS1_3repE0EEENS1_30default_config_static_selectorELNS0_4arch9wavefront6targetE1EEEvT1_
	.p2align	8
	.type	_ZN7rocprim17ROCPRIM_400000_NS6detail17trampoline_kernelINS0_14default_configENS1_20scan_config_selectorI11FixedVectorIiLj1EEEEZZNS1_9scan_implILNS1_25lookback_scan_determinismE0ELb1ELb1ES3_N6thrust23THRUST_200600_302600_NS6detail15normal_iteratorINSB_10device_ptrIS6_EEEESG_S6_NSB_4plusIvEES6_EEDaPvRmT3_T4_T5_mT6_P12ihipStream_tbENKUlT_T0_E_clISt17integral_constantIbLb0EESW_EEDaSR_SS_EUlSR_E0_NS1_11comp_targetILNS1_3genE3ELNS1_11target_archE908ELNS1_3gpuE7ELNS1_3repE0EEENS1_30default_config_static_selectorELNS0_4arch9wavefront6targetE1EEEvT1_,@function
_ZN7rocprim17ROCPRIM_400000_NS6detail17trampoline_kernelINS0_14default_configENS1_20scan_config_selectorI11FixedVectorIiLj1EEEEZZNS1_9scan_implILNS1_25lookback_scan_determinismE0ELb1ELb1ES3_N6thrust23THRUST_200600_302600_NS6detail15normal_iteratorINSB_10device_ptrIS6_EEEESG_S6_NSB_4plusIvEES6_EEDaPvRmT3_T4_T5_mT6_P12ihipStream_tbENKUlT_T0_E_clISt17integral_constantIbLb0EESW_EEDaSR_SS_EUlSR_E0_NS1_11comp_targetILNS1_3genE3ELNS1_11target_archE908ELNS1_3gpuE7ELNS1_3repE0EEENS1_30default_config_static_selectorELNS0_4arch9wavefront6targetE1EEEvT1_: ; @_ZN7rocprim17ROCPRIM_400000_NS6detail17trampoline_kernelINS0_14default_configENS1_20scan_config_selectorI11FixedVectorIiLj1EEEEZZNS1_9scan_implILNS1_25lookback_scan_determinismE0ELb1ELb1ES3_N6thrust23THRUST_200600_302600_NS6detail15normal_iteratorINSB_10device_ptrIS6_EEEESG_S6_NSB_4plusIvEES6_EEDaPvRmT3_T4_T5_mT6_P12ihipStream_tbENKUlT_T0_E_clISt17integral_constantIbLb0EESW_EEDaSR_SS_EUlSR_E0_NS1_11comp_targetILNS1_3genE3ELNS1_11target_archE908ELNS1_3gpuE7ELNS1_3repE0EEENS1_30default_config_static_selectorELNS0_4arch9wavefront6targetE1EEEvT1_
; %bb.0:
	.section	.rodata,"a",@progbits
	.p2align	6, 0x0
	.amdhsa_kernel _ZN7rocprim17ROCPRIM_400000_NS6detail17trampoline_kernelINS0_14default_configENS1_20scan_config_selectorI11FixedVectorIiLj1EEEEZZNS1_9scan_implILNS1_25lookback_scan_determinismE0ELb1ELb1ES3_N6thrust23THRUST_200600_302600_NS6detail15normal_iteratorINSB_10device_ptrIS6_EEEESG_S6_NSB_4plusIvEES6_EEDaPvRmT3_T4_T5_mT6_P12ihipStream_tbENKUlT_T0_E_clISt17integral_constantIbLb0EESW_EEDaSR_SS_EUlSR_E0_NS1_11comp_targetILNS1_3genE3ELNS1_11target_archE908ELNS1_3gpuE7ELNS1_3repE0EEENS1_30default_config_static_selectorELNS0_4arch9wavefront6targetE1EEEvT1_
		.amdhsa_group_segment_fixed_size 0
		.amdhsa_private_segment_fixed_size 0
		.amdhsa_kernarg_size 32
		.amdhsa_user_sgpr_count 6
		.amdhsa_user_sgpr_private_segment_buffer 1
		.amdhsa_user_sgpr_dispatch_ptr 0
		.amdhsa_user_sgpr_queue_ptr 0
		.amdhsa_user_sgpr_kernarg_segment_ptr 1
		.amdhsa_user_sgpr_dispatch_id 0
		.amdhsa_user_sgpr_flat_scratch_init 0
		.amdhsa_user_sgpr_kernarg_preload_length 0
		.amdhsa_user_sgpr_kernarg_preload_offset 0
		.amdhsa_user_sgpr_private_segment_size 0
		.amdhsa_uses_dynamic_stack 0
		.amdhsa_system_sgpr_private_segment_wavefront_offset 0
		.amdhsa_system_sgpr_workgroup_id_x 1
		.amdhsa_system_sgpr_workgroup_id_y 0
		.amdhsa_system_sgpr_workgroup_id_z 0
		.amdhsa_system_sgpr_workgroup_info 0
		.amdhsa_system_vgpr_workitem_id 0
		.amdhsa_next_free_vgpr 1
		.amdhsa_next_free_sgpr 0
		.amdhsa_accum_offset 4
		.amdhsa_reserve_vcc 0
		.amdhsa_reserve_flat_scratch 0
		.amdhsa_float_round_mode_32 0
		.amdhsa_float_round_mode_16_64 0
		.amdhsa_float_denorm_mode_32 3
		.amdhsa_float_denorm_mode_16_64 3
		.amdhsa_dx10_clamp 1
		.amdhsa_ieee_mode 1
		.amdhsa_fp16_overflow 0
		.amdhsa_tg_split 0
		.amdhsa_exception_fp_ieee_invalid_op 0
		.amdhsa_exception_fp_denorm_src 0
		.amdhsa_exception_fp_ieee_div_zero 0
		.amdhsa_exception_fp_ieee_overflow 0
		.amdhsa_exception_fp_ieee_underflow 0
		.amdhsa_exception_fp_ieee_inexact 0
		.amdhsa_exception_int_div_zero 0
	.end_amdhsa_kernel
	.section	.text._ZN7rocprim17ROCPRIM_400000_NS6detail17trampoline_kernelINS0_14default_configENS1_20scan_config_selectorI11FixedVectorIiLj1EEEEZZNS1_9scan_implILNS1_25lookback_scan_determinismE0ELb1ELb1ES3_N6thrust23THRUST_200600_302600_NS6detail15normal_iteratorINSB_10device_ptrIS6_EEEESG_S6_NSB_4plusIvEES6_EEDaPvRmT3_T4_T5_mT6_P12ihipStream_tbENKUlT_T0_E_clISt17integral_constantIbLb0EESW_EEDaSR_SS_EUlSR_E0_NS1_11comp_targetILNS1_3genE3ELNS1_11target_archE908ELNS1_3gpuE7ELNS1_3repE0EEENS1_30default_config_static_selectorELNS0_4arch9wavefront6targetE1EEEvT1_,"axG",@progbits,_ZN7rocprim17ROCPRIM_400000_NS6detail17trampoline_kernelINS0_14default_configENS1_20scan_config_selectorI11FixedVectorIiLj1EEEEZZNS1_9scan_implILNS1_25lookback_scan_determinismE0ELb1ELb1ES3_N6thrust23THRUST_200600_302600_NS6detail15normal_iteratorINSB_10device_ptrIS6_EEEESG_S6_NSB_4plusIvEES6_EEDaPvRmT3_T4_T5_mT6_P12ihipStream_tbENKUlT_T0_E_clISt17integral_constantIbLb0EESW_EEDaSR_SS_EUlSR_E0_NS1_11comp_targetILNS1_3genE3ELNS1_11target_archE908ELNS1_3gpuE7ELNS1_3repE0EEENS1_30default_config_static_selectorELNS0_4arch9wavefront6targetE1EEEvT1_,comdat
.Lfunc_end6474:
	.size	_ZN7rocprim17ROCPRIM_400000_NS6detail17trampoline_kernelINS0_14default_configENS1_20scan_config_selectorI11FixedVectorIiLj1EEEEZZNS1_9scan_implILNS1_25lookback_scan_determinismE0ELb1ELb1ES3_N6thrust23THRUST_200600_302600_NS6detail15normal_iteratorINSB_10device_ptrIS6_EEEESG_S6_NSB_4plusIvEES6_EEDaPvRmT3_T4_T5_mT6_P12ihipStream_tbENKUlT_T0_E_clISt17integral_constantIbLb0EESW_EEDaSR_SS_EUlSR_E0_NS1_11comp_targetILNS1_3genE3ELNS1_11target_archE908ELNS1_3gpuE7ELNS1_3repE0EEENS1_30default_config_static_selectorELNS0_4arch9wavefront6targetE1EEEvT1_, .Lfunc_end6474-_ZN7rocprim17ROCPRIM_400000_NS6detail17trampoline_kernelINS0_14default_configENS1_20scan_config_selectorI11FixedVectorIiLj1EEEEZZNS1_9scan_implILNS1_25lookback_scan_determinismE0ELb1ELb1ES3_N6thrust23THRUST_200600_302600_NS6detail15normal_iteratorINSB_10device_ptrIS6_EEEESG_S6_NSB_4plusIvEES6_EEDaPvRmT3_T4_T5_mT6_P12ihipStream_tbENKUlT_T0_E_clISt17integral_constantIbLb0EESW_EEDaSR_SS_EUlSR_E0_NS1_11comp_targetILNS1_3genE3ELNS1_11target_archE908ELNS1_3gpuE7ELNS1_3repE0EEENS1_30default_config_static_selectorELNS0_4arch9wavefront6targetE1EEEvT1_
                                        ; -- End function
	.section	.AMDGPU.csdata,"",@progbits
; Kernel info:
; codeLenInByte = 0
; NumSgprs: 4
; NumVgprs: 0
; NumAgprs: 0
; TotalNumVgprs: 0
; ScratchSize: 0
; MemoryBound: 0
; FloatMode: 240
; IeeeMode: 1
; LDSByteSize: 0 bytes/workgroup (compile time only)
; SGPRBlocks: 0
; VGPRBlocks: 0
; NumSGPRsForWavesPerEU: 4
; NumVGPRsForWavesPerEU: 1
; AccumOffset: 4
; Occupancy: 8
; WaveLimiterHint : 0
; COMPUTE_PGM_RSRC2:SCRATCH_EN: 0
; COMPUTE_PGM_RSRC2:USER_SGPR: 6
; COMPUTE_PGM_RSRC2:TRAP_HANDLER: 0
; COMPUTE_PGM_RSRC2:TGID_X_EN: 1
; COMPUTE_PGM_RSRC2:TGID_Y_EN: 0
; COMPUTE_PGM_RSRC2:TGID_Z_EN: 0
; COMPUTE_PGM_RSRC2:TIDIG_COMP_CNT: 0
; COMPUTE_PGM_RSRC3_GFX90A:ACCUM_OFFSET: 0
; COMPUTE_PGM_RSRC3_GFX90A:TG_SPLIT: 0
	.section	.text._ZN7rocprim17ROCPRIM_400000_NS6detail17trampoline_kernelINS0_14default_configENS1_20scan_config_selectorI11FixedVectorIiLj1EEEEZZNS1_9scan_implILNS1_25lookback_scan_determinismE0ELb1ELb1ES3_N6thrust23THRUST_200600_302600_NS6detail15normal_iteratorINSB_10device_ptrIS6_EEEESG_S6_NSB_4plusIvEES6_EEDaPvRmT3_T4_T5_mT6_P12ihipStream_tbENKUlT_T0_E_clISt17integral_constantIbLb0EESW_EEDaSR_SS_EUlSR_E0_NS1_11comp_targetILNS1_3genE2ELNS1_11target_archE906ELNS1_3gpuE6ELNS1_3repE0EEENS1_30default_config_static_selectorELNS0_4arch9wavefront6targetE1EEEvT1_,"axG",@progbits,_ZN7rocprim17ROCPRIM_400000_NS6detail17trampoline_kernelINS0_14default_configENS1_20scan_config_selectorI11FixedVectorIiLj1EEEEZZNS1_9scan_implILNS1_25lookback_scan_determinismE0ELb1ELb1ES3_N6thrust23THRUST_200600_302600_NS6detail15normal_iteratorINSB_10device_ptrIS6_EEEESG_S6_NSB_4plusIvEES6_EEDaPvRmT3_T4_T5_mT6_P12ihipStream_tbENKUlT_T0_E_clISt17integral_constantIbLb0EESW_EEDaSR_SS_EUlSR_E0_NS1_11comp_targetILNS1_3genE2ELNS1_11target_archE906ELNS1_3gpuE6ELNS1_3repE0EEENS1_30default_config_static_selectorELNS0_4arch9wavefront6targetE1EEEvT1_,comdat
	.protected	_ZN7rocprim17ROCPRIM_400000_NS6detail17trampoline_kernelINS0_14default_configENS1_20scan_config_selectorI11FixedVectorIiLj1EEEEZZNS1_9scan_implILNS1_25lookback_scan_determinismE0ELb1ELb1ES3_N6thrust23THRUST_200600_302600_NS6detail15normal_iteratorINSB_10device_ptrIS6_EEEESG_S6_NSB_4plusIvEES6_EEDaPvRmT3_T4_T5_mT6_P12ihipStream_tbENKUlT_T0_E_clISt17integral_constantIbLb0EESW_EEDaSR_SS_EUlSR_E0_NS1_11comp_targetILNS1_3genE2ELNS1_11target_archE906ELNS1_3gpuE6ELNS1_3repE0EEENS1_30default_config_static_selectorELNS0_4arch9wavefront6targetE1EEEvT1_ ; -- Begin function _ZN7rocprim17ROCPRIM_400000_NS6detail17trampoline_kernelINS0_14default_configENS1_20scan_config_selectorI11FixedVectorIiLj1EEEEZZNS1_9scan_implILNS1_25lookback_scan_determinismE0ELb1ELb1ES3_N6thrust23THRUST_200600_302600_NS6detail15normal_iteratorINSB_10device_ptrIS6_EEEESG_S6_NSB_4plusIvEES6_EEDaPvRmT3_T4_T5_mT6_P12ihipStream_tbENKUlT_T0_E_clISt17integral_constantIbLb0EESW_EEDaSR_SS_EUlSR_E0_NS1_11comp_targetILNS1_3genE2ELNS1_11target_archE906ELNS1_3gpuE6ELNS1_3repE0EEENS1_30default_config_static_selectorELNS0_4arch9wavefront6targetE1EEEvT1_
	.globl	_ZN7rocprim17ROCPRIM_400000_NS6detail17trampoline_kernelINS0_14default_configENS1_20scan_config_selectorI11FixedVectorIiLj1EEEEZZNS1_9scan_implILNS1_25lookback_scan_determinismE0ELb1ELb1ES3_N6thrust23THRUST_200600_302600_NS6detail15normal_iteratorINSB_10device_ptrIS6_EEEESG_S6_NSB_4plusIvEES6_EEDaPvRmT3_T4_T5_mT6_P12ihipStream_tbENKUlT_T0_E_clISt17integral_constantIbLb0EESW_EEDaSR_SS_EUlSR_E0_NS1_11comp_targetILNS1_3genE2ELNS1_11target_archE906ELNS1_3gpuE6ELNS1_3repE0EEENS1_30default_config_static_selectorELNS0_4arch9wavefront6targetE1EEEvT1_
	.p2align	8
	.type	_ZN7rocprim17ROCPRIM_400000_NS6detail17trampoline_kernelINS0_14default_configENS1_20scan_config_selectorI11FixedVectorIiLj1EEEEZZNS1_9scan_implILNS1_25lookback_scan_determinismE0ELb1ELb1ES3_N6thrust23THRUST_200600_302600_NS6detail15normal_iteratorINSB_10device_ptrIS6_EEEESG_S6_NSB_4plusIvEES6_EEDaPvRmT3_T4_T5_mT6_P12ihipStream_tbENKUlT_T0_E_clISt17integral_constantIbLb0EESW_EEDaSR_SS_EUlSR_E0_NS1_11comp_targetILNS1_3genE2ELNS1_11target_archE906ELNS1_3gpuE6ELNS1_3repE0EEENS1_30default_config_static_selectorELNS0_4arch9wavefront6targetE1EEEvT1_,@function
_ZN7rocprim17ROCPRIM_400000_NS6detail17trampoline_kernelINS0_14default_configENS1_20scan_config_selectorI11FixedVectorIiLj1EEEEZZNS1_9scan_implILNS1_25lookback_scan_determinismE0ELb1ELb1ES3_N6thrust23THRUST_200600_302600_NS6detail15normal_iteratorINSB_10device_ptrIS6_EEEESG_S6_NSB_4plusIvEES6_EEDaPvRmT3_T4_T5_mT6_P12ihipStream_tbENKUlT_T0_E_clISt17integral_constantIbLb0EESW_EEDaSR_SS_EUlSR_E0_NS1_11comp_targetILNS1_3genE2ELNS1_11target_archE906ELNS1_3gpuE6ELNS1_3repE0EEENS1_30default_config_static_selectorELNS0_4arch9wavefront6targetE1EEEvT1_: ; @_ZN7rocprim17ROCPRIM_400000_NS6detail17trampoline_kernelINS0_14default_configENS1_20scan_config_selectorI11FixedVectorIiLj1EEEEZZNS1_9scan_implILNS1_25lookback_scan_determinismE0ELb1ELb1ES3_N6thrust23THRUST_200600_302600_NS6detail15normal_iteratorINSB_10device_ptrIS6_EEEESG_S6_NSB_4plusIvEES6_EEDaPvRmT3_T4_T5_mT6_P12ihipStream_tbENKUlT_T0_E_clISt17integral_constantIbLb0EESW_EEDaSR_SS_EUlSR_E0_NS1_11comp_targetILNS1_3genE2ELNS1_11target_archE906ELNS1_3gpuE6ELNS1_3repE0EEENS1_30default_config_static_selectorELNS0_4arch9wavefront6targetE1EEEvT1_
; %bb.0:
	.section	.rodata,"a",@progbits
	.p2align	6, 0x0
	.amdhsa_kernel _ZN7rocprim17ROCPRIM_400000_NS6detail17trampoline_kernelINS0_14default_configENS1_20scan_config_selectorI11FixedVectorIiLj1EEEEZZNS1_9scan_implILNS1_25lookback_scan_determinismE0ELb1ELb1ES3_N6thrust23THRUST_200600_302600_NS6detail15normal_iteratorINSB_10device_ptrIS6_EEEESG_S6_NSB_4plusIvEES6_EEDaPvRmT3_T4_T5_mT6_P12ihipStream_tbENKUlT_T0_E_clISt17integral_constantIbLb0EESW_EEDaSR_SS_EUlSR_E0_NS1_11comp_targetILNS1_3genE2ELNS1_11target_archE906ELNS1_3gpuE6ELNS1_3repE0EEENS1_30default_config_static_selectorELNS0_4arch9wavefront6targetE1EEEvT1_
		.amdhsa_group_segment_fixed_size 0
		.amdhsa_private_segment_fixed_size 0
		.amdhsa_kernarg_size 32
		.amdhsa_user_sgpr_count 6
		.amdhsa_user_sgpr_private_segment_buffer 1
		.amdhsa_user_sgpr_dispatch_ptr 0
		.amdhsa_user_sgpr_queue_ptr 0
		.amdhsa_user_sgpr_kernarg_segment_ptr 1
		.amdhsa_user_sgpr_dispatch_id 0
		.amdhsa_user_sgpr_flat_scratch_init 0
		.amdhsa_user_sgpr_kernarg_preload_length 0
		.amdhsa_user_sgpr_kernarg_preload_offset 0
		.amdhsa_user_sgpr_private_segment_size 0
		.amdhsa_uses_dynamic_stack 0
		.amdhsa_system_sgpr_private_segment_wavefront_offset 0
		.amdhsa_system_sgpr_workgroup_id_x 1
		.amdhsa_system_sgpr_workgroup_id_y 0
		.amdhsa_system_sgpr_workgroup_id_z 0
		.amdhsa_system_sgpr_workgroup_info 0
		.amdhsa_system_vgpr_workitem_id 0
		.amdhsa_next_free_vgpr 1
		.amdhsa_next_free_sgpr 0
		.amdhsa_accum_offset 4
		.amdhsa_reserve_vcc 0
		.amdhsa_reserve_flat_scratch 0
		.amdhsa_float_round_mode_32 0
		.amdhsa_float_round_mode_16_64 0
		.amdhsa_float_denorm_mode_32 3
		.amdhsa_float_denorm_mode_16_64 3
		.amdhsa_dx10_clamp 1
		.amdhsa_ieee_mode 1
		.amdhsa_fp16_overflow 0
		.amdhsa_tg_split 0
		.amdhsa_exception_fp_ieee_invalid_op 0
		.amdhsa_exception_fp_denorm_src 0
		.amdhsa_exception_fp_ieee_div_zero 0
		.amdhsa_exception_fp_ieee_overflow 0
		.amdhsa_exception_fp_ieee_underflow 0
		.amdhsa_exception_fp_ieee_inexact 0
		.amdhsa_exception_int_div_zero 0
	.end_amdhsa_kernel
	.section	.text._ZN7rocprim17ROCPRIM_400000_NS6detail17trampoline_kernelINS0_14default_configENS1_20scan_config_selectorI11FixedVectorIiLj1EEEEZZNS1_9scan_implILNS1_25lookback_scan_determinismE0ELb1ELb1ES3_N6thrust23THRUST_200600_302600_NS6detail15normal_iteratorINSB_10device_ptrIS6_EEEESG_S6_NSB_4plusIvEES6_EEDaPvRmT3_T4_T5_mT6_P12ihipStream_tbENKUlT_T0_E_clISt17integral_constantIbLb0EESW_EEDaSR_SS_EUlSR_E0_NS1_11comp_targetILNS1_3genE2ELNS1_11target_archE906ELNS1_3gpuE6ELNS1_3repE0EEENS1_30default_config_static_selectorELNS0_4arch9wavefront6targetE1EEEvT1_,"axG",@progbits,_ZN7rocprim17ROCPRIM_400000_NS6detail17trampoline_kernelINS0_14default_configENS1_20scan_config_selectorI11FixedVectorIiLj1EEEEZZNS1_9scan_implILNS1_25lookback_scan_determinismE0ELb1ELb1ES3_N6thrust23THRUST_200600_302600_NS6detail15normal_iteratorINSB_10device_ptrIS6_EEEESG_S6_NSB_4plusIvEES6_EEDaPvRmT3_T4_T5_mT6_P12ihipStream_tbENKUlT_T0_E_clISt17integral_constantIbLb0EESW_EEDaSR_SS_EUlSR_E0_NS1_11comp_targetILNS1_3genE2ELNS1_11target_archE906ELNS1_3gpuE6ELNS1_3repE0EEENS1_30default_config_static_selectorELNS0_4arch9wavefront6targetE1EEEvT1_,comdat
.Lfunc_end6475:
	.size	_ZN7rocprim17ROCPRIM_400000_NS6detail17trampoline_kernelINS0_14default_configENS1_20scan_config_selectorI11FixedVectorIiLj1EEEEZZNS1_9scan_implILNS1_25lookback_scan_determinismE0ELb1ELb1ES3_N6thrust23THRUST_200600_302600_NS6detail15normal_iteratorINSB_10device_ptrIS6_EEEESG_S6_NSB_4plusIvEES6_EEDaPvRmT3_T4_T5_mT6_P12ihipStream_tbENKUlT_T0_E_clISt17integral_constantIbLb0EESW_EEDaSR_SS_EUlSR_E0_NS1_11comp_targetILNS1_3genE2ELNS1_11target_archE906ELNS1_3gpuE6ELNS1_3repE0EEENS1_30default_config_static_selectorELNS0_4arch9wavefront6targetE1EEEvT1_, .Lfunc_end6475-_ZN7rocprim17ROCPRIM_400000_NS6detail17trampoline_kernelINS0_14default_configENS1_20scan_config_selectorI11FixedVectorIiLj1EEEEZZNS1_9scan_implILNS1_25lookback_scan_determinismE0ELb1ELb1ES3_N6thrust23THRUST_200600_302600_NS6detail15normal_iteratorINSB_10device_ptrIS6_EEEESG_S6_NSB_4plusIvEES6_EEDaPvRmT3_T4_T5_mT6_P12ihipStream_tbENKUlT_T0_E_clISt17integral_constantIbLb0EESW_EEDaSR_SS_EUlSR_E0_NS1_11comp_targetILNS1_3genE2ELNS1_11target_archE906ELNS1_3gpuE6ELNS1_3repE0EEENS1_30default_config_static_selectorELNS0_4arch9wavefront6targetE1EEEvT1_
                                        ; -- End function
	.section	.AMDGPU.csdata,"",@progbits
; Kernel info:
; codeLenInByte = 0
; NumSgprs: 4
; NumVgprs: 0
; NumAgprs: 0
; TotalNumVgprs: 0
; ScratchSize: 0
; MemoryBound: 0
; FloatMode: 240
; IeeeMode: 1
; LDSByteSize: 0 bytes/workgroup (compile time only)
; SGPRBlocks: 0
; VGPRBlocks: 0
; NumSGPRsForWavesPerEU: 4
; NumVGPRsForWavesPerEU: 1
; AccumOffset: 4
; Occupancy: 8
; WaveLimiterHint : 0
; COMPUTE_PGM_RSRC2:SCRATCH_EN: 0
; COMPUTE_PGM_RSRC2:USER_SGPR: 6
; COMPUTE_PGM_RSRC2:TRAP_HANDLER: 0
; COMPUTE_PGM_RSRC2:TGID_X_EN: 1
; COMPUTE_PGM_RSRC2:TGID_Y_EN: 0
; COMPUTE_PGM_RSRC2:TGID_Z_EN: 0
; COMPUTE_PGM_RSRC2:TIDIG_COMP_CNT: 0
; COMPUTE_PGM_RSRC3_GFX90A:ACCUM_OFFSET: 0
; COMPUTE_PGM_RSRC3_GFX90A:TG_SPLIT: 0
	.section	.text._ZN7rocprim17ROCPRIM_400000_NS6detail17trampoline_kernelINS0_14default_configENS1_20scan_config_selectorI11FixedVectorIiLj1EEEEZZNS1_9scan_implILNS1_25lookback_scan_determinismE0ELb1ELb1ES3_N6thrust23THRUST_200600_302600_NS6detail15normal_iteratorINSB_10device_ptrIS6_EEEESG_S6_NSB_4plusIvEES6_EEDaPvRmT3_T4_T5_mT6_P12ihipStream_tbENKUlT_T0_E_clISt17integral_constantIbLb0EESW_EEDaSR_SS_EUlSR_E0_NS1_11comp_targetILNS1_3genE10ELNS1_11target_archE1201ELNS1_3gpuE5ELNS1_3repE0EEENS1_30default_config_static_selectorELNS0_4arch9wavefront6targetE1EEEvT1_,"axG",@progbits,_ZN7rocprim17ROCPRIM_400000_NS6detail17trampoline_kernelINS0_14default_configENS1_20scan_config_selectorI11FixedVectorIiLj1EEEEZZNS1_9scan_implILNS1_25lookback_scan_determinismE0ELb1ELb1ES3_N6thrust23THRUST_200600_302600_NS6detail15normal_iteratorINSB_10device_ptrIS6_EEEESG_S6_NSB_4plusIvEES6_EEDaPvRmT3_T4_T5_mT6_P12ihipStream_tbENKUlT_T0_E_clISt17integral_constantIbLb0EESW_EEDaSR_SS_EUlSR_E0_NS1_11comp_targetILNS1_3genE10ELNS1_11target_archE1201ELNS1_3gpuE5ELNS1_3repE0EEENS1_30default_config_static_selectorELNS0_4arch9wavefront6targetE1EEEvT1_,comdat
	.protected	_ZN7rocprim17ROCPRIM_400000_NS6detail17trampoline_kernelINS0_14default_configENS1_20scan_config_selectorI11FixedVectorIiLj1EEEEZZNS1_9scan_implILNS1_25lookback_scan_determinismE0ELb1ELb1ES3_N6thrust23THRUST_200600_302600_NS6detail15normal_iteratorINSB_10device_ptrIS6_EEEESG_S6_NSB_4plusIvEES6_EEDaPvRmT3_T4_T5_mT6_P12ihipStream_tbENKUlT_T0_E_clISt17integral_constantIbLb0EESW_EEDaSR_SS_EUlSR_E0_NS1_11comp_targetILNS1_3genE10ELNS1_11target_archE1201ELNS1_3gpuE5ELNS1_3repE0EEENS1_30default_config_static_selectorELNS0_4arch9wavefront6targetE1EEEvT1_ ; -- Begin function _ZN7rocprim17ROCPRIM_400000_NS6detail17trampoline_kernelINS0_14default_configENS1_20scan_config_selectorI11FixedVectorIiLj1EEEEZZNS1_9scan_implILNS1_25lookback_scan_determinismE0ELb1ELb1ES3_N6thrust23THRUST_200600_302600_NS6detail15normal_iteratorINSB_10device_ptrIS6_EEEESG_S6_NSB_4plusIvEES6_EEDaPvRmT3_T4_T5_mT6_P12ihipStream_tbENKUlT_T0_E_clISt17integral_constantIbLb0EESW_EEDaSR_SS_EUlSR_E0_NS1_11comp_targetILNS1_3genE10ELNS1_11target_archE1201ELNS1_3gpuE5ELNS1_3repE0EEENS1_30default_config_static_selectorELNS0_4arch9wavefront6targetE1EEEvT1_
	.globl	_ZN7rocprim17ROCPRIM_400000_NS6detail17trampoline_kernelINS0_14default_configENS1_20scan_config_selectorI11FixedVectorIiLj1EEEEZZNS1_9scan_implILNS1_25lookback_scan_determinismE0ELb1ELb1ES3_N6thrust23THRUST_200600_302600_NS6detail15normal_iteratorINSB_10device_ptrIS6_EEEESG_S6_NSB_4plusIvEES6_EEDaPvRmT3_T4_T5_mT6_P12ihipStream_tbENKUlT_T0_E_clISt17integral_constantIbLb0EESW_EEDaSR_SS_EUlSR_E0_NS1_11comp_targetILNS1_3genE10ELNS1_11target_archE1201ELNS1_3gpuE5ELNS1_3repE0EEENS1_30default_config_static_selectorELNS0_4arch9wavefront6targetE1EEEvT1_
	.p2align	8
	.type	_ZN7rocprim17ROCPRIM_400000_NS6detail17trampoline_kernelINS0_14default_configENS1_20scan_config_selectorI11FixedVectorIiLj1EEEEZZNS1_9scan_implILNS1_25lookback_scan_determinismE0ELb1ELb1ES3_N6thrust23THRUST_200600_302600_NS6detail15normal_iteratorINSB_10device_ptrIS6_EEEESG_S6_NSB_4plusIvEES6_EEDaPvRmT3_T4_T5_mT6_P12ihipStream_tbENKUlT_T0_E_clISt17integral_constantIbLb0EESW_EEDaSR_SS_EUlSR_E0_NS1_11comp_targetILNS1_3genE10ELNS1_11target_archE1201ELNS1_3gpuE5ELNS1_3repE0EEENS1_30default_config_static_selectorELNS0_4arch9wavefront6targetE1EEEvT1_,@function
_ZN7rocprim17ROCPRIM_400000_NS6detail17trampoline_kernelINS0_14default_configENS1_20scan_config_selectorI11FixedVectorIiLj1EEEEZZNS1_9scan_implILNS1_25lookback_scan_determinismE0ELb1ELb1ES3_N6thrust23THRUST_200600_302600_NS6detail15normal_iteratorINSB_10device_ptrIS6_EEEESG_S6_NSB_4plusIvEES6_EEDaPvRmT3_T4_T5_mT6_P12ihipStream_tbENKUlT_T0_E_clISt17integral_constantIbLb0EESW_EEDaSR_SS_EUlSR_E0_NS1_11comp_targetILNS1_3genE10ELNS1_11target_archE1201ELNS1_3gpuE5ELNS1_3repE0EEENS1_30default_config_static_selectorELNS0_4arch9wavefront6targetE1EEEvT1_: ; @_ZN7rocprim17ROCPRIM_400000_NS6detail17trampoline_kernelINS0_14default_configENS1_20scan_config_selectorI11FixedVectorIiLj1EEEEZZNS1_9scan_implILNS1_25lookback_scan_determinismE0ELb1ELb1ES3_N6thrust23THRUST_200600_302600_NS6detail15normal_iteratorINSB_10device_ptrIS6_EEEESG_S6_NSB_4plusIvEES6_EEDaPvRmT3_T4_T5_mT6_P12ihipStream_tbENKUlT_T0_E_clISt17integral_constantIbLb0EESW_EEDaSR_SS_EUlSR_E0_NS1_11comp_targetILNS1_3genE10ELNS1_11target_archE1201ELNS1_3gpuE5ELNS1_3repE0EEENS1_30default_config_static_selectorELNS0_4arch9wavefront6targetE1EEEvT1_
; %bb.0:
	.section	.rodata,"a",@progbits
	.p2align	6, 0x0
	.amdhsa_kernel _ZN7rocprim17ROCPRIM_400000_NS6detail17trampoline_kernelINS0_14default_configENS1_20scan_config_selectorI11FixedVectorIiLj1EEEEZZNS1_9scan_implILNS1_25lookback_scan_determinismE0ELb1ELb1ES3_N6thrust23THRUST_200600_302600_NS6detail15normal_iteratorINSB_10device_ptrIS6_EEEESG_S6_NSB_4plusIvEES6_EEDaPvRmT3_T4_T5_mT6_P12ihipStream_tbENKUlT_T0_E_clISt17integral_constantIbLb0EESW_EEDaSR_SS_EUlSR_E0_NS1_11comp_targetILNS1_3genE10ELNS1_11target_archE1201ELNS1_3gpuE5ELNS1_3repE0EEENS1_30default_config_static_selectorELNS0_4arch9wavefront6targetE1EEEvT1_
		.amdhsa_group_segment_fixed_size 0
		.amdhsa_private_segment_fixed_size 0
		.amdhsa_kernarg_size 32
		.amdhsa_user_sgpr_count 6
		.amdhsa_user_sgpr_private_segment_buffer 1
		.amdhsa_user_sgpr_dispatch_ptr 0
		.amdhsa_user_sgpr_queue_ptr 0
		.amdhsa_user_sgpr_kernarg_segment_ptr 1
		.amdhsa_user_sgpr_dispatch_id 0
		.amdhsa_user_sgpr_flat_scratch_init 0
		.amdhsa_user_sgpr_kernarg_preload_length 0
		.amdhsa_user_sgpr_kernarg_preload_offset 0
		.amdhsa_user_sgpr_private_segment_size 0
		.amdhsa_uses_dynamic_stack 0
		.amdhsa_system_sgpr_private_segment_wavefront_offset 0
		.amdhsa_system_sgpr_workgroup_id_x 1
		.amdhsa_system_sgpr_workgroup_id_y 0
		.amdhsa_system_sgpr_workgroup_id_z 0
		.amdhsa_system_sgpr_workgroup_info 0
		.amdhsa_system_vgpr_workitem_id 0
		.amdhsa_next_free_vgpr 1
		.amdhsa_next_free_sgpr 0
		.amdhsa_accum_offset 4
		.amdhsa_reserve_vcc 0
		.amdhsa_reserve_flat_scratch 0
		.amdhsa_float_round_mode_32 0
		.amdhsa_float_round_mode_16_64 0
		.amdhsa_float_denorm_mode_32 3
		.amdhsa_float_denorm_mode_16_64 3
		.amdhsa_dx10_clamp 1
		.amdhsa_ieee_mode 1
		.amdhsa_fp16_overflow 0
		.amdhsa_tg_split 0
		.amdhsa_exception_fp_ieee_invalid_op 0
		.amdhsa_exception_fp_denorm_src 0
		.amdhsa_exception_fp_ieee_div_zero 0
		.amdhsa_exception_fp_ieee_overflow 0
		.amdhsa_exception_fp_ieee_underflow 0
		.amdhsa_exception_fp_ieee_inexact 0
		.amdhsa_exception_int_div_zero 0
	.end_amdhsa_kernel
	.section	.text._ZN7rocprim17ROCPRIM_400000_NS6detail17trampoline_kernelINS0_14default_configENS1_20scan_config_selectorI11FixedVectorIiLj1EEEEZZNS1_9scan_implILNS1_25lookback_scan_determinismE0ELb1ELb1ES3_N6thrust23THRUST_200600_302600_NS6detail15normal_iteratorINSB_10device_ptrIS6_EEEESG_S6_NSB_4plusIvEES6_EEDaPvRmT3_T4_T5_mT6_P12ihipStream_tbENKUlT_T0_E_clISt17integral_constantIbLb0EESW_EEDaSR_SS_EUlSR_E0_NS1_11comp_targetILNS1_3genE10ELNS1_11target_archE1201ELNS1_3gpuE5ELNS1_3repE0EEENS1_30default_config_static_selectorELNS0_4arch9wavefront6targetE1EEEvT1_,"axG",@progbits,_ZN7rocprim17ROCPRIM_400000_NS6detail17trampoline_kernelINS0_14default_configENS1_20scan_config_selectorI11FixedVectorIiLj1EEEEZZNS1_9scan_implILNS1_25lookback_scan_determinismE0ELb1ELb1ES3_N6thrust23THRUST_200600_302600_NS6detail15normal_iteratorINSB_10device_ptrIS6_EEEESG_S6_NSB_4plusIvEES6_EEDaPvRmT3_T4_T5_mT6_P12ihipStream_tbENKUlT_T0_E_clISt17integral_constantIbLb0EESW_EEDaSR_SS_EUlSR_E0_NS1_11comp_targetILNS1_3genE10ELNS1_11target_archE1201ELNS1_3gpuE5ELNS1_3repE0EEENS1_30default_config_static_selectorELNS0_4arch9wavefront6targetE1EEEvT1_,comdat
.Lfunc_end6476:
	.size	_ZN7rocprim17ROCPRIM_400000_NS6detail17trampoline_kernelINS0_14default_configENS1_20scan_config_selectorI11FixedVectorIiLj1EEEEZZNS1_9scan_implILNS1_25lookback_scan_determinismE0ELb1ELb1ES3_N6thrust23THRUST_200600_302600_NS6detail15normal_iteratorINSB_10device_ptrIS6_EEEESG_S6_NSB_4plusIvEES6_EEDaPvRmT3_T4_T5_mT6_P12ihipStream_tbENKUlT_T0_E_clISt17integral_constantIbLb0EESW_EEDaSR_SS_EUlSR_E0_NS1_11comp_targetILNS1_3genE10ELNS1_11target_archE1201ELNS1_3gpuE5ELNS1_3repE0EEENS1_30default_config_static_selectorELNS0_4arch9wavefront6targetE1EEEvT1_, .Lfunc_end6476-_ZN7rocprim17ROCPRIM_400000_NS6detail17trampoline_kernelINS0_14default_configENS1_20scan_config_selectorI11FixedVectorIiLj1EEEEZZNS1_9scan_implILNS1_25lookback_scan_determinismE0ELb1ELb1ES3_N6thrust23THRUST_200600_302600_NS6detail15normal_iteratorINSB_10device_ptrIS6_EEEESG_S6_NSB_4plusIvEES6_EEDaPvRmT3_T4_T5_mT6_P12ihipStream_tbENKUlT_T0_E_clISt17integral_constantIbLb0EESW_EEDaSR_SS_EUlSR_E0_NS1_11comp_targetILNS1_3genE10ELNS1_11target_archE1201ELNS1_3gpuE5ELNS1_3repE0EEENS1_30default_config_static_selectorELNS0_4arch9wavefront6targetE1EEEvT1_
                                        ; -- End function
	.section	.AMDGPU.csdata,"",@progbits
; Kernel info:
; codeLenInByte = 0
; NumSgprs: 4
; NumVgprs: 0
; NumAgprs: 0
; TotalNumVgprs: 0
; ScratchSize: 0
; MemoryBound: 0
; FloatMode: 240
; IeeeMode: 1
; LDSByteSize: 0 bytes/workgroup (compile time only)
; SGPRBlocks: 0
; VGPRBlocks: 0
; NumSGPRsForWavesPerEU: 4
; NumVGPRsForWavesPerEU: 1
; AccumOffset: 4
; Occupancy: 8
; WaveLimiterHint : 0
; COMPUTE_PGM_RSRC2:SCRATCH_EN: 0
; COMPUTE_PGM_RSRC2:USER_SGPR: 6
; COMPUTE_PGM_RSRC2:TRAP_HANDLER: 0
; COMPUTE_PGM_RSRC2:TGID_X_EN: 1
; COMPUTE_PGM_RSRC2:TGID_Y_EN: 0
; COMPUTE_PGM_RSRC2:TGID_Z_EN: 0
; COMPUTE_PGM_RSRC2:TIDIG_COMP_CNT: 0
; COMPUTE_PGM_RSRC3_GFX90A:ACCUM_OFFSET: 0
; COMPUTE_PGM_RSRC3_GFX90A:TG_SPLIT: 0
	.section	.text._ZN7rocprim17ROCPRIM_400000_NS6detail17trampoline_kernelINS0_14default_configENS1_20scan_config_selectorI11FixedVectorIiLj1EEEEZZNS1_9scan_implILNS1_25lookback_scan_determinismE0ELb1ELb1ES3_N6thrust23THRUST_200600_302600_NS6detail15normal_iteratorINSB_10device_ptrIS6_EEEESG_S6_NSB_4plusIvEES6_EEDaPvRmT3_T4_T5_mT6_P12ihipStream_tbENKUlT_T0_E_clISt17integral_constantIbLb0EESW_EEDaSR_SS_EUlSR_E0_NS1_11comp_targetILNS1_3genE10ELNS1_11target_archE1200ELNS1_3gpuE4ELNS1_3repE0EEENS1_30default_config_static_selectorELNS0_4arch9wavefront6targetE1EEEvT1_,"axG",@progbits,_ZN7rocprim17ROCPRIM_400000_NS6detail17trampoline_kernelINS0_14default_configENS1_20scan_config_selectorI11FixedVectorIiLj1EEEEZZNS1_9scan_implILNS1_25lookback_scan_determinismE0ELb1ELb1ES3_N6thrust23THRUST_200600_302600_NS6detail15normal_iteratorINSB_10device_ptrIS6_EEEESG_S6_NSB_4plusIvEES6_EEDaPvRmT3_T4_T5_mT6_P12ihipStream_tbENKUlT_T0_E_clISt17integral_constantIbLb0EESW_EEDaSR_SS_EUlSR_E0_NS1_11comp_targetILNS1_3genE10ELNS1_11target_archE1200ELNS1_3gpuE4ELNS1_3repE0EEENS1_30default_config_static_selectorELNS0_4arch9wavefront6targetE1EEEvT1_,comdat
	.protected	_ZN7rocprim17ROCPRIM_400000_NS6detail17trampoline_kernelINS0_14default_configENS1_20scan_config_selectorI11FixedVectorIiLj1EEEEZZNS1_9scan_implILNS1_25lookback_scan_determinismE0ELb1ELb1ES3_N6thrust23THRUST_200600_302600_NS6detail15normal_iteratorINSB_10device_ptrIS6_EEEESG_S6_NSB_4plusIvEES6_EEDaPvRmT3_T4_T5_mT6_P12ihipStream_tbENKUlT_T0_E_clISt17integral_constantIbLb0EESW_EEDaSR_SS_EUlSR_E0_NS1_11comp_targetILNS1_3genE10ELNS1_11target_archE1200ELNS1_3gpuE4ELNS1_3repE0EEENS1_30default_config_static_selectorELNS0_4arch9wavefront6targetE1EEEvT1_ ; -- Begin function _ZN7rocprim17ROCPRIM_400000_NS6detail17trampoline_kernelINS0_14default_configENS1_20scan_config_selectorI11FixedVectorIiLj1EEEEZZNS1_9scan_implILNS1_25lookback_scan_determinismE0ELb1ELb1ES3_N6thrust23THRUST_200600_302600_NS6detail15normal_iteratorINSB_10device_ptrIS6_EEEESG_S6_NSB_4plusIvEES6_EEDaPvRmT3_T4_T5_mT6_P12ihipStream_tbENKUlT_T0_E_clISt17integral_constantIbLb0EESW_EEDaSR_SS_EUlSR_E0_NS1_11comp_targetILNS1_3genE10ELNS1_11target_archE1200ELNS1_3gpuE4ELNS1_3repE0EEENS1_30default_config_static_selectorELNS0_4arch9wavefront6targetE1EEEvT1_
	.globl	_ZN7rocprim17ROCPRIM_400000_NS6detail17trampoline_kernelINS0_14default_configENS1_20scan_config_selectorI11FixedVectorIiLj1EEEEZZNS1_9scan_implILNS1_25lookback_scan_determinismE0ELb1ELb1ES3_N6thrust23THRUST_200600_302600_NS6detail15normal_iteratorINSB_10device_ptrIS6_EEEESG_S6_NSB_4plusIvEES6_EEDaPvRmT3_T4_T5_mT6_P12ihipStream_tbENKUlT_T0_E_clISt17integral_constantIbLb0EESW_EEDaSR_SS_EUlSR_E0_NS1_11comp_targetILNS1_3genE10ELNS1_11target_archE1200ELNS1_3gpuE4ELNS1_3repE0EEENS1_30default_config_static_selectorELNS0_4arch9wavefront6targetE1EEEvT1_
	.p2align	8
	.type	_ZN7rocprim17ROCPRIM_400000_NS6detail17trampoline_kernelINS0_14default_configENS1_20scan_config_selectorI11FixedVectorIiLj1EEEEZZNS1_9scan_implILNS1_25lookback_scan_determinismE0ELb1ELb1ES3_N6thrust23THRUST_200600_302600_NS6detail15normal_iteratorINSB_10device_ptrIS6_EEEESG_S6_NSB_4plusIvEES6_EEDaPvRmT3_T4_T5_mT6_P12ihipStream_tbENKUlT_T0_E_clISt17integral_constantIbLb0EESW_EEDaSR_SS_EUlSR_E0_NS1_11comp_targetILNS1_3genE10ELNS1_11target_archE1200ELNS1_3gpuE4ELNS1_3repE0EEENS1_30default_config_static_selectorELNS0_4arch9wavefront6targetE1EEEvT1_,@function
_ZN7rocprim17ROCPRIM_400000_NS6detail17trampoline_kernelINS0_14default_configENS1_20scan_config_selectorI11FixedVectorIiLj1EEEEZZNS1_9scan_implILNS1_25lookback_scan_determinismE0ELb1ELb1ES3_N6thrust23THRUST_200600_302600_NS6detail15normal_iteratorINSB_10device_ptrIS6_EEEESG_S6_NSB_4plusIvEES6_EEDaPvRmT3_T4_T5_mT6_P12ihipStream_tbENKUlT_T0_E_clISt17integral_constantIbLb0EESW_EEDaSR_SS_EUlSR_E0_NS1_11comp_targetILNS1_3genE10ELNS1_11target_archE1200ELNS1_3gpuE4ELNS1_3repE0EEENS1_30default_config_static_selectorELNS0_4arch9wavefront6targetE1EEEvT1_: ; @_ZN7rocprim17ROCPRIM_400000_NS6detail17trampoline_kernelINS0_14default_configENS1_20scan_config_selectorI11FixedVectorIiLj1EEEEZZNS1_9scan_implILNS1_25lookback_scan_determinismE0ELb1ELb1ES3_N6thrust23THRUST_200600_302600_NS6detail15normal_iteratorINSB_10device_ptrIS6_EEEESG_S6_NSB_4plusIvEES6_EEDaPvRmT3_T4_T5_mT6_P12ihipStream_tbENKUlT_T0_E_clISt17integral_constantIbLb0EESW_EEDaSR_SS_EUlSR_E0_NS1_11comp_targetILNS1_3genE10ELNS1_11target_archE1200ELNS1_3gpuE4ELNS1_3repE0EEENS1_30default_config_static_selectorELNS0_4arch9wavefront6targetE1EEEvT1_
; %bb.0:
	.section	.rodata,"a",@progbits
	.p2align	6, 0x0
	.amdhsa_kernel _ZN7rocprim17ROCPRIM_400000_NS6detail17trampoline_kernelINS0_14default_configENS1_20scan_config_selectorI11FixedVectorIiLj1EEEEZZNS1_9scan_implILNS1_25lookback_scan_determinismE0ELb1ELb1ES3_N6thrust23THRUST_200600_302600_NS6detail15normal_iteratorINSB_10device_ptrIS6_EEEESG_S6_NSB_4plusIvEES6_EEDaPvRmT3_T4_T5_mT6_P12ihipStream_tbENKUlT_T0_E_clISt17integral_constantIbLb0EESW_EEDaSR_SS_EUlSR_E0_NS1_11comp_targetILNS1_3genE10ELNS1_11target_archE1200ELNS1_3gpuE4ELNS1_3repE0EEENS1_30default_config_static_selectorELNS0_4arch9wavefront6targetE1EEEvT1_
		.amdhsa_group_segment_fixed_size 0
		.amdhsa_private_segment_fixed_size 0
		.amdhsa_kernarg_size 32
		.amdhsa_user_sgpr_count 6
		.amdhsa_user_sgpr_private_segment_buffer 1
		.amdhsa_user_sgpr_dispatch_ptr 0
		.amdhsa_user_sgpr_queue_ptr 0
		.amdhsa_user_sgpr_kernarg_segment_ptr 1
		.amdhsa_user_sgpr_dispatch_id 0
		.amdhsa_user_sgpr_flat_scratch_init 0
		.amdhsa_user_sgpr_kernarg_preload_length 0
		.amdhsa_user_sgpr_kernarg_preload_offset 0
		.amdhsa_user_sgpr_private_segment_size 0
		.amdhsa_uses_dynamic_stack 0
		.amdhsa_system_sgpr_private_segment_wavefront_offset 0
		.amdhsa_system_sgpr_workgroup_id_x 1
		.amdhsa_system_sgpr_workgroup_id_y 0
		.amdhsa_system_sgpr_workgroup_id_z 0
		.amdhsa_system_sgpr_workgroup_info 0
		.amdhsa_system_vgpr_workitem_id 0
		.amdhsa_next_free_vgpr 1
		.amdhsa_next_free_sgpr 0
		.amdhsa_accum_offset 4
		.amdhsa_reserve_vcc 0
		.amdhsa_reserve_flat_scratch 0
		.amdhsa_float_round_mode_32 0
		.amdhsa_float_round_mode_16_64 0
		.amdhsa_float_denorm_mode_32 3
		.amdhsa_float_denorm_mode_16_64 3
		.amdhsa_dx10_clamp 1
		.amdhsa_ieee_mode 1
		.amdhsa_fp16_overflow 0
		.amdhsa_tg_split 0
		.amdhsa_exception_fp_ieee_invalid_op 0
		.amdhsa_exception_fp_denorm_src 0
		.amdhsa_exception_fp_ieee_div_zero 0
		.amdhsa_exception_fp_ieee_overflow 0
		.amdhsa_exception_fp_ieee_underflow 0
		.amdhsa_exception_fp_ieee_inexact 0
		.amdhsa_exception_int_div_zero 0
	.end_amdhsa_kernel
	.section	.text._ZN7rocprim17ROCPRIM_400000_NS6detail17trampoline_kernelINS0_14default_configENS1_20scan_config_selectorI11FixedVectorIiLj1EEEEZZNS1_9scan_implILNS1_25lookback_scan_determinismE0ELb1ELb1ES3_N6thrust23THRUST_200600_302600_NS6detail15normal_iteratorINSB_10device_ptrIS6_EEEESG_S6_NSB_4plusIvEES6_EEDaPvRmT3_T4_T5_mT6_P12ihipStream_tbENKUlT_T0_E_clISt17integral_constantIbLb0EESW_EEDaSR_SS_EUlSR_E0_NS1_11comp_targetILNS1_3genE10ELNS1_11target_archE1200ELNS1_3gpuE4ELNS1_3repE0EEENS1_30default_config_static_selectorELNS0_4arch9wavefront6targetE1EEEvT1_,"axG",@progbits,_ZN7rocprim17ROCPRIM_400000_NS6detail17trampoline_kernelINS0_14default_configENS1_20scan_config_selectorI11FixedVectorIiLj1EEEEZZNS1_9scan_implILNS1_25lookback_scan_determinismE0ELb1ELb1ES3_N6thrust23THRUST_200600_302600_NS6detail15normal_iteratorINSB_10device_ptrIS6_EEEESG_S6_NSB_4plusIvEES6_EEDaPvRmT3_T4_T5_mT6_P12ihipStream_tbENKUlT_T0_E_clISt17integral_constantIbLb0EESW_EEDaSR_SS_EUlSR_E0_NS1_11comp_targetILNS1_3genE10ELNS1_11target_archE1200ELNS1_3gpuE4ELNS1_3repE0EEENS1_30default_config_static_selectorELNS0_4arch9wavefront6targetE1EEEvT1_,comdat
.Lfunc_end6477:
	.size	_ZN7rocprim17ROCPRIM_400000_NS6detail17trampoline_kernelINS0_14default_configENS1_20scan_config_selectorI11FixedVectorIiLj1EEEEZZNS1_9scan_implILNS1_25lookback_scan_determinismE0ELb1ELb1ES3_N6thrust23THRUST_200600_302600_NS6detail15normal_iteratorINSB_10device_ptrIS6_EEEESG_S6_NSB_4plusIvEES6_EEDaPvRmT3_T4_T5_mT6_P12ihipStream_tbENKUlT_T0_E_clISt17integral_constantIbLb0EESW_EEDaSR_SS_EUlSR_E0_NS1_11comp_targetILNS1_3genE10ELNS1_11target_archE1200ELNS1_3gpuE4ELNS1_3repE0EEENS1_30default_config_static_selectorELNS0_4arch9wavefront6targetE1EEEvT1_, .Lfunc_end6477-_ZN7rocprim17ROCPRIM_400000_NS6detail17trampoline_kernelINS0_14default_configENS1_20scan_config_selectorI11FixedVectorIiLj1EEEEZZNS1_9scan_implILNS1_25lookback_scan_determinismE0ELb1ELb1ES3_N6thrust23THRUST_200600_302600_NS6detail15normal_iteratorINSB_10device_ptrIS6_EEEESG_S6_NSB_4plusIvEES6_EEDaPvRmT3_T4_T5_mT6_P12ihipStream_tbENKUlT_T0_E_clISt17integral_constantIbLb0EESW_EEDaSR_SS_EUlSR_E0_NS1_11comp_targetILNS1_3genE10ELNS1_11target_archE1200ELNS1_3gpuE4ELNS1_3repE0EEENS1_30default_config_static_selectorELNS0_4arch9wavefront6targetE1EEEvT1_
                                        ; -- End function
	.section	.AMDGPU.csdata,"",@progbits
; Kernel info:
; codeLenInByte = 0
; NumSgprs: 4
; NumVgprs: 0
; NumAgprs: 0
; TotalNumVgprs: 0
; ScratchSize: 0
; MemoryBound: 0
; FloatMode: 240
; IeeeMode: 1
; LDSByteSize: 0 bytes/workgroup (compile time only)
; SGPRBlocks: 0
; VGPRBlocks: 0
; NumSGPRsForWavesPerEU: 4
; NumVGPRsForWavesPerEU: 1
; AccumOffset: 4
; Occupancy: 8
; WaveLimiterHint : 0
; COMPUTE_PGM_RSRC2:SCRATCH_EN: 0
; COMPUTE_PGM_RSRC2:USER_SGPR: 6
; COMPUTE_PGM_RSRC2:TRAP_HANDLER: 0
; COMPUTE_PGM_RSRC2:TGID_X_EN: 1
; COMPUTE_PGM_RSRC2:TGID_Y_EN: 0
; COMPUTE_PGM_RSRC2:TGID_Z_EN: 0
; COMPUTE_PGM_RSRC2:TIDIG_COMP_CNT: 0
; COMPUTE_PGM_RSRC3_GFX90A:ACCUM_OFFSET: 0
; COMPUTE_PGM_RSRC3_GFX90A:TG_SPLIT: 0
	.section	.text._ZN7rocprim17ROCPRIM_400000_NS6detail17trampoline_kernelINS0_14default_configENS1_20scan_config_selectorI11FixedVectorIiLj1EEEEZZNS1_9scan_implILNS1_25lookback_scan_determinismE0ELb1ELb1ES3_N6thrust23THRUST_200600_302600_NS6detail15normal_iteratorINSB_10device_ptrIS6_EEEESG_S6_NSB_4plusIvEES6_EEDaPvRmT3_T4_T5_mT6_P12ihipStream_tbENKUlT_T0_E_clISt17integral_constantIbLb0EESW_EEDaSR_SS_EUlSR_E0_NS1_11comp_targetILNS1_3genE9ELNS1_11target_archE1100ELNS1_3gpuE3ELNS1_3repE0EEENS1_30default_config_static_selectorELNS0_4arch9wavefront6targetE1EEEvT1_,"axG",@progbits,_ZN7rocprim17ROCPRIM_400000_NS6detail17trampoline_kernelINS0_14default_configENS1_20scan_config_selectorI11FixedVectorIiLj1EEEEZZNS1_9scan_implILNS1_25lookback_scan_determinismE0ELb1ELb1ES3_N6thrust23THRUST_200600_302600_NS6detail15normal_iteratorINSB_10device_ptrIS6_EEEESG_S6_NSB_4plusIvEES6_EEDaPvRmT3_T4_T5_mT6_P12ihipStream_tbENKUlT_T0_E_clISt17integral_constantIbLb0EESW_EEDaSR_SS_EUlSR_E0_NS1_11comp_targetILNS1_3genE9ELNS1_11target_archE1100ELNS1_3gpuE3ELNS1_3repE0EEENS1_30default_config_static_selectorELNS0_4arch9wavefront6targetE1EEEvT1_,comdat
	.protected	_ZN7rocprim17ROCPRIM_400000_NS6detail17trampoline_kernelINS0_14default_configENS1_20scan_config_selectorI11FixedVectorIiLj1EEEEZZNS1_9scan_implILNS1_25lookback_scan_determinismE0ELb1ELb1ES3_N6thrust23THRUST_200600_302600_NS6detail15normal_iteratorINSB_10device_ptrIS6_EEEESG_S6_NSB_4plusIvEES6_EEDaPvRmT3_T4_T5_mT6_P12ihipStream_tbENKUlT_T0_E_clISt17integral_constantIbLb0EESW_EEDaSR_SS_EUlSR_E0_NS1_11comp_targetILNS1_3genE9ELNS1_11target_archE1100ELNS1_3gpuE3ELNS1_3repE0EEENS1_30default_config_static_selectorELNS0_4arch9wavefront6targetE1EEEvT1_ ; -- Begin function _ZN7rocprim17ROCPRIM_400000_NS6detail17trampoline_kernelINS0_14default_configENS1_20scan_config_selectorI11FixedVectorIiLj1EEEEZZNS1_9scan_implILNS1_25lookback_scan_determinismE0ELb1ELb1ES3_N6thrust23THRUST_200600_302600_NS6detail15normal_iteratorINSB_10device_ptrIS6_EEEESG_S6_NSB_4plusIvEES6_EEDaPvRmT3_T4_T5_mT6_P12ihipStream_tbENKUlT_T0_E_clISt17integral_constantIbLb0EESW_EEDaSR_SS_EUlSR_E0_NS1_11comp_targetILNS1_3genE9ELNS1_11target_archE1100ELNS1_3gpuE3ELNS1_3repE0EEENS1_30default_config_static_selectorELNS0_4arch9wavefront6targetE1EEEvT1_
	.globl	_ZN7rocprim17ROCPRIM_400000_NS6detail17trampoline_kernelINS0_14default_configENS1_20scan_config_selectorI11FixedVectorIiLj1EEEEZZNS1_9scan_implILNS1_25lookback_scan_determinismE0ELb1ELb1ES3_N6thrust23THRUST_200600_302600_NS6detail15normal_iteratorINSB_10device_ptrIS6_EEEESG_S6_NSB_4plusIvEES6_EEDaPvRmT3_T4_T5_mT6_P12ihipStream_tbENKUlT_T0_E_clISt17integral_constantIbLb0EESW_EEDaSR_SS_EUlSR_E0_NS1_11comp_targetILNS1_3genE9ELNS1_11target_archE1100ELNS1_3gpuE3ELNS1_3repE0EEENS1_30default_config_static_selectorELNS0_4arch9wavefront6targetE1EEEvT1_
	.p2align	8
	.type	_ZN7rocprim17ROCPRIM_400000_NS6detail17trampoline_kernelINS0_14default_configENS1_20scan_config_selectorI11FixedVectorIiLj1EEEEZZNS1_9scan_implILNS1_25lookback_scan_determinismE0ELb1ELb1ES3_N6thrust23THRUST_200600_302600_NS6detail15normal_iteratorINSB_10device_ptrIS6_EEEESG_S6_NSB_4plusIvEES6_EEDaPvRmT3_T4_T5_mT6_P12ihipStream_tbENKUlT_T0_E_clISt17integral_constantIbLb0EESW_EEDaSR_SS_EUlSR_E0_NS1_11comp_targetILNS1_3genE9ELNS1_11target_archE1100ELNS1_3gpuE3ELNS1_3repE0EEENS1_30default_config_static_selectorELNS0_4arch9wavefront6targetE1EEEvT1_,@function
_ZN7rocprim17ROCPRIM_400000_NS6detail17trampoline_kernelINS0_14default_configENS1_20scan_config_selectorI11FixedVectorIiLj1EEEEZZNS1_9scan_implILNS1_25lookback_scan_determinismE0ELb1ELb1ES3_N6thrust23THRUST_200600_302600_NS6detail15normal_iteratorINSB_10device_ptrIS6_EEEESG_S6_NSB_4plusIvEES6_EEDaPvRmT3_T4_T5_mT6_P12ihipStream_tbENKUlT_T0_E_clISt17integral_constantIbLb0EESW_EEDaSR_SS_EUlSR_E0_NS1_11comp_targetILNS1_3genE9ELNS1_11target_archE1100ELNS1_3gpuE3ELNS1_3repE0EEENS1_30default_config_static_selectorELNS0_4arch9wavefront6targetE1EEEvT1_: ; @_ZN7rocprim17ROCPRIM_400000_NS6detail17trampoline_kernelINS0_14default_configENS1_20scan_config_selectorI11FixedVectorIiLj1EEEEZZNS1_9scan_implILNS1_25lookback_scan_determinismE0ELb1ELb1ES3_N6thrust23THRUST_200600_302600_NS6detail15normal_iteratorINSB_10device_ptrIS6_EEEESG_S6_NSB_4plusIvEES6_EEDaPvRmT3_T4_T5_mT6_P12ihipStream_tbENKUlT_T0_E_clISt17integral_constantIbLb0EESW_EEDaSR_SS_EUlSR_E0_NS1_11comp_targetILNS1_3genE9ELNS1_11target_archE1100ELNS1_3gpuE3ELNS1_3repE0EEENS1_30default_config_static_selectorELNS0_4arch9wavefront6targetE1EEEvT1_
; %bb.0:
	.section	.rodata,"a",@progbits
	.p2align	6, 0x0
	.amdhsa_kernel _ZN7rocprim17ROCPRIM_400000_NS6detail17trampoline_kernelINS0_14default_configENS1_20scan_config_selectorI11FixedVectorIiLj1EEEEZZNS1_9scan_implILNS1_25lookback_scan_determinismE0ELb1ELb1ES3_N6thrust23THRUST_200600_302600_NS6detail15normal_iteratorINSB_10device_ptrIS6_EEEESG_S6_NSB_4plusIvEES6_EEDaPvRmT3_T4_T5_mT6_P12ihipStream_tbENKUlT_T0_E_clISt17integral_constantIbLb0EESW_EEDaSR_SS_EUlSR_E0_NS1_11comp_targetILNS1_3genE9ELNS1_11target_archE1100ELNS1_3gpuE3ELNS1_3repE0EEENS1_30default_config_static_selectorELNS0_4arch9wavefront6targetE1EEEvT1_
		.amdhsa_group_segment_fixed_size 0
		.amdhsa_private_segment_fixed_size 0
		.amdhsa_kernarg_size 32
		.amdhsa_user_sgpr_count 6
		.amdhsa_user_sgpr_private_segment_buffer 1
		.amdhsa_user_sgpr_dispatch_ptr 0
		.amdhsa_user_sgpr_queue_ptr 0
		.amdhsa_user_sgpr_kernarg_segment_ptr 1
		.amdhsa_user_sgpr_dispatch_id 0
		.amdhsa_user_sgpr_flat_scratch_init 0
		.amdhsa_user_sgpr_kernarg_preload_length 0
		.amdhsa_user_sgpr_kernarg_preload_offset 0
		.amdhsa_user_sgpr_private_segment_size 0
		.amdhsa_uses_dynamic_stack 0
		.amdhsa_system_sgpr_private_segment_wavefront_offset 0
		.amdhsa_system_sgpr_workgroup_id_x 1
		.amdhsa_system_sgpr_workgroup_id_y 0
		.amdhsa_system_sgpr_workgroup_id_z 0
		.amdhsa_system_sgpr_workgroup_info 0
		.amdhsa_system_vgpr_workitem_id 0
		.amdhsa_next_free_vgpr 1
		.amdhsa_next_free_sgpr 0
		.amdhsa_accum_offset 4
		.amdhsa_reserve_vcc 0
		.amdhsa_reserve_flat_scratch 0
		.amdhsa_float_round_mode_32 0
		.amdhsa_float_round_mode_16_64 0
		.amdhsa_float_denorm_mode_32 3
		.amdhsa_float_denorm_mode_16_64 3
		.amdhsa_dx10_clamp 1
		.amdhsa_ieee_mode 1
		.amdhsa_fp16_overflow 0
		.amdhsa_tg_split 0
		.amdhsa_exception_fp_ieee_invalid_op 0
		.amdhsa_exception_fp_denorm_src 0
		.amdhsa_exception_fp_ieee_div_zero 0
		.amdhsa_exception_fp_ieee_overflow 0
		.amdhsa_exception_fp_ieee_underflow 0
		.amdhsa_exception_fp_ieee_inexact 0
		.amdhsa_exception_int_div_zero 0
	.end_amdhsa_kernel
	.section	.text._ZN7rocprim17ROCPRIM_400000_NS6detail17trampoline_kernelINS0_14default_configENS1_20scan_config_selectorI11FixedVectorIiLj1EEEEZZNS1_9scan_implILNS1_25lookback_scan_determinismE0ELb1ELb1ES3_N6thrust23THRUST_200600_302600_NS6detail15normal_iteratorINSB_10device_ptrIS6_EEEESG_S6_NSB_4plusIvEES6_EEDaPvRmT3_T4_T5_mT6_P12ihipStream_tbENKUlT_T0_E_clISt17integral_constantIbLb0EESW_EEDaSR_SS_EUlSR_E0_NS1_11comp_targetILNS1_3genE9ELNS1_11target_archE1100ELNS1_3gpuE3ELNS1_3repE0EEENS1_30default_config_static_selectorELNS0_4arch9wavefront6targetE1EEEvT1_,"axG",@progbits,_ZN7rocprim17ROCPRIM_400000_NS6detail17trampoline_kernelINS0_14default_configENS1_20scan_config_selectorI11FixedVectorIiLj1EEEEZZNS1_9scan_implILNS1_25lookback_scan_determinismE0ELb1ELb1ES3_N6thrust23THRUST_200600_302600_NS6detail15normal_iteratorINSB_10device_ptrIS6_EEEESG_S6_NSB_4plusIvEES6_EEDaPvRmT3_T4_T5_mT6_P12ihipStream_tbENKUlT_T0_E_clISt17integral_constantIbLb0EESW_EEDaSR_SS_EUlSR_E0_NS1_11comp_targetILNS1_3genE9ELNS1_11target_archE1100ELNS1_3gpuE3ELNS1_3repE0EEENS1_30default_config_static_selectorELNS0_4arch9wavefront6targetE1EEEvT1_,comdat
.Lfunc_end6478:
	.size	_ZN7rocprim17ROCPRIM_400000_NS6detail17trampoline_kernelINS0_14default_configENS1_20scan_config_selectorI11FixedVectorIiLj1EEEEZZNS1_9scan_implILNS1_25lookback_scan_determinismE0ELb1ELb1ES3_N6thrust23THRUST_200600_302600_NS6detail15normal_iteratorINSB_10device_ptrIS6_EEEESG_S6_NSB_4plusIvEES6_EEDaPvRmT3_T4_T5_mT6_P12ihipStream_tbENKUlT_T0_E_clISt17integral_constantIbLb0EESW_EEDaSR_SS_EUlSR_E0_NS1_11comp_targetILNS1_3genE9ELNS1_11target_archE1100ELNS1_3gpuE3ELNS1_3repE0EEENS1_30default_config_static_selectorELNS0_4arch9wavefront6targetE1EEEvT1_, .Lfunc_end6478-_ZN7rocprim17ROCPRIM_400000_NS6detail17trampoline_kernelINS0_14default_configENS1_20scan_config_selectorI11FixedVectorIiLj1EEEEZZNS1_9scan_implILNS1_25lookback_scan_determinismE0ELb1ELb1ES3_N6thrust23THRUST_200600_302600_NS6detail15normal_iteratorINSB_10device_ptrIS6_EEEESG_S6_NSB_4plusIvEES6_EEDaPvRmT3_T4_T5_mT6_P12ihipStream_tbENKUlT_T0_E_clISt17integral_constantIbLb0EESW_EEDaSR_SS_EUlSR_E0_NS1_11comp_targetILNS1_3genE9ELNS1_11target_archE1100ELNS1_3gpuE3ELNS1_3repE0EEENS1_30default_config_static_selectorELNS0_4arch9wavefront6targetE1EEEvT1_
                                        ; -- End function
	.section	.AMDGPU.csdata,"",@progbits
; Kernel info:
; codeLenInByte = 0
; NumSgprs: 4
; NumVgprs: 0
; NumAgprs: 0
; TotalNumVgprs: 0
; ScratchSize: 0
; MemoryBound: 0
; FloatMode: 240
; IeeeMode: 1
; LDSByteSize: 0 bytes/workgroup (compile time only)
; SGPRBlocks: 0
; VGPRBlocks: 0
; NumSGPRsForWavesPerEU: 4
; NumVGPRsForWavesPerEU: 1
; AccumOffset: 4
; Occupancy: 8
; WaveLimiterHint : 0
; COMPUTE_PGM_RSRC2:SCRATCH_EN: 0
; COMPUTE_PGM_RSRC2:USER_SGPR: 6
; COMPUTE_PGM_RSRC2:TRAP_HANDLER: 0
; COMPUTE_PGM_RSRC2:TGID_X_EN: 1
; COMPUTE_PGM_RSRC2:TGID_Y_EN: 0
; COMPUTE_PGM_RSRC2:TGID_Z_EN: 0
; COMPUTE_PGM_RSRC2:TIDIG_COMP_CNT: 0
; COMPUTE_PGM_RSRC3_GFX90A:ACCUM_OFFSET: 0
; COMPUTE_PGM_RSRC3_GFX90A:TG_SPLIT: 0
	.section	.text._ZN7rocprim17ROCPRIM_400000_NS6detail17trampoline_kernelINS0_14default_configENS1_20scan_config_selectorI11FixedVectorIiLj1EEEEZZNS1_9scan_implILNS1_25lookback_scan_determinismE0ELb1ELb1ES3_N6thrust23THRUST_200600_302600_NS6detail15normal_iteratorINSB_10device_ptrIS6_EEEESG_S6_NSB_4plusIvEES6_EEDaPvRmT3_T4_T5_mT6_P12ihipStream_tbENKUlT_T0_E_clISt17integral_constantIbLb0EESW_EEDaSR_SS_EUlSR_E0_NS1_11comp_targetILNS1_3genE8ELNS1_11target_archE1030ELNS1_3gpuE2ELNS1_3repE0EEENS1_30default_config_static_selectorELNS0_4arch9wavefront6targetE1EEEvT1_,"axG",@progbits,_ZN7rocprim17ROCPRIM_400000_NS6detail17trampoline_kernelINS0_14default_configENS1_20scan_config_selectorI11FixedVectorIiLj1EEEEZZNS1_9scan_implILNS1_25lookback_scan_determinismE0ELb1ELb1ES3_N6thrust23THRUST_200600_302600_NS6detail15normal_iteratorINSB_10device_ptrIS6_EEEESG_S6_NSB_4plusIvEES6_EEDaPvRmT3_T4_T5_mT6_P12ihipStream_tbENKUlT_T0_E_clISt17integral_constantIbLb0EESW_EEDaSR_SS_EUlSR_E0_NS1_11comp_targetILNS1_3genE8ELNS1_11target_archE1030ELNS1_3gpuE2ELNS1_3repE0EEENS1_30default_config_static_selectorELNS0_4arch9wavefront6targetE1EEEvT1_,comdat
	.protected	_ZN7rocprim17ROCPRIM_400000_NS6detail17trampoline_kernelINS0_14default_configENS1_20scan_config_selectorI11FixedVectorIiLj1EEEEZZNS1_9scan_implILNS1_25lookback_scan_determinismE0ELb1ELb1ES3_N6thrust23THRUST_200600_302600_NS6detail15normal_iteratorINSB_10device_ptrIS6_EEEESG_S6_NSB_4plusIvEES6_EEDaPvRmT3_T4_T5_mT6_P12ihipStream_tbENKUlT_T0_E_clISt17integral_constantIbLb0EESW_EEDaSR_SS_EUlSR_E0_NS1_11comp_targetILNS1_3genE8ELNS1_11target_archE1030ELNS1_3gpuE2ELNS1_3repE0EEENS1_30default_config_static_selectorELNS0_4arch9wavefront6targetE1EEEvT1_ ; -- Begin function _ZN7rocprim17ROCPRIM_400000_NS6detail17trampoline_kernelINS0_14default_configENS1_20scan_config_selectorI11FixedVectorIiLj1EEEEZZNS1_9scan_implILNS1_25lookback_scan_determinismE0ELb1ELb1ES3_N6thrust23THRUST_200600_302600_NS6detail15normal_iteratorINSB_10device_ptrIS6_EEEESG_S6_NSB_4plusIvEES6_EEDaPvRmT3_T4_T5_mT6_P12ihipStream_tbENKUlT_T0_E_clISt17integral_constantIbLb0EESW_EEDaSR_SS_EUlSR_E0_NS1_11comp_targetILNS1_3genE8ELNS1_11target_archE1030ELNS1_3gpuE2ELNS1_3repE0EEENS1_30default_config_static_selectorELNS0_4arch9wavefront6targetE1EEEvT1_
	.globl	_ZN7rocprim17ROCPRIM_400000_NS6detail17trampoline_kernelINS0_14default_configENS1_20scan_config_selectorI11FixedVectorIiLj1EEEEZZNS1_9scan_implILNS1_25lookback_scan_determinismE0ELb1ELb1ES3_N6thrust23THRUST_200600_302600_NS6detail15normal_iteratorINSB_10device_ptrIS6_EEEESG_S6_NSB_4plusIvEES6_EEDaPvRmT3_T4_T5_mT6_P12ihipStream_tbENKUlT_T0_E_clISt17integral_constantIbLb0EESW_EEDaSR_SS_EUlSR_E0_NS1_11comp_targetILNS1_3genE8ELNS1_11target_archE1030ELNS1_3gpuE2ELNS1_3repE0EEENS1_30default_config_static_selectorELNS0_4arch9wavefront6targetE1EEEvT1_
	.p2align	8
	.type	_ZN7rocprim17ROCPRIM_400000_NS6detail17trampoline_kernelINS0_14default_configENS1_20scan_config_selectorI11FixedVectorIiLj1EEEEZZNS1_9scan_implILNS1_25lookback_scan_determinismE0ELb1ELb1ES3_N6thrust23THRUST_200600_302600_NS6detail15normal_iteratorINSB_10device_ptrIS6_EEEESG_S6_NSB_4plusIvEES6_EEDaPvRmT3_T4_T5_mT6_P12ihipStream_tbENKUlT_T0_E_clISt17integral_constantIbLb0EESW_EEDaSR_SS_EUlSR_E0_NS1_11comp_targetILNS1_3genE8ELNS1_11target_archE1030ELNS1_3gpuE2ELNS1_3repE0EEENS1_30default_config_static_selectorELNS0_4arch9wavefront6targetE1EEEvT1_,@function
_ZN7rocprim17ROCPRIM_400000_NS6detail17trampoline_kernelINS0_14default_configENS1_20scan_config_selectorI11FixedVectorIiLj1EEEEZZNS1_9scan_implILNS1_25lookback_scan_determinismE0ELb1ELb1ES3_N6thrust23THRUST_200600_302600_NS6detail15normal_iteratorINSB_10device_ptrIS6_EEEESG_S6_NSB_4plusIvEES6_EEDaPvRmT3_T4_T5_mT6_P12ihipStream_tbENKUlT_T0_E_clISt17integral_constantIbLb0EESW_EEDaSR_SS_EUlSR_E0_NS1_11comp_targetILNS1_3genE8ELNS1_11target_archE1030ELNS1_3gpuE2ELNS1_3repE0EEENS1_30default_config_static_selectorELNS0_4arch9wavefront6targetE1EEEvT1_: ; @_ZN7rocprim17ROCPRIM_400000_NS6detail17trampoline_kernelINS0_14default_configENS1_20scan_config_selectorI11FixedVectorIiLj1EEEEZZNS1_9scan_implILNS1_25lookback_scan_determinismE0ELb1ELb1ES3_N6thrust23THRUST_200600_302600_NS6detail15normal_iteratorINSB_10device_ptrIS6_EEEESG_S6_NSB_4plusIvEES6_EEDaPvRmT3_T4_T5_mT6_P12ihipStream_tbENKUlT_T0_E_clISt17integral_constantIbLb0EESW_EEDaSR_SS_EUlSR_E0_NS1_11comp_targetILNS1_3genE8ELNS1_11target_archE1030ELNS1_3gpuE2ELNS1_3repE0EEENS1_30default_config_static_selectorELNS0_4arch9wavefront6targetE1EEEvT1_
; %bb.0:
	.section	.rodata,"a",@progbits
	.p2align	6, 0x0
	.amdhsa_kernel _ZN7rocprim17ROCPRIM_400000_NS6detail17trampoline_kernelINS0_14default_configENS1_20scan_config_selectorI11FixedVectorIiLj1EEEEZZNS1_9scan_implILNS1_25lookback_scan_determinismE0ELb1ELb1ES3_N6thrust23THRUST_200600_302600_NS6detail15normal_iteratorINSB_10device_ptrIS6_EEEESG_S6_NSB_4plusIvEES6_EEDaPvRmT3_T4_T5_mT6_P12ihipStream_tbENKUlT_T0_E_clISt17integral_constantIbLb0EESW_EEDaSR_SS_EUlSR_E0_NS1_11comp_targetILNS1_3genE8ELNS1_11target_archE1030ELNS1_3gpuE2ELNS1_3repE0EEENS1_30default_config_static_selectorELNS0_4arch9wavefront6targetE1EEEvT1_
		.amdhsa_group_segment_fixed_size 0
		.amdhsa_private_segment_fixed_size 0
		.amdhsa_kernarg_size 32
		.amdhsa_user_sgpr_count 6
		.amdhsa_user_sgpr_private_segment_buffer 1
		.amdhsa_user_sgpr_dispatch_ptr 0
		.amdhsa_user_sgpr_queue_ptr 0
		.amdhsa_user_sgpr_kernarg_segment_ptr 1
		.amdhsa_user_sgpr_dispatch_id 0
		.amdhsa_user_sgpr_flat_scratch_init 0
		.amdhsa_user_sgpr_kernarg_preload_length 0
		.amdhsa_user_sgpr_kernarg_preload_offset 0
		.amdhsa_user_sgpr_private_segment_size 0
		.amdhsa_uses_dynamic_stack 0
		.amdhsa_system_sgpr_private_segment_wavefront_offset 0
		.amdhsa_system_sgpr_workgroup_id_x 1
		.amdhsa_system_sgpr_workgroup_id_y 0
		.amdhsa_system_sgpr_workgroup_id_z 0
		.amdhsa_system_sgpr_workgroup_info 0
		.amdhsa_system_vgpr_workitem_id 0
		.amdhsa_next_free_vgpr 1
		.amdhsa_next_free_sgpr 0
		.amdhsa_accum_offset 4
		.amdhsa_reserve_vcc 0
		.amdhsa_reserve_flat_scratch 0
		.amdhsa_float_round_mode_32 0
		.amdhsa_float_round_mode_16_64 0
		.amdhsa_float_denorm_mode_32 3
		.amdhsa_float_denorm_mode_16_64 3
		.amdhsa_dx10_clamp 1
		.amdhsa_ieee_mode 1
		.amdhsa_fp16_overflow 0
		.amdhsa_tg_split 0
		.amdhsa_exception_fp_ieee_invalid_op 0
		.amdhsa_exception_fp_denorm_src 0
		.amdhsa_exception_fp_ieee_div_zero 0
		.amdhsa_exception_fp_ieee_overflow 0
		.amdhsa_exception_fp_ieee_underflow 0
		.amdhsa_exception_fp_ieee_inexact 0
		.amdhsa_exception_int_div_zero 0
	.end_amdhsa_kernel
	.section	.text._ZN7rocprim17ROCPRIM_400000_NS6detail17trampoline_kernelINS0_14default_configENS1_20scan_config_selectorI11FixedVectorIiLj1EEEEZZNS1_9scan_implILNS1_25lookback_scan_determinismE0ELb1ELb1ES3_N6thrust23THRUST_200600_302600_NS6detail15normal_iteratorINSB_10device_ptrIS6_EEEESG_S6_NSB_4plusIvEES6_EEDaPvRmT3_T4_T5_mT6_P12ihipStream_tbENKUlT_T0_E_clISt17integral_constantIbLb0EESW_EEDaSR_SS_EUlSR_E0_NS1_11comp_targetILNS1_3genE8ELNS1_11target_archE1030ELNS1_3gpuE2ELNS1_3repE0EEENS1_30default_config_static_selectorELNS0_4arch9wavefront6targetE1EEEvT1_,"axG",@progbits,_ZN7rocprim17ROCPRIM_400000_NS6detail17trampoline_kernelINS0_14default_configENS1_20scan_config_selectorI11FixedVectorIiLj1EEEEZZNS1_9scan_implILNS1_25lookback_scan_determinismE0ELb1ELb1ES3_N6thrust23THRUST_200600_302600_NS6detail15normal_iteratorINSB_10device_ptrIS6_EEEESG_S6_NSB_4plusIvEES6_EEDaPvRmT3_T4_T5_mT6_P12ihipStream_tbENKUlT_T0_E_clISt17integral_constantIbLb0EESW_EEDaSR_SS_EUlSR_E0_NS1_11comp_targetILNS1_3genE8ELNS1_11target_archE1030ELNS1_3gpuE2ELNS1_3repE0EEENS1_30default_config_static_selectorELNS0_4arch9wavefront6targetE1EEEvT1_,comdat
.Lfunc_end6479:
	.size	_ZN7rocprim17ROCPRIM_400000_NS6detail17trampoline_kernelINS0_14default_configENS1_20scan_config_selectorI11FixedVectorIiLj1EEEEZZNS1_9scan_implILNS1_25lookback_scan_determinismE0ELb1ELb1ES3_N6thrust23THRUST_200600_302600_NS6detail15normal_iteratorINSB_10device_ptrIS6_EEEESG_S6_NSB_4plusIvEES6_EEDaPvRmT3_T4_T5_mT6_P12ihipStream_tbENKUlT_T0_E_clISt17integral_constantIbLb0EESW_EEDaSR_SS_EUlSR_E0_NS1_11comp_targetILNS1_3genE8ELNS1_11target_archE1030ELNS1_3gpuE2ELNS1_3repE0EEENS1_30default_config_static_selectorELNS0_4arch9wavefront6targetE1EEEvT1_, .Lfunc_end6479-_ZN7rocprim17ROCPRIM_400000_NS6detail17trampoline_kernelINS0_14default_configENS1_20scan_config_selectorI11FixedVectorIiLj1EEEEZZNS1_9scan_implILNS1_25lookback_scan_determinismE0ELb1ELb1ES3_N6thrust23THRUST_200600_302600_NS6detail15normal_iteratorINSB_10device_ptrIS6_EEEESG_S6_NSB_4plusIvEES6_EEDaPvRmT3_T4_T5_mT6_P12ihipStream_tbENKUlT_T0_E_clISt17integral_constantIbLb0EESW_EEDaSR_SS_EUlSR_E0_NS1_11comp_targetILNS1_3genE8ELNS1_11target_archE1030ELNS1_3gpuE2ELNS1_3repE0EEENS1_30default_config_static_selectorELNS0_4arch9wavefront6targetE1EEEvT1_
                                        ; -- End function
	.section	.AMDGPU.csdata,"",@progbits
; Kernel info:
; codeLenInByte = 0
; NumSgprs: 4
; NumVgprs: 0
; NumAgprs: 0
; TotalNumVgprs: 0
; ScratchSize: 0
; MemoryBound: 0
; FloatMode: 240
; IeeeMode: 1
; LDSByteSize: 0 bytes/workgroup (compile time only)
; SGPRBlocks: 0
; VGPRBlocks: 0
; NumSGPRsForWavesPerEU: 4
; NumVGPRsForWavesPerEU: 1
; AccumOffset: 4
; Occupancy: 8
; WaveLimiterHint : 0
; COMPUTE_PGM_RSRC2:SCRATCH_EN: 0
; COMPUTE_PGM_RSRC2:USER_SGPR: 6
; COMPUTE_PGM_RSRC2:TRAP_HANDLER: 0
; COMPUTE_PGM_RSRC2:TGID_X_EN: 1
; COMPUTE_PGM_RSRC2:TGID_Y_EN: 0
; COMPUTE_PGM_RSRC2:TGID_Z_EN: 0
; COMPUTE_PGM_RSRC2:TIDIG_COMP_CNT: 0
; COMPUTE_PGM_RSRC3_GFX90A:ACCUM_OFFSET: 0
; COMPUTE_PGM_RSRC3_GFX90A:TG_SPLIT: 0
	.section	.text._ZN7rocprim17ROCPRIM_400000_NS6detail17trampoline_kernelINS0_14default_configENS1_20scan_config_selectorI11FixedVectorIiLj1EEEEZZNS1_9scan_implILNS1_25lookback_scan_determinismE0ELb1ELb1ES3_N6thrust23THRUST_200600_302600_NS6detail15normal_iteratorINSB_10device_ptrIS6_EEEESG_S6_NSB_4plusIvEES6_EEDaPvRmT3_T4_T5_mT6_P12ihipStream_tbENKUlT_T0_E_clISt17integral_constantIbLb1EESW_EEDaSR_SS_EUlSR_E_NS1_11comp_targetILNS1_3genE0ELNS1_11target_archE4294967295ELNS1_3gpuE0ELNS1_3repE0EEENS1_30default_config_static_selectorELNS0_4arch9wavefront6targetE1EEEvT1_,"axG",@progbits,_ZN7rocprim17ROCPRIM_400000_NS6detail17trampoline_kernelINS0_14default_configENS1_20scan_config_selectorI11FixedVectorIiLj1EEEEZZNS1_9scan_implILNS1_25lookback_scan_determinismE0ELb1ELb1ES3_N6thrust23THRUST_200600_302600_NS6detail15normal_iteratorINSB_10device_ptrIS6_EEEESG_S6_NSB_4plusIvEES6_EEDaPvRmT3_T4_T5_mT6_P12ihipStream_tbENKUlT_T0_E_clISt17integral_constantIbLb1EESW_EEDaSR_SS_EUlSR_E_NS1_11comp_targetILNS1_3genE0ELNS1_11target_archE4294967295ELNS1_3gpuE0ELNS1_3repE0EEENS1_30default_config_static_selectorELNS0_4arch9wavefront6targetE1EEEvT1_,comdat
	.protected	_ZN7rocprim17ROCPRIM_400000_NS6detail17trampoline_kernelINS0_14default_configENS1_20scan_config_selectorI11FixedVectorIiLj1EEEEZZNS1_9scan_implILNS1_25lookback_scan_determinismE0ELb1ELb1ES3_N6thrust23THRUST_200600_302600_NS6detail15normal_iteratorINSB_10device_ptrIS6_EEEESG_S6_NSB_4plusIvEES6_EEDaPvRmT3_T4_T5_mT6_P12ihipStream_tbENKUlT_T0_E_clISt17integral_constantIbLb1EESW_EEDaSR_SS_EUlSR_E_NS1_11comp_targetILNS1_3genE0ELNS1_11target_archE4294967295ELNS1_3gpuE0ELNS1_3repE0EEENS1_30default_config_static_selectorELNS0_4arch9wavefront6targetE1EEEvT1_ ; -- Begin function _ZN7rocprim17ROCPRIM_400000_NS6detail17trampoline_kernelINS0_14default_configENS1_20scan_config_selectorI11FixedVectorIiLj1EEEEZZNS1_9scan_implILNS1_25lookback_scan_determinismE0ELb1ELb1ES3_N6thrust23THRUST_200600_302600_NS6detail15normal_iteratorINSB_10device_ptrIS6_EEEESG_S6_NSB_4plusIvEES6_EEDaPvRmT3_T4_T5_mT6_P12ihipStream_tbENKUlT_T0_E_clISt17integral_constantIbLb1EESW_EEDaSR_SS_EUlSR_E_NS1_11comp_targetILNS1_3genE0ELNS1_11target_archE4294967295ELNS1_3gpuE0ELNS1_3repE0EEENS1_30default_config_static_selectorELNS0_4arch9wavefront6targetE1EEEvT1_
	.globl	_ZN7rocprim17ROCPRIM_400000_NS6detail17trampoline_kernelINS0_14default_configENS1_20scan_config_selectorI11FixedVectorIiLj1EEEEZZNS1_9scan_implILNS1_25lookback_scan_determinismE0ELb1ELb1ES3_N6thrust23THRUST_200600_302600_NS6detail15normal_iteratorINSB_10device_ptrIS6_EEEESG_S6_NSB_4plusIvEES6_EEDaPvRmT3_T4_T5_mT6_P12ihipStream_tbENKUlT_T0_E_clISt17integral_constantIbLb1EESW_EEDaSR_SS_EUlSR_E_NS1_11comp_targetILNS1_3genE0ELNS1_11target_archE4294967295ELNS1_3gpuE0ELNS1_3repE0EEENS1_30default_config_static_selectorELNS0_4arch9wavefront6targetE1EEEvT1_
	.p2align	8
	.type	_ZN7rocprim17ROCPRIM_400000_NS6detail17trampoline_kernelINS0_14default_configENS1_20scan_config_selectorI11FixedVectorIiLj1EEEEZZNS1_9scan_implILNS1_25lookback_scan_determinismE0ELb1ELb1ES3_N6thrust23THRUST_200600_302600_NS6detail15normal_iteratorINSB_10device_ptrIS6_EEEESG_S6_NSB_4plusIvEES6_EEDaPvRmT3_T4_T5_mT6_P12ihipStream_tbENKUlT_T0_E_clISt17integral_constantIbLb1EESW_EEDaSR_SS_EUlSR_E_NS1_11comp_targetILNS1_3genE0ELNS1_11target_archE4294967295ELNS1_3gpuE0ELNS1_3repE0EEENS1_30default_config_static_selectorELNS0_4arch9wavefront6targetE1EEEvT1_,@function
_ZN7rocprim17ROCPRIM_400000_NS6detail17trampoline_kernelINS0_14default_configENS1_20scan_config_selectorI11FixedVectorIiLj1EEEEZZNS1_9scan_implILNS1_25lookback_scan_determinismE0ELb1ELb1ES3_N6thrust23THRUST_200600_302600_NS6detail15normal_iteratorINSB_10device_ptrIS6_EEEESG_S6_NSB_4plusIvEES6_EEDaPvRmT3_T4_T5_mT6_P12ihipStream_tbENKUlT_T0_E_clISt17integral_constantIbLb1EESW_EEDaSR_SS_EUlSR_E_NS1_11comp_targetILNS1_3genE0ELNS1_11target_archE4294967295ELNS1_3gpuE0ELNS1_3repE0EEENS1_30default_config_static_selectorELNS0_4arch9wavefront6targetE1EEEvT1_: ; @_ZN7rocprim17ROCPRIM_400000_NS6detail17trampoline_kernelINS0_14default_configENS1_20scan_config_selectorI11FixedVectorIiLj1EEEEZZNS1_9scan_implILNS1_25lookback_scan_determinismE0ELb1ELb1ES3_N6thrust23THRUST_200600_302600_NS6detail15normal_iteratorINSB_10device_ptrIS6_EEEESG_S6_NSB_4plusIvEES6_EEDaPvRmT3_T4_T5_mT6_P12ihipStream_tbENKUlT_T0_E_clISt17integral_constantIbLb1EESW_EEDaSR_SS_EUlSR_E_NS1_11comp_targetILNS1_3genE0ELNS1_11target_archE4294967295ELNS1_3gpuE0ELNS1_3repE0EEENS1_30default_config_static_selectorELNS0_4arch9wavefront6targetE1EEEvT1_
; %bb.0:
	.section	.rodata,"a",@progbits
	.p2align	6, 0x0
	.amdhsa_kernel _ZN7rocprim17ROCPRIM_400000_NS6detail17trampoline_kernelINS0_14default_configENS1_20scan_config_selectorI11FixedVectorIiLj1EEEEZZNS1_9scan_implILNS1_25lookback_scan_determinismE0ELb1ELb1ES3_N6thrust23THRUST_200600_302600_NS6detail15normal_iteratorINSB_10device_ptrIS6_EEEESG_S6_NSB_4plusIvEES6_EEDaPvRmT3_T4_T5_mT6_P12ihipStream_tbENKUlT_T0_E_clISt17integral_constantIbLb1EESW_EEDaSR_SS_EUlSR_E_NS1_11comp_targetILNS1_3genE0ELNS1_11target_archE4294967295ELNS1_3gpuE0ELNS1_3repE0EEENS1_30default_config_static_selectorELNS0_4arch9wavefront6targetE1EEEvT1_
		.amdhsa_group_segment_fixed_size 0
		.amdhsa_private_segment_fixed_size 0
		.amdhsa_kernarg_size 96
		.amdhsa_user_sgpr_count 6
		.amdhsa_user_sgpr_private_segment_buffer 1
		.amdhsa_user_sgpr_dispatch_ptr 0
		.amdhsa_user_sgpr_queue_ptr 0
		.amdhsa_user_sgpr_kernarg_segment_ptr 1
		.amdhsa_user_sgpr_dispatch_id 0
		.amdhsa_user_sgpr_flat_scratch_init 0
		.amdhsa_user_sgpr_kernarg_preload_length 0
		.amdhsa_user_sgpr_kernarg_preload_offset 0
		.amdhsa_user_sgpr_private_segment_size 0
		.amdhsa_uses_dynamic_stack 0
		.amdhsa_system_sgpr_private_segment_wavefront_offset 0
		.amdhsa_system_sgpr_workgroup_id_x 1
		.amdhsa_system_sgpr_workgroup_id_y 0
		.amdhsa_system_sgpr_workgroup_id_z 0
		.amdhsa_system_sgpr_workgroup_info 0
		.amdhsa_system_vgpr_workitem_id 0
		.amdhsa_next_free_vgpr 1
		.amdhsa_next_free_sgpr 0
		.amdhsa_accum_offset 4
		.amdhsa_reserve_vcc 0
		.amdhsa_reserve_flat_scratch 0
		.amdhsa_float_round_mode_32 0
		.amdhsa_float_round_mode_16_64 0
		.amdhsa_float_denorm_mode_32 3
		.amdhsa_float_denorm_mode_16_64 3
		.amdhsa_dx10_clamp 1
		.amdhsa_ieee_mode 1
		.amdhsa_fp16_overflow 0
		.amdhsa_tg_split 0
		.amdhsa_exception_fp_ieee_invalid_op 0
		.amdhsa_exception_fp_denorm_src 0
		.amdhsa_exception_fp_ieee_div_zero 0
		.amdhsa_exception_fp_ieee_overflow 0
		.amdhsa_exception_fp_ieee_underflow 0
		.amdhsa_exception_fp_ieee_inexact 0
		.amdhsa_exception_int_div_zero 0
	.end_amdhsa_kernel
	.section	.text._ZN7rocprim17ROCPRIM_400000_NS6detail17trampoline_kernelINS0_14default_configENS1_20scan_config_selectorI11FixedVectorIiLj1EEEEZZNS1_9scan_implILNS1_25lookback_scan_determinismE0ELb1ELb1ES3_N6thrust23THRUST_200600_302600_NS6detail15normal_iteratorINSB_10device_ptrIS6_EEEESG_S6_NSB_4plusIvEES6_EEDaPvRmT3_T4_T5_mT6_P12ihipStream_tbENKUlT_T0_E_clISt17integral_constantIbLb1EESW_EEDaSR_SS_EUlSR_E_NS1_11comp_targetILNS1_3genE0ELNS1_11target_archE4294967295ELNS1_3gpuE0ELNS1_3repE0EEENS1_30default_config_static_selectorELNS0_4arch9wavefront6targetE1EEEvT1_,"axG",@progbits,_ZN7rocprim17ROCPRIM_400000_NS6detail17trampoline_kernelINS0_14default_configENS1_20scan_config_selectorI11FixedVectorIiLj1EEEEZZNS1_9scan_implILNS1_25lookback_scan_determinismE0ELb1ELb1ES3_N6thrust23THRUST_200600_302600_NS6detail15normal_iteratorINSB_10device_ptrIS6_EEEESG_S6_NSB_4plusIvEES6_EEDaPvRmT3_T4_T5_mT6_P12ihipStream_tbENKUlT_T0_E_clISt17integral_constantIbLb1EESW_EEDaSR_SS_EUlSR_E_NS1_11comp_targetILNS1_3genE0ELNS1_11target_archE4294967295ELNS1_3gpuE0ELNS1_3repE0EEENS1_30default_config_static_selectorELNS0_4arch9wavefront6targetE1EEEvT1_,comdat
.Lfunc_end6480:
	.size	_ZN7rocprim17ROCPRIM_400000_NS6detail17trampoline_kernelINS0_14default_configENS1_20scan_config_selectorI11FixedVectorIiLj1EEEEZZNS1_9scan_implILNS1_25lookback_scan_determinismE0ELb1ELb1ES3_N6thrust23THRUST_200600_302600_NS6detail15normal_iteratorINSB_10device_ptrIS6_EEEESG_S6_NSB_4plusIvEES6_EEDaPvRmT3_T4_T5_mT6_P12ihipStream_tbENKUlT_T0_E_clISt17integral_constantIbLb1EESW_EEDaSR_SS_EUlSR_E_NS1_11comp_targetILNS1_3genE0ELNS1_11target_archE4294967295ELNS1_3gpuE0ELNS1_3repE0EEENS1_30default_config_static_selectorELNS0_4arch9wavefront6targetE1EEEvT1_, .Lfunc_end6480-_ZN7rocprim17ROCPRIM_400000_NS6detail17trampoline_kernelINS0_14default_configENS1_20scan_config_selectorI11FixedVectorIiLj1EEEEZZNS1_9scan_implILNS1_25lookback_scan_determinismE0ELb1ELb1ES3_N6thrust23THRUST_200600_302600_NS6detail15normal_iteratorINSB_10device_ptrIS6_EEEESG_S6_NSB_4plusIvEES6_EEDaPvRmT3_T4_T5_mT6_P12ihipStream_tbENKUlT_T0_E_clISt17integral_constantIbLb1EESW_EEDaSR_SS_EUlSR_E_NS1_11comp_targetILNS1_3genE0ELNS1_11target_archE4294967295ELNS1_3gpuE0ELNS1_3repE0EEENS1_30default_config_static_selectorELNS0_4arch9wavefront6targetE1EEEvT1_
                                        ; -- End function
	.section	.AMDGPU.csdata,"",@progbits
; Kernel info:
; codeLenInByte = 0
; NumSgprs: 4
; NumVgprs: 0
; NumAgprs: 0
; TotalNumVgprs: 0
; ScratchSize: 0
; MemoryBound: 0
; FloatMode: 240
; IeeeMode: 1
; LDSByteSize: 0 bytes/workgroup (compile time only)
; SGPRBlocks: 0
; VGPRBlocks: 0
; NumSGPRsForWavesPerEU: 4
; NumVGPRsForWavesPerEU: 1
; AccumOffset: 4
; Occupancy: 8
; WaveLimiterHint : 0
; COMPUTE_PGM_RSRC2:SCRATCH_EN: 0
; COMPUTE_PGM_RSRC2:USER_SGPR: 6
; COMPUTE_PGM_RSRC2:TRAP_HANDLER: 0
; COMPUTE_PGM_RSRC2:TGID_X_EN: 1
; COMPUTE_PGM_RSRC2:TGID_Y_EN: 0
; COMPUTE_PGM_RSRC2:TGID_Z_EN: 0
; COMPUTE_PGM_RSRC2:TIDIG_COMP_CNT: 0
; COMPUTE_PGM_RSRC3_GFX90A:ACCUM_OFFSET: 0
; COMPUTE_PGM_RSRC3_GFX90A:TG_SPLIT: 0
	.section	.text._ZN7rocprim17ROCPRIM_400000_NS6detail17trampoline_kernelINS0_14default_configENS1_20scan_config_selectorI11FixedVectorIiLj1EEEEZZNS1_9scan_implILNS1_25lookback_scan_determinismE0ELb1ELb1ES3_N6thrust23THRUST_200600_302600_NS6detail15normal_iteratorINSB_10device_ptrIS6_EEEESG_S6_NSB_4plusIvEES6_EEDaPvRmT3_T4_T5_mT6_P12ihipStream_tbENKUlT_T0_E_clISt17integral_constantIbLb1EESW_EEDaSR_SS_EUlSR_E_NS1_11comp_targetILNS1_3genE5ELNS1_11target_archE942ELNS1_3gpuE9ELNS1_3repE0EEENS1_30default_config_static_selectorELNS0_4arch9wavefront6targetE1EEEvT1_,"axG",@progbits,_ZN7rocprim17ROCPRIM_400000_NS6detail17trampoline_kernelINS0_14default_configENS1_20scan_config_selectorI11FixedVectorIiLj1EEEEZZNS1_9scan_implILNS1_25lookback_scan_determinismE0ELb1ELb1ES3_N6thrust23THRUST_200600_302600_NS6detail15normal_iteratorINSB_10device_ptrIS6_EEEESG_S6_NSB_4plusIvEES6_EEDaPvRmT3_T4_T5_mT6_P12ihipStream_tbENKUlT_T0_E_clISt17integral_constantIbLb1EESW_EEDaSR_SS_EUlSR_E_NS1_11comp_targetILNS1_3genE5ELNS1_11target_archE942ELNS1_3gpuE9ELNS1_3repE0EEENS1_30default_config_static_selectorELNS0_4arch9wavefront6targetE1EEEvT1_,comdat
	.protected	_ZN7rocprim17ROCPRIM_400000_NS6detail17trampoline_kernelINS0_14default_configENS1_20scan_config_selectorI11FixedVectorIiLj1EEEEZZNS1_9scan_implILNS1_25lookback_scan_determinismE0ELb1ELb1ES3_N6thrust23THRUST_200600_302600_NS6detail15normal_iteratorINSB_10device_ptrIS6_EEEESG_S6_NSB_4plusIvEES6_EEDaPvRmT3_T4_T5_mT6_P12ihipStream_tbENKUlT_T0_E_clISt17integral_constantIbLb1EESW_EEDaSR_SS_EUlSR_E_NS1_11comp_targetILNS1_3genE5ELNS1_11target_archE942ELNS1_3gpuE9ELNS1_3repE0EEENS1_30default_config_static_selectorELNS0_4arch9wavefront6targetE1EEEvT1_ ; -- Begin function _ZN7rocprim17ROCPRIM_400000_NS6detail17trampoline_kernelINS0_14default_configENS1_20scan_config_selectorI11FixedVectorIiLj1EEEEZZNS1_9scan_implILNS1_25lookback_scan_determinismE0ELb1ELb1ES3_N6thrust23THRUST_200600_302600_NS6detail15normal_iteratorINSB_10device_ptrIS6_EEEESG_S6_NSB_4plusIvEES6_EEDaPvRmT3_T4_T5_mT6_P12ihipStream_tbENKUlT_T0_E_clISt17integral_constantIbLb1EESW_EEDaSR_SS_EUlSR_E_NS1_11comp_targetILNS1_3genE5ELNS1_11target_archE942ELNS1_3gpuE9ELNS1_3repE0EEENS1_30default_config_static_selectorELNS0_4arch9wavefront6targetE1EEEvT1_
	.globl	_ZN7rocprim17ROCPRIM_400000_NS6detail17trampoline_kernelINS0_14default_configENS1_20scan_config_selectorI11FixedVectorIiLj1EEEEZZNS1_9scan_implILNS1_25lookback_scan_determinismE0ELb1ELb1ES3_N6thrust23THRUST_200600_302600_NS6detail15normal_iteratorINSB_10device_ptrIS6_EEEESG_S6_NSB_4plusIvEES6_EEDaPvRmT3_T4_T5_mT6_P12ihipStream_tbENKUlT_T0_E_clISt17integral_constantIbLb1EESW_EEDaSR_SS_EUlSR_E_NS1_11comp_targetILNS1_3genE5ELNS1_11target_archE942ELNS1_3gpuE9ELNS1_3repE0EEENS1_30default_config_static_selectorELNS0_4arch9wavefront6targetE1EEEvT1_
	.p2align	8
	.type	_ZN7rocprim17ROCPRIM_400000_NS6detail17trampoline_kernelINS0_14default_configENS1_20scan_config_selectorI11FixedVectorIiLj1EEEEZZNS1_9scan_implILNS1_25lookback_scan_determinismE0ELb1ELb1ES3_N6thrust23THRUST_200600_302600_NS6detail15normal_iteratorINSB_10device_ptrIS6_EEEESG_S6_NSB_4plusIvEES6_EEDaPvRmT3_T4_T5_mT6_P12ihipStream_tbENKUlT_T0_E_clISt17integral_constantIbLb1EESW_EEDaSR_SS_EUlSR_E_NS1_11comp_targetILNS1_3genE5ELNS1_11target_archE942ELNS1_3gpuE9ELNS1_3repE0EEENS1_30default_config_static_selectorELNS0_4arch9wavefront6targetE1EEEvT1_,@function
_ZN7rocprim17ROCPRIM_400000_NS6detail17trampoline_kernelINS0_14default_configENS1_20scan_config_selectorI11FixedVectorIiLj1EEEEZZNS1_9scan_implILNS1_25lookback_scan_determinismE0ELb1ELb1ES3_N6thrust23THRUST_200600_302600_NS6detail15normal_iteratorINSB_10device_ptrIS6_EEEESG_S6_NSB_4plusIvEES6_EEDaPvRmT3_T4_T5_mT6_P12ihipStream_tbENKUlT_T0_E_clISt17integral_constantIbLb1EESW_EEDaSR_SS_EUlSR_E_NS1_11comp_targetILNS1_3genE5ELNS1_11target_archE942ELNS1_3gpuE9ELNS1_3repE0EEENS1_30default_config_static_selectorELNS0_4arch9wavefront6targetE1EEEvT1_: ; @_ZN7rocprim17ROCPRIM_400000_NS6detail17trampoline_kernelINS0_14default_configENS1_20scan_config_selectorI11FixedVectorIiLj1EEEEZZNS1_9scan_implILNS1_25lookback_scan_determinismE0ELb1ELb1ES3_N6thrust23THRUST_200600_302600_NS6detail15normal_iteratorINSB_10device_ptrIS6_EEEESG_S6_NSB_4plusIvEES6_EEDaPvRmT3_T4_T5_mT6_P12ihipStream_tbENKUlT_T0_E_clISt17integral_constantIbLb1EESW_EEDaSR_SS_EUlSR_E_NS1_11comp_targetILNS1_3genE5ELNS1_11target_archE942ELNS1_3gpuE9ELNS1_3repE0EEENS1_30default_config_static_selectorELNS0_4arch9wavefront6targetE1EEEvT1_
; %bb.0:
	.section	.rodata,"a",@progbits
	.p2align	6, 0x0
	.amdhsa_kernel _ZN7rocprim17ROCPRIM_400000_NS6detail17trampoline_kernelINS0_14default_configENS1_20scan_config_selectorI11FixedVectorIiLj1EEEEZZNS1_9scan_implILNS1_25lookback_scan_determinismE0ELb1ELb1ES3_N6thrust23THRUST_200600_302600_NS6detail15normal_iteratorINSB_10device_ptrIS6_EEEESG_S6_NSB_4plusIvEES6_EEDaPvRmT3_T4_T5_mT6_P12ihipStream_tbENKUlT_T0_E_clISt17integral_constantIbLb1EESW_EEDaSR_SS_EUlSR_E_NS1_11comp_targetILNS1_3genE5ELNS1_11target_archE942ELNS1_3gpuE9ELNS1_3repE0EEENS1_30default_config_static_selectorELNS0_4arch9wavefront6targetE1EEEvT1_
		.amdhsa_group_segment_fixed_size 0
		.amdhsa_private_segment_fixed_size 0
		.amdhsa_kernarg_size 96
		.amdhsa_user_sgpr_count 6
		.amdhsa_user_sgpr_private_segment_buffer 1
		.amdhsa_user_sgpr_dispatch_ptr 0
		.amdhsa_user_sgpr_queue_ptr 0
		.amdhsa_user_sgpr_kernarg_segment_ptr 1
		.amdhsa_user_sgpr_dispatch_id 0
		.amdhsa_user_sgpr_flat_scratch_init 0
		.amdhsa_user_sgpr_kernarg_preload_length 0
		.amdhsa_user_sgpr_kernarg_preload_offset 0
		.amdhsa_user_sgpr_private_segment_size 0
		.amdhsa_uses_dynamic_stack 0
		.amdhsa_system_sgpr_private_segment_wavefront_offset 0
		.amdhsa_system_sgpr_workgroup_id_x 1
		.amdhsa_system_sgpr_workgroup_id_y 0
		.amdhsa_system_sgpr_workgroup_id_z 0
		.amdhsa_system_sgpr_workgroup_info 0
		.amdhsa_system_vgpr_workitem_id 0
		.amdhsa_next_free_vgpr 1
		.amdhsa_next_free_sgpr 0
		.amdhsa_accum_offset 4
		.amdhsa_reserve_vcc 0
		.amdhsa_reserve_flat_scratch 0
		.amdhsa_float_round_mode_32 0
		.amdhsa_float_round_mode_16_64 0
		.amdhsa_float_denorm_mode_32 3
		.amdhsa_float_denorm_mode_16_64 3
		.amdhsa_dx10_clamp 1
		.amdhsa_ieee_mode 1
		.amdhsa_fp16_overflow 0
		.amdhsa_tg_split 0
		.amdhsa_exception_fp_ieee_invalid_op 0
		.amdhsa_exception_fp_denorm_src 0
		.amdhsa_exception_fp_ieee_div_zero 0
		.amdhsa_exception_fp_ieee_overflow 0
		.amdhsa_exception_fp_ieee_underflow 0
		.amdhsa_exception_fp_ieee_inexact 0
		.amdhsa_exception_int_div_zero 0
	.end_amdhsa_kernel
	.section	.text._ZN7rocprim17ROCPRIM_400000_NS6detail17trampoline_kernelINS0_14default_configENS1_20scan_config_selectorI11FixedVectorIiLj1EEEEZZNS1_9scan_implILNS1_25lookback_scan_determinismE0ELb1ELb1ES3_N6thrust23THRUST_200600_302600_NS6detail15normal_iteratorINSB_10device_ptrIS6_EEEESG_S6_NSB_4plusIvEES6_EEDaPvRmT3_T4_T5_mT6_P12ihipStream_tbENKUlT_T0_E_clISt17integral_constantIbLb1EESW_EEDaSR_SS_EUlSR_E_NS1_11comp_targetILNS1_3genE5ELNS1_11target_archE942ELNS1_3gpuE9ELNS1_3repE0EEENS1_30default_config_static_selectorELNS0_4arch9wavefront6targetE1EEEvT1_,"axG",@progbits,_ZN7rocprim17ROCPRIM_400000_NS6detail17trampoline_kernelINS0_14default_configENS1_20scan_config_selectorI11FixedVectorIiLj1EEEEZZNS1_9scan_implILNS1_25lookback_scan_determinismE0ELb1ELb1ES3_N6thrust23THRUST_200600_302600_NS6detail15normal_iteratorINSB_10device_ptrIS6_EEEESG_S6_NSB_4plusIvEES6_EEDaPvRmT3_T4_T5_mT6_P12ihipStream_tbENKUlT_T0_E_clISt17integral_constantIbLb1EESW_EEDaSR_SS_EUlSR_E_NS1_11comp_targetILNS1_3genE5ELNS1_11target_archE942ELNS1_3gpuE9ELNS1_3repE0EEENS1_30default_config_static_selectorELNS0_4arch9wavefront6targetE1EEEvT1_,comdat
.Lfunc_end6481:
	.size	_ZN7rocprim17ROCPRIM_400000_NS6detail17trampoline_kernelINS0_14default_configENS1_20scan_config_selectorI11FixedVectorIiLj1EEEEZZNS1_9scan_implILNS1_25lookback_scan_determinismE0ELb1ELb1ES3_N6thrust23THRUST_200600_302600_NS6detail15normal_iteratorINSB_10device_ptrIS6_EEEESG_S6_NSB_4plusIvEES6_EEDaPvRmT3_T4_T5_mT6_P12ihipStream_tbENKUlT_T0_E_clISt17integral_constantIbLb1EESW_EEDaSR_SS_EUlSR_E_NS1_11comp_targetILNS1_3genE5ELNS1_11target_archE942ELNS1_3gpuE9ELNS1_3repE0EEENS1_30default_config_static_selectorELNS0_4arch9wavefront6targetE1EEEvT1_, .Lfunc_end6481-_ZN7rocprim17ROCPRIM_400000_NS6detail17trampoline_kernelINS0_14default_configENS1_20scan_config_selectorI11FixedVectorIiLj1EEEEZZNS1_9scan_implILNS1_25lookback_scan_determinismE0ELb1ELb1ES3_N6thrust23THRUST_200600_302600_NS6detail15normal_iteratorINSB_10device_ptrIS6_EEEESG_S6_NSB_4plusIvEES6_EEDaPvRmT3_T4_T5_mT6_P12ihipStream_tbENKUlT_T0_E_clISt17integral_constantIbLb1EESW_EEDaSR_SS_EUlSR_E_NS1_11comp_targetILNS1_3genE5ELNS1_11target_archE942ELNS1_3gpuE9ELNS1_3repE0EEENS1_30default_config_static_selectorELNS0_4arch9wavefront6targetE1EEEvT1_
                                        ; -- End function
	.section	.AMDGPU.csdata,"",@progbits
; Kernel info:
; codeLenInByte = 0
; NumSgprs: 4
; NumVgprs: 0
; NumAgprs: 0
; TotalNumVgprs: 0
; ScratchSize: 0
; MemoryBound: 0
; FloatMode: 240
; IeeeMode: 1
; LDSByteSize: 0 bytes/workgroup (compile time only)
; SGPRBlocks: 0
; VGPRBlocks: 0
; NumSGPRsForWavesPerEU: 4
; NumVGPRsForWavesPerEU: 1
; AccumOffset: 4
; Occupancy: 8
; WaveLimiterHint : 0
; COMPUTE_PGM_RSRC2:SCRATCH_EN: 0
; COMPUTE_PGM_RSRC2:USER_SGPR: 6
; COMPUTE_PGM_RSRC2:TRAP_HANDLER: 0
; COMPUTE_PGM_RSRC2:TGID_X_EN: 1
; COMPUTE_PGM_RSRC2:TGID_Y_EN: 0
; COMPUTE_PGM_RSRC2:TGID_Z_EN: 0
; COMPUTE_PGM_RSRC2:TIDIG_COMP_CNT: 0
; COMPUTE_PGM_RSRC3_GFX90A:ACCUM_OFFSET: 0
; COMPUTE_PGM_RSRC3_GFX90A:TG_SPLIT: 0
	.section	.text._ZN7rocprim17ROCPRIM_400000_NS6detail17trampoline_kernelINS0_14default_configENS1_20scan_config_selectorI11FixedVectorIiLj1EEEEZZNS1_9scan_implILNS1_25lookback_scan_determinismE0ELb1ELb1ES3_N6thrust23THRUST_200600_302600_NS6detail15normal_iteratorINSB_10device_ptrIS6_EEEESG_S6_NSB_4plusIvEES6_EEDaPvRmT3_T4_T5_mT6_P12ihipStream_tbENKUlT_T0_E_clISt17integral_constantIbLb1EESW_EEDaSR_SS_EUlSR_E_NS1_11comp_targetILNS1_3genE4ELNS1_11target_archE910ELNS1_3gpuE8ELNS1_3repE0EEENS1_30default_config_static_selectorELNS0_4arch9wavefront6targetE1EEEvT1_,"axG",@progbits,_ZN7rocprim17ROCPRIM_400000_NS6detail17trampoline_kernelINS0_14default_configENS1_20scan_config_selectorI11FixedVectorIiLj1EEEEZZNS1_9scan_implILNS1_25lookback_scan_determinismE0ELb1ELb1ES3_N6thrust23THRUST_200600_302600_NS6detail15normal_iteratorINSB_10device_ptrIS6_EEEESG_S6_NSB_4plusIvEES6_EEDaPvRmT3_T4_T5_mT6_P12ihipStream_tbENKUlT_T0_E_clISt17integral_constantIbLb1EESW_EEDaSR_SS_EUlSR_E_NS1_11comp_targetILNS1_3genE4ELNS1_11target_archE910ELNS1_3gpuE8ELNS1_3repE0EEENS1_30default_config_static_selectorELNS0_4arch9wavefront6targetE1EEEvT1_,comdat
	.protected	_ZN7rocprim17ROCPRIM_400000_NS6detail17trampoline_kernelINS0_14default_configENS1_20scan_config_selectorI11FixedVectorIiLj1EEEEZZNS1_9scan_implILNS1_25lookback_scan_determinismE0ELb1ELb1ES3_N6thrust23THRUST_200600_302600_NS6detail15normal_iteratorINSB_10device_ptrIS6_EEEESG_S6_NSB_4plusIvEES6_EEDaPvRmT3_T4_T5_mT6_P12ihipStream_tbENKUlT_T0_E_clISt17integral_constantIbLb1EESW_EEDaSR_SS_EUlSR_E_NS1_11comp_targetILNS1_3genE4ELNS1_11target_archE910ELNS1_3gpuE8ELNS1_3repE0EEENS1_30default_config_static_selectorELNS0_4arch9wavefront6targetE1EEEvT1_ ; -- Begin function _ZN7rocprim17ROCPRIM_400000_NS6detail17trampoline_kernelINS0_14default_configENS1_20scan_config_selectorI11FixedVectorIiLj1EEEEZZNS1_9scan_implILNS1_25lookback_scan_determinismE0ELb1ELb1ES3_N6thrust23THRUST_200600_302600_NS6detail15normal_iteratorINSB_10device_ptrIS6_EEEESG_S6_NSB_4plusIvEES6_EEDaPvRmT3_T4_T5_mT6_P12ihipStream_tbENKUlT_T0_E_clISt17integral_constantIbLb1EESW_EEDaSR_SS_EUlSR_E_NS1_11comp_targetILNS1_3genE4ELNS1_11target_archE910ELNS1_3gpuE8ELNS1_3repE0EEENS1_30default_config_static_selectorELNS0_4arch9wavefront6targetE1EEEvT1_
	.globl	_ZN7rocprim17ROCPRIM_400000_NS6detail17trampoline_kernelINS0_14default_configENS1_20scan_config_selectorI11FixedVectorIiLj1EEEEZZNS1_9scan_implILNS1_25lookback_scan_determinismE0ELb1ELb1ES3_N6thrust23THRUST_200600_302600_NS6detail15normal_iteratorINSB_10device_ptrIS6_EEEESG_S6_NSB_4plusIvEES6_EEDaPvRmT3_T4_T5_mT6_P12ihipStream_tbENKUlT_T0_E_clISt17integral_constantIbLb1EESW_EEDaSR_SS_EUlSR_E_NS1_11comp_targetILNS1_3genE4ELNS1_11target_archE910ELNS1_3gpuE8ELNS1_3repE0EEENS1_30default_config_static_selectorELNS0_4arch9wavefront6targetE1EEEvT1_
	.p2align	8
	.type	_ZN7rocprim17ROCPRIM_400000_NS6detail17trampoline_kernelINS0_14default_configENS1_20scan_config_selectorI11FixedVectorIiLj1EEEEZZNS1_9scan_implILNS1_25lookback_scan_determinismE0ELb1ELb1ES3_N6thrust23THRUST_200600_302600_NS6detail15normal_iteratorINSB_10device_ptrIS6_EEEESG_S6_NSB_4plusIvEES6_EEDaPvRmT3_T4_T5_mT6_P12ihipStream_tbENKUlT_T0_E_clISt17integral_constantIbLb1EESW_EEDaSR_SS_EUlSR_E_NS1_11comp_targetILNS1_3genE4ELNS1_11target_archE910ELNS1_3gpuE8ELNS1_3repE0EEENS1_30default_config_static_selectorELNS0_4arch9wavefront6targetE1EEEvT1_,@function
_ZN7rocprim17ROCPRIM_400000_NS6detail17trampoline_kernelINS0_14default_configENS1_20scan_config_selectorI11FixedVectorIiLj1EEEEZZNS1_9scan_implILNS1_25lookback_scan_determinismE0ELb1ELb1ES3_N6thrust23THRUST_200600_302600_NS6detail15normal_iteratorINSB_10device_ptrIS6_EEEESG_S6_NSB_4plusIvEES6_EEDaPvRmT3_T4_T5_mT6_P12ihipStream_tbENKUlT_T0_E_clISt17integral_constantIbLb1EESW_EEDaSR_SS_EUlSR_E_NS1_11comp_targetILNS1_3genE4ELNS1_11target_archE910ELNS1_3gpuE8ELNS1_3repE0EEENS1_30default_config_static_selectorELNS0_4arch9wavefront6targetE1EEEvT1_: ; @_ZN7rocprim17ROCPRIM_400000_NS6detail17trampoline_kernelINS0_14default_configENS1_20scan_config_selectorI11FixedVectorIiLj1EEEEZZNS1_9scan_implILNS1_25lookback_scan_determinismE0ELb1ELb1ES3_N6thrust23THRUST_200600_302600_NS6detail15normal_iteratorINSB_10device_ptrIS6_EEEESG_S6_NSB_4plusIvEES6_EEDaPvRmT3_T4_T5_mT6_P12ihipStream_tbENKUlT_T0_E_clISt17integral_constantIbLb1EESW_EEDaSR_SS_EUlSR_E_NS1_11comp_targetILNS1_3genE4ELNS1_11target_archE910ELNS1_3gpuE8ELNS1_3repE0EEENS1_30default_config_static_selectorELNS0_4arch9wavefront6targetE1EEEvT1_
; %bb.0:
	s_load_dword s33, s[4:5], 0x20
	s_load_dwordx2 s[6:7], s[4:5], 0x28
	v_cmp_ne_u32_e64 s[2:3], 0, v0
	v_cmp_eq_u32_e64 s[0:1], 0, v0
	s_and_saveexec_b64 s[8:9], s[0:1]
	s_cbranch_execz .LBB6482_4
; %bb.1:
	s_mov_b64 s[12:13], exec
	v_mbcnt_lo_u32_b32 v1, s12, 0
	v_mbcnt_hi_u32_b32 v1, s13, v1
	v_cmp_eq_u32_e32 vcc, 0, v1
                                        ; implicit-def: $vgpr2
	s_and_saveexec_b64 s[10:11], vcc
	s_cbranch_execz .LBB6482_3
; %bb.2:
	s_load_dwordx2 s[14:15], s[4:5], 0x58
	s_bcnt1_i32_b64 s12, s[12:13]
	v_mov_b32_e32 v2, 0
	v_mov_b32_e32 v3, s12
	s_waitcnt lgkmcnt(0)
	global_atomic_add v2, v2, v3, s[14:15] glc
.LBB6482_3:
	s_or_b64 exec, exec, s[10:11]
	s_waitcnt vmcnt(0)
	v_readfirstlane_b32 s10, v2
	v_add_u32_e32 v1, s10, v1
	v_mov_b32_e32 v2, 0
	ds_write_b32 v2, v1
.LBB6482_4:
	s_or_b64 exec, exec, s[8:9]
	s_load_dwordx8 s[16:23], s[4:5], 0x0
	s_load_dword s24, s[4:5], 0x30
	s_load_dwordx8 s[8:15], s[4:5], 0x38
	v_mov_b32_e32 v1, 0
	s_waitcnt lgkmcnt(0)
	s_barrier
	ds_read_b32 v1, v1
	s_lshl_b64 s[18:19], s[18:19], 2
	s_add_u32 s34, s16, s18
	s_addc_u32 s35, s17, s19
	s_add_i32 s16, s24, -1
	s_mul_i32 s17, s16, 0x500
	s_sub_u32 s30, s22, s17
	s_waitcnt lgkmcnt(0)
	v_readfirstlane_b32 s36, v1
	s_subb_u32 s31, s23, 0
	s_mov_b32 s5, 0
	s_mul_i32 s4, s36, 0x500
	s_cmp_lg_u32 s36, s16
	s_cselect_b64 s[16:17], -1, 0
	s_lshl_b64 s[22:23], s[4:5], 2
	s_add_u32 s24, s34, s22
	s_addc_u32 s25, s35, s23
	s_mov_b64 s[4:5], -1
	s_and_b64 vcc, exec, s[16:17]
	v_lshlrev_b32_e32 v22, 2, v0
	s_barrier
	s_cbranch_vccz .LBB6482_6
; %bb.5:
	v_mov_b32_e32 v1, s25
	v_add_co_u32_e32 v2, vcc, s24, v22
	v_addc_co_u32_e32 v3, vcc, 0, v1, vcc
	flat_load_dword v1, v[2:3]
	flat_load_dword v4, v[2:3] offset:512
	flat_load_dword v5, v[2:3] offset:1024
	;; [unrolled: 1-line block ×7, first 2 shown]
	v_add_co_u32_e32 v2, vcc, 0x1000, v2
	v_addc_co_u32_e32 v3, vcc, 0, v3, vcc
	flat_load_dword v11, v[2:3]
	flat_load_dword v12, v[2:3] offset:512
	s_mov_b64 s[4:5], 0
	s_waitcnt vmcnt(0) lgkmcnt(0)
	ds_write2st64_b32 v22, v1, v4 offset1:2
	ds_write2st64_b32 v22, v5, v6 offset0:4 offset1:6
	ds_write2st64_b32 v22, v7, v8 offset0:8 offset1:10
	;; [unrolled: 1-line block ×4, first 2 shown]
	s_waitcnt lgkmcnt(0)
	s_barrier
.LBB6482_6:
	s_andn2_b64 vcc, exec, s[4:5]
	v_cmp_gt_u32_e64 s[4:5], s30, v0
	s_cbranch_vccnz .LBB6482_28
; %bb.7:
	v_pk_mov_b32 v[2:3], s[24:25], s[24:25] op_sel:[0,1]
	flat_load_dword v1, v[2:3]
	s_waitcnt vmcnt(0) lgkmcnt(0)
	v_mov_b32_e32 v2, v1
	s_and_saveexec_b64 s[26:27], s[4:5]
	s_cbranch_execz .LBB6482_9
; %bb.8:
	v_mov_b32_e32 v3, s25
	v_add_co_u32_e32 v2, vcc, s24, v22
	v_addc_co_u32_e32 v3, vcc, 0, v3, vcc
	flat_load_dword v2, v[2:3]
.LBB6482_9:
	s_or_b64 exec, exec, s[26:27]
	v_or_b32_e32 v3, 0x80, v0
	v_cmp_gt_u32_e32 vcc, s30, v3
	v_mov_b32_e32 v3, v1
	s_and_saveexec_b64 s[4:5], vcc
	s_cbranch_execz .LBB6482_11
; %bb.10:
	v_mov_b32_e32 v3, s25
	v_add_co_u32_e32 v4, vcc, s24, v22
	v_addc_co_u32_e32 v5, vcc, 0, v3, vcc
	flat_load_dword v3, v[4:5] offset:512
.LBB6482_11:
	s_or_b64 exec, exec, s[4:5]
	v_or_b32_e32 v4, 0x100, v0
	v_cmp_gt_u32_e32 vcc, s30, v4
	v_mov_b32_e32 v4, v1
	s_and_saveexec_b64 s[4:5], vcc
	s_cbranch_execz .LBB6482_13
; %bb.12:
	v_mov_b32_e32 v5, s25
	v_add_co_u32_e32 v4, vcc, s24, v22
	v_addc_co_u32_e32 v5, vcc, 0, v5, vcc
	flat_load_dword v4, v[4:5] offset:1024
.LBB6482_13:
	;; [unrolled: 12-line block ×7, first 2 shown]
	s_or_b64 exec, exec, s[4:5]
	v_or_b32_e32 v11, 0x400, v0
	v_cmp_gt_u32_e32 vcc, s30, v11
	v_mov_b32_e32 v10, v1
	s_and_saveexec_b64 s[4:5], vcc
	s_cbranch_execz .LBB6482_25
; %bb.24:
	v_lshlrev_b32_e32 v10, 2, v11
	v_mov_b32_e32 v11, s25
	v_add_co_u32_e32 v10, vcc, s24, v10
	v_addc_co_u32_e32 v11, vcc, 0, v11, vcc
	flat_load_dword v10, v[10:11]
.LBB6482_25:
	s_or_b64 exec, exec, s[4:5]
	v_or_b32_e32 v11, 0x480, v0
	v_cmp_gt_u32_e32 vcc, s30, v11
	s_and_saveexec_b64 s[4:5], vcc
	s_cbranch_execz .LBB6482_27
; %bb.26:
	v_lshlrev_b32_e32 v1, 2, v11
	v_mov_b32_e32 v11, s25
	v_add_co_u32_e32 v12, vcc, s24, v1
	v_addc_co_u32_e32 v13, vcc, 0, v11, vcc
	flat_load_dword v1, v[12:13]
.LBB6482_27:
	s_or_b64 exec, exec, s[4:5]
	s_waitcnt vmcnt(0) lgkmcnt(0)
	ds_write2st64_b32 v22, v2, v3 offset1:2
	ds_write2st64_b32 v22, v4, v5 offset0:4 offset1:6
	ds_write2st64_b32 v22, v6, v7 offset0:8 offset1:10
	;; [unrolled: 1-line block ×4, first 2 shown]
	s_waitcnt lgkmcnt(0)
	s_barrier
.LBB6482_28:
	v_mul_u32_u24_e32 v23, 10, v0
	v_lshlrev_b32_e32 v1, 2, v23
	ds_read2_b64 v[6:9], v1 offset1:1
	ds_read2_b64 v[2:5], v1 offset0:2 offset1:3
	ds_read_b64 v[10:11], v1 offset:32
	s_cmp_lg_u32 s36, 0
	v_lshrrev_b32_e32 v24, 5, v0
	s_waitcnt lgkmcnt(2)
	v_add_u32_e32 v12, v7, v6
	v_add3_u32 v25, v12, v8, v9
	v_cmp_gt_u32_e32 vcc, 64, v0
	s_waitcnt lgkmcnt(0)
	s_barrier
	s_cbranch_scc0 .LBB6482_57
; %bb.29:
	v_add3_u32 v12, v25, v2, v3
	v_add3_u32 v12, v12, v4, v5
	;; [unrolled: 1-line block ×3, first 2 shown]
	v_add_lshl_u32 v13, v24, v0, 2
	ds_write_b32 v13, v12
	s_waitcnt lgkmcnt(0)
	s_barrier
	s_and_saveexec_b64 s[24:25], vcc
	s_cbranch_execz .LBB6482_31
; %bb.30:
	v_lshlrev_b32_e32 v13, 1, v0
	v_lshrrev_b32_e32 v14, 4, v0
	v_add_lshl_u32 v13, v14, v13, 2
	ds_read2_b32 v[14:15], v13 offset1:1
	v_mbcnt_lo_u32_b32 v16, -1, 0
	v_mbcnt_hi_u32_b32 v16, -1, v16
	v_and_b32_e32 v17, 15, v16
	v_cmp_ne_u32_e64 s[4:5], 0, v17
	s_waitcnt lgkmcnt(0)
	v_add_u32_e32 v15, v15, v14
	; wave barrier
	s_nop 1
	v_mov_b32_dpp v18, v15 row_shr:1 row_mask:0xf bank_mask:0xf
	v_cndmask_b32_e64 v18, 0, v18, s[4:5]
	v_add_u32_e32 v15, v18, v15
	v_cmp_lt_u32_e64 s[4:5], 1, v17
	s_nop 0
	v_mov_b32_dpp v18, v15 row_shr:2 row_mask:0xf bank_mask:0xf
	v_cndmask_b32_e64 v18, 0, v18, s[4:5]
	v_add_u32_e32 v15, v15, v18
	v_cmp_lt_u32_e64 s[4:5], 3, v17
	;; [unrolled: 5-line block ×3, first 2 shown]
	s_nop 0
	v_mov_b32_dpp v18, v15 row_shr:8 row_mask:0xf bank_mask:0xf
	v_cndmask_b32_e64 v17, 0, v18, s[4:5]
	v_add_u32_e32 v15, v15, v17
	v_bfe_i32 v18, v16, 4, 1
	v_cmp_lt_u32_e64 s[4:5], 31, v16
	v_mov_b32_dpp v17, v15 row_bcast:15 row_mask:0xf bank_mask:0xf
	v_and_b32_e32 v17, v18, v17
	v_add_u32_e32 v15, v15, v17
	v_and_b32_e32 v18, 64, v16
	s_nop 0
	v_mov_b32_dpp v17, v15 row_bcast:31 row_mask:0xf bank_mask:0xf
	v_cndmask_b32_e64 v17, 0, v17, s[4:5]
	v_add_u32_e32 v15, v15, v17
	v_add_u32_e32 v17, -1, v16
	v_cmp_lt_i32_e64 s[4:5], v17, v18
	v_cndmask_b32_e64 v16, v17, v16, s[4:5]
	v_lshlrev_b32_e32 v16, 2, v16
	ds_bpermute_b32 v15, v16, v15
	s_waitcnt lgkmcnt(0)
	v_add_u32_e32 v14, v15, v14
	v_cndmask_b32_e64 v12, v14, v12, s[0:1]
	ds_write_b32 v13, v12
	; wave barrier
	ds_read_b32 v14, v13 offset:4
	s_waitcnt lgkmcnt(0)
	v_add_u32_e32 v12, v14, v12
	ds_write_b32 v13, v12 offset:4
.LBB6482_31:
	s_or_b64 exec, exec, s[24:25]
	v_mov_b32_e32 v26, 0
	s_waitcnt lgkmcnt(0)
	s_barrier
	s_and_saveexec_b64 s[4:5], s[2:3]
	s_cbranch_execz .LBB6482_33
; %bb.32:
	v_add_u32_e32 v12, -1, v0
	v_lshrrev_b32_e32 v13, 5, v12
	v_add_lshl_u32 v12, v13, v12, 2
	ds_read_b32 v26, v12
.LBB6482_33:
	s_or_b64 exec, exec, s[4:5]
	s_and_saveexec_b64 s[24:25], vcc
	s_cbranch_execz .LBB6482_56
; %bb.34:
	v_mov_b32_e32 v21, 0
	ds_read_b32 v12, v21 offset:520
	v_mbcnt_lo_u32_b32 v13, -1, 0
	v_mbcnt_hi_u32_b32 v15, -1, v13
	s_mov_b32 s29, 0
	v_cmp_eq_u32_e64 s[4:5], 0, v15
	s_and_saveexec_b64 s[26:27], s[4:5]
	s_cbranch_execz .LBB6482_36
; %bb.35:
	s_add_i32 s28, s36, 64
	s_lshl_b64 s[28:29], s[28:29], 3
	s_add_u32 s28, s6, s28
	v_mov_b32_e32 v13, 1
	s_addc_u32 s29, s7, s29
	s_waitcnt lgkmcnt(0)
	global_store_dwordx2 v21, v[12:13], s[28:29]
.LBB6482_36:
	s_or_b64 exec, exec, s[26:27]
	v_xad_u32 v14, v15, -1, s36
	v_add_u32_e32 v20, 64, v14
	v_lshlrev_b64 v[16:17], 3, v[20:21]
	v_mov_b32_e32 v13, s7
	v_add_co_u32_e32 v16, vcc, s6, v16
	v_addc_co_u32_e32 v17, vcc, v13, v17, vcc
	global_load_dwordx2 v[18:19], v[16:17], off glc
	s_waitcnt vmcnt(0)
	v_cmp_eq_u16_sdwa s[28:29], v19, v21 src0_sel:BYTE_0 src1_sel:DWORD
	s_and_saveexec_b64 s[26:27], s[28:29]
	s_cbranch_execz .LBB6482_42
; %bb.37:
	s_mov_b32 s37, 1
	s_mov_b64 s[28:29], 0
	v_mov_b32_e32 v13, 0
.LBB6482_38:                            ; =>This Loop Header: Depth=1
                                        ;     Child Loop BB6482_39 Depth 2
	s_max_u32 s38, s37, 1
.LBB6482_39:                            ;   Parent Loop BB6482_38 Depth=1
                                        ; =>  This Inner Loop Header: Depth=2
	s_add_i32 s38, s38, -1
	s_cmp_eq_u32 s38, 0
	s_sleep 1
	s_cbranch_scc0 .LBB6482_39
; %bb.40:                               ;   in Loop: Header=BB6482_38 Depth=1
	global_load_dwordx2 v[18:19], v[16:17], off glc
	s_cmp_lt_u32 s37, 32
	s_cselect_b64 s[38:39], -1, 0
	s_cmp_lg_u64 s[38:39], 0
	s_addc_u32 s37, s37, 0
	s_waitcnt vmcnt(0)
	v_cmp_ne_u16_sdwa s[38:39], v19, v13 src0_sel:BYTE_0 src1_sel:DWORD
	s_or_b64 s[28:29], s[38:39], s[28:29]
	s_andn2_b64 exec, exec, s[28:29]
	s_cbranch_execnz .LBB6482_38
; %bb.41:
	s_or_b64 exec, exec, s[28:29]
.LBB6482_42:
	s_or_b64 exec, exec, s[26:27]
	v_and_b32_e32 v27, 63, v15
	v_mov_b32_e32 v13, 2
	v_cmp_ne_u32_e32 vcc, 63, v27
	v_cmp_eq_u16_sdwa s[26:27], v19, v13 src0_sel:BYTE_0 src1_sel:DWORD
	v_lshlrev_b64 v[16:17], v15, -1
	v_addc_co_u32_e32 v28, vcc, 0, v15, vcc
	v_and_b32_e32 v20, s27, v17
	v_lshlrev_b32_e32 v28, 2, v28
	v_or_b32_e32 v20, 0x80000000, v20
	ds_bpermute_b32 v29, v28, v18
	v_and_b32_e32 v21, s26, v16
	v_ffbl_b32_e32 v20, v20
	v_add_u32_e32 v20, 32, v20
	v_ffbl_b32_e32 v21, v21
	v_min_u32_e32 v20, v21, v20
	v_cmp_lt_u32_e32 vcc, v27, v20
	s_waitcnt lgkmcnt(0)
	v_cndmask_b32_e32 v21, 0, v29, vcc
	v_cmp_gt_u32_e32 vcc, 62, v27
	v_add_u32_e32 v18, v21, v18
	v_cndmask_b32_e64 v21, 0, 1, vcc
	v_lshlrev_b32_e32 v21, 1, v21
	v_add_lshl_u32 v29, v21, v15, 2
	ds_bpermute_b32 v21, v29, v18
	v_add_u32_e32 v30, 2, v27
	v_cmp_le_u32_e32 vcc, v30, v20
	v_add_u32_e32 v32, 4, v27
	v_add_u32_e32 v34, 8, v27
	s_waitcnt lgkmcnt(0)
	v_cndmask_b32_e32 v21, 0, v21, vcc
	v_cmp_gt_u32_e32 vcc, 60, v27
	v_add_u32_e32 v18, v18, v21
	v_cndmask_b32_e64 v21, 0, 1, vcc
	v_lshlrev_b32_e32 v21, 2, v21
	v_add_lshl_u32 v31, v21, v15, 2
	ds_bpermute_b32 v21, v31, v18
	v_cmp_le_u32_e32 vcc, v32, v20
	v_add_u32_e32 v37, 16, v27
	v_add_u32_e32 v39, 32, v27
	s_waitcnt lgkmcnt(0)
	v_cndmask_b32_e32 v21, 0, v21, vcc
	v_cmp_gt_u32_e32 vcc, 56, v27
	v_add_u32_e32 v18, v18, v21
	v_cndmask_b32_e64 v21, 0, 1, vcc
	v_lshlrev_b32_e32 v21, 3, v21
	v_add_lshl_u32 v33, v21, v15, 2
	ds_bpermute_b32 v21, v33, v18
	v_cmp_le_u32_e32 vcc, v34, v20
	s_waitcnt lgkmcnt(0)
	v_cndmask_b32_e32 v21, 0, v21, vcc
	v_cmp_gt_u32_e32 vcc, 48, v27
	v_add_u32_e32 v18, v18, v21
	v_cndmask_b32_e64 v21, 0, 1, vcc
	v_lshlrev_b32_e32 v21, 4, v21
	v_add_lshl_u32 v36, v21, v15, 2
	ds_bpermute_b32 v21, v36, v18
	v_cmp_le_u32_e32 vcc, v37, v20
	;; [unrolled: 9-line block ×3, first 2 shown]
	s_waitcnt lgkmcnt(0)
	v_cndmask_b32_e32 v15, 0, v15, vcc
	v_add_u32_e32 v18, v18, v15
	v_mov_b32_e32 v15, 0
	s_branch .LBB6482_44
.LBB6482_43:                            ;   in Loop: Header=BB6482_44 Depth=1
	s_or_b64 exec, exec, s[26:27]
	v_cmp_eq_u16_sdwa s[26:27], v19, v13 src0_sel:BYTE_0 src1_sel:DWORD
	v_and_b32_e32 v20, s27, v17
	v_or_b32_e32 v20, 0x80000000, v20
	ds_bpermute_b32 v40, v28, v18
	v_and_b32_e32 v21, s26, v16
	v_ffbl_b32_e32 v20, v20
	v_add_u32_e32 v20, 32, v20
	v_ffbl_b32_e32 v21, v21
	v_min_u32_e32 v20, v21, v20
	v_cmp_lt_u32_e32 vcc, v27, v20
	s_waitcnt lgkmcnt(0)
	v_cndmask_b32_e32 v21, 0, v40, vcc
	v_add_u32_e32 v18, v21, v18
	ds_bpermute_b32 v21, v29, v18
	v_cmp_le_u32_e32 vcc, v30, v20
	v_subrev_u32_e32 v14, 64, v14
	s_waitcnt lgkmcnt(0)
	v_cndmask_b32_e32 v21, 0, v21, vcc
	v_add_u32_e32 v18, v18, v21
	ds_bpermute_b32 v21, v31, v18
	v_cmp_le_u32_e32 vcc, v32, v20
	s_waitcnt lgkmcnt(0)
	v_cndmask_b32_e32 v21, 0, v21, vcc
	v_add_u32_e32 v18, v18, v21
	ds_bpermute_b32 v21, v33, v18
	v_cmp_le_u32_e32 vcc, v34, v20
	;; [unrolled: 5-line block ×4, first 2 shown]
	s_waitcnt lgkmcnt(0)
	v_cndmask_b32_e32 v20, 0, v21, vcc
	v_add3_u32 v18, v20, v35, v18
.LBB6482_44:                            ; =>This Loop Header: Depth=1
                                        ;     Child Loop BB6482_47 Depth 2
                                        ;       Child Loop BB6482_48 Depth 3
	v_cmp_ne_u16_sdwa s[26:27], v19, v13 src0_sel:BYTE_0 src1_sel:DWORD
	v_cndmask_b32_e64 v19, 0, 1, s[26:27]
	;;#ASMSTART
	;;#ASMEND
	v_cmp_ne_u32_e32 vcc, 0, v19
	s_cmp_lg_u64 vcc, exec
	v_mov_b32_e32 v35, v18
	s_cbranch_scc1 .LBB6482_51
; %bb.45:                               ;   in Loop: Header=BB6482_44 Depth=1
	v_lshlrev_b64 v[18:19], 3, v[14:15]
	v_mov_b32_e32 v21, s7
	v_add_co_u32_e32 v20, vcc, s6, v18
	v_addc_co_u32_e32 v21, vcc, v21, v19, vcc
	global_load_dwordx2 v[18:19], v[20:21], off glc
	s_waitcnt vmcnt(0)
	v_cmp_eq_u16_sdwa s[28:29], v19, v15 src0_sel:BYTE_0 src1_sel:DWORD
	s_and_saveexec_b64 s[26:27], s[28:29]
	s_cbranch_execz .LBB6482_43
; %bb.46:                               ;   in Loop: Header=BB6482_44 Depth=1
	s_mov_b32 s37, 1
	s_mov_b64 s[28:29], 0
.LBB6482_47:                            ;   Parent Loop BB6482_44 Depth=1
                                        ; =>  This Loop Header: Depth=2
                                        ;       Child Loop BB6482_48 Depth 3
	s_max_u32 s38, s37, 1
.LBB6482_48:                            ;   Parent Loop BB6482_44 Depth=1
                                        ;     Parent Loop BB6482_47 Depth=2
                                        ; =>    This Inner Loop Header: Depth=3
	s_add_i32 s38, s38, -1
	s_cmp_eq_u32 s38, 0
	s_sleep 1
	s_cbranch_scc0 .LBB6482_48
; %bb.49:                               ;   in Loop: Header=BB6482_47 Depth=2
	global_load_dwordx2 v[18:19], v[20:21], off glc
	s_cmp_lt_u32 s37, 32
	s_cselect_b64 s[38:39], -1, 0
	s_cmp_lg_u64 s[38:39], 0
	s_addc_u32 s37, s37, 0
	s_waitcnt vmcnt(0)
	v_cmp_ne_u16_sdwa s[38:39], v19, v15 src0_sel:BYTE_0 src1_sel:DWORD
	s_or_b64 s[28:29], s[38:39], s[28:29]
	s_andn2_b64 exec, exec, s[28:29]
	s_cbranch_execnz .LBB6482_47
; %bb.50:                               ;   in Loop: Header=BB6482_44 Depth=1
	s_or_b64 exec, exec, s[28:29]
	s_branch .LBB6482_43
.LBB6482_51:                            ;   in Loop: Header=BB6482_44 Depth=1
                                        ; implicit-def: $vgpr18
                                        ; implicit-def: $vgpr19
	s_cbranch_execz .LBB6482_44
; %bb.52:
	s_and_saveexec_b64 s[26:27], s[4:5]
	s_cbranch_execz .LBB6482_54
; %bb.53:
	s_add_i32 s4, s36, 64
	s_mov_b32 s5, 0
	s_lshl_b64 s[4:5], s[4:5], 3
	s_add_u32 s4, s6, s4
	v_add_u32_e32 v12, v35, v12
	v_mov_b32_e32 v13, 2
	s_addc_u32 s5, s7, s5
	v_mov_b32_e32 v14, 0
	global_store_dwordx2 v14, v[12:13], s[4:5]
.LBB6482_54:
	s_or_b64 exec, exec, s[26:27]
	s_and_b64 exec, exec, s[0:1]
	s_cbranch_execz .LBB6482_56
; %bb.55:
	v_mov_b32_e32 v12, 0
	ds_write_b32 v12, v35
.LBB6482_56:
	s_or_b64 exec, exec, s[24:25]
	v_mov_b32_e32 v12, 0
	s_waitcnt lgkmcnt(0)
	s_barrier
	ds_read_b32 v12, v12
	s_waitcnt lgkmcnt(0)
	v_add_u32_e32 v12, v12, v26
	s_branch .LBB6482_67
.LBB6482_57:
                                        ; implicit-def: $vgpr12
	s_cbranch_execz .LBB6482_67
; %bb.58:
	s_cmp_eq_u64 s[12:13], 0
	v_mov_b32_e32 v13, s33
	s_cbranch_scc1 .LBB6482_60
; %bb.59:
	v_mov_b32_e32 v13, s35
	v_add_co_u32_e64 v12, vcc, -4, s34
	v_addc_co_u32_e32 v13, vcc, -1, v13, vcc
	v_mov_b32_e32 v14, 0
	flat_load_dword v15, v[12:13]
	global_load_dword v16, v14, s[8:9]
	s_waitcnt vmcnt(0) lgkmcnt(0)
	v_add_u32_e32 v13, v16, v15
.LBB6482_60:
	v_add3_u32 v12, v25, v2, v3
	v_add3_u32 v12, v12, v4, v5
	;; [unrolled: 1-line block ×3, first 2 shown]
	v_add_lshl_u32 v12, v24, v0, 2
	v_cmp_gt_u32_e32 vcc, 64, v0
	ds_write_b32 v12, v11
	s_waitcnt lgkmcnt(0)
	s_barrier
	s_and_saveexec_b64 s[4:5], vcc
	s_cbranch_execz .LBB6482_62
; %bb.61:
	v_lshlrev_b32_e32 v12, 1, v0
	v_lshrrev_b32_e32 v14, 4, v0
	v_add_lshl_u32 v12, v14, v12, 2
	ds_read2_b32 v[14:15], v12 offset1:1
	v_mbcnt_lo_u32_b32 v16, -1, 0
	v_mbcnt_hi_u32_b32 v16, -1, v16
	v_and_b32_e32 v17, 15, v16
	v_cmp_ne_u32_e32 vcc, 0, v17
	s_waitcnt lgkmcnt(0)
	v_add_u32_e32 v15, v15, v14
	; wave barrier
	s_nop 1
	v_mov_b32_dpp v18, v15 row_shr:1 row_mask:0xf bank_mask:0xf
	v_cndmask_b32_e32 v18, 0, v18, vcc
	v_add_u32_e32 v15, v18, v15
	v_cmp_lt_u32_e32 vcc, 1, v17
	s_nop 0
	v_mov_b32_dpp v18, v15 row_shr:2 row_mask:0xf bank_mask:0xf
	v_cndmask_b32_e32 v18, 0, v18, vcc
	v_add_u32_e32 v15, v15, v18
	v_cmp_lt_u32_e32 vcc, 3, v17
	;; [unrolled: 5-line block ×3, first 2 shown]
	s_nop 0
	v_mov_b32_dpp v18, v15 row_shr:8 row_mask:0xf bank_mask:0xf
	v_cndmask_b32_e32 v17, 0, v18, vcc
	v_add_u32_e32 v15, v15, v17
	v_bfe_i32 v18, v16, 4, 1
	v_cmp_lt_u32_e32 vcc, 31, v16
	v_mov_b32_dpp v17, v15 row_bcast:15 row_mask:0xf bank_mask:0xf
	v_and_b32_e32 v17, v18, v17
	v_add_u32_e32 v15, v15, v17
	v_and_b32_e32 v18, 64, v16
	s_nop 0
	v_mov_b32_dpp v17, v15 row_bcast:31 row_mask:0xf bank_mask:0xf
	v_cndmask_b32_e32 v17, 0, v17, vcc
	v_add_u32_e32 v15, v15, v17
	v_add_u32_e32 v17, -1, v16
	v_cmp_lt_i32_e32 vcc, v17, v18
	v_cndmask_b32_e32 v16, v17, v16, vcc
	v_lshlrev_b32_e32 v16, 2, v16
	ds_bpermute_b32 v15, v16, v15
	s_waitcnt lgkmcnt(0)
	v_add_u32_e32 v14, v15, v14
	v_cndmask_b32_e64 v11, v14, v11, s[0:1]
	ds_write_b32 v12, v11
	; wave barrier
	ds_read_b32 v14, v12 offset:4
	s_waitcnt lgkmcnt(0)
	v_add_u32_e32 v11, v14, v11
	ds_write_b32 v12, v11 offset:4
.LBB6482_62:
	s_or_b64 exec, exec, s[4:5]
	v_mov_b32_e32 v12, v13
	s_waitcnt lgkmcnt(0)
	s_barrier
	s_and_saveexec_b64 s[4:5], s[2:3]
	s_cbranch_execz .LBB6482_64
; %bb.63:
	v_add_u32_e32 v11, -1, v0
	v_lshrrev_b32_e32 v12, 5, v11
	v_add_lshl_u32 v11, v12, v11, 2
	ds_read_b32 v11, v11
	s_waitcnt lgkmcnt(0)
	v_add_u32_e32 v12, v11, v13
.LBB6482_64:
	s_or_b64 exec, exec, s[4:5]
	s_and_saveexec_b64 s[2:3], s[0:1]
	s_cbranch_execz .LBB6482_66
; %bb.65:
	v_mov_b32_e32 v11, 0
	ds_read_b32 v14, v11 offset:520
	v_mov_b32_e32 v15, 2
	s_waitcnt lgkmcnt(0)
	v_add_u32_e32 v14, v14, v13
	global_store_dwordx2 v11, v[14:15], s[6:7] offset:512
.LBB6482_66:
	s_or_b64 exec, exec, s[2:3]
.LBB6482_67:
	v_add_u32_e32 v13, v12, v6
	v_add_u32_e32 v14, v13, v7
	;; [unrolled: 1-line block ×5, first 2 shown]
	s_add_u32 s0, s20, s18
	v_add_u32_e32 v8, v7, v3
	s_addc_u32 s1, s21, s19
	v_add_u32_e32 v9, v8, v4
	v_add_u32_e32 v2, v9, v5
	s_add_u32 s2, s0, s22
	v_add_u32_e32 v3, v2, v10
	s_addc_u32 s3, s1, s23
	s_mov_b64 s[0:1], -1
	s_and_b64 vcc, exec, s[16:17]
	s_barrier
	s_cbranch_vccz .LBB6482_69
; %bb.68:
	ds_write2_b64 v1, v[12:13], v[14:15] offset1:1
	ds_write2_b64 v1, v[6:7], v[8:9] offset0:2 offset1:3
	ds_write_b64 v1, v[2:3] offset:32
	s_waitcnt lgkmcnt(0)
	s_barrier
	ds_read2st64_b32 v[4:5], v22 offset1:2
	ds_read2st64_b32 v[10:11], v22 offset0:4 offset1:6
	ds_read2st64_b32 v[16:17], v22 offset0:8 offset1:10
	;; [unrolled: 1-line block ×4, first 2 shown]
	v_mov_b32_e32 v25, s3
	v_add_co_u32_e32 v24, vcc, s2, v22
	v_addc_co_u32_e32 v25, vcc, 0, v25, vcc
	s_waitcnt lgkmcnt(4)
	flat_store_dword v[24:25], v4
	flat_store_dword v[24:25], v5 offset:512
	s_waitcnt lgkmcnt(0)
	flat_store_dword v[24:25], v10 offset:1024
	flat_store_dword v[24:25], v11 offset:1536
	;; [unrolled: 1-line block ×6, first 2 shown]
	v_add_co_u32_e32 v4, vcc, 0x1000, v24
	v_addc_co_u32_e32 v5, vcc, 0, v25, vcc
	flat_store_dword v[4:5], v20
	flat_store_dword v[4:5], v21 offset:512
	s_mov_b64 s[0:1], 0
.LBB6482_69:
	s_andn2_b64 vcc, exec, s[0:1]
	s_cbranch_vccnz .LBB6482_125
; %bb.70:
	ds_write2_b64 v1, v[12:13], v[14:15] offset1:1
	ds_write2_b64 v1, v[6:7], v[8:9] offset0:2 offset1:3
	ds_write_b64 v1, v[2:3] offset:32
	s_waitcnt lgkmcnt(0)
	s_barrier
	ds_read2st64_b32 v[2:3], v22 offset1:2
	ds_read2st64_b32 v[6:7], v22 offset0:4 offset1:6
	ds_read2st64_b32 v[4:5], v22 offset0:8 offset1:10
	;; [unrolled: 1-line block ×4, first 2 shown]
	v_mov_b32_e32 v13, s3
	v_add_co_u32_e32 v12, vcc, s2, v22
	v_addc_co_u32_e32 v13, vcc, 0, v13, vcc
	v_mov_b32_e32 v1, 0
	v_cmp_gt_u32_e32 vcc, s30, v0
	s_and_saveexec_b64 s[0:1], vcc
	s_cbranch_execz .LBB6482_72
; %bb.71:
	s_waitcnt lgkmcnt(0)
	flat_store_dword v[12:13], v2
.LBB6482_72:
	s_or_b64 exec, exec, s[0:1]
	v_or_b32_e32 v14, 0x80, v0
	v_cmp_gt_u32_e32 vcc, s30, v14
	s_and_saveexec_b64 s[0:1], vcc
	s_cbranch_execz .LBB6482_74
; %bb.73:
	s_waitcnt lgkmcnt(0)
	flat_store_dword v[12:13], v3 offset:512
.LBB6482_74:
	s_or_b64 exec, exec, s[0:1]
	v_or_b32_e32 v14, 0x100, v0
	v_cmp_gt_u32_e32 vcc, s30, v14
	s_and_saveexec_b64 s[0:1], vcc
	s_cbranch_execz .LBB6482_76
; %bb.75:
	s_waitcnt lgkmcnt(0)
	flat_store_dword v[12:13], v6 offset:1024
.LBB6482_76:
	;; [unrolled: 9-line block ×7, first 2 shown]
	s_or_b64 exec, exec, s[0:1]
	v_or_b32_e32 v14, 0x400, v0
	v_cmp_gt_u32_e32 vcc, s30, v14
	s_and_saveexec_b64 s[0:1], vcc
	s_cbranch_execz .LBB6482_88
; %bb.87:
	v_add_co_u32_e32 v14, vcc, 0x1000, v12
	v_addc_co_u32_e32 v15, vcc, 0, v13, vcc
	s_waitcnt lgkmcnt(0)
	flat_store_dword v[14:15], v10
.LBB6482_88:
	s_or_b64 exec, exec, s[0:1]
	v_or_b32_e32 v14, 0x480, v0
	v_cmp_gt_u32_e32 vcc, s30, v14
	s_and_saveexec_b64 s[0:1], vcc
	s_cbranch_execz .LBB6482_90
; %bb.89:
	v_add_co_u32_e32 v12, vcc, 0x1000, v12
	v_addc_co_u32_e32 v13, vcc, 0, v13, vcc
	s_waitcnt lgkmcnt(0)
	flat_store_dword v[12:13], v11 offset:512
.LBB6482_90:
	s_or_b64 exec, exec, s[0:1]
	v_cmp_lt_u64_e64 s[0:1], s[14:15], 2
	s_and_b64 vcc, exec, s[0:1]
	s_cbranch_vccnz .LBB6482_125
; %bb.91:
	s_add_u32 s0, s30, -1
	s_addc_u32 s1, s31, -1
	s_add_u32 s2, 0, 0x99986000
	s_addc_u32 s3, 0, 0x59
	s_add_i32 s3, s3, 0x19999940
	s_mul_hi_u32 s7, s2, -10
	s_sub_i32 s7, s7, s2
	s_mul_i32 s8, s3, -10
	s_mul_i32 s4, s2, -10
	s_add_i32 s7, s7, s8
	s_mul_hi_u32 s5, s3, s4
	s_mul_i32 s6, s3, s4
	s_mul_i32 s9, s2, s7
	s_mul_hi_u32 s4, s2, s4
	s_mul_hi_u32 s8, s2, s7
	s_add_u32 s4, s4, s9
	s_addc_u32 s8, 0, s8
	s_add_u32 s4, s4, s6
	s_mul_hi_u32 s9, s3, s7
	s_addc_u32 s4, s8, s5
	s_addc_u32 s5, s9, 0
	s_mul_i32 s6, s3, s7
	s_add_u32 s4, s4, s6
	v_mov_b32_e32 v12, s4
	s_addc_u32 s5, 0, s5
	v_add_co_u32_e32 v12, vcc, s2, v12
	s_cmp_lg_u64 vcc, 0
	s_addc_u32 s2, s3, s5
	v_readfirstlane_b32 s5, v12
	s_mul_i32 s4, s0, s2
	s_mul_hi_u32 s6, s0, s5
	s_mul_hi_u32 s3, s0, s2
	s_add_u32 s4, s6, s4
	s_addc_u32 s3, 0, s3
	s_mul_hi_u32 s7, s1, s5
	s_mul_i32 s5, s1, s5
	s_add_u32 s4, s4, s5
	s_mul_hi_u32 s6, s1, s2
	s_addc_u32 s3, s3, s7
	s_addc_u32 s4, s6, 0
	s_mul_i32 s2, s1, s2
	s_add_u32 s2, s3, s2
	s_addc_u32 s3, 0, s4
	s_add_u32 s4, s2, 1
	s_addc_u32 s5, s3, 0
	s_add_u32 s6, s2, 2
	s_mul_i32 s8, s3, 10
	s_mul_hi_u32 s9, s2, 10
	s_addc_u32 s7, s3, 0
	s_add_i32 s9, s9, s8
	s_mul_i32 s8, s2, 10
	v_mov_b32_e32 v12, s8
	v_sub_co_u32_e32 v12, vcc, s0, v12
	s_cmp_lg_u64 vcc, 0
	s_subb_u32 s8, s1, s9
	v_subrev_co_u32_e32 v13, vcc, 10, v12
	s_cmp_lg_u64 vcc, 0
	s_subb_u32 s9, s8, 0
	v_readfirstlane_b32 s12, v13
	s_cmp_gt_u32 s12, 9
	s_cselect_b32 s12, -1, 0
	s_cmp_eq_u32 s9, 0
	s_cselect_b32 s9, s12, -1
	s_cmp_lg_u32 s9, 0
	s_cselect_b32 s4, s6, s4
	v_readfirstlane_b32 s6, v12
	s_cselect_b32 s5, s7, s5
	s_cmp_gt_u32 s6, 9
	s_cselect_b32 s6, -1, 0
	s_cmp_eq_u32 s8, 0
	s_cselect_b32 s6, s6, -1
	s_cmp_lg_u32 s6, 0
	s_cselect_b32 s3, s5, s3
	s_cselect_b32 s2, s4, s2
	v_cmp_eq_u64_e32 vcc, s[2:3], v[0:1]
	s_and_saveexec_b64 s[2:3], vcc
	s_cbranch_execz .LBB6482_125
; %bb.92:
	v_mul_hi_u32_u24_e32 v1, 10, v0
	v_mov_b32_e32 v12, s1
	v_sub_co_u32_e32 v0, vcc, s0, v23
	v_subb_co_u32_e32 v1, vcc, v12, v1, vcc
	v_cmp_lt_i64_e32 vcc, 4, v[0:1]
	s_and_saveexec_b64 s[0:1], vcc
	s_xor_b64 s[0:1], exec, s[0:1]
	s_cbranch_execz .LBB6482_110
; %bb.93:
	v_cmp_lt_i64_e32 vcc, 6, v[0:1]
	s_and_saveexec_b64 s[2:3], vcc
	s_xor_b64 s[2:3], exec, s[2:3]
	s_cbranch_execz .LBB6482_103
; %bb.94:
	;; [unrolled: 5-line block ×4, first 2 shown]
	v_mov_b32_e32 v0, 0
	s_waitcnt lgkmcnt(0)
	global_store_dword v0, v11, s[10:11]
                                        ; implicit-def: $vgpr10_vgpr11
.LBB6482_97:
	s_andn2_saveexec_b64 s[6:7], s[6:7]
	s_cbranch_execz .LBB6482_99
; %bb.98:
	v_mov_b32_e32 v0, 0
	s_waitcnt lgkmcnt(0)
	global_store_dword v0, v10, s[10:11]
.LBB6482_99:
	s_or_b64 exec, exec, s[6:7]
                                        ; implicit-def: $vgpr8_vgpr9
.LBB6482_100:
	s_andn2_saveexec_b64 s[4:5], s[4:5]
	s_cbranch_execz .LBB6482_102
; %bb.101:
	v_mov_b32_e32 v0, 0
	s_waitcnt lgkmcnt(0)
	global_store_dword v0, v9, s[10:11]
.LBB6482_102:
	s_or_b64 exec, exec, s[4:5]
                                        ; implicit-def: $vgpr4_vgpr5
                                        ; implicit-def: $vgpr0_vgpr1
                                        ; implicit-def: $vgpr8_vgpr9
.LBB6482_103:
	s_andn2_saveexec_b64 s[2:3], s[2:3]
	s_cbranch_execz .LBB6482_109
; %bb.104:
	v_cmp_lt_i64_e32 vcc, 5, v[0:1]
	s_and_saveexec_b64 s[4:5], vcc
	s_xor_b64 s[4:5], exec, s[4:5]
	s_cbranch_execz .LBB6482_106
; %bb.105:
	v_mov_b32_e32 v0, 0
	s_waitcnt lgkmcnt(0)
	global_store_dword v0, v8, s[10:11]
                                        ; implicit-def: $vgpr4_vgpr5
.LBB6482_106:
	s_andn2_saveexec_b64 s[4:5], s[4:5]
	s_cbranch_execz .LBB6482_108
; %bb.107:
	v_mov_b32_e32 v0, 0
	s_waitcnt lgkmcnt(0)
	global_store_dword v0, v5, s[10:11]
.LBB6482_108:
	s_or_b64 exec, exec, s[4:5]
.LBB6482_109:
	s_or_b64 exec, exec, s[2:3]
                                        ; implicit-def: $vgpr0_vgpr1
                                        ; implicit-def: $vgpr6_vgpr7
                                        ; implicit-def: $vgpr2_vgpr3
                                        ; implicit-def: $vgpr4_vgpr5
.LBB6482_110:
	s_andn2_saveexec_b64 s[0:1], s[0:1]
	s_cbranch_execz .LBB6482_125
; %bb.111:
	v_cmp_lt_i64_e32 vcc, 2, v[0:1]
	s_and_saveexec_b64 s[0:1], vcc
	s_xor_b64 s[0:1], exec, s[0:1]
	s_cbranch_execz .LBB6482_117
; %bb.112:
	v_cmp_lt_i64_e32 vcc, 3, v[0:1]
	s_and_saveexec_b64 s[2:3], vcc
	s_xor_b64 s[2:3], exec, s[2:3]
	s_cbranch_execz .LBB6482_114
; %bb.113:
	v_mov_b32_e32 v0, 0
	s_waitcnt lgkmcnt(0)
	global_store_dword v0, v4, s[10:11]
                                        ; implicit-def: $vgpr6_vgpr7
.LBB6482_114:
	s_andn2_saveexec_b64 s[2:3], s[2:3]
	s_cbranch_execz .LBB6482_116
; %bb.115:
	v_mov_b32_e32 v0, 0
	s_waitcnt lgkmcnt(0)
	global_store_dword v0, v7, s[10:11]
.LBB6482_116:
	s_or_b64 exec, exec, s[2:3]
                                        ; implicit-def: $vgpr0_vgpr1
                                        ; implicit-def: $vgpr6_vgpr7
                                        ; implicit-def: $vgpr2_vgpr3
.LBB6482_117:
	s_andn2_saveexec_b64 s[0:1], s[0:1]
	s_cbranch_execz .LBB6482_125
; %bb.118:
	v_cmp_lt_i64_e32 vcc, 1, v[0:1]
	s_and_saveexec_b64 s[0:1], vcc
	s_xor_b64 s[0:1], exec, s[0:1]
	s_cbranch_execz .LBB6482_120
; %bb.119:
	v_mov_b32_e32 v0, 0
	s_waitcnt lgkmcnt(0)
	global_store_dword v0, v6, s[10:11]
                                        ; implicit-def: $vgpr2_vgpr3
                                        ; implicit-def: $vgpr0_vgpr1
.LBB6482_120:
	s_andn2_saveexec_b64 s[0:1], s[0:1]
	s_cbranch_execz .LBB6482_125
; %bb.121:
	v_cmp_ne_u64_e32 vcc, 1, v[0:1]
	s_and_saveexec_b64 s[0:1], vcc
	s_xor_b64 s[0:1], exec, s[0:1]
	s_cbranch_execz .LBB6482_123
; %bb.122:
	v_mov_b32_e32 v0, 0
	s_waitcnt lgkmcnt(0)
	global_store_dword v0, v2, s[10:11]
                                        ; implicit-def: $vgpr2_vgpr3
.LBB6482_123:
	s_andn2_saveexec_b64 s[0:1], s[0:1]
	s_cbranch_execz .LBB6482_125
; %bb.124:
	v_mov_b32_e32 v0, 0
	s_waitcnt lgkmcnt(0)
	global_store_dword v0, v3, s[10:11]
.LBB6482_125:
	s_endpgm
	.section	.rodata,"a",@progbits
	.p2align	6, 0x0
	.amdhsa_kernel _ZN7rocprim17ROCPRIM_400000_NS6detail17trampoline_kernelINS0_14default_configENS1_20scan_config_selectorI11FixedVectorIiLj1EEEEZZNS1_9scan_implILNS1_25lookback_scan_determinismE0ELb1ELb1ES3_N6thrust23THRUST_200600_302600_NS6detail15normal_iteratorINSB_10device_ptrIS6_EEEESG_S6_NSB_4plusIvEES6_EEDaPvRmT3_T4_T5_mT6_P12ihipStream_tbENKUlT_T0_E_clISt17integral_constantIbLb1EESW_EEDaSR_SS_EUlSR_E_NS1_11comp_targetILNS1_3genE4ELNS1_11target_archE910ELNS1_3gpuE8ELNS1_3repE0EEENS1_30default_config_static_selectorELNS0_4arch9wavefront6targetE1EEEvT1_
		.amdhsa_group_segment_fixed_size 5120
		.amdhsa_private_segment_fixed_size 0
		.amdhsa_kernarg_size 96
		.amdhsa_user_sgpr_count 6
		.amdhsa_user_sgpr_private_segment_buffer 1
		.amdhsa_user_sgpr_dispatch_ptr 0
		.amdhsa_user_sgpr_queue_ptr 0
		.amdhsa_user_sgpr_kernarg_segment_ptr 1
		.amdhsa_user_sgpr_dispatch_id 0
		.amdhsa_user_sgpr_flat_scratch_init 0
		.amdhsa_user_sgpr_kernarg_preload_length 0
		.amdhsa_user_sgpr_kernarg_preload_offset 0
		.amdhsa_user_sgpr_private_segment_size 0
		.amdhsa_uses_dynamic_stack 0
		.amdhsa_system_sgpr_private_segment_wavefront_offset 0
		.amdhsa_system_sgpr_workgroup_id_x 1
		.amdhsa_system_sgpr_workgroup_id_y 0
		.amdhsa_system_sgpr_workgroup_id_z 0
		.amdhsa_system_sgpr_workgroup_info 0
		.amdhsa_system_vgpr_workitem_id 0
		.amdhsa_next_free_vgpr 41
		.amdhsa_next_free_sgpr 40
		.amdhsa_accum_offset 44
		.amdhsa_reserve_vcc 1
		.amdhsa_reserve_flat_scratch 0
		.amdhsa_float_round_mode_32 0
		.amdhsa_float_round_mode_16_64 0
		.amdhsa_float_denorm_mode_32 3
		.amdhsa_float_denorm_mode_16_64 3
		.amdhsa_dx10_clamp 1
		.amdhsa_ieee_mode 1
		.amdhsa_fp16_overflow 0
		.amdhsa_tg_split 0
		.amdhsa_exception_fp_ieee_invalid_op 0
		.amdhsa_exception_fp_denorm_src 0
		.amdhsa_exception_fp_ieee_div_zero 0
		.amdhsa_exception_fp_ieee_overflow 0
		.amdhsa_exception_fp_ieee_underflow 0
		.amdhsa_exception_fp_ieee_inexact 0
		.amdhsa_exception_int_div_zero 0
	.end_amdhsa_kernel
	.section	.text._ZN7rocprim17ROCPRIM_400000_NS6detail17trampoline_kernelINS0_14default_configENS1_20scan_config_selectorI11FixedVectorIiLj1EEEEZZNS1_9scan_implILNS1_25lookback_scan_determinismE0ELb1ELb1ES3_N6thrust23THRUST_200600_302600_NS6detail15normal_iteratorINSB_10device_ptrIS6_EEEESG_S6_NSB_4plusIvEES6_EEDaPvRmT3_T4_T5_mT6_P12ihipStream_tbENKUlT_T0_E_clISt17integral_constantIbLb1EESW_EEDaSR_SS_EUlSR_E_NS1_11comp_targetILNS1_3genE4ELNS1_11target_archE910ELNS1_3gpuE8ELNS1_3repE0EEENS1_30default_config_static_selectorELNS0_4arch9wavefront6targetE1EEEvT1_,"axG",@progbits,_ZN7rocprim17ROCPRIM_400000_NS6detail17trampoline_kernelINS0_14default_configENS1_20scan_config_selectorI11FixedVectorIiLj1EEEEZZNS1_9scan_implILNS1_25lookback_scan_determinismE0ELb1ELb1ES3_N6thrust23THRUST_200600_302600_NS6detail15normal_iteratorINSB_10device_ptrIS6_EEEESG_S6_NSB_4plusIvEES6_EEDaPvRmT3_T4_T5_mT6_P12ihipStream_tbENKUlT_T0_E_clISt17integral_constantIbLb1EESW_EEDaSR_SS_EUlSR_E_NS1_11comp_targetILNS1_3genE4ELNS1_11target_archE910ELNS1_3gpuE8ELNS1_3repE0EEENS1_30default_config_static_selectorELNS0_4arch9wavefront6targetE1EEEvT1_,comdat
.Lfunc_end6482:
	.size	_ZN7rocprim17ROCPRIM_400000_NS6detail17trampoline_kernelINS0_14default_configENS1_20scan_config_selectorI11FixedVectorIiLj1EEEEZZNS1_9scan_implILNS1_25lookback_scan_determinismE0ELb1ELb1ES3_N6thrust23THRUST_200600_302600_NS6detail15normal_iteratorINSB_10device_ptrIS6_EEEESG_S6_NSB_4plusIvEES6_EEDaPvRmT3_T4_T5_mT6_P12ihipStream_tbENKUlT_T0_E_clISt17integral_constantIbLb1EESW_EEDaSR_SS_EUlSR_E_NS1_11comp_targetILNS1_3genE4ELNS1_11target_archE910ELNS1_3gpuE8ELNS1_3repE0EEENS1_30default_config_static_selectorELNS0_4arch9wavefront6targetE1EEEvT1_, .Lfunc_end6482-_ZN7rocprim17ROCPRIM_400000_NS6detail17trampoline_kernelINS0_14default_configENS1_20scan_config_selectorI11FixedVectorIiLj1EEEEZZNS1_9scan_implILNS1_25lookback_scan_determinismE0ELb1ELb1ES3_N6thrust23THRUST_200600_302600_NS6detail15normal_iteratorINSB_10device_ptrIS6_EEEESG_S6_NSB_4plusIvEES6_EEDaPvRmT3_T4_T5_mT6_P12ihipStream_tbENKUlT_T0_E_clISt17integral_constantIbLb1EESW_EEDaSR_SS_EUlSR_E_NS1_11comp_targetILNS1_3genE4ELNS1_11target_archE910ELNS1_3gpuE8ELNS1_3repE0EEENS1_30default_config_static_selectorELNS0_4arch9wavefront6targetE1EEEvT1_
                                        ; -- End function
	.section	.AMDGPU.csdata,"",@progbits
; Kernel info:
; codeLenInByte = 4540
; NumSgprs: 44
; NumVgprs: 41
; NumAgprs: 0
; TotalNumVgprs: 41
; ScratchSize: 0
; MemoryBound: 0
; FloatMode: 240
; IeeeMode: 1
; LDSByteSize: 5120 bytes/workgroup (compile time only)
; SGPRBlocks: 5
; VGPRBlocks: 5
; NumSGPRsForWavesPerEU: 44
; NumVGPRsForWavesPerEU: 41
; AccumOffset: 44
; Occupancy: 6
; WaveLimiterHint : 1
; COMPUTE_PGM_RSRC2:SCRATCH_EN: 0
; COMPUTE_PGM_RSRC2:USER_SGPR: 6
; COMPUTE_PGM_RSRC2:TRAP_HANDLER: 0
; COMPUTE_PGM_RSRC2:TGID_X_EN: 1
; COMPUTE_PGM_RSRC2:TGID_Y_EN: 0
; COMPUTE_PGM_RSRC2:TGID_Z_EN: 0
; COMPUTE_PGM_RSRC2:TIDIG_COMP_CNT: 0
; COMPUTE_PGM_RSRC3_GFX90A:ACCUM_OFFSET: 10
; COMPUTE_PGM_RSRC3_GFX90A:TG_SPLIT: 0
	.section	.text._ZN7rocprim17ROCPRIM_400000_NS6detail17trampoline_kernelINS0_14default_configENS1_20scan_config_selectorI11FixedVectorIiLj1EEEEZZNS1_9scan_implILNS1_25lookback_scan_determinismE0ELb1ELb1ES3_N6thrust23THRUST_200600_302600_NS6detail15normal_iteratorINSB_10device_ptrIS6_EEEESG_S6_NSB_4plusIvEES6_EEDaPvRmT3_T4_T5_mT6_P12ihipStream_tbENKUlT_T0_E_clISt17integral_constantIbLb1EESW_EEDaSR_SS_EUlSR_E_NS1_11comp_targetILNS1_3genE3ELNS1_11target_archE908ELNS1_3gpuE7ELNS1_3repE0EEENS1_30default_config_static_selectorELNS0_4arch9wavefront6targetE1EEEvT1_,"axG",@progbits,_ZN7rocprim17ROCPRIM_400000_NS6detail17trampoline_kernelINS0_14default_configENS1_20scan_config_selectorI11FixedVectorIiLj1EEEEZZNS1_9scan_implILNS1_25lookback_scan_determinismE0ELb1ELb1ES3_N6thrust23THRUST_200600_302600_NS6detail15normal_iteratorINSB_10device_ptrIS6_EEEESG_S6_NSB_4plusIvEES6_EEDaPvRmT3_T4_T5_mT6_P12ihipStream_tbENKUlT_T0_E_clISt17integral_constantIbLb1EESW_EEDaSR_SS_EUlSR_E_NS1_11comp_targetILNS1_3genE3ELNS1_11target_archE908ELNS1_3gpuE7ELNS1_3repE0EEENS1_30default_config_static_selectorELNS0_4arch9wavefront6targetE1EEEvT1_,comdat
	.protected	_ZN7rocprim17ROCPRIM_400000_NS6detail17trampoline_kernelINS0_14default_configENS1_20scan_config_selectorI11FixedVectorIiLj1EEEEZZNS1_9scan_implILNS1_25lookback_scan_determinismE0ELb1ELb1ES3_N6thrust23THRUST_200600_302600_NS6detail15normal_iteratorINSB_10device_ptrIS6_EEEESG_S6_NSB_4plusIvEES6_EEDaPvRmT3_T4_T5_mT6_P12ihipStream_tbENKUlT_T0_E_clISt17integral_constantIbLb1EESW_EEDaSR_SS_EUlSR_E_NS1_11comp_targetILNS1_3genE3ELNS1_11target_archE908ELNS1_3gpuE7ELNS1_3repE0EEENS1_30default_config_static_selectorELNS0_4arch9wavefront6targetE1EEEvT1_ ; -- Begin function _ZN7rocprim17ROCPRIM_400000_NS6detail17trampoline_kernelINS0_14default_configENS1_20scan_config_selectorI11FixedVectorIiLj1EEEEZZNS1_9scan_implILNS1_25lookback_scan_determinismE0ELb1ELb1ES3_N6thrust23THRUST_200600_302600_NS6detail15normal_iteratorINSB_10device_ptrIS6_EEEESG_S6_NSB_4plusIvEES6_EEDaPvRmT3_T4_T5_mT6_P12ihipStream_tbENKUlT_T0_E_clISt17integral_constantIbLb1EESW_EEDaSR_SS_EUlSR_E_NS1_11comp_targetILNS1_3genE3ELNS1_11target_archE908ELNS1_3gpuE7ELNS1_3repE0EEENS1_30default_config_static_selectorELNS0_4arch9wavefront6targetE1EEEvT1_
	.globl	_ZN7rocprim17ROCPRIM_400000_NS6detail17trampoline_kernelINS0_14default_configENS1_20scan_config_selectorI11FixedVectorIiLj1EEEEZZNS1_9scan_implILNS1_25lookback_scan_determinismE0ELb1ELb1ES3_N6thrust23THRUST_200600_302600_NS6detail15normal_iteratorINSB_10device_ptrIS6_EEEESG_S6_NSB_4plusIvEES6_EEDaPvRmT3_T4_T5_mT6_P12ihipStream_tbENKUlT_T0_E_clISt17integral_constantIbLb1EESW_EEDaSR_SS_EUlSR_E_NS1_11comp_targetILNS1_3genE3ELNS1_11target_archE908ELNS1_3gpuE7ELNS1_3repE0EEENS1_30default_config_static_selectorELNS0_4arch9wavefront6targetE1EEEvT1_
	.p2align	8
	.type	_ZN7rocprim17ROCPRIM_400000_NS6detail17trampoline_kernelINS0_14default_configENS1_20scan_config_selectorI11FixedVectorIiLj1EEEEZZNS1_9scan_implILNS1_25lookback_scan_determinismE0ELb1ELb1ES3_N6thrust23THRUST_200600_302600_NS6detail15normal_iteratorINSB_10device_ptrIS6_EEEESG_S6_NSB_4plusIvEES6_EEDaPvRmT3_T4_T5_mT6_P12ihipStream_tbENKUlT_T0_E_clISt17integral_constantIbLb1EESW_EEDaSR_SS_EUlSR_E_NS1_11comp_targetILNS1_3genE3ELNS1_11target_archE908ELNS1_3gpuE7ELNS1_3repE0EEENS1_30default_config_static_selectorELNS0_4arch9wavefront6targetE1EEEvT1_,@function
_ZN7rocprim17ROCPRIM_400000_NS6detail17trampoline_kernelINS0_14default_configENS1_20scan_config_selectorI11FixedVectorIiLj1EEEEZZNS1_9scan_implILNS1_25lookback_scan_determinismE0ELb1ELb1ES3_N6thrust23THRUST_200600_302600_NS6detail15normal_iteratorINSB_10device_ptrIS6_EEEESG_S6_NSB_4plusIvEES6_EEDaPvRmT3_T4_T5_mT6_P12ihipStream_tbENKUlT_T0_E_clISt17integral_constantIbLb1EESW_EEDaSR_SS_EUlSR_E_NS1_11comp_targetILNS1_3genE3ELNS1_11target_archE908ELNS1_3gpuE7ELNS1_3repE0EEENS1_30default_config_static_selectorELNS0_4arch9wavefront6targetE1EEEvT1_: ; @_ZN7rocprim17ROCPRIM_400000_NS6detail17trampoline_kernelINS0_14default_configENS1_20scan_config_selectorI11FixedVectorIiLj1EEEEZZNS1_9scan_implILNS1_25lookback_scan_determinismE0ELb1ELb1ES3_N6thrust23THRUST_200600_302600_NS6detail15normal_iteratorINSB_10device_ptrIS6_EEEESG_S6_NSB_4plusIvEES6_EEDaPvRmT3_T4_T5_mT6_P12ihipStream_tbENKUlT_T0_E_clISt17integral_constantIbLb1EESW_EEDaSR_SS_EUlSR_E_NS1_11comp_targetILNS1_3genE3ELNS1_11target_archE908ELNS1_3gpuE7ELNS1_3repE0EEENS1_30default_config_static_selectorELNS0_4arch9wavefront6targetE1EEEvT1_
; %bb.0:
	.section	.rodata,"a",@progbits
	.p2align	6, 0x0
	.amdhsa_kernel _ZN7rocprim17ROCPRIM_400000_NS6detail17trampoline_kernelINS0_14default_configENS1_20scan_config_selectorI11FixedVectorIiLj1EEEEZZNS1_9scan_implILNS1_25lookback_scan_determinismE0ELb1ELb1ES3_N6thrust23THRUST_200600_302600_NS6detail15normal_iteratorINSB_10device_ptrIS6_EEEESG_S6_NSB_4plusIvEES6_EEDaPvRmT3_T4_T5_mT6_P12ihipStream_tbENKUlT_T0_E_clISt17integral_constantIbLb1EESW_EEDaSR_SS_EUlSR_E_NS1_11comp_targetILNS1_3genE3ELNS1_11target_archE908ELNS1_3gpuE7ELNS1_3repE0EEENS1_30default_config_static_selectorELNS0_4arch9wavefront6targetE1EEEvT1_
		.amdhsa_group_segment_fixed_size 0
		.amdhsa_private_segment_fixed_size 0
		.amdhsa_kernarg_size 96
		.amdhsa_user_sgpr_count 6
		.amdhsa_user_sgpr_private_segment_buffer 1
		.amdhsa_user_sgpr_dispatch_ptr 0
		.amdhsa_user_sgpr_queue_ptr 0
		.amdhsa_user_sgpr_kernarg_segment_ptr 1
		.amdhsa_user_sgpr_dispatch_id 0
		.amdhsa_user_sgpr_flat_scratch_init 0
		.amdhsa_user_sgpr_kernarg_preload_length 0
		.amdhsa_user_sgpr_kernarg_preload_offset 0
		.amdhsa_user_sgpr_private_segment_size 0
		.amdhsa_uses_dynamic_stack 0
		.amdhsa_system_sgpr_private_segment_wavefront_offset 0
		.amdhsa_system_sgpr_workgroup_id_x 1
		.amdhsa_system_sgpr_workgroup_id_y 0
		.amdhsa_system_sgpr_workgroup_id_z 0
		.amdhsa_system_sgpr_workgroup_info 0
		.amdhsa_system_vgpr_workitem_id 0
		.amdhsa_next_free_vgpr 1
		.amdhsa_next_free_sgpr 0
		.amdhsa_accum_offset 4
		.amdhsa_reserve_vcc 0
		.amdhsa_reserve_flat_scratch 0
		.amdhsa_float_round_mode_32 0
		.amdhsa_float_round_mode_16_64 0
		.amdhsa_float_denorm_mode_32 3
		.amdhsa_float_denorm_mode_16_64 3
		.amdhsa_dx10_clamp 1
		.amdhsa_ieee_mode 1
		.amdhsa_fp16_overflow 0
		.amdhsa_tg_split 0
		.amdhsa_exception_fp_ieee_invalid_op 0
		.amdhsa_exception_fp_denorm_src 0
		.amdhsa_exception_fp_ieee_div_zero 0
		.amdhsa_exception_fp_ieee_overflow 0
		.amdhsa_exception_fp_ieee_underflow 0
		.amdhsa_exception_fp_ieee_inexact 0
		.amdhsa_exception_int_div_zero 0
	.end_amdhsa_kernel
	.section	.text._ZN7rocprim17ROCPRIM_400000_NS6detail17trampoline_kernelINS0_14default_configENS1_20scan_config_selectorI11FixedVectorIiLj1EEEEZZNS1_9scan_implILNS1_25lookback_scan_determinismE0ELb1ELb1ES3_N6thrust23THRUST_200600_302600_NS6detail15normal_iteratorINSB_10device_ptrIS6_EEEESG_S6_NSB_4plusIvEES6_EEDaPvRmT3_T4_T5_mT6_P12ihipStream_tbENKUlT_T0_E_clISt17integral_constantIbLb1EESW_EEDaSR_SS_EUlSR_E_NS1_11comp_targetILNS1_3genE3ELNS1_11target_archE908ELNS1_3gpuE7ELNS1_3repE0EEENS1_30default_config_static_selectorELNS0_4arch9wavefront6targetE1EEEvT1_,"axG",@progbits,_ZN7rocprim17ROCPRIM_400000_NS6detail17trampoline_kernelINS0_14default_configENS1_20scan_config_selectorI11FixedVectorIiLj1EEEEZZNS1_9scan_implILNS1_25lookback_scan_determinismE0ELb1ELb1ES3_N6thrust23THRUST_200600_302600_NS6detail15normal_iteratorINSB_10device_ptrIS6_EEEESG_S6_NSB_4plusIvEES6_EEDaPvRmT3_T4_T5_mT6_P12ihipStream_tbENKUlT_T0_E_clISt17integral_constantIbLb1EESW_EEDaSR_SS_EUlSR_E_NS1_11comp_targetILNS1_3genE3ELNS1_11target_archE908ELNS1_3gpuE7ELNS1_3repE0EEENS1_30default_config_static_selectorELNS0_4arch9wavefront6targetE1EEEvT1_,comdat
.Lfunc_end6483:
	.size	_ZN7rocprim17ROCPRIM_400000_NS6detail17trampoline_kernelINS0_14default_configENS1_20scan_config_selectorI11FixedVectorIiLj1EEEEZZNS1_9scan_implILNS1_25lookback_scan_determinismE0ELb1ELb1ES3_N6thrust23THRUST_200600_302600_NS6detail15normal_iteratorINSB_10device_ptrIS6_EEEESG_S6_NSB_4plusIvEES6_EEDaPvRmT3_T4_T5_mT6_P12ihipStream_tbENKUlT_T0_E_clISt17integral_constantIbLb1EESW_EEDaSR_SS_EUlSR_E_NS1_11comp_targetILNS1_3genE3ELNS1_11target_archE908ELNS1_3gpuE7ELNS1_3repE0EEENS1_30default_config_static_selectorELNS0_4arch9wavefront6targetE1EEEvT1_, .Lfunc_end6483-_ZN7rocprim17ROCPRIM_400000_NS6detail17trampoline_kernelINS0_14default_configENS1_20scan_config_selectorI11FixedVectorIiLj1EEEEZZNS1_9scan_implILNS1_25lookback_scan_determinismE0ELb1ELb1ES3_N6thrust23THRUST_200600_302600_NS6detail15normal_iteratorINSB_10device_ptrIS6_EEEESG_S6_NSB_4plusIvEES6_EEDaPvRmT3_T4_T5_mT6_P12ihipStream_tbENKUlT_T0_E_clISt17integral_constantIbLb1EESW_EEDaSR_SS_EUlSR_E_NS1_11comp_targetILNS1_3genE3ELNS1_11target_archE908ELNS1_3gpuE7ELNS1_3repE0EEENS1_30default_config_static_selectorELNS0_4arch9wavefront6targetE1EEEvT1_
                                        ; -- End function
	.section	.AMDGPU.csdata,"",@progbits
; Kernel info:
; codeLenInByte = 0
; NumSgprs: 4
; NumVgprs: 0
; NumAgprs: 0
; TotalNumVgprs: 0
; ScratchSize: 0
; MemoryBound: 0
; FloatMode: 240
; IeeeMode: 1
; LDSByteSize: 0 bytes/workgroup (compile time only)
; SGPRBlocks: 0
; VGPRBlocks: 0
; NumSGPRsForWavesPerEU: 4
; NumVGPRsForWavesPerEU: 1
; AccumOffset: 4
; Occupancy: 8
; WaveLimiterHint : 0
; COMPUTE_PGM_RSRC2:SCRATCH_EN: 0
; COMPUTE_PGM_RSRC2:USER_SGPR: 6
; COMPUTE_PGM_RSRC2:TRAP_HANDLER: 0
; COMPUTE_PGM_RSRC2:TGID_X_EN: 1
; COMPUTE_PGM_RSRC2:TGID_Y_EN: 0
; COMPUTE_PGM_RSRC2:TGID_Z_EN: 0
; COMPUTE_PGM_RSRC2:TIDIG_COMP_CNT: 0
; COMPUTE_PGM_RSRC3_GFX90A:ACCUM_OFFSET: 0
; COMPUTE_PGM_RSRC3_GFX90A:TG_SPLIT: 0
	.section	.text._ZN7rocprim17ROCPRIM_400000_NS6detail17trampoline_kernelINS0_14default_configENS1_20scan_config_selectorI11FixedVectorIiLj1EEEEZZNS1_9scan_implILNS1_25lookback_scan_determinismE0ELb1ELb1ES3_N6thrust23THRUST_200600_302600_NS6detail15normal_iteratorINSB_10device_ptrIS6_EEEESG_S6_NSB_4plusIvEES6_EEDaPvRmT3_T4_T5_mT6_P12ihipStream_tbENKUlT_T0_E_clISt17integral_constantIbLb1EESW_EEDaSR_SS_EUlSR_E_NS1_11comp_targetILNS1_3genE2ELNS1_11target_archE906ELNS1_3gpuE6ELNS1_3repE0EEENS1_30default_config_static_selectorELNS0_4arch9wavefront6targetE1EEEvT1_,"axG",@progbits,_ZN7rocprim17ROCPRIM_400000_NS6detail17trampoline_kernelINS0_14default_configENS1_20scan_config_selectorI11FixedVectorIiLj1EEEEZZNS1_9scan_implILNS1_25lookback_scan_determinismE0ELb1ELb1ES3_N6thrust23THRUST_200600_302600_NS6detail15normal_iteratorINSB_10device_ptrIS6_EEEESG_S6_NSB_4plusIvEES6_EEDaPvRmT3_T4_T5_mT6_P12ihipStream_tbENKUlT_T0_E_clISt17integral_constantIbLb1EESW_EEDaSR_SS_EUlSR_E_NS1_11comp_targetILNS1_3genE2ELNS1_11target_archE906ELNS1_3gpuE6ELNS1_3repE0EEENS1_30default_config_static_selectorELNS0_4arch9wavefront6targetE1EEEvT1_,comdat
	.protected	_ZN7rocprim17ROCPRIM_400000_NS6detail17trampoline_kernelINS0_14default_configENS1_20scan_config_selectorI11FixedVectorIiLj1EEEEZZNS1_9scan_implILNS1_25lookback_scan_determinismE0ELb1ELb1ES3_N6thrust23THRUST_200600_302600_NS6detail15normal_iteratorINSB_10device_ptrIS6_EEEESG_S6_NSB_4plusIvEES6_EEDaPvRmT3_T4_T5_mT6_P12ihipStream_tbENKUlT_T0_E_clISt17integral_constantIbLb1EESW_EEDaSR_SS_EUlSR_E_NS1_11comp_targetILNS1_3genE2ELNS1_11target_archE906ELNS1_3gpuE6ELNS1_3repE0EEENS1_30default_config_static_selectorELNS0_4arch9wavefront6targetE1EEEvT1_ ; -- Begin function _ZN7rocprim17ROCPRIM_400000_NS6detail17trampoline_kernelINS0_14default_configENS1_20scan_config_selectorI11FixedVectorIiLj1EEEEZZNS1_9scan_implILNS1_25lookback_scan_determinismE0ELb1ELb1ES3_N6thrust23THRUST_200600_302600_NS6detail15normal_iteratorINSB_10device_ptrIS6_EEEESG_S6_NSB_4plusIvEES6_EEDaPvRmT3_T4_T5_mT6_P12ihipStream_tbENKUlT_T0_E_clISt17integral_constantIbLb1EESW_EEDaSR_SS_EUlSR_E_NS1_11comp_targetILNS1_3genE2ELNS1_11target_archE906ELNS1_3gpuE6ELNS1_3repE0EEENS1_30default_config_static_selectorELNS0_4arch9wavefront6targetE1EEEvT1_
	.globl	_ZN7rocprim17ROCPRIM_400000_NS6detail17trampoline_kernelINS0_14default_configENS1_20scan_config_selectorI11FixedVectorIiLj1EEEEZZNS1_9scan_implILNS1_25lookback_scan_determinismE0ELb1ELb1ES3_N6thrust23THRUST_200600_302600_NS6detail15normal_iteratorINSB_10device_ptrIS6_EEEESG_S6_NSB_4plusIvEES6_EEDaPvRmT3_T4_T5_mT6_P12ihipStream_tbENKUlT_T0_E_clISt17integral_constantIbLb1EESW_EEDaSR_SS_EUlSR_E_NS1_11comp_targetILNS1_3genE2ELNS1_11target_archE906ELNS1_3gpuE6ELNS1_3repE0EEENS1_30default_config_static_selectorELNS0_4arch9wavefront6targetE1EEEvT1_
	.p2align	8
	.type	_ZN7rocprim17ROCPRIM_400000_NS6detail17trampoline_kernelINS0_14default_configENS1_20scan_config_selectorI11FixedVectorIiLj1EEEEZZNS1_9scan_implILNS1_25lookback_scan_determinismE0ELb1ELb1ES3_N6thrust23THRUST_200600_302600_NS6detail15normal_iteratorINSB_10device_ptrIS6_EEEESG_S6_NSB_4plusIvEES6_EEDaPvRmT3_T4_T5_mT6_P12ihipStream_tbENKUlT_T0_E_clISt17integral_constantIbLb1EESW_EEDaSR_SS_EUlSR_E_NS1_11comp_targetILNS1_3genE2ELNS1_11target_archE906ELNS1_3gpuE6ELNS1_3repE0EEENS1_30default_config_static_selectorELNS0_4arch9wavefront6targetE1EEEvT1_,@function
_ZN7rocprim17ROCPRIM_400000_NS6detail17trampoline_kernelINS0_14default_configENS1_20scan_config_selectorI11FixedVectorIiLj1EEEEZZNS1_9scan_implILNS1_25lookback_scan_determinismE0ELb1ELb1ES3_N6thrust23THRUST_200600_302600_NS6detail15normal_iteratorINSB_10device_ptrIS6_EEEESG_S6_NSB_4plusIvEES6_EEDaPvRmT3_T4_T5_mT6_P12ihipStream_tbENKUlT_T0_E_clISt17integral_constantIbLb1EESW_EEDaSR_SS_EUlSR_E_NS1_11comp_targetILNS1_3genE2ELNS1_11target_archE906ELNS1_3gpuE6ELNS1_3repE0EEENS1_30default_config_static_selectorELNS0_4arch9wavefront6targetE1EEEvT1_: ; @_ZN7rocprim17ROCPRIM_400000_NS6detail17trampoline_kernelINS0_14default_configENS1_20scan_config_selectorI11FixedVectorIiLj1EEEEZZNS1_9scan_implILNS1_25lookback_scan_determinismE0ELb1ELb1ES3_N6thrust23THRUST_200600_302600_NS6detail15normal_iteratorINSB_10device_ptrIS6_EEEESG_S6_NSB_4plusIvEES6_EEDaPvRmT3_T4_T5_mT6_P12ihipStream_tbENKUlT_T0_E_clISt17integral_constantIbLb1EESW_EEDaSR_SS_EUlSR_E_NS1_11comp_targetILNS1_3genE2ELNS1_11target_archE906ELNS1_3gpuE6ELNS1_3repE0EEENS1_30default_config_static_selectorELNS0_4arch9wavefront6targetE1EEEvT1_
; %bb.0:
	.section	.rodata,"a",@progbits
	.p2align	6, 0x0
	.amdhsa_kernel _ZN7rocprim17ROCPRIM_400000_NS6detail17trampoline_kernelINS0_14default_configENS1_20scan_config_selectorI11FixedVectorIiLj1EEEEZZNS1_9scan_implILNS1_25lookback_scan_determinismE0ELb1ELb1ES3_N6thrust23THRUST_200600_302600_NS6detail15normal_iteratorINSB_10device_ptrIS6_EEEESG_S6_NSB_4plusIvEES6_EEDaPvRmT3_T4_T5_mT6_P12ihipStream_tbENKUlT_T0_E_clISt17integral_constantIbLb1EESW_EEDaSR_SS_EUlSR_E_NS1_11comp_targetILNS1_3genE2ELNS1_11target_archE906ELNS1_3gpuE6ELNS1_3repE0EEENS1_30default_config_static_selectorELNS0_4arch9wavefront6targetE1EEEvT1_
		.amdhsa_group_segment_fixed_size 0
		.amdhsa_private_segment_fixed_size 0
		.amdhsa_kernarg_size 96
		.amdhsa_user_sgpr_count 6
		.amdhsa_user_sgpr_private_segment_buffer 1
		.amdhsa_user_sgpr_dispatch_ptr 0
		.amdhsa_user_sgpr_queue_ptr 0
		.amdhsa_user_sgpr_kernarg_segment_ptr 1
		.amdhsa_user_sgpr_dispatch_id 0
		.amdhsa_user_sgpr_flat_scratch_init 0
		.amdhsa_user_sgpr_kernarg_preload_length 0
		.amdhsa_user_sgpr_kernarg_preload_offset 0
		.amdhsa_user_sgpr_private_segment_size 0
		.amdhsa_uses_dynamic_stack 0
		.amdhsa_system_sgpr_private_segment_wavefront_offset 0
		.amdhsa_system_sgpr_workgroup_id_x 1
		.amdhsa_system_sgpr_workgroup_id_y 0
		.amdhsa_system_sgpr_workgroup_id_z 0
		.amdhsa_system_sgpr_workgroup_info 0
		.amdhsa_system_vgpr_workitem_id 0
		.amdhsa_next_free_vgpr 1
		.amdhsa_next_free_sgpr 0
		.amdhsa_accum_offset 4
		.amdhsa_reserve_vcc 0
		.amdhsa_reserve_flat_scratch 0
		.amdhsa_float_round_mode_32 0
		.amdhsa_float_round_mode_16_64 0
		.amdhsa_float_denorm_mode_32 3
		.amdhsa_float_denorm_mode_16_64 3
		.amdhsa_dx10_clamp 1
		.amdhsa_ieee_mode 1
		.amdhsa_fp16_overflow 0
		.amdhsa_tg_split 0
		.amdhsa_exception_fp_ieee_invalid_op 0
		.amdhsa_exception_fp_denorm_src 0
		.amdhsa_exception_fp_ieee_div_zero 0
		.amdhsa_exception_fp_ieee_overflow 0
		.amdhsa_exception_fp_ieee_underflow 0
		.amdhsa_exception_fp_ieee_inexact 0
		.amdhsa_exception_int_div_zero 0
	.end_amdhsa_kernel
	.section	.text._ZN7rocprim17ROCPRIM_400000_NS6detail17trampoline_kernelINS0_14default_configENS1_20scan_config_selectorI11FixedVectorIiLj1EEEEZZNS1_9scan_implILNS1_25lookback_scan_determinismE0ELb1ELb1ES3_N6thrust23THRUST_200600_302600_NS6detail15normal_iteratorINSB_10device_ptrIS6_EEEESG_S6_NSB_4plusIvEES6_EEDaPvRmT3_T4_T5_mT6_P12ihipStream_tbENKUlT_T0_E_clISt17integral_constantIbLb1EESW_EEDaSR_SS_EUlSR_E_NS1_11comp_targetILNS1_3genE2ELNS1_11target_archE906ELNS1_3gpuE6ELNS1_3repE0EEENS1_30default_config_static_selectorELNS0_4arch9wavefront6targetE1EEEvT1_,"axG",@progbits,_ZN7rocprim17ROCPRIM_400000_NS6detail17trampoline_kernelINS0_14default_configENS1_20scan_config_selectorI11FixedVectorIiLj1EEEEZZNS1_9scan_implILNS1_25lookback_scan_determinismE0ELb1ELb1ES3_N6thrust23THRUST_200600_302600_NS6detail15normal_iteratorINSB_10device_ptrIS6_EEEESG_S6_NSB_4plusIvEES6_EEDaPvRmT3_T4_T5_mT6_P12ihipStream_tbENKUlT_T0_E_clISt17integral_constantIbLb1EESW_EEDaSR_SS_EUlSR_E_NS1_11comp_targetILNS1_3genE2ELNS1_11target_archE906ELNS1_3gpuE6ELNS1_3repE0EEENS1_30default_config_static_selectorELNS0_4arch9wavefront6targetE1EEEvT1_,comdat
.Lfunc_end6484:
	.size	_ZN7rocprim17ROCPRIM_400000_NS6detail17trampoline_kernelINS0_14default_configENS1_20scan_config_selectorI11FixedVectorIiLj1EEEEZZNS1_9scan_implILNS1_25lookback_scan_determinismE0ELb1ELb1ES3_N6thrust23THRUST_200600_302600_NS6detail15normal_iteratorINSB_10device_ptrIS6_EEEESG_S6_NSB_4plusIvEES6_EEDaPvRmT3_T4_T5_mT6_P12ihipStream_tbENKUlT_T0_E_clISt17integral_constantIbLb1EESW_EEDaSR_SS_EUlSR_E_NS1_11comp_targetILNS1_3genE2ELNS1_11target_archE906ELNS1_3gpuE6ELNS1_3repE0EEENS1_30default_config_static_selectorELNS0_4arch9wavefront6targetE1EEEvT1_, .Lfunc_end6484-_ZN7rocprim17ROCPRIM_400000_NS6detail17trampoline_kernelINS0_14default_configENS1_20scan_config_selectorI11FixedVectorIiLj1EEEEZZNS1_9scan_implILNS1_25lookback_scan_determinismE0ELb1ELb1ES3_N6thrust23THRUST_200600_302600_NS6detail15normal_iteratorINSB_10device_ptrIS6_EEEESG_S6_NSB_4plusIvEES6_EEDaPvRmT3_T4_T5_mT6_P12ihipStream_tbENKUlT_T0_E_clISt17integral_constantIbLb1EESW_EEDaSR_SS_EUlSR_E_NS1_11comp_targetILNS1_3genE2ELNS1_11target_archE906ELNS1_3gpuE6ELNS1_3repE0EEENS1_30default_config_static_selectorELNS0_4arch9wavefront6targetE1EEEvT1_
                                        ; -- End function
	.section	.AMDGPU.csdata,"",@progbits
; Kernel info:
; codeLenInByte = 0
; NumSgprs: 4
; NumVgprs: 0
; NumAgprs: 0
; TotalNumVgprs: 0
; ScratchSize: 0
; MemoryBound: 0
; FloatMode: 240
; IeeeMode: 1
; LDSByteSize: 0 bytes/workgroup (compile time only)
; SGPRBlocks: 0
; VGPRBlocks: 0
; NumSGPRsForWavesPerEU: 4
; NumVGPRsForWavesPerEU: 1
; AccumOffset: 4
; Occupancy: 8
; WaveLimiterHint : 0
; COMPUTE_PGM_RSRC2:SCRATCH_EN: 0
; COMPUTE_PGM_RSRC2:USER_SGPR: 6
; COMPUTE_PGM_RSRC2:TRAP_HANDLER: 0
; COMPUTE_PGM_RSRC2:TGID_X_EN: 1
; COMPUTE_PGM_RSRC2:TGID_Y_EN: 0
; COMPUTE_PGM_RSRC2:TGID_Z_EN: 0
; COMPUTE_PGM_RSRC2:TIDIG_COMP_CNT: 0
; COMPUTE_PGM_RSRC3_GFX90A:ACCUM_OFFSET: 0
; COMPUTE_PGM_RSRC3_GFX90A:TG_SPLIT: 0
	.section	.text._ZN7rocprim17ROCPRIM_400000_NS6detail17trampoline_kernelINS0_14default_configENS1_20scan_config_selectorI11FixedVectorIiLj1EEEEZZNS1_9scan_implILNS1_25lookback_scan_determinismE0ELb1ELb1ES3_N6thrust23THRUST_200600_302600_NS6detail15normal_iteratorINSB_10device_ptrIS6_EEEESG_S6_NSB_4plusIvEES6_EEDaPvRmT3_T4_T5_mT6_P12ihipStream_tbENKUlT_T0_E_clISt17integral_constantIbLb1EESW_EEDaSR_SS_EUlSR_E_NS1_11comp_targetILNS1_3genE10ELNS1_11target_archE1201ELNS1_3gpuE5ELNS1_3repE0EEENS1_30default_config_static_selectorELNS0_4arch9wavefront6targetE1EEEvT1_,"axG",@progbits,_ZN7rocprim17ROCPRIM_400000_NS6detail17trampoline_kernelINS0_14default_configENS1_20scan_config_selectorI11FixedVectorIiLj1EEEEZZNS1_9scan_implILNS1_25lookback_scan_determinismE0ELb1ELb1ES3_N6thrust23THRUST_200600_302600_NS6detail15normal_iteratorINSB_10device_ptrIS6_EEEESG_S6_NSB_4plusIvEES6_EEDaPvRmT3_T4_T5_mT6_P12ihipStream_tbENKUlT_T0_E_clISt17integral_constantIbLb1EESW_EEDaSR_SS_EUlSR_E_NS1_11comp_targetILNS1_3genE10ELNS1_11target_archE1201ELNS1_3gpuE5ELNS1_3repE0EEENS1_30default_config_static_selectorELNS0_4arch9wavefront6targetE1EEEvT1_,comdat
	.protected	_ZN7rocprim17ROCPRIM_400000_NS6detail17trampoline_kernelINS0_14default_configENS1_20scan_config_selectorI11FixedVectorIiLj1EEEEZZNS1_9scan_implILNS1_25lookback_scan_determinismE0ELb1ELb1ES3_N6thrust23THRUST_200600_302600_NS6detail15normal_iteratorINSB_10device_ptrIS6_EEEESG_S6_NSB_4plusIvEES6_EEDaPvRmT3_T4_T5_mT6_P12ihipStream_tbENKUlT_T0_E_clISt17integral_constantIbLb1EESW_EEDaSR_SS_EUlSR_E_NS1_11comp_targetILNS1_3genE10ELNS1_11target_archE1201ELNS1_3gpuE5ELNS1_3repE0EEENS1_30default_config_static_selectorELNS0_4arch9wavefront6targetE1EEEvT1_ ; -- Begin function _ZN7rocprim17ROCPRIM_400000_NS6detail17trampoline_kernelINS0_14default_configENS1_20scan_config_selectorI11FixedVectorIiLj1EEEEZZNS1_9scan_implILNS1_25lookback_scan_determinismE0ELb1ELb1ES3_N6thrust23THRUST_200600_302600_NS6detail15normal_iteratorINSB_10device_ptrIS6_EEEESG_S6_NSB_4plusIvEES6_EEDaPvRmT3_T4_T5_mT6_P12ihipStream_tbENKUlT_T0_E_clISt17integral_constantIbLb1EESW_EEDaSR_SS_EUlSR_E_NS1_11comp_targetILNS1_3genE10ELNS1_11target_archE1201ELNS1_3gpuE5ELNS1_3repE0EEENS1_30default_config_static_selectorELNS0_4arch9wavefront6targetE1EEEvT1_
	.globl	_ZN7rocprim17ROCPRIM_400000_NS6detail17trampoline_kernelINS0_14default_configENS1_20scan_config_selectorI11FixedVectorIiLj1EEEEZZNS1_9scan_implILNS1_25lookback_scan_determinismE0ELb1ELb1ES3_N6thrust23THRUST_200600_302600_NS6detail15normal_iteratorINSB_10device_ptrIS6_EEEESG_S6_NSB_4plusIvEES6_EEDaPvRmT3_T4_T5_mT6_P12ihipStream_tbENKUlT_T0_E_clISt17integral_constantIbLb1EESW_EEDaSR_SS_EUlSR_E_NS1_11comp_targetILNS1_3genE10ELNS1_11target_archE1201ELNS1_3gpuE5ELNS1_3repE0EEENS1_30default_config_static_selectorELNS0_4arch9wavefront6targetE1EEEvT1_
	.p2align	8
	.type	_ZN7rocprim17ROCPRIM_400000_NS6detail17trampoline_kernelINS0_14default_configENS1_20scan_config_selectorI11FixedVectorIiLj1EEEEZZNS1_9scan_implILNS1_25lookback_scan_determinismE0ELb1ELb1ES3_N6thrust23THRUST_200600_302600_NS6detail15normal_iteratorINSB_10device_ptrIS6_EEEESG_S6_NSB_4plusIvEES6_EEDaPvRmT3_T4_T5_mT6_P12ihipStream_tbENKUlT_T0_E_clISt17integral_constantIbLb1EESW_EEDaSR_SS_EUlSR_E_NS1_11comp_targetILNS1_3genE10ELNS1_11target_archE1201ELNS1_3gpuE5ELNS1_3repE0EEENS1_30default_config_static_selectorELNS0_4arch9wavefront6targetE1EEEvT1_,@function
_ZN7rocprim17ROCPRIM_400000_NS6detail17trampoline_kernelINS0_14default_configENS1_20scan_config_selectorI11FixedVectorIiLj1EEEEZZNS1_9scan_implILNS1_25lookback_scan_determinismE0ELb1ELb1ES3_N6thrust23THRUST_200600_302600_NS6detail15normal_iteratorINSB_10device_ptrIS6_EEEESG_S6_NSB_4plusIvEES6_EEDaPvRmT3_T4_T5_mT6_P12ihipStream_tbENKUlT_T0_E_clISt17integral_constantIbLb1EESW_EEDaSR_SS_EUlSR_E_NS1_11comp_targetILNS1_3genE10ELNS1_11target_archE1201ELNS1_3gpuE5ELNS1_3repE0EEENS1_30default_config_static_selectorELNS0_4arch9wavefront6targetE1EEEvT1_: ; @_ZN7rocprim17ROCPRIM_400000_NS6detail17trampoline_kernelINS0_14default_configENS1_20scan_config_selectorI11FixedVectorIiLj1EEEEZZNS1_9scan_implILNS1_25lookback_scan_determinismE0ELb1ELb1ES3_N6thrust23THRUST_200600_302600_NS6detail15normal_iteratorINSB_10device_ptrIS6_EEEESG_S6_NSB_4plusIvEES6_EEDaPvRmT3_T4_T5_mT6_P12ihipStream_tbENKUlT_T0_E_clISt17integral_constantIbLb1EESW_EEDaSR_SS_EUlSR_E_NS1_11comp_targetILNS1_3genE10ELNS1_11target_archE1201ELNS1_3gpuE5ELNS1_3repE0EEENS1_30default_config_static_selectorELNS0_4arch9wavefront6targetE1EEEvT1_
; %bb.0:
	.section	.rodata,"a",@progbits
	.p2align	6, 0x0
	.amdhsa_kernel _ZN7rocprim17ROCPRIM_400000_NS6detail17trampoline_kernelINS0_14default_configENS1_20scan_config_selectorI11FixedVectorIiLj1EEEEZZNS1_9scan_implILNS1_25lookback_scan_determinismE0ELb1ELb1ES3_N6thrust23THRUST_200600_302600_NS6detail15normal_iteratorINSB_10device_ptrIS6_EEEESG_S6_NSB_4plusIvEES6_EEDaPvRmT3_T4_T5_mT6_P12ihipStream_tbENKUlT_T0_E_clISt17integral_constantIbLb1EESW_EEDaSR_SS_EUlSR_E_NS1_11comp_targetILNS1_3genE10ELNS1_11target_archE1201ELNS1_3gpuE5ELNS1_3repE0EEENS1_30default_config_static_selectorELNS0_4arch9wavefront6targetE1EEEvT1_
		.amdhsa_group_segment_fixed_size 0
		.amdhsa_private_segment_fixed_size 0
		.amdhsa_kernarg_size 96
		.amdhsa_user_sgpr_count 6
		.amdhsa_user_sgpr_private_segment_buffer 1
		.amdhsa_user_sgpr_dispatch_ptr 0
		.amdhsa_user_sgpr_queue_ptr 0
		.amdhsa_user_sgpr_kernarg_segment_ptr 1
		.amdhsa_user_sgpr_dispatch_id 0
		.amdhsa_user_sgpr_flat_scratch_init 0
		.amdhsa_user_sgpr_kernarg_preload_length 0
		.amdhsa_user_sgpr_kernarg_preload_offset 0
		.amdhsa_user_sgpr_private_segment_size 0
		.amdhsa_uses_dynamic_stack 0
		.amdhsa_system_sgpr_private_segment_wavefront_offset 0
		.amdhsa_system_sgpr_workgroup_id_x 1
		.amdhsa_system_sgpr_workgroup_id_y 0
		.amdhsa_system_sgpr_workgroup_id_z 0
		.amdhsa_system_sgpr_workgroup_info 0
		.amdhsa_system_vgpr_workitem_id 0
		.amdhsa_next_free_vgpr 1
		.amdhsa_next_free_sgpr 0
		.amdhsa_accum_offset 4
		.amdhsa_reserve_vcc 0
		.amdhsa_reserve_flat_scratch 0
		.amdhsa_float_round_mode_32 0
		.amdhsa_float_round_mode_16_64 0
		.amdhsa_float_denorm_mode_32 3
		.amdhsa_float_denorm_mode_16_64 3
		.amdhsa_dx10_clamp 1
		.amdhsa_ieee_mode 1
		.amdhsa_fp16_overflow 0
		.amdhsa_tg_split 0
		.amdhsa_exception_fp_ieee_invalid_op 0
		.amdhsa_exception_fp_denorm_src 0
		.amdhsa_exception_fp_ieee_div_zero 0
		.amdhsa_exception_fp_ieee_overflow 0
		.amdhsa_exception_fp_ieee_underflow 0
		.amdhsa_exception_fp_ieee_inexact 0
		.amdhsa_exception_int_div_zero 0
	.end_amdhsa_kernel
	.section	.text._ZN7rocprim17ROCPRIM_400000_NS6detail17trampoline_kernelINS0_14default_configENS1_20scan_config_selectorI11FixedVectorIiLj1EEEEZZNS1_9scan_implILNS1_25lookback_scan_determinismE0ELb1ELb1ES3_N6thrust23THRUST_200600_302600_NS6detail15normal_iteratorINSB_10device_ptrIS6_EEEESG_S6_NSB_4plusIvEES6_EEDaPvRmT3_T4_T5_mT6_P12ihipStream_tbENKUlT_T0_E_clISt17integral_constantIbLb1EESW_EEDaSR_SS_EUlSR_E_NS1_11comp_targetILNS1_3genE10ELNS1_11target_archE1201ELNS1_3gpuE5ELNS1_3repE0EEENS1_30default_config_static_selectorELNS0_4arch9wavefront6targetE1EEEvT1_,"axG",@progbits,_ZN7rocprim17ROCPRIM_400000_NS6detail17trampoline_kernelINS0_14default_configENS1_20scan_config_selectorI11FixedVectorIiLj1EEEEZZNS1_9scan_implILNS1_25lookback_scan_determinismE0ELb1ELb1ES3_N6thrust23THRUST_200600_302600_NS6detail15normal_iteratorINSB_10device_ptrIS6_EEEESG_S6_NSB_4plusIvEES6_EEDaPvRmT3_T4_T5_mT6_P12ihipStream_tbENKUlT_T0_E_clISt17integral_constantIbLb1EESW_EEDaSR_SS_EUlSR_E_NS1_11comp_targetILNS1_3genE10ELNS1_11target_archE1201ELNS1_3gpuE5ELNS1_3repE0EEENS1_30default_config_static_selectorELNS0_4arch9wavefront6targetE1EEEvT1_,comdat
.Lfunc_end6485:
	.size	_ZN7rocprim17ROCPRIM_400000_NS6detail17trampoline_kernelINS0_14default_configENS1_20scan_config_selectorI11FixedVectorIiLj1EEEEZZNS1_9scan_implILNS1_25lookback_scan_determinismE0ELb1ELb1ES3_N6thrust23THRUST_200600_302600_NS6detail15normal_iteratorINSB_10device_ptrIS6_EEEESG_S6_NSB_4plusIvEES6_EEDaPvRmT3_T4_T5_mT6_P12ihipStream_tbENKUlT_T0_E_clISt17integral_constantIbLb1EESW_EEDaSR_SS_EUlSR_E_NS1_11comp_targetILNS1_3genE10ELNS1_11target_archE1201ELNS1_3gpuE5ELNS1_3repE0EEENS1_30default_config_static_selectorELNS0_4arch9wavefront6targetE1EEEvT1_, .Lfunc_end6485-_ZN7rocprim17ROCPRIM_400000_NS6detail17trampoline_kernelINS0_14default_configENS1_20scan_config_selectorI11FixedVectorIiLj1EEEEZZNS1_9scan_implILNS1_25lookback_scan_determinismE0ELb1ELb1ES3_N6thrust23THRUST_200600_302600_NS6detail15normal_iteratorINSB_10device_ptrIS6_EEEESG_S6_NSB_4plusIvEES6_EEDaPvRmT3_T4_T5_mT6_P12ihipStream_tbENKUlT_T0_E_clISt17integral_constantIbLb1EESW_EEDaSR_SS_EUlSR_E_NS1_11comp_targetILNS1_3genE10ELNS1_11target_archE1201ELNS1_3gpuE5ELNS1_3repE0EEENS1_30default_config_static_selectorELNS0_4arch9wavefront6targetE1EEEvT1_
                                        ; -- End function
	.section	.AMDGPU.csdata,"",@progbits
; Kernel info:
; codeLenInByte = 0
; NumSgprs: 4
; NumVgprs: 0
; NumAgprs: 0
; TotalNumVgprs: 0
; ScratchSize: 0
; MemoryBound: 0
; FloatMode: 240
; IeeeMode: 1
; LDSByteSize: 0 bytes/workgroup (compile time only)
; SGPRBlocks: 0
; VGPRBlocks: 0
; NumSGPRsForWavesPerEU: 4
; NumVGPRsForWavesPerEU: 1
; AccumOffset: 4
; Occupancy: 8
; WaveLimiterHint : 0
; COMPUTE_PGM_RSRC2:SCRATCH_EN: 0
; COMPUTE_PGM_RSRC2:USER_SGPR: 6
; COMPUTE_PGM_RSRC2:TRAP_HANDLER: 0
; COMPUTE_PGM_RSRC2:TGID_X_EN: 1
; COMPUTE_PGM_RSRC2:TGID_Y_EN: 0
; COMPUTE_PGM_RSRC2:TGID_Z_EN: 0
; COMPUTE_PGM_RSRC2:TIDIG_COMP_CNT: 0
; COMPUTE_PGM_RSRC3_GFX90A:ACCUM_OFFSET: 0
; COMPUTE_PGM_RSRC3_GFX90A:TG_SPLIT: 0
	.section	.text._ZN7rocprim17ROCPRIM_400000_NS6detail17trampoline_kernelINS0_14default_configENS1_20scan_config_selectorI11FixedVectorIiLj1EEEEZZNS1_9scan_implILNS1_25lookback_scan_determinismE0ELb1ELb1ES3_N6thrust23THRUST_200600_302600_NS6detail15normal_iteratorINSB_10device_ptrIS6_EEEESG_S6_NSB_4plusIvEES6_EEDaPvRmT3_T4_T5_mT6_P12ihipStream_tbENKUlT_T0_E_clISt17integral_constantIbLb1EESW_EEDaSR_SS_EUlSR_E_NS1_11comp_targetILNS1_3genE10ELNS1_11target_archE1200ELNS1_3gpuE4ELNS1_3repE0EEENS1_30default_config_static_selectorELNS0_4arch9wavefront6targetE1EEEvT1_,"axG",@progbits,_ZN7rocprim17ROCPRIM_400000_NS6detail17trampoline_kernelINS0_14default_configENS1_20scan_config_selectorI11FixedVectorIiLj1EEEEZZNS1_9scan_implILNS1_25lookback_scan_determinismE0ELb1ELb1ES3_N6thrust23THRUST_200600_302600_NS6detail15normal_iteratorINSB_10device_ptrIS6_EEEESG_S6_NSB_4plusIvEES6_EEDaPvRmT3_T4_T5_mT6_P12ihipStream_tbENKUlT_T0_E_clISt17integral_constantIbLb1EESW_EEDaSR_SS_EUlSR_E_NS1_11comp_targetILNS1_3genE10ELNS1_11target_archE1200ELNS1_3gpuE4ELNS1_3repE0EEENS1_30default_config_static_selectorELNS0_4arch9wavefront6targetE1EEEvT1_,comdat
	.protected	_ZN7rocprim17ROCPRIM_400000_NS6detail17trampoline_kernelINS0_14default_configENS1_20scan_config_selectorI11FixedVectorIiLj1EEEEZZNS1_9scan_implILNS1_25lookback_scan_determinismE0ELb1ELb1ES3_N6thrust23THRUST_200600_302600_NS6detail15normal_iteratorINSB_10device_ptrIS6_EEEESG_S6_NSB_4plusIvEES6_EEDaPvRmT3_T4_T5_mT6_P12ihipStream_tbENKUlT_T0_E_clISt17integral_constantIbLb1EESW_EEDaSR_SS_EUlSR_E_NS1_11comp_targetILNS1_3genE10ELNS1_11target_archE1200ELNS1_3gpuE4ELNS1_3repE0EEENS1_30default_config_static_selectorELNS0_4arch9wavefront6targetE1EEEvT1_ ; -- Begin function _ZN7rocprim17ROCPRIM_400000_NS6detail17trampoline_kernelINS0_14default_configENS1_20scan_config_selectorI11FixedVectorIiLj1EEEEZZNS1_9scan_implILNS1_25lookback_scan_determinismE0ELb1ELb1ES3_N6thrust23THRUST_200600_302600_NS6detail15normal_iteratorINSB_10device_ptrIS6_EEEESG_S6_NSB_4plusIvEES6_EEDaPvRmT3_T4_T5_mT6_P12ihipStream_tbENKUlT_T0_E_clISt17integral_constantIbLb1EESW_EEDaSR_SS_EUlSR_E_NS1_11comp_targetILNS1_3genE10ELNS1_11target_archE1200ELNS1_3gpuE4ELNS1_3repE0EEENS1_30default_config_static_selectorELNS0_4arch9wavefront6targetE1EEEvT1_
	.globl	_ZN7rocprim17ROCPRIM_400000_NS6detail17trampoline_kernelINS0_14default_configENS1_20scan_config_selectorI11FixedVectorIiLj1EEEEZZNS1_9scan_implILNS1_25lookback_scan_determinismE0ELb1ELb1ES3_N6thrust23THRUST_200600_302600_NS6detail15normal_iteratorINSB_10device_ptrIS6_EEEESG_S6_NSB_4plusIvEES6_EEDaPvRmT3_T4_T5_mT6_P12ihipStream_tbENKUlT_T0_E_clISt17integral_constantIbLb1EESW_EEDaSR_SS_EUlSR_E_NS1_11comp_targetILNS1_3genE10ELNS1_11target_archE1200ELNS1_3gpuE4ELNS1_3repE0EEENS1_30default_config_static_selectorELNS0_4arch9wavefront6targetE1EEEvT1_
	.p2align	8
	.type	_ZN7rocprim17ROCPRIM_400000_NS6detail17trampoline_kernelINS0_14default_configENS1_20scan_config_selectorI11FixedVectorIiLj1EEEEZZNS1_9scan_implILNS1_25lookback_scan_determinismE0ELb1ELb1ES3_N6thrust23THRUST_200600_302600_NS6detail15normal_iteratorINSB_10device_ptrIS6_EEEESG_S6_NSB_4plusIvEES6_EEDaPvRmT3_T4_T5_mT6_P12ihipStream_tbENKUlT_T0_E_clISt17integral_constantIbLb1EESW_EEDaSR_SS_EUlSR_E_NS1_11comp_targetILNS1_3genE10ELNS1_11target_archE1200ELNS1_3gpuE4ELNS1_3repE0EEENS1_30default_config_static_selectorELNS0_4arch9wavefront6targetE1EEEvT1_,@function
_ZN7rocprim17ROCPRIM_400000_NS6detail17trampoline_kernelINS0_14default_configENS1_20scan_config_selectorI11FixedVectorIiLj1EEEEZZNS1_9scan_implILNS1_25lookback_scan_determinismE0ELb1ELb1ES3_N6thrust23THRUST_200600_302600_NS6detail15normal_iteratorINSB_10device_ptrIS6_EEEESG_S6_NSB_4plusIvEES6_EEDaPvRmT3_T4_T5_mT6_P12ihipStream_tbENKUlT_T0_E_clISt17integral_constantIbLb1EESW_EEDaSR_SS_EUlSR_E_NS1_11comp_targetILNS1_3genE10ELNS1_11target_archE1200ELNS1_3gpuE4ELNS1_3repE0EEENS1_30default_config_static_selectorELNS0_4arch9wavefront6targetE1EEEvT1_: ; @_ZN7rocprim17ROCPRIM_400000_NS6detail17trampoline_kernelINS0_14default_configENS1_20scan_config_selectorI11FixedVectorIiLj1EEEEZZNS1_9scan_implILNS1_25lookback_scan_determinismE0ELb1ELb1ES3_N6thrust23THRUST_200600_302600_NS6detail15normal_iteratorINSB_10device_ptrIS6_EEEESG_S6_NSB_4plusIvEES6_EEDaPvRmT3_T4_T5_mT6_P12ihipStream_tbENKUlT_T0_E_clISt17integral_constantIbLb1EESW_EEDaSR_SS_EUlSR_E_NS1_11comp_targetILNS1_3genE10ELNS1_11target_archE1200ELNS1_3gpuE4ELNS1_3repE0EEENS1_30default_config_static_selectorELNS0_4arch9wavefront6targetE1EEEvT1_
; %bb.0:
	.section	.rodata,"a",@progbits
	.p2align	6, 0x0
	.amdhsa_kernel _ZN7rocprim17ROCPRIM_400000_NS6detail17trampoline_kernelINS0_14default_configENS1_20scan_config_selectorI11FixedVectorIiLj1EEEEZZNS1_9scan_implILNS1_25lookback_scan_determinismE0ELb1ELb1ES3_N6thrust23THRUST_200600_302600_NS6detail15normal_iteratorINSB_10device_ptrIS6_EEEESG_S6_NSB_4plusIvEES6_EEDaPvRmT3_T4_T5_mT6_P12ihipStream_tbENKUlT_T0_E_clISt17integral_constantIbLb1EESW_EEDaSR_SS_EUlSR_E_NS1_11comp_targetILNS1_3genE10ELNS1_11target_archE1200ELNS1_3gpuE4ELNS1_3repE0EEENS1_30default_config_static_selectorELNS0_4arch9wavefront6targetE1EEEvT1_
		.amdhsa_group_segment_fixed_size 0
		.amdhsa_private_segment_fixed_size 0
		.amdhsa_kernarg_size 96
		.amdhsa_user_sgpr_count 6
		.amdhsa_user_sgpr_private_segment_buffer 1
		.amdhsa_user_sgpr_dispatch_ptr 0
		.amdhsa_user_sgpr_queue_ptr 0
		.amdhsa_user_sgpr_kernarg_segment_ptr 1
		.amdhsa_user_sgpr_dispatch_id 0
		.amdhsa_user_sgpr_flat_scratch_init 0
		.amdhsa_user_sgpr_kernarg_preload_length 0
		.amdhsa_user_sgpr_kernarg_preload_offset 0
		.amdhsa_user_sgpr_private_segment_size 0
		.amdhsa_uses_dynamic_stack 0
		.amdhsa_system_sgpr_private_segment_wavefront_offset 0
		.amdhsa_system_sgpr_workgroup_id_x 1
		.amdhsa_system_sgpr_workgroup_id_y 0
		.amdhsa_system_sgpr_workgroup_id_z 0
		.amdhsa_system_sgpr_workgroup_info 0
		.amdhsa_system_vgpr_workitem_id 0
		.amdhsa_next_free_vgpr 1
		.amdhsa_next_free_sgpr 0
		.amdhsa_accum_offset 4
		.amdhsa_reserve_vcc 0
		.amdhsa_reserve_flat_scratch 0
		.amdhsa_float_round_mode_32 0
		.amdhsa_float_round_mode_16_64 0
		.amdhsa_float_denorm_mode_32 3
		.amdhsa_float_denorm_mode_16_64 3
		.amdhsa_dx10_clamp 1
		.amdhsa_ieee_mode 1
		.amdhsa_fp16_overflow 0
		.amdhsa_tg_split 0
		.amdhsa_exception_fp_ieee_invalid_op 0
		.amdhsa_exception_fp_denorm_src 0
		.amdhsa_exception_fp_ieee_div_zero 0
		.amdhsa_exception_fp_ieee_overflow 0
		.amdhsa_exception_fp_ieee_underflow 0
		.amdhsa_exception_fp_ieee_inexact 0
		.amdhsa_exception_int_div_zero 0
	.end_amdhsa_kernel
	.section	.text._ZN7rocprim17ROCPRIM_400000_NS6detail17trampoline_kernelINS0_14default_configENS1_20scan_config_selectorI11FixedVectorIiLj1EEEEZZNS1_9scan_implILNS1_25lookback_scan_determinismE0ELb1ELb1ES3_N6thrust23THRUST_200600_302600_NS6detail15normal_iteratorINSB_10device_ptrIS6_EEEESG_S6_NSB_4plusIvEES6_EEDaPvRmT3_T4_T5_mT6_P12ihipStream_tbENKUlT_T0_E_clISt17integral_constantIbLb1EESW_EEDaSR_SS_EUlSR_E_NS1_11comp_targetILNS1_3genE10ELNS1_11target_archE1200ELNS1_3gpuE4ELNS1_3repE0EEENS1_30default_config_static_selectorELNS0_4arch9wavefront6targetE1EEEvT1_,"axG",@progbits,_ZN7rocprim17ROCPRIM_400000_NS6detail17trampoline_kernelINS0_14default_configENS1_20scan_config_selectorI11FixedVectorIiLj1EEEEZZNS1_9scan_implILNS1_25lookback_scan_determinismE0ELb1ELb1ES3_N6thrust23THRUST_200600_302600_NS6detail15normal_iteratorINSB_10device_ptrIS6_EEEESG_S6_NSB_4plusIvEES6_EEDaPvRmT3_T4_T5_mT6_P12ihipStream_tbENKUlT_T0_E_clISt17integral_constantIbLb1EESW_EEDaSR_SS_EUlSR_E_NS1_11comp_targetILNS1_3genE10ELNS1_11target_archE1200ELNS1_3gpuE4ELNS1_3repE0EEENS1_30default_config_static_selectorELNS0_4arch9wavefront6targetE1EEEvT1_,comdat
.Lfunc_end6486:
	.size	_ZN7rocprim17ROCPRIM_400000_NS6detail17trampoline_kernelINS0_14default_configENS1_20scan_config_selectorI11FixedVectorIiLj1EEEEZZNS1_9scan_implILNS1_25lookback_scan_determinismE0ELb1ELb1ES3_N6thrust23THRUST_200600_302600_NS6detail15normal_iteratorINSB_10device_ptrIS6_EEEESG_S6_NSB_4plusIvEES6_EEDaPvRmT3_T4_T5_mT6_P12ihipStream_tbENKUlT_T0_E_clISt17integral_constantIbLb1EESW_EEDaSR_SS_EUlSR_E_NS1_11comp_targetILNS1_3genE10ELNS1_11target_archE1200ELNS1_3gpuE4ELNS1_3repE0EEENS1_30default_config_static_selectorELNS0_4arch9wavefront6targetE1EEEvT1_, .Lfunc_end6486-_ZN7rocprim17ROCPRIM_400000_NS6detail17trampoline_kernelINS0_14default_configENS1_20scan_config_selectorI11FixedVectorIiLj1EEEEZZNS1_9scan_implILNS1_25lookback_scan_determinismE0ELb1ELb1ES3_N6thrust23THRUST_200600_302600_NS6detail15normal_iteratorINSB_10device_ptrIS6_EEEESG_S6_NSB_4plusIvEES6_EEDaPvRmT3_T4_T5_mT6_P12ihipStream_tbENKUlT_T0_E_clISt17integral_constantIbLb1EESW_EEDaSR_SS_EUlSR_E_NS1_11comp_targetILNS1_3genE10ELNS1_11target_archE1200ELNS1_3gpuE4ELNS1_3repE0EEENS1_30default_config_static_selectorELNS0_4arch9wavefront6targetE1EEEvT1_
                                        ; -- End function
	.section	.AMDGPU.csdata,"",@progbits
; Kernel info:
; codeLenInByte = 0
; NumSgprs: 4
; NumVgprs: 0
; NumAgprs: 0
; TotalNumVgprs: 0
; ScratchSize: 0
; MemoryBound: 0
; FloatMode: 240
; IeeeMode: 1
; LDSByteSize: 0 bytes/workgroup (compile time only)
; SGPRBlocks: 0
; VGPRBlocks: 0
; NumSGPRsForWavesPerEU: 4
; NumVGPRsForWavesPerEU: 1
; AccumOffset: 4
; Occupancy: 8
; WaveLimiterHint : 0
; COMPUTE_PGM_RSRC2:SCRATCH_EN: 0
; COMPUTE_PGM_RSRC2:USER_SGPR: 6
; COMPUTE_PGM_RSRC2:TRAP_HANDLER: 0
; COMPUTE_PGM_RSRC2:TGID_X_EN: 1
; COMPUTE_PGM_RSRC2:TGID_Y_EN: 0
; COMPUTE_PGM_RSRC2:TGID_Z_EN: 0
; COMPUTE_PGM_RSRC2:TIDIG_COMP_CNT: 0
; COMPUTE_PGM_RSRC3_GFX90A:ACCUM_OFFSET: 0
; COMPUTE_PGM_RSRC3_GFX90A:TG_SPLIT: 0
	.section	.text._ZN7rocprim17ROCPRIM_400000_NS6detail17trampoline_kernelINS0_14default_configENS1_20scan_config_selectorI11FixedVectorIiLj1EEEEZZNS1_9scan_implILNS1_25lookback_scan_determinismE0ELb1ELb1ES3_N6thrust23THRUST_200600_302600_NS6detail15normal_iteratorINSB_10device_ptrIS6_EEEESG_S6_NSB_4plusIvEES6_EEDaPvRmT3_T4_T5_mT6_P12ihipStream_tbENKUlT_T0_E_clISt17integral_constantIbLb1EESW_EEDaSR_SS_EUlSR_E_NS1_11comp_targetILNS1_3genE9ELNS1_11target_archE1100ELNS1_3gpuE3ELNS1_3repE0EEENS1_30default_config_static_selectorELNS0_4arch9wavefront6targetE1EEEvT1_,"axG",@progbits,_ZN7rocprim17ROCPRIM_400000_NS6detail17trampoline_kernelINS0_14default_configENS1_20scan_config_selectorI11FixedVectorIiLj1EEEEZZNS1_9scan_implILNS1_25lookback_scan_determinismE0ELb1ELb1ES3_N6thrust23THRUST_200600_302600_NS6detail15normal_iteratorINSB_10device_ptrIS6_EEEESG_S6_NSB_4plusIvEES6_EEDaPvRmT3_T4_T5_mT6_P12ihipStream_tbENKUlT_T0_E_clISt17integral_constantIbLb1EESW_EEDaSR_SS_EUlSR_E_NS1_11comp_targetILNS1_3genE9ELNS1_11target_archE1100ELNS1_3gpuE3ELNS1_3repE0EEENS1_30default_config_static_selectorELNS0_4arch9wavefront6targetE1EEEvT1_,comdat
	.protected	_ZN7rocprim17ROCPRIM_400000_NS6detail17trampoline_kernelINS0_14default_configENS1_20scan_config_selectorI11FixedVectorIiLj1EEEEZZNS1_9scan_implILNS1_25lookback_scan_determinismE0ELb1ELb1ES3_N6thrust23THRUST_200600_302600_NS6detail15normal_iteratorINSB_10device_ptrIS6_EEEESG_S6_NSB_4plusIvEES6_EEDaPvRmT3_T4_T5_mT6_P12ihipStream_tbENKUlT_T0_E_clISt17integral_constantIbLb1EESW_EEDaSR_SS_EUlSR_E_NS1_11comp_targetILNS1_3genE9ELNS1_11target_archE1100ELNS1_3gpuE3ELNS1_3repE0EEENS1_30default_config_static_selectorELNS0_4arch9wavefront6targetE1EEEvT1_ ; -- Begin function _ZN7rocprim17ROCPRIM_400000_NS6detail17trampoline_kernelINS0_14default_configENS1_20scan_config_selectorI11FixedVectorIiLj1EEEEZZNS1_9scan_implILNS1_25lookback_scan_determinismE0ELb1ELb1ES3_N6thrust23THRUST_200600_302600_NS6detail15normal_iteratorINSB_10device_ptrIS6_EEEESG_S6_NSB_4plusIvEES6_EEDaPvRmT3_T4_T5_mT6_P12ihipStream_tbENKUlT_T0_E_clISt17integral_constantIbLb1EESW_EEDaSR_SS_EUlSR_E_NS1_11comp_targetILNS1_3genE9ELNS1_11target_archE1100ELNS1_3gpuE3ELNS1_3repE0EEENS1_30default_config_static_selectorELNS0_4arch9wavefront6targetE1EEEvT1_
	.globl	_ZN7rocprim17ROCPRIM_400000_NS6detail17trampoline_kernelINS0_14default_configENS1_20scan_config_selectorI11FixedVectorIiLj1EEEEZZNS1_9scan_implILNS1_25lookback_scan_determinismE0ELb1ELb1ES3_N6thrust23THRUST_200600_302600_NS6detail15normal_iteratorINSB_10device_ptrIS6_EEEESG_S6_NSB_4plusIvEES6_EEDaPvRmT3_T4_T5_mT6_P12ihipStream_tbENKUlT_T0_E_clISt17integral_constantIbLb1EESW_EEDaSR_SS_EUlSR_E_NS1_11comp_targetILNS1_3genE9ELNS1_11target_archE1100ELNS1_3gpuE3ELNS1_3repE0EEENS1_30default_config_static_selectorELNS0_4arch9wavefront6targetE1EEEvT1_
	.p2align	8
	.type	_ZN7rocprim17ROCPRIM_400000_NS6detail17trampoline_kernelINS0_14default_configENS1_20scan_config_selectorI11FixedVectorIiLj1EEEEZZNS1_9scan_implILNS1_25lookback_scan_determinismE0ELb1ELb1ES3_N6thrust23THRUST_200600_302600_NS6detail15normal_iteratorINSB_10device_ptrIS6_EEEESG_S6_NSB_4plusIvEES6_EEDaPvRmT3_T4_T5_mT6_P12ihipStream_tbENKUlT_T0_E_clISt17integral_constantIbLb1EESW_EEDaSR_SS_EUlSR_E_NS1_11comp_targetILNS1_3genE9ELNS1_11target_archE1100ELNS1_3gpuE3ELNS1_3repE0EEENS1_30default_config_static_selectorELNS0_4arch9wavefront6targetE1EEEvT1_,@function
_ZN7rocprim17ROCPRIM_400000_NS6detail17trampoline_kernelINS0_14default_configENS1_20scan_config_selectorI11FixedVectorIiLj1EEEEZZNS1_9scan_implILNS1_25lookback_scan_determinismE0ELb1ELb1ES3_N6thrust23THRUST_200600_302600_NS6detail15normal_iteratorINSB_10device_ptrIS6_EEEESG_S6_NSB_4plusIvEES6_EEDaPvRmT3_T4_T5_mT6_P12ihipStream_tbENKUlT_T0_E_clISt17integral_constantIbLb1EESW_EEDaSR_SS_EUlSR_E_NS1_11comp_targetILNS1_3genE9ELNS1_11target_archE1100ELNS1_3gpuE3ELNS1_3repE0EEENS1_30default_config_static_selectorELNS0_4arch9wavefront6targetE1EEEvT1_: ; @_ZN7rocprim17ROCPRIM_400000_NS6detail17trampoline_kernelINS0_14default_configENS1_20scan_config_selectorI11FixedVectorIiLj1EEEEZZNS1_9scan_implILNS1_25lookback_scan_determinismE0ELb1ELb1ES3_N6thrust23THRUST_200600_302600_NS6detail15normal_iteratorINSB_10device_ptrIS6_EEEESG_S6_NSB_4plusIvEES6_EEDaPvRmT3_T4_T5_mT6_P12ihipStream_tbENKUlT_T0_E_clISt17integral_constantIbLb1EESW_EEDaSR_SS_EUlSR_E_NS1_11comp_targetILNS1_3genE9ELNS1_11target_archE1100ELNS1_3gpuE3ELNS1_3repE0EEENS1_30default_config_static_selectorELNS0_4arch9wavefront6targetE1EEEvT1_
; %bb.0:
	.section	.rodata,"a",@progbits
	.p2align	6, 0x0
	.amdhsa_kernel _ZN7rocprim17ROCPRIM_400000_NS6detail17trampoline_kernelINS0_14default_configENS1_20scan_config_selectorI11FixedVectorIiLj1EEEEZZNS1_9scan_implILNS1_25lookback_scan_determinismE0ELb1ELb1ES3_N6thrust23THRUST_200600_302600_NS6detail15normal_iteratorINSB_10device_ptrIS6_EEEESG_S6_NSB_4plusIvEES6_EEDaPvRmT3_T4_T5_mT6_P12ihipStream_tbENKUlT_T0_E_clISt17integral_constantIbLb1EESW_EEDaSR_SS_EUlSR_E_NS1_11comp_targetILNS1_3genE9ELNS1_11target_archE1100ELNS1_3gpuE3ELNS1_3repE0EEENS1_30default_config_static_selectorELNS0_4arch9wavefront6targetE1EEEvT1_
		.amdhsa_group_segment_fixed_size 0
		.amdhsa_private_segment_fixed_size 0
		.amdhsa_kernarg_size 96
		.amdhsa_user_sgpr_count 6
		.amdhsa_user_sgpr_private_segment_buffer 1
		.amdhsa_user_sgpr_dispatch_ptr 0
		.amdhsa_user_sgpr_queue_ptr 0
		.amdhsa_user_sgpr_kernarg_segment_ptr 1
		.amdhsa_user_sgpr_dispatch_id 0
		.amdhsa_user_sgpr_flat_scratch_init 0
		.amdhsa_user_sgpr_kernarg_preload_length 0
		.amdhsa_user_sgpr_kernarg_preload_offset 0
		.amdhsa_user_sgpr_private_segment_size 0
		.amdhsa_uses_dynamic_stack 0
		.amdhsa_system_sgpr_private_segment_wavefront_offset 0
		.amdhsa_system_sgpr_workgroup_id_x 1
		.amdhsa_system_sgpr_workgroup_id_y 0
		.amdhsa_system_sgpr_workgroup_id_z 0
		.amdhsa_system_sgpr_workgroup_info 0
		.amdhsa_system_vgpr_workitem_id 0
		.amdhsa_next_free_vgpr 1
		.amdhsa_next_free_sgpr 0
		.amdhsa_accum_offset 4
		.amdhsa_reserve_vcc 0
		.amdhsa_reserve_flat_scratch 0
		.amdhsa_float_round_mode_32 0
		.amdhsa_float_round_mode_16_64 0
		.amdhsa_float_denorm_mode_32 3
		.amdhsa_float_denorm_mode_16_64 3
		.amdhsa_dx10_clamp 1
		.amdhsa_ieee_mode 1
		.amdhsa_fp16_overflow 0
		.amdhsa_tg_split 0
		.amdhsa_exception_fp_ieee_invalid_op 0
		.amdhsa_exception_fp_denorm_src 0
		.amdhsa_exception_fp_ieee_div_zero 0
		.amdhsa_exception_fp_ieee_overflow 0
		.amdhsa_exception_fp_ieee_underflow 0
		.amdhsa_exception_fp_ieee_inexact 0
		.amdhsa_exception_int_div_zero 0
	.end_amdhsa_kernel
	.section	.text._ZN7rocprim17ROCPRIM_400000_NS6detail17trampoline_kernelINS0_14default_configENS1_20scan_config_selectorI11FixedVectorIiLj1EEEEZZNS1_9scan_implILNS1_25lookback_scan_determinismE0ELb1ELb1ES3_N6thrust23THRUST_200600_302600_NS6detail15normal_iteratorINSB_10device_ptrIS6_EEEESG_S6_NSB_4plusIvEES6_EEDaPvRmT3_T4_T5_mT6_P12ihipStream_tbENKUlT_T0_E_clISt17integral_constantIbLb1EESW_EEDaSR_SS_EUlSR_E_NS1_11comp_targetILNS1_3genE9ELNS1_11target_archE1100ELNS1_3gpuE3ELNS1_3repE0EEENS1_30default_config_static_selectorELNS0_4arch9wavefront6targetE1EEEvT1_,"axG",@progbits,_ZN7rocprim17ROCPRIM_400000_NS6detail17trampoline_kernelINS0_14default_configENS1_20scan_config_selectorI11FixedVectorIiLj1EEEEZZNS1_9scan_implILNS1_25lookback_scan_determinismE0ELb1ELb1ES3_N6thrust23THRUST_200600_302600_NS6detail15normal_iteratorINSB_10device_ptrIS6_EEEESG_S6_NSB_4plusIvEES6_EEDaPvRmT3_T4_T5_mT6_P12ihipStream_tbENKUlT_T0_E_clISt17integral_constantIbLb1EESW_EEDaSR_SS_EUlSR_E_NS1_11comp_targetILNS1_3genE9ELNS1_11target_archE1100ELNS1_3gpuE3ELNS1_3repE0EEENS1_30default_config_static_selectorELNS0_4arch9wavefront6targetE1EEEvT1_,comdat
.Lfunc_end6487:
	.size	_ZN7rocprim17ROCPRIM_400000_NS6detail17trampoline_kernelINS0_14default_configENS1_20scan_config_selectorI11FixedVectorIiLj1EEEEZZNS1_9scan_implILNS1_25lookback_scan_determinismE0ELb1ELb1ES3_N6thrust23THRUST_200600_302600_NS6detail15normal_iteratorINSB_10device_ptrIS6_EEEESG_S6_NSB_4plusIvEES6_EEDaPvRmT3_T4_T5_mT6_P12ihipStream_tbENKUlT_T0_E_clISt17integral_constantIbLb1EESW_EEDaSR_SS_EUlSR_E_NS1_11comp_targetILNS1_3genE9ELNS1_11target_archE1100ELNS1_3gpuE3ELNS1_3repE0EEENS1_30default_config_static_selectorELNS0_4arch9wavefront6targetE1EEEvT1_, .Lfunc_end6487-_ZN7rocprim17ROCPRIM_400000_NS6detail17trampoline_kernelINS0_14default_configENS1_20scan_config_selectorI11FixedVectorIiLj1EEEEZZNS1_9scan_implILNS1_25lookback_scan_determinismE0ELb1ELb1ES3_N6thrust23THRUST_200600_302600_NS6detail15normal_iteratorINSB_10device_ptrIS6_EEEESG_S6_NSB_4plusIvEES6_EEDaPvRmT3_T4_T5_mT6_P12ihipStream_tbENKUlT_T0_E_clISt17integral_constantIbLb1EESW_EEDaSR_SS_EUlSR_E_NS1_11comp_targetILNS1_3genE9ELNS1_11target_archE1100ELNS1_3gpuE3ELNS1_3repE0EEENS1_30default_config_static_selectorELNS0_4arch9wavefront6targetE1EEEvT1_
                                        ; -- End function
	.section	.AMDGPU.csdata,"",@progbits
; Kernel info:
; codeLenInByte = 0
; NumSgprs: 4
; NumVgprs: 0
; NumAgprs: 0
; TotalNumVgprs: 0
; ScratchSize: 0
; MemoryBound: 0
; FloatMode: 240
; IeeeMode: 1
; LDSByteSize: 0 bytes/workgroup (compile time only)
; SGPRBlocks: 0
; VGPRBlocks: 0
; NumSGPRsForWavesPerEU: 4
; NumVGPRsForWavesPerEU: 1
; AccumOffset: 4
; Occupancy: 8
; WaveLimiterHint : 0
; COMPUTE_PGM_RSRC2:SCRATCH_EN: 0
; COMPUTE_PGM_RSRC2:USER_SGPR: 6
; COMPUTE_PGM_RSRC2:TRAP_HANDLER: 0
; COMPUTE_PGM_RSRC2:TGID_X_EN: 1
; COMPUTE_PGM_RSRC2:TGID_Y_EN: 0
; COMPUTE_PGM_RSRC2:TGID_Z_EN: 0
; COMPUTE_PGM_RSRC2:TIDIG_COMP_CNT: 0
; COMPUTE_PGM_RSRC3_GFX90A:ACCUM_OFFSET: 0
; COMPUTE_PGM_RSRC3_GFX90A:TG_SPLIT: 0
	.section	.text._ZN7rocprim17ROCPRIM_400000_NS6detail17trampoline_kernelINS0_14default_configENS1_20scan_config_selectorI11FixedVectorIiLj1EEEEZZNS1_9scan_implILNS1_25lookback_scan_determinismE0ELb1ELb1ES3_N6thrust23THRUST_200600_302600_NS6detail15normal_iteratorINSB_10device_ptrIS6_EEEESG_S6_NSB_4plusIvEES6_EEDaPvRmT3_T4_T5_mT6_P12ihipStream_tbENKUlT_T0_E_clISt17integral_constantIbLb1EESW_EEDaSR_SS_EUlSR_E_NS1_11comp_targetILNS1_3genE8ELNS1_11target_archE1030ELNS1_3gpuE2ELNS1_3repE0EEENS1_30default_config_static_selectorELNS0_4arch9wavefront6targetE1EEEvT1_,"axG",@progbits,_ZN7rocprim17ROCPRIM_400000_NS6detail17trampoline_kernelINS0_14default_configENS1_20scan_config_selectorI11FixedVectorIiLj1EEEEZZNS1_9scan_implILNS1_25lookback_scan_determinismE0ELb1ELb1ES3_N6thrust23THRUST_200600_302600_NS6detail15normal_iteratorINSB_10device_ptrIS6_EEEESG_S6_NSB_4plusIvEES6_EEDaPvRmT3_T4_T5_mT6_P12ihipStream_tbENKUlT_T0_E_clISt17integral_constantIbLb1EESW_EEDaSR_SS_EUlSR_E_NS1_11comp_targetILNS1_3genE8ELNS1_11target_archE1030ELNS1_3gpuE2ELNS1_3repE0EEENS1_30default_config_static_selectorELNS0_4arch9wavefront6targetE1EEEvT1_,comdat
	.protected	_ZN7rocprim17ROCPRIM_400000_NS6detail17trampoline_kernelINS0_14default_configENS1_20scan_config_selectorI11FixedVectorIiLj1EEEEZZNS1_9scan_implILNS1_25lookback_scan_determinismE0ELb1ELb1ES3_N6thrust23THRUST_200600_302600_NS6detail15normal_iteratorINSB_10device_ptrIS6_EEEESG_S6_NSB_4plusIvEES6_EEDaPvRmT3_T4_T5_mT6_P12ihipStream_tbENKUlT_T0_E_clISt17integral_constantIbLb1EESW_EEDaSR_SS_EUlSR_E_NS1_11comp_targetILNS1_3genE8ELNS1_11target_archE1030ELNS1_3gpuE2ELNS1_3repE0EEENS1_30default_config_static_selectorELNS0_4arch9wavefront6targetE1EEEvT1_ ; -- Begin function _ZN7rocprim17ROCPRIM_400000_NS6detail17trampoline_kernelINS0_14default_configENS1_20scan_config_selectorI11FixedVectorIiLj1EEEEZZNS1_9scan_implILNS1_25lookback_scan_determinismE0ELb1ELb1ES3_N6thrust23THRUST_200600_302600_NS6detail15normal_iteratorINSB_10device_ptrIS6_EEEESG_S6_NSB_4plusIvEES6_EEDaPvRmT3_T4_T5_mT6_P12ihipStream_tbENKUlT_T0_E_clISt17integral_constantIbLb1EESW_EEDaSR_SS_EUlSR_E_NS1_11comp_targetILNS1_3genE8ELNS1_11target_archE1030ELNS1_3gpuE2ELNS1_3repE0EEENS1_30default_config_static_selectorELNS0_4arch9wavefront6targetE1EEEvT1_
	.globl	_ZN7rocprim17ROCPRIM_400000_NS6detail17trampoline_kernelINS0_14default_configENS1_20scan_config_selectorI11FixedVectorIiLj1EEEEZZNS1_9scan_implILNS1_25lookback_scan_determinismE0ELb1ELb1ES3_N6thrust23THRUST_200600_302600_NS6detail15normal_iteratorINSB_10device_ptrIS6_EEEESG_S6_NSB_4plusIvEES6_EEDaPvRmT3_T4_T5_mT6_P12ihipStream_tbENKUlT_T0_E_clISt17integral_constantIbLb1EESW_EEDaSR_SS_EUlSR_E_NS1_11comp_targetILNS1_3genE8ELNS1_11target_archE1030ELNS1_3gpuE2ELNS1_3repE0EEENS1_30default_config_static_selectorELNS0_4arch9wavefront6targetE1EEEvT1_
	.p2align	8
	.type	_ZN7rocprim17ROCPRIM_400000_NS6detail17trampoline_kernelINS0_14default_configENS1_20scan_config_selectorI11FixedVectorIiLj1EEEEZZNS1_9scan_implILNS1_25lookback_scan_determinismE0ELb1ELb1ES3_N6thrust23THRUST_200600_302600_NS6detail15normal_iteratorINSB_10device_ptrIS6_EEEESG_S6_NSB_4plusIvEES6_EEDaPvRmT3_T4_T5_mT6_P12ihipStream_tbENKUlT_T0_E_clISt17integral_constantIbLb1EESW_EEDaSR_SS_EUlSR_E_NS1_11comp_targetILNS1_3genE8ELNS1_11target_archE1030ELNS1_3gpuE2ELNS1_3repE0EEENS1_30default_config_static_selectorELNS0_4arch9wavefront6targetE1EEEvT1_,@function
_ZN7rocprim17ROCPRIM_400000_NS6detail17trampoline_kernelINS0_14default_configENS1_20scan_config_selectorI11FixedVectorIiLj1EEEEZZNS1_9scan_implILNS1_25lookback_scan_determinismE0ELb1ELb1ES3_N6thrust23THRUST_200600_302600_NS6detail15normal_iteratorINSB_10device_ptrIS6_EEEESG_S6_NSB_4plusIvEES6_EEDaPvRmT3_T4_T5_mT6_P12ihipStream_tbENKUlT_T0_E_clISt17integral_constantIbLb1EESW_EEDaSR_SS_EUlSR_E_NS1_11comp_targetILNS1_3genE8ELNS1_11target_archE1030ELNS1_3gpuE2ELNS1_3repE0EEENS1_30default_config_static_selectorELNS0_4arch9wavefront6targetE1EEEvT1_: ; @_ZN7rocprim17ROCPRIM_400000_NS6detail17trampoline_kernelINS0_14default_configENS1_20scan_config_selectorI11FixedVectorIiLj1EEEEZZNS1_9scan_implILNS1_25lookback_scan_determinismE0ELb1ELb1ES3_N6thrust23THRUST_200600_302600_NS6detail15normal_iteratorINSB_10device_ptrIS6_EEEESG_S6_NSB_4plusIvEES6_EEDaPvRmT3_T4_T5_mT6_P12ihipStream_tbENKUlT_T0_E_clISt17integral_constantIbLb1EESW_EEDaSR_SS_EUlSR_E_NS1_11comp_targetILNS1_3genE8ELNS1_11target_archE1030ELNS1_3gpuE2ELNS1_3repE0EEENS1_30default_config_static_selectorELNS0_4arch9wavefront6targetE1EEEvT1_
; %bb.0:
	.section	.rodata,"a",@progbits
	.p2align	6, 0x0
	.amdhsa_kernel _ZN7rocprim17ROCPRIM_400000_NS6detail17trampoline_kernelINS0_14default_configENS1_20scan_config_selectorI11FixedVectorIiLj1EEEEZZNS1_9scan_implILNS1_25lookback_scan_determinismE0ELb1ELb1ES3_N6thrust23THRUST_200600_302600_NS6detail15normal_iteratorINSB_10device_ptrIS6_EEEESG_S6_NSB_4plusIvEES6_EEDaPvRmT3_T4_T5_mT6_P12ihipStream_tbENKUlT_T0_E_clISt17integral_constantIbLb1EESW_EEDaSR_SS_EUlSR_E_NS1_11comp_targetILNS1_3genE8ELNS1_11target_archE1030ELNS1_3gpuE2ELNS1_3repE0EEENS1_30default_config_static_selectorELNS0_4arch9wavefront6targetE1EEEvT1_
		.amdhsa_group_segment_fixed_size 0
		.amdhsa_private_segment_fixed_size 0
		.amdhsa_kernarg_size 96
		.amdhsa_user_sgpr_count 6
		.amdhsa_user_sgpr_private_segment_buffer 1
		.amdhsa_user_sgpr_dispatch_ptr 0
		.amdhsa_user_sgpr_queue_ptr 0
		.amdhsa_user_sgpr_kernarg_segment_ptr 1
		.amdhsa_user_sgpr_dispatch_id 0
		.amdhsa_user_sgpr_flat_scratch_init 0
		.amdhsa_user_sgpr_kernarg_preload_length 0
		.amdhsa_user_sgpr_kernarg_preload_offset 0
		.amdhsa_user_sgpr_private_segment_size 0
		.amdhsa_uses_dynamic_stack 0
		.amdhsa_system_sgpr_private_segment_wavefront_offset 0
		.amdhsa_system_sgpr_workgroup_id_x 1
		.amdhsa_system_sgpr_workgroup_id_y 0
		.amdhsa_system_sgpr_workgroup_id_z 0
		.amdhsa_system_sgpr_workgroup_info 0
		.amdhsa_system_vgpr_workitem_id 0
		.amdhsa_next_free_vgpr 1
		.amdhsa_next_free_sgpr 0
		.amdhsa_accum_offset 4
		.amdhsa_reserve_vcc 0
		.amdhsa_reserve_flat_scratch 0
		.amdhsa_float_round_mode_32 0
		.amdhsa_float_round_mode_16_64 0
		.amdhsa_float_denorm_mode_32 3
		.amdhsa_float_denorm_mode_16_64 3
		.amdhsa_dx10_clamp 1
		.amdhsa_ieee_mode 1
		.amdhsa_fp16_overflow 0
		.amdhsa_tg_split 0
		.amdhsa_exception_fp_ieee_invalid_op 0
		.amdhsa_exception_fp_denorm_src 0
		.amdhsa_exception_fp_ieee_div_zero 0
		.amdhsa_exception_fp_ieee_overflow 0
		.amdhsa_exception_fp_ieee_underflow 0
		.amdhsa_exception_fp_ieee_inexact 0
		.amdhsa_exception_int_div_zero 0
	.end_amdhsa_kernel
	.section	.text._ZN7rocprim17ROCPRIM_400000_NS6detail17trampoline_kernelINS0_14default_configENS1_20scan_config_selectorI11FixedVectorIiLj1EEEEZZNS1_9scan_implILNS1_25lookback_scan_determinismE0ELb1ELb1ES3_N6thrust23THRUST_200600_302600_NS6detail15normal_iteratorINSB_10device_ptrIS6_EEEESG_S6_NSB_4plusIvEES6_EEDaPvRmT3_T4_T5_mT6_P12ihipStream_tbENKUlT_T0_E_clISt17integral_constantIbLb1EESW_EEDaSR_SS_EUlSR_E_NS1_11comp_targetILNS1_3genE8ELNS1_11target_archE1030ELNS1_3gpuE2ELNS1_3repE0EEENS1_30default_config_static_selectorELNS0_4arch9wavefront6targetE1EEEvT1_,"axG",@progbits,_ZN7rocprim17ROCPRIM_400000_NS6detail17trampoline_kernelINS0_14default_configENS1_20scan_config_selectorI11FixedVectorIiLj1EEEEZZNS1_9scan_implILNS1_25lookback_scan_determinismE0ELb1ELb1ES3_N6thrust23THRUST_200600_302600_NS6detail15normal_iteratorINSB_10device_ptrIS6_EEEESG_S6_NSB_4plusIvEES6_EEDaPvRmT3_T4_T5_mT6_P12ihipStream_tbENKUlT_T0_E_clISt17integral_constantIbLb1EESW_EEDaSR_SS_EUlSR_E_NS1_11comp_targetILNS1_3genE8ELNS1_11target_archE1030ELNS1_3gpuE2ELNS1_3repE0EEENS1_30default_config_static_selectorELNS0_4arch9wavefront6targetE1EEEvT1_,comdat
.Lfunc_end6488:
	.size	_ZN7rocprim17ROCPRIM_400000_NS6detail17trampoline_kernelINS0_14default_configENS1_20scan_config_selectorI11FixedVectorIiLj1EEEEZZNS1_9scan_implILNS1_25lookback_scan_determinismE0ELb1ELb1ES3_N6thrust23THRUST_200600_302600_NS6detail15normal_iteratorINSB_10device_ptrIS6_EEEESG_S6_NSB_4plusIvEES6_EEDaPvRmT3_T4_T5_mT6_P12ihipStream_tbENKUlT_T0_E_clISt17integral_constantIbLb1EESW_EEDaSR_SS_EUlSR_E_NS1_11comp_targetILNS1_3genE8ELNS1_11target_archE1030ELNS1_3gpuE2ELNS1_3repE0EEENS1_30default_config_static_selectorELNS0_4arch9wavefront6targetE1EEEvT1_, .Lfunc_end6488-_ZN7rocprim17ROCPRIM_400000_NS6detail17trampoline_kernelINS0_14default_configENS1_20scan_config_selectorI11FixedVectorIiLj1EEEEZZNS1_9scan_implILNS1_25lookback_scan_determinismE0ELb1ELb1ES3_N6thrust23THRUST_200600_302600_NS6detail15normal_iteratorINSB_10device_ptrIS6_EEEESG_S6_NSB_4plusIvEES6_EEDaPvRmT3_T4_T5_mT6_P12ihipStream_tbENKUlT_T0_E_clISt17integral_constantIbLb1EESW_EEDaSR_SS_EUlSR_E_NS1_11comp_targetILNS1_3genE8ELNS1_11target_archE1030ELNS1_3gpuE2ELNS1_3repE0EEENS1_30default_config_static_selectorELNS0_4arch9wavefront6targetE1EEEvT1_
                                        ; -- End function
	.section	.AMDGPU.csdata,"",@progbits
; Kernel info:
; codeLenInByte = 0
; NumSgprs: 4
; NumVgprs: 0
; NumAgprs: 0
; TotalNumVgprs: 0
; ScratchSize: 0
; MemoryBound: 0
; FloatMode: 240
; IeeeMode: 1
; LDSByteSize: 0 bytes/workgroup (compile time only)
; SGPRBlocks: 0
; VGPRBlocks: 0
; NumSGPRsForWavesPerEU: 4
; NumVGPRsForWavesPerEU: 1
; AccumOffset: 4
; Occupancy: 8
; WaveLimiterHint : 0
; COMPUTE_PGM_RSRC2:SCRATCH_EN: 0
; COMPUTE_PGM_RSRC2:USER_SGPR: 6
; COMPUTE_PGM_RSRC2:TRAP_HANDLER: 0
; COMPUTE_PGM_RSRC2:TGID_X_EN: 1
; COMPUTE_PGM_RSRC2:TGID_Y_EN: 0
; COMPUTE_PGM_RSRC2:TGID_Z_EN: 0
; COMPUTE_PGM_RSRC2:TIDIG_COMP_CNT: 0
; COMPUTE_PGM_RSRC3_GFX90A:ACCUM_OFFSET: 0
; COMPUTE_PGM_RSRC3_GFX90A:TG_SPLIT: 0
	.section	.text._ZN7rocprim17ROCPRIM_400000_NS6detail17trampoline_kernelINS0_14default_configENS1_20scan_config_selectorI11FixedVectorIiLj1EEEEZZNS1_9scan_implILNS1_25lookback_scan_determinismE0ELb1ELb1ES3_N6thrust23THRUST_200600_302600_NS6detail15normal_iteratorINSB_10device_ptrIS6_EEEESG_S6_NSB_4plusIvEES6_EEDaPvRmT3_T4_T5_mT6_P12ihipStream_tbENKUlT_T0_E_clISt17integral_constantIbLb1EESW_EEDaSR_SS_EUlSR_E0_NS1_11comp_targetILNS1_3genE0ELNS1_11target_archE4294967295ELNS1_3gpuE0ELNS1_3repE0EEENS1_30default_config_static_selectorELNS0_4arch9wavefront6targetE1EEEvT1_,"axG",@progbits,_ZN7rocprim17ROCPRIM_400000_NS6detail17trampoline_kernelINS0_14default_configENS1_20scan_config_selectorI11FixedVectorIiLj1EEEEZZNS1_9scan_implILNS1_25lookback_scan_determinismE0ELb1ELb1ES3_N6thrust23THRUST_200600_302600_NS6detail15normal_iteratorINSB_10device_ptrIS6_EEEESG_S6_NSB_4plusIvEES6_EEDaPvRmT3_T4_T5_mT6_P12ihipStream_tbENKUlT_T0_E_clISt17integral_constantIbLb1EESW_EEDaSR_SS_EUlSR_E0_NS1_11comp_targetILNS1_3genE0ELNS1_11target_archE4294967295ELNS1_3gpuE0ELNS1_3repE0EEENS1_30default_config_static_selectorELNS0_4arch9wavefront6targetE1EEEvT1_,comdat
	.protected	_ZN7rocprim17ROCPRIM_400000_NS6detail17trampoline_kernelINS0_14default_configENS1_20scan_config_selectorI11FixedVectorIiLj1EEEEZZNS1_9scan_implILNS1_25lookback_scan_determinismE0ELb1ELb1ES3_N6thrust23THRUST_200600_302600_NS6detail15normal_iteratorINSB_10device_ptrIS6_EEEESG_S6_NSB_4plusIvEES6_EEDaPvRmT3_T4_T5_mT6_P12ihipStream_tbENKUlT_T0_E_clISt17integral_constantIbLb1EESW_EEDaSR_SS_EUlSR_E0_NS1_11comp_targetILNS1_3genE0ELNS1_11target_archE4294967295ELNS1_3gpuE0ELNS1_3repE0EEENS1_30default_config_static_selectorELNS0_4arch9wavefront6targetE1EEEvT1_ ; -- Begin function _ZN7rocprim17ROCPRIM_400000_NS6detail17trampoline_kernelINS0_14default_configENS1_20scan_config_selectorI11FixedVectorIiLj1EEEEZZNS1_9scan_implILNS1_25lookback_scan_determinismE0ELb1ELb1ES3_N6thrust23THRUST_200600_302600_NS6detail15normal_iteratorINSB_10device_ptrIS6_EEEESG_S6_NSB_4plusIvEES6_EEDaPvRmT3_T4_T5_mT6_P12ihipStream_tbENKUlT_T0_E_clISt17integral_constantIbLb1EESW_EEDaSR_SS_EUlSR_E0_NS1_11comp_targetILNS1_3genE0ELNS1_11target_archE4294967295ELNS1_3gpuE0ELNS1_3repE0EEENS1_30default_config_static_selectorELNS0_4arch9wavefront6targetE1EEEvT1_
	.globl	_ZN7rocprim17ROCPRIM_400000_NS6detail17trampoline_kernelINS0_14default_configENS1_20scan_config_selectorI11FixedVectorIiLj1EEEEZZNS1_9scan_implILNS1_25lookback_scan_determinismE0ELb1ELb1ES3_N6thrust23THRUST_200600_302600_NS6detail15normal_iteratorINSB_10device_ptrIS6_EEEESG_S6_NSB_4plusIvEES6_EEDaPvRmT3_T4_T5_mT6_P12ihipStream_tbENKUlT_T0_E_clISt17integral_constantIbLb1EESW_EEDaSR_SS_EUlSR_E0_NS1_11comp_targetILNS1_3genE0ELNS1_11target_archE4294967295ELNS1_3gpuE0ELNS1_3repE0EEENS1_30default_config_static_selectorELNS0_4arch9wavefront6targetE1EEEvT1_
	.p2align	8
	.type	_ZN7rocprim17ROCPRIM_400000_NS6detail17trampoline_kernelINS0_14default_configENS1_20scan_config_selectorI11FixedVectorIiLj1EEEEZZNS1_9scan_implILNS1_25lookback_scan_determinismE0ELb1ELb1ES3_N6thrust23THRUST_200600_302600_NS6detail15normal_iteratorINSB_10device_ptrIS6_EEEESG_S6_NSB_4plusIvEES6_EEDaPvRmT3_T4_T5_mT6_P12ihipStream_tbENKUlT_T0_E_clISt17integral_constantIbLb1EESW_EEDaSR_SS_EUlSR_E0_NS1_11comp_targetILNS1_3genE0ELNS1_11target_archE4294967295ELNS1_3gpuE0ELNS1_3repE0EEENS1_30default_config_static_selectorELNS0_4arch9wavefront6targetE1EEEvT1_,@function
_ZN7rocprim17ROCPRIM_400000_NS6detail17trampoline_kernelINS0_14default_configENS1_20scan_config_selectorI11FixedVectorIiLj1EEEEZZNS1_9scan_implILNS1_25lookback_scan_determinismE0ELb1ELb1ES3_N6thrust23THRUST_200600_302600_NS6detail15normal_iteratorINSB_10device_ptrIS6_EEEESG_S6_NSB_4plusIvEES6_EEDaPvRmT3_T4_T5_mT6_P12ihipStream_tbENKUlT_T0_E_clISt17integral_constantIbLb1EESW_EEDaSR_SS_EUlSR_E0_NS1_11comp_targetILNS1_3genE0ELNS1_11target_archE4294967295ELNS1_3gpuE0ELNS1_3repE0EEENS1_30default_config_static_selectorELNS0_4arch9wavefront6targetE1EEEvT1_: ; @_ZN7rocprim17ROCPRIM_400000_NS6detail17trampoline_kernelINS0_14default_configENS1_20scan_config_selectorI11FixedVectorIiLj1EEEEZZNS1_9scan_implILNS1_25lookback_scan_determinismE0ELb1ELb1ES3_N6thrust23THRUST_200600_302600_NS6detail15normal_iteratorINSB_10device_ptrIS6_EEEESG_S6_NSB_4plusIvEES6_EEDaPvRmT3_T4_T5_mT6_P12ihipStream_tbENKUlT_T0_E_clISt17integral_constantIbLb1EESW_EEDaSR_SS_EUlSR_E0_NS1_11comp_targetILNS1_3genE0ELNS1_11target_archE4294967295ELNS1_3gpuE0ELNS1_3repE0EEENS1_30default_config_static_selectorELNS0_4arch9wavefront6targetE1EEEvT1_
; %bb.0:
	.section	.rodata,"a",@progbits
	.p2align	6, 0x0
	.amdhsa_kernel _ZN7rocprim17ROCPRIM_400000_NS6detail17trampoline_kernelINS0_14default_configENS1_20scan_config_selectorI11FixedVectorIiLj1EEEEZZNS1_9scan_implILNS1_25lookback_scan_determinismE0ELb1ELb1ES3_N6thrust23THRUST_200600_302600_NS6detail15normal_iteratorINSB_10device_ptrIS6_EEEESG_S6_NSB_4plusIvEES6_EEDaPvRmT3_T4_T5_mT6_P12ihipStream_tbENKUlT_T0_E_clISt17integral_constantIbLb1EESW_EEDaSR_SS_EUlSR_E0_NS1_11comp_targetILNS1_3genE0ELNS1_11target_archE4294967295ELNS1_3gpuE0ELNS1_3repE0EEENS1_30default_config_static_selectorELNS0_4arch9wavefront6targetE1EEEvT1_
		.amdhsa_group_segment_fixed_size 0
		.amdhsa_private_segment_fixed_size 0
		.amdhsa_kernarg_size 32
		.amdhsa_user_sgpr_count 6
		.amdhsa_user_sgpr_private_segment_buffer 1
		.amdhsa_user_sgpr_dispatch_ptr 0
		.amdhsa_user_sgpr_queue_ptr 0
		.amdhsa_user_sgpr_kernarg_segment_ptr 1
		.amdhsa_user_sgpr_dispatch_id 0
		.amdhsa_user_sgpr_flat_scratch_init 0
		.amdhsa_user_sgpr_kernarg_preload_length 0
		.amdhsa_user_sgpr_kernarg_preload_offset 0
		.amdhsa_user_sgpr_private_segment_size 0
		.amdhsa_uses_dynamic_stack 0
		.amdhsa_system_sgpr_private_segment_wavefront_offset 0
		.amdhsa_system_sgpr_workgroup_id_x 1
		.amdhsa_system_sgpr_workgroup_id_y 0
		.amdhsa_system_sgpr_workgroup_id_z 0
		.amdhsa_system_sgpr_workgroup_info 0
		.amdhsa_system_vgpr_workitem_id 0
		.amdhsa_next_free_vgpr 1
		.amdhsa_next_free_sgpr 0
		.amdhsa_accum_offset 4
		.amdhsa_reserve_vcc 0
		.amdhsa_reserve_flat_scratch 0
		.amdhsa_float_round_mode_32 0
		.amdhsa_float_round_mode_16_64 0
		.amdhsa_float_denorm_mode_32 3
		.amdhsa_float_denorm_mode_16_64 3
		.amdhsa_dx10_clamp 1
		.amdhsa_ieee_mode 1
		.amdhsa_fp16_overflow 0
		.amdhsa_tg_split 0
		.amdhsa_exception_fp_ieee_invalid_op 0
		.amdhsa_exception_fp_denorm_src 0
		.amdhsa_exception_fp_ieee_div_zero 0
		.amdhsa_exception_fp_ieee_overflow 0
		.amdhsa_exception_fp_ieee_underflow 0
		.amdhsa_exception_fp_ieee_inexact 0
		.amdhsa_exception_int_div_zero 0
	.end_amdhsa_kernel
	.section	.text._ZN7rocprim17ROCPRIM_400000_NS6detail17trampoline_kernelINS0_14default_configENS1_20scan_config_selectorI11FixedVectorIiLj1EEEEZZNS1_9scan_implILNS1_25lookback_scan_determinismE0ELb1ELb1ES3_N6thrust23THRUST_200600_302600_NS6detail15normal_iteratorINSB_10device_ptrIS6_EEEESG_S6_NSB_4plusIvEES6_EEDaPvRmT3_T4_T5_mT6_P12ihipStream_tbENKUlT_T0_E_clISt17integral_constantIbLb1EESW_EEDaSR_SS_EUlSR_E0_NS1_11comp_targetILNS1_3genE0ELNS1_11target_archE4294967295ELNS1_3gpuE0ELNS1_3repE0EEENS1_30default_config_static_selectorELNS0_4arch9wavefront6targetE1EEEvT1_,"axG",@progbits,_ZN7rocprim17ROCPRIM_400000_NS6detail17trampoline_kernelINS0_14default_configENS1_20scan_config_selectorI11FixedVectorIiLj1EEEEZZNS1_9scan_implILNS1_25lookback_scan_determinismE0ELb1ELb1ES3_N6thrust23THRUST_200600_302600_NS6detail15normal_iteratorINSB_10device_ptrIS6_EEEESG_S6_NSB_4plusIvEES6_EEDaPvRmT3_T4_T5_mT6_P12ihipStream_tbENKUlT_T0_E_clISt17integral_constantIbLb1EESW_EEDaSR_SS_EUlSR_E0_NS1_11comp_targetILNS1_3genE0ELNS1_11target_archE4294967295ELNS1_3gpuE0ELNS1_3repE0EEENS1_30default_config_static_selectorELNS0_4arch9wavefront6targetE1EEEvT1_,comdat
.Lfunc_end6489:
	.size	_ZN7rocprim17ROCPRIM_400000_NS6detail17trampoline_kernelINS0_14default_configENS1_20scan_config_selectorI11FixedVectorIiLj1EEEEZZNS1_9scan_implILNS1_25lookback_scan_determinismE0ELb1ELb1ES3_N6thrust23THRUST_200600_302600_NS6detail15normal_iteratorINSB_10device_ptrIS6_EEEESG_S6_NSB_4plusIvEES6_EEDaPvRmT3_T4_T5_mT6_P12ihipStream_tbENKUlT_T0_E_clISt17integral_constantIbLb1EESW_EEDaSR_SS_EUlSR_E0_NS1_11comp_targetILNS1_3genE0ELNS1_11target_archE4294967295ELNS1_3gpuE0ELNS1_3repE0EEENS1_30default_config_static_selectorELNS0_4arch9wavefront6targetE1EEEvT1_, .Lfunc_end6489-_ZN7rocprim17ROCPRIM_400000_NS6detail17trampoline_kernelINS0_14default_configENS1_20scan_config_selectorI11FixedVectorIiLj1EEEEZZNS1_9scan_implILNS1_25lookback_scan_determinismE0ELb1ELb1ES3_N6thrust23THRUST_200600_302600_NS6detail15normal_iteratorINSB_10device_ptrIS6_EEEESG_S6_NSB_4plusIvEES6_EEDaPvRmT3_T4_T5_mT6_P12ihipStream_tbENKUlT_T0_E_clISt17integral_constantIbLb1EESW_EEDaSR_SS_EUlSR_E0_NS1_11comp_targetILNS1_3genE0ELNS1_11target_archE4294967295ELNS1_3gpuE0ELNS1_3repE0EEENS1_30default_config_static_selectorELNS0_4arch9wavefront6targetE1EEEvT1_
                                        ; -- End function
	.section	.AMDGPU.csdata,"",@progbits
; Kernel info:
; codeLenInByte = 0
; NumSgprs: 4
; NumVgprs: 0
; NumAgprs: 0
; TotalNumVgprs: 0
; ScratchSize: 0
; MemoryBound: 0
; FloatMode: 240
; IeeeMode: 1
; LDSByteSize: 0 bytes/workgroup (compile time only)
; SGPRBlocks: 0
; VGPRBlocks: 0
; NumSGPRsForWavesPerEU: 4
; NumVGPRsForWavesPerEU: 1
; AccumOffset: 4
; Occupancy: 8
; WaveLimiterHint : 0
; COMPUTE_PGM_RSRC2:SCRATCH_EN: 0
; COMPUTE_PGM_RSRC2:USER_SGPR: 6
; COMPUTE_PGM_RSRC2:TRAP_HANDLER: 0
; COMPUTE_PGM_RSRC2:TGID_X_EN: 1
; COMPUTE_PGM_RSRC2:TGID_Y_EN: 0
; COMPUTE_PGM_RSRC2:TGID_Z_EN: 0
; COMPUTE_PGM_RSRC2:TIDIG_COMP_CNT: 0
; COMPUTE_PGM_RSRC3_GFX90A:ACCUM_OFFSET: 0
; COMPUTE_PGM_RSRC3_GFX90A:TG_SPLIT: 0
	.section	.text._ZN7rocprim17ROCPRIM_400000_NS6detail17trampoline_kernelINS0_14default_configENS1_20scan_config_selectorI11FixedVectorIiLj1EEEEZZNS1_9scan_implILNS1_25lookback_scan_determinismE0ELb1ELb1ES3_N6thrust23THRUST_200600_302600_NS6detail15normal_iteratorINSB_10device_ptrIS6_EEEESG_S6_NSB_4plusIvEES6_EEDaPvRmT3_T4_T5_mT6_P12ihipStream_tbENKUlT_T0_E_clISt17integral_constantIbLb1EESW_EEDaSR_SS_EUlSR_E0_NS1_11comp_targetILNS1_3genE5ELNS1_11target_archE942ELNS1_3gpuE9ELNS1_3repE0EEENS1_30default_config_static_selectorELNS0_4arch9wavefront6targetE1EEEvT1_,"axG",@progbits,_ZN7rocprim17ROCPRIM_400000_NS6detail17trampoline_kernelINS0_14default_configENS1_20scan_config_selectorI11FixedVectorIiLj1EEEEZZNS1_9scan_implILNS1_25lookback_scan_determinismE0ELb1ELb1ES3_N6thrust23THRUST_200600_302600_NS6detail15normal_iteratorINSB_10device_ptrIS6_EEEESG_S6_NSB_4plusIvEES6_EEDaPvRmT3_T4_T5_mT6_P12ihipStream_tbENKUlT_T0_E_clISt17integral_constantIbLb1EESW_EEDaSR_SS_EUlSR_E0_NS1_11comp_targetILNS1_3genE5ELNS1_11target_archE942ELNS1_3gpuE9ELNS1_3repE0EEENS1_30default_config_static_selectorELNS0_4arch9wavefront6targetE1EEEvT1_,comdat
	.protected	_ZN7rocprim17ROCPRIM_400000_NS6detail17trampoline_kernelINS0_14default_configENS1_20scan_config_selectorI11FixedVectorIiLj1EEEEZZNS1_9scan_implILNS1_25lookback_scan_determinismE0ELb1ELb1ES3_N6thrust23THRUST_200600_302600_NS6detail15normal_iteratorINSB_10device_ptrIS6_EEEESG_S6_NSB_4plusIvEES6_EEDaPvRmT3_T4_T5_mT6_P12ihipStream_tbENKUlT_T0_E_clISt17integral_constantIbLb1EESW_EEDaSR_SS_EUlSR_E0_NS1_11comp_targetILNS1_3genE5ELNS1_11target_archE942ELNS1_3gpuE9ELNS1_3repE0EEENS1_30default_config_static_selectorELNS0_4arch9wavefront6targetE1EEEvT1_ ; -- Begin function _ZN7rocprim17ROCPRIM_400000_NS6detail17trampoline_kernelINS0_14default_configENS1_20scan_config_selectorI11FixedVectorIiLj1EEEEZZNS1_9scan_implILNS1_25lookback_scan_determinismE0ELb1ELb1ES3_N6thrust23THRUST_200600_302600_NS6detail15normal_iteratorINSB_10device_ptrIS6_EEEESG_S6_NSB_4plusIvEES6_EEDaPvRmT3_T4_T5_mT6_P12ihipStream_tbENKUlT_T0_E_clISt17integral_constantIbLb1EESW_EEDaSR_SS_EUlSR_E0_NS1_11comp_targetILNS1_3genE5ELNS1_11target_archE942ELNS1_3gpuE9ELNS1_3repE0EEENS1_30default_config_static_selectorELNS0_4arch9wavefront6targetE1EEEvT1_
	.globl	_ZN7rocprim17ROCPRIM_400000_NS6detail17trampoline_kernelINS0_14default_configENS1_20scan_config_selectorI11FixedVectorIiLj1EEEEZZNS1_9scan_implILNS1_25lookback_scan_determinismE0ELb1ELb1ES3_N6thrust23THRUST_200600_302600_NS6detail15normal_iteratorINSB_10device_ptrIS6_EEEESG_S6_NSB_4plusIvEES6_EEDaPvRmT3_T4_T5_mT6_P12ihipStream_tbENKUlT_T0_E_clISt17integral_constantIbLb1EESW_EEDaSR_SS_EUlSR_E0_NS1_11comp_targetILNS1_3genE5ELNS1_11target_archE942ELNS1_3gpuE9ELNS1_3repE0EEENS1_30default_config_static_selectorELNS0_4arch9wavefront6targetE1EEEvT1_
	.p2align	8
	.type	_ZN7rocprim17ROCPRIM_400000_NS6detail17trampoline_kernelINS0_14default_configENS1_20scan_config_selectorI11FixedVectorIiLj1EEEEZZNS1_9scan_implILNS1_25lookback_scan_determinismE0ELb1ELb1ES3_N6thrust23THRUST_200600_302600_NS6detail15normal_iteratorINSB_10device_ptrIS6_EEEESG_S6_NSB_4plusIvEES6_EEDaPvRmT3_T4_T5_mT6_P12ihipStream_tbENKUlT_T0_E_clISt17integral_constantIbLb1EESW_EEDaSR_SS_EUlSR_E0_NS1_11comp_targetILNS1_3genE5ELNS1_11target_archE942ELNS1_3gpuE9ELNS1_3repE0EEENS1_30default_config_static_selectorELNS0_4arch9wavefront6targetE1EEEvT1_,@function
_ZN7rocprim17ROCPRIM_400000_NS6detail17trampoline_kernelINS0_14default_configENS1_20scan_config_selectorI11FixedVectorIiLj1EEEEZZNS1_9scan_implILNS1_25lookback_scan_determinismE0ELb1ELb1ES3_N6thrust23THRUST_200600_302600_NS6detail15normal_iteratorINSB_10device_ptrIS6_EEEESG_S6_NSB_4plusIvEES6_EEDaPvRmT3_T4_T5_mT6_P12ihipStream_tbENKUlT_T0_E_clISt17integral_constantIbLb1EESW_EEDaSR_SS_EUlSR_E0_NS1_11comp_targetILNS1_3genE5ELNS1_11target_archE942ELNS1_3gpuE9ELNS1_3repE0EEENS1_30default_config_static_selectorELNS0_4arch9wavefront6targetE1EEEvT1_: ; @_ZN7rocprim17ROCPRIM_400000_NS6detail17trampoline_kernelINS0_14default_configENS1_20scan_config_selectorI11FixedVectorIiLj1EEEEZZNS1_9scan_implILNS1_25lookback_scan_determinismE0ELb1ELb1ES3_N6thrust23THRUST_200600_302600_NS6detail15normal_iteratorINSB_10device_ptrIS6_EEEESG_S6_NSB_4plusIvEES6_EEDaPvRmT3_T4_T5_mT6_P12ihipStream_tbENKUlT_T0_E_clISt17integral_constantIbLb1EESW_EEDaSR_SS_EUlSR_E0_NS1_11comp_targetILNS1_3genE5ELNS1_11target_archE942ELNS1_3gpuE9ELNS1_3repE0EEENS1_30default_config_static_selectorELNS0_4arch9wavefront6targetE1EEEvT1_
; %bb.0:
	.section	.rodata,"a",@progbits
	.p2align	6, 0x0
	.amdhsa_kernel _ZN7rocprim17ROCPRIM_400000_NS6detail17trampoline_kernelINS0_14default_configENS1_20scan_config_selectorI11FixedVectorIiLj1EEEEZZNS1_9scan_implILNS1_25lookback_scan_determinismE0ELb1ELb1ES3_N6thrust23THRUST_200600_302600_NS6detail15normal_iteratorINSB_10device_ptrIS6_EEEESG_S6_NSB_4plusIvEES6_EEDaPvRmT3_T4_T5_mT6_P12ihipStream_tbENKUlT_T0_E_clISt17integral_constantIbLb1EESW_EEDaSR_SS_EUlSR_E0_NS1_11comp_targetILNS1_3genE5ELNS1_11target_archE942ELNS1_3gpuE9ELNS1_3repE0EEENS1_30default_config_static_selectorELNS0_4arch9wavefront6targetE1EEEvT1_
		.amdhsa_group_segment_fixed_size 0
		.amdhsa_private_segment_fixed_size 0
		.amdhsa_kernarg_size 32
		.amdhsa_user_sgpr_count 6
		.amdhsa_user_sgpr_private_segment_buffer 1
		.amdhsa_user_sgpr_dispatch_ptr 0
		.amdhsa_user_sgpr_queue_ptr 0
		.amdhsa_user_sgpr_kernarg_segment_ptr 1
		.amdhsa_user_sgpr_dispatch_id 0
		.amdhsa_user_sgpr_flat_scratch_init 0
		.amdhsa_user_sgpr_kernarg_preload_length 0
		.amdhsa_user_sgpr_kernarg_preload_offset 0
		.amdhsa_user_sgpr_private_segment_size 0
		.amdhsa_uses_dynamic_stack 0
		.amdhsa_system_sgpr_private_segment_wavefront_offset 0
		.amdhsa_system_sgpr_workgroup_id_x 1
		.amdhsa_system_sgpr_workgroup_id_y 0
		.amdhsa_system_sgpr_workgroup_id_z 0
		.amdhsa_system_sgpr_workgroup_info 0
		.amdhsa_system_vgpr_workitem_id 0
		.amdhsa_next_free_vgpr 1
		.amdhsa_next_free_sgpr 0
		.amdhsa_accum_offset 4
		.amdhsa_reserve_vcc 0
		.amdhsa_reserve_flat_scratch 0
		.amdhsa_float_round_mode_32 0
		.amdhsa_float_round_mode_16_64 0
		.amdhsa_float_denorm_mode_32 3
		.amdhsa_float_denorm_mode_16_64 3
		.amdhsa_dx10_clamp 1
		.amdhsa_ieee_mode 1
		.amdhsa_fp16_overflow 0
		.amdhsa_tg_split 0
		.amdhsa_exception_fp_ieee_invalid_op 0
		.amdhsa_exception_fp_denorm_src 0
		.amdhsa_exception_fp_ieee_div_zero 0
		.amdhsa_exception_fp_ieee_overflow 0
		.amdhsa_exception_fp_ieee_underflow 0
		.amdhsa_exception_fp_ieee_inexact 0
		.amdhsa_exception_int_div_zero 0
	.end_amdhsa_kernel
	.section	.text._ZN7rocprim17ROCPRIM_400000_NS6detail17trampoline_kernelINS0_14default_configENS1_20scan_config_selectorI11FixedVectorIiLj1EEEEZZNS1_9scan_implILNS1_25lookback_scan_determinismE0ELb1ELb1ES3_N6thrust23THRUST_200600_302600_NS6detail15normal_iteratorINSB_10device_ptrIS6_EEEESG_S6_NSB_4plusIvEES6_EEDaPvRmT3_T4_T5_mT6_P12ihipStream_tbENKUlT_T0_E_clISt17integral_constantIbLb1EESW_EEDaSR_SS_EUlSR_E0_NS1_11comp_targetILNS1_3genE5ELNS1_11target_archE942ELNS1_3gpuE9ELNS1_3repE0EEENS1_30default_config_static_selectorELNS0_4arch9wavefront6targetE1EEEvT1_,"axG",@progbits,_ZN7rocprim17ROCPRIM_400000_NS6detail17trampoline_kernelINS0_14default_configENS1_20scan_config_selectorI11FixedVectorIiLj1EEEEZZNS1_9scan_implILNS1_25lookback_scan_determinismE0ELb1ELb1ES3_N6thrust23THRUST_200600_302600_NS6detail15normal_iteratorINSB_10device_ptrIS6_EEEESG_S6_NSB_4plusIvEES6_EEDaPvRmT3_T4_T5_mT6_P12ihipStream_tbENKUlT_T0_E_clISt17integral_constantIbLb1EESW_EEDaSR_SS_EUlSR_E0_NS1_11comp_targetILNS1_3genE5ELNS1_11target_archE942ELNS1_3gpuE9ELNS1_3repE0EEENS1_30default_config_static_selectorELNS0_4arch9wavefront6targetE1EEEvT1_,comdat
.Lfunc_end6490:
	.size	_ZN7rocprim17ROCPRIM_400000_NS6detail17trampoline_kernelINS0_14default_configENS1_20scan_config_selectorI11FixedVectorIiLj1EEEEZZNS1_9scan_implILNS1_25lookback_scan_determinismE0ELb1ELb1ES3_N6thrust23THRUST_200600_302600_NS6detail15normal_iteratorINSB_10device_ptrIS6_EEEESG_S6_NSB_4plusIvEES6_EEDaPvRmT3_T4_T5_mT6_P12ihipStream_tbENKUlT_T0_E_clISt17integral_constantIbLb1EESW_EEDaSR_SS_EUlSR_E0_NS1_11comp_targetILNS1_3genE5ELNS1_11target_archE942ELNS1_3gpuE9ELNS1_3repE0EEENS1_30default_config_static_selectorELNS0_4arch9wavefront6targetE1EEEvT1_, .Lfunc_end6490-_ZN7rocprim17ROCPRIM_400000_NS6detail17trampoline_kernelINS0_14default_configENS1_20scan_config_selectorI11FixedVectorIiLj1EEEEZZNS1_9scan_implILNS1_25lookback_scan_determinismE0ELb1ELb1ES3_N6thrust23THRUST_200600_302600_NS6detail15normal_iteratorINSB_10device_ptrIS6_EEEESG_S6_NSB_4plusIvEES6_EEDaPvRmT3_T4_T5_mT6_P12ihipStream_tbENKUlT_T0_E_clISt17integral_constantIbLb1EESW_EEDaSR_SS_EUlSR_E0_NS1_11comp_targetILNS1_3genE5ELNS1_11target_archE942ELNS1_3gpuE9ELNS1_3repE0EEENS1_30default_config_static_selectorELNS0_4arch9wavefront6targetE1EEEvT1_
                                        ; -- End function
	.section	.AMDGPU.csdata,"",@progbits
; Kernel info:
; codeLenInByte = 0
; NumSgprs: 4
; NumVgprs: 0
; NumAgprs: 0
; TotalNumVgprs: 0
; ScratchSize: 0
; MemoryBound: 0
; FloatMode: 240
; IeeeMode: 1
; LDSByteSize: 0 bytes/workgroup (compile time only)
; SGPRBlocks: 0
; VGPRBlocks: 0
; NumSGPRsForWavesPerEU: 4
; NumVGPRsForWavesPerEU: 1
; AccumOffset: 4
; Occupancy: 8
; WaveLimiterHint : 0
; COMPUTE_PGM_RSRC2:SCRATCH_EN: 0
; COMPUTE_PGM_RSRC2:USER_SGPR: 6
; COMPUTE_PGM_RSRC2:TRAP_HANDLER: 0
; COMPUTE_PGM_RSRC2:TGID_X_EN: 1
; COMPUTE_PGM_RSRC2:TGID_Y_EN: 0
; COMPUTE_PGM_RSRC2:TGID_Z_EN: 0
; COMPUTE_PGM_RSRC2:TIDIG_COMP_CNT: 0
; COMPUTE_PGM_RSRC3_GFX90A:ACCUM_OFFSET: 0
; COMPUTE_PGM_RSRC3_GFX90A:TG_SPLIT: 0
	.section	.text._ZN7rocprim17ROCPRIM_400000_NS6detail17trampoline_kernelINS0_14default_configENS1_20scan_config_selectorI11FixedVectorIiLj1EEEEZZNS1_9scan_implILNS1_25lookback_scan_determinismE0ELb1ELb1ES3_N6thrust23THRUST_200600_302600_NS6detail15normal_iteratorINSB_10device_ptrIS6_EEEESG_S6_NSB_4plusIvEES6_EEDaPvRmT3_T4_T5_mT6_P12ihipStream_tbENKUlT_T0_E_clISt17integral_constantIbLb1EESW_EEDaSR_SS_EUlSR_E0_NS1_11comp_targetILNS1_3genE4ELNS1_11target_archE910ELNS1_3gpuE8ELNS1_3repE0EEENS1_30default_config_static_selectorELNS0_4arch9wavefront6targetE1EEEvT1_,"axG",@progbits,_ZN7rocprim17ROCPRIM_400000_NS6detail17trampoline_kernelINS0_14default_configENS1_20scan_config_selectorI11FixedVectorIiLj1EEEEZZNS1_9scan_implILNS1_25lookback_scan_determinismE0ELb1ELb1ES3_N6thrust23THRUST_200600_302600_NS6detail15normal_iteratorINSB_10device_ptrIS6_EEEESG_S6_NSB_4plusIvEES6_EEDaPvRmT3_T4_T5_mT6_P12ihipStream_tbENKUlT_T0_E_clISt17integral_constantIbLb1EESW_EEDaSR_SS_EUlSR_E0_NS1_11comp_targetILNS1_3genE4ELNS1_11target_archE910ELNS1_3gpuE8ELNS1_3repE0EEENS1_30default_config_static_selectorELNS0_4arch9wavefront6targetE1EEEvT1_,comdat
	.protected	_ZN7rocprim17ROCPRIM_400000_NS6detail17trampoline_kernelINS0_14default_configENS1_20scan_config_selectorI11FixedVectorIiLj1EEEEZZNS1_9scan_implILNS1_25lookback_scan_determinismE0ELb1ELb1ES3_N6thrust23THRUST_200600_302600_NS6detail15normal_iteratorINSB_10device_ptrIS6_EEEESG_S6_NSB_4plusIvEES6_EEDaPvRmT3_T4_T5_mT6_P12ihipStream_tbENKUlT_T0_E_clISt17integral_constantIbLb1EESW_EEDaSR_SS_EUlSR_E0_NS1_11comp_targetILNS1_3genE4ELNS1_11target_archE910ELNS1_3gpuE8ELNS1_3repE0EEENS1_30default_config_static_selectorELNS0_4arch9wavefront6targetE1EEEvT1_ ; -- Begin function _ZN7rocprim17ROCPRIM_400000_NS6detail17trampoline_kernelINS0_14default_configENS1_20scan_config_selectorI11FixedVectorIiLj1EEEEZZNS1_9scan_implILNS1_25lookback_scan_determinismE0ELb1ELb1ES3_N6thrust23THRUST_200600_302600_NS6detail15normal_iteratorINSB_10device_ptrIS6_EEEESG_S6_NSB_4plusIvEES6_EEDaPvRmT3_T4_T5_mT6_P12ihipStream_tbENKUlT_T0_E_clISt17integral_constantIbLb1EESW_EEDaSR_SS_EUlSR_E0_NS1_11comp_targetILNS1_3genE4ELNS1_11target_archE910ELNS1_3gpuE8ELNS1_3repE0EEENS1_30default_config_static_selectorELNS0_4arch9wavefront6targetE1EEEvT1_
	.globl	_ZN7rocprim17ROCPRIM_400000_NS6detail17trampoline_kernelINS0_14default_configENS1_20scan_config_selectorI11FixedVectorIiLj1EEEEZZNS1_9scan_implILNS1_25lookback_scan_determinismE0ELb1ELb1ES3_N6thrust23THRUST_200600_302600_NS6detail15normal_iteratorINSB_10device_ptrIS6_EEEESG_S6_NSB_4plusIvEES6_EEDaPvRmT3_T4_T5_mT6_P12ihipStream_tbENKUlT_T0_E_clISt17integral_constantIbLb1EESW_EEDaSR_SS_EUlSR_E0_NS1_11comp_targetILNS1_3genE4ELNS1_11target_archE910ELNS1_3gpuE8ELNS1_3repE0EEENS1_30default_config_static_selectorELNS0_4arch9wavefront6targetE1EEEvT1_
	.p2align	8
	.type	_ZN7rocprim17ROCPRIM_400000_NS6detail17trampoline_kernelINS0_14default_configENS1_20scan_config_selectorI11FixedVectorIiLj1EEEEZZNS1_9scan_implILNS1_25lookback_scan_determinismE0ELb1ELb1ES3_N6thrust23THRUST_200600_302600_NS6detail15normal_iteratorINSB_10device_ptrIS6_EEEESG_S6_NSB_4plusIvEES6_EEDaPvRmT3_T4_T5_mT6_P12ihipStream_tbENKUlT_T0_E_clISt17integral_constantIbLb1EESW_EEDaSR_SS_EUlSR_E0_NS1_11comp_targetILNS1_3genE4ELNS1_11target_archE910ELNS1_3gpuE8ELNS1_3repE0EEENS1_30default_config_static_selectorELNS0_4arch9wavefront6targetE1EEEvT1_,@function
_ZN7rocprim17ROCPRIM_400000_NS6detail17trampoline_kernelINS0_14default_configENS1_20scan_config_selectorI11FixedVectorIiLj1EEEEZZNS1_9scan_implILNS1_25lookback_scan_determinismE0ELb1ELb1ES3_N6thrust23THRUST_200600_302600_NS6detail15normal_iteratorINSB_10device_ptrIS6_EEEESG_S6_NSB_4plusIvEES6_EEDaPvRmT3_T4_T5_mT6_P12ihipStream_tbENKUlT_T0_E_clISt17integral_constantIbLb1EESW_EEDaSR_SS_EUlSR_E0_NS1_11comp_targetILNS1_3genE4ELNS1_11target_archE910ELNS1_3gpuE8ELNS1_3repE0EEENS1_30default_config_static_selectorELNS0_4arch9wavefront6targetE1EEEvT1_: ; @_ZN7rocprim17ROCPRIM_400000_NS6detail17trampoline_kernelINS0_14default_configENS1_20scan_config_selectorI11FixedVectorIiLj1EEEEZZNS1_9scan_implILNS1_25lookback_scan_determinismE0ELb1ELb1ES3_N6thrust23THRUST_200600_302600_NS6detail15normal_iteratorINSB_10device_ptrIS6_EEEESG_S6_NSB_4plusIvEES6_EEDaPvRmT3_T4_T5_mT6_P12ihipStream_tbENKUlT_T0_E_clISt17integral_constantIbLb1EESW_EEDaSR_SS_EUlSR_E0_NS1_11comp_targetILNS1_3genE4ELNS1_11target_archE910ELNS1_3gpuE8ELNS1_3repE0EEENS1_30default_config_static_selectorELNS0_4arch9wavefront6targetE1EEEvT1_
; %bb.0:
	s_load_dwordx4 s[20:23], s[4:5], 0x0
	v_lshlrev_b32_e32 v14, 2, v0
	s_waitcnt lgkmcnt(0)
	s_load_dword s23, s[20:21], 0x0
	v_cmp_gt_u32_e32 vcc, s22, v0
	s_waitcnt lgkmcnt(0)
	v_mov_b32_e32 v1, s23
	s_and_saveexec_b64 s[0:1], vcc
	s_cbranch_execz .LBB6491_2
; %bb.1:
	global_load_dword v1, v14, s[20:21]
.LBB6491_2:
	s_or_b64 exec, exec, s[0:1]
	v_or_b32_e32 v2, 0x80, v0
	v_cmp_gt_u32_e64 s[0:1], s22, v2
	v_mov_b32_e32 v2, s23
	s_and_saveexec_b64 s[2:3], s[0:1]
	s_cbranch_execz .LBB6491_4
; %bb.3:
	global_load_dword v2, v14, s[20:21] offset:512
.LBB6491_4:
	s_or_b64 exec, exec, s[2:3]
	v_or_b32_e32 v3, 0x100, v0
	v_cmp_gt_u32_e64 s[2:3], s22, v3
	v_mov_b32_e32 v3, s23
	s_and_saveexec_b64 s[6:7], s[2:3]
	s_cbranch_execz .LBB6491_6
; %bb.5:
	global_load_dword v3, v14, s[20:21] offset:1024
.LBB6491_6:
	;; [unrolled: 9-line block ×7, first 2 shown]
	s_or_b64 exec, exec, s[14:15]
	v_or_b32_e32 v10, 0x400, v0
	v_cmp_gt_u32_e64 s[14:15], s22, v10
	v_mov_b32_e32 v9, s23
	s_and_saveexec_b64 s[16:17], s[14:15]
	s_cbranch_execz .LBB6491_18
; %bb.17:
	v_lshlrev_b32_e32 v9, 2, v10
	global_load_dword v9, v9, s[20:21]
.LBB6491_18:
	s_or_b64 exec, exec, s[16:17]
	s_load_dword s24, s[4:5], 0x10
	v_or_b32_e32 v11, 0x480, v0
	v_cmp_gt_u32_e64 s[16:17], s22, v11
	v_mov_b32_e32 v10, s23
	s_and_saveexec_b64 s[22:23], s[16:17]
	s_cbranch_execz .LBB6491_20
; %bb.19:
	v_lshlrev_b32_e32 v10, 2, v11
	global_load_dword v10, v10, s[20:21]
.LBB6491_20:
	s_or_b64 exec, exec, s[22:23]
	s_waitcnt vmcnt(0)
	ds_write2st64_b32 v14, v1, v2 offset1:2
	ds_write2st64_b32 v14, v3, v4 offset0:4 offset1:6
	ds_write2st64_b32 v14, v5, v6 offset0:8 offset1:10
	;; [unrolled: 1-line block ×4, first 2 shown]
	v_mad_u32_u24 v1, v0, 36, v14
	s_waitcnt lgkmcnt(0)
	s_barrier
	ds_read2_b64 v[6:9], v1 offset1:1
	ds_read2_b64 v[2:5], v1 offset0:2 offset1:3
	ds_read_b64 v[10:11], v1 offset:32
	s_load_dwordx2 s[20:21], s[4:5], 0x18
	v_cmp_gt_u32_e64 s[4:5], 64, v0
	s_waitcnt lgkmcnt(0)
	v_add_u32_e32 v1, v7, v6
	v_add3_u32 v1, v1, v8, v9
	v_add3_u32 v1, v1, v2, v3
	;; [unrolled: 1-line block ×4, first 2 shown]
	v_lshrrev_b32_e32 v11, 3, v0
	v_and_b32_e32 v11, 12, v11
	v_add_u32_e32 v11, v14, v11
	s_barrier
	ds_write_b32 v11, v1
	s_waitcnt lgkmcnt(0)
	s_barrier
	s_and_saveexec_b64 s[22:23], s[4:5]
	s_cbranch_execz .LBB6491_22
; %bb.21:
	v_lshlrev_b32_e32 v11, 1, v0
	v_lshrrev_b32_e32 v12, 4, v0
	v_add_lshl_u32 v11, v12, v11, 2
	ds_read2_b32 v[12:13], v11 offset1:1
	v_mbcnt_lo_u32_b32 v15, -1, 0
	v_mbcnt_hi_u32_b32 v15, -1, v15
	v_and_b32_e32 v16, 15, v15
	v_cmp_ne_u32_e64 s[4:5], 0, v16
	s_waitcnt lgkmcnt(0)
	v_add_u32_e32 v13, v13, v12
	; wave barrier
	s_nop 1
	v_mov_b32_dpp v17, v13 row_shr:1 row_mask:0xf bank_mask:0xf
	v_cndmask_b32_e64 v17, 0, v17, s[4:5]
	v_add_u32_e32 v13, v17, v13
	v_cmp_lt_u32_e64 s[4:5], 1, v16
	s_nop 0
	v_mov_b32_dpp v17, v13 row_shr:2 row_mask:0xf bank_mask:0xf
	v_cndmask_b32_e64 v17, 0, v17, s[4:5]
	v_add_u32_e32 v13, v13, v17
	v_cmp_lt_u32_e64 s[4:5], 3, v16
	;; [unrolled: 5-line block ×3, first 2 shown]
	s_nop 0
	v_mov_b32_dpp v17, v13 row_shr:8 row_mask:0xf bank_mask:0xf
	v_cndmask_b32_e64 v16, 0, v17, s[4:5]
	v_add_u32_e32 v13, v13, v16
	v_bfe_i32 v17, v15, 4, 1
	v_cmp_lt_u32_e64 s[4:5], 31, v15
	v_mov_b32_dpp v16, v13 row_bcast:15 row_mask:0xf bank_mask:0xf
	v_and_b32_e32 v16, v17, v16
	v_add_u32_e32 v13, v13, v16
	v_and_b32_e32 v17, 64, v15
	s_nop 0
	v_mov_b32_dpp v16, v13 row_bcast:31 row_mask:0xf bank_mask:0xf
	v_cndmask_b32_e64 v16, 0, v16, s[4:5]
	v_add_u32_e32 v13, v13, v16
	v_add_u32_e32 v16, -1, v15
	v_cmp_lt_i32_e64 s[4:5], v16, v17
	v_cndmask_b32_e64 v15, v16, v15, s[4:5]
	v_lshlrev_b32_e32 v15, 2, v15
	ds_bpermute_b32 v13, v15, v13
	v_cmp_eq_u32_e64 s[4:5], 0, v0
	s_waitcnt lgkmcnt(0)
	v_add_u32_e32 v12, v13, v12
	v_cndmask_b32_e64 v1, v12, v1, s[4:5]
	ds_write_b32 v11, v1
	; wave barrier
	ds_read_b32 v12, v11 offset:4
	s_waitcnt lgkmcnt(0)
	v_add_u32_e32 v1, v12, v1
	ds_write_b32 v11, v1 offset:4
.LBB6491_22:
	s_or_b64 exec, exec, s[22:23]
	v_mul_u32_u24_e32 v1, 36, v0
	v_cmp_ne_u32_e64 s[4:5], 0, v0
	v_mov_b32_e32 v12, s24
	s_waitcnt lgkmcnt(0)
	s_barrier
	s_and_saveexec_b64 s[22:23], s[4:5]
	s_cbranch_execz .LBB6491_24
; %bb.23:
	v_add_u32_e32 v0, -1, v0
	v_lshrrev_b32_e32 v11, 5, v0
	v_add_lshl_u32 v0, v11, v0, 2
	ds_read_b32 v0, v0
	s_waitcnt lgkmcnt(0)
	v_add_u32_e32 v12, s24, v0
.LBB6491_24:
	s_or_b64 exec, exec, s[22:23]
	v_add_u32_e32 v13, v12, v6
	v_add_u32_e32 v6, v13, v7
	;; [unrolled: 1-line block ×10, first 2 shown]
	s_barrier
	ds_write2_b64 v0, v[12:13], v[6:7] offset1:1
	ds_write2_b64 v0, v[8:9], v[2:3] offset0:2 offset1:3
	ds_write_b64 v0, v[4:5] offset:32
	s_waitcnt lgkmcnt(0)
	s_barrier
	ds_read2st64_b32 v[8:9], v14 offset0:2 offset1:4
	ds_read2st64_b32 v[6:7], v14 offset0:6 offset1:8
	;; [unrolled: 1-line block ×4, first 2 shown]
	ds_read_b32 v10, v14 offset:4608
	v_mov_b32_e32 v1, s21
	v_add_co_u32_e64 v0, s[4:5], s20, v14
	v_addc_co_u32_e64 v1, s[4:5], 0, v1, s[4:5]
	s_and_saveexec_b64 s[4:5], vcc
	s_cbranch_execnz .LBB6491_35
; %bb.25:
	s_or_b64 exec, exec, s[4:5]
	s_and_saveexec_b64 s[4:5], s[0:1]
	s_cbranch_execnz .LBB6491_36
.LBB6491_26:
	s_or_b64 exec, exec, s[4:5]
	s_and_saveexec_b64 s[0:1], s[2:3]
	s_cbranch_execnz .LBB6491_37
.LBB6491_27:
	s_or_b64 exec, exec, s[0:1]
	s_and_saveexec_b64 s[0:1], s[18:19]
	s_cbranch_execnz .LBB6491_38
.LBB6491_28:
	s_or_b64 exec, exec, s[0:1]
	s_and_saveexec_b64 s[0:1], s[6:7]
	s_cbranch_execnz .LBB6491_39
.LBB6491_29:
	s_or_b64 exec, exec, s[0:1]
	s_and_saveexec_b64 s[0:1], s[8:9]
	s_cbranch_execnz .LBB6491_40
.LBB6491_30:
	s_or_b64 exec, exec, s[0:1]
	s_and_saveexec_b64 s[0:1], s[10:11]
	s_cbranch_execnz .LBB6491_41
.LBB6491_31:
	s_or_b64 exec, exec, s[0:1]
	s_and_saveexec_b64 s[0:1], s[12:13]
	s_cbranch_execnz .LBB6491_42
.LBB6491_32:
	s_or_b64 exec, exec, s[0:1]
	s_and_saveexec_b64 s[0:1], s[14:15]
	s_cbranch_execnz .LBB6491_43
.LBB6491_33:
	s_or_b64 exec, exec, s[0:1]
	s_and_saveexec_b64 s[0:1], s[16:17]
	s_cbranch_execnz .LBB6491_44
.LBB6491_34:
	s_endpgm
.LBB6491_35:
	ds_read_b32 v11, v14
	s_waitcnt lgkmcnt(0)
	global_store_dword v[0:1], v11, off
	s_or_b64 exec, exec, s[4:5]
	s_and_saveexec_b64 s[4:5], s[0:1]
	s_cbranch_execz .LBB6491_26
.LBB6491_36:
	s_waitcnt lgkmcnt(4)
	global_store_dword v[0:1], v8, off offset:512
	s_or_b64 exec, exec, s[4:5]
	s_and_saveexec_b64 s[0:1], s[2:3]
	s_cbranch_execz .LBB6491_27
.LBB6491_37:
	s_waitcnt lgkmcnt(4)
	global_store_dword v[0:1], v9, off offset:1024
	s_or_b64 exec, exec, s[0:1]
	s_and_saveexec_b64 s[0:1], s[18:19]
	s_cbranch_execz .LBB6491_28
.LBB6491_38:
	s_waitcnt lgkmcnt(3)
	global_store_dword v[0:1], v6, off offset:1536
	s_or_b64 exec, exec, s[0:1]
	s_and_saveexec_b64 s[0:1], s[6:7]
	s_cbranch_execz .LBB6491_29
.LBB6491_39:
	s_waitcnt lgkmcnt(3)
	global_store_dword v[0:1], v7, off offset:2048
	s_or_b64 exec, exec, s[0:1]
	s_and_saveexec_b64 s[0:1], s[8:9]
	s_cbranch_execz .LBB6491_30
.LBB6491_40:
	s_waitcnt lgkmcnt(2)
	global_store_dword v[0:1], v4, off offset:2560
	s_or_b64 exec, exec, s[0:1]
	s_and_saveexec_b64 s[0:1], s[10:11]
	s_cbranch_execz .LBB6491_31
.LBB6491_41:
	s_waitcnt lgkmcnt(2)
	global_store_dword v[0:1], v5, off offset:3072
	s_or_b64 exec, exec, s[0:1]
	s_and_saveexec_b64 s[0:1], s[12:13]
	s_cbranch_execz .LBB6491_32
.LBB6491_42:
	s_waitcnt lgkmcnt(1)
	global_store_dword v[0:1], v2, off offset:3584
	s_or_b64 exec, exec, s[0:1]
	s_and_saveexec_b64 s[0:1], s[14:15]
	s_cbranch_execz .LBB6491_33
.LBB6491_43:
	s_waitcnt lgkmcnt(2)
	v_add_co_u32_e32 v4, vcc, 0x1000, v0
	v_addc_co_u32_e32 v5, vcc, 0, v1, vcc
	s_waitcnt lgkmcnt(1)
	global_store_dword v[4:5], v3, off
	s_or_b64 exec, exec, s[0:1]
	s_and_saveexec_b64 s[0:1], s[16:17]
	s_cbranch_execz .LBB6491_34
.LBB6491_44:
	v_add_co_u32_e32 v0, vcc, 0x1000, v0
	v_addc_co_u32_e32 v1, vcc, 0, v1, vcc
	s_waitcnt lgkmcnt(0)
	global_store_dword v[0:1], v10, off offset:512
	s_endpgm
	.section	.rodata,"a",@progbits
	.p2align	6, 0x0
	.amdhsa_kernel _ZN7rocprim17ROCPRIM_400000_NS6detail17trampoline_kernelINS0_14default_configENS1_20scan_config_selectorI11FixedVectorIiLj1EEEEZZNS1_9scan_implILNS1_25lookback_scan_determinismE0ELb1ELb1ES3_N6thrust23THRUST_200600_302600_NS6detail15normal_iteratorINSB_10device_ptrIS6_EEEESG_S6_NSB_4plusIvEES6_EEDaPvRmT3_T4_T5_mT6_P12ihipStream_tbENKUlT_T0_E_clISt17integral_constantIbLb1EESW_EEDaSR_SS_EUlSR_E0_NS1_11comp_targetILNS1_3genE4ELNS1_11target_archE910ELNS1_3gpuE8ELNS1_3repE0EEENS1_30default_config_static_selectorELNS0_4arch9wavefront6targetE1EEEvT1_
		.amdhsa_group_segment_fixed_size 5120
		.amdhsa_private_segment_fixed_size 0
		.amdhsa_kernarg_size 32
		.amdhsa_user_sgpr_count 6
		.amdhsa_user_sgpr_private_segment_buffer 1
		.amdhsa_user_sgpr_dispatch_ptr 0
		.amdhsa_user_sgpr_queue_ptr 0
		.amdhsa_user_sgpr_kernarg_segment_ptr 1
		.amdhsa_user_sgpr_dispatch_id 0
		.amdhsa_user_sgpr_flat_scratch_init 0
		.amdhsa_user_sgpr_kernarg_preload_length 0
		.amdhsa_user_sgpr_kernarg_preload_offset 0
		.amdhsa_user_sgpr_private_segment_size 0
		.amdhsa_uses_dynamic_stack 0
		.amdhsa_system_sgpr_private_segment_wavefront_offset 0
		.amdhsa_system_sgpr_workgroup_id_x 1
		.amdhsa_system_sgpr_workgroup_id_y 0
		.amdhsa_system_sgpr_workgroup_id_z 0
		.amdhsa_system_sgpr_workgroup_info 0
		.amdhsa_system_vgpr_workitem_id 0
		.amdhsa_next_free_vgpr 18
		.amdhsa_next_free_sgpr 25
		.amdhsa_accum_offset 20
		.amdhsa_reserve_vcc 1
		.amdhsa_reserve_flat_scratch 0
		.amdhsa_float_round_mode_32 0
		.amdhsa_float_round_mode_16_64 0
		.amdhsa_float_denorm_mode_32 3
		.amdhsa_float_denorm_mode_16_64 3
		.amdhsa_dx10_clamp 1
		.amdhsa_ieee_mode 1
		.amdhsa_fp16_overflow 0
		.amdhsa_tg_split 0
		.amdhsa_exception_fp_ieee_invalid_op 0
		.amdhsa_exception_fp_denorm_src 0
		.amdhsa_exception_fp_ieee_div_zero 0
		.amdhsa_exception_fp_ieee_overflow 0
		.amdhsa_exception_fp_ieee_underflow 0
		.amdhsa_exception_fp_ieee_inexact 0
		.amdhsa_exception_int_div_zero 0
	.end_amdhsa_kernel
	.section	.text._ZN7rocprim17ROCPRIM_400000_NS6detail17trampoline_kernelINS0_14default_configENS1_20scan_config_selectorI11FixedVectorIiLj1EEEEZZNS1_9scan_implILNS1_25lookback_scan_determinismE0ELb1ELb1ES3_N6thrust23THRUST_200600_302600_NS6detail15normal_iteratorINSB_10device_ptrIS6_EEEESG_S6_NSB_4plusIvEES6_EEDaPvRmT3_T4_T5_mT6_P12ihipStream_tbENKUlT_T0_E_clISt17integral_constantIbLb1EESW_EEDaSR_SS_EUlSR_E0_NS1_11comp_targetILNS1_3genE4ELNS1_11target_archE910ELNS1_3gpuE8ELNS1_3repE0EEENS1_30default_config_static_selectorELNS0_4arch9wavefront6targetE1EEEvT1_,"axG",@progbits,_ZN7rocprim17ROCPRIM_400000_NS6detail17trampoline_kernelINS0_14default_configENS1_20scan_config_selectorI11FixedVectorIiLj1EEEEZZNS1_9scan_implILNS1_25lookback_scan_determinismE0ELb1ELb1ES3_N6thrust23THRUST_200600_302600_NS6detail15normal_iteratorINSB_10device_ptrIS6_EEEESG_S6_NSB_4plusIvEES6_EEDaPvRmT3_T4_T5_mT6_P12ihipStream_tbENKUlT_T0_E_clISt17integral_constantIbLb1EESW_EEDaSR_SS_EUlSR_E0_NS1_11comp_targetILNS1_3genE4ELNS1_11target_archE910ELNS1_3gpuE8ELNS1_3repE0EEENS1_30default_config_static_selectorELNS0_4arch9wavefront6targetE1EEEvT1_,comdat
.Lfunc_end6491:
	.size	_ZN7rocprim17ROCPRIM_400000_NS6detail17trampoline_kernelINS0_14default_configENS1_20scan_config_selectorI11FixedVectorIiLj1EEEEZZNS1_9scan_implILNS1_25lookback_scan_determinismE0ELb1ELb1ES3_N6thrust23THRUST_200600_302600_NS6detail15normal_iteratorINSB_10device_ptrIS6_EEEESG_S6_NSB_4plusIvEES6_EEDaPvRmT3_T4_T5_mT6_P12ihipStream_tbENKUlT_T0_E_clISt17integral_constantIbLb1EESW_EEDaSR_SS_EUlSR_E0_NS1_11comp_targetILNS1_3genE4ELNS1_11target_archE910ELNS1_3gpuE8ELNS1_3repE0EEENS1_30default_config_static_selectorELNS0_4arch9wavefront6targetE1EEEvT1_, .Lfunc_end6491-_ZN7rocprim17ROCPRIM_400000_NS6detail17trampoline_kernelINS0_14default_configENS1_20scan_config_selectorI11FixedVectorIiLj1EEEEZZNS1_9scan_implILNS1_25lookback_scan_determinismE0ELb1ELb1ES3_N6thrust23THRUST_200600_302600_NS6detail15normal_iteratorINSB_10device_ptrIS6_EEEESG_S6_NSB_4plusIvEES6_EEDaPvRmT3_T4_T5_mT6_P12ihipStream_tbENKUlT_T0_E_clISt17integral_constantIbLb1EESW_EEDaSR_SS_EUlSR_E0_NS1_11comp_targetILNS1_3genE4ELNS1_11target_archE910ELNS1_3gpuE8ELNS1_3repE0EEENS1_30default_config_static_selectorELNS0_4arch9wavefront6targetE1EEEvT1_
                                        ; -- End function
	.section	.AMDGPU.csdata,"",@progbits
; Kernel info:
; codeLenInByte = 1536
; NumSgprs: 29
; NumVgprs: 18
; NumAgprs: 0
; TotalNumVgprs: 18
; ScratchSize: 0
; MemoryBound: 0
; FloatMode: 240
; IeeeMode: 1
; LDSByteSize: 5120 bytes/workgroup (compile time only)
; SGPRBlocks: 3
; VGPRBlocks: 2
; NumSGPRsForWavesPerEU: 29
; NumVGPRsForWavesPerEU: 18
; AccumOffset: 20
; Occupancy: 6
; WaveLimiterHint : 0
; COMPUTE_PGM_RSRC2:SCRATCH_EN: 0
; COMPUTE_PGM_RSRC2:USER_SGPR: 6
; COMPUTE_PGM_RSRC2:TRAP_HANDLER: 0
; COMPUTE_PGM_RSRC2:TGID_X_EN: 1
; COMPUTE_PGM_RSRC2:TGID_Y_EN: 0
; COMPUTE_PGM_RSRC2:TGID_Z_EN: 0
; COMPUTE_PGM_RSRC2:TIDIG_COMP_CNT: 0
; COMPUTE_PGM_RSRC3_GFX90A:ACCUM_OFFSET: 4
; COMPUTE_PGM_RSRC3_GFX90A:TG_SPLIT: 0
	.section	.text._ZN7rocprim17ROCPRIM_400000_NS6detail17trampoline_kernelINS0_14default_configENS1_20scan_config_selectorI11FixedVectorIiLj1EEEEZZNS1_9scan_implILNS1_25lookback_scan_determinismE0ELb1ELb1ES3_N6thrust23THRUST_200600_302600_NS6detail15normal_iteratorINSB_10device_ptrIS6_EEEESG_S6_NSB_4plusIvEES6_EEDaPvRmT3_T4_T5_mT6_P12ihipStream_tbENKUlT_T0_E_clISt17integral_constantIbLb1EESW_EEDaSR_SS_EUlSR_E0_NS1_11comp_targetILNS1_3genE3ELNS1_11target_archE908ELNS1_3gpuE7ELNS1_3repE0EEENS1_30default_config_static_selectorELNS0_4arch9wavefront6targetE1EEEvT1_,"axG",@progbits,_ZN7rocprim17ROCPRIM_400000_NS6detail17trampoline_kernelINS0_14default_configENS1_20scan_config_selectorI11FixedVectorIiLj1EEEEZZNS1_9scan_implILNS1_25lookback_scan_determinismE0ELb1ELb1ES3_N6thrust23THRUST_200600_302600_NS6detail15normal_iteratorINSB_10device_ptrIS6_EEEESG_S6_NSB_4plusIvEES6_EEDaPvRmT3_T4_T5_mT6_P12ihipStream_tbENKUlT_T0_E_clISt17integral_constantIbLb1EESW_EEDaSR_SS_EUlSR_E0_NS1_11comp_targetILNS1_3genE3ELNS1_11target_archE908ELNS1_3gpuE7ELNS1_3repE0EEENS1_30default_config_static_selectorELNS0_4arch9wavefront6targetE1EEEvT1_,comdat
	.protected	_ZN7rocprim17ROCPRIM_400000_NS6detail17trampoline_kernelINS0_14default_configENS1_20scan_config_selectorI11FixedVectorIiLj1EEEEZZNS1_9scan_implILNS1_25lookback_scan_determinismE0ELb1ELb1ES3_N6thrust23THRUST_200600_302600_NS6detail15normal_iteratorINSB_10device_ptrIS6_EEEESG_S6_NSB_4plusIvEES6_EEDaPvRmT3_T4_T5_mT6_P12ihipStream_tbENKUlT_T0_E_clISt17integral_constantIbLb1EESW_EEDaSR_SS_EUlSR_E0_NS1_11comp_targetILNS1_3genE3ELNS1_11target_archE908ELNS1_3gpuE7ELNS1_3repE0EEENS1_30default_config_static_selectorELNS0_4arch9wavefront6targetE1EEEvT1_ ; -- Begin function _ZN7rocprim17ROCPRIM_400000_NS6detail17trampoline_kernelINS0_14default_configENS1_20scan_config_selectorI11FixedVectorIiLj1EEEEZZNS1_9scan_implILNS1_25lookback_scan_determinismE0ELb1ELb1ES3_N6thrust23THRUST_200600_302600_NS6detail15normal_iteratorINSB_10device_ptrIS6_EEEESG_S6_NSB_4plusIvEES6_EEDaPvRmT3_T4_T5_mT6_P12ihipStream_tbENKUlT_T0_E_clISt17integral_constantIbLb1EESW_EEDaSR_SS_EUlSR_E0_NS1_11comp_targetILNS1_3genE3ELNS1_11target_archE908ELNS1_3gpuE7ELNS1_3repE0EEENS1_30default_config_static_selectorELNS0_4arch9wavefront6targetE1EEEvT1_
	.globl	_ZN7rocprim17ROCPRIM_400000_NS6detail17trampoline_kernelINS0_14default_configENS1_20scan_config_selectorI11FixedVectorIiLj1EEEEZZNS1_9scan_implILNS1_25lookback_scan_determinismE0ELb1ELb1ES3_N6thrust23THRUST_200600_302600_NS6detail15normal_iteratorINSB_10device_ptrIS6_EEEESG_S6_NSB_4plusIvEES6_EEDaPvRmT3_T4_T5_mT6_P12ihipStream_tbENKUlT_T0_E_clISt17integral_constantIbLb1EESW_EEDaSR_SS_EUlSR_E0_NS1_11comp_targetILNS1_3genE3ELNS1_11target_archE908ELNS1_3gpuE7ELNS1_3repE0EEENS1_30default_config_static_selectorELNS0_4arch9wavefront6targetE1EEEvT1_
	.p2align	8
	.type	_ZN7rocprim17ROCPRIM_400000_NS6detail17trampoline_kernelINS0_14default_configENS1_20scan_config_selectorI11FixedVectorIiLj1EEEEZZNS1_9scan_implILNS1_25lookback_scan_determinismE0ELb1ELb1ES3_N6thrust23THRUST_200600_302600_NS6detail15normal_iteratorINSB_10device_ptrIS6_EEEESG_S6_NSB_4plusIvEES6_EEDaPvRmT3_T4_T5_mT6_P12ihipStream_tbENKUlT_T0_E_clISt17integral_constantIbLb1EESW_EEDaSR_SS_EUlSR_E0_NS1_11comp_targetILNS1_3genE3ELNS1_11target_archE908ELNS1_3gpuE7ELNS1_3repE0EEENS1_30default_config_static_selectorELNS0_4arch9wavefront6targetE1EEEvT1_,@function
_ZN7rocprim17ROCPRIM_400000_NS6detail17trampoline_kernelINS0_14default_configENS1_20scan_config_selectorI11FixedVectorIiLj1EEEEZZNS1_9scan_implILNS1_25lookback_scan_determinismE0ELb1ELb1ES3_N6thrust23THRUST_200600_302600_NS6detail15normal_iteratorINSB_10device_ptrIS6_EEEESG_S6_NSB_4plusIvEES6_EEDaPvRmT3_T4_T5_mT6_P12ihipStream_tbENKUlT_T0_E_clISt17integral_constantIbLb1EESW_EEDaSR_SS_EUlSR_E0_NS1_11comp_targetILNS1_3genE3ELNS1_11target_archE908ELNS1_3gpuE7ELNS1_3repE0EEENS1_30default_config_static_selectorELNS0_4arch9wavefront6targetE1EEEvT1_: ; @_ZN7rocprim17ROCPRIM_400000_NS6detail17trampoline_kernelINS0_14default_configENS1_20scan_config_selectorI11FixedVectorIiLj1EEEEZZNS1_9scan_implILNS1_25lookback_scan_determinismE0ELb1ELb1ES3_N6thrust23THRUST_200600_302600_NS6detail15normal_iteratorINSB_10device_ptrIS6_EEEESG_S6_NSB_4plusIvEES6_EEDaPvRmT3_T4_T5_mT6_P12ihipStream_tbENKUlT_T0_E_clISt17integral_constantIbLb1EESW_EEDaSR_SS_EUlSR_E0_NS1_11comp_targetILNS1_3genE3ELNS1_11target_archE908ELNS1_3gpuE7ELNS1_3repE0EEENS1_30default_config_static_selectorELNS0_4arch9wavefront6targetE1EEEvT1_
; %bb.0:
	.section	.rodata,"a",@progbits
	.p2align	6, 0x0
	.amdhsa_kernel _ZN7rocprim17ROCPRIM_400000_NS6detail17trampoline_kernelINS0_14default_configENS1_20scan_config_selectorI11FixedVectorIiLj1EEEEZZNS1_9scan_implILNS1_25lookback_scan_determinismE0ELb1ELb1ES3_N6thrust23THRUST_200600_302600_NS6detail15normal_iteratorINSB_10device_ptrIS6_EEEESG_S6_NSB_4plusIvEES6_EEDaPvRmT3_T4_T5_mT6_P12ihipStream_tbENKUlT_T0_E_clISt17integral_constantIbLb1EESW_EEDaSR_SS_EUlSR_E0_NS1_11comp_targetILNS1_3genE3ELNS1_11target_archE908ELNS1_3gpuE7ELNS1_3repE0EEENS1_30default_config_static_selectorELNS0_4arch9wavefront6targetE1EEEvT1_
		.amdhsa_group_segment_fixed_size 0
		.amdhsa_private_segment_fixed_size 0
		.amdhsa_kernarg_size 32
		.amdhsa_user_sgpr_count 6
		.amdhsa_user_sgpr_private_segment_buffer 1
		.amdhsa_user_sgpr_dispatch_ptr 0
		.amdhsa_user_sgpr_queue_ptr 0
		.amdhsa_user_sgpr_kernarg_segment_ptr 1
		.amdhsa_user_sgpr_dispatch_id 0
		.amdhsa_user_sgpr_flat_scratch_init 0
		.amdhsa_user_sgpr_kernarg_preload_length 0
		.amdhsa_user_sgpr_kernarg_preload_offset 0
		.amdhsa_user_sgpr_private_segment_size 0
		.amdhsa_uses_dynamic_stack 0
		.amdhsa_system_sgpr_private_segment_wavefront_offset 0
		.amdhsa_system_sgpr_workgroup_id_x 1
		.amdhsa_system_sgpr_workgroup_id_y 0
		.amdhsa_system_sgpr_workgroup_id_z 0
		.amdhsa_system_sgpr_workgroup_info 0
		.amdhsa_system_vgpr_workitem_id 0
		.amdhsa_next_free_vgpr 1
		.amdhsa_next_free_sgpr 0
		.amdhsa_accum_offset 4
		.amdhsa_reserve_vcc 0
		.amdhsa_reserve_flat_scratch 0
		.amdhsa_float_round_mode_32 0
		.amdhsa_float_round_mode_16_64 0
		.amdhsa_float_denorm_mode_32 3
		.amdhsa_float_denorm_mode_16_64 3
		.amdhsa_dx10_clamp 1
		.amdhsa_ieee_mode 1
		.amdhsa_fp16_overflow 0
		.amdhsa_tg_split 0
		.amdhsa_exception_fp_ieee_invalid_op 0
		.amdhsa_exception_fp_denorm_src 0
		.amdhsa_exception_fp_ieee_div_zero 0
		.amdhsa_exception_fp_ieee_overflow 0
		.amdhsa_exception_fp_ieee_underflow 0
		.amdhsa_exception_fp_ieee_inexact 0
		.amdhsa_exception_int_div_zero 0
	.end_amdhsa_kernel
	.section	.text._ZN7rocprim17ROCPRIM_400000_NS6detail17trampoline_kernelINS0_14default_configENS1_20scan_config_selectorI11FixedVectorIiLj1EEEEZZNS1_9scan_implILNS1_25lookback_scan_determinismE0ELb1ELb1ES3_N6thrust23THRUST_200600_302600_NS6detail15normal_iteratorINSB_10device_ptrIS6_EEEESG_S6_NSB_4plusIvEES6_EEDaPvRmT3_T4_T5_mT6_P12ihipStream_tbENKUlT_T0_E_clISt17integral_constantIbLb1EESW_EEDaSR_SS_EUlSR_E0_NS1_11comp_targetILNS1_3genE3ELNS1_11target_archE908ELNS1_3gpuE7ELNS1_3repE0EEENS1_30default_config_static_selectorELNS0_4arch9wavefront6targetE1EEEvT1_,"axG",@progbits,_ZN7rocprim17ROCPRIM_400000_NS6detail17trampoline_kernelINS0_14default_configENS1_20scan_config_selectorI11FixedVectorIiLj1EEEEZZNS1_9scan_implILNS1_25lookback_scan_determinismE0ELb1ELb1ES3_N6thrust23THRUST_200600_302600_NS6detail15normal_iteratorINSB_10device_ptrIS6_EEEESG_S6_NSB_4plusIvEES6_EEDaPvRmT3_T4_T5_mT6_P12ihipStream_tbENKUlT_T0_E_clISt17integral_constantIbLb1EESW_EEDaSR_SS_EUlSR_E0_NS1_11comp_targetILNS1_3genE3ELNS1_11target_archE908ELNS1_3gpuE7ELNS1_3repE0EEENS1_30default_config_static_selectorELNS0_4arch9wavefront6targetE1EEEvT1_,comdat
.Lfunc_end6492:
	.size	_ZN7rocprim17ROCPRIM_400000_NS6detail17trampoline_kernelINS0_14default_configENS1_20scan_config_selectorI11FixedVectorIiLj1EEEEZZNS1_9scan_implILNS1_25lookback_scan_determinismE0ELb1ELb1ES3_N6thrust23THRUST_200600_302600_NS6detail15normal_iteratorINSB_10device_ptrIS6_EEEESG_S6_NSB_4plusIvEES6_EEDaPvRmT3_T4_T5_mT6_P12ihipStream_tbENKUlT_T0_E_clISt17integral_constantIbLb1EESW_EEDaSR_SS_EUlSR_E0_NS1_11comp_targetILNS1_3genE3ELNS1_11target_archE908ELNS1_3gpuE7ELNS1_3repE0EEENS1_30default_config_static_selectorELNS0_4arch9wavefront6targetE1EEEvT1_, .Lfunc_end6492-_ZN7rocprim17ROCPRIM_400000_NS6detail17trampoline_kernelINS0_14default_configENS1_20scan_config_selectorI11FixedVectorIiLj1EEEEZZNS1_9scan_implILNS1_25lookback_scan_determinismE0ELb1ELb1ES3_N6thrust23THRUST_200600_302600_NS6detail15normal_iteratorINSB_10device_ptrIS6_EEEESG_S6_NSB_4plusIvEES6_EEDaPvRmT3_T4_T5_mT6_P12ihipStream_tbENKUlT_T0_E_clISt17integral_constantIbLb1EESW_EEDaSR_SS_EUlSR_E0_NS1_11comp_targetILNS1_3genE3ELNS1_11target_archE908ELNS1_3gpuE7ELNS1_3repE0EEENS1_30default_config_static_selectorELNS0_4arch9wavefront6targetE1EEEvT1_
                                        ; -- End function
	.section	.AMDGPU.csdata,"",@progbits
; Kernel info:
; codeLenInByte = 0
; NumSgprs: 4
; NumVgprs: 0
; NumAgprs: 0
; TotalNumVgprs: 0
; ScratchSize: 0
; MemoryBound: 0
; FloatMode: 240
; IeeeMode: 1
; LDSByteSize: 0 bytes/workgroup (compile time only)
; SGPRBlocks: 0
; VGPRBlocks: 0
; NumSGPRsForWavesPerEU: 4
; NumVGPRsForWavesPerEU: 1
; AccumOffset: 4
; Occupancy: 8
; WaveLimiterHint : 0
; COMPUTE_PGM_RSRC2:SCRATCH_EN: 0
; COMPUTE_PGM_RSRC2:USER_SGPR: 6
; COMPUTE_PGM_RSRC2:TRAP_HANDLER: 0
; COMPUTE_PGM_RSRC2:TGID_X_EN: 1
; COMPUTE_PGM_RSRC2:TGID_Y_EN: 0
; COMPUTE_PGM_RSRC2:TGID_Z_EN: 0
; COMPUTE_PGM_RSRC2:TIDIG_COMP_CNT: 0
; COMPUTE_PGM_RSRC3_GFX90A:ACCUM_OFFSET: 0
; COMPUTE_PGM_RSRC3_GFX90A:TG_SPLIT: 0
	.section	.text._ZN7rocprim17ROCPRIM_400000_NS6detail17trampoline_kernelINS0_14default_configENS1_20scan_config_selectorI11FixedVectorIiLj1EEEEZZNS1_9scan_implILNS1_25lookback_scan_determinismE0ELb1ELb1ES3_N6thrust23THRUST_200600_302600_NS6detail15normal_iteratorINSB_10device_ptrIS6_EEEESG_S6_NSB_4plusIvEES6_EEDaPvRmT3_T4_T5_mT6_P12ihipStream_tbENKUlT_T0_E_clISt17integral_constantIbLb1EESW_EEDaSR_SS_EUlSR_E0_NS1_11comp_targetILNS1_3genE2ELNS1_11target_archE906ELNS1_3gpuE6ELNS1_3repE0EEENS1_30default_config_static_selectorELNS0_4arch9wavefront6targetE1EEEvT1_,"axG",@progbits,_ZN7rocprim17ROCPRIM_400000_NS6detail17trampoline_kernelINS0_14default_configENS1_20scan_config_selectorI11FixedVectorIiLj1EEEEZZNS1_9scan_implILNS1_25lookback_scan_determinismE0ELb1ELb1ES3_N6thrust23THRUST_200600_302600_NS6detail15normal_iteratorINSB_10device_ptrIS6_EEEESG_S6_NSB_4plusIvEES6_EEDaPvRmT3_T4_T5_mT6_P12ihipStream_tbENKUlT_T0_E_clISt17integral_constantIbLb1EESW_EEDaSR_SS_EUlSR_E0_NS1_11comp_targetILNS1_3genE2ELNS1_11target_archE906ELNS1_3gpuE6ELNS1_3repE0EEENS1_30default_config_static_selectorELNS0_4arch9wavefront6targetE1EEEvT1_,comdat
	.protected	_ZN7rocprim17ROCPRIM_400000_NS6detail17trampoline_kernelINS0_14default_configENS1_20scan_config_selectorI11FixedVectorIiLj1EEEEZZNS1_9scan_implILNS1_25lookback_scan_determinismE0ELb1ELb1ES3_N6thrust23THRUST_200600_302600_NS6detail15normal_iteratorINSB_10device_ptrIS6_EEEESG_S6_NSB_4plusIvEES6_EEDaPvRmT3_T4_T5_mT6_P12ihipStream_tbENKUlT_T0_E_clISt17integral_constantIbLb1EESW_EEDaSR_SS_EUlSR_E0_NS1_11comp_targetILNS1_3genE2ELNS1_11target_archE906ELNS1_3gpuE6ELNS1_3repE0EEENS1_30default_config_static_selectorELNS0_4arch9wavefront6targetE1EEEvT1_ ; -- Begin function _ZN7rocprim17ROCPRIM_400000_NS6detail17trampoline_kernelINS0_14default_configENS1_20scan_config_selectorI11FixedVectorIiLj1EEEEZZNS1_9scan_implILNS1_25lookback_scan_determinismE0ELb1ELb1ES3_N6thrust23THRUST_200600_302600_NS6detail15normal_iteratorINSB_10device_ptrIS6_EEEESG_S6_NSB_4plusIvEES6_EEDaPvRmT3_T4_T5_mT6_P12ihipStream_tbENKUlT_T0_E_clISt17integral_constantIbLb1EESW_EEDaSR_SS_EUlSR_E0_NS1_11comp_targetILNS1_3genE2ELNS1_11target_archE906ELNS1_3gpuE6ELNS1_3repE0EEENS1_30default_config_static_selectorELNS0_4arch9wavefront6targetE1EEEvT1_
	.globl	_ZN7rocprim17ROCPRIM_400000_NS6detail17trampoline_kernelINS0_14default_configENS1_20scan_config_selectorI11FixedVectorIiLj1EEEEZZNS1_9scan_implILNS1_25lookback_scan_determinismE0ELb1ELb1ES3_N6thrust23THRUST_200600_302600_NS6detail15normal_iteratorINSB_10device_ptrIS6_EEEESG_S6_NSB_4plusIvEES6_EEDaPvRmT3_T4_T5_mT6_P12ihipStream_tbENKUlT_T0_E_clISt17integral_constantIbLb1EESW_EEDaSR_SS_EUlSR_E0_NS1_11comp_targetILNS1_3genE2ELNS1_11target_archE906ELNS1_3gpuE6ELNS1_3repE0EEENS1_30default_config_static_selectorELNS0_4arch9wavefront6targetE1EEEvT1_
	.p2align	8
	.type	_ZN7rocprim17ROCPRIM_400000_NS6detail17trampoline_kernelINS0_14default_configENS1_20scan_config_selectorI11FixedVectorIiLj1EEEEZZNS1_9scan_implILNS1_25lookback_scan_determinismE0ELb1ELb1ES3_N6thrust23THRUST_200600_302600_NS6detail15normal_iteratorINSB_10device_ptrIS6_EEEESG_S6_NSB_4plusIvEES6_EEDaPvRmT3_T4_T5_mT6_P12ihipStream_tbENKUlT_T0_E_clISt17integral_constantIbLb1EESW_EEDaSR_SS_EUlSR_E0_NS1_11comp_targetILNS1_3genE2ELNS1_11target_archE906ELNS1_3gpuE6ELNS1_3repE0EEENS1_30default_config_static_selectorELNS0_4arch9wavefront6targetE1EEEvT1_,@function
_ZN7rocprim17ROCPRIM_400000_NS6detail17trampoline_kernelINS0_14default_configENS1_20scan_config_selectorI11FixedVectorIiLj1EEEEZZNS1_9scan_implILNS1_25lookback_scan_determinismE0ELb1ELb1ES3_N6thrust23THRUST_200600_302600_NS6detail15normal_iteratorINSB_10device_ptrIS6_EEEESG_S6_NSB_4plusIvEES6_EEDaPvRmT3_T4_T5_mT6_P12ihipStream_tbENKUlT_T0_E_clISt17integral_constantIbLb1EESW_EEDaSR_SS_EUlSR_E0_NS1_11comp_targetILNS1_3genE2ELNS1_11target_archE906ELNS1_3gpuE6ELNS1_3repE0EEENS1_30default_config_static_selectorELNS0_4arch9wavefront6targetE1EEEvT1_: ; @_ZN7rocprim17ROCPRIM_400000_NS6detail17trampoline_kernelINS0_14default_configENS1_20scan_config_selectorI11FixedVectorIiLj1EEEEZZNS1_9scan_implILNS1_25lookback_scan_determinismE0ELb1ELb1ES3_N6thrust23THRUST_200600_302600_NS6detail15normal_iteratorINSB_10device_ptrIS6_EEEESG_S6_NSB_4plusIvEES6_EEDaPvRmT3_T4_T5_mT6_P12ihipStream_tbENKUlT_T0_E_clISt17integral_constantIbLb1EESW_EEDaSR_SS_EUlSR_E0_NS1_11comp_targetILNS1_3genE2ELNS1_11target_archE906ELNS1_3gpuE6ELNS1_3repE0EEENS1_30default_config_static_selectorELNS0_4arch9wavefront6targetE1EEEvT1_
; %bb.0:
	.section	.rodata,"a",@progbits
	.p2align	6, 0x0
	.amdhsa_kernel _ZN7rocprim17ROCPRIM_400000_NS6detail17trampoline_kernelINS0_14default_configENS1_20scan_config_selectorI11FixedVectorIiLj1EEEEZZNS1_9scan_implILNS1_25lookback_scan_determinismE0ELb1ELb1ES3_N6thrust23THRUST_200600_302600_NS6detail15normal_iteratorINSB_10device_ptrIS6_EEEESG_S6_NSB_4plusIvEES6_EEDaPvRmT3_T4_T5_mT6_P12ihipStream_tbENKUlT_T0_E_clISt17integral_constantIbLb1EESW_EEDaSR_SS_EUlSR_E0_NS1_11comp_targetILNS1_3genE2ELNS1_11target_archE906ELNS1_3gpuE6ELNS1_3repE0EEENS1_30default_config_static_selectorELNS0_4arch9wavefront6targetE1EEEvT1_
		.amdhsa_group_segment_fixed_size 0
		.amdhsa_private_segment_fixed_size 0
		.amdhsa_kernarg_size 32
		.amdhsa_user_sgpr_count 6
		.amdhsa_user_sgpr_private_segment_buffer 1
		.amdhsa_user_sgpr_dispatch_ptr 0
		.amdhsa_user_sgpr_queue_ptr 0
		.amdhsa_user_sgpr_kernarg_segment_ptr 1
		.amdhsa_user_sgpr_dispatch_id 0
		.amdhsa_user_sgpr_flat_scratch_init 0
		.amdhsa_user_sgpr_kernarg_preload_length 0
		.amdhsa_user_sgpr_kernarg_preload_offset 0
		.amdhsa_user_sgpr_private_segment_size 0
		.amdhsa_uses_dynamic_stack 0
		.amdhsa_system_sgpr_private_segment_wavefront_offset 0
		.amdhsa_system_sgpr_workgroup_id_x 1
		.amdhsa_system_sgpr_workgroup_id_y 0
		.amdhsa_system_sgpr_workgroup_id_z 0
		.amdhsa_system_sgpr_workgroup_info 0
		.amdhsa_system_vgpr_workitem_id 0
		.amdhsa_next_free_vgpr 1
		.amdhsa_next_free_sgpr 0
		.amdhsa_accum_offset 4
		.amdhsa_reserve_vcc 0
		.amdhsa_reserve_flat_scratch 0
		.amdhsa_float_round_mode_32 0
		.amdhsa_float_round_mode_16_64 0
		.amdhsa_float_denorm_mode_32 3
		.amdhsa_float_denorm_mode_16_64 3
		.amdhsa_dx10_clamp 1
		.amdhsa_ieee_mode 1
		.amdhsa_fp16_overflow 0
		.amdhsa_tg_split 0
		.amdhsa_exception_fp_ieee_invalid_op 0
		.amdhsa_exception_fp_denorm_src 0
		.amdhsa_exception_fp_ieee_div_zero 0
		.amdhsa_exception_fp_ieee_overflow 0
		.amdhsa_exception_fp_ieee_underflow 0
		.amdhsa_exception_fp_ieee_inexact 0
		.amdhsa_exception_int_div_zero 0
	.end_amdhsa_kernel
	.section	.text._ZN7rocprim17ROCPRIM_400000_NS6detail17trampoline_kernelINS0_14default_configENS1_20scan_config_selectorI11FixedVectorIiLj1EEEEZZNS1_9scan_implILNS1_25lookback_scan_determinismE0ELb1ELb1ES3_N6thrust23THRUST_200600_302600_NS6detail15normal_iteratorINSB_10device_ptrIS6_EEEESG_S6_NSB_4plusIvEES6_EEDaPvRmT3_T4_T5_mT6_P12ihipStream_tbENKUlT_T0_E_clISt17integral_constantIbLb1EESW_EEDaSR_SS_EUlSR_E0_NS1_11comp_targetILNS1_3genE2ELNS1_11target_archE906ELNS1_3gpuE6ELNS1_3repE0EEENS1_30default_config_static_selectorELNS0_4arch9wavefront6targetE1EEEvT1_,"axG",@progbits,_ZN7rocprim17ROCPRIM_400000_NS6detail17trampoline_kernelINS0_14default_configENS1_20scan_config_selectorI11FixedVectorIiLj1EEEEZZNS1_9scan_implILNS1_25lookback_scan_determinismE0ELb1ELb1ES3_N6thrust23THRUST_200600_302600_NS6detail15normal_iteratorINSB_10device_ptrIS6_EEEESG_S6_NSB_4plusIvEES6_EEDaPvRmT3_T4_T5_mT6_P12ihipStream_tbENKUlT_T0_E_clISt17integral_constantIbLb1EESW_EEDaSR_SS_EUlSR_E0_NS1_11comp_targetILNS1_3genE2ELNS1_11target_archE906ELNS1_3gpuE6ELNS1_3repE0EEENS1_30default_config_static_selectorELNS0_4arch9wavefront6targetE1EEEvT1_,comdat
.Lfunc_end6493:
	.size	_ZN7rocprim17ROCPRIM_400000_NS6detail17trampoline_kernelINS0_14default_configENS1_20scan_config_selectorI11FixedVectorIiLj1EEEEZZNS1_9scan_implILNS1_25lookback_scan_determinismE0ELb1ELb1ES3_N6thrust23THRUST_200600_302600_NS6detail15normal_iteratorINSB_10device_ptrIS6_EEEESG_S6_NSB_4plusIvEES6_EEDaPvRmT3_T4_T5_mT6_P12ihipStream_tbENKUlT_T0_E_clISt17integral_constantIbLb1EESW_EEDaSR_SS_EUlSR_E0_NS1_11comp_targetILNS1_3genE2ELNS1_11target_archE906ELNS1_3gpuE6ELNS1_3repE0EEENS1_30default_config_static_selectorELNS0_4arch9wavefront6targetE1EEEvT1_, .Lfunc_end6493-_ZN7rocprim17ROCPRIM_400000_NS6detail17trampoline_kernelINS0_14default_configENS1_20scan_config_selectorI11FixedVectorIiLj1EEEEZZNS1_9scan_implILNS1_25lookback_scan_determinismE0ELb1ELb1ES3_N6thrust23THRUST_200600_302600_NS6detail15normal_iteratorINSB_10device_ptrIS6_EEEESG_S6_NSB_4plusIvEES6_EEDaPvRmT3_T4_T5_mT6_P12ihipStream_tbENKUlT_T0_E_clISt17integral_constantIbLb1EESW_EEDaSR_SS_EUlSR_E0_NS1_11comp_targetILNS1_3genE2ELNS1_11target_archE906ELNS1_3gpuE6ELNS1_3repE0EEENS1_30default_config_static_selectorELNS0_4arch9wavefront6targetE1EEEvT1_
                                        ; -- End function
	.section	.AMDGPU.csdata,"",@progbits
; Kernel info:
; codeLenInByte = 0
; NumSgprs: 4
; NumVgprs: 0
; NumAgprs: 0
; TotalNumVgprs: 0
; ScratchSize: 0
; MemoryBound: 0
; FloatMode: 240
; IeeeMode: 1
; LDSByteSize: 0 bytes/workgroup (compile time only)
; SGPRBlocks: 0
; VGPRBlocks: 0
; NumSGPRsForWavesPerEU: 4
; NumVGPRsForWavesPerEU: 1
; AccumOffset: 4
; Occupancy: 8
; WaveLimiterHint : 0
; COMPUTE_PGM_RSRC2:SCRATCH_EN: 0
; COMPUTE_PGM_RSRC2:USER_SGPR: 6
; COMPUTE_PGM_RSRC2:TRAP_HANDLER: 0
; COMPUTE_PGM_RSRC2:TGID_X_EN: 1
; COMPUTE_PGM_RSRC2:TGID_Y_EN: 0
; COMPUTE_PGM_RSRC2:TGID_Z_EN: 0
; COMPUTE_PGM_RSRC2:TIDIG_COMP_CNT: 0
; COMPUTE_PGM_RSRC3_GFX90A:ACCUM_OFFSET: 0
; COMPUTE_PGM_RSRC3_GFX90A:TG_SPLIT: 0
	.section	.text._ZN7rocprim17ROCPRIM_400000_NS6detail17trampoline_kernelINS0_14default_configENS1_20scan_config_selectorI11FixedVectorIiLj1EEEEZZNS1_9scan_implILNS1_25lookback_scan_determinismE0ELb1ELb1ES3_N6thrust23THRUST_200600_302600_NS6detail15normal_iteratorINSB_10device_ptrIS6_EEEESG_S6_NSB_4plusIvEES6_EEDaPvRmT3_T4_T5_mT6_P12ihipStream_tbENKUlT_T0_E_clISt17integral_constantIbLb1EESW_EEDaSR_SS_EUlSR_E0_NS1_11comp_targetILNS1_3genE10ELNS1_11target_archE1201ELNS1_3gpuE5ELNS1_3repE0EEENS1_30default_config_static_selectorELNS0_4arch9wavefront6targetE1EEEvT1_,"axG",@progbits,_ZN7rocprim17ROCPRIM_400000_NS6detail17trampoline_kernelINS0_14default_configENS1_20scan_config_selectorI11FixedVectorIiLj1EEEEZZNS1_9scan_implILNS1_25lookback_scan_determinismE0ELb1ELb1ES3_N6thrust23THRUST_200600_302600_NS6detail15normal_iteratorINSB_10device_ptrIS6_EEEESG_S6_NSB_4plusIvEES6_EEDaPvRmT3_T4_T5_mT6_P12ihipStream_tbENKUlT_T0_E_clISt17integral_constantIbLb1EESW_EEDaSR_SS_EUlSR_E0_NS1_11comp_targetILNS1_3genE10ELNS1_11target_archE1201ELNS1_3gpuE5ELNS1_3repE0EEENS1_30default_config_static_selectorELNS0_4arch9wavefront6targetE1EEEvT1_,comdat
	.protected	_ZN7rocprim17ROCPRIM_400000_NS6detail17trampoline_kernelINS0_14default_configENS1_20scan_config_selectorI11FixedVectorIiLj1EEEEZZNS1_9scan_implILNS1_25lookback_scan_determinismE0ELb1ELb1ES3_N6thrust23THRUST_200600_302600_NS6detail15normal_iteratorINSB_10device_ptrIS6_EEEESG_S6_NSB_4plusIvEES6_EEDaPvRmT3_T4_T5_mT6_P12ihipStream_tbENKUlT_T0_E_clISt17integral_constantIbLb1EESW_EEDaSR_SS_EUlSR_E0_NS1_11comp_targetILNS1_3genE10ELNS1_11target_archE1201ELNS1_3gpuE5ELNS1_3repE0EEENS1_30default_config_static_selectorELNS0_4arch9wavefront6targetE1EEEvT1_ ; -- Begin function _ZN7rocprim17ROCPRIM_400000_NS6detail17trampoline_kernelINS0_14default_configENS1_20scan_config_selectorI11FixedVectorIiLj1EEEEZZNS1_9scan_implILNS1_25lookback_scan_determinismE0ELb1ELb1ES3_N6thrust23THRUST_200600_302600_NS6detail15normal_iteratorINSB_10device_ptrIS6_EEEESG_S6_NSB_4plusIvEES6_EEDaPvRmT3_T4_T5_mT6_P12ihipStream_tbENKUlT_T0_E_clISt17integral_constantIbLb1EESW_EEDaSR_SS_EUlSR_E0_NS1_11comp_targetILNS1_3genE10ELNS1_11target_archE1201ELNS1_3gpuE5ELNS1_3repE0EEENS1_30default_config_static_selectorELNS0_4arch9wavefront6targetE1EEEvT1_
	.globl	_ZN7rocprim17ROCPRIM_400000_NS6detail17trampoline_kernelINS0_14default_configENS1_20scan_config_selectorI11FixedVectorIiLj1EEEEZZNS1_9scan_implILNS1_25lookback_scan_determinismE0ELb1ELb1ES3_N6thrust23THRUST_200600_302600_NS6detail15normal_iteratorINSB_10device_ptrIS6_EEEESG_S6_NSB_4plusIvEES6_EEDaPvRmT3_T4_T5_mT6_P12ihipStream_tbENKUlT_T0_E_clISt17integral_constantIbLb1EESW_EEDaSR_SS_EUlSR_E0_NS1_11comp_targetILNS1_3genE10ELNS1_11target_archE1201ELNS1_3gpuE5ELNS1_3repE0EEENS1_30default_config_static_selectorELNS0_4arch9wavefront6targetE1EEEvT1_
	.p2align	8
	.type	_ZN7rocprim17ROCPRIM_400000_NS6detail17trampoline_kernelINS0_14default_configENS1_20scan_config_selectorI11FixedVectorIiLj1EEEEZZNS1_9scan_implILNS1_25lookback_scan_determinismE0ELb1ELb1ES3_N6thrust23THRUST_200600_302600_NS6detail15normal_iteratorINSB_10device_ptrIS6_EEEESG_S6_NSB_4plusIvEES6_EEDaPvRmT3_T4_T5_mT6_P12ihipStream_tbENKUlT_T0_E_clISt17integral_constantIbLb1EESW_EEDaSR_SS_EUlSR_E0_NS1_11comp_targetILNS1_3genE10ELNS1_11target_archE1201ELNS1_3gpuE5ELNS1_3repE0EEENS1_30default_config_static_selectorELNS0_4arch9wavefront6targetE1EEEvT1_,@function
_ZN7rocprim17ROCPRIM_400000_NS6detail17trampoline_kernelINS0_14default_configENS1_20scan_config_selectorI11FixedVectorIiLj1EEEEZZNS1_9scan_implILNS1_25lookback_scan_determinismE0ELb1ELb1ES3_N6thrust23THRUST_200600_302600_NS6detail15normal_iteratorINSB_10device_ptrIS6_EEEESG_S6_NSB_4plusIvEES6_EEDaPvRmT3_T4_T5_mT6_P12ihipStream_tbENKUlT_T0_E_clISt17integral_constantIbLb1EESW_EEDaSR_SS_EUlSR_E0_NS1_11comp_targetILNS1_3genE10ELNS1_11target_archE1201ELNS1_3gpuE5ELNS1_3repE0EEENS1_30default_config_static_selectorELNS0_4arch9wavefront6targetE1EEEvT1_: ; @_ZN7rocprim17ROCPRIM_400000_NS6detail17trampoline_kernelINS0_14default_configENS1_20scan_config_selectorI11FixedVectorIiLj1EEEEZZNS1_9scan_implILNS1_25lookback_scan_determinismE0ELb1ELb1ES3_N6thrust23THRUST_200600_302600_NS6detail15normal_iteratorINSB_10device_ptrIS6_EEEESG_S6_NSB_4plusIvEES6_EEDaPvRmT3_T4_T5_mT6_P12ihipStream_tbENKUlT_T0_E_clISt17integral_constantIbLb1EESW_EEDaSR_SS_EUlSR_E0_NS1_11comp_targetILNS1_3genE10ELNS1_11target_archE1201ELNS1_3gpuE5ELNS1_3repE0EEENS1_30default_config_static_selectorELNS0_4arch9wavefront6targetE1EEEvT1_
; %bb.0:
	.section	.rodata,"a",@progbits
	.p2align	6, 0x0
	.amdhsa_kernel _ZN7rocprim17ROCPRIM_400000_NS6detail17trampoline_kernelINS0_14default_configENS1_20scan_config_selectorI11FixedVectorIiLj1EEEEZZNS1_9scan_implILNS1_25lookback_scan_determinismE0ELb1ELb1ES3_N6thrust23THRUST_200600_302600_NS6detail15normal_iteratorINSB_10device_ptrIS6_EEEESG_S6_NSB_4plusIvEES6_EEDaPvRmT3_T4_T5_mT6_P12ihipStream_tbENKUlT_T0_E_clISt17integral_constantIbLb1EESW_EEDaSR_SS_EUlSR_E0_NS1_11comp_targetILNS1_3genE10ELNS1_11target_archE1201ELNS1_3gpuE5ELNS1_3repE0EEENS1_30default_config_static_selectorELNS0_4arch9wavefront6targetE1EEEvT1_
		.amdhsa_group_segment_fixed_size 0
		.amdhsa_private_segment_fixed_size 0
		.amdhsa_kernarg_size 32
		.amdhsa_user_sgpr_count 6
		.amdhsa_user_sgpr_private_segment_buffer 1
		.amdhsa_user_sgpr_dispatch_ptr 0
		.amdhsa_user_sgpr_queue_ptr 0
		.amdhsa_user_sgpr_kernarg_segment_ptr 1
		.amdhsa_user_sgpr_dispatch_id 0
		.amdhsa_user_sgpr_flat_scratch_init 0
		.amdhsa_user_sgpr_kernarg_preload_length 0
		.amdhsa_user_sgpr_kernarg_preload_offset 0
		.amdhsa_user_sgpr_private_segment_size 0
		.amdhsa_uses_dynamic_stack 0
		.amdhsa_system_sgpr_private_segment_wavefront_offset 0
		.amdhsa_system_sgpr_workgroup_id_x 1
		.amdhsa_system_sgpr_workgroup_id_y 0
		.amdhsa_system_sgpr_workgroup_id_z 0
		.amdhsa_system_sgpr_workgroup_info 0
		.amdhsa_system_vgpr_workitem_id 0
		.amdhsa_next_free_vgpr 1
		.amdhsa_next_free_sgpr 0
		.amdhsa_accum_offset 4
		.amdhsa_reserve_vcc 0
		.amdhsa_reserve_flat_scratch 0
		.amdhsa_float_round_mode_32 0
		.amdhsa_float_round_mode_16_64 0
		.amdhsa_float_denorm_mode_32 3
		.amdhsa_float_denorm_mode_16_64 3
		.amdhsa_dx10_clamp 1
		.amdhsa_ieee_mode 1
		.amdhsa_fp16_overflow 0
		.amdhsa_tg_split 0
		.amdhsa_exception_fp_ieee_invalid_op 0
		.amdhsa_exception_fp_denorm_src 0
		.amdhsa_exception_fp_ieee_div_zero 0
		.amdhsa_exception_fp_ieee_overflow 0
		.amdhsa_exception_fp_ieee_underflow 0
		.amdhsa_exception_fp_ieee_inexact 0
		.amdhsa_exception_int_div_zero 0
	.end_amdhsa_kernel
	.section	.text._ZN7rocprim17ROCPRIM_400000_NS6detail17trampoline_kernelINS0_14default_configENS1_20scan_config_selectorI11FixedVectorIiLj1EEEEZZNS1_9scan_implILNS1_25lookback_scan_determinismE0ELb1ELb1ES3_N6thrust23THRUST_200600_302600_NS6detail15normal_iteratorINSB_10device_ptrIS6_EEEESG_S6_NSB_4plusIvEES6_EEDaPvRmT3_T4_T5_mT6_P12ihipStream_tbENKUlT_T0_E_clISt17integral_constantIbLb1EESW_EEDaSR_SS_EUlSR_E0_NS1_11comp_targetILNS1_3genE10ELNS1_11target_archE1201ELNS1_3gpuE5ELNS1_3repE0EEENS1_30default_config_static_selectorELNS0_4arch9wavefront6targetE1EEEvT1_,"axG",@progbits,_ZN7rocprim17ROCPRIM_400000_NS6detail17trampoline_kernelINS0_14default_configENS1_20scan_config_selectorI11FixedVectorIiLj1EEEEZZNS1_9scan_implILNS1_25lookback_scan_determinismE0ELb1ELb1ES3_N6thrust23THRUST_200600_302600_NS6detail15normal_iteratorINSB_10device_ptrIS6_EEEESG_S6_NSB_4plusIvEES6_EEDaPvRmT3_T4_T5_mT6_P12ihipStream_tbENKUlT_T0_E_clISt17integral_constantIbLb1EESW_EEDaSR_SS_EUlSR_E0_NS1_11comp_targetILNS1_3genE10ELNS1_11target_archE1201ELNS1_3gpuE5ELNS1_3repE0EEENS1_30default_config_static_selectorELNS0_4arch9wavefront6targetE1EEEvT1_,comdat
.Lfunc_end6494:
	.size	_ZN7rocprim17ROCPRIM_400000_NS6detail17trampoline_kernelINS0_14default_configENS1_20scan_config_selectorI11FixedVectorIiLj1EEEEZZNS1_9scan_implILNS1_25lookback_scan_determinismE0ELb1ELb1ES3_N6thrust23THRUST_200600_302600_NS6detail15normal_iteratorINSB_10device_ptrIS6_EEEESG_S6_NSB_4plusIvEES6_EEDaPvRmT3_T4_T5_mT6_P12ihipStream_tbENKUlT_T0_E_clISt17integral_constantIbLb1EESW_EEDaSR_SS_EUlSR_E0_NS1_11comp_targetILNS1_3genE10ELNS1_11target_archE1201ELNS1_3gpuE5ELNS1_3repE0EEENS1_30default_config_static_selectorELNS0_4arch9wavefront6targetE1EEEvT1_, .Lfunc_end6494-_ZN7rocprim17ROCPRIM_400000_NS6detail17trampoline_kernelINS0_14default_configENS1_20scan_config_selectorI11FixedVectorIiLj1EEEEZZNS1_9scan_implILNS1_25lookback_scan_determinismE0ELb1ELb1ES3_N6thrust23THRUST_200600_302600_NS6detail15normal_iteratorINSB_10device_ptrIS6_EEEESG_S6_NSB_4plusIvEES6_EEDaPvRmT3_T4_T5_mT6_P12ihipStream_tbENKUlT_T0_E_clISt17integral_constantIbLb1EESW_EEDaSR_SS_EUlSR_E0_NS1_11comp_targetILNS1_3genE10ELNS1_11target_archE1201ELNS1_3gpuE5ELNS1_3repE0EEENS1_30default_config_static_selectorELNS0_4arch9wavefront6targetE1EEEvT1_
                                        ; -- End function
	.section	.AMDGPU.csdata,"",@progbits
; Kernel info:
; codeLenInByte = 0
; NumSgprs: 4
; NumVgprs: 0
; NumAgprs: 0
; TotalNumVgprs: 0
; ScratchSize: 0
; MemoryBound: 0
; FloatMode: 240
; IeeeMode: 1
; LDSByteSize: 0 bytes/workgroup (compile time only)
; SGPRBlocks: 0
; VGPRBlocks: 0
; NumSGPRsForWavesPerEU: 4
; NumVGPRsForWavesPerEU: 1
; AccumOffset: 4
; Occupancy: 8
; WaveLimiterHint : 0
; COMPUTE_PGM_RSRC2:SCRATCH_EN: 0
; COMPUTE_PGM_RSRC2:USER_SGPR: 6
; COMPUTE_PGM_RSRC2:TRAP_HANDLER: 0
; COMPUTE_PGM_RSRC2:TGID_X_EN: 1
; COMPUTE_PGM_RSRC2:TGID_Y_EN: 0
; COMPUTE_PGM_RSRC2:TGID_Z_EN: 0
; COMPUTE_PGM_RSRC2:TIDIG_COMP_CNT: 0
; COMPUTE_PGM_RSRC3_GFX90A:ACCUM_OFFSET: 0
; COMPUTE_PGM_RSRC3_GFX90A:TG_SPLIT: 0
	.section	.text._ZN7rocprim17ROCPRIM_400000_NS6detail17trampoline_kernelINS0_14default_configENS1_20scan_config_selectorI11FixedVectorIiLj1EEEEZZNS1_9scan_implILNS1_25lookback_scan_determinismE0ELb1ELb1ES3_N6thrust23THRUST_200600_302600_NS6detail15normal_iteratorINSB_10device_ptrIS6_EEEESG_S6_NSB_4plusIvEES6_EEDaPvRmT3_T4_T5_mT6_P12ihipStream_tbENKUlT_T0_E_clISt17integral_constantIbLb1EESW_EEDaSR_SS_EUlSR_E0_NS1_11comp_targetILNS1_3genE10ELNS1_11target_archE1200ELNS1_3gpuE4ELNS1_3repE0EEENS1_30default_config_static_selectorELNS0_4arch9wavefront6targetE1EEEvT1_,"axG",@progbits,_ZN7rocprim17ROCPRIM_400000_NS6detail17trampoline_kernelINS0_14default_configENS1_20scan_config_selectorI11FixedVectorIiLj1EEEEZZNS1_9scan_implILNS1_25lookback_scan_determinismE0ELb1ELb1ES3_N6thrust23THRUST_200600_302600_NS6detail15normal_iteratorINSB_10device_ptrIS6_EEEESG_S6_NSB_4plusIvEES6_EEDaPvRmT3_T4_T5_mT6_P12ihipStream_tbENKUlT_T0_E_clISt17integral_constantIbLb1EESW_EEDaSR_SS_EUlSR_E0_NS1_11comp_targetILNS1_3genE10ELNS1_11target_archE1200ELNS1_3gpuE4ELNS1_3repE0EEENS1_30default_config_static_selectorELNS0_4arch9wavefront6targetE1EEEvT1_,comdat
	.protected	_ZN7rocprim17ROCPRIM_400000_NS6detail17trampoline_kernelINS0_14default_configENS1_20scan_config_selectorI11FixedVectorIiLj1EEEEZZNS1_9scan_implILNS1_25lookback_scan_determinismE0ELb1ELb1ES3_N6thrust23THRUST_200600_302600_NS6detail15normal_iteratorINSB_10device_ptrIS6_EEEESG_S6_NSB_4plusIvEES6_EEDaPvRmT3_T4_T5_mT6_P12ihipStream_tbENKUlT_T0_E_clISt17integral_constantIbLb1EESW_EEDaSR_SS_EUlSR_E0_NS1_11comp_targetILNS1_3genE10ELNS1_11target_archE1200ELNS1_3gpuE4ELNS1_3repE0EEENS1_30default_config_static_selectorELNS0_4arch9wavefront6targetE1EEEvT1_ ; -- Begin function _ZN7rocprim17ROCPRIM_400000_NS6detail17trampoline_kernelINS0_14default_configENS1_20scan_config_selectorI11FixedVectorIiLj1EEEEZZNS1_9scan_implILNS1_25lookback_scan_determinismE0ELb1ELb1ES3_N6thrust23THRUST_200600_302600_NS6detail15normal_iteratorINSB_10device_ptrIS6_EEEESG_S6_NSB_4plusIvEES6_EEDaPvRmT3_T4_T5_mT6_P12ihipStream_tbENKUlT_T0_E_clISt17integral_constantIbLb1EESW_EEDaSR_SS_EUlSR_E0_NS1_11comp_targetILNS1_3genE10ELNS1_11target_archE1200ELNS1_3gpuE4ELNS1_3repE0EEENS1_30default_config_static_selectorELNS0_4arch9wavefront6targetE1EEEvT1_
	.globl	_ZN7rocprim17ROCPRIM_400000_NS6detail17trampoline_kernelINS0_14default_configENS1_20scan_config_selectorI11FixedVectorIiLj1EEEEZZNS1_9scan_implILNS1_25lookback_scan_determinismE0ELb1ELb1ES3_N6thrust23THRUST_200600_302600_NS6detail15normal_iteratorINSB_10device_ptrIS6_EEEESG_S6_NSB_4plusIvEES6_EEDaPvRmT3_T4_T5_mT6_P12ihipStream_tbENKUlT_T0_E_clISt17integral_constantIbLb1EESW_EEDaSR_SS_EUlSR_E0_NS1_11comp_targetILNS1_3genE10ELNS1_11target_archE1200ELNS1_3gpuE4ELNS1_3repE0EEENS1_30default_config_static_selectorELNS0_4arch9wavefront6targetE1EEEvT1_
	.p2align	8
	.type	_ZN7rocprim17ROCPRIM_400000_NS6detail17trampoline_kernelINS0_14default_configENS1_20scan_config_selectorI11FixedVectorIiLj1EEEEZZNS1_9scan_implILNS1_25lookback_scan_determinismE0ELb1ELb1ES3_N6thrust23THRUST_200600_302600_NS6detail15normal_iteratorINSB_10device_ptrIS6_EEEESG_S6_NSB_4plusIvEES6_EEDaPvRmT3_T4_T5_mT6_P12ihipStream_tbENKUlT_T0_E_clISt17integral_constantIbLb1EESW_EEDaSR_SS_EUlSR_E0_NS1_11comp_targetILNS1_3genE10ELNS1_11target_archE1200ELNS1_3gpuE4ELNS1_3repE0EEENS1_30default_config_static_selectorELNS0_4arch9wavefront6targetE1EEEvT1_,@function
_ZN7rocprim17ROCPRIM_400000_NS6detail17trampoline_kernelINS0_14default_configENS1_20scan_config_selectorI11FixedVectorIiLj1EEEEZZNS1_9scan_implILNS1_25lookback_scan_determinismE0ELb1ELb1ES3_N6thrust23THRUST_200600_302600_NS6detail15normal_iteratorINSB_10device_ptrIS6_EEEESG_S6_NSB_4plusIvEES6_EEDaPvRmT3_T4_T5_mT6_P12ihipStream_tbENKUlT_T0_E_clISt17integral_constantIbLb1EESW_EEDaSR_SS_EUlSR_E0_NS1_11comp_targetILNS1_3genE10ELNS1_11target_archE1200ELNS1_3gpuE4ELNS1_3repE0EEENS1_30default_config_static_selectorELNS0_4arch9wavefront6targetE1EEEvT1_: ; @_ZN7rocprim17ROCPRIM_400000_NS6detail17trampoline_kernelINS0_14default_configENS1_20scan_config_selectorI11FixedVectorIiLj1EEEEZZNS1_9scan_implILNS1_25lookback_scan_determinismE0ELb1ELb1ES3_N6thrust23THRUST_200600_302600_NS6detail15normal_iteratorINSB_10device_ptrIS6_EEEESG_S6_NSB_4plusIvEES6_EEDaPvRmT3_T4_T5_mT6_P12ihipStream_tbENKUlT_T0_E_clISt17integral_constantIbLb1EESW_EEDaSR_SS_EUlSR_E0_NS1_11comp_targetILNS1_3genE10ELNS1_11target_archE1200ELNS1_3gpuE4ELNS1_3repE0EEENS1_30default_config_static_selectorELNS0_4arch9wavefront6targetE1EEEvT1_
; %bb.0:
	.section	.rodata,"a",@progbits
	.p2align	6, 0x0
	.amdhsa_kernel _ZN7rocprim17ROCPRIM_400000_NS6detail17trampoline_kernelINS0_14default_configENS1_20scan_config_selectorI11FixedVectorIiLj1EEEEZZNS1_9scan_implILNS1_25lookback_scan_determinismE0ELb1ELb1ES3_N6thrust23THRUST_200600_302600_NS6detail15normal_iteratorINSB_10device_ptrIS6_EEEESG_S6_NSB_4plusIvEES6_EEDaPvRmT3_T4_T5_mT6_P12ihipStream_tbENKUlT_T0_E_clISt17integral_constantIbLb1EESW_EEDaSR_SS_EUlSR_E0_NS1_11comp_targetILNS1_3genE10ELNS1_11target_archE1200ELNS1_3gpuE4ELNS1_3repE0EEENS1_30default_config_static_selectorELNS0_4arch9wavefront6targetE1EEEvT1_
		.amdhsa_group_segment_fixed_size 0
		.amdhsa_private_segment_fixed_size 0
		.amdhsa_kernarg_size 32
		.amdhsa_user_sgpr_count 6
		.amdhsa_user_sgpr_private_segment_buffer 1
		.amdhsa_user_sgpr_dispatch_ptr 0
		.amdhsa_user_sgpr_queue_ptr 0
		.amdhsa_user_sgpr_kernarg_segment_ptr 1
		.amdhsa_user_sgpr_dispatch_id 0
		.amdhsa_user_sgpr_flat_scratch_init 0
		.amdhsa_user_sgpr_kernarg_preload_length 0
		.amdhsa_user_sgpr_kernarg_preload_offset 0
		.amdhsa_user_sgpr_private_segment_size 0
		.amdhsa_uses_dynamic_stack 0
		.amdhsa_system_sgpr_private_segment_wavefront_offset 0
		.amdhsa_system_sgpr_workgroup_id_x 1
		.amdhsa_system_sgpr_workgroup_id_y 0
		.amdhsa_system_sgpr_workgroup_id_z 0
		.amdhsa_system_sgpr_workgroup_info 0
		.amdhsa_system_vgpr_workitem_id 0
		.amdhsa_next_free_vgpr 1
		.amdhsa_next_free_sgpr 0
		.amdhsa_accum_offset 4
		.amdhsa_reserve_vcc 0
		.amdhsa_reserve_flat_scratch 0
		.amdhsa_float_round_mode_32 0
		.amdhsa_float_round_mode_16_64 0
		.amdhsa_float_denorm_mode_32 3
		.amdhsa_float_denorm_mode_16_64 3
		.amdhsa_dx10_clamp 1
		.amdhsa_ieee_mode 1
		.amdhsa_fp16_overflow 0
		.amdhsa_tg_split 0
		.amdhsa_exception_fp_ieee_invalid_op 0
		.amdhsa_exception_fp_denorm_src 0
		.amdhsa_exception_fp_ieee_div_zero 0
		.amdhsa_exception_fp_ieee_overflow 0
		.amdhsa_exception_fp_ieee_underflow 0
		.amdhsa_exception_fp_ieee_inexact 0
		.amdhsa_exception_int_div_zero 0
	.end_amdhsa_kernel
	.section	.text._ZN7rocprim17ROCPRIM_400000_NS6detail17trampoline_kernelINS0_14default_configENS1_20scan_config_selectorI11FixedVectorIiLj1EEEEZZNS1_9scan_implILNS1_25lookback_scan_determinismE0ELb1ELb1ES3_N6thrust23THRUST_200600_302600_NS6detail15normal_iteratorINSB_10device_ptrIS6_EEEESG_S6_NSB_4plusIvEES6_EEDaPvRmT3_T4_T5_mT6_P12ihipStream_tbENKUlT_T0_E_clISt17integral_constantIbLb1EESW_EEDaSR_SS_EUlSR_E0_NS1_11comp_targetILNS1_3genE10ELNS1_11target_archE1200ELNS1_3gpuE4ELNS1_3repE0EEENS1_30default_config_static_selectorELNS0_4arch9wavefront6targetE1EEEvT1_,"axG",@progbits,_ZN7rocprim17ROCPRIM_400000_NS6detail17trampoline_kernelINS0_14default_configENS1_20scan_config_selectorI11FixedVectorIiLj1EEEEZZNS1_9scan_implILNS1_25lookback_scan_determinismE0ELb1ELb1ES3_N6thrust23THRUST_200600_302600_NS6detail15normal_iteratorINSB_10device_ptrIS6_EEEESG_S6_NSB_4plusIvEES6_EEDaPvRmT3_T4_T5_mT6_P12ihipStream_tbENKUlT_T0_E_clISt17integral_constantIbLb1EESW_EEDaSR_SS_EUlSR_E0_NS1_11comp_targetILNS1_3genE10ELNS1_11target_archE1200ELNS1_3gpuE4ELNS1_3repE0EEENS1_30default_config_static_selectorELNS0_4arch9wavefront6targetE1EEEvT1_,comdat
.Lfunc_end6495:
	.size	_ZN7rocprim17ROCPRIM_400000_NS6detail17trampoline_kernelINS0_14default_configENS1_20scan_config_selectorI11FixedVectorIiLj1EEEEZZNS1_9scan_implILNS1_25lookback_scan_determinismE0ELb1ELb1ES3_N6thrust23THRUST_200600_302600_NS6detail15normal_iteratorINSB_10device_ptrIS6_EEEESG_S6_NSB_4plusIvEES6_EEDaPvRmT3_T4_T5_mT6_P12ihipStream_tbENKUlT_T0_E_clISt17integral_constantIbLb1EESW_EEDaSR_SS_EUlSR_E0_NS1_11comp_targetILNS1_3genE10ELNS1_11target_archE1200ELNS1_3gpuE4ELNS1_3repE0EEENS1_30default_config_static_selectorELNS0_4arch9wavefront6targetE1EEEvT1_, .Lfunc_end6495-_ZN7rocprim17ROCPRIM_400000_NS6detail17trampoline_kernelINS0_14default_configENS1_20scan_config_selectorI11FixedVectorIiLj1EEEEZZNS1_9scan_implILNS1_25lookback_scan_determinismE0ELb1ELb1ES3_N6thrust23THRUST_200600_302600_NS6detail15normal_iteratorINSB_10device_ptrIS6_EEEESG_S6_NSB_4plusIvEES6_EEDaPvRmT3_T4_T5_mT6_P12ihipStream_tbENKUlT_T0_E_clISt17integral_constantIbLb1EESW_EEDaSR_SS_EUlSR_E0_NS1_11comp_targetILNS1_3genE10ELNS1_11target_archE1200ELNS1_3gpuE4ELNS1_3repE0EEENS1_30default_config_static_selectorELNS0_4arch9wavefront6targetE1EEEvT1_
                                        ; -- End function
	.section	.AMDGPU.csdata,"",@progbits
; Kernel info:
; codeLenInByte = 0
; NumSgprs: 4
; NumVgprs: 0
; NumAgprs: 0
; TotalNumVgprs: 0
; ScratchSize: 0
; MemoryBound: 0
; FloatMode: 240
; IeeeMode: 1
; LDSByteSize: 0 bytes/workgroup (compile time only)
; SGPRBlocks: 0
; VGPRBlocks: 0
; NumSGPRsForWavesPerEU: 4
; NumVGPRsForWavesPerEU: 1
; AccumOffset: 4
; Occupancy: 8
; WaveLimiterHint : 0
; COMPUTE_PGM_RSRC2:SCRATCH_EN: 0
; COMPUTE_PGM_RSRC2:USER_SGPR: 6
; COMPUTE_PGM_RSRC2:TRAP_HANDLER: 0
; COMPUTE_PGM_RSRC2:TGID_X_EN: 1
; COMPUTE_PGM_RSRC2:TGID_Y_EN: 0
; COMPUTE_PGM_RSRC2:TGID_Z_EN: 0
; COMPUTE_PGM_RSRC2:TIDIG_COMP_CNT: 0
; COMPUTE_PGM_RSRC3_GFX90A:ACCUM_OFFSET: 0
; COMPUTE_PGM_RSRC3_GFX90A:TG_SPLIT: 0
	.section	.text._ZN7rocprim17ROCPRIM_400000_NS6detail17trampoline_kernelINS0_14default_configENS1_20scan_config_selectorI11FixedVectorIiLj1EEEEZZNS1_9scan_implILNS1_25lookback_scan_determinismE0ELb1ELb1ES3_N6thrust23THRUST_200600_302600_NS6detail15normal_iteratorINSB_10device_ptrIS6_EEEESG_S6_NSB_4plusIvEES6_EEDaPvRmT3_T4_T5_mT6_P12ihipStream_tbENKUlT_T0_E_clISt17integral_constantIbLb1EESW_EEDaSR_SS_EUlSR_E0_NS1_11comp_targetILNS1_3genE9ELNS1_11target_archE1100ELNS1_3gpuE3ELNS1_3repE0EEENS1_30default_config_static_selectorELNS0_4arch9wavefront6targetE1EEEvT1_,"axG",@progbits,_ZN7rocprim17ROCPRIM_400000_NS6detail17trampoline_kernelINS0_14default_configENS1_20scan_config_selectorI11FixedVectorIiLj1EEEEZZNS1_9scan_implILNS1_25lookback_scan_determinismE0ELb1ELb1ES3_N6thrust23THRUST_200600_302600_NS6detail15normal_iteratorINSB_10device_ptrIS6_EEEESG_S6_NSB_4plusIvEES6_EEDaPvRmT3_T4_T5_mT6_P12ihipStream_tbENKUlT_T0_E_clISt17integral_constantIbLb1EESW_EEDaSR_SS_EUlSR_E0_NS1_11comp_targetILNS1_3genE9ELNS1_11target_archE1100ELNS1_3gpuE3ELNS1_3repE0EEENS1_30default_config_static_selectorELNS0_4arch9wavefront6targetE1EEEvT1_,comdat
	.protected	_ZN7rocprim17ROCPRIM_400000_NS6detail17trampoline_kernelINS0_14default_configENS1_20scan_config_selectorI11FixedVectorIiLj1EEEEZZNS1_9scan_implILNS1_25lookback_scan_determinismE0ELb1ELb1ES3_N6thrust23THRUST_200600_302600_NS6detail15normal_iteratorINSB_10device_ptrIS6_EEEESG_S6_NSB_4plusIvEES6_EEDaPvRmT3_T4_T5_mT6_P12ihipStream_tbENKUlT_T0_E_clISt17integral_constantIbLb1EESW_EEDaSR_SS_EUlSR_E0_NS1_11comp_targetILNS1_3genE9ELNS1_11target_archE1100ELNS1_3gpuE3ELNS1_3repE0EEENS1_30default_config_static_selectorELNS0_4arch9wavefront6targetE1EEEvT1_ ; -- Begin function _ZN7rocprim17ROCPRIM_400000_NS6detail17trampoline_kernelINS0_14default_configENS1_20scan_config_selectorI11FixedVectorIiLj1EEEEZZNS1_9scan_implILNS1_25lookback_scan_determinismE0ELb1ELb1ES3_N6thrust23THRUST_200600_302600_NS6detail15normal_iteratorINSB_10device_ptrIS6_EEEESG_S6_NSB_4plusIvEES6_EEDaPvRmT3_T4_T5_mT6_P12ihipStream_tbENKUlT_T0_E_clISt17integral_constantIbLb1EESW_EEDaSR_SS_EUlSR_E0_NS1_11comp_targetILNS1_3genE9ELNS1_11target_archE1100ELNS1_3gpuE3ELNS1_3repE0EEENS1_30default_config_static_selectorELNS0_4arch9wavefront6targetE1EEEvT1_
	.globl	_ZN7rocprim17ROCPRIM_400000_NS6detail17trampoline_kernelINS0_14default_configENS1_20scan_config_selectorI11FixedVectorIiLj1EEEEZZNS1_9scan_implILNS1_25lookback_scan_determinismE0ELb1ELb1ES3_N6thrust23THRUST_200600_302600_NS6detail15normal_iteratorINSB_10device_ptrIS6_EEEESG_S6_NSB_4plusIvEES6_EEDaPvRmT3_T4_T5_mT6_P12ihipStream_tbENKUlT_T0_E_clISt17integral_constantIbLb1EESW_EEDaSR_SS_EUlSR_E0_NS1_11comp_targetILNS1_3genE9ELNS1_11target_archE1100ELNS1_3gpuE3ELNS1_3repE0EEENS1_30default_config_static_selectorELNS0_4arch9wavefront6targetE1EEEvT1_
	.p2align	8
	.type	_ZN7rocprim17ROCPRIM_400000_NS6detail17trampoline_kernelINS0_14default_configENS1_20scan_config_selectorI11FixedVectorIiLj1EEEEZZNS1_9scan_implILNS1_25lookback_scan_determinismE0ELb1ELb1ES3_N6thrust23THRUST_200600_302600_NS6detail15normal_iteratorINSB_10device_ptrIS6_EEEESG_S6_NSB_4plusIvEES6_EEDaPvRmT3_T4_T5_mT6_P12ihipStream_tbENKUlT_T0_E_clISt17integral_constantIbLb1EESW_EEDaSR_SS_EUlSR_E0_NS1_11comp_targetILNS1_3genE9ELNS1_11target_archE1100ELNS1_3gpuE3ELNS1_3repE0EEENS1_30default_config_static_selectorELNS0_4arch9wavefront6targetE1EEEvT1_,@function
_ZN7rocprim17ROCPRIM_400000_NS6detail17trampoline_kernelINS0_14default_configENS1_20scan_config_selectorI11FixedVectorIiLj1EEEEZZNS1_9scan_implILNS1_25lookback_scan_determinismE0ELb1ELb1ES3_N6thrust23THRUST_200600_302600_NS6detail15normal_iteratorINSB_10device_ptrIS6_EEEESG_S6_NSB_4plusIvEES6_EEDaPvRmT3_T4_T5_mT6_P12ihipStream_tbENKUlT_T0_E_clISt17integral_constantIbLb1EESW_EEDaSR_SS_EUlSR_E0_NS1_11comp_targetILNS1_3genE9ELNS1_11target_archE1100ELNS1_3gpuE3ELNS1_3repE0EEENS1_30default_config_static_selectorELNS0_4arch9wavefront6targetE1EEEvT1_: ; @_ZN7rocprim17ROCPRIM_400000_NS6detail17trampoline_kernelINS0_14default_configENS1_20scan_config_selectorI11FixedVectorIiLj1EEEEZZNS1_9scan_implILNS1_25lookback_scan_determinismE0ELb1ELb1ES3_N6thrust23THRUST_200600_302600_NS6detail15normal_iteratorINSB_10device_ptrIS6_EEEESG_S6_NSB_4plusIvEES6_EEDaPvRmT3_T4_T5_mT6_P12ihipStream_tbENKUlT_T0_E_clISt17integral_constantIbLb1EESW_EEDaSR_SS_EUlSR_E0_NS1_11comp_targetILNS1_3genE9ELNS1_11target_archE1100ELNS1_3gpuE3ELNS1_3repE0EEENS1_30default_config_static_selectorELNS0_4arch9wavefront6targetE1EEEvT1_
; %bb.0:
	.section	.rodata,"a",@progbits
	.p2align	6, 0x0
	.amdhsa_kernel _ZN7rocprim17ROCPRIM_400000_NS6detail17trampoline_kernelINS0_14default_configENS1_20scan_config_selectorI11FixedVectorIiLj1EEEEZZNS1_9scan_implILNS1_25lookback_scan_determinismE0ELb1ELb1ES3_N6thrust23THRUST_200600_302600_NS6detail15normal_iteratorINSB_10device_ptrIS6_EEEESG_S6_NSB_4plusIvEES6_EEDaPvRmT3_T4_T5_mT6_P12ihipStream_tbENKUlT_T0_E_clISt17integral_constantIbLb1EESW_EEDaSR_SS_EUlSR_E0_NS1_11comp_targetILNS1_3genE9ELNS1_11target_archE1100ELNS1_3gpuE3ELNS1_3repE0EEENS1_30default_config_static_selectorELNS0_4arch9wavefront6targetE1EEEvT1_
		.amdhsa_group_segment_fixed_size 0
		.amdhsa_private_segment_fixed_size 0
		.amdhsa_kernarg_size 32
		.amdhsa_user_sgpr_count 6
		.amdhsa_user_sgpr_private_segment_buffer 1
		.amdhsa_user_sgpr_dispatch_ptr 0
		.amdhsa_user_sgpr_queue_ptr 0
		.amdhsa_user_sgpr_kernarg_segment_ptr 1
		.amdhsa_user_sgpr_dispatch_id 0
		.amdhsa_user_sgpr_flat_scratch_init 0
		.amdhsa_user_sgpr_kernarg_preload_length 0
		.amdhsa_user_sgpr_kernarg_preload_offset 0
		.amdhsa_user_sgpr_private_segment_size 0
		.amdhsa_uses_dynamic_stack 0
		.amdhsa_system_sgpr_private_segment_wavefront_offset 0
		.amdhsa_system_sgpr_workgroup_id_x 1
		.amdhsa_system_sgpr_workgroup_id_y 0
		.amdhsa_system_sgpr_workgroup_id_z 0
		.amdhsa_system_sgpr_workgroup_info 0
		.amdhsa_system_vgpr_workitem_id 0
		.amdhsa_next_free_vgpr 1
		.amdhsa_next_free_sgpr 0
		.amdhsa_accum_offset 4
		.amdhsa_reserve_vcc 0
		.amdhsa_reserve_flat_scratch 0
		.amdhsa_float_round_mode_32 0
		.amdhsa_float_round_mode_16_64 0
		.amdhsa_float_denorm_mode_32 3
		.amdhsa_float_denorm_mode_16_64 3
		.amdhsa_dx10_clamp 1
		.amdhsa_ieee_mode 1
		.amdhsa_fp16_overflow 0
		.amdhsa_tg_split 0
		.amdhsa_exception_fp_ieee_invalid_op 0
		.amdhsa_exception_fp_denorm_src 0
		.amdhsa_exception_fp_ieee_div_zero 0
		.amdhsa_exception_fp_ieee_overflow 0
		.amdhsa_exception_fp_ieee_underflow 0
		.amdhsa_exception_fp_ieee_inexact 0
		.amdhsa_exception_int_div_zero 0
	.end_amdhsa_kernel
	.section	.text._ZN7rocprim17ROCPRIM_400000_NS6detail17trampoline_kernelINS0_14default_configENS1_20scan_config_selectorI11FixedVectorIiLj1EEEEZZNS1_9scan_implILNS1_25lookback_scan_determinismE0ELb1ELb1ES3_N6thrust23THRUST_200600_302600_NS6detail15normal_iteratorINSB_10device_ptrIS6_EEEESG_S6_NSB_4plusIvEES6_EEDaPvRmT3_T4_T5_mT6_P12ihipStream_tbENKUlT_T0_E_clISt17integral_constantIbLb1EESW_EEDaSR_SS_EUlSR_E0_NS1_11comp_targetILNS1_3genE9ELNS1_11target_archE1100ELNS1_3gpuE3ELNS1_3repE0EEENS1_30default_config_static_selectorELNS0_4arch9wavefront6targetE1EEEvT1_,"axG",@progbits,_ZN7rocprim17ROCPRIM_400000_NS6detail17trampoline_kernelINS0_14default_configENS1_20scan_config_selectorI11FixedVectorIiLj1EEEEZZNS1_9scan_implILNS1_25lookback_scan_determinismE0ELb1ELb1ES3_N6thrust23THRUST_200600_302600_NS6detail15normal_iteratorINSB_10device_ptrIS6_EEEESG_S6_NSB_4plusIvEES6_EEDaPvRmT3_T4_T5_mT6_P12ihipStream_tbENKUlT_T0_E_clISt17integral_constantIbLb1EESW_EEDaSR_SS_EUlSR_E0_NS1_11comp_targetILNS1_3genE9ELNS1_11target_archE1100ELNS1_3gpuE3ELNS1_3repE0EEENS1_30default_config_static_selectorELNS0_4arch9wavefront6targetE1EEEvT1_,comdat
.Lfunc_end6496:
	.size	_ZN7rocprim17ROCPRIM_400000_NS6detail17trampoline_kernelINS0_14default_configENS1_20scan_config_selectorI11FixedVectorIiLj1EEEEZZNS1_9scan_implILNS1_25lookback_scan_determinismE0ELb1ELb1ES3_N6thrust23THRUST_200600_302600_NS6detail15normal_iteratorINSB_10device_ptrIS6_EEEESG_S6_NSB_4plusIvEES6_EEDaPvRmT3_T4_T5_mT6_P12ihipStream_tbENKUlT_T0_E_clISt17integral_constantIbLb1EESW_EEDaSR_SS_EUlSR_E0_NS1_11comp_targetILNS1_3genE9ELNS1_11target_archE1100ELNS1_3gpuE3ELNS1_3repE0EEENS1_30default_config_static_selectorELNS0_4arch9wavefront6targetE1EEEvT1_, .Lfunc_end6496-_ZN7rocprim17ROCPRIM_400000_NS6detail17trampoline_kernelINS0_14default_configENS1_20scan_config_selectorI11FixedVectorIiLj1EEEEZZNS1_9scan_implILNS1_25lookback_scan_determinismE0ELb1ELb1ES3_N6thrust23THRUST_200600_302600_NS6detail15normal_iteratorINSB_10device_ptrIS6_EEEESG_S6_NSB_4plusIvEES6_EEDaPvRmT3_T4_T5_mT6_P12ihipStream_tbENKUlT_T0_E_clISt17integral_constantIbLb1EESW_EEDaSR_SS_EUlSR_E0_NS1_11comp_targetILNS1_3genE9ELNS1_11target_archE1100ELNS1_3gpuE3ELNS1_3repE0EEENS1_30default_config_static_selectorELNS0_4arch9wavefront6targetE1EEEvT1_
                                        ; -- End function
	.section	.AMDGPU.csdata,"",@progbits
; Kernel info:
; codeLenInByte = 0
; NumSgprs: 4
; NumVgprs: 0
; NumAgprs: 0
; TotalNumVgprs: 0
; ScratchSize: 0
; MemoryBound: 0
; FloatMode: 240
; IeeeMode: 1
; LDSByteSize: 0 bytes/workgroup (compile time only)
; SGPRBlocks: 0
; VGPRBlocks: 0
; NumSGPRsForWavesPerEU: 4
; NumVGPRsForWavesPerEU: 1
; AccumOffset: 4
; Occupancy: 8
; WaveLimiterHint : 0
; COMPUTE_PGM_RSRC2:SCRATCH_EN: 0
; COMPUTE_PGM_RSRC2:USER_SGPR: 6
; COMPUTE_PGM_RSRC2:TRAP_HANDLER: 0
; COMPUTE_PGM_RSRC2:TGID_X_EN: 1
; COMPUTE_PGM_RSRC2:TGID_Y_EN: 0
; COMPUTE_PGM_RSRC2:TGID_Z_EN: 0
; COMPUTE_PGM_RSRC2:TIDIG_COMP_CNT: 0
; COMPUTE_PGM_RSRC3_GFX90A:ACCUM_OFFSET: 0
; COMPUTE_PGM_RSRC3_GFX90A:TG_SPLIT: 0
	.section	.text._ZN7rocprim17ROCPRIM_400000_NS6detail17trampoline_kernelINS0_14default_configENS1_20scan_config_selectorI11FixedVectorIiLj1EEEEZZNS1_9scan_implILNS1_25lookback_scan_determinismE0ELb1ELb1ES3_N6thrust23THRUST_200600_302600_NS6detail15normal_iteratorINSB_10device_ptrIS6_EEEESG_S6_NSB_4plusIvEES6_EEDaPvRmT3_T4_T5_mT6_P12ihipStream_tbENKUlT_T0_E_clISt17integral_constantIbLb1EESW_EEDaSR_SS_EUlSR_E0_NS1_11comp_targetILNS1_3genE8ELNS1_11target_archE1030ELNS1_3gpuE2ELNS1_3repE0EEENS1_30default_config_static_selectorELNS0_4arch9wavefront6targetE1EEEvT1_,"axG",@progbits,_ZN7rocprim17ROCPRIM_400000_NS6detail17trampoline_kernelINS0_14default_configENS1_20scan_config_selectorI11FixedVectorIiLj1EEEEZZNS1_9scan_implILNS1_25lookback_scan_determinismE0ELb1ELb1ES3_N6thrust23THRUST_200600_302600_NS6detail15normal_iteratorINSB_10device_ptrIS6_EEEESG_S6_NSB_4plusIvEES6_EEDaPvRmT3_T4_T5_mT6_P12ihipStream_tbENKUlT_T0_E_clISt17integral_constantIbLb1EESW_EEDaSR_SS_EUlSR_E0_NS1_11comp_targetILNS1_3genE8ELNS1_11target_archE1030ELNS1_3gpuE2ELNS1_3repE0EEENS1_30default_config_static_selectorELNS0_4arch9wavefront6targetE1EEEvT1_,comdat
	.protected	_ZN7rocprim17ROCPRIM_400000_NS6detail17trampoline_kernelINS0_14default_configENS1_20scan_config_selectorI11FixedVectorIiLj1EEEEZZNS1_9scan_implILNS1_25lookback_scan_determinismE0ELb1ELb1ES3_N6thrust23THRUST_200600_302600_NS6detail15normal_iteratorINSB_10device_ptrIS6_EEEESG_S6_NSB_4plusIvEES6_EEDaPvRmT3_T4_T5_mT6_P12ihipStream_tbENKUlT_T0_E_clISt17integral_constantIbLb1EESW_EEDaSR_SS_EUlSR_E0_NS1_11comp_targetILNS1_3genE8ELNS1_11target_archE1030ELNS1_3gpuE2ELNS1_3repE0EEENS1_30default_config_static_selectorELNS0_4arch9wavefront6targetE1EEEvT1_ ; -- Begin function _ZN7rocprim17ROCPRIM_400000_NS6detail17trampoline_kernelINS0_14default_configENS1_20scan_config_selectorI11FixedVectorIiLj1EEEEZZNS1_9scan_implILNS1_25lookback_scan_determinismE0ELb1ELb1ES3_N6thrust23THRUST_200600_302600_NS6detail15normal_iteratorINSB_10device_ptrIS6_EEEESG_S6_NSB_4plusIvEES6_EEDaPvRmT3_T4_T5_mT6_P12ihipStream_tbENKUlT_T0_E_clISt17integral_constantIbLb1EESW_EEDaSR_SS_EUlSR_E0_NS1_11comp_targetILNS1_3genE8ELNS1_11target_archE1030ELNS1_3gpuE2ELNS1_3repE0EEENS1_30default_config_static_selectorELNS0_4arch9wavefront6targetE1EEEvT1_
	.globl	_ZN7rocprim17ROCPRIM_400000_NS6detail17trampoline_kernelINS0_14default_configENS1_20scan_config_selectorI11FixedVectorIiLj1EEEEZZNS1_9scan_implILNS1_25lookback_scan_determinismE0ELb1ELb1ES3_N6thrust23THRUST_200600_302600_NS6detail15normal_iteratorINSB_10device_ptrIS6_EEEESG_S6_NSB_4plusIvEES6_EEDaPvRmT3_T4_T5_mT6_P12ihipStream_tbENKUlT_T0_E_clISt17integral_constantIbLb1EESW_EEDaSR_SS_EUlSR_E0_NS1_11comp_targetILNS1_3genE8ELNS1_11target_archE1030ELNS1_3gpuE2ELNS1_3repE0EEENS1_30default_config_static_selectorELNS0_4arch9wavefront6targetE1EEEvT1_
	.p2align	8
	.type	_ZN7rocprim17ROCPRIM_400000_NS6detail17trampoline_kernelINS0_14default_configENS1_20scan_config_selectorI11FixedVectorIiLj1EEEEZZNS1_9scan_implILNS1_25lookback_scan_determinismE0ELb1ELb1ES3_N6thrust23THRUST_200600_302600_NS6detail15normal_iteratorINSB_10device_ptrIS6_EEEESG_S6_NSB_4plusIvEES6_EEDaPvRmT3_T4_T5_mT6_P12ihipStream_tbENKUlT_T0_E_clISt17integral_constantIbLb1EESW_EEDaSR_SS_EUlSR_E0_NS1_11comp_targetILNS1_3genE8ELNS1_11target_archE1030ELNS1_3gpuE2ELNS1_3repE0EEENS1_30default_config_static_selectorELNS0_4arch9wavefront6targetE1EEEvT1_,@function
_ZN7rocprim17ROCPRIM_400000_NS6detail17trampoline_kernelINS0_14default_configENS1_20scan_config_selectorI11FixedVectorIiLj1EEEEZZNS1_9scan_implILNS1_25lookback_scan_determinismE0ELb1ELb1ES3_N6thrust23THRUST_200600_302600_NS6detail15normal_iteratorINSB_10device_ptrIS6_EEEESG_S6_NSB_4plusIvEES6_EEDaPvRmT3_T4_T5_mT6_P12ihipStream_tbENKUlT_T0_E_clISt17integral_constantIbLb1EESW_EEDaSR_SS_EUlSR_E0_NS1_11comp_targetILNS1_3genE8ELNS1_11target_archE1030ELNS1_3gpuE2ELNS1_3repE0EEENS1_30default_config_static_selectorELNS0_4arch9wavefront6targetE1EEEvT1_: ; @_ZN7rocprim17ROCPRIM_400000_NS6detail17trampoline_kernelINS0_14default_configENS1_20scan_config_selectorI11FixedVectorIiLj1EEEEZZNS1_9scan_implILNS1_25lookback_scan_determinismE0ELb1ELb1ES3_N6thrust23THRUST_200600_302600_NS6detail15normal_iteratorINSB_10device_ptrIS6_EEEESG_S6_NSB_4plusIvEES6_EEDaPvRmT3_T4_T5_mT6_P12ihipStream_tbENKUlT_T0_E_clISt17integral_constantIbLb1EESW_EEDaSR_SS_EUlSR_E0_NS1_11comp_targetILNS1_3genE8ELNS1_11target_archE1030ELNS1_3gpuE2ELNS1_3repE0EEENS1_30default_config_static_selectorELNS0_4arch9wavefront6targetE1EEEvT1_
; %bb.0:
	.section	.rodata,"a",@progbits
	.p2align	6, 0x0
	.amdhsa_kernel _ZN7rocprim17ROCPRIM_400000_NS6detail17trampoline_kernelINS0_14default_configENS1_20scan_config_selectorI11FixedVectorIiLj1EEEEZZNS1_9scan_implILNS1_25lookback_scan_determinismE0ELb1ELb1ES3_N6thrust23THRUST_200600_302600_NS6detail15normal_iteratorINSB_10device_ptrIS6_EEEESG_S6_NSB_4plusIvEES6_EEDaPvRmT3_T4_T5_mT6_P12ihipStream_tbENKUlT_T0_E_clISt17integral_constantIbLb1EESW_EEDaSR_SS_EUlSR_E0_NS1_11comp_targetILNS1_3genE8ELNS1_11target_archE1030ELNS1_3gpuE2ELNS1_3repE0EEENS1_30default_config_static_selectorELNS0_4arch9wavefront6targetE1EEEvT1_
		.amdhsa_group_segment_fixed_size 0
		.amdhsa_private_segment_fixed_size 0
		.amdhsa_kernarg_size 32
		.amdhsa_user_sgpr_count 6
		.amdhsa_user_sgpr_private_segment_buffer 1
		.amdhsa_user_sgpr_dispatch_ptr 0
		.amdhsa_user_sgpr_queue_ptr 0
		.amdhsa_user_sgpr_kernarg_segment_ptr 1
		.amdhsa_user_sgpr_dispatch_id 0
		.amdhsa_user_sgpr_flat_scratch_init 0
		.amdhsa_user_sgpr_kernarg_preload_length 0
		.amdhsa_user_sgpr_kernarg_preload_offset 0
		.amdhsa_user_sgpr_private_segment_size 0
		.amdhsa_uses_dynamic_stack 0
		.amdhsa_system_sgpr_private_segment_wavefront_offset 0
		.amdhsa_system_sgpr_workgroup_id_x 1
		.amdhsa_system_sgpr_workgroup_id_y 0
		.amdhsa_system_sgpr_workgroup_id_z 0
		.amdhsa_system_sgpr_workgroup_info 0
		.amdhsa_system_vgpr_workitem_id 0
		.amdhsa_next_free_vgpr 1
		.amdhsa_next_free_sgpr 0
		.amdhsa_accum_offset 4
		.amdhsa_reserve_vcc 0
		.amdhsa_reserve_flat_scratch 0
		.amdhsa_float_round_mode_32 0
		.amdhsa_float_round_mode_16_64 0
		.amdhsa_float_denorm_mode_32 3
		.amdhsa_float_denorm_mode_16_64 3
		.amdhsa_dx10_clamp 1
		.amdhsa_ieee_mode 1
		.amdhsa_fp16_overflow 0
		.amdhsa_tg_split 0
		.amdhsa_exception_fp_ieee_invalid_op 0
		.amdhsa_exception_fp_denorm_src 0
		.amdhsa_exception_fp_ieee_div_zero 0
		.amdhsa_exception_fp_ieee_overflow 0
		.amdhsa_exception_fp_ieee_underflow 0
		.amdhsa_exception_fp_ieee_inexact 0
		.amdhsa_exception_int_div_zero 0
	.end_amdhsa_kernel
	.section	.text._ZN7rocprim17ROCPRIM_400000_NS6detail17trampoline_kernelINS0_14default_configENS1_20scan_config_selectorI11FixedVectorIiLj1EEEEZZNS1_9scan_implILNS1_25lookback_scan_determinismE0ELb1ELb1ES3_N6thrust23THRUST_200600_302600_NS6detail15normal_iteratorINSB_10device_ptrIS6_EEEESG_S6_NSB_4plusIvEES6_EEDaPvRmT3_T4_T5_mT6_P12ihipStream_tbENKUlT_T0_E_clISt17integral_constantIbLb1EESW_EEDaSR_SS_EUlSR_E0_NS1_11comp_targetILNS1_3genE8ELNS1_11target_archE1030ELNS1_3gpuE2ELNS1_3repE0EEENS1_30default_config_static_selectorELNS0_4arch9wavefront6targetE1EEEvT1_,"axG",@progbits,_ZN7rocprim17ROCPRIM_400000_NS6detail17trampoline_kernelINS0_14default_configENS1_20scan_config_selectorI11FixedVectorIiLj1EEEEZZNS1_9scan_implILNS1_25lookback_scan_determinismE0ELb1ELb1ES3_N6thrust23THRUST_200600_302600_NS6detail15normal_iteratorINSB_10device_ptrIS6_EEEESG_S6_NSB_4plusIvEES6_EEDaPvRmT3_T4_T5_mT6_P12ihipStream_tbENKUlT_T0_E_clISt17integral_constantIbLb1EESW_EEDaSR_SS_EUlSR_E0_NS1_11comp_targetILNS1_3genE8ELNS1_11target_archE1030ELNS1_3gpuE2ELNS1_3repE0EEENS1_30default_config_static_selectorELNS0_4arch9wavefront6targetE1EEEvT1_,comdat
.Lfunc_end6497:
	.size	_ZN7rocprim17ROCPRIM_400000_NS6detail17trampoline_kernelINS0_14default_configENS1_20scan_config_selectorI11FixedVectorIiLj1EEEEZZNS1_9scan_implILNS1_25lookback_scan_determinismE0ELb1ELb1ES3_N6thrust23THRUST_200600_302600_NS6detail15normal_iteratorINSB_10device_ptrIS6_EEEESG_S6_NSB_4plusIvEES6_EEDaPvRmT3_T4_T5_mT6_P12ihipStream_tbENKUlT_T0_E_clISt17integral_constantIbLb1EESW_EEDaSR_SS_EUlSR_E0_NS1_11comp_targetILNS1_3genE8ELNS1_11target_archE1030ELNS1_3gpuE2ELNS1_3repE0EEENS1_30default_config_static_selectorELNS0_4arch9wavefront6targetE1EEEvT1_, .Lfunc_end6497-_ZN7rocprim17ROCPRIM_400000_NS6detail17trampoline_kernelINS0_14default_configENS1_20scan_config_selectorI11FixedVectorIiLj1EEEEZZNS1_9scan_implILNS1_25lookback_scan_determinismE0ELb1ELb1ES3_N6thrust23THRUST_200600_302600_NS6detail15normal_iteratorINSB_10device_ptrIS6_EEEESG_S6_NSB_4plusIvEES6_EEDaPvRmT3_T4_T5_mT6_P12ihipStream_tbENKUlT_T0_E_clISt17integral_constantIbLb1EESW_EEDaSR_SS_EUlSR_E0_NS1_11comp_targetILNS1_3genE8ELNS1_11target_archE1030ELNS1_3gpuE2ELNS1_3repE0EEENS1_30default_config_static_selectorELNS0_4arch9wavefront6targetE1EEEvT1_
                                        ; -- End function
	.section	.AMDGPU.csdata,"",@progbits
; Kernel info:
; codeLenInByte = 0
; NumSgprs: 4
; NumVgprs: 0
; NumAgprs: 0
; TotalNumVgprs: 0
; ScratchSize: 0
; MemoryBound: 0
; FloatMode: 240
; IeeeMode: 1
; LDSByteSize: 0 bytes/workgroup (compile time only)
; SGPRBlocks: 0
; VGPRBlocks: 0
; NumSGPRsForWavesPerEU: 4
; NumVGPRsForWavesPerEU: 1
; AccumOffset: 4
; Occupancy: 8
; WaveLimiterHint : 0
; COMPUTE_PGM_RSRC2:SCRATCH_EN: 0
; COMPUTE_PGM_RSRC2:USER_SGPR: 6
; COMPUTE_PGM_RSRC2:TRAP_HANDLER: 0
; COMPUTE_PGM_RSRC2:TGID_X_EN: 1
; COMPUTE_PGM_RSRC2:TGID_Y_EN: 0
; COMPUTE_PGM_RSRC2:TGID_Z_EN: 0
; COMPUTE_PGM_RSRC2:TIDIG_COMP_CNT: 0
; COMPUTE_PGM_RSRC3_GFX90A:ACCUM_OFFSET: 0
; COMPUTE_PGM_RSRC3_GFX90A:TG_SPLIT: 0
	.section	.text._ZN7rocprim17ROCPRIM_400000_NS6detail17trampoline_kernelINS0_14default_configENS1_20scan_config_selectorI11FixedVectorIiLj1EEEEZZNS1_9scan_implILNS1_25lookback_scan_determinismE0ELb1ELb1ES3_N6thrust23THRUST_200600_302600_NS6detail15normal_iteratorINSB_10device_ptrIS6_EEEESG_S6_NSB_4plusIvEES6_EEDaPvRmT3_T4_T5_mT6_P12ihipStream_tbENKUlT_T0_E_clISt17integral_constantIbLb1EESV_IbLb0EEEEDaSR_SS_EUlSR_E_NS1_11comp_targetILNS1_3genE0ELNS1_11target_archE4294967295ELNS1_3gpuE0ELNS1_3repE0EEENS1_30default_config_static_selectorELNS0_4arch9wavefront6targetE1EEEvT1_,"axG",@progbits,_ZN7rocprim17ROCPRIM_400000_NS6detail17trampoline_kernelINS0_14default_configENS1_20scan_config_selectorI11FixedVectorIiLj1EEEEZZNS1_9scan_implILNS1_25lookback_scan_determinismE0ELb1ELb1ES3_N6thrust23THRUST_200600_302600_NS6detail15normal_iteratorINSB_10device_ptrIS6_EEEESG_S6_NSB_4plusIvEES6_EEDaPvRmT3_T4_T5_mT6_P12ihipStream_tbENKUlT_T0_E_clISt17integral_constantIbLb1EESV_IbLb0EEEEDaSR_SS_EUlSR_E_NS1_11comp_targetILNS1_3genE0ELNS1_11target_archE4294967295ELNS1_3gpuE0ELNS1_3repE0EEENS1_30default_config_static_selectorELNS0_4arch9wavefront6targetE1EEEvT1_,comdat
	.protected	_ZN7rocprim17ROCPRIM_400000_NS6detail17trampoline_kernelINS0_14default_configENS1_20scan_config_selectorI11FixedVectorIiLj1EEEEZZNS1_9scan_implILNS1_25lookback_scan_determinismE0ELb1ELb1ES3_N6thrust23THRUST_200600_302600_NS6detail15normal_iteratorINSB_10device_ptrIS6_EEEESG_S6_NSB_4plusIvEES6_EEDaPvRmT3_T4_T5_mT6_P12ihipStream_tbENKUlT_T0_E_clISt17integral_constantIbLb1EESV_IbLb0EEEEDaSR_SS_EUlSR_E_NS1_11comp_targetILNS1_3genE0ELNS1_11target_archE4294967295ELNS1_3gpuE0ELNS1_3repE0EEENS1_30default_config_static_selectorELNS0_4arch9wavefront6targetE1EEEvT1_ ; -- Begin function _ZN7rocprim17ROCPRIM_400000_NS6detail17trampoline_kernelINS0_14default_configENS1_20scan_config_selectorI11FixedVectorIiLj1EEEEZZNS1_9scan_implILNS1_25lookback_scan_determinismE0ELb1ELb1ES3_N6thrust23THRUST_200600_302600_NS6detail15normal_iteratorINSB_10device_ptrIS6_EEEESG_S6_NSB_4plusIvEES6_EEDaPvRmT3_T4_T5_mT6_P12ihipStream_tbENKUlT_T0_E_clISt17integral_constantIbLb1EESV_IbLb0EEEEDaSR_SS_EUlSR_E_NS1_11comp_targetILNS1_3genE0ELNS1_11target_archE4294967295ELNS1_3gpuE0ELNS1_3repE0EEENS1_30default_config_static_selectorELNS0_4arch9wavefront6targetE1EEEvT1_
	.globl	_ZN7rocprim17ROCPRIM_400000_NS6detail17trampoline_kernelINS0_14default_configENS1_20scan_config_selectorI11FixedVectorIiLj1EEEEZZNS1_9scan_implILNS1_25lookback_scan_determinismE0ELb1ELb1ES3_N6thrust23THRUST_200600_302600_NS6detail15normal_iteratorINSB_10device_ptrIS6_EEEESG_S6_NSB_4plusIvEES6_EEDaPvRmT3_T4_T5_mT6_P12ihipStream_tbENKUlT_T0_E_clISt17integral_constantIbLb1EESV_IbLb0EEEEDaSR_SS_EUlSR_E_NS1_11comp_targetILNS1_3genE0ELNS1_11target_archE4294967295ELNS1_3gpuE0ELNS1_3repE0EEENS1_30default_config_static_selectorELNS0_4arch9wavefront6targetE1EEEvT1_
	.p2align	8
	.type	_ZN7rocprim17ROCPRIM_400000_NS6detail17trampoline_kernelINS0_14default_configENS1_20scan_config_selectorI11FixedVectorIiLj1EEEEZZNS1_9scan_implILNS1_25lookback_scan_determinismE0ELb1ELb1ES3_N6thrust23THRUST_200600_302600_NS6detail15normal_iteratorINSB_10device_ptrIS6_EEEESG_S6_NSB_4plusIvEES6_EEDaPvRmT3_T4_T5_mT6_P12ihipStream_tbENKUlT_T0_E_clISt17integral_constantIbLb1EESV_IbLb0EEEEDaSR_SS_EUlSR_E_NS1_11comp_targetILNS1_3genE0ELNS1_11target_archE4294967295ELNS1_3gpuE0ELNS1_3repE0EEENS1_30default_config_static_selectorELNS0_4arch9wavefront6targetE1EEEvT1_,@function
_ZN7rocprim17ROCPRIM_400000_NS6detail17trampoline_kernelINS0_14default_configENS1_20scan_config_selectorI11FixedVectorIiLj1EEEEZZNS1_9scan_implILNS1_25lookback_scan_determinismE0ELb1ELb1ES3_N6thrust23THRUST_200600_302600_NS6detail15normal_iteratorINSB_10device_ptrIS6_EEEESG_S6_NSB_4plusIvEES6_EEDaPvRmT3_T4_T5_mT6_P12ihipStream_tbENKUlT_T0_E_clISt17integral_constantIbLb1EESV_IbLb0EEEEDaSR_SS_EUlSR_E_NS1_11comp_targetILNS1_3genE0ELNS1_11target_archE4294967295ELNS1_3gpuE0ELNS1_3repE0EEENS1_30default_config_static_selectorELNS0_4arch9wavefront6targetE1EEEvT1_: ; @_ZN7rocprim17ROCPRIM_400000_NS6detail17trampoline_kernelINS0_14default_configENS1_20scan_config_selectorI11FixedVectorIiLj1EEEEZZNS1_9scan_implILNS1_25lookback_scan_determinismE0ELb1ELb1ES3_N6thrust23THRUST_200600_302600_NS6detail15normal_iteratorINSB_10device_ptrIS6_EEEESG_S6_NSB_4plusIvEES6_EEDaPvRmT3_T4_T5_mT6_P12ihipStream_tbENKUlT_T0_E_clISt17integral_constantIbLb1EESV_IbLb0EEEEDaSR_SS_EUlSR_E_NS1_11comp_targetILNS1_3genE0ELNS1_11target_archE4294967295ELNS1_3gpuE0ELNS1_3repE0EEENS1_30default_config_static_selectorELNS0_4arch9wavefront6targetE1EEEvT1_
; %bb.0:
	.section	.rodata,"a",@progbits
	.p2align	6, 0x0
	.amdhsa_kernel _ZN7rocprim17ROCPRIM_400000_NS6detail17trampoline_kernelINS0_14default_configENS1_20scan_config_selectorI11FixedVectorIiLj1EEEEZZNS1_9scan_implILNS1_25lookback_scan_determinismE0ELb1ELb1ES3_N6thrust23THRUST_200600_302600_NS6detail15normal_iteratorINSB_10device_ptrIS6_EEEESG_S6_NSB_4plusIvEES6_EEDaPvRmT3_T4_T5_mT6_P12ihipStream_tbENKUlT_T0_E_clISt17integral_constantIbLb1EESV_IbLb0EEEEDaSR_SS_EUlSR_E_NS1_11comp_targetILNS1_3genE0ELNS1_11target_archE4294967295ELNS1_3gpuE0ELNS1_3repE0EEENS1_30default_config_static_selectorELNS0_4arch9wavefront6targetE1EEEvT1_
		.amdhsa_group_segment_fixed_size 0
		.amdhsa_private_segment_fixed_size 0
		.amdhsa_kernarg_size 96
		.amdhsa_user_sgpr_count 6
		.amdhsa_user_sgpr_private_segment_buffer 1
		.amdhsa_user_sgpr_dispatch_ptr 0
		.amdhsa_user_sgpr_queue_ptr 0
		.amdhsa_user_sgpr_kernarg_segment_ptr 1
		.amdhsa_user_sgpr_dispatch_id 0
		.amdhsa_user_sgpr_flat_scratch_init 0
		.amdhsa_user_sgpr_kernarg_preload_length 0
		.amdhsa_user_sgpr_kernarg_preload_offset 0
		.amdhsa_user_sgpr_private_segment_size 0
		.amdhsa_uses_dynamic_stack 0
		.amdhsa_system_sgpr_private_segment_wavefront_offset 0
		.amdhsa_system_sgpr_workgroup_id_x 1
		.amdhsa_system_sgpr_workgroup_id_y 0
		.amdhsa_system_sgpr_workgroup_id_z 0
		.amdhsa_system_sgpr_workgroup_info 0
		.amdhsa_system_vgpr_workitem_id 0
		.amdhsa_next_free_vgpr 1
		.amdhsa_next_free_sgpr 0
		.amdhsa_accum_offset 4
		.amdhsa_reserve_vcc 0
		.amdhsa_reserve_flat_scratch 0
		.amdhsa_float_round_mode_32 0
		.amdhsa_float_round_mode_16_64 0
		.amdhsa_float_denorm_mode_32 3
		.amdhsa_float_denorm_mode_16_64 3
		.amdhsa_dx10_clamp 1
		.amdhsa_ieee_mode 1
		.amdhsa_fp16_overflow 0
		.amdhsa_tg_split 0
		.amdhsa_exception_fp_ieee_invalid_op 0
		.amdhsa_exception_fp_denorm_src 0
		.amdhsa_exception_fp_ieee_div_zero 0
		.amdhsa_exception_fp_ieee_overflow 0
		.amdhsa_exception_fp_ieee_underflow 0
		.amdhsa_exception_fp_ieee_inexact 0
		.amdhsa_exception_int_div_zero 0
	.end_amdhsa_kernel
	.section	.text._ZN7rocprim17ROCPRIM_400000_NS6detail17trampoline_kernelINS0_14default_configENS1_20scan_config_selectorI11FixedVectorIiLj1EEEEZZNS1_9scan_implILNS1_25lookback_scan_determinismE0ELb1ELb1ES3_N6thrust23THRUST_200600_302600_NS6detail15normal_iteratorINSB_10device_ptrIS6_EEEESG_S6_NSB_4plusIvEES6_EEDaPvRmT3_T4_T5_mT6_P12ihipStream_tbENKUlT_T0_E_clISt17integral_constantIbLb1EESV_IbLb0EEEEDaSR_SS_EUlSR_E_NS1_11comp_targetILNS1_3genE0ELNS1_11target_archE4294967295ELNS1_3gpuE0ELNS1_3repE0EEENS1_30default_config_static_selectorELNS0_4arch9wavefront6targetE1EEEvT1_,"axG",@progbits,_ZN7rocprim17ROCPRIM_400000_NS6detail17trampoline_kernelINS0_14default_configENS1_20scan_config_selectorI11FixedVectorIiLj1EEEEZZNS1_9scan_implILNS1_25lookback_scan_determinismE0ELb1ELb1ES3_N6thrust23THRUST_200600_302600_NS6detail15normal_iteratorINSB_10device_ptrIS6_EEEESG_S6_NSB_4plusIvEES6_EEDaPvRmT3_T4_T5_mT6_P12ihipStream_tbENKUlT_T0_E_clISt17integral_constantIbLb1EESV_IbLb0EEEEDaSR_SS_EUlSR_E_NS1_11comp_targetILNS1_3genE0ELNS1_11target_archE4294967295ELNS1_3gpuE0ELNS1_3repE0EEENS1_30default_config_static_selectorELNS0_4arch9wavefront6targetE1EEEvT1_,comdat
.Lfunc_end6498:
	.size	_ZN7rocprim17ROCPRIM_400000_NS6detail17trampoline_kernelINS0_14default_configENS1_20scan_config_selectorI11FixedVectorIiLj1EEEEZZNS1_9scan_implILNS1_25lookback_scan_determinismE0ELb1ELb1ES3_N6thrust23THRUST_200600_302600_NS6detail15normal_iteratorINSB_10device_ptrIS6_EEEESG_S6_NSB_4plusIvEES6_EEDaPvRmT3_T4_T5_mT6_P12ihipStream_tbENKUlT_T0_E_clISt17integral_constantIbLb1EESV_IbLb0EEEEDaSR_SS_EUlSR_E_NS1_11comp_targetILNS1_3genE0ELNS1_11target_archE4294967295ELNS1_3gpuE0ELNS1_3repE0EEENS1_30default_config_static_selectorELNS0_4arch9wavefront6targetE1EEEvT1_, .Lfunc_end6498-_ZN7rocprim17ROCPRIM_400000_NS6detail17trampoline_kernelINS0_14default_configENS1_20scan_config_selectorI11FixedVectorIiLj1EEEEZZNS1_9scan_implILNS1_25lookback_scan_determinismE0ELb1ELb1ES3_N6thrust23THRUST_200600_302600_NS6detail15normal_iteratorINSB_10device_ptrIS6_EEEESG_S6_NSB_4plusIvEES6_EEDaPvRmT3_T4_T5_mT6_P12ihipStream_tbENKUlT_T0_E_clISt17integral_constantIbLb1EESV_IbLb0EEEEDaSR_SS_EUlSR_E_NS1_11comp_targetILNS1_3genE0ELNS1_11target_archE4294967295ELNS1_3gpuE0ELNS1_3repE0EEENS1_30default_config_static_selectorELNS0_4arch9wavefront6targetE1EEEvT1_
                                        ; -- End function
	.section	.AMDGPU.csdata,"",@progbits
; Kernel info:
; codeLenInByte = 0
; NumSgprs: 4
; NumVgprs: 0
; NumAgprs: 0
; TotalNumVgprs: 0
; ScratchSize: 0
; MemoryBound: 0
; FloatMode: 240
; IeeeMode: 1
; LDSByteSize: 0 bytes/workgroup (compile time only)
; SGPRBlocks: 0
; VGPRBlocks: 0
; NumSGPRsForWavesPerEU: 4
; NumVGPRsForWavesPerEU: 1
; AccumOffset: 4
; Occupancy: 8
; WaveLimiterHint : 0
; COMPUTE_PGM_RSRC2:SCRATCH_EN: 0
; COMPUTE_PGM_RSRC2:USER_SGPR: 6
; COMPUTE_PGM_RSRC2:TRAP_HANDLER: 0
; COMPUTE_PGM_RSRC2:TGID_X_EN: 1
; COMPUTE_PGM_RSRC2:TGID_Y_EN: 0
; COMPUTE_PGM_RSRC2:TGID_Z_EN: 0
; COMPUTE_PGM_RSRC2:TIDIG_COMP_CNT: 0
; COMPUTE_PGM_RSRC3_GFX90A:ACCUM_OFFSET: 0
; COMPUTE_PGM_RSRC3_GFX90A:TG_SPLIT: 0
	.section	.text._ZN7rocprim17ROCPRIM_400000_NS6detail17trampoline_kernelINS0_14default_configENS1_20scan_config_selectorI11FixedVectorIiLj1EEEEZZNS1_9scan_implILNS1_25lookback_scan_determinismE0ELb1ELb1ES3_N6thrust23THRUST_200600_302600_NS6detail15normal_iteratorINSB_10device_ptrIS6_EEEESG_S6_NSB_4plusIvEES6_EEDaPvRmT3_T4_T5_mT6_P12ihipStream_tbENKUlT_T0_E_clISt17integral_constantIbLb1EESV_IbLb0EEEEDaSR_SS_EUlSR_E_NS1_11comp_targetILNS1_3genE5ELNS1_11target_archE942ELNS1_3gpuE9ELNS1_3repE0EEENS1_30default_config_static_selectorELNS0_4arch9wavefront6targetE1EEEvT1_,"axG",@progbits,_ZN7rocprim17ROCPRIM_400000_NS6detail17trampoline_kernelINS0_14default_configENS1_20scan_config_selectorI11FixedVectorIiLj1EEEEZZNS1_9scan_implILNS1_25lookback_scan_determinismE0ELb1ELb1ES3_N6thrust23THRUST_200600_302600_NS6detail15normal_iteratorINSB_10device_ptrIS6_EEEESG_S6_NSB_4plusIvEES6_EEDaPvRmT3_T4_T5_mT6_P12ihipStream_tbENKUlT_T0_E_clISt17integral_constantIbLb1EESV_IbLb0EEEEDaSR_SS_EUlSR_E_NS1_11comp_targetILNS1_3genE5ELNS1_11target_archE942ELNS1_3gpuE9ELNS1_3repE0EEENS1_30default_config_static_selectorELNS0_4arch9wavefront6targetE1EEEvT1_,comdat
	.protected	_ZN7rocprim17ROCPRIM_400000_NS6detail17trampoline_kernelINS0_14default_configENS1_20scan_config_selectorI11FixedVectorIiLj1EEEEZZNS1_9scan_implILNS1_25lookback_scan_determinismE0ELb1ELb1ES3_N6thrust23THRUST_200600_302600_NS6detail15normal_iteratorINSB_10device_ptrIS6_EEEESG_S6_NSB_4plusIvEES6_EEDaPvRmT3_T4_T5_mT6_P12ihipStream_tbENKUlT_T0_E_clISt17integral_constantIbLb1EESV_IbLb0EEEEDaSR_SS_EUlSR_E_NS1_11comp_targetILNS1_3genE5ELNS1_11target_archE942ELNS1_3gpuE9ELNS1_3repE0EEENS1_30default_config_static_selectorELNS0_4arch9wavefront6targetE1EEEvT1_ ; -- Begin function _ZN7rocprim17ROCPRIM_400000_NS6detail17trampoline_kernelINS0_14default_configENS1_20scan_config_selectorI11FixedVectorIiLj1EEEEZZNS1_9scan_implILNS1_25lookback_scan_determinismE0ELb1ELb1ES3_N6thrust23THRUST_200600_302600_NS6detail15normal_iteratorINSB_10device_ptrIS6_EEEESG_S6_NSB_4plusIvEES6_EEDaPvRmT3_T4_T5_mT6_P12ihipStream_tbENKUlT_T0_E_clISt17integral_constantIbLb1EESV_IbLb0EEEEDaSR_SS_EUlSR_E_NS1_11comp_targetILNS1_3genE5ELNS1_11target_archE942ELNS1_3gpuE9ELNS1_3repE0EEENS1_30default_config_static_selectorELNS0_4arch9wavefront6targetE1EEEvT1_
	.globl	_ZN7rocprim17ROCPRIM_400000_NS6detail17trampoline_kernelINS0_14default_configENS1_20scan_config_selectorI11FixedVectorIiLj1EEEEZZNS1_9scan_implILNS1_25lookback_scan_determinismE0ELb1ELb1ES3_N6thrust23THRUST_200600_302600_NS6detail15normal_iteratorINSB_10device_ptrIS6_EEEESG_S6_NSB_4plusIvEES6_EEDaPvRmT3_T4_T5_mT6_P12ihipStream_tbENKUlT_T0_E_clISt17integral_constantIbLb1EESV_IbLb0EEEEDaSR_SS_EUlSR_E_NS1_11comp_targetILNS1_3genE5ELNS1_11target_archE942ELNS1_3gpuE9ELNS1_3repE0EEENS1_30default_config_static_selectorELNS0_4arch9wavefront6targetE1EEEvT1_
	.p2align	8
	.type	_ZN7rocprim17ROCPRIM_400000_NS6detail17trampoline_kernelINS0_14default_configENS1_20scan_config_selectorI11FixedVectorIiLj1EEEEZZNS1_9scan_implILNS1_25lookback_scan_determinismE0ELb1ELb1ES3_N6thrust23THRUST_200600_302600_NS6detail15normal_iteratorINSB_10device_ptrIS6_EEEESG_S6_NSB_4plusIvEES6_EEDaPvRmT3_T4_T5_mT6_P12ihipStream_tbENKUlT_T0_E_clISt17integral_constantIbLb1EESV_IbLb0EEEEDaSR_SS_EUlSR_E_NS1_11comp_targetILNS1_3genE5ELNS1_11target_archE942ELNS1_3gpuE9ELNS1_3repE0EEENS1_30default_config_static_selectorELNS0_4arch9wavefront6targetE1EEEvT1_,@function
_ZN7rocprim17ROCPRIM_400000_NS6detail17trampoline_kernelINS0_14default_configENS1_20scan_config_selectorI11FixedVectorIiLj1EEEEZZNS1_9scan_implILNS1_25lookback_scan_determinismE0ELb1ELb1ES3_N6thrust23THRUST_200600_302600_NS6detail15normal_iteratorINSB_10device_ptrIS6_EEEESG_S6_NSB_4plusIvEES6_EEDaPvRmT3_T4_T5_mT6_P12ihipStream_tbENKUlT_T0_E_clISt17integral_constantIbLb1EESV_IbLb0EEEEDaSR_SS_EUlSR_E_NS1_11comp_targetILNS1_3genE5ELNS1_11target_archE942ELNS1_3gpuE9ELNS1_3repE0EEENS1_30default_config_static_selectorELNS0_4arch9wavefront6targetE1EEEvT1_: ; @_ZN7rocprim17ROCPRIM_400000_NS6detail17trampoline_kernelINS0_14default_configENS1_20scan_config_selectorI11FixedVectorIiLj1EEEEZZNS1_9scan_implILNS1_25lookback_scan_determinismE0ELb1ELb1ES3_N6thrust23THRUST_200600_302600_NS6detail15normal_iteratorINSB_10device_ptrIS6_EEEESG_S6_NSB_4plusIvEES6_EEDaPvRmT3_T4_T5_mT6_P12ihipStream_tbENKUlT_T0_E_clISt17integral_constantIbLb1EESV_IbLb0EEEEDaSR_SS_EUlSR_E_NS1_11comp_targetILNS1_3genE5ELNS1_11target_archE942ELNS1_3gpuE9ELNS1_3repE0EEENS1_30default_config_static_selectorELNS0_4arch9wavefront6targetE1EEEvT1_
; %bb.0:
	.section	.rodata,"a",@progbits
	.p2align	6, 0x0
	.amdhsa_kernel _ZN7rocprim17ROCPRIM_400000_NS6detail17trampoline_kernelINS0_14default_configENS1_20scan_config_selectorI11FixedVectorIiLj1EEEEZZNS1_9scan_implILNS1_25lookback_scan_determinismE0ELb1ELb1ES3_N6thrust23THRUST_200600_302600_NS6detail15normal_iteratorINSB_10device_ptrIS6_EEEESG_S6_NSB_4plusIvEES6_EEDaPvRmT3_T4_T5_mT6_P12ihipStream_tbENKUlT_T0_E_clISt17integral_constantIbLb1EESV_IbLb0EEEEDaSR_SS_EUlSR_E_NS1_11comp_targetILNS1_3genE5ELNS1_11target_archE942ELNS1_3gpuE9ELNS1_3repE0EEENS1_30default_config_static_selectorELNS0_4arch9wavefront6targetE1EEEvT1_
		.amdhsa_group_segment_fixed_size 0
		.amdhsa_private_segment_fixed_size 0
		.amdhsa_kernarg_size 96
		.amdhsa_user_sgpr_count 6
		.amdhsa_user_sgpr_private_segment_buffer 1
		.amdhsa_user_sgpr_dispatch_ptr 0
		.amdhsa_user_sgpr_queue_ptr 0
		.amdhsa_user_sgpr_kernarg_segment_ptr 1
		.amdhsa_user_sgpr_dispatch_id 0
		.amdhsa_user_sgpr_flat_scratch_init 0
		.amdhsa_user_sgpr_kernarg_preload_length 0
		.amdhsa_user_sgpr_kernarg_preload_offset 0
		.amdhsa_user_sgpr_private_segment_size 0
		.amdhsa_uses_dynamic_stack 0
		.amdhsa_system_sgpr_private_segment_wavefront_offset 0
		.amdhsa_system_sgpr_workgroup_id_x 1
		.amdhsa_system_sgpr_workgroup_id_y 0
		.amdhsa_system_sgpr_workgroup_id_z 0
		.amdhsa_system_sgpr_workgroup_info 0
		.amdhsa_system_vgpr_workitem_id 0
		.amdhsa_next_free_vgpr 1
		.amdhsa_next_free_sgpr 0
		.amdhsa_accum_offset 4
		.amdhsa_reserve_vcc 0
		.amdhsa_reserve_flat_scratch 0
		.amdhsa_float_round_mode_32 0
		.amdhsa_float_round_mode_16_64 0
		.amdhsa_float_denorm_mode_32 3
		.amdhsa_float_denorm_mode_16_64 3
		.amdhsa_dx10_clamp 1
		.amdhsa_ieee_mode 1
		.amdhsa_fp16_overflow 0
		.amdhsa_tg_split 0
		.amdhsa_exception_fp_ieee_invalid_op 0
		.amdhsa_exception_fp_denorm_src 0
		.amdhsa_exception_fp_ieee_div_zero 0
		.amdhsa_exception_fp_ieee_overflow 0
		.amdhsa_exception_fp_ieee_underflow 0
		.amdhsa_exception_fp_ieee_inexact 0
		.amdhsa_exception_int_div_zero 0
	.end_amdhsa_kernel
	.section	.text._ZN7rocprim17ROCPRIM_400000_NS6detail17trampoline_kernelINS0_14default_configENS1_20scan_config_selectorI11FixedVectorIiLj1EEEEZZNS1_9scan_implILNS1_25lookback_scan_determinismE0ELb1ELb1ES3_N6thrust23THRUST_200600_302600_NS6detail15normal_iteratorINSB_10device_ptrIS6_EEEESG_S6_NSB_4plusIvEES6_EEDaPvRmT3_T4_T5_mT6_P12ihipStream_tbENKUlT_T0_E_clISt17integral_constantIbLb1EESV_IbLb0EEEEDaSR_SS_EUlSR_E_NS1_11comp_targetILNS1_3genE5ELNS1_11target_archE942ELNS1_3gpuE9ELNS1_3repE0EEENS1_30default_config_static_selectorELNS0_4arch9wavefront6targetE1EEEvT1_,"axG",@progbits,_ZN7rocprim17ROCPRIM_400000_NS6detail17trampoline_kernelINS0_14default_configENS1_20scan_config_selectorI11FixedVectorIiLj1EEEEZZNS1_9scan_implILNS1_25lookback_scan_determinismE0ELb1ELb1ES3_N6thrust23THRUST_200600_302600_NS6detail15normal_iteratorINSB_10device_ptrIS6_EEEESG_S6_NSB_4plusIvEES6_EEDaPvRmT3_T4_T5_mT6_P12ihipStream_tbENKUlT_T0_E_clISt17integral_constantIbLb1EESV_IbLb0EEEEDaSR_SS_EUlSR_E_NS1_11comp_targetILNS1_3genE5ELNS1_11target_archE942ELNS1_3gpuE9ELNS1_3repE0EEENS1_30default_config_static_selectorELNS0_4arch9wavefront6targetE1EEEvT1_,comdat
.Lfunc_end6499:
	.size	_ZN7rocprim17ROCPRIM_400000_NS6detail17trampoline_kernelINS0_14default_configENS1_20scan_config_selectorI11FixedVectorIiLj1EEEEZZNS1_9scan_implILNS1_25lookback_scan_determinismE0ELb1ELb1ES3_N6thrust23THRUST_200600_302600_NS6detail15normal_iteratorINSB_10device_ptrIS6_EEEESG_S6_NSB_4plusIvEES6_EEDaPvRmT3_T4_T5_mT6_P12ihipStream_tbENKUlT_T0_E_clISt17integral_constantIbLb1EESV_IbLb0EEEEDaSR_SS_EUlSR_E_NS1_11comp_targetILNS1_3genE5ELNS1_11target_archE942ELNS1_3gpuE9ELNS1_3repE0EEENS1_30default_config_static_selectorELNS0_4arch9wavefront6targetE1EEEvT1_, .Lfunc_end6499-_ZN7rocprim17ROCPRIM_400000_NS6detail17trampoline_kernelINS0_14default_configENS1_20scan_config_selectorI11FixedVectorIiLj1EEEEZZNS1_9scan_implILNS1_25lookback_scan_determinismE0ELb1ELb1ES3_N6thrust23THRUST_200600_302600_NS6detail15normal_iteratorINSB_10device_ptrIS6_EEEESG_S6_NSB_4plusIvEES6_EEDaPvRmT3_T4_T5_mT6_P12ihipStream_tbENKUlT_T0_E_clISt17integral_constantIbLb1EESV_IbLb0EEEEDaSR_SS_EUlSR_E_NS1_11comp_targetILNS1_3genE5ELNS1_11target_archE942ELNS1_3gpuE9ELNS1_3repE0EEENS1_30default_config_static_selectorELNS0_4arch9wavefront6targetE1EEEvT1_
                                        ; -- End function
	.section	.AMDGPU.csdata,"",@progbits
; Kernel info:
; codeLenInByte = 0
; NumSgprs: 4
; NumVgprs: 0
; NumAgprs: 0
; TotalNumVgprs: 0
; ScratchSize: 0
; MemoryBound: 0
; FloatMode: 240
; IeeeMode: 1
; LDSByteSize: 0 bytes/workgroup (compile time only)
; SGPRBlocks: 0
; VGPRBlocks: 0
; NumSGPRsForWavesPerEU: 4
; NumVGPRsForWavesPerEU: 1
; AccumOffset: 4
; Occupancy: 8
; WaveLimiterHint : 0
; COMPUTE_PGM_RSRC2:SCRATCH_EN: 0
; COMPUTE_PGM_RSRC2:USER_SGPR: 6
; COMPUTE_PGM_RSRC2:TRAP_HANDLER: 0
; COMPUTE_PGM_RSRC2:TGID_X_EN: 1
; COMPUTE_PGM_RSRC2:TGID_Y_EN: 0
; COMPUTE_PGM_RSRC2:TGID_Z_EN: 0
; COMPUTE_PGM_RSRC2:TIDIG_COMP_CNT: 0
; COMPUTE_PGM_RSRC3_GFX90A:ACCUM_OFFSET: 0
; COMPUTE_PGM_RSRC3_GFX90A:TG_SPLIT: 0
	.section	.text._ZN7rocprim17ROCPRIM_400000_NS6detail17trampoline_kernelINS0_14default_configENS1_20scan_config_selectorI11FixedVectorIiLj1EEEEZZNS1_9scan_implILNS1_25lookback_scan_determinismE0ELb1ELb1ES3_N6thrust23THRUST_200600_302600_NS6detail15normal_iteratorINSB_10device_ptrIS6_EEEESG_S6_NSB_4plusIvEES6_EEDaPvRmT3_T4_T5_mT6_P12ihipStream_tbENKUlT_T0_E_clISt17integral_constantIbLb1EESV_IbLb0EEEEDaSR_SS_EUlSR_E_NS1_11comp_targetILNS1_3genE4ELNS1_11target_archE910ELNS1_3gpuE8ELNS1_3repE0EEENS1_30default_config_static_selectorELNS0_4arch9wavefront6targetE1EEEvT1_,"axG",@progbits,_ZN7rocprim17ROCPRIM_400000_NS6detail17trampoline_kernelINS0_14default_configENS1_20scan_config_selectorI11FixedVectorIiLj1EEEEZZNS1_9scan_implILNS1_25lookback_scan_determinismE0ELb1ELb1ES3_N6thrust23THRUST_200600_302600_NS6detail15normal_iteratorINSB_10device_ptrIS6_EEEESG_S6_NSB_4plusIvEES6_EEDaPvRmT3_T4_T5_mT6_P12ihipStream_tbENKUlT_T0_E_clISt17integral_constantIbLb1EESV_IbLb0EEEEDaSR_SS_EUlSR_E_NS1_11comp_targetILNS1_3genE4ELNS1_11target_archE910ELNS1_3gpuE8ELNS1_3repE0EEENS1_30default_config_static_selectorELNS0_4arch9wavefront6targetE1EEEvT1_,comdat
	.protected	_ZN7rocprim17ROCPRIM_400000_NS6detail17trampoline_kernelINS0_14default_configENS1_20scan_config_selectorI11FixedVectorIiLj1EEEEZZNS1_9scan_implILNS1_25lookback_scan_determinismE0ELb1ELb1ES3_N6thrust23THRUST_200600_302600_NS6detail15normal_iteratorINSB_10device_ptrIS6_EEEESG_S6_NSB_4plusIvEES6_EEDaPvRmT3_T4_T5_mT6_P12ihipStream_tbENKUlT_T0_E_clISt17integral_constantIbLb1EESV_IbLb0EEEEDaSR_SS_EUlSR_E_NS1_11comp_targetILNS1_3genE4ELNS1_11target_archE910ELNS1_3gpuE8ELNS1_3repE0EEENS1_30default_config_static_selectorELNS0_4arch9wavefront6targetE1EEEvT1_ ; -- Begin function _ZN7rocprim17ROCPRIM_400000_NS6detail17trampoline_kernelINS0_14default_configENS1_20scan_config_selectorI11FixedVectorIiLj1EEEEZZNS1_9scan_implILNS1_25lookback_scan_determinismE0ELb1ELb1ES3_N6thrust23THRUST_200600_302600_NS6detail15normal_iteratorINSB_10device_ptrIS6_EEEESG_S6_NSB_4plusIvEES6_EEDaPvRmT3_T4_T5_mT6_P12ihipStream_tbENKUlT_T0_E_clISt17integral_constantIbLb1EESV_IbLb0EEEEDaSR_SS_EUlSR_E_NS1_11comp_targetILNS1_3genE4ELNS1_11target_archE910ELNS1_3gpuE8ELNS1_3repE0EEENS1_30default_config_static_selectorELNS0_4arch9wavefront6targetE1EEEvT1_
	.globl	_ZN7rocprim17ROCPRIM_400000_NS6detail17trampoline_kernelINS0_14default_configENS1_20scan_config_selectorI11FixedVectorIiLj1EEEEZZNS1_9scan_implILNS1_25lookback_scan_determinismE0ELb1ELb1ES3_N6thrust23THRUST_200600_302600_NS6detail15normal_iteratorINSB_10device_ptrIS6_EEEESG_S6_NSB_4plusIvEES6_EEDaPvRmT3_T4_T5_mT6_P12ihipStream_tbENKUlT_T0_E_clISt17integral_constantIbLb1EESV_IbLb0EEEEDaSR_SS_EUlSR_E_NS1_11comp_targetILNS1_3genE4ELNS1_11target_archE910ELNS1_3gpuE8ELNS1_3repE0EEENS1_30default_config_static_selectorELNS0_4arch9wavefront6targetE1EEEvT1_
	.p2align	8
	.type	_ZN7rocprim17ROCPRIM_400000_NS6detail17trampoline_kernelINS0_14default_configENS1_20scan_config_selectorI11FixedVectorIiLj1EEEEZZNS1_9scan_implILNS1_25lookback_scan_determinismE0ELb1ELb1ES3_N6thrust23THRUST_200600_302600_NS6detail15normal_iteratorINSB_10device_ptrIS6_EEEESG_S6_NSB_4plusIvEES6_EEDaPvRmT3_T4_T5_mT6_P12ihipStream_tbENKUlT_T0_E_clISt17integral_constantIbLb1EESV_IbLb0EEEEDaSR_SS_EUlSR_E_NS1_11comp_targetILNS1_3genE4ELNS1_11target_archE910ELNS1_3gpuE8ELNS1_3repE0EEENS1_30default_config_static_selectorELNS0_4arch9wavefront6targetE1EEEvT1_,@function
_ZN7rocprim17ROCPRIM_400000_NS6detail17trampoline_kernelINS0_14default_configENS1_20scan_config_selectorI11FixedVectorIiLj1EEEEZZNS1_9scan_implILNS1_25lookback_scan_determinismE0ELb1ELb1ES3_N6thrust23THRUST_200600_302600_NS6detail15normal_iteratorINSB_10device_ptrIS6_EEEESG_S6_NSB_4plusIvEES6_EEDaPvRmT3_T4_T5_mT6_P12ihipStream_tbENKUlT_T0_E_clISt17integral_constantIbLb1EESV_IbLb0EEEEDaSR_SS_EUlSR_E_NS1_11comp_targetILNS1_3genE4ELNS1_11target_archE910ELNS1_3gpuE8ELNS1_3repE0EEENS1_30default_config_static_selectorELNS0_4arch9wavefront6targetE1EEEvT1_: ; @_ZN7rocprim17ROCPRIM_400000_NS6detail17trampoline_kernelINS0_14default_configENS1_20scan_config_selectorI11FixedVectorIiLj1EEEEZZNS1_9scan_implILNS1_25lookback_scan_determinismE0ELb1ELb1ES3_N6thrust23THRUST_200600_302600_NS6detail15normal_iteratorINSB_10device_ptrIS6_EEEESG_S6_NSB_4plusIvEES6_EEDaPvRmT3_T4_T5_mT6_P12ihipStream_tbENKUlT_T0_E_clISt17integral_constantIbLb1EESV_IbLb0EEEEDaSR_SS_EUlSR_E_NS1_11comp_targetILNS1_3genE4ELNS1_11target_archE910ELNS1_3gpuE8ELNS1_3repE0EEENS1_30default_config_static_selectorELNS0_4arch9wavefront6targetE1EEEvT1_
; %bb.0:
	s_load_dwordx8 s[8:15], s[4:5], 0x0
	s_load_dword s0, s[4:5], 0x30
	s_mov_b32 s1, 0
	v_lshlrev_b32_e32 v22, 2, v0
	s_waitcnt lgkmcnt(0)
	s_lshl_b64 s[24:25], s[10:11], 2
	s_add_u32 s27, s8, s24
	s_addc_u32 s28, s9, s25
	s_add_i32 s2, s0, -1
	s_mul_i32 s3, s2, 0x500
	s_sub_u32 s7, s14, s3
	s_subb_u32 s26, s15, 0
	s_mul_i32 s0, s6, 0x500
	s_cmp_lg_u32 s6, s2
	s_cselect_b64 s[8:9], -1, 0
	s_lshl_b64 s[10:11], s[0:1], 2
	s_add_u32 s2, s27, s10
	s_addc_u32 s3, s28, s11
	s_mov_b64 s[0:1], -1
	s_and_b64 vcc, exec, s[8:9]
	s_cbranch_vccz .LBB6500_2
; %bb.1:
	v_mov_b32_e32 v1, s3
	v_add_co_u32_e32 v2, vcc, s2, v22
	v_addc_co_u32_e32 v3, vcc, 0, v1, vcc
	flat_load_dword v1, v[2:3]
	flat_load_dword v4, v[2:3] offset:512
	flat_load_dword v5, v[2:3] offset:1024
	flat_load_dword v6, v[2:3] offset:1536
	flat_load_dword v7, v[2:3] offset:2048
	flat_load_dword v8, v[2:3] offset:2560
	flat_load_dword v9, v[2:3] offset:3072
	flat_load_dword v10, v[2:3] offset:3584
	v_add_co_u32_e32 v2, vcc, 0x1000, v2
	v_addc_co_u32_e32 v3, vcc, 0, v3, vcc
	flat_load_dword v11, v[2:3]
	flat_load_dword v12, v[2:3] offset:512
	s_mov_b64 s[0:1], 0
	s_waitcnt vmcnt(0) lgkmcnt(0)
	ds_write2st64_b32 v22, v1, v4 offset1:2
	ds_write2st64_b32 v22, v5, v6 offset0:4 offset1:6
	ds_write2st64_b32 v22, v7, v8 offset0:8 offset1:10
	ds_write2st64_b32 v22, v9, v10 offset0:12 offset1:14
	ds_write2st64_b32 v22, v11, v12 offset0:16 offset1:18
	s_waitcnt lgkmcnt(0)
	s_barrier
.LBB6500_2:
	s_load_dwordx2 s[14:15], s[4:5], 0x28
	s_andn2_b64 vcc, exec, s[0:1]
	v_cmp_gt_u32_e64 s[0:1], s7, v0
	s_cbranch_vccnz .LBB6500_24
; %bb.3:
	v_pk_mov_b32 v[2:3], s[2:3], s[2:3] op_sel:[0,1]
	flat_load_dword v1, v[2:3]
	s_waitcnt vmcnt(0) lgkmcnt(0)
	v_mov_b32_e32 v2, v1
	s_and_saveexec_b64 s[16:17], s[0:1]
	s_cbranch_execz .LBB6500_5
; %bb.4:
	v_mov_b32_e32 v3, s3
	v_add_co_u32_e32 v2, vcc, s2, v22
	v_addc_co_u32_e32 v3, vcc, 0, v3, vcc
	flat_load_dword v2, v[2:3]
.LBB6500_5:
	s_or_b64 exec, exec, s[16:17]
	v_or_b32_e32 v3, 0x80, v0
	v_cmp_gt_u32_e32 vcc, s7, v3
	v_mov_b32_e32 v3, v1
	s_and_saveexec_b64 s[0:1], vcc
	s_cbranch_execz .LBB6500_7
; %bb.6:
	v_mov_b32_e32 v3, s3
	v_add_co_u32_e32 v4, vcc, s2, v22
	v_addc_co_u32_e32 v5, vcc, 0, v3, vcc
	flat_load_dword v3, v[4:5] offset:512
.LBB6500_7:
	s_or_b64 exec, exec, s[0:1]
	v_or_b32_e32 v4, 0x100, v0
	v_cmp_gt_u32_e32 vcc, s7, v4
	v_mov_b32_e32 v4, v1
	s_and_saveexec_b64 s[0:1], vcc
	s_cbranch_execz .LBB6500_9
; %bb.8:
	v_mov_b32_e32 v5, s3
	v_add_co_u32_e32 v4, vcc, s2, v22
	v_addc_co_u32_e32 v5, vcc, 0, v5, vcc
	flat_load_dword v4, v[4:5] offset:1024
.LBB6500_9:
	;; [unrolled: 12-line block ×7, first 2 shown]
	s_or_b64 exec, exec, s[0:1]
	v_or_b32_e32 v11, 0x400, v0
	v_cmp_gt_u32_e32 vcc, s7, v11
	v_mov_b32_e32 v10, v1
	s_and_saveexec_b64 s[0:1], vcc
	s_cbranch_execz .LBB6500_21
; %bb.20:
	v_lshlrev_b32_e32 v10, 2, v11
	v_mov_b32_e32 v11, s3
	v_add_co_u32_e32 v10, vcc, s2, v10
	v_addc_co_u32_e32 v11, vcc, 0, v11, vcc
	flat_load_dword v10, v[10:11]
.LBB6500_21:
	s_or_b64 exec, exec, s[0:1]
	v_or_b32_e32 v11, 0x480, v0
	v_cmp_gt_u32_e32 vcc, s7, v11
	s_and_saveexec_b64 s[0:1], vcc
	s_cbranch_execz .LBB6500_23
; %bb.22:
	v_lshlrev_b32_e32 v1, 2, v11
	v_mov_b32_e32 v11, s3
	v_add_co_u32_e32 v12, vcc, s2, v1
	v_addc_co_u32_e32 v13, vcc, 0, v11, vcc
	flat_load_dword v1, v[12:13]
.LBB6500_23:
	s_or_b64 exec, exec, s[0:1]
	s_waitcnt vmcnt(0) lgkmcnt(0)
	ds_write2st64_b32 v22, v2, v3 offset1:2
	ds_write2st64_b32 v22, v4, v5 offset0:4 offset1:6
	ds_write2st64_b32 v22, v6, v7 offset0:8 offset1:10
	;; [unrolled: 1-line block ×4, first 2 shown]
	s_waitcnt lgkmcnt(0)
	s_barrier
.LBB6500_24:
	v_mul_u32_u24_e32 v23, 10, v0
	v_lshlrev_b32_e32 v1, 2, v23
	s_waitcnt lgkmcnt(0)
	ds_read2_b64 v[6:9], v1 offset1:1
	ds_read2_b64 v[2:5], v1 offset0:2 offset1:3
	ds_read_b64 v[10:11], v1 offset:32
	s_cmp_lg_u32 s6, 0
	v_lshrrev_b32_e32 v24, 5, v0
	s_waitcnt lgkmcnt(2)
	v_add_u32_e32 v12, v7, v6
	v_add3_u32 v25, v12, v8, v9
	v_cmp_gt_u32_e32 vcc, 64, v0
	s_waitcnt lgkmcnt(0)
	s_barrier
	s_cbranch_scc0 .LBB6500_53
; %bb.25:
	v_add3_u32 v12, v25, v2, v3
	v_add3_u32 v12, v12, v4, v5
	;; [unrolled: 1-line block ×3, first 2 shown]
	v_add_lshl_u32 v13, v24, v0, 2
	ds_write_b32 v13, v12
	s_waitcnt lgkmcnt(0)
	s_barrier
	s_and_saveexec_b64 s[2:3], vcc
	s_cbranch_execz .LBB6500_27
; %bb.26:
	v_lshlrev_b32_e32 v13, 1, v0
	v_lshrrev_b32_e32 v14, 4, v0
	v_add_lshl_u32 v13, v14, v13, 2
	ds_read2_b32 v[14:15], v13 offset1:1
	v_mbcnt_lo_u32_b32 v16, -1, 0
	v_mbcnt_hi_u32_b32 v16, -1, v16
	v_and_b32_e32 v17, 15, v16
	v_cmp_ne_u32_e64 s[0:1], 0, v17
	s_waitcnt lgkmcnt(0)
	v_add_u32_e32 v15, v15, v14
	; wave barrier
	s_nop 1
	v_mov_b32_dpp v18, v15 row_shr:1 row_mask:0xf bank_mask:0xf
	v_cndmask_b32_e64 v18, 0, v18, s[0:1]
	v_add_u32_e32 v15, v18, v15
	v_cmp_lt_u32_e64 s[0:1], 1, v17
	s_nop 0
	v_mov_b32_dpp v18, v15 row_shr:2 row_mask:0xf bank_mask:0xf
	v_cndmask_b32_e64 v18, 0, v18, s[0:1]
	v_add_u32_e32 v15, v15, v18
	v_cmp_lt_u32_e64 s[0:1], 3, v17
	s_nop 0
	v_mov_b32_dpp v18, v15 row_shr:4 row_mask:0xf bank_mask:0xf
	v_cndmask_b32_e64 v18, 0, v18, s[0:1]
	v_add_u32_e32 v15, v15, v18
	v_cmp_lt_u32_e64 s[0:1], 7, v17
	s_nop 0
	v_mov_b32_dpp v18, v15 row_shr:8 row_mask:0xf bank_mask:0xf
	v_cndmask_b32_e64 v17, 0, v18, s[0:1]
	v_add_u32_e32 v15, v15, v17
	v_bfe_i32 v18, v16, 4, 1
	v_cmp_lt_u32_e64 s[0:1], 31, v16
	v_mov_b32_dpp v17, v15 row_bcast:15 row_mask:0xf bank_mask:0xf
	v_and_b32_e32 v17, v18, v17
	v_add_u32_e32 v15, v15, v17
	v_and_b32_e32 v18, 64, v16
	s_nop 0
	v_mov_b32_dpp v17, v15 row_bcast:31 row_mask:0xf bank_mask:0xf
	v_cndmask_b32_e64 v17, 0, v17, s[0:1]
	v_add_u32_e32 v15, v15, v17
	v_add_u32_e32 v17, -1, v16
	v_cmp_lt_i32_e64 s[0:1], v17, v18
	v_cndmask_b32_e64 v16, v17, v16, s[0:1]
	v_lshlrev_b32_e32 v16, 2, v16
	ds_bpermute_b32 v15, v16, v15
	v_cmp_eq_u32_e64 s[0:1], 0, v0
	s_waitcnt lgkmcnt(0)
	v_add_u32_e32 v14, v15, v14
	v_cndmask_b32_e64 v12, v14, v12, s[0:1]
	ds_write_b32 v13, v12
	; wave barrier
	ds_read_b32 v14, v13 offset:4
	s_waitcnt lgkmcnt(0)
	v_add_u32_e32 v12, v14, v12
	ds_write_b32 v13, v12 offset:4
.LBB6500_27:
	s_or_b64 exec, exec, s[2:3]
	v_cmp_eq_u32_e64 s[0:1], 0, v0
	v_cmp_ne_u32_e64 s[2:3], 0, v0
	v_mov_b32_e32 v26, 0
	s_waitcnt lgkmcnt(0)
	s_barrier
	s_and_saveexec_b64 s[16:17], s[2:3]
	s_cbranch_execz .LBB6500_29
; %bb.28:
	v_add_u32_e32 v12, -1, v0
	v_lshrrev_b32_e32 v13, 5, v12
	v_add_lshl_u32 v12, v13, v12, 2
	ds_read_b32 v26, v12
.LBB6500_29:
	s_or_b64 exec, exec, s[16:17]
	s_and_saveexec_b64 s[16:17], vcc
	s_cbranch_execz .LBB6500_52
; %bb.30:
	v_mov_b32_e32 v21, 0
	ds_read_b32 v12, v21 offset:520
	v_mbcnt_lo_u32_b32 v13, -1, 0
	v_mbcnt_hi_u32_b32 v15, -1, v13
	s_mov_b32 s21, 0
	v_cmp_eq_u32_e64 s[2:3], 0, v15
	s_and_saveexec_b64 s[18:19], s[2:3]
	s_cbranch_execz .LBB6500_32
; %bb.31:
	s_add_i32 s20, s6, 64
	s_lshl_b64 s[20:21], s[20:21], 3
	s_add_u32 s20, s14, s20
	v_mov_b32_e32 v13, 1
	s_addc_u32 s21, s15, s21
	s_waitcnt lgkmcnt(0)
	global_store_dwordx2 v21, v[12:13], s[20:21]
.LBB6500_32:
	s_or_b64 exec, exec, s[18:19]
	v_xad_u32 v14, v15, -1, s6
	v_add_u32_e32 v20, 64, v14
	v_lshlrev_b64 v[16:17], 3, v[20:21]
	v_mov_b32_e32 v13, s15
	v_add_co_u32_e32 v16, vcc, s14, v16
	v_addc_co_u32_e32 v17, vcc, v13, v17, vcc
	global_load_dwordx2 v[18:19], v[16:17], off glc
	s_waitcnt vmcnt(0)
	v_cmp_eq_u16_sdwa s[20:21], v19, v21 src0_sel:BYTE_0 src1_sel:DWORD
	s_and_saveexec_b64 s[18:19], s[20:21]
	s_cbranch_execz .LBB6500_38
; %bb.33:
	s_mov_b32 s22, 1
	s_mov_b64 s[20:21], 0
	v_mov_b32_e32 v13, 0
.LBB6500_34:                            ; =>This Loop Header: Depth=1
                                        ;     Child Loop BB6500_35 Depth 2
	s_max_u32 s23, s22, 1
.LBB6500_35:                            ;   Parent Loop BB6500_34 Depth=1
                                        ; =>  This Inner Loop Header: Depth=2
	s_add_i32 s23, s23, -1
	s_cmp_eq_u32 s23, 0
	s_sleep 1
	s_cbranch_scc0 .LBB6500_35
; %bb.36:                               ;   in Loop: Header=BB6500_34 Depth=1
	global_load_dwordx2 v[18:19], v[16:17], off glc
	s_cmp_lt_u32 s22, 32
	s_cselect_b64 s[30:31], -1, 0
	s_cmp_lg_u64 s[30:31], 0
	s_addc_u32 s22, s22, 0
	s_waitcnt vmcnt(0)
	v_cmp_ne_u16_sdwa s[30:31], v19, v13 src0_sel:BYTE_0 src1_sel:DWORD
	s_or_b64 s[20:21], s[30:31], s[20:21]
	s_andn2_b64 exec, exec, s[20:21]
	s_cbranch_execnz .LBB6500_34
; %bb.37:
	s_or_b64 exec, exec, s[20:21]
.LBB6500_38:
	s_or_b64 exec, exec, s[18:19]
	v_and_b32_e32 v27, 63, v15
	v_mov_b32_e32 v13, 2
	v_cmp_ne_u32_e32 vcc, 63, v27
	v_cmp_eq_u16_sdwa s[18:19], v19, v13 src0_sel:BYTE_0 src1_sel:DWORD
	v_lshlrev_b64 v[16:17], v15, -1
	v_addc_co_u32_e32 v28, vcc, 0, v15, vcc
	v_and_b32_e32 v20, s19, v17
	v_lshlrev_b32_e32 v28, 2, v28
	v_or_b32_e32 v20, 0x80000000, v20
	ds_bpermute_b32 v29, v28, v18
	v_and_b32_e32 v21, s18, v16
	v_ffbl_b32_e32 v20, v20
	v_add_u32_e32 v20, 32, v20
	v_ffbl_b32_e32 v21, v21
	v_min_u32_e32 v20, v21, v20
	v_cmp_lt_u32_e32 vcc, v27, v20
	s_waitcnt lgkmcnt(0)
	v_cndmask_b32_e32 v21, 0, v29, vcc
	v_cmp_gt_u32_e32 vcc, 62, v27
	v_add_u32_e32 v18, v21, v18
	v_cndmask_b32_e64 v21, 0, 1, vcc
	v_lshlrev_b32_e32 v21, 1, v21
	v_add_lshl_u32 v29, v21, v15, 2
	ds_bpermute_b32 v21, v29, v18
	v_add_u32_e32 v30, 2, v27
	v_cmp_le_u32_e32 vcc, v30, v20
	v_add_u32_e32 v32, 4, v27
	v_add_u32_e32 v34, 8, v27
	s_waitcnt lgkmcnt(0)
	v_cndmask_b32_e32 v21, 0, v21, vcc
	v_cmp_gt_u32_e32 vcc, 60, v27
	v_add_u32_e32 v18, v18, v21
	v_cndmask_b32_e64 v21, 0, 1, vcc
	v_lshlrev_b32_e32 v21, 2, v21
	v_add_lshl_u32 v31, v21, v15, 2
	ds_bpermute_b32 v21, v31, v18
	v_cmp_le_u32_e32 vcc, v32, v20
	v_add_u32_e32 v37, 16, v27
	v_add_u32_e32 v39, 32, v27
	s_waitcnt lgkmcnt(0)
	v_cndmask_b32_e32 v21, 0, v21, vcc
	v_cmp_gt_u32_e32 vcc, 56, v27
	v_add_u32_e32 v18, v18, v21
	v_cndmask_b32_e64 v21, 0, 1, vcc
	v_lshlrev_b32_e32 v21, 3, v21
	v_add_lshl_u32 v33, v21, v15, 2
	ds_bpermute_b32 v21, v33, v18
	v_cmp_le_u32_e32 vcc, v34, v20
	s_waitcnt lgkmcnt(0)
	v_cndmask_b32_e32 v21, 0, v21, vcc
	v_cmp_gt_u32_e32 vcc, 48, v27
	v_add_u32_e32 v18, v18, v21
	v_cndmask_b32_e64 v21, 0, 1, vcc
	v_lshlrev_b32_e32 v21, 4, v21
	v_add_lshl_u32 v36, v21, v15, 2
	ds_bpermute_b32 v21, v36, v18
	v_cmp_le_u32_e32 vcc, v37, v20
	;; [unrolled: 9-line block ×3, first 2 shown]
	s_waitcnt lgkmcnt(0)
	v_cndmask_b32_e32 v15, 0, v15, vcc
	v_add_u32_e32 v18, v18, v15
	v_mov_b32_e32 v15, 0
	s_branch .LBB6500_40
.LBB6500_39:                            ;   in Loop: Header=BB6500_40 Depth=1
	s_or_b64 exec, exec, s[18:19]
	v_cmp_eq_u16_sdwa s[18:19], v19, v13 src0_sel:BYTE_0 src1_sel:DWORD
	v_and_b32_e32 v20, s19, v17
	v_or_b32_e32 v20, 0x80000000, v20
	ds_bpermute_b32 v40, v28, v18
	v_and_b32_e32 v21, s18, v16
	v_ffbl_b32_e32 v20, v20
	v_add_u32_e32 v20, 32, v20
	v_ffbl_b32_e32 v21, v21
	v_min_u32_e32 v20, v21, v20
	v_cmp_lt_u32_e32 vcc, v27, v20
	s_waitcnt lgkmcnt(0)
	v_cndmask_b32_e32 v21, 0, v40, vcc
	v_add_u32_e32 v18, v21, v18
	ds_bpermute_b32 v21, v29, v18
	v_cmp_le_u32_e32 vcc, v30, v20
	v_subrev_u32_e32 v14, 64, v14
	s_waitcnt lgkmcnt(0)
	v_cndmask_b32_e32 v21, 0, v21, vcc
	v_add_u32_e32 v18, v18, v21
	ds_bpermute_b32 v21, v31, v18
	v_cmp_le_u32_e32 vcc, v32, v20
	s_waitcnt lgkmcnt(0)
	v_cndmask_b32_e32 v21, 0, v21, vcc
	v_add_u32_e32 v18, v18, v21
	ds_bpermute_b32 v21, v33, v18
	v_cmp_le_u32_e32 vcc, v34, v20
	s_waitcnt lgkmcnt(0)
	v_cndmask_b32_e32 v21, 0, v21, vcc
	v_add_u32_e32 v18, v18, v21
	ds_bpermute_b32 v21, v36, v18
	v_cmp_le_u32_e32 vcc, v37, v20
	s_waitcnt lgkmcnt(0)
	v_cndmask_b32_e32 v21, 0, v21, vcc
	v_add_u32_e32 v18, v18, v21
	ds_bpermute_b32 v21, v38, v18
	v_cmp_le_u32_e32 vcc, v39, v20
	s_waitcnt lgkmcnt(0)
	v_cndmask_b32_e32 v20, 0, v21, vcc
	v_add3_u32 v18, v20, v35, v18
.LBB6500_40:                            ; =>This Loop Header: Depth=1
                                        ;     Child Loop BB6500_43 Depth 2
                                        ;       Child Loop BB6500_44 Depth 3
	v_cmp_ne_u16_sdwa s[18:19], v19, v13 src0_sel:BYTE_0 src1_sel:DWORD
	v_cndmask_b32_e64 v19, 0, 1, s[18:19]
	;;#ASMSTART
	;;#ASMEND
	v_cmp_ne_u32_e32 vcc, 0, v19
	s_cmp_lg_u64 vcc, exec
	v_mov_b32_e32 v35, v18
	s_cbranch_scc1 .LBB6500_47
; %bb.41:                               ;   in Loop: Header=BB6500_40 Depth=1
	v_lshlrev_b64 v[18:19], 3, v[14:15]
	v_mov_b32_e32 v21, s15
	v_add_co_u32_e32 v20, vcc, s14, v18
	v_addc_co_u32_e32 v21, vcc, v21, v19, vcc
	global_load_dwordx2 v[18:19], v[20:21], off glc
	s_waitcnt vmcnt(0)
	v_cmp_eq_u16_sdwa s[20:21], v19, v15 src0_sel:BYTE_0 src1_sel:DWORD
	s_and_saveexec_b64 s[18:19], s[20:21]
	s_cbranch_execz .LBB6500_39
; %bb.42:                               ;   in Loop: Header=BB6500_40 Depth=1
	s_mov_b32 s22, 1
	s_mov_b64 s[20:21], 0
.LBB6500_43:                            ;   Parent Loop BB6500_40 Depth=1
                                        ; =>  This Loop Header: Depth=2
                                        ;       Child Loop BB6500_44 Depth 3
	s_max_u32 s23, s22, 1
.LBB6500_44:                            ;   Parent Loop BB6500_40 Depth=1
                                        ;     Parent Loop BB6500_43 Depth=2
                                        ; =>    This Inner Loop Header: Depth=3
	s_add_i32 s23, s23, -1
	s_cmp_eq_u32 s23, 0
	s_sleep 1
	s_cbranch_scc0 .LBB6500_44
; %bb.45:                               ;   in Loop: Header=BB6500_43 Depth=2
	global_load_dwordx2 v[18:19], v[20:21], off glc
	s_cmp_lt_u32 s22, 32
	s_cselect_b64 s[30:31], -1, 0
	s_cmp_lg_u64 s[30:31], 0
	s_addc_u32 s22, s22, 0
	s_waitcnt vmcnt(0)
	v_cmp_ne_u16_sdwa s[30:31], v19, v15 src0_sel:BYTE_0 src1_sel:DWORD
	s_or_b64 s[20:21], s[30:31], s[20:21]
	s_andn2_b64 exec, exec, s[20:21]
	s_cbranch_execnz .LBB6500_43
; %bb.46:                               ;   in Loop: Header=BB6500_40 Depth=1
	s_or_b64 exec, exec, s[20:21]
	s_branch .LBB6500_39
.LBB6500_47:                            ;   in Loop: Header=BB6500_40 Depth=1
                                        ; implicit-def: $vgpr18
                                        ; implicit-def: $vgpr19
	s_cbranch_execz .LBB6500_40
; %bb.48:
	s_and_saveexec_b64 s[18:19], s[2:3]
	s_cbranch_execz .LBB6500_50
; %bb.49:
	s_add_i32 s2, s6, 64
	s_mov_b32 s3, 0
	s_lshl_b64 s[2:3], s[2:3], 3
	s_add_u32 s2, s14, s2
	v_add_u32_e32 v12, v35, v12
	v_mov_b32_e32 v13, 2
	s_addc_u32 s3, s15, s3
	v_mov_b32_e32 v14, 0
	global_store_dwordx2 v14, v[12:13], s[2:3]
.LBB6500_50:
	s_or_b64 exec, exec, s[18:19]
	s_and_b64 exec, exec, s[0:1]
	s_cbranch_execz .LBB6500_52
; %bb.51:
	v_mov_b32_e32 v12, 0
	ds_write_b32 v12, v35
.LBB6500_52:
	s_or_b64 exec, exec, s[16:17]
	v_mov_b32_e32 v12, 0
	s_waitcnt lgkmcnt(0)
	s_barrier
	ds_read_b32 v12, v12
	s_waitcnt lgkmcnt(0)
	v_add_u32_e32 v12, v12, v26
	s_load_dwordx8 s[16:23], s[4:5], 0x38
	s_branch .LBB6500_63
.LBB6500_53:
                                        ; implicit-def: $vgpr12
	s_load_dwordx8 s[16:23], s[4:5], 0x38
	s_cbranch_execz .LBB6500_63
; %bb.54:
	s_load_dword s0, s[4:5], 0x20
	s_waitcnt lgkmcnt(0)
	s_cmp_eq_u64 s[20:21], 0
	v_mov_b32_e32 v13, s0
	s_cbranch_scc1 .LBB6500_56
; %bb.55:
	v_mov_b32_e32 v13, s28
	v_add_co_u32_e64 v12, vcc, -4, s27
	v_addc_co_u32_e32 v13, vcc, -1, v13, vcc
	v_mov_b32_e32 v14, 0
	flat_load_dword v15, v[12:13]
	global_load_dword v16, v14, s[16:17]
	s_waitcnt vmcnt(0) lgkmcnt(0)
	v_add_u32_e32 v13, v16, v15
.LBB6500_56:
	v_add3_u32 v12, v25, v2, v3
	v_add3_u32 v12, v12, v4, v5
	;; [unrolled: 1-line block ×3, first 2 shown]
	v_add_lshl_u32 v12, v24, v0, 2
	v_cmp_gt_u32_e32 vcc, 64, v0
	ds_write_b32 v12, v11
	s_waitcnt lgkmcnt(0)
	s_barrier
	s_and_saveexec_b64 s[0:1], vcc
	s_cbranch_execz .LBB6500_58
; %bb.57:
	v_lshlrev_b32_e32 v12, 1, v0
	v_lshrrev_b32_e32 v14, 4, v0
	v_add_lshl_u32 v12, v14, v12, 2
	ds_read2_b32 v[14:15], v12 offset1:1
	v_mbcnt_lo_u32_b32 v16, -1, 0
	v_mbcnt_hi_u32_b32 v16, -1, v16
	v_and_b32_e32 v17, 15, v16
	v_cmp_ne_u32_e32 vcc, 0, v17
	s_waitcnt lgkmcnt(0)
	v_add_u32_e32 v15, v15, v14
	; wave barrier
	s_nop 1
	v_mov_b32_dpp v18, v15 row_shr:1 row_mask:0xf bank_mask:0xf
	v_cndmask_b32_e32 v18, 0, v18, vcc
	v_add_u32_e32 v15, v18, v15
	v_cmp_lt_u32_e32 vcc, 1, v17
	s_nop 0
	v_mov_b32_dpp v18, v15 row_shr:2 row_mask:0xf bank_mask:0xf
	v_cndmask_b32_e32 v18, 0, v18, vcc
	v_add_u32_e32 v15, v15, v18
	v_cmp_lt_u32_e32 vcc, 3, v17
	;; [unrolled: 5-line block ×3, first 2 shown]
	s_nop 0
	v_mov_b32_dpp v18, v15 row_shr:8 row_mask:0xf bank_mask:0xf
	v_cndmask_b32_e32 v17, 0, v18, vcc
	v_add_u32_e32 v15, v15, v17
	v_bfe_i32 v18, v16, 4, 1
	v_cmp_lt_u32_e32 vcc, 31, v16
	v_mov_b32_dpp v17, v15 row_bcast:15 row_mask:0xf bank_mask:0xf
	v_and_b32_e32 v17, v18, v17
	v_add_u32_e32 v15, v15, v17
	v_and_b32_e32 v18, 64, v16
	s_nop 0
	v_mov_b32_dpp v17, v15 row_bcast:31 row_mask:0xf bank_mask:0xf
	v_cndmask_b32_e32 v17, 0, v17, vcc
	v_add_u32_e32 v15, v15, v17
	v_add_u32_e32 v17, -1, v16
	v_cmp_lt_i32_e32 vcc, v17, v18
	v_cndmask_b32_e32 v16, v17, v16, vcc
	v_lshlrev_b32_e32 v16, 2, v16
	ds_bpermute_b32 v15, v16, v15
	v_cmp_eq_u32_e32 vcc, 0, v0
	s_waitcnt lgkmcnt(0)
	v_add_u32_e32 v14, v15, v14
	v_cndmask_b32_e32 v11, v14, v11, vcc
	ds_write_b32 v12, v11
	; wave barrier
	ds_read_b32 v14, v12 offset:4
	s_waitcnt lgkmcnt(0)
	v_add_u32_e32 v11, v14, v11
	ds_write_b32 v12, v11 offset:4
.LBB6500_58:
	s_or_b64 exec, exec, s[0:1]
	v_cmp_eq_u32_e32 vcc, 0, v0
	v_cmp_ne_u32_e64 s[0:1], 0, v0
	v_mov_b32_e32 v12, v13
	s_waitcnt lgkmcnt(0)
	s_barrier
	s_and_saveexec_b64 s[2:3], s[0:1]
	s_cbranch_execz .LBB6500_60
; %bb.59:
	v_add_u32_e32 v11, -1, v0
	v_lshrrev_b32_e32 v12, 5, v11
	v_add_lshl_u32 v11, v12, v11, 2
	ds_read_b32 v11, v11
	s_waitcnt lgkmcnt(0)
	v_add_u32_e32 v12, v11, v13
.LBB6500_60:
	s_or_b64 exec, exec, s[2:3]
	s_and_saveexec_b64 s[0:1], vcc
	s_cbranch_execz .LBB6500_62
; %bb.61:
	v_mov_b32_e32 v11, 0
	ds_read_b32 v14, v11 offset:520
	v_mov_b32_e32 v15, 2
	s_waitcnt lgkmcnt(0)
	v_add_u32_e32 v14, v14, v13
	global_store_dwordx2 v11, v[14:15], s[14:15] offset:512
.LBB6500_62:
	s_or_b64 exec, exec, s[0:1]
.LBB6500_63:
	v_add_u32_e32 v13, v12, v6
	v_add_u32_e32 v14, v13, v7
	;; [unrolled: 1-line block ×5, first 2 shown]
	s_add_u32 s0, s12, s24
	v_add_u32_e32 v8, v7, v3
	s_addc_u32 s1, s13, s25
	v_add_u32_e32 v9, v8, v4
	v_add_u32_e32 v2, v9, v5
	s_add_u32 s2, s0, s10
	v_add_u32_e32 v3, v2, v10
	s_addc_u32 s3, s1, s11
	s_mov_b64 s[0:1], -1
	s_and_b64 vcc, exec, s[8:9]
	s_waitcnt lgkmcnt(0)
	s_barrier
	s_cbranch_vccz .LBB6500_65
; %bb.64:
	ds_write2_b64 v1, v[12:13], v[14:15] offset1:1
	ds_write2_b64 v1, v[6:7], v[8:9] offset0:2 offset1:3
	ds_write_b64 v1, v[2:3] offset:32
	s_waitcnt lgkmcnt(0)
	s_barrier
	ds_read2st64_b32 v[4:5], v22 offset1:2
	ds_read2st64_b32 v[10:11], v22 offset0:4 offset1:6
	ds_read2st64_b32 v[16:17], v22 offset0:8 offset1:10
	ds_read2st64_b32 v[18:19], v22 offset0:12 offset1:14
	ds_read2st64_b32 v[20:21], v22 offset0:16 offset1:18
	v_mov_b32_e32 v25, s3
	v_add_co_u32_e32 v24, vcc, s2, v22
	v_addc_co_u32_e32 v25, vcc, 0, v25, vcc
	s_waitcnt lgkmcnt(4)
	flat_store_dword v[24:25], v4
	flat_store_dword v[24:25], v5 offset:512
	s_waitcnt lgkmcnt(0)
	flat_store_dword v[24:25], v10 offset:1024
	flat_store_dword v[24:25], v11 offset:1536
	flat_store_dword v[24:25], v16 offset:2048
	flat_store_dword v[24:25], v17 offset:2560
	flat_store_dword v[24:25], v18 offset:3072
	flat_store_dword v[24:25], v19 offset:3584
	v_add_co_u32_e32 v4, vcc, 0x1000, v24
	v_addc_co_u32_e32 v5, vcc, 0, v25, vcc
	flat_store_dword v[4:5], v20
	flat_store_dword v[4:5], v21 offset:512
	s_mov_b64 s[0:1], 0
.LBB6500_65:
	s_andn2_b64 vcc, exec, s[0:1]
	s_cbranch_vccnz .LBB6500_121
; %bb.66:
	ds_write2_b64 v1, v[12:13], v[14:15] offset1:1
	ds_write2_b64 v1, v[6:7], v[8:9] offset0:2 offset1:3
	ds_write_b64 v1, v[2:3] offset:32
	s_waitcnt lgkmcnt(0)
	s_barrier
	ds_read2st64_b32 v[2:3], v22 offset1:2
	ds_read2st64_b32 v[6:7], v22 offset0:4 offset1:6
	ds_read2st64_b32 v[4:5], v22 offset0:8 offset1:10
	;; [unrolled: 1-line block ×4, first 2 shown]
	v_mov_b32_e32 v13, s3
	v_add_co_u32_e32 v12, vcc, s2, v22
	v_addc_co_u32_e32 v13, vcc, 0, v13, vcc
	v_mov_b32_e32 v1, 0
	v_cmp_gt_u32_e32 vcc, s7, v0
	s_and_saveexec_b64 s[0:1], vcc
	s_cbranch_execz .LBB6500_68
; %bb.67:
	s_waitcnt lgkmcnt(0)
	flat_store_dword v[12:13], v2
.LBB6500_68:
	s_or_b64 exec, exec, s[0:1]
	v_or_b32_e32 v14, 0x80, v0
	v_cmp_gt_u32_e32 vcc, s7, v14
	s_and_saveexec_b64 s[0:1], vcc
	s_cbranch_execz .LBB6500_70
; %bb.69:
	s_waitcnt lgkmcnt(0)
	flat_store_dword v[12:13], v3 offset:512
.LBB6500_70:
	s_or_b64 exec, exec, s[0:1]
	v_or_b32_e32 v14, 0x100, v0
	v_cmp_gt_u32_e32 vcc, s7, v14
	s_and_saveexec_b64 s[0:1], vcc
	s_cbranch_execz .LBB6500_72
; %bb.71:
	s_waitcnt lgkmcnt(0)
	flat_store_dword v[12:13], v6 offset:1024
.LBB6500_72:
	;; [unrolled: 9-line block ×7, first 2 shown]
	s_or_b64 exec, exec, s[0:1]
	v_or_b32_e32 v14, 0x400, v0
	v_cmp_gt_u32_e32 vcc, s7, v14
	s_and_saveexec_b64 s[0:1], vcc
	s_cbranch_execz .LBB6500_84
; %bb.83:
	v_add_co_u32_e32 v14, vcc, 0x1000, v12
	v_addc_co_u32_e32 v15, vcc, 0, v13, vcc
	s_waitcnt lgkmcnt(0)
	flat_store_dword v[14:15], v10
.LBB6500_84:
	s_or_b64 exec, exec, s[0:1]
	v_or_b32_e32 v14, 0x480, v0
	v_cmp_gt_u32_e32 vcc, s7, v14
	s_and_saveexec_b64 s[0:1], vcc
	s_cbranch_execz .LBB6500_86
; %bb.85:
	v_add_co_u32_e32 v12, vcc, 0x1000, v12
	v_addc_co_u32_e32 v13, vcc, 0, v13, vcc
	s_waitcnt lgkmcnt(0)
	flat_store_dword v[12:13], v11 offset:512
.LBB6500_86:
	s_or_b64 exec, exec, s[0:1]
	v_cmp_lt_u64_e64 s[0:1], s[22:23], 2
	s_and_b64 vcc, exec, s[0:1]
	s_cbranch_vccnz .LBB6500_121
; %bb.87:
	s_add_u32 s0, s7, -1
	s_addc_u32 s1, s26, -1
	s_add_u32 s2, 0, 0x99986000
	s_addc_u32 s3, 0, 0x59
	s_add_i32 s3, s3, 0x19999940
	s_mul_hi_u32 s7, s2, -10
	s_sub_i32 s7, s7, s2
	s_mul_i32 s8, s3, -10
	s_mul_i32 s4, s2, -10
	s_add_i32 s7, s7, s8
	s_mul_hi_u32 s5, s3, s4
	s_mul_i32 s6, s3, s4
	s_mul_i32 s9, s2, s7
	s_mul_hi_u32 s4, s2, s4
	s_mul_hi_u32 s8, s2, s7
	s_add_u32 s4, s4, s9
	s_addc_u32 s8, 0, s8
	s_add_u32 s4, s4, s6
	s_mul_hi_u32 s9, s3, s7
	s_addc_u32 s4, s8, s5
	s_addc_u32 s5, s9, 0
	s_mul_i32 s6, s3, s7
	s_add_u32 s4, s4, s6
	v_mov_b32_e32 v12, s4
	s_addc_u32 s5, 0, s5
	v_add_co_u32_e32 v12, vcc, s2, v12
	s_cmp_lg_u64 vcc, 0
	s_addc_u32 s2, s3, s5
	v_readfirstlane_b32 s5, v12
	s_mul_i32 s4, s0, s2
	s_mul_hi_u32 s6, s0, s5
	s_mul_hi_u32 s3, s0, s2
	s_add_u32 s4, s6, s4
	s_addc_u32 s3, 0, s3
	s_mul_hi_u32 s7, s1, s5
	s_mul_i32 s5, s1, s5
	s_add_u32 s4, s4, s5
	s_mul_hi_u32 s6, s1, s2
	s_addc_u32 s3, s3, s7
	s_addc_u32 s4, s6, 0
	s_mul_i32 s2, s1, s2
	s_add_u32 s2, s3, s2
	s_addc_u32 s3, 0, s4
	s_add_u32 s4, s2, 1
	s_addc_u32 s5, s3, 0
	s_add_u32 s6, s2, 2
	s_mul_i32 s8, s3, 10
	s_mul_hi_u32 s9, s2, 10
	s_addc_u32 s7, s3, 0
	s_add_i32 s9, s9, s8
	s_mul_i32 s8, s2, 10
	v_mov_b32_e32 v12, s8
	v_sub_co_u32_e32 v12, vcc, s0, v12
	s_cmp_lg_u64 vcc, 0
	s_subb_u32 s8, s1, s9
	v_subrev_co_u32_e32 v13, vcc, 10, v12
	s_cmp_lg_u64 vcc, 0
	s_subb_u32 s9, s8, 0
	v_readfirstlane_b32 s10, v13
	s_cmp_gt_u32 s10, 9
	s_cselect_b32 s10, -1, 0
	s_cmp_eq_u32 s9, 0
	s_cselect_b32 s9, s10, -1
	s_cmp_lg_u32 s9, 0
	s_cselect_b32 s4, s6, s4
	v_readfirstlane_b32 s6, v12
	s_cselect_b32 s5, s7, s5
	s_cmp_gt_u32 s6, 9
	s_cselect_b32 s6, -1, 0
	s_cmp_eq_u32 s8, 0
	s_cselect_b32 s6, s6, -1
	s_cmp_lg_u32 s6, 0
	s_cselect_b32 s3, s5, s3
	s_cselect_b32 s2, s4, s2
	v_cmp_eq_u64_e32 vcc, s[2:3], v[0:1]
	s_and_saveexec_b64 s[2:3], vcc
	s_cbranch_execz .LBB6500_121
; %bb.88:
	v_mul_hi_u32_u24_e32 v1, 10, v0
	v_mov_b32_e32 v12, s1
	v_sub_co_u32_e32 v0, vcc, s0, v23
	v_subb_co_u32_e32 v1, vcc, v12, v1, vcc
	v_cmp_lt_i64_e32 vcc, 4, v[0:1]
	s_and_saveexec_b64 s[0:1], vcc
	s_xor_b64 s[0:1], exec, s[0:1]
	s_cbranch_execz .LBB6500_106
; %bb.89:
	v_cmp_lt_i64_e32 vcc, 6, v[0:1]
	s_and_saveexec_b64 s[2:3], vcc
	s_xor_b64 s[2:3], exec, s[2:3]
	s_cbranch_execz .LBB6500_99
; %bb.90:
	;; [unrolled: 5-line block ×4, first 2 shown]
	v_mov_b32_e32 v0, 0
	s_waitcnt lgkmcnt(0)
	global_store_dword v0, v11, s[18:19]
                                        ; implicit-def: $vgpr10_vgpr11
.LBB6500_93:
	s_andn2_saveexec_b64 s[6:7], s[6:7]
	s_cbranch_execz .LBB6500_95
; %bb.94:
	v_mov_b32_e32 v0, 0
	s_waitcnt lgkmcnt(0)
	global_store_dword v0, v10, s[18:19]
.LBB6500_95:
	s_or_b64 exec, exec, s[6:7]
                                        ; implicit-def: $vgpr8_vgpr9
.LBB6500_96:
	s_andn2_saveexec_b64 s[4:5], s[4:5]
	s_cbranch_execz .LBB6500_98
; %bb.97:
	v_mov_b32_e32 v0, 0
	s_waitcnt lgkmcnt(0)
	global_store_dword v0, v9, s[18:19]
.LBB6500_98:
	s_or_b64 exec, exec, s[4:5]
                                        ; implicit-def: $vgpr4_vgpr5
                                        ; implicit-def: $vgpr0_vgpr1
                                        ; implicit-def: $vgpr8_vgpr9
.LBB6500_99:
	s_andn2_saveexec_b64 s[2:3], s[2:3]
	s_cbranch_execz .LBB6500_105
; %bb.100:
	v_cmp_lt_i64_e32 vcc, 5, v[0:1]
	s_and_saveexec_b64 s[4:5], vcc
	s_xor_b64 s[4:5], exec, s[4:5]
	s_cbranch_execz .LBB6500_102
; %bb.101:
	v_mov_b32_e32 v0, 0
	s_waitcnt lgkmcnt(0)
	global_store_dword v0, v8, s[18:19]
                                        ; implicit-def: $vgpr4_vgpr5
.LBB6500_102:
	s_andn2_saveexec_b64 s[4:5], s[4:5]
	s_cbranch_execz .LBB6500_104
; %bb.103:
	v_mov_b32_e32 v0, 0
	s_waitcnt lgkmcnt(0)
	global_store_dword v0, v5, s[18:19]
.LBB6500_104:
	s_or_b64 exec, exec, s[4:5]
.LBB6500_105:
	s_or_b64 exec, exec, s[2:3]
                                        ; implicit-def: $vgpr0_vgpr1
                                        ; implicit-def: $vgpr6_vgpr7
                                        ; implicit-def: $vgpr2_vgpr3
                                        ; implicit-def: $vgpr4_vgpr5
.LBB6500_106:
	s_andn2_saveexec_b64 s[0:1], s[0:1]
	s_cbranch_execz .LBB6500_121
; %bb.107:
	v_cmp_lt_i64_e32 vcc, 2, v[0:1]
	s_and_saveexec_b64 s[0:1], vcc
	s_xor_b64 s[0:1], exec, s[0:1]
	s_cbranch_execz .LBB6500_113
; %bb.108:
	v_cmp_lt_i64_e32 vcc, 3, v[0:1]
	s_and_saveexec_b64 s[2:3], vcc
	s_xor_b64 s[2:3], exec, s[2:3]
	s_cbranch_execz .LBB6500_110
; %bb.109:
	v_mov_b32_e32 v0, 0
	s_waitcnt lgkmcnt(0)
	global_store_dword v0, v4, s[18:19]
                                        ; implicit-def: $vgpr6_vgpr7
.LBB6500_110:
	s_andn2_saveexec_b64 s[2:3], s[2:3]
	s_cbranch_execz .LBB6500_112
; %bb.111:
	v_mov_b32_e32 v0, 0
	s_waitcnt lgkmcnt(0)
	global_store_dword v0, v7, s[18:19]
.LBB6500_112:
	s_or_b64 exec, exec, s[2:3]
                                        ; implicit-def: $vgpr0_vgpr1
                                        ; implicit-def: $vgpr6_vgpr7
                                        ; implicit-def: $vgpr2_vgpr3
.LBB6500_113:
	s_andn2_saveexec_b64 s[0:1], s[0:1]
	s_cbranch_execz .LBB6500_121
; %bb.114:
	v_cmp_lt_i64_e32 vcc, 1, v[0:1]
	s_and_saveexec_b64 s[0:1], vcc
	s_xor_b64 s[0:1], exec, s[0:1]
	s_cbranch_execz .LBB6500_116
; %bb.115:
	v_mov_b32_e32 v0, 0
	s_waitcnt lgkmcnt(0)
	global_store_dword v0, v6, s[18:19]
                                        ; implicit-def: $vgpr2_vgpr3
                                        ; implicit-def: $vgpr0_vgpr1
.LBB6500_116:
	s_andn2_saveexec_b64 s[0:1], s[0:1]
	s_cbranch_execz .LBB6500_121
; %bb.117:
	v_cmp_ne_u64_e32 vcc, 1, v[0:1]
	s_and_saveexec_b64 s[0:1], vcc
	s_xor_b64 s[0:1], exec, s[0:1]
	s_cbranch_execz .LBB6500_119
; %bb.118:
	v_mov_b32_e32 v0, 0
	s_waitcnt lgkmcnt(0)
	global_store_dword v0, v2, s[18:19]
                                        ; implicit-def: $vgpr2_vgpr3
.LBB6500_119:
	s_andn2_saveexec_b64 s[0:1], s[0:1]
	s_cbranch_execz .LBB6500_121
; %bb.120:
	v_mov_b32_e32 v0, 0
	s_waitcnt lgkmcnt(0)
	global_store_dword v0, v3, s[18:19]
.LBB6500_121:
	s_endpgm
	.section	.rodata,"a",@progbits
	.p2align	6, 0x0
	.amdhsa_kernel _ZN7rocprim17ROCPRIM_400000_NS6detail17trampoline_kernelINS0_14default_configENS1_20scan_config_selectorI11FixedVectorIiLj1EEEEZZNS1_9scan_implILNS1_25lookback_scan_determinismE0ELb1ELb1ES3_N6thrust23THRUST_200600_302600_NS6detail15normal_iteratorINSB_10device_ptrIS6_EEEESG_S6_NSB_4plusIvEES6_EEDaPvRmT3_T4_T5_mT6_P12ihipStream_tbENKUlT_T0_E_clISt17integral_constantIbLb1EESV_IbLb0EEEEDaSR_SS_EUlSR_E_NS1_11comp_targetILNS1_3genE4ELNS1_11target_archE910ELNS1_3gpuE8ELNS1_3repE0EEENS1_30default_config_static_selectorELNS0_4arch9wavefront6targetE1EEEvT1_
		.amdhsa_group_segment_fixed_size 5120
		.amdhsa_private_segment_fixed_size 0
		.amdhsa_kernarg_size 96
		.amdhsa_user_sgpr_count 6
		.amdhsa_user_sgpr_private_segment_buffer 1
		.amdhsa_user_sgpr_dispatch_ptr 0
		.amdhsa_user_sgpr_queue_ptr 0
		.amdhsa_user_sgpr_kernarg_segment_ptr 1
		.amdhsa_user_sgpr_dispatch_id 0
		.amdhsa_user_sgpr_flat_scratch_init 0
		.amdhsa_user_sgpr_kernarg_preload_length 0
		.amdhsa_user_sgpr_kernarg_preload_offset 0
		.amdhsa_user_sgpr_private_segment_size 0
		.amdhsa_uses_dynamic_stack 0
		.amdhsa_system_sgpr_private_segment_wavefront_offset 0
		.amdhsa_system_sgpr_workgroup_id_x 1
		.amdhsa_system_sgpr_workgroup_id_y 0
		.amdhsa_system_sgpr_workgroup_id_z 0
		.amdhsa_system_sgpr_workgroup_info 0
		.amdhsa_system_vgpr_workitem_id 0
		.amdhsa_next_free_vgpr 41
		.amdhsa_next_free_sgpr 32
		.amdhsa_accum_offset 44
		.amdhsa_reserve_vcc 1
		.amdhsa_reserve_flat_scratch 0
		.amdhsa_float_round_mode_32 0
		.amdhsa_float_round_mode_16_64 0
		.amdhsa_float_denorm_mode_32 3
		.amdhsa_float_denorm_mode_16_64 3
		.amdhsa_dx10_clamp 1
		.amdhsa_ieee_mode 1
		.amdhsa_fp16_overflow 0
		.amdhsa_tg_split 0
		.amdhsa_exception_fp_ieee_invalid_op 0
		.amdhsa_exception_fp_denorm_src 0
		.amdhsa_exception_fp_ieee_div_zero 0
		.amdhsa_exception_fp_ieee_overflow 0
		.amdhsa_exception_fp_ieee_underflow 0
		.amdhsa_exception_fp_ieee_inexact 0
		.amdhsa_exception_int_div_zero 0
	.end_amdhsa_kernel
	.section	.text._ZN7rocprim17ROCPRIM_400000_NS6detail17trampoline_kernelINS0_14default_configENS1_20scan_config_selectorI11FixedVectorIiLj1EEEEZZNS1_9scan_implILNS1_25lookback_scan_determinismE0ELb1ELb1ES3_N6thrust23THRUST_200600_302600_NS6detail15normal_iteratorINSB_10device_ptrIS6_EEEESG_S6_NSB_4plusIvEES6_EEDaPvRmT3_T4_T5_mT6_P12ihipStream_tbENKUlT_T0_E_clISt17integral_constantIbLb1EESV_IbLb0EEEEDaSR_SS_EUlSR_E_NS1_11comp_targetILNS1_3genE4ELNS1_11target_archE910ELNS1_3gpuE8ELNS1_3repE0EEENS1_30default_config_static_selectorELNS0_4arch9wavefront6targetE1EEEvT1_,"axG",@progbits,_ZN7rocprim17ROCPRIM_400000_NS6detail17trampoline_kernelINS0_14default_configENS1_20scan_config_selectorI11FixedVectorIiLj1EEEEZZNS1_9scan_implILNS1_25lookback_scan_determinismE0ELb1ELb1ES3_N6thrust23THRUST_200600_302600_NS6detail15normal_iteratorINSB_10device_ptrIS6_EEEESG_S6_NSB_4plusIvEES6_EEDaPvRmT3_T4_T5_mT6_P12ihipStream_tbENKUlT_T0_E_clISt17integral_constantIbLb1EESV_IbLb0EEEEDaSR_SS_EUlSR_E_NS1_11comp_targetILNS1_3genE4ELNS1_11target_archE910ELNS1_3gpuE8ELNS1_3repE0EEENS1_30default_config_static_selectorELNS0_4arch9wavefront6targetE1EEEvT1_,comdat
.Lfunc_end6500:
	.size	_ZN7rocprim17ROCPRIM_400000_NS6detail17trampoline_kernelINS0_14default_configENS1_20scan_config_selectorI11FixedVectorIiLj1EEEEZZNS1_9scan_implILNS1_25lookback_scan_determinismE0ELb1ELb1ES3_N6thrust23THRUST_200600_302600_NS6detail15normal_iteratorINSB_10device_ptrIS6_EEEESG_S6_NSB_4plusIvEES6_EEDaPvRmT3_T4_T5_mT6_P12ihipStream_tbENKUlT_T0_E_clISt17integral_constantIbLb1EESV_IbLb0EEEEDaSR_SS_EUlSR_E_NS1_11comp_targetILNS1_3genE4ELNS1_11target_archE910ELNS1_3gpuE8ELNS1_3repE0EEENS1_30default_config_static_selectorELNS0_4arch9wavefront6targetE1EEEvT1_, .Lfunc_end6500-_ZN7rocprim17ROCPRIM_400000_NS6detail17trampoline_kernelINS0_14default_configENS1_20scan_config_selectorI11FixedVectorIiLj1EEEEZZNS1_9scan_implILNS1_25lookback_scan_determinismE0ELb1ELb1ES3_N6thrust23THRUST_200600_302600_NS6detail15normal_iteratorINSB_10device_ptrIS6_EEEESG_S6_NSB_4plusIvEES6_EEDaPvRmT3_T4_T5_mT6_P12ihipStream_tbENKUlT_T0_E_clISt17integral_constantIbLb1EESV_IbLb0EEEEDaSR_SS_EUlSR_E_NS1_11comp_targetILNS1_3genE4ELNS1_11target_archE910ELNS1_3gpuE8ELNS1_3repE0EEENS1_30default_config_static_selectorELNS0_4arch9wavefront6targetE1EEEvT1_
                                        ; -- End function
	.section	.AMDGPU.csdata,"",@progbits
; Kernel info:
; codeLenInByte = 4448
; NumSgprs: 36
; NumVgprs: 41
; NumAgprs: 0
; TotalNumVgprs: 41
; ScratchSize: 0
; MemoryBound: 0
; FloatMode: 240
; IeeeMode: 1
; LDSByteSize: 5120 bytes/workgroup (compile time only)
; SGPRBlocks: 4
; VGPRBlocks: 5
; NumSGPRsForWavesPerEU: 36
; NumVGPRsForWavesPerEU: 41
; AccumOffset: 44
; Occupancy: 6
; WaveLimiterHint : 1
; COMPUTE_PGM_RSRC2:SCRATCH_EN: 0
; COMPUTE_PGM_RSRC2:USER_SGPR: 6
; COMPUTE_PGM_RSRC2:TRAP_HANDLER: 0
; COMPUTE_PGM_RSRC2:TGID_X_EN: 1
; COMPUTE_PGM_RSRC2:TGID_Y_EN: 0
; COMPUTE_PGM_RSRC2:TGID_Z_EN: 0
; COMPUTE_PGM_RSRC2:TIDIG_COMP_CNT: 0
; COMPUTE_PGM_RSRC3_GFX90A:ACCUM_OFFSET: 10
; COMPUTE_PGM_RSRC3_GFX90A:TG_SPLIT: 0
	.section	.text._ZN7rocprim17ROCPRIM_400000_NS6detail17trampoline_kernelINS0_14default_configENS1_20scan_config_selectorI11FixedVectorIiLj1EEEEZZNS1_9scan_implILNS1_25lookback_scan_determinismE0ELb1ELb1ES3_N6thrust23THRUST_200600_302600_NS6detail15normal_iteratorINSB_10device_ptrIS6_EEEESG_S6_NSB_4plusIvEES6_EEDaPvRmT3_T4_T5_mT6_P12ihipStream_tbENKUlT_T0_E_clISt17integral_constantIbLb1EESV_IbLb0EEEEDaSR_SS_EUlSR_E_NS1_11comp_targetILNS1_3genE3ELNS1_11target_archE908ELNS1_3gpuE7ELNS1_3repE0EEENS1_30default_config_static_selectorELNS0_4arch9wavefront6targetE1EEEvT1_,"axG",@progbits,_ZN7rocprim17ROCPRIM_400000_NS6detail17trampoline_kernelINS0_14default_configENS1_20scan_config_selectorI11FixedVectorIiLj1EEEEZZNS1_9scan_implILNS1_25lookback_scan_determinismE0ELb1ELb1ES3_N6thrust23THRUST_200600_302600_NS6detail15normal_iteratorINSB_10device_ptrIS6_EEEESG_S6_NSB_4plusIvEES6_EEDaPvRmT3_T4_T5_mT6_P12ihipStream_tbENKUlT_T0_E_clISt17integral_constantIbLb1EESV_IbLb0EEEEDaSR_SS_EUlSR_E_NS1_11comp_targetILNS1_3genE3ELNS1_11target_archE908ELNS1_3gpuE7ELNS1_3repE0EEENS1_30default_config_static_selectorELNS0_4arch9wavefront6targetE1EEEvT1_,comdat
	.protected	_ZN7rocprim17ROCPRIM_400000_NS6detail17trampoline_kernelINS0_14default_configENS1_20scan_config_selectorI11FixedVectorIiLj1EEEEZZNS1_9scan_implILNS1_25lookback_scan_determinismE0ELb1ELb1ES3_N6thrust23THRUST_200600_302600_NS6detail15normal_iteratorINSB_10device_ptrIS6_EEEESG_S6_NSB_4plusIvEES6_EEDaPvRmT3_T4_T5_mT6_P12ihipStream_tbENKUlT_T0_E_clISt17integral_constantIbLb1EESV_IbLb0EEEEDaSR_SS_EUlSR_E_NS1_11comp_targetILNS1_3genE3ELNS1_11target_archE908ELNS1_3gpuE7ELNS1_3repE0EEENS1_30default_config_static_selectorELNS0_4arch9wavefront6targetE1EEEvT1_ ; -- Begin function _ZN7rocprim17ROCPRIM_400000_NS6detail17trampoline_kernelINS0_14default_configENS1_20scan_config_selectorI11FixedVectorIiLj1EEEEZZNS1_9scan_implILNS1_25lookback_scan_determinismE0ELb1ELb1ES3_N6thrust23THRUST_200600_302600_NS6detail15normal_iteratorINSB_10device_ptrIS6_EEEESG_S6_NSB_4plusIvEES6_EEDaPvRmT3_T4_T5_mT6_P12ihipStream_tbENKUlT_T0_E_clISt17integral_constantIbLb1EESV_IbLb0EEEEDaSR_SS_EUlSR_E_NS1_11comp_targetILNS1_3genE3ELNS1_11target_archE908ELNS1_3gpuE7ELNS1_3repE0EEENS1_30default_config_static_selectorELNS0_4arch9wavefront6targetE1EEEvT1_
	.globl	_ZN7rocprim17ROCPRIM_400000_NS6detail17trampoline_kernelINS0_14default_configENS1_20scan_config_selectorI11FixedVectorIiLj1EEEEZZNS1_9scan_implILNS1_25lookback_scan_determinismE0ELb1ELb1ES3_N6thrust23THRUST_200600_302600_NS6detail15normal_iteratorINSB_10device_ptrIS6_EEEESG_S6_NSB_4plusIvEES6_EEDaPvRmT3_T4_T5_mT6_P12ihipStream_tbENKUlT_T0_E_clISt17integral_constantIbLb1EESV_IbLb0EEEEDaSR_SS_EUlSR_E_NS1_11comp_targetILNS1_3genE3ELNS1_11target_archE908ELNS1_3gpuE7ELNS1_3repE0EEENS1_30default_config_static_selectorELNS0_4arch9wavefront6targetE1EEEvT1_
	.p2align	8
	.type	_ZN7rocprim17ROCPRIM_400000_NS6detail17trampoline_kernelINS0_14default_configENS1_20scan_config_selectorI11FixedVectorIiLj1EEEEZZNS1_9scan_implILNS1_25lookback_scan_determinismE0ELb1ELb1ES3_N6thrust23THRUST_200600_302600_NS6detail15normal_iteratorINSB_10device_ptrIS6_EEEESG_S6_NSB_4plusIvEES6_EEDaPvRmT3_T4_T5_mT6_P12ihipStream_tbENKUlT_T0_E_clISt17integral_constantIbLb1EESV_IbLb0EEEEDaSR_SS_EUlSR_E_NS1_11comp_targetILNS1_3genE3ELNS1_11target_archE908ELNS1_3gpuE7ELNS1_3repE0EEENS1_30default_config_static_selectorELNS0_4arch9wavefront6targetE1EEEvT1_,@function
_ZN7rocprim17ROCPRIM_400000_NS6detail17trampoline_kernelINS0_14default_configENS1_20scan_config_selectorI11FixedVectorIiLj1EEEEZZNS1_9scan_implILNS1_25lookback_scan_determinismE0ELb1ELb1ES3_N6thrust23THRUST_200600_302600_NS6detail15normal_iteratorINSB_10device_ptrIS6_EEEESG_S6_NSB_4plusIvEES6_EEDaPvRmT3_T4_T5_mT6_P12ihipStream_tbENKUlT_T0_E_clISt17integral_constantIbLb1EESV_IbLb0EEEEDaSR_SS_EUlSR_E_NS1_11comp_targetILNS1_3genE3ELNS1_11target_archE908ELNS1_3gpuE7ELNS1_3repE0EEENS1_30default_config_static_selectorELNS0_4arch9wavefront6targetE1EEEvT1_: ; @_ZN7rocprim17ROCPRIM_400000_NS6detail17trampoline_kernelINS0_14default_configENS1_20scan_config_selectorI11FixedVectorIiLj1EEEEZZNS1_9scan_implILNS1_25lookback_scan_determinismE0ELb1ELb1ES3_N6thrust23THRUST_200600_302600_NS6detail15normal_iteratorINSB_10device_ptrIS6_EEEESG_S6_NSB_4plusIvEES6_EEDaPvRmT3_T4_T5_mT6_P12ihipStream_tbENKUlT_T0_E_clISt17integral_constantIbLb1EESV_IbLb0EEEEDaSR_SS_EUlSR_E_NS1_11comp_targetILNS1_3genE3ELNS1_11target_archE908ELNS1_3gpuE7ELNS1_3repE0EEENS1_30default_config_static_selectorELNS0_4arch9wavefront6targetE1EEEvT1_
; %bb.0:
	.section	.rodata,"a",@progbits
	.p2align	6, 0x0
	.amdhsa_kernel _ZN7rocprim17ROCPRIM_400000_NS6detail17trampoline_kernelINS0_14default_configENS1_20scan_config_selectorI11FixedVectorIiLj1EEEEZZNS1_9scan_implILNS1_25lookback_scan_determinismE0ELb1ELb1ES3_N6thrust23THRUST_200600_302600_NS6detail15normal_iteratorINSB_10device_ptrIS6_EEEESG_S6_NSB_4plusIvEES6_EEDaPvRmT3_T4_T5_mT6_P12ihipStream_tbENKUlT_T0_E_clISt17integral_constantIbLb1EESV_IbLb0EEEEDaSR_SS_EUlSR_E_NS1_11comp_targetILNS1_3genE3ELNS1_11target_archE908ELNS1_3gpuE7ELNS1_3repE0EEENS1_30default_config_static_selectorELNS0_4arch9wavefront6targetE1EEEvT1_
		.amdhsa_group_segment_fixed_size 0
		.amdhsa_private_segment_fixed_size 0
		.amdhsa_kernarg_size 96
		.amdhsa_user_sgpr_count 6
		.amdhsa_user_sgpr_private_segment_buffer 1
		.amdhsa_user_sgpr_dispatch_ptr 0
		.amdhsa_user_sgpr_queue_ptr 0
		.amdhsa_user_sgpr_kernarg_segment_ptr 1
		.amdhsa_user_sgpr_dispatch_id 0
		.amdhsa_user_sgpr_flat_scratch_init 0
		.amdhsa_user_sgpr_kernarg_preload_length 0
		.amdhsa_user_sgpr_kernarg_preload_offset 0
		.amdhsa_user_sgpr_private_segment_size 0
		.amdhsa_uses_dynamic_stack 0
		.amdhsa_system_sgpr_private_segment_wavefront_offset 0
		.amdhsa_system_sgpr_workgroup_id_x 1
		.amdhsa_system_sgpr_workgroup_id_y 0
		.amdhsa_system_sgpr_workgroup_id_z 0
		.amdhsa_system_sgpr_workgroup_info 0
		.amdhsa_system_vgpr_workitem_id 0
		.amdhsa_next_free_vgpr 1
		.amdhsa_next_free_sgpr 0
		.amdhsa_accum_offset 4
		.amdhsa_reserve_vcc 0
		.amdhsa_reserve_flat_scratch 0
		.amdhsa_float_round_mode_32 0
		.amdhsa_float_round_mode_16_64 0
		.amdhsa_float_denorm_mode_32 3
		.amdhsa_float_denorm_mode_16_64 3
		.amdhsa_dx10_clamp 1
		.amdhsa_ieee_mode 1
		.amdhsa_fp16_overflow 0
		.amdhsa_tg_split 0
		.amdhsa_exception_fp_ieee_invalid_op 0
		.amdhsa_exception_fp_denorm_src 0
		.amdhsa_exception_fp_ieee_div_zero 0
		.amdhsa_exception_fp_ieee_overflow 0
		.amdhsa_exception_fp_ieee_underflow 0
		.amdhsa_exception_fp_ieee_inexact 0
		.amdhsa_exception_int_div_zero 0
	.end_amdhsa_kernel
	.section	.text._ZN7rocprim17ROCPRIM_400000_NS6detail17trampoline_kernelINS0_14default_configENS1_20scan_config_selectorI11FixedVectorIiLj1EEEEZZNS1_9scan_implILNS1_25lookback_scan_determinismE0ELb1ELb1ES3_N6thrust23THRUST_200600_302600_NS6detail15normal_iteratorINSB_10device_ptrIS6_EEEESG_S6_NSB_4plusIvEES6_EEDaPvRmT3_T4_T5_mT6_P12ihipStream_tbENKUlT_T0_E_clISt17integral_constantIbLb1EESV_IbLb0EEEEDaSR_SS_EUlSR_E_NS1_11comp_targetILNS1_3genE3ELNS1_11target_archE908ELNS1_3gpuE7ELNS1_3repE0EEENS1_30default_config_static_selectorELNS0_4arch9wavefront6targetE1EEEvT1_,"axG",@progbits,_ZN7rocprim17ROCPRIM_400000_NS6detail17trampoline_kernelINS0_14default_configENS1_20scan_config_selectorI11FixedVectorIiLj1EEEEZZNS1_9scan_implILNS1_25lookback_scan_determinismE0ELb1ELb1ES3_N6thrust23THRUST_200600_302600_NS6detail15normal_iteratorINSB_10device_ptrIS6_EEEESG_S6_NSB_4plusIvEES6_EEDaPvRmT3_T4_T5_mT6_P12ihipStream_tbENKUlT_T0_E_clISt17integral_constantIbLb1EESV_IbLb0EEEEDaSR_SS_EUlSR_E_NS1_11comp_targetILNS1_3genE3ELNS1_11target_archE908ELNS1_3gpuE7ELNS1_3repE0EEENS1_30default_config_static_selectorELNS0_4arch9wavefront6targetE1EEEvT1_,comdat
.Lfunc_end6501:
	.size	_ZN7rocprim17ROCPRIM_400000_NS6detail17trampoline_kernelINS0_14default_configENS1_20scan_config_selectorI11FixedVectorIiLj1EEEEZZNS1_9scan_implILNS1_25lookback_scan_determinismE0ELb1ELb1ES3_N6thrust23THRUST_200600_302600_NS6detail15normal_iteratorINSB_10device_ptrIS6_EEEESG_S6_NSB_4plusIvEES6_EEDaPvRmT3_T4_T5_mT6_P12ihipStream_tbENKUlT_T0_E_clISt17integral_constantIbLb1EESV_IbLb0EEEEDaSR_SS_EUlSR_E_NS1_11comp_targetILNS1_3genE3ELNS1_11target_archE908ELNS1_3gpuE7ELNS1_3repE0EEENS1_30default_config_static_selectorELNS0_4arch9wavefront6targetE1EEEvT1_, .Lfunc_end6501-_ZN7rocprim17ROCPRIM_400000_NS6detail17trampoline_kernelINS0_14default_configENS1_20scan_config_selectorI11FixedVectorIiLj1EEEEZZNS1_9scan_implILNS1_25lookback_scan_determinismE0ELb1ELb1ES3_N6thrust23THRUST_200600_302600_NS6detail15normal_iteratorINSB_10device_ptrIS6_EEEESG_S6_NSB_4plusIvEES6_EEDaPvRmT3_T4_T5_mT6_P12ihipStream_tbENKUlT_T0_E_clISt17integral_constantIbLb1EESV_IbLb0EEEEDaSR_SS_EUlSR_E_NS1_11comp_targetILNS1_3genE3ELNS1_11target_archE908ELNS1_3gpuE7ELNS1_3repE0EEENS1_30default_config_static_selectorELNS0_4arch9wavefront6targetE1EEEvT1_
                                        ; -- End function
	.section	.AMDGPU.csdata,"",@progbits
; Kernel info:
; codeLenInByte = 0
; NumSgprs: 4
; NumVgprs: 0
; NumAgprs: 0
; TotalNumVgprs: 0
; ScratchSize: 0
; MemoryBound: 0
; FloatMode: 240
; IeeeMode: 1
; LDSByteSize: 0 bytes/workgroup (compile time only)
; SGPRBlocks: 0
; VGPRBlocks: 0
; NumSGPRsForWavesPerEU: 4
; NumVGPRsForWavesPerEU: 1
; AccumOffset: 4
; Occupancy: 8
; WaveLimiterHint : 0
; COMPUTE_PGM_RSRC2:SCRATCH_EN: 0
; COMPUTE_PGM_RSRC2:USER_SGPR: 6
; COMPUTE_PGM_RSRC2:TRAP_HANDLER: 0
; COMPUTE_PGM_RSRC2:TGID_X_EN: 1
; COMPUTE_PGM_RSRC2:TGID_Y_EN: 0
; COMPUTE_PGM_RSRC2:TGID_Z_EN: 0
; COMPUTE_PGM_RSRC2:TIDIG_COMP_CNT: 0
; COMPUTE_PGM_RSRC3_GFX90A:ACCUM_OFFSET: 0
; COMPUTE_PGM_RSRC3_GFX90A:TG_SPLIT: 0
	.section	.text._ZN7rocprim17ROCPRIM_400000_NS6detail17trampoline_kernelINS0_14default_configENS1_20scan_config_selectorI11FixedVectorIiLj1EEEEZZNS1_9scan_implILNS1_25lookback_scan_determinismE0ELb1ELb1ES3_N6thrust23THRUST_200600_302600_NS6detail15normal_iteratorINSB_10device_ptrIS6_EEEESG_S6_NSB_4plusIvEES6_EEDaPvRmT3_T4_T5_mT6_P12ihipStream_tbENKUlT_T0_E_clISt17integral_constantIbLb1EESV_IbLb0EEEEDaSR_SS_EUlSR_E_NS1_11comp_targetILNS1_3genE2ELNS1_11target_archE906ELNS1_3gpuE6ELNS1_3repE0EEENS1_30default_config_static_selectorELNS0_4arch9wavefront6targetE1EEEvT1_,"axG",@progbits,_ZN7rocprim17ROCPRIM_400000_NS6detail17trampoline_kernelINS0_14default_configENS1_20scan_config_selectorI11FixedVectorIiLj1EEEEZZNS1_9scan_implILNS1_25lookback_scan_determinismE0ELb1ELb1ES3_N6thrust23THRUST_200600_302600_NS6detail15normal_iteratorINSB_10device_ptrIS6_EEEESG_S6_NSB_4plusIvEES6_EEDaPvRmT3_T4_T5_mT6_P12ihipStream_tbENKUlT_T0_E_clISt17integral_constantIbLb1EESV_IbLb0EEEEDaSR_SS_EUlSR_E_NS1_11comp_targetILNS1_3genE2ELNS1_11target_archE906ELNS1_3gpuE6ELNS1_3repE0EEENS1_30default_config_static_selectorELNS0_4arch9wavefront6targetE1EEEvT1_,comdat
	.protected	_ZN7rocprim17ROCPRIM_400000_NS6detail17trampoline_kernelINS0_14default_configENS1_20scan_config_selectorI11FixedVectorIiLj1EEEEZZNS1_9scan_implILNS1_25lookback_scan_determinismE0ELb1ELb1ES3_N6thrust23THRUST_200600_302600_NS6detail15normal_iteratorINSB_10device_ptrIS6_EEEESG_S6_NSB_4plusIvEES6_EEDaPvRmT3_T4_T5_mT6_P12ihipStream_tbENKUlT_T0_E_clISt17integral_constantIbLb1EESV_IbLb0EEEEDaSR_SS_EUlSR_E_NS1_11comp_targetILNS1_3genE2ELNS1_11target_archE906ELNS1_3gpuE6ELNS1_3repE0EEENS1_30default_config_static_selectorELNS0_4arch9wavefront6targetE1EEEvT1_ ; -- Begin function _ZN7rocprim17ROCPRIM_400000_NS6detail17trampoline_kernelINS0_14default_configENS1_20scan_config_selectorI11FixedVectorIiLj1EEEEZZNS1_9scan_implILNS1_25lookback_scan_determinismE0ELb1ELb1ES3_N6thrust23THRUST_200600_302600_NS6detail15normal_iteratorINSB_10device_ptrIS6_EEEESG_S6_NSB_4plusIvEES6_EEDaPvRmT3_T4_T5_mT6_P12ihipStream_tbENKUlT_T0_E_clISt17integral_constantIbLb1EESV_IbLb0EEEEDaSR_SS_EUlSR_E_NS1_11comp_targetILNS1_3genE2ELNS1_11target_archE906ELNS1_3gpuE6ELNS1_3repE0EEENS1_30default_config_static_selectorELNS0_4arch9wavefront6targetE1EEEvT1_
	.globl	_ZN7rocprim17ROCPRIM_400000_NS6detail17trampoline_kernelINS0_14default_configENS1_20scan_config_selectorI11FixedVectorIiLj1EEEEZZNS1_9scan_implILNS1_25lookback_scan_determinismE0ELb1ELb1ES3_N6thrust23THRUST_200600_302600_NS6detail15normal_iteratorINSB_10device_ptrIS6_EEEESG_S6_NSB_4plusIvEES6_EEDaPvRmT3_T4_T5_mT6_P12ihipStream_tbENKUlT_T0_E_clISt17integral_constantIbLb1EESV_IbLb0EEEEDaSR_SS_EUlSR_E_NS1_11comp_targetILNS1_3genE2ELNS1_11target_archE906ELNS1_3gpuE6ELNS1_3repE0EEENS1_30default_config_static_selectorELNS0_4arch9wavefront6targetE1EEEvT1_
	.p2align	8
	.type	_ZN7rocprim17ROCPRIM_400000_NS6detail17trampoline_kernelINS0_14default_configENS1_20scan_config_selectorI11FixedVectorIiLj1EEEEZZNS1_9scan_implILNS1_25lookback_scan_determinismE0ELb1ELb1ES3_N6thrust23THRUST_200600_302600_NS6detail15normal_iteratorINSB_10device_ptrIS6_EEEESG_S6_NSB_4plusIvEES6_EEDaPvRmT3_T4_T5_mT6_P12ihipStream_tbENKUlT_T0_E_clISt17integral_constantIbLb1EESV_IbLb0EEEEDaSR_SS_EUlSR_E_NS1_11comp_targetILNS1_3genE2ELNS1_11target_archE906ELNS1_3gpuE6ELNS1_3repE0EEENS1_30default_config_static_selectorELNS0_4arch9wavefront6targetE1EEEvT1_,@function
_ZN7rocprim17ROCPRIM_400000_NS6detail17trampoline_kernelINS0_14default_configENS1_20scan_config_selectorI11FixedVectorIiLj1EEEEZZNS1_9scan_implILNS1_25lookback_scan_determinismE0ELb1ELb1ES3_N6thrust23THRUST_200600_302600_NS6detail15normal_iteratorINSB_10device_ptrIS6_EEEESG_S6_NSB_4plusIvEES6_EEDaPvRmT3_T4_T5_mT6_P12ihipStream_tbENKUlT_T0_E_clISt17integral_constantIbLb1EESV_IbLb0EEEEDaSR_SS_EUlSR_E_NS1_11comp_targetILNS1_3genE2ELNS1_11target_archE906ELNS1_3gpuE6ELNS1_3repE0EEENS1_30default_config_static_selectorELNS0_4arch9wavefront6targetE1EEEvT1_: ; @_ZN7rocprim17ROCPRIM_400000_NS6detail17trampoline_kernelINS0_14default_configENS1_20scan_config_selectorI11FixedVectorIiLj1EEEEZZNS1_9scan_implILNS1_25lookback_scan_determinismE0ELb1ELb1ES3_N6thrust23THRUST_200600_302600_NS6detail15normal_iteratorINSB_10device_ptrIS6_EEEESG_S6_NSB_4plusIvEES6_EEDaPvRmT3_T4_T5_mT6_P12ihipStream_tbENKUlT_T0_E_clISt17integral_constantIbLb1EESV_IbLb0EEEEDaSR_SS_EUlSR_E_NS1_11comp_targetILNS1_3genE2ELNS1_11target_archE906ELNS1_3gpuE6ELNS1_3repE0EEENS1_30default_config_static_selectorELNS0_4arch9wavefront6targetE1EEEvT1_
; %bb.0:
	.section	.rodata,"a",@progbits
	.p2align	6, 0x0
	.amdhsa_kernel _ZN7rocprim17ROCPRIM_400000_NS6detail17trampoline_kernelINS0_14default_configENS1_20scan_config_selectorI11FixedVectorIiLj1EEEEZZNS1_9scan_implILNS1_25lookback_scan_determinismE0ELb1ELb1ES3_N6thrust23THRUST_200600_302600_NS6detail15normal_iteratorINSB_10device_ptrIS6_EEEESG_S6_NSB_4plusIvEES6_EEDaPvRmT3_T4_T5_mT6_P12ihipStream_tbENKUlT_T0_E_clISt17integral_constantIbLb1EESV_IbLb0EEEEDaSR_SS_EUlSR_E_NS1_11comp_targetILNS1_3genE2ELNS1_11target_archE906ELNS1_3gpuE6ELNS1_3repE0EEENS1_30default_config_static_selectorELNS0_4arch9wavefront6targetE1EEEvT1_
		.amdhsa_group_segment_fixed_size 0
		.amdhsa_private_segment_fixed_size 0
		.amdhsa_kernarg_size 96
		.amdhsa_user_sgpr_count 6
		.amdhsa_user_sgpr_private_segment_buffer 1
		.amdhsa_user_sgpr_dispatch_ptr 0
		.amdhsa_user_sgpr_queue_ptr 0
		.amdhsa_user_sgpr_kernarg_segment_ptr 1
		.amdhsa_user_sgpr_dispatch_id 0
		.amdhsa_user_sgpr_flat_scratch_init 0
		.amdhsa_user_sgpr_kernarg_preload_length 0
		.amdhsa_user_sgpr_kernarg_preload_offset 0
		.amdhsa_user_sgpr_private_segment_size 0
		.amdhsa_uses_dynamic_stack 0
		.amdhsa_system_sgpr_private_segment_wavefront_offset 0
		.amdhsa_system_sgpr_workgroup_id_x 1
		.amdhsa_system_sgpr_workgroup_id_y 0
		.amdhsa_system_sgpr_workgroup_id_z 0
		.amdhsa_system_sgpr_workgroup_info 0
		.amdhsa_system_vgpr_workitem_id 0
		.amdhsa_next_free_vgpr 1
		.amdhsa_next_free_sgpr 0
		.amdhsa_accum_offset 4
		.amdhsa_reserve_vcc 0
		.amdhsa_reserve_flat_scratch 0
		.amdhsa_float_round_mode_32 0
		.amdhsa_float_round_mode_16_64 0
		.amdhsa_float_denorm_mode_32 3
		.amdhsa_float_denorm_mode_16_64 3
		.amdhsa_dx10_clamp 1
		.amdhsa_ieee_mode 1
		.amdhsa_fp16_overflow 0
		.amdhsa_tg_split 0
		.amdhsa_exception_fp_ieee_invalid_op 0
		.amdhsa_exception_fp_denorm_src 0
		.amdhsa_exception_fp_ieee_div_zero 0
		.amdhsa_exception_fp_ieee_overflow 0
		.amdhsa_exception_fp_ieee_underflow 0
		.amdhsa_exception_fp_ieee_inexact 0
		.amdhsa_exception_int_div_zero 0
	.end_amdhsa_kernel
	.section	.text._ZN7rocprim17ROCPRIM_400000_NS6detail17trampoline_kernelINS0_14default_configENS1_20scan_config_selectorI11FixedVectorIiLj1EEEEZZNS1_9scan_implILNS1_25lookback_scan_determinismE0ELb1ELb1ES3_N6thrust23THRUST_200600_302600_NS6detail15normal_iteratorINSB_10device_ptrIS6_EEEESG_S6_NSB_4plusIvEES6_EEDaPvRmT3_T4_T5_mT6_P12ihipStream_tbENKUlT_T0_E_clISt17integral_constantIbLb1EESV_IbLb0EEEEDaSR_SS_EUlSR_E_NS1_11comp_targetILNS1_3genE2ELNS1_11target_archE906ELNS1_3gpuE6ELNS1_3repE0EEENS1_30default_config_static_selectorELNS0_4arch9wavefront6targetE1EEEvT1_,"axG",@progbits,_ZN7rocprim17ROCPRIM_400000_NS6detail17trampoline_kernelINS0_14default_configENS1_20scan_config_selectorI11FixedVectorIiLj1EEEEZZNS1_9scan_implILNS1_25lookback_scan_determinismE0ELb1ELb1ES3_N6thrust23THRUST_200600_302600_NS6detail15normal_iteratorINSB_10device_ptrIS6_EEEESG_S6_NSB_4plusIvEES6_EEDaPvRmT3_T4_T5_mT6_P12ihipStream_tbENKUlT_T0_E_clISt17integral_constantIbLb1EESV_IbLb0EEEEDaSR_SS_EUlSR_E_NS1_11comp_targetILNS1_3genE2ELNS1_11target_archE906ELNS1_3gpuE6ELNS1_3repE0EEENS1_30default_config_static_selectorELNS0_4arch9wavefront6targetE1EEEvT1_,comdat
.Lfunc_end6502:
	.size	_ZN7rocprim17ROCPRIM_400000_NS6detail17trampoline_kernelINS0_14default_configENS1_20scan_config_selectorI11FixedVectorIiLj1EEEEZZNS1_9scan_implILNS1_25lookback_scan_determinismE0ELb1ELb1ES3_N6thrust23THRUST_200600_302600_NS6detail15normal_iteratorINSB_10device_ptrIS6_EEEESG_S6_NSB_4plusIvEES6_EEDaPvRmT3_T4_T5_mT6_P12ihipStream_tbENKUlT_T0_E_clISt17integral_constantIbLb1EESV_IbLb0EEEEDaSR_SS_EUlSR_E_NS1_11comp_targetILNS1_3genE2ELNS1_11target_archE906ELNS1_3gpuE6ELNS1_3repE0EEENS1_30default_config_static_selectorELNS0_4arch9wavefront6targetE1EEEvT1_, .Lfunc_end6502-_ZN7rocprim17ROCPRIM_400000_NS6detail17trampoline_kernelINS0_14default_configENS1_20scan_config_selectorI11FixedVectorIiLj1EEEEZZNS1_9scan_implILNS1_25lookback_scan_determinismE0ELb1ELb1ES3_N6thrust23THRUST_200600_302600_NS6detail15normal_iteratorINSB_10device_ptrIS6_EEEESG_S6_NSB_4plusIvEES6_EEDaPvRmT3_T4_T5_mT6_P12ihipStream_tbENKUlT_T0_E_clISt17integral_constantIbLb1EESV_IbLb0EEEEDaSR_SS_EUlSR_E_NS1_11comp_targetILNS1_3genE2ELNS1_11target_archE906ELNS1_3gpuE6ELNS1_3repE0EEENS1_30default_config_static_selectorELNS0_4arch9wavefront6targetE1EEEvT1_
                                        ; -- End function
	.section	.AMDGPU.csdata,"",@progbits
; Kernel info:
; codeLenInByte = 0
; NumSgprs: 4
; NumVgprs: 0
; NumAgprs: 0
; TotalNumVgprs: 0
; ScratchSize: 0
; MemoryBound: 0
; FloatMode: 240
; IeeeMode: 1
; LDSByteSize: 0 bytes/workgroup (compile time only)
; SGPRBlocks: 0
; VGPRBlocks: 0
; NumSGPRsForWavesPerEU: 4
; NumVGPRsForWavesPerEU: 1
; AccumOffset: 4
; Occupancy: 8
; WaveLimiterHint : 0
; COMPUTE_PGM_RSRC2:SCRATCH_EN: 0
; COMPUTE_PGM_RSRC2:USER_SGPR: 6
; COMPUTE_PGM_RSRC2:TRAP_HANDLER: 0
; COMPUTE_PGM_RSRC2:TGID_X_EN: 1
; COMPUTE_PGM_RSRC2:TGID_Y_EN: 0
; COMPUTE_PGM_RSRC2:TGID_Z_EN: 0
; COMPUTE_PGM_RSRC2:TIDIG_COMP_CNT: 0
; COMPUTE_PGM_RSRC3_GFX90A:ACCUM_OFFSET: 0
; COMPUTE_PGM_RSRC3_GFX90A:TG_SPLIT: 0
	.section	.text._ZN7rocprim17ROCPRIM_400000_NS6detail17trampoline_kernelINS0_14default_configENS1_20scan_config_selectorI11FixedVectorIiLj1EEEEZZNS1_9scan_implILNS1_25lookback_scan_determinismE0ELb1ELb1ES3_N6thrust23THRUST_200600_302600_NS6detail15normal_iteratorINSB_10device_ptrIS6_EEEESG_S6_NSB_4plusIvEES6_EEDaPvRmT3_T4_T5_mT6_P12ihipStream_tbENKUlT_T0_E_clISt17integral_constantIbLb1EESV_IbLb0EEEEDaSR_SS_EUlSR_E_NS1_11comp_targetILNS1_3genE10ELNS1_11target_archE1201ELNS1_3gpuE5ELNS1_3repE0EEENS1_30default_config_static_selectorELNS0_4arch9wavefront6targetE1EEEvT1_,"axG",@progbits,_ZN7rocprim17ROCPRIM_400000_NS6detail17trampoline_kernelINS0_14default_configENS1_20scan_config_selectorI11FixedVectorIiLj1EEEEZZNS1_9scan_implILNS1_25lookback_scan_determinismE0ELb1ELb1ES3_N6thrust23THRUST_200600_302600_NS6detail15normal_iteratorINSB_10device_ptrIS6_EEEESG_S6_NSB_4plusIvEES6_EEDaPvRmT3_T4_T5_mT6_P12ihipStream_tbENKUlT_T0_E_clISt17integral_constantIbLb1EESV_IbLb0EEEEDaSR_SS_EUlSR_E_NS1_11comp_targetILNS1_3genE10ELNS1_11target_archE1201ELNS1_3gpuE5ELNS1_3repE0EEENS1_30default_config_static_selectorELNS0_4arch9wavefront6targetE1EEEvT1_,comdat
	.protected	_ZN7rocprim17ROCPRIM_400000_NS6detail17trampoline_kernelINS0_14default_configENS1_20scan_config_selectorI11FixedVectorIiLj1EEEEZZNS1_9scan_implILNS1_25lookback_scan_determinismE0ELb1ELb1ES3_N6thrust23THRUST_200600_302600_NS6detail15normal_iteratorINSB_10device_ptrIS6_EEEESG_S6_NSB_4plusIvEES6_EEDaPvRmT3_T4_T5_mT6_P12ihipStream_tbENKUlT_T0_E_clISt17integral_constantIbLb1EESV_IbLb0EEEEDaSR_SS_EUlSR_E_NS1_11comp_targetILNS1_3genE10ELNS1_11target_archE1201ELNS1_3gpuE5ELNS1_3repE0EEENS1_30default_config_static_selectorELNS0_4arch9wavefront6targetE1EEEvT1_ ; -- Begin function _ZN7rocprim17ROCPRIM_400000_NS6detail17trampoline_kernelINS0_14default_configENS1_20scan_config_selectorI11FixedVectorIiLj1EEEEZZNS1_9scan_implILNS1_25lookback_scan_determinismE0ELb1ELb1ES3_N6thrust23THRUST_200600_302600_NS6detail15normal_iteratorINSB_10device_ptrIS6_EEEESG_S6_NSB_4plusIvEES6_EEDaPvRmT3_T4_T5_mT6_P12ihipStream_tbENKUlT_T0_E_clISt17integral_constantIbLb1EESV_IbLb0EEEEDaSR_SS_EUlSR_E_NS1_11comp_targetILNS1_3genE10ELNS1_11target_archE1201ELNS1_3gpuE5ELNS1_3repE0EEENS1_30default_config_static_selectorELNS0_4arch9wavefront6targetE1EEEvT1_
	.globl	_ZN7rocprim17ROCPRIM_400000_NS6detail17trampoline_kernelINS0_14default_configENS1_20scan_config_selectorI11FixedVectorIiLj1EEEEZZNS1_9scan_implILNS1_25lookback_scan_determinismE0ELb1ELb1ES3_N6thrust23THRUST_200600_302600_NS6detail15normal_iteratorINSB_10device_ptrIS6_EEEESG_S6_NSB_4plusIvEES6_EEDaPvRmT3_T4_T5_mT6_P12ihipStream_tbENKUlT_T0_E_clISt17integral_constantIbLb1EESV_IbLb0EEEEDaSR_SS_EUlSR_E_NS1_11comp_targetILNS1_3genE10ELNS1_11target_archE1201ELNS1_3gpuE5ELNS1_3repE0EEENS1_30default_config_static_selectorELNS0_4arch9wavefront6targetE1EEEvT1_
	.p2align	8
	.type	_ZN7rocprim17ROCPRIM_400000_NS6detail17trampoline_kernelINS0_14default_configENS1_20scan_config_selectorI11FixedVectorIiLj1EEEEZZNS1_9scan_implILNS1_25lookback_scan_determinismE0ELb1ELb1ES3_N6thrust23THRUST_200600_302600_NS6detail15normal_iteratorINSB_10device_ptrIS6_EEEESG_S6_NSB_4plusIvEES6_EEDaPvRmT3_T4_T5_mT6_P12ihipStream_tbENKUlT_T0_E_clISt17integral_constantIbLb1EESV_IbLb0EEEEDaSR_SS_EUlSR_E_NS1_11comp_targetILNS1_3genE10ELNS1_11target_archE1201ELNS1_3gpuE5ELNS1_3repE0EEENS1_30default_config_static_selectorELNS0_4arch9wavefront6targetE1EEEvT1_,@function
_ZN7rocprim17ROCPRIM_400000_NS6detail17trampoline_kernelINS0_14default_configENS1_20scan_config_selectorI11FixedVectorIiLj1EEEEZZNS1_9scan_implILNS1_25lookback_scan_determinismE0ELb1ELb1ES3_N6thrust23THRUST_200600_302600_NS6detail15normal_iteratorINSB_10device_ptrIS6_EEEESG_S6_NSB_4plusIvEES6_EEDaPvRmT3_T4_T5_mT6_P12ihipStream_tbENKUlT_T0_E_clISt17integral_constantIbLb1EESV_IbLb0EEEEDaSR_SS_EUlSR_E_NS1_11comp_targetILNS1_3genE10ELNS1_11target_archE1201ELNS1_3gpuE5ELNS1_3repE0EEENS1_30default_config_static_selectorELNS0_4arch9wavefront6targetE1EEEvT1_: ; @_ZN7rocprim17ROCPRIM_400000_NS6detail17trampoline_kernelINS0_14default_configENS1_20scan_config_selectorI11FixedVectorIiLj1EEEEZZNS1_9scan_implILNS1_25lookback_scan_determinismE0ELb1ELb1ES3_N6thrust23THRUST_200600_302600_NS6detail15normal_iteratorINSB_10device_ptrIS6_EEEESG_S6_NSB_4plusIvEES6_EEDaPvRmT3_T4_T5_mT6_P12ihipStream_tbENKUlT_T0_E_clISt17integral_constantIbLb1EESV_IbLb0EEEEDaSR_SS_EUlSR_E_NS1_11comp_targetILNS1_3genE10ELNS1_11target_archE1201ELNS1_3gpuE5ELNS1_3repE0EEENS1_30default_config_static_selectorELNS0_4arch9wavefront6targetE1EEEvT1_
; %bb.0:
	.section	.rodata,"a",@progbits
	.p2align	6, 0x0
	.amdhsa_kernel _ZN7rocprim17ROCPRIM_400000_NS6detail17trampoline_kernelINS0_14default_configENS1_20scan_config_selectorI11FixedVectorIiLj1EEEEZZNS1_9scan_implILNS1_25lookback_scan_determinismE0ELb1ELb1ES3_N6thrust23THRUST_200600_302600_NS6detail15normal_iteratorINSB_10device_ptrIS6_EEEESG_S6_NSB_4plusIvEES6_EEDaPvRmT3_T4_T5_mT6_P12ihipStream_tbENKUlT_T0_E_clISt17integral_constantIbLb1EESV_IbLb0EEEEDaSR_SS_EUlSR_E_NS1_11comp_targetILNS1_3genE10ELNS1_11target_archE1201ELNS1_3gpuE5ELNS1_3repE0EEENS1_30default_config_static_selectorELNS0_4arch9wavefront6targetE1EEEvT1_
		.amdhsa_group_segment_fixed_size 0
		.amdhsa_private_segment_fixed_size 0
		.amdhsa_kernarg_size 96
		.amdhsa_user_sgpr_count 6
		.amdhsa_user_sgpr_private_segment_buffer 1
		.amdhsa_user_sgpr_dispatch_ptr 0
		.amdhsa_user_sgpr_queue_ptr 0
		.amdhsa_user_sgpr_kernarg_segment_ptr 1
		.amdhsa_user_sgpr_dispatch_id 0
		.amdhsa_user_sgpr_flat_scratch_init 0
		.amdhsa_user_sgpr_kernarg_preload_length 0
		.amdhsa_user_sgpr_kernarg_preload_offset 0
		.amdhsa_user_sgpr_private_segment_size 0
		.amdhsa_uses_dynamic_stack 0
		.amdhsa_system_sgpr_private_segment_wavefront_offset 0
		.amdhsa_system_sgpr_workgroup_id_x 1
		.amdhsa_system_sgpr_workgroup_id_y 0
		.amdhsa_system_sgpr_workgroup_id_z 0
		.amdhsa_system_sgpr_workgroup_info 0
		.amdhsa_system_vgpr_workitem_id 0
		.amdhsa_next_free_vgpr 1
		.amdhsa_next_free_sgpr 0
		.amdhsa_accum_offset 4
		.amdhsa_reserve_vcc 0
		.amdhsa_reserve_flat_scratch 0
		.amdhsa_float_round_mode_32 0
		.amdhsa_float_round_mode_16_64 0
		.amdhsa_float_denorm_mode_32 3
		.amdhsa_float_denorm_mode_16_64 3
		.amdhsa_dx10_clamp 1
		.amdhsa_ieee_mode 1
		.amdhsa_fp16_overflow 0
		.amdhsa_tg_split 0
		.amdhsa_exception_fp_ieee_invalid_op 0
		.amdhsa_exception_fp_denorm_src 0
		.amdhsa_exception_fp_ieee_div_zero 0
		.amdhsa_exception_fp_ieee_overflow 0
		.amdhsa_exception_fp_ieee_underflow 0
		.amdhsa_exception_fp_ieee_inexact 0
		.amdhsa_exception_int_div_zero 0
	.end_amdhsa_kernel
	.section	.text._ZN7rocprim17ROCPRIM_400000_NS6detail17trampoline_kernelINS0_14default_configENS1_20scan_config_selectorI11FixedVectorIiLj1EEEEZZNS1_9scan_implILNS1_25lookback_scan_determinismE0ELb1ELb1ES3_N6thrust23THRUST_200600_302600_NS6detail15normal_iteratorINSB_10device_ptrIS6_EEEESG_S6_NSB_4plusIvEES6_EEDaPvRmT3_T4_T5_mT6_P12ihipStream_tbENKUlT_T0_E_clISt17integral_constantIbLb1EESV_IbLb0EEEEDaSR_SS_EUlSR_E_NS1_11comp_targetILNS1_3genE10ELNS1_11target_archE1201ELNS1_3gpuE5ELNS1_3repE0EEENS1_30default_config_static_selectorELNS0_4arch9wavefront6targetE1EEEvT1_,"axG",@progbits,_ZN7rocprim17ROCPRIM_400000_NS6detail17trampoline_kernelINS0_14default_configENS1_20scan_config_selectorI11FixedVectorIiLj1EEEEZZNS1_9scan_implILNS1_25lookback_scan_determinismE0ELb1ELb1ES3_N6thrust23THRUST_200600_302600_NS6detail15normal_iteratorINSB_10device_ptrIS6_EEEESG_S6_NSB_4plusIvEES6_EEDaPvRmT3_T4_T5_mT6_P12ihipStream_tbENKUlT_T0_E_clISt17integral_constantIbLb1EESV_IbLb0EEEEDaSR_SS_EUlSR_E_NS1_11comp_targetILNS1_3genE10ELNS1_11target_archE1201ELNS1_3gpuE5ELNS1_3repE0EEENS1_30default_config_static_selectorELNS0_4arch9wavefront6targetE1EEEvT1_,comdat
.Lfunc_end6503:
	.size	_ZN7rocprim17ROCPRIM_400000_NS6detail17trampoline_kernelINS0_14default_configENS1_20scan_config_selectorI11FixedVectorIiLj1EEEEZZNS1_9scan_implILNS1_25lookback_scan_determinismE0ELb1ELb1ES3_N6thrust23THRUST_200600_302600_NS6detail15normal_iteratorINSB_10device_ptrIS6_EEEESG_S6_NSB_4plusIvEES6_EEDaPvRmT3_T4_T5_mT6_P12ihipStream_tbENKUlT_T0_E_clISt17integral_constantIbLb1EESV_IbLb0EEEEDaSR_SS_EUlSR_E_NS1_11comp_targetILNS1_3genE10ELNS1_11target_archE1201ELNS1_3gpuE5ELNS1_3repE0EEENS1_30default_config_static_selectorELNS0_4arch9wavefront6targetE1EEEvT1_, .Lfunc_end6503-_ZN7rocprim17ROCPRIM_400000_NS6detail17trampoline_kernelINS0_14default_configENS1_20scan_config_selectorI11FixedVectorIiLj1EEEEZZNS1_9scan_implILNS1_25lookback_scan_determinismE0ELb1ELb1ES3_N6thrust23THRUST_200600_302600_NS6detail15normal_iteratorINSB_10device_ptrIS6_EEEESG_S6_NSB_4plusIvEES6_EEDaPvRmT3_T4_T5_mT6_P12ihipStream_tbENKUlT_T0_E_clISt17integral_constantIbLb1EESV_IbLb0EEEEDaSR_SS_EUlSR_E_NS1_11comp_targetILNS1_3genE10ELNS1_11target_archE1201ELNS1_3gpuE5ELNS1_3repE0EEENS1_30default_config_static_selectorELNS0_4arch9wavefront6targetE1EEEvT1_
                                        ; -- End function
	.section	.AMDGPU.csdata,"",@progbits
; Kernel info:
; codeLenInByte = 0
; NumSgprs: 4
; NumVgprs: 0
; NumAgprs: 0
; TotalNumVgprs: 0
; ScratchSize: 0
; MemoryBound: 0
; FloatMode: 240
; IeeeMode: 1
; LDSByteSize: 0 bytes/workgroup (compile time only)
; SGPRBlocks: 0
; VGPRBlocks: 0
; NumSGPRsForWavesPerEU: 4
; NumVGPRsForWavesPerEU: 1
; AccumOffset: 4
; Occupancy: 8
; WaveLimiterHint : 0
; COMPUTE_PGM_RSRC2:SCRATCH_EN: 0
; COMPUTE_PGM_RSRC2:USER_SGPR: 6
; COMPUTE_PGM_RSRC2:TRAP_HANDLER: 0
; COMPUTE_PGM_RSRC2:TGID_X_EN: 1
; COMPUTE_PGM_RSRC2:TGID_Y_EN: 0
; COMPUTE_PGM_RSRC2:TGID_Z_EN: 0
; COMPUTE_PGM_RSRC2:TIDIG_COMP_CNT: 0
; COMPUTE_PGM_RSRC3_GFX90A:ACCUM_OFFSET: 0
; COMPUTE_PGM_RSRC3_GFX90A:TG_SPLIT: 0
	.section	.text._ZN7rocprim17ROCPRIM_400000_NS6detail17trampoline_kernelINS0_14default_configENS1_20scan_config_selectorI11FixedVectorIiLj1EEEEZZNS1_9scan_implILNS1_25lookback_scan_determinismE0ELb1ELb1ES3_N6thrust23THRUST_200600_302600_NS6detail15normal_iteratorINSB_10device_ptrIS6_EEEESG_S6_NSB_4plusIvEES6_EEDaPvRmT3_T4_T5_mT6_P12ihipStream_tbENKUlT_T0_E_clISt17integral_constantIbLb1EESV_IbLb0EEEEDaSR_SS_EUlSR_E_NS1_11comp_targetILNS1_3genE10ELNS1_11target_archE1200ELNS1_3gpuE4ELNS1_3repE0EEENS1_30default_config_static_selectorELNS0_4arch9wavefront6targetE1EEEvT1_,"axG",@progbits,_ZN7rocprim17ROCPRIM_400000_NS6detail17trampoline_kernelINS0_14default_configENS1_20scan_config_selectorI11FixedVectorIiLj1EEEEZZNS1_9scan_implILNS1_25lookback_scan_determinismE0ELb1ELb1ES3_N6thrust23THRUST_200600_302600_NS6detail15normal_iteratorINSB_10device_ptrIS6_EEEESG_S6_NSB_4plusIvEES6_EEDaPvRmT3_T4_T5_mT6_P12ihipStream_tbENKUlT_T0_E_clISt17integral_constantIbLb1EESV_IbLb0EEEEDaSR_SS_EUlSR_E_NS1_11comp_targetILNS1_3genE10ELNS1_11target_archE1200ELNS1_3gpuE4ELNS1_3repE0EEENS1_30default_config_static_selectorELNS0_4arch9wavefront6targetE1EEEvT1_,comdat
	.protected	_ZN7rocprim17ROCPRIM_400000_NS6detail17trampoline_kernelINS0_14default_configENS1_20scan_config_selectorI11FixedVectorIiLj1EEEEZZNS1_9scan_implILNS1_25lookback_scan_determinismE0ELb1ELb1ES3_N6thrust23THRUST_200600_302600_NS6detail15normal_iteratorINSB_10device_ptrIS6_EEEESG_S6_NSB_4plusIvEES6_EEDaPvRmT3_T4_T5_mT6_P12ihipStream_tbENKUlT_T0_E_clISt17integral_constantIbLb1EESV_IbLb0EEEEDaSR_SS_EUlSR_E_NS1_11comp_targetILNS1_3genE10ELNS1_11target_archE1200ELNS1_3gpuE4ELNS1_3repE0EEENS1_30default_config_static_selectorELNS0_4arch9wavefront6targetE1EEEvT1_ ; -- Begin function _ZN7rocprim17ROCPRIM_400000_NS6detail17trampoline_kernelINS0_14default_configENS1_20scan_config_selectorI11FixedVectorIiLj1EEEEZZNS1_9scan_implILNS1_25lookback_scan_determinismE0ELb1ELb1ES3_N6thrust23THRUST_200600_302600_NS6detail15normal_iteratorINSB_10device_ptrIS6_EEEESG_S6_NSB_4plusIvEES6_EEDaPvRmT3_T4_T5_mT6_P12ihipStream_tbENKUlT_T0_E_clISt17integral_constantIbLb1EESV_IbLb0EEEEDaSR_SS_EUlSR_E_NS1_11comp_targetILNS1_3genE10ELNS1_11target_archE1200ELNS1_3gpuE4ELNS1_3repE0EEENS1_30default_config_static_selectorELNS0_4arch9wavefront6targetE1EEEvT1_
	.globl	_ZN7rocprim17ROCPRIM_400000_NS6detail17trampoline_kernelINS0_14default_configENS1_20scan_config_selectorI11FixedVectorIiLj1EEEEZZNS1_9scan_implILNS1_25lookback_scan_determinismE0ELb1ELb1ES3_N6thrust23THRUST_200600_302600_NS6detail15normal_iteratorINSB_10device_ptrIS6_EEEESG_S6_NSB_4plusIvEES6_EEDaPvRmT3_T4_T5_mT6_P12ihipStream_tbENKUlT_T0_E_clISt17integral_constantIbLb1EESV_IbLb0EEEEDaSR_SS_EUlSR_E_NS1_11comp_targetILNS1_3genE10ELNS1_11target_archE1200ELNS1_3gpuE4ELNS1_3repE0EEENS1_30default_config_static_selectorELNS0_4arch9wavefront6targetE1EEEvT1_
	.p2align	8
	.type	_ZN7rocprim17ROCPRIM_400000_NS6detail17trampoline_kernelINS0_14default_configENS1_20scan_config_selectorI11FixedVectorIiLj1EEEEZZNS1_9scan_implILNS1_25lookback_scan_determinismE0ELb1ELb1ES3_N6thrust23THRUST_200600_302600_NS6detail15normal_iteratorINSB_10device_ptrIS6_EEEESG_S6_NSB_4plusIvEES6_EEDaPvRmT3_T4_T5_mT6_P12ihipStream_tbENKUlT_T0_E_clISt17integral_constantIbLb1EESV_IbLb0EEEEDaSR_SS_EUlSR_E_NS1_11comp_targetILNS1_3genE10ELNS1_11target_archE1200ELNS1_3gpuE4ELNS1_3repE0EEENS1_30default_config_static_selectorELNS0_4arch9wavefront6targetE1EEEvT1_,@function
_ZN7rocprim17ROCPRIM_400000_NS6detail17trampoline_kernelINS0_14default_configENS1_20scan_config_selectorI11FixedVectorIiLj1EEEEZZNS1_9scan_implILNS1_25lookback_scan_determinismE0ELb1ELb1ES3_N6thrust23THRUST_200600_302600_NS6detail15normal_iteratorINSB_10device_ptrIS6_EEEESG_S6_NSB_4plusIvEES6_EEDaPvRmT3_T4_T5_mT6_P12ihipStream_tbENKUlT_T0_E_clISt17integral_constantIbLb1EESV_IbLb0EEEEDaSR_SS_EUlSR_E_NS1_11comp_targetILNS1_3genE10ELNS1_11target_archE1200ELNS1_3gpuE4ELNS1_3repE0EEENS1_30default_config_static_selectorELNS0_4arch9wavefront6targetE1EEEvT1_: ; @_ZN7rocprim17ROCPRIM_400000_NS6detail17trampoline_kernelINS0_14default_configENS1_20scan_config_selectorI11FixedVectorIiLj1EEEEZZNS1_9scan_implILNS1_25lookback_scan_determinismE0ELb1ELb1ES3_N6thrust23THRUST_200600_302600_NS6detail15normal_iteratorINSB_10device_ptrIS6_EEEESG_S6_NSB_4plusIvEES6_EEDaPvRmT3_T4_T5_mT6_P12ihipStream_tbENKUlT_T0_E_clISt17integral_constantIbLb1EESV_IbLb0EEEEDaSR_SS_EUlSR_E_NS1_11comp_targetILNS1_3genE10ELNS1_11target_archE1200ELNS1_3gpuE4ELNS1_3repE0EEENS1_30default_config_static_selectorELNS0_4arch9wavefront6targetE1EEEvT1_
; %bb.0:
	.section	.rodata,"a",@progbits
	.p2align	6, 0x0
	.amdhsa_kernel _ZN7rocprim17ROCPRIM_400000_NS6detail17trampoline_kernelINS0_14default_configENS1_20scan_config_selectorI11FixedVectorIiLj1EEEEZZNS1_9scan_implILNS1_25lookback_scan_determinismE0ELb1ELb1ES3_N6thrust23THRUST_200600_302600_NS6detail15normal_iteratorINSB_10device_ptrIS6_EEEESG_S6_NSB_4plusIvEES6_EEDaPvRmT3_T4_T5_mT6_P12ihipStream_tbENKUlT_T0_E_clISt17integral_constantIbLb1EESV_IbLb0EEEEDaSR_SS_EUlSR_E_NS1_11comp_targetILNS1_3genE10ELNS1_11target_archE1200ELNS1_3gpuE4ELNS1_3repE0EEENS1_30default_config_static_selectorELNS0_4arch9wavefront6targetE1EEEvT1_
		.amdhsa_group_segment_fixed_size 0
		.amdhsa_private_segment_fixed_size 0
		.amdhsa_kernarg_size 96
		.amdhsa_user_sgpr_count 6
		.amdhsa_user_sgpr_private_segment_buffer 1
		.amdhsa_user_sgpr_dispatch_ptr 0
		.amdhsa_user_sgpr_queue_ptr 0
		.amdhsa_user_sgpr_kernarg_segment_ptr 1
		.amdhsa_user_sgpr_dispatch_id 0
		.amdhsa_user_sgpr_flat_scratch_init 0
		.amdhsa_user_sgpr_kernarg_preload_length 0
		.amdhsa_user_sgpr_kernarg_preload_offset 0
		.amdhsa_user_sgpr_private_segment_size 0
		.amdhsa_uses_dynamic_stack 0
		.amdhsa_system_sgpr_private_segment_wavefront_offset 0
		.amdhsa_system_sgpr_workgroup_id_x 1
		.amdhsa_system_sgpr_workgroup_id_y 0
		.amdhsa_system_sgpr_workgroup_id_z 0
		.amdhsa_system_sgpr_workgroup_info 0
		.amdhsa_system_vgpr_workitem_id 0
		.amdhsa_next_free_vgpr 1
		.amdhsa_next_free_sgpr 0
		.amdhsa_accum_offset 4
		.amdhsa_reserve_vcc 0
		.amdhsa_reserve_flat_scratch 0
		.amdhsa_float_round_mode_32 0
		.amdhsa_float_round_mode_16_64 0
		.amdhsa_float_denorm_mode_32 3
		.amdhsa_float_denorm_mode_16_64 3
		.amdhsa_dx10_clamp 1
		.amdhsa_ieee_mode 1
		.amdhsa_fp16_overflow 0
		.amdhsa_tg_split 0
		.amdhsa_exception_fp_ieee_invalid_op 0
		.amdhsa_exception_fp_denorm_src 0
		.amdhsa_exception_fp_ieee_div_zero 0
		.amdhsa_exception_fp_ieee_overflow 0
		.amdhsa_exception_fp_ieee_underflow 0
		.amdhsa_exception_fp_ieee_inexact 0
		.amdhsa_exception_int_div_zero 0
	.end_amdhsa_kernel
	.section	.text._ZN7rocprim17ROCPRIM_400000_NS6detail17trampoline_kernelINS0_14default_configENS1_20scan_config_selectorI11FixedVectorIiLj1EEEEZZNS1_9scan_implILNS1_25lookback_scan_determinismE0ELb1ELb1ES3_N6thrust23THRUST_200600_302600_NS6detail15normal_iteratorINSB_10device_ptrIS6_EEEESG_S6_NSB_4plusIvEES6_EEDaPvRmT3_T4_T5_mT6_P12ihipStream_tbENKUlT_T0_E_clISt17integral_constantIbLb1EESV_IbLb0EEEEDaSR_SS_EUlSR_E_NS1_11comp_targetILNS1_3genE10ELNS1_11target_archE1200ELNS1_3gpuE4ELNS1_3repE0EEENS1_30default_config_static_selectorELNS0_4arch9wavefront6targetE1EEEvT1_,"axG",@progbits,_ZN7rocprim17ROCPRIM_400000_NS6detail17trampoline_kernelINS0_14default_configENS1_20scan_config_selectorI11FixedVectorIiLj1EEEEZZNS1_9scan_implILNS1_25lookback_scan_determinismE0ELb1ELb1ES3_N6thrust23THRUST_200600_302600_NS6detail15normal_iteratorINSB_10device_ptrIS6_EEEESG_S6_NSB_4plusIvEES6_EEDaPvRmT3_T4_T5_mT6_P12ihipStream_tbENKUlT_T0_E_clISt17integral_constantIbLb1EESV_IbLb0EEEEDaSR_SS_EUlSR_E_NS1_11comp_targetILNS1_3genE10ELNS1_11target_archE1200ELNS1_3gpuE4ELNS1_3repE0EEENS1_30default_config_static_selectorELNS0_4arch9wavefront6targetE1EEEvT1_,comdat
.Lfunc_end6504:
	.size	_ZN7rocprim17ROCPRIM_400000_NS6detail17trampoline_kernelINS0_14default_configENS1_20scan_config_selectorI11FixedVectorIiLj1EEEEZZNS1_9scan_implILNS1_25lookback_scan_determinismE0ELb1ELb1ES3_N6thrust23THRUST_200600_302600_NS6detail15normal_iteratorINSB_10device_ptrIS6_EEEESG_S6_NSB_4plusIvEES6_EEDaPvRmT3_T4_T5_mT6_P12ihipStream_tbENKUlT_T0_E_clISt17integral_constantIbLb1EESV_IbLb0EEEEDaSR_SS_EUlSR_E_NS1_11comp_targetILNS1_3genE10ELNS1_11target_archE1200ELNS1_3gpuE4ELNS1_3repE0EEENS1_30default_config_static_selectorELNS0_4arch9wavefront6targetE1EEEvT1_, .Lfunc_end6504-_ZN7rocprim17ROCPRIM_400000_NS6detail17trampoline_kernelINS0_14default_configENS1_20scan_config_selectorI11FixedVectorIiLj1EEEEZZNS1_9scan_implILNS1_25lookback_scan_determinismE0ELb1ELb1ES3_N6thrust23THRUST_200600_302600_NS6detail15normal_iteratorINSB_10device_ptrIS6_EEEESG_S6_NSB_4plusIvEES6_EEDaPvRmT3_T4_T5_mT6_P12ihipStream_tbENKUlT_T0_E_clISt17integral_constantIbLb1EESV_IbLb0EEEEDaSR_SS_EUlSR_E_NS1_11comp_targetILNS1_3genE10ELNS1_11target_archE1200ELNS1_3gpuE4ELNS1_3repE0EEENS1_30default_config_static_selectorELNS0_4arch9wavefront6targetE1EEEvT1_
                                        ; -- End function
	.section	.AMDGPU.csdata,"",@progbits
; Kernel info:
; codeLenInByte = 0
; NumSgprs: 4
; NumVgprs: 0
; NumAgprs: 0
; TotalNumVgprs: 0
; ScratchSize: 0
; MemoryBound: 0
; FloatMode: 240
; IeeeMode: 1
; LDSByteSize: 0 bytes/workgroup (compile time only)
; SGPRBlocks: 0
; VGPRBlocks: 0
; NumSGPRsForWavesPerEU: 4
; NumVGPRsForWavesPerEU: 1
; AccumOffset: 4
; Occupancy: 8
; WaveLimiterHint : 0
; COMPUTE_PGM_RSRC2:SCRATCH_EN: 0
; COMPUTE_PGM_RSRC2:USER_SGPR: 6
; COMPUTE_PGM_RSRC2:TRAP_HANDLER: 0
; COMPUTE_PGM_RSRC2:TGID_X_EN: 1
; COMPUTE_PGM_RSRC2:TGID_Y_EN: 0
; COMPUTE_PGM_RSRC2:TGID_Z_EN: 0
; COMPUTE_PGM_RSRC2:TIDIG_COMP_CNT: 0
; COMPUTE_PGM_RSRC3_GFX90A:ACCUM_OFFSET: 0
; COMPUTE_PGM_RSRC3_GFX90A:TG_SPLIT: 0
	.section	.text._ZN7rocprim17ROCPRIM_400000_NS6detail17trampoline_kernelINS0_14default_configENS1_20scan_config_selectorI11FixedVectorIiLj1EEEEZZNS1_9scan_implILNS1_25lookback_scan_determinismE0ELb1ELb1ES3_N6thrust23THRUST_200600_302600_NS6detail15normal_iteratorINSB_10device_ptrIS6_EEEESG_S6_NSB_4plusIvEES6_EEDaPvRmT3_T4_T5_mT6_P12ihipStream_tbENKUlT_T0_E_clISt17integral_constantIbLb1EESV_IbLb0EEEEDaSR_SS_EUlSR_E_NS1_11comp_targetILNS1_3genE9ELNS1_11target_archE1100ELNS1_3gpuE3ELNS1_3repE0EEENS1_30default_config_static_selectorELNS0_4arch9wavefront6targetE1EEEvT1_,"axG",@progbits,_ZN7rocprim17ROCPRIM_400000_NS6detail17trampoline_kernelINS0_14default_configENS1_20scan_config_selectorI11FixedVectorIiLj1EEEEZZNS1_9scan_implILNS1_25lookback_scan_determinismE0ELb1ELb1ES3_N6thrust23THRUST_200600_302600_NS6detail15normal_iteratorINSB_10device_ptrIS6_EEEESG_S6_NSB_4plusIvEES6_EEDaPvRmT3_T4_T5_mT6_P12ihipStream_tbENKUlT_T0_E_clISt17integral_constantIbLb1EESV_IbLb0EEEEDaSR_SS_EUlSR_E_NS1_11comp_targetILNS1_3genE9ELNS1_11target_archE1100ELNS1_3gpuE3ELNS1_3repE0EEENS1_30default_config_static_selectorELNS0_4arch9wavefront6targetE1EEEvT1_,comdat
	.protected	_ZN7rocprim17ROCPRIM_400000_NS6detail17trampoline_kernelINS0_14default_configENS1_20scan_config_selectorI11FixedVectorIiLj1EEEEZZNS1_9scan_implILNS1_25lookback_scan_determinismE0ELb1ELb1ES3_N6thrust23THRUST_200600_302600_NS6detail15normal_iteratorINSB_10device_ptrIS6_EEEESG_S6_NSB_4plusIvEES6_EEDaPvRmT3_T4_T5_mT6_P12ihipStream_tbENKUlT_T0_E_clISt17integral_constantIbLb1EESV_IbLb0EEEEDaSR_SS_EUlSR_E_NS1_11comp_targetILNS1_3genE9ELNS1_11target_archE1100ELNS1_3gpuE3ELNS1_3repE0EEENS1_30default_config_static_selectorELNS0_4arch9wavefront6targetE1EEEvT1_ ; -- Begin function _ZN7rocprim17ROCPRIM_400000_NS6detail17trampoline_kernelINS0_14default_configENS1_20scan_config_selectorI11FixedVectorIiLj1EEEEZZNS1_9scan_implILNS1_25lookback_scan_determinismE0ELb1ELb1ES3_N6thrust23THRUST_200600_302600_NS6detail15normal_iteratorINSB_10device_ptrIS6_EEEESG_S6_NSB_4plusIvEES6_EEDaPvRmT3_T4_T5_mT6_P12ihipStream_tbENKUlT_T0_E_clISt17integral_constantIbLb1EESV_IbLb0EEEEDaSR_SS_EUlSR_E_NS1_11comp_targetILNS1_3genE9ELNS1_11target_archE1100ELNS1_3gpuE3ELNS1_3repE0EEENS1_30default_config_static_selectorELNS0_4arch9wavefront6targetE1EEEvT1_
	.globl	_ZN7rocprim17ROCPRIM_400000_NS6detail17trampoline_kernelINS0_14default_configENS1_20scan_config_selectorI11FixedVectorIiLj1EEEEZZNS1_9scan_implILNS1_25lookback_scan_determinismE0ELb1ELb1ES3_N6thrust23THRUST_200600_302600_NS6detail15normal_iteratorINSB_10device_ptrIS6_EEEESG_S6_NSB_4plusIvEES6_EEDaPvRmT3_T4_T5_mT6_P12ihipStream_tbENKUlT_T0_E_clISt17integral_constantIbLb1EESV_IbLb0EEEEDaSR_SS_EUlSR_E_NS1_11comp_targetILNS1_3genE9ELNS1_11target_archE1100ELNS1_3gpuE3ELNS1_3repE0EEENS1_30default_config_static_selectorELNS0_4arch9wavefront6targetE1EEEvT1_
	.p2align	8
	.type	_ZN7rocprim17ROCPRIM_400000_NS6detail17trampoline_kernelINS0_14default_configENS1_20scan_config_selectorI11FixedVectorIiLj1EEEEZZNS1_9scan_implILNS1_25lookback_scan_determinismE0ELb1ELb1ES3_N6thrust23THRUST_200600_302600_NS6detail15normal_iteratorINSB_10device_ptrIS6_EEEESG_S6_NSB_4plusIvEES6_EEDaPvRmT3_T4_T5_mT6_P12ihipStream_tbENKUlT_T0_E_clISt17integral_constantIbLb1EESV_IbLb0EEEEDaSR_SS_EUlSR_E_NS1_11comp_targetILNS1_3genE9ELNS1_11target_archE1100ELNS1_3gpuE3ELNS1_3repE0EEENS1_30default_config_static_selectorELNS0_4arch9wavefront6targetE1EEEvT1_,@function
_ZN7rocprim17ROCPRIM_400000_NS6detail17trampoline_kernelINS0_14default_configENS1_20scan_config_selectorI11FixedVectorIiLj1EEEEZZNS1_9scan_implILNS1_25lookback_scan_determinismE0ELb1ELb1ES3_N6thrust23THRUST_200600_302600_NS6detail15normal_iteratorINSB_10device_ptrIS6_EEEESG_S6_NSB_4plusIvEES6_EEDaPvRmT3_T4_T5_mT6_P12ihipStream_tbENKUlT_T0_E_clISt17integral_constantIbLb1EESV_IbLb0EEEEDaSR_SS_EUlSR_E_NS1_11comp_targetILNS1_3genE9ELNS1_11target_archE1100ELNS1_3gpuE3ELNS1_3repE0EEENS1_30default_config_static_selectorELNS0_4arch9wavefront6targetE1EEEvT1_: ; @_ZN7rocprim17ROCPRIM_400000_NS6detail17trampoline_kernelINS0_14default_configENS1_20scan_config_selectorI11FixedVectorIiLj1EEEEZZNS1_9scan_implILNS1_25lookback_scan_determinismE0ELb1ELb1ES3_N6thrust23THRUST_200600_302600_NS6detail15normal_iteratorINSB_10device_ptrIS6_EEEESG_S6_NSB_4plusIvEES6_EEDaPvRmT3_T4_T5_mT6_P12ihipStream_tbENKUlT_T0_E_clISt17integral_constantIbLb1EESV_IbLb0EEEEDaSR_SS_EUlSR_E_NS1_11comp_targetILNS1_3genE9ELNS1_11target_archE1100ELNS1_3gpuE3ELNS1_3repE0EEENS1_30default_config_static_selectorELNS0_4arch9wavefront6targetE1EEEvT1_
; %bb.0:
	.section	.rodata,"a",@progbits
	.p2align	6, 0x0
	.amdhsa_kernel _ZN7rocprim17ROCPRIM_400000_NS6detail17trampoline_kernelINS0_14default_configENS1_20scan_config_selectorI11FixedVectorIiLj1EEEEZZNS1_9scan_implILNS1_25lookback_scan_determinismE0ELb1ELb1ES3_N6thrust23THRUST_200600_302600_NS6detail15normal_iteratorINSB_10device_ptrIS6_EEEESG_S6_NSB_4plusIvEES6_EEDaPvRmT3_T4_T5_mT6_P12ihipStream_tbENKUlT_T0_E_clISt17integral_constantIbLb1EESV_IbLb0EEEEDaSR_SS_EUlSR_E_NS1_11comp_targetILNS1_3genE9ELNS1_11target_archE1100ELNS1_3gpuE3ELNS1_3repE0EEENS1_30default_config_static_selectorELNS0_4arch9wavefront6targetE1EEEvT1_
		.amdhsa_group_segment_fixed_size 0
		.amdhsa_private_segment_fixed_size 0
		.amdhsa_kernarg_size 96
		.amdhsa_user_sgpr_count 6
		.amdhsa_user_sgpr_private_segment_buffer 1
		.amdhsa_user_sgpr_dispatch_ptr 0
		.amdhsa_user_sgpr_queue_ptr 0
		.amdhsa_user_sgpr_kernarg_segment_ptr 1
		.amdhsa_user_sgpr_dispatch_id 0
		.amdhsa_user_sgpr_flat_scratch_init 0
		.amdhsa_user_sgpr_kernarg_preload_length 0
		.amdhsa_user_sgpr_kernarg_preload_offset 0
		.amdhsa_user_sgpr_private_segment_size 0
		.amdhsa_uses_dynamic_stack 0
		.amdhsa_system_sgpr_private_segment_wavefront_offset 0
		.amdhsa_system_sgpr_workgroup_id_x 1
		.amdhsa_system_sgpr_workgroup_id_y 0
		.amdhsa_system_sgpr_workgroup_id_z 0
		.amdhsa_system_sgpr_workgroup_info 0
		.amdhsa_system_vgpr_workitem_id 0
		.amdhsa_next_free_vgpr 1
		.amdhsa_next_free_sgpr 0
		.amdhsa_accum_offset 4
		.amdhsa_reserve_vcc 0
		.amdhsa_reserve_flat_scratch 0
		.amdhsa_float_round_mode_32 0
		.amdhsa_float_round_mode_16_64 0
		.amdhsa_float_denorm_mode_32 3
		.amdhsa_float_denorm_mode_16_64 3
		.amdhsa_dx10_clamp 1
		.amdhsa_ieee_mode 1
		.amdhsa_fp16_overflow 0
		.amdhsa_tg_split 0
		.amdhsa_exception_fp_ieee_invalid_op 0
		.amdhsa_exception_fp_denorm_src 0
		.amdhsa_exception_fp_ieee_div_zero 0
		.amdhsa_exception_fp_ieee_overflow 0
		.amdhsa_exception_fp_ieee_underflow 0
		.amdhsa_exception_fp_ieee_inexact 0
		.amdhsa_exception_int_div_zero 0
	.end_amdhsa_kernel
	.section	.text._ZN7rocprim17ROCPRIM_400000_NS6detail17trampoline_kernelINS0_14default_configENS1_20scan_config_selectorI11FixedVectorIiLj1EEEEZZNS1_9scan_implILNS1_25lookback_scan_determinismE0ELb1ELb1ES3_N6thrust23THRUST_200600_302600_NS6detail15normal_iteratorINSB_10device_ptrIS6_EEEESG_S6_NSB_4plusIvEES6_EEDaPvRmT3_T4_T5_mT6_P12ihipStream_tbENKUlT_T0_E_clISt17integral_constantIbLb1EESV_IbLb0EEEEDaSR_SS_EUlSR_E_NS1_11comp_targetILNS1_3genE9ELNS1_11target_archE1100ELNS1_3gpuE3ELNS1_3repE0EEENS1_30default_config_static_selectorELNS0_4arch9wavefront6targetE1EEEvT1_,"axG",@progbits,_ZN7rocprim17ROCPRIM_400000_NS6detail17trampoline_kernelINS0_14default_configENS1_20scan_config_selectorI11FixedVectorIiLj1EEEEZZNS1_9scan_implILNS1_25lookback_scan_determinismE0ELb1ELb1ES3_N6thrust23THRUST_200600_302600_NS6detail15normal_iteratorINSB_10device_ptrIS6_EEEESG_S6_NSB_4plusIvEES6_EEDaPvRmT3_T4_T5_mT6_P12ihipStream_tbENKUlT_T0_E_clISt17integral_constantIbLb1EESV_IbLb0EEEEDaSR_SS_EUlSR_E_NS1_11comp_targetILNS1_3genE9ELNS1_11target_archE1100ELNS1_3gpuE3ELNS1_3repE0EEENS1_30default_config_static_selectorELNS0_4arch9wavefront6targetE1EEEvT1_,comdat
.Lfunc_end6505:
	.size	_ZN7rocprim17ROCPRIM_400000_NS6detail17trampoline_kernelINS0_14default_configENS1_20scan_config_selectorI11FixedVectorIiLj1EEEEZZNS1_9scan_implILNS1_25lookback_scan_determinismE0ELb1ELb1ES3_N6thrust23THRUST_200600_302600_NS6detail15normal_iteratorINSB_10device_ptrIS6_EEEESG_S6_NSB_4plusIvEES6_EEDaPvRmT3_T4_T5_mT6_P12ihipStream_tbENKUlT_T0_E_clISt17integral_constantIbLb1EESV_IbLb0EEEEDaSR_SS_EUlSR_E_NS1_11comp_targetILNS1_3genE9ELNS1_11target_archE1100ELNS1_3gpuE3ELNS1_3repE0EEENS1_30default_config_static_selectorELNS0_4arch9wavefront6targetE1EEEvT1_, .Lfunc_end6505-_ZN7rocprim17ROCPRIM_400000_NS6detail17trampoline_kernelINS0_14default_configENS1_20scan_config_selectorI11FixedVectorIiLj1EEEEZZNS1_9scan_implILNS1_25lookback_scan_determinismE0ELb1ELb1ES3_N6thrust23THRUST_200600_302600_NS6detail15normal_iteratorINSB_10device_ptrIS6_EEEESG_S6_NSB_4plusIvEES6_EEDaPvRmT3_T4_T5_mT6_P12ihipStream_tbENKUlT_T0_E_clISt17integral_constantIbLb1EESV_IbLb0EEEEDaSR_SS_EUlSR_E_NS1_11comp_targetILNS1_3genE9ELNS1_11target_archE1100ELNS1_3gpuE3ELNS1_3repE0EEENS1_30default_config_static_selectorELNS0_4arch9wavefront6targetE1EEEvT1_
                                        ; -- End function
	.section	.AMDGPU.csdata,"",@progbits
; Kernel info:
; codeLenInByte = 0
; NumSgprs: 4
; NumVgprs: 0
; NumAgprs: 0
; TotalNumVgprs: 0
; ScratchSize: 0
; MemoryBound: 0
; FloatMode: 240
; IeeeMode: 1
; LDSByteSize: 0 bytes/workgroup (compile time only)
; SGPRBlocks: 0
; VGPRBlocks: 0
; NumSGPRsForWavesPerEU: 4
; NumVGPRsForWavesPerEU: 1
; AccumOffset: 4
; Occupancy: 8
; WaveLimiterHint : 0
; COMPUTE_PGM_RSRC2:SCRATCH_EN: 0
; COMPUTE_PGM_RSRC2:USER_SGPR: 6
; COMPUTE_PGM_RSRC2:TRAP_HANDLER: 0
; COMPUTE_PGM_RSRC2:TGID_X_EN: 1
; COMPUTE_PGM_RSRC2:TGID_Y_EN: 0
; COMPUTE_PGM_RSRC2:TGID_Z_EN: 0
; COMPUTE_PGM_RSRC2:TIDIG_COMP_CNT: 0
; COMPUTE_PGM_RSRC3_GFX90A:ACCUM_OFFSET: 0
; COMPUTE_PGM_RSRC3_GFX90A:TG_SPLIT: 0
	.section	.text._ZN7rocprim17ROCPRIM_400000_NS6detail17trampoline_kernelINS0_14default_configENS1_20scan_config_selectorI11FixedVectorIiLj1EEEEZZNS1_9scan_implILNS1_25lookback_scan_determinismE0ELb1ELb1ES3_N6thrust23THRUST_200600_302600_NS6detail15normal_iteratorINSB_10device_ptrIS6_EEEESG_S6_NSB_4plusIvEES6_EEDaPvRmT3_T4_T5_mT6_P12ihipStream_tbENKUlT_T0_E_clISt17integral_constantIbLb1EESV_IbLb0EEEEDaSR_SS_EUlSR_E_NS1_11comp_targetILNS1_3genE8ELNS1_11target_archE1030ELNS1_3gpuE2ELNS1_3repE0EEENS1_30default_config_static_selectorELNS0_4arch9wavefront6targetE1EEEvT1_,"axG",@progbits,_ZN7rocprim17ROCPRIM_400000_NS6detail17trampoline_kernelINS0_14default_configENS1_20scan_config_selectorI11FixedVectorIiLj1EEEEZZNS1_9scan_implILNS1_25lookback_scan_determinismE0ELb1ELb1ES3_N6thrust23THRUST_200600_302600_NS6detail15normal_iteratorINSB_10device_ptrIS6_EEEESG_S6_NSB_4plusIvEES6_EEDaPvRmT3_T4_T5_mT6_P12ihipStream_tbENKUlT_T0_E_clISt17integral_constantIbLb1EESV_IbLb0EEEEDaSR_SS_EUlSR_E_NS1_11comp_targetILNS1_3genE8ELNS1_11target_archE1030ELNS1_3gpuE2ELNS1_3repE0EEENS1_30default_config_static_selectorELNS0_4arch9wavefront6targetE1EEEvT1_,comdat
	.protected	_ZN7rocprim17ROCPRIM_400000_NS6detail17trampoline_kernelINS0_14default_configENS1_20scan_config_selectorI11FixedVectorIiLj1EEEEZZNS1_9scan_implILNS1_25lookback_scan_determinismE0ELb1ELb1ES3_N6thrust23THRUST_200600_302600_NS6detail15normal_iteratorINSB_10device_ptrIS6_EEEESG_S6_NSB_4plusIvEES6_EEDaPvRmT3_T4_T5_mT6_P12ihipStream_tbENKUlT_T0_E_clISt17integral_constantIbLb1EESV_IbLb0EEEEDaSR_SS_EUlSR_E_NS1_11comp_targetILNS1_3genE8ELNS1_11target_archE1030ELNS1_3gpuE2ELNS1_3repE0EEENS1_30default_config_static_selectorELNS0_4arch9wavefront6targetE1EEEvT1_ ; -- Begin function _ZN7rocprim17ROCPRIM_400000_NS6detail17trampoline_kernelINS0_14default_configENS1_20scan_config_selectorI11FixedVectorIiLj1EEEEZZNS1_9scan_implILNS1_25lookback_scan_determinismE0ELb1ELb1ES3_N6thrust23THRUST_200600_302600_NS6detail15normal_iteratorINSB_10device_ptrIS6_EEEESG_S6_NSB_4plusIvEES6_EEDaPvRmT3_T4_T5_mT6_P12ihipStream_tbENKUlT_T0_E_clISt17integral_constantIbLb1EESV_IbLb0EEEEDaSR_SS_EUlSR_E_NS1_11comp_targetILNS1_3genE8ELNS1_11target_archE1030ELNS1_3gpuE2ELNS1_3repE0EEENS1_30default_config_static_selectorELNS0_4arch9wavefront6targetE1EEEvT1_
	.globl	_ZN7rocprim17ROCPRIM_400000_NS6detail17trampoline_kernelINS0_14default_configENS1_20scan_config_selectorI11FixedVectorIiLj1EEEEZZNS1_9scan_implILNS1_25lookback_scan_determinismE0ELb1ELb1ES3_N6thrust23THRUST_200600_302600_NS6detail15normal_iteratorINSB_10device_ptrIS6_EEEESG_S6_NSB_4plusIvEES6_EEDaPvRmT3_T4_T5_mT6_P12ihipStream_tbENKUlT_T0_E_clISt17integral_constantIbLb1EESV_IbLb0EEEEDaSR_SS_EUlSR_E_NS1_11comp_targetILNS1_3genE8ELNS1_11target_archE1030ELNS1_3gpuE2ELNS1_3repE0EEENS1_30default_config_static_selectorELNS0_4arch9wavefront6targetE1EEEvT1_
	.p2align	8
	.type	_ZN7rocprim17ROCPRIM_400000_NS6detail17trampoline_kernelINS0_14default_configENS1_20scan_config_selectorI11FixedVectorIiLj1EEEEZZNS1_9scan_implILNS1_25lookback_scan_determinismE0ELb1ELb1ES3_N6thrust23THRUST_200600_302600_NS6detail15normal_iteratorINSB_10device_ptrIS6_EEEESG_S6_NSB_4plusIvEES6_EEDaPvRmT3_T4_T5_mT6_P12ihipStream_tbENKUlT_T0_E_clISt17integral_constantIbLb1EESV_IbLb0EEEEDaSR_SS_EUlSR_E_NS1_11comp_targetILNS1_3genE8ELNS1_11target_archE1030ELNS1_3gpuE2ELNS1_3repE0EEENS1_30default_config_static_selectorELNS0_4arch9wavefront6targetE1EEEvT1_,@function
_ZN7rocprim17ROCPRIM_400000_NS6detail17trampoline_kernelINS0_14default_configENS1_20scan_config_selectorI11FixedVectorIiLj1EEEEZZNS1_9scan_implILNS1_25lookback_scan_determinismE0ELb1ELb1ES3_N6thrust23THRUST_200600_302600_NS6detail15normal_iteratorINSB_10device_ptrIS6_EEEESG_S6_NSB_4plusIvEES6_EEDaPvRmT3_T4_T5_mT6_P12ihipStream_tbENKUlT_T0_E_clISt17integral_constantIbLb1EESV_IbLb0EEEEDaSR_SS_EUlSR_E_NS1_11comp_targetILNS1_3genE8ELNS1_11target_archE1030ELNS1_3gpuE2ELNS1_3repE0EEENS1_30default_config_static_selectorELNS0_4arch9wavefront6targetE1EEEvT1_: ; @_ZN7rocprim17ROCPRIM_400000_NS6detail17trampoline_kernelINS0_14default_configENS1_20scan_config_selectorI11FixedVectorIiLj1EEEEZZNS1_9scan_implILNS1_25lookback_scan_determinismE0ELb1ELb1ES3_N6thrust23THRUST_200600_302600_NS6detail15normal_iteratorINSB_10device_ptrIS6_EEEESG_S6_NSB_4plusIvEES6_EEDaPvRmT3_T4_T5_mT6_P12ihipStream_tbENKUlT_T0_E_clISt17integral_constantIbLb1EESV_IbLb0EEEEDaSR_SS_EUlSR_E_NS1_11comp_targetILNS1_3genE8ELNS1_11target_archE1030ELNS1_3gpuE2ELNS1_3repE0EEENS1_30default_config_static_selectorELNS0_4arch9wavefront6targetE1EEEvT1_
; %bb.0:
	.section	.rodata,"a",@progbits
	.p2align	6, 0x0
	.amdhsa_kernel _ZN7rocprim17ROCPRIM_400000_NS6detail17trampoline_kernelINS0_14default_configENS1_20scan_config_selectorI11FixedVectorIiLj1EEEEZZNS1_9scan_implILNS1_25lookback_scan_determinismE0ELb1ELb1ES3_N6thrust23THRUST_200600_302600_NS6detail15normal_iteratorINSB_10device_ptrIS6_EEEESG_S6_NSB_4plusIvEES6_EEDaPvRmT3_T4_T5_mT6_P12ihipStream_tbENKUlT_T0_E_clISt17integral_constantIbLb1EESV_IbLb0EEEEDaSR_SS_EUlSR_E_NS1_11comp_targetILNS1_3genE8ELNS1_11target_archE1030ELNS1_3gpuE2ELNS1_3repE0EEENS1_30default_config_static_selectorELNS0_4arch9wavefront6targetE1EEEvT1_
		.amdhsa_group_segment_fixed_size 0
		.amdhsa_private_segment_fixed_size 0
		.amdhsa_kernarg_size 96
		.amdhsa_user_sgpr_count 6
		.amdhsa_user_sgpr_private_segment_buffer 1
		.amdhsa_user_sgpr_dispatch_ptr 0
		.amdhsa_user_sgpr_queue_ptr 0
		.amdhsa_user_sgpr_kernarg_segment_ptr 1
		.amdhsa_user_sgpr_dispatch_id 0
		.amdhsa_user_sgpr_flat_scratch_init 0
		.amdhsa_user_sgpr_kernarg_preload_length 0
		.amdhsa_user_sgpr_kernarg_preload_offset 0
		.amdhsa_user_sgpr_private_segment_size 0
		.amdhsa_uses_dynamic_stack 0
		.amdhsa_system_sgpr_private_segment_wavefront_offset 0
		.amdhsa_system_sgpr_workgroup_id_x 1
		.amdhsa_system_sgpr_workgroup_id_y 0
		.amdhsa_system_sgpr_workgroup_id_z 0
		.amdhsa_system_sgpr_workgroup_info 0
		.amdhsa_system_vgpr_workitem_id 0
		.amdhsa_next_free_vgpr 1
		.amdhsa_next_free_sgpr 0
		.amdhsa_accum_offset 4
		.amdhsa_reserve_vcc 0
		.amdhsa_reserve_flat_scratch 0
		.amdhsa_float_round_mode_32 0
		.amdhsa_float_round_mode_16_64 0
		.amdhsa_float_denorm_mode_32 3
		.amdhsa_float_denorm_mode_16_64 3
		.amdhsa_dx10_clamp 1
		.amdhsa_ieee_mode 1
		.amdhsa_fp16_overflow 0
		.amdhsa_tg_split 0
		.amdhsa_exception_fp_ieee_invalid_op 0
		.amdhsa_exception_fp_denorm_src 0
		.amdhsa_exception_fp_ieee_div_zero 0
		.amdhsa_exception_fp_ieee_overflow 0
		.amdhsa_exception_fp_ieee_underflow 0
		.amdhsa_exception_fp_ieee_inexact 0
		.amdhsa_exception_int_div_zero 0
	.end_amdhsa_kernel
	.section	.text._ZN7rocprim17ROCPRIM_400000_NS6detail17trampoline_kernelINS0_14default_configENS1_20scan_config_selectorI11FixedVectorIiLj1EEEEZZNS1_9scan_implILNS1_25lookback_scan_determinismE0ELb1ELb1ES3_N6thrust23THRUST_200600_302600_NS6detail15normal_iteratorINSB_10device_ptrIS6_EEEESG_S6_NSB_4plusIvEES6_EEDaPvRmT3_T4_T5_mT6_P12ihipStream_tbENKUlT_T0_E_clISt17integral_constantIbLb1EESV_IbLb0EEEEDaSR_SS_EUlSR_E_NS1_11comp_targetILNS1_3genE8ELNS1_11target_archE1030ELNS1_3gpuE2ELNS1_3repE0EEENS1_30default_config_static_selectorELNS0_4arch9wavefront6targetE1EEEvT1_,"axG",@progbits,_ZN7rocprim17ROCPRIM_400000_NS6detail17trampoline_kernelINS0_14default_configENS1_20scan_config_selectorI11FixedVectorIiLj1EEEEZZNS1_9scan_implILNS1_25lookback_scan_determinismE0ELb1ELb1ES3_N6thrust23THRUST_200600_302600_NS6detail15normal_iteratorINSB_10device_ptrIS6_EEEESG_S6_NSB_4plusIvEES6_EEDaPvRmT3_T4_T5_mT6_P12ihipStream_tbENKUlT_T0_E_clISt17integral_constantIbLb1EESV_IbLb0EEEEDaSR_SS_EUlSR_E_NS1_11comp_targetILNS1_3genE8ELNS1_11target_archE1030ELNS1_3gpuE2ELNS1_3repE0EEENS1_30default_config_static_selectorELNS0_4arch9wavefront6targetE1EEEvT1_,comdat
.Lfunc_end6506:
	.size	_ZN7rocprim17ROCPRIM_400000_NS6detail17trampoline_kernelINS0_14default_configENS1_20scan_config_selectorI11FixedVectorIiLj1EEEEZZNS1_9scan_implILNS1_25lookback_scan_determinismE0ELb1ELb1ES3_N6thrust23THRUST_200600_302600_NS6detail15normal_iteratorINSB_10device_ptrIS6_EEEESG_S6_NSB_4plusIvEES6_EEDaPvRmT3_T4_T5_mT6_P12ihipStream_tbENKUlT_T0_E_clISt17integral_constantIbLb1EESV_IbLb0EEEEDaSR_SS_EUlSR_E_NS1_11comp_targetILNS1_3genE8ELNS1_11target_archE1030ELNS1_3gpuE2ELNS1_3repE0EEENS1_30default_config_static_selectorELNS0_4arch9wavefront6targetE1EEEvT1_, .Lfunc_end6506-_ZN7rocprim17ROCPRIM_400000_NS6detail17trampoline_kernelINS0_14default_configENS1_20scan_config_selectorI11FixedVectorIiLj1EEEEZZNS1_9scan_implILNS1_25lookback_scan_determinismE0ELb1ELb1ES3_N6thrust23THRUST_200600_302600_NS6detail15normal_iteratorINSB_10device_ptrIS6_EEEESG_S6_NSB_4plusIvEES6_EEDaPvRmT3_T4_T5_mT6_P12ihipStream_tbENKUlT_T0_E_clISt17integral_constantIbLb1EESV_IbLb0EEEEDaSR_SS_EUlSR_E_NS1_11comp_targetILNS1_3genE8ELNS1_11target_archE1030ELNS1_3gpuE2ELNS1_3repE0EEENS1_30default_config_static_selectorELNS0_4arch9wavefront6targetE1EEEvT1_
                                        ; -- End function
	.section	.AMDGPU.csdata,"",@progbits
; Kernel info:
; codeLenInByte = 0
; NumSgprs: 4
; NumVgprs: 0
; NumAgprs: 0
; TotalNumVgprs: 0
; ScratchSize: 0
; MemoryBound: 0
; FloatMode: 240
; IeeeMode: 1
; LDSByteSize: 0 bytes/workgroup (compile time only)
; SGPRBlocks: 0
; VGPRBlocks: 0
; NumSGPRsForWavesPerEU: 4
; NumVGPRsForWavesPerEU: 1
; AccumOffset: 4
; Occupancy: 8
; WaveLimiterHint : 0
; COMPUTE_PGM_RSRC2:SCRATCH_EN: 0
; COMPUTE_PGM_RSRC2:USER_SGPR: 6
; COMPUTE_PGM_RSRC2:TRAP_HANDLER: 0
; COMPUTE_PGM_RSRC2:TGID_X_EN: 1
; COMPUTE_PGM_RSRC2:TGID_Y_EN: 0
; COMPUTE_PGM_RSRC2:TGID_Z_EN: 0
; COMPUTE_PGM_RSRC2:TIDIG_COMP_CNT: 0
; COMPUTE_PGM_RSRC3_GFX90A:ACCUM_OFFSET: 0
; COMPUTE_PGM_RSRC3_GFX90A:TG_SPLIT: 0
	.section	.text._ZN7rocprim17ROCPRIM_400000_NS6detail17trampoline_kernelINS0_14default_configENS1_20scan_config_selectorI11FixedVectorIiLj1EEEEZZNS1_9scan_implILNS1_25lookback_scan_determinismE0ELb1ELb1ES3_N6thrust23THRUST_200600_302600_NS6detail15normal_iteratorINSB_10device_ptrIS6_EEEESG_S6_NSB_4plusIvEES6_EEDaPvRmT3_T4_T5_mT6_P12ihipStream_tbENKUlT_T0_E_clISt17integral_constantIbLb1EESV_IbLb0EEEEDaSR_SS_EUlSR_E0_NS1_11comp_targetILNS1_3genE0ELNS1_11target_archE4294967295ELNS1_3gpuE0ELNS1_3repE0EEENS1_30default_config_static_selectorELNS0_4arch9wavefront6targetE1EEEvT1_,"axG",@progbits,_ZN7rocprim17ROCPRIM_400000_NS6detail17trampoline_kernelINS0_14default_configENS1_20scan_config_selectorI11FixedVectorIiLj1EEEEZZNS1_9scan_implILNS1_25lookback_scan_determinismE0ELb1ELb1ES3_N6thrust23THRUST_200600_302600_NS6detail15normal_iteratorINSB_10device_ptrIS6_EEEESG_S6_NSB_4plusIvEES6_EEDaPvRmT3_T4_T5_mT6_P12ihipStream_tbENKUlT_T0_E_clISt17integral_constantIbLb1EESV_IbLb0EEEEDaSR_SS_EUlSR_E0_NS1_11comp_targetILNS1_3genE0ELNS1_11target_archE4294967295ELNS1_3gpuE0ELNS1_3repE0EEENS1_30default_config_static_selectorELNS0_4arch9wavefront6targetE1EEEvT1_,comdat
	.protected	_ZN7rocprim17ROCPRIM_400000_NS6detail17trampoline_kernelINS0_14default_configENS1_20scan_config_selectorI11FixedVectorIiLj1EEEEZZNS1_9scan_implILNS1_25lookback_scan_determinismE0ELb1ELb1ES3_N6thrust23THRUST_200600_302600_NS6detail15normal_iteratorINSB_10device_ptrIS6_EEEESG_S6_NSB_4plusIvEES6_EEDaPvRmT3_T4_T5_mT6_P12ihipStream_tbENKUlT_T0_E_clISt17integral_constantIbLb1EESV_IbLb0EEEEDaSR_SS_EUlSR_E0_NS1_11comp_targetILNS1_3genE0ELNS1_11target_archE4294967295ELNS1_3gpuE0ELNS1_3repE0EEENS1_30default_config_static_selectorELNS0_4arch9wavefront6targetE1EEEvT1_ ; -- Begin function _ZN7rocprim17ROCPRIM_400000_NS6detail17trampoline_kernelINS0_14default_configENS1_20scan_config_selectorI11FixedVectorIiLj1EEEEZZNS1_9scan_implILNS1_25lookback_scan_determinismE0ELb1ELb1ES3_N6thrust23THRUST_200600_302600_NS6detail15normal_iteratorINSB_10device_ptrIS6_EEEESG_S6_NSB_4plusIvEES6_EEDaPvRmT3_T4_T5_mT6_P12ihipStream_tbENKUlT_T0_E_clISt17integral_constantIbLb1EESV_IbLb0EEEEDaSR_SS_EUlSR_E0_NS1_11comp_targetILNS1_3genE0ELNS1_11target_archE4294967295ELNS1_3gpuE0ELNS1_3repE0EEENS1_30default_config_static_selectorELNS0_4arch9wavefront6targetE1EEEvT1_
	.globl	_ZN7rocprim17ROCPRIM_400000_NS6detail17trampoline_kernelINS0_14default_configENS1_20scan_config_selectorI11FixedVectorIiLj1EEEEZZNS1_9scan_implILNS1_25lookback_scan_determinismE0ELb1ELb1ES3_N6thrust23THRUST_200600_302600_NS6detail15normal_iteratorINSB_10device_ptrIS6_EEEESG_S6_NSB_4plusIvEES6_EEDaPvRmT3_T4_T5_mT6_P12ihipStream_tbENKUlT_T0_E_clISt17integral_constantIbLb1EESV_IbLb0EEEEDaSR_SS_EUlSR_E0_NS1_11comp_targetILNS1_3genE0ELNS1_11target_archE4294967295ELNS1_3gpuE0ELNS1_3repE0EEENS1_30default_config_static_selectorELNS0_4arch9wavefront6targetE1EEEvT1_
	.p2align	8
	.type	_ZN7rocprim17ROCPRIM_400000_NS6detail17trampoline_kernelINS0_14default_configENS1_20scan_config_selectorI11FixedVectorIiLj1EEEEZZNS1_9scan_implILNS1_25lookback_scan_determinismE0ELb1ELb1ES3_N6thrust23THRUST_200600_302600_NS6detail15normal_iteratorINSB_10device_ptrIS6_EEEESG_S6_NSB_4plusIvEES6_EEDaPvRmT3_T4_T5_mT6_P12ihipStream_tbENKUlT_T0_E_clISt17integral_constantIbLb1EESV_IbLb0EEEEDaSR_SS_EUlSR_E0_NS1_11comp_targetILNS1_3genE0ELNS1_11target_archE4294967295ELNS1_3gpuE0ELNS1_3repE0EEENS1_30default_config_static_selectorELNS0_4arch9wavefront6targetE1EEEvT1_,@function
_ZN7rocprim17ROCPRIM_400000_NS6detail17trampoline_kernelINS0_14default_configENS1_20scan_config_selectorI11FixedVectorIiLj1EEEEZZNS1_9scan_implILNS1_25lookback_scan_determinismE0ELb1ELb1ES3_N6thrust23THRUST_200600_302600_NS6detail15normal_iteratorINSB_10device_ptrIS6_EEEESG_S6_NSB_4plusIvEES6_EEDaPvRmT3_T4_T5_mT6_P12ihipStream_tbENKUlT_T0_E_clISt17integral_constantIbLb1EESV_IbLb0EEEEDaSR_SS_EUlSR_E0_NS1_11comp_targetILNS1_3genE0ELNS1_11target_archE4294967295ELNS1_3gpuE0ELNS1_3repE0EEENS1_30default_config_static_selectorELNS0_4arch9wavefront6targetE1EEEvT1_: ; @_ZN7rocprim17ROCPRIM_400000_NS6detail17trampoline_kernelINS0_14default_configENS1_20scan_config_selectorI11FixedVectorIiLj1EEEEZZNS1_9scan_implILNS1_25lookback_scan_determinismE0ELb1ELb1ES3_N6thrust23THRUST_200600_302600_NS6detail15normal_iteratorINSB_10device_ptrIS6_EEEESG_S6_NSB_4plusIvEES6_EEDaPvRmT3_T4_T5_mT6_P12ihipStream_tbENKUlT_T0_E_clISt17integral_constantIbLb1EESV_IbLb0EEEEDaSR_SS_EUlSR_E0_NS1_11comp_targetILNS1_3genE0ELNS1_11target_archE4294967295ELNS1_3gpuE0ELNS1_3repE0EEENS1_30default_config_static_selectorELNS0_4arch9wavefront6targetE1EEEvT1_
; %bb.0:
	.section	.rodata,"a",@progbits
	.p2align	6, 0x0
	.amdhsa_kernel _ZN7rocprim17ROCPRIM_400000_NS6detail17trampoline_kernelINS0_14default_configENS1_20scan_config_selectorI11FixedVectorIiLj1EEEEZZNS1_9scan_implILNS1_25lookback_scan_determinismE0ELb1ELb1ES3_N6thrust23THRUST_200600_302600_NS6detail15normal_iteratorINSB_10device_ptrIS6_EEEESG_S6_NSB_4plusIvEES6_EEDaPvRmT3_T4_T5_mT6_P12ihipStream_tbENKUlT_T0_E_clISt17integral_constantIbLb1EESV_IbLb0EEEEDaSR_SS_EUlSR_E0_NS1_11comp_targetILNS1_3genE0ELNS1_11target_archE4294967295ELNS1_3gpuE0ELNS1_3repE0EEENS1_30default_config_static_selectorELNS0_4arch9wavefront6targetE1EEEvT1_
		.amdhsa_group_segment_fixed_size 0
		.amdhsa_private_segment_fixed_size 0
		.amdhsa_kernarg_size 32
		.amdhsa_user_sgpr_count 6
		.amdhsa_user_sgpr_private_segment_buffer 1
		.amdhsa_user_sgpr_dispatch_ptr 0
		.amdhsa_user_sgpr_queue_ptr 0
		.amdhsa_user_sgpr_kernarg_segment_ptr 1
		.amdhsa_user_sgpr_dispatch_id 0
		.amdhsa_user_sgpr_flat_scratch_init 0
		.amdhsa_user_sgpr_kernarg_preload_length 0
		.amdhsa_user_sgpr_kernarg_preload_offset 0
		.amdhsa_user_sgpr_private_segment_size 0
		.amdhsa_uses_dynamic_stack 0
		.amdhsa_system_sgpr_private_segment_wavefront_offset 0
		.amdhsa_system_sgpr_workgroup_id_x 1
		.amdhsa_system_sgpr_workgroup_id_y 0
		.amdhsa_system_sgpr_workgroup_id_z 0
		.amdhsa_system_sgpr_workgroup_info 0
		.amdhsa_system_vgpr_workitem_id 0
		.amdhsa_next_free_vgpr 1
		.amdhsa_next_free_sgpr 0
		.amdhsa_accum_offset 4
		.amdhsa_reserve_vcc 0
		.amdhsa_reserve_flat_scratch 0
		.amdhsa_float_round_mode_32 0
		.amdhsa_float_round_mode_16_64 0
		.amdhsa_float_denorm_mode_32 3
		.amdhsa_float_denorm_mode_16_64 3
		.amdhsa_dx10_clamp 1
		.amdhsa_ieee_mode 1
		.amdhsa_fp16_overflow 0
		.amdhsa_tg_split 0
		.amdhsa_exception_fp_ieee_invalid_op 0
		.amdhsa_exception_fp_denorm_src 0
		.amdhsa_exception_fp_ieee_div_zero 0
		.amdhsa_exception_fp_ieee_overflow 0
		.amdhsa_exception_fp_ieee_underflow 0
		.amdhsa_exception_fp_ieee_inexact 0
		.amdhsa_exception_int_div_zero 0
	.end_amdhsa_kernel
	.section	.text._ZN7rocprim17ROCPRIM_400000_NS6detail17trampoline_kernelINS0_14default_configENS1_20scan_config_selectorI11FixedVectorIiLj1EEEEZZNS1_9scan_implILNS1_25lookback_scan_determinismE0ELb1ELb1ES3_N6thrust23THRUST_200600_302600_NS6detail15normal_iteratorINSB_10device_ptrIS6_EEEESG_S6_NSB_4plusIvEES6_EEDaPvRmT3_T4_T5_mT6_P12ihipStream_tbENKUlT_T0_E_clISt17integral_constantIbLb1EESV_IbLb0EEEEDaSR_SS_EUlSR_E0_NS1_11comp_targetILNS1_3genE0ELNS1_11target_archE4294967295ELNS1_3gpuE0ELNS1_3repE0EEENS1_30default_config_static_selectorELNS0_4arch9wavefront6targetE1EEEvT1_,"axG",@progbits,_ZN7rocprim17ROCPRIM_400000_NS6detail17trampoline_kernelINS0_14default_configENS1_20scan_config_selectorI11FixedVectorIiLj1EEEEZZNS1_9scan_implILNS1_25lookback_scan_determinismE0ELb1ELb1ES3_N6thrust23THRUST_200600_302600_NS6detail15normal_iteratorINSB_10device_ptrIS6_EEEESG_S6_NSB_4plusIvEES6_EEDaPvRmT3_T4_T5_mT6_P12ihipStream_tbENKUlT_T0_E_clISt17integral_constantIbLb1EESV_IbLb0EEEEDaSR_SS_EUlSR_E0_NS1_11comp_targetILNS1_3genE0ELNS1_11target_archE4294967295ELNS1_3gpuE0ELNS1_3repE0EEENS1_30default_config_static_selectorELNS0_4arch9wavefront6targetE1EEEvT1_,comdat
.Lfunc_end6507:
	.size	_ZN7rocprim17ROCPRIM_400000_NS6detail17trampoline_kernelINS0_14default_configENS1_20scan_config_selectorI11FixedVectorIiLj1EEEEZZNS1_9scan_implILNS1_25lookback_scan_determinismE0ELb1ELb1ES3_N6thrust23THRUST_200600_302600_NS6detail15normal_iteratorINSB_10device_ptrIS6_EEEESG_S6_NSB_4plusIvEES6_EEDaPvRmT3_T4_T5_mT6_P12ihipStream_tbENKUlT_T0_E_clISt17integral_constantIbLb1EESV_IbLb0EEEEDaSR_SS_EUlSR_E0_NS1_11comp_targetILNS1_3genE0ELNS1_11target_archE4294967295ELNS1_3gpuE0ELNS1_3repE0EEENS1_30default_config_static_selectorELNS0_4arch9wavefront6targetE1EEEvT1_, .Lfunc_end6507-_ZN7rocprim17ROCPRIM_400000_NS6detail17trampoline_kernelINS0_14default_configENS1_20scan_config_selectorI11FixedVectorIiLj1EEEEZZNS1_9scan_implILNS1_25lookback_scan_determinismE0ELb1ELb1ES3_N6thrust23THRUST_200600_302600_NS6detail15normal_iteratorINSB_10device_ptrIS6_EEEESG_S6_NSB_4plusIvEES6_EEDaPvRmT3_T4_T5_mT6_P12ihipStream_tbENKUlT_T0_E_clISt17integral_constantIbLb1EESV_IbLb0EEEEDaSR_SS_EUlSR_E0_NS1_11comp_targetILNS1_3genE0ELNS1_11target_archE4294967295ELNS1_3gpuE0ELNS1_3repE0EEENS1_30default_config_static_selectorELNS0_4arch9wavefront6targetE1EEEvT1_
                                        ; -- End function
	.section	.AMDGPU.csdata,"",@progbits
; Kernel info:
; codeLenInByte = 0
; NumSgprs: 4
; NumVgprs: 0
; NumAgprs: 0
; TotalNumVgprs: 0
; ScratchSize: 0
; MemoryBound: 0
; FloatMode: 240
; IeeeMode: 1
; LDSByteSize: 0 bytes/workgroup (compile time only)
; SGPRBlocks: 0
; VGPRBlocks: 0
; NumSGPRsForWavesPerEU: 4
; NumVGPRsForWavesPerEU: 1
; AccumOffset: 4
; Occupancy: 8
; WaveLimiterHint : 0
; COMPUTE_PGM_RSRC2:SCRATCH_EN: 0
; COMPUTE_PGM_RSRC2:USER_SGPR: 6
; COMPUTE_PGM_RSRC2:TRAP_HANDLER: 0
; COMPUTE_PGM_RSRC2:TGID_X_EN: 1
; COMPUTE_PGM_RSRC2:TGID_Y_EN: 0
; COMPUTE_PGM_RSRC2:TGID_Z_EN: 0
; COMPUTE_PGM_RSRC2:TIDIG_COMP_CNT: 0
; COMPUTE_PGM_RSRC3_GFX90A:ACCUM_OFFSET: 0
; COMPUTE_PGM_RSRC3_GFX90A:TG_SPLIT: 0
	.section	.text._ZN7rocprim17ROCPRIM_400000_NS6detail17trampoline_kernelINS0_14default_configENS1_20scan_config_selectorI11FixedVectorIiLj1EEEEZZNS1_9scan_implILNS1_25lookback_scan_determinismE0ELb1ELb1ES3_N6thrust23THRUST_200600_302600_NS6detail15normal_iteratorINSB_10device_ptrIS6_EEEESG_S6_NSB_4plusIvEES6_EEDaPvRmT3_T4_T5_mT6_P12ihipStream_tbENKUlT_T0_E_clISt17integral_constantIbLb1EESV_IbLb0EEEEDaSR_SS_EUlSR_E0_NS1_11comp_targetILNS1_3genE5ELNS1_11target_archE942ELNS1_3gpuE9ELNS1_3repE0EEENS1_30default_config_static_selectorELNS0_4arch9wavefront6targetE1EEEvT1_,"axG",@progbits,_ZN7rocprim17ROCPRIM_400000_NS6detail17trampoline_kernelINS0_14default_configENS1_20scan_config_selectorI11FixedVectorIiLj1EEEEZZNS1_9scan_implILNS1_25lookback_scan_determinismE0ELb1ELb1ES3_N6thrust23THRUST_200600_302600_NS6detail15normal_iteratorINSB_10device_ptrIS6_EEEESG_S6_NSB_4plusIvEES6_EEDaPvRmT3_T4_T5_mT6_P12ihipStream_tbENKUlT_T0_E_clISt17integral_constantIbLb1EESV_IbLb0EEEEDaSR_SS_EUlSR_E0_NS1_11comp_targetILNS1_3genE5ELNS1_11target_archE942ELNS1_3gpuE9ELNS1_3repE0EEENS1_30default_config_static_selectorELNS0_4arch9wavefront6targetE1EEEvT1_,comdat
	.protected	_ZN7rocprim17ROCPRIM_400000_NS6detail17trampoline_kernelINS0_14default_configENS1_20scan_config_selectorI11FixedVectorIiLj1EEEEZZNS1_9scan_implILNS1_25lookback_scan_determinismE0ELb1ELb1ES3_N6thrust23THRUST_200600_302600_NS6detail15normal_iteratorINSB_10device_ptrIS6_EEEESG_S6_NSB_4plusIvEES6_EEDaPvRmT3_T4_T5_mT6_P12ihipStream_tbENKUlT_T0_E_clISt17integral_constantIbLb1EESV_IbLb0EEEEDaSR_SS_EUlSR_E0_NS1_11comp_targetILNS1_3genE5ELNS1_11target_archE942ELNS1_3gpuE9ELNS1_3repE0EEENS1_30default_config_static_selectorELNS0_4arch9wavefront6targetE1EEEvT1_ ; -- Begin function _ZN7rocprim17ROCPRIM_400000_NS6detail17trampoline_kernelINS0_14default_configENS1_20scan_config_selectorI11FixedVectorIiLj1EEEEZZNS1_9scan_implILNS1_25lookback_scan_determinismE0ELb1ELb1ES3_N6thrust23THRUST_200600_302600_NS6detail15normal_iteratorINSB_10device_ptrIS6_EEEESG_S6_NSB_4plusIvEES6_EEDaPvRmT3_T4_T5_mT6_P12ihipStream_tbENKUlT_T0_E_clISt17integral_constantIbLb1EESV_IbLb0EEEEDaSR_SS_EUlSR_E0_NS1_11comp_targetILNS1_3genE5ELNS1_11target_archE942ELNS1_3gpuE9ELNS1_3repE0EEENS1_30default_config_static_selectorELNS0_4arch9wavefront6targetE1EEEvT1_
	.globl	_ZN7rocprim17ROCPRIM_400000_NS6detail17trampoline_kernelINS0_14default_configENS1_20scan_config_selectorI11FixedVectorIiLj1EEEEZZNS1_9scan_implILNS1_25lookback_scan_determinismE0ELb1ELb1ES3_N6thrust23THRUST_200600_302600_NS6detail15normal_iteratorINSB_10device_ptrIS6_EEEESG_S6_NSB_4plusIvEES6_EEDaPvRmT3_T4_T5_mT6_P12ihipStream_tbENKUlT_T0_E_clISt17integral_constantIbLb1EESV_IbLb0EEEEDaSR_SS_EUlSR_E0_NS1_11comp_targetILNS1_3genE5ELNS1_11target_archE942ELNS1_3gpuE9ELNS1_3repE0EEENS1_30default_config_static_selectorELNS0_4arch9wavefront6targetE1EEEvT1_
	.p2align	8
	.type	_ZN7rocprim17ROCPRIM_400000_NS6detail17trampoline_kernelINS0_14default_configENS1_20scan_config_selectorI11FixedVectorIiLj1EEEEZZNS1_9scan_implILNS1_25lookback_scan_determinismE0ELb1ELb1ES3_N6thrust23THRUST_200600_302600_NS6detail15normal_iteratorINSB_10device_ptrIS6_EEEESG_S6_NSB_4plusIvEES6_EEDaPvRmT3_T4_T5_mT6_P12ihipStream_tbENKUlT_T0_E_clISt17integral_constantIbLb1EESV_IbLb0EEEEDaSR_SS_EUlSR_E0_NS1_11comp_targetILNS1_3genE5ELNS1_11target_archE942ELNS1_3gpuE9ELNS1_3repE0EEENS1_30default_config_static_selectorELNS0_4arch9wavefront6targetE1EEEvT1_,@function
_ZN7rocprim17ROCPRIM_400000_NS6detail17trampoline_kernelINS0_14default_configENS1_20scan_config_selectorI11FixedVectorIiLj1EEEEZZNS1_9scan_implILNS1_25lookback_scan_determinismE0ELb1ELb1ES3_N6thrust23THRUST_200600_302600_NS6detail15normal_iteratorINSB_10device_ptrIS6_EEEESG_S6_NSB_4plusIvEES6_EEDaPvRmT3_T4_T5_mT6_P12ihipStream_tbENKUlT_T0_E_clISt17integral_constantIbLb1EESV_IbLb0EEEEDaSR_SS_EUlSR_E0_NS1_11comp_targetILNS1_3genE5ELNS1_11target_archE942ELNS1_3gpuE9ELNS1_3repE0EEENS1_30default_config_static_selectorELNS0_4arch9wavefront6targetE1EEEvT1_: ; @_ZN7rocprim17ROCPRIM_400000_NS6detail17trampoline_kernelINS0_14default_configENS1_20scan_config_selectorI11FixedVectorIiLj1EEEEZZNS1_9scan_implILNS1_25lookback_scan_determinismE0ELb1ELb1ES3_N6thrust23THRUST_200600_302600_NS6detail15normal_iteratorINSB_10device_ptrIS6_EEEESG_S6_NSB_4plusIvEES6_EEDaPvRmT3_T4_T5_mT6_P12ihipStream_tbENKUlT_T0_E_clISt17integral_constantIbLb1EESV_IbLb0EEEEDaSR_SS_EUlSR_E0_NS1_11comp_targetILNS1_3genE5ELNS1_11target_archE942ELNS1_3gpuE9ELNS1_3repE0EEENS1_30default_config_static_selectorELNS0_4arch9wavefront6targetE1EEEvT1_
; %bb.0:
	.section	.rodata,"a",@progbits
	.p2align	6, 0x0
	.amdhsa_kernel _ZN7rocprim17ROCPRIM_400000_NS6detail17trampoline_kernelINS0_14default_configENS1_20scan_config_selectorI11FixedVectorIiLj1EEEEZZNS1_9scan_implILNS1_25lookback_scan_determinismE0ELb1ELb1ES3_N6thrust23THRUST_200600_302600_NS6detail15normal_iteratorINSB_10device_ptrIS6_EEEESG_S6_NSB_4plusIvEES6_EEDaPvRmT3_T4_T5_mT6_P12ihipStream_tbENKUlT_T0_E_clISt17integral_constantIbLb1EESV_IbLb0EEEEDaSR_SS_EUlSR_E0_NS1_11comp_targetILNS1_3genE5ELNS1_11target_archE942ELNS1_3gpuE9ELNS1_3repE0EEENS1_30default_config_static_selectorELNS0_4arch9wavefront6targetE1EEEvT1_
		.amdhsa_group_segment_fixed_size 0
		.amdhsa_private_segment_fixed_size 0
		.amdhsa_kernarg_size 32
		.amdhsa_user_sgpr_count 6
		.amdhsa_user_sgpr_private_segment_buffer 1
		.amdhsa_user_sgpr_dispatch_ptr 0
		.amdhsa_user_sgpr_queue_ptr 0
		.amdhsa_user_sgpr_kernarg_segment_ptr 1
		.amdhsa_user_sgpr_dispatch_id 0
		.amdhsa_user_sgpr_flat_scratch_init 0
		.amdhsa_user_sgpr_kernarg_preload_length 0
		.amdhsa_user_sgpr_kernarg_preload_offset 0
		.amdhsa_user_sgpr_private_segment_size 0
		.amdhsa_uses_dynamic_stack 0
		.amdhsa_system_sgpr_private_segment_wavefront_offset 0
		.amdhsa_system_sgpr_workgroup_id_x 1
		.amdhsa_system_sgpr_workgroup_id_y 0
		.amdhsa_system_sgpr_workgroup_id_z 0
		.amdhsa_system_sgpr_workgroup_info 0
		.amdhsa_system_vgpr_workitem_id 0
		.amdhsa_next_free_vgpr 1
		.amdhsa_next_free_sgpr 0
		.amdhsa_accum_offset 4
		.amdhsa_reserve_vcc 0
		.amdhsa_reserve_flat_scratch 0
		.amdhsa_float_round_mode_32 0
		.amdhsa_float_round_mode_16_64 0
		.amdhsa_float_denorm_mode_32 3
		.amdhsa_float_denorm_mode_16_64 3
		.amdhsa_dx10_clamp 1
		.amdhsa_ieee_mode 1
		.amdhsa_fp16_overflow 0
		.amdhsa_tg_split 0
		.amdhsa_exception_fp_ieee_invalid_op 0
		.amdhsa_exception_fp_denorm_src 0
		.amdhsa_exception_fp_ieee_div_zero 0
		.amdhsa_exception_fp_ieee_overflow 0
		.amdhsa_exception_fp_ieee_underflow 0
		.amdhsa_exception_fp_ieee_inexact 0
		.amdhsa_exception_int_div_zero 0
	.end_amdhsa_kernel
	.section	.text._ZN7rocprim17ROCPRIM_400000_NS6detail17trampoline_kernelINS0_14default_configENS1_20scan_config_selectorI11FixedVectorIiLj1EEEEZZNS1_9scan_implILNS1_25lookback_scan_determinismE0ELb1ELb1ES3_N6thrust23THRUST_200600_302600_NS6detail15normal_iteratorINSB_10device_ptrIS6_EEEESG_S6_NSB_4plusIvEES6_EEDaPvRmT3_T4_T5_mT6_P12ihipStream_tbENKUlT_T0_E_clISt17integral_constantIbLb1EESV_IbLb0EEEEDaSR_SS_EUlSR_E0_NS1_11comp_targetILNS1_3genE5ELNS1_11target_archE942ELNS1_3gpuE9ELNS1_3repE0EEENS1_30default_config_static_selectorELNS0_4arch9wavefront6targetE1EEEvT1_,"axG",@progbits,_ZN7rocprim17ROCPRIM_400000_NS6detail17trampoline_kernelINS0_14default_configENS1_20scan_config_selectorI11FixedVectorIiLj1EEEEZZNS1_9scan_implILNS1_25lookback_scan_determinismE0ELb1ELb1ES3_N6thrust23THRUST_200600_302600_NS6detail15normal_iteratorINSB_10device_ptrIS6_EEEESG_S6_NSB_4plusIvEES6_EEDaPvRmT3_T4_T5_mT6_P12ihipStream_tbENKUlT_T0_E_clISt17integral_constantIbLb1EESV_IbLb0EEEEDaSR_SS_EUlSR_E0_NS1_11comp_targetILNS1_3genE5ELNS1_11target_archE942ELNS1_3gpuE9ELNS1_3repE0EEENS1_30default_config_static_selectorELNS0_4arch9wavefront6targetE1EEEvT1_,comdat
.Lfunc_end6508:
	.size	_ZN7rocprim17ROCPRIM_400000_NS6detail17trampoline_kernelINS0_14default_configENS1_20scan_config_selectorI11FixedVectorIiLj1EEEEZZNS1_9scan_implILNS1_25lookback_scan_determinismE0ELb1ELb1ES3_N6thrust23THRUST_200600_302600_NS6detail15normal_iteratorINSB_10device_ptrIS6_EEEESG_S6_NSB_4plusIvEES6_EEDaPvRmT3_T4_T5_mT6_P12ihipStream_tbENKUlT_T0_E_clISt17integral_constantIbLb1EESV_IbLb0EEEEDaSR_SS_EUlSR_E0_NS1_11comp_targetILNS1_3genE5ELNS1_11target_archE942ELNS1_3gpuE9ELNS1_3repE0EEENS1_30default_config_static_selectorELNS0_4arch9wavefront6targetE1EEEvT1_, .Lfunc_end6508-_ZN7rocprim17ROCPRIM_400000_NS6detail17trampoline_kernelINS0_14default_configENS1_20scan_config_selectorI11FixedVectorIiLj1EEEEZZNS1_9scan_implILNS1_25lookback_scan_determinismE0ELb1ELb1ES3_N6thrust23THRUST_200600_302600_NS6detail15normal_iteratorINSB_10device_ptrIS6_EEEESG_S6_NSB_4plusIvEES6_EEDaPvRmT3_T4_T5_mT6_P12ihipStream_tbENKUlT_T0_E_clISt17integral_constantIbLb1EESV_IbLb0EEEEDaSR_SS_EUlSR_E0_NS1_11comp_targetILNS1_3genE5ELNS1_11target_archE942ELNS1_3gpuE9ELNS1_3repE0EEENS1_30default_config_static_selectorELNS0_4arch9wavefront6targetE1EEEvT1_
                                        ; -- End function
	.section	.AMDGPU.csdata,"",@progbits
; Kernel info:
; codeLenInByte = 0
; NumSgprs: 4
; NumVgprs: 0
; NumAgprs: 0
; TotalNumVgprs: 0
; ScratchSize: 0
; MemoryBound: 0
; FloatMode: 240
; IeeeMode: 1
; LDSByteSize: 0 bytes/workgroup (compile time only)
; SGPRBlocks: 0
; VGPRBlocks: 0
; NumSGPRsForWavesPerEU: 4
; NumVGPRsForWavesPerEU: 1
; AccumOffset: 4
; Occupancy: 8
; WaveLimiterHint : 0
; COMPUTE_PGM_RSRC2:SCRATCH_EN: 0
; COMPUTE_PGM_RSRC2:USER_SGPR: 6
; COMPUTE_PGM_RSRC2:TRAP_HANDLER: 0
; COMPUTE_PGM_RSRC2:TGID_X_EN: 1
; COMPUTE_PGM_RSRC2:TGID_Y_EN: 0
; COMPUTE_PGM_RSRC2:TGID_Z_EN: 0
; COMPUTE_PGM_RSRC2:TIDIG_COMP_CNT: 0
; COMPUTE_PGM_RSRC3_GFX90A:ACCUM_OFFSET: 0
; COMPUTE_PGM_RSRC3_GFX90A:TG_SPLIT: 0
	.section	.text._ZN7rocprim17ROCPRIM_400000_NS6detail17trampoline_kernelINS0_14default_configENS1_20scan_config_selectorI11FixedVectorIiLj1EEEEZZNS1_9scan_implILNS1_25lookback_scan_determinismE0ELb1ELb1ES3_N6thrust23THRUST_200600_302600_NS6detail15normal_iteratorINSB_10device_ptrIS6_EEEESG_S6_NSB_4plusIvEES6_EEDaPvRmT3_T4_T5_mT6_P12ihipStream_tbENKUlT_T0_E_clISt17integral_constantIbLb1EESV_IbLb0EEEEDaSR_SS_EUlSR_E0_NS1_11comp_targetILNS1_3genE4ELNS1_11target_archE910ELNS1_3gpuE8ELNS1_3repE0EEENS1_30default_config_static_selectorELNS0_4arch9wavefront6targetE1EEEvT1_,"axG",@progbits,_ZN7rocprim17ROCPRIM_400000_NS6detail17trampoline_kernelINS0_14default_configENS1_20scan_config_selectorI11FixedVectorIiLj1EEEEZZNS1_9scan_implILNS1_25lookback_scan_determinismE0ELb1ELb1ES3_N6thrust23THRUST_200600_302600_NS6detail15normal_iteratorINSB_10device_ptrIS6_EEEESG_S6_NSB_4plusIvEES6_EEDaPvRmT3_T4_T5_mT6_P12ihipStream_tbENKUlT_T0_E_clISt17integral_constantIbLb1EESV_IbLb0EEEEDaSR_SS_EUlSR_E0_NS1_11comp_targetILNS1_3genE4ELNS1_11target_archE910ELNS1_3gpuE8ELNS1_3repE0EEENS1_30default_config_static_selectorELNS0_4arch9wavefront6targetE1EEEvT1_,comdat
	.protected	_ZN7rocprim17ROCPRIM_400000_NS6detail17trampoline_kernelINS0_14default_configENS1_20scan_config_selectorI11FixedVectorIiLj1EEEEZZNS1_9scan_implILNS1_25lookback_scan_determinismE0ELb1ELb1ES3_N6thrust23THRUST_200600_302600_NS6detail15normal_iteratorINSB_10device_ptrIS6_EEEESG_S6_NSB_4plusIvEES6_EEDaPvRmT3_T4_T5_mT6_P12ihipStream_tbENKUlT_T0_E_clISt17integral_constantIbLb1EESV_IbLb0EEEEDaSR_SS_EUlSR_E0_NS1_11comp_targetILNS1_3genE4ELNS1_11target_archE910ELNS1_3gpuE8ELNS1_3repE0EEENS1_30default_config_static_selectorELNS0_4arch9wavefront6targetE1EEEvT1_ ; -- Begin function _ZN7rocprim17ROCPRIM_400000_NS6detail17trampoline_kernelINS0_14default_configENS1_20scan_config_selectorI11FixedVectorIiLj1EEEEZZNS1_9scan_implILNS1_25lookback_scan_determinismE0ELb1ELb1ES3_N6thrust23THRUST_200600_302600_NS6detail15normal_iteratorINSB_10device_ptrIS6_EEEESG_S6_NSB_4plusIvEES6_EEDaPvRmT3_T4_T5_mT6_P12ihipStream_tbENKUlT_T0_E_clISt17integral_constantIbLb1EESV_IbLb0EEEEDaSR_SS_EUlSR_E0_NS1_11comp_targetILNS1_3genE4ELNS1_11target_archE910ELNS1_3gpuE8ELNS1_3repE0EEENS1_30default_config_static_selectorELNS0_4arch9wavefront6targetE1EEEvT1_
	.globl	_ZN7rocprim17ROCPRIM_400000_NS6detail17trampoline_kernelINS0_14default_configENS1_20scan_config_selectorI11FixedVectorIiLj1EEEEZZNS1_9scan_implILNS1_25lookback_scan_determinismE0ELb1ELb1ES3_N6thrust23THRUST_200600_302600_NS6detail15normal_iteratorINSB_10device_ptrIS6_EEEESG_S6_NSB_4plusIvEES6_EEDaPvRmT3_T4_T5_mT6_P12ihipStream_tbENKUlT_T0_E_clISt17integral_constantIbLb1EESV_IbLb0EEEEDaSR_SS_EUlSR_E0_NS1_11comp_targetILNS1_3genE4ELNS1_11target_archE910ELNS1_3gpuE8ELNS1_3repE0EEENS1_30default_config_static_selectorELNS0_4arch9wavefront6targetE1EEEvT1_
	.p2align	8
	.type	_ZN7rocprim17ROCPRIM_400000_NS6detail17trampoline_kernelINS0_14default_configENS1_20scan_config_selectorI11FixedVectorIiLj1EEEEZZNS1_9scan_implILNS1_25lookback_scan_determinismE0ELb1ELb1ES3_N6thrust23THRUST_200600_302600_NS6detail15normal_iteratorINSB_10device_ptrIS6_EEEESG_S6_NSB_4plusIvEES6_EEDaPvRmT3_T4_T5_mT6_P12ihipStream_tbENKUlT_T0_E_clISt17integral_constantIbLb1EESV_IbLb0EEEEDaSR_SS_EUlSR_E0_NS1_11comp_targetILNS1_3genE4ELNS1_11target_archE910ELNS1_3gpuE8ELNS1_3repE0EEENS1_30default_config_static_selectorELNS0_4arch9wavefront6targetE1EEEvT1_,@function
_ZN7rocprim17ROCPRIM_400000_NS6detail17trampoline_kernelINS0_14default_configENS1_20scan_config_selectorI11FixedVectorIiLj1EEEEZZNS1_9scan_implILNS1_25lookback_scan_determinismE0ELb1ELb1ES3_N6thrust23THRUST_200600_302600_NS6detail15normal_iteratorINSB_10device_ptrIS6_EEEESG_S6_NSB_4plusIvEES6_EEDaPvRmT3_T4_T5_mT6_P12ihipStream_tbENKUlT_T0_E_clISt17integral_constantIbLb1EESV_IbLb0EEEEDaSR_SS_EUlSR_E0_NS1_11comp_targetILNS1_3genE4ELNS1_11target_archE910ELNS1_3gpuE8ELNS1_3repE0EEENS1_30default_config_static_selectorELNS0_4arch9wavefront6targetE1EEEvT1_: ; @_ZN7rocprim17ROCPRIM_400000_NS6detail17trampoline_kernelINS0_14default_configENS1_20scan_config_selectorI11FixedVectorIiLj1EEEEZZNS1_9scan_implILNS1_25lookback_scan_determinismE0ELb1ELb1ES3_N6thrust23THRUST_200600_302600_NS6detail15normal_iteratorINSB_10device_ptrIS6_EEEESG_S6_NSB_4plusIvEES6_EEDaPvRmT3_T4_T5_mT6_P12ihipStream_tbENKUlT_T0_E_clISt17integral_constantIbLb1EESV_IbLb0EEEEDaSR_SS_EUlSR_E0_NS1_11comp_targetILNS1_3genE4ELNS1_11target_archE910ELNS1_3gpuE8ELNS1_3repE0EEENS1_30default_config_static_selectorELNS0_4arch9wavefront6targetE1EEEvT1_
; %bb.0:
	s_load_dwordx4 s[20:23], s[4:5], 0x0
	v_lshlrev_b32_e32 v14, 2, v0
	s_waitcnt lgkmcnt(0)
	s_load_dword s23, s[20:21], 0x0
	v_cmp_gt_u32_e32 vcc, s22, v0
	s_waitcnt lgkmcnt(0)
	v_mov_b32_e32 v1, s23
	s_and_saveexec_b64 s[0:1], vcc
	s_cbranch_execz .LBB6509_2
; %bb.1:
	global_load_dword v1, v14, s[20:21]
.LBB6509_2:
	s_or_b64 exec, exec, s[0:1]
	v_or_b32_e32 v2, 0x80, v0
	v_cmp_gt_u32_e64 s[0:1], s22, v2
	v_mov_b32_e32 v2, s23
	s_and_saveexec_b64 s[2:3], s[0:1]
	s_cbranch_execz .LBB6509_4
; %bb.3:
	global_load_dword v2, v14, s[20:21] offset:512
.LBB6509_4:
	s_or_b64 exec, exec, s[2:3]
	v_or_b32_e32 v3, 0x100, v0
	v_cmp_gt_u32_e64 s[2:3], s22, v3
	v_mov_b32_e32 v3, s23
	s_and_saveexec_b64 s[6:7], s[2:3]
	s_cbranch_execz .LBB6509_6
; %bb.5:
	global_load_dword v3, v14, s[20:21] offset:1024
.LBB6509_6:
	;; [unrolled: 9-line block ×7, first 2 shown]
	s_or_b64 exec, exec, s[14:15]
	v_or_b32_e32 v10, 0x400, v0
	v_cmp_gt_u32_e64 s[14:15], s22, v10
	v_mov_b32_e32 v9, s23
	s_and_saveexec_b64 s[16:17], s[14:15]
	s_cbranch_execz .LBB6509_18
; %bb.17:
	v_lshlrev_b32_e32 v9, 2, v10
	global_load_dword v9, v9, s[20:21]
.LBB6509_18:
	s_or_b64 exec, exec, s[16:17]
	s_load_dword s24, s[4:5], 0x10
	v_or_b32_e32 v11, 0x480, v0
	v_cmp_gt_u32_e64 s[16:17], s22, v11
	v_mov_b32_e32 v10, s23
	s_and_saveexec_b64 s[22:23], s[16:17]
	s_cbranch_execz .LBB6509_20
; %bb.19:
	v_lshlrev_b32_e32 v10, 2, v11
	global_load_dword v10, v10, s[20:21]
.LBB6509_20:
	s_or_b64 exec, exec, s[22:23]
	s_waitcnt vmcnt(0)
	ds_write2st64_b32 v14, v1, v2 offset1:2
	ds_write2st64_b32 v14, v3, v4 offset0:4 offset1:6
	ds_write2st64_b32 v14, v5, v6 offset0:8 offset1:10
	;; [unrolled: 1-line block ×4, first 2 shown]
	v_mad_u32_u24 v1, v0, 36, v14
	s_waitcnt lgkmcnt(0)
	s_barrier
	ds_read2_b64 v[6:9], v1 offset1:1
	ds_read2_b64 v[2:5], v1 offset0:2 offset1:3
	ds_read_b64 v[10:11], v1 offset:32
	s_load_dwordx2 s[20:21], s[4:5], 0x18
	v_cmp_gt_u32_e64 s[4:5], 64, v0
	s_waitcnt lgkmcnt(0)
	v_add_u32_e32 v1, v7, v6
	v_add3_u32 v1, v1, v8, v9
	v_add3_u32 v1, v1, v2, v3
	;; [unrolled: 1-line block ×4, first 2 shown]
	v_lshrrev_b32_e32 v11, 3, v0
	v_and_b32_e32 v11, 12, v11
	v_add_u32_e32 v11, v14, v11
	s_barrier
	ds_write_b32 v11, v1
	s_waitcnt lgkmcnt(0)
	s_barrier
	s_and_saveexec_b64 s[22:23], s[4:5]
	s_cbranch_execz .LBB6509_22
; %bb.21:
	v_lshlrev_b32_e32 v11, 1, v0
	v_lshrrev_b32_e32 v12, 4, v0
	v_add_lshl_u32 v11, v12, v11, 2
	ds_read2_b32 v[12:13], v11 offset1:1
	v_mbcnt_lo_u32_b32 v15, -1, 0
	v_mbcnt_hi_u32_b32 v15, -1, v15
	v_and_b32_e32 v16, 15, v15
	v_cmp_ne_u32_e64 s[4:5], 0, v16
	s_waitcnt lgkmcnt(0)
	v_add_u32_e32 v13, v13, v12
	; wave barrier
	s_nop 1
	v_mov_b32_dpp v17, v13 row_shr:1 row_mask:0xf bank_mask:0xf
	v_cndmask_b32_e64 v17, 0, v17, s[4:5]
	v_add_u32_e32 v13, v17, v13
	v_cmp_lt_u32_e64 s[4:5], 1, v16
	s_nop 0
	v_mov_b32_dpp v17, v13 row_shr:2 row_mask:0xf bank_mask:0xf
	v_cndmask_b32_e64 v17, 0, v17, s[4:5]
	v_add_u32_e32 v13, v13, v17
	v_cmp_lt_u32_e64 s[4:5], 3, v16
	;; [unrolled: 5-line block ×3, first 2 shown]
	s_nop 0
	v_mov_b32_dpp v17, v13 row_shr:8 row_mask:0xf bank_mask:0xf
	v_cndmask_b32_e64 v16, 0, v17, s[4:5]
	v_add_u32_e32 v13, v13, v16
	v_bfe_i32 v17, v15, 4, 1
	v_cmp_lt_u32_e64 s[4:5], 31, v15
	v_mov_b32_dpp v16, v13 row_bcast:15 row_mask:0xf bank_mask:0xf
	v_and_b32_e32 v16, v17, v16
	v_add_u32_e32 v13, v13, v16
	v_and_b32_e32 v17, 64, v15
	s_nop 0
	v_mov_b32_dpp v16, v13 row_bcast:31 row_mask:0xf bank_mask:0xf
	v_cndmask_b32_e64 v16, 0, v16, s[4:5]
	v_add_u32_e32 v13, v13, v16
	v_add_u32_e32 v16, -1, v15
	v_cmp_lt_i32_e64 s[4:5], v16, v17
	v_cndmask_b32_e64 v15, v16, v15, s[4:5]
	v_lshlrev_b32_e32 v15, 2, v15
	ds_bpermute_b32 v13, v15, v13
	v_cmp_eq_u32_e64 s[4:5], 0, v0
	s_waitcnt lgkmcnt(0)
	v_add_u32_e32 v12, v13, v12
	v_cndmask_b32_e64 v1, v12, v1, s[4:5]
	ds_write_b32 v11, v1
	; wave barrier
	ds_read_b32 v12, v11 offset:4
	s_waitcnt lgkmcnt(0)
	v_add_u32_e32 v1, v12, v1
	ds_write_b32 v11, v1 offset:4
.LBB6509_22:
	s_or_b64 exec, exec, s[22:23]
	v_mul_u32_u24_e32 v1, 36, v0
	v_cmp_ne_u32_e64 s[4:5], 0, v0
	v_mov_b32_e32 v12, s24
	s_waitcnt lgkmcnt(0)
	s_barrier
	s_and_saveexec_b64 s[22:23], s[4:5]
	s_cbranch_execz .LBB6509_24
; %bb.23:
	v_add_u32_e32 v0, -1, v0
	v_lshrrev_b32_e32 v11, 5, v0
	v_add_lshl_u32 v0, v11, v0, 2
	ds_read_b32 v0, v0
	s_waitcnt lgkmcnt(0)
	v_add_u32_e32 v12, s24, v0
.LBB6509_24:
	s_or_b64 exec, exec, s[22:23]
	v_add_u32_e32 v13, v12, v6
	v_add_u32_e32 v6, v13, v7
	;; [unrolled: 1-line block ×10, first 2 shown]
	s_barrier
	ds_write2_b64 v0, v[12:13], v[6:7] offset1:1
	ds_write2_b64 v0, v[8:9], v[2:3] offset0:2 offset1:3
	ds_write_b64 v0, v[4:5] offset:32
	s_waitcnt lgkmcnt(0)
	s_barrier
	ds_read2st64_b32 v[8:9], v14 offset0:2 offset1:4
	ds_read2st64_b32 v[6:7], v14 offset0:6 offset1:8
	;; [unrolled: 1-line block ×4, first 2 shown]
	ds_read_b32 v10, v14 offset:4608
	v_mov_b32_e32 v1, s21
	v_add_co_u32_e64 v0, s[4:5], s20, v14
	v_addc_co_u32_e64 v1, s[4:5], 0, v1, s[4:5]
	s_and_saveexec_b64 s[4:5], vcc
	s_cbranch_execnz .LBB6509_35
; %bb.25:
	s_or_b64 exec, exec, s[4:5]
	s_and_saveexec_b64 s[4:5], s[0:1]
	s_cbranch_execnz .LBB6509_36
.LBB6509_26:
	s_or_b64 exec, exec, s[4:5]
	s_and_saveexec_b64 s[0:1], s[2:3]
	s_cbranch_execnz .LBB6509_37
.LBB6509_27:
	s_or_b64 exec, exec, s[0:1]
	s_and_saveexec_b64 s[0:1], s[18:19]
	s_cbranch_execnz .LBB6509_38
.LBB6509_28:
	s_or_b64 exec, exec, s[0:1]
	s_and_saveexec_b64 s[0:1], s[6:7]
	s_cbranch_execnz .LBB6509_39
.LBB6509_29:
	s_or_b64 exec, exec, s[0:1]
	s_and_saveexec_b64 s[0:1], s[8:9]
	s_cbranch_execnz .LBB6509_40
.LBB6509_30:
	s_or_b64 exec, exec, s[0:1]
	s_and_saveexec_b64 s[0:1], s[10:11]
	s_cbranch_execnz .LBB6509_41
.LBB6509_31:
	s_or_b64 exec, exec, s[0:1]
	s_and_saveexec_b64 s[0:1], s[12:13]
	s_cbranch_execnz .LBB6509_42
.LBB6509_32:
	s_or_b64 exec, exec, s[0:1]
	s_and_saveexec_b64 s[0:1], s[14:15]
	s_cbranch_execnz .LBB6509_43
.LBB6509_33:
	s_or_b64 exec, exec, s[0:1]
	s_and_saveexec_b64 s[0:1], s[16:17]
	s_cbranch_execnz .LBB6509_44
.LBB6509_34:
	s_endpgm
.LBB6509_35:
	ds_read_b32 v11, v14
	s_waitcnt lgkmcnt(0)
	global_store_dword v[0:1], v11, off
	s_or_b64 exec, exec, s[4:5]
	s_and_saveexec_b64 s[4:5], s[0:1]
	s_cbranch_execz .LBB6509_26
.LBB6509_36:
	s_waitcnt lgkmcnt(4)
	global_store_dword v[0:1], v8, off offset:512
	s_or_b64 exec, exec, s[4:5]
	s_and_saveexec_b64 s[0:1], s[2:3]
	s_cbranch_execz .LBB6509_27
.LBB6509_37:
	s_waitcnt lgkmcnt(4)
	global_store_dword v[0:1], v9, off offset:1024
	s_or_b64 exec, exec, s[0:1]
	s_and_saveexec_b64 s[0:1], s[18:19]
	s_cbranch_execz .LBB6509_28
.LBB6509_38:
	s_waitcnt lgkmcnt(3)
	global_store_dword v[0:1], v6, off offset:1536
	s_or_b64 exec, exec, s[0:1]
	s_and_saveexec_b64 s[0:1], s[6:7]
	s_cbranch_execz .LBB6509_29
.LBB6509_39:
	s_waitcnt lgkmcnt(3)
	global_store_dword v[0:1], v7, off offset:2048
	s_or_b64 exec, exec, s[0:1]
	s_and_saveexec_b64 s[0:1], s[8:9]
	s_cbranch_execz .LBB6509_30
.LBB6509_40:
	s_waitcnt lgkmcnt(2)
	global_store_dword v[0:1], v4, off offset:2560
	s_or_b64 exec, exec, s[0:1]
	s_and_saveexec_b64 s[0:1], s[10:11]
	s_cbranch_execz .LBB6509_31
.LBB6509_41:
	s_waitcnt lgkmcnt(2)
	global_store_dword v[0:1], v5, off offset:3072
	s_or_b64 exec, exec, s[0:1]
	s_and_saveexec_b64 s[0:1], s[12:13]
	s_cbranch_execz .LBB6509_32
.LBB6509_42:
	s_waitcnt lgkmcnt(1)
	global_store_dword v[0:1], v2, off offset:3584
	s_or_b64 exec, exec, s[0:1]
	s_and_saveexec_b64 s[0:1], s[14:15]
	s_cbranch_execz .LBB6509_33
.LBB6509_43:
	s_waitcnt lgkmcnt(2)
	v_add_co_u32_e32 v4, vcc, 0x1000, v0
	v_addc_co_u32_e32 v5, vcc, 0, v1, vcc
	s_waitcnt lgkmcnt(1)
	global_store_dword v[4:5], v3, off
	s_or_b64 exec, exec, s[0:1]
	s_and_saveexec_b64 s[0:1], s[16:17]
	s_cbranch_execz .LBB6509_34
.LBB6509_44:
	v_add_co_u32_e32 v0, vcc, 0x1000, v0
	v_addc_co_u32_e32 v1, vcc, 0, v1, vcc
	s_waitcnt lgkmcnt(0)
	global_store_dword v[0:1], v10, off offset:512
	s_endpgm
	.section	.rodata,"a",@progbits
	.p2align	6, 0x0
	.amdhsa_kernel _ZN7rocprim17ROCPRIM_400000_NS6detail17trampoline_kernelINS0_14default_configENS1_20scan_config_selectorI11FixedVectorIiLj1EEEEZZNS1_9scan_implILNS1_25lookback_scan_determinismE0ELb1ELb1ES3_N6thrust23THRUST_200600_302600_NS6detail15normal_iteratorINSB_10device_ptrIS6_EEEESG_S6_NSB_4plusIvEES6_EEDaPvRmT3_T4_T5_mT6_P12ihipStream_tbENKUlT_T0_E_clISt17integral_constantIbLb1EESV_IbLb0EEEEDaSR_SS_EUlSR_E0_NS1_11comp_targetILNS1_3genE4ELNS1_11target_archE910ELNS1_3gpuE8ELNS1_3repE0EEENS1_30default_config_static_selectorELNS0_4arch9wavefront6targetE1EEEvT1_
		.amdhsa_group_segment_fixed_size 5120
		.amdhsa_private_segment_fixed_size 0
		.amdhsa_kernarg_size 32
		.amdhsa_user_sgpr_count 6
		.amdhsa_user_sgpr_private_segment_buffer 1
		.amdhsa_user_sgpr_dispatch_ptr 0
		.amdhsa_user_sgpr_queue_ptr 0
		.amdhsa_user_sgpr_kernarg_segment_ptr 1
		.amdhsa_user_sgpr_dispatch_id 0
		.amdhsa_user_sgpr_flat_scratch_init 0
		.amdhsa_user_sgpr_kernarg_preload_length 0
		.amdhsa_user_sgpr_kernarg_preload_offset 0
		.amdhsa_user_sgpr_private_segment_size 0
		.amdhsa_uses_dynamic_stack 0
		.amdhsa_system_sgpr_private_segment_wavefront_offset 0
		.amdhsa_system_sgpr_workgroup_id_x 1
		.amdhsa_system_sgpr_workgroup_id_y 0
		.amdhsa_system_sgpr_workgroup_id_z 0
		.amdhsa_system_sgpr_workgroup_info 0
		.amdhsa_system_vgpr_workitem_id 0
		.amdhsa_next_free_vgpr 18
		.amdhsa_next_free_sgpr 25
		.amdhsa_accum_offset 20
		.amdhsa_reserve_vcc 1
		.amdhsa_reserve_flat_scratch 0
		.amdhsa_float_round_mode_32 0
		.amdhsa_float_round_mode_16_64 0
		.amdhsa_float_denorm_mode_32 3
		.amdhsa_float_denorm_mode_16_64 3
		.amdhsa_dx10_clamp 1
		.amdhsa_ieee_mode 1
		.amdhsa_fp16_overflow 0
		.amdhsa_tg_split 0
		.amdhsa_exception_fp_ieee_invalid_op 0
		.amdhsa_exception_fp_denorm_src 0
		.amdhsa_exception_fp_ieee_div_zero 0
		.amdhsa_exception_fp_ieee_overflow 0
		.amdhsa_exception_fp_ieee_underflow 0
		.amdhsa_exception_fp_ieee_inexact 0
		.amdhsa_exception_int_div_zero 0
	.end_amdhsa_kernel
	.section	.text._ZN7rocprim17ROCPRIM_400000_NS6detail17trampoline_kernelINS0_14default_configENS1_20scan_config_selectorI11FixedVectorIiLj1EEEEZZNS1_9scan_implILNS1_25lookback_scan_determinismE0ELb1ELb1ES3_N6thrust23THRUST_200600_302600_NS6detail15normal_iteratorINSB_10device_ptrIS6_EEEESG_S6_NSB_4plusIvEES6_EEDaPvRmT3_T4_T5_mT6_P12ihipStream_tbENKUlT_T0_E_clISt17integral_constantIbLb1EESV_IbLb0EEEEDaSR_SS_EUlSR_E0_NS1_11comp_targetILNS1_3genE4ELNS1_11target_archE910ELNS1_3gpuE8ELNS1_3repE0EEENS1_30default_config_static_selectorELNS0_4arch9wavefront6targetE1EEEvT1_,"axG",@progbits,_ZN7rocprim17ROCPRIM_400000_NS6detail17trampoline_kernelINS0_14default_configENS1_20scan_config_selectorI11FixedVectorIiLj1EEEEZZNS1_9scan_implILNS1_25lookback_scan_determinismE0ELb1ELb1ES3_N6thrust23THRUST_200600_302600_NS6detail15normal_iteratorINSB_10device_ptrIS6_EEEESG_S6_NSB_4plusIvEES6_EEDaPvRmT3_T4_T5_mT6_P12ihipStream_tbENKUlT_T0_E_clISt17integral_constantIbLb1EESV_IbLb0EEEEDaSR_SS_EUlSR_E0_NS1_11comp_targetILNS1_3genE4ELNS1_11target_archE910ELNS1_3gpuE8ELNS1_3repE0EEENS1_30default_config_static_selectorELNS0_4arch9wavefront6targetE1EEEvT1_,comdat
.Lfunc_end6509:
	.size	_ZN7rocprim17ROCPRIM_400000_NS6detail17trampoline_kernelINS0_14default_configENS1_20scan_config_selectorI11FixedVectorIiLj1EEEEZZNS1_9scan_implILNS1_25lookback_scan_determinismE0ELb1ELb1ES3_N6thrust23THRUST_200600_302600_NS6detail15normal_iteratorINSB_10device_ptrIS6_EEEESG_S6_NSB_4plusIvEES6_EEDaPvRmT3_T4_T5_mT6_P12ihipStream_tbENKUlT_T0_E_clISt17integral_constantIbLb1EESV_IbLb0EEEEDaSR_SS_EUlSR_E0_NS1_11comp_targetILNS1_3genE4ELNS1_11target_archE910ELNS1_3gpuE8ELNS1_3repE0EEENS1_30default_config_static_selectorELNS0_4arch9wavefront6targetE1EEEvT1_, .Lfunc_end6509-_ZN7rocprim17ROCPRIM_400000_NS6detail17trampoline_kernelINS0_14default_configENS1_20scan_config_selectorI11FixedVectorIiLj1EEEEZZNS1_9scan_implILNS1_25lookback_scan_determinismE0ELb1ELb1ES3_N6thrust23THRUST_200600_302600_NS6detail15normal_iteratorINSB_10device_ptrIS6_EEEESG_S6_NSB_4plusIvEES6_EEDaPvRmT3_T4_T5_mT6_P12ihipStream_tbENKUlT_T0_E_clISt17integral_constantIbLb1EESV_IbLb0EEEEDaSR_SS_EUlSR_E0_NS1_11comp_targetILNS1_3genE4ELNS1_11target_archE910ELNS1_3gpuE8ELNS1_3repE0EEENS1_30default_config_static_selectorELNS0_4arch9wavefront6targetE1EEEvT1_
                                        ; -- End function
	.section	.AMDGPU.csdata,"",@progbits
; Kernel info:
; codeLenInByte = 1536
; NumSgprs: 29
; NumVgprs: 18
; NumAgprs: 0
; TotalNumVgprs: 18
; ScratchSize: 0
; MemoryBound: 0
; FloatMode: 240
; IeeeMode: 1
; LDSByteSize: 5120 bytes/workgroup (compile time only)
; SGPRBlocks: 3
; VGPRBlocks: 2
; NumSGPRsForWavesPerEU: 29
; NumVGPRsForWavesPerEU: 18
; AccumOffset: 20
; Occupancy: 6
; WaveLimiterHint : 0
; COMPUTE_PGM_RSRC2:SCRATCH_EN: 0
; COMPUTE_PGM_RSRC2:USER_SGPR: 6
; COMPUTE_PGM_RSRC2:TRAP_HANDLER: 0
; COMPUTE_PGM_RSRC2:TGID_X_EN: 1
; COMPUTE_PGM_RSRC2:TGID_Y_EN: 0
; COMPUTE_PGM_RSRC2:TGID_Z_EN: 0
; COMPUTE_PGM_RSRC2:TIDIG_COMP_CNT: 0
; COMPUTE_PGM_RSRC3_GFX90A:ACCUM_OFFSET: 4
; COMPUTE_PGM_RSRC3_GFX90A:TG_SPLIT: 0
	.section	.text._ZN7rocprim17ROCPRIM_400000_NS6detail17trampoline_kernelINS0_14default_configENS1_20scan_config_selectorI11FixedVectorIiLj1EEEEZZNS1_9scan_implILNS1_25lookback_scan_determinismE0ELb1ELb1ES3_N6thrust23THRUST_200600_302600_NS6detail15normal_iteratorINSB_10device_ptrIS6_EEEESG_S6_NSB_4plusIvEES6_EEDaPvRmT3_T4_T5_mT6_P12ihipStream_tbENKUlT_T0_E_clISt17integral_constantIbLb1EESV_IbLb0EEEEDaSR_SS_EUlSR_E0_NS1_11comp_targetILNS1_3genE3ELNS1_11target_archE908ELNS1_3gpuE7ELNS1_3repE0EEENS1_30default_config_static_selectorELNS0_4arch9wavefront6targetE1EEEvT1_,"axG",@progbits,_ZN7rocprim17ROCPRIM_400000_NS6detail17trampoline_kernelINS0_14default_configENS1_20scan_config_selectorI11FixedVectorIiLj1EEEEZZNS1_9scan_implILNS1_25lookback_scan_determinismE0ELb1ELb1ES3_N6thrust23THRUST_200600_302600_NS6detail15normal_iteratorINSB_10device_ptrIS6_EEEESG_S6_NSB_4plusIvEES6_EEDaPvRmT3_T4_T5_mT6_P12ihipStream_tbENKUlT_T0_E_clISt17integral_constantIbLb1EESV_IbLb0EEEEDaSR_SS_EUlSR_E0_NS1_11comp_targetILNS1_3genE3ELNS1_11target_archE908ELNS1_3gpuE7ELNS1_3repE0EEENS1_30default_config_static_selectorELNS0_4arch9wavefront6targetE1EEEvT1_,comdat
	.protected	_ZN7rocprim17ROCPRIM_400000_NS6detail17trampoline_kernelINS0_14default_configENS1_20scan_config_selectorI11FixedVectorIiLj1EEEEZZNS1_9scan_implILNS1_25lookback_scan_determinismE0ELb1ELb1ES3_N6thrust23THRUST_200600_302600_NS6detail15normal_iteratorINSB_10device_ptrIS6_EEEESG_S6_NSB_4plusIvEES6_EEDaPvRmT3_T4_T5_mT6_P12ihipStream_tbENKUlT_T0_E_clISt17integral_constantIbLb1EESV_IbLb0EEEEDaSR_SS_EUlSR_E0_NS1_11comp_targetILNS1_3genE3ELNS1_11target_archE908ELNS1_3gpuE7ELNS1_3repE0EEENS1_30default_config_static_selectorELNS0_4arch9wavefront6targetE1EEEvT1_ ; -- Begin function _ZN7rocprim17ROCPRIM_400000_NS6detail17trampoline_kernelINS0_14default_configENS1_20scan_config_selectorI11FixedVectorIiLj1EEEEZZNS1_9scan_implILNS1_25lookback_scan_determinismE0ELb1ELb1ES3_N6thrust23THRUST_200600_302600_NS6detail15normal_iteratorINSB_10device_ptrIS6_EEEESG_S6_NSB_4plusIvEES6_EEDaPvRmT3_T4_T5_mT6_P12ihipStream_tbENKUlT_T0_E_clISt17integral_constantIbLb1EESV_IbLb0EEEEDaSR_SS_EUlSR_E0_NS1_11comp_targetILNS1_3genE3ELNS1_11target_archE908ELNS1_3gpuE7ELNS1_3repE0EEENS1_30default_config_static_selectorELNS0_4arch9wavefront6targetE1EEEvT1_
	.globl	_ZN7rocprim17ROCPRIM_400000_NS6detail17trampoline_kernelINS0_14default_configENS1_20scan_config_selectorI11FixedVectorIiLj1EEEEZZNS1_9scan_implILNS1_25lookback_scan_determinismE0ELb1ELb1ES3_N6thrust23THRUST_200600_302600_NS6detail15normal_iteratorINSB_10device_ptrIS6_EEEESG_S6_NSB_4plusIvEES6_EEDaPvRmT3_T4_T5_mT6_P12ihipStream_tbENKUlT_T0_E_clISt17integral_constantIbLb1EESV_IbLb0EEEEDaSR_SS_EUlSR_E0_NS1_11comp_targetILNS1_3genE3ELNS1_11target_archE908ELNS1_3gpuE7ELNS1_3repE0EEENS1_30default_config_static_selectorELNS0_4arch9wavefront6targetE1EEEvT1_
	.p2align	8
	.type	_ZN7rocprim17ROCPRIM_400000_NS6detail17trampoline_kernelINS0_14default_configENS1_20scan_config_selectorI11FixedVectorIiLj1EEEEZZNS1_9scan_implILNS1_25lookback_scan_determinismE0ELb1ELb1ES3_N6thrust23THRUST_200600_302600_NS6detail15normal_iteratorINSB_10device_ptrIS6_EEEESG_S6_NSB_4plusIvEES6_EEDaPvRmT3_T4_T5_mT6_P12ihipStream_tbENKUlT_T0_E_clISt17integral_constantIbLb1EESV_IbLb0EEEEDaSR_SS_EUlSR_E0_NS1_11comp_targetILNS1_3genE3ELNS1_11target_archE908ELNS1_3gpuE7ELNS1_3repE0EEENS1_30default_config_static_selectorELNS0_4arch9wavefront6targetE1EEEvT1_,@function
_ZN7rocprim17ROCPRIM_400000_NS6detail17trampoline_kernelINS0_14default_configENS1_20scan_config_selectorI11FixedVectorIiLj1EEEEZZNS1_9scan_implILNS1_25lookback_scan_determinismE0ELb1ELb1ES3_N6thrust23THRUST_200600_302600_NS6detail15normal_iteratorINSB_10device_ptrIS6_EEEESG_S6_NSB_4plusIvEES6_EEDaPvRmT3_T4_T5_mT6_P12ihipStream_tbENKUlT_T0_E_clISt17integral_constantIbLb1EESV_IbLb0EEEEDaSR_SS_EUlSR_E0_NS1_11comp_targetILNS1_3genE3ELNS1_11target_archE908ELNS1_3gpuE7ELNS1_3repE0EEENS1_30default_config_static_selectorELNS0_4arch9wavefront6targetE1EEEvT1_: ; @_ZN7rocprim17ROCPRIM_400000_NS6detail17trampoline_kernelINS0_14default_configENS1_20scan_config_selectorI11FixedVectorIiLj1EEEEZZNS1_9scan_implILNS1_25lookback_scan_determinismE0ELb1ELb1ES3_N6thrust23THRUST_200600_302600_NS6detail15normal_iteratorINSB_10device_ptrIS6_EEEESG_S6_NSB_4plusIvEES6_EEDaPvRmT3_T4_T5_mT6_P12ihipStream_tbENKUlT_T0_E_clISt17integral_constantIbLb1EESV_IbLb0EEEEDaSR_SS_EUlSR_E0_NS1_11comp_targetILNS1_3genE3ELNS1_11target_archE908ELNS1_3gpuE7ELNS1_3repE0EEENS1_30default_config_static_selectorELNS0_4arch9wavefront6targetE1EEEvT1_
; %bb.0:
	.section	.rodata,"a",@progbits
	.p2align	6, 0x0
	.amdhsa_kernel _ZN7rocprim17ROCPRIM_400000_NS6detail17trampoline_kernelINS0_14default_configENS1_20scan_config_selectorI11FixedVectorIiLj1EEEEZZNS1_9scan_implILNS1_25lookback_scan_determinismE0ELb1ELb1ES3_N6thrust23THRUST_200600_302600_NS6detail15normal_iteratorINSB_10device_ptrIS6_EEEESG_S6_NSB_4plusIvEES6_EEDaPvRmT3_T4_T5_mT6_P12ihipStream_tbENKUlT_T0_E_clISt17integral_constantIbLb1EESV_IbLb0EEEEDaSR_SS_EUlSR_E0_NS1_11comp_targetILNS1_3genE3ELNS1_11target_archE908ELNS1_3gpuE7ELNS1_3repE0EEENS1_30default_config_static_selectorELNS0_4arch9wavefront6targetE1EEEvT1_
		.amdhsa_group_segment_fixed_size 0
		.amdhsa_private_segment_fixed_size 0
		.amdhsa_kernarg_size 32
		.amdhsa_user_sgpr_count 6
		.amdhsa_user_sgpr_private_segment_buffer 1
		.amdhsa_user_sgpr_dispatch_ptr 0
		.amdhsa_user_sgpr_queue_ptr 0
		.amdhsa_user_sgpr_kernarg_segment_ptr 1
		.amdhsa_user_sgpr_dispatch_id 0
		.amdhsa_user_sgpr_flat_scratch_init 0
		.amdhsa_user_sgpr_kernarg_preload_length 0
		.amdhsa_user_sgpr_kernarg_preload_offset 0
		.amdhsa_user_sgpr_private_segment_size 0
		.amdhsa_uses_dynamic_stack 0
		.amdhsa_system_sgpr_private_segment_wavefront_offset 0
		.amdhsa_system_sgpr_workgroup_id_x 1
		.amdhsa_system_sgpr_workgroup_id_y 0
		.amdhsa_system_sgpr_workgroup_id_z 0
		.amdhsa_system_sgpr_workgroup_info 0
		.amdhsa_system_vgpr_workitem_id 0
		.amdhsa_next_free_vgpr 1
		.amdhsa_next_free_sgpr 0
		.amdhsa_accum_offset 4
		.amdhsa_reserve_vcc 0
		.amdhsa_reserve_flat_scratch 0
		.amdhsa_float_round_mode_32 0
		.amdhsa_float_round_mode_16_64 0
		.amdhsa_float_denorm_mode_32 3
		.amdhsa_float_denorm_mode_16_64 3
		.amdhsa_dx10_clamp 1
		.amdhsa_ieee_mode 1
		.amdhsa_fp16_overflow 0
		.amdhsa_tg_split 0
		.amdhsa_exception_fp_ieee_invalid_op 0
		.amdhsa_exception_fp_denorm_src 0
		.amdhsa_exception_fp_ieee_div_zero 0
		.amdhsa_exception_fp_ieee_overflow 0
		.amdhsa_exception_fp_ieee_underflow 0
		.amdhsa_exception_fp_ieee_inexact 0
		.amdhsa_exception_int_div_zero 0
	.end_amdhsa_kernel
	.section	.text._ZN7rocprim17ROCPRIM_400000_NS6detail17trampoline_kernelINS0_14default_configENS1_20scan_config_selectorI11FixedVectorIiLj1EEEEZZNS1_9scan_implILNS1_25lookback_scan_determinismE0ELb1ELb1ES3_N6thrust23THRUST_200600_302600_NS6detail15normal_iteratorINSB_10device_ptrIS6_EEEESG_S6_NSB_4plusIvEES6_EEDaPvRmT3_T4_T5_mT6_P12ihipStream_tbENKUlT_T0_E_clISt17integral_constantIbLb1EESV_IbLb0EEEEDaSR_SS_EUlSR_E0_NS1_11comp_targetILNS1_3genE3ELNS1_11target_archE908ELNS1_3gpuE7ELNS1_3repE0EEENS1_30default_config_static_selectorELNS0_4arch9wavefront6targetE1EEEvT1_,"axG",@progbits,_ZN7rocprim17ROCPRIM_400000_NS6detail17trampoline_kernelINS0_14default_configENS1_20scan_config_selectorI11FixedVectorIiLj1EEEEZZNS1_9scan_implILNS1_25lookback_scan_determinismE0ELb1ELb1ES3_N6thrust23THRUST_200600_302600_NS6detail15normal_iteratorINSB_10device_ptrIS6_EEEESG_S6_NSB_4plusIvEES6_EEDaPvRmT3_T4_T5_mT6_P12ihipStream_tbENKUlT_T0_E_clISt17integral_constantIbLb1EESV_IbLb0EEEEDaSR_SS_EUlSR_E0_NS1_11comp_targetILNS1_3genE3ELNS1_11target_archE908ELNS1_3gpuE7ELNS1_3repE0EEENS1_30default_config_static_selectorELNS0_4arch9wavefront6targetE1EEEvT1_,comdat
.Lfunc_end6510:
	.size	_ZN7rocprim17ROCPRIM_400000_NS6detail17trampoline_kernelINS0_14default_configENS1_20scan_config_selectorI11FixedVectorIiLj1EEEEZZNS1_9scan_implILNS1_25lookback_scan_determinismE0ELb1ELb1ES3_N6thrust23THRUST_200600_302600_NS6detail15normal_iteratorINSB_10device_ptrIS6_EEEESG_S6_NSB_4plusIvEES6_EEDaPvRmT3_T4_T5_mT6_P12ihipStream_tbENKUlT_T0_E_clISt17integral_constantIbLb1EESV_IbLb0EEEEDaSR_SS_EUlSR_E0_NS1_11comp_targetILNS1_3genE3ELNS1_11target_archE908ELNS1_3gpuE7ELNS1_3repE0EEENS1_30default_config_static_selectorELNS0_4arch9wavefront6targetE1EEEvT1_, .Lfunc_end6510-_ZN7rocprim17ROCPRIM_400000_NS6detail17trampoline_kernelINS0_14default_configENS1_20scan_config_selectorI11FixedVectorIiLj1EEEEZZNS1_9scan_implILNS1_25lookback_scan_determinismE0ELb1ELb1ES3_N6thrust23THRUST_200600_302600_NS6detail15normal_iteratorINSB_10device_ptrIS6_EEEESG_S6_NSB_4plusIvEES6_EEDaPvRmT3_T4_T5_mT6_P12ihipStream_tbENKUlT_T0_E_clISt17integral_constantIbLb1EESV_IbLb0EEEEDaSR_SS_EUlSR_E0_NS1_11comp_targetILNS1_3genE3ELNS1_11target_archE908ELNS1_3gpuE7ELNS1_3repE0EEENS1_30default_config_static_selectorELNS0_4arch9wavefront6targetE1EEEvT1_
                                        ; -- End function
	.section	.AMDGPU.csdata,"",@progbits
; Kernel info:
; codeLenInByte = 0
; NumSgprs: 4
; NumVgprs: 0
; NumAgprs: 0
; TotalNumVgprs: 0
; ScratchSize: 0
; MemoryBound: 0
; FloatMode: 240
; IeeeMode: 1
; LDSByteSize: 0 bytes/workgroup (compile time only)
; SGPRBlocks: 0
; VGPRBlocks: 0
; NumSGPRsForWavesPerEU: 4
; NumVGPRsForWavesPerEU: 1
; AccumOffset: 4
; Occupancy: 8
; WaveLimiterHint : 0
; COMPUTE_PGM_RSRC2:SCRATCH_EN: 0
; COMPUTE_PGM_RSRC2:USER_SGPR: 6
; COMPUTE_PGM_RSRC2:TRAP_HANDLER: 0
; COMPUTE_PGM_RSRC2:TGID_X_EN: 1
; COMPUTE_PGM_RSRC2:TGID_Y_EN: 0
; COMPUTE_PGM_RSRC2:TGID_Z_EN: 0
; COMPUTE_PGM_RSRC2:TIDIG_COMP_CNT: 0
; COMPUTE_PGM_RSRC3_GFX90A:ACCUM_OFFSET: 0
; COMPUTE_PGM_RSRC3_GFX90A:TG_SPLIT: 0
	.section	.text._ZN7rocprim17ROCPRIM_400000_NS6detail17trampoline_kernelINS0_14default_configENS1_20scan_config_selectorI11FixedVectorIiLj1EEEEZZNS1_9scan_implILNS1_25lookback_scan_determinismE0ELb1ELb1ES3_N6thrust23THRUST_200600_302600_NS6detail15normal_iteratorINSB_10device_ptrIS6_EEEESG_S6_NSB_4plusIvEES6_EEDaPvRmT3_T4_T5_mT6_P12ihipStream_tbENKUlT_T0_E_clISt17integral_constantIbLb1EESV_IbLb0EEEEDaSR_SS_EUlSR_E0_NS1_11comp_targetILNS1_3genE2ELNS1_11target_archE906ELNS1_3gpuE6ELNS1_3repE0EEENS1_30default_config_static_selectorELNS0_4arch9wavefront6targetE1EEEvT1_,"axG",@progbits,_ZN7rocprim17ROCPRIM_400000_NS6detail17trampoline_kernelINS0_14default_configENS1_20scan_config_selectorI11FixedVectorIiLj1EEEEZZNS1_9scan_implILNS1_25lookback_scan_determinismE0ELb1ELb1ES3_N6thrust23THRUST_200600_302600_NS6detail15normal_iteratorINSB_10device_ptrIS6_EEEESG_S6_NSB_4plusIvEES6_EEDaPvRmT3_T4_T5_mT6_P12ihipStream_tbENKUlT_T0_E_clISt17integral_constantIbLb1EESV_IbLb0EEEEDaSR_SS_EUlSR_E0_NS1_11comp_targetILNS1_3genE2ELNS1_11target_archE906ELNS1_3gpuE6ELNS1_3repE0EEENS1_30default_config_static_selectorELNS0_4arch9wavefront6targetE1EEEvT1_,comdat
	.protected	_ZN7rocprim17ROCPRIM_400000_NS6detail17trampoline_kernelINS0_14default_configENS1_20scan_config_selectorI11FixedVectorIiLj1EEEEZZNS1_9scan_implILNS1_25lookback_scan_determinismE0ELb1ELb1ES3_N6thrust23THRUST_200600_302600_NS6detail15normal_iteratorINSB_10device_ptrIS6_EEEESG_S6_NSB_4plusIvEES6_EEDaPvRmT3_T4_T5_mT6_P12ihipStream_tbENKUlT_T0_E_clISt17integral_constantIbLb1EESV_IbLb0EEEEDaSR_SS_EUlSR_E0_NS1_11comp_targetILNS1_3genE2ELNS1_11target_archE906ELNS1_3gpuE6ELNS1_3repE0EEENS1_30default_config_static_selectorELNS0_4arch9wavefront6targetE1EEEvT1_ ; -- Begin function _ZN7rocprim17ROCPRIM_400000_NS6detail17trampoline_kernelINS0_14default_configENS1_20scan_config_selectorI11FixedVectorIiLj1EEEEZZNS1_9scan_implILNS1_25lookback_scan_determinismE0ELb1ELb1ES3_N6thrust23THRUST_200600_302600_NS6detail15normal_iteratorINSB_10device_ptrIS6_EEEESG_S6_NSB_4plusIvEES6_EEDaPvRmT3_T4_T5_mT6_P12ihipStream_tbENKUlT_T0_E_clISt17integral_constantIbLb1EESV_IbLb0EEEEDaSR_SS_EUlSR_E0_NS1_11comp_targetILNS1_3genE2ELNS1_11target_archE906ELNS1_3gpuE6ELNS1_3repE0EEENS1_30default_config_static_selectorELNS0_4arch9wavefront6targetE1EEEvT1_
	.globl	_ZN7rocprim17ROCPRIM_400000_NS6detail17trampoline_kernelINS0_14default_configENS1_20scan_config_selectorI11FixedVectorIiLj1EEEEZZNS1_9scan_implILNS1_25lookback_scan_determinismE0ELb1ELb1ES3_N6thrust23THRUST_200600_302600_NS6detail15normal_iteratorINSB_10device_ptrIS6_EEEESG_S6_NSB_4plusIvEES6_EEDaPvRmT3_T4_T5_mT6_P12ihipStream_tbENKUlT_T0_E_clISt17integral_constantIbLb1EESV_IbLb0EEEEDaSR_SS_EUlSR_E0_NS1_11comp_targetILNS1_3genE2ELNS1_11target_archE906ELNS1_3gpuE6ELNS1_3repE0EEENS1_30default_config_static_selectorELNS0_4arch9wavefront6targetE1EEEvT1_
	.p2align	8
	.type	_ZN7rocprim17ROCPRIM_400000_NS6detail17trampoline_kernelINS0_14default_configENS1_20scan_config_selectorI11FixedVectorIiLj1EEEEZZNS1_9scan_implILNS1_25lookback_scan_determinismE0ELb1ELb1ES3_N6thrust23THRUST_200600_302600_NS6detail15normal_iteratorINSB_10device_ptrIS6_EEEESG_S6_NSB_4plusIvEES6_EEDaPvRmT3_T4_T5_mT6_P12ihipStream_tbENKUlT_T0_E_clISt17integral_constantIbLb1EESV_IbLb0EEEEDaSR_SS_EUlSR_E0_NS1_11comp_targetILNS1_3genE2ELNS1_11target_archE906ELNS1_3gpuE6ELNS1_3repE0EEENS1_30default_config_static_selectorELNS0_4arch9wavefront6targetE1EEEvT1_,@function
_ZN7rocprim17ROCPRIM_400000_NS6detail17trampoline_kernelINS0_14default_configENS1_20scan_config_selectorI11FixedVectorIiLj1EEEEZZNS1_9scan_implILNS1_25lookback_scan_determinismE0ELb1ELb1ES3_N6thrust23THRUST_200600_302600_NS6detail15normal_iteratorINSB_10device_ptrIS6_EEEESG_S6_NSB_4plusIvEES6_EEDaPvRmT3_T4_T5_mT6_P12ihipStream_tbENKUlT_T0_E_clISt17integral_constantIbLb1EESV_IbLb0EEEEDaSR_SS_EUlSR_E0_NS1_11comp_targetILNS1_3genE2ELNS1_11target_archE906ELNS1_3gpuE6ELNS1_3repE0EEENS1_30default_config_static_selectorELNS0_4arch9wavefront6targetE1EEEvT1_: ; @_ZN7rocprim17ROCPRIM_400000_NS6detail17trampoline_kernelINS0_14default_configENS1_20scan_config_selectorI11FixedVectorIiLj1EEEEZZNS1_9scan_implILNS1_25lookback_scan_determinismE0ELb1ELb1ES3_N6thrust23THRUST_200600_302600_NS6detail15normal_iteratorINSB_10device_ptrIS6_EEEESG_S6_NSB_4plusIvEES6_EEDaPvRmT3_T4_T5_mT6_P12ihipStream_tbENKUlT_T0_E_clISt17integral_constantIbLb1EESV_IbLb0EEEEDaSR_SS_EUlSR_E0_NS1_11comp_targetILNS1_3genE2ELNS1_11target_archE906ELNS1_3gpuE6ELNS1_3repE0EEENS1_30default_config_static_selectorELNS0_4arch9wavefront6targetE1EEEvT1_
; %bb.0:
	.section	.rodata,"a",@progbits
	.p2align	6, 0x0
	.amdhsa_kernel _ZN7rocprim17ROCPRIM_400000_NS6detail17trampoline_kernelINS0_14default_configENS1_20scan_config_selectorI11FixedVectorIiLj1EEEEZZNS1_9scan_implILNS1_25lookback_scan_determinismE0ELb1ELb1ES3_N6thrust23THRUST_200600_302600_NS6detail15normal_iteratorINSB_10device_ptrIS6_EEEESG_S6_NSB_4plusIvEES6_EEDaPvRmT3_T4_T5_mT6_P12ihipStream_tbENKUlT_T0_E_clISt17integral_constantIbLb1EESV_IbLb0EEEEDaSR_SS_EUlSR_E0_NS1_11comp_targetILNS1_3genE2ELNS1_11target_archE906ELNS1_3gpuE6ELNS1_3repE0EEENS1_30default_config_static_selectorELNS0_4arch9wavefront6targetE1EEEvT1_
		.amdhsa_group_segment_fixed_size 0
		.amdhsa_private_segment_fixed_size 0
		.amdhsa_kernarg_size 32
		.amdhsa_user_sgpr_count 6
		.amdhsa_user_sgpr_private_segment_buffer 1
		.amdhsa_user_sgpr_dispatch_ptr 0
		.amdhsa_user_sgpr_queue_ptr 0
		.amdhsa_user_sgpr_kernarg_segment_ptr 1
		.amdhsa_user_sgpr_dispatch_id 0
		.amdhsa_user_sgpr_flat_scratch_init 0
		.amdhsa_user_sgpr_kernarg_preload_length 0
		.amdhsa_user_sgpr_kernarg_preload_offset 0
		.amdhsa_user_sgpr_private_segment_size 0
		.amdhsa_uses_dynamic_stack 0
		.amdhsa_system_sgpr_private_segment_wavefront_offset 0
		.amdhsa_system_sgpr_workgroup_id_x 1
		.amdhsa_system_sgpr_workgroup_id_y 0
		.amdhsa_system_sgpr_workgroup_id_z 0
		.amdhsa_system_sgpr_workgroup_info 0
		.amdhsa_system_vgpr_workitem_id 0
		.amdhsa_next_free_vgpr 1
		.amdhsa_next_free_sgpr 0
		.amdhsa_accum_offset 4
		.amdhsa_reserve_vcc 0
		.amdhsa_reserve_flat_scratch 0
		.amdhsa_float_round_mode_32 0
		.amdhsa_float_round_mode_16_64 0
		.amdhsa_float_denorm_mode_32 3
		.amdhsa_float_denorm_mode_16_64 3
		.amdhsa_dx10_clamp 1
		.amdhsa_ieee_mode 1
		.amdhsa_fp16_overflow 0
		.amdhsa_tg_split 0
		.amdhsa_exception_fp_ieee_invalid_op 0
		.amdhsa_exception_fp_denorm_src 0
		.amdhsa_exception_fp_ieee_div_zero 0
		.amdhsa_exception_fp_ieee_overflow 0
		.amdhsa_exception_fp_ieee_underflow 0
		.amdhsa_exception_fp_ieee_inexact 0
		.amdhsa_exception_int_div_zero 0
	.end_amdhsa_kernel
	.section	.text._ZN7rocprim17ROCPRIM_400000_NS6detail17trampoline_kernelINS0_14default_configENS1_20scan_config_selectorI11FixedVectorIiLj1EEEEZZNS1_9scan_implILNS1_25lookback_scan_determinismE0ELb1ELb1ES3_N6thrust23THRUST_200600_302600_NS6detail15normal_iteratorINSB_10device_ptrIS6_EEEESG_S6_NSB_4plusIvEES6_EEDaPvRmT3_T4_T5_mT6_P12ihipStream_tbENKUlT_T0_E_clISt17integral_constantIbLb1EESV_IbLb0EEEEDaSR_SS_EUlSR_E0_NS1_11comp_targetILNS1_3genE2ELNS1_11target_archE906ELNS1_3gpuE6ELNS1_3repE0EEENS1_30default_config_static_selectorELNS0_4arch9wavefront6targetE1EEEvT1_,"axG",@progbits,_ZN7rocprim17ROCPRIM_400000_NS6detail17trampoline_kernelINS0_14default_configENS1_20scan_config_selectorI11FixedVectorIiLj1EEEEZZNS1_9scan_implILNS1_25lookback_scan_determinismE0ELb1ELb1ES3_N6thrust23THRUST_200600_302600_NS6detail15normal_iteratorINSB_10device_ptrIS6_EEEESG_S6_NSB_4plusIvEES6_EEDaPvRmT3_T4_T5_mT6_P12ihipStream_tbENKUlT_T0_E_clISt17integral_constantIbLb1EESV_IbLb0EEEEDaSR_SS_EUlSR_E0_NS1_11comp_targetILNS1_3genE2ELNS1_11target_archE906ELNS1_3gpuE6ELNS1_3repE0EEENS1_30default_config_static_selectorELNS0_4arch9wavefront6targetE1EEEvT1_,comdat
.Lfunc_end6511:
	.size	_ZN7rocprim17ROCPRIM_400000_NS6detail17trampoline_kernelINS0_14default_configENS1_20scan_config_selectorI11FixedVectorIiLj1EEEEZZNS1_9scan_implILNS1_25lookback_scan_determinismE0ELb1ELb1ES3_N6thrust23THRUST_200600_302600_NS6detail15normal_iteratorINSB_10device_ptrIS6_EEEESG_S6_NSB_4plusIvEES6_EEDaPvRmT3_T4_T5_mT6_P12ihipStream_tbENKUlT_T0_E_clISt17integral_constantIbLb1EESV_IbLb0EEEEDaSR_SS_EUlSR_E0_NS1_11comp_targetILNS1_3genE2ELNS1_11target_archE906ELNS1_3gpuE6ELNS1_3repE0EEENS1_30default_config_static_selectorELNS0_4arch9wavefront6targetE1EEEvT1_, .Lfunc_end6511-_ZN7rocprim17ROCPRIM_400000_NS6detail17trampoline_kernelINS0_14default_configENS1_20scan_config_selectorI11FixedVectorIiLj1EEEEZZNS1_9scan_implILNS1_25lookback_scan_determinismE0ELb1ELb1ES3_N6thrust23THRUST_200600_302600_NS6detail15normal_iteratorINSB_10device_ptrIS6_EEEESG_S6_NSB_4plusIvEES6_EEDaPvRmT3_T4_T5_mT6_P12ihipStream_tbENKUlT_T0_E_clISt17integral_constantIbLb1EESV_IbLb0EEEEDaSR_SS_EUlSR_E0_NS1_11comp_targetILNS1_3genE2ELNS1_11target_archE906ELNS1_3gpuE6ELNS1_3repE0EEENS1_30default_config_static_selectorELNS0_4arch9wavefront6targetE1EEEvT1_
                                        ; -- End function
	.section	.AMDGPU.csdata,"",@progbits
; Kernel info:
; codeLenInByte = 0
; NumSgprs: 4
; NumVgprs: 0
; NumAgprs: 0
; TotalNumVgprs: 0
; ScratchSize: 0
; MemoryBound: 0
; FloatMode: 240
; IeeeMode: 1
; LDSByteSize: 0 bytes/workgroup (compile time only)
; SGPRBlocks: 0
; VGPRBlocks: 0
; NumSGPRsForWavesPerEU: 4
; NumVGPRsForWavesPerEU: 1
; AccumOffset: 4
; Occupancy: 8
; WaveLimiterHint : 0
; COMPUTE_PGM_RSRC2:SCRATCH_EN: 0
; COMPUTE_PGM_RSRC2:USER_SGPR: 6
; COMPUTE_PGM_RSRC2:TRAP_HANDLER: 0
; COMPUTE_PGM_RSRC2:TGID_X_EN: 1
; COMPUTE_PGM_RSRC2:TGID_Y_EN: 0
; COMPUTE_PGM_RSRC2:TGID_Z_EN: 0
; COMPUTE_PGM_RSRC2:TIDIG_COMP_CNT: 0
; COMPUTE_PGM_RSRC3_GFX90A:ACCUM_OFFSET: 0
; COMPUTE_PGM_RSRC3_GFX90A:TG_SPLIT: 0
	.section	.text._ZN7rocprim17ROCPRIM_400000_NS6detail17trampoline_kernelINS0_14default_configENS1_20scan_config_selectorI11FixedVectorIiLj1EEEEZZNS1_9scan_implILNS1_25lookback_scan_determinismE0ELb1ELb1ES3_N6thrust23THRUST_200600_302600_NS6detail15normal_iteratorINSB_10device_ptrIS6_EEEESG_S6_NSB_4plusIvEES6_EEDaPvRmT3_T4_T5_mT6_P12ihipStream_tbENKUlT_T0_E_clISt17integral_constantIbLb1EESV_IbLb0EEEEDaSR_SS_EUlSR_E0_NS1_11comp_targetILNS1_3genE10ELNS1_11target_archE1201ELNS1_3gpuE5ELNS1_3repE0EEENS1_30default_config_static_selectorELNS0_4arch9wavefront6targetE1EEEvT1_,"axG",@progbits,_ZN7rocprim17ROCPRIM_400000_NS6detail17trampoline_kernelINS0_14default_configENS1_20scan_config_selectorI11FixedVectorIiLj1EEEEZZNS1_9scan_implILNS1_25lookback_scan_determinismE0ELb1ELb1ES3_N6thrust23THRUST_200600_302600_NS6detail15normal_iteratorINSB_10device_ptrIS6_EEEESG_S6_NSB_4plusIvEES6_EEDaPvRmT3_T4_T5_mT6_P12ihipStream_tbENKUlT_T0_E_clISt17integral_constantIbLb1EESV_IbLb0EEEEDaSR_SS_EUlSR_E0_NS1_11comp_targetILNS1_3genE10ELNS1_11target_archE1201ELNS1_3gpuE5ELNS1_3repE0EEENS1_30default_config_static_selectorELNS0_4arch9wavefront6targetE1EEEvT1_,comdat
	.protected	_ZN7rocprim17ROCPRIM_400000_NS6detail17trampoline_kernelINS0_14default_configENS1_20scan_config_selectorI11FixedVectorIiLj1EEEEZZNS1_9scan_implILNS1_25lookback_scan_determinismE0ELb1ELb1ES3_N6thrust23THRUST_200600_302600_NS6detail15normal_iteratorINSB_10device_ptrIS6_EEEESG_S6_NSB_4plusIvEES6_EEDaPvRmT3_T4_T5_mT6_P12ihipStream_tbENKUlT_T0_E_clISt17integral_constantIbLb1EESV_IbLb0EEEEDaSR_SS_EUlSR_E0_NS1_11comp_targetILNS1_3genE10ELNS1_11target_archE1201ELNS1_3gpuE5ELNS1_3repE0EEENS1_30default_config_static_selectorELNS0_4arch9wavefront6targetE1EEEvT1_ ; -- Begin function _ZN7rocprim17ROCPRIM_400000_NS6detail17trampoline_kernelINS0_14default_configENS1_20scan_config_selectorI11FixedVectorIiLj1EEEEZZNS1_9scan_implILNS1_25lookback_scan_determinismE0ELb1ELb1ES3_N6thrust23THRUST_200600_302600_NS6detail15normal_iteratorINSB_10device_ptrIS6_EEEESG_S6_NSB_4plusIvEES6_EEDaPvRmT3_T4_T5_mT6_P12ihipStream_tbENKUlT_T0_E_clISt17integral_constantIbLb1EESV_IbLb0EEEEDaSR_SS_EUlSR_E0_NS1_11comp_targetILNS1_3genE10ELNS1_11target_archE1201ELNS1_3gpuE5ELNS1_3repE0EEENS1_30default_config_static_selectorELNS0_4arch9wavefront6targetE1EEEvT1_
	.globl	_ZN7rocprim17ROCPRIM_400000_NS6detail17trampoline_kernelINS0_14default_configENS1_20scan_config_selectorI11FixedVectorIiLj1EEEEZZNS1_9scan_implILNS1_25lookback_scan_determinismE0ELb1ELb1ES3_N6thrust23THRUST_200600_302600_NS6detail15normal_iteratorINSB_10device_ptrIS6_EEEESG_S6_NSB_4plusIvEES6_EEDaPvRmT3_T4_T5_mT6_P12ihipStream_tbENKUlT_T0_E_clISt17integral_constantIbLb1EESV_IbLb0EEEEDaSR_SS_EUlSR_E0_NS1_11comp_targetILNS1_3genE10ELNS1_11target_archE1201ELNS1_3gpuE5ELNS1_3repE0EEENS1_30default_config_static_selectorELNS0_4arch9wavefront6targetE1EEEvT1_
	.p2align	8
	.type	_ZN7rocprim17ROCPRIM_400000_NS6detail17trampoline_kernelINS0_14default_configENS1_20scan_config_selectorI11FixedVectorIiLj1EEEEZZNS1_9scan_implILNS1_25lookback_scan_determinismE0ELb1ELb1ES3_N6thrust23THRUST_200600_302600_NS6detail15normal_iteratorINSB_10device_ptrIS6_EEEESG_S6_NSB_4plusIvEES6_EEDaPvRmT3_T4_T5_mT6_P12ihipStream_tbENKUlT_T0_E_clISt17integral_constantIbLb1EESV_IbLb0EEEEDaSR_SS_EUlSR_E0_NS1_11comp_targetILNS1_3genE10ELNS1_11target_archE1201ELNS1_3gpuE5ELNS1_3repE0EEENS1_30default_config_static_selectorELNS0_4arch9wavefront6targetE1EEEvT1_,@function
_ZN7rocprim17ROCPRIM_400000_NS6detail17trampoline_kernelINS0_14default_configENS1_20scan_config_selectorI11FixedVectorIiLj1EEEEZZNS1_9scan_implILNS1_25lookback_scan_determinismE0ELb1ELb1ES3_N6thrust23THRUST_200600_302600_NS6detail15normal_iteratorINSB_10device_ptrIS6_EEEESG_S6_NSB_4plusIvEES6_EEDaPvRmT3_T4_T5_mT6_P12ihipStream_tbENKUlT_T0_E_clISt17integral_constantIbLb1EESV_IbLb0EEEEDaSR_SS_EUlSR_E0_NS1_11comp_targetILNS1_3genE10ELNS1_11target_archE1201ELNS1_3gpuE5ELNS1_3repE0EEENS1_30default_config_static_selectorELNS0_4arch9wavefront6targetE1EEEvT1_: ; @_ZN7rocprim17ROCPRIM_400000_NS6detail17trampoline_kernelINS0_14default_configENS1_20scan_config_selectorI11FixedVectorIiLj1EEEEZZNS1_9scan_implILNS1_25lookback_scan_determinismE0ELb1ELb1ES3_N6thrust23THRUST_200600_302600_NS6detail15normal_iteratorINSB_10device_ptrIS6_EEEESG_S6_NSB_4plusIvEES6_EEDaPvRmT3_T4_T5_mT6_P12ihipStream_tbENKUlT_T0_E_clISt17integral_constantIbLb1EESV_IbLb0EEEEDaSR_SS_EUlSR_E0_NS1_11comp_targetILNS1_3genE10ELNS1_11target_archE1201ELNS1_3gpuE5ELNS1_3repE0EEENS1_30default_config_static_selectorELNS0_4arch9wavefront6targetE1EEEvT1_
; %bb.0:
	.section	.rodata,"a",@progbits
	.p2align	6, 0x0
	.amdhsa_kernel _ZN7rocprim17ROCPRIM_400000_NS6detail17trampoline_kernelINS0_14default_configENS1_20scan_config_selectorI11FixedVectorIiLj1EEEEZZNS1_9scan_implILNS1_25lookback_scan_determinismE0ELb1ELb1ES3_N6thrust23THRUST_200600_302600_NS6detail15normal_iteratorINSB_10device_ptrIS6_EEEESG_S6_NSB_4plusIvEES6_EEDaPvRmT3_T4_T5_mT6_P12ihipStream_tbENKUlT_T0_E_clISt17integral_constantIbLb1EESV_IbLb0EEEEDaSR_SS_EUlSR_E0_NS1_11comp_targetILNS1_3genE10ELNS1_11target_archE1201ELNS1_3gpuE5ELNS1_3repE0EEENS1_30default_config_static_selectorELNS0_4arch9wavefront6targetE1EEEvT1_
		.amdhsa_group_segment_fixed_size 0
		.amdhsa_private_segment_fixed_size 0
		.amdhsa_kernarg_size 32
		.amdhsa_user_sgpr_count 6
		.amdhsa_user_sgpr_private_segment_buffer 1
		.amdhsa_user_sgpr_dispatch_ptr 0
		.amdhsa_user_sgpr_queue_ptr 0
		.amdhsa_user_sgpr_kernarg_segment_ptr 1
		.amdhsa_user_sgpr_dispatch_id 0
		.amdhsa_user_sgpr_flat_scratch_init 0
		.amdhsa_user_sgpr_kernarg_preload_length 0
		.amdhsa_user_sgpr_kernarg_preload_offset 0
		.amdhsa_user_sgpr_private_segment_size 0
		.amdhsa_uses_dynamic_stack 0
		.amdhsa_system_sgpr_private_segment_wavefront_offset 0
		.amdhsa_system_sgpr_workgroup_id_x 1
		.amdhsa_system_sgpr_workgroup_id_y 0
		.amdhsa_system_sgpr_workgroup_id_z 0
		.amdhsa_system_sgpr_workgroup_info 0
		.amdhsa_system_vgpr_workitem_id 0
		.amdhsa_next_free_vgpr 1
		.amdhsa_next_free_sgpr 0
		.amdhsa_accum_offset 4
		.amdhsa_reserve_vcc 0
		.amdhsa_reserve_flat_scratch 0
		.amdhsa_float_round_mode_32 0
		.amdhsa_float_round_mode_16_64 0
		.amdhsa_float_denorm_mode_32 3
		.amdhsa_float_denorm_mode_16_64 3
		.amdhsa_dx10_clamp 1
		.amdhsa_ieee_mode 1
		.amdhsa_fp16_overflow 0
		.amdhsa_tg_split 0
		.amdhsa_exception_fp_ieee_invalid_op 0
		.amdhsa_exception_fp_denorm_src 0
		.amdhsa_exception_fp_ieee_div_zero 0
		.amdhsa_exception_fp_ieee_overflow 0
		.amdhsa_exception_fp_ieee_underflow 0
		.amdhsa_exception_fp_ieee_inexact 0
		.amdhsa_exception_int_div_zero 0
	.end_amdhsa_kernel
	.section	.text._ZN7rocprim17ROCPRIM_400000_NS6detail17trampoline_kernelINS0_14default_configENS1_20scan_config_selectorI11FixedVectorIiLj1EEEEZZNS1_9scan_implILNS1_25lookback_scan_determinismE0ELb1ELb1ES3_N6thrust23THRUST_200600_302600_NS6detail15normal_iteratorINSB_10device_ptrIS6_EEEESG_S6_NSB_4plusIvEES6_EEDaPvRmT3_T4_T5_mT6_P12ihipStream_tbENKUlT_T0_E_clISt17integral_constantIbLb1EESV_IbLb0EEEEDaSR_SS_EUlSR_E0_NS1_11comp_targetILNS1_3genE10ELNS1_11target_archE1201ELNS1_3gpuE5ELNS1_3repE0EEENS1_30default_config_static_selectorELNS0_4arch9wavefront6targetE1EEEvT1_,"axG",@progbits,_ZN7rocprim17ROCPRIM_400000_NS6detail17trampoline_kernelINS0_14default_configENS1_20scan_config_selectorI11FixedVectorIiLj1EEEEZZNS1_9scan_implILNS1_25lookback_scan_determinismE0ELb1ELb1ES3_N6thrust23THRUST_200600_302600_NS6detail15normal_iteratorINSB_10device_ptrIS6_EEEESG_S6_NSB_4plusIvEES6_EEDaPvRmT3_T4_T5_mT6_P12ihipStream_tbENKUlT_T0_E_clISt17integral_constantIbLb1EESV_IbLb0EEEEDaSR_SS_EUlSR_E0_NS1_11comp_targetILNS1_3genE10ELNS1_11target_archE1201ELNS1_3gpuE5ELNS1_3repE0EEENS1_30default_config_static_selectorELNS0_4arch9wavefront6targetE1EEEvT1_,comdat
.Lfunc_end6512:
	.size	_ZN7rocprim17ROCPRIM_400000_NS6detail17trampoline_kernelINS0_14default_configENS1_20scan_config_selectorI11FixedVectorIiLj1EEEEZZNS1_9scan_implILNS1_25lookback_scan_determinismE0ELb1ELb1ES3_N6thrust23THRUST_200600_302600_NS6detail15normal_iteratorINSB_10device_ptrIS6_EEEESG_S6_NSB_4plusIvEES6_EEDaPvRmT3_T4_T5_mT6_P12ihipStream_tbENKUlT_T0_E_clISt17integral_constantIbLb1EESV_IbLb0EEEEDaSR_SS_EUlSR_E0_NS1_11comp_targetILNS1_3genE10ELNS1_11target_archE1201ELNS1_3gpuE5ELNS1_3repE0EEENS1_30default_config_static_selectorELNS0_4arch9wavefront6targetE1EEEvT1_, .Lfunc_end6512-_ZN7rocprim17ROCPRIM_400000_NS6detail17trampoline_kernelINS0_14default_configENS1_20scan_config_selectorI11FixedVectorIiLj1EEEEZZNS1_9scan_implILNS1_25lookback_scan_determinismE0ELb1ELb1ES3_N6thrust23THRUST_200600_302600_NS6detail15normal_iteratorINSB_10device_ptrIS6_EEEESG_S6_NSB_4plusIvEES6_EEDaPvRmT3_T4_T5_mT6_P12ihipStream_tbENKUlT_T0_E_clISt17integral_constantIbLb1EESV_IbLb0EEEEDaSR_SS_EUlSR_E0_NS1_11comp_targetILNS1_3genE10ELNS1_11target_archE1201ELNS1_3gpuE5ELNS1_3repE0EEENS1_30default_config_static_selectorELNS0_4arch9wavefront6targetE1EEEvT1_
                                        ; -- End function
	.section	.AMDGPU.csdata,"",@progbits
; Kernel info:
; codeLenInByte = 0
; NumSgprs: 4
; NumVgprs: 0
; NumAgprs: 0
; TotalNumVgprs: 0
; ScratchSize: 0
; MemoryBound: 0
; FloatMode: 240
; IeeeMode: 1
; LDSByteSize: 0 bytes/workgroup (compile time only)
; SGPRBlocks: 0
; VGPRBlocks: 0
; NumSGPRsForWavesPerEU: 4
; NumVGPRsForWavesPerEU: 1
; AccumOffset: 4
; Occupancy: 8
; WaveLimiterHint : 0
; COMPUTE_PGM_RSRC2:SCRATCH_EN: 0
; COMPUTE_PGM_RSRC2:USER_SGPR: 6
; COMPUTE_PGM_RSRC2:TRAP_HANDLER: 0
; COMPUTE_PGM_RSRC2:TGID_X_EN: 1
; COMPUTE_PGM_RSRC2:TGID_Y_EN: 0
; COMPUTE_PGM_RSRC2:TGID_Z_EN: 0
; COMPUTE_PGM_RSRC2:TIDIG_COMP_CNT: 0
; COMPUTE_PGM_RSRC3_GFX90A:ACCUM_OFFSET: 0
; COMPUTE_PGM_RSRC3_GFX90A:TG_SPLIT: 0
	.section	.text._ZN7rocprim17ROCPRIM_400000_NS6detail17trampoline_kernelINS0_14default_configENS1_20scan_config_selectorI11FixedVectorIiLj1EEEEZZNS1_9scan_implILNS1_25lookback_scan_determinismE0ELb1ELb1ES3_N6thrust23THRUST_200600_302600_NS6detail15normal_iteratorINSB_10device_ptrIS6_EEEESG_S6_NSB_4plusIvEES6_EEDaPvRmT3_T4_T5_mT6_P12ihipStream_tbENKUlT_T0_E_clISt17integral_constantIbLb1EESV_IbLb0EEEEDaSR_SS_EUlSR_E0_NS1_11comp_targetILNS1_3genE10ELNS1_11target_archE1200ELNS1_3gpuE4ELNS1_3repE0EEENS1_30default_config_static_selectorELNS0_4arch9wavefront6targetE1EEEvT1_,"axG",@progbits,_ZN7rocprim17ROCPRIM_400000_NS6detail17trampoline_kernelINS0_14default_configENS1_20scan_config_selectorI11FixedVectorIiLj1EEEEZZNS1_9scan_implILNS1_25lookback_scan_determinismE0ELb1ELb1ES3_N6thrust23THRUST_200600_302600_NS6detail15normal_iteratorINSB_10device_ptrIS6_EEEESG_S6_NSB_4plusIvEES6_EEDaPvRmT3_T4_T5_mT6_P12ihipStream_tbENKUlT_T0_E_clISt17integral_constantIbLb1EESV_IbLb0EEEEDaSR_SS_EUlSR_E0_NS1_11comp_targetILNS1_3genE10ELNS1_11target_archE1200ELNS1_3gpuE4ELNS1_3repE0EEENS1_30default_config_static_selectorELNS0_4arch9wavefront6targetE1EEEvT1_,comdat
	.protected	_ZN7rocprim17ROCPRIM_400000_NS6detail17trampoline_kernelINS0_14default_configENS1_20scan_config_selectorI11FixedVectorIiLj1EEEEZZNS1_9scan_implILNS1_25lookback_scan_determinismE0ELb1ELb1ES3_N6thrust23THRUST_200600_302600_NS6detail15normal_iteratorINSB_10device_ptrIS6_EEEESG_S6_NSB_4plusIvEES6_EEDaPvRmT3_T4_T5_mT6_P12ihipStream_tbENKUlT_T0_E_clISt17integral_constantIbLb1EESV_IbLb0EEEEDaSR_SS_EUlSR_E0_NS1_11comp_targetILNS1_3genE10ELNS1_11target_archE1200ELNS1_3gpuE4ELNS1_3repE0EEENS1_30default_config_static_selectorELNS0_4arch9wavefront6targetE1EEEvT1_ ; -- Begin function _ZN7rocprim17ROCPRIM_400000_NS6detail17trampoline_kernelINS0_14default_configENS1_20scan_config_selectorI11FixedVectorIiLj1EEEEZZNS1_9scan_implILNS1_25lookback_scan_determinismE0ELb1ELb1ES3_N6thrust23THRUST_200600_302600_NS6detail15normal_iteratorINSB_10device_ptrIS6_EEEESG_S6_NSB_4plusIvEES6_EEDaPvRmT3_T4_T5_mT6_P12ihipStream_tbENKUlT_T0_E_clISt17integral_constantIbLb1EESV_IbLb0EEEEDaSR_SS_EUlSR_E0_NS1_11comp_targetILNS1_3genE10ELNS1_11target_archE1200ELNS1_3gpuE4ELNS1_3repE0EEENS1_30default_config_static_selectorELNS0_4arch9wavefront6targetE1EEEvT1_
	.globl	_ZN7rocprim17ROCPRIM_400000_NS6detail17trampoline_kernelINS0_14default_configENS1_20scan_config_selectorI11FixedVectorIiLj1EEEEZZNS1_9scan_implILNS1_25lookback_scan_determinismE0ELb1ELb1ES3_N6thrust23THRUST_200600_302600_NS6detail15normal_iteratorINSB_10device_ptrIS6_EEEESG_S6_NSB_4plusIvEES6_EEDaPvRmT3_T4_T5_mT6_P12ihipStream_tbENKUlT_T0_E_clISt17integral_constantIbLb1EESV_IbLb0EEEEDaSR_SS_EUlSR_E0_NS1_11comp_targetILNS1_3genE10ELNS1_11target_archE1200ELNS1_3gpuE4ELNS1_3repE0EEENS1_30default_config_static_selectorELNS0_4arch9wavefront6targetE1EEEvT1_
	.p2align	8
	.type	_ZN7rocprim17ROCPRIM_400000_NS6detail17trampoline_kernelINS0_14default_configENS1_20scan_config_selectorI11FixedVectorIiLj1EEEEZZNS1_9scan_implILNS1_25lookback_scan_determinismE0ELb1ELb1ES3_N6thrust23THRUST_200600_302600_NS6detail15normal_iteratorINSB_10device_ptrIS6_EEEESG_S6_NSB_4plusIvEES6_EEDaPvRmT3_T4_T5_mT6_P12ihipStream_tbENKUlT_T0_E_clISt17integral_constantIbLb1EESV_IbLb0EEEEDaSR_SS_EUlSR_E0_NS1_11comp_targetILNS1_3genE10ELNS1_11target_archE1200ELNS1_3gpuE4ELNS1_3repE0EEENS1_30default_config_static_selectorELNS0_4arch9wavefront6targetE1EEEvT1_,@function
_ZN7rocprim17ROCPRIM_400000_NS6detail17trampoline_kernelINS0_14default_configENS1_20scan_config_selectorI11FixedVectorIiLj1EEEEZZNS1_9scan_implILNS1_25lookback_scan_determinismE0ELb1ELb1ES3_N6thrust23THRUST_200600_302600_NS6detail15normal_iteratorINSB_10device_ptrIS6_EEEESG_S6_NSB_4plusIvEES6_EEDaPvRmT3_T4_T5_mT6_P12ihipStream_tbENKUlT_T0_E_clISt17integral_constantIbLb1EESV_IbLb0EEEEDaSR_SS_EUlSR_E0_NS1_11comp_targetILNS1_3genE10ELNS1_11target_archE1200ELNS1_3gpuE4ELNS1_3repE0EEENS1_30default_config_static_selectorELNS0_4arch9wavefront6targetE1EEEvT1_: ; @_ZN7rocprim17ROCPRIM_400000_NS6detail17trampoline_kernelINS0_14default_configENS1_20scan_config_selectorI11FixedVectorIiLj1EEEEZZNS1_9scan_implILNS1_25lookback_scan_determinismE0ELb1ELb1ES3_N6thrust23THRUST_200600_302600_NS6detail15normal_iteratorINSB_10device_ptrIS6_EEEESG_S6_NSB_4plusIvEES6_EEDaPvRmT3_T4_T5_mT6_P12ihipStream_tbENKUlT_T0_E_clISt17integral_constantIbLb1EESV_IbLb0EEEEDaSR_SS_EUlSR_E0_NS1_11comp_targetILNS1_3genE10ELNS1_11target_archE1200ELNS1_3gpuE4ELNS1_3repE0EEENS1_30default_config_static_selectorELNS0_4arch9wavefront6targetE1EEEvT1_
; %bb.0:
	.section	.rodata,"a",@progbits
	.p2align	6, 0x0
	.amdhsa_kernel _ZN7rocprim17ROCPRIM_400000_NS6detail17trampoline_kernelINS0_14default_configENS1_20scan_config_selectorI11FixedVectorIiLj1EEEEZZNS1_9scan_implILNS1_25lookback_scan_determinismE0ELb1ELb1ES3_N6thrust23THRUST_200600_302600_NS6detail15normal_iteratorINSB_10device_ptrIS6_EEEESG_S6_NSB_4plusIvEES6_EEDaPvRmT3_T4_T5_mT6_P12ihipStream_tbENKUlT_T0_E_clISt17integral_constantIbLb1EESV_IbLb0EEEEDaSR_SS_EUlSR_E0_NS1_11comp_targetILNS1_3genE10ELNS1_11target_archE1200ELNS1_3gpuE4ELNS1_3repE0EEENS1_30default_config_static_selectorELNS0_4arch9wavefront6targetE1EEEvT1_
		.amdhsa_group_segment_fixed_size 0
		.amdhsa_private_segment_fixed_size 0
		.amdhsa_kernarg_size 32
		.amdhsa_user_sgpr_count 6
		.amdhsa_user_sgpr_private_segment_buffer 1
		.amdhsa_user_sgpr_dispatch_ptr 0
		.amdhsa_user_sgpr_queue_ptr 0
		.amdhsa_user_sgpr_kernarg_segment_ptr 1
		.amdhsa_user_sgpr_dispatch_id 0
		.amdhsa_user_sgpr_flat_scratch_init 0
		.amdhsa_user_sgpr_kernarg_preload_length 0
		.amdhsa_user_sgpr_kernarg_preload_offset 0
		.amdhsa_user_sgpr_private_segment_size 0
		.amdhsa_uses_dynamic_stack 0
		.amdhsa_system_sgpr_private_segment_wavefront_offset 0
		.amdhsa_system_sgpr_workgroup_id_x 1
		.amdhsa_system_sgpr_workgroup_id_y 0
		.amdhsa_system_sgpr_workgroup_id_z 0
		.amdhsa_system_sgpr_workgroup_info 0
		.amdhsa_system_vgpr_workitem_id 0
		.amdhsa_next_free_vgpr 1
		.amdhsa_next_free_sgpr 0
		.amdhsa_accum_offset 4
		.amdhsa_reserve_vcc 0
		.amdhsa_reserve_flat_scratch 0
		.amdhsa_float_round_mode_32 0
		.amdhsa_float_round_mode_16_64 0
		.amdhsa_float_denorm_mode_32 3
		.amdhsa_float_denorm_mode_16_64 3
		.amdhsa_dx10_clamp 1
		.amdhsa_ieee_mode 1
		.amdhsa_fp16_overflow 0
		.amdhsa_tg_split 0
		.amdhsa_exception_fp_ieee_invalid_op 0
		.amdhsa_exception_fp_denorm_src 0
		.amdhsa_exception_fp_ieee_div_zero 0
		.amdhsa_exception_fp_ieee_overflow 0
		.amdhsa_exception_fp_ieee_underflow 0
		.amdhsa_exception_fp_ieee_inexact 0
		.amdhsa_exception_int_div_zero 0
	.end_amdhsa_kernel
	.section	.text._ZN7rocprim17ROCPRIM_400000_NS6detail17trampoline_kernelINS0_14default_configENS1_20scan_config_selectorI11FixedVectorIiLj1EEEEZZNS1_9scan_implILNS1_25lookback_scan_determinismE0ELb1ELb1ES3_N6thrust23THRUST_200600_302600_NS6detail15normal_iteratorINSB_10device_ptrIS6_EEEESG_S6_NSB_4plusIvEES6_EEDaPvRmT3_T4_T5_mT6_P12ihipStream_tbENKUlT_T0_E_clISt17integral_constantIbLb1EESV_IbLb0EEEEDaSR_SS_EUlSR_E0_NS1_11comp_targetILNS1_3genE10ELNS1_11target_archE1200ELNS1_3gpuE4ELNS1_3repE0EEENS1_30default_config_static_selectorELNS0_4arch9wavefront6targetE1EEEvT1_,"axG",@progbits,_ZN7rocprim17ROCPRIM_400000_NS6detail17trampoline_kernelINS0_14default_configENS1_20scan_config_selectorI11FixedVectorIiLj1EEEEZZNS1_9scan_implILNS1_25lookback_scan_determinismE0ELb1ELb1ES3_N6thrust23THRUST_200600_302600_NS6detail15normal_iteratorINSB_10device_ptrIS6_EEEESG_S6_NSB_4plusIvEES6_EEDaPvRmT3_T4_T5_mT6_P12ihipStream_tbENKUlT_T0_E_clISt17integral_constantIbLb1EESV_IbLb0EEEEDaSR_SS_EUlSR_E0_NS1_11comp_targetILNS1_3genE10ELNS1_11target_archE1200ELNS1_3gpuE4ELNS1_3repE0EEENS1_30default_config_static_selectorELNS0_4arch9wavefront6targetE1EEEvT1_,comdat
.Lfunc_end6513:
	.size	_ZN7rocprim17ROCPRIM_400000_NS6detail17trampoline_kernelINS0_14default_configENS1_20scan_config_selectorI11FixedVectorIiLj1EEEEZZNS1_9scan_implILNS1_25lookback_scan_determinismE0ELb1ELb1ES3_N6thrust23THRUST_200600_302600_NS6detail15normal_iteratorINSB_10device_ptrIS6_EEEESG_S6_NSB_4plusIvEES6_EEDaPvRmT3_T4_T5_mT6_P12ihipStream_tbENKUlT_T0_E_clISt17integral_constantIbLb1EESV_IbLb0EEEEDaSR_SS_EUlSR_E0_NS1_11comp_targetILNS1_3genE10ELNS1_11target_archE1200ELNS1_3gpuE4ELNS1_3repE0EEENS1_30default_config_static_selectorELNS0_4arch9wavefront6targetE1EEEvT1_, .Lfunc_end6513-_ZN7rocprim17ROCPRIM_400000_NS6detail17trampoline_kernelINS0_14default_configENS1_20scan_config_selectorI11FixedVectorIiLj1EEEEZZNS1_9scan_implILNS1_25lookback_scan_determinismE0ELb1ELb1ES3_N6thrust23THRUST_200600_302600_NS6detail15normal_iteratorINSB_10device_ptrIS6_EEEESG_S6_NSB_4plusIvEES6_EEDaPvRmT3_T4_T5_mT6_P12ihipStream_tbENKUlT_T0_E_clISt17integral_constantIbLb1EESV_IbLb0EEEEDaSR_SS_EUlSR_E0_NS1_11comp_targetILNS1_3genE10ELNS1_11target_archE1200ELNS1_3gpuE4ELNS1_3repE0EEENS1_30default_config_static_selectorELNS0_4arch9wavefront6targetE1EEEvT1_
                                        ; -- End function
	.section	.AMDGPU.csdata,"",@progbits
; Kernel info:
; codeLenInByte = 0
; NumSgprs: 4
; NumVgprs: 0
; NumAgprs: 0
; TotalNumVgprs: 0
; ScratchSize: 0
; MemoryBound: 0
; FloatMode: 240
; IeeeMode: 1
; LDSByteSize: 0 bytes/workgroup (compile time only)
; SGPRBlocks: 0
; VGPRBlocks: 0
; NumSGPRsForWavesPerEU: 4
; NumVGPRsForWavesPerEU: 1
; AccumOffset: 4
; Occupancy: 8
; WaveLimiterHint : 0
; COMPUTE_PGM_RSRC2:SCRATCH_EN: 0
; COMPUTE_PGM_RSRC2:USER_SGPR: 6
; COMPUTE_PGM_RSRC2:TRAP_HANDLER: 0
; COMPUTE_PGM_RSRC2:TGID_X_EN: 1
; COMPUTE_PGM_RSRC2:TGID_Y_EN: 0
; COMPUTE_PGM_RSRC2:TGID_Z_EN: 0
; COMPUTE_PGM_RSRC2:TIDIG_COMP_CNT: 0
; COMPUTE_PGM_RSRC3_GFX90A:ACCUM_OFFSET: 0
; COMPUTE_PGM_RSRC3_GFX90A:TG_SPLIT: 0
	.section	.text._ZN7rocprim17ROCPRIM_400000_NS6detail17trampoline_kernelINS0_14default_configENS1_20scan_config_selectorI11FixedVectorIiLj1EEEEZZNS1_9scan_implILNS1_25lookback_scan_determinismE0ELb1ELb1ES3_N6thrust23THRUST_200600_302600_NS6detail15normal_iteratorINSB_10device_ptrIS6_EEEESG_S6_NSB_4plusIvEES6_EEDaPvRmT3_T4_T5_mT6_P12ihipStream_tbENKUlT_T0_E_clISt17integral_constantIbLb1EESV_IbLb0EEEEDaSR_SS_EUlSR_E0_NS1_11comp_targetILNS1_3genE9ELNS1_11target_archE1100ELNS1_3gpuE3ELNS1_3repE0EEENS1_30default_config_static_selectorELNS0_4arch9wavefront6targetE1EEEvT1_,"axG",@progbits,_ZN7rocprim17ROCPRIM_400000_NS6detail17trampoline_kernelINS0_14default_configENS1_20scan_config_selectorI11FixedVectorIiLj1EEEEZZNS1_9scan_implILNS1_25lookback_scan_determinismE0ELb1ELb1ES3_N6thrust23THRUST_200600_302600_NS6detail15normal_iteratorINSB_10device_ptrIS6_EEEESG_S6_NSB_4plusIvEES6_EEDaPvRmT3_T4_T5_mT6_P12ihipStream_tbENKUlT_T0_E_clISt17integral_constantIbLb1EESV_IbLb0EEEEDaSR_SS_EUlSR_E0_NS1_11comp_targetILNS1_3genE9ELNS1_11target_archE1100ELNS1_3gpuE3ELNS1_3repE0EEENS1_30default_config_static_selectorELNS0_4arch9wavefront6targetE1EEEvT1_,comdat
	.protected	_ZN7rocprim17ROCPRIM_400000_NS6detail17trampoline_kernelINS0_14default_configENS1_20scan_config_selectorI11FixedVectorIiLj1EEEEZZNS1_9scan_implILNS1_25lookback_scan_determinismE0ELb1ELb1ES3_N6thrust23THRUST_200600_302600_NS6detail15normal_iteratorINSB_10device_ptrIS6_EEEESG_S6_NSB_4plusIvEES6_EEDaPvRmT3_T4_T5_mT6_P12ihipStream_tbENKUlT_T0_E_clISt17integral_constantIbLb1EESV_IbLb0EEEEDaSR_SS_EUlSR_E0_NS1_11comp_targetILNS1_3genE9ELNS1_11target_archE1100ELNS1_3gpuE3ELNS1_3repE0EEENS1_30default_config_static_selectorELNS0_4arch9wavefront6targetE1EEEvT1_ ; -- Begin function _ZN7rocprim17ROCPRIM_400000_NS6detail17trampoline_kernelINS0_14default_configENS1_20scan_config_selectorI11FixedVectorIiLj1EEEEZZNS1_9scan_implILNS1_25lookback_scan_determinismE0ELb1ELb1ES3_N6thrust23THRUST_200600_302600_NS6detail15normal_iteratorINSB_10device_ptrIS6_EEEESG_S6_NSB_4plusIvEES6_EEDaPvRmT3_T4_T5_mT6_P12ihipStream_tbENKUlT_T0_E_clISt17integral_constantIbLb1EESV_IbLb0EEEEDaSR_SS_EUlSR_E0_NS1_11comp_targetILNS1_3genE9ELNS1_11target_archE1100ELNS1_3gpuE3ELNS1_3repE0EEENS1_30default_config_static_selectorELNS0_4arch9wavefront6targetE1EEEvT1_
	.globl	_ZN7rocprim17ROCPRIM_400000_NS6detail17trampoline_kernelINS0_14default_configENS1_20scan_config_selectorI11FixedVectorIiLj1EEEEZZNS1_9scan_implILNS1_25lookback_scan_determinismE0ELb1ELb1ES3_N6thrust23THRUST_200600_302600_NS6detail15normal_iteratorINSB_10device_ptrIS6_EEEESG_S6_NSB_4plusIvEES6_EEDaPvRmT3_T4_T5_mT6_P12ihipStream_tbENKUlT_T0_E_clISt17integral_constantIbLb1EESV_IbLb0EEEEDaSR_SS_EUlSR_E0_NS1_11comp_targetILNS1_3genE9ELNS1_11target_archE1100ELNS1_3gpuE3ELNS1_3repE0EEENS1_30default_config_static_selectorELNS0_4arch9wavefront6targetE1EEEvT1_
	.p2align	8
	.type	_ZN7rocprim17ROCPRIM_400000_NS6detail17trampoline_kernelINS0_14default_configENS1_20scan_config_selectorI11FixedVectorIiLj1EEEEZZNS1_9scan_implILNS1_25lookback_scan_determinismE0ELb1ELb1ES3_N6thrust23THRUST_200600_302600_NS6detail15normal_iteratorINSB_10device_ptrIS6_EEEESG_S6_NSB_4plusIvEES6_EEDaPvRmT3_T4_T5_mT6_P12ihipStream_tbENKUlT_T0_E_clISt17integral_constantIbLb1EESV_IbLb0EEEEDaSR_SS_EUlSR_E0_NS1_11comp_targetILNS1_3genE9ELNS1_11target_archE1100ELNS1_3gpuE3ELNS1_3repE0EEENS1_30default_config_static_selectorELNS0_4arch9wavefront6targetE1EEEvT1_,@function
_ZN7rocprim17ROCPRIM_400000_NS6detail17trampoline_kernelINS0_14default_configENS1_20scan_config_selectorI11FixedVectorIiLj1EEEEZZNS1_9scan_implILNS1_25lookback_scan_determinismE0ELb1ELb1ES3_N6thrust23THRUST_200600_302600_NS6detail15normal_iteratorINSB_10device_ptrIS6_EEEESG_S6_NSB_4plusIvEES6_EEDaPvRmT3_T4_T5_mT6_P12ihipStream_tbENKUlT_T0_E_clISt17integral_constantIbLb1EESV_IbLb0EEEEDaSR_SS_EUlSR_E0_NS1_11comp_targetILNS1_3genE9ELNS1_11target_archE1100ELNS1_3gpuE3ELNS1_3repE0EEENS1_30default_config_static_selectorELNS0_4arch9wavefront6targetE1EEEvT1_: ; @_ZN7rocprim17ROCPRIM_400000_NS6detail17trampoline_kernelINS0_14default_configENS1_20scan_config_selectorI11FixedVectorIiLj1EEEEZZNS1_9scan_implILNS1_25lookback_scan_determinismE0ELb1ELb1ES3_N6thrust23THRUST_200600_302600_NS6detail15normal_iteratorINSB_10device_ptrIS6_EEEESG_S6_NSB_4plusIvEES6_EEDaPvRmT3_T4_T5_mT6_P12ihipStream_tbENKUlT_T0_E_clISt17integral_constantIbLb1EESV_IbLb0EEEEDaSR_SS_EUlSR_E0_NS1_11comp_targetILNS1_3genE9ELNS1_11target_archE1100ELNS1_3gpuE3ELNS1_3repE0EEENS1_30default_config_static_selectorELNS0_4arch9wavefront6targetE1EEEvT1_
; %bb.0:
	.section	.rodata,"a",@progbits
	.p2align	6, 0x0
	.amdhsa_kernel _ZN7rocprim17ROCPRIM_400000_NS6detail17trampoline_kernelINS0_14default_configENS1_20scan_config_selectorI11FixedVectorIiLj1EEEEZZNS1_9scan_implILNS1_25lookback_scan_determinismE0ELb1ELb1ES3_N6thrust23THRUST_200600_302600_NS6detail15normal_iteratorINSB_10device_ptrIS6_EEEESG_S6_NSB_4plusIvEES6_EEDaPvRmT3_T4_T5_mT6_P12ihipStream_tbENKUlT_T0_E_clISt17integral_constantIbLb1EESV_IbLb0EEEEDaSR_SS_EUlSR_E0_NS1_11comp_targetILNS1_3genE9ELNS1_11target_archE1100ELNS1_3gpuE3ELNS1_3repE0EEENS1_30default_config_static_selectorELNS0_4arch9wavefront6targetE1EEEvT1_
		.amdhsa_group_segment_fixed_size 0
		.amdhsa_private_segment_fixed_size 0
		.amdhsa_kernarg_size 32
		.amdhsa_user_sgpr_count 6
		.amdhsa_user_sgpr_private_segment_buffer 1
		.amdhsa_user_sgpr_dispatch_ptr 0
		.amdhsa_user_sgpr_queue_ptr 0
		.amdhsa_user_sgpr_kernarg_segment_ptr 1
		.amdhsa_user_sgpr_dispatch_id 0
		.amdhsa_user_sgpr_flat_scratch_init 0
		.amdhsa_user_sgpr_kernarg_preload_length 0
		.amdhsa_user_sgpr_kernarg_preload_offset 0
		.amdhsa_user_sgpr_private_segment_size 0
		.amdhsa_uses_dynamic_stack 0
		.amdhsa_system_sgpr_private_segment_wavefront_offset 0
		.amdhsa_system_sgpr_workgroup_id_x 1
		.amdhsa_system_sgpr_workgroup_id_y 0
		.amdhsa_system_sgpr_workgroup_id_z 0
		.amdhsa_system_sgpr_workgroup_info 0
		.amdhsa_system_vgpr_workitem_id 0
		.amdhsa_next_free_vgpr 1
		.amdhsa_next_free_sgpr 0
		.amdhsa_accum_offset 4
		.amdhsa_reserve_vcc 0
		.amdhsa_reserve_flat_scratch 0
		.amdhsa_float_round_mode_32 0
		.amdhsa_float_round_mode_16_64 0
		.amdhsa_float_denorm_mode_32 3
		.amdhsa_float_denorm_mode_16_64 3
		.amdhsa_dx10_clamp 1
		.amdhsa_ieee_mode 1
		.amdhsa_fp16_overflow 0
		.amdhsa_tg_split 0
		.amdhsa_exception_fp_ieee_invalid_op 0
		.amdhsa_exception_fp_denorm_src 0
		.amdhsa_exception_fp_ieee_div_zero 0
		.amdhsa_exception_fp_ieee_overflow 0
		.amdhsa_exception_fp_ieee_underflow 0
		.amdhsa_exception_fp_ieee_inexact 0
		.amdhsa_exception_int_div_zero 0
	.end_amdhsa_kernel
	.section	.text._ZN7rocprim17ROCPRIM_400000_NS6detail17trampoline_kernelINS0_14default_configENS1_20scan_config_selectorI11FixedVectorIiLj1EEEEZZNS1_9scan_implILNS1_25lookback_scan_determinismE0ELb1ELb1ES3_N6thrust23THRUST_200600_302600_NS6detail15normal_iteratorINSB_10device_ptrIS6_EEEESG_S6_NSB_4plusIvEES6_EEDaPvRmT3_T4_T5_mT6_P12ihipStream_tbENKUlT_T0_E_clISt17integral_constantIbLb1EESV_IbLb0EEEEDaSR_SS_EUlSR_E0_NS1_11comp_targetILNS1_3genE9ELNS1_11target_archE1100ELNS1_3gpuE3ELNS1_3repE0EEENS1_30default_config_static_selectorELNS0_4arch9wavefront6targetE1EEEvT1_,"axG",@progbits,_ZN7rocprim17ROCPRIM_400000_NS6detail17trampoline_kernelINS0_14default_configENS1_20scan_config_selectorI11FixedVectorIiLj1EEEEZZNS1_9scan_implILNS1_25lookback_scan_determinismE0ELb1ELb1ES3_N6thrust23THRUST_200600_302600_NS6detail15normal_iteratorINSB_10device_ptrIS6_EEEESG_S6_NSB_4plusIvEES6_EEDaPvRmT3_T4_T5_mT6_P12ihipStream_tbENKUlT_T0_E_clISt17integral_constantIbLb1EESV_IbLb0EEEEDaSR_SS_EUlSR_E0_NS1_11comp_targetILNS1_3genE9ELNS1_11target_archE1100ELNS1_3gpuE3ELNS1_3repE0EEENS1_30default_config_static_selectorELNS0_4arch9wavefront6targetE1EEEvT1_,comdat
.Lfunc_end6514:
	.size	_ZN7rocprim17ROCPRIM_400000_NS6detail17trampoline_kernelINS0_14default_configENS1_20scan_config_selectorI11FixedVectorIiLj1EEEEZZNS1_9scan_implILNS1_25lookback_scan_determinismE0ELb1ELb1ES3_N6thrust23THRUST_200600_302600_NS6detail15normal_iteratorINSB_10device_ptrIS6_EEEESG_S6_NSB_4plusIvEES6_EEDaPvRmT3_T4_T5_mT6_P12ihipStream_tbENKUlT_T0_E_clISt17integral_constantIbLb1EESV_IbLb0EEEEDaSR_SS_EUlSR_E0_NS1_11comp_targetILNS1_3genE9ELNS1_11target_archE1100ELNS1_3gpuE3ELNS1_3repE0EEENS1_30default_config_static_selectorELNS0_4arch9wavefront6targetE1EEEvT1_, .Lfunc_end6514-_ZN7rocprim17ROCPRIM_400000_NS6detail17trampoline_kernelINS0_14default_configENS1_20scan_config_selectorI11FixedVectorIiLj1EEEEZZNS1_9scan_implILNS1_25lookback_scan_determinismE0ELb1ELb1ES3_N6thrust23THRUST_200600_302600_NS6detail15normal_iteratorINSB_10device_ptrIS6_EEEESG_S6_NSB_4plusIvEES6_EEDaPvRmT3_T4_T5_mT6_P12ihipStream_tbENKUlT_T0_E_clISt17integral_constantIbLb1EESV_IbLb0EEEEDaSR_SS_EUlSR_E0_NS1_11comp_targetILNS1_3genE9ELNS1_11target_archE1100ELNS1_3gpuE3ELNS1_3repE0EEENS1_30default_config_static_selectorELNS0_4arch9wavefront6targetE1EEEvT1_
                                        ; -- End function
	.section	.AMDGPU.csdata,"",@progbits
; Kernel info:
; codeLenInByte = 0
; NumSgprs: 4
; NumVgprs: 0
; NumAgprs: 0
; TotalNumVgprs: 0
; ScratchSize: 0
; MemoryBound: 0
; FloatMode: 240
; IeeeMode: 1
; LDSByteSize: 0 bytes/workgroup (compile time only)
; SGPRBlocks: 0
; VGPRBlocks: 0
; NumSGPRsForWavesPerEU: 4
; NumVGPRsForWavesPerEU: 1
; AccumOffset: 4
; Occupancy: 8
; WaveLimiterHint : 0
; COMPUTE_PGM_RSRC2:SCRATCH_EN: 0
; COMPUTE_PGM_RSRC2:USER_SGPR: 6
; COMPUTE_PGM_RSRC2:TRAP_HANDLER: 0
; COMPUTE_PGM_RSRC2:TGID_X_EN: 1
; COMPUTE_PGM_RSRC2:TGID_Y_EN: 0
; COMPUTE_PGM_RSRC2:TGID_Z_EN: 0
; COMPUTE_PGM_RSRC2:TIDIG_COMP_CNT: 0
; COMPUTE_PGM_RSRC3_GFX90A:ACCUM_OFFSET: 0
; COMPUTE_PGM_RSRC3_GFX90A:TG_SPLIT: 0
	.section	.text._ZN7rocprim17ROCPRIM_400000_NS6detail17trampoline_kernelINS0_14default_configENS1_20scan_config_selectorI11FixedVectorIiLj1EEEEZZNS1_9scan_implILNS1_25lookback_scan_determinismE0ELb1ELb1ES3_N6thrust23THRUST_200600_302600_NS6detail15normal_iteratorINSB_10device_ptrIS6_EEEESG_S6_NSB_4plusIvEES6_EEDaPvRmT3_T4_T5_mT6_P12ihipStream_tbENKUlT_T0_E_clISt17integral_constantIbLb1EESV_IbLb0EEEEDaSR_SS_EUlSR_E0_NS1_11comp_targetILNS1_3genE8ELNS1_11target_archE1030ELNS1_3gpuE2ELNS1_3repE0EEENS1_30default_config_static_selectorELNS0_4arch9wavefront6targetE1EEEvT1_,"axG",@progbits,_ZN7rocprim17ROCPRIM_400000_NS6detail17trampoline_kernelINS0_14default_configENS1_20scan_config_selectorI11FixedVectorIiLj1EEEEZZNS1_9scan_implILNS1_25lookback_scan_determinismE0ELb1ELb1ES3_N6thrust23THRUST_200600_302600_NS6detail15normal_iteratorINSB_10device_ptrIS6_EEEESG_S6_NSB_4plusIvEES6_EEDaPvRmT3_T4_T5_mT6_P12ihipStream_tbENKUlT_T0_E_clISt17integral_constantIbLb1EESV_IbLb0EEEEDaSR_SS_EUlSR_E0_NS1_11comp_targetILNS1_3genE8ELNS1_11target_archE1030ELNS1_3gpuE2ELNS1_3repE0EEENS1_30default_config_static_selectorELNS0_4arch9wavefront6targetE1EEEvT1_,comdat
	.protected	_ZN7rocprim17ROCPRIM_400000_NS6detail17trampoline_kernelINS0_14default_configENS1_20scan_config_selectorI11FixedVectorIiLj1EEEEZZNS1_9scan_implILNS1_25lookback_scan_determinismE0ELb1ELb1ES3_N6thrust23THRUST_200600_302600_NS6detail15normal_iteratorINSB_10device_ptrIS6_EEEESG_S6_NSB_4plusIvEES6_EEDaPvRmT3_T4_T5_mT6_P12ihipStream_tbENKUlT_T0_E_clISt17integral_constantIbLb1EESV_IbLb0EEEEDaSR_SS_EUlSR_E0_NS1_11comp_targetILNS1_3genE8ELNS1_11target_archE1030ELNS1_3gpuE2ELNS1_3repE0EEENS1_30default_config_static_selectorELNS0_4arch9wavefront6targetE1EEEvT1_ ; -- Begin function _ZN7rocprim17ROCPRIM_400000_NS6detail17trampoline_kernelINS0_14default_configENS1_20scan_config_selectorI11FixedVectorIiLj1EEEEZZNS1_9scan_implILNS1_25lookback_scan_determinismE0ELb1ELb1ES3_N6thrust23THRUST_200600_302600_NS6detail15normal_iteratorINSB_10device_ptrIS6_EEEESG_S6_NSB_4plusIvEES6_EEDaPvRmT3_T4_T5_mT6_P12ihipStream_tbENKUlT_T0_E_clISt17integral_constantIbLb1EESV_IbLb0EEEEDaSR_SS_EUlSR_E0_NS1_11comp_targetILNS1_3genE8ELNS1_11target_archE1030ELNS1_3gpuE2ELNS1_3repE0EEENS1_30default_config_static_selectorELNS0_4arch9wavefront6targetE1EEEvT1_
	.globl	_ZN7rocprim17ROCPRIM_400000_NS6detail17trampoline_kernelINS0_14default_configENS1_20scan_config_selectorI11FixedVectorIiLj1EEEEZZNS1_9scan_implILNS1_25lookback_scan_determinismE0ELb1ELb1ES3_N6thrust23THRUST_200600_302600_NS6detail15normal_iteratorINSB_10device_ptrIS6_EEEESG_S6_NSB_4plusIvEES6_EEDaPvRmT3_T4_T5_mT6_P12ihipStream_tbENKUlT_T0_E_clISt17integral_constantIbLb1EESV_IbLb0EEEEDaSR_SS_EUlSR_E0_NS1_11comp_targetILNS1_3genE8ELNS1_11target_archE1030ELNS1_3gpuE2ELNS1_3repE0EEENS1_30default_config_static_selectorELNS0_4arch9wavefront6targetE1EEEvT1_
	.p2align	8
	.type	_ZN7rocprim17ROCPRIM_400000_NS6detail17trampoline_kernelINS0_14default_configENS1_20scan_config_selectorI11FixedVectorIiLj1EEEEZZNS1_9scan_implILNS1_25lookback_scan_determinismE0ELb1ELb1ES3_N6thrust23THRUST_200600_302600_NS6detail15normal_iteratorINSB_10device_ptrIS6_EEEESG_S6_NSB_4plusIvEES6_EEDaPvRmT3_T4_T5_mT6_P12ihipStream_tbENKUlT_T0_E_clISt17integral_constantIbLb1EESV_IbLb0EEEEDaSR_SS_EUlSR_E0_NS1_11comp_targetILNS1_3genE8ELNS1_11target_archE1030ELNS1_3gpuE2ELNS1_3repE0EEENS1_30default_config_static_selectorELNS0_4arch9wavefront6targetE1EEEvT1_,@function
_ZN7rocprim17ROCPRIM_400000_NS6detail17trampoline_kernelINS0_14default_configENS1_20scan_config_selectorI11FixedVectorIiLj1EEEEZZNS1_9scan_implILNS1_25lookback_scan_determinismE0ELb1ELb1ES3_N6thrust23THRUST_200600_302600_NS6detail15normal_iteratorINSB_10device_ptrIS6_EEEESG_S6_NSB_4plusIvEES6_EEDaPvRmT3_T4_T5_mT6_P12ihipStream_tbENKUlT_T0_E_clISt17integral_constantIbLb1EESV_IbLb0EEEEDaSR_SS_EUlSR_E0_NS1_11comp_targetILNS1_3genE8ELNS1_11target_archE1030ELNS1_3gpuE2ELNS1_3repE0EEENS1_30default_config_static_selectorELNS0_4arch9wavefront6targetE1EEEvT1_: ; @_ZN7rocprim17ROCPRIM_400000_NS6detail17trampoline_kernelINS0_14default_configENS1_20scan_config_selectorI11FixedVectorIiLj1EEEEZZNS1_9scan_implILNS1_25lookback_scan_determinismE0ELb1ELb1ES3_N6thrust23THRUST_200600_302600_NS6detail15normal_iteratorINSB_10device_ptrIS6_EEEESG_S6_NSB_4plusIvEES6_EEDaPvRmT3_T4_T5_mT6_P12ihipStream_tbENKUlT_T0_E_clISt17integral_constantIbLb1EESV_IbLb0EEEEDaSR_SS_EUlSR_E0_NS1_11comp_targetILNS1_3genE8ELNS1_11target_archE1030ELNS1_3gpuE2ELNS1_3repE0EEENS1_30default_config_static_selectorELNS0_4arch9wavefront6targetE1EEEvT1_
; %bb.0:
	.section	.rodata,"a",@progbits
	.p2align	6, 0x0
	.amdhsa_kernel _ZN7rocprim17ROCPRIM_400000_NS6detail17trampoline_kernelINS0_14default_configENS1_20scan_config_selectorI11FixedVectorIiLj1EEEEZZNS1_9scan_implILNS1_25lookback_scan_determinismE0ELb1ELb1ES3_N6thrust23THRUST_200600_302600_NS6detail15normal_iteratorINSB_10device_ptrIS6_EEEESG_S6_NSB_4plusIvEES6_EEDaPvRmT3_T4_T5_mT6_P12ihipStream_tbENKUlT_T0_E_clISt17integral_constantIbLb1EESV_IbLb0EEEEDaSR_SS_EUlSR_E0_NS1_11comp_targetILNS1_3genE8ELNS1_11target_archE1030ELNS1_3gpuE2ELNS1_3repE0EEENS1_30default_config_static_selectorELNS0_4arch9wavefront6targetE1EEEvT1_
		.amdhsa_group_segment_fixed_size 0
		.amdhsa_private_segment_fixed_size 0
		.amdhsa_kernarg_size 32
		.amdhsa_user_sgpr_count 6
		.amdhsa_user_sgpr_private_segment_buffer 1
		.amdhsa_user_sgpr_dispatch_ptr 0
		.amdhsa_user_sgpr_queue_ptr 0
		.amdhsa_user_sgpr_kernarg_segment_ptr 1
		.amdhsa_user_sgpr_dispatch_id 0
		.amdhsa_user_sgpr_flat_scratch_init 0
		.amdhsa_user_sgpr_kernarg_preload_length 0
		.amdhsa_user_sgpr_kernarg_preload_offset 0
		.amdhsa_user_sgpr_private_segment_size 0
		.amdhsa_uses_dynamic_stack 0
		.amdhsa_system_sgpr_private_segment_wavefront_offset 0
		.amdhsa_system_sgpr_workgroup_id_x 1
		.amdhsa_system_sgpr_workgroup_id_y 0
		.amdhsa_system_sgpr_workgroup_id_z 0
		.amdhsa_system_sgpr_workgroup_info 0
		.amdhsa_system_vgpr_workitem_id 0
		.amdhsa_next_free_vgpr 1
		.amdhsa_next_free_sgpr 0
		.amdhsa_accum_offset 4
		.amdhsa_reserve_vcc 0
		.amdhsa_reserve_flat_scratch 0
		.amdhsa_float_round_mode_32 0
		.amdhsa_float_round_mode_16_64 0
		.amdhsa_float_denorm_mode_32 3
		.amdhsa_float_denorm_mode_16_64 3
		.amdhsa_dx10_clamp 1
		.amdhsa_ieee_mode 1
		.amdhsa_fp16_overflow 0
		.amdhsa_tg_split 0
		.amdhsa_exception_fp_ieee_invalid_op 0
		.amdhsa_exception_fp_denorm_src 0
		.amdhsa_exception_fp_ieee_div_zero 0
		.amdhsa_exception_fp_ieee_overflow 0
		.amdhsa_exception_fp_ieee_underflow 0
		.amdhsa_exception_fp_ieee_inexact 0
		.amdhsa_exception_int_div_zero 0
	.end_amdhsa_kernel
	.section	.text._ZN7rocprim17ROCPRIM_400000_NS6detail17trampoline_kernelINS0_14default_configENS1_20scan_config_selectorI11FixedVectorIiLj1EEEEZZNS1_9scan_implILNS1_25lookback_scan_determinismE0ELb1ELb1ES3_N6thrust23THRUST_200600_302600_NS6detail15normal_iteratorINSB_10device_ptrIS6_EEEESG_S6_NSB_4plusIvEES6_EEDaPvRmT3_T4_T5_mT6_P12ihipStream_tbENKUlT_T0_E_clISt17integral_constantIbLb1EESV_IbLb0EEEEDaSR_SS_EUlSR_E0_NS1_11comp_targetILNS1_3genE8ELNS1_11target_archE1030ELNS1_3gpuE2ELNS1_3repE0EEENS1_30default_config_static_selectorELNS0_4arch9wavefront6targetE1EEEvT1_,"axG",@progbits,_ZN7rocprim17ROCPRIM_400000_NS6detail17trampoline_kernelINS0_14default_configENS1_20scan_config_selectorI11FixedVectorIiLj1EEEEZZNS1_9scan_implILNS1_25lookback_scan_determinismE0ELb1ELb1ES3_N6thrust23THRUST_200600_302600_NS6detail15normal_iteratorINSB_10device_ptrIS6_EEEESG_S6_NSB_4plusIvEES6_EEDaPvRmT3_T4_T5_mT6_P12ihipStream_tbENKUlT_T0_E_clISt17integral_constantIbLb1EESV_IbLb0EEEEDaSR_SS_EUlSR_E0_NS1_11comp_targetILNS1_3genE8ELNS1_11target_archE1030ELNS1_3gpuE2ELNS1_3repE0EEENS1_30default_config_static_selectorELNS0_4arch9wavefront6targetE1EEEvT1_,comdat
.Lfunc_end6515:
	.size	_ZN7rocprim17ROCPRIM_400000_NS6detail17trampoline_kernelINS0_14default_configENS1_20scan_config_selectorI11FixedVectorIiLj1EEEEZZNS1_9scan_implILNS1_25lookback_scan_determinismE0ELb1ELb1ES3_N6thrust23THRUST_200600_302600_NS6detail15normal_iteratorINSB_10device_ptrIS6_EEEESG_S6_NSB_4plusIvEES6_EEDaPvRmT3_T4_T5_mT6_P12ihipStream_tbENKUlT_T0_E_clISt17integral_constantIbLb1EESV_IbLb0EEEEDaSR_SS_EUlSR_E0_NS1_11comp_targetILNS1_3genE8ELNS1_11target_archE1030ELNS1_3gpuE2ELNS1_3repE0EEENS1_30default_config_static_selectorELNS0_4arch9wavefront6targetE1EEEvT1_, .Lfunc_end6515-_ZN7rocprim17ROCPRIM_400000_NS6detail17trampoline_kernelINS0_14default_configENS1_20scan_config_selectorI11FixedVectorIiLj1EEEEZZNS1_9scan_implILNS1_25lookback_scan_determinismE0ELb1ELb1ES3_N6thrust23THRUST_200600_302600_NS6detail15normal_iteratorINSB_10device_ptrIS6_EEEESG_S6_NSB_4plusIvEES6_EEDaPvRmT3_T4_T5_mT6_P12ihipStream_tbENKUlT_T0_E_clISt17integral_constantIbLb1EESV_IbLb0EEEEDaSR_SS_EUlSR_E0_NS1_11comp_targetILNS1_3genE8ELNS1_11target_archE1030ELNS1_3gpuE2ELNS1_3repE0EEENS1_30default_config_static_selectorELNS0_4arch9wavefront6targetE1EEEvT1_
                                        ; -- End function
	.section	.AMDGPU.csdata,"",@progbits
; Kernel info:
; codeLenInByte = 0
; NumSgprs: 4
; NumVgprs: 0
; NumAgprs: 0
; TotalNumVgprs: 0
; ScratchSize: 0
; MemoryBound: 0
; FloatMode: 240
; IeeeMode: 1
; LDSByteSize: 0 bytes/workgroup (compile time only)
; SGPRBlocks: 0
; VGPRBlocks: 0
; NumSGPRsForWavesPerEU: 4
; NumVGPRsForWavesPerEU: 1
; AccumOffset: 4
; Occupancy: 8
; WaveLimiterHint : 0
; COMPUTE_PGM_RSRC2:SCRATCH_EN: 0
; COMPUTE_PGM_RSRC2:USER_SGPR: 6
; COMPUTE_PGM_RSRC2:TRAP_HANDLER: 0
; COMPUTE_PGM_RSRC2:TGID_X_EN: 1
; COMPUTE_PGM_RSRC2:TGID_Y_EN: 0
; COMPUTE_PGM_RSRC2:TGID_Z_EN: 0
; COMPUTE_PGM_RSRC2:TIDIG_COMP_CNT: 0
; COMPUTE_PGM_RSRC3_GFX90A:ACCUM_OFFSET: 0
; COMPUTE_PGM_RSRC3_GFX90A:TG_SPLIT: 0
	.section	.text._ZN7rocprim17ROCPRIM_400000_NS6detail17trampoline_kernelINS0_14default_configENS1_20scan_config_selectorI11FixedVectorIiLj1EEEEZZNS1_9scan_implILNS1_25lookback_scan_determinismE0ELb1ELb1ES3_N6thrust23THRUST_200600_302600_NS6detail15normal_iteratorINSB_10device_ptrIS6_EEEESG_S6_NSB_4plusIvEES6_EEDaPvRmT3_T4_T5_mT6_P12ihipStream_tbENKUlT_T0_E_clISt17integral_constantIbLb0EESV_IbLb1EEEEDaSR_SS_EUlSR_E_NS1_11comp_targetILNS1_3genE0ELNS1_11target_archE4294967295ELNS1_3gpuE0ELNS1_3repE0EEENS1_30default_config_static_selectorELNS0_4arch9wavefront6targetE1EEEvT1_,"axG",@progbits,_ZN7rocprim17ROCPRIM_400000_NS6detail17trampoline_kernelINS0_14default_configENS1_20scan_config_selectorI11FixedVectorIiLj1EEEEZZNS1_9scan_implILNS1_25lookback_scan_determinismE0ELb1ELb1ES3_N6thrust23THRUST_200600_302600_NS6detail15normal_iteratorINSB_10device_ptrIS6_EEEESG_S6_NSB_4plusIvEES6_EEDaPvRmT3_T4_T5_mT6_P12ihipStream_tbENKUlT_T0_E_clISt17integral_constantIbLb0EESV_IbLb1EEEEDaSR_SS_EUlSR_E_NS1_11comp_targetILNS1_3genE0ELNS1_11target_archE4294967295ELNS1_3gpuE0ELNS1_3repE0EEENS1_30default_config_static_selectorELNS0_4arch9wavefront6targetE1EEEvT1_,comdat
	.protected	_ZN7rocprim17ROCPRIM_400000_NS6detail17trampoline_kernelINS0_14default_configENS1_20scan_config_selectorI11FixedVectorIiLj1EEEEZZNS1_9scan_implILNS1_25lookback_scan_determinismE0ELb1ELb1ES3_N6thrust23THRUST_200600_302600_NS6detail15normal_iteratorINSB_10device_ptrIS6_EEEESG_S6_NSB_4plusIvEES6_EEDaPvRmT3_T4_T5_mT6_P12ihipStream_tbENKUlT_T0_E_clISt17integral_constantIbLb0EESV_IbLb1EEEEDaSR_SS_EUlSR_E_NS1_11comp_targetILNS1_3genE0ELNS1_11target_archE4294967295ELNS1_3gpuE0ELNS1_3repE0EEENS1_30default_config_static_selectorELNS0_4arch9wavefront6targetE1EEEvT1_ ; -- Begin function _ZN7rocprim17ROCPRIM_400000_NS6detail17trampoline_kernelINS0_14default_configENS1_20scan_config_selectorI11FixedVectorIiLj1EEEEZZNS1_9scan_implILNS1_25lookback_scan_determinismE0ELb1ELb1ES3_N6thrust23THRUST_200600_302600_NS6detail15normal_iteratorINSB_10device_ptrIS6_EEEESG_S6_NSB_4plusIvEES6_EEDaPvRmT3_T4_T5_mT6_P12ihipStream_tbENKUlT_T0_E_clISt17integral_constantIbLb0EESV_IbLb1EEEEDaSR_SS_EUlSR_E_NS1_11comp_targetILNS1_3genE0ELNS1_11target_archE4294967295ELNS1_3gpuE0ELNS1_3repE0EEENS1_30default_config_static_selectorELNS0_4arch9wavefront6targetE1EEEvT1_
	.globl	_ZN7rocprim17ROCPRIM_400000_NS6detail17trampoline_kernelINS0_14default_configENS1_20scan_config_selectorI11FixedVectorIiLj1EEEEZZNS1_9scan_implILNS1_25lookback_scan_determinismE0ELb1ELb1ES3_N6thrust23THRUST_200600_302600_NS6detail15normal_iteratorINSB_10device_ptrIS6_EEEESG_S6_NSB_4plusIvEES6_EEDaPvRmT3_T4_T5_mT6_P12ihipStream_tbENKUlT_T0_E_clISt17integral_constantIbLb0EESV_IbLb1EEEEDaSR_SS_EUlSR_E_NS1_11comp_targetILNS1_3genE0ELNS1_11target_archE4294967295ELNS1_3gpuE0ELNS1_3repE0EEENS1_30default_config_static_selectorELNS0_4arch9wavefront6targetE1EEEvT1_
	.p2align	8
	.type	_ZN7rocprim17ROCPRIM_400000_NS6detail17trampoline_kernelINS0_14default_configENS1_20scan_config_selectorI11FixedVectorIiLj1EEEEZZNS1_9scan_implILNS1_25lookback_scan_determinismE0ELb1ELb1ES3_N6thrust23THRUST_200600_302600_NS6detail15normal_iteratorINSB_10device_ptrIS6_EEEESG_S6_NSB_4plusIvEES6_EEDaPvRmT3_T4_T5_mT6_P12ihipStream_tbENKUlT_T0_E_clISt17integral_constantIbLb0EESV_IbLb1EEEEDaSR_SS_EUlSR_E_NS1_11comp_targetILNS1_3genE0ELNS1_11target_archE4294967295ELNS1_3gpuE0ELNS1_3repE0EEENS1_30default_config_static_selectorELNS0_4arch9wavefront6targetE1EEEvT1_,@function
_ZN7rocprim17ROCPRIM_400000_NS6detail17trampoline_kernelINS0_14default_configENS1_20scan_config_selectorI11FixedVectorIiLj1EEEEZZNS1_9scan_implILNS1_25lookback_scan_determinismE0ELb1ELb1ES3_N6thrust23THRUST_200600_302600_NS6detail15normal_iteratorINSB_10device_ptrIS6_EEEESG_S6_NSB_4plusIvEES6_EEDaPvRmT3_T4_T5_mT6_P12ihipStream_tbENKUlT_T0_E_clISt17integral_constantIbLb0EESV_IbLb1EEEEDaSR_SS_EUlSR_E_NS1_11comp_targetILNS1_3genE0ELNS1_11target_archE4294967295ELNS1_3gpuE0ELNS1_3repE0EEENS1_30default_config_static_selectorELNS0_4arch9wavefront6targetE1EEEvT1_: ; @_ZN7rocprim17ROCPRIM_400000_NS6detail17trampoline_kernelINS0_14default_configENS1_20scan_config_selectorI11FixedVectorIiLj1EEEEZZNS1_9scan_implILNS1_25lookback_scan_determinismE0ELb1ELb1ES3_N6thrust23THRUST_200600_302600_NS6detail15normal_iteratorINSB_10device_ptrIS6_EEEESG_S6_NSB_4plusIvEES6_EEDaPvRmT3_T4_T5_mT6_P12ihipStream_tbENKUlT_T0_E_clISt17integral_constantIbLb0EESV_IbLb1EEEEDaSR_SS_EUlSR_E_NS1_11comp_targetILNS1_3genE0ELNS1_11target_archE4294967295ELNS1_3gpuE0ELNS1_3repE0EEENS1_30default_config_static_selectorELNS0_4arch9wavefront6targetE1EEEvT1_
; %bb.0:
	.section	.rodata,"a",@progbits
	.p2align	6, 0x0
	.amdhsa_kernel _ZN7rocprim17ROCPRIM_400000_NS6detail17trampoline_kernelINS0_14default_configENS1_20scan_config_selectorI11FixedVectorIiLj1EEEEZZNS1_9scan_implILNS1_25lookback_scan_determinismE0ELb1ELb1ES3_N6thrust23THRUST_200600_302600_NS6detail15normal_iteratorINSB_10device_ptrIS6_EEEESG_S6_NSB_4plusIvEES6_EEDaPvRmT3_T4_T5_mT6_P12ihipStream_tbENKUlT_T0_E_clISt17integral_constantIbLb0EESV_IbLb1EEEEDaSR_SS_EUlSR_E_NS1_11comp_targetILNS1_3genE0ELNS1_11target_archE4294967295ELNS1_3gpuE0ELNS1_3repE0EEENS1_30default_config_static_selectorELNS0_4arch9wavefront6targetE1EEEvT1_
		.amdhsa_group_segment_fixed_size 0
		.amdhsa_private_segment_fixed_size 0
		.amdhsa_kernarg_size 96
		.amdhsa_user_sgpr_count 6
		.amdhsa_user_sgpr_private_segment_buffer 1
		.amdhsa_user_sgpr_dispatch_ptr 0
		.amdhsa_user_sgpr_queue_ptr 0
		.amdhsa_user_sgpr_kernarg_segment_ptr 1
		.amdhsa_user_sgpr_dispatch_id 0
		.amdhsa_user_sgpr_flat_scratch_init 0
		.amdhsa_user_sgpr_kernarg_preload_length 0
		.amdhsa_user_sgpr_kernarg_preload_offset 0
		.amdhsa_user_sgpr_private_segment_size 0
		.amdhsa_uses_dynamic_stack 0
		.amdhsa_system_sgpr_private_segment_wavefront_offset 0
		.amdhsa_system_sgpr_workgroup_id_x 1
		.amdhsa_system_sgpr_workgroup_id_y 0
		.amdhsa_system_sgpr_workgroup_id_z 0
		.amdhsa_system_sgpr_workgroup_info 0
		.amdhsa_system_vgpr_workitem_id 0
		.amdhsa_next_free_vgpr 1
		.amdhsa_next_free_sgpr 0
		.amdhsa_accum_offset 4
		.amdhsa_reserve_vcc 0
		.amdhsa_reserve_flat_scratch 0
		.amdhsa_float_round_mode_32 0
		.amdhsa_float_round_mode_16_64 0
		.amdhsa_float_denorm_mode_32 3
		.amdhsa_float_denorm_mode_16_64 3
		.amdhsa_dx10_clamp 1
		.amdhsa_ieee_mode 1
		.amdhsa_fp16_overflow 0
		.amdhsa_tg_split 0
		.amdhsa_exception_fp_ieee_invalid_op 0
		.amdhsa_exception_fp_denorm_src 0
		.amdhsa_exception_fp_ieee_div_zero 0
		.amdhsa_exception_fp_ieee_overflow 0
		.amdhsa_exception_fp_ieee_underflow 0
		.amdhsa_exception_fp_ieee_inexact 0
		.amdhsa_exception_int_div_zero 0
	.end_amdhsa_kernel
	.section	.text._ZN7rocprim17ROCPRIM_400000_NS6detail17trampoline_kernelINS0_14default_configENS1_20scan_config_selectorI11FixedVectorIiLj1EEEEZZNS1_9scan_implILNS1_25lookback_scan_determinismE0ELb1ELb1ES3_N6thrust23THRUST_200600_302600_NS6detail15normal_iteratorINSB_10device_ptrIS6_EEEESG_S6_NSB_4plusIvEES6_EEDaPvRmT3_T4_T5_mT6_P12ihipStream_tbENKUlT_T0_E_clISt17integral_constantIbLb0EESV_IbLb1EEEEDaSR_SS_EUlSR_E_NS1_11comp_targetILNS1_3genE0ELNS1_11target_archE4294967295ELNS1_3gpuE0ELNS1_3repE0EEENS1_30default_config_static_selectorELNS0_4arch9wavefront6targetE1EEEvT1_,"axG",@progbits,_ZN7rocprim17ROCPRIM_400000_NS6detail17trampoline_kernelINS0_14default_configENS1_20scan_config_selectorI11FixedVectorIiLj1EEEEZZNS1_9scan_implILNS1_25lookback_scan_determinismE0ELb1ELb1ES3_N6thrust23THRUST_200600_302600_NS6detail15normal_iteratorINSB_10device_ptrIS6_EEEESG_S6_NSB_4plusIvEES6_EEDaPvRmT3_T4_T5_mT6_P12ihipStream_tbENKUlT_T0_E_clISt17integral_constantIbLb0EESV_IbLb1EEEEDaSR_SS_EUlSR_E_NS1_11comp_targetILNS1_3genE0ELNS1_11target_archE4294967295ELNS1_3gpuE0ELNS1_3repE0EEENS1_30default_config_static_selectorELNS0_4arch9wavefront6targetE1EEEvT1_,comdat
.Lfunc_end6516:
	.size	_ZN7rocprim17ROCPRIM_400000_NS6detail17trampoline_kernelINS0_14default_configENS1_20scan_config_selectorI11FixedVectorIiLj1EEEEZZNS1_9scan_implILNS1_25lookback_scan_determinismE0ELb1ELb1ES3_N6thrust23THRUST_200600_302600_NS6detail15normal_iteratorINSB_10device_ptrIS6_EEEESG_S6_NSB_4plusIvEES6_EEDaPvRmT3_T4_T5_mT6_P12ihipStream_tbENKUlT_T0_E_clISt17integral_constantIbLb0EESV_IbLb1EEEEDaSR_SS_EUlSR_E_NS1_11comp_targetILNS1_3genE0ELNS1_11target_archE4294967295ELNS1_3gpuE0ELNS1_3repE0EEENS1_30default_config_static_selectorELNS0_4arch9wavefront6targetE1EEEvT1_, .Lfunc_end6516-_ZN7rocprim17ROCPRIM_400000_NS6detail17trampoline_kernelINS0_14default_configENS1_20scan_config_selectorI11FixedVectorIiLj1EEEEZZNS1_9scan_implILNS1_25lookback_scan_determinismE0ELb1ELb1ES3_N6thrust23THRUST_200600_302600_NS6detail15normal_iteratorINSB_10device_ptrIS6_EEEESG_S6_NSB_4plusIvEES6_EEDaPvRmT3_T4_T5_mT6_P12ihipStream_tbENKUlT_T0_E_clISt17integral_constantIbLb0EESV_IbLb1EEEEDaSR_SS_EUlSR_E_NS1_11comp_targetILNS1_3genE0ELNS1_11target_archE4294967295ELNS1_3gpuE0ELNS1_3repE0EEENS1_30default_config_static_selectorELNS0_4arch9wavefront6targetE1EEEvT1_
                                        ; -- End function
	.section	.AMDGPU.csdata,"",@progbits
; Kernel info:
; codeLenInByte = 0
; NumSgprs: 4
; NumVgprs: 0
; NumAgprs: 0
; TotalNumVgprs: 0
; ScratchSize: 0
; MemoryBound: 0
; FloatMode: 240
; IeeeMode: 1
; LDSByteSize: 0 bytes/workgroup (compile time only)
; SGPRBlocks: 0
; VGPRBlocks: 0
; NumSGPRsForWavesPerEU: 4
; NumVGPRsForWavesPerEU: 1
; AccumOffset: 4
; Occupancy: 8
; WaveLimiterHint : 0
; COMPUTE_PGM_RSRC2:SCRATCH_EN: 0
; COMPUTE_PGM_RSRC2:USER_SGPR: 6
; COMPUTE_PGM_RSRC2:TRAP_HANDLER: 0
; COMPUTE_PGM_RSRC2:TGID_X_EN: 1
; COMPUTE_PGM_RSRC2:TGID_Y_EN: 0
; COMPUTE_PGM_RSRC2:TGID_Z_EN: 0
; COMPUTE_PGM_RSRC2:TIDIG_COMP_CNT: 0
; COMPUTE_PGM_RSRC3_GFX90A:ACCUM_OFFSET: 0
; COMPUTE_PGM_RSRC3_GFX90A:TG_SPLIT: 0
	.section	.text._ZN7rocprim17ROCPRIM_400000_NS6detail17trampoline_kernelINS0_14default_configENS1_20scan_config_selectorI11FixedVectorIiLj1EEEEZZNS1_9scan_implILNS1_25lookback_scan_determinismE0ELb1ELb1ES3_N6thrust23THRUST_200600_302600_NS6detail15normal_iteratorINSB_10device_ptrIS6_EEEESG_S6_NSB_4plusIvEES6_EEDaPvRmT3_T4_T5_mT6_P12ihipStream_tbENKUlT_T0_E_clISt17integral_constantIbLb0EESV_IbLb1EEEEDaSR_SS_EUlSR_E_NS1_11comp_targetILNS1_3genE5ELNS1_11target_archE942ELNS1_3gpuE9ELNS1_3repE0EEENS1_30default_config_static_selectorELNS0_4arch9wavefront6targetE1EEEvT1_,"axG",@progbits,_ZN7rocprim17ROCPRIM_400000_NS6detail17trampoline_kernelINS0_14default_configENS1_20scan_config_selectorI11FixedVectorIiLj1EEEEZZNS1_9scan_implILNS1_25lookback_scan_determinismE0ELb1ELb1ES3_N6thrust23THRUST_200600_302600_NS6detail15normal_iteratorINSB_10device_ptrIS6_EEEESG_S6_NSB_4plusIvEES6_EEDaPvRmT3_T4_T5_mT6_P12ihipStream_tbENKUlT_T0_E_clISt17integral_constantIbLb0EESV_IbLb1EEEEDaSR_SS_EUlSR_E_NS1_11comp_targetILNS1_3genE5ELNS1_11target_archE942ELNS1_3gpuE9ELNS1_3repE0EEENS1_30default_config_static_selectorELNS0_4arch9wavefront6targetE1EEEvT1_,comdat
	.protected	_ZN7rocprim17ROCPRIM_400000_NS6detail17trampoline_kernelINS0_14default_configENS1_20scan_config_selectorI11FixedVectorIiLj1EEEEZZNS1_9scan_implILNS1_25lookback_scan_determinismE0ELb1ELb1ES3_N6thrust23THRUST_200600_302600_NS6detail15normal_iteratorINSB_10device_ptrIS6_EEEESG_S6_NSB_4plusIvEES6_EEDaPvRmT3_T4_T5_mT6_P12ihipStream_tbENKUlT_T0_E_clISt17integral_constantIbLb0EESV_IbLb1EEEEDaSR_SS_EUlSR_E_NS1_11comp_targetILNS1_3genE5ELNS1_11target_archE942ELNS1_3gpuE9ELNS1_3repE0EEENS1_30default_config_static_selectorELNS0_4arch9wavefront6targetE1EEEvT1_ ; -- Begin function _ZN7rocprim17ROCPRIM_400000_NS6detail17trampoline_kernelINS0_14default_configENS1_20scan_config_selectorI11FixedVectorIiLj1EEEEZZNS1_9scan_implILNS1_25lookback_scan_determinismE0ELb1ELb1ES3_N6thrust23THRUST_200600_302600_NS6detail15normal_iteratorINSB_10device_ptrIS6_EEEESG_S6_NSB_4plusIvEES6_EEDaPvRmT3_T4_T5_mT6_P12ihipStream_tbENKUlT_T0_E_clISt17integral_constantIbLb0EESV_IbLb1EEEEDaSR_SS_EUlSR_E_NS1_11comp_targetILNS1_3genE5ELNS1_11target_archE942ELNS1_3gpuE9ELNS1_3repE0EEENS1_30default_config_static_selectorELNS0_4arch9wavefront6targetE1EEEvT1_
	.globl	_ZN7rocprim17ROCPRIM_400000_NS6detail17trampoline_kernelINS0_14default_configENS1_20scan_config_selectorI11FixedVectorIiLj1EEEEZZNS1_9scan_implILNS1_25lookback_scan_determinismE0ELb1ELb1ES3_N6thrust23THRUST_200600_302600_NS6detail15normal_iteratorINSB_10device_ptrIS6_EEEESG_S6_NSB_4plusIvEES6_EEDaPvRmT3_T4_T5_mT6_P12ihipStream_tbENKUlT_T0_E_clISt17integral_constantIbLb0EESV_IbLb1EEEEDaSR_SS_EUlSR_E_NS1_11comp_targetILNS1_3genE5ELNS1_11target_archE942ELNS1_3gpuE9ELNS1_3repE0EEENS1_30default_config_static_selectorELNS0_4arch9wavefront6targetE1EEEvT1_
	.p2align	8
	.type	_ZN7rocprim17ROCPRIM_400000_NS6detail17trampoline_kernelINS0_14default_configENS1_20scan_config_selectorI11FixedVectorIiLj1EEEEZZNS1_9scan_implILNS1_25lookback_scan_determinismE0ELb1ELb1ES3_N6thrust23THRUST_200600_302600_NS6detail15normal_iteratorINSB_10device_ptrIS6_EEEESG_S6_NSB_4plusIvEES6_EEDaPvRmT3_T4_T5_mT6_P12ihipStream_tbENKUlT_T0_E_clISt17integral_constantIbLb0EESV_IbLb1EEEEDaSR_SS_EUlSR_E_NS1_11comp_targetILNS1_3genE5ELNS1_11target_archE942ELNS1_3gpuE9ELNS1_3repE0EEENS1_30default_config_static_selectorELNS0_4arch9wavefront6targetE1EEEvT1_,@function
_ZN7rocprim17ROCPRIM_400000_NS6detail17trampoline_kernelINS0_14default_configENS1_20scan_config_selectorI11FixedVectorIiLj1EEEEZZNS1_9scan_implILNS1_25lookback_scan_determinismE0ELb1ELb1ES3_N6thrust23THRUST_200600_302600_NS6detail15normal_iteratorINSB_10device_ptrIS6_EEEESG_S6_NSB_4plusIvEES6_EEDaPvRmT3_T4_T5_mT6_P12ihipStream_tbENKUlT_T0_E_clISt17integral_constantIbLb0EESV_IbLb1EEEEDaSR_SS_EUlSR_E_NS1_11comp_targetILNS1_3genE5ELNS1_11target_archE942ELNS1_3gpuE9ELNS1_3repE0EEENS1_30default_config_static_selectorELNS0_4arch9wavefront6targetE1EEEvT1_: ; @_ZN7rocprim17ROCPRIM_400000_NS6detail17trampoline_kernelINS0_14default_configENS1_20scan_config_selectorI11FixedVectorIiLj1EEEEZZNS1_9scan_implILNS1_25lookback_scan_determinismE0ELb1ELb1ES3_N6thrust23THRUST_200600_302600_NS6detail15normal_iteratorINSB_10device_ptrIS6_EEEESG_S6_NSB_4plusIvEES6_EEDaPvRmT3_T4_T5_mT6_P12ihipStream_tbENKUlT_T0_E_clISt17integral_constantIbLb0EESV_IbLb1EEEEDaSR_SS_EUlSR_E_NS1_11comp_targetILNS1_3genE5ELNS1_11target_archE942ELNS1_3gpuE9ELNS1_3repE0EEENS1_30default_config_static_selectorELNS0_4arch9wavefront6targetE1EEEvT1_
; %bb.0:
	.section	.rodata,"a",@progbits
	.p2align	6, 0x0
	.amdhsa_kernel _ZN7rocprim17ROCPRIM_400000_NS6detail17trampoline_kernelINS0_14default_configENS1_20scan_config_selectorI11FixedVectorIiLj1EEEEZZNS1_9scan_implILNS1_25lookback_scan_determinismE0ELb1ELb1ES3_N6thrust23THRUST_200600_302600_NS6detail15normal_iteratorINSB_10device_ptrIS6_EEEESG_S6_NSB_4plusIvEES6_EEDaPvRmT3_T4_T5_mT6_P12ihipStream_tbENKUlT_T0_E_clISt17integral_constantIbLb0EESV_IbLb1EEEEDaSR_SS_EUlSR_E_NS1_11comp_targetILNS1_3genE5ELNS1_11target_archE942ELNS1_3gpuE9ELNS1_3repE0EEENS1_30default_config_static_selectorELNS0_4arch9wavefront6targetE1EEEvT1_
		.amdhsa_group_segment_fixed_size 0
		.amdhsa_private_segment_fixed_size 0
		.amdhsa_kernarg_size 96
		.amdhsa_user_sgpr_count 6
		.amdhsa_user_sgpr_private_segment_buffer 1
		.amdhsa_user_sgpr_dispatch_ptr 0
		.amdhsa_user_sgpr_queue_ptr 0
		.amdhsa_user_sgpr_kernarg_segment_ptr 1
		.amdhsa_user_sgpr_dispatch_id 0
		.amdhsa_user_sgpr_flat_scratch_init 0
		.amdhsa_user_sgpr_kernarg_preload_length 0
		.amdhsa_user_sgpr_kernarg_preload_offset 0
		.amdhsa_user_sgpr_private_segment_size 0
		.amdhsa_uses_dynamic_stack 0
		.amdhsa_system_sgpr_private_segment_wavefront_offset 0
		.amdhsa_system_sgpr_workgroup_id_x 1
		.amdhsa_system_sgpr_workgroup_id_y 0
		.amdhsa_system_sgpr_workgroup_id_z 0
		.amdhsa_system_sgpr_workgroup_info 0
		.amdhsa_system_vgpr_workitem_id 0
		.amdhsa_next_free_vgpr 1
		.amdhsa_next_free_sgpr 0
		.amdhsa_accum_offset 4
		.amdhsa_reserve_vcc 0
		.amdhsa_reserve_flat_scratch 0
		.amdhsa_float_round_mode_32 0
		.amdhsa_float_round_mode_16_64 0
		.amdhsa_float_denorm_mode_32 3
		.amdhsa_float_denorm_mode_16_64 3
		.amdhsa_dx10_clamp 1
		.amdhsa_ieee_mode 1
		.amdhsa_fp16_overflow 0
		.amdhsa_tg_split 0
		.amdhsa_exception_fp_ieee_invalid_op 0
		.amdhsa_exception_fp_denorm_src 0
		.amdhsa_exception_fp_ieee_div_zero 0
		.amdhsa_exception_fp_ieee_overflow 0
		.amdhsa_exception_fp_ieee_underflow 0
		.amdhsa_exception_fp_ieee_inexact 0
		.amdhsa_exception_int_div_zero 0
	.end_amdhsa_kernel
	.section	.text._ZN7rocprim17ROCPRIM_400000_NS6detail17trampoline_kernelINS0_14default_configENS1_20scan_config_selectorI11FixedVectorIiLj1EEEEZZNS1_9scan_implILNS1_25lookback_scan_determinismE0ELb1ELb1ES3_N6thrust23THRUST_200600_302600_NS6detail15normal_iteratorINSB_10device_ptrIS6_EEEESG_S6_NSB_4plusIvEES6_EEDaPvRmT3_T4_T5_mT6_P12ihipStream_tbENKUlT_T0_E_clISt17integral_constantIbLb0EESV_IbLb1EEEEDaSR_SS_EUlSR_E_NS1_11comp_targetILNS1_3genE5ELNS1_11target_archE942ELNS1_3gpuE9ELNS1_3repE0EEENS1_30default_config_static_selectorELNS0_4arch9wavefront6targetE1EEEvT1_,"axG",@progbits,_ZN7rocprim17ROCPRIM_400000_NS6detail17trampoline_kernelINS0_14default_configENS1_20scan_config_selectorI11FixedVectorIiLj1EEEEZZNS1_9scan_implILNS1_25lookback_scan_determinismE0ELb1ELb1ES3_N6thrust23THRUST_200600_302600_NS6detail15normal_iteratorINSB_10device_ptrIS6_EEEESG_S6_NSB_4plusIvEES6_EEDaPvRmT3_T4_T5_mT6_P12ihipStream_tbENKUlT_T0_E_clISt17integral_constantIbLb0EESV_IbLb1EEEEDaSR_SS_EUlSR_E_NS1_11comp_targetILNS1_3genE5ELNS1_11target_archE942ELNS1_3gpuE9ELNS1_3repE0EEENS1_30default_config_static_selectorELNS0_4arch9wavefront6targetE1EEEvT1_,comdat
.Lfunc_end6517:
	.size	_ZN7rocprim17ROCPRIM_400000_NS6detail17trampoline_kernelINS0_14default_configENS1_20scan_config_selectorI11FixedVectorIiLj1EEEEZZNS1_9scan_implILNS1_25lookback_scan_determinismE0ELb1ELb1ES3_N6thrust23THRUST_200600_302600_NS6detail15normal_iteratorINSB_10device_ptrIS6_EEEESG_S6_NSB_4plusIvEES6_EEDaPvRmT3_T4_T5_mT6_P12ihipStream_tbENKUlT_T0_E_clISt17integral_constantIbLb0EESV_IbLb1EEEEDaSR_SS_EUlSR_E_NS1_11comp_targetILNS1_3genE5ELNS1_11target_archE942ELNS1_3gpuE9ELNS1_3repE0EEENS1_30default_config_static_selectorELNS0_4arch9wavefront6targetE1EEEvT1_, .Lfunc_end6517-_ZN7rocprim17ROCPRIM_400000_NS6detail17trampoline_kernelINS0_14default_configENS1_20scan_config_selectorI11FixedVectorIiLj1EEEEZZNS1_9scan_implILNS1_25lookback_scan_determinismE0ELb1ELb1ES3_N6thrust23THRUST_200600_302600_NS6detail15normal_iteratorINSB_10device_ptrIS6_EEEESG_S6_NSB_4plusIvEES6_EEDaPvRmT3_T4_T5_mT6_P12ihipStream_tbENKUlT_T0_E_clISt17integral_constantIbLb0EESV_IbLb1EEEEDaSR_SS_EUlSR_E_NS1_11comp_targetILNS1_3genE5ELNS1_11target_archE942ELNS1_3gpuE9ELNS1_3repE0EEENS1_30default_config_static_selectorELNS0_4arch9wavefront6targetE1EEEvT1_
                                        ; -- End function
	.section	.AMDGPU.csdata,"",@progbits
; Kernel info:
; codeLenInByte = 0
; NumSgprs: 4
; NumVgprs: 0
; NumAgprs: 0
; TotalNumVgprs: 0
; ScratchSize: 0
; MemoryBound: 0
; FloatMode: 240
; IeeeMode: 1
; LDSByteSize: 0 bytes/workgroup (compile time only)
; SGPRBlocks: 0
; VGPRBlocks: 0
; NumSGPRsForWavesPerEU: 4
; NumVGPRsForWavesPerEU: 1
; AccumOffset: 4
; Occupancy: 8
; WaveLimiterHint : 0
; COMPUTE_PGM_RSRC2:SCRATCH_EN: 0
; COMPUTE_PGM_RSRC2:USER_SGPR: 6
; COMPUTE_PGM_RSRC2:TRAP_HANDLER: 0
; COMPUTE_PGM_RSRC2:TGID_X_EN: 1
; COMPUTE_PGM_RSRC2:TGID_Y_EN: 0
; COMPUTE_PGM_RSRC2:TGID_Z_EN: 0
; COMPUTE_PGM_RSRC2:TIDIG_COMP_CNT: 0
; COMPUTE_PGM_RSRC3_GFX90A:ACCUM_OFFSET: 0
; COMPUTE_PGM_RSRC3_GFX90A:TG_SPLIT: 0
	.section	.text._ZN7rocprim17ROCPRIM_400000_NS6detail17trampoline_kernelINS0_14default_configENS1_20scan_config_selectorI11FixedVectorIiLj1EEEEZZNS1_9scan_implILNS1_25lookback_scan_determinismE0ELb1ELb1ES3_N6thrust23THRUST_200600_302600_NS6detail15normal_iteratorINSB_10device_ptrIS6_EEEESG_S6_NSB_4plusIvEES6_EEDaPvRmT3_T4_T5_mT6_P12ihipStream_tbENKUlT_T0_E_clISt17integral_constantIbLb0EESV_IbLb1EEEEDaSR_SS_EUlSR_E_NS1_11comp_targetILNS1_3genE4ELNS1_11target_archE910ELNS1_3gpuE8ELNS1_3repE0EEENS1_30default_config_static_selectorELNS0_4arch9wavefront6targetE1EEEvT1_,"axG",@progbits,_ZN7rocprim17ROCPRIM_400000_NS6detail17trampoline_kernelINS0_14default_configENS1_20scan_config_selectorI11FixedVectorIiLj1EEEEZZNS1_9scan_implILNS1_25lookback_scan_determinismE0ELb1ELb1ES3_N6thrust23THRUST_200600_302600_NS6detail15normal_iteratorINSB_10device_ptrIS6_EEEESG_S6_NSB_4plusIvEES6_EEDaPvRmT3_T4_T5_mT6_P12ihipStream_tbENKUlT_T0_E_clISt17integral_constantIbLb0EESV_IbLb1EEEEDaSR_SS_EUlSR_E_NS1_11comp_targetILNS1_3genE4ELNS1_11target_archE910ELNS1_3gpuE8ELNS1_3repE0EEENS1_30default_config_static_selectorELNS0_4arch9wavefront6targetE1EEEvT1_,comdat
	.protected	_ZN7rocprim17ROCPRIM_400000_NS6detail17trampoline_kernelINS0_14default_configENS1_20scan_config_selectorI11FixedVectorIiLj1EEEEZZNS1_9scan_implILNS1_25lookback_scan_determinismE0ELb1ELb1ES3_N6thrust23THRUST_200600_302600_NS6detail15normal_iteratorINSB_10device_ptrIS6_EEEESG_S6_NSB_4plusIvEES6_EEDaPvRmT3_T4_T5_mT6_P12ihipStream_tbENKUlT_T0_E_clISt17integral_constantIbLb0EESV_IbLb1EEEEDaSR_SS_EUlSR_E_NS1_11comp_targetILNS1_3genE4ELNS1_11target_archE910ELNS1_3gpuE8ELNS1_3repE0EEENS1_30default_config_static_selectorELNS0_4arch9wavefront6targetE1EEEvT1_ ; -- Begin function _ZN7rocprim17ROCPRIM_400000_NS6detail17trampoline_kernelINS0_14default_configENS1_20scan_config_selectorI11FixedVectorIiLj1EEEEZZNS1_9scan_implILNS1_25lookback_scan_determinismE0ELb1ELb1ES3_N6thrust23THRUST_200600_302600_NS6detail15normal_iteratorINSB_10device_ptrIS6_EEEESG_S6_NSB_4plusIvEES6_EEDaPvRmT3_T4_T5_mT6_P12ihipStream_tbENKUlT_T0_E_clISt17integral_constantIbLb0EESV_IbLb1EEEEDaSR_SS_EUlSR_E_NS1_11comp_targetILNS1_3genE4ELNS1_11target_archE910ELNS1_3gpuE8ELNS1_3repE0EEENS1_30default_config_static_selectorELNS0_4arch9wavefront6targetE1EEEvT1_
	.globl	_ZN7rocprim17ROCPRIM_400000_NS6detail17trampoline_kernelINS0_14default_configENS1_20scan_config_selectorI11FixedVectorIiLj1EEEEZZNS1_9scan_implILNS1_25lookback_scan_determinismE0ELb1ELb1ES3_N6thrust23THRUST_200600_302600_NS6detail15normal_iteratorINSB_10device_ptrIS6_EEEESG_S6_NSB_4plusIvEES6_EEDaPvRmT3_T4_T5_mT6_P12ihipStream_tbENKUlT_T0_E_clISt17integral_constantIbLb0EESV_IbLb1EEEEDaSR_SS_EUlSR_E_NS1_11comp_targetILNS1_3genE4ELNS1_11target_archE910ELNS1_3gpuE8ELNS1_3repE0EEENS1_30default_config_static_selectorELNS0_4arch9wavefront6targetE1EEEvT1_
	.p2align	8
	.type	_ZN7rocprim17ROCPRIM_400000_NS6detail17trampoline_kernelINS0_14default_configENS1_20scan_config_selectorI11FixedVectorIiLj1EEEEZZNS1_9scan_implILNS1_25lookback_scan_determinismE0ELb1ELb1ES3_N6thrust23THRUST_200600_302600_NS6detail15normal_iteratorINSB_10device_ptrIS6_EEEESG_S6_NSB_4plusIvEES6_EEDaPvRmT3_T4_T5_mT6_P12ihipStream_tbENKUlT_T0_E_clISt17integral_constantIbLb0EESV_IbLb1EEEEDaSR_SS_EUlSR_E_NS1_11comp_targetILNS1_3genE4ELNS1_11target_archE910ELNS1_3gpuE8ELNS1_3repE0EEENS1_30default_config_static_selectorELNS0_4arch9wavefront6targetE1EEEvT1_,@function
_ZN7rocprim17ROCPRIM_400000_NS6detail17trampoline_kernelINS0_14default_configENS1_20scan_config_selectorI11FixedVectorIiLj1EEEEZZNS1_9scan_implILNS1_25lookback_scan_determinismE0ELb1ELb1ES3_N6thrust23THRUST_200600_302600_NS6detail15normal_iteratorINSB_10device_ptrIS6_EEEESG_S6_NSB_4plusIvEES6_EEDaPvRmT3_T4_T5_mT6_P12ihipStream_tbENKUlT_T0_E_clISt17integral_constantIbLb0EESV_IbLb1EEEEDaSR_SS_EUlSR_E_NS1_11comp_targetILNS1_3genE4ELNS1_11target_archE910ELNS1_3gpuE8ELNS1_3repE0EEENS1_30default_config_static_selectorELNS0_4arch9wavefront6targetE1EEEvT1_: ; @_ZN7rocprim17ROCPRIM_400000_NS6detail17trampoline_kernelINS0_14default_configENS1_20scan_config_selectorI11FixedVectorIiLj1EEEEZZNS1_9scan_implILNS1_25lookback_scan_determinismE0ELb1ELb1ES3_N6thrust23THRUST_200600_302600_NS6detail15normal_iteratorINSB_10device_ptrIS6_EEEESG_S6_NSB_4plusIvEES6_EEDaPvRmT3_T4_T5_mT6_P12ihipStream_tbENKUlT_T0_E_clISt17integral_constantIbLb0EESV_IbLb1EEEEDaSR_SS_EUlSR_E_NS1_11comp_targetILNS1_3genE4ELNS1_11target_archE910ELNS1_3gpuE8ELNS1_3repE0EEENS1_30default_config_static_selectorELNS0_4arch9wavefront6targetE1EEEvT1_
; %bb.0:
	s_load_dword s33, s[4:5], 0x20
	s_load_dwordx2 s[6:7], s[4:5], 0x28
	v_cmp_ne_u32_e64 s[2:3], 0, v0
	v_cmp_eq_u32_e64 s[0:1], 0, v0
	s_and_saveexec_b64 s[8:9], s[0:1]
	s_cbranch_execz .LBB6518_4
; %bb.1:
	s_mov_b64 s[12:13], exec
	v_mbcnt_lo_u32_b32 v1, s12, 0
	v_mbcnt_hi_u32_b32 v1, s13, v1
	v_cmp_eq_u32_e32 vcc, 0, v1
                                        ; implicit-def: $vgpr2
	s_and_saveexec_b64 s[10:11], vcc
	s_cbranch_execz .LBB6518_3
; %bb.2:
	s_load_dwordx2 s[14:15], s[4:5], 0x58
	s_bcnt1_i32_b64 s12, s[12:13]
	v_mov_b32_e32 v2, 0
	v_mov_b32_e32 v3, s12
	s_waitcnt lgkmcnt(0)
	global_atomic_add v2, v2, v3, s[14:15] glc
.LBB6518_3:
	s_or_b64 exec, exec, s[10:11]
	s_waitcnt vmcnt(0)
	v_readfirstlane_b32 s10, v2
	v_add_u32_e32 v1, s10, v1
	v_mov_b32_e32 v2, 0
	ds_write_b32 v2, v1
.LBB6518_4:
	s_or_b64 exec, exec, s[8:9]
	s_load_dwordx8 s[16:23], s[4:5], 0x0
	s_load_dword s24, s[4:5], 0x30
	s_load_dwordx8 s[8:15], s[4:5], 0x38
	v_mov_b32_e32 v1, 0
	s_waitcnt lgkmcnt(0)
	s_barrier
	ds_read_b32 v1, v1
	s_lshl_b64 s[18:19], s[18:19], 2
	s_add_u32 s34, s16, s18
	s_addc_u32 s35, s17, s19
	s_add_i32 s16, s24, -1
	s_mul_i32 s17, s16, 0x500
	s_sub_u32 s30, s22, s17
	s_waitcnt lgkmcnt(0)
	v_readfirstlane_b32 s36, v1
	s_subb_u32 s31, s23, 0
	s_mov_b32 s5, 0
	s_mul_i32 s4, s36, 0x500
	s_cmp_lg_u32 s36, s16
	s_cselect_b64 s[16:17], -1, 0
	s_lshl_b64 s[22:23], s[4:5], 2
	s_add_u32 s24, s34, s22
	s_addc_u32 s25, s35, s23
	s_mov_b64 s[4:5], -1
	s_and_b64 vcc, exec, s[16:17]
	v_lshlrev_b32_e32 v22, 2, v0
	s_barrier
	s_cbranch_vccz .LBB6518_6
; %bb.5:
	v_mov_b32_e32 v1, s25
	v_add_co_u32_e32 v2, vcc, s24, v22
	v_addc_co_u32_e32 v3, vcc, 0, v1, vcc
	flat_load_dword v1, v[2:3]
	flat_load_dword v4, v[2:3] offset:512
	flat_load_dword v5, v[2:3] offset:1024
	;; [unrolled: 1-line block ×7, first 2 shown]
	v_add_co_u32_e32 v2, vcc, 0x1000, v2
	v_addc_co_u32_e32 v3, vcc, 0, v3, vcc
	flat_load_dword v11, v[2:3]
	flat_load_dword v12, v[2:3] offset:512
	s_mov_b64 s[4:5], 0
	s_waitcnt vmcnt(0) lgkmcnt(0)
	ds_write2st64_b32 v22, v1, v4 offset1:2
	ds_write2st64_b32 v22, v5, v6 offset0:4 offset1:6
	ds_write2st64_b32 v22, v7, v8 offset0:8 offset1:10
	;; [unrolled: 1-line block ×4, first 2 shown]
	s_waitcnt lgkmcnt(0)
	s_barrier
.LBB6518_6:
	s_andn2_b64 vcc, exec, s[4:5]
	v_cmp_gt_u32_e64 s[4:5], s30, v0
	s_cbranch_vccnz .LBB6518_28
; %bb.7:
	v_pk_mov_b32 v[2:3], s[24:25], s[24:25] op_sel:[0,1]
	flat_load_dword v1, v[2:3]
	s_waitcnt vmcnt(0) lgkmcnt(0)
	v_mov_b32_e32 v2, v1
	s_and_saveexec_b64 s[26:27], s[4:5]
	s_cbranch_execz .LBB6518_9
; %bb.8:
	v_mov_b32_e32 v3, s25
	v_add_co_u32_e32 v2, vcc, s24, v22
	v_addc_co_u32_e32 v3, vcc, 0, v3, vcc
	flat_load_dword v2, v[2:3]
.LBB6518_9:
	s_or_b64 exec, exec, s[26:27]
	v_or_b32_e32 v3, 0x80, v0
	v_cmp_gt_u32_e32 vcc, s30, v3
	v_mov_b32_e32 v3, v1
	s_and_saveexec_b64 s[4:5], vcc
	s_cbranch_execz .LBB6518_11
; %bb.10:
	v_mov_b32_e32 v3, s25
	v_add_co_u32_e32 v4, vcc, s24, v22
	v_addc_co_u32_e32 v5, vcc, 0, v3, vcc
	flat_load_dword v3, v[4:5] offset:512
.LBB6518_11:
	s_or_b64 exec, exec, s[4:5]
	v_or_b32_e32 v4, 0x100, v0
	v_cmp_gt_u32_e32 vcc, s30, v4
	v_mov_b32_e32 v4, v1
	s_and_saveexec_b64 s[4:5], vcc
	s_cbranch_execz .LBB6518_13
; %bb.12:
	v_mov_b32_e32 v5, s25
	v_add_co_u32_e32 v4, vcc, s24, v22
	v_addc_co_u32_e32 v5, vcc, 0, v5, vcc
	flat_load_dword v4, v[4:5] offset:1024
.LBB6518_13:
	;; [unrolled: 12-line block ×7, first 2 shown]
	s_or_b64 exec, exec, s[4:5]
	v_or_b32_e32 v11, 0x400, v0
	v_cmp_gt_u32_e32 vcc, s30, v11
	v_mov_b32_e32 v10, v1
	s_and_saveexec_b64 s[4:5], vcc
	s_cbranch_execz .LBB6518_25
; %bb.24:
	v_lshlrev_b32_e32 v10, 2, v11
	v_mov_b32_e32 v11, s25
	v_add_co_u32_e32 v10, vcc, s24, v10
	v_addc_co_u32_e32 v11, vcc, 0, v11, vcc
	flat_load_dword v10, v[10:11]
.LBB6518_25:
	s_or_b64 exec, exec, s[4:5]
	v_or_b32_e32 v11, 0x480, v0
	v_cmp_gt_u32_e32 vcc, s30, v11
	s_and_saveexec_b64 s[4:5], vcc
	s_cbranch_execz .LBB6518_27
; %bb.26:
	v_lshlrev_b32_e32 v1, 2, v11
	v_mov_b32_e32 v11, s25
	v_add_co_u32_e32 v12, vcc, s24, v1
	v_addc_co_u32_e32 v13, vcc, 0, v11, vcc
	flat_load_dword v1, v[12:13]
.LBB6518_27:
	s_or_b64 exec, exec, s[4:5]
	s_waitcnt vmcnt(0) lgkmcnt(0)
	ds_write2st64_b32 v22, v2, v3 offset1:2
	ds_write2st64_b32 v22, v4, v5 offset0:4 offset1:6
	ds_write2st64_b32 v22, v6, v7 offset0:8 offset1:10
	;; [unrolled: 1-line block ×4, first 2 shown]
	s_waitcnt lgkmcnt(0)
	s_barrier
.LBB6518_28:
	v_mul_u32_u24_e32 v23, 10, v0
	v_lshlrev_b32_e32 v1, 2, v23
	ds_read2_b64 v[6:9], v1 offset1:1
	ds_read2_b64 v[2:5], v1 offset0:2 offset1:3
	ds_read_b64 v[10:11], v1 offset:32
	s_cmp_lg_u32 s36, 0
	v_lshrrev_b32_e32 v24, 5, v0
	s_waitcnt lgkmcnt(2)
	v_add_u32_e32 v12, v7, v6
	v_add3_u32 v25, v12, v8, v9
	v_cmp_gt_u32_e32 vcc, 64, v0
	s_waitcnt lgkmcnt(0)
	s_barrier
	s_cbranch_scc0 .LBB6518_53
; %bb.29:
	v_add3_u32 v12, v25, v2, v3
	v_add3_u32 v12, v12, v4, v5
	;; [unrolled: 1-line block ×3, first 2 shown]
	v_add_lshl_u32 v13, v24, v0, 2
	ds_write_b32 v13, v12
	s_waitcnt lgkmcnt(0)
	s_barrier
	s_and_saveexec_b64 s[24:25], vcc
	s_cbranch_execz .LBB6518_31
; %bb.30:
	v_lshlrev_b32_e32 v13, 1, v0
	v_lshrrev_b32_e32 v14, 4, v0
	v_add_lshl_u32 v13, v14, v13, 2
	ds_read2_b32 v[14:15], v13 offset1:1
	v_mbcnt_lo_u32_b32 v16, -1, 0
	v_mbcnt_hi_u32_b32 v16, -1, v16
	v_and_b32_e32 v17, 15, v16
	v_cmp_ne_u32_e64 s[4:5], 0, v17
	s_waitcnt lgkmcnt(0)
	v_add_u32_e32 v15, v15, v14
	; wave barrier
	s_nop 1
	v_mov_b32_dpp v18, v15 row_shr:1 row_mask:0xf bank_mask:0xf
	v_cndmask_b32_e64 v18, 0, v18, s[4:5]
	v_add_u32_e32 v15, v18, v15
	v_cmp_lt_u32_e64 s[4:5], 1, v17
	s_nop 0
	v_mov_b32_dpp v18, v15 row_shr:2 row_mask:0xf bank_mask:0xf
	v_cndmask_b32_e64 v18, 0, v18, s[4:5]
	v_add_u32_e32 v15, v15, v18
	v_cmp_lt_u32_e64 s[4:5], 3, v17
	;; [unrolled: 5-line block ×3, first 2 shown]
	s_nop 0
	v_mov_b32_dpp v18, v15 row_shr:8 row_mask:0xf bank_mask:0xf
	v_cndmask_b32_e64 v17, 0, v18, s[4:5]
	v_add_u32_e32 v15, v15, v17
	v_bfe_i32 v18, v16, 4, 1
	v_cmp_lt_u32_e64 s[4:5], 31, v16
	v_mov_b32_dpp v17, v15 row_bcast:15 row_mask:0xf bank_mask:0xf
	v_and_b32_e32 v17, v18, v17
	v_add_u32_e32 v15, v15, v17
	v_and_b32_e32 v18, 64, v16
	s_nop 0
	v_mov_b32_dpp v17, v15 row_bcast:31 row_mask:0xf bank_mask:0xf
	v_cndmask_b32_e64 v17, 0, v17, s[4:5]
	v_add_u32_e32 v15, v15, v17
	v_add_u32_e32 v17, -1, v16
	v_cmp_lt_i32_e64 s[4:5], v17, v18
	v_cndmask_b32_e64 v16, v17, v16, s[4:5]
	v_lshlrev_b32_e32 v16, 2, v16
	ds_bpermute_b32 v15, v16, v15
	s_waitcnt lgkmcnt(0)
	v_add_u32_e32 v14, v15, v14
	v_cndmask_b32_e64 v12, v14, v12, s[0:1]
	ds_write_b32 v13, v12
	; wave barrier
	ds_read_b32 v14, v13 offset:4
	s_waitcnt lgkmcnt(0)
	v_add_u32_e32 v12, v14, v12
	ds_write_b32 v13, v12 offset:4
.LBB6518_31:
	s_or_b64 exec, exec, s[24:25]
	v_mov_b32_e32 v26, 0
	s_waitcnt lgkmcnt(0)
	s_barrier
	s_and_saveexec_b64 s[4:5], s[2:3]
	s_cbranch_execz .LBB6518_33
; %bb.32:
	v_add_u32_e32 v12, -1, v0
	v_lshrrev_b32_e32 v13, 5, v12
	v_add_lshl_u32 v12, v13, v12, 2
	ds_read_b32 v26, v12
.LBB6518_33:
	s_or_b64 exec, exec, s[4:5]
	s_and_saveexec_b64 s[24:25], vcc
	s_cbranch_execz .LBB6518_52
; %bb.34:
	v_mov_b32_e32 v19, 0
	ds_read_b32 v12, v19 offset:520
	v_mbcnt_lo_u32_b32 v13, -1, 0
	v_mbcnt_hi_u32_b32 v15, -1, v13
	s_mov_b32 s29, 0
	v_cmp_eq_u32_e64 s[4:5], 0, v15
	s_and_saveexec_b64 s[26:27], s[4:5]
	s_cbranch_execz .LBB6518_36
; %bb.35:
	s_add_i32 s28, s36, 64
	s_lshl_b64 s[28:29], s[28:29], 3
	s_add_u32 s28, s6, s28
	v_mov_b32_e32 v13, 1
	s_addc_u32 s29, s7, s29
	s_waitcnt lgkmcnt(0)
	global_store_dwordx2 v19, v[12:13], s[28:29]
.LBB6518_36:
	s_or_b64 exec, exec, s[26:27]
	v_xad_u32 v14, v15, -1, s36
	v_add_u32_e32 v18, 64, v14
	v_lshlrev_b64 v[16:17], 3, v[18:19]
	v_mov_b32_e32 v13, s7
	v_add_co_u32_e32 v20, vcc, s6, v16
	v_addc_co_u32_e32 v21, vcc, v13, v17, vcc
	global_load_dwordx2 v[16:17], v[20:21], off glc
	s_waitcnt vmcnt(0)
	v_cmp_eq_u16_sdwa s[28:29], v17, v19 src0_sel:BYTE_0 src1_sel:DWORD
	s_and_saveexec_b64 s[26:27], s[28:29]
	s_cbranch_execz .LBB6518_40
; %bb.37:
	s_mov_b64 s[28:29], 0
	v_mov_b32_e32 v13, 0
.LBB6518_38:                            ; =>This Inner Loop Header: Depth=1
	global_load_dwordx2 v[16:17], v[20:21], off glc
	s_waitcnt vmcnt(0)
	v_cmp_ne_u16_sdwa s[38:39], v17, v13 src0_sel:BYTE_0 src1_sel:DWORD
	s_or_b64 s[28:29], s[38:39], s[28:29]
	s_andn2_b64 exec, exec, s[28:29]
	s_cbranch_execnz .LBB6518_38
; %bb.39:
	s_or_b64 exec, exec, s[28:29]
.LBB6518_40:
	s_or_b64 exec, exec, s[26:27]
	v_and_b32_e32 v27, 63, v15
	v_mov_b32_e32 v13, 2
	v_cmp_ne_u32_e32 vcc, 63, v27
	v_cmp_eq_u16_sdwa s[26:27], v17, v13 src0_sel:BYTE_0 src1_sel:DWORD
	v_lshlrev_b64 v[18:19], v15, -1
	v_addc_co_u32_e32 v28, vcc, 0, v15, vcc
	v_and_b32_e32 v20, s27, v19
	v_lshlrev_b32_e32 v28, 2, v28
	v_or_b32_e32 v20, 0x80000000, v20
	ds_bpermute_b32 v29, v28, v16
	v_and_b32_e32 v21, s26, v18
	v_ffbl_b32_e32 v20, v20
	v_add_u32_e32 v20, 32, v20
	v_ffbl_b32_e32 v21, v21
	v_min_u32_e32 v20, v21, v20
	v_cmp_lt_u32_e32 vcc, v27, v20
	s_waitcnt lgkmcnt(0)
	v_cndmask_b32_e32 v21, 0, v29, vcc
	v_cmp_gt_u32_e32 vcc, 62, v27
	v_add_u32_e32 v16, v21, v16
	v_cndmask_b32_e64 v21, 0, 1, vcc
	v_lshlrev_b32_e32 v21, 1, v21
	v_add_lshl_u32 v29, v21, v15, 2
	ds_bpermute_b32 v21, v29, v16
	v_add_u32_e32 v30, 2, v27
	v_cmp_le_u32_e32 vcc, v30, v20
	v_add_u32_e32 v32, 4, v27
	v_add_u32_e32 v34, 8, v27
	s_waitcnt lgkmcnt(0)
	v_cndmask_b32_e32 v21, 0, v21, vcc
	v_cmp_gt_u32_e32 vcc, 60, v27
	v_add_u32_e32 v16, v16, v21
	v_cndmask_b32_e64 v21, 0, 1, vcc
	v_lshlrev_b32_e32 v21, 2, v21
	v_add_lshl_u32 v31, v21, v15, 2
	ds_bpermute_b32 v21, v31, v16
	v_cmp_le_u32_e32 vcc, v32, v20
	v_add_u32_e32 v37, 16, v27
	v_add_u32_e32 v39, 32, v27
	s_waitcnt lgkmcnt(0)
	v_cndmask_b32_e32 v21, 0, v21, vcc
	v_cmp_gt_u32_e32 vcc, 56, v27
	v_add_u32_e32 v16, v16, v21
	v_cndmask_b32_e64 v21, 0, 1, vcc
	v_lshlrev_b32_e32 v21, 3, v21
	v_add_lshl_u32 v33, v21, v15, 2
	ds_bpermute_b32 v21, v33, v16
	v_cmp_le_u32_e32 vcc, v34, v20
	s_waitcnt lgkmcnt(0)
	v_cndmask_b32_e32 v21, 0, v21, vcc
	v_cmp_gt_u32_e32 vcc, 48, v27
	v_add_u32_e32 v16, v16, v21
	v_cndmask_b32_e64 v21, 0, 1, vcc
	v_lshlrev_b32_e32 v21, 4, v21
	v_add_lshl_u32 v36, v21, v15, 2
	ds_bpermute_b32 v21, v36, v16
	v_cmp_le_u32_e32 vcc, v37, v20
	;; [unrolled: 9-line block ×3, first 2 shown]
	s_waitcnt lgkmcnt(0)
	v_cndmask_b32_e32 v15, 0, v15, vcc
	v_add_u32_e32 v16, v16, v15
	v_mov_b32_e32 v15, 0
	s_branch .LBB6518_42
.LBB6518_41:                            ;   in Loop: Header=BB6518_42 Depth=1
	s_or_b64 exec, exec, s[26:27]
	v_cmp_eq_u16_sdwa s[26:27], v17, v13 src0_sel:BYTE_0 src1_sel:DWORD
	v_and_b32_e32 v20, s27, v19
	v_or_b32_e32 v20, 0x80000000, v20
	ds_bpermute_b32 v40, v28, v16
	v_and_b32_e32 v21, s26, v18
	v_ffbl_b32_e32 v20, v20
	v_add_u32_e32 v20, 32, v20
	v_ffbl_b32_e32 v21, v21
	v_min_u32_e32 v20, v21, v20
	v_cmp_lt_u32_e32 vcc, v27, v20
	s_waitcnt lgkmcnt(0)
	v_cndmask_b32_e32 v21, 0, v40, vcc
	v_add_u32_e32 v16, v21, v16
	ds_bpermute_b32 v21, v29, v16
	v_cmp_le_u32_e32 vcc, v30, v20
	v_subrev_u32_e32 v14, 64, v14
	s_waitcnt lgkmcnt(0)
	v_cndmask_b32_e32 v21, 0, v21, vcc
	v_add_u32_e32 v16, v16, v21
	ds_bpermute_b32 v21, v31, v16
	v_cmp_le_u32_e32 vcc, v32, v20
	s_waitcnt lgkmcnt(0)
	v_cndmask_b32_e32 v21, 0, v21, vcc
	v_add_u32_e32 v16, v16, v21
	ds_bpermute_b32 v21, v33, v16
	v_cmp_le_u32_e32 vcc, v34, v20
	;; [unrolled: 5-line block ×4, first 2 shown]
	s_waitcnt lgkmcnt(0)
	v_cndmask_b32_e32 v20, 0, v21, vcc
	v_add3_u32 v16, v20, v35, v16
.LBB6518_42:                            ; =>This Loop Header: Depth=1
                                        ;     Child Loop BB6518_45 Depth 2
	v_cmp_ne_u16_sdwa s[26:27], v17, v13 src0_sel:BYTE_0 src1_sel:DWORD
	v_cndmask_b32_e64 v17, 0, 1, s[26:27]
	;;#ASMSTART
	;;#ASMEND
	v_cmp_ne_u32_e32 vcc, 0, v17
	s_cmp_lg_u64 vcc, exec
	v_mov_b32_e32 v35, v16
	s_cbranch_scc1 .LBB6518_47
; %bb.43:                               ;   in Loop: Header=BB6518_42 Depth=1
	v_lshlrev_b64 v[16:17], 3, v[14:15]
	v_mov_b32_e32 v21, s7
	v_add_co_u32_e32 v20, vcc, s6, v16
	v_addc_co_u32_e32 v21, vcc, v21, v17, vcc
	global_load_dwordx2 v[16:17], v[20:21], off glc
	s_waitcnt vmcnt(0)
	v_cmp_eq_u16_sdwa s[28:29], v17, v15 src0_sel:BYTE_0 src1_sel:DWORD
	s_and_saveexec_b64 s[26:27], s[28:29]
	s_cbranch_execz .LBB6518_41
; %bb.44:                               ;   in Loop: Header=BB6518_42 Depth=1
	s_mov_b64 s[28:29], 0
.LBB6518_45:                            ;   Parent Loop BB6518_42 Depth=1
                                        ; =>  This Inner Loop Header: Depth=2
	global_load_dwordx2 v[16:17], v[20:21], off glc
	s_waitcnt vmcnt(0)
	v_cmp_ne_u16_sdwa s[38:39], v17, v15 src0_sel:BYTE_0 src1_sel:DWORD
	s_or_b64 s[28:29], s[38:39], s[28:29]
	s_andn2_b64 exec, exec, s[28:29]
	s_cbranch_execnz .LBB6518_45
; %bb.46:                               ;   in Loop: Header=BB6518_42 Depth=1
	s_or_b64 exec, exec, s[28:29]
	s_branch .LBB6518_41
.LBB6518_47:                            ;   in Loop: Header=BB6518_42 Depth=1
                                        ; implicit-def: $vgpr16
                                        ; implicit-def: $vgpr17
	s_cbranch_execz .LBB6518_42
; %bb.48:
	s_and_saveexec_b64 s[26:27], s[4:5]
	s_cbranch_execz .LBB6518_50
; %bb.49:
	s_add_i32 s4, s36, 64
	s_mov_b32 s5, 0
	s_lshl_b64 s[4:5], s[4:5], 3
	s_add_u32 s4, s6, s4
	v_add_u32_e32 v12, v35, v12
	v_mov_b32_e32 v13, 2
	s_addc_u32 s5, s7, s5
	v_mov_b32_e32 v14, 0
	global_store_dwordx2 v14, v[12:13], s[4:5]
.LBB6518_50:
	s_or_b64 exec, exec, s[26:27]
	s_and_b64 exec, exec, s[0:1]
	s_cbranch_execz .LBB6518_52
; %bb.51:
	v_mov_b32_e32 v12, 0
	ds_write_b32 v12, v35
.LBB6518_52:
	s_or_b64 exec, exec, s[24:25]
	v_mov_b32_e32 v12, 0
	s_waitcnt lgkmcnt(0)
	s_barrier
	ds_read_b32 v12, v12
	s_waitcnt lgkmcnt(0)
	v_add_u32_e32 v12, v12, v26
	s_branch .LBB6518_63
.LBB6518_53:
                                        ; implicit-def: $vgpr12
	s_cbranch_execz .LBB6518_63
; %bb.54:
	s_cmp_eq_u64 s[12:13], 0
	v_mov_b32_e32 v13, s33
	s_cbranch_scc1 .LBB6518_56
; %bb.55:
	v_mov_b32_e32 v13, s35
	v_add_co_u32_e64 v12, vcc, -4, s34
	v_addc_co_u32_e32 v13, vcc, -1, v13, vcc
	v_mov_b32_e32 v14, 0
	flat_load_dword v15, v[12:13]
	global_load_dword v16, v14, s[8:9]
	s_waitcnt vmcnt(0) lgkmcnt(0)
	v_add_u32_e32 v13, v16, v15
.LBB6518_56:
	v_add3_u32 v12, v25, v2, v3
	v_add3_u32 v12, v12, v4, v5
	;; [unrolled: 1-line block ×3, first 2 shown]
	v_add_lshl_u32 v12, v24, v0, 2
	v_cmp_gt_u32_e32 vcc, 64, v0
	ds_write_b32 v12, v11
	s_waitcnt lgkmcnt(0)
	s_barrier
	s_and_saveexec_b64 s[4:5], vcc
	s_cbranch_execz .LBB6518_58
; %bb.57:
	v_lshlrev_b32_e32 v12, 1, v0
	v_lshrrev_b32_e32 v14, 4, v0
	v_add_lshl_u32 v12, v14, v12, 2
	ds_read2_b32 v[14:15], v12 offset1:1
	v_mbcnt_lo_u32_b32 v16, -1, 0
	v_mbcnt_hi_u32_b32 v16, -1, v16
	v_and_b32_e32 v17, 15, v16
	v_cmp_ne_u32_e32 vcc, 0, v17
	s_waitcnt lgkmcnt(0)
	v_add_u32_e32 v15, v15, v14
	; wave barrier
	s_nop 1
	v_mov_b32_dpp v18, v15 row_shr:1 row_mask:0xf bank_mask:0xf
	v_cndmask_b32_e32 v18, 0, v18, vcc
	v_add_u32_e32 v15, v18, v15
	v_cmp_lt_u32_e32 vcc, 1, v17
	s_nop 0
	v_mov_b32_dpp v18, v15 row_shr:2 row_mask:0xf bank_mask:0xf
	v_cndmask_b32_e32 v18, 0, v18, vcc
	v_add_u32_e32 v15, v15, v18
	v_cmp_lt_u32_e32 vcc, 3, v17
	;; [unrolled: 5-line block ×3, first 2 shown]
	s_nop 0
	v_mov_b32_dpp v18, v15 row_shr:8 row_mask:0xf bank_mask:0xf
	v_cndmask_b32_e32 v17, 0, v18, vcc
	v_add_u32_e32 v15, v15, v17
	v_bfe_i32 v18, v16, 4, 1
	v_cmp_lt_u32_e32 vcc, 31, v16
	v_mov_b32_dpp v17, v15 row_bcast:15 row_mask:0xf bank_mask:0xf
	v_and_b32_e32 v17, v18, v17
	v_add_u32_e32 v15, v15, v17
	v_and_b32_e32 v18, 64, v16
	s_nop 0
	v_mov_b32_dpp v17, v15 row_bcast:31 row_mask:0xf bank_mask:0xf
	v_cndmask_b32_e32 v17, 0, v17, vcc
	v_add_u32_e32 v15, v15, v17
	v_add_u32_e32 v17, -1, v16
	v_cmp_lt_i32_e32 vcc, v17, v18
	v_cndmask_b32_e32 v16, v17, v16, vcc
	v_lshlrev_b32_e32 v16, 2, v16
	ds_bpermute_b32 v15, v16, v15
	s_waitcnt lgkmcnt(0)
	v_add_u32_e32 v14, v15, v14
	v_cndmask_b32_e64 v11, v14, v11, s[0:1]
	ds_write_b32 v12, v11
	; wave barrier
	ds_read_b32 v14, v12 offset:4
	s_waitcnt lgkmcnt(0)
	v_add_u32_e32 v11, v14, v11
	ds_write_b32 v12, v11 offset:4
.LBB6518_58:
	s_or_b64 exec, exec, s[4:5]
	v_mov_b32_e32 v12, v13
	s_waitcnt lgkmcnt(0)
	s_barrier
	s_and_saveexec_b64 s[4:5], s[2:3]
	s_cbranch_execz .LBB6518_60
; %bb.59:
	v_add_u32_e32 v11, -1, v0
	v_lshrrev_b32_e32 v12, 5, v11
	v_add_lshl_u32 v11, v12, v11, 2
	ds_read_b32 v11, v11
	s_waitcnt lgkmcnt(0)
	v_add_u32_e32 v12, v11, v13
.LBB6518_60:
	s_or_b64 exec, exec, s[4:5]
	s_and_saveexec_b64 s[2:3], s[0:1]
	s_cbranch_execz .LBB6518_62
; %bb.61:
	v_mov_b32_e32 v11, 0
	ds_read_b32 v14, v11 offset:520
	v_mov_b32_e32 v15, 2
	s_waitcnt lgkmcnt(0)
	v_add_u32_e32 v14, v14, v13
	global_store_dwordx2 v11, v[14:15], s[6:7] offset:512
.LBB6518_62:
	s_or_b64 exec, exec, s[2:3]
.LBB6518_63:
	v_add_u32_e32 v13, v12, v6
	v_add_u32_e32 v14, v13, v7
	;; [unrolled: 1-line block ×5, first 2 shown]
	s_add_u32 s0, s20, s18
	v_add_u32_e32 v8, v7, v3
	s_addc_u32 s1, s21, s19
	v_add_u32_e32 v9, v8, v4
	v_add_u32_e32 v2, v9, v5
	s_add_u32 s2, s0, s22
	v_add_u32_e32 v3, v2, v10
	s_addc_u32 s3, s1, s23
	s_mov_b64 s[0:1], -1
	s_and_b64 vcc, exec, s[16:17]
	s_barrier
	s_cbranch_vccz .LBB6518_65
; %bb.64:
	ds_write2_b64 v1, v[12:13], v[14:15] offset1:1
	ds_write2_b64 v1, v[6:7], v[8:9] offset0:2 offset1:3
	ds_write_b64 v1, v[2:3] offset:32
	s_waitcnt lgkmcnt(0)
	s_barrier
	ds_read2st64_b32 v[4:5], v22 offset1:2
	ds_read2st64_b32 v[10:11], v22 offset0:4 offset1:6
	ds_read2st64_b32 v[16:17], v22 offset0:8 offset1:10
	ds_read2st64_b32 v[18:19], v22 offset0:12 offset1:14
	ds_read2st64_b32 v[20:21], v22 offset0:16 offset1:18
	v_mov_b32_e32 v25, s3
	v_add_co_u32_e32 v24, vcc, s2, v22
	v_addc_co_u32_e32 v25, vcc, 0, v25, vcc
	s_waitcnt lgkmcnt(4)
	flat_store_dword v[24:25], v4
	flat_store_dword v[24:25], v5 offset:512
	s_waitcnt lgkmcnt(0)
	flat_store_dword v[24:25], v10 offset:1024
	flat_store_dword v[24:25], v11 offset:1536
	flat_store_dword v[24:25], v16 offset:2048
	flat_store_dword v[24:25], v17 offset:2560
	flat_store_dword v[24:25], v18 offset:3072
	flat_store_dword v[24:25], v19 offset:3584
	v_add_co_u32_e32 v4, vcc, 0x1000, v24
	v_addc_co_u32_e32 v5, vcc, 0, v25, vcc
	flat_store_dword v[4:5], v20
	flat_store_dword v[4:5], v21 offset:512
	s_mov_b64 s[0:1], 0
.LBB6518_65:
	s_andn2_b64 vcc, exec, s[0:1]
	s_cbranch_vccnz .LBB6518_121
; %bb.66:
	ds_write2_b64 v1, v[12:13], v[14:15] offset1:1
	ds_write2_b64 v1, v[6:7], v[8:9] offset0:2 offset1:3
	ds_write_b64 v1, v[2:3] offset:32
	s_waitcnt lgkmcnt(0)
	s_barrier
	ds_read2st64_b32 v[2:3], v22 offset1:2
	ds_read2st64_b32 v[6:7], v22 offset0:4 offset1:6
	ds_read2st64_b32 v[4:5], v22 offset0:8 offset1:10
	;; [unrolled: 1-line block ×4, first 2 shown]
	v_mov_b32_e32 v13, s3
	v_add_co_u32_e32 v12, vcc, s2, v22
	v_addc_co_u32_e32 v13, vcc, 0, v13, vcc
	v_mov_b32_e32 v1, 0
	v_cmp_gt_u32_e32 vcc, s30, v0
	s_and_saveexec_b64 s[0:1], vcc
	s_cbranch_execz .LBB6518_68
; %bb.67:
	s_waitcnt lgkmcnt(0)
	flat_store_dword v[12:13], v2
.LBB6518_68:
	s_or_b64 exec, exec, s[0:1]
	v_or_b32_e32 v14, 0x80, v0
	v_cmp_gt_u32_e32 vcc, s30, v14
	s_and_saveexec_b64 s[0:1], vcc
	s_cbranch_execz .LBB6518_70
; %bb.69:
	s_waitcnt lgkmcnt(0)
	flat_store_dword v[12:13], v3 offset:512
.LBB6518_70:
	s_or_b64 exec, exec, s[0:1]
	v_or_b32_e32 v14, 0x100, v0
	v_cmp_gt_u32_e32 vcc, s30, v14
	s_and_saveexec_b64 s[0:1], vcc
	s_cbranch_execz .LBB6518_72
; %bb.71:
	s_waitcnt lgkmcnt(0)
	flat_store_dword v[12:13], v6 offset:1024
.LBB6518_72:
	;; [unrolled: 9-line block ×7, first 2 shown]
	s_or_b64 exec, exec, s[0:1]
	v_or_b32_e32 v14, 0x400, v0
	v_cmp_gt_u32_e32 vcc, s30, v14
	s_and_saveexec_b64 s[0:1], vcc
	s_cbranch_execz .LBB6518_84
; %bb.83:
	v_add_co_u32_e32 v14, vcc, 0x1000, v12
	v_addc_co_u32_e32 v15, vcc, 0, v13, vcc
	s_waitcnt lgkmcnt(0)
	flat_store_dword v[14:15], v10
.LBB6518_84:
	s_or_b64 exec, exec, s[0:1]
	v_or_b32_e32 v14, 0x480, v0
	v_cmp_gt_u32_e32 vcc, s30, v14
	s_and_saveexec_b64 s[0:1], vcc
	s_cbranch_execz .LBB6518_86
; %bb.85:
	v_add_co_u32_e32 v12, vcc, 0x1000, v12
	v_addc_co_u32_e32 v13, vcc, 0, v13, vcc
	s_waitcnt lgkmcnt(0)
	flat_store_dword v[12:13], v11 offset:512
.LBB6518_86:
	s_or_b64 exec, exec, s[0:1]
	v_cmp_lt_u64_e64 s[0:1], s[14:15], 2
	s_and_b64 vcc, exec, s[0:1]
	s_cbranch_vccnz .LBB6518_121
; %bb.87:
	s_add_u32 s0, s30, -1
	s_addc_u32 s1, s31, -1
	s_add_u32 s2, 0, 0x99986000
	s_addc_u32 s3, 0, 0x59
	s_add_i32 s3, s3, 0x19999940
	s_mul_hi_u32 s7, s2, -10
	s_sub_i32 s7, s7, s2
	s_mul_i32 s8, s3, -10
	s_mul_i32 s4, s2, -10
	s_add_i32 s7, s7, s8
	s_mul_hi_u32 s5, s3, s4
	s_mul_i32 s6, s3, s4
	s_mul_i32 s9, s2, s7
	s_mul_hi_u32 s4, s2, s4
	s_mul_hi_u32 s8, s2, s7
	s_add_u32 s4, s4, s9
	s_addc_u32 s8, 0, s8
	s_add_u32 s4, s4, s6
	s_mul_hi_u32 s9, s3, s7
	s_addc_u32 s4, s8, s5
	s_addc_u32 s5, s9, 0
	s_mul_i32 s6, s3, s7
	s_add_u32 s4, s4, s6
	v_mov_b32_e32 v12, s4
	s_addc_u32 s5, 0, s5
	v_add_co_u32_e32 v12, vcc, s2, v12
	s_cmp_lg_u64 vcc, 0
	s_addc_u32 s2, s3, s5
	v_readfirstlane_b32 s5, v12
	s_mul_i32 s4, s0, s2
	s_mul_hi_u32 s6, s0, s5
	s_mul_hi_u32 s3, s0, s2
	s_add_u32 s4, s6, s4
	s_addc_u32 s3, 0, s3
	s_mul_hi_u32 s7, s1, s5
	s_mul_i32 s5, s1, s5
	s_add_u32 s4, s4, s5
	s_mul_hi_u32 s6, s1, s2
	s_addc_u32 s3, s3, s7
	s_addc_u32 s4, s6, 0
	s_mul_i32 s2, s1, s2
	s_add_u32 s2, s3, s2
	s_addc_u32 s3, 0, s4
	s_add_u32 s4, s2, 1
	s_addc_u32 s5, s3, 0
	s_add_u32 s6, s2, 2
	s_mul_i32 s8, s3, 10
	s_mul_hi_u32 s9, s2, 10
	s_addc_u32 s7, s3, 0
	s_add_i32 s9, s9, s8
	s_mul_i32 s8, s2, 10
	v_mov_b32_e32 v12, s8
	v_sub_co_u32_e32 v12, vcc, s0, v12
	s_cmp_lg_u64 vcc, 0
	s_subb_u32 s8, s1, s9
	v_subrev_co_u32_e32 v13, vcc, 10, v12
	s_cmp_lg_u64 vcc, 0
	s_subb_u32 s9, s8, 0
	v_readfirstlane_b32 s12, v13
	s_cmp_gt_u32 s12, 9
	s_cselect_b32 s12, -1, 0
	s_cmp_eq_u32 s9, 0
	s_cselect_b32 s9, s12, -1
	s_cmp_lg_u32 s9, 0
	s_cselect_b32 s4, s6, s4
	v_readfirstlane_b32 s6, v12
	s_cselect_b32 s5, s7, s5
	s_cmp_gt_u32 s6, 9
	s_cselect_b32 s6, -1, 0
	s_cmp_eq_u32 s8, 0
	s_cselect_b32 s6, s6, -1
	s_cmp_lg_u32 s6, 0
	s_cselect_b32 s3, s5, s3
	s_cselect_b32 s2, s4, s2
	v_cmp_eq_u64_e32 vcc, s[2:3], v[0:1]
	s_and_saveexec_b64 s[2:3], vcc
	s_cbranch_execz .LBB6518_121
; %bb.88:
	v_mul_hi_u32_u24_e32 v1, 10, v0
	v_mov_b32_e32 v12, s1
	v_sub_co_u32_e32 v0, vcc, s0, v23
	v_subb_co_u32_e32 v1, vcc, v12, v1, vcc
	v_cmp_lt_i64_e32 vcc, 4, v[0:1]
	s_and_saveexec_b64 s[0:1], vcc
	s_xor_b64 s[0:1], exec, s[0:1]
	s_cbranch_execz .LBB6518_106
; %bb.89:
	v_cmp_lt_i64_e32 vcc, 6, v[0:1]
	s_and_saveexec_b64 s[2:3], vcc
	s_xor_b64 s[2:3], exec, s[2:3]
	s_cbranch_execz .LBB6518_99
; %bb.90:
	;; [unrolled: 5-line block ×4, first 2 shown]
	v_mov_b32_e32 v0, 0
	s_waitcnt lgkmcnt(0)
	global_store_dword v0, v11, s[10:11]
                                        ; implicit-def: $vgpr10_vgpr11
.LBB6518_93:
	s_andn2_saveexec_b64 s[6:7], s[6:7]
	s_cbranch_execz .LBB6518_95
; %bb.94:
	v_mov_b32_e32 v0, 0
	s_waitcnt lgkmcnt(0)
	global_store_dword v0, v10, s[10:11]
.LBB6518_95:
	s_or_b64 exec, exec, s[6:7]
                                        ; implicit-def: $vgpr8_vgpr9
.LBB6518_96:
	s_andn2_saveexec_b64 s[4:5], s[4:5]
	s_cbranch_execz .LBB6518_98
; %bb.97:
	v_mov_b32_e32 v0, 0
	s_waitcnt lgkmcnt(0)
	global_store_dword v0, v9, s[10:11]
.LBB6518_98:
	s_or_b64 exec, exec, s[4:5]
                                        ; implicit-def: $vgpr4_vgpr5
                                        ; implicit-def: $vgpr0_vgpr1
                                        ; implicit-def: $vgpr8_vgpr9
.LBB6518_99:
	s_andn2_saveexec_b64 s[2:3], s[2:3]
	s_cbranch_execz .LBB6518_105
; %bb.100:
	v_cmp_lt_i64_e32 vcc, 5, v[0:1]
	s_and_saveexec_b64 s[4:5], vcc
	s_xor_b64 s[4:5], exec, s[4:5]
	s_cbranch_execz .LBB6518_102
; %bb.101:
	v_mov_b32_e32 v0, 0
	s_waitcnt lgkmcnt(0)
	global_store_dword v0, v8, s[10:11]
                                        ; implicit-def: $vgpr4_vgpr5
.LBB6518_102:
	s_andn2_saveexec_b64 s[4:5], s[4:5]
	s_cbranch_execz .LBB6518_104
; %bb.103:
	v_mov_b32_e32 v0, 0
	s_waitcnt lgkmcnt(0)
	global_store_dword v0, v5, s[10:11]
.LBB6518_104:
	s_or_b64 exec, exec, s[4:5]
.LBB6518_105:
	s_or_b64 exec, exec, s[2:3]
                                        ; implicit-def: $vgpr0_vgpr1
                                        ; implicit-def: $vgpr6_vgpr7
                                        ; implicit-def: $vgpr2_vgpr3
                                        ; implicit-def: $vgpr4_vgpr5
.LBB6518_106:
	s_andn2_saveexec_b64 s[0:1], s[0:1]
	s_cbranch_execz .LBB6518_121
; %bb.107:
	v_cmp_lt_i64_e32 vcc, 2, v[0:1]
	s_and_saveexec_b64 s[0:1], vcc
	s_xor_b64 s[0:1], exec, s[0:1]
	s_cbranch_execz .LBB6518_113
; %bb.108:
	v_cmp_lt_i64_e32 vcc, 3, v[0:1]
	s_and_saveexec_b64 s[2:3], vcc
	s_xor_b64 s[2:3], exec, s[2:3]
	s_cbranch_execz .LBB6518_110
; %bb.109:
	v_mov_b32_e32 v0, 0
	s_waitcnt lgkmcnt(0)
	global_store_dword v0, v4, s[10:11]
                                        ; implicit-def: $vgpr6_vgpr7
.LBB6518_110:
	s_andn2_saveexec_b64 s[2:3], s[2:3]
	s_cbranch_execz .LBB6518_112
; %bb.111:
	v_mov_b32_e32 v0, 0
	s_waitcnt lgkmcnt(0)
	global_store_dword v0, v7, s[10:11]
.LBB6518_112:
	s_or_b64 exec, exec, s[2:3]
                                        ; implicit-def: $vgpr0_vgpr1
                                        ; implicit-def: $vgpr6_vgpr7
                                        ; implicit-def: $vgpr2_vgpr3
.LBB6518_113:
	s_andn2_saveexec_b64 s[0:1], s[0:1]
	s_cbranch_execz .LBB6518_121
; %bb.114:
	v_cmp_lt_i64_e32 vcc, 1, v[0:1]
	s_and_saveexec_b64 s[0:1], vcc
	s_xor_b64 s[0:1], exec, s[0:1]
	s_cbranch_execz .LBB6518_116
; %bb.115:
	v_mov_b32_e32 v0, 0
	s_waitcnt lgkmcnt(0)
	global_store_dword v0, v6, s[10:11]
                                        ; implicit-def: $vgpr2_vgpr3
                                        ; implicit-def: $vgpr0_vgpr1
.LBB6518_116:
	s_andn2_saveexec_b64 s[0:1], s[0:1]
	s_cbranch_execz .LBB6518_121
; %bb.117:
	v_cmp_ne_u64_e32 vcc, 1, v[0:1]
	s_and_saveexec_b64 s[0:1], vcc
	s_xor_b64 s[0:1], exec, s[0:1]
	s_cbranch_execz .LBB6518_119
; %bb.118:
	v_mov_b32_e32 v0, 0
	s_waitcnt lgkmcnt(0)
	global_store_dword v0, v2, s[10:11]
                                        ; implicit-def: $vgpr2_vgpr3
.LBB6518_119:
	s_andn2_saveexec_b64 s[0:1], s[0:1]
	s_cbranch_execz .LBB6518_121
; %bb.120:
	v_mov_b32_e32 v0, 0
	s_waitcnt lgkmcnt(0)
	global_store_dword v0, v3, s[10:11]
.LBB6518_121:
	s_endpgm
	.section	.rodata,"a",@progbits
	.p2align	6, 0x0
	.amdhsa_kernel _ZN7rocprim17ROCPRIM_400000_NS6detail17trampoline_kernelINS0_14default_configENS1_20scan_config_selectorI11FixedVectorIiLj1EEEEZZNS1_9scan_implILNS1_25lookback_scan_determinismE0ELb1ELb1ES3_N6thrust23THRUST_200600_302600_NS6detail15normal_iteratorINSB_10device_ptrIS6_EEEESG_S6_NSB_4plusIvEES6_EEDaPvRmT3_T4_T5_mT6_P12ihipStream_tbENKUlT_T0_E_clISt17integral_constantIbLb0EESV_IbLb1EEEEDaSR_SS_EUlSR_E_NS1_11comp_targetILNS1_3genE4ELNS1_11target_archE910ELNS1_3gpuE8ELNS1_3repE0EEENS1_30default_config_static_selectorELNS0_4arch9wavefront6targetE1EEEvT1_
		.amdhsa_group_segment_fixed_size 5120
		.amdhsa_private_segment_fixed_size 0
		.amdhsa_kernarg_size 96
		.amdhsa_user_sgpr_count 6
		.amdhsa_user_sgpr_private_segment_buffer 1
		.amdhsa_user_sgpr_dispatch_ptr 0
		.amdhsa_user_sgpr_queue_ptr 0
		.amdhsa_user_sgpr_kernarg_segment_ptr 1
		.amdhsa_user_sgpr_dispatch_id 0
		.amdhsa_user_sgpr_flat_scratch_init 0
		.amdhsa_user_sgpr_kernarg_preload_length 0
		.amdhsa_user_sgpr_kernarg_preload_offset 0
		.amdhsa_user_sgpr_private_segment_size 0
		.amdhsa_uses_dynamic_stack 0
		.amdhsa_system_sgpr_private_segment_wavefront_offset 0
		.amdhsa_system_sgpr_workgroup_id_x 1
		.amdhsa_system_sgpr_workgroup_id_y 0
		.amdhsa_system_sgpr_workgroup_id_z 0
		.amdhsa_system_sgpr_workgroup_info 0
		.amdhsa_system_vgpr_workitem_id 0
		.amdhsa_next_free_vgpr 41
		.amdhsa_next_free_sgpr 40
		.amdhsa_accum_offset 44
		.amdhsa_reserve_vcc 1
		.amdhsa_reserve_flat_scratch 0
		.amdhsa_float_round_mode_32 0
		.amdhsa_float_round_mode_16_64 0
		.amdhsa_float_denorm_mode_32 3
		.amdhsa_float_denorm_mode_16_64 3
		.amdhsa_dx10_clamp 1
		.amdhsa_ieee_mode 1
		.amdhsa_fp16_overflow 0
		.amdhsa_tg_split 0
		.amdhsa_exception_fp_ieee_invalid_op 0
		.amdhsa_exception_fp_denorm_src 0
		.amdhsa_exception_fp_ieee_div_zero 0
		.amdhsa_exception_fp_ieee_overflow 0
		.amdhsa_exception_fp_ieee_underflow 0
		.amdhsa_exception_fp_ieee_inexact 0
		.amdhsa_exception_int_div_zero 0
	.end_amdhsa_kernel
	.section	.text._ZN7rocprim17ROCPRIM_400000_NS6detail17trampoline_kernelINS0_14default_configENS1_20scan_config_selectorI11FixedVectorIiLj1EEEEZZNS1_9scan_implILNS1_25lookback_scan_determinismE0ELb1ELb1ES3_N6thrust23THRUST_200600_302600_NS6detail15normal_iteratorINSB_10device_ptrIS6_EEEESG_S6_NSB_4plusIvEES6_EEDaPvRmT3_T4_T5_mT6_P12ihipStream_tbENKUlT_T0_E_clISt17integral_constantIbLb0EESV_IbLb1EEEEDaSR_SS_EUlSR_E_NS1_11comp_targetILNS1_3genE4ELNS1_11target_archE910ELNS1_3gpuE8ELNS1_3repE0EEENS1_30default_config_static_selectorELNS0_4arch9wavefront6targetE1EEEvT1_,"axG",@progbits,_ZN7rocprim17ROCPRIM_400000_NS6detail17trampoline_kernelINS0_14default_configENS1_20scan_config_selectorI11FixedVectorIiLj1EEEEZZNS1_9scan_implILNS1_25lookback_scan_determinismE0ELb1ELb1ES3_N6thrust23THRUST_200600_302600_NS6detail15normal_iteratorINSB_10device_ptrIS6_EEEESG_S6_NSB_4plusIvEES6_EEDaPvRmT3_T4_T5_mT6_P12ihipStream_tbENKUlT_T0_E_clISt17integral_constantIbLb0EESV_IbLb1EEEEDaSR_SS_EUlSR_E_NS1_11comp_targetILNS1_3genE4ELNS1_11target_archE910ELNS1_3gpuE8ELNS1_3repE0EEENS1_30default_config_static_selectorELNS0_4arch9wavefront6targetE1EEEvT1_,comdat
.Lfunc_end6518:
	.size	_ZN7rocprim17ROCPRIM_400000_NS6detail17trampoline_kernelINS0_14default_configENS1_20scan_config_selectorI11FixedVectorIiLj1EEEEZZNS1_9scan_implILNS1_25lookback_scan_determinismE0ELb1ELb1ES3_N6thrust23THRUST_200600_302600_NS6detail15normal_iteratorINSB_10device_ptrIS6_EEEESG_S6_NSB_4plusIvEES6_EEDaPvRmT3_T4_T5_mT6_P12ihipStream_tbENKUlT_T0_E_clISt17integral_constantIbLb0EESV_IbLb1EEEEDaSR_SS_EUlSR_E_NS1_11comp_targetILNS1_3genE4ELNS1_11target_archE910ELNS1_3gpuE8ELNS1_3repE0EEENS1_30default_config_static_selectorELNS0_4arch9wavefront6targetE1EEEvT1_, .Lfunc_end6518-_ZN7rocprim17ROCPRIM_400000_NS6detail17trampoline_kernelINS0_14default_configENS1_20scan_config_selectorI11FixedVectorIiLj1EEEEZZNS1_9scan_implILNS1_25lookback_scan_determinismE0ELb1ELb1ES3_N6thrust23THRUST_200600_302600_NS6detail15normal_iteratorINSB_10device_ptrIS6_EEEESG_S6_NSB_4plusIvEES6_EEDaPvRmT3_T4_T5_mT6_P12ihipStream_tbENKUlT_T0_E_clISt17integral_constantIbLb0EESV_IbLb1EEEEDaSR_SS_EUlSR_E_NS1_11comp_targetILNS1_3genE4ELNS1_11target_archE910ELNS1_3gpuE8ELNS1_3repE0EEENS1_30default_config_static_selectorELNS0_4arch9wavefront6targetE1EEEvT1_
                                        ; -- End function
	.section	.AMDGPU.csdata,"",@progbits
; Kernel info:
; codeLenInByte = 4460
; NumSgprs: 44
; NumVgprs: 41
; NumAgprs: 0
; TotalNumVgprs: 41
; ScratchSize: 0
; MemoryBound: 0
; FloatMode: 240
; IeeeMode: 1
; LDSByteSize: 5120 bytes/workgroup (compile time only)
; SGPRBlocks: 5
; VGPRBlocks: 5
; NumSGPRsForWavesPerEU: 44
; NumVGPRsForWavesPerEU: 41
; AccumOffset: 44
; Occupancy: 6
; WaveLimiterHint : 1
; COMPUTE_PGM_RSRC2:SCRATCH_EN: 0
; COMPUTE_PGM_RSRC2:USER_SGPR: 6
; COMPUTE_PGM_RSRC2:TRAP_HANDLER: 0
; COMPUTE_PGM_RSRC2:TGID_X_EN: 1
; COMPUTE_PGM_RSRC2:TGID_Y_EN: 0
; COMPUTE_PGM_RSRC2:TGID_Z_EN: 0
; COMPUTE_PGM_RSRC2:TIDIG_COMP_CNT: 0
; COMPUTE_PGM_RSRC3_GFX90A:ACCUM_OFFSET: 10
; COMPUTE_PGM_RSRC3_GFX90A:TG_SPLIT: 0
	.section	.text._ZN7rocprim17ROCPRIM_400000_NS6detail17trampoline_kernelINS0_14default_configENS1_20scan_config_selectorI11FixedVectorIiLj1EEEEZZNS1_9scan_implILNS1_25lookback_scan_determinismE0ELb1ELb1ES3_N6thrust23THRUST_200600_302600_NS6detail15normal_iteratorINSB_10device_ptrIS6_EEEESG_S6_NSB_4plusIvEES6_EEDaPvRmT3_T4_T5_mT6_P12ihipStream_tbENKUlT_T0_E_clISt17integral_constantIbLb0EESV_IbLb1EEEEDaSR_SS_EUlSR_E_NS1_11comp_targetILNS1_3genE3ELNS1_11target_archE908ELNS1_3gpuE7ELNS1_3repE0EEENS1_30default_config_static_selectorELNS0_4arch9wavefront6targetE1EEEvT1_,"axG",@progbits,_ZN7rocprim17ROCPRIM_400000_NS6detail17trampoline_kernelINS0_14default_configENS1_20scan_config_selectorI11FixedVectorIiLj1EEEEZZNS1_9scan_implILNS1_25lookback_scan_determinismE0ELb1ELb1ES3_N6thrust23THRUST_200600_302600_NS6detail15normal_iteratorINSB_10device_ptrIS6_EEEESG_S6_NSB_4plusIvEES6_EEDaPvRmT3_T4_T5_mT6_P12ihipStream_tbENKUlT_T0_E_clISt17integral_constantIbLb0EESV_IbLb1EEEEDaSR_SS_EUlSR_E_NS1_11comp_targetILNS1_3genE3ELNS1_11target_archE908ELNS1_3gpuE7ELNS1_3repE0EEENS1_30default_config_static_selectorELNS0_4arch9wavefront6targetE1EEEvT1_,comdat
	.protected	_ZN7rocprim17ROCPRIM_400000_NS6detail17trampoline_kernelINS0_14default_configENS1_20scan_config_selectorI11FixedVectorIiLj1EEEEZZNS1_9scan_implILNS1_25lookback_scan_determinismE0ELb1ELb1ES3_N6thrust23THRUST_200600_302600_NS6detail15normal_iteratorINSB_10device_ptrIS6_EEEESG_S6_NSB_4plusIvEES6_EEDaPvRmT3_T4_T5_mT6_P12ihipStream_tbENKUlT_T0_E_clISt17integral_constantIbLb0EESV_IbLb1EEEEDaSR_SS_EUlSR_E_NS1_11comp_targetILNS1_3genE3ELNS1_11target_archE908ELNS1_3gpuE7ELNS1_3repE0EEENS1_30default_config_static_selectorELNS0_4arch9wavefront6targetE1EEEvT1_ ; -- Begin function _ZN7rocprim17ROCPRIM_400000_NS6detail17trampoline_kernelINS0_14default_configENS1_20scan_config_selectorI11FixedVectorIiLj1EEEEZZNS1_9scan_implILNS1_25lookback_scan_determinismE0ELb1ELb1ES3_N6thrust23THRUST_200600_302600_NS6detail15normal_iteratorINSB_10device_ptrIS6_EEEESG_S6_NSB_4plusIvEES6_EEDaPvRmT3_T4_T5_mT6_P12ihipStream_tbENKUlT_T0_E_clISt17integral_constantIbLb0EESV_IbLb1EEEEDaSR_SS_EUlSR_E_NS1_11comp_targetILNS1_3genE3ELNS1_11target_archE908ELNS1_3gpuE7ELNS1_3repE0EEENS1_30default_config_static_selectorELNS0_4arch9wavefront6targetE1EEEvT1_
	.globl	_ZN7rocprim17ROCPRIM_400000_NS6detail17trampoline_kernelINS0_14default_configENS1_20scan_config_selectorI11FixedVectorIiLj1EEEEZZNS1_9scan_implILNS1_25lookback_scan_determinismE0ELb1ELb1ES3_N6thrust23THRUST_200600_302600_NS6detail15normal_iteratorINSB_10device_ptrIS6_EEEESG_S6_NSB_4plusIvEES6_EEDaPvRmT3_T4_T5_mT6_P12ihipStream_tbENKUlT_T0_E_clISt17integral_constantIbLb0EESV_IbLb1EEEEDaSR_SS_EUlSR_E_NS1_11comp_targetILNS1_3genE3ELNS1_11target_archE908ELNS1_3gpuE7ELNS1_3repE0EEENS1_30default_config_static_selectorELNS0_4arch9wavefront6targetE1EEEvT1_
	.p2align	8
	.type	_ZN7rocprim17ROCPRIM_400000_NS6detail17trampoline_kernelINS0_14default_configENS1_20scan_config_selectorI11FixedVectorIiLj1EEEEZZNS1_9scan_implILNS1_25lookback_scan_determinismE0ELb1ELb1ES3_N6thrust23THRUST_200600_302600_NS6detail15normal_iteratorINSB_10device_ptrIS6_EEEESG_S6_NSB_4plusIvEES6_EEDaPvRmT3_T4_T5_mT6_P12ihipStream_tbENKUlT_T0_E_clISt17integral_constantIbLb0EESV_IbLb1EEEEDaSR_SS_EUlSR_E_NS1_11comp_targetILNS1_3genE3ELNS1_11target_archE908ELNS1_3gpuE7ELNS1_3repE0EEENS1_30default_config_static_selectorELNS0_4arch9wavefront6targetE1EEEvT1_,@function
_ZN7rocprim17ROCPRIM_400000_NS6detail17trampoline_kernelINS0_14default_configENS1_20scan_config_selectorI11FixedVectorIiLj1EEEEZZNS1_9scan_implILNS1_25lookback_scan_determinismE0ELb1ELb1ES3_N6thrust23THRUST_200600_302600_NS6detail15normal_iteratorINSB_10device_ptrIS6_EEEESG_S6_NSB_4plusIvEES6_EEDaPvRmT3_T4_T5_mT6_P12ihipStream_tbENKUlT_T0_E_clISt17integral_constantIbLb0EESV_IbLb1EEEEDaSR_SS_EUlSR_E_NS1_11comp_targetILNS1_3genE3ELNS1_11target_archE908ELNS1_3gpuE7ELNS1_3repE0EEENS1_30default_config_static_selectorELNS0_4arch9wavefront6targetE1EEEvT1_: ; @_ZN7rocprim17ROCPRIM_400000_NS6detail17trampoline_kernelINS0_14default_configENS1_20scan_config_selectorI11FixedVectorIiLj1EEEEZZNS1_9scan_implILNS1_25lookback_scan_determinismE0ELb1ELb1ES3_N6thrust23THRUST_200600_302600_NS6detail15normal_iteratorINSB_10device_ptrIS6_EEEESG_S6_NSB_4plusIvEES6_EEDaPvRmT3_T4_T5_mT6_P12ihipStream_tbENKUlT_T0_E_clISt17integral_constantIbLb0EESV_IbLb1EEEEDaSR_SS_EUlSR_E_NS1_11comp_targetILNS1_3genE3ELNS1_11target_archE908ELNS1_3gpuE7ELNS1_3repE0EEENS1_30default_config_static_selectorELNS0_4arch9wavefront6targetE1EEEvT1_
; %bb.0:
	.section	.rodata,"a",@progbits
	.p2align	6, 0x0
	.amdhsa_kernel _ZN7rocprim17ROCPRIM_400000_NS6detail17trampoline_kernelINS0_14default_configENS1_20scan_config_selectorI11FixedVectorIiLj1EEEEZZNS1_9scan_implILNS1_25lookback_scan_determinismE0ELb1ELb1ES3_N6thrust23THRUST_200600_302600_NS6detail15normal_iteratorINSB_10device_ptrIS6_EEEESG_S6_NSB_4plusIvEES6_EEDaPvRmT3_T4_T5_mT6_P12ihipStream_tbENKUlT_T0_E_clISt17integral_constantIbLb0EESV_IbLb1EEEEDaSR_SS_EUlSR_E_NS1_11comp_targetILNS1_3genE3ELNS1_11target_archE908ELNS1_3gpuE7ELNS1_3repE0EEENS1_30default_config_static_selectorELNS0_4arch9wavefront6targetE1EEEvT1_
		.amdhsa_group_segment_fixed_size 0
		.amdhsa_private_segment_fixed_size 0
		.amdhsa_kernarg_size 96
		.amdhsa_user_sgpr_count 6
		.amdhsa_user_sgpr_private_segment_buffer 1
		.amdhsa_user_sgpr_dispatch_ptr 0
		.amdhsa_user_sgpr_queue_ptr 0
		.amdhsa_user_sgpr_kernarg_segment_ptr 1
		.amdhsa_user_sgpr_dispatch_id 0
		.amdhsa_user_sgpr_flat_scratch_init 0
		.amdhsa_user_sgpr_kernarg_preload_length 0
		.amdhsa_user_sgpr_kernarg_preload_offset 0
		.amdhsa_user_sgpr_private_segment_size 0
		.amdhsa_uses_dynamic_stack 0
		.amdhsa_system_sgpr_private_segment_wavefront_offset 0
		.amdhsa_system_sgpr_workgroup_id_x 1
		.amdhsa_system_sgpr_workgroup_id_y 0
		.amdhsa_system_sgpr_workgroup_id_z 0
		.amdhsa_system_sgpr_workgroup_info 0
		.amdhsa_system_vgpr_workitem_id 0
		.amdhsa_next_free_vgpr 1
		.amdhsa_next_free_sgpr 0
		.amdhsa_accum_offset 4
		.amdhsa_reserve_vcc 0
		.amdhsa_reserve_flat_scratch 0
		.amdhsa_float_round_mode_32 0
		.amdhsa_float_round_mode_16_64 0
		.amdhsa_float_denorm_mode_32 3
		.amdhsa_float_denorm_mode_16_64 3
		.amdhsa_dx10_clamp 1
		.amdhsa_ieee_mode 1
		.amdhsa_fp16_overflow 0
		.amdhsa_tg_split 0
		.amdhsa_exception_fp_ieee_invalid_op 0
		.amdhsa_exception_fp_denorm_src 0
		.amdhsa_exception_fp_ieee_div_zero 0
		.amdhsa_exception_fp_ieee_overflow 0
		.amdhsa_exception_fp_ieee_underflow 0
		.amdhsa_exception_fp_ieee_inexact 0
		.amdhsa_exception_int_div_zero 0
	.end_amdhsa_kernel
	.section	.text._ZN7rocprim17ROCPRIM_400000_NS6detail17trampoline_kernelINS0_14default_configENS1_20scan_config_selectorI11FixedVectorIiLj1EEEEZZNS1_9scan_implILNS1_25lookback_scan_determinismE0ELb1ELb1ES3_N6thrust23THRUST_200600_302600_NS6detail15normal_iteratorINSB_10device_ptrIS6_EEEESG_S6_NSB_4plusIvEES6_EEDaPvRmT3_T4_T5_mT6_P12ihipStream_tbENKUlT_T0_E_clISt17integral_constantIbLb0EESV_IbLb1EEEEDaSR_SS_EUlSR_E_NS1_11comp_targetILNS1_3genE3ELNS1_11target_archE908ELNS1_3gpuE7ELNS1_3repE0EEENS1_30default_config_static_selectorELNS0_4arch9wavefront6targetE1EEEvT1_,"axG",@progbits,_ZN7rocprim17ROCPRIM_400000_NS6detail17trampoline_kernelINS0_14default_configENS1_20scan_config_selectorI11FixedVectorIiLj1EEEEZZNS1_9scan_implILNS1_25lookback_scan_determinismE0ELb1ELb1ES3_N6thrust23THRUST_200600_302600_NS6detail15normal_iteratorINSB_10device_ptrIS6_EEEESG_S6_NSB_4plusIvEES6_EEDaPvRmT3_T4_T5_mT6_P12ihipStream_tbENKUlT_T0_E_clISt17integral_constantIbLb0EESV_IbLb1EEEEDaSR_SS_EUlSR_E_NS1_11comp_targetILNS1_3genE3ELNS1_11target_archE908ELNS1_3gpuE7ELNS1_3repE0EEENS1_30default_config_static_selectorELNS0_4arch9wavefront6targetE1EEEvT1_,comdat
.Lfunc_end6519:
	.size	_ZN7rocprim17ROCPRIM_400000_NS6detail17trampoline_kernelINS0_14default_configENS1_20scan_config_selectorI11FixedVectorIiLj1EEEEZZNS1_9scan_implILNS1_25lookback_scan_determinismE0ELb1ELb1ES3_N6thrust23THRUST_200600_302600_NS6detail15normal_iteratorINSB_10device_ptrIS6_EEEESG_S6_NSB_4plusIvEES6_EEDaPvRmT3_T4_T5_mT6_P12ihipStream_tbENKUlT_T0_E_clISt17integral_constantIbLb0EESV_IbLb1EEEEDaSR_SS_EUlSR_E_NS1_11comp_targetILNS1_3genE3ELNS1_11target_archE908ELNS1_3gpuE7ELNS1_3repE0EEENS1_30default_config_static_selectorELNS0_4arch9wavefront6targetE1EEEvT1_, .Lfunc_end6519-_ZN7rocprim17ROCPRIM_400000_NS6detail17trampoline_kernelINS0_14default_configENS1_20scan_config_selectorI11FixedVectorIiLj1EEEEZZNS1_9scan_implILNS1_25lookback_scan_determinismE0ELb1ELb1ES3_N6thrust23THRUST_200600_302600_NS6detail15normal_iteratorINSB_10device_ptrIS6_EEEESG_S6_NSB_4plusIvEES6_EEDaPvRmT3_T4_T5_mT6_P12ihipStream_tbENKUlT_T0_E_clISt17integral_constantIbLb0EESV_IbLb1EEEEDaSR_SS_EUlSR_E_NS1_11comp_targetILNS1_3genE3ELNS1_11target_archE908ELNS1_3gpuE7ELNS1_3repE0EEENS1_30default_config_static_selectorELNS0_4arch9wavefront6targetE1EEEvT1_
                                        ; -- End function
	.section	.AMDGPU.csdata,"",@progbits
; Kernel info:
; codeLenInByte = 0
; NumSgprs: 4
; NumVgprs: 0
; NumAgprs: 0
; TotalNumVgprs: 0
; ScratchSize: 0
; MemoryBound: 0
; FloatMode: 240
; IeeeMode: 1
; LDSByteSize: 0 bytes/workgroup (compile time only)
; SGPRBlocks: 0
; VGPRBlocks: 0
; NumSGPRsForWavesPerEU: 4
; NumVGPRsForWavesPerEU: 1
; AccumOffset: 4
; Occupancy: 8
; WaveLimiterHint : 0
; COMPUTE_PGM_RSRC2:SCRATCH_EN: 0
; COMPUTE_PGM_RSRC2:USER_SGPR: 6
; COMPUTE_PGM_RSRC2:TRAP_HANDLER: 0
; COMPUTE_PGM_RSRC2:TGID_X_EN: 1
; COMPUTE_PGM_RSRC2:TGID_Y_EN: 0
; COMPUTE_PGM_RSRC2:TGID_Z_EN: 0
; COMPUTE_PGM_RSRC2:TIDIG_COMP_CNT: 0
; COMPUTE_PGM_RSRC3_GFX90A:ACCUM_OFFSET: 0
; COMPUTE_PGM_RSRC3_GFX90A:TG_SPLIT: 0
	.section	.text._ZN7rocprim17ROCPRIM_400000_NS6detail17trampoline_kernelINS0_14default_configENS1_20scan_config_selectorI11FixedVectorIiLj1EEEEZZNS1_9scan_implILNS1_25lookback_scan_determinismE0ELb1ELb1ES3_N6thrust23THRUST_200600_302600_NS6detail15normal_iteratorINSB_10device_ptrIS6_EEEESG_S6_NSB_4plusIvEES6_EEDaPvRmT3_T4_T5_mT6_P12ihipStream_tbENKUlT_T0_E_clISt17integral_constantIbLb0EESV_IbLb1EEEEDaSR_SS_EUlSR_E_NS1_11comp_targetILNS1_3genE2ELNS1_11target_archE906ELNS1_3gpuE6ELNS1_3repE0EEENS1_30default_config_static_selectorELNS0_4arch9wavefront6targetE1EEEvT1_,"axG",@progbits,_ZN7rocprim17ROCPRIM_400000_NS6detail17trampoline_kernelINS0_14default_configENS1_20scan_config_selectorI11FixedVectorIiLj1EEEEZZNS1_9scan_implILNS1_25lookback_scan_determinismE0ELb1ELb1ES3_N6thrust23THRUST_200600_302600_NS6detail15normal_iteratorINSB_10device_ptrIS6_EEEESG_S6_NSB_4plusIvEES6_EEDaPvRmT3_T4_T5_mT6_P12ihipStream_tbENKUlT_T0_E_clISt17integral_constantIbLb0EESV_IbLb1EEEEDaSR_SS_EUlSR_E_NS1_11comp_targetILNS1_3genE2ELNS1_11target_archE906ELNS1_3gpuE6ELNS1_3repE0EEENS1_30default_config_static_selectorELNS0_4arch9wavefront6targetE1EEEvT1_,comdat
	.protected	_ZN7rocprim17ROCPRIM_400000_NS6detail17trampoline_kernelINS0_14default_configENS1_20scan_config_selectorI11FixedVectorIiLj1EEEEZZNS1_9scan_implILNS1_25lookback_scan_determinismE0ELb1ELb1ES3_N6thrust23THRUST_200600_302600_NS6detail15normal_iteratorINSB_10device_ptrIS6_EEEESG_S6_NSB_4plusIvEES6_EEDaPvRmT3_T4_T5_mT6_P12ihipStream_tbENKUlT_T0_E_clISt17integral_constantIbLb0EESV_IbLb1EEEEDaSR_SS_EUlSR_E_NS1_11comp_targetILNS1_3genE2ELNS1_11target_archE906ELNS1_3gpuE6ELNS1_3repE0EEENS1_30default_config_static_selectorELNS0_4arch9wavefront6targetE1EEEvT1_ ; -- Begin function _ZN7rocprim17ROCPRIM_400000_NS6detail17trampoline_kernelINS0_14default_configENS1_20scan_config_selectorI11FixedVectorIiLj1EEEEZZNS1_9scan_implILNS1_25lookback_scan_determinismE0ELb1ELb1ES3_N6thrust23THRUST_200600_302600_NS6detail15normal_iteratorINSB_10device_ptrIS6_EEEESG_S6_NSB_4plusIvEES6_EEDaPvRmT3_T4_T5_mT6_P12ihipStream_tbENKUlT_T0_E_clISt17integral_constantIbLb0EESV_IbLb1EEEEDaSR_SS_EUlSR_E_NS1_11comp_targetILNS1_3genE2ELNS1_11target_archE906ELNS1_3gpuE6ELNS1_3repE0EEENS1_30default_config_static_selectorELNS0_4arch9wavefront6targetE1EEEvT1_
	.globl	_ZN7rocprim17ROCPRIM_400000_NS6detail17trampoline_kernelINS0_14default_configENS1_20scan_config_selectorI11FixedVectorIiLj1EEEEZZNS1_9scan_implILNS1_25lookback_scan_determinismE0ELb1ELb1ES3_N6thrust23THRUST_200600_302600_NS6detail15normal_iteratorINSB_10device_ptrIS6_EEEESG_S6_NSB_4plusIvEES6_EEDaPvRmT3_T4_T5_mT6_P12ihipStream_tbENKUlT_T0_E_clISt17integral_constantIbLb0EESV_IbLb1EEEEDaSR_SS_EUlSR_E_NS1_11comp_targetILNS1_3genE2ELNS1_11target_archE906ELNS1_3gpuE6ELNS1_3repE0EEENS1_30default_config_static_selectorELNS0_4arch9wavefront6targetE1EEEvT1_
	.p2align	8
	.type	_ZN7rocprim17ROCPRIM_400000_NS6detail17trampoline_kernelINS0_14default_configENS1_20scan_config_selectorI11FixedVectorIiLj1EEEEZZNS1_9scan_implILNS1_25lookback_scan_determinismE0ELb1ELb1ES3_N6thrust23THRUST_200600_302600_NS6detail15normal_iteratorINSB_10device_ptrIS6_EEEESG_S6_NSB_4plusIvEES6_EEDaPvRmT3_T4_T5_mT6_P12ihipStream_tbENKUlT_T0_E_clISt17integral_constantIbLb0EESV_IbLb1EEEEDaSR_SS_EUlSR_E_NS1_11comp_targetILNS1_3genE2ELNS1_11target_archE906ELNS1_3gpuE6ELNS1_3repE0EEENS1_30default_config_static_selectorELNS0_4arch9wavefront6targetE1EEEvT1_,@function
_ZN7rocprim17ROCPRIM_400000_NS6detail17trampoline_kernelINS0_14default_configENS1_20scan_config_selectorI11FixedVectorIiLj1EEEEZZNS1_9scan_implILNS1_25lookback_scan_determinismE0ELb1ELb1ES3_N6thrust23THRUST_200600_302600_NS6detail15normal_iteratorINSB_10device_ptrIS6_EEEESG_S6_NSB_4plusIvEES6_EEDaPvRmT3_T4_T5_mT6_P12ihipStream_tbENKUlT_T0_E_clISt17integral_constantIbLb0EESV_IbLb1EEEEDaSR_SS_EUlSR_E_NS1_11comp_targetILNS1_3genE2ELNS1_11target_archE906ELNS1_3gpuE6ELNS1_3repE0EEENS1_30default_config_static_selectorELNS0_4arch9wavefront6targetE1EEEvT1_: ; @_ZN7rocprim17ROCPRIM_400000_NS6detail17trampoline_kernelINS0_14default_configENS1_20scan_config_selectorI11FixedVectorIiLj1EEEEZZNS1_9scan_implILNS1_25lookback_scan_determinismE0ELb1ELb1ES3_N6thrust23THRUST_200600_302600_NS6detail15normal_iteratorINSB_10device_ptrIS6_EEEESG_S6_NSB_4plusIvEES6_EEDaPvRmT3_T4_T5_mT6_P12ihipStream_tbENKUlT_T0_E_clISt17integral_constantIbLb0EESV_IbLb1EEEEDaSR_SS_EUlSR_E_NS1_11comp_targetILNS1_3genE2ELNS1_11target_archE906ELNS1_3gpuE6ELNS1_3repE0EEENS1_30default_config_static_selectorELNS0_4arch9wavefront6targetE1EEEvT1_
; %bb.0:
	.section	.rodata,"a",@progbits
	.p2align	6, 0x0
	.amdhsa_kernel _ZN7rocprim17ROCPRIM_400000_NS6detail17trampoline_kernelINS0_14default_configENS1_20scan_config_selectorI11FixedVectorIiLj1EEEEZZNS1_9scan_implILNS1_25lookback_scan_determinismE0ELb1ELb1ES3_N6thrust23THRUST_200600_302600_NS6detail15normal_iteratorINSB_10device_ptrIS6_EEEESG_S6_NSB_4plusIvEES6_EEDaPvRmT3_T4_T5_mT6_P12ihipStream_tbENKUlT_T0_E_clISt17integral_constantIbLb0EESV_IbLb1EEEEDaSR_SS_EUlSR_E_NS1_11comp_targetILNS1_3genE2ELNS1_11target_archE906ELNS1_3gpuE6ELNS1_3repE0EEENS1_30default_config_static_selectorELNS0_4arch9wavefront6targetE1EEEvT1_
		.amdhsa_group_segment_fixed_size 0
		.amdhsa_private_segment_fixed_size 0
		.amdhsa_kernarg_size 96
		.amdhsa_user_sgpr_count 6
		.amdhsa_user_sgpr_private_segment_buffer 1
		.amdhsa_user_sgpr_dispatch_ptr 0
		.amdhsa_user_sgpr_queue_ptr 0
		.amdhsa_user_sgpr_kernarg_segment_ptr 1
		.amdhsa_user_sgpr_dispatch_id 0
		.amdhsa_user_sgpr_flat_scratch_init 0
		.amdhsa_user_sgpr_kernarg_preload_length 0
		.amdhsa_user_sgpr_kernarg_preload_offset 0
		.amdhsa_user_sgpr_private_segment_size 0
		.amdhsa_uses_dynamic_stack 0
		.amdhsa_system_sgpr_private_segment_wavefront_offset 0
		.amdhsa_system_sgpr_workgroup_id_x 1
		.amdhsa_system_sgpr_workgroup_id_y 0
		.amdhsa_system_sgpr_workgroup_id_z 0
		.amdhsa_system_sgpr_workgroup_info 0
		.amdhsa_system_vgpr_workitem_id 0
		.amdhsa_next_free_vgpr 1
		.amdhsa_next_free_sgpr 0
		.amdhsa_accum_offset 4
		.amdhsa_reserve_vcc 0
		.amdhsa_reserve_flat_scratch 0
		.amdhsa_float_round_mode_32 0
		.amdhsa_float_round_mode_16_64 0
		.amdhsa_float_denorm_mode_32 3
		.amdhsa_float_denorm_mode_16_64 3
		.amdhsa_dx10_clamp 1
		.amdhsa_ieee_mode 1
		.amdhsa_fp16_overflow 0
		.amdhsa_tg_split 0
		.amdhsa_exception_fp_ieee_invalid_op 0
		.amdhsa_exception_fp_denorm_src 0
		.amdhsa_exception_fp_ieee_div_zero 0
		.amdhsa_exception_fp_ieee_overflow 0
		.amdhsa_exception_fp_ieee_underflow 0
		.amdhsa_exception_fp_ieee_inexact 0
		.amdhsa_exception_int_div_zero 0
	.end_amdhsa_kernel
	.section	.text._ZN7rocprim17ROCPRIM_400000_NS6detail17trampoline_kernelINS0_14default_configENS1_20scan_config_selectorI11FixedVectorIiLj1EEEEZZNS1_9scan_implILNS1_25lookback_scan_determinismE0ELb1ELb1ES3_N6thrust23THRUST_200600_302600_NS6detail15normal_iteratorINSB_10device_ptrIS6_EEEESG_S6_NSB_4plusIvEES6_EEDaPvRmT3_T4_T5_mT6_P12ihipStream_tbENKUlT_T0_E_clISt17integral_constantIbLb0EESV_IbLb1EEEEDaSR_SS_EUlSR_E_NS1_11comp_targetILNS1_3genE2ELNS1_11target_archE906ELNS1_3gpuE6ELNS1_3repE0EEENS1_30default_config_static_selectorELNS0_4arch9wavefront6targetE1EEEvT1_,"axG",@progbits,_ZN7rocprim17ROCPRIM_400000_NS6detail17trampoline_kernelINS0_14default_configENS1_20scan_config_selectorI11FixedVectorIiLj1EEEEZZNS1_9scan_implILNS1_25lookback_scan_determinismE0ELb1ELb1ES3_N6thrust23THRUST_200600_302600_NS6detail15normal_iteratorINSB_10device_ptrIS6_EEEESG_S6_NSB_4plusIvEES6_EEDaPvRmT3_T4_T5_mT6_P12ihipStream_tbENKUlT_T0_E_clISt17integral_constantIbLb0EESV_IbLb1EEEEDaSR_SS_EUlSR_E_NS1_11comp_targetILNS1_3genE2ELNS1_11target_archE906ELNS1_3gpuE6ELNS1_3repE0EEENS1_30default_config_static_selectorELNS0_4arch9wavefront6targetE1EEEvT1_,comdat
.Lfunc_end6520:
	.size	_ZN7rocprim17ROCPRIM_400000_NS6detail17trampoline_kernelINS0_14default_configENS1_20scan_config_selectorI11FixedVectorIiLj1EEEEZZNS1_9scan_implILNS1_25lookback_scan_determinismE0ELb1ELb1ES3_N6thrust23THRUST_200600_302600_NS6detail15normal_iteratorINSB_10device_ptrIS6_EEEESG_S6_NSB_4plusIvEES6_EEDaPvRmT3_T4_T5_mT6_P12ihipStream_tbENKUlT_T0_E_clISt17integral_constantIbLb0EESV_IbLb1EEEEDaSR_SS_EUlSR_E_NS1_11comp_targetILNS1_3genE2ELNS1_11target_archE906ELNS1_3gpuE6ELNS1_3repE0EEENS1_30default_config_static_selectorELNS0_4arch9wavefront6targetE1EEEvT1_, .Lfunc_end6520-_ZN7rocprim17ROCPRIM_400000_NS6detail17trampoline_kernelINS0_14default_configENS1_20scan_config_selectorI11FixedVectorIiLj1EEEEZZNS1_9scan_implILNS1_25lookback_scan_determinismE0ELb1ELb1ES3_N6thrust23THRUST_200600_302600_NS6detail15normal_iteratorINSB_10device_ptrIS6_EEEESG_S6_NSB_4plusIvEES6_EEDaPvRmT3_T4_T5_mT6_P12ihipStream_tbENKUlT_T0_E_clISt17integral_constantIbLb0EESV_IbLb1EEEEDaSR_SS_EUlSR_E_NS1_11comp_targetILNS1_3genE2ELNS1_11target_archE906ELNS1_3gpuE6ELNS1_3repE0EEENS1_30default_config_static_selectorELNS0_4arch9wavefront6targetE1EEEvT1_
                                        ; -- End function
	.section	.AMDGPU.csdata,"",@progbits
; Kernel info:
; codeLenInByte = 0
; NumSgprs: 4
; NumVgprs: 0
; NumAgprs: 0
; TotalNumVgprs: 0
; ScratchSize: 0
; MemoryBound: 0
; FloatMode: 240
; IeeeMode: 1
; LDSByteSize: 0 bytes/workgroup (compile time only)
; SGPRBlocks: 0
; VGPRBlocks: 0
; NumSGPRsForWavesPerEU: 4
; NumVGPRsForWavesPerEU: 1
; AccumOffset: 4
; Occupancy: 8
; WaveLimiterHint : 0
; COMPUTE_PGM_RSRC2:SCRATCH_EN: 0
; COMPUTE_PGM_RSRC2:USER_SGPR: 6
; COMPUTE_PGM_RSRC2:TRAP_HANDLER: 0
; COMPUTE_PGM_RSRC2:TGID_X_EN: 1
; COMPUTE_PGM_RSRC2:TGID_Y_EN: 0
; COMPUTE_PGM_RSRC2:TGID_Z_EN: 0
; COMPUTE_PGM_RSRC2:TIDIG_COMP_CNT: 0
; COMPUTE_PGM_RSRC3_GFX90A:ACCUM_OFFSET: 0
; COMPUTE_PGM_RSRC3_GFX90A:TG_SPLIT: 0
	.section	.text._ZN7rocprim17ROCPRIM_400000_NS6detail17trampoline_kernelINS0_14default_configENS1_20scan_config_selectorI11FixedVectorIiLj1EEEEZZNS1_9scan_implILNS1_25lookback_scan_determinismE0ELb1ELb1ES3_N6thrust23THRUST_200600_302600_NS6detail15normal_iteratorINSB_10device_ptrIS6_EEEESG_S6_NSB_4plusIvEES6_EEDaPvRmT3_T4_T5_mT6_P12ihipStream_tbENKUlT_T0_E_clISt17integral_constantIbLb0EESV_IbLb1EEEEDaSR_SS_EUlSR_E_NS1_11comp_targetILNS1_3genE10ELNS1_11target_archE1201ELNS1_3gpuE5ELNS1_3repE0EEENS1_30default_config_static_selectorELNS0_4arch9wavefront6targetE1EEEvT1_,"axG",@progbits,_ZN7rocprim17ROCPRIM_400000_NS6detail17trampoline_kernelINS0_14default_configENS1_20scan_config_selectorI11FixedVectorIiLj1EEEEZZNS1_9scan_implILNS1_25lookback_scan_determinismE0ELb1ELb1ES3_N6thrust23THRUST_200600_302600_NS6detail15normal_iteratorINSB_10device_ptrIS6_EEEESG_S6_NSB_4plusIvEES6_EEDaPvRmT3_T4_T5_mT6_P12ihipStream_tbENKUlT_T0_E_clISt17integral_constantIbLb0EESV_IbLb1EEEEDaSR_SS_EUlSR_E_NS1_11comp_targetILNS1_3genE10ELNS1_11target_archE1201ELNS1_3gpuE5ELNS1_3repE0EEENS1_30default_config_static_selectorELNS0_4arch9wavefront6targetE1EEEvT1_,comdat
	.protected	_ZN7rocprim17ROCPRIM_400000_NS6detail17trampoline_kernelINS0_14default_configENS1_20scan_config_selectorI11FixedVectorIiLj1EEEEZZNS1_9scan_implILNS1_25lookback_scan_determinismE0ELb1ELb1ES3_N6thrust23THRUST_200600_302600_NS6detail15normal_iteratorINSB_10device_ptrIS6_EEEESG_S6_NSB_4plusIvEES6_EEDaPvRmT3_T4_T5_mT6_P12ihipStream_tbENKUlT_T0_E_clISt17integral_constantIbLb0EESV_IbLb1EEEEDaSR_SS_EUlSR_E_NS1_11comp_targetILNS1_3genE10ELNS1_11target_archE1201ELNS1_3gpuE5ELNS1_3repE0EEENS1_30default_config_static_selectorELNS0_4arch9wavefront6targetE1EEEvT1_ ; -- Begin function _ZN7rocprim17ROCPRIM_400000_NS6detail17trampoline_kernelINS0_14default_configENS1_20scan_config_selectorI11FixedVectorIiLj1EEEEZZNS1_9scan_implILNS1_25lookback_scan_determinismE0ELb1ELb1ES3_N6thrust23THRUST_200600_302600_NS6detail15normal_iteratorINSB_10device_ptrIS6_EEEESG_S6_NSB_4plusIvEES6_EEDaPvRmT3_T4_T5_mT6_P12ihipStream_tbENKUlT_T0_E_clISt17integral_constantIbLb0EESV_IbLb1EEEEDaSR_SS_EUlSR_E_NS1_11comp_targetILNS1_3genE10ELNS1_11target_archE1201ELNS1_3gpuE5ELNS1_3repE0EEENS1_30default_config_static_selectorELNS0_4arch9wavefront6targetE1EEEvT1_
	.globl	_ZN7rocprim17ROCPRIM_400000_NS6detail17trampoline_kernelINS0_14default_configENS1_20scan_config_selectorI11FixedVectorIiLj1EEEEZZNS1_9scan_implILNS1_25lookback_scan_determinismE0ELb1ELb1ES3_N6thrust23THRUST_200600_302600_NS6detail15normal_iteratorINSB_10device_ptrIS6_EEEESG_S6_NSB_4plusIvEES6_EEDaPvRmT3_T4_T5_mT6_P12ihipStream_tbENKUlT_T0_E_clISt17integral_constantIbLb0EESV_IbLb1EEEEDaSR_SS_EUlSR_E_NS1_11comp_targetILNS1_3genE10ELNS1_11target_archE1201ELNS1_3gpuE5ELNS1_3repE0EEENS1_30default_config_static_selectorELNS0_4arch9wavefront6targetE1EEEvT1_
	.p2align	8
	.type	_ZN7rocprim17ROCPRIM_400000_NS6detail17trampoline_kernelINS0_14default_configENS1_20scan_config_selectorI11FixedVectorIiLj1EEEEZZNS1_9scan_implILNS1_25lookback_scan_determinismE0ELb1ELb1ES3_N6thrust23THRUST_200600_302600_NS6detail15normal_iteratorINSB_10device_ptrIS6_EEEESG_S6_NSB_4plusIvEES6_EEDaPvRmT3_T4_T5_mT6_P12ihipStream_tbENKUlT_T0_E_clISt17integral_constantIbLb0EESV_IbLb1EEEEDaSR_SS_EUlSR_E_NS1_11comp_targetILNS1_3genE10ELNS1_11target_archE1201ELNS1_3gpuE5ELNS1_3repE0EEENS1_30default_config_static_selectorELNS0_4arch9wavefront6targetE1EEEvT1_,@function
_ZN7rocprim17ROCPRIM_400000_NS6detail17trampoline_kernelINS0_14default_configENS1_20scan_config_selectorI11FixedVectorIiLj1EEEEZZNS1_9scan_implILNS1_25lookback_scan_determinismE0ELb1ELb1ES3_N6thrust23THRUST_200600_302600_NS6detail15normal_iteratorINSB_10device_ptrIS6_EEEESG_S6_NSB_4plusIvEES6_EEDaPvRmT3_T4_T5_mT6_P12ihipStream_tbENKUlT_T0_E_clISt17integral_constantIbLb0EESV_IbLb1EEEEDaSR_SS_EUlSR_E_NS1_11comp_targetILNS1_3genE10ELNS1_11target_archE1201ELNS1_3gpuE5ELNS1_3repE0EEENS1_30default_config_static_selectorELNS0_4arch9wavefront6targetE1EEEvT1_: ; @_ZN7rocprim17ROCPRIM_400000_NS6detail17trampoline_kernelINS0_14default_configENS1_20scan_config_selectorI11FixedVectorIiLj1EEEEZZNS1_9scan_implILNS1_25lookback_scan_determinismE0ELb1ELb1ES3_N6thrust23THRUST_200600_302600_NS6detail15normal_iteratorINSB_10device_ptrIS6_EEEESG_S6_NSB_4plusIvEES6_EEDaPvRmT3_T4_T5_mT6_P12ihipStream_tbENKUlT_T0_E_clISt17integral_constantIbLb0EESV_IbLb1EEEEDaSR_SS_EUlSR_E_NS1_11comp_targetILNS1_3genE10ELNS1_11target_archE1201ELNS1_3gpuE5ELNS1_3repE0EEENS1_30default_config_static_selectorELNS0_4arch9wavefront6targetE1EEEvT1_
; %bb.0:
	.section	.rodata,"a",@progbits
	.p2align	6, 0x0
	.amdhsa_kernel _ZN7rocprim17ROCPRIM_400000_NS6detail17trampoline_kernelINS0_14default_configENS1_20scan_config_selectorI11FixedVectorIiLj1EEEEZZNS1_9scan_implILNS1_25lookback_scan_determinismE0ELb1ELb1ES3_N6thrust23THRUST_200600_302600_NS6detail15normal_iteratorINSB_10device_ptrIS6_EEEESG_S6_NSB_4plusIvEES6_EEDaPvRmT3_T4_T5_mT6_P12ihipStream_tbENKUlT_T0_E_clISt17integral_constantIbLb0EESV_IbLb1EEEEDaSR_SS_EUlSR_E_NS1_11comp_targetILNS1_3genE10ELNS1_11target_archE1201ELNS1_3gpuE5ELNS1_3repE0EEENS1_30default_config_static_selectorELNS0_4arch9wavefront6targetE1EEEvT1_
		.amdhsa_group_segment_fixed_size 0
		.amdhsa_private_segment_fixed_size 0
		.amdhsa_kernarg_size 96
		.amdhsa_user_sgpr_count 6
		.amdhsa_user_sgpr_private_segment_buffer 1
		.amdhsa_user_sgpr_dispatch_ptr 0
		.amdhsa_user_sgpr_queue_ptr 0
		.amdhsa_user_sgpr_kernarg_segment_ptr 1
		.amdhsa_user_sgpr_dispatch_id 0
		.amdhsa_user_sgpr_flat_scratch_init 0
		.amdhsa_user_sgpr_kernarg_preload_length 0
		.amdhsa_user_sgpr_kernarg_preload_offset 0
		.amdhsa_user_sgpr_private_segment_size 0
		.amdhsa_uses_dynamic_stack 0
		.amdhsa_system_sgpr_private_segment_wavefront_offset 0
		.amdhsa_system_sgpr_workgroup_id_x 1
		.amdhsa_system_sgpr_workgroup_id_y 0
		.amdhsa_system_sgpr_workgroup_id_z 0
		.amdhsa_system_sgpr_workgroup_info 0
		.amdhsa_system_vgpr_workitem_id 0
		.amdhsa_next_free_vgpr 1
		.amdhsa_next_free_sgpr 0
		.amdhsa_accum_offset 4
		.amdhsa_reserve_vcc 0
		.amdhsa_reserve_flat_scratch 0
		.amdhsa_float_round_mode_32 0
		.amdhsa_float_round_mode_16_64 0
		.amdhsa_float_denorm_mode_32 3
		.amdhsa_float_denorm_mode_16_64 3
		.amdhsa_dx10_clamp 1
		.amdhsa_ieee_mode 1
		.amdhsa_fp16_overflow 0
		.amdhsa_tg_split 0
		.amdhsa_exception_fp_ieee_invalid_op 0
		.amdhsa_exception_fp_denorm_src 0
		.amdhsa_exception_fp_ieee_div_zero 0
		.amdhsa_exception_fp_ieee_overflow 0
		.amdhsa_exception_fp_ieee_underflow 0
		.amdhsa_exception_fp_ieee_inexact 0
		.amdhsa_exception_int_div_zero 0
	.end_amdhsa_kernel
	.section	.text._ZN7rocprim17ROCPRIM_400000_NS6detail17trampoline_kernelINS0_14default_configENS1_20scan_config_selectorI11FixedVectorIiLj1EEEEZZNS1_9scan_implILNS1_25lookback_scan_determinismE0ELb1ELb1ES3_N6thrust23THRUST_200600_302600_NS6detail15normal_iteratorINSB_10device_ptrIS6_EEEESG_S6_NSB_4plusIvEES6_EEDaPvRmT3_T4_T5_mT6_P12ihipStream_tbENKUlT_T0_E_clISt17integral_constantIbLb0EESV_IbLb1EEEEDaSR_SS_EUlSR_E_NS1_11comp_targetILNS1_3genE10ELNS1_11target_archE1201ELNS1_3gpuE5ELNS1_3repE0EEENS1_30default_config_static_selectorELNS0_4arch9wavefront6targetE1EEEvT1_,"axG",@progbits,_ZN7rocprim17ROCPRIM_400000_NS6detail17trampoline_kernelINS0_14default_configENS1_20scan_config_selectorI11FixedVectorIiLj1EEEEZZNS1_9scan_implILNS1_25lookback_scan_determinismE0ELb1ELb1ES3_N6thrust23THRUST_200600_302600_NS6detail15normal_iteratorINSB_10device_ptrIS6_EEEESG_S6_NSB_4plusIvEES6_EEDaPvRmT3_T4_T5_mT6_P12ihipStream_tbENKUlT_T0_E_clISt17integral_constantIbLb0EESV_IbLb1EEEEDaSR_SS_EUlSR_E_NS1_11comp_targetILNS1_3genE10ELNS1_11target_archE1201ELNS1_3gpuE5ELNS1_3repE0EEENS1_30default_config_static_selectorELNS0_4arch9wavefront6targetE1EEEvT1_,comdat
.Lfunc_end6521:
	.size	_ZN7rocprim17ROCPRIM_400000_NS6detail17trampoline_kernelINS0_14default_configENS1_20scan_config_selectorI11FixedVectorIiLj1EEEEZZNS1_9scan_implILNS1_25lookback_scan_determinismE0ELb1ELb1ES3_N6thrust23THRUST_200600_302600_NS6detail15normal_iteratorINSB_10device_ptrIS6_EEEESG_S6_NSB_4plusIvEES6_EEDaPvRmT3_T4_T5_mT6_P12ihipStream_tbENKUlT_T0_E_clISt17integral_constantIbLb0EESV_IbLb1EEEEDaSR_SS_EUlSR_E_NS1_11comp_targetILNS1_3genE10ELNS1_11target_archE1201ELNS1_3gpuE5ELNS1_3repE0EEENS1_30default_config_static_selectorELNS0_4arch9wavefront6targetE1EEEvT1_, .Lfunc_end6521-_ZN7rocprim17ROCPRIM_400000_NS6detail17trampoline_kernelINS0_14default_configENS1_20scan_config_selectorI11FixedVectorIiLj1EEEEZZNS1_9scan_implILNS1_25lookback_scan_determinismE0ELb1ELb1ES3_N6thrust23THRUST_200600_302600_NS6detail15normal_iteratorINSB_10device_ptrIS6_EEEESG_S6_NSB_4plusIvEES6_EEDaPvRmT3_T4_T5_mT6_P12ihipStream_tbENKUlT_T0_E_clISt17integral_constantIbLb0EESV_IbLb1EEEEDaSR_SS_EUlSR_E_NS1_11comp_targetILNS1_3genE10ELNS1_11target_archE1201ELNS1_3gpuE5ELNS1_3repE0EEENS1_30default_config_static_selectorELNS0_4arch9wavefront6targetE1EEEvT1_
                                        ; -- End function
	.section	.AMDGPU.csdata,"",@progbits
; Kernel info:
; codeLenInByte = 0
; NumSgprs: 4
; NumVgprs: 0
; NumAgprs: 0
; TotalNumVgprs: 0
; ScratchSize: 0
; MemoryBound: 0
; FloatMode: 240
; IeeeMode: 1
; LDSByteSize: 0 bytes/workgroup (compile time only)
; SGPRBlocks: 0
; VGPRBlocks: 0
; NumSGPRsForWavesPerEU: 4
; NumVGPRsForWavesPerEU: 1
; AccumOffset: 4
; Occupancy: 8
; WaveLimiterHint : 0
; COMPUTE_PGM_RSRC2:SCRATCH_EN: 0
; COMPUTE_PGM_RSRC2:USER_SGPR: 6
; COMPUTE_PGM_RSRC2:TRAP_HANDLER: 0
; COMPUTE_PGM_RSRC2:TGID_X_EN: 1
; COMPUTE_PGM_RSRC2:TGID_Y_EN: 0
; COMPUTE_PGM_RSRC2:TGID_Z_EN: 0
; COMPUTE_PGM_RSRC2:TIDIG_COMP_CNT: 0
; COMPUTE_PGM_RSRC3_GFX90A:ACCUM_OFFSET: 0
; COMPUTE_PGM_RSRC3_GFX90A:TG_SPLIT: 0
	.section	.text._ZN7rocprim17ROCPRIM_400000_NS6detail17trampoline_kernelINS0_14default_configENS1_20scan_config_selectorI11FixedVectorIiLj1EEEEZZNS1_9scan_implILNS1_25lookback_scan_determinismE0ELb1ELb1ES3_N6thrust23THRUST_200600_302600_NS6detail15normal_iteratorINSB_10device_ptrIS6_EEEESG_S6_NSB_4plusIvEES6_EEDaPvRmT3_T4_T5_mT6_P12ihipStream_tbENKUlT_T0_E_clISt17integral_constantIbLb0EESV_IbLb1EEEEDaSR_SS_EUlSR_E_NS1_11comp_targetILNS1_3genE10ELNS1_11target_archE1200ELNS1_3gpuE4ELNS1_3repE0EEENS1_30default_config_static_selectorELNS0_4arch9wavefront6targetE1EEEvT1_,"axG",@progbits,_ZN7rocprim17ROCPRIM_400000_NS6detail17trampoline_kernelINS0_14default_configENS1_20scan_config_selectorI11FixedVectorIiLj1EEEEZZNS1_9scan_implILNS1_25lookback_scan_determinismE0ELb1ELb1ES3_N6thrust23THRUST_200600_302600_NS6detail15normal_iteratorINSB_10device_ptrIS6_EEEESG_S6_NSB_4plusIvEES6_EEDaPvRmT3_T4_T5_mT6_P12ihipStream_tbENKUlT_T0_E_clISt17integral_constantIbLb0EESV_IbLb1EEEEDaSR_SS_EUlSR_E_NS1_11comp_targetILNS1_3genE10ELNS1_11target_archE1200ELNS1_3gpuE4ELNS1_3repE0EEENS1_30default_config_static_selectorELNS0_4arch9wavefront6targetE1EEEvT1_,comdat
	.protected	_ZN7rocprim17ROCPRIM_400000_NS6detail17trampoline_kernelINS0_14default_configENS1_20scan_config_selectorI11FixedVectorIiLj1EEEEZZNS1_9scan_implILNS1_25lookback_scan_determinismE0ELb1ELb1ES3_N6thrust23THRUST_200600_302600_NS6detail15normal_iteratorINSB_10device_ptrIS6_EEEESG_S6_NSB_4plusIvEES6_EEDaPvRmT3_T4_T5_mT6_P12ihipStream_tbENKUlT_T0_E_clISt17integral_constantIbLb0EESV_IbLb1EEEEDaSR_SS_EUlSR_E_NS1_11comp_targetILNS1_3genE10ELNS1_11target_archE1200ELNS1_3gpuE4ELNS1_3repE0EEENS1_30default_config_static_selectorELNS0_4arch9wavefront6targetE1EEEvT1_ ; -- Begin function _ZN7rocprim17ROCPRIM_400000_NS6detail17trampoline_kernelINS0_14default_configENS1_20scan_config_selectorI11FixedVectorIiLj1EEEEZZNS1_9scan_implILNS1_25lookback_scan_determinismE0ELb1ELb1ES3_N6thrust23THRUST_200600_302600_NS6detail15normal_iteratorINSB_10device_ptrIS6_EEEESG_S6_NSB_4plusIvEES6_EEDaPvRmT3_T4_T5_mT6_P12ihipStream_tbENKUlT_T0_E_clISt17integral_constantIbLb0EESV_IbLb1EEEEDaSR_SS_EUlSR_E_NS1_11comp_targetILNS1_3genE10ELNS1_11target_archE1200ELNS1_3gpuE4ELNS1_3repE0EEENS1_30default_config_static_selectorELNS0_4arch9wavefront6targetE1EEEvT1_
	.globl	_ZN7rocprim17ROCPRIM_400000_NS6detail17trampoline_kernelINS0_14default_configENS1_20scan_config_selectorI11FixedVectorIiLj1EEEEZZNS1_9scan_implILNS1_25lookback_scan_determinismE0ELb1ELb1ES3_N6thrust23THRUST_200600_302600_NS6detail15normal_iteratorINSB_10device_ptrIS6_EEEESG_S6_NSB_4plusIvEES6_EEDaPvRmT3_T4_T5_mT6_P12ihipStream_tbENKUlT_T0_E_clISt17integral_constantIbLb0EESV_IbLb1EEEEDaSR_SS_EUlSR_E_NS1_11comp_targetILNS1_3genE10ELNS1_11target_archE1200ELNS1_3gpuE4ELNS1_3repE0EEENS1_30default_config_static_selectorELNS0_4arch9wavefront6targetE1EEEvT1_
	.p2align	8
	.type	_ZN7rocprim17ROCPRIM_400000_NS6detail17trampoline_kernelINS0_14default_configENS1_20scan_config_selectorI11FixedVectorIiLj1EEEEZZNS1_9scan_implILNS1_25lookback_scan_determinismE0ELb1ELb1ES3_N6thrust23THRUST_200600_302600_NS6detail15normal_iteratorINSB_10device_ptrIS6_EEEESG_S6_NSB_4plusIvEES6_EEDaPvRmT3_T4_T5_mT6_P12ihipStream_tbENKUlT_T0_E_clISt17integral_constantIbLb0EESV_IbLb1EEEEDaSR_SS_EUlSR_E_NS1_11comp_targetILNS1_3genE10ELNS1_11target_archE1200ELNS1_3gpuE4ELNS1_3repE0EEENS1_30default_config_static_selectorELNS0_4arch9wavefront6targetE1EEEvT1_,@function
_ZN7rocprim17ROCPRIM_400000_NS6detail17trampoline_kernelINS0_14default_configENS1_20scan_config_selectorI11FixedVectorIiLj1EEEEZZNS1_9scan_implILNS1_25lookback_scan_determinismE0ELb1ELb1ES3_N6thrust23THRUST_200600_302600_NS6detail15normal_iteratorINSB_10device_ptrIS6_EEEESG_S6_NSB_4plusIvEES6_EEDaPvRmT3_T4_T5_mT6_P12ihipStream_tbENKUlT_T0_E_clISt17integral_constantIbLb0EESV_IbLb1EEEEDaSR_SS_EUlSR_E_NS1_11comp_targetILNS1_3genE10ELNS1_11target_archE1200ELNS1_3gpuE4ELNS1_3repE0EEENS1_30default_config_static_selectorELNS0_4arch9wavefront6targetE1EEEvT1_: ; @_ZN7rocprim17ROCPRIM_400000_NS6detail17trampoline_kernelINS0_14default_configENS1_20scan_config_selectorI11FixedVectorIiLj1EEEEZZNS1_9scan_implILNS1_25lookback_scan_determinismE0ELb1ELb1ES3_N6thrust23THRUST_200600_302600_NS6detail15normal_iteratorINSB_10device_ptrIS6_EEEESG_S6_NSB_4plusIvEES6_EEDaPvRmT3_T4_T5_mT6_P12ihipStream_tbENKUlT_T0_E_clISt17integral_constantIbLb0EESV_IbLb1EEEEDaSR_SS_EUlSR_E_NS1_11comp_targetILNS1_3genE10ELNS1_11target_archE1200ELNS1_3gpuE4ELNS1_3repE0EEENS1_30default_config_static_selectorELNS0_4arch9wavefront6targetE1EEEvT1_
; %bb.0:
	.section	.rodata,"a",@progbits
	.p2align	6, 0x0
	.amdhsa_kernel _ZN7rocprim17ROCPRIM_400000_NS6detail17trampoline_kernelINS0_14default_configENS1_20scan_config_selectorI11FixedVectorIiLj1EEEEZZNS1_9scan_implILNS1_25lookback_scan_determinismE0ELb1ELb1ES3_N6thrust23THRUST_200600_302600_NS6detail15normal_iteratorINSB_10device_ptrIS6_EEEESG_S6_NSB_4plusIvEES6_EEDaPvRmT3_T4_T5_mT6_P12ihipStream_tbENKUlT_T0_E_clISt17integral_constantIbLb0EESV_IbLb1EEEEDaSR_SS_EUlSR_E_NS1_11comp_targetILNS1_3genE10ELNS1_11target_archE1200ELNS1_3gpuE4ELNS1_3repE0EEENS1_30default_config_static_selectorELNS0_4arch9wavefront6targetE1EEEvT1_
		.amdhsa_group_segment_fixed_size 0
		.amdhsa_private_segment_fixed_size 0
		.amdhsa_kernarg_size 96
		.amdhsa_user_sgpr_count 6
		.amdhsa_user_sgpr_private_segment_buffer 1
		.amdhsa_user_sgpr_dispatch_ptr 0
		.amdhsa_user_sgpr_queue_ptr 0
		.amdhsa_user_sgpr_kernarg_segment_ptr 1
		.amdhsa_user_sgpr_dispatch_id 0
		.amdhsa_user_sgpr_flat_scratch_init 0
		.amdhsa_user_sgpr_kernarg_preload_length 0
		.amdhsa_user_sgpr_kernarg_preload_offset 0
		.amdhsa_user_sgpr_private_segment_size 0
		.amdhsa_uses_dynamic_stack 0
		.amdhsa_system_sgpr_private_segment_wavefront_offset 0
		.amdhsa_system_sgpr_workgroup_id_x 1
		.amdhsa_system_sgpr_workgroup_id_y 0
		.amdhsa_system_sgpr_workgroup_id_z 0
		.amdhsa_system_sgpr_workgroup_info 0
		.amdhsa_system_vgpr_workitem_id 0
		.amdhsa_next_free_vgpr 1
		.amdhsa_next_free_sgpr 0
		.amdhsa_accum_offset 4
		.amdhsa_reserve_vcc 0
		.amdhsa_reserve_flat_scratch 0
		.amdhsa_float_round_mode_32 0
		.amdhsa_float_round_mode_16_64 0
		.amdhsa_float_denorm_mode_32 3
		.amdhsa_float_denorm_mode_16_64 3
		.amdhsa_dx10_clamp 1
		.amdhsa_ieee_mode 1
		.amdhsa_fp16_overflow 0
		.amdhsa_tg_split 0
		.amdhsa_exception_fp_ieee_invalid_op 0
		.amdhsa_exception_fp_denorm_src 0
		.amdhsa_exception_fp_ieee_div_zero 0
		.amdhsa_exception_fp_ieee_overflow 0
		.amdhsa_exception_fp_ieee_underflow 0
		.amdhsa_exception_fp_ieee_inexact 0
		.amdhsa_exception_int_div_zero 0
	.end_amdhsa_kernel
	.section	.text._ZN7rocprim17ROCPRIM_400000_NS6detail17trampoline_kernelINS0_14default_configENS1_20scan_config_selectorI11FixedVectorIiLj1EEEEZZNS1_9scan_implILNS1_25lookback_scan_determinismE0ELb1ELb1ES3_N6thrust23THRUST_200600_302600_NS6detail15normal_iteratorINSB_10device_ptrIS6_EEEESG_S6_NSB_4plusIvEES6_EEDaPvRmT3_T4_T5_mT6_P12ihipStream_tbENKUlT_T0_E_clISt17integral_constantIbLb0EESV_IbLb1EEEEDaSR_SS_EUlSR_E_NS1_11comp_targetILNS1_3genE10ELNS1_11target_archE1200ELNS1_3gpuE4ELNS1_3repE0EEENS1_30default_config_static_selectorELNS0_4arch9wavefront6targetE1EEEvT1_,"axG",@progbits,_ZN7rocprim17ROCPRIM_400000_NS6detail17trampoline_kernelINS0_14default_configENS1_20scan_config_selectorI11FixedVectorIiLj1EEEEZZNS1_9scan_implILNS1_25lookback_scan_determinismE0ELb1ELb1ES3_N6thrust23THRUST_200600_302600_NS6detail15normal_iteratorINSB_10device_ptrIS6_EEEESG_S6_NSB_4plusIvEES6_EEDaPvRmT3_T4_T5_mT6_P12ihipStream_tbENKUlT_T0_E_clISt17integral_constantIbLb0EESV_IbLb1EEEEDaSR_SS_EUlSR_E_NS1_11comp_targetILNS1_3genE10ELNS1_11target_archE1200ELNS1_3gpuE4ELNS1_3repE0EEENS1_30default_config_static_selectorELNS0_4arch9wavefront6targetE1EEEvT1_,comdat
.Lfunc_end6522:
	.size	_ZN7rocprim17ROCPRIM_400000_NS6detail17trampoline_kernelINS0_14default_configENS1_20scan_config_selectorI11FixedVectorIiLj1EEEEZZNS1_9scan_implILNS1_25lookback_scan_determinismE0ELb1ELb1ES3_N6thrust23THRUST_200600_302600_NS6detail15normal_iteratorINSB_10device_ptrIS6_EEEESG_S6_NSB_4plusIvEES6_EEDaPvRmT3_T4_T5_mT6_P12ihipStream_tbENKUlT_T0_E_clISt17integral_constantIbLb0EESV_IbLb1EEEEDaSR_SS_EUlSR_E_NS1_11comp_targetILNS1_3genE10ELNS1_11target_archE1200ELNS1_3gpuE4ELNS1_3repE0EEENS1_30default_config_static_selectorELNS0_4arch9wavefront6targetE1EEEvT1_, .Lfunc_end6522-_ZN7rocprim17ROCPRIM_400000_NS6detail17trampoline_kernelINS0_14default_configENS1_20scan_config_selectorI11FixedVectorIiLj1EEEEZZNS1_9scan_implILNS1_25lookback_scan_determinismE0ELb1ELb1ES3_N6thrust23THRUST_200600_302600_NS6detail15normal_iteratorINSB_10device_ptrIS6_EEEESG_S6_NSB_4plusIvEES6_EEDaPvRmT3_T4_T5_mT6_P12ihipStream_tbENKUlT_T0_E_clISt17integral_constantIbLb0EESV_IbLb1EEEEDaSR_SS_EUlSR_E_NS1_11comp_targetILNS1_3genE10ELNS1_11target_archE1200ELNS1_3gpuE4ELNS1_3repE0EEENS1_30default_config_static_selectorELNS0_4arch9wavefront6targetE1EEEvT1_
                                        ; -- End function
	.section	.AMDGPU.csdata,"",@progbits
; Kernel info:
; codeLenInByte = 0
; NumSgprs: 4
; NumVgprs: 0
; NumAgprs: 0
; TotalNumVgprs: 0
; ScratchSize: 0
; MemoryBound: 0
; FloatMode: 240
; IeeeMode: 1
; LDSByteSize: 0 bytes/workgroup (compile time only)
; SGPRBlocks: 0
; VGPRBlocks: 0
; NumSGPRsForWavesPerEU: 4
; NumVGPRsForWavesPerEU: 1
; AccumOffset: 4
; Occupancy: 8
; WaveLimiterHint : 0
; COMPUTE_PGM_RSRC2:SCRATCH_EN: 0
; COMPUTE_PGM_RSRC2:USER_SGPR: 6
; COMPUTE_PGM_RSRC2:TRAP_HANDLER: 0
; COMPUTE_PGM_RSRC2:TGID_X_EN: 1
; COMPUTE_PGM_RSRC2:TGID_Y_EN: 0
; COMPUTE_PGM_RSRC2:TGID_Z_EN: 0
; COMPUTE_PGM_RSRC2:TIDIG_COMP_CNT: 0
; COMPUTE_PGM_RSRC3_GFX90A:ACCUM_OFFSET: 0
; COMPUTE_PGM_RSRC3_GFX90A:TG_SPLIT: 0
	.section	.text._ZN7rocprim17ROCPRIM_400000_NS6detail17trampoline_kernelINS0_14default_configENS1_20scan_config_selectorI11FixedVectorIiLj1EEEEZZNS1_9scan_implILNS1_25lookback_scan_determinismE0ELb1ELb1ES3_N6thrust23THRUST_200600_302600_NS6detail15normal_iteratorINSB_10device_ptrIS6_EEEESG_S6_NSB_4plusIvEES6_EEDaPvRmT3_T4_T5_mT6_P12ihipStream_tbENKUlT_T0_E_clISt17integral_constantIbLb0EESV_IbLb1EEEEDaSR_SS_EUlSR_E_NS1_11comp_targetILNS1_3genE9ELNS1_11target_archE1100ELNS1_3gpuE3ELNS1_3repE0EEENS1_30default_config_static_selectorELNS0_4arch9wavefront6targetE1EEEvT1_,"axG",@progbits,_ZN7rocprim17ROCPRIM_400000_NS6detail17trampoline_kernelINS0_14default_configENS1_20scan_config_selectorI11FixedVectorIiLj1EEEEZZNS1_9scan_implILNS1_25lookback_scan_determinismE0ELb1ELb1ES3_N6thrust23THRUST_200600_302600_NS6detail15normal_iteratorINSB_10device_ptrIS6_EEEESG_S6_NSB_4plusIvEES6_EEDaPvRmT3_T4_T5_mT6_P12ihipStream_tbENKUlT_T0_E_clISt17integral_constantIbLb0EESV_IbLb1EEEEDaSR_SS_EUlSR_E_NS1_11comp_targetILNS1_3genE9ELNS1_11target_archE1100ELNS1_3gpuE3ELNS1_3repE0EEENS1_30default_config_static_selectorELNS0_4arch9wavefront6targetE1EEEvT1_,comdat
	.protected	_ZN7rocprim17ROCPRIM_400000_NS6detail17trampoline_kernelINS0_14default_configENS1_20scan_config_selectorI11FixedVectorIiLj1EEEEZZNS1_9scan_implILNS1_25lookback_scan_determinismE0ELb1ELb1ES3_N6thrust23THRUST_200600_302600_NS6detail15normal_iteratorINSB_10device_ptrIS6_EEEESG_S6_NSB_4plusIvEES6_EEDaPvRmT3_T4_T5_mT6_P12ihipStream_tbENKUlT_T0_E_clISt17integral_constantIbLb0EESV_IbLb1EEEEDaSR_SS_EUlSR_E_NS1_11comp_targetILNS1_3genE9ELNS1_11target_archE1100ELNS1_3gpuE3ELNS1_3repE0EEENS1_30default_config_static_selectorELNS0_4arch9wavefront6targetE1EEEvT1_ ; -- Begin function _ZN7rocprim17ROCPRIM_400000_NS6detail17trampoline_kernelINS0_14default_configENS1_20scan_config_selectorI11FixedVectorIiLj1EEEEZZNS1_9scan_implILNS1_25lookback_scan_determinismE0ELb1ELb1ES3_N6thrust23THRUST_200600_302600_NS6detail15normal_iteratorINSB_10device_ptrIS6_EEEESG_S6_NSB_4plusIvEES6_EEDaPvRmT3_T4_T5_mT6_P12ihipStream_tbENKUlT_T0_E_clISt17integral_constantIbLb0EESV_IbLb1EEEEDaSR_SS_EUlSR_E_NS1_11comp_targetILNS1_3genE9ELNS1_11target_archE1100ELNS1_3gpuE3ELNS1_3repE0EEENS1_30default_config_static_selectorELNS0_4arch9wavefront6targetE1EEEvT1_
	.globl	_ZN7rocprim17ROCPRIM_400000_NS6detail17trampoline_kernelINS0_14default_configENS1_20scan_config_selectorI11FixedVectorIiLj1EEEEZZNS1_9scan_implILNS1_25lookback_scan_determinismE0ELb1ELb1ES3_N6thrust23THRUST_200600_302600_NS6detail15normal_iteratorINSB_10device_ptrIS6_EEEESG_S6_NSB_4plusIvEES6_EEDaPvRmT3_T4_T5_mT6_P12ihipStream_tbENKUlT_T0_E_clISt17integral_constantIbLb0EESV_IbLb1EEEEDaSR_SS_EUlSR_E_NS1_11comp_targetILNS1_3genE9ELNS1_11target_archE1100ELNS1_3gpuE3ELNS1_3repE0EEENS1_30default_config_static_selectorELNS0_4arch9wavefront6targetE1EEEvT1_
	.p2align	8
	.type	_ZN7rocprim17ROCPRIM_400000_NS6detail17trampoline_kernelINS0_14default_configENS1_20scan_config_selectorI11FixedVectorIiLj1EEEEZZNS1_9scan_implILNS1_25lookback_scan_determinismE0ELb1ELb1ES3_N6thrust23THRUST_200600_302600_NS6detail15normal_iteratorINSB_10device_ptrIS6_EEEESG_S6_NSB_4plusIvEES6_EEDaPvRmT3_T4_T5_mT6_P12ihipStream_tbENKUlT_T0_E_clISt17integral_constantIbLb0EESV_IbLb1EEEEDaSR_SS_EUlSR_E_NS1_11comp_targetILNS1_3genE9ELNS1_11target_archE1100ELNS1_3gpuE3ELNS1_3repE0EEENS1_30default_config_static_selectorELNS0_4arch9wavefront6targetE1EEEvT1_,@function
_ZN7rocprim17ROCPRIM_400000_NS6detail17trampoline_kernelINS0_14default_configENS1_20scan_config_selectorI11FixedVectorIiLj1EEEEZZNS1_9scan_implILNS1_25lookback_scan_determinismE0ELb1ELb1ES3_N6thrust23THRUST_200600_302600_NS6detail15normal_iteratorINSB_10device_ptrIS6_EEEESG_S6_NSB_4plusIvEES6_EEDaPvRmT3_T4_T5_mT6_P12ihipStream_tbENKUlT_T0_E_clISt17integral_constantIbLb0EESV_IbLb1EEEEDaSR_SS_EUlSR_E_NS1_11comp_targetILNS1_3genE9ELNS1_11target_archE1100ELNS1_3gpuE3ELNS1_3repE0EEENS1_30default_config_static_selectorELNS0_4arch9wavefront6targetE1EEEvT1_: ; @_ZN7rocprim17ROCPRIM_400000_NS6detail17trampoline_kernelINS0_14default_configENS1_20scan_config_selectorI11FixedVectorIiLj1EEEEZZNS1_9scan_implILNS1_25lookback_scan_determinismE0ELb1ELb1ES3_N6thrust23THRUST_200600_302600_NS6detail15normal_iteratorINSB_10device_ptrIS6_EEEESG_S6_NSB_4plusIvEES6_EEDaPvRmT3_T4_T5_mT6_P12ihipStream_tbENKUlT_T0_E_clISt17integral_constantIbLb0EESV_IbLb1EEEEDaSR_SS_EUlSR_E_NS1_11comp_targetILNS1_3genE9ELNS1_11target_archE1100ELNS1_3gpuE3ELNS1_3repE0EEENS1_30default_config_static_selectorELNS0_4arch9wavefront6targetE1EEEvT1_
; %bb.0:
	.section	.rodata,"a",@progbits
	.p2align	6, 0x0
	.amdhsa_kernel _ZN7rocprim17ROCPRIM_400000_NS6detail17trampoline_kernelINS0_14default_configENS1_20scan_config_selectorI11FixedVectorIiLj1EEEEZZNS1_9scan_implILNS1_25lookback_scan_determinismE0ELb1ELb1ES3_N6thrust23THRUST_200600_302600_NS6detail15normal_iteratorINSB_10device_ptrIS6_EEEESG_S6_NSB_4plusIvEES6_EEDaPvRmT3_T4_T5_mT6_P12ihipStream_tbENKUlT_T0_E_clISt17integral_constantIbLb0EESV_IbLb1EEEEDaSR_SS_EUlSR_E_NS1_11comp_targetILNS1_3genE9ELNS1_11target_archE1100ELNS1_3gpuE3ELNS1_3repE0EEENS1_30default_config_static_selectorELNS0_4arch9wavefront6targetE1EEEvT1_
		.amdhsa_group_segment_fixed_size 0
		.amdhsa_private_segment_fixed_size 0
		.amdhsa_kernarg_size 96
		.amdhsa_user_sgpr_count 6
		.amdhsa_user_sgpr_private_segment_buffer 1
		.amdhsa_user_sgpr_dispatch_ptr 0
		.amdhsa_user_sgpr_queue_ptr 0
		.amdhsa_user_sgpr_kernarg_segment_ptr 1
		.amdhsa_user_sgpr_dispatch_id 0
		.amdhsa_user_sgpr_flat_scratch_init 0
		.amdhsa_user_sgpr_kernarg_preload_length 0
		.amdhsa_user_sgpr_kernarg_preload_offset 0
		.amdhsa_user_sgpr_private_segment_size 0
		.amdhsa_uses_dynamic_stack 0
		.amdhsa_system_sgpr_private_segment_wavefront_offset 0
		.amdhsa_system_sgpr_workgroup_id_x 1
		.amdhsa_system_sgpr_workgroup_id_y 0
		.amdhsa_system_sgpr_workgroup_id_z 0
		.amdhsa_system_sgpr_workgroup_info 0
		.amdhsa_system_vgpr_workitem_id 0
		.amdhsa_next_free_vgpr 1
		.amdhsa_next_free_sgpr 0
		.amdhsa_accum_offset 4
		.amdhsa_reserve_vcc 0
		.amdhsa_reserve_flat_scratch 0
		.amdhsa_float_round_mode_32 0
		.amdhsa_float_round_mode_16_64 0
		.amdhsa_float_denorm_mode_32 3
		.amdhsa_float_denorm_mode_16_64 3
		.amdhsa_dx10_clamp 1
		.amdhsa_ieee_mode 1
		.amdhsa_fp16_overflow 0
		.amdhsa_tg_split 0
		.amdhsa_exception_fp_ieee_invalid_op 0
		.amdhsa_exception_fp_denorm_src 0
		.amdhsa_exception_fp_ieee_div_zero 0
		.amdhsa_exception_fp_ieee_overflow 0
		.amdhsa_exception_fp_ieee_underflow 0
		.amdhsa_exception_fp_ieee_inexact 0
		.amdhsa_exception_int_div_zero 0
	.end_amdhsa_kernel
	.section	.text._ZN7rocprim17ROCPRIM_400000_NS6detail17trampoline_kernelINS0_14default_configENS1_20scan_config_selectorI11FixedVectorIiLj1EEEEZZNS1_9scan_implILNS1_25lookback_scan_determinismE0ELb1ELb1ES3_N6thrust23THRUST_200600_302600_NS6detail15normal_iteratorINSB_10device_ptrIS6_EEEESG_S6_NSB_4plusIvEES6_EEDaPvRmT3_T4_T5_mT6_P12ihipStream_tbENKUlT_T0_E_clISt17integral_constantIbLb0EESV_IbLb1EEEEDaSR_SS_EUlSR_E_NS1_11comp_targetILNS1_3genE9ELNS1_11target_archE1100ELNS1_3gpuE3ELNS1_3repE0EEENS1_30default_config_static_selectorELNS0_4arch9wavefront6targetE1EEEvT1_,"axG",@progbits,_ZN7rocprim17ROCPRIM_400000_NS6detail17trampoline_kernelINS0_14default_configENS1_20scan_config_selectorI11FixedVectorIiLj1EEEEZZNS1_9scan_implILNS1_25lookback_scan_determinismE0ELb1ELb1ES3_N6thrust23THRUST_200600_302600_NS6detail15normal_iteratorINSB_10device_ptrIS6_EEEESG_S6_NSB_4plusIvEES6_EEDaPvRmT3_T4_T5_mT6_P12ihipStream_tbENKUlT_T0_E_clISt17integral_constantIbLb0EESV_IbLb1EEEEDaSR_SS_EUlSR_E_NS1_11comp_targetILNS1_3genE9ELNS1_11target_archE1100ELNS1_3gpuE3ELNS1_3repE0EEENS1_30default_config_static_selectorELNS0_4arch9wavefront6targetE1EEEvT1_,comdat
.Lfunc_end6523:
	.size	_ZN7rocprim17ROCPRIM_400000_NS6detail17trampoline_kernelINS0_14default_configENS1_20scan_config_selectorI11FixedVectorIiLj1EEEEZZNS1_9scan_implILNS1_25lookback_scan_determinismE0ELb1ELb1ES3_N6thrust23THRUST_200600_302600_NS6detail15normal_iteratorINSB_10device_ptrIS6_EEEESG_S6_NSB_4plusIvEES6_EEDaPvRmT3_T4_T5_mT6_P12ihipStream_tbENKUlT_T0_E_clISt17integral_constantIbLb0EESV_IbLb1EEEEDaSR_SS_EUlSR_E_NS1_11comp_targetILNS1_3genE9ELNS1_11target_archE1100ELNS1_3gpuE3ELNS1_3repE0EEENS1_30default_config_static_selectorELNS0_4arch9wavefront6targetE1EEEvT1_, .Lfunc_end6523-_ZN7rocprim17ROCPRIM_400000_NS6detail17trampoline_kernelINS0_14default_configENS1_20scan_config_selectorI11FixedVectorIiLj1EEEEZZNS1_9scan_implILNS1_25lookback_scan_determinismE0ELb1ELb1ES3_N6thrust23THRUST_200600_302600_NS6detail15normal_iteratorINSB_10device_ptrIS6_EEEESG_S6_NSB_4plusIvEES6_EEDaPvRmT3_T4_T5_mT6_P12ihipStream_tbENKUlT_T0_E_clISt17integral_constantIbLb0EESV_IbLb1EEEEDaSR_SS_EUlSR_E_NS1_11comp_targetILNS1_3genE9ELNS1_11target_archE1100ELNS1_3gpuE3ELNS1_3repE0EEENS1_30default_config_static_selectorELNS0_4arch9wavefront6targetE1EEEvT1_
                                        ; -- End function
	.section	.AMDGPU.csdata,"",@progbits
; Kernel info:
; codeLenInByte = 0
; NumSgprs: 4
; NumVgprs: 0
; NumAgprs: 0
; TotalNumVgprs: 0
; ScratchSize: 0
; MemoryBound: 0
; FloatMode: 240
; IeeeMode: 1
; LDSByteSize: 0 bytes/workgroup (compile time only)
; SGPRBlocks: 0
; VGPRBlocks: 0
; NumSGPRsForWavesPerEU: 4
; NumVGPRsForWavesPerEU: 1
; AccumOffset: 4
; Occupancy: 8
; WaveLimiterHint : 0
; COMPUTE_PGM_RSRC2:SCRATCH_EN: 0
; COMPUTE_PGM_RSRC2:USER_SGPR: 6
; COMPUTE_PGM_RSRC2:TRAP_HANDLER: 0
; COMPUTE_PGM_RSRC2:TGID_X_EN: 1
; COMPUTE_PGM_RSRC2:TGID_Y_EN: 0
; COMPUTE_PGM_RSRC2:TGID_Z_EN: 0
; COMPUTE_PGM_RSRC2:TIDIG_COMP_CNT: 0
; COMPUTE_PGM_RSRC3_GFX90A:ACCUM_OFFSET: 0
; COMPUTE_PGM_RSRC3_GFX90A:TG_SPLIT: 0
	.section	.text._ZN7rocprim17ROCPRIM_400000_NS6detail17trampoline_kernelINS0_14default_configENS1_20scan_config_selectorI11FixedVectorIiLj1EEEEZZNS1_9scan_implILNS1_25lookback_scan_determinismE0ELb1ELb1ES3_N6thrust23THRUST_200600_302600_NS6detail15normal_iteratorINSB_10device_ptrIS6_EEEESG_S6_NSB_4plusIvEES6_EEDaPvRmT3_T4_T5_mT6_P12ihipStream_tbENKUlT_T0_E_clISt17integral_constantIbLb0EESV_IbLb1EEEEDaSR_SS_EUlSR_E_NS1_11comp_targetILNS1_3genE8ELNS1_11target_archE1030ELNS1_3gpuE2ELNS1_3repE0EEENS1_30default_config_static_selectorELNS0_4arch9wavefront6targetE1EEEvT1_,"axG",@progbits,_ZN7rocprim17ROCPRIM_400000_NS6detail17trampoline_kernelINS0_14default_configENS1_20scan_config_selectorI11FixedVectorIiLj1EEEEZZNS1_9scan_implILNS1_25lookback_scan_determinismE0ELb1ELb1ES3_N6thrust23THRUST_200600_302600_NS6detail15normal_iteratorINSB_10device_ptrIS6_EEEESG_S6_NSB_4plusIvEES6_EEDaPvRmT3_T4_T5_mT6_P12ihipStream_tbENKUlT_T0_E_clISt17integral_constantIbLb0EESV_IbLb1EEEEDaSR_SS_EUlSR_E_NS1_11comp_targetILNS1_3genE8ELNS1_11target_archE1030ELNS1_3gpuE2ELNS1_3repE0EEENS1_30default_config_static_selectorELNS0_4arch9wavefront6targetE1EEEvT1_,comdat
	.protected	_ZN7rocprim17ROCPRIM_400000_NS6detail17trampoline_kernelINS0_14default_configENS1_20scan_config_selectorI11FixedVectorIiLj1EEEEZZNS1_9scan_implILNS1_25lookback_scan_determinismE0ELb1ELb1ES3_N6thrust23THRUST_200600_302600_NS6detail15normal_iteratorINSB_10device_ptrIS6_EEEESG_S6_NSB_4plusIvEES6_EEDaPvRmT3_T4_T5_mT6_P12ihipStream_tbENKUlT_T0_E_clISt17integral_constantIbLb0EESV_IbLb1EEEEDaSR_SS_EUlSR_E_NS1_11comp_targetILNS1_3genE8ELNS1_11target_archE1030ELNS1_3gpuE2ELNS1_3repE0EEENS1_30default_config_static_selectorELNS0_4arch9wavefront6targetE1EEEvT1_ ; -- Begin function _ZN7rocprim17ROCPRIM_400000_NS6detail17trampoline_kernelINS0_14default_configENS1_20scan_config_selectorI11FixedVectorIiLj1EEEEZZNS1_9scan_implILNS1_25lookback_scan_determinismE0ELb1ELb1ES3_N6thrust23THRUST_200600_302600_NS6detail15normal_iteratorINSB_10device_ptrIS6_EEEESG_S6_NSB_4plusIvEES6_EEDaPvRmT3_T4_T5_mT6_P12ihipStream_tbENKUlT_T0_E_clISt17integral_constantIbLb0EESV_IbLb1EEEEDaSR_SS_EUlSR_E_NS1_11comp_targetILNS1_3genE8ELNS1_11target_archE1030ELNS1_3gpuE2ELNS1_3repE0EEENS1_30default_config_static_selectorELNS0_4arch9wavefront6targetE1EEEvT1_
	.globl	_ZN7rocprim17ROCPRIM_400000_NS6detail17trampoline_kernelINS0_14default_configENS1_20scan_config_selectorI11FixedVectorIiLj1EEEEZZNS1_9scan_implILNS1_25lookback_scan_determinismE0ELb1ELb1ES3_N6thrust23THRUST_200600_302600_NS6detail15normal_iteratorINSB_10device_ptrIS6_EEEESG_S6_NSB_4plusIvEES6_EEDaPvRmT3_T4_T5_mT6_P12ihipStream_tbENKUlT_T0_E_clISt17integral_constantIbLb0EESV_IbLb1EEEEDaSR_SS_EUlSR_E_NS1_11comp_targetILNS1_3genE8ELNS1_11target_archE1030ELNS1_3gpuE2ELNS1_3repE0EEENS1_30default_config_static_selectorELNS0_4arch9wavefront6targetE1EEEvT1_
	.p2align	8
	.type	_ZN7rocprim17ROCPRIM_400000_NS6detail17trampoline_kernelINS0_14default_configENS1_20scan_config_selectorI11FixedVectorIiLj1EEEEZZNS1_9scan_implILNS1_25lookback_scan_determinismE0ELb1ELb1ES3_N6thrust23THRUST_200600_302600_NS6detail15normal_iteratorINSB_10device_ptrIS6_EEEESG_S6_NSB_4plusIvEES6_EEDaPvRmT3_T4_T5_mT6_P12ihipStream_tbENKUlT_T0_E_clISt17integral_constantIbLb0EESV_IbLb1EEEEDaSR_SS_EUlSR_E_NS1_11comp_targetILNS1_3genE8ELNS1_11target_archE1030ELNS1_3gpuE2ELNS1_3repE0EEENS1_30default_config_static_selectorELNS0_4arch9wavefront6targetE1EEEvT1_,@function
_ZN7rocprim17ROCPRIM_400000_NS6detail17trampoline_kernelINS0_14default_configENS1_20scan_config_selectorI11FixedVectorIiLj1EEEEZZNS1_9scan_implILNS1_25lookback_scan_determinismE0ELb1ELb1ES3_N6thrust23THRUST_200600_302600_NS6detail15normal_iteratorINSB_10device_ptrIS6_EEEESG_S6_NSB_4plusIvEES6_EEDaPvRmT3_T4_T5_mT6_P12ihipStream_tbENKUlT_T0_E_clISt17integral_constantIbLb0EESV_IbLb1EEEEDaSR_SS_EUlSR_E_NS1_11comp_targetILNS1_3genE8ELNS1_11target_archE1030ELNS1_3gpuE2ELNS1_3repE0EEENS1_30default_config_static_selectorELNS0_4arch9wavefront6targetE1EEEvT1_: ; @_ZN7rocprim17ROCPRIM_400000_NS6detail17trampoline_kernelINS0_14default_configENS1_20scan_config_selectorI11FixedVectorIiLj1EEEEZZNS1_9scan_implILNS1_25lookback_scan_determinismE0ELb1ELb1ES3_N6thrust23THRUST_200600_302600_NS6detail15normal_iteratorINSB_10device_ptrIS6_EEEESG_S6_NSB_4plusIvEES6_EEDaPvRmT3_T4_T5_mT6_P12ihipStream_tbENKUlT_T0_E_clISt17integral_constantIbLb0EESV_IbLb1EEEEDaSR_SS_EUlSR_E_NS1_11comp_targetILNS1_3genE8ELNS1_11target_archE1030ELNS1_3gpuE2ELNS1_3repE0EEENS1_30default_config_static_selectorELNS0_4arch9wavefront6targetE1EEEvT1_
; %bb.0:
	.section	.rodata,"a",@progbits
	.p2align	6, 0x0
	.amdhsa_kernel _ZN7rocprim17ROCPRIM_400000_NS6detail17trampoline_kernelINS0_14default_configENS1_20scan_config_selectorI11FixedVectorIiLj1EEEEZZNS1_9scan_implILNS1_25lookback_scan_determinismE0ELb1ELb1ES3_N6thrust23THRUST_200600_302600_NS6detail15normal_iteratorINSB_10device_ptrIS6_EEEESG_S6_NSB_4plusIvEES6_EEDaPvRmT3_T4_T5_mT6_P12ihipStream_tbENKUlT_T0_E_clISt17integral_constantIbLb0EESV_IbLb1EEEEDaSR_SS_EUlSR_E_NS1_11comp_targetILNS1_3genE8ELNS1_11target_archE1030ELNS1_3gpuE2ELNS1_3repE0EEENS1_30default_config_static_selectorELNS0_4arch9wavefront6targetE1EEEvT1_
		.amdhsa_group_segment_fixed_size 0
		.amdhsa_private_segment_fixed_size 0
		.amdhsa_kernarg_size 96
		.amdhsa_user_sgpr_count 6
		.amdhsa_user_sgpr_private_segment_buffer 1
		.amdhsa_user_sgpr_dispatch_ptr 0
		.amdhsa_user_sgpr_queue_ptr 0
		.amdhsa_user_sgpr_kernarg_segment_ptr 1
		.amdhsa_user_sgpr_dispatch_id 0
		.amdhsa_user_sgpr_flat_scratch_init 0
		.amdhsa_user_sgpr_kernarg_preload_length 0
		.amdhsa_user_sgpr_kernarg_preload_offset 0
		.amdhsa_user_sgpr_private_segment_size 0
		.amdhsa_uses_dynamic_stack 0
		.amdhsa_system_sgpr_private_segment_wavefront_offset 0
		.amdhsa_system_sgpr_workgroup_id_x 1
		.amdhsa_system_sgpr_workgroup_id_y 0
		.amdhsa_system_sgpr_workgroup_id_z 0
		.amdhsa_system_sgpr_workgroup_info 0
		.amdhsa_system_vgpr_workitem_id 0
		.amdhsa_next_free_vgpr 1
		.amdhsa_next_free_sgpr 0
		.amdhsa_accum_offset 4
		.amdhsa_reserve_vcc 0
		.amdhsa_reserve_flat_scratch 0
		.amdhsa_float_round_mode_32 0
		.amdhsa_float_round_mode_16_64 0
		.amdhsa_float_denorm_mode_32 3
		.amdhsa_float_denorm_mode_16_64 3
		.amdhsa_dx10_clamp 1
		.amdhsa_ieee_mode 1
		.amdhsa_fp16_overflow 0
		.amdhsa_tg_split 0
		.amdhsa_exception_fp_ieee_invalid_op 0
		.amdhsa_exception_fp_denorm_src 0
		.amdhsa_exception_fp_ieee_div_zero 0
		.amdhsa_exception_fp_ieee_overflow 0
		.amdhsa_exception_fp_ieee_underflow 0
		.amdhsa_exception_fp_ieee_inexact 0
		.amdhsa_exception_int_div_zero 0
	.end_amdhsa_kernel
	.section	.text._ZN7rocprim17ROCPRIM_400000_NS6detail17trampoline_kernelINS0_14default_configENS1_20scan_config_selectorI11FixedVectorIiLj1EEEEZZNS1_9scan_implILNS1_25lookback_scan_determinismE0ELb1ELb1ES3_N6thrust23THRUST_200600_302600_NS6detail15normal_iteratorINSB_10device_ptrIS6_EEEESG_S6_NSB_4plusIvEES6_EEDaPvRmT3_T4_T5_mT6_P12ihipStream_tbENKUlT_T0_E_clISt17integral_constantIbLb0EESV_IbLb1EEEEDaSR_SS_EUlSR_E_NS1_11comp_targetILNS1_3genE8ELNS1_11target_archE1030ELNS1_3gpuE2ELNS1_3repE0EEENS1_30default_config_static_selectorELNS0_4arch9wavefront6targetE1EEEvT1_,"axG",@progbits,_ZN7rocprim17ROCPRIM_400000_NS6detail17trampoline_kernelINS0_14default_configENS1_20scan_config_selectorI11FixedVectorIiLj1EEEEZZNS1_9scan_implILNS1_25lookback_scan_determinismE0ELb1ELb1ES3_N6thrust23THRUST_200600_302600_NS6detail15normal_iteratorINSB_10device_ptrIS6_EEEESG_S6_NSB_4plusIvEES6_EEDaPvRmT3_T4_T5_mT6_P12ihipStream_tbENKUlT_T0_E_clISt17integral_constantIbLb0EESV_IbLb1EEEEDaSR_SS_EUlSR_E_NS1_11comp_targetILNS1_3genE8ELNS1_11target_archE1030ELNS1_3gpuE2ELNS1_3repE0EEENS1_30default_config_static_selectorELNS0_4arch9wavefront6targetE1EEEvT1_,comdat
.Lfunc_end6524:
	.size	_ZN7rocprim17ROCPRIM_400000_NS6detail17trampoline_kernelINS0_14default_configENS1_20scan_config_selectorI11FixedVectorIiLj1EEEEZZNS1_9scan_implILNS1_25lookback_scan_determinismE0ELb1ELb1ES3_N6thrust23THRUST_200600_302600_NS6detail15normal_iteratorINSB_10device_ptrIS6_EEEESG_S6_NSB_4plusIvEES6_EEDaPvRmT3_T4_T5_mT6_P12ihipStream_tbENKUlT_T0_E_clISt17integral_constantIbLb0EESV_IbLb1EEEEDaSR_SS_EUlSR_E_NS1_11comp_targetILNS1_3genE8ELNS1_11target_archE1030ELNS1_3gpuE2ELNS1_3repE0EEENS1_30default_config_static_selectorELNS0_4arch9wavefront6targetE1EEEvT1_, .Lfunc_end6524-_ZN7rocprim17ROCPRIM_400000_NS6detail17trampoline_kernelINS0_14default_configENS1_20scan_config_selectorI11FixedVectorIiLj1EEEEZZNS1_9scan_implILNS1_25lookback_scan_determinismE0ELb1ELb1ES3_N6thrust23THRUST_200600_302600_NS6detail15normal_iteratorINSB_10device_ptrIS6_EEEESG_S6_NSB_4plusIvEES6_EEDaPvRmT3_T4_T5_mT6_P12ihipStream_tbENKUlT_T0_E_clISt17integral_constantIbLb0EESV_IbLb1EEEEDaSR_SS_EUlSR_E_NS1_11comp_targetILNS1_3genE8ELNS1_11target_archE1030ELNS1_3gpuE2ELNS1_3repE0EEENS1_30default_config_static_selectorELNS0_4arch9wavefront6targetE1EEEvT1_
                                        ; -- End function
	.section	.AMDGPU.csdata,"",@progbits
; Kernel info:
; codeLenInByte = 0
; NumSgprs: 4
; NumVgprs: 0
; NumAgprs: 0
; TotalNumVgprs: 0
; ScratchSize: 0
; MemoryBound: 0
; FloatMode: 240
; IeeeMode: 1
; LDSByteSize: 0 bytes/workgroup (compile time only)
; SGPRBlocks: 0
; VGPRBlocks: 0
; NumSGPRsForWavesPerEU: 4
; NumVGPRsForWavesPerEU: 1
; AccumOffset: 4
; Occupancy: 8
; WaveLimiterHint : 0
; COMPUTE_PGM_RSRC2:SCRATCH_EN: 0
; COMPUTE_PGM_RSRC2:USER_SGPR: 6
; COMPUTE_PGM_RSRC2:TRAP_HANDLER: 0
; COMPUTE_PGM_RSRC2:TGID_X_EN: 1
; COMPUTE_PGM_RSRC2:TGID_Y_EN: 0
; COMPUTE_PGM_RSRC2:TGID_Z_EN: 0
; COMPUTE_PGM_RSRC2:TIDIG_COMP_CNT: 0
; COMPUTE_PGM_RSRC3_GFX90A:ACCUM_OFFSET: 0
; COMPUTE_PGM_RSRC3_GFX90A:TG_SPLIT: 0
	.section	.text._ZN7rocprim17ROCPRIM_400000_NS6detail17trampoline_kernelINS0_14default_configENS1_20scan_config_selectorI11FixedVectorIiLj1EEEEZZNS1_9scan_implILNS1_25lookback_scan_determinismE0ELb1ELb1ES3_N6thrust23THRUST_200600_302600_NS6detail15normal_iteratorINSB_10device_ptrIS6_EEEESG_S6_NSB_4plusIvEES6_EEDaPvRmT3_T4_T5_mT6_P12ihipStream_tbENKUlT_T0_E_clISt17integral_constantIbLb0EESV_IbLb1EEEEDaSR_SS_EUlSR_E0_NS1_11comp_targetILNS1_3genE0ELNS1_11target_archE4294967295ELNS1_3gpuE0ELNS1_3repE0EEENS1_30default_config_static_selectorELNS0_4arch9wavefront6targetE1EEEvT1_,"axG",@progbits,_ZN7rocprim17ROCPRIM_400000_NS6detail17trampoline_kernelINS0_14default_configENS1_20scan_config_selectorI11FixedVectorIiLj1EEEEZZNS1_9scan_implILNS1_25lookback_scan_determinismE0ELb1ELb1ES3_N6thrust23THRUST_200600_302600_NS6detail15normal_iteratorINSB_10device_ptrIS6_EEEESG_S6_NSB_4plusIvEES6_EEDaPvRmT3_T4_T5_mT6_P12ihipStream_tbENKUlT_T0_E_clISt17integral_constantIbLb0EESV_IbLb1EEEEDaSR_SS_EUlSR_E0_NS1_11comp_targetILNS1_3genE0ELNS1_11target_archE4294967295ELNS1_3gpuE0ELNS1_3repE0EEENS1_30default_config_static_selectorELNS0_4arch9wavefront6targetE1EEEvT1_,comdat
	.protected	_ZN7rocprim17ROCPRIM_400000_NS6detail17trampoline_kernelINS0_14default_configENS1_20scan_config_selectorI11FixedVectorIiLj1EEEEZZNS1_9scan_implILNS1_25lookback_scan_determinismE0ELb1ELb1ES3_N6thrust23THRUST_200600_302600_NS6detail15normal_iteratorINSB_10device_ptrIS6_EEEESG_S6_NSB_4plusIvEES6_EEDaPvRmT3_T4_T5_mT6_P12ihipStream_tbENKUlT_T0_E_clISt17integral_constantIbLb0EESV_IbLb1EEEEDaSR_SS_EUlSR_E0_NS1_11comp_targetILNS1_3genE0ELNS1_11target_archE4294967295ELNS1_3gpuE0ELNS1_3repE0EEENS1_30default_config_static_selectorELNS0_4arch9wavefront6targetE1EEEvT1_ ; -- Begin function _ZN7rocprim17ROCPRIM_400000_NS6detail17trampoline_kernelINS0_14default_configENS1_20scan_config_selectorI11FixedVectorIiLj1EEEEZZNS1_9scan_implILNS1_25lookback_scan_determinismE0ELb1ELb1ES3_N6thrust23THRUST_200600_302600_NS6detail15normal_iteratorINSB_10device_ptrIS6_EEEESG_S6_NSB_4plusIvEES6_EEDaPvRmT3_T4_T5_mT6_P12ihipStream_tbENKUlT_T0_E_clISt17integral_constantIbLb0EESV_IbLb1EEEEDaSR_SS_EUlSR_E0_NS1_11comp_targetILNS1_3genE0ELNS1_11target_archE4294967295ELNS1_3gpuE0ELNS1_3repE0EEENS1_30default_config_static_selectorELNS0_4arch9wavefront6targetE1EEEvT1_
	.globl	_ZN7rocprim17ROCPRIM_400000_NS6detail17trampoline_kernelINS0_14default_configENS1_20scan_config_selectorI11FixedVectorIiLj1EEEEZZNS1_9scan_implILNS1_25lookback_scan_determinismE0ELb1ELb1ES3_N6thrust23THRUST_200600_302600_NS6detail15normal_iteratorINSB_10device_ptrIS6_EEEESG_S6_NSB_4plusIvEES6_EEDaPvRmT3_T4_T5_mT6_P12ihipStream_tbENKUlT_T0_E_clISt17integral_constantIbLb0EESV_IbLb1EEEEDaSR_SS_EUlSR_E0_NS1_11comp_targetILNS1_3genE0ELNS1_11target_archE4294967295ELNS1_3gpuE0ELNS1_3repE0EEENS1_30default_config_static_selectorELNS0_4arch9wavefront6targetE1EEEvT1_
	.p2align	8
	.type	_ZN7rocprim17ROCPRIM_400000_NS6detail17trampoline_kernelINS0_14default_configENS1_20scan_config_selectorI11FixedVectorIiLj1EEEEZZNS1_9scan_implILNS1_25lookback_scan_determinismE0ELb1ELb1ES3_N6thrust23THRUST_200600_302600_NS6detail15normal_iteratorINSB_10device_ptrIS6_EEEESG_S6_NSB_4plusIvEES6_EEDaPvRmT3_T4_T5_mT6_P12ihipStream_tbENKUlT_T0_E_clISt17integral_constantIbLb0EESV_IbLb1EEEEDaSR_SS_EUlSR_E0_NS1_11comp_targetILNS1_3genE0ELNS1_11target_archE4294967295ELNS1_3gpuE0ELNS1_3repE0EEENS1_30default_config_static_selectorELNS0_4arch9wavefront6targetE1EEEvT1_,@function
_ZN7rocprim17ROCPRIM_400000_NS6detail17trampoline_kernelINS0_14default_configENS1_20scan_config_selectorI11FixedVectorIiLj1EEEEZZNS1_9scan_implILNS1_25lookback_scan_determinismE0ELb1ELb1ES3_N6thrust23THRUST_200600_302600_NS6detail15normal_iteratorINSB_10device_ptrIS6_EEEESG_S6_NSB_4plusIvEES6_EEDaPvRmT3_T4_T5_mT6_P12ihipStream_tbENKUlT_T0_E_clISt17integral_constantIbLb0EESV_IbLb1EEEEDaSR_SS_EUlSR_E0_NS1_11comp_targetILNS1_3genE0ELNS1_11target_archE4294967295ELNS1_3gpuE0ELNS1_3repE0EEENS1_30default_config_static_selectorELNS0_4arch9wavefront6targetE1EEEvT1_: ; @_ZN7rocprim17ROCPRIM_400000_NS6detail17trampoline_kernelINS0_14default_configENS1_20scan_config_selectorI11FixedVectorIiLj1EEEEZZNS1_9scan_implILNS1_25lookback_scan_determinismE0ELb1ELb1ES3_N6thrust23THRUST_200600_302600_NS6detail15normal_iteratorINSB_10device_ptrIS6_EEEESG_S6_NSB_4plusIvEES6_EEDaPvRmT3_T4_T5_mT6_P12ihipStream_tbENKUlT_T0_E_clISt17integral_constantIbLb0EESV_IbLb1EEEEDaSR_SS_EUlSR_E0_NS1_11comp_targetILNS1_3genE0ELNS1_11target_archE4294967295ELNS1_3gpuE0ELNS1_3repE0EEENS1_30default_config_static_selectorELNS0_4arch9wavefront6targetE1EEEvT1_
; %bb.0:
	.section	.rodata,"a",@progbits
	.p2align	6, 0x0
	.amdhsa_kernel _ZN7rocprim17ROCPRIM_400000_NS6detail17trampoline_kernelINS0_14default_configENS1_20scan_config_selectorI11FixedVectorIiLj1EEEEZZNS1_9scan_implILNS1_25lookback_scan_determinismE0ELb1ELb1ES3_N6thrust23THRUST_200600_302600_NS6detail15normal_iteratorINSB_10device_ptrIS6_EEEESG_S6_NSB_4plusIvEES6_EEDaPvRmT3_T4_T5_mT6_P12ihipStream_tbENKUlT_T0_E_clISt17integral_constantIbLb0EESV_IbLb1EEEEDaSR_SS_EUlSR_E0_NS1_11comp_targetILNS1_3genE0ELNS1_11target_archE4294967295ELNS1_3gpuE0ELNS1_3repE0EEENS1_30default_config_static_selectorELNS0_4arch9wavefront6targetE1EEEvT1_
		.amdhsa_group_segment_fixed_size 0
		.amdhsa_private_segment_fixed_size 0
		.amdhsa_kernarg_size 32
		.amdhsa_user_sgpr_count 6
		.amdhsa_user_sgpr_private_segment_buffer 1
		.amdhsa_user_sgpr_dispatch_ptr 0
		.amdhsa_user_sgpr_queue_ptr 0
		.amdhsa_user_sgpr_kernarg_segment_ptr 1
		.amdhsa_user_sgpr_dispatch_id 0
		.amdhsa_user_sgpr_flat_scratch_init 0
		.amdhsa_user_sgpr_kernarg_preload_length 0
		.amdhsa_user_sgpr_kernarg_preload_offset 0
		.amdhsa_user_sgpr_private_segment_size 0
		.amdhsa_uses_dynamic_stack 0
		.amdhsa_system_sgpr_private_segment_wavefront_offset 0
		.amdhsa_system_sgpr_workgroup_id_x 1
		.amdhsa_system_sgpr_workgroup_id_y 0
		.amdhsa_system_sgpr_workgroup_id_z 0
		.amdhsa_system_sgpr_workgroup_info 0
		.amdhsa_system_vgpr_workitem_id 0
		.amdhsa_next_free_vgpr 1
		.amdhsa_next_free_sgpr 0
		.amdhsa_accum_offset 4
		.amdhsa_reserve_vcc 0
		.amdhsa_reserve_flat_scratch 0
		.amdhsa_float_round_mode_32 0
		.amdhsa_float_round_mode_16_64 0
		.amdhsa_float_denorm_mode_32 3
		.amdhsa_float_denorm_mode_16_64 3
		.amdhsa_dx10_clamp 1
		.amdhsa_ieee_mode 1
		.amdhsa_fp16_overflow 0
		.amdhsa_tg_split 0
		.amdhsa_exception_fp_ieee_invalid_op 0
		.amdhsa_exception_fp_denorm_src 0
		.amdhsa_exception_fp_ieee_div_zero 0
		.amdhsa_exception_fp_ieee_overflow 0
		.amdhsa_exception_fp_ieee_underflow 0
		.amdhsa_exception_fp_ieee_inexact 0
		.amdhsa_exception_int_div_zero 0
	.end_amdhsa_kernel
	.section	.text._ZN7rocprim17ROCPRIM_400000_NS6detail17trampoline_kernelINS0_14default_configENS1_20scan_config_selectorI11FixedVectorIiLj1EEEEZZNS1_9scan_implILNS1_25lookback_scan_determinismE0ELb1ELb1ES3_N6thrust23THRUST_200600_302600_NS6detail15normal_iteratorINSB_10device_ptrIS6_EEEESG_S6_NSB_4plusIvEES6_EEDaPvRmT3_T4_T5_mT6_P12ihipStream_tbENKUlT_T0_E_clISt17integral_constantIbLb0EESV_IbLb1EEEEDaSR_SS_EUlSR_E0_NS1_11comp_targetILNS1_3genE0ELNS1_11target_archE4294967295ELNS1_3gpuE0ELNS1_3repE0EEENS1_30default_config_static_selectorELNS0_4arch9wavefront6targetE1EEEvT1_,"axG",@progbits,_ZN7rocprim17ROCPRIM_400000_NS6detail17trampoline_kernelINS0_14default_configENS1_20scan_config_selectorI11FixedVectorIiLj1EEEEZZNS1_9scan_implILNS1_25lookback_scan_determinismE0ELb1ELb1ES3_N6thrust23THRUST_200600_302600_NS6detail15normal_iteratorINSB_10device_ptrIS6_EEEESG_S6_NSB_4plusIvEES6_EEDaPvRmT3_T4_T5_mT6_P12ihipStream_tbENKUlT_T0_E_clISt17integral_constantIbLb0EESV_IbLb1EEEEDaSR_SS_EUlSR_E0_NS1_11comp_targetILNS1_3genE0ELNS1_11target_archE4294967295ELNS1_3gpuE0ELNS1_3repE0EEENS1_30default_config_static_selectorELNS0_4arch9wavefront6targetE1EEEvT1_,comdat
.Lfunc_end6525:
	.size	_ZN7rocprim17ROCPRIM_400000_NS6detail17trampoline_kernelINS0_14default_configENS1_20scan_config_selectorI11FixedVectorIiLj1EEEEZZNS1_9scan_implILNS1_25lookback_scan_determinismE0ELb1ELb1ES3_N6thrust23THRUST_200600_302600_NS6detail15normal_iteratorINSB_10device_ptrIS6_EEEESG_S6_NSB_4plusIvEES6_EEDaPvRmT3_T4_T5_mT6_P12ihipStream_tbENKUlT_T0_E_clISt17integral_constantIbLb0EESV_IbLb1EEEEDaSR_SS_EUlSR_E0_NS1_11comp_targetILNS1_3genE0ELNS1_11target_archE4294967295ELNS1_3gpuE0ELNS1_3repE0EEENS1_30default_config_static_selectorELNS0_4arch9wavefront6targetE1EEEvT1_, .Lfunc_end6525-_ZN7rocprim17ROCPRIM_400000_NS6detail17trampoline_kernelINS0_14default_configENS1_20scan_config_selectorI11FixedVectorIiLj1EEEEZZNS1_9scan_implILNS1_25lookback_scan_determinismE0ELb1ELb1ES3_N6thrust23THRUST_200600_302600_NS6detail15normal_iteratorINSB_10device_ptrIS6_EEEESG_S6_NSB_4plusIvEES6_EEDaPvRmT3_T4_T5_mT6_P12ihipStream_tbENKUlT_T0_E_clISt17integral_constantIbLb0EESV_IbLb1EEEEDaSR_SS_EUlSR_E0_NS1_11comp_targetILNS1_3genE0ELNS1_11target_archE4294967295ELNS1_3gpuE0ELNS1_3repE0EEENS1_30default_config_static_selectorELNS0_4arch9wavefront6targetE1EEEvT1_
                                        ; -- End function
	.section	.AMDGPU.csdata,"",@progbits
; Kernel info:
; codeLenInByte = 0
; NumSgprs: 4
; NumVgprs: 0
; NumAgprs: 0
; TotalNumVgprs: 0
; ScratchSize: 0
; MemoryBound: 0
; FloatMode: 240
; IeeeMode: 1
; LDSByteSize: 0 bytes/workgroup (compile time only)
; SGPRBlocks: 0
; VGPRBlocks: 0
; NumSGPRsForWavesPerEU: 4
; NumVGPRsForWavesPerEU: 1
; AccumOffset: 4
; Occupancy: 8
; WaveLimiterHint : 0
; COMPUTE_PGM_RSRC2:SCRATCH_EN: 0
; COMPUTE_PGM_RSRC2:USER_SGPR: 6
; COMPUTE_PGM_RSRC2:TRAP_HANDLER: 0
; COMPUTE_PGM_RSRC2:TGID_X_EN: 1
; COMPUTE_PGM_RSRC2:TGID_Y_EN: 0
; COMPUTE_PGM_RSRC2:TGID_Z_EN: 0
; COMPUTE_PGM_RSRC2:TIDIG_COMP_CNT: 0
; COMPUTE_PGM_RSRC3_GFX90A:ACCUM_OFFSET: 0
; COMPUTE_PGM_RSRC3_GFX90A:TG_SPLIT: 0
	.section	.text._ZN7rocprim17ROCPRIM_400000_NS6detail17trampoline_kernelINS0_14default_configENS1_20scan_config_selectorI11FixedVectorIiLj1EEEEZZNS1_9scan_implILNS1_25lookback_scan_determinismE0ELb1ELb1ES3_N6thrust23THRUST_200600_302600_NS6detail15normal_iteratorINSB_10device_ptrIS6_EEEESG_S6_NSB_4plusIvEES6_EEDaPvRmT3_T4_T5_mT6_P12ihipStream_tbENKUlT_T0_E_clISt17integral_constantIbLb0EESV_IbLb1EEEEDaSR_SS_EUlSR_E0_NS1_11comp_targetILNS1_3genE5ELNS1_11target_archE942ELNS1_3gpuE9ELNS1_3repE0EEENS1_30default_config_static_selectorELNS0_4arch9wavefront6targetE1EEEvT1_,"axG",@progbits,_ZN7rocprim17ROCPRIM_400000_NS6detail17trampoline_kernelINS0_14default_configENS1_20scan_config_selectorI11FixedVectorIiLj1EEEEZZNS1_9scan_implILNS1_25lookback_scan_determinismE0ELb1ELb1ES3_N6thrust23THRUST_200600_302600_NS6detail15normal_iteratorINSB_10device_ptrIS6_EEEESG_S6_NSB_4plusIvEES6_EEDaPvRmT3_T4_T5_mT6_P12ihipStream_tbENKUlT_T0_E_clISt17integral_constantIbLb0EESV_IbLb1EEEEDaSR_SS_EUlSR_E0_NS1_11comp_targetILNS1_3genE5ELNS1_11target_archE942ELNS1_3gpuE9ELNS1_3repE0EEENS1_30default_config_static_selectorELNS0_4arch9wavefront6targetE1EEEvT1_,comdat
	.protected	_ZN7rocprim17ROCPRIM_400000_NS6detail17trampoline_kernelINS0_14default_configENS1_20scan_config_selectorI11FixedVectorIiLj1EEEEZZNS1_9scan_implILNS1_25lookback_scan_determinismE0ELb1ELb1ES3_N6thrust23THRUST_200600_302600_NS6detail15normal_iteratorINSB_10device_ptrIS6_EEEESG_S6_NSB_4plusIvEES6_EEDaPvRmT3_T4_T5_mT6_P12ihipStream_tbENKUlT_T0_E_clISt17integral_constantIbLb0EESV_IbLb1EEEEDaSR_SS_EUlSR_E0_NS1_11comp_targetILNS1_3genE5ELNS1_11target_archE942ELNS1_3gpuE9ELNS1_3repE0EEENS1_30default_config_static_selectorELNS0_4arch9wavefront6targetE1EEEvT1_ ; -- Begin function _ZN7rocprim17ROCPRIM_400000_NS6detail17trampoline_kernelINS0_14default_configENS1_20scan_config_selectorI11FixedVectorIiLj1EEEEZZNS1_9scan_implILNS1_25lookback_scan_determinismE0ELb1ELb1ES3_N6thrust23THRUST_200600_302600_NS6detail15normal_iteratorINSB_10device_ptrIS6_EEEESG_S6_NSB_4plusIvEES6_EEDaPvRmT3_T4_T5_mT6_P12ihipStream_tbENKUlT_T0_E_clISt17integral_constantIbLb0EESV_IbLb1EEEEDaSR_SS_EUlSR_E0_NS1_11comp_targetILNS1_3genE5ELNS1_11target_archE942ELNS1_3gpuE9ELNS1_3repE0EEENS1_30default_config_static_selectorELNS0_4arch9wavefront6targetE1EEEvT1_
	.globl	_ZN7rocprim17ROCPRIM_400000_NS6detail17trampoline_kernelINS0_14default_configENS1_20scan_config_selectorI11FixedVectorIiLj1EEEEZZNS1_9scan_implILNS1_25lookback_scan_determinismE0ELb1ELb1ES3_N6thrust23THRUST_200600_302600_NS6detail15normal_iteratorINSB_10device_ptrIS6_EEEESG_S6_NSB_4plusIvEES6_EEDaPvRmT3_T4_T5_mT6_P12ihipStream_tbENKUlT_T0_E_clISt17integral_constantIbLb0EESV_IbLb1EEEEDaSR_SS_EUlSR_E0_NS1_11comp_targetILNS1_3genE5ELNS1_11target_archE942ELNS1_3gpuE9ELNS1_3repE0EEENS1_30default_config_static_selectorELNS0_4arch9wavefront6targetE1EEEvT1_
	.p2align	8
	.type	_ZN7rocprim17ROCPRIM_400000_NS6detail17trampoline_kernelINS0_14default_configENS1_20scan_config_selectorI11FixedVectorIiLj1EEEEZZNS1_9scan_implILNS1_25lookback_scan_determinismE0ELb1ELb1ES3_N6thrust23THRUST_200600_302600_NS6detail15normal_iteratorINSB_10device_ptrIS6_EEEESG_S6_NSB_4plusIvEES6_EEDaPvRmT3_T4_T5_mT6_P12ihipStream_tbENKUlT_T0_E_clISt17integral_constantIbLb0EESV_IbLb1EEEEDaSR_SS_EUlSR_E0_NS1_11comp_targetILNS1_3genE5ELNS1_11target_archE942ELNS1_3gpuE9ELNS1_3repE0EEENS1_30default_config_static_selectorELNS0_4arch9wavefront6targetE1EEEvT1_,@function
_ZN7rocprim17ROCPRIM_400000_NS6detail17trampoline_kernelINS0_14default_configENS1_20scan_config_selectorI11FixedVectorIiLj1EEEEZZNS1_9scan_implILNS1_25lookback_scan_determinismE0ELb1ELb1ES3_N6thrust23THRUST_200600_302600_NS6detail15normal_iteratorINSB_10device_ptrIS6_EEEESG_S6_NSB_4plusIvEES6_EEDaPvRmT3_T4_T5_mT6_P12ihipStream_tbENKUlT_T0_E_clISt17integral_constantIbLb0EESV_IbLb1EEEEDaSR_SS_EUlSR_E0_NS1_11comp_targetILNS1_3genE5ELNS1_11target_archE942ELNS1_3gpuE9ELNS1_3repE0EEENS1_30default_config_static_selectorELNS0_4arch9wavefront6targetE1EEEvT1_: ; @_ZN7rocprim17ROCPRIM_400000_NS6detail17trampoline_kernelINS0_14default_configENS1_20scan_config_selectorI11FixedVectorIiLj1EEEEZZNS1_9scan_implILNS1_25lookback_scan_determinismE0ELb1ELb1ES3_N6thrust23THRUST_200600_302600_NS6detail15normal_iteratorINSB_10device_ptrIS6_EEEESG_S6_NSB_4plusIvEES6_EEDaPvRmT3_T4_T5_mT6_P12ihipStream_tbENKUlT_T0_E_clISt17integral_constantIbLb0EESV_IbLb1EEEEDaSR_SS_EUlSR_E0_NS1_11comp_targetILNS1_3genE5ELNS1_11target_archE942ELNS1_3gpuE9ELNS1_3repE0EEENS1_30default_config_static_selectorELNS0_4arch9wavefront6targetE1EEEvT1_
; %bb.0:
	.section	.rodata,"a",@progbits
	.p2align	6, 0x0
	.amdhsa_kernel _ZN7rocprim17ROCPRIM_400000_NS6detail17trampoline_kernelINS0_14default_configENS1_20scan_config_selectorI11FixedVectorIiLj1EEEEZZNS1_9scan_implILNS1_25lookback_scan_determinismE0ELb1ELb1ES3_N6thrust23THRUST_200600_302600_NS6detail15normal_iteratorINSB_10device_ptrIS6_EEEESG_S6_NSB_4plusIvEES6_EEDaPvRmT3_T4_T5_mT6_P12ihipStream_tbENKUlT_T0_E_clISt17integral_constantIbLb0EESV_IbLb1EEEEDaSR_SS_EUlSR_E0_NS1_11comp_targetILNS1_3genE5ELNS1_11target_archE942ELNS1_3gpuE9ELNS1_3repE0EEENS1_30default_config_static_selectorELNS0_4arch9wavefront6targetE1EEEvT1_
		.amdhsa_group_segment_fixed_size 0
		.amdhsa_private_segment_fixed_size 0
		.amdhsa_kernarg_size 32
		.amdhsa_user_sgpr_count 6
		.amdhsa_user_sgpr_private_segment_buffer 1
		.amdhsa_user_sgpr_dispatch_ptr 0
		.amdhsa_user_sgpr_queue_ptr 0
		.amdhsa_user_sgpr_kernarg_segment_ptr 1
		.amdhsa_user_sgpr_dispatch_id 0
		.amdhsa_user_sgpr_flat_scratch_init 0
		.amdhsa_user_sgpr_kernarg_preload_length 0
		.amdhsa_user_sgpr_kernarg_preload_offset 0
		.amdhsa_user_sgpr_private_segment_size 0
		.amdhsa_uses_dynamic_stack 0
		.amdhsa_system_sgpr_private_segment_wavefront_offset 0
		.amdhsa_system_sgpr_workgroup_id_x 1
		.amdhsa_system_sgpr_workgroup_id_y 0
		.amdhsa_system_sgpr_workgroup_id_z 0
		.amdhsa_system_sgpr_workgroup_info 0
		.amdhsa_system_vgpr_workitem_id 0
		.amdhsa_next_free_vgpr 1
		.amdhsa_next_free_sgpr 0
		.amdhsa_accum_offset 4
		.amdhsa_reserve_vcc 0
		.amdhsa_reserve_flat_scratch 0
		.amdhsa_float_round_mode_32 0
		.amdhsa_float_round_mode_16_64 0
		.amdhsa_float_denorm_mode_32 3
		.amdhsa_float_denorm_mode_16_64 3
		.amdhsa_dx10_clamp 1
		.amdhsa_ieee_mode 1
		.amdhsa_fp16_overflow 0
		.amdhsa_tg_split 0
		.amdhsa_exception_fp_ieee_invalid_op 0
		.amdhsa_exception_fp_denorm_src 0
		.amdhsa_exception_fp_ieee_div_zero 0
		.amdhsa_exception_fp_ieee_overflow 0
		.amdhsa_exception_fp_ieee_underflow 0
		.amdhsa_exception_fp_ieee_inexact 0
		.amdhsa_exception_int_div_zero 0
	.end_amdhsa_kernel
	.section	.text._ZN7rocprim17ROCPRIM_400000_NS6detail17trampoline_kernelINS0_14default_configENS1_20scan_config_selectorI11FixedVectorIiLj1EEEEZZNS1_9scan_implILNS1_25lookback_scan_determinismE0ELb1ELb1ES3_N6thrust23THRUST_200600_302600_NS6detail15normal_iteratorINSB_10device_ptrIS6_EEEESG_S6_NSB_4plusIvEES6_EEDaPvRmT3_T4_T5_mT6_P12ihipStream_tbENKUlT_T0_E_clISt17integral_constantIbLb0EESV_IbLb1EEEEDaSR_SS_EUlSR_E0_NS1_11comp_targetILNS1_3genE5ELNS1_11target_archE942ELNS1_3gpuE9ELNS1_3repE0EEENS1_30default_config_static_selectorELNS0_4arch9wavefront6targetE1EEEvT1_,"axG",@progbits,_ZN7rocprim17ROCPRIM_400000_NS6detail17trampoline_kernelINS0_14default_configENS1_20scan_config_selectorI11FixedVectorIiLj1EEEEZZNS1_9scan_implILNS1_25lookback_scan_determinismE0ELb1ELb1ES3_N6thrust23THRUST_200600_302600_NS6detail15normal_iteratorINSB_10device_ptrIS6_EEEESG_S6_NSB_4plusIvEES6_EEDaPvRmT3_T4_T5_mT6_P12ihipStream_tbENKUlT_T0_E_clISt17integral_constantIbLb0EESV_IbLb1EEEEDaSR_SS_EUlSR_E0_NS1_11comp_targetILNS1_3genE5ELNS1_11target_archE942ELNS1_3gpuE9ELNS1_3repE0EEENS1_30default_config_static_selectorELNS0_4arch9wavefront6targetE1EEEvT1_,comdat
.Lfunc_end6526:
	.size	_ZN7rocprim17ROCPRIM_400000_NS6detail17trampoline_kernelINS0_14default_configENS1_20scan_config_selectorI11FixedVectorIiLj1EEEEZZNS1_9scan_implILNS1_25lookback_scan_determinismE0ELb1ELb1ES3_N6thrust23THRUST_200600_302600_NS6detail15normal_iteratorINSB_10device_ptrIS6_EEEESG_S6_NSB_4plusIvEES6_EEDaPvRmT3_T4_T5_mT6_P12ihipStream_tbENKUlT_T0_E_clISt17integral_constantIbLb0EESV_IbLb1EEEEDaSR_SS_EUlSR_E0_NS1_11comp_targetILNS1_3genE5ELNS1_11target_archE942ELNS1_3gpuE9ELNS1_3repE0EEENS1_30default_config_static_selectorELNS0_4arch9wavefront6targetE1EEEvT1_, .Lfunc_end6526-_ZN7rocprim17ROCPRIM_400000_NS6detail17trampoline_kernelINS0_14default_configENS1_20scan_config_selectorI11FixedVectorIiLj1EEEEZZNS1_9scan_implILNS1_25lookback_scan_determinismE0ELb1ELb1ES3_N6thrust23THRUST_200600_302600_NS6detail15normal_iteratorINSB_10device_ptrIS6_EEEESG_S6_NSB_4plusIvEES6_EEDaPvRmT3_T4_T5_mT6_P12ihipStream_tbENKUlT_T0_E_clISt17integral_constantIbLb0EESV_IbLb1EEEEDaSR_SS_EUlSR_E0_NS1_11comp_targetILNS1_3genE5ELNS1_11target_archE942ELNS1_3gpuE9ELNS1_3repE0EEENS1_30default_config_static_selectorELNS0_4arch9wavefront6targetE1EEEvT1_
                                        ; -- End function
	.section	.AMDGPU.csdata,"",@progbits
; Kernel info:
; codeLenInByte = 0
; NumSgprs: 4
; NumVgprs: 0
; NumAgprs: 0
; TotalNumVgprs: 0
; ScratchSize: 0
; MemoryBound: 0
; FloatMode: 240
; IeeeMode: 1
; LDSByteSize: 0 bytes/workgroup (compile time only)
; SGPRBlocks: 0
; VGPRBlocks: 0
; NumSGPRsForWavesPerEU: 4
; NumVGPRsForWavesPerEU: 1
; AccumOffset: 4
; Occupancy: 8
; WaveLimiterHint : 0
; COMPUTE_PGM_RSRC2:SCRATCH_EN: 0
; COMPUTE_PGM_RSRC2:USER_SGPR: 6
; COMPUTE_PGM_RSRC2:TRAP_HANDLER: 0
; COMPUTE_PGM_RSRC2:TGID_X_EN: 1
; COMPUTE_PGM_RSRC2:TGID_Y_EN: 0
; COMPUTE_PGM_RSRC2:TGID_Z_EN: 0
; COMPUTE_PGM_RSRC2:TIDIG_COMP_CNT: 0
; COMPUTE_PGM_RSRC3_GFX90A:ACCUM_OFFSET: 0
; COMPUTE_PGM_RSRC3_GFX90A:TG_SPLIT: 0
	.section	.text._ZN7rocprim17ROCPRIM_400000_NS6detail17trampoline_kernelINS0_14default_configENS1_20scan_config_selectorI11FixedVectorIiLj1EEEEZZNS1_9scan_implILNS1_25lookback_scan_determinismE0ELb1ELb1ES3_N6thrust23THRUST_200600_302600_NS6detail15normal_iteratorINSB_10device_ptrIS6_EEEESG_S6_NSB_4plusIvEES6_EEDaPvRmT3_T4_T5_mT6_P12ihipStream_tbENKUlT_T0_E_clISt17integral_constantIbLb0EESV_IbLb1EEEEDaSR_SS_EUlSR_E0_NS1_11comp_targetILNS1_3genE4ELNS1_11target_archE910ELNS1_3gpuE8ELNS1_3repE0EEENS1_30default_config_static_selectorELNS0_4arch9wavefront6targetE1EEEvT1_,"axG",@progbits,_ZN7rocprim17ROCPRIM_400000_NS6detail17trampoline_kernelINS0_14default_configENS1_20scan_config_selectorI11FixedVectorIiLj1EEEEZZNS1_9scan_implILNS1_25lookback_scan_determinismE0ELb1ELb1ES3_N6thrust23THRUST_200600_302600_NS6detail15normal_iteratorINSB_10device_ptrIS6_EEEESG_S6_NSB_4plusIvEES6_EEDaPvRmT3_T4_T5_mT6_P12ihipStream_tbENKUlT_T0_E_clISt17integral_constantIbLb0EESV_IbLb1EEEEDaSR_SS_EUlSR_E0_NS1_11comp_targetILNS1_3genE4ELNS1_11target_archE910ELNS1_3gpuE8ELNS1_3repE0EEENS1_30default_config_static_selectorELNS0_4arch9wavefront6targetE1EEEvT1_,comdat
	.protected	_ZN7rocprim17ROCPRIM_400000_NS6detail17trampoline_kernelINS0_14default_configENS1_20scan_config_selectorI11FixedVectorIiLj1EEEEZZNS1_9scan_implILNS1_25lookback_scan_determinismE0ELb1ELb1ES3_N6thrust23THRUST_200600_302600_NS6detail15normal_iteratorINSB_10device_ptrIS6_EEEESG_S6_NSB_4plusIvEES6_EEDaPvRmT3_T4_T5_mT6_P12ihipStream_tbENKUlT_T0_E_clISt17integral_constantIbLb0EESV_IbLb1EEEEDaSR_SS_EUlSR_E0_NS1_11comp_targetILNS1_3genE4ELNS1_11target_archE910ELNS1_3gpuE8ELNS1_3repE0EEENS1_30default_config_static_selectorELNS0_4arch9wavefront6targetE1EEEvT1_ ; -- Begin function _ZN7rocprim17ROCPRIM_400000_NS6detail17trampoline_kernelINS0_14default_configENS1_20scan_config_selectorI11FixedVectorIiLj1EEEEZZNS1_9scan_implILNS1_25lookback_scan_determinismE0ELb1ELb1ES3_N6thrust23THRUST_200600_302600_NS6detail15normal_iteratorINSB_10device_ptrIS6_EEEESG_S6_NSB_4plusIvEES6_EEDaPvRmT3_T4_T5_mT6_P12ihipStream_tbENKUlT_T0_E_clISt17integral_constantIbLb0EESV_IbLb1EEEEDaSR_SS_EUlSR_E0_NS1_11comp_targetILNS1_3genE4ELNS1_11target_archE910ELNS1_3gpuE8ELNS1_3repE0EEENS1_30default_config_static_selectorELNS0_4arch9wavefront6targetE1EEEvT1_
	.globl	_ZN7rocprim17ROCPRIM_400000_NS6detail17trampoline_kernelINS0_14default_configENS1_20scan_config_selectorI11FixedVectorIiLj1EEEEZZNS1_9scan_implILNS1_25lookback_scan_determinismE0ELb1ELb1ES3_N6thrust23THRUST_200600_302600_NS6detail15normal_iteratorINSB_10device_ptrIS6_EEEESG_S6_NSB_4plusIvEES6_EEDaPvRmT3_T4_T5_mT6_P12ihipStream_tbENKUlT_T0_E_clISt17integral_constantIbLb0EESV_IbLb1EEEEDaSR_SS_EUlSR_E0_NS1_11comp_targetILNS1_3genE4ELNS1_11target_archE910ELNS1_3gpuE8ELNS1_3repE0EEENS1_30default_config_static_selectorELNS0_4arch9wavefront6targetE1EEEvT1_
	.p2align	8
	.type	_ZN7rocprim17ROCPRIM_400000_NS6detail17trampoline_kernelINS0_14default_configENS1_20scan_config_selectorI11FixedVectorIiLj1EEEEZZNS1_9scan_implILNS1_25lookback_scan_determinismE0ELb1ELb1ES3_N6thrust23THRUST_200600_302600_NS6detail15normal_iteratorINSB_10device_ptrIS6_EEEESG_S6_NSB_4plusIvEES6_EEDaPvRmT3_T4_T5_mT6_P12ihipStream_tbENKUlT_T0_E_clISt17integral_constantIbLb0EESV_IbLb1EEEEDaSR_SS_EUlSR_E0_NS1_11comp_targetILNS1_3genE4ELNS1_11target_archE910ELNS1_3gpuE8ELNS1_3repE0EEENS1_30default_config_static_selectorELNS0_4arch9wavefront6targetE1EEEvT1_,@function
_ZN7rocprim17ROCPRIM_400000_NS6detail17trampoline_kernelINS0_14default_configENS1_20scan_config_selectorI11FixedVectorIiLj1EEEEZZNS1_9scan_implILNS1_25lookback_scan_determinismE0ELb1ELb1ES3_N6thrust23THRUST_200600_302600_NS6detail15normal_iteratorINSB_10device_ptrIS6_EEEESG_S6_NSB_4plusIvEES6_EEDaPvRmT3_T4_T5_mT6_P12ihipStream_tbENKUlT_T0_E_clISt17integral_constantIbLb0EESV_IbLb1EEEEDaSR_SS_EUlSR_E0_NS1_11comp_targetILNS1_3genE4ELNS1_11target_archE910ELNS1_3gpuE8ELNS1_3repE0EEENS1_30default_config_static_selectorELNS0_4arch9wavefront6targetE1EEEvT1_: ; @_ZN7rocprim17ROCPRIM_400000_NS6detail17trampoline_kernelINS0_14default_configENS1_20scan_config_selectorI11FixedVectorIiLj1EEEEZZNS1_9scan_implILNS1_25lookback_scan_determinismE0ELb1ELb1ES3_N6thrust23THRUST_200600_302600_NS6detail15normal_iteratorINSB_10device_ptrIS6_EEEESG_S6_NSB_4plusIvEES6_EEDaPvRmT3_T4_T5_mT6_P12ihipStream_tbENKUlT_T0_E_clISt17integral_constantIbLb0EESV_IbLb1EEEEDaSR_SS_EUlSR_E0_NS1_11comp_targetILNS1_3genE4ELNS1_11target_archE910ELNS1_3gpuE8ELNS1_3repE0EEENS1_30default_config_static_selectorELNS0_4arch9wavefront6targetE1EEEvT1_
; %bb.0:
	s_load_dwordx4 s[20:23], s[4:5], 0x0
	v_lshlrev_b32_e32 v14, 2, v0
	s_waitcnt lgkmcnt(0)
	s_load_dword s23, s[20:21], 0x0
	v_cmp_gt_u32_e32 vcc, s22, v0
	s_waitcnt lgkmcnt(0)
	v_mov_b32_e32 v1, s23
	s_and_saveexec_b64 s[0:1], vcc
	s_cbranch_execz .LBB6527_2
; %bb.1:
	global_load_dword v1, v14, s[20:21]
.LBB6527_2:
	s_or_b64 exec, exec, s[0:1]
	v_or_b32_e32 v2, 0x80, v0
	v_cmp_gt_u32_e64 s[0:1], s22, v2
	v_mov_b32_e32 v2, s23
	s_and_saveexec_b64 s[2:3], s[0:1]
	s_cbranch_execz .LBB6527_4
; %bb.3:
	global_load_dword v2, v14, s[20:21] offset:512
.LBB6527_4:
	s_or_b64 exec, exec, s[2:3]
	v_or_b32_e32 v3, 0x100, v0
	v_cmp_gt_u32_e64 s[2:3], s22, v3
	v_mov_b32_e32 v3, s23
	s_and_saveexec_b64 s[6:7], s[2:3]
	s_cbranch_execz .LBB6527_6
; %bb.5:
	global_load_dword v3, v14, s[20:21] offset:1024
.LBB6527_6:
	;; [unrolled: 9-line block ×7, first 2 shown]
	s_or_b64 exec, exec, s[14:15]
	v_or_b32_e32 v10, 0x400, v0
	v_cmp_gt_u32_e64 s[14:15], s22, v10
	v_mov_b32_e32 v9, s23
	s_and_saveexec_b64 s[16:17], s[14:15]
	s_cbranch_execz .LBB6527_18
; %bb.17:
	v_lshlrev_b32_e32 v9, 2, v10
	global_load_dword v9, v9, s[20:21]
.LBB6527_18:
	s_or_b64 exec, exec, s[16:17]
	s_load_dword s24, s[4:5], 0x10
	v_or_b32_e32 v11, 0x480, v0
	v_cmp_gt_u32_e64 s[16:17], s22, v11
	v_mov_b32_e32 v10, s23
	s_and_saveexec_b64 s[22:23], s[16:17]
	s_cbranch_execz .LBB6527_20
; %bb.19:
	v_lshlrev_b32_e32 v10, 2, v11
	global_load_dword v10, v10, s[20:21]
.LBB6527_20:
	s_or_b64 exec, exec, s[22:23]
	s_waitcnt vmcnt(0)
	ds_write2st64_b32 v14, v1, v2 offset1:2
	ds_write2st64_b32 v14, v3, v4 offset0:4 offset1:6
	ds_write2st64_b32 v14, v5, v6 offset0:8 offset1:10
	;; [unrolled: 1-line block ×4, first 2 shown]
	v_mad_u32_u24 v1, v0, 36, v14
	s_waitcnt lgkmcnt(0)
	s_barrier
	ds_read2_b64 v[6:9], v1 offset1:1
	ds_read2_b64 v[2:5], v1 offset0:2 offset1:3
	ds_read_b64 v[10:11], v1 offset:32
	s_load_dwordx2 s[20:21], s[4:5], 0x18
	v_cmp_gt_u32_e64 s[4:5], 64, v0
	s_waitcnt lgkmcnt(0)
	v_add_u32_e32 v1, v7, v6
	v_add3_u32 v1, v1, v8, v9
	v_add3_u32 v1, v1, v2, v3
	;; [unrolled: 1-line block ×4, first 2 shown]
	v_lshrrev_b32_e32 v11, 3, v0
	v_and_b32_e32 v11, 12, v11
	v_add_u32_e32 v11, v14, v11
	s_barrier
	ds_write_b32 v11, v1
	s_waitcnt lgkmcnt(0)
	s_barrier
	s_and_saveexec_b64 s[22:23], s[4:5]
	s_cbranch_execz .LBB6527_22
; %bb.21:
	v_lshlrev_b32_e32 v11, 1, v0
	v_lshrrev_b32_e32 v12, 4, v0
	v_add_lshl_u32 v11, v12, v11, 2
	ds_read2_b32 v[12:13], v11 offset1:1
	v_mbcnt_lo_u32_b32 v15, -1, 0
	v_mbcnt_hi_u32_b32 v15, -1, v15
	v_and_b32_e32 v16, 15, v15
	v_cmp_ne_u32_e64 s[4:5], 0, v16
	s_waitcnt lgkmcnt(0)
	v_add_u32_e32 v13, v13, v12
	; wave barrier
	s_nop 1
	v_mov_b32_dpp v17, v13 row_shr:1 row_mask:0xf bank_mask:0xf
	v_cndmask_b32_e64 v17, 0, v17, s[4:5]
	v_add_u32_e32 v13, v17, v13
	v_cmp_lt_u32_e64 s[4:5], 1, v16
	s_nop 0
	v_mov_b32_dpp v17, v13 row_shr:2 row_mask:0xf bank_mask:0xf
	v_cndmask_b32_e64 v17, 0, v17, s[4:5]
	v_add_u32_e32 v13, v13, v17
	v_cmp_lt_u32_e64 s[4:5], 3, v16
	;; [unrolled: 5-line block ×3, first 2 shown]
	s_nop 0
	v_mov_b32_dpp v17, v13 row_shr:8 row_mask:0xf bank_mask:0xf
	v_cndmask_b32_e64 v16, 0, v17, s[4:5]
	v_add_u32_e32 v13, v13, v16
	v_bfe_i32 v17, v15, 4, 1
	v_cmp_lt_u32_e64 s[4:5], 31, v15
	v_mov_b32_dpp v16, v13 row_bcast:15 row_mask:0xf bank_mask:0xf
	v_and_b32_e32 v16, v17, v16
	v_add_u32_e32 v13, v13, v16
	v_and_b32_e32 v17, 64, v15
	s_nop 0
	v_mov_b32_dpp v16, v13 row_bcast:31 row_mask:0xf bank_mask:0xf
	v_cndmask_b32_e64 v16, 0, v16, s[4:5]
	v_add_u32_e32 v13, v13, v16
	v_add_u32_e32 v16, -1, v15
	v_cmp_lt_i32_e64 s[4:5], v16, v17
	v_cndmask_b32_e64 v15, v16, v15, s[4:5]
	v_lshlrev_b32_e32 v15, 2, v15
	ds_bpermute_b32 v13, v15, v13
	v_cmp_eq_u32_e64 s[4:5], 0, v0
	s_waitcnt lgkmcnt(0)
	v_add_u32_e32 v12, v13, v12
	v_cndmask_b32_e64 v1, v12, v1, s[4:5]
	ds_write_b32 v11, v1
	; wave barrier
	ds_read_b32 v12, v11 offset:4
	s_waitcnt lgkmcnt(0)
	v_add_u32_e32 v1, v12, v1
	ds_write_b32 v11, v1 offset:4
.LBB6527_22:
	s_or_b64 exec, exec, s[22:23]
	v_mul_u32_u24_e32 v1, 36, v0
	v_cmp_ne_u32_e64 s[4:5], 0, v0
	v_mov_b32_e32 v12, s24
	s_waitcnt lgkmcnt(0)
	s_barrier
	s_and_saveexec_b64 s[22:23], s[4:5]
	s_cbranch_execz .LBB6527_24
; %bb.23:
	v_add_u32_e32 v0, -1, v0
	v_lshrrev_b32_e32 v11, 5, v0
	v_add_lshl_u32 v0, v11, v0, 2
	ds_read_b32 v0, v0
	s_waitcnt lgkmcnt(0)
	v_add_u32_e32 v12, s24, v0
.LBB6527_24:
	s_or_b64 exec, exec, s[22:23]
	v_add_u32_e32 v13, v12, v6
	v_add_u32_e32 v6, v13, v7
	;; [unrolled: 1-line block ×10, first 2 shown]
	s_barrier
	ds_write2_b64 v0, v[12:13], v[6:7] offset1:1
	ds_write2_b64 v0, v[8:9], v[2:3] offset0:2 offset1:3
	ds_write_b64 v0, v[4:5] offset:32
	s_waitcnt lgkmcnt(0)
	s_barrier
	ds_read2st64_b32 v[8:9], v14 offset0:2 offset1:4
	ds_read2st64_b32 v[6:7], v14 offset0:6 offset1:8
	;; [unrolled: 1-line block ×4, first 2 shown]
	ds_read_b32 v10, v14 offset:4608
	v_mov_b32_e32 v1, s21
	v_add_co_u32_e64 v0, s[4:5], s20, v14
	v_addc_co_u32_e64 v1, s[4:5], 0, v1, s[4:5]
	s_and_saveexec_b64 s[4:5], vcc
	s_cbranch_execnz .LBB6527_35
; %bb.25:
	s_or_b64 exec, exec, s[4:5]
	s_and_saveexec_b64 s[4:5], s[0:1]
	s_cbranch_execnz .LBB6527_36
.LBB6527_26:
	s_or_b64 exec, exec, s[4:5]
	s_and_saveexec_b64 s[0:1], s[2:3]
	s_cbranch_execnz .LBB6527_37
.LBB6527_27:
	s_or_b64 exec, exec, s[0:1]
	s_and_saveexec_b64 s[0:1], s[18:19]
	s_cbranch_execnz .LBB6527_38
.LBB6527_28:
	s_or_b64 exec, exec, s[0:1]
	s_and_saveexec_b64 s[0:1], s[6:7]
	s_cbranch_execnz .LBB6527_39
.LBB6527_29:
	s_or_b64 exec, exec, s[0:1]
	s_and_saveexec_b64 s[0:1], s[8:9]
	s_cbranch_execnz .LBB6527_40
.LBB6527_30:
	s_or_b64 exec, exec, s[0:1]
	s_and_saveexec_b64 s[0:1], s[10:11]
	s_cbranch_execnz .LBB6527_41
.LBB6527_31:
	s_or_b64 exec, exec, s[0:1]
	s_and_saveexec_b64 s[0:1], s[12:13]
	s_cbranch_execnz .LBB6527_42
.LBB6527_32:
	s_or_b64 exec, exec, s[0:1]
	s_and_saveexec_b64 s[0:1], s[14:15]
	s_cbranch_execnz .LBB6527_43
.LBB6527_33:
	s_or_b64 exec, exec, s[0:1]
	s_and_saveexec_b64 s[0:1], s[16:17]
	s_cbranch_execnz .LBB6527_44
.LBB6527_34:
	s_endpgm
.LBB6527_35:
	ds_read_b32 v11, v14
	s_waitcnt lgkmcnt(0)
	global_store_dword v[0:1], v11, off
	s_or_b64 exec, exec, s[4:5]
	s_and_saveexec_b64 s[4:5], s[0:1]
	s_cbranch_execz .LBB6527_26
.LBB6527_36:
	s_waitcnt lgkmcnt(4)
	global_store_dword v[0:1], v8, off offset:512
	s_or_b64 exec, exec, s[4:5]
	s_and_saveexec_b64 s[0:1], s[2:3]
	s_cbranch_execz .LBB6527_27
.LBB6527_37:
	s_waitcnt lgkmcnt(4)
	global_store_dword v[0:1], v9, off offset:1024
	s_or_b64 exec, exec, s[0:1]
	s_and_saveexec_b64 s[0:1], s[18:19]
	s_cbranch_execz .LBB6527_28
.LBB6527_38:
	s_waitcnt lgkmcnt(3)
	global_store_dword v[0:1], v6, off offset:1536
	s_or_b64 exec, exec, s[0:1]
	s_and_saveexec_b64 s[0:1], s[6:7]
	s_cbranch_execz .LBB6527_29
.LBB6527_39:
	s_waitcnt lgkmcnt(3)
	global_store_dword v[0:1], v7, off offset:2048
	s_or_b64 exec, exec, s[0:1]
	s_and_saveexec_b64 s[0:1], s[8:9]
	s_cbranch_execz .LBB6527_30
.LBB6527_40:
	s_waitcnt lgkmcnt(2)
	global_store_dword v[0:1], v4, off offset:2560
	s_or_b64 exec, exec, s[0:1]
	s_and_saveexec_b64 s[0:1], s[10:11]
	s_cbranch_execz .LBB6527_31
.LBB6527_41:
	s_waitcnt lgkmcnt(2)
	global_store_dword v[0:1], v5, off offset:3072
	s_or_b64 exec, exec, s[0:1]
	s_and_saveexec_b64 s[0:1], s[12:13]
	s_cbranch_execz .LBB6527_32
.LBB6527_42:
	s_waitcnt lgkmcnt(1)
	global_store_dword v[0:1], v2, off offset:3584
	s_or_b64 exec, exec, s[0:1]
	s_and_saveexec_b64 s[0:1], s[14:15]
	s_cbranch_execz .LBB6527_33
.LBB6527_43:
	s_waitcnt lgkmcnt(2)
	v_add_co_u32_e32 v4, vcc, 0x1000, v0
	v_addc_co_u32_e32 v5, vcc, 0, v1, vcc
	s_waitcnt lgkmcnt(1)
	global_store_dword v[4:5], v3, off
	s_or_b64 exec, exec, s[0:1]
	s_and_saveexec_b64 s[0:1], s[16:17]
	s_cbranch_execz .LBB6527_34
.LBB6527_44:
	v_add_co_u32_e32 v0, vcc, 0x1000, v0
	v_addc_co_u32_e32 v1, vcc, 0, v1, vcc
	s_waitcnt lgkmcnt(0)
	global_store_dword v[0:1], v10, off offset:512
	s_endpgm
	.section	.rodata,"a",@progbits
	.p2align	6, 0x0
	.amdhsa_kernel _ZN7rocprim17ROCPRIM_400000_NS6detail17trampoline_kernelINS0_14default_configENS1_20scan_config_selectorI11FixedVectorIiLj1EEEEZZNS1_9scan_implILNS1_25lookback_scan_determinismE0ELb1ELb1ES3_N6thrust23THRUST_200600_302600_NS6detail15normal_iteratorINSB_10device_ptrIS6_EEEESG_S6_NSB_4plusIvEES6_EEDaPvRmT3_T4_T5_mT6_P12ihipStream_tbENKUlT_T0_E_clISt17integral_constantIbLb0EESV_IbLb1EEEEDaSR_SS_EUlSR_E0_NS1_11comp_targetILNS1_3genE4ELNS1_11target_archE910ELNS1_3gpuE8ELNS1_3repE0EEENS1_30default_config_static_selectorELNS0_4arch9wavefront6targetE1EEEvT1_
		.amdhsa_group_segment_fixed_size 5120
		.amdhsa_private_segment_fixed_size 0
		.amdhsa_kernarg_size 32
		.amdhsa_user_sgpr_count 6
		.amdhsa_user_sgpr_private_segment_buffer 1
		.amdhsa_user_sgpr_dispatch_ptr 0
		.amdhsa_user_sgpr_queue_ptr 0
		.amdhsa_user_sgpr_kernarg_segment_ptr 1
		.amdhsa_user_sgpr_dispatch_id 0
		.amdhsa_user_sgpr_flat_scratch_init 0
		.amdhsa_user_sgpr_kernarg_preload_length 0
		.amdhsa_user_sgpr_kernarg_preload_offset 0
		.amdhsa_user_sgpr_private_segment_size 0
		.amdhsa_uses_dynamic_stack 0
		.amdhsa_system_sgpr_private_segment_wavefront_offset 0
		.amdhsa_system_sgpr_workgroup_id_x 1
		.amdhsa_system_sgpr_workgroup_id_y 0
		.amdhsa_system_sgpr_workgroup_id_z 0
		.amdhsa_system_sgpr_workgroup_info 0
		.amdhsa_system_vgpr_workitem_id 0
		.amdhsa_next_free_vgpr 18
		.amdhsa_next_free_sgpr 25
		.amdhsa_accum_offset 20
		.amdhsa_reserve_vcc 1
		.amdhsa_reserve_flat_scratch 0
		.amdhsa_float_round_mode_32 0
		.amdhsa_float_round_mode_16_64 0
		.amdhsa_float_denorm_mode_32 3
		.amdhsa_float_denorm_mode_16_64 3
		.amdhsa_dx10_clamp 1
		.amdhsa_ieee_mode 1
		.amdhsa_fp16_overflow 0
		.amdhsa_tg_split 0
		.amdhsa_exception_fp_ieee_invalid_op 0
		.amdhsa_exception_fp_denorm_src 0
		.amdhsa_exception_fp_ieee_div_zero 0
		.amdhsa_exception_fp_ieee_overflow 0
		.amdhsa_exception_fp_ieee_underflow 0
		.amdhsa_exception_fp_ieee_inexact 0
		.amdhsa_exception_int_div_zero 0
	.end_amdhsa_kernel
	.section	.text._ZN7rocprim17ROCPRIM_400000_NS6detail17trampoline_kernelINS0_14default_configENS1_20scan_config_selectorI11FixedVectorIiLj1EEEEZZNS1_9scan_implILNS1_25lookback_scan_determinismE0ELb1ELb1ES3_N6thrust23THRUST_200600_302600_NS6detail15normal_iteratorINSB_10device_ptrIS6_EEEESG_S6_NSB_4plusIvEES6_EEDaPvRmT3_T4_T5_mT6_P12ihipStream_tbENKUlT_T0_E_clISt17integral_constantIbLb0EESV_IbLb1EEEEDaSR_SS_EUlSR_E0_NS1_11comp_targetILNS1_3genE4ELNS1_11target_archE910ELNS1_3gpuE8ELNS1_3repE0EEENS1_30default_config_static_selectorELNS0_4arch9wavefront6targetE1EEEvT1_,"axG",@progbits,_ZN7rocprim17ROCPRIM_400000_NS6detail17trampoline_kernelINS0_14default_configENS1_20scan_config_selectorI11FixedVectorIiLj1EEEEZZNS1_9scan_implILNS1_25lookback_scan_determinismE0ELb1ELb1ES3_N6thrust23THRUST_200600_302600_NS6detail15normal_iteratorINSB_10device_ptrIS6_EEEESG_S6_NSB_4plusIvEES6_EEDaPvRmT3_T4_T5_mT6_P12ihipStream_tbENKUlT_T0_E_clISt17integral_constantIbLb0EESV_IbLb1EEEEDaSR_SS_EUlSR_E0_NS1_11comp_targetILNS1_3genE4ELNS1_11target_archE910ELNS1_3gpuE8ELNS1_3repE0EEENS1_30default_config_static_selectorELNS0_4arch9wavefront6targetE1EEEvT1_,comdat
.Lfunc_end6527:
	.size	_ZN7rocprim17ROCPRIM_400000_NS6detail17trampoline_kernelINS0_14default_configENS1_20scan_config_selectorI11FixedVectorIiLj1EEEEZZNS1_9scan_implILNS1_25lookback_scan_determinismE0ELb1ELb1ES3_N6thrust23THRUST_200600_302600_NS6detail15normal_iteratorINSB_10device_ptrIS6_EEEESG_S6_NSB_4plusIvEES6_EEDaPvRmT3_T4_T5_mT6_P12ihipStream_tbENKUlT_T0_E_clISt17integral_constantIbLb0EESV_IbLb1EEEEDaSR_SS_EUlSR_E0_NS1_11comp_targetILNS1_3genE4ELNS1_11target_archE910ELNS1_3gpuE8ELNS1_3repE0EEENS1_30default_config_static_selectorELNS0_4arch9wavefront6targetE1EEEvT1_, .Lfunc_end6527-_ZN7rocprim17ROCPRIM_400000_NS6detail17trampoline_kernelINS0_14default_configENS1_20scan_config_selectorI11FixedVectorIiLj1EEEEZZNS1_9scan_implILNS1_25lookback_scan_determinismE0ELb1ELb1ES3_N6thrust23THRUST_200600_302600_NS6detail15normal_iteratorINSB_10device_ptrIS6_EEEESG_S6_NSB_4plusIvEES6_EEDaPvRmT3_T4_T5_mT6_P12ihipStream_tbENKUlT_T0_E_clISt17integral_constantIbLb0EESV_IbLb1EEEEDaSR_SS_EUlSR_E0_NS1_11comp_targetILNS1_3genE4ELNS1_11target_archE910ELNS1_3gpuE8ELNS1_3repE0EEENS1_30default_config_static_selectorELNS0_4arch9wavefront6targetE1EEEvT1_
                                        ; -- End function
	.section	.AMDGPU.csdata,"",@progbits
; Kernel info:
; codeLenInByte = 1536
; NumSgprs: 29
; NumVgprs: 18
; NumAgprs: 0
; TotalNumVgprs: 18
; ScratchSize: 0
; MemoryBound: 0
; FloatMode: 240
; IeeeMode: 1
; LDSByteSize: 5120 bytes/workgroup (compile time only)
; SGPRBlocks: 3
; VGPRBlocks: 2
; NumSGPRsForWavesPerEU: 29
; NumVGPRsForWavesPerEU: 18
; AccumOffset: 20
; Occupancy: 6
; WaveLimiterHint : 0
; COMPUTE_PGM_RSRC2:SCRATCH_EN: 0
; COMPUTE_PGM_RSRC2:USER_SGPR: 6
; COMPUTE_PGM_RSRC2:TRAP_HANDLER: 0
; COMPUTE_PGM_RSRC2:TGID_X_EN: 1
; COMPUTE_PGM_RSRC2:TGID_Y_EN: 0
; COMPUTE_PGM_RSRC2:TGID_Z_EN: 0
; COMPUTE_PGM_RSRC2:TIDIG_COMP_CNT: 0
; COMPUTE_PGM_RSRC3_GFX90A:ACCUM_OFFSET: 4
; COMPUTE_PGM_RSRC3_GFX90A:TG_SPLIT: 0
	.section	.text._ZN7rocprim17ROCPRIM_400000_NS6detail17trampoline_kernelINS0_14default_configENS1_20scan_config_selectorI11FixedVectorIiLj1EEEEZZNS1_9scan_implILNS1_25lookback_scan_determinismE0ELb1ELb1ES3_N6thrust23THRUST_200600_302600_NS6detail15normal_iteratorINSB_10device_ptrIS6_EEEESG_S6_NSB_4plusIvEES6_EEDaPvRmT3_T4_T5_mT6_P12ihipStream_tbENKUlT_T0_E_clISt17integral_constantIbLb0EESV_IbLb1EEEEDaSR_SS_EUlSR_E0_NS1_11comp_targetILNS1_3genE3ELNS1_11target_archE908ELNS1_3gpuE7ELNS1_3repE0EEENS1_30default_config_static_selectorELNS0_4arch9wavefront6targetE1EEEvT1_,"axG",@progbits,_ZN7rocprim17ROCPRIM_400000_NS6detail17trampoline_kernelINS0_14default_configENS1_20scan_config_selectorI11FixedVectorIiLj1EEEEZZNS1_9scan_implILNS1_25lookback_scan_determinismE0ELb1ELb1ES3_N6thrust23THRUST_200600_302600_NS6detail15normal_iteratorINSB_10device_ptrIS6_EEEESG_S6_NSB_4plusIvEES6_EEDaPvRmT3_T4_T5_mT6_P12ihipStream_tbENKUlT_T0_E_clISt17integral_constantIbLb0EESV_IbLb1EEEEDaSR_SS_EUlSR_E0_NS1_11comp_targetILNS1_3genE3ELNS1_11target_archE908ELNS1_3gpuE7ELNS1_3repE0EEENS1_30default_config_static_selectorELNS0_4arch9wavefront6targetE1EEEvT1_,comdat
	.protected	_ZN7rocprim17ROCPRIM_400000_NS6detail17trampoline_kernelINS0_14default_configENS1_20scan_config_selectorI11FixedVectorIiLj1EEEEZZNS1_9scan_implILNS1_25lookback_scan_determinismE0ELb1ELb1ES3_N6thrust23THRUST_200600_302600_NS6detail15normal_iteratorINSB_10device_ptrIS6_EEEESG_S6_NSB_4plusIvEES6_EEDaPvRmT3_T4_T5_mT6_P12ihipStream_tbENKUlT_T0_E_clISt17integral_constantIbLb0EESV_IbLb1EEEEDaSR_SS_EUlSR_E0_NS1_11comp_targetILNS1_3genE3ELNS1_11target_archE908ELNS1_3gpuE7ELNS1_3repE0EEENS1_30default_config_static_selectorELNS0_4arch9wavefront6targetE1EEEvT1_ ; -- Begin function _ZN7rocprim17ROCPRIM_400000_NS6detail17trampoline_kernelINS0_14default_configENS1_20scan_config_selectorI11FixedVectorIiLj1EEEEZZNS1_9scan_implILNS1_25lookback_scan_determinismE0ELb1ELb1ES3_N6thrust23THRUST_200600_302600_NS6detail15normal_iteratorINSB_10device_ptrIS6_EEEESG_S6_NSB_4plusIvEES6_EEDaPvRmT3_T4_T5_mT6_P12ihipStream_tbENKUlT_T0_E_clISt17integral_constantIbLb0EESV_IbLb1EEEEDaSR_SS_EUlSR_E0_NS1_11comp_targetILNS1_3genE3ELNS1_11target_archE908ELNS1_3gpuE7ELNS1_3repE0EEENS1_30default_config_static_selectorELNS0_4arch9wavefront6targetE1EEEvT1_
	.globl	_ZN7rocprim17ROCPRIM_400000_NS6detail17trampoline_kernelINS0_14default_configENS1_20scan_config_selectorI11FixedVectorIiLj1EEEEZZNS1_9scan_implILNS1_25lookback_scan_determinismE0ELb1ELb1ES3_N6thrust23THRUST_200600_302600_NS6detail15normal_iteratorINSB_10device_ptrIS6_EEEESG_S6_NSB_4plusIvEES6_EEDaPvRmT3_T4_T5_mT6_P12ihipStream_tbENKUlT_T0_E_clISt17integral_constantIbLb0EESV_IbLb1EEEEDaSR_SS_EUlSR_E0_NS1_11comp_targetILNS1_3genE3ELNS1_11target_archE908ELNS1_3gpuE7ELNS1_3repE0EEENS1_30default_config_static_selectorELNS0_4arch9wavefront6targetE1EEEvT1_
	.p2align	8
	.type	_ZN7rocprim17ROCPRIM_400000_NS6detail17trampoline_kernelINS0_14default_configENS1_20scan_config_selectorI11FixedVectorIiLj1EEEEZZNS1_9scan_implILNS1_25lookback_scan_determinismE0ELb1ELb1ES3_N6thrust23THRUST_200600_302600_NS6detail15normal_iteratorINSB_10device_ptrIS6_EEEESG_S6_NSB_4plusIvEES6_EEDaPvRmT3_T4_T5_mT6_P12ihipStream_tbENKUlT_T0_E_clISt17integral_constantIbLb0EESV_IbLb1EEEEDaSR_SS_EUlSR_E0_NS1_11comp_targetILNS1_3genE3ELNS1_11target_archE908ELNS1_3gpuE7ELNS1_3repE0EEENS1_30default_config_static_selectorELNS0_4arch9wavefront6targetE1EEEvT1_,@function
_ZN7rocprim17ROCPRIM_400000_NS6detail17trampoline_kernelINS0_14default_configENS1_20scan_config_selectorI11FixedVectorIiLj1EEEEZZNS1_9scan_implILNS1_25lookback_scan_determinismE0ELb1ELb1ES3_N6thrust23THRUST_200600_302600_NS6detail15normal_iteratorINSB_10device_ptrIS6_EEEESG_S6_NSB_4plusIvEES6_EEDaPvRmT3_T4_T5_mT6_P12ihipStream_tbENKUlT_T0_E_clISt17integral_constantIbLb0EESV_IbLb1EEEEDaSR_SS_EUlSR_E0_NS1_11comp_targetILNS1_3genE3ELNS1_11target_archE908ELNS1_3gpuE7ELNS1_3repE0EEENS1_30default_config_static_selectorELNS0_4arch9wavefront6targetE1EEEvT1_: ; @_ZN7rocprim17ROCPRIM_400000_NS6detail17trampoline_kernelINS0_14default_configENS1_20scan_config_selectorI11FixedVectorIiLj1EEEEZZNS1_9scan_implILNS1_25lookback_scan_determinismE0ELb1ELb1ES3_N6thrust23THRUST_200600_302600_NS6detail15normal_iteratorINSB_10device_ptrIS6_EEEESG_S6_NSB_4plusIvEES6_EEDaPvRmT3_T4_T5_mT6_P12ihipStream_tbENKUlT_T0_E_clISt17integral_constantIbLb0EESV_IbLb1EEEEDaSR_SS_EUlSR_E0_NS1_11comp_targetILNS1_3genE3ELNS1_11target_archE908ELNS1_3gpuE7ELNS1_3repE0EEENS1_30default_config_static_selectorELNS0_4arch9wavefront6targetE1EEEvT1_
; %bb.0:
	.section	.rodata,"a",@progbits
	.p2align	6, 0x0
	.amdhsa_kernel _ZN7rocprim17ROCPRIM_400000_NS6detail17trampoline_kernelINS0_14default_configENS1_20scan_config_selectorI11FixedVectorIiLj1EEEEZZNS1_9scan_implILNS1_25lookback_scan_determinismE0ELb1ELb1ES3_N6thrust23THRUST_200600_302600_NS6detail15normal_iteratorINSB_10device_ptrIS6_EEEESG_S6_NSB_4plusIvEES6_EEDaPvRmT3_T4_T5_mT6_P12ihipStream_tbENKUlT_T0_E_clISt17integral_constantIbLb0EESV_IbLb1EEEEDaSR_SS_EUlSR_E0_NS1_11comp_targetILNS1_3genE3ELNS1_11target_archE908ELNS1_3gpuE7ELNS1_3repE0EEENS1_30default_config_static_selectorELNS0_4arch9wavefront6targetE1EEEvT1_
		.amdhsa_group_segment_fixed_size 0
		.amdhsa_private_segment_fixed_size 0
		.amdhsa_kernarg_size 32
		.amdhsa_user_sgpr_count 6
		.amdhsa_user_sgpr_private_segment_buffer 1
		.amdhsa_user_sgpr_dispatch_ptr 0
		.amdhsa_user_sgpr_queue_ptr 0
		.amdhsa_user_sgpr_kernarg_segment_ptr 1
		.amdhsa_user_sgpr_dispatch_id 0
		.amdhsa_user_sgpr_flat_scratch_init 0
		.amdhsa_user_sgpr_kernarg_preload_length 0
		.amdhsa_user_sgpr_kernarg_preload_offset 0
		.amdhsa_user_sgpr_private_segment_size 0
		.amdhsa_uses_dynamic_stack 0
		.amdhsa_system_sgpr_private_segment_wavefront_offset 0
		.amdhsa_system_sgpr_workgroup_id_x 1
		.amdhsa_system_sgpr_workgroup_id_y 0
		.amdhsa_system_sgpr_workgroup_id_z 0
		.amdhsa_system_sgpr_workgroup_info 0
		.amdhsa_system_vgpr_workitem_id 0
		.amdhsa_next_free_vgpr 1
		.amdhsa_next_free_sgpr 0
		.amdhsa_accum_offset 4
		.amdhsa_reserve_vcc 0
		.amdhsa_reserve_flat_scratch 0
		.amdhsa_float_round_mode_32 0
		.amdhsa_float_round_mode_16_64 0
		.amdhsa_float_denorm_mode_32 3
		.amdhsa_float_denorm_mode_16_64 3
		.amdhsa_dx10_clamp 1
		.amdhsa_ieee_mode 1
		.amdhsa_fp16_overflow 0
		.amdhsa_tg_split 0
		.amdhsa_exception_fp_ieee_invalid_op 0
		.amdhsa_exception_fp_denorm_src 0
		.amdhsa_exception_fp_ieee_div_zero 0
		.amdhsa_exception_fp_ieee_overflow 0
		.amdhsa_exception_fp_ieee_underflow 0
		.amdhsa_exception_fp_ieee_inexact 0
		.amdhsa_exception_int_div_zero 0
	.end_amdhsa_kernel
	.section	.text._ZN7rocprim17ROCPRIM_400000_NS6detail17trampoline_kernelINS0_14default_configENS1_20scan_config_selectorI11FixedVectorIiLj1EEEEZZNS1_9scan_implILNS1_25lookback_scan_determinismE0ELb1ELb1ES3_N6thrust23THRUST_200600_302600_NS6detail15normal_iteratorINSB_10device_ptrIS6_EEEESG_S6_NSB_4plusIvEES6_EEDaPvRmT3_T4_T5_mT6_P12ihipStream_tbENKUlT_T0_E_clISt17integral_constantIbLb0EESV_IbLb1EEEEDaSR_SS_EUlSR_E0_NS1_11comp_targetILNS1_3genE3ELNS1_11target_archE908ELNS1_3gpuE7ELNS1_3repE0EEENS1_30default_config_static_selectorELNS0_4arch9wavefront6targetE1EEEvT1_,"axG",@progbits,_ZN7rocprim17ROCPRIM_400000_NS6detail17trampoline_kernelINS0_14default_configENS1_20scan_config_selectorI11FixedVectorIiLj1EEEEZZNS1_9scan_implILNS1_25lookback_scan_determinismE0ELb1ELb1ES3_N6thrust23THRUST_200600_302600_NS6detail15normal_iteratorINSB_10device_ptrIS6_EEEESG_S6_NSB_4plusIvEES6_EEDaPvRmT3_T4_T5_mT6_P12ihipStream_tbENKUlT_T0_E_clISt17integral_constantIbLb0EESV_IbLb1EEEEDaSR_SS_EUlSR_E0_NS1_11comp_targetILNS1_3genE3ELNS1_11target_archE908ELNS1_3gpuE7ELNS1_3repE0EEENS1_30default_config_static_selectorELNS0_4arch9wavefront6targetE1EEEvT1_,comdat
.Lfunc_end6528:
	.size	_ZN7rocprim17ROCPRIM_400000_NS6detail17trampoline_kernelINS0_14default_configENS1_20scan_config_selectorI11FixedVectorIiLj1EEEEZZNS1_9scan_implILNS1_25lookback_scan_determinismE0ELb1ELb1ES3_N6thrust23THRUST_200600_302600_NS6detail15normal_iteratorINSB_10device_ptrIS6_EEEESG_S6_NSB_4plusIvEES6_EEDaPvRmT3_T4_T5_mT6_P12ihipStream_tbENKUlT_T0_E_clISt17integral_constantIbLb0EESV_IbLb1EEEEDaSR_SS_EUlSR_E0_NS1_11comp_targetILNS1_3genE3ELNS1_11target_archE908ELNS1_3gpuE7ELNS1_3repE0EEENS1_30default_config_static_selectorELNS0_4arch9wavefront6targetE1EEEvT1_, .Lfunc_end6528-_ZN7rocprim17ROCPRIM_400000_NS6detail17trampoline_kernelINS0_14default_configENS1_20scan_config_selectorI11FixedVectorIiLj1EEEEZZNS1_9scan_implILNS1_25lookback_scan_determinismE0ELb1ELb1ES3_N6thrust23THRUST_200600_302600_NS6detail15normal_iteratorINSB_10device_ptrIS6_EEEESG_S6_NSB_4plusIvEES6_EEDaPvRmT3_T4_T5_mT6_P12ihipStream_tbENKUlT_T0_E_clISt17integral_constantIbLb0EESV_IbLb1EEEEDaSR_SS_EUlSR_E0_NS1_11comp_targetILNS1_3genE3ELNS1_11target_archE908ELNS1_3gpuE7ELNS1_3repE0EEENS1_30default_config_static_selectorELNS0_4arch9wavefront6targetE1EEEvT1_
                                        ; -- End function
	.section	.AMDGPU.csdata,"",@progbits
; Kernel info:
; codeLenInByte = 0
; NumSgprs: 4
; NumVgprs: 0
; NumAgprs: 0
; TotalNumVgprs: 0
; ScratchSize: 0
; MemoryBound: 0
; FloatMode: 240
; IeeeMode: 1
; LDSByteSize: 0 bytes/workgroup (compile time only)
; SGPRBlocks: 0
; VGPRBlocks: 0
; NumSGPRsForWavesPerEU: 4
; NumVGPRsForWavesPerEU: 1
; AccumOffset: 4
; Occupancy: 8
; WaveLimiterHint : 0
; COMPUTE_PGM_RSRC2:SCRATCH_EN: 0
; COMPUTE_PGM_RSRC2:USER_SGPR: 6
; COMPUTE_PGM_RSRC2:TRAP_HANDLER: 0
; COMPUTE_PGM_RSRC2:TGID_X_EN: 1
; COMPUTE_PGM_RSRC2:TGID_Y_EN: 0
; COMPUTE_PGM_RSRC2:TGID_Z_EN: 0
; COMPUTE_PGM_RSRC2:TIDIG_COMP_CNT: 0
; COMPUTE_PGM_RSRC3_GFX90A:ACCUM_OFFSET: 0
; COMPUTE_PGM_RSRC3_GFX90A:TG_SPLIT: 0
	.section	.text._ZN7rocprim17ROCPRIM_400000_NS6detail17trampoline_kernelINS0_14default_configENS1_20scan_config_selectorI11FixedVectorIiLj1EEEEZZNS1_9scan_implILNS1_25lookback_scan_determinismE0ELb1ELb1ES3_N6thrust23THRUST_200600_302600_NS6detail15normal_iteratorINSB_10device_ptrIS6_EEEESG_S6_NSB_4plusIvEES6_EEDaPvRmT3_T4_T5_mT6_P12ihipStream_tbENKUlT_T0_E_clISt17integral_constantIbLb0EESV_IbLb1EEEEDaSR_SS_EUlSR_E0_NS1_11comp_targetILNS1_3genE2ELNS1_11target_archE906ELNS1_3gpuE6ELNS1_3repE0EEENS1_30default_config_static_selectorELNS0_4arch9wavefront6targetE1EEEvT1_,"axG",@progbits,_ZN7rocprim17ROCPRIM_400000_NS6detail17trampoline_kernelINS0_14default_configENS1_20scan_config_selectorI11FixedVectorIiLj1EEEEZZNS1_9scan_implILNS1_25lookback_scan_determinismE0ELb1ELb1ES3_N6thrust23THRUST_200600_302600_NS6detail15normal_iteratorINSB_10device_ptrIS6_EEEESG_S6_NSB_4plusIvEES6_EEDaPvRmT3_T4_T5_mT6_P12ihipStream_tbENKUlT_T0_E_clISt17integral_constantIbLb0EESV_IbLb1EEEEDaSR_SS_EUlSR_E0_NS1_11comp_targetILNS1_3genE2ELNS1_11target_archE906ELNS1_3gpuE6ELNS1_3repE0EEENS1_30default_config_static_selectorELNS0_4arch9wavefront6targetE1EEEvT1_,comdat
	.protected	_ZN7rocprim17ROCPRIM_400000_NS6detail17trampoline_kernelINS0_14default_configENS1_20scan_config_selectorI11FixedVectorIiLj1EEEEZZNS1_9scan_implILNS1_25lookback_scan_determinismE0ELb1ELb1ES3_N6thrust23THRUST_200600_302600_NS6detail15normal_iteratorINSB_10device_ptrIS6_EEEESG_S6_NSB_4plusIvEES6_EEDaPvRmT3_T4_T5_mT6_P12ihipStream_tbENKUlT_T0_E_clISt17integral_constantIbLb0EESV_IbLb1EEEEDaSR_SS_EUlSR_E0_NS1_11comp_targetILNS1_3genE2ELNS1_11target_archE906ELNS1_3gpuE6ELNS1_3repE0EEENS1_30default_config_static_selectorELNS0_4arch9wavefront6targetE1EEEvT1_ ; -- Begin function _ZN7rocprim17ROCPRIM_400000_NS6detail17trampoline_kernelINS0_14default_configENS1_20scan_config_selectorI11FixedVectorIiLj1EEEEZZNS1_9scan_implILNS1_25lookback_scan_determinismE0ELb1ELb1ES3_N6thrust23THRUST_200600_302600_NS6detail15normal_iteratorINSB_10device_ptrIS6_EEEESG_S6_NSB_4plusIvEES6_EEDaPvRmT3_T4_T5_mT6_P12ihipStream_tbENKUlT_T0_E_clISt17integral_constantIbLb0EESV_IbLb1EEEEDaSR_SS_EUlSR_E0_NS1_11comp_targetILNS1_3genE2ELNS1_11target_archE906ELNS1_3gpuE6ELNS1_3repE0EEENS1_30default_config_static_selectorELNS0_4arch9wavefront6targetE1EEEvT1_
	.globl	_ZN7rocprim17ROCPRIM_400000_NS6detail17trampoline_kernelINS0_14default_configENS1_20scan_config_selectorI11FixedVectorIiLj1EEEEZZNS1_9scan_implILNS1_25lookback_scan_determinismE0ELb1ELb1ES3_N6thrust23THRUST_200600_302600_NS6detail15normal_iteratorINSB_10device_ptrIS6_EEEESG_S6_NSB_4plusIvEES6_EEDaPvRmT3_T4_T5_mT6_P12ihipStream_tbENKUlT_T0_E_clISt17integral_constantIbLb0EESV_IbLb1EEEEDaSR_SS_EUlSR_E0_NS1_11comp_targetILNS1_3genE2ELNS1_11target_archE906ELNS1_3gpuE6ELNS1_3repE0EEENS1_30default_config_static_selectorELNS0_4arch9wavefront6targetE1EEEvT1_
	.p2align	8
	.type	_ZN7rocprim17ROCPRIM_400000_NS6detail17trampoline_kernelINS0_14default_configENS1_20scan_config_selectorI11FixedVectorIiLj1EEEEZZNS1_9scan_implILNS1_25lookback_scan_determinismE0ELb1ELb1ES3_N6thrust23THRUST_200600_302600_NS6detail15normal_iteratorINSB_10device_ptrIS6_EEEESG_S6_NSB_4plusIvEES6_EEDaPvRmT3_T4_T5_mT6_P12ihipStream_tbENKUlT_T0_E_clISt17integral_constantIbLb0EESV_IbLb1EEEEDaSR_SS_EUlSR_E0_NS1_11comp_targetILNS1_3genE2ELNS1_11target_archE906ELNS1_3gpuE6ELNS1_3repE0EEENS1_30default_config_static_selectorELNS0_4arch9wavefront6targetE1EEEvT1_,@function
_ZN7rocprim17ROCPRIM_400000_NS6detail17trampoline_kernelINS0_14default_configENS1_20scan_config_selectorI11FixedVectorIiLj1EEEEZZNS1_9scan_implILNS1_25lookback_scan_determinismE0ELb1ELb1ES3_N6thrust23THRUST_200600_302600_NS6detail15normal_iteratorINSB_10device_ptrIS6_EEEESG_S6_NSB_4plusIvEES6_EEDaPvRmT3_T4_T5_mT6_P12ihipStream_tbENKUlT_T0_E_clISt17integral_constantIbLb0EESV_IbLb1EEEEDaSR_SS_EUlSR_E0_NS1_11comp_targetILNS1_3genE2ELNS1_11target_archE906ELNS1_3gpuE6ELNS1_3repE0EEENS1_30default_config_static_selectorELNS0_4arch9wavefront6targetE1EEEvT1_: ; @_ZN7rocprim17ROCPRIM_400000_NS6detail17trampoline_kernelINS0_14default_configENS1_20scan_config_selectorI11FixedVectorIiLj1EEEEZZNS1_9scan_implILNS1_25lookback_scan_determinismE0ELb1ELb1ES3_N6thrust23THRUST_200600_302600_NS6detail15normal_iteratorINSB_10device_ptrIS6_EEEESG_S6_NSB_4plusIvEES6_EEDaPvRmT3_T4_T5_mT6_P12ihipStream_tbENKUlT_T0_E_clISt17integral_constantIbLb0EESV_IbLb1EEEEDaSR_SS_EUlSR_E0_NS1_11comp_targetILNS1_3genE2ELNS1_11target_archE906ELNS1_3gpuE6ELNS1_3repE0EEENS1_30default_config_static_selectorELNS0_4arch9wavefront6targetE1EEEvT1_
; %bb.0:
	.section	.rodata,"a",@progbits
	.p2align	6, 0x0
	.amdhsa_kernel _ZN7rocprim17ROCPRIM_400000_NS6detail17trampoline_kernelINS0_14default_configENS1_20scan_config_selectorI11FixedVectorIiLj1EEEEZZNS1_9scan_implILNS1_25lookback_scan_determinismE0ELb1ELb1ES3_N6thrust23THRUST_200600_302600_NS6detail15normal_iteratorINSB_10device_ptrIS6_EEEESG_S6_NSB_4plusIvEES6_EEDaPvRmT3_T4_T5_mT6_P12ihipStream_tbENKUlT_T0_E_clISt17integral_constantIbLb0EESV_IbLb1EEEEDaSR_SS_EUlSR_E0_NS1_11comp_targetILNS1_3genE2ELNS1_11target_archE906ELNS1_3gpuE6ELNS1_3repE0EEENS1_30default_config_static_selectorELNS0_4arch9wavefront6targetE1EEEvT1_
		.amdhsa_group_segment_fixed_size 0
		.amdhsa_private_segment_fixed_size 0
		.amdhsa_kernarg_size 32
		.amdhsa_user_sgpr_count 6
		.amdhsa_user_sgpr_private_segment_buffer 1
		.amdhsa_user_sgpr_dispatch_ptr 0
		.amdhsa_user_sgpr_queue_ptr 0
		.amdhsa_user_sgpr_kernarg_segment_ptr 1
		.amdhsa_user_sgpr_dispatch_id 0
		.amdhsa_user_sgpr_flat_scratch_init 0
		.amdhsa_user_sgpr_kernarg_preload_length 0
		.amdhsa_user_sgpr_kernarg_preload_offset 0
		.amdhsa_user_sgpr_private_segment_size 0
		.amdhsa_uses_dynamic_stack 0
		.amdhsa_system_sgpr_private_segment_wavefront_offset 0
		.amdhsa_system_sgpr_workgroup_id_x 1
		.amdhsa_system_sgpr_workgroup_id_y 0
		.amdhsa_system_sgpr_workgroup_id_z 0
		.amdhsa_system_sgpr_workgroup_info 0
		.amdhsa_system_vgpr_workitem_id 0
		.amdhsa_next_free_vgpr 1
		.amdhsa_next_free_sgpr 0
		.amdhsa_accum_offset 4
		.amdhsa_reserve_vcc 0
		.amdhsa_reserve_flat_scratch 0
		.amdhsa_float_round_mode_32 0
		.amdhsa_float_round_mode_16_64 0
		.amdhsa_float_denorm_mode_32 3
		.amdhsa_float_denorm_mode_16_64 3
		.amdhsa_dx10_clamp 1
		.amdhsa_ieee_mode 1
		.amdhsa_fp16_overflow 0
		.amdhsa_tg_split 0
		.amdhsa_exception_fp_ieee_invalid_op 0
		.amdhsa_exception_fp_denorm_src 0
		.amdhsa_exception_fp_ieee_div_zero 0
		.amdhsa_exception_fp_ieee_overflow 0
		.amdhsa_exception_fp_ieee_underflow 0
		.amdhsa_exception_fp_ieee_inexact 0
		.amdhsa_exception_int_div_zero 0
	.end_amdhsa_kernel
	.section	.text._ZN7rocprim17ROCPRIM_400000_NS6detail17trampoline_kernelINS0_14default_configENS1_20scan_config_selectorI11FixedVectorIiLj1EEEEZZNS1_9scan_implILNS1_25lookback_scan_determinismE0ELb1ELb1ES3_N6thrust23THRUST_200600_302600_NS6detail15normal_iteratorINSB_10device_ptrIS6_EEEESG_S6_NSB_4plusIvEES6_EEDaPvRmT3_T4_T5_mT6_P12ihipStream_tbENKUlT_T0_E_clISt17integral_constantIbLb0EESV_IbLb1EEEEDaSR_SS_EUlSR_E0_NS1_11comp_targetILNS1_3genE2ELNS1_11target_archE906ELNS1_3gpuE6ELNS1_3repE0EEENS1_30default_config_static_selectorELNS0_4arch9wavefront6targetE1EEEvT1_,"axG",@progbits,_ZN7rocprim17ROCPRIM_400000_NS6detail17trampoline_kernelINS0_14default_configENS1_20scan_config_selectorI11FixedVectorIiLj1EEEEZZNS1_9scan_implILNS1_25lookback_scan_determinismE0ELb1ELb1ES3_N6thrust23THRUST_200600_302600_NS6detail15normal_iteratorINSB_10device_ptrIS6_EEEESG_S6_NSB_4plusIvEES6_EEDaPvRmT3_T4_T5_mT6_P12ihipStream_tbENKUlT_T0_E_clISt17integral_constantIbLb0EESV_IbLb1EEEEDaSR_SS_EUlSR_E0_NS1_11comp_targetILNS1_3genE2ELNS1_11target_archE906ELNS1_3gpuE6ELNS1_3repE0EEENS1_30default_config_static_selectorELNS0_4arch9wavefront6targetE1EEEvT1_,comdat
.Lfunc_end6529:
	.size	_ZN7rocprim17ROCPRIM_400000_NS6detail17trampoline_kernelINS0_14default_configENS1_20scan_config_selectorI11FixedVectorIiLj1EEEEZZNS1_9scan_implILNS1_25lookback_scan_determinismE0ELb1ELb1ES3_N6thrust23THRUST_200600_302600_NS6detail15normal_iteratorINSB_10device_ptrIS6_EEEESG_S6_NSB_4plusIvEES6_EEDaPvRmT3_T4_T5_mT6_P12ihipStream_tbENKUlT_T0_E_clISt17integral_constantIbLb0EESV_IbLb1EEEEDaSR_SS_EUlSR_E0_NS1_11comp_targetILNS1_3genE2ELNS1_11target_archE906ELNS1_3gpuE6ELNS1_3repE0EEENS1_30default_config_static_selectorELNS0_4arch9wavefront6targetE1EEEvT1_, .Lfunc_end6529-_ZN7rocprim17ROCPRIM_400000_NS6detail17trampoline_kernelINS0_14default_configENS1_20scan_config_selectorI11FixedVectorIiLj1EEEEZZNS1_9scan_implILNS1_25lookback_scan_determinismE0ELb1ELb1ES3_N6thrust23THRUST_200600_302600_NS6detail15normal_iteratorINSB_10device_ptrIS6_EEEESG_S6_NSB_4plusIvEES6_EEDaPvRmT3_T4_T5_mT6_P12ihipStream_tbENKUlT_T0_E_clISt17integral_constantIbLb0EESV_IbLb1EEEEDaSR_SS_EUlSR_E0_NS1_11comp_targetILNS1_3genE2ELNS1_11target_archE906ELNS1_3gpuE6ELNS1_3repE0EEENS1_30default_config_static_selectorELNS0_4arch9wavefront6targetE1EEEvT1_
                                        ; -- End function
	.section	.AMDGPU.csdata,"",@progbits
; Kernel info:
; codeLenInByte = 0
; NumSgprs: 4
; NumVgprs: 0
; NumAgprs: 0
; TotalNumVgprs: 0
; ScratchSize: 0
; MemoryBound: 0
; FloatMode: 240
; IeeeMode: 1
; LDSByteSize: 0 bytes/workgroup (compile time only)
; SGPRBlocks: 0
; VGPRBlocks: 0
; NumSGPRsForWavesPerEU: 4
; NumVGPRsForWavesPerEU: 1
; AccumOffset: 4
; Occupancy: 8
; WaveLimiterHint : 0
; COMPUTE_PGM_RSRC2:SCRATCH_EN: 0
; COMPUTE_PGM_RSRC2:USER_SGPR: 6
; COMPUTE_PGM_RSRC2:TRAP_HANDLER: 0
; COMPUTE_PGM_RSRC2:TGID_X_EN: 1
; COMPUTE_PGM_RSRC2:TGID_Y_EN: 0
; COMPUTE_PGM_RSRC2:TGID_Z_EN: 0
; COMPUTE_PGM_RSRC2:TIDIG_COMP_CNT: 0
; COMPUTE_PGM_RSRC3_GFX90A:ACCUM_OFFSET: 0
; COMPUTE_PGM_RSRC3_GFX90A:TG_SPLIT: 0
	.section	.text._ZN7rocprim17ROCPRIM_400000_NS6detail17trampoline_kernelINS0_14default_configENS1_20scan_config_selectorI11FixedVectorIiLj1EEEEZZNS1_9scan_implILNS1_25lookback_scan_determinismE0ELb1ELb1ES3_N6thrust23THRUST_200600_302600_NS6detail15normal_iteratorINSB_10device_ptrIS6_EEEESG_S6_NSB_4plusIvEES6_EEDaPvRmT3_T4_T5_mT6_P12ihipStream_tbENKUlT_T0_E_clISt17integral_constantIbLb0EESV_IbLb1EEEEDaSR_SS_EUlSR_E0_NS1_11comp_targetILNS1_3genE10ELNS1_11target_archE1201ELNS1_3gpuE5ELNS1_3repE0EEENS1_30default_config_static_selectorELNS0_4arch9wavefront6targetE1EEEvT1_,"axG",@progbits,_ZN7rocprim17ROCPRIM_400000_NS6detail17trampoline_kernelINS0_14default_configENS1_20scan_config_selectorI11FixedVectorIiLj1EEEEZZNS1_9scan_implILNS1_25lookback_scan_determinismE0ELb1ELb1ES3_N6thrust23THRUST_200600_302600_NS6detail15normal_iteratorINSB_10device_ptrIS6_EEEESG_S6_NSB_4plusIvEES6_EEDaPvRmT3_T4_T5_mT6_P12ihipStream_tbENKUlT_T0_E_clISt17integral_constantIbLb0EESV_IbLb1EEEEDaSR_SS_EUlSR_E0_NS1_11comp_targetILNS1_3genE10ELNS1_11target_archE1201ELNS1_3gpuE5ELNS1_3repE0EEENS1_30default_config_static_selectorELNS0_4arch9wavefront6targetE1EEEvT1_,comdat
	.protected	_ZN7rocprim17ROCPRIM_400000_NS6detail17trampoline_kernelINS0_14default_configENS1_20scan_config_selectorI11FixedVectorIiLj1EEEEZZNS1_9scan_implILNS1_25lookback_scan_determinismE0ELb1ELb1ES3_N6thrust23THRUST_200600_302600_NS6detail15normal_iteratorINSB_10device_ptrIS6_EEEESG_S6_NSB_4plusIvEES6_EEDaPvRmT3_T4_T5_mT6_P12ihipStream_tbENKUlT_T0_E_clISt17integral_constantIbLb0EESV_IbLb1EEEEDaSR_SS_EUlSR_E0_NS1_11comp_targetILNS1_3genE10ELNS1_11target_archE1201ELNS1_3gpuE5ELNS1_3repE0EEENS1_30default_config_static_selectorELNS0_4arch9wavefront6targetE1EEEvT1_ ; -- Begin function _ZN7rocprim17ROCPRIM_400000_NS6detail17trampoline_kernelINS0_14default_configENS1_20scan_config_selectorI11FixedVectorIiLj1EEEEZZNS1_9scan_implILNS1_25lookback_scan_determinismE0ELb1ELb1ES3_N6thrust23THRUST_200600_302600_NS6detail15normal_iteratorINSB_10device_ptrIS6_EEEESG_S6_NSB_4plusIvEES6_EEDaPvRmT3_T4_T5_mT6_P12ihipStream_tbENKUlT_T0_E_clISt17integral_constantIbLb0EESV_IbLb1EEEEDaSR_SS_EUlSR_E0_NS1_11comp_targetILNS1_3genE10ELNS1_11target_archE1201ELNS1_3gpuE5ELNS1_3repE0EEENS1_30default_config_static_selectorELNS0_4arch9wavefront6targetE1EEEvT1_
	.globl	_ZN7rocprim17ROCPRIM_400000_NS6detail17trampoline_kernelINS0_14default_configENS1_20scan_config_selectorI11FixedVectorIiLj1EEEEZZNS1_9scan_implILNS1_25lookback_scan_determinismE0ELb1ELb1ES3_N6thrust23THRUST_200600_302600_NS6detail15normal_iteratorINSB_10device_ptrIS6_EEEESG_S6_NSB_4plusIvEES6_EEDaPvRmT3_T4_T5_mT6_P12ihipStream_tbENKUlT_T0_E_clISt17integral_constantIbLb0EESV_IbLb1EEEEDaSR_SS_EUlSR_E0_NS1_11comp_targetILNS1_3genE10ELNS1_11target_archE1201ELNS1_3gpuE5ELNS1_3repE0EEENS1_30default_config_static_selectorELNS0_4arch9wavefront6targetE1EEEvT1_
	.p2align	8
	.type	_ZN7rocprim17ROCPRIM_400000_NS6detail17trampoline_kernelINS0_14default_configENS1_20scan_config_selectorI11FixedVectorIiLj1EEEEZZNS1_9scan_implILNS1_25lookback_scan_determinismE0ELb1ELb1ES3_N6thrust23THRUST_200600_302600_NS6detail15normal_iteratorINSB_10device_ptrIS6_EEEESG_S6_NSB_4plusIvEES6_EEDaPvRmT3_T4_T5_mT6_P12ihipStream_tbENKUlT_T0_E_clISt17integral_constantIbLb0EESV_IbLb1EEEEDaSR_SS_EUlSR_E0_NS1_11comp_targetILNS1_3genE10ELNS1_11target_archE1201ELNS1_3gpuE5ELNS1_3repE0EEENS1_30default_config_static_selectorELNS0_4arch9wavefront6targetE1EEEvT1_,@function
_ZN7rocprim17ROCPRIM_400000_NS6detail17trampoline_kernelINS0_14default_configENS1_20scan_config_selectorI11FixedVectorIiLj1EEEEZZNS1_9scan_implILNS1_25lookback_scan_determinismE0ELb1ELb1ES3_N6thrust23THRUST_200600_302600_NS6detail15normal_iteratorINSB_10device_ptrIS6_EEEESG_S6_NSB_4plusIvEES6_EEDaPvRmT3_T4_T5_mT6_P12ihipStream_tbENKUlT_T0_E_clISt17integral_constantIbLb0EESV_IbLb1EEEEDaSR_SS_EUlSR_E0_NS1_11comp_targetILNS1_3genE10ELNS1_11target_archE1201ELNS1_3gpuE5ELNS1_3repE0EEENS1_30default_config_static_selectorELNS0_4arch9wavefront6targetE1EEEvT1_: ; @_ZN7rocprim17ROCPRIM_400000_NS6detail17trampoline_kernelINS0_14default_configENS1_20scan_config_selectorI11FixedVectorIiLj1EEEEZZNS1_9scan_implILNS1_25lookback_scan_determinismE0ELb1ELb1ES3_N6thrust23THRUST_200600_302600_NS6detail15normal_iteratorINSB_10device_ptrIS6_EEEESG_S6_NSB_4plusIvEES6_EEDaPvRmT3_T4_T5_mT6_P12ihipStream_tbENKUlT_T0_E_clISt17integral_constantIbLb0EESV_IbLb1EEEEDaSR_SS_EUlSR_E0_NS1_11comp_targetILNS1_3genE10ELNS1_11target_archE1201ELNS1_3gpuE5ELNS1_3repE0EEENS1_30default_config_static_selectorELNS0_4arch9wavefront6targetE1EEEvT1_
; %bb.0:
	.section	.rodata,"a",@progbits
	.p2align	6, 0x0
	.amdhsa_kernel _ZN7rocprim17ROCPRIM_400000_NS6detail17trampoline_kernelINS0_14default_configENS1_20scan_config_selectorI11FixedVectorIiLj1EEEEZZNS1_9scan_implILNS1_25lookback_scan_determinismE0ELb1ELb1ES3_N6thrust23THRUST_200600_302600_NS6detail15normal_iteratorINSB_10device_ptrIS6_EEEESG_S6_NSB_4plusIvEES6_EEDaPvRmT3_T4_T5_mT6_P12ihipStream_tbENKUlT_T0_E_clISt17integral_constantIbLb0EESV_IbLb1EEEEDaSR_SS_EUlSR_E0_NS1_11comp_targetILNS1_3genE10ELNS1_11target_archE1201ELNS1_3gpuE5ELNS1_3repE0EEENS1_30default_config_static_selectorELNS0_4arch9wavefront6targetE1EEEvT1_
		.amdhsa_group_segment_fixed_size 0
		.amdhsa_private_segment_fixed_size 0
		.amdhsa_kernarg_size 32
		.amdhsa_user_sgpr_count 6
		.amdhsa_user_sgpr_private_segment_buffer 1
		.amdhsa_user_sgpr_dispatch_ptr 0
		.amdhsa_user_sgpr_queue_ptr 0
		.amdhsa_user_sgpr_kernarg_segment_ptr 1
		.amdhsa_user_sgpr_dispatch_id 0
		.amdhsa_user_sgpr_flat_scratch_init 0
		.amdhsa_user_sgpr_kernarg_preload_length 0
		.amdhsa_user_sgpr_kernarg_preload_offset 0
		.amdhsa_user_sgpr_private_segment_size 0
		.amdhsa_uses_dynamic_stack 0
		.amdhsa_system_sgpr_private_segment_wavefront_offset 0
		.amdhsa_system_sgpr_workgroup_id_x 1
		.amdhsa_system_sgpr_workgroup_id_y 0
		.amdhsa_system_sgpr_workgroup_id_z 0
		.amdhsa_system_sgpr_workgroup_info 0
		.amdhsa_system_vgpr_workitem_id 0
		.amdhsa_next_free_vgpr 1
		.amdhsa_next_free_sgpr 0
		.amdhsa_accum_offset 4
		.amdhsa_reserve_vcc 0
		.amdhsa_reserve_flat_scratch 0
		.amdhsa_float_round_mode_32 0
		.amdhsa_float_round_mode_16_64 0
		.amdhsa_float_denorm_mode_32 3
		.amdhsa_float_denorm_mode_16_64 3
		.amdhsa_dx10_clamp 1
		.amdhsa_ieee_mode 1
		.amdhsa_fp16_overflow 0
		.amdhsa_tg_split 0
		.amdhsa_exception_fp_ieee_invalid_op 0
		.amdhsa_exception_fp_denorm_src 0
		.amdhsa_exception_fp_ieee_div_zero 0
		.amdhsa_exception_fp_ieee_overflow 0
		.amdhsa_exception_fp_ieee_underflow 0
		.amdhsa_exception_fp_ieee_inexact 0
		.amdhsa_exception_int_div_zero 0
	.end_amdhsa_kernel
	.section	.text._ZN7rocprim17ROCPRIM_400000_NS6detail17trampoline_kernelINS0_14default_configENS1_20scan_config_selectorI11FixedVectorIiLj1EEEEZZNS1_9scan_implILNS1_25lookback_scan_determinismE0ELb1ELb1ES3_N6thrust23THRUST_200600_302600_NS6detail15normal_iteratorINSB_10device_ptrIS6_EEEESG_S6_NSB_4plusIvEES6_EEDaPvRmT3_T4_T5_mT6_P12ihipStream_tbENKUlT_T0_E_clISt17integral_constantIbLb0EESV_IbLb1EEEEDaSR_SS_EUlSR_E0_NS1_11comp_targetILNS1_3genE10ELNS1_11target_archE1201ELNS1_3gpuE5ELNS1_3repE0EEENS1_30default_config_static_selectorELNS0_4arch9wavefront6targetE1EEEvT1_,"axG",@progbits,_ZN7rocprim17ROCPRIM_400000_NS6detail17trampoline_kernelINS0_14default_configENS1_20scan_config_selectorI11FixedVectorIiLj1EEEEZZNS1_9scan_implILNS1_25lookback_scan_determinismE0ELb1ELb1ES3_N6thrust23THRUST_200600_302600_NS6detail15normal_iteratorINSB_10device_ptrIS6_EEEESG_S6_NSB_4plusIvEES6_EEDaPvRmT3_T4_T5_mT6_P12ihipStream_tbENKUlT_T0_E_clISt17integral_constantIbLb0EESV_IbLb1EEEEDaSR_SS_EUlSR_E0_NS1_11comp_targetILNS1_3genE10ELNS1_11target_archE1201ELNS1_3gpuE5ELNS1_3repE0EEENS1_30default_config_static_selectorELNS0_4arch9wavefront6targetE1EEEvT1_,comdat
.Lfunc_end6530:
	.size	_ZN7rocprim17ROCPRIM_400000_NS6detail17trampoline_kernelINS0_14default_configENS1_20scan_config_selectorI11FixedVectorIiLj1EEEEZZNS1_9scan_implILNS1_25lookback_scan_determinismE0ELb1ELb1ES3_N6thrust23THRUST_200600_302600_NS6detail15normal_iteratorINSB_10device_ptrIS6_EEEESG_S6_NSB_4plusIvEES6_EEDaPvRmT3_T4_T5_mT6_P12ihipStream_tbENKUlT_T0_E_clISt17integral_constantIbLb0EESV_IbLb1EEEEDaSR_SS_EUlSR_E0_NS1_11comp_targetILNS1_3genE10ELNS1_11target_archE1201ELNS1_3gpuE5ELNS1_3repE0EEENS1_30default_config_static_selectorELNS0_4arch9wavefront6targetE1EEEvT1_, .Lfunc_end6530-_ZN7rocprim17ROCPRIM_400000_NS6detail17trampoline_kernelINS0_14default_configENS1_20scan_config_selectorI11FixedVectorIiLj1EEEEZZNS1_9scan_implILNS1_25lookback_scan_determinismE0ELb1ELb1ES3_N6thrust23THRUST_200600_302600_NS6detail15normal_iteratorINSB_10device_ptrIS6_EEEESG_S6_NSB_4plusIvEES6_EEDaPvRmT3_T4_T5_mT6_P12ihipStream_tbENKUlT_T0_E_clISt17integral_constantIbLb0EESV_IbLb1EEEEDaSR_SS_EUlSR_E0_NS1_11comp_targetILNS1_3genE10ELNS1_11target_archE1201ELNS1_3gpuE5ELNS1_3repE0EEENS1_30default_config_static_selectorELNS0_4arch9wavefront6targetE1EEEvT1_
                                        ; -- End function
	.section	.AMDGPU.csdata,"",@progbits
; Kernel info:
; codeLenInByte = 0
; NumSgprs: 4
; NumVgprs: 0
; NumAgprs: 0
; TotalNumVgprs: 0
; ScratchSize: 0
; MemoryBound: 0
; FloatMode: 240
; IeeeMode: 1
; LDSByteSize: 0 bytes/workgroup (compile time only)
; SGPRBlocks: 0
; VGPRBlocks: 0
; NumSGPRsForWavesPerEU: 4
; NumVGPRsForWavesPerEU: 1
; AccumOffset: 4
; Occupancy: 8
; WaveLimiterHint : 0
; COMPUTE_PGM_RSRC2:SCRATCH_EN: 0
; COMPUTE_PGM_RSRC2:USER_SGPR: 6
; COMPUTE_PGM_RSRC2:TRAP_HANDLER: 0
; COMPUTE_PGM_RSRC2:TGID_X_EN: 1
; COMPUTE_PGM_RSRC2:TGID_Y_EN: 0
; COMPUTE_PGM_RSRC2:TGID_Z_EN: 0
; COMPUTE_PGM_RSRC2:TIDIG_COMP_CNT: 0
; COMPUTE_PGM_RSRC3_GFX90A:ACCUM_OFFSET: 0
; COMPUTE_PGM_RSRC3_GFX90A:TG_SPLIT: 0
	.section	.text._ZN7rocprim17ROCPRIM_400000_NS6detail17trampoline_kernelINS0_14default_configENS1_20scan_config_selectorI11FixedVectorIiLj1EEEEZZNS1_9scan_implILNS1_25lookback_scan_determinismE0ELb1ELb1ES3_N6thrust23THRUST_200600_302600_NS6detail15normal_iteratorINSB_10device_ptrIS6_EEEESG_S6_NSB_4plusIvEES6_EEDaPvRmT3_T4_T5_mT6_P12ihipStream_tbENKUlT_T0_E_clISt17integral_constantIbLb0EESV_IbLb1EEEEDaSR_SS_EUlSR_E0_NS1_11comp_targetILNS1_3genE10ELNS1_11target_archE1200ELNS1_3gpuE4ELNS1_3repE0EEENS1_30default_config_static_selectorELNS0_4arch9wavefront6targetE1EEEvT1_,"axG",@progbits,_ZN7rocprim17ROCPRIM_400000_NS6detail17trampoline_kernelINS0_14default_configENS1_20scan_config_selectorI11FixedVectorIiLj1EEEEZZNS1_9scan_implILNS1_25lookback_scan_determinismE0ELb1ELb1ES3_N6thrust23THRUST_200600_302600_NS6detail15normal_iteratorINSB_10device_ptrIS6_EEEESG_S6_NSB_4plusIvEES6_EEDaPvRmT3_T4_T5_mT6_P12ihipStream_tbENKUlT_T0_E_clISt17integral_constantIbLb0EESV_IbLb1EEEEDaSR_SS_EUlSR_E0_NS1_11comp_targetILNS1_3genE10ELNS1_11target_archE1200ELNS1_3gpuE4ELNS1_3repE0EEENS1_30default_config_static_selectorELNS0_4arch9wavefront6targetE1EEEvT1_,comdat
	.protected	_ZN7rocprim17ROCPRIM_400000_NS6detail17trampoline_kernelINS0_14default_configENS1_20scan_config_selectorI11FixedVectorIiLj1EEEEZZNS1_9scan_implILNS1_25lookback_scan_determinismE0ELb1ELb1ES3_N6thrust23THRUST_200600_302600_NS6detail15normal_iteratorINSB_10device_ptrIS6_EEEESG_S6_NSB_4plusIvEES6_EEDaPvRmT3_T4_T5_mT6_P12ihipStream_tbENKUlT_T0_E_clISt17integral_constantIbLb0EESV_IbLb1EEEEDaSR_SS_EUlSR_E0_NS1_11comp_targetILNS1_3genE10ELNS1_11target_archE1200ELNS1_3gpuE4ELNS1_3repE0EEENS1_30default_config_static_selectorELNS0_4arch9wavefront6targetE1EEEvT1_ ; -- Begin function _ZN7rocprim17ROCPRIM_400000_NS6detail17trampoline_kernelINS0_14default_configENS1_20scan_config_selectorI11FixedVectorIiLj1EEEEZZNS1_9scan_implILNS1_25lookback_scan_determinismE0ELb1ELb1ES3_N6thrust23THRUST_200600_302600_NS6detail15normal_iteratorINSB_10device_ptrIS6_EEEESG_S6_NSB_4plusIvEES6_EEDaPvRmT3_T4_T5_mT6_P12ihipStream_tbENKUlT_T0_E_clISt17integral_constantIbLb0EESV_IbLb1EEEEDaSR_SS_EUlSR_E0_NS1_11comp_targetILNS1_3genE10ELNS1_11target_archE1200ELNS1_3gpuE4ELNS1_3repE0EEENS1_30default_config_static_selectorELNS0_4arch9wavefront6targetE1EEEvT1_
	.globl	_ZN7rocprim17ROCPRIM_400000_NS6detail17trampoline_kernelINS0_14default_configENS1_20scan_config_selectorI11FixedVectorIiLj1EEEEZZNS1_9scan_implILNS1_25lookback_scan_determinismE0ELb1ELb1ES3_N6thrust23THRUST_200600_302600_NS6detail15normal_iteratorINSB_10device_ptrIS6_EEEESG_S6_NSB_4plusIvEES6_EEDaPvRmT3_T4_T5_mT6_P12ihipStream_tbENKUlT_T0_E_clISt17integral_constantIbLb0EESV_IbLb1EEEEDaSR_SS_EUlSR_E0_NS1_11comp_targetILNS1_3genE10ELNS1_11target_archE1200ELNS1_3gpuE4ELNS1_3repE0EEENS1_30default_config_static_selectorELNS0_4arch9wavefront6targetE1EEEvT1_
	.p2align	8
	.type	_ZN7rocprim17ROCPRIM_400000_NS6detail17trampoline_kernelINS0_14default_configENS1_20scan_config_selectorI11FixedVectorIiLj1EEEEZZNS1_9scan_implILNS1_25lookback_scan_determinismE0ELb1ELb1ES3_N6thrust23THRUST_200600_302600_NS6detail15normal_iteratorINSB_10device_ptrIS6_EEEESG_S6_NSB_4plusIvEES6_EEDaPvRmT3_T4_T5_mT6_P12ihipStream_tbENKUlT_T0_E_clISt17integral_constantIbLb0EESV_IbLb1EEEEDaSR_SS_EUlSR_E0_NS1_11comp_targetILNS1_3genE10ELNS1_11target_archE1200ELNS1_3gpuE4ELNS1_3repE0EEENS1_30default_config_static_selectorELNS0_4arch9wavefront6targetE1EEEvT1_,@function
_ZN7rocprim17ROCPRIM_400000_NS6detail17trampoline_kernelINS0_14default_configENS1_20scan_config_selectorI11FixedVectorIiLj1EEEEZZNS1_9scan_implILNS1_25lookback_scan_determinismE0ELb1ELb1ES3_N6thrust23THRUST_200600_302600_NS6detail15normal_iteratorINSB_10device_ptrIS6_EEEESG_S6_NSB_4plusIvEES6_EEDaPvRmT3_T4_T5_mT6_P12ihipStream_tbENKUlT_T0_E_clISt17integral_constantIbLb0EESV_IbLb1EEEEDaSR_SS_EUlSR_E0_NS1_11comp_targetILNS1_3genE10ELNS1_11target_archE1200ELNS1_3gpuE4ELNS1_3repE0EEENS1_30default_config_static_selectorELNS0_4arch9wavefront6targetE1EEEvT1_: ; @_ZN7rocprim17ROCPRIM_400000_NS6detail17trampoline_kernelINS0_14default_configENS1_20scan_config_selectorI11FixedVectorIiLj1EEEEZZNS1_9scan_implILNS1_25lookback_scan_determinismE0ELb1ELb1ES3_N6thrust23THRUST_200600_302600_NS6detail15normal_iteratorINSB_10device_ptrIS6_EEEESG_S6_NSB_4plusIvEES6_EEDaPvRmT3_T4_T5_mT6_P12ihipStream_tbENKUlT_T0_E_clISt17integral_constantIbLb0EESV_IbLb1EEEEDaSR_SS_EUlSR_E0_NS1_11comp_targetILNS1_3genE10ELNS1_11target_archE1200ELNS1_3gpuE4ELNS1_3repE0EEENS1_30default_config_static_selectorELNS0_4arch9wavefront6targetE1EEEvT1_
; %bb.0:
	.section	.rodata,"a",@progbits
	.p2align	6, 0x0
	.amdhsa_kernel _ZN7rocprim17ROCPRIM_400000_NS6detail17trampoline_kernelINS0_14default_configENS1_20scan_config_selectorI11FixedVectorIiLj1EEEEZZNS1_9scan_implILNS1_25lookback_scan_determinismE0ELb1ELb1ES3_N6thrust23THRUST_200600_302600_NS6detail15normal_iteratorINSB_10device_ptrIS6_EEEESG_S6_NSB_4plusIvEES6_EEDaPvRmT3_T4_T5_mT6_P12ihipStream_tbENKUlT_T0_E_clISt17integral_constantIbLb0EESV_IbLb1EEEEDaSR_SS_EUlSR_E0_NS1_11comp_targetILNS1_3genE10ELNS1_11target_archE1200ELNS1_3gpuE4ELNS1_3repE0EEENS1_30default_config_static_selectorELNS0_4arch9wavefront6targetE1EEEvT1_
		.amdhsa_group_segment_fixed_size 0
		.amdhsa_private_segment_fixed_size 0
		.amdhsa_kernarg_size 32
		.amdhsa_user_sgpr_count 6
		.amdhsa_user_sgpr_private_segment_buffer 1
		.amdhsa_user_sgpr_dispatch_ptr 0
		.amdhsa_user_sgpr_queue_ptr 0
		.amdhsa_user_sgpr_kernarg_segment_ptr 1
		.amdhsa_user_sgpr_dispatch_id 0
		.amdhsa_user_sgpr_flat_scratch_init 0
		.amdhsa_user_sgpr_kernarg_preload_length 0
		.amdhsa_user_sgpr_kernarg_preload_offset 0
		.amdhsa_user_sgpr_private_segment_size 0
		.amdhsa_uses_dynamic_stack 0
		.amdhsa_system_sgpr_private_segment_wavefront_offset 0
		.amdhsa_system_sgpr_workgroup_id_x 1
		.amdhsa_system_sgpr_workgroup_id_y 0
		.amdhsa_system_sgpr_workgroup_id_z 0
		.amdhsa_system_sgpr_workgroup_info 0
		.amdhsa_system_vgpr_workitem_id 0
		.amdhsa_next_free_vgpr 1
		.amdhsa_next_free_sgpr 0
		.amdhsa_accum_offset 4
		.amdhsa_reserve_vcc 0
		.amdhsa_reserve_flat_scratch 0
		.amdhsa_float_round_mode_32 0
		.amdhsa_float_round_mode_16_64 0
		.amdhsa_float_denorm_mode_32 3
		.amdhsa_float_denorm_mode_16_64 3
		.amdhsa_dx10_clamp 1
		.amdhsa_ieee_mode 1
		.amdhsa_fp16_overflow 0
		.amdhsa_tg_split 0
		.amdhsa_exception_fp_ieee_invalid_op 0
		.amdhsa_exception_fp_denorm_src 0
		.amdhsa_exception_fp_ieee_div_zero 0
		.amdhsa_exception_fp_ieee_overflow 0
		.amdhsa_exception_fp_ieee_underflow 0
		.amdhsa_exception_fp_ieee_inexact 0
		.amdhsa_exception_int_div_zero 0
	.end_amdhsa_kernel
	.section	.text._ZN7rocprim17ROCPRIM_400000_NS6detail17trampoline_kernelINS0_14default_configENS1_20scan_config_selectorI11FixedVectorIiLj1EEEEZZNS1_9scan_implILNS1_25lookback_scan_determinismE0ELb1ELb1ES3_N6thrust23THRUST_200600_302600_NS6detail15normal_iteratorINSB_10device_ptrIS6_EEEESG_S6_NSB_4plusIvEES6_EEDaPvRmT3_T4_T5_mT6_P12ihipStream_tbENKUlT_T0_E_clISt17integral_constantIbLb0EESV_IbLb1EEEEDaSR_SS_EUlSR_E0_NS1_11comp_targetILNS1_3genE10ELNS1_11target_archE1200ELNS1_3gpuE4ELNS1_3repE0EEENS1_30default_config_static_selectorELNS0_4arch9wavefront6targetE1EEEvT1_,"axG",@progbits,_ZN7rocprim17ROCPRIM_400000_NS6detail17trampoline_kernelINS0_14default_configENS1_20scan_config_selectorI11FixedVectorIiLj1EEEEZZNS1_9scan_implILNS1_25lookback_scan_determinismE0ELb1ELb1ES3_N6thrust23THRUST_200600_302600_NS6detail15normal_iteratorINSB_10device_ptrIS6_EEEESG_S6_NSB_4plusIvEES6_EEDaPvRmT3_T4_T5_mT6_P12ihipStream_tbENKUlT_T0_E_clISt17integral_constantIbLb0EESV_IbLb1EEEEDaSR_SS_EUlSR_E0_NS1_11comp_targetILNS1_3genE10ELNS1_11target_archE1200ELNS1_3gpuE4ELNS1_3repE0EEENS1_30default_config_static_selectorELNS0_4arch9wavefront6targetE1EEEvT1_,comdat
.Lfunc_end6531:
	.size	_ZN7rocprim17ROCPRIM_400000_NS6detail17trampoline_kernelINS0_14default_configENS1_20scan_config_selectorI11FixedVectorIiLj1EEEEZZNS1_9scan_implILNS1_25lookback_scan_determinismE0ELb1ELb1ES3_N6thrust23THRUST_200600_302600_NS6detail15normal_iteratorINSB_10device_ptrIS6_EEEESG_S6_NSB_4plusIvEES6_EEDaPvRmT3_T4_T5_mT6_P12ihipStream_tbENKUlT_T0_E_clISt17integral_constantIbLb0EESV_IbLb1EEEEDaSR_SS_EUlSR_E0_NS1_11comp_targetILNS1_3genE10ELNS1_11target_archE1200ELNS1_3gpuE4ELNS1_3repE0EEENS1_30default_config_static_selectorELNS0_4arch9wavefront6targetE1EEEvT1_, .Lfunc_end6531-_ZN7rocprim17ROCPRIM_400000_NS6detail17trampoline_kernelINS0_14default_configENS1_20scan_config_selectorI11FixedVectorIiLj1EEEEZZNS1_9scan_implILNS1_25lookback_scan_determinismE0ELb1ELb1ES3_N6thrust23THRUST_200600_302600_NS6detail15normal_iteratorINSB_10device_ptrIS6_EEEESG_S6_NSB_4plusIvEES6_EEDaPvRmT3_T4_T5_mT6_P12ihipStream_tbENKUlT_T0_E_clISt17integral_constantIbLb0EESV_IbLb1EEEEDaSR_SS_EUlSR_E0_NS1_11comp_targetILNS1_3genE10ELNS1_11target_archE1200ELNS1_3gpuE4ELNS1_3repE0EEENS1_30default_config_static_selectorELNS0_4arch9wavefront6targetE1EEEvT1_
                                        ; -- End function
	.section	.AMDGPU.csdata,"",@progbits
; Kernel info:
; codeLenInByte = 0
; NumSgprs: 4
; NumVgprs: 0
; NumAgprs: 0
; TotalNumVgprs: 0
; ScratchSize: 0
; MemoryBound: 0
; FloatMode: 240
; IeeeMode: 1
; LDSByteSize: 0 bytes/workgroup (compile time only)
; SGPRBlocks: 0
; VGPRBlocks: 0
; NumSGPRsForWavesPerEU: 4
; NumVGPRsForWavesPerEU: 1
; AccumOffset: 4
; Occupancy: 8
; WaveLimiterHint : 0
; COMPUTE_PGM_RSRC2:SCRATCH_EN: 0
; COMPUTE_PGM_RSRC2:USER_SGPR: 6
; COMPUTE_PGM_RSRC2:TRAP_HANDLER: 0
; COMPUTE_PGM_RSRC2:TGID_X_EN: 1
; COMPUTE_PGM_RSRC2:TGID_Y_EN: 0
; COMPUTE_PGM_RSRC2:TGID_Z_EN: 0
; COMPUTE_PGM_RSRC2:TIDIG_COMP_CNT: 0
; COMPUTE_PGM_RSRC3_GFX90A:ACCUM_OFFSET: 0
; COMPUTE_PGM_RSRC3_GFX90A:TG_SPLIT: 0
	.section	.text._ZN7rocprim17ROCPRIM_400000_NS6detail17trampoline_kernelINS0_14default_configENS1_20scan_config_selectorI11FixedVectorIiLj1EEEEZZNS1_9scan_implILNS1_25lookback_scan_determinismE0ELb1ELb1ES3_N6thrust23THRUST_200600_302600_NS6detail15normal_iteratorINSB_10device_ptrIS6_EEEESG_S6_NSB_4plusIvEES6_EEDaPvRmT3_T4_T5_mT6_P12ihipStream_tbENKUlT_T0_E_clISt17integral_constantIbLb0EESV_IbLb1EEEEDaSR_SS_EUlSR_E0_NS1_11comp_targetILNS1_3genE9ELNS1_11target_archE1100ELNS1_3gpuE3ELNS1_3repE0EEENS1_30default_config_static_selectorELNS0_4arch9wavefront6targetE1EEEvT1_,"axG",@progbits,_ZN7rocprim17ROCPRIM_400000_NS6detail17trampoline_kernelINS0_14default_configENS1_20scan_config_selectorI11FixedVectorIiLj1EEEEZZNS1_9scan_implILNS1_25lookback_scan_determinismE0ELb1ELb1ES3_N6thrust23THRUST_200600_302600_NS6detail15normal_iteratorINSB_10device_ptrIS6_EEEESG_S6_NSB_4plusIvEES6_EEDaPvRmT3_T4_T5_mT6_P12ihipStream_tbENKUlT_T0_E_clISt17integral_constantIbLb0EESV_IbLb1EEEEDaSR_SS_EUlSR_E0_NS1_11comp_targetILNS1_3genE9ELNS1_11target_archE1100ELNS1_3gpuE3ELNS1_3repE0EEENS1_30default_config_static_selectorELNS0_4arch9wavefront6targetE1EEEvT1_,comdat
	.protected	_ZN7rocprim17ROCPRIM_400000_NS6detail17trampoline_kernelINS0_14default_configENS1_20scan_config_selectorI11FixedVectorIiLj1EEEEZZNS1_9scan_implILNS1_25lookback_scan_determinismE0ELb1ELb1ES3_N6thrust23THRUST_200600_302600_NS6detail15normal_iteratorINSB_10device_ptrIS6_EEEESG_S6_NSB_4plusIvEES6_EEDaPvRmT3_T4_T5_mT6_P12ihipStream_tbENKUlT_T0_E_clISt17integral_constantIbLb0EESV_IbLb1EEEEDaSR_SS_EUlSR_E0_NS1_11comp_targetILNS1_3genE9ELNS1_11target_archE1100ELNS1_3gpuE3ELNS1_3repE0EEENS1_30default_config_static_selectorELNS0_4arch9wavefront6targetE1EEEvT1_ ; -- Begin function _ZN7rocprim17ROCPRIM_400000_NS6detail17trampoline_kernelINS0_14default_configENS1_20scan_config_selectorI11FixedVectorIiLj1EEEEZZNS1_9scan_implILNS1_25lookback_scan_determinismE0ELb1ELb1ES3_N6thrust23THRUST_200600_302600_NS6detail15normal_iteratorINSB_10device_ptrIS6_EEEESG_S6_NSB_4plusIvEES6_EEDaPvRmT3_T4_T5_mT6_P12ihipStream_tbENKUlT_T0_E_clISt17integral_constantIbLb0EESV_IbLb1EEEEDaSR_SS_EUlSR_E0_NS1_11comp_targetILNS1_3genE9ELNS1_11target_archE1100ELNS1_3gpuE3ELNS1_3repE0EEENS1_30default_config_static_selectorELNS0_4arch9wavefront6targetE1EEEvT1_
	.globl	_ZN7rocprim17ROCPRIM_400000_NS6detail17trampoline_kernelINS0_14default_configENS1_20scan_config_selectorI11FixedVectorIiLj1EEEEZZNS1_9scan_implILNS1_25lookback_scan_determinismE0ELb1ELb1ES3_N6thrust23THRUST_200600_302600_NS6detail15normal_iteratorINSB_10device_ptrIS6_EEEESG_S6_NSB_4plusIvEES6_EEDaPvRmT3_T4_T5_mT6_P12ihipStream_tbENKUlT_T0_E_clISt17integral_constantIbLb0EESV_IbLb1EEEEDaSR_SS_EUlSR_E0_NS1_11comp_targetILNS1_3genE9ELNS1_11target_archE1100ELNS1_3gpuE3ELNS1_3repE0EEENS1_30default_config_static_selectorELNS0_4arch9wavefront6targetE1EEEvT1_
	.p2align	8
	.type	_ZN7rocprim17ROCPRIM_400000_NS6detail17trampoline_kernelINS0_14default_configENS1_20scan_config_selectorI11FixedVectorIiLj1EEEEZZNS1_9scan_implILNS1_25lookback_scan_determinismE0ELb1ELb1ES3_N6thrust23THRUST_200600_302600_NS6detail15normal_iteratorINSB_10device_ptrIS6_EEEESG_S6_NSB_4plusIvEES6_EEDaPvRmT3_T4_T5_mT6_P12ihipStream_tbENKUlT_T0_E_clISt17integral_constantIbLb0EESV_IbLb1EEEEDaSR_SS_EUlSR_E0_NS1_11comp_targetILNS1_3genE9ELNS1_11target_archE1100ELNS1_3gpuE3ELNS1_3repE0EEENS1_30default_config_static_selectorELNS0_4arch9wavefront6targetE1EEEvT1_,@function
_ZN7rocprim17ROCPRIM_400000_NS6detail17trampoline_kernelINS0_14default_configENS1_20scan_config_selectorI11FixedVectorIiLj1EEEEZZNS1_9scan_implILNS1_25lookback_scan_determinismE0ELb1ELb1ES3_N6thrust23THRUST_200600_302600_NS6detail15normal_iteratorINSB_10device_ptrIS6_EEEESG_S6_NSB_4plusIvEES6_EEDaPvRmT3_T4_T5_mT6_P12ihipStream_tbENKUlT_T0_E_clISt17integral_constantIbLb0EESV_IbLb1EEEEDaSR_SS_EUlSR_E0_NS1_11comp_targetILNS1_3genE9ELNS1_11target_archE1100ELNS1_3gpuE3ELNS1_3repE0EEENS1_30default_config_static_selectorELNS0_4arch9wavefront6targetE1EEEvT1_: ; @_ZN7rocprim17ROCPRIM_400000_NS6detail17trampoline_kernelINS0_14default_configENS1_20scan_config_selectorI11FixedVectorIiLj1EEEEZZNS1_9scan_implILNS1_25lookback_scan_determinismE0ELb1ELb1ES3_N6thrust23THRUST_200600_302600_NS6detail15normal_iteratorINSB_10device_ptrIS6_EEEESG_S6_NSB_4plusIvEES6_EEDaPvRmT3_T4_T5_mT6_P12ihipStream_tbENKUlT_T0_E_clISt17integral_constantIbLb0EESV_IbLb1EEEEDaSR_SS_EUlSR_E0_NS1_11comp_targetILNS1_3genE9ELNS1_11target_archE1100ELNS1_3gpuE3ELNS1_3repE0EEENS1_30default_config_static_selectorELNS0_4arch9wavefront6targetE1EEEvT1_
; %bb.0:
	.section	.rodata,"a",@progbits
	.p2align	6, 0x0
	.amdhsa_kernel _ZN7rocprim17ROCPRIM_400000_NS6detail17trampoline_kernelINS0_14default_configENS1_20scan_config_selectorI11FixedVectorIiLj1EEEEZZNS1_9scan_implILNS1_25lookback_scan_determinismE0ELb1ELb1ES3_N6thrust23THRUST_200600_302600_NS6detail15normal_iteratorINSB_10device_ptrIS6_EEEESG_S6_NSB_4plusIvEES6_EEDaPvRmT3_T4_T5_mT6_P12ihipStream_tbENKUlT_T0_E_clISt17integral_constantIbLb0EESV_IbLb1EEEEDaSR_SS_EUlSR_E0_NS1_11comp_targetILNS1_3genE9ELNS1_11target_archE1100ELNS1_3gpuE3ELNS1_3repE0EEENS1_30default_config_static_selectorELNS0_4arch9wavefront6targetE1EEEvT1_
		.amdhsa_group_segment_fixed_size 0
		.amdhsa_private_segment_fixed_size 0
		.amdhsa_kernarg_size 32
		.amdhsa_user_sgpr_count 6
		.amdhsa_user_sgpr_private_segment_buffer 1
		.amdhsa_user_sgpr_dispatch_ptr 0
		.amdhsa_user_sgpr_queue_ptr 0
		.amdhsa_user_sgpr_kernarg_segment_ptr 1
		.amdhsa_user_sgpr_dispatch_id 0
		.amdhsa_user_sgpr_flat_scratch_init 0
		.amdhsa_user_sgpr_kernarg_preload_length 0
		.amdhsa_user_sgpr_kernarg_preload_offset 0
		.amdhsa_user_sgpr_private_segment_size 0
		.amdhsa_uses_dynamic_stack 0
		.amdhsa_system_sgpr_private_segment_wavefront_offset 0
		.amdhsa_system_sgpr_workgroup_id_x 1
		.amdhsa_system_sgpr_workgroup_id_y 0
		.amdhsa_system_sgpr_workgroup_id_z 0
		.amdhsa_system_sgpr_workgroup_info 0
		.amdhsa_system_vgpr_workitem_id 0
		.amdhsa_next_free_vgpr 1
		.amdhsa_next_free_sgpr 0
		.amdhsa_accum_offset 4
		.amdhsa_reserve_vcc 0
		.amdhsa_reserve_flat_scratch 0
		.amdhsa_float_round_mode_32 0
		.amdhsa_float_round_mode_16_64 0
		.amdhsa_float_denorm_mode_32 3
		.amdhsa_float_denorm_mode_16_64 3
		.amdhsa_dx10_clamp 1
		.amdhsa_ieee_mode 1
		.amdhsa_fp16_overflow 0
		.amdhsa_tg_split 0
		.amdhsa_exception_fp_ieee_invalid_op 0
		.amdhsa_exception_fp_denorm_src 0
		.amdhsa_exception_fp_ieee_div_zero 0
		.amdhsa_exception_fp_ieee_overflow 0
		.amdhsa_exception_fp_ieee_underflow 0
		.amdhsa_exception_fp_ieee_inexact 0
		.amdhsa_exception_int_div_zero 0
	.end_amdhsa_kernel
	.section	.text._ZN7rocprim17ROCPRIM_400000_NS6detail17trampoline_kernelINS0_14default_configENS1_20scan_config_selectorI11FixedVectorIiLj1EEEEZZNS1_9scan_implILNS1_25lookback_scan_determinismE0ELb1ELb1ES3_N6thrust23THRUST_200600_302600_NS6detail15normal_iteratorINSB_10device_ptrIS6_EEEESG_S6_NSB_4plusIvEES6_EEDaPvRmT3_T4_T5_mT6_P12ihipStream_tbENKUlT_T0_E_clISt17integral_constantIbLb0EESV_IbLb1EEEEDaSR_SS_EUlSR_E0_NS1_11comp_targetILNS1_3genE9ELNS1_11target_archE1100ELNS1_3gpuE3ELNS1_3repE0EEENS1_30default_config_static_selectorELNS0_4arch9wavefront6targetE1EEEvT1_,"axG",@progbits,_ZN7rocprim17ROCPRIM_400000_NS6detail17trampoline_kernelINS0_14default_configENS1_20scan_config_selectorI11FixedVectorIiLj1EEEEZZNS1_9scan_implILNS1_25lookback_scan_determinismE0ELb1ELb1ES3_N6thrust23THRUST_200600_302600_NS6detail15normal_iteratorINSB_10device_ptrIS6_EEEESG_S6_NSB_4plusIvEES6_EEDaPvRmT3_T4_T5_mT6_P12ihipStream_tbENKUlT_T0_E_clISt17integral_constantIbLb0EESV_IbLb1EEEEDaSR_SS_EUlSR_E0_NS1_11comp_targetILNS1_3genE9ELNS1_11target_archE1100ELNS1_3gpuE3ELNS1_3repE0EEENS1_30default_config_static_selectorELNS0_4arch9wavefront6targetE1EEEvT1_,comdat
.Lfunc_end6532:
	.size	_ZN7rocprim17ROCPRIM_400000_NS6detail17trampoline_kernelINS0_14default_configENS1_20scan_config_selectorI11FixedVectorIiLj1EEEEZZNS1_9scan_implILNS1_25lookback_scan_determinismE0ELb1ELb1ES3_N6thrust23THRUST_200600_302600_NS6detail15normal_iteratorINSB_10device_ptrIS6_EEEESG_S6_NSB_4plusIvEES6_EEDaPvRmT3_T4_T5_mT6_P12ihipStream_tbENKUlT_T0_E_clISt17integral_constantIbLb0EESV_IbLb1EEEEDaSR_SS_EUlSR_E0_NS1_11comp_targetILNS1_3genE9ELNS1_11target_archE1100ELNS1_3gpuE3ELNS1_3repE0EEENS1_30default_config_static_selectorELNS0_4arch9wavefront6targetE1EEEvT1_, .Lfunc_end6532-_ZN7rocprim17ROCPRIM_400000_NS6detail17trampoline_kernelINS0_14default_configENS1_20scan_config_selectorI11FixedVectorIiLj1EEEEZZNS1_9scan_implILNS1_25lookback_scan_determinismE0ELb1ELb1ES3_N6thrust23THRUST_200600_302600_NS6detail15normal_iteratorINSB_10device_ptrIS6_EEEESG_S6_NSB_4plusIvEES6_EEDaPvRmT3_T4_T5_mT6_P12ihipStream_tbENKUlT_T0_E_clISt17integral_constantIbLb0EESV_IbLb1EEEEDaSR_SS_EUlSR_E0_NS1_11comp_targetILNS1_3genE9ELNS1_11target_archE1100ELNS1_3gpuE3ELNS1_3repE0EEENS1_30default_config_static_selectorELNS0_4arch9wavefront6targetE1EEEvT1_
                                        ; -- End function
	.section	.AMDGPU.csdata,"",@progbits
; Kernel info:
; codeLenInByte = 0
; NumSgprs: 4
; NumVgprs: 0
; NumAgprs: 0
; TotalNumVgprs: 0
; ScratchSize: 0
; MemoryBound: 0
; FloatMode: 240
; IeeeMode: 1
; LDSByteSize: 0 bytes/workgroup (compile time only)
; SGPRBlocks: 0
; VGPRBlocks: 0
; NumSGPRsForWavesPerEU: 4
; NumVGPRsForWavesPerEU: 1
; AccumOffset: 4
; Occupancy: 8
; WaveLimiterHint : 0
; COMPUTE_PGM_RSRC2:SCRATCH_EN: 0
; COMPUTE_PGM_RSRC2:USER_SGPR: 6
; COMPUTE_PGM_RSRC2:TRAP_HANDLER: 0
; COMPUTE_PGM_RSRC2:TGID_X_EN: 1
; COMPUTE_PGM_RSRC2:TGID_Y_EN: 0
; COMPUTE_PGM_RSRC2:TGID_Z_EN: 0
; COMPUTE_PGM_RSRC2:TIDIG_COMP_CNT: 0
; COMPUTE_PGM_RSRC3_GFX90A:ACCUM_OFFSET: 0
; COMPUTE_PGM_RSRC3_GFX90A:TG_SPLIT: 0
	.section	.text._ZN7rocprim17ROCPRIM_400000_NS6detail17trampoline_kernelINS0_14default_configENS1_20scan_config_selectorI11FixedVectorIiLj1EEEEZZNS1_9scan_implILNS1_25lookback_scan_determinismE0ELb1ELb1ES3_N6thrust23THRUST_200600_302600_NS6detail15normal_iteratorINSB_10device_ptrIS6_EEEESG_S6_NSB_4plusIvEES6_EEDaPvRmT3_T4_T5_mT6_P12ihipStream_tbENKUlT_T0_E_clISt17integral_constantIbLb0EESV_IbLb1EEEEDaSR_SS_EUlSR_E0_NS1_11comp_targetILNS1_3genE8ELNS1_11target_archE1030ELNS1_3gpuE2ELNS1_3repE0EEENS1_30default_config_static_selectorELNS0_4arch9wavefront6targetE1EEEvT1_,"axG",@progbits,_ZN7rocprim17ROCPRIM_400000_NS6detail17trampoline_kernelINS0_14default_configENS1_20scan_config_selectorI11FixedVectorIiLj1EEEEZZNS1_9scan_implILNS1_25lookback_scan_determinismE0ELb1ELb1ES3_N6thrust23THRUST_200600_302600_NS6detail15normal_iteratorINSB_10device_ptrIS6_EEEESG_S6_NSB_4plusIvEES6_EEDaPvRmT3_T4_T5_mT6_P12ihipStream_tbENKUlT_T0_E_clISt17integral_constantIbLb0EESV_IbLb1EEEEDaSR_SS_EUlSR_E0_NS1_11comp_targetILNS1_3genE8ELNS1_11target_archE1030ELNS1_3gpuE2ELNS1_3repE0EEENS1_30default_config_static_selectorELNS0_4arch9wavefront6targetE1EEEvT1_,comdat
	.protected	_ZN7rocprim17ROCPRIM_400000_NS6detail17trampoline_kernelINS0_14default_configENS1_20scan_config_selectorI11FixedVectorIiLj1EEEEZZNS1_9scan_implILNS1_25lookback_scan_determinismE0ELb1ELb1ES3_N6thrust23THRUST_200600_302600_NS6detail15normal_iteratorINSB_10device_ptrIS6_EEEESG_S6_NSB_4plusIvEES6_EEDaPvRmT3_T4_T5_mT6_P12ihipStream_tbENKUlT_T0_E_clISt17integral_constantIbLb0EESV_IbLb1EEEEDaSR_SS_EUlSR_E0_NS1_11comp_targetILNS1_3genE8ELNS1_11target_archE1030ELNS1_3gpuE2ELNS1_3repE0EEENS1_30default_config_static_selectorELNS0_4arch9wavefront6targetE1EEEvT1_ ; -- Begin function _ZN7rocprim17ROCPRIM_400000_NS6detail17trampoline_kernelINS0_14default_configENS1_20scan_config_selectorI11FixedVectorIiLj1EEEEZZNS1_9scan_implILNS1_25lookback_scan_determinismE0ELb1ELb1ES3_N6thrust23THRUST_200600_302600_NS6detail15normal_iteratorINSB_10device_ptrIS6_EEEESG_S6_NSB_4plusIvEES6_EEDaPvRmT3_T4_T5_mT6_P12ihipStream_tbENKUlT_T0_E_clISt17integral_constantIbLb0EESV_IbLb1EEEEDaSR_SS_EUlSR_E0_NS1_11comp_targetILNS1_3genE8ELNS1_11target_archE1030ELNS1_3gpuE2ELNS1_3repE0EEENS1_30default_config_static_selectorELNS0_4arch9wavefront6targetE1EEEvT1_
	.globl	_ZN7rocprim17ROCPRIM_400000_NS6detail17trampoline_kernelINS0_14default_configENS1_20scan_config_selectorI11FixedVectorIiLj1EEEEZZNS1_9scan_implILNS1_25lookback_scan_determinismE0ELb1ELb1ES3_N6thrust23THRUST_200600_302600_NS6detail15normal_iteratorINSB_10device_ptrIS6_EEEESG_S6_NSB_4plusIvEES6_EEDaPvRmT3_T4_T5_mT6_P12ihipStream_tbENKUlT_T0_E_clISt17integral_constantIbLb0EESV_IbLb1EEEEDaSR_SS_EUlSR_E0_NS1_11comp_targetILNS1_3genE8ELNS1_11target_archE1030ELNS1_3gpuE2ELNS1_3repE0EEENS1_30default_config_static_selectorELNS0_4arch9wavefront6targetE1EEEvT1_
	.p2align	8
	.type	_ZN7rocprim17ROCPRIM_400000_NS6detail17trampoline_kernelINS0_14default_configENS1_20scan_config_selectorI11FixedVectorIiLj1EEEEZZNS1_9scan_implILNS1_25lookback_scan_determinismE0ELb1ELb1ES3_N6thrust23THRUST_200600_302600_NS6detail15normal_iteratorINSB_10device_ptrIS6_EEEESG_S6_NSB_4plusIvEES6_EEDaPvRmT3_T4_T5_mT6_P12ihipStream_tbENKUlT_T0_E_clISt17integral_constantIbLb0EESV_IbLb1EEEEDaSR_SS_EUlSR_E0_NS1_11comp_targetILNS1_3genE8ELNS1_11target_archE1030ELNS1_3gpuE2ELNS1_3repE0EEENS1_30default_config_static_selectorELNS0_4arch9wavefront6targetE1EEEvT1_,@function
_ZN7rocprim17ROCPRIM_400000_NS6detail17trampoline_kernelINS0_14default_configENS1_20scan_config_selectorI11FixedVectorIiLj1EEEEZZNS1_9scan_implILNS1_25lookback_scan_determinismE0ELb1ELb1ES3_N6thrust23THRUST_200600_302600_NS6detail15normal_iteratorINSB_10device_ptrIS6_EEEESG_S6_NSB_4plusIvEES6_EEDaPvRmT3_T4_T5_mT6_P12ihipStream_tbENKUlT_T0_E_clISt17integral_constantIbLb0EESV_IbLb1EEEEDaSR_SS_EUlSR_E0_NS1_11comp_targetILNS1_3genE8ELNS1_11target_archE1030ELNS1_3gpuE2ELNS1_3repE0EEENS1_30default_config_static_selectorELNS0_4arch9wavefront6targetE1EEEvT1_: ; @_ZN7rocprim17ROCPRIM_400000_NS6detail17trampoline_kernelINS0_14default_configENS1_20scan_config_selectorI11FixedVectorIiLj1EEEEZZNS1_9scan_implILNS1_25lookback_scan_determinismE0ELb1ELb1ES3_N6thrust23THRUST_200600_302600_NS6detail15normal_iteratorINSB_10device_ptrIS6_EEEESG_S6_NSB_4plusIvEES6_EEDaPvRmT3_T4_T5_mT6_P12ihipStream_tbENKUlT_T0_E_clISt17integral_constantIbLb0EESV_IbLb1EEEEDaSR_SS_EUlSR_E0_NS1_11comp_targetILNS1_3genE8ELNS1_11target_archE1030ELNS1_3gpuE2ELNS1_3repE0EEENS1_30default_config_static_selectorELNS0_4arch9wavefront6targetE1EEEvT1_
; %bb.0:
	.section	.rodata,"a",@progbits
	.p2align	6, 0x0
	.amdhsa_kernel _ZN7rocprim17ROCPRIM_400000_NS6detail17trampoline_kernelINS0_14default_configENS1_20scan_config_selectorI11FixedVectorIiLj1EEEEZZNS1_9scan_implILNS1_25lookback_scan_determinismE0ELb1ELb1ES3_N6thrust23THRUST_200600_302600_NS6detail15normal_iteratorINSB_10device_ptrIS6_EEEESG_S6_NSB_4plusIvEES6_EEDaPvRmT3_T4_T5_mT6_P12ihipStream_tbENKUlT_T0_E_clISt17integral_constantIbLb0EESV_IbLb1EEEEDaSR_SS_EUlSR_E0_NS1_11comp_targetILNS1_3genE8ELNS1_11target_archE1030ELNS1_3gpuE2ELNS1_3repE0EEENS1_30default_config_static_selectorELNS0_4arch9wavefront6targetE1EEEvT1_
		.amdhsa_group_segment_fixed_size 0
		.amdhsa_private_segment_fixed_size 0
		.amdhsa_kernarg_size 32
		.amdhsa_user_sgpr_count 6
		.amdhsa_user_sgpr_private_segment_buffer 1
		.amdhsa_user_sgpr_dispatch_ptr 0
		.amdhsa_user_sgpr_queue_ptr 0
		.amdhsa_user_sgpr_kernarg_segment_ptr 1
		.amdhsa_user_sgpr_dispatch_id 0
		.amdhsa_user_sgpr_flat_scratch_init 0
		.amdhsa_user_sgpr_kernarg_preload_length 0
		.amdhsa_user_sgpr_kernarg_preload_offset 0
		.amdhsa_user_sgpr_private_segment_size 0
		.amdhsa_uses_dynamic_stack 0
		.amdhsa_system_sgpr_private_segment_wavefront_offset 0
		.amdhsa_system_sgpr_workgroup_id_x 1
		.amdhsa_system_sgpr_workgroup_id_y 0
		.amdhsa_system_sgpr_workgroup_id_z 0
		.amdhsa_system_sgpr_workgroup_info 0
		.amdhsa_system_vgpr_workitem_id 0
		.amdhsa_next_free_vgpr 1
		.amdhsa_next_free_sgpr 0
		.amdhsa_accum_offset 4
		.amdhsa_reserve_vcc 0
		.amdhsa_reserve_flat_scratch 0
		.amdhsa_float_round_mode_32 0
		.amdhsa_float_round_mode_16_64 0
		.amdhsa_float_denorm_mode_32 3
		.amdhsa_float_denorm_mode_16_64 3
		.amdhsa_dx10_clamp 1
		.amdhsa_ieee_mode 1
		.amdhsa_fp16_overflow 0
		.amdhsa_tg_split 0
		.amdhsa_exception_fp_ieee_invalid_op 0
		.amdhsa_exception_fp_denorm_src 0
		.amdhsa_exception_fp_ieee_div_zero 0
		.amdhsa_exception_fp_ieee_overflow 0
		.amdhsa_exception_fp_ieee_underflow 0
		.amdhsa_exception_fp_ieee_inexact 0
		.amdhsa_exception_int_div_zero 0
	.end_amdhsa_kernel
	.section	.text._ZN7rocprim17ROCPRIM_400000_NS6detail17trampoline_kernelINS0_14default_configENS1_20scan_config_selectorI11FixedVectorIiLj1EEEEZZNS1_9scan_implILNS1_25lookback_scan_determinismE0ELb1ELb1ES3_N6thrust23THRUST_200600_302600_NS6detail15normal_iteratorINSB_10device_ptrIS6_EEEESG_S6_NSB_4plusIvEES6_EEDaPvRmT3_T4_T5_mT6_P12ihipStream_tbENKUlT_T0_E_clISt17integral_constantIbLb0EESV_IbLb1EEEEDaSR_SS_EUlSR_E0_NS1_11comp_targetILNS1_3genE8ELNS1_11target_archE1030ELNS1_3gpuE2ELNS1_3repE0EEENS1_30default_config_static_selectorELNS0_4arch9wavefront6targetE1EEEvT1_,"axG",@progbits,_ZN7rocprim17ROCPRIM_400000_NS6detail17trampoline_kernelINS0_14default_configENS1_20scan_config_selectorI11FixedVectorIiLj1EEEEZZNS1_9scan_implILNS1_25lookback_scan_determinismE0ELb1ELb1ES3_N6thrust23THRUST_200600_302600_NS6detail15normal_iteratorINSB_10device_ptrIS6_EEEESG_S6_NSB_4plusIvEES6_EEDaPvRmT3_T4_T5_mT6_P12ihipStream_tbENKUlT_T0_E_clISt17integral_constantIbLb0EESV_IbLb1EEEEDaSR_SS_EUlSR_E0_NS1_11comp_targetILNS1_3genE8ELNS1_11target_archE1030ELNS1_3gpuE2ELNS1_3repE0EEENS1_30default_config_static_selectorELNS0_4arch9wavefront6targetE1EEEvT1_,comdat
.Lfunc_end6533:
	.size	_ZN7rocprim17ROCPRIM_400000_NS6detail17trampoline_kernelINS0_14default_configENS1_20scan_config_selectorI11FixedVectorIiLj1EEEEZZNS1_9scan_implILNS1_25lookback_scan_determinismE0ELb1ELb1ES3_N6thrust23THRUST_200600_302600_NS6detail15normal_iteratorINSB_10device_ptrIS6_EEEESG_S6_NSB_4plusIvEES6_EEDaPvRmT3_T4_T5_mT6_P12ihipStream_tbENKUlT_T0_E_clISt17integral_constantIbLb0EESV_IbLb1EEEEDaSR_SS_EUlSR_E0_NS1_11comp_targetILNS1_3genE8ELNS1_11target_archE1030ELNS1_3gpuE2ELNS1_3repE0EEENS1_30default_config_static_selectorELNS0_4arch9wavefront6targetE1EEEvT1_, .Lfunc_end6533-_ZN7rocprim17ROCPRIM_400000_NS6detail17trampoline_kernelINS0_14default_configENS1_20scan_config_selectorI11FixedVectorIiLj1EEEEZZNS1_9scan_implILNS1_25lookback_scan_determinismE0ELb1ELb1ES3_N6thrust23THRUST_200600_302600_NS6detail15normal_iteratorINSB_10device_ptrIS6_EEEESG_S6_NSB_4plusIvEES6_EEDaPvRmT3_T4_T5_mT6_P12ihipStream_tbENKUlT_T0_E_clISt17integral_constantIbLb0EESV_IbLb1EEEEDaSR_SS_EUlSR_E0_NS1_11comp_targetILNS1_3genE8ELNS1_11target_archE1030ELNS1_3gpuE2ELNS1_3repE0EEENS1_30default_config_static_selectorELNS0_4arch9wavefront6targetE1EEEvT1_
                                        ; -- End function
	.section	.AMDGPU.csdata,"",@progbits
; Kernel info:
; codeLenInByte = 0
; NumSgprs: 4
; NumVgprs: 0
; NumAgprs: 0
; TotalNumVgprs: 0
; ScratchSize: 0
; MemoryBound: 0
; FloatMode: 240
; IeeeMode: 1
; LDSByteSize: 0 bytes/workgroup (compile time only)
; SGPRBlocks: 0
; VGPRBlocks: 0
; NumSGPRsForWavesPerEU: 4
; NumVGPRsForWavesPerEU: 1
; AccumOffset: 4
; Occupancy: 8
; WaveLimiterHint : 0
; COMPUTE_PGM_RSRC2:SCRATCH_EN: 0
; COMPUTE_PGM_RSRC2:USER_SGPR: 6
; COMPUTE_PGM_RSRC2:TRAP_HANDLER: 0
; COMPUTE_PGM_RSRC2:TGID_X_EN: 1
; COMPUTE_PGM_RSRC2:TGID_Y_EN: 0
; COMPUTE_PGM_RSRC2:TGID_Z_EN: 0
; COMPUTE_PGM_RSRC2:TIDIG_COMP_CNT: 0
; COMPUTE_PGM_RSRC3_GFX90A:ACCUM_OFFSET: 0
; COMPUTE_PGM_RSRC3_GFX90A:TG_SPLIT: 0
	.section	.text._ZN7rocprim17ROCPRIM_400000_NS6detail17trampoline_kernelINS0_14default_configENS1_20scan_config_selectorIxEEZZNS1_9scan_implILNS1_25lookback_scan_determinismE0ELb0ELb0ES3_N6thrust23THRUST_200600_302600_NS6detail15normal_iteratorINS9_10device_ptrIxEEEESE_x9plus_mod3IxExEEDaPvRmT3_T4_T5_mT6_P12ihipStream_tbENKUlT_T0_E_clISt17integral_constantIbLb0EESU_EEDaSP_SQ_EUlSP_E_NS1_11comp_targetILNS1_3genE0ELNS1_11target_archE4294967295ELNS1_3gpuE0ELNS1_3repE0EEENS1_30default_config_static_selectorELNS0_4arch9wavefront6targetE1EEEvT1_,"axG",@progbits,_ZN7rocprim17ROCPRIM_400000_NS6detail17trampoline_kernelINS0_14default_configENS1_20scan_config_selectorIxEEZZNS1_9scan_implILNS1_25lookback_scan_determinismE0ELb0ELb0ES3_N6thrust23THRUST_200600_302600_NS6detail15normal_iteratorINS9_10device_ptrIxEEEESE_x9plus_mod3IxExEEDaPvRmT3_T4_T5_mT6_P12ihipStream_tbENKUlT_T0_E_clISt17integral_constantIbLb0EESU_EEDaSP_SQ_EUlSP_E_NS1_11comp_targetILNS1_3genE0ELNS1_11target_archE4294967295ELNS1_3gpuE0ELNS1_3repE0EEENS1_30default_config_static_selectorELNS0_4arch9wavefront6targetE1EEEvT1_,comdat
	.protected	_ZN7rocprim17ROCPRIM_400000_NS6detail17trampoline_kernelINS0_14default_configENS1_20scan_config_selectorIxEEZZNS1_9scan_implILNS1_25lookback_scan_determinismE0ELb0ELb0ES3_N6thrust23THRUST_200600_302600_NS6detail15normal_iteratorINS9_10device_ptrIxEEEESE_x9plus_mod3IxExEEDaPvRmT3_T4_T5_mT6_P12ihipStream_tbENKUlT_T0_E_clISt17integral_constantIbLb0EESU_EEDaSP_SQ_EUlSP_E_NS1_11comp_targetILNS1_3genE0ELNS1_11target_archE4294967295ELNS1_3gpuE0ELNS1_3repE0EEENS1_30default_config_static_selectorELNS0_4arch9wavefront6targetE1EEEvT1_ ; -- Begin function _ZN7rocprim17ROCPRIM_400000_NS6detail17trampoline_kernelINS0_14default_configENS1_20scan_config_selectorIxEEZZNS1_9scan_implILNS1_25lookback_scan_determinismE0ELb0ELb0ES3_N6thrust23THRUST_200600_302600_NS6detail15normal_iteratorINS9_10device_ptrIxEEEESE_x9plus_mod3IxExEEDaPvRmT3_T4_T5_mT6_P12ihipStream_tbENKUlT_T0_E_clISt17integral_constantIbLb0EESU_EEDaSP_SQ_EUlSP_E_NS1_11comp_targetILNS1_3genE0ELNS1_11target_archE4294967295ELNS1_3gpuE0ELNS1_3repE0EEENS1_30default_config_static_selectorELNS0_4arch9wavefront6targetE1EEEvT1_
	.globl	_ZN7rocprim17ROCPRIM_400000_NS6detail17trampoline_kernelINS0_14default_configENS1_20scan_config_selectorIxEEZZNS1_9scan_implILNS1_25lookback_scan_determinismE0ELb0ELb0ES3_N6thrust23THRUST_200600_302600_NS6detail15normal_iteratorINS9_10device_ptrIxEEEESE_x9plus_mod3IxExEEDaPvRmT3_T4_T5_mT6_P12ihipStream_tbENKUlT_T0_E_clISt17integral_constantIbLb0EESU_EEDaSP_SQ_EUlSP_E_NS1_11comp_targetILNS1_3genE0ELNS1_11target_archE4294967295ELNS1_3gpuE0ELNS1_3repE0EEENS1_30default_config_static_selectorELNS0_4arch9wavefront6targetE1EEEvT1_
	.p2align	8
	.type	_ZN7rocprim17ROCPRIM_400000_NS6detail17trampoline_kernelINS0_14default_configENS1_20scan_config_selectorIxEEZZNS1_9scan_implILNS1_25lookback_scan_determinismE0ELb0ELb0ES3_N6thrust23THRUST_200600_302600_NS6detail15normal_iteratorINS9_10device_ptrIxEEEESE_x9plus_mod3IxExEEDaPvRmT3_T4_T5_mT6_P12ihipStream_tbENKUlT_T0_E_clISt17integral_constantIbLb0EESU_EEDaSP_SQ_EUlSP_E_NS1_11comp_targetILNS1_3genE0ELNS1_11target_archE4294967295ELNS1_3gpuE0ELNS1_3repE0EEENS1_30default_config_static_selectorELNS0_4arch9wavefront6targetE1EEEvT1_,@function
_ZN7rocprim17ROCPRIM_400000_NS6detail17trampoline_kernelINS0_14default_configENS1_20scan_config_selectorIxEEZZNS1_9scan_implILNS1_25lookback_scan_determinismE0ELb0ELb0ES3_N6thrust23THRUST_200600_302600_NS6detail15normal_iteratorINS9_10device_ptrIxEEEESE_x9plus_mod3IxExEEDaPvRmT3_T4_T5_mT6_P12ihipStream_tbENKUlT_T0_E_clISt17integral_constantIbLb0EESU_EEDaSP_SQ_EUlSP_E_NS1_11comp_targetILNS1_3genE0ELNS1_11target_archE4294967295ELNS1_3gpuE0ELNS1_3repE0EEENS1_30default_config_static_selectorELNS0_4arch9wavefront6targetE1EEEvT1_: ; @_ZN7rocprim17ROCPRIM_400000_NS6detail17trampoline_kernelINS0_14default_configENS1_20scan_config_selectorIxEEZZNS1_9scan_implILNS1_25lookback_scan_determinismE0ELb0ELb0ES3_N6thrust23THRUST_200600_302600_NS6detail15normal_iteratorINS9_10device_ptrIxEEEESE_x9plus_mod3IxExEEDaPvRmT3_T4_T5_mT6_P12ihipStream_tbENKUlT_T0_E_clISt17integral_constantIbLb0EESU_EEDaSP_SQ_EUlSP_E_NS1_11comp_targetILNS1_3genE0ELNS1_11target_archE4294967295ELNS1_3gpuE0ELNS1_3repE0EEENS1_30default_config_static_selectorELNS0_4arch9wavefront6targetE1EEEvT1_
; %bb.0:
	.section	.rodata,"a",@progbits
	.p2align	6, 0x0
	.amdhsa_kernel _ZN7rocprim17ROCPRIM_400000_NS6detail17trampoline_kernelINS0_14default_configENS1_20scan_config_selectorIxEEZZNS1_9scan_implILNS1_25lookback_scan_determinismE0ELb0ELb0ES3_N6thrust23THRUST_200600_302600_NS6detail15normal_iteratorINS9_10device_ptrIxEEEESE_x9plus_mod3IxExEEDaPvRmT3_T4_T5_mT6_P12ihipStream_tbENKUlT_T0_E_clISt17integral_constantIbLb0EESU_EEDaSP_SQ_EUlSP_E_NS1_11comp_targetILNS1_3genE0ELNS1_11target_archE4294967295ELNS1_3gpuE0ELNS1_3repE0EEENS1_30default_config_static_selectorELNS0_4arch9wavefront6targetE1EEEvT1_
		.amdhsa_group_segment_fixed_size 0
		.amdhsa_private_segment_fixed_size 0
		.amdhsa_kernarg_size 104
		.amdhsa_user_sgpr_count 6
		.amdhsa_user_sgpr_private_segment_buffer 1
		.amdhsa_user_sgpr_dispatch_ptr 0
		.amdhsa_user_sgpr_queue_ptr 0
		.amdhsa_user_sgpr_kernarg_segment_ptr 1
		.amdhsa_user_sgpr_dispatch_id 0
		.amdhsa_user_sgpr_flat_scratch_init 0
		.amdhsa_user_sgpr_kernarg_preload_length 0
		.amdhsa_user_sgpr_kernarg_preload_offset 0
		.amdhsa_user_sgpr_private_segment_size 0
		.amdhsa_uses_dynamic_stack 0
		.amdhsa_system_sgpr_private_segment_wavefront_offset 0
		.amdhsa_system_sgpr_workgroup_id_x 1
		.amdhsa_system_sgpr_workgroup_id_y 0
		.amdhsa_system_sgpr_workgroup_id_z 0
		.amdhsa_system_sgpr_workgroup_info 0
		.amdhsa_system_vgpr_workitem_id 0
		.amdhsa_next_free_vgpr 1
		.amdhsa_next_free_sgpr 0
		.amdhsa_accum_offset 4
		.amdhsa_reserve_vcc 0
		.amdhsa_reserve_flat_scratch 0
		.amdhsa_float_round_mode_32 0
		.amdhsa_float_round_mode_16_64 0
		.amdhsa_float_denorm_mode_32 3
		.amdhsa_float_denorm_mode_16_64 3
		.amdhsa_dx10_clamp 1
		.amdhsa_ieee_mode 1
		.amdhsa_fp16_overflow 0
		.amdhsa_tg_split 0
		.amdhsa_exception_fp_ieee_invalid_op 0
		.amdhsa_exception_fp_denorm_src 0
		.amdhsa_exception_fp_ieee_div_zero 0
		.amdhsa_exception_fp_ieee_overflow 0
		.amdhsa_exception_fp_ieee_underflow 0
		.amdhsa_exception_fp_ieee_inexact 0
		.amdhsa_exception_int_div_zero 0
	.end_amdhsa_kernel
	.section	.text._ZN7rocprim17ROCPRIM_400000_NS6detail17trampoline_kernelINS0_14default_configENS1_20scan_config_selectorIxEEZZNS1_9scan_implILNS1_25lookback_scan_determinismE0ELb0ELb0ES3_N6thrust23THRUST_200600_302600_NS6detail15normal_iteratorINS9_10device_ptrIxEEEESE_x9plus_mod3IxExEEDaPvRmT3_T4_T5_mT6_P12ihipStream_tbENKUlT_T0_E_clISt17integral_constantIbLb0EESU_EEDaSP_SQ_EUlSP_E_NS1_11comp_targetILNS1_3genE0ELNS1_11target_archE4294967295ELNS1_3gpuE0ELNS1_3repE0EEENS1_30default_config_static_selectorELNS0_4arch9wavefront6targetE1EEEvT1_,"axG",@progbits,_ZN7rocprim17ROCPRIM_400000_NS6detail17trampoline_kernelINS0_14default_configENS1_20scan_config_selectorIxEEZZNS1_9scan_implILNS1_25lookback_scan_determinismE0ELb0ELb0ES3_N6thrust23THRUST_200600_302600_NS6detail15normal_iteratorINS9_10device_ptrIxEEEESE_x9plus_mod3IxExEEDaPvRmT3_T4_T5_mT6_P12ihipStream_tbENKUlT_T0_E_clISt17integral_constantIbLb0EESU_EEDaSP_SQ_EUlSP_E_NS1_11comp_targetILNS1_3genE0ELNS1_11target_archE4294967295ELNS1_3gpuE0ELNS1_3repE0EEENS1_30default_config_static_selectorELNS0_4arch9wavefront6targetE1EEEvT1_,comdat
.Lfunc_end6534:
	.size	_ZN7rocprim17ROCPRIM_400000_NS6detail17trampoline_kernelINS0_14default_configENS1_20scan_config_selectorIxEEZZNS1_9scan_implILNS1_25lookback_scan_determinismE0ELb0ELb0ES3_N6thrust23THRUST_200600_302600_NS6detail15normal_iteratorINS9_10device_ptrIxEEEESE_x9plus_mod3IxExEEDaPvRmT3_T4_T5_mT6_P12ihipStream_tbENKUlT_T0_E_clISt17integral_constantIbLb0EESU_EEDaSP_SQ_EUlSP_E_NS1_11comp_targetILNS1_3genE0ELNS1_11target_archE4294967295ELNS1_3gpuE0ELNS1_3repE0EEENS1_30default_config_static_selectorELNS0_4arch9wavefront6targetE1EEEvT1_, .Lfunc_end6534-_ZN7rocprim17ROCPRIM_400000_NS6detail17trampoline_kernelINS0_14default_configENS1_20scan_config_selectorIxEEZZNS1_9scan_implILNS1_25lookback_scan_determinismE0ELb0ELb0ES3_N6thrust23THRUST_200600_302600_NS6detail15normal_iteratorINS9_10device_ptrIxEEEESE_x9plus_mod3IxExEEDaPvRmT3_T4_T5_mT6_P12ihipStream_tbENKUlT_T0_E_clISt17integral_constantIbLb0EESU_EEDaSP_SQ_EUlSP_E_NS1_11comp_targetILNS1_3genE0ELNS1_11target_archE4294967295ELNS1_3gpuE0ELNS1_3repE0EEENS1_30default_config_static_selectorELNS0_4arch9wavefront6targetE1EEEvT1_
                                        ; -- End function
	.section	.AMDGPU.csdata,"",@progbits
; Kernel info:
; codeLenInByte = 0
; NumSgprs: 4
; NumVgprs: 0
; NumAgprs: 0
; TotalNumVgprs: 0
; ScratchSize: 0
; MemoryBound: 0
; FloatMode: 240
; IeeeMode: 1
; LDSByteSize: 0 bytes/workgroup (compile time only)
; SGPRBlocks: 0
; VGPRBlocks: 0
; NumSGPRsForWavesPerEU: 4
; NumVGPRsForWavesPerEU: 1
; AccumOffset: 4
; Occupancy: 8
; WaveLimiterHint : 0
; COMPUTE_PGM_RSRC2:SCRATCH_EN: 0
; COMPUTE_PGM_RSRC2:USER_SGPR: 6
; COMPUTE_PGM_RSRC2:TRAP_HANDLER: 0
; COMPUTE_PGM_RSRC2:TGID_X_EN: 1
; COMPUTE_PGM_RSRC2:TGID_Y_EN: 0
; COMPUTE_PGM_RSRC2:TGID_Z_EN: 0
; COMPUTE_PGM_RSRC2:TIDIG_COMP_CNT: 0
; COMPUTE_PGM_RSRC3_GFX90A:ACCUM_OFFSET: 0
; COMPUTE_PGM_RSRC3_GFX90A:TG_SPLIT: 0
	.section	.text._ZN7rocprim17ROCPRIM_400000_NS6detail17trampoline_kernelINS0_14default_configENS1_20scan_config_selectorIxEEZZNS1_9scan_implILNS1_25lookback_scan_determinismE0ELb0ELb0ES3_N6thrust23THRUST_200600_302600_NS6detail15normal_iteratorINS9_10device_ptrIxEEEESE_x9plus_mod3IxExEEDaPvRmT3_T4_T5_mT6_P12ihipStream_tbENKUlT_T0_E_clISt17integral_constantIbLb0EESU_EEDaSP_SQ_EUlSP_E_NS1_11comp_targetILNS1_3genE5ELNS1_11target_archE942ELNS1_3gpuE9ELNS1_3repE0EEENS1_30default_config_static_selectorELNS0_4arch9wavefront6targetE1EEEvT1_,"axG",@progbits,_ZN7rocprim17ROCPRIM_400000_NS6detail17trampoline_kernelINS0_14default_configENS1_20scan_config_selectorIxEEZZNS1_9scan_implILNS1_25lookback_scan_determinismE0ELb0ELb0ES3_N6thrust23THRUST_200600_302600_NS6detail15normal_iteratorINS9_10device_ptrIxEEEESE_x9plus_mod3IxExEEDaPvRmT3_T4_T5_mT6_P12ihipStream_tbENKUlT_T0_E_clISt17integral_constantIbLb0EESU_EEDaSP_SQ_EUlSP_E_NS1_11comp_targetILNS1_3genE5ELNS1_11target_archE942ELNS1_3gpuE9ELNS1_3repE0EEENS1_30default_config_static_selectorELNS0_4arch9wavefront6targetE1EEEvT1_,comdat
	.protected	_ZN7rocprim17ROCPRIM_400000_NS6detail17trampoline_kernelINS0_14default_configENS1_20scan_config_selectorIxEEZZNS1_9scan_implILNS1_25lookback_scan_determinismE0ELb0ELb0ES3_N6thrust23THRUST_200600_302600_NS6detail15normal_iteratorINS9_10device_ptrIxEEEESE_x9plus_mod3IxExEEDaPvRmT3_T4_T5_mT6_P12ihipStream_tbENKUlT_T0_E_clISt17integral_constantIbLb0EESU_EEDaSP_SQ_EUlSP_E_NS1_11comp_targetILNS1_3genE5ELNS1_11target_archE942ELNS1_3gpuE9ELNS1_3repE0EEENS1_30default_config_static_selectorELNS0_4arch9wavefront6targetE1EEEvT1_ ; -- Begin function _ZN7rocprim17ROCPRIM_400000_NS6detail17trampoline_kernelINS0_14default_configENS1_20scan_config_selectorIxEEZZNS1_9scan_implILNS1_25lookback_scan_determinismE0ELb0ELb0ES3_N6thrust23THRUST_200600_302600_NS6detail15normal_iteratorINS9_10device_ptrIxEEEESE_x9plus_mod3IxExEEDaPvRmT3_T4_T5_mT6_P12ihipStream_tbENKUlT_T0_E_clISt17integral_constantIbLb0EESU_EEDaSP_SQ_EUlSP_E_NS1_11comp_targetILNS1_3genE5ELNS1_11target_archE942ELNS1_3gpuE9ELNS1_3repE0EEENS1_30default_config_static_selectorELNS0_4arch9wavefront6targetE1EEEvT1_
	.globl	_ZN7rocprim17ROCPRIM_400000_NS6detail17trampoline_kernelINS0_14default_configENS1_20scan_config_selectorIxEEZZNS1_9scan_implILNS1_25lookback_scan_determinismE0ELb0ELb0ES3_N6thrust23THRUST_200600_302600_NS6detail15normal_iteratorINS9_10device_ptrIxEEEESE_x9plus_mod3IxExEEDaPvRmT3_T4_T5_mT6_P12ihipStream_tbENKUlT_T0_E_clISt17integral_constantIbLb0EESU_EEDaSP_SQ_EUlSP_E_NS1_11comp_targetILNS1_3genE5ELNS1_11target_archE942ELNS1_3gpuE9ELNS1_3repE0EEENS1_30default_config_static_selectorELNS0_4arch9wavefront6targetE1EEEvT1_
	.p2align	8
	.type	_ZN7rocprim17ROCPRIM_400000_NS6detail17trampoline_kernelINS0_14default_configENS1_20scan_config_selectorIxEEZZNS1_9scan_implILNS1_25lookback_scan_determinismE0ELb0ELb0ES3_N6thrust23THRUST_200600_302600_NS6detail15normal_iteratorINS9_10device_ptrIxEEEESE_x9plus_mod3IxExEEDaPvRmT3_T4_T5_mT6_P12ihipStream_tbENKUlT_T0_E_clISt17integral_constantIbLb0EESU_EEDaSP_SQ_EUlSP_E_NS1_11comp_targetILNS1_3genE5ELNS1_11target_archE942ELNS1_3gpuE9ELNS1_3repE0EEENS1_30default_config_static_selectorELNS0_4arch9wavefront6targetE1EEEvT1_,@function
_ZN7rocprim17ROCPRIM_400000_NS6detail17trampoline_kernelINS0_14default_configENS1_20scan_config_selectorIxEEZZNS1_9scan_implILNS1_25lookback_scan_determinismE0ELb0ELb0ES3_N6thrust23THRUST_200600_302600_NS6detail15normal_iteratorINS9_10device_ptrIxEEEESE_x9plus_mod3IxExEEDaPvRmT3_T4_T5_mT6_P12ihipStream_tbENKUlT_T0_E_clISt17integral_constantIbLb0EESU_EEDaSP_SQ_EUlSP_E_NS1_11comp_targetILNS1_3genE5ELNS1_11target_archE942ELNS1_3gpuE9ELNS1_3repE0EEENS1_30default_config_static_selectorELNS0_4arch9wavefront6targetE1EEEvT1_: ; @_ZN7rocprim17ROCPRIM_400000_NS6detail17trampoline_kernelINS0_14default_configENS1_20scan_config_selectorIxEEZZNS1_9scan_implILNS1_25lookback_scan_determinismE0ELb0ELb0ES3_N6thrust23THRUST_200600_302600_NS6detail15normal_iteratorINS9_10device_ptrIxEEEESE_x9plus_mod3IxExEEDaPvRmT3_T4_T5_mT6_P12ihipStream_tbENKUlT_T0_E_clISt17integral_constantIbLb0EESU_EEDaSP_SQ_EUlSP_E_NS1_11comp_targetILNS1_3genE5ELNS1_11target_archE942ELNS1_3gpuE9ELNS1_3repE0EEENS1_30default_config_static_selectorELNS0_4arch9wavefront6targetE1EEEvT1_
; %bb.0:
	.section	.rodata,"a",@progbits
	.p2align	6, 0x0
	.amdhsa_kernel _ZN7rocprim17ROCPRIM_400000_NS6detail17trampoline_kernelINS0_14default_configENS1_20scan_config_selectorIxEEZZNS1_9scan_implILNS1_25lookback_scan_determinismE0ELb0ELb0ES3_N6thrust23THRUST_200600_302600_NS6detail15normal_iteratorINS9_10device_ptrIxEEEESE_x9plus_mod3IxExEEDaPvRmT3_T4_T5_mT6_P12ihipStream_tbENKUlT_T0_E_clISt17integral_constantIbLb0EESU_EEDaSP_SQ_EUlSP_E_NS1_11comp_targetILNS1_3genE5ELNS1_11target_archE942ELNS1_3gpuE9ELNS1_3repE0EEENS1_30default_config_static_selectorELNS0_4arch9wavefront6targetE1EEEvT1_
		.amdhsa_group_segment_fixed_size 0
		.amdhsa_private_segment_fixed_size 0
		.amdhsa_kernarg_size 104
		.amdhsa_user_sgpr_count 6
		.amdhsa_user_sgpr_private_segment_buffer 1
		.amdhsa_user_sgpr_dispatch_ptr 0
		.amdhsa_user_sgpr_queue_ptr 0
		.amdhsa_user_sgpr_kernarg_segment_ptr 1
		.amdhsa_user_sgpr_dispatch_id 0
		.amdhsa_user_sgpr_flat_scratch_init 0
		.amdhsa_user_sgpr_kernarg_preload_length 0
		.amdhsa_user_sgpr_kernarg_preload_offset 0
		.amdhsa_user_sgpr_private_segment_size 0
		.amdhsa_uses_dynamic_stack 0
		.amdhsa_system_sgpr_private_segment_wavefront_offset 0
		.amdhsa_system_sgpr_workgroup_id_x 1
		.amdhsa_system_sgpr_workgroup_id_y 0
		.amdhsa_system_sgpr_workgroup_id_z 0
		.amdhsa_system_sgpr_workgroup_info 0
		.amdhsa_system_vgpr_workitem_id 0
		.amdhsa_next_free_vgpr 1
		.amdhsa_next_free_sgpr 0
		.amdhsa_accum_offset 4
		.amdhsa_reserve_vcc 0
		.amdhsa_reserve_flat_scratch 0
		.amdhsa_float_round_mode_32 0
		.amdhsa_float_round_mode_16_64 0
		.amdhsa_float_denorm_mode_32 3
		.amdhsa_float_denorm_mode_16_64 3
		.amdhsa_dx10_clamp 1
		.amdhsa_ieee_mode 1
		.amdhsa_fp16_overflow 0
		.amdhsa_tg_split 0
		.amdhsa_exception_fp_ieee_invalid_op 0
		.amdhsa_exception_fp_denorm_src 0
		.amdhsa_exception_fp_ieee_div_zero 0
		.amdhsa_exception_fp_ieee_overflow 0
		.amdhsa_exception_fp_ieee_underflow 0
		.amdhsa_exception_fp_ieee_inexact 0
		.amdhsa_exception_int_div_zero 0
	.end_amdhsa_kernel
	.section	.text._ZN7rocprim17ROCPRIM_400000_NS6detail17trampoline_kernelINS0_14default_configENS1_20scan_config_selectorIxEEZZNS1_9scan_implILNS1_25lookback_scan_determinismE0ELb0ELb0ES3_N6thrust23THRUST_200600_302600_NS6detail15normal_iteratorINS9_10device_ptrIxEEEESE_x9plus_mod3IxExEEDaPvRmT3_T4_T5_mT6_P12ihipStream_tbENKUlT_T0_E_clISt17integral_constantIbLb0EESU_EEDaSP_SQ_EUlSP_E_NS1_11comp_targetILNS1_3genE5ELNS1_11target_archE942ELNS1_3gpuE9ELNS1_3repE0EEENS1_30default_config_static_selectorELNS0_4arch9wavefront6targetE1EEEvT1_,"axG",@progbits,_ZN7rocprim17ROCPRIM_400000_NS6detail17trampoline_kernelINS0_14default_configENS1_20scan_config_selectorIxEEZZNS1_9scan_implILNS1_25lookback_scan_determinismE0ELb0ELb0ES3_N6thrust23THRUST_200600_302600_NS6detail15normal_iteratorINS9_10device_ptrIxEEEESE_x9plus_mod3IxExEEDaPvRmT3_T4_T5_mT6_P12ihipStream_tbENKUlT_T0_E_clISt17integral_constantIbLb0EESU_EEDaSP_SQ_EUlSP_E_NS1_11comp_targetILNS1_3genE5ELNS1_11target_archE942ELNS1_3gpuE9ELNS1_3repE0EEENS1_30default_config_static_selectorELNS0_4arch9wavefront6targetE1EEEvT1_,comdat
.Lfunc_end6535:
	.size	_ZN7rocprim17ROCPRIM_400000_NS6detail17trampoline_kernelINS0_14default_configENS1_20scan_config_selectorIxEEZZNS1_9scan_implILNS1_25lookback_scan_determinismE0ELb0ELb0ES3_N6thrust23THRUST_200600_302600_NS6detail15normal_iteratorINS9_10device_ptrIxEEEESE_x9plus_mod3IxExEEDaPvRmT3_T4_T5_mT6_P12ihipStream_tbENKUlT_T0_E_clISt17integral_constantIbLb0EESU_EEDaSP_SQ_EUlSP_E_NS1_11comp_targetILNS1_3genE5ELNS1_11target_archE942ELNS1_3gpuE9ELNS1_3repE0EEENS1_30default_config_static_selectorELNS0_4arch9wavefront6targetE1EEEvT1_, .Lfunc_end6535-_ZN7rocprim17ROCPRIM_400000_NS6detail17trampoline_kernelINS0_14default_configENS1_20scan_config_selectorIxEEZZNS1_9scan_implILNS1_25lookback_scan_determinismE0ELb0ELb0ES3_N6thrust23THRUST_200600_302600_NS6detail15normal_iteratorINS9_10device_ptrIxEEEESE_x9plus_mod3IxExEEDaPvRmT3_T4_T5_mT6_P12ihipStream_tbENKUlT_T0_E_clISt17integral_constantIbLb0EESU_EEDaSP_SQ_EUlSP_E_NS1_11comp_targetILNS1_3genE5ELNS1_11target_archE942ELNS1_3gpuE9ELNS1_3repE0EEENS1_30default_config_static_selectorELNS0_4arch9wavefront6targetE1EEEvT1_
                                        ; -- End function
	.section	.AMDGPU.csdata,"",@progbits
; Kernel info:
; codeLenInByte = 0
; NumSgprs: 4
; NumVgprs: 0
; NumAgprs: 0
; TotalNumVgprs: 0
; ScratchSize: 0
; MemoryBound: 0
; FloatMode: 240
; IeeeMode: 1
; LDSByteSize: 0 bytes/workgroup (compile time only)
; SGPRBlocks: 0
; VGPRBlocks: 0
; NumSGPRsForWavesPerEU: 4
; NumVGPRsForWavesPerEU: 1
; AccumOffset: 4
; Occupancy: 8
; WaveLimiterHint : 0
; COMPUTE_PGM_RSRC2:SCRATCH_EN: 0
; COMPUTE_PGM_RSRC2:USER_SGPR: 6
; COMPUTE_PGM_RSRC2:TRAP_HANDLER: 0
; COMPUTE_PGM_RSRC2:TGID_X_EN: 1
; COMPUTE_PGM_RSRC2:TGID_Y_EN: 0
; COMPUTE_PGM_RSRC2:TGID_Z_EN: 0
; COMPUTE_PGM_RSRC2:TIDIG_COMP_CNT: 0
; COMPUTE_PGM_RSRC3_GFX90A:ACCUM_OFFSET: 0
; COMPUTE_PGM_RSRC3_GFX90A:TG_SPLIT: 0
	.section	.text._ZN7rocprim17ROCPRIM_400000_NS6detail17trampoline_kernelINS0_14default_configENS1_20scan_config_selectorIxEEZZNS1_9scan_implILNS1_25lookback_scan_determinismE0ELb0ELb0ES3_N6thrust23THRUST_200600_302600_NS6detail15normal_iteratorINS9_10device_ptrIxEEEESE_x9plus_mod3IxExEEDaPvRmT3_T4_T5_mT6_P12ihipStream_tbENKUlT_T0_E_clISt17integral_constantIbLb0EESU_EEDaSP_SQ_EUlSP_E_NS1_11comp_targetILNS1_3genE4ELNS1_11target_archE910ELNS1_3gpuE8ELNS1_3repE0EEENS1_30default_config_static_selectorELNS0_4arch9wavefront6targetE1EEEvT1_,"axG",@progbits,_ZN7rocprim17ROCPRIM_400000_NS6detail17trampoline_kernelINS0_14default_configENS1_20scan_config_selectorIxEEZZNS1_9scan_implILNS1_25lookback_scan_determinismE0ELb0ELb0ES3_N6thrust23THRUST_200600_302600_NS6detail15normal_iteratorINS9_10device_ptrIxEEEESE_x9plus_mod3IxExEEDaPvRmT3_T4_T5_mT6_P12ihipStream_tbENKUlT_T0_E_clISt17integral_constantIbLb0EESU_EEDaSP_SQ_EUlSP_E_NS1_11comp_targetILNS1_3genE4ELNS1_11target_archE910ELNS1_3gpuE8ELNS1_3repE0EEENS1_30default_config_static_selectorELNS0_4arch9wavefront6targetE1EEEvT1_,comdat
	.protected	_ZN7rocprim17ROCPRIM_400000_NS6detail17trampoline_kernelINS0_14default_configENS1_20scan_config_selectorIxEEZZNS1_9scan_implILNS1_25lookback_scan_determinismE0ELb0ELb0ES3_N6thrust23THRUST_200600_302600_NS6detail15normal_iteratorINS9_10device_ptrIxEEEESE_x9plus_mod3IxExEEDaPvRmT3_T4_T5_mT6_P12ihipStream_tbENKUlT_T0_E_clISt17integral_constantIbLb0EESU_EEDaSP_SQ_EUlSP_E_NS1_11comp_targetILNS1_3genE4ELNS1_11target_archE910ELNS1_3gpuE8ELNS1_3repE0EEENS1_30default_config_static_selectorELNS0_4arch9wavefront6targetE1EEEvT1_ ; -- Begin function _ZN7rocprim17ROCPRIM_400000_NS6detail17trampoline_kernelINS0_14default_configENS1_20scan_config_selectorIxEEZZNS1_9scan_implILNS1_25lookback_scan_determinismE0ELb0ELb0ES3_N6thrust23THRUST_200600_302600_NS6detail15normal_iteratorINS9_10device_ptrIxEEEESE_x9plus_mod3IxExEEDaPvRmT3_T4_T5_mT6_P12ihipStream_tbENKUlT_T0_E_clISt17integral_constantIbLb0EESU_EEDaSP_SQ_EUlSP_E_NS1_11comp_targetILNS1_3genE4ELNS1_11target_archE910ELNS1_3gpuE8ELNS1_3repE0EEENS1_30default_config_static_selectorELNS0_4arch9wavefront6targetE1EEEvT1_
	.globl	_ZN7rocprim17ROCPRIM_400000_NS6detail17trampoline_kernelINS0_14default_configENS1_20scan_config_selectorIxEEZZNS1_9scan_implILNS1_25lookback_scan_determinismE0ELb0ELb0ES3_N6thrust23THRUST_200600_302600_NS6detail15normal_iteratorINS9_10device_ptrIxEEEESE_x9plus_mod3IxExEEDaPvRmT3_T4_T5_mT6_P12ihipStream_tbENKUlT_T0_E_clISt17integral_constantIbLb0EESU_EEDaSP_SQ_EUlSP_E_NS1_11comp_targetILNS1_3genE4ELNS1_11target_archE910ELNS1_3gpuE8ELNS1_3repE0EEENS1_30default_config_static_selectorELNS0_4arch9wavefront6targetE1EEEvT1_
	.p2align	8
	.type	_ZN7rocprim17ROCPRIM_400000_NS6detail17trampoline_kernelINS0_14default_configENS1_20scan_config_selectorIxEEZZNS1_9scan_implILNS1_25lookback_scan_determinismE0ELb0ELb0ES3_N6thrust23THRUST_200600_302600_NS6detail15normal_iteratorINS9_10device_ptrIxEEEESE_x9plus_mod3IxExEEDaPvRmT3_T4_T5_mT6_P12ihipStream_tbENKUlT_T0_E_clISt17integral_constantIbLb0EESU_EEDaSP_SQ_EUlSP_E_NS1_11comp_targetILNS1_3genE4ELNS1_11target_archE910ELNS1_3gpuE8ELNS1_3repE0EEENS1_30default_config_static_selectorELNS0_4arch9wavefront6targetE1EEEvT1_,@function
_ZN7rocprim17ROCPRIM_400000_NS6detail17trampoline_kernelINS0_14default_configENS1_20scan_config_selectorIxEEZZNS1_9scan_implILNS1_25lookback_scan_determinismE0ELb0ELb0ES3_N6thrust23THRUST_200600_302600_NS6detail15normal_iteratorINS9_10device_ptrIxEEEESE_x9plus_mod3IxExEEDaPvRmT3_T4_T5_mT6_P12ihipStream_tbENKUlT_T0_E_clISt17integral_constantIbLb0EESU_EEDaSP_SQ_EUlSP_E_NS1_11comp_targetILNS1_3genE4ELNS1_11target_archE910ELNS1_3gpuE8ELNS1_3repE0EEENS1_30default_config_static_selectorELNS0_4arch9wavefront6targetE1EEEvT1_: ; @_ZN7rocprim17ROCPRIM_400000_NS6detail17trampoline_kernelINS0_14default_configENS1_20scan_config_selectorIxEEZZNS1_9scan_implILNS1_25lookback_scan_determinismE0ELb0ELb0ES3_N6thrust23THRUST_200600_302600_NS6detail15normal_iteratorINS9_10device_ptrIxEEEESE_x9plus_mod3IxExEEDaPvRmT3_T4_T5_mT6_P12ihipStream_tbENKUlT_T0_E_clISt17integral_constantIbLb0EESU_EEDaSP_SQ_EUlSP_E_NS1_11comp_targetILNS1_3genE4ELNS1_11target_archE910ELNS1_3gpuE8ELNS1_3repE0EEENS1_30default_config_static_selectorELNS0_4arch9wavefront6targetE1EEEvT1_
; %bb.0:
	s_load_dwordx8 s[8:15], s[4:5], 0x0
	s_load_dword s1, s[4:5], 0x38
	s_mul_i32 s0, s6, 0x380
	v_lshlrev_b32_e32 v34, 3, v0
	s_waitcnt lgkmcnt(0)
	s_lshl_b64 s[20:21], s[10:11], 3
	s_add_u32 s2, s8, s20
	s_addc_u32 s3, s9, s21
	s_add_i32 s7, s1, -1
	s_mul_i32 s8, s7, 0x380
	s_sub_u32 s33, s14, s8
	s_subb_u32 s36, s15, 0
	s_mov_b32 s1, 0
	s_cmp_lg_u32 s6, s7
	s_cselect_b64 s[14:15], -1, 0
	s_lshl_b64 s[22:23], s[0:1], 3
	s_add_u32 s2, s2, s22
	s_addc_u32 s3, s3, s23
	s_mov_b64 s[0:1], -1
	s_and_b64 vcc, exec, s[14:15]
	s_cbranch_vccz .LBB6536_2
; %bb.1:
	v_mov_b32_e32 v1, s3
	v_add_co_u32_e32 v2, vcc, s2, v34
	v_addc_co_u32_e32 v3, vcc, 0, v1, vcc
	flat_load_dwordx2 v[4:5], v[2:3]
	flat_load_dwordx2 v[6:7], v[2:3] offset:1024
	flat_load_dwordx2 v[8:9], v[2:3] offset:2048
	;; [unrolled: 1-line block ×3, first 2 shown]
	v_add_co_u32_e32 v2, vcc, 0x1000, v2
	v_addc_co_u32_e32 v3, vcc, 0, v3, vcc
	flat_load_dwordx2 v[12:13], v[2:3]
	flat_load_dwordx2 v[14:15], v[2:3] offset:1024
	flat_load_dwordx2 v[16:17], v[2:3] offset:2048
	s_mov_b64 s[0:1], 0
	s_waitcnt vmcnt(0) lgkmcnt(0)
	ds_write2st64_b64 v34, v[4:5], v[6:7] offset1:2
	ds_write2st64_b64 v34, v[8:9], v[10:11] offset0:4 offset1:6
	ds_write2st64_b64 v34, v[12:13], v[14:15] offset0:8 offset1:10
	ds_write_b64 v34, v[16:17] offset:6144
	s_waitcnt lgkmcnt(0)
	s_barrier
.LBB6536_2:
	s_load_dwordx4 s[16:19], s[4:5], 0x28
	s_andn2_b64 vcc, exec, s[0:1]
	v_cmp_gt_u32_e64 s[0:1], s33, v0
	s_cbranch_vccnz .LBB6536_18
; %bb.3:
	v_pk_mov_b32 v[2:3], s[2:3], s[2:3] op_sel:[0,1]
	flat_load_dwordx2 v[2:3], v[2:3]
	s_waitcnt vmcnt(0) lgkmcnt(0)
	v_mov_b32_e32 v4, v2
	v_mov_b32_e32 v5, v3
	;; [unrolled: 1-line block ×10, first 2 shown]
	v_pk_mov_b32 v[18:19], v[14:15], v[14:15] op_sel:[0,1]
	v_pk_mov_b32 v[16:17], v[12:13], v[12:13] op_sel:[0,1]
	;; [unrolled: 1-line block ×8, first 2 shown]
	s_and_saveexec_b64 s[8:9], s[0:1]
	s_cbranch_execz .LBB6536_5
; %bb.4:
	v_mov_b32_e32 v1, s3
	v_add_co_u32_e32 v4, vcc, s2, v34
	v_addc_co_u32_e32 v5, vcc, 0, v1, vcc
	flat_load_dwordx2 v[20:21], v[4:5]
	v_mov_b32_e32 v4, v2
	v_mov_b32_e32 v5, v3
	;; [unrolled: 1-line block ×10, first 2 shown]
	v_pk_mov_b32 v[18:19], v[14:15], v[14:15] op_sel:[0,1]
	v_pk_mov_b32 v[16:17], v[12:13], v[12:13] op_sel:[0,1]
	;; [unrolled: 1-line block ×8, first 2 shown]
	s_waitcnt vmcnt(0) lgkmcnt(0)
	v_pk_mov_b32 v[2:3], v[20:21], v[20:21] op_sel:[0,1]
.LBB6536_5:
	s_or_b64 exec, exec, s[8:9]
	v_or_b32_e32 v1, 0x80, v0
	v_cmp_gt_u32_e32 vcc, s33, v1
	s_and_saveexec_b64 s[0:1], vcc
	s_cbranch_execz .LBB6536_7
; %bb.6:
	v_mov_b32_e32 v1, s3
	v_add_co_u32_e32 v4, vcc, s2, v34
	v_addc_co_u32_e32 v5, vcc, 0, v1, vcc
	flat_load_dwordx2 v[6:7], v[4:5] offset:1024
.LBB6536_7:
	s_or_b64 exec, exec, s[0:1]
	v_or_b32_e32 v1, 0x100, v0
	v_cmp_gt_u32_e32 vcc, s33, v1
	s_and_saveexec_b64 s[0:1], vcc
	s_cbranch_execz .LBB6536_9
; %bb.8:
	v_mov_b32_e32 v1, s3
	v_add_co_u32_e32 v4, vcc, s2, v34
	v_addc_co_u32_e32 v5, vcc, 0, v1, vcc
	flat_load_dwordx2 v[8:9], v[4:5] offset:2048
.LBB6536_9:
	;; [unrolled: 11-line block ×3, first 2 shown]
	s_or_b64 exec, exec, s[0:1]
	v_or_b32_e32 v1, 0x200, v0
	v_cmp_gt_u32_e32 vcc, s33, v1
	s_and_saveexec_b64 s[0:1], vcc
	s_cbranch_execz .LBB6536_13
; %bb.12:
	v_lshlrev_b32_e32 v1, 3, v1
	v_mov_b32_e32 v5, s3
	v_add_co_u32_e32 v4, vcc, s2, v1
	v_addc_co_u32_e32 v5, vcc, 0, v5, vcc
	flat_load_dwordx2 v[12:13], v[4:5]
.LBB6536_13:
	s_or_b64 exec, exec, s[0:1]
	v_or_b32_e32 v1, 0x280, v0
	v_cmp_gt_u32_e32 vcc, s33, v1
	s_and_saveexec_b64 s[0:1], vcc
	s_cbranch_execz .LBB6536_15
; %bb.14:
	v_lshlrev_b32_e32 v1, 3, v1
	v_mov_b32_e32 v5, s3
	v_add_co_u32_e32 v4, vcc, s2, v1
	v_addc_co_u32_e32 v5, vcc, 0, v5, vcc
	flat_load_dwordx2 v[14:15], v[4:5]
.LBB6536_15:
	;; [unrolled: 12-line block ×3, first 2 shown]
	s_or_b64 exec, exec, s[0:1]
	s_waitcnt vmcnt(0) lgkmcnt(0)
	ds_write2st64_b64 v34, v[2:3], v[6:7] offset1:2
	ds_write2st64_b64 v34, v[8:9], v[10:11] offset0:4 offset1:6
	ds_write2st64_b64 v34, v[12:13], v[14:15] offset0:8 offset1:10
	ds_write_b64 v34, v[16:17] offset:6144
	s_waitcnt lgkmcnt(0)
	s_barrier
.LBB6536_18:
	v_mul_u32_u24_e32 v35, 7, v0
	v_lshlrev_b32_e32 v1, 3, v35
	s_waitcnt lgkmcnt(0)
	ds_read2_b64 v[2:5], v1 offset1:1
	ds_read2_b64 v[10:13], v1 offset0:2 offset1:3
	ds_read2_b64 v[6:9], v1 offset0:4 offset1:5
	ds_read_b64 v[26:27], v1 offset:48
	s_cmp_lg_u32 s6, 0
	v_lshrrev_b32_e32 v1, 5, v0
	v_cmp_gt_u32_e32 vcc, 64, v0
	s_waitcnt lgkmcnt(0)
	s_barrier
	s_cbranch_scc0 .LBB6536_84
; %bb.19:
	v_add_u32_e32 v19, v4, v2
	v_mov_b32_e32 v18, 0
	v_ashrrev_i64 v[14:15], 29, v[18:19]
	v_mov_b32_e32 v5, s17
	v_add_co_u32_e64 v14, s[0:1], s16, v14
	v_addc_co_u32_e64 v15, s[0:1], v5, v15, s[0:1]
	global_load_dword v5, v[14:15], off
	v_mov_b32_e32 v7, s17
	s_waitcnt vmcnt(0)
	v_add_u32_e32 v19, v5, v10
	v_ashrrev_i64 v[14:15], 29, v[18:19]
	v_add_co_u32_e64 v14, s[0:1], s16, v14
	v_addc_co_u32_e64 v15, s[0:1], v7, v15, s[0:1]
	global_load_dword v5, v[14:15], off
	s_waitcnt vmcnt(0)
	v_add_u32_e32 v19, v5, v12
	v_ashrrev_i64 v[14:15], 29, v[18:19]
	v_add_co_u32_e64 v14, s[0:1], s16, v14
	v_addc_co_u32_e64 v15, s[0:1], v7, v15, s[0:1]
	global_load_dword v5, v[14:15], off
	;; [unrolled: 6-line block ×4, first 2 shown]
	s_waitcnt vmcnt(0)
	v_add_u32_e32 v19, v5, v26
	v_ashrrev_i64 v[14:15], 29, v[18:19]
	v_add_co_u32_e64 v14, s[0:1], s16, v14
	v_addc_co_u32_e64 v15, s[0:1], v7, v15, s[0:1]
	global_load_dwordx2 v[22:23], v[14:15], off
	v_add_lshl_u32 v5, v1, v0, 3
	s_waitcnt vmcnt(0)
	ds_write_b64 v5, v[22:23]
	s_waitcnt lgkmcnt(0)
	s_barrier
	s_and_saveexec_b64 s[2:3], vcc
	s_cbranch_execz .LBB6536_33
; %bb.20:
	v_lshlrev_b32_e32 v5, 1, v0
	v_lshrrev_b32_e32 v7, 4, v0
	v_add_lshl_u32 v5, v7, v5, 3
	ds_read2_b64 v[14:17], v5 offset1:1
	v_mov_b32_e32 v7, s17
	s_waitcnt lgkmcnt(0)
	v_add_u32_e32 v19, v16, v14
	v_ashrrev_i64 v[16:17], 29, v[18:19]
	v_add_co_u32_e64 v16, s[0:1], s16, v16
	v_addc_co_u32_e64 v17, s[0:1], v7, v17, s[0:1]
	global_load_dwordx2 v[16:17], v[16:17], off
	v_mbcnt_lo_u32_b32 v7, -1, 0
	v_mbcnt_hi_u32_b32 v7, -1, v7
	v_and_b32_e32 v9, 15, v7
	v_cmp_ne_u32_e64 s[0:1], 0, v9
	s_waitcnt vmcnt(0)
	v_mov_b32_dpp v11, v16 row_shr:1 row_mask:0xf bank_mask:0xf
	s_and_saveexec_b64 s[8:9], s[0:1]
	s_cbranch_execz .LBB6536_22
; %bb.21:
	v_add_u32_e32 v17, v16, v11
	v_mov_b32_e32 v16, 0
	v_ashrrev_i64 v[16:17], 29, v[16:17]
	v_mov_b32_e32 v11, s17
	v_add_co_u32_e64 v16, s[0:1], s16, v16
	v_addc_co_u32_e64 v17, s[0:1], v11, v17, s[0:1]
	global_load_dwordx2 v[16:17], v[16:17], off
.LBB6536_22:
	s_or_b64 exec, exec, s[8:9]
	s_waitcnt vmcnt(0)
	v_mov_b32_dpp v11, v16 row_shr:2 row_mask:0xf bank_mask:0xf
	v_cmp_lt_u32_e64 s[0:1], 1, v9
	s_and_saveexec_b64 s[8:9], s[0:1]
	s_cbranch_execz .LBB6536_24
; %bb.23:
	v_add_u32_e32 v17, v16, v11
	v_mov_b32_e32 v16, 0
	v_ashrrev_i64 v[16:17], 29, v[16:17]
	v_mov_b32_e32 v11, s17
	v_add_co_u32_e64 v16, s[0:1], s16, v16
	v_addc_co_u32_e64 v17, s[0:1], v11, v17, s[0:1]
	global_load_dwordx2 v[16:17], v[16:17], off
.LBB6536_24:
	s_or_b64 exec, exec, s[8:9]
	s_waitcnt vmcnt(0)
	v_mov_b32_dpp v11, v16 row_shr:4 row_mask:0xf bank_mask:0xf
	v_cmp_lt_u32_e64 s[0:1], 3, v9
	;; [unrolled: 15-line block ×3, first 2 shown]
	s_and_saveexec_b64 s[8:9], s[0:1]
	s_cbranch_execz .LBB6536_28
; %bb.27:
	v_add_u32_e32 v17, v16, v11
	v_mov_b32_e32 v16, 0
	v_ashrrev_i64 v[16:17], 29, v[16:17]
	v_mov_b32_e32 v9, s17
	v_add_co_u32_e64 v16, s[0:1], s16, v16
	v_addc_co_u32_e64 v17, s[0:1], v9, v17, s[0:1]
	global_load_dwordx2 v[16:17], v[16:17], off
.LBB6536_28:
	s_or_b64 exec, exec, s[8:9]
	v_and_b32_e32 v11, 16, v7
	s_waitcnt vmcnt(0)
	v_mov_b32_dpp v9, v16 row_bcast:15 row_mask:0xf bank_mask:0xf
	v_cmp_ne_u32_e64 s[0:1], 0, v11
	s_and_saveexec_b64 s[8:9], s[0:1]
	s_cbranch_execz .LBB6536_30
; %bb.29:
	v_add_u32_e32 v17, v16, v9
	v_mov_b32_e32 v16, 0
	v_ashrrev_i64 v[16:17], 29, v[16:17]
	v_mov_b32_e32 v9, s17
	v_add_co_u32_e64 v16, s[0:1], s16, v16
	v_addc_co_u32_e64 v17, s[0:1], v9, v17, s[0:1]
	global_load_dwordx2 v[16:17], v[16:17], off
.LBB6536_30:
	s_or_b64 exec, exec, s[8:9]
	s_waitcnt vmcnt(0)
	v_mov_b32_dpp v9, v16 row_bcast:31 row_mask:0xf bank_mask:0xf
	v_cmp_lt_u32_e64 s[0:1], 31, v7
	s_and_saveexec_b64 s[8:9], s[0:1]
	s_cbranch_execz .LBB6536_32
; %bb.31:
	v_add_u32_e32 v17, v16, v9
	v_mov_b32_e32 v16, 0
	v_ashrrev_i64 v[16:17], 29, v[16:17]
	v_mov_b32_e32 v9, s17
	v_add_co_u32_e64 v16, s[0:1], s16, v16
	v_addc_co_u32_e64 v17, s[0:1], v9, v17, s[0:1]
	global_load_dword v16, v[16:17], off
.LBB6536_32:
	s_or_b64 exec, exec, s[8:9]
	v_add_u32_e32 v9, -1, v7
	v_and_b32_e32 v11, 64, v7
	v_cmp_lt_i32_e64 s[0:1], v9, v11
	v_cndmask_b32_e64 v7, v9, v7, s[0:1]
	v_lshlrev_b32_e32 v7, 2, v7
	s_waitcnt vmcnt(0)
	ds_bpermute_b32 v7, v7, v16
	v_mov_b32_e32 v16, 0
	v_mov_b32_e32 v9, s17
	s_waitcnt lgkmcnt(0)
	v_add_u32_e32 v17, v14, v7
	v_ashrrev_i64 v[14:15], 29, v[16:17]
	v_add_co_u32_e64 v14, s[0:1], s16, v14
	v_addc_co_u32_e64 v15, s[0:1], v9, v15, s[0:1]
	global_load_dwordx2 v[14:15], v[14:15], off
	v_cmp_eq_u32_e64 s[0:1], 0, v0
	; wave barrier
	s_waitcnt vmcnt(0)
	v_cndmask_b32_e64 v15, v15, v23, s[0:1]
	v_cndmask_b32_e64 v14, v14, v22, s[0:1]
	ds_write_b64 v5, v[14:15]
	; wave barrier
	ds_read_b32 v7, v5 offset:8
	s_waitcnt lgkmcnt(0)
	v_add_u32_e32 v17, v7, v14
	v_ashrrev_i64 v[14:15], 29, v[16:17]
	v_add_co_u32_e64 v14, s[0:1], s16, v14
	v_addc_co_u32_e64 v15, s[0:1], v9, v15, s[0:1]
	global_load_dwordx2 v[14:15], v[14:15], off
	s_waitcnt vmcnt(0)
	ds_write_b64 v5, v[14:15] offset:8
.LBB6536_33:
	s_or_b64 exec, exec, s[2:3]
	v_cmp_eq_u32_e64 s[2:3], 0, v0
	v_cmp_ne_u32_e64 s[0:1], 0, v0
	s_waitcnt lgkmcnt(0)
	s_barrier
	s_and_saveexec_b64 s[8:9], s[0:1]
	s_cbranch_execz .LBB6536_35
; %bb.34:
	v_add_u32_e32 v5, -1, v0
	v_lshrrev_b32_e32 v7, 5, v5
	v_add_lshl_u32 v5, v7, v5, 3
	ds_read_b64 v[22:23], v5
.LBB6536_35:
	s_or_b64 exec, exec, s[8:9]
	s_and_saveexec_b64 s[10:11], vcc
	s_cbranch_execz .LBB6536_81
; %bb.36:
	v_mov_b32_e32 v17, 0
	ds_read_b64 v[14:15], v17 offset:1040
	v_mbcnt_lo_u32_b32 v5, -1, 0
	v_mbcnt_hi_u32_b32 v25, -1, v5
	s_mov_b32 s27, 0
	v_cmp_eq_u32_e64 s[8:9], 0, v25
	s_and_saveexec_b64 s[24:25], s[8:9]
	s_cbranch_execz .LBB6536_38
; %bb.37:
	s_add_i32 s26, s6, 64
	s_lshl_b64 s[26:27], s[26:27], 4
	s_add_u32 s26, s18, s26
	s_addc_u32 s27, s19, s27
	v_mov_b32_e32 v16, 1
	v_pk_mov_b32 v[18:19], s[26:27], s[26:27] op_sel:[0,1]
	s_waitcnt lgkmcnt(0)
	;;#ASMSTART
	global_store_dwordx4 v[18:19], v[14:17] off	
s_waitcnt vmcnt(0)
	;;#ASMEND
.LBB6536_38:
	s_or_b64 exec, exec, s[24:25]
	v_xad_u32 v24, v25, -1, s6
	v_add_u32_e32 v16, 64, v24
	v_lshlrev_b64 v[18:19], 4, v[16:17]
	v_mov_b32_e32 v5, s19
	v_add_co_u32_e32 v28, vcc, s18, v18
	v_addc_co_u32_e32 v29, vcc, v5, v19, vcc
	;;#ASMSTART
	global_load_dwordx4 v[18:21], v[28:29] off glc	
s_waitcnt vmcnt(0)
	;;#ASMEND
	v_and_b32_e32 v5, 0xff, v19
	v_and_b32_e32 v7, 0xff00, v19
	v_or3_b32 v5, 0, v5, v7
	v_or3_b32 v7, v18, 0, 0
	v_and_b32_e32 v9, 0xff000000, v19
	v_and_b32_e32 v11, 0xff0000, v19
	v_or3_b32 v19, v5, v11, v9
	v_or3_b32 v18, v7, 0, 0
	v_cmp_eq_u16_sdwa s[26:27], v20, v17 src0_sel:BYTE_0 src1_sel:DWORD
	s_and_saveexec_b64 s[24:25], s[26:27]
	s_cbranch_execz .LBB6536_42
; %bb.39:
	s_mov_b64 s[26:27], 0
	v_mov_b32_e32 v5, 0
.LBB6536_40:                            ; =>This Inner Loop Header: Depth=1
	;;#ASMSTART
	global_load_dwordx4 v[18:21], v[28:29] off glc	
s_waitcnt vmcnt(0)
	;;#ASMEND
	v_cmp_ne_u16_sdwa s[28:29], v20, v5 src0_sel:BYTE_0 src1_sel:DWORD
	s_or_b64 s[26:27], s[28:29], s[26:27]
	s_andn2_b64 exec, exec, s[26:27]
	s_cbranch_execnz .LBB6536_40
; %bb.41:
	s_or_b64 exec, exec, s[26:27]
.LBB6536_42:
	s_or_b64 exec, exec, s[24:25]
	v_mov_b32_e32 v5, 2
	v_cmp_eq_u16_sdwa s[24:25], v20, v5 src0_sel:BYTE_0 src1_sel:DWORD
	v_lshlrev_b64 v[16:17], v25, -1
	v_and_b32_e32 v5, s25, v17
	v_or_b32_e32 v5, 0x80000000, v5
	v_ffbl_b32_e32 v13, v5
	v_and_b32_e32 v5, 63, v25
	v_cmp_ne_u32_e32 vcc, 63, v5
	v_addc_co_u32_e32 v7, vcc, 0, v25, vcc
	v_lshlrev_b32_e32 v7, 2, v7
	ds_bpermute_b32 v9, v7, v18
	v_and_b32_e32 v11, s24, v16
	v_add_u32_e32 v13, 32, v13
	v_ffbl_b32_e32 v11, v11
	v_min_u32_e32 v21, v11, v13
	v_cmp_lt_u32_e32 vcc, v5, v21
	s_and_saveexec_b64 s[24:25], vcc
	s_cbranch_execz .LBB6536_44
; %bb.43:
	s_waitcnt lgkmcnt(0)
	v_add_u32_e32 v19, v18, v9
	v_mov_b32_e32 v18, 0
	v_ashrrev_i64 v[18:19], 29, v[18:19]
	v_mov_b32_e32 v9, s17
	v_add_co_u32_e32 v18, vcc, s16, v18
	v_addc_co_u32_e32 v19, vcc, v9, v19, vcc
	global_load_dwordx2 v[18:19], v[18:19], off
.LBB6536_44:
	s_or_b64 exec, exec, s[24:25]
	v_cmp_gt_u32_e32 vcc, 62, v5
	s_waitcnt lgkmcnt(0)
	v_cndmask_b32_e64 v9, 0, 1, vcc
	v_lshlrev_b32_e32 v9, 1, v9
	v_add_lshl_u32 v9, v9, v25, 2
	s_waitcnt vmcnt(0)
	ds_bpermute_b32 v13, v9, v18
	v_add_u32_e32 v11, 2, v5
	v_cmp_le_u32_e32 vcc, v11, v21
	s_and_saveexec_b64 s[24:25], vcc
	s_cbranch_execz .LBB6536_46
; %bb.45:
	s_waitcnt lgkmcnt(0)
	v_add_u32_e32 v19, v18, v13
	v_mov_b32_e32 v18, 0
	v_ashrrev_i64 v[18:19], 29, v[18:19]
	v_mov_b32_e32 v13, s17
	v_add_co_u32_e32 v18, vcc, s16, v18
	v_addc_co_u32_e32 v19, vcc, v13, v19, vcc
	global_load_dwordx2 v[18:19], v[18:19], off
.LBB6536_46:
	s_or_b64 exec, exec, s[24:25]
	v_cmp_gt_u32_e32 vcc, 60, v5
	s_waitcnt lgkmcnt(0)
	v_cndmask_b32_e64 v13, 0, 1, vcc
	v_lshlrev_b32_e32 v13, 2, v13
	v_add_lshl_u32 v13, v13, v25, 2
	s_waitcnt vmcnt(0)
	ds_bpermute_b32 v23, v13, v18
	v_add_u32_e32 v15, 4, v5
	v_cmp_le_u32_e32 vcc, v15, v21
	;; [unrolled: 22-line block ×5, first 2 shown]
	s_mov_b64 s[24:25], -1
                                        ; implicit-def: $vgpr30_vgpr31
	s_and_saveexec_b64 s[26:27], vcc
	s_cbranch_execz .LBB6536_54
; %bb.53:
	s_waitcnt lgkmcnt(0)
	v_add_co_u32_e32 v30, vcc, v18, v25
	s_xor_b64 s[24:25], exec, -1
.LBB6536_54:
	s_or_b64 exec, exec, s[26:27]
	s_mov_b64 s[26:27], 0
	s_waitcnt lgkmcnt(0)
	v_mov_b32_e32 v25, 0
	v_mov_b32_e32 v38, 2
                                        ; implicit-def: $sgpr28_sgpr29
	s_branch .LBB6536_56
.LBB6536_55:                            ;   in Loop: Header=BB6536_56 Depth=1
	s_or_b64 exec, exec, s[24:25]
	v_subrev_u32_e32 v24, 64, v24
	s_waitcnt vmcnt(0)
	v_add_co_u32_e32 v30, vcc, v18, v28
	s_mov_b64 s[24:25], 0
	s_mov_b64 s[26:27], 0
                                        ; implicit-def: $sgpr28_sgpr29
.LBB6536_56:                            ; =>This Loop Header: Depth=1
                                        ;     Child Loop BB6536_62 Depth 2
	s_waitcnt vmcnt(0) lgkmcnt(0)
	v_pk_mov_b32 v[28:29], v[18:19], v[18:19] op_sel:[0,1]
	s_xor_b64 s[34:35], s[24:25], -1
	s_or_b64 s[28:29], s[28:29], exec
                                        ; implicit-def: $sgpr30_sgpr31
	s_and_saveexec_b64 s[38:39], s[34:35]
	s_xor_b64 s[34:35], exec, s[38:39]
	s_cbranch_execz .LBB6536_58
; %bb.57:                               ;   in Loop: Header=BB6536_56 Depth=1
	v_mov_b32_e32 v18, v25
	v_mov_b32_e32 v19, v30
	v_ashrrev_i64 v[18:19], 29, v[18:19]
	v_mov_b32_e32 v21, s17
	v_add_co_u32_e32 v18, vcc, s16, v18
	v_addc_co_u32_e32 v19, vcc, v21, v19, vcc
	global_load_dwordx2 v[18:19], v[18:19], off
	s_mov_b64 s[30:31], -1
	s_andn2_b64 s[28:29], s[28:29], exec
                                        ; implicit-def: $sgpr24_sgpr25
.LBB6536_58:                            ;   in Loop: Header=BB6536_56 Depth=1
	s_or_b64 exec, exec, s[34:35]
	s_and_b64 s[34:35], exec, s[28:29]
	s_or_b64 s[26:27], s[34:35], s[26:27]
	s_andn2_b64 s[24:25], s[24:25], exec
	s_and_b64 s[30:31], s[30:31], exec
	s_or_b64 s[24:25], s[24:25], s[30:31]
	s_andn2_b64 exec, exec, s[26:27]
	s_cbranch_execnz .LBB6536_56
; %bb.59:                               ;   in Loop: Header=BB6536_56 Depth=1
	s_or_b64 exec, exec, s[26:27]
	v_cmp_ne_u16_sdwa s[24:25], v20, v38 src0_sel:BYTE_0 src1_sel:DWORD
	s_waitcnt vmcnt(0)
	v_cndmask_b32_e64 v18, 0, 1, s[24:25]
	;;#ASMSTART
	;;#ASMEND
	v_cmp_ne_u32_e32 vcc, 0, v18
	s_cmp_lg_u64 vcc, exec
	s_cbranch_scc1 .LBB6536_76
; %bb.60:                               ;   in Loop: Header=BB6536_56 Depth=1
	v_lshlrev_b64 v[18:19], 4, v[24:25]
	v_mov_b32_e32 v20, s19
	v_add_co_u32_e32 v30, vcc, s18, v18
	v_addc_co_u32_e32 v31, vcc, v20, v19, vcc
	;;#ASMSTART
	global_load_dwordx4 v[18:21], v[30:31] off glc	
s_waitcnt vmcnt(0)
	;;#ASMEND
	v_cmp_eq_u16_sdwa s[26:27], v20, v25 src0_sel:BYTE_0 src1_sel:DWORD
                                        ; kill: def $vgpr19 killed $vgpr25 killed $exec
	s_and_saveexec_b64 s[24:25], s[26:27]
	s_cbranch_execz .LBB6536_64
; %bb.61:                               ;   in Loop: Header=BB6536_56 Depth=1
	s_mov_b64 s[26:27], 0
.LBB6536_62:                            ;   Parent Loop BB6536_56 Depth=1
                                        ; =>  This Inner Loop Header: Depth=2
	;;#ASMSTART
	global_load_dwordx4 v[18:21], v[30:31] off glc	
s_waitcnt vmcnt(0)
	;;#ASMEND
	v_cmp_ne_u16_sdwa s[28:29], v20, v25 src0_sel:BYTE_0 src1_sel:DWORD
	s_or_b64 s[26:27], s[28:29], s[26:27]
	s_andn2_b64 exec, exec, s[26:27]
	s_cbranch_execnz .LBB6536_62
; %bb.63:                               ;   in Loop: Header=BB6536_56 Depth=1
	s_or_b64 exec, exec, s[26:27]
                                        ; kill: def $vgpr19 killed $vgpr25 killed $exec
.LBB6536_64:                            ;   in Loop: Header=BB6536_56 Depth=1
	s_or_b64 exec, exec, s[24:25]
	v_cmp_eq_u16_sdwa s[24:25], v20, v38 src0_sel:BYTE_0 src1_sel:DWORD
	v_and_b32_e32 v19, s25, v17
	v_or_b32_e32 v19, 0x80000000, v19
	v_ffbl_b32_e32 v30, v19
	ds_bpermute_b32 v19, v7, v18
	v_and_b32_e32 v21, s24, v16
	v_add_u32_e32 v30, 32, v30
	v_ffbl_b32_e32 v21, v21
	v_min_u32_e32 v21, v21, v30
	v_cmp_lt_u32_e32 vcc, v5, v21
	s_and_saveexec_b64 s[24:25], vcc
	s_cbranch_execz .LBB6536_66
; %bb.65:                               ;   in Loop: Header=BB6536_56 Depth=1
	s_waitcnt lgkmcnt(0)
	v_add_u32_e32 v19, v18, v19
	v_mov_b32_e32 v18, v25
	v_ashrrev_i64 v[18:19], 29, v[18:19]
	v_mov_b32_e32 v30, s17
	v_add_co_u32_e32 v18, vcc, s16, v18
	v_addc_co_u32_e32 v19, vcc, v30, v19, vcc
	global_load_dwordx2 v[18:19], v[18:19], off
.LBB6536_66:                            ;   in Loop: Header=BB6536_56 Depth=1
	s_or_b64 exec, exec, s[24:25]
	s_waitcnt vmcnt(0) lgkmcnt(0)
	ds_bpermute_b32 v19, v9, v18
	v_cmp_le_u32_e32 vcc, v11, v21
	s_and_saveexec_b64 s[24:25], vcc
	s_cbranch_execz .LBB6536_68
; %bb.67:                               ;   in Loop: Header=BB6536_56 Depth=1
	s_waitcnt lgkmcnt(0)
	v_add_u32_e32 v19, v18, v19
	v_mov_b32_e32 v18, v25
	v_ashrrev_i64 v[18:19], 29, v[18:19]
	v_mov_b32_e32 v30, s17
	v_add_co_u32_e32 v18, vcc, s16, v18
	v_addc_co_u32_e32 v19, vcc, v30, v19, vcc
	global_load_dwordx2 v[18:19], v[18:19], off
.LBB6536_68:                            ;   in Loop: Header=BB6536_56 Depth=1
	s_or_b64 exec, exec, s[24:25]
	s_waitcnt vmcnt(0) lgkmcnt(0)
	ds_bpermute_b32 v19, v13, v18
	v_cmp_le_u32_e32 vcc, v15, v21
	s_and_saveexec_b64 s[24:25], vcc
	s_cbranch_execz .LBB6536_70
; %bb.69:                               ;   in Loop: Header=BB6536_56 Depth=1
	s_waitcnt lgkmcnt(0)
	v_add_u32_e32 v19, v18, v19
	v_mov_b32_e32 v18, v25
	v_ashrrev_i64 v[18:19], 29, v[18:19]
	v_mov_b32_e32 v30, s17
	v_add_co_u32_e32 v18, vcc, s16, v18
	v_addc_co_u32_e32 v19, vcc, v30, v19, vcc
	global_load_dwordx2 v[18:19], v[18:19], off
.LBB6536_70:                            ;   in Loop: Header=BB6536_56 Depth=1
	s_or_b64 exec, exec, s[24:25]
	s_waitcnt vmcnt(0) lgkmcnt(0)
	ds_bpermute_b32 v19, v23, v18
	v_cmp_le_u32_e32 vcc, v27, v21
	s_and_saveexec_b64 s[24:25], vcc
	s_cbranch_execz .LBB6536_72
; %bb.71:                               ;   in Loop: Header=BB6536_56 Depth=1
	s_waitcnt lgkmcnt(0)
	v_add_u32_e32 v19, v18, v19
	v_mov_b32_e32 v18, v25
	v_ashrrev_i64 v[18:19], 29, v[18:19]
	v_mov_b32_e32 v30, s17
	v_add_co_u32_e32 v18, vcc, s16, v18
	v_addc_co_u32_e32 v19, vcc, v30, v19, vcc
	global_load_dwordx2 v[18:19], v[18:19], off
.LBB6536_72:                            ;   in Loop: Header=BB6536_56 Depth=1
	s_or_b64 exec, exec, s[24:25]
	s_waitcnt vmcnt(0) lgkmcnt(0)
	ds_bpermute_b32 v19, v32, v18
	v_cmp_le_u32_e32 vcc, v33, v21
	s_and_saveexec_b64 s[24:25], vcc
	s_cbranch_execz .LBB6536_74
; %bb.73:                               ;   in Loop: Header=BB6536_56 Depth=1
	s_waitcnt lgkmcnt(0)
	v_add_u32_e32 v19, v18, v19
	v_mov_b32_e32 v18, v25
	v_ashrrev_i64 v[18:19], 29, v[18:19]
	v_mov_b32_e32 v30, s17
	v_add_co_u32_e32 v18, vcc, s16, v18
	v_addc_co_u32_e32 v19, vcc, v30, v19, vcc
	global_load_dwordx2 v[18:19], v[18:19], off
.LBB6536_74:                            ;   in Loop: Header=BB6536_56 Depth=1
	s_or_b64 exec, exec, s[24:25]
	s_waitcnt vmcnt(0) lgkmcnt(0)
	ds_bpermute_b32 v19, v36, v18
	v_cmp_le_u32_e32 vcc, v37, v21
	s_and_saveexec_b64 s[24:25], vcc
	s_cbranch_execz .LBB6536_55
; %bb.75:                               ;   in Loop: Header=BB6536_56 Depth=1
	s_waitcnt lgkmcnt(0)
	v_add_u32_e32 v19, v18, v19
	v_mov_b32_e32 v18, v25
	v_ashrrev_i64 v[18:19], 29, v[18:19]
	v_mov_b32_e32 v21, s17
	v_add_co_u32_e32 v18, vcc, s16, v18
	v_addc_co_u32_e32 v19, vcc, v21, v19, vcc
	global_load_dwordx2 v[18:19], v[18:19], off
	s_branch .LBB6536_55
.LBB6536_76:                            ;   in Loop: Header=BB6536_56 Depth=1
	s_mov_b64 s[24:25], -1
                                        ; implicit-def: $vgpr30_vgpr31
                                        ; implicit-def: $vgpr20
	s_mov_b64 s[26:27], 0
                                        ; implicit-def: $sgpr28_sgpr29
	s_cbranch_execz .LBB6536_56
; %bb.77:
	s_and_saveexec_b64 s[24:25], s[8:9]
	s_cbranch_execz .LBB6536_79
; %bb.78:
	s_waitcnt lgkmcnt(0)
	v_add_u32_e32 v19, v28, v14
	v_mov_b32_e32 v18, 0
	s_mov_b32 s7, 0
	s_add_i32 s6, s6, 64
	v_ashrrev_i64 v[14:15], 29, v[18:19]
	s_lshl_b64 s[6:7], s[6:7], 4
	v_mov_b32_e32 v5, s17
	v_add_co_u32_e32 v14, vcc, s16, v14
	s_add_u32 s6, s18, s6
	v_addc_co_u32_e32 v15, vcc, v5, v15, vcc
	s_addc_u32 s7, s19, s7
	global_load_dwordx2 v[14:15], v[14:15], off
	v_mov_b32_e32 v16, 2
	v_mov_b32_e32 v17, v18
	v_pk_mov_b32 v[18:19], s[6:7], s[6:7] op_sel:[0,1]
	s_waitcnt vmcnt(0)
	;;#ASMSTART
	global_store_dwordx4 v[18:19], v[14:17] off	
s_waitcnt vmcnt(0)
	;;#ASMEND
.LBB6536_79:
	s_or_b64 exec, exec, s[24:25]
	s_and_b64 exec, exec, s[2:3]
	s_cbranch_execz .LBB6536_81
; %bb.80:
	v_mov_b32_e32 v5, 0
	ds_write_b64 v5, v[28:29]
.LBB6536_81:
	s_or_b64 exec, exec, s[10:11]
	v_mov_b32_e32 v16, 0
	s_waitcnt lgkmcnt(0)
	s_barrier
	ds_read_b64 v[14:15], v16
	v_pk_mov_b32 v[18:19], v[2:3], v[2:3] op_sel:[0,1]
	s_and_saveexec_b64 s[2:3], s[0:1]
	s_cbranch_execz .LBB6536_83
; %bb.82:
	v_add_u32_e32 v17, v22, v2
	v_ashrrev_i64 v[18:19], 29, v[16:17]
	v_mov_b32_e32 v5, s17
	v_add_co_u32_e32 v18, vcc, s16, v18
	v_addc_co_u32_e32 v19, vcc, v5, v19, vcc
	global_load_dwordx2 v[18:19], v[18:19], off
.LBB6536_83:
	s_or_b64 exec, exec, s[2:3]
	s_waitcnt vmcnt(0) lgkmcnt(0)
	v_add_u32_e32 v17, v18, v14
	v_ashrrev_i64 v[14:15], 29, v[16:17]
	v_mov_b32_e32 v5, s17
	v_add_co_u32_e32 v14, vcc, s16, v14
	v_addc_co_u32_e32 v15, vcc, v5, v15, vcc
	global_load_dwordx2 v[20:21], v[14:15], off
	s_waitcnt vmcnt(0)
	v_add_u32_e32 v17, v20, v4
	v_ashrrev_i64 v[14:15], 29, v[16:17]
	v_add_co_u32_e32 v14, vcc, s16, v14
	v_addc_co_u32_e32 v15, vcc, v5, v15, vcc
	global_load_dwordx2 v[28:29], v[14:15], off
	s_waitcnt vmcnt(0)
	v_add_u32_e32 v17, v28, v10
	v_ashrrev_i64 v[14:15], 29, v[16:17]
	;; [unrolled: 6-line block ×6, first 2 shown]
	v_add_co_u32_e32 v16, vcc, s16, v16
	v_addc_co_u32_e32 v17, vcc, v5, v17, vcc
	global_load_dwordx2 v[24:25], v[16:17], off
	s_load_dwordx8 s[4:11], s[4:5], 0x40
	s_branch .LBB6536_108
.LBB6536_84:
                                        ; implicit-def: $vgpr18_vgpr19_vgpr20_vgpr21
                                        ; implicit-def: $vgpr24_vgpr25
                                        ; implicit-def: $vgpr32_vgpr33
                                        ; implicit-def: $vgpr30_vgpr31
                                        ; implicit-def: $vgpr28_vgpr29
                                        ; implicit-def: $vgpr14_vgpr15_vgpr16_vgpr17
                                        ; implicit-def: $vgpr20_vgpr21_vgpr22_vgpr23
	s_load_dwordx8 s[4:11], s[4:5], 0x40
	s_cbranch_execz .LBB6536_108
; %bb.85:
	s_waitcnt lgkmcnt(0)
	s_cmp_lg_u64 s[8:9], 0
	s_cselect_b64 s[2:3], -1, 0
	v_cmp_eq_u32_e64 s[0:1], 0, v0
	v_cmp_ne_u32_e32 vcc, 0, v0
	s_and_b64 s[2:3], s[0:1], s[2:3]
	s_and_saveexec_b64 s[8:9], s[2:3]
	s_cbranch_execz .LBB6536_87
; %bb.86:
	v_mov_b32_e32 v14, 0
	global_load_dword v3, v14, s[4:5]
	v_mov_b32_e32 v5, s17
	s_waitcnt vmcnt(0)
	v_add_u32_e32 v15, v3, v2
	v_ashrrev_i64 v[2:3], 29, v[14:15]
	v_add_co_u32_e64 v2, s[2:3], s16, v2
	v_addc_co_u32_e64 v3, s[2:3], v5, v3, s[2:3]
	global_load_dwordx2 v[2:3], v[2:3], off
.LBB6536_87:
	s_or_b64 exec, exec, s[8:9]
	s_waitcnt vmcnt(0)
	v_add_u32_e32 v23, v4, v2
	v_mov_b32_e32 v22, 0
	v_ashrrev_i64 v[18:19], 29, v[22:23]
	v_mov_b32_e32 v5, s17
	v_add_co_u32_e64 v14, s[2:3], s16, v18
	v_addc_co_u32_e64 v15, s[2:3], v5, v19, s[2:3]
	global_load_dword v5, v[14:15], off
	v_mov_b32_e32 v7, s17
	v_add_lshl_u32 v1, v1, v0, 3
	s_waitcnt vmcnt(0)
	v_add_u32_e32 v23, v10, v5
	v_ashrrev_i64 v[14:15], 29, v[22:23]
	v_add_co_u32_e64 v14, s[2:3], s16, v14
	v_addc_co_u32_e64 v15, s[2:3], v7, v15, s[2:3]
	global_load_dword v5, v[14:15], off
	s_waitcnt vmcnt(0)
	v_add_u32_e32 v23, v5, v12
	v_ashrrev_i64 v[14:15], 29, v[22:23]
	v_add_co_u32_e64 v14, s[2:3], s16, v14
	v_addc_co_u32_e64 v15, s[2:3], v7, v15, s[2:3]
	global_load_dword v5, v[14:15], off
	;; [unrolled: 6-line block ×4, first 2 shown]
	s_waitcnt vmcnt(0)
	v_add_u32_e32 v23, v5, v26
	v_ashrrev_i64 v[14:15], 29, v[22:23]
	v_add_co_u32_e64 v14, s[2:3], s16, v14
	v_addc_co_u32_e64 v15, s[2:3], v7, v15, s[2:3]
	global_load_dwordx2 v[20:21], v[14:15], off
	v_cmp_gt_u32_e64 s[2:3], 64, v0
	s_waitcnt vmcnt(0)
	ds_write_b64 v1, v[20:21]
	s_waitcnt lgkmcnt(0)
	s_barrier
	s_and_saveexec_b64 s[4:5], s[2:3]
	s_cbranch_execz .LBB6536_101
; %bb.88:
	v_lshlrev_b32_e32 v1, 1, v0
	v_lshrrev_b32_e32 v5, 4, v0
	v_add_lshl_u32 v1, v5, v1, 3
	ds_read2_b64 v[14:17], v1 offset1:1
	v_mov_b32_e32 v5, s17
	s_waitcnt lgkmcnt(0)
	v_add_u32_e32 v23, v16, v14
	v_ashrrev_i64 v[16:17], 29, v[22:23]
	v_add_co_u32_e64 v16, s[2:3], s16, v16
	v_addc_co_u32_e64 v17, s[2:3], v5, v17, s[2:3]
	global_load_dwordx2 v[16:17], v[16:17], off
	v_mbcnt_lo_u32_b32 v5, -1, 0
	v_mbcnt_hi_u32_b32 v5, -1, v5
	v_and_b32_e32 v7, 15, v5
	v_cmp_ne_u32_e64 s[2:3], 0, v7
	s_waitcnt vmcnt(0)
	v_mov_b32_dpp v9, v16 row_shr:1 row_mask:0xf bank_mask:0xf
	s_and_saveexec_b64 s[8:9], s[2:3]
	s_cbranch_execz .LBB6536_90
; %bb.89:
	v_add_u32_e32 v17, v16, v9
	v_mov_b32_e32 v16, 0
	v_ashrrev_i64 v[16:17], 29, v[16:17]
	v_mov_b32_e32 v9, s17
	v_add_co_u32_e64 v16, s[2:3], s16, v16
	v_addc_co_u32_e64 v17, s[2:3], v9, v17, s[2:3]
	global_load_dwordx2 v[16:17], v[16:17], off
.LBB6536_90:
	s_or_b64 exec, exec, s[8:9]
	s_waitcnt vmcnt(0)
	v_mov_b32_dpp v9, v16 row_shr:2 row_mask:0xf bank_mask:0xf
	v_cmp_lt_u32_e64 s[2:3], 1, v7
	s_and_saveexec_b64 s[8:9], s[2:3]
	s_cbranch_execz .LBB6536_92
; %bb.91:
	v_add_u32_e32 v17, v16, v9
	v_mov_b32_e32 v16, 0
	v_ashrrev_i64 v[16:17], 29, v[16:17]
	v_mov_b32_e32 v9, s17
	v_add_co_u32_e64 v16, s[2:3], s16, v16
	v_addc_co_u32_e64 v17, s[2:3], v9, v17, s[2:3]
	global_load_dwordx2 v[16:17], v[16:17], off
.LBB6536_92:
	s_or_b64 exec, exec, s[8:9]
	s_waitcnt vmcnt(0)
	v_mov_b32_dpp v9, v16 row_shr:4 row_mask:0xf bank_mask:0xf
	v_cmp_lt_u32_e64 s[2:3], 3, v7
	;; [unrolled: 15-line block ×3, first 2 shown]
	s_and_saveexec_b64 s[8:9], s[2:3]
	s_cbranch_execz .LBB6536_96
; %bb.95:
	v_add_u32_e32 v17, v16, v9
	v_mov_b32_e32 v16, 0
	v_ashrrev_i64 v[16:17], 29, v[16:17]
	v_mov_b32_e32 v7, s17
	v_add_co_u32_e64 v16, s[2:3], s16, v16
	v_addc_co_u32_e64 v17, s[2:3], v7, v17, s[2:3]
	global_load_dwordx2 v[16:17], v[16:17], off
.LBB6536_96:
	s_or_b64 exec, exec, s[8:9]
	v_and_b32_e32 v9, 16, v5
	s_waitcnt vmcnt(0)
	v_mov_b32_dpp v7, v16 row_bcast:15 row_mask:0xf bank_mask:0xf
	v_cmp_ne_u32_e64 s[2:3], 0, v9
	s_and_saveexec_b64 s[8:9], s[2:3]
	s_cbranch_execz .LBB6536_98
; %bb.97:
	v_add_u32_e32 v17, v16, v7
	v_mov_b32_e32 v16, 0
	v_ashrrev_i64 v[16:17], 29, v[16:17]
	v_mov_b32_e32 v7, s17
	v_add_co_u32_e64 v16, s[2:3], s16, v16
	v_addc_co_u32_e64 v17, s[2:3], v7, v17, s[2:3]
	global_load_dwordx2 v[16:17], v[16:17], off
.LBB6536_98:
	s_or_b64 exec, exec, s[8:9]
	s_waitcnt vmcnt(0)
	v_mov_b32_dpp v7, v16 row_bcast:31 row_mask:0xf bank_mask:0xf
	v_cmp_lt_u32_e64 s[2:3], 31, v5
	s_and_saveexec_b64 s[8:9], s[2:3]
	s_cbranch_execz .LBB6536_100
; %bb.99:
	v_add_u32_e32 v17, v16, v7
	v_mov_b32_e32 v16, 0
	v_ashrrev_i64 v[16:17], 29, v[16:17]
	v_mov_b32_e32 v7, s17
	v_add_co_u32_e64 v16, s[2:3], s16, v16
	v_addc_co_u32_e64 v17, s[2:3], v7, v17, s[2:3]
	global_load_dword v16, v[16:17], off
.LBB6536_100:
	s_or_b64 exec, exec, s[8:9]
	v_add_u32_e32 v7, -1, v5
	v_and_b32_e32 v9, 64, v5
	v_cmp_lt_i32_e64 s[2:3], v7, v9
	v_cndmask_b32_e64 v5, v7, v5, s[2:3]
	v_lshlrev_b32_e32 v5, 2, v5
	s_waitcnt vmcnt(0)
	ds_bpermute_b32 v5, v5, v16
	v_mov_b32_e32 v16, 0
	v_mov_b32_e32 v7, s17
	s_waitcnt lgkmcnt(0)
	v_add_u32_e32 v17, v14, v5
	v_ashrrev_i64 v[14:15], 29, v[16:17]
	v_add_co_u32_e64 v14, s[2:3], s16, v14
	v_addc_co_u32_e64 v15, s[2:3], v7, v15, s[2:3]
	global_load_dwordx2 v[14:15], v[14:15], off
	; wave barrier
	s_waitcnt vmcnt(0)
	v_cndmask_b32_e64 v15, v15, v21, s[0:1]
	v_cndmask_b32_e64 v14, v14, v20, s[0:1]
	ds_write_b64 v1, v[14:15]
	; wave barrier
	ds_read_b32 v5, v1 offset:8
	s_waitcnt lgkmcnt(0)
	v_add_u32_e32 v17, v5, v14
	v_ashrrev_i64 v[14:15], 29, v[16:17]
	v_add_co_u32_e64 v14, s[0:1], s16, v14
	v_addc_co_u32_e64 v15, s[0:1], v7, v15, s[0:1]
	global_load_dwordx2 v[14:15], v[14:15], off
	s_waitcnt vmcnt(0)
	ds_write_b64 v1, v[14:15] offset:8
.LBB6536_101:
	s_or_b64 exec, exec, s[4:5]
	s_waitcnt lgkmcnt(0)
	s_barrier
	s_and_saveexec_b64 s[0:1], vcc
	s_cbranch_execz .LBB6536_103
; %bb.102:
	v_add_u32_e32 v1, -1, v0
	v_lshrrev_b32_e32 v5, 5, v1
	v_add_lshl_u32 v1, v5, v1, 3
	ds_read_b64 v[20:21], v1
.LBB6536_103:
	s_or_b64 exec, exec, s[0:1]
	s_and_saveexec_b64 s[0:1], vcc
	s_cbranch_execz .LBB6536_105
; %bb.104:
	s_waitcnt lgkmcnt(0)
	v_add_u32_e32 v15, v20, v2
	v_mov_b32_e32 v14, 0
	v_ashrrev_i64 v[2:3], 29, v[14:15]
	v_mov_b32_e32 v1, s17
	v_add_co_u32_e32 v2, vcc, s16, v2
	v_addc_co_u32_e32 v3, vcc, v1, v3, vcc
	global_load_dwordx2 v[2:3], v[2:3], off
	;;#ASMSTART
	;;#ASMEND
	s_waitcnt vmcnt(0)
	v_add_u32_e32 v15, v2, v4
	v_ashrrev_i64 v[18:19], 29, v[14:15]
.LBB6536_105:
	s_or_b64 exec, exec, s[0:1]
	v_mov_b32_e32 v1, s17
	v_add_co_u32_e32 v4, vcc, s16, v18
	v_addc_co_u32_e32 v5, vcc, v1, v19, vcc
	global_load_dwordx2 v[28:29], v[4:5], off
	v_mov_b32_e32 v4, 0
	s_movk_i32 s0, 0x7f
	s_waitcnt vmcnt(0)
	v_add_u32_e32 v5, v28, v10
	v_ashrrev_i64 v[10:11], 29, v[4:5]
	v_add_co_u32_e32 v10, vcc, s16, v10
	v_addc_co_u32_e32 v11, vcc, v1, v11, vcc
	global_load_dwordx2 v[14:15], v[10:11], off
	s_waitcnt vmcnt(0)
	v_add_u32_e32 v5, v14, v12
	v_ashrrev_i64 v[10:11], 29, v[4:5]
	v_add_co_u32_e32 v10, vcc, s16, v10
	v_addc_co_u32_e32 v11, vcc, v1, v11, vcc
	global_load_dwordx2 v[30:31], v[10:11], off
	;; [unrolled: 6-line block ×5, first 2 shown]
	v_cmp_eq_u32_e32 vcc, s0, v0
	s_and_saveexec_b64 s[0:1], vcc
	s_cbranch_execz .LBB6536_107
; %bb.106:
	s_add_u32 s2, s18, 0x400
	s_addc_u32 s3, s19, 0
	v_mov_b32_e32 v26, 2
	v_mov_b32_e32 v27, v4
	v_pk_mov_b32 v[4:5], s[2:3], s[2:3] op_sel:[0,1]
	s_waitcnt vmcnt(0)
	;;#ASMSTART
	global_store_dwordx4 v[4:5], v[24:27] off	
s_waitcnt vmcnt(0)
	;;#ASMEND
.LBB6536_107:
	s_or_b64 exec, exec, s[0:1]
	s_waitcnt lgkmcnt(0)
	v_pk_mov_b32 v[20:21], v[2:3], v[2:3] op_sel:[0,1]
.LBB6536_108:
	s_add_u32 s0, s12, s20
	s_addc_u32 s1, s13, s21
	s_add_u32 s2, s0, s22
	s_addc_u32 s3, s1, s23
	s_mov_b64 s[0:1], -1
	s_and_b64 vcc, exec, s[14:15]
	v_mul_u32_u24_e32 v1, 56, v0
	s_waitcnt lgkmcnt(0)
	s_barrier
	s_cbranch_vccz .LBB6536_110
; %bb.109:
	v_mul_i32_i24_e32 v2, 0xffffffd0, v0
	v_mad_u32_u24 v16, v0, 56, v2
	ds_write2_b64 v1, v[20:21], v[28:29] offset1:1
	ds_write2_b64 v1, v[14:15], v[30:31] offset0:2 offset1:3
	ds_write2_b64 v1, v[18:19], v[32:33] offset0:4 offset1:5
	s_waitcnt vmcnt(0)
	ds_write_b64 v1, v[24:25] offset:48
	s_waitcnt lgkmcnt(0)
	s_barrier
	ds_read2st64_b64 v[2:5], v16 offset1:2
	ds_read2st64_b64 v[6:9], v16 offset0:4 offset1:6
	ds_read2st64_b64 v[10:13], v16 offset0:8 offset1:10
	ds_read_b64 v[16:17], v16 offset:6144
	v_mov_b32_e32 v23, s3
	v_add_co_u32_e32 v22, vcc, s2, v34
	v_addc_co_u32_e32 v23, vcc, 0, v23, vcc
	s_waitcnt lgkmcnt(3)
	flat_store_dwordx2 v[22:23], v[2:3]
	flat_store_dwordx2 v[22:23], v[4:5] offset:1024
	s_waitcnt lgkmcnt(0)
	flat_store_dwordx2 v[22:23], v[6:7] offset:2048
	flat_store_dwordx2 v[22:23], v[8:9] offset:3072
	v_add_co_u32_e32 v2, vcc, 0x1000, v22
	v_addc_co_u32_e32 v3, vcc, 0, v23, vcc
	flat_store_dwordx2 v[2:3], v[10:11]
	flat_store_dwordx2 v[2:3], v[12:13] offset:1024
	flat_store_dwordx2 v[2:3], v[16:17] offset:2048
	s_mov_b64 s[0:1], 0
.LBB6536_110:
	s_andn2_b64 vcc, exec, s[0:1]
	s_cbranch_vccnz .LBB6536_149
; %bb.111:
	v_mul_i32_i24_e32 v2, 0xffffffd0, v0
	ds_write2_b64 v1, v[20:21], v[28:29] offset1:1
	ds_write2_b64 v1, v[14:15], v[30:31] offset0:2 offset1:3
	ds_write2_b64 v1, v[18:19], v[32:33] offset0:4 offset1:5
	s_waitcnt vmcnt(0)
	ds_write_b64 v1, v[24:25] offset:48
	v_mad_u32_u24 v14, v0, 56, v2
	s_waitcnt lgkmcnt(0)
	s_barrier
	ds_read2st64_b64 v[2:5], v14 offset1:2
	ds_read2st64_b64 v[6:9], v14 offset0:4 offset1:6
	ds_read2st64_b64 v[10:13], v14 offset0:8 offset1:10
	ds_read_b64 v[14:15], v14 offset:6144
	v_mov_b32_e32 v17, s3
	v_add_co_u32_e32 v16, vcc, s2, v34
	v_addc_co_u32_e32 v17, vcc, 0, v17, vcc
	v_mov_b32_e32 v1, 0
	v_cmp_gt_u32_e32 vcc, s33, v0
	s_and_saveexec_b64 s[0:1], vcc
	s_cbranch_execz .LBB6536_113
; %bb.112:
	s_waitcnt lgkmcnt(3)
	flat_store_dwordx2 v[16:17], v[2:3]
.LBB6536_113:
	s_or_b64 exec, exec, s[0:1]
	v_or_b32_e32 v18, 0x80, v0
	v_cmp_gt_u32_e32 vcc, s33, v18
	s_and_saveexec_b64 s[0:1], vcc
	s_cbranch_execz .LBB6536_115
; %bb.114:
	s_waitcnt lgkmcnt(0)
	flat_store_dwordx2 v[16:17], v[4:5] offset:1024
.LBB6536_115:
	s_or_b64 exec, exec, s[0:1]
	v_or_b32_e32 v18, 0x100, v0
	v_cmp_gt_u32_e32 vcc, s33, v18
	s_and_saveexec_b64 s[0:1], vcc
	s_cbranch_execz .LBB6536_117
; %bb.116:
	s_waitcnt lgkmcnt(0)
	flat_store_dwordx2 v[16:17], v[6:7] offset:2048
.LBB6536_117:
	;; [unrolled: 9-line block ×3, first 2 shown]
	s_or_b64 exec, exec, s[0:1]
	v_or_b32_e32 v18, 0x200, v0
	v_cmp_gt_u32_e32 vcc, s33, v18
	s_and_saveexec_b64 s[0:1], vcc
	s_cbranch_execz .LBB6536_121
; %bb.120:
	v_add_co_u32_e32 v18, vcc, 0x1000, v16
	v_addc_co_u32_e32 v19, vcc, 0, v17, vcc
	s_waitcnt lgkmcnt(0)
	flat_store_dwordx2 v[18:19], v[10:11]
.LBB6536_121:
	s_or_b64 exec, exec, s[0:1]
	v_or_b32_e32 v18, 0x280, v0
	v_cmp_gt_u32_e32 vcc, s33, v18
	s_and_saveexec_b64 s[0:1], vcc
	s_cbranch_execz .LBB6536_123
; %bb.122:
	v_add_co_u32_e32 v18, vcc, 0x1000, v16
	v_addc_co_u32_e32 v19, vcc, 0, v17, vcc
	s_waitcnt lgkmcnt(0)
	flat_store_dwordx2 v[18:19], v[12:13] offset:1024
.LBB6536_123:
	s_or_b64 exec, exec, s[0:1]
	v_or_b32_e32 v18, 0x300, v0
	v_cmp_gt_u32_e32 vcc, s33, v18
	s_and_saveexec_b64 s[0:1], vcc
	s_cbranch_execz .LBB6536_125
; %bb.124:
	v_add_co_u32_e32 v16, vcc, 0x1000, v16
	v_addc_co_u32_e32 v17, vcc, 0, v17, vcc
	s_waitcnt lgkmcnt(0)
	flat_store_dwordx2 v[16:17], v[14:15] offset:2048
.LBB6536_125:
	s_or_b64 exec, exec, s[0:1]
	v_cmp_lt_u64_e64 s[0:1], s[10:11], 2
	s_and_b64 vcc, exec, s[0:1]
	s_cbranch_vccnz .LBB6536_149
; %bb.126:
	s_add_u32 s0, s33, -1
	s_addc_u32 s1, s36, -1
	s_add_u32 s2, 0, 0x92481000
	s_addc_u32 s3, 0, 0x64
	s_add_i32 s3, s3, 0x249248c0
	s_mul_hi_u32 s9, s2, -7
	s_sub_i32 s9, s9, s2
	s_mul_i32 s10, s3, -7
	s_mul_i32 s4, s2, -7
	s_add_i32 s9, s9, s10
	s_mul_hi_u32 s5, s3, s4
	s_mul_i32 s8, s3, s4
	s_mul_i32 s11, s2, s9
	s_mul_hi_u32 s4, s2, s4
	s_mul_hi_u32 s10, s2, s9
	s_add_u32 s4, s4, s11
	s_addc_u32 s10, 0, s10
	s_add_u32 s4, s4, s8
	s_mul_hi_u32 s11, s3, s9
	s_addc_u32 s4, s10, s5
	s_addc_u32 s5, s11, 0
	s_mul_i32 s8, s3, s9
	s_add_u32 s4, s4, s8
	v_mov_b32_e32 v16, s4
	s_addc_u32 s5, 0, s5
	v_add_co_u32_e32 v16, vcc, s2, v16
	s_cmp_lg_u64 vcc, 0
	s_addc_u32 s2, s3, s5
	v_readfirstlane_b32 s5, v16
	s_mul_i32 s4, s0, s2
	s_mul_hi_u32 s8, s0, s5
	s_mul_hi_u32 s3, s0, s2
	s_add_u32 s4, s8, s4
	s_addc_u32 s3, 0, s3
	s_mul_hi_u32 s9, s1, s5
	s_mul_i32 s5, s1, s5
	s_add_u32 s4, s4, s5
	s_mul_hi_u32 s8, s1, s2
	s_addc_u32 s3, s3, s9
	s_addc_u32 s4, s8, 0
	s_mul_i32 s2, s1, s2
	s_add_u32 s2, s3, s2
	s_addc_u32 s3, 0, s4
	s_add_u32 s4, s2, 1
	s_addc_u32 s5, s3, 0
	s_add_u32 s8, s2, 2
	s_mul_i32 s10, s3, 7
	s_mul_hi_u32 s11, s2, 7
	s_addc_u32 s9, s3, 0
	s_add_i32 s11, s11, s10
	s_mul_i32 s10, s2, 7
	v_mov_b32_e32 v16, s10
	v_sub_co_u32_e32 v16, vcc, s0, v16
	s_cmp_lg_u64 vcc, 0
	s_subb_u32 s10, s1, s11
	v_subrev_co_u32_e32 v17, vcc, 7, v16
	s_cmp_lg_u64 vcc, 0
	s_subb_u32 s11, s10, 0
	v_readfirstlane_b32 s12, v17
	s_cmp_gt_u32 s12, 6
	s_cselect_b32 s12, -1, 0
	s_cmp_eq_u32 s11, 0
	s_cselect_b32 s11, s12, -1
	s_cmp_lg_u32 s11, 0
	s_cselect_b32 s4, s8, s4
	v_readfirstlane_b32 s8, v16
	s_cselect_b32 s5, s9, s5
	s_cmp_gt_u32 s8, 6
	s_cselect_b32 s8, -1, 0
	s_cmp_eq_u32 s10, 0
	s_cselect_b32 s8, s8, -1
	s_cmp_lg_u32 s8, 0
	s_cselect_b32 s3, s5, s3
	s_cselect_b32 s2, s4, s2
	v_cmp_eq_u64_e32 vcc, s[2:3], v[0:1]
	s_and_saveexec_b64 s[2:3], vcc
	s_cbranch_execz .LBB6536_149
; %bb.127:
	v_mul_hi_u32_u24_e32 v1, 7, v0
	v_mov_b32_e32 v16, s1
	v_sub_co_u32_e32 v0, vcc, s0, v35
	v_subb_co_u32_e32 v1, vcc, v16, v1, vcc
	v_cmp_lt_i64_e32 vcc, 3, v[0:1]
	s_and_saveexec_b64 s[0:1], vcc
	s_xor_b64 s[0:1], exec, s[0:1]
	s_cbranch_execz .LBB6536_137
; %bb.128:
	v_cmp_lt_i64_e32 vcc, 4, v[0:1]
	s_and_saveexec_b64 s[2:3], vcc
	s_xor_b64 s[2:3], exec, s[2:3]
	s_cbranch_execz .LBB6536_134
; %bb.129:
	;; [unrolled: 5-line block ×3, first 2 shown]
	v_mov_b32_e32 v0, 0
	s_waitcnt lgkmcnt(0)
	global_store_dwordx2 v0, v[14:15], s[6:7]
                                        ; implicit-def: $vgpr10_vgpr11_vgpr12_vgpr13
.LBB6536_131:
	s_andn2_saveexec_b64 s[4:5], s[4:5]
	s_cbranch_execz .LBB6536_133
; %bb.132:
	v_mov_b32_e32 v0, 0
	s_waitcnt lgkmcnt(0)
	global_store_dwordx2 v0, v[12:13], s[6:7]
.LBB6536_133:
	s_or_b64 exec, exec, s[4:5]
                                        ; implicit-def: $vgpr10_vgpr11_vgpr12_vgpr13
.LBB6536_134:
	s_andn2_saveexec_b64 s[2:3], s[2:3]
	s_cbranch_execz .LBB6536_136
; %bb.135:
	v_mov_b32_e32 v0, 0
	s_waitcnt lgkmcnt(0)
	global_store_dwordx2 v0, v[10:11], s[6:7]
.LBB6536_136:
	s_or_b64 exec, exec, s[2:3]
                                        ; implicit-def: $vgpr0_vgpr1
                                        ; implicit-def: $vgpr2_vgpr3_vgpr4_vgpr5
                                        ; implicit-def: $vgpr6_vgpr7_vgpr8_vgpr9
.LBB6536_137:
	s_andn2_saveexec_b64 s[0:1], s[0:1]
	s_cbranch_execz .LBB6536_149
; %bb.138:
	v_cmp_lt_i64_e32 vcc, 1, v[0:1]
	s_and_saveexec_b64 s[0:1], vcc
	s_xor_b64 s[0:1], exec, s[0:1]
	s_cbranch_execz .LBB6536_144
; %bb.139:
	v_cmp_lt_i64_e32 vcc, 2, v[0:1]
	s_and_saveexec_b64 s[2:3], vcc
	s_xor_b64 s[2:3], exec, s[2:3]
	s_cbranch_execz .LBB6536_141
; %bb.140:
	v_mov_b32_e32 v0, 0
	s_waitcnt lgkmcnt(0)
	global_store_dwordx2 v0, v[8:9], s[6:7]
                                        ; implicit-def: $vgpr6_vgpr7_vgpr8_vgpr9
.LBB6536_141:
	s_andn2_saveexec_b64 s[2:3], s[2:3]
	s_cbranch_execz .LBB6536_143
; %bb.142:
	v_mov_b32_e32 v0, 0
	s_waitcnt lgkmcnt(0)
	global_store_dwordx2 v0, v[6:7], s[6:7]
.LBB6536_143:
	s_or_b64 exec, exec, s[2:3]
                                        ; implicit-def: $vgpr2_vgpr3_vgpr4_vgpr5
                                        ; implicit-def: $vgpr0_vgpr1
.LBB6536_144:
	s_andn2_saveexec_b64 s[0:1], s[0:1]
	s_cbranch_execz .LBB6536_149
; %bb.145:
	v_cmp_ne_u64_e32 vcc, 1, v[0:1]
	s_and_saveexec_b64 s[0:1], vcc
	s_xor_b64 s[0:1], exec, s[0:1]
	s_cbranch_execz .LBB6536_147
; %bb.146:
	v_mov_b32_e32 v0, 0
	s_waitcnt lgkmcnt(0)
	global_store_dwordx2 v0, v[2:3], s[6:7]
                                        ; implicit-def: $vgpr2_vgpr3_vgpr4_vgpr5
.LBB6536_147:
	s_andn2_saveexec_b64 s[0:1], s[0:1]
	s_cbranch_execz .LBB6536_149
; %bb.148:
	v_mov_b32_e32 v0, 0
	s_waitcnt lgkmcnt(0)
	global_store_dwordx2 v0, v[4:5], s[6:7]
.LBB6536_149:
	s_endpgm
	.section	.rodata,"a",@progbits
	.p2align	6, 0x0
	.amdhsa_kernel _ZN7rocprim17ROCPRIM_400000_NS6detail17trampoline_kernelINS0_14default_configENS1_20scan_config_selectorIxEEZZNS1_9scan_implILNS1_25lookback_scan_determinismE0ELb0ELb0ES3_N6thrust23THRUST_200600_302600_NS6detail15normal_iteratorINS9_10device_ptrIxEEEESE_x9plus_mod3IxExEEDaPvRmT3_T4_T5_mT6_P12ihipStream_tbENKUlT_T0_E_clISt17integral_constantIbLb0EESU_EEDaSP_SQ_EUlSP_E_NS1_11comp_targetILNS1_3genE4ELNS1_11target_archE910ELNS1_3gpuE8ELNS1_3repE0EEENS1_30default_config_static_selectorELNS0_4arch9wavefront6targetE1EEEvT1_
		.amdhsa_group_segment_fixed_size 7168
		.amdhsa_private_segment_fixed_size 0
		.amdhsa_kernarg_size 104
		.amdhsa_user_sgpr_count 6
		.amdhsa_user_sgpr_private_segment_buffer 1
		.amdhsa_user_sgpr_dispatch_ptr 0
		.amdhsa_user_sgpr_queue_ptr 0
		.amdhsa_user_sgpr_kernarg_segment_ptr 1
		.amdhsa_user_sgpr_dispatch_id 0
		.amdhsa_user_sgpr_flat_scratch_init 0
		.amdhsa_user_sgpr_kernarg_preload_length 0
		.amdhsa_user_sgpr_kernarg_preload_offset 0
		.amdhsa_user_sgpr_private_segment_size 0
		.amdhsa_uses_dynamic_stack 0
		.amdhsa_system_sgpr_private_segment_wavefront_offset 0
		.amdhsa_system_sgpr_workgroup_id_x 1
		.amdhsa_system_sgpr_workgroup_id_y 0
		.amdhsa_system_sgpr_workgroup_id_z 0
		.amdhsa_system_sgpr_workgroup_info 0
		.amdhsa_system_vgpr_workitem_id 0
		.amdhsa_next_free_vgpr 39
		.amdhsa_next_free_sgpr 40
		.amdhsa_accum_offset 40
		.amdhsa_reserve_vcc 1
		.amdhsa_reserve_flat_scratch 0
		.amdhsa_float_round_mode_32 0
		.amdhsa_float_round_mode_16_64 0
		.amdhsa_float_denorm_mode_32 3
		.amdhsa_float_denorm_mode_16_64 3
		.amdhsa_dx10_clamp 1
		.amdhsa_ieee_mode 1
		.amdhsa_fp16_overflow 0
		.amdhsa_tg_split 0
		.amdhsa_exception_fp_ieee_invalid_op 0
		.amdhsa_exception_fp_denorm_src 0
		.amdhsa_exception_fp_ieee_div_zero 0
		.amdhsa_exception_fp_ieee_overflow 0
		.amdhsa_exception_fp_ieee_underflow 0
		.amdhsa_exception_fp_ieee_inexact 0
		.amdhsa_exception_int_div_zero 0
	.end_amdhsa_kernel
	.section	.text._ZN7rocprim17ROCPRIM_400000_NS6detail17trampoline_kernelINS0_14default_configENS1_20scan_config_selectorIxEEZZNS1_9scan_implILNS1_25lookback_scan_determinismE0ELb0ELb0ES3_N6thrust23THRUST_200600_302600_NS6detail15normal_iteratorINS9_10device_ptrIxEEEESE_x9plus_mod3IxExEEDaPvRmT3_T4_T5_mT6_P12ihipStream_tbENKUlT_T0_E_clISt17integral_constantIbLb0EESU_EEDaSP_SQ_EUlSP_E_NS1_11comp_targetILNS1_3genE4ELNS1_11target_archE910ELNS1_3gpuE8ELNS1_3repE0EEENS1_30default_config_static_selectorELNS0_4arch9wavefront6targetE1EEEvT1_,"axG",@progbits,_ZN7rocprim17ROCPRIM_400000_NS6detail17trampoline_kernelINS0_14default_configENS1_20scan_config_selectorIxEEZZNS1_9scan_implILNS1_25lookback_scan_determinismE0ELb0ELb0ES3_N6thrust23THRUST_200600_302600_NS6detail15normal_iteratorINS9_10device_ptrIxEEEESE_x9plus_mod3IxExEEDaPvRmT3_T4_T5_mT6_P12ihipStream_tbENKUlT_T0_E_clISt17integral_constantIbLb0EESU_EEDaSP_SQ_EUlSP_E_NS1_11comp_targetILNS1_3genE4ELNS1_11target_archE910ELNS1_3gpuE8ELNS1_3repE0EEENS1_30default_config_static_selectorELNS0_4arch9wavefront6targetE1EEEvT1_,comdat
.Lfunc_end6536:
	.size	_ZN7rocprim17ROCPRIM_400000_NS6detail17trampoline_kernelINS0_14default_configENS1_20scan_config_selectorIxEEZZNS1_9scan_implILNS1_25lookback_scan_determinismE0ELb0ELb0ES3_N6thrust23THRUST_200600_302600_NS6detail15normal_iteratorINS9_10device_ptrIxEEEESE_x9plus_mod3IxExEEDaPvRmT3_T4_T5_mT6_P12ihipStream_tbENKUlT_T0_E_clISt17integral_constantIbLb0EESU_EEDaSP_SQ_EUlSP_E_NS1_11comp_targetILNS1_3genE4ELNS1_11target_archE910ELNS1_3gpuE8ELNS1_3repE0EEENS1_30default_config_static_selectorELNS0_4arch9wavefront6targetE1EEEvT1_, .Lfunc_end6536-_ZN7rocprim17ROCPRIM_400000_NS6detail17trampoline_kernelINS0_14default_configENS1_20scan_config_selectorIxEEZZNS1_9scan_implILNS1_25lookback_scan_determinismE0ELb0ELb0ES3_N6thrust23THRUST_200600_302600_NS6detail15normal_iteratorINS9_10device_ptrIxEEEESE_x9plus_mod3IxExEEDaPvRmT3_T4_T5_mT6_P12ihipStream_tbENKUlT_T0_E_clISt17integral_constantIbLb0EESU_EEDaSP_SQ_EUlSP_E_NS1_11comp_targetILNS1_3genE4ELNS1_11target_archE910ELNS1_3gpuE8ELNS1_3repE0EEENS1_30default_config_static_selectorELNS0_4arch9wavefront6targetE1EEEvT1_
                                        ; -- End function
	.section	.AMDGPU.csdata,"",@progbits
; Kernel info:
; codeLenInByte = 6828
; NumSgprs: 44
; NumVgprs: 39
; NumAgprs: 0
; TotalNumVgprs: 39
; ScratchSize: 0
; MemoryBound: 0
; FloatMode: 240
; IeeeMode: 1
; LDSByteSize: 7168 bytes/workgroup (compile time only)
; SGPRBlocks: 5
; VGPRBlocks: 4
; NumSGPRsForWavesPerEU: 44
; NumVGPRsForWavesPerEU: 39
; AccumOffset: 40
; Occupancy: 5
; WaveLimiterHint : 1
; COMPUTE_PGM_RSRC2:SCRATCH_EN: 0
; COMPUTE_PGM_RSRC2:USER_SGPR: 6
; COMPUTE_PGM_RSRC2:TRAP_HANDLER: 0
; COMPUTE_PGM_RSRC2:TGID_X_EN: 1
; COMPUTE_PGM_RSRC2:TGID_Y_EN: 0
; COMPUTE_PGM_RSRC2:TGID_Z_EN: 0
; COMPUTE_PGM_RSRC2:TIDIG_COMP_CNT: 0
; COMPUTE_PGM_RSRC3_GFX90A:ACCUM_OFFSET: 9
; COMPUTE_PGM_RSRC3_GFX90A:TG_SPLIT: 0
	.section	.text._ZN7rocprim17ROCPRIM_400000_NS6detail17trampoline_kernelINS0_14default_configENS1_20scan_config_selectorIxEEZZNS1_9scan_implILNS1_25lookback_scan_determinismE0ELb0ELb0ES3_N6thrust23THRUST_200600_302600_NS6detail15normal_iteratorINS9_10device_ptrIxEEEESE_x9plus_mod3IxExEEDaPvRmT3_T4_T5_mT6_P12ihipStream_tbENKUlT_T0_E_clISt17integral_constantIbLb0EESU_EEDaSP_SQ_EUlSP_E_NS1_11comp_targetILNS1_3genE3ELNS1_11target_archE908ELNS1_3gpuE7ELNS1_3repE0EEENS1_30default_config_static_selectorELNS0_4arch9wavefront6targetE1EEEvT1_,"axG",@progbits,_ZN7rocprim17ROCPRIM_400000_NS6detail17trampoline_kernelINS0_14default_configENS1_20scan_config_selectorIxEEZZNS1_9scan_implILNS1_25lookback_scan_determinismE0ELb0ELb0ES3_N6thrust23THRUST_200600_302600_NS6detail15normal_iteratorINS9_10device_ptrIxEEEESE_x9plus_mod3IxExEEDaPvRmT3_T4_T5_mT6_P12ihipStream_tbENKUlT_T0_E_clISt17integral_constantIbLb0EESU_EEDaSP_SQ_EUlSP_E_NS1_11comp_targetILNS1_3genE3ELNS1_11target_archE908ELNS1_3gpuE7ELNS1_3repE0EEENS1_30default_config_static_selectorELNS0_4arch9wavefront6targetE1EEEvT1_,comdat
	.protected	_ZN7rocprim17ROCPRIM_400000_NS6detail17trampoline_kernelINS0_14default_configENS1_20scan_config_selectorIxEEZZNS1_9scan_implILNS1_25lookback_scan_determinismE0ELb0ELb0ES3_N6thrust23THRUST_200600_302600_NS6detail15normal_iteratorINS9_10device_ptrIxEEEESE_x9plus_mod3IxExEEDaPvRmT3_T4_T5_mT6_P12ihipStream_tbENKUlT_T0_E_clISt17integral_constantIbLb0EESU_EEDaSP_SQ_EUlSP_E_NS1_11comp_targetILNS1_3genE3ELNS1_11target_archE908ELNS1_3gpuE7ELNS1_3repE0EEENS1_30default_config_static_selectorELNS0_4arch9wavefront6targetE1EEEvT1_ ; -- Begin function _ZN7rocprim17ROCPRIM_400000_NS6detail17trampoline_kernelINS0_14default_configENS1_20scan_config_selectorIxEEZZNS1_9scan_implILNS1_25lookback_scan_determinismE0ELb0ELb0ES3_N6thrust23THRUST_200600_302600_NS6detail15normal_iteratorINS9_10device_ptrIxEEEESE_x9plus_mod3IxExEEDaPvRmT3_T4_T5_mT6_P12ihipStream_tbENKUlT_T0_E_clISt17integral_constantIbLb0EESU_EEDaSP_SQ_EUlSP_E_NS1_11comp_targetILNS1_3genE3ELNS1_11target_archE908ELNS1_3gpuE7ELNS1_3repE0EEENS1_30default_config_static_selectorELNS0_4arch9wavefront6targetE1EEEvT1_
	.globl	_ZN7rocprim17ROCPRIM_400000_NS6detail17trampoline_kernelINS0_14default_configENS1_20scan_config_selectorIxEEZZNS1_9scan_implILNS1_25lookback_scan_determinismE0ELb0ELb0ES3_N6thrust23THRUST_200600_302600_NS6detail15normal_iteratorINS9_10device_ptrIxEEEESE_x9plus_mod3IxExEEDaPvRmT3_T4_T5_mT6_P12ihipStream_tbENKUlT_T0_E_clISt17integral_constantIbLb0EESU_EEDaSP_SQ_EUlSP_E_NS1_11comp_targetILNS1_3genE3ELNS1_11target_archE908ELNS1_3gpuE7ELNS1_3repE0EEENS1_30default_config_static_selectorELNS0_4arch9wavefront6targetE1EEEvT1_
	.p2align	8
	.type	_ZN7rocprim17ROCPRIM_400000_NS6detail17trampoline_kernelINS0_14default_configENS1_20scan_config_selectorIxEEZZNS1_9scan_implILNS1_25lookback_scan_determinismE0ELb0ELb0ES3_N6thrust23THRUST_200600_302600_NS6detail15normal_iteratorINS9_10device_ptrIxEEEESE_x9plus_mod3IxExEEDaPvRmT3_T4_T5_mT6_P12ihipStream_tbENKUlT_T0_E_clISt17integral_constantIbLb0EESU_EEDaSP_SQ_EUlSP_E_NS1_11comp_targetILNS1_3genE3ELNS1_11target_archE908ELNS1_3gpuE7ELNS1_3repE0EEENS1_30default_config_static_selectorELNS0_4arch9wavefront6targetE1EEEvT1_,@function
_ZN7rocprim17ROCPRIM_400000_NS6detail17trampoline_kernelINS0_14default_configENS1_20scan_config_selectorIxEEZZNS1_9scan_implILNS1_25lookback_scan_determinismE0ELb0ELb0ES3_N6thrust23THRUST_200600_302600_NS6detail15normal_iteratorINS9_10device_ptrIxEEEESE_x9plus_mod3IxExEEDaPvRmT3_T4_T5_mT6_P12ihipStream_tbENKUlT_T0_E_clISt17integral_constantIbLb0EESU_EEDaSP_SQ_EUlSP_E_NS1_11comp_targetILNS1_3genE3ELNS1_11target_archE908ELNS1_3gpuE7ELNS1_3repE0EEENS1_30default_config_static_selectorELNS0_4arch9wavefront6targetE1EEEvT1_: ; @_ZN7rocprim17ROCPRIM_400000_NS6detail17trampoline_kernelINS0_14default_configENS1_20scan_config_selectorIxEEZZNS1_9scan_implILNS1_25lookback_scan_determinismE0ELb0ELb0ES3_N6thrust23THRUST_200600_302600_NS6detail15normal_iteratorINS9_10device_ptrIxEEEESE_x9plus_mod3IxExEEDaPvRmT3_T4_T5_mT6_P12ihipStream_tbENKUlT_T0_E_clISt17integral_constantIbLb0EESU_EEDaSP_SQ_EUlSP_E_NS1_11comp_targetILNS1_3genE3ELNS1_11target_archE908ELNS1_3gpuE7ELNS1_3repE0EEENS1_30default_config_static_selectorELNS0_4arch9wavefront6targetE1EEEvT1_
; %bb.0:
	.section	.rodata,"a",@progbits
	.p2align	6, 0x0
	.amdhsa_kernel _ZN7rocprim17ROCPRIM_400000_NS6detail17trampoline_kernelINS0_14default_configENS1_20scan_config_selectorIxEEZZNS1_9scan_implILNS1_25lookback_scan_determinismE0ELb0ELb0ES3_N6thrust23THRUST_200600_302600_NS6detail15normal_iteratorINS9_10device_ptrIxEEEESE_x9plus_mod3IxExEEDaPvRmT3_T4_T5_mT6_P12ihipStream_tbENKUlT_T0_E_clISt17integral_constantIbLb0EESU_EEDaSP_SQ_EUlSP_E_NS1_11comp_targetILNS1_3genE3ELNS1_11target_archE908ELNS1_3gpuE7ELNS1_3repE0EEENS1_30default_config_static_selectorELNS0_4arch9wavefront6targetE1EEEvT1_
		.amdhsa_group_segment_fixed_size 0
		.amdhsa_private_segment_fixed_size 0
		.amdhsa_kernarg_size 104
		.amdhsa_user_sgpr_count 6
		.amdhsa_user_sgpr_private_segment_buffer 1
		.amdhsa_user_sgpr_dispatch_ptr 0
		.amdhsa_user_sgpr_queue_ptr 0
		.amdhsa_user_sgpr_kernarg_segment_ptr 1
		.amdhsa_user_sgpr_dispatch_id 0
		.amdhsa_user_sgpr_flat_scratch_init 0
		.amdhsa_user_sgpr_kernarg_preload_length 0
		.amdhsa_user_sgpr_kernarg_preload_offset 0
		.amdhsa_user_sgpr_private_segment_size 0
		.amdhsa_uses_dynamic_stack 0
		.amdhsa_system_sgpr_private_segment_wavefront_offset 0
		.amdhsa_system_sgpr_workgroup_id_x 1
		.amdhsa_system_sgpr_workgroup_id_y 0
		.amdhsa_system_sgpr_workgroup_id_z 0
		.amdhsa_system_sgpr_workgroup_info 0
		.amdhsa_system_vgpr_workitem_id 0
		.amdhsa_next_free_vgpr 1
		.amdhsa_next_free_sgpr 0
		.amdhsa_accum_offset 4
		.amdhsa_reserve_vcc 0
		.amdhsa_reserve_flat_scratch 0
		.amdhsa_float_round_mode_32 0
		.amdhsa_float_round_mode_16_64 0
		.amdhsa_float_denorm_mode_32 3
		.amdhsa_float_denorm_mode_16_64 3
		.amdhsa_dx10_clamp 1
		.amdhsa_ieee_mode 1
		.amdhsa_fp16_overflow 0
		.amdhsa_tg_split 0
		.amdhsa_exception_fp_ieee_invalid_op 0
		.amdhsa_exception_fp_denorm_src 0
		.amdhsa_exception_fp_ieee_div_zero 0
		.amdhsa_exception_fp_ieee_overflow 0
		.amdhsa_exception_fp_ieee_underflow 0
		.amdhsa_exception_fp_ieee_inexact 0
		.amdhsa_exception_int_div_zero 0
	.end_amdhsa_kernel
	.section	.text._ZN7rocprim17ROCPRIM_400000_NS6detail17trampoline_kernelINS0_14default_configENS1_20scan_config_selectorIxEEZZNS1_9scan_implILNS1_25lookback_scan_determinismE0ELb0ELb0ES3_N6thrust23THRUST_200600_302600_NS6detail15normal_iteratorINS9_10device_ptrIxEEEESE_x9plus_mod3IxExEEDaPvRmT3_T4_T5_mT6_P12ihipStream_tbENKUlT_T0_E_clISt17integral_constantIbLb0EESU_EEDaSP_SQ_EUlSP_E_NS1_11comp_targetILNS1_3genE3ELNS1_11target_archE908ELNS1_3gpuE7ELNS1_3repE0EEENS1_30default_config_static_selectorELNS0_4arch9wavefront6targetE1EEEvT1_,"axG",@progbits,_ZN7rocprim17ROCPRIM_400000_NS6detail17trampoline_kernelINS0_14default_configENS1_20scan_config_selectorIxEEZZNS1_9scan_implILNS1_25lookback_scan_determinismE0ELb0ELb0ES3_N6thrust23THRUST_200600_302600_NS6detail15normal_iteratorINS9_10device_ptrIxEEEESE_x9plus_mod3IxExEEDaPvRmT3_T4_T5_mT6_P12ihipStream_tbENKUlT_T0_E_clISt17integral_constantIbLb0EESU_EEDaSP_SQ_EUlSP_E_NS1_11comp_targetILNS1_3genE3ELNS1_11target_archE908ELNS1_3gpuE7ELNS1_3repE0EEENS1_30default_config_static_selectorELNS0_4arch9wavefront6targetE1EEEvT1_,comdat
.Lfunc_end6537:
	.size	_ZN7rocprim17ROCPRIM_400000_NS6detail17trampoline_kernelINS0_14default_configENS1_20scan_config_selectorIxEEZZNS1_9scan_implILNS1_25lookback_scan_determinismE0ELb0ELb0ES3_N6thrust23THRUST_200600_302600_NS6detail15normal_iteratorINS9_10device_ptrIxEEEESE_x9plus_mod3IxExEEDaPvRmT3_T4_T5_mT6_P12ihipStream_tbENKUlT_T0_E_clISt17integral_constantIbLb0EESU_EEDaSP_SQ_EUlSP_E_NS1_11comp_targetILNS1_3genE3ELNS1_11target_archE908ELNS1_3gpuE7ELNS1_3repE0EEENS1_30default_config_static_selectorELNS0_4arch9wavefront6targetE1EEEvT1_, .Lfunc_end6537-_ZN7rocprim17ROCPRIM_400000_NS6detail17trampoline_kernelINS0_14default_configENS1_20scan_config_selectorIxEEZZNS1_9scan_implILNS1_25lookback_scan_determinismE0ELb0ELb0ES3_N6thrust23THRUST_200600_302600_NS6detail15normal_iteratorINS9_10device_ptrIxEEEESE_x9plus_mod3IxExEEDaPvRmT3_T4_T5_mT6_P12ihipStream_tbENKUlT_T0_E_clISt17integral_constantIbLb0EESU_EEDaSP_SQ_EUlSP_E_NS1_11comp_targetILNS1_3genE3ELNS1_11target_archE908ELNS1_3gpuE7ELNS1_3repE0EEENS1_30default_config_static_selectorELNS0_4arch9wavefront6targetE1EEEvT1_
                                        ; -- End function
	.section	.AMDGPU.csdata,"",@progbits
; Kernel info:
; codeLenInByte = 0
; NumSgprs: 4
; NumVgprs: 0
; NumAgprs: 0
; TotalNumVgprs: 0
; ScratchSize: 0
; MemoryBound: 0
; FloatMode: 240
; IeeeMode: 1
; LDSByteSize: 0 bytes/workgroup (compile time only)
; SGPRBlocks: 0
; VGPRBlocks: 0
; NumSGPRsForWavesPerEU: 4
; NumVGPRsForWavesPerEU: 1
; AccumOffset: 4
; Occupancy: 8
; WaveLimiterHint : 0
; COMPUTE_PGM_RSRC2:SCRATCH_EN: 0
; COMPUTE_PGM_RSRC2:USER_SGPR: 6
; COMPUTE_PGM_RSRC2:TRAP_HANDLER: 0
; COMPUTE_PGM_RSRC2:TGID_X_EN: 1
; COMPUTE_PGM_RSRC2:TGID_Y_EN: 0
; COMPUTE_PGM_RSRC2:TGID_Z_EN: 0
; COMPUTE_PGM_RSRC2:TIDIG_COMP_CNT: 0
; COMPUTE_PGM_RSRC3_GFX90A:ACCUM_OFFSET: 0
; COMPUTE_PGM_RSRC3_GFX90A:TG_SPLIT: 0
	.section	.text._ZN7rocprim17ROCPRIM_400000_NS6detail17trampoline_kernelINS0_14default_configENS1_20scan_config_selectorIxEEZZNS1_9scan_implILNS1_25lookback_scan_determinismE0ELb0ELb0ES3_N6thrust23THRUST_200600_302600_NS6detail15normal_iteratorINS9_10device_ptrIxEEEESE_x9plus_mod3IxExEEDaPvRmT3_T4_T5_mT6_P12ihipStream_tbENKUlT_T0_E_clISt17integral_constantIbLb0EESU_EEDaSP_SQ_EUlSP_E_NS1_11comp_targetILNS1_3genE2ELNS1_11target_archE906ELNS1_3gpuE6ELNS1_3repE0EEENS1_30default_config_static_selectorELNS0_4arch9wavefront6targetE1EEEvT1_,"axG",@progbits,_ZN7rocprim17ROCPRIM_400000_NS6detail17trampoline_kernelINS0_14default_configENS1_20scan_config_selectorIxEEZZNS1_9scan_implILNS1_25lookback_scan_determinismE0ELb0ELb0ES3_N6thrust23THRUST_200600_302600_NS6detail15normal_iteratorINS9_10device_ptrIxEEEESE_x9plus_mod3IxExEEDaPvRmT3_T4_T5_mT6_P12ihipStream_tbENKUlT_T0_E_clISt17integral_constantIbLb0EESU_EEDaSP_SQ_EUlSP_E_NS1_11comp_targetILNS1_3genE2ELNS1_11target_archE906ELNS1_3gpuE6ELNS1_3repE0EEENS1_30default_config_static_selectorELNS0_4arch9wavefront6targetE1EEEvT1_,comdat
	.protected	_ZN7rocprim17ROCPRIM_400000_NS6detail17trampoline_kernelINS0_14default_configENS1_20scan_config_selectorIxEEZZNS1_9scan_implILNS1_25lookback_scan_determinismE0ELb0ELb0ES3_N6thrust23THRUST_200600_302600_NS6detail15normal_iteratorINS9_10device_ptrIxEEEESE_x9plus_mod3IxExEEDaPvRmT3_T4_T5_mT6_P12ihipStream_tbENKUlT_T0_E_clISt17integral_constantIbLb0EESU_EEDaSP_SQ_EUlSP_E_NS1_11comp_targetILNS1_3genE2ELNS1_11target_archE906ELNS1_3gpuE6ELNS1_3repE0EEENS1_30default_config_static_selectorELNS0_4arch9wavefront6targetE1EEEvT1_ ; -- Begin function _ZN7rocprim17ROCPRIM_400000_NS6detail17trampoline_kernelINS0_14default_configENS1_20scan_config_selectorIxEEZZNS1_9scan_implILNS1_25lookback_scan_determinismE0ELb0ELb0ES3_N6thrust23THRUST_200600_302600_NS6detail15normal_iteratorINS9_10device_ptrIxEEEESE_x9plus_mod3IxExEEDaPvRmT3_T4_T5_mT6_P12ihipStream_tbENKUlT_T0_E_clISt17integral_constantIbLb0EESU_EEDaSP_SQ_EUlSP_E_NS1_11comp_targetILNS1_3genE2ELNS1_11target_archE906ELNS1_3gpuE6ELNS1_3repE0EEENS1_30default_config_static_selectorELNS0_4arch9wavefront6targetE1EEEvT1_
	.globl	_ZN7rocprim17ROCPRIM_400000_NS6detail17trampoline_kernelINS0_14default_configENS1_20scan_config_selectorIxEEZZNS1_9scan_implILNS1_25lookback_scan_determinismE0ELb0ELb0ES3_N6thrust23THRUST_200600_302600_NS6detail15normal_iteratorINS9_10device_ptrIxEEEESE_x9plus_mod3IxExEEDaPvRmT3_T4_T5_mT6_P12ihipStream_tbENKUlT_T0_E_clISt17integral_constantIbLb0EESU_EEDaSP_SQ_EUlSP_E_NS1_11comp_targetILNS1_3genE2ELNS1_11target_archE906ELNS1_3gpuE6ELNS1_3repE0EEENS1_30default_config_static_selectorELNS0_4arch9wavefront6targetE1EEEvT1_
	.p2align	8
	.type	_ZN7rocprim17ROCPRIM_400000_NS6detail17trampoline_kernelINS0_14default_configENS1_20scan_config_selectorIxEEZZNS1_9scan_implILNS1_25lookback_scan_determinismE0ELb0ELb0ES3_N6thrust23THRUST_200600_302600_NS6detail15normal_iteratorINS9_10device_ptrIxEEEESE_x9plus_mod3IxExEEDaPvRmT3_T4_T5_mT6_P12ihipStream_tbENKUlT_T0_E_clISt17integral_constantIbLb0EESU_EEDaSP_SQ_EUlSP_E_NS1_11comp_targetILNS1_3genE2ELNS1_11target_archE906ELNS1_3gpuE6ELNS1_3repE0EEENS1_30default_config_static_selectorELNS0_4arch9wavefront6targetE1EEEvT1_,@function
_ZN7rocprim17ROCPRIM_400000_NS6detail17trampoline_kernelINS0_14default_configENS1_20scan_config_selectorIxEEZZNS1_9scan_implILNS1_25lookback_scan_determinismE0ELb0ELb0ES3_N6thrust23THRUST_200600_302600_NS6detail15normal_iteratorINS9_10device_ptrIxEEEESE_x9plus_mod3IxExEEDaPvRmT3_T4_T5_mT6_P12ihipStream_tbENKUlT_T0_E_clISt17integral_constantIbLb0EESU_EEDaSP_SQ_EUlSP_E_NS1_11comp_targetILNS1_3genE2ELNS1_11target_archE906ELNS1_3gpuE6ELNS1_3repE0EEENS1_30default_config_static_selectorELNS0_4arch9wavefront6targetE1EEEvT1_: ; @_ZN7rocprim17ROCPRIM_400000_NS6detail17trampoline_kernelINS0_14default_configENS1_20scan_config_selectorIxEEZZNS1_9scan_implILNS1_25lookback_scan_determinismE0ELb0ELb0ES3_N6thrust23THRUST_200600_302600_NS6detail15normal_iteratorINS9_10device_ptrIxEEEESE_x9plus_mod3IxExEEDaPvRmT3_T4_T5_mT6_P12ihipStream_tbENKUlT_T0_E_clISt17integral_constantIbLb0EESU_EEDaSP_SQ_EUlSP_E_NS1_11comp_targetILNS1_3genE2ELNS1_11target_archE906ELNS1_3gpuE6ELNS1_3repE0EEENS1_30default_config_static_selectorELNS0_4arch9wavefront6targetE1EEEvT1_
; %bb.0:
	.section	.rodata,"a",@progbits
	.p2align	6, 0x0
	.amdhsa_kernel _ZN7rocprim17ROCPRIM_400000_NS6detail17trampoline_kernelINS0_14default_configENS1_20scan_config_selectorIxEEZZNS1_9scan_implILNS1_25lookback_scan_determinismE0ELb0ELb0ES3_N6thrust23THRUST_200600_302600_NS6detail15normal_iteratorINS9_10device_ptrIxEEEESE_x9plus_mod3IxExEEDaPvRmT3_T4_T5_mT6_P12ihipStream_tbENKUlT_T0_E_clISt17integral_constantIbLb0EESU_EEDaSP_SQ_EUlSP_E_NS1_11comp_targetILNS1_3genE2ELNS1_11target_archE906ELNS1_3gpuE6ELNS1_3repE0EEENS1_30default_config_static_selectorELNS0_4arch9wavefront6targetE1EEEvT1_
		.amdhsa_group_segment_fixed_size 0
		.amdhsa_private_segment_fixed_size 0
		.amdhsa_kernarg_size 104
		.amdhsa_user_sgpr_count 6
		.amdhsa_user_sgpr_private_segment_buffer 1
		.amdhsa_user_sgpr_dispatch_ptr 0
		.amdhsa_user_sgpr_queue_ptr 0
		.amdhsa_user_sgpr_kernarg_segment_ptr 1
		.amdhsa_user_sgpr_dispatch_id 0
		.amdhsa_user_sgpr_flat_scratch_init 0
		.amdhsa_user_sgpr_kernarg_preload_length 0
		.amdhsa_user_sgpr_kernarg_preload_offset 0
		.amdhsa_user_sgpr_private_segment_size 0
		.amdhsa_uses_dynamic_stack 0
		.amdhsa_system_sgpr_private_segment_wavefront_offset 0
		.amdhsa_system_sgpr_workgroup_id_x 1
		.amdhsa_system_sgpr_workgroup_id_y 0
		.amdhsa_system_sgpr_workgroup_id_z 0
		.amdhsa_system_sgpr_workgroup_info 0
		.amdhsa_system_vgpr_workitem_id 0
		.amdhsa_next_free_vgpr 1
		.amdhsa_next_free_sgpr 0
		.amdhsa_accum_offset 4
		.amdhsa_reserve_vcc 0
		.amdhsa_reserve_flat_scratch 0
		.amdhsa_float_round_mode_32 0
		.amdhsa_float_round_mode_16_64 0
		.amdhsa_float_denorm_mode_32 3
		.amdhsa_float_denorm_mode_16_64 3
		.amdhsa_dx10_clamp 1
		.amdhsa_ieee_mode 1
		.amdhsa_fp16_overflow 0
		.amdhsa_tg_split 0
		.amdhsa_exception_fp_ieee_invalid_op 0
		.amdhsa_exception_fp_denorm_src 0
		.amdhsa_exception_fp_ieee_div_zero 0
		.amdhsa_exception_fp_ieee_overflow 0
		.amdhsa_exception_fp_ieee_underflow 0
		.amdhsa_exception_fp_ieee_inexact 0
		.amdhsa_exception_int_div_zero 0
	.end_amdhsa_kernel
	.section	.text._ZN7rocprim17ROCPRIM_400000_NS6detail17trampoline_kernelINS0_14default_configENS1_20scan_config_selectorIxEEZZNS1_9scan_implILNS1_25lookback_scan_determinismE0ELb0ELb0ES3_N6thrust23THRUST_200600_302600_NS6detail15normal_iteratorINS9_10device_ptrIxEEEESE_x9plus_mod3IxExEEDaPvRmT3_T4_T5_mT6_P12ihipStream_tbENKUlT_T0_E_clISt17integral_constantIbLb0EESU_EEDaSP_SQ_EUlSP_E_NS1_11comp_targetILNS1_3genE2ELNS1_11target_archE906ELNS1_3gpuE6ELNS1_3repE0EEENS1_30default_config_static_selectorELNS0_4arch9wavefront6targetE1EEEvT1_,"axG",@progbits,_ZN7rocprim17ROCPRIM_400000_NS6detail17trampoline_kernelINS0_14default_configENS1_20scan_config_selectorIxEEZZNS1_9scan_implILNS1_25lookback_scan_determinismE0ELb0ELb0ES3_N6thrust23THRUST_200600_302600_NS6detail15normal_iteratorINS9_10device_ptrIxEEEESE_x9plus_mod3IxExEEDaPvRmT3_T4_T5_mT6_P12ihipStream_tbENKUlT_T0_E_clISt17integral_constantIbLb0EESU_EEDaSP_SQ_EUlSP_E_NS1_11comp_targetILNS1_3genE2ELNS1_11target_archE906ELNS1_3gpuE6ELNS1_3repE0EEENS1_30default_config_static_selectorELNS0_4arch9wavefront6targetE1EEEvT1_,comdat
.Lfunc_end6538:
	.size	_ZN7rocprim17ROCPRIM_400000_NS6detail17trampoline_kernelINS0_14default_configENS1_20scan_config_selectorIxEEZZNS1_9scan_implILNS1_25lookback_scan_determinismE0ELb0ELb0ES3_N6thrust23THRUST_200600_302600_NS6detail15normal_iteratorINS9_10device_ptrIxEEEESE_x9plus_mod3IxExEEDaPvRmT3_T4_T5_mT6_P12ihipStream_tbENKUlT_T0_E_clISt17integral_constantIbLb0EESU_EEDaSP_SQ_EUlSP_E_NS1_11comp_targetILNS1_3genE2ELNS1_11target_archE906ELNS1_3gpuE6ELNS1_3repE0EEENS1_30default_config_static_selectorELNS0_4arch9wavefront6targetE1EEEvT1_, .Lfunc_end6538-_ZN7rocprim17ROCPRIM_400000_NS6detail17trampoline_kernelINS0_14default_configENS1_20scan_config_selectorIxEEZZNS1_9scan_implILNS1_25lookback_scan_determinismE0ELb0ELb0ES3_N6thrust23THRUST_200600_302600_NS6detail15normal_iteratorINS9_10device_ptrIxEEEESE_x9plus_mod3IxExEEDaPvRmT3_T4_T5_mT6_P12ihipStream_tbENKUlT_T0_E_clISt17integral_constantIbLb0EESU_EEDaSP_SQ_EUlSP_E_NS1_11comp_targetILNS1_3genE2ELNS1_11target_archE906ELNS1_3gpuE6ELNS1_3repE0EEENS1_30default_config_static_selectorELNS0_4arch9wavefront6targetE1EEEvT1_
                                        ; -- End function
	.section	.AMDGPU.csdata,"",@progbits
; Kernel info:
; codeLenInByte = 0
; NumSgprs: 4
; NumVgprs: 0
; NumAgprs: 0
; TotalNumVgprs: 0
; ScratchSize: 0
; MemoryBound: 0
; FloatMode: 240
; IeeeMode: 1
; LDSByteSize: 0 bytes/workgroup (compile time only)
; SGPRBlocks: 0
; VGPRBlocks: 0
; NumSGPRsForWavesPerEU: 4
; NumVGPRsForWavesPerEU: 1
; AccumOffset: 4
; Occupancy: 8
; WaveLimiterHint : 0
; COMPUTE_PGM_RSRC2:SCRATCH_EN: 0
; COMPUTE_PGM_RSRC2:USER_SGPR: 6
; COMPUTE_PGM_RSRC2:TRAP_HANDLER: 0
; COMPUTE_PGM_RSRC2:TGID_X_EN: 1
; COMPUTE_PGM_RSRC2:TGID_Y_EN: 0
; COMPUTE_PGM_RSRC2:TGID_Z_EN: 0
; COMPUTE_PGM_RSRC2:TIDIG_COMP_CNT: 0
; COMPUTE_PGM_RSRC3_GFX90A:ACCUM_OFFSET: 0
; COMPUTE_PGM_RSRC3_GFX90A:TG_SPLIT: 0
	.section	.text._ZN7rocprim17ROCPRIM_400000_NS6detail17trampoline_kernelINS0_14default_configENS1_20scan_config_selectorIxEEZZNS1_9scan_implILNS1_25lookback_scan_determinismE0ELb0ELb0ES3_N6thrust23THRUST_200600_302600_NS6detail15normal_iteratorINS9_10device_ptrIxEEEESE_x9plus_mod3IxExEEDaPvRmT3_T4_T5_mT6_P12ihipStream_tbENKUlT_T0_E_clISt17integral_constantIbLb0EESU_EEDaSP_SQ_EUlSP_E_NS1_11comp_targetILNS1_3genE10ELNS1_11target_archE1201ELNS1_3gpuE5ELNS1_3repE0EEENS1_30default_config_static_selectorELNS0_4arch9wavefront6targetE1EEEvT1_,"axG",@progbits,_ZN7rocprim17ROCPRIM_400000_NS6detail17trampoline_kernelINS0_14default_configENS1_20scan_config_selectorIxEEZZNS1_9scan_implILNS1_25lookback_scan_determinismE0ELb0ELb0ES3_N6thrust23THRUST_200600_302600_NS6detail15normal_iteratorINS9_10device_ptrIxEEEESE_x9plus_mod3IxExEEDaPvRmT3_T4_T5_mT6_P12ihipStream_tbENKUlT_T0_E_clISt17integral_constantIbLb0EESU_EEDaSP_SQ_EUlSP_E_NS1_11comp_targetILNS1_3genE10ELNS1_11target_archE1201ELNS1_3gpuE5ELNS1_3repE0EEENS1_30default_config_static_selectorELNS0_4arch9wavefront6targetE1EEEvT1_,comdat
	.protected	_ZN7rocprim17ROCPRIM_400000_NS6detail17trampoline_kernelINS0_14default_configENS1_20scan_config_selectorIxEEZZNS1_9scan_implILNS1_25lookback_scan_determinismE0ELb0ELb0ES3_N6thrust23THRUST_200600_302600_NS6detail15normal_iteratorINS9_10device_ptrIxEEEESE_x9plus_mod3IxExEEDaPvRmT3_T4_T5_mT6_P12ihipStream_tbENKUlT_T0_E_clISt17integral_constantIbLb0EESU_EEDaSP_SQ_EUlSP_E_NS1_11comp_targetILNS1_3genE10ELNS1_11target_archE1201ELNS1_3gpuE5ELNS1_3repE0EEENS1_30default_config_static_selectorELNS0_4arch9wavefront6targetE1EEEvT1_ ; -- Begin function _ZN7rocprim17ROCPRIM_400000_NS6detail17trampoline_kernelINS0_14default_configENS1_20scan_config_selectorIxEEZZNS1_9scan_implILNS1_25lookback_scan_determinismE0ELb0ELb0ES3_N6thrust23THRUST_200600_302600_NS6detail15normal_iteratorINS9_10device_ptrIxEEEESE_x9plus_mod3IxExEEDaPvRmT3_T4_T5_mT6_P12ihipStream_tbENKUlT_T0_E_clISt17integral_constantIbLb0EESU_EEDaSP_SQ_EUlSP_E_NS1_11comp_targetILNS1_3genE10ELNS1_11target_archE1201ELNS1_3gpuE5ELNS1_3repE0EEENS1_30default_config_static_selectorELNS0_4arch9wavefront6targetE1EEEvT1_
	.globl	_ZN7rocprim17ROCPRIM_400000_NS6detail17trampoline_kernelINS0_14default_configENS1_20scan_config_selectorIxEEZZNS1_9scan_implILNS1_25lookback_scan_determinismE0ELb0ELb0ES3_N6thrust23THRUST_200600_302600_NS6detail15normal_iteratorINS9_10device_ptrIxEEEESE_x9plus_mod3IxExEEDaPvRmT3_T4_T5_mT6_P12ihipStream_tbENKUlT_T0_E_clISt17integral_constantIbLb0EESU_EEDaSP_SQ_EUlSP_E_NS1_11comp_targetILNS1_3genE10ELNS1_11target_archE1201ELNS1_3gpuE5ELNS1_3repE0EEENS1_30default_config_static_selectorELNS0_4arch9wavefront6targetE1EEEvT1_
	.p2align	8
	.type	_ZN7rocprim17ROCPRIM_400000_NS6detail17trampoline_kernelINS0_14default_configENS1_20scan_config_selectorIxEEZZNS1_9scan_implILNS1_25lookback_scan_determinismE0ELb0ELb0ES3_N6thrust23THRUST_200600_302600_NS6detail15normal_iteratorINS9_10device_ptrIxEEEESE_x9plus_mod3IxExEEDaPvRmT3_T4_T5_mT6_P12ihipStream_tbENKUlT_T0_E_clISt17integral_constantIbLb0EESU_EEDaSP_SQ_EUlSP_E_NS1_11comp_targetILNS1_3genE10ELNS1_11target_archE1201ELNS1_3gpuE5ELNS1_3repE0EEENS1_30default_config_static_selectorELNS0_4arch9wavefront6targetE1EEEvT1_,@function
_ZN7rocprim17ROCPRIM_400000_NS6detail17trampoline_kernelINS0_14default_configENS1_20scan_config_selectorIxEEZZNS1_9scan_implILNS1_25lookback_scan_determinismE0ELb0ELb0ES3_N6thrust23THRUST_200600_302600_NS6detail15normal_iteratorINS9_10device_ptrIxEEEESE_x9plus_mod3IxExEEDaPvRmT3_T4_T5_mT6_P12ihipStream_tbENKUlT_T0_E_clISt17integral_constantIbLb0EESU_EEDaSP_SQ_EUlSP_E_NS1_11comp_targetILNS1_3genE10ELNS1_11target_archE1201ELNS1_3gpuE5ELNS1_3repE0EEENS1_30default_config_static_selectorELNS0_4arch9wavefront6targetE1EEEvT1_: ; @_ZN7rocprim17ROCPRIM_400000_NS6detail17trampoline_kernelINS0_14default_configENS1_20scan_config_selectorIxEEZZNS1_9scan_implILNS1_25lookback_scan_determinismE0ELb0ELb0ES3_N6thrust23THRUST_200600_302600_NS6detail15normal_iteratorINS9_10device_ptrIxEEEESE_x9plus_mod3IxExEEDaPvRmT3_T4_T5_mT6_P12ihipStream_tbENKUlT_T0_E_clISt17integral_constantIbLb0EESU_EEDaSP_SQ_EUlSP_E_NS1_11comp_targetILNS1_3genE10ELNS1_11target_archE1201ELNS1_3gpuE5ELNS1_3repE0EEENS1_30default_config_static_selectorELNS0_4arch9wavefront6targetE1EEEvT1_
; %bb.0:
	.section	.rodata,"a",@progbits
	.p2align	6, 0x0
	.amdhsa_kernel _ZN7rocprim17ROCPRIM_400000_NS6detail17trampoline_kernelINS0_14default_configENS1_20scan_config_selectorIxEEZZNS1_9scan_implILNS1_25lookback_scan_determinismE0ELb0ELb0ES3_N6thrust23THRUST_200600_302600_NS6detail15normal_iteratorINS9_10device_ptrIxEEEESE_x9plus_mod3IxExEEDaPvRmT3_T4_T5_mT6_P12ihipStream_tbENKUlT_T0_E_clISt17integral_constantIbLb0EESU_EEDaSP_SQ_EUlSP_E_NS1_11comp_targetILNS1_3genE10ELNS1_11target_archE1201ELNS1_3gpuE5ELNS1_3repE0EEENS1_30default_config_static_selectorELNS0_4arch9wavefront6targetE1EEEvT1_
		.amdhsa_group_segment_fixed_size 0
		.amdhsa_private_segment_fixed_size 0
		.amdhsa_kernarg_size 104
		.amdhsa_user_sgpr_count 6
		.amdhsa_user_sgpr_private_segment_buffer 1
		.amdhsa_user_sgpr_dispatch_ptr 0
		.amdhsa_user_sgpr_queue_ptr 0
		.amdhsa_user_sgpr_kernarg_segment_ptr 1
		.amdhsa_user_sgpr_dispatch_id 0
		.amdhsa_user_sgpr_flat_scratch_init 0
		.amdhsa_user_sgpr_kernarg_preload_length 0
		.amdhsa_user_sgpr_kernarg_preload_offset 0
		.amdhsa_user_sgpr_private_segment_size 0
		.amdhsa_uses_dynamic_stack 0
		.amdhsa_system_sgpr_private_segment_wavefront_offset 0
		.amdhsa_system_sgpr_workgroup_id_x 1
		.amdhsa_system_sgpr_workgroup_id_y 0
		.amdhsa_system_sgpr_workgroup_id_z 0
		.amdhsa_system_sgpr_workgroup_info 0
		.amdhsa_system_vgpr_workitem_id 0
		.amdhsa_next_free_vgpr 1
		.amdhsa_next_free_sgpr 0
		.amdhsa_accum_offset 4
		.amdhsa_reserve_vcc 0
		.amdhsa_reserve_flat_scratch 0
		.amdhsa_float_round_mode_32 0
		.amdhsa_float_round_mode_16_64 0
		.amdhsa_float_denorm_mode_32 3
		.amdhsa_float_denorm_mode_16_64 3
		.amdhsa_dx10_clamp 1
		.amdhsa_ieee_mode 1
		.amdhsa_fp16_overflow 0
		.amdhsa_tg_split 0
		.amdhsa_exception_fp_ieee_invalid_op 0
		.amdhsa_exception_fp_denorm_src 0
		.amdhsa_exception_fp_ieee_div_zero 0
		.amdhsa_exception_fp_ieee_overflow 0
		.amdhsa_exception_fp_ieee_underflow 0
		.amdhsa_exception_fp_ieee_inexact 0
		.amdhsa_exception_int_div_zero 0
	.end_amdhsa_kernel
	.section	.text._ZN7rocprim17ROCPRIM_400000_NS6detail17trampoline_kernelINS0_14default_configENS1_20scan_config_selectorIxEEZZNS1_9scan_implILNS1_25lookback_scan_determinismE0ELb0ELb0ES3_N6thrust23THRUST_200600_302600_NS6detail15normal_iteratorINS9_10device_ptrIxEEEESE_x9plus_mod3IxExEEDaPvRmT3_T4_T5_mT6_P12ihipStream_tbENKUlT_T0_E_clISt17integral_constantIbLb0EESU_EEDaSP_SQ_EUlSP_E_NS1_11comp_targetILNS1_3genE10ELNS1_11target_archE1201ELNS1_3gpuE5ELNS1_3repE0EEENS1_30default_config_static_selectorELNS0_4arch9wavefront6targetE1EEEvT1_,"axG",@progbits,_ZN7rocprim17ROCPRIM_400000_NS6detail17trampoline_kernelINS0_14default_configENS1_20scan_config_selectorIxEEZZNS1_9scan_implILNS1_25lookback_scan_determinismE0ELb0ELb0ES3_N6thrust23THRUST_200600_302600_NS6detail15normal_iteratorINS9_10device_ptrIxEEEESE_x9plus_mod3IxExEEDaPvRmT3_T4_T5_mT6_P12ihipStream_tbENKUlT_T0_E_clISt17integral_constantIbLb0EESU_EEDaSP_SQ_EUlSP_E_NS1_11comp_targetILNS1_3genE10ELNS1_11target_archE1201ELNS1_3gpuE5ELNS1_3repE0EEENS1_30default_config_static_selectorELNS0_4arch9wavefront6targetE1EEEvT1_,comdat
.Lfunc_end6539:
	.size	_ZN7rocprim17ROCPRIM_400000_NS6detail17trampoline_kernelINS0_14default_configENS1_20scan_config_selectorIxEEZZNS1_9scan_implILNS1_25lookback_scan_determinismE0ELb0ELb0ES3_N6thrust23THRUST_200600_302600_NS6detail15normal_iteratorINS9_10device_ptrIxEEEESE_x9plus_mod3IxExEEDaPvRmT3_T4_T5_mT6_P12ihipStream_tbENKUlT_T0_E_clISt17integral_constantIbLb0EESU_EEDaSP_SQ_EUlSP_E_NS1_11comp_targetILNS1_3genE10ELNS1_11target_archE1201ELNS1_3gpuE5ELNS1_3repE0EEENS1_30default_config_static_selectorELNS0_4arch9wavefront6targetE1EEEvT1_, .Lfunc_end6539-_ZN7rocprim17ROCPRIM_400000_NS6detail17trampoline_kernelINS0_14default_configENS1_20scan_config_selectorIxEEZZNS1_9scan_implILNS1_25lookback_scan_determinismE0ELb0ELb0ES3_N6thrust23THRUST_200600_302600_NS6detail15normal_iteratorINS9_10device_ptrIxEEEESE_x9plus_mod3IxExEEDaPvRmT3_T4_T5_mT6_P12ihipStream_tbENKUlT_T0_E_clISt17integral_constantIbLb0EESU_EEDaSP_SQ_EUlSP_E_NS1_11comp_targetILNS1_3genE10ELNS1_11target_archE1201ELNS1_3gpuE5ELNS1_3repE0EEENS1_30default_config_static_selectorELNS0_4arch9wavefront6targetE1EEEvT1_
                                        ; -- End function
	.section	.AMDGPU.csdata,"",@progbits
; Kernel info:
; codeLenInByte = 0
; NumSgprs: 4
; NumVgprs: 0
; NumAgprs: 0
; TotalNumVgprs: 0
; ScratchSize: 0
; MemoryBound: 0
; FloatMode: 240
; IeeeMode: 1
; LDSByteSize: 0 bytes/workgroup (compile time only)
; SGPRBlocks: 0
; VGPRBlocks: 0
; NumSGPRsForWavesPerEU: 4
; NumVGPRsForWavesPerEU: 1
; AccumOffset: 4
; Occupancy: 8
; WaveLimiterHint : 0
; COMPUTE_PGM_RSRC2:SCRATCH_EN: 0
; COMPUTE_PGM_RSRC2:USER_SGPR: 6
; COMPUTE_PGM_RSRC2:TRAP_HANDLER: 0
; COMPUTE_PGM_RSRC2:TGID_X_EN: 1
; COMPUTE_PGM_RSRC2:TGID_Y_EN: 0
; COMPUTE_PGM_RSRC2:TGID_Z_EN: 0
; COMPUTE_PGM_RSRC2:TIDIG_COMP_CNT: 0
; COMPUTE_PGM_RSRC3_GFX90A:ACCUM_OFFSET: 0
; COMPUTE_PGM_RSRC3_GFX90A:TG_SPLIT: 0
	.section	.text._ZN7rocprim17ROCPRIM_400000_NS6detail17trampoline_kernelINS0_14default_configENS1_20scan_config_selectorIxEEZZNS1_9scan_implILNS1_25lookback_scan_determinismE0ELb0ELb0ES3_N6thrust23THRUST_200600_302600_NS6detail15normal_iteratorINS9_10device_ptrIxEEEESE_x9plus_mod3IxExEEDaPvRmT3_T4_T5_mT6_P12ihipStream_tbENKUlT_T0_E_clISt17integral_constantIbLb0EESU_EEDaSP_SQ_EUlSP_E_NS1_11comp_targetILNS1_3genE10ELNS1_11target_archE1200ELNS1_3gpuE4ELNS1_3repE0EEENS1_30default_config_static_selectorELNS0_4arch9wavefront6targetE1EEEvT1_,"axG",@progbits,_ZN7rocprim17ROCPRIM_400000_NS6detail17trampoline_kernelINS0_14default_configENS1_20scan_config_selectorIxEEZZNS1_9scan_implILNS1_25lookback_scan_determinismE0ELb0ELb0ES3_N6thrust23THRUST_200600_302600_NS6detail15normal_iteratorINS9_10device_ptrIxEEEESE_x9plus_mod3IxExEEDaPvRmT3_T4_T5_mT6_P12ihipStream_tbENKUlT_T0_E_clISt17integral_constantIbLb0EESU_EEDaSP_SQ_EUlSP_E_NS1_11comp_targetILNS1_3genE10ELNS1_11target_archE1200ELNS1_3gpuE4ELNS1_3repE0EEENS1_30default_config_static_selectorELNS0_4arch9wavefront6targetE1EEEvT1_,comdat
	.protected	_ZN7rocprim17ROCPRIM_400000_NS6detail17trampoline_kernelINS0_14default_configENS1_20scan_config_selectorIxEEZZNS1_9scan_implILNS1_25lookback_scan_determinismE0ELb0ELb0ES3_N6thrust23THRUST_200600_302600_NS6detail15normal_iteratorINS9_10device_ptrIxEEEESE_x9plus_mod3IxExEEDaPvRmT3_T4_T5_mT6_P12ihipStream_tbENKUlT_T0_E_clISt17integral_constantIbLb0EESU_EEDaSP_SQ_EUlSP_E_NS1_11comp_targetILNS1_3genE10ELNS1_11target_archE1200ELNS1_3gpuE4ELNS1_3repE0EEENS1_30default_config_static_selectorELNS0_4arch9wavefront6targetE1EEEvT1_ ; -- Begin function _ZN7rocprim17ROCPRIM_400000_NS6detail17trampoline_kernelINS0_14default_configENS1_20scan_config_selectorIxEEZZNS1_9scan_implILNS1_25lookback_scan_determinismE0ELb0ELb0ES3_N6thrust23THRUST_200600_302600_NS6detail15normal_iteratorINS9_10device_ptrIxEEEESE_x9plus_mod3IxExEEDaPvRmT3_T4_T5_mT6_P12ihipStream_tbENKUlT_T0_E_clISt17integral_constantIbLb0EESU_EEDaSP_SQ_EUlSP_E_NS1_11comp_targetILNS1_3genE10ELNS1_11target_archE1200ELNS1_3gpuE4ELNS1_3repE0EEENS1_30default_config_static_selectorELNS0_4arch9wavefront6targetE1EEEvT1_
	.globl	_ZN7rocprim17ROCPRIM_400000_NS6detail17trampoline_kernelINS0_14default_configENS1_20scan_config_selectorIxEEZZNS1_9scan_implILNS1_25lookback_scan_determinismE0ELb0ELb0ES3_N6thrust23THRUST_200600_302600_NS6detail15normal_iteratorINS9_10device_ptrIxEEEESE_x9plus_mod3IxExEEDaPvRmT3_T4_T5_mT6_P12ihipStream_tbENKUlT_T0_E_clISt17integral_constantIbLb0EESU_EEDaSP_SQ_EUlSP_E_NS1_11comp_targetILNS1_3genE10ELNS1_11target_archE1200ELNS1_3gpuE4ELNS1_3repE0EEENS1_30default_config_static_selectorELNS0_4arch9wavefront6targetE1EEEvT1_
	.p2align	8
	.type	_ZN7rocprim17ROCPRIM_400000_NS6detail17trampoline_kernelINS0_14default_configENS1_20scan_config_selectorIxEEZZNS1_9scan_implILNS1_25lookback_scan_determinismE0ELb0ELb0ES3_N6thrust23THRUST_200600_302600_NS6detail15normal_iteratorINS9_10device_ptrIxEEEESE_x9plus_mod3IxExEEDaPvRmT3_T4_T5_mT6_P12ihipStream_tbENKUlT_T0_E_clISt17integral_constantIbLb0EESU_EEDaSP_SQ_EUlSP_E_NS1_11comp_targetILNS1_3genE10ELNS1_11target_archE1200ELNS1_3gpuE4ELNS1_3repE0EEENS1_30default_config_static_selectorELNS0_4arch9wavefront6targetE1EEEvT1_,@function
_ZN7rocprim17ROCPRIM_400000_NS6detail17trampoline_kernelINS0_14default_configENS1_20scan_config_selectorIxEEZZNS1_9scan_implILNS1_25lookback_scan_determinismE0ELb0ELb0ES3_N6thrust23THRUST_200600_302600_NS6detail15normal_iteratorINS9_10device_ptrIxEEEESE_x9plus_mod3IxExEEDaPvRmT3_T4_T5_mT6_P12ihipStream_tbENKUlT_T0_E_clISt17integral_constantIbLb0EESU_EEDaSP_SQ_EUlSP_E_NS1_11comp_targetILNS1_3genE10ELNS1_11target_archE1200ELNS1_3gpuE4ELNS1_3repE0EEENS1_30default_config_static_selectorELNS0_4arch9wavefront6targetE1EEEvT1_: ; @_ZN7rocprim17ROCPRIM_400000_NS6detail17trampoline_kernelINS0_14default_configENS1_20scan_config_selectorIxEEZZNS1_9scan_implILNS1_25lookback_scan_determinismE0ELb0ELb0ES3_N6thrust23THRUST_200600_302600_NS6detail15normal_iteratorINS9_10device_ptrIxEEEESE_x9plus_mod3IxExEEDaPvRmT3_T4_T5_mT6_P12ihipStream_tbENKUlT_T0_E_clISt17integral_constantIbLb0EESU_EEDaSP_SQ_EUlSP_E_NS1_11comp_targetILNS1_3genE10ELNS1_11target_archE1200ELNS1_3gpuE4ELNS1_3repE0EEENS1_30default_config_static_selectorELNS0_4arch9wavefront6targetE1EEEvT1_
; %bb.0:
	.section	.rodata,"a",@progbits
	.p2align	6, 0x0
	.amdhsa_kernel _ZN7rocprim17ROCPRIM_400000_NS6detail17trampoline_kernelINS0_14default_configENS1_20scan_config_selectorIxEEZZNS1_9scan_implILNS1_25lookback_scan_determinismE0ELb0ELb0ES3_N6thrust23THRUST_200600_302600_NS6detail15normal_iteratorINS9_10device_ptrIxEEEESE_x9plus_mod3IxExEEDaPvRmT3_T4_T5_mT6_P12ihipStream_tbENKUlT_T0_E_clISt17integral_constantIbLb0EESU_EEDaSP_SQ_EUlSP_E_NS1_11comp_targetILNS1_3genE10ELNS1_11target_archE1200ELNS1_3gpuE4ELNS1_3repE0EEENS1_30default_config_static_selectorELNS0_4arch9wavefront6targetE1EEEvT1_
		.amdhsa_group_segment_fixed_size 0
		.amdhsa_private_segment_fixed_size 0
		.amdhsa_kernarg_size 104
		.amdhsa_user_sgpr_count 6
		.amdhsa_user_sgpr_private_segment_buffer 1
		.amdhsa_user_sgpr_dispatch_ptr 0
		.amdhsa_user_sgpr_queue_ptr 0
		.amdhsa_user_sgpr_kernarg_segment_ptr 1
		.amdhsa_user_sgpr_dispatch_id 0
		.amdhsa_user_sgpr_flat_scratch_init 0
		.amdhsa_user_sgpr_kernarg_preload_length 0
		.amdhsa_user_sgpr_kernarg_preload_offset 0
		.amdhsa_user_sgpr_private_segment_size 0
		.amdhsa_uses_dynamic_stack 0
		.amdhsa_system_sgpr_private_segment_wavefront_offset 0
		.amdhsa_system_sgpr_workgroup_id_x 1
		.amdhsa_system_sgpr_workgroup_id_y 0
		.amdhsa_system_sgpr_workgroup_id_z 0
		.amdhsa_system_sgpr_workgroup_info 0
		.amdhsa_system_vgpr_workitem_id 0
		.amdhsa_next_free_vgpr 1
		.amdhsa_next_free_sgpr 0
		.amdhsa_accum_offset 4
		.amdhsa_reserve_vcc 0
		.amdhsa_reserve_flat_scratch 0
		.amdhsa_float_round_mode_32 0
		.amdhsa_float_round_mode_16_64 0
		.amdhsa_float_denorm_mode_32 3
		.amdhsa_float_denorm_mode_16_64 3
		.amdhsa_dx10_clamp 1
		.amdhsa_ieee_mode 1
		.amdhsa_fp16_overflow 0
		.amdhsa_tg_split 0
		.amdhsa_exception_fp_ieee_invalid_op 0
		.amdhsa_exception_fp_denorm_src 0
		.amdhsa_exception_fp_ieee_div_zero 0
		.amdhsa_exception_fp_ieee_overflow 0
		.amdhsa_exception_fp_ieee_underflow 0
		.amdhsa_exception_fp_ieee_inexact 0
		.amdhsa_exception_int_div_zero 0
	.end_amdhsa_kernel
	.section	.text._ZN7rocprim17ROCPRIM_400000_NS6detail17trampoline_kernelINS0_14default_configENS1_20scan_config_selectorIxEEZZNS1_9scan_implILNS1_25lookback_scan_determinismE0ELb0ELb0ES3_N6thrust23THRUST_200600_302600_NS6detail15normal_iteratorINS9_10device_ptrIxEEEESE_x9plus_mod3IxExEEDaPvRmT3_T4_T5_mT6_P12ihipStream_tbENKUlT_T0_E_clISt17integral_constantIbLb0EESU_EEDaSP_SQ_EUlSP_E_NS1_11comp_targetILNS1_3genE10ELNS1_11target_archE1200ELNS1_3gpuE4ELNS1_3repE0EEENS1_30default_config_static_selectorELNS0_4arch9wavefront6targetE1EEEvT1_,"axG",@progbits,_ZN7rocprim17ROCPRIM_400000_NS6detail17trampoline_kernelINS0_14default_configENS1_20scan_config_selectorIxEEZZNS1_9scan_implILNS1_25lookback_scan_determinismE0ELb0ELb0ES3_N6thrust23THRUST_200600_302600_NS6detail15normal_iteratorINS9_10device_ptrIxEEEESE_x9plus_mod3IxExEEDaPvRmT3_T4_T5_mT6_P12ihipStream_tbENKUlT_T0_E_clISt17integral_constantIbLb0EESU_EEDaSP_SQ_EUlSP_E_NS1_11comp_targetILNS1_3genE10ELNS1_11target_archE1200ELNS1_3gpuE4ELNS1_3repE0EEENS1_30default_config_static_selectorELNS0_4arch9wavefront6targetE1EEEvT1_,comdat
.Lfunc_end6540:
	.size	_ZN7rocprim17ROCPRIM_400000_NS6detail17trampoline_kernelINS0_14default_configENS1_20scan_config_selectorIxEEZZNS1_9scan_implILNS1_25lookback_scan_determinismE0ELb0ELb0ES3_N6thrust23THRUST_200600_302600_NS6detail15normal_iteratorINS9_10device_ptrIxEEEESE_x9plus_mod3IxExEEDaPvRmT3_T4_T5_mT6_P12ihipStream_tbENKUlT_T0_E_clISt17integral_constantIbLb0EESU_EEDaSP_SQ_EUlSP_E_NS1_11comp_targetILNS1_3genE10ELNS1_11target_archE1200ELNS1_3gpuE4ELNS1_3repE0EEENS1_30default_config_static_selectorELNS0_4arch9wavefront6targetE1EEEvT1_, .Lfunc_end6540-_ZN7rocprim17ROCPRIM_400000_NS6detail17trampoline_kernelINS0_14default_configENS1_20scan_config_selectorIxEEZZNS1_9scan_implILNS1_25lookback_scan_determinismE0ELb0ELb0ES3_N6thrust23THRUST_200600_302600_NS6detail15normal_iteratorINS9_10device_ptrIxEEEESE_x9plus_mod3IxExEEDaPvRmT3_T4_T5_mT6_P12ihipStream_tbENKUlT_T0_E_clISt17integral_constantIbLb0EESU_EEDaSP_SQ_EUlSP_E_NS1_11comp_targetILNS1_3genE10ELNS1_11target_archE1200ELNS1_3gpuE4ELNS1_3repE0EEENS1_30default_config_static_selectorELNS0_4arch9wavefront6targetE1EEEvT1_
                                        ; -- End function
	.section	.AMDGPU.csdata,"",@progbits
; Kernel info:
; codeLenInByte = 0
; NumSgprs: 4
; NumVgprs: 0
; NumAgprs: 0
; TotalNumVgprs: 0
; ScratchSize: 0
; MemoryBound: 0
; FloatMode: 240
; IeeeMode: 1
; LDSByteSize: 0 bytes/workgroup (compile time only)
; SGPRBlocks: 0
; VGPRBlocks: 0
; NumSGPRsForWavesPerEU: 4
; NumVGPRsForWavesPerEU: 1
; AccumOffset: 4
; Occupancy: 8
; WaveLimiterHint : 0
; COMPUTE_PGM_RSRC2:SCRATCH_EN: 0
; COMPUTE_PGM_RSRC2:USER_SGPR: 6
; COMPUTE_PGM_RSRC2:TRAP_HANDLER: 0
; COMPUTE_PGM_RSRC2:TGID_X_EN: 1
; COMPUTE_PGM_RSRC2:TGID_Y_EN: 0
; COMPUTE_PGM_RSRC2:TGID_Z_EN: 0
; COMPUTE_PGM_RSRC2:TIDIG_COMP_CNT: 0
; COMPUTE_PGM_RSRC3_GFX90A:ACCUM_OFFSET: 0
; COMPUTE_PGM_RSRC3_GFX90A:TG_SPLIT: 0
	.section	.text._ZN7rocprim17ROCPRIM_400000_NS6detail17trampoline_kernelINS0_14default_configENS1_20scan_config_selectorIxEEZZNS1_9scan_implILNS1_25lookback_scan_determinismE0ELb0ELb0ES3_N6thrust23THRUST_200600_302600_NS6detail15normal_iteratorINS9_10device_ptrIxEEEESE_x9plus_mod3IxExEEDaPvRmT3_T4_T5_mT6_P12ihipStream_tbENKUlT_T0_E_clISt17integral_constantIbLb0EESU_EEDaSP_SQ_EUlSP_E_NS1_11comp_targetILNS1_3genE9ELNS1_11target_archE1100ELNS1_3gpuE3ELNS1_3repE0EEENS1_30default_config_static_selectorELNS0_4arch9wavefront6targetE1EEEvT1_,"axG",@progbits,_ZN7rocprim17ROCPRIM_400000_NS6detail17trampoline_kernelINS0_14default_configENS1_20scan_config_selectorIxEEZZNS1_9scan_implILNS1_25lookback_scan_determinismE0ELb0ELb0ES3_N6thrust23THRUST_200600_302600_NS6detail15normal_iteratorINS9_10device_ptrIxEEEESE_x9plus_mod3IxExEEDaPvRmT3_T4_T5_mT6_P12ihipStream_tbENKUlT_T0_E_clISt17integral_constantIbLb0EESU_EEDaSP_SQ_EUlSP_E_NS1_11comp_targetILNS1_3genE9ELNS1_11target_archE1100ELNS1_3gpuE3ELNS1_3repE0EEENS1_30default_config_static_selectorELNS0_4arch9wavefront6targetE1EEEvT1_,comdat
	.protected	_ZN7rocprim17ROCPRIM_400000_NS6detail17trampoline_kernelINS0_14default_configENS1_20scan_config_selectorIxEEZZNS1_9scan_implILNS1_25lookback_scan_determinismE0ELb0ELb0ES3_N6thrust23THRUST_200600_302600_NS6detail15normal_iteratorINS9_10device_ptrIxEEEESE_x9plus_mod3IxExEEDaPvRmT3_T4_T5_mT6_P12ihipStream_tbENKUlT_T0_E_clISt17integral_constantIbLb0EESU_EEDaSP_SQ_EUlSP_E_NS1_11comp_targetILNS1_3genE9ELNS1_11target_archE1100ELNS1_3gpuE3ELNS1_3repE0EEENS1_30default_config_static_selectorELNS0_4arch9wavefront6targetE1EEEvT1_ ; -- Begin function _ZN7rocprim17ROCPRIM_400000_NS6detail17trampoline_kernelINS0_14default_configENS1_20scan_config_selectorIxEEZZNS1_9scan_implILNS1_25lookback_scan_determinismE0ELb0ELb0ES3_N6thrust23THRUST_200600_302600_NS6detail15normal_iteratorINS9_10device_ptrIxEEEESE_x9plus_mod3IxExEEDaPvRmT3_T4_T5_mT6_P12ihipStream_tbENKUlT_T0_E_clISt17integral_constantIbLb0EESU_EEDaSP_SQ_EUlSP_E_NS1_11comp_targetILNS1_3genE9ELNS1_11target_archE1100ELNS1_3gpuE3ELNS1_3repE0EEENS1_30default_config_static_selectorELNS0_4arch9wavefront6targetE1EEEvT1_
	.globl	_ZN7rocprim17ROCPRIM_400000_NS6detail17trampoline_kernelINS0_14default_configENS1_20scan_config_selectorIxEEZZNS1_9scan_implILNS1_25lookback_scan_determinismE0ELb0ELb0ES3_N6thrust23THRUST_200600_302600_NS6detail15normal_iteratorINS9_10device_ptrIxEEEESE_x9plus_mod3IxExEEDaPvRmT3_T4_T5_mT6_P12ihipStream_tbENKUlT_T0_E_clISt17integral_constantIbLb0EESU_EEDaSP_SQ_EUlSP_E_NS1_11comp_targetILNS1_3genE9ELNS1_11target_archE1100ELNS1_3gpuE3ELNS1_3repE0EEENS1_30default_config_static_selectorELNS0_4arch9wavefront6targetE1EEEvT1_
	.p2align	8
	.type	_ZN7rocprim17ROCPRIM_400000_NS6detail17trampoline_kernelINS0_14default_configENS1_20scan_config_selectorIxEEZZNS1_9scan_implILNS1_25lookback_scan_determinismE0ELb0ELb0ES3_N6thrust23THRUST_200600_302600_NS6detail15normal_iteratorINS9_10device_ptrIxEEEESE_x9plus_mod3IxExEEDaPvRmT3_T4_T5_mT6_P12ihipStream_tbENKUlT_T0_E_clISt17integral_constantIbLb0EESU_EEDaSP_SQ_EUlSP_E_NS1_11comp_targetILNS1_3genE9ELNS1_11target_archE1100ELNS1_3gpuE3ELNS1_3repE0EEENS1_30default_config_static_selectorELNS0_4arch9wavefront6targetE1EEEvT1_,@function
_ZN7rocprim17ROCPRIM_400000_NS6detail17trampoline_kernelINS0_14default_configENS1_20scan_config_selectorIxEEZZNS1_9scan_implILNS1_25lookback_scan_determinismE0ELb0ELb0ES3_N6thrust23THRUST_200600_302600_NS6detail15normal_iteratorINS9_10device_ptrIxEEEESE_x9plus_mod3IxExEEDaPvRmT3_T4_T5_mT6_P12ihipStream_tbENKUlT_T0_E_clISt17integral_constantIbLb0EESU_EEDaSP_SQ_EUlSP_E_NS1_11comp_targetILNS1_3genE9ELNS1_11target_archE1100ELNS1_3gpuE3ELNS1_3repE0EEENS1_30default_config_static_selectorELNS0_4arch9wavefront6targetE1EEEvT1_: ; @_ZN7rocprim17ROCPRIM_400000_NS6detail17trampoline_kernelINS0_14default_configENS1_20scan_config_selectorIxEEZZNS1_9scan_implILNS1_25lookback_scan_determinismE0ELb0ELb0ES3_N6thrust23THRUST_200600_302600_NS6detail15normal_iteratorINS9_10device_ptrIxEEEESE_x9plus_mod3IxExEEDaPvRmT3_T4_T5_mT6_P12ihipStream_tbENKUlT_T0_E_clISt17integral_constantIbLb0EESU_EEDaSP_SQ_EUlSP_E_NS1_11comp_targetILNS1_3genE9ELNS1_11target_archE1100ELNS1_3gpuE3ELNS1_3repE0EEENS1_30default_config_static_selectorELNS0_4arch9wavefront6targetE1EEEvT1_
; %bb.0:
	.section	.rodata,"a",@progbits
	.p2align	6, 0x0
	.amdhsa_kernel _ZN7rocprim17ROCPRIM_400000_NS6detail17trampoline_kernelINS0_14default_configENS1_20scan_config_selectorIxEEZZNS1_9scan_implILNS1_25lookback_scan_determinismE0ELb0ELb0ES3_N6thrust23THRUST_200600_302600_NS6detail15normal_iteratorINS9_10device_ptrIxEEEESE_x9plus_mod3IxExEEDaPvRmT3_T4_T5_mT6_P12ihipStream_tbENKUlT_T0_E_clISt17integral_constantIbLb0EESU_EEDaSP_SQ_EUlSP_E_NS1_11comp_targetILNS1_3genE9ELNS1_11target_archE1100ELNS1_3gpuE3ELNS1_3repE0EEENS1_30default_config_static_selectorELNS0_4arch9wavefront6targetE1EEEvT1_
		.amdhsa_group_segment_fixed_size 0
		.amdhsa_private_segment_fixed_size 0
		.amdhsa_kernarg_size 104
		.amdhsa_user_sgpr_count 6
		.amdhsa_user_sgpr_private_segment_buffer 1
		.amdhsa_user_sgpr_dispatch_ptr 0
		.amdhsa_user_sgpr_queue_ptr 0
		.amdhsa_user_sgpr_kernarg_segment_ptr 1
		.amdhsa_user_sgpr_dispatch_id 0
		.amdhsa_user_sgpr_flat_scratch_init 0
		.amdhsa_user_sgpr_kernarg_preload_length 0
		.amdhsa_user_sgpr_kernarg_preload_offset 0
		.amdhsa_user_sgpr_private_segment_size 0
		.amdhsa_uses_dynamic_stack 0
		.amdhsa_system_sgpr_private_segment_wavefront_offset 0
		.amdhsa_system_sgpr_workgroup_id_x 1
		.amdhsa_system_sgpr_workgroup_id_y 0
		.amdhsa_system_sgpr_workgroup_id_z 0
		.amdhsa_system_sgpr_workgroup_info 0
		.amdhsa_system_vgpr_workitem_id 0
		.amdhsa_next_free_vgpr 1
		.amdhsa_next_free_sgpr 0
		.amdhsa_accum_offset 4
		.amdhsa_reserve_vcc 0
		.amdhsa_reserve_flat_scratch 0
		.amdhsa_float_round_mode_32 0
		.amdhsa_float_round_mode_16_64 0
		.amdhsa_float_denorm_mode_32 3
		.amdhsa_float_denorm_mode_16_64 3
		.amdhsa_dx10_clamp 1
		.amdhsa_ieee_mode 1
		.amdhsa_fp16_overflow 0
		.amdhsa_tg_split 0
		.amdhsa_exception_fp_ieee_invalid_op 0
		.amdhsa_exception_fp_denorm_src 0
		.amdhsa_exception_fp_ieee_div_zero 0
		.amdhsa_exception_fp_ieee_overflow 0
		.amdhsa_exception_fp_ieee_underflow 0
		.amdhsa_exception_fp_ieee_inexact 0
		.amdhsa_exception_int_div_zero 0
	.end_amdhsa_kernel
	.section	.text._ZN7rocprim17ROCPRIM_400000_NS6detail17trampoline_kernelINS0_14default_configENS1_20scan_config_selectorIxEEZZNS1_9scan_implILNS1_25lookback_scan_determinismE0ELb0ELb0ES3_N6thrust23THRUST_200600_302600_NS6detail15normal_iteratorINS9_10device_ptrIxEEEESE_x9plus_mod3IxExEEDaPvRmT3_T4_T5_mT6_P12ihipStream_tbENKUlT_T0_E_clISt17integral_constantIbLb0EESU_EEDaSP_SQ_EUlSP_E_NS1_11comp_targetILNS1_3genE9ELNS1_11target_archE1100ELNS1_3gpuE3ELNS1_3repE0EEENS1_30default_config_static_selectorELNS0_4arch9wavefront6targetE1EEEvT1_,"axG",@progbits,_ZN7rocprim17ROCPRIM_400000_NS6detail17trampoline_kernelINS0_14default_configENS1_20scan_config_selectorIxEEZZNS1_9scan_implILNS1_25lookback_scan_determinismE0ELb0ELb0ES3_N6thrust23THRUST_200600_302600_NS6detail15normal_iteratorINS9_10device_ptrIxEEEESE_x9plus_mod3IxExEEDaPvRmT3_T4_T5_mT6_P12ihipStream_tbENKUlT_T0_E_clISt17integral_constantIbLb0EESU_EEDaSP_SQ_EUlSP_E_NS1_11comp_targetILNS1_3genE9ELNS1_11target_archE1100ELNS1_3gpuE3ELNS1_3repE0EEENS1_30default_config_static_selectorELNS0_4arch9wavefront6targetE1EEEvT1_,comdat
.Lfunc_end6541:
	.size	_ZN7rocprim17ROCPRIM_400000_NS6detail17trampoline_kernelINS0_14default_configENS1_20scan_config_selectorIxEEZZNS1_9scan_implILNS1_25lookback_scan_determinismE0ELb0ELb0ES3_N6thrust23THRUST_200600_302600_NS6detail15normal_iteratorINS9_10device_ptrIxEEEESE_x9plus_mod3IxExEEDaPvRmT3_T4_T5_mT6_P12ihipStream_tbENKUlT_T0_E_clISt17integral_constantIbLb0EESU_EEDaSP_SQ_EUlSP_E_NS1_11comp_targetILNS1_3genE9ELNS1_11target_archE1100ELNS1_3gpuE3ELNS1_3repE0EEENS1_30default_config_static_selectorELNS0_4arch9wavefront6targetE1EEEvT1_, .Lfunc_end6541-_ZN7rocprim17ROCPRIM_400000_NS6detail17trampoline_kernelINS0_14default_configENS1_20scan_config_selectorIxEEZZNS1_9scan_implILNS1_25lookback_scan_determinismE0ELb0ELb0ES3_N6thrust23THRUST_200600_302600_NS6detail15normal_iteratorINS9_10device_ptrIxEEEESE_x9plus_mod3IxExEEDaPvRmT3_T4_T5_mT6_P12ihipStream_tbENKUlT_T0_E_clISt17integral_constantIbLb0EESU_EEDaSP_SQ_EUlSP_E_NS1_11comp_targetILNS1_3genE9ELNS1_11target_archE1100ELNS1_3gpuE3ELNS1_3repE0EEENS1_30default_config_static_selectorELNS0_4arch9wavefront6targetE1EEEvT1_
                                        ; -- End function
	.section	.AMDGPU.csdata,"",@progbits
; Kernel info:
; codeLenInByte = 0
; NumSgprs: 4
; NumVgprs: 0
; NumAgprs: 0
; TotalNumVgprs: 0
; ScratchSize: 0
; MemoryBound: 0
; FloatMode: 240
; IeeeMode: 1
; LDSByteSize: 0 bytes/workgroup (compile time only)
; SGPRBlocks: 0
; VGPRBlocks: 0
; NumSGPRsForWavesPerEU: 4
; NumVGPRsForWavesPerEU: 1
; AccumOffset: 4
; Occupancy: 8
; WaveLimiterHint : 0
; COMPUTE_PGM_RSRC2:SCRATCH_EN: 0
; COMPUTE_PGM_RSRC2:USER_SGPR: 6
; COMPUTE_PGM_RSRC2:TRAP_HANDLER: 0
; COMPUTE_PGM_RSRC2:TGID_X_EN: 1
; COMPUTE_PGM_RSRC2:TGID_Y_EN: 0
; COMPUTE_PGM_RSRC2:TGID_Z_EN: 0
; COMPUTE_PGM_RSRC2:TIDIG_COMP_CNT: 0
; COMPUTE_PGM_RSRC3_GFX90A:ACCUM_OFFSET: 0
; COMPUTE_PGM_RSRC3_GFX90A:TG_SPLIT: 0
	.section	.text._ZN7rocprim17ROCPRIM_400000_NS6detail17trampoline_kernelINS0_14default_configENS1_20scan_config_selectorIxEEZZNS1_9scan_implILNS1_25lookback_scan_determinismE0ELb0ELb0ES3_N6thrust23THRUST_200600_302600_NS6detail15normal_iteratorINS9_10device_ptrIxEEEESE_x9plus_mod3IxExEEDaPvRmT3_T4_T5_mT6_P12ihipStream_tbENKUlT_T0_E_clISt17integral_constantIbLb0EESU_EEDaSP_SQ_EUlSP_E_NS1_11comp_targetILNS1_3genE8ELNS1_11target_archE1030ELNS1_3gpuE2ELNS1_3repE0EEENS1_30default_config_static_selectorELNS0_4arch9wavefront6targetE1EEEvT1_,"axG",@progbits,_ZN7rocprim17ROCPRIM_400000_NS6detail17trampoline_kernelINS0_14default_configENS1_20scan_config_selectorIxEEZZNS1_9scan_implILNS1_25lookback_scan_determinismE0ELb0ELb0ES3_N6thrust23THRUST_200600_302600_NS6detail15normal_iteratorINS9_10device_ptrIxEEEESE_x9plus_mod3IxExEEDaPvRmT3_T4_T5_mT6_P12ihipStream_tbENKUlT_T0_E_clISt17integral_constantIbLb0EESU_EEDaSP_SQ_EUlSP_E_NS1_11comp_targetILNS1_3genE8ELNS1_11target_archE1030ELNS1_3gpuE2ELNS1_3repE0EEENS1_30default_config_static_selectorELNS0_4arch9wavefront6targetE1EEEvT1_,comdat
	.protected	_ZN7rocprim17ROCPRIM_400000_NS6detail17trampoline_kernelINS0_14default_configENS1_20scan_config_selectorIxEEZZNS1_9scan_implILNS1_25lookback_scan_determinismE0ELb0ELb0ES3_N6thrust23THRUST_200600_302600_NS6detail15normal_iteratorINS9_10device_ptrIxEEEESE_x9plus_mod3IxExEEDaPvRmT3_T4_T5_mT6_P12ihipStream_tbENKUlT_T0_E_clISt17integral_constantIbLb0EESU_EEDaSP_SQ_EUlSP_E_NS1_11comp_targetILNS1_3genE8ELNS1_11target_archE1030ELNS1_3gpuE2ELNS1_3repE0EEENS1_30default_config_static_selectorELNS0_4arch9wavefront6targetE1EEEvT1_ ; -- Begin function _ZN7rocprim17ROCPRIM_400000_NS6detail17trampoline_kernelINS0_14default_configENS1_20scan_config_selectorIxEEZZNS1_9scan_implILNS1_25lookback_scan_determinismE0ELb0ELb0ES3_N6thrust23THRUST_200600_302600_NS6detail15normal_iteratorINS9_10device_ptrIxEEEESE_x9plus_mod3IxExEEDaPvRmT3_T4_T5_mT6_P12ihipStream_tbENKUlT_T0_E_clISt17integral_constantIbLb0EESU_EEDaSP_SQ_EUlSP_E_NS1_11comp_targetILNS1_3genE8ELNS1_11target_archE1030ELNS1_3gpuE2ELNS1_3repE0EEENS1_30default_config_static_selectorELNS0_4arch9wavefront6targetE1EEEvT1_
	.globl	_ZN7rocprim17ROCPRIM_400000_NS6detail17trampoline_kernelINS0_14default_configENS1_20scan_config_selectorIxEEZZNS1_9scan_implILNS1_25lookback_scan_determinismE0ELb0ELb0ES3_N6thrust23THRUST_200600_302600_NS6detail15normal_iteratorINS9_10device_ptrIxEEEESE_x9plus_mod3IxExEEDaPvRmT3_T4_T5_mT6_P12ihipStream_tbENKUlT_T0_E_clISt17integral_constantIbLb0EESU_EEDaSP_SQ_EUlSP_E_NS1_11comp_targetILNS1_3genE8ELNS1_11target_archE1030ELNS1_3gpuE2ELNS1_3repE0EEENS1_30default_config_static_selectorELNS0_4arch9wavefront6targetE1EEEvT1_
	.p2align	8
	.type	_ZN7rocprim17ROCPRIM_400000_NS6detail17trampoline_kernelINS0_14default_configENS1_20scan_config_selectorIxEEZZNS1_9scan_implILNS1_25lookback_scan_determinismE0ELb0ELb0ES3_N6thrust23THRUST_200600_302600_NS6detail15normal_iteratorINS9_10device_ptrIxEEEESE_x9plus_mod3IxExEEDaPvRmT3_T4_T5_mT6_P12ihipStream_tbENKUlT_T0_E_clISt17integral_constantIbLb0EESU_EEDaSP_SQ_EUlSP_E_NS1_11comp_targetILNS1_3genE8ELNS1_11target_archE1030ELNS1_3gpuE2ELNS1_3repE0EEENS1_30default_config_static_selectorELNS0_4arch9wavefront6targetE1EEEvT1_,@function
_ZN7rocprim17ROCPRIM_400000_NS6detail17trampoline_kernelINS0_14default_configENS1_20scan_config_selectorIxEEZZNS1_9scan_implILNS1_25lookback_scan_determinismE0ELb0ELb0ES3_N6thrust23THRUST_200600_302600_NS6detail15normal_iteratorINS9_10device_ptrIxEEEESE_x9plus_mod3IxExEEDaPvRmT3_T4_T5_mT6_P12ihipStream_tbENKUlT_T0_E_clISt17integral_constantIbLb0EESU_EEDaSP_SQ_EUlSP_E_NS1_11comp_targetILNS1_3genE8ELNS1_11target_archE1030ELNS1_3gpuE2ELNS1_3repE0EEENS1_30default_config_static_selectorELNS0_4arch9wavefront6targetE1EEEvT1_: ; @_ZN7rocprim17ROCPRIM_400000_NS6detail17trampoline_kernelINS0_14default_configENS1_20scan_config_selectorIxEEZZNS1_9scan_implILNS1_25lookback_scan_determinismE0ELb0ELb0ES3_N6thrust23THRUST_200600_302600_NS6detail15normal_iteratorINS9_10device_ptrIxEEEESE_x9plus_mod3IxExEEDaPvRmT3_T4_T5_mT6_P12ihipStream_tbENKUlT_T0_E_clISt17integral_constantIbLb0EESU_EEDaSP_SQ_EUlSP_E_NS1_11comp_targetILNS1_3genE8ELNS1_11target_archE1030ELNS1_3gpuE2ELNS1_3repE0EEENS1_30default_config_static_selectorELNS0_4arch9wavefront6targetE1EEEvT1_
; %bb.0:
	.section	.rodata,"a",@progbits
	.p2align	6, 0x0
	.amdhsa_kernel _ZN7rocprim17ROCPRIM_400000_NS6detail17trampoline_kernelINS0_14default_configENS1_20scan_config_selectorIxEEZZNS1_9scan_implILNS1_25lookback_scan_determinismE0ELb0ELb0ES3_N6thrust23THRUST_200600_302600_NS6detail15normal_iteratorINS9_10device_ptrIxEEEESE_x9plus_mod3IxExEEDaPvRmT3_T4_T5_mT6_P12ihipStream_tbENKUlT_T0_E_clISt17integral_constantIbLb0EESU_EEDaSP_SQ_EUlSP_E_NS1_11comp_targetILNS1_3genE8ELNS1_11target_archE1030ELNS1_3gpuE2ELNS1_3repE0EEENS1_30default_config_static_selectorELNS0_4arch9wavefront6targetE1EEEvT1_
		.amdhsa_group_segment_fixed_size 0
		.amdhsa_private_segment_fixed_size 0
		.amdhsa_kernarg_size 104
		.amdhsa_user_sgpr_count 6
		.amdhsa_user_sgpr_private_segment_buffer 1
		.amdhsa_user_sgpr_dispatch_ptr 0
		.amdhsa_user_sgpr_queue_ptr 0
		.amdhsa_user_sgpr_kernarg_segment_ptr 1
		.amdhsa_user_sgpr_dispatch_id 0
		.amdhsa_user_sgpr_flat_scratch_init 0
		.amdhsa_user_sgpr_kernarg_preload_length 0
		.amdhsa_user_sgpr_kernarg_preload_offset 0
		.amdhsa_user_sgpr_private_segment_size 0
		.amdhsa_uses_dynamic_stack 0
		.amdhsa_system_sgpr_private_segment_wavefront_offset 0
		.amdhsa_system_sgpr_workgroup_id_x 1
		.amdhsa_system_sgpr_workgroup_id_y 0
		.amdhsa_system_sgpr_workgroup_id_z 0
		.amdhsa_system_sgpr_workgroup_info 0
		.amdhsa_system_vgpr_workitem_id 0
		.amdhsa_next_free_vgpr 1
		.amdhsa_next_free_sgpr 0
		.amdhsa_accum_offset 4
		.amdhsa_reserve_vcc 0
		.amdhsa_reserve_flat_scratch 0
		.amdhsa_float_round_mode_32 0
		.amdhsa_float_round_mode_16_64 0
		.amdhsa_float_denorm_mode_32 3
		.amdhsa_float_denorm_mode_16_64 3
		.amdhsa_dx10_clamp 1
		.amdhsa_ieee_mode 1
		.amdhsa_fp16_overflow 0
		.amdhsa_tg_split 0
		.amdhsa_exception_fp_ieee_invalid_op 0
		.amdhsa_exception_fp_denorm_src 0
		.amdhsa_exception_fp_ieee_div_zero 0
		.amdhsa_exception_fp_ieee_overflow 0
		.amdhsa_exception_fp_ieee_underflow 0
		.amdhsa_exception_fp_ieee_inexact 0
		.amdhsa_exception_int_div_zero 0
	.end_amdhsa_kernel
	.section	.text._ZN7rocprim17ROCPRIM_400000_NS6detail17trampoline_kernelINS0_14default_configENS1_20scan_config_selectorIxEEZZNS1_9scan_implILNS1_25lookback_scan_determinismE0ELb0ELb0ES3_N6thrust23THRUST_200600_302600_NS6detail15normal_iteratorINS9_10device_ptrIxEEEESE_x9plus_mod3IxExEEDaPvRmT3_T4_T5_mT6_P12ihipStream_tbENKUlT_T0_E_clISt17integral_constantIbLb0EESU_EEDaSP_SQ_EUlSP_E_NS1_11comp_targetILNS1_3genE8ELNS1_11target_archE1030ELNS1_3gpuE2ELNS1_3repE0EEENS1_30default_config_static_selectorELNS0_4arch9wavefront6targetE1EEEvT1_,"axG",@progbits,_ZN7rocprim17ROCPRIM_400000_NS6detail17trampoline_kernelINS0_14default_configENS1_20scan_config_selectorIxEEZZNS1_9scan_implILNS1_25lookback_scan_determinismE0ELb0ELb0ES3_N6thrust23THRUST_200600_302600_NS6detail15normal_iteratorINS9_10device_ptrIxEEEESE_x9plus_mod3IxExEEDaPvRmT3_T4_T5_mT6_P12ihipStream_tbENKUlT_T0_E_clISt17integral_constantIbLb0EESU_EEDaSP_SQ_EUlSP_E_NS1_11comp_targetILNS1_3genE8ELNS1_11target_archE1030ELNS1_3gpuE2ELNS1_3repE0EEENS1_30default_config_static_selectorELNS0_4arch9wavefront6targetE1EEEvT1_,comdat
.Lfunc_end6542:
	.size	_ZN7rocprim17ROCPRIM_400000_NS6detail17trampoline_kernelINS0_14default_configENS1_20scan_config_selectorIxEEZZNS1_9scan_implILNS1_25lookback_scan_determinismE0ELb0ELb0ES3_N6thrust23THRUST_200600_302600_NS6detail15normal_iteratorINS9_10device_ptrIxEEEESE_x9plus_mod3IxExEEDaPvRmT3_T4_T5_mT6_P12ihipStream_tbENKUlT_T0_E_clISt17integral_constantIbLb0EESU_EEDaSP_SQ_EUlSP_E_NS1_11comp_targetILNS1_3genE8ELNS1_11target_archE1030ELNS1_3gpuE2ELNS1_3repE0EEENS1_30default_config_static_selectorELNS0_4arch9wavefront6targetE1EEEvT1_, .Lfunc_end6542-_ZN7rocprim17ROCPRIM_400000_NS6detail17trampoline_kernelINS0_14default_configENS1_20scan_config_selectorIxEEZZNS1_9scan_implILNS1_25lookback_scan_determinismE0ELb0ELb0ES3_N6thrust23THRUST_200600_302600_NS6detail15normal_iteratorINS9_10device_ptrIxEEEESE_x9plus_mod3IxExEEDaPvRmT3_T4_T5_mT6_P12ihipStream_tbENKUlT_T0_E_clISt17integral_constantIbLb0EESU_EEDaSP_SQ_EUlSP_E_NS1_11comp_targetILNS1_3genE8ELNS1_11target_archE1030ELNS1_3gpuE2ELNS1_3repE0EEENS1_30default_config_static_selectorELNS0_4arch9wavefront6targetE1EEEvT1_
                                        ; -- End function
	.section	.AMDGPU.csdata,"",@progbits
; Kernel info:
; codeLenInByte = 0
; NumSgprs: 4
; NumVgprs: 0
; NumAgprs: 0
; TotalNumVgprs: 0
; ScratchSize: 0
; MemoryBound: 0
; FloatMode: 240
; IeeeMode: 1
; LDSByteSize: 0 bytes/workgroup (compile time only)
; SGPRBlocks: 0
; VGPRBlocks: 0
; NumSGPRsForWavesPerEU: 4
; NumVGPRsForWavesPerEU: 1
; AccumOffset: 4
; Occupancy: 8
; WaveLimiterHint : 0
; COMPUTE_PGM_RSRC2:SCRATCH_EN: 0
; COMPUTE_PGM_RSRC2:USER_SGPR: 6
; COMPUTE_PGM_RSRC2:TRAP_HANDLER: 0
; COMPUTE_PGM_RSRC2:TGID_X_EN: 1
; COMPUTE_PGM_RSRC2:TGID_Y_EN: 0
; COMPUTE_PGM_RSRC2:TGID_Z_EN: 0
; COMPUTE_PGM_RSRC2:TIDIG_COMP_CNT: 0
; COMPUTE_PGM_RSRC3_GFX90A:ACCUM_OFFSET: 0
; COMPUTE_PGM_RSRC3_GFX90A:TG_SPLIT: 0
	.section	.text._ZN7rocprim17ROCPRIM_400000_NS6detail17trampoline_kernelINS0_14default_configENS1_20scan_config_selectorIxEEZZNS1_9scan_implILNS1_25lookback_scan_determinismE0ELb0ELb0ES3_N6thrust23THRUST_200600_302600_NS6detail15normal_iteratorINS9_10device_ptrIxEEEESE_x9plus_mod3IxExEEDaPvRmT3_T4_T5_mT6_P12ihipStream_tbENKUlT_T0_E_clISt17integral_constantIbLb0EESU_EEDaSP_SQ_EUlSP_E0_NS1_11comp_targetILNS1_3genE0ELNS1_11target_archE4294967295ELNS1_3gpuE0ELNS1_3repE0EEENS1_30default_config_static_selectorELNS0_4arch9wavefront6targetE1EEEvT1_,"axG",@progbits,_ZN7rocprim17ROCPRIM_400000_NS6detail17trampoline_kernelINS0_14default_configENS1_20scan_config_selectorIxEEZZNS1_9scan_implILNS1_25lookback_scan_determinismE0ELb0ELb0ES3_N6thrust23THRUST_200600_302600_NS6detail15normal_iteratorINS9_10device_ptrIxEEEESE_x9plus_mod3IxExEEDaPvRmT3_T4_T5_mT6_P12ihipStream_tbENKUlT_T0_E_clISt17integral_constantIbLb0EESU_EEDaSP_SQ_EUlSP_E0_NS1_11comp_targetILNS1_3genE0ELNS1_11target_archE4294967295ELNS1_3gpuE0ELNS1_3repE0EEENS1_30default_config_static_selectorELNS0_4arch9wavefront6targetE1EEEvT1_,comdat
	.protected	_ZN7rocprim17ROCPRIM_400000_NS6detail17trampoline_kernelINS0_14default_configENS1_20scan_config_selectorIxEEZZNS1_9scan_implILNS1_25lookback_scan_determinismE0ELb0ELb0ES3_N6thrust23THRUST_200600_302600_NS6detail15normal_iteratorINS9_10device_ptrIxEEEESE_x9plus_mod3IxExEEDaPvRmT3_T4_T5_mT6_P12ihipStream_tbENKUlT_T0_E_clISt17integral_constantIbLb0EESU_EEDaSP_SQ_EUlSP_E0_NS1_11comp_targetILNS1_3genE0ELNS1_11target_archE4294967295ELNS1_3gpuE0ELNS1_3repE0EEENS1_30default_config_static_selectorELNS0_4arch9wavefront6targetE1EEEvT1_ ; -- Begin function _ZN7rocprim17ROCPRIM_400000_NS6detail17trampoline_kernelINS0_14default_configENS1_20scan_config_selectorIxEEZZNS1_9scan_implILNS1_25lookback_scan_determinismE0ELb0ELb0ES3_N6thrust23THRUST_200600_302600_NS6detail15normal_iteratorINS9_10device_ptrIxEEEESE_x9plus_mod3IxExEEDaPvRmT3_T4_T5_mT6_P12ihipStream_tbENKUlT_T0_E_clISt17integral_constantIbLb0EESU_EEDaSP_SQ_EUlSP_E0_NS1_11comp_targetILNS1_3genE0ELNS1_11target_archE4294967295ELNS1_3gpuE0ELNS1_3repE0EEENS1_30default_config_static_selectorELNS0_4arch9wavefront6targetE1EEEvT1_
	.globl	_ZN7rocprim17ROCPRIM_400000_NS6detail17trampoline_kernelINS0_14default_configENS1_20scan_config_selectorIxEEZZNS1_9scan_implILNS1_25lookback_scan_determinismE0ELb0ELb0ES3_N6thrust23THRUST_200600_302600_NS6detail15normal_iteratorINS9_10device_ptrIxEEEESE_x9plus_mod3IxExEEDaPvRmT3_T4_T5_mT6_P12ihipStream_tbENKUlT_T0_E_clISt17integral_constantIbLb0EESU_EEDaSP_SQ_EUlSP_E0_NS1_11comp_targetILNS1_3genE0ELNS1_11target_archE4294967295ELNS1_3gpuE0ELNS1_3repE0EEENS1_30default_config_static_selectorELNS0_4arch9wavefront6targetE1EEEvT1_
	.p2align	8
	.type	_ZN7rocprim17ROCPRIM_400000_NS6detail17trampoline_kernelINS0_14default_configENS1_20scan_config_selectorIxEEZZNS1_9scan_implILNS1_25lookback_scan_determinismE0ELb0ELb0ES3_N6thrust23THRUST_200600_302600_NS6detail15normal_iteratorINS9_10device_ptrIxEEEESE_x9plus_mod3IxExEEDaPvRmT3_T4_T5_mT6_P12ihipStream_tbENKUlT_T0_E_clISt17integral_constantIbLb0EESU_EEDaSP_SQ_EUlSP_E0_NS1_11comp_targetILNS1_3genE0ELNS1_11target_archE4294967295ELNS1_3gpuE0ELNS1_3repE0EEENS1_30default_config_static_selectorELNS0_4arch9wavefront6targetE1EEEvT1_,@function
_ZN7rocprim17ROCPRIM_400000_NS6detail17trampoline_kernelINS0_14default_configENS1_20scan_config_selectorIxEEZZNS1_9scan_implILNS1_25lookback_scan_determinismE0ELb0ELb0ES3_N6thrust23THRUST_200600_302600_NS6detail15normal_iteratorINS9_10device_ptrIxEEEESE_x9plus_mod3IxExEEDaPvRmT3_T4_T5_mT6_P12ihipStream_tbENKUlT_T0_E_clISt17integral_constantIbLb0EESU_EEDaSP_SQ_EUlSP_E0_NS1_11comp_targetILNS1_3genE0ELNS1_11target_archE4294967295ELNS1_3gpuE0ELNS1_3repE0EEENS1_30default_config_static_selectorELNS0_4arch9wavefront6targetE1EEEvT1_: ; @_ZN7rocprim17ROCPRIM_400000_NS6detail17trampoline_kernelINS0_14default_configENS1_20scan_config_selectorIxEEZZNS1_9scan_implILNS1_25lookback_scan_determinismE0ELb0ELb0ES3_N6thrust23THRUST_200600_302600_NS6detail15normal_iteratorINS9_10device_ptrIxEEEESE_x9plus_mod3IxExEEDaPvRmT3_T4_T5_mT6_P12ihipStream_tbENKUlT_T0_E_clISt17integral_constantIbLb0EESU_EEDaSP_SQ_EUlSP_E0_NS1_11comp_targetILNS1_3genE0ELNS1_11target_archE4294967295ELNS1_3gpuE0ELNS1_3repE0EEENS1_30default_config_static_selectorELNS0_4arch9wavefront6targetE1EEEvT1_
; %bb.0:
	.section	.rodata,"a",@progbits
	.p2align	6, 0x0
	.amdhsa_kernel _ZN7rocprim17ROCPRIM_400000_NS6detail17trampoline_kernelINS0_14default_configENS1_20scan_config_selectorIxEEZZNS1_9scan_implILNS1_25lookback_scan_determinismE0ELb0ELb0ES3_N6thrust23THRUST_200600_302600_NS6detail15normal_iteratorINS9_10device_ptrIxEEEESE_x9plus_mod3IxExEEDaPvRmT3_T4_T5_mT6_P12ihipStream_tbENKUlT_T0_E_clISt17integral_constantIbLb0EESU_EEDaSP_SQ_EUlSP_E0_NS1_11comp_targetILNS1_3genE0ELNS1_11target_archE4294967295ELNS1_3gpuE0ELNS1_3repE0EEENS1_30default_config_static_selectorELNS0_4arch9wavefront6targetE1EEEvT1_
		.amdhsa_group_segment_fixed_size 0
		.amdhsa_private_segment_fixed_size 0
		.amdhsa_kernarg_size 40
		.amdhsa_user_sgpr_count 6
		.amdhsa_user_sgpr_private_segment_buffer 1
		.amdhsa_user_sgpr_dispatch_ptr 0
		.amdhsa_user_sgpr_queue_ptr 0
		.amdhsa_user_sgpr_kernarg_segment_ptr 1
		.amdhsa_user_sgpr_dispatch_id 0
		.amdhsa_user_sgpr_flat_scratch_init 0
		.amdhsa_user_sgpr_kernarg_preload_length 0
		.amdhsa_user_sgpr_kernarg_preload_offset 0
		.amdhsa_user_sgpr_private_segment_size 0
		.amdhsa_uses_dynamic_stack 0
		.amdhsa_system_sgpr_private_segment_wavefront_offset 0
		.amdhsa_system_sgpr_workgroup_id_x 1
		.amdhsa_system_sgpr_workgroup_id_y 0
		.amdhsa_system_sgpr_workgroup_id_z 0
		.amdhsa_system_sgpr_workgroup_info 0
		.amdhsa_system_vgpr_workitem_id 0
		.amdhsa_next_free_vgpr 1
		.amdhsa_next_free_sgpr 0
		.amdhsa_accum_offset 4
		.amdhsa_reserve_vcc 0
		.amdhsa_reserve_flat_scratch 0
		.amdhsa_float_round_mode_32 0
		.amdhsa_float_round_mode_16_64 0
		.amdhsa_float_denorm_mode_32 3
		.amdhsa_float_denorm_mode_16_64 3
		.amdhsa_dx10_clamp 1
		.amdhsa_ieee_mode 1
		.amdhsa_fp16_overflow 0
		.amdhsa_tg_split 0
		.amdhsa_exception_fp_ieee_invalid_op 0
		.amdhsa_exception_fp_denorm_src 0
		.amdhsa_exception_fp_ieee_div_zero 0
		.amdhsa_exception_fp_ieee_overflow 0
		.amdhsa_exception_fp_ieee_underflow 0
		.amdhsa_exception_fp_ieee_inexact 0
		.amdhsa_exception_int_div_zero 0
	.end_amdhsa_kernel
	.section	.text._ZN7rocprim17ROCPRIM_400000_NS6detail17trampoline_kernelINS0_14default_configENS1_20scan_config_selectorIxEEZZNS1_9scan_implILNS1_25lookback_scan_determinismE0ELb0ELb0ES3_N6thrust23THRUST_200600_302600_NS6detail15normal_iteratorINS9_10device_ptrIxEEEESE_x9plus_mod3IxExEEDaPvRmT3_T4_T5_mT6_P12ihipStream_tbENKUlT_T0_E_clISt17integral_constantIbLb0EESU_EEDaSP_SQ_EUlSP_E0_NS1_11comp_targetILNS1_3genE0ELNS1_11target_archE4294967295ELNS1_3gpuE0ELNS1_3repE0EEENS1_30default_config_static_selectorELNS0_4arch9wavefront6targetE1EEEvT1_,"axG",@progbits,_ZN7rocprim17ROCPRIM_400000_NS6detail17trampoline_kernelINS0_14default_configENS1_20scan_config_selectorIxEEZZNS1_9scan_implILNS1_25lookback_scan_determinismE0ELb0ELb0ES3_N6thrust23THRUST_200600_302600_NS6detail15normal_iteratorINS9_10device_ptrIxEEEESE_x9plus_mod3IxExEEDaPvRmT3_T4_T5_mT6_P12ihipStream_tbENKUlT_T0_E_clISt17integral_constantIbLb0EESU_EEDaSP_SQ_EUlSP_E0_NS1_11comp_targetILNS1_3genE0ELNS1_11target_archE4294967295ELNS1_3gpuE0ELNS1_3repE0EEENS1_30default_config_static_selectorELNS0_4arch9wavefront6targetE1EEEvT1_,comdat
.Lfunc_end6543:
	.size	_ZN7rocprim17ROCPRIM_400000_NS6detail17trampoline_kernelINS0_14default_configENS1_20scan_config_selectorIxEEZZNS1_9scan_implILNS1_25lookback_scan_determinismE0ELb0ELb0ES3_N6thrust23THRUST_200600_302600_NS6detail15normal_iteratorINS9_10device_ptrIxEEEESE_x9plus_mod3IxExEEDaPvRmT3_T4_T5_mT6_P12ihipStream_tbENKUlT_T0_E_clISt17integral_constantIbLb0EESU_EEDaSP_SQ_EUlSP_E0_NS1_11comp_targetILNS1_3genE0ELNS1_11target_archE4294967295ELNS1_3gpuE0ELNS1_3repE0EEENS1_30default_config_static_selectorELNS0_4arch9wavefront6targetE1EEEvT1_, .Lfunc_end6543-_ZN7rocprim17ROCPRIM_400000_NS6detail17trampoline_kernelINS0_14default_configENS1_20scan_config_selectorIxEEZZNS1_9scan_implILNS1_25lookback_scan_determinismE0ELb0ELb0ES3_N6thrust23THRUST_200600_302600_NS6detail15normal_iteratorINS9_10device_ptrIxEEEESE_x9plus_mod3IxExEEDaPvRmT3_T4_T5_mT6_P12ihipStream_tbENKUlT_T0_E_clISt17integral_constantIbLb0EESU_EEDaSP_SQ_EUlSP_E0_NS1_11comp_targetILNS1_3genE0ELNS1_11target_archE4294967295ELNS1_3gpuE0ELNS1_3repE0EEENS1_30default_config_static_selectorELNS0_4arch9wavefront6targetE1EEEvT1_
                                        ; -- End function
	.section	.AMDGPU.csdata,"",@progbits
; Kernel info:
; codeLenInByte = 0
; NumSgprs: 4
; NumVgprs: 0
; NumAgprs: 0
; TotalNumVgprs: 0
; ScratchSize: 0
; MemoryBound: 0
; FloatMode: 240
; IeeeMode: 1
; LDSByteSize: 0 bytes/workgroup (compile time only)
; SGPRBlocks: 0
; VGPRBlocks: 0
; NumSGPRsForWavesPerEU: 4
; NumVGPRsForWavesPerEU: 1
; AccumOffset: 4
; Occupancy: 8
; WaveLimiterHint : 0
; COMPUTE_PGM_RSRC2:SCRATCH_EN: 0
; COMPUTE_PGM_RSRC2:USER_SGPR: 6
; COMPUTE_PGM_RSRC2:TRAP_HANDLER: 0
; COMPUTE_PGM_RSRC2:TGID_X_EN: 1
; COMPUTE_PGM_RSRC2:TGID_Y_EN: 0
; COMPUTE_PGM_RSRC2:TGID_Z_EN: 0
; COMPUTE_PGM_RSRC2:TIDIG_COMP_CNT: 0
; COMPUTE_PGM_RSRC3_GFX90A:ACCUM_OFFSET: 0
; COMPUTE_PGM_RSRC3_GFX90A:TG_SPLIT: 0
	.section	.text._ZN7rocprim17ROCPRIM_400000_NS6detail17trampoline_kernelINS0_14default_configENS1_20scan_config_selectorIxEEZZNS1_9scan_implILNS1_25lookback_scan_determinismE0ELb0ELb0ES3_N6thrust23THRUST_200600_302600_NS6detail15normal_iteratorINS9_10device_ptrIxEEEESE_x9plus_mod3IxExEEDaPvRmT3_T4_T5_mT6_P12ihipStream_tbENKUlT_T0_E_clISt17integral_constantIbLb0EESU_EEDaSP_SQ_EUlSP_E0_NS1_11comp_targetILNS1_3genE5ELNS1_11target_archE942ELNS1_3gpuE9ELNS1_3repE0EEENS1_30default_config_static_selectorELNS0_4arch9wavefront6targetE1EEEvT1_,"axG",@progbits,_ZN7rocprim17ROCPRIM_400000_NS6detail17trampoline_kernelINS0_14default_configENS1_20scan_config_selectorIxEEZZNS1_9scan_implILNS1_25lookback_scan_determinismE0ELb0ELb0ES3_N6thrust23THRUST_200600_302600_NS6detail15normal_iteratorINS9_10device_ptrIxEEEESE_x9plus_mod3IxExEEDaPvRmT3_T4_T5_mT6_P12ihipStream_tbENKUlT_T0_E_clISt17integral_constantIbLb0EESU_EEDaSP_SQ_EUlSP_E0_NS1_11comp_targetILNS1_3genE5ELNS1_11target_archE942ELNS1_3gpuE9ELNS1_3repE0EEENS1_30default_config_static_selectorELNS0_4arch9wavefront6targetE1EEEvT1_,comdat
	.protected	_ZN7rocprim17ROCPRIM_400000_NS6detail17trampoline_kernelINS0_14default_configENS1_20scan_config_selectorIxEEZZNS1_9scan_implILNS1_25lookback_scan_determinismE0ELb0ELb0ES3_N6thrust23THRUST_200600_302600_NS6detail15normal_iteratorINS9_10device_ptrIxEEEESE_x9plus_mod3IxExEEDaPvRmT3_T4_T5_mT6_P12ihipStream_tbENKUlT_T0_E_clISt17integral_constantIbLb0EESU_EEDaSP_SQ_EUlSP_E0_NS1_11comp_targetILNS1_3genE5ELNS1_11target_archE942ELNS1_3gpuE9ELNS1_3repE0EEENS1_30default_config_static_selectorELNS0_4arch9wavefront6targetE1EEEvT1_ ; -- Begin function _ZN7rocprim17ROCPRIM_400000_NS6detail17trampoline_kernelINS0_14default_configENS1_20scan_config_selectorIxEEZZNS1_9scan_implILNS1_25lookback_scan_determinismE0ELb0ELb0ES3_N6thrust23THRUST_200600_302600_NS6detail15normal_iteratorINS9_10device_ptrIxEEEESE_x9plus_mod3IxExEEDaPvRmT3_T4_T5_mT6_P12ihipStream_tbENKUlT_T0_E_clISt17integral_constantIbLb0EESU_EEDaSP_SQ_EUlSP_E0_NS1_11comp_targetILNS1_3genE5ELNS1_11target_archE942ELNS1_3gpuE9ELNS1_3repE0EEENS1_30default_config_static_selectorELNS0_4arch9wavefront6targetE1EEEvT1_
	.globl	_ZN7rocprim17ROCPRIM_400000_NS6detail17trampoline_kernelINS0_14default_configENS1_20scan_config_selectorIxEEZZNS1_9scan_implILNS1_25lookback_scan_determinismE0ELb0ELb0ES3_N6thrust23THRUST_200600_302600_NS6detail15normal_iteratorINS9_10device_ptrIxEEEESE_x9plus_mod3IxExEEDaPvRmT3_T4_T5_mT6_P12ihipStream_tbENKUlT_T0_E_clISt17integral_constantIbLb0EESU_EEDaSP_SQ_EUlSP_E0_NS1_11comp_targetILNS1_3genE5ELNS1_11target_archE942ELNS1_3gpuE9ELNS1_3repE0EEENS1_30default_config_static_selectorELNS0_4arch9wavefront6targetE1EEEvT1_
	.p2align	8
	.type	_ZN7rocprim17ROCPRIM_400000_NS6detail17trampoline_kernelINS0_14default_configENS1_20scan_config_selectorIxEEZZNS1_9scan_implILNS1_25lookback_scan_determinismE0ELb0ELb0ES3_N6thrust23THRUST_200600_302600_NS6detail15normal_iteratorINS9_10device_ptrIxEEEESE_x9plus_mod3IxExEEDaPvRmT3_T4_T5_mT6_P12ihipStream_tbENKUlT_T0_E_clISt17integral_constantIbLb0EESU_EEDaSP_SQ_EUlSP_E0_NS1_11comp_targetILNS1_3genE5ELNS1_11target_archE942ELNS1_3gpuE9ELNS1_3repE0EEENS1_30default_config_static_selectorELNS0_4arch9wavefront6targetE1EEEvT1_,@function
_ZN7rocprim17ROCPRIM_400000_NS6detail17trampoline_kernelINS0_14default_configENS1_20scan_config_selectorIxEEZZNS1_9scan_implILNS1_25lookback_scan_determinismE0ELb0ELb0ES3_N6thrust23THRUST_200600_302600_NS6detail15normal_iteratorINS9_10device_ptrIxEEEESE_x9plus_mod3IxExEEDaPvRmT3_T4_T5_mT6_P12ihipStream_tbENKUlT_T0_E_clISt17integral_constantIbLb0EESU_EEDaSP_SQ_EUlSP_E0_NS1_11comp_targetILNS1_3genE5ELNS1_11target_archE942ELNS1_3gpuE9ELNS1_3repE0EEENS1_30default_config_static_selectorELNS0_4arch9wavefront6targetE1EEEvT1_: ; @_ZN7rocprim17ROCPRIM_400000_NS6detail17trampoline_kernelINS0_14default_configENS1_20scan_config_selectorIxEEZZNS1_9scan_implILNS1_25lookback_scan_determinismE0ELb0ELb0ES3_N6thrust23THRUST_200600_302600_NS6detail15normal_iteratorINS9_10device_ptrIxEEEESE_x9plus_mod3IxExEEDaPvRmT3_T4_T5_mT6_P12ihipStream_tbENKUlT_T0_E_clISt17integral_constantIbLb0EESU_EEDaSP_SQ_EUlSP_E0_NS1_11comp_targetILNS1_3genE5ELNS1_11target_archE942ELNS1_3gpuE9ELNS1_3repE0EEENS1_30default_config_static_selectorELNS0_4arch9wavefront6targetE1EEEvT1_
; %bb.0:
	.section	.rodata,"a",@progbits
	.p2align	6, 0x0
	.amdhsa_kernel _ZN7rocprim17ROCPRIM_400000_NS6detail17trampoline_kernelINS0_14default_configENS1_20scan_config_selectorIxEEZZNS1_9scan_implILNS1_25lookback_scan_determinismE0ELb0ELb0ES3_N6thrust23THRUST_200600_302600_NS6detail15normal_iteratorINS9_10device_ptrIxEEEESE_x9plus_mod3IxExEEDaPvRmT3_T4_T5_mT6_P12ihipStream_tbENKUlT_T0_E_clISt17integral_constantIbLb0EESU_EEDaSP_SQ_EUlSP_E0_NS1_11comp_targetILNS1_3genE5ELNS1_11target_archE942ELNS1_3gpuE9ELNS1_3repE0EEENS1_30default_config_static_selectorELNS0_4arch9wavefront6targetE1EEEvT1_
		.amdhsa_group_segment_fixed_size 0
		.amdhsa_private_segment_fixed_size 0
		.amdhsa_kernarg_size 40
		.amdhsa_user_sgpr_count 6
		.amdhsa_user_sgpr_private_segment_buffer 1
		.amdhsa_user_sgpr_dispatch_ptr 0
		.amdhsa_user_sgpr_queue_ptr 0
		.amdhsa_user_sgpr_kernarg_segment_ptr 1
		.amdhsa_user_sgpr_dispatch_id 0
		.amdhsa_user_sgpr_flat_scratch_init 0
		.amdhsa_user_sgpr_kernarg_preload_length 0
		.amdhsa_user_sgpr_kernarg_preload_offset 0
		.amdhsa_user_sgpr_private_segment_size 0
		.amdhsa_uses_dynamic_stack 0
		.amdhsa_system_sgpr_private_segment_wavefront_offset 0
		.amdhsa_system_sgpr_workgroup_id_x 1
		.amdhsa_system_sgpr_workgroup_id_y 0
		.amdhsa_system_sgpr_workgroup_id_z 0
		.amdhsa_system_sgpr_workgroup_info 0
		.amdhsa_system_vgpr_workitem_id 0
		.amdhsa_next_free_vgpr 1
		.amdhsa_next_free_sgpr 0
		.amdhsa_accum_offset 4
		.amdhsa_reserve_vcc 0
		.amdhsa_reserve_flat_scratch 0
		.amdhsa_float_round_mode_32 0
		.amdhsa_float_round_mode_16_64 0
		.amdhsa_float_denorm_mode_32 3
		.amdhsa_float_denorm_mode_16_64 3
		.amdhsa_dx10_clamp 1
		.amdhsa_ieee_mode 1
		.amdhsa_fp16_overflow 0
		.amdhsa_tg_split 0
		.amdhsa_exception_fp_ieee_invalid_op 0
		.amdhsa_exception_fp_denorm_src 0
		.amdhsa_exception_fp_ieee_div_zero 0
		.amdhsa_exception_fp_ieee_overflow 0
		.amdhsa_exception_fp_ieee_underflow 0
		.amdhsa_exception_fp_ieee_inexact 0
		.amdhsa_exception_int_div_zero 0
	.end_amdhsa_kernel
	.section	.text._ZN7rocprim17ROCPRIM_400000_NS6detail17trampoline_kernelINS0_14default_configENS1_20scan_config_selectorIxEEZZNS1_9scan_implILNS1_25lookback_scan_determinismE0ELb0ELb0ES3_N6thrust23THRUST_200600_302600_NS6detail15normal_iteratorINS9_10device_ptrIxEEEESE_x9plus_mod3IxExEEDaPvRmT3_T4_T5_mT6_P12ihipStream_tbENKUlT_T0_E_clISt17integral_constantIbLb0EESU_EEDaSP_SQ_EUlSP_E0_NS1_11comp_targetILNS1_3genE5ELNS1_11target_archE942ELNS1_3gpuE9ELNS1_3repE0EEENS1_30default_config_static_selectorELNS0_4arch9wavefront6targetE1EEEvT1_,"axG",@progbits,_ZN7rocprim17ROCPRIM_400000_NS6detail17trampoline_kernelINS0_14default_configENS1_20scan_config_selectorIxEEZZNS1_9scan_implILNS1_25lookback_scan_determinismE0ELb0ELb0ES3_N6thrust23THRUST_200600_302600_NS6detail15normal_iteratorINS9_10device_ptrIxEEEESE_x9plus_mod3IxExEEDaPvRmT3_T4_T5_mT6_P12ihipStream_tbENKUlT_T0_E_clISt17integral_constantIbLb0EESU_EEDaSP_SQ_EUlSP_E0_NS1_11comp_targetILNS1_3genE5ELNS1_11target_archE942ELNS1_3gpuE9ELNS1_3repE0EEENS1_30default_config_static_selectorELNS0_4arch9wavefront6targetE1EEEvT1_,comdat
.Lfunc_end6544:
	.size	_ZN7rocprim17ROCPRIM_400000_NS6detail17trampoline_kernelINS0_14default_configENS1_20scan_config_selectorIxEEZZNS1_9scan_implILNS1_25lookback_scan_determinismE0ELb0ELb0ES3_N6thrust23THRUST_200600_302600_NS6detail15normal_iteratorINS9_10device_ptrIxEEEESE_x9plus_mod3IxExEEDaPvRmT3_T4_T5_mT6_P12ihipStream_tbENKUlT_T0_E_clISt17integral_constantIbLb0EESU_EEDaSP_SQ_EUlSP_E0_NS1_11comp_targetILNS1_3genE5ELNS1_11target_archE942ELNS1_3gpuE9ELNS1_3repE0EEENS1_30default_config_static_selectorELNS0_4arch9wavefront6targetE1EEEvT1_, .Lfunc_end6544-_ZN7rocprim17ROCPRIM_400000_NS6detail17trampoline_kernelINS0_14default_configENS1_20scan_config_selectorIxEEZZNS1_9scan_implILNS1_25lookback_scan_determinismE0ELb0ELb0ES3_N6thrust23THRUST_200600_302600_NS6detail15normal_iteratorINS9_10device_ptrIxEEEESE_x9plus_mod3IxExEEDaPvRmT3_T4_T5_mT6_P12ihipStream_tbENKUlT_T0_E_clISt17integral_constantIbLb0EESU_EEDaSP_SQ_EUlSP_E0_NS1_11comp_targetILNS1_3genE5ELNS1_11target_archE942ELNS1_3gpuE9ELNS1_3repE0EEENS1_30default_config_static_selectorELNS0_4arch9wavefront6targetE1EEEvT1_
                                        ; -- End function
	.section	.AMDGPU.csdata,"",@progbits
; Kernel info:
; codeLenInByte = 0
; NumSgprs: 4
; NumVgprs: 0
; NumAgprs: 0
; TotalNumVgprs: 0
; ScratchSize: 0
; MemoryBound: 0
; FloatMode: 240
; IeeeMode: 1
; LDSByteSize: 0 bytes/workgroup (compile time only)
; SGPRBlocks: 0
; VGPRBlocks: 0
; NumSGPRsForWavesPerEU: 4
; NumVGPRsForWavesPerEU: 1
; AccumOffset: 4
; Occupancy: 8
; WaveLimiterHint : 0
; COMPUTE_PGM_RSRC2:SCRATCH_EN: 0
; COMPUTE_PGM_RSRC2:USER_SGPR: 6
; COMPUTE_PGM_RSRC2:TRAP_HANDLER: 0
; COMPUTE_PGM_RSRC2:TGID_X_EN: 1
; COMPUTE_PGM_RSRC2:TGID_Y_EN: 0
; COMPUTE_PGM_RSRC2:TGID_Z_EN: 0
; COMPUTE_PGM_RSRC2:TIDIG_COMP_CNT: 0
; COMPUTE_PGM_RSRC3_GFX90A:ACCUM_OFFSET: 0
; COMPUTE_PGM_RSRC3_GFX90A:TG_SPLIT: 0
	.section	.text._ZN7rocprim17ROCPRIM_400000_NS6detail17trampoline_kernelINS0_14default_configENS1_20scan_config_selectorIxEEZZNS1_9scan_implILNS1_25lookback_scan_determinismE0ELb0ELb0ES3_N6thrust23THRUST_200600_302600_NS6detail15normal_iteratorINS9_10device_ptrIxEEEESE_x9plus_mod3IxExEEDaPvRmT3_T4_T5_mT6_P12ihipStream_tbENKUlT_T0_E_clISt17integral_constantIbLb0EESU_EEDaSP_SQ_EUlSP_E0_NS1_11comp_targetILNS1_3genE4ELNS1_11target_archE910ELNS1_3gpuE8ELNS1_3repE0EEENS1_30default_config_static_selectorELNS0_4arch9wavefront6targetE1EEEvT1_,"axG",@progbits,_ZN7rocprim17ROCPRIM_400000_NS6detail17trampoline_kernelINS0_14default_configENS1_20scan_config_selectorIxEEZZNS1_9scan_implILNS1_25lookback_scan_determinismE0ELb0ELb0ES3_N6thrust23THRUST_200600_302600_NS6detail15normal_iteratorINS9_10device_ptrIxEEEESE_x9plus_mod3IxExEEDaPvRmT3_T4_T5_mT6_P12ihipStream_tbENKUlT_T0_E_clISt17integral_constantIbLb0EESU_EEDaSP_SQ_EUlSP_E0_NS1_11comp_targetILNS1_3genE4ELNS1_11target_archE910ELNS1_3gpuE8ELNS1_3repE0EEENS1_30default_config_static_selectorELNS0_4arch9wavefront6targetE1EEEvT1_,comdat
	.protected	_ZN7rocprim17ROCPRIM_400000_NS6detail17trampoline_kernelINS0_14default_configENS1_20scan_config_selectorIxEEZZNS1_9scan_implILNS1_25lookback_scan_determinismE0ELb0ELb0ES3_N6thrust23THRUST_200600_302600_NS6detail15normal_iteratorINS9_10device_ptrIxEEEESE_x9plus_mod3IxExEEDaPvRmT3_T4_T5_mT6_P12ihipStream_tbENKUlT_T0_E_clISt17integral_constantIbLb0EESU_EEDaSP_SQ_EUlSP_E0_NS1_11comp_targetILNS1_3genE4ELNS1_11target_archE910ELNS1_3gpuE8ELNS1_3repE0EEENS1_30default_config_static_selectorELNS0_4arch9wavefront6targetE1EEEvT1_ ; -- Begin function _ZN7rocprim17ROCPRIM_400000_NS6detail17trampoline_kernelINS0_14default_configENS1_20scan_config_selectorIxEEZZNS1_9scan_implILNS1_25lookback_scan_determinismE0ELb0ELb0ES3_N6thrust23THRUST_200600_302600_NS6detail15normal_iteratorINS9_10device_ptrIxEEEESE_x9plus_mod3IxExEEDaPvRmT3_T4_T5_mT6_P12ihipStream_tbENKUlT_T0_E_clISt17integral_constantIbLb0EESU_EEDaSP_SQ_EUlSP_E0_NS1_11comp_targetILNS1_3genE4ELNS1_11target_archE910ELNS1_3gpuE8ELNS1_3repE0EEENS1_30default_config_static_selectorELNS0_4arch9wavefront6targetE1EEEvT1_
	.globl	_ZN7rocprim17ROCPRIM_400000_NS6detail17trampoline_kernelINS0_14default_configENS1_20scan_config_selectorIxEEZZNS1_9scan_implILNS1_25lookback_scan_determinismE0ELb0ELb0ES3_N6thrust23THRUST_200600_302600_NS6detail15normal_iteratorINS9_10device_ptrIxEEEESE_x9plus_mod3IxExEEDaPvRmT3_T4_T5_mT6_P12ihipStream_tbENKUlT_T0_E_clISt17integral_constantIbLb0EESU_EEDaSP_SQ_EUlSP_E0_NS1_11comp_targetILNS1_3genE4ELNS1_11target_archE910ELNS1_3gpuE8ELNS1_3repE0EEENS1_30default_config_static_selectorELNS0_4arch9wavefront6targetE1EEEvT1_
	.p2align	8
	.type	_ZN7rocprim17ROCPRIM_400000_NS6detail17trampoline_kernelINS0_14default_configENS1_20scan_config_selectorIxEEZZNS1_9scan_implILNS1_25lookback_scan_determinismE0ELb0ELb0ES3_N6thrust23THRUST_200600_302600_NS6detail15normal_iteratorINS9_10device_ptrIxEEEESE_x9plus_mod3IxExEEDaPvRmT3_T4_T5_mT6_P12ihipStream_tbENKUlT_T0_E_clISt17integral_constantIbLb0EESU_EEDaSP_SQ_EUlSP_E0_NS1_11comp_targetILNS1_3genE4ELNS1_11target_archE910ELNS1_3gpuE8ELNS1_3repE0EEENS1_30default_config_static_selectorELNS0_4arch9wavefront6targetE1EEEvT1_,@function
_ZN7rocprim17ROCPRIM_400000_NS6detail17trampoline_kernelINS0_14default_configENS1_20scan_config_selectorIxEEZZNS1_9scan_implILNS1_25lookback_scan_determinismE0ELb0ELb0ES3_N6thrust23THRUST_200600_302600_NS6detail15normal_iteratorINS9_10device_ptrIxEEEESE_x9plus_mod3IxExEEDaPvRmT3_T4_T5_mT6_P12ihipStream_tbENKUlT_T0_E_clISt17integral_constantIbLb0EESU_EEDaSP_SQ_EUlSP_E0_NS1_11comp_targetILNS1_3genE4ELNS1_11target_archE910ELNS1_3gpuE8ELNS1_3repE0EEENS1_30default_config_static_selectorELNS0_4arch9wavefront6targetE1EEEvT1_: ; @_ZN7rocprim17ROCPRIM_400000_NS6detail17trampoline_kernelINS0_14default_configENS1_20scan_config_selectorIxEEZZNS1_9scan_implILNS1_25lookback_scan_determinismE0ELb0ELb0ES3_N6thrust23THRUST_200600_302600_NS6detail15normal_iteratorINS9_10device_ptrIxEEEESE_x9plus_mod3IxExEEDaPvRmT3_T4_T5_mT6_P12ihipStream_tbENKUlT_T0_E_clISt17integral_constantIbLb0EESU_EEDaSP_SQ_EUlSP_E0_NS1_11comp_targetILNS1_3genE4ELNS1_11target_archE910ELNS1_3gpuE8ELNS1_3repE0EEENS1_30default_config_static_selectorELNS0_4arch9wavefront6targetE1EEEvT1_
; %bb.0:
	s_load_dwordx4 s[20:23], s[4:5], 0x0
	v_lshlrev_b32_e32 v26, 3, v0
	s_waitcnt lgkmcnt(0)
	s_load_dwordx2 s[14:15], s[20:21], 0x0
	v_cmp_gt_u32_e32 vcc, s22, v0
	s_waitcnt lgkmcnt(0)
	v_pk_mov_b32 v[2:3], s[14:15], s[14:15] op_sel:[0,1]
	s_and_saveexec_b64 s[0:1], vcc
	s_cbranch_execz .LBB6545_2
; %bb.1:
	global_load_dwordx2 v[2:3], v26, s[20:21]
.LBB6545_2:
	s_or_b64 exec, exec, s[0:1]
	v_or_b32_e32 v1, 0x80, v0
	v_cmp_gt_u32_e64 s[0:1], s22, v1
	v_pk_mov_b32 v[4:5], s[14:15], s[14:15] op_sel:[0,1]
	s_and_saveexec_b64 s[2:3], s[0:1]
	s_cbranch_execz .LBB6545_4
; %bb.3:
	global_load_dwordx2 v[4:5], v26, s[20:21] offset:1024
.LBB6545_4:
	s_or_b64 exec, exec, s[2:3]
	v_or_b32_e32 v1, 0x100, v0
	v_cmp_gt_u32_e64 s[2:3], s22, v1
	v_pk_mov_b32 v[6:7], s[14:15], s[14:15] op_sel:[0,1]
	s_and_saveexec_b64 s[6:7], s[2:3]
	s_cbranch_execz .LBB6545_6
; %bb.5:
	global_load_dwordx2 v[6:7], v26, s[20:21] offset:2048
.LBB6545_6:
	;; [unrolled: 9-line block ×3, first 2 shown]
	s_or_b64 exec, exec, s[6:7]
	v_or_b32_e32 v1, 0x200, v0
	v_cmp_gt_u32_e64 s[6:7], s22, v1
	v_pk_mov_b32 v[10:11], s[14:15], s[14:15] op_sel:[0,1]
	s_and_saveexec_b64 s[8:9], s[6:7]
	s_cbranch_execz .LBB6545_10
; %bb.9:
	v_lshlrev_b32_e32 v1, 3, v1
	global_load_dwordx2 v[10:11], v1, s[20:21]
.LBB6545_10:
	s_or_b64 exec, exec, s[8:9]
	v_or_b32_e32 v1, 0x280, v0
	v_cmp_gt_u32_e64 s[8:9], s22, v1
	v_pk_mov_b32 v[12:13], s[14:15], s[14:15] op_sel:[0,1]
	s_and_saveexec_b64 s[10:11], s[8:9]
	s_cbranch_execz .LBB6545_12
; %bb.11:
	v_lshlrev_b32_e32 v1, 3, v1
	global_load_dwordx2 v[12:13], v1, s[20:21]
.LBB6545_12:
	s_or_b64 exec, exec, s[10:11]
	s_load_dwordx4 s[16:19], s[4:5], 0x18
	v_or_b32_e32 v1, 0x300, v0
	v_cmp_gt_u32_e64 s[10:11], s22, v1
	v_pk_mov_b32 v[14:15], s[14:15], s[14:15] op_sel:[0,1]
	s_and_saveexec_b64 s[4:5], s[10:11]
	s_cbranch_execz .LBB6545_14
; %bb.13:
	v_lshlrev_b32_e32 v1, 3, v1
	global_load_dwordx2 v[14:15], v1, s[20:21]
.LBB6545_14:
	s_or_b64 exec, exec, s[4:5]
	v_mad_u32_u24 v1, v0, 48, v26
	s_waitcnt vmcnt(0)
	ds_write2st64_b64 v26, v[2:3], v[4:5] offset1:2
	ds_write2st64_b64 v26, v[6:7], v[8:9] offset0:4 offset1:6
	ds_write2st64_b64 v26, v[10:11], v[12:13] offset0:8 offset1:10
	ds_write_b64 v26, v[14:15] offset:6144
	s_waitcnt lgkmcnt(0)
	s_barrier
	ds_read2_b64 v[2:5], v1 offset1:1
	ds_read2_b64 v[10:13], v1 offset0:2 offset1:3
	ds_read2_b64 v[6:9], v1 offset0:4 offset1:5
	ds_read_b64 v[18:19], v1 offset:48
	v_mov_b32_e32 v24, 0
	s_waitcnt lgkmcnt(3)
	v_add_u32_e32 v25, v4, v2
	v_ashrrev_i64 v[20:21], 29, v[24:25]
	v_mov_b32_e32 v1, s17
	v_add_co_u32_e64 v14, s[4:5], s16, v20
	v_addc_co_u32_e64 v15, s[4:5], v1, v21, s[4:5]
	s_waitcnt lgkmcnt(0)
	s_barrier
	global_load_dword v1, v[14:15], off
	v_mov_b32_e32 v5, s17
	s_waitcnt vmcnt(0)
	v_add_u32_e32 v25, v1, v10
	v_ashrrev_i64 v[14:15], 29, v[24:25]
	v_add_co_u32_e64 v14, s[4:5], s16, v14
	v_addc_co_u32_e64 v15, s[4:5], v5, v15, s[4:5]
	global_load_dword v1, v[14:15], off
	s_waitcnt vmcnt(0)
	v_add_u32_e32 v25, v1, v12
	v_ashrrev_i64 v[14:15], 29, v[24:25]
	v_add_co_u32_e64 v14, s[4:5], s16, v14
	v_addc_co_u32_e64 v15, s[4:5], v5, v15, s[4:5]
	global_load_dword v1, v[14:15], off
	;; [unrolled: 6-line block ×4, first 2 shown]
	s_waitcnt vmcnt(0)
	v_add_u32_e32 v25, v1, v18
	v_ashrrev_i64 v[14:15], 29, v[24:25]
	v_add_co_u32_e64 v14, s[4:5], s16, v14
	v_addc_co_u32_e64 v15, s[4:5], v5, v15, s[4:5]
	global_load_dwordx2 v[22:23], v[14:15], off
	v_lshrrev_b32_e32 v1, 2, v0
	v_and_b32_e32 v1, 24, v1
	v_add_u32_e32 v1, v26, v1
	v_cmp_gt_u32_e64 s[4:5], 64, v0
	s_waitcnt vmcnt(0)
	ds_write_b64 v1, v[22:23]
	s_waitcnt lgkmcnt(0)
	s_barrier
	s_and_saveexec_b64 s[14:15], s[4:5]
	s_cbranch_execz .LBB6545_28
; %bb.15:
	v_lshlrev_b32_e32 v1, 1, v0
	v_lshrrev_b32_e32 v5, 4, v0
	v_add_lshl_u32 v1, v5, v1, 3
	ds_read2_b64 v[14:17], v1 offset1:1
	v_mov_b32_e32 v5, s17
	s_waitcnt lgkmcnt(0)
	v_add_u32_e32 v25, v16, v14
	v_ashrrev_i64 v[16:17], 29, v[24:25]
	v_add_co_u32_e64 v16, s[4:5], s16, v16
	v_addc_co_u32_e64 v17, s[4:5], v5, v17, s[4:5]
	global_load_dwordx2 v[16:17], v[16:17], off
	v_mbcnt_lo_u32_b32 v5, -1, 0
	v_mbcnt_hi_u32_b32 v5, -1, v5
	v_and_b32_e32 v7, 15, v5
	v_cmp_ne_u32_e64 s[4:5], 0, v7
	s_waitcnt vmcnt(0)
	v_mov_b32_dpp v9, v16 row_shr:1 row_mask:0xf bank_mask:0xf
	s_and_saveexec_b64 s[20:21], s[4:5]
	s_cbranch_execz .LBB6545_17
; %bb.16:
	v_add_u32_e32 v17, v16, v9
	v_mov_b32_e32 v16, 0
	v_ashrrev_i64 v[16:17], 29, v[16:17]
	v_mov_b32_e32 v9, s17
	v_add_co_u32_e64 v16, s[4:5], s16, v16
	v_addc_co_u32_e64 v17, s[4:5], v9, v17, s[4:5]
	global_load_dwordx2 v[16:17], v[16:17], off
.LBB6545_17:
	s_or_b64 exec, exec, s[20:21]
	s_waitcnt vmcnt(0)
	v_mov_b32_dpp v9, v16 row_shr:2 row_mask:0xf bank_mask:0xf
	v_cmp_lt_u32_e64 s[4:5], 1, v7
	s_and_saveexec_b64 s[20:21], s[4:5]
	s_cbranch_execz .LBB6545_19
; %bb.18:
	v_add_u32_e32 v17, v16, v9
	v_mov_b32_e32 v16, 0
	v_ashrrev_i64 v[16:17], 29, v[16:17]
	v_mov_b32_e32 v9, s17
	v_add_co_u32_e64 v16, s[4:5], s16, v16
	v_addc_co_u32_e64 v17, s[4:5], v9, v17, s[4:5]
	global_load_dwordx2 v[16:17], v[16:17], off
.LBB6545_19:
	s_or_b64 exec, exec, s[20:21]
	s_waitcnt vmcnt(0)
	v_mov_b32_dpp v9, v16 row_shr:4 row_mask:0xf bank_mask:0xf
	v_cmp_lt_u32_e64 s[4:5], 3, v7
	;; [unrolled: 15-line block ×3, first 2 shown]
	s_and_saveexec_b64 s[20:21], s[4:5]
	s_cbranch_execz .LBB6545_23
; %bb.22:
	v_add_u32_e32 v17, v16, v9
	v_mov_b32_e32 v16, 0
	v_ashrrev_i64 v[16:17], 29, v[16:17]
	v_mov_b32_e32 v7, s17
	v_add_co_u32_e64 v16, s[4:5], s16, v16
	v_addc_co_u32_e64 v17, s[4:5], v7, v17, s[4:5]
	global_load_dwordx2 v[16:17], v[16:17], off
.LBB6545_23:
	s_or_b64 exec, exec, s[20:21]
	v_and_b32_e32 v9, 16, v5
	s_waitcnt vmcnt(0)
	v_mov_b32_dpp v7, v16 row_bcast:15 row_mask:0xf bank_mask:0xf
	v_cmp_ne_u32_e64 s[4:5], 0, v9
	s_and_saveexec_b64 s[20:21], s[4:5]
	s_cbranch_execz .LBB6545_25
; %bb.24:
	v_add_u32_e32 v17, v16, v7
	v_mov_b32_e32 v16, 0
	v_ashrrev_i64 v[16:17], 29, v[16:17]
	v_mov_b32_e32 v7, s17
	v_add_co_u32_e64 v16, s[4:5], s16, v16
	v_addc_co_u32_e64 v17, s[4:5], v7, v17, s[4:5]
	global_load_dwordx2 v[16:17], v[16:17], off
.LBB6545_25:
	s_or_b64 exec, exec, s[20:21]
	s_waitcnt vmcnt(0)
	v_mov_b32_dpp v7, v16 row_bcast:31 row_mask:0xf bank_mask:0xf
	v_cmp_lt_u32_e64 s[4:5], 31, v5
	s_and_saveexec_b64 s[20:21], s[4:5]
	s_cbranch_execz .LBB6545_27
; %bb.26:
	v_add_u32_e32 v17, v16, v7
	v_mov_b32_e32 v16, 0
	v_ashrrev_i64 v[16:17], 29, v[16:17]
	v_mov_b32_e32 v7, s17
	v_add_co_u32_e64 v16, s[4:5], s16, v16
	v_addc_co_u32_e64 v17, s[4:5], v7, v17, s[4:5]
	global_load_dword v16, v[16:17], off
.LBB6545_27:
	s_or_b64 exec, exec, s[20:21]
	v_add_u32_e32 v7, -1, v5
	v_and_b32_e32 v9, 64, v5
	v_cmp_lt_i32_e64 s[4:5], v7, v9
	v_cndmask_b32_e64 v5, v7, v5, s[4:5]
	v_lshlrev_b32_e32 v5, 2, v5
	s_waitcnt vmcnt(0)
	ds_bpermute_b32 v5, v5, v16
	v_mov_b32_e32 v16, 0
	v_mov_b32_e32 v7, s17
	s_waitcnt lgkmcnt(0)
	v_add_u32_e32 v17, v14, v5
	v_ashrrev_i64 v[14:15], 29, v[16:17]
	v_add_co_u32_e64 v14, s[4:5], s16, v14
	v_addc_co_u32_e64 v15, s[4:5], v7, v15, s[4:5]
	global_load_dwordx2 v[14:15], v[14:15], off
	v_cmp_eq_u32_e64 s[4:5], 0, v0
	; wave barrier
	s_waitcnt vmcnt(0)
	v_cndmask_b32_e64 v15, v15, v23, s[4:5]
	v_cndmask_b32_e64 v14, v14, v22, s[4:5]
	ds_write_b64 v1, v[14:15]
	; wave barrier
	ds_read_b32 v5, v1 offset:8
	s_waitcnt lgkmcnt(0)
	v_add_u32_e32 v17, v5, v14
	v_ashrrev_i64 v[14:15], 29, v[16:17]
	v_add_co_u32_e64 v14, s[4:5], s16, v14
	v_addc_co_u32_e64 v15, s[4:5], v7, v15, s[4:5]
	global_load_dwordx2 v[14:15], v[14:15], off
	s_waitcnt vmcnt(0)
	ds_write_b64 v1, v[14:15] offset:8
.LBB6545_28:
	s_or_b64 exec, exec, s[14:15]
	v_mul_u32_u24_e32 v1, 48, v0
	v_cmp_ne_u32_e64 s[4:5], 0, v0
	s_waitcnt lgkmcnt(0)
	s_barrier
	s_and_saveexec_b64 s[14:15], s[4:5]
	s_cbranch_execz .LBB6545_30
; %bb.29:
	v_add_u32_e32 v0, -1, v0
	v_lshrrev_b32_e32 v5, 5, v0
	v_add_lshl_u32 v0, v5, v0, 3
	ds_read_b64 v[22:23], v0
.LBB6545_30:
	s_or_b64 exec, exec, s[14:15]
	s_and_saveexec_b64 s[14:15], s[4:5]
	s_cbranch_execz .LBB6545_32
; %bb.31:
	s_waitcnt lgkmcnt(0)
	v_add_u32_e32 v15, v22, v2
	v_mov_b32_e32 v14, 0
	v_ashrrev_i64 v[2:3], 29, v[14:15]
	v_mov_b32_e32 v0, s17
	v_add_co_u32_e64 v2, s[4:5], s16, v2
	v_addc_co_u32_e64 v3, s[4:5], v0, v3, s[4:5]
	global_load_dwordx2 v[2:3], v[2:3], off
	;;#ASMSTART
	;;#ASMEND
	s_waitcnt vmcnt(0)
	v_add_u32_e32 v15, v2, v4
	v_ashrrev_i64 v[20:21], 29, v[14:15]
.LBB6545_32:
	s_or_b64 exec, exec, s[14:15]
	v_mov_b32_e32 v0, s17
	v_add_co_u32_e64 v4, s[4:5], s16, v20
	v_addc_co_u32_e64 v5, s[4:5], v0, v21, s[4:5]
	global_load_dwordx2 v[4:5], v[4:5], off
	v_mov_b32_e32 v14, 0
	s_waitcnt vmcnt(0)
	v_add_u32_e32 v15, v4, v10
	v_ashrrev_i64 v[10:11], 29, v[14:15]
	v_add_co_u32_e64 v10, s[4:5], s16, v10
	v_addc_co_u32_e64 v11, s[4:5], v0, v11, s[4:5]
	global_load_dwordx2 v[10:11], v[10:11], off
	s_waitcnt vmcnt(0)
	v_add_u32_e32 v15, v10, v12
	v_ashrrev_i64 v[12:13], 29, v[14:15]
	v_add_co_u32_e64 v12, s[4:5], s16, v12
	v_addc_co_u32_e64 v13, s[4:5], v0, v13, s[4:5]
	global_load_dwordx2 v[12:13], v[12:13], off
	;; [unrolled: 6-line block ×5, first 2 shown]
	v_add_u32_e32 v0, v26, v1
	s_waitcnt lgkmcnt(0)
	s_barrier
	ds_write2_b64 v0, v[2:3], v[4:5] offset1:1
	ds_write2_b64 v0, v[10:11], v[12:13] offset0:2 offset1:3
	ds_write2_b64 v0, v[6:7], v[8:9] offset0:4 offset1:5
	s_waitcnt vmcnt(0)
	ds_write_b64 v0, v[14:15] offset:48
	s_waitcnt lgkmcnt(0)
	s_barrier
	ds_read2st64_b64 v[8:11], v26 offset0:2 offset1:4
	ds_read2st64_b64 v[4:7], v26 offset0:6 offset1:8
	;; [unrolled: 1-line block ×3, first 2 shown]
	v_mov_b32_e32 v13, s19
	v_add_co_u32_e64 v12, s[4:5], s18, v26
	v_addc_co_u32_e64 v13, s[4:5], 0, v13, s[4:5]
	s_and_saveexec_b64 s[4:5], vcc
	s_cbranch_execnz .LBB6545_40
; %bb.33:
	s_or_b64 exec, exec, s[4:5]
	s_and_saveexec_b64 s[4:5], s[0:1]
	s_cbranch_execnz .LBB6545_41
.LBB6545_34:
	s_or_b64 exec, exec, s[4:5]
	s_and_saveexec_b64 s[0:1], s[2:3]
	s_cbranch_execnz .LBB6545_42
.LBB6545_35:
	s_or_b64 exec, exec, s[0:1]
	s_and_saveexec_b64 s[0:1], s[12:13]
	s_cbranch_execnz .LBB6545_43
.LBB6545_36:
	s_or_b64 exec, exec, s[0:1]
	s_and_saveexec_b64 s[0:1], s[6:7]
	s_cbranch_execnz .LBB6545_44
.LBB6545_37:
	s_or_b64 exec, exec, s[0:1]
	s_and_saveexec_b64 s[0:1], s[8:9]
	s_cbranch_execnz .LBB6545_45
.LBB6545_38:
	s_or_b64 exec, exec, s[0:1]
	s_and_saveexec_b64 s[0:1], s[10:11]
	s_cbranch_execnz .LBB6545_46
.LBB6545_39:
	s_endpgm
.LBB6545_40:
	ds_read_b64 v[14:15], v26
	s_waitcnt lgkmcnt(0)
	global_store_dwordx2 v[12:13], v[14:15], off
	s_or_b64 exec, exec, s[4:5]
	s_and_saveexec_b64 s[4:5], s[0:1]
	s_cbranch_execz .LBB6545_34
.LBB6545_41:
	s_waitcnt lgkmcnt(2)
	global_store_dwordx2 v[12:13], v[8:9], off offset:1024
	s_or_b64 exec, exec, s[4:5]
	s_and_saveexec_b64 s[0:1], s[2:3]
	s_cbranch_execz .LBB6545_35
.LBB6545_42:
	s_waitcnt lgkmcnt(2)
	global_store_dwordx2 v[12:13], v[10:11], off offset:2048
	s_or_b64 exec, exec, s[0:1]
	s_and_saveexec_b64 s[0:1], s[12:13]
	s_cbranch_execz .LBB6545_36
.LBB6545_43:
	s_waitcnt lgkmcnt(1)
	global_store_dwordx2 v[12:13], v[4:5], off offset:3072
	s_or_b64 exec, exec, s[0:1]
	s_and_saveexec_b64 s[0:1], s[6:7]
	s_cbranch_execz .LBB6545_37
.LBB6545_44:
	s_waitcnt lgkmcnt(1)
	v_add_co_u32_e32 v4, vcc, 0x1000, v12
	v_addc_co_u32_e32 v5, vcc, 0, v13, vcc
	global_store_dwordx2 v[4:5], v[6:7], off
	s_or_b64 exec, exec, s[0:1]
	s_and_saveexec_b64 s[0:1], s[8:9]
	s_cbranch_execz .LBB6545_38
.LBB6545_45:
	s_waitcnt lgkmcnt(1)
	v_add_co_u32_e32 v4, vcc, 0x1000, v12
	v_addc_co_u32_e32 v5, vcc, 0, v13, vcc
	s_waitcnt lgkmcnt(0)
	global_store_dwordx2 v[4:5], v[0:1], off offset:1024
	s_or_b64 exec, exec, s[0:1]
	s_and_saveexec_b64 s[0:1], s[10:11]
	s_cbranch_execz .LBB6545_39
.LBB6545_46:
	s_waitcnt lgkmcnt(0)
	v_add_co_u32_e32 v0, vcc, 0x1000, v12
	v_addc_co_u32_e32 v1, vcc, 0, v13, vcc
	global_store_dwordx2 v[0:1], v[2:3], off offset:2048
	s_endpgm
	.section	.rodata,"a",@progbits
	.p2align	6, 0x0
	.amdhsa_kernel _ZN7rocprim17ROCPRIM_400000_NS6detail17trampoline_kernelINS0_14default_configENS1_20scan_config_selectorIxEEZZNS1_9scan_implILNS1_25lookback_scan_determinismE0ELb0ELb0ES3_N6thrust23THRUST_200600_302600_NS6detail15normal_iteratorINS9_10device_ptrIxEEEESE_x9plus_mod3IxExEEDaPvRmT3_T4_T5_mT6_P12ihipStream_tbENKUlT_T0_E_clISt17integral_constantIbLb0EESU_EEDaSP_SQ_EUlSP_E0_NS1_11comp_targetILNS1_3genE4ELNS1_11target_archE910ELNS1_3gpuE8ELNS1_3repE0EEENS1_30default_config_static_selectorELNS0_4arch9wavefront6targetE1EEEvT1_
		.amdhsa_group_segment_fixed_size 7168
		.amdhsa_private_segment_fixed_size 0
		.amdhsa_kernarg_size 40
		.amdhsa_user_sgpr_count 6
		.amdhsa_user_sgpr_private_segment_buffer 1
		.amdhsa_user_sgpr_dispatch_ptr 0
		.amdhsa_user_sgpr_queue_ptr 0
		.amdhsa_user_sgpr_kernarg_segment_ptr 1
		.amdhsa_user_sgpr_dispatch_id 0
		.amdhsa_user_sgpr_flat_scratch_init 0
		.amdhsa_user_sgpr_kernarg_preload_length 0
		.amdhsa_user_sgpr_kernarg_preload_offset 0
		.amdhsa_user_sgpr_private_segment_size 0
		.amdhsa_uses_dynamic_stack 0
		.amdhsa_system_sgpr_private_segment_wavefront_offset 0
		.amdhsa_system_sgpr_workgroup_id_x 1
		.amdhsa_system_sgpr_workgroup_id_y 0
		.amdhsa_system_sgpr_workgroup_id_z 0
		.amdhsa_system_sgpr_workgroup_info 0
		.amdhsa_system_vgpr_workitem_id 0
		.amdhsa_next_free_vgpr 27
		.amdhsa_next_free_sgpr 24
		.amdhsa_accum_offset 28
		.amdhsa_reserve_vcc 1
		.amdhsa_reserve_flat_scratch 0
		.amdhsa_float_round_mode_32 0
		.amdhsa_float_round_mode_16_64 0
		.amdhsa_float_denorm_mode_32 3
		.amdhsa_float_denorm_mode_16_64 3
		.amdhsa_dx10_clamp 1
		.amdhsa_ieee_mode 1
		.amdhsa_fp16_overflow 0
		.amdhsa_tg_split 0
		.amdhsa_exception_fp_ieee_invalid_op 0
		.amdhsa_exception_fp_denorm_src 0
		.amdhsa_exception_fp_ieee_div_zero 0
		.amdhsa_exception_fp_ieee_overflow 0
		.amdhsa_exception_fp_ieee_underflow 0
		.amdhsa_exception_fp_ieee_inexact 0
		.amdhsa_exception_int_div_zero 0
	.end_amdhsa_kernel
	.section	.text._ZN7rocprim17ROCPRIM_400000_NS6detail17trampoline_kernelINS0_14default_configENS1_20scan_config_selectorIxEEZZNS1_9scan_implILNS1_25lookback_scan_determinismE0ELb0ELb0ES3_N6thrust23THRUST_200600_302600_NS6detail15normal_iteratorINS9_10device_ptrIxEEEESE_x9plus_mod3IxExEEDaPvRmT3_T4_T5_mT6_P12ihipStream_tbENKUlT_T0_E_clISt17integral_constantIbLb0EESU_EEDaSP_SQ_EUlSP_E0_NS1_11comp_targetILNS1_3genE4ELNS1_11target_archE910ELNS1_3gpuE8ELNS1_3repE0EEENS1_30default_config_static_selectorELNS0_4arch9wavefront6targetE1EEEvT1_,"axG",@progbits,_ZN7rocprim17ROCPRIM_400000_NS6detail17trampoline_kernelINS0_14default_configENS1_20scan_config_selectorIxEEZZNS1_9scan_implILNS1_25lookback_scan_determinismE0ELb0ELb0ES3_N6thrust23THRUST_200600_302600_NS6detail15normal_iteratorINS9_10device_ptrIxEEEESE_x9plus_mod3IxExEEDaPvRmT3_T4_T5_mT6_P12ihipStream_tbENKUlT_T0_E_clISt17integral_constantIbLb0EESU_EEDaSP_SQ_EUlSP_E0_NS1_11comp_targetILNS1_3genE4ELNS1_11target_archE910ELNS1_3gpuE8ELNS1_3repE0EEENS1_30default_config_static_selectorELNS0_4arch9wavefront6targetE1EEEvT1_,comdat
.Lfunc_end6545:
	.size	_ZN7rocprim17ROCPRIM_400000_NS6detail17trampoline_kernelINS0_14default_configENS1_20scan_config_selectorIxEEZZNS1_9scan_implILNS1_25lookback_scan_determinismE0ELb0ELb0ES3_N6thrust23THRUST_200600_302600_NS6detail15normal_iteratorINS9_10device_ptrIxEEEESE_x9plus_mod3IxExEEDaPvRmT3_T4_T5_mT6_P12ihipStream_tbENKUlT_T0_E_clISt17integral_constantIbLb0EESU_EEDaSP_SQ_EUlSP_E0_NS1_11comp_targetILNS1_3genE4ELNS1_11target_archE910ELNS1_3gpuE8ELNS1_3repE0EEENS1_30default_config_static_selectorELNS0_4arch9wavefront6targetE1EEEvT1_, .Lfunc_end6545-_ZN7rocprim17ROCPRIM_400000_NS6detail17trampoline_kernelINS0_14default_configENS1_20scan_config_selectorIxEEZZNS1_9scan_implILNS1_25lookback_scan_determinismE0ELb0ELb0ES3_N6thrust23THRUST_200600_302600_NS6detail15normal_iteratorINS9_10device_ptrIxEEEESE_x9plus_mod3IxExEEDaPvRmT3_T4_T5_mT6_P12ihipStream_tbENKUlT_T0_E_clISt17integral_constantIbLb0EESU_EEDaSP_SQ_EUlSP_E0_NS1_11comp_targetILNS1_3genE4ELNS1_11target_archE910ELNS1_3gpuE8ELNS1_3repE0EEENS1_30default_config_static_selectorELNS0_4arch9wavefront6targetE1EEEvT1_
                                        ; -- End function
	.section	.AMDGPU.csdata,"",@progbits
; Kernel info:
; codeLenInByte = 2228
; NumSgprs: 28
; NumVgprs: 27
; NumAgprs: 0
; TotalNumVgprs: 27
; ScratchSize: 0
; MemoryBound: 0
; FloatMode: 240
; IeeeMode: 1
; LDSByteSize: 7168 bytes/workgroup (compile time only)
; SGPRBlocks: 3
; VGPRBlocks: 3
; NumSGPRsForWavesPerEU: 28
; NumVGPRsForWavesPerEU: 27
; AccumOffset: 28
; Occupancy: 5
; WaveLimiterHint : 1
; COMPUTE_PGM_RSRC2:SCRATCH_EN: 0
; COMPUTE_PGM_RSRC2:USER_SGPR: 6
; COMPUTE_PGM_RSRC2:TRAP_HANDLER: 0
; COMPUTE_PGM_RSRC2:TGID_X_EN: 1
; COMPUTE_PGM_RSRC2:TGID_Y_EN: 0
; COMPUTE_PGM_RSRC2:TGID_Z_EN: 0
; COMPUTE_PGM_RSRC2:TIDIG_COMP_CNT: 0
; COMPUTE_PGM_RSRC3_GFX90A:ACCUM_OFFSET: 6
; COMPUTE_PGM_RSRC3_GFX90A:TG_SPLIT: 0
	.section	.text._ZN7rocprim17ROCPRIM_400000_NS6detail17trampoline_kernelINS0_14default_configENS1_20scan_config_selectorIxEEZZNS1_9scan_implILNS1_25lookback_scan_determinismE0ELb0ELb0ES3_N6thrust23THRUST_200600_302600_NS6detail15normal_iteratorINS9_10device_ptrIxEEEESE_x9plus_mod3IxExEEDaPvRmT3_T4_T5_mT6_P12ihipStream_tbENKUlT_T0_E_clISt17integral_constantIbLb0EESU_EEDaSP_SQ_EUlSP_E0_NS1_11comp_targetILNS1_3genE3ELNS1_11target_archE908ELNS1_3gpuE7ELNS1_3repE0EEENS1_30default_config_static_selectorELNS0_4arch9wavefront6targetE1EEEvT1_,"axG",@progbits,_ZN7rocprim17ROCPRIM_400000_NS6detail17trampoline_kernelINS0_14default_configENS1_20scan_config_selectorIxEEZZNS1_9scan_implILNS1_25lookback_scan_determinismE0ELb0ELb0ES3_N6thrust23THRUST_200600_302600_NS6detail15normal_iteratorINS9_10device_ptrIxEEEESE_x9plus_mod3IxExEEDaPvRmT3_T4_T5_mT6_P12ihipStream_tbENKUlT_T0_E_clISt17integral_constantIbLb0EESU_EEDaSP_SQ_EUlSP_E0_NS1_11comp_targetILNS1_3genE3ELNS1_11target_archE908ELNS1_3gpuE7ELNS1_3repE0EEENS1_30default_config_static_selectorELNS0_4arch9wavefront6targetE1EEEvT1_,comdat
	.protected	_ZN7rocprim17ROCPRIM_400000_NS6detail17trampoline_kernelINS0_14default_configENS1_20scan_config_selectorIxEEZZNS1_9scan_implILNS1_25lookback_scan_determinismE0ELb0ELb0ES3_N6thrust23THRUST_200600_302600_NS6detail15normal_iteratorINS9_10device_ptrIxEEEESE_x9plus_mod3IxExEEDaPvRmT3_T4_T5_mT6_P12ihipStream_tbENKUlT_T0_E_clISt17integral_constantIbLb0EESU_EEDaSP_SQ_EUlSP_E0_NS1_11comp_targetILNS1_3genE3ELNS1_11target_archE908ELNS1_3gpuE7ELNS1_3repE0EEENS1_30default_config_static_selectorELNS0_4arch9wavefront6targetE1EEEvT1_ ; -- Begin function _ZN7rocprim17ROCPRIM_400000_NS6detail17trampoline_kernelINS0_14default_configENS1_20scan_config_selectorIxEEZZNS1_9scan_implILNS1_25lookback_scan_determinismE0ELb0ELb0ES3_N6thrust23THRUST_200600_302600_NS6detail15normal_iteratorINS9_10device_ptrIxEEEESE_x9plus_mod3IxExEEDaPvRmT3_T4_T5_mT6_P12ihipStream_tbENKUlT_T0_E_clISt17integral_constantIbLb0EESU_EEDaSP_SQ_EUlSP_E0_NS1_11comp_targetILNS1_3genE3ELNS1_11target_archE908ELNS1_3gpuE7ELNS1_3repE0EEENS1_30default_config_static_selectorELNS0_4arch9wavefront6targetE1EEEvT1_
	.globl	_ZN7rocprim17ROCPRIM_400000_NS6detail17trampoline_kernelINS0_14default_configENS1_20scan_config_selectorIxEEZZNS1_9scan_implILNS1_25lookback_scan_determinismE0ELb0ELb0ES3_N6thrust23THRUST_200600_302600_NS6detail15normal_iteratorINS9_10device_ptrIxEEEESE_x9plus_mod3IxExEEDaPvRmT3_T4_T5_mT6_P12ihipStream_tbENKUlT_T0_E_clISt17integral_constantIbLb0EESU_EEDaSP_SQ_EUlSP_E0_NS1_11comp_targetILNS1_3genE3ELNS1_11target_archE908ELNS1_3gpuE7ELNS1_3repE0EEENS1_30default_config_static_selectorELNS0_4arch9wavefront6targetE1EEEvT1_
	.p2align	8
	.type	_ZN7rocprim17ROCPRIM_400000_NS6detail17trampoline_kernelINS0_14default_configENS1_20scan_config_selectorIxEEZZNS1_9scan_implILNS1_25lookback_scan_determinismE0ELb0ELb0ES3_N6thrust23THRUST_200600_302600_NS6detail15normal_iteratorINS9_10device_ptrIxEEEESE_x9plus_mod3IxExEEDaPvRmT3_T4_T5_mT6_P12ihipStream_tbENKUlT_T0_E_clISt17integral_constantIbLb0EESU_EEDaSP_SQ_EUlSP_E0_NS1_11comp_targetILNS1_3genE3ELNS1_11target_archE908ELNS1_3gpuE7ELNS1_3repE0EEENS1_30default_config_static_selectorELNS0_4arch9wavefront6targetE1EEEvT1_,@function
_ZN7rocprim17ROCPRIM_400000_NS6detail17trampoline_kernelINS0_14default_configENS1_20scan_config_selectorIxEEZZNS1_9scan_implILNS1_25lookback_scan_determinismE0ELb0ELb0ES3_N6thrust23THRUST_200600_302600_NS6detail15normal_iteratorINS9_10device_ptrIxEEEESE_x9plus_mod3IxExEEDaPvRmT3_T4_T5_mT6_P12ihipStream_tbENKUlT_T0_E_clISt17integral_constantIbLb0EESU_EEDaSP_SQ_EUlSP_E0_NS1_11comp_targetILNS1_3genE3ELNS1_11target_archE908ELNS1_3gpuE7ELNS1_3repE0EEENS1_30default_config_static_selectorELNS0_4arch9wavefront6targetE1EEEvT1_: ; @_ZN7rocprim17ROCPRIM_400000_NS6detail17trampoline_kernelINS0_14default_configENS1_20scan_config_selectorIxEEZZNS1_9scan_implILNS1_25lookback_scan_determinismE0ELb0ELb0ES3_N6thrust23THRUST_200600_302600_NS6detail15normal_iteratorINS9_10device_ptrIxEEEESE_x9plus_mod3IxExEEDaPvRmT3_T4_T5_mT6_P12ihipStream_tbENKUlT_T0_E_clISt17integral_constantIbLb0EESU_EEDaSP_SQ_EUlSP_E0_NS1_11comp_targetILNS1_3genE3ELNS1_11target_archE908ELNS1_3gpuE7ELNS1_3repE0EEENS1_30default_config_static_selectorELNS0_4arch9wavefront6targetE1EEEvT1_
; %bb.0:
	.section	.rodata,"a",@progbits
	.p2align	6, 0x0
	.amdhsa_kernel _ZN7rocprim17ROCPRIM_400000_NS6detail17trampoline_kernelINS0_14default_configENS1_20scan_config_selectorIxEEZZNS1_9scan_implILNS1_25lookback_scan_determinismE0ELb0ELb0ES3_N6thrust23THRUST_200600_302600_NS6detail15normal_iteratorINS9_10device_ptrIxEEEESE_x9plus_mod3IxExEEDaPvRmT3_T4_T5_mT6_P12ihipStream_tbENKUlT_T0_E_clISt17integral_constantIbLb0EESU_EEDaSP_SQ_EUlSP_E0_NS1_11comp_targetILNS1_3genE3ELNS1_11target_archE908ELNS1_3gpuE7ELNS1_3repE0EEENS1_30default_config_static_selectorELNS0_4arch9wavefront6targetE1EEEvT1_
		.amdhsa_group_segment_fixed_size 0
		.amdhsa_private_segment_fixed_size 0
		.amdhsa_kernarg_size 40
		.amdhsa_user_sgpr_count 6
		.amdhsa_user_sgpr_private_segment_buffer 1
		.amdhsa_user_sgpr_dispatch_ptr 0
		.amdhsa_user_sgpr_queue_ptr 0
		.amdhsa_user_sgpr_kernarg_segment_ptr 1
		.amdhsa_user_sgpr_dispatch_id 0
		.amdhsa_user_sgpr_flat_scratch_init 0
		.amdhsa_user_sgpr_kernarg_preload_length 0
		.amdhsa_user_sgpr_kernarg_preload_offset 0
		.amdhsa_user_sgpr_private_segment_size 0
		.amdhsa_uses_dynamic_stack 0
		.amdhsa_system_sgpr_private_segment_wavefront_offset 0
		.amdhsa_system_sgpr_workgroup_id_x 1
		.amdhsa_system_sgpr_workgroup_id_y 0
		.amdhsa_system_sgpr_workgroup_id_z 0
		.amdhsa_system_sgpr_workgroup_info 0
		.amdhsa_system_vgpr_workitem_id 0
		.amdhsa_next_free_vgpr 1
		.amdhsa_next_free_sgpr 0
		.amdhsa_accum_offset 4
		.amdhsa_reserve_vcc 0
		.amdhsa_reserve_flat_scratch 0
		.amdhsa_float_round_mode_32 0
		.amdhsa_float_round_mode_16_64 0
		.amdhsa_float_denorm_mode_32 3
		.amdhsa_float_denorm_mode_16_64 3
		.amdhsa_dx10_clamp 1
		.amdhsa_ieee_mode 1
		.amdhsa_fp16_overflow 0
		.amdhsa_tg_split 0
		.amdhsa_exception_fp_ieee_invalid_op 0
		.amdhsa_exception_fp_denorm_src 0
		.amdhsa_exception_fp_ieee_div_zero 0
		.amdhsa_exception_fp_ieee_overflow 0
		.amdhsa_exception_fp_ieee_underflow 0
		.amdhsa_exception_fp_ieee_inexact 0
		.amdhsa_exception_int_div_zero 0
	.end_amdhsa_kernel
	.section	.text._ZN7rocprim17ROCPRIM_400000_NS6detail17trampoline_kernelINS0_14default_configENS1_20scan_config_selectorIxEEZZNS1_9scan_implILNS1_25lookback_scan_determinismE0ELb0ELb0ES3_N6thrust23THRUST_200600_302600_NS6detail15normal_iteratorINS9_10device_ptrIxEEEESE_x9plus_mod3IxExEEDaPvRmT3_T4_T5_mT6_P12ihipStream_tbENKUlT_T0_E_clISt17integral_constantIbLb0EESU_EEDaSP_SQ_EUlSP_E0_NS1_11comp_targetILNS1_3genE3ELNS1_11target_archE908ELNS1_3gpuE7ELNS1_3repE0EEENS1_30default_config_static_selectorELNS0_4arch9wavefront6targetE1EEEvT1_,"axG",@progbits,_ZN7rocprim17ROCPRIM_400000_NS6detail17trampoline_kernelINS0_14default_configENS1_20scan_config_selectorIxEEZZNS1_9scan_implILNS1_25lookback_scan_determinismE0ELb0ELb0ES3_N6thrust23THRUST_200600_302600_NS6detail15normal_iteratorINS9_10device_ptrIxEEEESE_x9plus_mod3IxExEEDaPvRmT3_T4_T5_mT6_P12ihipStream_tbENKUlT_T0_E_clISt17integral_constantIbLb0EESU_EEDaSP_SQ_EUlSP_E0_NS1_11comp_targetILNS1_3genE3ELNS1_11target_archE908ELNS1_3gpuE7ELNS1_3repE0EEENS1_30default_config_static_selectorELNS0_4arch9wavefront6targetE1EEEvT1_,comdat
.Lfunc_end6546:
	.size	_ZN7rocprim17ROCPRIM_400000_NS6detail17trampoline_kernelINS0_14default_configENS1_20scan_config_selectorIxEEZZNS1_9scan_implILNS1_25lookback_scan_determinismE0ELb0ELb0ES3_N6thrust23THRUST_200600_302600_NS6detail15normal_iteratorINS9_10device_ptrIxEEEESE_x9plus_mod3IxExEEDaPvRmT3_T4_T5_mT6_P12ihipStream_tbENKUlT_T0_E_clISt17integral_constantIbLb0EESU_EEDaSP_SQ_EUlSP_E0_NS1_11comp_targetILNS1_3genE3ELNS1_11target_archE908ELNS1_3gpuE7ELNS1_3repE0EEENS1_30default_config_static_selectorELNS0_4arch9wavefront6targetE1EEEvT1_, .Lfunc_end6546-_ZN7rocprim17ROCPRIM_400000_NS6detail17trampoline_kernelINS0_14default_configENS1_20scan_config_selectorIxEEZZNS1_9scan_implILNS1_25lookback_scan_determinismE0ELb0ELb0ES3_N6thrust23THRUST_200600_302600_NS6detail15normal_iteratorINS9_10device_ptrIxEEEESE_x9plus_mod3IxExEEDaPvRmT3_T4_T5_mT6_P12ihipStream_tbENKUlT_T0_E_clISt17integral_constantIbLb0EESU_EEDaSP_SQ_EUlSP_E0_NS1_11comp_targetILNS1_3genE3ELNS1_11target_archE908ELNS1_3gpuE7ELNS1_3repE0EEENS1_30default_config_static_selectorELNS0_4arch9wavefront6targetE1EEEvT1_
                                        ; -- End function
	.section	.AMDGPU.csdata,"",@progbits
; Kernel info:
; codeLenInByte = 0
; NumSgprs: 4
; NumVgprs: 0
; NumAgprs: 0
; TotalNumVgprs: 0
; ScratchSize: 0
; MemoryBound: 0
; FloatMode: 240
; IeeeMode: 1
; LDSByteSize: 0 bytes/workgroup (compile time only)
; SGPRBlocks: 0
; VGPRBlocks: 0
; NumSGPRsForWavesPerEU: 4
; NumVGPRsForWavesPerEU: 1
; AccumOffset: 4
; Occupancy: 8
; WaveLimiterHint : 0
; COMPUTE_PGM_RSRC2:SCRATCH_EN: 0
; COMPUTE_PGM_RSRC2:USER_SGPR: 6
; COMPUTE_PGM_RSRC2:TRAP_HANDLER: 0
; COMPUTE_PGM_RSRC2:TGID_X_EN: 1
; COMPUTE_PGM_RSRC2:TGID_Y_EN: 0
; COMPUTE_PGM_RSRC2:TGID_Z_EN: 0
; COMPUTE_PGM_RSRC2:TIDIG_COMP_CNT: 0
; COMPUTE_PGM_RSRC3_GFX90A:ACCUM_OFFSET: 0
; COMPUTE_PGM_RSRC3_GFX90A:TG_SPLIT: 0
	.section	.text._ZN7rocprim17ROCPRIM_400000_NS6detail17trampoline_kernelINS0_14default_configENS1_20scan_config_selectorIxEEZZNS1_9scan_implILNS1_25lookback_scan_determinismE0ELb0ELb0ES3_N6thrust23THRUST_200600_302600_NS6detail15normal_iteratorINS9_10device_ptrIxEEEESE_x9plus_mod3IxExEEDaPvRmT3_T4_T5_mT6_P12ihipStream_tbENKUlT_T0_E_clISt17integral_constantIbLb0EESU_EEDaSP_SQ_EUlSP_E0_NS1_11comp_targetILNS1_3genE2ELNS1_11target_archE906ELNS1_3gpuE6ELNS1_3repE0EEENS1_30default_config_static_selectorELNS0_4arch9wavefront6targetE1EEEvT1_,"axG",@progbits,_ZN7rocprim17ROCPRIM_400000_NS6detail17trampoline_kernelINS0_14default_configENS1_20scan_config_selectorIxEEZZNS1_9scan_implILNS1_25lookback_scan_determinismE0ELb0ELb0ES3_N6thrust23THRUST_200600_302600_NS6detail15normal_iteratorINS9_10device_ptrIxEEEESE_x9plus_mod3IxExEEDaPvRmT3_T4_T5_mT6_P12ihipStream_tbENKUlT_T0_E_clISt17integral_constantIbLb0EESU_EEDaSP_SQ_EUlSP_E0_NS1_11comp_targetILNS1_3genE2ELNS1_11target_archE906ELNS1_3gpuE6ELNS1_3repE0EEENS1_30default_config_static_selectorELNS0_4arch9wavefront6targetE1EEEvT1_,comdat
	.protected	_ZN7rocprim17ROCPRIM_400000_NS6detail17trampoline_kernelINS0_14default_configENS1_20scan_config_selectorIxEEZZNS1_9scan_implILNS1_25lookback_scan_determinismE0ELb0ELb0ES3_N6thrust23THRUST_200600_302600_NS6detail15normal_iteratorINS9_10device_ptrIxEEEESE_x9plus_mod3IxExEEDaPvRmT3_T4_T5_mT6_P12ihipStream_tbENKUlT_T0_E_clISt17integral_constantIbLb0EESU_EEDaSP_SQ_EUlSP_E0_NS1_11comp_targetILNS1_3genE2ELNS1_11target_archE906ELNS1_3gpuE6ELNS1_3repE0EEENS1_30default_config_static_selectorELNS0_4arch9wavefront6targetE1EEEvT1_ ; -- Begin function _ZN7rocprim17ROCPRIM_400000_NS6detail17trampoline_kernelINS0_14default_configENS1_20scan_config_selectorIxEEZZNS1_9scan_implILNS1_25lookback_scan_determinismE0ELb0ELb0ES3_N6thrust23THRUST_200600_302600_NS6detail15normal_iteratorINS9_10device_ptrIxEEEESE_x9plus_mod3IxExEEDaPvRmT3_T4_T5_mT6_P12ihipStream_tbENKUlT_T0_E_clISt17integral_constantIbLb0EESU_EEDaSP_SQ_EUlSP_E0_NS1_11comp_targetILNS1_3genE2ELNS1_11target_archE906ELNS1_3gpuE6ELNS1_3repE0EEENS1_30default_config_static_selectorELNS0_4arch9wavefront6targetE1EEEvT1_
	.globl	_ZN7rocprim17ROCPRIM_400000_NS6detail17trampoline_kernelINS0_14default_configENS1_20scan_config_selectorIxEEZZNS1_9scan_implILNS1_25lookback_scan_determinismE0ELb0ELb0ES3_N6thrust23THRUST_200600_302600_NS6detail15normal_iteratorINS9_10device_ptrIxEEEESE_x9plus_mod3IxExEEDaPvRmT3_T4_T5_mT6_P12ihipStream_tbENKUlT_T0_E_clISt17integral_constantIbLb0EESU_EEDaSP_SQ_EUlSP_E0_NS1_11comp_targetILNS1_3genE2ELNS1_11target_archE906ELNS1_3gpuE6ELNS1_3repE0EEENS1_30default_config_static_selectorELNS0_4arch9wavefront6targetE1EEEvT1_
	.p2align	8
	.type	_ZN7rocprim17ROCPRIM_400000_NS6detail17trampoline_kernelINS0_14default_configENS1_20scan_config_selectorIxEEZZNS1_9scan_implILNS1_25lookback_scan_determinismE0ELb0ELb0ES3_N6thrust23THRUST_200600_302600_NS6detail15normal_iteratorINS9_10device_ptrIxEEEESE_x9plus_mod3IxExEEDaPvRmT3_T4_T5_mT6_P12ihipStream_tbENKUlT_T0_E_clISt17integral_constantIbLb0EESU_EEDaSP_SQ_EUlSP_E0_NS1_11comp_targetILNS1_3genE2ELNS1_11target_archE906ELNS1_3gpuE6ELNS1_3repE0EEENS1_30default_config_static_selectorELNS0_4arch9wavefront6targetE1EEEvT1_,@function
_ZN7rocprim17ROCPRIM_400000_NS6detail17trampoline_kernelINS0_14default_configENS1_20scan_config_selectorIxEEZZNS1_9scan_implILNS1_25lookback_scan_determinismE0ELb0ELb0ES3_N6thrust23THRUST_200600_302600_NS6detail15normal_iteratorINS9_10device_ptrIxEEEESE_x9plus_mod3IxExEEDaPvRmT3_T4_T5_mT6_P12ihipStream_tbENKUlT_T0_E_clISt17integral_constantIbLb0EESU_EEDaSP_SQ_EUlSP_E0_NS1_11comp_targetILNS1_3genE2ELNS1_11target_archE906ELNS1_3gpuE6ELNS1_3repE0EEENS1_30default_config_static_selectorELNS0_4arch9wavefront6targetE1EEEvT1_: ; @_ZN7rocprim17ROCPRIM_400000_NS6detail17trampoline_kernelINS0_14default_configENS1_20scan_config_selectorIxEEZZNS1_9scan_implILNS1_25lookback_scan_determinismE0ELb0ELb0ES3_N6thrust23THRUST_200600_302600_NS6detail15normal_iteratorINS9_10device_ptrIxEEEESE_x9plus_mod3IxExEEDaPvRmT3_T4_T5_mT6_P12ihipStream_tbENKUlT_T0_E_clISt17integral_constantIbLb0EESU_EEDaSP_SQ_EUlSP_E0_NS1_11comp_targetILNS1_3genE2ELNS1_11target_archE906ELNS1_3gpuE6ELNS1_3repE0EEENS1_30default_config_static_selectorELNS0_4arch9wavefront6targetE1EEEvT1_
; %bb.0:
	.section	.rodata,"a",@progbits
	.p2align	6, 0x0
	.amdhsa_kernel _ZN7rocprim17ROCPRIM_400000_NS6detail17trampoline_kernelINS0_14default_configENS1_20scan_config_selectorIxEEZZNS1_9scan_implILNS1_25lookback_scan_determinismE0ELb0ELb0ES3_N6thrust23THRUST_200600_302600_NS6detail15normal_iteratorINS9_10device_ptrIxEEEESE_x9plus_mod3IxExEEDaPvRmT3_T4_T5_mT6_P12ihipStream_tbENKUlT_T0_E_clISt17integral_constantIbLb0EESU_EEDaSP_SQ_EUlSP_E0_NS1_11comp_targetILNS1_3genE2ELNS1_11target_archE906ELNS1_3gpuE6ELNS1_3repE0EEENS1_30default_config_static_selectorELNS0_4arch9wavefront6targetE1EEEvT1_
		.amdhsa_group_segment_fixed_size 0
		.amdhsa_private_segment_fixed_size 0
		.amdhsa_kernarg_size 40
		.amdhsa_user_sgpr_count 6
		.amdhsa_user_sgpr_private_segment_buffer 1
		.amdhsa_user_sgpr_dispatch_ptr 0
		.amdhsa_user_sgpr_queue_ptr 0
		.amdhsa_user_sgpr_kernarg_segment_ptr 1
		.amdhsa_user_sgpr_dispatch_id 0
		.amdhsa_user_sgpr_flat_scratch_init 0
		.amdhsa_user_sgpr_kernarg_preload_length 0
		.amdhsa_user_sgpr_kernarg_preload_offset 0
		.amdhsa_user_sgpr_private_segment_size 0
		.amdhsa_uses_dynamic_stack 0
		.amdhsa_system_sgpr_private_segment_wavefront_offset 0
		.amdhsa_system_sgpr_workgroup_id_x 1
		.amdhsa_system_sgpr_workgroup_id_y 0
		.amdhsa_system_sgpr_workgroup_id_z 0
		.amdhsa_system_sgpr_workgroup_info 0
		.amdhsa_system_vgpr_workitem_id 0
		.amdhsa_next_free_vgpr 1
		.amdhsa_next_free_sgpr 0
		.amdhsa_accum_offset 4
		.amdhsa_reserve_vcc 0
		.amdhsa_reserve_flat_scratch 0
		.amdhsa_float_round_mode_32 0
		.amdhsa_float_round_mode_16_64 0
		.amdhsa_float_denorm_mode_32 3
		.amdhsa_float_denorm_mode_16_64 3
		.amdhsa_dx10_clamp 1
		.amdhsa_ieee_mode 1
		.amdhsa_fp16_overflow 0
		.amdhsa_tg_split 0
		.amdhsa_exception_fp_ieee_invalid_op 0
		.amdhsa_exception_fp_denorm_src 0
		.amdhsa_exception_fp_ieee_div_zero 0
		.amdhsa_exception_fp_ieee_overflow 0
		.amdhsa_exception_fp_ieee_underflow 0
		.amdhsa_exception_fp_ieee_inexact 0
		.amdhsa_exception_int_div_zero 0
	.end_amdhsa_kernel
	.section	.text._ZN7rocprim17ROCPRIM_400000_NS6detail17trampoline_kernelINS0_14default_configENS1_20scan_config_selectorIxEEZZNS1_9scan_implILNS1_25lookback_scan_determinismE0ELb0ELb0ES3_N6thrust23THRUST_200600_302600_NS6detail15normal_iteratorINS9_10device_ptrIxEEEESE_x9plus_mod3IxExEEDaPvRmT3_T4_T5_mT6_P12ihipStream_tbENKUlT_T0_E_clISt17integral_constantIbLb0EESU_EEDaSP_SQ_EUlSP_E0_NS1_11comp_targetILNS1_3genE2ELNS1_11target_archE906ELNS1_3gpuE6ELNS1_3repE0EEENS1_30default_config_static_selectorELNS0_4arch9wavefront6targetE1EEEvT1_,"axG",@progbits,_ZN7rocprim17ROCPRIM_400000_NS6detail17trampoline_kernelINS0_14default_configENS1_20scan_config_selectorIxEEZZNS1_9scan_implILNS1_25lookback_scan_determinismE0ELb0ELb0ES3_N6thrust23THRUST_200600_302600_NS6detail15normal_iteratorINS9_10device_ptrIxEEEESE_x9plus_mod3IxExEEDaPvRmT3_T4_T5_mT6_P12ihipStream_tbENKUlT_T0_E_clISt17integral_constantIbLb0EESU_EEDaSP_SQ_EUlSP_E0_NS1_11comp_targetILNS1_3genE2ELNS1_11target_archE906ELNS1_3gpuE6ELNS1_3repE0EEENS1_30default_config_static_selectorELNS0_4arch9wavefront6targetE1EEEvT1_,comdat
.Lfunc_end6547:
	.size	_ZN7rocprim17ROCPRIM_400000_NS6detail17trampoline_kernelINS0_14default_configENS1_20scan_config_selectorIxEEZZNS1_9scan_implILNS1_25lookback_scan_determinismE0ELb0ELb0ES3_N6thrust23THRUST_200600_302600_NS6detail15normal_iteratorINS9_10device_ptrIxEEEESE_x9plus_mod3IxExEEDaPvRmT3_T4_T5_mT6_P12ihipStream_tbENKUlT_T0_E_clISt17integral_constantIbLb0EESU_EEDaSP_SQ_EUlSP_E0_NS1_11comp_targetILNS1_3genE2ELNS1_11target_archE906ELNS1_3gpuE6ELNS1_3repE0EEENS1_30default_config_static_selectorELNS0_4arch9wavefront6targetE1EEEvT1_, .Lfunc_end6547-_ZN7rocprim17ROCPRIM_400000_NS6detail17trampoline_kernelINS0_14default_configENS1_20scan_config_selectorIxEEZZNS1_9scan_implILNS1_25lookback_scan_determinismE0ELb0ELb0ES3_N6thrust23THRUST_200600_302600_NS6detail15normal_iteratorINS9_10device_ptrIxEEEESE_x9plus_mod3IxExEEDaPvRmT3_T4_T5_mT6_P12ihipStream_tbENKUlT_T0_E_clISt17integral_constantIbLb0EESU_EEDaSP_SQ_EUlSP_E0_NS1_11comp_targetILNS1_3genE2ELNS1_11target_archE906ELNS1_3gpuE6ELNS1_3repE0EEENS1_30default_config_static_selectorELNS0_4arch9wavefront6targetE1EEEvT1_
                                        ; -- End function
	.section	.AMDGPU.csdata,"",@progbits
; Kernel info:
; codeLenInByte = 0
; NumSgprs: 4
; NumVgprs: 0
; NumAgprs: 0
; TotalNumVgprs: 0
; ScratchSize: 0
; MemoryBound: 0
; FloatMode: 240
; IeeeMode: 1
; LDSByteSize: 0 bytes/workgroup (compile time only)
; SGPRBlocks: 0
; VGPRBlocks: 0
; NumSGPRsForWavesPerEU: 4
; NumVGPRsForWavesPerEU: 1
; AccumOffset: 4
; Occupancy: 8
; WaveLimiterHint : 0
; COMPUTE_PGM_RSRC2:SCRATCH_EN: 0
; COMPUTE_PGM_RSRC2:USER_SGPR: 6
; COMPUTE_PGM_RSRC2:TRAP_HANDLER: 0
; COMPUTE_PGM_RSRC2:TGID_X_EN: 1
; COMPUTE_PGM_RSRC2:TGID_Y_EN: 0
; COMPUTE_PGM_RSRC2:TGID_Z_EN: 0
; COMPUTE_PGM_RSRC2:TIDIG_COMP_CNT: 0
; COMPUTE_PGM_RSRC3_GFX90A:ACCUM_OFFSET: 0
; COMPUTE_PGM_RSRC3_GFX90A:TG_SPLIT: 0
	.section	.text._ZN7rocprim17ROCPRIM_400000_NS6detail17trampoline_kernelINS0_14default_configENS1_20scan_config_selectorIxEEZZNS1_9scan_implILNS1_25lookback_scan_determinismE0ELb0ELb0ES3_N6thrust23THRUST_200600_302600_NS6detail15normal_iteratorINS9_10device_ptrIxEEEESE_x9plus_mod3IxExEEDaPvRmT3_T4_T5_mT6_P12ihipStream_tbENKUlT_T0_E_clISt17integral_constantIbLb0EESU_EEDaSP_SQ_EUlSP_E0_NS1_11comp_targetILNS1_3genE10ELNS1_11target_archE1201ELNS1_3gpuE5ELNS1_3repE0EEENS1_30default_config_static_selectorELNS0_4arch9wavefront6targetE1EEEvT1_,"axG",@progbits,_ZN7rocprim17ROCPRIM_400000_NS6detail17trampoline_kernelINS0_14default_configENS1_20scan_config_selectorIxEEZZNS1_9scan_implILNS1_25lookback_scan_determinismE0ELb0ELb0ES3_N6thrust23THRUST_200600_302600_NS6detail15normal_iteratorINS9_10device_ptrIxEEEESE_x9plus_mod3IxExEEDaPvRmT3_T4_T5_mT6_P12ihipStream_tbENKUlT_T0_E_clISt17integral_constantIbLb0EESU_EEDaSP_SQ_EUlSP_E0_NS1_11comp_targetILNS1_3genE10ELNS1_11target_archE1201ELNS1_3gpuE5ELNS1_3repE0EEENS1_30default_config_static_selectorELNS0_4arch9wavefront6targetE1EEEvT1_,comdat
	.protected	_ZN7rocprim17ROCPRIM_400000_NS6detail17trampoline_kernelINS0_14default_configENS1_20scan_config_selectorIxEEZZNS1_9scan_implILNS1_25lookback_scan_determinismE0ELb0ELb0ES3_N6thrust23THRUST_200600_302600_NS6detail15normal_iteratorINS9_10device_ptrIxEEEESE_x9plus_mod3IxExEEDaPvRmT3_T4_T5_mT6_P12ihipStream_tbENKUlT_T0_E_clISt17integral_constantIbLb0EESU_EEDaSP_SQ_EUlSP_E0_NS1_11comp_targetILNS1_3genE10ELNS1_11target_archE1201ELNS1_3gpuE5ELNS1_3repE0EEENS1_30default_config_static_selectorELNS0_4arch9wavefront6targetE1EEEvT1_ ; -- Begin function _ZN7rocprim17ROCPRIM_400000_NS6detail17trampoline_kernelINS0_14default_configENS1_20scan_config_selectorIxEEZZNS1_9scan_implILNS1_25lookback_scan_determinismE0ELb0ELb0ES3_N6thrust23THRUST_200600_302600_NS6detail15normal_iteratorINS9_10device_ptrIxEEEESE_x9plus_mod3IxExEEDaPvRmT3_T4_T5_mT6_P12ihipStream_tbENKUlT_T0_E_clISt17integral_constantIbLb0EESU_EEDaSP_SQ_EUlSP_E0_NS1_11comp_targetILNS1_3genE10ELNS1_11target_archE1201ELNS1_3gpuE5ELNS1_3repE0EEENS1_30default_config_static_selectorELNS0_4arch9wavefront6targetE1EEEvT1_
	.globl	_ZN7rocprim17ROCPRIM_400000_NS6detail17trampoline_kernelINS0_14default_configENS1_20scan_config_selectorIxEEZZNS1_9scan_implILNS1_25lookback_scan_determinismE0ELb0ELb0ES3_N6thrust23THRUST_200600_302600_NS6detail15normal_iteratorINS9_10device_ptrIxEEEESE_x9plus_mod3IxExEEDaPvRmT3_T4_T5_mT6_P12ihipStream_tbENKUlT_T0_E_clISt17integral_constantIbLb0EESU_EEDaSP_SQ_EUlSP_E0_NS1_11comp_targetILNS1_3genE10ELNS1_11target_archE1201ELNS1_3gpuE5ELNS1_3repE0EEENS1_30default_config_static_selectorELNS0_4arch9wavefront6targetE1EEEvT1_
	.p2align	8
	.type	_ZN7rocprim17ROCPRIM_400000_NS6detail17trampoline_kernelINS0_14default_configENS1_20scan_config_selectorIxEEZZNS1_9scan_implILNS1_25lookback_scan_determinismE0ELb0ELb0ES3_N6thrust23THRUST_200600_302600_NS6detail15normal_iteratorINS9_10device_ptrIxEEEESE_x9plus_mod3IxExEEDaPvRmT3_T4_T5_mT6_P12ihipStream_tbENKUlT_T0_E_clISt17integral_constantIbLb0EESU_EEDaSP_SQ_EUlSP_E0_NS1_11comp_targetILNS1_3genE10ELNS1_11target_archE1201ELNS1_3gpuE5ELNS1_3repE0EEENS1_30default_config_static_selectorELNS0_4arch9wavefront6targetE1EEEvT1_,@function
_ZN7rocprim17ROCPRIM_400000_NS6detail17trampoline_kernelINS0_14default_configENS1_20scan_config_selectorIxEEZZNS1_9scan_implILNS1_25lookback_scan_determinismE0ELb0ELb0ES3_N6thrust23THRUST_200600_302600_NS6detail15normal_iteratorINS9_10device_ptrIxEEEESE_x9plus_mod3IxExEEDaPvRmT3_T4_T5_mT6_P12ihipStream_tbENKUlT_T0_E_clISt17integral_constantIbLb0EESU_EEDaSP_SQ_EUlSP_E0_NS1_11comp_targetILNS1_3genE10ELNS1_11target_archE1201ELNS1_3gpuE5ELNS1_3repE0EEENS1_30default_config_static_selectorELNS0_4arch9wavefront6targetE1EEEvT1_: ; @_ZN7rocprim17ROCPRIM_400000_NS6detail17trampoline_kernelINS0_14default_configENS1_20scan_config_selectorIxEEZZNS1_9scan_implILNS1_25lookback_scan_determinismE0ELb0ELb0ES3_N6thrust23THRUST_200600_302600_NS6detail15normal_iteratorINS9_10device_ptrIxEEEESE_x9plus_mod3IxExEEDaPvRmT3_T4_T5_mT6_P12ihipStream_tbENKUlT_T0_E_clISt17integral_constantIbLb0EESU_EEDaSP_SQ_EUlSP_E0_NS1_11comp_targetILNS1_3genE10ELNS1_11target_archE1201ELNS1_3gpuE5ELNS1_3repE0EEENS1_30default_config_static_selectorELNS0_4arch9wavefront6targetE1EEEvT1_
; %bb.0:
	.section	.rodata,"a",@progbits
	.p2align	6, 0x0
	.amdhsa_kernel _ZN7rocprim17ROCPRIM_400000_NS6detail17trampoline_kernelINS0_14default_configENS1_20scan_config_selectorIxEEZZNS1_9scan_implILNS1_25lookback_scan_determinismE0ELb0ELb0ES3_N6thrust23THRUST_200600_302600_NS6detail15normal_iteratorINS9_10device_ptrIxEEEESE_x9plus_mod3IxExEEDaPvRmT3_T4_T5_mT6_P12ihipStream_tbENKUlT_T0_E_clISt17integral_constantIbLb0EESU_EEDaSP_SQ_EUlSP_E0_NS1_11comp_targetILNS1_3genE10ELNS1_11target_archE1201ELNS1_3gpuE5ELNS1_3repE0EEENS1_30default_config_static_selectorELNS0_4arch9wavefront6targetE1EEEvT1_
		.amdhsa_group_segment_fixed_size 0
		.amdhsa_private_segment_fixed_size 0
		.amdhsa_kernarg_size 40
		.amdhsa_user_sgpr_count 6
		.amdhsa_user_sgpr_private_segment_buffer 1
		.amdhsa_user_sgpr_dispatch_ptr 0
		.amdhsa_user_sgpr_queue_ptr 0
		.amdhsa_user_sgpr_kernarg_segment_ptr 1
		.amdhsa_user_sgpr_dispatch_id 0
		.amdhsa_user_sgpr_flat_scratch_init 0
		.amdhsa_user_sgpr_kernarg_preload_length 0
		.amdhsa_user_sgpr_kernarg_preload_offset 0
		.amdhsa_user_sgpr_private_segment_size 0
		.amdhsa_uses_dynamic_stack 0
		.amdhsa_system_sgpr_private_segment_wavefront_offset 0
		.amdhsa_system_sgpr_workgroup_id_x 1
		.amdhsa_system_sgpr_workgroup_id_y 0
		.amdhsa_system_sgpr_workgroup_id_z 0
		.amdhsa_system_sgpr_workgroup_info 0
		.amdhsa_system_vgpr_workitem_id 0
		.amdhsa_next_free_vgpr 1
		.amdhsa_next_free_sgpr 0
		.amdhsa_accum_offset 4
		.amdhsa_reserve_vcc 0
		.amdhsa_reserve_flat_scratch 0
		.amdhsa_float_round_mode_32 0
		.amdhsa_float_round_mode_16_64 0
		.amdhsa_float_denorm_mode_32 3
		.amdhsa_float_denorm_mode_16_64 3
		.amdhsa_dx10_clamp 1
		.amdhsa_ieee_mode 1
		.amdhsa_fp16_overflow 0
		.amdhsa_tg_split 0
		.amdhsa_exception_fp_ieee_invalid_op 0
		.amdhsa_exception_fp_denorm_src 0
		.amdhsa_exception_fp_ieee_div_zero 0
		.amdhsa_exception_fp_ieee_overflow 0
		.amdhsa_exception_fp_ieee_underflow 0
		.amdhsa_exception_fp_ieee_inexact 0
		.amdhsa_exception_int_div_zero 0
	.end_amdhsa_kernel
	.section	.text._ZN7rocprim17ROCPRIM_400000_NS6detail17trampoline_kernelINS0_14default_configENS1_20scan_config_selectorIxEEZZNS1_9scan_implILNS1_25lookback_scan_determinismE0ELb0ELb0ES3_N6thrust23THRUST_200600_302600_NS6detail15normal_iteratorINS9_10device_ptrIxEEEESE_x9plus_mod3IxExEEDaPvRmT3_T4_T5_mT6_P12ihipStream_tbENKUlT_T0_E_clISt17integral_constantIbLb0EESU_EEDaSP_SQ_EUlSP_E0_NS1_11comp_targetILNS1_3genE10ELNS1_11target_archE1201ELNS1_3gpuE5ELNS1_3repE0EEENS1_30default_config_static_selectorELNS0_4arch9wavefront6targetE1EEEvT1_,"axG",@progbits,_ZN7rocprim17ROCPRIM_400000_NS6detail17trampoline_kernelINS0_14default_configENS1_20scan_config_selectorIxEEZZNS1_9scan_implILNS1_25lookback_scan_determinismE0ELb0ELb0ES3_N6thrust23THRUST_200600_302600_NS6detail15normal_iteratorINS9_10device_ptrIxEEEESE_x9plus_mod3IxExEEDaPvRmT3_T4_T5_mT6_P12ihipStream_tbENKUlT_T0_E_clISt17integral_constantIbLb0EESU_EEDaSP_SQ_EUlSP_E0_NS1_11comp_targetILNS1_3genE10ELNS1_11target_archE1201ELNS1_3gpuE5ELNS1_3repE0EEENS1_30default_config_static_selectorELNS0_4arch9wavefront6targetE1EEEvT1_,comdat
.Lfunc_end6548:
	.size	_ZN7rocprim17ROCPRIM_400000_NS6detail17trampoline_kernelINS0_14default_configENS1_20scan_config_selectorIxEEZZNS1_9scan_implILNS1_25lookback_scan_determinismE0ELb0ELb0ES3_N6thrust23THRUST_200600_302600_NS6detail15normal_iteratorINS9_10device_ptrIxEEEESE_x9plus_mod3IxExEEDaPvRmT3_T4_T5_mT6_P12ihipStream_tbENKUlT_T0_E_clISt17integral_constantIbLb0EESU_EEDaSP_SQ_EUlSP_E0_NS1_11comp_targetILNS1_3genE10ELNS1_11target_archE1201ELNS1_3gpuE5ELNS1_3repE0EEENS1_30default_config_static_selectorELNS0_4arch9wavefront6targetE1EEEvT1_, .Lfunc_end6548-_ZN7rocprim17ROCPRIM_400000_NS6detail17trampoline_kernelINS0_14default_configENS1_20scan_config_selectorIxEEZZNS1_9scan_implILNS1_25lookback_scan_determinismE0ELb0ELb0ES3_N6thrust23THRUST_200600_302600_NS6detail15normal_iteratorINS9_10device_ptrIxEEEESE_x9plus_mod3IxExEEDaPvRmT3_T4_T5_mT6_P12ihipStream_tbENKUlT_T0_E_clISt17integral_constantIbLb0EESU_EEDaSP_SQ_EUlSP_E0_NS1_11comp_targetILNS1_3genE10ELNS1_11target_archE1201ELNS1_3gpuE5ELNS1_3repE0EEENS1_30default_config_static_selectorELNS0_4arch9wavefront6targetE1EEEvT1_
                                        ; -- End function
	.section	.AMDGPU.csdata,"",@progbits
; Kernel info:
; codeLenInByte = 0
; NumSgprs: 4
; NumVgprs: 0
; NumAgprs: 0
; TotalNumVgprs: 0
; ScratchSize: 0
; MemoryBound: 0
; FloatMode: 240
; IeeeMode: 1
; LDSByteSize: 0 bytes/workgroup (compile time only)
; SGPRBlocks: 0
; VGPRBlocks: 0
; NumSGPRsForWavesPerEU: 4
; NumVGPRsForWavesPerEU: 1
; AccumOffset: 4
; Occupancy: 8
; WaveLimiterHint : 0
; COMPUTE_PGM_RSRC2:SCRATCH_EN: 0
; COMPUTE_PGM_RSRC2:USER_SGPR: 6
; COMPUTE_PGM_RSRC2:TRAP_HANDLER: 0
; COMPUTE_PGM_RSRC2:TGID_X_EN: 1
; COMPUTE_PGM_RSRC2:TGID_Y_EN: 0
; COMPUTE_PGM_RSRC2:TGID_Z_EN: 0
; COMPUTE_PGM_RSRC2:TIDIG_COMP_CNT: 0
; COMPUTE_PGM_RSRC3_GFX90A:ACCUM_OFFSET: 0
; COMPUTE_PGM_RSRC3_GFX90A:TG_SPLIT: 0
	.section	.text._ZN7rocprim17ROCPRIM_400000_NS6detail17trampoline_kernelINS0_14default_configENS1_20scan_config_selectorIxEEZZNS1_9scan_implILNS1_25lookback_scan_determinismE0ELb0ELb0ES3_N6thrust23THRUST_200600_302600_NS6detail15normal_iteratorINS9_10device_ptrIxEEEESE_x9plus_mod3IxExEEDaPvRmT3_T4_T5_mT6_P12ihipStream_tbENKUlT_T0_E_clISt17integral_constantIbLb0EESU_EEDaSP_SQ_EUlSP_E0_NS1_11comp_targetILNS1_3genE10ELNS1_11target_archE1200ELNS1_3gpuE4ELNS1_3repE0EEENS1_30default_config_static_selectorELNS0_4arch9wavefront6targetE1EEEvT1_,"axG",@progbits,_ZN7rocprim17ROCPRIM_400000_NS6detail17trampoline_kernelINS0_14default_configENS1_20scan_config_selectorIxEEZZNS1_9scan_implILNS1_25lookback_scan_determinismE0ELb0ELb0ES3_N6thrust23THRUST_200600_302600_NS6detail15normal_iteratorINS9_10device_ptrIxEEEESE_x9plus_mod3IxExEEDaPvRmT3_T4_T5_mT6_P12ihipStream_tbENKUlT_T0_E_clISt17integral_constantIbLb0EESU_EEDaSP_SQ_EUlSP_E0_NS1_11comp_targetILNS1_3genE10ELNS1_11target_archE1200ELNS1_3gpuE4ELNS1_3repE0EEENS1_30default_config_static_selectorELNS0_4arch9wavefront6targetE1EEEvT1_,comdat
	.protected	_ZN7rocprim17ROCPRIM_400000_NS6detail17trampoline_kernelINS0_14default_configENS1_20scan_config_selectorIxEEZZNS1_9scan_implILNS1_25lookback_scan_determinismE0ELb0ELb0ES3_N6thrust23THRUST_200600_302600_NS6detail15normal_iteratorINS9_10device_ptrIxEEEESE_x9plus_mod3IxExEEDaPvRmT3_T4_T5_mT6_P12ihipStream_tbENKUlT_T0_E_clISt17integral_constantIbLb0EESU_EEDaSP_SQ_EUlSP_E0_NS1_11comp_targetILNS1_3genE10ELNS1_11target_archE1200ELNS1_3gpuE4ELNS1_3repE0EEENS1_30default_config_static_selectorELNS0_4arch9wavefront6targetE1EEEvT1_ ; -- Begin function _ZN7rocprim17ROCPRIM_400000_NS6detail17trampoline_kernelINS0_14default_configENS1_20scan_config_selectorIxEEZZNS1_9scan_implILNS1_25lookback_scan_determinismE0ELb0ELb0ES3_N6thrust23THRUST_200600_302600_NS6detail15normal_iteratorINS9_10device_ptrIxEEEESE_x9plus_mod3IxExEEDaPvRmT3_T4_T5_mT6_P12ihipStream_tbENKUlT_T0_E_clISt17integral_constantIbLb0EESU_EEDaSP_SQ_EUlSP_E0_NS1_11comp_targetILNS1_3genE10ELNS1_11target_archE1200ELNS1_3gpuE4ELNS1_3repE0EEENS1_30default_config_static_selectorELNS0_4arch9wavefront6targetE1EEEvT1_
	.globl	_ZN7rocprim17ROCPRIM_400000_NS6detail17trampoline_kernelINS0_14default_configENS1_20scan_config_selectorIxEEZZNS1_9scan_implILNS1_25lookback_scan_determinismE0ELb0ELb0ES3_N6thrust23THRUST_200600_302600_NS6detail15normal_iteratorINS9_10device_ptrIxEEEESE_x9plus_mod3IxExEEDaPvRmT3_T4_T5_mT6_P12ihipStream_tbENKUlT_T0_E_clISt17integral_constantIbLb0EESU_EEDaSP_SQ_EUlSP_E0_NS1_11comp_targetILNS1_3genE10ELNS1_11target_archE1200ELNS1_3gpuE4ELNS1_3repE0EEENS1_30default_config_static_selectorELNS0_4arch9wavefront6targetE1EEEvT1_
	.p2align	8
	.type	_ZN7rocprim17ROCPRIM_400000_NS6detail17trampoline_kernelINS0_14default_configENS1_20scan_config_selectorIxEEZZNS1_9scan_implILNS1_25lookback_scan_determinismE0ELb0ELb0ES3_N6thrust23THRUST_200600_302600_NS6detail15normal_iteratorINS9_10device_ptrIxEEEESE_x9plus_mod3IxExEEDaPvRmT3_T4_T5_mT6_P12ihipStream_tbENKUlT_T0_E_clISt17integral_constantIbLb0EESU_EEDaSP_SQ_EUlSP_E0_NS1_11comp_targetILNS1_3genE10ELNS1_11target_archE1200ELNS1_3gpuE4ELNS1_3repE0EEENS1_30default_config_static_selectorELNS0_4arch9wavefront6targetE1EEEvT1_,@function
_ZN7rocprim17ROCPRIM_400000_NS6detail17trampoline_kernelINS0_14default_configENS1_20scan_config_selectorIxEEZZNS1_9scan_implILNS1_25lookback_scan_determinismE0ELb0ELb0ES3_N6thrust23THRUST_200600_302600_NS6detail15normal_iteratorINS9_10device_ptrIxEEEESE_x9plus_mod3IxExEEDaPvRmT3_T4_T5_mT6_P12ihipStream_tbENKUlT_T0_E_clISt17integral_constantIbLb0EESU_EEDaSP_SQ_EUlSP_E0_NS1_11comp_targetILNS1_3genE10ELNS1_11target_archE1200ELNS1_3gpuE4ELNS1_3repE0EEENS1_30default_config_static_selectorELNS0_4arch9wavefront6targetE1EEEvT1_: ; @_ZN7rocprim17ROCPRIM_400000_NS6detail17trampoline_kernelINS0_14default_configENS1_20scan_config_selectorIxEEZZNS1_9scan_implILNS1_25lookback_scan_determinismE0ELb0ELb0ES3_N6thrust23THRUST_200600_302600_NS6detail15normal_iteratorINS9_10device_ptrIxEEEESE_x9plus_mod3IxExEEDaPvRmT3_T4_T5_mT6_P12ihipStream_tbENKUlT_T0_E_clISt17integral_constantIbLb0EESU_EEDaSP_SQ_EUlSP_E0_NS1_11comp_targetILNS1_3genE10ELNS1_11target_archE1200ELNS1_3gpuE4ELNS1_3repE0EEENS1_30default_config_static_selectorELNS0_4arch9wavefront6targetE1EEEvT1_
; %bb.0:
	.section	.rodata,"a",@progbits
	.p2align	6, 0x0
	.amdhsa_kernel _ZN7rocprim17ROCPRIM_400000_NS6detail17trampoline_kernelINS0_14default_configENS1_20scan_config_selectorIxEEZZNS1_9scan_implILNS1_25lookback_scan_determinismE0ELb0ELb0ES3_N6thrust23THRUST_200600_302600_NS6detail15normal_iteratorINS9_10device_ptrIxEEEESE_x9plus_mod3IxExEEDaPvRmT3_T4_T5_mT6_P12ihipStream_tbENKUlT_T0_E_clISt17integral_constantIbLb0EESU_EEDaSP_SQ_EUlSP_E0_NS1_11comp_targetILNS1_3genE10ELNS1_11target_archE1200ELNS1_3gpuE4ELNS1_3repE0EEENS1_30default_config_static_selectorELNS0_4arch9wavefront6targetE1EEEvT1_
		.amdhsa_group_segment_fixed_size 0
		.amdhsa_private_segment_fixed_size 0
		.amdhsa_kernarg_size 40
		.amdhsa_user_sgpr_count 6
		.amdhsa_user_sgpr_private_segment_buffer 1
		.amdhsa_user_sgpr_dispatch_ptr 0
		.amdhsa_user_sgpr_queue_ptr 0
		.amdhsa_user_sgpr_kernarg_segment_ptr 1
		.amdhsa_user_sgpr_dispatch_id 0
		.amdhsa_user_sgpr_flat_scratch_init 0
		.amdhsa_user_sgpr_kernarg_preload_length 0
		.amdhsa_user_sgpr_kernarg_preload_offset 0
		.amdhsa_user_sgpr_private_segment_size 0
		.amdhsa_uses_dynamic_stack 0
		.amdhsa_system_sgpr_private_segment_wavefront_offset 0
		.amdhsa_system_sgpr_workgroup_id_x 1
		.amdhsa_system_sgpr_workgroup_id_y 0
		.amdhsa_system_sgpr_workgroup_id_z 0
		.amdhsa_system_sgpr_workgroup_info 0
		.amdhsa_system_vgpr_workitem_id 0
		.amdhsa_next_free_vgpr 1
		.amdhsa_next_free_sgpr 0
		.amdhsa_accum_offset 4
		.amdhsa_reserve_vcc 0
		.amdhsa_reserve_flat_scratch 0
		.amdhsa_float_round_mode_32 0
		.amdhsa_float_round_mode_16_64 0
		.amdhsa_float_denorm_mode_32 3
		.amdhsa_float_denorm_mode_16_64 3
		.amdhsa_dx10_clamp 1
		.amdhsa_ieee_mode 1
		.amdhsa_fp16_overflow 0
		.amdhsa_tg_split 0
		.amdhsa_exception_fp_ieee_invalid_op 0
		.amdhsa_exception_fp_denorm_src 0
		.amdhsa_exception_fp_ieee_div_zero 0
		.amdhsa_exception_fp_ieee_overflow 0
		.amdhsa_exception_fp_ieee_underflow 0
		.amdhsa_exception_fp_ieee_inexact 0
		.amdhsa_exception_int_div_zero 0
	.end_amdhsa_kernel
	.section	.text._ZN7rocprim17ROCPRIM_400000_NS6detail17trampoline_kernelINS0_14default_configENS1_20scan_config_selectorIxEEZZNS1_9scan_implILNS1_25lookback_scan_determinismE0ELb0ELb0ES3_N6thrust23THRUST_200600_302600_NS6detail15normal_iteratorINS9_10device_ptrIxEEEESE_x9plus_mod3IxExEEDaPvRmT3_T4_T5_mT6_P12ihipStream_tbENKUlT_T0_E_clISt17integral_constantIbLb0EESU_EEDaSP_SQ_EUlSP_E0_NS1_11comp_targetILNS1_3genE10ELNS1_11target_archE1200ELNS1_3gpuE4ELNS1_3repE0EEENS1_30default_config_static_selectorELNS0_4arch9wavefront6targetE1EEEvT1_,"axG",@progbits,_ZN7rocprim17ROCPRIM_400000_NS6detail17trampoline_kernelINS0_14default_configENS1_20scan_config_selectorIxEEZZNS1_9scan_implILNS1_25lookback_scan_determinismE0ELb0ELb0ES3_N6thrust23THRUST_200600_302600_NS6detail15normal_iteratorINS9_10device_ptrIxEEEESE_x9plus_mod3IxExEEDaPvRmT3_T4_T5_mT6_P12ihipStream_tbENKUlT_T0_E_clISt17integral_constantIbLb0EESU_EEDaSP_SQ_EUlSP_E0_NS1_11comp_targetILNS1_3genE10ELNS1_11target_archE1200ELNS1_3gpuE4ELNS1_3repE0EEENS1_30default_config_static_selectorELNS0_4arch9wavefront6targetE1EEEvT1_,comdat
.Lfunc_end6549:
	.size	_ZN7rocprim17ROCPRIM_400000_NS6detail17trampoline_kernelINS0_14default_configENS1_20scan_config_selectorIxEEZZNS1_9scan_implILNS1_25lookback_scan_determinismE0ELb0ELb0ES3_N6thrust23THRUST_200600_302600_NS6detail15normal_iteratorINS9_10device_ptrIxEEEESE_x9plus_mod3IxExEEDaPvRmT3_T4_T5_mT6_P12ihipStream_tbENKUlT_T0_E_clISt17integral_constantIbLb0EESU_EEDaSP_SQ_EUlSP_E0_NS1_11comp_targetILNS1_3genE10ELNS1_11target_archE1200ELNS1_3gpuE4ELNS1_3repE0EEENS1_30default_config_static_selectorELNS0_4arch9wavefront6targetE1EEEvT1_, .Lfunc_end6549-_ZN7rocprim17ROCPRIM_400000_NS6detail17trampoline_kernelINS0_14default_configENS1_20scan_config_selectorIxEEZZNS1_9scan_implILNS1_25lookback_scan_determinismE0ELb0ELb0ES3_N6thrust23THRUST_200600_302600_NS6detail15normal_iteratorINS9_10device_ptrIxEEEESE_x9plus_mod3IxExEEDaPvRmT3_T4_T5_mT6_P12ihipStream_tbENKUlT_T0_E_clISt17integral_constantIbLb0EESU_EEDaSP_SQ_EUlSP_E0_NS1_11comp_targetILNS1_3genE10ELNS1_11target_archE1200ELNS1_3gpuE4ELNS1_3repE0EEENS1_30default_config_static_selectorELNS0_4arch9wavefront6targetE1EEEvT1_
                                        ; -- End function
	.section	.AMDGPU.csdata,"",@progbits
; Kernel info:
; codeLenInByte = 0
; NumSgprs: 4
; NumVgprs: 0
; NumAgprs: 0
; TotalNumVgprs: 0
; ScratchSize: 0
; MemoryBound: 0
; FloatMode: 240
; IeeeMode: 1
; LDSByteSize: 0 bytes/workgroup (compile time only)
; SGPRBlocks: 0
; VGPRBlocks: 0
; NumSGPRsForWavesPerEU: 4
; NumVGPRsForWavesPerEU: 1
; AccumOffset: 4
; Occupancy: 8
; WaveLimiterHint : 0
; COMPUTE_PGM_RSRC2:SCRATCH_EN: 0
; COMPUTE_PGM_RSRC2:USER_SGPR: 6
; COMPUTE_PGM_RSRC2:TRAP_HANDLER: 0
; COMPUTE_PGM_RSRC2:TGID_X_EN: 1
; COMPUTE_PGM_RSRC2:TGID_Y_EN: 0
; COMPUTE_PGM_RSRC2:TGID_Z_EN: 0
; COMPUTE_PGM_RSRC2:TIDIG_COMP_CNT: 0
; COMPUTE_PGM_RSRC3_GFX90A:ACCUM_OFFSET: 0
; COMPUTE_PGM_RSRC3_GFX90A:TG_SPLIT: 0
	.section	.text._ZN7rocprim17ROCPRIM_400000_NS6detail17trampoline_kernelINS0_14default_configENS1_20scan_config_selectorIxEEZZNS1_9scan_implILNS1_25lookback_scan_determinismE0ELb0ELb0ES3_N6thrust23THRUST_200600_302600_NS6detail15normal_iteratorINS9_10device_ptrIxEEEESE_x9plus_mod3IxExEEDaPvRmT3_T4_T5_mT6_P12ihipStream_tbENKUlT_T0_E_clISt17integral_constantIbLb0EESU_EEDaSP_SQ_EUlSP_E0_NS1_11comp_targetILNS1_3genE9ELNS1_11target_archE1100ELNS1_3gpuE3ELNS1_3repE0EEENS1_30default_config_static_selectorELNS0_4arch9wavefront6targetE1EEEvT1_,"axG",@progbits,_ZN7rocprim17ROCPRIM_400000_NS6detail17trampoline_kernelINS0_14default_configENS1_20scan_config_selectorIxEEZZNS1_9scan_implILNS1_25lookback_scan_determinismE0ELb0ELb0ES3_N6thrust23THRUST_200600_302600_NS6detail15normal_iteratorINS9_10device_ptrIxEEEESE_x9plus_mod3IxExEEDaPvRmT3_T4_T5_mT6_P12ihipStream_tbENKUlT_T0_E_clISt17integral_constantIbLb0EESU_EEDaSP_SQ_EUlSP_E0_NS1_11comp_targetILNS1_3genE9ELNS1_11target_archE1100ELNS1_3gpuE3ELNS1_3repE0EEENS1_30default_config_static_selectorELNS0_4arch9wavefront6targetE1EEEvT1_,comdat
	.protected	_ZN7rocprim17ROCPRIM_400000_NS6detail17trampoline_kernelINS0_14default_configENS1_20scan_config_selectorIxEEZZNS1_9scan_implILNS1_25lookback_scan_determinismE0ELb0ELb0ES3_N6thrust23THRUST_200600_302600_NS6detail15normal_iteratorINS9_10device_ptrIxEEEESE_x9plus_mod3IxExEEDaPvRmT3_T4_T5_mT6_P12ihipStream_tbENKUlT_T0_E_clISt17integral_constantIbLb0EESU_EEDaSP_SQ_EUlSP_E0_NS1_11comp_targetILNS1_3genE9ELNS1_11target_archE1100ELNS1_3gpuE3ELNS1_3repE0EEENS1_30default_config_static_selectorELNS0_4arch9wavefront6targetE1EEEvT1_ ; -- Begin function _ZN7rocprim17ROCPRIM_400000_NS6detail17trampoline_kernelINS0_14default_configENS1_20scan_config_selectorIxEEZZNS1_9scan_implILNS1_25lookback_scan_determinismE0ELb0ELb0ES3_N6thrust23THRUST_200600_302600_NS6detail15normal_iteratorINS9_10device_ptrIxEEEESE_x9plus_mod3IxExEEDaPvRmT3_T4_T5_mT6_P12ihipStream_tbENKUlT_T0_E_clISt17integral_constantIbLb0EESU_EEDaSP_SQ_EUlSP_E0_NS1_11comp_targetILNS1_3genE9ELNS1_11target_archE1100ELNS1_3gpuE3ELNS1_3repE0EEENS1_30default_config_static_selectorELNS0_4arch9wavefront6targetE1EEEvT1_
	.globl	_ZN7rocprim17ROCPRIM_400000_NS6detail17trampoline_kernelINS0_14default_configENS1_20scan_config_selectorIxEEZZNS1_9scan_implILNS1_25lookback_scan_determinismE0ELb0ELb0ES3_N6thrust23THRUST_200600_302600_NS6detail15normal_iteratorINS9_10device_ptrIxEEEESE_x9plus_mod3IxExEEDaPvRmT3_T4_T5_mT6_P12ihipStream_tbENKUlT_T0_E_clISt17integral_constantIbLb0EESU_EEDaSP_SQ_EUlSP_E0_NS1_11comp_targetILNS1_3genE9ELNS1_11target_archE1100ELNS1_3gpuE3ELNS1_3repE0EEENS1_30default_config_static_selectorELNS0_4arch9wavefront6targetE1EEEvT1_
	.p2align	8
	.type	_ZN7rocprim17ROCPRIM_400000_NS6detail17trampoline_kernelINS0_14default_configENS1_20scan_config_selectorIxEEZZNS1_9scan_implILNS1_25lookback_scan_determinismE0ELb0ELb0ES3_N6thrust23THRUST_200600_302600_NS6detail15normal_iteratorINS9_10device_ptrIxEEEESE_x9plus_mod3IxExEEDaPvRmT3_T4_T5_mT6_P12ihipStream_tbENKUlT_T0_E_clISt17integral_constantIbLb0EESU_EEDaSP_SQ_EUlSP_E0_NS1_11comp_targetILNS1_3genE9ELNS1_11target_archE1100ELNS1_3gpuE3ELNS1_3repE0EEENS1_30default_config_static_selectorELNS0_4arch9wavefront6targetE1EEEvT1_,@function
_ZN7rocprim17ROCPRIM_400000_NS6detail17trampoline_kernelINS0_14default_configENS1_20scan_config_selectorIxEEZZNS1_9scan_implILNS1_25lookback_scan_determinismE0ELb0ELb0ES3_N6thrust23THRUST_200600_302600_NS6detail15normal_iteratorINS9_10device_ptrIxEEEESE_x9plus_mod3IxExEEDaPvRmT3_T4_T5_mT6_P12ihipStream_tbENKUlT_T0_E_clISt17integral_constantIbLb0EESU_EEDaSP_SQ_EUlSP_E0_NS1_11comp_targetILNS1_3genE9ELNS1_11target_archE1100ELNS1_3gpuE3ELNS1_3repE0EEENS1_30default_config_static_selectorELNS0_4arch9wavefront6targetE1EEEvT1_: ; @_ZN7rocprim17ROCPRIM_400000_NS6detail17trampoline_kernelINS0_14default_configENS1_20scan_config_selectorIxEEZZNS1_9scan_implILNS1_25lookback_scan_determinismE0ELb0ELb0ES3_N6thrust23THRUST_200600_302600_NS6detail15normal_iteratorINS9_10device_ptrIxEEEESE_x9plus_mod3IxExEEDaPvRmT3_T4_T5_mT6_P12ihipStream_tbENKUlT_T0_E_clISt17integral_constantIbLb0EESU_EEDaSP_SQ_EUlSP_E0_NS1_11comp_targetILNS1_3genE9ELNS1_11target_archE1100ELNS1_3gpuE3ELNS1_3repE0EEENS1_30default_config_static_selectorELNS0_4arch9wavefront6targetE1EEEvT1_
; %bb.0:
	.section	.rodata,"a",@progbits
	.p2align	6, 0x0
	.amdhsa_kernel _ZN7rocprim17ROCPRIM_400000_NS6detail17trampoline_kernelINS0_14default_configENS1_20scan_config_selectorIxEEZZNS1_9scan_implILNS1_25lookback_scan_determinismE0ELb0ELb0ES3_N6thrust23THRUST_200600_302600_NS6detail15normal_iteratorINS9_10device_ptrIxEEEESE_x9plus_mod3IxExEEDaPvRmT3_T4_T5_mT6_P12ihipStream_tbENKUlT_T0_E_clISt17integral_constantIbLb0EESU_EEDaSP_SQ_EUlSP_E0_NS1_11comp_targetILNS1_3genE9ELNS1_11target_archE1100ELNS1_3gpuE3ELNS1_3repE0EEENS1_30default_config_static_selectorELNS0_4arch9wavefront6targetE1EEEvT1_
		.amdhsa_group_segment_fixed_size 0
		.amdhsa_private_segment_fixed_size 0
		.amdhsa_kernarg_size 40
		.amdhsa_user_sgpr_count 6
		.amdhsa_user_sgpr_private_segment_buffer 1
		.amdhsa_user_sgpr_dispatch_ptr 0
		.amdhsa_user_sgpr_queue_ptr 0
		.amdhsa_user_sgpr_kernarg_segment_ptr 1
		.amdhsa_user_sgpr_dispatch_id 0
		.amdhsa_user_sgpr_flat_scratch_init 0
		.amdhsa_user_sgpr_kernarg_preload_length 0
		.amdhsa_user_sgpr_kernarg_preload_offset 0
		.amdhsa_user_sgpr_private_segment_size 0
		.amdhsa_uses_dynamic_stack 0
		.amdhsa_system_sgpr_private_segment_wavefront_offset 0
		.amdhsa_system_sgpr_workgroup_id_x 1
		.amdhsa_system_sgpr_workgroup_id_y 0
		.amdhsa_system_sgpr_workgroup_id_z 0
		.amdhsa_system_sgpr_workgroup_info 0
		.amdhsa_system_vgpr_workitem_id 0
		.amdhsa_next_free_vgpr 1
		.amdhsa_next_free_sgpr 0
		.amdhsa_accum_offset 4
		.amdhsa_reserve_vcc 0
		.amdhsa_reserve_flat_scratch 0
		.amdhsa_float_round_mode_32 0
		.amdhsa_float_round_mode_16_64 0
		.amdhsa_float_denorm_mode_32 3
		.amdhsa_float_denorm_mode_16_64 3
		.amdhsa_dx10_clamp 1
		.amdhsa_ieee_mode 1
		.amdhsa_fp16_overflow 0
		.amdhsa_tg_split 0
		.amdhsa_exception_fp_ieee_invalid_op 0
		.amdhsa_exception_fp_denorm_src 0
		.amdhsa_exception_fp_ieee_div_zero 0
		.amdhsa_exception_fp_ieee_overflow 0
		.amdhsa_exception_fp_ieee_underflow 0
		.amdhsa_exception_fp_ieee_inexact 0
		.amdhsa_exception_int_div_zero 0
	.end_amdhsa_kernel
	.section	.text._ZN7rocprim17ROCPRIM_400000_NS6detail17trampoline_kernelINS0_14default_configENS1_20scan_config_selectorIxEEZZNS1_9scan_implILNS1_25lookback_scan_determinismE0ELb0ELb0ES3_N6thrust23THRUST_200600_302600_NS6detail15normal_iteratorINS9_10device_ptrIxEEEESE_x9plus_mod3IxExEEDaPvRmT3_T4_T5_mT6_P12ihipStream_tbENKUlT_T0_E_clISt17integral_constantIbLb0EESU_EEDaSP_SQ_EUlSP_E0_NS1_11comp_targetILNS1_3genE9ELNS1_11target_archE1100ELNS1_3gpuE3ELNS1_3repE0EEENS1_30default_config_static_selectorELNS0_4arch9wavefront6targetE1EEEvT1_,"axG",@progbits,_ZN7rocprim17ROCPRIM_400000_NS6detail17trampoline_kernelINS0_14default_configENS1_20scan_config_selectorIxEEZZNS1_9scan_implILNS1_25lookback_scan_determinismE0ELb0ELb0ES3_N6thrust23THRUST_200600_302600_NS6detail15normal_iteratorINS9_10device_ptrIxEEEESE_x9plus_mod3IxExEEDaPvRmT3_T4_T5_mT6_P12ihipStream_tbENKUlT_T0_E_clISt17integral_constantIbLb0EESU_EEDaSP_SQ_EUlSP_E0_NS1_11comp_targetILNS1_3genE9ELNS1_11target_archE1100ELNS1_3gpuE3ELNS1_3repE0EEENS1_30default_config_static_selectorELNS0_4arch9wavefront6targetE1EEEvT1_,comdat
.Lfunc_end6550:
	.size	_ZN7rocprim17ROCPRIM_400000_NS6detail17trampoline_kernelINS0_14default_configENS1_20scan_config_selectorIxEEZZNS1_9scan_implILNS1_25lookback_scan_determinismE0ELb0ELb0ES3_N6thrust23THRUST_200600_302600_NS6detail15normal_iteratorINS9_10device_ptrIxEEEESE_x9plus_mod3IxExEEDaPvRmT3_T4_T5_mT6_P12ihipStream_tbENKUlT_T0_E_clISt17integral_constantIbLb0EESU_EEDaSP_SQ_EUlSP_E0_NS1_11comp_targetILNS1_3genE9ELNS1_11target_archE1100ELNS1_3gpuE3ELNS1_3repE0EEENS1_30default_config_static_selectorELNS0_4arch9wavefront6targetE1EEEvT1_, .Lfunc_end6550-_ZN7rocprim17ROCPRIM_400000_NS6detail17trampoline_kernelINS0_14default_configENS1_20scan_config_selectorIxEEZZNS1_9scan_implILNS1_25lookback_scan_determinismE0ELb0ELb0ES3_N6thrust23THRUST_200600_302600_NS6detail15normal_iteratorINS9_10device_ptrIxEEEESE_x9plus_mod3IxExEEDaPvRmT3_T4_T5_mT6_P12ihipStream_tbENKUlT_T0_E_clISt17integral_constantIbLb0EESU_EEDaSP_SQ_EUlSP_E0_NS1_11comp_targetILNS1_3genE9ELNS1_11target_archE1100ELNS1_3gpuE3ELNS1_3repE0EEENS1_30default_config_static_selectorELNS0_4arch9wavefront6targetE1EEEvT1_
                                        ; -- End function
	.section	.AMDGPU.csdata,"",@progbits
; Kernel info:
; codeLenInByte = 0
; NumSgprs: 4
; NumVgprs: 0
; NumAgprs: 0
; TotalNumVgprs: 0
; ScratchSize: 0
; MemoryBound: 0
; FloatMode: 240
; IeeeMode: 1
; LDSByteSize: 0 bytes/workgroup (compile time only)
; SGPRBlocks: 0
; VGPRBlocks: 0
; NumSGPRsForWavesPerEU: 4
; NumVGPRsForWavesPerEU: 1
; AccumOffset: 4
; Occupancy: 8
; WaveLimiterHint : 0
; COMPUTE_PGM_RSRC2:SCRATCH_EN: 0
; COMPUTE_PGM_RSRC2:USER_SGPR: 6
; COMPUTE_PGM_RSRC2:TRAP_HANDLER: 0
; COMPUTE_PGM_RSRC2:TGID_X_EN: 1
; COMPUTE_PGM_RSRC2:TGID_Y_EN: 0
; COMPUTE_PGM_RSRC2:TGID_Z_EN: 0
; COMPUTE_PGM_RSRC2:TIDIG_COMP_CNT: 0
; COMPUTE_PGM_RSRC3_GFX90A:ACCUM_OFFSET: 0
; COMPUTE_PGM_RSRC3_GFX90A:TG_SPLIT: 0
	.section	.text._ZN7rocprim17ROCPRIM_400000_NS6detail17trampoline_kernelINS0_14default_configENS1_20scan_config_selectorIxEEZZNS1_9scan_implILNS1_25lookback_scan_determinismE0ELb0ELb0ES3_N6thrust23THRUST_200600_302600_NS6detail15normal_iteratorINS9_10device_ptrIxEEEESE_x9plus_mod3IxExEEDaPvRmT3_T4_T5_mT6_P12ihipStream_tbENKUlT_T0_E_clISt17integral_constantIbLb0EESU_EEDaSP_SQ_EUlSP_E0_NS1_11comp_targetILNS1_3genE8ELNS1_11target_archE1030ELNS1_3gpuE2ELNS1_3repE0EEENS1_30default_config_static_selectorELNS0_4arch9wavefront6targetE1EEEvT1_,"axG",@progbits,_ZN7rocprim17ROCPRIM_400000_NS6detail17trampoline_kernelINS0_14default_configENS1_20scan_config_selectorIxEEZZNS1_9scan_implILNS1_25lookback_scan_determinismE0ELb0ELb0ES3_N6thrust23THRUST_200600_302600_NS6detail15normal_iteratorINS9_10device_ptrIxEEEESE_x9plus_mod3IxExEEDaPvRmT3_T4_T5_mT6_P12ihipStream_tbENKUlT_T0_E_clISt17integral_constantIbLb0EESU_EEDaSP_SQ_EUlSP_E0_NS1_11comp_targetILNS1_3genE8ELNS1_11target_archE1030ELNS1_3gpuE2ELNS1_3repE0EEENS1_30default_config_static_selectorELNS0_4arch9wavefront6targetE1EEEvT1_,comdat
	.protected	_ZN7rocprim17ROCPRIM_400000_NS6detail17trampoline_kernelINS0_14default_configENS1_20scan_config_selectorIxEEZZNS1_9scan_implILNS1_25lookback_scan_determinismE0ELb0ELb0ES3_N6thrust23THRUST_200600_302600_NS6detail15normal_iteratorINS9_10device_ptrIxEEEESE_x9plus_mod3IxExEEDaPvRmT3_T4_T5_mT6_P12ihipStream_tbENKUlT_T0_E_clISt17integral_constantIbLb0EESU_EEDaSP_SQ_EUlSP_E0_NS1_11comp_targetILNS1_3genE8ELNS1_11target_archE1030ELNS1_3gpuE2ELNS1_3repE0EEENS1_30default_config_static_selectorELNS0_4arch9wavefront6targetE1EEEvT1_ ; -- Begin function _ZN7rocprim17ROCPRIM_400000_NS6detail17trampoline_kernelINS0_14default_configENS1_20scan_config_selectorIxEEZZNS1_9scan_implILNS1_25lookback_scan_determinismE0ELb0ELb0ES3_N6thrust23THRUST_200600_302600_NS6detail15normal_iteratorINS9_10device_ptrIxEEEESE_x9plus_mod3IxExEEDaPvRmT3_T4_T5_mT6_P12ihipStream_tbENKUlT_T0_E_clISt17integral_constantIbLb0EESU_EEDaSP_SQ_EUlSP_E0_NS1_11comp_targetILNS1_3genE8ELNS1_11target_archE1030ELNS1_3gpuE2ELNS1_3repE0EEENS1_30default_config_static_selectorELNS0_4arch9wavefront6targetE1EEEvT1_
	.globl	_ZN7rocprim17ROCPRIM_400000_NS6detail17trampoline_kernelINS0_14default_configENS1_20scan_config_selectorIxEEZZNS1_9scan_implILNS1_25lookback_scan_determinismE0ELb0ELb0ES3_N6thrust23THRUST_200600_302600_NS6detail15normal_iteratorINS9_10device_ptrIxEEEESE_x9plus_mod3IxExEEDaPvRmT3_T4_T5_mT6_P12ihipStream_tbENKUlT_T0_E_clISt17integral_constantIbLb0EESU_EEDaSP_SQ_EUlSP_E0_NS1_11comp_targetILNS1_3genE8ELNS1_11target_archE1030ELNS1_3gpuE2ELNS1_3repE0EEENS1_30default_config_static_selectorELNS0_4arch9wavefront6targetE1EEEvT1_
	.p2align	8
	.type	_ZN7rocprim17ROCPRIM_400000_NS6detail17trampoline_kernelINS0_14default_configENS1_20scan_config_selectorIxEEZZNS1_9scan_implILNS1_25lookback_scan_determinismE0ELb0ELb0ES3_N6thrust23THRUST_200600_302600_NS6detail15normal_iteratorINS9_10device_ptrIxEEEESE_x9plus_mod3IxExEEDaPvRmT3_T4_T5_mT6_P12ihipStream_tbENKUlT_T0_E_clISt17integral_constantIbLb0EESU_EEDaSP_SQ_EUlSP_E0_NS1_11comp_targetILNS1_3genE8ELNS1_11target_archE1030ELNS1_3gpuE2ELNS1_3repE0EEENS1_30default_config_static_selectorELNS0_4arch9wavefront6targetE1EEEvT1_,@function
_ZN7rocprim17ROCPRIM_400000_NS6detail17trampoline_kernelINS0_14default_configENS1_20scan_config_selectorIxEEZZNS1_9scan_implILNS1_25lookback_scan_determinismE0ELb0ELb0ES3_N6thrust23THRUST_200600_302600_NS6detail15normal_iteratorINS9_10device_ptrIxEEEESE_x9plus_mod3IxExEEDaPvRmT3_T4_T5_mT6_P12ihipStream_tbENKUlT_T0_E_clISt17integral_constantIbLb0EESU_EEDaSP_SQ_EUlSP_E0_NS1_11comp_targetILNS1_3genE8ELNS1_11target_archE1030ELNS1_3gpuE2ELNS1_3repE0EEENS1_30default_config_static_selectorELNS0_4arch9wavefront6targetE1EEEvT1_: ; @_ZN7rocprim17ROCPRIM_400000_NS6detail17trampoline_kernelINS0_14default_configENS1_20scan_config_selectorIxEEZZNS1_9scan_implILNS1_25lookback_scan_determinismE0ELb0ELb0ES3_N6thrust23THRUST_200600_302600_NS6detail15normal_iteratorINS9_10device_ptrIxEEEESE_x9plus_mod3IxExEEDaPvRmT3_T4_T5_mT6_P12ihipStream_tbENKUlT_T0_E_clISt17integral_constantIbLb0EESU_EEDaSP_SQ_EUlSP_E0_NS1_11comp_targetILNS1_3genE8ELNS1_11target_archE1030ELNS1_3gpuE2ELNS1_3repE0EEENS1_30default_config_static_selectorELNS0_4arch9wavefront6targetE1EEEvT1_
; %bb.0:
	.section	.rodata,"a",@progbits
	.p2align	6, 0x0
	.amdhsa_kernel _ZN7rocprim17ROCPRIM_400000_NS6detail17trampoline_kernelINS0_14default_configENS1_20scan_config_selectorIxEEZZNS1_9scan_implILNS1_25lookback_scan_determinismE0ELb0ELb0ES3_N6thrust23THRUST_200600_302600_NS6detail15normal_iteratorINS9_10device_ptrIxEEEESE_x9plus_mod3IxExEEDaPvRmT3_T4_T5_mT6_P12ihipStream_tbENKUlT_T0_E_clISt17integral_constantIbLb0EESU_EEDaSP_SQ_EUlSP_E0_NS1_11comp_targetILNS1_3genE8ELNS1_11target_archE1030ELNS1_3gpuE2ELNS1_3repE0EEENS1_30default_config_static_selectorELNS0_4arch9wavefront6targetE1EEEvT1_
		.amdhsa_group_segment_fixed_size 0
		.amdhsa_private_segment_fixed_size 0
		.amdhsa_kernarg_size 40
		.amdhsa_user_sgpr_count 6
		.amdhsa_user_sgpr_private_segment_buffer 1
		.amdhsa_user_sgpr_dispatch_ptr 0
		.amdhsa_user_sgpr_queue_ptr 0
		.amdhsa_user_sgpr_kernarg_segment_ptr 1
		.amdhsa_user_sgpr_dispatch_id 0
		.amdhsa_user_sgpr_flat_scratch_init 0
		.amdhsa_user_sgpr_kernarg_preload_length 0
		.amdhsa_user_sgpr_kernarg_preload_offset 0
		.amdhsa_user_sgpr_private_segment_size 0
		.amdhsa_uses_dynamic_stack 0
		.amdhsa_system_sgpr_private_segment_wavefront_offset 0
		.amdhsa_system_sgpr_workgroup_id_x 1
		.amdhsa_system_sgpr_workgroup_id_y 0
		.amdhsa_system_sgpr_workgroup_id_z 0
		.amdhsa_system_sgpr_workgroup_info 0
		.amdhsa_system_vgpr_workitem_id 0
		.amdhsa_next_free_vgpr 1
		.amdhsa_next_free_sgpr 0
		.amdhsa_accum_offset 4
		.amdhsa_reserve_vcc 0
		.amdhsa_reserve_flat_scratch 0
		.amdhsa_float_round_mode_32 0
		.amdhsa_float_round_mode_16_64 0
		.amdhsa_float_denorm_mode_32 3
		.amdhsa_float_denorm_mode_16_64 3
		.amdhsa_dx10_clamp 1
		.amdhsa_ieee_mode 1
		.amdhsa_fp16_overflow 0
		.amdhsa_tg_split 0
		.amdhsa_exception_fp_ieee_invalid_op 0
		.amdhsa_exception_fp_denorm_src 0
		.amdhsa_exception_fp_ieee_div_zero 0
		.amdhsa_exception_fp_ieee_overflow 0
		.amdhsa_exception_fp_ieee_underflow 0
		.amdhsa_exception_fp_ieee_inexact 0
		.amdhsa_exception_int_div_zero 0
	.end_amdhsa_kernel
	.section	.text._ZN7rocprim17ROCPRIM_400000_NS6detail17trampoline_kernelINS0_14default_configENS1_20scan_config_selectorIxEEZZNS1_9scan_implILNS1_25lookback_scan_determinismE0ELb0ELb0ES3_N6thrust23THRUST_200600_302600_NS6detail15normal_iteratorINS9_10device_ptrIxEEEESE_x9plus_mod3IxExEEDaPvRmT3_T4_T5_mT6_P12ihipStream_tbENKUlT_T0_E_clISt17integral_constantIbLb0EESU_EEDaSP_SQ_EUlSP_E0_NS1_11comp_targetILNS1_3genE8ELNS1_11target_archE1030ELNS1_3gpuE2ELNS1_3repE0EEENS1_30default_config_static_selectorELNS0_4arch9wavefront6targetE1EEEvT1_,"axG",@progbits,_ZN7rocprim17ROCPRIM_400000_NS6detail17trampoline_kernelINS0_14default_configENS1_20scan_config_selectorIxEEZZNS1_9scan_implILNS1_25lookback_scan_determinismE0ELb0ELb0ES3_N6thrust23THRUST_200600_302600_NS6detail15normal_iteratorINS9_10device_ptrIxEEEESE_x9plus_mod3IxExEEDaPvRmT3_T4_T5_mT6_P12ihipStream_tbENKUlT_T0_E_clISt17integral_constantIbLb0EESU_EEDaSP_SQ_EUlSP_E0_NS1_11comp_targetILNS1_3genE8ELNS1_11target_archE1030ELNS1_3gpuE2ELNS1_3repE0EEENS1_30default_config_static_selectorELNS0_4arch9wavefront6targetE1EEEvT1_,comdat
.Lfunc_end6551:
	.size	_ZN7rocprim17ROCPRIM_400000_NS6detail17trampoline_kernelINS0_14default_configENS1_20scan_config_selectorIxEEZZNS1_9scan_implILNS1_25lookback_scan_determinismE0ELb0ELb0ES3_N6thrust23THRUST_200600_302600_NS6detail15normal_iteratorINS9_10device_ptrIxEEEESE_x9plus_mod3IxExEEDaPvRmT3_T4_T5_mT6_P12ihipStream_tbENKUlT_T0_E_clISt17integral_constantIbLb0EESU_EEDaSP_SQ_EUlSP_E0_NS1_11comp_targetILNS1_3genE8ELNS1_11target_archE1030ELNS1_3gpuE2ELNS1_3repE0EEENS1_30default_config_static_selectorELNS0_4arch9wavefront6targetE1EEEvT1_, .Lfunc_end6551-_ZN7rocprim17ROCPRIM_400000_NS6detail17trampoline_kernelINS0_14default_configENS1_20scan_config_selectorIxEEZZNS1_9scan_implILNS1_25lookback_scan_determinismE0ELb0ELb0ES3_N6thrust23THRUST_200600_302600_NS6detail15normal_iteratorINS9_10device_ptrIxEEEESE_x9plus_mod3IxExEEDaPvRmT3_T4_T5_mT6_P12ihipStream_tbENKUlT_T0_E_clISt17integral_constantIbLb0EESU_EEDaSP_SQ_EUlSP_E0_NS1_11comp_targetILNS1_3genE8ELNS1_11target_archE1030ELNS1_3gpuE2ELNS1_3repE0EEENS1_30default_config_static_selectorELNS0_4arch9wavefront6targetE1EEEvT1_
                                        ; -- End function
	.section	.AMDGPU.csdata,"",@progbits
; Kernel info:
; codeLenInByte = 0
; NumSgprs: 4
; NumVgprs: 0
; NumAgprs: 0
; TotalNumVgprs: 0
; ScratchSize: 0
; MemoryBound: 0
; FloatMode: 240
; IeeeMode: 1
; LDSByteSize: 0 bytes/workgroup (compile time only)
; SGPRBlocks: 0
; VGPRBlocks: 0
; NumSGPRsForWavesPerEU: 4
; NumVGPRsForWavesPerEU: 1
; AccumOffset: 4
; Occupancy: 8
; WaveLimiterHint : 0
; COMPUTE_PGM_RSRC2:SCRATCH_EN: 0
; COMPUTE_PGM_RSRC2:USER_SGPR: 6
; COMPUTE_PGM_RSRC2:TRAP_HANDLER: 0
; COMPUTE_PGM_RSRC2:TGID_X_EN: 1
; COMPUTE_PGM_RSRC2:TGID_Y_EN: 0
; COMPUTE_PGM_RSRC2:TGID_Z_EN: 0
; COMPUTE_PGM_RSRC2:TIDIG_COMP_CNT: 0
; COMPUTE_PGM_RSRC3_GFX90A:ACCUM_OFFSET: 0
; COMPUTE_PGM_RSRC3_GFX90A:TG_SPLIT: 0
	.section	.text._ZN7rocprim17ROCPRIM_400000_NS6detail17trampoline_kernelINS0_14default_configENS1_20scan_config_selectorIxEEZZNS1_9scan_implILNS1_25lookback_scan_determinismE0ELb0ELb0ES3_N6thrust23THRUST_200600_302600_NS6detail15normal_iteratorINS9_10device_ptrIxEEEESE_x9plus_mod3IxExEEDaPvRmT3_T4_T5_mT6_P12ihipStream_tbENKUlT_T0_E_clISt17integral_constantIbLb1EESU_EEDaSP_SQ_EUlSP_E_NS1_11comp_targetILNS1_3genE0ELNS1_11target_archE4294967295ELNS1_3gpuE0ELNS1_3repE0EEENS1_30default_config_static_selectorELNS0_4arch9wavefront6targetE1EEEvT1_,"axG",@progbits,_ZN7rocprim17ROCPRIM_400000_NS6detail17trampoline_kernelINS0_14default_configENS1_20scan_config_selectorIxEEZZNS1_9scan_implILNS1_25lookback_scan_determinismE0ELb0ELb0ES3_N6thrust23THRUST_200600_302600_NS6detail15normal_iteratorINS9_10device_ptrIxEEEESE_x9plus_mod3IxExEEDaPvRmT3_T4_T5_mT6_P12ihipStream_tbENKUlT_T0_E_clISt17integral_constantIbLb1EESU_EEDaSP_SQ_EUlSP_E_NS1_11comp_targetILNS1_3genE0ELNS1_11target_archE4294967295ELNS1_3gpuE0ELNS1_3repE0EEENS1_30default_config_static_selectorELNS0_4arch9wavefront6targetE1EEEvT1_,comdat
	.protected	_ZN7rocprim17ROCPRIM_400000_NS6detail17trampoline_kernelINS0_14default_configENS1_20scan_config_selectorIxEEZZNS1_9scan_implILNS1_25lookback_scan_determinismE0ELb0ELb0ES3_N6thrust23THRUST_200600_302600_NS6detail15normal_iteratorINS9_10device_ptrIxEEEESE_x9plus_mod3IxExEEDaPvRmT3_T4_T5_mT6_P12ihipStream_tbENKUlT_T0_E_clISt17integral_constantIbLb1EESU_EEDaSP_SQ_EUlSP_E_NS1_11comp_targetILNS1_3genE0ELNS1_11target_archE4294967295ELNS1_3gpuE0ELNS1_3repE0EEENS1_30default_config_static_selectorELNS0_4arch9wavefront6targetE1EEEvT1_ ; -- Begin function _ZN7rocprim17ROCPRIM_400000_NS6detail17trampoline_kernelINS0_14default_configENS1_20scan_config_selectorIxEEZZNS1_9scan_implILNS1_25lookback_scan_determinismE0ELb0ELb0ES3_N6thrust23THRUST_200600_302600_NS6detail15normal_iteratorINS9_10device_ptrIxEEEESE_x9plus_mod3IxExEEDaPvRmT3_T4_T5_mT6_P12ihipStream_tbENKUlT_T0_E_clISt17integral_constantIbLb1EESU_EEDaSP_SQ_EUlSP_E_NS1_11comp_targetILNS1_3genE0ELNS1_11target_archE4294967295ELNS1_3gpuE0ELNS1_3repE0EEENS1_30default_config_static_selectorELNS0_4arch9wavefront6targetE1EEEvT1_
	.globl	_ZN7rocprim17ROCPRIM_400000_NS6detail17trampoline_kernelINS0_14default_configENS1_20scan_config_selectorIxEEZZNS1_9scan_implILNS1_25lookback_scan_determinismE0ELb0ELb0ES3_N6thrust23THRUST_200600_302600_NS6detail15normal_iteratorINS9_10device_ptrIxEEEESE_x9plus_mod3IxExEEDaPvRmT3_T4_T5_mT6_P12ihipStream_tbENKUlT_T0_E_clISt17integral_constantIbLb1EESU_EEDaSP_SQ_EUlSP_E_NS1_11comp_targetILNS1_3genE0ELNS1_11target_archE4294967295ELNS1_3gpuE0ELNS1_3repE0EEENS1_30default_config_static_selectorELNS0_4arch9wavefront6targetE1EEEvT1_
	.p2align	8
	.type	_ZN7rocprim17ROCPRIM_400000_NS6detail17trampoline_kernelINS0_14default_configENS1_20scan_config_selectorIxEEZZNS1_9scan_implILNS1_25lookback_scan_determinismE0ELb0ELb0ES3_N6thrust23THRUST_200600_302600_NS6detail15normal_iteratorINS9_10device_ptrIxEEEESE_x9plus_mod3IxExEEDaPvRmT3_T4_T5_mT6_P12ihipStream_tbENKUlT_T0_E_clISt17integral_constantIbLb1EESU_EEDaSP_SQ_EUlSP_E_NS1_11comp_targetILNS1_3genE0ELNS1_11target_archE4294967295ELNS1_3gpuE0ELNS1_3repE0EEENS1_30default_config_static_selectorELNS0_4arch9wavefront6targetE1EEEvT1_,@function
_ZN7rocprim17ROCPRIM_400000_NS6detail17trampoline_kernelINS0_14default_configENS1_20scan_config_selectorIxEEZZNS1_9scan_implILNS1_25lookback_scan_determinismE0ELb0ELb0ES3_N6thrust23THRUST_200600_302600_NS6detail15normal_iteratorINS9_10device_ptrIxEEEESE_x9plus_mod3IxExEEDaPvRmT3_T4_T5_mT6_P12ihipStream_tbENKUlT_T0_E_clISt17integral_constantIbLb1EESU_EEDaSP_SQ_EUlSP_E_NS1_11comp_targetILNS1_3genE0ELNS1_11target_archE4294967295ELNS1_3gpuE0ELNS1_3repE0EEENS1_30default_config_static_selectorELNS0_4arch9wavefront6targetE1EEEvT1_: ; @_ZN7rocprim17ROCPRIM_400000_NS6detail17trampoline_kernelINS0_14default_configENS1_20scan_config_selectorIxEEZZNS1_9scan_implILNS1_25lookback_scan_determinismE0ELb0ELb0ES3_N6thrust23THRUST_200600_302600_NS6detail15normal_iteratorINS9_10device_ptrIxEEEESE_x9plus_mod3IxExEEDaPvRmT3_T4_T5_mT6_P12ihipStream_tbENKUlT_T0_E_clISt17integral_constantIbLb1EESU_EEDaSP_SQ_EUlSP_E_NS1_11comp_targetILNS1_3genE0ELNS1_11target_archE4294967295ELNS1_3gpuE0ELNS1_3repE0EEENS1_30default_config_static_selectorELNS0_4arch9wavefront6targetE1EEEvT1_
; %bb.0:
	.section	.rodata,"a",@progbits
	.p2align	6, 0x0
	.amdhsa_kernel _ZN7rocprim17ROCPRIM_400000_NS6detail17trampoline_kernelINS0_14default_configENS1_20scan_config_selectorIxEEZZNS1_9scan_implILNS1_25lookback_scan_determinismE0ELb0ELb0ES3_N6thrust23THRUST_200600_302600_NS6detail15normal_iteratorINS9_10device_ptrIxEEEESE_x9plus_mod3IxExEEDaPvRmT3_T4_T5_mT6_P12ihipStream_tbENKUlT_T0_E_clISt17integral_constantIbLb1EESU_EEDaSP_SQ_EUlSP_E_NS1_11comp_targetILNS1_3genE0ELNS1_11target_archE4294967295ELNS1_3gpuE0ELNS1_3repE0EEENS1_30default_config_static_selectorELNS0_4arch9wavefront6targetE1EEEvT1_
		.amdhsa_group_segment_fixed_size 0
		.amdhsa_private_segment_fixed_size 0
		.amdhsa_kernarg_size 104
		.amdhsa_user_sgpr_count 6
		.amdhsa_user_sgpr_private_segment_buffer 1
		.amdhsa_user_sgpr_dispatch_ptr 0
		.amdhsa_user_sgpr_queue_ptr 0
		.amdhsa_user_sgpr_kernarg_segment_ptr 1
		.amdhsa_user_sgpr_dispatch_id 0
		.amdhsa_user_sgpr_flat_scratch_init 0
		.amdhsa_user_sgpr_kernarg_preload_length 0
		.amdhsa_user_sgpr_kernarg_preload_offset 0
		.amdhsa_user_sgpr_private_segment_size 0
		.amdhsa_uses_dynamic_stack 0
		.amdhsa_system_sgpr_private_segment_wavefront_offset 0
		.amdhsa_system_sgpr_workgroup_id_x 1
		.amdhsa_system_sgpr_workgroup_id_y 0
		.amdhsa_system_sgpr_workgroup_id_z 0
		.amdhsa_system_sgpr_workgroup_info 0
		.amdhsa_system_vgpr_workitem_id 0
		.amdhsa_next_free_vgpr 1
		.amdhsa_next_free_sgpr 0
		.amdhsa_accum_offset 4
		.amdhsa_reserve_vcc 0
		.amdhsa_reserve_flat_scratch 0
		.amdhsa_float_round_mode_32 0
		.amdhsa_float_round_mode_16_64 0
		.amdhsa_float_denorm_mode_32 3
		.amdhsa_float_denorm_mode_16_64 3
		.amdhsa_dx10_clamp 1
		.amdhsa_ieee_mode 1
		.amdhsa_fp16_overflow 0
		.amdhsa_tg_split 0
		.amdhsa_exception_fp_ieee_invalid_op 0
		.amdhsa_exception_fp_denorm_src 0
		.amdhsa_exception_fp_ieee_div_zero 0
		.amdhsa_exception_fp_ieee_overflow 0
		.amdhsa_exception_fp_ieee_underflow 0
		.amdhsa_exception_fp_ieee_inexact 0
		.amdhsa_exception_int_div_zero 0
	.end_amdhsa_kernel
	.section	.text._ZN7rocprim17ROCPRIM_400000_NS6detail17trampoline_kernelINS0_14default_configENS1_20scan_config_selectorIxEEZZNS1_9scan_implILNS1_25lookback_scan_determinismE0ELb0ELb0ES3_N6thrust23THRUST_200600_302600_NS6detail15normal_iteratorINS9_10device_ptrIxEEEESE_x9plus_mod3IxExEEDaPvRmT3_T4_T5_mT6_P12ihipStream_tbENKUlT_T0_E_clISt17integral_constantIbLb1EESU_EEDaSP_SQ_EUlSP_E_NS1_11comp_targetILNS1_3genE0ELNS1_11target_archE4294967295ELNS1_3gpuE0ELNS1_3repE0EEENS1_30default_config_static_selectorELNS0_4arch9wavefront6targetE1EEEvT1_,"axG",@progbits,_ZN7rocprim17ROCPRIM_400000_NS6detail17trampoline_kernelINS0_14default_configENS1_20scan_config_selectorIxEEZZNS1_9scan_implILNS1_25lookback_scan_determinismE0ELb0ELb0ES3_N6thrust23THRUST_200600_302600_NS6detail15normal_iteratorINS9_10device_ptrIxEEEESE_x9plus_mod3IxExEEDaPvRmT3_T4_T5_mT6_P12ihipStream_tbENKUlT_T0_E_clISt17integral_constantIbLb1EESU_EEDaSP_SQ_EUlSP_E_NS1_11comp_targetILNS1_3genE0ELNS1_11target_archE4294967295ELNS1_3gpuE0ELNS1_3repE0EEENS1_30default_config_static_selectorELNS0_4arch9wavefront6targetE1EEEvT1_,comdat
.Lfunc_end6552:
	.size	_ZN7rocprim17ROCPRIM_400000_NS6detail17trampoline_kernelINS0_14default_configENS1_20scan_config_selectorIxEEZZNS1_9scan_implILNS1_25lookback_scan_determinismE0ELb0ELb0ES3_N6thrust23THRUST_200600_302600_NS6detail15normal_iteratorINS9_10device_ptrIxEEEESE_x9plus_mod3IxExEEDaPvRmT3_T4_T5_mT6_P12ihipStream_tbENKUlT_T0_E_clISt17integral_constantIbLb1EESU_EEDaSP_SQ_EUlSP_E_NS1_11comp_targetILNS1_3genE0ELNS1_11target_archE4294967295ELNS1_3gpuE0ELNS1_3repE0EEENS1_30default_config_static_selectorELNS0_4arch9wavefront6targetE1EEEvT1_, .Lfunc_end6552-_ZN7rocprim17ROCPRIM_400000_NS6detail17trampoline_kernelINS0_14default_configENS1_20scan_config_selectorIxEEZZNS1_9scan_implILNS1_25lookback_scan_determinismE0ELb0ELb0ES3_N6thrust23THRUST_200600_302600_NS6detail15normal_iteratorINS9_10device_ptrIxEEEESE_x9plus_mod3IxExEEDaPvRmT3_T4_T5_mT6_P12ihipStream_tbENKUlT_T0_E_clISt17integral_constantIbLb1EESU_EEDaSP_SQ_EUlSP_E_NS1_11comp_targetILNS1_3genE0ELNS1_11target_archE4294967295ELNS1_3gpuE0ELNS1_3repE0EEENS1_30default_config_static_selectorELNS0_4arch9wavefront6targetE1EEEvT1_
                                        ; -- End function
	.section	.AMDGPU.csdata,"",@progbits
; Kernel info:
; codeLenInByte = 0
; NumSgprs: 4
; NumVgprs: 0
; NumAgprs: 0
; TotalNumVgprs: 0
; ScratchSize: 0
; MemoryBound: 0
; FloatMode: 240
; IeeeMode: 1
; LDSByteSize: 0 bytes/workgroup (compile time only)
; SGPRBlocks: 0
; VGPRBlocks: 0
; NumSGPRsForWavesPerEU: 4
; NumVGPRsForWavesPerEU: 1
; AccumOffset: 4
; Occupancy: 8
; WaveLimiterHint : 0
; COMPUTE_PGM_RSRC2:SCRATCH_EN: 0
; COMPUTE_PGM_RSRC2:USER_SGPR: 6
; COMPUTE_PGM_RSRC2:TRAP_HANDLER: 0
; COMPUTE_PGM_RSRC2:TGID_X_EN: 1
; COMPUTE_PGM_RSRC2:TGID_Y_EN: 0
; COMPUTE_PGM_RSRC2:TGID_Z_EN: 0
; COMPUTE_PGM_RSRC2:TIDIG_COMP_CNT: 0
; COMPUTE_PGM_RSRC3_GFX90A:ACCUM_OFFSET: 0
; COMPUTE_PGM_RSRC3_GFX90A:TG_SPLIT: 0
	.section	.text._ZN7rocprim17ROCPRIM_400000_NS6detail17trampoline_kernelINS0_14default_configENS1_20scan_config_selectorIxEEZZNS1_9scan_implILNS1_25lookback_scan_determinismE0ELb0ELb0ES3_N6thrust23THRUST_200600_302600_NS6detail15normal_iteratorINS9_10device_ptrIxEEEESE_x9plus_mod3IxExEEDaPvRmT3_T4_T5_mT6_P12ihipStream_tbENKUlT_T0_E_clISt17integral_constantIbLb1EESU_EEDaSP_SQ_EUlSP_E_NS1_11comp_targetILNS1_3genE5ELNS1_11target_archE942ELNS1_3gpuE9ELNS1_3repE0EEENS1_30default_config_static_selectorELNS0_4arch9wavefront6targetE1EEEvT1_,"axG",@progbits,_ZN7rocprim17ROCPRIM_400000_NS6detail17trampoline_kernelINS0_14default_configENS1_20scan_config_selectorIxEEZZNS1_9scan_implILNS1_25lookback_scan_determinismE0ELb0ELb0ES3_N6thrust23THRUST_200600_302600_NS6detail15normal_iteratorINS9_10device_ptrIxEEEESE_x9plus_mod3IxExEEDaPvRmT3_T4_T5_mT6_P12ihipStream_tbENKUlT_T0_E_clISt17integral_constantIbLb1EESU_EEDaSP_SQ_EUlSP_E_NS1_11comp_targetILNS1_3genE5ELNS1_11target_archE942ELNS1_3gpuE9ELNS1_3repE0EEENS1_30default_config_static_selectorELNS0_4arch9wavefront6targetE1EEEvT1_,comdat
	.protected	_ZN7rocprim17ROCPRIM_400000_NS6detail17trampoline_kernelINS0_14default_configENS1_20scan_config_selectorIxEEZZNS1_9scan_implILNS1_25lookback_scan_determinismE0ELb0ELb0ES3_N6thrust23THRUST_200600_302600_NS6detail15normal_iteratorINS9_10device_ptrIxEEEESE_x9plus_mod3IxExEEDaPvRmT3_T4_T5_mT6_P12ihipStream_tbENKUlT_T0_E_clISt17integral_constantIbLb1EESU_EEDaSP_SQ_EUlSP_E_NS1_11comp_targetILNS1_3genE5ELNS1_11target_archE942ELNS1_3gpuE9ELNS1_3repE0EEENS1_30default_config_static_selectorELNS0_4arch9wavefront6targetE1EEEvT1_ ; -- Begin function _ZN7rocprim17ROCPRIM_400000_NS6detail17trampoline_kernelINS0_14default_configENS1_20scan_config_selectorIxEEZZNS1_9scan_implILNS1_25lookback_scan_determinismE0ELb0ELb0ES3_N6thrust23THRUST_200600_302600_NS6detail15normal_iteratorINS9_10device_ptrIxEEEESE_x9plus_mod3IxExEEDaPvRmT3_T4_T5_mT6_P12ihipStream_tbENKUlT_T0_E_clISt17integral_constantIbLb1EESU_EEDaSP_SQ_EUlSP_E_NS1_11comp_targetILNS1_3genE5ELNS1_11target_archE942ELNS1_3gpuE9ELNS1_3repE0EEENS1_30default_config_static_selectorELNS0_4arch9wavefront6targetE1EEEvT1_
	.globl	_ZN7rocprim17ROCPRIM_400000_NS6detail17trampoline_kernelINS0_14default_configENS1_20scan_config_selectorIxEEZZNS1_9scan_implILNS1_25lookback_scan_determinismE0ELb0ELb0ES3_N6thrust23THRUST_200600_302600_NS6detail15normal_iteratorINS9_10device_ptrIxEEEESE_x9plus_mod3IxExEEDaPvRmT3_T4_T5_mT6_P12ihipStream_tbENKUlT_T0_E_clISt17integral_constantIbLb1EESU_EEDaSP_SQ_EUlSP_E_NS1_11comp_targetILNS1_3genE5ELNS1_11target_archE942ELNS1_3gpuE9ELNS1_3repE0EEENS1_30default_config_static_selectorELNS0_4arch9wavefront6targetE1EEEvT1_
	.p2align	8
	.type	_ZN7rocprim17ROCPRIM_400000_NS6detail17trampoline_kernelINS0_14default_configENS1_20scan_config_selectorIxEEZZNS1_9scan_implILNS1_25lookback_scan_determinismE0ELb0ELb0ES3_N6thrust23THRUST_200600_302600_NS6detail15normal_iteratorINS9_10device_ptrIxEEEESE_x9plus_mod3IxExEEDaPvRmT3_T4_T5_mT6_P12ihipStream_tbENKUlT_T0_E_clISt17integral_constantIbLb1EESU_EEDaSP_SQ_EUlSP_E_NS1_11comp_targetILNS1_3genE5ELNS1_11target_archE942ELNS1_3gpuE9ELNS1_3repE0EEENS1_30default_config_static_selectorELNS0_4arch9wavefront6targetE1EEEvT1_,@function
_ZN7rocprim17ROCPRIM_400000_NS6detail17trampoline_kernelINS0_14default_configENS1_20scan_config_selectorIxEEZZNS1_9scan_implILNS1_25lookback_scan_determinismE0ELb0ELb0ES3_N6thrust23THRUST_200600_302600_NS6detail15normal_iteratorINS9_10device_ptrIxEEEESE_x9plus_mod3IxExEEDaPvRmT3_T4_T5_mT6_P12ihipStream_tbENKUlT_T0_E_clISt17integral_constantIbLb1EESU_EEDaSP_SQ_EUlSP_E_NS1_11comp_targetILNS1_3genE5ELNS1_11target_archE942ELNS1_3gpuE9ELNS1_3repE0EEENS1_30default_config_static_selectorELNS0_4arch9wavefront6targetE1EEEvT1_: ; @_ZN7rocprim17ROCPRIM_400000_NS6detail17trampoline_kernelINS0_14default_configENS1_20scan_config_selectorIxEEZZNS1_9scan_implILNS1_25lookback_scan_determinismE0ELb0ELb0ES3_N6thrust23THRUST_200600_302600_NS6detail15normal_iteratorINS9_10device_ptrIxEEEESE_x9plus_mod3IxExEEDaPvRmT3_T4_T5_mT6_P12ihipStream_tbENKUlT_T0_E_clISt17integral_constantIbLb1EESU_EEDaSP_SQ_EUlSP_E_NS1_11comp_targetILNS1_3genE5ELNS1_11target_archE942ELNS1_3gpuE9ELNS1_3repE0EEENS1_30default_config_static_selectorELNS0_4arch9wavefront6targetE1EEEvT1_
; %bb.0:
	.section	.rodata,"a",@progbits
	.p2align	6, 0x0
	.amdhsa_kernel _ZN7rocprim17ROCPRIM_400000_NS6detail17trampoline_kernelINS0_14default_configENS1_20scan_config_selectorIxEEZZNS1_9scan_implILNS1_25lookback_scan_determinismE0ELb0ELb0ES3_N6thrust23THRUST_200600_302600_NS6detail15normal_iteratorINS9_10device_ptrIxEEEESE_x9plus_mod3IxExEEDaPvRmT3_T4_T5_mT6_P12ihipStream_tbENKUlT_T0_E_clISt17integral_constantIbLb1EESU_EEDaSP_SQ_EUlSP_E_NS1_11comp_targetILNS1_3genE5ELNS1_11target_archE942ELNS1_3gpuE9ELNS1_3repE0EEENS1_30default_config_static_selectorELNS0_4arch9wavefront6targetE1EEEvT1_
		.amdhsa_group_segment_fixed_size 0
		.amdhsa_private_segment_fixed_size 0
		.amdhsa_kernarg_size 104
		.amdhsa_user_sgpr_count 6
		.amdhsa_user_sgpr_private_segment_buffer 1
		.amdhsa_user_sgpr_dispatch_ptr 0
		.amdhsa_user_sgpr_queue_ptr 0
		.amdhsa_user_sgpr_kernarg_segment_ptr 1
		.amdhsa_user_sgpr_dispatch_id 0
		.amdhsa_user_sgpr_flat_scratch_init 0
		.amdhsa_user_sgpr_kernarg_preload_length 0
		.amdhsa_user_sgpr_kernarg_preload_offset 0
		.amdhsa_user_sgpr_private_segment_size 0
		.amdhsa_uses_dynamic_stack 0
		.amdhsa_system_sgpr_private_segment_wavefront_offset 0
		.amdhsa_system_sgpr_workgroup_id_x 1
		.amdhsa_system_sgpr_workgroup_id_y 0
		.amdhsa_system_sgpr_workgroup_id_z 0
		.amdhsa_system_sgpr_workgroup_info 0
		.amdhsa_system_vgpr_workitem_id 0
		.amdhsa_next_free_vgpr 1
		.amdhsa_next_free_sgpr 0
		.amdhsa_accum_offset 4
		.amdhsa_reserve_vcc 0
		.amdhsa_reserve_flat_scratch 0
		.amdhsa_float_round_mode_32 0
		.amdhsa_float_round_mode_16_64 0
		.amdhsa_float_denorm_mode_32 3
		.amdhsa_float_denorm_mode_16_64 3
		.amdhsa_dx10_clamp 1
		.amdhsa_ieee_mode 1
		.amdhsa_fp16_overflow 0
		.amdhsa_tg_split 0
		.amdhsa_exception_fp_ieee_invalid_op 0
		.amdhsa_exception_fp_denorm_src 0
		.amdhsa_exception_fp_ieee_div_zero 0
		.amdhsa_exception_fp_ieee_overflow 0
		.amdhsa_exception_fp_ieee_underflow 0
		.amdhsa_exception_fp_ieee_inexact 0
		.amdhsa_exception_int_div_zero 0
	.end_amdhsa_kernel
	.section	.text._ZN7rocprim17ROCPRIM_400000_NS6detail17trampoline_kernelINS0_14default_configENS1_20scan_config_selectorIxEEZZNS1_9scan_implILNS1_25lookback_scan_determinismE0ELb0ELb0ES3_N6thrust23THRUST_200600_302600_NS6detail15normal_iteratorINS9_10device_ptrIxEEEESE_x9plus_mod3IxExEEDaPvRmT3_T4_T5_mT6_P12ihipStream_tbENKUlT_T0_E_clISt17integral_constantIbLb1EESU_EEDaSP_SQ_EUlSP_E_NS1_11comp_targetILNS1_3genE5ELNS1_11target_archE942ELNS1_3gpuE9ELNS1_3repE0EEENS1_30default_config_static_selectorELNS0_4arch9wavefront6targetE1EEEvT1_,"axG",@progbits,_ZN7rocprim17ROCPRIM_400000_NS6detail17trampoline_kernelINS0_14default_configENS1_20scan_config_selectorIxEEZZNS1_9scan_implILNS1_25lookback_scan_determinismE0ELb0ELb0ES3_N6thrust23THRUST_200600_302600_NS6detail15normal_iteratorINS9_10device_ptrIxEEEESE_x9plus_mod3IxExEEDaPvRmT3_T4_T5_mT6_P12ihipStream_tbENKUlT_T0_E_clISt17integral_constantIbLb1EESU_EEDaSP_SQ_EUlSP_E_NS1_11comp_targetILNS1_3genE5ELNS1_11target_archE942ELNS1_3gpuE9ELNS1_3repE0EEENS1_30default_config_static_selectorELNS0_4arch9wavefront6targetE1EEEvT1_,comdat
.Lfunc_end6553:
	.size	_ZN7rocprim17ROCPRIM_400000_NS6detail17trampoline_kernelINS0_14default_configENS1_20scan_config_selectorIxEEZZNS1_9scan_implILNS1_25lookback_scan_determinismE0ELb0ELb0ES3_N6thrust23THRUST_200600_302600_NS6detail15normal_iteratorINS9_10device_ptrIxEEEESE_x9plus_mod3IxExEEDaPvRmT3_T4_T5_mT6_P12ihipStream_tbENKUlT_T0_E_clISt17integral_constantIbLb1EESU_EEDaSP_SQ_EUlSP_E_NS1_11comp_targetILNS1_3genE5ELNS1_11target_archE942ELNS1_3gpuE9ELNS1_3repE0EEENS1_30default_config_static_selectorELNS0_4arch9wavefront6targetE1EEEvT1_, .Lfunc_end6553-_ZN7rocprim17ROCPRIM_400000_NS6detail17trampoline_kernelINS0_14default_configENS1_20scan_config_selectorIxEEZZNS1_9scan_implILNS1_25lookback_scan_determinismE0ELb0ELb0ES3_N6thrust23THRUST_200600_302600_NS6detail15normal_iteratorINS9_10device_ptrIxEEEESE_x9plus_mod3IxExEEDaPvRmT3_T4_T5_mT6_P12ihipStream_tbENKUlT_T0_E_clISt17integral_constantIbLb1EESU_EEDaSP_SQ_EUlSP_E_NS1_11comp_targetILNS1_3genE5ELNS1_11target_archE942ELNS1_3gpuE9ELNS1_3repE0EEENS1_30default_config_static_selectorELNS0_4arch9wavefront6targetE1EEEvT1_
                                        ; -- End function
	.section	.AMDGPU.csdata,"",@progbits
; Kernel info:
; codeLenInByte = 0
; NumSgprs: 4
; NumVgprs: 0
; NumAgprs: 0
; TotalNumVgprs: 0
; ScratchSize: 0
; MemoryBound: 0
; FloatMode: 240
; IeeeMode: 1
; LDSByteSize: 0 bytes/workgroup (compile time only)
; SGPRBlocks: 0
; VGPRBlocks: 0
; NumSGPRsForWavesPerEU: 4
; NumVGPRsForWavesPerEU: 1
; AccumOffset: 4
; Occupancy: 8
; WaveLimiterHint : 0
; COMPUTE_PGM_RSRC2:SCRATCH_EN: 0
; COMPUTE_PGM_RSRC2:USER_SGPR: 6
; COMPUTE_PGM_RSRC2:TRAP_HANDLER: 0
; COMPUTE_PGM_RSRC2:TGID_X_EN: 1
; COMPUTE_PGM_RSRC2:TGID_Y_EN: 0
; COMPUTE_PGM_RSRC2:TGID_Z_EN: 0
; COMPUTE_PGM_RSRC2:TIDIG_COMP_CNT: 0
; COMPUTE_PGM_RSRC3_GFX90A:ACCUM_OFFSET: 0
; COMPUTE_PGM_RSRC3_GFX90A:TG_SPLIT: 0
	.section	.text._ZN7rocprim17ROCPRIM_400000_NS6detail17trampoline_kernelINS0_14default_configENS1_20scan_config_selectorIxEEZZNS1_9scan_implILNS1_25lookback_scan_determinismE0ELb0ELb0ES3_N6thrust23THRUST_200600_302600_NS6detail15normal_iteratorINS9_10device_ptrIxEEEESE_x9plus_mod3IxExEEDaPvRmT3_T4_T5_mT6_P12ihipStream_tbENKUlT_T0_E_clISt17integral_constantIbLb1EESU_EEDaSP_SQ_EUlSP_E_NS1_11comp_targetILNS1_3genE4ELNS1_11target_archE910ELNS1_3gpuE8ELNS1_3repE0EEENS1_30default_config_static_selectorELNS0_4arch9wavefront6targetE1EEEvT1_,"axG",@progbits,_ZN7rocprim17ROCPRIM_400000_NS6detail17trampoline_kernelINS0_14default_configENS1_20scan_config_selectorIxEEZZNS1_9scan_implILNS1_25lookback_scan_determinismE0ELb0ELb0ES3_N6thrust23THRUST_200600_302600_NS6detail15normal_iteratorINS9_10device_ptrIxEEEESE_x9plus_mod3IxExEEDaPvRmT3_T4_T5_mT6_P12ihipStream_tbENKUlT_T0_E_clISt17integral_constantIbLb1EESU_EEDaSP_SQ_EUlSP_E_NS1_11comp_targetILNS1_3genE4ELNS1_11target_archE910ELNS1_3gpuE8ELNS1_3repE0EEENS1_30default_config_static_selectorELNS0_4arch9wavefront6targetE1EEEvT1_,comdat
	.protected	_ZN7rocprim17ROCPRIM_400000_NS6detail17trampoline_kernelINS0_14default_configENS1_20scan_config_selectorIxEEZZNS1_9scan_implILNS1_25lookback_scan_determinismE0ELb0ELb0ES3_N6thrust23THRUST_200600_302600_NS6detail15normal_iteratorINS9_10device_ptrIxEEEESE_x9plus_mod3IxExEEDaPvRmT3_T4_T5_mT6_P12ihipStream_tbENKUlT_T0_E_clISt17integral_constantIbLb1EESU_EEDaSP_SQ_EUlSP_E_NS1_11comp_targetILNS1_3genE4ELNS1_11target_archE910ELNS1_3gpuE8ELNS1_3repE0EEENS1_30default_config_static_selectorELNS0_4arch9wavefront6targetE1EEEvT1_ ; -- Begin function _ZN7rocprim17ROCPRIM_400000_NS6detail17trampoline_kernelINS0_14default_configENS1_20scan_config_selectorIxEEZZNS1_9scan_implILNS1_25lookback_scan_determinismE0ELb0ELb0ES3_N6thrust23THRUST_200600_302600_NS6detail15normal_iteratorINS9_10device_ptrIxEEEESE_x9plus_mod3IxExEEDaPvRmT3_T4_T5_mT6_P12ihipStream_tbENKUlT_T0_E_clISt17integral_constantIbLb1EESU_EEDaSP_SQ_EUlSP_E_NS1_11comp_targetILNS1_3genE4ELNS1_11target_archE910ELNS1_3gpuE8ELNS1_3repE0EEENS1_30default_config_static_selectorELNS0_4arch9wavefront6targetE1EEEvT1_
	.globl	_ZN7rocprim17ROCPRIM_400000_NS6detail17trampoline_kernelINS0_14default_configENS1_20scan_config_selectorIxEEZZNS1_9scan_implILNS1_25lookback_scan_determinismE0ELb0ELb0ES3_N6thrust23THRUST_200600_302600_NS6detail15normal_iteratorINS9_10device_ptrIxEEEESE_x9plus_mod3IxExEEDaPvRmT3_T4_T5_mT6_P12ihipStream_tbENKUlT_T0_E_clISt17integral_constantIbLb1EESU_EEDaSP_SQ_EUlSP_E_NS1_11comp_targetILNS1_3genE4ELNS1_11target_archE910ELNS1_3gpuE8ELNS1_3repE0EEENS1_30default_config_static_selectorELNS0_4arch9wavefront6targetE1EEEvT1_
	.p2align	8
	.type	_ZN7rocprim17ROCPRIM_400000_NS6detail17trampoline_kernelINS0_14default_configENS1_20scan_config_selectorIxEEZZNS1_9scan_implILNS1_25lookback_scan_determinismE0ELb0ELb0ES3_N6thrust23THRUST_200600_302600_NS6detail15normal_iteratorINS9_10device_ptrIxEEEESE_x9plus_mod3IxExEEDaPvRmT3_T4_T5_mT6_P12ihipStream_tbENKUlT_T0_E_clISt17integral_constantIbLb1EESU_EEDaSP_SQ_EUlSP_E_NS1_11comp_targetILNS1_3genE4ELNS1_11target_archE910ELNS1_3gpuE8ELNS1_3repE0EEENS1_30default_config_static_selectorELNS0_4arch9wavefront6targetE1EEEvT1_,@function
_ZN7rocprim17ROCPRIM_400000_NS6detail17trampoline_kernelINS0_14default_configENS1_20scan_config_selectorIxEEZZNS1_9scan_implILNS1_25lookback_scan_determinismE0ELb0ELb0ES3_N6thrust23THRUST_200600_302600_NS6detail15normal_iteratorINS9_10device_ptrIxEEEESE_x9plus_mod3IxExEEDaPvRmT3_T4_T5_mT6_P12ihipStream_tbENKUlT_T0_E_clISt17integral_constantIbLb1EESU_EEDaSP_SQ_EUlSP_E_NS1_11comp_targetILNS1_3genE4ELNS1_11target_archE910ELNS1_3gpuE8ELNS1_3repE0EEENS1_30default_config_static_selectorELNS0_4arch9wavefront6targetE1EEEvT1_: ; @_ZN7rocprim17ROCPRIM_400000_NS6detail17trampoline_kernelINS0_14default_configENS1_20scan_config_selectorIxEEZZNS1_9scan_implILNS1_25lookback_scan_determinismE0ELb0ELb0ES3_N6thrust23THRUST_200600_302600_NS6detail15normal_iteratorINS9_10device_ptrIxEEEESE_x9plus_mod3IxExEEDaPvRmT3_T4_T5_mT6_P12ihipStream_tbENKUlT_T0_E_clISt17integral_constantIbLb1EESU_EEDaSP_SQ_EUlSP_E_NS1_11comp_targetILNS1_3genE4ELNS1_11target_archE910ELNS1_3gpuE8ELNS1_3repE0EEENS1_30default_config_static_selectorELNS0_4arch9wavefront6targetE1EEEvT1_
; %bb.0:
	v_cmp_ne_u32_e64 s[0:1], 0, v0
	v_cmp_eq_u32_e64 s[2:3], 0, v0
	s_and_saveexec_b64 s[6:7], s[2:3]
	s_cbranch_execz .LBB6554_4
; %bb.1:
	s_mov_b64 s[10:11], exec
	v_mbcnt_lo_u32_b32 v1, s10, 0
	v_mbcnt_hi_u32_b32 v1, s11, v1
	v_cmp_eq_u32_e32 vcc, 0, v1
                                        ; implicit-def: $vgpr2
	s_and_saveexec_b64 s[8:9], vcc
	s_cbranch_execz .LBB6554_3
; %bb.2:
	s_load_dwordx2 s[12:13], s[4:5], 0x60
	s_bcnt1_i32_b64 s10, s[10:11]
	v_mov_b32_e32 v2, 0
	v_mov_b32_e32 v3, s10
	s_waitcnt lgkmcnt(0)
	global_atomic_add v2, v2, v3, s[12:13] glc
.LBB6554_3:
	s_or_b64 exec, exec, s[8:9]
	s_waitcnt vmcnt(0)
	v_readfirstlane_b32 s8, v2
	v_add_u32_e32 v1, s8, v1
	v_mov_b32_e32 v2, 0
	ds_write_b32 v2, v1
.LBB6554_4:
	s_or_b64 exec, exec, s[6:7]
	s_load_dwordx8 s[16:23], s[4:5], 0x0
	s_load_dwordx4 s[24:27], s[4:5], 0x28
	s_load_dword s28, s[4:5], 0x38
	s_load_dwordx8 s[8:15], s[4:5], 0x40
	v_mov_b32_e32 v1, 0
	s_waitcnt lgkmcnt(0)
	s_barrier
	ds_read_b32 v1, v1
	s_lshl_b64 s[6:7], s[18:19], 3
	s_add_u32 s29, s16, s6
	s_addc_u32 s30, s17, s7
	s_add_i32 s16, s28, -1
	s_mul_i32 s17, s16, 0x380
	s_sub_u32 s33, s22, s17
	s_waitcnt lgkmcnt(0)
	v_readfirstlane_b32 s41, v1
	s_subb_u32 s40, s23, 0
	s_mul_i32 s4, s41, 0x380
	s_mov_b32 s5, 0
	s_cmp_lg_u32 s41, s16
	s_cselect_b64 s[16:17], -1, 0
	s_lshl_b64 s[18:19], s[4:5], 3
	s_add_u32 s22, s29, s18
	s_addc_u32 s23, s30, s19
	s_mov_b64 s[4:5], -1
	s_and_b64 vcc, exec, s[16:17]
	v_lshlrev_b32_e32 v34, 3, v0
	s_barrier
	s_cbranch_vccz .LBB6554_6
; %bb.5:
	v_mov_b32_e32 v1, s23
	v_add_co_u32_e32 v2, vcc, s22, v34
	v_addc_co_u32_e32 v3, vcc, 0, v1, vcc
	flat_load_dwordx2 v[4:5], v[2:3]
	flat_load_dwordx2 v[6:7], v[2:3] offset:1024
	flat_load_dwordx2 v[8:9], v[2:3] offset:2048
	;; [unrolled: 1-line block ×3, first 2 shown]
	v_add_co_u32_e32 v2, vcc, 0x1000, v2
	v_addc_co_u32_e32 v3, vcc, 0, v3, vcc
	flat_load_dwordx2 v[12:13], v[2:3]
	flat_load_dwordx2 v[14:15], v[2:3] offset:1024
	flat_load_dwordx2 v[16:17], v[2:3] offset:2048
	s_mov_b64 s[4:5], 0
	s_waitcnt vmcnt(0) lgkmcnt(0)
	ds_write2st64_b64 v34, v[4:5], v[6:7] offset1:2
	ds_write2st64_b64 v34, v[8:9], v[10:11] offset0:4 offset1:6
	ds_write2st64_b64 v34, v[12:13], v[14:15] offset0:8 offset1:10
	ds_write_b64 v34, v[16:17] offset:6144
	s_waitcnt lgkmcnt(0)
	s_barrier
.LBB6554_6:
	s_andn2_b64 vcc, exec, s[4:5]
	v_cmp_gt_u32_e64 s[4:5], s33, v0
	s_cbranch_vccnz .LBB6554_22
; %bb.7:
	v_pk_mov_b32 v[2:3], s[22:23], s[22:23] op_sel:[0,1]
	flat_load_dwordx2 v[2:3], v[2:3]
	s_waitcnt vmcnt(0) lgkmcnt(0)
	v_mov_b32_e32 v4, v2
	v_mov_b32_e32 v5, v3
	;; [unrolled: 1-line block ×10, first 2 shown]
	v_pk_mov_b32 v[18:19], v[14:15], v[14:15] op_sel:[0,1]
	v_pk_mov_b32 v[16:17], v[12:13], v[12:13] op_sel:[0,1]
	;; [unrolled: 1-line block ×8, first 2 shown]
	s_and_saveexec_b64 s[28:29], s[4:5]
	s_cbranch_execz .LBB6554_9
; %bb.8:
	v_mov_b32_e32 v1, s23
	v_add_co_u32_e32 v4, vcc, s22, v34
	v_addc_co_u32_e32 v5, vcc, 0, v1, vcc
	flat_load_dwordx2 v[20:21], v[4:5]
	v_mov_b32_e32 v4, v2
	v_mov_b32_e32 v5, v3
	;; [unrolled: 1-line block ×10, first 2 shown]
	v_pk_mov_b32 v[18:19], v[14:15], v[14:15] op_sel:[0,1]
	v_pk_mov_b32 v[16:17], v[12:13], v[12:13] op_sel:[0,1]
	;; [unrolled: 1-line block ×8, first 2 shown]
	s_waitcnt vmcnt(0) lgkmcnt(0)
	v_pk_mov_b32 v[2:3], v[20:21], v[20:21] op_sel:[0,1]
.LBB6554_9:
	s_or_b64 exec, exec, s[28:29]
	v_or_b32_e32 v1, 0x80, v0
	v_cmp_gt_u32_e32 vcc, s33, v1
	s_and_saveexec_b64 s[4:5], vcc
	s_cbranch_execz .LBB6554_11
; %bb.10:
	v_mov_b32_e32 v1, s23
	v_add_co_u32_e32 v4, vcc, s22, v34
	v_addc_co_u32_e32 v5, vcc, 0, v1, vcc
	flat_load_dwordx2 v[6:7], v[4:5] offset:1024
.LBB6554_11:
	s_or_b64 exec, exec, s[4:5]
	v_or_b32_e32 v1, 0x100, v0
	v_cmp_gt_u32_e32 vcc, s33, v1
	s_and_saveexec_b64 s[4:5], vcc
	s_cbranch_execz .LBB6554_13
; %bb.12:
	v_mov_b32_e32 v1, s23
	v_add_co_u32_e32 v4, vcc, s22, v34
	v_addc_co_u32_e32 v5, vcc, 0, v1, vcc
	flat_load_dwordx2 v[8:9], v[4:5] offset:2048
.LBB6554_13:
	;; [unrolled: 11-line block ×3, first 2 shown]
	s_or_b64 exec, exec, s[4:5]
	v_or_b32_e32 v1, 0x200, v0
	v_cmp_gt_u32_e32 vcc, s33, v1
	s_and_saveexec_b64 s[4:5], vcc
	s_cbranch_execz .LBB6554_17
; %bb.16:
	v_lshlrev_b32_e32 v1, 3, v1
	v_mov_b32_e32 v5, s23
	v_add_co_u32_e32 v4, vcc, s22, v1
	v_addc_co_u32_e32 v5, vcc, 0, v5, vcc
	flat_load_dwordx2 v[12:13], v[4:5]
.LBB6554_17:
	s_or_b64 exec, exec, s[4:5]
	v_or_b32_e32 v1, 0x280, v0
	v_cmp_gt_u32_e32 vcc, s33, v1
	s_and_saveexec_b64 s[4:5], vcc
	s_cbranch_execz .LBB6554_19
; %bb.18:
	v_lshlrev_b32_e32 v1, 3, v1
	v_mov_b32_e32 v5, s23
	v_add_co_u32_e32 v4, vcc, s22, v1
	v_addc_co_u32_e32 v5, vcc, 0, v5, vcc
	flat_load_dwordx2 v[14:15], v[4:5]
.LBB6554_19:
	;; [unrolled: 12-line block ×3, first 2 shown]
	s_or_b64 exec, exec, s[4:5]
	s_waitcnt vmcnt(0) lgkmcnt(0)
	ds_write2st64_b64 v34, v[2:3], v[6:7] offset1:2
	ds_write2st64_b64 v34, v[8:9], v[10:11] offset0:4 offset1:6
	ds_write2st64_b64 v34, v[12:13], v[14:15] offset0:8 offset1:10
	ds_write_b64 v34, v[16:17] offset:6144
	s_waitcnt lgkmcnt(0)
	s_barrier
.LBB6554_22:
	v_mul_u32_u24_e32 v35, 7, v0
	v_lshlrev_b32_e32 v1, 3, v35
	ds_read2_b64 v[2:5], v1 offset1:1
	ds_read2_b64 v[10:13], v1 offset0:2 offset1:3
	ds_read2_b64 v[6:9], v1 offset0:4 offset1:5
	ds_read_b64 v[26:27], v1 offset:48
	s_cmp_lg_u32 s41, 0
	v_lshrrev_b32_e32 v1, 5, v0
	v_cmp_gt_u32_e32 vcc, 64, v0
	s_waitcnt lgkmcnt(0)
	s_barrier
	s_cbranch_scc0 .LBB6554_92
; %bb.23:
	v_add_u32_e32 v19, v4, v2
	v_mov_b32_e32 v18, 0
	v_ashrrev_i64 v[14:15], 29, v[18:19]
	v_mov_b32_e32 v5, s25
	v_add_co_u32_e64 v14, s[4:5], s24, v14
	v_addc_co_u32_e64 v15, s[4:5], v5, v15, s[4:5]
	global_load_dword v5, v[14:15], off
	v_mov_b32_e32 v7, s25
	s_waitcnt vmcnt(0)
	v_add_u32_e32 v19, v5, v10
	v_ashrrev_i64 v[14:15], 29, v[18:19]
	v_add_co_u32_e64 v14, s[4:5], s24, v14
	v_addc_co_u32_e64 v15, s[4:5], v7, v15, s[4:5]
	global_load_dword v5, v[14:15], off
	s_waitcnt vmcnt(0)
	v_add_u32_e32 v19, v5, v12
	v_ashrrev_i64 v[14:15], 29, v[18:19]
	v_add_co_u32_e64 v14, s[4:5], s24, v14
	v_addc_co_u32_e64 v15, s[4:5], v7, v15, s[4:5]
	global_load_dword v5, v[14:15], off
	;; [unrolled: 6-line block ×4, first 2 shown]
	s_waitcnt vmcnt(0)
	v_add_u32_e32 v19, v5, v26
	v_ashrrev_i64 v[14:15], 29, v[18:19]
	v_add_co_u32_e64 v14, s[4:5], s24, v14
	v_addc_co_u32_e64 v15, s[4:5], v7, v15, s[4:5]
	global_load_dwordx2 v[22:23], v[14:15], off
	v_add_lshl_u32 v5, v1, v0, 3
	s_waitcnt vmcnt(0)
	ds_write_b64 v5, v[22:23]
	s_waitcnt lgkmcnt(0)
	s_barrier
	s_and_saveexec_b64 s[22:23], vcc
	s_cbranch_execz .LBB6554_37
; %bb.24:
	v_lshlrev_b32_e32 v5, 1, v0
	v_lshrrev_b32_e32 v7, 4, v0
	v_add_lshl_u32 v5, v7, v5, 3
	ds_read2_b64 v[14:17], v5 offset1:1
	v_mov_b32_e32 v7, s25
	s_waitcnt lgkmcnt(0)
	v_add_u32_e32 v19, v16, v14
	v_ashrrev_i64 v[16:17], 29, v[18:19]
	v_add_co_u32_e64 v16, s[4:5], s24, v16
	v_addc_co_u32_e64 v17, s[4:5], v7, v17, s[4:5]
	global_load_dwordx2 v[16:17], v[16:17], off
	v_mbcnt_lo_u32_b32 v7, -1, 0
	v_mbcnt_hi_u32_b32 v7, -1, v7
	v_and_b32_e32 v9, 15, v7
	v_cmp_ne_u32_e64 s[4:5], 0, v9
	s_waitcnt vmcnt(0)
	v_mov_b32_dpp v11, v16 row_shr:1 row_mask:0xf bank_mask:0xf
	s_and_saveexec_b64 s[28:29], s[4:5]
	s_cbranch_execz .LBB6554_26
; %bb.25:
	v_add_u32_e32 v17, v16, v11
	v_mov_b32_e32 v16, 0
	v_ashrrev_i64 v[16:17], 29, v[16:17]
	v_mov_b32_e32 v11, s25
	v_add_co_u32_e64 v16, s[4:5], s24, v16
	v_addc_co_u32_e64 v17, s[4:5], v11, v17, s[4:5]
	global_load_dwordx2 v[16:17], v[16:17], off
.LBB6554_26:
	s_or_b64 exec, exec, s[28:29]
	s_waitcnt vmcnt(0)
	v_mov_b32_dpp v11, v16 row_shr:2 row_mask:0xf bank_mask:0xf
	v_cmp_lt_u32_e64 s[4:5], 1, v9
	s_and_saveexec_b64 s[28:29], s[4:5]
	s_cbranch_execz .LBB6554_28
; %bb.27:
	v_add_u32_e32 v17, v16, v11
	v_mov_b32_e32 v16, 0
	v_ashrrev_i64 v[16:17], 29, v[16:17]
	v_mov_b32_e32 v11, s25
	v_add_co_u32_e64 v16, s[4:5], s24, v16
	v_addc_co_u32_e64 v17, s[4:5], v11, v17, s[4:5]
	global_load_dwordx2 v[16:17], v[16:17], off
.LBB6554_28:
	s_or_b64 exec, exec, s[28:29]
	s_waitcnt vmcnt(0)
	v_mov_b32_dpp v11, v16 row_shr:4 row_mask:0xf bank_mask:0xf
	v_cmp_lt_u32_e64 s[4:5], 3, v9
	;; [unrolled: 15-line block ×3, first 2 shown]
	s_and_saveexec_b64 s[28:29], s[4:5]
	s_cbranch_execz .LBB6554_32
; %bb.31:
	v_add_u32_e32 v17, v16, v11
	v_mov_b32_e32 v16, 0
	v_ashrrev_i64 v[16:17], 29, v[16:17]
	v_mov_b32_e32 v9, s25
	v_add_co_u32_e64 v16, s[4:5], s24, v16
	v_addc_co_u32_e64 v17, s[4:5], v9, v17, s[4:5]
	global_load_dwordx2 v[16:17], v[16:17], off
.LBB6554_32:
	s_or_b64 exec, exec, s[28:29]
	v_and_b32_e32 v11, 16, v7
	s_waitcnt vmcnt(0)
	v_mov_b32_dpp v9, v16 row_bcast:15 row_mask:0xf bank_mask:0xf
	v_cmp_ne_u32_e64 s[4:5], 0, v11
	s_and_saveexec_b64 s[28:29], s[4:5]
	s_cbranch_execz .LBB6554_34
; %bb.33:
	v_add_u32_e32 v17, v16, v9
	v_mov_b32_e32 v16, 0
	v_ashrrev_i64 v[16:17], 29, v[16:17]
	v_mov_b32_e32 v9, s25
	v_add_co_u32_e64 v16, s[4:5], s24, v16
	v_addc_co_u32_e64 v17, s[4:5], v9, v17, s[4:5]
	global_load_dwordx2 v[16:17], v[16:17], off
.LBB6554_34:
	s_or_b64 exec, exec, s[28:29]
	s_waitcnt vmcnt(0)
	v_mov_b32_dpp v9, v16 row_bcast:31 row_mask:0xf bank_mask:0xf
	v_cmp_lt_u32_e64 s[4:5], 31, v7
	s_and_saveexec_b64 s[28:29], s[4:5]
	s_cbranch_execz .LBB6554_36
; %bb.35:
	v_add_u32_e32 v17, v16, v9
	v_mov_b32_e32 v16, 0
	v_ashrrev_i64 v[16:17], 29, v[16:17]
	v_mov_b32_e32 v9, s25
	v_add_co_u32_e64 v16, s[4:5], s24, v16
	v_addc_co_u32_e64 v17, s[4:5], v9, v17, s[4:5]
	global_load_dword v16, v[16:17], off
.LBB6554_36:
	s_or_b64 exec, exec, s[28:29]
	v_add_u32_e32 v9, -1, v7
	v_and_b32_e32 v11, 64, v7
	v_cmp_lt_i32_e64 s[4:5], v9, v11
	v_cndmask_b32_e64 v7, v9, v7, s[4:5]
	v_lshlrev_b32_e32 v7, 2, v7
	s_waitcnt vmcnt(0)
	ds_bpermute_b32 v7, v7, v16
	v_mov_b32_e32 v16, 0
	v_mov_b32_e32 v9, s25
	s_waitcnt lgkmcnt(0)
	v_add_u32_e32 v17, v14, v7
	v_ashrrev_i64 v[14:15], 29, v[16:17]
	v_add_co_u32_e64 v14, s[4:5], s24, v14
	v_addc_co_u32_e64 v15, s[4:5], v9, v15, s[4:5]
	global_load_dwordx2 v[14:15], v[14:15], off
	; wave barrier
	s_waitcnt vmcnt(0)
	v_cndmask_b32_e64 v15, v15, v23, s[2:3]
	v_cndmask_b32_e64 v14, v14, v22, s[2:3]
	ds_write_b64 v5, v[14:15]
	; wave barrier
	ds_read_b32 v7, v5 offset:8
	s_waitcnt lgkmcnt(0)
	v_add_u32_e32 v17, v7, v14
	v_ashrrev_i64 v[14:15], 29, v[16:17]
	v_add_co_u32_e64 v14, s[4:5], s24, v14
	v_addc_co_u32_e64 v15, s[4:5], v9, v15, s[4:5]
	global_load_dwordx2 v[14:15], v[14:15], off
	s_waitcnt vmcnt(0)
	ds_write_b64 v5, v[14:15] offset:8
.LBB6554_37:
	s_or_b64 exec, exec, s[22:23]
	s_waitcnt lgkmcnt(0)
	s_barrier
	s_and_saveexec_b64 s[4:5], s[0:1]
	s_cbranch_execz .LBB6554_39
; %bb.38:
	v_add_u32_e32 v5, -1, v0
	v_lshrrev_b32_e32 v7, 5, v5
	v_add_lshl_u32 v5, v7, v5, 3
	ds_read_b64 v[22:23], v5
.LBB6554_39:
	s_or_b64 exec, exec, s[4:5]
	s_and_saveexec_b64 s[22:23], vcc
	s_cbranch_execz .LBB6554_89
; %bb.40:
	v_mov_b32_e32 v17, 0
	ds_read_b64 v[14:15], v17 offset:1040
	v_mbcnt_lo_u32_b32 v5, -1, 0
	v_mbcnt_hi_u32_b32 v25, -1, v5
	s_mov_b32 s31, 0
	v_cmp_eq_u32_e64 s[4:5], 0, v25
	s_and_saveexec_b64 s[28:29], s[4:5]
	s_cbranch_execz .LBB6554_42
; %bb.41:
	s_add_i32 s30, s41, 64
	s_lshl_b64 s[30:31], s[30:31], 4
	s_add_u32 s30, s26, s30
	s_addc_u32 s31, s27, s31
	v_mov_b32_e32 v16, 1
	v_pk_mov_b32 v[18:19], s[30:31], s[30:31] op_sel:[0,1]
	s_waitcnt lgkmcnt(0)
	;;#ASMSTART
	global_store_dwordx4 v[18:19], v[14:17] off	
s_waitcnt vmcnt(0)
	;;#ASMEND
.LBB6554_42:
	s_or_b64 exec, exec, s[28:29]
	v_xad_u32 v24, v25, -1, s41
	v_add_u32_e32 v16, 64, v24
	v_lshlrev_b64 v[18:19], 4, v[16:17]
	v_mov_b32_e32 v5, s27
	v_add_co_u32_e32 v28, vcc, s26, v18
	v_addc_co_u32_e32 v29, vcc, v5, v19, vcc
	;;#ASMSTART
	global_load_dwordx4 v[18:21], v[28:29] off glc	
s_waitcnt vmcnt(0)
	;;#ASMEND
	v_and_b32_e32 v5, 0xff, v19
	v_and_b32_e32 v7, 0xff00, v19
	v_or3_b32 v5, 0, v5, v7
	v_or3_b32 v7, v18, 0, 0
	v_and_b32_e32 v9, 0xff000000, v19
	v_and_b32_e32 v11, 0xff0000, v19
	v_or3_b32 v19, v5, v11, v9
	v_or3_b32 v18, v7, 0, 0
	v_cmp_eq_u16_sdwa s[30:31], v20, v17 src0_sel:BYTE_0 src1_sel:DWORD
	s_and_saveexec_b64 s[28:29], s[30:31]
	s_cbranch_execz .LBB6554_48
; %bb.43:
	s_mov_b32 s34, 1
	s_mov_b64 s[30:31], 0
	v_mov_b32_e32 v5, 0
.LBB6554_44:                            ; =>This Loop Header: Depth=1
                                        ;     Child Loop BB6554_45 Depth 2
	s_max_u32 s35, s34, 1
.LBB6554_45:                            ;   Parent Loop BB6554_44 Depth=1
                                        ; =>  This Inner Loop Header: Depth=2
	s_add_i32 s35, s35, -1
	s_cmp_eq_u32 s35, 0
	s_sleep 1
	s_cbranch_scc0 .LBB6554_45
; %bb.46:                               ;   in Loop: Header=BB6554_44 Depth=1
	s_cmp_lt_u32 s34, 32
	s_cselect_b64 s[36:37], -1, 0
	s_cmp_lg_u64 s[36:37], 0
	s_addc_u32 s34, s34, 0
	;;#ASMSTART
	global_load_dwordx4 v[18:21], v[28:29] off glc	
s_waitcnt vmcnt(0)
	;;#ASMEND
	v_cmp_ne_u16_sdwa s[36:37], v20, v5 src0_sel:BYTE_0 src1_sel:DWORD
	s_or_b64 s[30:31], s[36:37], s[30:31]
	s_andn2_b64 exec, exec, s[30:31]
	s_cbranch_execnz .LBB6554_44
; %bb.47:
	s_or_b64 exec, exec, s[30:31]
.LBB6554_48:
	s_or_b64 exec, exec, s[28:29]
	v_mov_b32_e32 v5, 2
	v_cmp_eq_u16_sdwa s[28:29], v20, v5 src0_sel:BYTE_0 src1_sel:DWORD
	v_lshlrev_b64 v[16:17], v25, -1
	v_and_b32_e32 v5, s29, v17
	v_or_b32_e32 v5, 0x80000000, v5
	v_ffbl_b32_e32 v13, v5
	v_and_b32_e32 v5, 63, v25
	v_cmp_ne_u32_e32 vcc, 63, v5
	v_addc_co_u32_e32 v7, vcc, 0, v25, vcc
	v_lshlrev_b32_e32 v7, 2, v7
	ds_bpermute_b32 v9, v7, v18
	v_and_b32_e32 v11, s28, v16
	v_add_u32_e32 v13, 32, v13
	v_ffbl_b32_e32 v11, v11
	v_min_u32_e32 v21, v11, v13
	v_cmp_lt_u32_e32 vcc, v5, v21
	s_and_saveexec_b64 s[28:29], vcc
	s_cbranch_execz .LBB6554_50
; %bb.49:
	s_waitcnt lgkmcnt(0)
	v_add_u32_e32 v19, v18, v9
	v_mov_b32_e32 v18, 0
	v_ashrrev_i64 v[18:19], 29, v[18:19]
	v_mov_b32_e32 v9, s25
	v_add_co_u32_e32 v18, vcc, s24, v18
	v_addc_co_u32_e32 v19, vcc, v9, v19, vcc
	global_load_dwordx2 v[18:19], v[18:19], off
.LBB6554_50:
	s_or_b64 exec, exec, s[28:29]
	v_cmp_gt_u32_e32 vcc, 62, v5
	s_waitcnt lgkmcnt(0)
	v_cndmask_b32_e64 v9, 0, 1, vcc
	v_lshlrev_b32_e32 v9, 1, v9
	v_add_lshl_u32 v9, v9, v25, 2
	s_waitcnt vmcnt(0)
	ds_bpermute_b32 v13, v9, v18
	v_add_u32_e32 v11, 2, v5
	v_cmp_le_u32_e32 vcc, v11, v21
	s_and_saveexec_b64 s[28:29], vcc
	s_cbranch_execz .LBB6554_52
; %bb.51:
	s_waitcnt lgkmcnt(0)
	v_add_u32_e32 v19, v18, v13
	v_mov_b32_e32 v18, 0
	v_ashrrev_i64 v[18:19], 29, v[18:19]
	v_mov_b32_e32 v13, s25
	v_add_co_u32_e32 v18, vcc, s24, v18
	v_addc_co_u32_e32 v19, vcc, v13, v19, vcc
	global_load_dwordx2 v[18:19], v[18:19], off
.LBB6554_52:
	s_or_b64 exec, exec, s[28:29]
	v_cmp_gt_u32_e32 vcc, 60, v5
	s_waitcnt lgkmcnt(0)
	v_cndmask_b32_e64 v13, 0, 1, vcc
	v_lshlrev_b32_e32 v13, 2, v13
	v_add_lshl_u32 v13, v13, v25, 2
	s_waitcnt vmcnt(0)
	ds_bpermute_b32 v23, v13, v18
	v_add_u32_e32 v15, 4, v5
	v_cmp_le_u32_e32 vcc, v15, v21
	;; [unrolled: 22-line block ×5, first 2 shown]
	s_mov_b64 s[28:29], -1
                                        ; implicit-def: $vgpr30_vgpr31
	s_and_saveexec_b64 s[30:31], vcc
	s_cbranch_execz .LBB6554_60
; %bb.59:
	s_waitcnt lgkmcnt(0)
	v_add_co_u32_e32 v30, vcc, v18, v25
	s_xor_b64 s[28:29], exec, -1
.LBB6554_60:
	s_or_b64 exec, exec, s[30:31]
	s_mov_b64 s[30:31], 0
	s_waitcnt lgkmcnt(0)
	v_mov_b32_e32 v25, 0
	v_mov_b32_e32 v38, 2
                                        ; implicit-def: $sgpr34_sgpr35
	s_branch .LBB6554_62
.LBB6554_61:                            ;   in Loop: Header=BB6554_62 Depth=1
	s_or_b64 exec, exec, s[28:29]
	v_subrev_u32_e32 v24, 64, v24
	s_waitcnt vmcnt(0)
	v_add_co_u32_e32 v30, vcc, v18, v28
	s_mov_b64 s[28:29], 0
	s_mov_b64 s[30:31], 0
                                        ; implicit-def: $sgpr34_sgpr35
.LBB6554_62:                            ; =>This Loop Header: Depth=1
                                        ;     Child Loop BB6554_68 Depth 2
                                        ;       Child Loop BB6554_69 Depth 3
	s_waitcnt vmcnt(0) lgkmcnt(0)
	v_pk_mov_b32 v[28:29], v[18:19], v[18:19] op_sel:[0,1]
	s_xor_b64 s[38:39], s[28:29], -1
	s_or_b64 s[34:35], s[34:35], exec
                                        ; implicit-def: $sgpr36_sgpr37
	s_and_saveexec_b64 s[42:43], s[38:39]
	s_xor_b64 s[38:39], exec, s[42:43]
	s_cbranch_execz .LBB6554_64
; %bb.63:                               ;   in Loop: Header=BB6554_62 Depth=1
	v_mov_b32_e32 v18, v25
	v_mov_b32_e32 v19, v30
	v_ashrrev_i64 v[18:19], 29, v[18:19]
	v_mov_b32_e32 v21, s25
	v_add_co_u32_e32 v18, vcc, s24, v18
	v_addc_co_u32_e32 v19, vcc, v21, v19, vcc
	global_load_dwordx2 v[18:19], v[18:19], off
	s_mov_b64 s[36:37], -1
	s_andn2_b64 s[34:35], s[34:35], exec
                                        ; implicit-def: $sgpr28_sgpr29
.LBB6554_64:                            ;   in Loop: Header=BB6554_62 Depth=1
	s_or_b64 exec, exec, s[38:39]
	s_and_b64 s[38:39], exec, s[34:35]
	s_or_b64 s[30:31], s[38:39], s[30:31]
	s_andn2_b64 s[28:29], s[28:29], exec
	s_and_b64 s[36:37], s[36:37], exec
	s_or_b64 s[28:29], s[28:29], s[36:37]
	s_andn2_b64 exec, exec, s[30:31]
	s_cbranch_execnz .LBB6554_62
; %bb.65:                               ;   in Loop: Header=BB6554_62 Depth=1
	s_or_b64 exec, exec, s[30:31]
	v_cmp_ne_u16_sdwa s[28:29], v20, v38 src0_sel:BYTE_0 src1_sel:DWORD
	s_waitcnt vmcnt(0)
	v_cndmask_b32_e64 v18, 0, 1, s[28:29]
	;;#ASMSTART
	;;#ASMEND
	v_cmp_ne_u32_e32 vcc, 0, v18
	s_cmp_lg_u64 vcc, exec
	s_cbranch_scc1 .LBB6554_84
; %bb.66:                               ;   in Loop: Header=BB6554_62 Depth=1
	v_lshlrev_b64 v[18:19], 4, v[24:25]
	v_mov_b32_e32 v20, s27
	v_add_co_u32_e32 v30, vcc, s26, v18
	v_addc_co_u32_e32 v31, vcc, v20, v19, vcc
	;;#ASMSTART
	global_load_dwordx4 v[18:21], v[30:31] off glc	
s_waitcnt vmcnt(0)
	;;#ASMEND
	v_cmp_eq_u16_sdwa s[30:31], v20, v25 src0_sel:BYTE_0 src1_sel:DWORD
                                        ; kill: def $vgpr19 killed $vgpr25 killed $exec
	s_and_saveexec_b64 s[28:29], s[30:31]
	s_cbranch_execz .LBB6554_72
; %bb.67:                               ;   in Loop: Header=BB6554_62 Depth=1
	s_mov_b32 s34, 1
	s_mov_b64 s[30:31], 0
.LBB6554_68:                            ;   Parent Loop BB6554_62 Depth=1
                                        ; =>  This Loop Header: Depth=2
                                        ;       Child Loop BB6554_69 Depth 3
	s_max_u32 s35, s34, 1
.LBB6554_69:                            ;   Parent Loop BB6554_62 Depth=1
                                        ;     Parent Loop BB6554_68 Depth=2
                                        ; =>    This Inner Loop Header: Depth=3
	s_add_i32 s35, s35, -1
	s_cmp_eq_u32 s35, 0
	s_sleep 1
	s_cbranch_scc0 .LBB6554_69
; %bb.70:                               ;   in Loop: Header=BB6554_68 Depth=2
	s_cmp_lt_u32 s34, 32
	s_cselect_b64 s[36:37], -1, 0
	s_cmp_lg_u64 s[36:37], 0
	s_addc_u32 s34, s34, 0
	;;#ASMSTART
	global_load_dwordx4 v[18:21], v[30:31] off glc	
s_waitcnt vmcnt(0)
	;;#ASMEND
	v_cmp_ne_u16_sdwa s[36:37], v20, v25 src0_sel:BYTE_0 src1_sel:DWORD
	s_or_b64 s[30:31], s[36:37], s[30:31]
	s_andn2_b64 exec, exec, s[30:31]
	s_cbranch_execnz .LBB6554_68
; %bb.71:                               ;   in Loop: Header=BB6554_62 Depth=1
	s_or_b64 exec, exec, s[30:31]
                                        ; kill: def $vgpr19 killed $vgpr25 killed $exec
.LBB6554_72:                            ;   in Loop: Header=BB6554_62 Depth=1
	s_or_b64 exec, exec, s[28:29]
	v_cmp_eq_u16_sdwa s[28:29], v20, v38 src0_sel:BYTE_0 src1_sel:DWORD
	v_and_b32_e32 v19, s29, v17
	v_or_b32_e32 v19, 0x80000000, v19
	v_ffbl_b32_e32 v30, v19
	ds_bpermute_b32 v19, v7, v18
	v_and_b32_e32 v21, s28, v16
	v_add_u32_e32 v30, 32, v30
	v_ffbl_b32_e32 v21, v21
	v_min_u32_e32 v21, v21, v30
	v_cmp_lt_u32_e32 vcc, v5, v21
	s_and_saveexec_b64 s[28:29], vcc
	s_cbranch_execz .LBB6554_74
; %bb.73:                               ;   in Loop: Header=BB6554_62 Depth=1
	s_waitcnt lgkmcnt(0)
	v_add_u32_e32 v19, v18, v19
	v_mov_b32_e32 v18, v25
	v_ashrrev_i64 v[18:19], 29, v[18:19]
	v_mov_b32_e32 v30, s25
	v_add_co_u32_e32 v18, vcc, s24, v18
	v_addc_co_u32_e32 v19, vcc, v30, v19, vcc
	global_load_dwordx2 v[18:19], v[18:19], off
.LBB6554_74:                            ;   in Loop: Header=BB6554_62 Depth=1
	s_or_b64 exec, exec, s[28:29]
	s_waitcnt vmcnt(0) lgkmcnt(0)
	ds_bpermute_b32 v19, v9, v18
	v_cmp_le_u32_e32 vcc, v11, v21
	s_and_saveexec_b64 s[28:29], vcc
	s_cbranch_execz .LBB6554_76
; %bb.75:                               ;   in Loop: Header=BB6554_62 Depth=1
	s_waitcnt lgkmcnt(0)
	v_add_u32_e32 v19, v18, v19
	v_mov_b32_e32 v18, v25
	v_ashrrev_i64 v[18:19], 29, v[18:19]
	v_mov_b32_e32 v30, s25
	v_add_co_u32_e32 v18, vcc, s24, v18
	v_addc_co_u32_e32 v19, vcc, v30, v19, vcc
	global_load_dwordx2 v[18:19], v[18:19], off
.LBB6554_76:                            ;   in Loop: Header=BB6554_62 Depth=1
	s_or_b64 exec, exec, s[28:29]
	s_waitcnt vmcnt(0) lgkmcnt(0)
	ds_bpermute_b32 v19, v13, v18
	v_cmp_le_u32_e32 vcc, v15, v21
	;; [unrolled: 16-line block ×5, first 2 shown]
	s_and_saveexec_b64 s[28:29], vcc
	s_cbranch_execz .LBB6554_61
; %bb.83:                               ;   in Loop: Header=BB6554_62 Depth=1
	s_waitcnt lgkmcnt(0)
	v_add_u32_e32 v19, v18, v19
	v_mov_b32_e32 v18, v25
	v_ashrrev_i64 v[18:19], 29, v[18:19]
	v_mov_b32_e32 v21, s25
	v_add_co_u32_e32 v18, vcc, s24, v18
	v_addc_co_u32_e32 v19, vcc, v21, v19, vcc
	global_load_dwordx2 v[18:19], v[18:19], off
	s_branch .LBB6554_61
.LBB6554_84:                            ;   in Loop: Header=BB6554_62 Depth=1
	s_mov_b64 s[28:29], -1
                                        ; implicit-def: $vgpr30_vgpr31
                                        ; implicit-def: $vgpr20
	s_mov_b64 s[30:31], 0
                                        ; implicit-def: $sgpr34_sgpr35
	s_cbranch_execz .LBB6554_62
; %bb.85:
	s_and_saveexec_b64 s[28:29], s[4:5]
	s_cbranch_execz .LBB6554_87
; %bb.86:
	s_waitcnt lgkmcnt(0)
	v_add_u32_e32 v19, v28, v14
	v_mov_b32_e32 v18, 0
	s_mov_b32 s5, 0
	s_add_i32 s4, s41, 64
	v_ashrrev_i64 v[14:15], 29, v[18:19]
	s_lshl_b64 s[4:5], s[4:5], 4
	v_mov_b32_e32 v5, s25
	v_add_co_u32_e32 v14, vcc, s24, v14
	s_add_u32 s4, s26, s4
	v_addc_co_u32_e32 v15, vcc, v5, v15, vcc
	s_addc_u32 s5, s27, s5
	global_load_dwordx2 v[14:15], v[14:15], off
	v_mov_b32_e32 v16, 2
	v_mov_b32_e32 v17, v18
	v_pk_mov_b32 v[18:19], s[4:5], s[4:5] op_sel:[0,1]
	s_waitcnt vmcnt(0)
	;;#ASMSTART
	global_store_dwordx4 v[18:19], v[14:17] off	
s_waitcnt vmcnt(0)
	;;#ASMEND
.LBB6554_87:
	s_or_b64 exec, exec, s[28:29]
	s_and_b64 exec, exec, s[2:3]
	s_cbranch_execz .LBB6554_89
; %bb.88:
	v_mov_b32_e32 v5, 0
	ds_write_b64 v5, v[28:29]
.LBB6554_89:
	s_or_b64 exec, exec, s[22:23]
	v_mov_b32_e32 v16, 0
	s_waitcnt lgkmcnt(0)
	s_barrier
	ds_read_b64 v[14:15], v16
	v_pk_mov_b32 v[18:19], v[2:3], v[2:3] op_sel:[0,1]
	s_and_saveexec_b64 s[4:5], s[0:1]
	s_cbranch_execz .LBB6554_91
; %bb.90:
	v_add_u32_e32 v17, v22, v2
	v_ashrrev_i64 v[18:19], 29, v[16:17]
	v_mov_b32_e32 v5, s25
	v_add_co_u32_e32 v18, vcc, s24, v18
	v_addc_co_u32_e32 v19, vcc, v5, v19, vcc
	global_load_dwordx2 v[18:19], v[18:19], off
.LBB6554_91:
	s_or_b64 exec, exec, s[4:5]
	s_waitcnt vmcnt(0) lgkmcnt(0)
	v_add_u32_e32 v17, v18, v14
	v_ashrrev_i64 v[14:15], 29, v[16:17]
	v_mov_b32_e32 v5, s25
	v_add_co_u32_e32 v14, vcc, s24, v14
	v_addc_co_u32_e32 v15, vcc, v5, v15, vcc
	global_load_dwordx2 v[20:21], v[14:15], off
	s_waitcnt vmcnt(0)
	v_add_u32_e32 v17, v20, v4
	v_ashrrev_i64 v[14:15], 29, v[16:17]
	v_add_co_u32_e32 v14, vcc, s24, v14
	v_addc_co_u32_e32 v15, vcc, v5, v15, vcc
	global_load_dwordx2 v[28:29], v[14:15], off
	s_waitcnt vmcnt(0)
	v_add_u32_e32 v17, v28, v10
	v_ashrrev_i64 v[14:15], 29, v[16:17]
	;; [unrolled: 6-line block ×6, first 2 shown]
	v_add_co_u32_e32 v16, vcc, s24, v16
	v_addc_co_u32_e32 v17, vcc, v5, v17, vcc
	global_load_dwordx2 v[24:25], v[16:17], off
	s_branch .LBB6554_116
.LBB6554_92:
                                        ; implicit-def: $vgpr18_vgpr19_vgpr20_vgpr21
                                        ; implicit-def: $vgpr24_vgpr25
                                        ; implicit-def: $vgpr32_vgpr33
                                        ; implicit-def: $vgpr30_vgpr31
                                        ; implicit-def: $vgpr28_vgpr29
                                        ; implicit-def: $vgpr14_vgpr15_vgpr16_vgpr17
                                        ; implicit-def: $vgpr20_vgpr21_vgpr22_vgpr23
	s_cbranch_execz .LBB6554_116
; %bb.93:
	s_cmp_lg_u64 s[12:13], 0
	s_cselect_b64 s[4:5], -1, 0
	s_and_b64 s[12:13], s[2:3], s[4:5]
	s_and_saveexec_b64 s[4:5], s[12:13]
	s_cbranch_execz .LBB6554_95
; %bb.94:
	v_mov_b32_e32 v14, 0
	global_load_dword v3, v14, s[8:9]
	v_mov_b32_e32 v5, s25
	s_waitcnt vmcnt(0)
	v_add_u32_e32 v15, v3, v2
	v_ashrrev_i64 v[2:3], 29, v[14:15]
	v_add_co_u32_e32 v2, vcc, s24, v2
	v_addc_co_u32_e32 v3, vcc, v5, v3, vcc
	global_load_dwordx2 v[2:3], v[2:3], off
.LBB6554_95:
	s_or_b64 exec, exec, s[4:5]
	s_waitcnt vmcnt(0)
	v_add_u32_e32 v23, v4, v2
	v_mov_b32_e32 v22, 0
	v_ashrrev_i64 v[18:19], 29, v[22:23]
	v_mov_b32_e32 v5, s25
	v_add_co_u32_e32 v14, vcc, s24, v18
	v_addc_co_u32_e32 v15, vcc, v5, v19, vcc
	global_load_dword v5, v[14:15], off
	v_mov_b32_e32 v7, s25
	v_add_lshl_u32 v1, v1, v0, 3
	s_waitcnt vmcnt(0)
	v_add_u32_e32 v23, v10, v5
	v_ashrrev_i64 v[14:15], 29, v[22:23]
	v_add_co_u32_e32 v14, vcc, s24, v14
	v_addc_co_u32_e32 v15, vcc, v7, v15, vcc
	global_load_dword v5, v[14:15], off
	s_waitcnt vmcnt(0)
	v_add_u32_e32 v23, v5, v12
	v_ashrrev_i64 v[14:15], 29, v[22:23]
	v_add_co_u32_e32 v14, vcc, s24, v14
	v_addc_co_u32_e32 v15, vcc, v7, v15, vcc
	global_load_dword v5, v[14:15], off
	;; [unrolled: 6-line block ×4, first 2 shown]
	s_waitcnt vmcnt(0)
	v_add_u32_e32 v23, v5, v26
	v_ashrrev_i64 v[14:15], 29, v[22:23]
	v_add_co_u32_e32 v14, vcc, s24, v14
	v_addc_co_u32_e32 v15, vcc, v7, v15, vcc
	global_load_dwordx2 v[20:21], v[14:15], off
	v_cmp_gt_u32_e32 vcc, 64, v0
	s_waitcnt vmcnt(0)
	ds_write_b64 v1, v[20:21]
	s_waitcnt lgkmcnt(0)
	s_barrier
	s_and_saveexec_b64 s[4:5], vcc
	s_cbranch_execz .LBB6554_109
; %bb.96:
	v_lshlrev_b32_e32 v1, 1, v0
	v_lshrrev_b32_e32 v5, 4, v0
	v_add_lshl_u32 v1, v5, v1, 3
	ds_read2_b64 v[14:17], v1 offset1:1
	v_mov_b32_e32 v5, s25
	s_waitcnt lgkmcnt(0)
	v_add_u32_e32 v23, v16, v14
	v_ashrrev_i64 v[16:17], 29, v[22:23]
	v_add_co_u32_e32 v16, vcc, s24, v16
	v_addc_co_u32_e32 v17, vcc, v5, v17, vcc
	global_load_dwordx2 v[16:17], v[16:17], off
	v_mbcnt_lo_u32_b32 v5, -1, 0
	v_mbcnt_hi_u32_b32 v5, -1, v5
	v_and_b32_e32 v7, 15, v5
	v_cmp_ne_u32_e32 vcc, 0, v7
	s_waitcnt vmcnt(0)
	v_mov_b32_dpp v9, v16 row_shr:1 row_mask:0xf bank_mask:0xf
	s_and_saveexec_b64 s[8:9], vcc
	s_cbranch_execz .LBB6554_98
; %bb.97:
	v_add_u32_e32 v17, v16, v9
	v_mov_b32_e32 v16, 0
	v_ashrrev_i64 v[16:17], 29, v[16:17]
	v_mov_b32_e32 v9, s25
	v_add_co_u32_e32 v16, vcc, s24, v16
	v_addc_co_u32_e32 v17, vcc, v9, v17, vcc
	global_load_dwordx2 v[16:17], v[16:17], off
.LBB6554_98:
	s_or_b64 exec, exec, s[8:9]
	s_waitcnt vmcnt(0)
	v_mov_b32_dpp v9, v16 row_shr:2 row_mask:0xf bank_mask:0xf
	v_cmp_lt_u32_e32 vcc, 1, v7
	s_and_saveexec_b64 s[8:9], vcc
	s_cbranch_execz .LBB6554_100
; %bb.99:
	v_add_u32_e32 v17, v16, v9
	v_mov_b32_e32 v16, 0
	v_ashrrev_i64 v[16:17], 29, v[16:17]
	v_mov_b32_e32 v9, s25
	v_add_co_u32_e32 v16, vcc, s24, v16
	v_addc_co_u32_e32 v17, vcc, v9, v17, vcc
	global_load_dwordx2 v[16:17], v[16:17], off
.LBB6554_100:
	s_or_b64 exec, exec, s[8:9]
	s_waitcnt vmcnt(0)
	v_mov_b32_dpp v9, v16 row_shr:4 row_mask:0xf bank_mask:0xf
	v_cmp_lt_u32_e32 vcc, 3, v7
	;; [unrolled: 15-line block ×3, first 2 shown]
	s_and_saveexec_b64 s[8:9], vcc
	s_cbranch_execz .LBB6554_104
; %bb.103:
	v_add_u32_e32 v17, v16, v9
	v_mov_b32_e32 v16, 0
	v_ashrrev_i64 v[16:17], 29, v[16:17]
	v_mov_b32_e32 v7, s25
	v_add_co_u32_e32 v16, vcc, s24, v16
	v_addc_co_u32_e32 v17, vcc, v7, v17, vcc
	global_load_dwordx2 v[16:17], v[16:17], off
.LBB6554_104:
	s_or_b64 exec, exec, s[8:9]
	v_and_b32_e32 v9, 16, v5
	s_waitcnt vmcnt(0)
	v_mov_b32_dpp v7, v16 row_bcast:15 row_mask:0xf bank_mask:0xf
	v_cmp_ne_u32_e32 vcc, 0, v9
	s_and_saveexec_b64 s[8:9], vcc
	s_cbranch_execz .LBB6554_106
; %bb.105:
	v_add_u32_e32 v17, v16, v7
	v_mov_b32_e32 v16, 0
	v_ashrrev_i64 v[16:17], 29, v[16:17]
	v_mov_b32_e32 v7, s25
	v_add_co_u32_e32 v16, vcc, s24, v16
	v_addc_co_u32_e32 v17, vcc, v7, v17, vcc
	global_load_dwordx2 v[16:17], v[16:17], off
.LBB6554_106:
	s_or_b64 exec, exec, s[8:9]
	s_waitcnt vmcnt(0)
	v_mov_b32_dpp v7, v16 row_bcast:31 row_mask:0xf bank_mask:0xf
	v_cmp_lt_u32_e32 vcc, 31, v5
	s_and_saveexec_b64 s[8:9], vcc
	s_cbranch_execz .LBB6554_108
; %bb.107:
	v_add_u32_e32 v17, v16, v7
	v_mov_b32_e32 v16, 0
	v_ashrrev_i64 v[16:17], 29, v[16:17]
	v_mov_b32_e32 v7, s25
	v_add_co_u32_e32 v16, vcc, s24, v16
	v_addc_co_u32_e32 v17, vcc, v7, v17, vcc
	global_load_dword v16, v[16:17], off
.LBB6554_108:
	s_or_b64 exec, exec, s[8:9]
	v_add_u32_e32 v7, -1, v5
	v_and_b32_e32 v9, 64, v5
	v_cmp_lt_i32_e32 vcc, v7, v9
	v_cndmask_b32_e32 v5, v7, v5, vcc
	v_lshlrev_b32_e32 v5, 2, v5
	s_waitcnt vmcnt(0)
	ds_bpermute_b32 v5, v5, v16
	v_mov_b32_e32 v16, 0
	v_mov_b32_e32 v7, s25
	s_waitcnt lgkmcnt(0)
	v_add_u32_e32 v17, v14, v5
	v_ashrrev_i64 v[14:15], 29, v[16:17]
	v_add_co_u32_e32 v14, vcc, s24, v14
	v_addc_co_u32_e32 v15, vcc, v7, v15, vcc
	global_load_dwordx2 v[14:15], v[14:15], off
	; wave barrier
	s_waitcnt vmcnt(0)
	v_cndmask_b32_e64 v15, v15, v21, s[2:3]
	v_cndmask_b32_e64 v14, v14, v20, s[2:3]
	ds_write_b64 v1, v[14:15]
	; wave barrier
	ds_read_b32 v5, v1 offset:8
	s_waitcnt lgkmcnt(0)
	v_add_u32_e32 v17, v5, v14
	v_ashrrev_i64 v[14:15], 29, v[16:17]
	v_add_co_u32_e32 v14, vcc, s24, v14
	v_addc_co_u32_e32 v15, vcc, v7, v15, vcc
	global_load_dwordx2 v[14:15], v[14:15], off
	s_waitcnt vmcnt(0)
	ds_write_b64 v1, v[14:15] offset:8
.LBB6554_109:
	s_or_b64 exec, exec, s[4:5]
	s_waitcnt lgkmcnt(0)
	s_barrier
	s_and_saveexec_b64 s[2:3], s[0:1]
	s_cbranch_execz .LBB6554_111
; %bb.110:
	v_add_u32_e32 v1, -1, v0
	v_lshrrev_b32_e32 v5, 5, v1
	v_add_lshl_u32 v1, v5, v1, 3
	ds_read_b64 v[20:21], v1
.LBB6554_111:
	s_or_b64 exec, exec, s[2:3]
	s_and_saveexec_b64 s[2:3], s[0:1]
	s_cbranch_execz .LBB6554_113
; %bb.112:
	s_waitcnt lgkmcnt(0)
	v_add_u32_e32 v15, v20, v2
	v_mov_b32_e32 v14, 0
	v_ashrrev_i64 v[2:3], 29, v[14:15]
	v_mov_b32_e32 v1, s25
	v_add_co_u32_e32 v2, vcc, s24, v2
	v_addc_co_u32_e32 v3, vcc, v1, v3, vcc
	global_load_dwordx2 v[2:3], v[2:3], off
	;;#ASMSTART
	;;#ASMEND
	s_waitcnt vmcnt(0)
	v_add_u32_e32 v15, v2, v4
	v_ashrrev_i64 v[18:19], 29, v[14:15]
.LBB6554_113:
	s_or_b64 exec, exec, s[2:3]
	v_mov_b32_e32 v1, s25
	v_add_co_u32_e32 v4, vcc, s24, v18
	v_addc_co_u32_e32 v5, vcc, v1, v19, vcc
	global_load_dwordx2 v[28:29], v[4:5], off
	v_mov_b32_e32 v4, 0
	s_movk_i32 s0, 0x7f
	s_waitcnt vmcnt(0)
	v_add_u32_e32 v5, v28, v10
	v_ashrrev_i64 v[10:11], 29, v[4:5]
	v_add_co_u32_e32 v10, vcc, s24, v10
	v_addc_co_u32_e32 v11, vcc, v1, v11, vcc
	global_load_dwordx2 v[14:15], v[10:11], off
	s_waitcnt vmcnt(0)
	v_add_u32_e32 v5, v14, v12
	v_ashrrev_i64 v[10:11], 29, v[4:5]
	v_add_co_u32_e32 v10, vcc, s24, v10
	v_addc_co_u32_e32 v11, vcc, v1, v11, vcc
	global_load_dwordx2 v[30:31], v[10:11], off
	s_waitcnt vmcnt(0)
	v_add_u32_e32 v5, v30, v6
	v_ashrrev_i64 v[6:7], 29, v[4:5]
	v_add_co_u32_e32 v6, vcc, s24, v6
	v_addc_co_u32_e32 v7, vcc, v1, v7, vcc
	global_load_dwordx2 v[18:19], v[6:7], off
	s_waitcnt vmcnt(0)
	v_add_u32_e32 v5, v18, v8
	v_ashrrev_i64 v[6:7], 29, v[4:5]
	v_add_co_u32_e32 v6, vcc, s24, v6
	v_addc_co_u32_e32 v7, vcc, v1, v7, vcc
	global_load_dwordx2 v[32:33], v[6:7], off
	s_waitcnt vmcnt(0)
	v_add_u32_e32 v5, v32, v26
	v_ashrrev_i64 v[6:7], 29, v[4:5]
	v_add_co_u32_e32 v6, vcc, s24, v6
	v_addc_co_u32_e32 v7, vcc, v1, v7, vcc
	global_load_dwordx2 v[24:25], v[6:7], off
	v_cmp_eq_u32_e32 vcc, s0, v0
	s_and_saveexec_b64 s[0:1], vcc
	s_cbranch_execz .LBB6554_115
; %bb.114:
	s_add_u32 s2, s26, 0x400
	s_addc_u32 s3, s27, 0
	v_mov_b32_e32 v26, 2
	v_mov_b32_e32 v27, v4
	v_pk_mov_b32 v[4:5], s[2:3], s[2:3] op_sel:[0,1]
	s_waitcnt vmcnt(0)
	;;#ASMSTART
	global_store_dwordx4 v[4:5], v[24:27] off	
s_waitcnt vmcnt(0)
	;;#ASMEND
.LBB6554_115:
	s_or_b64 exec, exec, s[0:1]
	s_waitcnt lgkmcnt(0)
	v_pk_mov_b32 v[20:21], v[2:3], v[2:3] op_sel:[0,1]
.LBB6554_116:
	s_add_u32 s0, s20, s6
	s_addc_u32 s1, s21, s7
	s_add_u32 s2, s0, s18
	s_addc_u32 s3, s1, s19
	s_mov_b64 s[0:1], -1
	s_and_b64 vcc, exec, s[16:17]
	v_mul_u32_u24_e32 v1, 56, v0
	s_barrier
	s_cbranch_vccz .LBB6554_118
; %bb.117:
	v_mul_i32_i24_e32 v2, 0xffffffd0, v0
	v_mad_u32_u24 v16, v0, 56, v2
	ds_write2_b64 v1, v[20:21], v[28:29] offset1:1
	ds_write2_b64 v1, v[14:15], v[30:31] offset0:2 offset1:3
	ds_write2_b64 v1, v[18:19], v[32:33] offset0:4 offset1:5
	s_waitcnt vmcnt(0)
	ds_write_b64 v1, v[24:25] offset:48
	s_waitcnt lgkmcnt(0)
	s_barrier
	ds_read2st64_b64 v[2:5], v16 offset1:2
	ds_read2st64_b64 v[6:9], v16 offset0:4 offset1:6
	ds_read2st64_b64 v[10:13], v16 offset0:8 offset1:10
	ds_read_b64 v[16:17], v16 offset:6144
	v_mov_b32_e32 v23, s3
	v_add_co_u32_e32 v22, vcc, s2, v34
	v_addc_co_u32_e32 v23, vcc, 0, v23, vcc
	s_waitcnt lgkmcnt(3)
	flat_store_dwordx2 v[22:23], v[2:3]
	flat_store_dwordx2 v[22:23], v[4:5] offset:1024
	s_waitcnt lgkmcnt(0)
	flat_store_dwordx2 v[22:23], v[6:7] offset:2048
	flat_store_dwordx2 v[22:23], v[8:9] offset:3072
	v_add_co_u32_e32 v2, vcc, 0x1000, v22
	v_addc_co_u32_e32 v3, vcc, 0, v23, vcc
	flat_store_dwordx2 v[2:3], v[10:11]
	flat_store_dwordx2 v[2:3], v[12:13] offset:1024
	flat_store_dwordx2 v[2:3], v[16:17] offset:2048
	s_mov_b64 s[0:1], 0
.LBB6554_118:
	s_andn2_b64 vcc, exec, s[0:1]
	s_cbranch_vccnz .LBB6554_157
; %bb.119:
	v_mul_i32_i24_e32 v2, 0xffffffd0, v0
	ds_write2_b64 v1, v[20:21], v[28:29] offset1:1
	ds_write2_b64 v1, v[14:15], v[30:31] offset0:2 offset1:3
	ds_write2_b64 v1, v[18:19], v[32:33] offset0:4 offset1:5
	s_waitcnt vmcnt(0)
	ds_write_b64 v1, v[24:25] offset:48
	v_mad_u32_u24 v14, v0, 56, v2
	s_waitcnt lgkmcnt(0)
	s_barrier
	ds_read2st64_b64 v[2:5], v14 offset1:2
	ds_read2st64_b64 v[6:9], v14 offset0:4 offset1:6
	ds_read2st64_b64 v[10:13], v14 offset0:8 offset1:10
	ds_read_b64 v[14:15], v14 offset:6144
	v_mov_b32_e32 v17, s3
	v_add_co_u32_e32 v16, vcc, s2, v34
	v_addc_co_u32_e32 v17, vcc, 0, v17, vcc
	v_mov_b32_e32 v1, 0
	v_cmp_gt_u32_e32 vcc, s33, v0
	s_and_saveexec_b64 s[0:1], vcc
	s_cbranch_execz .LBB6554_121
; %bb.120:
	s_waitcnt lgkmcnt(3)
	flat_store_dwordx2 v[16:17], v[2:3]
.LBB6554_121:
	s_or_b64 exec, exec, s[0:1]
	v_or_b32_e32 v18, 0x80, v0
	v_cmp_gt_u32_e32 vcc, s33, v18
	s_and_saveexec_b64 s[0:1], vcc
	s_cbranch_execz .LBB6554_123
; %bb.122:
	s_waitcnt lgkmcnt(0)
	flat_store_dwordx2 v[16:17], v[4:5] offset:1024
.LBB6554_123:
	s_or_b64 exec, exec, s[0:1]
	v_or_b32_e32 v18, 0x100, v0
	v_cmp_gt_u32_e32 vcc, s33, v18
	s_and_saveexec_b64 s[0:1], vcc
	s_cbranch_execz .LBB6554_125
; %bb.124:
	s_waitcnt lgkmcnt(0)
	flat_store_dwordx2 v[16:17], v[6:7] offset:2048
.LBB6554_125:
	;; [unrolled: 9-line block ×3, first 2 shown]
	s_or_b64 exec, exec, s[0:1]
	v_or_b32_e32 v18, 0x200, v0
	v_cmp_gt_u32_e32 vcc, s33, v18
	s_and_saveexec_b64 s[0:1], vcc
	s_cbranch_execz .LBB6554_129
; %bb.128:
	v_add_co_u32_e32 v18, vcc, 0x1000, v16
	v_addc_co_u32_e32 v19, vcc, 0, v17, vcc
	s_waitcnt lgkmcnt(0)
	flat_store_dwordx2 v[18:19], v[10:11]
.LBB6554_129:
	s_or_b64 exec, exec, s[0:1]
	v_or_b32_e32 v18, 0x280, v0
	v_cmp_gt_u32_e32 vcc, s33, v18
	s_and_saveexec_b64 s[0:1], vcc
	s_cbranch_execz .LBB6554_131
; %bb.130:
	v_add_co_u32_e32 v18, vcc, 0x1000, v16
	v_addc_co_u32_e32 v19, vcc, 0, v17, vcc
	s_waitcnt lgkmcnt(0)
	flat_store_dwordx2 v[18:19], v[12:13] offset:1024
.LBB6554_131:
	s_or_b64 exec, exec, s[0:1]
	v_or_b32_e32 v18, 0x300, v0
	v_cmp_gt_u32_e32 vcc, s33, v18
	s_and_saveexec_b64 s[0:1], vcc
	s_cbranch_execz .LBB6554_133
; %bb.132:
	v_add_co_u32_e32 v16, vcc, 0x1000, v16
	v_addc_co_u32_e32 v17, vcc, 0, v17, vcc
	s_waitcnt lgkmcnt(0)
	flat_store_dwordx2 v[16:17], v[14:15] offset:2048
.LBB6554_133:
	s_or_b64 exec, exec, s[0:1]
	v_cmp_lt_u64_e64 s[0:1], s[14:15], 2
	s_and_b64 vcc, exec, s[0:1]
	s_cbranch_vccnz .LBB6554_157
; %bb.134:
	s_add_u32 s0, s33, -1
	s_addc_u32 s1, s40, -1
	s_add_u32 s2, 0, 0x92481000
	s_addc_u32 s3, 0, 0x64
	s_add_i32 s3, s3, 0x249248c0
	s_mul_hi_u32 s7, s2, -7
	s_sub_i32 s7, s7, s2
	s_mul_i32 s8, s3, -7
	s_mul_i32 s4, s2, -7
	s_add_i32 s7, s7, s8
	s_mul_hi_u32 s5, s3, s4
	s_mul_i32 s6, s3, s4
	s_mul_i32 s9, s2, s7
	s_mul_hi_u32 s4, s2, s4
	s_mul_hi_u32 s8, s2, s7
	s_add_u32 s4, s4, s9
	s_addc_u32 s8, 0, s8
	s_add_u32 s4, s4, s6
	s_mul_hi_u32 s9, s3, s7
	s_addc_u32 s4, s8, s5
	s_addc_u32 s5, s9, 0
	s_mul_i32 s6, s3, s7
	s_add_u32 s4, s4, s6
	v_mov_b32_e32 v16, s4
	s_addc_u32 s5, 0, s5
	v_add_co_u32_e32 v16, vcc, s2, v16
	s_cmp_lg_u64 vcc, 0
	s_addc_u32 s2, s3, s5
	v_readfirstlane_b32 s5, v16
	s_mul_i32 s4, s0, s2
	s_mul_hi_u32 s6, s0, s5
	s_mul_hi_u32 s3, s0, s2
	s_add_u32 s4, s6, s4
	s_addc_u32 s3, 0, s3
	s_mul_hi_u32 s7, s1, s5
	s_mul_i32 s5, s1, s5
	s_add_u32 s4, s4, s5
	s_mul_hi_u32 s6, s1, s2
	s_addc_u32 s3, s3, s7
	s_addc_u32 s4, s6, 0
	s_mul_i32 s2, s1, s2
	s_add_u32 s2, s3, s2
	s_addc_u32 s3, 0, s4
	s_add_u32 s4, s2, 1
	s_addc_u32 s5, s3, 0
	s_add_u32 s6, s2, 2
	s_mul_i32 s8, s3, 7
	s_mul_hi_u32 s9, s2, 7
	s_addc_u32 s7, s3, 0
	s_add_i32 s9, s9, s8
	s_mul_i32 s8, s2, 7
	v_mov_b32_e32 v16, s8
	v_sub_co_u32_e32 v16, vcc, s0, v16
	s_cmp_lg_u64 vcc, 0
	s_subb_u32 s8, s1, s9
	v_subrev_co_u32_e32 v17, vcc, 7, v16
	s_cmp_lg_u64 vcc, 0
	s_subb_u32 s9, s8, 0
	v_readfirstlane_b32 s12, v17
	s_cmp_gt_u32 s12, 6
	s_cselect_b32 s12, -1, 0
	s_cmp_eq_u32 s9, 0
	s_cselect_b32 s9, s12, -1
	s_cmp_lg_u32 s9, 0
	s_cselect_b32 s4, s6, s4
	v_readfirstlane_b32 s6, v16
	s_cselect_b32 s5, s7, s5
	s_cmp_gt_u32 s6, 6
	s_cselect_b32 s6, -1, 0
	s_cmp_eq_u32 s8, 0
	s_cselect_b32 s6, s6, -1
	s_cmp_lg_u32 s6, 0
	s_cselect_b32 s3, s5, s3
	s_cselect_b32 s2, s4, s2
	v_cmp_eq_u64_e32 vcc, s[2:3], v[0:1]
	s_and_saveexec_b64 s[2:3], vcc
	s_cbranch_execz .LBB6554_157
; %bb.135:
	v_mul_hi_u32_u24_e32 v1, 7, v0
	v_mov_b32_e32 v16, s1
	v_sub_co_u32_e32 v0, vcc, s0, v35
	v_subb_co_u32_e32 v1, vcc, v16, v1, vcc
	v_cmp_lt_i64_e32 vcc, 3, v[0:1]
	s_and_saveexec_b64 s[0:1], vcc
	s_xor_b64 s[0:1], exec, s[0:1]
	s_cbranch_execz .LBB6554_145
; %bb.136:
	v_cmp_lt_i64_e32 vcc, 4, v[0:1]
	s_and_saveexec_b64 s[2:3], vcc
	s_xor_b64 s[2:3], exec, s[2:3]
	s_cbranch_execz .LBB6554_142
; %bb.137:
	;; [unrolled: 5-line block ×3, first 2 shown]
	v_mov_b32_e32 v0, 0
	s_waitcnt lgkmcnt(0)
	global_store_dwordx2 v0, v[14:15], s[10:11]
                                        ; implicit-def: $vgpr10_vgpr11_vgpr12_vgpr13
.LBB6554_139:
	s_andn2_saveexec_b64 s[4:5], s[4:5]
	s_cbranch_execz .LBB6554_141
; %bb.140:
	v_mov_b32_e32 v0, 0
	s_waitcnt lgkmcnt(0)
	global_store_dwordx2 v0, v[12:13], s[10:11]
.LBB6554_141:
	s_or_b64 exec, exec, s[4:5]
                                        ; implicit-def: $vgpr10_vgpr11_vgpr12_vgpr13
.LBB6554_142:
	s_andn2_saveexec_b64 s[2:3], s[2:3]
	s_cbranch_execz .LBB6554_144
; %bb.143:
	v_mov_b32_e32 v0, 0
	s_waitcnt lgkmcnt(0)
	global_store_dwordx2 v0, v[10:11], s[10:11]
.LBB6554_144:
	s_or_b64 exec, exec, s[2:3]
                                        ; implicit-def: $vgpr0_vgpr1
                                        ; implicit-def: $vgpr2_vgpr3_vgpr4_vgpr5
                                        ; implicit-def: $vgpr6_vgpr7_vgpr8_vgpr9
.LBB6554_145:
	s_andn2_saveexec_b64 s[0:1], s[0:1]
	s_cbranch_execz .LBB6554_157
; %bb.146:
	v_cmp_lt_i64_e32 vcc, 1, v[0:1]
	s_and_saveexec_b64 s[0:1], vcc
	s_xor_b64 s[0:1], exec, s[0:1]
	s_cbranch_execz .LBB6554_152
; %bb.147:
	v_cmp_lt_i64_e32 vcc, 2, v[0:1]
	s_and_saveexec_b64 s[2:3], vcc
	s_xor_b64 s[2:3], exec, s[2:3]
	s_cbranch_execz .LBB6554_149
; %bb.148:
	v_mov_b32_e32 v0, 0
	s_waitcnt lgkmcnt(0)
	global_store_dwordx2 v0, v[8:9], s[10:11]
                                        ; implicit-def: $vgpr6_vgpr7_vgpr8_vgpr9
.LBB6554_149:
	s_andn2_saveexec_b64 s[2:3], s[2:3]
	s_cbranch_execz .LBB6554_151
; %bb.150:
	v_mov_b32_e32 v0, 0
	s_waitcnt lgkmcnt(0)
	global_store_dwordx2 v0, v[6:7], s[10:11]
.LBB6554_151:
	s_or_b64 exec, exec, s[2:3]
                                        ; implicit-def: $vgpr2_vgpr3_vgpr4_vgpr5
                                        ; implicit-def: $vgpr0_vgpr1
.LBB6554_152:
	s_andn2_saveexec_b64 s[0:1], s[0:1]
	s_cbranch_execz .LBB6554_157
; %bb.153:
	v_cmp_ne_u64_e32 vcc, 1, v[0:1]
	s_and_saveexec_b64 s[0:1], vcc
	s_xor_b64 s[0:1], exec, s[0:1]
	s_cbranch_execz .LBB6554_155
; %bb.154:
	v_mov_b32_e32 v0, 0
	s_waitcnt lgkmcnt(0)
	global_store_dwordx2 v0, v[2:3], s[10:11]
                                        ; implicit-def: $vgpr2_vgpr3_vgpr4_vgpr5
.LBB6554_155:
	s_andn2_saveexec_b64 s[0:1], s[0:1]
	s_cbranch_execz .LBB6554_157
; %bb.156:
	v_mov_b32_e32 v0, 0
	s_waitcnt lgkmcnt(0)
	global_store_dwordx2 v0, v[4:5], s[10:11]
.LBB6554_157:
	s_endpgm
	.section	.rodata,"a",@progbits
	.p2align	6, 0x0
	.amdhsa_kernel _ZN7rocprim17ROCPRIM_400000_NS6detail17trampoline_kernelINS0_14default_configENS1_20scan_config_selectorIxEEZZNS1_9scan_implILNS1_25lookback_scan_determinismE0ELb0ELb0ES3_N6thrust23THRUST_200600_302600_NS6detail15normal_iteratorINS9_10device_ptrIxEEEESE_x9plus_mod3IxExEEDaPvRmT3_T4_T5_mT6_P12ihipStream_tbENKUlT_T0_E_clISt17integral_constantIbLb1EESU_EEDaSP_SQ_EUlSP_E_NS1_11comp_targetILNS1_3genE4ELNS1_11target_archE910ELNS1_3gpuE8ELNS1_3repE0EEENS1_30default_config_static_selectorELNS0_4arch9wavefront6targetE1EEEvT1_
		.amdhsa_group_segment_fixed_size 7168
		.amdhsa_private_segment_fixed_size 0
		.amdhsa_kernarg_size 104
		.amdhsa_user_sgpr_count 6
		.amdhsa_user_sgpr_private_segment_buffer 1
		.amdhsa_user_sgpr_dispatch_ptr 0
		.amdhsa_user_sgpr_queue_ptr 0
		.amdhsa_user_sgpr_kernarg_segment_ptr 1
		.amdhsa_user_sgpr_dispatch_id 0
		.amdhsa_user_sgpr_flat_scratch_init 0
		.amdhsa_user_sgpr_kernarg_preload_length 0
		.amdhsa_user_sgpr_kernarg_preload_offset 0
		.amdhsa_user_sgpr_private_segment_size 0
		.amdhsa_uses_dynamic_stack 0
		.amdhsa_system_sgpr_private_segment_wavefront_offset 0
		.amdhsa_system_sgpr_workgroup_id_x 1
		.amdhsa_system_sgpr_workgroup_id_y 0
		.amdhsa_system_sgpr_workgroup_id_z 0
		.amdhsa_system_sgpr_workgroup_info 0
		.amdhsa_system_vgpr_workitem_id 0
		.amdhsa_next_free_vgpr 39
		.amdhsa_next_free_sgpr 44
		.amdhsa_accum_offset 40
		.amdhsa_reserve_vcc 1
		.amdhsa_reserve_flat_scratch 0
		.amdhsa_float_round_mode_32 0
		.amdhsa_float_round_mode_16_64 0
		.amdhsa_float_denorm_mode_32 3
		.amdhsa_float_denorm_mode_16_64 3
		.amdhsa_dx10_clamp 1
		.amdhsa_ieee_mode 1
		.amdhsa_fp16_overflow 0
		.amdhsa_tg_split 0
		.amdhsa_exception_fp_ieee_invalid_op 0
		.amdhsa_exception_fp_denorm_src 0
		.amdhsa_exception_fp_ieee_div_zero 0
		.amdhsa_exception_fp_ieee_overflow 0
		.amdhsa_exception_fp_ieee_underflow 0
		.amdhsa_exception_fp_ieee_inexact 0
		.amdhsa_exception_int_div_zero 0
	.end_amdhsa_kernel
	.section	.text._ZN7rocprim17ROCPRIM_400000_NS6detail17trampoline_kernelINS0_14default_configENS1_20scan_config_selectorIxEEZZNS1_9scan_implILNS1_25lookback_scan_determinismE0ELb0ELb0ES3_N6thrust23THRUST_200600_302600_NS6detail15normal_iteratorINS9_10device_ptrIxEEEESE_x9plus_mod3IxExEEDaPvRmT3_T4_T5_mT6_P12ihipStream_tbENKUlT_T0_E_clISt17integral_constantIbLb1EESU_EEDaSP_SQ_EUlSP_E_NS1_11comp_targetILNS1_3genE4ELNS1_11target_archE910ELNS1_3gpuE8ELNS1_3repE0EEENS1_30default_config_static_selectorELNS0_4arch9wavefront6targetE1EEEvT1_,"axG",@progbits,_ZN7rocprim17ROCPRIM_400000_NS6detail17trampoline_kernelINS0_14default_configENS1_20scan_config_selectorIxEEZZNS1_9scan_implILNS1_25lookback_scan_determinismE0ELb0ELb0ES3_N6thrust23THRUST_200600_302600_NS6detail15normal_iteratorINS9_10device_ptrIxEEEESE_x9plus_mod3IxExEEDaPvRmT3_T4_T5_mT6_P12ihipStream_tbENKUlT_T0_E_clISt17integral_constantIbLb1EESU_EEDaSP_SQ_EUlSP_E_NS1_11comp_targetILNS1_3genE4ELNS1_11target_archE910ELNS1_3gpuE8ELNS1_3repE0EEENS1_30default_config_static_selectorELNS0_4arch9wavefront6targetE1EEEvT1_,comdat
.Lfunc_end6554:
	.size	_ZN7rocprim17ROCPRIM_400000_NS6detail17trampoline_kernelINS0_14default_configENS1_20scan_config_selectorIxEEZZNS1_9scan_implILNS1_25lookback_scan_determinismE0ELb0ELb0ES3_N6thrust23THRUST_200600_302600_NS6detail15normal_iteratorINS9_10device_ptrIxEEEESE_x9plus_mod3IxExEEDaPvRmT3_T4_T5_mT6_P12ihipStream_tbENKUlT_T0_E_clISt17integral_constantIbLb1EESU_EEDaSP_SQ_EUlSP_E_NS1_11comp_targetILNS1_3genE4ELNS1_11target_archE910ELNS1_3gpuE8ELNS1_3repE0EEENS1_30default_config_static_selectorELNS0_4arch9wavefront6targetE1EEEvT1_, .Lfunc_end6554-_ZN7rocprim17ROCPRIM_400000_NS6detail17trampoline_kernelINS0_14default_configENS1_20scan_config_selectorIxEEZZNS1_9scan_implILNS1_25lookback_scan_determinismE0ELb0ELb0ES3_N6thrust23THRUST_200600_302600_NS6detail15normal_iteratorINS9_10device_ptrIxEEEESE_x9plus_mod3IxExEEDaPvRmT3_T4_T5_mT6_P12ihipStream_tbENKUlT_T0_E_clISt17integral_constantIbLb1EESU_EEDaSP_SQ_EUlSP_E_NS1_11comp_targetILNS1_3genE4ELNS1_11target_archE910ELNS1_3gpuE8ELNS1_3repE0EEENS1_30default_config_static_selectorELNS0_4arch9wavefront6targetE1EEEvT1_
                                        ; -- End function
	.section	.AMDGPU.csdata,"",@progbits
; Kernel info:
; codeLenInByte = 6836
; NumSgprs: 48
; NumVgprs: 39
; NumAgprs: 0
; TotalNumVgprs: 39
; ScratchSize: 0
; MemoryBound: 0
; FloatMode: 240
; IeeeMode: 1
; LDSByteSize: 7168 bytes/workgroup (compile time only)
; SGPRBlocks: 5
; VGPRBlocks: 4
; NumSGPRsForWavesPerEU: 48
; NumVGPRsForWavesPerEU: 39
; AccumOffset: 40
; Occupancy: 5
; WaveLimiterHint : 1
; COMPUTE_PGM_RSRC2:SCRATCH_EN: 0
; COMPUTE_PGM_RSRC2:USER_SGPR: 6
; COMPUTE_PGM_RSRC2:TRAP_HANDLER: 0
; COMPUTE_PGM_RSRC2:TGID_X_EN: 1
; COMPUTE_PGM_RSRC2:TGID_Y_EN: 0
; COMPUTE_PGM_RSRC2:TGID_Z_EN: 0
; COMPUTE_PGM_RSRC2:TIDIG_COMP_CNT: 0
; COMPUTE_PGM_RSRC3_GFX90A:ACCUM_OFFSET: 9
; COMPUTE_PGM_RSRC3_GFX90A:TG_SPLIT: 0
	.section	.text._ZN7rocprim17ROCPRIM_400000_NS6detail17trampoline_kernelINS0_14default_configENS1_20scan_config_selectorIxEEZZNS1_9scan_implILNS1_25lookback_scan_determinismE0ELb0ELb0ES3_N6thrust23THRUST_200600_302600_NS6detail15normal_iteratorINS9_10device_ptrIxEEEESE_x9plus_mod3IxExEEDaPvRmT3_T4_T5_mT6_P12ihipStream_tbENKUlT_T0_E_clISt17integral_constantIbLb1EESU_EEDaSP_SQ_EUlSP_E_NS1_11comp_targetILNS1_3genE3ELNS1_11target_archE908ELNS1_3gpuE7ELNS1_3repE0EEENS1_30default_config_static_selectorELNS0_4arch9wavefront6targetE1EEEvT1_,"axG",@progbits,_ZN7rocprim17ROCPRIM_400000_NS6detail17trampoline_kernelINS0_14default_configENS1_20scan_config_selectorIxEEZZNS1_9scan_implILNS1_25lookback_scan_determinismE0ELb0ELb0ES3_N6thrust23THRUST_200600_302600_NS6detail15normal_iteratorINS9_10device_ptrIxEEEESE_x9plus_mod3IxExEEDaPvRmT3_T4_T5_mT6_P12ihipStream_tbENKUlT_T0_E_clISt17integral_constantIbLb1EESU_EEDaSP_SQ_EUlSP_E_NS1_11comp_targetILNS1_3genE3ELNS1_11target_archE908ELNS1_3gpuE7ELNS1_3repE0EEENS1_30default_config_static_selectorELNS0_4arch9wavefront6targetE1EEEvT1_,comdat
	.protected	_ZN7rocprim17ROCPRIM_400000_NS6detail17trampoline_kernelINS0_14default_configENS1_20scan_config_selectorIxEEZZNS1_9scan_implILNS1_25lookback_scan_determinismE0ELb0ELb0ES3_N6thrust23THRUST_200600_302600_NS6detail15normal_iteratorINS9_10device_ptrIxEEEESE_x9plus_mod3IxExEEDaPvRmT3_T4_T5_mT6_P12ihipStream_tbENKUlT_T0_E_clISt17integral_constantIbLb1EESU_EEDaSP_SQ_EUlSP_E_NS1_11comp_targetILNS1_3genE3ELNS1_11target_archE908ELNS1_3gpuE7ELNS1_3repE0EEENS1_30default_config_static_selectorELNS0_4arch9wavefront6targetE1EEEvT1_ ; -- Begin function _ZN7rocprim17ROCPRIM_400000_NS6detail17trampoline_kernelINS0_14default_configENS1_20scan_config_selectorIxEEZZNS1_9scan_implILNS1_25lookback_scan_determinismE0ELb0ELb0ES3_N6thrust23THRUST_200600_302600_NS6detail15normal_iteratorINS9_10device_ptrIxEEEESE_x9plus_mod3IxExEEDaPvRmT3_T4_T5_mT6_P12ihipStream_tbENKUlT_T0_E_clISt17integral_constantIbLb1EESU_EEDaSP_SQ_EUlSP_E_NS1_11comp_targetILNS1_3genE3ELNS1_11target_archE908ELNS1_3gpuE7ELNS1_3repE0EEENS1_30default_config_static_selectorELNS0_4arch9wavefront6targetE1EEEvT1_
	.globl	_ZN7rocprim17ROCPRIM_400000_NS6detail17trampoline_kernelINS0_14default_configENS1_20scan_config_selectorIxEEZZNS1_9scan_implILNS1_25lookback_scan_determinismE0ELb0ELb0ES3_N6thrust23THRUST_200600_302600_NS6detail15normal_iteratorINS9_10device_ptrIxEEEESE_x9plus_mod3IxExEEDaPvRmT3_T4_T5_mT6_P12ihipStream_tbENKUlT_T0_E_clISt17integral_constantIbLb1EESU_EEDaSP_SQ_EUlSP_E_NS1_11comp_targetILNS1_3genE3ELNS1_11target_archE908ELNS1_3gpuE7ELNS1_3repE0EEENS1_30default_config_static_selectorELNS0_4arch9wavefront6targetE1EEEvT1_
	.p2align	8
	.type	_ZN7rocprim17ROCPRIM_400000_NS6detail17trampoline_kernelINS0_14default_configENS1_20scan_config_selectorIxEEZZNS1_9scan_implILNS1_25lookback_scan_determinismE0ELb0ELb0ES3_N6thrust23THRUST_200600_302600_NS6detail15normal_iteratorINS9_10device_ptrIxEEEESE_x9plus_mod3IxExEEDaPvRmT3_T4_T5_mT6_P12ihipStream_tbENKUlT_T0_E_clISt17integral_constantIbLb1EESU_EEDaSP_SQ_EUlSP_E_NS1_11comp_targetILNS1_3genE3ELNS1_11target_archE908ELNS1_3gpuE7ELNS1_3repE0EEENS1_30default_config_static_selectorELNS0_4arch9wavefront6targetE1EEEvT1_,@function
_ZN7rocprim17ROCPRIM_400000_NS6detail17trampoline_kernelINS0_14default_configENS1_20scan_config_selectorIxEEZZNS1_9scan_implILNS1_25lookback_scan_determinismE0ELb0ELb0ES3_N6thrust23THRUST_200600_302600_NS6detail15normal_iteratorINS9_10device_ptrIxEEEESE_x9plus_mod3IxExEEDaPvRmT3_T4_T5_mT6_P12ihipStream_tbENKUlT_T0_E_clISt17integral_constantIbLb1EESU_EEDaSP_SQ_EUlSP_E_NS1_11comp_targetILNS1_3genE3ELNS1_11target_archE908ELNS1_3gpuE7ELNS1_3repE0EEENS1_30default_config_static_selectorELNS0_4arch9wavefront6targetE1EEEvT1_: ; @_ZN7rocprim17ROCPRIM_400000_NS6detail17trampoline_kernelINS0_14default_configENS1_20scan_config_selectorIxEEZZNS1_9scan_implILNS1_25lookback_scan_determinismE0ELb0ELb0ES3_N6thrust23THRUST_200600_302600_NS6detail15normal_iteratorINS9_10device_ptrIxEEEESE_x9plus_mod3IxExEEDaPvRmT3_T4_T5_mT6_P12ihipStream_tbENKUlT_T0_E_clISt17integral_constantIbLb1EESU_EEDaSP_SQ_EUlSP_E_NS1_11comp_targetILNS1_3genE3ELNS1_11target_archE908ELNS1_3gpuE7ELNS1_3repE0EEENS1_30default_config_static_selectorELNS0_4arch9wavefront6targetE1EEEvT1_
; %bb.0:
	.section	.rodata,"a",@progbits
	.p2align	6, 0x0
	.amdhsa_kernel _ZN7rocprim17ROCPRIM_400000_NS6detail17trampoline_kernelINS0_14default_configENS1_20scan_config_selectorIxEEZZNS1_9scan_implILNS1_25lookback_scan_determinismE0ELb0ELb0ES3_N6thrust23THRUST_200600_302600_NS6detail15normal_iteratorINS9_10device_ptrIxEEEESE_x9plus_mod3IxExEEDaPvRmT3_T4_T5_mT6_P12ihipStream_tbENKUlT_T0_E_clISt17integral_constantIbLb1EESU_EEDaSP_SQ_EUlSP_E_NS1_11comp_targetILNS1_3genE3ELNS1_11target_archE908ELNS1_3gpuE7ELNS1_3repE0EEENS1_30default_config_static_selectorELNS0_4arch9wavefront6targetE1EEEvT1_
		.amdhsa_group_segment_fixed_size 0
		.amdhsa_private_segment_fixed_size 0
		.amdhsa_kernarg_size 104
		.amdhsa_user_sgpr_count 6
		.amdhsa_user_sgpr_private_segment_buffer 1
		.amdhsa_user_sgpr_dispatch_ptr 0
		.amdhsa_user_sgpr_queue_ptr 0
		.amdhsa_user_sgpr_kernarg_segment_ptr 1
		.amdhsa_user_sgpr_dispatch_id 0
		.amdhsa_user_sgpr_flat_scratch_init 0
		.amdhsa_user_sgpr_kernarg_preload_length 0
		.amdhsa_user_sgpr_kernarg_preload_offset 0
		.amdhsa_user_sgpr_private_segment_size 0
		.amdhsa_uses_dynamic_stack 0
		.amdhsa_system_sgpr_private_segment_wavefront_offset 0
		.amdhsa_system_sgpr_workgroup_id_x 1
		.amdhsa_system_sgpr_workgroup_id_y 0
		.amdhsa_system_sgpr_workgroup_id_z 0
		.amdhsa_system_sgpr_workgroup_info 0
		.amdhsa_system_vgpr_workitem_id 0
		.amdhsa_next_free_vgpr 1
		.amdhsa_next_free_sgpr 0
		.amdhsa_accum_offset 4
		.amdhsa_reserve_vcc 0
		.amdhsa_reserve_flat_scratch 0
		.amdhsa_float_round_mode_32 0
		.amdhsa_float_round_mode_16_64 0
		.amdhsa_float_denorm_mode_32 3
		.amdhsa_float_denorm_mode_16_64 3
		.amdhsa_dx10_clamp 1
		.amdhsa_ieee_mode 1
		.amdhsa_fp16_overflow 0
		.amdhsa_tg_split 0
		.amdhsa_exception_fp_ieee_invalid_op 0
		.amdhsa_exception_fp_denorm_src 0
		.amdhsa_exception_fp_ieee_div_zero 0
		.amdhsa_exception_fp_ieee_overflow 0
		.amdhsa_exception_fp_ieee_underflow 0
		.amdhsa_exception_fp_ieee_inexact 0
		.amdhsa_exception_int_div_zero 0
	.end_amdhsa_kernel
	.section	.text._ZN7rocprim17ROCPRIM_400000_NS6detail17trampoline_kernelINS0_14default_configENS1_20scan_config_selectorIxEEZZNS1_9scan_implILNS1_25lookback_scan_determinismE0ELb0ELb0ES3_N6thrust23THRUST_200600_302600_NS6detail15normal_iteratorINS9_10device_ptrIxEEEESE_x9plus_mod3IxExEEDaPvRmT3_T4_T5_mT6_P12ihipStream_tbENKUlT_T0_E_clISt17integral_constantIbLb1EESU_EEDaSP_SQ_EUlSP_E_NS1_11comp_targetILNS1_3genE3ELNS1_11target_archE908ELNS1_3gpuE7ELNS1_3repE0EEENS1_30default_config_static_selectorELNS0_4arch9wavefront6targetE1EEEvT1_,"axG",@progbits,_ZN7rocprim17ROCPRIM_400000_NS6detail17trampoline_kernelINS0_14default_configENS1_20scan_config_selectorIxEEZZNS1_9scan_implILNS1_25lookback_scan_determinismE0ELb0ELb0ES3_N6thrust23THRUST_200600_302600_NS6detail15normal_iteratorINS9_10device_ptrIxEEEESE_x9plus_mod3IxExEEDaPvRmT3_T4_T5_mT6_P12ihipStream_tbENKUlT_T0_E_clISt17integral_constantIbLb1EESU_EEDaSP_SQ_EUlSP_E_NS1_11comp_targetILNS1_3genE3ELNS1_11target_archE908ELNS1_3gpuE7ELNS1_3repE0EEENS1_30default_config_static_selectorELNS0_4arch9wavefront6targetE1EEEvT1_,comdat
.Lfunc_end6555:
	.size	_ZN7rocprim17ROCPRIM_400000_NS6detail17trampoline_kernelINS0_14default_configENS1_20scan_config_selectorIxEEZZNS1_9scan_implILNS1_25lookback_scan_determinismE0ELb0ELb0ES3_N6thrust23THRUST_200600_302600_NS6detail15normal_iteratorINS9_10device_ptrIxEEEESE_x9plus_mod3IxExEEDaPvRmT3_T4_T5_mT6_P12ihipStream_tbENKUlT_T0_E_clISt17integral_constantIbLb1EESU_EEDaSP_SQ_EUlSP_E_NS1_11comp_targetILNS1_3genE3ELNS1_11target_archE908ELNS1_3gpuE7ELNS1_3repE0EEENS1_30default_config_static_selectorELNS0_4arch9wavefront6targetE1EEEvT1_, .Lfunc_end6555-_ZN7rocprim17ROCPRIM_400000_NS6detail17trampoline_kernelINS0_14default_configENS1_20scan_config_selectorIxEEZZNS1_9scan_implILNS1_25lookback_scan_determinismE0ELb0ELb0ES3_N6thrust23THRUST_200600_302600_NS6detail15normal_iteratorINS9_10device_ptrIxEEEESE_x9plus_mod3IxExEEDaPvRmT3_T4_T5_mT6_P12ihipStream_tbENKUlT_T0_E_clISt17integral_constantIbLb1EESU_EEDaSP_SQ_EUlSP_E_NS1_11comp_targetILNS1_3genE3ELNS1_11target_archE908ELNS1_3gpuE7ELNS1_3repE0EEENS1_30default_config_static_selectorELNS0_4arch9wavefront6targetE1EEEvT1_
                                        ; -- End function
	.section	.AMDGPU.csdata,"",@progbits
; Kernel info:
; codeLenInByte = 0
; NumSgprs: 4
; NumVgprs: 0
; NumAgprs: 0
; TotalNumVgprs: 0
; ScratchSize: 0
; MemoryBound: 0
; FloatMode: 240
; IeeeMode: 1
; LDSByteSize: 0 bytes/workgroup (compile time only)
; SGPRBlocks: 0
; VGPRBlocks: 0
; NumSGPRsForWavesPerEU: 4
; NumVGPRsForWavesPerEU: 1
; AccumOffset: 4
; Occupancy: 8
; WaveLimiterHint : 0
; COMPUTE_PGM_RSRC2:SCRATCH_EN: 0
; COMPUTE_PGM_RSRC2:USER_SGPR: 6
; COMPUTE_PGM_RSRC2:TRAP_HANDLER: 0
; COMPUTE_PGM_RSRC2:TGID_X_EN: 1
; COMPUTE_PGM_RSRC2:TGID_Y_EN: 0
; COMPUTE_PGM_RSRC2:TGID_Z_EN: 0
; COMPUTE_PGM_RSRC2:TIDIG_COMP_CNT: 0
; COMPUTE_PGM_RSRC3_GFX90A:ACCUM_OFFSET: 0
; COMPUTE_PGM_RSRC3_GFX90A:TG_SPLIT: 0
	.section	.text._ZN7rocprim17ROCPRIM_400000_NS6detail17trampoline_kernelINS0_14default_configENS1_20scan_config_selectorIxEEZZNS1_9scan_implILNS1_25lookback_scan_determinismE0ELb0ELb0ES3_N6thrust23THRUST_200600_302600_NS6detail15normal_iteratorINS9_10device_ptrIxEEEESE_x9plus_mod3IxExEEDaPvRmT3_T4_T5_mT6_P12ihipStream_tbENKUlT_T0_E_clISt17integral_constantIbLb1EESU_EEDaSP_SQ_EUlSP_E_NS1_11comp_targetILNS1_3genE2ELNS1_11target_archE906ELNS1_3gpuE6ELNS1_3repE0EEENS1_30default_config_static_selectorELNS0_4arch9wavefront6targetE1EEEvT1_,"axG",@progbits,_ZN7rocprim17ROCPRIM_400000_NS6detail17trampoline_kernelINS0_14default_configENS1_20scan_config_selectorIxEEZZNS1_9scan_implILNS1_25lookback_scan_determinismE0ELb0ELb0ES3_N6thrust23THRUST_200600_302600_NS6detail15normal_iteratorINS9_10device_ptrIxEEEESE_x9plus_mod3IxExEEDaPvRmT3_T4_T5_mT6_P12ihipStream_tbENKUlT_T0_E_clISt17integral_constantIbLb1EESU_EEDaSP_SQ_EUlSP_E_NS1_11comp_targetILNS1_3genE2ELNS1_11target_archE906ELNS1_3gpuE6ELNS1_3repE0EEENS1_30default_config_static_selectorELNS0_4arch9wavefront6targetE1EEEvT1_,comdat
	.protected	_ZN7rocprim17ROCPRIM_400000_NS6detail17trampoline_kernelINS0_14default_configENS1_20scan_config_selectorIxEEZZNS1_9scan_implILNS1_25lookback_scan_determinismE0ELb0ELb0ES3_N6thrust23THRUST_200600_302600_NS6detail15normal_iteratorINS9_10device_ptrIxEEEESE_x9plus_mod3IxExEEDaPvRmT3_T4_T5_mT6_P12ihipStream_tbENKUlT_T0_E_clISt17integral_constantIbLb1EESU_EEDaSP_SQ_EUlSP_E_NS1_11comp_targetILNS1_3genE2ELNS1_11target_archE906ELNS1_3gpuE6ELNS1_3repE0EEENS1_30default_config_static_selectorELNS0_4arch9wavefront6targetE1EEEvT1_ ; -- Begin function _ZN7rocprim17ROCPRIM_400000_NS6detail17trampoline_kernelINS0_14default_configENS1_20scan_config_selectorIxEEZZNS1_9scan_implILNS1_25lookback_scan_determinismE0ELb0ELb0ES3_N6thrust23THRUST_200600_302600_NS6detail15normal_iteratorINS9_10device_ptrIxEEEESE_x9plus_mod3IxExEEDaPvRmT3_T4_T5_mT6_P12ihipStream_tbENKUlT_T0_E_clISt17integral_constantIbLb1EESU_EEDaSP_SQ_EUlSP_E_NS1_11comp_targetILNS1_3genE2ELNS1_11target_archE906ELNS1_3gpuE6ELNS1_3repE0EEENS1_30default_config_static_selectorELNS0_4arch9wavefront6targetE1EEEvT1_
	.globl	_ZN7rocprim17ROCPRIM_400000_NS6detail17trampoline_kernelINS0_14default_configENS1_20scan_config_selectorIxEEZZNS1_9scan_implILNS1_25lookback_scan_determinismE0ELb0ELb0ES3_N6thrust23THRUST_200600_302600_NS6detail15normal_iteratorINS9_10device_ptrIxEEEESE_x9plus_mod3IxExEEDaPvRmT3_T4_T5_mT6_P12ihipStream_tbENKUlT_T0_E_clISt17integral_constantIbLb1EESU_EEDaSP_SQ_EUlSP_E_NS1_11comp_targetILNS1_3genE2ELNS1_11target_archE906ELNS1_3gpuE6ELNS1_3repE0EEENS1_30default_config_static_selectorELNS0_4arch9wavefront6targetE1EEEvT1_
	.p2align	8
	.type	_ZN7rocprim17ROCPRIM_400000_NS6detail17trampoline_kernelINS0_14default_configENS1_20scan_config_selectorIxEEZZNS1_9scan_implILNS1_25lookback_scan_determinismE0ELb0ELb0ES3_N6thrust23THRUST_200600_302600_NS6detail15normal_iteratorINS9_10device_ptrIxEEEESE_x9plus_mod3IxExEEDaPvRmT3_T4_T5_mT6_P12ihipStream_tbENKUlT_T0_E_clISt17integral_constantIbLb1EESU_EEDaSP_SQ_EUlSP_E_NS1_11comp_targetILNS1_3genE2ELNS1_11target_archE906ELNS1_3gpuE6ELNS1_3repE0EEENS1_30default_config_static_selectorELNS0_4arch9wavefront6targetE1EEEvT1_,@function
_ZN7rocprim17ROCPRIM_400000_NS6detail17trampoline_kernelINS0_14default_configENS1_20scan_config_selectorIxEEZZNS1_9scan_implILNS1_25lookback_scan_determinismE0ELb0ELb0ES3_N6thrust23THRUST_200600_302600_NS6detail15normal_iteratorINS9_10device_ptrIxEEEESE_x9plus_mod3IxExEEDaPvRmT3_T4_T5_mT6_P12ihipStream_tbENKUlT_T0_E_clISt17integral_constantIbLb1EESU_EEDaSP_SQ_EUlSP_E_NS1_11comp_targetILNS1_3genE2ELNS1_11target_archE906ELNS1_3gpuE6ELNS1_3repE0EEENS1_30default_config_static_selectorELNS0_4arch9wavefront6targetE1EEEvT1_: ; @_ZN7rocprim17ROCPRIM_400000_NS6detail17trampoline_kernelINS0_14default_configENS1_20scan_config_selectorIxEEZZNS1_9scan_implILNS1_25lookback_scan_determinismE0ELb0ELb0ES3_N6thrust23THRUST_200600_302600_NS6detail15normal_iteratorINS9_10device_ptrIxEEEESE_x9plus_mod3IxExEEDaPvRmT3_T4_T5_mT6_P12ihipStream_tbENKUlT_T0_E_clISt17integral_constantIbLb1EESU_EEDaSP_SQ_EUlSP_E_NS1_11comp_targetILNS1_3genE2ELNS1_11target_archE906ELNS1_3gpuE6ELNS1_3repE0EEENS1_30default_config_static_selectorELNS0_4arch9wavefront6targetE1EEEvT1_
; %bb.0:
	.section	.rodata,"a",@progbits
	.p2align	6, 0x0
	.amdhsa_kernel _ZN7rocprim17ROCPRIM_400000_NS6detail17trampoline_kernelINS0_14default_configENS1_20scan_config_selectorIxEEZZNS1_9scan_implILNS1_25lookback_scan_determinismE0ELb0ELb0ES3_N6thrust23THRUST_200600_302600_NS6detail15normal_iteratorINS9_10device_ptrIxEEEESE_x9plus_mod3IxExEEDaPvRmT3_T4_T5_mT6_P12ihipStream_tbENKUlT_T0_E_clISt17integral_constantIbLb1EESU_EEDaSP_SQ_EUlSP_E_NS1_11comp_targetILNS1_3genE2ELNS1_11target_archE906ELNS1_3gpuE6ELNS1_3repE0EEENS1_30default_config_static_selectorELNS0_4arch9wavefront6targetE1EEEvT1_
		.amdhsa_group_segment_fixed_size 0
		.amdhsa_private_segment_fixed_size 0
		.amdhsa_kernarg_size 104
		.amdhsa_user_sgpr_count 6
		.amdhsa_user_sgpr_private_segment_buffer 1
		.amdhsa_user_sgpr_dispatch_ptr 0
		.amdhsa_user_sgpr_queue_ptr 0
		.amdhsa_user_sgpr_kernarg_segment_ptr 1
		.amdhsa_user_sgpr_dispatch_id 0
		.amdhsa_user_sgpr_flat_scratch_init 0
		.amdhsa_user_sgpr_kernarg_preload_length 0
		.amdhsa_user_sgpr_kernarg_preload_offset 0
		.amdhsa_user_sgpr_private_segment_size 0
		.amdhsa_uses_dynamic_stack 0
		.amdhsa_system_sgpr_private_segment_wavefront_offset 0
		.amdhsa_system_sgpr_workgroup_id_x 1
		.amdhsa_system_sgpr_workgroup_id_y 0
		.amdhsa_system_sgpr_workgroup_id_z 0
		.amdhsa_system_sgpr_workgroup_info 0
		.amdhsa_system_vgpr_workitem_id 0
		.amdhsa_next_free_vgpr 1
		.amdhsa_next_free_sgpr 0
		.amdhsa_accum_offset 4
		.amdhsa_reserve_vcc 0
		.amdhsa_reserve_flat_scratch 0
		.amdhsa_float_round_mode_32 0
		.amdhsa_float_round_mode_16_64 0
		.amdhsa_float_denorm_mode_32 3
		.amdhsa_float_denorm_mode_16_64 3
		.amdhsa_dx10_clamp 1
		.amdhsa_ieee_mode 1
		.amdhsa_fp16_overflow 0
		.amdhsa_tg_split 0
		.amdhsa_exception_fp_ieee_invalid_op 0
		.amdhsa_exception_fp_denorm_src 0
		.amdhsa_exception_fp_ieee_div_zero 0
		.amdhsa_exception_fp_ieee_overflow 0
		.amdhsa_exception_fp_ieee_underflow 0
		.amdhsa_exception_fp_ieee_inexact 0
		.amdhsa_exception_int_div_zero 0
	.end_amdhsa_kernel
	.section	.text._ZN7rocprim17ROCPRIM_400000_NS6detail17trampoline_kernelINS0_14default_configENS1_20scan_config_selectorIxEEZZNS1_9scan_implILNS1_25lookback_scan_determinismE0ELb0ELb0ES3_N6thrust23THRUST_200600_302600_NS6detail15normal_iteratorINS9_10device_ptrIxEEEESE_x9plus_mod3IxExEEDaPvRmT3_T4_T5_mT6_P12ihipStream_tbENKUlT_T0_E_clISt17integral_constantIbLb1EESU_EEDaSP_SQ_EUlSP_E_NS1_11comp_targetILNS1_3genE2ELNS1_11target_archE906ELNS1_3gpuE6ELNS1_3repE0EEENS1_30default_config_static_selectorELNS0_4arch9wavefront6targetE1EEEvT1_,"axG",@progbits,_ZN7rocprim17ROCPRIM_400000_NS6detail17trampoline_kernelINS0_14default_configENS1_20scan_config_selectorIxEEZZNS1_9scan_implILNS1_25lookback_scan_determinismE0ELb0ELb0ES3_N6thrust23THRUST_200600_302600_NS6detail15normal_iteratorINS9_10device_ptrIxEEEESE_x9plus_mod3IxExEEDaPvRmT3_T4_T5_mT6_P12ihipStream_tbENKUlT_T0_E_clISt17integral_constantIbLb1EESU_EEDaSP_SQ_EUlSP_E_NS1_11comp_targetILNS1_3genE2ELNS1_11target_archE906ELNS1_3gpuE6ELNS1_3repE0EEENS1_30default_config_static_selectorELNS0_4arch9wavefront6targetE1EEEvT1_,comdat
.Lfunc_end6556:
	.size	_ZN7rocprim17ROCPRIM_400000_NS6detail17trampoline_kernelINS0_14default_configENS1_20scan_config_selectorIxEEZZNS1_9scan_implILNS1_25lookback_scan_determinismE0ELb0ELb0ES3_N6thrust23THRUST_200600_302600_NS6detail15normal_iteratorINS9_10device_ptrIxEEEESE_x9plus_mod3IxExEEDaPvRmT3_T4_T5_mT6_P12ihipStream_tbENKUlT_T0_E_clISt17integral_constantIbLb1EESU_EEDaSP_SQ_EUlSP_E_NS1_11comp_targetILNS1_3genE2ELNS1_11target_archE906ELNS1_3gpuE6ELNS1_3repE0EEENS1_30default_config_static_selectorELNS0_4arch9wavefront6targetE1EEEvT1_, .Lfunc_end6556-_ZN7rocprim17ROCPRIM_400000_NS6detail17trampoline_kernelINS0_14default_configENS1_20scan_config_selectorIxEEZZNS1_9scan_implILNS1_25lookback_scan_determinismE0ELb0ELb0ES3_N6thrust23THRUST_200600_302600_NS6detail15normal_iteratorINS9_10device_ptrIxEEEESE_x9plus_mod3IxExEEDaPvRmT3_T4_T5_mT6_P12ihipStream_tbENKUlT_T0_E_clISt17integral_constantIbLb1EESU_EEDaSP_SQ_EUlSP_E_NS1_11comp_targetILNS1_3genE2ELNS1_11target_archE906ELNS1_3gpuE6ELNS1_3repE0EEENS1_30default_config_static_selectorELNS0_4arch9wavefront6targetE1EEEvT1_
                                        ; -- End function
	.section	.AMDGPU.csdata,"",@progbits
; Kernel info:
; codeLenInByte = 0
; NumSgprs: 4
; NumVgprs: 0
; NumAgprs: 0
; TotalNumVgprs: 0
; ScratchSize: 0
; MemoryBound: 0
; FloatMode: 240
; IeeeMode: 1
; LDSByteSize: 0 bytes/workgroup (compile time only)
; SGPRBlocks: 0
; VGPRBlocks: 0
; NumSGPRsForWavesPerEU: 4
; NumVGPRsForWavesPerEU: 1
; AccumOffset: 4
; Occupancy: 8
; WaveLimiterHint : 0
; COMPUTE_PGM_RSRC2:SCRATCH_EN: 0
; COMPUTE_PGM_RSRC2:USER_SGPR: 6
; COMPUTE_PGM_RSRC2:TRAP_HANDLER: 0
; COMPUTE_PGM_RSRC2:TGID_X_EN: 1
; COMPUTE_PGM_RSRC2:TGID_Y_EN: 0
; COMPUTE_PGM_RSRC2:TGID_Z_EN: 0
; COMPUTE_PGM_RSRC2:TIDIG_COMP_CNT: 0
; COMPUTE_PGM_RSRC3_GFX90A:ACCUM_OFFSET: 0
; COMPUTE_PGM_RSRC3_GFX90A:TG_SPLIT: 0
	.section	.text._ZN7rocprim17ROCPRIM_400000_NS6detail17trampoline_kernelINS0_14default_configENS1_20scan_config_selectorIxEEZZNS1_9scan_implILNS1_25lookback_scan_determinismE0ELb0ELb0ES3_N6thrust23THRUST_200600_302600_NS6detail15normal_iteratorINS9_10device_ptrIxEEEESE_x9plus_mod3IxExEEDaPvRmT3_T4_T5_mT6_P12ihipStream_tbENKUlT_T0_E_clISt17integral_constantIbLb1EESU_EEDaSP_SQ_EUlSP_E_NS1_11comp_targetILNS1_3genE10ELNS1_11target_archE1201ELNS1_3gpuE5ELNS1_3repE0EEENS1_30default_config_static_selectorELNS0_4arch9wavefront6targetE1EEEvT1_,"axG",@progbits,_ZN7rocprim17ROCPRIM_400000_NS6detail17trampoline_kernelINS0_14default_configENS1_20scan_config_selectorIxEEZZNS1_9scan_implILNS1_25lookback_scan_determinismE0ELb0ELb0ES3_N6thrust23THRUST_200600_302600_NS6detail15normal_iteratorINS9_10device_ptrIxEEEESE_x9plus_mod3IxExEEDaPvRmT3_T4_T5_mT6_P12ihipStream_tbENKUlT_T0_E_clISt17integral_constantIbLb1EESU_EEDaSP_SQ_EUlSP_E_NS1_11comp_targetILNS1_3genE10ELNS1_11target_archE1201ELNS1_3gpuE5ELNS1_3repE0EEENS1_30default_config_static_selectorELNS0_4arch9wavefront6targetE1EEEvT1_,comdat
	.protected	_ZN7rocprim17ROCPRIM_400000_NS6detail17trampoline_kernelINS0_14default_configENS1_20scan_config_selectorIxEEZZNS1_9scan_implILNS1_25lookback_scan_determinismE0ELb0ELb0ES3_N6thrust23THRUST_200600_302600_NS6detail15normal_iteratorINS9_10device_ptrIxEEEESE_x9plus_mod3IxExEEDaPvRmT3_T4_T5_mT6_P12ihipStream_tbENKUlT_T0_E_clISt17integral_constantIbLb1EESU_EEDaSP_SQ_EUlSP_E_NS1_11comp_targetILNS1_3genE10ELNS1_11target_archE1201ELNS1_3gpuE5ELNS1_3repE0EEENS1_30default_config_static_selectorELNS0_4arch9wavefront6targetE1EEEvT1_ ; -- Begin function _ZN7rocprim17ROCPRIM_400000_NS6detail17trampoline_kernelINS0_14default_configENS1_20scan_config_selectorIxEEZZNS1_9scan_implILNS1_25lookback_scan_determinismE0ELb0ELb0ES3_N6thrust23THRUST_200600_302600_NS6detail15normal_iteratorINS9_10device_ptrIxEEEESE_x9plus_mod3IxExEEDaPvRmT3_T4_T5_mT6_P12ihipStream_tbENKUlT_T0_E_clISt17integral_constantIbLb1EESU_EEDaSP_SQ_EUlSP_E_NS1_11comp_targetILNS1_3genE10ELNS1_11target_archE1201ELNS1_3gpuE5ELNS1_3repE0EEENS1_30default_config_static_selectorELNS0_4arch9wavefront6targetE1EEEvT1_
	.globl	_ZN7rocprim17ROCPRIM_400000_NS6detail17trampoline_kernelINS0_14default_configENS1_20scan_config_selectorIxEEZZNS1_9scan_implILNS1_25lookback_scan_determinismE0ELb0ELb0ES3_N6thrust23THRUST_200600_302600_NS6detail15normal_iteratorINS9_10device_ptrIxEEEESE_x9plus_mod3IxExEEDaPvRmT3_T4_T5_mT6_P12ihipStream_tbENKUlT_T0_E_clISt17integral_constantIbLb1EESU_EEDaSP_SQ_EUlSP_E_NS1_11comp_targetILNS1_3genE10ELNS1_11target_archE1201ELNS1_3gpuE5ELNS1_3repE0EEENS1_30default_config_static_selectorELNS0_4arch9wavefront6targetE1EEEvT1_
	.p2align	8
	.type	_ZN7rocprim17ROCPRIM_400000_NS6detail17trampoline_kernelINS0_14default_configENS1_20scan_config_selectorIxEEZZNS1_9scan_implILNS1_25lookback_scan_determinismE0ELb0ELb0ES3_N6thrust23THRUST_200600_302600_NS6detail15normal_iteratorINS9_10device_ptrIxEEEESE_x9plus_mod3IxExEEDaPvRmT3_T4_T5_mT6_P12ihipStream_tbENKUlT_T0_E_clISt17integral_constantIbLb1EESU_EEDaSP_SQ_EUlSP_E_NS1_11comp_targetILNS1_3genE10ELNS1_11target_archE1201ELNS1_3gpuE5ELNS1_3repE0EEENS1_30default_config_static_selectorELNS0_4arch9wavefront6targetE1EEEvT1_,@function
_ZN7rocprim17ROCPRIM_400000_NS6detail17trampoline_kernelINS0_14default_configENS1_20scan_config_selectorIxEEZZNS1_9scan_implILNS1_25lookback_scan_determinismE0ELb0ELb0ES3_N6thrust23THRUST_200600_302600_NS6detail15normal_iteratorINS9_10device_ptrIxEEEESE_x9plus_mod3IxExEEDaPvRmT3_T4_T5_mT6_P12ihipStream_tbENKUlT_T0_E_clISt17integral_constantIbLb1EESU_EEDaSP_SQ_EUlSP_E_NS1_11comp_targetILNS1_3genE10ELNS1_11target_archE1201ELNS1_3gpuE5ELNS1_3repE0EEENS1_30default_config_static_selectorELNS0_4arch9wavefront6targetE1EEEvT1_: ; @_ZN7rocprim17ROCPRIM_400000_NS6detail17trampoline_kernelINS0_14default_configENS1_20scan_config_selectorIxEEZZNS1_9scan_implILNS1_25lookback_scan_determinismE0ELb0ELb0ES3_N6thrust23THRUST_200600_302600_NS6detail15normal_iteratorINS9_10device_ptrIxEEEESE_x9plus_mod3IxExEEDaPvRmT3_T4_T5_mT6_P12ihipStream_tbENKUlT_T0_E_clISt17integral_constantIbLb1EESU_EEDaSP_SQ_EUlSP_E_NS1_11comp_targetILNS1_3genE10ELNS1_11target_archE1201ELNS1_3gpuE5ELNS1_3repE0EEENS1_30default_config_static_selectorELNS0_4arch9wavefront6targetE1EEEvT1_
; %bb.0:
	.section	.rodata,"a",@progbits
	.p2align	6, 0x0
	.amdhsa_kernel _ZN7rocprim17ROCPRIM_400000_NS6detail17trampoline_kernelINS0_14default_configENS1_20scan_config_selectorIxEEZZNS1_9scan_implILNS1_25lookback_scan_determinismE0ELb0ELb0ES3_N6thrust23THRUST_200600_302600_NS6detail15normal_iteratorINS9_10device_ptrIxEEEESE_x9plus_mod3IxExEEDaPvRmT3_T4_T5_mT6_P12ihipStream_tbENKUlT_T0_E_clISt17integral_constantIbLb1EESU_EEDaSP_SQ_EUlSP_E_NS1_11comp_targetILNS1_3genE10ELNS1_11target_archE1201ELNS1_3gpuE5ELNS1_3repE0EEENS1_30default_config_static_selectorELNS0_4arch9wavefront6targetE1EEEvT1_
		.amdhsa_group_segment_fixed_size 0
		.amdhsa_private_segment_fixed_size 0
		.amdhsa_kernarg_size 104
		.amdhsa_user_sgpr_count 6
		.amdhsa_user_sgpr_private_segment_buffer 1
		.amdhsa_user_sgpr_dispatch_ptr 0
		.amdhsa_user_sgpr_queue_ptr 0
		.amdhsa_user_sgpr_kernarg_segment_ptr 1
		.amdhsa_user_sgpr_dispatch_id 0
		.amdhsa_user_sgpr_flat_scratch_init 0
		.amdhsa_user_sgpr_kernarg_preload_length 0
		.amdhsa_user_sgpr_kernarg_preload_offset 0
		.amdhsa_user_sgpr_private_segment_size 0
		.amdhsa_uses_dynamic_stack 0
		.amdhsa_system_sgpr_private_segment_wavefront_offset 0
		.amdhsa_system_sgpr_workgroup_id_x 1
		.amdhsa_system_sgpr_workgroup_id_y 0
		.amdhsa_system_sgpr_workgroup_id_z 0
		.amdhsa_system_sgpr_workgroup_info 0
		.amdhsa_system_vgpr_workitem_id 0
		.amdhsa_next_free_vgpr 1
		.amdhsa_next_free_sgpr 0
		.amdhsa_accum_offset 4
		.amdhsa_reserve_vcc 0
		.amdhsa_reserve_flat_scratch 0
		.amdhsa_float_round_mode_32 0
		.amdhsa_float_round_mode_16_64 0
		.amdhsa_float_denorm_mode_32 3
		.amdhsa_float_denorm_mode_16_64 3
		.amdhsa_dx10_clamp 1
		.amdhsa_ieee_mode 1
		.amdhsa_fp16_overflow 0
		.amdhsa_tg_split 0
		.amdhsa_exception_fp_ieee_invalid_op 0
		.amdhsa_exception_fp_denorm_src 0
		.amdhsa_exception_fp_ieee_div_zero 0
		.amdhsa_exception_fp_ieee_overflow 0
		.amdhsa_exception_fp_ieee_underflow 0
		.amdhsa_exception_fp_ieee_inexact 0
		.amdhsa_exception_int_div_zero 0
	.end_amdhsa_kernel
	.section	.text._ZN7rocprim17ROCPRIM_400000_NS6detail17trampoline_kernelINS0_14default_configENS1_20scan_config_selectorIxEEZZNS1_9scan_implILNS1_25lookback_scan_determinismE0ELb0ELb0ES3_N6thrust23THRUST_200600_302600_NS6detail15normal_iteratorINS9_10device_ptrIxEEEESE_x9plus_mod3IxExEEDaPvRmT3_T4_T5_mT6_P12ihipStream_tbENKUlT_T0_E_clISt17integral_constantIbLb1EESU_EEDaSP_SQ_EUlSP_E_NS1_11comp_targetILNS1_3genE10ELNS1_11target_archE1201ELNS1_3gpuE5ELNS1_3repE0EEENS1_30default_config_static_selectorELNS0_4arch9wavefront6targetE1EEEvT1_,"axG",@progbits,_ZN7rocprim17ROCPRIM_400000_NS6detail17trampoline_kernelINS0_14default_configENS1_20scan_config_selectorIxEEZZNS1_9scan_implILNS1_25lookback_scan_determinismE0ELb0ELb0ES3_N6thrust23THRUST_200600_302600_NS6detail15normal_iteratorINS9_10device_ptrIxEEEESE_x9plus_mod3IxExEEDaPvRmT3_T4_T5_mT6_P12ihipStream_tbENKUlT_T0_E_clISt17integral_constantIbLb1EESU_EEDaSP_SQ_EUlSP_E_NS1_11comp_targetILNS1_3genE10ELNS1_11target_archE1201ELNS1_3gpuE5ELNS1_3repE0EEENS1_30default_config_static_selectorELNS0_4arch9wavefront6targetE1EEEvT1_,comdat
.Lfunc_end6557:
	.size	_ZN7rocprim17ROCPRIM_400000_NS6detail17trampoline_kernelINS0_14default_configENS1_20scan_config_selectorIxEEZZNS1_9scan_implILNS1_25lookback_scan_determinismE0ELb0ELb0ES3_N6thrust23THRUST_200600_302600_NS6detail15normal_iteratorINS9_10device_ptrIxEEEESE_x9plus_mod3IxExEEDaPvRmT3_T4_T5_mT6_P12ihipStream_tbENKUlT_T0_E_clISt17integral_constantIbLb1EESU_EEDaSP_SQ_EUlSP_E_NS1_11comp_targetILNS1_3genE10ELNS1_11target_archE1201ELNS1_3gpuE5ELNS1_3repE0EEENS1_30default_config_static_selectorELNS0_4arch9wavefront6targetE1EEEvT1_, .Lfunc_end6557-_ZN7rocprim17ROCPRIM_400000_NS6detail17trampoline_kernelINS0_14default_configENS1_20scan_config_selectorIxEEZZNS1_9scan_implILNS1_25lookback_scan_determinismE0ELb0ELb0ES3_N6thrust23THRUST_200600_302600_NS6detail15normal_iteratorINS9_10device_ptrIxEEEESE_x9plus_mod3IxExEEDaPvRmT3_T4_T5_mT6_P12ihipStream_tbENKUlT_T0_E_clISt17integral_constantIbLb1EESU_EEDaSP_SQ_EUlSP_E_NS1_11comp_targetILNS1_3genE10ELNS1_11target_archE1201ELNS1_3gpuE5ELNS1_3repE0EEENS1_30default_config_static_selectorELNS0_4arch9wavefront6targetE1EEEvT1_
                                        ; -- End function
	.section	.AMDGPU.csdata,"",@progbits
; Kernel info:
; codeLenInByte = 0
; NumSgprs: 4
; NumVgprs: 0
; NumAgprs: 0
; TotalNumVgprs: 0
; ScratchSize: 0
; MemoryBound: 0
; FloatMode: 240
; IeeeMode: 1
; LDSByteSize: 0 bytes/workgroup (compile time only)
; SGPRBlocks: 0
; VGPRBlocks: 0
; NumSGPRsForWavesPerEU: 4
; NumVGPRsForWavesPerEU: 1
; AccumOffset: 4
; Occupancy: 8
; WaveLimiterHint : 0
; COMPUTE_PGM_RSRC2:SCRATCH_EN: 0
; COMPUTE_PGM_RSRC2:USER_SGPR: 6
; COMPUTE_PGM_RSRC2:TRAP_HANDLER: 0
; COMPUTE_PGM_RSRC2:TGID_X_EN: 1
; COMPUTE_PGM_RSRC2:TGID_Y_EN: 0
; COMPUTE_PGM_RSRC2:TGID_Z_EN: 0
; COMPUTE_PGM_RSRC2:TIDIG_COMP_CNT: 0
; COMPUTE_PGM_RSRC3_GFX90A:ACCUM_OFFSET: 0
; COMPUTE_PGM_RSRC3_GFX90A:TG_SPLIT: 0
	.section	.text._ZN7rocprim17ROCPRIM_400000_NS6detail17trampoline_kernelINS0_14default_configENS1_20scan_config_selectorIxEEZZNS1_9scan_implILNS1_25lookback_scan_determinismE0ELb0ELb0ES3_N6thrust23THRUST_200600_302600_NS6detail15normal_iteratorINS9_10device_ptrIxEEEESE_x9plus_mod3IxExEEDaPvRmT3_T4_T5_mT6_P12ihipStream_tbENKUlT_T0_E_clISt17integral_constantIbLb1EESU_EEDaSP_SQ_EUlSP_E_NS1_11comp_targetILNS1_3genE10ELNS1_11target_archE1200ELNS1_3gpuE4ELNS1_3repE0EEENS1_30default_config_static_selectorELNS0_4arch9wavefront6targetE1EEEvT1_,"axG",@progbits,_ZN7rocprim17ROCPRIM_400000_NS6detail17trampoline_kernelINS0_14default_configENS1_20scan_config_selectorIxEEZZNS1_9scan_implILNS1_25lookback_scan_determinismE0ELb0ELb0ES3_N6thrust23THRUST_200600_302600_NS6detail15normal_iteratorINS9_10device_ptrIxEEEESE_x9plus_mod3IxExEEDaPvRmT3_T4_T5_mT6_P12ihipStream_tbENKUlT_T0_E_clISt17integral_constantIbLb1EESU_EEDaSP_SQ_EUlSP_E_NS1_11comp_targetILNS1_3genE10ELNS1_11target_archE1200ELNS1_3gpuE4ELNS1_3repE0EEENS1_30default_config_static_selectorELNS0_4arch9wavefront6targetE1EEEvT1_,comdat
	.protected	_ZN7rocprim17ROCPRIM_400000_NS6detail17trampoline_kernelINS0_14default_configENS1_20scan_config_selectorIxEEZZNS1_9scan_implILNS1_25lookback_scan_determinismE0ELb0ELb0ES3_N6thrust23THRUST_200600_302600_NS6detail15normal_iteratorINS9_10device_ptrIxEEEESE_x9plus_mod3IxExEEDaPvRmT3_T4_T5_mT6_P12ihipStream_tbENKUlT_T0_E_clISt17integral_constantIbLb1EESU_EEDaSP_SQ_EUlSP_E_NS1_11comp_targetILNS1_3genE10ELNS1_11target_archE1200ELNS1_3gpuE4ELNS1_3repE0EEENS1_30default_config_static_selectorELNS0_4arch9wavefront6targetE1EEEvT1_ ; -- Begin function _ZN7rocprim17ROCPRIM_400000_NS6detail17trampoline_kernelINS0_14default_configENS1_20scan_config_selectorIxEEZZNS1_9scan_implILNS1_25lookback_scan_determinismE0ELb0ELb0ES3_N6thrust23THRUST_200600_302600_NS6detail15normal_iteratorINS9_10device_ptrIxEEEESE_x9plus_mod3IxExEEDaPvRmT3_T4_T5_mT6_P12ihipStream_tbENKUlT_T0_E_clISt17integral_constantIbLb1EESU_EEDaSP_SQ_EUlSP_E_NS1_11comp_targetILNS1_3genE10ELNS1_11target_archE1200ELNS1_3gpuE4ELNS1_3repE0EEENS1_30default_config_static_selectorELNS0_4arch9wavefront6targetE1EEEvT1_
	.globl	_ZN7rocprim17ROCPRIM_400000_NS6detail17trampoline_kernelINS0_14default_configENS1_20scan_config_selectorIxEEZZNS1_9scan_implILNS1_25lookback_scan_determinismE0ELb0ELb0ES3_N6thrust23THRUST_200600_302600_NS6detail15normal_iteratorINS9_10device_ptrIxEEEESE_x9plus_mod3IxExEEDaPvRmT3_T4_T5_mT6_P12ihipStream_tbENKUlT_T0_E_clISt17integral_constantIbLb1EESU_EEDaSP_SQ_EUlSP_E_NS1_11comp_targetILNS1_3genE10ELNS1_11target_archE1200ELNS1_3gpuE4ELNS1_3repE0EEENS1_30default_config_static_selectorELNS0_4arch9wavefront6targetE1EEEvT1_
	.p2align	8
	.type	_ZN7rocprim17ROCPRIM_400000_NS6detail17trampoline_kernelINS0_14default_configENS1_20scan_config_selectorIxEEZZNS1_9scan_implILNS1_25lookback_scan_determinismE0ELb0ELb0ES3_N6thrust23THRUST_200600_302600_NS6detail15normal_iteratorINS9_10device_ptrIxEEEESE_x9plus_mod3IxExEEDaPvRmT3_T4_T5_mT6_P12ihipStream_tbENKUlT_T0_E_clISt17integral_constantIbLb1EESU_EEDaSP_SQ_EUlSP_E_NS1_11comp_targetILNS1_3genE10ELNS1_11target_archE1200ELNS1_3gpuE4ELNS1_3repE0EEENS1_30default_config_static_selectorELNS0_4arch9wavefront6targetE1EEEvT1_,@function
_ZN7rocprim17ROCPRIM_400000_NS6detail17trampoline_kernelINS0_14default_configENS1_20scan_config_selectorIxEEZZNS1_9scan_implILNS1_25lookback_scan_determinismE0ELb0ELb0ES3_N6thrust23THRUST_200600_302600_NS6detail15normal_iteratorINS9_10device_ptrIxEEEESE_x9plus_mod3IxExEEDaPvRmT3_T4_T5_mT6_P12ihipStream_tbENKUlT_T0_E_clISt17integral_constantIbLb1EESU_EEDaSP_SQ_EUlSP_E_NS1_11comp_targetILNS1_3genE10ELNS1_11target_archE1200ELNS1_3gpuE4ELNS1_3repE0EEENS1_30default_config_static_selectorELNS0_4arch9wavefront6targetE1EEEvT1_: ; @_ZN7rocprim17ROCPRIM_400000_NS6detail17trampoline_kernelINS0_14default_configENS1_20scan_config_selectorIxEEZZNS1_9scan_implILNS1_25lookback_scan_determinismE0ELb0ELb0ES3_N6thrust23THRUST_200600_302600_NS6detail15normal_iteratorINS9_10device_ptrIxEEEESE_x9plus_mod3IxExEEDaPvRmT3_T4_T5_mT6_P12ihipStream_tbENKUlT_T0_E_clISt17integral_constantIbLb1EESU_EEDaSP_SQ_EUlSP_E_NS1_11comp_targetILNS1_3genE10ELNS1_11target_archE1200ELNS1_3gpuE4ELNS1_3repE0EEENS1_30default_config_static_selectorELNS0_4arch9wavefront6targetE1EEEvT1_
; %bb.0:
	.section	.rodata,"a",@progbits
	.p2align	6, 0x0
	.amdhsa_kernel _ZN7rocprim17ROCPRIM_400000_NS6detail17trampoline_kernelINS0_14default_configENS1_20scan_config_selectorIxEEZZNS1_9scan_implILNS1_25lookback_scan_determinismE0ELb0ELb0ES3_N6thrust23THRUST_200600_302600_NS6detail15normal_iteratorINS9_10device_ptrIxEEEESE_x9plus_mod3IxExEEDaPvRmT3_T4_T5_mT6_P12ihipStream_tbENKUlT_T0_E_clISt17integral_constantIbLb1EESU_EEDaSP_SQ_EUlSP_E_NS1_11comp_targetILNS1_3genE10ELNS1_11target_archE1200ELNS1_3gpuE4ELNS1_3repE0EEENS1_30default_config_static_selectorELNS0_4arch9wavefront6targetE1EEEvT1_
		.amdhsa_group_segment_fixed_size 0
		.amdhsa_private_segment_fixed_size 0
		.amdhsa_kernarg_size 104
		.amdhsa_user_sgpr_count 6
		.amdhsa_user_sgpr_private_segment_buffer 1
		.amdhsa_user_sgpr_dispatch_ptr 0
		.amdhsa_user_sgpr_queue_ptr 0
		.amdhsa_user_sgpr_kernarg_segment_ptr 1
		.amdhsa_user_sgpr_dispatch_id 0
		.amdhsa_user_sgpr_flat_scratch_init 0
		.amdhsa_user_sgpr_kernarg_preload_length 0
		.amdhsa_user_sgpr_kernarg_preload_offset 0
		.amdhsa_user_sgpr_private_segment_size 0
		.amdhsa_uses_dynamic_stack 0
		.amdhsa_system_sgpr_private_segment_wavefront_offset 0
		.amdhsa_system_sgpr_workgroup_id_x 1
		.amdhsa_system_sgpr_workgroup_id_y 0
		.amdhsa_system_sgpr_workgroup_id_z 0
		.amdhsa_system_sgpr_workgroup_info 0
		.amdhsa_system_vgpr_workitem_id 0
		.amdhsa_next_free_vgpr 1
		.amdhsa_next_free_sgpr 0
		.amdhsa_accum_offset 4
		.amdhsa_reserve_vcc 0
		.amdhsa_reserve_flat_scratch 0
		.amdhsa_float_round_mode_32 0
		.amdhsa_float_round_mode_16_64 0
		.amdhsa_float_denorm_mode_32 3
		.amdhsa_float_denorm_mode_16_64 3
		.amdhsa_dx10_clamp 1
		.amdhsa_ieee_mode 1
		.amdhsa_fp16_overflow 0
		.amdhsa_tg_split 0
		.amdhsa_exception_fp_ieee_invalid_op 0
		.amdhsa_exception_fp_denorm_src 0
		.amdhsa_exception_fp_ieee_div_zero 0
		.amdhsa_exception_fp_ieee_overflow 0
		.amdhsa_exception_fp_ieee_underflow 0
		.amdhsa_exception_fp_ieee_inexact 0
		.amdhsa_exception_int_div_zero 0
	.end_amdhsa_kernel
	.section	.text._ZN7rocprim17ROCPRIM_400000_NS6detail17trampoline_kernelINS0_14default_configENS1_20scan_config_selectorIxEEZZNS1_9scan_implILNS1_25lookback_scan_determinismE0ELb0ELb0ES3_N6thrust23THRUST_200600_302600_NS6detail15normal_iteratorINS9_10device_ptrIxEEEESE_x9plus_mod3IxExEEDaPvRmT3_T4_T5_mT6_P12ihipStream_tbENKUlT_T0_E_clISt17integral_constantIbLb1EESU_EEDaSP_SQ_EUlSP_E_NS1_11comp_targetILNS1_3genE10ELNS1_11target_archE1200ELNS1_3gpuE4ELNS1_3repE0EEENS1_30default_config_static_selectorELNS0_4arch9wavefront6targetE1EEEvT1_,"axG",@progbits,_ZN7rocprim17ROCPRIM_400000_NS6detail17trampoline_kernelINS0_14default_configENS1_20scan_config_selectorIxEEZZNS1_9scan_implILNS1_25lookback_scan_determinismE0ELb0ELb0ES3_N6thrust23THRUST_200600_302600_NS6detail15normal_iteratorINS9_10device_ptrIxEEEESE_x9plus_mod3IxExEEDaPvRmT3_T4_T5_mT6_P12ihipStream_tbENKUlT_T0_E_clISt17integral_constantIbLb1EESU_EEDaSP_SQ_EUlSP_E_NS1_11comp_targetILNS1_3genE10ELNS1_11target_archE1200ELNS1_3gpuE4ELNS1_3repE0EEENS1_30default_config_static_selectorELNS0_4arch9wavefront6targetE1EEEvT1_,comdat
.Lfunc_end6558:
	.size	_ZN7rocprim17ROCPRIM_400000_NS6detail17trampoline_kernelINS0_14default_configENS1_20scan_config_selectorIxEEZZNS1_9scan_implILNS1_25lookback_scan_determinismE0ELb0ELb0ES3_N6thrust23THRUST_200600_302600_NS6detail15normal_iteratorINS9_10device_ptrIxEEEESE_x9plus_mod3IxExEEDaPvRmT3_T4_T5_mT6_P12ihipStream_tbENKUlT_T0_E_clISt17integral_constantIbLb1EESU_EEDaSP_SQ_EUlSP_E_NS1_11comp_targetILNS1_3genE10ELNS1_11target_archE1200ELNS1_3gpuE4ELNS1_3repE0EEENS1_30default_config_static_selectorELNS0_4arch9wavefront6targetE1EEEvT1_, .Lfunc_end6558-_ZN7rocprim17ROCPRIM_400000_NS6detail17trampoline_kernelINS0_14default_configENS1_20scan_config_selectorIxEEZZNS1_9scan_implILNS1_25lookback_scan_determinismE0ELb0ELb0ES3_N6thrust23THRUST_200600_302600_NS6detail15normal_iteratorINS9_10device_ptrIxEEEESE_x9plus_mod3IxExEEDaPvRmT3_T4_T5_mT6_P12ihipStream_tbENKUlT_T0_E_clISt17integral_constantIbLb1EESU_EEDaSP_SQ_EUlSP_E_NS1_11comp_targetILNS1_3genE10ELNS1_11target_archE1200ELNS1_3gpuE4ELNS1_3repE0EEENS1_30default_config_static_selectorELNS0_4arch9wavefront6targetE1EEEvT1_
                                        ; -- End function
	.section	.AMDGPU.csdata,"",@progbits
; Kernel info:
; codeLenInByte = 0
; NumSgprs: 4
; NumVgprs: 0
; NumAgprs: 0
; TotalNumVgprs: 0
; ScratchSize: 0
; MemoryBound: 0
; FloatMode: 240
; IeeeMode: 1
; LDSByteSize: 0 bytes/workgroup (compile time only)
; SGPRBlocks: 0
; VGPRBlocks: 0
; NumSGPRsForWavesPerEU: 4
; NumVGPRsForWavesPerEU: 1
; AccumOffset: 4
; Occupancy: 8
; WaveLimiterHint : 0
; COMPUTE_PGM_RSRC2:SCRATCH_EN: 0
; COMPUTE_PGM_RSRC2:USER_SGPR: 6
; COMPUTE_PGM_RSRC2:TRAP_HANDLER: 0
; COMPUTE_PGM_RSRC2:TGID_X_EN: 1
; COMPUTE_PGM_RSRC2:TGID_Y_EN: 0
; COMPUTE_PGM_RSRC2:TGID_Z_EN: 0
; COMPUTE_PGM_RSRC2:TIDIG_COMP_CNT: 0
; COMPUTE_PGM_RSRC3_GFX90A:ACCUM_OFFSET: 0
; COMPUTE_PGM_RSRC3_GFX90A:TG_SPLIT: 0
	.section	.text._ZN7rocprim17ROCPRIM_400000_NS6detail17trampoline_kernelINS0_14default_configENS1_20scan_config_selectorIxEEZZNS1_9scan_implILNS1_25lookback_scan_determinismE0ELb0ELb0ES3_N6thrust23THRUST_200600_302600_NS6detail15normal_iteratorINS9_10device_ptrIxEEEESE_x9plus_mod3IxExEEDaPvRmT3_T4_T5_mT6_P12ihipStream_tbENKUlT_T0_E_clISt17integral_constantIbLb1EESU_EEDaSP_SQ_EUlSP_E_NS1_11comp_targetILNS1_3genE9ELNS1_11target_archE1100ELNS1_3gpuE3ELNS1_3repE0EEENS1_30default_config_static_selectorELNS0_4arch9wavefront6targetE1EEEvT1_,"axG",@progbits,_ZN7rocprim17ROCPRIM_400000_NS6detail17trampoline_kernelINS0_14default_configENS1_20scan_config_selectorIxEEZZNS1_9scan_implILNS1_25lookback_scan_determinismE0ELb0ELb0ES3_N6thrust23THRUST_200600_302600_NS6detail15normal_iteratorINS9_10device_ptrIxEEEESE_x9plus_mod3IxExEEDaPvRmT3_T4_T5_mT6_P12ihipStream_tbENKUlT_T0_E_clISt17integral_constantIbLb1EESU_EEDaSP_SQ_EUlSP_E_NS1_11comp_targetILNS1_3genE9ELNS1_11target_archE1100ELNS1_3gpuE3ELNS1_3repE0EEENS1_30default_config_static_selectorELNS0_4arch9wavefront6targetE1EEEvT1_,comdat
	.protected	_ZN7rocprim17ROCPRIM_400000_NS6detail17trampoline_kernelINS0_14default_configENS1_20scan_config_selectorIxEEZZNS1_9scan_implILNS1_25lookback_scan_determinismE0ELb0ELb0ES3_N6thrust23THRUST_200600_302600_NS6detail15normal_iteratorINS9_10device_ptrIxEEEESE_x9plus_mod3IxExEEDaPvRmT3_T4_T5_mT6_P12ihipStream_tbENKUlT_T0_E_clISt17integral_constantIbLb1EESU_EEDaSP_SQ_EUlSP_E_NS1_11comp_targetILNS1_3genE9ELNS1_11target_archE1100ELNS1_3gpuE3ELNS1_3repE0EEENS1_30default_config_static_selectorELNS0_4arch9wavefront6targetE1EEEvT1_ ; -- Begin function _ZN7rocprim17ROCPRIM_400000_NS6detail17trampoline_kernelINS0_14default_configENS1_20scan_config_selectorIxEEZZNS1_9scan_implILNS1_25lookback_scan_determinismE0ELb0ELb0ES3_N6thrust23THRUST_200600_302600_NS6detail15normal_iteratorINS9_10device_ptrIxEEEESE_x9plus_mod3IxExEEDaPvRmT3_T4_T5_mT6_P12ihipStream_tbENKUlT_T0_E_clISt17integral_constantIbLb1EESU_EEDaSP_SQ_EUlSP_E_NS1_11comp_targetILNS1_3genE9ELNS1_11target_archE1100ELNS1_3gpuE3ELNS1_3repE0EEENS1_30default_config_static_selectorELNS0_4arch9wavefront6targetE1EEEvT1_
	.globl	_ZN7rocprim17ROCPRIM_400000_NS6detail17trampoline_kernelINS0_14default_configENS1_20scan_config_selectorIxEEZZNS1_9scan_implILNS1_25lookback_scan_determinismE0ELb0ELb0ES3_N6thrust23THRUST_200600_302600_NS6detail15normal_iteratorINS9_10device_ptrIxEEEESE_x9plus_mod3IxExEEDaPvRmT3_T4_T5_mT6_P12ihipStream_tbENKUlT_T0_E_clISt17integral_constantIbLb1EESU_EEDaSP_SQ_EUlSP_E_NS1_11comp_targetILNS1_3genE9ELNS1_11target_archE1100ELNS1_3gpuE3ELNS1_3repE0EEENS1_30default_config_static_selectorELNS0_4arch9wavefront6targetE1EEEvT1_
	.p2align	8
	.type	_ZN7rocprim17ROCPRIM_400000_NS6detail17trampoline_kernelINS0_14default_configENS1_20scan_config_selectorIxEEZZNS1_9scan_implILNS1_25lookback_scan_determinismE0ELb0ELb0ES3_N6thrust23THRUST_200600_302600_NS6detail15normal_iteratorINS9_10device_ptrIxEEEESE_x9plus_mod3IxExEEDaPvRmT3_T4_T5_mT6_P12ihipStream_tbENKUlT_T0_E_clISt17integral_constantIbLb1EESU_EEDaSP_SQ_EUlSP_E_NS1_11comp_targetILNS1_3genE9ELNS1_11target_archE1100ELNS1_3gpuE3ELNS1_3repE0EEENS1_30default_config_static_selectorELNS0_4arch9wavefront6targetE1EEEvT1_,@function
_ZN7rocprim17ROCPRIM_400000_NS6detail17trampoline_kernelINS0_14default_configENS1_20scan_config_selectorIxEEZZNS1_9scan_implILNS1_25lookback_scan_determinismE0ELb0ELb0ES3_N6thrust23THRUST_200600_302600_NS6detail15normal_iteratorINS9_10device_ptrIxEEEESE_x9plus_mod3IxExEEDaPvRmT3_T4_T5_mT6_P12ihipStream_tbENKUlT_T0_E_clISt17integral_constantIbLb1EESU_EEDaSP_SQ_EUlSP_E_NS1_11comp_targetILNS1_3genE9ELNS1_11target_archE1100ELNS1_3gpuE3ELNS1_3repE0EEENS1_30default_config_static_selectorELNS0_4arch9wavefront6targetE1EEEvT1_: ; @_ZN7rocprim17ROCPRIM_400000_NS6detail17trampoline_kernelINS0_14default_configENS1_20scan_config_selectorIxEEZZNS1_9scan_implILNS1_25lookback_scan_determinismE0ELb0ELb0ES3_N6thrust23THRUST_200600_302600_NS6detail15normal_iteratorINS9_10device_ptrIxEEEESE_x9plus_mod3IxExEEDaPvRmT3_T4_T5_mT6_P12ihipStream_tbENKUlT_T0_E_clISt17integral_constantIbLb1EESU_EEDaSP_SQ_EUlSP_E_NS1_11comp_targetILNS1_3genE9ELNS1_11target_archE1100ELNS1_3gpuE3ELNS1_3repE0EEENS1_30default_config_static_selectorELNS0_4arch9wavefront6targetE1EEEvT1_
; %bb.0:
	.section	.rodata,"a",@progbits
	.p2align	6, 0x0
	.amdhsa_kernel _ZN7rocprim17ROCPRIM_400000_NS6detail17trampoline_kernelINS0_14default_configENS1_20scan_config_selectorIxEEZZNS1_9scan_implILNS1_25lookback_scan_determinismE0ELb0ELb0ES3_N6thrust23THRUST_200600_302600_NS6detail15normal_iteratorINS9_10device_ptrIxEEEESE_x9plus_mod3IxExEEDaPvRmT3_T4_T5_mT6_P12ihipStream_tbENKUlT_T0_E_clISt17integral_constantIbLb1EESU_EEDaSP_SQ_EUlSP_E_NS1_11comp_targetILNS1_3genE9ELNS1_11target_archE1100ELNS1_3gpuE3ELNS1_3repE0EEENS1_30default_config_static_selectorELNS0_4arch9wavefront6targetE1EEEvT1_
		.amdhsa_group_segment_fixed_size 0
		.amdhsa_private_segment_fixed_size 0
		.amdhsa_kernarg_size 104
		.amdhsa_user_sgpr_count 6
		.amdhsa_user_sgpr_private_segment_buffer 1
		.amdhsa_user_sgpr_dispatch_ptr 0
		.amdhsa_user_sgpr_queue_ptr 0
		.amdhsa_user_sgpr_kernarg_segment_ptr 1
		.amdhsa_user_sgpr_dispatch_id 0
		.amdhsa_user_sgpr_flat_scratch_init 0
		.amdhsa_user_sgpr_kernarg_preload_length 0
		.amdhsa_user_sgpr_kernarg_preload_offset 0
		.amdhsa_user_sgpr_private_segment_size 0
		.amdhsa_uses_dynamic_stack 0
		.amdhsa_system_sgpr_private_segment_wavefront_offset 0
		.amdhsa_system_sgpr_workgroup_id_x 1
		.amdhsa_system_sgpr_workgroup_id_y 0
		.amdhsa_system_sgpr_workgroup_id_z 0
		.amdhsa_system_sgpr_workgroup_info 0
		.amdhsa_system_vgpr_workitem_id 0
		.amdhsa_next_free_vgpr 1
		.amdhsa_next_free_sgpr 0
		.amdhsa_accum_offset 4
		.amdhsa_reserve_vcc 0
		.amdhsa_reserve_flat_scratch 0
		.amdhsa_float_round_mode_32 0
		.amdhsa_float_round_mode_16_64 0
		.amdhsa_float_denorm_mode_32 3
		.amdhsa_float_denorm_mode_16_64 3
		.amdhsa_dx10_clamp 1
		.amdhsa_ieee_mode 1
		.amdhsa_fp16_overflow 0
		.amdhsa_tg_split 0
		.amdhsa_exception_fp_ieee_invalid_op 0
		.amdhsa_exception_fp_denorm_src 0
		.amdhsa_exception_fp_ieee_div_zero 0
		.amdhsa_exception_fp_ieee_overflow 0
		.amdhsa_exception_fp_ieee_underflow 0
		.amdhsa_exception_fp_ieee_inexact 0
		.amdhsa_exception_int_div_zero 0
	.end_amdhsa_kernel
	.section	.text._ZN7rocprim17ROCPRIM_400000_NS6detail17trampoline_kernelINS0_14default_configENS1_20scan_config_selectorIxEEZZNS1_9scan_implILNS1_25lookback_scan_determinismE0ELb0ELb0ES3_N6thrust23THRUST_200600_302600_NS6detail15normal_iteratorINS9_10device_ptrIxEEEESE_x9plus_mod3IxExEEDaPvRmT3_T4_T5_mT6_P12ihipStream_tbENKUlT_T0_E_clISt17integral_constantIbLb1EESU_EEDaSP_SQ_EUlSP_E_NS1_11comp_targetILNS1_3genE9ELNS1_11target_archE1100ELNS1_3gpuE3ELNS1_3repE0EEENS1_30default_config_static_selectorELNS0_4arch9wavefront6targetE1EEEvT1_,"axG",@progbits,_ZN7rocprim17ROCPRIM_400000_NS6detail17trampoline_kernelINS0_14default_configENS1_20scan_config_selectorIxEEZZNS1_9scan_implILNS1_25lookback_scan_determinismE0ELb0ELb0ES3_N6thrust23THRUST_200600_302600_NS6detail15normal_iteratorINS9_10device_ptrIxEEEESE_x9plus_mod3IxExEEDaPvRmT3_T4_T5_mT6_P12ihipStream_tbENKUlT_T0_E_clISt17integral_constantIbLb1EESU_EEDaSP_SQ_EUlSP_E_NS1_11comp_targetILNS1_3genE9ELNS1_11target_archE1100ELNS1_3gpuE3ELNS1_3repE0EEENS1_30default_config_static_selectorELNS0_4arch9wavefront6targetE1EEEvT1_,comdat
.Lfunc_end6559:
	.size	_ZN7rocprim17ROCPRIM_400000_NS6detail17trampoline_kernelINS0_14default_configENS1_20scan_config_selectorIxEEZZNS1_9scan_implILNS1_25lookback_scan_determinismE0ELb0ELb0ES3_N6thrust23THRUST_200600_302600_NS6detail15normal_iteratorINS9_10device_ptrIxEEEESE_x9plus_mod3IxExEEDaPvRmT3_T4_T5_mT6_P12ihipStream_tbENKUlT_T0_E_clISt17integral_constantIbLb1EESU_EEDaSP_SQ_EUlSP_E_NS1_11comp_targetILNS1_3genE9ELNS1_11target_archE1100ELNS1_3gpuE3ELNS1_3repE0EEENS1_30default_config_static_selectorELNS0_4arch9wavefront6targetE1EEEvT1_, .Lfunc_end6559-_ZN7rocprim17ROCPRIM_400000_NS6detail17trampoline_kernelINS0_14default_configENS1_20scan_config_selectorIxEEZZNS1_9scan_implILNS1_25lookback_scan_determinismE0ELb0ELb0ES3_N6thrust23THRUST_200600_302600_NS6detail15normal_iteratorINS9_10device_ptrIxEEEESE_x9plus_mod3IxExEEDaPvRmT3_T4_T5_mT6_P12ihipStream_tbENKUlT_T0_E_clISt17integral_constantIbLb1EESU_EEDaSP_SQ_EUlSP_E_NS1_11comp_targetILNS1_3genE9ELNS1_11target_archE1100ELNS1_3gpuE3ELNS1_3repE0EEENS1_30default_config_static_selectorELNS0_4arch9wavefront6targetE1EEEvT1_
                                        ; -- End function
	.section	.AMDGPU.csdata,"",@progbits
; Kernel info:
; codeLenInByte = 0
; NumSgprs: 4
; NumVgprs: 0
; NumAgprs: 0
; TotalNumVgprs: 0
; ScratchSize: 0
; MemoryBound: 0
; FloatMode: 240
; IeeeMode: 1
; LDSByteSize: 0 bytes/workgroup (compile time only)
; SGPRBlocks: 0
; VGPRBlocks: 0
; NumSGPRsForWavesPerEU: 4
; NumVGPRsForWavesPerEU: 1
; AccumOffset: 4
; Occupancy: 8
; WaveLimiterHint : 0
; COMPUTE_PGM_RSRC2:SCRATCH_EN: 0
; COMPUTE_PGM_RSRC2:USER_SGPR: 6
; COMPUTE_PGM_RSRC2:TRAP_HANDLER: 0
; COMPUTE_PGM_RSRC2:TGID_X_EN: 1
; COMPUTE_PGM_RSRC2:TGID_Y_EN: 0
; COMPUTE_PGM_RSRC2:TGID_Z_EN: 0
; COMPUTE_PGM_RSRC2:TIDIG_COMP_CNT: 0
; COMPUTE_PGM_RSRC3_GFX90A:ACCUM_OFFSET: 0
; COMPUTE_PGM_RSRC3_GFX90A:TG_SPLIT: 0
	.section	.text._ZN7rocprim17ROCPRIM_400000_NS6detail17trampoline_kernelINS0_14default_configENS1_20scan_config_selectorIxEEZZNS1_9scan_implILNS1_25lookback_scan_determinismE0ELb0ELb0ES3_N6thrust23THRUST_200600_302600_NS6detail15normal_iteratorINS9_10device_ptrIxEEEESE_x9plus_mod3IxExEEDaPvRmT3_T4_T5_mT6_P12ihipStream_tbENKUlT_T0_E_clISt17integral_constantIbLb1EESU_EEDaSP_SQ_EUlSP_E_NS1_11comp_targetILNS1_3genE8ELNS1_11target_archE1030ELNS1_3gpuE2ELNS1_3repE0EEENS1_30default_config_static_selectorELNS0_4arch9wavefront6targetE1EEEvT1_,"axG",@progbits,_ZN7rocprim17ROCPRIM_400000_NS6detail17trampoline_kernelINS0_14default_configENS1_20scan_config_selectorIxEEZZNS1_9scan_implILNS1_25lookback_scan_determinismE0ELb0ELb0ES3_N6thrust23THRUST_200600_302600_NS6detail15normal_iteratorINS9_10device_ptrIxEEEESE_x9plus_mod3IxExEEDaPvRmT3_T4_T5_mT6_P12ihipStream_tbENKUlT_T0_E_clISt17integral_constantIbLb1EESU_EEDaSP_SQ_EUlSP_E_NS1_11comp_targetILNS1_3genE8ELNS1_11target_archE1030ELNS1_3gpuE2ELNS1_3repE0EEENS1_30default_config_static_selectorELNS0_4arch9wavefront6targetE1EEEvT1_,comdat
	.protected	_ZN7rocprim17ROCPRIM_400000_NS6detail17trampoline_kernelINS0_14default_configENS1_20scan_config_selectorIxEEZZNS1_9scan_implILNS1_25lookback_scan_determinismE0ELb0ELb0ES3_N6thrust23THRUST_200600_302600_NS6detail15normal_iteratorINS9_10device_ptrIxEEEESE_x9plus_mod3IxExEEDaPvRmT3_T4_T5_mT6_P12ihipStream_tbENKUlT_T0_E_clISt17integral_constantIbLb1EESU_EEDaSP_SQ_EUlSP_E_NS1_11comp_targetILNS1_3genE8ELNS1_11target_archE1030ELNS1_3gpuE2ELNS1_3repE0EEENS1_30default_config_static_selectorELNS0_4arch9wavefront6targetE1EEEvT1_ ; -- Begin function _ZN7rocprim17ROCPRIM_400000_NS6detail17trampoline_kernelINS0_14default_configENS1_20scan_config_selectorIxEEZZNS1_9scan_implILNS1_25lookback_scan_determinismE0ELb0ELb0ES3_N6thrust23THRUST_200600_302600_NS6detail15normal_iteratorINS9_10device_ptrIxEEEESE_x9plus_mod3IxExEEDaPvRmT3_T4_T5_mT6_P12ihipStream_tbENKUlT_T0_E_clISt17integral_constantIbLb1EESU_EEDaSP_SQ_EUlSP_E_NS1_11comp_targetILNS1_3genE8ELNS1_11target_archE1030ELNS1_3gpuE2ELNS1_3repE0EEENS1_30default_config_static_selectorELNS0_4arch9wavefront6targetE1EEEvT1_
	.globl	_ZN7rocprim17ROCPRIM_400000_NS6detail17trampoline_kernelINS0_14default_configENS1_20scan_config_selectorIxEEZZNS1_9scan_implILNS1_25lookback_scan_determinismE0ELb0ELb0ES3_N6thrust23THRUST_200600_302600_NS6detail15normal_iteratorINS9_10device_ptrIxEEEESE_x9plus_mod3IxExEEDaPvRmT3_T4_T5_mT6_P12ihipStream_tbENKUlT_T0_E_clISt17integral_constantIbLb1EESU_EEDaSP_SQ_EUlSP_E_NS1_11comp_targetILNS1_3genE8ELNS1_11target_archE1030ELNS1_3gpuE2ELNS1_3repE0EEENS1_30default_config_static_selectorELNS0_4arch9wavefront6targetE1EEEvT1_
	.p2align	8
	.type	_ZN7rocprim17ROCPRIM_400000_NS6detail17trampoline_kernelINS0_14default_configENS1_20scan_config_selectorIxEEZZNS1_9scan_implILNS1_25lookback_scan_determinismE0ELb0ELb0ES3_N6thrust23THRUST_200600_302600_NS6detail15normal_iteratorINS9_10device_ptrIxEEEESE_x9plus_mod3IxExEEDaPvRmT3_T4_T5_mT6_P12ihipStream_tbENKUlT_T0_E_clISt17integral_constantIbLb1EESU_EEDaSP_SQ_EUlSP_E_NS1_11comp_targetILNS1_3genE8ELNS1_11target_archE1030ELNS1_3gpuE2ELNS1_3repE0EEENS1_30default_config_static_selectorELNS0_4arch9wavefront6targetE1EEEvT1_,@function
_ZN7rocprim17ROCPRIM_400000_NS6detail17trampoline_kernelINS0_14default_configENS1_20scan_config_selectorIxEEZZNS1_9scan_implILNS1_25lookback_scan_determinismE0ELb0ELb0ES3_N6thrust23THRUST_200600_302600_NS6detail15normal_iteratorINS9_10device_ptrIxEEEESE_x9plus_mod3IxExEEDaPvRmT3_T4_T5_mT6_P12ihipStream_tbENKUlT_T0_E_clISt17integral_constantIbLb1EESU_EEDaSP_SQ_EUlSP_E_NS1_11comp_targetILNS1_3genE8ELNS1_11target_archE1030ELNS1_3gpuE2ELNS1_3repE0EEENS1_30default_config_static_selectorELNS0_4arch9wavefront6targetE1EEEvT1_: ; @_ZN7rocprim17ROCPRIM_400000_NS6detail17trampoline_kernelINS0_14default_configENS1_20scan_config_selectorIxEEZZNS1_9scan_implILNS1_25lookback_scan_determinismE0ELb0ELb0ES3_N6thrust23THRUST_200600_302600_NS6detail15normal_iteratorINS9_10device_ptrIxEEEESE_x9plus_mod3IxExEEDaPvRmT3_T4_T5_mT6_P12ihipStream_tbENKUlT_T0_E_clISt17integral_constantIbLb1EESU_EEDaSP_SQ_EUlSP_E_NS1_11comp_targetILNS1_3genE8ELNS1_11target_archE1030ELNS1_3gpuE2ELNS1_3repE0EEENS1_30default_config_static_selectorELNS0_4arch9wavefront6targetE1EEEvT1_
; %bb.0:
	.section	.rodata,"a",@progbits
	.p2align	6, 0x0
	.amdhsa_kernel _ZN7rocprim17ROCPRIM_400000_NS6detail17trampoline_kernelINS0_14default_configENS1_20scan_config_selectorIxEEZZNS1_9scan_implILNS1_25lookback_scan_determinismE0ELb0ELb0ES3_N6thrust23THRUST_200600_302600_NS6detail15normal_iteratorINS9_10device_ptrIxEEEESE_x9plus_mod3IxExEEDaPvRmT3_T4_T5_mT6_P12ihipStream_tbENKUlT_T0_E_clISt17integral_constantIbLb1EESU_EEDaSP_SQ_EUlSP_E_NS1_11comp_targetILNS1_3genE8ELNS1_11target_archE1030ELNS1_3gpuE2ELNS1_3repE0EEENS1_30default_config_static_selectorELNS0_4arch9wavefront6targetE1EEEvT1_
		.amdhsa_group_segment_fixed_size 0
		.amdhsa_private_segment_fixed_size 0
		.amdhsa_kernarg_size 104
		.amdhsa_user_sgpr_count 6
		.amdhsa_user_sgpr_private_segment_buffer 1
		.amdhsa_user_sgpr_dispatch_ptr 0
		.amdhsa_user_sgpr_queue_ptr 0
		.amdhsa_user_sgpr_kernarg_segment_ptr 1
		.amdhsa_user_sgpr_dispatch_id 0
		.amdhsa_user_sgpr_flat_scratch_init 0
		.amdhsa_user_sgpr_kernarg_preload_length 0
		.amdhsa_user_sgpr_kernarg_preload_offset 0
		.amdhsa_user_sgpr_private_segment_size 0
		.amdhsa_uses_dynamic_stack 0
		.amdhsa_system_sgpr_private_segment_wavefront_offset 0
		.amdhsa_system_sgpr_workgroup_id_x 1
		.amdhsa_system_sgpr_workgroup_id_y 0
		.amdhsa_system_sgpr_workgroup_id_z 0
		.amdhsa_system_sgpr_workgroup_info 0
		.amdhsa_system_vgpr_workitem_id 0
		.amdhsa_next_free_vgpr 1
		.amdhsa_next_free_sgpr 0
		.amdhsa_accum_offset 4
		.amdhsa_reserve_vcc 0
		.amdhsa_reserve_flat_scratch 0
		.amdhsa_float_round_mode_32 0
		.amdhsa_float_round_mode_16_64 0
		.amdhsa_float_denorm_mode_32 3
		.amdhsa_float_denorm_mode_16_64 3
		.amdhsa_dx10_clamp 1
		.amdhsa_ieee_mode 1
		.amdhsa_fp16_overflow 0
		.amdhsa_tg_split 0
		.amdhsa_exception_fp_ieee_invalid_op 0
		.amdhsa_exception_fp_denorm_src 0
		.amdhsa_exception_fp_ieee_div_zero 0
		.amdhsa_exception_fp_ieee_overflow 0
		.amdhsa_exception_fp_ieee_underflow 0
		.amdhsa_exception_fp_ieee_inexact 0
		.amdhsa_exception_int_div_zero 0
	.end_amdhsa_kernel
	.section	.text._ZN7rocprim17ROCPRIM_400000_NS6detail17trampoline_kernelINS0_14default_configENS1_20scan_config_selectorIxEEZZNS1_9scan_implILNS1_25lookback_scan_determinismE0ELb0ELb0ES3_N6thrust23THRUST_200600_302600_NS6detail15normal_iteratorINS9_10device_ptrIxEEEESE_x9plus_mod3IxExEEDaPvRmT3_T4_T5_mT6_P12ihipStream_tbENKUlT_T0_E_clISt17integral_constantIbLb1EESU_EEDaSP_SQ_EUlSP_E_NS1_11comp_targetILNS1_3genE8ELNS1_11target_archE1030ELNS1_3gpuE2ELNS1_3repE0EEENS1_30default_config_static_selectorELNS0_4arch9wavefront6targetE1EEEvT1_,"axG",@progbits,_ZN7rocprim17ROCPRIM_400000_NS6detail17trampoline_kernelINS0_14default_configENS1_20scan_config_selectorIxEEZZNS1_9scan_implILNS1_25lookback_scan_determinismE0ELb0ELb0ES3_N6thrust23THRUST_200600_302600_NS6detail15normal_iteratorINS9_10device_ptrIxEEEESE_x9plus_mod3IxExEEDaPvRmT3_T4_T5_mT6_P12ihipStream_tbENKUlT_T0_E_clISt17integral_constantIbLb1EESU_EEDaSP_SQ_EUlSP_E_NS1_11comp_targetILNS1_3genE8ELNS1_11target_archE1030ELNS1_3gpuE2ELNS1_3repE0EEENS1_30default_config_static_selectorELNS0_4arch9wavefront6targetE1EEEvT1_,comdat
.Lfunc_end6560:
	.size	_ZN7rocprim17ROCPRIM_400000_NS6detail17trampoline_kernelINS0_14default_configENS1_20scan_config_selectorIxEEZZNS1_9scan_implILNS1_25lookback_scan_determinismE0ELb0ELb0ES3_N6thrust23THRUST_200600_302600_NS6detail15normal_iteratorINS9_10device_ptrIxEEEESE_x9plus_mod3IxExEEDaPvRmT3_T4_T5_mT6_P12ihipStream_tbENKUlT_T0_E_clISt17integral_constantIbLb1EESU_EEDaSP_SQ_EUlSP_E_NS1_11comp_targetILNS1_3genE8ELNS1_11target_archE1030ELNS1_3gpuE2ELNS1_3repE0EEENS1_30default_config_static_selectorELNS0_4arch9wavefront6targetE1EEEvT1_, .Lfunc_end6560-_ZN7rocprim17ROCPRIM_400000_NS6detail17trampoline_kernelINS0_14default_configENS1_20scan_config_selectorIxEEZZNS1_9scan_implILNS1_25lookback_scan_determinismE0ELb0ELb0ES3_N6thrust23THRUST_200600_302600_NS6detail15normal_iteratorINS9_10device_ptrIxEEEESE_x9plus_mod3IxExEEDaPvRmT3_T4_T5_mT6_P12ihipStream_tbENKUlT_T0_E_clISt17integral_constantIbLb1EESU_EEDaSP_SQ_EUlSP_E_NS1_11comp_targetILNS1_3genE8ELNS1_11target_archE1030ELNS1_3gpuE2ELNS1_3repE0EEENS1_30default_config_static_selectorELNS0_4arch9wavefront6targetE1EEEvT1_
                                        ; -- End function
	.section	.AMDGPU.csdata,"",@progbits
; Kernel info:
; codeLenInByte = 0
; NumSgprs: 4
; NumVgprs: 0
; NumAgprs: 0
; TotalNumVgprs: 0
; ScratchSize: 0
; MemoryBound: 0
; FloatMode: 240
; IeeeMode: 1
; LDSByteSize: 0 bytes/workgroup (compile time only)
; SGPRBlocks: 0
; VGPRBlocks: 0
; NumSGPRsForWavesPerEU: 4
; NumVGPRsForWavesPerEU: 1
; AccumOffset: 4
; Occupancy: 8
; WaveLimiterHint : 0
; COMPUTE_PGM_RSRC2:SCRATCH_EN: 0
; COMPUTE_PGM_RSRC2:USER_SGPR: 6
; COMPUTE_PGM_RSRC2:TRAP_HANDLER: 0
; COMPUTE_PGM_RSRC2:TGID_X_EN: 1
; COMPUTE_PGM_RSRC2:TGID_Y_EN: 0
; COMPUTE_PGM_RSRC2:TGID_Z_EN: 0
; COMPUTE_PGM_RSRC2:TIDIG_COMP_CNT: 0
; COMPUTE_PGM_RSRC3_GFX90A:ACCUM_OFFSET: 0
; COMPUTE_PGM_RSRC3_GFX90A:TG_SPLIT: 0
	.section	.text._ZN7rocprim17ROCPRIM_400000_NS6detail17trampoline_kernelINS0_14default_configENS1_20scan_config_selectorIxEEZZNS1_9scan_implILNS1_25lookback_scan_determinismE0ELb0ELb0ES3_N6thrust23THRUST_200600_302600_NS6detail15normal_iteratorINS9_10device_ptrIxEEEESE_x9plus_mod3IxExEEDaPvRmT3_T4_T5_mT6_P12ihipStream_tbENKUlT_T0_E_clISt17integral_constantIbLb1EESU_EEDaSP_SQ_EUlSP_E0_NS1_11comp_targetILNS1_3genE0ELNS1_11target_archE4294967295ELNS1_3gpuE0ELNS1_3repE0EEENS1_30default_config_static_selectorELNS0_4arch9wavefront6targetE1EEEvT1_,"axG",@progbits,_ZN7rocprim17ROCPRIM_400000_NS6detail17trampoline_kernelINS0_14default_configENS1_20scan_config_selectorIxEEZZNS1_9scan_implILNS1_25lookback_scan_determinismE0ELb0ELb0ES3_N6thrust23THRUST_200600_302600_NS6detail15normal_iteratorINS9_10device_ptrIxEEEESE_x9plus_mod3IxExEEDaPvRmT3_T4_T5_mT6_P12ihipStream_tbENKUlT_T0_E_clISt17integral_constantIbLb1EESU_EEDaSP_SQ_EUlSP_E0_NS1_11comp_targetILNS1_3genE0ELNS1_11target_archE4294967295ELNS1_3gpuE0ELNS1_3repE0EEENS1_30default_config_static_selectorELNS0_4arch9wavefront6targetE1EEEvT1_,comdat
	.protected	_ZN7rocprim17ROCPRIM_400000_NS6detail17trampoline_kernelINS0_14default_configENS1_20scan_config_selectorIxEEZZNS1_9scan_implILNS1_25lookback_scan_determinismE0ELb0ELb0ES3_N6thrust23THRUST_200600_302600_NS6detail15normal_iteratorINS9_10device_ptrIxEEEESE_x9plus_mod3IxExEEDaPvRmT3_T4_T5_mT6_P12ihipStream_tbENKUlT_T0_E_clISt17integral_constantIbLb1EESU_EEDaSP_SQ_EUlSP_E0_NS1_11comp_targetILNS1_3genE0ELNS1_11target_archE4294967295ELNS1_3gpuE0ELNS1_3repE0EEENS1_30default_config_static_selectorELNS0_4arch9wavefront6targetE1EEEvT1_ ; -- Begin function _ZN7rocprim17ROCPRIM_400000_NS6detail17trampoline_kernelINS0_14default_configENS1_20scan_config_selectorIxEEZZNS1_9scan_implILNS1_25lookback_scan_determinismE0ELb0ELb0ES3_N6thrust23THRUST_200600_302600_NS6detail15normal_iteratorINS9_10device_ptrIxEEEESE_x9plus_mod3IxExEEDaPvRmT3_T4_T5_mT6_P12ihipStream_tbENKUlT_T0_E_clISt17integral_constantIbLb1EESU_EEDaSP_SQ_EUlSP_E0_NS1_11comp_targetILNS1_3genE0ELNS1_11target_archE4294967295ELNS1_3gpuE0ELNS1_3repE0EEENS1_30default_config_static_selectorELNS0_4arch9wavefront6targetE1EEEvT1_
	.globl	_ZN7rocprim17ROCPRIM_400000_NS6detail17trampoline_kernelINS0_14default_configENS1_20scan_config_selectorIxEEZZNS1_9scan_implILNS1_25lookback_scan_determinismE0ELb0ELb0ES3_N6thrust23THRUST_200600_302600_NS6detail15normal_iteratorINS9_10device_ptrIxEEEESE_x9plus_mod3IxExEEDaPvRmT3_T4_T5_mT6_P12ihipStream_tbENKUlT_T0_E_clISt17integral_constantIbLb1EESU_EEDaSP_SQ_EUlSP_E0_NS1_11comp_targetILNS1_3genE0ELNS1_11target_archE4294967295ELNS1_3gpuE0ELNS1_3repE0EEENS1_30default_config_static_selectorELNS0_4arch9wavefront6targetE1EEEvT1_
	.p2align	8
	.type	_ZN7rocprim17ROCPRIM_400000_NS6detail17trampoline_kernelINS0_14default_configENS1_20scan_config_selectorIxEEZZNS1_9scan_implILNS1_25lookback_scan_determinismE0ELb0ELb0ES3_N6thrust23THRUST_200600_302600_NS6detail15normal_iteratorINS9_10device_ptrIxEEEESE_x9plus_mod3IxExEEDaPvRmT3_T4_T5_mT6_P12ihipStream_tbENKUlT_T0_E_clISt17integral_constantIbLb1EESU_EEDaSP_SQ_EUlSP_E0_NS1_11comp_targetILNS1_3genE0ELNS1_11target_archE4294967295ELNS1_3gpuE0ELNS1_3repE0EEENS1_30default_config_static_selectorELNS0_4arch9wavefront6targetE1EEEvT1_,@function
_ZN7rocprim17ROCPRIM_400000_NS6detail17trampoline_kernelINS0_14default_configENS1_20scan_config_selectorIxEEZZNS1_9scan_implILNS1_25lookback_scan_determinismE0ELb0ELb0ES3_N6thrust23THRUST_200600_302600_NS6detail15normal_iteratorINS9_10device_ptrIxEEEESE_x9plus_mod3IxExEEDaPvRmT3_T4_T5_mT6_P12ihipStream_tbENKUlT_T0_E_clISt17integral_constantIbLb1EESU_EEDaSP_SQ_EUlSP_E0_NS1_11comp_targetILNS1_3genE0ELNS1_11target_archE4294967295ELNS1_3gpuE0ELNS1_3repE0EEENS1_30default_config_static_selectorELNS0_4arch9wavefront6targetE1EEEvT1_: ; @_ZN7rocprim17ROCPRIM_400000_NS6detail17trampoline_kernelINS0_14default_configENS1_20scan_config_selectorIxEEZZNS1_9scan_implILNS1_25lookback_scan_determinismE0ELb0ELb0ES3_N6thrust23THRUST_200600_302600_NS6detail15normal_iteratorINS9_10device_ptrIxEEEESE_x9plus_mod3IxExEEDaPvRmT3_T4_T5_mT6_P12ihipStream_tbENKUlT_T0_E_clISt17integral_constantIbLb1EESU_EEDaSP_SQ_EUlSP_E0_NS1_11comp_targetILNS1_3genE0ELNS1_11target_archE4294967295ELNS1_3gpuE0ELNS1_3repE0EEENS1_30default_config_static_selectorELNS0_4arch9wavefront6targetE1EEEvT1_
; %bb.0:
	.section	.rodata,"a",@progbits
	.p2align	6, 0x0
	.amdhsa_kernel _ZN7rocprim17ROCPRIM_400000_NS6detail17trampoline_kernelINS0_14default_configENS1_20scan_config_selectorIxEEZZNS1_9scan_implILNS1_25lookback_scan_determinismE0ELb0ELb0ES3_N6thrust23THRUST_200600_302600_NS6detail15normal_iteratorINS9_10device_ptrIxEEEESE_x9plus_mod3IxExEEDaPvRmT3_T4_T5_mT6_P12ihipStream_tbENKUlT_T0_E_clISt17integral_constantIbLb1EESU_EEDaSP_SQ_EUlSP_E0_NS1_11comp_targetILNS1_3genE0ELNS1_11target_archE4294967295ELNS1_3gpuE0ELNS1_3repE0EEENS1_30default_config_static_selectorELNS0_4arch9wavefront6targetE1EEEvT1_
		.amdhsa_group_segment_fixed_size 0
		.amdhsa_private_segment_fixed_size 0
		.amdhsa_kernarg_size 40
		.amdhsa_user_sgpr_count 6
		.amdhsa_user_sgpr_private_segment_buffer 1
		.amdhsa_user_sgpr_dispatch_ptr 0
		.amdhsa_user_sgpr_queue_ptr 0
		.amdhsa_user_sgpr_kernarg_segment_ptr 1
		.amdhsa_user_sgpr_dispatch_id 0
		.amdhsa_user_sgpr_flat_scratch_init 0
		.amdhsa_user_sgpr_kernarg_preload_length 0
		.amdhsa_user_sgpr_kernarg_preload_offset 0
		.amdhsa_user_sgpr_private_segment_size 0
		.amdhsa_uses_dynamic_stack 0
		.amdhsa_system_sgpr_private_segment_wavefront_offset 0
		.amdhsa_system_sgpr_workgroup_id_x 1
		.amdhsa_system_sgpr_workgroup_id_y 0
		.amdhsa_system_sgpr_workgroup_id_z 0
		.amdhsa_system_sgpr_workgroup_info 0
		.amdhsa_system_vgpr_workitem_id 0
		.amdhsa_next_free_vgpr 1
		.amdhsa_next_free_sgpr 0
		.amdhsa_accum_offset 4
		.amdhsa_reserve_vcc 0
		.amdhsa_reserve_flat_scratch 0
		.amdhsa_float_round_mode_32 0
		.amdhsa_float_round_mode_16_64 0
		.amdhsa_float_denorm_mode_32 3
		.amdhsa_float_denorm_mode_16_64 3
		.amdhsa_dx10_clamp 1
		.amdhsa_ieee_mode 1
		.amdhsa_fp16_overflow 0
		.amdhsa_tg_split 0
		.amdhsa_exception_fp_ieee_invalid_op 0
		.amdhsa_exception_fp_denorm_src 0
		.amdhsa_exception_fp_ieee_div_zero 0
		.amdhsa_exception_fp_ieee_overflow 0
		.amdhsa_exception_fp_ieee_underflow 0
		.amdhsa_exception_fp_ieee_inexact 0
		.amdhsa_exception_int_div_zero 0
	.end_amdhsa_kernel
	.section	.text._ZN7rocprim17ROCPRIM_400000_NS6detail17trampoline_kernelINS0_14default_configENS1_20scan_config_selectorIxEEZZNS1_9scan_implILNS1_25lookback_scan_determinismE0ELb0ELb0ES3_N6thrust23THRUST_200600_302600_NS6detail15normal_iteratorINS9_10device_ptrIxEEEESE_x9plus_mod3IxExEEDaPvRmT3_T4_T5_mT6_P12ihipStream_tbENKUlT_T0_E_clISt17integral_constantIbLb1EESU_EEDaSP_SQ_EUlSP_E0_NS1_11comp_targetILNS1_3genE0ELNS1_11target_archE4294967295ELNS1_3gpuE0ELNS1_3repE0EEENS1_30default_config_static_selectorELNS0_4arch9wavefront6targetE1EEEvT1_,"axG",@progbits,_ZN7rocprim17ROCPRIM_400000_NS6detail17trampoline_kernelINS0_14default_configENS1_20scan_config_selectorIxEEZZNS1_9scan_implILNS1_25lookback_scan_determinismE0ELb0ELb0ES3_N6thrust23THRUST_200600_302600_NS6detail15normal_iteratorINS9_10device_ptrIxEEEESE_x9plus_mod3IxExEEDaPvRmT3_T4_T5_mT6_P12ihipStream_tbENKUlT_T0_E_clISt17integral_constantIbLb1EESU_EEDaSP_SQ_EUlSP_E0_NS1_11comp_targetILNS1_3genE0ELNS1_11target_archE4294967295ELNS1_3gpuE0ELNS1_3repE0EEENS1_30default_config_static_selectorELNS0_4arch9wavefront6targetE1EEEvT1_,comdat
.Lfunc_end6561:
	.size	_ZN7rocprim17ROCPRIM_400000_NS6detail17trampoline_kernelINS0_14default_configENS1_20scan_config_selectorIxEEZZNS1_9scan_implILNS1_25lookback_scan_determinismE0ELb0ELb0ES3_N6thrust23THRUST_200600_302600_NS6detail15normal_iteratorINS9_10device_ptrIxEEEESE_x9plus_mod3IxExEEDaPvRmT3_T4_T5_mT6_P12ihipStream_tbENKUlT_T0_E_clISt17integral_constantIbLb1EESU_EEDaSP_SQ_EUlSP_E0_NS1_11comp_targetILNS1_3genE0ELNS1_11target_archE4294967295ELNS1_3gpuE0ELNS1_3repE0EEENS1_30default_config_static_selectorELNS0_4arch9wavefront6targetE1EEEvT1_, .Lfunc_end6561-_ZN7rocprim17ROCPRIM_400000_NS6detail17trampoline_kernelINS0_14default_configENS1_20scan_config_selectorIxEEZZNS1_9scan_implILNS1_25lookback_scan_determinismE0ELb0ELb0ES3_N6thrust23THRUST_200600_302600_NS6detail15normal_iteratorINS9_10device_ptrIxEEEESE_x9plus_mod3IxExEEDaPvRmT3_T4_T5_mT6_P12ihipStream_tbENKUlT_T0_E_clISt17integral_constantIbLb1EESU_EEDaSP_SQ_EUlSP_E0_NS1_11comp_targetILNS1_3genE0ELNS1_11target_archE4294967295ELNS1_3gpuE0ELNS1_3repE0EEENS1_30default_config_static_selectorELNS0_4arch9wavefront6targetE1EEEvT1_
                                        ; -- End function
	.section	.AMDGPU.csdata,"",@progbits
; Kernel info:
; codeLenInByte = 0
; NumSgprs: 4
; NumVgprs: 0
; NumAgprs: 0
; TotalNumVgprs: 0
; ScratchSize: 0
; MemoryBound: 0
; FloatMode: 240
; IeeeMode: 1
; LDSByteSize: 0 bytes/workgroup (compile time only)
; SGPRBlocks: 0
; VGPRBlocks: 0
; NumSGPRsForWavesPerEU: 4
; NumVGPRsForWavesPerEU: 1
; AccumOffset: 4
; Occupancy: 8
; WaveLimiterHint : 0
; COMPUTE_PGM_RSRC2:SCRATCH_EN: 0
; COMPUTE_PGM_RSRC2:USER_SGPR: 6
; COMPUTE_PGM_RSRC2:TRAP_HANDLER: 0
; COMPUTE_PGM_RSRC2:TGID_X_EN: 1
; COMPUTE_PGM_RSRC2:TGID_Y_EN: 0
; COMPUTE_PGM_RSRC2:TGID_Z_EN: 0
; COMPUTE_PGM_RSRC2:TIDIG_COMP_CNT: 0
; COMPUTE_PGM_RSRC3_GFX90A:ACCUM_OFFSET: 0
; COMPUTE_PGM_RSRC3_GFX90A:TG_SPLIT: 0
	.section	.text._ZN7rocprim17ROCPRIM_400000_NS6detail17trampoline_kernelINS0_14default_configENS1_20scan_config_selectorIxEEZZNS1_9scan_implILNS1_25lookback_scan_determinismE0ELb0ELb0ES3_N6thrust23THRUST_200600_302600_NS6detail15normal_iteratorINS9_10device_ptrIxEEEESE_x9plus_mod3IxExEEDaPvRmT3_T4_T5_mT6_P12ihipStream_tbENKUlT_T0_E_clISt17integral_constantIbLb1EESU_EEDaSP_SQ_EUlSP_E0_NS1_11comp_targetILNS1_3genE5ELNS1_11target_archE942ELNS1_3gpuE9ELNS1_3repE0EEENS1_30default_config_static_selectorELNS0_4arch9wavefront6targetE1EEEvT1_,"axG",@progbits,_ZN7rocprim17ROCPRIM_400000_NS6detail17trampoline_kernelINS0_14default_configENS1_20scan_config_selectorIxEEZZNS1_9scan_implILNS1_25lookback_scan_determinismE0ELb0ELb0ES3_N6thrust23THRUST_200600_302600_NS6detail15normal_iteratorINS9_10device_ptrIxEEEESE_x9plus_mod3IxExEEDaPvRmT3_T4_T5_mT6_P12ihipStream_tbENKUlT_T0_E_clISt17integral_constantIbLb1EESU_EEDaSP_SQ_EUlSP_E0_NS1_11comp_targetILNS1_3genE5ELNS1_11target_archE942ELNS1_3gpuE9ELNS1_3repE0EEENS1_30default_config_static_selectorELNS0_4arch9wavefront6targetE1EEEvT1_,comdat
	.protected	_ZN7rocprim17ROCPRIM_400000_NS6detail17trampoline_kernelINS0_14default_configENS1_20scan_config_selectorIxEEZZNS1_9scan_implILNS1_25lookback_scan_determinismE0ELb0ELb0ES3_N6thrust23THRUST_200600_302600_NS6detail15normal_iteratorINS9_10device_ptrIxEEEESE_x9plus_mod3IxExEEDaPvRmT3_T4_T5_mT6_P12ihipStream_tbENKUlT_T0_E_clISt17integral_constantIbLb1EESU_EEDaSP_SQ_EUlSP_E0_NS1_11comp_targetILNS1_3genE5ELNS1_11target_archE942ELNS1_3gpuE9ELNS1_3repE0EEENS1_30default_config_static_selectorELNS0_4arch9wavefront6targetE1EEEvT1_ ; -- Begin function _ZN7rocprim17ROCPRIM_400000_NS6detail17trampoline_kernelINS0_14default_configENS1_20scan_config_selectorIxEEZZNS1_9scan_implILNS1_25lookback_scan_determinismE0ELb0ELb0ES3_N6thrust23THRUST_200600_302600_NS6detail15normal_iteratorINS9_10device_ptrIxEEEESE_x9plus_mod3IxExEEDaPvRmT3_T4_T5_mT6_P12ihipStream_tbENKUlT_T0_E_clISt17integral_constantIbLb1EESU_EEDaSP_SQ_EUlSP_E0_NS1_11comp_targetILNS1_3genE5ELNS1_11target_archE942ELNS1_3gpuE9ELNS1_3repE0EEENS1_30default_config_static_selectorELNS0_4arch9wavefront6targetE1EEEvT1_
	.globl	_ZN7rocprim17ROCPRIM_400000_NS6detail17trampoline_kernelINS0_14default_configENS1_20scan_config_selectorIxEEZZNS1_9scan_implILNS1_25lookback_scan_determinismE0ELb0ELb0ES3_N6thrust23THRUST_200600_302600_NS6detail15normal_iteratorINS9_10device_ptrIxEEEESE_x9plus_mod3IxExEEDaPvRmT3_T4_T5_mT6_P12ihipStream_tbENKUlT_T0_E_clISt17integral_constantIbLb1EESU_EEDaSP_SQ_EUlSP_E0_NS1_11comp_targetILNS1_3genE5ELNS1_11target_archE942ELNS1_3gpuE9ELNS1_3repE0EEENS1_30default_config_static_selectorELNS0_4arch9wavefront6targetE1EEEvT1_
	.p2align	8
	.type	_ZN7rocprim17ROCPRIM_400000_NS6detail17trampoline_kernelINS0_14default_configENS1_20scan_config_selectorIxEEZZNS1_9scan_implILNS1_25lookback_scan_determinismE0ELb0ELb0ES3_N6thrust23THRUST_200600_302600_NS6detail15normal_iteratorINS9_10device_ptrIxEEEESE_x9plus_mod3IxExEEDaPvRmT3_T4_T5_mT6_P12ihipStream_tbENKUlT_T0_E_clISt17integral_constantIbLb1EESU_EEDaSP_SQ_EUlSP_E0_NS1_11comp_targetILNS1_3genE5ELNS1_11target_archE942ELNS1_3gpuE9ELNS1_3repE0EEENS1_30default_config_static_selectorELNS0_4arch9wavefront6targetE1EEEvT1_,@function
_ZN7rocprim17ROCPRIM_400000_NS6detail17trampoline_kernelINS0_14default_configENS1_20scan_config_selectorIxEEZZNS1_9scan_implILNS1_25lookback_scan_determinismE0ELb0ELb0ES3_N6thrust23THRUST_200600_302600_NS6detail15normal_iteratorINS9_10device_ptrIxEEEESE_x9plus_mod3IxExEEDaPvRmT3_T4_T5_mT6_P12ihipStream_tbENKUlT_T0_E_clISt17integral_constantIbLb1EESU_EEDaSP_SQ_EUlSP_E0_NS1_11comp_targetILNS1_3genE5ELNS1_11target_archE942ELNS1_3gpuE9ELNS1_3repE0EEENS1_30default_config_static_selectorELNS0_4arch9wavefront6targetE1EEEvT1_: ; @_ZN7rocprim17ROCPRIM_400000_NS6detail17trampoline_kernelINS0_14default_configENS1_20scan_config_selectorIxEEZZNS1_9scan_implILNS1_25lookback_scan_determinismE0ELb0ELb0ES3_N6thrust23THRUST_200600_302600_NS6detail15normal_iteratorINS9_10device_ptrIxEEEESE_x9plus_mod3IxExEEDaPvRmT3_T4_T5_mT6_P12ihipStream_tbENKUlT_T0_E_clISt17integral_constantIbLb1EESU_EEDaSP_SQ_EUlSP_E0_NS1_11comp_targetILNS1_3genE5ELNS1_11target_archE942ELNS1_3gpuE9ELNS1_3repE0EEENS1_30default_config_static_selectorELNS0_4arch9wavefront6targetE1EEEvT1_
; %bb.0:
	.section	.rodata,"a",@progbits
	.p2align	6, 0x0
	.amdhsa_kernel _ZN7rocprim17ROCPRIM_400000_NS6detail17trampoline_kernelINS0_14default_configENS1_20scan_config_selectorIxEEZZNS1_9scan_implILNS1_25lookback_scan_determinismE0ELb0ELb0ES3_N6thrust23THRUST_200600_302600_NS6detail15normal_iteratorINS9_10device_ptrIxEEEESE_x9plus_mod3IxExEEDaPvRmT3_T4_T5_mT6_P12ihipStream_tbENKUlT_T0_E_clISt17integral_constantIbLb1EESU_EEDaSP_SQ_EUlSP_E0_NS1_11comp_targetILNS1_3genE5ELNS1_11target_archE942ELNS1_3gpuE9ELNS1_3repE0EEENS1_30default_config_static_selectorELNS0_4arch9wavefront6targetE1EEEvT1_
		.amdhsa_group_segment_fixed_size 0
		.amdhsa_private_segment_fixed_size 0
		.amdhsa_kernarg_size 40
		.amdhsa_user_sgpr_count 6
		.amdhsa_user_sgpr_private_segment_buffer 1
		.amdhsa_user_sgpr_dispatch_ptr 0
		.amdhsa_user_sgpr_queue_ptr 0
		.amdhsa_user_sgpr_kernarg_segment_ptr 1
		.amdhsa_user_sgpr_dispatch_id 0
		.amdhsa_user_sgpr_flat_scratch_init 0
		.amdhsa_user_sgpr_kernarg_preload_length 0
		.amdhsa_user_sgpr_kernarg_preload_offset 0
		.amdhsa_user_sgpr_private_segment_size 0
		.amdhsa_uses_dynamic_stack 0
		.amdhsa_system_sgpr_private_segment_wavefront_offset 0
		.amdhsa_system_sgpr_workgroup_id_x 1
		.amdhsa_system_sgpr_workgroup_id_y 0
		.amdhsa_system_sgpr_workgroup_id_z 0
		.amdhsa_system_sgpr_workgroup_info 0
		.amdhsa_system_vgpr_workitem_id 0
		.amdhsa_next_free_vgpr 1
		.amdhsa_next_free_sgpr 0
		.amdhsa_accum_offset 4
		.amdhsa_reserve_vcc 0
		.amdhsa_reserve_flat_scratch 0
		.amdhsa_float_round_mode_32 0
		.amdhsa_float_round_mode_16_64 0
		.amdhsa_float_denorm_mode_32 3
		.amdhsa_float_denorm_mode_16_64 3
		.amdhsa_dx10_clamp 1
		.amdhsa_ieee_mode 1
		.amdhsa_fp16_overflow 0
		.amdhsa_tg_split 0
		.amdhsa_exception_fp_ieee_invalid_op 0
		.amdhsa_exception_fp_denorm_src 0
		.amdhsa_exception_fp_ieee_div_zero 0
		.amdhsa_exception_fp_ieee_overflow 0
		.amdhsa_exception_fp_ieee_underflow 0
		.amdhsa_exception_fp_ieee_inexact 0
		.amdhsa_exception_int_div_zero 0
	.end_amdhsa_kernel
	.section	.text._ZN7rocprim17ROCPRIM_400000_NS6detail17trampoline_kernelINS0_14default_configENS1_20scan_config_selectorIxEEZZNS1_9scan_implILNS1_25lookback_scan_determinismE0ELb0ELb0ES3_N6thrust23THRUST_200600_302600_NS6detail15normal_iteratorINS9_10device_ptrIxEEEESE_x9plus_mod3IxExEEDaPvRmT3_T4_T5_mT6_P12ihipStream_tbENKUlT_T0_E_clISt17integral_constantIbLb1EESU_EEDaSP_SQ_EUlSP_E0_NS1_11comp_targetILNS1_3genE5ELNS1_11target_archE942ELNS1_3gpuE9ELNS1_3repE0EEENS1_30default_config_static_selectorELNS0_4arch9wavefront6targetE1EEEvT1_,"axG",@progbits,_ZN7rocprim17ROCPRIM_400000_NS6detail17trampoline_kernelINS0_14default_configENS1_20scan_config_selectorIxEEZZNS1_9scan_implILNS1_25lookback_scan_determinismE0ELb0ELb0ES3_N6thrust23THRUST_200600_302600_NS6detail15normal_iteratorINS9_10device_ptrIxEEEESE_x9plus_mod3IxExEEDaPvRmT3_T4_T5_mT6_P12ihipStream_tbENKUlT_T0_E_clISt17integral_constantIbLb1EESU_EEDaSP_SQ_EUlSP_E0_NS1_11comp_targetILNS1_3genE5ELNS1_11target_archE942ELNS1_3gpuE9ELNS1_3repE0EEENS1_30default_config_static_selectorELNS0_4arch9wavefront6targetE1EEEvT1_,comdat
.Lfunc_end6562:
	.size	_ZN7rocprim17ROCPRIM_400000_NS6detail17trampoline_kernelINS0_14default_configENS1_20scan_config_selectorIxEEZZNS1_9scan_implILNS1_25lookback_scan_determinismE0ELb0ELb0ES3_N6thrust23THRUST_200600_302600_NS6detail15normal_iteratorINS9_10device_ptrIxEEEESE_x9plus_mod3IxExEEDaPvRmT3_T4_T5_mT6_P12ihipStream_tbENKUlT_T0_E_clISt17integral_constantIbLb1EESU_EEDaSP_SQ_EUlSP_E0_NS1_11comp_targetILNS1_3genE5ELNS1_11target_archE942ELNS1_3gpuE9ELNS1_3repE0EEENS1_30default_config_static_selectorELNS0_4arch9wavefront6targetE1EEEvT1_, .Lfunc_end6562-_ZN7rocprim17ROCPRIM_400000_NS6detail17trampoline_kernelINS0_14default_configENS1_20scan_config_selectorIxEEZZNS1_9scan_implILNS1_25lookback_scan_determinismE0ELb0ELb0ES3_N6thrust23THRUST_200600_302600_NS6detail15normal_iteratorINS9_10device_ptrIxEEEESE_x9plus_mod3IxExEEDaPvRmT3_T4_T5_mT6_P12ihipStream_tbENKUlT_T0_E_clISt17integral_constantIbLb1EESU_EEDaSP_SQ_EUlSP_E0_NS1_11comp_targetILNS1_3genE5ELNS1_11target_archE942ELNS1_3gpuE9ELNS1_3repE0EEENS1_30default_config_static_selectorELNS0_4arch9wavefront6targetE1EEEvT1_
                                        ; -- End function
	.section	.AMDGPU.csdata,"",@progbits
; Kernel info:
; codeLenInByte = 0
; NumSgprs: 4
; NumVgprs: 0
; NumAgprs: 0
; TotalNumVgprs: 0
; ScratchSize: 0
; MemoryBound: 0
; FloatMode: 240
; IeeeMode: 1
; LDSByteSize: 0 bytes/workgroup (compile time only)
; SGPRBlocks: 0
; VGPRBlocks: 0
; NumSGPRsForWavesPerEU: 4
; NumVGPRsForWavesPerEU: 1
; AccumOffset: 4
; Occupancy: 8
; WaveLimiterHint : 0
; COMPUTE_PGM_RSRC2:SCRATCH_EN: 0
; COMPUTE_PGM_RSRC2:USER_SGPR: 6
; COMPUTE_PGM_RSRC2:TRAP_HANDLER: 0
; COMPUTE_PGM_RSRC2:TGID_X_EN: 1
; COMPUTE_PGM_RSRC2:TGID_Y_EN: 0
; COMPUTE_PGM_RSRC2:TGID_Z_EN: 0
; COMPUTE_PGM_RSRC2:TIDIG_COMP_CNT: 0
; COMPUTE_PGM_RSRC3_GFX90A:ACCUM_OFFSET: 0
; COMPUTE_PGM_RSRC3_GFX90A:TG_SPLIT: 0
	.section	.text._ZN7rocprim17ROCPRIM_400000_NS6detail17trampoline_kernelINS0_14default_configENS1_20scan_config_selectorIxEEZZNS1_9scan_implILNS1_25lookback_scan_determinismE0ELb0ELb0ES3_N6thrust23THRUST_200600_302600_NS6detail15normal_iteratorINS9_10device_ptrIxEEEESE_x9plus_mod3IxExEEDaPvRmT3_T4_T5_mT6_P12ihipStream_tbENKUlT_T0_E_clISt17integral_constantIbLb1EESU_EEDaSP_SQ_EUlSP_E0_NS1_11comp_targetILNS1_3genE4ELNS1_11target_archE910ELNS1_3gpuE8ELNS1_3repE0EEENS1_30default_config_static_selectorELNS0_4arch9wavefront6targetE1EEEvT1_,"axG",@progbits,_ZN7rocprim17ROCPRIM_400000_NS6detail17trampoline_kernelINS0_14default_configENS1_20scan_config_selectorIxEEZZNS1_9scan_implILNS1_25lookback_scan_determinismE0ELb0ELb0ES3_N6thrust23THRUST_200600_302600_NS6detail15normal_iteratorINS9_10device_ptrIxEEEESE_x9plus_mod3IxExEEDaPvRmT3_T4_T5_mT6_P12ihipStream_tbENKUlT_T0_E_clISt17integral_constantIbLb1EESU_EEDaSP_SQ_EUlSP_E0_NS1_11comp_targetILNS1_3genE4ELNS1_11target_archE910ELNS1_3gpuE8ELNS1_3repE0EEENS1_30default_config_static_selectorELNS0_4arch9wavefront6targetE1EEEvT1_,comdat
	.protected	_ZN7rocprim17ROCPRIM_400000_NS6detail17trampoline_kernelINS0_14default_configENS1_20scan_config_selectorIxEEZZNS1_9scan_implILNS1_25lookback_scan_determinismE0ELb0ELb0ES3_N6thrust23THRUST_200600_302600_NS6detail15normal_iteratorINS9_10device_ptrIxEEEESE_x9plus_mod3IxExEEDaPvRmT3_T4_T5_mT6_P12ihipStream_tbENKUlT_T0_E_clISt17integral_constantIbLb1EESU_EEDaSP_SQ_EUlSP_E0_NS1_11comp_targetILNS1_3genE4ELNS1_11target_archE910ELNS1_3gpuE8ELNS1_3repE0EEENS1_30default_config_static_selectorELNS0_4arch9wavefront6targetE1EEEvT1_ ; -- Begin function _ZN7rocprim17ROCPRIM_400000_NS6detail17trampoline_kernelINS0_14default_configENS1_20scan_config_selectorIxEEZZNS1_9scan_implILNS1_25lookback_scan_determinismE0ELb0ELb0ES3_N6thrust23THRUST_200600_302600_NS6detail15normal_iteratorINS9_10device_ptrIxEEEESE_x9plus_mod3IxExEEDaPvRmT3_T4_T5_mT6_P12ihipStream_tbENKUlT_T0_E_clISt17integral_constantIbLb1EESU_EEDaSP_SQ_EUlSP_E0_NS1_11comp_targetILNS1_3genE4ELNS1_11target_archE910ELNS1_3gpuE8ELNS1_3repE0EEENS1_30default_config_static_selectorELNS0_4arch9wavefront6targetE1EEEvT1_
	.globl	_ZN7rocprim17ROCPRIM_400000_NS6detail17trampoline_kernelINS0_14default_configENS1_20scan_config_selectorIxEEZZNS1_9scan_implILNS1_25lookback_scan_determinismE0ELb0ELb0ES3_N6thrust23THRUST_200600_302600_NS6detail15normal_iteratorINS9_10device_ptrIxEEEESE_x9plus_mod3IxExEEDaPvRmT3_T4_T5_mT6_P12ihipStream_tbENKUlT_T0_E_clISt17integral_constantIbLb1EESU_EEDaSP_SQ_EUlSP_E0_NS1_11comp_targetILNS1_3genE4ELNS1_11target_archE910ELNS1_3gpuE8ELNS1_3repE0EEENS1_30default_config_static_selectorELNS0_4arch9wavefront6targetE1EEEvT1_
	.p2align	8
	.type	_ZN7rocprim17ROCPRIM_400000_NS6detail17trampoline_kernelINS0_14default_configENS1_20scan_config_selectorIxEEZZNS1_9scan_implILNS1_25lookback_scan_determinismE0ELb0ELb0ES3_N6thrust23THRUST_200600_302600_NS6detail15normal_iteratorINS9_10device_ptrIxEEEESE_x9plus_mod3IxExEEDaPvRmT3_T4_T5_mT6_P12ihipStream_tbENKUlT_T0_E_clISt17integral_constantIbLb1EESU_EEDaSP_SQ_EUlSP_E0_NS1_11comp_targetILNS1_3genE4ELNS1_11target_archE910ELNS1_3gpuE8ELNS1_3repE0EEENS1_30default_config_static_selectorELNS0_4arch9wavefront6targetE1EEEvT1_,@function
_ZN7rocprim17ROCPRIM_400000_NS6detail17trampoline_kernelINS0_14default_configENS1_20scan_config_selectorIxEEZZNS1_9scan_implILNS1_25lookback_scan_determinismE0ELb0ELb0ES3_N6thrust23THRUST_200600_302600_NS6detail15normal_iteratorINS9_10device_ptrIxEEEESE_x9plus_mod3IxExEEDaPvRmT3_T4_T5_mT6_P12ihipStream_tbENKUlT_T0_E_clISt17integral_constantIbLb1EESU_EEDaSP_SQ_EUlSP_E0_NS1_11comp_targetILNS1_3genE4ELNS1_11target_archE910ELNS1_3gpuE8ELNS1_3repE0EEENS1_30default_config_static_selectorELNS0_4arch9wavefront6targetE1EEEvT1_: ; @_ZN7rocprim17ROCPRIM_400000_NS6detail17trampoline_kernelINS0_14default_configENS1_20scan_config_selectorIxEEZZNS1_9scan_implILNS1_25lookback_scan_determinismE0ELb0ELb0ES3_N6thrust23THRUST_200600_302600_NS6detail15normal_iteratorINS9_10device_ptrIxEEEESE_x9plus_mod3IxExEEDaPvRmT3_T4_T5_mT6_P12ihipStream_tbENKUlT_T0_E_clISt17integral_constantIbLb1EESU_EEDaSP_SQ_EUlSP_E0_NS1_11comp_targetILNS1_3genE4ELNS1_11target_archE910ELNS1_3gpuE8ELNS1_3repE0EEENS1_30default_config_static_selectorELNS0_4arch9wavefront6targetE1EEEvT1_
; %bb.0:
	s_load_dwordx4 s[20:23], s[4:5], 0x0
	v_lshlrev_b32_e32 v26, 3, v0
	s_waitcnt lgkmcnt(0)
	s_load_dwordx2 s[14:15], s[20:21], 0x0
	v_cmp_gt_u32_e32 vcc, s22, v0
	s_waitcnt lgkmcnt(0)
	v_pk_mov_b32 v[2:3], s[14:15], s[14:15] op_sel:[0,1]
	s_and_saveexec_b64 s[0:1], vcc
	s_cbranch_execz .LBB6563_2
; %bb.1:
	global_load_dwordx2 v[2:3], v26, s[20:21]
.LBB6563_2:
	s_or_b64 exec, exec, s[0:1]
	v_or_b32_e32 v1, 0x80, v0
	v_cmp_gt_u32_e64 s[0:1], s22, v1
	v_pk_mov_b32 v[4:5], s[14:15], s[14:15] op_sel:[0,1]
	s_and_saveexec_b64 s[2:3], s[0:1]
	s_cbranch_execz .LBB6563_4
; %bb.3:
	global_load_dwordx2 v[4:5], v26, s[20:21] offset:1024
.LBB6563_4:
	s_or_b64 exec, exec, s[2:3]
	v_or_b32_e32 v1, 0x100, v0
	v_cmp_gt_u32_e64 s[2:3], s22, v1
	v_pk_mov_b32 v[6:7], s[14:15], s[14:15] op_sel:[0,1]
	s_and_saveexec_b64 s[6:7], s[2:3]
	s_cbranch_execz .LBB6563_6
; %bb.5:
	global_load_dwordx2 v[6:7], v26, s[20:21] offset:2048
.LBB6563_6:
	;; [unrolled: 9-line block ×3, first 2 shown]
	s_or_b64 exec, exec, s[6:7]
	v_or_b32_e32 v1, 0x200, v0
	v_cmp_gt_u32_e64 s[6:7], s22, v1
	v_pk_mov_b32 v[10:11], s[14:15], s[14:15] op_sel:[0,1]
	s_and_saveexec_b64 s[8:9], s[6:7]
	s_cbranch_execz .LBB6563_10
; %bb.9:
	v_lshlrev_b32_e32 v1, 3, v1
	global_load_dwordx2 v[10:11], v1, s[20:21]
.LBB6563_10:
	s_or_b64 exec, exec, s[8:9]
	v_or_b32_e32 v1, 0x280, v0
	v_cmp_gt_u32_e64 s[8:9], s22, v1
	v_pk_mov_b32 v[12:13], s[14:15], s[14:15] op_sel:[0,1]
	s_and_saveexec_b64 s[10:11], s[8:9]
	s_cbranch_execz .LBB6563_12
; %bb.11:
	v_lshlrev_b32_e32 v1, 3, v1
	global_load_dwordx2 v[12:13], v1, s[20:21]
.LBB6563_12:
	s_or_b64 exec, exec, s[10:11]
	s_load_dwordx4 s[16:19], s[4:5], 0x18
	v_or_b32_e32 v1, 0x300, v0
	v_cmp_gt_u32_e64 s[10:11], s22, v1
	v_pk_mov_b32 v[14:15], s[14:15], s[14:15] op_sel:[0,1]
	s_and_saveexec_b64 s[4:5], s[10:11]
	s_cbranch_execz .LBB6563_14
; %bb.13:
	v_lshlrev_b32_e32 v1, 3, v1
	global_load_dwordx2 v[14:15], v1, s[20:21]
.LBB6563_14:
	s_or_b64 exec, exec, s[4:5]
	v_mad_u32_u24 v1, v0, 48, v26
	s_waitcnt vmcnt(0)
	ds_write2st64_b64 v26, v[2:3], v[4:5] offset1:2
	ds_write2st64_b64 v26, v[6:7], v[8:9] offset0:4 offset1:6
	ds_write2st64_b64 v26, v[10:11], v[12:13] offset0:8 offset1:10
	ds_write_b64 v26, v[14:15] offset:6144
	s_waitcnt lgkmcnt(0)
	s_barrier
	ds_read2_b64 v[2:5], v1 offset1:1
	ds_read2_b64 v[10:13], v1 offset0:2 offset1:3
	ds_read2_b64 v[6:9], v1 offset0:4 offset1:5
	ds_read_b64 v[18:19], v1 offset:48
	v_mov_b32_e32 v24, 0
	s_waitcnt lgkmcnt(3)
	v_add_u32_e32 v25, v4, v2
	v_ashrrev_i64 v[20:21], 29, v[24:25]
	v_mov_b32_e32 v1, s17
	v_add_co_u32_e64 v14, s[4:5], s16, v20
	v_addc_co_u32_e64 v15, s[4:5], v1, v21, s[4:5]
	s_waitcnt lgkmcnt(0)
	s_barrier
	global_load_dword v1, v[14:15], off
	v_mov_b32_e32 v5, s17
	s_waitcnt vmcnt(0)
	v_add_u32_e32 v25, v1, v10
	v_ashrrev_i64 v[14:15], 29, v[24:25]
	v_add_co_u32_e64 v14, s[4:5], s16, v14
	v_addc_co_u32_e64 v15, s[4:5], v5, v15, s[4:5]
	global_load_dword v1, v[14:15], off
	s_waitcnt vmcnt(0)
	v_add_u32_e32 v25, v1, v12
	v_ashrrev_i64 v[14:15], 29, v[24:25]
	v_add_co_u32_e64 v14, s[4:5], s16, v14
	v_addc_co_u32_e64 v15, s[4:5], v5, v15, s[4:5]
	global_load_dword v1, v[14:15], off
	;; [unrolled: 6-line block ×4, first 2 shown]
	s_waitcnt vmcnt(0)
	v_add_u32_e32 v25, v1, v18
	v_ashrrev_i64 v[14:15], 29, v[24:25]
	v_add_co_u32_e64 v14, s[4:5], s16, v14
	v_addc_co_u32_e64 v15, s[4:5], v5, v15, s[4:5]
	global_load_dwordx2 v[22:23], v[14:15], off
	v_lshrrev_b32_e32 v1, 2, v0
	v_and_b32_e32 v1, 24, v1
	v_add_u32_e32 v1, v26, v1
	v_cmp_gt_u32_e64 s[4:5], 64, v0
	s_waitcnt vmcnt(0)
	ds_write_b64 v1, v[22:23]
	s_waitcnt lgkmcnt(0)
	s_barrier
	s_and_saveexec_b64 s[14:15], s[4:5]
	s_cbranch_execz .LBB6563_28
; %bb.15:
	v_lshlrev_b32_e32 v1, 1, v0
	v_lshrrev_b32_e32 v5, 4, v0
	v_add_lshl_u32 v1, v5, v1, 3
	ds_read2_b64 v[14:17], v1 offset1:1
	v_mov_b32_e32 v5, s17
	s_waitcnt lgkmcnt(0)
	v_add_u32_e32 v25, v16, v14
	v_ashrrev_i64 v[16:17], 29, v[24:25]
	v_add_co_u32_e64 v16, s[4:5], s16, v16
	v_addc_co_u32_e64 v17, s[4:5], v5, v17, s[4:5]
	global_load_dwordx2 v[16:17], v[16:17], off
	v_mbcnt_lo_u32_b32 v5, -1, 0
	v_mbcnt_hi_u32_b32 v5, -1, v5
	v_and_b32_e32 v7, 15, v5
	v_cmp_ne_u32_e64 s[4:5], 0, v7
	s_waitcnt vmcnt(0)
	v_mov_b32_dpp v9, v16 row_shr:1 row_mask:0xf bank_mask:0xf
	s_and_saveexec_b64 s[20:21], s[4:5]
	s_cbranch_execz .LBB6563_17
; %bb.16:
	v_add_u32_e32 v17, v16, v9
	v_mov_b32_e32 v16, 0
	v_ashrrev_i64 v[16:17], 29, v[16:17]
	v_mov_b32_e32 v9, s17
	v_add_co_u32_e64 v16, s[4:5], s16, v16
	v_addc_co_u32_e64 v17, s[4:5], v9, v17, s[4:5]
	global_load_dwordx2 v[16:17], v[16:17], off
.LBB6563_17:
	s_or_b64 exec, exec, s[20:21]
	s_waitcnt vmcnt(0)
	v_mov_b32_dpp v9, v16 row_shr:2 row_mask:0xf bank_mask:0xf
	v_cmp_lt_u32_e64 s[4:5], 1, v7
	s_and_saveexec_b64 s[20:21], s[4:5]
	s_cbranch_execz .LBB6563_19
; %bb.18:
	v_add_u32_e32 v17, v16, v9
	v_mov_b32_e32 v16, 0
	v_ashrrev_i64 v[16:17], 29, v[16:17]
	v_mov_b32_e32 v9, s17
	v_add_co_u32_e64 v16, s[4:5], s16, v16
	v_addc_co_u32_e64 v17, s[4:5], v9, v17, s[4:5]
	global_load_dwordx2 v[16:17], v[16:17], off
.LBB6563_19:
	s_or_b64 exec, exec, s[20:21]
	s_waitcnt vmcnt(0)
	v_mov_b32_dpp v9, v16 row_shr:4 row_mask:0xf bank_mask:0xf
	v_cmp_lt_u32_e64 s[4:5], 3, v7
	;; [unrolled: 15-line block ×3, first 2 shown]
	s_and_saveexec_b64 s[20:21], s[4:5]
	s_cbranch_execz .LBB6563_23
; %bb.22:
	v_add_u32_e32 v17, v16, v9
	v_mov_b32_e32 v16, 0
	v_ashrrev_i64 v[16:17], 29, v[16:17]
	v_mov_b32_e32 v7, s17
	v_add_co_u32_e64 v16, s[4:5], s16, v16
	v_addc_co_u32_e64 v17, s[4:5], v7, v17, s[4:5]
	global_load_dwordx2 v[16:17], v[16:17], off
.LBB6563_23:
	s_or_b64 exec, exec, s[20:21]
	v_and_b32_e32 v9, 16, v5
	s_waitcnt vmcnt(0)
	v_mov_b32_dpp v7, v16 row_bcast:15 row_mask:0xf bank_mask:0xf
	v_cmp_ne_u32_e64 s[4:5], 0, v9
	s_and_saveexec_b64 s[20:21], s[4:5]
	s_cbranch_execz .LBB6563_25
; %bb.24:
	v_add_u32_e32 v17, v16, v7
	v_mov_b32_e32 v16, 0
	v_ashrrev_i64 v[16:17], 29, v[16:17]
	v_mov_b32_e32 v7, s17
	v_add_co_u32_e64 v16, s[4:5], s16, v16
	v_addc_co_u32_e64 v17, s[4:5], v7, v17, s[4:5]
	global_load_dwordx2 v[16:17], v[16:17], off
.LBB6563_25:
	s_or_b64 exec, exec, s[20:21]
	s_waitcnt vmcnt(0)
	v_mov_b32_dpp v7, v16 row_bcast:31 row_mask:0xf bank_mask:0xf
	v_cmp_lt_u32_e64 s[4:5], 31, v5
	s_and_saveexec_b64 s[20:21], s[4:5]
	s_cbranch_execz .LBB6563_27
; %bb.26:
	v_add_u32_e32 v17, v16, v7
	v_mov_b32_e32 v16, 0
	v_ashrrev_i64 v[16:17], 29, v[16:17]
	v_mov_b32_e32 v7, s17
	v_add_co_u32_e64 v16, s[4:5], s16, v16
	v_addc_co_u32_e64 v17, s[4:5], v7, v17, s[4:5]
	global_load_dword v16, v[16:17], off
.LBB6563_27:
	s_or_b64 exec, exec, s[20:21]
	v_add_u32_e32 v7, -1, v5
	v_and_b32_e32 v9, 64, v5
	v_cmp_lt_i32_e64 s[4:5], v7, v9
	v_cndmask_b32_e64 v5, v7, v5, s[4:5]
	v_lshlrev_b32_e32 v5, 2, v5
	s_waitcnt vmcnt(0)
	ds_bpermute_b32 v5, v5, v16
	v_mov_b32_e32 v16, 0
	v_mov_b32_e32 v7, s17
	s_waitcnt lgkmcnt(0)
	v_add_u32_e32 v17, v14, v5
	v_ashrrev_i64 v[14:15], 29, v[16:17]
	v_add_co_u32_e64 v14, s[4:5], s16, v14
	v_addc_co_u32_e64 v15, s[4:5], v7, v15, s[4:5]
	global_load_dwordx2 v[14:15], v[14:15], off
	v_cmp_eq_u32_e64 s[4:5], 0, v0
	; wave barrier
	s_waitcnt vmcnt(0)
	v_cndmask_b32_e64 v15, v15, v23, s[4:5]
	v_cndmask_b32_e64 v14, v14, v22, s[4:5]
	ds_write_b64 v1, v[14:15]
	; wave barrier
	ds_read_b32 v5, v1 offset:8
	s_waitcnt lgkmcnt(0)
	v_add_u32_e32 v17, v5, v14
	v_ashrrev_i64 v[14:15], 29, v[16:17]
	v_add_co_u32_e64 v14, s[4:5], s16, v14
	v_addc_co_u32_e64 v15, s[4:5], v7, v15, s[4:5]
	global_load_dwordx2 v[14:15], v[14:15], off
	s_waitcnt vmcnt(0)
	ds_write_b64 v1, v[14:15] offset:8
.LBB6563_28:
	s_or_b64 exec, exec, s[14:15]
	v_mul_u32_u24_e32 v1, 48, v0
	v_cmp_ne_u32_e64 s[4:5], 0, v0
	s_waitcnt lgkmcnt(0)
	s_barrier
	s_and_saveexec_b64 s[14:15], s[4:5]
	s_cbranch_execz .LBB6563_30
; %bb.29:
	v_add_u32_e32 v0, -1, v0
	v_lshrrev_b32_e32 v5, 5, v0
	v_add_lshl_u32 v0, v5, v0, 3
	ds_read_b64 v[22:23], v0
.LBB6563_30:
	s_or_b64 exec, exec, s[14:15]
	s_and_saveexec_b64 s[14:15], s[4:5]
	s_cbranch_execz .LBB6563_32
; %bb.31:
	s_waitcnt lgkmcnt(0)
	v_add_u32_e32 v15, v22, v2
	v_mov_b32_e32 v14, 0
	v_ashrrev_i64 v[2:3], 29, v[14:15]
	v_mov_b32_e32 v0, s17
	v_add_co_u32_e64 v2, s[4:5], s16, v2
	v_addc_co_u32_e64 v3, s[4:5], v0, v3, s[4:5]
	global_load_dwordx2 v[2:3], v[2:3], off
	;;#ASMSTART
	;;#ASMEND
	s_waitcnt vmcnt(0)
	v_add_u32_e32 v15, v2, v4
	v_ashrrev_i64 v[20:21], 29, v[14:15]
.LBB6563_32:
	s_or_b64 exec, exec, s[14:15]
	v_mov_b32_e32 v0, s17
	v_add_co_u32_e64 v4, s[4:5], s16, v20
	v_addc_co_u32_e64 v5, s[4:5], v0, v21, s[4:5]
	global_load_dwordx2 v[4:5], v[4:5], off
	v_mov_b32_e32 v14, 0
	s_waitcnt vmcnt(0)
	v_add_u32_e32 v15, v4, v10
	v_ashrrev_i64 v[10:11], 29, v[14:15]
	v_add_co_u32_e64 v10, s[4:5], s16, v10
	v_addc_co_u32_e64 v11, s[4:5], v0, v11, s[4:5]
	global_load_dwordx2 v[10:11], v[10:11], off
	s_waitcnt vmcnt(0)
	v_add_u32_e32 v15, v10, v12
	v_ashrrev_i64 v[12:13], 29, v[14:15]
	v_add_co_u32_e64 v12, s[4:5], s16, v12
	v_addc_co_u32_e64 v13, s[4:5], v0, v13, s[4:5]
	global_load_dwordx2 v[12:13], v[12:13], off
	;; [unrolled: 6-line block ×5, first 2 shown]
	v_add_u32_e32 v0, v26, v1
	s_waitcnt lgkmcnt(0)
	s_barrier
	ds_write2_b64 v0, v[2:3], v[4:5] offset1:1
	ds_write2_b64 v0, v[10:11], v[12:13] offset0:2 offset1:3
	ds_write2_b64 v0, v[6:7], v[8:9] offset0:4 offset1:5
	s_waitcnt vmcnt(0)
	ds_write_b64 v0, v[14:15] offset:48
	s_waitcnt lgkmcnt(0)
	s_barrier
	ds_read2st64_b64 v[8:11], v26 offset0:2 offset1:4
	ds_read2st64_b64 v[4:7], v26 offset0:6 offset1:8
	;; [unrolled: 1-line block ×3, first 2 shown]
	v_mov_b32_e32 v13, s19
	v_add_co_u32_e64 v12, s[4:5], s18, v26
	v_addc_co_u32_e64 v13, s[4:5], 0, v13, s[4:5]
	s_and_saveexec_b64 s[4:5], vcc
	s_cbranch_execnz .LBB6563_40
; %bb.33:
	s_or_b64 exec, exec, s[4:5]
	s_and_saveexec_b64 s[4:5], s[0:1]
	s_cbranch_execnz .LBB6563_41
.LBB6563_34:
	s_or_b64 exec, exec, s[4:5]
	s_and_saveexec_b64 s[0:1], s[2:3]
	s_cbranch_execnz .LBB6563_42
.LBB6563_35:
	s_or_b64 exec, exec, s[0:1]
	s_and_saveexec_b64 s[0:1], s[12:13]
	s_cbranch_execnz .LBB6563_43
.LBB6563_36:
	s_or_b64 exec, exec, s[0:1]
	s_and_saveexec_b64 s[0:1], s[6:7]
	s_cbranch_execnz .LBB6563_44
.LBB6563_37:
	s_or_b64 exec, exec, s[0:1]
	s_and_saveexec_b64 s[0:1], s[8:9]
	s_cbranch_execnz .LBB6563_45
.LBB6563_38:
	s_or_b64 exec, exec, s[0:1]
	s_and_saveexec_b64 s[0:1], s[10:11]
	s_cbranch_execnz .LBB6563_46
.LBB6563_39:
	s_endpgm
.LBB6563_40:
	ds_read_b64 v[14:15], v26
	s_waitcnt lgkmcnt(0)
	global_store_dwordx2 v[12:13], v[14:15], off
	s_or_b64 exec, exec, s[4:5]
	s_and_saveexec_b64 s[4:5], s[0:1]
	s_cbranch_execz .LBB6563_34
.LBB6563_41:
	s_waitcnt lgkmcnt(2)
	global_store_dwordx2 v[12:13], v[8:9], off offset:1024
	s_or_b64 exec, exec, s[4:5]
	s_and_saveexec_b64 s[0:1], s[2:3]
	s_cbranch_execz .LBB6563_35
.LBB6563_42:
	s_waitcnt lgkmcnt(2)
	global_store_dwordx2 v[12:13], v[10:11], off offset:2048
	s_or_b64 exec, exec, s[0:1]
	s_and_saveexec_b64 s[0:1], s[12:13]
	s_cbranch_execz .LBB6563_36
.LBB6563_43:
	s_waitcnt lgkmcnt(1)
	global_store_dwordx2 v[12:13], v[4:5], off offset:3072
	s_or_b64 exec, exec, s[0:1]
	s_and_saveexec_b64 s[0:1], s[6:7]
	s_cbranch_execz .LBB6563_37
.LBB6563_44:
	s_waitcnt lgkmcnt(1)
	v_add_co_u32_e32 v4, vcc, 0x1000, v12
	v_addc_co_u32_e32 v5, vcc, 0, v13, vcc
	global_store_dwordx2 v[4:5], v[6:7], off
	s_or_b64 exec, exec, s[0:1]
	s_and_saveexec_b64 s[0:1], s[8:9]
	s_cbranch_execz .LBB6563_38
.LBB6563_45:
	s_waitcnt lgkmcnt(1)
	v_add_co_u32_e32 v4, vcc, 0x1000, v12
	v_addc_co_u32_e32 v5, vcc, 0, v13, vcc
	s_waitcnt lgkmcnt(0)
	global_store_dwordx2 v[4:5], v[0:1], off offset:1024
	s_or_b64 exec, exec, s[0:1]
	s_and_saveexec_b64 s[0:1], s[10:11]
	s_cbranch_execz .LBB6563_39
.LBB6563_46:
	s_waitcnt lgkmcnt(0)
	v_add_co_u32_e32 v0, vcc, 0x1000, v12
	v_addc_co_u32_e32 v1, vcc, 0, v13, vcc
	global_store_dwordx2 v[0:1], v[2:3], off offset:2048
	s_endpgm
	.section	.rodata,"a",@progbits
	.p2align	6, 0x0
	.amdhsa_kernel _ZN7rocprim17ROCPRIM_400000_NS6detail17trampoline_kernelINS0_14default_configENS1_20scan_config_selectorIxEEZZNS1_9scan_implILNS1_25lookback_scan_determinismE0ELb0ELb0ES3_N6thrust23THRUST_200600_302600_NS6detail15normal_iteratorINS9_10device_ptrIxEEEESE_x9plus_mod3IxExEEDaPvRmT3_T4_T5_mT6_P12ihipStream_tbENKUlT_T0_E_clISt17integral_constantIbLb1EESU_EEDaSP_SQ_EUlSP_E0_NS1_11comp_targetILNS1_3genE4ELNS1_11target_archE910ELNS1_3gpuE8ELNS1_3repE0EEENS1_30default_config_static_selectorELNS0_4arch9wavefront6targetE1EEEvT1_
		.amdhsa_group_segment_fixed_size 7168
		.amdhsa_private_segment_fixed_size 0
		.amdhsa_kernarg_size 40
		.amdhsa_user_sgpr_count 6
		.amdhsa_user_sgpr_private_segment_buffer 1
		.amdhsa_user_sgpr_dispatch_ptr 0
		.amdhsa_user_sgpr_queue_ptr 0
		.amdhsa_user_sgpr_kernarg_segment_ptr 1
		.amdhsa_user_sgpr_dispatch_id 0
		.amdhsa_user_sgpr_flat_scratch_init 0
		.amdhsa_user_sgpr_kernarg_preload_length 0
		.amdhsa_user_sgpr_kernarg_preload_offset 0
		.amdhsa_user_sgpr_private_segment_size 0
		.amdhsa_uses_dynamic_stack 0
		.amdhsa_system_sgpr_private_segment_wavefront_offset 0
		.amdhsa_system_sgpr_workgroup_id_x 1
		.amdhsa_system_sgpr_workgroup_id_y 0
		.amdhsa_system_sgpr_workgroup_id_z 0
		.amdhsa_system_sgpr_workgroup_info 0
		.amdhsa_system_vgpr_workitem_id 0
		.amdhsa_next_free_vgpr 27
		.amdhsa_next_free_sgpr 24
		.amdhsa_accum_offset 28
		.amdhsa_reserve_vcc 1
		.amdhsa_reserve_flat_scratch 0
		.amdhsa_float_round_mode_32 0
		.amdhsa_float_round_mode_16_64 0
		.amdhsa_float_denorm_mode_32 3
		.amdhsa_float_denorm_mode_16_64 3
		.amdhsa_dx10_clamp 1
		.amdhsa_ieee_mode 1
		.amdhsa_fp16_overflow 0
		.amdhsa_tg_split 0
		.amdhsa_exception_fp_ieee_invalid_op 0
		.amdhsa_exception_fp_denorm_src 0
		.amdhsa_exception_fp_ieee_div_zero 0
		.amdhsa_exception_fp_ieee_overflow 0
		.amdhsa_exception_fp_ieee_underflow 0
		.amdhsa_exception_fp_ieee_inexact 0
		.amdhsa_exception_int_div_zero 0
	.end_amdhsa_kernel
	.section	.text._ZN7rocprim17ROCPRIM_400000_NS6detail17trampoline_kernelINS0_14default_configENS1_20scan_config_selectorIxEEZZNS1_9scan_implILNS1_25lookback_scan_determinismE0ELb0ELb0ES3_N6thrust23THRUST_200600_302600_NS6detail15normal_iteratorINS9_10device_ptrIxEEEESE_x9plus_mod3IxExEEDaPvRmT3_T4_T5_mT6_P12ihipStream_tbENKUlT_T0_E_clISt17integral_constantIbLb1EESU_EEDaSP_SQ_EUlSP_E0_NS1_11comp_targetILNS1_3genE4ELNS1_11target_archE910ELNS1_3gpuE8ELNS1_3repE0EEENS1_30default_config_static_selectorELNS0_4arch9wavefront6targetE1EEEvT1_,"axG",@progbits,_ZN7rocprim17ROCPRIM_400000_NS6detail17trampoline_kernelINS0_14default_configENS1_20scan_config_selectorIxEEZZNS1_9scan_implILNS1_25lookback_scan_determinismE0ELb0ELb0ES3_N6thrust23THRUST_200600_302600_NS6detail15normal_iteratorINS9_10device_ptrIxEEEESE_x9plus_mod3IxExEEDaPvRmT3_T4_T5_mT6_P12ihipStream_tbENKUlT_T0_E_clISt17integral_constantIbLb1EESU_EEDaSP_SQ_EUlSP_E0_NS1_11comp_targetILNS1_3genE4ELNS1_11target_archE910ELNS1_3gpuE8ELNS1_3repE0EEENS1_30default_config_static_selectorELNS0_4arch9wavefront6targetE1EEEvT1_,comdat
.Lfunc_end6563:
	.size	_ZN7rocprim17ROCPRIM_400000_NS6detail17trampoline_kernelINS0_14default_configENS1_20scan_config_selectorIxEEZZNS1_9scan_implILNS1_25lookback_scan_determinismE0ELb0ELb0ES3_N6thrust23THRUST_200600_302600_NS6detail15normal_iteratorINS9_10device_ptrIxEEEESE_x9plus_mod3IxExEEDaPvRmT3_T4_T5_mT6_P12ihipStream_tbENKUlT_T0_E_clISt17integral_constantIbLb1EESU_EEDaSP_SQ_EUlSP_E0_NS1_11comp_targetILNS1_3genE4ELNS1_11target_archE910ELNS1_3gpuE8ELNS1_3repE0EEENS1_30default_config_static_selectorELNS0_4arch9wavefront6targetE1EEEvT1_, .Lfunc_end6563-_ZN7rocprim17ROCPRIM_400000_NS6detail17trampoline_kernelINS0_14default_configENS1_20scan_config_selectorIxEEZZNS1_9scan_implILNS1_25lookback_scan_determinismE0ELb0ELb0ES3_N6thrust23THRUST_200600_302600_NS6detail15normal_iteratorINS9_10device_ptrIxEEEESE_x9plus_mod3IxExEEDaPvRmT3_T4_T5_mT6_P12ihipStream_tbENKUlT_T0_E_clISt17integral_constantIbLb1EESU_EEDaSP_SQ_EUlSP_E0_NS1_11comp_targetILNS1_3genE4ELNS1_11target_archE910ELNS1_3gpuE8ELNS1_3repE0EEENS1_30default_config_static_selectorELNS0_4arch9wavefront6targetE1EEEvT1_
                                        ; -- End function
	.section	.AMDGPU.csdata,"",@progbits
; Kernel info:
; codeLenInByte = 2228
; NumSgprs: 28
; NumVgprs: 27
; NumAgprs: 0
; TotalNumVgprs: 27
; ScratchSize: 0
; MemoryBound: 0
; FloatMode: 240
; IeeeMode: 1
; LDSByteSize: 7168 bytes/workgroup (compile time only)
; SGPRBlocks: 3
; VGPRBlocks: 3
; NumSGPRsForWavesPerEU: 28
; NumVGPRsForWavesPerEU: 27
; AccumOffset: 28
; Occupancy: 5
; WaveLimiterHint : 1
; COMPUTE_PGM_RSRC2:SCRATCH_EN: 0
; COMPUTE_PGM_RSRC2:USER_SGPR: 6
; COMPUTE_PGM_RSRC2:TRAP_HANDLER: 0
; COMPUTE_PGM_RSRC2:TGID_X_EN: 1
; COMPUTE_PGM_RSRC2:TGID_Y_EN: 0
; COMPUTE_PGM_RSRC2:TGID_Z_EN: 0
; COMPUTE_PGM_RSRC2:TIDIG_COMP_CNT: 0
; COMPUTE_PGM_RSRC3_GFX90A:ACCUM_OFFSET: 6
; COMPUTE_PGM_RSRC3_GFX90A:TG_SPLIT: 0
	.section	.text._ZN7rocprim17ROCPRIM_400000_NS6detail17trampoline_kernelINS0_14default_configENS1_20scan_config_selectorIxEEZZNS1_9scan_implILNS1_25lookback_scan_determinismE0ELb0ELb0ES3_N6thrust23THRUST_200600_302600_NS6detail15normal_iteratorINS9_10device_ptrIxEEEESE_x9plus_mod3IxExEEDaPvRmT3_T4_T5_mT6_P12ihipStream_tbENKUlT_T0_E_clISt17integral_constantIbLb1EESU_EEDaSP_SQ_EUlSP_E0_NS1_11comp_targetILNS1_3genE3ELNS1_11target_archE908ELNS1_3gpuE7ELNS1_3repE0EEENS1_30default_config_static_selectorELNS0_4arch9wavefront6targetE1EEEvT1_,"axG",@progbits,_ZN7rocprim17ROCPRIM_400000_NS6detail17trampoline_kernelINS0_14default_configENS1_20scan_config_selectorIxEEZZNS1_9scan_implILNS1_25lookback_scan_determinismE0ELb0ELb0ES3_N6thrust23THRUST_200600_302600_NS6detail15normal_iteratorINS9_10device_ptrIxEEEESE_x9plus_mod3IxExEEDaPvRmT3_T4_T5_mT6_P12ihipStream_tbENKUlT_T0_E_clISt17integral_constantIbLb1EESU_EEDaSP_SQ_EUlSP_E0_NS1_11comp_targetILNS1_3genE3ELNS1_11target_archE908ELNS1_3gpuE7ELNS1_3repE0EEENS1_30default_config_static_selectorELNS0_4arch9wavefront6targetE1EEEvT1_,comdat
	.protected	_ZN7rocprim17ROCPRIM_400000_NS6detail17trampoline_kernelINS0_14default_configENS1_20scan_config_selectorIxEEZZNS1_9scan_implILNS1_25lookback_scan_determinismE0ELb0ELb0ES3_N6thrust23THRUST_200600_302600_NS6detail15normal_iteratorINS9_10device_ptrIxEEEESE_x9plus_mod3IxExEEDaPvRmT3_T4_T5_mT6_P12ihipStream_tbENKUlT_T0_E_clISt17integral_constantIbLb1EESU_EEDaSP_SQ_EUlSP_E0_NS1_11comp_targetILNS1_3genE3ELNS1_11target_archE908ELNS1_3gpuE7ELNS1_3repE0EEENS1_30default_config_static_selectorELNS0_4arch9wavefront6targetE1EEEvT1_ ; -- Begin function _ZN7rocprim17ROCPRIM_400000_NS6detail17trampoline_kernelINS0_14default_configENS1_20scan_config_selectorIxEEZZNS1_9scan_implILNS1_25lookback_scan_determinismE0ELb0ELb0ES3_N6thrust23THRUST_200600_302600_NS6detail15normal_iteratorINS9_10device_ptrIxEEEESE_x9plus_mod3IxExEEDaPvRmT3_T4_T5_mT6_P12ihipStream_tbENKUlT_T0_E_clISt17integral_constantIbLb1EESU_EEDaSP_SQ_EUlSP_E0_NS1_11comp_targetILNS1_3genE3ELNS1_11target_archE908ELNS1_3gpuE7ELNS1_3repE0EEENS1_30default_config_static_selectorELNS0_4arch9wavefront6targetE1EEEvT1_
	.globl	_ZN7rocprim17ROCPRIM_400000_NS6detail17trampoline_kernelINS0_14default_configENS1_20scan_config_selectorIxEEZZNS1_9scan_implILNS1_25lookback_scan_determinismE0ELb0ELb0ES3_N6thrust23THRUST_200600_302600_NS6detail15normal_iteratorINS9_10device_ptrIxEEEESE_x9plus_mod3IxExEEDaPvRmT3_T4_T5_mT6_P12ihipStream_tbENKUlT_T0_E_clISt17integral_constantIbLb1EESU_EEDaSP_SQ_EUlSP_E0_NS1_11comp_targetILNS1_3genE3ELNS1_11target_archE908ELNS1_3gpuE7ELNS1_3repE0EEENS1_30default_config_static_selectorELNS0_4arch9wavefront6targetE1EEEvT1_
	.p2align	8
	.type	_ZN7rocprim17ROCPRIM_400000_NS6detail17trampoline_kernelINS0_14default_configENS1_20scan_config_selectorIxEEZZNS1_9scan_implILNS1_25lookback_scan_determinismE0ELb0ELb0ES3_N6thrust23THRUST_200600_302600_NS6detail15normal_iteratorINS9_10device_ptrIxEEEESE_x9plus_mod3IxExEEDaPvRmT3_T4_T5_mT6_P12ihipStream_tbENKUlT_T0_E_clISt17integral_constantIbLb1EESU_EEDaSP_SQ_EUlSP_E0_NS1_11comp_targetILNS1_3genE3ELNS1_11target_archE908ELNS1_3gpuE7ELNS1_3repE0EEENS1_30default_config_static_selectorELNS0_4arch9wavefront6targetE1EEEvT1_,@function
_ZN7rocprim17ROCPRIM_400000_NS6detail17trampoline_kernelINS0_14default_configENS1_20scan_config_selectorIxEEZZNS1_9scan_implILNS1_25lookback_scan_determinismE0ELb0ELb0ES3_N6thrust23THRUST_200600_302600_NS6detail15normal_iteratorINS9_10device_ptrIxEEEESE_x9plus_mod3IxExEEDaPvRmT3_T4_T5_mT6_P12ihipStream_tbENKUlT_T0_E_clISt17integral_constantIbLb1EESU_EEDaSP_SQ_EUlSP_E0_NS1_11comp_targetILNS1_3genE3ELNS1_11target_archE908ELNS1_3gpuE7ELNS1_3repE0EEENS1_30default_config_static_selectorELNS0_4arch9wavefront6targetE1EEEvT1_: ; @_ZN7rocprim17ROCPRIM_400000_NS6detail17trampoline_kernelINS0_14default_configENS1_20scan_config_selectorIxEEZZNS1_9scan_implILNS1_25lookback_scan_determinismE0ELb0ELb0ES3_N6thrust23THRUST_200600_302600_NS6detail15normal_iteratorINS9_10device_ptrIxEEEESE_x9plus_mod3IxExEEDaPvRmT3_T4_T5_mT6_P12ihipStream_tbENKUlT_T0_E_clISt17integral_constantIbLb1EESU_EEDaSP_SQ_EUlSP_E0_NS1_11comp_targetILNS1_3genE3ELNS1_11target_archE908ELNS1_3gpuE7ELNS1_3repE0EEENS1_30default_config_static_selectorELNS0_4arch9wavefront6targetE1EEEvT1_
; %bb.0:
	.section	.rodata,"a",@progbits
	.p2align	6, 0x0
	.amdhsa_kernel _ZN7rocprim17ROCPRIM_400000_NS6detail17trampoline_kernelINS0_14default_configENS1_20scan_config_selectorIxEEZZNS1_9scan_implILNS1_25lookback_scan_determinismE0ELb0ELb0ES3_N6thrust23THRUST_200600_302600_NS6detail15normal_iteratorINS9_10device_ptrIxEEEESE_x9plus_mod3IxExEEDaPvRmT3_T4_T5_mT6_P12ihipStream_tbENKUlT_T0_E_clISt17integral_constantIbLb1EESU_EEDaSP_SQ_EUlSP_E0_NS1_11comp_targetILNS1_3genE3ELNS1_11target_archE908ELNS1_3gpuE7ELNS1_3repE0EEENS1_30default_config_static_selectorELNS0_4arch9wavefront6targetE1EEEvT1_
		.amdhsa_group_segment_fixed_size 0
		.amdhsa_private_segment_fixed_size 0
		.amdhsa_kernarg_size 40
		.amdhsa_user_sgpr_count 6
		.amdhsa_user_sgpr_private_segment_buffer 1
		.amdhsa_user_sgpr_dispatch_ptr 0
		.amdhsa_user_sgpr_queue_ptr 0
		.amdhsa_user_sgpr_kernarg_segment_ptr 1
		.amdhsa_user_sgpr_dispatch_id 0
		.amdhsa_user_sgpr_flat_scratch_init 0
		.amdhsa_user_sgpr_kernarg_preload_length 0
		.amdhsa_user_sgpr_kernarg_preload_offset 0
		.amdhsa_user_sgpr_private_segment_size 0
		.amdhsa_uses_dynamic_stack 0
		.amdhsa_system_sgpr_private_segment_wavefront_offset 0
		.amdhsa_system_sgpr_workgroup_id_x 1
		.amdhsa_system_sgpr_workgroup_id_y 0
		.amdhsa_system_sgpr_workgroup_id_z 0
		.amdhsa_system_sgpr_workgroup_info 0
		.amdhsa_system_vgpr_workitem_id 0
		.amdhsa_next_free_vgpr 1
		.amdhsa_next_free_sgpr 0
		.amdhsa_accum_offset 4
		.amdhsa_reserve_vcc 0
		.amdhsa_reserve_flat_scratch 0
		.amdhsa_float_round_mode_32 0
		.amdhsa_float_round_mode_16_64 0
		.amdhsa_float_denorm_mode_32 3
		.amdhsa_float_denorm_mode_16_64 3
		.amdhsa_dx10_clamp 1
		.amdhsa_ieee_mode 1
		.amdhsa_fp16_overflow 0
		.amdhsa_tg_split 0
		.amdhsa_exception_fp_ieee_invalid_op 0
		.amdhsa_exception_fp_denorm_src 0
		.amdhsa_exception_fp_ieee_div_zero 0
		.amdhsa_exception_fp_ieee_overflow 0
		.amdhsa_exception_fp_ieee_underflow 0
		.amdhsa_exception_fp_ieee_inexact 0
		.amdhsa_exception_int_div_zero 0
	.end_amdhsa_kernel
	.section	.text._ZN7rocprim17ROCPRIM_400000_NS6detail17trampoline_kernelINS0_14default_configENS1_20scan_config_selectorIxEEZZNS1_9scan_implILNS1_25lookback_scan_determinismE0ELb0ELb0ES3_N6thrust23THRUST_200600_302600_NS6detail15normal_iteratorINS9_10device_ptrIxEEEESE_x9plus_mod3IxExEEDaPvRmT3_T4_T5_mT6_P12ihipStream_tbENKUlT_T0_E_clISt17integral_constantIbLb1EESU_EEDaSP_SQ_EUlSP_E0_NS1_11comp_targetILNS1_3genE3ELNS1_11target_archE908ELNS1_3gpuE7ELNS1_3repE0EEENS1_30default_config_static_selectorELNS0_4arch9wavefront6targetE1EEEvT1_,"axG",@progbits,_ZN7rocprim17ROCPRIM_400000_NS6detail17trampoline_kernelINS0_14default_configENS1_20scan_config_selectorIxEEZZNS1_9scan_implILNS1_25lookback_scan_determinismE0ELb0ELb0ES3_N6thrust23THRUST_200600_302600_NS6detail15normal_iteratorINS9_10device_ptrIxEEEESE_x9plus_mod3IxExEEDaPvRmT3_T4_T5_mT6_P12ihipStream_tbENKUlT_T0_E_clISt17integral_constantIbLb1EESU_EEDaSP_SQ_EUlSP_E0_NS1_11comp_targetILNS1_3genE3ELNS1_11target_archE908ELNS1_3gpuE7ELNS1_3repE0EEENS1_30default_config_static_selectorELNS0_4arch9wavefront6targetE1EEEvT1_,comdat
.Lfunc_end6564:
	.size	_ZN7rocprim17ROCPRIM_400000_NS6detail17trampoline_kernelINS0_14default_configENS1_20scan_config_selectorIxEEZZNS1_9scan_implILNS1_25lookback_scan_determinismE0ELb0ELb0ES3_N6thrust23THRUST_200600_302600_NS6detail15normal_iteratorINS9_10device_ptrIxEEEESE_x9plus_mod3IxExEEDaPvRmT3_T4_T5_mT6_P12ihipStream_tbENKUlT_T0_E_clISt17integral_constantIbLb1EESU_EEDaSP_SQ_EUlSP_E0_NS1_11comp_targetILNS1_3genE3ELNS1_11target_archE908ELNS1_3gpuE7ELNS1_3repE0EEENS1_30default_config_static_selectorELNS0_4arch9wavefront6targetE1EEEvT1_, .Lfunc_end6564-_ZN7rocprim17ROCPRIM_400000_NS6detail17trampoline_kernelINS0_14default_configENS1_20scan_config_selectorIxEEZZNS1_9scan_implILNS1_25lookback_scan_determinismE0ELb0ELb0ES3_N6thrust23THRUST_200600_302600_NS6detail15normal_iteratorINS9_10device_ptrIxEEEESE_x9plus_mod3IxExEEDaPvRmT3_T4_T5_mT6_P12ihipStream_tbENKUlT_T0_E_clISt17integral_constantIbLb1EESU_EEDaSP_SQ_EUlSP_E0_NS1_11comp_targetILNS1_3genE3ELNS1_11target_archE908ELNS1_3gpuE7ELNS1_3repE0EEENS1_30default_config_static_selectorELNS0_4arch9wavefront6targetE1EEEvT1_
                                        ; -- End function
	.section	.AMDGPU.csdata,"",@progbits
; Kernel info:
; codeLenInByte = 0
; NumSgprs: 4
; NumVgprs: 0
; NumAgprs: 0
; TotalNumVgprs: 0
; ScratchSize: 0
; MemoryBound: 0
; FloatMode: 240
; IeeeMode: 1
; LDSByteSize: 0 bytes/workgroup (compile time only)
; SGPRBlocks: 0
; VGPRBlocks: 0
; NumSGPRsForWavesPerEU: 4
; NumVGPRsForWavesPerEU: 1
; AccumOffset: 4
; Occupancy: 8
; WaveLimiterHint : 0
; COMPUTE_PGM_RSRC2:SCRATCH_EN: 0
; COMPUTE_PGM_RSRC2:USER_SGPR: 6
; COMPUTE_PGM_RSRC2:TRAP_HANDLER: 0
; COMPUTE_PGM_RSRC2:TGID_X_EN: 1
; COMPUTE_PGM_RSRC2:TGID_Y_EN: 0
; COMPUTE_PGM_RSRC2:TGID_Z_EN: 0
; COMPUTE_PGM_RSRC2:TIDIG_COMP_CNT: 0
; COMPUTE_PGM_RSRC3_GFX90A:ACCUM_OFFSET: 0
; COMPUTE_PGM_RSRC3_GFX90A:TG_SPLIT: 0
	.section	.text._ZN7rocprim17ROCPRIM_400000_NS6detail17trampoline_kernelINS0_14default_configENS1_20scan_config_selectorIxEEZZNS1_9scan_implILNS1_25lookback_scan_determinismE0ELb0ELb0ES3_N6thrust23THRUST_200600_302600_NS6detail15normal_iteratorINS9_10device_ptrIxEEEESE_x9plus_mod3IxExEEDaPvRmT3_T4_T5_mT6_P12ihipStream_tbENKUlT_T0_E_clISt17integral_constantIbLb1EESU_EEDaSP_SQ_EUlSP_E0_NS1_11comp_targetILNS1_3genE2ELNS1_11target_archE906ELNS1_3gpuE6ELNS1_3repE0EEENS1_30default_config_static_selectorELNS0_4arch9wavefront6targetE1EEEvT1_,"axG",@progbits,_ZN7rocprim17ROCPRIM_400000_NS6detail17trampoline_kernelINS0_14default_configENS1_20scan_config_selectorIxEEZZNS1_9scan_implILNS1_25lookback_scan_determinismE0ELb0ELb0ES3_N6thrust23THRUST_200600_302600_NS6detail15normal_iteratorINS9_10device_ptrIxEEEESE_x9plus_mod3IxExEEDaPvRmT3_T4_T5_mT6_P12ihipStream_tbENKUlT_T0_E_clISt17integral_constantIbLb1EESU_EEDaSP_SQ_EUlSP_E0_NS1_11comp_targetILNS1_3genE2ELNS1_11target_archE906ELNS1_3gpuE6ELNS1_3repE0EEENS1_30default_config_static_selectorELNS0_4arch9wavefront6targetE1EEEvT1_,comdat
	.protected	_ZN7rocprim17ROCPRIM_400000_NS6detail17trampoline_kernelINS0_14default_configENS1_20scan_config_selectorIxEEZZNS1_9scan_implILNS1_25lookback_scan_determinismE0ELb0ELb0ES3_N6thrust23THRUST_200600_302600_NS6detail15normal_iteratorINS9_10device_ptrIxEEEESE_x9plus_mod3IxExEEDaPvRmT3_T4_T5_mT6_P12ihipStream_tbENKUlT_T0_E_clISt17integral_constantIbLb1EESU_EEDaSP_SQ_EUlSP_E0_NS1_11comp_targetILNS1_3genE2ELNS1_11target_archE906ELNS1_3gpuE6ELNS1_3repE0EEENS1_30default_config_static_selectorELNS0_4arch9wavefront6targetE1EEEvT1_ ; -- Begin function _ZN7rocprim17ROCPRIM_400000_NS6detail17trampoline_kernelINS0_14default_configENS1_20scan_config_selectorIxEEZZNS1_9scan_implILNS1_25lookback_scan_determinismE0ELb0ELb0ES3_N6thrust23THRUST_200600_302600_NS6detail15normal_iteratorINS9_10device_ptrIxEEEESE_x9plus_mod3IxExEEDaPvRmT3_T4_T5_mT6_P12ihipStream_tbENKUlT_T0_E_clISt17integral_constantIbLb1EESU_EEDaSP_SQ_EUlSP_E0_NS1_11comp_targetILNS1_3genE2ELNS1_11target_archE906ELNS1_3gpuE6ELNS1_3repE0EEENS1_30default_config_static_selectorELNS0_4arch9wavefront6targetE1EEEvT1_
	.globl	_ZN7rocprim17ROCPRIM_400000_NS6detail17trampoline_kernelINS0_14default_configENS1_20scan_config_selectorIxEEZZNS1_9scan_implILNS1_25lookback_scan_determinismE0ELb0ELb0ES3_N6thrust23THRUST_200600_302600_NS6detail15normal_iteratorINS9_10device_ptrIxEEEESE_x9plus_mod3IxExEEDaPvRmT3_T4_T5_mT6_P12ihipStream_tbENKUlT_T0_E_clISt17integral_constantIbLb1EESU_EEDaSP_SQ_EUlSP_E0_NS1_11comp_targetILNS1_3genE2ELNS1_11target_archE906ELNS1_3gpuE6ELNS1_3repE0EEENS1_30default_config_static_selectorELNS0_4arch9wavefront6targetE1EEEvT1_
	.p2align	8
	.type	_ZN7rocprim17ROCPRIM_400000_NS6detail17trampoline_kernelINS0_14default_configENS1_20scan_config_selectorIxEEZZNS1_9scan_implILNS1_25lookback_scan_determinismE0ELb0ELb0ES3_N6thrust23THRUST_200600_302600_NS6detail15normal_iteratorINS9_10device_ptrIxEEEESE_x9plus_mod3IxExEEDaPvRmT3_T4_T5_mT6_P12ihipStream_tbENKUlT_T0_E_clISt17integral_constantIbLb1EESU_EEDaSP_SQ_EUlSP_E0_NS1_11comp_targetILNS1_3genE2ELNS1_11target_archE906ELNS1_3gpuE6ELNS1_3repE0EEENS1_30default_config_static_selectorELNS0_4arch9wavefront6targetE1EEEvT1_,@function
_ZN7rocprim17ROCPRIM_400000_NS6detail17trampoline_kernelINS0_14default_configENS1_20scan_config_selectorIxEEZZNS1_9scan_implILNS1_25lookback_scan_determinismE0ELb0ELb0ES3_N6thrust23THRUST_200600_302600_NS6detail15normal_iteratorINS9_10device_ptrIxEEEESE_x9plus_mod3IxExEEDaPvRmT3_T4_T5_mT6_P12ihipStream_tbENKUlT_T0_E_clISt17integral_constantIbLb1EESU_EEDaSP_SQ_EUlSP_E0_NS1_11comp_targetILNS1_3genE2ELNS1_11target_archE906ELNS1_3gpuE6ELNS1_3repE0EEENS1_30default_config_static_selectorELNS0_4arch9wavefront6targetE1EEEvT1_: ; @_ZN7rocprim17ROCPRIM_400000_NS6detail17trampoline_kernelINS0_14default_configENS1_20scan_config_selectorIxEEZZNS1_9scan_implILNS1_25lookback_scan_determinismE0ELb0ELb0ES3_N6thrust23THRUST_200600_302600_NS6detail15normal_iteratorINS9_10device_ptrIxEEEESE_x9plus_mod3IxExEEDaPvRmT3_T4_T5_mT6_P12ihipStream_tbENKUlT_T0_E_clISt17integral_constantIbLb1EESU_EEDaSP_SQ_EUlSP_E0_NS1_11comp_targetILNS1_3genE2ELNS1_11target_archE906ELNS1_3gpuE6ELNS1_3repE0EEENS1_30default_config_static_selectorELNS0_4arch9wavefront6targetE1EEEvT1_
; %bb.0:
	.section	.rodata,"a",@progbits
	.p2align	6, 0x0
	.amdhsa_kernel _ZN7rocprim17ROCPRIM_400000_NS6detail17trampoline_kernelINS0_14default_configENS1_20scan_config_selectorIxEEZZNS1_9scan_implILNS1_25lookback_scan_determinismE0ELb0ELb0ES3_N6thrust23THRUST_200600_302600_NS6detail15normal_iteratorINS9_10device_ptrIxEEEESE_x9plus_mod3IxExEEDaPvRmT3_T4_T5_mT6_P12ihipStream_tbENKUlT_T0_E_clISt17integral_constantIbLb1EESU_EEDaSP_SQ_EUlSP_E0_NS1_11comp_targetILNS1_3genE2ELNS1_11target_archE906ELNS1_3gpuE6ELNS1_3repE0EEENS1_30default_config_static_selectorELNS0_4arch9wavefront6targetE1EEEvT1_
		.amdhsa_group_segment_fixed_size 0
		.amdhsa_private_segment_fixed_size 0
		.amdhsa_kernarg_size 40
		.amdhsa_user_sgpr_count 6
		.amdhsa_user_sgpr_private_segment_buffer 1
		.amdhsa_user_sgpr_dispatch_ptr 0
		.amdhsa_user_sgpr_queue_ptr 0
		.amdhsa_user_sgpr_kernarg_segment_ptr 1
		.amdhsa_user_sgpr_dispatch_id 0
		.amdhsa_user_sgpr_flat_scratch_init 0
		.amdhsa_user_sgpr_kernarg_preload_length 0
		.amdhsa_user_sgpr_kernarg_preload_offset 0
		.amdhsa_user_sgpr_private_segment_size 0
		.amdhsa_uses_dynamic_stack 0
		.amdhsa_system_sgpr_private_segment_wavefront_offset 0
		.amdhsa_system_sgpr_workgroup_id_x 1
		.amdhsa_system_sgpr_workgroup_id_y 0
		.amdhsa_system_sgpr_workgroup_id_z 0
		.amdhsa_system_sgpr_workgroup_info 0
		.amdhsa_system_vgpr_workitem_id 0
		.amdhsa_next_free_vgpr 1
		.amdhsa_next_free_sgpr 0
		.amdhsa_accum_offset 4
		.amdhsa_reserve_vcc 0
		.amdhsa_reserve_flat_scratch 0
		.amdhsa_float_round_mode_32 0
		.amdhsa_float_round_mode_16_64 0
		.amdhsa_float_denorm_mode_32 3
		.amdhsa_float_denorm_mode_16_64 3
		.amdhsa_dx10_clamp 1
		.amdhsa_ieee_mode 1
		.amdhsa_fp16_overflow 0
		.amdhsa_tg_split 0
		.amdhsa_exception_fp_ieee_invalid_op 0
		.amdhsa_exception_fp_denorm_src 0
		.amdhsa_exception_fp_ieee_div_zero 0
		.amdhsa_exception_fp_ieee_overflow 0
		.amdhsa_exception_fp_ieee_underflow 0
		.amdhsa_exception_fp_ieee_inexact 0
		.amdhsa_exception_int_div_zero 0
	.end_amdhsa_kernel
	.section	.text._ZN7rocprim17ROCPRIM_400000_NS6detail17trampoline_kernelINS0_14default_configENS1_20scan_config_selectorIxEEZZNS1_9scan_implILNS1_25lookback_scan_determinismE0ELb0ELb0ES3_N6thrust23THRUST_200600_302600_NS6detail15normal_iteratorINS9_10device_ptrIxEEEESE_x9plus_mod3IxExEEDaPvRmT3_T4_T5_mT6_P12ihipStream_tbENKUlT_T0_E_clISt17integral_constantIbLb1EESU_EEDaSP_SQ_EUlSP_E0_NS1_11comp_targetILNS1_3genE2ELNS1_11target_archE906ELNS1_3gpuE6ELNS1_3repE0EEENS1_30default_config_static_selectorELNS0_4arch9wavefront6targetE1EEEvT1_,"axG",@progbits,_ZN7rocprim17ROCPRIM_400000_NS6detail17trampoline_kernelINS0_14default_configENS1_20scan_config_selectorIxEEZZNS1_9scan_implILNS1_25lookback_scan_determinismE0ELb0ELb0ES3_N6thrust23THRUST_200600_302600_NS6detail15normal_iteratorINS9_10device_ptrIxEEEESE_x9plus_mod3IxExEEDaPvRmT3_T4_T5_mT6_P12ihipStream_tbENKUlT_T0_E_clISt17integral_constantIbLb1EESU_EEDaSP_SQ_EUlSP_E0_NS1_11comp_targetILNS1_3genE2ELNS1_11target_archE906ELNS1_3gpuE6ELNS1_3repE0EEENS1_30default_config_static_selectorELNS0_4arch9wavefront6targetE1EEEvT1_,comdat
.Lfunc_end6565:
	.size	_ZN7rocprim17ROCPRIM_400000_NS6detail17trampoline_kernelINS0_14default_configENS1_20scan_config_selectorIxEEZZNS1_9scan_implILNS1_25lookback_scan_determinismE0ELb0ELb0ES3_N6thrust23THRUST_200600_302600_NS6detail15normal_iteratorINS9_10device_ptrIxEEEESE_x9plus_mod3IxExEEDaPvRmT3_T4_T5_mT6_P12ihipStream_tbENKUlT_T0_E_clISt17integral_constantIbLb1EESU_EEDaSP_SQ_EUlSP_E0_NS1_11comp_targetILNS1_3genE2ELNS1_11target_archE906ELNS1_3gpuE6ELNS1_3repE0EEENS1_30default_config_static_selectorELNS0_4arch9wavefront6targetE1EEEvT1_, .Lfunc_end6565-_ZN7rocprim17ROCPRIM_400000_NS6detail17trampoline_kernelINS0_14default_configENS1_20scan_config_selectorIxEEZZNS1_9scan_implILNS1_25lookback_scan_determinismE0ELb0ELb0ES3_N6thrust23THRUST_200600_302600_NS6detail15normal_iteratorINS9_10device_ptrIxEEEESE_x9plus_mod3IxExEEDaPvRmT3_T4_T5_mT6_P12ihipStream_tbENKUlT_T0_E_clISt17integral_constantIbLb1EESU_EEDaSP_SQ_EUlSP_E0_NS1_11comp_targetILNS1_3genE2ELNS1_11target_archE906ELNS1_3gpuE6ELNS1_3repE0EEENS1_30default_config_static_selectorELNS0_4arch9wavefront6targetE1EEEvT1_
                                        ; -- End function
	.section	.AMDGPU.csdata,"",@progbits
; Kernel info:
; codeLenInByte = 0
; NumSgprs: 4
; NumVgprs: 0
; NumAgprs: 0
; TotalNumVgprs: 0
; ScratchSize: 0
; MemoryBound: 0
; FloatMode: 240
; IeeeMode: 1
; LDSByteSize: 0 bytes/workgroup (compile time only)
; SGPRBlocks: 0
; VGPRBlocks: 0
; NumSGPRsForWavesPerEU: 4
; NumVGPRsForWavesPerEU: 1
; AccumOffset: 4
; Occupancy: 8
; WaveLimiterHint : 0
; COMPUTE_PGM_RSRC2:SCRATCH_EN: 0
; COMPUTE_PGM_RSRC2:USER_SGPR: 6
; COMPUTE_PGM_RSRC2:TRAP_HANDLER: 0
; COMPUTE_PGM_RSRC2:TGID_X_EN: 1
; COMPUTE_PGM_RSRC2:TGID_Y_EN: 0
; COMPUTE_PGM_RSRC2:TGID_Z_EN: 0
; COMPUTE_PGM_RSRC2:TIDIG_COMP_CNT: 0
; COMPUTE_PGM_RSRC3_GFX90A:ACCUM_OFFSET: 0
; COMPUTE_PGM_RSRC3_GFX90A:TG_SPLIT: 0
	.section	.text._ZN7rocprim17ROCPRIM_400000_NS6detail17trampoline_kernelINS0_14default_configENS1_20scan_config_selectorIxEEZZNS1_9scan_implILNS1_25lookback_scan_determinismE0ELb0ELb0ES3_N6thrust23THRUST_200600_302600_NS6detail15normal_iteratorINS9_10device_ptrIxEEEESE_x9plus_mod3IxExEEDaPvRmT3_T4_T5_mT6_P12ihipStream_tbENKUlT_T0_E_clISt17integral_constantIbLb1EESU_EEDaSP_SQ_EUlSP_E0_NS1_11comp_targetILNS1_3genE10ELNS1_11target_archE1201ELNS1_3gpuE5ELNS1_3repE0EEENS1_30default_config_static_selectorELNS0_4arch9wavefront6targetE1EEEvT1_,"axG",@progbits,_ZN7rocprim17ROCPRIM_400000_NS6detail17trampoline_kernelINS0_14default_configENS1_20scan_config_selectorIxEEZZNS1_9scan_implILNS1_25lookback_scan_determinismE0ELb0ELb0ES3_N6thrust23THRUST_200600_302600_NS6detail15normal_iteratorINS9_10device_ptrIxEEEESE_x9plus_mod3IxExEEDaPvRmT3_T4_T5_mT6_P12ihipStream_tbENKUlT_T0_E_clISt17integral_constantIbLb1EESU_EEDaSP_SQ_EUlSP_E0_NS1_11comp_targetILNS1_3genE10ELNS1_11target_archE1201ELNS1_3gpuE5ELNS1_3repE0EEENS1_30default_config_static_selectorELNS0_4arch9wavefront6targetE1EEEvT1_,comdat
	.protected	_ZN7rocprim17ROCPRIM_400000_NS6detail17trampoline_kernelINS0_14default_configENS1_20scan_config_selectorIxEEZZNS1_9scan_implILNS1_25lookback_scan_determinismE0ELb0ELb0ES3_N6thrust23THRUST_200600_302600_NS6detail15normal_iteratorINS9_10device_ptrIxEEEESE_x9plus_mod3IxExEEDaPvRmT3_T4_T5_mT6_P12ihipStream_tbENKUlT_T0_E_clISt17integral_constantIbLb1EESU_EEDaSP_SQ_EUlSP_E0_NS1_11comp_targetILNS1_3genE10ELNS1_11target_archE1201ELNS1_3gpuE5ELNS1_3repE0EEENS1_30default_config_static_selectorELNS0_4arch9wavefront6targetE1EEEvT1_ ; -- Begin function _ZN7rocprim17ROCPRIM_400000_NS6detail17trampoline_kernelINS0_14default_configENS1_20scan_config_selectorIxEEZZNS1_9scan_implILNS1_25lookback_scan_determinismE0ELb0ELb0ES3_N6thrust23THRUST_200600_302600_NS6detail15normal_iteratorINS9_10device_ptrIxEEEESE_x9plus_mod3IxExEEDaPvRmT3_T4_T5_mT6_P12ihipStream_tbENKUlT_T0_E_clISt17integral_constantIbLb1EESU_EEDaSP_SQ_EUlSP_E0_NS1_11comp_targetILNS1_3genE10ELNS1_11target_archE1201ELNS1_3gpuE5ELNS1_3repE0EEENS1_30default_config_static_selectorELNS0_4arch9wavefront6targetE1EEEvT1_
	.globl	_ZN7rocprim17ROCPRIM_400000_NS6detail17trampoline_kernelINS0_14default_configENS1_20scan_config_selectorIxEEZZNS1_9scan_implILNS1_25lookback_scan_determinismE0ELb0ELb0ES3_N6thrust23THRUST_200600_302600_NS6detail15normal_iteratorINS9_10device_ptrIxEEEESE_x9plus_mod3IxExEEDaPvRmT3_T4_T5_mT6_P12ihipStream_tbENKUlT_T0_E_clISt17integral_constantIbLb1EESU_EEDaSP_SQ_EUlSP_E0_NS1_11comp_targetILNS1_3genE10ELNS1_11target_archE1201ELNS1_3gpuE5ELNS1_3repE0EEENS1_30default_config_static_selectorELNS0_4arch9wavefront6targetE1EEEvT1_
	.p2align	8
	.type	_ZN7rocprim17ROCPRIM_400000_NS6detail17trampoline_kernelINS0_14default_configENS1_20scan_config_selectorIxEEZZNS1_9scan_implILNS1_25lookback_scan_determinismE0ELb0ELb0ES3_N6thrust23THRUST_200600_302600_NS6detail15normal_iteratorINS9_10device_ptrIxEEEESE_x9plus_mod3IxExEEDaPvRmT3_T4_T5_mT6_P12ihipStream_tbENKUlT_T0_E_clISt17integral_constantIbLb1EESU_EEDaSP_SQ_EUlSP_E0_NS1_11comp_targetILNS1_3genE10ELNS1_11target_archE1201ELNS1_3gpuE5ELNS1_3repE0EEENS1_30default_config_static_selectorELNS0_4arch9wavefront6targetE1EEEvT1_,@function
_ZN7rocprim17ROCPRIM_400000_NS6detail17trampoline_kernelINS0_14default_configENS1_20scan_config_selectorIxEEZZNS1_9scan_implILNS1_25lookback_scan_determinismE0ELb0ELb0ES3_N6thrust23THRUST_200600_302600_NS6detail15normal_iteratorINS9_10device_ptrIxEEEESE_x9plus_mod3IxExEEDaPvRmT3_T4_T5_mT6_P12ihipStream_tbENKUlT_T0_E_clISt17integral_constantIbLb1EESU_EEDaSP_SQ_EUlSP_E0_NS1_11comp_targetILNS1_3genE10ELNS1_11target_archE1201ELNS1_3gpuE5ELNS1_3repE0EEENS1_30default_config_static_selectorELNS0_4arch9wavefront6targetE1EEEvT1_: ; @_ZN7rocprim17ROCPRIM_400000_NS6detail17trampoline_kernelINS0_14default_configENS1_20scan_config_selectorIxEEZZNS1_9scan_implILNS1_25lookback_scan_determinismE0ELb0ELb0ES3_N6thrust23THRUST_200600_302600_NS6detail15normal_iteratorINS9_10device_ptrIxEEEESE_x9plus_mod3IxExEEDaPvRmT3_T4_T5_mT6_P12ihipStream_tbENKUlT_T0_E_clISt17integral_constantIbLb1EESU_EEDaSP_SQ_EUlSP_E0_NS1_11comp_targetILNS1_3genE10ELNS1_11target_archE1201ELNS1_3gpuE5ELNS1_3repE0EEENS1_30default_config_static_selectorELNS0_4arch9wavefront6targetE1EEEvT1_
; %bb.0:
	.section	.rodata,"a",@progbits
	.p2align	6, 0x0
	.amdhsa_kernel _ZN7rocprim17ROCPRIM_400000_NS6detail17trampoline_kernelINS0_14default_configENS1_20scan_config_selectorIxEEZZNS1_9scan_implILNS1_25lookback_scan_determinismE0ELb0ELb0ES3_N6thrust23THRUST_200600_302600_NS6detail15normal_iteratorINS9_10device_ptrIxEEEESE_x9plus_mod3IxExEEDaPvRmT3_T4_T5_mT6_P12ihipStream_tbENKUlT_T0_E_clISt17integral_constantIbLb1EESU_EEDaSP_SQ_EUlSP_E0_NS1_11comp_targetILNS1_3genE10ELNS1_11target_archE1201ELNS1_3gpuE5ELNS1_3repE0EEENS1_30default_config_static_selectorELNS0_4arch9wavefront6targetE1EEEvT1_
		.amdhsa_group_segment_fixed_size 0
		.amdhsa_private_segment_fixed_size 0
		.amdhsa_kernarg_size 40
		.amdhsa_user_sgpr_count 6
		.amdhsa_user_sgpr_private_segment_buffer 1
		.amdhsa_user_sgpr_dispatch_ptr 0
		.amdhsa_user_sgpr_queue_ptr 0
		.amdhsa_user_sgpr_kernarg_segment_ptr 1
		.amdhsa_user_sgpr_dispatch_id 0
		.amdhsa_user_sgpr_flat_scratch_init 0
		.amdhsa_user_sgpr_kernarg_preload_length 0
		.amdhsa_user_sgpr_kernarg_preload_offset 0
		.amdhsa_user_sgpr_private_segment_size 0
		.amdhsa_uses_dynamic_stack 0
		.amdhsa_system_sgpr_private_segment_wavefront_offset 0
		.amdhsa_system_sgpr_workgroup_id_x 1
		.amdhsa_system_sgpr_workgroup_id_y 0
		.amdhsa_system_sgpr_workgroup_id_z 0
		.amdhsa_system_sgpr_workgroup_info 0
		.amdhsa_system_vgpr_workitem_id 0
		.amdhsa_next_free_vgpr 1
		.amdhsa_next_free_sgpr 0
		.amdhsa_accum_offset 4
		.amdhsa_reserve_vcc 0
		.amdhsa_reserve_flat_scratch 0
		.amdhsa_float_round_mode_32 0
		.amdhsa_float_round_mode_16_64 0
		.amdhsa_float_denorm_mode_32 3
		.amdhsa_float_denorm_mode_16_64 3
		.amdhsa_dx10_clamp 1
		.amdhsa_ieee_mode 1
		.amdhsa_fp16_overflow 0
		.amdhsa_tg_split 0
		.amdhsa_exception_fp_ieee_invalid_op 0
		.amdhsa_exception_fp_denorm_src 0
		.amdhsa_exception_fp_ieee_div_zero 0
		.amdhsa_exception_fp_ieee_overflow 0
		.amdhsa_exception_fp_ieee_underflow 0
		.amdhsa_exception_fp_ieee_inexact 0
		.amdhsa_exception_int_div_zero 0
	.end_amdhsa_kernel
	.section	.text._ZN7rocprim17ROCPRIM_400000_NS6detail17trampoline_kernelINS0_14default_configENS1_20scan_config_selectorIxEEZZNS1_9scan_implILNS1_25lookback_scan_determinismE0ELb0ELb0ES3_N6thrust23THRUST_200600_302600_NS6detail15normal_iteratorINS9_10device_ptrIxEEEESE_x9plus_mod3IxExEEDaPvRmT3_T4_T5_mT6_P12ihipStream_tbENKUlT_T0_E_clISt17integral_constantIbLb1EESU_EEDaSP_SQ_EUlSP_E0_NS1_11comp_targetILNS1_3genE10ELNS1_11target_archE1201ELNS1_3gpuE5ELNS1_3repE0EEENS1_30default_config_static_selectorELNS0_4arch9wavefront6targetE1EEEvT1_,"axG",@progbits,_ZN7rocprim17ROCPRIM_400000_NS6detail17trampoline_kernelINS0_14default_configENS1_20scan_config_selectorIxEEZZNS1_9scan_implILNS1_25lookback_scan_determinismE0ELb0ELb0ES3_N6thrust23THRUST_200600_302600_NS6detail15normal_iteratorINS9_10device_ptrIxEEEESE_x9plus_mod3IxExEEDaPvRmT3_T4_T5_mT6_P12ihipStream_tbENKUlT_T0_E_clISt17integral_constantIbLb1EESU_EEDaSP_SQ_EUlSP_E0_NS1_11comp_targetILNS1_3genE10ELNS1_11target_archE1201ELNS1_3gpuE5ELNS1_3repE0EEENS1_30default_config_static_selectorELNS0_4arch9wavefront6targetE1EEEvT1_,comdat
.Lfunc_end6566:
	.size	_ZN7rocprim17ROCPRIM_400000_NS6detail17trampoline_kernelINS0_14default_configENS1_20scan_config_selectorIxEEZZNS1_9scan_implILNS1_25lookback_scan_determinismE0ELb0ELb0ES3_N6thrust23THRUST_200600_302600_NS6detail15normal_iteratorINS9_10device_ptrIxEEEESE_x9plus_mod3IxExEEDaPvRmT3_T4_T5_mT6_P12ihipStream_tbENKUlT_T0_E_clISt17integral_constantIbLb1EESU_EEDaSP_SQ_EUlSP_E0_NS1_11comp_targetILNS1_3genE10ELNS1_11target_archE1201ELNS1_3gpuE5ELNS1_3repE0EEENS1_30default_config_static_selectorELNS0_4arch9wavefront6targetE1EEEvT1_, .Lfunc_end6566-_ZN7rocprim17ROCPRIM_400000_NS6detail17trampoline_kernelINS0_14default_configENS1_20scan_config_selectorIxEEZZNS1_9scan_implILNS1_25lookback_scan_determinismE0ELb0ELb0ES3_N6thrust23THRUST_200600_302600_NS6detail15normal_iteratorINS9_10device_ptrIxEEEESE_x9plus_mod3IxExEEDaPvRmT3_T4_T5_mT6_P12ihipStream_tbENKUlT_T0_E_clISt17integral_constantIbLb1EESU_EEDaSP_SQ_EUlSP_E0_NS1_11comp_targetILNS1_3genE10ELNS1_11target_archE1201ELNS1_3gpuE5ELNS1_3repE0EEENS1_30default_config_static_selectorELNS0_4arch9wavefront6targetE1EEEvT1_
                                        ; -- End function
	.section	.AMDGPU.csdata,"",@progbits
; Kernel info:
; codeLenInByte = 0
; NumSgprs: 4
; NumVgprs: 0
; NumAgprs: 0
; TotalNumVgprs: 0
; ScratchSize: 0
; MemoryBound: 0
; FloatMode: 240
; IeeeMode: 1
; LDSByteSize: 0 bytes/workgroup (compile time only)
; SGPRBlocks: 0
; VGPRBlocks: 0
; NumSGPRsForWavesPerEU: 4
; NumVGPRsForWavesPerEU: 1
; AccumOffset: 4
; Occupancy: 8
; WaveLimiterHint : 0
; COMPUTE_PGM_RSRC2:SCRATCH_EN: 0
; COMPUTE_PGM_RSRC2:USER_SGPR: 6
; COMPUTE_PGM_RSRC2:TRAP_HANDLER: 0
; COMPUTE_PGM_RSRC2:TGID_X_EN: 1
; COMPUTE_PGM_RSRC2:TGID_Y_EN: 0
; COMPUTE_PGM_RSRC2:TGID_Z_EN: 0
; COMPUTE_PGM_RSRC2:TIDIG_COMP_CNT: 0
; COMPUTE_PGM_RSRC3_GFX90A:ACCUM_OFFSET: 0
; COMPUTE_PGM_RSRC3_GFX90A:TG_SPLIT: 0
	.section	.text._ZN7rocprim17ROCPRIM_400000_NS6detail17trampoline_kernelINS0_14default_configENS1_20scan_config_selectorIxEEZZNS1_9scan_implILNS1_25lookback_scan_determinismE0ELb0ELb0ES3_N6thrust23THRUST_200600_302600_NS6detail15normal_iteratorINS9_10device_ptrIxEEEESE_x9plus_mod3IxExEEDaPvRmT3_T4_T5_mT6_P12ihipStream_tbENKUlT_T0_E_clISt17integral_constantIbLb1EESU_EEDaSP_SQ_EUlSP_E0_NS1_11comp_targetILNS1_3genE10ELNS1_11target_archE1200ELNS1_3gpuE4ELNS1_3repE0EEENS1_30default_config_static_selectorELNS0_4arch9wavefront6targetE1EEEvT1_,"axG",@progbits,_ZN7rocprim17ROCPRIM_400000_NS6detail17trampoline_kernelINS0_14default_configENS1_20scan_config_selectorIxEEZZNS1_9scan_implILNS1_25lookback_scan_determinismE0ELb0ELb0ES3_N6thrust23THRUST_200600_302600_NS6detail15normal_iteratorINS9_10device_ptrIxEEEESE_x9plus_mod3IxExEEDaPvRmT3_T4_T5_mT6_P12ihipStream_tbENKUlT_T0_E_clISt17integral_constantIbLb1EESU_EEDaSP_SQ_EUlSP_E0_NS1_11comp_targetILNS1_3genE10ELNS1_11target_archE1200ELNS1_3gpuE4ELNS1_3repE0EEENS1_30default_config_static_selectorELNS0_4arch9wavefront6targetE1EEEvT1_,comdat
	.protected	_ZN7rocprim17ROCPRIM_400000_NS6detail17trampoline_kernelINS0_14default_configENS1_20scan_config_selectorIxEEZZNS1_9scan_implILNS1_25lookback_scan_determinismE0ELb0ELb0ES3_N6thrust23THRUST_200600_302600_NS6detail15normal_iteratorINS9_10device_ptrIxEEEESE_x9plus_mod3IxExEEDaPvRmT3_T4_T5_mT6_P12ihipStream_tbENKUlT_T0_E_clISt17integral_constantIbLb1EESU_EEDaSP_SQ_EUlSP_E0_NS1_11comp_targetILNS1_3genE10ELNS1_11target_archE1200ELNS1_3gpuE4ELNS1_3repE0EEENS1_30default_config_static_selectorELNS0_4arch9wavefront6targetE1EEEvT1_ ; -- Begin function _ZN7rocprim17ROCPRIM_400000_NS6detail17trampoline_kernelINS0_14default_configENS1_20scan_config_selectorIxEEZZNS1_9scan_implILNS1_25lookback_scan_determinismE0ELb0ELb0ES3_N6thrust23THRUST_200600_302600_NS6detail15normal_iteratorINS9_10device_ptrIxEEEESE_x9plus_mod3IxExEEDaPvRmT3_T4_T5_mT6_P12ihipStream_tbENKUlT_T0_E_clISt17integral_constantIbLb1EESU_EEDaSP_SQ_EUlSP_E0_NS1_11comp_targetILNS1_3genE10ELNS1_11target_archE1200ELNS1_3gpuE4ELNS1_3repE0EEENS1_30default_config_static_selectorELNS0_4arch9wavefront6targetE1EEEvT1_
	.globl	_ZN7rocprim17ROCPRIM_400000_NS6detail17trampoline_kernelINS0_14default_configENS1_20scan_config_selectorIxEEZZNS1_9scan_implILNS1_25lookback_scan_determinismE0ELb0ELb0ES3_N6thrust23THRUST_200600_302600_NS6detail15normal_iteratorINS9_10device_ptrIxEEEESE_x9plus_mod3IxExEEDaPvRmT3_T4_T5_mT6_P12ihipStream_tbENKUlT_T0_E_clISt17integral_constantIbLb1EESU_EEDaSP_SQ_EUlSP_E0_NS1_11comp_targetILNS1_3genE10ELNS1_11target_archE1200ELNS1_3gpuE4ELNS1_3repE0EEENS1_30default_config_static_selectorELNS0_4arch9wavefront6targetE1EEEvT1_
	.p2align	8
	.type	_ZN7rocprim17ROCPRIM_400000_NS6detail17trampoline_kernelINS0_14default_configENS1_20scan_config_selectorIxEEZZNS1_9scan_implILNS1_25lookback_scan_determinismE0ELb0ELb0ES3_N6thrust23THRUST_200600_302600_NS6detail15normal_iteratorINS9_10device_ptrIxEEEESE_x9plus_mod3IxExEEDaPvRmT3_T4_T5_mT6_P12ihipStream_tbENKUlT_T0_E_clISt17integral_constantIbLb1EESU_EEDaSP_SQ_EUlSP_E0_NS1_11comp_targetILNS1_3genE10ELNS1_11target_archE1200ELNS1_3gpuE4ELNS1_3repE0EEENS1_30default_config_static_selectorELNS0_4arch9wavefront6targetE1EEEvT1_,@function
_ZN7rocprim17ROCPRIM_400000_NS6detail17trampoline_kernelINS0_14default_configENS1_20scan_config_selectorIxEEZZNS1_9scan_implILNS1_25lookback_scan_determinismE0ELb0ELb0ES3_N6thrust23THRUST_200600_302600_NS6detail15normal_iteratorINS9_10device_ptrIxEEEESE_x9plus_mod3IxExEEDaPvRmT3_T4_T5_mT6_P12ihipStream_tbENKUlT_T0_E_clISt17integral_constantIbLb1EESU_EEDaSP_SQ_EUlSP_E0_NS1_11comp_targetILNS1_3genE10ELNS1_11target_archE1200ELNS1_3gpuE4ELNS1_3repE0EEENS1_30default_config_static_selectorELNS0_4arch9wavefront6targetE1EEEvT1_: ; @_ZN7rocprim17ROCPRIM_400000_NS6detail17trampoline_kernelINS0_14default_configENS1_20scan_config_selectorIxEEZZNS1_9scan_implILNS1_25lookback_scan_determinismE0ELb0ELb0ES3_N6thrust23THRUST_200600_302600_NS6detail15normal_iteratorINS9_10device_ptrIxEEEESE_x9plus_mod3IxExEEDaPvRmT3_T4_T5_mT6_P12ihipStream_tbENKUlT_T0_E_clISt17integral_constantIbLb1EESU_EEDaSP_SQ_EUlSP_E0_NS1_11comp_targetILNS1_3genE10ELNS1_11target_archE1200ELNS1_3gpuE4ELNS1_3repE0EEENS1_30default_config_static_selectorELNS0_4arch9wavefront6targetE1EEEvT1_
; %bb.0:
	.section	.rodata,"a",@progbits
	.p2align	6, 0x0
	.amdhsa_kernel _ZN7rocprim17ROCPRIM_400000_NS6detail17trampoline_kernelINS0_14default_configENS1_20scan_config_selectorIxEEZZNS1_9scan_implILNS1_25lookback_scan_determinismE0ELb0ELb0ES3_N6thrust23THRUST_200600_302600_NS6detail15normal_iteratorINS9_10device_ptrIxEEEESE_x9plus_mod3IxExEEDaPvRmT3_T4_T5_mT6_P12ihipStream_tbENKUlT_T0_E_clISt17integral_constantIbLb1EESU_EEDaSP_SQ_EUlSP_E0_NS1_11comp_targetILNS1_3genE10ELNS1_11target_archE1200ELNS1_3gpuE4ELNS1_3repE0EEENS1_30default_config_static_selectorELNS0_4arch9wavefront6targetE1EEEvT1_
		.amdhsa_group_segment_fixed_size 0
		.amdhsa_private_segment_fixed_size 0
		.amdhsa_kernarg_size 40
		.amdhsa_user_sgpr_count 6
		.amdhsa_user_sgpr_private_segment_buffer 1
		.amdhsa_user_sgpr_dispatch_ptr 0
		.amdhsa_user_sgpr_queue_ptr 0
		.amdhsa_user_sgpr_kernarg_segment_ptr 1
		.amdhsa_user_sgpr_dispatch_id 0
		.amdhsa_user_sgpr_flat_scratch_init 0
		.amdhsa_user_sgpr_kernarg_preload_length 0
		.amdhsa_user_sgpr_kernarg_preload_offset 0
		.amdhsa_user_sgpr_private_segment_size 0
		.amdhsa_uses_dynamic_stack 0
		.amdhsa_system_sgpr_private_segment_wavefront_offset 0
		.amdhsa_system_sgpr_workgroup_id_x 1
		.amdhsa_system_sgpr_workgroup_id_y 0
		.amdhsa_system_sgpr_workgroup_id_z 0
		.amdhsa_system_sgpr_workgroup_info 0
		.amdhsa_system_vgpr_workitem_id 0
		.amdhsa_next_free_vgpr 1
		.amdhsa_next_free_sgpr 0
		.amdhsa_accum_offset 4
		.amdhsa_reserve_vcc 0
		.amdhsa_reserve_flat_scratch 0
		.amdhsa_float_round_mode_32 0
		.amdhsa_float_round_mode_16_64 0
		.amdhsa_float_denorm_mode_32 3
		.amdhsa_float_denorm_mode_16_64 3
		.amdhsa_dx10_clamp 1
		.amdhsa_ieee_mode 1
		.amdhsa_fp16_overflow 0
		.amdhsa_tg_split 0
		.amdhsa_exception_fp_ieee_invalid_op 0
		.amdhsa_exception_fp_denorm_src 0
		.amdhsa_exception_fp_ieee_div_zero 0
		.amdhsa_exception_fp_ieee_overflow 0
		.amdhsa_exception_fp_ieee_underflow 0
		.amdhsa_exception_fp_ieee_inexact 0
		.amdhsa_exception_int_div_zero 0
	.end_amdhsa_kernel
	.section	.text._ZN7rocprim17ROCPRIM_400000_NS6detail17trampoline_kernelINS0_14default_configENS1_20scan_config_selectorIxEEZZNS1_9scan_implILNS1_25lookback_scan_determinismE0ELb0ELb0ES3_N6thrust23THRUST_200600_302600_NS6detail15normal_iteratorINS9_10device_ptrIxEEEESE_x9plus_mod3IxExEEDaPvRmT3_T4_T5_mT6_P12ihipStream_tbENKUlT_T0_E_clISt17integral_constantIbLb1EESU_EEDaSP_SQ_EUlSP_E0_NS1_11comp_targetILNS1_3genE10ELNS1_11target_archE1200ELNS1_3gpuE4ELNS1_3repE0EEENS1_30default_config_static_selectorELNS0_4arch9wavefront6targetE1EEEvT1_,"axG",@progbits,_ZN7rocprim17ROCPRIM_400000_NS6detail17trampoline_kernelINS0_14default_configENS1_20scan_config_selectorIxEEZZNS1_9scan_implILNS1_25lookback_scan_determinismE0ELb0ELb0ES3_N6thrust23THRUST_200600_302600_NS6detail15normal_iteratorINS9_10device_ptrIxEEEESE_x9plus_mod3IxExEEDaPvRmT3_T4_T5_mT6_P12ihipStream_tbENKUlT_T0_E_clISt17integral_constantIbLb1EESU_EEDaSP_SQ_EUlSP_E0_NS1_11comp_targetILNS1_3genE10ELNS1_11target_archE1200ELNS1_3gpuE4ELNS1_3repE0EEENS1_30default_config_static_selectorELNS0_4arch9wavefront6targetE1EEEvT1_,comdat
.Lfunc_end6567:
	.size	_ZN7rocprim17ROCPRIM_400000_NS6detail17trampoline_kernelINS0_14default_configENS1_20scan_config_selectorIxEEZZNS1_9scan_implILNS1_25lookback_scan_determinismE0ELb0ELb0ES3_N6thrust23THRUST_200600_302600_NS6detail15normal_iteratorINS9_10device_ptrIxEEEESE_x9plus_mod3IxExEEDaPvRmT3_T4_T5_mT6_P12ihipStream_tbENKUlT_T0_E_clISt17integral_constantIbLb1EESU_EEDaSP_SQ_EUlSP_E0_NS1_11comp_targetILNS1_3genE10ELNS1_11target_archE1200ELNS1_3gpuE4ELNS1_3repE0EEENS1_30default_config_static_selectorELNS0_4arch9wavefront6targetE1EEEvT1_, .Lfunc_end6567-_ZN7rocprim17ROCPRIM_400000_NS6detail17trampoline_kernelINS0_14default_configENS1_20scan_config_selectorIxEEZZNS1_9scan_implILNS1_25lookback_scan_determinismE0ELb0ELb0ES3_N6thrust23THRUST_200600_302600_NS6detail15normal_iteratorINS9_10device_ptrIxEEEESE_x9plus_mod3IxExEEDaPvRmT3_T4_T5_mT6_P12ihipStream_tbENKUlT_T0_E_clISt17integral_constantIbLb1EESU_EEDaSP_SQ_EUlSP_E0_NS1_11comp_targetILNS1_3genE10ELNS1_11target_archE1200ELNS1_3gpuE4ELNS1_3repE0EEENS1_30default_config_static_selectorELNS0_4arch9wavefront6targetE1EEEvT1_
                                        ; -- End function
	.section	.AMDGPU.csdata,"",@progbits
; Kernel info:
; codeLenInByte = 0
; NumSgprs: 4
; NumVgprs: 0
; NumAgprs: 0
; TotalNumVgprs: 0
; ScratchSize: 0
; MemoryBound: 0
; FloatMode: 240
; IeeeMode: 1
; LDSByteSize: 0 bytes/workgroup (compile time only)
; SGPRBlocks: 0
; VGPRBlocks: 0
; NumSGPRsForWavesPerEU: 4
; NumVGPRsForWavesPerEU: 1
; AccumOffset: 4
; Occupancy: 8
; WaveLimiterHint : 0
; COMPUTE_PGM_RSRC2:SCRATCH_EN: 0
; COMPUTE_PGM_RSRC2:USER_SGPR: 6
; COMPUTE_PGM_RSRC2:TRAP_HANDLER: 0
; COMPUTE_PGM_RSRC2:TGID_X_EN: 1
; COMPUTE_PGM_RSRC2:TGID_Y_EN: 0
; COMPUTE_PGM_RSRC2:TGID_Z_EN: 0
; COMPUTE_PGM_RSRC2:TIDIG_COMP_CNT: 0
; COMPUTE_PGM_RSRC3_GFX90A:ACCUM_OFFSET: 0
; COMPUTE_PGM_RSRC3_GFX90A:TG_SPLIT: 0
	.section	.text._ZN7rocprim17ROCPRIM_400000_NS6detail17trampoline_kernelINS0_14default_configENS1_20scan_config_selectorIxEEZZNS1_9scan_implILNS1_25lookback_scan_determinismE0ELb0ELb0ES3_N6thrust23THRUST_200600_302600_NS6detail15normal_iteratorINS9_10device_ptrIxEEEESE_x9plus_mod3IxExEEDaPvRmT3_T4_T5_mT6_P12ihipStream_tbENKUlT_T0_E_clISt17integral_constantIbLb1EESU_EEDaSP_SQ_EUlSP_E0_NS1_11comp_targetILNS1_3genE9ELNS1_11target_archE1100ELNS1_3gpuE3ELNS1_3repE0EEENS1_30default_config_static_selectorELNS0_4arch9wavefront6targetE1EEEvT1_,"axG",@progbits,_ZN7rocprim17ROCPRIM_400000_NS6detail17trampoline_kernelINS0_14default_configENS1_20scan_config_selectorIxEEZZNS1_9scan_implILNS1_25lookback_scan_determinismE0ELb0ELb0ES3_N6thrust23THRUST_200600_302600_NS6detail15normal_iteratorINS9_10device_ptrIxEEEESE_x9plus_mod3IxExEEDaPvRmT3_T4_T5_mT6_P12ihipStream_tbENKUlT_T0_E_clISt17integral_constantIbLb1EESU_EEDaSP_SQ_EUlSP_E0_NS1_11comp_targetILNS1_3genE9ELNS1_11target_archE1100ELNS1_3gpuE3ELNS1_3repE0EEENS1_30default_config_static_selectorELNS0_4arch9wavefront6targetE1EEEvT1_,comdat
	.protected	_ZN7rocprim17ROCPRIM_400000_NS6detail17trampoline_kernelINS0_14default_configENS1_20scan_config_selectorIxEEZZNS1_9scan_implILNS1_25lookback_scan_determinismE0ELb0ELb0ES3_N6thrust23THRUST_200600_302600_NS6detail15normal_iteratorINS9_10device_ptrIxEEEESE_x9plus_mod3IxExEEDaPvRmT3_T4_T5_mT6_P12ihipStream_tbENKUlT_T0_E_clISt17integral_constantIbLb1EESU_EEDaSP_SQ_EUlSP_E0_NS1_11comp_targetILNS1_3genE9ELNS1_11target_archE1100ELNS1_3gpuE3ELNS1_3repE0EEENS1_30default_config_static_selectorELNS0_4arch9wavefront6targetE1EEEvT1_ ; -- Begin function _ZN7rocprim17ROCPRIM_400000_NS6detail17trampoline_kernelINS0_14default_configENS1_20scan_config_selectorIxEEZZNS1_9scan_implILNS1_25lookback_scan_determinismE0ELb0ELb0ES3_N6thrust23THRUST_200600_302600_NS6detail15normal_iteratorINS9_10device_ptrIxEEEESE_x9plus_mod3IxExEEDaPvRmT3_T4_T5_mT6_P12ihipStream_tbENKUlT_T0_E_clISt17integral_constantIbLb1EESU_EEDaSP_SQ_EUlSP_E0_NS1_11comp_targetILNS1_3genE9ELNS1_11target_archE1100ELNS1_3gpuE3ELNS1_3repE0EEENS1_30default_config_static_selectorELNS0_4arch9wavefront6targetE1EEEvT1_
	.globl	_ZN7rocprim17ROCPRIM_400000_NS6detail17trampoline_kernelINS0_14default_configENS1_20scan_config_selectorIxEEZZNS1_9scan_implILNS1_25lookback_scan_determinismE0ELb0ELb0ES3_N6thrust23THRUST_200600_302600_NS6detail15normal_iteratorINS9_10device_ptrIxEEEESE_x9plus_mod3IxExEEDaPvRmT3_T4_T5_mT6_P12ihipStream_tbENKUlT_T0_E_clISt17integral_constantIbLb1EESU_EEDaSP_SQ_EUlSP_E0_NS1_11comp_targetILNS1_3genE9ELNS1_11target_archE1100ELNS1_3gpuE3ELNS1_3repE0EEENS1_30default_config_static_selectorELNS0_4arch9wavefront6targetE1EEEvT1_
	.p2align	8
	.type	_ZN7rocprim17ROCPRIM_400000_NS6detail17trampoline_kernelINS0_14default_configENS1_20scan_config_selectorIxEEZZNS1_9scan_implILNS1_25lookback_scan_determinismE0ELb0ELb0ES3_N6thrust23THRUST_200600_302600_NS6detail15normal_iteratorINS9_10device_ptrIxEEEESE_x9plus_mod3IxExEEDaPvRmT3_T4_T5_mT6_P12ihipStream_tbENKUlT_T0_E_clISt17integral_constantIbLb1EESU_EEDaSP_SQ_EUlSP_E0_NS1_11comp_targetILNS1_3genE9ELNS1_11target_archE1100ELNS1_3gpuE3ELNS1_3repE0EEENS1_30default_config_static_selectorELNS0_4arch9wavefront6targetE1EEEvT1_,@function
_ZN7rocprim17ROCPRIM_400000_NS6detail17trampoline_kernelINS0_14default_configENS1_20scan_config_selectorIxEEZZNS1_9scan_implILNS1_25lookback_scan_determinismE0ELb0ELb0ES3_N6thrust23THRUST_200600_302600_NS6detail15normal_iteratorINS9_10device_ptrIxEEEESE_x9plus_mod3IxExEEDaPvRmT3_T4_T5_mT6_P12ihipStream_tbENKUlT_T0_E_clISt17integral_constantIbLb1EESU_EEDaSP_SQ_EUlSP_E0_NS1_11comp_targetILNS1_3genE9ELNS1_11target_archE1100ELNS1_3gpuE3ELNS1_3repE0EEENS1_30default_config_static_selectorELNS0_4arch9wavefront6targetE1EEEvT1_: ; @_ZN7rocprim17ROCPRIM_400000_NS6detail17trampoline_kernelINS0_14default_configENS1_20scan_config_selectorIxEEZZNS1_9scan_implILNS1_25lookback_scan_determinismE0ELb0ELb0ES3_N6thrust23THRUST_200600_302600_NS6detail15normal_iteratorINS9_10device_ptrIxEEEESE_x9plus_mod3IxExEEDaPvRmT3_T4_T5_mT6_P12ihipStream_tbENKUlT_T0_E_clISt17integral_constantIbLb1EESU_EEDaSP_SQ_EUlSP_E0_NS1_11comp_targetILNS1_3genE9ELNS1_11target_archE1100ELNS1_3gpuE3ELNS1_3repE0EEENS1_30default_config_static_selectorELNS0_4arch9wavefront6targetE1EEEvT1_
; %bb.0:
	.section	.rodata,"a",@progbits
	.p2align	6, 0x0
	.amdhsa_kernel _ZN7rocprim17ROCPRIM_400000_NS6detail17trampoline_kernelINS0_14default_configENS1_20scan_config_selectorIxEEZZNS1_9scan_implILNS1_25lookback_scan_determinismE0ELb0ELb0ES3_N6thrust23THRUST_200600_302600_NS6detail15normal_iteratorINS9_10device_ptrIxEEEESE_x9plus_mod3IxExEEDaPvRmT3_T4_T5_mT6_P12ihipStream_tbENKUlT_T0_E_clISt17integral_constantIbLb1EESU_EEDaSP_SQ_EUlSP_E0_NS1_11comp_targetILNS1_3genE9ELNS1_11target_archE1100ELNS1_3gpuE3ELNS1_3repE0EEENS1_30default_config_static_selectorELNS0_4arch9wavefront6targetE1EEEvT1_
		.amdhsa_group_segment_fixed_size 0
		.amdhsa_private_segment_fixed_size 0
		.amdhsa_kernarg_size 40
		.amdhsa_user_sgpr_count 6
		.amdhsa_user_sgpr_private_segment_buffer 1
		.amdhsa_user_sgpr_dispatch_ptr 0
		.amdhsa_user_sgpr_queue_ptr 0
		.amdhsa_user_sgpr_kernarg_segment_ptr 1
		.amdhsa_user_sgpr_dispatch_id 0
		.amdhsa_user_sgpr_flat_scratch_init 0
		.amdhsa_user_sgpr_kernarg_preload_length 0
		.amdhsa_user_sgpr_kernarg_preload_offset 0
		.amdhsa_user_sgpr_private_segment_size 0
		.amdhsa_uses_dynamic_stack 0
		.amdhsa_system_sgpr_private_segment_wavefront_offset 0
		.amdhsa_system_sgpr_workgroup_id_x 1
		.amdhsa_system_sgpr_workgroup_id_y 0
		.amdhsa_system_sgpr_workgroup_id_z 0
		.amdhsa_system_sgpr_workgroup_info 0
		.amdhsa_system_vgpr_workitem_id 0
		.amdhsa_next_free_vgpr 1
		.amdhsa_next_free_sgpr 0
		.amdhsa_accum_offset 4
		.amdhsa_reserve_vcc 0
		.amdhsa_reserve_flat_scratch 0
		.amdhsa_float_round_mode_32 0
		.amdhsa_float_round_mode_16_64 0
		.amdhsa_float_denorm_mode_32 3
		.amdhsa_float_denorm_mode_16_64 3
		.amdhsa_dx10_clamp 1
		.amdhsa_ieee_mode 1
		.amdhsa_fp16_overflow 0
		.amdhsa_tg_split 0
		.amdhsa_exception_fp_ieee_invalid_op 0
		.amdhsa_exception_fp_denorm_src 0
		.amdhsa_exception_fp_ieee_div_zero 0
		.amdhsa_exception_fp_ieee_overflow 0
		.amdhsa_exception_fp_ieee_underflow 0
		.amdhsa_exception_fp_ieee_inexact 0
		.amdhsa_exception_int_div_zero 0
	.end_amdhsa_kernel
	.section	.text._ZN7rocprim17ROCPRIM_400000_NS6detail17trampoline_kernelINS0_14default_configENS1_20scan_config_selectorIxEEZZNS1_9scan_implILNS1_25lookback_scan_determinismE0ELb0ELb0ES3_N6thrust23THRUST_200600_302600_NS6detail15normal_iteratorINS9_10device_ptrIxEEEESE_x9plus_mod3IxExEEDaPvRmT3_T4_T5_mT6_P12ihipStream_tbENKUlT_T0_E_clISt17integral_constantIbLb1EESU_EEDaSP_SQ_EUlSP_E0_NS1_11comp_targetILNS1_3genE9ELNS1_11target_archE1100ELNS1_3gpuE3ELNS1_3repE0EEENS1_30default_config_static_selectorELNS0_4arch9wavefront6targetE1EEEvT1_,"axG",@progbits,_ZN7rocprim17ROCPRIM_400000_NS6detail17trampoline_kernelINS0_14default_configENS1_20scan_config_selectorIxEEZZNS1_9scan_implILNS1_25lookback_scan_determinismE0ELb0ELb0ES3_N6thrust23THRUST_200600_302600_NS6detail15normal_iteratorINS9_10device_ptrIxEEEESE_x9plus_mod3IxExEEDaPvRmT3_T4_T5_mT6_P12ihipStream_tbENKUlT_T0_E_clISt17integral_constantIbLb1EESU_EEDaSP_SQ_EUlSP_E0_NS1_11comp_targetILNS1_3genE9ELNS1_11target_archE1100ELNS1_3gpuE3ELNS1_3repE0EEENS1_30default_config_static_selectorELNS0_4arch9wavefront6targetE1EEEvT1_,comdat
.Lfunc_end6568:
	.size	_ZN7rocprim17ROCPRIM_400000_NS6detail17trampoline_kernelINS0_14default_configENS1_20scan_config_selectorIxEEZZNS1_9scan_implILNS1_25lookback_scan_determinismE0ELb0ELb0ES3_N6thrust23THRUST_200600_302600_NS6detail15normal_iteratorINS9_10device_ptrIxEEEESE_x9plus_mod3IxExEEDaPvRmT3_T4_T5_mT6_P12ihipStream_tbENKUlT_T0_E_clISt17integral_constantIbLb1EESU_EEDaSP_SQ_EUlSP_E0_NS1_11comp_targetILNS1_3genE9ELNS1_11target_archE1100ELNS1_3gpuE3ELNS1_3repE0EEENS1_30default_config_static_selectorELNS0_4arch9wavefront6targetE1EEEvT1_, .Lfunc_end6568-_ZN7rocprim17ROCPRIM_400000_NS6detail17trampoline_kernelINS0_14default_configENS1_20scan_config_selectorIxEEZZNS1_9scan_implILNS1_25lookback_scan_determinismE0ELb0ELb0ES3_N6thrust23THRUST_200600_302600_NS6detail15normal_iteratorINS9_10device_ptrIxEEEESE_x9plus_mod3IxExEEDaPvRmT3_T4_T5_mT6_P12ihipStream_tbENKUlT_T0_E_clISt17integral_constantIbLb1EESU_EEDaSP_SQ_EUlSP_E0_NS1_11comp_targetILNS1_3genE9ELNS1_11target_archE1100ELNS1_3gpuE3ELNS1_3repE0EEENS1_30default_config_static_selectorELNS0_4arch9wavefront6targetE1EEEvT1_
                                        ; -- End function
	.section	.AMDGPU.csdata,"",@progbits
; Kernel info:
; codeLenInByte = 0
; NumSgprs: 4
; NumVgprs: 0
; NumAgprs: 0
; TotalNumVgprs: 0
; ScratchSize: 0
; MemoryBound: 0
; FloatMode: 240
; IeeeMode: 1
; LDSByteSize: 0 bytes/workgroup (compile time only)
; SGPRBlocks: 0
; VGPRBlocks: 0
; NumSGPRsForWavesPerEU: 4
; NumVGPRsForWavesPerEU: 1
; AccumOffset: 4
; Occupancy: 8
; WaveLimiterHint : 0
; COMPUTE_PGM_RSRC2:SCRATCH_EN: 0
; COMPUTE_PGM_RSRC2:USER_SGPR: 6
; COMPUTE_PGM_RSRC2:TRAP_HANDLER: 0
; COMPUTE_PGM_RSRC2:TGID_X_EN: 1
; COMPUTE_PGM_RSRC2:TGID_Y_EN: 0
; COMPUTE_PGM_RSRC2:TGID_Z_EN: 0
; COMPUTE_PGM_RSRC2:TIDIG_COMP_CNT: 0
; COMPUTE_PGM_RSRC3_GFX90A:ACCUM_OFFSET: 0
; COMPUTE_PGM_RSRC3_GFX90A:TG_SPLIT: 0
	.section	.text._ZN7rocprim17ROCPRIM_400000_NS6detail17trampoline_kernelINS0_14default_configENS1_20scan_config_selectorIxEEZZNS1_9scan_implILNS1_25lookback_scan_determinismE0ELb0ELb0ES3_N6thrust23THRUST_200600_302600_NS6detail15normal_iteratorINS9_10device_ptrIxEEEESE_x9plus_mod3IxExEEDaPvRmT3_T4_T5_mT6_P12ihipStream_tbENKUlT_T0_E_clISt17integral_constantIbLb1EESU_EEDaSP_SQ_EUlSP_E0_NS1_11comp_targetILNS1_3genE8ELNS1_11target_archE1030ELNS1_3gpuE2ELNS1_3repE0EEENS1_30default_config_static_selectorELNS0_4arch9wavefront6targetE1EEEvT1_,"axG",@progbits,_ZN7rocprim17ROCPRIM_400000_NS6detail17trampoline_kernelINS0_14default_configENS1_20scan_config_selectorIxEEZZNS1_9scan_implILNS1_25lookback_scan_determinismE0ELb0ELb0ES3_N6thrust23THRUST_200600_302600_NS6detail15normal_iteratorINS9_10device_ptrIxEEEESE_x9plus_mod3IxExEEDaPvRmT3_T4_T5_mT6_P12ihipStream_tbENKUlT_T0_E_clISt17integral_constantIbLb1EESU_EEDaSP_SQ_EUlSP_E0_NS1_11comp_targetILNS1_3genE8ELNS1_11target_archE1030ELNS1_3gpuE2ELNS1_3repE0EEENS1_30default_config_static_selectorELNS0_4arch9wavefront6targetE1EEEvT1_,comdat
	.protected	_ZN7rocprim17ROCPRIM_400000_NS6detail17trampoline_kernelINS0_14default_configENS1_20scan_config_selectorIxEEZZNS1_9scan_implILNS1_25lookback_scan_determinismE0ELb0ELb0ES3_N6thrust23THRUST_200600_302600_NS6detail15normal_iteratorINS9_10device_ptrIxEEEESE_x9plus_mod3IxExEEDaPvRmT3_T4_T5_mT6_P12ihipStream_tbENKUlT_T0_E_clISt17integral_constantIbLb1EESU_EEDaSP_SQ_EUlSP_E0_NS1_11comp_targetILNS1_3genE8ELNS1_11target_archE1030ELNS1_3gpuE2ELNS1_3repE0EEENS1_30default_config_static_selectorELNS0_4arch9wavefront6targetE1EEEvT1_ ; -- Begin function _ZN7rocprim17ROCPRIM_400000_NS6detail17trampoline_kernelINS0_14default_configENS1_20scan_config_selectorIxEEZZNS1_9scan_implILNS1_25lookback_scan_determinismE0ELb0ELb0ES3_N6thrust23THRUST_200600_302600_NS6detail15normal_iteratorINS9_10device_ptrIxEEEESE_x9plus_mod3IxExEEDaPvRmT3_T4_T5_mT6_P12ihipStream_tbENKUlT_T0_E_clISt17integral_constantIbLb1EESU_EEDaSP_SQ_EUlSP_E0_NS1_11comp_targetILNS1_3genE8ELNS1_11target_archE1030ELNS1_3gpuE2ELNS1_3repE0EEENS1_30default_config_static_selectorELNS0_4arch9wavefront6targetE1EEEvT1_
	.globl	_ZN7rocprim17ROCPRIM_400000_NS6detail17trampoline_kernelINS0_14default_configENS1_20scan_config_selectorIxEEZZNS1_9scan_implILNS1_25lookback_scan_determinismE0ELb0ELb0ES3_N6thrust23THRUST_200600_302600_NS6detail15normal_iteratorINS9_10device_ptrIxEEEESE_x9plus_mod3IxExEEDaPvRmT3_T4_T5_mT6_P12ihipStream_tbENKUlT_T0_E_clISt17integral_constantIbLb1EESU_EEDaSP_SQ_EUlSP_E0_NS1_11comp_targetILNS1_3genE8ELNS1_11target_archE1030ELNS1_3gpuE2ELNS1_3repE0EEENS1_30default_config_static_selectorELNS0_4arch9wavefront6targetE1EEEvT1_
	.p2align	8
	.type	_ZN7rocprim17ROCPRIM_400000_NS6detail17trampoline_kernelINS0_14default_configENS1_20scan_config_selectorIxEEZZNS1_9scan_implILNS1_25lookback_scan_determinismE0ELb0ELb0ES3_N6thrust23THRUST_200600_302600_NS6detail15normal_iteratorINS9_10device_ptrIxEEEESE_x9plus_mod3IxExEEDaPvRmT3_T4_T5_mT6_P12ihipStream_tbENKUlT_T0_E_clISt17integral_constantIbLb1EESU_EEDaSP_SQ_EUlSP_E0_NS1_11comp_targetILNS1_3genE8ELNS1_11target_archE1030ELNS1_3gpuE2ELNS1_3repE0EEENS1_30default_config_static_selectorELNS0_4arch9wavefront6targetE1EEEvT1_,@function
_ZN7rocprim17ROCPRIM_400000_NS6detail17trampoline_kernelINS0_14default_configENS1_20scan_config_selectorIxEEZZNS1_9scan_implILNS1_25lookback_scan_determinismE0ELb0ELb0ES3_N6thrust23THRUST_200600_302600_NS6detail15normal_iteratorINS9_10device_ptrIxEEEESE_x9plus_mod3IxExEEDaPvRmT3_T4_T5_mT6_P12ihipStream_tbENKUlT_T0_E_clISt17integral_constantIbLb1EESU_EEDaSP_SQ_EUlSP_E0_NS1_11comp_targetILNS1_3genE8ELNS1_11target_archE1030ELNS1_3gpuE2ELNS1_3repE0EEENS1_30default_config_static_selectorELNS0_4arch9wavefront6targetE1EEEvT1_: ; @_ZN7rocprim17ROCPRIM_400000_NS6detail17trampoline_kernelINS0_14default_configENS1_20scan_config_selectorIxEEZZNS1_9scan_implILNS1_25lookback_scan_determinismE0ELb0ELb0ES3_N6thrust23THRUST_200600_302600_NS6detail15normal_iteratorINS9_10device_ptrIxEEEESE_x9plus_mod3IxExEEDaPvRmT3_T4_T5_mT6_P12ihipStream_tbENKUlT_T0_E_clISt17integral_constantIbLb1EESU_EEDaSP_SQ_EUlSP_E0_NS1_11comp_targetILNS1_3genE8ELNS1_11target_archE1030ELNS1_3gpuE2ELNS1_3repE0EEENS1_30default_config_static_selectorELNS0_4arch9wavefront6targetE1EEEvT1_
; %bb.0:
	.section	.rodata,"a",@progbits
	.p2align	6, 0x0
	.amdhsa_kernel _ZN7rocprim17ROCPRIM_400000_NS6detail17trampoline_kernelINS0_14default_configENS1_20scan_config_selectorIxEEZZNS1_9scan_implILNS1_25lookback_scan_determinismE0ELb0ELb0ES3_N6thrust23THRUST_200600_302600_NS6detail15normal_iteratorINS9_10device_ptrIxEEEESE_x9plus_mod3IxExEEDaPvRmT3_T4_T5_mT6_P12ihipStream_tbENKUlT_T0_E_clISt17integral_constantIbLb1EESU_EEDaSP_SQ_EUlSP_E0_NS1_11comp_targetILNS1_3genE8ELNS1_11target_archE1030ELNS1_3gpuE2ELNS1_3repE0EEENS1_30default_config_static_selectorELNS0_4arch9wavefront6targetE1EEEvT1_
		.amdhsa_group_segment_fixed_size 0
		.amdhsa_private_segment_fixed_size 0
		.amdhsa_kernarg_size 40
		.amdhsa_user_sgpr_count 6
		.amdhsa_user_sgpr_private_segment_buffer 1
		.amdhsa_user_sgpr_dispatch_ptr 0
		.amdhsa_user_sgpr_queue_ptr 0
		.amdhsa_user_sgpr_kernarg_segment_ptr 1
		.amdhsa_user_sgpr_dispatch_id 0
		.amdhsa_user_sgpr_flat_scratch_init 0
		.amdhsa_user_sgpr_kernarg_preload_length 0
		.amdhsa_user_sgpr_kernarg_preload_offset 0
		.amdhsa_user_sgpr_private_segment_size 0
		.amdhsa_uses_dynamic_stack 0
		.amdhsa_system_sgpr_private_segment_wavefront_offset 0
		.amdhsa_system_sgpr_workgroup_id_x 1
		.amdhsa_system_sgpr_workgroup_id_y 0
		.amdhsa_system_sgpr_workgroup_id_z 0
		.amdhsa_system_sgpr_workgroup_info 0
		.amdhsa_system_vgpr_workitem_id 0
		.amdhsa_next_free_vgpr 1
		.amdhsa_next_free_sgpr 0
		.amdhsa_accum_offset 4
		.amdhsa_reserve_vcc 0
		.amdhsa_reserve_flat_scratch 0
		.amdhsa_float_round_mode_32 0
		.amdhsa_float_round_mode_16_64 0
		.amdhsa_float_denorm_mode_32 3
		.amdhsa_float_denorm_mode_16_64 3
		.amdhsa_dx10_clamp 1
		.amdhsa_ieee_mode 1
		.amdhsa_fp16_overflow 0
		.amdhsa_tg_split 0
		.amdhsa_exception_fp_ieee_invalid_op 0
		.amdhsa_exception_fp_denorm_src 0
		.amdhsa_exception_fp_ieee_div_zero 0
		.amdhsa_exception_fp_ieee_overflow 0
		.amdhsa_exception_fp_ieee_underflow 0
		.amdhsa_exception_fp_ieee_inexact 0
		.amdhsa_exception_int_div_zero 0
	.end_amdhsa_kernel
	.section	.text._ZN7rocprim17ROCPRIM_400000_NS6detail17trampoline_kernelINS0_14default_configENS1_20scan_config_selectorIxEEZZNS1_9scan_implILNS1_25lookback_scan_determinismE0ELb0ELb0ES3_N6thrust23THRUST_200600_302600_NS6detail15normal_iteratorINS9_10device_ptrIxEEEESE_x9plus_mod3IxExEEDaPvRmT3_T4_T5_mT6_P12ihipStream_tbENKUlT_T0_E_clISt17integral_constantIbLb1EESU_EEDaSP_SQ_EUlSP_E0_NS1_11comp_targetILNS1_3genE8ELNS1_11target_archE1030ELNS1_3gpuE2ELNS1_3repE0EEENS1_30default_config_static_selectorELNS0_4arch9wavefront6targetE1EEEvT1_,"axG",@progbits,_ZN7rocprim17ROCPRIM_400000_NS6detail17trampoline_kernelINS0_14default_configENS1_20scan_config_selectorIxEEZZNS1_9scan_implILNS1_25lookback_scan_determinismE0ELb0ELb0ES3_N6thrust23THRUST_200600_302600_NS6detail15normal_iteratorINS9_10device_ptrIxEEEESE_x9plus_mod3IxExEEDaPvRmT3_T4_T5_mT6_P12ihipStream_tbENKUlT_T0_E_clISt17integral_constantIbLb1EESU_EEDaSP_SQ_EUlSP_E0_NS1_11comp_targetILNS1_3genE8ELNS1_11target_archE1030ELNS1_3gpuE2ELNS1_3repE0EEENS1_30default_config_static_selectorELNS0_4arch9wavefront6targetE1EEEvT1_,comdat
.Lfunc_end6569:
	.size	_ZN7rocprim17ROCPRIM_400000_NS6detail17trampoline_kernelINS0_14default_configENS1_20scan_config_selectorIxEEZZNS1_9scan_implILNS1_25lookback_scan_determinismE0ELb0ELb0ES3_N6thrust23THRUST_200600_302600_NS6detail15normal_iteratorINS9_10device_ptrIxEEEESE_x9plus_mod3IxExEEDaPvRmT3_T4_T5_mT6_P12ihipStream_tbENKUlT_T0_E_clISt17integral_constantIbLb1EESU_EEDaSP_SQ_EUlSP_E0_NS1_11comp_targetILNS1_3genE8ELNS1_11target_archE1030ELNS1_3gpuE2ELNS1_3repE0EEENS1_30default_config_static_selectorELNS0_4arch9wavefront6targetE1EEEvT1_, .Lfunc_end6569-_ZN7rocprim17ROCPRIM_400000_NS6detail17trampoline_kernelINS0_14default_configENS1_20scan_config_selectorIxEEZZNS1_9scan_implILNS1_25lookback_scan_determinismE0ELb0ELb0ES3_N6thrust23THRUST_200600_302600_NS6detail15normal_iteratorINS9_10device_ptrIxEEEESE_x9plus_mod3IxExEEDaPvRmT3_T4_T5_mT6_P12ihipStream_tbENKUlT_T0_E_clISt17integral_constantIbLb1EESU_EEDaSP_SQ_EUlSP_E0_NS1_11comp_targetILNS1_3genE8ELNS1_11target_archE1030ELNS1_3gpuE2ELNS1_3repE0EEENS1_30default_config_static_selectorELNS0_4arch9wavefront6targetE1EEEvT1_
                                        ; -- End function
	.section	.AMDGPU.csdata,"",@progbits
; Kernel info:
; codeLenInByte = 0
; NumSgprs: 4
; NumVgprs: 0
; NumAgprs: 0
; TotalNumVgprs: 0
; ScratchSize: 0
; MemoryBound: 0
; FloatMode: 240
; IeeeMode: 1
; LDSByteSize: 0 bytes/workgroup (compile time only)
; SGPRBlocks: 0
; VGPRBlocks: 0
; NumSGPRsForWavesPerEU: 4
; NumVGPRsForWavesPerEU: 1
; AccumOffset: 4
; Occupancy: 8
; WaveLimiterHint : 0
; COMPUTE_PGM_RSRC2:SCRATCH_EN: 0
; COMPUTE_PGM_RSRC2:USER_SGPR: 6
; COMPUTE_PGM_RSRC2:TRAP_HANDLER: 0
; COMPUTE_PGM_RSRC2:TGID_X_EN: 1
; COMPUTE_PGM_RSRC2:TGID_Y_EN: 0
; COMPUTE_PGM_RSRC2:TGID_Z_EN: 0
; COMPUTE_PGM_RSRC2:TIDIG_COMP_CNT: 0
; COMPUTE_PGM_RSRC3_GFX90A:ACCUM_OFFSET: 0
; COMPUTE_PGM_RSRC3_GFX90A:TG_SPLIT: 0
	.section	.text._ZN7rocprim17ROCPRIM_400000_NS6detail17trampoline_kernelINS0_14default_configENS1_20scan_config_selectorIxEEZZNS1_9scan_implILNS1_25lookback_scan_determinismE0ELb0ELb0ES3_N6thrust23THRUST_200600_302600_NS6detail15normal_iteratorINS9_10device_ptrIxEEEESE_x9plus_mod3IxExEEDaPvRmT3_T4_T5_mT6_P12ihipStream_tbENKUlT_T0_E_clISt17integral_constantIbLb1EEST_IbLb0EEEEDaSP_SQ_EUlSP_E_NS1_11comp_targetILNS1_3genE0ELNS1_11target_archE4294967295ELNS1_3gpuE0ELNS1_3repE0EEENS1_30default_config_static_selectorELNS0_4arch9wavefront6targetE1EEEvT1_,"axG",@progbits,_ZN7rocprim17ROCPRIM_400000_NS6detail17trampoline_kernelINS0_14default_configENS1_20scan_config_selectorIxEEZZNS1_9scan_implILNS1_25lookback_scan_determinismE0ELb0ELb0ES3_N6thrust23THRUST_200600_302600_NS6detail15normal_iteratorINS9_10device_ptrIxEEEESE_x9plus_mod3IxExEEDaPvRmT3_T4_T5_mT6_P12ihipStream_tbENKUlT_T0_E_clISt17integral_constantIbLb1EEST_IbLb0EEEEDaSP_SQ_EUlSP_E_NS1_11comp_targetILNS1_3genE0ELNS1_11target_archE4294967295ELNS1_3gpuE0ELNS1_3repE0EEENS1_30default_config_static_selectorELNS0_4arch9wavefront6targetE1EEEvT1_,comdat
	.protected	_ZN7rocprim17ROCPRIM_400000_NS6detail17trampoline_kernelINS0_14default_configENS1_20scan_config_selectorIxEEZZNS1_9scan_implILNS1_25lookback_scan_determinismE0ELb0ELb0ES3_N6thrust23THRUST_200600_302600_NS6detail15normal_iteratorINS9_10device_ptrIxEEEESE_x9plus_mod3IxExEEDaPvRmT3_T4_T5_mT6_P12ihipStream_tbENKUlT_T0_E_clISt17integral_constantIbLb1EEST_IbLb0EEEEDaSP_SQ_EUlSP_E_NS1_11comp_targetILNS1_3genE0ELNS1_11target_archE4294967295ELNS1_3gpuE0ELNS1_3repE0EEENS1_30default_config_static_selectorELNS0_4arch9wavefront6targetE1EEEvT1_ ; -- Begin function _ZN7rocprim17ROCPRIM_400000_NS6detail17trampoline_kernelINS0_14default_configENS1_20scan_config_selectorIxEEZZNS1_9scan_implILNS1_25lookback_scan_determinismE0ELb0ELb0ES3_N6thrust23THRUST_200600_302600_NS6detail15normal_iteratorINS9_10device_ptrIxEEEESE_x9plus_mod3IxExEEDaPvRmT3_T4_T5_mT6_P12ihipStream_tbENKUlT_T0_E_clISt17integral_constantIbLb1EEST_IbLb0EEEEDaSP_SQ_EUlSP_E_NS1_11comp_targetILNS1_3genE0ELNS1_11target_archE4294967295ELNS1_3gpuE0ELNS1_3repE0EEENS1_30default_config_static_selectorELNS0_4arch9wavefront6targetE1EEEvT1_
	.globl	_ZN7rocprim17ROCPRIM_400000_NS6detail17trampoline_kernelINS0_14default_configENS1_20scan_config_selectorIxEEZZNS1_9scan_implILNS1_25lookback_scan_determinismE0ELb0ELb0ES3_N6thrust23THRUST_200600_302600_NS6detail15normal_iteratorINS9_10device_ptrIxEEEESE_x9plus_mod3IxExEEDaPvRmT3_T4_T5_mT6_P12ihipStream_tbENKUlT_T0_E_clISt17integral_constantIbLb1EEST_IbLb0EEEEDaSP_SQ_EUlSP_E_NS1_11comp_targetILNS1_3genE0ELNS1_11target_archE4294967295ELNS1_3gpuE0ELNS1_3repE0EEENS1_30default_config_static_selectorELNS0_4arch9wavefront6targetE1EEEvT1_
	.p2align	8
	.type	_ZN7rocprim17ROCPRIM_400000_NS6detail17trampoline_kernelINS0_14default_configENS1_20scan_config_selectorIxEEZZNS1_9scan_implILNS1_25lookback_scan_determinismE0ELb0ELb0ES3_N6thrust23THRUST_200600_302600_NS6detail15normal_iteratorINS9_10device_ptrIxEEEESE_x9plus_mod3IxExEEDaPvRmT3_T4_T5_mT6_P12ihipStream_tbENKUlT_T0_E_clISt17integral_constantIbLb1EEST_IbLb0EEEEDaSP_SQ_EUlSP_E_NS1_11comp_targetILNS1_3genE0ELNS1_11target_archE4294967295ELNS1_3gpuE0ELNS1_3repE0EEENS1_30default_config_static_selectorELNS0_4arch9wavefront6targetE1EEEvT1_,@function
_ZN7rocprim17ROCPRIM_400000_NS6detail17trampoline_kernelINS0_14default_configENS1_20scan_config_selectorIxEEZZNS1_9scan_implILNS1_25lookback_scan_determinismE0ELb0ELb0ES3_N6thrust23THRUST_200600_302600_NS6detail15normal_iteratorINS9_10device_ptrIxEEEESE_x9plus_mod3IxExEEDaPvRmT3_T4_T5_mT6_P12ihipStream_tbENKUlT_T0_E_clISt17integral_constantIbLb1EEST_IbLb0EEEEDaSP_SQ_EUlSP_E_NS1_11comp_targetILNS1_3genE0ELNS1_11target_archE4294967295ELNS1_3gpuE0ELNS1_3repE0EEENS1_30default_config_static_selectorELNS0_4arch9wavefront6targetE1EEEvT1_: ; @_ZN7rocprim17ROCPRIM_400000_NS6detail17trampoline_kernelINS0_14default_configENS1_20scan_config_selectorIxEEZZNS1_9scan_implILNS1_25lookback_scan_determinismE0ELb0ELb0ES3_N6thrust23THRUST_200600_302600_NS6detail15normal_iteratorINS9_10device_ptrIxEEEESE_x9plus_mod3IxExEEDaPvRmT3_T4_T5_mT6_P12ihipStream_tbENKUlT_T0_E_clISt17integral_constantIbLb1EEST_IbLb0EEEEDaSP_SQ_EUlSP_E_NS1_11comp_targetILNS1_3genE0ELNS1_11target_archE4294967295ELNS1_3gpuE0ELNS1_3repE0EEENS1_30default_config_static_selectorELNS0_4arch9wavefront6targetE1EEEvT1_
; %bb.0:
	.section	.rodata,"a",@progbits
	.p2align	6, 0x0
	.amdhsa_kernel _ZN7rocprim17ROCPRIM_400000_NS6detail17trampoline_kernelINS0_14default_configENS1_20scan_config_selectorIxEEZZNS1_9scan_implILNS1_25lookback_scan_determinismE0ELb0ELb0ES3_N6thrust23THRUST_200600_302600_NS6detail15normal_iteratorINS9_10device_ptrIxEEEESE_x9plus_mod3IxExEEDaPvRmT3_T4_T5_mT6_P12ihipStream_tbENKUlT_T0_E_clISt17integral_constantIbLb1EEST_IbLb0EEEEDaSP_SQ_EUlSP_E_NS1_11comp_targetILNS1_3genE0ELNS1_11target_archE4294967295ELNS1_3gpuE0ELNS1_3repE0EEENS1_30default_config_static_selectorELNS0_4arch9wavefront6targetE1EEEvT1_
		.amdhsa_group_segment_fixed_size 0
		.amdhsa_private_segment_fixed_size 0
		.amdhsa_kernarg_size 104
		.amdhsa_user_sgpr_count 6
		.amdhsa_user_sgpr_private_segment_buffer 1
		.amdhsa_user_sgpr_dispatch_ptr 0
		.amdhsa_user_sgpr_queue_ptr 0
		.amdhsa_user_sgpr_kernarg_segment_ptr 1
		.amdhsa_user_sgpr_dispatch_id 0
		.amdhsa_user_sgpr_flat_scratch_init 0
		.amdhsa_user_sgpr_kernarg_preload_length 0
		.amdhsa_user_sgpr_kernarg_preload_offset 0
		.amdhsa_user_sgpr_private_segment_size 0
		.amdhsa_uses_dynamic_stack 0
		.amdhsa_system_sgpr_private_segment_wavefront_offset 0
		.amdhsa_system_sgpr_workgroup_id_x 1
		.amdhsa_system_sgpr_workgroup_id_y 0
		.amdhsa_system_sgpr_workgroup_id_z 0
		.amdhsa_system_sgpr_workgroup_info 0
		.amdhsa_system_vgpr_workitem_id 0
		.amdhsa_next_free_vgpr 1
		.amdhsa_next_free_sgpr 0
		.amdhsa_accum_offset 4
		.amdhsa_reserve_vcc 0
		.amdhsa_reserve_flat_scratch 0
		.amdhsa_float_round_mode_32 0
		.amdhsa_float_round_mode_16_64 0
		.amdhsa_float_denorm_mode_32 3
		.amdhsa_float_denorm_mode_16_64 3
		.amdhsa_dx10_clamp 1
		.amdhsa_ieee_mode 1
		.amdhsa_fp16_overflow 0
		.amdhsa_tg_split 0
		.amdhsa_exception_fp_ieee_invalid_op 0
		.amdhsa_exception_fp_denorm_src 0
		.amdhsa_exception_fp_ieee_div_zero 0
		.amdhsa_exception_fp_ieee_overflow 0
		.amdhsa_exception_fp_ieee_underflow 0
		.amdhsa_exception_fp_ieee_inexact 0
		.amdhsa_exception_int_div_zero 0
	.end_amdhsa_kernel
	.section	.text._ZN7rocprim17ROCPRIM_400000_NS6detail17trampoline_kernelINS0_14default_configENS1_20scan_config_selectorIxEEZZNS1_9scan_implILNS1_25lookback_scan_determinismE0ELb0ELb0ES3_N6thrust23THRUST_200600_302600_NS6detail15normal_iteratorINS9_10device_ptrIxEEEESE_x9plus_mod3IxExEEDaPvRmT3_T4_T5_mT6_P12ihipStream_tbENKUlT_T0_E_clISt17integral_constantIbLb1EEST_IbLb0EEEEDaSP_SQ_EUlSP_E_NS1_11comp_targetILNS1_3genE0ELNS1_11target_archE4294967295ELNS1_3gpuE0ELNS1_3repE0EEENS1_30default_config_static_selectorELNS0_4arch9wavefront6targetE1EEEvT1_,"axG",@progbits,_ZN7rocprim17ROCPRIM_400000_NS6detail17trampoline_kernelINS0_14default_configENS1_20scan_config_selectorIxEEZZNS1_9scan_implILNS1_25lookback_scan_determinismE0ELb0ELb0ES3_N6thrust23THRUST_200600_302600_NS6detail15normal_iteratorINS9_10device_ptrIxEEEESE_x9plus_mod3IxExEEDaPvRmT3_T4_T5_mT6_P12ihipStream_tbENKUlT_T0_E_clISt17integral_constantIbLb1EEST_IbLb0EEEEDaSP_SQ_EUlSP_E_NS1_11comp_targetILNS1_3genE0ELNS1_11target_archE4294967295ELNS1_3gpuE0ELNS1_3repE0EEENS1_30default_config_static_selectorELNS0_4arch9wavefront6targetE1EEEvT1_,comdat
.Lfunc_end6570:
	.size	_ZN7rocprim17ROCPRIM_400000_NS6detail17trampoline_kernelINS0_14default_configENS1_20scan_config_selectorIxEEZZNS1_9scan_implILNS1_25lookback_scan_determinismE0ELb0ELb0ES3_N6thrust23THRUST_200600_302600_NS6detail15normal_iteratorINS9_10device_ptrIxEEEESE_x9plus_mod3IxExEEDaPvRmT3_T4_T5_mT6_P12ihipStream_tbENKUlT_T0_E_clISt17integral_constantIbLb1EEST_IbLb0EEEEDaSP_SQ_EUlSP_E_NS1_11comp_targetILNS1_3genE0ELNS1_11target_archE4294967295ELNS1_3gpuE0ELNS1_3repE0EEENS1_30default_config_static_selectorELNS0_4arch9wavefront6targetE1EEEvT1_, .Lfunc_end6570-_ZN7rocprim17ROCPRIM_400000_NS6detail17trampoline_kernelINS0_14default_configENS1_20scan_config_selectorIxEEZZNS1_9scan_implILNS1_25lookback_scan_determinismE0ELb0ELb0ES3_N6thrust23THRUST_200600_302600_NS6detail15normal_iteratorINS9_10device_ptrIxEEEESE_x9plus_mod3IxExEEDaPvRmT3_T4_T5_mT6_P12ihipStream_tbENKUlT_T0_E_clISt17integral_constantIbLb1EEST_IbLb0EEEEDaSP_SQ_EUlSP_E_NS1_11comp_targetILNS1_3genE0ELNS1_11target_archE4294967295ELNS1_3gpuE0ELNS1_3repE0EEENS1_30default_config_static_selectorELNS0_4arch9wavefront6targetE1EEEvT1_
                                        ; -- End function
	.section	.AMDGPU.csdata,"",@progbits
; Kernel info:
; codeLenInByte = 0
; NumSgprs: 4
; NumVgprs: 0
; NumAgprs: 0
; TotalNumVgprs: 0
; ScratchSize: 0
; MemoryBound: 0
; FloatMode: 240
; IeeeMode: 1
; LDSByteSize: 0 bytes/workgroup (compile time only)
; SGPRBlocks: 0
; VGPRBlocks: 0
; NumSGPRsForWavesPerEU: 4
; NumVGPRsForWavesPerEU: 1
; AccumOffset: 4
; Occupancy: 8
; WaveLimiterHint : 0
; COMPUTE_PGM_RSRC2:SCRATCH_EN: 0
; COMPUTE_PGM_RSRC2:USER_SGPR: 6
; COMPUTE_PGM_RSRC2:TRAP_HANDLER: 0
; COMPUTE_PGM_RSRC2:TGID_X_EN: 1
; COMPUTE_PGM_RSRC2:TGID_Y_EN: 0
; COMPUTE_PGM_RSRC2:TGID_Z_EN: 0
; COMPUTE_PGM_RSRC2:TIDIG_COMP_CNT: 0
; COMPUTE_PGM_RSRC3_GFX90A:ACCUM_OFFSET: 0
; COMPUTE_PGM_RSRC3_GFX90A:TG_SPLIT: 0
	.section	.text._ZN7rocprim17ROCPRIM_400000_NS6detail17trampoline_kernelINS0_14default_configENS1_20scan_config_selectorIxEEZZNS1_9scan_implILNS1_25lookback_scan_determinismE0ELb0ELb0ES3_N6thrust23THRUST_200600_302600_NS6detail15normal_iteratorINS9_10device_ptrIxEEEESE_x9plus_mod3IxExEEDaPvRmT3_T4_T5_mT6_P12ihipStream_tbENKUlT_T0_E_clISt17integral_constantIbLb1EEST_IbLb0EEEEDaSP_SQ_EUlSP_E_NS1_11comp_targetILNS1_3genE5ELNS1_11target_archE942ELNS1_3gpuE9ELNS1_3repE0EEENS1_30default_config_static_selectorELNS0_4arch9wavefront6targetE1EEEvT1_,"axG",@progbits,_ZN7rocprim17ROCPRIM_400000_NS6detail17trampoline_kernelINS0_14default_configENS1_20scan_config_selectorIxEEZZNS1_9scan_implILNS1_25lookback_scan_determinismE0ELb0ELb0ES3_N6thrust23THRUST_200600_302600_NS6detail15normal_iteratorINS9_10device_ptrIxEEEESE_x9plus_mod3IxExEEDaPvRmT3_T4_T5_mT6_P12ihipStream_tbENKUlT_T0_E_clISt17integral_constantIbLb1EEST_IbLb0EEEEDaSP_SQ_EUlSP_E_NS1_11comp_targetILNS1_3genE5ELNS1_11target_archE942ELNS1_3gpuE9ELNS1_3repE0EEENS1_30default_config_static_selectorELNS0_4arch9wavefront6targetE1EEEvT1_,comdat
	.protected	_ZN7rocprim17ROCPRIM_400000_NS6detail17trampoline_kernelINS0_14default_configENS1_20scan_config_selectorIxEEZZNS1_9scan_implILNS1_25lookback_scan_determinismE0ELb0ELb0ES3_N6thrust23THRUST_200600_302600_NS6detail15normal_iteratorINS9_10device_ptrIxEEEESE_x9plus_mod3IxExEEDaPvRmT3_T4_T5_mT6_P12ihipStream_tbENKUlT_T0_E_clISt17integral_constantIbLb1EEST_IbLb0EEEEDaSP_SQ_EUlSP_E_NS1_11comp_targetILNS1_3genE5ELNS1_11target_archE942ELNS1_3gpuE9ELNS1_3repE0EEENS1_30default_config_static_selectorELNS0_4arch9wavefront6targetE1EEEvT1_ ; -- Begin function _ZN7rocprim17ROCPRIM_400000_NS6detail17trampoline_kernelINS0_14default_configENS1_20scan_config_selectorIxEEZZNS1_9scan_implILNS1_25lookback_scan_determinismE0ELb0ELb0ES3_N6thrust23THRUST_200600_302600_NS6detail15normal_iteratorINS9_10device_ptrIxEEEESE_x9plus_mod3IxExEEDaPvRmT3_T4_T5_mT6_P12ihipStream_tbENKUlT_T0_E_clISt17integral_constantIbLb1EEST_IbLb0EEEEDaSP_SQ_EUlSP_E_NS1_11comp_targetILNS1_3genE5ELNS1_11target_archE942ELNS1_3gpuE9ELNS1_3repE0EEENS1_30default_config_static_selectorELNS0_4arch9wavefront6targetE1EEEvT1_
	.globl	_ZN7rocprim17ROCPRIM_400000_NS6detail17trampoline_kernelINS0_14default_configENS1_20scan_config_selectorIxEEZZNS1_9scan_implILNS1_25lookback_scan_determinismE0ELb0ELb0ES3_N6thrust23THRUST_200600_302600_NS6detail15normal_iteratorINS9_10device_ptrIxEEEESE_x9plus_mod3IxExEEDaPvRmT3_T4_T5_mT6_P12ihipStream_tbENKUlT_T0_E_clISt17integral_constantIbLb1EEST_IbLb0EEEEDaSP_SQ_EUlSP_E_NS1_11comp_targetILNS1_3genE5ELNS1_11target_archE942ELNS1_3gpuE9ELNS1_3repE0EEENS1_30default_config_static_selectorELNS0_4arch9wavefront6targetE1EEEvT1_
	.p2align	8
	.type	_ZN7rocprim17ROCPRIM_400000_NS6detail17trampoline_kernelINS0_14default_configENS1_20scan_config_selectorIxEEZZNS1_9scan_implILNS1_25lookback_scan_determinismE0ELb0ELb0ES3_N6thrust23THRUST_200600_302600_NS6detail15normal_iteratorINS9_10device_ptrIxEEEESE_x9plus_mod3IxExEEDaPvRmT3_T4_T5_mT6_P12ihipStream_tbENKUlT_T0_E_clISt17integral_constantIbLb1EEST_IbLb0EEEEDaSP_SQ_EUlSP_E_NS1_11comp_targetILNS1_3genE5ELNS1_11target_archE942ELNS1_3gpuE9ELNS1_3repE0EEENS1_30default_config_static_selectorELNS0_4arch9wavefront6targetE1EEEvT1_,@function
_ZN7rocprim17ROCPRIM_400000_NS6detail17trampoline_kernelINS0_14default_configENS1_20scan_config_selectorIxEEZZNS1_9scan_implILNS1_25lookback_scan_determinismE0ELb0ELb0ES3_N6thrust23THRUST_200600_302600_NS6detail15normal_iteratorINS9_10device_ptrIxEEEESE_x9plus_mod3IxExEEDaPvRmT3_T4_T5_mT6_P12ihipStream_tbENKUlT_T0_E_clISt17integral_constantIbLb1EEST_IbLb0EEEEDaSP_SQ_EUlSP_E_NS1_11comp_targetILNS1_3genE5ELNS1_11target_archE942ELNS1_3gpuE9ELNS1_3repE0EEENS1_30default_config_static_selectorELNS0_4arch9wavefront6targetE1EEEvT1_: ; @_ZN7rocprim17ROCPRIM_400000_NS6detail17trampoline_kernelINS0_14default_configENS1_20scan_config_selectorIxEEZZNS1_9scan_implILNS1_25lookback_scan_determinismE0ELb0ELb0ES3_N6thrust23THRUST_200600_302600_NS6detail15normal_iteratorINS9_10device_ptrIxEEEESE_x9plus_mod3IxExEEDaPvRmT3_T4_T5_mT6_P12ihipStream_tbENKUlT_T0_E_clISt17integral_constantIbLb1EEST_IbLb0EEEEDaSP_SQ_EUlSP_E_NS1_11comp_targetILNS1_3genE5ELNS1_11target_archE942ELNS1_3gpuE9ELNS1_3repE0EEENS1_30default_config_static_selectorELNS0_4arch9wavefront6targetE1EEEvT1_
; %bb.0:
	.section	.rodata,"a",@progbits
	.p2align	6, 0x0
	.amdhsa_kernel _ZN7rocprim17ROCPRIM_400000_NS6detail17trampoline_kernelINS0_14default_configENS1_20scan_config_selectorIxEEZZNS1_9scan_implILNS1_25lookback_scan_determinismE0ELb0ELb0ES3_N6thrust23THRUST_200600_302600_NS6detail15normal_iteratorINS9_10device_ptrIxEEEESE_x9plus_mod3IxExEEDaPvRmT3_T4_T5_mT6_P12ihipStream_tbENKUlT_T0_E_clISt17integral_constantIbLb1EEST_IbLb0EEEEDaSP_SQ_EUlSP_E_NS1_11comp_targetILNS1_3genE5ELNS1_11target_archE942ELNS1_3gpuE9ELNS1_3repE0EEENS1_30default_config_static_selectorELNS0_4arch9wavefront6targetE1EEEvT1_
		.amdhsa_group_segment_fixed_size 0
		.amdhsa_private_segment_fixed_size 0
		.amdhsa_kernarg_size 104
		.amdhsa_user_sgpr_count 6
		.amdhsa_user_sgpr_private_segment_buffer 1
		.amdhsa_user_sgpr_dispatch_ptr 0
		.amdhsa_user_sgpr_queue_ptr 0
		.amdhsa_user_sgpr_kernarg_segment_ptr 1
		.amdhsa_user_sgpr_dispatch_id 0
		.amdhsa_user_sgpr_flat_scratch_init 0
		.amdhsa_user_sgpr_kernarg_preload_length 0
		.amdhsa_user_sgpr_kernarg_preload_offset 0
		.amdhsa_user_sgpr_private_segment_size 0
		.amdhsa_uses_dynamic_stack 0
		.amdhsa_system_sgpr_private_segment_wavefront_offset 0
		.amdhsa_system_sgpr_workgroup_id_x 1
		.amdhsa_system_sgpr_workgroup_id_y 0
		.amdhsa_system_sgpr_workgroup_id_z 0
		.amdhsa_system_sgpr_workgroup_info 0
		.amdhsa_system_vgpr_workitem_id 0
		.amdhsa_next_free_vgpr 1
		.amdhsa_next_free_sgpr 0
		.amdhsa_accum_offset 4
		.amdhsa_reserve_vcc 0
		.amdhsa_reserve_flat_scratch 0
		.amdhsa_float_round_mode_32 0
		.amdhsa_float_round_mode_16_64 0
		.amdhsa_float_denorm_mode_32 3
		.amdhsa_float_denorm_mode_16_64 3
		.amdhsa_dx10_clamp 1
		.amdhsa_ieee_mode 1
		.amdhsa_fp16_overflow 0
		.amdhsa_tg_split 0
		.amdhsa_exception_fp_ieee_invalid_op 0
		.amdhsa_exception_fp_denorm_src 0
		.amdhsa_exception_fp_ieee_div_zero 0
		.amdhsa_exception_fp_ieee_overflow 0
		.amdhsa_exception_fp_ieee_underflow 0
		.amdhsa_exception_fp_ieee_inexact 0
		.amdhsa_exception_int_div_zero 0
	.end_amdhsa_kernel
	.section	.text._ZN7rocprim17ROCPRIM_400000_NS6detail17trampoline_kernelINS0_14default_configENS1_20scan_config_selectorIxEEZZNS1_9scan_implILNS1_25lookback_scan_determinismE0ELb0ELb0ES3_N6thrust23THRUST_200600_302600_NS6detail15normal_iteratorINS9_10device_ptrIxEEEESE_x9plus_mod3IxExEEDaPvRmT3_T4_T5_mT6_P12ihipStream_tbENKUlT_T0_E_clISt17integral_constantIbLb1EEST_IbLb0EEEEDaSP_SQ_EUlSP_E_NS1_11comp_targetILNS1_3genE5ELNS1_11target_archE942ELNS1_3gpuE9ELNS1_3repE0EEENS1_30default_config_static_selectorELNS0_4arch9wavefront6targetE1EEEvT1_,"axG",@progbits,_ZN7rocprim17ROCPRIM_400000_NS6detail17trampoline_kernelINS0_14default_configENS1_20scan_config_selectorIxEEZZNS1_9scan_implILNS1_25lookback_scan_determinismE0ELb0ELb0ES3_N6thrust23THRUST_200600_302600_NS6detail15normal_iteratorINS9_10device_ptrIxEEEESE_x9plus_mod3IxExEEDaPvRmT3_T4_T5_mT6_P12ihipStream_tbENKUlT_T0_E_clISt17integral_constantIbLb1EEST_IbLb0EEEEDaSP_SQ_EUlSP_E_NS1_11comp_targetILNS1_3genE5ELNS1_11target_archE942ELNS1_3gpuE9ELNS1_3repE0EEENS1_30default_config_static_selectorELNS0_4arch9wavefront6targetE1EEEvT1_,comdat
.Lfunc_end6571:
	.size	_ZN7rocprim17ROCPRIM_400000_NS6detail17trampoline_kernelINS0_14default_configENS1_20scan_config_selectorIxEEZZNS1_9scan_implILNS1_25lookback_scan_determinismE0ELb0ELb0ES3_N6thrust23THRUST_200600_302600_NS6detail15normal_iteratorINS9_10device_ptrIxEEEESE_x9plus_mod3IxExEEDaPvRmT3_T4_T5_mT6_P12ihipStream_tbENKUlT_T0_E_clISt17integral_constantIbLb1EEST_IbLb0EEEEDaSP_SQ_EUlSP_E_NS1_11comp_targetILNS1_3genE5ELNS1_11target_archE942ELNS1_3gpuE9ELNS1_3repE0EEENS1_30default_config_static_selectorELNS0_4arch9wavefront6targetE1EEEvT1_, .Lfunc_end6571-_ZN7rocprim17ROCPRIM_400000_NS6detail17trampoline_kernelINS0_14default_configENS1_20scan_config_selectorIxEEZZNS1_9scan_implILNS1_25lookback_scan_determinismE0ELb0ELb0ES3_N6thrust23THRUST_200600_302600_NS6detail15normal_iteratorINS9_10device_ptrIxEEEESE_x9plus_mod3IxExEEDaPvRmT3_T4_T5_mT6_P12ihipStream_tbENKUlT_T0_E_clISt17integral_constantIbLb1EEST_IbLb0EEEEDaSP_SQ_EUlSP_E_NS1_11comp_targetILNS1_3genE5ELNS1_11target_archE942ELNS1_3gpuE9ELNS1_3repE0EEENS1_30default_config_static_selectorELNS0_4arch9wavefront6targetE1EEEvT1_
                                        ; -- End function
	.section	.AMDGPU.csdata,"",@progbits
; Kernel info:
; codeLenInByte = 0
; NumSgprs: 4
; NumVgprs: 0
; NumAgprs: 0
; TotalNumVgprs: 0
; ScratchSize: 0
; MemoryBound: 0
; FloatMode: 240
; IeeeMode: 1
; LDSByteSize: 0 bytes/workgroup (compile time only)
; SGPRBlocks: 0
; VGPRBlocks: 0
; NumSGPRsForWavesPerEU: 4
; NumVGPRsForWavesPerEU: 1
; AccumOffset: 4
; Occupancy: 8
; WaveLimiterHint : 0
; COMPUTE_PGM_RSRC2:SCRATCH_EN: 0
; COMPUTE_PGM_RSRC2:USER_SGPR: 6
; COMPUTE_PGM_RSRC2:TRAP_HANDLER: 0
; COMPUTE_PGM_RSRC2:TGID_X_EN: 1
; COMPUTE_PGM_RSRC2:TGID_Y_EN: 0
; COMPUTE_PGM_RSRC2:TGID_Z_EN: 0
; COMPUTE_PGM_RSRC2:TIDIG_COMP_CNT: 0
; COMPUTE_PGM_RSRC3_GFX90A:ACCUM_OFFSET: 0
; COMPUTE_PGM_RSRC3_GFX90A:TG_SPLIT: 0
	.section	.text._ZN7rocprim17ROCPRIM_400000_NS6detail17trampoline_kernelINS0_14default_configENS1_20scan_config_selectorIxEEZZNS1_9scan_implILNS1_25lookback_scan_determinismE0ELb0ELb0ES3_N6thrust23THRUST_200600_302600_NS6detail15normal_iteratorINS9_10device_ptrIxEEEESE_x9plus_mod3IxExEEDaPvRmT3_T4_T5_mT6_P12ihipStream_tbENKUlT_T0_E_clISt17integral_constantIbLb1EEST_IbLb0EEEEDaSP_SQ_EUlSP_E_NS1_11comp_targetILNS1_3genE4ELNS1_11target_archE910ELNS1_3gpuE8ELNS1_3repE0EEENS1_30default_config_static_selectorELNS0_4arch9wavefront6targetE1EEEvT1_,"axG",@progbits,_ZN7rocprim17ROCPRIM_400000_NS6detail17trampoline_kernelINS0_14default_configENS1_20scan_config_selectorIxEEZZNS1_9scan_implILNS1_25lookback_scan_determinismE0ELb0ELb0ES3_N6thrust23THRUST_200600_302600_NS6detail15normal_iteratorINS9_10device_ptrIxEEEESE_x9plus_mod3IxExEEDaPvRmT3_T4_T5_mT6_P12ihipStream_tbENKUlT_T0_E_clISt17integral_constantIbLb1EEST_IbLb0EEEEDaSP_SQ_EUlSP_E_NS1_11comp_targetILNS1_3genE4ELNS1_11target_archE910ELNS1_3gpuE8ELNS1_3repE0EEENS1_30default_config_static_selectorELNS0_4arch9wavefront6targetE1EEEvT1_,comdat
	.protected	_ZN7rocprim17ROCPRIM_400000_NS6detail17trampoline_kernelINS0_14default_configENS1_20scan_config_selectorIxEEZZNS1_9scan_implILNS1_25lookback_scan_determinismE0ELb0ELb0ES3_N6thrust23THRUST_200600_302600_NS6detail15normal_iteratorINS9_10device_ptrIxEEEESE_x9plus_mod3IxExEEDaPvRmT3_T4_T5_mT6_P12ihipStream_tbENKUlT_T0_E_clISt17integral_constantIbLb1EEST_IbLb0EEEEDaSP_SQ_EUlSP_E_NS1_11comp_targetILNS1_3genE4ELNS1_11target_archE910ELNS1_3gpuE8ELNS1_3repE0EEENS1_30default_config_static_selectorELNS0_4arch9wavefront6targetE1EEEvT1_ ; -- Begin function _ZN7rocprim17ROCPRIM_400000_NS6detail17trampoline_kernelINS0_14default_configENS1_20scan_config_selectorIxEEZZNS1_9scan_implILNS1_25lookback_scan_determinismE0ELb0ELb0ES3_N6thrust23THRUST_200600_302600_NS6detail15normal_iteratorINS9_10device_ptrIxEEEESE_x9plus_mod3IxExEEDaPvRmT3_T4_T5_mT6_P12ihipStream_tbENKUlT_T0_E_clISt17integral_constantIbLb1EEST_IbLb0EEEEDaSP_SQ_EUlSP_E_NS1_11comp_targetILNS1_3genE4ELNS1_11target_archE910ELNS1_3gpuE8ELNS1_3repE0EEENS1_30default_config_static_selectorELNS0_4arch9wavefront6targetE1EEEvT1_
	.globl	_ZN7rocprim17ROCPRIM_400000_NS6detail17trampoline_kernelINS0_14default_configENS1_20scan_config_selectorIxEEZZNS1_9scan_implILNS1_25lookback_scan_determinismE0ELb0ELb0ES3_N6thrust23THRUST_200600_302600_NS6detail15normal_iteratorINS9_10device_ptrIxEEEESE_x9plus_mod3IxExEEDaPvRmT3_T4_T5_mT6_P12ihipStream_tbENKUlT_T0_E_clISt17integral_constantIbLb1EEST_IbLb0EEEEDaSP_SQ_EUlSP_E_NS1_11comp_targetILNS1_3genE4ELNS1_11target_archE910ELNS1_3gpuE8ELNS1_3repE0EEENS1_30default_config_static_selectorELNS0_4arch9wavefront6targetE1EEEvT1_
	.p2align	8
	.type	_ZN7rocprim17ROCPRIM_400000_NS6detail17trampoline_kernelINS0_14default_configENS1_20scan_config_selectorIxEEZZNS1_9scan_implILNS1_25lookback_scan_determinismE0ELb0ELb0ES3_N6thrust23THRUST_200600_302600_NS6detail15normal_iteratorINS9_10device_ptrIxEEEESE_x9plus_mod3IxExEEDaPvRmT3_T4_T5_mT6_P12ihipStream_tbENKUlT_T0_E_clISt17integral_constantIbLb1EEST_IbLb0EEEEDaSP_SQ_EUlSP_E_NS1_11comp_targetILNS1_3genE4ELNS1_11target_archE910ELNS1_3gpuE8ELNS1_3repE0EEENS1_30default_config_static_selectorELNS0_4arch9wavefront6targetE1EEEvT1_,@function
_ZN7rocprim17ROCPRIM_400000_NS6detail17trampoline_kernelINS0_14default_configENS1_20scan_config_selectorIxEEZZNS1_9scan_implILNS1_25lookback_scan_determinismE0ELb0ELb0ES3_N6thrust23THRUST_200600_302600_NS6detail15normal_iteratorINS9_10device_ptrIxEEEESE_x9plus_mod3IxExEEDaPvRmT3_T4_T5_mT6_P12ihipStream_tbENKUlT_T0_E_clISt17integral_constantIbLb1EEST_IbLb0EEEEDaSP_SQ_EUlSP_E_NS1_11comp_targetILNS1_3genE4ELNS1_11target_archE910ELNS1_3gpuE8ELNS1_3repE0EEENS1_30default_config_static_selectorELNS0_4arch9wavefront6targetE1EEEvT1_: ; @_ZN7rocprim17ROCPRIM_400000_NS6detail17trampoline_kernelINS0_14default_configENS1_20scan_config_selectorIxEEZZNS1_9scan_implILNS1_25lookback_scan_determinismE0ELb0ELb0ES3_N6thrust23THRUST_200600_302600_NS6detail15normal_iteratorINS9_10device_ptrIxEEEESE_x9plus_mod3IxExEEDaPvRmT3_T4_T5_mT6_P12ihipStream_tbENKUlT_T0_E_clISt17integral_constantIbLb1EEST_IbLb0EEEEDaSP_SQ_EUlSP_E_NS1_11comp_targetILNS1_3genE4ELNS1_11target_archE910ELNS1_3gpuE8ELNS1_3repE0EEENS1_30default_config_static_selectorELNS0_4arch9wavefront6targetE1EEEvT1_
; %bb.0:
	s_load_dwordx8 s[8:15], s[4:5], 0x0
	s_load_dword s1, s[4:5], 0x38
	s_mul_i32 s0, s6, 0x380
	v_lshlrev_b32_e32 v34, 3, v0
	s_waitcnt lgkmcnt(0)
	s_lshl_b64 s[20:21], s[10:11], 3
	s_add_u32 s2, s8, s20
	s_addc_u32 s3, s9, s21
	s_add_i32 s7, s1, -1
	s_mul_i32 s8, s7, 0x380
	s_sub_u32 s33, s14, s8
	s_subb_u32 s36, s15, 0
	s_mov_b32 s1, 0
	s_cmp_lg_u32 s6, s7
	s_cselect_b64 s[14:15], -1, 0
	s_lshl_b64 s[22:23], s[0:1], 3
	s_add_u32 s2, s2, s22
	s_addc_u32 s3, s3, s23
	s_mov_b64 s[0:1], -1
	s_and_b64 vcc, exec, s[14:15]
	s_cbranch_vccz .LBB6572_2
; %bb.1:
	v_mov_b32_e32 v1, s3
	v_add_co_u32_e32 v2, vcc, s2, v34
	v_addc_co_u32_e32 v3, vcc, 0, v1, vcc
	flat_load_dwordx2 v[4:5], v[2:3]
	flat_load_dwordx2 v[6:7], v[2:3] offset:1024
	flat_load_dwordx2 v[8:9], v[2:3] offset:2048
	;; [unrolled: 1-line block ×3, first 2 shown]
	v_add_co_u32_e32 v2, vcc, 0x1000, v2
	v_addc_co_u32_e32 v3, vcc, 0, v3, vcc
	flat_load_dwordx2 v[12:13], v[2:3]
	flat_load_dwordx2 v[14:15], v[2:3] offset:1024
	flat_load_dwordx2 v[16:17], v[2:3] offset:2048
	s_mov_b64 s[0:1], 0
	s_waitcnt vmcnt(0) lgkmcnt(0)
	ds_write2st64_b64 v34, v[4:5], v[6:7] offset1:2
	ds_write2st64_b64 v34, v[8:9], v[10:11] offset0:4 offset1:6
	ds_write2st64_b64 v34, v[12:13], v[14:15] offset0:8 offset1:10
	ds_write_b64 v34, v[16:17] offset:6144
	s_waitcnt lgkmcnt(0)
	s_barrier
.LBB6572_2:
	s_load_dwordx4 s[16:19], s[4:5], 0x28
	s_andn2_b64 vcc, exec, s[0:1]
	v_cmp_gt_u32_e64 s[0:1], s33, v0
	s_cbranch_vccnz .LBB6572_18
; %bb.3:
	v_pk_mov_b32 v[2:3], s[2:3], s[2:3] op_sel:[0,1]
	flat_load_dwordx2 v[2:3], v[2:3]
	s_waitcnt vmcnt(0) lgkmcnt(0)
	v_mov_b32_e32 v4, v2
	v_mov_b32_e32 v5, v3
	;; [unrolled: 1-line block ×10, first 2 shown]
	v_pk_mov_b32 v[18:19], v[14:15], v[14:15] op_sel:[0,1]
	v_pk_mov_b32 v[16:17], v[12:13], v[12:13] op_sel:[0,1]
	;; [unrolled: 1-line block ×8, first 2 shown]
	s_and_saveexec_b64 s[8:9], s[0:1]
	s_cbranch_execz .LBB6572_5
; %bb.4:
	v_mov_b32_e32 v1, s3
	v_add_co_u32_e32 v4, vcc, s2, v34
	v_addc_co_u32_e32 v5, vcc, 0, v1, vcc
	flat_load_dwordx2 v[20:21], v[4:5]
	v_mov_b32_e32 v4, v2
	v_mov_b32_e32 v5, v3
	;; [unrolled: 1-line block ×10, first 2 shown]
	v_pk_mov_b32 v[18:19], v[14:15], v[14:15] op_sel:[0,1]
	v_pk_mov_b32 v[16:17], v[12:13], v[12:13] op_sel:[0,1]
	;; [unrolled: 1-line block ×8, first 2 shown]
	s_waitcnt vmcnt(0) lgkmcnt(0)
	v_pk_mov_b32 v[2:3], v[20:21], v[20:21] op_sel:[0,1]
.LBB6572_5:
	s_or_b64 exec, exec, s[8:9]
	v_or_b32_e32 v1, 0x80, v0
	v_cmp_gt_u32_e32 vcc, s33, v1
	s_and_saveexec_b64 s[0:1], vcc
	s_cbranch_execz .LBB6572_7
; %bb.6:
	v_mov_b32_e32 v1, s3
	v_add_co_u32_e32 v4, vcc, s2, v34
	v_addc_co_u32_e32 v5, vcc, 0, v1, vcc
	flat_load_dwordx2 v[6:7], v[4:5] offset:1024
.LBB6572_7:
	s_or_b64 exec, exec, s[0:1]
	v_or_b32_e32 v1, 0x100, v0
	v_cmp_gt_u32_e32 vcc, s33, v1
	s_and_saveexec_b64 s[0:1], vcc
	s_cbranch_execz .LBB6572_9
; %bb.8:
	v_mov_b32_e32 v1, s3
	v_add_co_u32_e32 v4, vcc, s2, v34
	v_addc_co_u32_e32 v5, vcc, 0, v1, vcc
	flat_load_dwordx2 v[8:9], v[4:5] offset:2048
.LBB6572_9:
	;; [unrolled: 11-line block ×3, first 2 shown]
	s_or_b64 exec, exec, s[0:1]
	v_or_b32_e32 v1, 0x200, v0
	v_cmp_gt_u32_e32 vcc, s33, v1
	s_and_saveexec_b64 s[0:1], vcc
	s_cbranch_execz .LBB6572_13
; %bb.12:
	v_lshlrev_b32_e32 v1, 3, v1
	v_mov_b32_e32 v5, s3
	v_add_co_u32_e32 v4, vcc, s2, v1
	v_addc_co_u32_e32 v5, vcc, 0, v5, vcc
	flat_load_dwordx2 v[12:13], v[4:5]
.LBB6572_13:
	s_or_b64 exec, exec, s[0:1]
	v_or_b32_e32 v1, 0x280, v0
	v_cmp_gt_u32_e32 vcc, s33, v1
	s_and_saveexec_b64 s[0:1], vcc
	s_cbranch_execz .LBB6572_15
; %bb.14:
	v_lshlrev_b32_e32 v1, 3, v1
	v_mov_b32_e32 v5, s3
	v_add_co_u32_e32 v4, vcc, s2, v1
	v_addc_co_u32_e32 v5, vcc, 0, v5, vcc
	flat_load_dwordx2 v[14:15], v[4:5]
.LBB6572_15:
	;; [unrolled: 12-line block ×3, first 2 shown]
	s_or_b64 exec, exec, s[0:1]
	s_waitcnt vmcnt(0) lgkmcnt(0)
	ds_write2st64_b64 v34, v[2:3], v[6:7] offset1:2
	ds_write2st64_b64 v34, v[8:9], v[10:11] offset0:4 offset1:6
	ds_write2st64_b64 v34, v[12:13], v[14:15] offset0:8 offset1:10
	ds_write_b64 v34, v[16:17] offset:6144
	s_waitcnt lgkmcnt(0)
	s_barrier
.LBB6572_18:
	v_mul_u32_u24_e32 v35, 7, v0
	v_lshlrev_b32_e32 v1, 3, v35
	s_waitcnt lgkmcnt(0)
	ds_read2_b64 v[2:5], v1 offset1:1
	ds_read2_b64 v[10:13], v1 offset0:2 offset1:3
	ds_read2_b64 v[6:9], v1 offset0:4 offset1:5
	ds_read_b64 v[26:27], v1 offset:48
	s_cmp_lg_u32 s6, 0
	v_lshrrev_b32_e32 v1, 5, v0
	v_cmp_gt_u32_e32 vcc, 64, v0
	s_waitcnt lgkmcnt(0)
	s_barrier
	s_cbranch_scc0 .LBB6572_88
; %bb.19:
	v_add_u32_e32 v19, v4, v2
	v_mov_b32_e32 v18, 0
	v_ashrrev_i64 v[14:15], 29, v[18:19]
	v_mov_b32_e32 v5, s17
	v_add_co_u32_e64 v14, s[0:1], s16, v14
	v_addc_co_u32_e64 v15, s[0:1], v5, v15, s[0:1]
	global_load_dword v5, v[14:15], off
	v_mov_b32_e32 v7, s17
	s_waitcnt vmcnt(0)
	v_add_u32_e32 v19, v5, v10
	v_ashrrev_i64 v[14:15], 29, v[18:19]
	v_add_co_u32_e64 v14, s[0:1], s16, v14
	v_addc_co_u32_e64 v15, s[0:1], v7, v15, s[0:1]
	global_load_dword v5, v[14:15], off
	s_waitcnt vmcnt(0)
	v_add_u32_e32 v19, v5, v12
	v_ashrrev_i64 v[14:15], 29, v[18:19]
	v_add_co_u32_e64 v14, s[0:1], s16, v14
	v_addc_co_u32_e64 v15, s[0:1], v7, v15, s[0:1]
	global_load_dword v5, v[14:15], off
	;; [unrolled: 6-line block ×4, first 2 shown]
	s_waitcnt vmcnt(0)
	v_add_u32_e32 v19, v5, v26
	v_ashrrev_i64 v[14:15], 29, v[18:19]
	v_add_co_u32_e64 v14, s[0:1], s16, v14
	v_addc_co_u32_e64 v15, s[0:1], v7, v15, s[0:1]
	global_load_dwordx2 v[22:23], v[14:15], off
	v_add_lshl_u32 v5, v1, v0, 3
	s_waitcnt vmcnt(0)
	ds_write_b64 v5, v[22:23]
	s_waitcnt lgkmcnt(0)
	s_barrier
	s_and_saveexec_b64 s[2:3], vcc
	s_cbranch_execz .LBB6572_33
; %bb.20:
	v_lshlrev_b32_e32 v5, 1, v0
	v_lshrrev_b32_e32 v7, 4, v0
	v_add_lshl_u32 v5, v7, v5, 3
	ds_read2_b64 v[14:17], v5 offset1:1
	v_mov_b32_e32 v7, s17
	s_waitcnt lgkmcnt(0)
	v_add_u32_e32 v19, v16, v14
	v_ashrrev_i64 v[16:17], 29, v[18:19]
	v_add_co_u32_e64 v16, s[0:1], s16, v16
	v_addc_co_u32_e64 v17, s[0:1], v7, v17, s[0:1]
	global_load_dwordx2 v[16:17], v[16:17], off
	v_mbcnt_lo_u32_b32 v7, -1, 0
	v_mbcnt_hi_u32_b32 v7, -1, v7
	v_and_b32_e32 v9, 15, v7
	v_cmp_ne_u32_e64 s[0:1], 0, v9
	s_waitcnt vmcnt(0)
	v_mov_b32_dpp v11, v16 row_shr:1 row_mask:0xf bank_mask:0xf
	s_and_saveexec_b64 s[8:9], s[0:1]
	s_cbranch_execz .LBB6572_22
; %bb.21:
	v_add_u32_e32 v17, v16, v11
	v_mov_b32_e32 v16, 0
	v_ashrrev_i64 v[16:17], 29, v[16:17]
	v_mov_b32_e32 v11, s17
	v_add_co_u32_e64 v16, s[0:1], s16, v16
	v_addc_co_u32_e64 v17, s[0:1], v11, v17, s[0:1]
	global_load_dwordx2 v[16:17], v[16:17], off
.LBB6572_22:
	s_or_b64 exec, exec, s[8:9]
	s_waitcnt vmcnt(0)
	v_mov_b32_dpp v11, v16 row_shr:2 row_mask:0xf bank_mask:0xf
	v_cmp_lt_u32_e64 s[0:1], 1, v9
	s_and_saveexec_b64 s[8:9], s[0:1]
	s_cbranch_execz .LBB6572_24
; %bb.23:
	v_add_u32_e32 v17, v16, v11
	v_mov_b32_e32 v16, 0
	v_ashrrev_i64 v[16:17], 29, v[16:17]
	v_mov_b32_e32 v11, s17
	v_add_co_u32_e64 v16, s[0:1], s16, v16
	v_addc_co_u32_e64 v17, s[0:1], v11, v17, s[0:1]
	global_load_dwordx2 v[16:17], v[16:17], off
.LBB6572_24:
	s_or_b64 exec, exec, s[8:9]
	s_waitcnt vmcnt(0)
	v_mov_b32_dpp v11, v16 row_shr:4 row_mask:0xf bank_mask:0xf
	v_cmp_lt_u32_e64 s[0:1], 3, v9
	;; [unrolled: 15-line block ×3, first 2 shown]
	s_and_saveexec_b64 s[8:9], s[0:1]
	s_cbranch_execz .LBB6572_28
; %bb.27:
	v_add_u32_e32 v17, v16, v11
	v_mov_b32_e32 v16, 0
	v_ashrrev_i64 v[16:17], 29, v[16:17]
	v_mov_b32_e32 v9, s17
	v_add_co_u32_e64 v16, s[0:1], s16, v16
	v_addc_co_u32_e64 v17, s[0:1], v9, v17, s[0:1]
	global_load_dwordx2 v[16:17], v[16:17], off
.LBB6572_28:
	s_or_b64 exec, exec, s[8:9]
	v_and_b32_e32 v11, 16, v7
	s_waitcnt vmcnt(0)
	v_mov_b32_dpp v9, v16 row_bcast:15 row_mask:0xf bank_mask:0xf
	v_cmp_ne_u32_e64 s[0:1], 0, v11
	s_and_saveexec_b64 s[8:9], s[0:1]
	s_cbranch_execz .LBB6572_30
; %bb.29:
	v_add_u32_e32 v17, v16, v9
	v_mov_b32_e32 v16, 0
	v_ashrrev_i64 v[16:17], 29, v[16:17]
	v_mov_b32_e32 v9, s17
	v_add_co_u32_e64 v16, s[0:1], s16, v16
	v_addc_co_u32_e64 v17, s[0:1], v9, v17, s[0:1]
	global_load_dwordx2 v[16:17], v[16:17], off
.LBB6572_30:
	s_or_b64 exec, exec, s[8:9]
	s_waitcnt vmcnt(0)
	v_mov_b32_dpp v9, v16 row_bcast:31 row_mask:0xf bank_mask:0xf
	v_cmp_lt_u32_e64 s[0:1], 31, v7
	s_and_saveexec_b64 s[8:9], s[0:1]
	s_cbranch_execz .LBB6572_32
; %bb.31:
	v_add_u32_e32 v17, v16, v9
	v_mov_b32_e32 v16, 0
	v_ashrrev_i64 v[16:17], 29, v[16:17]
	v_mov_b32_e32 v9, s17
	v_add_co_u32_e64 v16, s[0:1], s16, v16
	v_addc_co_u32_e64 v17, s[0:1], v9, v17, s[0:1]
	global_load_dword v16, v[16:17], off
.LBB6572_32:
	s_or_b64 exec, exec, s[8:9]
	v_add_u32_e32 v9, -1, v7
	v_and_b32_e32 v11, 64, v7
	v_cmp_lt_i32_e64 s[0:1], v9, v11
	v_cndmask_b32_e64 v7, v9, v7, s[0:1]
	v_lshlrev_b32_e32 v7, 2, v7
	s_waitcnt vmcnt(0)
	ds_bpermute_b32 v7, v7, v16
	v_mov_b32_e32 v16, 0
	v_mov_b32_e32 v9, s17
	s_waitcnt lgkmcnt(0)
	v_add_u32_e32 v17, v14, v7
	v_ashrrev_i64 v[14:15], 29, v[16:17]
	v_add_co_u32_e64 v14, s[0:1], s16, v14
	v_addc_co_u32_e64 v15, s[0:1], v9, v15, s[0:1]
	global_load_dwordx2 v[14:15], v[14:15], off
	v_cmp_eq_u32_e64 s[0:1], 0, v0
	; wave barrier
	s_waitcnt vmcnt(0)
	v_cndmask_b32_e64 v15, v15, v23, s[0:1]
	v_cndmask_b32_e64 v14, v14, v22, s[0:1]
	ds_write_b64 v5, v[14:15]
	; wave barrier
	ds_read_b32 v7, v5 offset:8
	s_waitcnt lgkmcnt(0)
	v_add_u32_e32 v17, v7, v14
	v_ashrrev_i64 v[14:15], 29, v[16:17]
	v_add_co_u32_e64 v14, s[0:1], s16, v14
	v_addc_co_u32_e64 v15, s[0:1], v9, v15, s[0:1]
	global_load_dwordx2 v[14:15], v[14:15], off
	s_waitcnt vmcnt(0)
	ds_write_b64 v5, v[14:15] offset:8
.LBB6572_33:
	s_or_b64 exec, exec, s[2:3]
	v_cmp_eq_u32_e64 s[2:3], 0, v0
	v_cmp_ne_u32_e64 s[0:1], 0, v0
	s_waitcnt lgkmcnt(0)
	s_barrier
	s_and_saveexec_b64 s[8:9], s[0:1]
	s_cbranch_execz .LBB6572_35
; %bb.34:
	v_add_u32_e32 v5, -1, v0
	v_lshrrev_b32_e32 v7, 5, v5
	v_add_lshl_u32 v5, v7, v5, 3
	ds_read_b64 v[22:23], v5
.LBB6572_35:
	s_or_b64 exec, exec, s[8:9]
	s_and_saveexec_b64 s[10:11], vcc
	s_cbranch_execz .LBB6572_85
; %bb.36:
	v_mov_b32_e32 v17, 0
	ds_read_b64 v[14:15], v17 offset:1040
	v_mbcnt_lo_u32_b32 v5, -1, 0
	v_mbcnt_hi_u32_b32 v25, -1, v5
	s_mov_b32 s27, 0
	v_cmp_eq_u32_e64 s[8:9], 0, v25
	s_and_saveexec_b64 s[24:25], s[8:9]
	s_cbranch_execz .LBB6572_38
; %bb.37:
	s_add_i32 s26, s6, 64
	s_lshl_b64 s[26:27], s[26:27], 4
	s_add_u32 s26, s18, s26
	s_addc_u32 s27, s19, s27
	v_mov_b32_e32 v16, 1
	v_pk_mov_b32 v[18:19], s[26:27], s[26:27] op_sel:[0,1]
	s_waitcnt lgkmcnt(0)
	;;#ASMSTART
	global_store_dwordx4 v[18:19], v[14:17] off	
s_waitcnt vmcnt(0)
	;;#ASMEND
.LBB6572_38:
	s_or_b64 exec, exec, s[24:25]
	v_xad_u32 v24, v25, -1, s6
	v_add_u32_e32 v16, 64, v24
	v_lshlrev_b64 v[18:19], 4, v[16:17]
	v_mov_b32_e32 v5, s19
	v_add_co_u32_e32 v28, vcc, s18, v18
	v_addc_co_u32_e32 v29, vcc, v5, v19, vcc
	;;#ASMSTART
	global_load_dwordx4 v[18:21], v[28:29] off glc	
s_waitcnt vmcnt(0)
	;;#ASMEND
	v_and_b32_e32 v5, 0xff, v19
	v_and_b32_e32 v7, 0xff00, v19
	v_or3_b32 v5, 0, v5, v7
	v_or3_b32 v7, v18, 0, 0
	v_and_b32_e32 v9, 0xff000000, v19
	v_and_b32_e32 v11, 0xff0000, v19
	v_or3_b32 v19, v5, v11, v9
	v_or3_b32 v18, v7, 0, 0
	v_cmp_eq_u16_sdwa s[26:27], v20, v17 src0_sel:BYTE_0 src1_sel:DWORD
	s_and_saveexec_b64 s[24:25], s[26:27]
	s_cbranch_execz .LBB6572_44
; %bb.39:
	s_mov_b32 s7, 1
	s_mov_b64 s[26:27], 0
	v_mov_b32_e32 v5, 0
.LBB6572_40:                            ; =>This Loop Header: Depth=1
                                        ;     Child Loop BB6572_41 Depth 2
	s_max_u32 s28, s7, 1
.LBB6572_41:                            ;   Parent Loop BB6572_40 Depth=1
                                        ; =>  This Inner Loop Header: Depth=2
	s_add_i32 s28, s28, -1
	s_cmp_eq_u32 s28, 0
	s_sleep 1
	s_cbranch_scc0 .LBB6572_41
; %bb.42:                               ;   in Loop: Header=BB6572_40 Depth=1
	s_cmp_lt_u32 s7, 32
	s_cselect_b64 s[28:29], -1, 0
	s_cmp_lg_u64 s[28:29], 0
	s_addc_u32 s7, s7, 0
	;;#ASMSTART
	global_load_dwordx4 v[18:21], v[28:29] off glc	
s_waitcnt vmcnt(0)
	;;#ASMEND
	v_cmp_ne_u16_sdwa s[28:29], v20, v5 src0_sel:BYTE_0 src1_sel:DWORD
	s_or_b64 s[26:27], s[28:29], s[26:27]
	s_andn2_b64 exec, exec, s[26:27]
	s_cbranch_execnz .LBB6572_40
; %bb.43:
	s_or_b64 exec, exec, s[26:27]
.LBB6572_44:
	s_or_b64 exec, exec, s[24:25]
	v_mov_b32_e32 v5, 2
	v_cmp_eq_u16_sdwa s[24:25], v20, v5 src0_sel:BYTE_0 src1_sel:DWORD
	v_lshlrev_b64 v[16:17], v25, -1
	v_and_b32_e32 v5, s25, v17
	v_or_b32_e32 v5, 0x80000000, v5
	v_ffbl_b32_e32 v13, v5
	v_and_b32_e32 v5, 63, v25
	v_cmp_ne_u32_e32 vcc, 63, v5
	v_addc_co_u32_e32 v7, vcc, 0, v25, vcc
	v_lshlrev_b32_e32 v7, 2, v7
	ds_bpermute_b32 v9, v7, v18
	v_and_b32_e32 v11, s24, v16
	v_add_u32_e32 v13, 32, v13
	v_ffbl_b32_e32 v11, v11
	v_min_u32_e32 v21, v11, v13
	v_cmp_lt_u32_e32 vcc, v5, v21
	s_and_saveexec_b64 s[24:25], vcc
	s_cbranch_execz .LBB6572_46
; %bb.45:
	s_waitcnt lgkmcnt(0)
	v_add_u32_e32 v19, v18, v9
	v_mov_b32_e32 v18, 0
	v_ashrrev_i64 v[18:19], 29, v[18:19]
	v_mov_b32_e32 v9, s17
	v_add_co_u32_e32 v18, vcc, s16, v18
	v_addc_co_u32_e32 v19, vcc, v9, v19, vcc
	global_load_dwordx2 v[18:19], v[18:19], off
.LBB6572_46:
	s_or_b64 exec, exec, s[24:25]
	v_cmp_gt_u32_e32 vcc, 62, v5
	s_waitcnt lgkmcnt(0)
	v_cndmask_b32_e64 v9, 0, 1, vcc
	v_lshlrev_b32_e32 v9, 1, v9
	v_add_lshl_u32 v9, v9, v25, 2
	s_waitcnt vmcnt(0)
	ds_bpermute_b32 v13, v9, v18
	v_add_u32_e32 v11, 2, v5
	v_cmp_le_u32_e32 vcc, v11, v21
	s_and_saveexec_b64 s[24:25], vcc
	s_cbranch_execz .LBB6572_48
; %bb.47:
	s_waitcnt lgkmcnt(0)
	v_add_u32_e32 v19, v18, v13
	v_mov_b32_e32 v18, 0
	v_ashrrev_i64 v[18:19], 29, v[18:19]
	v_mov_b32_e32 v13, s17
	v_add_co_u32_e32 v18, vcc, s16, v18
	v_addc_co_u32_e32 v19, vcc, v13, v19, vcc
	global_load_dwordx2 v[18:19], v[18:19], off
.LBB6572_48:
	s_or_b64 exec, exec, s[24:25]
	v_cmp_gt_u32_e32 vcc, 60, v5
	s_waitcnt lgkmcnt(0)
	v_cndmask_b32_e64 v13, 0, 1, vcc
	v_lshlrev_b32_e32 v13, 2, v13
	v_add_lshl_u32 v13, v13, v25, 2
	s_waitcnt vmcnt(0)
	ds_bpermute_b32 v23, v13, v18
	v_add_u32_e32 v15, 4, v5
	v_cmp_le_u32_e32 vcc, v15, v21
	;; [unrolled: 22-line block ×5, first 2 shown]
	s_mov_b64 s[24:25], -1
                                        ; implicit-def: $vgpr30_vgpr31
	s_and_saveexec_b64 s[26:27], vcc
	s_cbranch_execz .LBB6572_56
; %bb.55:
	s_waitcnt lgkmcnt(0)
	v_add_co_u32_e32 v30, vcc, v18, v25
	s_xor_b64 s[24:25], exec, -1
.LBB6572_56:
	s_or_b64 exec, exec, s[26:27]
	s_mov_b64 s[26:27], 0
	s_waitcnt lgkmcnt(0)
	v_mov_b32_e32 v25, 0
	v_mov_b32_e32 v38, 2
                                        ; implicit-def: $sgpr28_sgpr29
	s_branch .LBB6572_58
.LBB6572_57:                            ;   in Loop: Header=BB6572_58 Depth=1
	s_or_b64 exec, exec, s[24:25]
	v_subrev_u32_e32 v24, 64, v24
	s_waitcnt vmcnt(0)
	v_add_co_u32_e32 v30, vcc, v18, v28
	s_mov_b64 s[24:25], 0
	s_mov_b64 s[26:27], 0
                                        ; implicit-def: $sgpr28_sgpr29
.LBB6572_58:                            ; =>This Loop Header: Depth=1
                                        ;     Child Loop BB6572_64 Depth 2
                                        ;       Child Loop BB6572_65 Depth 3
	s_waitcnt vmcnt(0) lgkmcnt(0)
	v_pk_mov_b32 v[28:29], v[18:19], v[18:19] op_sel:[0,1]
	s_xor_b64 s[34:35], s[24:25], -1
	s_or_b64 s[28:29], s[28:29], exec
                                        ; implicit-def: $sgpr30_sgpr31
	s_and_saveexec_b64 s[38:39], s[34:35]
	s_xor_b64 s[34:35], exec, s[38:39]
	s_cbranch_execz .LBB6572_60
; %bb.59:                               ;   in Loop: Header=BB6572_58 Depth=1
	v_mov_b32_e32 v18, v25
	v_mov_b32_e32 v19, v30
	v_ashrrev_i64 v[18:19], 29, v[18:19]
	v_mov_b32_e32 v21, s17
	v_add_co_u32_e32 v18, vcc, s16, v18
	v_addc_co_u32_e32 v19, vcc, v21, v19, vcc
	global_load_dwordx2 v[18:19], v[18:19], off
	s_mov_b64 s[30:31], -1
	s_andn2_b64 s[28:29], s[28:29], exec
                                        ; implicit-def: $sgpr24_sgpr25
.LBB6572_60:                            ;   in Loop: Header=BB6572_58 Depth=1
	s_or_b64 exec, exec, s[34:35]
	s_and_b64 s[34:35], exec, s[28:29]
	s_or_b64 s[26:27], s[34:35], s[26:27]
	s_andn2_b64 s[24:25], s[24:25], exec
	s_and_b64 s[30:31], s[30:31], exec
	s_or_b64 s[24:25], s[24:25], s[30:31]
	s_andn2_b64 exec, exec, s[26:27]
	s_cbranch_execnz .LBB6572_58
; %bb.61:                               ;   in Loop: Header=BB6572_58 Depth=1
	s_or_b64 exec, exec, s[26:27]
	v_cmp_ne_u16_sdwa s[24:25], v20, v38 src0_sel:BYTE_0 src1_sel:DWORD
	s_waitcnt vmcnt(0)
	v_cndmask_b32_e64 v18, 0, 1, s[24:25]
	;;#ASMSTART
	;;#ASMEND
	v_cmp_ne_u32_e32 vcc, 0, v18
	s_cmp_lg_u64 vcc, exec
	s_cbranch_scc1 .LBB6572_80
; %bb.62:                               ;   in Loop: Header=BB6572_58 Depth=1
	v_lshlrev_b64 v[18:19], 4, v[24:25]
	v_mov_b32_e32 v20, s19
	v_add_co_u32_e32 v30, vcc, s18, v18
	v_addc_co_u32_e32 v31, vcc, v20, v19, vcc
	;;#ASMSTART
	global_load_dwordx4 v[18:21], v[30:31] off glc	
s_waitcnt vmcnt(0)
	;;#ASMEND
	v_cmp_eq_u16_sdwa s[26:27], v20, v25 src0_sel:BYTE_0 src1_sel:DWORD
                                        ; kill: def $vgpr19 killed $vgpr25 killed $exec
	s_and_saveexec_b64 s[24:25], s[26:27]
	s_cbranch_execz .LBB6572_68
; %bb.63:                               ;   in Loop: Header=BB6572_58 Depth=1
	s_mov_b32 s7, 1
	s_mov_b64 s[26:27], 0
.LBB6572_64:                            ;   Parent Loop BB6572_58 Depth=1
                                        ; =>  This Loop Header: Depth=2
                                        ;       Child Loop BB6572_65 Depth 3
	s_max_u32 s28, s7, 1
.LBB6572_65:                            ;   Parent Loop BB6572_58 Depth=1
                                        ;     Parent Loop BB6572_64 Depth=2
                                        ; =>    This Inner Loop Header: Depth=3
	s_add_i32 s28, s28, -1
	s_cmp_eq_u32 s28, 0
	s_sleep 1
	s_cbranch_scc0 .LBB6572_65
; %bb.66:                               ;   in Loop: Header=BB6572_64 Depth=2
	s_cmp_lt_u32 s7, 32
	s_cselect_b64 s[28:29], -1, 0
	s_cmp_lg_u64 s[28:29], 0
	s_addc_u32 s7, s7, 0
	;;#ASMSTART
	global_load_dwordx4 v[18:21], v[30:31] off glc	
s_waitcnt vmcnt(0)
	;;#ASMEND
	v_cmp_ne_u16_sdwa s[28:29], v20, v25 src0_sel:BYTE_0 src1_sel:DWORD
	s_or_b64 s[26:27], s[28:29], s[26:27]
	s_andn2_b64 exec, exec, s[26:27]
	s_cbranch_execnz .LBB6572_64
; %bb.67:                               ;   in Loop: Header=BB6572_58 Depth=1
	s_or_b64 exec, exec, s[26:27]
                                        ; kill: def $vgpr19 killed $vgpr25 killed $exec
.LBB6572_68:                            ;   in Loop: Header=BB6572_58 Depth=1
	s_or_b64 exec, exec, s[24:25]
	v_cmp_eq_u16_sdwa s[24:25], v20, v38 src0_sel:BYTE_0 src1_sel:DWORD
	v_and_b32_e32 v19, s25, v17
	v_or_b32_e32 v19, 0x80000000, v19
	v_ffbl_b32_e32 v30, v19
	ds_bpermute_b32 v19, v7, v18
	v_and_b32_e32 v21, s24, v16
	v_add_u32_e32 v30, 32, v30
	v_ffbl_b32_e32 v21, v21
	v_min_u32_e32 v21, v21, v30
	v_cmp_lt_u32_e32 vcc, v5, v21
	s_and_saveexec_b64 s[24:25], vcc
	s_cbranch_execz .LBB6572_70
; %bb.69:                               ;   in Loop: Header=BB6572_58 Depth=1
	s_waitcnt lgkmcnt(0)
	v_add_u32_e32 v19, v18, v19
	v_mov_b32_e32 v18, v25
	v_ashrrev_i64 v[18:19], 29, v[18:19]
	v_mov_b32_e32 v30, s17
	v_add_co_u32_e32 v18, vcc, s16, v18
	v_addc_co_u32_e32 v19, vcc, v30, v19, vcc
	global_load_dwordx2 v[18:19], v[18:19], off
.LBB6572_70:                            ;   in Loop: Header=BB6572_58 Depth=1
	s_or_b64 exec, exec, s[24:25]
	s_waitcnt vmcnt(0) lgkmcnt(0)
	ds_bpermute_b32 v19, v9, v18
	v_cmp_le_u32_e32 vcc, v11, v21
	s_and_saveexec_b64 s[24:25], vcc
	s_cbranch_execz .LBB6572_72
; %bb.71:                               ;   in Loop: Header=BB6572_58 Depth=1
	s_waitcnt lgkmcnt(0)
	v_add_u32_e32 v19, v18, v19
	v_mov_b32_e32 v18, v25
	v_ashrrev_i64 v[18:19], 29, v[18:19]
	v_mov_b32_e32 v30, s17
	v_add_co_u32_e32 v18, vcc, s16, v18
	v_addc_co_u32_e32 v19, vcc, v30, v19, vcc
	global_load_dwordx2 v[18:19], v[18:19], off
.LBB6572_72:                            ;   in Loop: Header=BB6572_58 Depth=1
	s_or_b64 exec, exec, s[24:25]
	s_waitcnt vmcnt(0) lgkmcnt(0)
	ds_bpermute_b32 v19, v13, v18
	v_cmp_le_u32_e32 vcc, v15, v21
	;; [unrolled: 16-line block ×5, first 2 shown]
	s_and_saveexec_b64 s[24:25], vcc
	s_cbranch_execz .LBB6572_57
; %bb.79:                               ;   in Loop: Header=BB6572_58 Depth=1
	s_waitcnt lgkmcnt(0)
	v_add_u32_e32 v19, v18, v19
	v_mov_b32_e32 v18, v25
	v_ashrrev_i64 v[18:19], 29, v[18:19]
	v_mov_b32_e32 v21, s17
	v_add_co_u32_e32 v18, vcc, s16, v18
	v_addc_co_u32_e32 v19, vcc, v21, v19, vcc
	global_load_dwordx2 v[18:19], v[18:19], off
	s_branch .LBB6572_57
.LBB6572_80:                            ;   in Loop: Header=BB6572_58 Depth=1
	s_mov_b64 s[24:25], -1
                                        ; implicit-def: $vgpr30_vgpr31
                                        ; implicit-def: $vgpr20
	s_mov_b64 s[26:27], 0
                                        ; implicit-def: $sgpr28_sgpr29
	s_cbranch_execz .LBB6572_58
; %bb.81:
	s_and_saveexec_b64 s[24:25], s[8:9]
	s_cbranch_execz .LBB6572_83
; %bb.82:
	s_waitcnt lgkmcnt(0)
	v_add_u32_e32 v19, v28, v14
	v_mov_b32_e32 v18, 0
	s_mov_b32 s7, 0
	s_add_i32 s6, s6, 64
	v_ashrrev_i64 v[14:15], 29, v[18:19]
	s_lshl_b64 s[6:7], s[6:7], 4
	v_mov_b32_e32 v5, s17
	v_add_co_u32_e32 v14, vcc, s16, v14
	s_add_u32 s6, s18, s6
	v_addc_co_u32_e32 v15, vcc, v5, v15, vcc
	s_addc_u32 s7, s19, s7
	global_load_dwordx2 v[14:15], v[14:15], off
	v_mov_b32_e32 v16, 2
	v_mov_b32_e32 v17, v18
	v_pk_mov_b32 v[18:19], s[6:7], s[6:7] op_sel:[0,1]
	s_waitcnt vmcnt(0)
	;;#ASMSTART
	global_store_dwordx4 v[18:19], v[14:17] off	
s_waitcnt vmcnt(0)
	;;#ASMEND
.LBB6572_83:
	s_or_b64 exec, exec, s[24:25]
	s_and_b64 exec, exec, s[2:3]
	s_cbranch_execz .LBB6572_85
; %bb.84:
	v_mov_b32_e32 v5, 0
	ds_write_b64 v5, v[28:29]
.LBB6572_85:
	s_or_b64 exec, exec, s[10:11]
	v_mov_b32_e32 v16, 0
	s_waitcnt lgkmcnt(0)
	s_barrier
	ds_read_b64 v[14:15], v16
	v_pk_mov_b32 v[18:19], v[2:3], v[2:3] op_sel:[0,1]
	s_and_saveexec_b64 s[2:3], s[0:1]
	s_cbranch_execz .LBB6572_87
; %bb.86:
	v_add_u32_e32 v17, v22, v2
	v_ashrrev_i64 v[18:19], 29, v[16:17]
	v_mov_b32_e32 v5, s17
	v_add_co_u32_e32 v18, vcc, s16, v18
	v_addc_co_u32_e32 v19, vcc, v5, v19, vcc
	global_load_dwordx2 v[18:19], v[18:19], off
.LBB6572_87:
	s_or_b64 exec, exec, s[2:3]
	s_waitcnt vmcnt(0) lgkmcnt(0)
	v_add_u32_e32 v17, v18, v14
	v_ashrrev_i64 v[14:15], 29, v[16:17]
	v_mov_b32_e32 v5, s17
	v_add_co_u32_e32 v14, vcc, s16, v14
	v_addc_co_u32_e32 v15, vcc, v5, v15, vcc
	global_load_dwordx2 v[20:21], v[14:15], off
	s_waitcnt vmcnt(0)
	v_add_u32_e32 v17, v20, v4
	v_ashrrev_i64 v[14:15], 29, v[16:17]
	v_add_co_u32_e32 v14, vcc, s16, v14
	v_addc_co_u32_e32 v15, vcc, v5, v15, vcc
	global_load_dwordx2 v[28:29], v[14:15], off
	s_waitcnt vmcnt(0)
	v_add_u32_e32 v17, v28, v10
	v_ashrrev_i64 v[14:15], 29, v[16:17]
	;; [unrolled: 6-line block ×6, first 2 shown]
	v_add_co_u32_e32 v16, vcc, s16, v16
	v_addc_co_u32_e32 v17, vcc, v5, v17, vcc
	global_load_dwordx2 v[24:25], v[16:17], off
	s_load_dwordx8 s[4:11], s[4:5], 0x40
	s_branch .LBB6572_112
.LBB6572_88:
                                        ; implicit-def: $vgpr18_vgpr19_vgpr20_vgpr21
                                        ; implicit-def: $vgpr24_vgpr25
                                        ; implicit-def: $vgpr32_vgpr33
                                        ; implicit-def: $vgpr30_vgpr31
                                        ; implicit-def: $vgpr28_vgpr29
                                        ; implicit-def: $vgpr14_vgpr15_vgpr16_vgpr17
                                        ; implicit-def: $vgpr20_vgpr21_vgpr22_vgpr23
	s_load_dwordx8 s[4:11], s[4:5], 0x40
	s_cbranch_execz .LBB6572_112
; %bb.89:
	s_waitcnt lgkmcnt(0)
	s_cmp_lg_u64 s[8:9], 0
	s_cselect_b64 s[2:3], -1, 0
	v_cmp_eq_u32_e64 s[0:1], 0, v0
	v_cmp_ne_u32_e32 vcc, 0, v0
	s_and_b64 s[2:3], s[0:1], s[2:3]
	s_and_saveexec_b64 s[8:9], s[2:3]
	s_cbranch_execz .LBB6572_91
; %bb.90:
	v_mov_b32_e32 v14, 0
	global_load_dword v3, v14, s[4:5]
	v_mov_b32_e32 v5, s17
	s_waitcnt vmcnt(0)
	v_add_u32_e32 v15, v3, v2
	v_ashrrev_i64 v[2:3], 29, v[14:15]
	v_add_co_u32_e64 v2, s[2:3], s16, v2
	v_addc_co_u32_e64 v3, s[2:3], v5, v3, s[2:3]
	global_load_dwordx2 v[2:3], v[2:3], off
.LBB6572_91:
	s_or_b64 exec, exec, s[8:9]
	s_waitcnt vmcnt(0)
	v_add_u32_e32 v23, v4, v2
	v_mov_b32_e32 v22, 0
	v_ashrrev_i64 v[18:19], 29, v[22:23]
	v_mov_b32_e32 v5, s17
	v_add_co_u32_e64 v14, s[2:3], s16, v18
	v_addc_co_u32_e64 v15, s[2:3], v5, v19, s[2:3]
	global_load_dword v5, v[14:15], off
	v_mov_b32_e32 v7, s17
	v_add_lshl_u32 v1, v1, v0, 3
	s_waitcnt vmcnt(0)
	v_add_u32_e32 v23, v10, v5
	v_ashrrev_i64 v[14:15], 29, v[22:23]
	v_add_co_u32_e64 v14, s[2:3], s16, v14
	v_addc_co_u32_e64 v15, s[2:3], v7, v15, s[2:3]
	global_load_dword v5, v[14:15], off
	s_waitcnt vmcnt(0)
	v_add_u32_e32 v23, v5, v12
	v_ashrrev_i64 v[14:15], 29, v[22:23]
	v_add_co_u32_e64 v14, s[2:3], s16, v14
	v_addc_co_u32_e64 v15, s[2:3], v7, v15, s[2:3]
	global_load_dword v5, v[14:15], off
	;; [unrolled: 6-line block ×4, first 2 shown]
	s_waitcnt vmcnt(0)
	v_add_u32_e32 v23, v5, v26
	v_ashrrev_i64 v[14:15], 29, v[22:23]
	v_add_co_u32_e64 v14, s[2:3], s16, v14
	v_addc_co_u32_e64 v15, s[2:3], v7, v15, s[2:3]
	global_load_dwordx2 v[20:21], v[14:15], off
	v_cmp_gt_u32_e64 s[2:3], 64, v0
	s_waitcnt vmcnt(0)
	ds_write_b64 v1, v[20:21]
	s_waitcnt lgkmcnt(0)
	s_barrier
	s_and_saveexec_b64 s[4:5], s[2:3]
	s_cbranch_execz .LBB6572_105
; %bb.92:
	v_lshlrev_b32_e32 v1, 1, v0
	v_lshrrev_b32_e32 v5, 4, v0
	v_add_lshl_u32 v1, v5, v1, 3
	ds_read2_b64 v[14:17], v1 offset1:1
	v_mov_b32_e32 v5, s17
	s_waitcnt lgkmcnt(0)
	v_add_u32_e32 v23, v16, v14
	v_ashrrev_i64 v[16:17], 29, v[22:23]
	v_add_co_u32_e64 v16, s[2:3], s16, v16
	v_addc_co_u32_e64 v17, s[2:3], v5, v17, s[2:3]
	global_load_dwordx2 v[16:17], v[16:17], off
	v_mbcnt_lo_u32_b32 v5, -1, 0
	v_mbcnt_hi_u32_b32 v5, -1, v5
	v_and_b32_e32 v7, 15, v5
	v_cmp_ne_u32_e64 s[2:3], 0, v7
	s_waitcnt vmcnt(0)
	v_mov_b32_dpp v9, v16 row_shr:1 row_mask:0xf bank_mask:0xf
	s_and_saveexec_b64 s[8:9], s[2:3]
	s_cbranch_execz .LBB6572_94
; %bb.93:
	v_add_u32_e32 v17, v16, v9
	v_mov_b32_e32 v16, 0
	v_ashrrev_i64 v[16:17], 29, v[16:17]
	v_mov_b32_e32 v9, s17
	v_add_co_u32_e64 v16, s[2:3], s16, v16
	v_addc_co_u32_e64 v17, s[2:3], v9, v17, s[2:3]
	global_load_dwordx2 v[16:17], v[16:17], off
.LBB6572_94:
	s_or_b64 exec, exec, s[8:9]
	s_waitcnt vmcnt(0)
	v_mov_b32_dpp v9, v16 row_shr:2 row_mask:0xf bank_mask:0xf
	v_cmp_lt_u32_e64 s[2:3], 1, v7
	s_and_saveexec_b64 s[8:9], s[2:3]
	s_cbranch_execz .LBB6572_96
; %bb.95:
	v_add_u32_e32 v17, v16, v9
	v_mov_b32_e32 v16, 0
	v_ashrrev_i64 v[16:17], 29, v[16:17]
	v_mov_b32_e32 v9, s17
	v_add_co_u32_e64 v16, s[2:3], s16, v16
	v_addc_co_u32_e64 v17, s[2:3], v9, v17, s[2:3]
	global_load_dwordx2 v[16:17], v[16:17], off
.LBB6572_96:
	s_or_b64 exec, exec, s[8:9]
	s_waitcnt vmcnt(0)
	v_mov_b32_dpp v9, v16 row_shr:4 row_mask:0xf bank_mask:0xf
	v_cmp_lt_u32_e64 s[2:3], 3, v7
	;; [unrolled: 15-line block ×3, first 2 shown]
	s_and_saveexec_b64 s[8:9], s[2:3]
	s_cbranch_execz .LBB6572_100
; %bb.99:
	v_add_u32_e32 v17, v16, v9
	v_mov_b32_e32 v16, 0
	v_ashrrev_i64 v[16:17], 29, v[16:17]
	v_mov_b32_e32 v7, s17
	v_add_co_u32_e64 v16, s[2:3], s16, v16
	v_addc_co_u32_e64 v17, s[2:3], v7, v17, s[2:3]
	global_load_dwordx2 v[16:17], v[16:17], off
.LBB6572_100:
	s_or_b64 exec, exec, s[8:9]
	v_and_b32_e32 v9, 16, v5
	s_waitcnt vmcnt(0)
	v_mov_b32_dpp v7, v16 row_bcast:15 row_mask:0xf bank_mask:0xf
	v_cmp_ne_u32_e64 s[2:3], 0, v9
	s_and_saveexec_b64 s[8:9], s[2:3]
	s_cbranch_execz .LBB6572_102
; %bb.101:
	v_add_u32_e32 v17, v16, v7
	v_mov_b32_e32 v16, 0
	v_ashrrev_i64 v[16:17], 29, v[16:17]
	v_mov_b32_e32 v7, s17
	v_add_co_u32_e64 v16, s[2:3], s16, v16
	v_addc_co_u32_e64 v17, s[2:3], v7, v17, s[2:3]
	global_load_dwordx2 v[16:17], v[16:17], off
.LBB6572_102:
	s_or_b64 exec, exec, s[8:9]
	s_waitcnt vmcnt(0)
	v_mov_b32_dpp v7, v16 row_bcast:31 row_mask:0xf bank_mask:0xf
	v_cmp_lt_u32_e64 s[2:3], 31, v5
	s_and_saveexec_b64 s[8:9], s[2:3]
	s_cbranch_execz .LBB6572_104
; %bb.103:
	v_add_u32_e32 v17, v16, v7
	v_mov_b32_e32 v16, 0
	v_ashrrev_i64 v[16:17], 29, v[16:17]
	v_mov_b32_e32 v7, s17
	v_add_co_u32_e64 v16, s[2:3], s16, v16
	v_addc_co_u32_e64 v17, s[2:3], v7, v17, s[2:3]
	global_load_dword v16, v[16:17], off
.LBB6572_104:
	s_or_b64 exec, exec, s[8:9]
	v_add_u32_e32 v7, -1, v5
	v_and_b32_e32 v9, 64, v5
	v_cmp_lt_i32_e64 s[2:3], v7, v9
	v_cndmask_b32_e64 v5, v7, v5, s[2:3]
	v_lshlrev_b32_e32 v5, 2, v5
	s_waitcnt vmcnt(0)
	ds_bpermute_b32 v5, v5, v16
	v_mov_b32_e32 v16, 0
	v_mov_b32_e32 v7, s17
	s_waitcnt lgkmcnt(0)
	v_add_u32_e32 v17, v14, v5
	v_ashrrev_i64 v[14:15], 29, v[16:17]
	v_add_co_u32_e64 v14, s[2:3], s16, v14
	v_addc_co_u32_e64 v15, s[2:3], v7, v15, s[2:3]
	global_load_dwordx2 v[14:15], v[14:15], off
	; wave barrier
	s_waitcnt vmcnt(0)
	v_cndmask_b32_e64 v15, v15, v21, s[0:1]
	v_cndmask_b32_e64 v14, v14, v20, s[0:1]
	ds_write_b64 v1, v[14:15]
	; wave barrier
	ds_read_b32 v5, v1 offset:8
	s_waitcnt lgkmcnt(0)
	v_add_u32_e32 v17, v5, v14
	v_ashrrev_i64 v[14:15], 29, v[16:17]
	v_add_co_u32_e64 v14, s[0:1], s16, v14
	v_addc_co_u32_e64 v15, s[0:1], v7, v15, s[0:1]
	global_load_dwordx2 v[14:15], v[14:15], off
	s_waitcnt vmcnt(0)
	ds_write_b64 v1, v[14:15] offset:8
.LBB6572_105:
	s_or_b64 exec, exec, s[4:5]
	s_waitcnt lgkmcnt(0)
	s_barrier
	s_and_saveexec_b64 s[0:1], vcc
	s_cbranch_execz .LBB6572_107
; %bb.106:
	v_add_u32_e32 v1, -1, v0
	v_lshrrev_b32_e32 v5, 5, v1
	v_add_lshl_u32 v1, v5, v1, 3
	ds_read_b64 v[20:21], v1
.LBB6572_107:
	s_or_b64 exec, exec, s[0:1]
	s_and_saveexec_b64 s[0:1], vcc
	s_cbranch_execz .LBB6572_109
; %bb.108:
	s_waitcnt lgkmcnt(0)
	v_add_u32_e32 v15, v20, v2
	v_mov_b32_e32 v14, 0
	v_ashrrev_i64 v[2:3], 29, v[14:15]
	v_mov_b32_e32 v1, s17
	v_add_co_u32_e32 v2, vcc, s16, v2
	v_addc_co_u32_e32 v3, vcc, v1, v3, vcc
	global_load_dwordx2 v[2:3], v[2:3], off
	;;#ASMSTART
	;;#ASMEND
	s_waitcnt vmcnt(0)
	v_add_u32_e32 v15, v2, v4
	v_ashrrev_i64 v[18:19], 29, v[14:15]
.LBB6572_109:
	s_or_b64 exec, exec, s[0:1]
	v_mov_b32_e32 v1, s17
	v_add_co_u32_e32 v4, vcc, s16, v18
	v_addc_co_u32_e32 v5, vcc, v1, v19, vcc
	global_load_dwordx2 v[28:29], v[4:5], off
	v_mov_b32_e32 v4, 0
	s_movk_i32 s0, 0x7f
	s_waitcnt vmcnt(0)
	v_add_u32_e32 v5, v28, v10
	v_ashrrev_i64 v[10:11], 29, v[4:5]
	v_add_co_u32_e32 v10, vcc, s16, v10
	v_addc_co_u32_e32 v11, vcc, v1, v11, vcc
	global_load_dwordx2 v[14:15], v[10:11], off
	s_waitcnt vmcnt(0)
	v_add_u32_e32 v5, v14, v12
	v_ashrrev_i64 v[10:11], 29, v[4:5]
	v_add_co_u32_e32 v10, vcc, s16, v10
	v_addc_co_u32_e32 v11, vcc, v1, v11, vcc
	global_load_dwordx2 v[30:31], v[10:11], off
	;; [unrolled: 6-line block ×5, first 2 shown]
	v_cmp_eq_u32_e32 vcc, s0, v0
	s_and_saveexec_b64 s[0:1], vcc
	s_cbranch_execz .LBB6572_111
; %bb.110:
	s_add_u32 s2, s18, 0x400
	s_addc_u32 s3, s19, 0
	v_mov_b32_e32 v26, 2
	v_mov_b32_e32 v27, v4
	v_pk_mov_b32 v[4:5], s[2:3], s[2:3] op_sel:[0,1]
	s_waitcnt vmcnt(0)
	;;#ASMSTART
	global_store_dwordx4 v[4:5], v[24:27] off	
s_waitcnt vmcnt(0)
	;;#ASMEND
.LBB6572_111:
	s_or_b64 exec, exec, s[0:1]
	s_waitcnt lgkmcnt(0)
	v_pk_mov_b32 v[20:21], v[2:3], v[2:3] op_sel:[0,1]
.LBB6572_112:
	s_add_u32 s0, s12, s20
	s_addc_u32 s1, s13, s21
	s_add_u32 s2, s0, s22
	s_addc_u32 s3, s1, s23
	s_mov_b64 s[0:1], -1
	s_and_b64 vcc, exec, s[14:15]
	v_mul_u32_u24_e32 v1, 56, v0
	s_waitcnt lgkmcnt(0)
	s_barrier
	s_cbranch_vccz .LBB6572_114
; %bb.113:
	v_mul_i32_i24_e32 v2, 0xffffffd0, v0
	v_mad_u32_u24 v16, v0, 56, v2
	ds_write2_b64 v1, v[20:21], v[28:29] offset1:1
	ds_write2_b64 v1, v[14:15], v[30:31] offset0:2 offset1:3
	ds_write2_b64 v1, v[18:19], v[32:33] offset0:4 offset1:5
	s_waitcnt vmcnt(0)
	ds_write_b64 v1, v[24:25] offset:48
	s_waitcnt lgkmcnt(0)
	s_barrier
	ds_read2st64_b64 v[2:5], v16 offset1:2
	ds_read2st64_b64 v[6:9], v16 offset0:4 offset1:6
	ds_read2st64_b64 v[10:13], v16 offset0:8 offset1:10
	ds_read_b64 v[16:17], v16 offset:6144
	v_mov_b32_e32 v23, s3
	v_add_co_u32_e32 v22, vcc, s2, v34
	v_addc_co_u32_e32 v23, vcc, 0, v23, vcc
	s_waitcnt lgkmcnt(3)
	flat_store_dwordx2 v[22:23], v[2:3]
	flat_store_dwordx2 v[22:23], v[4:5] offset:1024
	s_waitcnt lgkmcnt(0)
	flat_store_dwordx2 v[22:23], v[6:7] offset:2048
	flat_store_dwordx2 v[22:23], v[8:9] offset:3072
	v_add_co_u32_e32 v2, vcc, 0x1000, v22
	v_addc_co_u32_e32 v3, vcc, 0, v23, vcc
	flat_store_dwordx2 v[2:3], v[10:11]
	flat_store_dwordx2 v[2:3], v[12:13] offset:1024
	flat_store_dwordx2 v[2:3], v[16:17] offset:2048
	s_mov_b64 s[0:1], 0
.LBB6572_114:
	s_andn2_b64 vcc, exec, s[0:1]
	s_cbranch_vccnz .LBB6572_153
; %bb.115:
	v_mul_i32_i24_e32 v2, 0xffffffd0, v0
	ds_write2_b64 v1, v[20:21], v[28:29] offset1:1
	ds_write2_b64 v1, v[14:15], v[30:31] offset0:2 offset1:3
	ds_write2_b64 v1, v[18:19], v[32:33] offset0:4 offset1:5
	s_waitcnt vmcnt(0)
	ds_write_b64 v1, v[24:25] offset:48
	v_mad_u32_u24 v14, v0, 56, v2
	s_waitcnt lgkmcnt(0)
	s_barrier
	ds_read2st64_b64 v[2:5], v14 offset1:2
	ds_read2st64_b64 v[6:9], v14 offset0:4 offset1:6
	ds_read2st64_b64 v[10:13], v14 offset0:8 offset1:10
	ds_read_b64 v[14:15], v14 offset:6144
	v_mov_b32_e32 v17, s3
	v_add_co_u32_e32 v16, vcc, s2, v34
	v_addc_co_u32_e32 v17, vcc, 0, v17, vcc
	v_mov_b32_e32 v1, 0
	v_cmp_gt_u32_e32 vcc, s33, v0
	s_and_saveexec_b64 s[0:1], vcc
	s_cbranch_execz .LBB6572_117
; %bb.116:
	s_waitcnt lgkmcnt(3)
	flat_store_dwordx2 v[16:17], v[2:3]
.LBB6572_117:
	s_or_b64 exec, exec, s[0:1]
	v_or_b32_e32 v18, 0x80, v0
	v_cmp_gt_u32_e32 vcc, s33, v18
	s_and_saveexec_b64 s[0:1], vcc
	s_cbranch_execz .LBB6572_119
; %bb.118:
	s_waitcnt lgkmcnt(0)
	flat_store_dwordx2 v[16:17], v[4:5] offset:1024
.LBB6572_119:
	s_or_b64 exec, exec, s[0:1]
	v_or_b32_e32 v18, 0x100, v0
	v_cmp_gt_u32_e32 vcc, s33, v18
	s_and_saveexec_b64 s[0:1], vcc
	s_cbranch_execz .LBB6572_121
; %bb.120:
	s_waitcnt lgkmcnt(0)
	flat_store_dwordx2 v[16:17], v[6:7] offset:2048
.LBB6572_121:
	;; [unrolled: 9-line block ×3, first 2 shown]
	s_or_b64 exec, exec, s[0:1]
	v_or_b32_e32 v18, 0x200, v0
	v_cmp_gt_u32_e32 vcc, s33, v18
	s_and_saveexec_b64 s[0:1], vcc
	s_cbranch_execz .LBB6572_125
; %bb.124:
	v_add_co_u32_e32 v18, vcc, 0x1000, v16
	v_addc_co_u32_e32 v19, vcc, 0, v17, vcc
	s_waitcnt lgkmcnt(0)
	flat_store_dwordx2 v[18:19], v[10:11]
.LBB6572_125:
	s_or_b64 exec, exec, s[0:1]
	v_or_b32_e32 v18, 0x280, v0
	v_cmp_gt_u32_e32 vcc, s33, v18
	s_and_saveexec_b64 s[0:1], vcc
	s_cbranch_execz .LBB6572_127
; %bb.126:
	v_add_co_u32_e32 v18, vcc, 0x1000, v16
	v_addc_co_u32_e32 v19, vcc, 0, v17, vcc
	s_waitcnt lgkmcnt(0)
	flat_store_dwordx2 v[18:19], v[12:13] offset:1024
.LBB6572_127:
	s_or_b64 exec, exec, s[0:1]
	v_or_b32_e32 v18, 0x300, v0
	v_cmp_gt_u32_e32 vcc, s33, v18
	s_and_saveexec_b64 s[0:1], vcc
	s_cbranch_execz .LBB6572_129
; %bb.128:
	v_add_co_u32_e32 v16, vcc, 0x1000, v16
	v_addc_co_u32_e32 v17, vcc, 0, v17, vcc
	s_waitcnt lgkmcnt(0)
	flat_store_dwordx2 v[16:17], v[14:15] offset:2048
.LBB6572_129:
	s_or_b64 exec, exec, s[0:1]
	v_cmp_lt_u64_e64 s[0:1], s[10:11], 2
	s_and_b64 vcc, exec, s[0:1]
	s_cbranch_vccnz .LBB6572_153
; %bb.130:
	s_add_u32 s0, s33, -1
	s_addc_u32 s1, s36, -1
	s_add_u32 s2, 0, 0x92481000
	s_addc_u32 s3, 0, 0x64
	s_add_i32 s3, s3, 0x249248c0
	s_mul_hi_u32 s9, s2, -7
	s_sub_i32 s9, s9, s2
	s_mul_i32 s10, s3, -7
	s_mul_i32 s4, s2, -7
	s_add_i32 s9, s9, s10
	s_mul_hi_u32 s5, s3, s4
	s_mul_i32 s8, s3, s4
	s_mul_i32 s11, s2, s9
	s_mul_hi_u32 s4, s2, s4
	s_mul_hi_u32 s10, s2, s9
	s_add_u32 s4, s4, s11
	s_addc_u32 s10, 0, s10
	s_add_u32 s4, s4, s8
	s_mul_hi_u32 s11, s3, s9
	s_addc_u32 s4, s10, s5
	s_addc_u32 s5, s11, 0
	s_mul_i32 s8, s3, s9
	s_add_u32 s4, s4, s8
	v_mov_b32_e32 v16, s4
	s_addc_u32 s5, 0, s5
	v_add_co_u32_e32 v16, vcc, s2, v16
	s_cmp_lg_u64 vcc, 0
	s_addc_u32 s2, s3, s5
	v_readfirstlane_b32 s5, v16
	s_mul_i32 s4, s0, s2
	s_mul_hi_u32 s8, s0, s5
	s_mul_hi_u32 s3, s0, s2
	s_add_u32 s4, s8, s4
	s_addc_u32 s3, 0, s3
	s_mul_hi_u32 s9, s1, s5
	s_mul_i32 s5, s1, s5
	s_add_u32 s4, s4, s5
	s_mul_hi_u32 s8, s1, s2
	s_addc_u32 s3, s3, s9
	s_addc_u32 s4, s8, 0
	s_mul_i32 s2, s1, s2
	s_add_u32 s2, s3, s2
	s_addc_u32 s3, 0, s4
	s_add_u32 s4, s2, 1
	s_addc_u32 s5, s3, 0
	s_add_u32 s8, s2, 2
	s_mul_i32 s10, s3, 7
	s_mul_hi_u32 s11, s2, 7
	s_addc_u32 s9, s3, 0
	s_add_i32 s11, s11, s10
	s_mul_i32 s10, s2, 7
	v_mov_b32_e32 v16, s10
	v_sub_co_u32_e32 v16, vcc, s0, v16
	s_cmp_lg_u64 vcc, 0
	s_subb_u32 s10, s1, s11
	v_subrev_co_u32_e32 v17, vcc, 7, v16
	s_cmp_lg_u64 vcc, 0
	s_subb_u32 s11, s10, 0
	v_readfirstlane_b32 s12, v17
	s_cmp_gt_u32 s12, 6
	s_cselect_b32 s12, -1, 0
	s_cmp_eq_u32 s11, 0
	s_cselect_b32 s11, s12, -1
	s_cmp_lg_u32 s11, 0
	s_cselect_b32 s4, s8, s4
	v_readfirstlane_b32 s8, v16
	s_cselect_b32 s5, s9, s5
	s_cmp_gt_u32 s8, 6
	s_cselect_b32 s8, -1, 0
	s_cmp_eq_u32 s10, 0
	s_cselect_b32 s8, s8, -1
	s_cmp_lg_u32 s8, 0
	s_cselect_b32 s3, s5, s3
	s_cselect_b32 s2, s4, s2
	v_cmp_eq_u64_e32 vcc, s[2:3], v[0:1]
	s_and_saveexec_b64 s[2:3], vcc
	s_cbranch_execz .LBB6572_153
; %bb.131:
	v_mul_hi_u32_u24_e32 v1, 7, v0
	v_mov_b32_e32 v16, s1
	v_sub_co_u32_e32 v0, vcc, s0, v35
	v_subb_co_u32_e32 v1, vcc, v16, v1, vcc
	v_cmp_lt_i64_e32 vcc, 3, v[0:1]
	s_and_saveexec_b64 s[0:1], vcc
	s_xor_b64 s[0:1], exec, s[0:1]
	s_cbranch_execz .LBB6572_141
; %bb.132:
	v_cmp_lt_i64_e32 vcc, 4, v[0:1]
	s_and_saveexec_b64 s[2:3], vcc
	s_xor_b64 s[2:3], exec, s[2:3]
	s_cbranch_execz .LBB6572_138
; %bb.133:
	;; [unrolled: 5-line block ×3, first 2 shown]
	v_mov_b32_e32 v0, 0
	s_waitcnt lgkmcnt(0)
	global_store_dwordx2 v0, v[14:15], s[6:7]
                                        ; implicit-def: $vgpr10_vgpr11_vgpr12_vgpr13
.LBB6572_135:
	s_andn2_saveexec_b64 s[4:5], s[4:5]
	s_cbranch_execz .LBB6572_137
; %bb.136:
	v_mov_b32_e32 v0, 0
	s_waitcnt lgkmcnt(0)
	global_store_dwordx2 v0, v[12:13], s[6:7]
.LBB6572_137:
	s_or_b64 exec, exec, s[4:5]
                                        ; implicit-def: $vgpr10_vgpr11_vgpr12_vgpr13
.LBB6572_138:
	s_andn2_saveexec_b64 s[2:3], s[2:3]
	s_cbranch_execz .LBB6572_140
; %bb.139:
	v_mov_b32_e32 v0, 0
	s_waitcnt lgkmcnt(0)
	global_store_dwordx2 v0, v[10:11], s[6:7]
.LBB6572_140:
	s_or_b64 exec, exec, s[2:3]
                                        ; implicit-def: $vgpr0_vgpr1
                                        ; implicit-def: $vgpr2_vgpr3_vgpr4_vgpr5
                                        ; implicit-def: $vgpr6_vgpr7_vgpr8_vgpr9
.LBB6572_141:
	s_andn2_saveexec_b64 s[0:1], s[0:1]
	s_cbranch_execz .LBB6572_153
; %bb.142:
	v_cmp_lt_i64_e32 vcc, 1, v[0:1]
	s_and_saveexec_b64 s[0:1], vcc
	s_xor_b64 s[0:1], exec, s[0:1]
	s_cbranch_execz .LBB6572_148
; %bb.143:
	v_cmp_lt_i64_e32 vcc, 2, v[0:1]
	s_and_saveexec_b64 s[2:3], vcc
	s_xor_b64 s[2:3], exec, s[2:3]
	s_cbranch_execz .LBB6572_145
; %bb.144:
	v_mov_b32_e32 v0, 0
	s_waitcnt lgkmcnt(0)
	global_store_dwordx2 v0, v[8:9], s[6:7]
                                        ; implicit-def: $vgpr6_vgpr7_vgpr8_vgpr9
.LBB6572_145:
	s_andn2_saveexec_b64 s[2:3], s[2:3]
	s_cbranch_execz .LBB6572_147
; %bb.146:
	v_mov_b32_e32 v0, 0
	s_waitcnt lgkmcnt(0)
	global_store_dwordx2 v0, v[6:7], s[6:7]
.LBB6572_147:
	s_or_b64 exec, exec, s[2:3]
                                        ; implicit-def: $vgpr2_vgpr3_vgpr4_vgpr5
                                        ; implicit-def: $vgpr0_vgpr1
.LBB6572_148:
	s_andn2_saveexec_b64 s[0:1], s[0:1]
	s_cbranch_execz .LBB6572_153
; %bb.149:
	v_cmp_ne_u64_e32 vcc, 1, v[0:1]
	s_and_saveexec_b64 s[0:1], vcc
	s_xor_b64 s[0:1], exec, s[0:1]
	s_cbranch_execz .LBB6572_151
; %bb.150:
	v_mov_b32_e32 v0, 0
	s_waitcnt lgkmcnt(0)
	global_store_dwordx2 v0, v[2:3], s[6:7]
                                        ; implicit-def: $vgpr2_vgpr3_vgpr4_vgpr5
.LBB6572_151:
	s_andn2_saveexec_b64 s[0:1], s[0:1]
	s_cbranch_execz .LBB6572_153
; %bb.152:
	v_mov_b32_e32 v0, 0
	s_waitcnt lgkmcnt(0)
	global_store_dwordx2 v0, v[4:5], s[6:7]
.LBB6572_153:
	s_endpgm
	.section	.rodata,"a",@progbits
	.p2align	6, 0x0
	.amdhsa_kernel _ZN7rocprim17ROCPRIM_400000_NS6detail17trampoline_kernelINS0_14default_configENS1_20scan_config_selectorIxEEZZNS1_9scan_implILNS1_25lookback_scan_determinismE0ELb0ELb0ES3_N6thrust23THRUST_200600_302600_NS6detail15normal_iteratorINS9_10device_ptrIxEEEESE_x9plus_mod3IxExEEDaPvRmT3_T4_T5_mT6_P12ihipStream_tbENKUlT_T0_E_clISt17integral_constantIbLb1EEST_IbLb0EEEEDaSP_SQ_EUlSP_E_NS1_11comp_targetILNS1_3genE4ELNS1_11target_archE910ELNS1_3gpuE8ELNS1_3repE0EEENS1_30default_config_static_selectorELNS0_4arch9wavefront6targetE1EEEvT1_
		.amdhsa_group_segment_fixed_size 7168
		.amdhsa_private_segment_fixed_size 0
		.amdhsa_kernarg_size 104
		.amdhsa_user_sgpr_count 6
		.amdhsa_user_sgpr_private_segment_buffer 1
		.amdhsa_user_sgpr_dispatch_ptr 0
		.amdhsa_user_sgpr_queue_ptr 0
		.amdhsa_user_sgpr_kernarg_segment_ptr 1
		.amdhsa_user_sgpr_dispatch_id 0
		.amdhsa_user_sgpr_flat_scratch_init 0
		.amdhsa_user_sgpr_kernarg_preload_length 0
		.amdhsa_user_sgpr_kernarg_preload_offset 0
		.amdhsa_user_sgpr_private_segment_size 0
		.amdhsa_uses_dynamic_stack 0
		.amdhsa_system_sgpr_private_segment_wavefront_offset 0
		.amdhsa_system_sgpr_workgroup_id_x 1
		.amdhsa_system_sgpr_workgroup_id_y 0
		.amdhsa_system_sgpr_workgroup_id_z 0
		.amdhsa_system_sgpr_workgroup_info 0
		.amdhsa_system_vgpr_workitem_id 0
		.amdhsa_next_free_vgpr 39
		.amdhsa_next_free_sgpr 40
		.amdhsa_accum_offset 40
		.amdhsa_reserve_vcc 1
		.amdhsa_reserve_flat_scratch 0
		.amdhsa_float_round_mode_32 0
		.amdhsa_float_round_mode_16_64 0
		.amdhsa_float_denorm_mode_32 3
		.amdhsa_float_denorm_mode_16_64 3
		.amdhsa_dx10_clamp 1
		.amdhsa_ieee_mode 1
		.amdhsa_fp16_overflow 0
		.amdhsa_tg_split 0
		.amdhsa_exception_fp_ieee_invalid_op 0
		.amdhsa_exception_fp_denorm_src 0
		.amdhsa_exception_fp_ieee_div_zero 0
		.amdhsa_exception_fp_ieee_overflow 0
		.amdhsa_exception_fp_ieee_underflow 0
		.amdhsa_exception_fp_ieee_inexact 0
		.amdhsa_exception_int_div_zero 0
	.end_amdhsa_kernel
	.section	.text._ZN7rocprim17ROCPRIM_400000_NS6detail17trampoline_kernelINS0_14default_configENS1_20scan_config_selectorIxEEZZNS1_9scan_implILNS1_25lookback_scan_determinismE0ELb0ELb0ES3_N6thrust23THRUST_200600_302600_NS6detail15normal_iteratorINS9_10device_ptrIxEEEESE_x9plus_mod3IxExEEDaPvRmT3_T4_T5_mT6_P12ihipStream_tbENKUlT_T0_E_clISt17integral_constantIbLb1EEST_IbLb0EEEEDaSP_SQ_EUlSP_E_NS1_11comp_targetILNS1_3genE4ELNS1_11target_archE910ELNS1_3gpuE8ELNS1_3repE0EEENS1_30default_config_static_selectorELNS0_4arch9wavefront6targetE1EEEvT1_,"axG",@progbits,_ZN7rocprim17ROCPRIM_400000_NS6detail17trampoline_kernelINS0_14default_configENS1_20scan_config_selectorIxEEZZNS1_9scan_implILNS1_25lookback_scan_determinismE0ELb0ELb0ES3_N6thrust23THRUST_200600_302600_NS6detail15normal_iteratorINS9_10device_ptrIxEEEESE_x9plus_mod3IxExEEDaPvRmT3_T4_T5_mT6_P12ihipStream_tbENKUlT_T0_E_clISt17integral_constantIbLb1EEST_IbLb0EEEEDaSP_SQ_EUlSP_E_NS1_11comp_targetILNS1_3genE4ELNS1_11target_archE910ELNS1_3gpuE8ELNS1_3repE0EEENS1_30default_config_static_selectorELNS0_4arch9wavefront6targetE1EEEvT1_,comdat
.Lfunc_end6572:
	.size	_ZN7rocprim17ROCPRIM_400000_NS6detail17trampoline_kernelINS0_14default_configENS1_20scan_config_selectorIxEEZZNS1_9scan_implILNS1_25lookback_scan_determinismE0ELb0ELb0ES3_N6thrust23THRUST_200600_302600_NS6detail15normal_iteratorINS9_10device_ptrIxEEEESE_x9plus_mod3IxExEEDaPvRmT3_T4_T5_mT6_P12ihipStream_tbENKUlT_T0_E_clISt17integral_constantIbLb1EEST_IbLb0EEEEDaSP_SQ_EUlSP_E_NS1_11comp_targetILNS1_3genE4ELNS1_11target_archE910ELNS1_3gpuE8ELNS1_3repE0EEENS1_30default_config_static_selectorELNS0_4arch9wavefront6targetE1EEEvT1_, .Lfunc_end6572-_ZN7rocprim17ROCPRIM_400000_NS6detail17trampoline_kernelINS0_14default_configENS1_20scan_config_selectorIxEEZZNS1_9scan_implILNS1_25lookback_scan_determinismE0ELb0ELb0ES3_N6thrust23THRUST_200600_302600_NS6detail15normal_iteratorINS9_10device_ptrIxEEEESE_x9plus_mod3IxExEEDaPvRmT3_T4_T5_mT6_P12ihipStream_tbENKUlT_T0_E_clISt17integral_constantIbLb1EEST_IbLb0EEEEDaSP_SQ_EUlSP_E_NS1_11comp_targetILNS1_3genE4ELNS1_11target_archE910ELNS1_3gpuE8ELNS1_3repE0EEENS1_30default_config_static_selectorELNS0_4arch9wavefront6targetE1EEEvT1_
                                        ; -- End function
	.section	.AMDGPU.csdata,"",@progbits
; Kernel info:
; codeLenInByte = 6908
; NumSgprs: 44
; NumVgprs: 39
; NumAgprs: 0
; TotalNumVgprs: 39
; ScratchSize: 0
; MemoryBound: 0
; FloatMode: 240
; IeeeMode: 1
; LDSByteSize: 7168 bytes/workgroup (compile time only)
; SGPRBlocks: 5
; VGPRBlocks: 4
; NumSGPRsForWavesPerEU: 44
; NumVGPRsForWavesPerEU: 39
; AccumOffset: 40
; Occupancy: 5
; WaveLimiterHint : 1
; COMPUTE_PGM_RSRC2:SCRATCH_EN: 0
; COMPUTE_PGM_RSRC2:USER_SGPR: 6
; COMPUTE_PGM_RSRC2:TRAP_HANDLER: 0
; COMPUTE_PGM_RSRC2:TGID_X_EN: 1
; COMPUTE_PGM_RSRC2:TGID_Y_EN: 0
; COMPUTE_PGM_RSRC2:TGID_Z_EN: 0
; COMPUTE_PGM_RSRC2:TIDIG_COMP_CNT: 0
; COMPUTE_PGM_RSRC3_GFX90A:ACCUM_OFFSET: 9
; COMPUTE_PGM_RSRC3_GFX90A:TG_SPLIT: 0
	.section	.text._ZN7rocprim17ROCPRIM_400000_NS6detail17trampoline_kernelINS0_14default_configENS1_20scan_config_selectorIxEEZZNS1_9scan_implILNS1_25lookback_scan_determinismE0ELb0ELb0ES3_N6thrust23THRUST_200600_302600_NS6detail15normal_iteratorINS9_10device_ptrIxEEEESE_x9plus_mod3IxExEEDaPvRmT3_T4_T5_mT6_P12ihipStream_tbENKUlT_T0_E_clISt17integral_constantIbLb1EEST_IbLb0EEEEDaSP_SQ_EUlSP_E_NS1_11comp_targetILNS1_3genE3ELNS1_11target_archE908ELNS1_3gpuE7ELNS1_3repE0EEENS1_30default_config_static_selectorELNS0_4arch9wavefront6targetE1EEEvT1_,"axG",@progbits,_ZN7rocprim17ROCPRIM_400000_NS6detail17trampoline_kernelINS0_14default_configENS1_20scan_config_selectorIxEEZZNS1_9scan_implILNS1_25lookback_scan_determinismE0ELb0ELb0ES3_N6thrust23THRUST_200600_302600_NS6detail15normal_iteratorINS9_10device_ptrIxEEEESE_x9plus_mod3IxExEEDaPvRmT3_T4_T5_mT6_P12ihipStream_tbENKUlT_T0_E_clISt17integral_constantIbLb1EEST_IbLb0EEEEDaSP_SQ_EUlSP_E_NS1_11comp_targetILNS1_3genE3ELNS1_11target_archE908ELNS1_3gpuE7ELNS1_3repE0EEENS1_30default_config_static_selectorELNS0_4arch9wavefront6targetE1EEEvT1_,comdat
	.protected	_ZN7rocprim17ROCPRIM_400000_NS6detail17trampoline_kernelINS0_14default_configENS1_20scan_config_selectorIxEEZZNS1_9scan_implILNS1_25lookback_scan_determinismE0ELb0ELb0ES3_N6thrust23THRUST_200600_302600_NS6detail15normal_iteratorINS9_10device_ptrIxEEEESE_x9plus_mod3IxExEEDaPvRmT3_T4_T5_mT6_P12ihipStream_tbENKUlT_T0_E_clISt17integral_constantIbLb1EEST_IbLb0EEEEDaSP_SQ_EUlSP_E_NS1_11comp_targetILNS1_3genE3ELNS1_11target_archE908ELNS1_3gpuE7ELNS1_3repE0EEENS1_30default_config_static_selectorELNS0_4arch9wavefront6targetE1EEEvT1_ ; -- Begin function _ZN7rocprim17ROCPRIM_400000_NS6detail17trampoline_kernelINS0_14default_configENS1_20scan_config_selectorIxEEZZNS1_9scan_implILNS1_25lookback_scan_determinismE0ELb0ELb0ES3_N6thrust23THRUST_200600_302600_NS6detail15normal_iteratorINS9_10device_ptrIxEEEESE_x9plus_mod3IxExEEDaPvRmT3_T4_T5_mT6_P12ihipStream_tbENKUlT_T0_E_clISt17integral_constantIbLb1EEST_IbLb0EEEEDaSP_SQ_EUlSP_E_NS1_11comp_targetILNS1_3genE3ELNS1_11target_archE908ELNS1_3gpuE7ELNS1_3repE0EEENS1_30default_config_static_selectorELNS0_4arch9wavefront6targetE1EEEvT1_
	.globl	_ZN7rocprim17ROCPRIM_400000_NS6detail17trampoline_kernelINS0_14default_configENS1_20scan_config_selectorIxEEZZNS1_9scan_implILNS1_25lookback_scan_determinismE0ELb0ELb0ES3_N6thrust23THRUST_200600_302600_NS6detail15normal_iteratorINS9_10device_ptrIxEEEESE_x9plus_mod3IxExEEDaPvRmT3_T4_T5_mT6_P12ihipStream_tbENKUlT_T0_E_clISt17integral_constantIbLb1EEST_IbLb0EEEEDaSP_SQ_EUlSP_E_NS1_11comp_targetILNS1_3genE3ELNS1_11target_archE908ELNS1_3gpuE7ELNS1_3repE0EEENS1_30default_config_static_selectorELNS0_4arch9wavefront6targetE1EEEvT1_
	.p2align	8
	.type	_ZN7rocprim17ROCPRIM_400000_NS6detail17trampoline_kernelINS0_14default_configENS1_20scan_config_selectorIxEEZZNS1_9scan_implILNS1_25lookback_scan_determinismE0ELb0ELb0ES3_N6thrust23THRUST_200600_302600_NS6detail15normal_iteratorINS9_10device_ptrIxEEEESE_x9plus_mod3IxExEEDaPvRmT3_T4_T5_mT6_P12ihipStream_tbENKUlT_T0_E_clISt17integral_constantIbLb1EEST_IbLb0EEEEDaSP_SQ_EUlSP_E_NS1_11comp_targetILNS1_3genE3ELNS1_11target_archE908ELNS1_3gpuE7ELNS1_3repE0EEENS1_30default_config_static_selectorELNS0_4arch9wavefront6targetE1EEEvT1_,@function
_ZN7rocprim17ROCPRIM_400000_NS6detail17trampoline_kernelINS0_14default_configENS1_20scan_config_selectorIxEEZZNS1_9scan_implILNS1_25lookback_scan_determinismE0ELb0ELb0ES3_N6thrust23THRUST_200600_302600_NS6detail15normal_iteratorINS9_10device_ptrIxEEEESE_x9plus_mod3IxExEEDaPvRmT3_T4_T5_mT6_P12ihipStream_tbENKUlT_T0_E_clISt17integral_constantIbLb1EEST_IbLb0EEEEDaSP_SQ_EUlSP_E_NS1_11comp_targetILNS1_3genE3ELNS1_11target_archE908ELNS1_3gpuE7ELNS1_3repE0EEENS1_30default_config_static_selectorELNS0_4arch9wavefront6targetE1EEEvT1_: ; @_ZN7rocprim17ROCPRIM_400000_NS6detail17trampoline_kernelINS0_14default_configENS1_20scan_config_selectorIxEEZZNS1_9scan_implILNS1_25lookback_scan_determinismE0ELb0ELb0ES3_N6thrust23THRUST_200600_302600_NS6detail15normal_iteratorINS9_10device_ptrIxEEEESE_x9plus_mod3IxExEEDaPvRmT3_T4_T5_mT6_P12ihipStream_tbENKUlT_T0_E_clISt17integral_constantIbLb1EEST_IbLb0EEEEDaSP_SQ_EUlSP_E_NS1_11comp_targetILNS1_3genE3ELNS1_11target_archE908ELNS1_3gpuE7ELNS1_3repE0EEENS1_30default_config_static_selectorELNS0_4arch9wavefront6targetE1EEEvT1_
; %bb.0:
	.section	.rodata,"a",@progbits
	.p2align	6, 0x0
	.amdhsa_kernel _ZN7rocprim17ROCPRIM_400000_NS6detail17trampoline_kernelINS0_14default_configENS1_20scan_config_selectorIxEEZZNS1_9scan_implILNS1_25lookback_scan_determinismE0ELb0ELb0ES3_N6thrust23THRUST_200600_302600_NS6detail15normal_iteratorINS9_10device_ptrIxEEEESE_x9plus_mod3IxExEEDaPvRmT3_T4_T5_mT6_P12ihipStream_tbENKUlT_T0_E_clISt17integral_constantIbLb1EEST_IbLb0EEEEDaSP_SQ_EUlSP_E_NS1_11comp_targetILNS1_3genE3ELNS1_11target_archE908ELNS1_3gpuE7ELNS1_3repE0EEENS1_30default_config_static_selectorELNS0_4arch9wavefront6targetE1EEEvT1_
		.amdhsa_group_segment_fixed_size 0
		.amdhsa_private_segment_fixed_size 0
		.amdhsa_kernarg_size 104
		.amdhsa_user_sgpr_count 6
		.amdhsa_user_sgpr_private_segment_buffer 1
		.amdhsa_user_sgpr_dispatch_ptr 0
		.amdhsa_user_sgpr_queue_ptr 0
		.amdhsa_user_sgpr_kernarg_segment_ptr 1
		.amdhsa_user_sgpr_dispatch_id 0
		.amdhsa_user_sgpr_flat_scratch_init 0
		.amdhsa_user_sgpr_kernarg_preload_length 0
		.amdhsa_user_sgpr_kernarg_preload_offset 0
		.amdhsa_user_sgpr_private_segment_size 0
		.amdhsa_uses_dynamic_stack 0
		.amdhsa_system_sgpr_private_segment_wavefront_offset 0
		.amdhsa_system_sgpr_workgroup_id_x 1
		.amdhsa_system_sgpr_workgroup_id_y 0
		.amdhsa_system_sgpr_workgroup_id_z 0
		.amdhsa_system_sgpr_workgroup_info 0
		.amdhsa_system_vgpr_workitem_id 0
		.amdhsa_next_free_vgpr 1
		.amdhsa_next_free_sgpr 0
		.amdhsa_accum_offset 4
		.amdhsa_reserve_vcc 0
		.amdhsa_reserve_flat_scratch 0
		.amdhsa_float_round_mode_32 0
		.amdhsa_float_round_mode_16_64 0
		.amdhsa_float_denorm_mode_32 3
		.amdhsa_float_denorm_mode_16_64 3
		.amdhsa_dx10_clamp 1
		.amdhsa_ieee_mode 1
		.amdhsa_fp16_overflow 0
		.amdhsa_tg_split 0
		.amdhsa_exception_fp_ieee_invalid_op 0
		.amdhsa_exception_fp_denorm_src 0
		.amdhsa_exception_fp_ieee_div_zero 0
		.amdhsa_exception_fp_ieee_overflow 0
		.amdhsa_exception_fp_ieee_underflow 0
		.amdhsa_exception_fp_ieee_inexact 0
		.amdhsa_exception_int_div_zero 0
	.end_amdhsa_kernel
	.section	.text._ZN7rocprim17ROCPRIM_400000_NS6detail17trampoline_kernelINS0_14default_configENS1_20scan_config_selectorIxEEZZNS1_9scan_implILNS1_25lookback_scan_determinismE0ELb0ELb0ES3_N6thrust23THRUST_200600_302600_NS6detail15normal_iteratorINS9_10device_ptrIxEEEESE_x9plus_mod3IxExEEDaPvRmT3_T4_T5_mT6_P12ihipStream_tbENKUlT_T0_E_clISt17integral_constantIbLb1EEST_IbLb0EEEEDaSP_SQ_EUlSP_E_NS1_11comp_targetILNS1_3genE3ELNS1_11target_archE908ELNS1_3gpuE7ELNS1_3repE0EEENS1_30default_config_static_selectorELNS0_4arch9wavefront6targetE1EEEvT1_,"axG",@progbits,_ZN7rocprim17ROCPRIM_400000_NS6detail17trampoline_kernelINS0_14default_configENS1_20scan_config_selectorIxEEZZNS1_9scan_implILNS1_25lookback_scan_determinismE0ELb0ELb0ES3_N6thrust23THRUST_200600_302600_NS6detail15normal_iteratorINS9_10device_ptrIxEEEESE_x9plus_mod3IxExEEDaPvRmT3_T4_T5_mT6_P12ihipStream_tbENKUlT_T0_E_clISt17integral_constantIbLb1EEST_IbLb0EEEEDaSP_SQ_EUlSP_E_NS1_11comp_targetILNS1_3genE3ELNS1_11target_archE908ELNS1_3gpuE7ELNS1_3repE0EEENS1_30default_config_static_selectorELNS0_4arch9wavefront6targetE1EEEvT1_,comdat
.Lfunc_end6573:
	.size	_ZN7rocprim17ROCPRIM_400000_NS6detail17trampoline_kernelINS0_14default_configENS1_20scan_config_selectorIxEEZZNS1_9scan_implILNS1_25lookback_scan_determinismE0ELb0ELb0ES3_N6thrust23THRUST_200600_302600_NS6detail15normal_iteratorINS9_10device_ptrIxEEEESE_x9plus_mod3IxExEEDaPvRmT3_T4_T5_mT6_P12ihipStream_tbENKUlT_T0_E_clISt17integral_constantIbLb1EEST_IbLb0EEEEDaSP_SQ_EUlSP_E_NS1_11comp_targetILNS1_3genE3ELNS1_11target_archE908ELNS1_3gpuE7ELNS1_3repE0EEENS1_30default_config_static_selectorELNS0_4arch9wavefront6targetE1EEEvT1_, .Lfunc_end6573-_ZN7rocprim17ROCPRIM_400000_NS6detail17trampoline_kernelINS0_14default_configENS1_20scan_config_selectorIxEEZZNS1_9scan_implILNS1_25lookback_scan_determinismE0ELb0ELb0ES3_N6thrust23THRUST_200600_302600_NS6detail15normal_iteratorINS9_10device_ptrIxEEEESE_x9plus_mod3IxExEEDaPvRmT3_T4_T5_mT6_P12ihipStream_tbENKUlT_T0_E_clISt17integral_constantIbLb1EEST_IbLb0EEEEDaSP_SQ_EUlSP_E_NS1_11comp_targetILNS1_3genE3ELNS1_11target_archE908ELNS1_3gpuE7ELNS1_3repE0EEENS1_30default_config_static_selectorELNS0_4arch9wavefront6targetE1EEEvT1_
                                        ; -- End function
	.section	.AMDGPU.csdata,"",@progbits
; Kernel info:
; codeLenInByte = 0
; NumSgprs: 4
; NumVgprs: 0
; NumAgprs: 0
; TotalNumVgprs: 0
; ScratchSize: 0
; MemoryBound: 0
; FloatMode: 240
; IeeeMode: 1
; LDSByteSize: 0 bytes/workgroup (compile time only)
; SGPRBlocks: 0
; VGPRBlocks: 0
; NumSGPRsForWavesPerEU: 4
; NumVGPRsForWavesPerEU: 1
; AccumOffset: 4
; Occupancy: 8
; WaveLimiterHint : 0
; COMPUTE_PGM_RSRC2:SCRATCH_EN: 0
; COMPUTE_PGM_RSRC2:USER_SGPR: 6
; COMPUTE_PGM_RSRC2:TRAP_HANDLER: 0
; COMPUTE_PGM_RSRC2:TGID_X_EN: 1
; COMPUTE_PGM_RSRC2:TGID_Y_EN: 0
; COMPUTE_PGM_RSRC2:TGID_Z_EN: 0
; COMPUTE_PGM_RSRC2:TIDIG_COMP_CNT: 0
; COMPUTE_PGM_RSRC3_GFX90A:ACCUM_OFFSET: 0
; COMPUTE_PGM_RSRC3_GFX90A:TG_SPLIT: 0
	.section	.text._ZN7rocprim17ROCPRIM_400000_NS6detail17trampoline_kernelINS0_14default_configENS1_20scan_config_selectorIxEEZZNS1_9scan_implILNS1_25lookback_scan_determinismE0ELb0ELb0ES3_N6thrust23THRUST_200600_302600_NS6detail15normal_iteratorINS9_10device_ptrIxEEEESE_x9plus_mod3IxExEEDaPvRmT3_T4_T5_mT6_P12ihipStream_tbENKUlT_T0_E_clISt17integral_constantIbLb1EEST_IbLb0EEEEDaSP_SQ_EUlSP_E_NS1_11comp_targetILNS1_3genE2ELNS1_11target_archE906ELNS1_3gpuE6ELNS1_3repE0EEENS1_30default_config_static_selectorELNS0_4arch9wavefront6targetE1EEEvT1_,"axG",@progbits,_ZN7rocprim17ROCPRIM_400000_NS6detail17trampoline_kernelINS0_14default_configENS1_20scan_config_selectorIxEEZZNS1_9scan_implILNS1_25lookback_scan_determinismE0ELb0ELb0ES3_N6thrust23THRUST_200600_302600_NS6detail15normal_iteratorINS9_10device_ptrIxEEEESE_x9plus_mod3IxExEEDaPvRmT3_T4_T5_mT6_P12ihipStream_tbENKUlT_T0_E_clISt17integral_constantIbLb1EEST_IbLb0EEEEDaSP_SQ_EUlSP_E_NS1_11comp_targetILNS1_3genE2ELNS1_11target_archE906ELNS1_3gpuE6ELNS1_3repE0EEENS1_30default_config_static_selectorELNS0_4arch9wavefront6targetE1EEEvT1_,comdat
	.protected	_ZN7rocprim17ROCPRIM_400000_NS6detail17trampoline_kernelINS0_14default_configENS1_20scan_config_selectorIxEEZZNS1_9scan_implILNS1_25lookback_scan_determinismE0ELb0ELb0ES3_N6thrust23THRUST_200600_302600_NS6detail15normal_iteratorINS9_10device_ptrIxEEEESE_x9plus_mod3IxExEEDaPvRmT3_T4_T5_mT6_P12ihipStream_tbENKUlT_T0_E_clISt17integral_constantIbLb1EEST_IbLb0EEEEDaSP_SQ_EUlSP_E_NS1_11comp_targetILNS1_3genE2ELNS1_11target_archE906ELNS1_3gpuE6ELNS1_3repE0EEENS1_30default_config_static_selectorELNS0_4arch9wavefront6targetE1EEEvT1_ ; -- Begin function _ZN7rocprim17ROCPRIM_400000_NS6detail17trampoline_kernelINS0_14default_configENS1_20scan_config_selectorIxEEZZNS1_9scan_implILNS1_25lookback_scan_determinismE0ELb0ELb0ES3_N6thrust23THRUST_200600_302600_NS6detail15normal_iteratorINS9_10device_ptrIxEEEESE_x9plus_mod3IxExEEDaPvRmT3_T4_T5_mT6_P12ihipStream_tbENKUlT_T0_E_clISt17integral_constantIbLb1EEST_IbLb0EEEEDaSP_SQ_EUlSP_E_NS1_11comp_targetILNS1_3genE2ELNS1_11target_archE906ELNS1_3gpuE6ELNS1_3repE0EEENS1_30default_config_static_selectorELNS0_4arch9wavefront6targetE1EEEvT1_
	.globl	_ZN7rocprim17ROCPRIM_400000_NS6detail17trampoline_kernelINS0_14default_configENS1_20scan_config_selectorIxEEZZNS1_9scan_implILNS1_25lookback_scan_determinismE0ELb0ELb0ES3_N6thrust23THRUST_200600_302600_NS6detail15normal_iteratorINS9_10device_ptrIxEEEESE_x9plus_mod3IxExEEDaPvRmT3_T4_T5_mT6_P12ihipStream_tbENKUlT_T0_E_clISt17integral_constantIbLb1EEST_IbLb0EEEEDaSP_SQ_EUlSP_E_NS1_11comp_targetILNS1_3genE2ELNS1_11target_archE906ELNS1_3gpuE6ELNS1_3repE0EEENS1_30default_config_static_selectorELNS0_4arch9wavefront6targetE1EEEvT1_
	.p2align	8
	.type	_ZN7rocprim17ROCPRIM_400000_NS6detail17trampoline_kernelINS0_14default_configENS1_20scan_config_selectorIxEEZZNS1_9scan_implILNS1_25lookback_scan_determinismE0ELb0ELb0ES3_N6thrust23THRUST_200600_302600_NS6detail15normal_iteratorINS9_10device_ptrIxEEEESE_x9plus_mod3IxExEEDaPvRmT3_T4_T5_mT6_P12ihipStream_tbENKUlT_T0_E_clISt17integral_constantIbLb1EEST_IbLb0EEEEDaSP_SQ_EUlSP_E_NS1_11comp_targetILNS1_3genE2ELNS1_11target_archE906ELNS1_3gpuE6ELNS1_3repE0EEENS1_30default_config_static_selectorELNS0_4arch9wavefront6targetE1EEEvT1_,@function
_ZN7rocprim17ROCPRIM_400000_NS6detail17trampoline_kernelINS0_14default_configENS1_20scan_config_selectorIxEEZZNS1_9scan_implILNS1_25lookback_scan_determinismE0ELb0ELb0ES3_N6thrust23THRUST_200600_302600_NS6detail15normal_iteratorINS9_10device_ptrIxEEEESE_x9plus_mod3IxExEEDaPvRmT3_T4_T5_mT6_P12ihipStream_tbENKUlT_T0_E_clISt17integral_constantIbLb1EEST_IbLb0EEEEDaSP_SQ_EUlSP_E_NS1_11comp_targetILNS1_3genE2ELNS1_11target_archE906ELNS1_3gpuE6ELNS1_3repE0EEENS1_30default_config_static_selectorELNS0_4arch9wavefront6targetE1EEEvT1_: ; @_ZN7rocprim17ROCPRIM_400000_NS6detail17trampoline_kernelINS0_14default_configENS1_20scan_config_selectorIxEEZZNS1_9scan_implILNS1_25lookback_scan_determinismE0ELb0ELb0ES3_N6thrust23THRUST_200600_302600_NS6detail15normal_iteratorINS9_10device_ptrIxEEEESE_x9plus_mod3IxExEEDaPvRmT3_T4_T5_mT6_P12ihipStream_tbENKUlT_T0_E_clISt17integral_constantIbLb1EEST_IbLb0EEEEDaSP_SQ_EUlSP_E_NS1_11comp_targetILNS1_3genE2ELNS1_11target_archE906ELNS1_3gpuE6ELNS1_3repE0EEENS1_30default_config_static_selectorELNS0_4arch9wavefront6targetE1EEEvT1_
; %bb.0:
	.section	.rodata,"a",@progbits
	.p2align	6, 0x0
	.amdhsa_kernel _ZN7rocprim17ROCPRIM_400000_NS6detail17trampoline_kernelINS0_14default_configENS1_20scan_config_selectorIxEEZZNS1_9scan_implILNS1_25lookback_scan_determinismE0ELb0ELb0ES3_N6thrust23THRUST_200600_302600_NS6detail15normal_iteratorINS9_10device_ptrIxEEEESE_x9plus_mod3IxExEEDaPvRmT3_T4_T5_mT6_P12ihipStream_tbENKUlT_T0_E_clISt17integral_constantIbLb1EEST_IbLb0EEEEDaSP_SQ_EUlSP_E_NS1_11comp_targetILNS1_3genE2ELNS1_11target_archE906ELNS1_3gpuE6ELNS1_3repE0EEENS1_30default_config_static_selectorELNS0_4arch9wavefront6targetE1EEEvT1_
		.amdhsa_group_segment_fixed_size 0
		.amdhsa_private_segment_fixed_size 0
		.amdhsa_kernarg_size 104
		.amdhsa_user_sgpr_count 6
		.amdhsa_user_sgpr_private_segment_buffer 1
		.amdhsa_user_sgpr_dispatch_ptr 0
		.amdhsa_user_sgpr_queue_ptr 0
		.amdhsa_user_sgpr_kernarg_segment_ptr 1
		.amdhsa_user_sgpr_dispatch_id 0
		.amdhsa_user_sgpr_flat_scratch_init 0
		.amdhsa_user_sgpr_kernarg_preload_length 0
		.amdhsa_user_sgpr_kernarg_preload_offset 0
		.amdhsa_user_sgpr_private_segment_size 0
		.amdhsa_uses_dynamic_stack 0
		.amdhsa_system_sgpr_private_segment_wavefront_offset 0
		.amdhsa_system_sgpr_workgroup_id_x 1
		.amdhsa_system_sgpr_workgroup_id_y 0
		.amdhsa_system_sgpr_workgroup_id_z 0
		.amdhsa_system_sgpr_workgroup_info 0
		.amdhsa_system_vgpr_workitem_id 0
		.amdhsa_next_free_vgpr 1
		.amdhsa_next_free_sgpr 0
		.amdhsa_accum_offset 4
		.amdhsa_reserve_vcc 0
		.amdhsa_reserve_flat_scratch 0
		.amdhsa_float_round_mode_32 0
		.amdhsa_float_round_mode_16_64 0
		.amdhsa_float_denorm_mode_32 3
		.amdhsa_float_denorm_mode_16_64 3
		.amdhsa_dx10_clamp 1
		.amdhsa_ieee_mode 1
		.amdhsa_fp16_overflow 0
		.amdhsa_tg_split 0
		.amdhsa_exception_fp_ieee_invalid_op 0
		.amdhsa_exception_fp_denorm_src 0
		.amdhsa_exception_fp_ieee_div_zero 0
		.amdhsa_exception_fp_ieee_overflow 0
		.amdhsa_exception_fp_ieee_underflow 0
		.amdhsa_exception_fp_ieee_inexact 0
		.amdhsa_exception_int_div_zero 0
	.end_amdhsa_kernel
	.section	.text._ZN7rocprim17ROCPRIM_400000_NS6detail17trampoline_kernelINS0_14default_configENS1_20scan_config_selectorIxEEZZNS1_9scan_implILNS1_25lookback_scan_determinismE0ELb0ELb0ES3_N6thrust23THRUST_200600_302600_NS6detail15normal_iteratorINS9_10device_ptrIxEEEESE_x9plus_mod3IxExEEDaPvRmT3_T4_T5_mT6_P12ihipStream_tbENKUlT_T0_E_clISt17integral_constantIbLb1EEST_IbLb0EEEEDaSP_SQ_EUlSP_E_NS1_11comp_targetILNS1_3genE2ELNS1_11target_archE906ELNS1_3gpuE6ELNS1_3repE0EEENS1_30default_config_static_selectorELNS0_4arch9wavefront6targetE1EEEvT1_,"axG",@progbits,_ZN7rocprim17ROCPRIM_400000_NS6detail17trampoline_kernelINS0_14default_configENS1_20scan_config_selectorIxEEZZNS1_9scan_implILNS1_25lookback_scan_determinismE0ELb0ELb0ES3_N6thrust23THRUST_200600_302600_NS6detail15normal_iteratorINS9_10device_ptrIxEEEESE_x9plus_mod3IxExEEDaPvRmT3_T4_T5_mT6_P12ihipStream_tbENKUlT_T0_E_clISt17integral_constantIbLb1EEST_IbLb0EEEEDaSP_SQ_EUlSP_E_NS1_11comp_targetILNS1_3genE2ELNS1_11target_archE906ELNS1_3gpuE6ELNS1_3repE0EEENS1_30default_config_static_selectorELNS0_4arch9wavefront6targetE1EEEvT1_,comdat
.Lfunc_end6574:
	.size	_ZN7rocprim17ROCPRIM_400000_NS6detail17trampoline_kernelINS0_14default_configENS1_20scan_config_selectorIxEEZZNS1_9scan_implILNS1_25lookback_scan_determinismE0ELb0ELb0ES3_N6thrust23THRUST_200600_302600_NS6detail15normal_iteratorINS9_10device_ptrIxEEEESE_x9plus_mod3IxExEEDaPvRmT3_T4_T5_mT6_P12ihipStream_tbENKUlT_T0_E_clISt17integral_constantIbLb1EEST_IbLb0EEEEDaSP_SQ_EUlSP_E_NS1_11comp_targetILNS1_3genE2ELNS1_11target_archE906ELNS1_3gpuE6ELNS1_3repE0EEENS1_30default_config_static_selectorELNS0_4arch9wavefront6targetE1EEEvT1_, .Lfunc_end6574-_ZN7rocprim17ROCPRIM_400000_NS6detail17trampoline_kernelINS0_14default_configENS1_20scan_config_selectorIxEEZZNS1_9scan_implILNS1_25lookback_scan_determinismE0ELb0ELb0ES3_N6thrust23THRUST_200600_302600_NS6detail15normal_iteratorINS9_10device_ptrIxEEEESE_x9plus_mod3IxExEEDaPvRmT3_T4_T5_mT6_P12ihipStream_tbENKUlT_T0_E_clISt17integral_constantIbLb1EEST_IbLb0EEEEDaSP_SQ_EUlSP_E_NS1_11comp_targetILNS1_3genE2ELNS1_11target_archE906ELNS1_3gpuE6ELNS1_3repE0EEENS1_30default_config_static_selectorELNS0_4arch9wavefront6targetE1EEEvT1_
                                        ; -- End function
	.section	.AMDGPU.csdata,"",@progbits
; Kernel info:
; codeLenInByte = 0
; NumSgprs: 4
; NumVgprs: 0
; NumAgprs: 0
; TotalNumVgprs: 0
; ScratchSize: 0
; MemoryBound: 0
; FloatMode: 240
; IeeeMode: 1
; LDSByteSize: 0 bytes/workgroup (compile time only)
; SGPRBlocks: 0
; VGPRBlocks: 0
; NumSGPRsForWavesPerEU: 4
; NumVGPRsForWavesPerEU: 1
; AccumOffset: 4
; Occupancy: 8
; WaveLimiterHint : 0
; COMPUTE_PGM_RSRC2:SCRATCH_EN: 0
; COMPUTE_PGM_RSRC2:USER_SGPR: 6
; COMPUTE_PGM_RSRC2:TRAP_HANDLER: 0
; COMPUTE_PGM_RSRC2:TGID_X_EN: 1
; COMPUTE_PGM_RSRC2:TGID_Y_EN: 0
; COMPUTE_PGM_RSRC2:TGID_Z_EN: 0
; COMPUTE_PGM_RSRC2:TIDIG_COMP_CNT: 0
; COMPUTE_PGM_RSRC3_GFX90A:ACCUM_OFFSET: 0
; COMPUTE_PGM_RSRC3_GFX90A:TG_SPLIT: 0
	.section	.text._ZN7rocprim17ROCPRIM_400000_NS6detail17trampoline_kernelINS0_14default_configENS1_20scan_config_selectorIxEEZZNS1_9scan_implILNS1_25lookback_scan_determinismE0ELb0ELb0ES3_N6thrust23THRUST_200600_302600_NS6detail15normal_iteratorINS9_10device_ptrIxEEEESE_x9plus_mod3IxExEEDaPvRmT3_T4_T5_mT6_P12ihipStream_tbENKUlT_T0_E_clISt17integral_constantIbLb1EEST_IbLb0EEEEDaSP_SQ_EUlSP_E_NS1_11comp_targetILNS1_3genE10ELNS1_11target_archE1201ELNS1_3gpuE5ELNS1_3repE0EEENS1_30default_config_static_selectorELNS0_4arch9wavefront6targetE1EEEvT1_,"axG",@progbits,_ZN7rocprim17ROCPRIM_400000_NS6detail17trampoline_kernelINS0_14default_configENS1_20scan_config_selectorIxEEZZNS1_9scan_implILNS1_25lookback_scan_determinismE0ELb0ELb0ES3_N6thrust23THRUST_200600_302600_NS6detail15normal_iteratorINS9_10device_ptrIxEEEESE_x9plus_mod3IxExEEDaPvRmT3_T4_T5_mT6_P12ihipStream_tbENKUlT_T0_E_clISt17integral_constantIbLb1EEST_IbLb0EEEEDaSP_SQ_EUlSP_E_NS1_11comp_targetILNS1_3genE10ELNS1_11target_archE1201ELNS1_3gpuE5ELNS1_3repE0EEENS1_30default_config_static_selectorELNS0_4arch9wavefront6targetE1EEEvT1_,comdat
	.protected	_ZN7rocprim17ROCPRIM_400000_NS6detail17trampoline_kernelINS0_14default_configENS1_20scan_config_selectorIxEEZZNS1_9scan_implILNS1_25lookback_scan_determinismE0ELb0ELb0ES3_N6thrust23THRUST_200600_302600_NS6detail15normal_iteratorINS9_10device_ptrIxEEEESE_x9plus_mod3IxExEEDaPvRmT3_T4_T5_mT6_P12ihipStream_tbENKUlT_T0_E_clISt17integral_constantIbLb1EEST_IbLb0EEEEDaSP_SQ_EUlSP_E_NS1_11comp_targetILNS1_3genE10ELNS1_11target_archE1201ELNS1_3gpuE5ELNS1_3repE0EEENS1_30default_config_static_selectorELNS0_4arch9wavefront6targetE1EEEvT1_ ; -- Begin function _ZN7rocprim17ROCPRIM_400000_NS6detail17trampoline_kernelINS0_14default_configENS1_20scan_config_selectorIxEEZZNS1_9scan_implILNS1_25lookback_scan_determinismE0ELb0ELb0ES3_N6thrust23THRUST_200600_302600_NS6detail15normal_iteratorINS9_10device_ptrIxEEEESE_x9plus_mod3IxExEEDaPvRmT3_T4_T5_mT6_P12ihipStream_tbENKUlT_T0_E_clISt17integral_constantIbLb1EEST_IbLb0EEEEDaSP_SQ_EUlSP_E_NS1_11comp_targetILNS1_3genE10ELNS1_11target_archE1201ELNS1_3gpuE5ELNS1_3repE0EEENS1_30default_config_static_selectorELNS0_4arch9wavefront6targetE1EEEvT1_
	.globl	_ZN7rocprim17ROCPRIM_400000_NS6detail17trampoline_kernelINS0_14default_configENS1_20scan_config_selectorIxEEZZNS1_9scan_implILNS1_25lookback_scan_determinismE0ELb0ELb0ES3_N6thrust23THRUST_200600_302600_NS6detail15normal_iteratorINS9_10device_ptrIxEEEESE_x9plus_mod3IxExEEDaPvRmT3_T4_T5_mT6_P12ihipStream_tbENKUlT_T0_E_clISt17integral_constantIbLb1EEST_IbLb0EEEEDaSP_SQ_EUlSP_E_NS1_11comp_targetILNS1_3genE10ELNS1_11target_archE1201ELNS1_3gpuE5ELNS1_3repE0EEENS1_30default_config_static_selectorELNS0_4arch9wavefront6targetE1EEEvT1_
	.p2align	8
	.type	_ZN7rocprim17ROCPRIM_400000_NS6detail17trampoline_kernelINS0_14default_configENS1_20scan_config_selectorIxEEZZNS1_9scan_implILNS1_25lookback_scan_determinismE0ELb0ELb0ES3_N6thrust23THRUST_200600_302600_NS6detail15normal_iteratorINS9_10device_ptrIxEEEESE_x9plus_mod3IxExEEDaPvRmT3_T4_T5_mT6_P12ihipStream_tbENKUlT_T0_E_clISt17integral_constantIbLb1EEST_IbLb0EEEEDaSP_SQ_EUlSP_E_NS1_11comp_targetILNS1_3genE10ELNS1_11target_archE1201ELNS1_3gpuE5ELNS1_3repE0EEENS1_30default_config_static_selectorELNS0_4arch9wavefront6targetE1EEEvT1_,@function
_ZN7rocprim17ROCPRIM_400000_NS6detail17trampoline_kernelINS0_14default_configENS1_20scan_config_selectorIxEEZZNS1_9scan_implILNS1_25lookback_scan_determinismE0ELb0ELb0ES3_N6thrust23THRUST_200600_302600_NS6detail15normal_iteratorINS9_10device_ptrIxEEEESE_x9plus_mod3IxExEEDaPvRmT3_T4_T5_mT6_P12ihipStream_tbENKUlT_T0_E_clISt17integral_constantIbLb1EEST_IbLb0EEEEDaSP_SQ_EUlSP_E_NS1_11comp_targetILNS1_3genE10ELNS1_11target_archE1201ELNS1_3gpuE5ELNS1_3repE0EEENS1_30default_config_static_selectorELNS0_4arch9wavefront6targetE1EEEvT1_: ; @_ZN7rocprim17ROCPRIM_400000_NS6detail17trampoline_kernelINS0_14default_configENS1_20scan_config_selectorIxEEZZNS1_9scan_implILNS1_25lookback_scan_determinismE0ELb0ELb0ES3_N6thrust23THRUST_200600_302600_NS6detail15normal_iteratorINS9_10device_ptrIxEEEESE_x9plus_mod3IxExEEDaPvRmT3_T4_T5_mT6_P12ihipStream_tbENKUlT_T0_E_clISt17integral_constantIbLb1EEST_IbLb0EEEEDaSP_SQ_EUlSP_E_NS1_11comp_targetILNS1_3genE10ELNS1_11target_archE1201ELNS1_3gpuE5ELNS1_3repE0EEENS1_30default_config_static_selectorELNS0_4arch9wavefront6targetE1EEEvT1_
; %bb.0:
	.section	.rodata,"a",@progbits
	.p2align	6, 0x0
	.amdhsa_kernel _ZN7rocprim17ROCPRIM_400000_NS6detail17trampoline_kernelINS0_14default_configENS1_20scan_config_selectorIxEEZZNS1_9scan_implILNS1_25lookback_scan_determinismE0ELb0ELb0ES3_N6thrust23THRUST_200600_302600_NS6detail15normal_iteratorINS9_10device_ptrIxEEEESE_x9plus_mod3IxExEEDaPvRmT3_T4_T5_mT6_P12ihipStream_tbENKUlT_T0_E_clISt17integral_constantIbLb1EEST_IbLb0EEEEDaSP_SQ_EUlSP_E_NS1_11comp_targetILNS1_3genE10ELNS1_11target_archE1201ELNS1_3gpuE5ELNS1_3repE0EEENS1_30default_config_static_selectorELNS0_4arch9wavefront6targetE1EEEvT1_
		.amdhsa_group_segment_fixed_size 0
		.amdhsa_private_segment_fixed_size 0
		.amdhsa_kernarg_size 104
		.amdhsa_user_sgpr_count 6
		.amdhsa_user_sgpr_private_segment_buffer 1
		.amdhsa_user_sgpr_dispatch_ptr 0
		.amdhsa_user_sgpr_queue_ptr 0
		.amdhsa_user_sgpr_kernarg_segment_ptr 1
		.amdhsa_user_sgpr_dispatch_id 0
		.amdhsa_user_sgpr_flat_scratch_init 0
		.amdhsa_user_sgpr_kernarg_preload_length 0
		.amdhsa_user_sgpr_kernarg_preload_offset 0
		.amdhsa_user_sgpr_private_segment_size 0
		.amdhsa_uses_dynamic_stack 0
		.amdhsa_system_sgpr_private_segment_wavefront_offset 0
		.amdhsa_system_sgpr_workgroup_id_x 1
		.amdhsa_system_sgpr_workgroup_id_y 0
		.amdhsa_system_sgpr_workgroup_id_z 0
		.amdhsa_system_sgpr_workgroup_info 0
		.amdhsa_system_vgpr_workitem_id 0
		.amdhsa_next_free_vgpr 1
		.amdhsa_next_free_sgpr 0
		.amdhsa_accum_offset 4
		.amdhsa_reserve_vcc 0
		.amdhsa_reserve_flat_scratch 0
		.amdhsa_float_round_mode_32 0
		.amdhsa_float_round_mode_16_64 0
		.amdhsa_float_denorm_mode_32 3
		.amdhsa_float_denorm_mode_16_64 3
		.amdhsa_dx10_clamp 1
		.amdhsa_ieee_mode 1
		.amdhsa_fp16_overflow 0
		.amdhsa_tg_split 0
		.amdhsa_exception_fp_ieee_invalid_op 0
		.amdhsa_exception_fp_denorm_src 0
		.amdhsa_exception_fp_ieee_div_zero 0
		.amdhsa_exception_fp_ieee_overflow 0
		.amdhsa_exception_fp_ieee_underflow 0
		.amdhsa_exception_fp_ieee_inexact 0
		.amdhsa_exception_int_div_zero 0
	.end_amdhsa_kernel
	.section	.text._ZN7rocprim17ROCPRIM_400000_NS6detail17trampoline_kernelINS0_14default_configENS1_20scan_config_selectorIxEEZZNS1_9scan_implILNS1_25lookback_scan_determinismE0ELb0ELb0ES3_N6thrust23THRUST_200600_302600_NS6detail15normal_iteratorINS9_10device_ptrIxEEEESE_x9plus_mod3IxExEEDaPvRmT3_T4_T5_mT6_P12ihipStream_tbENKUlT_T0_E_clISt17integral_constantIbLb1EEST_IbLb0EEEEDaSP_SQ_EUlSP_E_NS1_11comp_targetILNS1_3genE10ELNS1_11target_archE1201ELNS1_3gpuE5ELNS1_3repE0EEENS1_30default_config_static_selectorELNS0_4arch9wavefront6targetE1EEEvT1_,"axG",@progbits,_ZN7rocprim17ROCPRIM_400000_NS6detail17trampoline_kernelINS0_14default_configENS1_20scan_config_selectorIxEEZZNS1_9scan_implILNS1_25lookback_scan_determinismE0ELb0ELb0ES3_N6thrust23THRUST_200600_302600_NS6detail15normal_iteratorINS9_10device_ptrIxEEEESE_x9plus_mod3IxExEEDaPvRmT3_T4_T5_mT6_P12ihipStream_tbENKUlT_T0_E_clISt17integral_constantIbLb1EEST_IbLb0EEEEDaSP_SQ_EUlSP_E_NS1_11comp_targetILNS1_3genE10ELNS1_11target_archE1201ELNS1_3gpuE5ELNS1_3repE0EEENS1_30default_config_static_selectorELNS0_4arch9wavefront6targetE1EEEvT1_,comdat
.Lfunc_end6575:
	.size	_ZN7rocprim17ROCPRIM_400000_NS6detail17trampoline_kernelINS0_14default_configENS1_20scan_config_selectorIxEEZZNS1_9scan_implILNS1_25lookback_scan_determinismE0ELb0ELb0ES3_N6thrust23THRUST_200600_302600_NS6detail15normal_iteratorINS9_10device_ptrIxEEEESE_x9plus_mod3IxExEEDaPvRmT3_T4_T5_mT6_P12ihipStream_tbENKUlT_T0_E_clISt17integral_constantIbLb1EEST_IbLb0EEEEDaSP_SQ_EUlSP_E_NS1_11comp_targetILNS1_3genE10ELNS1_11target_archE1201ELNS1_3gpuE5ELNS1_3repE0EEENS1_30default_config_static_selectorELNS0_4arch9wavefront6targetE1EEEvT1_, .Lfunc_end6575-_ZN7rocprim17ROCPRIM_400000_NS6detail17trampoline_kernelINS0_14default_configENS1_20scan_config_selectorIxEEZZNS1_9scan_implILNS1_25lookback_scan_determinismE0ELb0ELb0ES3_N6thrust23THRUST_200600_302600_NS6detail15normal_iteratorINS9_10device_ptrIxEEEESE_x9plus_mod3IxExEEDaPvRmT3_T4_T5_mT6_P12ihipStream_tbENKUlT_T0_E_clISt17integral_constantIbLb1EEST_IbLb0EEEEDaSP_SQ_EUlSP_E_NS1_11comp_targetILNS1_3genE10ELNS1_11target_archE1201ELNS1_3gpuE5ELNS1_3repE0EEENS1_30default_config_static_selectorELNS0_4arch9wavefront6targetE1EEEvT1_
                                        ; -- End function
	.section	.AMDGPU.csdata,"",@progbits
; Kernel info:
; codeLenInByte = 0
; NumSgprs: 4
; NumVgprs: 0
; NumAgprs: 0
; TotalNumVgprs: 0
; ScratchSize: 0
; MemoryBound: 0
; FloatMode: 240
; IeeeMode: 1
; LDSByteSize: 0 bytes/workgroup (compile time only)
; SGPRBlocks: 0
; VGPRBlocks: 0
; NumSGPRsForWavesPerEU: 4
; NumVGPRsForWavesPerEU: 1
; AccumOffset: 4
; Occupancy: 8
; WaveLimiterHint : 0
; COMPUTE_PGM_RSRC2:SCRATCH_EN: 0
; COMPUTE_PGM_RSRC2:USER_SGPR: 6
; COMPUTE_PGM_RSRC2:TRAP_HANDLER: 0
; COMPUTE_PGM_RSRC2:TGID_X_EN: 1
; COMPUTE_PGM_RSRC2:TGID_Y_EN: 0
; COMPUTE_PGM_RSRC2:TGID_Z_EN: 0
; COMPUTE_PGM_RSRC2:TIDIG_COMP_CNT: 0
; COMPUTE_PGM_RSRC3_GFX90A:ACCUM_OFFSET: 0
; COMPUTE_PGM_RSRC3_GFX90A:TG_SPLIT: 0
	.section	.text._ZN7rocprim17ROCPRIM_400000_NS6detail17trampoline_kernelINS0_14default_configENS1_20scan_config_selectorIxEEZZNS1_9scan_implILNS1_25lookback_scan_determinismE0ELb0ELb0ES3_N6thrust23THRUST_200600_302600_NS6detail15normal_iteratorINS9_10device_ptrIxEEEESE_x9plus_mod3IxExEEDaPvRmT3_T4_T5_mT6_P12ihipStream_tbENKUlT_T0_E_clISt17integral_constantIbLb1EEST_IbLb0EEEEDaSP_SQ_EUlSP_E_NS1_11comp_targetILNS1_3genE10ELNS1_11target_archE1200ELNS1_3gpuE4ELNS1_3repE0EEENS1_30default_config_static_selectorELNS0_4arch9wavefront6targetE1EEEvT1_,"axG",@progbits,_ZN7rocprim17ROCPRIM_400000_NS6detail17trampoline_kernelINS0_14default_configENS1_20scan_config_selectorIxEEZZNS1_9scan_implILNS1_25lookback_scan_determinismE0ELb0ELb0ES3_N6thrust23THRUST_200600_302600_NS6detail15normal_iteratorINS9_10device_ptrIxEEEESE_x9plus_mod3IxExEEDaPvRmT3_T4_T5_mT6_P12ihipStream_tbENKUlT_T0_E_clISt17integral_constantIbLb1EEST_IbLb0EEEEDaSP_SQ_EUlSP_E_NS1_11comp_targetILNS1_3genE10ELNS1_11target_archE1200ELNS1_3gpuE4ELNS1_3repE0EEENS1_30default_config_static_selectorELNS0_4arch9wavefront6targetE1EEEvT1_,comdat
	.protected	_ZN7rocprim17ROCPRIM_400000_NS6detail17trampoline_kernelINS0_14default_configENS1_20scan_config_selectorIxEEZZNS1_9scan_implILNS1_25lookback_scan_determinismE0ELb0ELb0ES3_N6thrust23THRUST_200600_302600_NS6detail15normal_iteratorINS9_10device_ptrIxEEEESE_x9plus_mod3IxExEEDaPvRmT3_T4_T5_mT6_P12ihipStream_tbENKUlT_T0_E_clISt17integral_constantIbLb1EEST_IbLb0EEEEDaSP_SQ_EUlSP_E_NS1_11comp_targetILNS1_3genE10ELNS1_11target_archE1200ELNS1_3gpuE4ELNS1_3repE0EEENS1_30default_config_static_selectorELNS0_4arch9wavefront6targetE1EEEvT1_ ; -- Begin function _ZN7rocprim17ROCPRIM_400000_NS6detail17trampoline_kernelINS0_14default_configENS1_20scan_config_selectorIxEEZZNS1_9scan_implILNS1_25lookback_scan_determinismE0ELb0ELb0ES3_N6thrust23THRUST_200600_302600_NS6detail15normal_iteratorINS9_10device_ptrIxEEEESE_x9plus_mod3IxExEEDaPvRmT3_T4_T5_mT6_P12ihipStream_tbENKUlT_T0_E_clISt17integral_constantIbLb1EEST_IbLb0EEEEDaSP_SQ_EUlSP_E_NS1_11comp_targetILNS1_3genE10ELNS1_11target_archE1200ELNS1_3gpuE4ELNS1_3repE0EEENS1_30default_config_static_selectorELNS0_4arch9wavefront6targetE1EEEvT1_
	.globl	_ZN7rocprim17ROCPRIM_400000_NS6detail17trampoline_kernelINS0_14default_configENS1_20scan_config_selectorIxEEZZNS1_9scan_implILNS1_25lookback_scan_determinismE0ELb0ELb0ES3_N6thrust23THRUST_200600_302600_NS6detail15normal_iteratorINS9_10device_ptrIxEEEESE_x9plus_mod3IxExEEDaPvRmT3_T4_T5_mT6_P12ihipStream_tbENKUlT_T0_E_clISt17integral_constantIbLb1EEST_IbLb0EEEEDaSP_SQ_EUlSP_E_NS1_11comp_targetILNS1_3genE10ELNS1_11target_archE1200ELNS1_3gpuE4ELNS1_3repE0EEENS1_30default_config_static_selectorELNS0_4arch9wavefront6targetE1EEEvT1_
	.p2align	8
	.type	_ZN7rocprim17ROCPRIM_400000_NS6detail17trampoline_kernelINS0_14default_configENS1_20scan_config_selectorIxEEZZNS1_9scan_implILNS1_25lookback_scan_determinismE0ELb0ELb0ES3_N6thrust23THRUST_200600_302600_NS6detail15normal_iteratorINS9_10device_ptrIxEEEESE_x9plus_mod3IxExEEDaPvRmT3_T4_T5_mT6_P12ihipStream_tbENKUlT_T0_E_clISt17integral_constantIbLb1EEST_IbLb0EEEEDaSP_SQ_EUlSP_E_NS1_11comp_targetILNS1_3genE10ELNS1_11target_archE1200ELNS1_3gpuE4ELNS1_3repE0EEENS1_30default_config_static_selectorELNS0_4arch9wavefront6targetE1EEEvT1_,@function
_ZN7rocprim17ROCPRIM_400000_NS6detail17trampoline_kernelINS0_14default_configENS1_20scan_config_selectorIxEEZZNS1_9scan_implILNS1_25lookback_scan_determinismE0ELb0ELb0ES3_N6thrust23THRUST_200600_302600_NS6detail15normal_iteratorINS9_10device_ptrIxEEEESE_x9plus_mod3IxExEEDaPvRmT3_T4_T5_mT6_P12ihipStream_tbENKUlT_T0_E_clISt17integral_constantIbLb1EEST_IbLb0EEEEDaSP_SQ_EUlSP_E_NS1_11comp_targetILNS1_3genE10ELNS1_11target_archE1200ELNS1_3gpuE4ELNS1_3repE0EEENS1_30default_config_static_selectorELNS0_4arch9wavefront6targetE1EEEvT1_: ; @_ZN7rocprim17ROCPRIM_400000_NS6detail17trampoline_kernelINS0_14default_configENS1_20scan_config_selectorIxEEZZNS1_9scan_implILNS1_25lookback_scan_determinismE0ELb0ELb0ES3_N6thrust23THRUST_200600_302600_NS6detail15normal_iteratorINS9_10device_ptrIxEEEESE_x9plus_mod3IxExEEDaPvRmT3_T4_T5_mT6_P12ihipStream_tbENKUlT_T0_E_clISt17integral_constantIbLb1EEST_IbLb0EEEEDaSP_SQ_EUlSP_E_NS1_11comp_targetILNS1_3genE10ELNS1_11target_archE1200ELNS1_3gpuE4ELNS1_3repE0EEENS1_30default_config_static_selectorELNS0_4arch9wavefront6targetE1EEEvT1_
; %bb.0:
	.section	.rodata,"a",@progbits
	.p2align	6, 0x0
	.amdhsa_kernel _ZN7rocprim17ROCPRIM_400000_NS6detail17trampoline_kernelINS0_14default_configENS1_20scan_config_selectorIxEEZZNS1_9scan_implILNS1_25lookback_scan_determinismE0ELb0ELb0ES3_N6thrust23THRUST_200600_302600_NS6detail15normal_iteratorINS9_10device_ptrIxEEEESE_x9plus_mod3IxExEEDaPvRmT3_T4_T5_mT6_P12ihipStream_tbENKUlT_T0_E_clISt17integral_constantIbLb1EEST_IbLb0EEEEDaSP_SQ_EUlSP_E_NS1_11comp_targetILNS1_3genE10ELNS1_11target_archE1200ELNS1_3gpuE4ELNS1_3repE0EEENS1_30default_config_static_selectorELNS0_4arch9wavefront6targetE1EEEvT1_
		.amdhsa_group_segment_fixed_size 0
		.amdhsa_private_segment_fixed_size 0
		.amdhsa_kernarg_size 104
		.amdhsa_user_sgpr_count 6
		.amdhsa_user_sgpr_private_segment_buffer 1
		.amdhsa_user_sgpr_dispatch_ptr 0
		.amdhsa_user_sgpr_queue_ptr 0
		.amdhsa_user_sgpr_kernarg_segment_ptr 1
		.amdhsa_user_sgpr_dispatch_id 0
		.amdhsa_user_sgpr_flat_scratch_init 0
		.amdhsa_user_sgpr_kernarg_preload_length 0
		.amdhsa_user_sgpr_kernarg_preload_offset 0
		.amdhsa_user_sgpr_private_segment_size 0
		.amdhsa_uses_dynamic_stack 0
		.amdhsa_system_sgpr_private_segment_wavefront_offset 0
		.amdhsa_system_sgpr_workgroup_id_x 1
		.amdhsa_system_sgpr_workgroup_id_y 0
		.amdhsa_system_sgpr_workgroup_id_z 0
		.amdhsa_system_sgpr_workgroup_info 0
		.amdhsa_system_vgpr_workitem_id 0
		.amdhsa_next_free_vgpr 1
		.amdhsa_next_free_sgpr 0
		.amdhsa_accum_offset 4
		.amdhsa_reserve_vcc 0
		.amdhsa_reserve_flat_scratch 0
		.amdhsa_float_round_mode_32 0
		.amdhsa_float_round_mode_16_64 0
		.amdhsa_float_denorm_mode_32 3
		.amdhsa_float_denorm_mode_16_64 3
		.amdhsa_dx10_clamp 1
		.amdhsa_ieee_mode 1
		.amdhsa_fp16_overflow 0
		.amdhsa_tg_split 0
		.amdhsa_exception_fp_ieee_invalid_op 0
		.amdhsa_exception_fp_denorm_src 0
		.amdhsa_exception_fp_ieee_div_zero 0
		.amdhsa_exception_fp_ieee_overflow 0
		.amdhsa_exception_fp_ieee_underflow 0
		.amdhsa_exception_fp_ieee_inexact 0
		.amdhsa_exception_int_div_zero 0
	.end_amdhsa_kernel
	.section	.text._ZN7rocprim17ROCPRIM_400000_NS6detail17trampoline_kernelINS0_14default_configENS1_20scan_config_selectorIxEEZZNS1_9scan_implILNS1_25lookback_scan_determinismE0ELb0ELb0ES3_N6thrust23THRUST_200600_302600_NS6detail15normal_iteratorINS9_10device_ptrIxEEEESE_x9plus_mod3IxExEEDaPvRmT3_T4_T5_mT6_P12ihipStream_tbENKUlT_T0_E_clISt17integral_constantIbLb1EEST_IbLb0EEEEDaSP_SQ_EUlSP_E_NS1_11comp_targetILNS1_3genE10ELNS1_11target_archE1200ELNS1_3gpuE4ELNS1_3repE0EEENS1_30default_config_static_selectorELNS0_4arch9wavefront6targetE1EEEvT1_,"axG",@progbits,_ZN7rocprim17ROCPRIM_400000_NS6detail17trampoline_kernelINS0_14default_configENS1_20scan_config_selectorIxEEZZNS1_9scan_implILNS1_25lookback_scan_determinismE0ELb0ELb0ES3_N6thrust23THRUST_200600_302600_NS6detail15normal_iteratorINS9_10device_ptrIxEEEESE_x9plus_mod3IxExEEDaPvRmT3_T4_T5_mT6_P12ihipStream_tbENKUlT_T0_E_clISt17integral_constantIbLb1EEST_IbLb0EEEEDaSP_SQ_EUlSP_E_NS1_11comp_targetILNS1_3genE10ELNS1_11target_archE1200ELNS1_3gpuE4ELNS1_3repE0EEENS1_30default_config_static_selectorELNS0_4arch9wavefront6targetE1EEEvT1_,comdat
.Lfunc_end6576:
	.size	_ZN7rocprim17ROCPRIM_400000_NS6detail17trampoline_kernelINS0_14default_configENS1_20scan_config_selectorIxEEZZNS1_9scan_implILNS1_25lookback_scan_determinismE0ELb0ELb0ES3_N6thrust23THRUST_200600_302600_NS6detail15normal_iteratorINS9_10device_ptrIxEEEESE_x9plus_mod3IxExEEDaPvRmT3_T4_T5_mT6_P12ihipStream_tbENKUlT_T0_E_clISt17integral_constantIbLb1EEST_IbLb0EEEEDaSP_SQ_EUlSP_E_NS1_11comp_targetILNS1_3genE10ELNS1_11target_archE1200ELNS1_3gpuE4ELNS1_3repE0EEENS1_30default_config_static_selectorELNS0_4arch9wavefront6targetE1EEEvT1_, .Lfunc_end6576-_ZN7rocprim17ROCPRIM_400000_NS6detail17trampoline_kernelINS0_14default_configENS1_20scan_config_selectorIxEEZZNS1_9scan_implILNS1_25lookback_scan_determinismE0ELb0ELb0ES3_N6thrust23THRUST_200600_302600_NS6detail15normal_iteratorINS9_10device_ptrIxEEEESE_x9plus_mod3IxExEEDaPvRmT3_T4_T5_mT6_P12ihipStream_tbENKUlT_T0_E_clISt17integral_constantIbLb1EEST_IbLb0EEEEDaSP_SQ_EUlSP_E_NS1_11comp_targetILNS1_3genE10ELNS1_11target_archE1200ELNS1_3gpuE4ELNS1_3repE0EEENS1_30default_config_static_selectorELNS0_4arch9wavefront6targetE1EEEvT1_
                                        ; -- End function
	.section	.AMDGPU.csdata,"",@progbits
; Kernel info:
; codeLenInByte = 0
; NumSgprs: 4
; NumVgprs: 0
; NumAgprs: 0
; TotalNumVgprs: 0
; ScratchSize: 0
; MemoryBound: 0
; FloatMode: 240
; IeeeMode: 1
; LDSByteSize: 0 bytes/workgroup (compile time only)
; SGPRBlocks: 0
; VGPRBlocks: 0
; NumSGPRsForWavesPerEU: 4
; NumVGPRsForWavesPerEU: 1
; AccumOffset: 4
; Occupancy: 8
; WaveLimiterHint : 0
; COMPUTE_PGM_RSRC2:SCRATCH_EN: 0
; COMPUTE_PGM_RSRC2:USER_SGPR: 6
; COMPUTE_PGM_RSRC2:TRAP_HANDLER: 0
; COMPUTE_PGM_RSRC2:TGID_X_EN: 1
; COMPUTE_PGM_RSRC2:TGID_Y_EN: 0
; COMPUTE_PGM_RSRC2:TGID_Z_EN: 0
; COMPUTE_PGM_RSRC2:TIDIG_COMP_CNT: 0
; COMPUTE_PGM_RSRC3_GFX90A:ACCUM_OFFSET: 0
; COMPUTE_PGM_RSRC3_GFX90A:TG_SPLIT: 0
	.section	.text._ZN7rocprim17ROCPRIM_400000_NS6detail17trampoline_kernelINS0_14default_configENS1_20scan_config_selectorIxEEZZNS1_9scan_implILNS1_25lookback_scan_determinismE0ELb0ELb0ES3_N6thrust23THRUST_200600_302600_NS6detail15normal_iteratorINS9_10device_ptrIxEEEESE_x9plus_mod3IxExEEDaPvRmT3_T4_T5_mT6_P12ihipStream_tbENKUlT_T0_E_clISt17integral_constantIbLb1EEST_IbLb0EEEEDaSP_SQ_EUlSP_E_NS1_11comp_targetILNS1_3genE9ELNS1_11target_archE1100ELNS1_3gpuE3ELNS1_3repE0EEENS1_30default_config_static_selectorELNS0_4arch9wavefront6targetE1EEEvT1_,"axG",@progbits,_ZN7rocprim17ROCPRIM_400000_NS6detail17trampoline_kernelINS0_14default_configENS1_20scan_config_selectorIxEEZZNS1_9scan_implILNS1_25lookback_scan_determinismE0ELb0ELb0ES3_N6thrust23THRUST_200600_302600_NS6detail15normal_iteratorINS9_10device_ptrIxEEEESE_x9plus_mod3IxExEEDaPvRmT3_T4_T5_mT6_P12ihipStream_tbENKUlT_T0_E_clISt17integral_constantIbLb1EEST_IbLb0EEEEDaSP_SQ_EUlSP_E_NS1_11comp_targetILNS1_3genE9ELNS1_11target_archE1100ELNS1_3gpuE3ELNS1_3repE0EEENS1_30default_config_static_selectorELNS0_4arch9wavefront6targetE1EEEvT1_,comdat
	.protected	_ZN7rocprim17ROCPRIM_400000_NS6detail17trampoline_kernelINS0_14default_configENS1_20scan_config_selectorIxEEZZNS1_9scan_implILNS1_25lookback_scan_determinismE0ELb0ELb0ES3_N6thrust23THRUST_200600_302600_NS6detail15normal_iteratorINS9_10device_ptrIxEEEESE_x9plus_mod3IxExEEDaPvRmT3_T4_T5_mT6_P12ihipStream_tbENKUlT_T0_E_clISt17integral_constantIbLb1EEST_IbLb0EEEEDaSP_SQ_EUlSP_E_NS1_11comp_targetILNS1_3genE9ELNS1_11target_archE1100ELNS1_3gpuE3ELNS1_3repE0EEENS1_30default_config_static_selectorELNS0_4arch9wavefront6targetE1EEEvT1_ ; -- Begin function _ZN7rocprim17ROCPRIM_400000_NS6detail17trampoline_kernelINS0_14default_configENS1_20scan_config_selectorIxEEZZNS1_9scan_implILNS1_25lookback_scan_determinismE0ELb0ELb0ES3_N6thrust23THRUST_200600_302600_NS6detail15normal_iteratorINS9_10device_ptrIxEEEESE_x9plus_mod3IxExEEDaPvRmT3_T4_T5_mT6_P12ihipStream_tbENKUlT_T0_E_clISt17integral_constantIbLb1EEST_IbLb0EEEEDaSP_SQ_EUlSP_E_NS1_11comp_targetILNS1_3genE9ELNS1_11target_archE1100ELNS1_3gpuE3ELNS1_3repE0EEENS1_30default_config_static_selectorELNS0_4arch9wavefront6targetE1EEEvT1_
	.globl	_ZN7rocprim17ROCPRIM_400000_NS6detail17trampoline_kernelINS0_14default_configENS1_20scan_config_selectorIxEEZZNS1_9scan_implILNS1_25lookback_scan_determinismE0ELb0ELb0ES3_N6thrust23THRUST_200600_302600_NS6detail15normal_iteratorINS9_10device_ptrIxEEEESE_x9plus_mod3IxExEEDaPvRmT3_T4_T5_mT6_P12ihipStream_tbENKUlT_T0_E_clISt17integral_constantIbLb1EEST_IbLb0EEEEDaSP_SQ_EUlSP_E_NS1_11comp_targetILNS1_3genE9ELNS1_11target_archE1100ELNS1_3gpuE3ELNS1_3repE0EEENS1_30default_config_static_selectorELNS0_4arch9wavefront6targetE1EEEvT1_
	.p2align	8
	.type	_ZN7rocprim17ROCPRIM_400000_NS6detail17trampoline_kernelINS0_14default_configENS1_20scan_config_selectorIxEEZZNS1_9scan_implILNS1_25lookback_scan_determinismE0ELb0ELb0ES3_N6thrust23THRUST_200600_302600_NS6detail15normal_iteratorINS9_10device_ptrIxEEEESE_x9plus_mod3IxExEEDaPvRmT3_T4_T5_mT6_P12ihipStream_tbENKUlT_T0_E_clISt17integral_constantIbLb1EEST_IbLb0EEEEDaSP_SQ_EUlSP_E_NS1_11comp_targetILNS1_3genE9ELNS1_11target_archE1100ELNS1_3gpuE3ELNS1_3repE0EEENS1_30default_config_static_selectorELNS0_4arch9wavefront6targetE1EEEvT1_,@function
_ZN7rocprim17ROCPRIM_400000_NS6detail17trampoline_kernelINS0_14default_configENS1_20scan_config_selectorIxEEZZNS1_9scan_implILNS1_25lookback_scan_determinismE0ELb0ELb0ES3_N6thrust23THRUST_200600_302600_NS6detail15normal_iteratorINS9_10device_ptrIxEEEESE_x9plus_mod3IxExEEDaPvRmT3_T4_T5_mT6_P12ihipStream_tbENKUlT_T0_E_clISt17integral_constantIbLb1EEST_IbLb0EEEEDaSP_SQ_EUlSP_E_NS1_11comp_targetILNS1_3genE9ELNS1_11target_archE1100ELNS1_3gpuE3ELNS1_3repE0EEENS1_30default_config_static_selectorELNS0_4arch9wavefront6targetE1EEEvT1_: ; @_ZN7rocprim17ROCPRIM_400000_NS6detail17trampoline_kernelINS0_14default_configENS1_20scan_config_selectorIxEEZZNS1_9scan_implILNS1_25lookback_scan_determinismE0ELb0ELb0ES3_N6thrust23THRUST_200600_302600_NS6detail15normal_iteratorINS9_10device_ptrIxEEEESE_x9plus_mod3IxExEEDaPvRmT3_T4_T5_mT6_P12ihipStream_tbENKUlT_T0_E_clISt17integral_constantIbLb1EEST_IbLb0EEEEDaSP_SQ_EUlSP_E_NS1_11comp_targetILNS1_3genE9ELNS1_11target_archE1100ELNS1_3gpuE3ELNS1_3repE0EEENS1_30default_config_static_selectorELNS0_4arch9wavefront6targetE1EEEvT1_
; %bb.0:
	.section	.rodata,"a",@progbits
	.p2align	6, 0x0
	.amdhsa_kernel _ZN7rocprim17ROCPRIM_400000_NS6detail17trampoline_kernelINS0_14default_configENS1_20scan_config_selectorIxEEZZNS1_9scan_implILNS1_25lookback_scan_determinismE0ELb0ELb0ES3_N6thrust23THRUST_200600_302600_NS6detail15normal_iteratorINS9_10device_ptrIxEEEESE_x9plus_mod3IxExEEDaPvRmT3_T4_T5_mT6_P12ihipStream_tbENKUlT_T0_E_clISt17integral_constantIbLb1EEST_IbLb0EEEEDaSP_SQ_EUlSP_E_NS1_11comp_targetILNS1_3genE9ELNS1_11target_archE1100ELNS1_3gpuE3ELNS1_3repE0EEENS1_30default_config_static_selectorELNS0_4arch9wavefront6targetE1EEEvT1_
		.amdhsa_group_segment_fixed_size 0
		.amdhsa_private_segment_fixed_size 0
		.amdhsa_kernarg_size 104
		.amdhsa_user_sgpr_count 6
		.amdhsa_user_sgpr_private_segment_buffer 1
		.amdhsa_user_sgpr_dispatch_ptr 0
		.amdhsa_user_sgpr_queue_ptr 0
		.amdhsa_user_sgpr_kernarg_segment_ptr 1
		.amdhsa_user_sgpr_dispatch_id 0
		.amdhsa_user_sgpr_flat_scratch_init 0
		.amdhsa_user_sgpr_kernarg_preload_length 0
		.amdhsa_user_sgpr_kernarg_preload_offset 0
		.amdhsa_user_sgpr_private_segment_size 0
		.amdhsa_uses_dynamic_stack 0
		.amdhsa_system_sgpr_private_segment_wavefront_offset 0
		.amdhsa_system_sgpr_workgroup_id_x 1
		.amdhsa_system_sgpr_workgroup_id_y 0
		.amdhsa_system_sgpr_workgroup_id_z 0
		.amdhsa_system_sgpr_workgroup_info 0
		.amdhsa_system_vgpr_workitem_id 0
		.amdhsa_next_free_vgpr 1
		.amdhsa_next_free_sgpr 0
		.amdhsa_accum_offset 4
		.amdhsa_reserve_vcc 0
		.amdhsa_reserve_flat_scratch 0
		.amdhsa_float_round_mode_32 0
		.amdhsa_float_round_mode_16_64 0
		.amdhsa_float_denorm_mode_32 3
		.amdhsa_float_denorm_mode_16_64 3
		.amdhsa_dx10_clamp 1
		.amdhsa_ieee_mode 1
		.amdhsa_fp16_overflow 0
		.amdhsa_tg_split 0
		.amdhsa_exception_fp_ieee_invalid_op 0
		.amdhsa_exception_fp_denorm_src 0
		.amdhsa_exception_fp_ieee_div_zero 0
		.amdhsa_exception_fp_ieee_overflow 0
		.amdhsa_exception_fp_ieee_underflow 0
		.amdhsa_exception_fp_ieee_inexact 0
		.amdhsa_exception_int_div_zero 0
	.end_amdhsa_kernel
	.section	.text._ZN7rocprim17ROCPRIM_400000_NS6detail17trampoline_kernelINS0_14default_configENS1_20scan_config_selectorIxEEZZNS1_9scan_implILNS1_25lookback_scan_determinismE0ELb0ELb0ES3_N6thrust23THRUST_200600_302600_NS6detail15normal_iteratorINS9_10device_ptrIxEEEESE_x9plus_mod3IxExEEDaPvRmT3_T4_T5_mT6_P12ihipStream_tbENKUlT_T0_E_clISt17integral_constantIbLb1EEST_IbLb0EEEEDaSP_SQ_EUlSP_E_NS1_11comp_targetILNS1_3genE9ELNS1_11target_archE1100ELNS1_3gpuE3ELNS1_3repE0EEENS1_30default_config_static_selectorELNS0_4arch9wavefront6targetE1EEEvT1_,"axG",@progbits,_ZN7rocprim17ROCPRIM_400000_NS6detail17trampoline_kernelINS0_14default_configENS1_20scan_config_selectorIxEEZZNS1_9scan_implILNS1_25lookback_scan_determinismE0ELb0ELb0ES3_N6thrust23THRUST_200600_302600_NS6detail15normal_iteratorINS9_10device_ptrIxEEEESE_x9plus_mod3IxExEEDaPvRmT3_T4_T5_mT6_P12ihipStream_tbENKUlT_T0_E_clISt17integral_constantIbLb1EEST_IbLb0EEEEDaSP_SQ_EUlSP_E_NS1_11comp_targetILNS1_3genE9ELNS1_11target_archE1100ELNS1_3gpuE3ELNS1_3repE0EEENS1_30default_config_static_selectorELNS0_4arch9wavefront6targetE1EEEvT1_,comdat
.Lfunc_end6577:
	.size	_ZN7rocprim17ROCPRIM_400000_NS6detail17trampoline_kernelINS0_14default_configENS1_20scan_config_selectorIxEEZZNS1_9scan_implILNS1_25lookback_scan_determinismE0ELb0ELb0ES3_N6thrust23THRUST_200600_302600_NS6detail15normal_iteratorINS9_10device_ptrIxEEEESE_x9plus_mod3IxExEEDaPvRmT3_T4_T5_mT6_P12ihipStream_tbENKUlT_T0_E_clISt17integral_constantIbLb1EEST_IbLb0EEEEDaSP_SQ_EUlSP_E_NS1_11comp_targetILNS1_3genE9ELNS1_11target_archE1100ELNS1_3gpuE3ELNS1_3repE0EEENS1_30default_config_static_selectorELNS0_4arch9wavefront6targetE1EEEvT1_, .Lfunc_end6577-_ZN7rocprim17ROCPRIM_400000_NS6detail17trampoline_kernelINS0_14default_configENS1_20scan_config_selectorIxEEZZNS1_9scan_implILNS1_25lookback_scan_determinismE0ELb0ELb0ES3_N6thrust23THRUST_200600_302600_NS6detail15normal_iteratorINS9_10device_ptrIxEEEESE_x9plus_mod3IxExEEDaPvRmT3_T4_T5_mT6_P12ihipStream_tbENKUlT_T0_E_clISt17integral_constantIbLb1EEST_IbLb0EEEEDaSP_SQ_EUlSP_E_NS1_11comp_targetILNS1_3genE9ELNS1_11target_archE1100ELNS1_3gpuE3ELNS1_3repE0EEENS1_30default_config_static_selectorELNS0_4arch9wavefront6targetE1EEEvT1_
                                        ; -- End function
	.section	.AMDGPU.csdata,"",@progbits
; Kernel info:
; codeLenInByte = 0
; NumSgprs: 4
; NumVgprs: 0
; NumAgprs: 0
; TotalNumVgprs: 0
; ScratchSize: 0
; MemoryBound: 0
; FloatMode: 240
; IeeeMode: 1
; LDSByteSize: 0 bytes/workgroup (compile time only)
; SGPRBlocks: 0
; VGPRBlocks: 0
; NumSGPRsForWavesPerEU: 4
; NumVGPRsForWavesPerEU: 1
; AccumOffset: 4
; Occupancy: 8
; WaveLimiterHint : 0
; COMPUTE_PGM_RSRC2:SCRATCH_EN: 0
; COMPUTE_PGM_RSRC2:USER_SGPR: 6
; COMPUTE_PGM_RSRC2:TRAP_HANDLER: 0
; COMPUTE_PGM_RSRC2:TGID_X_EN: 1
; COMPUTE_PGM_RSRC2:TGID_Y_EN: 0
; COMPUTE_PGM_RSRC2:TGID_Z_EN: 0
; COMPUTE_PGM_RSRC2:TIDIG_COMP_CNT: 0
; COMPUTE_PGM_RSRC3_GFX90A:ACCUM_OFFSET: 0
; COMPUTE_PGM_RSRC3_GFX90A:TG_SPLIT: 0
	.section	.text._ZN7rocprim17ROCPRIM_400000_NS6detail17trampoline_kernelINS0_14default_configENS1_20scan_config_selectorIxEEZZNS1_9scan_implILNS1_25lookback_scan_determinismE0ELb0ELb0ES3_N6thrust23THRUST_200600_302600_NS6detail15normal_iteratorINS9_10device_ptrIxEEEESE_x9plus_mod3IxExEEDaPvRmT3_T4_T5_mT6_P12ihipStream_tbENKUlT_T0_E_clISt17integral_constantIbLb1EEST_IbLb0EEEEDaSP_SQ_EUlSP_E_NS1_11comp_targetILNS1_3genE8ELNS1_11target_archE1030ELNS1_3gpuE2ELNS1_3repE0EEENS1_30default_config_static_selectorELNS0_4arch9wavefront6targetE1EEEvT1_,"axG",@progbits,_ZN7rocprim17ROCPRIM_400000_NS6detail17trampoline_kernelINS0_14default_configENS1_20scan_config_selectorIxEEZZNS1_9scan_implILNS1_25lookback_scan_determinismE0ELb0ELb0ES3_N6thrust23THRUST_200600_302600_NS6detail15normal_iteratorINS9_10device_ptrIxEEEESE_x9plus_mod3IxExEEDaPvRmT3_T4_T5_mT6_P12ihipStream_tbENKUlT_T0_E_clISt17integral_constantIbLb1EEST_IbLb0EEEEDaSP_SQ_EUlSP_E_NS1_11comp_targetILNS1_3genE8ELNS1_11target_archE1030ELNS1_3gpuE2ELNS1_3repE0EEENS1_30default_config_static_selectorELNS0_4arch9wavefront6targetE1EEEvT1_,comdat
	.protected	_ZN7rocprim17ROCPRIM_400000_NS6detail17trampoline_kernelINS0_14default_configENS1_20scan_config_selectorIxEEZZNS1_9scan_implILNS1_25lookback_scan_determinismE0ELb0ELb0ES3_N6thrust23THRUST_200600_302600_NS6detail15normal_iteratorINS9_10device_ptrIxEEEESE_x9plus_mod3IxExEEDaPvRmT3_T4_T5_mT6_P12ihipStream_tbENKUlT_T0_E_clISt17integral_constantIbLb1EEST_IbLb0EEEEDaSP_SQ_EUlSP_E_NS1_11comp_targetILNS1_3genE8ELNS1_11target_archE1030ELNS1_3gpuE2ELNS1_3repE0EEENS1_30default_config_static_selectorELNS0_4arch9wavefront6targetE1EEEvT1_ ; -- Begin function _ZN7rocprim17ROCPRIM_400000_NS6detail17trampoline_kernelINS0_14default_configENS1_20scan_config_selectorIxEEZZNS1_9scan_implILNS1_25lookback_scan_determinismE0ELb0ELb0ES3_N6thrust23THRUST_200600_302600_NS6detail15normal_iteratorINS9_10device_ptrIxEEEESE_x9plus_mod3IxExEEDaPvRmT3_T4_T5_mT6_P12ihipStream_tbENKUlT_T0_E_clISt17integral_constantIbLb1EEST_IbLb0EEEEDaSP_SQ_EUlSP_E_NS1_11comp_targetILNS1_3genE8ELNS1_11target_archE1030ELNS1_3gpuE2ELNS1_3repE0EEENS1_30default_config_static_selectorELNS0_4arch9wavefront6targetE1EEEvT1_
	.globl	_ZN7rocprim17ROCPRIM_400000_NS6detail17trampoline_kernelINS0_14default_configENS1_20scan_config_selectorIxEEZZNS1_9scan_implILNS1_25lookback_scan_determinismE0ELb0ELb0ES3_N6thrust23THRUST_200600_302600_NS6detail15normal_iteratorINS9_10device_ptrIxEEEESE_x9plus_mod3IxExEEDaPvRmT3_T4_T5_mT6_P12ihipStream_tbENKUlT_T0_E_clISt17integral_constantIbLb1EEST_IbLb0EEEEDaSP_SQ_EUlSP_E_NS1_11comp_targetILNS1_3genE8ELNS1_11target_archE1030ELNS1_3gpuE2ELNS1_3repE0EEENS1_30default_config_static_selectorELNS0_4arch9wavefront6targetE1EEEvT1_
	.p2align	8
	.type	_ZN7rocprim17ROCPRIM_400000_NS6detail17trampoline_kernelINS0_14default_configENS1_20scan_config_selectorIxEEZZNS1_9scan_implILNS1_25lookback_scan_determinismE0ELb0ELb0ES3_N6thrust23THRUST_200600_302600_NS6detail15normal_iteratorINS9_10device_ptrIxEEEESE_x9plus_mod3IxExEEDaPvRmT3_T4_T5_mT6_P12ihipStream_tbENKUlT_T0_E_clISt17integral_constantIbLb1EEST_IbLb0EEEEDaSP_SQ_EUlSP_E_NS1_11comp_targetILNS1_3genE8ELNS1_11target_archE1030ELNS1_3gpuE2ELNS1_3repE0EEENS1_30default_config_static_selectorELNS0_4arch9wavefront6targetE1EEEvT1_,@function
_ZN7rocprim17ROCPRIM_400000_NS6detail17trampoline_kernelINS0_14default_configENS1_20scan_config_selectorIxEEZZNS1_9scan_implILNS1_25lookback_scan_determinismE0ELb0ELb0ES3_N6thrust23THRUST_200600_302600_NS6detail15normal_iteratorINS9_10device_ptrIxEEEESE_x9plus_mod3IxExEEDaPvRmT3_T4_T5_mT6_P12ihipStream_tbENKUlT_T0_E_clISt17integral_constantIbLb1EEST_IbLb0EEEEDaSP_SQ_EUlSP_E_NS1_11comp_targetILNS1_3genE8ELNS1_11target_archE1030ELNS1_3gpuE2ELNS1_3repE0EEENS1_30default_config_static_selectorELNS0_4arch9wavefront6targetE1EEEvT1_: ; @_ZN7rocprim17ROCPRIM_400000_NS6detail17trampoline_kernelINS0_14default_configENS1_20scan_config_selectorIxEEZZNS1_9scan_implILNS1_25lookback_scan_determinismE0ELb0ELb0ES3_N6thrust23THRUST_200600_302600_NS6detail15normal_iteratorINS9_10device_ptrIxEEEESE_x9plus_mod3IxExEEDaPvRmT3_T4_T5_mT6_P12ihipStream_tbENKUlT_T0_E_clISt17integral_constantIbLb1EEST_IbLb0EEEEDaSP_SQ_EUlSP_E_NS1_11comp_targetILNS1_3genE8ELNS1_11target_archE1030ELNS1_3gpuE2ELNS1_3repE0EEENS1_30default_config_static_selectorELNS0_4arch9wavefront6targetE1EEEvT1_
; %bb.0:
	.section	.rodata,"a",@progbits
	.p2align	6, 0x0
	.amdhsa_kernel _ZN7rocprim17ROCPRIM_400000_NS6detail17trampoline_kernelINS0_14default_configENS1_20scan_config_selectorIxEEZZNS1_9scan_implILNS1_25lookback_scan_determinismE0ELb0ELb0ES3_N6thrust23THRUST_200600_302600_NS6detail15normal_iteratorINS9_10device_ptrIxEEEESE_x9plus_mod3IxExEEDaPvRmT3_T4_T5_mT6_P12ihipStream_tbENKUlT_T0_E_clISt17integral_constantIbLb1EEST_IbLb0EEEEDaSP_SQ_EUlSP_E_NS1_11comp_targetILNS1_3genE8ELNS1_11target_archE1030ELNS1_3gpuE2ELNS1_3repE0EEENS1_30default_config_static_selectorELNS0_4arch9wavefront6targetE1EEEvT1_
		.amdhsa_group_segment_fixed_size 0
		.amdhsa_private_segment_fixed_size 0
		.amdhsa_kernarg_size 104
		.amdhsa_user_sgpr_count 6
		.amdhsa_user_sgpr_private_segment_buffer 1
		.amdhsa_user_sgpr_dispatch_ptr 0
		.amdhsa_user_sgpr_queue_ptr 0
		.amdhsa_user_sgpr_kernarg_segment_ptr 1
		.amdhsa_user_sgpr_dispatch_id 0
		.amdhsa_user_sgpr_flat_scratch_init 0
		.amdhsa_user_sgpr_kernarg_preload_length 0
		.amdhsa_user_sgpr_kernarg_preload_offset 0
		.amdhsa_user_sgpr_private_segment_size 0
		.amdhsa_uses_dynamic_stack 0
		.amdhsa_system_sgpr_private_segment_wavefront_offset 0
		.amdhsa_system_sgpr_workgroup_id_x 1
		.amdhsa_system_sgpr_workgroup_id_y 0
		.amdhsa_system_sgpr_workgroup_id_z 0
		.amdhsa_system_sgpr_workgroup_info 0
		.amdhsa_system_vgpr_workitem_id 0
		.amdhsa_next_free_vgpr 1
		.amdhsa_next_free_sgpr 0
		.amdhsa_accum_offset 4
		.amdhsa_reserve_vcc 0
		.amdhsa_reserve_flat_scratch 0
		.amdhsa_float_round_mode_32 0
		.amdhsa_float_round_mode_16_64 0
		.amdhsa_float_denorm_mode_32 3
		.amdhsa_float_denorm_mode_16_64 3
		.amdhsa_dx10_clamp 1
		.amdhsa_ieee_mode 1
		.amdhsa_fp16_overflow 0
		.amdhsa_tg_split 0
		.amdhsa_exception_fp_ieee_invalid_op 0
		.amdhsa_exception_fp_denorm_src 0
		.amdhsa_exception_fp_ieee_div_zero 0
		.amdhsa_exception_fp_ieee_overflow 0
		.amdhsa_exception_fp_ieee_underflow 0
		.amdhsa_exception_fp_ieee_inexact 0
		.amdhsa_exception_int_div_zero 0
	.end_amdhsa_kernel
	.section	.text._ZN7rocprim17ROCPRIM_400000_NS6detail17trampoline_kernelINS0_14default_configENS1_20scan_config_selectorIxEEZZNS1_9scan_implILNS1_25lookback_scan_determinismE0ELb0ELb0ES3_N6thrust23THRUST_200600_302600_NS6detail15normal_iteratorINS9_10device_ptrIxEEEESE_x9plus_mod3IxExEEDaPvRmT3_T4_T5_mT6_P12ihipStream_tbENKUlT_T0_E_clISt17integral_constantIbLb1EEST_IbLb0EEEEDaSP_SQ_EUlSP_E_NS1_11comp_targetILNS1_3genE8ELNS1_11target_archE1030ELNS1_3gpuE2ELNS1_3repE0EEENS1_30default_config_static_selectorELNS0_4arch9wavefront6targetE1EEEvT1_,"axG",@progbits,_ZN7rocprim17ROCPRIM_400000_NS6detail17trampoline_kernelINS0_14default_configENS1_20scan_config_selectorIxEEZZNS1_9scan_implILNS1_25lookback_scan_determinismE0ELb0ELb0ES3_N6thrust23THRUST_200600_302600_NS6detail15normal_iteratorINS9_10device_ptrIxEEEESE_x9plus_mod3IxExEEDaPvRmT3_T4_T5_mT6_P12ihipStream_tbENKUlT_T0_E_clISt17integral_constantIbLb1EEST_IbLb0EEEEDaSP_SQ_EUlSP_E_NS1_11comp_targetILNS1_3genE8ELNS1_11target_archE1030ELNS1_3gpuE2ELNS1_3repE0EEENS1_30default_config_static_selectorELNS0_4arch9wavefront6targetE1EEEvT1_,comdat
.Lfunc_end6578:
	.size	_ZN7rocprim17ROCPRIM_400000_NS6detail17trampoline_kernelINS0_14default_configENS1_20scan_config_selectorIxEEZZNS1_9scan_implILNS1_25lookback_scan_determinismE0ELb0ELb0ES3_N6thrust23THRUST_200600_302600_NS6detail15normal_iteratorINS9_10device_ptrIxEEEESE_x9plus_mod3IxExEEDaPvRmT3_T4_T5_mT6_P12ihipStream_tbENKUlT_T0_E_clISt17integral_constantIbLb1EEST_IbLb0EEEEDaSP_SQ_EUlSP_E_NS1_11comp_targetILNS1_3genE8ELNS1_11target_archE1030ELNS1_3gpuE2ELNS1_3repE0EEENS1_30default_config_static_selectorELNS0_4arch9wavefront6targetE1EEEvT1_, .Lfunc_end6578-_ZN7rocprim17ROCPRIM_400000_NS6detail17trampoline_kernelINS0_14default_configENS1_20scan_config_selectorIxEEZZNS1_9scan_implILNS1_25lookback_scan_determinismE0ELb0ELb0ES3_N6thrust23THRUST_200600_302600_NS6detail15normal_iteratorINS9_10device_ptrIxEEEESE_x9plus_mod3IxExEEDaPvRmT3_T4_T5_mT6_P12ihipStream_tbENKUlT_T0_E_clISt17integral_constantIbLb1EEST_IbLb0EEEEDaSP_SQ_EUlSP_E_NS1_11comp_targetILNS1_3genE8ELNS1_11target_archE1030ELNS1_3gpuE2ELNS1_3repE0EEENS1_30default_config_static_selectorELNS0_4arch9wavefront6targetE1EEEvT1_
                                        ; -- End function
	.section	.AMDGPU.csdata,"",@progbits
; Kernel info:
; codeLenInByte = 0
; NumSgprs: 4
; NumVgprs: 0
; NumAgprs: 0
; TotalNumVgprs: 0
; ScratchSize: 0
; MemoryBound: 0
; FloatMode: 240
; IeeeMode: 1
; LDSByteSize: 0 bytes/workgroup (compile time only)
; SGPRBlocks: 0
; VGPRBlocks: 0
; NumSGPRsForWavesPerEU: 4
; NumVGPRsForWavesPerEU: 1
; AccumOffset: 4
; Occupancy: 8
; WaveLimiterHint : 0
; COMPUTE_PGM_RSRC2:SCRATCH_EN: 0
; COMPUTE_PGM_RSRC2:USER_SGPR: 6
; COMPUTE_PGM_RSRC2:TRAP_HANDLER: 0
; COMPUTE_PGM_RSRC2:TGID_X_EN: 1
; COMPUTE_PGM_RSRC2:TGID_Y_EN: 0
; COMPUTE_PGM_RSRC2:TGID_Z_EN: 0
; COMPUTE_PGM_RSRC2:TIDIG_COMP_CNT: 0
; COMPUTE_PGM_RSRC3_GFX90A:ACCUM_OFFSET: 0
; COMPUTE_PGM_RSRC3_GFX90A:TG_SPLIT: 0
	.section	.text._ZN7rocprim17ROCPRIM_400000_NS6detail17trampoline_kernelINS0_14default_configENS1_20scan_config_selectorIxEEZZNS1_9scan_implILNS1_25lookback_scan_determinismE0ELb0ELb0ES3_N6thrust23THRUST_200600_302600_NS6detail15normal_iteratorINS9_10device_ptrIxEEEESE_x9plus_mod3IxExEEDaPvRmT3_T4_T5_mT6_P12ihipStream_tbENKUlT_T0_E_clISt17integral_constantIbLb1EEST_IbLb0EEEEDaSP_SQ_EUlSP_E0_NS1_11comp_targetILNS1_3genE0ELNS1_11target_archE4294967295ELNS1_3gpuE0ELNS1_3repE0EEENS1_30default_config_static_selectorELNS0_4arch9wavefront6targetE1EEEvT1_,"axG",@progbits,_ZN7rocprim17ROCPRIM_400000_NS6detail17trampoline_kernelINS0_14default_configENS1_20scan_config_selectorIxEEZZNS1_9scan_implILNS1_25lookback_scan_determinismE0ELb0ELb0ES3_N6thrust23THRUST_200600_302600_NS6detail15normal_iteratorINS9_10device_ptrIxEEEESE_x9plus_mod3IxExEEDaPvRmT3_T4_T5_mT6_P12ihipStream_tbENKUlT_T0_E_clISt17integral_constantIbLb1EEST_IbLb0EEEEDaSP_SQ_EUlSP_E0_NS1_11comp_targetILNS1_3genE0ELNS1_11target_archE4294967295ELNS1_3gpuE0ELNS1_3repE0EEENS1_30default_config_static_selectorELNS0_4arch9wavefront6targetE1EEEvT1_,comdat
	.protected	_ZN7rocprim17ROCPRIM_400000_NS6detail17trampoline_kernelINS0_14default_configENS1_20scan_config_selectorIxEEZZNS1_9scan_implILNS1_25lookback_scan_determinismE0ELb0ELb0ES3_N6thrust23THRUST_200600_302600_NS6detail15normal_iteratorINS9_10device_ptrIxEEEESE_x9plus_mod3IxExEEDaPvRmT3_T4_T5_mT6_P12ihipStream_tbENKUlT_T0_E_clISt17integral_constantIbLb1EEST_IbLb0EEEEDaSP_SQ_EUlSP_E0_NS1_11comp_targetILNS1_3genE0ELNS1_11target_archE4294967295ELNS1_3gpuE0ELNS1_3repE0EEENS1_30default_config_static_selectorELNS0_4arch9wavefront6targetE1EEEvT1_ ; -- Begin function _ZN7rocprim17ROCPRIM_400000_NS6detail17trampoline_kernelINS0_14default_configENS1_20scan_config_selectorIxEEZZNS1_9scan_implILNS1_25lookback_scan_determinismE0ELb0ELb0ES3_N6thrust23THRUST_200600_302600_NS6detail15normal_iteratorINS9_10device_ptrIxEEEESE_x9plus_mod3IxExEEDaPvRmT3_T4_T5_mT6_P12ihipStream_tbENKUlT_T0_E_clISt17integral_constantIbLb1EEST_IbLb0EEEEDaSP_SQ_EUlSP_E0_NS1_11comp_targetILNS1_3genE0ELNS1_11target_archE4294967295ELNS1_3gpuE0ELNS1_3repE0EEENS1_30default_config_static_selectorELNS0_4arch9wavefront6targetE1EEEvT1_
	.globl	_ZN7rocprim17ROCPRIM_400000_NS6detail17trampoline_kernelINS0_14default_configENS1_20scan_config_selectorIxEEZZNS1_9scan_implILNS1_25lookback_scan_determinismE0ELb0ELb0ES3_N6thrust23THRUST_200600_302600_NS6detail15normal_iteratorINS9_10device_ptrIxEEEESE_x9plus_mod3IxExEEDaPvRmT3_T4_T5_mT6_P12ihipStream_tbENKUlT_T0_E_clISt17integral_constantIbLb1EEST_IbLb0EEEEDaSP_SQ_EUlSP_E0_NS1_11comp_targetILNS1_3genE0ELNS1_11target_archE4294967295ELNS1_3gpuE0ELNS1_3repE0EEENS1_30default_config_static_selectorELNS0_4arch9wavefront6targetE1EEEvT1_
	.p2align	8
	.type	_ZN7rocprim17ROCPRIM_400000_NS6detail17trampoline_kernelINS0_14default_configENS1_20scan_config_selectorIxEEZZNS1_9scan_implILNS1_25lookback_scan_determinismE0ELb0ELb0ES3_N6thrust23THRUST_200600_302600_NS6detail15normal_iteratorINS9_10device_ptrIxEEEESE_x9plus_mod3IxExEEDaPvRmT3_T4_T5_mT6_P12ihipStream_tbENKUlT_T0_E_clISt17integral_constantIbLb1EEST_IbLb0EEEEDaSP_SQ_EUlSP_E0_NS1_11comp_targetILNS1_3genE0ELNS1_11target_archE4294967295ELNS1_3gpuE0ELNS1_3repE0EEENS1_30default_config_static_selectorELNS0_4arch9wavefront6targetE1EEEvT1_,@function
_ZN7rocprim17ROCPRIM_400000_NS6detail17trampoline_kernelINS0_14default_configENS1_20scan_config_selectorIxEEZZNS1_9scan_implILNS1_25lookback_scan_determinismE0ELb0ELb0ES3_N6thrust23THRUST_200600_302600_NS6detail15normal_iteratorINS9_10device_ptrIxEEEESE_x9plus_mod3IxExEEDaPvRmT3_T4_T5_mT6_P12ihipStream_tbENKUlT_T0_E_clISt17integral_constantIbLb1EEST_IbLb0EEEEDaSP_SQ_EUlSP_E0_NS1_11comp_targetILNS1_3genE0ELNS1_11target_archE4294967295ELNS1_3gpuE0ELNS1_3repE0EEENS1_30default_config_static_selectorELNS0_4arch9wavefront6targetE1EEEvT1_: ; @_ZN7rocprim17ROCPRIM_400000_NS6detail17trampoline_kernelINS0_14default_configENS1_20scan_config_selectorIxEEZZNS1_9scan_implILNS1_25lookback_scan_determinismE0ELb0ELb0ES3_N6thrust23THRUST_200600_302600_NS6detail15normal_iteratorINS9_10device_ptrIxEEEESE_x9plus_mod3IxExEEDaPvRmT3_T4_T5_mT6_P12ihipStream_tbENKUlT_T0_E_clISt17integral_constantIbLb1EEST_IbLb0EEEEDaSP_SQ_EUlSP_E0_NS1_11comp_targetILNS1_3genE0ELNS1_11target_archE4294967295ELNS1_3gpuE0ELNS1_3repE0EEENS1_30default_config_static_selectorELNS0_4arch9wavefront6targetE1EEEvT1_
; %bb.0:
	.section	.rodata,"a",@progbits
	.p2align	6, 0x0
	.amdhsa_kernel _ZN7rocprim17ROCPRIM_400000_NS6detail17trampoline_kernelINS0_14default_configENS1_20scan_config_selectorIxEEZZNS1_9scan_implILNS1_25lookback_scan_determinismE0ELb0ELb0ES3_N6thrust23THRUST_200600_302600_NS6detail15normal_iteratorINS9_10device_ptrIxEEEESE_x9plus_mod3IxExEEDaPvRmT3_T4_T5_mT6_P12ihipStream_tbENKUlT_T0_E_clISt17integral_constantIbLb1EEST_IbLb0EEEEDaSP_SQ_EUlSP_E0_NS1_11comp_targetILNS1_3genE0ELNS1_11target_archE4294967295ELNS1_3gpuE0ELNS1_3repE0EEENS1_30default_config_static_selectorELNS0_4arch9wavefront6targetE1EEEvT1_
		.amdhsa_group_segment_fixed_size 0
		.amdhsa_private_segment_fixed_size 0
		.amdhsa_kernarg_size 40
		.amdhsa_user_sgpr_count 6
		.amdhsa_user_sgpr_private_segment_buffer 1
		.amdhsa_user_sgpr_dispatch_ptr 0
		.amdhsa_user_sgpr_queue_ptr 0
		.amdhsa_user_sgpr_kernarg_segment_ptr 1
		.amdhsa_user_sgpr_dispatch_id 0
		.amdhsa_user_sgpr_flat_scratch_init 0
		.amdhsa_user_sgpr_kernarg_preload_length 0
		.amdhsa_user_sgpr_kernarg_preload_offset 0
		.amdhsa_user_sgpr_private_segment_size 0
		.amdhsa_uses_dynamic_stack 0
		.amdhsa_system_sgpr_private_segment_wavefront_offset 0
		.amdhsa_system_sgpr_workgroup_id_x 1
		.amdhsa_system_sgpr_workgroup_id_y 0
		.amdhsa_system_sgpr_workgroup_id_z 0
		.amdhsa_system_sgpr_workgroup_info 0
		.amdhsa_system_vgpr_workitem_id 0
		.amdhsa_next_free_vgpr 1
		.amdhsa_next_free_sgpr 0
		.amdhsa_accum_offset 4
		.amdhsa_reserve_vcc 0
		.amdhsa_reserve_flat_scratch 0
		.amdhsa_float_round_mode_32 0
		.amdhsa_float_round_mode_16_64 0
		.amdhsa_float_denorm_mode_32 3
		.amdhsa_float_denorm_mode_16_64 3
		.amdhsa_dx10_clamp 1
		.amdhsa_ieee_mode 1
		.amdhsa_fp16_overflow 0
		.amdhsa_tg_split 0
		.amdhsa_exception_fp_ieee_invalid_op 0
		.amdhsa_exception_fp_denorm_src 0
		.amdhsa_exception_fp_ieee_div_zero 0
		.amdhsa_exception_fp_ieee_overflow 0
		.amdhsa_exception_fp_ieee_underflow 0
		.amdhsa_exception_fp_ieee_inexact 0
		.amdhsa_exception_int_div_zero 0
	.end_amdhsa_kernel
	.section	.text._ZN7rocprim17ROCPRIM_400000_NS6detail17trampoline_kernelINS0_14default_configENS1_20scan_config_selectorIxEEZZNS1_9scan_implILNS1_25lookback_scan_determinismE0ELb0ELb0ES3_N6thrust23THRUST_200600_302600_NS6detail15normal_iteratorINS9_10device_ptrIxEEEESE_x9plus_mod3IxExEEDaPvRmT3_T4_T5_mT6_P12ihipStream_tbENKUlT_T0_E_clISt17integral_constantIbLb1EEST_IbLb0EEEEDaSP_SQ_EUlSP_E0_NS1_11comp_targetILNS1_3genE0ELNS1_11target_archE4294967295ELNS1_3gpuE0ELNS1_3repE0EEENS1_30default_config_static_selectorELNS0_4arch9wavefront6targetE1EEEvT1_,"axG",@progbits,_ZN7rocprim17ROCPRIM_400000_NS6detail17trampoline_kernelINS0_14default_configENS1_20scan_config_selectorIxEEZZNS1_9scan_implILNS1_25lookback_scan_determinismE0ELb0ELb0ES3_N6thrust23THRUST_200600_302600_NS6detail15normal_iteratorINS9_10device_ptrIxEEEESE_x9plus_mod3IxExEEDaPvRmT3_T4_T5_mT6_P12ihipStream_tbENKUlT_T0_E_clISt17integral_constantIbLb1EEST_IbLb0EEEEDaSP_SQ_EUlSP_E0_NS1_11comp_targetILNS1_3genE0ELNS1_11target_archE4294967295ELNS1_3gpuE0ELNS1_3repE0EEENS1_30default_config_static_selectorELNS0_4arch9wavefront6targetE1EEEvT1_,comdat
.Lfunc_end6579:
	.size	_ZN7rocprim17ROCPRIM_400000_NS6detail17trampoline_kernelINS0_14default_configENS1_20scan_config_selectorIxEEZZNS1_9scan_implILNS1_25lookback_scan_determinismE0ELb0ELb0ES3_N6thrust23THRUST_200600_302600_NS6detail15normal_iteratorINS9_10device_ptrIxEEEESE_x9plus_mod3IxExEEDaPvRmT3_T4_T5_mT6_P12ihipStream_tbENKUlT_T0_E_clISt17integral_constantIbLb1EEST_IbLb0EEEEDaSP_SQ_EUlSP_E0_NS1_11comp_targetILNS1_3genE0ELNS1_11target_archE4294967295ELNS1_3gpuE0ELNS1_3repE0EEENS1_30default_config_static_selectorELNS0_4arch9wavefront6targetE1EEEvT1_, .Lfunc_end6579-_ZN7rocprim17ROCPRIM_400000_NS6detail17trampoline_kernelINS0_14default_configENS1_20scan_config_selectorIxEEZZNS1_9scan_implILNS1_25lookback_scan_determinismE0ELb0ELb0ES3_N6thrust23THRUST_200600_302600_NS6detail15normal_iteratorINS9_10device_ptrIxEEEESE_x9plus_mod3IxExEEDaPvRmT3_T4_T5_mT6_P12ihipStream_tbENKUlT_T0_E_clISt17integral_constantIbLb1EEST_IbLb0EEEEDaSP_SQ_EUlSP_E0_NS1_11comp_targetILNS1_3genE0ELNS1_11target_archE4294967295ELNS1_3gpuE0ELNS1_3repE0EEENS1_30default_config_static_selectorELNS0_4arch9wavefront6targetE1EEEvT1_
                                        ; -- End function
	.section	.AMDGPU.csdata,"",@progbits
; Kernel info:
; codeLenInByte = 0
; NumSgprs: 4
; NumVgprs: 0
; NumAgprs: 0
; TotalNumVgprs: 0
; ScratchSize: 0
; MemoryBound: 0
; FloatMode: 240
; IeeeMode: 1
; LDSByteSize: 0 bytes/workgroup (compile time only)
; SGPRBlocks: 0
; VGPRBlocks: 0
; NumSGPRsForWavesPerEU: 4
; NumVGPRsForWavesPerEU: 1
; AccumOffset: 4
; Occupancy: 8
; WaveLimiterHint : 0
; COMPUTE_PGM_RSRC2:SCRATCH_EN: 0
; COMPUTE_PGM_RSRC2:USER_SGPR: 6
; COMPUTE_PGM_RSRC2:TRAP_HANDLER: 0
; COMPUTE_PGM_RSRC2:TGID_X_EN: 1
; COMPUTE_PGM_RSRC2:TGID_Y_EN: 0
; COMPUTE_PGM_RSRC2:TGID_Z_EN: 0
; COMPUTE_PGM_RSRC2:TIDIG_COMP_CNT: 0
; COMPUTE_PGM_RSRC3_GFX90A:ACCUM_OFFSET: 0
; COMPUTE_PGM_RSRC3_GFX90A:TG_SPLIT: 0
	.section	.text._ZN7rocprim17ROCPRIM_400000_NS6detail17trampoline_kernelINS0_14default_configENS1_20scan_config_selectorIxEEZZNS1_9scan_implILNS1_25lookback_scan_determinismE0ELb0ELb0ES3_N6thrust23THRUST_200600_302600_NS6detail15normal_iteratorINS9_10device_ptrIxEEEESE_x9plus_mod3IxExEEDaPvRmT3_T4_T5_mT6_P12ihipStream_tbENKUlT_T0_E_clISt17integral_constantIbLb1EEST_IbLb0EEEEDaSP_SQ_EUlSP_E0_NS1_11comp_targetILNS1_3genE5ELNS1_11target_archE942ELNS1_3gpuE9ELNS1_3repE0EEENS1_30default_config_static_selectorELNS0_4arch9wavefront6targetE1EEEvT1_,"axG",@progbits,_ZN7rocprim17ROCPRIM_400000_NS6detail17trampoline_kernelINS0_14default_configENS1_20scan_config_selectorIxEEZZNS1_9scan_implILNS1_25lookback_scan_determinismE0ELb0ELb0ES3_N6thrust23THRUST_200600_302600_NS6detail15normal_iteratorINS9_10device_ptrIxEEEESE_x9plus_mod3IxExEEDaPvRmT3_T4_T5_mT6_P12ihipStream_tbENKUlT_T0_E_clISt17integral_constantIbLb1EEST_IbLb0EEEEDaSP_SQ_EUlSP_E0_NS1_11comp_targetILNS1_3genE5ELNS1_11target_archE942ELNS1_3gpuE9ELNS1_3repE0EEENS1_30default_config_static_selectorELNS0_4arch9wavefront6targetE1EEEvT1_,comdat
	.protected	_ZN7rocprim17ROCPRIM_400000_NS6detail17trampoline_kernelINS0_14default_configENS1_20scan_config_selectorIxEEZZNS1_9scan_implILNS1_25lookback_scan_determinismE0ELb0ELb0ES3_N6thrust23THRUST_200600_302600_NS6detail15normal_iteratorINS9_10device_ptrIxEEEESE_x9plus_mod3IxExEEDaPvRmT3_T4_T5_mT6_P12ihipStream_tbENKUlT_T0_E_clISt17integral_constantIbLb1EEST_IbLb0EEEEDaSP_SQ_EUlSP_E0_NS1_11comp_targetILNS1_3genE5ELNS1_11target_archE942ELNS1_3gpuE9ELNS1_3repE0EEENS1_30default_config_static_selectorELNS0_4arch9wavefront6targetE1EEEvT1_ ; -- Begin function _ZN7rocprim17ROCPRIM_400000_NS6detail17trampoline_kernelINS0_14default_configENS1_20scan_config_selectorIxEEZZNS1_9scan_implILNS1_25lookback_scan_determinismE0ELb0ELb0ES3_N6thrust23THRUST_200600_302600_NS6detail15normal_iteratorINS9_10device_ptrIxEEEESE_x9plus_mod3IxExEEDaPvRmT3_T4_T5_mT6_P12ihipStream_tbENKUlT_T0_E_clISt17integral_constantIbLb1EEST_IbLb0EEEEDaSP_SQ_EUlSP_E0_NS1_11comp_targetILNS1_3genE5ELNS1_11target_archE942ELNS1_3gpuE9ELNS1_3repE0EEENS1_30default_config_static_selectorELNS0_4arch9wavefront6targetE1EEEvT1_
	.globl	_ZN7rocprim17ROCPRIM_400000_NS6detail17trampoline_kernelINS0_14default_configENS1_20scan_config_selectorIxEEZZNS1_9scan_implILNS1_25lookback_scan_determinismE0ELb0ELb0ES3_N6thrust23THRUST_200600_302600_NS6detail15normal_iteratorINS9_10device_ptrIxEEEESE_x9plus_mod3IxExEEDaPvRmT3_T4_T5_mT6_P12ihipStream_tbENKUlT_T0_E_clISt17integral_constantIbLb1EEST_IbLb0EEEEDaSP_SQ_EUlSP_E0_NS1_11comp_targetILNS1_3genE5ELNS1_11target_archE942ELNS1_3gpuE9ELNS1_3repE0EEENS1_30default_config_static_selectorELNS0_4arch9wavefront6targetE1EEEvT1_
	.p2align	8
	.type	_ZN7rocprim17ROCPRIM_400000_NS6detail17trampoline_kernelINS0_14default_configENS1_20scan_config_selectorIxEEZZNS1_9scan_implILNS1_25lookback_scan_determinismE0ELb0ELb0ES3_N6thrust23THRUST_200600_302600_NS6detail15normal_iteratorINS9_10device_ptrIxEEEESE_x9plus_mod3IxExEEDaPvRmT3_T4_T5_mT6_P12ihipStream_tbENKUlT_T0_E_clISt17integral_constantIbLb1EEST_IbLb0EEEEDaSP_SQ_EUlSP_E0_NS1_11comp_targetILNS1_3genE5ELNS1_11target_archE942ELNS1_3gpuE9ELNS1_3repE0EEENS1_30default_config_static_selectorELNS0_4arch9wavefront6targetE1EEEvT1_,@function
_ZN7rocprim17ROCPRIM_400000_NS6detail17trampoline_kernelINS0_14default_configENS1_20scan_config_selectorIxEEZZNS1_9scan_implILNS1_25lookback_scan_determinismE0ELb0ELb0ES3_N6thrust23THRUST_200600_302600_NS6detail15normal_iteratorINS9_10device_ptrIxEEEESE_x9plus_mod3IxExEEDaPvRmT3_T4_T5_mT6_P12ihipStream_tbENKUlT_T0_E_clISt17integral_constantIbLb1EEST_IbLb0EEEEDaSP_SQ_EUlSP_E0_NS1_11comp_targetILNS1_3genE5ELNS1_11target_archE942ELNS1_3gpuE9ELNS1_3repE0EEENS1_30default_config_static_selectorELNS0_4arch9wavefront6targetE1EEEvT1_: ; @_ZN7rocprim17ROCPRIM_400000_NS6detail17trampoline_kernelINS0_14default_configENS1_20scan_config_selectorIxEEZZNS1_9scan_implILNS1_25lookback_scan_determinismE0ELb0ELb0ES3_N6thrust23THRUST_200600_302600_NS6detail15normal_iteratorINS9_10device_ptrIxEEEESE_x9plus_mod3IxExEEDaPvRmT3_T4_T5_mT6_P12ihipStream_tbENKUlT_T0_E_clISt17integral_constantIbLb1EEST_IbLb0EEEEDaSP_SQ_EUlSP_E0_NS1_11comp_targetILNS1_3genE5ELNS1_11target_archE942ELNS1_3gpuE9ELNS1_3repE0EEENS1_30default_config_static_selectorELNS0_4arch9wavefront6targetE1EEEvT1_
; %bb.0:
	.section	.rodata,"a",@progbits
	.p2align	6, 0x0
	.amdhsa_kernel _ZN7rocprim17ROCPRIM_400000_NS6detail17trampoline_kernelINS0_14default_configENS1_20scan_config_selectorIxEEZZNS1_9scan_implILNS1_25lookback_scan_determinismE0ELb0ELb0ES3_N6thrust23THRUST_200600_302600_NS6detail15normal_iteratorINS9_10device_ptrIxEEEESE_x9plus_mod3IxExEEDaPvRmT3_T4_T5_mT6_P12ihipStream_tbENKUlT_T0_E_clISt17integral_constantIbLb1EEST_IbLb0EEEEDaSP_SQ_EUlSP_E0_NS1_11comp_targetILNS1_3genE5ELNS1_11target_archE942ELNS1_3gpuE9ELNS1_3repE0EEENS1_30default_config_static_selectorELNS0_4arch9wavefront6targetE1EEEvT1_
		.amdhsa_group_segment_fixed_size 0
		.amdhsa_private_segment_fixed_size 0
		.amdhsa_kernarg_size 40
		.amdhsa_user_sgpr_count 6
		.amdhsa_user_sgpr_private_segment_buffer 1
		.amdhsa_user_sgpr_dispatch_ptr 0
		.amdhsa_user_sgpr_queue_ptr 0
		.amdhsa_user_sgpr_kernarg_segment_ptr 1
		.amdhsa_user_sgpr_dispatch_id 0
		.amdhsa_user_sgpr_flat_scratch_init 0
		.amdhsa_user_sgpr_kernarg_preload_length 0
		.amdhsa_user_sgpr_kernarg_preload_offset 0
		.amdhsa_user_sgpr_private_segment_size 0
		.amdhsa_uses_dynamic_stack 0
		.amdhsa_system_sgpr_private_segment_wavefront_offset 0
		.amdhsa_system_sgpr_workgroup_id_x 1
		.amdhsa_system_sgpr_workgroup_id_y 0
		.amdhsa_system_sgpr_workgroup_id_z 0
		.amdhsa_system_sgpr_workgroup_info 0
		.amdhsa_system_vgpr_workitem_id 0
		.amdhsa_next_free_vgpr 1
		.amdhsa_next_free_sgpr 0
		.amdhsa_accum_offset 4
		.amdhsa_reserve_vcc 0
		.amdhsa_reserve_flat_scratch 0
		.amdhsa_float_round_mode_32 0
		.amdhsa_float_round_mode_16_64 0
		.amdhsa_float_denorm_mode_32 3
		.amdhsa_float_denorm_mode_16_64 3
		.amdhsa_dx10_clamp 1
		.amdhsa_ieee_mode 1
		.amdhsa_fp16_overflow 0
		.amdhsa_tg_split 0
		.amdhsa_exception_fp_ieee_invalid_op 0
		.amdhsa_exception_fp_denorm_src 0
		.amdhsa_exception_fp_ieee_div_zero 0
		.amdhsa_exception_fp_ieee_overflow 0
		.amdhsa_exception_fp_ieee_underflow 0
		.amdhsa_exception_fp_ieee_inexact 0
		.amdhsa_exception_int_div_zero 0
	.end_amdhsa_kernel
	.section	.text._ZN7rocprim17ROCPRIM_400000_NS6detail17trampoline_kernelINS0_14default_configENS1_20scan_config_selectorIxEEZZNS1_9scan_implILNS1_25lookback_scan_determinismE0ELb0ELb0ES3_N6thrust23THRUST_200600_302600_NS6detail15normal_iteratorINS9_10device_ptrIxEEEESE_x9plus_mod3IxExEEDaPvRmT3_T4_T5_mT6_P12ihipStream_tbENKUlT_T0_E_clISt17integral_constantIbLb1EEST_IbLb0EEEEDaSP_SQ_EUlSP_E0_NS1_11comp_targetILNS1_3genE5ELNS1_11target_archE942ELNS1_3gpuE9ELNS1_3repE0EEENS1_30default_config_static_selectorELNS0_4arch9wavefront6targetE1EEEvT1_,"axG",@progbits,_ZN7rocprim17ROCPRIM_400000_NS6detail17trampoline_kernelINS0_14default_configENS1_20scan_config_selectorIxEEZZNS1_9scan_implILNS1_25lookback_scan_determinismE0ELb0ELb0ES3_N6thrust23THRUST_200600_302600_NS6detail15normal_iteratorINS9_10device_ptrIxEEEESE_x9plus_mod3IxExEEDaPvRmT3_T4_T5_mT6_P12ihipStream_tbENKUlT_T0_E_clISt17integral_constantIbLb1EEST_IbLb0EEEEDaSP_SQ_EUlSP_E0_NS1_11comp_targetILNS1_3genE5ELNS1_11target_archE942ELNS1_3gpuE9ELNS1_3repE0EEENS1_30default_config_static_selectorELNS0_4arch9wavefront6targetE1EEEvT1_,comdat
.Lfunc_end6580:
	.size	_ZN7rocprim17ROCPRIM_400000_NS6detail17trampoline_kernelINS0_14default_configENS1_20scan_config_selectorIxEEZZNS1_9scan_implILNS1_25lookback_scan_determinismE0ELb0ELb0ES3_N6thrust23THRUST_200600_302600_NS6detail15normal_iteratorINS9_10device_ptrIxEEEESE_x9plus_mod3IxExEEDaPvRmT3_T4_T5_mT6_P12ihipStream_tbENKUlT_T0_E_clISt17integral_constantIbLb1EEST_IbLb0EEEEDaSP_SQ_EUlSP_E0_NS1_11comp_targetILNS1_3genE5ELNS1_11target_archE942ELNS1_3gpuE9ELNS1_3repE0EEENS1_30default_config_static_selectorELNS0_4arch9wavefront6targetE1EEEvT1_, .Lfunc_end6580-_ZN7rocprim17ROCPRIM_400000_NS6detail17trampoline_kernelINS0_14default_configENS1_20scan_config_selectorIxEEZZNS1_9scan_implILNS1_25lookback_scan_determinismE0ELb0ELb0ES3_N6thrust23THRUST_200600_302600_NS6detail15normal_iteratorINS9_10device_ptrIxEEEESE_x9plus_mod3IxExEEDaPvRmT3_T4_T5_mT6_P12ihipStream_tbENKUlT_T0_E_clISt17integral_constantIbLb1EEST_IbLb0EEEEDaSP_SQ_EUlSP_E0_NS1_11comp_targetILNS1_3genE5ELNS1_11target_archE942ELNS1_3gpuE9ELNS1_3repE0EEENS1_30default_config_static_selectorELNS0_4arch9wavefront6targetE1EEEvT1_
                                        ; -- End function
	.section	.AMDGPU.csdata,"",@progbits
; Kernel info:
; codeLenInByte = 0
; NumSgprs: 4
; NumVgprs: 0
; NumAgprs: 0
; TotalNumVgprs: 0
; ScratchSize: 0
; MemoryBound: 0
; FloatMode: 240
; IeeeMode: 1
; LDSByteSize: 0 bytes/workgroup (compile time only)
; SGPRBlocks: 0
; VGPRBlocks: 0
; NumSGPRsForWavesPerEU: 4
; NumVGPRsForWavesPerEU: 1
; AccumOffset: 4
; Occupancy: 8
; WaveLimiterHint : 0
; COMPUTE_PGM_RSRC2:SCRATCH_EN: 0
; COMPUTE_PGM_RSRC2:USER_SGPR: 6
; COMPUTE_PGM_RSRC2:TRAP_HANDLER: 0
; COMPUTE_PGM_RSRC2:TGID_X_EN: 1
; COMPUTE_PGM_RSRC2:TGID_Y_EN: 0
; COMPUTE_PGM_RSRC2:TGID_Z_EN: 0
; COMPUTE_PGM_RSRC2:TIDIG_COMP_CNT: 0
; COMPUTE_PGM_RSRC3_GFX90A:ACCUM_OFFSET: 0
; COMPUTE_PGM_RSRC3_GFX90A:TG_SPLIT: 0
	.section	.text._ZN7rocprim17ROCPRIM_400000_NS6detail17trampoline_kernelINS0_14default_configENS1_20scan_config_selectorIxEEZZNS1_9scan_implILNS1_25lookback_scan_determinismE0ELb0ELb0ES3_N6thrust23THRUST_200600_302600_NS6detail15normal_iteratorINS9_10device_ptrIxEEEESE_x9plus_mod3IxExEEDaPvRmT3_T4_T5_mT6_P12ihipStream_tbENKUlT_T0_E_clISt17integral_constantIbLb1EEST_IbLb0EEEEDaSP_SQ_EUlSP_E0_NS1_11comp_targetILNS1_3genE4ELNS1_11target_archE910ELNS1_3gpuE8ELNS1_3repE0EEENS1_30default_config_static_selectorELNS0_4arch9wavefront6targetE1EEEvT1_,"axG",@progbits,_ZN7rocprim17ROCPRIM_400000_NS6detail17trampoline_kernelINS0_14default_configENS1_20scan_config_selectorIxEEZZNS1_9scan_implILNS1_25lookback_scan_determinismE0ELb0ELb0ES3_N6thrust23THRUST_200600_302600_NS6detail15normal_iteratorINS9_10device_ptrIxEEEESE_x9plus_mod3IxExEEDaPvRmT3_T4_T5_mT6_P12ihipStream_tbENKUlT_T0_E_clISt17integral_constantIbLb1EEST_IbLb0EEEEDaSP_SQ_EUlSP_E0_NS1_11comp_targetILNS1_3genE4ELNS1_11target_archE910ELNS1_3gpuE8ELNS1_3repE0EEENS1_30default_config_static_selectorELNS0_4arch9wavefront6targetE1EEEvT1_,comdat
	.protected	_ZN7rocprim17ROCPRIM_400000_NS6detail17trampoline_kernelINS0_14default_configENS1_20scan_config_selectorIxEEZZNS1_9scan_implILNS1_25lookback_scan_determinismE0ELb0ELb0ES3_N6thrust23THRUST_200600_302600_NS6detail15normal_iteratorINS9_10device_ptrIxEEEESE_x9plus_mod3IxExEEDaPvRmT3_T4_T5_mT6_P12ihipStream_tbENKUlT_T0_E_clISt17integral_constantIbLb1EEST_IbLb0EEEEDaSP_SQ_EUlSP_E0_NS1_11comp_targetILNS1_3genE4ELNS1_11target_archE910ELNS1_3gpuE8ELNS1_3repE0EEENS1_30default_config_static_selectorELNS0_4arch9wavefront6targetE1EEEvT1_ ; -- Begin function _ZN7rocprim17ROCPRIM_400000_NS6detail17trampoline_kernelINS0_14default_configENS1_20scan_config_selectorIxEEZZNS1_9scan_implILNS1_25lookback_scan_determinismE0ELb0ELb0ES3_N6thrust23THRUST_200600_302600_NS6detail15normal_iteratorINS9_10device_ptrIxEEEESE_x9plus_mod3IxExEEDaPvRmT3_T4_T5_mT6_P12ihipStream_tbENKUlT_T0_E_clISt17integral_constantIbLb1EEST_IbLb0EEEEDaSP_SQ_EUlSP_E0_NS1_11comp_targetILNS1_3genE4ELNS1_11target_archE910ELNS1_3gpuE8ELNS1_3repE0EEENS1_30default_config_static_selectorELNS0_4arch9wavefront6targetE1EEEvT1_
	.globl	_ZN7rocprim17ROCPRIM_400000_NS6detail17trampoline_kernelINS0_14default_configENS1_20scan_config_selectorIxEEZZNS1_9scan_implILNS1_25lookback_scan_determinismE0ELb0ELb0ES3_N6thrust23THRUST_200600_302600_NS6detail15normal_iteratorINS9_10device_ptrIxEEEESE_x9plus_mod3IxExEEDaPvRmT3_T4_T5_mT6_P12ihipStream_tbENKUlT_T0_E_clISt17integral_constantIbLb1EEST_IbLb0EEEEDaSP_SQ_EUlSP_E0_NS1_11comp_targetILNS1_3genE4ELNS1_11target_archE910ELNS1_3gpuE8ELNS1_3repE0EEENS1_30default_config_static_selectorELNS0_4arch9wavefront6targetE1EEEvT1_
	.p2align	8
	.type	_ZN7rocprim17ROCPRIM_400000_NS6detail17trampoline_kernelINS0_14default_configENS1_20scan_config_selectorIxEEZZNS1_9scan_implILNS1_25lookback_scan_determinismE0ELb0ELb0ES3_N6thrust23THRUST_200600_302600_NS6detail15normal_iteratorINS9_10device_ptrIxEEEESE_x9plus_mod3IxExEEDaPvRmT3_T4_T5_mT6_P12ihipStream_tbENKUlT_T0_E_clISt17integral_constantIbLb1EEST_IbLb0EEEEDaSP_SQ_EUlSP_E0_NS1_11comp_targetILNS1_3genE4ELNS1_11target_archE910ELNS1_3gpuE8ELNS1_3repE0EEENS1_30default_config_static_selectorELNS0_4arch9wavefront6targetE1EEEvT1_,@function
_ZN7rocprim17ROCPRIM_400000_NS6detail17trampoline_kernelINS0_14default_configENS1_20scan_config_selectorIxEEZZNS1_9scan_implILNS1_25lookback_scan_determinismE0ELb0ELb0ES3_N6thrust23THRUST_200600_302600_NS6detail15normal_iteratorINS9_10device_ptrIxEEEESE_x9plus_mod3IxExEEDaPvRmT3_T4_T5_mT6_P12ihipStream_tbENKUlT_T0_E_clISt17integral_constantIbLb1EEST_IbLb0EEEEDaSP_SQ_EUlSP_E0_NS1_11comp_targetILNS1_3genE4ELNS1_11target_archE910ELNS1_3gpuE8ELNS1_3repE0EEENS1_30default_config_static_selectorELNS0_4arch9wavefront6targetE1EEEvT1_: ; @_ZN7rocprim17ROCPRIM_400000_NS6detail17trampoline_kernelINS0_14default_configENS1_20scan_config_selectorIxEEZZNS1_9scan_implILNS1_25lookback_scan_determinismE0ELb0ELb0ES3_N6thrust23THRUST_200600_302600_NS6detail15normal_iteratorINS9_10device_ptrIxEEEESE_x9plus_mod3IxExEEDaPvRmT3_T4_T5_mT6_P12ihipStream_tbENKUlT_T0_E_clISt17integral_constantIbLb1EEST_IbLb0EEEEDaSP_SQ_EUlSP_E0_NS1_11comp_targetILNS1_3genE4ELNS1_11target_archE910ELNS1_3gpuE8ELNS1_3repE0EEENS1_30default_config_static_selectorELNS0_4arch9wavefront6targetE1EEEvT1_
; %bb.0:
	s_load_dwordx4 s[20:23], s[4:5], 0x0
	v_lshlrev_b32_e32 v26, 3, v0
	s_waitcnt lgkmcnt(0)
	s_load_dwordx2 s[14:15], s[20:21], 0x0
	v_cmp_gt_u32_e32 vcc, s22, v0
	s_waitcnt lgkmcnt(0)
	v_pk_mov_b32 v[2:3], s[14:15], s[14:15] op_sel:[0,1]
	s_and_saveexec_b64 s[0:1], vcc
	s_cbranch_execz .LBB6581_2
; %bb.1:
	global_load_dwordx2 v[2:3], v26, s[20:21]
.LBB6581_2:
	s_or_b64 exec, exec, s[0:1]
	v_or_b32_e32 v1, 0x80, v0
	v_cmp_gt_u32_e64 s[0:1], s22, v1
	v_pk_mov_b32 v[4:5], s[14:15], s[14:15] op_sel:[0,1]
	s_and_saveexec_b64 s[2:3], s[0:1]
	s_cbranch_execz .LBB6581_4
; %bb.3:
	global_load_dwordx2 v[4:5], v26, s[20:21] offset:1024
.LBB6581_4:
	s_or_b64 exec, exec, s[2:3]
	v_or_b32_e32 v1, 0x100, v0
	v_cmp_gt_u32_e64 s[2:3], s22, v1
	v_pk_mov_b32 v[6:7], s[14:15], s[14:15] op_sel:[0,1]
	s_and_saveexec_b64 s[6:7], s[2:3]
	s_cbranch_execz .LBB6581_6
; %bb.5:
	global_load_dwordx2 v[6:7], v26, s[20:21] offset:2048
.LBB6581_6:
	;; [unrolled: 9-line block ×3, first 2 shown]
	s_or_b64 exec, exec, s[6:7]
	v_or_b32_e32 v1, 0x200, v0
	v_cmp_gt_u32_e64 s[6:7], s22, v1
	v_pk_mov_b32 v[10:11], s[14:15], s[14:15] op_sel:[0,1]
	s_and_saveexec_b64 s[8:9], s[6:7]
	s_cbranch_execz .LBB6581_10
; %bb.9:
	v_lshlrev_b32_e32 v1, 3, v1
	global_load_dwordx2 v[10:11], v1, s[20:21]
.LBB6581_10:
	s_or_b64 exec, exec, s[8:9]
	v_or_b32_e32 v1, 0x280, v0
	v_cmp_gt_u32_e64 s[8:9], s22, v1
	v_pk_mov_b32 v[12:13], s[14:15], s[14:15] op_sel:[0,1]
	s_and_saveexec_b64 s[10:11], s[8:9]
	s_cbranch_execz .LBB6581_12
; %bb.11:
	v_lshlrev_b32_e32 v1, 3, v1
	global_load_dwordx2 v[12:13], v1, s[20:21]
.LBB6581_12:
	s_or_b64 exec, exec, s[10:11]
	s_load_dwordx4 s[16:19], s[4:5], 0x18
	v_or_b32_e32 v1, 0x300, v0
	v_cmp_gt_u32_e64 s[10:11], s22, v1
	v_pk_mov_b32 v[14:15], s[14:15], s[14:15] op_sel:[0,1]
	s_and_saveexec_b64 s[4:5], s[10:11]
	s_cbranch_execz .LBB6581_14
; %bb.13:
	v_lshlrev_b32_e32 v1, 3, v1
	global_load_dwordx2 v[14:15], v1, s[20:21]
.LBB6581_14:
	s_or_b64 exec, exec, s[4:5]
	v_mad_u32_u24 v1, v0, 48, v26
	s_waitcnt vmcnt(0)
	ds_write2st64_b64 v26, v[2:3], v[4:5] offset1:2
	ds_write2st64_b64 v26, v[6:7], v[8:9] offset0:4 offset1:6
	ds_write2st64_b64 v26, v[10:11], v[12:13] offset0:8 offset1:10
	ds_write_b64 v26, v[14:15] offset:6144
	s_waitcnt lgkmcnt(0)
	s_barrier
	ds_read2_b64 v[2:5], v1 offset1:1
	ds_read2_b64 v[10:13], v1 offset0:2 offset1:3
	ds_read2_b64 v[6:9], v1 offset0:4 offset1:5
	ds_read_b64 v[18:19], v1 offset:48
	v_mov_b32_e32 v24, 0
	s_waitcnt lgkmcnt(3)
	v_add_u32_e32 v25, v4, v2
	v_ashrrev_i64 v[20:21], 29, v[24:25]
	v_mov_b32_e32 v1, s17
	v_add_co_u32_e64 v14, s[4:5], s16, v20
	v_addc_co_u32_e64 v15, s[4:5], v1, v21, s[4:5]
	s_waitcnt lgkmcnt(0)
	s_barrier
	global_load_dword v1, v[14:15], off
	v_mov_b32_e32 v5, s17
	s_waitcnt vmcnt(0)
	v_add_u32_e32 v25, v1, v10
	v_ashrrev_i64 v[14:15], 29, v[24:25]
	v_add_co_u32_e64 v14, s[4:5], s16, v14
	v_addc_co_u32_e64 v15, s[4:5], v5, v15, s[4:5]
	global_load_dword v1, v[14:15], off
	s_waitcnt vmcnt(0)
	v_add_u32_e32 v25, v1, v12
	v_ashrrev_i64 v[14:15], 29, v[24:25]
	v_add_co_u32_e64 v14, s[4:5], s16, v14
	v_addc_co_u32_e64 v15, s[4:5], v5, v15, s[4:5]
	global_load_dword v1, v[14:15], off
	;; [unrolled: 6-line block ×4, first 2 shown]
	s_waitcnt vmcnt(0)
	v_add_u32_e32 v25, v1, v18
	v_ashrrev_i64 v[14:15], 29, v[24:25]
	v_add_co_u32_e64 v14, s[4:5], s16, v14
	v_addc_co_u32_e64 v15, s[4:5], v5, v15, s[4:5]
	global_load_dwordx2 v[22:23], v[14:15], off
	v_lshrrev_b32_e32 v1, 2, v0
	v_and_b32_e32 v1, 24, v1
	v_add_u32_e32 v1, v26, v1
	v_cmp_gt_u32_e64 s[4:5], 64, v0
	s_waitcnt vmcnt(0)
	ds_write_b64 v1, v[22:23]
	s_waitcnt lgkmcnt(0)
	s_barrier
	s_and_saveexec_b64 s[14:15], s[4:5]
	s_cbranch_execz .LBB6581_28
; %bb.15:
	v_lshlrev_b32_e32 v1, 1, v0
	v_lshrrev_b32_e32 v5, 4, v0
	v_add_lshl_u32 v1, v5, v1, 3
	ds_read2_b64 v[14:17], v1 offset1:1
	v_mov_b32_e32 v5, s17
	s_waitcnt lgkmcnt(0)
	v_add_u32_e32 v25, v16, v14
	v_ashrrev_i64 v[16:17], 29, v[24:25]
	v_add_co_u32_e64 v16, s[4:5], s16, v16
	v_addc_co_u32_e64 v17, s[4:5], v5, v17, s[4:5]
	global_load_dwordx2 v[16:17], v[16:17], off
	v_mbcnt_lo_u32_b32 v5, -1, 0
	v_mbcnt_hi_u32_b32 v5, -1, v5
	v_and_b32_e32 v7, 15, v5
	v_cmp_ne_u32_e64 s[4:5], 0, v7
	s_waitcnt vmcnt(0)
	v_mov_b32_dpp v9, v16 row_shr:1 row_mask:0xf bank_mask:0xf
	s_and_saveexec_b64 s[20:21], s[4:5]
	s_cbranch_execz .LBB6581_17
; %bb.16:
	v_add_u32_e32 v17, v16, v9
	v_mov_b32_e32 v16, 0
	v_ashrrev_i64 v[16:17], 29, v[16:17]
	v_mov_b32_e32 v9, s17
	v_add_co_u32_e64 v16, s[4:5], s16, v16
	v_addc_co_u32_e64 v17, s[4:5], v9, v17, s[4:5]
	global_load_dwordx2 v[16:17], v[16:17], off
.LBB6581_17:
	s_or_b64 exec, exec, s[20:21]
	s_waitcnt vmcnt(0)
	v_mov_b32_dpp v9, v16 row_shr:2 row_mask:0xf bank_mask:0xf
	v_cmp_lt_u32_e64 s[4:5], 1, v7
	s_and_saveexec_b64 s[20:21], s[4:5]
	s_cbranch_execz .LBB6581_19
; %bb.18:
	v_add_u32_e32 v17, v16, v9
	v_mov_b32_e32 v16, 0
	v_ashrrev_i64 v[16:17], 29, v[16:17]
	v_mov_b32_e32 v9, s17
	v_add_co_u32_e64 v16, s[4:5], s16, v16
	v_addc_co_u32_e64 v17, s[4:5], v9, v17, s[4:5]
	global_load_dwordx2 v[16:17], v[16:17], off
.LBB6581_19:
	s_or_b64 exec, exec, s[20:21]
	s_waitcnt vmcnt(0)
	v_mov_b32_dpp v9, v16 row_shr:4 row_mask:0xf bank_mask:0xf
	v_cmp_lt_u32_e64 s[4:5], 3, v7
	;; [unrolled: 15-line block ×3, first 2 shown]
	s_and_saveexec_b64 s[20:21], s[4:5]
	s_cbranch_execz .LBB6581_23
; %bb.22:
	v_add_u32_e32 v17, v16, v9
	v_mov_b32_e32 v16, 0
	v_ashrrev_i64 v[16:17], 29, v[16:17]
	v_mov_b32_e32 v7, s17
	v_add_co_u32_e64 v16, s[4:5], s16, v16
	v_addc_co_u32_e64 v17, s[4:5], v7, v17, s[4:5]
	global_load_dwordx2 v[16:17], v[16:17], off
.LBB6581_23:
	s_or_b64 exec, exec, s[20:21]
	v_and_b32_e32 v9, 16, v5
	s_waitcnt vmcnt(0)
	v_mov_b32_dpp v7, v16 row_bcast:15 row_mask:0xf bank_mask:0xf
	v_cmp_ne_u32_e64 s[4:5], 0, v9
	s_and_saveexec_b64 s[20:21], s[4:5]
	s_cbranch_execz .LBB6581_25
; %bb.24:
	v_add_u32_e32 v17, v16, v7
	v_mov_b32_e32 v16, 0
	v_ashrrev_i64 v[16:17], 29, v[16:17]
	v_mov_b32_e32 v7, s17
	v_add_co_u32_e64 v16, s[4:5], s16, v16
	v_addc_co_u32_e64 v17, s[4:5], v7, v17, s[4:5]
	global_load_dwordx2 v[16:17], v[16:17], off
.LBB6581_25:
	s_or_b64 exec, exec, s[20:21]
	s_waitcnt vmcnt(0)
	v_mov_b32_dpp v7, v16 row_bcast:31 row_mask:0xf bank_mask:0xf
	v_cmp_lt_u32_e64 s[4:5], 31, v5
	s_and_saveexec_b64 s[20:21], s[4:5]
	s_cbranch_execz .LBB6581_27
; %bb.26:
	v_add_u32_e32 v17, v16, v7
	v_mov_b32_e32 v16, 0
	v_ashrrev_i64 v[16:17], 29, v[16:17]
	v_mov_b32_e32 v7, s17
	v_add_co_u32_e64 v16, s[4:5], s16, v16
	v_addc_co_u32_e64 v17, s[4:5], v7, v17, s[4:5]
	global_load_dword v16, v[16:17], off
.LBB6581_27:
	s_or_b64 exec, exec, s[20:21]
	v_add_u32_e32 v7, -1, v5
	v_and_b32_e32 v9, 64, v5
	v_cmp_lt_i32_e64 s[4:5], v7, v9
	v_cndmask_b32_e64 v5, v7, v5, s[4:5]
	v_lshlrev_b32_e32 v5, 2, v5
	s_waitcnt vmcnt(0)
	ds_bpermute_b32 v5, v5, v16
	v_mov_b32_e32 v16, 0
	v_mov_b32_e32 v7, s17
	s_waitcnt lgkmcnt(0)
	v_add_u32_e32 v17, v14, v5
	v_ashrrev_i64 v[14:15], 29, v[16:17]
	v_add_co_u32_e64 v14, s[4:5], s16, v14
	v_addc_co_u32_e64 v15, s[4:5], v7, v15, s[4:5]
	global_load_dwordx2 v[14:15], v[14:15], off
	v_cmp_eq_u32_e64 s[4:5], 0, v0
	; wave barrier
	s_waitcnt vmcnt(0)
	v_cndmask_b32_e64 v15, v15, v23, s[4:5]
	v_cndmask_b32_e64 v14, v14, v22, s[4:5]
	ds_write_b64 v1, v[14:15]
	; wave barrier
	ds_read_b32 v5, v1 offset:8
	s_waitcnt lgkmcnt(0)
	v_add_u32_e32 v17, v5, v14
	v_ashrrev_i64 v[14:15], 29, v[16:17]
	v_add_co_u32_e64 v14, s[4:5], s16, v14
	v_addc_co_u32_e64 v15, s[4:5], v7, v15, s[4:5]
	global_load_dwordx2 v[14:15], v[14:15], off
	s_waitcnt vmcnt(0)
	ds_write_b64 v1, v[14:15] offset:8
.LBB6581_28:
	s_or_b64 exec, exec, s[14:15]
	v_mul_u32_u24_e32 v1, 48, v0
	v_cmp_ne_u32_e64 s[4:5], 0, v0
	s_waitcnt lgkmcnt(0)
	s_barrier
	s_and_saveexec_b64 s[14:15], s[4:5]
	s_cbranch_execz .LBB6581_30
; %bb.29:
	v_add_u32_e32 v0, -1, v0
	v_lshrrev_b32_e32 v5, 5, v0
	v_add_lshl_u32 v0, v5, v0, 3
	ds_read_b64 v[22:23], v0
.LBB6581_30:
	s_or_b64 exec, exec, s[14:15]
	s_and_saveexec_b64 s[14:15], s[4:5]
	s_cbranch_execz .LBB6581_32
; %bb.31:
	s_waitcnt lgkmcnt(0)
	v_add_u32_e32 v15, v22, v2
	v_mov_b32_e32 v14, 0
	v_ashrrev_i64 v[2:3], 29, v[14:15]
	v_mov_b32_e32 v0, s17
	v_add_co_u32_e64 v2, s[4:5], s16, v2
	v_addc_co_u32_e64 v3, s[4:5], v0, v3, s[4:5]
	global_load_dwordx2 v[2:3], v[2:3], off
	;;#ASMSTART
	;;#ASMEND
	s_waitcnt vmcnt(0)
	v_add_u32_e32 v15, v2, v4
	v_ashrrev_i64 v[20:21], 29, v[14:15]
.LBB6581_32:
	s_or_b64 exec, exec, s[14:15]
	v_mov_b32_e32 v0, s17
	v_add_co_u32_e64 v4, s[4:5], s16, v20
	v_addc_co_u32_e64 v5, s[4:5], v0, v21, s[4:5]
	global_load_dwordx2 v[4:5], v[4:5], off
	v_mov_b32_e32 v14, 0
	s_waitcnt vmcnt(0)
	v_add_u32_e32 v15, v4, v10
	v_ashrrev_i64 v[10:11], 29, v[14:15]
	v_add_co_u32_e64 v10, s[4:5], s16, v10
	v_addc_co_u32_e64 v11, s[4:5], v0, v11, s[4:5]
	global_load_dwordx2 v[10:11], v[10:11], off
	s_waitcnt vmcnt(0)
	v_add_u32_e32 v15, v10, v12
	v_ashrrev_i64 v[12:13], 29, v[14:15]
	v_add_co_u32_e64 v12, s[4:5], s16, v12
	v_addc_co_u32_e64 v13, s[4:5], v0, v13, s[4:5]
	global_load_dwordx2 v[12:13], v[12:13], off
	;; [unrolled: 6-line block ×5, first 2 shown]
	v_add_u32_e32 v0, v26, v1
	s_waitcnt lgkmcnt(0)
	s_barrier
	ds_write2_b64 v0, v[2:3], v[4:5] offset1:1
	ds_write2_b64 v0, v[10:11], v[12:13] offset0:2 offset1:3
	ds_write2_b64 v0, v[6:7], v[8:9] offset0:4 offset1:5
	s_waitcnt vmcnt(0)
	ds_write_b64 v0, v[14:15] offset:48
	s_waitcnt lgkmcnt(0)
	s_barrier
	ds_read2st64_b64 v[8:11], v26 offset0:2 offset1:4
	ds_read2st64_b64 v[4:7], v26 offset0:6 offset1:8
	;; [unrolled: 1-line block ×3, first 2 shown]
	v_mov_b32_e32 v13, s19
	v_add_co_u32_e64 v12, s[4:5], s18, v26
	v_addc_co_u32_e64 v13, s[4:5], 0, v13, s[4:5]
	s_and_saveexec_b64 s[4:5], vcc
	s_cbranch_execnz .LBB6581_40
; %bb.33:
	s_or_b64 exec, exec, s[4:5]
	s_and_saveexec_b64 s[4:5], s[0:1]
	s_cbranch_execnz .LBB6581_41
.LBB6581_34:
	s_or_b64 exec, exec, s[4:5]
	s_and_saveexec_b64 s[0:1], s[2:3]
	s_cbranch_execnz .LBB6581_42
.LBB6581_35:
	s_or_b64 exec, exec, s[0:1]
	s_and_saveexec_b64 s[0:1], s[12:13]
	s_cbranch_execnz .LBB6581_43
.LBB6581_36:
	s_or_b64 exec, exec, s[0:1]
	s_and_saveexec_b64 s[0:1], s[6:7]
	s_cbranch_execnz .LBB6581_44
.LBB6581_37:
	s_or_b64 exec, exec, s[0:1]
	s_and_saveexec_b64 s[0:1], s[8:9]
	s_cbranch_execnz .LBB6581_45
.LBB6581_38:
	s_or_b64 exec, exec, s[0:1]
	s_and_saveexec_b64 s[0:1], s[10:11]
	s_cbranch_execnz .LBB6581_46
.LBB6581_39:
	s_endpgm
.LBB6581_40:
	ds_read_b64 v[14:15], v26
	s_waitcnt lgkmcnt(0)
	global_store_dwordx2 v[12:13], v[14:15], off
	s_or_b64 exec, exec, s[4:5]
	s_and_saveexec_b64 s[4:5], s[0:1]
	s_cbranch_execz .LBB6581_34
.LBB6581_41:
	s_waitcnt lgkmcnt(2)
	global_store_dwordx2 v[12:13], v[8:9], off offset:1024
	s_or_b64 exec, exec, s[4:5]
	s_and_saveexec_b64 s[0:1], s[2:3]
	s_cbranch_execz .LBB6581_35
.LBB6581_42:
	s_waitcnt lgkmcnt(2)
	global_store_dwordx2 v[12:13], v[10:11], off offset:2048
	s_or_b64 exec, exec, s[0:1]
	s_and_saveexec_b64 s[0:1], s[12:13]
	s_cbranch_execz .LBB6581_36
.LBB6581_43:
	s_waitcnt lgkmcnt(1)
	global_store_dwordx2 v[12:13], v[4:5], off offset:3072
	s_or_b64 exec, exec, s[0:1]
	s_and_saveexec_b64 s[0:1], s[6:7]
	s_cbranch_execz .LBB6581_37
.LBB6581_44:
	s_waitcnt lgkmcnt(1)
	v_add_co_u32_e32 v4, vcc, 0x1000, v12
	v_addc_co_u32_e32 v5, vcc, 0, v13, vcc
	global_store_dwordx2 v[4:5], v[6:7], off
	s_or_b64 exec, exec, s[0:1]
	s_and_saveexec_b64 s[0:1], s[8:9]
	s_cbranch_execz .LBB6581_38
.LBB6581_45:
	s_waitcnt lgkmcnt(1)
	v_add_co_u32_e32 v4, vcc, 0x1000, v12
	v_addc_co_u32_e32 v5, vcc, 0, v13, vcc
	s_waitcnt lgkmcnt(0)
	global_store_dwordx2 v[4:5], v[0:1], off offset:1024
	s_or_b64 exec, exec, s[0:1]
	s_and_saveexec_b64 s[0:1], s[10:11]
	s_cbranch_execz .LBB6581_39
.LBB6581_46:
	s_waitcnt lgkmcnt(0)
	v_add_co_u32_e32 v0, vcc, 0x1000, v12
	v_addc_co_u32_e32 v1, vcc, 0, v13, vcc
	global_store_dwordx2 v[0:1], v[2:3], off offset:2048
	s_endpgm
	.section	.rodata,"a",@progbits
	.p2align	6, 0x0
	.amdhsa_kernel _ZN7rocprim17ROCPRIM_400000_NS6detail17trampoline_kernelINS0_14default_configENS1_20scan_config_selectorIxEEZZNS1_9scan_implILNS1_25lookback_scan_determinismE0ELb0ELb0ES3_N6thrust23THRUST_200600_302600_NS6detail15normal_iteratorINS9_10device_ptrIxEEEESE_x9plus_mod3IxExEEDaPvRmT3_T4_T5_mT6_P12ihipStream_tbENKUlT_T0_E_clISt17integral_constantIbLb1EEST_IbLb0EEEEDaSP_SQ_EUlSP_E0_NS1_11comp_targetILNS1_3genE4ELNS1_11target_archE910ELNS1_3gpuE8ELNS1_3repE0EEENS1_30default_config_static_selectorELNS0_4arch9wavefront6targetE1EEEvT1_
		.amdhsa_group_segment_fixed_size 7168
		.amdhsa_private_segment_fixed_size 0
		.amdhsa_kernarg_size 40
		.amdhsa_user_sgpr_count 6
		.amdhsa_user_sgpr_private_segment_buffer 1
		.amdhsa_user_sgpr_dispatch_ptr 0
		.amdhsa_user_sgpr_queue_ptr 0
		.amdhsa_user_sgpr_kernarg_segment_ptr 1
		.amdhsa_user_sgpr_dispatch_id 0
		.amdhsa_user_sgpr_flat_scratch_init 0
		.amdhsa_user_sgpr_kernarg_preload_length 0
		.amdhsa_user_sgpr_kernarg_preload_offset 0
		.amdhsa_user_sgpr_private_segment_size 0
		.amdhsa_uses_dynamic_stack 0
		.amdhsa_system_sgpr_private_segment_wavefront_offset 0
		.amdhsa_system_sgpr_workgroup_id_x 1
		.amdhsa_system_sgpr_workgroup_id_y 0
		.amdhsa_system_sgpr_workgroup_id_z 0
		.amdhsa_system_sgpr_workgroup_info 0
		.amdhsa_system_vgpr_workitem_id 0
		.amdhsa_next_free_vgpr 27
		.amdhsa_next_free_sgpr 24
		.amdhsa_accum_offset 28
		.amdhsa_reserve_vcc 1
		.amdhsa_reserve_flat_scratch 0
		.amdhsa_float_round_mode_32 0
		.amdhsa_float_round_mode_16_64 0
		.amdhsa_float_denorm_mode_32 3
		.amdhsa_float_denorm_mode_16_64 3
		.amdhsa_dx10_clamp 1
		.amdhsa_ieee_mode 1
		.amdhsa_fp16_overflow 0
		.amdhsa_tg_split 0
		.amdhsa_exception_fp_ieee_invalid_op 0
		.amdhsa_exception_fp_denorm_src 0
		.amdhsa_exception_fp_ieee_div_zero 0
		.amdhsa_exception_fp_ieee_overflow 0
		.amdhsa_exception_fp_ieee_underflow 0
		.amdhsa_exception_fp_ieee_inexact 0
		.amdhsa_exception_int_div_zero 0
	.end_amdhsa_kernel
	.section	.text._ZN7rocprim17ROCPRIM_400000_NS6detail17trampoline_kernelINS0_14default_configENS1_20scan_config_selectorIxEEZZNS1_9scan_implILNS1_25lookback_scan_determinismE0ELb0ELb0ES3_N6thrust23THRUST_200600_302600_NS6detail15normal_iteratorINS9_10device_ptrIxEEEESE_x9plus_mod3IxExEEDaPvRmT3_T4_T5_mT6_P12ihipStream_tbENKUlT_T0_E_clISt17integral_constantIbLb1EEST_IbLb0EEEEDaSP_SQ_EUlSP_E0_NS1_11comp_targetILNS1_3genE4ELNS1_11target_archE910ELNS1_3gpuE8ELNS1_3repE0EEENS1_30default_config_static_selectorELNS0_4arch9wavefront6targetE1EEEvT1_,"axG",@progbits,_ZN7rocprim17ROCPRIM_400000_NS6detail17trampoline_kernelINS0_14default_configENS1_20scan_config_selectorIxEEZZNS1_9scan_implILNS1_25lookback_scan_determinismE0ELb0ELb0ES3_N6thrust23THRUST_200600_302600_NS6detail15normal_iteratorINS9_10device_ptrIxEEEESE_x9plus_mod3IxExEEDaPvRmT3_T4_T5_mT6_P12ihipStream_tbENKUlT_T0_E_clISt17integral_constantIbLb1EEST_IbLb0EEEEDaSP_SQ_EUlSP_E0_NS1_11comp_targetILNS1_3genE4ELNS1_11target_archE910ELNS1_3gpuE8ELNS1_3repE0EEENS1_30default_config_static_selectorELNS0_4arch9wavefront6targetE1EEEvT1_,comdat
.Lfunc_end6581:
	.size	_ZN7rocprim17ROCPRIM_400000_NS6detail17trampoline_kernelINS0_14default_configENS1_20scan_config_selectorIxEEZZNS1_9scan_implILNS1_25lookback_scan_determinismE0ELb0ELb0ES3_N6thrust23THRUST_200600_302600_NS6detail15normal_iteratorINS9_10device_ptrIxEEEESE_x9plus_mod3IxExEEDaPvRmT3_T4_T5_mT6_P12ihipStream_tbENKUlT_T0_E_clISt17integral_constantIbLb1EEST_IbLb0EEEEDaSP_SQ_EUlSP_E0_NS1_11comp_targetILNS1_3genE4ELNS1_11target_archE910ELNS1_3gpuE8ELNS1_3repE0EEENS1_30default_config_static_selectorELNS0_4arch9wavefront6targetE1EEEvT1_, .Lfunc_end6581-_ZN7rocprim17ROCPRIM_400000_NS6detail17trampoline_kernelINS0_14default_configENS1_20scan_config_selectorIxEEZZNS1_9scan_implILNS1_25lookback_scan_determinismE0ELb0ELb0ES3_N6thrust23THRUST_200600_302600_NS6detail15normal_iteratorINS9_10device_ptrIxEEEESE_x9plus_mod3IxExEEDaPvRmT3_T4_T5_mT6_P12ihipStream_tbENKUlT_T0_E_clISt17integral_constantIbLb1EEST_IbLb0EEEEDaSP_SQ_EUlSP_E0_NS1_11comp_targetILNS1_3genE4ELNS1_11target_archE910ELNS1_3gpuE8ELNS1_3repE0EEENS1_30default_config_static_selectorELNS0_4arch9wavefront6targetE1EEEvT1_
                                        ; -- End function
	.section	.AMDGPU.csdata,"",@progbits
; Kernel info:
; codeLenInByte = 2228
; NumSgprs: 28
; NumVgprs: 27
; NumAgprs: 0
; TotalNumVgprs: 27
; ScratchSize: 0
; MemoryBound: 0
; FloatMode: 240
; IeeeMode: 1
; LDSByteSize: 7168 bytes/workgroup (compile time only)
; SGPRBlocks: 3
; VGPRBlocks: 3
; NumSGPRsForWavesPerEU: 28
; NumVGPRsForWavesPerEU: 27
; AccumOffset: 28
; Occupancy: 5
; WaveLimiterHint : 1
; COMPUTE_PGM_RSRC2:SCRATCH_EN: 0
; COMPUTE_PGM_RSRC2:USER_SGPR: 6
; COMPUTE_PGM_RSRC2:TRAP_HANDLER: 0
; COMPUTE_PGM_RSRC2:TGID_X_EN: 1
; COMPUTE_PGM_RSRC2:TGID_Y_EN: 0
; COMPUTE_PGM_RSRC2:TGID_Z_EN: 0
; COMPUTE_PGM_RSRC2:TIDIG_COMP_CNT: 0
; COMPUTE_PGM_RSRC3_GFX90A:ACCUM_OFFSET: 6
; COMPUTE_PGM_RSRC3_GFX90A:TG_SPLIT: 0
	.section	.text._ZN7rocprim17ROCPRIM_400000_NS6detail17trampoline_kernelINS0_14default_configENS1_20scan_config_selectorIxEEZZNS1_9scan_implILNS1_25lookback_scan_determinismE0ELb0ELb0ES3_N6thrust23THRUST_200600_302600_NS6detail15normal_iteratorINS9_10device_ptrIxEEEESE_x9plus_mod3IxExEEDaPvRmT3_T4_T5_mT6_P12ihipStream_tbENKUlT_T0_E_clISt17integral_constantIbLb1EEST_IbLb0EEEEDaSP_SQ_EUlSP_E0_NS1_11comp_targetILNS1_3genE3ELNS1_11target_archE908ELNS1_3gpuE7ELNS1_3repE0EEENS1_30default_config_static_selectorELNS0_4arch9wavefront6targetE1EEEvT1_,"axG",@progbits,_ZN7rocprim17ROCPRIM_400000_NS6detail17trampoline_kernelINS0_14default_configENS1_20scan_config_selectorIxEEZZNS1_9scan_implILNS1_25lookback_scan_determinismE0ELb0ELb0ES3_N6thrust23THRUST_200600_302600_NS6detail15normal_iteratorINS9_10device_ptrIxEEEESE_x9plus_mod3IxExEEDaPvRmT3_T4_T5_mT6_P12ihipStream_tbENKUlT_T0_E_clISt17integral_constantIbLb1EEST_IbLb0EEEEDaSP_SQ_EUlSP_E0_NS1_11comp_targetILNS1_3genE3ELNS1_11target_archE908ELNS1_3gpuE7ELNS1_3repE0EEENS1_30default_config_static_selectorELNS0_4arch9wavefront6targetE1EEEvT1_,comdat
	.protected	_ZN7rocprim17ROCPRIM_400000_NS6detail17trampoline_kernelINS0_14default_configENS1_20scan_config_selectorIxEEZZNS1_9scan_implILNS1_25lookback_scan_determinismE0ELb0ELb0ES3_N6thrust23THRUST_200600_302600_NS6detail15normal_iteratorINS9_10device_ptrIxEEEESE_x9plus_mod3IxExEEDaPvRmT3_T4_T5_mT6_P12ihipStream_tbENKUlT_T0_E_clISt17integral_constantIbLb1EEST_IbLb0EEEEDaSP_SQ_EUlSP_E0_NS1_11comp_targetILNS1_3genE3ELNS1_11target_archE908ELNS1_3gpuE7ELNS1_3repE0EEENS1_30default_config_static_selectorELNS0_4arch9wavefront6targetE1EEEvT1_ ; -- Begin function _ZN7rocprim17ROCPRIM_400000_NS6detail17trampoline_kernelINS0_14default_configENS1_20scan_config_selectorIxEEZZNS1_9scan_implILNS1_25lookback_scan_determinismE0ELb0ELb0ES3_N6thrust23THRUST_200600_302600_NS6detail15normal_iteratorINS9_10device_ptrIxEEEESE_x9plus_mod3IxExEEDaPvRmT3_T4_T5_mT6_P12ihipStream_tbENKUlT_T0_E_clISt17integral_constantIbLb1EEST_IbLb0EEEEDaSP_SQ_EUlSP_E0_NS1_11comp_targetILNS1_3genE3ELNS1_11target_archE908ELNS1_3gpuE7ELNS1_3repE0EEENS1_30default_config_static_selectorELNS0_4arch9wavefront6targetE1EEEvT1_
	.globl	_ZN7rocprim17ROCPRIM_400000_NS6detail17trampoline_kernelINS0_14default_configENS1_20scan_config_selectorIxEEZZNS1_9scan_implILNS1_25lookback_scan_determinismE0ELb0ELb0ES3_N6thrust23THRUST_200600_302600_NS6detail15normal_iteratorINS9_10device_ptrIxEEEESE_x9plus_mod3IxExEEDaPvRmT3_T4_T5_mT6_P12ihipStream_tbENKUlT_T0_E_clISt17integral_constantIbLb1EEST_IbLb0EEEEDaSP_SQ_EUlSP_E0_NS1_11comp_targetILNS1_3genE3ELNS1_11target_archE908ELNS1_3gpuE7ELNS1_3repE0EEENS1_30default_config_static_selectorELNS0_4arch9wavefront6targetE1EEEvT1_
	.p2align	8
	.type	_ZN7rocprim17ROCPRIM_400000_NS6detail17trampoline_kernelINS0_14default_configENS1_20scan_config_selectorIxEEZZNS1_9scan_implILNS1_25lookback_scan_determinismE0ELb0ELb0ES3_N6thrust23THRUST_200600_302600_NS6detail15normal_iteratorINS9_10device_ptrIxEEEESE_x9plus_mod3IxExEEDaPvRmT3_T4_T5_mT6_P12ihipStream_tbENKUlT_T0_E_clISt17integral_constantIbLb1EEST_IbLb0EEEEDaSP_SQ_EUlSP_E0_NS1_11comp_targetILNS1_3genE3ELNS1_11target_archE908ELNS1_3gpuE7ELNS1_3repE0EEENS1_30default_config_static_selectorELNS0_4arch9wavefront6targetE1EEEvT1_,@function
_ZN7rocprim17ROCPRIM_400000_NS6detail17trampoline_kernelINS0_14default_configENS1_20scan_config_selectorIxEEZZNS1_9scan_implILNS1_25lookback_scan_determinismE0ELb0ELb0ES3_N6thrust23THRUST_200600_302600_NS6detail15normal_iteratorINS9_10device_ptrIxEEEESE_x9plus_mod3IxExEEDaPvRmT3_T4_T5_mT6_P12ihipStream_tbENKUlT_T0_E_clISt17integral_constantIbLb1EEST_IbLb0EEEEDaSP_SQ_EUlSP_E0_NS1_11comp_targetILNS1_3genE3ELNS1_11target_archE908ELNS1_3gpuE7ELNS1_3repE0EEENS1_30default_config_static_selectorELNS0_4arch9wavefront6targetE1EEEvT1_: ; @_ZN7rocprim17ROCPRIM_400000_NS6detail17trampoline_kernelINS0_14default_configENS1_20scan_config_selectorIxEEZZNS1_9scan_implILNS1_25lookback_scan_determinismE0ELb0ELb0ES3_N6thrust23THRUST_200600_302600_NS6detail15normal_iteratorINS9_10device_ptrIxEEEESE_x9plus_mod3IxExEEDaPvRmT3_T4_T5_mT6_P12ihipStream_tbENKUlT_T0_E_clISt17integral_constantIbLb1EEST_IbLb0EEEEDaSP_SQ_EUlSP_E0_NS1_11comp_targetILNS1_3genE3ELNS1_11target_archE908ELNS1_3gpuE7ELNS1_3repE0EEENS1_30default_config_static_selectorELNS0_4arch9wavefront6targetE1EEEvT1_
; %bb.0:
	.section	.rodata,"a",@progbits
	.p2align	6, 0x0
	.amdhsa_kernel _ZN7rocprim17ROCPRIM_400000_NS6detail17trampoline_kernelINS0_14default_configENS1_20scan_config_selectorIxEEZZNS1_9scan_implILNS1_25lookback_scan_determinismE0ELb0ELb0ES3_N6thrust23THRUST_200600_302600_NS6detail15normal_iteratorINS9_10device_ptrIxEEEESE_x9plus_mod3IxExEEDaPvRmT3_T4_T5_mT6_P12ihipStream_tbENKUlT_T0_E_clISt17integral_constantIbLb1EEST_IbLb0EEEEDaSP_SQ_EUlSP_E0_NS1_11comp_targetILNS1_3genE3ELNS1_11target_archE908ELNS1_3gpuE7ELNS1_3repE0EEENS1_30default_config_static_selectorELNS0_4arch9wavefront6targetE1EEEvT1_
		.amdhsa_group_segment_fixed_size 0
		.amdhsa_private_segment_fixed_size 0
		.amdhsa_kernarg_size 40
		.amdhsa_user_sgpr_count 6
		.amdhsa_user_sgpr_private_segment_buffer 1
		.amdhsa_user_sgpr_dispatch_ptr 0
		.amdhsa_user_sgpr_queue_ptr 0
		.amdhsa_user_sgpr_kernarg_segment_ptr 1
		.amdhsa_user_sgpr_dispatch_id 0
		.amdhsa_user_sgpr_flat_scratch_init 0
		.amdhsa_user_sgpr_kernarg_preload_length 0
		.amdhsa_user_sgpr_kernarg_preload_offset 0
		.amdhsa_user_sgpr_private_segment_size 0
		.amdhsa_uses_dynamic_stack 0
		.amdhsa_system_sgpr_private_segment_wavefront_offset 0
		.amdhsa_system_sgpr_workgroup_id_x 1
		.amdhsa_system_sgpr_workgroup_id_y 0
		.amdhsa_system_sgpr_workgroup_id_z 0
		.amdhsa_system_sgpr_workgroup_info 0
		.amdhsa_system_vgpr_workitem_id 0
		.amdhsa_next_free_vgpr 1
		.amdhsa_next_free_sgpr 0
		.amdhsa_accum_offset 4
		.amdhsa_reserve_vcc 0
		.amdhsa_reserve_flat_scratch 0
		.amdhsa_float_round_mode_32 0
		.amdhsa_float_round_mode_16_64 0
		.amdhsa_float_denorm_mode_32 3
		.amdhsa_float_denorm_mode_16_64 3
		.amdhsa_dx10_clamp 1
		.amdhsa_ieee_mode 1
		.amdhsa_fp16_overflow 0
		.amdhsa_tg_split 0
		.amdhsa_exception_fp_ieee_invalid_op 0
		.amdhsa_exception_fp_denorm_src 0
		.amdhsa_exception_fp_ieee_div_zero 0
		.amdhsa_exception_fp_ieee_overflow 0
		.amdhsa_exception_fp_ieee_underflow 0
		.amdhsa_exception_fp_ieee_inexact 0
		.amdhsa_exception_int_div_zero 0
	.end_amdhsa_kernel
	.section	.text._ZN7rocprim17ROCPRIM_400000_NS6detail17trampoline_kernelINS0_14default_configENS1_20scan_config_selectorIxEEZZNS1_9scan_implILNS1_25lookback_scan_determinismE0ELb0ELb0ES3_N6thrust23THRUST_200600_302600_NS6detail15normal_iteratorINS9_10device_ptrIxEEEESE_x9plus_mod3IxExEEDaPvRmT3_T4_T5_mT6_P12ihipStream_tbENKUlT_T0_E_clISt17integral_constantIbLb1EEST_IbLb0EEEEDaSP_SQ_EUlSP_E0_NS1_11comp_targetILNS1_3genE3ELNS1_11target_archE908ELNS1_3gpuE7ELNS1_3repE0EEENS1_30default_config_static_selectorELNS0_4arch9wavefront6targetE1EEEvT1_,"axG",@progbits,_ZN7rocprim17ROCPRIM_400000_NS6detail17trampoline_kernelINS0_14default_configENS1_20scan_config_selectorIxEEZZNS1_9scan_implILNS1_25lookback_scan_determinismE0ELb0ELb0ES3_N6thrust23THRUST_200600_302600_NS6detail15normal_iteratorINS9_10device_ptrIxEEEESE_x9plus_mod3IxExEEDaPvRmT3_T4_T5_mT6_P12ihipStream_tbENKUlT_T0_E_clISt17integral_constantIbLb1EEST_IbLb0EEEEDaSP_SQ_EUlSP_E0_NS1_11comp_targetILNS1_3genE3ELNS1_11target_archE908ELNS1_3gpuE7ELNS1_3repE0EEENS1_30default_config_static_selectorELNS0_4arch9wavefront6targetE1EEEvT1_,comdat
.Lfunc_end6582:
	.size	_ZN7rocprim17ROCPRIM_400000_NS6detail17trampoline_kernelINS0_14default_configENS1_20scan_config_selectorIxEEZZNS1_9scan_implILNS1_25lookback_scan_determinismE0ELb0ELb0ES3_N6thrust23THRUST_200600_302600_NS6detail15normal_iteratorINS9_10device_ptrIxEEEESE_x9plus_mod3IxExEEDaPvRmT3_T4_T5_mT6_P12ihipStream_tbENKUlT_T0_E_clISt17integral_constantIbLb1EEST_IbLb0EEEEDaSP_SQ_EUlSP_E0_NS1_11comp_targetILNS1_3genE3ELNS1_11target_archE908ELNS1_3gpuE7ELNS1_3repE0EEENS1_30default_config_static_selectorELNS0_4arch9wavefront6targetE1EEEvT1_, .Lfunc_end6582-_ZN7rocprim17ROCPRIM_400000_NS6detail17trampoline_kernelINS0_14default_configENS1_20scan_config_selectorIxEEZZNS1_9scan_implILNS1_25lookback_scan_determinismE0ELb0ELb0ES3_N6thrust23THRUST_200600_302600_NS6detail15normal_iteratorINS9_10device_ptrIxEEEESE_x9plus_mod3IxExEEDaPvRmT3_T4_T5_mT6_P12ihipStream_tbENKUlT_T0_E_clISt17integral_constantIbLb1EEST_IbLb0EEEEDaSP_SQ_EUlSP_E0_NS1_11comp_targetILNS1_3genE3ELNS1_11target_archE908ELNS1_3gpuE7ELNS1_3repE0EEENS1_30default_config_static_selectorELNS0_4arch9wavefront6targetE1EEEvT1_
                                        ; -- End function
	.section	.AMDGPU.csdata,"",@progbits
; Kernel info:
; codeLenInByte = 0
; NumSgprs: 4
; NumVgprs: 0
; NumAgprs: 0
; TotalNumVgprs: 0
; ScratchSize: 0
; MemoryBound: 0
; FloatMode: 240
; IeeeMode: 1
; LDSByteSize: 0 bytes/workgroup (compile time only)
; SGPRBlocks: 0
; VGPRBlocks: 0
; NumSGPRsForWavesPerEU: 4
; NumVGPRsForWavesPerEU: 1
; AccumOffset: 4
; Occupancy: 8
; WaveLimiterHint : 0
; COMPUTE_PGM_RSRC2:SCRATCH_EN: 0
; COMPUTE_PGM_RSRC2:USER_SGPR: 6
; COMPUTE_PGM_RSRC2:TRAP_HANDLER: 0
; COMPUTE_PGM_RSRC2:TGID_X_EN: 1
; COMPUTE_PGM_RSRC2:TGID_Y_EN: 0
; COMPUTE_PGM_RSRC2:TGID_Z_EN: 0
; COMPUTE_PGM_RSRC2:TIDIG_COMP_CNT: 0
; COMPUTE_PGM_RSRC3_GFX90A:ACCUM_OFFSET: 0
; COMPUTE_PGM_RSRC3_GFX90A:TG_SPLIT: 0
	.section	.text._ZN7rocprim17ROCPRIM_400000_NS6detail17trampoline_kernelINS0_14default_configENS1_20scan_config_selectorIxEEZZNS1_9scan_implILNS1_25lookback_scan_determinismE0ELb0ELb0ES3_N6thrust23THRUST_200600_302600_NS6detail15normal_iteratorINS9_10device_ptrIxEEEESE_x9plus_mod3IxExEEDaPvRmT3_T4_T5_mT6_P12ihipStream_tbENKUlT_T0_E_clISt17integral_constantIbLb1EEST_IbLb0EEEEDaSP_SQ_EUlSP_E0_NS1_11comp_targetILNS1_3genE2ELNS1_11target_archE906ELNS1_3gpuE6ELNS1_3repE0EEENS1_30default_config_static_selectorELNS0_4arch9wavefront6targetE1EEEvT1_,"axG",@progbits,_ZN7rocprim17ROCPRIM_400000_NS6detail17trampoline_kernelINS0_14default_configENS1_20scan_config_selectorIxEEZZNS1_9scan_implILNS1_25lookback_scan_determinismE0ELb0ELb0ES3_N6thrust23THRUST_200600_302600_NS6detail15normal_iteratorINS9_10device_ptrIxEEEESE_x9plus_mod3IxExEEDaPvRmT3_T4_T5_mT6_P12ihipStream_tbENKUlT_T0_E_clISt17integral_constantIbLb1EEST_IbLb0EEEEDaSP_SQ_EUlSP_E0_NS1_11comp_targetILNS1_3genE2ELNS1_11target_archE906ELNS1_3gpuE6ELNS1_3repE0EEENS1_30default_config_static_selectorELNS0_4arch9wavefront6targetE1EEEvT1_,comdat
	.protected	_ZN7rocprim17ROCPRIM_400000_NS6detail17trampoline_kernelINS0_14default_configENS1_20scan_config_selectorIxEEZZNS1_9scan_implILNS1_25lookback_scan_determinismE0ELb0ELb0ES3_N6thrust23THRUST_200600_302600_NS6detail15normal_iteratorINS9_10device_ptrIxEEEESE_x9plus_mod3IxExEEDaPvRmT3_T4_T5_mT6_P12ihipStream_tbENKUlT_T0_E_clISt17integral_constantIbLb1EEST_IbLb0EEEEDaSP_SQ_EUlSP_E0_NS1_11comp_targetILNS1_3genE2ELNS1_11target_archE906ELNS1_3gpuE6ELNS1_3repE0EEENS1_30default_config_static_selectorELNS0_4arch9wavefront6targetE1EEEvT1_ ; -- Begin function _ZN7rocprim17ROCPRIM_400000_NS6detail17trampoline_kernelINS0_14default_configENS1_20scan_config_selectorIxEEZZNS1_9scan_implILNS1_25lookback_scan_determinismE0ELb0ELb0ES3_N6thrust23THRUST_200600_302600_NS6detail15normal_iteratorINS9_10device_ptrIxEEEESE_x9plus_mod3IxExEEDaPvRmT3_T4_T5_mT6_P12ihipStream_tbENKUlT_T0_E_clISt17integral_constantIbLb1EEST_IbLb0EEEEDaSP_SQ_EUlSP_E0_NS1_11comp_targetILNS1_3genE2ELNS1_11target_archE906ELNS1_3gpuE6ELNS1_3repE0EEENS1_30default_config_static_selectorELNS0_4arch9wavefront6targetE1EEEvT1_
	.globl	_ZN7rocprim17ROCPRIM_400000_NS6detail17trampoline_kernelINS0_14default_configENS1_20scan_config_selectorIxEEZZNS1_9scan_implILNS1_25lookback_scan_determinismE0ELb0ELb0ES3_N6thrust23THRUST_200600_302600_NS6detail15normal_iteratorINS9_10device_ptrIxEEEESE_x9plus_mod3IxExEEDaPvRmT3_T4_T5_mT6_P12ihipStream_tbENKUlT_T0_E_clISt17integral_constantIbLb1EEST_IbLb0EEEEDaSP_SQ_EUlSP_E0_NS1_11comp_targetILNS1_3genE2ELNS1_11target_archE906ELNS1_3gpuE6ELNS1_3repE0EEENS1_30default_config_static_selectorELNS0_4arch9wavefront6targetE1EEEvT1_
	.p2align	8
	.type	_ZN7rocprim17ROCPRIM_400000_NS6detail17trampoline_kernelINS0_14default_configENS1_20scan_config_selectorIxEEZZNS1_9scan_implILNS1_25lookback_scan_determinismE0ELb0ELb0ES3_N6thrust23THRUST_200600_302600_NS6detail15normal_iteratorINS9_10device_ptrIxEEEESE_x9plus_mod3IxExEEDaPvRmT3_T4_T5_mT6_P12ihipStream_tbENKUlT_T0_E_clISt17integral_constantIbLb1EEST_IbLb0EEEEDaSP_SQ_EUlSP_E0_NS1_11comp_targetILNS1_3genE2ELNS1_11target_archE906ELNS1_3gpuE6ELNS1_3repE0EEENS1_30default_config_static_selectorELNS0_4arch9wavefront6targetE1EEEvT1_,@function
_ZN7rocprim17ROCPRIM_400000_NS6detail17trampoline_kernelINS0_14default_configENS1_20scan_config_selectorIxEEZZNS1_9scan_implILNS1_25lookback_scan_determinismE0ELb0ELb0ES3_N6thrust23THRUST_200600_302600_NS6detail15normal_iteratorINS9_10device_ptrIxEEEESE_x9plus_mod3IxExEEDaPvRmT3_T4_T5_mT6_P12ihipStream_tbENKUlT_T0_E_clISt17integral_constantIbLb1EEST_IbLb0EEEEDaSP_SQ_EUlSP_E0_NS1_11comp_targetILNS1_3genE2ELNS1_11target_archE906ELNS1_3gpuE6ELNS1_3repE0EEENS1_30default_config_static_selectorELNS0_4arch9wavefront6targetE1EEEvT1_: ; @_ZN7rocprim17ROCPRIM_400000_NS6detail17trampoline_kernelINS0_14default_configENS1_20scan_config_selectorIxEEZZNS1_9scan_implILNS1_25lookback_scan_determinismE0ELb0ELb0ES3_N6thrust23THRUST_200600_302600_NS6detail15normal_iteratorINS9_10device_ptrIxEEEESE_x9plus_mod3IxExEEDaPvRmT3_T4_T5_mT6_P12ihipStream_tbENKUlT_T0_E_clISt17integral_constantIbLb1EEST_IbLb0EEEEDaSP_SQ_EUlSP_E0_NS1_11comp_targetILNS1_3genE2ELNS1_11target_archE906ELNS1_3gpuE6ELNS1_3repE0EEENS1_30default_config_static_selectorELNS0_4arch9wavefront6targetE1EEEvT1_
; %bb.0:
	.section	.rodata,"a",@progbits
	.p2align	6, 0x0
	.amdhsa_kernel _ZN7rocprim17ROCPRIM_400000_NS6detail17trampoline_kernelINS0_14default_configENS1_20scan_config_selectorIxEEZZNS1_9scan_implILNS1_25lookback_scan_determinismE0ELb0ELb0ES3_N6thrust23THRUST_200600_302600_NS6detail15normal_iteratorINS9_10device_ptrIxEEEESE_x9plus_mod3IxExEEDaPvRmT3_T4_T5_mT6_P12ihipStream_tbENKUlT_T0_E_clISt17integral_constantIbLb1EEST_IbLb0EEEEDaSP_SQ_EUlSP_E0_NS1_11comp_targetILNS1_3genE2ELNS1_11target_archE906ELNS1_3gpuE6ELNS1_3repE0EEENS1_30default_config_static_selectorELNS0_4arch9wavefront6targetE1EEEvT1_
		.amdhsa_group_segment_fixed_size 0
		.amdhsa_private_segment_fixed_size 0
		.amdhsa_kernarg_size 40
		.amdhsa_user_sgpr_count 6
		.amdhsa_user_sgpr_private_segment_buffer 1
		.amdhsa_user_sgpr_dispatch_ptr 0
		.amdhsa_user_sgpr_queue_ptr 0
		.amdhsa_user_sgpr_kernarg_segment_ptr 1
		.amdhsa_user_sgpr_dispatch_id 0
		.amdhsa_user_sgpr_flat_scratch_init 0
		.amdhsa_user_sgpr_kernarg_preload_length 0
		.amdhsa_user_sgpr_kernarg_preload_offset 0
		.amdhsa_user_sgpr_private_segment_size 0
		.amdhsa_uses_dynamic_stack 0
		.amdhsa_system_sgpr_private_segment_wavefront_offset 0
		.amdhsa_system_sgpr_workgroup_id_x 1
		.amdhsa_system_sgpr_workgroup_id_y 0
		.amdhsa_system_sgpr_workgroup_id_z 0
		.amdhsa_system_sgpr_workgroup_info 0
		.amdhsa_system_vgpr_workitem_id 0
		.amdhsa_next_free_vgpr 1
		.amdhsa_next_free_sgpr 0
		.amdhsa_accum_offset 4
		.amdhsa_reserve_vcc 0
		.amdhsa_reserve_flat_scratch 0
		.amdhsa_float_round_mode_32 0
		.amdhsa_float_round_mode_16_64 0
		.amdhsa_float_denorm_mode_32 3
		.amdhsa_float_denorm_mode_16_64 3
		.amdhsa_dx10_clamp 1
		.amdhsa_ieee_mode 1
		.amdhsa_fp16_overflow 0
		.amdhsa_tg_split 0
		.amdhsa_exception_fp_ieee_invalid_op 0
		.amdhsa_exception_fp_denorm_src 0
		.amdhsa_exception_fp_ieee_div_zero 0
		.amdhsa_exception_fp_ieee_overflow 0
		.amdhsa_exception_fp_ieee_underflow 0
		.amdhsa_exception_fp_ieee_inexact 0
		.amdhsa_exception_int_div_zero 0
	.end_amdhsa_kernel
	.section	.text._ZN7rocprim17ROCPRIM_400000_NS6detail17trampoline_kernelINS0_14default_configENS1_20scan_config_selectorIxEEZZNS1_9scan_implILNS1_25lookback_scan_determinismE0ELb0ELb0ES3_N6thrust23THRUST_200600_302600_NS6detail15normal_iteratorINS9_10device_ptrIxEEEESE_x9plus_mod3IxExEEDaPvRmT3_T4_T5_mT6_P12ihipStream_tbENKUlT_T0_E_clISt17integral_constantIbLb1EEST_IbLb0EEEEDaSP_SQ_EUlSP_E0_NS1_11comp_targetILNS1_3genE2ELNS1_11target_archE906ELNS1_3gpuE6ELNS1_3repE0EEENS1_30default_config_static_selectorELNS0_4arch9wavefront6targetE1EEEvT1_,"axG",@progbits,_ZN7rocprim17ROCPRIM_400000_NS6detail17trampoline_kernelINS0_14default_configENS1_20scan_config_selectorIxEEZZNS1_9scan_implILNS1_25lookback_scan_determinismE0ELb0ELb0ES3_N6thrust23THRUST_200600_302600_NS6detail15normal_iteratorINS9_10device_ptrIxEEEESE_x9plus_mod3IxExEEDaPvRmT3_T4_T5_mT6_P12ihipStream_tbENKUlT_T0_E_clISt17integral_constantIbLb1EEST_IbLb0EEEEDaSP_SQ_EUlSP_E0_NS1_11comp_targetILNS1_3genE2ELNS1_11target_archE906ELNS1_3gpuE6ELNS1_3repE0EEENS1_30default_config_static_selectorELNS0_4arch9wavefront6targetE1EEEvT1_,comdat
.Lfunc_end6583:
	.size	_ZN7rocprim17ROCPRIM_400000_NS6detail17trampoline_kernelINS0_14default_configENS1_20scan_config_selectorIxEEZZNS1_9scan_implILNS1_25lookback_scan_determinismE0ELb0ELb0ES3_N6thrust23THRUST_200600_302600_NS6detail15normal_iteratorINS9_10device_ptrIxEEEESE_x9plus_mod3IxExEEDaPvRmT3_T4_T5_mT6_P12ihipStream_tbENKUlT_T0_E_clISt17integral_constantIbLb1EEST_IbLb0EEEEDaSP_SQ_EUlSP_E0_NS1_11comp_targetILNS1_3genE2ELNS1_11target_archE906ELNS1_3gpuE6ELNS1_3repE0EEENS1_30default_config_static_selectorELNS0_4arch9wavefront6targetE1EEEvT1_, .Lfunc_end6583-_ZN7rocprim17ROCPRIM_400000_NS6detail17trampoline_kernelINS0_14default_configENS1_20scan_config_selectorIxEEZZNS1_9scan_implILNS1_25lookback_scan_determinismE0ELb0ELb0ES3_N6thrust23THRUST_200600_302600_NS6detail15normal_iteratorINS9_10device_ptrIxEEEESE_x9plus_mod3IxExEEDaPvRmT3_T4_T5_mT6_P12ihipStream_tbENKUlT_T0_E_clISt17integral_constantIbLb1EEST_IbLb0EEEEDaSP_SQ_EUlSP_E0_NS1_11comp_targetILNS1_3genE2ELNS1_11target_archE906ELNS1_3gpuE6ELNS1_3repE0EEENS1_30default_config_static_selectorELNS0_4arch9wavefront6targetE1EEEvT1_
                                        ; -- End function
	.section	.AMDGPU.csdata,"",@progbits
; Kernel info:
; codeLenInByte = 0
; NumSgprs: 4
; NumVgprs: 0
; NumAgprs: 0
; TotalNumVgprs: 0
; ScratchSize: 0
; MemoryBound: 0
; FloatMode: 240
; IeeeMode: 1
; LDSByteSize: 0 bytes/workgroup (compile time only)
; SGPRBlocks: 0
; VGPRBlocks: 0
; NumSGPRsForWavesPerEU: 4
; NumVGPRsForWavesPerEU: 1
; AccumOffset: 4
; Occupancy: 8
; WaveLimiterHint : 0
; COMPUTE_PGM_RSRC2:SCRATCH_EN: 0
; COMPUTE_PGM_RSRC2:USER_SGPR: 6
; COMPUTE_PGM_RSRC2:TRAP_HANDLER: 0
; COMPUTE_PGM_RSRC2:TGID_X_EN: 1
; COMPUTE_PGM_RSRC2:TGID_Y_EN: 0
; COMPUTE_PGM_RSRC2:TGID_Z_EN: 0
; COMPUTE_PGM_RSRC2:TIDIG_COMP_CNT: 0
; COMPUTE_PGM_RSRC3_GFX90A:ACCUM_OFFSET: 0
; COMPUTE_PGM_RSRC3_GFX90A:TG_SPLIT: 0
	.section	.text._ZN7rocprim17ROCPRIM_400000_NS6detail17trampoline_kernelINS0_14default_configENS1_20scan_config_selectorIxEEZZNS1_9scan_implILNS1_25lookback_scan_determinismE0ELb0ELb0ES3_N6thrust23THRUST_200600_302600_NS6detail15normal_iteratorINS9_10device_ptrIxEEEESE_x9plus_mod3IxExEEDaPvRmT3_T4_T5_mT6_P12ihipStream_tbENKUlT_T0_E_clISt17integral_constantIbLb1EEST_IbLb0EEEEDaSP_SQ_EUlSP_E0_NS1_11comp_targetILNS1_3genE10ELNS1_11target_archE1201ELNS1_3gpuE5ELNS1_3repE0EEENS1_30default_config_static_selectorELNS0_4arch9wavefront6targetE1EEEvT1_,"axG",@progbits,_ZN7rocprim17ROCPRIM_400000_NS6detail17trampoline_kernelINS0_14default_configENS1_20scan_config_selectorIxEEZZNS1_9scan_implILNS1_25lookback_scan_determinismE0ELb0ELb0ES3_N6thrust23THRUST_200600_302600_NS6detail15normal_iteratorINS9_10device_ptrIxEEEESE_x9plus_mod3IxExEEDaPvRmT3_T4_T5_mT6_P12ihipStream_tbENKUlT_T0_E_clISt17integral_constantIbLb1EEST_IbLb0EEEEDaSP_SQ_EUlSP_E0_NS1_11comp_targetILNS1_3genE10ELNS1_11target_archE1201ELNS1_3gpuE5ELNS1_3repE0EEENS1_30default_config_static_selectorELNS0_4arch9wavefront6targetE1EEEvT1_,comdat
	.protected	_ZN7rocprim17ROCPRIM_400000_NS6detail17trampoline_kernelINS0_14default_configENS1_20scan_config_selectorIxEEZZNS1_9scan_implILNS1_25lookback_scan_determinismE0ELb0ELb0ES3_N6thrust23THRUST_200600_302600_NS6detail15normal_iteratorINS9_10device_ptrIxEEEESE_x9plus_mod3IxExEEDaPvRmT3_T4_T5_mT6_P12ihipStream_tbENKUlT_T0_E_clISt17integral_constantIbLb1EEST_IbLb0EEEEDaSP_SQ_EUlSP_E0_NS1_11comp_targetILNS1_3genE10ELNS1_11target_archE1201ELNS1_3gpuE5ELNS1_3repE0EEENS1_30default_config_static_selectorELNS0_4arch9wavefront6targetE1EEEvT1_ ; -- Begin function _ZN7rocprim17ROCPRIM_400000_NS6detail17trampoline_kernelINS0_14default_configENS1_20scan_config_selectorIxEEZZNS1_9scan_implILNS1_25lookback_scan_determinismE0ELb0ELb0ES3_N6thrust23THRUST_200600_302600_NS6detail15normal_iteratorINS9_10device_ptrIxEEEESE_x9plus_mod3IxExEEDaPvRmT3_T4_T5_mT6_P12ihipStream_tbENKUlT_T0_E_clISt17integral_constantIbLb1EEST_IbLb0EEEEDaSP_SQ_EUlSP_E0_NS1_11comp_targetILNS1_3genE10ELNS1_11target_archE1201ELNS1_3gpuE5ELNS1_3repE0EEENS1_30default_config_static_selectorELNS0_4arch9wavefront6targetE1EEEvT1_
	.globl	_ZN7rocprim17ROCPRIM_400000_NS6detail17trampoline_kernelINS0_14default_configENS1_20scan_config_selectorIxEEZZNS1_9scan_implILNS1_25lookback_scan_determinismE0ELb0ELb0ES3_N6thrust23THRUST_200600_302600_NS6detail15normal_iteratorINS9_10device_ptrIxEEEESE_x9plus_mod3IxExEEDaPvRmT3_T4_T5_mT6_P12ihipStream_tbENKUlT_T0_E_clISt17integral_constantIbLb1EEST_IbLb0EEEEDaSP_SQ_EUlSP_E0_NS1_11comp_targetILNS1_3genE10ELNS1_11target_archE1201ELNS1_3gpuE5ELNS1_3repE0EEENS1_30default_config_static_selectorELNS0_4arch9wavefront6targetE1EEEvT1_
	.p2align	8
	.type	_ZN7rocprim17ROCPRIM_400000_NS6detail17trampoline_kernelINS0_14default_configENS1_20scan_config_selectorIxEEZZNS1_9scan_implILNS1_25lookback_scan_determinismE0ELb0ELb0ES3_N6thrust23THRUST_200600_302600_NS6detail15normal_iteratorINS9_10device_ptrIxEEEESE_x9plus_mod3IxExEEDaPvRmT3_T4_T5_mT6_P12ihipStream_tbENKUlT_T0_E_clISt17integral_constantIbLb1EEST_IbLb0EEEEDaSP_SQ_EUlSP_E0_NS1_11comp_targetILNS1_3genE10ELNS1_11target_archE1201ELNS1_3gpuE5ELNS1_3repE0EEENS1_30default_config_static_selectorELNS0_4arch9wavefront6targetE1EEEvT1_,@function
_ZN7rocprim17ROCPRIM_400000_NS6detail17trampoline_kernelINS0_14default_configENS1_20scan_config_selectorIxEEZZNS1_9scan_implILNS1_25lookback_scan_determinismE0ELb0ELb0ES3_N6thrust23THRUST_200600_302600_NS6detail15normal_iteratorINS9_10device_ptrIxEEEESE_x9plus_mod3IxExEEDaPvRmT3_T4_T5_mT6_P12ihipStream_tbENKUlT_T0_E_clISt17integral_constantIbLb1EEST_IbLb0EEEEDaSP_SQ_EUlSP_E0_NS1_11comp_targetILNS1_3genE10ELNS1_11target_archE1201ELNS1_3gpuE5ELNS1_3repE0EEENS1_30default_config_static_selectorELNS0_4arch9wavefront6targetE1EEEvT1_: ; @_ZN7rocprim17ROCPRIM_400000_NS6detail17trampoline_kernelINS0_14default_configENS1_20scan_config_selectorIxEEZZNS1_9scan_implILNS1_25lookback_scan_determinismE0ELb0ELb0ES3_N6thrust23THRUST_200600_302600_NS6detail15normal_iteratorINS9_10device_ptrIxEEEESE_x9plus_mod3IxExEEDaPvRmT3_T4_T5_mT6_P12ihipStream_tbENKUlT_T0_E_clISt17integral_constantIbLb1EEST_IbLb0EEEEDaSP_SQ_EUlSP_E0_NS1_11comp_targetILNS1_3genE10ELNS1_11target_archE1201ELNS1_3gpuE5ELNS1_3repE0EEENS1_30default_config_static_selectorELNS0_4arch9wavefront6targetE1EEEvT1_
; %bb.0:
	.section	.rodata,"a",@progbits
	.p2align	6, 0x0
	.amdhsa_kernel _ZN7rocprim17ROCPRIM_400000_NS6detail17trampoline_kernelINS0_14default_configENS1_20scan_config_selectorIxEEZZNS1_9scan_implILNS1_25lookback_scan_determinismE0ELb0ELb0ES3_N6thrust23THRUST_200600_302600_NS6detail15normal_iteratorINS9_10device_ptrIxEEEESE_x9plus_mod3IxExEEDaPvRmT3_T4_T5_mT6_P12ihipStream_tbENKUlT_T0_E_clISt17integral_constantIbLb1EEST_IbLb0EEEEDaSP_SQ_EUlSP_E0_NS1_11comp_targetILNS1_3genE10ELNS1_11target_archE1201ELNS1_3gpuE5ELNS1_3repE0EEENS1_30default_config_static_selectorELNS0_4arch9wavefront6targetE1EEEvT1_
		.amdhsa_group_segment_fixed_size 0
		.amdhsa_private_segment_fixed_size 0
		.amdhsa_kernarg_size 40
		.amdhsa_user_sgpr_count 6
		.amdhsa_user_sgpr_private_segment_buffer 1
		.amdhsa_user_sgpr_dispatch_ptr 0
		.amdhsa_user_sgpr_queue_ptr 0
		.amdhsa_user_sgpr_kernarg_segment_ptr 1
		.amdhsa_user_sgpr_dispatch_id 0
		.amdhsa_user_sgpr_flat_scratch_init 0
		.amdhsa_user_sgpr_kernarg_preload_length 0
		.amdhsa_user_sgpr_kernarg_preload_offset 0
		.amdhsa_user_sgpr_private_segment_size 0
		.amdhsa_uses_dynamic_stack 0
		.amdhsa_system_sgpr_private_segment_wavefront_offset 0
		.amdhsa_system_sgpr_workgroup_id_x 1
		.amdhsa_system_sgpr_workgroup_id_y 0
		.amdhsa_system_sgpr_workgroup_id_z 0
		.amdhsa_system_sgpr_workgroup_info 0
		.amdhsa_system_vgpr_workitem_id 0
		.amdhsa_next_free_vgpr 1
		.amdhsa_next_free_sgpr 0
		.amdhsa_accum_offset 4
		.amdhsa_reserve_vcc 0
		.amdhsa_reserve_flat_scratch 0
		.amdhsa_float_round_mode_32 0
		.amdhsa_float_round_mode_16_64 0
		.amdhsa_float_denorm_mode_32 3
		.amdhsa_float_denorm_mode_16_64 3
		.amdhsa_dx10_clamp 1
		.amdhsa_ieee_mode 1
		.amdhsa_fp16_overflow 0
		.amdhsa_tg_split 0
		.amdhsa_exception_fp_ieee_invalid_op 0
		.amdhsa_exception_fp_denorm_src 0
		.amdhsa_exception_fp_ieee_div_zero 0
		.amdhsa_exception_fp_ieee_overflow 0
		.amdhsa_exception_fp_ieee_underflow 0
		.amdhsa_exception_fp_ieee_inexact 0
		.amdhsa_exception_int_div_zero 0
	.end_amdhsa_kernel
	.section	.text._ZN7rocprim17ROCPRIM_400000_NS6detail17trampoline_kernelINS0_14default_configENS1_20scan_config_selectorIxEEZZNS1_9scan_implILNS1_25lookback_scan_determinismE0ELb0ELb0ES3_N6thrust23THRUST_200600_302600_NS6detail15normal_iteratorINS9_10device_ptrIxEEEESE_x9plus_mod3IxExEEDaPvRmT3_T4_T5_mT6_P12ihipStream_tbENKUlT_T0_E_clISt17integral_constantIbLb1EEST_IbLb0EEEEDaSP_SQ_EUlSP_E0_NS1_11comp_targetILNS1_3genE10ELNS1_11target_archE1201ELNS1_3gpuE5ELNS1_3repE0EEENS1_30default_config_static_selectorELNS0_4arch9wavefront6targetE1EEEvT1_,"axG",@progbits,_ZN7rocprim17ROCPRIM_400000_NS6detail17trampoline_kernelINS0_14default_configENS1_20scan_config_selectorIxEEZZNS1_9scan_implILNS1_25lookback_scan_determinismE0ELb0ELb0ES3_N6thrust23THRUST_200600_302600_NS6detail15normal_iteratorINS9_10device_ptrIxEEEESE_x9plus_mod3IxExEEDaPvRmT3_T4_T5_mT6_P12ihipStream_tbENKUlT_T0_E_clISt17integral_constantIbLb1EEST_IbLb0EEEEDaSP_SQ_EUlSP_E0_NS1_11comp_targetILNS1_3genE10ELNS1_11target_archE1201ELNS1_3gpuE5ELNS1_3repE0EEENS1_30default_config_static_selectorELNS0_4arch9wavefront6targetE1EEEvT1_,comdat
.Lfunc_end6584:
	.size	_ZN7rocprim17ROCPRIM_400000_NS6detail17trampoline_kernelINS0_14default_configENS1_20scan_config_selectorIxEEZZNS1_9scan_implILNS1_25lookback_scan_determinismE0ELb0ELb0ES3_N6thrust23THRUST_200600_302600_NS6detail15normal_iteratorINS9_10device_ptrIxEEEESE_x9plus_mod3IxExEEDaPvRmT3_T4_T5_mT6_P12ihipStream_tbENKUlT_T0_E_clISt17integral_constantIbLb1EEST_IbLb0EEEEDaSP_SQ_EUlSP_E0_NS1_11comp_targetILNS1_3genE10ELNS1_11target_archE1201ELNS1_3gpuE5ELNS1_3repE0EEENS1_30default_config_static_selectorELNS0_4arch9wavefront6targetE1EEEvT1_, .Lfunc_end6584-_ZN7rocprim17ROCPRIM_400000_NS6detail17trampoline_kernelINS0_14default_configENS1_20scan_config_selectorIxEEZZNS1_9scan_implILNS1_25lookback_scan_determinismE0ELb0ELb0ES3_N6thrust23THRUST_200600_302600_NS6detail15normal_iteratorINS9_10device_ptrIxEEEESE_x9plus_mod3IxExEEDaPvRmT3_T4_T5_mT6_P12ihipStream_tbENKUlT_T0_E_clISt17integral_constantIbLb1EEST_IbLb0EEEEDaSP_SQ_EUlSP_E0_NS1_11comp_targetILNS1_3genE10ELNS1_11target_archE1201ELNS1_3gpuE5ELNS1_3repE0EEENS1_30default_config_static_selectorELNS0_4arch9wavefront6targetE1EEEvT1_
                                        ; -- End function
	.section	.AMDGPU.csdata,"",@progbits
; Kernel info:
; codeLenInByte = 0
; NumSgprs: 4
; NumVgprs: 0
; NumAgprs: 0
; TotalNumVgprs: 0
; ScratchSize: 0
; MemoryBound: 0
; FloatMode: 240
; IeeeMode: 1
; LDSByteSize: 0 bytes/workgroup (compile time only)
; SGPRBlocks: 0
; VGPRBlocks: 0
; NumSGPRsForWavesPerEU: 4
; NumVGPRsForWavesPerEU: 1
; AccumOffset: 4
; Occupancy: 8
; WaveLimiterHint : 0
; COMPUTE_PGM_RSRC2:SCRATCH_EN: 0
; COMPUTE_PGM_RSRC2:USER_SGPR: 6
; COMPUTE_PGM_RSRC2:TRAP_HANDLER: 0
; COMPUTE_PGM_RSRC2:TGID_X_EN: 1
; COMPUTE_PGM_RSRC2:TGID_Y_EN: 0
; COMPUTE_PGM_RSRC2:TGID_Z_EN: 0
; COMPUTE_PGM_RSRC2:TIDIG_COMP_CNT: 0
; COMPUTE_PGM_RSRC3_GFX90A:ACCUM_OFFSET: 0
; COMPUTE_PGM_RSRC3_GFX90A:TG_SPLIT: 0
	.section	.text._ZN7rocprim17ROCPRIM_400000_NS6detail17trampoline_kernelINS0_14default_configENS1_20scan_config_selectorIxEEZZNS1_9scan_implILNS1_25lookback_scan_determinismE0ELb0ELb0ES3_N6thrust23THRUST_200600_302600_NS6detail15normal_iteratorINS9_10device_ptrIxEEEESE_x9plus_mod3IxExEEDaPvRmT3_T4_T5_mT6_P12ihipStream_tbENKUlT_T0_E_clISt17integral_constantIbLb1EEST_IbLb0EEEEDaSP_SQ_EUlSP_E0_NS1_11comp_targetILNS1_3genE10ELNS1_11target_archE1200ELNS1_3gpuE4ELNS1_3repE0EEENS1_30default_config_static_selectorELNS0_4arch9wavefront6targetE1EEEvT1_,"axG",@progbits,_ZN7rocprim17ROCPRIM_400000_NS6detail17trampoline_kernelINS0_14default_configENS1_20scan_config_selectorIxEEZZNS1_9scan_implILNS1_25lookback_scan_determinismE0ELb0ELb0ES3_N6thrust23THRUST_200600_302600_NS6detail15normal_iteratorINS9_10device_ptrIxEEEESE_x9plus_mod3IxExEEDaPvRmT3_T4_T5_mT6_P12ihipStream_tbENKUlT_T0_E_clISt17integral_constantIbLb1EEST_IbLb0EEEEDaSP_SQ_EUlSP_E0_NS1_11comp_targetILNS1_3genE10ELNS1_11target_archE1200ELNS1_3gpuE4ELNS1_3repE0EEENS1_30default_config_static_selectorELNS0_4arch9wavefront6targetE1EEEvT1_,comdat
	.protected	_ZN7rocprim17ROCPRIM_400000_NS6detail17trampoline_kernelINS0_14default_configENS1_20scan_config_selectorIxEEZZNS1_9scan_implILNS1_25lookback_scan_determinismE0ELb0ELb0ES3_N6thrust23THRUST_200600_302600_NS6detail15normal_iteratorINS9_10device_ptrIxEEEESE_x9plus_mod3IxExEEDaPvRmT3_T4_T5_mT6_P12ihipStream_tbENKUlT_T0_E_clISt17integral_constantIbLb1EEST_IbLb0EEEEDaSP_SQ_EUlSP_E0_NS1_11comp_targetILNS1_3genE10ELNS1_11target_archE1200ELNS1_3gpuE4ELNS1_3repE0EEENS1_30default_config_static_selectorELNS0_4arch9wavefront6targetE1EEEvT1_ ; -- Begin function _ZN7rocprim17ROCPRIM_400000_NS6detail17trampoline_kernelINS0_14default_configENS1_20scan_config_selectorIxEEZZNS1_9scan_implILNS1_25lookback_scan_determinismE0ELb0ELb0ES3_N6thrust23THRUST_200600_302600_NS6detail15normal_iteratorINS9_10device_ptrIxEEEESE_x9plus_mod3IxExEEDaPvRmT3_T4_T5_mT6_P12ihipStream_tbENKUlT_T0_E_clISt17integral_constantIbLb1EEST_IbLb0EEEEDaSP_SQ_EUlSP_E0_NS1_11comp_targetILNS1_3genE10ELNS1_11target_archE1200ELNS1_3gpuE4ELNS1_3repE0EEENS1_30default_config_static_selectorELNS0_4arch9wavefront6targetE1EEEvT1_
	.globl	_ZN7rocprim17ROCPRIM_400000_NS6detail17trampoline_kernelINS0_14default_configENS1_20scan_config_selectorIxEEZZNS1_9scan_implILNS1_25lookback_scan_determinismE0ELb0ELb0ES3_N6thrust23THRUST_200600_302600_NS6detail15normal_iteratorINS9_10device_ptrIxEEEESE_x9plus_mod3IxExEEDaPvRmT3_T4_T5_mT6_P12ihipStream_tbENKUlT_T0_E_clISt17integral_constantIbLb1EEST_IbLb0EEEEDaSP_SQ_EUlSP_E0_NS1_11comp_targetILNS1_3genE10ELNS1_11target_archE1200ELNS1_3gpuE4ELNS1_3repE0EEENS1_30default_config_static_selectorELNS0_4arch9wavefront6targetE1EEEvT1_
	.p2align	8
	.type	_ZN7rocprim17ROCPRIM_400000_NS6detail17trampoline_kernelINS0_14default_configENS1_20scan_config_selectorIxEEZZNS1_9scan_implILNS1_25lookback_scan_determinismE0ELb0ELb0ES3_N6thrust23THRUST_200600_302600_NS6detail15normal_iteratorINS9_10device_ptrIxEEEESE_x9plus_mod3IxExEEDaPvRmT3_T4_T5_mT6_P12ihipStream_tbENKUlT_T0_E_clISt17integral_constantIbLb1EEST_IbLb0EEEEDaSP_SQ_EUlSP_E0_NS1_11comp_targetILNS1_3genE10ELNS1_11target_archE1200ELNS1_3gpuE4ELNS1_3repE0EEENS1_30default_config_static_selectorELNS0_4arch9wavefront6targetE1EEEvT1_,@function
_ZN7rocprim17ROCPRIM_400000_NS6detail17trampoline_kernelINS0_14default_configENS1_20scan_config_selectorIxEEZZNS1_9scan_implILNS1_25lookback_scan_determinismE0ELb0ELb0ES3_N6thrust23THRUST_200600_302600_NS6detail15normal_iteratorINS9_10device_ptrIxEEEESE_x9plus_mod3IxExEEDaPvRmT3_T4_T5_mT6_P12ihipStream_tbENKUlT_T0_E_clISt17integral_constantIbLb1EEST_IbLb0EEEEDaSP_SQ_EUlSP_E0_NS1_11comp_targetILNS1_3genE10ELNS1_11target_archE1200ELNS1_3gpuE4ELNS1_3repE0EEENS1_30default_config_static_selectorELNS0_4arch9wavefront6targetE1EEEvT1_: ; @_ZN7rocprim17ROCPRIM_400000_NS6detail17trampoline_kernelINS0_14default_configENS1_20scan_config_selectorIxEEZZNS1_9scan_implILNS1_25lookback_scan_determinismE0ELb0ELb0ES3_N6thrust23THRUST_200600_302600_NS6detail15normal_iteratorINS9_10device_ptrIxEEEESE_x9plus_mod3IxExEEDaPvRmT3_T4_T5_mT6_P12ihipStream_tbENKUlT_T0_E_clISt17integral_constantIbLb1EEST_IbLb0EEEEDaSP_SQ_EUlSP_E0_NS1_11comp_targetILNS1_3genE10ELNS1_11target_archE1200ELNS1_3gpuE4ELNS1_3repE0EEENS1_30default_config_static_selectorELNS0_4arch9wavefront6targetE1EEEvT1_
; %bb.0:
	.section	.rodata,"a",@progbits
	.p2align	6, 0x0
	.amdhsa_kernel _ZN7rocprim17ROCPRIM_400000_NS6detail17trampoline_kernelINS0_14default_configENS1_20scan_config_selectorIxEEZZNS1_9scan_implILNS1_25lookback_scan_determinismE0ELb0ELb0ES3_N6thrust23THRUST_200600_302600_NS6detail15normal_iteratorINS9_10device_ptrIxEEEESE_x9plus_mod3IxExEEDaPvRmT3_T4_T5_mT6_P12ihipStream_tbENKUlT_T0_E_clISt17integral_constantIbLb1EEST_IbLb0EEEEDaSP_SQ_EUlSP_E0_NS1_11comp_targetILNS1_3genE10ELNS1_11target_archE1200ELNS1_3gpuE4ELNS1_3repE0EEENS1_30default_config_static_selectorELNS0_4arch9wavefront6targetE1EEEvT1_
		.amdhsa_group_segment_fixed_size 0
		.amdhsa_private_segment_fixed_size 0
		.amdhsa_kernarg_size 40
		.amdhsa_user_sgpr_count 6
		.amdhsa_user_sgpr_private_segment_buffer 1
		.amdhsa_user_sgpr_dispatch_ptr 0
		.amdhsa_user_sgpr_queue_ptr 0
		.amdhsa_user_sgpr_kernarg_segment_ptr 1
		.amdhsa_user_sgpr_dispatch_id 0
		.amdhsa_user_sgpr_flat_scratch_init 0
		.amdhsa_user_sgpr_kernarg_preload_length 0
		.amdhsa_user_sgpr_kernarg_preload_offset 0
		.amdhsa_user_sgpr_private_segment_size 0
		.amdhsa_uses_dynamic_stack 0
		.amdhsa_system_sgpr_private_segment_wavefront_offset 0
		.amdhsa_system_sgpr_workgroup_id_x 1
		.amdhsa_system_sgpr_workgroup_id_y 0
		.amdhsa_system_sgpr_workgroup_id_z 0
		.amdhsa_system_sgpr_workgroup_info 0
		.amdhsa_system_vgpr_workitem_id 0
		.amdhsa_next_free_vgpr 1
		.amdhsa_next_free_sgpr 0
		.amdhsa_accum_offset 4
		.amdhsa_reserve_vcc 0
		.amdhsa_reserve_flat_scratch 0
		.amdhsa_float_round_mode_32 0
		.amdhsa_float_round_mode_16_64 0
		.amdhsa_float_denorm_mode_32 3
		.amdhsa_float_denorm_mode_16_64 3
		.amdhsa_dx10_clamp 1
		.amdhsa_ieee_mode 1
		.amdhsa_fp16_overflow 0
		.amdhsa_tg_split 0
		.amdhsa_exception_fp_ieee_invalid_op 0
		.amdhsa_exception_fp_denorm_src 0
		.amdhsa_exception_fp_ieee_div_zero 0
		.amdhsa_exception_fp_ieee_overflow 0
		.amdhsa_exception_fp_ieee_underflow 0
		.amdhsa_exception_fp_ieee_inexact 0
		.amdhsa_exception_int_div_zero 0
	.end_amdhsa_kernel
	.section	.text._ZN7rocprim17ROCPRIM_400000_NS6detail17trampoline_kernelINS0_14default_configENS1_20scan_config_selectorIxEEZZNS1_9scan_implILNS1_25lookback_scan_determinismE0ELb0ELb0ES3_N6thrust23THRUST_200600_302600_NS6detail15normal_iteratorINS9_10device_ptrIxEEEESE_x9plus_mod3IxExEEDaPvRmT3_T4_T5_mT6_P12ihipStream_tbENKUlT_T0_E_clISt17integral_constantIbLb1EEST_IbLb0EEEEDaSP_SQ_EUlSP_E0_NS1_11comp_targetILNS1_3genE10ELNS1_11target_archE1200ELNS1_3gpuE4ELNS1_3repE0EEENS1_30default_config_static_selectorELNS0_4arch9wavefront6targetE1EEEvT1_,"axG",@progbits,_ZN7rocprim17ROCPRIM_400000_NS6detail17trampoline_kernelINS0_14default_configENS1_20scan_config_selectorIxEEZZNS1_9scan_implILNS1_25lookback_scan_determinismE0ELb0ELb0ES3_N6thrust23THRUST_200600_302600_NS6detail15normal_iteratorINS9_10device_ptrIxEEEESE_x9plus_mod3IxExEEDaPvRmT3_T4_T5_mT6_P12ihipStream_tbENKUlT_T0_E_clISt17integral_constantIbLb1EEST_IbLb0EEEEDaSP_SQ_EUlSP_E0_NS1_11comp_targetILNS1_3genE10ELNS1_11target_archE1200ELNS1_3gpuE4ELNS1_3repE0EEENS1_30default_config_static_selectorELNS0_4arch9wavefront6targetE1EEEvT1_,comdat
.Lfunc_end6585:
	.size	_ZN7rocprim17ROCPRIM_400000_NS6detail17trampoline_kernelINS0_14default_configENS1_20scan_config_selectorIxEEZZNS1_9scan_implILNS1_25lookback_scan_determinismE0ELb0ELb0ES3_N6thrust23THRUST_200600_302600_NS6detail15normal_iteratorINS9_10device_ptrIxEEEESE_x9plus_mod3IxExEEDaPvRmT3_T4_T5_mT6_P12ihipStream_tbENKUlT_T0_E_clISt17integral_constantIbLb1EEST_IbLb0EEEEDaSP_SQ_EUlSP_E0_NS1_11comp_targetILNS1_3genE10ELNS1_11target_archE1200ELNS1_3gpuE4ELNS1_3repE0EEENS1_30default_config_static_selectorELNS0_4arch9wavefront6targetE1EEEvT1_, .Lfunc_end6585-_ZN7rocprim17ROCPRIM_400000_NS6detail17trampoline_kernelINS0_14default_configENS1_20scan_config_selectorIxEEZZNS1_9scan_implILNS1_25lookback_scan_determinismE0ELb0ELb0ES3_N6thrust23THRUST_200600_302600_NS6detail15normal_iteratorINS9_10device_ptrIxEEEESE_x9plus_mod3IxExEEDaPvRmT3_T4_T5_mT6_P12ihipStream_tbENKUlT_T0_E_clISt17integral_constantIbLb1EEST_IbLb0EEEEDaSP_SQ_EUlSP_E0_NS1_11comp_targetILNS1_3genE10ELNS1_11target_archE1200ELNS1_3gpuE4ELNS1_3repE0EEENS1_30default_config_static_selectorELNS0_4arch9wavefront6targetE1EEEvT1_
                                        ; -- End function
	.section	.AMDGPU.csdata,"",@progbits
; Kernel info:
; codeLenInByte = 0
; NumSgprs: 4
; NumVgprs: 0
; NumAgprs: 0
; TotalNumVgprs: 0
; ScratchSize: 0
; MemoryBound: 0
; FloatMode: 240
; IeeeMode: 1
; LDSByteSize: 0 bytes/workgroup (compile time only)
; SGPRBlocks: 0
; VGPRBlocks: 0
; NumSGPRsForWavesPerEU: 4
; NumVGPRsForWavesPerEU: 1
; AccumOffset: 4
; Occupancy: 8
; WaveLimiterHint : 0
; COMPUTE_PGM_RSRC2:SCRATCH_EN: 0
; COMPUTE_PGM_RSRC2:USER_SGPR: 6
; COMPUTE_PGM_RSRC2:TRAP_HANDLER: 0
; COMPUTE_PGM_RSRC2:TGID_X_EN: 1
; COMPUTE_PGM_RSRC2:TGID_Y_EN: 0
; COMPUTE_PGM_RSRC2:TGID_Z_EN: 0
; COMPUTE_PGM_RSRC2:TIDIG_COMP_CNT: 0
; COMPUTE_PGM_RSRC3_GFX90A:ACCUM_OFFSET: 0
; COMPUTE_PGM_RSRC3_GFX90A:TG_SPLIT: 0
	.section	.text._ZN7rocprim17ROCPRIM_400000_NS6detail17trampoline_kernelINS0_14default_configENS1_20scan_config_selectorIxEEZZNS1_9scan_implILNS1_25lookback_scan_determinismE0ELb0ELb0ES3_N6thrust23THRUST_200600_302600_NS6detail15normal_iteratorINS9_10device_ptrIxEEEESE_x9plus_mod3IxExEEDaPvRmT3_T4_T5_mT6_P12ihipStream_tbENKUlT_T0_E_clISt17integral_constantIbLb1EEST_IbLb0EEEEDaSP_SQ_EUlSP_E0_NS1_11comp_targetILNS1_3genE9ELNS1_11target_archE1100ELNS1_3gpuE3ELNS1_3repE0EEENS1_30default_config_static_selectorELNS0_4arch9wavefront6targetE1EEEvT1_,"axG",@progbits,_ZN7rocprim17ROCPRIM_400000_NS6detail17trampoline_kernelINS0_14default_configENS1_20scan_config_selectorIxEEZZNS1_9scan_implILNS1_25lookback_scan_determinismE0ELb0ELb0ES3_N6thrust23THRUST_200600_302600_NS6detail15normal_iteratorINS9_10device_ptrIxEEEESE_x9plus_mod3IxExEEDaPvRmT3_T4_T5_mT6_P12ihipStream_tbENKUlT_T0_E_clISt17integral_constantIbLb1EEST_IbLb0EEEEDaSP_SQ_EUlSP_E0_NS1_11comp_targetILNS1_3genE9ELNS1_11target_archE1100ELNS1_3gpuE3ELNS1_3repE0EEENS1_30default_config_static_selectorELNS0_4arch9wavefront6targetE1EEEvT1_,comdat
	.protected	_ZN7rocprim17ROCPRIM_400000_NS6detail17trampoline_kernelINS0_14default_configENS1_20scan_config_selectorIxEEZZNS1_9scan_implILNS1_25lookback_scan_determinismE0ELb0ELb0ES3_N6thrust23THRUST_200600_302600_NS6detail15normal_iteratorINS9_10device_ptrIxEEEESE_x9plus_mod3IxExEEDaPvRmT3_T4_T5_mT6_P12ihipStream_tbENKUlT_T0_E_clISt17integral_constantIbLb1EEST_IbLb0EEEEDaSP_SQ_EUlSP_E0_NS1_11comp_targetILNS1_3genE9ELNS1_11target_archE1100ELNS1_3gpuE3ELNS1_3repE0EEENS1_30default_config_static_selectorELNS0_4arch9wavefront6targetE1EEEvT1_ ; -- Begin function _ZN7rocprim17ROCPRIM_400000_NS6detail17trampoline_kernelINS0_14default_configENS1_20scan_config_selectorIxEEZZNS1_9scan_implILNS1_25lookback_scan_determinismE0ELb0ELb0ES3_N6thrust23THRUST_200600_302600_NS6detail15normal_iteratorINS9_10device_ptrIxEEEESE_x9plus_mod3IxExEEDaPvRmT3_T4_T5_mT6_P12ihipStream_tbENKUlT_T0_E_clISt17integral_constantIbLb1EEST_IbLb0EEEEDaSP_SQ_EUlSP_E0_NS1_11comp_targetILNS1_3genE9ELNS1_11target_archE1100ELNS1_3gpuE3ELNS1_3repE0EEENS1_30default_config_static_selectorELNS0_4arch9wavefront6targetE1EEEvT1_
	.globl	_ZN7rocprim17ROCPRIM_400000_NS6detail17trampoline_kernelINS0_14default_configENS1_20scan_config_selectorIxEEZZNS1_9scan_implILNS1_25lookback_scan_determinismE0ELb0ELb0ES3_N6thrust23THRUST_200600_302600_NS6detail15normal_iteratorINS9_10device_ptrIxEEEESE_x9plus_mod3IxExEEDaPvRmT3_T4_T5_mT6_P12ihipStream_tbENKUlT_T0_E_clISt17integral_constantIbLb1EEST_IbLb0EEEEDaSP_SQ_EUlSP_E0_NS1_11comp_targetILNS1_3genE9ELNS1_11target_archE1100ELNS1_3gpuE3ELNS1_3repE0EEENS1_30default_config_static_selectorELNS0_4arch9wavefront6targetE1EEEvT1_
	.p2align	8
	.type	_ZN7rocprim17ROCPRIM_400000_NS6detail17trampoline_kernelINS0_14default_configENS1_20scan_config_selectorIxEEZZNS1_9scan_implILNS1_25lookback_scan_determinismE0ELb0ELb0ES3_N6thrust23THRUST_200600_302600_NS6detail15normal_iteratorINS9_10device_ptrIxEEEESE_x9plus_mod3IxExEEDaPvRmT3_T4_T5_mT6_P12ihipStream_tbENKUlT_T0_E_clISt17integral_constantIbLb1EEST_IbLb0EEEEDaSP_SQ_EUlSP_E0_NS1_11comp_targetILNS1_3genE9ELNS1_11target_archE1100ELNS1_3gpuE3ELNS1_3repE0EEENS1_30default_config_static_selectorELNS0_4arch9wavefront6targetE1EEEvT1_,@function
_ZN7rocprim17ROCPRIM_400000_NS6detail17trampoline_kernelINS0_14default_configENS1_20scan_config_selectorIxEEZZNS1_9scan_implILNS1_25lookback_scan_determinismE0ELb0ELb0ES3_N6thrust23THRUST_200600_302600_NS6detail15normal_iteratorINS9_10device_ptrIxEEEESE_x9plus_mod3IxExEEDaPvRmT3_T4_T5_mT6_P12ihipStream_tbENKUlT_T0_E_clISt17integral_constantIbLb1EEST_IbLb0EEEEDaSP_SQ_EUlSP_E0_NS1_11comp_targetILNS1_3genE9ELNS1_11target_archE1100ELNS1_3gpuE3ELNS1_3repE0EEENS1_30default_config_static_selectorELNS0_4arch9wavefront6targetE1EEEvT1_: ; @_ZN7rocprim17ROCPRIM_400000_NS6detail17trampoline_kernelINS0_14default_configENS1_20scan_config_selectorIxEEZZNS1_9scan_implILNS1_25lookback_scan_determinismE0ELb0ELb0ES3_N6thrust23THRUST_200600_302600_NS6detail15normal_iteratorINS9_10device_ptrIxEEEESE_x9plus_mod3IxExEEDaPvRmT3_T4_T5_mT6_P12ihipStream_tbENKUlT_T0_E_clISt17integral_constantIbLb1EEST_IbLb0EEEEDaSP_SQ_EUlSP_E0_NS1_11comp_targetILNS1_3genE9ELNS1_11target_archE1100ELNS1_3gpuE3ELNS1_3repE0EEENS1_30default_config_static_selectorELNS0_4arch9wavefront6targetE1EEEvT1_
; %bb.0:
	.section	.rodata,"a",@progbits
	.p2align	6, 0x0
	.amdhsa_kernel _ZN7rocprim17ROCPRIM_400000_NS6detail17trampoline_kernelINS0_14default_configENS1_20scan_config_selectorIxEEZZNS1_9scan_implILNS1_25lookback_scan_determinismE0ELb0ELb0ES3_N6thrust23THRUST_200600_302600_NS6detail15normal_iteratorINS9_10device_ptrIxEEEESE_x9plus_mod3IxExEEDaPvRmT3_T4_T5_mT6_P12ihipStream_tbENKUlT_T0_E_clISt17integral_constantIbLb1EEST_IbLb0EEEEDaSP_SQ_EUlSP_E0_NS1_11comp_targetILNS1_3genE9ELNS1_11target_archE1100ELNS1_3gpuE3ELNS1_3repE0EEENS1_30default_config_static_selectorELNS0_4arch9wavefront6targetE1EEEvT1_
		.amdhsa_group_segment_fixed_size 0
		.amdhsa_private_segment_fixed_size 0
		.amdhsa_kernarg_size 40
		.amdhsa_user_sgpr_count 6
		.amdhsa_user_sgpr_private_segment_buffer 1
		.amdhsa_user_sgpr_dispatch_ptr 0
		.amdhsa_user_sgpr_queue_ptr 0
		.amdhsa_user_sgpr_kernarg_segment_ptr 1
		.amdhsa_user_sgpr_dispatch_id 0
		.amdhsa_user_sgpr_flat_scratch_init 0
		.amdhsa_user_sgpr_kernarg_preload_length 0
		.amdhsa_user_sgpr_kernarg_preload_offset 0
		.amdhsa_user_sgpr_private_segment_size 0
		.amdhsa_uses_dynamic_stack 0
		.amdhsa_system_sgpr_private_segment_wavefront_offset 0
		.amdhsa_system_sgpr_workgroup_id_x 1
		.amdhsa_system_sgpr_workgroup_id_y 0
		.amdhsa_system_sgpr_workgroup_id_z 0
		.amdhsa_system_sgpr_workgroup_info 0
		.amdhsa_system_vgpr_workitem_id 0
		.amdhsa_next_free_vgpr 1
		.amdhsa_next_free_sgpr 0
		.amdhsa_accum_offset 4
		.amdhsa_reserve_vcc 0
		.amdhsa_reserve_flat_scratch 0
		.amdhsa_float_round_mode_32 0
		.amdhsa_float_round_mode_16_64 0
		.amdhsa_float_denorm_mode_32 3
		.amdhsa_float_denorm_mode_16_64 3
		.amdhsa_dx10_clamp 1
		.amdhsa_ieee_mode 1
		.amdhsa_fp16_overflow 0
		.amdhsa_tg_split 0
		.amdhsa_exception_fp_ieee_invalid_op 0
		.amdhsa_exception_fp_denorm_src 0
		.amdhsa_exception_fp_ieee_div_zero 0
		.amdhsa_exception_fp_ieee_overflow 0
		.amdhsa_exception_fp_ieee_underflow 0
		.amdhsa_exception_fp_ieee_inexact 0
		.amdhsa_exception_int_div_zero 0
	.end_amdhsa_kernel
	.section	.text._ZN7rocprim17ROCPRIM_400000_NS6detail17trampoline_kernelINS0_14default_configENS1_20scan_config_selectorIxEEZZNS1_9scan_implILNS1_25lookback_scan_determinismE0ELb0ELb0ES3_N6thrust23THRUST_200600_302600_NS6detail15normal_iteratorINS9_10device_ptrIxEEEESE_x9plus_mod3IxExEEDaPvRmT3_T4_T5_mT6_P12ihipStream_tbENKUlT_T0_E_clISt17integral_constantIbLb1EEST_IbLb0EEEEDaSP_SQ_EUlSP_E0_NS1_11comp_targetILNS1_3genE9ELNS1_11target_archE1100ELNS1_3gpuE3ELNS1_3repE0EEENS1_30default_config_static_selectorELNS0_4arch9wavefront6targetE1EEEvT1_,"axG",@progbits,_ZN7rocprim17ROCPRIM_400000_NS6detail17trampoline_kernelINS0_14default_configENS1_20scan_config_selectorIxEEZZNS1_9scan_implILNS1_25lookback_scan_determinismE0ELb0ELb0ES3_N6thrust23THRUST_200600_302600_NS6detail15normal_iteratorINS9_10device_ptrIxEEEESE_x9plus_mod3IxExEEDaPvRmT3_T4_T5_mT6_P12ihipStream_tbENKUlT_T0_E_clISt17integral_constantIbLb1EEST_IbLb0EEEEDaSP_SQ_EUlSP_E0_NS1_11comp_targetILNS1_3genE9ELNS1_11target_archE1100ELNS1_3gpuE3ELNS1_3repE0EEENS1_30default_config_static_selectorELNS0_4arch9wavefront6targetE1EEEvT1_,comdat
.Lfunc_end6586:
	.size	_ZN7rocprim17ROCPRIM_400000_NS6detail17trampoline_kernelINS0_14default_configENS1_20scan_config_selectorIxEEZZNS1_9scan_implILNS1_25lookback_scan_determinismE0ELb0ELb0ES3_N6thrust23THRUST_200600_302600_NS6detail15normal_iteratorINS9_10device_ptrIxEEEESE_x9plus_mod3IxExEEDaPvRmT3_T4_T5_mT6_P12ihipStream_tbENKUlT_T0_E_clISt17integral_constantIbLb1EEST_IbLb0EEEEDaSP_SQ_EUlSP_E0_NS1_11comp_targetILNS1_3genE9ELNS1_11target_archE1100ELNS1_3gpuE3ELNS1_3repE0EEENS1_30default_config_static_selectorELNS0_4arch9wavefront6targetE1EEEvT1_, .Lfunc_end6586-_ZN7rocprim17ROCPRIM_400000_NS6detail17trampoline_kernelINS0_14default_configENS1_20scan_config_selectorIxEEZZNS1_9scan_implILNS1_25lookback_scan_determinismE0ELb0ELb0ES3_N6thrust23THRUST_200600_302600_NS6detail15normal_iteratorINS9_10device_ptrIxEEEESE_x9plus_mod3IxExEEDaPvRmT3_T4_T5_mT6_P12ihipStream_tbENKUlT_T0_E_clISt17integral_constantIbLb1EEST_IbLb0EEEEDaSP_SQ_EUlSP_E0_NS1_11comp_targetILNS1_3genE9ELNS1_11target_archE1100ELNS1_3gpuE3ELNS1_3repE0EEENS1_30default_config_static_selectorELNS0_4arch9wavefront6targetE1EEEvT1_
                                        ; -- End function
	.section	.AMDGPU.csdata,"",@progbits
; Kernel info:
; codeLenInByte = 0
; NumSgprs: 4
; NumVgprs: 0
; NumAgprs: 0
; TotalNumVgprs: 0
; ScratchSize: 0
; MemoryBound: 0
; FloatMode: 240
; IeeeMode: 1
; LDSByteSize: 0 bytes/workgroup (compile time only)
; SGPRBlocks: 0
; VGPRBlocks: 0
; NumSGPRsForWavesPerEU: 4
; NumVGPRsForWavesPerEU: 1
; AccumOffset: 4
; Occupancy: 8
; WaveLimiterHint : 0
; COMPUTE_PGM_RSRC2:SCRATCH_EN: 0
; COMPUTE_PGM_RSRC2:USER_SGPR: 6
; COMPUTE_PGM_RSRC2:TRAP_HANDLER: 0
; COMPUTE_PGM_RSRC2:TGID_X_EN: 1
; COMPUTE_PGM_RSRC2:TGID_Y_EN: 0
; COMPUTE_PGM_RSRC2:TGID_Z_EN: 0
; COMPUTE_PGM_RSRC2:TIDIG_COMP_CNT: 0
; COMPUTE_PGM_RSRC3_GFX90A:ACCUM_OFFSET: 0
; COMPUTE_PGM_RSRC3_GFX90A:TG_SPLIT: 0
	.section	.text._ZN7rocprim17ROCPRIM_400000_NS6detail17trampoline_kernelINS0_14default_configENS1_20scan_config_selectorIxEEZZNS1_9scan_implILNS1_25lookback_scan_determinismE0ELb0ELb0ES3_N6thrust23THRUST_200600_302600_NS6detail15normal_iteratorINS9_10device_ptrIxEEEESE_x9plus_mod3IxExEEDaPvRmT3_T4_T5_mT6_P12ihipStream_tbENKUlT_T0_E_clISt17integral_constantIbLb1EEST_IbLb0EEEEDaSP_SQ_EUlSP_E0_NS1_11comp_targetILNS1_3genE8ELNS1_11target_archE1030ELNS1_3gpuE2ELNS1_3repE0EEENS1_30default_config_static_selectorELNS0_4arch9wavefront6targetE1EEEvT1_,"axG",@progbits,_ZN7rocprim17ROCPRIM_400000_NS6detail17trampoline_kernelINS0_14default_configENS1_20scan_config_selectorIxEEZZNS1_9scan_implILNS1_25lookback_scan_determinismE0ELb0ELb0ES3_N6thrust23THRUST_200600_302600_NS6detail15normal_iteratorINS9_10device_ptrIxEEEESE_x9plus_mod3IxExEEDaPvRmT3_T4_T5_mT6_P12ihipStream_tbENKUlT_T0_E_clISt17integral_constantIbLb1EEST_IbLb0EEEEDaSP_SQ_EUlSP_E0_NS1_11comp_targetILNS1_3genE8ELNS1_11target_archE1030ELNS1_3gpuE2ELNS1_3repE0EEENS1_30default_config_static_selectorELNS0_4arch9wavefront6targetE1EEEvT1_,comdat
	.protected	_ZN7rocprim17ROCPRIM_400000_NS6detail17trampoline_kernelINS0_14default_configENS1_20scan_config_selectorIxEEZZNS1_9scan_implILNS1_25lookback_scan_determinismE0ELb0ELb0ES3_N6thrust23THRUST_200600_302600_NS6detail15normal_iteratorINS9_10device_ptrIxEEEESE_x9plus_mod3IxExEEDaPvRmT3_T4_T5_mT6_P12ihipStream_tbENKUlT_T0_E_clISt17integral_constantIbLb1EEST_IbLb0EEEEDaSP_SQ_EUlSP_E0_NS1_11comp_targetILNS1_3genE8ELNS1_11target_archE1030ELNS1_3gpuE2ELNS1_3repE0EEENS1_30default_config_static_selectorELNS0_4arch9wavefront6targetE1EEEvT1_ ; -- Begin function _ZN7rocprim17ROCPRIM_400000_NS6detail17trampoline_kernelINS0_14default_configENS1_20scan_config_selectorIxEEZZNS1_9scan_implILNS1_25lookback_scan_determinismE0ELb0ELb0ES3_N6thrust23THRUST_200600_302600_NS6detail15normal_iteratorINS9_10device_ptrIxEEEESE_x9plus_mod3IxExEEDaPvRmT3_T4_T5_mT6_P12ihipStream_tbENKUlT_T0_E_clISt17integral_constantIbLb1EEST_IbLb0EEEEDaSP_SQ_EUlSP_E0_NS1_11comp_targetILNS1_3genE8ELNS1_11target_archE1030ELNS1_3gpuE2ELNS1_3repE0EEENS1_30default_config_static_selectorELNS0_4arch9wavefront6targetE1EEEvT1_
	.globl	_ZN7rocprim17ROCPRIM_400000_NS6detail17trampoline_kernelINS0_14default_configENS1_20scan_config_selectorIxEEZZNS1_9scan_implILNS1_25lookback_scan_determinismE0ELb0ELb0ES3_N6thrust23THRUST_200600_302600_NS6detail15normal_iteratorINS9_10device_ptrIxEEEESE_x9plus_mod3IxExEEDaPvRmT3_T4_T5_mT6_P12ihipStream_tbENKUlT_T0_E_clISt17integral_constantIbLb1EEST_IbLb0EEEEDaSP_SQ_EUlSP_E0_NS1_11comp_targetILNS1_3genE8ELNS1_11target_archE1030ELNS1_3gpuE2ELNS1_3repE0EEENS1_30default_config_static_selectorELNS0_4arch9wavefront6targetE1EEEvT1_
	.p2align	8
	.type	_ZN7rocprim17ROCPRIM_400000_NS6detail17trampoline_kernelINS0_14default_configENS1_20scan_config_selectorIxEEZZNS1_9scan_implILNS1_25lookback_scan_determinismE0ELb0ELb0ES3_N6thrust23THRUST_200600_302600_NS6detail15normal_iteratorINS9_10device_ptrIxEEEESE_x9plus_mod3IxExEEDaPvRmT3_T4_T5_mT6_P12ihipStream_tbENKUlT_T0_E_clISt17integral_constantIbLb1EEST_IbLb0EEEEDaSP_SQ_EUlSP_E0_NS1_11comp_targetILNS1_3genE8ELNS1_11target_archE1030ELNS1_3gpuE2ELNS1_3repE0EEENS1_30default_config_static_selectorELNS0_4arch9wavefront6targetE1EEEvT1_,@function
_ZN7rocprim17ROCPRIM_400000_NS6detail17trampoline_kernelINS0_14default_configENS1_20scan_config_selectorIxEEZZNS1_9scan_implILNS1_25lookback_scan_determinismE0ELb0ELb0ES3_N6thrust23THRUST_200600_302600_NS6detail15normal_iteratorINS9_10device_ptrIxEEEESE_x9plus_mod3IxExEEDaPvRmT3_T4_T5_mT6_P12ihipStream_tbENKUlT_T0_E_clISt17integral_constantIbLb1EEST_IbLb0EEEEDaSP_SQ_EUlSP_E0_NS1_11comp_targetILNS1_3genE8ELNS1_11target_archE1030ELNS1_3gpuE2ELNS1_3repE0EEENS1_30default_config_static_selectorELNS0_4arch9wavefront6targetE1EEEvT1_: ; @_ZN7rocprim17ROCPRIM_400000_NS6detail17trampoline_kernelINS0_14default_configENS1_20scan_config_selectorIxEEZZNS1_9scan_implILNS1_25lookback_scan_determinismE0ELb0ELb0ES3_N6thrust23THRUST_200600_302600_NS6detail15normal_iteratorINS9_10device_ptrIxEEEESE_x9plus_mod3IxExEEDaPvRmT3_T4_T5_mT6_P12ihipStream_tbENKUlT_T0_E_clISt17integral_constantIbLb1EEST_IbLb0EEEEDaSP_SQ_EUlSP_E0_NS1_11comp_targetILNS1_3genE8ELNS1_11target_archE1030ELNS1_3gpuE2ELNS1_3repE0EEENS1_30default_config_static_selectorELNS0_4arch9wavefront6targetE1EEEvT1_
; %bb.0:
	.section	.rodata,"a",@progbits
	.p2align	6, 0x0
	.amdhsa_kernel _ZN7rocprim17ROCPRIM_400000_NS6detail17trampoline_kernelINS0_14default_configENS1_20scan_config_selectorIxEEZZNS1_9scan_implILNS1_25lookback_scan_determinismE0ELb0ELb0ES3_N6thrust23THRUST_200600_302600_NS6detail15normal_iteratorINS9_10device_ptrIxEEEESE_x9plus_mod3IxExEEDaPvRmT3_T4_T5_mT6_P12ihipStream_tbENKUlT_T0_E_clISt17integral_constantIbLb1EEST_IbLb0EEEEDaSP_SQ_EUlSP_E0_NS1_11comp_targetILNS1_3genE8ELNS1_11target_archE1030ELNS1_3gpuE2ELNS1_3repE0EEENS1_30default_config_static_selectorELNS0_4arch9wavefront6targetE1EEEvT1_
		.amdhsa_group_segment_fixed_size 0
		.amdhsa_private_segment_fixed_size 0
		.amdhsa_kernarg_size 40
		.amdhsa_user_sgpr_count 6
		.amdhsa_user_sgpr_private_segment_buffer 1
		.amdhsa_user_sgpr_dispatch_ptr 0
		.amdhsa_user_sgpr_queue_ptr 0
		.amdhsa_user_sgpr_kernarg_segment_ptr 1
		.amdhsa_user_sgpr_dispatch_id 0
		.amdhsa_user_sgpr_flat_scratch_init 0
		.amdhsa_user_sgpr_kernarg_preload_length 0
		.amdhsa_user_sgpr_kernarg_preload_offset 0
		.amdhsa_user_sgpr_private_segment_size 0
		.amdhsa_uses_dynamic_stack 0
		.amdhsa_system_sgpr_private_segment_wavefront_offset 0
		.amdhsa_system_sgpr_workgroup_id_x 1
		.amdhsa_system_sgpr_workgroup_id_y 0
		.amdhsa_system_sgpr_workgroup_id_z 0
		.amdhsa_system_sgpr_workgroup_info 0
		.amdhsa_system_vgpr_workitem_id 0
		.amdhsa_next_free_vgpr 1
		.amdhsa_next_free_sgpr 0
		.amdhsa_accum_offset 4
		.amdhsa_reserve_vcc 0
		.amdhsa_reserve_flat_scratch 0
		.amdhsa_float_round_mode_32 0
		.amdhsa_float_round_mode_16_64 0
		.amdhsa_float_denorm_mode_32 3
		.amdhsa_float_denorm_mode_16_64 3
		.amdhsa_dx10_clamp 1
		.amdhsa_ieee_mode 1
		.amdhsa_fp16_overflow 0
		.amdhsa_tg_split 0
		.amdhsa_exception_fp_ieee_invalid_op 0
		.amdhsa_exception_fp_denorm_src 0
		.amdhsa_exception_fp_ieee_div_zero 0
		.amdhsa_exception_fp_ieee_overflow 0
		.amdhsa_exception_fp_ieee_underflow 0
		.amdhsa_exception_fp_ieee_inexact 0
		.amdhsa_exception_int_div_zero 0
	.end_amdhsa_kernel
	.section	.text._ZN7rocprim17ROCPRIM_400000_NS6detail17trampoline_kernelINS0_14default_configENS1_20scan_config_selectorIxEEZZNS1_9scan_implILNS1_25lookback_scan_determinismE0ELb0ELb0ES3_N6thrust23THRUST_200600_302600_NS6detail15normal_iteratorINS9_10device_ptrIxEEEESE_x9plus_mod3IxExEEDaPvRmT3_T4_T5_mT6_P12ihipStream_tbENKUlT_T0_E_clISt17integral_constantIbLb1EEST_IbLb0EEEEDaSP_SQ_EUlSP_E0_NS1_11comp_targetILNS1_3genE8ELNS1_11target_archE1030ELNS1_3gpuE2ELNS1_3repE0EEENS1_30default_config_static_selectorELNS0_4arch9wavefront6targetE1EEEvT1_,"axG",@progbits,_ZN7rocprim17ROCPRIM_400000_NS6detail17trampoline_kernelINS0_14default_configENS1_20scan_config_selectorIxEEZZNS1_9scan_implILNS1_25lookback_scan_determinismE0ELb0ELb0ES3_N6thrust23THRUST_200600_302600_NS6detail15normal_iteratorINS9_10device_ptrIxEEEESE_x9plus_mod3IxExEEDaPvRmT3_T4_T5_mT6_P12ihipStream_tbENKUlT_T0_E_clISt17integral_constantIbLb1EEST_IbLb0EEEEDaSP_SQ_EUlSP_E0_NS1_11comp_targetILNS1_3genE8ELNS1_11target_archE1030ELNS1_3gpuE2ELNS1_3repE0EEENS1_30default_config_static_selectorELNS0_4arch9wavefront6targetE1EEEvT1_,comdat
.Lfunc_end6587:
	.size	_ZN7rocprim17ROCPRIM_400000_NS6detail17trampoline_kernelINS0_14default_configENS1_20scan_config_selectorIxEEZZNS1_9scan_implILNS1_25lookback_scan_determinismE0ELb0ELb0ES3_N6thrust23THRUST_200600_302600_NS6detail15normal_iteratorINS9_10device_ptrIxEEEESE_x9plus_mod3IxExEEDaPvRmT3_T4_T5_mT6_P12ihipStream_tbENKUlT_T0_E_clISt17integral_constantIbLb1EEST_IbLb0EEEEDaSP_SQ_EUlSP_E0_NS1_11comp_targetILNS1_3genE8ELNS1_11target_archE1030ELNS1_3gpuE2ELNS1_3repE0EEENS1_30default_config_static_selectorELNS0_4arch9wavefront6targetE1EEEvT1_, .Lfunc_end6587-_ZN7rocprim17ROCPRIM_400000_NS6detail17trampoline_kernelINS0_14default_configENS1_20scan_config_selectorIxEEZZNS1_9scan_implILNS1_25lookback_scan_determinismE0ELb0ELb0ES3_N6thrust23THRUST_200600_302600_NS6detail15normal_iteratorINS9_10device_ptrIxEEEESE_x9plus_mod3IxExEEDaPvRmT3_T4_T5_mT6_P12ihipStream_tbENKUlT_T0_E_clISt17integral_constantIbLb1EEST_IbLb0EEEEDaSP_SQ_EUlSP_E0_NS1_11comp_targetILNS1_3genE8ELNS1_11target_archE1030ELNS1_3gpuE2ELNS1_3repE0EEENS1_30default_config_static_selectorELNS0_4arch9wavefront6targetE1EEEvT1_
                                        ; -- End function
	.section	.AMDGPU.csdata,"",@progbits
; Kernel info:
; codeLenInByte = 0
; NumSgprs: 4
; NumVgprs: 0
; NumAgprs: 0
; TotalNumVgprs: 0
; ScratchSize: 0
; MemoryBound: 0
; FloatMode: 240
; IeeeMode: 1
; LDSByteSize: 0 bytes/workgroup (compile time only)
; SGPRBlocks: 0
; VGPRBlocks: 0
; NumSGPRsForWavesPerEU: 4
; NumVGPRsForWavesPerEU: 1
; AccumOffset: 4
; Occupancy: 8
; WaveLimiterHint : 0
; COMPUTE_PGM_RSRC2:SCRATCH_EN: 0
; COMPUTE_PGM_RSRC2:USER_SGPR: 6
; COMPUTE_PGM_RSRC2:TRAP_HANDLER: 0
; COMPUTE_PGM_RSRC2:TGID_X_EN: 1
; COMPUTE_PGM_RSRC2:TGID_Y_EN: 0
; COMPUTE_PGM_RSRC2:TGID_Z_EN: 0
; COMPUTE_PGM_RSRC2:TIDIG_COMP_CNT: 0
; COMPUTE_PGM_RSRC3_GFX90A:ACCUM_OFFSET: 0
; COMPUTE_PGM_RSRC3_GFX90A:TG_SPLIT: 0
	.section	.text._ZN7rocprim17ROCPRIM_400000_NS6detail17trampoline_kernelINS0_14default_configENS1_20scan_config_selectorIxEEZZNS1_9scan_implILNS1_25lookback_scan_determinismE0ELb0ELb0ES3_N6thrust23THRUST_200600_302600_NS6detail15normal_iteratorINS9_10device_ptrIxEEEESE_x9plus_mod3IxExEEDaPvRmT3_T4_T5_mT6_P12ihipStream_tbENKUlT_T0_E_clISt17integral_constantIbLb0EEST_IbLb1EEEEDaSP_SQ_EUlSP_E_NS1_11comp_targetILNS1_3genE0ELNS1_11target_archE4294967295ELNS1_3gpuE0ELNS1_3repE0EEENS1_30default_config_static_selectorELNS0_4arch9wavefront6targetE1EEEvT1_,"axG",@progbits,_ZN7rocprim17ROCPRIM_400000_NS6detail17trampoline_kernelINS0_14default_configENS1_20scan_config_selectorIxEEZZNS1_9scan_implILNS1_25lookback_scan_determinismE0ELb0ELb0ES3_N6thrust23THRUST_200600_302600_NS6detail15normal_iteratorINS9_10device_ptrIxEEEESE_x9plus_mod3IxExEEDaPvRmT3_T4_T5_mT6_P12ihipStream_tbENKUlT_T0_E_clISt17integral_constantIbLb0EEST_IbLb1EEEEDaSP_SQ_EUlSP_E_NS1_11comp_targetILNS1_3genE0ELNS1_11target_archE4294967295ELNS1_3gpuE0ELNS1_3repE0EEENS1_30default_config_static_selectorELNS0_4arch9wavefront6targetE1EEEvT1_,comdat
	.protected	_ZN7rocprim17ROCPRIM_400000_NS6detail17trampoline_kernelINS0_14default_configENS1_20scan_config_selectorIxEEZZNS1_9scan_implILNS1_25lookback_scan_determinismE0ELb0ELb0ES3_N6thrust23THRUST_200600_302600_NS6detail15normal_iteratorINS9_10device_ptrIxEEEESE_x9plus_mod3IxExEEDaPvRmT3_T4_T5_mT6_P12ihipStream_tbENKUlT_T0_E_clISt17integral_constantIbLb0EEST_IbLb1EEEEDaSP_SQ_EUlSP_E_NS1_11comp_targetILNS1_3genE0ELNS1_11target_archE4294967295ELNS1_3gpuE0ELNS1_3repE0EEENS1_30default_config_static_selectorELNS0_4arch9wavefront6targetE1EEEvT1_ ; -- Begin function _ZN7rocprim17ROCPRIM_400000_NS6detail17trampoline_kernelINS0_14default_configENS1_20scan_config_selectorIxEEZZNS1_9scan_implILNS1_25lookback_scan_determinismE0ELb0ELb0ES3_N6thrust23THRUST_200600_302600_NS6detail15normal_iteratorINS9_10device_ptrIxEEEESE_x9plus_mod3IxExEEDaPvRmT3_T4_T5_mT6_P12ihipStream_tbENKUlT_T0_E_clISt17integral_constantIbLb0EEST_IbLb1EEEEDaSP_SQ_EUlSP_E_NS1_11comp_targetILNS1_3genE0ELNS1_11target_archE4294967295ELNS1_3gpuE0ELNS1_3repE0EEENS1_30default_config_static_selectorELNS0_4arch9wavefront6targetE1EEEvT1_
	.globl	_ZN7rocprim17ROCPRIM_400000_NS6detail17trampoline_kernelINS0_14default_configENS1_20scan_config_selectorIxEEZZNS1_9scan_implILNS1_25lookback_scan_determinismE0ELb0ELb0ES3_N6thrust23THRUST_200600_302600_NS6detail15normal_iteratorINS9_10device_ptrIxEEEESE_x9plus_mod3IxExEEDaPvRmT3_T4_T5_mT6_P12ihipStream_tbENKUlT_T0_E_clISt17integral_constantIbLb0EEST_IbLb1EEEEDaSP_SQ_EUlSP_E_NS1_11comp_targetILNS1_3genE0ELNS1_11target_archE4294967295ELNS1_3gpuE0ELNS1_3repE0EEENS1_30default_config_static_selectorELNS0_4arch9wavefront6targetE1EEEvT1_
	.p2align	8
	.type	_ZN7rocprim17ROCPRIM_400000_NS6detail17trampoline_kernelINS0_14default_configENS1_20scan_config_selectorIxEEZZNS1_9scan_implILNS1_25lookback_scan_determinismE0ELb0ELb0ES3_N6thrust23THRUST_200600_302600_NS6detail15normal_iteratorINS9_10device_ptrIxEEEESE_x9plus_mod3IxExEEDaPvRmT3_T4_T5_mT6_P12ihipStream_tbENKUlT_T0_E_clISt17integral_constantIbLb0EEST_IbLb1EEEEDaSP_SQ_EUlSP_E_NS1_11comp_targetILNS1_3genE0ELNS1_11target_archE4294967295ELNS1_3gpuE0ELNS1_3repE0EEENS1_30default_config_static_selectorELNS0_4arch9wavefront6targetE1EEEvT1_,@function
_ZN7rocprim17ROCPRIM_400000_NS6detail17trampoline_kernelINS0_14default_configENS1_20scan_config_selectorIxEEZZNS1_9scan_implILNS1_25lookback_scan_determinismE0ELb0ELb0ES3_N6thrust23THRUST_200600_302600_NS6detail15normal_iteratorINS9_10device_ptrIxEEEESE_x9plus_mod3IxExEEDaPvRmT3_T4_T5_mT6_P12ihipStream_tbENKUlT_T0_E_clISt17integral_constantIbLb0EEST_IbLb1EEEEDaSP_SQ_EUlSP_E_NS1_11comp_targetILNS1_3genE0ELNS1_11target_archE4294967295ELNS1_3gpuE0ELNS1_3repE0EEENS1_30default_config_static_selectorELNS0_4arch9wavefront6targetE1EEEvT1_: ; @_ZN7rocprim17ROCPRIM_400000_NS6detail17trampoline_kernelINS0_14default_configENS1_20scan_config_selectorIxEEZZNS1_9scan_implILNS1_25lookback_scan_determinismE0ELb0ELb0ES3_N6thrust23THRUST_200600_302600_NS6detail15normal_iteratorINS9_10device_ptrIxEEEESE_x9plus_mod3IxExEEDaPvRmT3_T4_T5_mT6_P12ihipStream_tbENKUlT_T0_E_clISt17integral_constantIbLb0EEST_IbLb1EEEEDaSP_SQ_EUlSP_E_NS1_11comp_targetILNS1_3genE0ELNS1_11target_archE4294967295ELNS1_3gpuE0ELNS1_3repE0EEENS1_30default_config_static_selectorELNS0_4arch9wavefront6targetE1EEEvT1_
; %bb.0:
	.section	.rodata,"a",@progbits
	.p2align	6, 0x0
	.amdhsa_kernel _ZN7rocprim17ROCPRIM_400000_NS6detail17trampoline_kernelINS0_14default_configENS1_20scan_config_selectorIxEEZZNS1_9scan_implILNS1_25lookback_scan_determinismE0ELb0ELb0ES3_N6thrust23THRUST_200600_302600_NS6detail15normal_iteratorINS9_10device_ptrIxEEEESE_x9plus_mod3IxExEEDaPvRmT3_T4_T5_mT6_P12ihipStream_tbENKUlT_T0_E_clISt17integral_constantIbLb0EEST_IbLb1EEEEDaSP_SQ_EUlSP_E_NS1_11comp_targetILNS1_3genE0ELNS1_11target_archE4294967295ELNS1_3gpuE0ELNS1_3repE0EEENS1_30default_config_static_selectorELNS0_4arch9wavefront6targetE1EEEvT1_
		.amdhsa_group_segment_fixed_size 0
		.amdhsa_private_segment_fixed_size 0
		.amdhsa_kernarg_size 104
		.amdhsa_user_sgpr_count 6
		.amdhsa_user_sgpr_private_segment_buffer 1
		.amdhsa_user_sgpr_dispatch_ptr 0
		.amdhsa_user_sgpr_queue_ptr 0
		.amdhsa_user_sgpr_kernarg_segment_ptr 1
		.amdhsa_user_sgpr_dispatch_id 0
		.amdhsa_user_sgpr_flat_scratch_init 0
		.amdhsa_user_sgpr_kernarg_preload_length 0
		.amdhsa_user_sgpr_kernarg_preload_offset 0
		.amdhsa_user_sgpr_private_segment_size 0
		.amdhsa_uses_dynamic_stack 0
		.amdhsa_system_sgpr_private_segment_wavefront_offset 0
		.amdhsa_system_sgpr_workgroup_id_x 1
		.amdhsa_system_sgpr_workgroup_id_y 0
		.amdhsa_system_sgpr_workgroup_id_z 0
		.amdhsa_system_sgpr_workgroup_info 0
		.amdhsa_system_vgpr_workitem_id 0
		.amdhsa_next_free_vgpr 1
		.amdhsa_next_free_sgpr 0
		.amdhsa_accum_offset 4
		.amdhsa_reserve_vcc 0
		.amdhsa_reserve_flat_scratch 0
		.amdhsa_float_round_mode_32 0
		.amdhsa_float_round_mode_16_64 0
		.amdhsa_float_denorm_mode_32 3
		.amdhsa_float_denorm_mode_16_64 3
		.amdhsa_dx10_clamp 1
		.amdhsa_ieee_mode 1
		.amdhsa_fp16_overflow 0
		.amdhsa_tg_split 0
		.amdhsa_exception_fp_ieee_invalid_op 0
		.amdhsa_exception_fp_denorm_src 0
		.amdhsa_exception_fp_ieee_div_zero 0
		.amdhsa_exception_fp_ieee_overflow 0
		.amdhsa_exception_fp_ieee_underflow 0
		.amdhsa_exception_fp_ieee_inexact 0
		.amdhsa_exception_int_div_zero 0
	.end_amdhsa_kernel
	.section	.text._ZN7rocprim17ROCPRIM_400000_NS6detail17trampoline_kernelINS0_14default_configENS1_20scan_config_selectorIxEEZZNS1_9scan_implILNS1_25lookback_scan_determinismE0ELb0ELb0ES3_N6thrust23THRUST_200600_302600_NS6detail15normal_iteratorINS9_10device_ptrIxEEEESE_x9plus_mod3IxExEEDaPvRmT3_T4_T5_mT6_P12ihipStream_tbENKUlT_T0_E_clISt17integral_constantIbLb0EEST_IbLb1EEEEDaSP_SQ_EUlSP_E_NS1_11comp_targetILNS1_3genE0ELNS1_11target_archE4294967295ELNS1_3gpuE0ELNS1_3repE0EEENS1_30default_config_static_selectorELNS0_4arch9wavefront6targetE1EEEvT1_,"axG",@progbits,_ZN7rocprim17ROCPRIM_400000_NS6detail17trampoline_kernelINS0_14default_configENS1_20scan_config_selectorIxEEZZNS1_9scan_implILNS1_25lookback_scan_determinismE0ELb0ELb0ES3_N6thrust23THRUST_200600_302600_NS6detail15normal_iteratorINS9_10device_ptrIxEEEESE_x9plus_mod3IxExEEDaPvRmT3_T4_T5_mT6_P12ihipStream_tbENKUlT_T0_E_clISt17integral_constantIbLb0EEST_IbLb1EEEEDaSP_SQ_EUlSP_E_NS1_11comp_targetILNS1_3genE0ELNS1_11target_archE4294967295ELNS1_3gpuE0ELNS1_3repE0EEENS1_30default_config_static_selectorELNS0_4arch9wavefront6targetE1EEEvT1_,comdat
.Lfunc_end6588:
	.size	_ZN7rocprim17ROCPRIM_400000_NS6detail17trampoline_kernelINS0_14default_configENS1_20scan_config_selectorIxEEZZNS1_9scan_implILNS1_25lookback_scan_determinismE0ELb0ELb0ES3_N6thrust23THRUST_200600_302600_NS6detail15normal_iteratorINS9_10device_ptrIxEEEESE_x9plus_mod3IxExEEDaPvRmT3_T4_T5_mT6_P12ihipStream_tbENKUlT_T0_E_clISt17integral_constantIbLb0EEST_IbLb1EEEEDaSP_SQ_EUlSP_E_NS1_11comp_targetILNS1_3genE0ELNS1_11target_archE4294967295ELNS1_3gpuE0ELNS1_3repE0EEENS1_30default_config_static_selectorELNS0_4arch9wavefront6targetE1EEEvT1_, .Lfunc_end6588-_ZN7rocprim17ROCPRIM_400000_NS6detail17trampoline_kernelINS0_14default_configENS1_20scan_config_selectorIxEEZZNS1_9scan_implILNS1_25lookback_scan_determinismE0ELb0ELb0ES3_N6thrust23THRUST_200600_302600_NS6detail15normal_iteratorINS9_10device_ptrIxEEEESE_x9plus_mod3IxExEEDaPvRmT3_T4_T5_mT6_P12ihipStream_tbENKUlT_T0_E_clISt17integral_constantIbLb0EEST_IbLb1EEEEDaSP_SQ_EUlSP_E_NS1_11comp_targetILNS1_3genE0ELNS1_11target_archE4294967295ELNS1_3gpuE0ELNS1_3repE0EEENS1_30default_config_static_selectorELNS0_4arch9wavefront6targetE1EEEvT1_
                                        ; -- End function
	.section	.AMDGPU.csdata,"",@progbits
; Kernel info:
; codeLenInByte = 0
; NumSgprs: 4
; NumVgprs: 0
; NumAgprs: 0
; TotalNumVgprs: 0
; ScratchSize: 0
; MemoryBound: 0
; FloatMode: 240
; IeeeMode: 1
; LDSByteSize: 0 bytes/workgroup (compile time only)
; SGPRBlocks: 0
; VGPRBlocks: 0
; NumSGPRsForWavesPerEU: 4
; NumVGPRsForWavesPerEU: 1
; AccumOffset: 4
; Occupancy: 8
; WaveLimiterHint : 0
; COMPUTE_PGM_RSRC2:SCRATCH_EN: 0
; COMPUTE_PGM_RSRC2:USER_SGPR: 6
; COMPUTE_PGM_RSRC2:TRAP_HANDLER: 0
; COMPUTE_PGM_RSRC2:TGID_X_EN: 1
; COMPUTE_PGM_RSRC2:TGID_Y_EN: 0
; COMPUTE_PGM_RSRC2:TGID_Z_EN: 0
; COMPUTE_PGM_RSRC2:TIDIG_COMP_CNT: 0
; COMPUTE_PGM_RSRC3_GFX90A:ACCUM_OFFSET: 0
; COMPUTE_PGM_RSRC3_GFX90A:TG_SPLIT: 0
	.section	.text._ZN7rocprim17ROCPRIM_400000_NS6detail17trampoline_kernelINS0_14default_configENS1_20scan_config_selectorIxEEZZNS1_9scan_implILNS1_25lookback_scan_determinismE0ELb0ELb0ES3_N6thrust23THRUST_200600_302600_NS6detail15normal_iteratorINS9_10device_ptrIxEEEESE_x9plus_mod3IxExEEDaPvRmT3_T4_T5_mT6_P12ihipStream_tbENKUlT_T0_E_clISt17integral_constantIbLb0EEST_IbLb1EEEEDaSP_SQ_EUlSP_E_NS1_11comp_targetILNS1_3genE5ELNS1_11target_archE942ELNS1_3gpuE9ELNS1_3repE0EEENS1_30default_config_static_selectorELNS0_4arch9wavefront6targetE1EEEvT1_,"axG",@progbits,_ZN7rocprim17ROCPRIM_400000_NS6detail17trampoline_kernelINS0_14default_configENS1_20scan_config_selectorIxEEZZNS1_9scan_implILNS1_25lookback_scan_determinismE0ELb0ELb0ES3_N6thrust23THRUST_200600_302600_NS6detail15normal_iteratorINS9_10device_ptrIxEEEESE_x9plus_mod3IxExEEDaPvRmT3_T4_T5_mT6_P12ihipStream_tbENKUlT_T0_E_clISt17integral_constantIbLb0EEST_IbLb1EEEEDaSP_SQ_EUlSP_E_NS1_11comp_targetILNS1_3genE5ELNS1_11target_archE942ELNS1_3gpuE9ELNS1_3repE0EEENS1_30default_config_static_selectorELNS0_4arch9wavefront6targetE1EEEvT1_,comdat
	.protected	_ZN7rocprim17ROCPRIM_400000_NS6detail17trampoline_kernelINS0_14default_configENS1_20scan_config_selectorIxEEZZNS1_9scan_implILNS1_25lookback_scan_determinismE0ELb0ELb0ES3_N6thrust23THRUST_200600_302600_NS6detail15normal_iteratorINS9_10device_ptrIxEEEESE_x9plus_mod3IxExEEDaPvRmT3_T4_T5_mT6_P12ihipStream_tbENKUlT_T0_E_clISt17integral_constantIbLb0EEST_IbLb1EEEEDaSP_SQ_EUlSP_E_NS1_11comp_targetILNS1_3genE5ELNS1_11target_archE942ELNS1_3gpuE9ELNS1_3repE0EEENS1_30default_config_static_selectorELNS0_4arch9wavefront6targetE1EEEvT1_ ; -- Begin function _ZN7rocprim17ROCPRIM_400000_NS6detail17trampoline_kernelINS0_14default_configENS1_20scan_config_selectorIxEEZZNS1_9scan_implILNS1_25lookback_scan_determinismE0ELb0ELb0ES3_N6thrust23THRUST_200600_302600_NS6detail15normal_iteratorINS9_10device_ptrIxEEEESE_x9plus_mod3IxExEEDaPvRmT3_T4_T5_mT6_P12ihipStream_tbENKUlT_T0_E_clISt17integral_constantIbLb0EEST_IbLb1EEEEDaSP_SQ_EUlSP_E_NS1_11comp_targetILNS1_3genE5ELNS1_11target_archE942ELNS1_3gpuE9ELNS1_3repE0EEENS1_30default_config_static_selectorELNS0_4arch9wavefront6targetE1EEEvT1_
	.globl	_ZN7rocprim17ROCPRIM_400000_NS6detail17trampoline_kernelINS0_14default_configENS1_20scan_config_selectorIxEEZZNS1_9scan_implILNS1_25lookback_scan_determinismE0ELb0ELb0ES3_N6thrust23THRUST_200600_302600_NS6detail15normal_iteratorINS9_10device_ptrIxEEEESE_x9plus_mod3IxExEEDaPvRmT3_T4_T5_mT6_P12ihipStream_tbENKUlT_T0_E_clISt17integral_constantIbLb0EEST_IbLb1EEEEDaSP_SQ_EUlSP_E_NS1_11comp_targetILNS1_3genE5ELNS1_11target_archE942ELNS1_3gpuE9ELNS1_3repE0EEENS1_30default_config_static_selectorELNS0_4arch9wavefront6targetE1EEEvT1_
	.p2align	8
	.type	_ZN7rocprim17ROCPRIM_400000_NS6detail17trampoline_kernelINS0_14default_configENS1_20scan_config_selectorIxEEZZNS1_9scan_implILNS1_25lookback_scan_determinismE0ELb0ELb0ES3_N6thrust23THRUST_200600_302600_NS6detail15normal_iteratorINS9_10device_ptrIxEEEESE_x9plus_mod3IxExEEDaPvRmT3_T4_T5_mT6_P12ihipStream_tbENKUlT_T0_E_clISt17integral_constantIbLb0EEST_IbLb1EEEEDaSP_SQ_EUlSP_E_NS1_11comp_targetILNS1_3genE5ELNS1_11target_archE942ELNS1_3gpuE9ELNS1_3repE0EEENS1_30default_config_static_selectorELNS0_4arch9wavefront6targetE1EEEvT1_,@function
_ZN7rocprim17ROCPRIM_400000_NS6detail17trampoline_kernelINS0_14default_configENS1_20scan_config_selectorIxEEZZNS1_9scan_implILNS1_25lookback_scan_determinismE0ELb0ELb0ES3_N6thrust23THRUST_200600_302600_NS6detail15normal_iteratorINS9_10device_ptrIxEEEESE_x9plus_mod3IxExEEDaPvRmT3_T4_T5_mT6_P12ihipStream_tbENKUlT_T0_E_clISt17integral_constantIbLb0EEST_IbLb1EEEEDaSP_SQ_EUlSP_E_NS1_11comp_targetILNS1_3genE5ELNS1_11target_archE942ELNS1_3gpuE9ELNS1_3repE0EEENS1_30default_config_static_selectorELNS0_4arch9wavefront6targetE1EEEvT1_: ; @_ZN7rocprim17ROCPRIM_400000_NS6detail17trampoline_kernelINS0_14default_configENS1_20scan_config_selectorIxEEZZNS1_9scan_implILNS1_25lookback_scan_determinismE0ELb0ELb0ES3_N6thrust23THRUST_200600_302600_NS6detail15normal_iteratorINS9_10device_ptrIxEEEESE_x9plus_mod3IxExEEDaPvRmT3_T4_T5_mT6_P12ihipStream_tbENKUlT_T0_E_clISt17integral_constantIbLb0EEST_IbLb1EEEEDaSP_SQ_EUlSP_E_NS1_11comp_targetILNS1_3genE5ELNS1_11target_archE942ELNS1_3gpuE9ELNS1_3repE0EEENS1_30default_config_static_selectorELNS0_4arch9wavefront6targetE1EEEvT1_
; %bb.0:
	.section	.rodata,"a",@progbits
	.p2align	6, 0x0
	.amdhsa_kernel _ZN7rocprim17ROCPRIM_400000_NS6detail17trampoline_kernelINS0_14default_configENS1_20scan_config_selectorIxEEZZNS1_9scan_implILNS1_25lookback_scan_determinismE0ELb0ELb0ES3_N6thrust23THRUST_200600_302600_NS6detail15normal_iteratorINS9_10device_ptrIxEEEESE_x9plus_mod3IxExEEDaPvRmT3_T4_T5_mT6_P12ihipStream_tbENKUlT_T0_E_clISt17integral_constantIbLb0EEST_IbLb1EEEEDaSP_SQ_EUlSP_E_NS1_11comp_targetILNS1_3genE5ELNS1_11target_archE942ELNS1_3gpuE9ELNS1_3repE0EEENS1_30default_config_static_selectorELNS0_4arch9wavefront6targetE1EEEvT1_
		.amdhsa_group_segment_fixed_size 0
		.amdhsa_private_segment_fixed_size 0
		.amdhsa_kernarg_size 104
		.amdhsa_user_sgpr_count 6
		.amdhsa_user_sgpr_private_segment_buffer 1
		.amdhsa_user_sgpr_dispatch_ptr 0
		.amdhsa_user_sgpr_queue_ptr 0
		.amdhsa_user_sgpr_kernarg_segment_ptr 1
		.amdhsa_user_sgpr_dispatch_id 0
		.amdhsa_user_sgpr_flat_scratch_init 0
		.amdhsa_user_sgpr_kernarg_preload_length 0
		.amdhsa_user_sgpr_kernarg_preload_offset 0
		.amdhsa_user_sgpr_private_segment_size 0
		.amdhsa_uses_dynamic_stack 0
		.amdhsa_system_sgpr_private_segment_wavefront_offset 0
		.amdhsa_system_sgpr_workgroup_id_x 1
		.amdhsa_system_sgpr_workgroup_id_y 0
		.amdhsa_system_sgpr_workgroup_id_z 0
		.amdhsa_system_sgpr_workgroup_info 0
		.amdhsa_system_vgpr_workitem_id 0
		.amdhsa_next_free_vgpr 1
		.amdhsa_next_free_sgpr 0
		.amdhsa_accum_offset 4
		.amdhsa_reserve_vcc 0
		.amdhsa_reserve_flat_scratch 0
		.amdhsa_float_round_mode_32 0
		.amdhsa_float_round_mode_16_64 0
		.amdhsa_float_denorm_mode_32 3
		.amdhsa_float_denorm_mode_16_64 3
		.amdhsa_dx10_clamp 1
		.amdhsa_ieee_mode 1
		.amdhsa_fp16_overflow 0
		.amdhsa_tg_split 0
		.amdhsa_exception_fp_ieee_invalid_op 0
		.amdhsa_exception_fp_denorm_src 0
		.amdhsa_exception_fp_ieee_div_zero 0
		.amdhsa_exception_fp_ieee_overflow 0
		.amdhsa_exception_fp_ieee_underflow 0
		.amdhsa_exception_fp_ieee_inexact 0
		.amdhsa_exception_int_div_zero 0
	.end_amdhsa_kernel
	.section	.text._ZN7rocprim17ROCPRIM_400000_NS6detail17trampoline_kernelINS0_14default_configENS1_20scan_config_selectorIxEEZZNS1_9scan_implILNS1_25lookback_scan_determinismE0ELb0ELb0ES3_N6thrust23THRUST_200600_302600_NS6detail15normal_iteratorINS9_10device_ptrIxEEEESE_x9plus_mod3IxExEEDaPvRmT3_T4_T5_mT6_P12ihipStream_tbENKUlT_T0_E_clISt17integral_constantIbLb0EEST_IbLb1EEEEDaSP_SQ_EUlSP_E_NS1_11comp_targetILNS1_3genE5ELNS1_11target_archE942ELNS1_3gpuE9ELNS1_3repE0EEENS1_30default_config_static_selectorELNS0_4arch9wavefront6targetE1EEEvT1_,"axG",@progbits,_ZN7rocprim17ROCPRIM_400000_NS6detail17trampoline_kernelINS0_14default_configENS1_20scan_config_selectorIxEEZZNS1_9scan_implILNS1_25lookback_scan_determinismE0ELb0ELb0ES3_N6thrust23THRUST_200600_302600_NS6detail15normal_iteratorINS9_10device_ptrIxEEEESE_x9plus_mod3IxExEEDaPvRmT3_T4_T5_mT6_P12ihipStream_tbENKUlT_T0_E_clISt17integral_constantIbLb0EEST_IbLb1EEEEDaSP_SQ_EUlSP_E_NS1_11comp_targetILNS1_3genE5ELNS1_11target_archE942ELNS1_3gpuE9ELNS1_3repE0EEENS1_30default_config_static_selectorELNS0_4arch9wavefront6targetE1EEEvT1_,comdat
.Lfunc_end6589:
	.size	_ZN7rocprim17ROCPRIM_400000_NS6detail17trampoline_kernelINS0_14default_configENS1_20scan_config_selectorIxEEZZNS1_9scan_implILNS1_25lookback_scan_determinismE0ELb0ELb0ES3_N6thrust23THRUST_200600_302600_NS6detail15normal_iteratorINS9_10device_ptrIxEEEESE_x9plus_mod3IxExEEDaPvRmT3_T4_T5_mT6_P12ihipStream_tbENKUlT_T0_E_clISt17integral_constantIbLb0EEST_IbLb1EEEEDaSP_SQ_EUlSP_E_NS1_11comp_targetILNS1_3genE5ELNS1_11target_archE942ELNS1_3gpuE9ELNS1_3repE0EEENS1_30default_config_static_selectorELNS0_4arch9wavefront6targetE1EEEvT1_, .Lfunc_end6589-_ZN7rocprim17ROCPRIM_400000_NS6detail17trampoline_kernelINS0_14default_configENS1_20scan_config_selectorIxEEZZNS1_9scan_implILNS1_25lookback_scan_determinismE0ELb0ELb0ES3_N6thrust23THRUST_200600_302600_NS6detail15normal_iteratorINS9_10device_ptrIxEEEESE_x9plus_mod3IxExEEDaPvRmT3_T4_T5_mT6_P12ihipStream_tbENKUlT_T0_E_clISt17integral_constantIbLb0EEST_IbLb1EEEEDaSP_SQ_EUlSP_E_NS1_11comp_targetILNS1_3genE5ELNS1_11target_archE942ELNS1_3gpuE9ELNS1_3repE0EEENS1_30default_config_static_selectorELNS0_4arch9wavefront6targetE1EEEvT1_
                                        ; -- End function
	.section	.AMDGPU.csdata,"",@progbits
; Kernel info:
; codeLenInByte = 0
; NumSgprs: 4
; NumVgprs: 0
; NumAgprs: 0
; TotalNumVgprs: 0
; ScratchSize: 0
; MemoryBound: 0
; FloatMode: 240
; IeeeMode: 1
; LDSByteSize: 0 bytes/workgroup (compile time only)
; SGPRBlocks: 0
; VGPRBlocks: 0
; NumSGPRsForWavesPerEU: 4
; NumVGPRsForWavesPerEU: 1
; AccumOffset: 4
; Occupancy: 8
; WaveLimiterHint : 0
; COMPUTE_PGM_RSRC2:SCRATCH_EN: 0
; COMPUTE_PGM_RSRC2:USER_SGPR: 6
; COMPUTE_PGM_RSRC2:TRAP_HANDLER: 0
; COMPUTE_PGM_RSRC2:TGID_X_EN: 1
; COMPUTE_PGM_RSRC2:TGID_Y_EN: 0
; COMPUTE_PGM_RSRC2:TGID_Z_EN: 0
; COMPUTE_PGM_RSRC2:TIDIG_COMP_CNT: 0
; COMPUTE_PGM_RSRC3_GFX90A:ACCUM_OFFSET: 0
; COMPUTE_PGM_RSRC3_GFX90A:TG_SPLIT: 0
	.section	.text._ZN7rocprim17ROCPRIM_400000_NS6detail17trampoline_kernelINS0_14default_configENS1_20scan_config_selectorIxEEZZNS1_9scan_implILNS1_25lookback_scan_determinismE0ELb0ELb0ES3_N6thrust23THRUST_200600_302600_NS6detail15normal_iteratorINS9_10device_ptrIxEEEESE_x9plus_mod3IxExEEDaPvRmT3_T4_T5_mT6_P12ihipStream_tbENKUlT_T0_E_clISt17integral_constantIbLb0EEST_IbLb1EEEEDaSP_SQ_EUlSP_E_NS1_11comp_targetILNS1_3genE4ELNS1_11target_archE910ELNS1_3gpuE8ELNS1_3repE0EEENS1_30default_config_static_selectorELNS0_4arch9wavefront6targetE1EEEvT1_,"axG",@progbits,_ZN7rocprim17ROCPRIM_400000_NS6detail17trampoline_kernelINS0_14default_configENS1_20scan_config_selectorIxEEZZNS1_9scan_implILNS1_25lookback_scan_determinismE0ELb0ELb0ES3_N6thrust23THRUST_200600_302600_NS6detail15normal_iteratorINS9_10device_ptrIxEEEESE_x9plus_mod3IxExEEDaPvRmT3_T4_T5_mT6_P12ihipStream_tbENKUlT_T0_E_clISt17integral_constantIbLb0EEST_IbLb1EEEEDaSP_SQ_EUlSP_E_NS1_11comp_targetILNS1_3genE4ELNS1_11target_archE910ELNS1_3gpuE8ELNS1_3repE0EEENS1_30default_config_static_selectorELNS0_4arch9wavefront6targetE1EEEvT1_,comdat
	.protected	_ZN7rocprim17ROCPRIM_400000_NS6detail17trampoline_kernelINS0_14default_configENS1_20scan_config_selectorIxEEZZNS1_9scan_implILNS1_25lookback_scan_determinismE0ELb0ELb0ES3_N6thrust23THRUST_200600_302600_NS6detail15normal_iteratorINS9_10device_ptrIxEEEESE_x9plus_mod3IxExEEDaPvRmT3_T4_T5_mT6_P12ihipStream_tbENKUlT_T0_E_clISt17integral_constantIbLb0EEST_IbLb1EEEEDaSP_SQ_EUlSP_E_NS1_11comp_targetILNS1_3genE4ELNS1_11target_archE910ELNS1_3gpuE8ELNS1_3repE0EEENS1_30default_config_static_selectorELNS0_4arch9wavefront6targetE1EEEvT1_ ; -- Begin function _ZN7rocprim17ROCPRIM_400000_NS6detail17trampoline_kernelINS0_14default_configENS1_20scan_config_selectorIxEEZZNS1_9scan_implILNS1_25lookback_scan_determinismE0ELb0ELb0ES3_N6thrust23THRUST_200600_302600_NS6detail15normal_iteratorINS9_10device_ptrIxEEEESE_x9plus_mod3IxExEEDaPvRmT3_T4_T5_mT6_P12ihipStream_tbENKUlT_T0_E_clISt17integral_constantIbLb0EEST_IbLb1EEEEDaSP_SQ_EUlSP_E_NS1_11comp_targetILNS1_3genE4ELNS1_11target_archE910ELNS1_3gpuE8ELNS1_3repE0EEENS1_30default_config_static_selectorELNS0_4arch9wavefront6targetE1EEEvT1_
	.globl	_ZN7rocprim17ROCPRIM_400000_NS6detail17trampoline_kernelINS0_14default_configENS1_20scan_config_selectorIxEEZZNS1_9scan_implILNS1_25lookback_scan_determinismE0ELb0ELb0ES3_N6thrust23THRUST_200600_302600_NS6detail15normal_iteratorINS9_10device_ptrIxEEEESE_x9plus_mod3IxExEEDaPvRmT3_T4_T5_mT6_P12ihipStream_tbENKUlT_T0_E_clISt17integral_constantIbLb0EEST_IbLb1EEEEDaSP_SQ_EUlSP_E_NS1_11comp_targetILNS1_3genE4ELNS1_11target_archE910ELNS1_3gpuE8ELNS1_3repE0EEENS1_30default_config_static_selectorELNS0_4arch9wavefront6targetE1EEEvT1_
	.p2align	8
	.type	_ZN7rocprim17ROCPRIM_400000_NS6detail17trampoline_kernelINS0_14default_configENS1_20scan_config_selectorIxEEZZNS1_9scan_implILNS1_25lookback_scan_determinismE0ELb0ELb0ES3_N6thrust23THRUST_200600_302600_NS6detail15normal_iteratorINS9_10device_ptrIxEEEESE_x9plus_mod3IxExEEDaPvRmT3_T4_T5_mT6_P12ihipStream_tbENKUlT_T0_E_clISt17integral_constantIbLb0EEST_IbLb1EEEEDaSP_SQ_EUlSP_E_NS1_11comp_targetILNS1_3genE4ELNS1_11target_archE910ELNS1_3gpuE8ELNS1_3repE0EEENS1_30default_config_static_selectorELNS0_4arch9wavefront6targetE1EEEvT1_,@function
_ZN7rocprim17ROCPRIM_400000_NS6detail17trampoline_kernelINS0_14default_configENS1_20scan_config_selectorIxEEZZNS1_9scan_implILNS1_25lookback_scan_determinismE0ELb0ELb0ES3_N6thrust23THRUST_200600_302600_NS6detail15normal_iteratorINS9_10device_ptrIxEEEESE_x9plus_mod3IxExEEDaPvRmT3_T4_T5_mT6_P12ihipStream_tbENKUlT_T0_E_clISt17integral_constantIbLb0EEST_IbLb1EEEEDaSP_SQ_EUlSP_E_NS1_11comp_targetILNS1_3genE4ELNS1_11target_archE910ELNS1_3gpuE8ELNS1_3repE0EEENS1_30default_config_static_selectorELNS0_4arch9wavefront6targetE1EEEvT1_: ; @_ZN7rocprim17ROCPRIM_400000_NS6detail17trampoline_kernelINS0_14default_configENS1_20scan_config_selectorIxEEZZNS1_9scan_implILNS1_25lookback_scan_determinismE0ELb0ELb0ES3_N6thrust23THRUST_200600_302600_NS6detail15normal_iteratorINS9_10device_ptrIxEEEESE_x9plus_mod3IxExEEDaPvRmT3_T4_T5_mT6_P12ihipStream_tbENKUlT_T0_E_clISt17integral_constantIbLb0EEST_IbLb1EEEEDaSP_SQ_EUlSP_E_NS1_11comp_targetILNS1_3genE4ELNS1_11target_archE910ELNS1_3gpuE8ELNS1_3repE0EEENS1_30default_config_static_selectorELNS0_4arch9wavefront6targetE1EEEvT1_
; %bb.0:
	v_cmp_ne_u32_e64 s[0:1], 0, v0
	v_cmp_eq_u32_e64 s[2:3], 0, v0
	s_and_saveexec_b64 s[6:7], s[2:3]
	s_cbranch_execz .LBB6590_4
; %bb.1:
	s_mov_b64 s[10:11], exec
	v_mbcnt_lo_u32_b32 v1, s10, 0
	v_mbcnt_hi_u32_b32 v1, s11, v1
	v_cmp_eq_u32_e32 vcc, 0, v1
                                        ; implicit-def: $vgpr2
	s_and_saveexec_b64 s[8:9], vcc
	s_cbranch_execz .LBB6590_3
; %bb.2:
	s_load_dwordx2 s[12:13], s[4:5], 0x60
	s_bcnt1_i32_b64 s10, s[10:11]
	v_mov_b32_e32 v2, 0
	v_mov_b32_e32 v3, s10
	s_waitcnt lgkmcnt(0)
	global_atomic_add v2, v2, v3, s[12:13] glc
.LBB6590_3:
	s_or_b64 exec, exec, s[8:9]
	s_waitcnt vmcnt(0)
	v_readfirstlane_b32 s8, v2
	v_add_u32_e32 v1, s8, v1
	v_mov_b32_e32 v2, 0
	ds_write_b32 v2, v1
.LBB6590_4:
	s_or_b64 exec, exec, s[6:7]
	s_load_dwordx8 s[16:23], s[4:5], 0x0
	s_load_dwordx4 s[24:27], s[4:5], 0x28
	s_load_dword s28, s[4:5], 0x38
	s_load_dwordx8 s[8:15], s[4:5], 0x40
	v_mov_b32_e32 v1, 0
	s_waitcnt lgkmcnt(0)
	s_barrier
	ds_read_b32 v1, v1
	s_lshl_b64 s[6:7], s[18:19], 3
	s_add_u32 s29, s16, s6
	s_addc_u32 s30, s17, s7
	s_add_i32 s16, s28, -1
	s_mul_i32 s17, s16, 0x380
	s_sub_u32 s33, s22, s17
	s_waitcnt lgkmcnt(0)
	v_readfirstlane_b32 s41, v1
	s_subb_u32 s40, s23, 0
	s_mul_i32 s4, s41, 0x380
	s_mov_b32 s5, 0
	s_cmp_lg_u32 s41, s16
	s_cselect_b64 s[16:17], -1, 0
	s_lshl_b64 s[18:19], s[4:5], 3
	s_add_u32 s22, s29, s18
	s_addc_u32 s23, s30, s19
	s_mov_b64 s[4:5], -1
	s_and_b64 vcc, exec, s[16:17]
	v_lshlrev_b32_e32 v34, 3, v0
	s_barrier
	s_cbranch_vccz .LBB6590_6
; %bb.5:
	v_mov_b32_e32 v1, s23
	v_add_co_u32_e32 v2, vcc, s22, v34
	v_addc_co_u32_e32 v3, vcc, 0, v1, vcc
	flat_load_dwordx2 v[4:5], v[2:3]
	flat_load_dwordx2 v[6:7], v[2:3] offset:1024
	flat_load_dwordx2 v[8:9], v[2:3] offset:2048
	;; [unrolled: 1-line block ×3, first 2 shown]
	v_add_co_u32_e32 v2, vcc, 0x1000, v2
	v_addc_co_u32_e32 v3, vcc, 0, v3, vcc
	flat_load_dwordx2 v[12:13], v[2:3]
	flat_load_dwordx2 v[14:15], v[2:3] offset:1024
	flat_load_dwordx2 v[16:17], v[2:3] offset:2048
	s_mov_b64 s[4:5], 0
	s_waitcnt vmcnt(0) lgkmcnt(0)
	ds_write2st64_b64 v34, v[4:5], v[6:7] offset1:2
	ds_write2st64_b64 v34, v[8:9], v[10:11] offset0:4 offset1:6
	ds_write2st64_b64 v34, v[12:13], v[14:15] offset0:8 offset1:10
	ds_write_b64 v34, v[16:17] offset:6144
	s_waitcnt lgkmcnt(0)
	s_barrier
.LBB6590_6:
	s_andn2_b64 vcc, exec, s[4:5]
	v_cmp_gt_u32_e64 s[4:5], s33, v0
	s_cbranch_vccnz .LBB6590_22
; %bb.7:
	v_pk_mov_b32 v[2:3], s[22:23], s[22:23] op_sel:[0,1]
	flat_load_dwordx2 v[2:3], v[2:3]
	s_waitcnt vmcnt(0) lgkmcnt(0)
	v_mov_b32_e32 v4, v2
	v_mov_b32_e32 v5, v3
	;; [unrolled: 1-line block ×10, first 2 shown]
	v_pk_mov_b32 v[18:19], v[14:15], v[14:15] op_sel:[0,1]
	v_pk_mov_b32 v[16:17], v[12:13], v[12:13] op_sel:[0,1]
	v_pk_mov_b32 v[14:15], v[10:11], v[10:11] op_sel:[0,1]
	v_pk_mov_b32 v[12:13], v[8:9], v[8:9] op_sel:[0,1]
	v_pk_mov_b32 v[10:11], v[6:7], v[6:7] op_sel:[0,1]
	v_pk_mov_b32 v[8:9], v[4:5], v[4:5] op_sel:[0,1]
	v_pk_mov_b32 v[6:7], v[2:3], v[2:3] op_sel:[0,1]
	v_pk_mov_b32 v[4:5], v[0:1], v[0:1] op_sel:[0,1]
	s_and_saveexec_b64 s[28:29], s[4:5]
	s_cbranch_execz .LBB6590_9
; %bb.8:
	v_mov_b32_e32 v1, s23
	v_add_co_u32_e32 v4, vcc, s22, v34
	v_addc_co_u32_e32 v5, vcc, 0, v1, vcc
	flat_load_dwordx2 v[20:21], v[4:5]
	v_mov_b32_e32 v4, v2
	v_mov_b32_e32 v5, v3
	;; [unrolled: 1-line block ×10, first 2 shown]
	v_pk_mov_b32 v[18:19], v[14:15], v[14:15] op_sel:[0,1]
	v_pk_mov_b32 v[16:17], v[12:13], v[12:13] op_sel:[0,1]
	;; [unrolled: 1-line block ×8, first 2 shown]
	s_waitcnt vmcnt(0) lgkmcnt(0)
	v_pk_mov_b32 v[2:3], v[20:21], v[20:21] op_sel:[0,1]
.LBB6590_9:
	s_or_b64 exec, exec, s[28:29]
	v_or_b32_e32 v1, 0x80, v0
	v_cmp_gt_u32_e32 vcc, s33, v1
	s_and_saveexec_b64 s[4:5], vcc
	s_cbranch_execz .LBB6590_11
; %bb.10:
	v_mov_b32_e32 v1, s23
	v_add_co_u32_e32 v4, vcc, s22, v34
	v_addc_co_u32_e32 v5, vcc, 0, v1, vcc
	flat_load_dwordx2 v[6:7], v[4:5] offset:1024
.LBB6590_11:
	s_or_b64 exec, exec, s[4:5]
	v_or_b32_e32 v1, 0x100, v0
	v_cmp_gt_u32_e32 vcc, s33, v1
	s_and_saveexec_b64 s[4:5], vcc
	s_cbranch_execz .LBB6590_13
; %bb.12:
	v_mov_b32_e32 v1, s23
	v_add_co_u32_e32 v4, vcc, s22, v34
	v_addc_co_u32_e32 v5, vcc, 0, v1, vcc
	flat_load_dwordx2 v[8:9], v[4:5] offset:2048
.LBB6590_13:
	;; [unrolled: 11-line block ×3, first 2 shown]
	s_or_b64 exec, exec, s[4:5]
	v_or_b32_e32 v1, 0x200, v0
	v_cmp_gt_u32_e32 vcc, s33, v1
	s_and_saveexec_b64 s[4:5], vcc
	s_cbranch_execz .LBB6590_17
; %bb.16:
	v_lshlrev_b32_e32 v1, 3, v1
	v_mov_b32_e32 v5, s23
	v_add_co_u32_e32 v4, vcc, s22, v1
	v_addc_co_u32_e32 v5, vcc, 0, v5, vcc
	flat_load_dwordx2 v[12:13], v[4:5]
.LBB6590_17:
	s_or_b64 exec, exec, s[4:5]
	v_or_b32_e32 v1, 0x280, v0
	v_cmp_gt_u32_e32 vcc, s33, v1
	s_and_saveexec_b64 s[4:5], vcc
	s_cbranch_execz .LBB6590_19
; %bb.18:
	v_lshlrev_b32_e32 v1, 3, v1
	v_mov_b32_e32 v5, s23
	v_add_co_u32_e32 v4, vcc, s22, v1
	v_addc_co_u32_e32 v5, vcc, 0, v5, vcc
	flat_load_dwordx2 v[14:15], v[4:5]
.LBB6590_19:
	;; [unrolled: 12-line block ×3, first 2 shown]
	s_or_b64 exec, exec, s[4:5]
	s_waitcnt vmcnt(0) lgkmcnt(0)
	ds_write2st64_b64 v34, v[2:3], v[6:7] offset1:2
	ds_write2st64_b64 v34, v[8:9], v[10:11] offset0:4 offset1:6
	ds_write2st64_b64 v34, v[12:13], v[14:15] offset0:8 offset1:10
	ds_write_b64 v34, v[16:17] offset:6144
	s_waitcnt lgkmcnt(0)
	s_barrier
.LBB6590_22:
	v_mul_u32_u24_e32 v35, 7, v0
	v_lshlrev_b32_e32 v1, 3, v35
	ds_read2_b64 v[2:5], v1 offset1:1
	ds_read2_b64 v[10:13], v1 offset0:2 offset1:3
	ds_read2_b64 v[6:9], v1 offset0:4 offset1:5
	ds_read_b64 v[26:27], v1 offset:48
	s_cmp_lg_u32 s41, 0
	v_lshrrev_b32_e32 v1, 5, v0
	v_cmp_gt_u32_e32 vcc, 64, v0
	s_waitcnt lgkmcnt(0)
	s_barrier
	s_cbranch_scc0 .LBB6590_88
; %bb.23:
	v_add_u32_e32 v19, v4, v2
	v_mov_b32_e32 v18, 0
	v_ashrrev_i64 v[14:15], 29, v[18:19]
	v_mov_b32_e32 v5, s25
	v_add_co_u32_e64 v14, s[4:5], s24, v14
	v_addc_co_u32_e64 v15, s[4:5], v5, v15, s[4:5]
	global_load_dword v5, v[14:15], off
	v_mov_b32_e32 v7, s25
	s_waitcnt vmcnt(0)
	v_add_u32_e32 v19, v5, v10
	v_ashrrev_i64 v[14:15], 29, v[18:19]
	v_add_co_u32_e64 v14, s[4:5], s24, v14
	v_addc_co_u32_e64 v15, s[4:5], v7, v15, s[4:5]
	global_load_dword v5, v[14:15], off
	s_waitcnt vmcnt(0)
	v_add_u32_e32 v19, v5, v12
	v_ashrrev_i64 v[14:15], 29, v[18:19]
	v_add_co_u32_e64 v14, s[4:5], s24, v14
	v_addc_co_u32_e64 v15, s[4:5], v7, v15, s[4:5]
	global_load_dword v5, v[14:15], off
	s_waitcnt vmcnt(0)
	v_add_u32_e32 v19, v5, v6
	v_ashrrev_i64 v[14:15], 29, v[18:19]
	v_add_co_u32_e64 v14, s[4:5], s24, v14
	v_addc_co_u32_e64 v15, s[4:5], v7, v15, s[4:5]
	global_load_dword v5, v[14:15], off
	s_waitcnt vmcnt(0)
	v_add_u32_e32 v19, v5, v8
	v_ashrrev_i64 v[14:15], 29, v[18:19]
	v_add_co_u32_e64 v14, s[4:5], s24, v14
	v_addc_co_u32_e64 v15, s[4:5], v7, v15, s[4:5]
	global_load_dword v5, v[14:15], off
	s_waitcnt vmcnt(0)
	v_add_u32_e32 v19, v5, v26
	v_ashrrev_i64 v[14:15], 29, v[18:19]
	v_add_co_u32_e64 v14, s[4:5], s24, v14
	v_addc_co_u32_e64 v15, s[4:5], v7, v15, s[4:5]
	global_load_dwordx2 v[22:23], v[14:15], off
	v_add_lshl_u32 v5, v1, v0, 3
	s_waitcnt vmcnt(0)
	ds_write_b64 v5, v[22:23]
	s_waitcnt lgkmcnt(0)
	s_barrier
	s_and_saveexec_b64 s[22:23], vcc
	s_cbranch_execz .LBB6590_37
; %bb.24:
	v_lshlrev_b32_e32 v5, 1, v0
	v_lshrrev_b32_e32 v7, 4, v0
	v_add_lshl_u32 v5, v7, v5, 3
	ds_read2_b64 v[14:17], v5 offset1:1
	v_mov_b32_e32 v7, s25
	s_waitcnt lgkmcnt(0)
	v_add_u32_e32 v19, v16, v14
	v_ashrrev_i64 v[16:17], 29, v[18:19]
	v_add_co_u32_e64 v16, s[4:5], s24, v16
	v_addc_co_u32_e64 v17, s[4:5], v7, v17, s[4:5]
	global_load_dwordx2 v[16:17], v[16:17], off
	v_mbcnt_lo_u32_b32 v7, -1, 0
	v_mbcnt_hi_u32_b32 v7, -1, v7
	v_and_b32_e32 v9, 15, v7
	v_cmp_ne_u32_e64 s[4:5], 0, v9
	s_waitcnt vmcnt(0)
	v_mov_b32_dpp v11, v16 row_shr:1 row_mask:0xf bank_mask:0xf
	s_and_saveexec_b64 s[28:29], s[4:5]
	s_cbranch_execz .LBB6590_26
; %bb.25:
	v_add_u32_e32 v17, v16, v11
	v_mov_b32_e32 v16, 0
	v_ashrrev_i64 v[16:17], 29, v[16:17]
	v_mov_b32_e32 v11, s25
	v_add_co_u32_e64 v16, s[4:5], s24, v16
	v_addc_co_u32_e64 v17, s[4:5], v11, v17, s[4:5]
	global_load_dwordx2 v[16:17], v[16:17], off
.LBB6590_26:
	s_or_b64 exec, exec, s[28:29]
	s_waitcnt vmcnt(0)
	v_mov_b32_dpp v11, v16 row_shr:2 row_mask:0xf bank_mask:0xf
	v_cmp_lt_u32_e64 s[4:5], 1, v9
	s_and_saveexec_b64 s[28:29], s[4:5]
	s_cbranch_execz .LBB6590_28
; %bb.27:
	v_add_u32_e32 v17, v16, v11
	v_mov_b32_e32 v16, 0
	v_ashrrev_i64 v[16:17], 29, v[16:17]
	v_mov_b32_e32 v11, s25
	v_add_co_u32_e64 v16, s[4:5], s24, v16
	v_addc_co_u32_e64 v17, s[4:5], v11, v17, s[4:5]
	global_load_dwordx2 v[16:17], v[16:17], off
.LBB6590_28:
	s_or_b64 exec, exec, s[28:29]
	s_waitcnt vmcnt(0)
	v_mov_b32_dpp v11, v16 row_shr:4 row_mask:0xf bank_mask:0xf
	v_cmp_lt_u32_e64 s[4:5], 3, v9
	;; [unrolled: 15-line block ×3, first 2 shown]
	s_and_saveexec_b64 s[28:29], s[4:5]
	s_cbranch_execz .LBB6590_32
; %bb.31:
	v_add_u32_e32 v17, v16, v11
	v_mov_b32_e32 v16, 0
	v_ashrrev_i64 v[16:17], 29, v[16:17]
	v_mov_b32_e32 v9, s25
	v_add_co_u32_e64 v16, s[4:5], s24, v16
	v_addc_co_u32_e64 v17, s[4:5], v9, v17, s[4:5]
	global_load_dwordx2 v[16:17], v[16:17], off
.LBB6590_32:
	s_or_b64 exec, exec, s[28:29]
	v_and_b32_e32 v11, 16, v7
	s_waitcnt vmcnt(0)
	v_mov_b32_dpp v9, v16 row_bcast:15 row_mask:0xf bank_mask:0xf
	v_cmp_ne_u32_e64 s[4:5], 0, v11
	s_and_saveexec_b64 s[28:29], s[4:5]
	s_cbranch_execz .LBB6590_34
; %bb.33:
	v_add_u32_e32 v17, v16, v9
	v_mov_b32_e32 v16, 0
	v_ashrrev_i64 v[16:17], 29, v[16:17]
	v_mov_b32_e32 v9, s25
	v_add_co_u32_e64 v16, s[4:5], s24, v16
	v_addc_co_u32_e64 v17, s[4:5], v9, v17, s[4:5]
	global_load_dwordx2 v[16:17], v[16:17], off
.LBB6590_34:
	s_or_b64 exec, exec, s[28:29]
	s_waitcnt vmcnt(0)
	v_mov_b32_dpp v9, v16 row_bcast:31 row_mask:0xf bank_mask:0xf
	v_cmp_lt_u32_e64 s[4:5], 31, v7
	s_and_saveexec_b64 s[28:29], s[4:5]
	s_cbranch_execz .LBB6590_36
; %bb.35:
	v_add_u32_e32 v17, v16, v9
	v_mov_b32_e32 v16, 0
	v_ashrrev_i64 v[16:17], 29, v[16:17]
	v_mov_b32_e32 v9, s25
	v_add_co_u32_e64 v16, s[4:5], s24, v16
	v_addc_co_u32_e64 v17, s[4:5], v9, v17, s[4:5]
	global_load_dword v16, v[16:17], off
.LBB6590_36:
	s_or_b64 exec, exec, s[28:29]
	v_add_u32_e32 v9, -1, v7
	v_and_b32_e32 v11, 64, v7
	v_cmp_lt_i32_e64 s[4:5], v9, v11
	v_cndmask_b32_e64 v7, v9, v7, s[4:5]
	v_lshlrev_b32_e32 v7, 2, v7
	s_waitcnt vmcnt(0)
	ds_bpermute_b32 v7, v7, v16
	v_mov_b32_e32 v16, 0
	v_mov_b32_e32 v9, s25
	s_waitcnt lgkmcnt(0)
	v_add_u32_e32 v17, v14, v7
	v_ashrrev_i64 v[14:15], 29, v[16:17]
	v_add_co_u32_e64 v14, s[4:5], s24, v14
	v_addc_co_u32_e64 v15, s[4:5], v9, v15, s[4:5]
	global_load_dwordx2 v[14:15], v[14:15], off
	; wave barrier
	s_waitcnt vmcnt(0)
	v_cndmask_b32_e64 v15, v15, v23, s[2:3]
	v_cndmask_b32_e64 v14, v14, v22, s[2:3]
	ds_write_b64 v5, v[14:15]
	; wave barrier
	ds_read_b32 v7, v5 offset:8
	s_waitcnt lgkmcnt(0)
	v_add_u32_e32 v17, v7, v14
	v_ashrrev_i64 v[14:15], 29, v[16:17]
	v_add_co_u32_e64 v14, s[4:5], s24, v14
	v_addc_co_u32_e64 v15, s[4:5], v9, v15, s[4:5]
	global_load_dwordx2 v[14:15], v[14:15], off
	s_waitcnt vmcnt(0)
	ds_write_b64 v5, v[14:15] offset:8
.LBB6590_37:
	s_or_b64 exec, exec, s[22:23]
	s_waitcnt lgkmcnt(0)
	s_barrier
	s_and_saveexec_b64 s[4:5], s[0:1]
	s_cbranch_execz .LBB6590_39
; %bb.38:
	v_add_u32_e32 v5, -1, v0
	v_lshrrev_b32_e32 v7, 5, v5
	v_add_lshl_u32 v5, v7, v5, 3
	ds_read_b64 v[22:23], v5
.LBB6590_39:
	s_or_b64 exec, exec, s[4:5]
	s_and_saveexec_b64 s[22:23], vcc
	s_cbranch_execz .LBB6590_85
; %bb.40:
	v_mov_b32_e32 v17, 0
	ds_read_b64 v[14:15], v17 offset:1040
	v_mbcnt_lo_u32_b32 v5, -1, 0
	v_mbcnt_hi_u32_b32 v25, -1, v5
	s_mov_b32 s31, 0
	v_cmp_eq_u32_e64 s[4:5], 0, v25
	s_and_saveexec_b64 s[28:29], s[4:5]
	s_cbranch_execz .LBB6590_42
; %bb.41:
	s_add_i32 s30, s41, 64
	s_lshl_b64 s[30:31], s[30:31], 4
	s_add_u32 s30, s26, s30
	s_addc_u32 s31, s27, s31
	v_mov_b32_e32 v16, 1
	v_pk_mov_b32 v[18:19], s[30:31], s[30:31] op_sel:[0,1]
	s_waitcnt lgkmcnt(0)
	;;#ASMSTART
	global_store_dwordx4 v[18:19], v[14:17] off	
s_waitcnt vmcnt(0)
	;;#ASMEND
.LBB6590_42:
	s_or_b64 exec, exec, s[28:29]
	v_xad_u32 v24, v25, -1, s41
	v_add_u32_e32 v16, 64, v24
	v_lshlrev_b64 v[18:19], 4, v[16:17]
	v_mov_b32_e32 v5, s27
	v_add_co_u32_e32 v28, vcc, s26, v18
	v_addc_co_u32_e32 v29, vcc, v5, v19, vcc
	;;#ASMSTART
	global_load_dwordx4 v[18:21], v[28:29] off glc	
s_waitcnt vmcnt(0)
	;;#ASMEND
	v_and_b32_e32 v5, 0xff, v19
	v_and_b32_e32 v7, 0xff00, v19
	v_or3_b32 v5, 0, v5, v7
	v_or3_b32 v7, v18, 0, 0
	v_and_b32_e32 v9, 0xff000000, v19
	v_and_b32_e32 v11, 0xff0000, v19
	v_or3_b32 v19, v5, v11, v9
	v_or3_b32 v18, v7, 0, 0
	v_cmp_eq_u16_sdwa s[30:31], v20, v17 src0_sel:BYTE_0 src1_sel:DWORD
	s_and_saveexec_b64 s[28:29], s[30:31]
	s_cbranch_execz .LBB6590_46
; %bb.43:
	s_mov_b64 s[30:31], 0
	v_mov_b32_e32 v5, 0
.LBB6590_44:                            ; =>This Inner Loop Header: Depth=1
	;;#ASMSTART
	global_load_dwordx4 v[18:21], v[28:29] off glc	
s_waitcnt vmcnt(0)
	;;#ASMEND
	v_cmp_ne_u16_sdwa s[34:35], v20, v5 src0_sel:BYTE_0 src1_sel:DWORD
	s_or_b64 s[30:31], s[34:35], s[30:31]
	s_andn2_b64 exec, exec, s[30:31]
	s_cbranch_execnz .LBB6590_44
; %bb.45:
	s_or_b64 exec, exec, s[30:31]
.LBB6590_46:
	s_or_b64 exec, exec, s[28:29]
	v_mov_b32_e32 v5, 2
	v_cmp_eq_u16_sdwa s[28:29], v20, v5 src0_sel:BYTE_0 src1_sel:DWORD
	v_lshlrev_b64 v[16:17], v25, -1
	v_and_b32_e32 v5, s29, v17
	v_or_b32_e32 v5, 0x80000000, v5
	v_ffbl_b32_e32 v13, v5
	v_and_b32_e32 v5, 63, v25
	v_cmp_ne_u32_e32 vcc, 63, v5
	v_addc_co_u32_e32 v7, vcc, 0, v25, vcc
	v_lshlrev_b32_e32 v7, 2, v7
	ds_bpermute_b32 v9, v7, v18
	v_and_b32_e32 v11, s28, v16
	v_add_u32_e32 v13, 32, v13
	v_ffbl_b32_e32 v11, v11
	v_min_u32_e32 v21, v11, v13
	v_cmp_lt_u32_e32 vcc, v5, v21
	s_and_saveexec_b64 s[28:29], vcc
	s_cbranch_execz .LBB6590_48
; %bb.47:
	s_waitcnt lgkmcnt(0)
	v_add_u32_e32 v19, v18, v9
	v_mov_b32_e32 v18, 0
	v_ashrrev_i64 v[18:19], 29, v[18:19]
	v_mov_b32_e32 v9, s25
	v_add_co_u32_e32 v18, vcc, s24, v18
	v_addc_co_u32_e32 v19, vcc, v9, v19, vcc
	global_load_dwordx2 v[18:19], v[18:19], off
.LBB6590_48:
	s_or_b64 exec, exec, s[28:29]
	v_cmp_gt_u32_e32 vcc, 62, v5
	s_waitcnt lgkmcnt(0)
	v_cndmask_b32_e64 v9, 0, 1, vcc
	v_lshlrev_b32_e32 v9, 1, v9
	v_add_lshl_u32 v9, v9, v25, 2
	s_waitcnt vmcnt(0)
	ds_bpermute_b32 v13, v9, v18
	v_add_u32_e32 v11, 2, v5
	v_cmp_le_u32_e32 vcc, v11, v21
	s_and_saveexec_b64 s[28:29], vcc
	s_cbranch_execz .LBB6590_50
; %bb.49:
	s_waitcnt lgkmcnt(0)
	v_add_u32_e32 v19, v18, v13
	v_mov_b32_e32 v18, 0
	v_ashrrev_i64 v[18:19], 29, v[18:19]
	v_mov_b32_e32 v13, s25
	v_add_co_u32_e32 v18, vcc, s24, v18
	v_addc_co_u32_e32 v19, vcc, v13, v19, vcc
	global_load_dwordx2 v[18:19], v[18:19], off
.LBB6590_50:
	s_or_b64 exec, exec, s[28:29]
	v_cmp_gt_u32_e32 vcc, 60, v5
	s_waitcnt lgkmcnt(0)
	v_cndmask_b32_e64 v13, 0, 1, vcc
	v_lshlrev_b32_e32 v13, 2, v13
	v_add_lshl_u32 v13, v13, v25, 2
	s_waitcnt vmcnt(0)
	ds_bpermute_b32 v23, v13, v18
	v_add_u32_e32 v15, 4, v5
	v_cmp_le_u32_e32 vcc, v15, v21
	;; [unrolled: 22-line block ×5, first 2 shown]
	s_mov_b64 s[28:29], -1
                                        ; implicit-def: $vgpr30_vgpr31
	s_and_saveexec_b64 s[30:31], vcc
	s_cbranch_execz .LBB6590_58
; %bb.57:
	s_waitcnt lgkmcnt(0)
	v_add_co_u32_e32 v30, vcc, v18, v25
	s_xor_b64 s[28:29], exec, -1
.LBB6590_58:
	s_or_b64 exec, exec, s[30:31]
	s_mov_b64 s[30:31], 0
	s_waitcnt lgkmcnt(0)
	v_mov_b32_e32 v25, 0
	v_mov_b32_e32 v38, 2
                                        ; implicit-def: $sgpr34_sgpr35
	s_branch .LBB6590_60
.LBB6590_59:                            ;   in Loop: Header=BB6590_60 Depth=1
	s_or_b64 exec, exec, s[28:29]
	v_subrev_u32_e32 v24, 64, v24
	s_waitcnt vmcnt(0)
	v_add_co_u32_e32 v30, vcc, v18, v28
	s_mov_b64 s[28:29], 0
	s_mov_b64 s[30:31], 0
                                        ; implicit-def: $sgpr34_sgpr35
.LBB6590_60:                            ; =>This Loop Header: Depth=1
                                        ;     Child Loop BB6590_66 Depth 2
	s_waitcnt vmcnt(0) lgkmcnt(0)
	v_pk_mov_b32 v[28:29], v[18:19], v[18:19] op_sel:[0,1]
	s_xor_b64 s[38:39], s[28:29], -1
	s_or_b64 s[34:35], s[34:35], exec
                                        ; implicit-def: $sgpr36_sgpr37
	s_and_saveexec_b64 s[42:43], s[38:39]
	s_xor_b64 s[38:39], exec, s[42:43]
	s_cbranch_execz .LBB6590_62
; %bb.61:                               ;   in Loop: Header=BB6590_60 Depth=1
	v_mov_b32_e32 v18, v25
	v_mov_b32_e32 v19, v30
	v_ashrrev_i64 v[18:19], 29, v[18:19]
	v_mov_b32_e32 v21, s25
	v_add_co_u32_e32 v18, vcc, s24, v18
	v_addc_co_u32_e32 v19, vcc, v21, v19, vcc
	global_load_dwordx2 v[18:19], v[18:19], off
	s_mov_b64 s[36:37], -1
	s_andn2_b64 s[34:35], s[34:35], exec
                                        ; implicit-def: $sgpr28_sgpr29
.LBB6590_62:                            ;   in Loop: Header=BB6590_60 Depth=1
	s_or_b64 exec, exec, s[38:39]
	s_and_b64 s[38:39], exec, s[34:35]
	s_or_b64 s[30:31], s[38:39], s[30:31]
	s_andn2_b64 s[28:29], s[28:29], exec
	s_and_b64 s[36:37], s[36:37], exec
	s_or_b64 s[28:29], s[28:29], s[36:37]
	s_andn2_b64 exec, exec, s[30:31]
	s_cbranch_execnz .LBB6590_60
; %bb.63:                               ;   in Loop: Header=BB6590_60 Depth=1
	s_or_b64 exec, exec, s[30:31]
	v_cmp_ne_u16_sdwa s[28:29], v20, v38 src0_sel:BYTE_0 src1_sel:DWORD
	s_waitcnt vmcnt(0)
	v_cndmask_b32_e64 v18, 0, 1, s[28:29]
	;;#ASMSTART
	;;#ASMEND
	v_cmp_ne_u32_e32 vcc, 0, v18
	s_cmp_lg_u64 vcc, exec
	s_cbranch_scc1 .LBB6590_80
; %bb.64:                               ;   in Loop: Header=BB6590_60 Depth=1
	v_lshlrev_b64 v[18:19], 4, v[24:25]
	v_mov_b32_e32 v20, s27
	v_add_co_u32_e32 v30, vcc, s26, v18
	v_addc_co_u32_e32 v31, vcc, v20, v19, vcc
	;;#ASMSTART
	global_load_dwordx4 v[18:21], v[30:31] off glc	
s_waitcnt vmcnt(0)
	;;#ASMEND
	v_cmp_eq_u16_sdwa s[30:31], v20, v25 src0_sel:BYTE_0 src1_sel:DWORD
                                        ; kill: def $vgpr19 killed $vgpr25 killed $exec
	s_and_saveexec_b64 s[28:29], s[30:31]
	s_cbranch_execz .LBB6590_68
; %bb.65:                               ;   in Loop: Header=BB6590_60 Depth=1
	s_mov_b64 s[30:31], 0
.LBB6590_66:                            ;   Parent Loop BB6590_60 Depth=1
                                        ; =>  This Inner Loop Header: Depth=2
	;;#ASMSTART
	global_load_dwordx4 v[18:21], v[30:31] off glc	
s_waitcnt vmcnt(0)
	;;#ASMEND
	v_cmp_ne_u16_sdwa s[34:35], v20, v25 src0_sel:BYTE_0 src1_sel:DWORD
	s_or_b64 s[30:31], s[34:35], s[30:31]
	s_andn2_b64 exec, exec, s[30:31]
	s_cbranch_execnz .LBB6590_66
; %bb.67:                               ;   in Loop: Header=BB6590_60 Depth=1
	s_or_b64 exec, exec, s[30:31]
                                        ; kill: def $vgpr19 killed $vgpr25 killed $exec
.LBB6590_68:                            ;   in Loop: Header=BB6590_60 Depth=1
	s_or_b64 exec, exec, s[28:29]
	v_cmp_eq_u16_sdwa s[28:29], v20, v38 src0_sel:BYTE_0 src1_sel:DWORD
	v_and_b32_e32 v19, s29, v17
	v_or_b32_e32 v19, 0x80000000, v19
	v_ffbl_b32_e32 v30, v19
	ds_bpermute_b32 v19, v7, v18
	v_and_b32_e32 v21, s28, v16
	v_add_u32_e32 v30, 32, v30
	v_ffbl_b32_e32 v21, v21
	v_min_u32_e32 v21, v21, v30
	v_cmp_lt_u32_e32 vcc, v5, v21
	s_and_saveexec_b64 s[28:29], vcc
	s_cbranch_execz .LBB6590_70
; %bb.69:                               ;   in Loop: Header=BB6590_60 Depth=1
	s_waitcnt lgkmcnt(0)
	v_add_u32_e32 v19, v18, v19
	v_mov_b32_e32 v18, v25
	v_ashrrev_i64 v[18:19], 29, v[18:19]
	v_mov_b32_e32 v30, s25
	v_add_co_u32_e32 v18, vcc, s24, v18
	v_addc_co_u32_e32 v19, vcc, v30, v19, vcc
	global_load_dwordx2 v[18:19], v[18:19], off
.LBB6590_70:                            ;   in Loop: Header=BB6590_60 Depth=1
	s_or_b64 exec, exec, s[28:29]
	s_waitcnt vmcnt(0) lgkmcnt(0)
	ds_bpermute_b32 v19, v9, v18
	v_cmp_le_u32_e32 vcc, v11, v21
	s_and_saveexec_b64 s[28:29], vcc
	s_cbranch_execz .LBB6590_72
; %bb.71:                               ;   in Loop: Header=BB6590_60 Depth=1
	s_waitcnt lgkmcnt(0)
	v_add_u32_e32 v19, v18, v19
	v_mov_b32_e32 v18, v25
	v_ashrrev_i64 v[18:19], 29, v[18:19]
	v_mov_b32_e32 v30, s25
	v_add_co_u32_e32 v18, vcc, s24, v18
	v_addc_co_u32_e32 v19, vcc, v30, v19, vcc
	global_load_dwordx2 v[18:19], v[18:19], off
.LBB6590_72:                            ;   in Loop: Header=BB6590_60 Depth=1
	s_or_b64 exec, exec, s[28:29]
	s_waitcnt vmcnt(0) lgkmcnt(0)
	ds_bpermute_b32 v19, v13, v18
	v_cmp_le_u32_e32 vcc, v15, v21
	;; [unrolled: 16-line block ×5, first 2 shown]
	s_and_saveexec_b64 s[28:29], vcc
	s_cbranch_execz .LBB6590_59
; %bb.79:                               ;   in Loop: Header=BB6590_60 Depth=1
	s_waitcnt lgkmcnt(0)
	v_add_u32_e32 v19, v18, v19
	v_mov_b32_e32 v18, v25
	v_ashrrev_i64 v[18:19], 29, v[18:19]
	v_mov_b32_e32 v21, s25
	v_add_co_u32_e32 v18, vcc, s24, v18
	v_addc_co_u32_e32 v19, vcc, v21, v19, vcc
	global_load_dwordx2 v[18:19], v[18:19], off
	s_branch .LBB6590_59
.LBB6590_80:                            ;   in Loop: Header=BB6590_60 Depth=1
	s_mov_b64 s[28:29], -1
                                        ; implicit-def: $vgpr30_vgpr31
                                        ; implicit-def: $vgpr20
	s_mov_b64 s[30:31], 0
                                        ; implicit-def: $sgpr34_sgpr35
	s_cbranch_execz .LBB6590_60
; %bb.81:
	s_and_saveexec_b64 s[28:29], s[4:5]
	s_cbranch_execz .LBB6590_83
; %bb.82:
	s_waitcnt lgkmcnt(0)
	v_add_u32_e32 v19, v28, v14
	v_mov_b32_e32 v18, 0
	s_mov_b32 s5, 0
	s_add_i32 s4, s41, 64
	v_ashrrev_i64 v[14:15], 29, v[18:19]
	s_lshl_b64 s[4:5], s[4:5], 4
	v_mov_b32_e32 v5, s25
	v_add_co_u32_e32 v14, vcc, s24, v14
	s_add_u32 s4, s26, s4
	v_addc_co_u32_e32 v15, vcc, v5, v15, vcc
	s_addc_u32 s5, s27, s5
	global_load_dwordx2 v[14:15], v[14:15], off
	v_mov_b32_e32 v16, 2
	v_mov_b32_e32 v17, v18
	v_pk_mov_b32 v[18:19], s[4:5], s[4:5] op_sel:[0,1]
	s_waitcnt vmcnt(0)
	;;#ASMSTART
	global_store_dwordx4 v[18:19], v[14:17] off	
s_waitcnt vmcnt(0)
	;;#ASMEND
.LBB6590_83:
	s_or_b64 exec, exec, s[28:29]
	s_and_b64 exec, exec, s[2:3]
	s_cbranch_execz .LBB6590_85
; %bb.84:
	v_mov_b32_e32 v5, 0
	ds_write_b64 v5, v[28:29]
.LBB6590_85:
	s_or_b64 exec, exec, s[22:23]
	v_mov_b32_e32 v16, 0
	s_waitcnt lgkmcnt(0)
	s_barrier
	ds_read_b64 v[14:15], v16
	v_pk_mov_b32 v[18:19], v[2:3], v[2:3] op_sel:[0,1]
	s_and_saveexec_b64 s[4:5], s[0:1]
	s_cbranch_execz .LBB6590_87
; %bb.86:
	v_add_u32_e32 v17, v22, v2
	v_ashrrev_i64 v[18:19], 29, v[16:17]
	v_mov_b32_e32 v5, s25
	v_add_co_u32_e32 v18, vcc, s24, v18
	v_addc_co_u32_e32 v19, vcc, v5, v19, vcc
	global_load_dwordx2 v[18:19], v[18:19], off
.LBB6590_87:
	s_or_b64 exec, exec, s[4:5]
	s_waitcnt vmcnt(0) lgkmcnt(0)
	v_add_u32_e32 v17, v18, v14
	v_ashrrev_i64 v[14:15], 29, v[16:17]
	v_mov_b32_e32 v5, s25
	v_add_co_u32_e32 v14, vcc, s24, v14
	v_addc_co_u32_e32 v15, vcc, v5, v15, vcc
	global_load_dwordx2 v[20:21], v[14:15], off
	s_waitcnt vmcnt(0)
	v_add_u32_e32 v17, v20, v4
	v_ashrrev_i64 v[14:15], 29, v[16:17]
	v_add_co_u32_e32 v14, vcc, s24, v14
	v_addc_co_u32_e32 v15, vcc, v5, v15, vcc
	global_load_dwordx2 v[28:29], v[14:15], off
	s_waitcnt vmcnt(0)
	v_add_u32_e32 v17, v28, v10
	v_ashrrev_i64 v[14:15], 29, v[16:17]
	;; [unrolled: 6-line block ×6, first 2 shown]
	v_add_co_u32_e32 v16, vcc, s24, v16
	v_addc_co_u32_e32 v17, vcc, v5, v17, vcc
	global_load_dwordx2 v[24:25], v[16:17], off
	s_branch .LBB6590_112
.LBB6590_88:
                                        ; implicit-def: $vgpr18_vgpr19_vgpr20_vgpr21
                                        ; implicit-def: $vgpr24_vgpr25
                                        ; implicit-def: $vgpr32_vgpr33
                                        ; implicit-def: $vgpr30_vgpr31
                                        ; implicit-def: $vgpr28_vgpr29
                                        ; implicit-def: $vgpr14_vgpr15_vgpr16_vgpr17
                                        ; implicit-def: $vgpr20_vgpr21_vgpr22_vgpr23
	s_cbranch_execz .LBB6590_112
; %bb.89:
	s_cmp_lg_u64 s[12:13], 0
	s_cselect_b64 s[4:5], -1, 0
	s_and_b64 s[12:13], s[2:3], s[4:5]
	s_and_saveexec_b64 s[4:5], s[12:13]
	s_cbranch_execz .LBB6590_91
; %bb.90:
	v_mov_b32_e32 v14, 0
	global_load_dword v3, v14, s[8:9]
	v_mov_b32_e32 v5, s25
	s_waitcnt vmcnt(0)
	v_add_u32_e32 v15, v3, v2
	v_ashrrev_i64 v[2:3], 29, v[14:15]
	v_add_co_u32_e32 v2, vcc, s24, v2
	v_addc_co_u32_e32 v3, vcc, v5, v3, vcc
	global_load_dwordx2 v[2:3], v[2:3], off
.LBB6590_91:
	s_or_b64 exec, exec, s[4:5]
	s_waitcnt vmcnt(0)
	v_add_u32_e32 v23, v4, v2
	v_mov_b32_e32 v22, 0
	v_ashrrev_i64 v[18:19], 29, v[22:23]
	v_mov_b32_e32 v5, s25
	v_add_co_u32_e32 v14, vcc, s24, v18
	v_addc_co_u32_e32 v15, vcc, v5, v19, vcc
	global_load_dword v5, v[14:15], off
	v_mov_b32_e32 v7, s25
	v_add_lshl_u32 v1, v1, v0, 3
	s_waitcnt vmcnt(0)
	v_add_u32_e32 v23, v10, v5
	v_ashrrev_i64 v[14:15], 29, v[22:23]
	v_add_co_u32_e32 v14, vcc, s24, v14
	v_addc_co_u32_e32 v15, vcc, v7, v15, vcc
	global_load_dword v5, v[14:15], off
	s_waitcnt vmcnt(0)
	v_add_u32_e32 v23, v5, v12
	v_ashrrev_i64 v[14:15], 29, v[22:23]
	v_add_co_u32_e32 v14, vcc, s24, v14
	v_addc_co_u32_e32 v15, vcc, v7, v15, vcc
	global_load_dword v5, v[14:15], off
	;; [unrolled: 6-line block ×4, first 2 shown]
	s_waitcnt vmcnt(0)
	v_add_u32_e32 v23, v5, v26
	v_ashrrev_i64 v[14:15], 29, v[22:23]
	v_add_co_u32_e32 v14, vcc, s24, v14
	v_addc_co_u32_e32 v15, vcc, v7, v15, vcc
	global_load_dwordx2 v[20:21], v[14:15], off
	v_cmp_gt_u32_e32 vcc, 64, v0
	s_waitcnt vmcnt(0)
	ds_write_b64 v1, v[20:21]
	s_waitcnt lgkmcnt(0)
	s_barrier
	s_and_saveexec_b64 s[4:5], vcc
	s_cbranch_execz .LBB6590_105
; %bb.92:
	v_lshlrev_b32_e32 v1, 1, v0
	v_lshrrev_b32_e32 v5, 4, v0
	v_add_lshl_u32 v1, v5, v1, 3
	ds_read2_b64 v[14:17], v1 offset1:1
	v_mov_b32_e32 v5, s25
	s_waitcnt lgkmcnt(0)
	v_add_u32_e32 v23, v16, v14
	v_ashrrev_i64 v[16:17], 29, v[22:23]
	v_add_co_u32_e32 v16, vcc, s24, v16
	v_addc_co_u32_e32 v17, vcc, v5, v17, vcc
	global_load_dwordx2 v[16:17], v[16:17], off
	v_mbcnt_lo_u32_b32 v5, -1, 0
	v_mbcnt_hi_u32_b32 v5, -1, v5
	v_and_b32_e32 v7, 15, v5
	v_cmp_ne_u32_e32 vcc, 0, v7
	s_waitcnt vmcnt(0)
	v_mov_b32_dpp v9, v16 row_shr:1 row_mask:0xf bank_mask:0xf
	s_and_saveexec_b64 s[8:9], vcc
	s_cbranch_execz .LBB6590_94
; %bb.93:
	v_add_u32_e32 v17, v16, v9
	v_mov_b32_e32 v16, 0
	v_ashrrev_i64 v[16:17], 29, v[16:17]
	v_mov_b32_e32 v9, s25
	v_add_co_u32_e32 v16, vcc, s24, v16
	v_addc_co_u32_e32 v17, vcc, v9, v17, vcc
	global_load_dwordx2 v[16:17], v[16:17], off
.LBB6590_94:
	s_or_b64 exec, exec, s[8:9]
	s_waitcnt vmcnt(0)
	v_mov_b32_dpp v9, v16 row_shr:2 row_mask:0xf bank_mask:0xf
	v_cmp_lt_u32_e32 vcc, 1, v7
	s_and_saveexec_b64 s[8:9], vcc
	s_cbranch_execz .LBB6590_96
; %bb.95:
	v_add_u32_e32 v17, v16, v9
	v_mov_b32_e32 v16, 0
	v_ashrrev_i64 v[16:17], 29, v[16:17]
	v_mov_b32_e32 v9, s25
	v_add_co_u32_e32 v16, vcc, s24, v16
	v_addc_co_u32_e32 v17, vcc, v9, v17, vcc
	global_load_dwordx2 v[16:17], v[16:17], off
.LBB6590_96:
	s_or_b64 exec, exec, s[8:9]
	s_waitcnt vmcnt(0)
	v_mov_b32_dpp v9, v16 row_shr:4 row_mask:0xf bank_mask:0xf
	v_cmp_lt_u32_e32 vcc, 3, v7
	s_and_saveexec_b64 s[8:9], vcc
	s_cbranch_execz .LBB6590_98
; %bb.97:
	v_add_u32_e32 v17, v16, v9
	v_mov_b32_e32 v16, 0
	v_ashrrev_i64 v[16:17], 29, v[16:17]
	v_mov_b32_e32 v9, s25
	v_add_co_u32_e32 v16, vcc, s24, v16
	v_addc_co_u32_e32 v17, vcc, v9, v17, vcc
	global_load_dwordx2 v[16:17], v[16:17], off
.LBB6590_98:
	s_or_b64 exec, exec, s[8:9]
	s_waitcnt vmcnt(0)
	v_mov_b32_dpp v9, v16 row_shr:8 row_mask:0xf bank_mask:0xf
	v_cmp_lt_u32_e32 vcc, 7, v7
	s_and_saveexec_b64 s[8:9], vcc
	s_cbranch_execz .LBB6590_100
; %bb.99:
	v_add_u32_e32 v17, v16, v9
	v_mov_b32_e32 v16, 0
	v_ashrrev_i64 v[16:17], 29, v[16:17]
	v_mov_b32_e32 v7, s25
	v_add_co_u32_e32 v16, vcc, s24, v16
	v_addc_co_u32_e32 v17, vcc, v7, v17, vcc
	global_load_dwordx2 v[16:17], v[16:17], off
.LBB6590_100:
	s_or_b64 exec, exec, s[8:9]
	v_and_b32_e32 v9, 16, v5
	s_waitcnt vmcnt(0)
	v_mov_b32_dpp v7, v16 row_bcast:15 row_mask:0xf bank_mask:0xf
	v_cmp_ne_u32_e32 vcc, 0, v9
	s_and_saveexec_b64 s[8:9], vcc
	s_cbranch_execz .LBB6590_102
; %bb.101:
	v_add_u32_e32 v17, v16, v7
	v_mov_b32_e32 v16, 0
	v_ashrrev_i64 v[16:17], 29, v[16:17]
	v_mov_b32_e32 v7, s25
	v_add_co_u32_e32 v16, vcc, s24, v16
	v_addc_co_u32_e32 v17, vcc, v7, v17, vcc
	global_load_dwordx2 v[16:17], v[16:17], off
.LBB6590_102:
	s_or_b64 exec, exec, s[8:9]
	s_waitcnt vmcnt(0)
	v_mov_b32_dpp v7, v16 row_bcast:31 row_mask:0xf bank_mask:0xf
	v_cmp_lt_u32_e32 vcc, 31, v5
	s_and_saveexec_b64 s[8:9], vcc
	s_cbranch_execz .LBB6590_104
; %bb.103:
	v_add_u32_e32 v17, v16, v7
	v_mov_b32_e32 v16, 0
	v_ashrrev_i64 v[16:17], 29, v[16:17]
	v_mov_b32_e32 v7, s25
	v_add_co_u32_e32 v16, vcc, s24, v16
	v_addc_co_u32_e32 v17, vcc, v7, v17, vcc
	global_load_dword v16, v[16:17], off
.LBB6590_104:
	s_or_b64 exec, exec, s[8:9]
	v_add_u32_e32 v7, -1, v5
	v_and_b32_e32 v9, 64, v5
	v_cmp_lt_i32_e32 vcc, v7, v9
	v_cndmask_b32_e32 v5, v7, v5, vcc
	v_lshlrev_b32_e32 v5, 2, v5
	s_waitcnt vmcnt(0)
	ds_bpermute_b32 v5, v5, v16
	v_mov_b32_e32 v16, 0
	v_mov_b32_e32 v7, s25
	s_waitcnt lgkmcnt(0)
	v_add_u32_e32 v17, v14, v5
	v_ashrrev_i64 v[14:15], 29, v[16:17]
	v_add_co_u32_e32 v14, vcc, s24, v14
	v_addc_co_u32_e32 v15, vcc, v7, v15, vcc
	global_load_dwordx2 v[14:15], v[14:15], off
	; wave barrier
	s_waitcnt vmcnt(0)
	v_cndmask_b32_e64 v15, v15, v21, s[2:3]
	v_cndmask_b32_e64 v14, v14, v20, s[2:3]
	ds_write_b64 v1, v[14:15]
	; wave barrier
	ds_read_b32 v5, v1 offset:8
	s_waitcnt lgkmcnt(0)
	v_add_u32_e32 v17, v5, v14
	v_ashrrev_i64 v[14:15], 29, v[16:17]
	v_add_co_u32_e32 v14, vcc, s24, v14
	v_addc_co_u32_e32 v15, vcc, v7, v15, vcc
	global_load_dwordx2 v[14:15], v[14:15], off
	s_waitcnt vmcnt(0)
	ds_write_b64 v1, v[14:15] offset:8
.LBB6590_105:
	s_or_b64 exec, exec, s[4:5]
	s_waitcnt lgkmcnt(0)
	s_barrier
	s_and_saveexec_b64 s[2:3], s[0:1]
	s_cbranch_execz .LBB6590_107
; %bb.106:
	v_add_u32_e32 v1, -1, v0
	v_lshrrev_b32_e32 v5, 5, v1
	v_add_lshl_u32 v1, v5, v1, 3
	ds_read_b64 v[20:21], v1
.LBB6590_107:
	s_or_b64 exec, exec, s[2:3]
	s_and_saveexec_b64 s[2:3], s[0:1]
	s_cbranch_execz .LBB6590_109
; %bb.108:
	s_waitcnt lgkmcnt(0)
	v_add_u32_e32 v15, v20, v2
	v_mov_b32_e32 v14, 0
	v_ashrrev_i64 v[2:3], 29, v[14:15]
	v_mov_b32_e32 v1, s25
	v_add_co_u32_e32 v2, vcc, s24, v2
	v_addc_co_u32_e32 v3, vcc, v1, v3, vcc
	global_load_dwordx2 v[2:3], v[2:3], off
	;;#ASMSTART
	;;#ASMEND
	s_waitcnt vmcnt(0)
	v_add_u32_e32 v15, v2, v4
	v_ashrrev_i64 v[18:19], 29, v[14:15]
.LBB6590_109:
	s_or_b64 exec, exec, s[2:3]
	v_mov_b32_e32 v1, s25
	v_add_co_u32_e32 v4, vcc, s24, v18
	v_addc_co_u32_e32 v5, vcc, v1, v19, vcc
	global_load_dwordx2 v[28:29], v[4:5], off
	v_mov_b32_e32 v4, 0
	s_movk_i32 s0, 0x7f
	s_waitcnt vmcnt(0)
	v_add_u32_e32 v5, v28, v10
	v_ashrrev_i64 v[10:11], 29, v[4:5]
	v_add_co_u32_e32 v10, vcc, s24, v10
	v_addc_co_u32_e32 v11, vcc, v1, v11, vcc
	global_load_dwordx2 v[14:15], v[10:11], off
	s_waitcnt vmcnt(0)
	v_add_u32_e32 v5, v14, v12
	v_ashrrev_i64 v[10:11], 29, v[4:5]
	v_add_co_u32_e32 v10, vcc, s24, v10
	v_addc_co_u32_e32 v11, vcc, v1, v11, vcc
	global_load_dwordx2 v[30:31], v[10:11], off
	;; [unrolled: 6-line block ×5, first 2 shown]
	v_cmp_eq_u32_e32 vcc, s0, v0
	s_and_saveexec_b64 s[0:1], vcc
	s_cbranch_execz .LBB6590_111
; %bb.110:
	s_add_u32 s2, s26, 0x400
	s_addc_u32 s3, s27, 0
	v_mov_b32_e32 v26, 2
	v_mov_b32_e32 v27, v4
	v_pk_mov_b32 v[4:5], s[2:3], s[2:3] op_sel:[0,1]
	s_waitcnt vmcnt(0)
	;;#ASMSTART
	global_store_dwordx4 v[4:5], v[24:27] off	
s_waitcnt vmcnt(0)
	;;#ASMEND
.LBB6590_111:
	s_or_b64 exec, exec, s[0:1]
	s_waitcnt lgkmcnt(0)
	v_pk_mov_b32 v[20:21], v[2:3], v[2:3] op_sel:[0,1]
.LBB6590_112:
	s_add_u32 s0, s20, s6
	s_addc_u32 s1, s21, s7
	s_add_u32 s2, s0, s18
	s_addc_u32 s3, s1, s19
	s_mov_b64 s[0:1], -1
	s_and_b64 vcc, exec, s[16:17]
	v_mul_u32_u24_e32 v1, 56, v0
	s_barrier
	s_cbranch_vccz .LBB6590_114
; %bb.113:
	v_mul_i32_i24_e32 v2, 0xffffffd0, v0
	v_mad_u32_u24 v16, v0, 56, v2
	ds_write2_b64 v1, v[20:21], v[28:29] offset1:1
	ds_write2_b64 v1, v[14:15], v[30:31] offset0:2 offset1:3
	ds_write2_b64 v1, v[18:19], v[32:33] offset0:4 offset1:5
	s_waitcnt vmcnt(0)
	ds_write_b64 v1, v[24:25] offset:48
	s_waitcnt lgkmcnt(0)
	s_barrier
	ds_read2st64_b64 v[2:5], v16 offset1:2
	ds_read2st64_b64 v[6:9], v16 offset0:4 offset1:6
	ds_read2st64_b64 v[10:13], v16 offset0:8 offset1:10
	ds_read_b64 v[16:17], v16 offset:6144
	v_mov_b32_e32 v23, s3
	v_add_co_u32_e32 v22, vcc, s2, v34
	v_addc_co_u32_e32 v23, vcc, 0, v23, vcc
	s_waitcnt lgkmcnt(3)
	flat_store_dwordx2 v[22:23], v[2:3]
	flat_store_dwordx2 v[22:23], v[4:5] offset:1024
	s_waitcnt lgkmcnt(0)
	flat_store_dwordx2 v[22:23], v[6:7] offset:2048
	flat_store_dwordx2 v[22:23], v[8:9] offset:3072
	v_add_co_u32_e32 v2, vcc, 0x1000, v22
	v_addc_co_u32_e32 v3, vcc, 0, v23, vcc
	flat_store_dwordx2 v[2:3], v[10:11]
	flat_store_dwordx2 v[2:3], v[12:13] offset:1024
	flat_store_dwordx2 v[2:3], v[16:17] offset:2048
	s_mov_b64 s[0:1], 0
.LBB6590_114:
	s_andn2_b64 vcc, exec, s[0:1]
	s_cbranch_vccnz .LBB6590_153
; %bb.115:
	v_mul_i32_i24_e32 v2, 0xffffffd0, v0
	ds_write2_b64 v1, v[20:21], v[28:29] offset1:1
	ds_write2_b64 v1, v[14:15], v[30:31] offset0:2 offset1:3
	ds_write2_b64 v1, v[18:19], v[32:33] offset0:4 offset1:5
	s_waitcnt vmcnt(0)
	ds_write_b64 v1, v[24:25] offset:48
	v_mad_u32_u24 v14, v0, 56, v2
	s_waitcnt lgkmcnt(0)
	s_barrier
	ds_read2st64_b64 v[2:5], v14 offset1:2
	ds_read2st64_b64 v[6:9], v14 offset0:4 offset1:6
	ds_read2st64_b64 v[10:13], v14 offset0:8 offset1:10
	ds_read_b64 v[14:15], v14 offset:6144
	v_mov_b32_e32 v17, s3
	v_add_co_u32_e32 v16, vcc, s2, v34
	v_addc_co_u32_e32 v17, vcc, 0, v17, vcc
	v_mov_b32_e32 v1, 0
	v_cmp_gt_u32_e32 vcc, s33, v0
	s_and_saveexec_b64 s[0:1], vcc
	s_cbranch_execz .LBB6590_117
; %bb.116:
	s_waitcnt lgkmcnt(3)
	flat_store_dwordx2 v[16:17], v[2:3]
.LBB6590_117:
	s_or_b64 exec, exec, s[0:1]
	v_or_b32_e32 v18, 0x80, v0
	v_cmp_gt_u32_e32 vcc, s33, v18
	s_and_saveexec_b64 s[0:1], vcc
	s_cbranch_execz .LBB6590_119
; %bb.118:
	s_waitcnt lgkmcnt(0)
	flat_store_dwordx2 v[16:17], v[4:5] offset:1024
.LBB6590_119:
	s_or_b64 exec, exec, s[0:1]
	v_or_b32_e32 v18, 0x100, v0
	v_cmp_gt_u32_e32 vcc, s33, v18
	s_and_saveexec_b64 s[0:1], vcc
	s_cbranch_execz .LBB6590_121
; %bb.120:
	s_waitcnt lgkmcnt(0)
	flat_store_dwordx2 v[16:17], v[6:7] offset:2048
.LBB6590_121:
	;; [unrolled: 9-line block ×3, first 2 shown]
	s_or_b64 exec, exec, s[0:1]
	v_or_b32_e32 v18, 0x200, v0
	v_cmp_gt_u32_e32 vcc, s33, v18
	s_and_saveexec_b64 s[0:1], vcc
	s_cbranch_execz .LBB6590_125
; %bb.124:
	v_add_co_u32_e32 v18, vcc, 0x1000, v16
	v_addc_co_u32_e32 v19, vcc, 0, v17, vcc
	s_waitcnt lgkmcnt(0)
	flat_store_dwordx2 v[18:19], v[10:11]
.LBB6590_125:
	s_or_b64 exec, exec, s[0:1]
	v_or_b32_e32 v18, 0x280, v0
	v_cmp_gt_u32_e32 vcc, s33, v18
	s_and_saveexec_b64 s[0:1], vcc
	s_cbranch_execz .LBB6590_127
; %bb.126:
	v_add_co_u32_e32 v18, vcc, 0x1000, v16
	v_addc_co_u32_e32 v19, vcc, 0, v17, vcc
	s_waitcnt lgkmcnt(0)
	flat_store_dwordx2 v[18:19], v[12:13] offset:1024
.LBB6590_127:
	s_or_b64 exec, exec, s[0:1]
	v_or_b32_e32 v18, 0x300, v0
	v_cmp_gt_u32_e32 vcc, s33, v18
	s_and_saveexec_b64 s[0:1], vcc
	s_cbranch_execz .LBB6590_129
; %bb.128:
	v_add_co_u32_e32 v16, vcc, 0x1000, v16
	v_addc_co_u32_e32 v17, vcc, 0, v17, vcc
	s_waitcnt lgkmcnt(0)
	flat_store_dwordx2 v[16:17], v[14:15] offset:2048
.LBB6590_129:
	s_or_b64 exec, exec, s[0:1]
	v_cmp_lt_u64_e64 s[0:1], s[14:15], 2
	s_and_b64 vcc, exec, s[0:1]
	s_cbranch_vccnz .LBB6590_153
; %bb.130:
	s_add_u32 s0, s33, -1
	s_addc_u32 s1, s40, -1
	s_add_u32 s2, 0, 0x92481000
	s_addc_u32 s3, 0, 0x64
	s_add_i32 s3, s3, 0x249248c0
	s_mul_hi_u32 s7, s2, -7
	s_sub_i32 s7, s7, s2
	s_mul_i32 s8, s3, -7
	s_mul_i32 s4, s2, -7
	s_add_i32 s7, s7, s8
	s_mul_hi_u32 s5, s3, s4
	s_mul_i32 s6, s3, s4
	s_mul_i32 s9, s2, s7
	s_mul_hi_u32 s4, s2, s4
	s_mul_hi_u32 s8, s2, s7
	s_add_u32 s4, s4, s9
	s_addc_u32 s8, 0, s8
	s_add_u32 s4, s4, s6
	s_mul_hi_u32 s9, s3, s7
	s_addc_u32 s4, s8, s5
	s_addc_u32 s5, s9, 0
	s_mul_i32 s6, s3, s7
	s_add_u32 s4, s4, s6
	v_mov_b32_e32 v16, s4
	s_addc_u32 s5, 0, s5
	v_add_co_u32_e32 v16, vcc, s2, v16
	s_cmp_lg_u64 vcc, 0
	s_addc_u32 s2, s3, s5
	v_readfirstlane_b32 s5, v16
	s_mul_i32 s4, s0, s2
	s_mul_hi_u32 s6, s0, s5
	s_mul_hi_u32 s3, s0, s2
	s_add_u32 s4, s6, s4
	s_addc_u32 s3, 0, s3
	s_mul_hi_u32 s7, s1, s5
	s_mul_i32 s5, s1, s5
	s_add_u32 s4, s4, s5
	s_mul_hi_u32 s6, s1, s2
	s_addc_u32 s3, s3, s7
	s_addc_u32 s4, s6, 0
	s_mul_i32 s2, s1, s2
	s_add_u32 s2, s3, s2
	s_addc_u32 s3, 0, s4
	s_add_u32 s4, s2, 1
	s_addc_u32 s5, s3, 0
	s_add_u32 s6, s2, 2
	s_mul_i32 s8, s3, 7
	s_mul_hi_u32 s9, s2, 7
	s_addc_u32 s7, s3, 0
	s_add_i32 s9, s9, s8
	s_mul_i32 s8, s2, 7
	v_mov_b32_e32 v16, s8
	v_sub_co_u32_e32 v16, vcc, s0, v16
	s_cmp_lg_u64 vcc, 0
	s_subb_u32 s8, s1, s9
	v_subrev_co_u32_e32 v17, vcc, 7, v16
	s_cmp_lg_u64 vcc, 0
	s_subb_u32 s9, s8, 0
	v_readfirstlane_b32 s12, v17
	s_cmp_gt_u32 s12, 6
	s_cselect_b32 s12, -1, 0
	s_cmp_eq_u32 s9, 0
	s_cselect_b32 s9, s12, -1
	s_cmp_lg_u32 s9, 0
	s_cselect_b32 s4, s6, s4
	v_readfirstlane_b32 s6, v16
	s_cselect_b32 s5, s7, s5
	s_cmp_gt_u32 s6, 6
	s_cselect_b32 s6, -1, 0
	s_cmp_eq_u32 s8, 0
	s_cselect_b32 s6, s6, -1
	s_cmp_lg_u32 s6, 0
	s_cselect_b32 s3, s5, s3
	s_cselect_b32 s2, s4, s2
	v_cmp_eq_u64_e32 vcc, s[2:3], v[0:1]
	s_and_saveexec_b64 s[2:3], vcc
	s_cbranch_execz .LBB6590_153
; %bb.131:
	v_mul_hi_u32_u24_e32 v1, 7, v0
	v_mov_b32_e32 v16, s1
	v_sub_co_u32_e32 v0, vcc, s0, v35
	v_subb_co_u32_e32 v1, vcc, v16, v1, vcc
	v_cmp_lt_i64_e32 vcc, 3, v[0:1]
	s_and_saveexec_b64 s[0:1], vcc
	s_xor_b64 s[0:1], exec, s[0:1]
	s_cbranch_execz .LBB6590_141
; %bb.132:
	v_cmp_lt_i64_e32 vcc, 4, v[0:1]
	s_and_saveexec_b64 s[2:3], vcc
	s_xor_b64 s[2:3], exec, s[2:3]
	s_cbranch_execz .LBB6590_138
; %bb.133:
	;; [unrolled: 5-line block ×3, first 2 shown]
	v_mov_b32_e32 v0, 0
	s_waitcnt lgkmcnt(0)
	global_store_dwordx2 v0, v[14:15], s[10:11]
                                        ; implicit-def: $vgpr10_vgpr11_vgpr12_vgpr13
.LBB6590_135:
	s_andn2_saveexec_b64 s[4:5], s[4:5]
	s_cbranch_execz .LBB6590_137
; %bb.136:
	v_mov_b32_e32 v0, 0
	s_waitcnt lgkmcnt(0)
	global_store_dwordx2 v0, v[12:13], s[10:11]
.LBB6590_137:
	s_or_b64 exec, exec, s[4:5]
                                        ; implicit-def: $vgpr10_vgpr11_vgpr12_vgpr13
.LBB6590_138:
	s_andn2_saveexec_b64 s[2:3], s[2:3]
	s_cbranch_execz .LBB6590_140
; %bb.139:
	v_mov_b32_e32 v0, 0
	s_waitcnt lgkmcnt(0)
	global_store_dwordx2 v0, v[10:11], s[10:11]
.LBB6590_140:
	s_or_b64 exec, exec, s[2:3]
                                        ; implicit-def: $vgpr0_vgpr1
                                        ; implicit-def: $vgpr2_vgpr3_vgpr4_vgpr5
                                        ; implicit-def: $vgpr6_vgpr7_vgpr8_vgpr9
.LBB6590_141:
	s_andn2_saveexec_b64 s[0:1], s[0:1]
	s_cbranch_execz .LBB6590_153
; %bb.142:
	v_cmp_lt_i64_e32 vcc, 1, v[0:1]
	s_and_saveexec_b64 s[0:1], vcc
	s_xor_b64 s[0:1], exec, s[0:1]
	s_cbranch_execz .LBB6590_148
; %bb.143:
	v_cmp_lt_i64_e32 vcc, 2, v[0:1]
	s_and_saveexec_b64 s[2:3], vcc
	s_xor_b64 s[2:3], exec, s[2:3]
	s_cbranch_execz .LBB6590_145
; %bb.144:
	v_mov_b32_e32 v0, 0
	s_waitcnt lgkmcnt(0)
	global_store_dwordx2 v0, v[8:9], s[10:11]
                                        ; implicit-def: $vgpr6_vgpr7_vgpr8_vgpr9
.LBB6590_145:
	s_andn2_saveexec_b64 s[2:3], s[2:3]
	s_cbranch_execz .LBB6590_147
; %bb.146:
	v_mov_b32_e32 v0, 0
	s_waitcnt lgkmcnt(0)
	global_store_dwordx2 v0, v[6:7], s[10:11]
.LBB6590_147:
	s_or_b64 exec, exec, s[2:3]
                                        ; implicit-def: $vgpr2_vgpr3_vgpr4_vgpr5
                                        ; implicit-def: $vgpr0_vgpr1
.LBB6590_148:
	s_andn2_saveexec_b64 s[0:1], s[0:1]
	s_cbranch_execz .LBB6590_153
; %bb.149:
	v_cmp_ne_u64_e32 vcc, 1, v[0:1]
	s_and_saveexec_b64 s[0:1], vcc
	s_xor_b64 s[0:1], exec, s[0:1]
	s_cbranch_execz .LBB6590_151
; %bb.150:
	v_mov_b32_e32 v0, 0
	s_waitcnt lgkmcnt(0)
	global_store_dwordx2 v0, v[2:3], s[10:11]
                                        ; implicit-def: $vgpr2_vgpr3_vgpr4_vgpr5
.LBB6590_151:
	s_andn2_saveexec_b64 s[0:1], s[0:1]
	s_cbranch_execz .LBB6590_153
; %bb.152:
	v_mov_b32_e32 v0, 0
	s_waitcnt lgkmcnt(0)
	global_store_dwordx2 v0, v[4:5], s[10:11]
.LBB6590_153:
	s_endpgm
	.section	.rodata,"a",@progbits
	.p2align	6, 0x0
	.amdhsa_kernel _ZN7rocprim17ROCPRIM_400000_NS6detail17trampoline_kernelINS0_14default_configENS1_20scan_config_selectorIxEEZZNS1_9scan_implILNS1_25lookback_scan_determinismE0ELb0ELb0ES3_N6thrust23THRUST_200600_302600_NS6detail15normal_iteratorINS9_10device_ptrIxEEEESE_x9plus_mod3IxExEEDaPvRmT3_T4_T5_mT6_P12ihipStream_tbENKUlT_T0_E_clISt17integral_constantIbLb0EEST_IbLb1EEEEDaSP_SQ_EUlSP_E_NS1_11comp_targetILNS1_3genE4ELNS1_11target_archE910ELNS1_3gpuE8ELNS1_3repE0EEENS1_30default_config_static_selectorELNS0_4arch9wavefront6targetE1EEEvT1_
		.amdhsa_group_segment_fixed_size 7168
		.amdhsa_private_segment_fixed_size 0
		.amdhsa_kernarg_size 104
		.amdhsa_user_sgpr_count 6
		.amdhsa_user_sgpr_private_segment_buffer 1
		.amdhsa_user_sgpr_dispatch_ptr 0
		.amdhsa_user_sgpr_queue_ptr 0
		.amdhsa_user_sgpr_kernarg_segment_ptr 1
		.amdhsa_user_sgpr_dispatch_id 0
		.amdhsa_user_sgpr_flat_scratch_init 0
		.amdhsa_user_sgpr_kernarg_preload_length 0
		.amdhsa_user_sgpr_kernarg_preload_offset 0
		.amdhsa_user_sgpr_private_segment_size 0
		.amdhsa_uses_dynamic_stack 0
		.amdhsa_system_sgpr_private_segment_wavefront_offset 0
		.amdhsa_system_sgpr_workgroup_id_x 1
		.amdhsa_system_sgpr_workgroup_id_y 0
		.amdhsa_system_sgpr_workgroup_id_z 0
		.amdhsa_system_sgpr_workgroup_info 0
		.amdhsa_system_vgpr_workitem_id 0
		.amdhsa_next_free_vgpr 39
		.amdhsa_next_free_sgpr 44
		.amdhsa_accum_offset 40
		.amdhsa_reserve_vcc 1
		.amdhsa_reserve_flat_scratch 0
		.amdhsa_float_round_mode_32 0
		.amdhsa_float_round_mode_16_64 0
		.amdhsa_float_denorm_mode_32 3
		.amdhsa_float_denorm_mode_16_64 3
		.amdhsa_dx10_clamp 1
		.amdhsa_ieee_mode 1
		.amdhsa_fp16_overflow 0
		.amdhsa_tg_split 0
		.amdhsa_exception_fp_ieee_invalid_op 0
		.amdhsa_exception_fp_denorm_src 0
		.amdhsa_exception_fp_ieee_div_zero 0
		.amdhsa_exception_fp_ieee_overflow 0
		.amdhsa_exception_fp_ieee_underflow 0
		.amdhsa_exception_fp_ieee_inexact 0
		.amdhsa_exception_int_div_zero 0
	.end_amdhsa_kernel
	.section	.text._ZN7rocprim17ROCPRIM_400000_NS6detail17trampoline_kernelINS0_14default_configENS1_20scan_config_selectorIxEEZZNS1_9scan_implILNS1_25lookback_scan_determinismE0ELb0ELb0ES3_N6thrust23THRUST_200600_302600_NS6detail15normal_iteratorINS9_10device_ptrIxEEEESE_x9plus_mod3IxExEEDaPvRmT3_T4_T5_mT6_P12ihipStream_tbENKUlT_T0_E_clISt17integral_constantIbLb0EEST_IbLb1EEEEDaSP_SQ_EUlSP_E_NS1_11comp_targetILNS1_3genE4ELNS1_11target_archE910ELNS1_3gpuE8ELNS1_3repE0EEENS1_30default_config_static_selectorELNS0_4arch9wavefront6targetE1EEEvT1_,"axG",@progbits,_ZN7rocprim17ROCPRIM_400000_NS6detail17trampoline_kernelINS0_14default_configENS1_20scan_config_selectorIxEEZZNS1_9scan_implILNS1_25lookback_scan_determinismE0ELb0ELb0ES3_N6thrust23THRUST_200600_302600_NS6detail15normal_iteratorINS9_10device_ptrIxEEEESE_x9plus_mod3IxExEEDaPvRmT3_T4_T5_mT6_P12ihipStream_tbENKUlT_T0_E_clISt17integral_constantIbLb0EEST_IbLb1EEEEDaSP_SQ_EUlSP_E_NS1_11comp_targetILNS1_3genE4ELNS1_11target_archE910ELNS1_3gpuE8ELNS1_3repE0EEENS1_30default_config_static_selectorELNS0_4arch9wavefront6targetE1EEEvT1_,comdat
.Lfunc_end6590:
	.size	_ZN7rocprim17ROCPRIM_400000_NS6detail17trampoline_kernelINS0_14default_configENS1_20scan_config_selectorIxEEZZNS1_9scan_implILNS1_25lookback_scan_determinismE0ELb0ELb0ES3_N6thrust23THRUST_200600_302600_NS6detail15normal_iteratorINS9_10device_ptrIxEEEESE_x9plus_mod3IxExEEDaPvRmT3_T4_T5_mT6_P12ihipStream_tbENKUlT_T0_E_clISt17integral_constantIbLb0EEST_IbLb1EEEEDaSP_SQ_EUlSP_E_NS1_11comp_targetILNS1_3genE4ELNS1_11target_archE910ELNS1_3gpuE8ELNS1_3repE0EEENS1_30default_config_static_selectorELNS0_4arch9wavefront6targetE1EEEvT1_, .Lfunc_end6590-_ZN7rocprim17ROCPRIM_400000_NS6detail17trampoline_kernelINS0_14default_configENS1_20scan_config_selectorIxEEZZNS1_9scan_implILNS1_25lookback_scan_determinismE0ELb0ELb0ES3_N6thrust23THRUST_200600_302600_NS6detail15normal_iteratorINS9_10device_ptrIxEEEESE_x9plus_mod3IxExEEDaPvRmT3_T4_T5_mT6_P12ihipStream_tbENKUlT_T0_E_clISt17integral_constantIbLb0EEST_IbLb1EEEEDaSP_SQ_EUlSP_E_NS1_11comp_targetILNS1_3genE4ELNS1_11target_archE910ELNS1_3gpuE8ELNS1_3repE0EEENS1_30default_config_static_selectorELNS0_4arch9wavefront6targetE1EEEvT1_
                                        ; -- End function
	.section	.AMDGPU.csdata,"",@progbits
; Kernel info:
; codeLenInByte = 6756
; NumSgprs: 48
; NumVgprs: 39
; NumAgprs: 0
; TotalNumVgprs: 39
; ScratchSize: 0
; MemoryBound: 0
; FloatMode: 240
; IeeeMode: 1
; LDSByteSize: 7168 bytes/workgroup (compile time only)
; SGPRBlocks: 5
; VGPRBlocks: 4
; NumSGPRsForWavesPerEU: 48
; NumVGPRsForWavesPerEU: 39
; AccumOffset: 40
; Occupancy: 5
; WaveLimiterHint : 1
; COMPUTE_PGM_RSRC2:SCRATCH_EN: 0
; COMPUTE_PGM_RSRC2:USER_SGPR: 6
; COMPUTE_PGM_RSRC2:TRAP_HANDLER: 0
; COMPUTE_PGM_RSRC2:TGID_X_EN: 1
; COMPUTE_PGM_RSRC2:TGID_Y_EN: 0
; COMPUTE_PGM_RSRC2:TGID_Z_EN: 0
; COMPUTE_PGM_RSRC2:TIDIG_COMP_CNT: 0
; COMPUTE_PGM_RSRC3_GFX90A:ACCUM_OFFSET: 9
; COMPUTE_PGM_RSRC3_GFX90A:TG_SPLIT: 0
	.section	.text._ZN7rocprim17ROCPRIM_400000_NS6detail17trampoline_kernelINS0_14default_configENS1_20scan_config_selectorIxEEZZNS1_9scan_implILNS1_25lookback_scan_determinismE0ELb0ELb0ES3_N6thrust23THRUST_200600_302600_NS6detail15normal_iteratorINS9_10device_ptrIxEEEESE_x9plus_mod3IxExEEDaPvRmT3_T4_T5_mT6_P12ihipStream_tbENKUlT_T0_E_clISt17integral_constantIbLb0EEST_IbLb1EEEEDaSP_SQ_EUlSP_E_NS1_11comp_targetILNS1_3genE3ELNS1_11target_archE908ELNS1_3gpuE7ELNS1_3repE0EEENS1_30default_config_static_selectorELNS0_4arch9wavefront6targetE1EEEvT1_,"axG",@progbits,_ZN7rocprim17ROCPRIM_400000_NS6detail17trampoline_kernelINS0_14default_configENS1_20scan_config_selectorIxEEZZNS1_9scan_implILNS1_25lookback_scan_determinismE0ELb0ELb0ES3_N6thrust23THRUST_200600_302600_NS6detail15normal_iteratorINS9_10device_ptrIxEEEESE_x9plus_mod3IxExEEDaPvRmT3_T4_T5_mT6_P12ihipStream_tbENKUlT_T0_E_clISt17integral_constantIbLb0EEST_IbLb1EEEEDaSP_SQ_EUlSP_E_NS1_11comp_targetILNS1_3genE3ELNS1_11target_archE908ELNS1_3gpuE7ELNS1_3repE0EEENS1_30default_config_static_selectorELNS0_4arch9wavefront6targetE1EEEvT1_,comdat
	.protected	_ZN7rocprim17ROCPRIM_400000_NS6detail17trampoline_kernelINS0_14default_configENS1_20scan_config_selectorIxEEZZNS1_9scan_implILNS1_25lookback_scan_determinismE0ELb0ELb0ES3_N6thrust23THRUST_200600_302600_NS6detail15normal_iteratorINS9_10device_ptrIxEEEESE_x9plus_mod3IxExEEDaPvRmT3_T4_T5_mT6_P12ihipStream_tbENKUlT_T0_E_clISt17integral_constantIbLb0EEST_IbLb1EEEEDaSP_SQ_EUlSP_E_NS1_11comp_targetILNS1_3genE3ELNS1_11target_archE908ELNS1_3gpuE7ELNS1_3repE0EEENS1_30default_config_static_selectorELNS0_4arch9wavefront6targetE1EEEvT1_ ; -- Begin function _ZN7rocprim17ROCPRIM_400000_NS6detail17trampoline_kernelINS0_14default_configENS1_20scan_config_selectorIxEEZZNS1_9scan_implILNS1_25lookback_scan_determinismE0ELb0ELb0ES3_N6thrust23THRUST_200600_302600_NS6detail15normal_iteratorINS9_10device_ptrIxEEEESE_x9plus_mod3IxExEEDaPvRmT3_T4_T5_mT6_P12ihipStream_tbENKUlT_T0_E_clISt17integral_constantIbLb0EEST_IbLb1EEEEDaSP_SQ_EUlSP_E_NS1_11comp_targetILNS1_3genE3ELNS1_11target_archE908ELNS1_3gpuE7ELNS1_3repE0EEENS1_30default_config_static_selectorELNS0_4arch9wavefront6targetE1EEEvT1_
	.globl	_ZN7rocprim17ROCPRIM_400000_NS6detail17trampoline_kernelINS0_14default_configENS1_20scan_config_selectorIxEEZZNS1_9scan_implILNS1_25lookback_scan_determinismE0ELb0ELb0ES3_N6thrust23THRUST_200600_302600_NS6detail15normal_iteratorINS9_10device_ptrIxEEEESE_x9plus_mod3IxExEEDaPvRmT3_T4_T5_mT6_P12ihipStream_tbENKUlT_T0_E_clISt17integral_constantIbLb0EEST_IbLb1EEEEDaSP_SQ_EUlSP_E_NS1_11comp_targetILNS1_3genE3ELNS1_11target_archE908ELNS1_3gpuE7ELNS1_3repE0EEENS1_30default_config_static_selectorELNS0_4arch9wavefront6targetE1EEEvT1_
	.p2align	8
	.type	_ZN7rocprim17ROCPRIM_400000_NS6detail17trampoline_kernelINS0_14default_configENS1_20scan_config_selectorIxEEZZNS1_9scan_implILNS1_25lookback_scan_determinismE0ELb0ELb0ES3_N6thrust23THRUST_200600_302600_NS6detail15normal_iteratorINS9_10device_ptrIxEEEESE_x9plus_mod3IxExEEDaPvRmT3_T4_T5_mT6_P12ihipStream_tbENKUlT_T0_E_clISt17integral_constantIbLb0EEST_IbLb1EEEEDaSP_SQ_EUlSP_E_NS1_11comp_targetILNS1_3genE3ELNS1_11target_archE908ELNS1_3gpuE7ELNS1_3repE0EEENS1_30default_config_static_selectorELNS0_4arch9wavefront6targetE1EEEvT1_,@function
_ZN7rocprim17ROCPRIM_400000_NS6detail17trampoline_kernelINS0_14default_configENS1_20scan_config_selectorIxEEZZNS1_9scan_implILNS1_25lookback_scan_determinismE0ELb0ELb0ES3_N6thrust23THRUST_200600_302600_NS6detail15normal_iteratorINS9_10device_ptrIxEEEESE_x9plus_mod3IxExEEDaPvRmT3_T4_T5_mT6_P12ihipStream_tbENKUlT_T0_E_clISt17integral_constantIbLb0EEST_IbLb1EEEEDaSP_SQ_EUlSP_E_NS1_11comp_targetILNS1_3genE3ELNS1_11target_archE908ELNS1_3gpuE7ELNS1_3repE0EEENS1_30default_config_static_selectorELNS0_4arch9wavefront6targetE1EEEvT1_: ; @_ZN7rocprim17ROCPRIM_400000_NS6detail17trampoline_kernelINS0_14default_configENS1_20scan_config_selectorIxEEZZNS1_9scan_implILNS1_25lookback_scan_determinismE0ELb0ELb0ES3_N6thrust23THRUST_200600_302600_NS6detail15normal_iteratorINS9_10device_ptrIxEEEESE_x9plus_mod3IxExEEDaPvRmT3_T4_T5_mT6_P12ihipStream_tbENKUlT_T0_E_clISt17integral_constantIbLb0EEST_IbLb1EEEEDaSP_SQ_EUlSP_E_NS1_11comp_targetILNS1_3genE3ELNS1_11target_archE908ELNS1_3gpuE7ELNS1_3repE0EEENS1_30default_config_static_selectorELNS0_4arch9wavefront6targetE1EEEvT1_
; %bb.0:
	.section	.rodata,"a",@progbits
	.p2align	6, 0x0
	.amdhsa_kernel _ZN7rocprim17ROCPRIM_400000_NS6detail17trampoline_kernelINS0_14default_configENS1_20scan_config_selectorIxEEZZNS1_9scan_implILNS1_25lookback_scan_determinismE0ELb0ELb0ES3_N6thrust23THRUST_200600_302600_NS6detail15normal_iteratorINS9_10device_ptrIxEEEESE_x9plus_mod3IxExEEDaPvRmT3_T4_T5_mT6_P12ihipStream_tbENKUlT_T0_E_clISt17integral_constantIbLb0EEST_IbLb1EEEEDaSP_SQ_EUlSP_E_NS1_11comp_targetILNS1_3genE3ELNS1_11target_archE908ELNS1_3gpuE7ELNS1_3repE0EEENS1_30default_config_static_selectorELNS0_4arch9wavefront6targetE1EEEvT1_
		.amdhsa_group_segment_fixed_size 0
		.amdhsa_private_segment_fixed_size 0
		.amdhsa_kernarg_size 104
		.amdhsa_user_sgpr_count 6
		.amdhsa_user_sgpr_private_segment_buffer 1
		.amdhsa_user_sgpr_dispatch_ptr 0
		.amdhsa_user_sgpr_queue_ptr 0
		.amdhsa_user_sgpr_kernarg_segment_ptr 1
		.amdhsa_user_sgpr_dispatch_id 0
		.amdhsa_user_sgpr_flat_scratch_init 0
		.amdhsa_user_sgpr_kernarg_preload_length 0
		.amdhsa_user_sgpr_kernarg_preload_offset 0
		.amdhsa_user_sgpr_private_segment_size 0
		.amdhsa_uses_dynamic_stack 0
		.amdhsa_system_sgpr_private_segment_wavefront_offset 0
		.amdhsa_system_sgpr_workgroup_id_x 1
		.amdhsa_system_sgpr_workgroup_id_y 0
		.amdhsa_system_sgpr_workgroup_id_z 0
		.amdhsa_system_sgpr_workgroup_info 0
		.amdhsa_system_vgpr_workitem_id 0
		.amdhsa_next_free_vgpr 1
		.amdhsa_next_free_sgpr 0
		.amdhsa_accum_offset 4
		.amdhsa_reserve_vcc 0
		.amdhsa_reserve_flat_scratch 0
		.amdhsa_float_round_mode_32 0
		.amdhsa_float_round_mode_16_64 0
		.amdhsa_float_denorm_mode_32 3
		.amdhsa_float_denorm_mode_16_64 3
		.amdhsa_dx10_clamp 1
		.amdhsa_ieee_mode 1
		.amdhsa_fp16_overflow 0
		.amdhsa_tg_split 0
		.amdhsa_exception_fp_ieee_invalid_op 0
		.amdhsa_exception_fp_denorm_src 0
		.amdhsa_exception_fp_ieee_div_zero 0
		.amdhsa_exception_fp_ieee_overflow 0
		.amdhsa_exception_fp_ieee_underflow 0
		.amdhsa_exception_fp_ieee_inexact 0
		.amdhsa_exception_int_div_zero 0
	.end_amdhsa_kernel
	.section	.text._ZN7rocprim17ROCPRIM_400000_NS6detail17trampoline_kernelINS0_14default_configENS1_20scan_config_selectorIxEEZZNS1_9scan_implILNS1_25lookback_scan_determinismE0ELb0ELb0ES3_N6thrust23THRUST_200600_302600_NS6detail15normal_iteratorINS9_10device_ptrIxEEEESE_x9plus_mod3IxExEEDaPvRmT3_T4_T5_mT6_P12ihipStream_tbENKUlT_T0_E_clISt17integral_constantIbLb0EEST_IbLb1EEEEDaSP_SQ_EUlSP_E_NS1_11comp_targetILNS1_3genE3ELNS1_11target_archE908ELNS1_3gpuE7ELNS1_3repE0EEENS1_30default_config_static_selectorELNS0_4arch9wavefront6targetE1EEEvT1_,"axG",@progbits,_ZN7rocprim17ROCPRIM_400000_NS6detail17trampoline_kernelINS0_14default_configENS1_20scan_config_selectorIxEEZZNS1_9scan_implILNS1_25lookback_scan_determinismE0ELb0ELb0ES3_N6thrust23THRUST_200600_302600_NS6detail15normal_iteratorINS9_10device_ptrIxEEEESE_x9plus_mod3IxExEEDaPvRmT3_T4_T5_mT6_P12ihipStream_tbENKUlT_T0_E_clISt17integral_constantIbLb0EEST_IbLb1EEEEDaSP_SQ_EUlSP_E_NS1_11comp_targetILNS1_3genE3ELNS1_11target_archE908ELNS1_3gpuE7ELNS1_3repE0EEENS1_30default_config_static_selectorELNS0_4arch9wavefront6targetE1EEEvT1_,comdat
.Lfunc_end6591:
	.size	_ZN7rocprim17ROCPRIM_400000_NS6detail17trampoline_kernelINS0_14default_configENS1_20scan_config_selectorIxEEZZNS1_9scan_implILNS1_25lookback_scan_determinismE0ELb0ELb0ES3_N6thrust23THRUST_200600_302600_NS6detail15normal_iteratorINS9_10device_ptrIxEEEESE_x9plus_mod3IxExEEDaPvRmT3_T4_T5_mT6_P12ihipStream_tbENKUlT_T0_E_clISt17integral_constantIbLb0EEST_IbLb1EEEEDaSP_SQ_EUlSP_E_NS1_11comp_targetILNS1_3genE3ELNS1_11target_archE908ELNS1_3gpuE7ELNS1_3repE0EEENS1_30default_config_static_selectorELNS0_4arch9wavefront6targetE1EEEvT1_, .Lfunc_end6591-_ZN7rocprim17ROCPRIM_400000_NS6detail17trampoline_kernelINS0_14default_configENS1_20scan_config_selectorIxEEZZNS1_9scan_implILNS1_25lookback_scan_determinismE0ELb0ELb0ES3_N6thrust23THRUST_200600_302600_NS6detail15normal_iteratorINS9_10device_ptrIxEEEESE_x9plus_mod3IxExEEDaPvRmT3_T4_T5_mT6_P12ihipStream_tbENKUlT_T0_E_clISt17integral_constantIbLb0EEST_IbLb1EEEEDaSP_SQ_EUlSP_E_NS1_11comp_targetILNS1_3genE3ELNS1_11target_archE908ELNS1_3gpuE7ELNS1_3repE0EEENS1_30default_config_static_selectorELNS0_4arch9wavefront6targetE1EEEvT1_
                                        ; -- End function
	.section	.AMDGPU.csdata,"",@progbits
; Kernel info:
; codeLenInByte = 0
; NumSgprs: 4
; NumVgprs: 0
; NumAgprs: 0
; TotalNumVgprs: 0
; ScratchSize: 0
; MemoryBound: 0
; FloatMode: 240
; IeeeMode: 1
; LDSByteSize: 0 bytes/workgroup (compile time only)
; SGPRBlocks: 0
; VGPRBlocks: 0
; NumSGPRsForWavesPerEU: 4
; NumVGPRsForWavesPerEU: 1
; AccumOffset: 4
; Occupancy: 8
; WaveLimiterHint : 0
; COMPUTE_PGM_RSRC2:SCRATCH_EN: 0
; COMPUTE_PGM_RSRC2:USER_SGPR: 6
; COMPUTE_PGM_RSRC2:TRAP_HANDLER: 0
; COMPUTE_PGM_RSRC2:TGID_X_EN: 1
; COMPUTE_PGM_RSRC2:TGID_Y_EN: 0
; COMPUTE_PGM_RSRC2:TGID_Z_EN: 0
; COMPUTE_PGM_RSRC2:TIDIG_COMP_CNT: 0
; COMPUTE_PGM_RSRC3_GFX90A:ACCUM_OFFSET: 0
; COMPUTE_PGM_RSRC3_GFX90A:TG_SPLIT: 0
	.section	.text._ZN7rocprim17ROCPRIM_400000_NS6detail17trampoline_kernelINS0_14default_configENS1_20scan_config_selectorIxEEZZNS1_9scan_implILNS1_25lookback_scan_determinismE0ELb0ELb0ES3_N6thrust23THRUST_200600_302600_NS6detail15normal_iteratorINS9_10device_ptrIxEEEESE_x9plus_mod3IxExEEDaPvRmT3_T4_T5_mT6_P12ihipStream_tbENKUlT_T0_E_clISt17integral_constantIbLb0EEST_IbLb1EEEEDaSP_SQ_EUlSP_E_NS1_11comp_targetILNS1_3genE2ELNS1_11target_archE906ELNS1_3gpuE6ELNS1_3repE0EEENS1_30default_config_static_selectorELNS0_4arch9wavefront6targetE1EEEvT1_,"axG",@progbits,_ZN7rocprim17ROCPRIM_400000_NS6detail17trampoline_kernelINS0_14default_configENS1_20scan_config_selectorIxEEZZNS1_9scan_implILNS1_25lookback_scan_determinismE0ELb0ELb0ES3_N6thrust23THRUST_200600_302600_NS6detail15normal_iteratorINS9_10device_ptrIxEEEESE_x9plus_mod3IxExEEDaPvRmT3_T4_T5_mT6_P12ihipStream_tbENKUlT_T0_E_clISt17integral_constantIbLb0EEST_IbLb1EEEEDaSP_SQ_EUlSP_E_NS1_11comp_targetILNS1_3genE2ELNS1_11target_archE906ELNS1_3gpuE6ELNS1_3repE0EEENS1_30default_config_static_selectorELNS0_4arch9wavefront6targetE1EEEvT1_,comdat
	.protected	_ZN7rocprim17ROCPRIM_400000_NS6detail17trampoline_kernelINS0_14default_configENS1_20scan_config_selectorIxEEZZNS1_9scan_implILNS1_25lookback_scan_determinismE0ELb0ELb0ES3_N6thrust23THRUST_200600_302600_NS6detail15normal_iteratorINS9_10device_ptrIxEEEESE_x9plus_mod3IxExEEDaPvRmT3_T4_T5_mT6_P12ihipStream_tbENKUlT_T0_E_clISt17integral_constantIbLb0EEST_IbLb1EEEEDaSP_SQ_EUlSP_E_NS1_11comp_targetILNS1_3genE2ELNS1_11target_archE906ELNS1_3gpuE6ELNS1_3repE0EEENS1_30default_config_static_selectorELNS0_4arch9wavefront6targetE1EEEvT1_ ; -- Begin function _ZN7rocprim17ROCPRIM_400000_NS6detail17trampoline_kernelINS0_14default_configENS1_20scan_config_selectorIxEEZZNS1_9scan_implILNS1_25lookback_scan_determinismE0ELb0ELb0ES3_N6thrust23THRUST_200600_302600_NS6detail15normal_iteratorINS9_10device_ptrIxEEEESE_x9plus_mod3IxExEEDaPvRmT3_T4_T5_mT6_P12ihipStream_tbENKUlT_T0_E_clISt17integral_constantIbLb0EEST_IbLb1EEEEDaSP_SQ_EUlSP_E_NS1_11comp_targetILNS1_3genE2ELNS1_11target_archE906ELNS1_3gpuE6ELNS1_3repE0EEENS1_30default_config_static_selectorELNS0_4arch9wavefront6targetE1EEEvT1_
	.globl	_ZN7rocprim17ROCPRIM_400000_NS6detail17trampoline_kernelINS0_14default_configENS1_20scan_config_selectorIxEEZZNS1_9scan_implILNS1_25lookback_scan_determinismE0ELb0ELb0ES3_N6thrust23THRUST_200600_302600_NS6detail15normal_iteratorINS9_10device_ptrIxEEEESE_x9plus_mod3IxExEEDaPvRmT3_T4_T5_mT6_P12ihipStream_tbENKUlT_T0_E_clISt17integral_constantIbLb0EEST_IbLb1EEEEDaSP_SQ_EUlSP_E_NS1_11comp_targetILNS1_3genE2ELNS1_11target_archE906ELNS1_3gpuE6ELNS1_3repE0EEENS1_30default_config_static_selectorELNS0_4arch9wavefront6targetE1EEEvT1_
	.p2align	8
	.type	_ZN7rocprim17ROCPRIM_400000_NS6detail17trampoline_kernelINS0_14default_configENS1_20scan_config_selectorIxEEZZNS1_9scan_implILNS1_25lookback_scan_determinismE0ELb0ELb0ES3_N6thrust23THRUST_200600_302600_NS6detail15normal_iteratorINS9_10device_ptrIxEEEESE_x9plus_mod3IxExEEDaPvRmT3_T4_T5_mT6_P12ihipStream_tbENKUlT_T0_E_clISt17integral_constantIbLb0EEST_IbLb1EEEEDaSP_SQ_EUlSP_E_NS1_11comp_targetILNS1_3genE2ELNS1_11target_archE906ELNS1_3gpuE6ELNS1_3repE0EEENS1_30default_config_static_selectorELNS0_4arch9wavefront6targetE1EEEvT1_,@function
_ZN7rocprim17ROCPRIM_400000_NS6detail17trampoline_kernelINS0_14default_configENS1_20scan_config_selectorIxEEZZNS1_9scan_implILNS1_25lookback_scan_determinismE0ELb0ELb0ES3_N6thrust23THRUST_200600_302600_NS6detail15normal_iteratorINS9_10device_ptrIxEEEESE_x9plus_mod3IxExEEDaPvRmT3_T4_T5_mT6_P12ihipStream_tbENKUlT_T0_E_clISt17integral_constantIbLb0EEST_IbLb1EEEEDaSP_SQ_EUlSP_E_NS1_11comp_targetILNS1_3genE2ELNS1_11target_archE906ELNS1_3gpuE6ELNS1_3repE0EEENS1_30default_config_static_selectorELNS0_4arch9wavefront6targetE1EEEvT1_: ; @_ZN7rocprim17ROCPRIM_400000_NS6detail17trampoline_kernelINS0_14default_configENS1_20scan_config_selectorIxEEZZNS1_9scan_implILNS1_25lookback_scan_determinismE0ELb0ELb0ES3_N6thrust23THRUST_200600_302600_NS6detail15normal_iteratorINS9_10device_ptrIxEEEESE_x9plus_mod3IxExEEDaPvRmT3_T4_T5_mT6_P12ihipStream_tbENKUlT_T0_E_clISt17integral_constantIbLb0EEST_IbLb1EEEEDaSP_SQ_EUlSP_E_NS1_11comp_targetILNS1_3genE2ELNS1_11target_archE906ELNS1_3gpuE6ELNS1_3repE0EEENS1_30default_config_static_selectorELNS0_4arch9wavefront6targetE1EEEvT1_
; %bb.0:
	.section	.rodata,"a",@progbits
	.p2align	6, 0x0
	.amdhsa_kernel _ZN7rocprim17ROCPRIM_400000_NS6detail17trampoline_kernelINS0_14default_configENS1_20scan_config_selectorIxEEZZNS1_9scan_implILNS1_25lookback_scan_determinismE0ELb0ELb0ES3_N6thrust23THRUST_200600_302600_NS6detail15normal_iteratorINS9_10device_ptrIxEEEESE_x9plus_mod3IxExEEDaPvRmT3_T4_T5_mT6_P12ihipStream_tbENKUlT_T0_E_clISt17integral_constantIbLb0EEST_IbLb1EEEEDaSP_SQ_EUlSP_E_NS1_11comp_targetILNS1_3genE2ELNS1_11target_archE906ELNS1_3gpuE6ELNS1_3repE0EEENS1_30default_config_static_selectorELNS0_4arch9wavefront6targetE1EEEvT1_
		.amdhsa_group_segment_fixed_size 0
		.amdhsa_private_segment_fixed_size 0
		.amdhsa_kernarg_size 104
		.amdhsa_user_sgpr_count 6
		.amdhsa_user_sgpr_private_segment_buffer 1
		.amdhsa_user_sgpr_dispatch_ptr 0
		.amdhsa_user_sgpr_queue_ptr 0
		.amdhsa_user_sgpr_kernarg_segment_ptr 1
		.amdhsa_user_sgpr_dispatch_id 0
		.amdhsa_user_sgpr_flat_scratch_init 0
		.amdhsa_user_sgpr_kernarg_preload_length 0
		.amdhsa_user_sgpr_kernarg_preload_offset 0
		.amdhsa_user_sgpr_private_segment_size 0
		.amdhsa_uses_dynamic_stack 0
		.amdhsa_system_sgpr_private_segment_wavefront_offset 0
		.amdhsa_system_sgpr_workgroup_id_x 1
		.amdhsa_system_sgpr_workgroup_id_y 0
		.amdhsa_system_sgpr_workgroup_id_z 0
		.amdhsa_system_sgpr_workgroup_info 0
		.amdhsa_system_vgpr_workitem_id 0
		.amdhsa_next_free_vgpr 1
		.amdhsa_next_free_sgpr 0
		.amdhsa_accum_offset 4
		.amdhsa_reserve_vcc 0
		.amdhsa_reserve_flat_scratch 0
		.amdhsa_float_round_mode_32 0
		.amdhsa_float_round_mode_16_64 0
		.amdhsa_float_denorm_mode_32 3
		.amdhsa_float_denorm_mode_16_64 3
		.amdhsa_dx10_clamp 1
		.amdhsa_ieee_mode 1
		.amdhsa_fp16_overflow 0
		.amdhsa_tg_split 0
		.amdhsa_exception_fp_ieee_invalid_op 0
		.amdhsa_exception_fp_denorm_src 0
		.amdhsa_exception_fp_ieee_div_zero 0
		.amdhsa_exception_fp_ieee_overflow 0
		.amdhsa_exception_fp_ieee_underflow 0
		.amdhsa_exception_fp_ieee_inexact 0
		.amdhsa_exception_int_div_zero 0
	.end_amdhsa_kernel
	.section	.text._ZN7rocprim17ROCPRIM_400000_NS6detail17trampoline_kernelINS0_14default_configENS1_20scan_config_selectorIxEEZZNS1_9scan_implILNS1_25lookback_scan_determinismE0ELb0ELb0ES3_N6thrust23THRUST_200600_302600_NS6detail15normal_iteratorINS9_10device_ptrIxEEEESE_x9plus_mod3IxExEEDaPvRmT3_T4_T5_mT6_P12ihipStream_tbENKUlT_T0_E_clISt17integral_constantIbLb0EEST_IbLb1EEEEDaSP_SQ_EUlSP_E_NS1_11comp_targetILNS1_3genE2ELNS1_11target_archE906ELNS1_3gpuE6ELNS1_3repE0EEENS1_30default_config_static_selectorELNS0_4arch9wavefront6targetE1EEEvT1_,"axG",@progbits,_ZN7rocprim17ROCPRIM_400000_NS6detail17trampoline_kernelINS0_14default_configENS1_20scan_config_selectorIxEEZZNS1_9scan_implILNS1_25lookback_scan_determinismE0ELb0ELb0ES3_N6thrust23THRUST_200600_302600_NS6detail15normal_iteratorINS9_10device_ptrIxEEEESE_x9plus_mod3IxExEEDaPvRmT3_T4_T5_mT6_P12ihipStream_tbENKUlT_T0_E_clISt17integral_constantIbLb0EEST_IbLb1EEEEDaSP_SQ_EUlSP_E_NS1_11comp_targetILNS1_3genE2ELNS1_11target_archE906ELNS1_3gpuE6ELNS1_3repE0EEENS1_30default_config_static_selectorELNS0_4arch9wavefront6targetE1EEEvT1_,comdat
.Lfunc_end6592:
	.size	_ZN7rocprim17ROCPRIM_400000_NS6detail17trampoline_kernelINS0_14default_configENS1_20scan_config_selectorIxEEZZNS1_9scan_implILNS1_25lookback_scan_determinismE0ELb0ELb0ES3_N6thrust23THRUST_200600_302600_NS6detail15normal_iteratorINS9_10device_ptrIxEEEESE_x9plus_mod3IxExEEDaPvRmT3_T4_T5_mT6_P12ihipStream_tbENKUlT_T0_E_clISt17integral_constantIbLb0EEST_IbLb1EEEEDaSP_SQ_EUlSP_E_NS1_11comp_targetILNS1_3genE2ELNS1_11target_archE906ELNS1_3gpuE6ELNS1_3repE0EEENS1_30default_config_static_selectorELNS0_4arch9wavefront6targetE1EEEvT1_, .Lfunc_end6592-_ZN7rocprim17ROCPRIM_400000_NS6detail17trampoline_kernelINS0_14default_configENS1_20scan_config_selectorIxEEZZNS1_9scan_implILNS1_25lookback_scan_determinismE0ELb0ELb0ES3_N6thrust23THRUST_200600_302600_NS6detail15normal_iteratorINS9_10device_ptrIxEEEESE_x9plus_mod3IxExEEDaPvRmT3_T4_T5_mT6_P12ihipStream_tbENKUlT_T0_E_clISt17integral_constantIbLb0EEST_IbLb1EEEEDaSP_SQ_EUlSP_E_NS1_11comp_targetILNS1_3genE2ELNS1_11target_archE906ELNS1_3gpuE6ELNS1_3repE0EEENS1_30default_config_static_selectorELNS0_4arch9wavefront6targetE1EEEvT1_
                                        ; -- End function
	.section	.AMDGPU.csdata,"",@progbits
; Kernel info:
; codeLenInByte = 0
; NumSgprs: 4
; NumVgprs: 0
; NumAgprs: 0
; TotalNumVgprs: 0
; ScratchSize: 0
; MemoryBound: 0
; FloatMode: 240
; IeeeMode: 1
; LDSByteSize: 0 bytes/workgroup (compile time only)
; SGPRBlocks: 0
; VGPRBlocks: 0
; NumSGPRsForWavesPerEU: 4
; NumVGPRsForWavesPerEU: 1
; AccumOffset: 4
; Occupancy: 8
; WaveLimiterHint : 0
; COMPUTE_PGM_RSRC2:SCRATCH_EN: 0
; COMPUTE_PGM_RSRC2:USER_SGPR: 6
; COMPUTE_PGM_RSRC2:TRAP_HANDLER: 0
; COMPUTE_PGM_RSRC2:TGID_X_EN: 1
; COMPUTE_PGM_RSRC2:TGID_Y_EN: 0
; COMPUTE_PGM_RSRC2:TGID_Z_EN: 0
; COMPUTE_PGM_RSRC2:TIDIG_COMP_CNT: 0
; COMPUTE_PGM_RSRC3_GFX90A:ACCUM_OFFSET: 0
; COMPUTE_PGM_RSRC3_GFX90A:TG_SPLIT: 0
	.section	.text._ZN7rocprim17ROCPRIM_400000_NS6detail17trampoline_kernelINS0_14default_configENS1_20scan_config_selectorIxEEZZNS1_9scan_implILNS1_25lookback_scan_determinismE0ELb0ELb0ES3_N6thrust23THRUST_200600_302600_NS6detail15normal_iteratorINS9_10device_ptrIxEEEESE_x9plus_mod3IxExEEDaPvRmT3_T4_T5_mT6_P12ihipStream_tbENKUlT_T0_E_clISt17integral_constantIbLb0EEST_IbLb1EEEEDaSP_SQ_EUlSP_E_NS1_11comp_targetILNS1_3genE10ELNS1_11target_archE1201ELNS1_3gpuE5ELNS1_3repE0EEENS1_30default_config_static_selectorELNS0_4arch9wavefront6targetE1EEEvT1_,"axG",@progbits,_ZN7rocprim17ROCPRIM_400000_NS6detail17trampoline_kernelINS0_14default_configENS1_20scan_config_selectorIxEEZZNS1_9scan_implILNS1_25lookback_scan_determinismE0ELb0ELb0ES3_N6thrust23THRUST_200600_302600_NS6detail15normal_iteratorINS9_10device_ptrIxEEEESE_x9plus_mod3IxExEEDaPvRmT3_T4_T5_mT6_P12ihipStream_tbENKUlT_T0_E_clISt17integral_constantIbLb0EEST_IbLb1EEEEDaSP_SQ_EUlSP_E_NS1_11comp_targetILNS1_3genE10ELNS1_11target_archE1201ELNS1_3gpuE5ELNS1_3repE0EEENS1_30default_config_static_selectorELNS0_4arch9wavefront6targetE1EEEvT1_,comdat
	.protected	_ZN7rocprim17ROCPRIM_400000_NS6detail17trampoline_kernelINS0_14default_configENS1_20scan_config_selectorIxEEZZNS1_9scan_implILNS1_25lookback_scan_determinismE0ELb0ELb0ES3_N6thrust23THRUST_200600_302600_NS6detail15normal_iteratorINS9_10device_ptrIxEEEESE_x9plus_mod3IxExEEDaPvRmT3_T4_T5_mT6_P12ihipStream_tbENKUlT_T0_E_clISt17integral_constantIbLb0EEST_IbLb1EEEEDaSP_SQ_EUlSP_E_NS1_11comp_targetILNS1_3genE10ELNS1_11target_archE1201ELNS1_3gpuE5ELNS1_3repE0EEENS1_30default_config_static_selectorELNS0_4arch9wavefront6targetE1EEEvT1_ ; -- Begin function _ZN7rocprim17ROCPRIM_400000_NS6detail17trampoline_kernelINS0_14default_configENS1_20scan_config_selectorIxEEZZNS1_9scan_implILNS1_25lookback_scan_determinismE0ELb0ELb0ES3_N6thrust23THRUST_200600_302600_NS6detail15normal_iteratorINS9_10device_ptrIxEEEESE_x9plus_mod3IxExEEDaPvRmT3_T4_T5_mT6_P12ihipStream_tbENKUlT_T0_E_clISt17integral_constantIbLb0EEST_IbLb1EEEEDaSP_SQ_EUlSP_E_NS1_11comp_targetILNS1_3genE10ELNS1_11target_archE1201ELNS1_3gpuE5ELNS1_3repE0EEENS1_30default_config_static_selectorELNS0_4arch9wavefront6targetE1EEEvT1_
	.globl	_ZN7rocprim17ROCPRIM_400000_NS6detail17trampoline_kernelINS0_14default_configENS1_20scan_config_selectorIxEEZZNS1_9scan_implILNS1_25lookback_scan_determinismE0ELb0ELb0ES3_N6thrust23THRUST_200600_302600_NS6detail15normal_iteratorINS9_10device_ptrIxEEEESE_x9plus_mod3IxExEEDaPvRmT3_T4_T5_mT6_P12ihipStream_tbENKUlT_T0_E_clISt17integral_constantIbLb0EEST_IbLb1EEEEDaSP_SQ_EUlSP_E_NS1_11comp_targetILNS1_3genE10ELNS1_11target_archE1201ELNS1_3gpuE5ELNS1_3repE0EEENS1_30default_config_static_selectorELNS0_4arch9wavefront6targetE1EEEvT1_
	.p2align	8
	.type	_ZN7rocprim17ROCPRIM_400000_NS6detail17trampoline_kernelINS0_14default_configENS1_20scan_config_selectorIxEEZZNS1_9scan_implILNS1_25lookback_scan_determinismE0ELb0ELb0ES3_N6thrust23THRUST_200600_302600_NS6detail15normal_iteratorINS9_10device_ptrIxEEEESE_x9plus_mod3IxExEEDaPvRmT3_T4_T5_mT6_P12ihipStream_tbENKUlT_T0_E_clISt17integral_constantIbLb0EEST_IbLb1EEEEDaSP_SQ_EUlSP_E_NS1_11comp_targetILNS1_3genE10ELNS1_11target_archE1201ELNS1_3gpuE5ELNS1_3repE0EEENS1_30default_config_static_selectorELNS0_4arch9wavefront6targetE1EEEvT1_,@function
_ZN7rocprim17ROCPRIM_400000_NS6detail17trampoline_kernelINS0_14default_configENS1_20scan_config_selectorIxEEZZNS1_9scan_implILNS1_25lookback_scan_determinismE0ELb0ELb0ES3_N6thrust23THRUST_200600_302600_NS6detail15normal_iteratorINS9_10device_ptrIxEEEESE_x9plus_mod3IxExEEDaPvRmT3_T4_T5_mT6_P12ihipStream_tbENKUlT_T0_E_clISt17integral_constantIbLb0EEST_IbLb1EEEEDaSP_SQ_EUlSP_E_NS1_11comp_targetILNS1_3genE10ELNS1_11target_archE1201ELNS1_3gpuE5ELNS1_3repE0EEENS1_30default_config_static_selectorELNS0_4arch9wavefront6targetE1EEEvT1_: ; @_ZN7rocprim17ROCPRIM_400000_NS6detail17trampoline_kernelINS0_14default_configENS1_20scan_config_selectorIxEEZZNS1_9scan_implILNS1_25lookback_scan_determinismE0ELb0ELb0ES3_N6thrust23THRUST_200600_302600_NS6detail15normal_iteratorINS9_10device_ptrIxEEEESE_x9plus_mod3IxExEEDaPvRmT3_T4_T5_mT6_P12ihipStream_tbENKUlT_T0_E_clISt17integral_constantIbLb0EEST_IbLb1EEEEDaSP_SQ_EUlSP_E_NS1_11comp_targetILNS1_3genE10ELNS1_11target_archE1201ELNS1_3gpuE5ELNS1_3repE0EEENS1_30default_config_static_selectorELNS0_4arch9wavefront6targetE1EEEvT1_
; %bb.0:
	.section	.rodata,"a",@progbits
	.p2align	6, 0x0
	.amdhsa_kernel _ZN7rocprim17ROCPRIM_400000_NS6detail17trampoline_kernelINS0_14default_configENS1_20scan_config_selectorIxEEZZNS1_9scan_implILNS1_25lookback_scan_determinismE0ELb0ELb0ES3_N6thrust23THRUST_200600_302600_NS6detail15normal_iteratorINS9_10device_ptrIxEEEESE_x9plus_mod3IxExEEDaPvRmT3_T4_T5_mT6_P12ihipStream_tbENKUlT_T0_E_clISt17integral_constantIbLb0EEST_IbLb1EEEEDaSP_SQ_EUlSP_E_NS1_11comp_targetILNS1_3genE10ELNS1_11target_archE1201ELNS1_3gpuE5ELNS1_3repE0EEENS1_30default_config_static_selectorELNS0_4arch9wavefront6targetE1EEEvT1_
		.amdhsa_group_segment_fixed_size 0
		.amdhsa_private_segment_fixed_size 0
		.amdhsa_kernarg_size 104
		.amdhsa_user_sgpr_count 6
		.amdhsa_user_sgpr_private_segment_buffer 1
		.amdhsa_user_sgpr_dispatch_ptr 0
		.amdhsa_user_sgpr_queue_ptr 0
		.amdhsa_user_sgpr_kernarg_segment_ptr 1
		.amdhsa_user_sgpr_dispatch_id 0
		.amdhsa_user_sgpr_flat_scratch_init 0
		.amdhsa_user_sgpr_kernarg_preload_length 0
		.amdhsa_user_sgpr_kernarg_preload_offset 0
		.amdhsa_user_sgpr_private_segment_size 0
		.amdhsa_uses_dynamic_stack 0
		.amdhsa_system_sgpr_private_segment_wavefront_offset 0
		.amdhsa_system_sgpr_workgroup_id_x 1
		.amdhsa_system_sgpr_workgroup_id_y 0
		.amdhsa_system_sgpr_workgroup_id_z 0
		.amdhsa_system_sgpr_workgroup_info 0
		.amdhsa_system_vgpr_workitem_id 0
		.amdhsa_next_free_vgpr 1
		.amdhsa_next_free_sgpr 0
		.amdhsa_accum_offset 4
		.amdhsa_reserve_vcc 0
		.amdhsa_reserve_flat_scratch 0
		.amdhsa_float_round_mode_32 0
		.amdhsa_float_round_mode_16_64 0
		.amdhsa_float_denorm_mode_32 3
		.amdhsa_float_denorm_mode_16_64 3
		.amdhsa_dx10_clamp 1
		.amdhsa_ieee_mode 1
		.amdhsa_fp16_overflow 0
		.amdhsa_tg_split 0
		.amdhsa_exception_fp_ieee_invalid_op 0
		.amdhsa_exception_fp_denorm_src 0
		.amdhsa_exception_fp_ieee_div_zero 0
		.amdhsa_exception_fp_ieee_overflow 0
		.amdhsa_exception_fp_ieee_underflow 0
		.amdhsa_exception_fp_ieee_inexact 0
		.amdhsa_exception_int_div_zero 0
	.end_amdhsa_kernel
	.section	.text._ZN7rocprim17ROCPRIM_400000_NS6detail17trampoline_kernelINS0_14default_configENS1_20scan_config_selectorIxEEZZNS1_9scan_implILNS1_25lookback_scan_determinismE0ELb0ELb0ES3_N6thrust23THRUST_200600_302600_NS6detail15normal_iteratorINS9_10device_ptrIxEEEESE_x9plus_mod3IxExEEDaPvRmT3_T4_T5_mT6_P12ihipStream_tbENKUlT_T0_E_clISt17integral_constantIbLb0EEST_IbLb1EEEEDaSP_SQ_EUlSP_E_NS1_11comp_targetILNS1_3genE10ELNS1_11target_archE1201ELNS1_3gpuE5ELNS1_3repE0EEENS1_30default_config_static_selectorELNS0_4arch9wavefront6targetE1EEEvT1_,"axG",@progbits,_ZN7rocprim17ROCPRIM_400000_NS6detail17trampoline_kernelINS0_14default_configENS1_20scan_config_selectorIxEEZZNS1_9scan_implILNS1_25lookback_scan_determinismE0ELb0ELb0ES3_N6thrust23THRUST_200600_302600_NS6detail15normal_iteratorINS9_10device_ptrIxEEEESE_x9plus_mod3IxExEEDaPvRmT3_T4_T5_mT6_P12ihipStream_tbENKUlT_T0_E_clISt17integral_constantIbLb0EEST_IbLb1EEEEDaSP_SQ_EUlSP_E_NS1_11comp_targetILNS1_3genE10ELNS1_11target_archE1201ELNS1_3gpuE5ELNS1_3repE0EEENS1_30default_config_static_selectorELNS0_4arch9wavefront6targetE1EEEvT1_,comdat
.Lfunc_end6593:
	.size	_ZN7rocprim17ROCPRIM_400000_NS6detail17trampoline_kernelINS0_14default_configENS1_20scan_config_selectorIxEEZZNS1_9scan_implILNS1_25lookback_scan_determinismE0ELb0ELb0ES3_N6thrust23THRUST_200600_302600_NS6detail15normal_iteratorINS9_10device_ptrIxEEEESE_x9plus_mod3IxExEEDaPvRmT3_T4_T5_mT6_P12ihipStream_tbENKUlT_T0_E_clISt17integral_constantIbLb0EEST_IbLb1EEEEDaSP_SQ_EUlSP_E_NS1_11comp_targetILNS1_3genE10ELNS1_11target_archE1201ELNS1_3gpuE5ELNS1_3repE0EEENS1_30default_config_static_selectorELNS0_4arch9wavefront6targetE1EEEvT1_, .Lfunc_end6593-_ZN7rocprim17ROCPRIM_400000_NS6detail17trampoline_kernelINS0_14default_configENS1_20scan_config_selectorIxEEZZNS1_9scan_implILNS1_25lookback_scan_determinismE0ELb0ELb0ES3_N6thrust23THRUST_200600_302600_NS6detail15normal_iteratorINS9_10device_ptrIxEEEESE_x9plus_mod3IxExEEDaPvRmT3_T4_T5_mT6_P12ihipStream_tbENKUlT_T0_E_clISt17integral_constantIbLb0EEST_IbLb1EEEEDaSP_SQ_EUlSP_E_NS1_11comp_targetILNS1_3genE10ELNS1_11target_archE1201ELNS1_3gpuE5ELNS1_3repE0EEENS1_30default_config_static_selectorELNS0_4arch9wavefront6targetE1EEEvT1_
                                        ; -- End function
	.section	.AMDGPU.csdata,"",@progbits
; Kernel info:
; codeLenInByte = 0
; NumSgprs: 4
; NumVgprs: 0
; NumAgprs: 0
; TotalNumVgprs: 0
; ScratchSize: 0
; MemoryBound: 0
; FloatMode: 240
; IeeeMode: 1
; LDSByteSize: 0 bytes/workgroup (compile time only)
; SGPRBlocks: 0
; VGPRBlocks: 0
; NumSGPRsForWavesPerEU: 4
; NumVGPRsForWavesPerEU: 1
; AccumOffset: 4
; Occupancy: 8
; WaveLimiterHint : 0
; COMPUTE_PGM_RSRC2:SCRATCH_EN: 0
; COMPUTE_PGM_RSRC2:USER_SGPR: 6
; COMPUTE_PGM_RSRC2:TRAP_HANDLER: 0
; COMPUTE_PGM_RSRC2:TGID_X_EN: 1
; COMPUTE_PGM_RSRC2:TGID_Y_EN: 0
; COMPUTE_PGM_RSRC2:TGID_Z_EN: 0
; COMPUTE_PGM_RSRC2:TIDIG_COMP_CNT: 0
; COMPUTE_PGM_RSRC3_GFX90A:ACCUM_OFFSET: 0
; COMPUTE_PGM_RSRC3_GFX90A:TG_SPLIT: 0
	.section	.text._ZN7rocprim17ROCPRIM_400000_NS6detail17trampoline_kernelINS0_14default_configENS1_20scan_config_selectorIxEEZZNS1_9scan_implILNS1_25lookback_scan_determinismE0ELb0ELb0ES3_N6thrust23THRUST_200600_302600_NS6detail15normal_iteratorINS9_10device_ptrIxEEEESE_x9plus_mod3IxExEEDaPvRmT3_T4_T5_mT6_P12ihipStream_tbENKUlT_T0_E_clISt17integral_constantIbLb0EEST_IbLb1EEEEDaSP_SQ_EUlSP_E_NS1_11comp_targetILNS1_3genE10ELNS1_11target_archE1200ELNS1_3gpuE4ELNS1_3repE0EEENS1_30default_config_static_selectorELNS0_4arch9wavefront6targetE1EEEvT1_,"axG",@progbits,_ZN7rocprim17ROCPRIM_400000_NS6detail17trampoline_kernelINS0_14default_configENS1_20scan_config_selectorIxEEZZNS1_9scan_implILNS1_25lookback_scan_determinismE0ELb0ELb0ES3_N6thrust23THRUST_200600_302600_NS6detail15normal_iteratorINS9_10device_ptrIxEEEESE_x9plus_mod3IxExEEDaPvRmT3_T4_T5_mT6_P12ihipStream_tbENKUlT_T0_E_clISt17integral_constantIbLb0EEST_IbLb1EEEEDaSP_SQ_EUlSP_E_NS1_11comp_targetILNS1_3genE10ELNS1_11target_archE1200ELNS1_3gpuE4ELNS1_3repE0EEENS1_30default_config_static_selectorELNS0_4arch9wavefront6targetE1EEEvT1_,comdat
	.protected	_ZN7rocprim17ROCPRIM_400000_NS6detail17trampoline_kernelINS0_14default_configENS1_20scan_config_selectorIxEEZZNS1_9scan_implILNS1_25lookback_scan_determinismE0ELb0ELb0ES3_N6thrust23THRUST_200600_302600_NS6detail15normal_iteratorINS9_10device_ptrIxEEEESE_x9plus_mod3IxExEEDaPvRmT3_T4_T5_mT6_P12ihipStream_tbENKUlT_T0_E_clISt17integral_constantIbLb0EEST_IbLb1EEEEDaSP_SQ_EUlSP_E_NS1_11comp_targetILNS1_3genE10ELNS1_11target_archE1200ELNS1_3gpuE4ELNS1_3repE0EEENS1_30default_config_static_selectorELNS0_4arch9wavefront6targetE1EEEvT1_ ; -- Begin function _ZN7rocprim17ROCPRIM_400000_NS6detail17trampoline_kernelINS0_14default_configENS1_20scan_config_selectorIxEEZZNS1_9scan_implILNS1_25lookback_scan_determinismE0ELb0ELb0ES3_N6thrust23THRUST_200600_302600_NS6detail15normal_iteratorINS9_10device_ptrIxEEEESE_x9plus_mod3IxExEEDaPvRmT3_T4_T5_mT6_P12ihipStream_tbENKUlT_T0_E_clISt17integral_constantIbLb0EEST_IbLb1EEEEDaSP_SQ_EUlSP_E_NS1_11comp_targetILNS1_3genE10ELNS1_11target_archE1200ELNS1_3gpuE4ELNS1_3repE0EEENS1_30default_config_static_selectorELNS0_4arch9wavefront6targetE1EEEvT1_
	.globl	_ZN7rocprim17ROCPRIM_400000_NS6detail17trampoline_kernelINS0_14default_configENS1_20scan_config_selectorIxEEZZNS1_9scan_implILNS1_25lookback_scan_determinismE0ELb0ELb0ES3_N6thrust23THRUST_200600_302600_NS6detail15normal_iteratorINS9_10device_ptrIxEEEESE_x9plus_mod3IxExEEDaPvRmT3_T4_T5_mT6_P12ihipStream_tbENKUlT_T0_E_clISt17integral_constantIbLb0EEST_IbLb1EEEEDaSP_SQ_EUlSP_E_NS1_11comp_targetILNS1_3genE10ELNS1_11target_archE1200ELNS1_3gpuE4ELNS1_3repE0EEENS1_30default_config_static_selectorELNS0_4arch9wavefront6targetE1EEEvT1_
	.p2align	8
	.type	_ZN7rocprim17ROCPRIM_400000_NS6detail17trampoline_kernelINS0_14default_configENS1_20scan_config_selectorIxEEZZNS1_9scan_implILNS1_25lookback_scan_determinismE0ELb0ELb0ES3_N6thrust23THRUST_200600_302600_NS6detail15normal_iteratorINS9_10device_ptrIxEEEESE_x9plus_mod3IxExEEDaPvRmT3_T4_T5_mT6_P12ihipStream_tbENKUlT_T0_E_clISt17integral_constantIbLb0EEST_IbLb1EEEEDaSP_SQ_EUlSP_E_NS1_11comp_targetILNS1_3genE10ELNS1_11target_archE1200ELNS1_3gpuE4ELNS1_3repE0EEENS1_30default_config_static_selectorELNS0_4arch9wavefront6targetE1EEEvT1_,@function
_ZN7rocprim17ROCPRIM_400000_NS6detail17trampoline_kernelINS0_14default_configENS1_20scan_config_selectorIxEEZZNS1_9scan_implILNS1_25lookback_scan_determinismE0ELb0ELb0ES3_N6thrust23THRUST_200600_302600_NS6detail15normal_iteratorINS9_10device_ptrIxEEEESE_x9plus_mod3IxExEEDaPvRmT3_T4_T5_mT6_P12ihipStream_tbENKUlT_T0_E_clISt17integral_constantIbLb0EEST_IbLb1EEEEDaSP_SQ_EUlSP_E_NS1_11comp_targetILNS1_3genE10ELNS1_11target_archE1200ELNS1_3gpuE4ELNS1_3repE0EEENS1_30default_config_static_selectorELNS0_4arch9wavefront6targetE1EEEvT1_: ; @_ZN7rocprim17ROCPRIM_400000_NS6detail17trampoline_kernelINS0_14default_configENS1_20scan_config_selectorIxEEZZNS1_9scan_implILNS1_25lookback_scan_determinismE0ELb0ELb0ES3_N6thrust23THRUST_200600_302600_NS6detail15normal_iteratorINS9_10device_ptrIxEEEESE_x9plus_mod3IxExEEDaPvRmT3_T4_T5_mT6_P12ihipStream_tbENKUlT_T0_E_clISt17integral_constantIbLb0EEST_IbLb1EEEEDaSP_SQ_EUlSP_E_NS1_11comp_targetILNS1_3genE10ELNS1_11target_archE1200ELNS1_3gpuE4ELNS1_3repE0EEENS1_30default_config_static_selectorELNS0_4arch9wavefront6targetE1EEEvT1_
; %bb.0:
	.section	.rodata,"a",@progbits
	.p2align	6, 0x0
	.amdhsa_kernel _ZN7rocprim17ROCPRIM_400000_NS6detail17trampoline_kernelINS0_14default_configENS1_20scan_config_selectorIxEEZZNS1_9scan_implILNS1_25lookback_scan_determinismE0ELb0ELb0ES3_N6thrust23THRUST_200600_302600_NS6detail15normal_iteratorINS9_10device_ptrIxEEEESE_x9plus_mod3IxExEEDaPvRmT3_T4_T5_mT6_P12ihipStream_tbENKUlT_T0_E_clISt17integral_constantIbLb0EEST_IbLb1EEEEDaSP_SQ_EUlSP_E_NS1_11comp_targetILNS1_3genE10ELNS1_11target_archE1200ELNS1_3gpuE4ELNS1_3repE0EEENS1_30default_config_static_selectorELNS0_4arch9wavefront6targetE1EEEvT1_
		.amdhsa_group_segment_fixed_size 0
		.amdhsa_private_segment_fixed_size 0
		.amdhsa_kernarg_size 104
		.amdhsa_user_sgpr_count 6
		.amdhsa_user_sgpr_private_segment_buffer 1
		.amdhsa_user_sgpr_dispatch_ptr 0
		.amdhsa_user_sgpr_queue_ptr 0
		.amdhsa_user_sgpr_kernarg_segment_ptr 1
		.amdhsa_user_sgpr_dispatch_id 0
		.amdhsa_user_sgpr_flat_scratch_init 0
		.amdhsa_user_sgpr_kernarg_preload_length 0
		.amdhsa_user_sgpr_kernarg_preload_offset 0
		.amdhsa_user_sgpr_private_segment_size 0
		.amdhsa_uses_dynamic_stack 0
		.amdhsa_system_sgpr_private_segment_wavefront_offset 0
		.amdhsa_system_sgpr_workgroup_id_x 1
		.amdhsa_system_sgpr_workgroup_id_y 0
		.amdhsa_system_sgpr_workgroup_id_z 0
		.amdhsa_system_sgpr_workgroup_info 0
		.amdhsa_system_vgpr_workitem_id 0
		.amdhsa_next_free_vgpr 1
		.amdhsa_next_free_sgpr 0
		.amdhsa_accum_offset 4
		.amdhsa_reserve_vcc 0
		.amdhsa_reserve_flat_scratch 0
		.amdhsa_float_round_mode_32 0
		.amdhsa_float_round_mode_16_64 0
		.amdhsa_float_denorm_mode_32 3
		.amdhsa_float_denorm_mode_16_64 3
		.amdhsa_dx10_clamp 1
		.amdhsa_ieee_mode 1
		.amdhsa_fp16_overflow 0
		.amdhsa_tg_split 0
		.amdhsa_exception_fp_ieee_invalid_op 0
		.amdhsa_exception_fp_denorm_src 0
		.amdhsa_exception_fp_ieee_div_zero 0
		.amdhsa_exception_fp_ieee_overflow 0
		.amdhsa_exception_fp_ieee_underflow 0
		.amdhsa_exception_fp_ieee_inexact 0
		.amdhsa_exception_int_div_zero 0
	.end_amdhsa_kernel
	.section	.text._ZN7rocprim17ROCPRIM_400000_NS6detail17trampoline_kernelINS0_14default_configENS1_20scan_config_selectorIxEEZZNS1_9scan_implILNS1_25lookback_scan_determinismE0ELb0ELb0ES3_N6thrust23THRUST_200600_302600_NS6detail15normal_iteratorINS9_10device_ptrIxEEEESE_x9plus_mod3IxExEEDaPvRmT3_T4_T5_mT6_P12ihipStream_tbENKUlT_T0_E_clISt17integral_constantIbLb0EEST_IbLb1EEEEDaSP_SQ_EUlSP_E_NS1_11comp_targetILNS1_3genE10ELNS1_11target_archE1200ELNS1_3gpuE4ELNS1_3repE0EEENS1_30default_config_static_selectorELNS0_4arch9wavefront6targetE1EEEvT1_,"axG",@progbits,_ZN7rocprim17ROCPRIM_400000_NS6detail17trampoline_kernelINS0_14default_configENS1_20scan_config_selectorIxEEZZNS1_9scan_implILNS1_25lookback_scan_determinismE0ELb0ELb0ES3_N6thrust23THRUST_200600_302600_NS6detail15normal_iteratorINS9_10device_ptrIxEEEESE_x9plus_mod3IxExEEDaPvRmT3_T4_T5_mT6_P12ihipStream_tbENKUlT_T0_E_clISt17integral_constantIbLb0EEST_IbLb1EEEEDaSP_SQ_EUlSP_E_NS1_11comp_targetILNS1_3genE10ELNS1_11target_archE1200ELNS1_3gpuE4ELNS1_3repE0EEENS1_30default_config_static_selectorELNS0_4arch9wavefront6targetE1EEEvT1_,comdat
.Lfunc_end6594:
	.size	_ZN7rocprim17ROCPRIM_400000_NS6detail17trampoline_kernelINS0_14default_configENS1_20scan_config_selectorIxEEZZNS1_9scan_implILNS1_25lookback_scan_determinismE0ELb0ELb0ES3_N6thrust23THRUST_200600_302600_NS6detail15normal_iteratorINS9_10device_ptrIxEEEESE_x9plus_mod3IxExEEDaPvRmT3_T4_T5_mT6_P12ihipStream_tbENKUlT_T0_E_clISt17integral_constantIbLb0EEST_IbLb1EEEEDaSP_SQ_EUlSP_E_NS1_11comp_targetILNS1_3genE10ELNS1_11target_archE1200ELNS1_3gpuE4ELNS1_3repE0EEENS1_30default_config_static_selectorELNS0_4arch9wavefront6targetE1EEEvT1_, .Lfunc_end6594-_ZN7rocprim17ROCPRIM_400000_NS6detail17trampoline_kernelINS0_14default_configENS1_20scan_config_selectorIxEEZZNS1_9scan_implILNS1_25lookback_scan_determinismE0ELb0ELb0ES3_N6thrust23THRUST_200600_302600_NS6detail15normal_iteratorINS9_10device_ptrIxEEEESE_x9plus_mod3IxExEEDaPvRmT3_T4_T5_mT6_P12ihipStream_tbENKUlT_T0_E_clISt17integral_constantIbLb0EEST_IbLb1EEEEDaSP_SQ_EUlSP_E_NS1_11comp_targetILNS1_3genE10ELNS1_11target_archE1200ELNS1_3gpuE4ELNS1_3repE0EEENS1_30default_config_static_selectorELNS0_4arch9wavefront6targetE1EEEvT1_
                                        ; -- End function
	.section	.AMDGPU.csdata,"",@progbits
; Kernel info:
; codeLenInByte = 0
; NumSgprs: 4
; NumVgprs: 0
; NumAgprs: 0
; TotalNumVgprs: 0
; ScratchSize: 0
; MemoryBound: 0
; FloatMode: 240
; IeeeMode: 1
; LDSByteSize: 0 bytes/workgroup (compile time only)
; SGPRBlocks: 0
; VGPRBlocks: 0
; NumSGPRsForWavesPerEU: 4
; NumVGPRsForWavesPerEU: 1
; AccumOffset: 4
; Occupancy: 8
; WaveLimiterHint : 0
; COMPUTE_PGM_RSRC2:SCRATCH_EN: 0
; COMPUTE_PGM_RSRC2:USER_SGPR: 6
; COMPUTE_PGM_RSRC2:TRAP_HANDLER: 0
; COMPUTE_PGM_RSRC2:TGID_X_EN: 1
; COMPUTE_PGM_RSRC2:TGID_Y_EN: 0
; COMPUTE_PGM_RSRC2:TGID_Z_EN: 0
; COMPUTE_PGM_RSRC2:TIDIG_COMP_CNT: 0
; COMPUTE_PGM_RSRC3_GFX90A:ACCUM_OFFSET: 0
; COMPUTE_PGM_RSRC3_GFX90A:TG_SPLIT: 0
	.section	.text._ZN7rocprim17ROCPRIM_400000_NS6detail17trampoline_kernelINS0_14default_configENS1_20scan_config_selectorIxEEZZNS1_9scan_implILNS1_25lookback_scan_determinismE0ELb0ELb0ES3_N6thrust23THRUST_200600_302600_NS6detail15normal_iteratorINS9_10device_ptrIxEEEESE_x9plus_mod3IxExEEDaPvRmT3_T4_T5_mT6_P12ihipStream_tbENKUlT_T0_E_clISt17integral_constantIbLb0EEST_IbLb1EEEEDaSP_SQ_EUlSP_E_NS1_11comp_targetILNS1_3genE9ELNS1_11target_archE1100ELNS1_3gpuE3ELNS1_3repE0EEENS1_30default_config_static_selectorELNS0_4arch9wavefront6targetE1EEEvT1_,"axG",@progbits,_ZN7rocprim17ROCPRIM_400000_NS6detail17trampoline_kernelINS0_14default_configENS1_20scan_config_selectorIxEEZZNS1_9scan_implILNS1_25lookback_scan_determinismE0ELb0ELb0ES3_N6thrust23THRUST_200600_302600_NS6detail15normal_iteratorINS9_10device_ptrIxEEEESE_x9plus_mod3IxExEEDaPvRmT3_T4_T5_mT6_P12ihipStream_tbENKUlT_T0_E_clISt17integral_constantIbLb0EEST_IbLb1EEEEDaSP_SQ_EUlSP_E_NS1_11comp_targetILNS1_3genE9ELNS1_11target_archE1100ELNS1_3gpuE3ELNS1_3repE0EEENS1_30default_config_static_selectorELNS0_4arch9wavefront6targetE1EEEvT1_,comdat
	.protected	_ZN7rocprim17ROCPRIM_400000_NS6detail17trampoline_kernelINS0_14default_configENS1_20scan_config_selectorIxEEZZNS1_9scan_implILNS1_25lookback_scan_determinismE0ELb0ELb0ES3_N6thrust23THRUST_200600_302600_NS6detail15normal_iteratorINS9_10device_ptrIxEEEESE_x9plus_mod3IxExEEDaPvRmT3_T4_T5_mT6_P12ihipStream_tbENKUlT_T0_E_clISt17integral_constantIbLb0EEST_IbLb1EEEEDaSP_SQ_EUlSP_E_NS1_11comp_targetILNS1_3genE9ELNS1_11target_archE1100ELNS1_3gpuE3ELNS1_3repE0EEENS1_30default_config_static_selectorELNS0_4arch9wavefront6targetE1EEEvT1_ ; -- Begin function _ZN7rocprim17ROCPRIM_400000_NS6detail17trampoline_kernelINS0_14default_configENS1_20scan_config_selectorIxEEZZNS1_9scan_implILNS1_25lookback_scan_determinismE0ELb0ELb0ES3_N6thrust23THRUST_200600_302600_NS6detail15normal_iteratorINS9_10device_ptrIxEEEESE_x9plus_mod3IxExEEDaPvRmT3_T4_T5_mT6_P12ihipStream_tbENKUlT_T0_E_clISt17integral_constantIbLb0EEST_IbLb1EEEEDaSP_SQ_EUlSP_E_NS1_11comp_targetILNS1_3genE9ELNS1_11target_archE1100ELNS1_3gpuE3ELNS1_3repE0EEENS1_30default_config_static_selectorELNS0_4arch9wavefront6targetE1EEEvT1_
	.globl	_ZN7rocprim17ROCPRIM_400000_NS6detail17trampoline_kernelINS0_14default_configENS1_20scan_config_selectorIxEEZZNS1_9scan_implILNS1_25lookback_scan_determinismE0ELb0ELb0ES3_N6thrust23THRUST_200600_302600_NS6detail15normal_iteratorINS9_10device_ptrIxEEEESE_x9plus_mod3IxExEEDaPvRmT3_T4_T5_mT6_P12ihipStream_tbENKUlT_T0_E_clISt17integral_constantIbLb0EEST_IbLb1EEEEDaSP_SQ_EUlSP_E_NS1_11comp_targetILNS1_3genE9ELNS1_11target_archE1100ELNS1_3gpuE3ELNS1_3repE0EEENS1_30default_config_static_selectorELNS0_4arch9wavefront6targetE1EEEvT1_
	.p2align	8
	.type	_ZN7rocprim17ROCPRIM_400000_NS6detail17trampoline_kernelINS0_14default_configENS1_20scan_config_selectorIxEEZZNS1_9scan_implILNS1_25lookback_scan_determinismE0ELb0ELb0ES3_N6thrust23THRUST_200600_302600_NS6detail15normal_iteratorINS9_10device_ptrIxEEEESE_x9plus_mod3IxExEEDaPvRmT3_T4_T5_mT6_P12ihipStream_tbENKUlT_T0_E_clISt17integral_constantIbLb0EEST_IbLb1EEEEDaSP_SQ_EUlSP_E_NS1_11comp_targetILNS1_3genE9ELNS1_11target_archE1100ELNS1_3gpuE3ELNS1_3repE0EEENS1_30default_config_static_selectorELNS0_4arch9wavefront6targetE1EEEvT1_,@function
_ZN7rocprim17ROCPRIM_400000_NS6detail17trampoline_kernelINS0_14default_configENS1_20scan_config_selectorIxEEZZNS1_9scan_implILNS1_25lookback_scan_determinismE0ELb0ELb0ES3_N6thrust23THRUST_200600_302600_NS6detail15normal_iteratorINS9_10device_ptrIxEEEESE_x9plus_mod3IxExEEDaPvRmT3_T4_T5_mT6_P12ihipStream_tbENKUlT_T0_E_clISt17integral_constantIbLb0EEST_IbLb1EEEEDaSP_SQ_EUlSP_E_NS1_11comp_targetILNS1_3genE9ELNS1_11target_archE1100ELNS1_3gpuE3ELNS1_3repE0EEENS1_30default_config_static_selectorELNS0_4arch9wavefront6targetE1EEEvT1_: ; @_ZN7rocprim17ROCPRIM_400000_NS6detail17trampoline_kernelINS0_14default_configENS1_20scan_config_selectorIxEEZZNS1_9scan_implILNS1_25lookback_scan_determinismE0ELb0ELb0ES3_N6thrust23THRUST_200600_302600_NS6detail15normal_iteratorINS9_10device_ptrIxEEEESE_x9plus_mod3IxExEEDaPvRmT3_T4_T5_mT6_P12ihipStream_tbENKUlT_T0_E_clISt17integral_constantIbLb0EEST_IbLb1EEEEDaSP_SQ_EUlSP_E_NS1_11comp_targetILNS1_3genE9ELNS1_11target_archE1100ELNS1_3gpuE3ELNS1_3repE0EEENS1_30default_config_static_selectorELNS0_4arch9wavefront6targetE1EEEvT1_
; %bb.0:
	.section	.rodata,"a",@progbits
	.p2align	6, 0x0
	.amdhsa_kernel _ZN7rocprim17ROCPRIM_400000_NS6detail17trampoline_kernelINS0_14default_configENS1_20scan_config_selectorIxEEZZNS1_9scan_implILNS1_25lookback_scan_determinismE0ELb0ELb0ES3_N6thrust23THRUST_200600_302600_NS6detail15normal_iteratorINS9_10device_ptrIxEEEESE_x9plus_mod3IxExEEDaPvRmT3_T4_T5_mT6_P12ihipStream_tbENKUlT_T0_E_clISt17integral_constantIbLb0EEST_IbLb1EEEEDaSP_SQ_EUlSP_E_NS1_11comp_targetILNS1_3genE9ELNS1_11target_archE1100ELNS1_3gpuE3ELNS1_3repE0EEENS1_30default_config_static_selectorELNS0_4arch9wavefront6targetE1EEEvT1_
		.amdhsa_group_segment_fixed_size 0
		.amdhsa_private_segment_fixed_size 0
		.amdhsa_kernarg_size 104
		.amdhsa_user_sgpr_count 6
		.amdhsa_user_sgpr_private_segment_buffer 1
		.amdhsa_user_sgpr_dispatch_ptr 0
		.amdhsa_user_sgpr_queue_ptr 0
		.amdhsa_user_sgpr_kernarg_segment_ptr 1
		.amdhsa_user_sgpr_dispatch_id 0
		.amdhsa_user_sgpr_flat_scratch_init 0
		.amdhsa_user_sgpr_kernarg_preload_length 0
		.amdhsa_user_sgpr_kernarg_preload_offset 0
		.amdhsa_user_sgpr_private_segment_size 0
		.amdhsa_uses_dynamic_stack 0
		.amdhsa_system_sgpr_private_segment_wavefront_offset 0
		.amdhsa_system_sgpr_workgroup_id_x 1
		.amdhsa_system_sgpr_workgroup_id_y 0
		.amdhsa_system_sgpr_workgroup_id_z 0
		.amdhsa_system_sgpr_workgroup_info 0
		.amdhsa_system_vgpr_workitem_id 0
		.amdhsa_next_free_vgpr 1
		.amdhsa_next_free_sgpr 0
		.amdhsa_accum_offset 4
		.amdhsa_reserve_vcc 0
		.amdhsa_reserve_flat_scratch 0
		.amdhsa_float_round_mode_32 0
		.amdhsa_float_round_mode_16_64 0
		.amdhsa_float_denorm_mode_32 3
		.amdhsa_float_denorm_mode_16_64 3
		.amdhsa_dx10_clamp 1
		.amdhsa_ieee_mode 1
		.amdhsa_fp16_overflow 0
		.amdhsa_tg_split 0
		.amdhsa_exception_fp_ieee_invalid_op 0
		.amdhsa_exception_fp_denorm_src 0
		.amdhsa_exception_fp_ieee_div_zero 0
		.amdhsa_exception_fp_ieee_overflow 0
		.amdhsa_exception_fp_ieee_underflow 0
		.amdhsa_exception_fp_ieee_inexact 0
		.amdhsa_exception_int_div_zero 0
	.end_amdhsa_kernel
	.section	.text._ZN7rocprim17ROCPRIM_400000_NS6detail17trampoline_kernelINS0_14default_configENS1_20scan_config_selectorIxEEZZNS1_9scan_implILNS1_25lookback_scan_determinismE0ELb0ELb0ES3_N6thrust23THRUST_200600_302600_NS6detail15normal_iteratorINS9_10device_ptrIxEEEESE_x9plus_mod3IxExEEDaPvRmT3_T4_T5_mT6_P12ihipStream_tbENKUlT_T0_E_clISt17integral_constantIbLb0EEST_IbLb1EEEEDaSP_SQ_EUlSP_E_NS1_11comp_targetILNS1_3genE9ELNS1_11target_archE1100ELNS1_3gpuE3ELNS1_3repE0EEENS1_30default_config_static_selectorELNS0_4arch9wavefront6targetE1EEEvT1_,"axG",@progbits,_ZN7rocprim17ROCPRIM_400000_NS6detail17trampoline_kernelINS0_14default_configENS1_20scan_config_selectorIxEEZZNS1_9scan_implILNS1_25lookback_scan_determinismE0ELb0ELb0ES3_N6thrust23THRUST_200600_302600_NS6detail15normal_iteratorINS9_10device_ptrIxEEEESE_x9plus_mod3IxExEEDaPvRmT3_T4_T5_mT6_P12ihipStream_tbENKUlT_T0_E_clISt17integral_constantIbLb0EEST_IbLb1EEEEDaSP_SQ_EUlSP_E_NS1_11comp_targetILNS1_3genE9ELNS1_11target_archE1100ELNS1_3gpuE3ELNS1_3repE0EEENS1_30default_config_static_selectorELNS0_4arch9wavefront6targetE1EEEvT1_,comdat
.Lfunc_end6595:
	.size	_ZN7rocprim17ROCPRIM_400000_NS6detail17trampoline_kernelINS0_14default_configENS1_20scan_config_selectorIxEEZZNS1_9scan_implILNS1_25lookback_scan_determinismE0ELb0ELb0ES3_N6thrust23THRUST_200600_302600_NS6detail15normal_iteratorINS9_10device_ptrIxEEEESE_x9plus_mod3IxExEEDaPvRmT3_T4_T5_mT6_P12ihipStream_tbENKUlT_T0_E_clISt17integral_constantIbLb0EEST_IbLb1EEEEDaSP_SQ_EUlSP_E_NS1_11comp_targetILNS1_3genE9ELNS1_11target_archE1100ELNS1_3gpuE3ELNS1_3repE0EEENS1_30default_config_static_selectorELNS0_4arch9wavefront6targetE1EEEvT1_, .Lfunc_end6595-_ZN7rocprim17ROCPRIM_400000_NS6detail17trampoline_kernelINS0_14default_configENS1_20scan_config_selectorIxEEZZNS1_9scan_implILNS1_25lookback_scan_determinismE0ELb0ELb0ES3_N6thrust23THRUST_200600_302600_NS6detail15normal_iteratorINS9_10device_ptrIxEEEESE_x9plus_mod3IxExEEDaPvRmT3_T4_T5_mT6_P12ihipStream_tbENKUlT_T0_E_clISt17integral_constantIbLb0EEST_IbLb1EEEEDaSP_SQ_EUlSP_E_NS1_11comp_targetILNS1_3genE9ELNS1_11target_archE1100ELNS1_3gpuE3ELNS1_3repE0EEENS1_30default_config_static_selectorELNS0_4arch9wavefront6targetE1EEEvT1_
                                        ; -- End function
	.section	.AMDGPU.csdata,"",@progbits
; Kernel info:
; codeLenInByte = 0
; NumSgprs: 4
; NumVgprs: 0
; NumAgprs: 0
; TotalNumVgprs: 0
; ScratchSize: 0
; MemoryBound: 0
; FloatMode: 240
; IeeeMode: 1
; LDSByteSize: 0 bytes/workgroup (compile time only)
; SGPRBlocks: 0
; VGPRBlocks: 0
; NumSGPRsForWavesPerEU: 4
; NumVGPRsForWavesPerEU: 1
; AccumOffset: 4
; Occupancy: 8
; WaveLimiterHint : 0
; COMPUTE_PGM_RSRC2:SCRATCH_EN: 0
; COMPUTE_PGM_RSRC2:USER_SGPR: 6
; COMPUTE_PGM_RSRC2:TRAP_HANDLER: 0
; COMPUTE_PGM_RSRC2:TGID_X_EN: 1
; COMPUTE_PGM_RSRC2:TGID_Y_EN: 0
; COMPUTE_PGM_RSRC2:TGID_Z_EN: 0
; COMPUTE_PGM_RSRC2:TIDIG_COMP_CNT: 0
; COMPUTE_PGM_RSRC3_GFX90A:ACCUM_OFFSET: 0
; COMPUTE_PGM_RSRC3_GFX90A:TG_SPLIT: 0
	.section	.text._ZN7rocprim17ROCPRIM_400000_NS6detail17trampoline_kernelINS0_14default_configENS1_20scan_config_selectorIxEEZZNS1_9scan_implILNS1_25lookback_scan_determinismE0ELb0ELb0ES3_N6thrust23THRUST_200600_302600_NS6detail15normal_iteratorINS9_10device_ptrIxEEEESE_x9plus_mod3IxExEEDaPvRmT3_T4_T5_mT6_P12ihipStream_tbENKUlT_T0_E_clISt17integral_constantIbLb0EEST_IbLb1EEEEDaSP_SQ_EUlSP_E_NS1_11comp_targetILNS1_3genE8ELNS1_11target_archE1030ELNS1_3gpuE2ELNS1_3repE0EEENS1_30default_config_static_selectorELNS0_4arch9wavefront6targetE1EEEvT1_,"axG",@progbits,_ZN7rocprim17ROCPRIM_400000_NS6detail17trampoline_kernelINS0_14default_configENS1_20scan_config_selectorIxEEZZNS1_9scan_implILNS1_25lookback_scan_determinismE0ELb0ELb0ES3_N6thrust23THRUST_200600_302600_NS6detail15normal_iteratorINS9_10device_ptrIxEEEESE_x9plus_mod3IxExEEDaPvRmT3_T4_T5_mT6_P12ihipStream_tbENKUlT_T0_E_clISt17integral_constantIbLb0EEST_IbLb1EEEEDaSP_SQ_EUlSP_E_NS1_11comp_targetILNS1_3genE8ELNS1_11target_archE1030ELNS1_3gpuE2ELNS1_3repE0EEENS1_30default_config_static_selectorELNS0_4arch9wavefront6targetE1EEEvT1_,comdat
	.protected	_ZN7rocprim17ROCPRIM_400000_NS6detail17trampoline_kernelINS0_14default_configENS1_20scan_config_selectorIxEEZZNS1_9scan_implILNS1_25lookback_scan_determinismE0ELb0ELb0ES3_N6thrust23THRUST_200600_302600_NS6detail15normal_iteratorINS9_10device_ptrIxEEEESE_x9plus_mod3IxExEEDaPvRmT3_T4_T5_mT6_P12ihipStream_tbENKUlT_T0_E_clISt17integral_constantIbLb0EEST_IbLb1EEEEDaSP_SQ_EUlSP_E_NS1_11comp_targetILNS1_3genE8ELNS1_11target_archE1030ELNS1_3gpuE2ELNS1_3repE0EEENS1_30default_config_static_selectorELNS0_4arch9wavefront6targetE1EEEvT1_ ; -- Begin function _ZN7rocprim17ROCPRIM_400000_NS6detail17trampoline_kernelINS0_14default_configENS1_20scan_config_selectorIxEEZZNS1_9scan_implILNS1_25lookback_scan_determinismE0ELb0ELb0ES3_N6thrust23THRUST_200600_302600_NS6detail15normal_iteratorINS9_10device_ptrIxEEEESE_x9plus_mod3IxExEEDaPvRmT3_T4_T5_mT6_P12ihipStream_tbENKUlT_T0_E_clISt17integral_constantIbLb0EEST_IbLb1EEEEDaSP_SQ_EUlSP_E_NS1_11comp_targetILNS1_3genE8ELNS1_11target_archE1030ELNS1_3gpuE2ELNS1_3repE0EEENS1_30default_config_static_selectorELNS0_4arch9wavefront6targetE1EEEvT1_
	.globl	_ZN7rocprim17ROCPRIM_400000_NS6detail17trampoline_kernelINS0_14default_configENS1_20scan_config_selectorIxEEZZNS1_9scan_implILNS1_25lookback_scan_determinismE0ELb0ELb0ES3_N6thrust23THRUST_200600_302600_NS6detail15normal_iteratorINS9_10device_ptrIxEEEESE_x9plus_mod3IxExEEDaPvRmT3_T4_T5_mT6_P12ihipStream_tbENKUlT_T0_E_clISt17integral_constantIbLb0EEST_IbLb1EEEEDaSP_SQ_EUlSP_E_NS1_11comp_targetILNS1_3genE8ELNS1_11target_archE1030ELNS1_3gpuE2ELNS1_3repE0EEENS1_30default_config_static_selectorELNS0_4arch9wavefront6targetE1EEEvT1_
	.p2align	8
	.type	_ZN7rocprim17ROCPRIM_400000_NS6detail17trampoline_kernelINS0_14default_configENS1_20scan_config_selectorIxEEZZNS1_9scan_implILNS1_25lookback_scan_determinismE0ELb0ELb0ES3_N6thrust23THRUST_200600_302600_NS6detail15normal_iteratorINS9_10device_ptrIxEEEESE_x9plus_mod3IxExEEDaPvRmT3_T4_T5_mT6_P12ihipStream_tbENKUlT_T0_E_clISt17integral_constantIbLb0EEST_IbLb1EEEEDaSP_SQ_EUlSP_E_NS1_11comp_targetILNS1_3genE8ELNS1_11target_archE1030ELNS1_3gpuE2ELNS1_3repE0EEENS1_30default_config_static_selectorELNS0_4arch9wavefront6targetE1EEEvT1_,@function
_ZN7rocprim17ROCPRIM_400000_NS6detail17trampoline_kernelINS0_14default_configENS1_20scan_config_selectorIxEEZZNS1_9scan_implILNS1_25lookback_scan_determinismE0ELb0ELb0ES3_N6thrust23THRUST_200600_302600_NS6detail15normal_iteratorINS9_10device_ptrIxEEEESE_x9plus_mod3IxExEEDaPvRmT3_T4_T5_mT6_P12ihipStream_tbENKUlT_T0_E_clISt17integral_constantIbLb0EEST_IbLb1EEEEDaSP_SQ_EUlSP_E_NS1_11comp_targetILNS1_3genE8ELNS1_11target_archE1030ELNS1_3gpuE2ELNS1_3repE0EEENS1_30default_config_static_selectorELNS0_4arch9wavefront6targetE1EEEvT1_: ; @_ZN7rocprim17ROCPRIM_400000_NS6detail17trampoline_kernelINS0_14default_configENS1_20scan_config_selectorIxEEZZNS1_9scan_implILNS1_25lookback_scan_determinismE0ELb0ELb0ES3_N6thrust23THRUST_200600_302600_NS6detail15normal_iteratorINS9_10device_ptrIxEEEESE_x9plus_mod3IxExEEDaPvRmT3_T4_T5_mT6_P12ihipStream_tbENKUlT_T0_E_clISt17integral_constantIbLb0EEST_IbLb1EEEEDaSP_SQ_EUlSP_E_NS1_11comp_targetILNS1_3genE8ELNS1_11target_archE1030ELNS1_3gpuE2ELNS1_3repE0EEENS1_30default_config_static_selectorELNS0_4arch9wavefront6targetE1EEEvT1_
; %bb.0:
	.section	.rodata,"a",@progbits
	.p2align	6, 0x0
	.amdhsa_kernel _ZN7rocprim17ROCPRIM_400000_NS6detail17trampoline_kernelINS0_14default_configENS1_20scan_config_selectorIxEEZZNS1_9scan_implILNS1_25lookback_scan_determinismE0ELb0ELb0ES3_N6thrust23THRUST_200600_302600_NS6detail15normal_iteratorINS9_10device_ptrIxEEEESE_x9plus_mod3IxExEEDaPvRmT3_T4_T5_mT6_P12ihipStream_tbENKUlT_T0_E_clISt17integral_constantIbLb0EEST_IbLb1EEEEDaSP_SQ_EUlSP_E_NS1_11comp_targetILNS1_3genE8ELNS1_11target_archE1030ELNS1_3gpuE2ELNS1_3repE0EEENS1_30default_config_static_selectorELNS0_4arch9wavefront6targetE1EEEvT1_
		.amdhsa_group_segment_fixed_size 0
		.amdhsa_private_segment_fixed_size 0
		.amdhsa_kernarg_size 104
		.amdhsa_user_sgpr_count 6
		.amdhsa_user_sgpr_private_segment_buffer 1
		.amdhsa_user_sgpr_dispatch_ptr 0
		.amdhsa_user_sgpr_queue_ptr 0
		.amdhsa_user_sgpr_kernarg_segment_ptr 1
		.amdhsa_user_sgpr_dispatch_id 0
		.amdhsa_user_sgpr_flat_scratch_init 0
		.amdhsa_user_sgpr_kernarg_preload_length 0
		.amdhsa_user_sgpr_kernarg_preload_offset 0
		.amdhsa_user_sgpr_private_segment_size 0
		.amdhsa_uses_dynamic_stack 0
		.amdhsa_system_sgpr_private_segment_wavefront_offset 0
		.amdhsa_system_sgpr_workgroup_id_x 1
		.amdhsa_system_sgpr_workgroup_id_y 0
		.amdhsa_system_sgpr_workgroup_id_z 0
		.amdhsa_system_sgpr_workgroup_info 0
		.amdhsa_system_vgpr_workitem_id 0
		.amdhsa_next_free_vgpr 1
		.amdhsa_next_free_sgpr 0
		.amdhsa_accum_offset 4
		.amdhsa_reserve_vcc 0
		.amdhsa_reserve_flat_scratch 0
		.amdhsa_float_round_mode_32 0
		.amdhsa_float_round_mode_16_64 0
		.amdhsa_float_denorm_mode_32 3
		.amdhsa_float_denorm_mode_16_64 3
		.amdhsa_dx10_clamp 1
		.amdhsa_ieee_mode 1
		.amdhsa_fp16_overflow 0
		.amdhsa_tg_split 0
		.amdhsa_exception_fp_ieee_invalid_op 0
		.amdhsa_exception_fp_denorm_src 0
		.amdhsa_exception_fp_ieee_div_zero 0
		.amdhsa_exception_fp_ieee_overflow 0
		.amdhsa_exception_fp_ieee_underflow 0
		.amdhsa_exception_fp_ieee_inexact 0
		.amdhsa_exception_int_div_zero 0
	.end_amdhsa_kernel
	.section	.text._ZN7rocprim17ROCPRIM_400000_NS6detail17trampoline_kernelINS0_14default_configENS1_20scan_config_selectorIxEEZZNS1_9scan_implILNS1_25lookback_scan_determinismE0ELb0ELb0ES3_N6thrust23THRUST_200600_302600_NS6detail15normal_iteratorINS9_10device_ptrIxEEEESE_x9plus_mod3IxExEEDaPvRmT3_T4_T5_mT6_P12ihipStream_tbENKUlT_T0_E_clISt17integral_constantIbLb0EEST_IbLb1EEEEDaSP_SQ_EUlSP_E_NS1_11comp_targetILNS1_3genE8ELNS1_11target_archE1030ELNS1_3gpuE2ELNS1_3repE0EEENS1_30default_config_static_selectorELNS0_4arch9wavefront6targetE1EEEvT1_,"axG",@progbits,_ZN7rocprim17ROCPRIM_400000_NS6detail17trampoline_kernelINS0_14default_configENS1_20scan_config_selectorIxEEZZNS1_9scan_implILNS1_25lookback_scan_determinismE0ELb0ELb0ES3_N6thrust23THRUST_200600_302600_NS6detail15normal_iteratorINS9_10device_ptrIxEEEESE_x9plus_mod3IxExEEDaPvRmT3_T4_T5_mT6_P12ihipStream_tbENKUlT_T0_E_clISt17integral_constantIbLb0EEST_IbLb1EEEEDaSP_SQ_EUlSP_E_NS1_11comp_targetILNS1_3genE8ELNS1_11target_archE1030ELNS1_3gpuE2ELNS1_3repE0EEENS1_30default_config_static_selectorELNS0_4arch9wavefront6targetE1EEEvT1_,comdat
.Lfunc_end6596:
	.size	_ZN7rocprim17ROCPRIM_400000_NS6detail17trampoline_kernelINS0_14default_configENS1_20scan_config_selectorIxEEZZNS1_9scan_implILNS1_25lookback_scan_determinismE0ELb0ELb0ES3_N6thrust23THRUST_200600_302600_NS6detail15normal_iteratorINS9_10device_ptrIxEEEESE_x9plus_mod3IxExEEDaPvRmT3_T4_T5_mT6_P12ihipStream_tbENKUlT_T0_E_clISt17integral_constantIbLb0EEST_IbLb1EEEEDaSP_SQ_EUlSP_E_NS1_11comp_targetILNS1_3genE8ELNS1_11target_archE1030ELNS1_3gpuE2ELNS1_3repE0EEENS1_30default_config_static_selectorELNS0_4arch9wavefront6targetE1EEEvT1_, .Lfunc_end6596-_ZN7rocprim17ROCPRIM_400000_NS6detail17trampoline_kernelINS0_14default_configENS1_20scan_config_selectorIxEEZZNS1_9scan_implILNS1_25lookback_scan_determinismE0ELb0ELb0ES3_N6thrust23THRUST_200600_302600_NS6detail15normal_iteratorINS9_10device_ptrIxEEEESE_x9plus_mod3IxExEEDaPvRmT3_T4_T5_mT6_P12ihipStream_tbENKUlT_T0_E_clISt17integral_constantIbLb0EEST_IbLb1EEEEDaSP_SQ_EUlSP_E_NS1_11comp_targetILNS1_3genE8ELNS1_11target_archE1030ELNS1_3gpuE2ELNS1_3repE0EEENS1_30default_config_static_selectorELNS0_4arch9wavefront6targetE1EEEvT1_
                                        ; -- End function
	.section	.AMDGPU.csdata,"",@progbits
; Kernel info:
; codeLenInByte = 0
; NumSgprs: 4
; NumVgprs: 0
; NumAgprs: 0
; TotalNumVgprs: 0
; ScratchSize: 0
; MemoryBound: 0
; FloatMode: 240
; IeeeMode: 1
; LDSByteSize: 0 bytes/workgroup (compile time only)
; SGPRBlocks: 0
; VGPRBlocks: 0
; NumSGPRsForWavesPerEU: 4
; NumVGPRsForWavesPerEU: 1
; AccumOffset: 4
; Occupancy: 8
; WaveLimiterHint : 0
; COMPUTE_PGM_RSRC2:SCRATCH_EN: 0
; COMPUTE_PGM_RSRC2:USER_SGPR: 6
; COMPUTE_PGM_RSRC2:TRAP_HANDLER: 0
; COMPUTE_PGM_RSRC2:TGID_X_EN: 1
; COMPUTE_PGM_RSRC2:TGID_Y_EN: 0
; COMPUTE_PGM_RSRC2:TGID_Z_EN: 0
; COMPUTE_PGM_RSRC2:TIDIG_COMP_CNT: 0
; COMPUTE_PGM_RSRC3_GFX90A:ACCUM_OFFSET: 0
; COMPUTE_PGM_RSRC3_GFX90A:TG_SPLIT: 0
	.section	.text._ZN7rocprim17ROCPRIM_400000_NS6detail17trampoline_kernelINS0_14default_configENS1_20scan_config_selectorIxEEZZNS1_9scan_implILNS1_25lookback_scan_determinismE0ELb0ELb0ES3_N6thrust23THRUST_200600_302600_NS6detail15normal_iteratorINS9_10device_ptrIxEEEESE_x9plus_mod3IxExEEDaPvRmT3_T4_T5_mT6_P12ihipStream_tbENKUlT_T0_E_clISt17integral_constantIbLb0EEST_IbLb1EEEEDaSP_SQ_EUlSP_E0_NS1_11comp_targetILNS1_3genE0ELNS1_11target_archE4294967295ELNS1_3gpuE0ELNS1_3repE0EEENS1_30default_config_static_selectorELNS0_4arch9wavefront6targetE1EEEvT1_,"axG",@progbits,_ZN7rocprim17ROCPRIM_400000_NS6detail17trampoline_kernelINS0_14default_configENS1_20scan_config_selectorIxEEZZNS1_9scan_implILNS1_25lookback_scan_determinismE0ELb0ELb0ES3_N6thrust23THRUST_200600_302600_NS6detail15normal_iteratorINS9_10device_ptrIxEEEESE_x9plus_mod3IxExEEDaPvRmT3_T4_T5_mT6_P12ihipStream_tbENKUlT_T0_E_clISt17integral_constantIbLb0EEST_IbLb1EEEEDaSP_SQ_EUlSP_E0_NS1_11comp_targetILNS1_3genE0ELNS1_11target_archE4294967295ELNS1_3gpuE0ELNS1_3repE0EEENS1_30default_config_static_selectorELNS0_4arch9wavefront6targetE1EEEvT1_,comdat
	.protected	_ZN7rocprim17ROCPRIM_400000_NS6detail17trampoline_kernelINS0_14default_configENS1_20scan_config_selectorIxEEZZNS1_9scan_implILNS1_25lookback_scan_determinismE0ELb0ELb0ES3_N6thrust23THRUST_200600_302600_NS6detail15normal_iteratorINS9_10device_ptrIxEEEESE_x9plus_mod3IxExEEDaPvRmT3_T4_T5_mT6_P12ihipStream_tbENKUlT_T0_E_clISt17integral_constantIbLb0EEST_IbLb1EEEEDaSP_SQ_EUlSP_E0_NS1_11comp_targetILNS1_3genE0ELNS1_11target_archE4294967295ELNS1_3gpuE0ELNS1_3repE0EEENS1_30default_config_static_selectorELNS0_4arch9wavefront6targetE1EEEvT1_ ; -- Begin function _ZN7rocprim17ROCPRIM_400000_NS6detail17trampoline_kernelINS0_14default_configENS1_20scan_config_selectorIxEEZZNS1_9scan_implILNS1_25lookback_scan_determinismE0ELb0ELb0ES3_N6thrust23THRUST_200600_302600_NS6detail15normal_iteratorINS9_10device_ptrIxEEEESE_x9plus_mod3IxExEEDaPvRmT3_T4_T5_mT6_P12ihipStream_tbENKUlT_T0_E_clISt17integral_constantIbLb0EEST_IbLb1EEEEDaSP_SQ_EUlSP_E0_NS1_11comp_targetILNS1_3genE0ELNS1_11target_archE4294967295ELNS1_3gpuE0ELNS1_3repE0EEENS1_30default_config_static_selectorELNS0_4arch9wavefront6targetE1EEEvT1_
	.globl	_ZN7rocprim17ROCPRIM_400000_NS6detail17trampoline_kernelINS0_14default_configENS1_20scan_config_selectorIxEEZZNS1_9scan_implILNS1_25lookback_scan_determinismE0ELb0ELb0ES3_N6thrust23THRUST_200600_302600_NS6detail15normal_iteratorINS9_10device_ptrIxEEEESE_x9plus_mod3IxExEEDaPvRmT3_T4_T5_mT6_P12ihipStream_tbENKUlT_T0_E_clISt17integral_constantIbLb0EEST_IbLb1EEEEDaSP_SQ_EUlSP_E0_NS1_11comp_targetILNS1_3genE0ELNS1_11target_archE4294967295ELNS1_3gpuE0ELNS1_3repE0EEENS1_30default_config_static_selectorELNS0_4arch9wavefront6targetE1EEEvT1_
	.p2align	8
	.type	_ZN7rocprim17ROCPRIM_400000_NS6detail17trampoline_kernelINS0_14default_configENS1_20scan_config_selectorIxEEZZNS1_9scan_implILNS1_25lookback_scan_determinismE0ELb0ELb0ES3_N6thrust23THRUST_200600_302600_NS6detail15normal_iteratorINS9_10device_ptrIxEEEESE_x9plus_mod3IxExEEDaPvRmT3_T4_T5_mT6_P12ihipStream_tbENKUlT_T0_E_clISt17integral_constantIbLb0EEST_IbLb1EEEEDaSP_SQ_EUlSP_E0_NS1_11comp_targetILNS1_3genE0ELNS1_11target_archE4294967295ELNS1_3gpuE0ELNS1_3repE0EEENS1_30default_config_static_selectorELNS0_4arch9wavefront6targetE1EEEvT1_,@function
_ZN7rocprim17ROCPRIM_400000_NS6detail17trampoline_kernelINS0_14default_configENS1_20scan_config_selectorIxEEZZNS1_9scan_implILNS1_25lookback_scan_determinismE0ELb0ELb0ES3_N6thrust23THRUST_200600_302600_NS6detail15normal_iteratorINS9_10device_ptrIxEEEESE_x9plus_mod3IxExEEDaPvRmT3_T4_T5_mT6_P12ihipStream_tbENKUlT_T0_E_clISt17integral_constantIbLb0EEST_IbLb1EEEEDaSP_SQ_EUlSP_E0_NS1_11comp_targetILNS1_3genE0ELNS1_11target_archE4294967295ELNS1_3gpuE0ELNS1_3repE0EEENS1_30default_config_static_selectorELNS0_4arch9wavefront6targetE1EEEvT1_: ; @_ZN7rocprim17ROCPRIM_400000_NS6detail17trampoline_kernelINS0_14default_configENS1_20scan_config_selectorIxEEZZNS1_9scan_implILNS1_25lookback_scan_determinismE0ELb0ELb0ES3_N6thrust23THRUST_200600_302600_NS6detail15normal_iteratorINS9_10device_ptrIxEEEESE_x9plus_mod3IxExEEDaPvRmT3_T4_T5_mT6_P12ihipStream_tbENKUlT_T0_E_clISt17integral_constantIbLb0EEST_IbLb1EEEEDaSP_SQ_EUlSP_E0_NS1_11comp_targetILNS1_3genE0ELNS1_11target_archE4294967295ELNS1_3gpuE0ELNS1_3repE0EEENS1_30default_config_static_selectorELNS0_4arch9wavefront6targetE1EEEvT1_
; %bb.0:
	.section	.rodata,"a",@progbits
	.p2align	6, 0x0
	.amdhsa_kernel _ZN7rocprim17ROCPRIM_400000_NS6detail17trampoline_kernelINS0_14default_configENS1_20scan_config_selectorIxEEZZNS1_9scan_implILNS1_25lookback_scan_determinismE0ELb0ELb0ES3_N6thrust23THRUST_200600_302600_NS6detail15normal_iteratorINS9_10device_ptrIxEEEESE_x9plus_mod3IxExEEDaPvRmT3_T4_T5_mT6_P12ihipStream_tbENKUlT_T0_E_clISt17integral_constantIbLb0EEST_IbLb1EEEEDaSP_SQ_EUlSP_E0_NS1_11comp_targetILNS1_3genE0ELNS1_11target_archE4294967295ELNS1_3gpuE0ELNS1_3repE0EEENS1_30default_config_static_selectorELNS0_4arch9wavefront6targetE1EEEvT1_
		.amdhsa_group_segment_fixed_size 0
		.amdhsa_private_segment_fixed_size 0
		.amdhsa_kernarg_size 40
		.amdhsa_user_sgpr_count 6
		.amdhsa_user_sgpr_private_segment_buffer 1
		.amdhsa_user_sgpr_dispatch_ptr 0
		.amdhsa_user_sgpr_queue_ptr 0
		.amdhsa_user_sgpr_kernarg_segment_ptr 1
		.amdhsa_user_sgpr_dispatch_id 0
		.amdhsa_user_sgpr_flat_scratch_init 0
		.amdhsa_user_sgpr_kernarg_preload_length 0
		.amdhsa_user_sgpr_kernarg_preload_offset 0
		.amdhsa_user_sgpr_private_segment_size 0
		.amdhsa_uses_dynamic_stack 0
		.amdhsa_system_sgpr_private_segment_wavefront_offset 0
		.amdhsa_system_sgpr_workgroup_id_x 1
		.amdhsa_system_sgpr_workgroup_id_y 0
		.amdhsa_system_sgpr_workgroup_id_z 0
		.amdhsa_system_sgpr_workgroup_info 0
		.amdhsa_system_vgpr_workitem_id 0
		.amdhsa_next_free_vgpr 1
		.amdhsa_next_free_sgpr 0
		.amdhsa_accum_offset 4
		.amdhsa_reserve_vcc 0
		.amdhsa_reserve_flat_scratch 0
		.amdhsa_float_round_mode_32 0
		.amdhsa_float_round_mode_16_64 0
		.amdhsa_float_denorm_mode_32 3
		.amdhsa_float_denorm_mode_16_64 3
		.amdhsa_dx10_clamp 1
		.amdhsa_ieee_mode 1
		.amdhsa_fp16_overflow 0
		.amdhsa_tg_split 0
		.amdhsa_exception_fp_ieee_invalid_op 0
		.amdhsa_exception_fp_denorm_src 0
		.amdhsa_exception_fp_ieee_div_zero 0
		.amdhsa_exception_fp_ieee_overflow 0
		.amdhsa_exception_fp_ieee_underflow 0
		.amdhsa_exception_fp_ieee_inexact 0
		.amdhsa_exception_int_div_zero 0
	.end_amdhsa_kernel
	.section	.text._ZN7rocprim17ROCPRIM_400000_NS6detail17trampoline_kernelINS0_14default_configENS1_20scan_config_selectorIxEEZZNS1_9scan_implILNS1_25lookback_scan_determinismE0ELb0ELb0ES3_N6thrust23THRUST_200600_302600_NS6detail15normal_iteratorINS9_10device_ptrIxEEEESE_x9plus_mod3IxExEEDaPvRmT3_T4_T5_mT6_P12ihipStream_tbENKUlT_T0_E_clISt17integral_constantIbLb0EEST_IbLb1EEEEDaSP_SQ_EUlSP_E0_NS1_11comp_targetILNS1_3genE0ELNS1_11target_archE4294967295ELNS1_3gpuE0ELNS1_3repE0EEENS1_30default_config_static_selectorELNS0_4arch9wavefront6targetE1EEEvT1_,"axG",@progbits,_ZN7rocprim17ROCPRIM_400000_NS6detail17trampoline_kernelINS0_14default_configENS1_20scan_config_selectorIxEEZZNS1_9scan_implILNS1_25lookback_scan_determinismE0ELb0ELb0ES3_N6thrust23THRUST_200600_302600_NS6detail15normal_iteratorINS9_10device_ptrIxEEEESE_x9plus_mod3IxExEEDaPvRmT3_T4_T5_mT6_P12ihipStream_tbENKUlT_T0_E_clISt17integral_constantIbLb0EEST_IbLb1EEEEDaSP_SQ_EUlSP_E0_NS1_11comp_targetILNS1_3genE0ELNS1_11target_archE4294967295ELNS1_3gpuE0ELNS1_3repE0EEENS1_30default_config_static_selectorELNS0_4arch9wavefront6targetE1EEEvT1_,comdat
.Lfunc_end6597:
	.size	_ZN7rocprim17ROCPRIM_400000_NS6detail17trampoline_kernelINS0_14default_configENS1_20scan_config_selectorIxEEZZNS1_9scan_implILNS1_25lookback_scan_determinismE0ELb0ELb0ES3_N6thrust23THRUST_200600_302600_NS6detail15normal_iteratorINS9_10device_ptrIxEEEESE_x9plus_mod3IxExEEDaPvRmT3_T4_T5_mT6_P12ihipStream_tbENKUlT_T0_E_clISt17integral_constantIbLb0EEST_IbLb1EEEEDaSP_SQ_EUlSP_E0_NS1_11comp_targetILNS1_3genE0ELNS1_11target_archE4294967295ELNS1_3gpuE0ELNS1_3repE0EEENS1_30default_config_static_selectorELNS0_4arch9wavefront6targetE1EEEvT1_, .Lfunc_end6597-_ZN7rocprim17ROCPRIM_400000_NS6detail17trampoline_kernelINS0_14default_configENS1_20scan_config_selectorIxEEZZNS1_9scan_implILNS1_25lookback_scan_determinismE0ELb0ELb0ES3_N6thrust23THRUST_200600_302600_NS6detail15normal_iteratorINS9_10device_ptrIxEEEESE_x9plus_mod3IxExEEDaPvRmT3_T4_T5_mT6_P12ihipStream_tbENKUlT_T0_E_clISt17integral_constantIbLb0EEST_IbLb1EEEEDaSP_SQ_EUlSP_E0_NS1_11comp_targetILNS1_3genE0ELNS1_11target_archE4294967295ELNS1_3gpuE0ELNS1_3repE0EEENS1_30default_config_static_selectorELNS0_4arch9wavefront6targetE1EEEvT1_
                                        ; -- End function
	.section	.AMDGPU.csdata,"",@progbits
; Kernel info:
; codeLenInByte = 0
; NumSgprs: 4
; NumVgprs: 0
; NumAgprs: 0
; TotalNumVgprs: 0
; ScratchSize: 0
; MemoryBound: 0
; FloatMode: 240
; IeeeMode: 1
; LDSByteSize: 0 bytes/workgroup (compile time only)
; SGPRBlocks: 0
; VGPRBlocks: 0
; NumSGPRsForWavesPerEU: 4
; NumVGPRsForWavesPerEU: 1
; AccumOffset: 4
; Occupancy: 8
; WaveLimiterHint : 0
; COMPUTE_PGM_RSRC2:SCRATCH_EN: 0
; COMPUTE_PGM_RSRC2:USER_SGPR: 6
; COMPUTE_PGM_RSRC2:TRAP_HANDLER: 0
; COMPUTE_PGM_RSRC2:TGID_X_EN: 1
; COMPUTE_PGM_RSRC2:TGID_Y_EN: 0
; COMPUTE_PGM_RSRC2:TGID_Z_EN: 0
; COMPUTE_PGM_RSRC2:TIDIG_COMP_CNT: 0
; COMPUTE_PGM_RSRC3_GFX90A:ACCUM_OFFSET: 0
; COMPUTE_PGM_RSRC3_GFX90A:TG_SPLIT: 0
	.section	.text._ZN7rocprim17ROCPRIM_400000_NS6detail17trampoline_kernelINS0_14default_configENS1_20scan_config_selectorIxEEZZNS1_9scan_implILNS1_25lookback_scan_determinismE0ELb0ELb0ES3_N6thrust23THRUST_200600_302600_NS6detail15normal_iteratorINS9_10device_ptrIxEEEESE_x9plus_mod3IxExEEDaPvRmT3_T4_T5_mT6_P12ihipStream_tbENKUlT_T0_E_clISt17integral_constantIbLb0EEST_IbLb1EEEEDaSP_SQ_EUlSP_E0_NS1_11comp_targetILNS1_3genE5ELNS1_11target_archE942ELNS1_3gpuE9ELNS1_3repE0EEENS1_30default_config_static_selectorELNS0_4arch9wavefront6targetE1EEEvT1_,"axG",@progbits,_ZN7rocprim17ROCPRIM_400000_NS6detail17trampoline_kernelINS0_14default_configENS1_20scan_config_selectorIxEEZZNS1_9scan_implILNS1_25lookback_scan_determinismE0ELb0ELb0ES3_N6thrust23THRUST_200600_302600_NS6detail15normal_iteratorINS9_10device_ptrIxEEEESE_x9plus_mod3IxExEEDaPvRmT3_T4_T5_mT6_P12ihipStream_tbENKUlT_T0_E_clISt17integral_constantIbLb0EEST_IbLb1EEEEDaSP_SQ_EUlSP_E0_NS1_11comp_targetILNS1_3genE5ELNS1_11target_archE942ELNS1_3gpuE9ELNS1_3repE0EEENS1_30default_config_static_selectorELNS0_4arch9wavefront6targetE1EEEvT1_,comdat
	.protected	_ZN7rocprim17ROCPRIM_400000_NS6detail17trampoline_kernelINS0_14default_configENS1_20scan_config_selectorIxEEZZNS1_9scan_implILNS1_25lookback_scan_determinismE0ELb0ELb0ES3_N6thrust23THRUST_200600_302600_NS6detail15normal_iteratorINS9_10device_ptrIxEEEESE_x9plus_mod3IxExEEDaPvRmT3_T4_T5_mT6_P12ihipStream_tbENKUlT_T0_E_clISt17integral_constantIbLb0EEST_IbLb1EEEEDaSP_SQ_EUlSP_E0_NS1_11comp_targetILNS1_3genE5ELNS1_11target_archE942ELNS1_3gpuE9ELNS1_3repE0EEENS1_30default_config_static_selectorELNS0_4arch9wavefront6targetE1EEEvT1_ ; -- Begin function _ZN7rocprim17ROCPRIM_400000_NS6detail17trampoline_kernelINS0_14default_configENS1_20scan_config_selectorIxEEZZNS1_9scan_implILNS1_25lookback_scan_determinismE0ELb0ELb0ES3_N6thrust23THRUST_200600_302600_NS6detail15normal_iteratorINS9_10device_ptrIxEEEESE_x9plus_mod3IxExEEDaPvRmT3_T4_T5_mT6_P12ihipStream_tbENKUlT_T0_E_clISt17integral_constantIbLb0EEST_IbLb1EEEEDaSP_SQ_EUlSP_E0_NS1_11comp_targetILNS1_3genE5ELNS1_11target_archE942ELNS1_3gpuE9ELNS1_3repE0EEENS1_30default_config_static_selectorELNS0_4arch9wavefront6targetE1EEEvT1_
	.globl	_ZN7rocprim17ROCPRIM_400000_NS6detail17trampoline_kernelINS0_14default_configENS1_20scan_config_selectorIxEEZZNS1_9scan_implILNS1_25lookback_scan_determinismE0ELb0ELb0ES3_N6thrust23THRUST_200600_302600_NS6detail15normal_iteratorINS9_10device_ptrIxEEEESE_x9plus_mod3IxExEEDaPvRmT3_T4_T5_mT6_P12ihipStream_tbENKUlT_T0_E_clISt17integral_constantIbLb0EEST_IbLb1EEEEDaSP_SQ_EUlSP_E0_NS1_11comp_targetILNS1_3genE5ELNS1_11target_archE942ELNS1_3gpuE9ELNS1_3repE0EEENS1_30default_config_static_selectorELNS0_4arch9wavefront6targetE1EEEvT1_
	.p2align	8
	.type	_ZN7rocprim17ROCPRIM_400000_NS6detail17trampoline_kernelINS0_14default_configENS1_20scan_config_selectorIxEEZZNS1_9scan_implILNS1_25lookback_scan_determinismE0ELb0ELb0ES3_N6thrust23THRUST_200600_302600_NS6detail15normal_iteratorINS9_10device_ptrIxEEEESE_x9plus_mod3IxExEEDaPvRmT3_T4_T5_mT6_P12ihipStream_tbENKUlT_T0_E_clISt17integral_constantIbLb0EEST_IbLb1EEEEDaSP_SQ_EUlSP_E0_NS1_11comp_targetILNS1_3genE5ELNS1_11target_archE942ELNS1_3gpuE9ELNS1_3repE0EEENS1_30default_config_static_selectorELNS0_4arch9wavefront6targetE1EEEvT1_,@function
_ZN7rocprim17ROCPRIM_400000_NS6detail17trampoline_kernelINS0_14default_configENS1_20scan_config_selectorIxEEZZNS1_9scan_implILNS1_25lookback_scan_determinismE0ELb0ELb0ES3_N6thrust23THRUST_200600_302600_NS6detail15normal_iteratorINS9_10device_ptrIxEEEESE_x9plus_mod3IxExEEDaPvRmT3_T4_T5_mT6_P12ihipStream_tbENKUlT_T0_E_clISt17integral_constantIbLb0EEST_IbLb1EEEEDaSP_SQ_EUlSP_E0_NS1_11comp_targetILNS1_3genE5ELNS1_11target_archE942ELNS1_3gpuE9ELNS1_3repE0EEENS1_30default_config_static_selectorELNS0_4arch9wavefront6targetE1EEEvT1_: ; @_ZN7rocprim17ROCPRIM_400000_NS6detail17trampoline_kernelINS0_14default_configENS1_20scan_config_selectorIxEEZZNS1_9scan_implILNS1_25lookback_scan_determinismE0ELb0ELb0ES3_N6thrust23THRUST_200600_302600_NS6detail15normal_iteratorINS9_10device_ptrIxEEEESE_x9plus_mod3IxExEEDaPvRmT3_T4_T5_mT6_P12ihipStream_tbENKUlT_T0_E_clISt17integral_constantIbLb0EEST_IbLb1EEEEDaSP_SQ_EUlSP_E0_NS1_11comp_targetILNS1_3genE5ELNS1_11target_archE942ELNS1_3gpuE9ELNS1_3repE0EEENS1_30default_config_static_selectorELNS0_4arch9wavefront6targetE1EEEvT1_
; %bb.0:
	.section	.rodata,"a",@progbits
	.p2align	6, 0x0
	.amdhsa_kernel _ZN7rocprim17ROCPRIM_400000_NS6detail17trampoline_kernelINS0_14default_configENS1_20scan_config_selectorIxEEZZNS1_9scan_implILNS1_25lookback_scan_determinismE0ELb0ELb0ES3_N6thrust23THRUST_200600_302600_NS6detail15normal_iteratorINS9_10device_ptrIxEEEESE_x9plus_mod3IxExEEDaPvRmT3_T4_T5_mT6_P12ihipStream_tbENKUlT_T0_E_clISt17integral_constantIbLb0EEST_IbLb1EEEEDaSP_SQ_EUlSP_E0_NS1_11comp_targetILNS1_3genE5ELNS1_11target_archE942ELNS1_3gpuE9ELNS1_3repE0EEENS1_30default_config_static_selectorELNS0_4arch9wavefront6targetE1EEEvT1_
		.amdhsa_group_segment_fixed_size 0
		.amdhsa_private_segment_fixed_size 0
		.amdhsa_kernarg_size 40
		.amdhsa_user_sgpr_count 6
		.amdhsa_user_sgpr_private_segment_buffer 1
		.amdhsa_user_sgpr_dispatch_ptr 0
		.amdhsa_user_sgpr_queue_ptr 0
		.amdhsa_user_sgpr_kernarg_segment_ptr 1
		.amdhsa_user_sgpr_dispatch_id 0
		.amdhsa_user_sgpr_flat_scratch_init 0
		.amdhsa_user_sgpr_kernarg_preload_length 0
		.amdhsa_user_sgpr_kernarg_preload_offset 0
		.amdhsa_user_sgpr_private_segment_size 0
		.amdhsa_uses_dynamic_stack 0
		.amdhsa_system_sgpr_private_segment_wavefront_offset 0
		.amdhsa_system_sgpr_workgroup_id_x 1
		.amdhsa_system_sgpr_workgroup_id_y 0
		.amdhsa_system_sgpr_workgroup_id_z 0
		.amdhsa_system_sgpr_workgroup_info 0
		.amdhsa_system_vgpr_workitem_id 0
		.amdhsa_next_free_vgpr 1
		.amdhsa_next_free_sgpr 0
		.amdhsa_accum_offset 4
		.amdhsa_reserve_vcc 0
		.amdhsa_reserve_flat_scratch 0
		.amdhsa_float_round_mode_32 0
		.amdhsa_float_round_mode_16_64 0
		.amdhsa_float_denorm_mode_32 3
		.amdhsa_float_denorm_mode_16_64 3
		.amdhsa_dx10_clamp 1
		.amdhsa_ieee_mode 1
		.amdhsa_fp16_overflow 0
		.amdhsa_tg_split 0
		.amdhsa_exception_fp_ieee_invalid_op 0
		.amdhsa_exception_fp_denorm_src 0
		.amdhsa_exception_fp_ieee_div_zero 0
		.amdhsa_exception_fp_ieee_overflow 0
		.amdhsa_exception_fp_ieee_underflow 0
		.amdhsa_exception_fp_ieee_inexact 0
		.amdhsa_exception_int_div_zero 0
	.end_amdhsa_kernel
	.section	.text._ZN7rocprim17ROCPRIM_400000_NS6detail17trampoline_kernelINS0_14default_configENS1_20scan_config_selectorIxEEZZNS1_9scan_implILNS1_25lookback_scan_determinismE0ELb0ELb0ES3_N6thrust23THRUST_200600_302600_NS6detail15normal_iteratorINS9_10device_ptrIxEEEESE_x9plus_mod3IxExEEDaPvRmT3_T4_T5_mT6_P12ihipStream_tbENKUlT_T0_E_clISt17integral_constantIbLb0EEST_IbLb1EEEEDaSP_SQ_EUlSP_E0_NS1_11comp_targetILNS1_3genE5ELNS1_11target_archE942ELNS1_3gpuE9ELNS1_3repE0EEENS1_30default_config_static_selectorELNS0_4arch9wavefront6targetE1EEEvT1_,"axG",@progbits,_ZN7rocprim17ROCPRIM_400000_NS6detail17trampoline_kernelINS0_14default_configENS1_20scan_config_selectorIxEEZZNS1_9scan_implILNS1_25lookback_scan_determinismE0ELb0ELb0ES3_N6thrust23THRUST_200600_302600_NS6detail15normal_iteratorINS9_10device_ptrIxEEEESE_x9plus_mod3IxExEEDaPvRmT3_T4_T5_mT6_P12ihipStream_tbENKUlT_T0_E_clISt17integral_constantIbLb0EEST_IbLb1EEEEDaSP_SQ_EUlSP_E0_NS1_11comp_targetILNS1_3genE5ELNS1_11target_archE942ELNS1_3gpuE9ELNS1_3repE0EEENS1_30default_config_static_selectorELNS0_4arch9wavefront6targetE1EEEvT1_,comdat
.Lfunc_end6598:
	.size	_ZN7rocprim17ROCPRIM_400000_NS6detail17trampoline_kernelINS0_14default_configENS1_20scan_config_selectorIxEEZZNS1_9scan_implILNS1_25lookback_scan_determinismE0ELb0ELb0ES3_N6thrust23THRUST_200600_302600_NS6detail15normal_iteratorINS9_10device_ptrIxEEEESE_x9plus_mod3IxExEEDaPvRmT3_T4_T5_mT6_P12ihipStream_tbENKUlT_T0_E_clISt17integral_constantIbLb0EEST_IbLb1EEEEDaSP_SQ_EUlSP_E0_NS1_11comp_targetILNS1_3genE5ELNS1_11target_archE942ELNS1_3gpuE9ELNS1_3repE0EEENS1_30default_config_static_selectorELNS0_4arch9wavefront6targetE1EEEvT1_, .Lfunc_end6598-_ZN7rocprim17ROCPRIM_400000_NS6detail17trampoline_kernelINS0_14default_configENS1_20scan_config_selectorIxEEZZNS1_9scan_implILNS1_25lookback_scan_determinismE0ELb0ELb0ES3_N6thrust23THRUST_200600_302600_NS6detail15normal_iteratorINS9_10device_ptrIxEEEESE_x9plus_mod3IxExEEDaPvRmT3_T4_T5_mT6_P12ihipStream_tbENKUlT_T0_E_clISt17integral_constantIbLb0EEST_IbLb1EEEEDaSP_SQ_EUlSP_E0_NS1_11comp_targetILNS1_3genE5ELNS1_11target_archE942ELNS1_3gpuE9ELNS1_3repE0EEENS1_30default_config_static_selectorELNS0_4arch9wavefront6targetE1EEEvT1_
                                        ; -- End function
	.section	.AMDGPU.csdata,"",@progbits
; Kernel info:
; codeLenInByte = 0
; NumSgprs: 4
; NumVgprs: 0
; NumAgprs: 0
; TotalNumVgprs: 0
; ScratchSize: 0
; MemoryBound: 0
; FloatMode: 240
; IeeeMode: 1
; LDSByteSize: 0 bytes/workgroup (compile time only)
; SGPRBlocks: 0
; VGPRBlocks: 0
; NumSGPRsForWavesPerEU: 4
; NumVGPRsForWavesPerEU: 1
; AccumOffset: 4
; Occupancy: 8
; WaveLimiterHint : 0
; COMPUTE_PGM_RSRC2:SCRATCH_EN: 0
; COMPUTE_PGM_RSRC2:USER_SGPR: 6
; COMPUTE_PGM_RSRC2:TRAP_HANDLER: 0
; COMPUTE_PGM_RSRC2:TGID_X_EN: 1
; COMPUTE_PGM_RSRC2:TGID_Y_EN: 0
; COMPUTE_PGM_RSRC2:TGID_Z_EN: 0
; COMPUTE_PGM_RSRC2:TIDIG_COMP_CNT: 0
; COMPUTE_PGM_RSRC3_GFX90A:ACCUM_OFFSET: 0
; COMPUTE_PGM_RSRC3_GFX90A:TG_SPLIT: 0
	.section	.text._ZN7rocprim17ROCPRIM_400000_NS6detail17trampoline_kernelINS0_14default_configENS1_20scan_config_selectorIxEEZZNS1_9scan_implILNS1_25lookback_scan_determinismE0ELb0ELb0ES3_N6thrust23THRUST_200600_302600_NS6detail15normal_iteratorINS9_10device_ptrIxEEEESE_x9plus_mod3IxExEEDaPvRmT3_T4_T5_mT6_P12ihipStream_tbENKUlT_T0_E_clISt17integral_constantIbLb0EEST_IbLb1EEEEDaSP_SQ_EUlSP_E0_NS1_11comp_targetILNS1_3genE4ELNS1_11target_archE910ELNS1_3gpuE8ELNS1_3repE0EEENS1_30default_config_static_selectorELNS0_4arch9wavefront6targetE1EEEvT1_,"axG",@progbits,_ZN7rocprim17ROCPRIM_400000_NS6detail17trampoline_kernelINS0_14default_configENS1_20scan_config_selectorIxEEZZNS1_9scan_implILNS1_25lookback_scan_determinismE0ELb0ELb0ES3_N6thrust23THRUST_200600_302600_NS6detail15normal_iteratorINS9_10device_ptrIxEEEESE_x9plus_mod3IxExEEDaPvRmT3_T4_T5_mT6_P12ihipStream_tbENKUlT_T0_E_clISt17integral_constantIbLb0EEST_IbLb1EEEEDaSP_SQ_EUlSP_E0_NS1_11comp_targetILNS1_3genE4ELNS1_11target_archE910ELNS1_3gpuE8ELNS1_3repE0EEENS1_30default_config_static_selectorELNS0_4arch9wavefront6targetE1EEEvT1_,comdat
	.protected	_ZN7rocprim17ROCPRIM_400000_NS6detail17trampoline_kernelINS0_14default_configENS1_20scan_config_selectorIxEEZZNS1_9scan_implILNS1_25lookback_scan_determinismE0ELb0ELb0ES3_N6thrust23THRUST_200600_302600_NS6detail15normal_iteratorINS9_10device_ptrIxEEEESE_x9plus_mod3IxExEEDaPvRmT3_T4_T5_mT6_P12ihipStream_tbENKUlT_T0_E_clISt17integral_constantIbLb0EEST_IbLb1EEEEDaSP_SQ_EUlSP_E0_NS1_11comp_targetILNS1_3genE4ELNS1_11target_archE910ELNS1_3gpuE8ELNS1_3repE0EEENS1_30default_config_static_selectorELNS0_4arch9wavefront6targetE1EEEvT1_ ; -- Begin function _ZN7rocprim17ROCPRIM_400000_NS6detail17trampoline_kernelINS0_14default_configENS1_20scan_config_selectorIxEEZZNS1_9scan_implILNS1_25lookback_scan_determinismE0ELb0ELb0ES3_N6thrust23THRUST_200600_302600_NS6detail15normal_iteratorINS9_10device_ptrIxEEEESE_x9plus_mod3IxExEEDaPvRmT3_T4_T5_mT6_P12ihipStream_tbENKUlT_T0_E_clISt17integral_constantIbLb0EEST_IbLb1EEEEDaSP_SQ_EUlSP_E0_NS1_11comp_targetILNS1_3genE4ELNS1_11target_archE910ELNS1_3gpuE8ELNS1_3repE0EEENS1_30default_config_static_selectorELNS0_4arch9wavefront6targetE1EEEvT1_
	.globl	_ZN7rocprim17ROCPRIM_400000_NS6detail17trampoline_kernelINS0_14default_configENS1_20scan_config_selectorIxEEZZNS1_9scan_implILNS1_25lookback_scan_determinismE0ELb0ELb0ES3_N6thrust23THRUST_200600_302600_NS6detail15normal_iteratorINS9_10device_ptrIxEEEESE_x9plus_mod3IxExEEDaPvRmT3_T4_T5_mT6_P12ihipStream_tbENKUlT_T0_E_clISt17integral_constantIbLb0EEST_IbLb1EEEEDaSP_SQ_EUlSP_E0_NS1_11comp_targetILNS1_3genE4ELNS1_11target_archE910ELNS1_3gpuE8ELNS1_3repE0EEENS1_30default_config_static_selectorELNS0_4arch9wavefront6targetE1EEEvT1_
	.p2align	8
	.type	_ZN7rocprim17ROCPRIM_400000_NS6detail17trampoline_kernelINS0_14default_configENS1_20scan_config_selectorIxEEZZNS1_9scan_implILNS1_25lookback_scan_determinismE0ELb0ELb0ES3_N6thrust23THRUST_200600_302600_NS6detail15normal_iteratorINS9_10device_ptrIxEEEESE_x9plus_mod3IxExEEDaPvRmT3_T4_T5_mT6_P12ihipStream_tbENKUlT_T0_E_clISt17integral_constantIbLb0EEST_IbLb1EEEEDaSP_SQ_EUlSP_E0_NS1_11comp_targetILNS1_3genE4ELNS1_11target_archE910ELNS1_3gpuE8ELNS1_3repE0EEENS1_30default_config_static_selectorELNS0_4arch9wavefront6targetE1EEEvT1_,@function
_ZN7rocprim17ROCPRIM_400000_NS6detail17trampoline_kernelINS0_14default_configENS1_20scan_config_selectorIxEEZZNS1_9scan_implILNS1_25lookback_scan_determinismE0ELb0ELb0ES3_N6thrust23THRUST_200600_302600_NS6detail15normal_iteratorINS9_10device_ptrIxEEEESE_x9plus_mod3IxExEEDaPvRmT3_T4_T5_mT6_P12ihipStream_tbENKUlT_T0_E_clISt17integral_constantIbLb0EEST_IbLb1EEEEDaSP_SQ_EUlSP_E0_NS1_11comp_targetILNS1_3genE4ELNS1_11target_archE910ELNS1_3gpuE8ELNS1_3repE0EEENS1_30default_config_static_selectorELNS0_4arch9wavefront6targetE1EEEvT1_: ; @_ZN7rocprim17ROCPRIM_400000_NS6detail17trampoline_kernelINS0_14default_configENS1_20scan_config_selectorIxEEZZNS1_9scan_implILNS1_25lookback_scan_determinismE0ELb0ELb0ES3_N6thrust23THRUST_200600_302600_NS6detail15normal_iteratorINS9_10device_ptrIxEEEESE_x9plus_mod3IxExEEDaPvRmT3_T4_T5_mT6_P12ihipStream_tbENKUlT_T0_E_clISt17integral_constantIbLb0EEST_IbLb1EEEEDaSP_SQ_EUlSP_E0_NS1_11comp_targetILNS1_3genE4ELNS1_11target_archE910ELNS1_3gpuE8ELNS1_3repE0EEENS1_30default_config_static_selectorELNS0_4arch9wavefront6targetE1EEEvT1_
; %bb.0:
	s_load_dwordx4 s[20:23], s[4:5], 0x0
	v_lshlrev_b32_e32 v26, 3, v0
	s_waitcnt lgkmcnt(0)
	s_load_dwordx2 s[14:15], s[20:21], 0x0
	v_cmp_gt_u32_e32 vcc, s22, v0
	s_waitcnt lgkmcnt(0)
	v_pk_mov_b32 v[2:3], s[14:15], s[14:15] op_sel:[0,1]
	s_and_saveexec_b64 s[0:1], vcc
	s_cbranch_execz .LBB6599_2
; %bb.1:
	global_load_dwordx2 v[2:3], v26, s[20:21]
.LBB6599_2:
	s_or_b64 exec, exec, s[0:1]
	v_or_b32_e32 v1, 0x80, v0
	v_cmp_gt_u32_e64 s[0:1], s22, v1
	v_pk_mov_b32 v[4:5], s[14:15], s[14:15] op_sel:[0,1]
	s_and_saveexec_b64 s[2:3], s[0:1]
	s_cbranch_execz .LBB6599_4
; %bb.3:
	global_load_dwordx2 v[4:5], v26, s[20:21] offset:1024
.LBB6599_4:
	s_or_b64 exec, exec, s[2:3]
	v_or_b32_e32 v1, 0x100, v0
	v_cmp_gt_u32_e64 s[2:3], s22, v1
	v_pk_mov_b32 v[6:7], s[14:15], s[14:15] op_sel:[0,1]
	s_and_saveexec_b64 s[6:7], s[2:3]
	s_cbranch_execz .LBB6599_6
; %bb.5:
	global_load_dwordx2 v[6:7], v26, s[20:21] offset:2048
.LBB6599_6:
	;; [unrolled: 9-line block ×3, first 2 shown]
	s_or_b64 exec, exec, s[6:7]
	v_or_b32_e32 v1, 0x200, v0
	v_cmp_gt_u32_e64 s[6:7], s22, v1
	v_pk_mov_b32 v[10:11], s[14:15], s[14:15] op_sel:[0,1]
	s_and_saveexec_b64 s[8:9], s[6:7]
	s_cbranch_execz .LBB6599_10
; %bb.9:
	v_lshlrev_b32_e32 v1, 3, v1
	global_load_dwordx2 v[10:11], v1, s[20:21]
.LBB6599_10:
	s_or_b64 exec, exec, s[8:9]
	v_or_b32_e32 v1, 0x280, v0
	v_cmp_gt_u32_e64 s[8:9], s22, v1
	v_pk_mov_b32 v[12:13], s[14:15], s[14:15] op_sel:[0,1]
	s_and_saveexec_b64 s[10:11], s[8:9]
	s_cbranch_execz .LBB6599_12
; %bb.11:
	v_lshlrev_b32_e32 v1, 3, v1
	global_load_dwordx2 v[12:13], v1, s[20:21]
.LBB6599_12:
	s_or_b64 exec, exec, s[10:11]
	s_load_dwordx4 s[16:19], s[4:5], 0x18
	v_or_b32_e32 v1, 0x300, v0
	v_cmp_gt_u32_e64 s[10:11], s22, v1
	v_pk_mov_b32 v[14:15], s[14:15], s[14:15] op_sel:[0,1]
	s_and_saveexec_b64 s[4:5], s[10:11]
	s_cbranch_execz .LBB6599_14
; %bb.13:
	v_lshlrev_b32_e32 v1, 3, v1
	global_load_dwordx2 v[14:15], v1, s[20:21]
.LBB6599_14:
	s_or_b64 exec, exec, s[4:5]
	v_mad_u32_u24 v1, v0, 48, v26
	s_waitcnt vmcnt(0)
	ds_write2st64_b64 v26, v[2:3], v[4:5] offset1:2
	ds_write2st64_b64 v26, v[6:7], v[8:9] offset0:4 offset1:6
	ds_write2st64_b64 v26, v[10:11], v[12:13] offset0:8 offset1:10
	ds_write_b64 v26, v[14:15] offset:6144
	s_waitcnt lgkmcnt(0)
	s_barrier
	ds_read2_b64 v[2:5], v1 offset1:1
	ds_read2_b64 v[10:13], v1 offset0:2 offset1:3
	ds_read2_b64 v[6:9], v1 offset0:4 offset1:5
	ds_read_b64 v[18:19], v1 offset:48
	v_mov_b32_e32 v24, 0
	s_waitcnt lgkmcnt(3)
	v_add_u32_e32 v25, v4, v2
	v_ashrrev_i64 v[20:21], 29, v[24:25]
	v_mov_b32_e32 v1, s17
	v_add_co_u32_e64 v14, s[4:5], s16, v20
	v_addc_co_u32_e64 v15, s[4:5], v1, v21, s[4:5]
	s_waitcnt lgkmcnt(0)
	s_barrier
	global_load_dword v1, v[14:15], off
	v_mov_b32_e32 v5, s17
	s_waitcnt vmcnt(0)
	v_add_u32_e32 v25, v1, v10
	v_ashrrev_i64 v[14:15], 29, v[24:25]
	v_add_co_u32_e64 v14, s[4:5], s16, v14
	v_addc_co_u32_e64 v15, s[4:5], v5, v15, s[4:5]
	global_load_dword v1, v[14:15], off
	s_waitcnt vmcnt(0)
	v_add_u32_e32 v25, v1, v12
	v_ashrrev_i64 v[14:15], 29, v[24:25]
	v_add_co_u32_e64 v14, s[4:5], s16, v14
	v_addc_co_u32_e64 v15, s[4:5], v5, v15, s[4:5]
	global_load_dword v1, v[14:15], off
	;; [unrolled: 6-line block ×4, first 2 shown]
	s_waitcnt vmcnt(0)
	v_add_u32_e32 v25, v1, v18
	v_ashrrev_i64 v[14:15], 29, v[24:25]
	v_add_co_u32_e64 v14, s[4:5], s16, v14
	v_addc_co_u32_e64 v15, s[4:5], v5, v15, s[4:5]
	global_load_dwordx2 v[22:23], v[14:15], off
	v_lshrrev_b32_e32 v1, 2, v0
	v_and_b32_e32 v1, 24, v1
	v_add_u32_e32 v1, v26, v1
	v_cmp_gt_u32_e64 s[4:5], 64, v0
	s_waitcnt vmcnt(0)
	ds_write_b64 v1, v[22:23]
	s_waitcnt lgkmcnt(0)
	s_barrier
	s_and_saveexec_b64 s[14:15], s[4:5]
	s_cbranch_execz .LBB6599_28
; %bb.15:
	v_lshlrev_b32_e32 v1, 1, v0
	v_lshrrev_b32_e32 v5, 4, v0
	v_add_lshl_u32 v1, v5, v1, 3
	ds_read2_b64 v[14:17], v1 offset1:1
	v_mov_b32_e32 v5, s17
	s_waitcnt lgkmcnt(0)
	v_add_u32_e32 v25, v16, v14
	v_ashrrev_i64 v[16:17], 29, v[24:25]
	v_add_co_u32_e64 v16, s[4:5], s16, v16
	v_addc_co_u32_e64 v17, s[4:5], v5, v17, s[4:5]
	global_load_dwordx2 v[16:17], v[16:17], off
	v_mbcnt_lo_u32_b32 v5, -1, 0
	v_mbcnt_hi_u32_b32 v5, -1, v5
	v_and_b32_e32 v7, 15, v5
	v_cmp_ne_u32_e64 s[4:5], 0, v7
	s_waitcnt vmcnt(0)
	v_mov_b32_dpp v9, v16 row_shr:1 row_mask:0xf bank_mask:0xf
	s_and_saveexec_b64 s[20:21], s[4:5]
	s_cbranch_execz .LBB6599_17
; %bb.16:
	v_add_u32_e32 v17, v16, v9
	v_mov_b32_e32 v16, 0
	v_ashrrev_i64 v[16:17], 29, v[16:17]
	v_mov_b32_e32 v9, s17
	v_add_co_u32_e64 v16, s[4:5], s16, v16
	v_addc_co_u32_e64 v17, s[4:5], v9, v17, s[4:5]
	global_load_dwordx2 v[16:17], v[16:17], off
.LBB6599_17:
	s_or_b64 exec, exec, s[20:21]
	s_waitcnt vmcnt(0)
	v_mov_b32_dpp v9, v16 row_shr:2 row_mask:0xf bank_mask:0xf
	v_cmp_lt_u32_e64 s[4:5], 1, v7
	s_and_saveexec_b64 s[20:21], s[4:5]
	s_cbranch_execz .LBB6599_19
; %bb.18:
	v_add_u32_e32 v17, v16, v9
	v_mov_b32_e32 v16, 0
	v_ashrrev_i64 v[16:17], 29, v[16:17]
	v_mov_b32_e32 v9, s17
	v_add_co_u32_e64 v16, s[4:5], s16, v16
	v_addc_co_u32_e64 v17, s[4:5], v9, v17, s[4:5]
	global_load_dwordx2 v[16:17], v[16:17], off
.LBB6599_19:
	s_or_b64 exec, exec, s[20:21]
	s_waitcnt vmcnt(0)
	v_mov_b32_dpp v9, v16 row_shr:4 row_mask:0xf bank_mask:0xf
	v_cmp_lt_u32_e64 s[4:5], 3, v7
	;; [unrolled: 15-line block ×3, first 2 shown]
	s_and_saveexec_b64 s[20:21], s[4:5]
	s_cbranch_execz .LBB6599_23
; %bb.22:
	v_add_u32_e32 v17, v16, v9
	v_mov_b32_e32 v16, 0
	v_ashrrev_i64 v[16:17], 29, v[16:17]
	v_mov_b32_e32 v7, s17
	v_add_co_u32_e64 v16, s[4:5], s16, v16
	v_addc_co_u32_e64 v17, s[4:5], v7, v17, s[4:5]
	global_load_dwordx2 v[16:17], v[16:17], off
.LBB6599_23:
	s_or_b64 exec, exec, s[20:21]
	v_and_b32_e32 v9, 16, v5
	s_waitcnt vmcnt(0)
	v_mov_b32_dpp v7, v16 row_bcast:15 row_mask:0xf bank_mask:0xf
	v_cmp_ne_u32_e64 s[4:5], 0, v9
	s_and_saveexec_b64 s[20:21], s[4:5]
	s_cbranch_execz .LBB6599_25
; %bb.24:
	v_add_u32_e32 v17, v16, v7
	v_mov_b32_e32 v16, 0
	v_ashrrev_i64 v[16:17], 29, v[16:17]
	v_mov_b32_e32 v7, s17
	v_add_co_u32_e64 v16, s[4:5], s16, v16
	v_addc_co_u32_e64 v17, s[4:5], v7, v17, s[4:5]
	global_load_dwordx2 v[16:17], v[16:17], off
.LBB6599_25:
	s_or_b64 exec, exec, s[20:21]
	s_waitcnt vmcnt(0)
	v_mov_b32_dpp v7, v16 row_bcast:31 row_mask:0xf bank_mask:0xf
	v_cmp_lt_u32_e64 s[4:5], 31, v5
	s_and_saveexec_b64 s[20:21], s[4:5]
	s_cbranch_execz .LBB6599_27
; %bb.26:
	v_add_u32_e32 v17, v16, v7
	v_mov_b32_e32 v16, 0
	v_ashrrev_i64 v[16:17], 29, v[16:17]
	v_mov_b32_e32 v7, s17
	v_add_co_u32_e64 v16, s[4:5], s16, v16
	v_addc_co_u32_e64 v17, s[4:5], v7, v17, s[4:5]
	global_load_dword v16, v[16:17], off
.LBB6599_27:
	s_or_b64 exec, exec, s[20:21]
	v_add_u32_e32 v7, -1, v5
	v_and_b32_e32 v9, 64, v5
	v_cmp_lt_i32_e64 s[4:5], v7, v9
	v_cndmask_b32_e64 v5, v7, v5, s[4:5]
	v_lshlrev_b32_e32 v5, 2, v5
	s_waitcnt vmcnt(0)
	ds_bpermute_b32 v5, v5, v16
	v_mov_b32_e32 v16, 0
	v_mov_b32_e32 v7, s17
	s_waitcnt lgkmcnt(0)
	v_add_u32_e32 v17, v14, v5
	v_ashrrev_i64 v[14:15], 29, v[16:17]
	v_add_co_u32_e64 v14, s[4:5], s16, v14
	v_addc_co_u32_e64 v15, s[4:5], v7, v15, s[4:5]
	global_load_dwordx2 v[14:15], v[14:15], off
	v_cmp_eq_u32_e64 s[4:5], 0, v0
	; wave barrier
	s_waitcnt vmcnt(0)
	v_cndmask_b32_e64 v15, v15, v23, s[4:5]
	v_cndmask_b32_e64 v14, v14, v22, s[4:5]
	ds_write_b64 v1, v[14:15]
	; wave barrier
	ds_read_b32 v5, v1 offset:8
	s_waitcnt lgkmcnt(0)
	v_add_u32_e32 v17, v5, v14
	v_ashrrev_i64 v[14:15], 29, v[16:17]
	v_add_co_u32_e64 v14, s[4:5], s16, v14
	v_addc_co_u32_e64 v15, s[4:5], v7, v15, s[4:5]
	global_load_dwordx2 v[14:15], v[14:15], off
	s_waitcnt vmcnt(0)
	ds_write_b64 v1, v[14:15] offset:8
.LBB6599_28:
	s_or_b64 exec, exec, s[14:15]
	v_mul_u32_u24_e32 v1, 48, v0
	v_cmp_ne_u32_e64 s[4:5], 0, v0
	s_waitcnt lgkmcnt(0)
	s_barrier
	s_and_saveexec_b64 s[14:15], s[4:5]
	s_cbranch_execz .LBB6599_30
; %bb.29:
	v_add_u32_e32 v0, -1, v0
	v_lshrrev_b32_e32 v5, 5, v0
	v_add_lshl_u32 v0, v5, v0, 3
	ds_read_b64 v[22:23], v0
.LBB6599_30:
	s_or_b64 exec, exec, s[14:15]
	s_and_saveexec_b64 s[14:15], s[4:5]
	s_cbranch_execz .LBB6599_32
; %bb.31:
	s_waitcnt lgkmcnt(0)
	v_add_u32_e32 v15, v22, v2
	v_mov_b32_e32 v14, 0
	v_ashrrev_i64 v[2:3], 29, v[14:15]
	v_mov_b32_e32 v0, s17
	v_add_co_u32_e64 v2, s[4:5], s16, v2
	v_addc_co_u32_e64 v3, s[4:5], v0, v3, s[4:5]
	global_load_dwordx2 v[2:3], v[2:3], off
	;;#ASMSTART
	;;#ASMEND
	s_waitcnt vmcnt(0)
	v_add_u32_e32 v15, v2, v4
	v_ashrrev_i64 v[20:21], 29, v[14:15]
.LBB6599_32:
	s_or_b64 exec, exec, s[14:15]
	v_mov_b32_e32 v0, s17
	v_add_co_u32_e64 v4, s[4:5], s16, v20
	v_addc_co_u32_e64 v5, s[4:5], v0, v21, s[4:5]
	global_load_dwordx2 v[4:5], v[4:5], off
	v_mov_b32_e32 v14, 0
	s_waitcnt vmcnt(0)
	v_add_u32_e32 v15, v4, v10
	v_ashrrev_i64 v[10:11], 29, v[14:15]
	v_add_co_u32_e64 v10, s[4:5], s16, v10
	v_addc_co_u32_e64 v11, s[4:5], v0, v11, s[4:5]
	global_load_dwordx2 v[10:11], v[10:11], off
	s_waitcnt vmcnt(0)
	v_add_u32_e32 v15, v10, v12
	v_ashrrev_i64 v[12:13], 29, v[14:15]
	v_add_co_u32_e64 v12, s[4:5], s16, v12
	v_addc_co_u32_e64 v13, s[4:5], v0, v13, s[4:5]
	global_load_dwordx2 v[12:13], v[12:13], off
	;; [unrolled: 6-line block ×5, first 2 shown]
	v_add_u32_e32 v0, v26, v1
	s_waitcnt lgkmcnt(0)
	s_barrier
	ds_write2_b64 v0, v[2:3], v[4:5] offset1:1
	ds_write2_b64 v0, v[10:11], v[12:13] offset0:2 offset1:3
	ds_write2_b64 v0, v[6:7], v[8:9] offset0:4 offset1:5
	s_waitcnt vmcnt(0)
	ds_write_b64 v0, v[14:15] offset:48
	s_waitcnt lgkmcnt(0)
	s_barrier
	ds_read2st64_b64 v[8:11], v26 offset0:2 offset1:4
	ds_read2st64_b64 v[4:7], v26 offset0:6 offset1:8
	;; [unrolled: 1-line block ×3, first 2 shown]
	v_mov_b32_e32 v13, s19
	v_add_co_u32_e64 v12, s[4:5], s18, v26
	v_addc_co_u32_e64 v13, s[4:5], 0, v13, s[4:5]
	s_and_saveexec_b64 s[4:5], vcc
	s_cbranch_execnz .LBB6599_40
; %bb.33:
	s_or_b64 exec, exec, s[4:5]
	s_and_saveexec_b64 s[4:5], s[0:1]
	s_cbranch_execnz .LBB6599_41
.LBB6599_34:
	s_or_b64 exec, exec, s[4:5]
	s_and_saveexec_b64 s[0:1], s[2:3]
	s_cbranch_execnz .LBB6599_42
.LBB6599_35:
	s_or_b64 exec, exec, s[0:1]
	s_and_saveexec_b64 s[0:1], s[12:13]
	s_cbranch_execnz .LBB6599_43
.LBB6599_36:
	s_or_b64 exec, exec, s[0:1]
	s_and_saveexec_b64 s[0:1], s[6:7]
	s_cbranch_execnz .LBB6599_44
.LBB6599_37:
	s_or_b64 exec, exec, s[0:1]
	s_and_saveexec_b64 s[0:1], s[8:9]
	s_cbranch_execnz .LBB6599_45
.LBB6599_38:
	s_or_b64 exec, exec, s[0:1]
	s_and_saveexec_b64 s[0:1], s[10:11]
	s_cbranch_execnz .LBB6599_46
.LBB6599_39:
	s_endpgm
.LBB6599_40:
	ds_read_b64 v[14:15], v26
	s_waitcnt lgkmcnt(0)
	global_store_dwordx2 v[12:13], v[14:15], off
	s_or_b64 exec, exec, s[4:5]
	s_and_saveexec_b64 s[4:5], s[0:1]
	s_cbranch_execz .LBB6599_34
.LBB6599_41:
	s_waitcnt lgkmcnt(2)
	global_store_dwordx2 v[12:13], v[8:9], off offset:1024
	s_or_b64 exec, exec, s[4:5]
	s_and_saveexec_b64 s[0:1], s[2:3]
	s_cbranch_execz .LBB6599_35
.LBB6599_42:
	s_waitcnt lgkmcnt(2)
	global_store_dwordx2 v[12:13], v[10:11], off offset:2048
	s_or_b64 exec, exec, s[0:1]
	s_and_saveexec_b64 s[0:1], s[12:13]
	s_cbranch_execz .LBB6599_36
.LBB6599_43:
	s_waitcnt lgkmcnt(1)
	global_store_dwordx2 v[12:13], v[4:5], off offset:3072
	s_or_b64 exec, exec, s[0:1]
	s_and_saveexec_b64 s[0:1], s[6:7]
	s_cbranch_execz .LBB6599_37
.LBB6599_44:
	s_waitcnt lgkmcnt(1)
	v_add_co_u32_e32 v4, vcc, 0x1000, v12
	v_addc_co_u32_e32 v5, vcc, 0, v13, vcc
	global_store_dwordx2 v[4:5], v[6:7], off
	s_or_b64 exec, exec, s[0:1]
	s_and_saveexec_b64 s[0:1], s[8:9]
	s_cbranch_execz .LBB6599_38
.LBB6599_45:
	s_waitcnt lgkmcnt(1)
	v_add_co_u32_e32 v4, vcc, 0x1000, v12
	v_addc_co_u32_e32 v5, vcc, 0, v13, vcc
	s_waitcnt lgkmcnt(0)
	global_store_dwordx2 v[4:5], v[0:1], off offset:1024
	s_or_b64 exec, exec, s[0:1]
	s_and_saveexec_b64 s[0:1], s[10:11]
	s_cbranch_execz .LBB6599_39
.LBB6599_46:
	s_waitcnt lgkmcnt(0)
	v_add_co_u32_e32 v0, vcc, 0x1000, v12
	v_addc_co_u32_e32 v1, vcc, 0, v13, vcc
	global_store_dwordx2 v[0:1], v[2:3], off offset:2048
	s_endpgm
	.section	.rodata,"a",@progbits
	.p2align	6, 0x0
	.amdhsa_kernel _ZN7rocprim17ROCPRIM_400000_NS6detail17trampoline_kernelINS0_14default_configENS1_20scan_config_selectorIxEEZZNS1_9scan_implILNS1_25lookback_scan_determinismE0ELb0ELb0ES3_N6thrust23THRUST_200600_302600_NS6detail15normal_iteratorINS9_10device_ptrIxEEEESE_x9plus_mod3IxExEEDaPvRmT3_T4_T5_mT6_P12ihipStream_tbENKUlT_T0_E_clISt17integral_constantIbLb0EEST_IbLb1EEEEDaSP_SQ_EUlSP_E0_NS1_11comp_targetILNS1_3genE4ELNS1_11target_archE910ELNS1_3gpuE8ELNS1_3repE0EEENS1_30default_config_static_selectorELNS0_4arch9wavefront6targetE1EEEvT1_
		.amdhsa_group_segment_fixed_size 7168
		.amdhsa_private_segment_fixed_size 0
		.amdhsa_kernarg_size 40
		.amdhsa_user_sgpr_count 6
		.amdhsa_user_sgpr_private_segment_buffer 1
		.amdhsa_user_sgpr_dispatch_ptr 0
		.amdhsa_user_sgpr_queue_ptr 0
		.amdhsa_user_sgpr_kernarg_segment_ptr 1
		.amdhsa_user_sgpr_dispatch_id 0
		.amdhsa_user_sgpr_flat_scratch_init 0
		.amdhsa_user_sgpr_kernarg_preload_length 0
		.amdhsa_user_sgpr_kernarg_preload_offset 0
		.amdhsa_user_sgpr_private_segment_size 0
		.amdhsa_uses_dynamic_stack 0
		.amdhsa_system_sgpr_private_segment_wavefront_offset 0
		.amdhsa_system_sgpr_workgroup_id_x 1
		.amdhsa_system_sgpr_workgroup_id_y 0
		.amdhsa_system_sgpr_workgroup_id_z 0
		.amdhsa_system_sgpr_workgroup_info 0
		.amdhsa_system_vgpr_workitem_id 0
		.amdhsa_next_free_vgpr 27
		.amdhsa_next_free_sgpr 24
		.amdhsa_accum_offset 28
		.amdhsa_reserve_vcc 1
		.amdhsa_reserve_flat_scratch 0
		.amdhsa_float_round_mode_32 0
		.amdhsa_float_round_mode_16_64 0
		.amdhsa_float_denorm_mode_32 3
		.amdhsa_float_denorm_mode_16_64 3
		.amdhsa_dx10_clamp 1
		.amdhsa_ieee_mode 1
		.amdhsa_fp16_overflow 0
		.amdhsa_tg_split 0
		.amdhsa_exception_fp_ieee_invalid_op 0
		.amdhsa_exception_fp_denorm_src 0
		.amdhsa_exception_fp_ieee_div_zero 0
		.amdhsa_exception_fp_ieee_overflow 0
		.amdhsa_exception_fp_ieee_underflow 0
		.amdhsa_exception_fp_ieee_inexact 0
		.amdhsa_exception_int_div_zero 0
	.end_amdhsa_kernel
	.section	.text._ZN7rocprim17ROCPRIM_400000_NS6detail17trampoline_kernelINS0_14default_configENS1_20scan_config_selectorIxEEZZNS1_9scan_implILNS1_25lookback_scan_determinismE0ELb0ELb0ES3_N6thrust23THRUST_200600_302600_NS6detail15normal_iteratorINS9_10device_ptrIxEEEESE_x9plus_mod3IxExEEDaPvRmT3_T4_T5_mT6_P12ihipStream_tbENKUlT_T0_E_clISt17integral_constantIbLb0EEST_IbLb1EEEEDaSP_SQ_EUlSP_E0_NS1_11comp_targetILNS1_3genE4ELNS1_11target_archE910ELNS1_3gpuE8ELNS1_3repE0EEENS1_30default_config_static_selectorELNS0_4arch9wavefront6targetE1EEEvT1_,"axG",@progbits,_ZN7rocprim17ROCPRIM_400000_NS6detail17trampoline_kernelINS0_14default_configENS1_20scan_config_selectorIxEEZZNS1_9scan_implILNS1_25lookback_scan_determinismE0ELb0ELb0ES3_N6thrust23THRUST_200600_302600_NS6detail15normal_iteratorINS9_10device_ptrIxEEEESE_x9plus_mod3IxExEEDaPvRmT3_T4_T5_mT6_P12ihipStream_tbENKUlT_T0_E_clISt17integral_constantIbLb0EEST_IbLb1EEEEDaSP_SQ_EUlSP_E0_NS1_11comp_targetILNS1_3genE4ELNS1_11target_archE910ELNS1_3gpuE8ELNS1_3repE0EEENS1_30default_config_static_selectorELNS0_4arch9wavefront6targetE1EEEvT1_,comdat
.Lfunc_end6599:
	.size	_ZN7rocprim17ROCPRIM_400000_NS6detail17trampoline_kernelINS0_14default_configENS1_20scan_config_selectorIxEEZZNS1_9scan_implILNS1_25lookback_scan_determinismE0ELb0ELb0ES3_N6thrust23THRUST_200600_302600_NS6detail15normal_iteratorINS9_10device_ptrIxEEEESE_x9plus_mod3IxExEEDaPvRmT3_T4_T5_mT6_P12ihipStream_tbENKUlT_T0_E_clISt17integral_constantIbLb0EEST_IbLb1EEEEDaSP_SQ_EUlSP_E0_NS1_11comp_targetILNS1_3genE4ELNS1_11target_archE910ELNS1_3gpuE8ELNS1_3repE0EEENS1_30default_config_static_selectorELNS0_4arch9wavefront6targetE1EEEvT1_, .Lfunc_end6599-_ZN7rocprim17ROCPRIM_400000_NS6detail17trampoline_kernelINS0_14default_configENS1_20scan_config_selectorIxEEZZNS1_9scan_implILNS1_25lookback_scan_determinismE0ELb0ELb0ES3_N6thrust23THRUST_200600_302600_NS6detail15normal_iteratorINS9_10device_ptrIxEEEESE_x9plus_mod3IxExEEDaPvRmT3_T4_T5_mT6_P12ihipStream_tbENKUlT_T0_E_clISt17integral_constantIbLb0EEST_IbLb1EEEEDaSP_SQ_EUlSP_E0_NS1_11comp_targetILNS1_3genE4ELNS1_11target_archE910ELNS1_3gpuE8ELNS1_3repE0EEENS1_30default_config_static_selectorELNS0_4arch9wavefront6targetE1EEEvT1_
                                        ; -- End function
	.section	.AMDGPU.csdata,"",@progbits
; Kernel info:
; codeLenInByte = 2228
; NumSgprs: 28
; NumVgprs: 27
; NumAgprs: 0
; TotalNumVgprs: 27
; ScratchSize: 0
; MemoryBound: 0
; FloatMode: 240
; IeeeMode: 1
; LDSByteSize: 7168 bytes/workgroup (compile time only)
; SGPRBlocks: 3
; VGPRBlocks: 3
; NumSGPRsForWavesPerEU: 28
; NumVGPRsForWavesPerEU: 27
; AccumOffset: 28
; Occupancy: 5
; WaveLimiterHint : 1
; COMPUTE_PGM_RSRC2:SCRATCH_EN: 0
; COMPUTE_PGM_RSRC2:USER_SGPR: 6
; COMPUTE_PGM_RSRC2:TRAP_HANDLER: 0
; COMPUTE_PGM_RSRC2:TGID_X_EN: 1
; COMPUTE_PGM_RSRC2:TGID_Y_EN: 0
; COMPUTE_PGM_RSRC2:TGID_Z_EN: 0
; COMPUTE_PGM_RSRC2:TIDIG_COMP_CNT: 0
; COMPUTE_PGM_RSRC3_GFX90A:ACCUM_OFFSET: 6
; COMPUTE_PGM_RSRC3_GFX90A:TG_SPLIT: 0
	.section	.text._ZN7rocprim17ROCPRIM_400000_NS6detail17trampoline_kernelINS0_14default_configENS1_20scan_config_selectorIxEEZZNS1_9scan_implILNS1_25lookback_scan_determinismE0ELb0ELb0ES3_N6thrust23THRUST_200600_302600_NS6detail15normal_iteratorINS9_10device_ptrIxEEEESE_x9plus_mod3IxExEEDaPvRmT3_T4_T5_mT6_P12ihipStream_tbENKUlT_T0_E_clISt17integral_constantIbLb0EEST_IbLb1EEEEDaSP_SQ_EUlSP_E0_NS1_11comp_targetILNS1_3genE3ELNS1_11target_archE908ELNS1_3gpuE7ELNS1_3repE0EEENS1_30default_config_static_selectorELNS0_4arch9wavefront6targetE1EEEvT1_,"axG",@progbits,_ZN7rocprim17ROCPRIM_400000_NS6detail17trampoline_kernelINS0_14default_configENS1_20scan_config_selectorIxEEZZNS1_9scan_implILNS1_25lookback_scan_determinismE0ELb0ELb0ES3_N6thrust23THRUST_200600_302600_NS6detail15normal_iteratorINS9_10device_ptrIxEEEESE_x9plus_mod3IxExEEDaPvRmT3_T4_T5_mT6_P12ihipStream_tbENKUlT_T0_E_clISt17integral_constantIbLb0EEST_IbLb1EEEEDaSP_SQ_EUlSP_E0_NS1_11comp_targetILNS1_3genE3ELNS1_11target_archE908ELNS1_3gpuE7ELNS1_3repE0EEENS1_30default_config_static_selectorELNS0_4arch9wavefront6targetE1EEEvT1_,comdat
	.protected	_ZN7rocprim17ROCPRIM_400000_NS6detail17trampoline_kernelINS0_14default_configENS1_20scan_config_selectorIxEEZZNS1_9scan_implILNS1_25lookback_scan_determinismE0ELb0ELb0ES3_N6thrust23THRUST_200600_302600_NS6detail15normal_iteratorINS9_10device_ptrIxEEEESE_x9plus_mod3IxExEEDaPvRmT3_T4_T5_mT6_P12ihipStream_tbENKUlT_T0_E_clISt17integral_constantIbLb0EEST_IbLb1EEEEDaSP_SQ_EUlSP_E0_NS1_11comp_targetILNS1_3genE3ELNS1_11target_archE908ELNS1_3gpuE7ELNS1_3repE0EEENS1_30default_config_static_selectorELNS0_4arch9wavefront6targetE1EEEvT1_ ; -- Begin function _ZN7rocprim17ROCPRIM_400000_NS6detail17trampoline_kernelINS0_14default_configENS1_20scan_config_selectorIxEEZZNS1_9scan_implILNS1_25lookback_scan_determinismE0ELb0ELb0ES3_N6thrust23THRUST_200600_302600_NS6detail15normal_iteratorINS9_10device_ptrIxEEEESE_x9plus_mod3IxExEEDaPvRmT3_T4_T5_mT6_P12ihipStream_tbENKUlT_T0_E_clISt17integral_constantIbLb0EEST_IbLb1EEEEDaSP_SQ_EUlSP_E0_NS1_11comp_targetILNS1_3genE3ELNS1_11target_archE908ELNS1_3gpuE7ELNS1_3repE0EEENS1_30default_config_static_selectorELNS0_4arch9wavefront6targetE1EEEvT1_
	.globl	_ZN7rocprim17ROCPRIM_400000_NS6detail17trampoline_kernelINS0_14default_configENS1_20scan_config_selectorIxEEZZNS1_9scan_implILNS1_25lookback_scan_determinismE0ELb0ELb0ES3_N6thrust23THRUST_200600_302600_NS6detail15normal_iteratorINS9_10device_ptrIxEEEESE_x9plus_mod3IxExEEDaPvRmT3_T4_T5_mT6_P12ihipStream_tbENKUlT_T0_E_clISt17integral_constantIbLb0EEST_IbLb1EEEEDaSP_SQ_EUlSP_E0_NS1_11comp_targetILNS1_3genE3ELNS1_11target_archE908ELNS1_3gpuE7ELNS1_3repE0EEENS1_30default_config_static_selectorELNS0_4arch9wavefront6targetE1EEEvT1_
	.p2align	8
	.type	_ZN7rocprim17ROCPRIM_400000_NS6detail17trampoline_kernelINS0_14default_configENS1_20scan_config_selectorIxEEZZNS1_9scan_implILNS1_25lookback_scan_determinismE0ELb0ELb0ES3_N6thrust23THRUST_200600_302600_NS6detail15normal_iteratorINS9_10device_ptrIxEEEESE_x9plus_mod3IxExEEDaPvRmT3_T4_T5_mT6_P12ihipStream_tbENKUlT_T0_E_clISt17integral_constantIbLb0EEST_IbLb1EEEEDaSP_SQ_EUlSP_E0_NS1_11comp_targetILNS1_3genE3ELNS1_11target_archE908ELNS1_3gpuE7ELNS1_3repE0EEENS1_30default_config_static_selectorELNS0_4arch9wavefront6targetE1EEEvT1_,@function
_ZN7rocprim17ROCPRIM_400000_NS6detail17trampoline_kernelINS0_14default_configENS1_20scan_config_selectorIxEEZZNS1_9scan_implILNS1_25lookback_scan_determinismE0ELb0ELb0ES3_N6thrust23THRUST_200600_302600_NS6detail15normal_iteratorINS9_10device_ptrIxEEEESE_x9plus_mod3IxExEEDaPvRmT3_T4_T5_mT6_P12ihipStream_tbENKUlT_T0_E_clISt17integral_constantIbLb0EEST_IbLb1EEEEDaSP_SQ_EUlSP_E0_NS1_11comp_targetILNS1_3genE3ELNS1_11target_archE908ELNS1_3gpuE7ELNS1_3repE0EEENS1_30default_config_static_selectorELNS0_4arch9wavefront6targetE1EEEvT1_: ; @_ZN7rocprim17ROCPRIM_400000_NS6detail17trampoline_kernelINS0_14default_configENS1_20scan_config_selectorIxEEZZNS1_9scan_implILNS1_25lookback_scan_determinismE0ELb0ELb0ES3_N6thrust23THRUST_200600_302600_NS6detail15normal_iteratorINS9_10device_ptrIxEEEESE_x9plus_mod3IxExEEDaPvRmT3_T4_T5_mT6_P12ihipStream_tbENKUlT_T0_E_clISt17integral_constantIbLb0EEST_IbLb1EEEEDaSP_SQ_EUlSP_E0_NS1_11comp_targetILNS1_3genE3ELNS1_11target_archE908ELNS1_3gpuE7ELNS1_3repE0EEENS1_30default_config_static_selectorELNS0_4arch9wavefront6targetE1EEEvT1_
; %bb.0:
	.section	.rodata,"a",@progbits
	.p2align	6, 0x0
	.amdhsa_kernel _ZN7rocprim17ROCPRIM_400000_NS6detail17trampoline_kernelINS0_14default_configENS1_20scan_config_selectorIxEEZZNS1_9scan_implILNS1_25lookback_scan_determinismE0ELb0ELb0ES3_N6thrust23THRUST_200600_302600_NS6detail15normal_iteratorINS9_10device_ptrIxEEEESE_x9plus_mod3IxExEEDaPvRmT3_T4_T5_mT6_P12ihipStream_tbENKUlT_T0_E_clISt17integral_constantIbLb0EEST_IbLb1EEEEDaSP_SQ_EUlSP_E0_NS1_11comp_targetILNS1_3genE3ELNS1_11target_archE908ELNS1_3gpuE7ELNS1_3repE0EEENS1_30default_config_static_selectorELNS0_4arch9wavefront6targetE1EEEvT1_
		.amdhsa_group_segment_fixed_size 0
		.amdhsa_private_segment_fixed_size 0
		.amdhsa_kernarg_size 40
		.amdhsa_user_sgpr_count 6
		.amdhsa_user_sgpr_private_segment_buffer 1
		.amdhsa_user_sgpr_dispatch_ptr 0
		.amdhsa_user_sgpr_queue_ptr 0
		.amdhsa_user_sgpr_kernarg_segment_ptr 1
		.amdhsa_user_sgpr_dispatch_id 0
		.amdhsa_user_sgpr_flat_scratch_init 0
		.amdhsa_user_sgpr_kernarg_preload_length 0
		.amdhsa_user_sgpr_kernarg_preload_offset 0
		.amdhsa_user_sgpr_private_segment_size 0
		.amdhsa_uses_dynamic_stack 0
		.amdhsa_system_sgpr_private_segment_wavefront_offset 0
		.amdhsa_system_sgpr_workgroup_id_x 1
		.amdhsa_system_sgpr_workgroup_id_y 0
		.amdhsa_system_sgpr_workgroup_id_z 0
		.amdhsa_system_sgpr_workgroup_info 0
		.amdhsa_system_vgpr_workitem_id 0
		.amdhsa_next_free_vgpr 1
		.amdhsa_next_free_sgpr 0
		.amdhsa_accum_offset 4
		.amdhsa_reserve_vcc 0
		.amdhsa_reserve_flat_scratch 0
		.amdhsa_float_round_mode_32 0
		.amdhsa_float_round_mode_16_64 0
		.amdhsa_float_denorm_mode_32 3
		.amdhsa_float_denorm_mode_16_64 3
		.amdhsa_dx10_clamp 1
		.amdhsa_ieee_mode 1
		.amdhsa_fp16_overflow 0
		.amdhsa_tg_split 0
		.amdhsa_exception_fp_ieee_invalid_op 0
		.amdhsa_exception_fp_denorm_src 0
		.amdhsa_exception_fp_ieee_div_zero 0
		.amdhsa_exception_fp_ieee_overflow 0
		.amdhsa_exception_fp_ieee_underflow 0
		.amdhsa_exception_fp_ieee_inexact 0
		.amdhsa_exception_int_div_zero 0
	.end_amdhsa_kernel
	.section	.text._ZN7rocprim17ROCPRIM_400000_NS6detail17trampoline_kernelINS0_14default_configENS1_20scan_config_selectorIxEEZZNS1_9scan_implILNS1_25lookback_scan_determinismE0ELb0ELb0ES3_N6thrust23THRUST_200600_302600_NS6detail15normal_iteratorINS9_10device_ptrIxEEEESE_x9plus_mod3IxExEEDaPvRmT3_T4_T5_mT6_P12ihipStream_tbENKUlT_T0_E_clISt17integral_constantIbLb0EEST_IbLb1EEEEDaSP_SQ_EUlSP_E0_NS1_11comp_targetILNS1_3genE3ELNS1_11target_archE908ELNS1_3gpuE7ELNS1_3repE0EEENS1_30default_config_static_selectorELNS0_4arch9wavefront6targetE1EEEvT1_,"axG",@progbits,_ZN7rocprim17ROCPRIM_400000_NS6detail17trampoline_kernelINS0_14default_configENS1_20scan_config_selectorIxEEZZNS1_9scan_implILNS1_25lookback_scan_determinismE0ELb0ELb0ES3_N6thrust23THRUST_200600_302600_NS6detail15normal_iteratorINS9_10device_ptrIxEEEESE_x9plus_mod3IxExEEDaPvRmT3_T4_T5_mT6_P12ihipStream_tbENKUlT_T0_E_clISt17integral_constantIbLb0EEST_IbLb1EEEEDaSP_SQ_EUlSP_E0_NS1_11comp_targetILNS1_3genE3ELNS1_11target_archE908ELNS1_3gpuE7ELNS1_3repE0EEENS1_30default_config_static_selectorELNS0_4arch9wavefront6targetE1EEEvT1_,comdat
.Lfunc_end6600:
	.size	_ZN7rocprim17ROCPRIM_400000_NS6detail17trampoline_kernelINS0_14default_configENS1_20scan_config_selectorIxEEZZNS1_9scan_implILNS1_25lookback_scan_determinismE0ELb0ELb0ES3_N6thrust23THRUST_200600_302600_NS6detail15normal_iteratorINS9_10device_ptrIxEEEESE_x9plus_mod3IxExEEDaPvRmT3_T4_T5_mT6_P12ihipStream_tbENKUlT_T0_E_clISt17integral_constantIbLb0EEST_IbLb1EEEEDaSP_SQ_EUlSP_E0_NS1_11comp_targetILNS1_3genE3ELNS1_11target_archE908ELNS1_3gpuE7ELNS1_3repE0EEENS1_30default_config_static_selectorELNS0_4arch9wavefront6targetE1EEEvT1_, .Lfunc_end6600-_ZN7rocprim17ROCPRIM_400000_NS6detail17trampoline_kernelINS0_14default_configENS1_20scan_config_selectorIxEEZZNS1_9scan_implILNS1_25lookback_scan_determinismE0ELb0ELb0ES3_N6thrust23THRUST_200600_302600_NS6detail15normal_iteratorINS9_10device_ptrIxEEEESE_x9plus_mod3IxExEEDaPvRmT3_T4_T5_mT6_P12ihipStream_tbENKUlT_T0_E_clISt17integral_constantIbLb0EEST_IbLb1EEEEDaSP_SQ_EUlSP_E0_NS1_11comp_targetILNS1_3genE3ELNS1_11target_archE908ELNS1_3gpuE7ELNS1_3repE0EEENS1_30default_config_static_selectorELNS0_4arch9wavefront6targetE1EEEvT1_
                                        ; -- End function
	.section	.AMDGPU.csdata,"",@progbits
; Kernel info:
; codeLenInByte = 0
; NumSgprs: 4
; NumVgprs: 0
; NumAgprs: 0
; TotalNumVgprs: 0
; ScratchSize: 0
; MemoryBound: 0
; FloatMode: 240
; IeeeMode: 1
; LDSByteSize: 0 bytes/workgroup (compile time only)
; SGPRBlocks: 0
; VGPRBlocks: 0
; NumSGPRsForWavesPerEU: 4
; NumVGPRsForWavesPerEU: 1
; AccumOffset: 4
; Occupancy: 8
; WaveLimiterHint : 0
; COMPUTE_PGM_RSRC2:SCRATCH_EN: 0
; COMPUTE_PGM_RSRC2:USER_SGPR: 6
; COMPUTE_PGM_RSRC2:TRAP_HANDLER: 0
; COMPUTE_PGM_RSRC2:TGID_X_EN: 1
; COMPUTE_PGM_RSRC2:TGID_Y_EN: 0
; COMPUTE_PGM_RSRC2:TGID_Z_EN: 0
; COMPUTE_PGM_RSRC2:TIDIG_COMP_CNT: 0
; COMPUTE_PGM_RSRC3_GFX90A:ACCUM_OFFSET: 0
; COMPUTE_PGM_RSRC3_GFX90A:TG_SPLIT: 0
	.section	.text._ZN7rocprim17ROCPRIM_400000_NS6detail17trampoline_kernelINS0_14default_configENS1_20scan_config_selectorIxEEZZNS1_9scan_implILNS1_25lookback_scan_determinismE0ELb0ELb0ES3_N6thrust23THRUST_200600_302600_NS6detail15normal_iteratorINS9_10device_ptrIxEEEESE_x9plus_mod3IxExEEDaPvRmT3_T4_T5_mT6_P12ihipStream_tbENKUlT_T0_E_clISt17integral_constantIbLb0EEST_IbLb1EEEEDaSP_SQ_EUlSP_E0_NS1_11comp_targetILNS1_3genE2ELNS1_11target_archE906ELNS1_3gpuE6ELNS1_3repE0EEENS1_30default_config_static_selectorELNS0_4arch9wavefront6targetE1EEEvT1_,"axG",@progbits,_ZN7rocprim17ROCPRIM_400000_NS6detail17trampoline_kernelINS0_14default_configENS1_20scan_config_selectorIxEEZZNS1_9scan_implILNS1_25lookback_scan_determinismE0ELb0ELb0ES3_N6thrust23THRUST_200600_302600_NS6detail15normal_iteratorINS9_10device_ptrIxEEEESE_x9plus_mod3IxExEEDaPvRmT3_T4_T5_mT6_P12ihipStream_tbENKUlT_T0_E_clISt17integral_constantIbLb0EEST_IbLb1EEEEDaSP_SQ_EUlSP_E0_NS1_11comp_targetILNS1_3genE2ELNS1_11target_archE906ELNS1_3gpuE6ELNS1_3repE0EEENS1_30default_config_static_selectorELNS0_4arch9wavefront6targetE1EEEvT1_,comdat
	.protected	_ZN7rocprim17ROCPRIM_400000_NS6detail17trampoline_kernelINS0_14default_configENS1_20scan_config_selectorIxEEZZNS1_9scan_implILNS1_25lookback_scan_determinismE0ELb0ELb0ES3_N6thrust23THRUST_200600_302600_NS6detail15normal_iteratorINS9_10device_ptrIxEEEESE_x9plus_mod3IxExEEDaPvRmT3_T4_T5_mT6_P12ihipStream_tbENKUlT_T0_E_clISt17integral_constantIbLb0EEST_IbLb1EEEEDaSP_SQ_EUlSP_E0_NS1_11comp_targetILNS1_3genE2ELNS1_11target_archE906ELNS1_3gpuE6ELNS1_3repE0EEENS1_30default_config_static_selectorELNS0_4arch9wavefront6targetE1EEEvT1_ ; -- Begin function _ZN7rocprim17ROCPRIM_400000_NS6detail17trampoline_kernelINS0_14default_configENS1_20scan_config_selectorIxEEZZNS1_9scan_implILNS1_25lookback_scan_determinismE0ELb0ELb0ES3_N6thrust23THRUST_200600_302600_NS6detail15normal_iteratorINS9_10device_ptrIxEEEESE_x9plus_mod3IxExEEDaPvRmT3_T4_T5_mT6_P12ihipStream_tbENKUlT_T0_E_clISt17integral_constantIbLb0EEST_IbLb1EEEEDaSP_SQ_EUlSP_E0_NS1_11comp_targetILNS1_3genE2ELNS1_11target_archE906ELNS1_3gpuE6ELNS1_3repE0EEENS1_30default_config_static_selectorELNS0_4arch9wavefront6targetE1EEEvT1_
	.globl	_ZN7rocprim17ROCPRIM_400000_NS6detail17trampoline_kernelINS0_14default_configENS1_20scan_config_selectorIxEEZZNS1_9scan_implILNS1_25lookback_scan_determinismE0ELb0ELb0ES3_N6thrust23THRUST_200600_302600_NS6detail15normal_iteratorINS9_10device_ptrIxEEEESE_x9plus_mod3IxExEEDaPvRmT3_T4_T5_mT6_P12ihipStream_tbENKUlT_T0_E_clISt17integral_constantIbLb0EEST_IbLb1EEEEDaSP_SQ_EUlSP_E0_NS1_11comp_targetILNS1_3genE2ELNS1_11target_archE906ELNS1_3gpuE6ELNS1_3repE0EEENS1_30default_config_static_selectorELNS0_4arch9wavefront6targetE1EEEvT1_
	.p2align	8
	.type	_ZN7rocprim17ROCPRIM_400000_NS6detail17trampoline_kernelINS0_14default_configENS1_20scan_config_selectorIxEEZZNS1_9scan_implILNS1_25lookback_scan_determinismE0ELb0ELb0ES3_N6thrust23THRUST_200600_302600_NS6detail15normal_iteratorINS9_10device_ptrIxEEEESE_x9plus_mod3IxExEEDaPvRmT3_T4_T5_mT6_P12ihipStream_tbENKUlT_T0_E_clISt17integral_constantIbLb0EEST_IbLb1EEEEDaSP_SQ_EUlSP_E0_NS1_11comp_targetILNS1_3genE2ELNS1_11target_archE906ELNS1_3gpuE6ELNS1_3repE0EEENS1_30default_config_static_selectorELNS0_4arch9wavefront6targetE1EEEvT1_,@function
_ZN7rocprim17ROCPRIM_400000_NS6detail17trampoline_kernelINS0_14default_configENS1_20scan_config_selectorIxEEZZNS1_9scan_implILNS1_25lookback_scan_determinismE0ELb0ELb0ES3_N6thrust23THRUST_200600_302600_NS6detail15normal_iteratorINS9_10device_ptrIxEEEESE_x9plus_mod3IxExEEDaPvRmT3_T4_T5_mT6_P12ihipStream_tbENKUlT_T0_E_clISt17integral_constantIbLb0EEST_IbLb1EEEEDaSP_SQ_EUlSP_E0_NS1_11comp_targetILNS1_3genE2ELNS1_11target_archE906ELNS1_3gpuE6ELNS1_3repE0EEENS1_30default_config_static_selectorELNS0_4arch9wavefront6targetE1EEEvT1_: ; @_ZN7rocprim17ROCPRIM_400000_NS6detail17trampoline_kernelINS0_14default_configENS1_20scan_config_selectorIxEEZZNS1_9scan_implILNS1_25lookback_scan_determinismE0ELb0ELb0ES3_N6thrust23THRUST_200600_302600_NS6detail15normal_iteratorINS9_10device_ptrIxEEEESE_x9plus_mod3IxExEEDaPvRmT3_T4_T5_mT6_P12ihipStream_tbENKUlT_T0_E_clISt17integral_constantIbLb0EEST_IbLb1EEEEDaSP_SQ_EUlSP_E0_NS1_11comp_targetILNS1_3genE2ELNS1_11target_archE906ELNS1_3gpuE6ELNS1_3repE0EEENS1_30default_config_static_selectorELNS0_4arch9wavefront6targetE1EEEvT1_
; %bb.0:
	.section	.rodata,"a",@progbits
	.p2align	6, 0x0
	.amdhsa_kernel _ZN7rocprim17ROCPRIM_400000_NS6detail17trampoline_kernelINS0_14default_configENS1_20scan_config_selectorIxEEZZNS1_9scan_implILNS1_25lookback_scan_determinismE0ELb0ELb0ES3_N6thrust23THRUST_200600_302600_NS6detail15normal_iteratorINS9_10device_ptrIxEEEESE_x9plus_mod3IxExEEDaPvRmT3_T4_T5_mT6_P12ihipStream_tbENKUlT_T0_E_clISt17integral_constantIbLb0EEST_IbLb1EEEEDaSP_SQ_EUlSP_E0_NS1_11comp_targetILNS1_3genE2ELNS1_11target_archE906ELNS1_3gpuE6ELNS1_3repE0EEENS1_30default_config_static_selectorELNS0_4arch9wavefront6targetE1EEEvT1_
		.amdhsa_group_segment_fixed_size 0
		.amdhsa_private_segment_fixed_size 0
		.amdhsa_kernarg_size 40
		.amdhsa_user_sgpr_count 6
		.amdhsa_user_sgpr_private_segment_buffer 1
		.amdhsa_user_sgpr_dispatch_ptr 0
		.amdhsa_user_sgpr_queue_ptr 0
		.amdhsa_user_sgpr_kernarg_segment_ptr 1
		.amdhsa_user_sgpr_dispatch_id 0
		.amdhsa_user_sgpr_flat_scratch_init 0
		.amdhsa_user_sgpr_kernarg_preload_length 0
		.amdhsa_user_sgpr_kernarg_preload_offset 0
		.amdhsa_user_sgpr_private_segment_size 0
		.amdhsa_uses_dynamic_stack 0
		.amdhsa_system_sgpr_private_segment_wavefront_offset 0
		.amdhsa_system_sgpr_workgroup_id_x 1
		.amdhsa_system_sgpr_workgroup_id_y 0
		.amdhsa_system_sgpr_workgroup_id_z 0
		.amdhsa_system_sgpr_workgroup_info 0
		.amdhsa_system_vgpr_workitem_id 0
		.amdhsa_next_free_vgpr 1
		.amdhsa_next_free_sgpr 0
		.amdhsa_accum_offset 4
		.amdhsa_reserve_vcc 0
		.amdhsa_reserve_flat_scratch 0
		.amdhsa_float_round_mode_32 0
		.amdhsa_float_round_mode_16_64 0
		.amdhsa_float_denorm_mode_32 3
		.amdhsa_float_denorm_mode_16_64 3
		.amdhsa_dx10_clamp 1
		.amdhsa_ieee_mode 1
		.amdhsa_fp16_overflow 0
		.amdhsa_tg_split 0
		.amdhsa_exception_fp_ieee_invalid_op 0
		.amdhsa_exception_fp_denorm_src 0
		.amdhsa_exception_fp_ieee_div_zero 0
		.amdhsa_exception_fp_ieee_overflow 0
		.amdhsa_exception_fp_ieee_underflow 0
		.amdhsa_exception_fp_ieee_inexact 0
		.amdhsa_exception_int_div_zero 0
	.end_amdhsa_kernel
	.section	.text._ZN7rocprim17ROCPRIM_400000_NS6detail17trampoline_kernelINS0_14default_configENS1_20scan_config_selectorIxEEZZNS1_9scan_implILNS1_25lookback_scan_determinismE0ELb0ELb0ES3_N6thrust23THRUST_200600_302600_NS6detail15normal_iteratorINS9_10device_ptrIxEEEESE_x9plus_mod3IxExEEDaPvRmT3_T4_T5_mT6_P12ihipStream_tbENKUlT_T0_E_clISt17integral_constantIbLb0EEST_IbLb1EEEEDaSP_SQ_EUlSP_E0_NS1_11comp_targetILNS1_3genE2ELNS1_11target_archE906ELNS1_3gpuE6ELNS1_3repE0EEENS1_30default_config_static_selectorELNS0_4arch9wavefront6targetE1EEEvT1_,"axG",@progbits,_ZN7rocprim17ROCPRIM_400000_NS6detail17trampoline_kernelINS0_14default_configENS1_20scan_config_selectorIxEEZZNS1_9scan_implILNS1_25lookback_scan_determinismE0ELb0ELb0ES3_N6thrust23THRUST_200600_302600_NS6detail15normal_iteratorINS9_10device_ptrIxEEEESE_x9plus_mod3IxExEEDaPvRmT3_T4_T5_mT6_P12ihipStream_tbENKUlT_T0_E_clISt17integral_constantIbLb0EEST_IbLb1EEEEDaSP_SQ_EUlSP_E0_NS1_11comp_targetILNS1_3genE2ELNS1_11target_archE906ELNS1_3gpuE6ELNS1_3repE0EEENS1_30default_config_static_selectorELNS0_4arch9wavefront6targetE1EEEvT1_,comdat
.Lfunc_end6601:
	.size	_ZN7rocprim17ROCPRIM_400000_NS6detail17trampoline_kernelINS0_14default_configENS1_20scan_config_selectorIxEEZZNS1_9scan_implILNS1_25lookback_scan_determinismE0ELb0ELb0ES3_N6thrust23THRUST_200600_302600_NS6detail15normal_iteratorINS9_10device_ptrIxEEEESE_x9plus_mod3IxExEEDaPvRmT3_T4_T5_mT6_P12ihipStream_tbENKUlT_T0_E_clISt17integral_constantIbLb0EEST_IbLb1EEEEDaSP_SQ_EUlSP_E0_NS1_11comp_targetILNS1_3genE2ELNS1_11target_archE906ELNS1_3gpuE6ELNS1_3repE0EEENS1_30default_config_static_selectorELNS0_4arch9wavefront6targetE1EEEvT1_, .Lfunc_end6601-_ZN7rocprim17ROCPRIM_400000_NS6detail17trampoline_kernelINS0_14default_configENS1_20scan_config_selectorIxEEZZNS1_9scan_implILNS1_25lookback_scan_determinismE0ELb0ELb0ES3_N6thrust23THRUST_200600_302600_NS6detail15normal_iteratorINS9_10device_ptrIxEEEESE_x9plus_mod3IxExEEDaPvRmT3_T4_T5_mT6_P12ihipStream_tbENKUlT_T0_E_clISt17integral_constantIbLb0EEST_IbLb1EEEEDaSP_SQ_EUlSP_E0_NS1_11comp_targetILNS1_3genE2ELNS1_11target_archE906ELNS1_3gpuE6ELNS1_3repE0EEENS1_30default_config_static_selectorELNS0_4arch9wavefront6targetE1EEEvT1_
                                        ; -- End function
	.section	.AMDGPU.csdata,"",@progbits
; Kernel info:
; codeLenInByte = 0
; NumSgprs: 4
; NumVgprs: 0
; NumAgprs: 0
; TotalNumVgprs: 0
; ScratchSize: 0
; MemoryBound: 0
; FloatMode: 240
; IeeeMode: 1
; LDSByteSize: 0 bytes/workgroup (compile time only)
; SGPRBlocks: 0
; VGPRBlocks: 0
; NumSGPRsForWavesPerEU: 4
; NumVGPRsForWavesPerEU: 1
; AccumOffset: 4
; Occupancy: 8
; WaveLimiterHint : 0
; COMPUTE_PGM_RSRC2:SCRATCH_EN: 0
; COMPUTE_PGM_RSRC2:USER_SGPR: 6
; COMPUTE_PGM_RSRC2:TRAP_HANDLER: 0
; COMPUTE_PGM_RSRC2:TGID_X_EN: 1
; COMPUTE_PGM_RSRC2:TGID_Y_EN: 0
; COMPUTE_PGM_RSRC2:TGID_Z_EN: 0
; COMPUTE_PGM_RSRC2:TIDIG_COMP_CNT: 0
; COMPUTE_PGM_RSRC3_GFX90A:ACCUM_OFFSET: 0
; COMPUTE_PGM_RSRC3_GFX90A:TG_SPLIT: 0
	.section	.text._ZN7rocprim17ROCPRIM_400000_NS6detail17trampoline_kernelINS0_14default_configENS1_20scan_config_selectorIxEEZZNS1_9scan_implILNS1_25lookback_scan_determinismE0ELb0ELb0ES3_N6thrust23THRUST_200600_302600_NS6detail15normal_iteratorINS9_10device_ptrIxEEEESE_x9plus_mod3IxExEEDaPvRmT3_T4_T5_mT6_P12ihipStream_tbENKUlT_T0_E_clISt17integral_constantIbLb0EEST_IbLb1EEEEDaSP_SQ_EUlSP_E0_NS1_11comp_targetILNS1_3genE10ELNS1_11target_archE1201ELNS1_3gpuE5ELNS1_3repE0EEENS1_30default_config_static_selectorELNS0_4arch9wavefront6targetE1EEEvT1_,"axG",@progbits,_ZN7rocprim17ROCPRIM_400000_NS6detail17trampoline_kernelINS0_14default_configENS1_20scan_config_selectorIxEEZZNS1_9scan_implILNS1_25lookback_scan_determinismE0ELb0ELb0ES3_N6thrust23THRUST_200600_302600_NS6detail15normal_iteratorINS9_10device_ptrIxEEEESE_x9plus_mod3IxExEEDaPvRmT3_T4_T5_mT6_P12ihipStream_tbENKUlT_T0_E_clISt17integral_constantIbLb0EEST_IbLb1EEEEDaSP_SQ_EUlSP_E0_NS1_11comp_targetILNS1_3genE10ELNS1_11target_archE1201ELNS1_3gpuE5ELNS1_3repE0EEENS1_30default_config_static_selectorELNS0_4arch9wavefront6targetE1EEEvT1_,comdat
	.protected	_ZN7rocprim17ROCPRIM_400000_NS6detail17trampoline_kernelINS0_14default_configENS1_20scan_config_selectorIxEEZZNS1_9scan_implILNS1_25lookback_scan_determinismE0ELb0ELb0ES3_N6thrust23THRUST_200600_302600_NS6detail15normal_iteratorINS9_10device_ptrIxEEEESE_x9plus_mod3IxExEEDaPvRmT3_T4_T5_mT6_P12ihipStream_tbENKUlT_T0_E_clISt17integral_constantIbLb0EEST_IbLb1EEEEDaSP_SQ_EUlSP_E0_NS1_11comp_targetILNS1_3genE10ELNS1_11target_archE1201ELNS1_3gpuE5ELNS1_3repE0EEENS1_30default_config_static_selectorELNS0_4arch9wavefront6targetE1EEEvT1_ ; -- Begin function _ZN7rocprim17ROCPRIM_400000_NS6detail17trampoline_kernelINS0_14default_configENS1_20scan_config_selectorIxEEZZNS1_9scan_implILNS1_25lookback_scan_determinismE0ELb0ELb0ES3_N6thrust23THRUST_200600_302600_NS6detail15normal_iteratorINS9_10device_ptrIxEEEESE_x9plus_mod3IxExEEDaPvRmT3_T4_T5_mT6_P12ihipStream_tbENKUlT_T0_E_clISt17integral_constantIbLb0EEST_IbLb1EEEEDaSP_SQ_EUlSP_E0_NS1_11comp_targetILNS1_3genE10ELNS1_11target_archE1201ELNS1_3gpuE5ELNS1_3repE0EEENS1_30default_config_static_selectorELNS0_4arch9wavefront6targetE1EEEvT1_
	.globl	_ZN7rocprim17ROCPRIM_400000_NS6detail17trampoline_kernelINS0_14default_configENS1_20scan_config_selectorIxEEZZNS1_9scan_implILNS1_25lookback_scan_determinismE0ELb0ELb0ES3_N6thrust23THRUST_200600_302600_NS6detail15normal_iteratorINS9_10device_ptrIxEEEESE_x9plus_mod3IxExEEDaPvRmT3_T4_T5_mT6_P12ihipStream_tbENKUlT_T0_E_clISt17integral_constantIbLb0EEST_IbLb1EEEEDaSP_SQ_EUlSP_E0_NS1_11comp_targetILNS1_3genE10ELNS1_11target_archE1201ELNS1_3gpuE5ELNS1_3repE0EEENS1_30default_config_static_selectorELNS0_4arch9wavefront6targetE1EEEvT1_
	.p2align	8
	.type	_ZN7rocprim17ROCPRIM_400000_NS6detail17trampoline_kernelINS0_14default_configENS1_20scan_config_selectorIxEEZZNS1_9scan_implILNS1_25lookback_scan_determinismE0ELb0ELb0ES3_N6thrust23THRUST_200600_302600_NS6detail15normal_iteratorINS9_10device_ptrIxEEEESE_x9plus_mod3IxExEEDaPvRmT3_T4_T5_mT6_P12ihipStream_tbENKUlT_T0_E_clISt17integral_constantIbLb0EEST_IbLb1EEEEDaSP_SQ_EUlSP_E0_NS1_11comp_targetILNS1_3genE10ELNS1_11target_archE1201ELNS1_3gpuE5ELNS1_3repE0EEENS1_30default_config_static_selectorELNS0_4arch9wavefront6targetE1EEEvT1_,@function
_ZN7rocprim17ROCPRIM_400000_NS6detail17trampoline_kernelINS0_14default_configENS1_20scan_config_selectorIxEEZZNS1_9scan_implILNS1_25lookback_scan_determinismE0ELb0ELb0ES3_N6thrust23THRUST_200600_302600_NS6detail15normal_iteratorINS9_10device_ptrIxEEEESE_x9plus_mod3IxExEEDaPvRmT3_T4_T5_mT6_P12ihipStream_tbENKUlT_T0_E_clISt17integral_constantIbLb0EEST_IbLb1EEEEDaSP_SQ_EUlSP_E0_NS1_11comp_targetILNS1_3genE10ELNS1_11target_archE1201ELNS1_3gpuE5ELNS1_3repE0EEENS1_30default_config_static_selectorELNS0_4arch9wavefront6targetE1EEEvT1_: ; @_ZN7rocprim17ROCPRIM_400000_NS6detail17trampoline_kernelINS0_14default_configENS1_20scan_config_selectorIxEEZZNS1_9scan_implILNS1_25lookback_scan_determinismE0ELb0ELb0ES3_N6thrust23THRUST_200600_302600_NS6detail15normal_iteratorINS9_10device_ptrIxEEEESE_x9plus_mod3IxExEEDaPvRmT3_T4_T5_mT6_P12ihipStream_tbENKUlT_T0_E_clISt17integral_constantIbLb0EEST_IbLb1EEEEDaSP_SQ_EUlSP_E0_NS1_11comp_targetILNS1_3genE10ELNS1_11target_archE1201ELNS1_3gpuE5ELNS1_3repE0EEENS1_30default_config_static_selectorELNS0_4arch9wavefront6targetE1EEEvT1_
; %bb.0:
	.section	.rodata,"a",@progbits
	.p2align	6, 0x0
	.amdhsa_kernel _ZN7rocprim17ROCPRIM_400000_NS6detail17trampoline_kernelINS0_14default_configENS1_20scan_config_selectorIxEEZZNS1_9scan_implILNS1_25lookback_scan_determinismE0ELb0ELb0ES3_N6thrust23THRUST_200600_302600_NS6detail15normal_iteratorINS9_10device_ptrIxEEEESE_x9plus_mod3IxExEEDaPvRmT3_T4_T5_mT6_P12ihipStream_tbENKUlT_T0_E_clISt17integral_constantIbLb0EEST_IbLb1EEEEDaSP_SQ_EUlSP_E0_NS1_11comp_targetILNS1_3genE10ELNS1_11target_archE1201ELNS1_3gpuE5ELNS1_3repE0EEENS1_30default_config_static_selectorELNS0_4arch9wavefront6targetE1EEEvT1_
		.amdhsa_group_segment_fixed_size 0
		.amdhsa_private_segment_fixed_size 0
		.amdhsa_kernarg_size 40
		.amdhsa_user_sgpr_count 6
		.amdhsa_user_sgpr_private_segment_buffer 1
		.amdhsa_user_sgpr_dispatch_ptr 0
		.amdhsa_user_sgpr_queue_ptr 0
		.amdhsa_user_sgpr_kernarg_segment_ptr 1
		.amdhsa_user_sgpr_dispatch_id 0
		.amdhsa_user_sgpr_flat_scratch_init 0
		.amdhsa_user_sgpr_kernarg_preload_length 0
		.amdhsa_user_sgpr_kernarg_preload_offset 0
		.amdhsa_user_sgpr_private_segment_size 0
		.amdhsa_uses_dynamic_stack 0
		.amdhsa_system_sgpr_private_segment_wavefront_offset 0
		.amdhsa_system_sgpr_workgroup_id_x 1
		.amdhsa_system_sgpr_workgroup_id_y 0
		.amdhsa_system_sgpr_workgroup_id_z 0
		.amdhsa_system_sgpr_workgroup_info 0
		.amdhsa_system_vgpr_workitem_id 0
		.amdhsa_next_free_vgpr 1
		.amdhsa_next_free_sgpr 0
		.amdhsa_accum_offset 4
		.amdhsa_reserve_vcc 0
		.amdhsa_reserve_flat_scratch 0
		.amdhsa_float_round_mode_32 0
		.amdhsa_float_round_mode_16_64 0
		.amdhsa_float_denorm_mode_32 3
		.amdhsa_float_denorm_mode_16_64 3
		.amdhsa_dx10_clamp 1
		.amdhsa_ieee_mode 1
		.amdhsa_fp16_overflow 0
		.amdhsa_tg_split 0
		.amdhsa_exception_fp_ieee_invalid_op 0
		.amdhsa_exception_fp_denorm_src 0
		.amdhsa_exception_fp_ieee_div_zero 0
		.amdhsa_exception_fp_ieee_overflow 0
		.amdhsa_exception_fp_ieee_underflow 0
		.amdhsa_exception_fp_ieee_inexact 0
		.amdhsa_exception_int_div_zero 0
	.end_amdhsa_kernel
	.section	.text._ZN7rocprim17ROCPRIM_400000_NS6detail17trampoline_kernelINS0_14default_configENS1_20scan_config_selectorIxEEZZNS1_9scan_implILNS1_25lookback_scan_determinismE0ELb0ELb0ES3_N6thrust23THRUST_200600_302600_NS6detail15normal_iteratorINS9_10device_ptrIxEEEESE_x9plus_mod3IxExEEDaPvRmT3_T4_T5_mT6_P12ihipStream_tbENKUlT_T0_E_clISt17integral_constantIbLb0EEST_IbLb1EEEEDaSP_SQ_EUlSP_E0_NS1_11comp_targetILNS1_3genE10ELNS1_11target_archE1201ELNS1_3gpuE5ELNS1_3repE0EEENS1_30default_config_static_selectorELNS0_4arch9wavefront6targetE1EEEvT1_,"axG",@progbits,_ZN7rocprim17ROCPRIM_400000_NS6detail17trampoline_kernelINS0_14default_configENS1_20scan_config_selectorIxEEZZNS1_9scan_implILNS1_25lookback_scan_determinismE0ELb0ELb0ES3_N6thrust23THRUST_200600_302600_NS6detail15normal_iteratorINS9_10device_ptrIxEEEESE_x9plus_mod3IxExEEDaPvRmT3_T4_T5_mT6_P12ihipStream_tbENKUlT_T0_E_clISt17integral_constantIbLb0EEST_IbLb1EEEEDaSP_SQ_EUlSP_E0_NS1_11comp_targetILNS1_3genE10ELNS1_11target_archE1201ELNS1_3gpuE5ELNS1_3repE0EEENS1_30default_config_static_selectorELNS0_4arch9wavefront6targetE1EEEvT1_,comdat
.Lfunc_end6602:
	.size	_ZN7rocprim17ROCPRIM_400000_NS6detail17trampoline_kernelINS0_14default_configENS1_20scan_config_selectorIxEEZZNS1_9scan_implILNS1_25lookback_scan_determinismE0ELb0ELb0ES3_N6thrust23THRUST_200600_302600_NS6detail15normal_iteratorINS9_10device_ptrIxEEEESE_x9plus_mod3IxExEEDaPvRmT3_T4_T5_mT6_P12ihipStream_tbENKUlT_T0_E_clISt17integral_constantIbLb0EEST_IbLb1EEEEDaSP_SQ_EUlSP_E0_NS1_11comp_targetILNS1_3genE10ELNS1_11target_archE1201ELNS1_3gpuE5ELNS1_3repE0EEENS1_30default_config_static_selectorELNS0_4arch9wavefront6targetE1EEEvT1_, .Lfunc_end6602-_ZN7rocprim17ROCPRIM_400000_NS6detail17trampoline_kernelINS0_14default_configENS1_20scan_config_selectorIxEEZZNS1_9scan_implILNS1_25lookback_scan_determinismE0ELb0ELb0ES3_N6thrust23THRUST_200600_302600_NS6detail15normal_iteratorINS9_10device_ptrIxEEEESE_x9plus_mod3IxExEEDaPvRmT3_T4_T5_mT6_P12ihipStream_tbENKUlT_T0_E_clISt17integral_constantIbLb0EEST_IbLb1EEEEDaSP_SQ_EUlSP_E0_NS1_11comp_targetILNS1_3genE10ELNS1_11target_archE1201ELNS1_3gpuE5ELNS1_3repE0EEENS1_30default_config_static_selectorELNS0_4arch9wavefront6targetE1EEEvT1_
                                        ; -- End function
	.section	.AMDGPU.csdata,"",@progbits
; Kernel info:
; codeLenInByte = 0
; NumSgprs: 4
; NumVgprs: 0
; NumAgprs: 0
; TotalNumVgprs: 0
; ScratchSize: 0
; MemoryBound: 0
; FloatMode: 240
; IeeeMode: 1
; LDSByteSize: 0 bytes/workgroup (compile time only)
; SGPRBlocks: 0
; VGPRBlocks: 0
; NumSGPRsForWavesPerEU: 4
; NumVGPRsForWavesPerEU: 1
; AccumOffset: 4
; Occupancy: 8
; WaveLimiterHint : 0
; COMPUTE_PGM_RSRC2:SCRATCH_EN: 0
; COMPUTE_PGM_RSRC2:USER_SGPR: 6
; COMPUTE_PGM_RSRC2:TRAP_HANDLER: 0
; COMPUTE_PGM_RSRC2:TGID_X_EN: 1
; COMPUTE_PGM_RSRC2:TGID_Y_EN: 0
; COMPUTE_PGM_RSRC2:TGID_Z_EN: 0
; COMPUTE_PGM_RSRC2:TIDIG_COMP_CNT: 0
; COMPUTE_PGM_RSRC3_GFX90A:ACCUM_OFFSET: 0
; COMPUTE_PGM_RSRC3_GFX90A:TG_SPLIT: 0
	.section	.text._ZN7rocprim17ROCPRIM_400000_NS6detail17trampoline_kernelINS0_14default_configENS1_20scan_config_selectorIxEEZZNS1_9scan_implILNS1_25lookback_scan_determinismE0ELb0ELb0ES3_N6thrust23THRUST_200600_302600_NS6detail15normal_iteratorINS9_10device_ptrIxEEEESE_x9plus_mod3IxExEEDaPvRmT3_T4_T5_mT6_P12ihipStream_tbENKUlT_T0_E_clISt17integral_constantIbLb0EEST_IbLb1EEEEDaSP_SQ_EUlSP_E0_NS1_11comp_targetILNS1_3genE10ELNS1_11target_archE1200ELNS1_3gpuE4ELNS1_3repE0EEENS1_30default_config_static_selectorELNS0_4arch9wavefront6targetE1EEEvT1_,"axG",@progbits,_ZN7rocprim17ROCPRIM_400000_NS6detail17trampoline_kernelINS0_14default_configENS1_20scan_config_selectorIxEEZZNS1_9scan_implILNS1_25lookback_scan_determinismE0ELb0ELb0ES3_N6thrust23THRUST_200600_302600_NS6detail15normal_iteratorINS9_10device_ptrIxEEEESE_x9plus_mod3IxExEEDaPvRmT3_T4_T5_mT6_P12ihipStream_tbENKUlT_T0_E_clISt17integral_constantIbLb0EEST_IbLb1EEEEDaSP_SQ_EUlSP_E0_NS1_11comp_targetILNS1_3genE10ELNS1_11target_archE1200ELNS1_3gpuE4ELNS1_3repE0EEENS1_30default_config_static_selectorELNS0_4arch9wavefront6targetE1EEEvT1_,comdat
	.protected	_ZN7rocprim17ROCPRIM_400000_NS6detail17trampoline_kernelINS0_14default_configENS1_20scan_config_selectorIxEEZZNS1_9scan_implILNS1_25lookback_scan_determinismE0ELb0ELb0ES3_N6thrust23THRUST_200600_302600_NS6detail15normal_iteratorINS9_10device_ptrIxEEEESE_x9plus_mod3IxExEEDaPvRmT3_T4_T5_mT6_P12ihipStream_tbENKUlT_T0_E_clISt17integral_constantIbLb0EEST_IbLb1EEEEDaSP_SQ_EUlSP_E0_NS1_11comp_targetILNS1_3genE10ELNS1_11target_archE1200ELNS1_3gpuE4ELNS1_3repE0EEENS1_30default_config_static_selectorELNS0_4arch9wavefront6targetE1EEEvT1_ ; -- Begin function _ZN7rocprim17ROCPRIM_400000_NS6detail17trampoline_kernelINS0_14default_configENS1_20scan_config_selectorIxEEZZNS1_9scan_implILNS1_25lookback_scan_determinismE0ELb0ELb0ES3_N6thrust23THRUST_200600_302600_NS6detail15normal_iteratorINS9_10device_ptrIxEEEESE_x9plus_mod3IxExEEDaPvRmT3_T4_T5_mT6_P12ihipStream_tbENKUlT_T0_E_clISt17integral_constantIbLb0EEST_IbLb1EEEEDaSP_SQ_EUlSP_E0_NS1_11comp_targetILNS1_3genE10ELNS1_11target_archE1200ELNS1_3gpuE4ELNS1_3repE0EEENS1_30default_config_static_selectorELNS0_4arch9wavefront6targetE1EEEvT1_
	.globl	_ZN7rocprim17ROCPRIM_400000_NS6detail17trampoline_kernelINS0_14default_configENS1_20scan_config_selectorIxEEZZNS1_9scan_implILNS1_25lookback_scan_determinismE0ELb0ELb0ES3_N6thrust23THRUST_200600_302600_NS6detail15normal_iteratorINS9_10device_ptrIxEEEESE_x9plus_mod3IxExEEDaPvRmT3_T4_T5_mT6_P12ihipStream_tbENKUlT_T0_E_clISt17integral_constantIbLb0EEST_IbLb1EEEEDaSP_SQ_EUlSP_E0_NS1_11comp_targetILNS1_3genE10ELNS1_11target_archE1200ELNS1_3gpuE4ELNS1_3repE0EEENS1_30default_config_static_selectorELNS0_4arch9wavefront6targetE1EEEvT1_
	.p2align	8
	.type	_ZN7rocprim17ROCPRIM_400000_NS6detail17trampoline_kernelINS0_14default_configENS1_20scan_config_selectorIxEEZZNS1_9scan_implILNS1_25lookback_scan_determinismE0ELb0ELb0ES3_N6thrust23THRUST_200600_302600_NS6detail15normal_iteratorINS9_10device_ptrIxEEEESE_x9plus_mod3IxExEEDaPvRmT3_T4_T5_mT6_P12ihipStream_tbENKUlT_T0_E_clISt17integral_constantIbLb0EEST_IbLb1EEEEDaSP_SQ_EUlSP_E0_NS1_11comp_targetILNS1_3genE10ELNS1_11target_archE1200ELNS1_3gpuE4ELNS1_3repE0EEENS1_30default_config_static_selectorELNS0_4arch9wavefront6targetE1EEEvT1_,@function
_ZN7rocprim17ROCPRIM_400000_NS6detail17trampoline_kernelINS0_14default_configENS1_20scan_config_selectorIxEEZZNS1_9scan_implILNS1_25lookback_scan_determinismE0ELb0ELb0ES3_N6thrust23THRUST_200600_302600_NS6detail15normal_iteratorINS9_10device_ptrIxEEEESE_x9plus_mod3IxExEEDaPvRmT3_T4_T5_mT6_P12ihipStream_tbENKUlT_T0_E_clISt17integral_constantIbLb0EEST_IbLb1EEEEDaSP_SQ_EUlSP_E0_NS1_11comp_targetILNS1_3genE10ELNS1_11target_archE1200ELNS1_3gpuE4ELNS1_3repE0EEENS1_30default_config_static_selectorELNS0_4arch9wavefront6targetE1EEEvT1_: ; @_ZN7rocprim17ROCPRIM_400000_NS6detail17trampoline_kernelINS0_14default_configENS1_20scan_config_selectorIxEEZZNS1_9scan_implILNS1_25lookback_scan_determinismE0ELb0ELb0ES3_N6thrust23THRUST_200600_302600_NS6detail15normal_iteratorINS9_10device_ptrIxEEEESE_x9plus_mod3IxExEEDaPvRmT3_T4_T5_mT6_P12ihipStream_tbENKUlT_T0_E_clISt17integral_constantIbLb0EEST_IbLb1EEEEDaSP_SQ_EUlSP_E0_NS1_11comp_targetILNS1_3genE10ELNS1_11target_archE1200ELNS1_3gpuE4ELNS1_3repE0EEENS1_30default_config_static_selectorELNS0_4arch9wavefront6targetE1EEEvT1_
; %bb.0:
	.section	.rodata,"a",@progbits
	.p2align	6, 0x0
	.amdhsa_kernel _ZN7rocprim17ROCPRIM_400000_NS6detail17trampoline_kernelINS0_14default_configENS1_20scan_config_selectorIxEEZZNS1_9scan_implILNS1_25lookback_scan_determinismE0ELb0ELb0ES3_N6thrust23THRUST_200600_302600_NS6detail15normal_iteratorINS9_10device_ptrIxEEEESE_x9plus_mod3IxExEEDaPvRmT3_T4_T5_mT6_P12ihipStream_tbENKUlT_T0_E_clISt17integral_constantIbLb0EEST_IbLb1EEEEDaSP_SQ_EUlSP_E0_NS1_11comp_targetILNS1_3genE10ELNS1_11target_archE1200ELNS1_3gpuE4ELNS1_3repE0EEENS1_30default_config_static_selectorELNS0_4arch9wavefront6targetE1EEEvT1_
		.amdhsa_group_segment_fixed_size 0
		.amdhsa_private_segment_fixed_size 0
		.amdhsa_kernarg_size 40
		.amdhsa_user_sgpr_count 6
		.amdhsa_user_sgpr_private_segment_buffer 1
		.amdhsa_user_sgpr_dispatch_ptr 0
		.amdhsa_user_sgpr_queue_ptr 0
		.amdhsa_user_sgpr_kernarg_segment_ptr 1
		.amdhsa_user_sgpr_dispatch_id 0
		.amdhsa_user_sgpr_flat_scratch_init 0
		.amdhsa_user_sgpr_kernarg_preload_length 0
		.amdhsa_user_sgpr_kernarg_preload_offset 0
		.amdhsa_user_sgpr_private_segment_size 0
		.amdhsa_uses_dynamic_stack 0
		.amdhsa_system_sgpr_private_segment_wavefront_offset 0
		.amdhsa_system_sgpr_workgroup_id_x 1
		.amdhsa_system_sgpr_workgroup_id_y 0
		.amdhsa_system_sgpr_workgroup_id_z 0
		.amdhsa_system_sgpr_workgroup_info 0
		.amdhsa_system_vgpr_workitem_id 0
		.amdhsa_next_free_vgpr 1
		.amdhsa_next_free_sgpr 0
		.amdhsa_accum_offset 4
		.amdhsa_reserve_vcc 0
		.amdhsa_reserve_flat_scratch 0
		.amdhsa_float_round_mode_32 0
		.amdhsa_float_round_mode_16_64 0
		.amdhsa_float_denorm_mode_32 3
		.amdhsa_float_denorm_mode_16_64 3
		.amdhsa_dx10_clamp 1
		.amdhsa_ieee_mode 1
		.amdhsa_fp16_overflow 0
		.amdhsa_tg_split 0
		.amdhsa_exception_fp_ieee_invalid_op 0
		.amdhsa_exception_fp_denorm_src 0
		.amdhsa_exception_fp_ieee_div_zero 0
		.amdhsa_exception_fp_ieee_overflow 0
		.amdhsa_exception_fp_ieee_underflow 0
		.amdhsa_exception_fp_ieee_inexact 0
		.amdhsa_exception_int_div_zero 0
	.end_amdhsa_kernel
	.section	.text._ZN7rocprim17ROCPRIM_400000_NS6detail17trampoline_kernelINS0_14default_configENS1_20scan_config_selectorIxEEZZNS1_9scan_implILNS1_25lookback_scan_determinismE0ELb0ELb0ES3_N6thrust23THRUST_200600_302600_NS6detail15normal_iteratorINS9_10device_ptrIxEEEESE_x9plus_mod3IxExEEDaPvRmT3_T4_T5_mT6_P12ihipStream_tbENKUlT_T0_E_clISt17integral_constantIbLb0EEST_IbLb1EEEEDaSP_SQ_EUlSP_E0_NS1_11comp_targetILNS1_3genE10ELNS1_11target_archE1200ELNS1_3gpuE4ELNS1_3repE0EEENS1_30default_config_static_selectorELNS0_4arch9wavefront6targetE1EEEvT1_,"axG",@progbits,_ZN7rocprim17ROCPRIM_400000_NS6detail17trampoline_kernelINS0_14default_configENS1_20scan_config_selectorIxEEZZNS1_9scan_implILNS1_25lookback_scan_determinismE0ELb0ELb0ES3_N6thrust23THRUST_200600_302600_NS6detail15normal_iteratorINS9_10device_ptrIxEEEESE_x9plus_mod3IxExEEDaPvRmT3_T4_T5_mT6_P12ihipStream_tbENKUlT_T0_E_clISt17integral_constantIbLb0EEST_IbLb1EEEEDaSP_SQ_EUlSP_E0_NS1_11comp_targetILNS1_3genE10ELNS1_11target_archE1200ELNS1_3gpuE4ELNS1_3repE0EEENS1_30default_config_static_selectorELNS0_4arch9wavefront6targetE1EEEvT1_,comdat
.Lfunc_end6603:
	.size	_ZN7rocprim17ROCPRIM_400000_NS6detail17trampoline_kernelINS0_14default_configENS1_20scan_config_selectorIxEEZZNS1_9scan_implILNS1_25lookback_scan_determinismE0ELb0ELb0ES3_N6thrust23THRUST_200600_302600_NS6detail15normal_iteratorINS9_10device_ptrIxEEEESE_x9plus_mod3IxExEEDaPvRmT3_T4_T5_mT6_P12ihipStream_tbENKUlT_T0_E_clISt17integral_constantIbLb0EEST_IbLb1EEEEDaSP_SQ_EUlSP_E0_NS1_11comp_targetILNS1_3genE10ELNS1_11target_archE1200ELNS1_3gpuE4ELNS1_3repE0EEENS1_30default_config_static_selectorELNS0_4arch9wavefront6targetE1EEEvT1_, .Lfunc_end6603-_ZN7rocprim17ROCPRIM_400000_NS6detail17trampoline_kernelINS0_14default_configENS1_20scan_config_selectorIxEEZZNS1_9scan_implILNS1_25lookback_scan_determinismE0ELb0ELb0ES3_N6thrust23THRUST_200600_302600_NS6detail15normal_iteratorINS9_10device_ptrIxEEEESE_x9plus_mod3IxExEEDaPvRmT3_T4_T5_mT6_P12ihipStream_tbENKUlT_T0_E_clISt17integral_constantIbLb0EEST_IbLb1EEEEDaSP_SQ_EUlSP_E0_NS1_11comp_targetILNS1_3genE10ELNS1_11target_archE1200ELNS1_3gpuE4ELNS1_3repE0EEENS1_30default_config_static_selectorELNS0_4arch9wavefront6targetE1EEEvT1_
                                        ; -- End function
	.section	.AMDGPU.csdata,"",@progbits
; Kernel info:
; codeLenInByte = 0
; NumSgprs: 4
; NumVgprs: 0
; NumAgprs: 0
; TotalNumVgprs: 0
; ScratchSize: 0
; MemoryBound: 0
; FloatMode: 240
; IeeeMode: 1
; LDSByteSize: 0 bytes/workgroup (compile time only)
; SGPRBlocks: 0
; VGPRBlocks: 0
; NumSGPRsForWavesPerEU: 4
; NumVGPRsForWavesPerEU: 1
; AccumOffset: 4
; Occupancy: 8
; WaveLimiterHint : 0
; COMPUTE_PGM_RSRC2:SCRATCH_EN: 0
; COMPUTE_PGM_RSRC2:USER_SGPR: 6
; COMPUTE_PGM_RSRC2:TRAP_HANDLER: 0
; COMPUTE_PGM_RSRC2:TGID_X_EN: 1
; COMPUTE_PGM_RSRC2:TGID_Y_EN: 0
; COMPUTE_PGM_RSRC2:TGID_Z_EN: 0
; COMPUTE_PGM_RSRC2:TIDIG_COMP_CNT: 0
; COMPUTE_PGM_RSRC3_GFX90A:ACCUM_OFFSET: 0
; COMPUTE_PGM_RSRC3_GFX90A:TG_SPLIT: 0
	.section	.text._ZN7rocprim17ROCPRIM_400000_NS6detail17trampoline_kernelINS0_14default_configENS1_20scan_config_selectorIxEEZZNS1_9scan_implILNS1_25lookback_scan_determinismE0ELb0ELb0ES3_N6thrust23THRUST_200600_302600_NS6detail15normal_iteratorINS9_10device_ptrIxEEEESE_x9plus_mod3IxExEEDaPvRmT3_T4_T5_mT6_P12ihipStream_tbENKUlT_T0_E_clISt17integral_constantIbLb0EEST_IbLb1EEEEDaSP_SQ_EUlSP_E0_NS1_11comp_targetILNS1_3genE9ELNS1_11target_archE1100ELNS1_3gpuE3ELNS1_3repE0EEENS1_30default_config_static_selectorELNS0_4arch9wavefront6targetE1EEEvT1_,"axG",@progbits,_ZN7rocprim17ROCPRIM_400000_NS6detail17trampoline_kernelINS0_14default_configENS1_20scan_config_selectorIxEEZZNS1_9scan_implILNS1_25lookback_scan_determinismE0ELb0ELb0ES3_N6thrust23THRUST_200600_302600_NS6detail15normal_iteratorINS9_10device_ptrIxEEEESE_x9plus_mod3IxExEEDaPvRmT3_T4_T5_mT6_P12ihipStream_tbENKUlT_T0_E_clISt17integral_constantIbLb0EEST_IbLb1EEEEDaSP_SQ_EUlSP_E0_NS1_11comp_targetILNS1_3genE9ELNS1_11target_archE1100ELNS1_3gpuE3ELNS1_3repE0EEENS1_30default_config_static_selectorELNS0_4arch9wavefront6targetE1EEEvT1_,comdat
	.protected	_ZN7rocprim17ROCPRIM_400000_NS6detail17trampoline_kernelINS0_14default_configENS1_20scan_config_selectorIxEEZZNS1_9scan_implILNS1_25lookback_scan_determinismE0ELb0ELb0ES3_N6thrust23THRUST_200600_302600_NS6detail15normal_iteratorINS9_10device_ptrIxEEEESE_x9plus_mod3IxExEEDaPvRmT3_T4_T5_mT6_P12ihipStream_tbENKUlT_T0_E_clISt17integral_constantIbLb0EEST_IbLb1EEEEDaSP_SQ_EUlSP_E0_NS1_11comp_targetILNS1_3genE9ELNS1_11target_archE1100ELNS1_3gpuE3ELNS1_3repE0EEENS1_30default_config_static_selectorELNS0_4arch9wavefront6targetE1EEEvT1_ ; -- Begin function _ZN7rocprim17ROCPRIM_400000_NS6detail17trampoline_kernelINS0_14default_configENS1_20scan_config_selectorIxEEZZNS1_9scan_implILNS1_25lookback_scan_determinismE0ELb0ELb0ES3_N6thrust23THRUST_200600_302600_NS6detail15normal_iteratorINS9_10device_ptrIxEEEESE_x9plus_mod3IxExEEDaPvRmT3_T4_T5_mT6_P12ihipStream_tbENKUlT_T0_E_clISt17integral_constantIbLb0EEST_IbLb1EEEEDaSP_SQ_EUlSP_E0_NS1_11comp_targetILNS1_3genE9ELNS1_11target_archE1100ELNS1_3gpuE3ELNS1_3repE0EEENS1_30default_config_static_selectorELNS0_4arch9wavefront6targetE1EEEvT1_
	.globl	_ZN7rocprim17ROCPRIM_400000_NS6detail17trampoline_kernelINS0_14default_configENS1_20scan_config_selectorIxEEZZNS1_9scan_implILNS1_25lookback_scan_determinismE0ELb0ELb0ES3_N6thrust23THRUST_200600_302600_NS6detail15normal_iteratorINS9_10device_ptrIxEEEESE_x9plus_mod3IxExEEDaPvRmT3_T4_T5_mT6_P12ihipStream_tbENKUlT_T0_E_clISt17integral_constantIbLb0EEST_IbLb1EEEEDaSP_SQ_EUlSP_E0_NS1_11comp_targetILNS1_3genE9ELNS1_11target_archE1100ELNS1_3gpuE3ELNS1_3repE0EEENS1_30default_config_static_selectorELNS0_4arch9wavefront6targetE1EEEvT1_
	.p2align	8
	.type	_ZN7rocprim17ROCPRIM_400000_NS6detail17trampoline_kernelINS0_14default_configENS1_20scan_config_selectorIxEEZZNS1_9scan_implILNS1_25lookback_scan_determinismE0ELb0ELb0ES3_N6thrust23THRUST_200600_302600_NS6detail15normal_iteratorINS9_10device_ptrIxEEEESE_x9plus_mod3IxExEEDaPvRmT3_T4_T5_mT6_P12ihipStream_tbENKUlT_T0_E_clISt17integral_constantIbLb0EEST_IbLb1EEEEDaSP_SQ_EUlSP_E0_NS1_11comp_targetILNS1_3genE9ELNS1_11target_archE1100ELNS1_3gpuE3ELNS1_3repE0EEENS1_30default_config_static_selectorELNS0_4arch9wavefront6targetE1EEEvT1_,@function
_ZN7rocprim17ROCPRIM_400000_NS6detail17trampoline_kernelINS0_14default_configENS1_20scan_config_selectorIxEEZZNS1_9scan_implILNS1_25lookback_scan_determinismE0ELb0ELb0ES3_N6thrust23THRUST_200600_302600_NS6detail15normal_iteratorINS9_10device_ptrIxEEEESE_x9plus_mod3IxExEEDaPvRmT3_T4_T5_mT6_P12ihipStream_tbENKUlT_T0_E_clISt17integral_constantIbLb0EEST_IbLb1EEEEDaSP_SQ_EUlSP_E0_NS1_11comp_targetILNS1_3genE9ELNS1_11target_archE1100ELNS1_3gpuE3ELNS1_3repE0EEENS1_30default_config_static_selectorELNS0_4arch9wavefront6targetE1EEEvT1_: ; @_ZN7rocprim17ROCPRIM_400000_NS6detail17trampoline_kernelINS0_14default_configENS1_20scan_config_selectorIxEEZZNS1_9scan_implILNS1_25lookback_scan_determinismE0ELb0ELb0ES3_N6thrust23THRUST_200600_302600_NS6detail15normal_iteratorINS9_10device_ptrIxEEEESE_x9plus_mod3IxExEEDaPvRmT3_T4_T5_mT6_P12ihipStream_tbENKUlT_T0_E_clISt17integral_constantIbLb0EEST_IbLb1EEEEDaSP_SQ_EUlSP_E0_NS1_11comp_targetILNS1_3genE9ELNS1_11target_archE1100ELNS1_3gpuE3ELNS1_3repE0EEENS1_30default_config_static_selectorELNS0_4arch9wavefront6targetE1EEEvT1_
; %bb.0:
	.section	.rodata,"a",@progbits
	.p2align	6, 0x0
	.amdhsa_kernel _ZN7rocprim17ROCPRIM_400000_NS6detail17trampoline_kernelINS0_14default_configENS1_20scan_config_selectorIxEEZZNS1_9scan_implILNS1_25lookback_scan_determinismE0ELb0ELb0ES3_N6thrust23THRUST_200600_302600_NS6detail15normal_iteratorINS9_10device_ptrIxEEEESE_x9plus_mod3IxExEEDaPvRmT3_T4_T5_mT6_P12ihipStream_tbENKUlT_T0_E_clISt17integral_constantIbLb0EEST_IbLb1EEEEDaSP_SQ_EUlSP_E0_NS1_11comp_targetILNS1_3genE9ELNS1_11target_archE1100ELNS1_3gpuE3ELNS1_3repE0EEENS1_30default_config_static_selectorELNS0_4arch9wavefront6targetE1EEEvT1_
		.amdhsa_group_segment_fixed_size 0
		.amdhsa_private_segment_fixed_size 0
		.amdhsa_kernarg_size 40
		.amdhsa_user_sgpr_count 6
		.amdhsa_user_sgpr_private_segment_buffer 1
		.amdhsa_user_sgpr_dispatch_ptr 0
		.amdhsa_user_sgpr_queue_ptr 0
		.amdhsa_user_sgpr_kernarg_segment_ptr 1
		.amdhsa_user_sgpr_dispatch_id 0
		.amdhsa_user_sgpr_flat_scratch_init 0
		.amdhsa_user_sgpr_kernarg_preload_length 0
		.amdhsa_user_sgpr_kernarg_preload_offset 0
		.amdhsa_user_sgpr_private_segment_size 0
		.amdhsa_uses_dynamic_stack 0
		.amdhsa_system_sgpr_private_segment_wavefront_offset 0
		.amdhsa_system_sgpr_workgroup_id_x 1
		.amdhsa_system_sgpr_workgroup_id_y 0
		.amdhsa_system_sgpr_workgroup_id_z 0
		.amdhsa_system_sgpr_workgroup_info 0
		.amdhsa_system_vgpr_workitem_id 0
		.amdhsa_next_free_vgpr 1
		.amdhsa_next_free_sgpr 0
		.amdhsa_accum_offset 4
		.amdhsa_reserve_vcc 0
		.amdhsa_reserve_flat_scratch 0
		.amdhsa_float_round_mode_32 0
		.amdhsa_float_round_mode_16_64 0
		.amdhsa_float_denorm_mode_32 3
		.amdhsa_float_denorm_mode_16_64 3
		.amdhsa_dx10_clamp 1
		.amdhsa_ieee_mode 1
		.amdhsa_fp16_overflow 0
		.amdhsa_tg_split 0
		.amdhsa_exception_fp_ieee_invalid_op 0
		.amdhsa_exception_fp_denorm_src 0
		.amdhsa_exception_fp_ieee_div_zero 0
		.amdhsa_exception_fp_ieee_overflow 0
		.amdhsa_exception_fp_ieee_underflow 0
		.amdhsa_exception_fp_ieee_inexact 0
		.amdhsa_exception_int_div_zero 0
	.end_amdhsa_kernel
	.section	.text._ZN7rocprim17ROCPRIM_400000_NS6detail17trampoline_kernelINS0_14default_configENS1_20scan_config_selectorIxEEZZNS1_9scan_implILNS1_25lookback_scan_determinismE0ELb0ELb0ES3_N6thrust23THRUST_200600_302600_NS6detail15normal_iteratorINS9_10device_ptrIxEEEESE_x9plus_mod3IxExEEDaPvRmT3_T4_T5_mT6_P12ihipStream_tbENKUlT_T0_E_clISt17integral_constantIbLb0EEST_IbLb1EEEEDaSP_SQ_EUlSP_E0_NS1_11comp_targetILNS1_3genE9ELNS1_11target_archE1100ELNS1_3gpuE3ELNS1_3repE0EEENS1_30default_config_static_selectorELNS0_4arch9wavefront6targetE1EEEvT1_,"axG",@progbits,_ZN7rocprim17ROCPRIM_400000_NS6detail17trampoline_kernelINS0_14default_configENS1_20scan_config_selectorIxEEZZNS1_9scan_implILNS1_25lookback_scan_determinismE0ELb0ELb0ES3_N6thrust23THRUST_200600_302600_NS6detail15normal_iteratorINS9_10device_ptrIxEEEESE_x9plus_mod3IxExEEDaPvRmT3_T4_T5_mT6_P12ihipStream_tbENKUlT_T0_E_clISt17integral_constantIbLb0EEST_IbLb1EEEEDaSP_SQ_EUlSP_E0_NS1_11comp_targetILNS1_3genE9ELNS1_11target_archE1100ELNS1_3gpuE3ELNS1_3repE0EEENS1_30default_config_static_selectorELNS0_4arch9wavefront6targetE1EEEvT1_,comdat
.Lfunc_end6604:
	.size	_ZN7rocprim17ROCPRIM_400000_NS6detail17trampoline_kernelINS0_14default_configENS1_20scan_config_selectorIxEEZZNS1_9scan_implILNS1_25lookback_scan_determinismE0ELb0ELb0ES3_N6thrust23THRUST_200600_302600_NS6detail15normal_iteratorINS9_10device_ptrIxEEEESE_x9plus_mod3IxExEEDaPvRmT3_T4_T5_mT6_P12ihipStream_tbENKUlT_T0_E_clISt17integral_constantIbLb0EEST_IbLb1EEEEDaSP_SQ_EUlSP_E0_NS1_11comp_targetILNS1_3genE9ELNS1_11target_archE1100ELNS1_3gpuE3ELNS1_3repE0EEENS1_30default_config_static_selectorELNS0_4arch9wavefront6targetE1EEEvT1_, .Lfunc_end6604-_ZN7rocprim17ROCPRIM_400000_NS6detail17trampoline_kernelINS0_14default_configENS1_20scan_config_selectorIxEEZZNS1_9scan_implILNS1_25lookback_scan_determinismE0ELb0ELb0ES3_N6thrust23THRUST_200600_302600_NS6detail15normal_iteratorINS9_10device_ptrIxEEEESE_x9plus_mod3IxExEEDaPvRmT3_T4_T5_mT6_P12ihipStream_tbENKUlT_T0_E_clISt17integral_constantIbLb0EEST_IbLb1EEEEDaSP_SQ_EUlSP_E0_NS1_11comp_targetILNS1_3genE9ELNS1_11target_archE1100ELNS1_3gpuE3ELNS1_3repE0EEENS1_30default_config_static_selectorELNS0_4arch9wavefront6targetE1EEEvT1_
                                        ; -- End function
	.section	.AMDGPU.csdata,"",@progbits
; Kernel info:
; codeLenInByte = 0
; NumSgprs: 4
; NumVgprs: 0
; NumAgprs: 0
; TotalNumVgprs: 0
; ScratchSize: 0
; MemoryBound: 0
; FloatMode: 240
; IeeeMode: 1
; LDSByteSize: 0 bytes/workgroup (compile time only)
; SGPRBlocks: 0
; VGPRBlocks: 0
; NumSGPRsForWavesPerEU: 4
; NumVGPRsForWavesPerEU: 1
; AccumOffset: 4
; Occupancy: 8
; WaveLimiterHint : 0
; COMPUTE_PGM_RSRC2:SCRATCH_EN: 0
; COMPUTE_PGM_RSRC2:USER_SGPR: 6
; COMPUTE_PGM_RSRC2:TRAP_HANDLER: 0
; COMPUTE_PGM_RSRC2:TGID_X_EN: 1
; COMPUTE_PGM_RSRC2:TGID_Y_EN: 0
; COMPUTE_PGM_RSRC2:TGID_Z_EN: 0
; COMPUTE_PGM_RSRC2:TIDIG_COMP_CNT: 0
; COMPUTE_PGM_RSRC3_GFX90A:ACCUM_OFFSET: 0
; COMPUTE_PGM_RSRC3_GFX90A:TG_SPLIT: 0
	.section	.text._ZN7rocprim17ROCPRIM_400000_NS6detail17trampoline_kernelINS0_14default_configENS1_20scan_config_selectorIxEEZZNS1_9scan_implILNS1_25lookback_scan_determinismE0ELb0ELb0ES3_N6thrust23THRUST_200600_302600_NS6detail15normal_iteratorINS9_10device_ptrIxEEEESE_x9plus_mod3IxExEEDaPvRmT3_T4_T5_mT6_P12ihipStream_tbENKUlT_T0_E_clISt17integral_constantIbLb0EEST_IbLb1EEEEDaSP_SQ_EUlSP_E0_NS1_11comp_targetILNS1_3genE8ELNS1_11target_archE1030ELNS1_3gpuE2ELNS1_3repE0EEENS1_30default_config_static_selectorELNS0_4arch9wavefront6targetE1EEEvT1_,"axG",@progbits,_ZN7rocprim17ROCPRIM_400000_NS6detail17trampoline_kernelINS0_14default_configENS1_20scan_config_selectorIxEEZZNS1_9scan_implILNS1_25lookback_scan_determinismE0ELb0ELb0ES3_N6thrust23THRUST_200600_302600_NS6detail15normal_iteratorINS9_10device_ptrIxEEEESE_x9plus_mod3IxExEEDaPvRmT3_T4_T5_mT6_P12ihipStream_tbENKUlT_T0_E_clISt17integral_constantIbLb0EEST_IbLb1EEEEDaSP_SQ_EUlSP_E0_NS1_11comp_targetILNS1_3genE8ELNS1_11target_archE1030ELNS1_3gpuE2ELNS1_3repE0EEENS1_30default_config_static_selectorELNS0_4arch9wavefront6targetE1EEEvT1_,comdat
	.protected	_ZN7rocprim17ROCPRIM_400000_NS6detail17trampoline_kernelINS0_14default_configENS1_20scan_config_selectorIxEEZZNS1_9scan_implILNS1_25lookback_scan_determinismE0ELb0ELb0ES3_N6thrust23THRUST_200600_302600_NS6detail15normal_iteratorINS9_10device_ptrIxEEEESE_x9plus_mod3IxExEEDaPvRmT3_T4_T5_mT6_P12ihipStream_tbENKUlT_T0_E_clISt17integral_constantIbLb0EEST_IbLb1EEEEDaSP_SQ_EUlSP_E0_NS1_11comp_targetILNS1_3genE8ELNS1_11target_archE1030ELNS1_3gpuE2ELNS1_3repE0EEENS1_30default_config_static_selectorELNS0_4arch9wavefront6targetE1EEEvT1_ ; -- Begin function _ZN7rocprim17ROCPRIM_400000_NS6detail17trampoline_kernelINS0_14default_configENS1_20scan_config_selectorIxEEZZNS1_9scan_implILNS1_25lookback_scan_determinismE0ELb0ELb0ES3_N6thrust23THRUST_200600_302600_NS6detail15normal_iteratorINS9_10device_ptrIxEEEESE_x9plus_mod3IxExEEDaPvRmT3_T4_T5_mT6_P12ihipStream_tbENKUlT_T0_E_clISt17integral_constantIbLb0EEST_IbLb1EEEEDaSP_SQ_EUlSP_E0_NS1_11comp_targetILNS1_3genE8ELNS1_11target_archE1030ELNS1_3gpuE2ELNS1_3repE0EEENS1_30default_config_static_selectorELNS0_4arch9wavefront6targetE1EEEvT1_
	.globl	_ZN7rocprim17ROCPRIM_400000_NS6detail17trampoline_kernelINS0_14default_configENS1_20scan_config_selectorIxEEZZNS1_9scan_implILNS1_25lookback_scan_determinismE0ELb0ELb0ES3_N6thrust23THRUST_200600_302600_NS6detail15normal_iteratorINS9_10device_ptrIxEEEESE_x9plus_mod3IxExEEDaPvRmT3_T4_T5_mT6_P12ihipStream_tbENKUlT_T0_E_clISt17integral_constantIbLb0EEST_IbLb1EEEEDaSP_SQ_EUlSP_E0_NS1_11comp_targetILNS1_3genE8ELNS1_11target_archE1030ELNS1_3gpuE2ELNS1_3repE0EEENS1_30default_config_static_selectorELNS0_4arch9wavefront6targetE1EEEvT1_
	.p2align	8
	.type	_ZN7rocprim17ROCPRIM_400000_NS6detail17trampoline_kernelINS0_14default_configENS1_20scan_config_selectorIxEEZZNS1_9scan_implILNS1_25lookback_scan_determinismE0ELb0ELb0ES3_N6thrust23THRUST_200600_302600_NS6detail15normal_iteratorINS9_10device_ptrIxEEEESE_x9plus_mod3IxExEEDaPvRmT3_T4_T5_mT6_P12ihipStream_tbENKUlT_T0_E_clISt17integral_constantIbLb0EEST_IbLb1EEEEDaSP_SQ_EUlSP_E0_NS1_11comp_targetILNS1_3genE8ELNS1_11target_archE1030ELNS1_3gpuE2ELNS1_3repE0EEENS1_30default_config_static_selectorELNS0_4arch9wavefront6targetE1EEEvT1_,@function
_ZN7rocprim17ROCPRIM_400000_NS6detail17trampoline_kernelINS0_14default_configENS1_20scan_config_selectorIxEEZZNS1_9scan_implILNS1_25lookback_scan_determinismE0ELb0ELb0ES3_N6thrust23THRUST_200600_302600_NS6detail15normal_iteratorINS9_10device_ptrIxEEEESE_x9plus_mod3IxExEEDaPvRmT3_T4_T5_mT6_P12ihipStream_tbENKUlT_T0_E_clISt17integral_constantIbLb0EEST_IbLb1EEEEDaSP_SQ_EUlSP_E0_NS1_11comp_targetILNS1_3genE8ELNS1_11target_archE1030ELNS1_3gpuE2ELNS1_3repE0EEENS1_30default_config_static_selectorELNS0_4arch9wavefront6targetE1EEEvT1_: ; @_ZN7rocprim17ROCPRIM_400000_NS6detail17trampoline_kernelINS0_14default_configENS1_20scan_config_selectorIxEEZZNS1_9scan_implILNS1_25lookback_scan_determinismE0ELb0ELb0ES3_N6thrust23THRUST_200600_302600_NS6detail15normal_iteratorINS9_10device_ptrIxEEEESE_x9plus_mod3IxExEEDaPvRmT3_T4_T5_mT6_P12ihipStream_tbENKUlT_T0_E_clISt17integral_constantIbLb0EEST_IbLb1EEEEDaSP_SQ_EUlSP_E0_NS1_11comp_targetILNS1_3genE8ELNS1_11target_archE1030ELNS1_3gpuE2ELNS1_3repE0EEENS1_30default_config_static_selectorELNS0_4arch9wavefront6targetE1EEEvT1_
; %bb.0:
	.section	.rodata,"a",@progbits
	.p2align	6, 0x0
	.amdhsa_kernel _ZN7rocprim17ROCPRIM_400000_NS6detail17trampoline_kernelINS0_14default_configENS1_20scan_config_selectorIxEEZZNS1_9scan_implILNS1_25lookback_scan_determinismE0ELb0ELb0ES3_N6thrust23THRUST_200600_302600_NS6detail15normal_iteratorINS9_10device_ptrIxEEEESE_x9plus_mod3IxExEEDaPvRmT3_T4_T5_mT6_P12ihipStream_tbENKUlT_T0_E_clISt17integral_constantIbLb0EEST_IbLb1EEEEDaSP_SQ_EUlSP_E0_NS1_11comp_targetILNS1_3genE8ELNS1_11target_archE1030ELNS1_3gpuE2ELNS1_3repE0EEENS1_30default_config_static_selectorELNS0_4arch9wavefront6targetE1EEEvT1_
		.amdhsa_group_segment_fixed_size 0
		.amdhsa_private_segment_fixed_size 0
		.amdhsa_kernarg_size 40
		.amdhsa_user_sgpr_count 6
		.amdhsa_user_sgpr_private_segment_buffer 1
		.amdhsa_user_sgpr_dispatch_ptr 0
		.amdhsa_user_sgpr_queue_ptr 0
		.amdhsa_user_sgpr_kernarg_segment_ptr 1
		.amdhsa_user_sgpr_dispatch_id 0
		.amdhsa_user_sgpr_flat_scratch_init 0
		.amdhsa_user_sgpr_kernarg_preload_length 0
		.amdhsa_user_sgpr_kernarg_preload_offset 0
		.amdhsa_user_sgpr_private_segment_size 0
		.amdhsa_uses_dynamic_stack 0
		.amdhsa_system_sgpr_private_segment_wavefront_offset 0
		.amdhsa_system_sgpr_workgroup_id_x 1
		.amdhsa_system_sgpr_workgroup_id_y 0
		.amdhsa_system_sgpr_workgroup_id_z 0
		.amdhsa_system_sgpr_workgroup_info 0
		.amdhsa_system_vgpr_workitem_id 0
		.amdhsa_next_free_vgpr 1
		.amdhsa_next_free_sgpr 0
		.amdhsa_accum_offset 4
		.amdhsa_reserve_vcc 0
		.amdhsa_reserve_flat_scratch 0
		.amdhsa_float_round_mode_32 0
		.amdhsa_float_round_mode_16_64 0
		.amdhsa_float_denorm_mode_32 3
		.amdhsa_float_denorm_mode_16_64 3
		.amdhsa_dx10_clamp 1
		.amdhsa_ieee_mode 1
		.amdhsa_fp16_overflow 0
		.amdhsa_tg_split 0
		.amdhsa_exception_fp_ieee_invalid_op 0
		.amdhsa_exception_fp_denorm_src 0
		.amdhsa_exception_fp_ieee_div_zero 0
		.amdhsa_exception_fp_ieee_overflow 0
		.amdhsa_exception_fp_ieee_underflow 0
		.amdhsa_exception_fp_ieee_inexact 0
		.amdhsa_exception_int_div_zero 0
	.end_amdhsa_kernel
	.section	.text._ZN7rocprim17ROCPRIM_400000_NS6detail17trampoline_kernelINS0_14default_configENS1_20scan_config_selectorIxEEZZNS1_9scan_implILNS1_25lookback_scan_determinismE0ELb0ELb0ES3_N6thrust23THRUST_200600_302600_NS6detail15normal_iteratorINS9_10device_ptrIxEEEESE_x9plus_mod3IxExEEDaPvRmT3_T4_T5_mT6_P12ihipStream_tbENKUlT_T0_E_clISt17integral_constantIbLb0EEST_IbLb1EEEEDaSP_SQ_EUlSP_E0_NS1_11comp_targetILNS1_3genE8ELNS1_11target_archE1030ELNS1_3gpuE2ELNS1_3repE0EEENS1_30default_config_static_selectorELNS0_4arch9wavefront6targetE1EEEvT1_,"axG",@progbits,_ZN7rocprim17ROCPRIM_400000_NS6detail17trampoline_kernelINS0_14default_configENS1_20scan_config_selectorIxEEZZNS1_9scan_implILNS1_25lookback_scan_determinismE0ELb0ELb0ES3_N6thrust23THRUST_200600_302600_NS6detail15normal_iteratorINS9_10device_ptrIxEEEESE_x9plus_mod3IxExEEDaPvRmT3_T4_T5_mT6_P12ihipStream_tbENKUlT_T0_E_clISt17integral_constantIbLb0EEST_IbLb1EEEEDaSP_SQ_EUlSP_E0_NS1_11comp_targetILNS1_3genE8ELNS1_11target_archE1030ELNS1_3gpuE2ELNS1_3repE0EEENS1_30default_config_static_selectorELNS0_4arch9wavefront6targetE1EEEvT1_,comdat
.Lfunc_end6605:
	.size	_ZN7rocprim17ROCPRIM_400000_NS6detail17trampoline_kernelINS0_14default_configENS1_20scan_config_selectorIxEEZZNS1_9scan_implILNS1_25lookback_scan_determinismE0ELb0ELb0ES3_N6thrust23THRUST_200600_302600_NS6detail15normal_iteratorINS9_10device_ptrIxEEEESE_x9plus_mod3IxExEEDaPvRmT3_T4_T5_mT6_P12ihipStream_tbENKUlT_T0_E_clISt17integral_constantIbLb0EEST_IbLb1EEEEDaSP_SQ_EUlSP_E0_NS1_11comp_targetILNS1_3genE8ELNS1_11target_archE1030ELNS1_3gpuE2ELNS1_3repE0EEENS1_30default_config_static_selectorELNS0_4arch9wavefront6targetE1EEEvT1_, .Lfunc_end6605-_ZN7rocprim17ROCPRIM_400000_NS6detail17trampoline_kernelINS0_14default_configENS1_20scan_config_selectorIxEEZZNS1_9scan_implILNS1_25lookback_scan_determinismE0ELb0ELb0ES3_N6thrust23THRUST_200600_302600_NS6detail15normal_iteratorINS9_10device_ptrIxEEEESE_x9plus_mod3IxExEEDaPvRmT3_T4_T5_mT6_P12ihipStream_tbENKUlT_T0_E_clISt17integral_constantIbLb0EEST_IbLb1EEEEDaSP_SQ_EUlSP_E0_NS1_11comp_targetILNS1_3genE8ELNS1_11target_archE1030ELNS1_3gpuE2ELNS1_3repE0EEENS1_30default_config_static_selectorELNS0_4arch9wavefront6targetE1EEEvT1_
                                        ; -- End function
	.section	.AMDGPU.csdata,"",@progbits
; Kernel info:
; codeLenInByte = 0
; NumSgprs: 4
; NumVgprs: 0
; NumAgprs: 0
; TotalNumVgprs: 0
; ScratchSize: 0
; MemoryBound: 0
; FloatMode: 240
; IeeeMode: 1
; LDSByteSize: 0 bytes/workgroup (compile time only)
; SGPRBlocks: 0
; VGPRBlocks: 0
; NumSGPRsForWavesPerEU: 4
; NumVGPRsForWavesPerEU: 1
; AccumOffset: 4
; Occupancy: 8
; WaveLimiterHint : 0
; COMPUTE_PGM_RSRC2:SCRATCH_EN: 0
; COMPUTE_PGM_RSRC2:USER_SGPR: 6
; COMPUTE_PGM_RSRC2:TRAP_HANDLER: 0
; COMPUTE_PGM_RSRC2:TGID_X_EN: 1
; COMPUTE_PGM_RSRC2:TGID_Y_EN: 0
; COMPUTE_PGM_RSRC2:TGID_Z_EN: 0
; COMPUTE_PGM_RSRC2:TIDIG_COMP_CNT: 0
; COMPUTE_PGM_RSRC3_GFX90A:ACCUM_OFFSET: 0
; COMPUTE_PGM_RSRC3_GFX90A:TG_SPLIT: 0
	.section	.text._ZN7rocprim17ROCPRIM_400000_NS6detail17trampoline_kernelINS0_14default_configENS1_20scan_config_selectorIiEEZZNS1_9scan_implILNS1_25lookback_scan_determinismE0ELb0ELb0ES3_N6thrust23THRUST_200600_302600_NS6detail15normal_iteratorINS9_10device_ptrIiEEEESE_i9plus_mod3IiEiEEDaPvRmT3_T4_T5_mT6_P12ihipStream_tbENKUlT_T0_E_clISt17integral_constantIbLb0EESU_EEDaSP_SQ_EUlSP_E_NS1_11comp_targetILNS1_3genE0ELNS1_11target_archE4294967295ELNS1_3gpuE0ELNS1_3repE0EEENS1_30default_config_static_selectorELNS0_4arch9wavefront6targetE1EEEvT1_,"axG",@progbits,_ZN7rocprim17ROCPRIM_400000_NS6detail17trampoline_kernelINS0_14default_configENS1_20scan_config_selectorIiEEZZNS1_9scan_implILNS1_25lookback_scan_determinismE0ELb0ELb0ES3_N6thrust23THRUST_200600_302600_NS6detail15normal_iteratorINS9_10device_ptrIiEEEESE_i9plus_mod3IiEiEEDaPvRmT3_T4_T5_mT6_P12ihipStream_tbENKUlT_T0_E_clISt17integral_constantIbLb0EESU_EEDaSP_SQ_EUlSP_E_NS1_11comp_targetILNS1_3genE0ELNS1_11target_archE4294967295ELNS1_3gpuE0ELNS1_3repE0EEENS1_30default_config_static_selectorELNS0_4arch9wavefront6targetE1EEEvT1_,comdat
	.protected	_ZN7rocprim17ROCPRIM_400000_NS6detail17trampoline_kernelINS0_14default_configENS1_20scan_config_selectorIiEEZZNS1_9scan_implILNS1_25lookback_scan_determinismE0ELb0ELb0ES3_N6thrust23THRUST_200600_302600_NS6detail15normal_iteratorINS9_10device_ptrIiEEEESE_i9plus_mod3IiEiEEDaPvRmT3_T4_T5_mT6_P12ihipStream_tbENKUlT_T0_E_clISt17integral_constantIbLb0EESU_EEDaSP_SQ_EUlSP_E_NS1_11comp_targetILNS1_3genE0ELNS1_11target_archE4294967295ELNS1_3gpuE0ELNS1_3repE0EEENS1_30default_config_static_selectorELNS0_4arch9wavefront6targetE1EEEvT1_ ; -- Begin function _ZN7rocprim17ROCPRIM_400000_NS6detail17trampoline_kernelINS0_14default_configENS1_20scan_config_selectorIiEEZZNS1_9scan_implILNS1_25lookback_scan_determinismE0ELb0ELb0ES3_N6thrust23THRUST_200600_302600_NS6detail15normal_iteratorINS9_10device_ptrIiEEEESE_i9plus_mod3IiEiEEDaPvRmT3_T4_T5_mT6_P12ihipStream_tbENKUlT_T0_E_clISt17integral_constantIbLb0EESU_EEDaSP_SQ_EUlSP_E_NS1_11comp_targetILNS1_3genE0ELNS1_11target_archE4294967295ELNS1_3gpuE0ELNS1_3repE0EEENS1_30default_config_static_selectorELNS0_4arch9wavefront6targetE1EEEvT1_
	.globl	_ZN7rocprim17ROCPRIM_400000_NS6detail17trampoline_kernelINS0_14default_configENS1_20scan_config_selectorIiEEZZNS1_9scan_implILNS1_25lookback_scan_determinismE0ELb0ELb0ES3_N6thrust23THRUST_200600_302600_NS6detail15normal_iteratorINS9_10device_ptrIiEEEESE_i9plus_mod3IiEiEEDaPvRmT3_T4_T5_mT6_P12ihipStream_tbENKUlT_T0_E_clISt17integral_constantIbLb0EESU_EEDaSP_SQ_EUlSP_E_NS1_11comp_targetILNS1_3genE0ELNS1_11target_archE4294967295ELNS1_3gpuE0ELNS1_3repE0EEENS1_30default_config_static_selectorELNS0_4arch9wavefront6targetE1EEEvT1_
	.p2align	8
	.type	_ZN7rocprim17ROCPRIM_400000_NS6detail17trampoline_kernelINS0_14default_configENS1_20scan_config_selectorIiEEZZNS1_9scan_implILNS1_25lookback_scan_determinismE0ELb0ELb0ES3_N6thrust23THRUST_200600_302600_NS6detail15normal_iteratorINS9_10device_ptrIiEEEESE_i9plus_mod3IiEiEEDaPvRmT3_T4_T5_mT6_P12ihipStream_tbENKUlT_T0_E_clISt17integral_constantIbLb0EESU_EEDaSP_SQ_EUlSP_E_NS1_11comp_targetILNS1_3genE0ELNS1_11target_archE4294967295ELNS1_3gpuE0ELNS1_3repE0EEENS1_30default_config_static_selectorELNS0_4arch9wavefront6targetE1EEEvT1_,@function
_ZN7rocprim17ROCPRIM_400000_NS6detail17trampoline_kernelINS0_14default_configENS1_20scan_config_selectorIiEEZZNS1_9scan_implILNS1_25lookback_scan_determinismE0ELb0ELb0ES3_N6thrust23THRUST_200600_302600_NS6detail15normal_iteratorINS9_10device_ptrIiEEEESE_i9plus_mod3IiEiEEDaPvRmT3_T4_T5_mT6_P12ihipStream_tbENKUlT_T0_E_clISt17integral_constantIbLb0EESU_EEDaSP_SQ_EUlSP_E_NS1_11comp_targetILNS1_3genE0ELNS1_11target_archE4294967295ELNS1_3gpuE0ELNS1_3repE0EEENS1_30default_config_static_selectorELNS0_4arch9wavefront6targetE1EEEvT1_: ; @_ZN7rocprim17ROCPRIM_400000_NS6detail17trampoline_kernelINS0_14default_configENS1_20scan_config_selectorIiEEZZNS1_9scan_implILNS1_25lookback_scan_determinismE0ELb0ELb0ES3_N6thrust23THRUST_200600_302600_NS6detail15normal_iteratorINS9_10device_ptrIiEEEESE_i9plus_mod3IiEiEEDaPvRmT3_T4_T5_mT6_P12ihipStream_tbENKUlT_T0_E_clISt17integral_constantIbLb0EESU_EEDaSP_SQ_EUlSP_E_NS1_11comp_targetILNS1_3genE0ELNS1_11target_archE4294967295ELNS1_3gpuE0ELNS1_3repE0EEENS1_30default_config_static_selectorELNS0_4arch9wavefront6targetE1EEEvT1_
; %bb.0:
	.section	.rodata,"a",@progbits
	.p2align	6, 0x0
	.amdhsa_kernel _ZN7rocprim17ROCPRIM_400000_NS6detail17trampoline_kernelINS0_14default_configENS1_20scan_config_selectorIiEEZZNS1_9scan_implILNS1_25lookback_scan_determinismE0ELb0ELb0ES3_N6thrust23THRUST_200600_302600_NS6detail15normal_iteratorINS9_10device_ptrIiEEEESE_i9plus_mod3IiEiEEDaPvRmT3_T4_T5_mT6_P12ihipStream_tbENKUlT_T0_E_clISt17integral_constantIbLb0EESU_EEDaSP_SQ_EUlSP_E_NS1_11comp_targetILNS1_3genE0ELNS1_11target_archE4294967295ELNS1_3gpuE0ELNS1_3repE0EEENS1_30default_config_static_selectorELNS0_4arch9wavefront6targetE1EEEvT1_
		.amdhsa_group_segment_fixed_size 0
		.amdhsa_private_segment_fixed_size 0
		.amdhsa_kernarg_size 104
		.amdhsa_user_sgpr_count 6
		.amdhsa_user_sgpr_private_segment_buffer 1
		.amdhsa_user_sgpr_dispatch_ptr 0
		.amdhsa_user_sgpr_queue_ptr 0
		.amdhsa_user_sgpr_kernarg_segment_ptr 1
		.amdhsa_user_sgpr_dispatch_id 0
		.amdhsa_user_sgpr_flat_scratch_init 0
		.amdhsa_user_sgpr_kernarg_preload_length 0
		.amdhsa_user_sgpr_kernarg_preload_offset 0
		.amdhsa_user_sgpr_private_segment_size 0
		.amdhsa_uses_dynamic_stack 0
		.amdhsa_system_sgpr_private_segment_wavefront_offset 0
		.amdhsa_system_sgpr_workgroup_id_x 1
		.amdhsa_system_sgpr_workgroup_id_y 0
		.amdhsa_system_sgpr_workgroup_id_z 0
		.amdhsa_system_sgpr_workgroup_info 0
		.amdhsa_system_vgpr_workitem_id 0
		.amdhsa_next_free_vgpr 1
		.amdhsa_next_free_sgpr 0
		.amdhsa_accum_offset 4
		.amdhsa_reserve_vcc 0
		.amdhsa_reserve_flat_scratch 0
		.amdhsa_float_round_mode_32 0
		.amdhsa_float_round_mode_16_64 0
		.amdhsa_float_denorm_mode_32 3
		.amdhsa_float_denorm_mode_16_64 3
		.amdhsa_dx10_clamp 1
		.amdhsa_ieee_mode 1
		.amdhsa_fp16_overflow 0
		.amdhsa_tg_split 0
		.amdhsa_exception_fp_ieee_invalid_op 0
		.amdhsa_exception_fp_denorm_src 0
		.amdhsa_exception_fp_ieee_div_zero 0
		.amdhsa_exception_fp_ieee_overflow 0
		.amdhsa_exception_fp_ieee_underflow 0
		.amdhsa_exception_fp_ieee_inexact 0
		.amdhsa_exception_int_div_zero 0
	.end_amdhsa_kernel
	.section	.text._ZN7rocprim17ROCPRIM_400000_NS6detail17trampoline_kernelINS0_14default_configENS1_20scan_config_selectorIiEEZZNS1_9scan_implILNS1_25lookback_scan_determinismE0ELb0ELb0ES3_N6thrust23THRUST_200600_302600_NS6detail15normal_iteratorINS9_10device_ptrIiEEEESE_i9plus_mod3IiEiEEDaPvRmT3_T4_T5_mT6_P12ihipStream_tbENKUlT_T0_E_clISt17integral_constantIbLb0EESU_EEDaSP_SQ_EUlSP_E_NS1_11comp_targetILNS1_3genE0ELNS1_11target_archE4294967295ELNS1_3gpuE0ELNS1_3repE0EEENS1_30default_config_static_selectorELNS0_4arch9wavefront6targetE1EEEvT1_,"axG",@progbits,_ZN7rocprim17ROCPRIM_400000_NS6detail17trampoline_kernelINS0_14default_configENS1_20scan_config_selectorIiEEZZNS1_9scan_implILNS1_25lookback_scan_determinismE0ELb0ELb0ES3_N6thrust23THRUST_200600_302600_NS6detail15normal_iteratorINS9_10device_ptrIiEEEESE_i9plus_mod3IiEiEEDaPvRmT3_T4_T5_mT6_P12ihipStream_tbENKUlT_T0_E_clISt17integral_constantIbLb0EESU_EEDaSP_SQ_EUlSP_E_NS1_11comp_targetILNS1_3genE0ELNS1_11target_archE4294967295ELNS1_3gpuE0ELNS1_3repE0EEENS1_30default_config_static_selectorELNS0_4arch9wavefront6targetE1EEEvT1_,comdat
.Lfunc_end6606:
	.size	_ZN7rocprim17ROCPRIM_400000_NS6detail17trampoline_kernelINS0_14default_configENS1_20scan_config_selectorIiEEZZNS1_9scan_implILNS1_25lookback_scan_determinismE0ELb0ELb0ES3_N6thrust23THRUST_200600_302600_NS6detail15normal_iteratorINS9_10device_ptrIiEEEESE_i9plus_mod3IiEiEEDaPvRmT3_T4_T5_mT6_P12ihipStream_tbENKUlT_T0_E_clISt17integral_constantIbLb0EESU_EEDaSP_SQ_EUlSP_E_NS1_11comp_targetILNS1_3genE0ELNS1_11target_archE4294967295ELNS1_3gpuE0ELNS1_3repE0EEENS1_30default_config_static_selectorELNS0_4arch9wavefront6targetE1EEEvT1_, .Lfunc_end6606-_ZN7rocprim17ROCPRIM_400000_NS6detail17trampoline_kernelINS0_14default_configENS1_20scan_config_selectorIiEEZZNS1_9scan_implILNS1_25lookback_scan_determinismE0ELb0ELb0ES3_N6thrust23THRUST_200600_302600_NS6detail15normal_iteratorINS9_10device_ptrIiEEEESE_i9plus_mod3IiEiEEDaPvRmT3_T4_T5_mT6_P12ihipStream_tbENKUlT_T0_E_clISt17integral_constantIbLb0EESU_EEDaSP_SQ_EUlSP_E_NS1_11comp_targetILNS1_3genE0ELNS1_11target_archE4294967295ELNS1_3gpuE0ELNS1_3repE0EEENS1_30default_config_static_selectorELNS0_4arch9wavefront6targetE1EEEvT1_
                                        ; -- End function
	.section	.AMDGPU.csdata,"",@progbits
; Kernel info:
; codeLenInByte = 0
; NumSgprs: 4
; NumVgprs: 0
; NumAgprs: 0
; TotalNumVgprs: 0
; ScratchSize: 0
; MemoryBound: 0
; FloatMode: 240
; IeeeMode: 1
; LDSByteSize: 0 bytes/workgroup (compile time only)
; SGPRBlocks: 0
; VGPRBlocks: 0
; NumSGPRsForWavesPerEU: 4
; NumVGPRsForWavesPerEU: 1
; AccumOffset: 4
; Occupancy: 8
; WaveLimiterHint : 0
; COMPUTE_PGM_RSRC2:SCRATCH_EN: 0
; COMPUTE_PGM_RSRC2:USER_SGPR: 6
; COMPUTE_PGM_RSRC2:TRAP_HANDLER: 0
; COMPUTE_PGM_RSRC2:TGID_X_EN: 1
; COMPUTE_PGM_RSRC2:TGID_Y_EN: 0
; COMPUTE_PGM_RSRC2:TGID_Z_EN: 0
; COMPUTE_PGM_RSRC2:TIDIG_COMP_CNT: 0
; COMPUTE_PGM_RSRC3_GFX90A:ACCUM_OFFSET: 0
; COMPUTE_PGM_RSRC3_GFX90A:TG_SPLIT: 0
	.section	.text._ZN7rocprim17ROCPRIM_400000_NS6detail17trampoline_kernelINS0_14default_configENS1_20scan_config_selectorIiEEZZNS1_9scan_implILNS1_25lookback_scan_determinismE0ELb0ELb0ES3_N6thrust23THRUST_200600_302600_NS6detail15normal_iteratorINS9_10device_ptrIiEEEESE_i9plus_mod3IiEiEEDaPvRmT3_T4_T5_mT6_P12ihipStream_tbENKUlT_T0_E_clISt17integral_constantIbLb0EESU_EEDaSP_SQ_EUlSP_E_NS1_11comp_targetILNS1_3genE5ELNS1_11target_archE942ELNS1_3gpuE9ELNS1_3repE0EEENS1_30default_config_static_selectorELNS0_4arch9wavefront6targetE1EEEvT1_,"axG",@progbits,_ZN7rocprim17ROCPRIM_400000_NS6detail17trampoline_kernelINS0_14default_configENS1_20scan_config_selectorIiEEZZNS1_9scan_implILNS1_25lookback_scan_determinismE0ELb0ELb0ES3_N6thrust23THRUST_200600_302600_NS6detail15normal_iteratorINS9_10device_ptrIiEEEESE_i9plus_mod3IiEiEEDaPvRmT3_T4_T5_mT6_P12ihipStream_tbENKUlT_T0_E_clISt17integral_constantIbLb0EESU_EEDaSP_SQ_EUlSP_E_NS1_11comp_targetILNS1_3genE5ELNS1_11target_archE942ELNS1_3gpuE9ELNS1_3repE0EEENS1_30default_config_static_selectorELNS0_4arch9wavefront6targetE1EEEvT1_,comdat
	.protected	_ZN7rocprim17ROCPRIM_400000_NS6detail17trampoline_kernelINS0_14default_configENS1_20scan_config_selectorIiEEZZNS1_9scan_implILNS1_25lookback_scan_determinismE0ELb0ELb0ES3_N6thrust23THRUST_200600_302600_NS6detail15normal_iteratorINS9_10device_ptrIiEEEESE_i9plus_mod3IiEiEEDaPvRmT3_T4_T5_mT6_P12ihipStream_tbENKUlT_T0_E_clISt17integral_constantIbLb0EESU_EEDaSP_SQ_EUlSP_E_NS1_11comp_targetILNS1_3genE5ELNS1_11target_archE942ELNS1_3gpuE9ELNS1_3repE0EEENS1_30default_config_static_selectorELNS0_4arch9wavefront6targetE1EEEvT1_ ; -- Begin function _ZN7rocprim17ROCPRIM_400000_NS6detail17trampoline_kernelINS0_14default_configENS1_20scan_config_selectorIiEEZZNS1_9scan_implILNS1_25lookback_scan_determinismE0ELb0ELb0ES3_N6thrust23THRUST_200600_302600_NS6detail15normal_iteratorINS9_10device_ptrIiEEEESE_i9plus_mod3IiEiEEDaPvRmT3_T4_T5_mT6_P12ihipStream_tbENKUlT_T0_E_clISt17integral_constantIbLb0EESU_EEDaSP_SQ_EUlSP_E_NS1_11comp_targetILNS1_3genE5ELNS1_11target_archE942ELNS1_3gpuE9ELNS1_3repE0EEENS1_30default_config_static_selectorELNS0_4arch9wavefront6targetE1EEEvT1_
	.globl	_ZN7rocprim17ROCPRIM_400000_NS6detail17trampoline_kernelINS0_14default_configENS1_20scan_config_selectorIiEEZZNS1_9scan_implILNS1_25lookback_scan_determinismE0ELb0ELb0ES3_N6thrust23THRUST_200600_302600_NS6detail15normal_iteratorINS9_10device_ptrIiEEEESE_i9plus_mod3IiEiEEDaPvRmT3_T4_T5_mT6_P12ihipStream_tbENKUlT_T0_E_clISt17integral_constantIbLb0EESU_EEDaSP_SQ_EUlSP_E_NS1_11comp_targetILNS1_3genE5ELNS1_11target_archE942ELNS1_3gpuE9ELNS1_3repE0EEENS1_30default_config_static_selectorELNS0_4arch9wavefront6targetE1EEEvT1_
	.p2align	8
	.type	_ZN7rocprim17ROCPRIM_400000_NS6detail17trampoline_kernelINS0_14default_configENS1_20scan_config_selectorIiEEZZNS1_9scan_implILNS1_25lookback_scan_determinismE0ELb0ELb0ES3_N6thrust23THRUST_200600_302600_NS6detail15normal_iteratorINS9_10device_ptrIiEEEESE_i9plus_mod3IiEiEEDaPvRmT3_T4_T5_mT6_P12ihipStream_tbENKUlT_T0_E_clISt17integral_constantIbLb0EESU_EEDaSP_SQ_EUlSP_E_NS1_11comp_targetILNS1_3genE5ELNS1_11target_archE942ELNS1_3gpuE9ELNS1_3repE0EEENS1_30default_config_static_selectorELNS0_4arch9wavefront6targetE1EEEvT1_,@function
_ZN7rocprim17ROCPRIM_400000_NS6detail17trampoline_kernelINS0_14default_configENS1_20scan_config_selectorIiEEZZNS1_9scan_implILNS1_25lookback_scan_determinismE0ELb0ELb0ES3_N6thrust23THRUST_200600_302600_NS6detail15normal_iteratorINS9_10device_ptrIiEEEESE_i9plus_mod3IiEiEEDaPvRmT3_T4_T5_mT6_P12ihipStream_tbENKUlT_T0_E_clISt17integral_constantIbLb0EESU_EEDaSP_SQ_EUlSP_E_NS1_11comp_targetILNS1_3genE5ELNS1_11target_archE942ELNS1_3gpuE9ELNS1_3repE0EEENS1_30default_config_static_selectorELNS0_4arch9wavefront6targetE1EEEvT1_: ; @_ZN7rocprim17ROCPRIM_400000_NS6detail17trampoline_kernelINS0_14default_configENS1_20scan_config_selectorIiEEZZNS1_9scan_implILNS1_25lookback_scan_determinismE0ELb0ELb0ES3_N6thrust23THRUST_200600_302600_NS6detail15normal_iteratorINS9_10device_ptrIiEEEESE_i9plus_mod3IiEiEEDaPvRmT3_T4_T5_mT6_P12ihipStream_tbENKUlT_T0_E_clISt17integral_constantIbLb0EESU_EEDaSP_SQ_EUlSP_E_NS1_11comp_targetILNS1_3genE5ELNS1_11target_archE942ELNS1_3gpuE9ELNS1_3repE0EEENS1_30default_config_static_selectorELNS0_4arch9wavefront6targetE1EEEvT1_
; %bb.0:
	.section	.rodata,"a",@progbits
	.p2align	6, 0x0
	.amdhsa_kernel _ZN7rocprim17ROCPRIM_400000_NS6detail17trampoline_kernelINS0_14default_configENS1_20scan_config_selectorIiEEZZNS1_9scan_implILNS1_25lookback_scan_determinismE0ELb0ELb0ES3_N6thrust23THRUST_200600_302600_NS6detail15normal_iteratorINS9_10device_ptrIiEEEESE_i9plus_mod3IiEiEEDaPvRmT3_T4_T5_mT6_P12ihipStream_tbENKUlT_T0_E_clISt17integral_constantIbLb0EESU_EEDaSP_SQ_EUlSP_E_NS1_11comp_targetILNS1_3genE5ELNS1_11target_archE942ELNS1_3gpuE9ELNS1_3repE0EEENS1_30default_config_static_selectorELNS0_4arch9wavefront6targetE1EEEvT1_
		.amdhsa_group_segment_fixed_size 0
		.amdhsa_private_segment_fixed_size 0
		.amdhsa_kernarg_size 104
		.amdhsa_user_sgpr_count 6
		.amdhsa_user_sgpr_private_segment_buffer 1
		.amdhsa_user_sgpr_dispatch_ptr 0
		.amdhsa_user_sgpr_queue_ptr 0
		.amdhsa_user_sgpr_kernarg_segment_ptr 1
		.amdhsa_user_sgpr_dispatch_id 0
		.amdhsa_user_sgpr_flat_scratch_init 0
		.amdhsa_user_sgpr_kernarg_preload_length 0
		.amdhsa_user_sgpr_kernarg_preload_offset 0
		.amdhsa_user_sgpr_private_segment_size 0
		.amdhsa_uses_dynamic_stack 0
		.amdhsa_system_sgpr_private_segment_wavefront_offset 0
		.amdhsa_system_sgpr_workgroup_id_x 1
		.amdhsa_system_sgpr_workgroup_id_y 0
		.amdhsa_system_sgpr_workgroup_id_z 0
		.amdhsa_system_sgpr_workgroup_info 0
		.amdhsa_system_vgpr_workitem_id 0
		.amdhsa_next_free_vgpr 1
		.amdhsa_next_free_sgpr 0
		.amdhsa_accum_offset 4
		.amdhsa_reserve_vcc 0
		.amdhsa_reserve_flat_scratch 0
		.amdhsa_float_round_mode_32 0
		.amdhsa_float_round_mode_16_64 0
		.amdhsa_float_denorm_mode_32 3
		.amdhsa_float_denorm_mode_16_64 3
		.amdhsa_dx10_clamp 1
		.amdhsa_ieee_mode 1
		.amdhsa_fp16_overflow 0
		.amdhsa_tg_split 0
		.amdhsa_exception_fp_ieee_invalid_op 0
		.amdhsa_exception_fp_denorm_src 0
		.amdhsa_exception_fp_ieee_div_zero 0
		.amdhsa_exception_fp_ieee_overflow 0
		.amdhsa_exception_fp_ieee_underflow 0
		.amdhsa_exception_fp_ieee_inexact 0
		.amdhsa_exception_int_div_zero 0
	.end_amdhsa_kernel
	.section	.text._ZN7rocprim17ROCPRIM_400000_NS6detail17trampoline_kernelINS0_14default_configENS1_20scan_config_selectorIiEEZZNS1_9scan_implILNS1_25lookback_scan_determinismE0ELb0ELb0ES3_N6thrust23THRUST_200600_302600_NS6detail15normal_iteratorINS9_10device_ptrIiEEEESE_i9plus_mod3IiEiEEDaPvRmT3_T4_T5_mT6_P12ihipStream_tbENKUlT_T0_E_clISt17integral_constantIbLb0EESU_EEDaSP_SQ_EUlSP_E_NS1_11comp_targetILNS1_3genE5ELNS1_11target_archE942ELNS1_3gpuE9ELNS1_3repE0EEENS1_30default_config_static_selectorELNS0_4arch9wavefront6targetE1EEEvT1_,"axG",@progbits,_ZN7rocprim17ROCPRIM_400000_NS6detail17trampoline_kernelINS0_14default_configENS1_20scan_config_selectorIiEEZZNS1_9scan_implILNS1_25lookback_scan_determinismE0ELb0ELb0ES3_N6thrust23THRUST_200600_302600_NS6detail15normal_iteratorINS9_10device_ptrIiEEEESE_i9plus_mod3IiEiEEDaPvRmT3_T4_T5_mT6_P12ihipStream_tbENKUlT_T0_E_clISt17integral_constantIbLb0EESU_EEDaSP_SQ_EUlSP_E_NS1_11comp_targetILNS1_3genE5ELNS1_11target_archE942ELNS1_3gpuE9ELNS1_3repE0EEENS1_30default_config_static_selectorELNS0_4arch9wavefront6targetE1EEEvT1_,comdat
.Lfunc_end6607:
	.size	_ZN7rocprim17ROCPRIM_400000_NS6detail17trampoline_kernelINS0_14default_configENS1_20scan_config_selectorIiEEZZNS1_9scan_implILNS1_25lookback_scan_determinismE0ELb0ELb0ES3_N6thrust23THRUST_200600_302600_NS6detail15normal_iteratorINS9_10device_ptrIiEEEESE_i9plus_mod3IiEiEEDaPvRmT3_T4_T5_mT6_P12ihipStream_tbENKUlT_T0_E_clISt17integral_constantIbLb0EESU_EEDaSP_SQ_EUlSP_E_NS1_11comp_targetILNS1_3genE5ELNS1_11target_archE942ELNS1_3gpuE9ELNS1_3repE0EEENS1_30default_config_static_selectorELNS0_4arch9wavefront6targetE1EEEvT1_, .Lfunc_end6607-_ZN7rocprim17ROCPRIM_400000_NS6detail17trampoline_kernelINS0_14default_configENS1_20scan_config_selectorIiEEZZNS1_9scan_implILNS1_25lookback_scan_determinismE0ELb0ELb0ES3_N6thrust23THRUST_200600_302600_NS6detail15normal_iteratorINS9_10device_ptrIiEEEESE_i9plus_mod3IiEiEEDaPvRmT3_T4_T5_mT6_P12ihipStream_tbENKUlT_T0_E_clISt17integral_constantIbLb0EESU_EEDaSP_SQ_EUlSP_E_NS1_11comp_targetILNS1_3genE5ELNS1_11target_archE942ELNS1_3gpuE9ELNS1_3repE0EEENS1_30default_config_static_selectorELNS0_4arch9wavefront6targetE1EEEvT1_
                                        ; -- End function
	.section	.AMDGPU.csdata,"",@progbits
; Kernel info:
; codeLenInByte = 0
; NumSgprs: 4
; NumVgprs: 0
; NumAgprs: 0
; TotalNumVgprs: 0
; ScratchSize: 0
; MemoryBound: 0
; FloatMode: 240
; IeeeMode: 1
; LDSByteSize: 0 bytes/workgroup (compile time only)
; SGPRBlocks: 0
; VGPRBlocks: 0
; NumSGPRsForWavesPerEU: 4
; NumVGPRsForWavesPerEU: 1
; AccumOffset: 4
; Occupancy: 8
; WaveLimiterHint : 0
; COMPUTE_PGM_RSRC2:SCRATCH_EN: 0
; COMPUTE_PGM_RSRC2:USER_SGPR: 6
; COMPUTE_PGM_RSRC2:TRAP_HANDLER: 0
; COMPUTE_PGM_RSRC2:TGID_X_EN: 1
; COMPUTE_PGM_RSRC2:TGID_Y_EN: 0
; COMPUTE_PGM_RSRC2:TGID_Z_EN: 0
; COMPUTE_PGM_RSRC2:TIDIG_COMP_CNT: 0
; COMPUTE_PGM_RSRC3_GFX90A:ACCUM_OFFSET: 0
; COMPUTE_PGM_RSRC3_GFX90A:TG_SPLIT: 0
	.section	.text._ZN7rocprim17ROCPRIM_400000_NS6detail17trampoline_kernelINS0_14default_configENS1_20scan_config_selectorIiEEZZNS1_9scan_implILNS1_25lookback_scan_determinismE0ELb0ELb0ES3_N6thrust23THRUST_200600_302600_NS6detail15normal_iteratorINS9_10device_ptrIiEEEESE_i9plus_mod3IiEiEEDaPvRmT3_T4_T5_mT6_P12ihipStream_tbENKUlT_T0_E_clISt17integral_constantIbLb0EESU_EEDaSP_SQ_EUlSP_E_NS1_11comp_targetILNS1_3genE4ELNS1_11target_archE910ELNS1_3gpuE8ELNS1_3repE0EEENS1_30default_config_static_selectorELNS0_4arch9wavefront6targetE1EEEvT1_,"axG",@progbits,_ZN7rocprim17ROCPRIM_400000_NS6detail17trampoline_kernelINS0_14default_configENS1_20scan_config_selectorIiEEZZNS1_9scan_implILNS1_25lookback_scan_determinismE0ELb0ELb0ES3_N6thrust23THRUST_200600_302600_NS6detail15normal_iteratorINS9_10device_ptrIiEEEESE_i9plus_mod3IiEiEEDaPvRmT3_T4_T5_mT6_P12ihipStream_tbENKUlT_T0_E_clISt17integral_constantIbLb0EESU_EEDaSP_SQ_EUlSP_E_NS1_11comp_targetILNS1_3genE4ELNS1_11target_archE910ELNS1_3gpuE8ELNS1_3repE0EEENS1_30default_config_static_selectorELNS0_4arch9wavefront6targetE1EEEvT1_,comdat
	.protected	_ZN7rocprim17ROCPRIM_400000_NS6detail17trampoline_kernelINS0_14default_configENS1_20scan_config_selectorIiEEZZNS1_9scan_implILNS1_25lookback_scan_determinismE0ELb0ELb0ES3_N6thrust23THRUST_200600_302600_NS6detail15normal_iteratorINS9_10device_ptrIiEEEESE_i9plus_mod3IiEiEEDaPvRmT3_T4_T5_mT6_P12ihipStream_tbENKUlT_T0_E_clISt17integral_constantIbLb0EESU_EEDaSP_SQ_EUlSP_E_NS1_11comp_targetILNS1_3genE4ELNS1_11target_archE910ELNS1_3gpuE8ELNS1_3repE0EEENS1_30default_config_static_selectorELNS0_4arch9wavefront6targetE1EEEvT1_ ; -- Begin function _ZN7rocprim17ROCPRIM_400000_NS6detail17trampoline_kernelINS0_14default_configENS1_20scan_config_selectorIiEEZZNS1_9scan_implILNS1_25lookback_scan_determinismE0ELb0ELb0ES3_N6thrust23THRUST_200600_302600_NS6detail15normal_iteratorINS9_10device_ptrIiEEEESE_i9plus_mod3IiEiEEDaPvRmT3_T4_T5_mT6_P12ihipStream_tbENKUlT_T0_E_clISt17integral_constantIbLb0EESU_EEDaSP_SQ_EUlSP_E_NS1_11comp_targetILNS1_3genE4ELNS1_11target_archE910ELNS1_3gpuE8ELNS1_3repE0EEENS1_30default_config_static_selectorELNS0_4arch9wavefront6targetE1EEEvT1_
	.globl	_ZN7rocprim17ROCPRIM_400000_NS6detail17trampoline_kernelINS0_14default_configENS1_20scan_config_selectorIiEEZZNS1_9scan_implILNS1_25lookback_scan_determinismE0ELb0ELb0ES3_N6thrust23THRUST_200600_302600_NS6detail15normal_iteratorINS9_10device_ptrIiEEEESE_i9plus_mod3IiEiEEDaPvRmT3_T4_T5_mT6_P12ihipStream_tbENKUlT_T0_E_clISt17integral_constantIbLb0EESU_EEDaSP_SQ_EUlSP_E_NS1_11comp_targetILNS1_3genE4ELNS1_11target_archE910ELNS1_3gpuE8ELNS1_3repE0EEENS1_30default_config_static_selectorELNS0_4arch9wavefront6targetE1EEEvT1_
	.p2align	8
	.type	_ZN7rocprim17ROCPRIM_400000_NS6detail17trampoline_kernelINS0_14default_configENS1_20scan_config_selectorIiEEZZNS1_9scan_implILNS1_25lookback_scan_determinismE0ELb0ELb0ES3_N6thrust23THRUST_200600_302600_NS6detail15normal_iteratorINS9_10device_ptrIiEEEESE_i9plus_mod3IiEiEEDaPvRmT3_T4_T5_mT6_P12ihipStream_tbENKUlT_T0_E_clISt17integral_constantIbLb0EESU_EEDaSP_SQ_EUlSP_E_NS1_11comp_targetILNS1_3genE4ELNS1_11target_archE910ELNS1_3gpuE8ELNS1_3repE0EEENS1_30default_config_static_selectorELNS0_4arch9wavefront6targetE1EEEvT1_,@function
_ZN7rocprim17ROCPRIM_400000_NS6detail17trampoline_kernelINS0_14default_configENS1_20scan_config_selectorIiEEZZNS1_9scan_implILNS1_25lookback_scan_determinismE0ELb0ELb0ES3_N6thrust23THRUST_200600_302600_NS6detail15normal_iteratorINS9_10device_ptrIiEEEESE_i9plus_mod3IiEiEEDaPvRmT3_T4_T5_mT6_P12ihipStream_tbENKUlT_T0_E_clISt17integral_constantIbLb0EESU_EEDaSP_SQ_EUlSP_E_NS1_11comp_targetILNS1_3genE4ELNS1_11target_archE910ELNS1_3gpuE8ELNS1_3repE0EEENS1_30default_config_static_selectorELNS0_4arch9wavefront6targetE1EEEvT1_: ; @_ZN7rocprim17ROCPRIM_400000_NS6detail17trampoline_kernelINS0_14default_configENS1_20scan_config_selectorIiEEZZNS1_9scan_implILNS1_25lookback_scan_determinismE0ELb0ELb0ES3_N6thrust23THRUST_200600_302600_NS6detail15normal_iteratorINS9_10device_ptrIiEEEESE_i9plus_mod3IiEiEEDaPvRmT3_T4_T5_mT6_P12ihipStream_tbENKUlT_T0_E_clISt17integral_constantIbLb0EESU_EEDaSP_SQ_EUlSP_E_NS1_11comp_targetILNS1_3genE4ELNS1_11target_archE910ELNS1_3gpuE8ELNS1_3repE0EEENS1_30default_config_static_selectorELNS0_4arch9wavefront6targetE1EEEvT1_
; %bb.0:
	s_load_dwordx8 s[8:15], s[4:5], 0x0
	s_load_dword s1, s[4:5], 0x38
	s_mul_i32 s0, s6, 0x500
	v_lshlrev_b32_e32 v22, 2, v0
	s_waitcnt lgkmcnt(0)
	s_lshl_b64 s[20:21], s[10:11], 2
	s_add_u32 s2, s8, s20
	s_addc_u32 s3, s9, s21
	s_add_i32 s7, s1, -1
	s_mul_i32 s8, s7, 0x500
	s_sub_u32 s33, s14, s8
	s_subb_u32 s36, s15, 0
	s_mov_b32 s1, 0
	s_cmp_lg_u32 s6, s7
	s_cselect_b64 s[14:15], -1, 0
	s_lshl_b64 s[22:23], s[0:1], 2
	s_add_u32 s2, s2, s22
	s_addc_u32 s3, s3, s23
	s_mov_b64 s[0:1], -1
	s_and_b64 vcc, exec, s[14:15]
	s_cbranch_vccz .LBB6608_2
; %bb.1:
	v_mov_b32_e32 v1, s3
	v_add_co_u32_e32 v2, vcc, s2, v22
	v_addc_co_u32_e32 v3, vcc, 0, v1, vcc
	flat_load_dword v1, v[2:3]
	flat_load_dword v4, v[2:3] offset:512
	flat_load_dword v5, v[2:3] offset:1024
	;; [unrolled: 1-line block ×7, first 2 shown]
	v_add_co_u32_e32 v2, vcc, 0x1000, v2
	v_addc_co_u32_e32 v3, vcc, 0, v3, vcc
	flat_load_dword v11, v[2:3]
	flat_load_dword v12, v[2:3] offset:512
	s_mov_b64 s[0:1], 0
	s_waitcnt vmcnt(0) lgkmcnt(0)
	ds_write2st64_b32 v22, v1, v4 offset1:2
	ds_write2st64_b32 v22, v5, v6 offset0:4 offset1:6
	ds_write2st64_b32 v22, v7, v8 offset0:8 offset1:10
	;; [unrolled: 1-line block ×4, first 2 shown]
	s_waitcnt lgkmcnt(0)
	s_barrier
.LBB6608_2:
	s_load_dwordx4 s[16:19], s[4:5], 0x28
	s_andn2_b64 vcc, exec, s[0:1]
	v_cmp_gt_u32_e64 s[0:1], s33, v0
	s_cbranch_vccnz .LBB6608_24
; %bb.3:
	v_pk_mov_b32 v[2:3], s[2:3], s[2:3] op_sel:[0,1]
	flat_load_dword v1, v[2:3]
	s_waitcnt vmcnt(0) lgkmcnt(0)
	v_mov_b32_e32 v2, v1
	v_mov_b32_e32 v3, v1
	;; [unrolled: 1-line block ×9, first 2 shown]
	s_and_saveexec_b64 s[8:9], s[0:1]
	s_cbranch_execz .LBB6608_5
; %bb.4:
	v_mov_b32_e32 v11, s3
	v_add_co_u32_e32 v10, vcc, s2, v22
	v_addc_co_u32_e32 v11, vcc, 0, v11, vcc
	flat_load_dword v10, v[10:11]
.LBB6608_5:
	s_or_b64 exec, exec, s[8:9]
	v_or_b32_e32 v11, 0x80, v0
	v_cmp_gt_u32_e32 vcc, s33, v11
	s_and_saveexec_b64 s[0:1], vcc
	s_cbranch_execz .LBB6608_7
; %bb.6:
	v_mov_b32_e32 v1, s3
	v_add_co_u32_e32 v12, vcc, s2, v22
	v_addc_co_u32_e32 v13, vcc, 0, v1, vcc
	flat_load_dword v1, v[12:13] offset:512
.LBB6608_7:
	s_or_b64 exec, exec, s[0:1]
	v_or_b32_e32 v11, 0x100, v0
	v_cmp_gt_u32_e32 vcc, s33, v11
	s_and_saveexec_b64 s[0:1], vcc
	s_cbranch_execz .LBB6608_9
; %bb.8:
	v_mov_b32_e32 v2, s3
	v_add_co_u32_e32 v12, vcc, s2, v22
	v_addc_co_u32_e32 v13, vcc, 0, v2, vcc
	flat_load_dword v2, v[12:13] offset:1024
.LBB6608_9:
	;; [unrolled: 11-line block ×7, first 2 shown]
	s_or_b64 exec, exec, s[0:1]
	v_or_b32_e32 v11, 0x400, v0
	v_cmp_gt_u32_e32 vcc, s33, v11
	s_and_saveexec_b64 s[0:1], vcc
	s_cbranch_execz .LBB6608_21
; %bb.20:
	v_lshlrev_b32_e32 v8, 2, v11
	v_mov_b32_e32 v11, s3
	v_add_co_u32_e32 v12, vcc, s2, v8
	v_addc_co_u32_e32 v13, vcc, 0, v11, vcc
	flat_load_dword v8, v[12:13]
.LBB6608_21:
	s_or_b64 exec, exec, s[0:1]
	v_or_b32_e32 v11, 0x480, v0
	v_cmp_gt_u32_e32 vcc, s33, v11
	s_and_saveexec_b64 s[0:1], vcc
	s_cbranch_execz .LBB6608_23
; %bb.22:
	v_lshlrev_b32_e32 v9, 2, v11
	v_mov_b32_e32 v11, s3
	v_add_co_u32_e32 v12, vcc, s2, v9
	v_addc_co_u32_e32 v13, vcc, 0, v11, vcc
	flat_load_dword v9, v[12:13]
.LBB6608_23:
	s_or_b64 exec, exec, s[0:1]
	s_waitcnt vmcnt(0) lgkmcnt(0)
	ds_write2st64_b32 v22, v10, v1 offset1:2
	ds_write2st64_b32 v22, v2, v3 offset0:4 offset1:6
	ds_write2st64_b32 v22, v4, v5 offset0:8 offset1:10
	;; [unrolled: 1-line block ×4, first 2 shown]
	s_waitcnt lgkmcnt(0)
	s_barrier
.LBB6608_24:
	v_mul_u32_u24_e32 v23, 10, v0
	v_lshlrev_b32_e32 v1, 2, v23
	s_waitcnt lgkmcnt(0)
	ds_read2_b64 v[2:5], v1 offset1:1
	ds_read2_b64 v[16:19], v1 offset0:2 offset1:3
	ds_read_b64 v[20:21], v1 offset:32
	s_cmp_lg_u32 s6, 0
	v_lshrrev_b32_e32 v24, 5, v0
	v_cmp_gt_u32_e32 vcc, 64, v0
	s_waitcnt lgkmcnt(0)
	s_barrier
	s_cbranch_scc0 .LBB6608_90
; %bb.25:
	v_add_u32_e32 v6, v3, v2
	v_ashrrev_i32_e32 v7, 31, v6
	v_lshlrev_b64 v[6:7], 2, v[6:7]
	v_mov_b32_e32 v8, s17
	v_add_co_u32_e64 v6, s[0:1], s16, v6
	v_addc_co_u32_e64 v7, s[0:1], v8, v7, s[0:1]
	global_load_dword v6, v[6:7], off
	s_waitcnt vmcnt(0)
	v_add_u32_e32 v6, v6, v4
	v_ashrrev_i32_e32 v7, 31, v6
	v_lshlrev_b64 v[6:7], 2, v[6:7]
	v_add_co_u32_e64 v6, s[0:1], s16, v6
	v_addc_co_u32_e64 v7, s[0:1], v8, v7, s[0:1]
	global_load_dword v6, v[6:7], off
	s_waitcnt vmcnt(0)
	v_add_u32_e32 v6, v6, v5
	v_ashrrev_i32_e32 v7, 31, v6
	v_lshlrev_b64 v[6:7], 2, v[6:7]
	;; [unrolled: 7-line block ×8, first 2 shown]
	v_add_co_u32_e64 v6, s[0:1], s16, v6
	v_addc_co_u32_e64 v7, s[0:1], v8, v7, s[0:1]
	global_load_dword v25, v[6:7], off
	v_add_lshl_u32 v6, v24, v0, 2
	s_waitcnt vmcnt(0)
	ds_write_b32 v6, v25
	s_waitcnt lgkmcnt(0)
	s_barrier
	s_and_saveexec_b64 s[2:3], vcc
	s_cbranch_execz .LBB6608_39
; %bb.26:
	v_lshlrev_b32_e32 v6, 1, v0
	v_lshrrev_b32_e32 v7, 4, v0
	v_add_lshl_u32 v8, v7, v6, 2
	ds_read2_b32 v[6:7], v8 offset1:1
	v_mov_b32_e32 v9, s17
	s_waitcnt lgkmcnt(0)
	v_add_u32_e32 v10, v7, v6
	v_ashrrev_i32_e32 v11, 31, v10
	v_lshlrev_b64 v[10:11], 2, v[10:11]
	v_add_co_u32_e64 v10, s[0:1], s16, v10
	v_addc_co_u32_e64 v11, s[0:1], v9, v11, s[0:1]
	global_load_dword v9, v[10:11], off
	v_mbcnt_lo_u32_b32 v7, -1, 0
	v_mbcnt_hi_u32_b32 v7, -1, v7
	v_and_b32_e32 v10, 15, v7
	v_cmp_ne_u32_e64 s[0:1], 0, v10
	s_waitcnt vmcnt(0)
	v_mov_b32_dpp v11, v9 row_shr:1 row_mask:0xf bank_mask:0xf
	s_and_saveexec_b64 s[8:9], s[0:1]
	s_cbranch_execz .LBB6608_28
; %bb.27:
	v_add_u32_e32 v12, v11, v9
	v_ashrrev_i32_e32 v13, 31, v12
	v_lshlrev_b64 v[12:13], 2, v[12:13]
	v_mov_b32_e32 v9, s17
	v_add_co_u32_e64 v12, s[0:1], s16, v12
	v_addc_co_u32_e64 v13, s[0:1], v9, v13, s[0:1]
	global_load_dword v9, v[12:13], off
.LBB6608_28:
	s_or_b64 exec, exec, s[8:9]
	s_waitcnt vmcnt(0)
	v_mov_b32_dpp v11, v9 row_shr:2 row_mask:0xf bank_mask:0xf
	v_cmp_lt_u32_e64 s[0:1], 1, v10
	s_and_saveexec_b64 s[8:9], s[0:1]
	s_cbranch_execz .LBB6608_30
; %bb.29:
	v_add_u32_e32 v12, v11, v9
	v_ashrrev_i32_e32 v13, 31, v12
	v_lshlrev_b64 v[12:13], 2, v[12:13]
	v_mov_b32_e32 v9, s17
	v_add_co_u32_e64 v12, s[0:1], s16, v12
	v_addc_co_u32_e64 v13, s[0:1], v9, v13, s[0:1]
	global_load_dword v9, v[12:13], off
.LBB6608_30:
	s_or_b64 exec, exec, s[8:9]
	s_waitcnt vmcnt(0)
	v_mov_b32_dpp v11, v9 row_shr:4 row_mask:0xf bank_mask:0xf
	v_cmp_lt_u32_e64 s[0:1], 3, v10
	;; [unrolled: 15-line block ×3, first 2 shown]
	s_and_saveexec_b64 s[8:9], s[0:1]
	s_cbranch_execz .LBB6608_34
; %bb.33:
	v_add_u32_e32 v10, v11, v9
	v_ashrrev_i32_e32 v11, 31, v10
	v_lshlrev_b64 v[10:11], 2, v[10:11]
	v_mov_b32_e32 v9, s17
	v_add_co_u32_e64 v10, s[0:1], s16, v10
	v_addc_co_u32_e64 v11, s[0:1], v9, v11, s[0:1]
	global_load_dword v9, v[10:11], off
.LBB6608_34:
	s_or_b64 exec, exec, s[8:9]
	v_and_b32_e32 v11, 16, v7
	s_waitcnt vmcnt(0)
	v_mov_b32_dpp v10, v9 row_bcast:15 row_mask:0xf bank_mask:0xf
	v_cmp_ne_u32_e64 s[0:1], 0, v11
	s_and_saveexec_b64 s[8:9], s[0:1]
	s_cbranch_execz .LBB6608_36
; %bb.35:
	v_add_u32_e32 v10, v10, v9
	v_ashrrev_i32_e32 v11, 31, v10
	v_lshlrev_b64 v[10:11], 2, v[10:11]
	v_mov_b32_e32 v9, s17
	v_add_co_u32_e64 v10, s[0:1], s16, v10
	v_addc_co_u32_e64 v11, s[0:1], v9, v11, s[0:1]
	global_load_dword v9, v[10:11], off
.LBB6608_36:
	s_or_b64 exec, exec, s[8:9]
	s_waitcnt vmcnt(0)
	v_mov_b32_dpp v10, v9 row_bcast:31 row_mask:0xf bank_mask:0xf
	v_cmp_lt_u32_e64 s[0:1], 31, v7
	s_and_saveexec_b64 s[8:9], s[0:1]
	s_cbranch_execz .LBB6608_38
; %bb.37:
	v_add_u32_e32 v10, v10, v9
	v_ashrrev_i32_e32 v11, 31, v10
	v_lshlrev_b64 v[10:11], 2, v[10:11]
	v_mov_b32_e32 v9, s17
	v_add_co_u32_e64 v10, s[0:1], s16, v10
	v_addc_co_u32_e64 v11, s[0:1], v9, v11, s[0:1]
	global_load_dword v9, v[10:11], off
.LBB6608_38:
	s_or_b64 exec, exec, s[8:9]
	v_add_u32_e32 v10, -1, v7
	v_and_b32_e32 v11, 64, v7
	v_cmp_lt_i32_e64 s[0:1], v10, v11
	v_cndmask_b32_e64 v7, v10, v7, s[0:1]
	v_lshlrev_b32_e32 v7, 2, v7
	s_waitcnt vmcnt(0)
	ds_bpermute_b32 v7, v7, v9
	v_mov_b32_e32 v9, s17
	s_waitcnt lgkmcnt(0)
	v_add_u32_e32 v6, v7, v6
	v_ashrrev_i32_e32 v7, 31, v6
	v_lshlrev_b64 v[6:7], 2, v[6:7]
	v_add_co_u32_e64 v6, s[0:1], s16, v6
	v_addc_co_u32_e64 v7, s[0:1], v9, v7, s[0:1]
	global_load_dword v6, v[6:7], off
	v_cmp_eq_u32_e64 s[0:1], 0, v0
	; wave barrier
	s_waitcnt vmcnt(0)
	v_cndmask_b32_e64 v6, v6, v25, s[0:1]
	ds_write_b32 v8, v6
	; wave barrier
	ds_read_b32 v7, v8 offset:4
	s_waitcnt lgkmcnt(0)
	v_add_u32_e32 v6, v7, v6
	v_ashrrev_i32_e32 v7, 31, v6
	v_lshlrev_b64 v[6:7], 2, v[6:7]
	v_add_co_u32_e64 v6, s[0:1], s16, v6
	v_addc_co_u32_e64 v7, s[0:1], v9, v7, s[0:1]
	global_load_dword v6, v[6:7], off
	s_waitcnt vmcnt(0)
	ds_write_b32 v8, v6 offset:4
.LBB6608_39:
	s_or_b64 exec, exec, s[2:3]
	v_cmp_eq_u32_e64 s[2:3], 0, v0
	v_cmp_ne_u32_e64 s[0:1], 0, v0
	s_waitcnt lgkmcnt(0)
	s_barrier
	s_and_saveexec_b64 s[8:9], s[0:1]
	s_cbranch_execz .LBB6608_41
; %bb.40:
	v_add_u32_e32 v6, -1, v0
	v_lshrrev_b32_e32 v7, 5, v6
	v_add_lshl_u32 v6, v7, v6, 2
	ds_read_b32 v25, v6
.LBB6608_41:
	s_or_b64 exec, exec, s[8:9]
	s_and_saveexec_b64 s[10:11], vcc
	s_cbranch_execz .LBB6608_87
; %bb.42:
	v_mov_b32_e32 v13, 0
	ds_read_b32 v6, v13 offset:520
	v_mbcnt_lo_u32_b32 v7, -1, 0
	v_mbcnt_hi_u32_b32 v9, -1, v7
	s_mov_b32 s27, 0
	v_cmp_eq_u32_e64 s[8:9], 0, v9
	s_and_saveexec_b64 s[24:25], s[8:9]
	s_cbranch_execz .LBB6608_44
; %bb.43:
	s_add_i32 s26, s6, 64
	s_lshl_b64 s[26:27], s[26:27], 3
	s_add_u32 s26, s18, s26
	v_mov_b32_e32 v7, 1
	s_addc_u32 s27, s19, s27
	s_waitcnt lgkmcnt(0)
	global_store_dwordx2 v13, v[6:7], s[26:27]
.LBB6608_44:
	s_or_b64 exec, exec, s[24:25]
	v_xad_u32 v8, v9, -1, s6
	v_add_u32_e32 v12, 64, v8
	v_lshlrev_b64 v[10:11], 3, v[12:13]
	v_mov_b32_e32 v7, s19
	v_add_co_u32_e32 v14, vcc, s18, v10
	v_addc_co_u32_e32 v15, vcc, v7, v11, vcc
	global_load_dwordx2 v[10:11], v[14:15], off glc
	s_waitcnt vmcnt(0)
	v_cmp_eq_u16_sdwa s[26:27], v11, v13 src0_sel:BYTE_0 src1_sel:DWORD
	s_and_saveexec_b64 s[24:25], s[26:27]
	s_cbranch_execz .LBB6608_48
; %bb.45:
	s_mov_b64 s[26:27], 0
	v_mov_b32_e32 v7, 0
.LBB6608_46:                            ; =>This Inner Loop Header: Depth=1
	global_load_dwordx2 v[10:11], v[14:15], off glc
	s_waitcnt vmcnt(0)
	v_cmp_ne_u16_sdwa s[28:29], v11, v7 src0_sel:BYTE_0 src1_sel:DWORD
	s_or_b64 s[26:27], s[28:29], s[26:27]
	s_andn2_b64 exec, exec, s[26:27]
	s_cbranch_execnz .LBB6608_46
; %bb.47:
	s_or_b64 exec, exec, s[26:27]
.LBB6608_48:
	s_or_b64 exec, exec, s[24:25]
	v_mov_b32_e32 v7, 2
	v_cmp_eq_u16_sdwa s[24:25], v11, v7 src0_sel:BYTE_0 src1_sel:DWORD
	v_lshlrev_b64 v[12:13], v9, -1
	v_and_b32_e32 v7, s25, v13
	v_or_b32_e32 v7, 0x80000000, v7
	v_ffbl_b32_e32 v27, v7
	v_and_b32_e32 v7, 63, v9
	v_cmp_ne_u32_e32 vcc, 63, v7
	v_addc_co_u32_e32 v15, vcc, 0, v9, vcc
	v_lshlrev_b32_e32 v26, 2, v15
	ds_bpermute_b32 v15, v26, v10
	v_and_b32_e32 v14, s24, v12
	v_add_u32_e32 v27, 32, v27
	v_ffbl_b32_e32 v14, v14
	v_min_u32_e32 v14, v14, v27
	v_cmp_lt_u32_e32 vcc, v7, v14
	s_and_saveexec_b64 s[24:25], vcc
	s_cbranch_execz .LBB6608_50
; %bb.49:
	s_waitcnt lgkmcnt(0)
	v_add_u32_e32 v28, v15, v10
	v_ashrrev_i32_e32 v29, 31, v28
	v_lshlrev_b64 v[28:29], 2, v[28:29]
	v_mov_b32_e32 v10, s17
	v_add_co_u32_e32 v28, vcc, s16, v28
	v_addc_co_u32_e32 v29, vcc, v10, v29, vcc
	global_load_dword v10, v[28:29], off
.LBB6608_50:
	s_or_b64 exec, exec, s[24:25]
	v_cmp_gt_u32_e32 vcc, 62, v7
	s_waitcnt lgkmcnt(0)
	v_cndmask_b32_e64 v15, 0, 1, vcc
	v_lshlrev_b32_e32 v15, 1, v15
	v_add_lshl_u32 v27, v15, v9, 2
	s_waitcnt vmcnt(0)
	ds_bpermute_b32 v15, v27, v10
	v_add_u32_e32 v28, 2, v7
	v_cmp_le_u32_e32 vcc, v28, v14
	s_and_saveexec_b64 s[24:25], vcc
	s_cbranch_execz .LBB6608_52
; %bb.51:
	s_waitcnt lgkmcnt(0)
	v_add_u32_e32 v30, v15, v10
	v_ashrrev_i32_e32 v31, 31, v30
	v_lshlrev_b64 v[30:31], 2, v[30:31]
	v_mov_b32_e32 v10, s17
	v_add_co_u32_e32 v30, vcc, s16, v30
	v_addc_co_u32_e32 v31, vcc, v10, v31, vcc
	global_load_dword v10, v[30:31], off
.LBB6608_52:
	s_or_b64 exec, exec, s[24:25]
	v_cmp_gt_u32_e32 vcc, 60, v7
	s_waitcnt lgkmcnt(0)
	v_cndmask_b32_e64 v15, 0, 1, vcc
	v_lshlrev_b32_e32 v15, 2, v15
	v_add_lshl_u32 v29, v15, v9, 2
	s_waitcnt vmcnt(0)
	ds_bpermute_b32 v15, v29, v10
	v_add_u32_e32 v30, 4, v7
	v_cmp_le_u32_e32 vcc, v30, v14
	;; [unrolled: 22-line block ×5, first 2 shown]
	s_mov_b64 s[24:25], -1
                                        ; implicit-def: $vgpr14
	s_and_saveexec_b64 s[26:27], vcc
	s_cbranch_execz .LBB6608_60
; %bb.59:
	s_waitcnt lgkmcnt(0)
	v_add_u32_e32 v14, v9, v10
	s_xor_b64 s[24:25], exec, -1
.LBB6608_60:
	s_or_b64 exec, exec, s[26:27]
	s_mov_b64 s[26:27], 0
	s_waitcnt lgkmcnt(0)
	v_mov_b32_e32 v9, 0
	v_mov_b32_e32 v38, 2
                                        ; implicit-def: $sgpr28_sgpr29
	s_branch .LBB6608_62
.LBB6608_61:                            ;   in Loop: Header=BB6608_62 Depth=1
	s_or_b64 exec, exec, s[24:25]
	v_subrev_u32_e32 v8, 64, v8
	s_waitcnt vmcnt(0)
	v_add_u32_e32 v14, v10, v37
	s_mov_b64 s[24:25], 0
	s_mov_b64 s[26:27], 0
                                        ; implicit-def: $sgpr28_sgpr29
.LBB6608_62:                            ; =>This Loop Header: Depth=1
                                        ;     Child Loop BB6608_68 Depth 2
	s_waitcnt vmcnt(0)
	v_mov_b32_e32 v37, v10
	s_xor_b64 s[34:35], s[24:25], -1
	s_or_b64 s[28:29], s[28:29], exec
                                        ; implicit-def: $sgpr30_sgpr31
	s_and_saveexec_b64 s[38:39], s[34:35]
	s_xor_b64 s[34:35], exec, s[38:39]
	s_cbranch_execz .LBB6608_64
; %bb.63:                               ;   in Loop: Header=BB6608_62 Depth=1
	s_waitcnt lgkmcnt(0)
	v_ashrrev_i32_e32 v15, 31, v14
	v_lshlrev_b64 v[40:41], 2, v[14:15]
	v_mov_b32_e32 v10, s17
	v_add_co_u32_e32 v40, vcc, s16, v40
	v_addc_co_u32_e32 v41, vcc, v10, v41, vcc
	global_load_dword v10, v[40:41], off
	s_mov_b64 s[30:31], -1
	s_andn2_b64 s[28:29], s[28:29], exec
                                        ; implicit-def: $sgpr24_sgpr25
.LBB6608_64:                            ;   in Loop: Header=BB6608_62 Depth=1
	s_or_b64 exec, exec, s[34:35]
	s_and_b64 s[34:35], exec, s[28:29]
	s_or_b64 s[26:27], s[34:35], s[26:27]
	s_andn2_b64 s[24:25], s[24:25], exec
	s_and_b64 s[30:31], s[30:31], exec
	s_or_b64 s[24:25], s[24:25], s[30:31]
	s_andn2_b64 exec, exec, s[26:27]
	s_cbranch_execnz .LBB6608_62
; %bb.65:                               ;   in Loop: Header=BB6608_62 Depth=1
	s_or_b64 exec, exec, s[26:27]
	v_cmp_ne_u16_sdwa s[24:25], v11, v38 src0_sel:BYTE_0 src1_sel:DWORD
	s_waitcnt vmcnt(0)
	v_cndmask_b32_e64 v10, 0, 1, s[24:25]
	;;#ASMSTART
	;;#ASMEND
	v_cmp_ne_u32_e32 vcc, 0, v10
	s_cmp_lg_u64 vcc, exec
	s_cbranch_scc1 .LBB6608_82
; %bb.66:                               ;   in Loop: Header=BB6608_62 Depth=1
	v_lshlrev_b64 v[10:11], 3, v[8:9]
	s_waitcnt lgkmcnt(0)
	v_mov_b32_e32 v15, s19
	v_add_co_u32_e32 v14, vcc, s18, v10
	v_addc_co_u32_e32 v15, vcc, v15, v11, vcc
	global_load_dwordx2 v[10:11], v[14:15], off glc
	s_waitcnt vmcnt(0)
	v_cmp_eq_u16_sdwa s[26:27], v11, v9 src0_sel:BYTE_0 src1_sel:DWORD
	s_and_saveexec_b64 s[24:25], s[26:27]
	s_cbranch_execz .LBB6608_70
; %bb.67:                               ;   in Loop: Header=BB6608_62 Depth=1
	s_mov_b64 s[26:27], 0
.LBB6608_68:                            ;   Parent Loop BB6608_62 Depth=1
                                        ; =>  This Inner Loop Header: Depth=2
	global_load_dwordx2 v[10:11], v[14:15], off glc
	s_waitcnt vmcnt(0)
	v_cmp_ne_u16_sdwa s[28:29], v11, v9 src0_sel:BYTE_0 src1_sel:DWORD
	s_or_b64 s[26:27], s[28:29], s[26:27]
	s_andn2_b64 exec, exec, s[26:27]
	s_cbranch_execnz .LBB6608_68
; %bb.69:                               ;   in Loop: Header=BB6608_62 Depth=1
	s_or_b64 exec, exec, s[26:27]
.LBB6608_70:                            ;   in Loop: Header=BB6608_62 Depth=1
	s_or_b64 exec, exec, s[24:25]
	v_cmp_eq_u16_sdwa s[24:25], v11, v38 src0_sel:BYTE_0 src1_sel:DWORD
	v_and_b32_e32 v14, s25, v13
	v_or_b32_e32 v14, 0x80000000, v14
	ds_bpermute_b32 v15, v26, v10
	v_and_b32_e32 v39, s24, v12
	v_ffbl_b32_e32 v14, v14
	v_add_u32_e32 v14, 32, v14
	v_ffbl_b32_e32 v39, v39
	v_min_u32_e32 v14, v39, v14
	v_cmp_lt_u32_e32 vcc, v7, v14
	s_and_saveexec_b64 s[24:25], vcc
	s_cbranch_execz .LBB6608_72
; %bb.71:                               ;   in Loop: Header=BB6608_62 Depth=1
	s_waitcnt lgkmcnt(0)
	v_add_u32_e32 v40, v15, v10
	v_ashrrev_i32_e32 v41, 31, v40
	v_lshlrev_b64 v[40:41], 2, v[40:41]
	v_mov_b32_e32 v10, s17
	v_add_co_u32_e32 v40, vcc, s16, v40
	v_addc_co_u32_e32 v41, vcc, v10, v41, vcc
	global_load_dword v10, v[40:41], off
.LBB6608_72:                            ;   in Loop: Header=BB6608_62 Depth=1
	s_or_b64 exec, exec, s[24:25]
	s_waitcnt vmcnt(0) lgkmcnt(0)
	ds_bpermute_b32 v15, v27, v10
	v_cmp_le_u32_e32 vcc, v28, v14
	s_and_saveexec_b64 s[24:25], vcc
	s_cbranch_execz .LBB6608_74
; %bb.73:                               ;   in Loop: Header=BB6608_62 Depth=1
	s_waitcnt lgkmcnt(0)
	v_add_u32_e32 v40, v15, v10
	v_ashrrev_i32_e32 v41, 31, v40
	v_lshlrev_b64 v[40:41], 2, v[40:41]
	v_mov_b32_e32 v10, s17
	v_add_co_u32_e32 v40, vcc, s16, v40
	v_addc_co_u32_e32 v41, vcc, v10, v41, vcc
	global_load_dword v10, v[40:41], off
.LBB6608_74:                            ;   in Loop: Header=BB6608_62 Depth=1
	s_or_b64 exec, exec, s[24:25]
	s_waitcnt vmcnt(0) lgkmcnt(0)
	ds_bpermute_b32 v15, v29, v10
	v_cmp_le_u32_e32 vcc, v30, v14
	;; [unrolled: 16-line block ×5, first 2 shown]
	s_and_saveexec_b64 s[24:25], vcc
	s_cbranch_execz .LBB6608_61
; %bb.81:                               ;   in Loop: Header=BB6608_62 Depth=1
	s_waitcnt lgkmcnt(0)
	v_add_u32_e32 v14, v15, v10
	v_ashrrev_i32_e32 v15, 31, v14
	v_lshlrev_b64 v[14:15], 2, v[14:15]
	v_mov_b32_e32 v10, s17
	v_add_co_u32_e32 v14, vcc, s16, v14
	v_addc_co_u32_e32 v15, vcc, v10, v15, vcc
	global_load_dword v10, v[14:15], off
	s_branch .LBB6608_61
.LBB6608_82:                            ;   in Loop: Header=BB6608_62 Depth=1
	s_mov_b64 s[24:25], -1
                                        ; implicit-def: $vgpr14
                                        ; implicit-def: $vgpr11
	s_mov_b64 s[26:27], 0
                                        ; implicit-def: $sgpr28_sgpr29
	s_cbranch_execz .LBB6608_62
; %bb.83:
	s_and_saveexec_b64 s[24:25], s[8:9]
	s_cbranch_execz .LBB6608_85
; %bb.84:
	v_add_u32_e32 v6, v37, v6
	v_ashrrev_i32_e32 v7, 31, v6
	v_lshlrev_b64 v[6:7], 2, v[6:7]
	v_mov_b32_e32 v8, s17
	v_add_co_u32_e32 v6, vcc, s16, v6
	v_addc_co_u32_e32 v7, vcc, v8, v7, vcc
	global_load_dword v6, v[6:7], off
	s_add_i32 s6, s6, 64
	s_mov_b32 s7, 0
	s_lshl_b64 s[6:7], s[6:7], 3
	s_add_u32 s6, s18, s6
	s_addc_u32 s7, s19, s7
	v_mov_b32_e32 v8, 0
	v_mov_b32_e32 v7, 2
	s_waitcnt vmcnt(0)
	global_store_dwordx2 v8, v[6:7], s[6:7]
.LBB6608_85:
	s_or_b64 exec, exec, s[24:25]
	s_and_b64 exec, exec, s[2:3]
	s_cbranch_execz .LBB6608_87
; %bb.86:
	v_mov_b32_e32 v6, 0
	ds_write_b32 v6, v37
.LBB6608_87:
	s_or_b64 exec, exec, s[10:11]
	v_mov_b32_e32 v6, 0
	s_waitcnt lgkmcnt(0)
	s_barrier
	ds_read_b32 v6, v6
	v_mov_b32_e32 v7, v2
	s_and_saveexec_b64 s[2:3], s[0:1]
	s_cbranch_execz .LBB6608_89
; %bb.88:
	v_add_u32_e32 v8, v25, v2
	v_ashrrev_i32_e32 v9, 31, v8
	v_lshlrev_b64 v[8:9], 2, v[8:9]
	v_mov_b32_e32 v7, s17
	v_add_co_u32_e32 v8, vcc, s16, v8
	v_addc_co_u32_e32 v9, vcc, v7, v9, vcc
	global_load_dword v7, v[8:9], off
.LBB6608_89:
	s_or_b64 exec, exec, s[2:3]
	s_waitcnt vmcnt(0) lgkmcnt(0)
	v_add_u32_e32 v6, v7, v6
	v_ashrrev_i32_e32 v7, 31, v6
	v_lshlrev_b64 v[6:7], 2, v[6:7]
	v_mov_b32_e32 v8, s17
	v_add_co_u32_e32 v6, vcc, s16, v6
	v_addc_co_u32_e32 v7, vcc, v8, v7, vcc
	global_load_dword v6, v[6:7], off
	v_mov_b32_e32 v7, s17
	v_mov_b32_e32 v10, s17
	;; [unrolled: 1-line block ×5, first 2 shown]
	s_waitcnt vmcnt(0)
	v_add_u32_e32 v8, v6, v3
	v_ashrrev_i32_e32 v9, 31, v8
	v_lshlrev_b64 v[8:9], 2, v[8:9]
	v_add_co_u32_e32 v8, vcc, s16, v8
	v_addc_co_u32_e32 v9, vcc, v7, v9, vcc
	global_load_dword v7, v[8:9], off
	s_waitcnt vmcnt(0)
	v_add_u32_e32 v8, v7, v4
	v_ashrrev_i32_e32 v9, 31, v8
	v_lshlrev_b64 v[8:9], 2, v[8:9]
	v_add_co_u32_e32 v8, vcc, s16, v8
	v_addc_co_u32_e32 v9, vcc, v10, v9, vcc
	global_load_dword v8, v[8:9], off
	v_mov_b32_e32 v9, s17
	s_waitcnt vmcnt(0)
	v_add_u32_e32 v10, v8, v5
	v_ashrrev_i32_e32 v11, 31, v10
	v_lshlrev_b64 v[10:11], 2, v[10:11]
	v_add_co_u32_e32 v10, vcc, s16, v10
	v_addc_co_u32_e32 v11, vcc, v9, v11, vcc
	global_load_dword v9, v[10:11], off
	s_waitcnt vmcnt(0)
	v_add_u32_e32 v10, v9, v16
	v_ashrrev_i32_e32 v11, 31, v10
	v_lshlrev_b64 v[10:11], 2, v[10:11]
	v_add_co_u32_e32 v10, vcc, s16, v10
	v_addc_co_u32_e32 v11, vcc, v12, v11, vcc
	global_load_dword v10, v[10:11], off
	v_mov_b32_e32 v11, s17
	;; [unrolled: 15-line block ×4, first 2 shown]
	s_waitcnt vmcnt(0)
	v_add_u32_e32 v26, v14, v21
	v_ashrrev_i32_e32 v27, 31, v26
	v_lshlrev_b64 v[26:27], 2, v[26:27]
	v_add_co_u32_e32 v26, vcc, s16, v26
	v_addc_co_u32_e32 v27, vcc, v15, v27, vcc
	global_load_dword v15, v[26:27], off
	s_load_dwordx8 s[4:11], s[4:5], 0x40
	s_branch .LBB6608_114
.LBB6608_90:
                                        ; implicit-def: $vgpr6_vgpr7_vgpr8_vgpr9_vgpr10_vgpr11_vgpr12_vgpr13_vgpr14_vgpr15
	s_load_dwordx8 s[4:11], s[4:5], 0x40
	s_cbranch_execz .LBB6608_114
; %bb.91:
	s_waitcnt lgkmcnt(0)
	s_cmp_lg_u64 s[8:9], 0
	s_cselect_b64 s[2:3], -1, 0
	v_cmp_eq_u32_e64 s[0:1], 0, v0
	s_waitcnt vmcnt(0)
	v_pk_mov_b32 v[14:15], v[10:11], v[10:11] op_sel:[0,1]
	v_cmp_ne_u32_e32 vcc, 0, v0
	s_and_b64 s[2:3], s[0:1], s[2:3]
	v_pk_mov_b32 v[12:13], v[8:9], v[8:9] op_sel:[0,1]
	v_pk_mov_b32 v[10:11], v[6:7], v[6:7] op_sel:[0,1]
	;; [unrolled: 1-line block ×4, first 2 shown]
	s_and_saveexec_b64 s[8:9], s[2:3]
	s_cbranch_execz .LBB6608_93
; %bb.92:
	v_mov_b32_e32 v6, 0
	global_load_dword v6, v6, s[4:5]
	v_mov_b32_e32 v8, s17
	s_waitcnt vmcnt(0)
	v_add_u32_e32 v6, v6, v2
	v_ashrrev_i32_e32 v7, 31, v6
	v_lshlrev_b64 v[6:7], 2, v[6:7]
	v_add_co_u32_e64 v6, s[2:3], s16, v6
	v_addc_co_u32_e64 v7, s[2:3], v8, v7, s[2:3]
	global_load_dword v6, v[6:7], off
	s_waitcnt vmcnt(0)
	v_mov_b32_e32 v2, v6
.LBB6608_93:
	s_or_b64 exec, exec, s[8:9]
	v_add_u32_e32 v8, v3, v2
	v_ashrrev_i32_e32 v9, 31, v8
	v_lshlrev_b64 v[10:11], 2, v[8:9]
	v_mov_b32_e32 v7, s17
	v_add_co_u32_e64 v10, s[2:3], s16, v10
	v_addc_co_u32_e64 v11, s[2:3], v7, v11, s[2:3]
	global_load_dword v7, v[10:11], off
	v_mov_b32_e32 v12, s17
	s_waitcnt vmcnt(0)
	v_add_u32_e32 v10, v4, v7
	v_ashrrev_i32_e32 v11, 31, v10
	v_lshlrev_b64 v[10:11], 2, v[10:11]
	v_add_co_u32_e64 v10, s[2:3], s16, v10
	v_addc_co_u32_e64 v11, s[2:3], v12, v11, s[2:3]
	global_load_dword v7, v[10:11], off
	s_waitcnt vmcnt(0)
	v_add_u32_e32 v10, v7, v5
	v_ashrrev_i32_e32 v11, 31, v10
	v_lshlrev_b64 v[10:11], 2, v[10:11]
	v_add_co_u32_e64 v10, s[2:3], s16, v10
	v_addc_co_u32_e64 v11, s[2:3], v12, v11, s[2:3]
	global_load_dword v7, v[10:11], off
	;; [unrolled: 7-line block ×8, first 2 shown]
	v_add_lshl_u32 v10, v24, v0, 2
	v_cmp_gt_u32_e64 s[2:3], 64, v0
	s_waitcnt vmcnt(0)
	ds_write_b32 v10, v7
	s_waitcnt lgkmcnt(0)
	s_barrier
	s_and_saveexec_b64 s[4:5], s[2:3]
	s_cbranch_execz .LBB6608_107
; %bb.94:
	v_lshlrev_b32_e32 v10, 1, v0
	v_lshrrev_b32_e32 v11, 4, v0
	v_add_lshl_u32 v12, v11, v10, 2
	ds_read2_b32 v[10:11], v12 offset1:1
	v_mov_b32_e32 v13, s17
	s_waitcnt lgkmcnt(0)
	v_add_u32_e32 v14, v11, v10
	v_ashrrev_i32_e32 v15, 31, v14
	v_lshlrev_b64 v[14:15], 2, v[14:15]
	v_add_co_u32_e64 v14, s[2:3], s16, v14
	v_addc_co_u32_e64 v15, s[2:3], v13, v15, s[2:3]
	global_load_dword v13, v[14:15], off
	v_mbcnt_lo_u32_b32 v11, -1, 0
	v_mbcnt_hi_u32_b32 v11, -1, v11
	v_and_b32_e32 v14, 15, v11
	v_cmp_ne_u32_e64 s[2:3], 0, v14
	s_waitcnt vmcnt(0)
	v_mov_b32_dpp v15, v13 row_shr:1 row_mask:0xf bank_mask:0xf
	s_and_saveexec_b64 s[8:9], s[2:3]
	s_cbranch_execz .LBB6608_96
; %bb.95:
	v_add_u32_e32 v24, v15, v13
	v_ashrrev_i32_e32 v25, 31, v24
	v_lshlrev_b64 v[24:25], 2, v[24:25]
	v_mov_b32_e32 v13, s17
	v_add_co_u32_e64 v24, s[2:3], s16, v24
	v_addc_co_u32_e64 v25, s[2:3], v13, v25, s[2:3]
	global_load_dword v13, v[24:25], off
.LBB6608_96:
	s_or_b64 exec, exec, s[8:9]
	s_waitcnt vmcnt(0)
	v_mov_b32_dpp v15, v13 row_shr:2 row_mask:0xf bank_mask:0xf
	v_cmp_lt_u32_e64 s[2:3], 1, v14
	s_and_saveexec_b64 s[8:9], s[2:3]
	s_cbranch_execz .LBB6608_98
; %bb.97:
	v_add_u32_e32 v24, v15, v13
	v_ashrrev_i32_e32 v25, 31, v24
	v_lshlrev_b64 v[24:25], 2, v[24:25]
	v_mov_b32_e32 v13, s17
	v_add_co_u32_e64 v24, s[2:3], s16, v24
	v_addc_co_u32_e64 v25, s[2:3], v13, v25, s[2:3]
	global_load_dword v13, v[24:25], off
.LBB6608_98:
	s_or_b64 exec, exec, s[8:9]
	s_waitcnt vmcnt(0)
	v_mov_b32_dpp v15, v13 row_shr:4 row_mask:0xf bank_mask:0xf
	v_cmp_lt_u32_e64 s[2:3], 3, v14
	;; [unrolled: 15-line block ×3, first 2 shown]
	s_and_saveexec_b64 s[8:9], s[2:3]
	s_cbranch_execz .LBB6608_102
; %bb.101:
	v_add_u32_e32 v14, v15, v13
	v_ashrrev_i32_e32 v15, 31, v14
	v_lshlrev_b64 v[14:15], 2, v[14:15]
	v_mov_b32_e32 v13, s17
	v_add_co_u32_e64 v14, s[2:3], s16, v14
	v_addc_co_u32_e64 v15, s[2:3], v13, v15, s[2:3]
	global_load_dword v13, v[14:15], off
.LBB6608_102:
	s_or_b64 exec, exec, s[8:9]
	v_and_b32_e32 v15, 16, v11
	s_waitcnt vmcnt(0)
	v_mov_b32_dpp v14, v13 row_bcast:15 row_mask:0xf bank_mask:0xf
	v_cmp_ne_u32_e64 s[2:3], 0, v15
	s_and_saveexec_b64 s[8:9], s[2:3]
	s_cbranch_execz .LBB6608_104
; %bb.103:
	v_add_u32_e32 v14, v14, v13
	v_ashrrev_i32_e32 v15, 31, v14
	v_lshlrev_b64 v[14:15], 2, v[14:15]
	v_mov_b32_e32 v13, s17
	v_add_co_u32_e64 v14, s[2:3], s16, v14
	v_addc_co_u32_e64 v15, s[2:3], v13, v15, s[2:3]
	global_load_dword v13, v[14:15], off
.LBB6608_104:
	s_or_b64 exec, exec, s[8:9]
	s_waitcnt vmcnt(0)
	v_mov_b32_dpp v14, v13 row_bcast:31 row_mask:0xf bank_mask:0xf
	v_cmp_lt_u32_e64 s[2:3], 31, v11
	s_and_saveexec_b64 s[8:9], s[2:3]
	s_cbranch_execz .LBB6608_106
; %bb.105:
	v_add_u32_e32 v14, v14, v13
	v_ashrrev_i32_e32 v15, 31, v14
	v_lshlrev_b64 v[14:15], 2, v[14:15]
	v_mov_b32_e32 v13, s17
	v_add_co_u32_e64 v14, s[2:3], s16, v14
	v_addc_co_u32_e64 v15, s[2:3], v13, v15, s[2:3]
	global_load_dword v13, v[14:15], off
.LBB6608_106:
	s_or_b64 exec, exec, s[8:9]
	v_add_u32_e32 v14, -1, v11
	v_and_b32_e32 v15, 64, v11
	v_cmp_lt_i32_e64 s[2:3], v14, v15
	v_cndmask_b32_e64 v11, v14, v11, s[2:3]
	v_lshlrev_b32_e32 v11, 2, v11
	s_waitcnt vmcnt(0)
	ds_bpermute_b32 v11, v11, v13
	v_mov_b32_e32 v13, s17
	s_waitcnt lgkmcnt(0)
	v_add_u32_e32 v10, v11, v10
	v_ashrrev_i32_e32 v11, 31, v10
	v_lshlrev_b64 v[10:11], 2, v[10:11]
	v_add_co_u32_e64 v10, s[2:3], s16, v10
	v_addc_co_u32_e64 v11, s[2:3], v13, v11, s[2:3]
	global_load_dword v10, v[10:11], off
	; wave barrier
	s_waitcnt vmcnt(0)
	v_cndmask_b32_e64 v10, v10, v7, s[0:1]
	ds_write_b32 v12, v10
	; wave barrier
	ds_read_b32 v11, v12 offset:4
	s_waitcnt lgkmcnt(0)
	v_add_u32_e32 v10, v11, v10
	v_ashrrev_i32_e32 v11, 31, v10
	v_lshlrev_b64 v[10:11], 2, v[10:11]
	v_add_co_u32_e64 v10, s[0:1], s16, v10
	v_addc_co_u32_e64 v11, s[0:1], v13, v11, s[0:1]
	global_load_dword v10, v[10:11], off
	s_waitcnt vmcnt(0)
	ds_write_b32 v12, v10 offset:4
.LBB6608_107:
	s_or_b64 exec, exec, s[4:5]
	s_waitcnt lgkmcnt(0)
	s_barrier
	s_and_saveexec_b64 s[0:1], vcc
	s_cbranch_execz .LBB6608_109
; %bb.108:
	v_add_u32_e32 v7, -1, v0
	v_lshrrev_b32_e32 v10, 5, v7
	v_add_lshl_u32 v7, v10, v7, 2
	ds_read_b32 v7, v7
.LBB6608_109:
	s_or_b64 exec, exec, s[0:1]
	s_and_saveexec_b64 s[0:1], vcc
	s_cbranch_execz .LBB6608_111
; %bb.110:
	s_waitcnt lgkmcnt(0)
	v_add_u32_e32 v6, v7, v2
	v_ashrrev_i32_e32 v7, 31, v6
	v_lshlrev_b64 v[6:7], 2, v[6:7]
	v_mov_b32_e32 v2, s17
	v_add_co_u32_e32 v6, vcc, s16, v6
	v_addc_co_u32_e32 v7, vcc, v2, v7, vcc
	global_load_dword v6, v[6:7], off
	;;#ASMSTART
	;;#ASMEND
	s_waitcnt vmcnt(0)
	v_add_u32_e32 v8, v6, v3
	v_ashrrev_i32_e32 v9, 31, v8
.LBB6608_111:
	s_or_b64 exec, exec, s[0:1]
	v_lshlrev_b64 v[2:3], 2, v[8:9]
	s_waitcnt lgkmcnt(0)
	v_mov_b32_e32 v7, s17
	v_add_co_u32_e32 v2, vcc, s16, v2
	v_addc_co_u32_e32 v3, vcc, v7, v3, vcc
	global_load_dword v7, v[2:3], off
	v_mov_b32_e32 v8, s17
	s_movk_i32 s0, 0x7f
	s_waitcnt vmcnt(0)
	v_add_u32_e32 v2, v7, v4
	v_ashrrev_i32_e32 v3, 31, v2
	v_lshlrev_b64 v[2:3], 2, v[2:3]
	v_add_co_u32_e32 v2, vcc, s16, v2
	v_addc_co_u32_e32 v3, vcc, v8, v3, vcc
	global_load_dword v8, v[2:3], off
	v_mov_b32_e32 v4, s17
	s_waitcnt vmcnt(0)
	v_add_u32_e32 v2, v8, v5
	v_ashrrev_i32_e32 v3, 31, v2
	v_lshlrev_b64 v[2:3], 2, v[2:3]
	v_add_co_u32_e32 v2, vcc, s16, v2
	v_addc_co_u32_e32 v3, vcc, v4, v3, vcc
	global_load_dword v9, v[2:3], off
	s_waitcnt vmcnt(0)
	v_add_u32_e32 v2, v9, v16
	v_ashrrev_i32_e32 v3, 31, v2
	v_lshlrev_b64 v[2:3], 2, v[2:3]
	v_add_co_u32_e32 v2, vcc, s16, v2
	v_addc_co_u32_e32 v3, vcc, v4, v3, vcc
	global_load_dword v10, v[2:3], off
	;; [unrolled: 7-line block ×7, first 2 shown]
	v_cmp_eq_u32_e32 vcc, s0, v0
	s_and_saveexec_b64 s[0:1], vcc
	s_cbranch_execz .LBB6608_113
; %bb.112:
	v_mov_b32_e32 v4, 0
	v_mov_b32_e32 v3, 2
	s_waitcnt vmcnt(0)
	v_mov_b32_e32 v2, v15
	global_store_dwordx2 v4, v[2:3], s[18:19] offset:512
.LBB6608_113:
	s_or_b64 exec, exec, s[0:1]
.LBB6608_114:
	s_add_u32 s0, s12, s20
	s_addc_u32 s1, s13, s21
	s_add_u32 s2, s0, s22
	s_addc_u32 s3, s1, s23
	s_mov_b64 s[0:1], -1
	s_and_b64 vcc, exec, s[14:15]
	s_waitcnt lgkmcnt(0)
	s_barrier
	s_cbranch_vccz .LBB6608_116
; %bb.115:
	ds_write2_b64 v1, v[6:7], v[8:9] offset1:1
	ds_write2_b64 v1, v[10:11], v[12:13] offset0:2 offset1:3
	s_waitcnt vmcnt(0)
	ds_write_b64 v1, v[14:15] offset:32
	s_waitcnt lgkmcnt(0)
	s_barrier
	ds_read2st64_b32 v[2:3], v22 offset1:2
	ds_read2st64_b32 v[4:5], v22 offset0:4 offset1:6
	ds_read2st64_b32 v[16:17], v22 offset0:8 offset1:10
	ds_read2st64_b32 v[18:19], v22 offset0:12 offset1:14
	ds_read2st64_b32 v[20:21], v22 offset0:16 offset1:18
	v_mov_b32_e32 v25, s3
	v_add_co_u32_e32 v24, vcc, s2, v22
	v_addc_co_u32_e32 v25, vcc, 0, v25, vcc
	s_waitcnt lgkmcnt(4)
	flat_store_dword v[24:25], v2
	flat_store_dword v[24:25], v3 offset:512
	s_waitcnt lgkmcnt(0)
	flat_store_dword v[24:25], v4 offset:1024
	flat_store_dword v[24:25], v5 offset:1536
	;; [unrolled: 1-line block ×6, first 2 shown]
	v_add_co_u32_e32 v2, vcc, 0x1000, v24
	v_addc_co_u32_e32 v3, vcc, 0, v25, vcc
	flat_store_dword v[2:3], v20
	flat_store_dword v[2:3], v21 offset:512
	s_mov_b64 s[0:1], 0
.LBB6608_116:
	s_andn2_b64 vcc, exec, s[0:1]
	s_cbranch_vccnz .LBB6608_172
; %bb.117:
	ds_write2_b64 v1, v[6:7], v[8:9] offset1:1
	ds_write2_b64 v1, v[10:11], v[12:13] offset0:2 offset1:3
	s_waitcnt vmcnt(0)
	ds_write_b64 v1, v[14:15] offset:32
	s_waitcnt lgkmcnt(0)
	s_barrier
	ds_read2st64_b32 v[2:3], v22 offset1:2
	ds_read2st64_b32 v[6:7], v22 offset0:4 offset1:6
	ds_read2st64_b32 v[4:5], v22 offset0:8 offset1:10
	;; [unrolled: 1-line block ×4, first 2 shown]
	v_mov_b32_e32 v13, s3
	v_add_co_u32_e32 v12, vcc, s2, v22
	v_addc_co_u32_e32 v13, vcc, 0, v13, vcc
	v_mov_b32_e32 v1, 0
	v_cmp_gt_u32_e32 vcc, s33, v0
	s_and_saveexec_b64 s[0:1], vcc
	s_cbranch_execz .LBB6608_119
; %bb.118:
	s_waitcnt lgkmcnt(4)
	flat_store_dword v[12:13], v2
.LBB6608_119:
	s_or_b64 exec, exec, s[0:1]
	v_or_b32_e32 v14, 0x80, v0
	v_cmp_gt_u32_e32 vcc, s33, v14
	s_and_saveexec_b64 s[0:1], vcc
	s_cbranch_execz .LBB6608_121
; %bb.120:
	s_waitcnt lgkmcnt(0)
	flat_store_dword v[12:13], v3 offset:512
.LBB6608_121:
	s_or_b64 exec, exec, s[0:1]
	v_or_b32_e32 v14, 0x100, v0
	v_cmp_gt_u32_e32 vcc, s33, v14
	s_and_saveexec_b64 s[0:1], vcc
	s_cbranch_execz .LBB6608_123
; %bb.122:
	s_waitcnt lgkmcnt(0)
	flat_store_dword v[12:13], v6 offset:1024
.LBB6608_123:
	;; [unrolled: 9-line block ×7, first 2 shown]
	s_or_b64 exec, exec, s[0:1]
	v_or_b32_e32 v14, 0x400, v0
	v_cmp_gt_u32_e32 vcc, s33, v14
	s_and_saveexec_b64 s[0:1], vcc
	s_cbranch_execz .LBB6608_135
; %bb.134:
	v_add_co_u32_e32 v14, vcc, 0x1000, v12
	v_addc_co_u32_e32 v15, vcc, 0, v13, vcc
	s_waitcnt lgkmcnt(0)
	flat_store_dword v[14:15], v10
.LBB6608_135:
	s_or_b64 exec, exec, s[0:1]
	v_or_b32_e32 v14, 0x480, v0
	v_cmp_gt_u32_e32 vcc, s33, v14
	s_and_saveexec_b64 s[0:1], vcc
	s_cbranch_execz .LBB6608_137
; %bb.136:
	v_add_co_u32_e32 v12, vcc, 0x1000, v12
	v_addc_co_u32_e32 v13, vcc, 0, v13, vcc
	s_waitcnt lgkmcnt(0)
	flat_store_dword v[12:13], v11 offset:512
.LBB6608_137:
	s_or_b64 exec, exec, s[0:1]
	v_cmp_lt_u64_e64 s[0:1], s[10:11], 2
	s_and_b64 vcc, exec, s[0:1]
	s_cbranch_vccnz .LBB6608_172
; %bb.138:
	s_add_u32 s0, s33, -1
	s_addc_u32 s1, s36, -1
	s_add_u32 s2, 0, 0x99986000
	s_addc_u32 s3, 0, 0x59
	s_add_i32 s3, s3, 0x19999940
	s_mul_hi_u32 s9, s2, -10
	s_sub_i32 s9, s9, s2
	s_mul_i32 s10, s3, -10
	s_mul_i32 s4, s2, -10
	s_add_i32 s9, s9, s10
	s_mul_hi_u32 s5, s3, s4
	s_mul_i32 s8, s3, s4
	s_mul_i32 s11, s2, s9
	s_mul_hi_u32 s4, s2, s4
	s_mul_hi_u32 s10, s2, s9
	s_add_u32 s4, s4, s11
	s_addc_u32 s10, 0, s10
	s_add_u32 s4, s4, s8
	s_mul_hi_u32 s11, s3, s9
	s_addc_u32 s4, s10, s5
	s_addc_u32 s5, s11, 0
	s_mul_i32 s8, s3, s9
	s_add_u32 s4, s4, s8
	v_mov_b32_e32 v12, s4
	s_addc_u32 s5, 0, s5
	v_add_co_u32_e32 v12, vcc, s2, v12
	s_cmp_lg_u64 vcc, 0
	s_addc_u32 s2, s3, s5
	v_readfirstlane_b32 s5, v12
	s_mul_i32 s4, s0, s2
	s_mul_hi_u32 s8, s0, s5
	s_mul_hi_u32 s3, s0, s2
	s_add_u32 s4, s8, s4
	s_addc_u32 s3, 0, s3
	s_mul_hi_u32 s9, s1, s5
	s_mul_i32 s5, s1, s5
	s_add_u32 s4, s4, s5
	s_mul_hi_u32 s8, s1, s2
	s_addc_u32 s3, s3, s9
	s_addc_u32 s4, s8, 0
	s_mul_i32 s2, s1, s2
	s_add_u32 s2, s3, s2
	s_addc_u32 s3, 0, s4
	s_add_u32 s4, s2, 1
	s_addc_u32 s5, s3, 0
	s_add_u32 s8, s2, 2
	s_mul_i32 s10, s3, 10
	s_mul_hi_u32 s11, s2, 10
	s_addc_u32 s9, s3, 0
	s_add_i32 s11, s11, s10
	s_mul_i32 s10, s2, 10
	v_mov_b32_e32 v12, s10
	v_sub_co_u32_e32 v12, vcc, s0, v12
	s_cmp_lg_u64 vcc, 0
	s_subb_u32 s10, s1, s11
	v_subrev_co_u32_e32 v13, vcc, 10, v12
	s_cmp_lg_u64 vcc, 0
	s_subb_u32 s11, s10, 0
	v_readfirstlane_b32 s12, v13
	s_cmp_gt_u32 s12, 9
	s_cselect_b32 s12, -1, 0
	s_cmp_eq_u32 s11, 0
	s_cselect_b32 s11, s12, -1
	s_cmp_lg_u32 s11, 0
	s_cselect_b32 s4, s8, s4
	v_readfirstlane_b32 s8, v12
	s_cselect_b32 s5, s9, s5
	s_cmp_gt_u32 s8, 9
	s_cselect_b32 s8, -1, 0
	s_cmp_eq_u32 s10, 0
	s_cselect_b32 s8, s8, -1
	s_cmp_lg_u32 s8, 0
	s_cselect_b32 s3, s5, s3
	s_cselect_b32 s2, s4, s2
	v_cmp_eq_u64_e32 vcc, s[2:3], v[0:1]
	s_and_saveexec_b64 s[2:3], vcc
	s_cbranch_execz .LBB6608_172
; %bb.139:
	v_mul_hi_u32_u24_e32 v1, 10, v0
	v_mov_b32_e32 v12, s1
	v_sub_co_u32_e32 v0, vcc, s0, v23
	v_subb_co_u32_e32 v1, vcc, v12, v1, vcc
	v_cmp_lt_i64_e32 vcc, 4, v[0:1]
	s_and_saveexec_b64 s[0:1], vcc
	s_xor_b64 s[0:1], exec, s[0:1]
	s_cbranch_execz .LBB6608_157
; %bb.140:
	v_cmp_lt_i64_e32 vcc, 6, v[0:1]
	s_and_saveexec_b64 s[2:3], vcc
	s_xor_b64 s[2:3], exec, s[2:3]
	s_cbranch_execz .LBB6608_150
; %bb.141:
	;; [unrolled: 5-line block ×4, first 2 shown]
	v_mov_b32_e32 v0, 0
	s_waitcnt lgkmcnt(0)
	global_store_dword v0, v11, s[6:7]
                                        ; implicit-def: $vgpr10_vgpr11
.LBB6608_144:
	s_andn2_saveexec_b64 s[8:9], s[8:9]
	s_cbranch_execz .LBB6608_146
; %bb.145:
	v_mov_b32_e32 v0, 0
	s_waitcnt lgkmcnt(0)
	global_store_dword v0, v10, s[6:7]
.LBB6608_146:
	s_or_b64 exec, exec, s[8:9]
                                        ; implicit-def: $vgpr8_vgpr9
.LBB6608_147:
	s_andn2_saveexec_b64 s[4:5], s[4:5]
	s_cbranch_execz .LBB6608_149
; %bb.148:
	v_mov_b32_e32 v0, 0
	s_waitcnt lgkmcnt(0)
	global_store_dword v0, v9, s[6:7]
.LBB6608_149:
	s_or_b64 exec, exec, s[4:5]
                                        ; implicit-def: $vgpr4_vgpr5
                                        ; implicit-def: $vgpr0_vgpr1
                                        ; implicit-def: $vgpr8_vgpr9
.LBB6608_150:
	s_andn2_saveexec_b64 s[2:3], s[2:3]
	s_cbranch_execz .LBB6608_156
; %bb.151:
	v_cmp_lt_i64_e32 vcc, 5, v[0:1]
	s_and_saveexec_b64 s[4:5], vcc
	s_xor_b64 s[4:5], exec, s[4:5]
	s_cbranch_execz .LBB6608_153
; %bb.152:
	v_mov_b32_e32 v0, 0
	s_waitcnt lgkmcnt(0)
	global_store_dword v0, v8, s[6:7]
                                        ; implicit-def: $vgpr4_vgpr5
.LBB6608_153:
	s_andn2_saveexec_b64 s[4:5], s[4:5]
	s_cbranch_execz .LBB6608_155
; %bb.154:
	v_mov_b32_e32 v0, 0
	s_waitcnt lgkmcnt(0)
	global_store_dword v0, v5, s[6:7]
.LBB6608_155:
	s_or_b64 exec, exec, s[4:5]
.LBB6608_156:
	s_or_b64 exec, exec, s[2:3]
                                        ; implicit-def: $vgpr0_vgpr1
                                        ; implicit-def: $vgpr6_vgpr7
                                        ; implicit-def: $vgpr2_vgpr3
                                        ; implicit-def: $vgpr4_vgpr5
.LBB6608_157:
	s_andn2_saveexec_b64 s[0:1], s[0:1]
	s_cbranch_execz .LBB6608_172
; %bb.158:
	v_cmp_lt_i64_e32 vcc, 2, v[0:1]
	s_and_saveexec_b64 s[0:1], vcc
	s_xor_b64 s[0:1], exec, s[0:1]
	s_cbranch_execz .LBB6608_164
; %bb.159:
	v_cmp_lt_i64_e32 vcc, 3, v[0:1]
	s_and_saveexec_b64 s[2:3], vcc
	s_xor_b64 s[2:3], exec, s[2:3]
	s_cbranch_execz .LBB6608_161
; %bb.160:
	v_mov_b32_e32 v0, 0
	s_waitcnt lgkmcnt(0)
	global_store_dword v0, v4, s[6:7]
                                        ; implicit-def: $vgpr6_vgpr7
.LBB6608_161:
	s_andn2_saveexec_b64 s[2:3], s[2:3]
	s_cbranch_execz .LBB6608_163
; %bb.162:
	v_mov_b32_e32 v0, 0
	s_waitcnt lgkmcnt(0)
	global_store_dword v0, v7, s[6:7]
.LBB6608_163:
	s_or_b64 exec, exec, s[2:3]
                                        ; implicit-def: $vgpr0_vgpr1
                                        ; implicit-def: $vgpr6_vgpr7
                                        ; implicit-def: $vgpr2_vgpr3
.LBB6608_164:
	s_andn2_saveexec_b64 s[0:1], s[0:1]
	s_cbranch_execz .LBB6608_172
; %bb.165:
	v_cmp_lt_i64_e32 vcc, 1, v[0:1]
	s_and_saveexec_b64 s[0:1], vcc
	s_xor_b64 s[0:1], exec, s[0:1]
	s_cbranch_execz .LBB6608_167
; %bb.166:
	v_mov_b32_e32 v0, 0
	s_waitcnt lgkmcnt(0)
	global_store_dword v0, v6, s[6:7]
                                        ; implicit-def: $vgpr2_vgpr3
                                        ; implicit-def: $vgpr0_vgpr1
.LBB6608_167:
	s_andn2_saveexec_b64 s[0:1], s[0:1]
	s_cbranch_execz .LBB6608_172
; %bb.168:
	v_cmp_ne_u64_e32 vcc, 1, v[0:1]
	s_and_saveexec_b64 s[0:1], vcc
	s_xor_b64 s[0:1], exec, s[0:1]
	s_cbranch_execz .LBB6608_170
; %bb.169:
	v_mov_b32_e32 v0, 0
	s_waitcnt lgkmcnt(0)
	global_store_dword v0, v2, s[6:7]
                                        ; implicit-def: $vgpr2_vgpr3
.LBB6608_170:
	s_andn2_saveexec_b64 s[0:1], s[0:1]
	s_cbranch_execz .LBB6608_172
; %bb.171:
	v_mov_b32_e32 v0, 0
	s_waitcnt lgkmcnt(0)
	global_store_dword v0, v3, s[6:7]
.LBB6608_172:
	s_endpgm
	.section	.rodata,"a",@progbits
	.p2align	6, 0x0
	.amdhsa_kernel _ZN7rocprim17ROCPRIM_400000_NS6detail17trampoline_kernelINS0_14default_configENS1_20scan_config_selectorIiEEZZNS1_9scan_implILNS1_25lookback_scan_determinismE0ELb0ELb0ES3_N6thrust23THRUST_200600_302600_NS6detail15normal_iteratorINS9_10device_ptrIiEEEESE_i9plus_mod3IiEiEEDaPvRmT3_T4_T5_mT6_P12ihipStream_tbENKUlT_T0_E_clISt17integral_constantIbLb0EESU_EEDaSP_SQ_EUlSP_E_NS1_11comp_targetILNS1_3genE4ELNS1_11target_archE910ELNS1_3gpuE8ELNS1_3repE0EEENS1_30default_config_static_selectorELNS0_4arch9wavefront6targetE1EEEvT1_
		.amdhsa_group_segment_fixed_size 5120
		.amdhsa_private_segment_fixed_size 0
		.amdhsa_kernarg_size 104
		.amdhsa_user_sgpr_count 6
		.amdhsa_user_sgpr_private_segment_buffer 1
		.amdhsa_user_sgpr_dispatch_ptr 0
		.amdhsa_user_sgpr_queue_ptr 0
		.amdhsa_user_sgpr_kernarg_segment_ptr 1
		.amdhsa_user_sgpr_dispatch_id 0
		.amdhsa_user_sgpr_flat_scratch_init 0
		.amdhsa_user_sgpr_kernarg_preload_length 0
		.amdhsa_user_sgpr_kernarg_preload_offset 0
		.amdhsa_user_sgpr_private_segment_size 0
		.amdhsa_uses_dynamic_stack 0
		.amdhsa_system_sgpr_private_segment_wavefront_offset 0
		.amdhsa_system_sgpr_workgroup_id_x 1
		.amdhsa_system_sgpr_workgroup_id_y 0
		.amdhsa_system_sgpr_workgroup_id_z 0
		.amdhsa_system_sgpr_workgroup_info 0
		.amdhsa_system_vgpr_workitem_id 0
		.amdhsa_next_free_vgpr 42
		.amdhsa_next_free_sgpr 40
		.amdhsa_accum_offset 44
		.amdhsa_reserve_vcc 1
		.amdhsa_reserve_flat_scratch 0
		.amdhsa_float_round_mode_32 0
		.amdhsa_float_round_mode_16_64 0
		.amdhsa_float_denorm_mode_32 3
		.amdhsa_float_denorm_mode_16_64 3
		.amdhsa_dx10_clamp 1
		.amdhsa_ieee_mode 1
		.amdhsa_fp16_overflow 0
		.amdhsa_tg_split 0
		.amdhsa_exception_fp_ieee_invalid_op 0
		.amdhsa_exception_fp_denorm_src 0
		.amdhsa_exception_fp_ieee_div_zero 0
		.amdhsa_exception_fp_ieee_overflow 0
		.amdhsa_exception_fp_ieee_underflow 0
		.amdhsa_exception_fp_ieee_inexact 0
		.amdhsa_exception_int_div_zero 0
	.end_amdhsa_kernel
	.section	.text._ZN7rocprim17ROCPRIM_400000_NS6detail17trampoline_kernelINS0_14default_configENS1_20scan_config_selectorIiEEZZNS1_9scan_implILNS1_25lookback_scan_determinismE0ELb0ELb0ES3_N6thrust23THRUST_200600_302600_NS6detail15normal_iteratorINS9_10device_ptrIiEEEESE_i9plus_mod3IiEiEEDaPvRmT3_T4_T5_mT6_P12ihipStream_tbENKUlT_T0_E_clISt17integral_constantIbLb0EESU_EEDaSP_SQ_EUlSP_E_NS1_11comp_targetILNS1_3genE4ELNS1_11target_archE910ELNS1_3gpuE8ELNS1_3repE0EEENS1_30default_config_static_selectorELNS0_4arch9wavefront6targetE1EEEvT1_,"axG",@progbits,_ZN7rocprim17ROCPRIM_400000_NS6detail17trampoline_kernelINS0_14default_configENS1_20scan_config_selectorIiEEZZNS1_9scan_implILNS1_25lookback_scan_determinismE0ELb0ELb0ES3_N6thrust23THRUST_200600_302600_NS6detail15normal_iteratorINS9_10device_ptrIiEEEESE_i9plus_mod3IiEiEEDaPvRmT3_T4_T5_mT6_P12ihipStream_tbENKUlT_T0_E_clISt17integral_constantIbLb0EESU_EEDaSP_SQ_EUlSP_E_NS1_11comp_targetILNS1_3genE4ELNS1_11target_archE910ELNS1_3gpuE8ELNS1_3repE0EEENS1_30default_config_static_selectorELNS0_4arch9wavefront6targetE1EEEvT1_,comdat
.Lfunc_end6608:
	.size	_ZN7rocprim17ROCPRIM_400000_NS6detail17trampoline_kernelINS0_14default_configENS1_20scan_config_selectorIiEEZZNS1_9scan_implILNS1_25lookback_scan_determinismE0ELb0ELb0ES3_N6thrust23THRUST_200600_302600_NS6detail15normal_iteratorINS9_10device_ptrIiEEEESE_i9plus_mod3IiEiEEDaPvRmT3_T4_T5_mT6_P12ihipStream_tbENKUlT_T0_E_clISt17integral_constantIbLb0EESU_EEDaSP_SQ_EUlSP_E_NS1_11comp_targetILNS1_3genE4ELNS1_11target_archE910ELNS1_3gpuE8ELNS1_3repE0EEENS1_30default_config_static_selectorELNS0_4arch9wavefront6targetE1EEEvT1_, .Lfunc_end6608-_ZN7rocprim17ROCPRIM_400000_NS6detail17trampoline_kernelINS0_14default_configENS1_20scan_config_selectorIiEEZZNS1_9scan_implILNS1_25lookback_scan_determinismE0ELb0ELb0ES3_N6thrust23THRUST_200600_302600_NS6detail15normal_iteratorINS9_10device_ptrIiEEEESE_i9plus_mod3IiEiEEDaPvRmT3_T4_T5_mT6_P12ihipStream_tbENKUlT_T0_E_clISt17integral_constantIbLb0EESU_EEDaSP_SQ_EUlSP_E_NS1_11comp_targetILNS1_3genE4ELNS1_11target_archE910ELNS1_3gpuE8ELNS1_3repE0EEENS1_30default_config_static_selectorELNS0_4arch9wavefront6targetE1EEEvT1_
                                        ; -- End function
	.section	.AMDGPU.csdata,"",@progbits
; Kernel info:
; codeLenInByte = 7528
; NumSgprs: 44
; NumVgprs: 42
; NumAgprs: 0
; TotalNumVgprs: 42
; ScratchSize: 0
; MemoryBound: 0
; FloatMode: 240
; IeeeMode: 1
; LDSByteSize: 5120 bytes/workgroup (compile time only)
; SGPRBlocks: 5
; VGPRBlocks: 5
; NumSGPRsForWavesPerEU: 44
; NumVGPRsForWavesPerEU: 42
; AccumOffset: 44
; Occupancy: 6
; WaveLimiterHint : 1
; COMPUTE_PGM_RSRC2:SCRATCH_EN: 0
; COMPUTE_PGM_RSRC2:USER_SGPR: 6
; COMPUTE_PGM_RSRC2:TRAP_HANDLER: 0
; COMPUTE_PGM_RSRC2:TGID_X_EN: 1
; COMPUTE_PGM_RSRC2:TGID_Y_EN: 0
; COMPUTE_PGM_RSRC2:TGID_Z_EN: 0
; COMPUTE_PGM_RSRC2:TIDIG_COMP_CNT: 0
; COMPUTE_PGM_RSRC3_GFX90A:ACCUM_OFFSET: 10
; COMPUTE_PGM_RSRC3_GFX90A:TG_SPLIT: 0
	.section	.text._ZN7rocprim17ROCPRIM_400000_NS6detail17trampoline_kernelINS0_14default_configENS1_20scan_config_selectorIiEEZZNS1_9scan_implILNS1_25lookback_scan_determinismE0ELb0ELb0ES3_N6thrust23THRUST_200600_302600_NS6detail15normal_iteratorINS9_10device_ptrIiEEEESE_i9plus_mod3IiEiEEDaPvRmT3_T4_T5_mT6_P12ihipStream_tbENKUlT_T0_E_clISt17integral_constantIbLb0EESU_EEDaSP_SQ_EUlSP_E_NS1_11comp_targetILNS1_3genE3ELNS1_11target_archE908ELNS1_3gpuE7ELNS1_3repE0EEENS1_30default_config_static_selectorELNS0_4arch9wavefront6targetE1EEEvT1_,"axG",@progbits,_ZN7rocprim17ROCPRIM_400000_NS6detail17trampoline_kernelINS0_14default_configENS1_20scan_config_selectorIiEEZZNS1_9scan_implILNS1_25lookback_scan_determinismE0ELb0ELb0ES3_N6thrust23THRUST_200600_302600_NS6detail15normal_iteratorINS9_10device_ptrIiEEEESE_i9plus_mod3IiEiEEDaPvRmT3_T4_T5_mT6_P12ihipStream_tbENKUlT_T0_E_clISt17integral_constantIbLb0EESU_EEDaSP_SQ_EUlSP_E_NS1_11comp_targetILNS1_3genE3ELNS1_11target_archE908ELNS1_3gpuE7ELNS1_3repE0EEENS1_30default_config_static_selectorELNS0_4arch9wavefront6targetE1EEEvT1_,comdat
	.protected	_ZN7rocprim17ROCPRIM_400000_NS6detail17trampoline_kernelINS0_14default_configENS1_20scan_config_selectorIiEEZZNS1_9scan_implILNS1_25lookback_scan_determinismE0ELb0ELb0ES3_N6thrust23THRUST_200600_302600_NS6detail15normal_iteratorINS9_10device_ptrIiEEEESE_i9plus_mod3IiEiEEDaPvRmT3_T4_T5_mT6_P12ihipStream_tbENKUlT_T0_E_clISt17integral_constantIbLb0EESU_EEDaSP_SQ_EUlSP_E_NS1_11comp_targetILNS1_3genE3ELNS1_11target_archE908ELNS1_3gpuE7ELNS1_3repE0EEENS1_30default_config_static_selectorELNS0_4arch9wavefront6targetE1EEEvT1_ ; -- Begin function _ZN7rocprim17ROCPRIM_400000_NS6detail17trampoline_kernelINS0_14default_configENS1_20scan_config_selectorIiEEZZNS1_9scan_implILNS1_25lookback_scan_determinismE0ELb0ELb0ES3_N6thrust23THRUST_200600_302600_NS6detail15normal_iteratorINS9_10device_ptrIiEEEESE_i9plus_mod3IiEiEEDaPvRmT3_T4_T5_mT6_P12ihipStream_tbENKUlT_T0_E_clISt17integral_constantIbLb0EESU_EEDaSP_SQ_EUlSP_E_NS1_11comp_targetILNS1_3genE3ELNS1_11target_archE908ELNS1_3gpuE7ELNS1_3repE0EEENS1_30default_config_static_selectorELNS0_4arch9wavefront6targetE1EEEvT1_
	.globl	_ZN7rocprim17ROCPRIM_400000_NS6detail17trampoline_kernelINS0_14default_configENS1_20scan_config_selectorIiEEZZNS1_9scan_implILNS1_25lookback_scan_determinismE0ELb0ELb0ES3_N6thrust23THRUST_200600_302600_NS6detail15normal_iteratorINS9_10device_ptrIiEEEESE_i9plus_mod3IiEiEEDaPvRmT3_T4_T5_mT6_P12ihipStream_tbENKUlT_T0_E_clISt17integral_constantIbLb0EESU_EEDaSP_SQ_EUlSP_E_NS1_11comp_targetILNS1_3genE3ELNS1_11target_archE908ELNS1_3gpuE7ELNS1_3repE0EEENS1_30default_config_static_selectorELNS0_4arch9wavefront6targetE1EEEvT1_
	.p2align	8
	.type	_ZN7rocprim17ROCPRIM_400000_NS6detail17trampoline_kernelINS0_14default_configENS1_20scan_config_selectorIiEEZZNS1_9scan_implILNS1_25lookback_scan_determinismE0ELb0ELb0ES3_N6thrust23THRUST_200600_302600_NS6detail15normal_iteratorINS9_10device_ptrIiEEEESE_i9plus_mod3IiEiEEDaPvRmT3_T4_T5_mT6_P12ihipStream_tbENKUlT_T0_E_clISt17integral_constantIbLb0EESU_EEDaSP_SQ_EUlSP_E_NS1_11comp_targetILNS1_3genE3ELNS1_11target_archE908ELNS1_3gpuE7ELNS1_3repE0EEENS1_30default_config_static_selectorELNS0_4arch9wavefront6targetE1EEEvT1_,@function
_ZN7rocprim17ROCPRIM_400000_NS6detail17trampoline_kernelINS0_14default_configENS1_20scan_config_selectorIiEEZZNS1_9scan_implILNS1_25lookback_scan_determinismE0ELb0ELb0ES3_N6thrust23THRUST_200600_302600_NS6detail15normal_iteratorINS9_10device_ptrIiEEEESE_i9plus_mod3IiEiEEDaPvRmT3_T4_T5_mT6_P12ihipStream_tbENKUlT_T0_E_clISt17integral_constantIbLb0EESU_EEDaSP_SQ_EUlSP_E_NS1_11comp_targetILNS1_3genE3ELNS1_11target_archE908ELNS1_3gpuE7ELNS1_3repE0EEENS1_30default_config_static_selectorELNS0_4arch9wavefront6targetE1EEEvT1_: ; @_ZN7rocprim17ROCPRIM_400000_NS6detail17trampoline_kernelINS0_14default_configENS1_20scan_config_selectorIiEEZZNS1_9scan_implILNS1_25lookback_scan_determinismE0ELb0ELb0ES3_N6thrust23THRUST_200600_302600_NS6detail15normal_iteratorINS9_10device_ptrIiEEEESE_i9plus_mod3IiEiEEDaPvRmT3_T4_T5_mT6_P12ihipStream_tbENKUlT_T0_E_clISt17integral_constantIbLb0EESU_EEDaSP_SQ_EUlSP_E_NS1_11comp_targetILNS1_3genE3ELNS1_11target_archE908ELNS1_3gpuE7ELNS1_3repE0EEENS1_30default_config_static_selectorELNS0_4arch9wavefront6targetE1EEEvT1_
; %bb.0:
	.section	.rodata,"a",@progbits
	.p2align	6, 0x0
	.amdhsa_kernel _ZN7rocprim17ROCPRIM_400000_NS6detail17trampoline_kernelINS0_14default_configENS1_20scan_config_selectorIiEEZZNS1_9scan_implILNS1_25lookback_scan_determinismE0ELb0ELb0ES3_N6thrust23THRUST_200600_302600_NS6detail15normal_iteratorINS9_10device_ptrIiEEEESE_i9plus_mod3IiEiEEDaPvRmT3_T4_T5_mT6_P12ihipStream_tbENKUlT_T0_E_clISt17integral_constantIbLb0EESU_EEDaSP_SQ_EUlSP_E_NS1_11comp_targetILNS1_3genE3ELNS1_11target_archE908ELNS1_3gpuE7ELNS1_3repE0EEENS1_30default_config_static_selectorELNS0_4arch9wavefront6targetE1EEEvT1_
		.amdhsa_group_segment_fixed_size 0
		.amdhsa_private_segment_fixed_size 0
		.amdhsa_kernarg_size 104
		.amdhsa_user_sgpr_count 6
		.amdhsa_user_sgpr_private_segment_buffer 1
		.amdhsa_user_sgpr_dispatch_ptr 0
		.amdhsa_user_sgpr_queue_ptr 0
		.amdhsa_user_sgpr_kernarg_segment_ptr 1
		.amdhsa_user_sgpr_dispatch_id 0
		.amdhsa_user_sgpr_flat_scratch_init 0
		.amdhsa_user_sgpr_kernarg_preload_length 0
		.amdhsa_user_sgpr_kernarg_preload_offset 0
		.amdhsa_user_sgpr_private_segment_size 0
		.amdhsa_uses_dynamic_stack 0
		.amdhsa_system_sgpr_private_segment_wavefront_offset 0
		.amdhsa_system_sgpr_workgroup_id_x 1
		.amdhsa_system_sgpr_workgroup_id_y 0
		.amdhsa_system_sgpr_workgroup_id_z 0
		.amdhsa_system_sgpr_workgroup_info 0
		.amdhsa_system_vgpr_workitem_id 0
		.amdhsa_next_free_vgpr 1
		.amdhsa_next_free_sgpr 0
		.amdhsa_accum_offset 4
		.amdhsa_reserve_vcc 0
		.amdhsa_reserve_flat_scratch 0
		.amdhsa_float_round_mode_32 0
		.amdhsa_float_round_mode_16_64 0
		.amdhsa_float_denorm_mode_32 3
		.amdhsa_float_denorm_mode_16_64 3
		.amdhsa_dx10_clamp 1
		.amdhsa_ieee_mode 1
		.amdhsa_fp16_overflow 0
		.amdhsa_tg_split 0
		.amdhsa_exception_fp_ieee_invalid_op 0
		.amdhsa_exception_fp_denorm_src 0
		.amdhsa_exception_fp_ieee_div_zero 0
		.amdhsa_exception_fp_ieee_overflow 0
		.amdhsa_exception_fp_ieee_underflow 0
		.amdhsa_exception_fp_ieee_inexact 0
		.amdhsa_exception_int_div_zero 0
	.end_amdhsa_kernel
	.section	.text._ZN7rocprim17ROCPRIM_400000_NS6detail17trampoline_kernelINS0_14default_configENS1_20scan_config_selectorIiEEZZNS1_9scan_implILNS1_25lookback_scan_determinismE0ELb0ELb0ES3_N6thrust23THRUST_200600_302600_NS6detail15normal_iteratorINS9_10device_ptrIiEEEESE_i9plus_mod3IiEiEEDaPvRmT3_T4_T5_mT6_P12ihipStream_tbENKUlT_T0_E_clISt17integral_constantIbLb0EESU_EEDaSP_SQ_EUlSP_E_NS1_11comp_targetILNS1_3genE3ELNS1_11target_archE908ELNS1_3gpuE7ELNS1_3repE0EEENS1_30default_config_static_selectorELNS0_4arch9wavefront6targetE1EEEvT1_,"axG",@progbits,_ZN7rocprim17ROCPRIM_400000_NS6detail17trampoline_kernelINS0_14default_configENS1_20scan_config_selectorIiEEZZNS1_9scan_implILNS1_25lookback_scan_determinismE0ELb0ELb0ES3_N6thrust23THRUST_200600_302600_NS6detail15normal_iteratorINS9_10device_ptrIiEEEESE_i9plus_mod3IiEiEEDaPvRmT3_T4_T5_mT6_P12ihipStream_tbENKUlT_T0_E_clISt17integral_constantIbLb0EESU_EEDaSP_SQ_EUlSP_E_NS1_11comp_targetILNS1_3genE3ELNS1_11target_archE908ELNS1_3gpuE7ELNS1_3repE0EEENS1_30default_config_static_selectorELNS0_4arch9wavefront6targetE1EEEvT1_,comdat
.Lfunc_end6609:
	.size	_ZN7rocprim17ROCPRIM_400000_NS6detail17trampoline_kernelINS0_14default_configENS1_20scan_config_selectorIiEEZZNS1_9scan_implILNS1_25lookback_scan_determinismE0ELb0ELb0ES3_N6thrust23THRUST_200600_302600_NS6detail15normal_iteratorINS9_10device_ptrIiEEEESE_i9plus_mod3IiEiEEDaPvRmT3_T4_T5_mT6_P12ihipStream_tbENKUlT_T0_E_clISt17integral_constantIbLb0EESU_EEDaSP_SQ_EUlSP_E_NS1_11comp_targetILNS1_3genE3ELNS1_11target_archE908ELNS1_3gpuE7ELNS1_3repE0EEENS1_30default_config_static_selectorELNS0_4arch9wavefront6targetE1EEEvT1_, .Lfunc_end6609-_ZN7rocprim17ROCPRIM_400000_NS6detail17trampoline_kernelINS0_14default_configENS1_20scan_config_selectorIiEEZZNS1_9scan_implILNS1_25lookback_scan_determinismE0ELb0ELb0ES3_N6thrust23THRUST_200600_302600_NS6detail15normal_iteratorINS9_10device_ptrIiEEEESE_i9plus_mod3IiEiEEDaPvRmT3_T4_T5_mT6_P12ihipStream_tbENKUlT_T0_E_clISt17integral_constantIbLb0EESU_EEDaSP_SQ_EUlSP_E_NS1_11comp_targetILNS1_3genE3ELNS1_11target_archE908ELNS1_3gpuE7ELNS1_3repE0EEENS1_30default_config_static_selectorELNS0_4arch9wavefront6targetE1EEEvT1_
                                        ; -- End function
	.section	.AMDGPU.csdata,"",@progbits
; Kernel info:
; codeLenInByte = 0
; NumSgprs: 4
; NumVgprs: 0
; NumAgprs: 0
; TotalNumVgprs: 0
; ScratchSize: 0
; MemoryBound: 0
; FloatMode: 240
; IeeeMode: 1
; LDSByteSize: 0 bytes/workgroup (compile time only)
; SGPRBlocks: 0
; VGPRBlocks: 0
; NumSGPRsForWavesPerEU: 4
; NumVGPRsForWavesPerEU: 1
; AccumOffset: 4
; Occupancy: 8
; WaveLimiterHint : 0
; COMPUTE_PGM_RSRC2:SCRATCH_EN: 0
; COMPUTE_PGM_RSRC2:USER_SGPR: 6
; COMPUTE_PGM_RSRC2:TRAP_HANDLER: 0
; COMPUTE_PGM_RSRC2:TGID_X_EN: 1
; COMPUTE_PGM_RSRC2:TGID_Y_EN: 0
; COMPUTE_PGM_RSRC2:TGID_Z_EN: 0
; COMPUTE_PGM_RSRC2:TIDIG_COMP_CNT: 0
; COMPUTE_PGM_RSRC3_GFX90A:ACCUM_OFFSET: 0
; COMPUTE_PGM_RSRC3_GFX90A:TG_SPLIT: 0
	.section	.text._ZN7rocprim17ROCPRIM_400000_NS6detail17trampoline_kernelINS0_14default_configENS1_20scan_config_selectorIiEEZZNS1_9scan_implILNS1_25lookback_scan_determinismE0ELb0ELb0ES3_N6thrust23THRUST_200600_302600_NS6detail15normal_iteratorINS9_10device_ptrIiEEEESE_i9plus_mod3IiEiEEDaPvRmT3_T4_T5_mT6_P12ihipStream_tbENKUlT_T0_E_clISt17integral_constantIbLb0EESU_EEDaSP_SQ_EUlSP_E_NS1_11comp_targetILNS1_3genE2ELNS1_11target_archE906ELNS1_3gpuE6ELNS1_3repE0EEENS1_30default_config_static_selectorELNS0_4arch9wavefront6targetE1EEEvT1_,"axG",@progbits,_ZN7rocprim17ROCPRIM_400000_NS6detail17trampoline_kernelINS0_14default_configENS1_20scan_config_selectorIiEEZZNS1_9scan_implILNS1_25lookback_scan_determinismE0ELb0ELb0ES3_N6thrust23THRUST_200600_302600_NS6detail15normal_iteratorINS9_10device_ptrIiEEEESE_i9plus_mod3IiEiEEDaPvRmT3_T4_T5_mT6_P12ihipStream_tbENKUlT_T0_E_clISt17integral_constantIbLb0EESU_EEDaSP_SQ_EUlSP_E_NS1_11comp_targetILNS1_3genE2ELNS1_11target_archE906ELNS1_3gpuE6ELNS1_3repE0EEENS1_30default_config_static_selectorELNS0_4arch9wavefront6targetE1EEEvT1_,comdat
	.protected	_ZN7rocprim17ROCPRIM_400000_NS6detail17trampoline_kernelINS0_14default_configENS1_20scan_config_selectorIiEEZZNS1_9scan_implILNS1_25lookback_scan_determinismE0ELb0ELb0ES3_N6thrust23THRUST_200600_302600_NS6detail15normal_iteratorINS9_10device_ptrIiEEEESE_i9plus_mod3IiEiEEDaPvRmT3_T4_T5_mT6_P12ihipStream_tbENKUlT_T0_E_clISt17integral_constantIbLb0EESU_EEDaSP_SQ_EUlSP_E_NS1_11comp_targetILNS1_3genE2ELNS1_11target_archE906ELNS1_3gpuE6ELNS1_3repE0EEENS1_30default_config_static_selectorELNS0_4arch9wavefront6targetE1EEEvT1_ ; -- Begin function _ZN7rocprim17ROCPRIM_400000_NS6detail17trampoline_kernelINS0_14default_configENS1_20scan_config_selectorIiEEZZNS1_9scan_implILNS1_25lookback_scan_determinismE0ELb0ELb0ES3_N6thrust23THRUST_200600_302600_NS6detail15normal_iteratorINS9_10device_ptrIiEEEESE_i9plus_mod3IiEiEEDaPvRmT3_T4_T5_mT6_P12ihipStream_tbENKUlT_T0_E_clISt17integral_constantIbLb0EESU_EEDaSP_SQ_EUlSP_E_NS1_11comp_targetILNS1_3genE2ELNS1_11target_archE906ELNS1_3gpuE6ELNS1_3repE0EEENS1_30default_config_static_selectorELNS0_4arch9wavefront6targetE1EEEvT1_
	.globl	_ZN7rocprim17ROCPRIM_400000_NS6detail17trampoline_kernelINS0_14default_configENS1_20scan_config_selectorIiEEZZNS1_9scan_implILNS1_25lookback_scan_determinismE0ELb0ELb0ES3_N6thrust23THRUST_200600_302600_NS6detail15normal_iteratorINS9_10device_ptrIiEEEESE_i9plus_mod3IiEiEEDaPvRmT3_T4_T5_mT6_P12ihipStream_tbENKUlT_T0_E_clISt17integral_constantIbLb0EESU_EEDaSP_SQ_EUlSP_E_NS1_11comp_targetILNS1_3genE2ELNS1_11target_archE906ELNS1_3gpuE6ELNS1_3repE0EEENS1_30default_config_static_selectorELNS0_4arch9wavefront6targetE1EEEvT1_
	.p2align	8
	.type	_ZN7rocprim17ROCPRIM_400000_NS6detail17trampoline_kernelINS0_14default_configENS1_20scan_config_selectorIiEEZZNS1_9scan_implILNS1_25lookback_scan_determinismE0ELb0ELb0ES3_N6thrust23THRUST_200600_302600_NS6detail15normal_iteratorINS9_10device_ptrIiEEEESE_i9plus_mod3IiEiEEDaPvRmT3_T4_T5_mT6_P12ihipStream_tbENKUlT_T0_E_clISt17integral_constantIbLb0EESU_EEDaSP_SQ_EUlSP_E_NS1_11comp_targetILNS1_3genE2ELNS1_11target_archE906ELNS1_3gpuE6ELNS1_3repE0EEENS1_30default_config_static_selectorELNS0_4arch9wavefront6targetE1EEEvT1_,@function
_ZN7rocprim17ROCPRIM_400000_NS6detail17trampoline_kernelINS0_14default_configENS1_20scan_config_selectorIiEEZZNS1_9scan_implILNS1_25lookback_scan_determinismE0ELb0ELb0ES3_N6thrust23THRUST_200600_302600_NS6detail15normal_iteratorINS9_10device_ptrIiEEEESE_i9plus_mod3IiEiEEDaPvRmT3_T4_T5_mT6_P12ihipStream_tbENKUlT_T0_E_clISt17integral_constantIbLb0EESU_EEDaSP_SQ_EUlSP_E_NS1_11comp_targetILNS1_3genE2ELNS1_11target_archE906ELNS1_3gpuE6ELNS1_3repE0EEENS1_30default_config_static_selectorELNS0_4arch9wavefront6targetE1EEEvT1_: ; @_ZN7rocprim17ROCPRIM_400000_NS6detail17trampoline_kernelINS0_14default_configENS1_20scan_config_selectorIiEEZZNS1_9scan_implILNS1_25lookback_scan_determinismE0ELb0ELb0ES3_N6thrust23THRUST_200600_302600_NS6detail15normal_iteratorINS9_10device_ptrIiEEEESE_i9plus_mod3IiEiEEDaPvRmT3_T4_T5_mT6_P12ihipStream_tbENKUlT_T0_E_clISt17integral_constantIbLb0EESU_EEDaSP_SQ_EUlSP_E_NS1_11comp_targetILNS1_3genE2ELNS1_11target_archE906ELNS1_3gpuE6ELNS1_3repE0EEENS1_30default_config_static_selectorELNS0_4arch9wavefront6targetE1EEEvT1_
; %bb.0:
	.section	.rodata,"a",@progbits
	.p2align	6, 0x0
	.amdhsa_kernel _ZN7rocprim17ROCPRIM_400000_NS6detail17trampoline_kernelINS0_14default_configENS1_20scan_config_selectorIiEEZZNS1_9scan_implILNS1_25lookback_scan_determinismE0ELb0ELb0ES3_N6thrust23THRUST_200600_302600_NS6detail15normal_iteratorINS9_10device_ptrIiEEEESE_i9plus_mod3IiEiEEDaPvRmT3_T4_T5_mT6_P12ihipStream_tbENKUlT_T0_E_clISt17integral_constantIbLb0EESU_EEDaSP_SQ_EUlSP_E_NS1_11comp_targetILNS1_3genE2ELNS1_11target_archE906ELNS1_3gpuE6ELNS1_3repE0EEENS1_30default_config_static_selectorELNS0_4arch9wavefront6targetE1EEEvT1_
		.amdhsa_group_segment_fixed_size 0
		.amdhsa_private_segment_fixed_size 0
		.amdhsa_kernarg_size 104
		.amdhsa_user_sgpr_count 6
		.amdhsa_user_sgpr_private_segment_buffer 1
		.amdhsa_user_sgpr_dispatch_ptr 0
		.amdhsa_user_sgpr_queue_ptr 0
		.amdhsa_user_sgpr_kernarg_segment_ptr 1
		.amdhsa_user_sgpr_dispatch_id 0
		.amdhsa_user_sgpr_flat_scratch_init 0
		.amdhsa_user_sgpr_kernarg_preload_length 0
		.amdhsa_user_sgpr_kernarg_preload_offset 0
		.amdhsa_user_sgpr_private_segment_size 0
		.amdhsa_uses_dynamic_stack 0
		.amdhsa_system_sgpr_private_segment_wavefront_offset 0
		.amdhsa_system_sgpr_workgroup_id_x 1
		.amdhsa_system_sgpr_workgroup_id_y 0
		.amdhsa_system_sgpr_workgroup_id_z 0
		.amdhsa_system_sgpr_workgroup_info 0
		.amdhsa_system_vgpr_workitem_id 0
		.amdhsa_next_free_vgpr 1
		.amdhsa_next_free_sgpr 0
		.amdhsa_accum_offset 4
		.amdhsa_reserve_vcc 0
		.amdhsa_reserve_flat_scratch 0
		.amdhsa_float_round_mode_32 0
		.amdhsa_float_round_mode_16_64 0
		.amdhsa_float_denorm_mode_32 3
		.amdhsa_float_denorm_mode_16_64 3
		.amdhsa_dx10_clamp 1
		.amdhsa_ieee_mode 1
		.amdhsa_fp16_overflow 0
		.amdhsa_tg_split 0
		.amdhsa_exception_fp_ieee_invalid_op 0
		.amdhsa_exception_fp_denorm_src 0
		.amdhsa_exception_fp_ieee_div_zero 0
		.amdhsa_exception_fp_ieee_overflow 0
		.amdhsa_exception_fp_ieee_underflow 0
		.amdhsa_exception_fp_ieee_inexact 0
		.amdhsa_exception_int_div_zero 0
	.end_amdhsa_kernel
	.section	.text._ZN7rocprim17ROCPRIM_400000_NS6detail17trampoline_kernelINS0_14default_configENS1_20scan_config_selectorIiEEZZNS1_9scan_implILNS1_25lookback_scan_determinismE0ELb0ELb0ES3_N6thrust23THRUST_200600_302600_NS6detail15normal_iteratorINS9_10device_ptrIiEEEESE_i9plus_mod3IiEiEEDaPvRmT3_T4_T5_mT6_P12ihipStream_tbENKUlT_T0_E_clISt17integral_constantIbLb0EESU_EEDaSP_SQ_EUlSP_E_NS1_11comp_targetILNS1_3genE2ELNS1_11target_archE906ELNS1_3gpuE6ELNS1_3repE0EEENS1_30default_config_static_selectorELNS0_4arch9wavefront6targetE1EEEvT1_,"axG",@progbits,_ZN7rocprim17ROCPRIM_400000_NS6detail17trampoline_kernelINS0_14default_configENS1_20scan_config_selectorIiEEZZNS1_9scan_implILNS1_25lookback_scan_determinismE0ELb0ELb0ES3_N6thrust23THRUST_200600_302600_NS6detail15normal_iteratorINS9_10device_ptrIiEEEESE_i9plus_mod3IiEiEEDaPvRmT3_T4_T5_mT6_P12ihipStream_tbENKUlT_T0_E_clISt17integral_constantIbLb0EESU_EEDaSP_SQ_EUlSP_E_NS1_11comp_targetILNS1_3genE2ELNS1_11target_archE906ELNS1_3gpuE6ELNS1_3repE0EEENS1_30default_config_static_selectorELNS0_4arch9wavefront6targetE1EEEvT1_,comdat
.Lfunc_end6610:
	.size	_ZN7rocprim17ROCPRIM_400000_NS6detail17trampoline_kernelINS0_14default_configENS1_20scan_config_selectorIiEEZZNS1_9scan_implILNS1_25lookback_scan_determinismE0ELb0ELb0ES3_N6thrust23THRUST_200600_302600_NS6detail15normal_iteratorINS9_10device_ptrIiEEEESE_i9plus_mod3IiEiEEDaPvRmT3_T4_T5_mT6_P12ihipStream_tbENKUlT_T0_E_clISt17integral_constantIbLb0EESU_EEDaSP_SQ_EUlSP_E_NS1_11comp_targetILNS1_3genE2ELNS1_11target_archE906ELNS1_3gpuE6ELNS1_3repE0EEENS1_30default_config_static_selectorELNS0_4arch9wavefront6targetE1EEEvT1_, .Lfunc_end6610-_ZN7rocprim17ROCPRIM_400000_NS6detail17trampoline_kernelINS0_14default_configENS1_20scan_config_selectorIiEEZZNS1_9scan_implILNS1_25lookback_scan_determinismE0ELb0ELb0ES3_N6thrust23THRUST_200600_302600_NS6detail15normal_iteratorINS9_10device_ptrIiEEEESE_i9plus_mod3IiEiEEDaPvRmT3_T4_T5_mT6_P12ihipStream_tbENKUlT_T0_E_clISt17integral_constantIbLb0EESU_EEDaSP_SQ_EUlSP_E_NS1_11comp_targetILNS1_3genE2ELNS1_11target_archE906ELNS1_3gpuE6ELNS1_3repE0EEENS1_30default_config_static_selectorELNS0_4arch9wavefront6targetE1EEEvT1_
                                        ; -- End function
	.section	.AMDGPU.csdata,"",@progbits
; Kernel info:
; codeLenInByte = 0
; NumSgprs: 4
; NumVgprs: 0
; NumAgprs: 0
; TotalNumVgprs: 0
; ScratchSize: 0
; MemoryBound: 0
; FloatMode: 240
; IeeeMode: 1
; LDSByteSize: 0 bytes/workgroup (compile time only)
; SGPRBlocks: 0
; VGPRBlocks: 0
; NumSGPRsForWavesPerEU: 4
; NumVGPRsForWavesPerEU: 1
; AccumOffset: 4
; Occupancy: 8
; WaveLimiterHint : 0
; COMPUTE_PGM_RSRC2:SCRATCH_EN: 0
; COMPUTE_PGM_RSRC2:USER_SGPR: 6
; COMPUTE_PGM_RSRC2:TRAP_HANDLER: 0
; COMPUTE_PGM_RSRC2:TGID_X_EN: 1
; COMPUTE_PGM_RSRC2:TGID_Y_EN: 0
; COMPUTE_PGM_RSRC2:TGID_Z_EN: 0
; COMPUTE_PGM_RSRC2:TIDIG_COMP_CNT: 0
; COMPUTE_PGM_RSRC3_GFX90A:ACCUM_OFFSET: 0
; COMPUTE_PGM_RSRC3_GFX90A:TG_SPLIT: 0
	.section	.text._ZN7rocprim17ROCPRIM_400000_NS6detail17trampoline_kernelINS0_14default_configENS1_20scan_config_selectorIiEEZZNS1_9scan_implILNS1_25lookback_scan_determinismE0ELb0ELb0ES3_N6thrust23THRUST_200600_302600_NS6detail15normal_iteratorINS9_10device_ptrIiEEEESE_i9plus_mod3IiEiEEDaPvRmT3_T4_T5_mT6_P12ihipStream_tbENKUlT_T0_E_clISt17integral_constantIbLb0EESU_EEDaSP_SQ_EUlSP_E_NS1_11comp_targetILNS1_3genE10ELNS1_11target_archE1201ELNS1_3gpuE5ELNS1_3repE0EEENS1_30default_config_static_selectorELNS0_4arch9wavefront6targetE1EEEvT1_,"axG",@progbits,_ZN7rocprim17ROCPRIM_400000_NS6detail17trampoline_kernelINS0_14default_configENS1_20scan_config_selectorIiEEZZNS1_9scan_implILNS1_25lookback_scan_determinismE0ELb0ELb0ES3_N6thrust23THRUST_200600_302600_NS6detail15normal_iteratorINS9_10device_ptrIiEEEESE_i9plus_mod3IiEiEEDaPvRmT3_T4_T5_mT6_P12ihipStream_tbENKUlT_T0_E_clISt17integral_constantIbLb0EESU_EEDaSP_SQ_EUlSP_E_NS1_11comp_targetILNS1_3genE10ELNS1_11target_archE1201ELNS1_3gpuE5ELNS1_3repE0EEENS1_30default_config_static_selectorELNS0_4arch9wavefront6targetE1EEEvT1_,comdat
	.protected	_ZN7rocprim17ROCPRIM_400000_NS6detail17trampoline_kernelINS0_14default_configENS1_20scan_config_selectorIiEEZZNS1_9scan_implILNS1_25lookback_scan_determinismE0ELb0ELb0ES3_N6thrust23THRUST_200600_302600_NS6detail15normal_iteratorINS9_10device_ptrIiEEEESE_i9plus_mod3IiEiEEDaPvRmT3_T4_T5_mT6_P12ihipStream_tbENKUlT_T0_E_clISt17integral_constantIbLb0EESU_EEDaSP_SQ_EUlSP_E_NS1_11comp_targetILNS1_3genE10ELNS1_11target_archE1201ELNS1_3gpuE5ELNS1_3repE0EEENS1_30default_config_static_selectorELNS0_4arch9wavefront6targetE1EEEvT1_ ; -- Begin function _ZN7rocprim17ROCPRIM_400000_NS6detail17trampoline_kernelINS0_14default_configENS1_20scan_config_selectorIiEEZZNS1_9scan_implILNS1_25lookback_scan_determinismE0ELb0ELb0ES3_N6thrust23THRUST_200600_302600_NS6detail15normal_iteratorINS9_10device_ptrIiEEEESE_i9plus_mod3IiEiEEDaPvRmT3_T4_T5_mT6_P12ihipStream_tbENKUlT_T0_E_clISt17integral_constantIbLb0EESU_EEDaSP_SQ_EUlSP_E_NS1_11comp_targetILNS1_3genE10ELNS1_11target_archE1201ELNS1_3gpuE5ELNS1_3repE0EEENS1_30default_config_static_selectorELNS0_4arch9wavefront6targetE1EEEvT1_
	.globl	_ZN7rocprim17ROCPRIM_400000_NS6detail17trampoline_kernelINS0_14default_configENS1_20scan_config_selectorIiEEZZNS1_9scan_implILNS1_25lookback_scan_determinismE0ELb0ELb0ES3_N6thrust23THRUST_200600_302600_NS6detail15normal_iteratorINS9_10device_ptrIiEEEESE_i9plus_mod3IiEiEEDaPvRmT3_T4_T5_mT6_P12ihipStream_tbENKUlT_T0_E_clISt17integral_constantIbLb0EESU_EEDaSP_SQ_EUlSP_E_NS1_11comp_targetILNS1_3genE10ELNS1_11target_archE1201ELNS1_3gpuE5ELNS1_3repE0EEENS1_30default_config_static_selectorELNS0_4arch9wavefront6targetE1EEEvT1_
	.p2align	8
	.type	_ZN7rocprim17ROCPRIM_400000_NS6detail17trampoline_kernelINS0_14default_configENS1_20scan_config_selectorIiEEZZNS1_9scan_implILNS1_25lookback_scan_determinismE0ELb0ELb0ES3_N6thrust23THRUST_200600_302600_NS6detail15normal_iteratorINS9_10device_ptrIiEEEESE_i9plus_mod3IiEiEEDaPvRmT3_T4_T5_mT6_P12ihipStream_tbENKUlT_T0_E_clISt17integral_constantIbLb0EESU_EEDaSP_SQ_EUlSP_E_NS1_11comp_targetILNS1_3genE10ELNS1_11target_archE1201ELNS1_3gpuE5ELNS1_3repE0EEENS1_30default_config_static_selectorELNS0_4arch9wavefront6targetE1EEEvT1_,@function
_ZN7rocprim17ROCPRIM_400000_NS6detail17trampoline_kernelINS0_14default_configENS1_20scan_config_selectorIiEEZZNS1_9scan_implILNS1_25lookback_scan_determinismE0ELb0ELb0ES3_N6thrust23THRUST_200600_302600_NS6detail15normal_iteratorINS9_10device_ptrIiEEEESE_i9plus_mod3IiEiEEDaPvRmT3_T4_T5_mT6_P12ihipStream_tbENKUlT_T0_E_clISt17integral_constantIbLb0EESU_EEDaSP_SQ_EUlSP_E_NS1_11comp_targetILNS1_3genE10ELNS1_11target_archE1201ELNS1_3gpuE5ELNS1_3repE0EEENS1_30default_config_static_selectorELNS0_4arch9wavefront6targetE1EEEvT1_: ; @_ZN7rocprim17ROCPRIM_400000_NS6detail17trampoline_kernelINS0_14default_configENS1_20scan_config_selectorIiEEZZNS1_9scan_implILNS1_25lookback_scan_determinismE0ELb0ELb0ES3_N6thrust23THRUST_200600_302600_NS6detail15normal_iteratorINS9_10device_ptrIiEEEESE_i9plus_mod3IiEiEEDaPvRmT3_T4_T5_mT6_P12ihipStream_tbENKUlT_T0_E_clISt17integral_constantIbLb0EESU_EEDaSP_SQ_EUlSP_E_NS1_11comp_targetILNS1_3genE10ELNS1_11target_archE1201ELNS1_3gpuE5ELNS1_3repE0EEENS1_30default_config_static_selectorELNS0_4arch9wavefront6targetE1EEEvT1_
; %bb.0:
	.section	.rodata,"a",@progbits
	.p2align	6, 0x0
	.amdhsa_kernel _ZN7rocprim17ROCPRIM_400000_NS6detail17trampoline_kernelINS0_14default_configENS1_20scan_config_selectorIiEEZZNS1_9scan_implILNS1_25lookback_scan_determinismE0ELb0ELb0ES3_N6thrust23THRUST_200600_302600_NS6detail15normal_iteratorINS9_10device_ptrIiEEEESE_i9plus_mod3IiEiEEDaPvRmT3_T4_T5_mT6_P12ihipStream_tbENKUlT_T0_E_clISt17integral_constantIbLb0EESU_EEDaSP_SQ_EUlSP_E_NS1_11comp_targetILNS1_3genE10ELNS1_11target_archE1201ELNS1_3gpuE5ELNS1_3repE0EEENS1_30default_config_static_selectorELNS0_4arch9wavefront6targetE1EEEvT1_
		.amdhsa_group_segment_fixed_size 0
		.amdhsa_private_segment_fixed_size 0
		.amdhsa_kernarg_size 104
		.amdhsa_user_sgpr_count 6
		.amdhsa_user_sgpr_private_segment_buffer 1
		.amdhsa_user_sgpr_dispatch_ptr 0
		.amdhsa_user_sgpr_queue_ptr 0
		.amdhsa_user_sgpr_kernarg_segment_ptr 1
		.amdhsa_user_sgpr_dispatch_id 0
		.amdhsa_user_sgpr_flat_scratch_init 0
		.amdhsa_user_sgpr_kernarg_preload_length 0
		.amdhsa_user_sgpr_kernarg_preload_offset 0
		.amdhsa_user_sgpr_private_segment_size 0
		.amdhsa_uses_dynamic_stack 0
		.amdhsa_system_sgpr_private_segment_wavefront_offset 0
		.amdhsa_system_sgpr_workgroup_id_x 1
		.amdhsa_system_sgpr_workgroup_id_y 0
		.amdhsa_system_sgpr_workgroup_id_z 0
		.amdhsa_system_sgpr_workgroup_info 0
		.amdhsa_system_vgpr_workitem_id 0
		.amdhsa_next_free_vgpr 1
		.amdhsa_next_free_sgpr 0
		.amdhsa_accum_offset 4
		.amdhsa_reserve_vcc 0
		.amdhsa_reserve_flat_scratch 0
		.amdhsa_float_round_mode_32 0
		.amdhsa_float_round_mode_16_64 0
		.amdhsa_float_denorm_mode_32 3
		.amdhsa_float_denorm_mode_16_64 3
		.amdhsa_dx10_clamp 1
		.amdhsa_ieee_mode 1
		.amdhsa_fp16_overflow 0
		.amdhsa_tg_split 0
		.amdhsa_exception_fp_ieee_invalid_op 0
		.amdhsa_exception_fp_denorm_src 0
		.amdhsa_exception_fp_ieee_div_zero 0
		.amdhsa_exception_fp_ieee_overflow 0
		.amdhsa_exception_fp_ieee_underflow 0
		.amdhsa_exception_fp_ieee_inexact 0
		.amdhsa_exception_int_div_zero 0
	.end_amdhsa_kernel
	.section	.text._ZN7rocprim17ROCPRIM_400000_NS6detail17trampoline_kernelINS0_14default_configENS1_20scan_config_selectorIiEEZZNS1_9scan_implILNS1_25lookback_scan_determinismE0ELb0ELb0ES3_N6thrust23THRUST_200600_302600_NS6detail15normal_iteratorINS9_10device_ptrIiEEEESE_i9plus_mod3IiEiEEDaPvRmT3_T4_T5_mT6_P12ihipStream_tbENKUlT_T0_E_clISt17integral_constantIbLb0EESU_EEDaSP_SQ_EUlSP_E_NS1_11comp_targetILNS1_3genE10ELNS1_11target_archE1201ELNS1_3gpuE5ELNS1_3repE0EEENS1_30default_config_static_selectorELNS0_4arch9wavefront6targetE1EEEvT1_,"axG",@progbits,_ZN7rocprim17ROCPRIM_400000_NS6detail17trampoline_kernelINS0_14default_configENS1_20scan_config_selectorIiEEZZNS1_9scan_implILNS1_25lookback_scan_determinismE0ELb0ELb0ES3_N6thrust23THRUST_200600_302600_NS6detail15normal_iteratorINS9_10device_ptrIiEEEESE_i9plus_mod3IiEiEEDaPvRmT3_T4_T5_mT6_P12ihipStream_tbENKUlT_T0_E_clISt17integral_constantIbLb0EESU_EEDaSP_SQ_EUlSP_E_NS1_11comp_targetILNS1_3genE10ELNS1_11target_archE1201ELNS1_3gpuE5ELNS1_3repE0EEENS1_30default_config_static_selectorELNS0_4arch9wavefront6targetE1EEEvT1_,comdat
.Lfunc_end6611:
	.size	_ZN7rocprim17ROCPRIM_400000_NS6detail17trampoline_kernelINS0_14default_configENS1_20scan_config_selectorIiEEZZNS1_9scan_implILNS1_25lookback_scan_determinismE0ELb0ELb0ES3_N6thrust23THRUST_200600_302600_NS6detail15normal_iteratorINS9_10device_ptrIiEEEESE_i9plus_mod3IiEiEEDaPvRmT3_T4_T5_mT6_P12ihipStream_tbENKUlT_T0_E_clISt17integral_constantIbLb0EESU_EEDaSP_SQ_EUlSP_E_NS1_11comp_targetILNS1_3genE10ELNS1_11target_archE1201ELNS1_3gpuE5ELNS1_3repE0EEENS1_30default_config_static_selectorELNS0_4arch9wavefront6targetE1EEEvT1_, .Lfunc_end6611-_ZN7rocprim17ROCPRIM_400000_NS6detail17trampoline_kernelINS0_14default_configENS1_20scan_config_selectorIiEEZZNS1_9scan_implILNS1_25lookback_scan_determinismE0ELb0ELb0ES3_N6thrust23THRUST_200600_302600_NS6detail15normal_iteratorINS9_10device_ptrIiEEEESE_i9plus_mod3IiEiEEDaPvRmT3_T4_T5_mT6_P12ihipStream_tbENKUlT_T0_E_clISt17integral_constantIbLb0EESU_EEDaSP_SQ_EUlSP_E_NS1_11comp_targetILNS1_3genE10ELNS1_11target_archE1201ELNS1_3gpuE5ELNS1_3repE0EEENS1_30default_config_static_selectorELNS0_4arch9wavefront6targetE1EEEvT1_
                                        ; -- End function
	.section	.AMDGPU.csdata,"",@progbits
; Kernel info:
; codeLenInByte = 0
; NumSgprs: 4
; NumVgprs: 0
; NumAgprs: 0
; TotalNumVgprs: 0
; ScratchSize: 0
; MemoryBound: 0
; FloatMode: 240
; IeeeMode: 1
; LDSByteSize: 0 bytes/workgroup (compile time only)
; SGPRBlocks: 0
; VGPRBlocks: 0
; NumSGPRsForWavesPerEU: 4
; NumVGPRsForWavesPerEU: 1
; AccumOffset: 4
; Occupancy: 8
; WaveLimiterHint : 0
; COMPUTE_PGM_RSRC2:SCRATCH_EN: 0
; COMPUTE_PGM_RSRC2:USER_SGPR: 6
; COMPUTE_PGM_RSRC2:TRAP_HANDLER: 0
; COMPUTE_PGM_RSRC2:TGID_X_EN: 1
; COMPUTE_PGM_RSRC2:TGID_Y_EN: 0
; COMPUTE_PGM_RSRC2:TGID_Z_EN: 0
; COMPUTE_PGM_RSRC2:TIDIG_COMP_CNT: 0
; COMPUTE_PGM_RSRC3_GFX90A:ACCUM_OFFSET: 0
; COMPUTE_PGM_RSRC3_GFX90A:TG_SPLIT: 0
	.section	.text._ZN7rocprim17ROCPRIM_400000_NS6detail17trampoline_kernelINS0_14default_configENS1_20scan_config_selectorIiEEZZNS1_9scan_implILNS1_25lookback_scan_determinismE0ELb0ELb0ES3_N6thrust23THRUST_200600_302600_NS6detail15normal_iteratorINS9_10device_ptrIiEEEESE_i9plus_mod3IiEiEEDaPvRmT3_T4_T5_mT6_P12ihipStream_tbENKUlT_T0_E_clISt17integral_constantIbLb0EESU_EEDaSP_SQ_EUlSP_E_NS1_11comp_targetILNS1_3genE10ELNS1_11target_archE1200ELNS1_3gpuE4ELNS1_3repE0EEENS1_30default_config_static_selectorELNS0_4arch9wavefront6targetE1EEEvT1_,"axG",@progbits,_ZN7rocprim17ROCPRIM_400000_NS6detail17trampoline_kernelINS0_14default_configENS1_20scan_config_selectorIiEEZZNS1_9scan_implILNS1_25lookback_scan_determinismE0ELb0ELb0ES3_N6thrust23THRUST_200600_302600_NS6detail15normal_iteratorINS9_10device_ptrIiEEEESE_i9plus_mod3IiEiEEDaPvRmT3_T4_T5_mT6_P12ihipStream_tbENKUlT_T0_E_clISt17integral_constantIbLb0EESU_EEDaSP_SQ_EUlSP_E_NS1_11comp_targetILNS1_3genE10ELNS1_11target_archE1200ELNS1_3gpuE4ELNS1_3repE0EEENS1_30default_config_static_selectorELNS0_4arch9wavefront6targetE1EEEvT1_,comdat
	.protected	_ZN7rocprim17ROCPRIM_400000_NS6detail17trampoline_kernelINS0_14default_configENS1_20scan_config_selectorIiEEZZNS1_9scan_implILNS1_25lookback_scan_determinismE0ELb0ELb0ES3_N6thrust23THRUST_200600_302600_NS6detail15normal_iteratorINS9_10device_ptrIiEEEESE_i9plus_mod3IiEiEEDaPvRmT3_T4_T5_mT6_P12ihipStream_tbENKUlT_T0_E_clISt17integral_constantIbLb0EESU_EEDaSP_SQ_EUlSP_E_NS1_11comp_targetILNS1_3genE10ELNS1_11target_archE1200ELNS1_3gpuE4ELNS1_3repE0EEENS1_30default_config_static_selectorELNS0_4arch9wavefront6targetE1EEEvT1_ ; -- Begin function _ZN7rocprim17ROCPRIM_400000_NS6detail17trampoline_kernelINS0_14default_configENS1_20scan_config_selectorIiEEZZNS1_9scan_implILNS1_25lookback_scan_determinismE0ELb0ELb0ES3_N6thrust23THRUST_200600_302600_NS6detail15normal_iteratorINS9_10device_ptrIiEEEESE_i9plus_mod3IiEiEEDaPvRmT3_T4_T5_mT6_P12ihipStream_tbENKUlT_T0_E_clISt17integral_constantIbLb0EESU_EEDaSP_SQ_EUlSP_E_NS1_11comp_targetILNS1_3genE10ELNS1_11target_archE1200ELNS1_3gpuE4ELNS1_3repE0EEENS1_30default_config_static_selectorELNS0_4arch9wavefront6targetE1EEEvT1_
	.globl	_ZN7rocprim17ROCPRIM_400000_NS6detail17trampoline_kernelINS0_14default_configENS1_20scan_config_selectorIiEEZZNS1_9scan_implILNS1_25lookback_scan_determinismE0ELb0ELb0ES3_N6thrust23THRUST_200600_302600_NS6detail15normal_iteratorINS9_10device_ptrIiEEEESE_i9plus_mod3IiEiEEDaPvRmT3_T4_T5_mT6_P12ihipStream_tbENKUlT_T0_E_clISt17integral_constantIbLb0EESU_EEDaSP_SQ_EUlSP_E_NS1_11comp_targetILNS1_3genE10ELNS1_11target_archE1200ELNS1_3gpuE4ELNS1_3repE0EEENS1_30default_config_static_selectorELNS0_4arch9wavefront6targetE1EEEvT1_
	.p2align	8
	.type	_ZN7rocprim17ROCPRIM_400000_NS6detail17trampoline_kernelINS0_14default_configENS1_20scan_config_selectorIiEEZZNS1_9scan_implILNS1_25lookback_scan_determinismE0ELb0ELb0ES3_N6thrust23THRUST_200600_302600_NS6detail15normal_iteratorINS9_10device_ptrIiEEEESE_i9plus_mod3IiEiEEDaPvRmT3_T4_T5_mT6_P12ihipStream_tbENKUlT_T0_E_clISt17integral_constantIbLb0EESU_EEDaSP_SQ_EUlSP_E_NS1_11comp_targetILNS1_3genE10ELNS1_11target_archE1200ELNS1_3gpuE4ELNS1_3repE0EEENS1_30default_config_static_selectorELNS0_4arch9wavefront6targetE1EEEvT1_,@function
_ZN7rocprim17ROCPRIM_400000_NS6detail17trampoline_kernelINS0_14default_configENS1_20scan_config_selectorIiEEZZNS1_9scan_implILNS1_25lookback_scan_determinismE0ELb0ELb0ES3_N6thrust23THRUST_200600_302600_NS6detail15normal_iteratorINS9_10device_ptrIiEEEESE_i9plus_mod3IiEiEEDaPvRmT3_T4_T5_mT6_P12ihipStream_tbENKUlT_T0_E_clISt17integral_constantIbLb0EESU_EEDaSP_SQ_EUlSP_E_NS1_11comp_targetILNS1_3genE10ELNS1_11target_archE1200ELNS1_3gpuE4ELNS1_3repE0EEENS1_30default_config_static_selectorELNS0_4arch9wavefront6targetE1EEEvT1_: ; @_ZN7rocprim17ROCPRIM_400000_NS6detail17trampoline_kernelINS0_14default_configENS1_20scan_config_selectorIiEEZZNS1_9scan_implILNS1_25lookback_scan_determinismE0ELb0ELb0ES3_N6thrust23THRUST_200600_302600_NS6detail15normal_iteratorINS9_10device_ptrIiEEEESE_i9plus_mod3IiEiEEDaPvRmT3_T4_T5_mT6_P12ihipStream_tbENKUlT_T0_E_clISt17integral_constantIbLb0EESU_EEDaSP_SQ_EUlSP_E_NS1_11comp_targetILNS1_3genE10ELNS1_11target_archE1200ELNS1_3gpuE4ELNS1_3repE0EEENS1_30default_config_static_selectorELNS0_4arch9wavefront6targetE1EEEvT1_
; %bb.0:
	.section	.rodata,"a",@progbits
	.p2align	6, 0x0
	.amdhsa_kernel _ZN7rocprim17ROCPRIM_400000_NS6detail17trampoline_kernelINS0_14default_configENS1_20scan_config_selectorIiEEZZNS1_9scan_implILNS1_25lookback_scan_determinismE0ELb0ELb0ES3_N6thrust23THRUST_200600_302600_NS6detail15normal_iteratorINS9_10device_ptrIiEEEESE_i9plus_mod3IiEiEEDaPvRmT3_T4_T5_mT6_P12ihipStream_tbENKUlT_T0_E_clISt17integral_constantIbLb0EESU_EEDaSP_SQ_EUlSP_E_NS1_11comp_targetILNS1_3genE10ELNS1_11target_archE1200ELNS1_3gpuE4ELNS1_3repE0EEENS1_30default_config_static_selectorELNS0_4arch9wavefront6targetE1EEEvT1_
		.amdhsa_group_segment_fixed_size 0
		.amdhsa_private_segment_fixed_size 0
		.amdhsa_kernarg_size 104
		.amdhsa_user_sgpr_count 6
		.amdhsa_user_sgpr_private_segment_buffer 1
		.amdhsa_user_sgpr_dispatch_ptr 0
		.amdhsa_user_sgpr_queue_ptr 0
		.amdhsa_user_sgpr_kernarg_segment_ptr 1
		.amdhsa_user_sgpr_dispatch_id 0
		.amdhsa_user_sgpr_flat_scratch_init 0
		.amdhsa_user_sgpr_kernarg_preload_length 0
		.amdhsa_user_sgpr_kernarg_preload_offset 0
		.amdhsa_user_sgpr_private_segment_size 0
		.amdhsa_uses_dynamic_stack 0
		.amdhsa_system_sgpr_private_segment_wavefront_offset 0
		.amdhsa_system_sgpr_workgroup_id_x 1
		.amdhsa_system_sgpr_workgroup_id_y 0
		.amdhsa_system_sgpr_workgroup_id_z 0
		.amdhsa_system_sgpr_workgroup_info 0
		.amdhsa_system_vgpr_workitem_id 0
		.amdhsa_next_free_vgpr 1
		.amdhsa_next_free_sgpr 0
		.amdhsa_accum_offset 4
		.amdhsa_reserve_vcc 0
		.amdhsa_reserve_flat_scratch 0
		.amdhsa_float_round_mode_32 0
		.amdhsa_float_round_mode_16_64 0
		.amdhsa_float_denorm_mode_32 3
		.amdhsa_float_denorm_mode_16_64 3
		.amdhsa_dx10_clamp 1
		.amdhsa_ieee_mode 1
		.amdhsa_fp16_overflow 0
		.amdhsa_tg_split 0
		.amdhsa_exception_fp_ieee_invalid_op 0
		.amdhsa_exception_fp_denorm_src 0
		.amdhsa_exception_fp_ieee_div_zero 0
		.amdhsa_exception_fp_ieee_overflow 0
		.amdhsa_exception_fp_ieee_underflow 0
		.amdhsa_exception_fp_ieee_inexact 0
		.amdhsa_exception_int_div_zero 0
	.end_amdhsa_kernel
	.section	.text._ZN7rocprim17ROCPRIM_400000_NS6detail17trampoline_kernelINS0_14default_configENS1_20scan_config_selectorIiEEZZNS1_9scan_implILNS1_25lookback_scan_determinismE0ELb0ELb0ES3_N6thrust23THRUST_200600_302600_NS6detail15normal_iteratorINS9_10device_ptrIiEEEESE_i9plus_mod3IiEiEEDaPvRmT3_T4_T5_mT6_P12ihipStream_tbENKUlT_T0_E_clISt17integral_constantIbLb0EESU_EEDaSP_SQ_EUlSP_E_NS1_11comp_targetILNS1_3genE10ELNS1_11target_archE1200ELNS1_3gpuE4ELNS1_3repE0EEENS1_30default_config_static_selectorELNS0_4arch9wavefront6targetE1EEEvT1_,"axG",@progbits,_ZN7rocprim17ROCPRIM_400000_NS6detail17trampoline_kernelINS0_14default_configENS1_20scan_config_selectorIiEEZZNS1_9scan_implILNS1_25lookback_scan_determinismE0ELb0ELb0ES3_N6thrust23THRUST_200600_302600_NS6detail15normal_iteratorINS9_10device_ptrIiEEEESE_i9plus_mod3IiEiEEDaPvRmT3_T4_T5_mT6_P12ihipStream_tbENKUlT_T0_E_clISt17integral_constantIbLb0EESU_EEDaSP_SQ_EUlSP_E_NS1_11comp_targetILNS1_3genE10ELNS1_11target_archE1200ELNS1_3gpuE4ELNS1_3repE0EEENS1_30default_config_static_selectorELNS0_4arch9wavefront6targetE1EEEvT1_,comdat
.Lfunc_end6612:
	.size	_ZN7rocprim17ROCPRIM_400000_NS6detail17trampoline_kernelINS0_14default_configENS1_20scan_config_selectorIiEEZZNS1_9scan_implILNS1_25lookback_scan_determinismE0ELb0ELb0ES3_N6thrust23THRUST_200600_302600_NS6detail15normal_iteratorINS9_10device_ptrIiEEEESE_i9plus_mod3IiEiEEDaPvRmT3_T4_T5_mT6_P12ihipStream_tbENKUlT_T0_E_clISt17integral_constantIbLb0EESU_EEDaSP_SQ_EUlSP_E_NS1_11comp_targetILNS1_3genE10ELNS1_11target_archE1200ELNS1_3gpuE4ELNS1_3repE0EEENS1_30default_config_static_selectorELNS0_4arch9wavefront6targetE1EEEvT1_, .Lfunc_end6612-_ZN7rocprim17ROCPRIM_400000_NS6detail17trampoline_kernelINS0_14default_configENS1_20scan_config_selectorIiEEZZNS1_9scan_implILNS1_25lookback_scan_determinismE0ELb0ELb0ES3_N6thrust23THRUST_200600_302600_NS6detail15normal_iteratorINS9_10device_ptrIiEEEESE_i9plus_mod3IiEiEEDaPvRmT3_T4_T5_mT6_P12ihipStream_tbENKUlT_T0_E_clISt17integral_constantIbLb0EESU_EEDaSP_SQ_EUlSP_E_NS1_11comp_targetILNS1_3genE10ELNS1_11target_archE1200ELNS1_3gpuE4ELNS1_3repE0EEENS1_30default_config_static_selectorELNS0_4arch9wavefront6targetE1EEEvT1_
                                        ; -- End function
	.section	.AMDGPU.csdata,"",@progbits
; Kernel info:
; codeLenInByte = 0
; NumSgprs: 4
; NumVgprs: 0
; NumAgprs: 0
; TotalNumVgprs: 0
; ScratchSize: 0
; MemoryBound: 0
; FloatMode: 240
; IeeeMode: 1
; LDSByteSize: 0 bytes/workgroup (compile time only)
; SGPRBlocks: 0
; VGPRBlocks: 0
; NumSGPRsForWavesPerEU: 4
; NumVGPRsForWavesPerEU: 1
; AccumOffset: 4
; Occupancy: 8
; WaveLimiterHint : 0
; COMPUTE_PGM_RSRC2:SCRATCH_EN: 0
; COMPUTE_PGM_RSRC2:USER_SGPR: 6
; COMPUTE_PGM_RSRC2:TRAP_HANDLER: 0
; COMPUTE_PGM_RSRC2:TGID_X_EN: 1
; COMPUTE_PGM_RSRC2:TGID_Y_EN: 0
; COMPUTE_PGM_RSRC2:TGID_Z_EN: 0
; COMPUTE_PGM_RSRC2:TIDIG_COMP_CNT: 0
; COMPUTE_PGM_RSRC3_GFX90A:ACCUM_OFFSET: 0
; COMPUTE_PGM_RSRC3_GFX90A:TG_SPLIT: 0
	.section	.text._ZN7rocprim17ROCPRIM_400000_NS6detail17trampoline_kernelINS0_14default_configENS1_20scan_config_selectorIiEEZZNS1_9scan_implILNS1_25lookback_scan_determinismE0ELb0ELb0ES3_N6thrust23THRUST_200600_302600_NS6detail15normal_iteratorINS9_10device_ptrIiEEEESE_i9plus_mod3IiEiEEDaPvRmT3_T4_T5_mT6_P12ihipStream_tbENKUlT_T0_E_clISt17integral_constantIbLb0EESU_EEDaSP_SQ_EUlSP_E_NS1_11comp_targetILNS1_3genE9ELNS1_11target_archE1100ELNS1_3gpuE3ELNS1_3repE0EEENS1_30default_config_static_selectorELNS0_4arch9wavefront6targetE1EEEvT1_,"axG",@progbits,_ZN7rocprim17ROCPRIM_400000_NS6detail17trampoline_kernelINS0_14default_configENS1_20scan_config_selectorIiEEZZNS1_9scan_implILNS1_25lookback_scan_determinismE0ELb0ELb0ES3_N6thrust23THRUST_200600_302600_NS6detail15normal_iteratorINS9_10device_ptrIiEEEESE_i9plus_mod3IiEiEEDaPvRmT3_T4_T5_mT6_P12ihipStream_tbENKUlT_T0_E_clISt17integral_constantIbLb0EESU_EEDaSP_SQ_EUlSP_E_NS1_11comp_targetILNS1_3genE9ELNS1_11target_archE1100ELNS1_3gpuE3ELNS1_3repE0EEENS1_30default_config_static_selectorELNS0_4arch9wavefront6targetE1EEEvT1_,comdat
	.protected	_ZN7rocprim17ROCPRIM_400000_NS6detail17trampoline_kernelINS0_14default_configENS1_20scan_config_selectorIiEEZZNS1_9scan_implILNS1_25lookback_scan_determinismE0ELb0ELb0ES3_N6thrust23THRUST_200600_302600_NS6detail15normal_iteratorINS9_10device_ptrIiEEEESE_i9plus_mod3IiEiEEDaPvRmT3_T4_T5_mT6_P12ihipStream_tbENKUlT_T0_E_clISt17integral_constantIbLb0EESU_EEDaSP_SQ_EUlSP_E_NS1_11comp_targetILNS1_3genE9ELNS1_11target_archE1100ELNS1_3gpuE3ELNS1_3repE0EEENS1_30default_config_static_selectorELNS0_4arch9wavefront6targetE1EEEvT1_ ; -- Begin function _ZN7rocprim17ROCPRIM_400000_NS6detail17trampoline_kernelINS0_14default_configENS1_20scan_config_selectorIiEEZZNS1_9scan_implILNS1_25lookback_scan_determinismE0ELb0ELb0ES3_N6thrust23THRUST_200600_302600_NS6detail15normal_iteratorINS9_10device_ptrIiEEEESE_i9plus_mod3IiEiEEDaPvRmT3_T4_T5_mT6_P12ihipStream_tbENKUlT_T0_E_clISt17integral_constantIbLb0EESU_EEDaSP_SQ_EUlSP_E_NS1_11comp_targetILNS1_3genE9ELNS1_11target_archE1100ELNS1_3gpuE3ELNS1_3repE0EEENS1_30default_config_static_selectorELNS0_4arch9wavefront6targetE1EEEvT1_
	.globl	_ZN7rocprim17ROCPRIM_400000_NS6detail17trampoline_kernelINS0_14default_configENS1_20scan_config_selectorIiEEZZNS1_9scan_implILNS1_25lookback_scan_determinismE0ELb0ELb0ES3_N6thrust23THRUST_200600_302600_NS6detail15normal_iteratorINS9_10device_ptrIiEEEESE_i9plus_mod3IiEiEEDaPvRmT3_T4_T5_mT6_P12ihipStream_tbENKUlT_T0_E_clISt17integral_constantIbLb0EESU_EEDaSP_SQ_EUlSP_E_NS1_11comp_targetILNS1_3genE9ELNS1_11target_archE1100ELNS1_3gpuE3ELNS1_3repE0EEENS1_30default_config_static_selectorELNS0_4arch9wavefront6targetE1EEEvT1_
	.p2align	8
	.type	_ZN7rocprim17ROCPRIM_400000_NS6detail17trampoline_kernelINS0_14default_configENS1_20scan_config_selectorIiEEZZNS1_9scan_implILNS1_25lookback_scan_determinismE0ELb0ELb0ES3_N6thrust23THRUST_200600_302600_NS6detail15normal_iteratorINS9_10device_ptrIiEEEESE_i9plus_mod3IiEiEEDaPvRmT3_T4_T5_mT6_P12ihipStream_tbENKUlT_T0_E_clISt17integral_constantIbLb0EESU_EEDaSP_SQ_EUlSP_E_NS1_11comp_targetILNS1_3genE9ELNS1_11target_archE1100ELNS1_3gpuE3ELNS1_3repE0EEENS1_30default_config_static_selectorELNS0_4arch9wavefront6targetE1EEEvT1_,@function
_ZN7rocprim17ROCPRIM_400000_NS6detail17trampoline_kernelINS0_14default_configENS1_20scan_config_selectorIiEEZZNS1_9scan_implILNS1_25lookback_scan_determinismE0ELb0ELb0ES3_N6thrust23THRUST_200600_302600_NS6detail15normal_iteratorINS9_10device_ptrIiEEEESE_i9plus_mod3IiEiEEDaPvRmT3_T4_T5_mT6_P12ihipStream_tbENKUlT_T0_E_clISt17integral_constantIbLb0EESU_EEDaSP_SQ_EUlSP_E_NS1_11comp_targetILNS1_3genE9ELNS1_11target_archE1100ELNS1_3gpuE3ELNS1_3repE0EEENS1_30default_config_static_selectorELNS0_4arch9wavefront6targetE1EEEvT1_: ; @_ZN7rocprim17ROCPRIM_400000_NS6detail17trampoline_kernelINS0_14default_configENS1_20scan_config_selectorIiEEZZNS1_9scan_implILNS1_25lookback_scan_determinismE0ELb0ELb0ES3_N6thrust23THRUST_200600_302600_NS6detail15normal_iteratorINS9_10device_ptrIiEEEESE_i9plus_mod3IiEiEEDaPvRmT3_T4_T5_mT6_P12ihipStream_tbENKUlT_T0_E_clISt17integral_constantIbLb0EESU_EEDaSP_SQ_EUlSP_E_NS1_11comp_targetILNS1_3genE9ELNS1_11target_archE1100ELNS1_3gpuE3ELNS1_3repE0EEENS1_30default_config_static_selectorELNS0_4arch9wavefront6targetE1EEEvT1_
; %bb.0:
	.section	.rodata,"a",@progbits
	.p2align	6, 0x0
	.amdhsa_kernel _ZN7rocprim17ROCPRIM_400000_NS6detail17trampoline_kernelINS0_14default_configENS1_20scan_config_selectorIiEEZZNS1_9scan_implILNS1_25lookback_scan_determinismE0ELb0ELb0ES3_N6thrust23THRUST_200600_302600_NS6detail15normal_iteratorINS9_10device_ptrIiEEEESE_i9plus_mod3IiEiEEDaPvRmT3_T4_T5_mT6_P12ihipStream_tbENKUlT_T0_E_clISt17integral_constantIbLb0EESU_EEDaSP_SQ_EUlSP_E_NS1_11comp_targetILNS1_3genE9ELNS1_11target_archE1100ELNS1_3gpuE3ELNS1_3repE0EEENS1_30default_config_static_selectorELNS0_4arch9wavefront6targetE1EEEvT1_
		.amdhsa_group_segment_fixed_size 0
		.amdhsa_private_segment_fixed_size 0
		.amdhsa_kernarg_size 104
		.amdhsa_user_sgpr_count 6
		.amdhsa_user_sgpr_private_segment_buffer 1
		.amdhsa_user_sgpr_dispatch_ptr 0
		.amdhsa_user_sgpr_queue_ptr 0
		.amdhsa_user_sgpr_kernarg_segment_ptr 1
		.amdhsa_user_sgpr_dispatch_id 0
		.amdhsa_user_sgpr_flat_scratch_init 0
		.amdhsa_user_sgpr_kernarg_preload_length 0
		.amdhsa_user_sgpr_kernarg_preload_offset 0
		.amdhsa_user_sgpr_private_segment_size 0
		.amdhsa_uses_dynamic_stack 0
		.amdhsa_system_sgpr_private_segment_wavefront_offset 0
		.amdhsa_system_sgpr_workgroup_id_x 1
		.amdhsa_system_sgpr_workgroup_id_y 0
		.amdhsa_system_sgpr_workgroup_id_z 0
		.amdhsa_system_sgpr_workgroup_info 0
		.amdhsa_system_vgpr_workitem_id 0
		.amdhsa_next_free_vgpr 1
		.amdhsa_next_free_sgpr 0
		.amdhsa_accum_offset 4
		.amdhsa_reserve_vcc 0
		.amdhsa_reserve_flat_scratch 0
		.amdhsa_float_round_mode_32 0
		.amdhsa_float_round_mode_16_64 0
		.amdhsa_float_denorm_mode_32 3
		.amdhsa_float_denorm_mode_16_64 3
		.amdhsa_dx10_clamp 1
		.amdhsa_ieee_mode 1
		.amdhsa_fp16_overflow 0
		.amdhsa_tg_split 0
		.amdhsa_exception_fp_ieee_invalid_op 0
		.amdhsa_exception_fp_denorm_src 0
		.amdhsa_exception_fp_ieee_div_zero 0
		.amdhsa_exception_fp_ieee_overflow 0
		.amdhsa_exception_fp_ieee_underflow 0
		.amdhsa_exception_fp_ieee_inexact 0
		.amdhsa_exception_int_div_zero 0
	.end_amdhsa_kernel
	.section	.text._ZN7rocprim17ROCPRIM_400000_NS6detail17trampoline_kernelINS0_14default_configENS1_20scan_config_selectorIiEEZZNS1_9scan_implILNS1_25lookback_scan_determinismE0ELb0ELb0ES3_N6thrust23THRUST_200600_302600_NS6detail15normal_iteratorINS9_10device_ptrIiEEEESE_i9plus_mod3IiEiEEDaPvRmT3_T4_T5_mT6_P12ihipStream_tbENKUlT_T0_E_clISt17integral_constantIbLb0EESU_EEDaSP_SQ_EUlSP_E_NS1_11comp_targetILNS1_3genE9ELNS1_11target_archE1100ELNS1_3gpuE3ELNS1_3repE0EEENS1_30default_config_static_selectorELNS0_4arch9wavefront6targetE1EEEvT1_,"axG",@progbits,_ZN7rocprim17ROCPRIM_400000_NS6detail17trampoline_kernelINS0_14default_configENS1_20scan_config_selectorIiEEZZNS1_9scan_implILNS1_25lookback_scan_determinismE0ELb0ELb0ES3_N6thrust23THRUST_200600_302600_NS6detail15normal_iteratorINS9_10device_ptrIiEEEESE_i9plus_mod3IiEiEEDaPvRmT3_T4_T5_mT6_P12ihipStream_tbENKUlT_T0_E_clISt17integral_constantIbLb0EESU_EEDaSP_SQ_EUlSP_E_NS1_11comp_targetILNS1_3genE9ELNS1_11target_archE1100ELNS1_3gpuE3ELNS1_3repE0EEENS1_30default_config_static_selectorELNS0_4arch9wavefront6targetE1EEEvT1_,comdat
.Lfunc_end6613:
	.size	_ZN7rocprim17ROCPRIM_400000_NS6detail17trampoline_kernelINS0_14default_configENS1_20scan_config_selectorIiEEZZNS1_9scan_implILNS1_25lookback_scan_determinismE0ELb0ELb0ES3_N6thrust23THRUST_200600_302600_NS6detail15normal_iteratorINS9_10device_ptrIiEEEESE_i9plus_mod3IiEiEEDaPvRmT3_T4_T5_mT6_P12ihipStream_tbENKUlT_T0_E_clISt17integral_constantIbLb0EESU_EEDaSP_SQ_EUlSP_E_NS1_11comp_targetILNS1_3genE9ELNS1_11target_archE1100ELNS1_3gpuE3ELNS1_3repE0EEENS1_30default_config_static_selectorELNS0_4arch9wavefront6targetE1EEEvT1_, .Lfunc_end6613-_ZN7rocprim17ROCPRIM_400000_NS6detail17trampoline_kernelINS0_14default_configENS1_20scan_config_selectorIiEEZZNS1_9scan_implILNS1_25lookback_scan_determinismE0ELb0ELb0ES3_N6thrust23THRUST_200600_302600_NS6detail15normal_iteratorINS9_10device_ptrIiEEEESE_i9plus_mod3IiEiEEDaPvRmT3_T4_T5_mT6_P12ihipStream_tbENKUlT_T0_E_clISt17integral_constantIbLb0EESU_EEDaSP_SQ_EUlSP_E_NS1_11comp_targetILNS1_3genE9ELNS1_11target_archE1100ELNS1_3gpuE3ELNS1_3repE0EEENS1_30default_config_static_selectorELNS0_4arch9wavefront6targetE1EEEvT1_
                                        ; -- End function
	.section	.AMDGPU.csdata,"",@progbits
; Kernel info:
; codeLenInByte = 0
; NumSgprs: 4
; NumVgprs: 0
; NumAgprs: 0
; TotalNumVgprs: 0
; ScratchSize: 0
; MemoryBound: 0
; FloatMode: 240
; IeeeMode: 1
; LDSByteSize: 0 bytes/workgroup (compile time only)
; SGPRBlocks: 0
; VGPRBlocks: 0
; NumSGPRsForWavesPerEU: 4
; NumVGPRsForWavesPerEU: 1
; AccumOffset: 4
; Occupancy: 8
; WaveLimiterHint : 0
; COMPUTE_PGM_RSRC2:SCRATCH_EN: 0
; COMPUTE_PGM_RSRC2:USER_SGPR: 6
; COMPUTE_PGM_RSRC2:TRAP_HANDLER: 0
; COMPUTE_PGM_RSRC2:TGID_X_EN: 1
; COMPUTE_PGM_RSRC2:TGID_Y_EN: 0
; COMPUTE_PGM_RSRC2:TGID_Z_EN: 0
; COMPUTE_PGM_RSRC2:TIDIG_COMP_CNT: 0
; COMPUTE_PGM_RSRC3_GFX90A:ACCUM_OFFSET: 0
; COMPUTE_PGM_RSRC3_GFX90A:TG_SPLIT: 0
	.section	.text._ZN7rocprim17ROCPRIM_400000_NS6detail17trampoline_kernelINS0_14default_configENS1_20scan_config_selectorIiEEZZNS1_9scan_implILNS1_25lookback_scan_determinismE0ELb0ELb0ES3_N6thrust23THRUST_200600_302600_NS6detail15normal_iteratorINS9_10device_ptrIiEEEESE_i9plus_mod3IiEiEEDaPvRmT3_T4_T5_mT6_P12ihipStream_tbENKUlT_T0_E_clISt17integral_constantIbLb0EESU_EEDaSP_SQ_EUlSP_E_NS1_11comp_targetILNS1_3genE8ELNS1_11target_archE1030ELNS1_3gpuE2ELNS1_3repE0EEENS1_30default_config_static_selectorELNS0_4arch9wavefront6targetE1EEEvT1_,"axG",@progbits,_ZN7rocprim17ROCPRIM_400000_NS6detail17trampoline_kernelINS0_14default_configENS1_20scan_config_selectorIiEEZZNS1_9scan_implILNS1_25lookback_scan_determinismE0ELb0ELb0ES3_N6thrust23THRUST_200600_302600_NS6detail15normal_iteratorINS9_10device_ptrIiEEEESE_i9plus_mod3IiEiEEDaPvRmT3_T4_T5_mT6_P12ihipStream_tbENKUlT_T0_E_clISt17integral_constantIbLb0EESU_EEDaSP_SQ_EUlSP_E_NS1_11comp_targetILNS1_3genE8ELNS1_11target_archE1030ELNS1_3gpuE2ELNS1_3repE0EEENS1_30default_config_static_selectorELNS0_4arch9wavefront6targetE1EEEvT1_,comdat
	.protected	_ZN7rocprim17ROCPRIM_400000_NS6detail17trampoline_kernelINS0_14default_configENS1_20scan_config_selectorIiEEZZNS1_9scan_implILNS1_25lookback_scan_determinismE0ELb0ELb0ES3_N6thrust23THRUST_200600_302600_NS6detail15normal_iteratorINS9_10device_ptrIiEEEESE_i9plus_mod3IiEiEEDaPvRmT3_T4_T5_mT6_P12ihipStream_tbENKUlT_T0_E_clISt17integral_constantIbLb0EESU_EEDaSP_SQ_EUlSP_E_NS1_11comp_targetILNS1_3genE8ELNS1_11target_archE1030ELNS1_3gpuE2ELNS1_3repE0EEENS1_30default_config_static_selectorELNS0_4arch9wavefront6targetE1EEEvT1_ ; -- Begin function _ZN7rocprim17ROCPRIM_400000_NS6detail17trampoline_kernelINS0_14default_configENS1_20scan_config_selectorIiEEZZNS1_9scan_implILNS1_25lookback_scan_determinismE0ELb0ELb0ES3_N6thrust23THRUST_200600_302600_NS6detail15normal_iteratorINS9_10device_ptrIiEEEESE_i9plus_mod3IiEiEEDaPvRmT3_T4_T5_mT6_P12ihipStream_tbENKUlT_T0_E_clISt17integral_constantIbLb0EESU_EEDaSP_SQ_EUlSP_E_NS1_11comp_targetILNS1_3genE8ELNS1_11target_archE1030ELNS1_3gpuE2ELNS1_3repE0EEENS1_30default_config_static_selectorELNS0_4arch9wavefront6targetE1EEEvT1_
	.globl	_ZN7rocprim17ROCPRIM_400000_NS6detail17trampoline_kernelINS0_14default_configENS1_20scan_config_selectorIiEEZZNS1_9scan_implILNS1_25lookback_scan_determinismE0ELb0ELb0ES3_N6thrust23THRUST_200600_302600_NS6detail15normal_iteratorINS9_10device_ptrIiEEEESE_i9plus_mod3IiEiEEDaPvRmT3_T4_T5_mT6_P12ihipStream_tbENKUlT_T0_E_clISt17integral_constantIbLb0EESU_EEDaSP_SQ_EUlSP_E_NS1_11comp_targetILNS1_3genE8ELNS1_11target_archE1030ELNS1_3gpuE2ELNS1_3repE0EEENS1_30default_config_static_selectorELNS0_4arch9wavefront6targetE1EEEvT1_
	.p2align	8
	.type	_ZN7rocprim17ROCPRIM_400000_NS6detail17trampoline_kernelINS0_14default_configENS1_20scan_config_selectorIiEEZZNS1_9scan_implILNS1_25lookback_scan_determinismE0ELb0ELb0ES3_N6thrust23THRUST_200600_302600_NS6detail15normal_iteratorINS9_10device_ptrIiEEEESE_i9plus_mod3IiEiEEDaPvRmT3_T4_T5_mT6_P12ihipStream_tbENKUlT_T0_E_clISt17integral_constantIbLb0EESU_EEDaSP_SQ_EUlSP_E_NS1_11comp_targetILNS1_3genE8ELNS1_11target_archE1030ELNS1_3gpuE2ELNS1_3repE0EEENS1_30default_config_static_selectorELNS0_4arch9wavefront6targetE1EEEvT1_,@function
_ZN7rocprim17ROCPRIM_400000_NS6detail17trampoline_kernelINS0_14default_configENS1_20scan_config_selectorIiEEZZNS1_9scan_implILNS1_25lookback_scan_determinismE0ELb0ELb0ES3_N6thrust23THRUST_200600_302600_NS6detail15normal_iteratorINS9_10device_ptrIiEEEESE_i9plus_mod3IiEiEEDaPvRmT3_T4_T5_mT6_P12ihipStream_tbENKUlT_T0_E_clISt17integral_constantIbLb0EESU_EEDaSP_SQ_EUlSP_E_NS1_11comp_targetILNS1_3genE8ELNS1_11target_archE1030ELNS1_3gpuE2ELNS1_3repE0EEENS1_30default_config_static_selectorELNS0_4arch9wavefront6targetE1EEEvT1_: ; @_ZN7rocprim17ROCPRIM_400000_NS6detail17trampoline_kernelINS0_14default_configENS1_20scan_config_selectorIiEEZZNS1_9scan_implILNS1_25lookback_scan_determinismE0ELb0ELb0ES3_N6thrust23THRUST_200600_302600_NS6detail15normal_iteratorINS9_10device_ptrIiEEEESE_i9plus_mod3IiEiEEDaPvRmT3_T4_T5_mT6_P12ihipStream_tbENKUlT_T0_E_clISt17integral_constantIbLb0EESU_EEDaSP_SQ_EUlSP_E_NS1_11comp_targetILNS1_3genE8ELNS1_11target_archE1030ELNS1_3gpuE2ELNS1_3repE0EEENS1_30default_config_static_selectorELNS0_4arch9wavefront6targetE1EEEvT1_
; %bb.0:
	.section	.rodata,"a",@progbits
	.p2align	6, 0x0
	.amdhsa_kernel _ZN7rocprim17ROCPRIM_400000_NS6detail17trampoline_kernelINS0_14default_configENS1_20scan_config_selectorIiEEZZNS1_9scan_implILNS1_25lookback_scan_determinismE0ELb0ELb0ES3_N6thrust23THRUST_200600_302600_NS6detail15normal_iteratorINS9_10device_ptrIiEEEESE_i9plus_mod3IiEiEEDaPvRmT3_T4_T5_mT6_P12ihipStream_tbENKUlT_T0_E_clISt17integral_constantIbLb0EESU_EEDaSP_SQ_EUlSP_E_NS1_11comp_targetILNS1_3genE8ELNS1_11target_archE1030ELNS1_3gpuE2ELNS1_3repE0EEENS1_30default_config_static_selectorELNS0_4arch9wavefront6targetE1EEEvT1_
		.amdhsa_group_segment_fixed_size 0
		.amdhsa_private_segment_fixed_size 0
		.amdhsa_kernarg_size 104
		.amdhsa_user_sgpr_count 6
		.amdhsa_user_sgpr_private_segment_buffer 1
		.amdhsa_user_sgpr_dispatch_ptr 0
		.amdhsa_user_sgpr_queue_ptr 0
		.amdhsa_user_sgpr_kernarg_segment_ptr 1
		.amdhsa_user_sgpr_dispatch_id 0
		.amdhsa_user_sgpr_flat_scratch_init 0
		.amdhsa_user_sgpr_kernarg_preload_length 0
		.amdhsa_user_sgpr_kernarg_preload_offset 0
		.amdhsa_user_sgpr_private_segment_size 0
		.amdhsa_uses_dynamic_stack 0
		.amdhsa_system_sgpr_private_segment_wavefront_offset 0
		.amdhsa_system_sgpr_workgroup_id_x 1
		.amdhsa_system_sgpr_workgroup_id_y 0
		.amdhsa_system_sgpr_workgroup_id_z 0
		.amdhsa_system_sgpr_workgroup_info 0
		.amdhsa_system_vgpr_workitem_id 0
		.amdhsa_next_free_vgpr 1
		.amdhsa_next_free_sgpr 0
		.amdhsa_accum_offset 4
		.amdhsa_reserve_vcc 0
		.amdhsa_reserve_flat_scratch 0
		.amdhsa_float_round_mode_32 0
		.amdhsa_float_round_mode_16_64 0
		.amdhsa_float_denorm_mode_32 3
		.amdhsa_float_denorm_mode_16_64 3
		.amdhsa_dx10_clamp 1
		.amdhsa_ieee_mode 1
		.amdhsa_fp16_overflow 0
		.amdhsa_tg_split 0
		.amdhsa_exception_fp_ieee_invalid_op 0
		.amdhsa_exception_fp_denorm_src 0
		.amdhsa_exception_fp_ieee_div_zero 0
		.amdhsa_exception_fp_ieee_overflow 0
		.amdhsa_exception_fp_ieee_underflow 0
		.amdhsa_exception_fp_ieee_inexact 0
		.amdhsa_exception_int_div_zero 0
	.end_amdhsa_kernel
	.section	.text._ZN7rocprim17ROCPRIM_400000_NS6detail17trampoline_kernelINS0_14default_configENS1_20scan_config_selectorIiEEZZNS1_9scan_implILNS1_25lookback_scan_determinismE0ELb0ELb0ES3_N6thrust23THRUST_200600_302600_NS6detail15normal_iteratorINS9_10device_ptrIiEEEESE_i9plus_mod3IiEiEEDaPvRmT3_T4_T5_mT6_P12ihipStream_tbENKUlT_T0_E_clISt17integral_constantIbLb0EESU_EEDaSP_SQ_EUlSP_E_NS1_11comp_targetILNS1_3genE8ELNS1_11target_archE1030ELNS1_3gpuE2ELNS1_3repE0EEENS1_30default_config_static_selectorELNS0_4arch9wavefront6targetE1EEEvT1_,"axG",@progbits,_ZN7rocprim17ROCPRIM_400000_NS6detail17trampoline_kernelINS0_14default_configENS1_20scan_config_selectorIiEEZZNS1_9scan_implILNS1_25lookback_scan_determinismE0ELb0ELb0ES3_N6thrust23THRUST_200600_302600_NS6detail15normal_iteratorINS9_10device_ptrIiEEEESE_i9plus_mod3IiEiEEDaPvRmT3_T4_T5_mT6_P12ihipStream_tbENKUlT_T0_E_clISt17integral_constantIbLb0EESU_EEDaSP_SQ_EUlSP_E_NS1_11comp_targetILNS1_3genE8ELNS1_11target_archE1030ELNS1_3gpuE2ELNS1_3repE0EEENS1_30default_config_static_selectorELNS0_4arch9wavefront6targetE1EEEvT1_,comdat
.Lfunc_end6614:
	.size	_ZN7rocprim17ROCPRIM_400000_NS6detail17trampoline_kernelINS0_14default_configENS1_20scan_config_selectorIiEEZZNS1_9scan_implILNS1_25lookback_scan_determinismE0ELb0ELb0ES3_N6thrust23THRUST_200600_302600_NS6detail15normal_iteratorINS9_10device_ptrIiEEEESE_i9plus_mod3IiEiEEDaPvRmT3_T4_T5_mT6_P12ihipStream_tbENKUlT_T0_E_clISt17integral_constantIbLb0EESU_EEDaSP_SQ_EUlSP_E_NS1_11comp_targetILNS1_3genE8ELNS1_11target_archE1030ELNS1_3gpuE2ELNS1_3repE0EEENS1_30default_config_static_selectorELNS0_4arch9wavefront6targetE1EEEvT1_, .Lfunc_end6614-_ZN7rocprim17ROCPRIM_400000_NS6detail17trampoline_kernelINS0_14default_configENS1_20scan_config_selectorIiEEZZNS1_9scan_implILNS1_25lookback_scan_determinismE0ELb0ELb0ES3_N6thrust23THRUST_200600_302600_NS6detail15normal_iteratorINS9_10device_ptrIiEEEESE_i9plus_mod3IiEiEEDaPvRmT3_T4_T5_mT6_P12ihipStream_tbENKUlT_T0_E_clISt17integral_constantIbLb0EESU_EEDaSP_SQ_EUlSP_E_NS1_11comp_targetILNS1_3genE8ELNS1_11target_archE1030ELNS1_3gpuE2ELNS1_3repE0EEENS1_30default_config_static_selectorELNS0_4arch9wavefront6targetE1EEEvT1_
                                        ; -- End function
	.section	.AMDGPU.csdata,"",@progbits
; Kernel info:
; codeLenInByte = 0
; NumSgprs: 4
; NumVgprs: 0
; NumAgprs: 0
; TotalNumVgprs: 0
; ScratchSize: 0
; MemoryBound: 0
; FloatMode: 240
; IeeeMode: 1
; LDSByteSize: 0 bytes/workgroup (compile time only)
; SGPRBlocks: 0
; VGPRBlocks: 0
; NumSGPRsForWavesPerEU: 4
; NumVGPRsForWavesPerEU: 1
; AccumOffset: 4
; Occupancy: 8
; WaveLimiterHint : 0
; COMPUTE_PGM_RSRC2:SCRATCH_EN: 0
; COMPUTE_PGM_RSRC2:USER_SGPR: 6
; COMPUTE_PGM_RSRC2:TRAP_HANDLER: 0
; COMPUTE_PGM_RSRC2:TGID_X_EN: 1
; COMPUTE_PGM_RSRC2:TGID_Y_EN: 0
; COMPUTE_PGM_RSRC2:TGID_Z_EN: 0
; COMPUTE_PGM_RSRC2:TIDIG_COMP_CNT: 0
; COMPUTE_PGM_RSRC3_GFX90A:ACCUM_OFFSET: 0
; COMPUTE_PGM_RSRC3_GFX90A:TG_SPLIT: 0
	.section	.text._ZN7rocprim17ROCPRIM_400000_NS6detail17trampoline_kernelINS0_14default_configENS1_20scan_config_selectorIiEEZZNS1_9scan_implILNS1_25lookback_scan_determinismE0ELb0ELb0ES3_N6thrust23THRUST_200600_302600_NS6detail15normal_iteratorINS9_10device_ptrIiEEEESE_i9plus_mod3IiEiEEDaPvRmT3_T4_T5_mT6_P12ihipStream_tbENKUlT_T0_E_clISt17integral_constantIbLb0EESU_EEDaSP_SQ_EUlSP_E0_NS1_11comp_targetILNS1_3genE0ELNS1_11target_archE4294967295ELNS1_3gpuE0ELNS1_3repE0EEENS1_30default_config_static_selectorELNS0_4arch9wavefront6targetE1EEEvT1_,"axG",@progbits,_ZN7rocprim17ROCPRIM_400000_NS6detail17trampoline_kernelINS0_14default_configENS1_20scan_config_selectorIiEEZZNS1_9scan_implILNS1_25lookback_scan_determinismE0ELb0ELb0ES3_N6thrust23THRUST_200600_302600_NS6detail15normal_iteratorINS9_10device_ptrIiEEEESE_i9plus_mod3IiEiEEDaPvRmT3_T4_T5_mT6_P12ihipStream_tbENKUlT_T0_E_clISt17integral_constantIbLb0EESU_EEDaSP_SQ_EUlSP_E0_NS1_11comp_targetILNS1_3genE0ELNS1_11target_archE4294967295ELNS1_3gpuE0ELNS1_3repE0EEENS1_30default_config_static_selectorELNS0_4arch9wavefront6targetE1EEEvT1_,comdat
	.protected	_ZN7rocprim17ROCPRIM_400000_NS6detail17trampoline_kernelINS0_14default_configENS1_20scan_config_selectorIiEEZZNS1_9scan_implILNS1_25lookback_scan_determinismE0ELb0ELb0ES3_N6thrust23THRUST_200600_302600_NS6detail15normal_iteratorINS9_10device_ptrIiEEEESE_i9plus_mod3IiEiEEDaPvRmT3_T4_T5_mT6_P12ihipStream_tbENKUlT_T0_E_clISt17integral_constantIbLb0EESU_EEDaSP_SQ_EUlSP_E0_NS1_11comp_targetILNS1_3genE0ELNS1_11target_archE4294967295ELNS1_3gpuE0ELNS1_3repE0EEENS1_30default_config_static_selectorELNS0_4arch9wavefront6targetE1EEEvT1_ ; -- Begin function _ZN7rocprim17ROCPRIM_400000_NS6detail17trampoline_kernelINS0_14default_configENS1_20scan_config_selectorIiEEZZNS1_9scan_implILNS1_25lookback_scan_determinismE0ELb0ELb0ES3_N6thrust23THRUST_200600_302600_NS6detail15normal_iteratorINS9_10device_ptrIiEEEESE_i9plus_mod3IiEiEEDaPvRmT3_T4_T5_mT6_P12ihipStream_tbENKUlT_T0_E_clISt17integral_constantIbLb0EESU_EEDaSP_SQ_EUlSP_E0_NS1_11comp_targetILNS1_3genE0ELNS1_11target_archE4294967295ELNS1_3gpuE0ELNS1_3repE0EEENS1_30default_config_static_selectorELNS0_4arch9wavefront6targetE1EEEvT1_
	.globl	_ZN7rocprim17ROCPRIM_400000_NS6detail17trampoline_kernelINS0_14default_configENS1_20scan_config_selectorIiEEZZNS1_9scan_implILNS1_25lookback_scan_determinismE0ELb0ELb0ES3_N6thrust23THRUST_200600_302600_NS6detail15normal_iteratorINS9_10device_ptrIiEEEESE_i9plus_mod3IiEiEEDaPvRmT3_T4_T5_mT6_P12ihipStream_tbENKUlT_T0_E_clISt17integral_constantIbLb0EESU_EEDaSP_SQ_EUlSP_E0_NS1_11comp_targetILNS1_3genE0ELNS1_11target_archE4294967295ELNS1_3gpuE0ELNS1_3repE0EEENS1_30default_config_static_selectorELNS0_4arch9wavefront6targetE1EEEvT1_
	.p2align	8
	.type	_ZN7rocprim17ROCPRIM_400000_NS6detail17trampoline_kernelINS0_14default_configENS1_20scan_config_selectorIiEEZZNS1_9scan_implILNS1_25lookback_scan_determinismE0ELb0ELb0ES3_N6thrust23THRUST_200600_302600_NS6detail15normal_iteratorINS9_10device_ptrIiEEEESE_i9plus_mod3IiEiEEDaPvRmT3_T4_T5_mT6_P12ihipStream_tbENKUlT_T0_E_clISt17integral_constantIbLb0EESU_EEDaSP_SQ_EUlSP_E0_NS1_11comp_targetILNS1_3genE0ELNS1_11target_archE4294967295ELNS1_3gpuE0ELNS1_3repE0EEENS1_30default_config_static_selectorELNS0_4arch9wavefront6targetE1EEEvT1_,@function
_ZN7rocprim17ROCPRIM_400000_NS6detail17trampoline_kernelINS0_14default_configENS1_20scan_config_selectorIiEEZZNS1_9scan_implILNS1_25lookback_scan_determinismE0ELb0ELb0ES3_N6thrust23THRUST_200600_302600_NS6detail15normal_iteratorINS9_10device_ptrIiEEEESE_i9plus_mod3IiEiEEDaPvRmT3_T4_T5_mT6_P12ihipStream_tbENKUlT_T0_E_clISt17integral_constantIbLb0EESU_EEDaSP_SQ_EUlSP_E0_NS1_11comp_targetILNS1_3genE0ELNS1_11target_archE4294967295ELNS1_3gpuE0ELNS1_3repE0EEENS1_30default_config_static_selectorELNS0_4arch9wavefront6targetE1EEEvT1_: ; @_ZN7rocprim17ROCPRIM_400000_NS6detail17trampoline_kernelINS0_14default_configENS1_20scan_config_selectorIiEEZZNS1_9scan_implILNS1_25lookback_scan_determinismE0ELb0ELb0ES3_N6thrust23THRUST_200600_302600_NS6detail15normal_iteratorINS9_10device_ptrIiEEEESE_i9plus_mod3IiEiEEDaPvRmT3_T4_T5_mT6_P12ihipStream_tbENKUlT_T0_E_clISt17integral_constantIbLb0EESU_EEDaSP_SQ_EUlSP_E0_NS1_11comp_targetILNS1_3genE0ELNS1_11target_archE4294967295ELNS1_3gpuE0ELNS1_3repE0EEENS1_30default_config_static_selectorELNS0_4arch9wavefront6targetE1EEEvT1_
; %bb.0:
	.section	.rodata,"a",@progbits
	.p2align	6, 0x0
	.amdhsa_kernel _ZN7rocprim17ROCPRIM_400000_NS6detail17trampoline_kernelINS0_14default_configENS1_20scan_config_selectorIiEEZZNS1_9scan_implILNS1_25lookback_scan_determinismE0ELb0ELb0ES3_N6thrust23THRUST_200600_302600_NS6detail15normal_iteratorINS9_10device_ptrIiEEEESE_i9plus_mod3IiEiEEDaPvRmT3_T4_T5_mT6_P12ihipStream_tbENKUlT_T0_E_clISt17integral_constantIbLb0EESU_EEDaSP_SQ_EUlSP_E0_NS1_11comp_targetILNS1_3genE0ELNS1_11target_archE4294967295ELNS1_3gpuE0ELNS1_3repE0EEENS1_30default_config_static_selectorELNS0_4arch9wavefront6targetE1EEEvT1_
		.amdhsa_group_segment_fixed_size 0
		.amdhsa_private_segment_fixed_size 0
		.amdhsa_kernarg_size 40
		.amdhsa_user_sgpr_count 6
		.amdhsa_user_sgpr_private_segment_buffer 1
		.amdhsa_user_sgpr_dispatch_ptr 0
		.amdhsa_user_sgpr_queue_ptr 0
		.amdhsa_user_sgpr_kernarg_segment_ptr 1
		.amdhsa_user_sgpr_dispatch_id 0
		.amdhsa_user_sgpr_flat_scratch_init 0
		.amdhsa_user_sgpr_kernarg_preload_length 0
		.amdhsa_user_sgpr_kernarg_preload_offset 0
		.amdhsa_user_sgpr_private_segment_size 0
		.amdhsa_uses_dynamic_stack 0
		.amdhsa_system_sgpr_private_segment_wavefront_offset 0
		.amdhsa_system_sgpr_workgroup_id_x 1
		.amdhsa_system_sgpr_workgroup_id_y 0
		.amdhsa_system_sgpr_workgroup_id_z 0
		.amdhsa_system_sgpr_workgroup_info 0
		.amdhsa_system_vgpr_workitem_id 0
		.amdhsa_next_free_vgpr 1
		.amdhsa_next_free_sgpr 0
		.amdhsa_accum_offset 4
		.amdhsa_reserve_vcc 0
		.amdhsa_reserve_flat_scratch 0
		.amdhsa_float_round_mode_32 0
		.amdhsa_float_round_mode_16_64 0
		.amdhsa_float_denorm_mode_32 3
		.amdhsa_float_denorm_mode_16_64 3
		.amdhsa_dx10_clamp 1
		.amdhsa_ieee_mode 1
		.amdhsa_fp16_overflow 0
		.amdhsa_tg_split 0
		.amdhsa_exception_fp_ieee_invalid_op 0
		.amdhsa_exception_fp_denorm_src 0
		.amdhsa_exception_fp_ieee_div_zero 0
		.amdhsa_exception_fp_ieee_overflow 0
		.amdhsa_exception_fp_ieee_underflow 0
		.amdhsa_exception_fp_ieee_inexact 0
		.amdhsa_exception_int_div_zero 0
	.end_amdhsa_kernel
	.section	.text._ZN7rocprim17ROCPRIM_400000_NS6detail17trampoline_kernelINS0_14default_configENS1_20scan_config_selectorIiEEZZNS1_9scan_implILNS1_25lookback_scan_determinismE0ELb0ELb0ES3_N6thrust23THRUST_200600_302600_NS6detail15normal_iteratorINS9_10device_ptrIiEEEESE_i9plus_mod3IiEiEEDaPvRmT3_T4_T5_mT6_P12ihipStream_tbENKUlT_T0_E_clISt17integral_constantIbLb0EESU_EEDaSP_SQ_EUlSP_E0_NS1_11comp_targetILNS1_3genE0ELNS1_11target_archE4294967295ELNS1_3gpuE0ELNS1_3repE0EEENS1_30default_config_static_selectorELNS0_4arch9wavefront6targetE1EEEvT1_,"axG",@progbits,_ZN7rocprim17ROCPRIM_400000_NS6detail17trampoline_kernelINS0_14default_configENS1_20scan_config_selectorIiEEZZNS1_9scan_implILNS1_25lookback_scan_determinismE0ELb0ELb0ES3_N6thrust23THRUST_200600_302600_NS6detail15normal_iteratorINS9_10device_ptrIiEEEESE_i9plus_mod3IiEiEEDaPvRmT3_T4_T5_mT6_P12ihipStream_tbENKUlT_T0_E_clISt17integral_constantIbLb0EESU_EEDaSP_SQ_EUlSP_E0_NS1_11comp_targetILNS1_3genE0ELNS1_11target_archE4294967295ELNS1_3gpuE0ELNS1_3repE0EEENS1_30default_config_static_selectorELNS0_4arch9wavefront6targetE1EEEvT1_,comdat
.Lfunc_end6615:
	.size	_ZN7rocprim17ROCPRIM_400000_NS6detail17trampoline_kernelINS0_14default_configENS1_20scan_config_selectorIiEEZZNS1_9scan_implILNS1_25lookback_scan_determinismE0ELb0ELb0ES3_N6thrust23THRUST_200600_302600_NS6detail15normal_iteratorINS9_10device_ptrIiEEEESE_i9plus_mod3IiEiEEDaPvRmT3_T4_T5_mT6_P12ihipStream_tbENKUlT_T0_E_clISt17integral_constantIbLb0EESU_EEDaSP_SQ_EUlSP_E0_NS1_11comp_targetILNS1_3genE0ELNS1_11target_archE4294967295ELNS1_3gpuE0ELNS1_3repE0EEENS1_30default_config_static_selectorELNS0_4arch9wavefront6targetE1EEEvT1_, .Lfunc_end6615-_ZN7rocprim17ROCPRIM_400000_NS6detail17trampoline_kernelINS0_14default_configENS1_20scan_config_selectorIiEEZZNS1_9scan_implILNS1_25lookback_scan_determinismE0ELb0ELb0ES3_N6thrust23THRUST_200600_302600_NS6detail15normal_iteratorINS9_10device_ptrIiEEEESE_i9plus_mod3IiEiEEDaPvRmT3_T4_T5_mT6_P12ihipStream_tbENKUlT_T0_E_clISt17integral_constantIbLb0EESU_EEDaSP_SQ_EUlSP_E0_NS1_11comp_targetILNS1_3genE0ELNS1_11target_archE4294967295ELNS1_3gpuE0ELNS1_3repE0EEENS1_30default_config_static_selectorELNS0_4arch9wavefront6targetE1EEEvT1_
                                        ; -- End function
	.section	.AMDGPU.csdata,"",@progbits
; Kernel info:
; codeLenInByte = 0
; NumSgprs: 4
; NumVgprs: 0
; NumAgprs: 0
; TotalNumVgprs: 0
; ScratchSize: 0
; MemoryBound: 0
; FloatMode: 240
; IeeeMode: 1
; LDSByteSize: 0 bytes/workgroup (compile time only)
; SGPRBlocks: 0
; VGPRBlocks: 0
; NumSGPRsForWavesPerEU: 4
; NumVGPRsForWavesPerEU: 1
; AccumOffset: 4
; Occupancy: 8
; WaveLimiterHint : 0
; COMPUTE_PGM_RSRC2:SCRATCH_EN: 0
; COMPUTE_PGM_RSRC2:USER_SGPR: 6
; COMPUTE_PGM_RSRC2:TRAP_HANDLER: 0
; COMPUTE_PGM_RSRC2:TGID_X_EN: 1
; COMPUTE_PGM_RSRC2:TGID_Y_EN: 0
; COMPUTE_PGM_RSRC2:TGID_Z_EN: 0
; COMPUTE_PGM_RSRC2:TIDIG_COMP_CNT: 0
; COMPUTE_PGM_RSRC3_GFX90A:ACCUM_OFFSET: 0
; COMPUTE_PGM_RSRC3_GFX90A:TG_SPLIT: 0
	.section	.text._ZN7rocprim17ROCPRIM_400000_NS6detail17trampoline_kernelINS0_14default_configENS1_20scan_config_selectorIiEEZZNS1_9scan_implILNS1_25lookback_scan_determinismE0ELb0ELb0ES3_N6thrust23THRUST_200600_302600_NS6detail15normal_iteratorINS9_10device_ptrIiEEEESE_i9plus_mod3IiEiEEDaPvRmT3_T4_T5_mT6_P12ihipStream_tbENKUlT_T0_E_clISt17integral_constantIbLb0EESU_EEDaSP_SQ_EUlSP_E0_NS1_11comp_targetILNS1_3genE5ELNS1_11target_archE942ELNS1_3gpuE9ELNS1_3repE0EEENS1_30default_config_static_selectorELNS0_4arch9wavefront6targetE1EEEvT1_,"axG",@progbits,_ZN7rocprim17ROCPRIM_400000_NS6detail17trampoline_kernelINS0_14default_configENS1_20scan_config_selectorIiEEZZNS1_9scan_implILNS1_25lookback_scan_determinismE0ELb0ELb0ES3_N6thrust23THRUST_200600_302600_NS6detail15normal_iteratorINS9_10device_ptrIiEEEESE_i9plus_mod3IiEiEEDaPvRmT3_T4_T5_mT6_P12ihipStream_tbENKUlT_T0_E_clISt17integral_constantIbLb0EESU_EEDaSP_SQ_EUlSP_E0_NS1_11comp_targetILNS1_3genE5ELNS1_11target_archE942ELNS1_3gpuE9ELNS1_3repE0EEENS1_30default_config_static_selectorELNS0_4arch9wavefront6targetE1EEEvT1_,comdat
	.protected	_ZN7rocprim17ROCPRIM_400000_NS6detail17trampoline_kernelINS0_14default_configENS1_20scan_config_selectorIiEEZZNS1_9scan_implILNS1_25lookback_scan_determinismE0ELb0ELb0ES3_N6thrust23THRUST_200600_302600_NS6detail15normal_iteratorINS9_10device_ptrIiEEEESE_i9plus_mod3IiEiEEDaPvRmT3_T4_T5_mT6_P12ihipStream_tbENKUlT_T0_E_clISt17integral_constantIbLb0EESU_EEDaSP_SQ_EUlSP_E0_NS1_11comp_targetILNS1_3genE5ELNS1_11target_archE942ELNS1_3gpuE9ELNS1_3repE0EEENS1_30default_config_static_selectorELNS0_4arch9wavefront6targetE1EEEvT1_ ; -- Begin function _ZN7rocprim17ROCPRIM_400000_NS6detail17trampoline_kernelINS0_14default_configENS1_20scan_config_selectorIiEEZZNS1_9scan_implILNS1_25lookback_scan_determinismE0ELb0ELb0ES3_N6thrust23THRUST_200600_302600_NS6detail15normal_iteratorINS9_10device_ptrIiEEEESE_i9plus_mod3IiEiEEDaPvRmT3_T4_T5_mT6_P12ihipStream_tbENKUlT_T0_E_clISt17integral_constantIbLb0EESU_EEDaSP_SQ_EUlSP_E0_NS1_11comp_targetILNS1_3genE5ELNS1_11target_archE942ELNS1_3gpuE9ELNS1_3repE0EEENS1_30default_config_static_selectorELNS0_4arch9wavefront6targetE1EEEvT1_
	.globl	_ZN7rocprim17ROCPRIM_400000_NS6detail17trampoline_kernelINS0_14default_configENS1_20scan_config_selectorIiEEZZNS1_9scan_implILNS1_25lookback_scan_determinismE0ELb0ELb0ES3_N6thrust23THRUST_200600_302600_NS6detail15normal_iteratorINS9_10device_ptrIiEEEESE_i9plus_mod3IiEiEEDaPvRmT3_T4_T5_mT6_P12ihipStream_tbENKUlT_T0_E_clISt17integral_constantIbLb0EESU_EEDaSP_SQ_EUlSP_E0_NS1_11comp_targetILNS1_3genE5ELNS1_11target_archE942ELNS1_3gpuE9ELNS1_3repE0EEENS1_30default_config_static_selectorELNS0_4arch9wavefront6targetE1EEEvT1_
	.p2align	8
	.type	_ZN7rocprim17ROCPRIM_400000_NS6detail17trampoline_kernelINS0_14default_configENS1_20scan_config_selectorIiEEZZNS1_9scan_implILNS1_25lookback_scan_determinismE0ELb0ELb0ES3_N6thrust23THRUST_200600_302600_NS6detail15normal_iteratorINS9_10device_ptrIiEEEESE_i9plus_mod3IiEiEEDaPvRmT3_T4_T5_mT6_P12ihipStream_tbENKUlT_T0_E_clISt17integral_constantIbLb0EESU_EEDaSP_SQ_EUlSP_E0_NS1_11comp_targetILNS1_3genE5ELNS1_11target_archE942ELNS1_3gpuE9ELNS1_3repE0EEENS1_30default_config_static_selectorELNS0_4arch9wavefront6targetE1EEEvT1_,@function
_ZN7rocprim17ROCPRIM_400000_NS6detail17trampoline_kernelINS0_14default_configENS1_20scan_config_selectorIiEEZZNS1_9scan_implILNS1_25lookback_scan_determinismE0ELb0ELb0ES3_N6thrust23THRUST_200600_302600_NS6detail15normal_iteratorINS9_10device_ptrIiEEEESE_i9plus_mod3IiEiEEDaPvRmT3_T4_T5_mT6_P12ihipStream_tbENKUlT_T0_E_clISt17integral_constantIbLb0EESU_EEDaSP_SQ_EUlSP_E0_NS1_11comp_targetILNS1_3genE5ELNS1_11target_archE942ELNS1_3gpuE9ELNS1_3repE0EEENS1_30default_config_static_selectorELNS0_4arch9wavefront6targetE1EEEvT1_: ; @_ZN7rocprim17ROCPRIM_400000_NS6detail17trampoline_kernelINS0_14default_configENS1_20scan_config_selectorIiEEZZNS1_9scan_implILNS1_25lookback_scan_determinismE0ELb0ELb0ES3_N6thrust23THRUST_200600_302600_NS6detail15normal_iteratorINS9_10device_ptrIiEEEESE_i9plus_mod3IiEiEEDaPvRmT3_T4_T5_mT6_P12ihipStream_tbENKUlT_T0_E_clISt17integral_constantIbLb0EESU_EEDaSP_SQ_EUlSP_E0_NS1_11comp_targetILNS1_3genE5ELNS1_11target_archE942ELNS1_3gpuE9ELNS1_3repE0EEENS1_30default_config_static_selectorELNS0_4arch9wavefront6targetE1EEEvT1_
; %bb.0:
	.section	.rodata,"a",@progbits
	.p2align	6, 0x0
	.amdhsa_kernel _ZN7rocprim17ROCPRIM_400000_NS6detail17trampoline_kernelINS0_14default_configENS1_20scan_config_selectorIiEEZZNS1_9scan_implILNS1_25lookback_scan_determinismE0ELb0ELb0ES3_N6thrust23THRUST_200600_302600_NS6detail15normal_iteratorINS9_10device_ptrIiEEEESE_i9plus_mod3IiEiEEDaPvRmT3_T4_T5_mT6_P12ihipStream_tbENKUlT_T0_E_clISt17integral_constantIbLb0EESU_EEDaSP_SQ_EUlSP_E0_NS1_11comp_targetILNS1_3genE5ELNS1_11target_archE942ELNS1_3gpuE9ELNS1_3repE0EEENS1_30default_config_static_selectorELNS0_4arch9wavefront6targetE1EEEvT1_
		.amdhsa_group_segment_fixed_size 0
		.amdhsa_private_segment_fixed_size 0
		.amdhsa_kernarg_size 40
		.amdhsa_user_sgpr_count 6
		.amdhsa_user_sgpr_private_segment_buffer 1
		.amdhsa_user_sgpr_dispatch_ptr 0
		.amdhsa_user_sgpr_queue_ptr 0
		.amdhsa_user_sgpr_kernarg_segment_ptr 1
		.amdhsa_user_sgpr_dispatch_id 0
		.amdhsa_user_sgpr_flat_scratch_init 0
		.amdhsa_user_sgpr_kernarg_preload_length 0
		.amdhsa_user_sgpr_kernarg_preload_offset 0
		.amdhsa_user_sgpr_private_segment_size 0
		.amdhsa_uses_dynamic_stack 0
		.amdhsa_system_sgpr_private_segment_wavefront_offset 0
		.amdhsa_system_sgpr_workgroup_id_x 1
		.amdhsa_system_sgpr_workgroup_id_y 0
		.amdhsa_system_sgpr_workgroup_id_z 0
		.amdhsa_system_sgpr_workgroup_info 0
		.amdhsa_system_vgpr_workitem_id 0
		.amdhsa_next_free_vgpr 1
		.amdhsa_next_free_sgpr 0
		.amdhsa_accum_offset 4
		.amdhsa_reserve_vcc 0
		.amdhsa_reserve_flat_scratch 0
		.amdhsa_float_round_mode_32 0
		.amdhsa_float_round_mode_16_64 0
		.amdhsa_float_denorm_mode_32 3
		.amdhsa_float_denorm_mode_16_64 3
		.amdhsa_dx10_clamp 1
		.amdhsa_ieee_mode 1
		.amdhsa_fp16_overflow 0
		.amdhsa_tg_split 0
		.amdhsa_exception_fp_ieee_invalid_op 0
		.amdhsa_exception_fp_denorm_src 0
		.amdhsa_exception_fp_ieee_div_zero 0
		.amdhsa_exception_fp_ieee_overflow 0
		.amdhsa_exception_fp_ieee_underflow 0
		.amdhsa_exception_fp_ieee_inexact 0
		.amdhsa_exception_int_div_zero 0
	.end_amdhsa_kernel
	.section	.text._ZN7rocprim17ROCPRIM_400000_NS6detail17trampoline_kernelINS0_14default_configENS1_20scan_config_selectorIiEEZZNS1_9scan_implILNS1_25lookback_scan_determinismE0ELb0ELb0ES3_N6thrust23THRUST_200600_302600_NS6detail15normal_iteratorINS9_10device_ptrIiEEEESE_i9plus_mod3IiEiEEDaPvRmT3_T4_T5_mT6_P12ihipStream_tbENKUlT_T0_E_clISt17integral_constantIbLb0EESU_EEDaSP_SQ_EUlSP_E0_NS1_11comp_targetILNS1_3genE5ELNS1_11target_archE942ELNS1_3gpuE9ELNS1_3repE0EEENS1_30default_config_static_selectorELNS0_4arch9wavefront6targetE1EEEvT1_,"axG",@progbits,_ZN7rocprim17ROCPRIM_400000_NS6detail17trampoline_kernelINS0_14default_configENS1_20scan_config_selectorIiEEZZNS1_9scan_implILNS1_25lookback_scan_determinismE0ELb0ELb0ES3_N6thrust23THRUST_200600_302600_NS6detail15normal_iteratorINS9_10device_ptrIiEEEESE_i9plus_mod3IiEiEEDaPvRmT3_T4_T5_mT6_P12ihipStream_tbENKUlT_T0_E_clISt17integral_constantIbLb0EESU_EEDaSP_SQ_EUlSP_E0_NS1_11comp_targetILNS1_3genE5ELNS1_11target_archE942ELNS1_3gpuE9ELNS1_3repE0EEENS1_30default_config_static_selectorELNS0_4arch9wavefront6targetE1EEEvT1_,comdat
.Lfunc_end6616:
	.size	_ZN7rocprim17ROCPRIM_400000_NS6detail17trampoline_kernelINS0_14default_configENS1_20scan_config_selectorIiEEZZNS1_9scan_implILNS1_25lookback_scan_determinismE0ELb0ELb0ES3_N6thrust23THRUST_200600_302600_NS6detail15normal_iteratorINS9_10device_ptrIiEEEESE_i9plus_mod3IiEiEEDaPvRmT3_T4_T5_mT6_P12ihipStream_tbENKUlT_T0_E_clISt17integral_constantIbLb0EESU_EEDaSP_SQ_EUlSP_E0_NS1_11comp_targetILNS1_3genE5ELNS1_11target_archE942ELNS1_3gpuE9ELNS1_3repE0EEENS1_30default_config_static_selectorELNS0_4arch9wavefront6targetE1EEEvT1_, .Lfunc_end6616-_ZN7rocprim17ROCPRIM_400000_NS6detail17trampoline_kernelINS0_14default_configENS1_20scan_config_selectorIiEEZZNS1_9scan_implILNS1_25lookback_scan_determinismE0ELb0ELb0ES3_N6thrust23THRUST_200600_302600_NS6detail15normal_iteratorINS9_10device_ptrIiEEEESE_i9plus_mod3IiEiEEDaPvRmT3_T4_T5_mT6_P12ihipStream_tbENKUlT_T0_E_clISt17integral_constantIbLb0EESU_EEDaSP_SQ_EUlSP_E0_NS1_11comp_targetILNS1_3genE5ELNS1_11target_archE942ELNS1_3gpuE9ELNS1_3repE0EEENS1_30default_config_static_selectorELNS0_4arch9wavefront6targetE1EEEvT1_
                                        ; -- End function
	.section	.AMDGPU.csdata,"",@progbits
; Kernel info:
; codeLenInByte = 0
; NumSgprs: 4
; NumVgprs: 0
; NumAgprs: 0
; TotalNumVgprs: 0
; ScratchSize: 0
; MemoryBound: 0
; FloatMode: 240
; IeeeMode: 1
; LDSByteSize: 0 bytes/workgroup (compile time only)
; SGPRBlocks: 0
; VGPRBlocks: 0
; NumSGPRsForWavesPerEU: 4
; NumVGPRsForWavesPerEU: 1
; AccumOffset: 4
; Occupancy: 8
; WaveLimiterHint : 0
; COMPUTE_PGM_RSRC2:SCRATCH_EN: 0
; COMPUTE_PGM_RSRC2:USER_SGPR: 6
; COMPUTE_PGM_RSRC2:TRAP_HANDLER: 0
; COMPUTE_PGM_RSRC2:TGID_X_EN: 1
; COMPUTE_PGM_RSRC2:TGID_Y_EN: 0
; COMPUTE_PGM_RSRC2:TGID_Z_EN: 0
; COMPUTE_PGM_RSRC2:TIDIG_COMP_CNT: 0
; COMPUTE_PGM_RSRC3_GFX90A:ACCUM_OFFSET: 0
; COMPUTE_PGM_RSRC3_GFX90A:TG_SPLIT: 0
	.section	.text._ZN7rocprim17ROCPRIM_400000_NS6detail17trampoline_kernelINS0_14default_configENS1_20scan_config_selectorIiEEZZNS1_9scan_implILNS1_25lookback_scan_determinismE0ELb0ELb0ES3_N6thrust23THRUST_200600_302600_NS6detail15normal_iteratorINS9_10device_ptrIiEEEESE_i9plus_mod3IiEiEEDaPvRmT3_T4_T5_mT6_P12ihipStream_tbENKUlT_T0_E_clISt17integral_constantIbLb0EESU_EEDaSP_SQ_EUlSP_E0_NS1_11comp_targetILNS1_3genE4ELNS1_11target_archE910ELNS1_3gpuE8ELNS1_3repE0EEENS1_30default_config_static_selectorELNS0_4arch9wavefront6targetE1EEEvT1_,"axG",@progbits,_ZN7rocprim17ROCPRIM_400000_NS6detail17trampoline_kernelINS0_14default_configENS1_20scan_config_selectorIiEEZZNS1_9scan_implILNS1_25lookback_scan_determinismE0ELb0ELb0ES3_N6thrust23THRUST_200600_302600_NS6detail15normal_iteratorINS9_10device_ptrIiEEEESE_i9plus_mod3IiEiEEDaPvRmT3_T4_T5_mT6_P12ihipStream_tbENKUlT_T0_E_clISt17integral_constantIbLb0EESU_EEDaSP_SQ_EUlSP_E0_NS1_11comp_targetILNS1_3genE4ELNS1_11target_archE910ELNS1_3gpuE8ELNS1_3repE0EEENS1_30default_config_static_selectorELNS0_4arch9wavefront6targetE1EEEvT1_,comdat
	.protected	_ZN7rocprim17ROCPRIM_400000_NS6detail17trampoline_kernelINS0_14default_configENS1_20scan_config_selectorIiEEZZNS1_9scan_implILNS1_25lookback_scan_determinismE0ELb0ELb0ES3_N6thrust23THRUST_200600_302600_NS6detail15normal_iteratorINS9_10device_ptrIiEEEESE_i9plus_mod3IiEiEEDaPvRmT3_T4_T5_mT6_P12ihipStream_tbENKUlT_T0_E_clISt17integral_constantIbLb0EESU_EEDaSP_SQ_EUlSP_E0_NS1_11comp_targetILNS1_3genE4ELNS1_11target_archE910ELNS1_3gpuE8ELNS1_3repE0EEENS1_30default_config_static_selectorELNS0_4arch9wavefront6targetE1EEEvT1_ ; -- Begin function _ZN7rocprim17ROCPRIM_400000_NS6detail17trampoline_kernelINS0_14default_configENS1_20scan_config_selectorIiEEZZNS1_9scan_implILNS1_25lookback_scan_determinismE0ELb0ELb0ES3_N6thrust23THRUST_200600_302600_NS6detail15normal_iteratorINS9_10device_ptrIiEEEESE_i9plus_mod3IiEiEEDaPvRmT3_T4_T5_mT6_P12ihipStream_tbENKUlT_T0_E_clISt17integral_constantIbLb0EESU_EEDaSP_SQ_EUlSP_E0_NS1_11comp_targetILNS1_3genE4ELNS1_11target_archE910ELNS1_3gpuE8ELNS1_3repE0EEENS1_30default_config_static_selectorELNS0_4arch9wavefront6targetE1EEEvT1_
	.globl	_ZN7rocprim17ROCPRIM_400000_NS6detail17trampoline_kernelINS0_14default_configENS1_20scan_config_selectorIiEEZZNS1_9scan_implILNS1_25lookback_scan_determinismE0ELb0ELb0ES3_N6thrust23THRUST_200600_302600_NS6detail15normal_iteratorINS9_10device_ptrIiEEEESE_i9plus_mod3IiEiEEDaPvRmT3_T4_T5_mT6_P12ihipStream_tbENKUlT_T0_E_clISt17integral_constantIbLb0EESU_EEDaSP_SQ_EUlSP_E0_NS1_11comp_targetILNS1_3genE4ELNS1_11target_archE910ELNS1_3gpuE8ELNS1_3repE0EEENS1_30default_config_static_selectorELNS0_4arch9wavefront6targetE1EEEvT1_
	.p2align	8
	.type	_ZN7rocprim17ROCPRIM_400000_NS6detail17trampoline_kernelINS0_14default_configENS1_20scan_config_selectorIiEEZZNS1_9scan_implILNS1_25lookback_scan_determinismE0ELb0ELb0ES3_N6thrust23THRUST_200600_302600_NS6detail15normal_iteratorINS9_10device_ptrIiEEEESE_i9plus_mod3IiEiEEDaPvRmT3_T4_T5_mT6_P12ihipStream_tbENKUlT_T0_E_clISt17integral_constantIbLb0EESU_EEDaSP_SQ_EUlSP_E0_NS1_11comp_targetILNS1_3genE4ELNS1_11target_archE910ELNS1_3gpuE8ELNS1_3repE0EEENS1_30default_config_static_selectorELNS0_4arch9wavefront6targetE1EEEvT1_,@function
_ZN7rocprim17ROCPRIM_400000_NS6detail17trampoline_kernelINS0_14default_configENS1_20scan_config_selectorIiEEZZNS1_9scan_implILNS1_25lookback_scan_determinismE0ELb0ELb0ES3_N6thrust23THRUST_200600_302600_NS6detail15normal_iteratorINS9_10device_ptrIiEEEESE_i9plus_mod3IiEiEEDaPvRmT3_T4_T5_mT6_P12ihipStream_tbENKUlT_T0_E_clISt17integral_constantIbLb0EESU_EEDaSP_SQ_EUlSP_E0_NS1_11comp_targetILNS1_3genE4ELNS1_11target_archE910ELNS1_3gpuE8ELNS1_3repE0EEENS1_30default_config_static_selectorELNS0_4arch9wavefront6targetE1EEEvT1_: ; @_ZN7rocprim17ROCPRIM_400000_NS6detail17trampoline_kernelINS0_14default_configENS1_20scan_config_selectorIiEEZZNS1_9scan_implILNS1_25lookback_scan_determinismE0ELb0ELb0ES3_N6thrust23THRUST_200600_302600_NS6detail15normal_iteratorINS9_10device_ptrIiEEEESE_i9plus_mod3IiEiEEDaPvRmT3_T4_T5_mT6_P12ihipStream_tbENKUlT_T0_E_clISt17integral_constantIbLb0EESU_EEDaSP_SQ_EUlSP_E0_NS1_11comp_targetILNS1_3genE4ELNS1_11target_archE910ELNS1_3gpuE8ELNS1_3repE0EEENS1_30default_config_static_selectorELNS0_4arch9wavefront6targetE1EEEvT1_
; %bb.0:
	s_load_dwordx4 s[24:27], s[4:5], 0x0
	v_lshlrev_b32_e32 v16, 2, v0
	s_waitcnt lgkmcnt(0)
	s_load_dword s27, s[24:25], 0x0
	v_cmp_gt_u32_e32 vcc, s26, v0
	s_waitcnt lgkmcnt(0)
	v_mov_b32_e32 v1, s27
	s_and_saveexec_b64 s[0:1], vcc
	s_cbranch_execz .LBB6617_2
; %bb.1:
	global_load_dword v1, v16, s[24:25]
.LBB6617_2:
	s_or_b64 exec, exec, s[0:1]
	v_or_b32_e32 v2, 0x80, v0
	v_cmp_gt_u32_e64 s[0:1], s26, v2
	v_mov_b32_e32 v2, s27
	s_and_saveexec_b64 s[2:3], s[0:1]
	s_cbranch_execz .LBB6617_4
; %bb.3:
	global_load_dword v2, v16, s[24:25] offset:512
.LBB6617_4:
	s_or_b64 exec, exec, s[2:3]
	v_or_b32_e32 v3, 0x100, v0
	v_cmp_gt_u32_e64 s[2:3], s26, v3
	v_mov_b32_e32 v3, s27
	s_and_saveexec_b64 s[6:7], s[2:3]
	s_cbranch_execz .LBB6617_6
; %bb.5:
	global_load_dword v3, v16, s[24:25] offset:1024
.LBB6617_6:
	;; [unrolled: 9-line block ×7, first 2 shown]
	s_or_b64 exec, exec, s[14:15]
	v_or_b32_e32 v10, 0x400, v0
	v_cmp_gt_u32_e64 s[14:15], s26, v10
	v_mov_b32_e32 v9, s27
	s_and_saveexec_b64 s[16:17], s[14:15]
	s_cbranch_execz .LBB6617_18
; %bb.17:
	v_lshlrev_b32_e32 v9, 2, v10
	global_load_dword v9, v9, s[24:25]
.LBB6617_18:
	s_or_b64 exec, exec, s[16:17]
	s_load_dwordx4 s[20:23], s[4:5], 0x18
	v_or_b32_e32 v11, 0x480, v0
	v_cmp_gt_u32_e64 s[16:17], s26, v11
	v_mov_b32_e32 v10, s27
	s_and_saveexec_b64 s[4:5], s[16:17]
	s_cbranch_execz .LBB6617_20
; %bb.19:
	v_lshlrev_b32_e32 v10, 2, v11
	global_load_dword v10, v10, s[24:25]
.LBB6617_20:
	s_or_b64 exec, exec, s[4:5]
	s_waitcnt vmcnt(0)
	ds_write2st64_b32 v16, v1, v2 offset1:2
	ds_write2st64_b32 v16, v3, v4 offset0:4 offset1:6
	ds_write2st64_b32 v16, v5, v6 offset0:8 offset1:10
	;; [unrolled: 1-line block ×4, first 2 shown]
	v_mad_u32_u24 v1, v0, 36, v16
	s_waitcnt lgkmcnt(0)
	s_barrier
	ds_read2_b64 v[2:5], v1 offset1:1
	ds_read2_b64 v[6:9], v1 offset0:2 offset1:3
	ds_read_b64 v[10:11], v1 offset:32
	v_mov_b32_e32 v1, s21
	s_waitcnt lgkmcnt(0)
	v_add_u32_e32 v12, v3, v2
	v_ashrrev_i32_e32 v13, 31, v12
	v_lshlrev_b64 v[14:15], 2, v[12:13]
	v_add_co_u32_e64 v14, s[4:5], s20, v14
	v_addc_co_u32_e64 v15, s[4:5], v1, v15, s[4:5]
	s_barrier
	global_load_dword v1, v[14:15], off
	v_mov_b32_e32 v17, s21
	s_waitcnt vmcnt(0)
	v_add_u32_e32 v14, v1, v4
	v_ashrrev_i32_e32 v15, 31, v14
	v_lshlrev_b64 v[14:15], 2, v[14:15]
	v_add_co_u32_e64 v14, s[4:5], s20, v14
	v_addc_co_u32_e64 v15, s[4:5], v17, v15, s[4:5]
	global_load_dword v1, v[14:15], off
	s_waitcnt vmcnt(0)
	v_add_u32_e32 v14, v1, v5
	v_ashrrev_i32_e32 v15, 31, v14
	v_lshlrev_b64 v[14:15], 2, v[14:15]
	v_add_co_u32_e64 v14, s[4:5], s20, v14
	v_addc_co_u32_e64 v15, s[4:5], v17, v15, s[4:5]
	global_load_dword v1, v[14:15], off
	;; [unrolled: 7-line block ×8, first 2 shown]
	v_lshrrev_b32_e32 v14, 3, v0
	v_and_b32_e32 v14, 12, v14
	v_add_u32_e32 v14, v16, v14
	v_cmp_gt_u32_e64 s[4:5], 64, v0
	s_waitcnt vmcnt(0)
	ds_write_b32 v14, v1
	s_waitcnt lgkmcnt(0)
	s_barrier
	s_and_saveexec_b64 s[24:25], s[4:5]
	s_cbranch_execz .LBB6617_34
; %bb.21:
	v_lshlrev_b32_e32 v14, 1, v0
	v_lshrrev_b32_e32 v15, 4, v0
	v_add_lshl_u32 v17, v15, v14, 2
	ds_read2_b32 v[14:15], v17 offset1:1
	v_mov_b32_e32 v20, s21
	s_waitcnt lgkmcnt(0)
	v_add_u32_e32 v18, v15, v14
	v_ashrrev_i32_e32 v19, 31, v18
	v_lshlrev_b64 v[18:19], 2, v[18:19]
	v_add_co_u32_e64 v18, s[4:5], s20, v18
	v_addc_co_u32_e64 v19, s[4:5], v20, v19, s[4:5]
	global_load_dword v18, v[18:19], off
	v_mbcnt_lo_u32_b32 v15, -1, 0
	v_mbcnt_hi_u32_b32 v15, -1, v15
	v_and_b32_e32 v19, 15, v15
	v_cmp_ne_u32_e64 s[4:5], 0, v19
	s_waitcnt vmcnt(0)
	v_mov_b32_dpp v20, v18 row_shr:1 row_mask:0xf bank_mask:0xf
	s_and_saveexec_b64 s[26:27], s[4:5]
	s_cbranch_execz .LBB6617_23
; %bb.22:
	v_add_u32_e32 v20, v20, v18
	v_ashrrev_i32_e32 v21, 31, v20
	v_lshlrev_b64 v[20:21], 2, v[20:21]
	v_mov_b32_e32 v18, s21
	v_add_co_u32_e64 v20, s[4:5], s20, v20
	v_addc_co_u32_e64 v21, s[4:5], v18, v21, s[4:5]
	global_load_dword v18, v[20:21], off
.LBB6617_23:
	s_or_b64 exec, exec, s[26:27]
	s_waitcnt vmcnt(0)
	v_mov_b32_dpp v20, v18 row_shr:2 row_mask:0xf bank_mask:0xf
	v_cmp_lt_u32_e64 s[4:5], 1, v19
	s_and_saveexec_b64 s[26:27], s[4:5]
	s_cbranch_execz .LBB6617_25
; %bb.24:
	v_add_u32_e32 v20, v20, v18
	v_ashrrev_i32_e32 v21, 31, v20
	v_lshlrev_b64 v[20:21], 2, v[20:21]
	v_mov_b32_e32 v18, s21
	v_add_co_u32_e64 v20, s[4:5], s20, v20
	v_addc_co_u32_e64 v21, s[4:5], v18, v21, s[4:5]
	global_load_dword v18, v[20:21], off
.LBB6617_25:
	s_or_b64 exec, exec, s[26:27]
	s_waitcnt vmcnt(0)
	v_mov_b32_dpp v20, v18 row_shr:4 row_mask:0xf bank_mask:0xf
	v_cmp_lt_u32_e64 s[4:5], 3, v19
	;; [unrolled: 15-line block ×3, first 2 shown]
	s_and_saveexec_b64 s[26:27], s[4:5]
	s_cbranch_execz .LBB6617_29
; %bb.28:
	v_add_u32_e32 v18, v20, v18
	v_ashrrev_i32_e32 v19, 31, v18
	v_lshlrev_b64 v[18:19], 2, v[18:19]
	v_mov_b32_e32 v20, s21
	v_add_co_u32_e64 v18, s[4:5], s20, v18
	v_addc_co_u32_e64 v19, s[4:5], v20, v19, s[4:5]
	global_load_dword v18, v[18:19], off
.LBB6617_29:
	s_or_b64 exec, exec, s[26:27]
	v_and_b32_e32 v20, 16, v15
	s_waitcnt vmcnt(0)
	v_mov_b32_dpp v19, v18 row_bcast:15 row_mask:0xf bank_mask:0xf
	v_cmp_ne_u32_e64 s[4:5], 0, v20
	s_and_saveexec_b64 s[26:27], s[4:5]
	s_cbranch_execz .LBB6617_31
; %bb.30:
	v_add_u32_e32 v18, v19, v18
	v_ashrrev_i32_e32 v19, 31, v18
	v_lshlrev_b64 v[18:19], 2, v[18:19]
	v_mov_b32_e32 v20, s21
	v_add_co_u32_e64 v18, s[4:5], s20, v18
	v_addc_co_u32_e64 v19, s[4:5], v20, v19, s[4:5]
	global_load_dword v18, v[18:19], off
.LBB6617_31:
	s_or_b64 exec, exec, s[26:27]
	s_waitcnt vmcnt(0)
	v_mov_b32_dpp v19, v18 row_bcast:31 row_mask:0xf bank_mask:0xf
	v_cmp_lt_u32_e64 s[4:5], 31, v15
	s_and_saveexec_b64 s[26:27], s[4:5]
	s_cbranch_execz .LBB6617_33
; %bb.32:
	v_add_u32_e32 v18, v19, v18
	v_ashrrev_i32_e32 v19, 31, v18
	v_lshlrev_b64 v[18:19], 2, v[18:19]
	v_mov_b32_e32 v20, s21
	v_add_co_u32_e64 v18, s[4:5], s20, v18
	v_addc_co_u32_e64 v19, s[4:5], v20, v19, s[4:5]
	global_load_dword v18, v[18:19], off
.LBB6617_33:
	s_or_b64 exec, exec, s[26:27]
	v_add_u32_e32 v19, -1, v15
	v_and_b32_e32 v20, 64, v15
	v_cmp_lt_i32_e64 s[4:5], v19, v20
	v_cndmask_b32_e64 v15, v19, v15, s[4:5]
	v_lshlrev_b32_e32 v15, 2, v15
	s_waitcnt vmcnt(0)
	ds_bpermute_b32 v15, v15, v18
	v_mov_b32_e32 v18, s21
	s_waitcnt lgkmcnt(0)
	v_add_u32_e32 v14, v15, v14
	v_ashrrev_i32_e32 v15, 31, v14
	v_lshlrev_b64 v[14:15], 2, v[14:15]
	v_add_co_u32_e64 v14, s[4:5], s20, v14
	v_addc_co_u32_e64 v15, s[4:5], v18, v15, s[4:5]
	global_load_dword v14, v[14:15], off
	v_cmp_eq_u32_e64 s[4:5], 0, v0
	; wave barrier
	s_waitcnt vmcnt(0)
	v_cndmask_b32_e64 v14, v14, v1, s[4:5]
	ds_write_b32 v17, v14
	; wave barrier
	ds_read_b32 v15, v17 offset:4
	s_waitcnt lgkmcnt(0)
	v_add_u32_e32 v14, v15, v14
	v_ashrrev_i32_e32 v15, 31, v14
	v_lshlrev_b64 v[14:15], 2, v[14:15]
	v_add_co_u32_e64 v14, s[4:5], s20, v14
	v_addc_co_u32_e64 v15, s[4:5], v18, v15, s[4:5]
	global_load_dword v14, v[14:15], off
	s_waitcnt vmcnt(0)
	ds_write_b32 v17, v14 offset:4
.LBB6617_34:
	s_or_b64 exec, exec, s[24:25]
	v_mul_u32_u24_e32 v14, 36, v0
	v_cmp_ne_u32_e64 s[4:5], 0, v0
	s_waitcnt lgkmcnt(0)
	s_barrier
	s_and_saveexec_b64 s[24:25], s[4:5]
	s_cbranch_execz .LBB6617_36
; %bb.35:
	v_add_u32_e32 v0, -1, v0
	v_lshrrev_b32_e32 v1, 5, v0
	v_add_lshl_u32 v0, v1, v0, 2
	ds_read_b32 v1, v0
.LBB6617_36:
	s_or_b64 exec, exec, s[24:25]
	s_and_saveexec_b64 s[24:25], s[4:5]
	s_cbranch_execz .LBB6617_38
; %bb.37:
	s_waitcnt lgkmcnt(0)
	v_add_u32_e32 v0, v1, v2
	v_ashrrev_i32_e32 v1, 31, v0
	v_lshlrev_b64 v[0:1], 2, v[0:1]
	v_mov_b32_e32 v2, s21
	v_add_co_u32_e64 v0, s[4:5], s20, v0
	v_addc_co_u32_e64 v1, s[4:5], v2, v1, s[4:5]
	global_load_dword v2, v[0:1], off
	;;#ASMSTART
	;;#ASMEND
	s_waitcnt vmcnt(0)
	v_add_u32_e32 v12, v2, v3
	v_ashrrev_i32_e32 v13, 31, v12
.LBB6617_38:
	s_or_b64 exec, exec, s[24:25]
	s_waitcnt lgkmcnt(0)
	v_lshlrev_b64 v[0:1], 2, v[12:13]
	v_mov_b32_e32 v3, s21
	v_add_co_u32_e64 v0, s[4:5], s20, v0
	v_addc_co_u32_e64 v1, s[4:5], v3, v1, s[4:5]
	global_load_dword v12, v[0:1], off
	s_waitcnt vmcnt(0)
	v_add_u32_e32 v0, v12, v4
	v_ashrrev_i32_e32 v1, 31, v0
	v_lshlrev_b64 v[0:1], 2, v[0:1]
	v_add_co_u32_e64 v0, s[4:5], s20, v0
	v_addc_co_u32_e64 v1, s[4:5], v3, v1, s[4:5]
	global_load_dword v4, v[0:1], off
	s_waitcnt vmcnt(0)
	v_add_u32_e32 v0, v4, v5
	v_ashrrev_i32_e32 v1, 31, v0
	v_lshlrev_b64 v[0:1], 2, v[0:1]
	v_add_co_u32_e64 v0, s[4:5], s20, v0
	v_addc_co_u32_e64 v1, s[4:5], v3, v1, s[4:5]
	global_load_dword v5, v[0:1], off
	s_waitcnt vmcnt(0)
	v_add_u32_e32 v0, v5, v6
	v_ashrrev_i32_e32 v1, 31, v0
	v_lshlrev_b64 v[0:1], 2, v[0:1]
	v_add_co_u32_e64 v0, s[4:5], s20, v0
	v_addc_co_u32_e64 v1, s[4:5], v3, v1, s[4:5]
	global_load_dword v6, v[0:1], off
	s_waitcnt vmcnt(0)
	v_add_u32_e32 v0, v6, v7
	v_ashrrev_i32_e32 v1, 31, v0
	v_lshlrev_b64 v[0:1], 2, v[0:1]
	v_add_co_u32_e64 v0, s[4:5], s20, v0
	v_addc_co_u32_e64 v1, s[4:5], v3, v1, s[4:5]
	global_load_dword v7, v[0:1], off
	s_waitcnt vmcnt(0)
	v_add_u32_e32 v0, v7, v8
	v_ashrrev_i32_e32 v1, 31, v0
	v_lshlrev_b64 v[0:1], 2, v[0:1]
	v_add_co_u32_e64 v0, s[4:5], s20, v0
	v_addc_co_u32_e64 v1, s[4:5], v3, v1, s[4:5]
	global_load_dword v8, v[0:1], off
	s_waitcnt vmcnt(0)
	v_add_u32_e32 v0, v8, v9
	v_ashrrev_i32_e32 v1, 31, v0
	v_lshlrev_b64 v[0:1], 2, v[0:1]
	v_add_co_u32_e64 v0, s[4:5], s20, v0
	v_addc_co_u32_e64 v1, s[4:5], v3, v1, s[4:5]
	global_load_dword v9, v[0:1], off
	s_waitcnt vmcnt(0)
	v_add_u32_e32 v0, v9, v10
	v_ashrrev_i32_e32 v1, 31, v0
	v_lshlrev_b64 v[0:1], 2, v[0:1]
	v_add_co_u32_e64 v0, s[4:5], s20, v0
	v_addc_co_u32_e64 v1, s[4:5], v3, v1, s[4:5]
	global_load_dword v10, v[0:1], off
	s_waitcnt vmcnt(0)
	v_add_u32_e32 v0, v10, v11
	v_ashrrev_i32_e32 v1, 31, v0
	v_lshlrev_b64 v[0:1], 2, v[0:1]
	v_add_co_u32_e64 v0, s[4:5], s20, v0
	v_addc_co_u32_e64 v1, s[4:5], v3, v1, s[4:5]
	global_load_dword v0, v[0:1], off
	v_add_u32_e32 v1, v16, v14
	s_barrier
	ds_write2_b32 v1, v12, v4 offset0:1 offset1:2
	ds_write2_b32 v1, v5, v6 offset0:3 offset1:4
	;; [unrolled: 1-line block ×4, first 2 shown]
	s_waitcnt vmcnt(0)
	ds_write2_b32 v1, v2, v0 offset1:9
	s_waitcnt lgkmcnt(0)
	s_barrier
	ds_read2st64_b32 v[8:9], v16 offset0:2 offset1:4
	ds_read2st64_b32 v[6:7], v16 offset0:6 offset1:8
	;; [unrolled: 1-line block ×4, first 2 shown]
	ds_read_b32 v10, v16 offset:4608
	v_mov_b32_e32 v1, s23
	v_add_co_u32_e64 v0, s[4:5], s22, v16
	v_addc_co_u32_e64 v1, s[4:5], 0, v1, s[4:5]
	s_and_saveexec_b64 s[4:5], vcc
	s_cbranch_execnz .LBB6617_49
; %bb.39:
	s_or_b64 exec, exec, s[4:5]
	s_and_saveexec_b64 s[4:5], s[0:1]
	s_cbranch_execnz .LBB6617_50
.LBB6617_40:
	s_or_b64 exec, exec, s[4:5]
	s_and_saveexec_b64 s[0:1], s[2:3]
	s_cbranch_execnz .LBB6617_51
.LBB6617_41:
	s_or_b64 exec, exec, s[0:1]
	s_and_saveexec_b64 s[0:1], s[18:19]
	s_cbranch_execnz .LBB6617_52
.LBB6617_42:
	s_or_b64 exec, exec, s[0:1]
	s_and_saveexec_b64 s[0:1], s[6:7]
	s_cbranch_execnz .LBB6617_53
.LBB6617_43:
	s_or_b64 exec, exec, s[0:1]
	s_and_saveexec_b64 s[0:1], s[8:9]
	s_cbranch_execnz .LBB6617_54
.LBB6617_44:
	s_or_b64 exec, exec, s[0:1]
	s_and_saveexec_b64 s[0:1], s[10:11]
	s_cbranch_execnz .LBB6617_55
.LBB6617_45:
	s_or_b64 exec, exec, s[0:1]
	s_and_saveexec_b64 s[0:1], s[12:13]
	s_cbranch_execnz .LBB6617_56
.LBB6617_46:
	s_or_b64 exec, exec, s[0:1]
	s_and_saveexec_b64 s[0:1], s[14:15]
	s_cbranch_execnz .LBB6617_57
.LBB6617_47:
	s_or_b64 exec, exec, s[0:1]
	s_and_saveexec_b64 s[0:1], s[16:17]
	s_cbranch_execnz .LBB6617_58
.LBB6617_48:
	s_endpgm
.LBB6617_49:
	ds_read_b32 v11, v16
	s_waitcnt lgkmcnt(0)
	global_store_dword v[0:1], v11, off
	s_or_b64 exec, exec, s[4:5]
	s_and_saveexec_b64 s[4:5], s[0:1]
	s_cbranch_execz .LBB6617_40
.LBB6617_50:
	s_waitcnt lgkmcnt(4)
	global_store_dword v[0:1], v8, off offset:512
	s_or_b64 exec, exec, s[4:5]
	s_and_saveexec_b64 s[0:1], s[2:3]
	s_cbranch_execz .LBB6617_41
.LBB6617_51:
	s_waitcnt lgkmcnt(4)
	global_store_dword v[0:1], v9, off offset:1024
	s_or_b64 exec, exec, s[0:1]
	s_and_saveexec_b64 s[0:1], s[18:19]
	s_cbranch_execz .LBB6617_42
.LBB6617_52:
	s_waitcnt lgkmcnt(3)
	global_store_dword v[0:1], v6, off offset:1536
	s_or_b64 exec, exec, s[0:1]
	s_and_saveexec_b64 s[0:1], s[6:7]
	s_cbranch_execz .LBB6617_43
.LBB6617_53:
	s_waitcnt lgkmcnt(3)
	global_store_dword v[0:1], v7, off offset:2048
	s_or_b64 exec, exec, s[0:1]
	s_and_saveexec_b64 s[0:1], s[8:9]
	s_cbranch_execz .LBB6617_44
.LBB6617_54:
	s_waitcnt lgkmcnt(2)
	global_store_dword v[0:1], v4, off offset:2560
	s_or_b64 exec, exec, s[0:1]
	s_and_saveexec_b64 s[0:1], s[10:11]
	s_cbranch_execz .LBB6617_45
.LBB6617_55:
	s_waitcnt lgkmcnt(2)
	global_store_dword v[0:1], v5, off offset:3072
	s_or_b64 exec, exec, s[0:1]
	s_and_saveexec_b64 s[0:1], s[12:13]
	s_cbranch_execz .LBB6617_46
.LBB6617_56:
	s_waitcnt lgkmcnt(1)
	global_store_dword v[0:1], v2, off offset:3584
	s_or_b64 exec, exec, s[0:1]
	s_and_saveexec_b64 s[0:1], s[14:15]
	s_cbranch_execz .LBB6617_47
.LBB6617_57:
	s_waitcnt lgkmcnt(2)
	v_add_co_u32_e32 v4, vcc, 0x1000, v0
	v_addc_co_u32_e32 v5, vcc, 0, v1, vcc
	s_waitcnt lgkmcnt(1)
	global_store_dword v[4:5], v3, off
	s_or_b64 exec, exec, s[0:1]
	s_and_saveexec_b64 s[0:1], s[16:17]
	s_cbranch_execz .LBB6617_48
.LBB6617_58:
	v_add_co_u32_e32 v0, vcc, 0x1000, v0
	v_addc_co_u32_e32 v1, vcc, 0, v1, vcc
	s_waitcnt lgkmcnt(0)
	global_store_dword v[0:1], v10, off offset:512
	s_endpgm
	.section	.rodata,"a",@progbits
	.p2align	6, 0x0
	.amdhsa_kernel _ZN7rocprim17ROCPRIM_400000_NS6detail17trampoline_kernelINS0_14default_configENS1_20scan_config_selectorIiEEZZNS1_9scan_implILNS1_25lookback_scan_determinismE0ELb0ELb0ES3_N6thrust23THRUST_200600_302600_NS6detail15normal_iteratorINS9_10device_ptrIiEEEESE_i9plus_mod3IiEiEEDaPvRmT3_T4_T5_mT6_P12ihipStream_tbENKUlT_T0_E_clISt17integral_constantIbLb0EESU_EEDaSP_SQ_EUlSP_E0_NS1_11comp_targetILNS1_3genE4ELNS1_11target_archE910ELNS1_3gpuE8ELNS1_3repE0EEENS1_30default_config_static_selectorELNS0_4arch9wavefront6targetE1EEEvT1_
		.amdhsa_group_segment_fixed_size 5120
		.amdhsa_private_segment_fixed_size 0
		.amdhsa_kernarg_size 40
		.amdhsa_user_sgpr_count 6
		.amdhsa_user_sgpr_private_segment_buffer 1
		.amdhsa_user_sgpr_dispatch_ptr 0
		.amdhsa_user_sgpr_queue_ptr 0
		.amdhsa_user_sgpr_kernarg_segment_ptr 1
		.amdhsa_user_sgpr_dispatch_id 0
		.amdhsa_user_sgpr_flat_scratch_init 0
		.amdhsa_user_sgpr_kernarg_preload_length 0
		.amdhsa_user_sgpr_kernarg_preload_offset 0
		.amdhsa_user_sgpr_private_segment_size 0
		.amdhsa_uses_dynamic_stack 0
		.amdhsa_system_sgpr_private_segment_wavefront_offset 0
		.amdhsa_system_sgpr_workgroup_id_x 1
		.amdhsa_system_sgpr_workgroup_id_y 0
		.amdhsa_system_sgpr_workgroup_id_z 0
		.amdhsa_system_sgpr_workgroup_info 0
		.amdhsa_system_vgpr_workitem_id 0
		.amdhsa_next_free_vgpr 22
		.amdhsa_next_free_sgpr 28
		.amdhsa_accum_offset 24
		.amdhsa_reserve_vcc 1
		.amdhsa_reserve_flat_scratch 0
		.amdhsa_float_round_mode_32 0
		.amdhsa_float_round_mode_16_64 0
		.amdhsa_float_denorm_mode_32 3
		.amdhsa_float_denorm_mode_16_64 3
		.amdhsa_dx10_clamp 1
		.amdhsa_ieee_mode 1
		.amdhsa_fp16_overflow 0
		.amdhsa_tg_split 0
		.amdhsa_exception_fp_ieee_invalid_op 0
		.amdhsa_exception_fp_denorm_src 0
		.amdhsa_exception_fp_ieee_div_zero 0
		.amdhsa_exception_fp_ieee_overflow 0
		.amdhsa_exception_fp_ieee_underflow 0
		.amdhsa_exception_fp_ieee_inexact 0
		.amdhsa_exception_int_div_zero 0
	.end_amdhsa_kernel
	.section	.text._ZN7rocprim17ROCPRIM_400000_NS6detail17trampoline_kernelINS0_14default_configENS1_20scan_config_selectorIiEEZZNS1_9scan_implILNS1_25lookback_scan_determinismE0ELb0ELb0ES3_N6thrust23THRUST_200600_302600_NS6detail15normal_iteratorINS9_10device_ptrIiEEEESE_i9plus_mod3IiEiEEDaPvRmT3_T4_T5_mT6_P12ihipStream_tbENKUlT_T0_E_clISt17integral_constantIbLb0EESU_EEDaSP_SQ_EUlSP_E0_NS1_11comp_targetILNS1_3genE4ELNS1_11target_archE910ELNS1_3gpuE8ELNS1_3repE0EEENS1_30default_config_static_selectorELNS0_4arch9wavefront6targetE1EEEvT1_,"axG",@progbits,_ZN7rocprim17ROCPRIM_400000_NS6detail17trampoline_kernelINS0_14default_configENS1_20scan_config_selectorIiEEZZNS1_9scan_implILNS1_25lookback_scan_determinismE0ELb0ELb0ES3_N6thrust23THRUST_200600_302600_NS6detail15normal_iteratorINS9_10device_ptrIiEEEESE_i9plus_mod3IiEiEEDaPvRmT3_T4_T5_mT6_P12ihipStream_tbENKUlT_T0_E_clISt17integral_constantIbLb0EESU_EEDaSP_SQ_EUlSP_E0_NS1_11comp_targetILNS1_3genE4ELNS1_11target_archE910ELNS1_3gpuE8ELNS1_3repE0EEENS1_30default_config_static_selectorELNS0_4arch9wavefront6targetE1EEEvT1_,comdat
.Lfunc_end6617:
	.size	_ZN7rocprim17ROCPRIM_400000_NS6detail17trampoline_kernelINS0_14default_configENS1_20scan_config_selectorIiEEZZNS1_9scan_implILNS1_25lookback_scan_determinismE0ELb0ELb0ES3_N6thrust23THRUST_200600_302600_NS6detail15normal_iteratorINS9_10device_ptrIiEEEESE_i9plus_mod3IiEiEEDaPvRmT3_T4_T5_mT6_P12ihipStream_tbENKUlT_T0_E_clISt17integral_constantIbLb0EESU_EEDaSP_SQ_EUlSP_E0_NS1_11comp_targetILNS1_3genE4ELNS1_11target_archE910ELNS1_3gpuE8ELNS1_3repE0EEENS1_30default_config_static_selectorELNS0_4arch9wavefront6targetE1EEEvT1_, .Lfunc_end6617-_ZN7rocprim17ROCPRIM_400000_NS6detail17trampoline_kernelINS0_14default_configENS1_20scan_config_selectorIiEEZZNS1_9scan_implILNS1_25lookback_scan_determinismE0ELb0ELb0ES3_N6thrust23THRUST_200600_302600_NS6detail15normal_iteratorINS9_10device_ptrIiEEEESE_i9plus_mod3IiEiEEDaPvRmT3_T4_T5_mT6_P12ihipStream_tbENKUlT_T0_E_clISt17integral_constantIbLb0EESU_EEDaSP_SQ_EUlSP_E0_NS1_11comp_targetILNS1_3genE4ELNS1_11target_archE910ELNS1_3gpuE8ELNS1_3repE0EEENS1_30default_config_static_selectorELNS0_4arch9wavefront6targetE1EEEvT1_
                                        ; -- End function
	.section	.AMDGPU.csdata,"",@progbits
; Kernel info:
; codeLenInByte = 2736
; NumSgprs: 32
; NumVgprs: 22
; NumAgprs: 0
; TotalNumVgprs: 22
; ScratchSize: 0
; MemoryBound: 0
; FloatMode: 240
; IeeeMode: 1
; LDSByteSize: 5120 bytes/workgroup (compile time only)
; SGPRBlocks: 3
; VGPRBlocks: 2
; NumSGPRsForWavesPerEU: 32
; NumVGPRsForWavesPerEU: 22
; AccumOffset: 24
; Occupancy: 6
; WaveLimiterHint : 1
; COMPUTE_PGM_RSRC2:SCRATCH_EN: 0
; COMPUTE_PGM_RSRC2:USER_SGPR: 6
; COMPUTE_PGM_RSRC2:TRAP_HANDLER: 0
; COMPUTE_PGM_RSRC2:TGID_X_EN: 1
; COMPUTE_PGM_RSRC2:TGID_Y_EN: 0
; COMPUTE_PGM_RSRC2:TGID_Z_EN: 0
; COMPUTE_PGM_RSRC2:TIDIG_COMP_CNT: 0
; COMPUTE_PGM_RSRC3_GFX90A:ACCUM_OFFSET: 5
; COMPUTE_PGM_RSRC3_GFX90A:TG_SPLIT: 0
	.section	.text._ZN7rocprim17ROCPRIM_400000_NS6detail17trampoline_kernelINS0_14default_configENS1_20scan_config_selectorIiEEZZNS1_9scan_implILNS1_25lookback_scan_determinismE0ELb0ELb0ES3_N6thrust23THRUST_200600_302600_NS6detail15normal_iteratorINS9_10device_ptrIiEEEESE_i9plus_mod3IiEiEEDaPvRmT3_T4_T5_mT6_P12ihipStream_tbENKUlT_T0_E_clISt17integral_constantIbLb0EESU_EEDaSP_SQ_EUlSP_E0_NS1_11comp_targetILNS1_3genE3ELNS1_11target_archE908ELNS1_3gpuE7ELNS1_3repE0EEENS1_30default_config_static_selectorELNS0_4arch9wavefront6targetE1EEEvT1_,"axG",@progbits,_ZN7rocprim17ROCPRIM_400000_NS6detail17trampoline_kernelINS0_14default_configENS1_20scan_config_selectorIiEEZZNS1_9scan_implILNS1_25lookback_scan_determinismE0ELb0ELb0ES3_N6thrust23THRUST_200600_302600_NS6detail15normal_iteratorINS9_10device_ptrIiEEEESE_i9plus_mod3IiEiEEDaPvRmT3_T4_T5_mT6_P12ihipStream_tbENKUlT_T0_E_clISt17integral_constantIbLb0EESU_EEDaSP_SQ_EUlSP_E0_NS1_11comp_targetILNS1_3genE3ELNS1_11target_archE908ELNS1_3gpuE7ELNS1_3repE0EEENS1_30default_config_static_selectorELNS0_4arch9wavefront6targetE1EEEvT1_,comdat
	.protected	_ZN7rocprim17ROCPRIM_400000_NS6detail17trampoline_kernelINS0_14default_configENS1_20scan_config_selectorIiEEZZNS1_9scan_implILNS1_25lookback_scan_determinismE0ELb0ELb0ES3_N6thrust23THRUST_200600_302600_NS6detail15normal_iteratorINS9_10device_ptrIiEEEESE_i9plus_mod3IiEiEEDaPvRmT3_T4_T5_mT6_P12ihipStream_tbENKUlT_T0_E_clISt17integral_constantIbLb0EESU_EEDaSP_SQ_EUlSP_E0_NS1_11comp_targetILNS1_3genE3ELNS1_11target_archE908ELNS1_3gpuE7ELNS1_3repE0EEENS1_30default_config_static_selectorELNS0_4arch9wavefront6targetE1EEEvT1_ ; -- Begin function _ZN7rocprim17ROCPRIM_400000_NS6detail17trampoline_kernelINS0_14default_configENS1_20scan_config_selectorIiEEZZNS1_9scan_implILNS1_25lookback_scan_determinismE0ELb0ELb0ES3_N6thrust23THRUST_200600_302600_NS6detail15normal_iteratorINS9_10device_ptrIiEEEESE_i9plus_mod3IiEiEEDaPvRmT3_T4_T5_mT6_P12ihipStream_tbENKUlT_T0_E_clISt17integral_constantIbLb0EESU_EEDaSP_SQ_EUlSP_E0_NS1_11comp_targetILNS1_3genE3ELNS1_11target_archE908ELNS1_3gpuE7ELNS1_3repE0EEENS1_30default_config_static_selectorELNS0_4arch9wavefront6targetE1EEEvT1_
	.globl	_ZN7rocprim17ROCPRIM_400000_NS6detail17trampoline_kernelINS0_14default_configENS1_20scan_config_selectorIiEEZZNS1_9scan_implILNS1_25lookback_scan_determinismE0ELb0ELb0ES3_N6thrust23THRUST_200600_302600_NS6detail15normal_iteratorINS9_10device_ptrIiEEEESE_i9plus_mod3IiEiEEDaPvRmT3_T4_T5_mT6_P12ihipStream_tbENKUlT_T0_E_clISt17integral_constantIbLb0EESU_EEDaSP_SQ_EUlSP_E0_NS1_11comp_targetILNS1_3genE3ELNS1_11target_archE908ELNS1_3gpuE7ELNS1_3repE0EEENS1_30default_config_static_selectorELNS0_4arch9wavefront6targetE1EEEvT1_
	.p2align	8
	.type	_ZN7rocprim17ROCPRIM_400000_NS6detail17trampoline_kernelINS0_14default_configENS1_20scan_config_selectorIiEEZZNS1_9scan_implILNS1_25lookback_scan_determinismE0ELb0ELb0ES3_N6thrust23THRUST_200600_302600_NS6detail15normal_iteratorINS9_10device_ptrIiEEEESE_i9plus_mod3IiEiEEDaPvRmT3_T4_T5_mT6_P12ihipStream_tbENKUlT_T0_E_clISt17integral_constantIbLb0EESU_EEDaSP_SQ_EUlSP_E0_NS1_11comp_targetILNS1_3genE3ELNS1_11target_archE908ELNS1_3gpuE7ELNS1_3repE0EEENS1_30default_config_static_selectorELNS0_4arch9wavefront6targetE1EEEvT1_,@function
_ZN7rocprim17ROCPRIM_400000_NS6detail17trampoline_kernelINS0_14default_configENS1_20scan_config_selectorIiEEZZNS1_9scan_implILNS1_25lookback_scan_determinismE0ELb0ELb0ES3_N6thrust23THRUST_200600_302600_NS6detail15normal_iteratorINS9_10device_ptrIiEEEESE_i9plus_mod3IiEiEEDaPvRmT3_T4_T5_mT6_P12ihipStream_tbENKUlT_T0_E_clISt17integral_constantIbLb0EESU_EEDaSP_SQ_EUlSP_E0_NS1_11comp_targetILNS1_3genE3ELNS1_11target_archE908ELNS1_3gpuE7ELNS1_3repE0EEENS1_30default_config_static_selectorELNS0_4arch9wavefront6targetE1EEEvT1_: ; @_ZN7rocprim17ROCPRIM_400000_NS6detail17trampoline_kernelINS0_14default_configENS1_20scan_config_selectorIiEEZZNS1_9scan_implILNS1_25lookback_scan_determinismE0ELb0ELb0ES3_N6thrust23THRUST_200600_302600_NS6detail15normal_iteratorINS9_10device_ptrIiEEEESE_i9plus_mod3IiEiEEDaPvRmT3_T4_T5_mT6_P12ihipStream_tbENKUlT_T0_E_clISt17integral_constantIbLb0EESU_EEDaSP_SQ_EUlSP_E0_NS1_11comp_targetILNS1_3genE3ELNS1_11target_archE908ELNS1_3gpuE7ELNS1_3repE0EEENS1_30default_config_static_selectorELNS0_4arch9wavefront6targetE1EEEvT1_
; %bb.0:
	.section	.rodata,"a",@progbits
	.p2align	6, 0x0
	.amdhsa_kernel _ZN7rocprim17ROCPRIM_400000_NS6detail17trampoline_kernelINS0_14default_configENS1_20scan_config_selectorIiEEZZNS1_9scan_implILNS1_25lookback_scan_determinismE0ELb0ELb0ES3_N6thrust23THRUST_200600_302600_NS6detail15normal_iteratorINS9_10device_ptrIiEEEESE_i9plus_mod3IiEiEEDaPvRmT3_T4_T5_mT6_P12ihipStream_tbENKUlT_T0_E_clISt17integral_constantIbLb0EESU_EEDaSP_SQ_EUlSP_E0_NS1_11comp_targetILNS1_3genE3ELNS1_11target_archE908ELNS1_3gpuE7ELNS1_3repE0EEENS1_30default_config_static_selectorELNS0_4arch9wavefront6targetE1EEEvT1_
		.amdhsa_group_segment_fixed_size 0
		.amdhsa_private_segment_fixed_size 0
		.amdhsa_kernarg_size 40
		.amdhsa_user_sgpr_count 6
		.amdhsa_user_sgpr_private_segment_buffer 1
		.amdhsa_user_sgpr_dispatch_ptr 0
		.amdhsa_user_sgpr_queue_ptr 0
		.amdhsa_user_sgpr_kernarg_segment_ptr 1
		.amdhsa_user_sgpr_dispatch_id 0
		.amdhsa_user_sgpr_flat_scratch_init 0
		.amdhsa_user_sgpr_kernarg_preload_length 0
		.amdhsa_user_sgpr_kernarg_preload_offset 0
		.amdhsa_user_sgpr_private_segment_size 0
		.amdhsa_uses_dynamic_stack 0
		.amdhsa_system_sgpr_private_segment_wavefront_offset 0
		.amdhsa_system_sgpr_workgroup_id_x 1
		.amdhsa_system_sgpr_workgroup_id_y 0
		.amdhsa_system_sgpr_workgroup_id_z 0
		.amdhsa_system_sgpr_workgroup_info 0
		.amdhsa_system_vgpr_workitem_id 0
		.amdhsa_next_free_vgpr 1
		.amdhsa_next_free_sgpr 0
		.amdhsa_accum_offset 4
		.amdhsa_reserve_vcc 0
		.amdhsa_reserve_flat_scratch 0
		.amdhsa_float_round_mode_32 0
		.amdhsa_float_round_mode_16_64 0
		.amdhsa_float_denorm_mode_32 3
		.amdhsa_float_denorm_mode_16_64 3
		.amdhsa_dx10_clamp 1
		.amdhsa_ieee_mode 1
		.amdhsa_fp16_overflow 0
		.amdhsa_tg_split 0
		.amdhsa_exception_fp_ieee_invalid_op 0
		.amdhsa_exception_fp_denorm_src 0
		.amdhsa_exception_fp_ieee_div_zero 0
		.amdhsa_exception_fp_ieee_overflow 0
		.amdhsa_exception_fp_ieee_underflow 0
		.amdhsa_exception_fp_ieee_inexact 0
		.amdhsa_exception_int_div_zero 0
	.end_amdhsa_kernel
	.section	.text._ZN7rocprim17ROCPRIM_400000_NS6detail17trampoline_kernelINS0_14default_configENS1_20scan_config_selectorIiEEZZNS1_9scan_implILNS1_25lookback_scan_determinismE0ELb0ELb0ES3_N6thrust23THRUST_200600_302600_NS6detail15normal_iteratorINS9_10device_ptrIiEEEESE_i9plus_mod3IiEiEEDaPvRmT3_T4_T5_mT6_P12ihipStream_tbENKUlT_T0_E_clISt17integral_constantIbLb0EESU_EEDaSP_SQ_EUlSP_E0_NS1_11comp_targetILNS1_3genE3ELNS1_11target_archE908ELNS1_3gpuE7ELNS1_3repE0EEENS1_30default_config_static_selectorELNS0_4arch9wavefront6targetE1EEEvT1_,"axG",@progbits,_ZN7rocprim17ROCPRIM_400000_NS6detail17trampoline_kernelINS0_14default_configENS1_20scan_config_selectorIiEEZZNS1_9scan_implILNS1_25lookback_scan_determinismE0ELb0ELb0ES3_N6thrust23THRUST_200600_302600_NS6detail15normal_iteratorINS9_10device_ptrIiEEEESE_i9plus_mod3IiEiEEDaPvRmT3_T4_T5_mT6_P12ihipStream_tbENKUlT_T0_E_clISt17integral_constantIbLb0EESU_EEDaSP_SQ_EUlSP_E0_NS1_11comp_targetILNS1_3genE3ELNS1_11target_archE908ELNS1_3gpuE7ELNS1_3repE0EEENS1_30default_config_static_selectorELNS0_4arch9wavefront6targetE1EEEvT1_,comdat
.Lfunc_end6618:
	.size	_ZN7rocprim17ROCPRIM_400000_NS6detail17trampoline_kernelINS0_14default_configENS1_20scan_config_selectorIiEEZZNS1_9scan_implILNS1_25lookback_scan_determinismE0ELb0ELb0ES3_N6thrust23THRUST_200600_302600_NS6detail15normal_iteratorINS9_10device_ptrIiEEEESE_i9plus_mod3IiEiEEDaPvRmT3_T4_T5_mT6_P12ihipStream_tbENKUlT_T0_E_clISt17integral_constantIbLb0EESU_EEDaSP_SQ_EUlSP_E0_NS1_11comp_targetILNS1_3genE3ELNS1_11target_archE908ELNS1_3gpuE7ELNS1_3repE0EEENS1_30default_config_static_selectorELNS0_4arch9wavefront6targetE1EEEvT1_, .Lfunc_end6618-_ZN7rocprim17ROCPRIM_400000_NS6detail17trampoline_kernelINS0_14default_configENS1_20scan_config_selectorIiEEZZNS1_9scan_implILNS1_25lookback_scan_determinismE0ELb0ELb0ES3_N6thrust23THRUST_200600_302600_NS6detail15normal_iteratorINS9_10device_ptrIiEEEESE_i9plus_mod3IiEiEEDaPvRmT3_T4_T5_mT6_P12ihipStream_tbENKUlT_T0_E_clISt17integral_constantIbLb0EESU_EEDaSP_SQ_EUlSP_E0_NS1_11comp_targetILNS1_3genE3ELNS1_11target_archE908ELNS1_3gpuE7ELNS1_3repE0EEENS1_30default_config_static_selectorELNS0_4arch9wavefront6targetE1EEEvT1_
                                        ; -- End function
	.section	.AMDGPU.csdata,"",@progbits
; Kernel info:
; codeLenInByte = 0
; NumSgprs: 4
; NumVgprs: 0
; NumAgprs: 0
; TotalNumVgprs: 0
; ScratchSize: 0
; MemoryBound: 0
; FloatMode: 240
; IeeeMode: 1
; LDSByteSize: 0 bytes/workgroup (compile time only)
; SGPRBlocks: 0
; VGPRBlocks: 0
; NumSGPRsForWavesPerEU: 4
; NumVGPRsForWavesPerEU: 1
; AccumOffset: 4
; Occupancy: 8
; WaveLimiterHint : 0
; COMPUTE_PGM_RSRC2:SCRATCH_EN: 0
; COMPUTE_PGM_RSRC2:USER_SGPR: 6
; COMPUTE_PGM_RSRC2:TRAP_HANDLER: 0
; COMPUTE_PGM_RSRC2:TGID_X_EN: 1
; COMPUTE_PGM_RSRC2:TGID_Y_EN: 0
; COMPUTE_PGM_RSRC2:TGID_Z_EN: 0
; COMPUTE_PGM_RSRC2:TIDIG_COMP_CNT: 0
; COMPUTE_PGM_RSRC3_GFX90A:ACCUM_OFFSET: 0
; COMPUTE_PGM_RSRC3_GFX90A:TG_SPLIT: 0
	.section	.text._ZN7rocprim17ROCPRIM_400000_NS6detail17trampoline_kernelINS0_14default_configENS1_20scan_config_selectorIiEEZZNS1_9scan_implILNS1_25lookback_scan_determinismE0ELb0ELb0ES3_N6thrust23THRUST_200600_302600_NS6detail15normal_iteratorINS9_10device_ptrIiEEEESE_i9plus_mod3IiEiEEDaPvRmT3_T4_T5_mT6_P12ihipStream_tbENKUlT_T0_E_clISt17integral_constantIbLb0EESU_EEDaSP_SQ_EUlSP_E0_NS1_11comp_targetILNS1_3genE2ELNS1_11target_archE906ELNS1_3gpuE6ELNS1_3repE0EEENS1_30default_config_static_selectorELNS0_4arch9wavefront6targetE1EEEvT1_,"axG",@progbits,_ZN7rocprim17ROCPRIM_400000_NS6detail17trampoline_kernelINS0_14default_configENS1_20scan_config_selectorIiEEZZNS1_9scan_implILNS1_25lookback_scan_determinismE0ELb0ELb0ES3_N6thrust23THRUST_200600_302600_NS6detail15normal_iteratorINS9_10device_ptrIiEEEESE_i9plus_mod3IiEiEEDaPvRmT3_T4_T5_mT6_P12ihipStream_tbENKUlT_T0_E_clISt17integral_constantIbLb0EESU_EEDaSP_SQ_EUlSP_E0_NS1_11comp_targetILNS1_3genE2ELNS1_11target_archE906ELNS1_3gpuE6ELNS1_3repE0EEENS1_30default_config_static_selectorELNS0_4arch9wavefront6targetE1EEEvT1_,comdat
	.protected	_ZN7rocprim17ROCPRIM_400000_NS6detail17trampoline_kernelINS0_14default_configENS1_20scan_config_selectorIiEEZZNS1_9scan_implILNS1_25lookback_scan_determinismE0ELb0ELb0ES3_N6thrust23THRUST_200600_302600_NS6detail15normal_iteratorINS9_10device_ptrIiEEEESE_i9plus_mod3IiEiEEDaPvRmT3_T4_T5_mT6_P12ihipStream_tbENKUlT_T0_E_clISt17integral_constantIbLb0EESU_EEDaSP_SQ_EUlSP_E0_NS1_11comp_targetILNS1_3genE2ELNS1_11target_archE906ELNS1_3gpuE6ELNS1_3repE0EEENS1_30default_config_static_selectorELNS0_4arch9wavefront6targetE1EEEvT1_ ; -- Begin function _ZN7rocprim17ROCPRIM_400000_NS6detail17trampoline_kernelINS0_14default_configENS1_20scan_config_selectorIiEEZZNS1_9scan_implILNS1_25lookback_scan_determinismE0ELb0ELb0ES3_N6thrust23THRUST_200600_302600_NS6detail15normal_iteratorINS9_10device_ptrIiEEEESE_i9plus_mod3IiEiEEDaPvRmT3_T4_T5_mT6_P12ihipStream_tbENKUlT_T0_E_clISt17integral_constantIbLb0EESU_EEDaSP_SQ_EUlSP_E0_NS1_11comp_targetILNS1_3genE2ELNS1_11target_archE906ELNS1_3gpuE6ELNS1_3repE0EEENS1_30default_config_static_selectorELNS0_4arch9wavefront6targetE1EEEvT1_
	.globl	_ZN7rocprim17ROCPRIM_400000_NS6detail17trampoline_kernelINS0_14default_configENS1_20scan_config_selectorIiEEZZNS1_9scan_implILNS1_25lookback_scan_determinismE0ELb0ELb0ES3_N6thrust23THRUST_200600_302600_NS6detail15normal_iteratorINS9_10device_ptrIiEEEESE_i9plus_mod3IiEiEEDaPvRmT3_T4_T5_mT6_P12ihipStream_tbENKUlT_T0_E_clISt17integral_constantIbLb0EESU_EEDaSP_SQ_EUlSP_E0_NS1_11comp_targetILNS1_3genE2ELNS1_11target_archE906ELNS1_3gpuE6ELNS1_3repE0EEENS1_30default_config_static_selectorELNS0_4arch9wavefront6targetE1EEEvT1_
	.p2align	8
	.type	_ZN7rocprim17ROCPRIM_400000_NS6detail17trampoline_kernelINS0_14default_configENS1_20scan_config_selectorIiEEZZNS1_9scan_implILNS1_25lookback_scan_determinismE0ELb0ELb0ES3_N6thrust23THRUST_200600_302600_NS6detail15normal_iteratorINS9_10device_ptrIiEEEESE_i9plus_mod3IiEiEEDaPvRmT3_T4_T5_mT6_P12ihipStream_tbENKUlT_T0_E_clISt17integral_constantIbLb0EESU_EEDaSP_SQ_EUlSP_E0_NS1_11comp_targetILNS1_3genE2ELNS1_11target_archE906ELNS1_3gpuE6ELNS1_3repE0EEENS1_30default_config_static_selectorELNS0_4arch9wavefront6targetE1EEEvT1_,@function
_ZN7rocprim17ROCPRIM_400000_NS6detail17trampoline_kernelINS0_14default_configENS1_20scan_config_selectorIiEEZZNS1_9scan_implILNS1_25lookback_scan_determinismE0ELb0ELb0ES3_N6thrust23THRUST_200600_302600_NS6detail15normal_iteratorINS9_10device_ptrIiEEEESE_i9plus_mod3IiEiEEDaPvRmT3_T4_T5_mT6_P12ihipStream_tbENKUlT_T0_E_clISt17integral_constantIbLb0EESU_EEDaSP_SQ_EUlSP_E0_NS1_11comp_targetILNS1_3genE2ELNS1_11target_archE906ELNS1_3gpuE6ELNS1_3repE0EEENS1_30default_config_static_selectorELNS0_4arch9wavefront6targetE1EEEvT1_: ; @_ZN7rocprim17ROCPRIM_400000_NS6detail17trampoline_kernelINS0_14default_configENS1_20scan_config_selectorIiEEZZNS1_9scan_implILNS1_25lookback_scan_determinismE0ELb0ELb0ES3_N6thrust23THRUST_200600_302600_NS6detail15normal_iteratorINS9_10device_ptrIiEEEESE_i9plus_mod3IiEiEEDaPvRmT3_T4_T5_mT6_P12ihipStream_tbENKUlT_T0_E_clISt17integral_constantIbLb0EESU_EEDaSP_SQ_EUlSP_E0_NS1_11comp_targetILNS1_3genE2ELNS1_11target_archE906ELNS1_3gpuE6ELNS1_3repE0EEENS1_30default_config_static_selectorELNS0_4arch9wavefront6targetE1EEEvT1_
; %bb.0:
	.section	.rodata,"a",@progbits
	.p2align	6, 0x0
	.amdhsa_kernel _ZN7rocprim17ROCPRIM_400000_NS6detail17trampoline_kernelINS0_14default_configENS1_20scan_config_selectorIiEEZZNS1_9scan_implILNS1_25lookback_scan_determinismE0ELb0ELb0ES3_N6thrust23THRUST_200600_302600_NS6detail15normal_iteratorINS9_10device_ptrIiEEEESE_i9plus_mod3IiEiEEDaPvRmT3_T4_T5_mT6_P12ihipStream_tbENKUlT_T0_E_clISt17integral_constantIbLb0EESU_EEDaSP_SQ_EUlSP_E0_NS1_11comp_targetILNS1_3genE2ELNS1_11target_archE906ELNS1_3gpuE6ELNS1_3repE0EEENS1_30default_config_static_selectorELNS0_4arch9wavefront6targetE1EEEvT1_
		.amdhsa_group_segment_fixed_size 0
		.amdhsa_private_segment_fixed_size 0
		.amdhsa_kernarg_size 40
		.amdhsa_user_sgpr_count 6
		.amdhsa_user_sgpr_private_segment_buffer 1
		.amdhsa_user_sgpr_dispatch_ptr 0
		.amdhsa_user_sgpr_queue_ptr 0
		.amdhsa_user_sgpr_kernarg_segment_ptr 1
		.amdhsa_user_sgpr_dispatch_id 0
		.amdhsa_user_sgpr_flat_scratch_init 0
		.amdhsa_user_sgpr_kernarg_preload_length 0
		.amdhsa_user_sgpr_kernarg_preload_offset 0
		.amdhsa_user_sgpr_private_segment_size 0
		.amdhsa_uses_dynamic_stack 0
		.amdhsa_system_sgpr_private_segment_wavefront_offset 0
		.amdhsa_system_sgpr_workgroup_id_x 1
		.amdhsa_system_sgpr_workgroup_id_y 0
		.amdhsa_system_sgpr_workgroup_id_z 0
		.amdhsa_system_sgpr_workgroup_info 0
		.amdhsa_system_vgpr_workitem_id 0
		.amdhsa_next_free_vgpr 1
		.amdhsa_next_free_sgpr 0
		.amdhsa_accum_offset 4
		.amdhsa_reserve_vcc 0
		.amdhsa_reserve_flat_scratch 0
		.amdhsa_float_round_mode_32 0
		.amdhsa_float_round_mode_16_64 0
		.amdhsa_float_denorm_mode_32 3
		.amdhsa_float_denorm_mode_16_64 3
		.amdhsa_dx10_clamp 1
		.amdhsa_ieee_mode 1
		.amdhsa_fp16_overflow 0
		.amdhsa_tg_split 0
		.amdhsa_exception_fp_ieee_invalid_op 0
		.amdhsa_exception_fp_denorm_src 0
		.amdhsa_exception_fp_ieee_div_zero 0
		.amdhsa_exception_fp_ieee_overflow 0
		.amdhsa_exception_fp_ieee_underflow 0
		.amdhsa_exception_fp_ieee_inexact 0
		.amdhsa_exception_int_div_zero 0
	.end_amdhsa_kernel
	.section	.text._ZN7rocprim17ROCPRIM_400000_NS6detail17trampoline_kernelINS0_14default_configENS1_20scan_config_selectorIiEEZZNS1_9scan_implILNS1_25lookback_scan_determinismE0ELb0ELb0ES3_N6thrust23THRUST_200600_302600_NS6detail15normal_iteratorINS9_10device_ptrIiEEEESE_i9plus_mod3IiEiEEDaPvRmT3_T4_T5_mT6_P12ihipStream_tbENKUlT_T0_E_clISt17integral_constantIbLb0EESU_EEDaSP_SQ_EUlSP_E0_NS1_11comp_targetILNS1_3genE2ELNS1_11target_archE906ELNS1_3gpuE6ELNS1_3repE0EEENS1_30default_config_static_selectorELNS0_4arch9wavefront6targetE1EEEvT1_,"axG",@progbits,_ZN7rocprim17ROCPRIM_400000_NS6detail17trampoline_kernelINS0_14default_configENS1_20scan_config_selectorIiEEZZNS1_9scan_implILNS1_25lookback_scan_determinismE0ELb0ELb0ES3_N6thrust23THRUST_200600_302600_NS6detail15normal_iteratorINS9_10device_ptrIiEEEESE_i9plus_mod3IiEiEEDaPvRmT3_T4_T5_mT6_P12ihipStream_tbENKUlT_T0_E_clISt17integral_constantIbLb0EESU_EEDaSP_SQ_EUlSP_E0_NS1_11comp_targetILNS1_3genE2ELNS1_11target_archE906ELNS1_3gpuE6ELNS1_3repE0EEENS1_30default_config_static_selectorELNS0_4arch9wavefront6targetE1EEEvT1_,comdat
.Lfunc_end6619:
	.size	_ZN7rocprim17ROCPRIM_400000_NS6detail17trampoline_kernelINS0_14default_configENS1_20scan_config_selectorIiEEZZNS1_9scan_implILNS1_25lookback_scan_determinismE0ELb0ELb0ES3_N6thrust23THRUST_200600_302600_NS6detail15normal_iteratorINS9_10device_ptrIiEEEESE_i9plus_mod3IiEiEEDaPvRmT3_T4_T5_mT6_P12ihipStream_tbENKUlT_T0_E_clISt17integral_constantIbLb0EESU_EEDaSP_SQ_EUlSP_E0_NS1_11comp_targetILNS1_3genE2ELNS1_11target_archE906ELNS1_3gpuE6ELNS1_3repE0EEENS1_30default_config_static_selectorELNS0_4arch9wavefront6targetE1EEEvT1_, .Lfunc_end6619-_ZN7rocprim17ROCPRIM_400000_NS6detail17trampoline_kernelINS0_14default_configENS1_20scan_config_selectorIiEEZZNS1_9scan_implILNS1_25lookback_scan_determinismE0ELb0ELb0ES3_N6thrust23THRUST_200600_302600_NS6detail15normal_iteratorINS9_10device_ptrIiEEEESE_i9plus_mod3IiEiEEDaPvRmT3_T4_T5_mT6_P12ihipStream_tbENKUlT_T0_E_clISt17integral_constantIbLb0EESU_EEDaSP_SQ_EUlSP_E0_NS1_11comp_targetILNS1_3genE2ELNS1_11target_archE906ELNS1_3gpuE6ELNS1_3repE0EEENS1_30default_config_static_selectorELNS0_4arch9wavefront6targetE1EEEvT1_
                                        ; -- End function
	.section	.AMDGPU.csdata,"",@progbits
; Kernel info:
; codeLenInByte = 0
; NumSgprs: 4
; NumVgprs: 0
; NumAgprs: 0
; TotalNumVgprs: 0
; ScratchSize: 0
; MemoryBound: 0
; FloatMode: 240
; IeeeMode: 1
; LDSByteSize: 0 bytes/workgroup (compile time only)
; SGPRBlocks: 0
; VGPRBlocks: 0
; NumSGPRsForWavesPerEU: 4
; NumVGPRsForWavesPerEU: 1
; AccumOffset: 4
; Occupancy: 8
; WaveLimiterHint : 0
; COMPUTE_PGM_RSRC2:SCRATCH_EN: 0
; COMPUTE_PGM_RSRC2:USER_SGPR: 6
; COMPUTE_PGM_RSRC2:TRAP_HANDLER: 0
; COMPUTE_PGM_RSRC2:TGID_X_EN: 1
; COMPUTE_PGM_RSRC2:TGID_Y_EN: 0
; COMPUTE_PGM_RSRC2:TGID_Z_EN: 0
; COMPUTE_PGM_RSRC2:TIDIG_COMP_CNT: 0
; COMPUTE_PGM_RSRC3_GFX90A:ACCUM_OFFSET: 0
; COMPUTE_PGM_RSRC3_GFX90A:TG_SPLIT: 0
	.section	.text._ZN7rocprim17ROCPRIM_400000_NS6detail17trampoline_kernelINS0_14default_configENS1_20scan_config_selectorIiEEZZNS1_9scan_implILNS1_25lookback_scan_determinismE0ELb0ELb0ES3_N6thrust23THRUST_200600_302600_NS6detail15normal_iteratorINS9_10device_ptrIiEEEESE_i9plus_mod3IiEiEEDaPvRmT3_T4_T5_mT6_P12ihipStream_tbENKUlT_T0_E_clISt17integral_constantIbLb0EESU_EEDaSP_SQ_EUlSP_E0_NS1_11comp_targetILNS1_3genE10ELNS1_11target_archE1201ELNS1_3gpuE5ELNS1_3repE0EEENS1_30default_config_static_selectorELNS0_4arch9wavefront6targetE1EEEvT1_,"axG",@progbits,_ZN7rocprim17ROCPRIM_400000_NS6detail17trampoline_kernelINS0_14default_configENS1_20scan_config_selectorIiEEZZNS1_9scan_implILNS1_25lookback_scan_determinismE0ELb0ELb0ES3_N6thrust23THRUST_200600_302600_NS6detail15normal_iteratorINS9_10device_ptrIiEEEESE_i9plus_mod3IiEiEEDaPvRmT3_T4_T5_mT6_P12ihipStream_tbENKUlT_T0_E_clISt17integral_constantIbLb0EESU_EEDaSP_SQ_EUlSP_E0_NS1_11comp_targetILNS1_3genE10ELNS1_11target_archE1201ELNS1_3gpuE5ELNS1_3repE0EEENS1_30default_config_static_selectorELNS0_4arch9wavefront6targetE1EEEvT1_,comdat
	.protected	_ZN7rocprim17ROCPRIM_400000_NS6detail17trampoline_kernelINS0_14default_configENS1_20scan_config_selectorIiEEZZNS1_9scan_implILNS1_25lookback_scan_determinismE0ELb0ELb0ES3_N6thrust23THRUST_200600_302600_NS6detail15normal_iteratorINS9_10device_ptrIiEEEESE_i9plus_mod3IiEiEEDaPvRmT3_T4_T5_mT6_P12ihipStream_tbENKUlT_T0_E_clISt17integral_constantIbLb0EESU_EEDaSP_SQ_EUlSP_E0_NS1_11comp_targetILNS1_3genE10ELNS1_11target_archE1201ELNS1_3gpuE5ELNS1_3repE0EEENS1_30default_config_static_selectorELNS0_4arch9wavefront6targetE1EEEvT1_ ; -- Begin function _ZN7rocprim17ROCPRIM_400000_NS6detail17trampoline_kernelINS0_14default_configENS1_20scan_config_selectorIiEEZZNS1_9scan_implILNS1_25lookback_scan_determinismE0ELb0ELb0ES3_N6thrust23THRUST_200600_302600_NS6detail15normal_iteratorINS9_10device_ptrIiEEEESE_i9plus_mod3IiEiEEDaPvRmT3_T4_T5_mT6_P12ihipStream_tbENKUlT_T0_E_clISt17integral_constantIbLb0EESU_EEDaSP_SQ_EUlSP_E0_NS1_11comp_targetILNS1_3genE10ELNS1_11target_archE1201ELNS1_3gpuE5ELNS1_3repE0EEENS1_30default_config_static_selectorELNS0_4arch9wavefront6targetE1EEEvT1_
	.globl	_ZN7rocprim17ROCPRIM_400000_NS6detail17trampoline_kernelINS0_14default_configENS1_20scan_config_selectorIiEEZZNS1_9scan_implILNS1_25lookback_scan_determinismE0ELb0ELb0ES3_N6thrust23THRUST_200600_302600_NS6detail15normal_iteratorINS9_10device_ptrIiEEEESE_i9plus_mod3IiEiEEDaPvRmT3_T4_T5_mT6_P12ihipStream_tbENKUlT_T0_E_clISt17integral_constantIbLb0EESU_EEDaSP_SQ_EUlSP_E0_NS1_11comp_targetILNS1_3genE10ELNS1_11target_archE1201ELNS1_3gpuE5ELNS1_3repE0EEENS1_30default_config_static_selectorELNS0_4arch9wavefront6targetE1EEEvT1_
	.p2align	8
	.type	_ZN7rocprim17ROCPRIM_400000_NS6detail17trampoline_kernelINS0_14default_configENS1_20scan_config_selectorIiEEZZNS1_9scan_implILNS1_25lookback_scan_determinismE0ELb0ELb0ES3_N6thrust23THRUST_200600_302600_NS6detail15normal_iteratorINS9_10device_ptrIiEEEESE_i9plus_mod3IiEiEEDaPvRmT3_T4_T5_mT6_P12ihipStream_tbENKUlT_T0_E_clISt17integral_constantIbLb0EESU_EEDaSP_SQ_EUlSP_E0_NS1_11comp_targetILNS1_3genE10ELNS1_11target_archE1201ELNS1_3gpuE5ELNS1_3repE0EEENS1_30default_config_static_selectorELNS0_4arch9wavefront6targetE1EEEvT1_,@function
_ZN7rocprim17ROCPRIM_400000_NS6detail17trampoline_kernelINS0_14default_configENS1_20scan_config_selectorIiEEZZNS1_9scan_implILNS1_25lookback_scan_determinismE0ELb0ELb0ES3_N6thrust23THRUST_200600_302600_NS6detail15normal_iteratorINS9_10device_ptrIiEEEESE_i9plus_mod3IiEiEEDaPvRmT3_T4_T5_mT6_P12ihipStream_tbENKUlT_T0_E_clISt17integral_constantIbLb0EESU_EEDaSP_SQ_EUlSP_E0_NS1_11comp_targetILNS1_3genE10ELNS1_11target_archE1201ELNS1_3gpuE5ELNS1_3repE0EEENS1_30default_config_static_selectorELNS0_4arch9wavefront6targetE1EEEvT1_: ; @_ZN7rocprim17ROCPRIM_400000_NS6detail17trampoline_kernelINS0_14default_configENS1_20scan_config_selectorIiEEZZNS1_9scan_implILNS1_25lookback_scan_determinismE0ELb0ELb0ES3_N6thrust23THRUST_200600_302600_NS6detail15normal_iteratorINS9_10device_ptrIiEEEESE_i9plus_mod3IiEiEEDaPvRmT3_T4_T5_mT6_P12ihipStream_tbENKUlT_T0_E_clISt17integral_constantIbLb0EESU_EEDaSP_SQ_EUlSP_E0_NS1_11comp_targetILNS1_3genE10ELNS1_11target_archE1201ELNS1_3gpuE5ELNS1_3repE0EEENS1_30default_config_static_selectorELNS0_4arch9wavefront6targetE1EEEvT1_
; %bb.0:
	.section	.rodata,"a",@progbits
	.p2align	6, 0x0
	.amdhsa_kernel _ZN7rocprim17ROCPRIM_400000_NS6detail17trampoline_kernelINS0_14default_configENS1_20scan_config_selectorIiEEZZNS1_9scan_implILNS1_25lookback_scan_determinismE0ELb0ELb0ES3_N6thrust23THRUST_200600_302600_NS6detail15normal_iteratorINS9_10device_ptrIiEEEESE_i9plus_mod3IiEiEEDaPvRmT3_T4_T5_mT6_P12ihipStream_tbENKUlT_T0_E_clISt17integral_constantIbLb0EESU_EEDaSP_SQ_EUlSP_E0_NS1_11comp_targetILNS1_3genE10ELNS1_11target_archE1201ELNS1_3gpuE5ELNS1_3repE0EEENS1_30default_config_static_selectorELNS0_4arch9wavefront6targetE1EEEvT1_
		.amdhsa_group_segment_fixed_size 0
		.amdhsa_private_segment_fixed_size 0
		.amdhsa_kernarg_size 40
		.amdhsa_user_sgpr_count 6
		.amdhsa_user_sgpr_private_segment_buffer 1
		.amdhsa_user_sgpr_dispatch_ptr 0
		.amdhsa_user_sgpr_queue_ptr 0
		.amdhsa_user_sgpr_kernarg_segment_ptr 1
		.amdhsa_user_sgpr_dispatch_id 0
		.amdhsa_user_sgpr_flat_scratch_init 0
		.amdhsa_user_sgpr_kernarg_preload_length 0
		.amdhsa_user_sgpr_kernarg_preload_offset 0
		.amdhsa_user_sgpr_private_segment_size 0
		.amdhsa_uses_dynamic_stack 0
		.amdhsa_system_sgpr_private_segment_wavefront_offset 0
		.amdhsa_system_sgpr_workgroup_id_x 1
		.amdhsa_system_sgpr_workgroup_id_y 0
		.amdhsa_system_sgpr_workgroup_id_z 0
		.amdhsa_system_sgpr_workgroup_info 0
		.amdhsa_system_vgpr_workitem_id 0
		.amdhsa_next_free_vgpr 1
		.amdhsa_next_free_sgpr 0
		.amdhsa_accum_offset 4
		.amdhsa_reserve_vcc 0
		.amdhsa_reserve_flat_scratch 0
		.amdhsa_float_round_mode_32 0
		.amdhsa_float_round_mode_16_64 0
		.amdhsa_float_denorm_mode_32 3
		.amdhsa_float_denorm_mode_16_64 3
		.amdhsa_dx10_clamp 1
		.amdhsa_ieee_mode 1
		.amdhsa_fp16_overflow 0
		.amdhsa_tg_split 0
		.amdhsa_exception_fp_ieee_invalid_op 0
		.amdhsa_exception_fp_denorm_src 0
		.amdhsa_exception_fp_ieee_div_zero 0
		.amdhsa_exception_fp_ieee_overflow 0
		.amdhsa_exception_fp_ieee_underflow 0
		.amdhsa_exception_fp_ieee_inexact 0
		.amdhsa_exception_int_div_zero 0
	.end_amdhsa_kernel
	.section	.text._ZN7rocprim17ROCPRIM_400000_NS6detail17trampoline_kernelINS0_14default_configENS1_20scan_config_selectorIiEEZZNS1_9scan_implILNS1_25lookback_scan_determinismE0ELb0ELb0ES3_N6thrust23THRUST_200600_302600_NS6detail15normal_iteratorINS9_10device_ptrIiEEEESE_i9plus_mod3IiEiEEDaPvRmT3_T4_T5_mT6_P12ihipStream_tbENKUlT_T0_E_clISt17integral_constantIbLb0EESU_EEDaSP_SQ_EUlSP_E0_NS1_11comp_targetILNS1_3genE10ELNS1_11target_archE1201ELNS1_3gpuE5ELNS1_3repE0EEENS1_30default_config_static_selectorELNS0_4arch9wavefront6targetE1EEEvT1_,"axG",@progbits,_ZN7rocprim17ROCPRIM_400000_NS6detail17trampoline_kernelINS0_14default_configENS1_20scan_config_selectorIiEEZZNS1_9scan_implILNS1_25lookback_scan_determinismE0ELb0ELb0ES3_N6thrust23THRUST_200600_302600_NS6detail15normal_iteratorINS9_10device_ptrIiEEEESE_i9plus_mod3IiEiEEDaPvRmT3_T4_T5_mT6_P12ihipStream_tbENKUlT_T0_E_clISt17integral_constantIbLb0EESU_EEDaSP_SQ_EUlSP_E0_NS1_11comp_targetILNS1_3genE10ELNS1_11target_archE1201ELNS1_3gpuE5ELNS1_3repE0EEENS1_30default_config_static_selectorELNS0_4arch9wavefront6targetE1EEEvT1_,comdat
.Lfunc_end6620:
	.size	_ZN7rocprim17ROCPRIM_400000_NS6detail17trampoline_kernelINS0_14default_configENS1_20scan_config_selectorIiEEZZNS1_9scan_implILNS1_25lookback_scan_determinismE0ELb0ELb0ES3_N6thrust23THRUST_200600_302600_NS6detail15normal_iteratorINS9_10device_ptrIiEEEESE_i9plus_mod3IiEiEEDaPvRmT3_T4_T5_mT6_P12ihipStream_tbENKUlT_T0_E_clISt17integral_constantIbLb0EESU_EEDaSP_SQ_EUlSP_E0_NS1_11comp_targetILNS1_3genE10ELNS1_11target_archE1201ELNS1_3gpuE5ELNS1_3repE0EEENS1_30default_config_static_selectorELNS0_4arch9wavefront6targetE1EEEvT1_, .Lfunc_end6620-_ZN7rocprim17ROCPRIM_400000_NS6detail17trampoline_kernelINS0_14default_configENS1_20scan_config_selectorIiEEZZNS1_9scan_implILNS1_25lookback_scan_determinismE0ELb0ELb0ES3_N6thrust23THRUST_200600_302600_NS6detail15normal_iteratorINS9_10device_ptrIiEEEESE_i9plus_mod3IiEiEEDaPvRmT3_T4_T5_mT6_P12ihipStream_tbENKUlT_T0_E_clISt17integral_constantIbLb0EESU_EEDaSP_SQ_EUlSP_E0_NS1_11comp_targetILNS1_3genE10ELNS1_11target_archE1201ELNS1_3gpuE5ELNS1_3repE0EEENS1_30default_config_static_selectorELNS0_4arch9wavefront6targetE1EEEvT1_
                                        ; -- End function
	.section	.AMDGPU.csdata,"",@progbits
; Kernel info:
; codeLenInByte = 0
; NumSgprs: 4
; NumVgprs: 0
; NumAgprs: 0
; TotalNumVgprs: 0
; ScratchSize: 0
; MemoryBound: 0
; FloatMode: 240
; IeeeMode: 1
; LDSByteSize: 0 bytes/workgroup (compile time only)
; SGPRBlocks: 0
; VGPRBlocks: 0
; NumSGPRsForWavesPerEU: 4
; NumVGPRsForWavesPerEU: 1
; AccumOffset: 4
; Occupancy: 8
; WaveLimiterHint : 0
; COMPUTE_PGM_RSRC2:SCRATCH_EN: 0
; COMPUTE_PGM_RSRC2:USER_SGPR: 6
; COMPUTE_PGM_RSRC2:TRAP_HANDLER: 0
; COMPUTE_PGM_RSRC2:TGID_X_EN: 1
; COMPUTE_PGM_RSRC2:TGID_Y_EN: 0
; COMPUTE_PGM_RSRC2:TGID_Z_EN: 0
; COMPUTE_PGM_RSRC2:TIDIG_COMP_CNT: 0
; COMPUTE_PGM_RSRC3_GFX90A:ACCUM_OFFSET: 0
; COMPUTE_PGM_RSRC3_GFX90A:TG_SPLIT: 0
	.section	.text._ZN7rocprim17ROCPRIM_400000_NS6detail17trampoline_kernelINS0_14default_configENS1_20scan_config_selectorIiEEZZNS1_9scan_implILNS1_25lookback_scan_determinismE0ELb0ELb0ES3_N6thrust23THRUST_200600_302600_NS6detail15normal_iteratorINS9_10device_ptrIiEEEESE_i9plus_mod3IiEiEEDaPvRmT3_T4_T5_mT6_P12ihipStream_tbENKUlT_T0_E_clISt17integral_constantIbLb0EESU_EEDaSP_SQ_EUlSP_E0_NS1_11comp_targetILNS1_3genE10ELNS1_11target_archE1200ELNS1_3gpuE4ELNS1_3repE0EEENS1_30default_config_static_selectorELNS0_4arch9wavefront6targetE1EEEvT1_,"axG",@progbits,_ZN7rocprim17ROCPRIM_400000_NS6detail17trampoline_kernelINS0_14default_configENS1_20scan_config_selectorIiEEZZNS1_9scan_implILNS1_25lookback_scan_determinismE0ELb0ELb0ES3_N6thrust23THRUST_200600_302600_NS6detail15normal_iteratorINS9_10device_ptrIiEEEESE_i9plus_mod3IiEiEEDaPvRmT3_T4_T5_mT6_P12ihipStream_tbENKUlT_T0_E_clISt17integral_constantIbLb0EESU_EEDaSP_SQ_EUlSP_E0_NS1_11comp_targetILNS1_3genE10ELNS1_11target_archE1200ELNS1_3gpuE4ELNS1_3repE0EEENS1_30default_config_static_selectorELNS0_4arch9wavefront6targetE1EEEvT1_,comdat
	.protected	_ZN7rocprim17ROCPRIM_400000_NS6detail17trampoline_kernelINS0_14default_configENS1_20scan_config_selectorIiEEZZNS1_9scan_implILNS1_25lookback_scan_determinismE0ELb0ELb0ES3_N6thrust23THRUST_200600_302600_NS6detail15normal_iteratorINS9_10device_ptrIiEEEESE_i9plus_mod3IiEiEEDaPvRmT3_T4_T5_mT6_P12ihipStream_tbENKUlT_T0_E_clISt17integral_constantIbLb0EESU_EEDaSP_SQ_EUlSP_E0_NS1_11comp_targetILNS1_3genE10ELNS1_11target_archE1200ELNS1_3gpuE4ELNS1_3repE0EEENS1_30default_config_static_selectorELNS0_4arch9wavefront6targetE1EEEvT1_ ; -- Begin function _ZN7rocprim17ROCPRIM_400000_NS6detail17trampoline_kernelINS0_14default_configENS1_20scan_config_selectorIiEEZZNS1_9scan_implILNS1_25lookback_scan_determinismE0ELb0ELb0ES3_N6thrust23THRUST_200600_302600_NS6detail15normal_iteratorINS9_10device_ptrIiEEEESE_i9plus_mod3IiEiEEDaPvRmT3_T4_T5_mT6_P12ihipStream_tbENKUlT_T0_E_clISt17integral_constantIbLb0EESU_EEDaSP_SQ_EUlSP_E0_NS1_11comp_targetILNS1_3genE10ELNS1_11target_archE1200ELNS1_3gpuE4ELNS1_3repE0EEENS1_30default_config_static_selectorELNS0_4arch9wavefront6targetE1EEEvT1_
	.globl	_ZN7rocprim17ROCPRIM_400000_NS6detail17trampoline_kernelINS0_14default_configENS1_20scan_config_selectorIiEEZZNS1_9scan_implILNS1_25lookback_scan_determinismE0ELb0ELb0ES3_N6thrust23THRUST_200600_302600_NS6detail15normal_iteratorINS9_10device_ptrIiEEEESE_i9plus_mod3IiEiEEDaPvRmT3_T4_T5_mT6_P12ihipStream_tbENKUlT_T0_E_clISt17integral_constantIbLb0EESU_EEDaSP_SQ_EUlSP_E0_NS1_11comp_targetILNS1_3genE10ELNS1_11target_archE1200ELNS1_3gpuE4ELNS1_3repE0EEENS1_30default_config_static_selectorELNS0_4arch9wavefront6targetE1EEEvT1_
	.p2align	8
	.type	_ZN7rocprim17ROCPRIM_400000_NS6detail17trampoline_kernelINS0_14default_configENS1_20scan_config_selectorIiEEZZNS1_9scan_implILNS1_25lookback_scan_determinismE0ELb0ELb0ES3_N6thrust23THRUST_200600_302600_NS6detail15normal_iteratorINS9_10device_ptrIiEEEESE_i9plus_mod3IiEiEEDaPvRmT3_T4_T5_mT6_P12ihipStream_tbENKUlT_T0_E_clISt17integral_constantIbLb0EESU_EEDaSP_SQ_EUlSP_E0_NS1_11comp_targetILNS1_3genE10ELNS1_11target_archE1200ELNS1_3gpuE4ELNS1_3repE0EEENS1_30default_config_static_selectorELNS0_4arch9wavefront6targetE1EEEvT1_,@function
_ZN7rocprim17ROCPRIM_400000_NS6detail17trampoline_kernelINS0_14default_configENS1_20scan_config_selectorIiEEZZNS1_9scan_implILNS1_25lookback_scan_determinismE0ELb0ELb0ES3_N6thrust23THRUST_200600_302600_NS6detail15normal_iteratorINS9_10device_ptrIiEEEESE_i9plus_mod3IiEiEEDaPvRmT3_T4_T5_mT6_P12ihipStream_tbENKUlT_T0_E_clISt17integral_constantIbLb0EESU_EEDaSP_SQ_EUlSP_E0_NS1_11comp_targetILNS1_3genE10ELNS1_11target_archE1200ELNS1_3gpuE4ELNS1_3repE0EEENS1_30default_config_static_selectorELNS0_4arch9wavefront6targetE1EEEvT1_: ; @_ZN7rocprim17ROCPRIM_400000_NS6detail17trampoline_kernelINS0_14default_configENS1_20scan_config_selectorIiEEZZNS1_9scan_implILNS1_25lookback_scan_determinismE0ELb0ELb0ES3_N6thrust23THRUST_200600_302600_NS6detail15normal_iteratorINS9_10device_ptrIiEEEESE_i9plus_mod3IiEiEEDaPvRmT3_T4_T5_mT6_P12ihipStream_tbENKUlT_T0_E_clISt17integral_constantIbLb0EESU_EEDaSP_SQ_EUlSP_E0_NS1_11comp_targetILNS1_3genE10ELNS1_11target_archE1200ELNS1_3gpuE4ELNS1_3repE0EEENS1_30default_config_static_selectorELNS0_4arch9wavefront6targetE1EEEvT1_
; %bb.0:
	.section	.rodata,"a",@progbits
	.p2align	6, 0x0
	.amdhsa_kernel _ZN7rocprim17ROCPRIM_400000_NS6detail17trampoline_kernelINS0_14default_configENS1_20scan_config_selectorIiEEZZNS1_9scan_implILNS1_25lookback_scan_determinismE0ELb0ELb0ES3_N6thrust23THRUST_200600_302600_NS6detail15normal_iteratorINS9_10device_ptrIiEEEESE_i9plus_mod3IiEiEEDaPvRmT3_T4_T5_mT6_P12ihipStream_tbENKUlT_T0_E_clISt17integral_constantIbLb0EESU_EEDaSP_SQ_EUlSP_E0_NS1_11comp_targetILNS1_3genE10ELNS1_11target_archE1200ELNS1_3gpuE4ELNS1_3repE0EEENS1_30default_config_static_selectorELNS0_4arch9wavefront6targetE1EEEvT1_
		.amdhsa_group_segment_fixed_size 0
		.amdhsa_private_segment_fixed_size 0
		.amdhsa_kernarg_size 40
		.amdhsa_user_sgpr_count 6
		.amdhsa_user_sgpr_private_segment_buffer 1
		.amdhsa_user_sgpr_dispatch_ptr 0
		.amdhsa_user_sgpr_queue_ptr 0
		.amdhsa_user_sgpr_kernarg_segment_ptr 1
		.amdhsa_user_sgpr_dispatch_id 0
		.amdhsa_user_sgpr_flat_scratch_init 0
		.amdhsa_user_sgpr_kernarg_preload_length 0
		.amdhsa_user_sgpr_kernarg_preload_offset 0
		.amdhsa_user_sgpr_private_segment_size 0
		.amdhsa_uses_dynamic_stack 0
		.amdhsa_system_sgpr_private_segment_wavefront_offset 0
		.amdhsa_system_sgpr_workgroup_id_x 1
		.amdhsa_system_sgpr_workgroup_id_y 0
		.amdhsa_system_sgpr_workgroup_id_z 0
		.amdhsa_system_sgpr_workgroup_info 0
		.amdhsa_system_vgpr_workitem_id 0
		.amdhsa_next_free_vgpr 1
		.amdhsa_next_free_sgpr 0
		.amdhsa_accum_offset 4
		.amdhsa_reserve_vcc 0
		.amdhsa_reserve_flat_scratch 0
		.amdhsa_float_round_mode_32 0
		.amdhsa_float_round_mode_16_64 0
		.amdhsa_float_denorm_mode_32 3
		.amdhsa_float_denorm_mode_16_64 3
		.amdhsa_dx10_clamp 1
		.amdhsa_ieee_mode 1
		.amdhsa_fp16_overflow 0
		.amdhsa_tg_split 0
		.amdhsa_exception_fp_ieee_invalid_op 0
		.amdhsa_exception_fp_denorm_src 0
		.amdhsa_exception_fp_ieee_div_zero 0
		.amdhsa_exception_fp_ieee_overflow 0
		.amdhsa_exception_fp_ieee_underflow 0
		.amdhsa_exception_fp_ieee_inexact 0
		.amdhsa_exception_int_div_zero 0
	.end_amdhsa_kernel
	.section	.text._ZN7rocprim17ROCPRIM_400000_NS6detail17trampoline_kernelINS0_14default_configENS1_20scan_config_selectorIiEEZZNS1_9scan_implILNS1_25lookback_scan_determinismE0ELb0ELb0ES3_N6thrust23THRUST_200600_302600_NS6detail15normal_iteratorINS9_10device_ptrIiEEEESE_i9plus_mod3IiEiEEDaPvRmT3_T4_T5_mT6_P12ihipStream_tbENKUlT_T0_E_clISt17integral_constantIbLb0EESU_EEDaSP_SQ_EUlSP_E0_NS1_11comp_targetILNS1_3genE10ELNS1_11target_archE1200ELNS1_3gpuE4ELNS1_3repE0EEENS1_30default_config_static_selectorELNS0_4arch9wavefront6targetE1EEEvT1_,"axG",@progbits,_ZN7rocprim17ROCPRIM_400000_NS6detail17trampoline_kernelINS0_14default_configENS1_20scan_config_selectorIiEEZZNS1_9scan_implILNS1_25lookback_scan_determinismE0ELb0ELb0ES3_N6thrust23THRUST_200600_302600_NS6detail15normal_iteratorINS9_10device_ptrIiEEEESE_i9plus_mod3IiEiEEDaPvRmT3_T4_T5_mT6_P12ihipStream_tbENKUlT_T0_E_clISt17integral_constantIbLb0EESU_EEDaSP_SQ_EUlSP_E0_NS1_11comp_targetILNS1_3genE10ELNS1_11target_archE1200ELNS1_3gpuE4ELNS1_3repE0EEENS1_30default_config_static_selectorELNS0_4arch9wavefront6targetE1EEEvT1_,comdat
.Lfunc_end6621:
	.size	_ZN7rocprim17ROCPRIM_400000_NS6detail17trampoline_kernelINS0_14default_configENS1_20scan_config_selectorIiEEZZNS1_9scan_implILNS1_25lookback_scan_determinismE0ELb0ELb0ES3_N6thrust23THRUST_200600_302600_NS6detail15normal_iteratorINS9_10device_ptrIiEEEESE_i9plus_mod3IiEiEEDaPvRmT3_T4_T5_mT6_P12ihipStream_tbENKUlT_T0_E_clISt17integral_constantIbLb0EESU_EEDaSP_SQ_EUlSP_E0_NS1_11comp_targetILNS1_3genE10ELNS1_11target_archE1200ELNS1_3gpuE4ELNS1_3repE0EEENS1_30default_config_static_selectorELNS0_4arch9wavefront6targetE1EEEvT1_, .Lfunc_end6621-_ZN7rocprim17ROCPRIM_400000_NS6detail17trampoline_kernelINS0_14default_configENS1_20scan_config_selectorIiEEZZNS1_9scan_implILNS1_25lookback_scan_determinismE0ELb0ELb0ES3_N6thrust23THRUST_200600_302600_NS6detail15normal_iteratorINS9_10device_ptrIiEEEESE_i9plus_mod3IiEiEEDaPvRmT3_T4_T5_mT6_P12ihipStream_tbENKUlT_T0_E_clISt17integral_constantIbLb0EESU_EEDaSP_SQ_EUlSP_E0_NS1_11comp_targetILNS1_3genE10ELNS1_11target_archE1200ELNS1_3gpuE4ELNS1_3repE0EEENS1_30default_config_static_selectorELNS0_4arch9wavefront6targetE1EEEvT1_
                                        ; -- End function
	.section	.AMDGPU.csdata,"",@progbits
; Kernel info:
; codeLenInByte = 0
; NumSgprs: 4
; NumVgprs: 0
; NumAgprs: 0
; TotalNumVgprs: 0
; ScratchSize: 0
; MemoryBound: 0
; FloatMode: 240
; IeeeMode: 1
; LDSByteSize: 0 bytes/workgroup (compile time only)
; SGPRBlocks: 0
; VGPRBlocks: 0
; NumSGPRsForWavesPerEU: 4
; NumVGPRsForWavesPerEU: 1
; AccumOffset: 4
; Occupancy: 8
; WaveLimiterHint : 0
; COMPUTE_PGM_RSRC2:SCRATCH_EN: 0
; COMPUTE_PGM_RSRC2:USER_SGPR: 6
; COMPUTE_PGM_RSRC2:TRAP_HANDLER: 0
; COMPUTE_PGM_RSRC2:TGID_X_EN: 1
; COMPUTE_PGM_RSRC2:TGID_Y_EN: 0
; COMPUTE_PGM_RSRC2:TGID_Z_EN: 0
; COMPUTE_PGM_RSRC2:TIDIG_COMP_CNT: 0
; COMPUTE_PGM_RSRC3_GFX90A:ACCUM_OFFSET: 0
; COMPUTE_PGM_RSRC3_GFX90A:TG_SPLIT: 0
	.section	.text._ZN7rocprim17ROCPRIM_400000_NS6detail17trampoline_kernelINS0_14default_configENS1_20scan_config_selectorIiEEZZNS1_9scan_implILNS1_25lookback_scan_determinismE0ELb0ELb0ES3_N6thrust23THRUST_200600_302600_NS6detail15normal_iteratorINS9_10device_ptrIiEEEESE_i9plus_mod3IiEiEEDaPvRmT3_T4_T5_mT6_P12ihipStream_tbENKUlT_T0_E_clISt17integral_constantIbLb0EESU_EEDaSP_SQ_EUlSP_E0_NS1_11comp_targetILNS1_3genE9ELNS1_11target_archE1100ELNS1_3gpuE3ELNS1_3repE0EEENS1_30default_config_static_selectorELNS0_4arch9wavefront6targetE1EEEvT1_,"axG",@progbits,_ZN7rocprim17ROCPRIM_400000_NS6detail17trampoline_kernelINS0_14default_configENS1_20scan_config_selectorIiEEZZNS1_9scan_implILNS1_25lookback_scan_determinismE0ELb0ELb0ES3_N6thrust23THRUST_200600_302600_NS6detail15normal_iteratorINS9_10device_ptrIiEEEESE_i9plus_mod3IiEiEEDaPvRmT3_T4_T5_mT6_P12ihipStream_tbENKUlT_T0_E_clISt17integral_constantIbLb0EESU_EEDaSP_SQ_EUlSP_E0_NS1_11comp_targetILNS1_3genE9ELNS1_11target_archE1100ELNS1_3gpuE3ELNS1_3repE0EEENS1_30default_config_static_selectorELNS0_4arch9wavefront6targetE1EEEvT1_,comdat
	.protected	_ZN7rocprim17ROCPRIM_400000_NS6detail17trampoline_kernelINS0_14default_configENS1_20scan_config_selectorIiEEZZNS1_9scan_implILNS1_25lookback_scan_determinismE0ELb0ELb0ES3_N6thrust23THRUST_200600_302600_NS6detail15normal_iteratorINS9_10device_ptrIiEEEESE_i9plus_mod3IiEiEEDaPvRmT3_T4_T5_mT6_P12ihipStream_tbENKUlT_T0_E_clISt17integral_constantIbLb0EESU_EEDaSP_SQ_EUlSP_E0_NS1_11comp_targetILNS1_3genE9ELNS1_11target_archE1100ELNS1_3gpuE3ELNS1_3repE0EEENS1_30default_config_static_selectorELNS0_4arch9wavefront6targetE1EEEvT1_ ; -- Begin function _ZN7rocprim17ROCPRIM_400000_NS6detail17trampoline_kernelINS0_14default_configENS1_20scan_config_selectorIiEEZZNS1_9scan_implILNS1_25lookback_scan_determinismE0ELb0ELb0ES3_N6thrust23THRUST_200600_302600_NS6detail15normal_iteratorINS9_10device_ptrIiEEEESE_i9plus_mod3IiEiEEDaPvRmT3_T4_T5_mT6_P12ihipStream_tbENKUlT_T0_E_clISt17integral_constantIbLb0EESU_EEDaSP_SQ_EUlSP_E0_NS1_11comp_targetILNS1_3genE9ELNS1_11target_archE1100ELNS1_3gpuE3ELNS1_3repE0EEENS1_30default_config_static_selectorELNS0_4arch9wavefront6targetE1EEEvT1_
	.globl	_ZN7rocprim17ROCPRIM_400000_NS6detail17trampoline_kernelINS0_14default_configENS1_20scan_config_selectorIiEEZZNS1_9scan_implILNS1_25lookback_scan_determinismE0ELb0ELb0ES3_N6thrust23THRUST_200600_302600_NS6detail15normal_iteratorINS9_10device_ptrIiEEEESE_i9plus_mod3IiEiEEDaPvRmT3_T4_T5_mT6_P12ihipStream_tbENKUlT_T0_E_clISt17integral_constantIbLb0EESU_EEDaSP_SQ_EUlSP_E0_NS1_11comp_targetILNS1_3genE9ELNS1_11target_archE1100ELNS1_3gpuE3ELNS1_3repE0EEENS1_30default_config_static_selectorELNS0_4arch9wavefront6targetE1EEEvT1_
	.p2align	8
	.type	_ZN7rocprim17ROCPRIM_400000_NS6detail17trampoline_kernelINS0_14default_configENS1_20scan_config_selectorIiEEZZNS1_9scan_implILNS1_25lookback_scan_determinismE0ELb0ELb0ES3_N6thrust23THRUST_200600_302600_NS6detail15normal_iteratorINS9_10device_ptrIiEEEESE_i9plus_mod3IiEiEEDaPvRmT3_T4_T5_mT6_P12ihipStream_tbENKUlT_T0_E_clISt17integral_constantIbLb0EESU_EEDaSP_SQ_EUlSP_E0_NS1_11comp_targetILNS1_3genE9ELNS1_11target_archE1100ELNS1_3gpuE3ELNS1_3repE0EEENS1_30default_config_static_selectorELNS0_4arch9wavefront6targetE1EEEvT1_,@function
_ZN7rocprim17ROCPRIM_400000_NS6detail17trampoline_kernelINS0_14default_configENS1_20scan_config_selectorIiEEZZNS1_9scan_implILNS1_25lookback_scan_determinismE0ELb0ELb0ES3_N6thrust23THRUST_200600_302600_NS6detail15normal_iteratorINS9_10device_ptrIiEEEESE_i9plus_mod3IiEiEEDaPvRmT3_T4_T5_mT6_P12ihipStream_tbENKUlT_T0_E_clISt17integral_constantIbLb0EESU_EEDaSP_SQ_EUlSP_E0_NS1_11comp_targetILNS1_3genE9ELNS1_11target_archE1100ELNS1_3gpuE3ELNS1_3repE0EEENS1_30default_config_static_selectorELNS0_4arch9wavefront6targetE1EEEvT1_: ; @_ZN7rocprim17ROCPRIM_400000_NS6detail17trampoline_kernelINS0_14default_configENS1_20scan_config_selectorIiEEZZNS1_9scan_implILNS1_25lookback_scan_determinismE0ELb0ELb0ES3_N6thrust23THRUST_200600_302600_NS6detail15normal_iteratorINS9_10device_ptrIiEEEESE_i9plus_mod3IiEiEEDaPvRmT3_T4_T5_mT6_P12ihipStream_tbENKUlT_T0_E_clISt17integral_constantIbLb0EESU_EEDaSP_SQ_EUlSP_E0_NS1_11comp_targetILNS1_3genE9ELNS1_11target_archE1100ELNS1_3gpuE3ELNS1_3repE0EEENS1_30default_config_static_selectorELNS0_4arch9wavefront6targetE1EEEvT1_
; %bb.0:
	.section	.rodata,"a",@progbits
	.p2align	6, 0x0
	.amdhsa_kernel _ZN7rocprim17ROCPRIM_400000_NS6detail17trampoline_kernelINS0_14default_configENS1_20scan_config_selectorIiEEZZNS1_9scan_implILNS1_25lookback_scan_determinismE0ELb0ELb0ES3_N6thrust23THRUST_200600_302600_NS6detail15normal_iteratorINS9_10device_ptrIiEEEESE_i9plus_mod3IiEiEEDaPvRmT3_T4_T5_mT6_P12ihipStream_tbENKUlT_T0_E_clISt17integral_constantIbLb0EESU_EEDaSP_SQ_EUlSP_E0_NS1_11comp_targetILNS1_3genE9ELNS1_11target_archE1100ELNS1_3gpuE3ELNS1_3repE0EEENS1_30default_config_static_selectorELNS0_4arch9wavefront6targetE1EEEvT1_
		.amdhsa_group_segment_fixed_size 0
		.amdhsa_private_segment_fixed_size 0
		.amdhsa_kernarg_size 40
		.amdhsa_user_sgpr_count 6
		.amdhsa_user_sgpr_private_segment_buffer 1
		.amdhsa_user_sgpr_dispatch_ptr 0
		.amdhsa_user_sgpr_queue_ptr 0
		.amdhsa_user_sgpr_kernarg_segment_ptr 1
		.amdhsa_user_sgpr_dispatch_id 0
		.amdhsa_user_sgpr_flat_scratch_init 0
		.amdhsa_user_sgpr_kernarg_preload_length 0
		.amdhsa_user_sgpr_kernarg_preload_offset 0
		.amdhsa_user_sgpr_private_segment_size 0
		.amdhsa_uses_dynamic_stack 0
		.amdhsa_system_sgpr_private_segment_wavefront_offset 0
		.amdhsa_system_sgpr_workgroup_id_x 1
		.amdhsa_system_sgpr_workgroup_id_y 0
		.amdhsa_system_sgpr_workgroup_id_z 0
		.amdhsa_system_sgpr_workgroup_info 0
		.amdhsa_system_vgpr_workitem_id 0
		.amdhsa_next_free_vgpr 1
		.amdhsa_next_free_sgpr 0
		.amdhsa_accum_offset 4
		.amdhsa_reserve_vcc 0
		.amdhsa_reserve_flat_scratch 0
		.amdhsa_float_round_mode_32 0
		.amdhsa_float_round_mode_16_64 0
		.amdhsa_float_denorm_mode_32 3
		.amdhsa_float_denorm_mode_16_64 3
		.amdhsa_dx10_clamp 1
		.amdhsa_ieee_mode 1
		.amdhsa_fp16_overflow 0
		.amdhsa_tg_split 0
		.amdhsa_exception_fp_ieee_invalid_op 0
		.amdhsa_exception_fp_denorm_src 0
		.amdhsa_exception_fp_ieee_div_zero 0
		.amdhsa_exception_fp_ieee_overflow 0
		.amdhsa_exception_fp_ieee_underflow 0
		.amdhsa_exception_fp_ieee_inexact 0
		.amdhsa_exception_int_div_zero 0
	.end_amdhsa_kernel
	.section	.text._ZN7rocprim17ROCPRIM_400000_NS6detail17trampoline_kernelINS0_14default_configENS1_20scan_config_selectorIiEEZZNS1_9scan_implILNS1_25lookback_scan_determinismE0ELb0ELb0ES3_N6thrust23THRUST_200600_302600_NS6detail15normal_iteratorINS9_10device_ptrIiEEEESE_i9plus_mod3IiEiEEDaPvRmT3_T4_T5_mT6_P12ihipStream_tbENKUlT_T0_E_clISt17integral_constantIbLb0EESU_EEDaSP_SQ_EUlSP_E0_NS1_11comp_targetILNS1_3genE9ELNS1_11target_archE1100ELNS1_3gpuE3ELNS1_3repE0EEENS1_30default_config_static_selectorELNS0_4arch9wavefront6targetE1EEEvT1_,"axG",@progbits,_ZN7rocprim17ROCPRIM_400000_NS6detail17trampoline_kernelINS0_14default_configENS1_20scan_config_selectorIiEEZZNS1_9scan_implILNS1_25lookback_scan_determinismE0ELb0ELb0ES3_N6thrust23THRUST_200600_302600_NS6detail15normal_iteratorINS9_10device_ptrIiEEEESE_i9plus_mod3IiEiEEDaPvRmT3_T4_T5_mT6_P12ihipStream_tbENKUlT_T0_E_clISt17integral_constantIbLb0EESU_EEDaSP_SQ_EUlSP_E0_NS1_11comp_targetILNS1_3genE9ELNS1_11target_archE1100ELNS1_3gpuE3ELNS1_3repE0EEENS1_30default_config_static_selectorELNS0_4arch9wavefront6targetE1EEEvT1_,comdat
.Lfunc_end6622:
	.size	_ZN7rocprim17ROCPRIM_400000_NS6detail17trampoline_kernelINS0_14default_configENS1_20scan_config_selectorIiEEZZNS1_9scan_implILNS1_25lookback_scan_determinismE0ELb0ELb0ES3_N6thrust23THRUST_200600_302600_NS6detail15normal_iteratorINS9_10device_ptrIiEEEESE_i9plus_mod3IiEiEEDaPvRmT3_T4_T5_mT6_P12ihipStream_tbENKUlT_T0_E_clISt17integral_constantIbLb0EESU_EEDaSP_SQ_EUlSP_E0_NS1_11comp_targetILNS1_3genE9ELNS1_11target_archE1100ELNS1_3gpuE3ELNS1_3repE0EEENS1_30default_config_static_selectorELNS0_4arch9wavefront6targetE1EEEvT1_, .Lfunc_end6622-_ZN7rocprim17ROCPRIM_400000_NS6detail17trampoline_kernelINS0_14default_configENS1_20scan_config_selectorIiEEZZNS1_9scan_implILNS1_25lookback_scan_determinismE0ELb0ELb0ES3_N6thrust23THRUST_200600_302600_NS6detail15normal_iteratorINS9_10device_ptrIiEEEESE_i9plus_mod3IiEiEEDaPvRmT3_T4_T5_mT6_P12ihipStream_tbENKUlT_T0_E_clISt17integral_constantIbLb0EESU_EEDaSP_SQ_EUlSP_E0_NS1_11comp_targetILNS1_3genE9ELNS1_11target_archE1100ELNS1_3gpuE3ELNS1_3repE0EEENS1_30default_config_static_selectorELNS0_4arch9wavefront6targetE1EEEvT1_
                                        ; -- End function
	.section	.AMDGPU.csdata,"",@progbits
; Kernel info:
; codeLenInByte = 0
; NumSgprs: 4
; NumVgprs: 0
; NumAgprs: 0
; TotalNumVgprs: 0
; ScratchSize: 0
; MemoryBound: 0
; FloatMode: 240
; IeeeMode: 1
; LDSByteSize: 0 bytes/workgroup (compile time only)
; SGPRBlocks: 0
; VGPRBlocks: 0
; NumSGPRsForWavesPerEU: 4
; NumVGPRsForWavesPerEU: 1
; AccumOffset: 4
; Occupancy: 8
; WaveLimiterHint : 0
; COMPUTE_PGM_RSRC2:SCRATCH_EN: 0
; COMPUTE_PGM_RSRC2:USER_SGPR: 6
; COMPUTE_PGM_RSRC2:TRAP_HANDLER: 0
; COMPUTE_PGM_RSRC2:TGID_X_EN: 1
; COMPUTE_PGM_RSRC2:TGID_Y_EN: 0
; COMPUTE_PGM_RSRC2:TGID_Z_EN: 0
; COMPUTE_PGM_RSRC2:TIDIG_COMP_CNT: 0
; COMPUTE_PGM_RSRC3_GFX90A:ACCUM_OFFSET: 0
; COMPUTE_PGM_RSRC3_GFX90A:TG_SPLIT: 0
	.section	.text._ZN7rocprim17ROCPRIM_400000_NS6detail17trampoline_kernelINS0_14default_configENS1_20scan_config_selectorIiEEZZNS1_9scan_implILNS1_25lookback_scan_determinismE0ELb0ELb0ES3_N6thrust23THRUST_200600_302600_NS6detail15normal_iteratorINS9_10device_ptrIiEEEESE_i9plus_mod3IiEiEEDaPvRmT3_T4_T5_mT6_P12ihipStream_tbENKUlT_T0_E_clISt17integral_constantIbLb0EESU_EEDaSP_SQ_EUlSP_E0_NS1_11comp_targetILNS1_3genE8ELNS1_11target_archE1030ELNS1_3gpuE2ELNS1_3repE0EEENS1_30default_config_static_selectorELNS0_4arch9wavefront6targetE1EEEvT1_,"axG",@progbits,_ZN7rocprim17ROCPRIM_400000_NS6detail17trampoline_kernelINS0_14default_configENS1_20scan_config_selectorIiEEZZNS1_9scan_implILNS1_25lookback_scan_determinismE0ELb0ELb0ES3_N6thrust23THRUST_200600_302600_NS6detail15normal_iteratorINS9_10device_ptrIiEEEESE_i9plus_mod3IiEiEEDaPvRmT3_T4_T5_mT6_P12ihipStream_tbENKUlT_T0_E_clISt17integral_constantIbLb0EESU_EEDaSP_SQ_EUlSP_E0_NS1_11comp_targetILNS1_3genE8ELNS1_11target_archE1030ELNS1_3gpuE2ELNS1_3repE0EEENS1_30default_config_static_selectorELNS0_4arch9wavefront6targetE1EEEvT1_,comdat
	.protected	_ZN7rocprim17ROCPRIM_400000_NS6detail17trampoline_kernelINS0_14default_configENS1_20scan_config_selectorIiEEZZNS1_9scan_implILNS1_25lookback_scan_determinismE0ELb0ELb0ES3_N6thrust23THRUST_200600_302600_NS6detail15normal_iteratorINS9_10device_ptrIiEEEESE_i9plus_mod3IiEiEEDaPvRmT3_T4_T5_mT6_P12ihipStream_tbENKUlT_T0_E_clISt17integral_constantIbLb0EESU_EEDaSP_SQ_EUlSP_E0_NS1_11comp_targetILNS1_3genE8ELNS1_11target_archE1030ELNS1_3gpuE2ELNS1_3repE0EEENS1_30default_config_static_selectorELNS0_4arch9wavefront6targetE1EEEvT1_ ; -- Begin function _ZN7rocprim17ROCPRIM_400000_NS6detail17trampoline_kernelINS0_14default_configENS1_20scan_config_selectorIiEEZZNS1_9scan_implILNS1_25lookback_scan_determinismE0ELb0ELb0ES3_N6thrust23THRUST_200600_302600_NS6detail15normal_iteratorINS9_10device_ptrIiEEEESE_i9plus_mod3IiEiEEDaPvRmT3_T4_T5_mT6_P12ihipStream_tbENKUlT_T0_E_clISt17integral_constantIbLb0EESU_EEDaSP_SQ_EUlSP_E0_NS1_11comp_targetILNS1_3genE8ELNS1_11target_archE1030ELNS1_3gpuE2ELNS1_3repE0EEENS1_30default_config_static_selectorELNS0_4arch9wavefront6targetE1EEEvT1_
	.globl	_ZN7rocprim17ROCPRIM_400000_NS6detail17trampoline_kernelINS0_14default_configENS1_20scan_config_selectorIiEEZZNS1_9scan_implILNS1_25lookback_scan_determinismE0ELb0ELb0ES3_N6thrust23THRUST_200600_302600_NS6detail15normal_iteratorINS9_10device_ptrIiEEEESE_i9plus_mod3IiEiEEDaPvRmT3_T4_T5_mT6_P12ihipStream_tbENKUlT_T0_E_clISt17integral_constantIbLb0EESU_EEDaSP_SQ_EUlSP_E0_NS1_11comp_targetILNS1_3genE8ELNS1_11target_archE1030ELNS1_3gpuE2ELNS1_3repE0EEENS1_30default_config_static_selectorELNS0_4arch9wavefront6targetE1EEEvT1_
	.p2align	8
	.type	_ZN7rocprim17ROCPRIM_400000_NS6detail17trampoline_kernelINS0_14default_configENS1_20scan_config_selectorIiEEZZNS1_9scan_implILNS1_25lookback_scan_determinismE0ELb0ELb0ES3_N6thrust23THRUST_200600_302600_NS6detail15normal_iteratorINS9_10device_ptrIiEEEESE_i9plus_mod3IiEiEEDaPvRmT3_T4_T5_mT6_P12ihipStream_tbENKUlT_T0_E_clISt17integral_constantIbLb0EESU_EEDaSP_SQ_EUlSP_E0_NS1_11comp_targetILNS1_3genE8ELNS1_11target_archE1030ELNS1_3gpuE2ELNS1_3repE0EEENS1_30default_config_static_selectorELNS0_4arch9wavefront6targetE1EEEvT1_,@function
_ZN7rocprim17ROCPRIM_400000_NS6detail17trampoline_kernelINS0_14default_configENS1_20scan_config_selectorIiEEZZNS1_9scan_implILNS1_25lookback_scan_determinismE0ELb0ELb0ES3_N6thrust23THRUST_200600_302600_NS6detail15normal_iteratorINS9_10device_ptrIiEEEESE_i9plus_mod3IiEiEEDaPvRmT3_T4_T5_mT6_P12ihipStream_tbENKUlT_T0_E_clISt17integral_constantIbLb0EESU_EEDaSP_SQ_EUlSP_E0_NS1_11comp_targetILNS1_3genE8ELNS1_11target_archE1030ELNS1_3gpuE2ELNS1_3repE0EEENS1_30default_config_static_selectorELNS0_4arch9wavefront6targetE1EEEvT1_: ; @_ZN7rocprim17ROCPRIM_400000_NS6detail17trampoline_kernelINS0_14default_configENS1_20scan_config_selectorIiEEZZNS1_9scan_implILNS1_25lookback_scan_determinismE0ELb0ELb0ES3_N6thrust23THRUST_200600_302600_NS6detail15normal_iteratorINS9_10device_ptrIiEEEESE_i9plus_mod3IiEiEEDaPvRmT3_T4_T5_mT6_P12ihipStream_tbENKUlT_T0_E_clISt17integral_constantIbLb0EESU_EEDaSP_SQ_EUlSP_E0_NS1_11comp_targetILNS1_3genE8ELNS1_11target_archE1030ELNS1_3gpuE2ELNS1_3repE0EEENS1_30default_config_static_selectorELNS0_4arch9wavefront6targetE1EEEvT1_
; %bb.0:
	.section	.rodata,"a",@progbits
	.p2align	6, 0x0
	.amdhsa_kernel _ZN7rocprim17ROCPRIM_400000_NS6detail17trampoline_kernelINS0_14default_configENS1_20scan_config_selectorIiEEZZNS1_9scan_implILNS1_25lookback_scan_determinismE0ELb0ELb0ES3_N6thrust23THRUST_200600_302600_NS6detail15normal_iteratorINS9_10device_ptrIiEEEESE_i9plus_mod3IiEiEEDaPvRmT3_T4_T5_mT6_P12ihipStream_tbENKUlT_T0_E_clISt17integral_constantIbLb0EESU_EEDaSP_SQ_EUlSP_E0_NS1_11comp_targetILNS1_3genE8ELNS1_11target_archE1030ELNS1_3gpuE2ELNS1_3repE0EEENS1_30default_config_static_selectorELNS0_4arch9wavefront6targetE1EEEvT1_
		.amdhsa_group_segment_fixed_size 0
		.amdhsa_private_segment_fixed_size 0
		.amdhsa_kernarg_size 40
		.amdhsa_user_sgpr_count 6
		.amdhsa_user_sgpr_private_segment_buffer 1
		.amdhsa_user_sgpr_dispatch_ptr 0
		.amdhsa_user_sgpr_queue_ptr 0
		.amdhsa_user_sgpr_kernarg_segment_ptr 1
		.amdhsa_user_sgpr_dispatch_id 0
		.amdhsa_user_sgpr_flat_scratch_init 0
		.amdhsa_user_sgpr_kernarg_preload_length 0
		.amdhsa_user_sgpr_kernarg_preload_offset 0
		.amdhsa_user_sgpr_private_segment_size 0
		.amdhsa_uses_dynamic_stack 0
		.amdhsa_system_sgpr_private_segment_wavefront_offset 0
		.amdhsa_system_sgpr_workgroup_id_x 1
		.amdhsa_system_sgpr_workgroup_id_y 0
		.amdhsa_system_sgpr_workgroup_id_z 0
		.amdhsa_system_sgpr_workgroup_info 0
		.amdhsa_system_vgpr_workitem_id 0
		.amdhsa_next_free_vgpr 1
		.amdhsa_next_free_sgpr 0
		.amdhsa_accum_offset 4
		.amdhsa_reserve_vcc 0
		.amdhsa_reserve_flat_scratch 0
		.amdhsa_float_round_mode_32 0
		.amdhsa_float_round_mode_16_64 0
		.amdhsa_float_denorm_mode_32 3
		.amdhsa_float_denorm_mode_16_64 3
		.amdhsa_dx10_clamp 1
		.amdhsa_ieee_mode 1
		.amdhsa_fp16_overflow 0
		.amdhsa_tg_split 0
		.amdhsa_exception_fp_ieee_invalid_op 0
		.amdhsa_exception_fp_denorm_src 0
		.amdhsa_exception_fp_ieee_div_zero 0
		.amdhsa_exception_fp_ieee_overflow 0
		.amdhsa_exception_fp_ieee_underflow 0
		.amdhsa_exception_fp_ieee_inexact 0
		.amdhsa_exception_int_div_zero 0
	.end_amdhsa_kernel
	.section	.text._ZN7rocprim17ROCPRIM_400000_NS6detail17trampoline_kernelINS0_14default_configENS1_20scan_config_selectorIiEEZZNS1_9scan_implILNS1_25lookback_scan_determinismE0ELb0ELb0ES3_N6thrust23THRUST_200600_302600_NS6detail15normal_iteratorINS9_10device_ptrIiEEEESE_i9plus_mod3IiEiEEDaPvRmT3_T4_T5_mT6_P12ihipStream_tbENKUlT_T0_E_clISt17integral_constantIbLb0EESU_EEDaSP_SQ_EUlSP_E0_NS1_11comp_targetILNS1_3genE8ELNS1_11target_archE1030ELNS1_3gpuE2ELNS1_3repE0EEENS1_30default_config_static_selectorELNS0_4arch9wavefront6targetE1EEEvT1_,"axG",@progbits,_ZN7rocprim17ROCPRIM_400000_NS6detail17trampoline_kernelINS0_14default_configENS1_20scan_config_selectorIiEEZZNS1_9scan_implILNS1_25lookback_scan_determinismE0ELb0ELb0ES3_N6thrust23THRUST_200600_302600_NS6detail15normal_iteratorINS9_10device_ptrIiEEEESE_i9plus_mod3IiEiEEDaPvRmT3_T4_T5_mT6_P12ihipStream_tbENKUlT_T0_E_clISt17integral_constantIbLb0EESU_EEDaSP_SQ_EUlSP_E0_NS1_11comp_targetILNS1_3genE8ELNS1_11target_archE1030ELNS1_3gpuE2ELNS1_3repE0EEENS1_30default_config_static_selectorELNS0_4arch9wavefront6targetE1EEEvT1_,comdat
.Lfunc_end6623:
	.size	_ZN7rocprim17ROCPRIM_400000_NS6detail17trampoline_kernelINS0_14default_configENS1_20scan_config_selectorIiEEZZNS1_9scan_implILNS1_25lookback_scan_determinismE0ELb0ELb0ES3_N6thrust23THRUST_200600_302600_NS6detail15normal_iteratorINS9_10device_ptrIiEEEESE_i9plus_mod3IiEiEEDaPvRmT3_T4_T5_mT6_P12ihipStream_tbENKUlT_T0_E_clISt17integral_constantIbLb0EESU_EEDaSP_SQ_EUlSP_E0_NS1_11comp_targetILNS1_3genE8ELNS1_11target_archE1030ELNS1_3gpuE2ELNS1_3repE0EEENS1_30default_config_static_selectorELNS0_4arch9wavefront6targetE1EEEvT1_, .Lfunc_end6623-_ZN7rocprim17ROCPRIM_400000_NS6detail17trampoline_kernelINS0_14default_configENS1_20scan_config_selectorIiEEZZNS1_9scan_implILNS1_25lookback_scan_determinismE0ELb0ELb0ES3_N6thrust23THRUST_200600_302600_NS6detail15normal_iteratorINS9_10device_ptrIiEEEESE_i9plus_mod3IiEiEEDaPvRmT3_T4_T5_mT6_P12ihipStream_tbENKUlT_T0_E_clISt17integral_constantIbLb0EESU_EEDaSP_SQ_EUlSP_E0_NS1_11comp_targetILNS1_3genE8ELNS1_11target_archE1030ELNS1_3gpuE2ELNS1_3repE0EEENS1_30default_config_static_selectorELNS0_4arch9wavefront6targetE1EEEvT1_
                                        ; -- End function
	.section	.AMDGPU.csdata,"",@progbits
; Kernel info:
; codeLenInByte = 0
; NumSgprs: 4
; NumVgprs: 0
; NumAgprs: 0
; TotalNumVgprs: 0
; ScratchSize: 0
; MemoryBound: 0
; FloatMode: 240
; IeeeMode: 1
; LDSByteSize: 0 bytes/workgroup (compile time only)
; SGPRBlocks: 0
; VGPRBlocks: 0
; NumSGPRsForWavesPerEU: 4
; NumVGPRsForWavesPerEU: 1
; AccumOffset: 4
; Occupancy: 8
; WaveLimiterHint : 0
; COMPUTE_PGM_RSRC2:SCRATCH_EN: 0
; COMPUTE_PGM_RSRC2:USER_SGPR: 6
; COMPUTE_PGM_RSRC2:TRAP_HANDLER: 0
; COMPUTE_PGM_RSRC2:TGID_X_EN: 1
; COMPUTE_PGM_RSRC2:TGID_Y_EN: 0
; COMPUTE_PGM_RSRC2:TGID_Z_EN: 0
; COMPUTE_PGM_RSRC2:TIDIG_COMP_CNT: 0
; COMPUTE_PGM_RSRC3_GFX90A:ACCUM_OFFSET: 0
; COMPUTE_PGM_RSRC3_GFX90A:TG_SPLIT: 0
	.section	.text._ZN7rocprim17ROCPRIM_400000_NS6detail17trampoline_kernelINS0_14default_configENS1_20scan_config_selectorIiEEZZNS1_9scan_implILNS1_25lookback_scan_determinismE0ELb0ELb0ES3_N6thrust23THRUST_200600_302600_NS6detail15normal_iteratorINS9_10device_ptrIiEEEESE_i9plus_mod3IiEiEEDaPvRmT3_T4_T5_mT6_P12ihipStream_tbENKUlT_T0_E_clISt17integral_constantIbLb1EESU_EEDaSP_SQ_EUlSP_E_NS1_11comp_targetILNS1_3genE0ELNS1_11target_archE4294967295ELNS1_3gpuE0ELNS1_3repE0EEENS1_30default_config_static_selectorELNS0_4arch9wavefront6targetE1EEEvT1_,"axG",@progbits,_ZN7rocprim17ROCPRIM_400000_NS6detail17trampoline_kernelINS0_14default_configENS1_20scan_config_selectorIiEEZZNS1_9scan_implILNS1_25lookback_scan_determinismE0ELb0ELb0ES3_N6thrust23THRUST_200600_302600_NS6detail15normal_iteratorINS9_10device_ptrIiEEEESE_i9plus_mod3IiEiEEDaPvRmT3_T4_T5_mT6_P12ihipStream_tbENKUlT_T0_E_clISt17integral_constantIbLb1EESU_EEDaSP_SQ_EUlSP_E_NS1_11comp_targetILNS1_3genE0ELNS1_11target_archE4294967295ELNS1_3gpuE0ELNS1_3repE0EEENS1_30default_config_static_selectorELNS0_4arch9wavefront6targetE1EEEvT1_,comdat
	.protected	_ZN7rocprim17ROCPRIM_400000_NS6detail17trampoline_kernelINS0_14default_configENS1_20scan_config_selectorIiEEZZNS1_9scan_implILNS1_25lookback_scan_determinismE0ELb0ELb0ES3_N6thrust23THRUST_200600_302600_NS6detail15normal_iteratorINS9_10device_ptrIiEEEESE_i9plus_mod3IiEiEEDaPvRmT3_T4_T5_mT6_P12ihipStream_tbENKUlT_T0_E_clISt17integral_constantIbLb1EESU_EEDaSP_SQ_EUlSP_E_NS1_11comp_targetILNS1_3genE0ELNS1_11target_archE4294967295ELNS1_3gpuE0ELNS1_3repE0EEENS1_30default_config_static_selectorELNS0_4arch9wavefront6targetE1EEEvT1_ ; -- Begin function _ZN7rocprim17ROCPRIM_400000_NS6detail17trampoline_kernelINS0_14default_configENS1_20scan_config_selectorIiEEZZNS1_9scan_implILNS1_25lookback_scan_determinismE0ELb0ELb0ES3_N6thrust23THRUST_200600_302600_NS6detail15normal_iteratorINS9_10device_ptrIiEEEESE_i9plus_mod3IiEiEEDaPvRmT3_T4_T5_mT6_P12ihipStream_tbENKUlT_T0_E_clISt17integral_constantIbLb1EESU_EEDaSP_SQ_EUlSP_E_NS1_11comp_targetILNS1_3genE0ELNS1_11target_archE4294967295ELNS1_3gpuE0ELNS1_3repE0EEENS1_30default_config_static_selectorELNS0_4arch9wavefront6targetE1EEEvT1_
	.globl	_ZN7rocprim17ROCPRIM_400000_NS6detail17trampoline_kernelINS0_14default_configENS1_20scan_config_selectorIiEEZZNS1_9scan_implILNS1_25lookback_scan_determinismE0ELb0ELb0ES3_N6thrust23THRUST_200600_302600_NS6detail15normal_iteratorINS9_10device_ptrIiEEEESE_i9plus_mod3IiEiEEDaPvRmT3_T4_T5_mT6_P12ihipStream_tbENKUlT_T0_E_clISt17integral_constantIbLb1EESU_EEDaSP_SQ_EUlSP_E_NS1_11comp_targetILNS1_3genE0ELNS1_11target_archE4294967295ELNS1_3gpuE0ELNS1_3repE0EEENS1_30default_config_static_selectorELNS0_4arch9wavefront6targetE1EEEvT1_
	.p2align	8
	.type	_ZN7rocprim17ROCPRIM_400000_NS6detail17trampoline_kernelINS0_14default_configENS1_20scan_config_selectorIiEEZZNS1_9scan_implILNS1_25lookback_scan_determinismE0ELb0ELb0ES3_N6thrust23THRUST_200600_302600_NS6detail15normal_iteratorINS9_10device_ptrIiEEEESE_i9plus_mod3IiEiEEDaPvRmT3_T4_T5_mT6_P12ihipStream_tbENKUlT_T0_E_clISt17integral_constantIbLb1EESU_EEDaSP_SQ_EUlSP_E_NS1_11comp_targetILNS1_3genE0ELNS1_11target_archE4294967295ELNS1_3gpuE0ELNS1_3repE0EEENS1_30default_config_static_selectorELNS0_4arch9wavefront6targetE1EEEvT1_,@function
_ZN7rocprim17ROCPRIM_400000_NS6detail17trampoline_kernelINS0_14default_configENS1_20scan_config_selectorIiEEZZNS1_9scan_implILNS1_25lookback_scan_determinismE0ELb0ELb0ES3_N6thrust23THRUST_200600_302600_NS6detail15normal_iteratorINS9_10device_ptrIiEEEESE_i9plus_mod3IiEiEEDaPvRmT3_T4_T5_mT6_P12ihipStream_tbENKUlT_T0_E_clISt17integral_constantIbLb1EESU_EEDaSP_SQ_EUlSP_E_NS1_11comp_targetILNS1_3genE0ELNS1_11target_archE4294967295ELNS1_3gpuE0ELNS1_3repE0EEENS1_30default_config_static_selectorELNS0_4arch9wavefront6targetE1EEEvT1_: ; @_ZN7rocprim17ROCPRIM_400000_NS6detail17trampoline_kernelINS0_14default_configENS1_20scan_config_selectorIiEEZZNS1_9scan_implILNS1_25lookback_scan_determinismE0ELb0ELb0ES3_N6thrust23THRUST_200600_302600_NS6detail15normal_iteratorINS9_10device_ptrIiEEEESE_i9plus_mod3IiEiEEDaPvRmT3_T4_T5_mT6_P12ihipStream_tbENKUlT_T0_E_clISt17integral_constantIbLb1EESU_EEDaSP_SQ_EUlSP_E_NS1_11comp_targetILNS1_3genE0ELNS1_11target_archE4294967295ELNS1_3gpuE0ELNS1_3repE0EEENS1_30default_config_static_selectorELNS0_4arch9wavefront6targetE1EEEvT1_
; %bb.0:
	.section	.rodata,"a",@progbits
	.p2align	6, 0x0
	.amdhsa_kernel _ZN7rocprim17ROCPRIM_400000_NS6detail17trampoline_kernelINS0_14default_configENS1_20scan_config_selectorIiEEZZNS1_9scan_implILNS1_25lookback_scan_determinismE0ELb0ELb0ES3_N6thrust23THRUST_200600_302600_NS6detail15normal_iteratorINS9_10device_ptrIiEEEESE_i9plus_mod3IiEiEEDaPvRmT3_T4_T5_mT6_P12ihipStream_tbENKUlT_T0_E_clISt17integral_constantIbLb1EESU_EEDaSP_SQ_EUlSP_E_NS1_11comp_targetILNS1_3genE0ELNS1_11target_archE4294967295ELNS1_3gpuE0ELNS1_3repE0EEENS1_30default_config_static_selectorELNS0_4arch9wavefront6targetE1EEEvT1_
		.amdhsa_group_segment_fixed_size 0
		.amdhsa_private_segment_fixed_size 0
		.amdhsa_kernarg_size 104
		.amdhsa_user_sgpr_count 6
		.amdhsa_user_sgpr_private_segment_buffer 1
		.amdhsa_user_sgpr_dispatch_ptr 0
		.amdhsa_user_sgpr_queue_ptr 0
		.amdhsa_user_sgpr_kernarg_segment_ptr 1
		.amdhsa_user_sgpr_dispatch_id 0
		.amdhsa_user_sgpr_flat_scratch_init 0
		.amdhsa_user_sgpr_kernarg_preload_length 0
		.amdhsa_user_sgpr_kernarg_preload_offset 0
		.amdhsa_user_sgpr_private_segment_size 0
		.amdhsa_uses_dynamic_stack 0
		.amdhsa_system_sgpr_private_segment_wavefront_offset 0
		.amdhsa_system_sgpr_workgroup_id_x 1
		.amdhsa_system_sgpr_workgroup_id_y 0
		.amdhsa_system_sgpr_workgroup_id_z 0
		.amdhsa_system_sgpr_workgroup_info 0
		.amdhsa_system_vgpr_workitem_id 0
		.amdhsa_next_free_vgpr 1
		.amdhsa_next_free_sgpr 0
		.amdhsa_accum_offset 4
		.amdhsa_reserve_vcc 0
		.amdhsa_reserve_flat_scratch 0
		.amdhsa_float_round_mode_32 0
		.amdhsa_float_round_mode_16_64 0
		.amdhsa_float_denorm_mode_32 3
		.amdhsa_float_denorm_mode_16_64 3
		.amdhsa_dx10_clamp 1
		.amdhsa_ieee_mode 1
		.amdhsa_fp16_overflow 0
		.amdhsa_tg_split 0
		.amdhsa_exception_fp_ieee_invalid_op 0
		.amdhsa_exception_fp_denorm_src 0
		.amdhsa_exception_fp_ieee_div_zero 0
		.amdhsa_exception_fp_ieee_overflow 0
		.amdhsa_exception_fp_ieee_underflow 0
		.amdhsa_exception_fp_ieee_inexact 0
		.amdhsa_exception_int_div_zero 0
	.end_amdhsa_kernel
	.section	.text._ZN7rocprim17ROCPRIM_400000_NS6detail17trampoline_kernelINS0_14default_configENS1_20scan_config_selectorIiEEZZNS1_9scan_implILNS1_25lookback_scan_determinismE0ELb0ELb0ES3_N6thrust23THRUST_200600_302600_NS6detail15normal_iteratorINS9_10device_ptrIiEEEESE_i9plus_mod3IiEiEEDaPvRmT3_T4_T5_mT6_P12ihipStream_tbENKUlT_T0_E_clISt17integral_constantIbLb1EESU_EEDaSP_SQ_EUlSP_E_NS1_11comp_targetILNS1_3genE0ELNS1_11target_archE4294967295ELNS1_3gpuE0ELNS1_3repE0EEENS1_30default_config_static_selectorELNS0_4arch9wavefront6targetE1EEEvT1_,"axG",@progbits,_ZN7rocprim17ROCPRIM_400000_NS6detail17trampoline_kernelINS0_14default_configENS1_20scan_config_selectorIiEEZZNS1_9scan_implILNS1_25lookback_scan_determinismE0ELb0ELb0ES3_N6thrust23THRUST_200600_302600_NS6detail15normal_iteratorINS9_10device_ptrIiEEEESE_i9plus_mod3IiEiEEDaPvRmT3_T4_T5_mT6_P12ihipStream_tbENKUlT_T0_E_clISt17integral_constantIbLb1EESU_EEDaSP_SQ_EUlSP_E_NS1_11comp_targetILNS1_3genE0ELNS1_11target_archE4294967295ELNS1_3gpuE0ELNS1_3repE0EEENS1_30default_config_static_selectorELNS0_4arch9wavefront6targetE1EEEvT1_,comdat
.Lfunc_end6624:
	.size	_ZN7rocprim17ROCPRIM_400000_NS6detail17trampoline_kernelINS0_14default_configENS1_20scan_config_selectorIiEEZZNS1_9scan_implILNS1_25lookback_scan_determinismE0ELb0ELb0ES3_N6thrust23THRUST_200600_302600_NS6detail15normal_iteratorINS9_10device_ptrIiEEEESE_i9plus_mod3IiEiEEDaPvRmT3_T4_T5_mT6_P12ihipStream_tbENKUlT_T0_E_clISt17integral_constantIbLb1EESU_EEDaSP_SQ_EUlSP_E_NS1_11comp_targetILNS1_3genE0ELNS1_11target_archE4294967295ELNS1_3gpuE0ELNS1_3repE0EEENS1_30default_config_static_selectorELNS0_4arch9wavefront6targetE1EEEvT1_, .Lfunc_end6624-_ZN7rocprim17ROCPRIM_400000_NS6detail17trampoline_kernelINS0_14default_configENS1_20scan_config_selectorIiEEZZNS1_9scan_implILNS1_25lookback_scan_determinismE0ELb0ELb0ES3_N6thrust23THRUST_200600_302600_NS6detail15normal_iteratorINS9_10device_ptrIiEEEESE_i9plus_mod3IiEiEEDaPvRmT3_T4_T5_mT6_P12ihipStream_tbENKUlT_T0_E_clISt17integral_constantIbLb1EESU_EEDaSP_SQ_EUlSP_E_NS1_11comp_targetILNS1_3genE0ELNS1_11target_archE4294967295ELNS1_3gpuE0ELNS1_3repE0EEENS1_30default_config_static_selectorELNS0_4arch9wavefront6targetE1EEEvT1_
                                        ; -- End function
	.section	.AMDGPU.csdata,"",@progbits
; Kernel info:
; codeLenInByte = 0
; NumSgprs: 4
; NumVgprs: 0
; NumAgprs: 0
; TotalNumVgprs: 0
; ScratchSize: 0
; MemoryBound: 0
; FloatMode: 240
; IeeeMode: 1
; LDSByteSize: 0 bytes/workgroup (compile time only)
; SGPRBlocks: 0
; VGPRBlocks: 0
; NumSGPRsForWavesPerEU: 4
; NumVGPRsForWavesPerEU: 1
; AccumOffset: 4
; Occupancy: 8
; WaveLimiterHint : 0
; COMPUTE_PGM_RSRC2:SCRATCH_EN: 0
; COMPUTE_PGM_RSRC2:USER_SGPR: 6
; COMPUTE_PGM_RSRC2:TRAP_HANDLER: 0
; COMPUTE_PGM_RSRC2:TGID_X_EN: 1
; COMPUTE_PGM_RSRC2:TGID_Y_EN: 0
; COMPUTE_PGM_RSRC2:TGID_Z_EN: 0
; COMPUTE_PGM_RSRC2:TIDIG_COMP_CNT: 0
; COMPUTE_PGM_RSRC3_GFX90A:ACCUM_OFFSET: 0
; COMPUTE_PGM_RSRC3_GFX90A:TG_SPLIT: 0
	.section	.text._ZN7rocprim17ROCPRIM_400000_NS6detail17trampoline_kernelINS0_14default_configENS1_20scan_config_selectorIiEEZZNS1_9scan_implILNS1_25lookback_scan_determinismE0ELb0ELb0ES3_N6thrust23THRUST_200600_302600_NS6detail15normal_iteratorINS9_10device_ptrIiEEEESE_i9plus_mod3IiEiEEDaPvRmT3_T4_T5_mT6_P12ihipStream_tbENKUlT_T0_E_clISt17integral_constantIbLb1EESU_EEDaSP_SQ_EUlSP_E_NS1_11comp_targetILNS1_3genE5ELNS1_11target_archE942ELNS1_3gpuE9ELNS1_3repE0EEENS1_30default_config_static_selectorELNS0_4arch9wavefront6targetE1EEEvT1_,"axG",@progbits,_ZN7rocprim17ROCPRIM_400000_NS6detail17trampoline_kernelINS0_14default_configENS1_20scan_config_selectorIiEEZZNS1_9scan_implILNS1_25lookback_scan_determinismE0ELb0ELb0ES3_N6thrust23THRUST_200600_302600_NS6detail15normal_iteratorINS9_10device_ptrIiEEEESE_i9plus_mod3IiEiEEDaPvRmT3_T4_T5_mT6_P12ihipStream_tbENKUlT_T0_E_clISt17integral_constantIbLb1EESU_EEDaSP_SQ_EUlSP_E_NS1_11comp_targetILNS1_3genE5ELNS1_11target_archE942ELNS1_3gpuE9ELNS1_3repE0EEENS1_30default_config_static_selectorELNS0_4arch9wavefront6targetE1EEEvT1_,comdat
	.protected	_ZN7rocprim17ROCPRIM_400000_NS6detail17trampoline_kernelINS0_14default_configENS1_20scan_config_selectorIiEEZZNS1_9scan_implILNS1_25lookback_scan_determinismE0ELb0ELb0ES3_N6thrust23THRUST_200600_302600_NS6detail15normal_iteratorINS9_10device_ptrIiEEEESE_i9plus_mod3IiEiEEDaPvRmT3_T4_T5_mT6_P12ihipStream_tbENKUlT_T0_E_clISt17integral_constantIbLb1EESU_EEDaSP_SQ_EUlSP_E_NS1_11comp_targetILNS1_3genE5ELNS1_11target_archE942ELNS1_3gpuE9ELNS1_3repE0EEENS1_30default_config_static_selectorELNS0_4arch9wavefront6targetE1EEEvT1_ ; -- Begin function _ZN7rocprim17ROCPRIM_400000_NS6detail17trampoline_kernelINS0_14default_configENS1_20scan_config_selectorIiEEZZNS1_9scan_implILNS1_25lookback_scan_determinismE0ELb0ELb0ES3_N6thrust23THRUST_200600_302600_NS6detail15normal_iteratorINS9_10device_ptrIiEEEESE_i9plus_mod3IiEiEEDaPvRmT3_T4_T5_mT6_P12ihipStream_tbENKUlT_T0_E_clISt17integral_constantIbLb1EESU_EEDaSP_SQ_EUlSP_E_NS1_11comp_targetILNS1_3genE5ELNS1_11target_archE942ELNS1_3gpuE9ELNS1_3repE0EEENS1_30default_config_static_selectorELNS0_4arch9wavefront6targetE1EEEvT1_
	.globl	_ZN7rocprim17ROCPRIM_400000_NS6detail17trampoline_kernelINS0_14default_configENS1_20scan_config_selectorIiEEZZNS1_9scan_implILNS1_25lookback_scan_determinismE0ELb0ELb0ES3_N6thrust23THRUST_200600_302600_NS6detail15normal_iteratorINS9_10device_ptrIiEEEESE_i9plus_mod3IiEiEEDaPvRmT3_T4_T5_mT6_P12ihipStream_tbENKUlT_T0_E_clISt17integral_constantIbLb1EESU_EEDaSP_SQ_EUlSP_E_NS1_11comp_targetILNS1_3genE5ELNS1_11target_archE942ELNS1_3gpuE9ELNS1_3repE0EEENS1_30default_config_static_selectorELNS0_4arch9wavefront6targetE1EEEvT1_
	.p2align	8
	.type	_ZN7rocprim17ROCPRIM_400000_NS6detail17trampoline_kernelINS0_14default_configENS1_20scan_config_selectorIiEEZZNS1_9scan_implILNS1_25lookback_scan_determinismE0ELb0ELb0ES3_N6thrust23THRUST_200600_302600_NS6detail15normal_iteratorINS9_10device_ptrIiEEEESE_i9plus_mod3IiEiEEDaPvRmT3_T4_T5_mT6_P12ihipStream_tbENKUlT_T0_E_clISt17integral_constantIbLb1EESU_EEDaSP_SQ_EUlSP_E_NS1_11comp_targetILNS1_3genE5ELNS1_11target_archE942ELNS1_3gpuE9ELNS1_3repE0EEENS1_30default_config_static_selectorELNS0_4arch9wavefront6targetE1EEEvT1_,@function
_ZN7rocprim17ROCPRIM_400000_NS6detail17trampoline_kernelINS0_14default_configENS1_20scan_config_selectorIiEEZZNS1_9scan_implILNS1_25lookback_scan_determinismE0ELb0ELb0ES3_N6thrust23THRUST_200600_302600_NS6detail15normal_iteratorINS9_10device_ptrIiEEEESE_i9plus_mod3IiEiEEDaPvRmT3_T4_T5_mT6_P12ihipStream_tbENKUlT_T0_E_clISt17integral_constantIbLb1EESU_EEDaSP_SQ_EUlSP_E_NS1_11comp_targetILNS1_3genE5ELNS1_11target_archE942ELNS1_3gpuE9ELNS1_3repE0EEENS1_30default_config_static_selectorELNS0_4arch9wavefront6targetE1EEEvT1_: ; @_ZN7rocprim17ROCPRIM_400000_NS6detail17trampoline_kernelINS0_14default_configENS1_20scan_config_selectorIiEEZZNS1_9scan_implILNS1_25lookback_scan_determinismE0ELb0ELb0ES3_N6thrust23THRUST_200600_302600_NS6detail15normal_iteratorINS9_10device_ptrIiEEEESE_i9plus_mod3IiEiEEDaPvRmT3_T4_T5_mT6_P12ihipStream_tbENKUlT_T0_E_clISt17integral_constantIbLb1EESU_EEDaSP_SQ_EUlSP_E_NS1_11comp_targetILNS1_3genE5ELNS1_11target_archE942ELNS1_3gpuE9ELNS1_3repE0EEENS1_30default_config_static_selectorELNS0_4arch9wavefront6targetE1EEEvT1_
; %bb.0:
	.section	.rodata,"a",@progbits
	.p2align	6, 0x0
	.amdhsa_kernel _ZN7rocprim17ROCPRIM_400000_NS6detail17trampoline_kernelINS0_14default_configENS1_20scan_config_selectorIiEEZZNS1_9scan_implILNS1_25lookback_scan_determinismE0ELb0ELb0ES3_N6thrust23THRUST_200600_302600_NS6detail15normal_iteratorINS9_10device_ptrIiEEEESE_i9plus_mod3IiEiEEDaPvRmT3_T4_T5_mT6_P12ihipStream_tbENKUlT_T0_E_clISt17integral_constantIbLb1EESU_EEDaSP_SQ_EUlSP_E_NS1_11comp_targetILNS1_3genE5ELNS1_11target_archE942ELNS1_3gpuE9ELNS1_3repE0EEENS1_30default_config_static_selectorELNS0_4arch9wavefront6targetE1EEEvT1_
		.amdhsa_group_segment_fixed_size 0
		.amdhsa_private_segment_fixed_size 0
		.amdhsa_kernarg_size 104
		.amdhsa_user_sgpr_count 6
		.amdhsa_user_sgpr_private_segment_buffer 1
		.amdhsa_user_sgpr_dispatch_ptr 0
		.amdhsa_user_sgpr_queue_ptr 0
		.amdhsa_user_sgpr_kernarg_segment_ptr 1
		.amdhsa_user_sgpr_dispatch_id 0
		.amdhsa_user_sgpr_flat_scratch_init 0
		.amdhsa_user_sgpr_kernarg_preload_length 0
		.amdhsa_user_sgpr_kernarg_preload_offset 0
		.amdhsa_user_sgpr_private_segment_size 0
		.amdhsa_uses_dynamic_stack 0
		.amdhsa_system_sgpr_private_segment_wavefront_offset 0
		.amdhsa_system_sgpr_workgroup_id_x 1
		.amdhsa_system_sgpr_workgroup_id_y 0
		.amdhsa_system_sgpr_workgroup_id_z 0
		.amdhsa_system_sgpr_workgroup_info 0
		.amdhsa_system_vgpr_workitem_id 0
		.amdhsa_next_free_vgpr 1
		.amdhsa_next_free_sgpr 0
		.amdhsa_accum_offset 4
		.amdhsa_reserve_vcc 0
		.amdhsa_reserve_flat_scratch 0
		.amdhsa_float_round_mode_32 0
		.amdhsa_float_round_mode_16_64 0
		.amdhsa_float_denorm_mode_32 3
		.amdhsa_float_denorm_mode_16_64 3
		.amdhsa_dx10_clamp 1
		.amdhsa_ieee_mode 1
		.amdhsa_fp16_overflow 0
		.amdhsa_tg_split 0
		.amdhsa_exception_fp_ieee_invalid_op 0
		.amdhsa_exception_fp_denorm_src 0
		.amdhsa_exception_fp_ieee_div_zero 0
		.amdhsa_exception_fp_ieee_overflow 0
		.amdhsa_exception_fp_ieee_underflow 0
		.amdhsa_exception_fp_ieee_inexact 0
		.amdhsa_exception_int_div_zero 0
	.end_amdhsa_kernel
	.section	.text._ZN7rocprim17ROCPRIM_400000_NS6detail17trampoline_kernelINS0_14default_configENS1_20scan_config_selectorIiEEZZNS1_9scan_implILNS1_25lookback_scan_determinismE0ELb0ELb0ES3_N6thrust23THRUST_200600_302600_NS6detail15normal_iteratorINS9_10device_ptrIiEEEESE_i9plus_mod3IiEiEEDaPvRmT3_T4_T5_mT6_P12ihipStream_tbENKUlT_T0_E_clISt17integral_constantIbLb1EESU_EEDaSP_SQ_EUlSP_E_NS1_11comp_targetILNS1_3genE5ELNS1_11target_archE942ELNS1_3gpuE9ELNS1_3repE0EEENS1_30default_config_static_selectorELNS0_4arch9wavefront6targetE1EEEvT1_,"axG",@progbits,_ZN7rocprim17ROCPRIM_400000_NS6detail17trampoline_kernelINS0_14default_configENS1_20scan_config_selectorIiEEZZNS1_9scan_implILNS1_25lookback_scan_determinismE0ELb0ELb0ES3_N6thrust23THRUST_200600_302600_NS6detail15normal_iteratorINS9_10device_ptrIiEEEESE_i9plus_mod3IiEiEEDaPvRmT3_T4_T5_mT6_P12ihipStream_tbENKUlT_T0_E_clISt17integral_constantIbLb1EESU_EEDaSP_SQ_EUlSP_E_NS1_11comp_targetILNS1_3genE5ELNS1_11target_archE942ELNS1_3gpuE9ELNS1_3repE0EEENS1_30default_config_static_selectorELNS0_4arch9wavefront6targetE1EEEvT1_,comdat
.Lfunc_end6625:
	.size	_ZN7rocprim17ROCPRIM_400000_NS6detail17trampoline_kernelINS0_14default_configENS1_20scan_config_selectorIiEEZZNS1_9scan_implILNS1_25lookback_scan_determinismE0ELb0ELb0ES3_N6thrust23THRUST_200600_302600_NS6detail15normal_iteratorINS9_10device_ptrIiEEEESE_i9plus_mod3IiEiEEDaPvRmT3_T4_T5_mT6_P12ihipStream_tbENKUlT_T0_E_clISt17integral_constantIbLb1EESU_EEDaSP_SQ_EUlSP_E_NS1_11comp_targetILNS1_3genE5ELNS1_11target_archE942ELNS1_3gpuE9ELNS1_3repE0EEENS1_30default_config_static_selectorELNS0_4arch9wavefront6targetE1EEEvT1_, .Lfunc_end6625-_ZN7rocprim17ROCPRIM_400000_NS6detail17trampoline_kernelINS0_14default_configENS1_20scan_config_selectorIiEEZZNS1_9scan_implILNS1_25lookback_scan_determinismE0ELb0ELb0ES3_N6thrust23THRUST_200600_302600_NS6detail15normal_iteratorINS9_10device_ptrIiEEEESE_i9plus_mod3IiEiEEDaPvRmT3_T4_T5_mT6_P12ihipStream_tbENKUlT_T0_E_clISt17integral_constantIbLb1EESU_EEDaSP_SQ_EUlSP_E_NS1_11comp_targetILNS1_3genE5ELNS1_11target_archE942ELNS1_3gpuE9ELNS1_3repE0EEENS1_30default_config_static_selectorELNS0_4arch9wavefront6targetE1EEEvT1_
                                        ; -- End function
	.section	.AMDGPU.csdata,"",@progbits
; Kernel info:
; codeLenInByte = 0
; NumSgprs: 4
; NumVgprs: 0
; NumAgprs: 0
; TotalNumVgprs: 0
; ScratchSize: 0
; MemoryBound: 0
; FloatMode: 240
; IeeeMode: 1
; LDSByteSize: 0 bytes/workgroup (compile time only)
; SGPRBlocks: 0
; VGPRBlocks: 0
; NumSGPRsForWavesPerEU: 4
; NumVGPRsForWavesPerEU: 1
; AccumOffset: 4
; Occupancy: 8
; WaveLimiterHint : 0
; COMPUTE_PGM_RSRC2:SCRATCH_EN: 0
; COMPUTE_PGM_RSRC2:USER_SGPR: 6
; COMPUTE_PGM_RSRC2:TRAP_HANDLER: 0
; COMPUTE_PGM_RSRC2:TGID_X_EN: 1
; COMPUTE_PGM_RSRC2:TGID_Y_EN: 0
; COMPUTE_PGM_RSRC2:TGID_Z_EN: 0
; COMPUTE_PGM_RSRC2:TIDIG_COMP_CNT: 0
; COMPUTE_PGM_RSRC3_GFX90A:ACCUM_OFFSET: 0
; COMPUTE_PGM_RSRC3_GFX90A:TG_SPLIT: 0
	.section	.text._ZN7rocprim17ROCPRIM_400000_NS6detail17trampoline_kernelINS0_14default_configENS1_20scan_config_selectorIiEEZZNS1_9scan_implILNS1_25lookback_scan_determinismE0ELb0ELb0ES3_N6thrust23THRUST_200600_302600_NS6detail15normal_iteratorINS9_10device_ptrIiEEEESE_i9plus_mod3IiEiEEDaPvRmT3_T4_T5_mT6_P12ihipStream_tbENKUlT_T0_E_clISt17integral_constantIbLb1EESU_EEDaSP_SQ_EUlSP_E_NS1_11comp_targetILNS1_3genE4ELNS1_11target_archE910ELNS1_3gpuE8ELNS1_3repE0EEENS1_30default_config_static_selectorELNS0_4arch9wavefront6targetE1EEEvT1_,"axG",@progbits,_ZN7rocprim17ROCPRIM_400000_NS6detail17trampoline_kernelINS0_14default_configENS1_20scan_config_selectorIiEEZZNS1_9scan_implILNS1_25lookback_scan_determinismE0ELb0ELb0ES3_N6thrust23THRUST_200600_302600_NS6detail15normal_iteratorINS9_10device_ptrIiEEEESE_i9plus_mod3IiEiEEDaPvRmT3_T4_T5_mT6_P12ihipStream_tbENKUlT_T0_E_clISt17integral_constantIbLb1EESU_EEDaSP_SQ_EUlSP_E_NS1_11comp_targetILNS1_3genE4ELNS1_11target_archE910ELNS1_3gpuE8ELNS1_3repE0EEENS1_30default_config_static_selectorELNS0_4arch9wavefront6targetE1EEEvT1_,comdat
	.protected	_ZN7rocprim17ROCPRIM_400000_NS6detail17trampoline_kernelINS0_14default_configENS1_20scan_config_selectorIiEEZZNS1_9scan_implILNS1_25lookback_scan_determinismE0ELb0ELb0ES3_N6thrust23THRUST_200600_302600_NS6detail15normal_iteratorINS9_10device_ptrIiEEEESE_i9plus_mod3IiEiEEDaPvRmT3_T4_T5_mT6_P12ihipStream_tbENKUlT_T0_E_clISt17integral_constantIbLb1EESU_EEDaSP_SQ_EUlSP_E_NS1_11comp_targetILNS1_3genE4ELNS1_11target_archE910ELNS1_3gpuE8ELNS1_3repE0EEENS1_30default_config_static_selectorELNS0_4arch9wavefront6targetE1EEEvT1_ ; -- Begin function _ZN7rocprim17ROCPRIM_400000_NS6detail17trampoline_kernelINS0_14default_configENS1_20scan_config_selectorIiEEZZNS1_9scan_implILNS1_25lookback_scan_determinismE0ELb0ELb0ES3_N6thrust23THRUST_200600_302600_NS6detail15normal_iteratorINS9_10device_ptrIiEEEESE_i9plus_mod3IiEiEEDaPvRmT3_T4_T5_mT6_P12ihipStream_tbENKUlT_T0_E_clISt17integral_constantIbLb1EESU_EEDaSP_SQ_EUlSP_E_NS1_11comp_targetILNS1_3genE4ELNS1_11target_archE910ELNS1_3gpuE8ELNS1_3repE0EEENS1_30default_config_static_selectorELNS0_4arch9wavefront6targetE1EEEvT1_
	.globl	_ZN7rocprim17ROCPRIM_400000_NS6detail17trampoline_kernelINS0_14default_configENS1_20scan_config_selectorIiEEZZNS1_9scan_implILNS1_25lookback_scan_determinismE0ELb0ELb0ES3_N6thrust23THRUST_200600_302600_NS6detail15normal_iteratorINS9_10device_ptrIiEEEESE_i9plus_mod3IiEiEEDaPvRmT3_T4_T5_mT6_P12ihipStream_tbENKUlT_T0_E_clISt17integral_constantIbLb1EESU_EEDaSP_SQ_EUlSP_E_NS1_11comp_targetILNS1_3genE4ELNS1_11target_archE910ELNS1_3gpuE8ELNS1_3repE0EEENS1_30default_config_static_selectorELNS0_4arch9wavefront6targetE1EEEvT1_
	.p2align	8
	.type	_ZN7rocprim17ROCPRIM_400000_NS6detail17trampoline_kernelINS0_14default_configENS1_20scan_config_selectorIiEEZZNS1_9scan_implILNS1_25lookback_scan_determinismE0ELb0ELb0ES3_N6thrust23THRUST_200600_302600_NS6detail15normal_iteratorINS9_10device_ptrIiEEEESE_i9plus_mod3IiEiEEDaPvRmT3_T4_T5_mT6_P12ihipStream_tbENKUlT_T0_E_clISt17integral_constantIbLb1EESU_EEDaSP_SQ_EUlSP_E_NS1_11comp_targetILNS1_3genE4ELNS1_11target_archE910ELNS1_3gpuE8ELNS1_3repE0EEENS1_30default_config_static_selectorELNS0_4arch9wavefront6targetE1EEEvT1_,@function
_ZN7rocprim17ROCPRIM_400000_NS6detail17trampoline_kernelINS0_14default_configENS1_20scan_config_selectorIiEEZZNS1_9scan_implILNS1_25lookback_scan_determinismE0ELb0ELb0ES3_N6thrust23THRUST_200600_302600_NS6detail15normal_iteratorINS9_10device_ptrIiEEEESE_i9plus_mod3IiEiEEDaPvRmT3_T4_T5_mT6_P12ihipStream_tbENKUlT_T0_E_clISt17integral_constantIbLb1EESU_EEDaSP_SQ_EUlSP_E_NS1_11comp_targetILNS1_3genE4ELNS1_11target_archE910ELNS1_3gpuE8ELNS1_3repE0EEENS1_30default_config_static_selectorELNS0_4arch9wavefront6targetE1EEEvT1_: ; @_ZN7rocprim17ROCPRIM_400000_NS6detail17trampoline_kernelINS0_14default_configENS1_20scan_config_selectorIiEEZZNS1_9scan_implILNS1_25lookback_scan_determinismE0ELb0ELb0ES3_N6thrust23THRUST_200600_302600_NS6detail15normal_iteratorINS9_10device_ptrIiEEEESE_i9plus_mod3IiEiEEDaPvRmT3_T4_T5_mT6_P12ihipStream_tbENKUlT_T0_E_clISt17integral_constantIbLb1EESU_EEDaSP_SQ_EUlSP_E_NS1_11comp_targetILNS1_3genE4ELNS1_11target_archE910ELNS1_3gpuE8ELNS1_3repE0EEENS1_30default_config_static_selectorELNS0_4arch9wavefront6targetE1EEEvT1_
; %bb.0:
	v_cmp_ne_u32_e64 s[0:1], 0, v0
	v_cmp_eq_u32_e64 s[2:3], 0, v0
	s_and_saveexec_b64 s[6:7], s[2:3]
	s_cbranch_execz .LBB6626_4
; %bb.1:
	s_mov_b64 s[10:11], exec
	v_mbcnt_lo_u32_b32 v1, s10, 0
	v_mbcnt_hi_u32_b32 v1, s11, v1
	v_cmp_eq_u32_e32 vcc, 0, v1
                                        ; implicit-def: $vgpr2
	s_and_saveexec_b64 s[8:9], vcc
	s_cbranch_execz .LBB6626_3
; %bb.2:
	s_load_dwordx2 s[12:13], s[4:5], 0x60
	s_bcnt1_i32_b64 s10, s[10:11]
	v_mov_b32_e32 v2, 0
	v_mov_b32_e32 v3, s10
	s_waitcnt lgkmcnt(0)
	global_atomic_add v2, v2, v3, s[12:13] glc
.LBB6626_3:
	s_or_b64 exec, exec, s[8:9]
	s_waitcnt vmcnt(0)
	v_readfirstlane_b32 s8, v2
	v_add_u32_e32 v1, s8, v1
	v_mov_b32_e32 v2, 0
	ds_write_b32 v2, v1
.LBB6626_4:
	s_or_b64 exec, exec, s[6:7]
	s_load_dwordx8 s[16:23], s[4:5], 0x0
	s_load_dwordx4 s[24:27], s[4:5], 0x28
	s_load_dword s28, s[4:5], 0x38
	s_load_dwordx8 s[8:15], s[4:5], 0x40
	v_mov_b32_e32 v1, 0
	s_waitcnt lgkmcnt(0)
	s_barrier
	ds_read_b32 v1, v1
	s_lshl_b64 s[6:7], s[18:19], 2
	s_add_u32 s29, s16, s6
	s_addc_u32 s30, s17, s7
	s_add_i32 s16, s28, -1
	s_mul_i32 s17, s16, 0x500
	s_sub_u32 s33, s22, s17
	s_waitcnt lgkmcnt(0)
	v_readfirstlane_b32 s41, v1
	s_subb_u32 s40, s23, 0
	s_mul_i32 s4, s41, 0x500
	s_mov_b32 s5, 0
	s_cmp_lg_u32 s41, s16
	s_cselect_b64 s[16:17], -1, 0
	s_lshl_b64 s[18:19], s[4:5], 2
	s_add_u32 s22, s29, s18
	s_addc_u32 s23, s30, s19
	s_mov_b64 s[4:5], -1
	s_and_b64 vcc, exec, s[16:17]
	v_lshlrev_b32_e32 v22, 2, v0
	s_barrier
	s_cbranch_vccz .LBB6626_6
; %bb.5:
	v_mov_b32_e32 v1, s23
	v_add_co_u32_e32 v2, vcc, s22, v22
	v_addc_co_u32_e32 v3, vcc, 0, v1, vcc
	flat_load_dword v1, v[2:3]
	flat_load_dword v4, v[2:3] offset:512
	flat_load_dword v5, v[2:3] offset:1024
	;; [unrolled: 1-line block ×7, first 2 shown]
	v_add_co_u32_e32 v2, vcc, 0x1000, v2
	v_addc_co_u32_e32 v3, vcc, 0, v3, vcc
	flat_load_dword v11, v[2:3]
	flat_load_dword v12, v[2:3] offset:512
	s_mov_b64 s[4:5], 0
	s_waitcnt vmcnt(0) lgkmcnt(0)
	ds_write2st64_b32 v22, v1, v4 offset1:2
	ds_write2st64_b32 v22, v5, v6 offset0:4 offset1:6
	ds_write2st64_b32 v22, v7, v8 offset0:8 offset1:10
	;; [unrolled: 1-line block ×4, first 2 shown]
	s_waitcnt lgkmcnt(0)
	s_barrier
.LBB6626_6:
	s_andn2_b64 vcc, exec, s[4:5]
	v_cmp_gt_u32_e64 s[4:5], s33, v0
	s_cbranch_vccnz .LBB6626_28
; %bb.7:
	v_pk_mov_b32 v[2:3], s[22:23], s[22:23] op_sel:[0,1]
	flat_load_dword v1, v[2:3]
	s_waitcnt vmcnt(0) lgkmcnt(0)
	v_mov_b32_e32 v2, v1
	v_mov_b32_e32 v3, v1
	v_mov_b32_e32 v4, v1
	v_mov_b32_e32 v5, v1
	v_mov_b32_e32 v6, v1
	v_mov_b32_e32 v7, v1
	v_mov_b32_e32 v8, v1
	v_mov_b32_e32 v9, v1
	v_mov_b32_e32 v10, v1
	s_and_saveexec_b64 s[28:29], s[4:5]
	s_cbranch_execz .LBB6626_9
; %bb.8:
	v_mov_b32_e32 v11, s23
	v_add_co_u32_e32 v10, vcc, s22, v22
	v_addc_co_u32_e32 v11, vcc, 0, v11, vcc
	flat_load_dword v10, v[10:11]
.LBB6626_9:
	s_or_b64 exec, exec, s[28:29]
	v_or_b32_e32 v11, 0x80, v0
	v_cmp_gt_u32_e32 vcc, s33, v11
	s_and_saveexec_b64 s[4:5], vcc
	s_cbranch_execz .LBB6626_11
; %bb.10:
	v_mov_b32_e32 v1, s23
	v_add_co_u32_e32 v12, vcc, s22, v22
	v_addc_co_u32_e32 v13, vcc, 0, v1, vcc
	flat_load_dword v1, v[12:13] offset:512
.LBB6626_11:
	s_or_b64 exec, exec, s[4:5]
	v_or_b32_e32 v11, 0x100, v0
	v_cmp_gt_u32_e32 vcc, s33, v11
	s_and_saveexec_b64 s[4:5], vcc
	s_cbranch_execz .LBB6626_13
; %bb.12:
	v_mov_b32_e32 v2, s23
	v_add_co_u32_e32 v12, vcc, s22, v22
	v_addc_co_u32_e32 v13, vcc, 0, v2, vcc
	flat_load_dword v2, v[12:13] offset:1024
.LBB6626_13:
	s_or_b64 exec, exec, s[4:5]
	v_or_b32_e32 v11, 0x180, v0
	v_cmp_gt_u32_e32 vcc, s33, v11
	s_and_saveexec_b64 s[4:5], vcc
	s_cbranch_execz .LBB6626_15
; %bb.14:
	v_mov_b32_e32 v3, s23
	v_add_co_u32_e32 v12, vcc, s22, v22
	v_addc_co_u32_e32 v13, vcc, 0, v3, vcc
	flat_load_dword v3, v[12:13] offset:1536
.LBB6626_15:
	s_or_b64 exec, exec, s[4:5]
	v_or_b32_e32 v11, 0x200, v0
	v_cmp_gt_u32_e32 vcc, s33, v11
	s_and_saveexec_b64 s[4:5], vcc
	s_cbranch_execz .LBB6626_17
; %bb.16:
	v_mov_b32_e32 v4, s23
	v_add_co_u32_e32 v12, vcc, s22, v22
	v_addc_co_u32_e32 v13, vcc, 0, v4, vcc
	flat_load_dword v4, v[12:13] offset:2048
.LBB6626_17:
	s_or_b64 exec, exec, s[4:5]
	v_or_b32_e32 v11, 0x280, v0
	v_cmp_gt_u32_e32 vcc, s33, v11
	s_and_saveexec_b64 s[4:5], vcc
	s_cbranch_execz .LBB6626_19
; %bb.18:
	v_mov_b32_e32 v5, s23
	v_add_co_u32_e32 v12, vcc, s22, v22
	v_addc_co_u32_e32 v13, vcc, 0, v5, vcc
	flat_load_dword v5, v[12:13] offset:2560
.LBB6626_19:
	s_or_b64 exec, exec, s[4:5]
	v_or_b32_e32 v11, 0x300, v0
	v_cmp_gt_u32_e32 vcc, s33, v11
	s_and_saveexec_b64 s[4:5], vcc
	s_cbranch_execz .LBB6626_21
; %bb.20:
	v_mov_b32_e32 v6, s23
	v_add_co_u32_e32 v12, vcc, s22, v22
	v_addc_co_u32_e32 v13, vcc, 0, v6, vcc
	flat_load_dword v6, v[12:13] offset:3072
.LBB6626_21:
	s_or_b64 exec, exec, s[4:5]
	v_or_b32_e32 v11, 0x380, v0
	v_cmp_gt_u32_e32 vcc, s33, v11
	s_and_saveexec_b64 s[4:5], vcc
	s_cbranch_execz .LBB6626_23
; %bb.22:
	v_mov_b32_e32 v7, s23
	v_add_co_u32_e32 v12, vcc, s22, v22
	v_addc_co_u32_e32 v13, vcc, 0, v7, vcc
	flat_load_dword v7, v[12:13] offset:3584
.LBB6626_23:
	s_or_b64 exec, exec, s[4:5]
	v_or_b32_e32 v11, 0x400, v0
	v_cmp_gt_u32_e32 vcc, s33, v11
	s_and_saveexec_b64 s[4:5], vcc
	s_cbranch_execz .LBB6626_25
; %bb.24:
	v_lshlrev_b32_e32 v8, 2, v11
	v_mov_b32_e32 v11, s23
	v_add_co_u32_e32 v12, vcc, s22, v8
	v_addc_co_u32_e32 v13, vcc, 0, v11, vcc
	flat_load_dword v8, v[12:13]
.LBB6626_25:
	s_or_b64 exec, exec, s[4:5]
	v_or_b32_e32 v11, 0x480, v0
	v_cmp_gt_u32_e32 vcc, s33, v11
	s_and_saveexec_b64 s[4:5], vcc
	s_cbranch_execz .LBB6626_27
; %bb.26:
	v_lshlrev_b32_e32 v9, 2, v11
	v_mov_b32_e32 v11, s23
	v_add_co_u32_e32 v12, vcc, s22, v9
	v_addc_co_u32_e32 v13, vcc, 0, v11, vcc
	flat_load_dword v9, v[12:13]
.LBB6626_27:
	s_or_b64 exec, exec, s[4:5]
	s_waitcnt vmcnt(0) lgkmcnt(0)
	ds_write2st64_b32 v22, v10, v1 offset1:2
	ds_write2st64_b32 v22, v2, v3 offset0:4 offset1:6
	ds_write2st64_b32 v22, v4, v5 offset0:8 offset1:10
	ds_write2st64_b32 v22, v6, v7 offset0:12 offset1:14
	ds_write2st64_b32 v22, v8, v9 offset0:16 offset1:18
	s_waitcnt lgkmcnt(0)
	s_barrier
.LBB6626_28:
	v_mul_u32_u24_e32 v23, 10, v0
	v_lshlrev_b32_e32 v1, 2, v23
	ds_read2_b64 v[2:5], v1 offset1:1
	ds_read2_b64 v[16:19], v1 offset0:2 offset1:3
	ds_read_b64 v[20:21], v1 offset:32
	s_cmp_lg_u32 s41, 0
	v_lshrrev_b32_e32 v24, 5, v0
	v_cmp_gt_u32_e32 vcc, 64, v0
	s_waitcnt lgkmcnt(0)
	s_barrier
	s_cbranch_scc0 .LBB6626_98
; %bb.29:
	v_add_u32_e32 v6, v3, v2
	v_ashrrev_i32_e32 v7, 31, v6
	v_lshlrev_b64 v[6:7], 2, v[6:7]
	v_mov_b32_e32 v8, s25
	v_add_co_u32_e64 v6, s[4:5], s24, v6
	v_addc_co_u32_e64 v7, s[4:5], v8, v7, s[4:5]
	global_load_dword v6, v[6:7], off
	s_waitcnt vmcnt(0)
	v_add_u32_e32 v6, v6, v4
	v_ashrrev_i32_e32 v7, 31, v6
	v_lshlrev_b64 v[6:7], 2, v[6:7]
	v_add_co_u32_e64 v6, s[4:5], s24, v6
	v_addc_co_u32_e64 v7, s[4:5], v8, v7, s[4:5]
	global_load_dword v6, v[6:7], off
	s_waitcnt vmcnt(0)
	v_add_u32_e32 v6, v6, v5
	v_ashrrev_i32_e32 v7, 31, v6
	v_lshlrev_b64 v[6:7], 2, v[6:7]
	;; [unrolled: 7-line block ×8, first 2 shown]
	v_add_co_u32_e64 v6, s[4:5], s24, v6
	v_addc_co_u32_e64 v7, s[4:5], v8, v7, s[4:5]
	global_load_dword v25, v[6:7], off
	v_add_lshl_u32 v6, v24, v0, 2
	s_waitcnt vmcnt(0)
	ds_write_b32 v6, v25
	s_waitcnt lgkmcnt(0)
	s_barrier
	s_and_saveexec_b64 s[22:23], vcc
	s_cbranch_execz .LBB6626_43
; %bb.30:
	v_lshlrev_b32_e32 v6, 1, v0
	v_lshrrev_b32_e32 v7, 4, v0
	v_add_lshl_u32 v8, v7, v6, 2
	ds_read2_b32 v[6:7], v8 offset1:1
	v_mov_b32_e32 v9, s25
	s_waitcnt lgkmcnt(0)
	v_add_u32_e32 v10, v7, v6
	v_ashrrev_i32_e32 v11, 31, v10
	v_lshlrev_b64 v[10:11], 2, v[10:11]
	v_add_co_u32_e64 v10, s[4:5], s24, v10
	v_addc_co_u32_e64 v11, s[4:5], v9, v11, s[4:5]
	global_load_dword v9, v[10:11], off
	v_mbcnt_lo_u32_b32 v7, -1, 0
	v_mbcnt_hi_u32_b32 v7, -1, v7
	v_and_b32_e32 v10, 15, v7
	v_cmp_ne_u32_e64 s[4:5], 0, v10
	s_waitcnt vmcnt(0)
	v_mov_b32_dpp v11, v9 row_shr:1 row_mask:0xf bank_mask:0xf
	s_and_saveexec_b64 s[28:29], s[4:5]
	s_cbranch_execz .LBB6626_32
; %bb.31:
	v_add_u32_e32 v12, v11, v9
	v_ashrrev_i32_e32 v13, 31, v12
	v_lshlrev_b64 v[12:13], 2, v[12:13]
	v_mov_b32_e32 v9, s25
	v_add_co_u32_e64 v12, s[4:5], s24, v12
	v_addc_co_u32_e64 v13, s[4:5], v9, v13, s[4:5]
	global_load_dword v9, v[12:13], off
.LBB6626_32:
	s_or_b64 exec, exec, s[28:29]
	s_waitcnt vmcnt(0)
	v_mov_b32_dpp v11, v9 row_shr:2 row_mask:0xf bank_mask:0xf
	v_cmp_lt_u32_e64 s[4:5], 1, v10
	s_and_saveexec_b64 s[28:29], s[4:5]
	s_cbranch_execz .LBB6626_34
; %bb.33:
	v_add_u32_e32 v12, v11, v9
	v_ashrrev_i32_e32 v13, 31, v12
	v_lshlrev_b64 v[12:13], 2, v[12:13]
	v_mov_b32_e32 v9, s25
	v_add_co_u32_e64 v12, s[4:5], s24, v12
	v_addc_co_u32_e64 v13, s[4:5], v9, v13, s[4:5]
	global_load_dword v9, v[12:13], off
.LBB6626_34:
	s_or_b64 exec, exec, s[28:29]
	s_waitcnt vmcnt(0)
	v_mov_b32_dpp v11, v9 row_shr:4 row_mask:0xf bank_mask:0xf
	v_cmp_lt_u32_e64 s[4:5], 3, v10
	;; [unrolled: 15-line block ×3, first 2 shown]
	s_and_saveexec_b64 s[28:29], s[4:5]
	s_cbranch_execz .LBB6626_38
; %bb.37:
	v_add_u32_e32 v10, v11, v9
	v_ashrrev_i32_e32 v11, 31, v10
	v_lshlrev_b64 v[10:11], 2, v[10:11]
	v_mov_b32_e32 v9, s25
	v_add_co_u32_e64 v10, s[4:5], s24, v10
	v_addc_co_u32_e64 v11, s[4:5], v9, v11, s[4:5]
	global_load_dword v9, v[10:11], off
.LBB6626_38:
	s_or_b64 exec, exec, s[28:29]
	v_and_b32_e32 v11, 16, v7
	s_waitcnt vmcnt(0)
	v_mov_b32_dpp v10, v9 row_bcast:15 row_mask:0xf bank_mask:0xf
	v_cmp_ne_u32_e64 s[4:5], 0, v11
	s_and_saveexec_b64 s[28:29], s[4:5]
	s_cbranch_execz .LBB6626_40
; %bb.39:
	v_add_u32_e32 v10, v10, v9
	v_ashrrev_i32_e32 v11, 31, v10
	v_lshlrev_b64 v[10:11], 2, v[10:11]
	v_mov_b32_e32 v9, s25
	v_add_co_u32_e64 v10, s[4:5], s24, v10
	v_addc_co_u32_e64 v11, s[4:5], v9, v11, s[4:5]
	global_load_dword v9, v[10:11], off
.LBB6626_40:
	s_or_b64 exec, exec, s[28:29]
	s_waitcnt vmcnt(0)
	v_mov_b32_dpp v10, v9 row_bcast:31 row_mask:0xf bank_mask:0xf
	v_cmp_lt_u32_e64 s[4:5], 31, v7
	s_and_saveexec_b64 s[28:29], s[4:5]
	s_cbranch_execz .LBB6626_42
; %bb.41:
	v_add_u32_e32 v10, v10, v9
	v_ashrrev_i32_e32 v11, 31, v10
	v_lshlrev_b64 v[10:11], 2, v[10:11]
	v_mov_b32_e32 v9, s25
	v_add_co_u32_e64 v10, s[4:5], s24, v10
	v_addc_co_u32_e64 v11, s[4:5], v9, v11, s[4:5]
	global_load_dword v9, v[10:11], off
.LBB6626_42:
	s_or_b64 exec, exec, s[28:29]
	v_add_u32_e32 v10, -1, v7
	v_and_b32_e32 v11, 64, v7
	v_cmp_lt_i32_e64 s[4:5], v10, v11
	v_cndmask_b32_e64 v7, v10, v7, s[4:5]
	v_lshlrev_b32_e32 v7, 2, v7
	s_waitcnt vmcnt(0)
	ds_bpermute_b32 v7, v7, v9
	v_mov_b32_e32 v9, s25
	s_waitcnt lgkmcnt(0)
	v_add_u32_e32 v6, v7, v6
	v_ashrrev_i32_e32 v7, 31, v6
	v_lshlrev_b64 v[6:7], 2, v[6:7]
	v_add_co_u32_e64 v6, s[4:5], s24, v6
	v_addc_co_u32_e64 v7, s[4:5], v9, v7, s[4:5]
	global_load_dword v6, v[6:7], off
	; wave barrier
	s_waitcnt vmcnt(0)
	v_cndmask_b32_e64 v6, v6, v25, s[2:3]
	ds_write_b32 v8, v6
	; wave barrier
	ds_read_b32 v7, v8 offset:4
	s_waitcnt lgkmcnt(0)
	v_add_u32_e32 v6, v7, v6
	v_ashrrev_i32_e32 v7, 31, v6
	v_lshlrev_b64 v[6:7], 2, v[6:7]
	v_add_co_u32_e64 v6, s[4:5], s24, v6
	v_addc_co_u32_e64 v7, s[4:5], v9, v7, s[4:5]
	global_load_dword v6, v[6:7], off
	s_waitcnt vmcnt(0)
	ds_write_b32 v8, v6 offset:4
.LBB6626_43:
	s_or_b64 exec, exec, s[22:23]
	s_waitcnt lgkmcnt(0)
	s_barrier
	s_and_saveexec_b64 s[4:5], s[0:1]
	s_cbranch_execz .LBB6626_45
; %bb.44:
	v_add_u32_e32 v6, -1, v0
	v_lshrrev_b32_e32 v7, 5, v6
	v_add_lshl_u32 v6, v7, v6, 2
	ds_read_b32 v25, v6
.LBB6626_45:
	s_or_b64 exec, exec, s[4:5]
	s_and_saveexec_b64 s[22:23], vcc
	s_cbranch_execz .LBB6626_95
; %bb.46:
	v_mov_b32_e32 v15, 0
	ds_read_b32 v6, v15 offset:520
	v_mbcnt_lo_u32_b32 v7, -1, 0
	v_mbcnt_hi_u32_b32 v9, -1, v7
	s_mov_b32 s31, 0
	v_cmp_eq_u32_e64 s[4:5], 0, v9
	s_and_saveexec_b64 s[28:29], s[4:5]
	s_cbranch_execz .LBB6626_48
; %bb.47:
	s_add_i32 s30, s41, 64
	s_lshl_b64 s[30:31], s[30:31], 3
	s_add_u32 s30, s26, s30
	v_mov_b32_e32 v7, 1
	s_addc_u32 s31, s27, s31
	s_waitcnt lgkmcnt(0)
	global_store_dwordx2 v15, v[6:7], s[30:31]
.LBB6626_48:
	s_or_b64 exec, exec, s[28:29]
	v_xad_u32 v8, v9, -1, s41
	v_add_u32_e32 v14, 64, v8
	v_lshlrev_b64 v[10:11], 3, v[14:15]
	v_mov_b32_e32 v7, s27
	v_add_co_u32_e32 v10, vcc, s26, v10
	v_addc_co_u32_e32 v11, vcc, v7, v11, vcc
	global_load_dwordx2 v[12:13], v[10:11], off glc
	s_waitcnt vmcnt(0)
	v_cmp_eq_u16_sdwa s[30:31], v13, v15 src0_sel:BYTE_0 src1_sel:DWORD
	s_and_saveexec_b64 s[28:29], s[30:31]
	s_cbranch_execz .LBB6626_54
; %bb.49:
	s_mov_b32 s34, 1
	s_mov_b64 s[30:31], 0
	v_mov_b32_e32 v7, 0
.LBB6626_50:                            ; =>This Loop Header: Depth=1
                                        ;     Child Loop BB6626_51 Depth 2
	s_max_u32 s35, s34, 1
.LBB6626_51:                            ;   Parent Loop BB6626_50 Depth=1
                                        ; =>  This Inner Loop Header: Depth=2
	s_add_i32 s35, s35, -1
	s_cmp_eq_u32 s35, 0
	s_sleep 1
	s_cbranch_scc0 .LBB6626_51
; %bb.52:                               ;   in Loop: Header=BB6626_50 Depth=1
	global_load_dwordx2 v[12:13], v[10:11], off glc
	s_cmp_lt_u32 s34, 32
	s_cselect_b64 s[36:37], -1, 0
	s_cmp_lg_u64 s[36:37], 0
	s_addc_u32 s34, s34, 0
	s_waitcnt vmcnt(0)
	v_cmp_ne_u16_sdwa s[36:37], v13, v7 src0_sel:BYTE_0 src1_sel:DWORD
	s_or_b64 s[30:31], s[36:37], s[30:31]
	s_andn2_b64 exec, exec, s[30:31]
	s_cbranch_execnz .LBB6626_50
; %bb.53:
	s_or_b64 exec, exec, s[30:31]
.LBB6626_54:
	s_or_b64 exec, exec, s[28:29]
	v_mov_b32_e32 v7, 2
	v_cmp_eq_u16_sdwa s[28:29], v13, v7 src0_sel:BYTE_0 src1_sel:DWORD
	v_lshlrev_b64 v[10:11], v9, -1
	v_and_b32_e32 v7, s29, v11
	v_or_b32_e32 v7, 0x80000000, v7
	v_ffbl_b32_e32 v27, v7
	v_and_b32_e32 v7, 63, v9
	v_cmp_ne_u32_e32 vcc, 63, v7
	v_addc_co_u32_e32 v15, vcc, 0, v9, vcc
	v_lshlrev_b32_e32 v26, 2, v15
	ds_bpermute_b32 v15, v26, v12
	v_and_b32_e32 v14, s28, v10
	v_add_u32_e32 v27, 32, v27
	v_ffbl_b32_e32 v14, v14
	v_min_u32_e32 v14, v14, v27
	v_cmp_lt_u32_e32 vcc, v7, v14
	s_and_saveexec_b64 s[28:29], vcc
	s_cbranch_execz .LBB6626_56
; %bb.55:
	s_waitcnt lgkmcnt(0)
	v_add_u32_e32 v28, v15, v12
	v_ashrrev_i32_e32 v29, 31, v28
	v_lshlrev_b64 v[28:29], 2, v[28:29]
	v_mov_b32_e32 v12, s25
	v_add_co_u32_e32 v28, vcc, s24, v28
	v_addc_co_u32_e32 v29, vcc, v12, v29, vcc
	global_load_dword v12, v[28:29], off
.LBB6626_56:
	s_or_b64 exec, exec, s[28:29]
	v_cmp_gt_u32_e32 vcc, 62, v7
	s_waitcnt lgkmcnt(0)
	v_cndmask_b32_e64 v15, 0, 1, vcc
	v_lshlrev_b32_e32 v15, 1, v15
	v_add_lshl_u32 v27, v15, v9, 2
	s_waitcnt vmcnt(0)
	ds_bpermute_b32 v15, v27, v12
	v_add_u32_e32 v28, 2, v7
	v_cmp_le_u32_e32 vcc, v28, v14
	s_and_saveexec_b64 s[28:29], vcc
	s_cbranch_execz .LBB6626_58
; %bb.57:
	s_waitcnt lgkmcnt(0)
	v_add_u32_e32 v30, v15, v12
	v_ashrrev_i32_e32 v31, 31, v30
	v_lshlrev_b64 v[30:31], 2, v[30:31]
	v_mov_b32_e32 v12, s25
	v_add_co_u32_e32 v30, vcc, s24, v30
	v_addc_co_u32_e32 v31, vcc, v12, v31, vcc
	global_load_dword v12, v[30:31], off
.LBB6626_58:
	s_or_b64 exec, exec, s[28:29]
	v_cmp_gt_u32_e32 vcc, 60, v7
	s_waitcnt lgkmcnt(0)
	v_cndmask_b32_e64 v15, 0, 1, vcc
	v_lshlrev_b32_e32 v15, 2, v15
	v_add_lshl_u32 v29, v15, v9, 2
	s_waitcnt vmcnt(0)
	ds_bpermute_b32 v15, v29, v12
	v_add_u32_e32 v30, 4, v7
	v_cmp_le_u32_e32 vcc, v30, v14
	s_and_saveexec_b64 s[28:29], vcc
	s_cbranch_execz .LBB6626_60
; %bb.59:
	s_waitcnt lgkmcnt(0)
	v_add_u32_e32 v32, v15, v12
	v_ashrrev_i32_e32 v33, 31, v32
	v_lshlrev_b64 v[32:33], 2, v[32:33]
	v_mov_b32_e32 v12, s25
	v_add_co_u32_e32 v32, vcc, s24, v32
	v_addc_co_u32_e32 v33, vcc, v12, v33, vcc
	global_load_dword v12, v[32:33], off
.LBB6626_60:
	s_or_b64 exec, exec, s[28:29]
	v_cmp_gt_u32_e32 vcc, 56, v7
	s_waitcnt lgkmcnt(0)
	v_cndmask_b32_e64 v15, 0, 1, vcc
	v_lshlrev_b32_e32 v15, 3, v15
	v_add_lshl_u32 v31, v15, v9, 2
	s_waitcnt vmcnt(0)
	ds_bpermute_b32 v15, v31, v12
	v_add_u32_e32 v32, 8, v7
	v_cmp_le_u32_e32 vcc, v32, v14
	s_and_saveexec_b64 s[28:29], vcc
	s_cbranch_execz .LBB6626_62
; %bb.61:
	s_waitcnt lgkmcnt(0)
	v_add_u32_e32 v34, v15, v12
	v_ashrrev_i32_e32 v35, 31, v34
	v_lshlrev_b64 v[34:35], 2, v[34:35]
	v_mov_b32_e32 v12, s25
	v_add_co_u32_e32 v34, vcc, s24, v34
	v_addc_co_u32_e32 v35, vcc, v12, v35, vcc
	global_load_dword v12, v[34:35], off
.LBB6626_62:
	s_or_b64 exec, exec, s[28:29]
	v_cmp_gt_u32_e32 vcc, 48, v7
	s_waitcnt lgkmcnt(0)
	v_cndmask_b32_e64 v15, 0, 1, vcc
	v_lshlrev_b32_e32 v15, 4, v15
	v_add_lshl_u32 v33, v15, v9, 2
	s_waitcnt vmcnt(0)
	ds_bpermute_b32 v15, v33, v12
	v_add_u32_e32 v34, 16, v7
	v_cmp_le_u32_e32 vcc, v34, v14
	s_and_saveexec_b64 s[28:29], vcc
	s_cbranch_execz .LBB6626_64
; %bb.63:
	s_waitcnt lgkmcnt(0)
	v_add_u32_e32 v36, v15, v12
	v_ashrrev_i32_e32 v37, 31, v36
	v_lshlrev_b64 v[36:37], 2, v[36:37]
	v_mov_b32_e32 v12, s25
	v_add_co_u32_e32 v36, vcc, s24, v36
	v_addc_co_u32_e32 v37, vcc, v12, v37, vcc
	global_load_dword v12, v[36:37], off
.LBB6626_64:
	s_or_b64 exec, exec, s[28:29]
	v_cmp_gt_u32_e32 vcc, 32, v7
	s_waitcnt lgkmcnt(0)
	v_cndmask_b32_e64 v15, 0, 1, vcc
	v_lshlrev_b32_e32 v15, 5, v15
	v_add_lshl_u32 v35, v15, v9, 2
	s_waitcnt vmcnt(0)
	ds_bpermute_b32 v9, v35, v12
	v_add_u32_e32 v36, 32, v7
	v_cmp_le_u32_e32 vcc, v36, v14
	s_mov_b64 s[28:29], -1
                                        ; implicit-def: $vgpr14
	s_and_saveexec_b64 s[30:31], vcc
	s_cbranch_execz .LBB6626_66
; %bb.65:
	s_waitcnt lgkmcnt(0)
	v_add_u32_e32 v14, v9, v12
	s_xor_b64 s[28:29], exec, -1
.LBB6626_66:
	s_or_b64 exec, exec, s[30:31]
	s_mov_b64 s[30:31], 0
	s_waitcnt lgkmcnt(0)
	v_mov_b32_e32 v9, 0
	v_mov_b32_e32 v38, 2
                                        ; implicit-def: $sgpr34_sgpr35
	s_branch .LBB6626_68
.LBB6626_67:                            ;   in Loop: Header=BB6626_68 Depth=1
	s_or_b64 exec, exec, s[28:29]
	v_subrev_u32_e32 v8, 64, v8
	s_waitcnt vmcnt(0)
	v_add_u32_e32 v14, v12, v37
	s_mov_b64 s[28:29], 0
	s_mov_b64 s[30:31], 0
                                        ; implicit-def: $sgpr34_sgpr35
.LBB6626_68:                            ; =>This Loop Header: Depth=1
                                        ;     Child Loop BB6626_74 Depth 2
                                        ;       Child Loop BB6626_75 Depth 3
	s_waitcnt vmcnt(0)
	v_mov_b32_e32 v37, v12
	s_xor_b64 s[38:39], s[28:29], -1
	s_or_b64 s[34:35], s[34:35], exec
                                        ; implicit-def: $sgpr36_sgpr37
	s_and_saveexec_b64 s[42:43], s[38:39]
	s_xor_b64 s[38:39], exec, s[42:43]
	s_cbranch_execz .LBB6626_70
; %bb.69:                               ;   in Loop: Header=BB6626_68 Depth=1
	s_waitcnt lgkmcnt(0)
	v_ashrrev_i32_e32 v15, 31, v14
	v_lshlrev_b64 v[40:41], 2, v[14:15]
	v_mov_b32_e32 v12, s25
	v_add_co_u32_e32 v40, vcc, s24, v40
	v_addc_co_u32_e32 v41, vcc, v12, v41, vcc
	global_load_dword v12, v[40:41], off
	s_mov_b64 s[36:37], -1
	s_andn2_b64 s[34:35], s[34:35], exec
                                        ; implicit-def: $sgpr28_sgpr29
.LBB6626_70:                            ;   in Loop: Header=BB6626_68 Depth=1
	s_or_b64 exec, exec, s[38:39]
	s_and_b64 s[38:39], exec, s[34:35]
	s_or_b64 s[30:31], s[38:39], s[30:31]
	s_andn2_b64 s[28:29], s[28:29], exec
	s_and_b64 s[36:37], s[36:37], exec
	s_or_b64 s[28:29], s[28:29], s[36:37]
	s_andn2_b64 exec, exec, s[30:31]
	s_cbranch_execnz .LBB6626_68
; %bb.71:                               ;   in Loop: Header=BB6626_68 Depth=1
	s_or_b64 exec, exec, s[30:31]
	v_cmp_ne_u16_sdwa s[28:29], v13, v38 src0_sel:BYTE_0 src1_sel:DWORD
	s_waitcnt vmcnt(0)
	v_cndmask_b32_e64 v12, 0, 1, s[28:29]
	;;#ASMSTART
	;;#ASMEND
	v_cmp_ne_u32_e32 vcc, 0, v12
	s_cmp_lg_u64 vcc, exec
	s_cbranch_scc1 .LBB6626_90
; %bb.72:                               ;   in Loop: Header=BB6626_68 Depth=1
	v_lshlrev_b64 v[12:13], 3, v[8:9]
	s_waitcnt lgkmcnt(0)
	v_mov_b32_e32 v15, s27
	v_add_co_u32_e32 v14, vcc, s26, v12
	v_addc_co_u32_e32 v15, vcc, v15, v13, vcc
	global_load_dwordx2 v[12:13], v[14:15], off glc
	s_waitcnt vmcnt(0)
	v_cmp_eq_u16_sdwa s[30:31], v13, v9 src0_sel:BYTE_0 src1_sel:DWORD
	s_and_saveexec_b64 s[28:29], s[30:31]
	s_cbranch_execz .LBB6626_78
; %bb.73:                               ;   in Loop: Header=BB6626_68 Depth=1
	s_mov_b32 s34, 1
	s_mov_b64 s[30:31], 0
.LBB6626_74:                            ;   Parent Loop BB6626_68 Depth=1
                                        ; =>  This Loop Header: Depth=2
                                        ;       Child Loop BB6626_75 Depth 3
	s_max_u32 s35, s34, 1
.LBB6626_75:                            ;   Parent Loop BB6626_68 Depth=1
                                        ;     Parent Loop BB6626_74 Depth=2
                                        ; =>    This Inner Loop Header: Depth=3
	s_add_i32 s35, s35, -1
	s_cmp_eq_u32 s35, 0
	s_sleep 1
	s_cbranch_scc0 .LBB6626_75
; %bb.76:                               ;   in Loop: Header=BB6626_74 Depth=2
	global_load_dwordx2 v[12:13], v[14:15], off glc
	s_cmp_lt_u32 s34, 32
	s_cselect_b64 s[36:37], -1, 0
	s_cmp_lg_u64 s[36:37], 0
	s_addc_u32 s34, s34, 0
	s_waitcnt vmcnt(0)
	v_cmp_ne_u16_sdwa s[36:37], v13, v9 src0_sel:BYTE_0 src1_sel:DWORD
	s_or_b64 s[30:31], s[36:37], s[30:31]
	s_andn2_b64 exec, exec, s[30:31]
	s_cbranch_execnz .LBB6626_74
; %bb.77:                               ;   in Loop: Header=BB6626_68 Depth=1
	s_or_b64 exec, exec, s[30:31]
.LBB6626_78:                            ;   in Loop: Header=BB6626_68 Depth=1
	s_or_b64 exec, exec, s[28:29]
	v_cmp_eq_u16_sdwa s[28:29], v13, v38 src0_sel:BYTE_0 src1_sel:DWORD
	v_and_b32_e32 v14, s29, v11
	v_or_b32_e32 v14, 0x80000000, v14
	ds_bpermute_b32 v15, v26, v12
	v_and_b32_e32 v39, s28, v10
	v_ffbl_b32_e32 v14, v14
	v_add_u32_e32 v14, 32, v14
	v_ffbl_b32_e32 v39, v39
	v_min_u32_e32 v14, v39, v14
	v_cmp_lt_u32_e32 vcc, v7, v14
	s_and_saveexec_b64 s[28:29], vcc
	s_cbranch_execz .LBB6626_80
; %bb.79:                               ;   in Loop: Header=BB6626_68 Depth=1
	s_waitcnt lgkmcnt(0)
	v_add_u32_e32 v40, v15, v12
	v_ashrrev_i32_e32 v41, 31, v40
	v_lshlrev_b64 v[40:41], 2, v[40:41]
	v_mov_b32_e32 v12, s25
	v_add_co_u32_e32 v40, vcc, s24, v40
	v_addc_co_u32_e32 v41, vcc, v12, v41, vcc
	global_load_dword v12, v[40:41], off
.LBB6626_80:                            ;   in Loop: Header=BB6626_68 Depth=1
	s_or_b64 exec, exec, s[28:29]
	s_waitcnt vmcnt(0) lgkmcnt(0)
	ds_bpermute_b32 v15, v27, v12
	v_cmp_le_u32_e32 vcc, v28, v14
	s_and_saveexec_b64 s[28:29], vcc
	s_cbranch_execz .LBB6626_82
; %bb.81:                               ;   in Loop: Header=BB6626_68 Depth=1
	s_waitcnt lgkmcnt(0)
	v_add_u32_e32 v40, v15, v12
	v_ashrrev_i32_e32 v41, 31, v40
	v_lshlrev_b64 v[40:41], 2, v[40:41]
	v_mov_b32_e32 v12, s25
	v_add_co_u32_e32 v40, vcc, s24, v40
	v_addc_co_u32_e32 v41, vcc, v12, v41, vcc
	global_load_dword v12, v[40:41], off
.LBB6626_82:                            ;   in Loop: Header=BB6626_68 Depth=1
	s_or_b64 exec, exec, s[28:29]
	s_waitcnt vmcnt(0) lgkmcnt(0)
	ds_bpermute_b32 v15, v29, v12
	v_cmp_le_u32_e32 vcc, v30, v14
	;; [unrolled: 16-line block ×5, first 2 shown]
	s_and_saveexec_b64 s[28:29], vcc
	s_cbranch_execz .LBB6626_67
; %bb.89:                               ;   in Loop: Header=BB6626_68 Depth=1
	s_waitcnt lgkmcnt(0)
	v_add_u32_e32 v14, v15, v12
	v_ashrrev_i32_e32 v15, 31, v14
	v_lshlrev_b64 v[14:15], 2, v[14:15]
	v_mov_b32_e32 v12, s25
	v_add_co_u32_e32 v14, vcc, s24, v14
	v_addc_co_u32_e32 v15, vcc, v12, v15, vcc
	global_load_dword v12, v[14:15], off
	s_branch .LBB6626_67
.LBB6626_90:                            ;   in Loop: Header=BB6626_68 Depth=1
	s_mov_b64 s[28:29], -1
                                        ; implicit-def: $vgpr14
                                        ; implicit-def: $vgpr13
	s_mov_b64 s[30:31], 0
                                        ; implicit-def: $sgpr34_sgpr35
	s_cbranch_execz .LBB6626_68
; %bb.91:
	s_and_saveexec_b64 s[28:29], s[4:5]
	s_cbranch_execz .LBB6626_93
; %bb.92:
	v_add_u32_e32 v6, v37, v6
	v_ashrrev_i32_e32 v7, 31, v6
	v_lshlrev_b64 v[6:7], 2, v[6:7]
	v_mov_b32_e32 v8, s25
	v_add_co_u32_e32 v6, vcc, s24, v6
	v_addc_co_u32_e32 v7, vcc, v8, v7, vcc
	global_load_dword v6, v[6:7], off
	s_add_i32 s4, s41, 64
	s_mov_b32 s5, 0
	s_lshl_b64 s[4:5], s[4:5], 3
	s_add_u32 s4, s26, s4
	s_addc_u32 s5, s27, s5
	v_mov_b32_e32 v8, 0
	v_mov_b32_e32 v7, 2
	s_waitcnt vmcnt(0)
	global_store_dwordx2 v8, v[6:7], s[4:5]
.LBB6626_93:
	s_or_b64 exec, exec, s[28:29]
	s_and_b64 exec, exec, s[2:3]
	s_cbranch_execz .LBB6626_95
; %bb.94:
	v_mov_b32_e32 v6, 0
	ds_write_b32 v6, v37
.LBB6626_95:
	s_or_b64 exec, exec, s[22:23]
	v_mov_b32_e32 v6, 0
	s_waitcnt lgkmcnt(0)
	s_barrier
	ds_read_b32 v6, v6
	v_mov_b32_e32 v7, v2
	s_and_saveexec_b64 s[4:5], s[0:1]
	s_cbranch_execz .LBB6626_97
; %bb.96:
	v_add_u32_e32 v8, v25, v2
	v_ashrrev_i32_e32 v9, 31, v8
	v_lshlrev_b64 v[8:9], 2, v[8:9]
	v_mov_b32_e32 v7, s25
	v_add_co_u32_e32 v8, vcc, s24, v8
	v_addc_co_u32_e32 v9, vcc, v7, v9, vcc
	global_load_dword v7, v[8:9], off
.LBB6626_97:
	s_or_b64 exec, exec, s[4:5]
	s_waitcnt vmcnt(0) lgkmcnt(0)
	v_add_u32_e32 v6, v7, v6
	v_ashrrev_i32_e32 v7, 31, v6
	v_lshlrev_b64 v[6:7], 2, v[6:7]
	v_mov_b32_e32 v8, s25
	v_add_co_u32_e32 v6, vcc, s24, v6
	v_addc_co_u32_e32 v7, vcc, v8, v7, vcc
	global_load_dword v6, v[6:7], off
	v_mov_b32_e32 v7, s25
	v_mov_b32_e32 v10, s25
	;; [unrolled: 1-line block ×5, first 2 shown]
	s_waitcnt vmcnt(0)
	v_add_u32_e32 v8, v6, v3
	v_ashrrev_i32_e32 v9, 31, v8
	v_lshlrev_b64 v[8:9], 2, v[8:9]
	v_add_co_u32_e32 v8, vcc, s24, v8
	v_addc_co_u32_e32 v9, vcc, v7, v9, vcc
	global_load_dword v7, v[8:9], off
	s_waitcnt vmcnt(0)
	v_add_u32_e32 v8, v7, v4
	v_ashrrev_i32_e32 v9, 31, v8
	v_lshlrev_b64 v[8:9], 2, v[8:9]
	v_add_co_u32_e32 v8, vcc, s24, v8
	v_addc_co_u32_e32 v9, vcc, v10, v9, vcc
	global_load_dword v8, v[8:9], off
	v_mov_b32_e32 v9, s25
	s_waitcnt vmcnt(0)
	v_add_u32_e32 v10, v8, v5
	v_ashrrev_i32_e32 v11, 31, v10
	v_lshlrev_b64 v[10:11], 2, v[10:11]
	v_add_co_u32_e32 v10, vcc, s24, v10
	v_addc_co_u32_e32 v11, vcc, v9, v11, vcc
	global_load_dword v9, v[10:11], off
	s_waitcnt vmcnt(0)
	v_add_u32_e32 v10, v9, v16
	v_ashrrev_i32_e32 v11, 31, v10
	v_lshlrev_b64 v[10:11], 2, v[10:11]
	v_add_co_u32_e32 v10, vcc, s24, v10
	v_addc_co_u32_e32 v11, vcc, v12, v11, vcc
	global_load_dword v10, v[10:11], off
	v_mov_b32_e32 v11, s25
	;; [unrolled: 15-line block ×4, first 2 shown]
	s_waitcnt vmcnt(0)
	v_add_u32_e32 v26, v14, v21
	v_ashrrev_i32_e32 v27, 31, v26
	v_lshlrev_b64 v[26:27], 2, v[26:27]
	v_add_co_u32_e32 v26, vcc, s24, v26
	v_addc_co_u32_e32 v27, vcc, v15, v27, vcc
	global_load_dword v15, v[26:27], off
	s_branch .LBB6626_122
.LBB6626_98:
                                        ; implicit-def: $vgpr6_vgpr7_vgpr8_vgpr9_vgpr10_vgpr11_vgpr12_vgpr13_vgpr14_vgpr15
	s_cbranch_execz .LBB6626_122
; %bb.99:
	s_cmp_lg_u64 s[12:13], 0
	s_cselect_b64 s[4:5], -1, 0
	s_waitcnt vmcnt(0)
	v_pk_mov_b32 v[14:15], v[10:11], v[10:11] op_sel:[0,1]
	s_and_b64 s[12:13], s[2:3], s[4:5]
	v_pk_mov_b32 v[12:13], v[8:9], v[8:9] op_sel:[0,1]
	v_pk_mov_b32 v[10:11], v[6:7], v[6:7] op_sel:[0,1]
	;; [unrolled: 1-line block ×4, first 2 shown]
	s_and_saveexec_b64 s[4:5], s[12:13]
	s_cbranch_execz .LBB6626_101
; %bb.100:
	v_mov_b32_e32 v6, 0
	global_load_dword v6, v6, s[8:9]
	v_mov_b32_e32 v8, s25
	s_waitcnt vmcnt(0)
	v_add_u32_e32 v6, v6, v2
	v_ashrrev_i32_e32 v7, 31, v6
	v_lshlrev_b64 v[6:7], 2, v[6:7]
	v_add_co_u32_e32 v6, vcc, s24, v6
	v_addc_co_u32_e32 v7, vcc, v8, v7, vcc
	global_load_dword v6, v[6:7], off
	s_waitcnt vmcnt(0)
	v_mov_b32_e32 v2, v6
.LBB6626_101:
	s_or_b64 exec, exec, s[4:5]
	v_add_u32_e32 v8, v3, v2
	v_ashrrev_i32_e32 v9, 31, v8
	v_lshlrev_b64 v[10:11], 2, v[8:9]
	v_mov_b32_e32 v7, s25
	v_add_co_u32_e32 v10, vcc, s24, v10
	v_addc_co_u32_e32 v11, vcc, v7, v11, vcc
	global_load_dword v7, v[10:11], off
	v_mov_b32_e32 v12, s25
	s_waitcnt vmcnt(0)
	v_add_u32_e32 v10, v4, v7
	v_ashrrev_i32_e32 v11, 31, v10
	v_lshlrev_b64 v[10:11], 2, v[10:11]
	v_add_co_u32_e32 v10, vcc, s24, v10
	v_addc_co_u32_e32 v11, vcc, v12, v11, vcc
	global_load_dword v7, v[10:11], off
	s_waitcnt vmcnt(0)
	v_add_u32_e32 v10, v7, v5
	v_ashrrev_i32_e32 v11, 31, v10
	v_lshlrev_b64 v[10:11], 2, v[10:11]
	v_add_co_u32_e32 v10, vcc, s24, v10
	v_addc_co_u32_e32 v11, vcc, v12, v11, vcc
	global_load_dword v7, v[10:11], off
	;; [unrolled: 7-line block ×8, first 2 shown]
	v_add_lshl_u32 v10, v24, v0, 2
	v_cmp_gt_u32_e32 vcc, 64, v0
	s_waitcnt vmcnt(0)
	ds_write_b32 v10, v7
	s_waitcnt lgkmcnt(0)
	s_barrier
	s_and_saveexec_b64 s[4:5], vcc
	s_cbranch_execz .LBB6626_115
; %bb.102:
	v_lshlrev_b32_e32 v10, 1, v0
	v_lshrrev_b32_e32 v11, 4, v0
	v_add_lshl_u32 v12, v11, v10, 2
	ds_read2_b32 v[10:11], v12 offset1:1
	v_mov_b32_e32 v13, s25
	s_waitcnt lgkmcnt(0)
	v_add_u32_e32 v14, v11, v10
	v_ashrrev_i32_e32 v15, 31, v14
	v_lshlrev_b64 v[14:15], 2, v[14:15]
	v_add_co_u32_e32 v14, vcc, s24, v14
	v_addc_co_u32_e32 v15, vcc, v13, v15, vcc
	global_load_dword v13, v[14:15], off
	v_mbcnt_lo_u32_b32 v11, -1, 0
	v_mbcnt_hi_u32_b32 v11, -1, v11
	v_and_b32_e32 v14, 15, v11
	v_cmp_ne_u32_e32 vcc, 0, v14
	s_waitcnt vmcnt(0)
	v_mov_b32_dpp v15, v13 row_shr:1 row_mask:0xf bank_mask:0xf
	s_and_saveexec_b64 s[8:9], vcc
	s_cbranch_execz .LBB6626_104
; %bb.103:
	v_add_u32_e32 v24, v15, v13
	v_ashrrev_i32_e32 v25, 31, v24
	v_lshlrev_b64 v[24:25], 2, v[24:25]
	v_mov_b32_e32 v13, s25
	v_add_co_u32_e32 v24, vcc, s24, v24
	v_addc_co_u32_e32 v25, vcc, v13, v25, vcc
	global_load_dword v13, v[24:25], off
.LBB6626_104:
	s_or_b64 exec, exec, s[8:9]
	s_waitcnt vmcnt(0)
	v_mov_b32_dpp v15, v13 row_shr:2 row_mask:0xf bank_mask:0xf
	v_cmp_lt_u32_e32 vcc, 1, v14
	s_and_saveexec_b64 s[8:9], vcc
	s_cbranch_execz .LBB6626_106
; %bb.105:
	v_add_u32_e32 v24, v15, v13
	v_ashrrev_i32_e32 v25, 31, v24
	v_lshlrev_b64 v[24:25], 2, v[24:25]
	v_mov_b32_e32 v13, s25
	v_add_co_u32_e32 v24, vcc, s24, v24
	v_addc_co_u32_e32 v25, vcc, v13, v25, vcc
	global_load_dword v13, v[24:25], off
.LBB6626_106:
	s_or_b64 exec, exec, s[8:9]
	s_waitcnt vmcnt(0)
	v_mov_b32_dpp v15, v13 row_shr:4 row_mask:0xf bank_mask:0xf
	v_cmp_lt_u32_e32 vcc, 3, v14
	;; [unrolled: 15-line block ×3, first 2 shown]
	s_and_saveexec_b64 s[8:9], vcc
	s_cbranch_execz .LBB6626_110
; %bb.109:
	v_add_u32_e32 v14, v15, v13
	v_ashrrev_i32_e32 v15, 31, v14
	v_lshlrev_b64 v[14:15], 2, v[14:15]
	v_mov_b32_e32 v13, s25
	v_add_co_u32_e32 v14, vcc, s24, v14
	v_addc_co_u32_e32 v15, vcc, v13, v15, vcc
	global_load_dword v13, v[14:15], off
.LBB6626_110:
	s_or_b64 exec, exec, s[8:9]
	v_and_b32_e32 v15, 16, v11
	s_waitcnt vmcnt(0)
	v_mov_b32_dpp v14, v13 row_bcast:15 row_mask:0xf bank_mask:0xf
	v_cmp_ne_u32_e32 vcc, 0, v15
	s_and_saveexec_b64 s[8:9], vcc
	s_cbranch_execz .LBB6626_112
; %bb.111:
	v_add_u32_e32 v14, v14, v13
	v_ashrrev_i32_e32 v15, 31, v14
	v_lshlrev_b64 v[14:15], 2, v[14:15]
	v_mov_b32_e32 v13, s25
	v_add_co_u32_e32 v14, vcc, s24, v14
	v_addc_co_u32_e32 v15, vcc, v13, v15, vcc
	global_load_dword v13, v[14:15], off
.LBB6626_112:
	s_or_b64 exec, exec, s[8:9]
	s_waitcnt vmcnt(0)
	v_mov_b32_dpp v14, v13 row_bcast:31 row_mask:0xf bank_mask:0xf
	v_cmp_lt_u32_e32 vcc, 31, v11
	s_and_saveexec_b64 s[8:9], vcc
	s_cbranch_execz .LBB6626_114
; %bb.113:
	v_add_u32_e32 v14, v14, v13
	v_ashrrev_i32_e32 v15, 31, v14
	v_lshlrev_b64 v[14:15], 2, v[14:15]
	v_mov_b32_e32 v13, s25
	v_add_co_u32_e32 v14, vcc, s24, v14
	v_addc_co_u32_e32 v15, vcc, v13, v15, vcc
	global_load_dword v13, v[14:15], off
.LBB6626_114:
	s_or_b64 exec, exec, s[8:9]
	v_add_u32_e32 v14, -1, v11
	v_and_b32_e32 v15, 64, v11
	v_cmp_lt_i32_e32 vcc, v14, v15
	v_cndmask_b32_e32 v11, v14, v11, vcc
	v_lshlrev_b32_e32 v11, 2, v11
	s_waitcnt vmcnt(0)
	ds_bpermute_b32 v11, v11, v13
	v_mov_b32_e32 v13, s25
	s_waitcnt lgkmcnt(0)
	v_add_u32_e32 v10, v11, v10
	v_ashrrev_i32_e32 v11, 31, v10
	v_lshlrev_b64 v[10:11], 2, v[10:11]
	v_add_co_u32_e32 v10, vcc, s24, v10
	v_addc_co_u32_e32 v11, vcc, v13, v11, vcc
	global_load_dword v10, v[10:11], off
	; wave barrier
	s_waitcnt vmcnt(0)
	v_cndmask_b32_e64 v10, v10, v7, s[2:3]
	ds_write_b32 v12, v10
	; wave barrier
	ds_read_b32 v11, v12 offset:4
	s_waitcnt lgkmcnt(0)
	v_add_u32_e32 v10, v11, v10
	v_ashrrev_i32_e32 v11, 31, v10
	v_lshlrev_b64 v[10:11], 2, v[10:11]
	v_add_co_u32_e32 v10, vcc, s24, v10
	v_addc_co_u32_e32 v11, vcc, v13, v11, vcc
	global_load_dword v10, v[10:11], off
	s_waitcnt vmcnt(0)
	ds_write_b32 v12, v10 offset:4
.LBB6626_115:
	s_or_b64 exec, exec, s[4:5]
	s_waitcnt lgkmcnt(0)
	s_barrier
	s_and_saveexec_b64 s[2:3], s[0:1]
	s_cbranch_execz .LBB6626_117
; %bb.116:
	v_add_u32_e32 v7, -1, v0
	v_lshrrev_b32_e32 v10, 5, v7
	v_add_lshl_u32 v7, v10, v7, 2
	ds_read_b32 v7, v7
.LBB6626_117:
	s_or_b64 exec, exec, s[2:3]
	s_and_saveexec_b64 s[2:3], s[0:1]
	s_cbranch_execz .LBB6626_119
; %bb.118:
	s_waitcnt lgkmcnt(0)
	v_add_u32_e32 v6, v7, v2
	v_ashrrev_i32_e32 v7, 31, v6
	v_lshlrev_b64 v[6:7], 2, v[6:7]
	v_mov_b32_e32 v2, s25
	v_add_co_u32_e32 v6, vcc, s24, v6
	v_addc_co_u32_e32 v7, vcc, v2, v7, vcc
	global_load_dword v6, v[6:7], off
	;;#ASMSTART
	;;#ASMEND
	s_waitcnt vmcnt(0)
	v_add_u32_e32 v8, v6, v3
	v_ashrrev_i32_e32 v9, 31, v8
.LBB6626_119:
	s_or_b64 exec, exec, s[2:3]
	v_lshlrev_b64 v[2:3], 2, v[8:9]
	s_waitcnt lgkmcnt(0)
	v_mov_b32_e32 v7, s25
	v_add_co_u32_e32 v2, vcc, s24, v2
	v_addc_co_u32_e32 v3, vcc, v7, v3, vcc
	global_load_dword v7, v[2:3], off
	v_mov_b32_e32 v8, s25
	s_movk_i32 s0, 0x7f
	s_waitcnt vmcnt(0)
	v_add_u32_e32 v2, v7, v4
	v_ashrrev_i32_e32 v3, 31, v2
	v_lshlrev_b64 v[2:3], 2, v[2:3]
	v_add_co_u32_e32 v2, vcc, s24, v2
	v_addc_co_u32_e32 v3, vcc, v8, v3, vcc
	global_load_dword v8, v[2:3], off
	v_mov_b32_e32 v4, s25
	s_waitcnt vmcnt(0)
	v_add_u32_e32 v2, v8, v5
	v_ashrrev_i32_e32 v3, 31, v2
	v_lshlrev_b64 v[2:3], 2, v[2:3]
	v_add_co_u32_e32 v2, vcc, s24, v2
	v_addc_co_u32_e32 v3, vcc, v4, v3, vcc
	global_load_dword v9, v[2:3], off
	s_waitcnt vmcnt(0)
	v_add_u32_e32 v2, v9, v16
	v_ashrrev_i32_e32 v3, 31, v2
	v_lshlrev_b64 v[2:3], 2, v[2:3]
	v_add_co_u32_e32 v2, vcc, s24, v2
	v_addc_co_u32_e32 v3, vcc, v4, v3, vcc
	global_load_dword v10, v[2:3], off
	;; [unrolled: 7-line block ×7, first 2 shown]
	v_cmp_eq_u32_e32 vcc, s0, v0
	s_and_saveexec_b64 s[0:1], vcc
	s_cbranch_execz .LBB6626_121
; %bb.120:
	v_mov_b32_e32 v4, 0
	v_mov_b32_e32 v3, 2
	s_waitcnt vmcnt(0)
	v_mov_b32_e32 v2, v15
	global_store_dwordx2 v4, v[2:3], s[26:27] offset:512
.LBB6626_121:
	s_or_b64 exec, exec, s[0:1]
.LBB6626_122:
	s_add_u32 s0, s20, s6
	s_addc_u32 s1, s21, s7
	s_add_u32 s2, s0, s18
	s_addc_u32 s3, s1, s19
	s_mov_b64 s[0:1], -1
	s_and_b64 vcc, exec, s[16:17]
	s_barrier
	s_cbranch_vccz .LBB6626_124
; %bb.123:
	ds_write2_b64 v1, v[6:7], v[8:9] offset1:1
	ds_write2_b64 v1, v[10:11], v[12:13] offset0:2 offset1:3
	s_waitcnt vmcnt(0)
	ds_write_b64 v1, v[14:15] offset:32
	s_waitcnt lgkmcnt(0)
	s_barrier
	ds_read2st64_b32 v[2:3], v22 offset1:2
	ds_read2st64_b32 v[4:5], v22 offset0:4 offset1:6
	ds_read2st64_b32 v[16:17], v22 offset0:8 offset1:10
	;; [unrolled: 1-line block ×4, first 2 shown]
	v_mov_b32_e32 v25, s3
	v_add_co_u32_e32 v24, vcc, s2, v22
	v_addc_co_u32_e32 v25, vcc, 0, v25, vcc
	s_waitcnt lgkmcnt(4)
	flat_store_dword v[24:25], v2
	flat_store_dword v[24:25], v3 offset:512
	s_waitcnt lgkmcnt(0)
	flat_store_dword v[24:25], v4 offset:1024
	flat_store_dword v[24:25], v5 offset:1536
	;; [unrolled: 1-line block ×6, first 2 shown]
	v_add_co_u32_e32 v2, vcc, 0x1000, v24
	v_addc_co_u32_e32 v3, vcc, 0, v25, vcc
	flat_store_dword v[2:3], v20
	flat_store_dword v[2:3], v21 offset:512
	s_mov_b64 s[0:1], 0
.LBB6626_124:
	s_andn2_b64 vcc, exec, s[0:1]
	s_cbranch_vccnz .LBB6626_180
; %bb.125:
	ds_write2_b64 v1, v[6:7], v[8:9] offset1:1
	ds_write2_b64 v1, v[10:11], v[12:13] offset0:2 offset1:3
	s_waitcnt vmcnt(0)
	ds_write_b64 v1, v[14:15] offset:32
	s_waitcnt lgkmcnt(0)
	s_barrier
	ds_read2st64_b32 v[2:3], v22 offset1:2
	ds_read2st64_b32 v[6:7], v22 offset0:4 offset1:6
	ds_read2st64_b32 v[4:5], v22 offset0:8 offset1:10
	;; [unrolled: 1-line block ×4, first 2 shown]
	v_mov_b32_e32 v13, s3
	v_add_co_u32_e32 v12, vcc, s2, v22
	v_addc_co_u32_e32 v13, vcc, 0, v13, vcc
	v_mov_b32_e32 v1, 0
	v_cmp_gt_u32_e32 vcc, s33, v0
	s_and_saveexec_b64 s[0:1], vcc
	s_cbranch_execz .LBB6626_127
; %bb.126:
	s_waitcnt lgkmcnt(4)
	flat_store_dword v[12:13], v2
.LBB6626_127:
	s_or_b64 exec, exec, s[0:1]
	v_or_b32_e32 v14, 0x80, v0
	v_cmp_gt_u32_e32 vcc, s33, v14
	s_and_saveexec_b64 s[0:1], vcc
	s_cbranch_execz .LBB6626_129
; %bb.128:
	s_waitcnt lgkmcnt(0)
	flat_store_dword v[12:13], v3 offset:512
.LBB6626_129:
	s_or_b64 exec, exec, s[0:1]
	v_or_b32_e32 v14, 0x100, v0
	v_cmp_gt_u32_e32 vcc, s33, v14
	s_and_saveexec_b64 s[0:1], vcc
	s_cbranch_execz .LBB6626_131
; %bb.130:
	s_waitcnt lgkmcnt(0)
	flat_store_dword v[12:13], v6 offset:1024
.LBB6626_131:
	;; [unrolled: 9-line block ×7, first 2 shown]
	s_or_b64 exec, exec, s[0:1]
	v_or_b32_e32 v14, 0x400, v0
	v_cmp_gt_u32_e32 vcc, s33, v14
	s_and_saveexec_b64 s[0:1], vcc
	s_cbranch_execz .LBB6626_143
; %bb.142:
	v_add_co_u32_e32 v14, vcc, 0x1000, v12
	v_addc_co_u32_e32 v15, vcc, 0, v13, vcc
	s_waitcnt lgkmcnt(0)
	flat_store_dword v[14:15], v10
.LBB6626_143:
	s_or_b64 exec, exec, s[0:1]
	v_or_b32_e32 v14, 0x480, v0
	v_cmp_gt_u32_e32 vcc, s33, v14
	s_and_saveexec_b64 s[0:1], vcc
	s_cbranch_execz .LBB6626_145
; %bb.144:
	v_add_co_u32_e32 v12, vcc, 0x1000, v12
	v_addc_co_u32_e32 v13, vcc, 0, v13, vcc
	s_waitcnt lgkmcnt(0)
	flat_store_dword v[12:13], v11 offset:512
.LBB6626_145:
	s_or_b64 exec, exec, s[0:1]
	v_cmp_lt_u64_e64 s[0:1], s[14:15], 2
	s_and_b64 vcc, exec, s[0:1]
	s_cbranch_vccnz .LBB6626_180
; %bb.146:
	s_add_u32 s0, s33, -1
	s_addc_u32 s1, s40, -1
	s_add_u32 s2, 0, 0x99986000
	s_addc_u32 s3, 0, 0x59
	s_add_i32 s3, s3, 0x19999940
	s_mul_hi_u32 s7, s2, -10
	s_sub_i32 s7, s7, s2
	s_mul_i32 s8, s3, -10
	s_mul_i32 s4, s2, -10
	s_add_i32 s7, s7, s8
	s_mul_hi_u32 s5, s3, s4
	s_mul_i32 s6, s3, s4
	s_mul_i32 s9, s2, s7
	s_mul_hi_u32 s4, s2, s4
	s_mul_hi_u32 s8, s2, s7
	s_add_u32 s4, s4, s9
	s_addc_u32 s8, 0, s8
	s_add_u32 s4, s4, s6
	s_mul_hi_u32 s9, s3, s7
	s_addc_u32 s4, s8, s5
	s_addc_u32 s5, s9, 0
	s_mul_i32 s6, s3, s7
	s_add_u32 s4, s4, s6
	v_mov_b32_e32 v12, s4
	s_addc_u32 s5, 0, s5
	v_add_co_u32_e32 v12, vcc, s2, v12
	s_cmp_lg_u64 vcc, 0
	s_addc_u32 s2, s3, s5
	v_readfirstlane_b32 s5, v12
	s_mul_i32 s4, s0, s2
	s_mul_hi_u32 s6, s0, s5
	s_mul_hi_u32 s3, s0, s2
	s_add_u32 s4, s6, s4
	s_addc_u32 s3, 0, s3
	s_mul_hi_u32 s7, s1, s5
	s_mul_i32 s5, s1, s5
	s_add_u32 s4, s4, s5
	s_mul_hi_u32 s6, s1, s2
	s_addc_u32 s3, s3, s7
	s_addc_u32 s4, s6, 0
	s_mul_i32 s2, s1, s2
	s_add_u32 s2, s3, s2
	s_addc_u32 s3, 0, s4
	s_add_u32 s4, s2, 1
	s_addc_u32 s5, s3, 0
	s_add_u32 s6, s2, 2
	s_mul_i32 s8, s3, 10
	s_mul_hi_u32 s9, s2, 10
	s_addc_u32 s7, s3, 0
	s_add_i32 s9, s9, s8
	s_mul_i32 s8, s2, 10
	v_mov_b32_e32 v12, s8
	v_sub_co_u32_e32 v12, vcc, s0, v12
	s_cmp_lg_u64 vcc, 0
	s_subb_u32 s8, s1, s9
	v_subrev_co_u32_e32 v13, vcc, 10, v12
	s_cmp_lg_u64 vcc, 0
	s_subb_u32 s9, s8, 0
	v_readfirstlane_b32 s12, v13
	s_cmp_gt_u32 s12, 9
	s_cselect_b32 s12, -1, 0
	s_cmp_eq_u32 s9, 0
	s_cselect_b32 s9, s12, -1
	s_cmp_lg_u32 s9, 0
	s_cselect_b32 s4, s6, s4
	v_readfirstlane_b32 s6, v12
	s_cselect_b32 s5, s7, s5
	s_cmp_gt_u32 s6, 9
	s_cselect_b32 s6, -1, 0
	s_cmp_eq_u32 s8, 0
	s_cselect_b32 s6, s6, -1
	s_cmp_lg_u32 s6, 0
	s_cselect_b32 s3, s5, s3
	s_cselect_b32 s2, s4, s2
	v_cmp_eq_u64_e32 vcc, s[2:3], v[0:1]
	s_and_saveexec_b64 s[2:3], vcc
	s_cbranch_execz .LBB6626_180
; %bb.147:
	v_mul_hi_u32_u24_e32 v1, 10, v0
	v_mov_b32_e32 v12, s1
	v_sub_co_u32_e32 v0, vcc, s0, v23
	v_subb_co_u32_e32 v1, vcc, v12, v1, vcc
	v_cmp_lt_i64_e32 vcc, 4, v[0:1]
	s_and_saveexec_b64 s[0:1], vcc
	s_xor_b64 s[0:1], exec, s[0:1]
	s_cbranch_execz .LBB6626_165
; %bb.148:
	v_cmp_lt_i64_e32 vcc, 6, v[0:1]
	s_and_saveexec_b64 s[2:3], vcc
	s_xor_b64 s[2:3], exec, s[2:3]
	s_cbranch_execz .LBB6626_158
; %bb.149:
	;; [unrolled: 5-line block ×4, first 2 shown]
	v_mov_b32_e32 v0, 0
	s_waitcnt lgkmcnt(0)
	global_store_dword v0, v11, s[10:11]
                                        ; implicit-def: $vgpr10_vgpr11
.LBB6626_152:
	s_andn2_saveexec_b64 s[6:7], s[6:7]
	s_cbranch_execz .LBB6626_154
; %bb.153:
	v_mov_b32_e32 v0, 0
	s_waitcnt lgkmcnt(0)
	global_store_dword v0, v10, s[10:11]
.LBB6626_154:
	s_or_b64 exec, exec, s[6:7]
                                        ; implicit-def: $vgpr8_vgpr9
.LBB6626_155:
	s_andn2_saveexec_b64 s[4:5], s[4:5]
	s_cbranch_execz .LBB6626_157
; %bb.156:
	v_mov_b32_e32 v0, 0
	s_waitcnt lgkmcnt(0)
	global_store_dword v0, v9, s[10:11]
.LBB6626_157:
	s_or_b64 exec, exec, s[4:5]
                                        ; implicit-def: $vgpr4_vgpr5
                                        ; implicit-def: $vgpr0_vgpr1
                                        ; implicit-def: $vgpr8_vgpr9
.LBB6626_158:
	s_andn2_saveexec_b64 s[2:3], s[2:3]
	s_cbranch_execz .LBB6626_164
; %bb.159:
	v_cmp_lt_i64_e32 vcc, 5, v[0:1]
	s_and_saveexec_b64 s[4:5], vcc
	s_xor_b64 s[4:5], exec, s[4:5]
	s_cbranch_execz .LBB6626_161
; %bb.160:
	v_mov_b32_e32 v0, 0
	s_waitcnt lgkmcnt(0)
	global_store_dword v0, v8, s[10:11]
                                        ; implicit-def: $vgpr4_vgpr5
.LBB6626_161:
	s_andn2_saveexec_b64 s[4:5], s[4:5]
	s_cbranch_execz .LBB6626_163
; %bb.162:
	v_mov_b32_e32 v0, 0
	s_waitcnt lgkmcnt(0)
	global_store_dword v0, v5, s[10:11]
.LBB6626_163:
	s_or_b64 exec, exec, s[4:5]
.LBB6626_164:
	s_or_b64 exec, exec, s[2:3]
                                        ; implicit-def: $vgpr0_vgpr1
                                        ; implicit-def: $vgpr6_vgpr7
                                        ; implicit-def: $vgpr2_vgpr3
                                        ; implicit-def: $vgpr4_vgpr5
.LBB6626_165:
	s_andn2_saveexec_b64 s[0:1], s[0:1]
	s_cbranch_execz .LBB6626_180
; %bb.166:
	v_cmp_lt_i64_e32 vcc, 2, v[0:1]
	s_and_saveexec_b64 s[0:1], vcc
	s_xor_b64 s[0:1], exec, s[0:1]
	s_cbranch_execz .LBB6626_172
; %bb.167:
	v_cmp_lt_i64_e32 vcc, 3, v[0:1]
	s_and_saveexec_b64 s[2:3], vcc
	s_xor_b64 s[2:3], exec, s[2:3]
	s_cbranch_execz .LBB6626_169
; %bb.168:
	v_mov_b32_e32 v0, 0
	s_waitcnt lgkmcnt(0)
	global_store_dword v0, v4, s[10:11]
                                        ; implicit-def: $vgpr6_vgpr7
.LBB6626_169:
	s_andn2_saveexec_b64 s[2:3], s[2:3]
	s_cbranch_execz .LBB6626_171
; %bb.170:
	v_mov_b32_e32 v0, 0
	s_waitcnt lgkmcnt(0)
	global_store_dword v0, v7, s[10:11]
.LBB6626_171:
	s_or_b64 exec, exec, s[2:3]
                                        ; implicit-def: $vgpr0_vgpr1
                                        ; implicit-def: $vgpr6_vgpr7
                                        ; implicit-def: $vgpr2_vgpr3
.LBB6626_172:
	s_andn2_saveexec_b64 s[0:1], s[0:1]
	s_cbranch_execz .LBB6626_180
; %bb.173:
	v_cmp_lt_i64_e32 vcc, 1, v[0:1]
	s_and_saveexec_b64 s[0:1], vcc
	s_xor_b64 s[0:1], exec, s[0:1]
	s_cbranch_execz .LBB6626_175
; %bb.174:
	v_mov_b32_e32 v0, 0
	s_waitcnt lgkmcnt(0)
	global_store_dword v0, v6, s[10:11]
                                        ; implicit-def: $vgpr2_vgpr3
                                        ; implicit-def: $vgpr0_vgpr1
.LBB6626_175:
	s_andn2_saveexec_b64 s[0:1], s[0:1]
	s_cbranch_execz .LBB6626_180
; %bb.176:
	v_cmp_ne_u64_e32 vcc, 1, v[0:1]
	s_and_saveexec_b64 s[0:1], vcc
	s_xor_b64 s[0:1], exec, s[0:1]
	s_cbranch_execz .LBB6626_178
; %bb.177:
	v_mov_b32_e32 v0, 0
	s_waitcnt lgkmcnt(0)
	global_store_dword v0, v2, s[10:11]
                                        ; implicit-def: $vgpr2_vgpr3
.LBB6626_178:
	s_andn2_saveexec_b64 s[0:1], s[0:1]
	s_cbranch_execz .LBB6626_180
; %bb.179:
	v_mov_b32_e32 v0, 0
	s_waitcnt lgkmcnt(0)
	global_store_dword v0, v3, s[10:11]
.LBB6626_180:
	s_endpgm
	.section	.rodata,"a",@progbits
	.p2align	6, 0x0
	.amdhsa_kernel _ZN7rocprim17ROCPRIM_400000_NS6detail17trampoline_kernelINS0_14default_configENS1_20scan_config_selectorIiEEZZNS1_9scan_implILNS1_25lookback_scan_determinismE0ELb0ELb0ES3_N6thrust23THRUST_200600_302600_NS6detail15normal_iteratorINS9_10device_ptrIiEEEESE_i9plus_mod3IiEiEEDaPvRmT3_T4_T5_mT6_P12ihipStream_tbENKUlT_T0_E_clISt17integral_constantIbLb1EESU_EEDaSP_SQ_EUlSP_E_NS1_11comp_targetILNS1_3genE4ELNS1_11target_archE910ELNS1_3gpuE8ELNS1_3repE0EEENS1_30default_config_static_selectorELNS0_4arch9wavefront6targetE1EEEvT1_
		.amdhsa_group_segment_fixed_size 5120
		.amdhsa_private_segment_fixed_size 0
		.amdhsa_kernarg_size 104
		.amdhsa_user_sgpr_count 6
		.amdhsa_user_sgpr_private_segment_buffer 1
		.amdhsa_user_sgpr_dispatch_ptr 0
		.amdhsa_user_sgpr_queue_ptr 0
		.amdhsa_user_sgpr_kernarg_segment_ptr 1
		.amdhsa_user_sgpr_dispatch_id 0
		.amdhsa_user_sgpr_flat_scratch_init 0
		.amdhsa_user_sgpr_kernarg_preload_length 0
		.amdhsa_user_sgpr_kernarg_preload_offset 0
		.amdhsa_user_sgpr_private_segment_size 0
		.amdhsa_uses_dynamic_stack 0
		.amdhsa_system_sgpr_private_segment_wavefront_offset 0
		.amdhsa_system_sgpr_workgroup_id_x 1
		.amdhsa_system_sgpr_workgroup_id_y 0
		.amdhsa_system_sgpr_workgroup_id_z 0
		.amdhsa_system_sgpr_workgroup_info 0
		.amdhsa_system_vgpr_workitem_id 0
		.amdhsa_next_free_vgpr 42
		.amdhsa_next_free_sgpr 44
		.amdhsa_accum_offset 44
		.amdhsa_reserve_vcc 1
		.amdhsa_reserve_flat_scratch 0
		.amdhsa_float_round_mode_32 0
		.amdhsa_float_round_mode_16_64 0
		.amdhsa_float_denorm_mode_32 3
		.amdhsa_float_denorm_mode_16_64 3
		.amdhsa_dx10_clamp 1
		.amdhsa_ieee_mode 1
		.amdhsa_fp16_overflow 0
		.amdhsa_tg_split 0
		.amdhsa_exception_fp_ieee_invalid_op 0
		.amdhsa_exception_fp_denorm_src 0
		.amdhsa_exception_fp_ieee_div_zero 0
		.amdhsa_exception_fp_ieee_overflow 0
		.amdhsa_exception_fp_ieee_underflow 0
		.amdhsa_exception_fp_ieee_inexact 0
		.amdhsa_exception_int_div_zero 0
	.end_amdhsa_kernel
	.section	.text._ZN7rocprim17ROCPRIM_400000_NS6detail17trampoline_kernelINS0_14default_configENS1_20scan_config_selectorIiEEZZNS1_9scan_implILNS1_25lookback_scan_determinismE0ELb0ELb0ES3_N6thrust23THRUST_200600_302600_NS6detail15normal_iteratorINS9_10device_ptrIiEEEESE_i9plus_mod3IiEiEEDaPvRmT3_T4_T5_mT6_P12ihipStream_tbENKUlT_T0_E_clISt17integral_constantIbLb1EESU_EEDaSP_SQ_EUlSP_E_NS1_11comp_targetILNS1_3genE4ELNS1_11target_archE910ELNS1_3gpuE8ELNS1_3repE0EEENS1_30default_config_static_selectorELNS0_4arch9wavefront6targetE1EEEvT1_,"axG",@progbits,_ZN7rocprim17ROCPRIM_400000_NS6detail17trampoline_kernelINS0_14default_configENS1_20scan_config_selectorIiEEZZNS1_9scan_implILNS1_25lookback_scan_determinismE0ELb0ELb0ES3_N6thrust23THRUST_200600_302600_NS6detail15normal_iteratorINS9_10device_ptrIiEEEESE_i9plus_mod3IiEiEEDaPvRmT3_T4_T5_mT6_P12ihipStream_tbENKUlT_T0_E_clISt17integral_constantIbLb1EESU_EEDaSP_SQ_EUlSP_E_NS1_11comp_targetILNS1_3genE4ELNS1_11target_archE910ELNS1_3gpuE8ELNS1_3repE0EEENS1_30default_config_static_selectorELNS0_4arch9wavefront6targetE1EEEvT1_,comdat
.Lfunc_end6626:
	.size	_ZN7rocprim17ROCPRIM_400000_NS6detail17trampoline_kernelINS0_14default_configENS1_20scan_config_selectorIiEEZZNS1_9scan_implILNS1_25lookback_scan_determinismE0ELb0ELb0ES3_N6thrust23THRUST_200600_302600_NS6detail15normal_iteratorINS9_10device_ptrIiEEEESE_i9plus_mod3IiEiEEDaPvRmT3_T4_T5_mT6_P12ihipStream_tbENKUlT_T0_E_clISt17integral_constantIbLb1EESU_EEDaSP_SQ_EUlSP_E_NS1_11comp_targetILNS1_3genE4ELNS1_11target_archE910ELNS1_3gpuE8ELNS1_3repE0EEENS1_30default_config_static_selectorELNS0_4arch9wavefront6targetE1EEEvT1_, .Lfunc_end6626-_ZN7rocprim17ROCPRIM_400000_NS6detail17trampoline_kernelINS0_14default_configENS1_20scan_config_selectorIiEEZZNS1_9scan_implILNS1_25lookback_scan_determinismE0ELb0ELb0ES3_N6thrust23THRUST_200600_302600_NS6detail15normal_iteratorINS9_10device_ptrIiEEEESE_i9plus_mod3IiEiEEDaPvRmT3_T4_T5_mT6_P12ihipStream_tbENKUlT_T0_E_clISt17integral_constantIbLb1EESU_EEDaSP_SQ_EUlSP_E_NS1_11comp_targetILNS1_3genE4ELNS1_11target_archE910ELNS1_3gpuE8ELNS1_3repE0EEENS1_30default_config_static_selectorELNS0_4arch9wavefront6targetE1EEEvT1_
                                        ; -- End function
	.section	.AMDGPU.csdata,"",@progbits
; Kernel info:
; codeLenInByte = 7512
; NumSgprs: 48
; NumVgprs: 42
; NumAgprs: 0
; TotalNumVgprs: 42
; ScratchSize: 0
; MemoryBound: 0
; FloatMode: 240
; IeeeMode: 1
; LDSByteSize: 5120 bytes/workgroup (compile time only)
; SGPRBlocks: 5
; VGPRBlocks: 5
; NumSGPRsForWavesPerEU: 48
; NumVGPRsForWavesPerEU: 42
; AccumOffset: 44
; Occupancy: 6
; WaveLimiterHint : 1
; COMPUTE_PGM_RSRC2:SCRATCH_EN: 0
; COMPUTE_PGM_RSRC2:USER_SGPR: 6
; COMPUTE_PGM_RSRC2:TRAP_HANDLER: 0
; COMPUTE_PGM_RSRC2:TGID_X_EN: 1
; COMPUTE_PGM_RSRC2:TGID_Y_EN: 0
; COMPUTE_PGM_RSRC2:TGID_Z_EN: 0
; COMPUTE_PGM_RSRC2:TIDIG_COMP_CNT: 0
; COMPUTE_PGM_RSRC3_GFX90A:ACCUM_OFFSET: 10
; COMPUTE_PGM_RSRC3_GFX90A:TG_SPLIT: 0
	.section	.text._ZN7rocprim17ROCPRIM_400000_NS6detail17trampoline_kernelINS0_14default_configENS1_20scan_config_selectorIiEEZZNS1_9scan_implILNS1_25lookback_scan_determinismE0ELb0ELb0ES3_N6thrust23THRUST_200600_302600_NS6detail15normal_iteratorINS9_10device_ptrIiEEEESE_i9plus_mod3IiEiEEDaPvRmT3_T4_T5_mT6_P12ihipStream_tbENKUlT_T0_E_clISt17integral_constantIbLb1EESU_EEDaSP_SQ_EUlSP_E_NS1_11comp_targetILNS1_3genE3ELNS1_11target_archE908ELNS1_3gpuE7ELNS1_3repE0EEENS1_30default_config_static_selectorELNS0_4arch9wavefront6targetE1EEEvT1_,"axG",@progbits,_ZN7rocprim17ROCPRIM_400000_NS6detail17trampoline_kernelINS0_14default_configENS1_20scan_config_selectorIiEEZZNS1_9scan_implILNS1_25lookback_scan_determinismE0ELb0ELb0ES3_N6thrust23THRUST_200600_302600_NS6detail15normal_iteratorINS9_10device_ptrIiEEEESE_i9plus_mod3IiEiEEDaPvRmT3_T4_T5_mT6_P12ihipStream_tbENKUlT_T0_E_clISt17integral_constantIbLb1EESU_EEDaSP_SQ_EUlSP_E_NS1_11comp_targetILNS1_3genE3ELNS1_11target_archE908ELNS1_3gpuE7ELNS1_3repE0EEENS1_30default_config_static_selectorELNS0_4arch9wavefront6targetE1EEEvT1_,comdat
	.protected	_ZN7rocprim17ROCPRIM_400000_NS6detail17trampoline_kernelINS0_14default_configENS1_20scan_config_selectorIiEEZZNS1_9scan_implILNS1_25lookback_scan_determinismE0ELb0ELb0ES3_N6thrust23THRUST_200600_302600_NS6detail15normal_iteratorINS9_10device_ptrIiEEEESE_i9plus_mod3IiEiEEDaPvRmT3_T4_T5_mT6_P12ihipStream_tbENKUlT_T0_E_clISt17integral_constantIbLb1EESU_EEDaSP_SQ_EUlSP_E_NS1_11comp_targetILNS1_3genE3ELNS1_11target_archE908ELNS1_3gpuE7ELNS1_3repE0EEENS1_30default_config_static_selectorELNS0_4arch9wavefront6targetE1EEEvT1_ ; -- Begin function _ZN7rocprim17ROCPRIM_400000_NS6detail17trampoline_kernelINS0_14default_configENS1_20scan_config_selectorIiEEZZNS1_9scan_implILNS1_25lookback_scan_determinismE0ELb0ELb0ES3_N6thrust23THRUST_200600_302600_NS6detail15normal_iteratorINS9_10device_ptrIiEEEESE_i9plus_mod3IiEiEEDaPvRmT3_T4_T5_mT6_P12ihipStream_tbENKUlT_T0_E_clISt17integral_constantIbLb1EESU_EEDaSP_SQ_EUlSP_E_NS1_11comp_targetILNS1_3genE3ELNS1_11target_archE908ELNS1_3gpuE7ELNS1_3repE0EEENS1_30default_config_static_selectorELNS0_4arch9wavefront6targetE1EEEvT1_
	.globl	_ZN7rocprim17ROCPRIM_400000_NS6detail17trampoline_kernelINS0_14default_configENS1_20scan_config_selectorIiEEZZNS1_9scan_implILNS1_25lookback_scan_determinismE0ELb0ELb0ES3_N6thrust23THRUST_200600_302600_NS6detail15normal_iteratorINS9_10device_ptrIiEEEESE_i9plus_mod3IiEiEEDaPvRmT3_T4_T5_mT6_P12ihipStream_tbENKUlT_T0_E_clISt17integral_constantIbLb1EESU_EEDaSP_SQ_EUlSP_E_NS1_11comp_targetILNS1_3genE3ELNS1_11target_archE908ELNS1_3gpuE7ELNS1_3repE0EEENS1_30default_config_static_selectorELNS0_4arch9wavefront6targetE1EEEvT1_
	.p2align	8
	.type	_ZN7rocprim17ROCPRIM_400000_NS6detail17trampoline_kernelINS0_14default_configENS1_20scan_config_selectorIiEEZZNS1_9scan_implILNS1_25lookback_scan_determinismE0ELb0ELb0ES3_N6thrust23THRUST_200600_302600_NS6detail15normal_iteratorINS9_10device_ptrIiEEEESE_i9plus_mod3IiEiEEDaPvRmT3_T4_T5_mT6_P12ihipStream_tbENKUlT_T0_E_clISt17integral_constantIbLb1EESU_EEDaSP_SQ_EUlSP_E_NS1_11comp_targetILNS1_3genE3ELNS1_11target_archE908ELNS1_3gpuE7ELNS1_3repE0EEENS1_30default_config_static_selectorELNS0_4arch9wavefront6targetE1EEEvT1_,@function
_ZN7rocprim17ROCPRIM_400000_NS6detail17trampoline_kernelINS0_14default_configENS1_20scan_config_selectorIiEEZZNS1_9scan_implILNS1_25lookback_scan_determinismE0ELb0ELb0ES3_N6thrust23THRUST_200600_302600_NS6detail15normal_iteratorINS9_10device_ptrIiEEEESE_i9plus_mod3IiEiEEDaPvRmT3_T4_T5_mT6_P12ihipStream_tbENKUlT_T0_E_clISt17integral_constantIbLb1EESU_EEDaSP_SQ_EUlSP_E_NS1_11comp_targetILNS1_3genE3ELNS1_11target_archE908ELNS1_3gpuE7ELNS1_3repE0EEENS1_30default_config_static_selectorELNS0_4arch9wavefront6targetE1EEEvT1_: ; @_ZN7rocprim17ROCPRIM_400000_NS6detail17trampoline_kernelINS0_14default_configENS1_20scan_config_selectorIiEEZZNS1_9scan_implILNS1_25lookback_scan_determinismE0ELb0ELb0ES3_N6thrust23THRUST_200600_302600_NS6detail15normal_iteratorINS9_10device_ptrIiEEEESE_i9plus_mod3IiEiEEDaPvRmT3_T4_T5_mT6_P12ihipStream_tbENKUlT_T0_E_clISt17integral_constantIbLb1EESU_EEDaSP_SQ_EUlSP_E_NS1_11comp_targetILNS1_3genE3ELNS1_11target_archE908ELNS1_3gpuE7ELNS1_3repE0EEENS1_30default_config_static_selectorELNS0_4arch9wavefront6targetE1EEEvT1_
; %bb.0:
	.section	.rodata,"a",@progbits
	.p2align	6, 0x0
	.amdhsa_kernel _ZN7rocprim17ROCPRIM_400000_NS6detail17trampoline_kernelINS0_14default_configENS1_20scan_config_selectorIiEEZZNS1_9scan_implILNS1_25lookback_scan_determinismE0ELb0ELb0ES3_N6thrust23THRUST_200600_302600_NS6detail15normal_iteratorINS9_10device_ptrIiEEEESE_i9plus_mod3IiEiEEDaPvRmT3_T4_T5_mT6_P12ihipStream_tbENKUlT_T0_E_clISt17integral_constantIbLb1EESU_EEDaSP_SQ_EUlSP_E_NS1_11comp_targetILNS1_3genE3ELNS1_11target_archE908ELNS1_3gpuE7ELNS1_3repE0EEENS1_30default_config_static_selectorELNS0_4arch9wavefront6targetE1EEEvT1_
		.amdhsa_group_segment_fixed_size 0
		.amdhsa_private_segment_fixed_size 0
		.amdhsa_kernarg_size 104
		.amdhsa_user_sgpr_count 6
		.amdhsa_user_sgpr_private_segment_buffer 1
		.amdhsa_user_sgpr_dispatch_ptr 0
		.amdhsa_user_sgpr_queue_ptr 0
		.amdhsa_user_sgpr_kernarg_segment_ptr 1
		.amdhsa_user_sgpr_dispatch_id 0
		.amdhsa_user_sgpr_flat_scratch_init 0
		.amdhsa_user_sgpr_kernarg_preload_length 0
		.amdhsa_user_sgpr_kernarg_preload_offset 0
		.amdhsa_user_sgpr_private_segment_size 0
		.amdhsa_uses_dynamic_stack 0
		.amdhsa_system_sgpr_private_segment_wavefront_offset 0
		.amdhsa_system_sgpr_workgroup_id_x 1
		.amdhsa_system_sgpr_workgroup_id_y 0
		.amdhsa_system_sgpr_workgroup_id_z 0
		.amdhsa_system_sgpr_workgroup_info 0
		.amdhsa_system_vgpr_workitem_id 0
		.amdhsa_next_free_vgpr 1
		.amdhsa_next_free_sgpr 0
		.amdhsa_accum_offset 4
		.amdhsa_reserve_vcc 0
		.amdhsa_reserve_flat_scratch 0
		.amdhsa_float_round_mode_32 0
		.amdhsa_float_round_mode_16_64 0
		.amdhsa_float_denorm_mode_32 3
		.amdhsa_float_denorm_mode_16_64 3
		.amdhsa_dx10_clamp 1
		.amdhsa_ieee_mode 1
		.amdhsa_fp16_overflow 0
		.amdhsa_tg_split 0
		.amdhsa_exception_fp_ieee_invalid_op 0
		.amdhsa_exception_fp_denorm_src 0
		.amdhsa_exception_fp_ieee_div_zero 0
		.amdhsa_exception_fp_ieee_overflow 0
		.amdhsa_exception_fp_ieee_underflow 0
		.amdhsa_exception_fp_ieee_inexact 0
		.amdhsa_exception_int_div_zero 0
	.end_amdhsa_kernel
	.section	.text._ZN7rocprim17ROCPRIM_400000_NS6detail17trampoline_kernelINS0_14default_configENS1_20scan_config_selectorIiEEZZNS1_9scan_implILNS1_25lookback_scan_determinismE0ELb0ELb0ES3_N6thrust23THRUST_200600_302600_NS6detail15normal_iteratorINS9_10device_ptrIiEEEESE_i9plus_mod3IiEiEEDaPvRmT3_T4_T5_mT6_P12ihipStream_tbENKUlT_T0_E_clISt17integral_constantIbLb1EESU_EEDaSP_SQ_EUlSP_E_NS1_11comp_targetILNS1_3genE3ELNS1_11target_archE908ELNS1_3gpuE7ELNS1_3repE0EEENS1_30default_config_static_selectorELNS0_4arch9wavefront6targetE1EEEvT1_,"axG",@progbits,_ZN7rocprim17ROCPRIM_400000_NS6detail17trampoline_kernelINS0_14default_configENS1_20scan_config_selectorIiEEZZNS1_9scan_implILNS1_25lookback_scan_determinismE0ELb0ELb0ES3_N6thrust23THRUST_200600_302600_NS6detail15normal_iteratorINS9_10device_ptrIiEEEESE_i9plus_mod3IiEiEEDaPvRmT3_T4_T5_mT6_P12ihipStream_tbENKUlT_T0_E_clISt17integral_constantIbLb1EESU_EEDaSP_SQ_EUlSP_E_NS1_11comp_targetILNS1_3genE3ELNS1_11target_archE908ELNS1_3gpuE7ELNS1_3repE0EEENS1_30default_config_static_selectorELNS0_4arch9wavefront6targetE1EEEvT1_,comdat
.Lfunc_end6627:
	.size	_ZN7rocprim17ROCPRIM_400000_NS6detail17trampoline_kernelINS0_14default_configENS1_20scan_config_selectorIiEEZZNS1_9scan_implILNS1_25lookback_scan_determinismE0ELb0ELb0ES3_N6thrust23THRUST_200600_302600_NS6detail15normal_iteratorINS9_10device_ptrIiEEEESE_i9plus_mod3IiEiEEDaPvRmT3_T4_T5_mT6_P12ihipStream_tbENKUlT_T0_E_clISt17integral_constantIbLb1EESU_EEDaSP_SQ_EUlSP_E_NS1_11comp_targetILNS1_3genE3ELNS1_11target_archE908ELNS1_3gpuE7ELNS1_3repE0EEENS1_30default_config_static_selectorELNS0_4arch9wavefront6targetE1EEEvT1_, .Lfunc_end6627-_ZN7rocprim17ROCPRIM_400000_NS6detail17trampoline_kernelINS0_14default_configENS1_20scan_config_selectorIiEEZZNS1_9scan_implILNS1_25lookback_scan_determinismE0ELb0ELb0ES3_N6thrust23THRUST_200600_302600_NS6detail15normal_iteratorINS9_10device_ptrIiEEEESE_i9plus_mod3IiEiEEDaPvRmT3_T4_T5_mT6_P12ihipStream_tbENKUlT_T0_E_clISt17integral_constantIbLb1EESU_EEDaSP_SQ_EUlSP_E_NS1_11comp_targetILNS1_3genE3ELNS1_11target_archE908ELNS1_3gpuE7ELNS1_3repE0EEENS1_30default_config_static_selectorELNS0_4arch9wavefront6targetE1EEEvT1_
                                        ; -- End function
	.section	.AMDGPU.csdata,"",@progbits
; Kernel info:
; codeLenInByte = 0
; NumSgprs: 4
; NumVgprs: 0
; NumAgprs: 0
; TotalNumVgprs: 0
; ScratchSize: 0
; MemoryBound: 0
; FloatMode: 240
; IeeeMode: 1
; LDSByteSize: 0 bytes/workgroup (compile time only)
; SGPRBlocks: 0
; VGPRBlocks: 0
; NumSGPRsForWavesPerEU: 4
; NumVGPRsForWavesPerEU: 1
; AccumOffset: 4
; Occupancy: 8
; WaveLimiterHint : 0
; COMPUTE_PGM_RSRC2:SCRATCH_EN: 0
; COMPUTE_PGM_RSRC2:USER_SGPR: 6
; COMPUTE_PGM_RSRC2:TRAP_HANDLER: 0
; COMPUTE_PGM_RSRC2:TGID_X_EN: 1
; COMPUTE_PGM_RSRC2:TGID_Y_EN: 0
; COMPUTE_PGM_RSRC2:TGID_Z_EN: 0
; COMPUTE_PGM_RSRC2:TIDIG_COMP_CNT: 0
; COMPUTE_PGM_RSRC3_GFX90A:ACCUM_OFFSET: 0
; COMPUTE_PGM_RSRC3_GFX90A:TG_SPLIT: 0
	.section	.text._ZN7rocprim17ROCPRIM_400000_NS6detail17trampoline_kernelINS0_14default_configENS1_20scan_config_selectorIiEEZZNS1_9scan_implILNS1_25lookback_scan_determinismE0ELb0ELb0ES3_N6thrust23THRUST_200600_302600_NS6detail15normal_iteratorINS9_10device_ptrIiEEEESE_i9plus_mod3IiEiEEDaPvRmT3_T4_T5_mT6_P12ihipStream_tbENKUlT_T0_E_clISt17integral_constantIbLb1EESU_EEDaSP_SQ_EUlSP_E_NS1_11comp_targetILNS1_3genE2ELNS1_11target_archE906ELNS1_3gpuE6ELNS1_3repE0EEENS1_30default_config_static_selectorELNS0_4arch9wavefront6targetE1EEEvT1_,"axG",@progbits,_ZN7rocprim17ROCPRIM_400000_NS6detail17trampoline_kernelINS0_14default_configENS1_20scan_config_selectorIiEEZZNS1_9scan_implILNS1_25lookback_scan_determinismE0ELb0ELb0ES3_N6thrust23THRUST_200600_302600_NS6detail15normal_iteratorINS9_10device_ptrIiEEEESE_i9plus_mod3IiEiEEDaPvRmT3_T4_T5_mT6_P12ihipStream_tbENKUlT_T0_E_clISt17integral_constantIbLb1EESU_EEDaSP_SQ_EUlSP_E_NS1_11comp_targetILNS1_3genE2ELNS1_11target_archE906ELNS1_3gpuE6ELNS1_3repE0EEENS1_30default_config_static_selectorELNS0_4arch9wavefront6targetE1EEEvT1_,comdat
	.protected	_ZN7rocprim17ROCPRIM_400000_NS6detail17trampoline_kernelINS0_14default_configENS1_20scan_config_selectorIiEEZZNS1_9scan_implILNS1_25lookback_scan_determinismE0ELb0ELb0ES3_N6thrust23THRUST_200600_302600_NS6detail15normal_iteratorINS9_10device_ptrIiEEEESE_i9plus_mod3IiEiEEDaPvRmT3_T4_T5_mT6_P12ihipStream_tbENKUlT_T0_E_clISt17integral_constantIbLb1EESU_EEDaSP_SQ_EUlSP_E_NS1_11comp_targetILNS1_3genE2ELNS1_11target_archE906ELNS1_3gpuE6ELNS1_3repE0EEENS1_30default_config_static_selectorELNS0_4arch9wavefront6targetE1EEEvT1_ ; -- Begin function _ZN7rocprim17ROCPRIM_400000_NS6detail17trampoline_kernelINS0_14default_configENS1_20scan_config_selectorIiEEZZNS1_9scan_implILNS1_25lookback_scan_determinismE0ELb0ELb0ES3_N6thrust23THRUST_200600_302600_NS6detail15normal_iteratorINS9_10device_ptrIiEEEESE_i9plus_mod3IiEiEEDaPvRmT3_T4_T5_mT6_P12ihipStream_tbENKUlT_T0_E_clISt17integral_constantIbLb1EESU_EEDaSP_SQ_EUlSP_E_NS1_11comp_targetILNS1_3genE2ELNS1_11target_archE906ELNS1_3gpuE6ELNS1_3repE0EEENS1_30default_config_static_selectorELNS0_4arch9wavefront6targetE1EEEvT1_
	.globl	_ZN7rocprim17ROCPRIM_400000_NS6detail17trampoline_kernelINS0_14default_configENS1_20scan_config_selectorIiEEZZNS1_9scan_implILNS1_25lookback_scan_determinismE0ELb0ELb0ES3_N6thrust23THRUST_200600_302600_NS6detail15normal_iteratorINS9_10device_ptrIiEEEESE_i9plus_mod3IiEiEEDaPvRmT3_T4_T5_mT6_P12ihipStream_tbENKUlT_T0_E_clISt17integral_constantIbLb1EESU_EEDaSP_SQ_EUlSP_E_NS1_11comp_targetILNS1_3genE2ELNS1_11target_archE906ELNS1_3gpuE6ELNS1_3repE0EEENS1_30default_config_static_selectorELNS0_4arch9wavefront6targetE1EEEvT1_
	.p2align	8
	.type	_ZN7rocprim17ROCPRIM_400000_NS6detail17trampoline_kernelINS0_14default_configENS1_20scan_config_selectorIiEEZZNS1_9scan_implILNS1_25lookback_scan_determinismE0ELb0ELb0ES3_N6thrust23THRUST_200600_302600_NS6detail15normal_iteratorINS9_10device_ptrIiEEEESE_i9plus_mod3IiEiEEDaPvRmT3_T4_T5_mT6_P12ihipStream_tbENKUlT_T0_E_clISt17integral_constantIbLb1EESU_EEDaSP_SQ_EUlSP_E_NS1_11comp_targetILNS1_3genE2ELNS1_11target_archE906ELNS1_3gpuE6ELNS1_3repE0EEENS1_30default_config_static_selectorELNS0_4arch9wavefront6targetE1EEEvT1_,@function
_ZN7rocprim17ROCPRIM_400000_NS6detail17trampoline_kernelINS0_14default_configENS1_20scan_config_selectorIiEEZZNS1_9scan_implILNS1_25lookback_scan_determinismE0ELb0ELb0ES3_N6thrust23THRUST_200600_302600_NS6detail15normal_iteratorINS9_10device_ptrIiEEEESE_i9plus_mod3IiEiEEDaPvRmT3_T4_T5_mT6_P12ihipStream_tbENKUlT_T0_E_clISt17integral_constantIbLb1EESU_EEDaSP_SQ_EUlSP_E_NS1_11comp_targetILNS1_3genE2ELNS1_11target_archE906ELNS1_3gpuE6ELNS1_3repE0EEENS1_30default_config_static_selectorELNS0_4arch9wavefront6targetE1EEEvT1_: ; @_ZN7rocprim17ROCPRIM_400000_NS6detail17trampoline_kernelINS0_14default_configENS1_20scan_config_selectorIiEEZZNS1_9scan_implILNS1_25lookback_scan_determinismE0ELb0ELb0ES3_N6thrust23THRUST_200600_302600_NS6detail15normal_iteratorINS9_10device_ptrIiEEEESE_i9plus_mod3IiEiEEDaPvRmT3_T4_T5_mT6_P12ihipStream_tbENKUlT_T0_E_clISt17integral_constantIbLb1EESU_EEDaSP_SQ_EUlSP_E_NS1_11comp_targetILNS1_3genE2ELNS1_11target_archE906ELNS1_3gpuE6ELNS1_3repE0EEENS1_30default_config_static_selectorELNS0_4arch9wavefront6targetE1EEEvT1_
; %bb.0:
	.section	.rodata,"a",@progbits
	.p2align	6, 0x0
	.amdhsa_kernel _ZN7rocprim17ROCPRIM_400000_NS6detail17trampoline_kernelINS0_14default_configENS1_20scan_config_selectorIiEEZZNS1_9scan_implILNS1_25lookback_scan_determinismE0ELb0ELb0ES3_N6thrust23THRUST_200600_302600_NS6detail15normal_iteratorINS9_10device_ptrIiEEEESE_i9plus_mod3IiEiEEDaPvRmT3_T4_T5_mT6_P12ihipStream_tbENKUlT_T0_E_clISt17integral_constantIbLb1EESU_EEDaSP_SQ_EUlSP_E_NS1_11comp_targetILNS1_3genE2ELNS1_11target_archE906ELNS1_3gpuE6ELNS1_3repE0EEENS1_30default_config_static_selectorELNS0_4arch9wavefront6targetE1EEEvT1_
		.amdhsa_group_segment_fixed_size 0
		.amdhsa_private_segment_fixed_size 0
		.amdhsa_kernarg_size 104
		.amdhsa_user_sgpr_count 6
		.amdhsa_user_sgpr_private_segment_buffer 1
		.amdhsa_user_sgpr_dispatch_ptr 0
		.amdhsa_user_sgpr_queue_ptr 0
		.amdhsa_user_sgpr_kernarg_segment_ptr 1
		.amdhsa_user_sgpr_dispatch_id 0
		.amdhsa_user_sgpr_flat_scratch_init 0
		.amdhsa_user_sgpr_kernarg_preload_length 0
		.amdhsa_user_sgpr_kernarg_preload_offset 0
		.amdhsa_user_sgpr_private_segment_size 0
		.amdhsa_uses_dynamic_stack 0
		.amdhsa_system_sgpr_private_segment_wavefront_offset 0
		.amdhsa_system_sgpr_workgroup_id_x 1
		.amdhsa_system_sgpr_workgroup_id_y 0
		.amdhsa_system_sgpr_workgroup_id_z 0
		.amdhsa_system_sgpr_workgroup_info 0
		.amdhsa_system_vgpr_workitem_id 0
		.amdhsa_next_free_vgpr 1
		.amdhsa_next_free_sgpr 0
		.amdhsa_accum_offset 4
		.amdhsa_reserve_vcc 0
		.amdhsa_reserve_flat_scratch 0
		.amdhsa_float_round_mode_32 0
		.amdhsa_float_round_mode_16_64 0
		.amdhsa_float_denorm_mode_32 3
		.amdhsa_float_denorm_mode_16_64 3
		.amdhsa_dx10_clamp 1
		.amdhsa_ieee_mode 1
		.amdhsa_fp16_overflow 0
		.amdhsa_tg_split 0
		.amdhsa_exception_fp_ieee_invalid_op 0
		.amdhsa_exception_fp_denorm_src 0
		.amdhsa_exception_fp_ieee_div_zero 0
		.amdhsa_exception_fp_ieee_overflow 0
		.amdhsa_exception_fp_ieee_underflow 0
		.amdhsa_exception_fp_ieee_inexact 0
		.amdhsa_exception_int_div_zero 0
	.end_amdhsa_kernel
	.section	.text._ZN7rocprim17ROCPRIM_400000_NS6detail17trampoline_kernelINS0_14default_configENS1_20scan_config_selectorIiEEZZNS1_9scan_implILNS1_25lookback_scan_determinismE0ELb0ELb0ES3_N6thrust23THRUST_200600_302600_NS6detail15normal_iteratorINS9_10device_ptrIiEEEESE_i9plus_mod3IiEiEEDaPvRmT3_T4_T5_mT6_P12ihipStream_tbENKUlT_T0_E_clISt17integral_constantIbLb1EESU_EEDaSP_SQ_EUlSP_E_NS1_11comp_targetILNS1_3genE2ELNS1_11target_archE906ELNS1_3gpuE6ELNS1_3repE0EEENS1_30default_config_static_selectorELNS0_4arch9wavefront6targetE1EEEvT1_,"axG",@progbits,_ZN7rocprim17ROCPRIM_400000_NS6detail17trampoline_kernelINS0_14default_configENS1_20scan_config_selectorIiEEZZNS1_9scan_implILNS1_25lookback_scan_determinismE0ELb0ELb0ES3_N6thrust23THRUST_200600_302600_NS6detail15normal_iteratorINS9_10device_ptrIiEEEESE_i9plus_mod3IiEiEEDaPvRmT3_T4_T5_mT6_P12ihipStream_tbENKUlT_T0_E_clISt17integral_constantIbLb1EESU_EEDaSP_SQ_EUlSP_E_NS1_11comp_targetILNS1_3genE2ELNS1_11target_archE906ELNS1_3gpuE6ELNS1_3repE0EEENS1_30default_config_static_selectorELNS0_4arch9wavefront6targetE1EEEvT1_,comdat
.Lfunc_end6628:
	.size	_ZN7rocprim17ROCPRIM_400000_NS6detail17trampoline_kernelINS0_14default_configENS1_20scan_config_selectorIiEEZZNS1_9scan_implILNS1_25lookback_scan_determinismE0ELb0ELb0ES3_N6thrust23THRUST_200600_302600_NS6detail15normal_iteratorINS9_10device_ptrIiEEEESE_i9plus_mod3IiEiEEDaPvRmT3_T4_T5_mT6_P12ihipStream_tbENKUlT_T0_E_clISt17integral_constantIbLb1EESU_EEDaSP_SQ_EUlSP_E_NS1_11comp_targetILNS1_3genE2ELNS1_11target_archE906ELNS1_3gpuE6ELNS1_3repE0EEENS1_30default_config_static_selectorELNS0_4arch9wavefront6targetE1EEEvT1_, .Lfunc_end6628-_ZN7rocprim17ROCPRIM_400000_NS6detail17trampoline_kernelINS0_14default_configENS1_20scan_config_selectorIiEEZZNS1_9scan_implILNS1_25lookback_scan_determinismE0ELb0ELb0ES3_N6thrust23THRUST_200600_302600_NS6detail15normal_iteratorINS9_10device_ptrIiEEEESE_i9plus_mod3IiEiEEDaPvRmT3_T4_T5_mT6_P12ihipStream_tbENKUlT_T0_E_clISt17integral_constantIbLb1EESU_EEDaSP_SQ_EUlSP_E_NS1_11comp_targetILNS1_3genE2ELNS1_11target_archE906ELNS1_3gpuE6ELNS1_3repE0EEENS1_30default_config_static_selectorELNS0_4arch9wavefront6targetE1EEEvT1_
                                        ; -- End function
	.section	.AMDGPU.csdata,"",@progbits
; Kernel info:
; codeLenInByte = 0
; NumSgprs: 4
; NumVgprs: 0
; NumAgprs: 0
; TotalNumVgprs: 0
; ScratchSize: 0
; MemoryBound: 0
; FloatMode: 240
; IeeeMode: 1
; LDSByteSize: 0 bytes/workgroup (compile time only)
; SGPRBlocks: 0
; VGPRBlocks: 0
; NumSGPRsForWavesPerEU: 4
; NumVGPRsForWavesPerEU: 1
; AccumOffset: 4
; Occupancy: 8
; WaveLimiterHint : 0
; COMPUTE_PGM_RSRC2:SCRATCH_EN: 0
; COMPUTE_PGM_RSRC2:USER_SGPR: 6
; COMPUTE_PGM_RSRC2:TRAP_HANDLER: 0
; COMPUTE_PGM_RSRC2:TGID_X_EN: 1
; COMPUTE_PGM_RSRC2:TGID_Y_EN: 0
; COMPUTE_PGM_RSRC2:TGID_Z_EN: 0
; COMPUTE_PGM_RSRC2:TIDIG_COMP_CNT: 0
; COMPUTE_PGM_RSRC3_GFX90A:ACCUM_OFFSET: 0
; COMPUTE_PGM_RSRC3_GFX90A:TG_SPLIT: 0
	.section	.text._ZN7rocprim17ROCPRIM_400000_NS6detail17trampoline_kernelINS0_14default_configENS1_20scan_config_selectorIiEEZZNS1_9scan_implILNS1_25lookback_scan_determinismE0ELb0ELb0ES3_N6thrust23THRUST_200600_302600_NS6detail15normal_iteratorINS9_10device_ptrIiEEEESE_i9plus_mod3IiEiEEDaPvRmT3_T4_T5_mT6_P12ihipStream_tbENKUlT_T0_E_clISt17integral_constantIbLb1EESU_EEDaSP_SQ_EUlSP_E_NS1_11comp_targetILNS1_3genE10ELNS1_11target_archE1201ELNS1_3gpuE5ELNS1_3repE0EEENS1_30default_config_static_selectorELNS0_4arch9wavefront6targetE1EEEvT1_,"axG",@progbits,_ZN7rocprim17ROCPRIM_400000_NS6detail17trampoline_kernelINS0_14default_configENS1_20scan_config_selectorIiEEZZNS1_9scan_implILNS1_25lookback_scan_determinismE0ELb0ELb0ES3_N6thrust23THRUST_200600_302600_NS6detail15normal_iteratorINS9_10device_ptrIiEEEESE_i9plus_mod3IiEiEEDaPvRmT3_T4_T5_mT6_P12ihipStream_tbENKUlT_T0_E_clISt17integral_constantIbLb1EESU_EEDaSP_SQ_EUlSP_E_NS1_11comp_targetILNS1_3genE10ELNS1_11target_archE1201ELNS1_3gpuE5ELNS1_3repE0EEENS1_30default_config_static_selectorELNS0_4arch9wavefront6targetE1EEEvT1_,comdat
	.protected	_ZN7rocprim17ROCPRIM_400000_NS6detail17trampoline_kernelINS0_14default_configENS1_20scan_config_selectorIiEEZZNS1_9scan_implILNS1_25lookback_scan_determinismE0ELb0ELb0ES3_N6thrust23THRUST_200600_302600_NS6detail15normal_iteratorINS9_10device_ptrIiEEEESE_i9plus_mod3IiEiEEDaPvRmT3_T4_T5_mT6_P12ihipStream_tbENKUlT_T0_E_clISt17integral_constantIbLb1EESU_EEDaSP_SQ_EUlSP_E_NS1_11comp_targetILNS1_3genE10ELNS1_11target_archE1201ELNS1_3gpuE5ELNS1_3repE0EEENS1_30default_config_static_selectorELNS0_4arch9wavefront6targetE1EEEvT1_ ; -- Begin function _ZN7rocprim17ROCPRIM_400000_NS6detail17trampoline_kernelINS0_14default_configENS1_20scan_config_selectorIiEEZZNS1_9scan_implILNS1_25lookback_scan_determinismE0ELb0ELb0ES3_N6thrust23THRUST_200600_302600_NS6detail15normal_iteratorINS9_10device_ptrIiEEEESE_i9plus_mod3IiEiEEDaPvRmT3_T4_T5_mT6_P12ihipStream_tbENKUlT_T0_E_clISt17integral_constantIbLb1EESU_EEDaSP_SQ_EUlSP_E_NS1_11comp_targetILNS1_3genE10ELNS1_11target_archE1201ELNS1_3gpuE5ELNS1_3repE0EEENS1_30default_config_static_selectorELNS0_4arch9wavefront6targetE1EEEvT1_
	.globl	_ZN7rocprim17ROCPRIM_400000_NS6detail17trampoline_kernelINS0_14default_configENS1_20scan_config_selectorIiEEZZNS1_9scan_implILNS1_25lookback_scan_determinismE0ELb0ELb0ES3_N6thrust23THRUST_200600_302600_NS6detail15normal_iteratorINS9_10device_ptrIiEEEESE_i9plus_mod3IiEiEEDaPvRmT3_T4_T5_mT6_P12ihipStream_tbENKUlT_T0_E_clISt17integral_constantIbLb1EESU_EEDaSP_SQ_EUlSP_E_NS1_11comp_targetILNS1_3genE10ELNS1_11target_archE1201ELNS1_3gpuE5ELNS1_3repE0EEENS1_30default_config_static_selectorELNS0_4arch9wavefront6targetE1EEEvT1_
	.p2align	8
	.type	_ZN7rocprim17ROCPRIM_400000_NS6detail17trampoline_kernelINS0_14default_configENS1_20scan_config_selectorIiEEZZNS1_9scan_implILNS1_25lookback_scan_determinismE0ELb0ELb0ES3_N6thrust23THRUST_200600_302600_NS6detail15normal_iteratorINS9_10device_ptrIiEEEESE_i9plus_mod3IiEiEEDaPvRmT3_T4_T5_mT6_P12ihipStream_tbENKUlT_T0_E_clISt17integral_constantIbLb1EESU_EEDaSP_SQ_EUlSP_E_NS1_11comp_targetILNS1_3genE10ELNS1_11target_archE1201ELNS1_3gpuE5ELNS1_3repE0EEENS1_30default_config_static_selectorELNS0_4arch9wavefront6targetE1EEEvT1_,@function
_ZN7rocprim17ROCPRIM_400000_NS6detail17trampoline_kernelINS0_14default_configENS1_20scan_config_selectorIiEEZZNS1_9scan_implILNS1_25lookback_scan_determinismE0ELb0ELb0ES3_N6thrust23THRUST_200600_302600_NS6detail15normal_iteratorINS9_10device_ptrIiEEEESE_i9plus_mod3IiEiEEDaPvRmT3_T4_T5_mT6_P12ihipStream_tbENKUlT_T0_E_clISt17integral_constantIbLb1EESU_EEDaSP_SQ_EUlSP_E_NS1_11comp_targetILNS1_3genE10ELNS1_11target_archE1201ELNS1_3gpuE5ELNS1_3repE0EEENS1_30default_config_static_selectorELNS0_4arch9wavefront6targetE1EEEvT1_: ; @_ZN7rocprim17ROCPRIM_400000_NS6detail17trampoline_kernelINS0_14default_configENS1_20scan_config_selectorIiEEZZNS1_9scan_implILNS1_25lookback_scan_determinismE0ELb0ELb0ES3_N6thrust23THRUST_200600_302600_NS6detail15normal_iteratorINS9_10device_ptrIiEEEESE_i9plus_mod3IiEiEEDaPvRmT3_T4_T5_mT6_P12ihipStream_tbENKUlT_T0_E_clISt17integral_constantIbLb1EESU_EEDaSP_SQ_EUlSP_E_NS1_11comp_targetILNS1_3genE10ELNS1_11target_archE1201ELNS1_3gpuE5ELNS1_3repE0EEENS1_30default_config_static_selectorELNS0_4arch9wavefront6targetE1EEEvT1_
; %bb.0:
	.section	.rodata,"a",@progbits
	.p2align	6, 0x0
	.amdhsa_kernel _ZN7rocprim17ROCPRIM_400000_NS6detail17trampoline_kernelINS0_14default_configENS1_20scan_config_selectorIiEEZZNS1_9scan_implILNS1_25lookback_scan_determinismE0ELb0ELb0ES3_N6thrust23THRUST_200600_302600_NS6detail15normal_iteratorINS9_10device_ptrIiEEEESE_i9plus_mod3IiEiEEDaPvRmT3_T4_T5_mT6_P12ihipStream_tbENKUlT_T0_E_clISt17integral_constantIbLb1EESU_EEDaSP_SQ_EUlSP_E_NS1_11comp_targetILNS1_3genE10ELNS1_11target_archE1201ELNS1_3gpuE5ELNS1_3repE0EEENS1_30default_config_static_selectorELNS0_4arch9wavefront6targetE1EEEvT1_
		.amdhsa_group_segment_fixed_size 0
		.amdhsa_private_segment_fixed_size 0
		.amdhsa_kernarg_size 104
		.amdhsa_user_sgpr_count 6
		.amdhsa_user_sgpr_private_segment_buffer 1
		.amdhsa_user_sgpr_dispatch_ptr 0
		.amdhsa_user_sgpr_queue_ptr 0
		.amdhsa_user_sgpr_kernarg_segment_ptr 1
		.amdhsa_user_sgpr_dispatch_id 0
		.amdhsa_user_sgpr_flat_scratch_init 0
		.amdhsa_user_sgpr_kernarg_preload_length 0
		.amdhsa_user_sgpr_kernarg_preload_offset 0
		.amdhsa_user_sgpr_private_segment_size 0
		.amdhsa_uses_dynamic_stack 0
		.amdhsa_system_sgpr_private_segment_wavefront_offset 0
		.amdhsa_system_sgpr_workgroup_id_x 1
		.amdhsa_system_sgpr_workgroup_id_y 0
		.amdhsa_system_sgpr_workgroup_id_z 0
		.amdhsa_system_sgpr_workgroup_info 0
		.amdhsa_system_vgpr_workitem_id 0
		.amdhsa_next_free_vgpr 1
		.amdhsa_next_free_sgpr 0
		.amdhsa_accum_offset 4
		.amdhsa_reserve_vcc 0
		.amdhsa_reserve_flat_scratch 0
		.amdhsa_float_round_mode_32 0
		.amdhsa_float_round_mode_16_64 0
		.amdhsa_float_denorm_mode_32 3
		.amdhsa_float_denorm_mode_16_64 3
		.amdhsa_dx10_clamp 1
		.amdhsa_ieee_mode 1
		.amdhsa_fp16_overflow 0
		.amdhsa_tg_split 0
		.amdhsa_exception_fp_ieee_invalid_op 0
		.amdhsa_exception_fp_denorm_src 0
		.amdhsa_exception_fp_ieee_div_zero 0
		.amdhsa_exception_fp_ieee_overflow 0
		.amdhsa_exception_fp_ieee_underflow 0
		.amdhsa_exception_fp_ieee_inexact 0
		.amdhsa_exception_int_div_zero 0
	.end_amdhsa_kernel
	.section	.text._ZN7rocprim17ROCPRIM_400000_NS6detail17trampoline_kernelINS0_14default_configENS1_20scan_config_selectorIiEEZZNS1_9scan_implILNS1_25lookback_scan_determinismE0ELb0ELb0ES3_N6thrust23THRUST_200600_302600_NS6detail15normal_iteratorINS9_10device_ptrIiEEEESE_i9plus_mod3IiEiEEDaPvRmT3_T4_T5_mT6_P12ihipStream_tbENKUlT_T0_E_clISt17integral_constantIbLb1EESU_EEDaSP_SQ_EUlSP_E_NS1_11comp_targetILNS1_3genE10ELNS1_11target_archE1201ELNS1_3gpuE5ELNS1_3repE0EEENS1_30default_config_static_selectorELNS0_4arch9wavefront6targetE1EEEvT1_,"axG",@progbits,_ZN7rocprim17ROCPRIM_400000_NS6detail17trampoline_kernelINS0_14default_configENS1_20scan_config_selectorIiEEZZNS1_9scan_implILNS1_25lookback_scan_determinismE0ELb0ELb0ES3_N6thrust23THRUST_200600_302600_NS6detail15normal_iteratorINS9_10device_ptrIiEEEESE_i9plus_mod3IiEiEEDaPvRmT3_T4_T5_mT6_P12ihipStream_tbENKUlT_T0_E_clISt17integral_constantIbLb1EESU_EEDaSP_SQ_EUlSP_E_NS1_11comp_targetILNS1_3genE10ELNS1_11target_archE1201ELNS1_3gpuE5ELNS1_3repE0EEENS1_30default_config_static_selectorELNS0_4arch9wavefront6targetE1EEEvT1_,comdat
.Lfunc_end6629:
	.size	_ZN7rocprim17ROCPRIM_400000_NS6detail17trampoline_kernelINS0_14default_configENS1_20scan_config_selectorIiEEZZNS1_9scan_implILNS1_25lookback_scan_determinismE0ELb0ELb0ES3_N6thrust23THRUST_200600_302600_NS6detail15normal_iteratorINS9_10device_ptrIiEEEESE_i9plus_mod3IiEiEEDaPvRmT3_T4_T5_mT6_P12ihipStream_tbENKUlT_T0_E_clISt17integral_constantIbLb1EESU_EEDaSP_SQ_EUlSP_E_NS1_11comp_targetILNS1_3genE10ELNS1_11target_archE1201ELNS1_3gpuE5ELNS1_3repE0EEENS1_30default_config_static_selectorELNS0_4arch9wavefront6targetE1EEEvT1_, .Lfunc_end6629-_ZN7rocprim17ROCPRIM_400000_NS6detail17trampoline_kernelINS0_14default_configENS1_20scan_config_selectorIiEEZZNS1_9scan_implILNS1_25lookback_scan_determinismE0ELb0ELb0ES3_N6thrust23THRUST_200600_302600_NS6detail15normal_iteratorINS9_10device_ptrIiEEEESE_i9plus_mod3IiEiEEDaPvRmT3_T4_T5_mT6_P12ihipStream_tbENKUlT_T0_E_clISt17integral_constantIbLb1EESU_EEDaSP_SQ_EUlSP_E_NS1_11comp_targetILNS1_3genE10ELNS1_11target_archE1201ELNS1_3gpuE5ELNS1_3repE0EEENS1_30default_config_static_selectorELNS0_4arch9wavefront6targetE1EEEvT1_
                                        ; -- End function
	.section	.AMDGPU.csdata,"",@progbits
; Kernel info:
; codeLenInByte = 0
; NumSgprs: 4
; NumVgprs: 0
; NumAgprs: 0
; TotalNumVgprs: 0
; ScratchSize: 0
; MemoryBound: 0
; FloatMode: 240
; IeeeMode: 1
; LDSByteSize: 0 bytes/workgroup (compile time only)
; SGPRBlocks: 0
; VGPRBlocks: 0
; NumSGPRsForWavesPerEU: 4
; NumVGPRsForWavesPerEU: 1
; AccumOffset: 4
; Occupancy: 8
; WaveLimiterHint : 0
; COMPUTE_PGM_RSRC2:SCRATCH_EN: 0
; COMPUTE_PGM_RSRC2:USER_SGPR: 6
; COMPUTE_PGM_RSRC2:TRAP_HANDLER: 0
; COMPUTE_PGM_RSRC2:TGID_X_EN: 1
; COMPUTE_PGM_RSRC2:TGID_Y_EN: 0
; COMPUTE_PGM_RSRC2:TGID_Z_EN: 0
; COMPUTE_PGM_RSRC2:TIDIG_COMP_CNT: 0
; COMPUTE_PGM_RSRC3_GFX90A:ACCUM_OFFSET: 0
; COMPUTE_PGM_RSRC3_GFX90A:TG_SPLIT: 0
	.section	.text._ZN7rocprim17ROCPRIM_400000_NS6detail17trampoline_kernelINS0_14default_configENS1_20scan_config_selectorIiEEZZNS1_9scan_implILNS1_25lookback_scan_determinismE0ELb0ELb0ES3_N6thrust23THRUST_200600_302600_NS6detail15normal_iteratorINS9_10device_ptrIiEEEESE_i9plus_mod3IiEiEEDaPvRmT3_T4_T5_mT6_P12ihipStream_tbENKUlT_T0_E_clISt17integral_constantIbLb1EESU_EEDaSP_SQ_EUlSP_E_NS1_11comp_targetILNS1_3genE10ELNS1_11target_archE1200ELNS1_3gpuE4ELNS1_3repE0EEENS1_30default_config_static_selectorELNS0_4arch9wavefront6targetE1EEEvT1_,"axG",@progbits,_ZN7rocprim17ROCPRIM_400000_NS6detail17trampoline_kernelINS0_14default_configENS1_20scan_config_selectorIiEEZZNS1_9scan_implILNS1_25lookback_scan_determinismE0ELb0ELb0ES3_N6thrust23THRUST_200600_302600_NS6detail15normal_iteratorINS9_10device_ptrIiEEEESE_i9plus_mod3IiEiEEDaPvRmT3_T4_T5_mT6_P12ihipStream_tbENKUlT_T0_E_clISt17integral_constantIbLb1EESU_EEDaSP_SQ_EUlSP_E_NS1_11comp_targetILNS1_3genE10ELNS1_11target_archE1200ELNS1_3gpuE4ELNS1_3repE0EEENS1_30default_config_static_selectorELNS0_4arch9wavefront6targetE1EEEvT1_,comdat
	.protected	_ZN7rocprim17ROCPRIM_400000_NS6detail17trampoline_kernelINS0_14default_configENS1_20scan_config_selectorIiEEZZNS1_9scan_implILNS1_25lookback_scan_determinismE0ELb0ELb0ES3_N6thrust23THRUST_200600_302600_NS6detail15normal_iteratorINS9_10device_ptrIiEEEESE_i9plus_mod3IiEiEEDaPvRmT3_T4_T5_mT6_P12ihipStream_tbENKUlT_T0_E_clISt17integral_constantIbLb1EESU_EEDaSP_SQ_EUlSP_E_NS1_11comp_targetILNS1_3genE10ELNS1_11target_archE1200ELNS1_3gpuE4ELNS1_3repE0EEENS1_30default_config_static_selectorELNS0_4arch9wavefront6targetE1EEEvT1_ ; -- Begin function _ZN7rocprim17ROCPRIM_400000_NS6detail17trampoline_kernelINS0_14default_configENS1_20scan_config_selectorIiEEZZNS1_9scan_implILNS1_25lookback_scan_determinismE0ELb0ELb0ES3_N6thrust23THRUST_200600_302600_NS6detail15normal_iteratorINS9_10device_ptrIiEEEESE_i9plus_mod3IiEiEEDaPvRmT3_T4_T5_mT6_P12ihipStream_tbENKUlT_T0_E_clISt17integral_constantIbLb1EESU_EEDaSP_SQ_EUlSP_E_NS1_11comp_targetILNS1_3genE10ELNS1_11target_archE1200ELNS1_3gpuE4ELNS1_3repE0EEENS1_30default_config_static_selectorELNS0_4arch9wavefront6targetE1EEEvT1_
	.globl	_ZN7rocprim17ROCPRIM_400000_NS6detail17trampoline_kernelINS0_14default_configENS1_20scan_config_selectorIiEEZZNS1_9scan_implILNS1_25lookback_scan_determinismE0ELb0ELb0ES3_N6thrust23THRUST_200600_302600_NS6detail15normal_iteratorINS9_10device_ptrIiEEEESE_i9plus_mod3IiEiEEDaPvRmT3_T4_T5_mT6_P12ihipStream_tbENKUlT_T0_E_clISt17integral_constantIbLb1EESU_EEDaSP_SQ_EUlSP_E_NS1_11comp_targetILNS1_3genE10ELNS1_11target_archE1200ELNS1_3gpuE4ELNS1_3repE0EEENS1_30default_config_static_selectorELNS0_4arch9wavefront6targetE1EEEvT1_
	.p2align	8
	.type	_ZN7rocprim17ROCPRIM_400000_NS6detail17trampoline_kernelINS0_14default_configENS1_20scan_config_selectorIiEEZZNS1_9scan_implILNS1_25lookback_scan_determinismE0ELb0ELb0ES3_N6thrust23THRUST_200600_302600_NS6detail15normal_iteratorINS9_10device_ptrIiEEEESE_i9plus_mod3IiEiEEDaPvRmT3_T4_T5_mT6_P12ihipStream_tbENKUlT_T0_E_clISt17integral_constantIbLb1EESU_EEDaSP_SQ_EUlSP_E_NS1_11comp_targetILNS1_3genE10ELNS1_11target_archE1200ELNS1_3gpuE4ELNS1_3repE0EEENS1_30default_config_static_selectorELNS0_4arch9wavefront6targetE1EEEvT1_,@function
_ZN7rocprim17ROCPRIM_400000_NS6detail17trampoline_kernelINS0_14default_configENS1_20scan_config_selectorIiEEZZNS1_9scan_implILNS1_25lookback_scan_determinismE0ELb0ELb0ES3_N6thrust23THRUST_200600_302600_NS6detail15normal_iteratorINS9_10device_ptrIiEEEESE_i9plus_mod3IiEiEEDaPvRmT3_T4_T5_mT6_P12ihipStream_tbENKUlT_T0_E_clISt17integral_constantIbLb1EESU_EEDaSP_SQ_EUlSP_E_NS1_11comp_targetILNS1_3genE10ELNS1_11target_archE1200ELNS1_3gpuE4ELNS1_3repE0EEENS1_30default_config_static_selectorELNS0_4arch9wavefront6targetE1EEEvT1_: ; @_ZN7rocprim17ROCPRIM_400000_NS6detail17trampoline_kernelINS0_14default_configENS1_20scan_config_selectorIiEEZZNS1_9scan_implILNS1_25lookback_scan_determinismE0ELb0ELb0ES3_N6thrust23THRUST_200600_302600_NS6detail15normal_iteratorINS9_10device_ptrIiEEEESE_i9plus_mod3IiEiEEDaPvRmT3_T4_T5_mT6_P12ihipStream_tbENKUlT_T0_E_clISt17integral_constantIbLb1EESU_EEDaSP_SQ_EUlSP_E_NS1_11comp_targetILNS1_3genE10ELNS1_11target_archE1200ELNS1_3gpuE4ELNS1_3repE0EEENS1_30default_config_static_selectorELNS0_4arch9wavefront6targetE1EEEvT1_
; %bb.0:
	.section	.rodata,"a",@progbits
	.p2align	6, 0x0
	.amdhsa_kernel _ZN7rocprim17ROCPRIM_400000_NS6detail17trampoline_kernelINS0_14default_configENS1_20scan_config_selectorIiEEZZNS1_9scan_implILNS1_25lookback_scan_determinismE0ELb0ELb0ES3_N6thrust23THRUST_200600_302600_NS6detail15normal_iteratorINS9_10device_ptrIiEEEESE_i9plus_mod3IiEiEEDaPvRmT3_T4_T5_mT6_P12ihipStream_tbENKUlT_T0_E_clISt17integral_constantIbLb1EESU_EEDaSP_SQ_EUlSP_E_NS1_11comp_targetILNS1_3genE10ELNS1_11target_archE1200ELNS1_3gpuE4ELNS1_3repE0EEENS1_30default_config_static_selectorELNS0_4arch9wavefront6targetE1EEEvT1_
		.amdhsa_group_segment_fixed_size 0
		.amdhsa_private_segment_fixed_size 0
		.amdhsa_kernarg_size 104
		.amdhsa_user_sgpr_count 6
		.amdhsa_user_sgpr_private_segment_buffer 1
		.amdhsa_user_sgpr_dispatch_ptr 0
		.amdhsa_user_sgpr_queue_ptr 0
		.amdhsa_user_sgpr_kernarg_segment_ptr 1
		.amdhsa_user_sgpr_dispatch_id 0
		.amdhsa_user_sgpr_flat_scratch_init 0
		.amdhsa_user_sgpr_kernarg_preload_length 0
		.amdhsa_user_sgpr_kernarg_preload_offset 0
		.amdhsa_user_sgpr_private_segment_size 0
		.amdhsa_uses_dynamic_stack 0
		.amdhsa_system_sgpr_private_segment_wavefront_offset 0
		.amdhsa_system_sgpr_workgroup_id_x 1
		.amdhsa_system_sgpr_workgroup_id_y 0
		.amdhsa_system_sgpr_workgroup_id_z 0
		.amdhsa_system_sgpr_workgroup_info 0
		.amdhsa_system_vgpr_workitem_id 0
		.amdhsa_next_free_vgpr 1
		.amdhsa_next_free_sgpr 0
		.amdhsa_accum_offset 4
		.amdhsa_reserve_vcc 0
		.amdhsa_reserve_flat_scratch 0
		.amdhsa_float_round_mode_32 0
		.amdhsa_float_round_mode_16_64 0
		.amdhsa_float_denorm_mode_32 3
		.amdhsa_float_denorm_mode_16_64 3
		.amdhsa_dx10_clamp 1
		.amdhsa_ieee_mode 1
		.amdhsa_fp16_overflow 0
		.amdhsa_tg_split 0
		.amdhsa_exception_fp_ieee_invalid_op 0
		.amdhsa_exception_fp_denorm_src 0
		.amdhsa_exception_fp_ieee_div_zero 0
		.amdhsa_exception_fp_ieee_overflow 0
		.amdhsa_exception_fp_ieee_underflow 0
		.amdhsa_exception_fp_ieee_inexact 0
		.amdhsa_exception_int_div_zero 0
	.end_amdhsa_kernel
	.section	.text._ZN7rocprim17ROCPRIM_400000_NS6detail17trampoline_kernelINS0_14default_configENS1_20scan_config_selectorIiEEZZNS1_9scan_implILNS1_25lookback_scan_determinismE0ELb0ELb0ES3_N6thrust23THRUST_200600_302600_NS6detail15normal_iteratorINS9_10device_ptrIiEEEESE_i9plus_mod3IiEiEEDaPvRmT3_T4_T5_mT6_P12ihipStream_tbENKUlT_T0_E_clISt17integral_constantIbLb1EESU_EEDaSP_SQ_EUlSP_E_NS1_11comp_targetILNS1_3genE10ELNS1_11target_archE1200ELNS1_3gpuE4ELNS1_3repE0EEENS1_30default_config_static_selectorELNS0_4arch9wavefront6targetE1EEEvT1_,"axG",@progbits,_ZN7rocprim17ROCPRIM_400000_NS6detail17trampoline_kernelINS0_14default_configENS1_20scan_config_selectorIiEEZZNS1_9scan_implILNS1_25lookback_scan_determinismE0ELb0ELb0ES3_N6thrust23THRUST_200600_302600_NS6detail15normal_iteratorINS9_10device_ptrIiEEEESE_i9plus_mod3IiEiEEDaPvRmT3_T4_T5_mT6_P12ihipStream_tbENKUlT_T0_E_clISt17integral_constantIbLb1EESU_EEDaSP_SQ_EUlSP_E_NS1_11comp_targetILNS1_3genE10ELNS1_11target_archE1200ELNS1_3gpuE4ELNS1_3repE0EEENS1_30default_config_static_selectorELNS0_4arch9wavefront6targetE1EEEvT1_,comdat
.Lfunc_end6630:
	.size	_ZN7rocprim17ROCPRIM_400000_NS6detail17trampoline_kernelINS0_14default_configENS1_20scan_config_selectorIiEEZZNS1_9scan_implILNS1_25lookback_scan_determinismE0ELb0ELb0ES3_N6thrust23THRUST_200600_302600_NS6detail15normal_iteratorINS9_10device_ptrIiEEEESE_i9plus_mod3IiEiEEDaPvRmT3_T4_T5_mT6_P12ihipStream_tbENKUlT_T0_E_clISt17integral_constantIbLb1EESU_EEDaSP_SQ_EUlSP_E_NS1_11comp_targetILNS1_3genE10ELNS1_11target_archE1200ELNS1_3gpuE4ELNS1_3repE0EEENS1_30default_config_static_selectorELNS0_4arch9wavefront6targetE1EEEvT1_, .Lfunc_end6630-_ZN7rocprim17ROCPRIM_400000_NS6detail17trampoline_kernelINS0_14default_configENS1_20scan_config_selectorIiEEZZNS1_9scan_implILNS1_25lookback_scan_determinismE0ELb0ELb0ES3_N6thrust23THRUST_200600_302600_NS6detail15normal_iteratorINS9_10device_ptrIiEEEESE_i9plus_mod3IiEiEEDaPvRmT3_T4_T5_mT6_P12ihipStream_tbENKUlT_T0_E_clISt17integral_constantIbLb1EESU_EEDaSP_SQ_EUlSP_E_NS1_11comp_targetILNS1_3genE10ELNS1_11target_archE1200ELNS1_3gpuE4ELNS1_3repE0EEENS1_30default_config_static_selectorELNS0_4arch9wavefront6targetE1EEEvT1_
                                        ; -- End function
	.section	.AMDGPU.csdata,"",@progbits
; Kernel info:
; codeLenInByte = 0
; NumSgprs: 4
; NumVgprs: 0
; NumAgprs: 0
; TotalNumVgprs: 0
; ScratchSize: 0
; MemoryBound: 0
; FloatMode: 240
; IeeeMode: 1
; LDSByteSize: 0 bytes/workgroup (compile time only)
; SGPRBlocks: 0
; VGPRBlocks: 0
; NumSGPRsForWavesPerEU: 4
; NumVGPRsForWavesPerEU: 1
; AccumOffset: 4
; Occupancy: 8
; WaveLimiterHint : 0
; COMPUTE_PGM_RSRC2:SCRATCH_EN: 0
; COMPUTE_PGM_RSRC2:USER_SGPR: 6
; COMPUTE_PGM_RSRC2:TRAP_HANDLER: 0
; COMPUTE_PGM_RSRC2:TGID_X_EN: 1
; COMPUTE_PGM_RSRC2:TGID_Y_EN: 0
; COMPUTE_PGM_RSRC2:TGID_Z_EN: 0
; COMPUTE_PGM_RSRC2:TIDIG_COMP_CNT: 0
; COMPUTE_PGM_RSRC3_GFX90A:ACCUM_OFFSET: 0
; COMPUTE_PGM_RSRC3_GFX90A:TG_SPLIT: 0
	.section	.text._ZN7rocprim17ROCPRIM_400000_NS6detail17trampoline_kernelINS0_14default_configENS1_20scan_config_selectorIiEEZZNS1_9scan_implILNS1_25lookback_scan_determinismE0ELb0ELb0ES3_N6thrust23THRUST_200600_302600_NS6detail15normal_iteratorINS9_10device_ptrIiEEEESE_i9plus_mod3IiEiEEDaPvRmT3_T4_T5_mT6_P12ihipStream_tbENKUlT_T0_E_clISt17integral_constantIbLb1EESU_EEDaSP_SQ_EUlSP_E_NS1_11comp_targetILNS1_3genE9ELNS1_11target_archE1100ELNS1_3gpuE3ELNS1_3repE0EEENS1_30default_config_static_selectorELNS0_4arch9wavefront6targetE1EEEvT1_,"axG",@progbits,_ZN7rocprim17ROCPRIM_400000_NS6detail17trampoline_kernelINS0_14default_configENS1_20scan_config_selectorIiEEZZNS1_9scan_implILNS1_25lookback_scan_determinismE0ELb0ELb0ES3_N6thrust23THRUST_200600_302600_NS6detail15normal_iteratorINS9_10device_ptrIiEEEESE_i9plus_mod3IiEiEEDaPvRmT3_T4_T5_mT6_P12ihipStream_tbENKUlT_T0_E_clISt17integral_constantIbLb1EESU_EEDaSP_SQ_EUlSP_E_NS1_11comp_targetILNS1_3genE9ELNS1_11target_archE1100ELNS1_3gpuE3ELNS1_3repE0EEENS1_30default_config_static_selectorELNS0_4arch9wavefront6targetE1EEEvT1_,comdat
	.protected	_ZN7rocprim17ROCPRIM_400000_NS6detail17trampoline_kernelINS0_14default_configENS1_20scan_config_selectorIiEEZZNS1_9scan_implILNS1_25lookback_scan_determinismE0ELb0ELb0ES3_N6thrust23THRUST_200600_302600_NS6detail15normal_iteratorINS9_10device_ptrIiEEEESE_i9plus_mod3IiEiEEDaPvRmT3_T4_T5_mT6_P12ihipStream_tbENKUlT_T0_E_clISt17integral_constantIbLb1EESU_EEDaSP_SQ_EUlSP_E_NS1_11comp_targetILNS1_3genE9ELNS1_11target_archE1100ELNS1_3gpuE3ELNS1_3repE0EEENS1_30default_config_static_selectorELNS0_4arch9wavefront6targetE1EEEvT1_ ; -- Begin function _ZN7rocprim17ROCPRIM_400000_NS6detail17trampoline_kernelINS0_14default_configENS1_20scan_config_selectorIiEEZZNS1_9scan_implILNS1_25lookback_scan_determinismE0ELb0ELb0ES3_N6thrust23THRUST_200600_302600_NS6detail15normal_iteratorINS9_10device_ptrIiEEEESE_i9plus_mod3IiEiEEDaPvRmT3_T4_T5_mT6_P12ihipStream_tbENKUlT_T0_E_clISt17integral_constantIbLb1EESU_EEDaSP_SQ_EUlSP_E_NS1_11comp_targetILNS1_3genE9ELNS1_11target_archE1100ELNS1_3gpuE3ELNS1_3repE0EEENS1_30default_config_static_selectorELNS0_4arch9wavefront6targetE1EEEvT1_
	.globl	_ZN7rocprim17ROCPRIM_400000_NS6detail17trampoline_kernelINS0_14default_configENS1_20scan_config_selectorIiEEZZNS1_9scan_implILNS1_25lookback_scan_determinismE0ELb0ELb0ES3_N6thrust23THRUST_200600_302600_NS6detail15normal_iteratorINS9_10device_ptrIiEEEESE_i9plus_mod3IiEiEEDaPvRmT3_T4_T5_mT6_P12ihipStream_tbENKUlT_T0_E_clISt17integral_constantIbLb1EESU_EEDaSP_SQ_EUlSP_E_NS1_11comp_targetILNS1_3genE9ELNS1_11target_archE1100ELNS1_3gpuE3ELNS1_3repE0EEENS1_30default_config_static_selectorELNS0_4arch9wavefront6targetE1EEEvT1_
	.p2align	8
	.type	_ZN7rocprim17ROCPRIM_400000_NS6detail17trampoline_kernelINS0_14default_configENS1_20scan_config_selectorIiEEZZNS1_9scan_implILNS1_25lookback_scan_determinismE0ELb0ELb0ES3_N6thrust23THRUST_200600_302600_NS6detail15normal_iteratorINS9_10device_ptrIiEEEESE_i9plus_mod3IiEiEEDaPvRmT3_T4_T5_mT6_P12ihipStream_tbENKUlT_T0_E_clISt17integral_constantIbLb1EESU_EEDaSP_SQ_EUlSP_E_NS1_11comp_targetILNS1_3genE9ELNS1_11target_archE1100ELNS1_3gpuE3ELNS1_3repE0EEENS1_30default_config_static_selectorELNS0_4arch9wavefront6targetE1EEEvT1_,@function
_ZN7rocprim17ROCPRIM_400000_NS6detail17trampoline_kernelINS0_14default_configENS1_20scan_config_selectorIiEEZZNS1_9scan_implILNS1_25lookback_scan_determinismE0ELb0ELb0ES3_N6thrust23THRUST_200600_302600_NS6detail15normal_iteratorINS9_10device_ptrIiEEEESE_i9plus_mod3IiEiEEDaPvRmT3_T4_T5_mT6_P12ihipStream_tbENKUlT_T0_E_clISt17integral_constantIbLb1EESU_EEDaSP_SQ_EUlSP_E_NS1_11comp_targetILNS1_3genE9ELNS1_11target_archE1100ELNS1_3gpuE3ELNS1_3repE0EEENS1_30default_config_static_selectorELNS0_4arch9wavefront6targetE1EEEvT1_: ; @_ZN7rocprim17ROCPRIM_400000_NS6detail17trampoline_kernelINS0_14default_configENS1_20scan_config_selectorIiEEZZNS1_9scan_implILNS1_25lookback_scan_determinismE0ELb0ELb0ES3_N6thrust23THRUST_200600_302600_NS6detail15normal_iteratorINS9_10device_ptrIiEEEESE_i9plus_mod3IiEiEEDaPvRmT3_T4_T5_mT6_P12ihipStream_tbENKUlT_T0_E_clISt17integral_constantIbLb1EESU_EEDaSP_SQ_EUlSP_E_NS1_11comp_targetILNS1_3genE9ELNS1_11target_archE1100ELNS1_3gpuE3ELNS1_3repE0EEENS1_30default_config_static_selectorELNS0_4arch9wavefront6targetE1EEEvT1_
; %bb.0:
	.section	.rodata,"a",@progbits
	.p2align	6, 0x0
	.amdhsa_kernel _ZN7rocprim17ROCPRIM_400000_NS6detail17trampoline_kernelINS0_14default_configENS1_20scan_config_selectorIiEEZZNS1_9scan_implILNS1_25lookback_scan_determinismE0ELb0ELb0ES3_N6thrust23THRUST_200600_302600_NS6detail15normal_iteratorINS9_10device_ptrIiEEEESE_i9plus_mod3IiEiEEDaPvRmT3_T4_T5_mT6_P12ihipStream_tbENKUlT_T0_E_clISt17integral_constantIbLb1EESU_EEDaSP_SQ_EUlSP_E_NS1_11comp_targetILNS1_3genE9ELNS1_11target_archE1100ELNS1_3gpuE3ELNS1_3repE0EEENS1_30default_config_static_selectorELNS0_4arch9wavefront6targetE1EEEvT1_
		.amdhsa_group_segment_fixed_size 0
		.amdhsa_private_segment_fixed_size 0
		.amdhsa_kernarg_size 104
		.amdhsa_user_sgpr_count 6
		.amdhsa_user_sgpr_private_segment_buffer 1
		.amdhsa_user_sgpr_dispatch_ptr 0
		.amdhsa_user_sgpr_queue_ptr 0
		.amdhsa_user_sgpr_kernarg_segment_ptr 1
		.amdhsa_user_sgpr_dispatch_id 0
		.amdhsa_user_sgpr_flat_scratch_init 0
		.amdhsa_user_sgpr_kernarg_preload_length 0
		.amdhsa_user_sgpr_kernarg_preload_offset 0
		.amdhsa_user_sgpr_private_segment_size 0
		.amdhsa_uses_dynamic_stack 0
		.amdhsa_system_sgpr_private_segment_wavefront_offset 0
		.amdhsa_system_sgpr_workgroup_id_x 1
		.amdhsa_system_sgpr_workgroup_id_y 0
		.amdhsa_system_sgpr_workgroup_id_z 0
		.amdhsa_system_sgpr_workgroup_info 0
		.amdhsa_system_vgpr_workitem_id 0
		.amdhsa_next_free_vgpr 1
		.amdhsa_next_free_sgpr 0
		.amdhsa_accum_offset 4
		.amdhsa_reserve_vcc 0
		.amdhsa_reserve_flat_scratch 0
		.amdhsa_float_round_mode_32 0
		.amdhsa_float_round_mode_16_64 0
		.amdhsa_float_denorm_mode_32 3
		.amdhsa_float_denorm_mode_16_64 3
		.amdhsa_dx10_clamp 1
		.amdhsa_ieee_mode 1
		.amdhsa_fp16_overflow 0
		.amdhsa_tg_split 0
		.amdhsa_exception_fp_ieee_invalid_op 0
		.amdhsa_exception_fp_denorm_src 0
		.amdhsa_exception_fp_ieee_div_zero 0
		.amdhsa_exception_fp_ieee_overflow 0
		.amdhsa_exception_fp_ieee_underflow 0
		.amdhsa_exception_fp_ieee_inexact 0
		.amdhsa_exception_int_div_zero 0
	.end_amdhsa_kernel
	.section	.text._ZN7rocprim17ROCPRIM_400000_NS6detail17trampoline_kernelINS0_14default_configENS1_20scan_config_selectorIiEEZZNS1_9scan_implILNS1_25lookback_scan_determinismE0ELb0ELb0ES3_N6thrust23THRUST_200600_302600_NS6detail15normal_iteratorINS9_10device_ptrIiEEEESE_i9plus_mod3IiEiEEDaPvRmT3_T4_T5_mT6_P12ihipStream_tbENKUlT_T0_E_clISt17integral_constantIbLb1EESU_EEDaSP_SQ_EUlSP_E_NS1_11comp_targetILNS1_3genE9ELNS1_11target_archE1100ELNS1_3gpuE3ELNS1_3repE0EEENS1_30default_config_static_selectorELNS0_4arch9wavefront6targetE1EEEvT1_,"axG",@progbits,_ZN7rocprim17ROCPRIM_400000_NS6detail17trampoline_kernelINS0_14default_configENS1_20scan_config_selectorIiEEZZNS1_9scan_implILNS1_25lookback_scan_determinismE0ELb0ELb0ES3_N6thrust23THRUST_200600_302600_NS6detail15normal_iteratorINS9_10device_ptrIiEEEESE_i9plus_mod3IiEiEEDaPvRmT3_T4_T5_mT6_P12ihipStream_tbENKUlT_T0_E_clISt17integral_constantIbLb1EESU_EEDaSP_SQ_EUlSP_E_NS1_11comp_targetILNS1_3genE9ELNS1_11target_archE1100ELNS1_3gpuE3ELNS1_3repE0EEENS1_30default_config_static_selectorELNS0_4arch9wavefront6targetE1EEEvT1_,comdat
.Lfunc_end6631:
	.size	_ZN7rocprim17ROCPRIM_400000_NS6detail17trampoline_kernelINS0_14default_configENS1_20scan_config_selectorIiEEZZNS1_9scan_implILNS1_25lookback_scan_determinismE0ELb0ELb0ES3_N6thrust23THRUST_200600_302600_NS6detail15normal_iteratorINS9_10device_ptrIiEEEESE_i9plus_mod3IiEiEEDaPvRmT3_T4_T5_mT6_P12ihipStream_tbENKUlT_T0_E_clISt17integral_constantIbLb1EESU_EEDaSP_SQ_EUlSP_E_NS1_11comp_targetILNS1_3genE9ELNS1_11target_archE1100ELNS1_3gpuE3ELNS1_3repE0EEENS1_30default_config_static_selectorELNS0_4arch9wavefront6targetE1EEEvT1_, .Lfunc_end6631-_ZN7rocprim17ROCPRIM_400000_NS6detail17trampoline_kernelINS0_14default_configENS1_20scan_config_selectorIiEEZZNS1_9scan_implILNS1_25lookback_scan_determinismE0ELb0ELb0ES3_N6thrust23THRUST_200600_302600_NS6detail15normal_iteratorINS9_10device_ptrIiEEEESE_i9plus_mod3IiEiEEDaPvRmT3_T4_T5_mT6_P12ihipStream_tbENKUlT_T0_E_clISt17integral_constantIbLb1EESU_EEDaSP_SQ_EUlSP_E_NS1_11comp_targetILNS1_3genE9ELNS1_11target_archE1100ELNS1_3gpuE3ELNS1_3repE0EEENS1_30default_config_static_selectorELNS0_4arch9wavefront6targetE1EEEvT1_
                                        ; -- End function
	.section	.AMDGPU.csdata,"",@progbits
; Kernel info:
; codeLenInByte = 0
; NumSgprs: 4
; NumVgprs: 0
; NumAgprs: 0
; TotalNumVgprs: 0
; ScratchSize: 0
; MemoryBound: 0
; FloatMode: 240
; IeeeMode: 1
; LDSByteSize: 0 bytes/workgroup (compile time only)
; SGPRBlocks: 0
; VGPRBlocks: 0
; NumSGPRsForWavesPerEU: 4
; NumVGPRsForWavesPerEU: 1
; AccumOffset: 4
; Occupancy: 8
; WaveLimiterHint : 0
; COMPUTE_PGM_RSRC2:SCRATCH_EN: 0
; COMPUTE_PGM_RSRC2:USER_SGPR: 6
; COMPUTE_PGM_RSRC2:TRAP_HANDLER: 0
; COMPUTE_PGM_RSRC2:TGID_X_EN: 1
; COMPUTE_PGM_RSRC2:TGID_Y_EN: 0
; COMPUTE_PGM_RSRC2:TGID_Z_EN: 0
; COMPUTE_PGM_RSRC2:TIDIG_COMP_CNT: 0
; COMPUTE_PGM_RSRC3_GFX90A:ACCUM_OFFSET: 0
; COMPUTE_PGM_RSRC3_GFX90A:TG_SPLIT: 0
	.section	.text._ZN7rocprim17ROCPRIM_400000_NS6detail17trampoline_kernelINS0_14default_configENS1_20scan_config_selectorIiEEZZNS1_9scan_implILNS1_25lookback_scan_determinismE0ELb0ELb0ES3_N6thrust23THRUST_200600_302600_NS6detail15normal_iteratorINS9_10device_ptrIiEEEESE_i9plus_mod3IiEiEEDaPvRmT3_T4_T5_mT6_P12ihipStream_tbENKUlT_T0_E_clISt17integral_constantIbLb1EESU_EEDaSP_SQ_EUlSP_E_NS1_11comp_targetILNS1_3genE8ELNS1_11target_archE1030ELNS1_3gpuE2ELNS1_3repE0EEENS1_30default_config_static_selectorELNS0_4arch9wavefront6targetE1EEEvT1_,"axG",@progbits,_ZN7rocprim17ROCPRIM_400000_NS6detail17trampoline_kernelINS0_14default_configENS1_20scan_config_selectorIiEEZZNS1_9scan_implILNS1_25lookback_scan_determinismE0ELb0ELb0ES3_N6thrust23THRUST_200600_302600_NS6detail15normal_iteratorINS9_10device_ptrIiEEEESE_i9plus_mod3IiEiEEDaPvRmT3_T4_T5_mT6_P12ihipStream_tbENKUlT_T0_E_clISt17integral_constantIbLb1EESU_EEDaSP_SQ_EUlSP_E_NS1_11comp_targetILNS1_3genE8ELNS1_11target_archE1030ELNS1_3gpuE2ELNS1_3repE0EEENS1_30default_config_static_selectorELNS0_4arch9wavefront6targetE1EEEvT1_,comdat
	.protected	_ZN7rocprim17ROCPRIM_400000_NS6detail17trampoline_kernelINS0_14default_configENS1_20scan_config_selectorIiEEZZNS1_9scan_implILNS1_25lookback_scan_determinismE0ELb0ELb0ES3_N6thrust23THRUST_200600_302600_NS6detail15normal_iteratorINS9_10device_ptrIiEEEESE_i9plus_mod3IiEiEEDaPvRmT3_T4_T5_mT6_P12ihipStream_tbENKUlT_T0_E_clISt17integral_constantIbLb1EESU_EEDaSP_SQ_EUlSP_E_NS1_11comp_targetILNS1_3genE8ELNS1_11target_archE1030ELNS1_3gpuE2ELNS1_3repE0EEENS1_30default_config_static_selectorELNS0_4arch9wavefront6targetE1EEEvT1_ ; -- Begin function _ZN7rocprim17ROCPRIM_400000_NS6detail17trampoline_kernelINS0_14default_configENS1_20scan_config_selectorIiEEZZNS1_9scan_implILNS1_25lookback_scan_determinismE0ELb0ELb0ES3_N6thrust23THRUST_200600_302600_NS6detail15normal_iteratorINS9_10device_ptrIiEEEESE_i9plus_mod3IiEiEEDaPvRmT3_T4_T5_mT6_P12ihipStream_tbENKUlT_T0_E_clISt17integral_constantIbLb1EESU_EEDaSP_SQ_EUlSP_E_NS1_11comp_targetILNS1_3genE8ELNS1_11target_archE1030ELNS1_3gpuE2ELNS1_3repE0EEENS1_30default_config_static_selectorELNS0_4arch9wavefront6targetE1EEEvT1_
	.globl	_ZN7rocprim17ROCPRIM_400000_NS6detail17trampoline_kernelINS0_14default_configENS1_20scan_config_selectorIiEEZZNS1_9scan_implILNS1_25lookback_scan_determinismE0ELb0ELb0ES3_N6thrust23THRUST_200600_302600_NS6detail15normal_iteratorINS9_10device_ptrIiEEEESE_i9plus_mod3IiEiEEDaPvRmT3_T4_T5_mT6_P12ihipStream_tbENKUlT_T0_E_clISt17integral_constantIbLb1EESU_EEDaSP_SQ_EUlSP_E_NS1_11comp_targetILNS1_3genE8ELNS1_11target_archE1030ELNS1_3gpuE2ELNS1_3repE0EEENS1_30default_config_static_selectorELNS0_4arch9wavefront6targetE1EEEvT1_
	.p2align	8
	.type	_ZN7rocprim17ROCPRIM_400000_NS6detail17trampoline_kernelINS0_14default_configENS1_20scan_config_selectorIiEEZZNS1_9scan_implILNS1_25lookback_scan_determinismE0ELb0ELb0ES3_N6thrust23THRUST_200600_302600_NS6detail15normal_iteratorINS9_10device_ptrIiEEEESE_i9plus_mod3IiEiEEDaPvRmT3_T4_T5_mT6_P12ihipStream_tbENKUlT_T0_E_clISt17integral_constantIbLb1EESU_EEDaSP_SQ_EUlSP_E_NS1_11comp_targetILNS1_3genE8ELNS1_11target_archE1030ELNS1_3gpuE2ELNS1_3repE0EEENS1_30default_config_static_selectorELNS0_4arch9wavefront6targetE1EEEvT1_,@function
_ZN7rocprim17ROCPRIM_400000_NS6detail17trampoline_kernelINS0_14default_configENS1_20scan_config_selectorIiEEZZNS1_9scan_implILNS1_25lookback_scan_determinismE0ELb0ELb0ES3_N6thrust23THRUST_200600_302600_NS6detail15normal_iteratorINS9_10device_ptrIiEEEESE_i9plus_mod3IiEiEEDaPvRmT3_T4_T5_mT6_P12ihipStream_tbENKUlT_T0_E_clISt17integral_constantIbLb1EESU_EEDaSP_SQ_EUlSP_E_NS1_11comp_targetILNS1_3genE8ELNS1_11target_archE1030ELNS1_3gpuE2ELNS1_3repE0EEENS1_30default_config_static_selectorELNS0_4arch9wavefront6targetE1EEEvT1_: ; @_ZN7rocprim17ROCPRIM_400000_NS6detail17trampoline_kernelINS0_14default_configENS1_20scan_config_selectorIiEEZZNS1_9scan_implILNS1_25lookback_scan_determinismE0ELb0ELb0ES3_N6thrust23THRUST_200600_302600_NS6detail15normal_iteratorINS9_10device_ptrIiEEEESE_i9plus_mod3IiEiEEDaPvRmT3_T4_T5_mT6_P12ihipStream_tbENKUlT_T0_E_clISt17integral_constantIbLb1EESU_EEDaSP_SQ_EUlSP_E_NS1_11comp_targetILNS1_3genE8ELNS1_11target_archE1030ELNS1_3gpuE2ELNS1_3repE0EEENS1_30default_config_static_selectorELNS0_4arch9wavefront6targetE1EEEvT1_
; %bb.0:
	.section	.rodata,"a",@progbits
	.p2align	6, 0x0
	.amdhsa_kernel _ZN7rocprim17ROCPRIM_400000_NS6detail17trampoline_kernelINS0_14default_configENS1_20scan_config_selectorIiEEZZNS1_9scan_implILNS1_25lookback_scan_determinismE0ELb0ELb0ES3_N6thrust23THRUST_200600_302600_NS6detail15normal_iteratorINS9_10device_ptrIiEEEESE_i9plus_mod3IiEiEEDaPvRmT3_T4_T5_mT6_P12ihipStream_tbENKUlT_T0_E_clISt17integral_constantIbLb1EESU_EEDaSP_SQ_EUlSP_E_NS1_11comp_targetILNS1_3genE8ELNS1_11target_archE1030ELNS1_3gpuE2ELNS1_3repE0EEENS1_30default_config_static_selectorELNS0_4arch9wavefront6targetE1EEEvT1_
		.amdhsa_group_segment_fixed_size 0
		.amdhsa_private_segment_fixed_size 0
		.amdhsa_kernarg_size 104
		.amdhsa_user_sgpr_count 6
		.amdhsa_user_sgpr_private_segment_buffer 1
		.amdhsa_user_sgpr_dispatch_ptr 0
		.amdhsa_user_sgpr_queue_ptr 0
		.amdhsa_user_sgpr_kernarg_segment_ptr 1
		.amdhsa_user_sgpr_dispatch_id 0
		.amdhsa_user_sgpr_flat_scratch_init 0
		.amdhsa_user_sgpr_kernarg_preload_length 0
		.amdhsa_user_sgpr_kernarg_preload_offset 0
		.amdhsa_user_sgpr_private_segment_size 0
		.amdhsa_uses_dynamic_stack 0
		.amdhsa_system_sgpr_private_segment_wavefront_offset 0
		.amdhsa_system_sgpr_workgroup_id_x 1
		.amdhsa_system_sgpr_workgroup_id_y 0
		.amdhsa_system_sgpr_workgroup_id_z 0
		.amdhsa_system_sgpr_workgroup_info 0
		.amdhsa_system_vgpr_workitem_id 0
		.amdhsa_next_free_vgpr 1
		.amdhsa_next_free_sgpr 0
		.amdhsa_accum_offset 4
		.amdhsa_reserve_vcc 0
		.amdhsa_reserve_flat_scratch 0
		.amdhsa_float_round_mode_32 0
		.amdhsa_float_round_mode_16_64 0
		.amdhsa_float_denorm_mode_32 3
		.amdhsa_float_denorm_mode_16_64 3
		.amdhsa_dx10_clamp 1
		.amdhsa_ieee_mode 1
		.amdhsa_fp16_overflow 0
		.amdhsa_tg_split 0
		.amdhsa_exception_fp_ieee_invalid_op 0
		.amdhsa_exception_fp_denorm_src 0
		.amdhsa_exception_fp_ieee_div_zero 0
		.amdhsa_exception_fp_ieee_overflow 0
		.amdhsa_exception_fp_ieee_underflow 0
		.amdhsa_exception_fp_ieee_inexact 0
		.amdhsa_exception_int_div_zero 0
	.end_amdhsa_kernel
	.section	.text._ZN7rocprim17ROCPRIM_400000_NS6detail17trampoline_kernelINS0_14default_configENS1_20scan_config_selectorIiEEZZNS1_9scan_implILNS1_25lookback_scan_determinismE0ELb0ELb0ES3_N6thrust23THRUST_200600_302600_NS6detail15normal_iteratorINS9_10device_ptrIiEEEESE_i9plus_mod3IiEiEEDaPvRmT3_T4_T5_mT6_P12ihipStream_tbENKUlT_T0_E_clISt17integral_constantIbLb1EESU_EEDaSP_SQ_EUlSP_E_NS1_11comp_targetILNS1_3genE8ELNS1_11target_archE1030ELNS1_3gpuE2ELNS1_3repE0EEENS1_30default_config_static_selectorELNS0_4arch9wavefront6targetE1EEEvT1_,"axG",@progbits,_ZN7rocprim17ROCPRIM_400000_NS6detail17trampoline_kernelINS0_14default_configENS1_20scan_config_selectorIiEEZZNS1_9scan_implILNS1_25lookback_scan_determinismE0ELb0ELb0ES3_N6thrust23THRUST_200600_302600_NS6detail15normal_iteratorINS9_10device_ptrIiEEEESE_i9plus_mod3IiEiEEDaPvRmT3_T4_T5_mT6_P12ihipStream_tbENKUlT_T0_E_clISt17integral_constantIbLb1EESU_EEDaSP_SQ_EUlSP_E_NS1_11comp_targetILNS1_3genE8ELNS1_11target_archE1030ELNS1_3gpuE2ELNS1_3repE0EEENS1_30default_config_static_selectorELNS0_4arch9wavefront6targetE1EEEvT1_,comdat
.Lfunc_end6632:
	.size	_ZN7rocprim17ROCPRIM_400000_NS6detail17trampoline_kernelINS0_14default_configENS1_20scan_config_selectorIiEEZZNS1_9scan_implILNS1_25lookback_scan_determinismE0ELb0ELb0ES3_N6thrust23THRUST_200600_302600_NS6detail15normal_iteratorINS9_10device_ptrIiEEEESE_i9plus_mod3IiEiEEDaPvRmT3_T4_T5_mT6_P12ihipStream_tbENKUlT_T0_E_clISt17integral_constantIbLb1EESU_EEDaSP_SQ_EUlSP_E_NS1_11comp_targetILNS1_3genE8ELNS1_11target_archE1030ELNS1_3gpuE2ELNS1_3repE0EEENS1_30default_config_static_selectorELNS0_4arch9wavefront6targetE1EEEvT1_, .Lfunc_end6632-_ZN7rocprim17ROCPRIM_400000_NS6detail17trampoline_kernelINS0_14default_configENS1_20scan_config_selectorIiEEZZNS1_9scan_implILNS1_25lookback_scan_determinismE0ELb0ELb0ES3_N6thrust23THRUST_200600_302600_NS6detail15normal_iteratorINS9_10device_ptrIiEEEESE_i9plus_mod3IiEiEEDaPvRmT3_T4_T5_mT6_P12ihipStream_tbENKUlT_T0_E_clISt17integral_constantIbLb1EESU_EEDaSP_SQ_EUlSP_E_NS1_11comp_targetILNS1_3genE8ELNS1_11target_archE1030ELNS1_3gpuE2ELNS1_3repE0EEENS1_30default_config_static_selectorELNS0_4arch9wavefront6targetE1EEEvT1_
                                        ; -- End function
	.section	.AMDGPU.csdata,"",@progbits
; Kernel info:
; codeLenInByte = 0
; NumSgprs: 4
; NumVgprs: 0
; NumAgprs: 0
; TotalNumVgprs: 0
; ScratchSize: 0
; MemoryBound: 0
; FloatMode: 240
; IeeeMode: 1
; LDSByteSize: 0 bytes/workgroup (compile time only)
; SGPRBlocks: 0
; VGPRBlocks: 0
; NumSGPRsForWavesPerEU: 4
; NumVGPRsForWavesPerEU: 1
; AccumOffset: 4
; Occupancy: 8
; WaveLimiterHint : 0
; COMPUTE_PGM_RSRC2:SCRATCH_EN: 0
; COMPUTE_PGM_RSRC2:USER_SGPR: 6
; COMPUTE_PGM_RSRC2:TRAP_HANDLER: 0
; COMPUTE_PGM_RSRC2:TGID_X_EN: 1
; COMPUTE_PGM_RSRC2:TGID_Y_EN: 0
; COMPUTE_PGM_RSRC2:TGID_Z_EN: 0
; COMPUTE_PGM_RSRC2:TIDIG_COMP_CNT: 0
; COMPUTE_PGM_RSRC3_GFX90A:ACCUM_OFFSET: 0
; COMPUTE_PGM_RSRC3_GFX90A:TG_SPLIT: 0
	.section	.text._ZN7rocprim17ROCPRIM_400000_NS6detail17trampoline_kernelINS0_14default_configENS1_20scan_config_selectorIiEEZZNS1_9scan_implILNS1_25lookback_scan_determinismE0ELb0ELb0ES3_N6thrust23THRUST_200600_302600_NS6detail15normal_iteratorINS9_10device_ptrIiEEEESE_i9plus_mod3IiEiEEDaPvRmT3_T4_T5_mT6_P12ihipStream_tbENKUlT_T0_E_clISt17integral_constantIbLb1EESU_EEDaSP_SQ_EUlSP_E0_NS1_11comp_targetILNS1_3genE0ELNS1_11target_archE4294967295ELNS1_3gpuE0ELNS1_3repE0EEENS1_30default_config_static_selectorELNS0_4arch9wavefront6targetE1EEEvT1_,"axG",@progbits,_ZN7rocprim17ROCPRIM_400000_NS6detail17trampoline_kernelINS0_14default_configENS1_20scan_config_selectorIiEEZZNS1_9scan_implILNS1_25lookback_scan_determinismE0ELb0ELb0ES3_N6thrust23THRUST_200600_302600_NS6detail15normal_iteratorINS9_10device_ptrIiEEEESE_i9plus_mod3IiEiEEDaPvRmT3_T4_T5_mT6_P12ihipStream_tbENKUlT_T0_E_clISt17integral_constantIbLb1EESU_EEDaSP_SQ_EUlSP_E0_NS1_11comp_targetILNS1_3genE0ELNS1_11target_archE4294967295ELNS1_3gpuE0ELNS1_3repE0EEENS1_30default_config_static_selectorELNS0_4arch9wavefront6targetE1EEEvT1_,comdat
	.protected	_ZN7rocprim17ROCPRIM_400000_NS6detail17trampoline_kernelINS0_14default_configENS1_20scan_config_selectorIiEEZZNS1_9scan_implILNS1_25lookback_scan_determinismE0ELb0ELb0ES3_N6thrust23THRUST_200600_302600_NS6detail15normal_iteratorINS9_10device_ptrIiEEEESE_i9plus_mod3IiEiEEDaPvRmT3_T4_T5_mT6_P12ihipStream_tbENKUlT_T0_E_clISt17integral_constantIbLb1EESU_EEDaSP_SQ_EUlSP_E0_NS1_11comp_targetILNS1_3genE0ELNS1_11target_archE4294967295ELNS1_3gpuE0ELNS1_3repE0EEENS1_30default_config_static_selectorELNS0_4arch9wavefront6targetE1EEEvT1_ ; -- Begin function _ZN7rocprim17ROCPRIM_400000_NS6detail17trampoline_kernelINS0_14default_configENS1_20scan_config_selectorIiEEZZNS1_9scan_implILNS1_25lookback_scan_determinismE0ELb0ELb0ES3_N6thrust23THRUST_200600_302600_NS6detail15normal_iteratorINS9_10device_ptrIiEEEESE_i9plus_mod3IiEiEEDaPvRmT3_T4_T5_mT6_P12ihipStream_tbENKUlT_T0_E_clISt17integral_constantIbLb1EESU_EEDaSP_SQ_EUlSP_E0_NS1_11comp_targetILNS1_3genE0ELNS1_11target_archE4294967295ELNS1_3gpuE0ELNS1_3repE0EEENS1_30default_config_static_selectorELNS0_4arch9wavefront6targetE1EEEvT1_
	.globl	_ZN7rocprim17ROCPRIM_400000_NS6detail17trampoline_kernelINS0_14default_configENS1_20scan_config_selectorIiEEZZNS1_9scan_implILNS1_25lookback_scan_determinismE0ELb0ELb0ES3_N6thrust23THRUST_200600_302600_NS6detail15normal_iteratorINS9_10device_ptrIiEEEESE_i9plus_mod3IiEiEEDaPvRmT3_T4_T5_mT6_P12ihipStream_tbENKUlT_T0_E_clISt17integral_constantIbLb1EESU_EEDaSP_SQ_EUlSP_E0_NS1_11comp_targetILNS1_3genE0ELNS1_11target_archE4294967295ELNS1_3gpuE0ELNS1_3repE0EEENS1_30default_config_static_selectorELNS0_4arch9wavefront6targetE1EEEvT1_
	.p2align	8
	.type	_ZN7rocprim17ROCPRIM_400000_NS6detail17trampoline_kernelINS0_14default_configENS1_20scan_config_selectorIiEEZZNS1_9scan_implILNS1_25lookback_scan_determinismE0ELb0ELb0ES3_N6thrust23THRUST_200600_302600_NS6detail15normal_iteratorINS9_10device_ptrIiEEEESE_i9plus_mod3IiEiEEDaPvRmT3_T4_T5_mT6_P12ihipStream_tbENKUlT_T0_E_clISt17integral_constantIbLb1EESU_EEDaSP_SQ_EUlSP_E0_NS1_11comp_targetILNS1_3genE0ELNS1_11target_archE4294967295ELNS1_3gpuE0ELNS1_3repE0EEENS1_30default_config_static_selectorELNS0_4arch9wavefront6targetE1EEEvT1_,@function
_ZN7rocprim17ROCPRIM_400000_NS6detail17trampoline_kernelINS0_14default_configENS1_20scan_config_selectorIiEEZZNS1_9scan_implILNS1_25lookback_scan_determinismE0ELb0ELb0ES3_N6thrust23THRUST_200600_302600_NS6detail15normal_iteratorINS9_10device_ptrIiEEEESE_i9plus_mod3IiEiEEDaPvRmT3_T4_T5_mT6_P12ihipStream_tbENKUlT_T0_E_clISt17integral_constantIbLb1EESU_EEDaSP_SQ_EUlSP_E0_NS1_11comp_targetILNS1_3genE0ELNS1_11target_archE4294967295ELNS1_3gpuE0ELNS1_3repE0EEENS1_30default_config_static_selectorELNS0_4arch9wavefront6targetE1EEEvT1_: ; @_ZN7rocprim17ROCPRIM_400000_NS6detail17trampoline_kernelINS0_14default_configENS1_20scan_config_selectorIiEEZZNS1_9scan_implILNS1_25lookback_scan_determinismE0ELb0ELb0ES3_N6thrust23THRUST_200600_302600_NS6detail15normal_iteratorINS9_10device_ptrIiEEEESE_i9plus_mod3IiEiEEDaPvRmT3_T4_T5_mT6_P12ihipStream_tbENKUlT_T0_E_clISt17integral_constantIbLb1EESU_EEDaSP_SQ_EUlSP_E0_NS1_11comp_targetILNS1_3genE0ELNS1_11target_archE4294967295ELNS1_3gpuE0ELNS1_3repE0EEENS1_30default_config_static_selectorELNS0_4arch9wavefront6targetE1EEEvT1_
; %bb.0:
	.section	.rodata,"a",@progbits
	.p2align	6, 0x0
	.amdhsa_kernel _ZN7rocprim17ROCPRIM_400000_NS6detail17trampoline_kernelINS0_14default_configENS1_20scan_config_selectorIiEEZZNS1_9scan_implILNS1_25lookback_scan_determinismE0ELb0ELb0ES3_N6thrust23THRUST_200600_302600_NS6detail15normal_iteratorINS9_10device_ptrIiEEEESE_i9plus_mod3IiEiEEDaPvRmT3_T4_T5_mT6_P12ihipStream_tbENKUlT_T0_E_clISt17integral_constantIbLb1EESU_EEDaSP_SQ_EUlSP_E0_NS1_11comp_targetILNS1_3genE0ELNS1_11target_archE4294967295ELNS1_3gpuE0ELNS1_3repE0EEENS1_30default_config_static_selectorELNS0_4arch9wavefront6targetE1EEEvT1_
		.amdhsa_group_segment_fixed_size 0
		.amdhsa_private_segment_fixed_size 0
		.amdhsa_kernarg_size 40
		.amdhsa_user_sgpr_count 6
		.amdhsa_user_sgpr_private_segment_buffer 1
		.amdhsa_user_sgpr_dispatch_ptr 0
		.amdhsa_user_sgpr_queue_ptr 0
		.amdhsa_user_sgpr_kernarg_segment_ptr 1
		.amdhsa_user_sgpr_dispatch_id 0
		.amdhsa_user_sgpr_flat_scratch_init 0
		.amdhsa_user_sgpr_kernarg_preload_length 0
		.amdhsa_user_sgpr_kernarg_preload_offset 0
		.amdhsa_user_sgpr_private_segment_size 0
		.amdhsa_uses_dynamic_stack 0
		.amdhsa_system_sgpr_private_segment_wavefront_offset 0
		.amdhsa_system_sgpr_workgroup_id_x 1
		.amdhsa_system_sgpr_workgroup_id_y 0
		.amdhsa_system_sgpr_workgroup_id_z 0
		.amdhsa_system_sgpr_workgroup_info 0
		.amdhsa_system_vgpr_workitem_id 0
		.amdhsa_next_free_vgpr 1
		.amdhsa_next_free_sgpr 0
		.amdhsa_accum_offset 4
		.amdhsa_reserve_vcc 0
		.amdhsa_reserve_flat_scratch 0
		.amdhsa_float_round_mode_32 0
		.amdhsa_float_round_mode_16_64 0
		.amdhsa_float_denorm_mode_32 3
		.amdhsa_float_denorm_mode_16_64 3
		.amdhsa_dx10_clamp 1
		.amdhsa_ieee_mode 1
		.amdhsa_fp16_overflow 0
		.amdhsa_tg_split 0
		.amdhsa_exception_fp_ieee_invalid_op 0
		.amdhsa_exception_fp_denorm_src 0
		.amdhsa_exception_fp_ieee_div_zero 0
		.amdhsa_exception_fp_ieee_overflow 0
		.amdhsa_exception_fp_ieee_underflow 0
		.amdhsa_exception_fp_ieee_inexact 0
		.amdhsa_exception_int_div_zero 0
	.end_amdhsa_kernel
	.section	.text._ZN7rocprim17ROCPRIM_400000_NS6detail17trampoline_kernelINS0_14default_configENS1_20scan_config_selectorIiEEZZNS1_9scan_implILNS1_25lookback_scan_determinismE0ELb0ELb0ES3_N6thrust23THRUST_200600_302600_NS6detail15normal_iteratorINS9_10device_ptrIiEEEESE_i9plus_mod3IiEiEEDaPvRmT3_T4_T5_mT6_P12ihipStream_tbENKUlT_T0_E_clISt17integral_constantIbLb1EESU_EEDaSP_SQ_EUlSP_E0_NS1_11comp_targetILNS1_3genE0ELNS1_11target_archE4294967295ELNS1_3gpuE0ELNS1_3repE0EEENS1_30default_config_static_selectorELNS0_4arch9wavefront6targetE1EEEvT1_,"axG",@progbits,_ZN7rocprim17ROCPRIM_400000_NS6detail17trampoline_kernelINS0_14default_configENS1_20scan_config_selectorIiEEZZNS1_9scan_implILNS1_25lookback_scan_determinismE0ELb0ELb0ES3_N6thrust23THRUST_200600_302600_NS6detail15normal_iteratorINS9_10device_ptrIiEEEESE_i9plus_mod3IiEiEEDaPvRmT3_T4_T5_mT6_P12ihipStream_tbENKUlT_T0_E_clISt17integral_constantIbLb1EESU_EEDaSP_SQ_EUlSP_E0_NS1_11comp_targetILNS1_3genE0ELNS1_11target_archE4294967295ELNS1_3gpuE0ELNS1_3repE0EEENS1_30default_config_static_selectorELNS0_4arch9wavefront6targetE1EEEvT1_,comdat
.Lfunc_end6633:
	.size	_ZN7rocprim17ROCPRIM_400000_NS6detail17trampoline_kernelINS0_14default_configENS1_20scan_config_selectorIiEEZZNS1_9scan_implILNS1_25lookback_scan_determinismE0ELb0ELb0ES3_N6thrust23THRUST_200600_302600_NS6detail15normal_iteratorINS9_10device_ptrIiEEEESE_i9plus_mod3IiEiEEDaPvRmT3_T4_T5_mT6_P12ihipStream_tbENKUlT_T0_E_clISt17integral_constantIbLb1EESU_EEDaSP_SQ_EUlSP_E0_NS1_11comp_targetILNS1_3genE0ELNS1_11target_archE4294967295ELNS1_3gpuE0ELNS1_3repE0EEENS1_30default_config_static_selectorELNS0_4arch9wavefront6targetE1EEEvT1_, .Lfunc_end6633-_ZN7rocprim17ROCPRIM_400000_NS6detail17trampoline_kernelINS0_14default_configENS1_20scan_config_selectorIiEEZZNS1_9scan_implILNS1_25lookback_scan_determinismE0ELb0ELb0ES3_N6thrust23THRUST_200600_302600_NS6detail15normal_iteratorINS9_10device_ptrIiEEEESE_i9plus_mod3IiEiEEDaPvRmT3_T4_T5_mT6_P12ihipStream_tbENKUlT_T0_E_clISt17integral_constantIbLb1EESU_EEDaSP_SQ_EUlSP_E0_NS1_11comp_targetILNS1_3genE0ELNS1_11target_archE4294967295ELNS1_3gpuE0ELNS1_3repE0EEENS1_30default_config_static_selectorELNS0_4arch9wavefront6targetE1EEEvT1_
                                        ; -- End function
	.section	.AMDGPU.csdata,"",@progbits
; Kernel info:
; codeLenInByte = 0
; NumSgprs: 4
; NumVgprs: 0
; NumAgprs: 0
; TotalNumVgprs: 0
; ScratchSize: 0
; MemoryBound: 0
; FloatMode: 240
; IeeeMode: 1
; LDSByteSize: 0 bytes/workgroup (compile time only)
; SGPRBlocks: 0
; VGPRBlocks: 0
; NumSGPRsForWavesPerEU: 4
; NumVGPRsForWavesPerEU: 1
; AccumOffset: 4
; Occupancy: 8
; WaveLimiterHint : 0
; COMPUTE_PGM_RSRC2:SCRATCH_EN: 0
; COMPUTE_PGM_RSRC2:USER_SGPR: 6
; COMPUTE_PGM_RSRC2:TRAP_HANDLER: 0
; COMPUTE_PGM_RSRC2:TGID_X_EN: 1
; COMPUTE_PGM_RSRC2:TGID_Y_EN: 0
; COMPUTE_PGM_RSRC2:TGID_Z_EN: 0
; COMPUTE_PGM_RSRC2:TIDIG_COMP_CNT: 0
; COMPUTE_PGM_RSRC3_GFX90A:ACCUM_OFFSET: 0
; COMPUTE_PGM_RSRC3_GFX90A:TG_SPLIT: 0
	.section	.text._ZN7rocprim17ROCPRIM_400000_NS6detail17trampoline_kernelINS0_14default_configENS1_20scan_config_selectorIiEEZZNS1_9scan_implILNS1_25lookback_scan_determinismE0ELb0ELb0ES3_N6thrust23THRUST_200600_302600_NS6detail15normal_iteratorINS9_10device_ptrIiEEEESE_i9plus_mod3IiEiEEDaPvRmT3_T4_T5_mT6_P12ihipStream_tbENKUlT_T0_E_clISt17integral_constantIbLb1EESU_EEDaSP_SQ_EUlSP_E0_NS1_11comp_targetILNS1_3genE5ELNS1_11target_archE942ELNS1_3gpuE9ELNS1_3repE0EEENS1_30default_config_static_selectorELNS0_4arch9wavefront6targetE1EEEvT1_,"axG",@progbits,_ZN7rocprim17ROCPRIM_400000_NS6detail17trampoline_kernelINS0_14default_configENS1_20scan_config_selectorIiEEZZNS1_9scan_implILNS1_25lookback_scan_determinismE0ELb0ELb0ES3_N6thrust23THRUST_200600_302600_NS6detail15normal_iteratorINS9_10device_ptrIiEEEESE_i9plus_mod3IiEiEEDaPvRmT3_T4_T5_mT6_P12ihipStream_tbENKUlT_T0_E_clISt17integral_constantIbLb1EESU_EEDaSP_SQ_EUlSP_E0_NS1_11comp_targetILNS1_3genE5ELNS1_11target_archE942ELNS1_3gpuE9ELNS1_3repE0EEENS1_30default_config_static_selectorELNS0_4arch9wavefront6targetE1EEEvT1_,comdat
	.protected	_ZN7rocprim17ROCPRIM_400000_NS6detail17trampoline_kernelINS0_14default_configENS1_20scan_config_selectorIiEEZZNS1_9scan_implILNS1_25lookback_scan_determinismE0ELb0ELb0ES3_N6thrust23THRUST_200600_302600_NS6detail15normal_iteratorINS9_10device_ptrIiEEEESE_i9plus_mod3IiEiEEDaPvRmT3_T4_T5_mT6_P12ihipStream_tbENKUlT_T0_E_clISt17integral_constantIbLb1EESU_EEDaSP_SQ_EUlSP_E0_NS1_11comp_targetILNS1_3genE5ELNS1_11target_archE942ELNS1_3gpuE9ELNS1_3repE0EEENS1_30default_config_static_selectorELNS0_4arch9wavefront6targetE1EEEvT1_ ; -- Begin function _ZN7rocprim17ROCPRIM_400000_NS6detail17trampoline_kernelINS0_14default_configENS1_20scan_config_selectorIiEEZZNS1_9scan_implILNS1_25lookback_scan_determinismE0ELb0ELb0ES3_N6thrust23THRUST_200600_302600_NS6detail15normal_iteratorINS9_10device_ptrIiEEEESE_i9plus_mod3IiEiEEDaPvRmT3_T4_T5_mT6_P12ihipStream_tbENKUlT_T0_E_clISt17integral_constantIbLb1EESU_EEDaSP_SQ_EUlSP_E0_NS1_11comp_targetILNS1_3genE5ELNS1_11target_archE942ELNS1_3gpuE9ELNS1_3repE0EEENS1_30default_config_static_selectorELNS0_4arch9wavefront6targetE1EEEvT1_
	.globl	_ZN7rocprim17ROCPRIM_400000_NS6detail17trampoline_kernelINS0_14default_configENS1_20scan_config_selectorIiEEZZNS1_9scan_implILNS1_25lookback_scan_determinismE0ELb0ELb0ES3_N6thrust23THRUST_200600_302600_NS6detail15normal_iteratorINS9_10device_ptrIiEEEESE_i9plus_mod3IiEiEEDaPvRmT3_T4_T5_mT6_P12ihipStream_tbENKUlT_T0_E_clISt17integral_constantIbLb1EESU_EEDaSP_SQ_EUlSP_E0_NS1_11comp_targetILNS1_3genE5ELNS1_11target_archE942ELNS1_3gpuE9ELNS1_3repE0EEENS1_30default_config_static_selectorELNS0_4arch9wavefront6targetE1EEEvT1_
	.p2align	8
	.type	_ZN7rocprim17ROCPRIM_400000_NS6detail17trampoline_kernelINS0_14default_configENS1_20scan_config_selectorIiEEZZNS1_9scan_implILNS1_25lookback_scan_determinismE0ELb0ELb0ES3_N6thrust23THRUST_200600_302600_NS6detail15normal_iteratorINS9_10device_ptrIiEEEESE_i9plus_mod3IiEiEEDaPvRmT3_T4_T5_mT6_P12ihipStream_tbENKUlT_T0_E_clISt17integral_constantIbLb1EESU_EEDaSP_SQ_EUlSP_E0_NS1_11comp_targetILNS1_3genE5ELNS1_11target_archE942ELNS1_3gpuE9ELNS1_3repE0EEENS1_30default_config_static_selectorELNS0_4arch9wavefront6targetE1EEEvT1_,@function
_ZN7rocprim17ROCPRIM_400000_NS6detail17trampoline_kernelINS0_14default_configENS1_20scan_config_selectorIiEEZZNS1_9scan_implILNS1_25lookback_scan_determinismE0ELb0ELb0ES3_N6thrust23THRUST_200600_302600_NS6detail15normal_iteratorINS9_10device_ptrIiEEEESE_i9plus_mod3IiEiEEDaPvRmT3_T4_T5_mT6_P12ihipStream_tbENKUlT_T0_E_clISt17integral_constantIbLb1EESU_EEDaSP_SQ_EUlSP_E0_NS1_11comp_targetILNS1_3genE5ELNS1_11target_archE942ELNS1_3gpuE9ELNS1_3repE0EEENS1_30default_config_static_selectorELNS0_4arch9wavefront6targetE1EEEvT1_: ; @_ZN7rocprim17ROCPRIM_400000_NS6detail17trampoline_kernelINS0_14default_configENS1_20scan_config_selectorIiEEZZNS1_9scan_implILNS1_25lookback_scan_determinismE0ELb0ELb0ES3_N6thrust23THRUST_200600_302600_NS6detail15normal_iteratorINS9_10device_ptrIiEEEESE_i9plus_mod3IiEiEEDaPvRmT3_T4_T5_mT6_P12ihipStream_tbENKUlT_T0_E_clISt17integral_constantIbLb1EESU_EEDaSP_SQ_EUlSP_E0_NS1_11comp_targetILNS1_3genE5ELNS1_11target_archE942ELNS1_3gpuE9ELNS1_3repE0EEENS1_30default_config_static_selectorELNS0_4arch9wavefront6targetE1EEEvT1_
; %bb.0:
	.section	.rodata,"a",@progbits
	.p2align	6, 0x0
	.amdhsa_kernel _ZN7rocprim17ROCPRIM_400000_NS6detail17trampoline_kernelINS0_14default_configENS1_20scan_config_selectorIiEEZZNS1_9scan_implILNS1_25lookback_scan_determinismE0ELb0ELb0ES3_N6thrust23THRUST_200600_302600_NS6detail15normal_iteratorINS9_10device_ptrIiEEEESE_i9plus_mod3IiEiEEDaPvRmT3_T4_T5_mT6_P12ihipStream_tbENKUlT_T0_E_clISt17integral_constantIbLb1EESU_EEDaSP_SQ_EUlSP_E0_NS1_11comp_targetILNS1_3genE5ELNS1_11target_archE942ELNS1_3gpuE9ELNS1_3repE0EEENS1_30default_config_static_selectorELNS0_4arch9wavefront6targetE1EEEvT1_
		.amdhsa_group_segment_fixed_size 0
		.amdhsa_private_segment_fixed_size 0
		.amdhsa_kernarg_size 40
		.amdhsa_user_sgpr_count 6
		.amdhsa_user_sgpr_private_segment_buffer 1
		.amdhsa_user_sgpr_dispatch_ptr 0
		.amdhsa_user_sgpr_queue_ptr 0
		.amdhsa_user_sgpr_kernarg_segment_ptr 1
		.amdhsa_user_sgpr_dispatch_id 0
		.amdhsa_user_sgpr_flat_scratch_init 0
		.amdhsa_user_sgpr_kernarg_preload_length 0
		.amdhsa_user_sgpr_kernarg_preload_offset 0
		.amdhsa_user_sgpr_private_segment_size 0
		.amdhsa_uses_dynamic_stack 0
		.amdhsa_system_sgpr_private_segment_wavefront_offset 0
		.amdhsa_system_sgpr_workgroup_id_x 1
		.amdhsa_system_sgpr_workgroup_id_y 0
		.amdhsa_system_sgpr_workgroup_id_z 0
		.amdhsa_system_sgpr_workgroup_info 0
		.amdhsa_system_vgpr_workitem_id 0
		.amdhsa_next_free_vgpr 1
		.amdhsa_next_free_sgpr 0
		.amdhsa_accum_offset 4
		.amdhsa_reserve_vcc 0
		.amdhsa_reserve_flat_scratch 0
		.amdhsa_float_round_mode_32 0
		.amdhsa_float_round_mode_16_64 0
		.amdhsa_float_denorm_mode_32 3
		.amdhsa_float_denorm_mode_16_64 3
		.amdhsa_dx10_clamp 1
		.amdhsa_ieee_mode 1
		.amdhsa_fp16_overflow 0
		.amdhsa_tg_split 0
		.amdhsa_exception_fp_ieee_invalid_op 0
		.amdhsa_exception_fp_denorm_src 0
		.amdhsa_exception_fp_ieee_div_zero 0
		.amdhsa_exception_fp_ieee_overflow 0
		.amdhsa_exception_fp_ieee_underflow 0
		.amdhsa_exception_fp_ieee_inexact 0
		.amdhsa_exception_int_div_zero 0
	.end_amdhsa_kernel
	.section	.text._ZN7rocprim17ROCPRIM_400000_NS6detail17trampoline_kernelINS0_14default_configENS1_20scan_config_selectorIiEEZZNS1_9scan_implILNS1_25lookback_scan_determinismE0ELb0ELb0ES3_N6thrust23THRUST_200600_302600_NS6detail15normal_iteratorINS9_10device_ptrIiEEEESE_i9plus_mod3IiEiEEDaPvRmT3_T4_T5_mT6_P12ihipStream_tbENKUlT_T0_E_clISt17integral_constantIbLb1EESU_EEDaSP_SQ_EUlSP_E0_NS1_11comp_targetILNS1_3genE5ELNS1_11target_archE942ELNS1_3gpuE9ELNS1_3repE0EEENS1_30default_config_static_selectorELNS0_4arch9wavefront6targetE1EEEvT1_,"axG",@progbits,_ZN7rocprim17ROCPRIM_400000_NS6detail17trampoline_kernelINS0_14default_configENS1_20scan_config_selectorIiEEZZNS1_9scan_implILNS1_25lookback_scan_determinismE0ELb0ELb0ES3_N6thrust23THRUST_200600_302600_NS6detail15normal_iteratorINS9_10device_ptrIiEEEESE_i9plus_mod3IiEiEEDaPvRmT3_T4_T5_mT6_P12ihipStream_tbENKUlT_T0_E_clISt17integral_constantIbLb1EESU_EEDaSP_SQ_EUlSP_E0_NS1_11comp_targetILNS1_3genE5ELNS1_11target_archE942ELNS1_3gpuE9ELNS1_3repE0EEENS1_30default_config_static_selectorELNS0_4arch9wavefront6targetE1EEEvT1_,comdat
.Lfunc_end6634:
	.size	_ZN7rocprim17ROCPRIM_400000_NS6detail17trampoline_kernelINS0_14default_configENS1_20scan_config_selectorIiEEZZNS1_9scan_implILNS1_25lookback_scan_determinismE0ELb0ELb0ES3_N6thrust23THRUST_200600_302600_NS6detail15normal_iteratorINS9_10device_ptrIiEEEESE_i9plus_mod3IiEiEEDaPvRmT3_T4_T5_mT6_P12ihipStream_tbENKUlT_T0_E_clISt17integral_constantIbLb1EESU_EEDaSP_SQ_EUlSP_E0_NS1_11comp_targetILNS1_3genE5ELNS1_11target_archE942ELNS1_3gpuE9ELNS1_3repE0EEENS1_30default_config_static_selectorELNS0_4arch9wavefront6targetE1EEEvT1_, .Lfunc_end6634-_ZN7rocprim17ROCPRIM_400000_NS6detail17trampoline_kernelINS0_14default_configENS1_20scan_config_selectorIiEEZZNS1_9scan_implILNS1_25lookback_scan_determinismE0ELb0ELb0ES3_N6thrust23THRUST_200600_302600_NS6detail15normal_iteratorINS9_10device_ptrIiEEEESE_i9plus_mod3IiEiEEDaPvRmT3_T4_T5_mT6_P12ihipStream_tbENKUlT_T0_E_clISt17integral_constantIbLb1EESU_EEDaSP_SQ_EUlSP_E0_NS1_11comp_targetILNS1_3genE5ELNS1_11target_archE942ELNS1_3gpuE9ELNS1_3repE0EEENS1_30default_config_static_selectorELNS0_4arch9wavefront6targetE1EEEvT1_
                                        ; -- End function
	.section	.AMDGPU.csdata,"",@progbits
; Kernel info:
; codeLenInByte = 0
; NumSgprs: 4
; NumVgprs: 0
; NumAgprs: 0
; TotalNumVgprs: 0
; ScratchSize: 0
; MemoryBound: 0
; FloatMode: 240
; IeeeMode: 1
; LDSByteSize: 0 bytes/workgroup (compile time only)
; SGPRBlocks: 0
; VGPRBlocks: 0
; NumSGPRsForWavesPerEU: 4
; NumVGPRsForWavesPerEU: 1
; AccumOffset: 4
; Occupancy: 8
; WaveLimiterHint : 0
; COMPUTE_PGM_RSRC2:SCRATCH_EN: 0
; COMPUTE_PGM_RSRC2:USER_SGPR: 6
; COMPUTE_PGM_RSRC2:TRAP_HANDLER: 0
; COMPUTE_PGM_RSRC2:TGID_X_EN: 1
; COMPUTE_PGM_RSRC2:TGID_Y_EN: 0
; COMPUTE_PGM_RSRC2:TGID_Z_EN: 0
; COMPUTE_PGM_RSRC2:TIDIG_COMP_CNT: 0
; COMPUTE_PGM_RSRC3_GFX90A:ACCUM_OFFSET: 0
; COMPUTE_PGM_RSRC3_GFX90A:TG_SPLIT: 0
	.section	.text._ZN7rocprim17ROCPRIM_400000_NS6detail17trampoline_kernelINS0_14default_configENS1_20scan_config_selectorIiEEZZNS1_9scan_implILNS1_25lookback_scan_determinismE0ELb0ELb0ES3_N6thrust23THRUST_200600_302600_NS6detail15normal_iteratorINS9_10device_ptrIiEEEESE_i9plus_mod3IiEiEEDaPvRmT3_T4_T5_mT6_P12ihipStream_tbENKUlT_T0_E_clISt17integral_constantIbLb1EESU_EEDaSP_SQ_EUlSP_E0_NS1_11comp_targetILNS1_3genE4ELNS1_11target_archE910ELNS1_3gpuE8ELNS1_3repE0EEENS1_30default_config_static_selectorELNS0_4arch9wavefront6targetE1EEEvT1_,"axG",@progbits,_ZN7rocprim17ROCPRIM_400000_NS6detail17trampoline_kernelINS0_14default_configENS1_20scan_config_selectorIiEEZZNS1_9scan_implILNS1_25lookback_scan_determinismE0ELb0ELb0ES3_N6thrust23THRUST_200600_302600_NS6detail15normal_iteratorINS9_10device_ptrIiEEEESE_i9plus_mod3IiEiEEDaPvRmT3_T4_T5_mT6_P12ihipStream_tbENKUlT_T0_E_clISt17integral_constantIbLb1EESU_EEDaSP_SQ_EUlSP_E0_NS1_11comp_targetILNS1_3genE4ELNS1_11target_archE910ELNS1_3gpuE8ELNS1_3repE0EEENS1_30default_config_static_selectorELNS0_4arch9wavefront6targetE1EEEvT1_,comdat
	.protected	_ZN7rocprim17ROCPRIM_400000_NS6detail17trampoline_kernelINS0_14default_configENS1_20scan_config_selectorIiEEZZNS1_9scan_implILNS1_25lookback_scan_determinismE0ELb0ELb0ES3_N6thrust23THRUST_200600_302600_NS6detail15normal_iteratorINS9_10device_ptrIiEEEESE_i9plus_mod3IiEiEEDaPvRmT3_T4_T5_mT6_P12ihipStream_tbENKUlT_T0_E_clISt17integral_constantIbLb1EESU_EEDaSP_SQ_EUlSP_E0_NS1_11comp_targetILNS1_3genE4ELNS1_11target_archE910ELNS1_3gpuE8ELNS1_3repE0EEENS1_30default_config_static_selectorELNS0_4arch9wavefront6targetE1EEEvT1_ ; -- Begin function _ZN7rocprim17ROCPRIM_400000_NS6detail17trampoline_kernelINS0_14default_configENS1_20scan_config_selectorIiEEZZNS1_9scan_implILNS1_25lookback_scan_determinismE0ELb0ELb0ES3_N6thrust23THRUST_200600_302600_NS6detail15normal_iteratorINS9_10device_ptrIiEEEESE_i9plus_mod3IiEiEEDaPvRmT3_T4_T5_mT6_P12ihipStream_tbENKUlT_T0_E_clISt17integral_constantIbLb1EESU_EEDaSP_SQ_EUlSP_E0_NS1_11comp_targetILNS1_3genE4ELNS1_11target_archE910ELNS1_3gpuE8ELNS1_3repE0EEENS1_30default_config_static_selectorELNS0_4arch9wavefront6targetE1EEEvT1_
	.globl	_ZN7rocprim17ROCPRIM_400000_NS6detail17trampoline_kernelINS0_14default_configENS1_20scan_config_selectorIiEEZZNS1_9scan_implILNS1_25lookback_scan_determinismE0ELb0ELb0ES3_N6thrust23THRUST_200600_302600_NS6detail15normal_iteratorINS9_10device_ptrIiEEEESE_i9plus_mod3IiEiEEDaPvRmT3_T4_T5_mT6_P12ihipStream_tbENKUlT_T0_E_clISt17integral_constantIbLb1EESU_EEDaSP_SQ_EUlSP_E0_NS1_11comp_targetILNS1_3genE4ELNS1_11target_archE910ELNS1_3gpuE8ELNS1_3repE0EEENS1_30default_config_static_selectorELNS0_4arch9wavefront6targetE1EEEvT1_
	.p2align	8
	.type	_ZN7rocprim17ROCPRIM_400000_NS6detail17trampoline_kernelINS0_14default_configENS1_20scan_config_selectorIiEEZZNS1_9scan_implILNS1_25lookback_scan_determinismE0ELb0ELb0ES3_N6thrust23THRUST_200600_302600_NS6detail15normal_iteratorINS9_10device_ptrIiEEEESE_i9plus_mod3IiEiEEDaPvRmT3_T4_T5_mT6_P12ihipStream_tbENKUlT_T0_E_clISt17integral_constantIbLb1EESU_EEDaSP_SQ_EUlSP_E0_NS1_11comp_targetILNS1_3genE4ELNS1_11target_archE910ELNS1_3gpuE8ELNS1_3repE0EEENS1_30default_config_static_selectorELNS0_4arch9wavefront6targetE1EEEvT1_,@function
_ZN7rocprim17ROCPRIM_400000_NS6detail17trampoline_kernelINS0_14default_configENS1_20scan_config_selectorIiEEZZNS1_9scan_implILNS1_25lookback_scan_determinismE0ELb0ELb0ES3_N6thrust23THRUST_200600_302600_NS6detail15normal_iteratorINS9_10device_ptrIiEEEESE_i9plus_mod3IiEiEEDaPvRmT3_T4_T5_mT6_P12ihipStream_tbENKUlT_T0_E_clISt17integral_constantIbLb1EESU_EEDaSP_SQ_EUlSP_E0_NS1_11comp_targetILNS1_3genE4ELNS1_11target_archE910ELNS1_3gpuE8ELNS1_3repE0EEENS1_30default_config_static_selectorELNS0_4arch9wavefront6targetE1EEEvT1_: ; @_ZN7rocprim17ROCPRIM_400000_NS6detail17trampoline_kernelINS0_14default_configENS1_20scan_config_selectorIiEEZZNS1_9scan_implILNS1_25lookback_scan_determinismE0ELb0ELb0ES3_N6thrust23THRUST_200600_302600_NS6detail15normal_iteratorINS9_10device_ptrIiEEEESE_i9plus_mod3IiEiEEDaPvRmT3_T4_T5_mT6_P12ihipStream_tbENKUlT_T0_E_clISt17integral_constantIbLb1EESU_EEDaSP_SQ_EUlSP_E0_NS1_11comp_targetILNS1_3genE4ELNS1_11target_archE910ELNS1_3gpuE8ELNS1_3repE0EEENS1_30default_config_static_selectorELNS0_4arch9wavefront6targetE1EEEvT1_
; %bb.0:
	s_load_dwordx4 s[24:27], s[4:5], 0x0
	v_lshlrev_b32_e32 v16, 2, v0
	s_waitcnt lgkmcnt(0)
	s_load_dword s27, s[24:25], 0x0
	v_cmp_gt_u32_e32 vcc, s26, v0
	s_waitcnt lgkmcnt(0)
	v_mov_b32_e32 v1, s27
	s_and_saveexec_b64 s[0:1], vcc
	s_cbranch_execz .LBB6635_2
; %bb.1:
	global_load_dword v1, v16, s[24:25]
.LBB6635_2:
	s_or_b64 exec, exec, s[0:1]
	v_or_b32_e32 v2, 0x80, v0
	v_cmp_gt_u32_e64 s[0:1], s26, v2
	v_mov_b32_e32 v2, s27
	s_and_saveexec_b64 s[2:3], s[0:1]
	s_cbranch_execz .LBB6635_4
; %bb.3:
	global_load_dword v2, v16, s[24:25] offset:512
.LBB6635_4:
	s_or_b64 exec, exec, s[2:3]
	v_or_b32_e32 v3, 0x100, v0
	v_cmp_gt_u32_e64 s[2:3], s26, v3
	v_mov_b32_e32 v3, s27
	s_and_saveexec_b64 s[6:7], s[2:3]
	s_cbranch_execz .LBB6635_6
; %bb.5:
	global_load_dword v3, v16, s[24:25] offset:1024
.LBB6635_6:
	;; [unrolled: 9-line block ×7, first 2 shown]
	s_or_b64 exec, exec, s[14:15]
	v_or_b32_e32 v10, 0x400, v0
	v_cmp_gt_u32_e64 s[14:15], s26, v10
	v_mov_b32_e32 v9, s27
	s_and_saveexec_b64 s[16:17], s[14:15]
	s_cbranch_execz .LBB6635_18
; %bb.17:
	v_lshlrev_b32_e32 v9, 2, v10
	global_load_dword v9, v9, s[24:25]
.LBB6635_18:
	s_or_b64 exec, exec, s[16:17]
	s_load_dwordx4 s[20:23], s[4:5], 0x18
	v_or_b32_e32 v11, 0x480, v0
	v_cmp_gt_u32_e64 s[16:17], s26, v11
	v_mov_b32_e32 v10, s27
	s_and_saveexec_b64 s[4:5], s[16:17]
	s_cbranch_execz .LBB6635_20
; %bb.19:
	v_lshlrev_b32_e32 v10, 2, v11
	global_load_dword v10, v10, s[24:25]
.LBB6635_20:
	s_or_b64 exec, exec, s[4:5]
	s_waitcnt vmcnt(0)
	ds_write2st64_b32 v16, v1, v2 offset1:2
	ds_write2st64_b32 v16, v3, v4 offset0:4 offset1:6
	ds_write2st64_b32 v16, v5, v6 offset0:8 offset1:10
	;; [unrolled: 1-line block ×4, first 2 shown]
	v_mad_u32_u24 v1, v0, 36, v16
	s_waitcnt lgkmcnt(0)
	s_barrier
	ds_read2_b64 v[2:5], v1 offset1:1
	ds_read2_b64 v[6:9], v1 offset0:2 offset1:3
	ds_read_b64 v[10:11], v1 offset:32
	v_mov_b32_e32 v1, s21
	s_waitcnt lgkmcnt(0)
	v_add_u32_e32 v12, v3, v2
	v_ashrrev_i32_e32 v13, 31, v12
	v_lshlrev_b64 v[14:15], 2, v[12:13]
	v_add_co_u32_e64 v14, s[4:5], s20, v14
	v_addc_co_u32_e64 v15, s[4:5], v1, v15, s[4:5]
	s_barrier
	global_load_dword v1, v[14:15], off
	v_mov_b32_e32 v17, s21
	s_waitcnt vmcnt(0)
	v_add_u32_e32 v14, v1, v4
	v_ashrrev_i32_e32 v15, 31, v14
	v_lshlrev_b64 v[14:15], 2, v[14:15]
	v_add_co_u32_e64 v14, s[4:5], s20, v14
	v_addc_co_u32_e64 v15, s[4:5], v17, v15, s[4:5]
	global_load_dword v1, v[14:15], off
	s_waitcnt vmcnt(0)
	v_add_u32_e32 v14, v1, v5
	v_ashrrev_i32_e32 v15, 31, v14
	v_lshlrev_b64 v[14:15], 2, v[14:15]
	v_add_co_u32_e64 v14, s[4:5], s20, v14
	v_addc_co_u32_e64 v15, s[4:5], v17, v15, s[4:5]
	global_load_dword v1, v[14:15], off
	;; [unrolled: 7-line block ×8, first 2 shown]
	v_lshrrev_b32_e32 v14, 3, v0
	v_and_b32_e32 v14, 12, v14
	v_add_u32_e32 v14, v16, v14
	v_cmp_gt_u32_e64 s[4:5], 64, v0
	s_waitcnt vmcnt(0)
	ds_write_b32 v14, v1
	s_waitcnt lgkmcnt(0)
	s_barrier
	s_and_saveexec_b64 s[24:25], s[4:5]
	s_cbranch_execz .LBB6635_34
; %bb.21:
	v_lshlrev_b32_e32 v14, 1, v0
	v_lshrrev_b32_e32 v15, 4, v0
	v_add_lshl_u32 v17, v15, v14, 2
	ds_read2_b32 v[14:15], v17 offset1:1
	v_mov_b32_e32 v20, s21
	s_waitcnt lgkmcnt(0)
	v_add_u32_e32 v18, v15, v14
	v_ashrrev_i32_e32 v19, 31, v18
	v_lshlrev_b64 v[18:19], 2, v[18:19]
	v_add_co_u32_e64 v18, s[4:5], s20, v18
	v_addc_co_u32_e64 v19, s[4:5], v20, v19, s[4:5]
	global_load_dword v18, v[18:19], off
	v_mbcnt_lo_u32_b32 v15, -1, 0
	v_mbcnt_hi_u32_b32 v15, -1, v15
	v_and_b32_e32 v19, 15, v15
	v_cmp_ne_u32_e64 s[4:5], 0, v19
	s_waitcnt vmcnt(0)
	v_mov_b32_dpp v20, v18 row_shr:1 row_mask:0xf bank_mask:0xf
	s_and_saveexec_b64 s[26:27], s[4:5]
	s_cbranch_execz .LBB6635_23
; %bb.22:
	v_add_u32_e32 v20, v20, v18
	v_ashrrev_i32_e32 v21, 31, v20
	v_lshlrev_b64 v[20:21], 2, v[20:21]
	v_mov_b32_e32 v18, s21
	v_add_co_u32_e64 v20, s[4:5], s20, v20
	v_addc_co_u32_e64 v21, s[4:5], v18, v21, s[4:5]
	global_load_dword v18, v[20:21], off
.LBB6635_23:
	s_or_b64 exec, exec, s[26:27]
	s_waitcnt vmcnt(0)
	v_mov_b32_dpp v20, v18 row_shr:2 row_mask:0xf bank_mask:0xf
	v_cmp_lt_u32_e64 s[4:5], 1, v19
	s_and_saveexec_b64 s[26:27], s[4:5]
	s_cbranch_execz .LBB6635_25
; %bb.24:
	v_add_u32_e32 v20, v20, v18
	v_ashrrev_i32_e32 v21, 31, v20
	v_lshlrev_b64 v[20:21], 2, v[20:21]
	v_mov_b32_e32 v18, s21
	v_add_co_u32_e64 v20, s[4:5], s20, v20
	v_addc_co_u32_e64 v21, s[4:5], v18, v21, s[4:5]
	global_load_dword v18, v[20:21], off
.LBB6635_25:
	s_or_b64 exec, exec, s[26:27]
	s_waitcnt vmcnt(0)
	v_mov_b32_dpp v20, v18 row_shr:4 row_mask:0xf bank_mask:0xf
	v_cmp_lt_u32_e64 s[4:5], 3, v19
	;; [unrolled: 15-line block ×3, first 2 shown]
	s_and_saveexec_b64 s[26:27], s[4:5]
	s_cbranch_execz .LBB6635_29
; %bb.28:
	v_add_u32_e32 v18, v20, v18
	v_ashrrev_i32_e32 v19, 31, v18
	v_lshlrev_b64 v[18:19], 2, v[18:19]
	v_mov_b32_e32 v20, s21
	v_add_co_u32_e64 v18, s[4:5], s20, v18
	v_addc_co_u32_e64 v19, s[4:5], v20, v19, s[4:5]
	global_load_dword v18, v[18:19], off
.LBB6635_29:
	s_or_b64 exec, exec, s[26:27]
	v_and_b32_e32 v20, 16, v15
	s_waitcnt vmcnt(0)
	v_mov_b32_dpp v19, v18 row_bcast:15 row_mask:0xf bank_mask:0xf
	v_cmp_ne_u32_e64 s[4:5], 0, v20
	s_and_saveexec_b64 s[26:27], s[4:5]
	s_cbranch_execz .LBB6635_31
; %bb.30:
	v_add_u32_e32 v18, v19, v18
	v_ashrrev_i32_e32 v19, 31, v18
	v_lshlrev_b64 v[18:19], 2, v[18:19]
	v_mov_b32_e32 v20, s21
	v_add_co_u32_e64 v18, s[4:5], s20, v18
	v_addc_co_u32_e64 v19, s[4:5], v20, v19, s[4:5]
	global_load_dword v18, v[18:19], off
.LBB6635_31:
	s_or_b64 exec, exec, s[26:27]
	s_waitcnt vmcnt(0)
	v_mov_b32_dpp v19, v18 row_bcast:31 row_mask:0xf bank_mask:0xf
	v_cmp_lt_u32_e64 s[4:5], 31, v15
	s_and_saveexec_b64 s[26:27], s[4:5]
	s_cbranch_execz .LBB6635_33
; %bb.32:
	v_add_u32_e32 v18, v19, v18
	v_ashrrev_i32_e32 v19, 31, v18
	v_lshlrev_b64 v[18:19], 2, v[18:19]
	v_mov_b32_e32 v20, s21
	v_add_co_u32_e64 v18, s[4:5], s20, v18
	v_addc_co_u32_e64 v19, s[4:5], v20, v19, s[4:5]
	global_load_dword v18, v[18:19], off
.LBB6635_33:
	s_or_b64 exec, exec, s[26:27]
	v_add_u32_e32 v19, -1, v15
	v_and_b32_e32 v20, 64, v15
	v_cmp_lt_i32_e64 s[4:5], v19, v20
	v_cndmask_b32_e64 v15, v19, v15, s[4:5]
	v_lshlrev_b32_e32 v15, 2, v15
	s_waitcnt vmcnt(0)
	ds_bpermute_b32 v15, v15, v18
	v_mov_b32_e32 v18, s21
	s_waitcnt lgkmcnt(0)
	v_add_u32_e32 v14, v15, v14
	v_ashrrev_i32_e32 v15, 31, v14
	v_lshlrev_b64 v[14:15], 2, v[14:15]
	v_add_co_u32_e64 v14, s[4:5], s20, v14
	v_addc_co_u32_e64 v15, s[4:5], v18, v15, s[4:5]
	global_load_dword v14, v[14:15], off
	v_cmp_eq_u32_e64 s[4:5], 0, v0
	; wave barrier
	s_waitcnt vmcnt(0)
	v_cndmask_b32_e64 v14, v14, v1, s[4:5]
	ds_write_b32 v17, v14
	; wave barrier
	ds_read_b32 v15, v17 offset:4
	s_waitcnt lgkmcnt(0)
	v_add_u32_e32 v14, v15, v14
	v_ashrrev_i32_e32 v15, 31, v14
	v_lshlrev_b64 v[14:15], 2, v[14:15]
	v_add_co_u32_e64 v14, s[4:5], s20, v14
	v_addc_co_u32_e64 v15, s[4:5], v18, v15, s[4:5]
	global_load_dword v14, v[14:15], off
	s_waitcnt vmcnt(0)
	ds_write_b32 v17, v14 offset:4
.LBB6635_34:
	s_or_b64 exec, exec, s[24:25]
	v_mul_u32_u24_e32 v14, 36, v0
	v_cmp_ne_u32_e64 s[4:5], 0, v0
	s_waitcnt lgkmcnt(0)
	s_barrier
	s_and_saveexec_b64 s[24:25], s[4:5]
	s_cbranch_execz .LBB6635_36
; %bb.35:
	v_add_u32_e32 v0, -1, v0
	v_lshrrev_b32_e32 v1, 5, v0
	v_add_lshl_u32 v0, v1, v0, 2
	ds_read_b32 v1, v0
.LBB6635_36:
	s_or_b64 exec, exec, s[24:25]
	s_and_saveexec_b64 s[24:25], s[4:5]
	s_cbranch_execz .LBB6635_38
; %bb.37:
	s_waitcnt lgkmcnt(0)
	v_add_u32_e32 v0, v1, v2
	v_ashrrev_i32_e32 v1, 31, v0
	v_lshlrev_b64 v[0:1], 2, v[0:1]
	v_mov_b32_e32 v2, s21
	v_add_co_u32_e64 v0, s[4:5], s20, v0
	v_addc_co_u32_e64 v1, s[4:5], v2, v1, s[4:5]
	global_load_dword v2, v[0:1], off
	;;#ASMSTART
	;;#ASMEND
	s_waitcnt vmcnt(0)
	v_add_u32_e32 v12, v2, v3
	v_ashrrev_i32_e32 v13, 31, v12
.LBB6635_38:
	s_or_b64 exec, exec, s[24:25]
	s_waitcnt lgkmcnt(0)
	v_lshlrev_b64 v[0:1], 2, v[12:13]
	v_mov_b32_e32 v3, s21
	v_add_co_u32_e64 v0, s[4:5], s20, v0
	v_addc_co_u32_e64 v1, s[4:5], v3, v1, s[4:5]
	global_load_dword v12, v[0:1], off
	s_waitcnt vmcnt(0)
	v_add_u32_e32 v0, v12, v4
	v_ashrrev_i32_e32 v1, 31, v0
	v_lshlrev_b64 v[0:1], 2, v[0:1]
	v_add_co_u32_e64 v0, s[4:5], s20, v0
	v_addc_co_u32_e64 v1, s[4:5], v3, v1, s[4:5]
	global_load_dword v4, v[0:1], off
	s_waitcnt vmcnt(0)
	v_add_u32_e32 v0, v4, v5
	v_ashrrev_i32_e32 v1, 31, v0
	v_lshlrev_b64 v[0:1], 2, v[0:1]
	;; [unrolled: 7-line block ×8, first 2 shown]
	v_add_co_u32_e64 v0, s[4:5], s20, v0
	v_addc_co_u32_e64 v1, s[4:5], v3, v1, s[4:5]
	global_load_dword v0, v[0:1], off
	v_add_u32_e32 v1, v16, v14
	s_barrier
	ds_write2_b32 v1, v12, v4 offset0:1 offset1:2
	ds_write2_b32 v1, v5, v6 offset0:3 offset1:4
	;; [unrolled: 1-line block ×4, first 2 shown]
	s_waitcnt vmcnt(0)
	ds_write2_b32 v1, v2, v0 offset1:9
	s_waitcnt lgkmcnt(0)
	s_barrier
	ds_read2st64_b32 v[8:9], v16 offset0:2 offset1:4
	ds_read2st64_b32 v[6:7], v16 offset0:6 offset1:8
	;; [unrolled: 1-line block ×4, first 2 shown]
	ds_read_b32 v10, v16 offset:4608
	v_mov_b32_e32 v1, s23
	v_add_co_u32_e64 v0, s[4:5], s22, v16
	v_addc_co_u32_e64 v1, s[4:5], 0, v1, s[4:5]
	s_and_saveexec_b64 s[4:5], vcc
	s_cbranch_execnz .LBB6635_49
; %bb.39:
	s_or_b64 exec, exec, s[4:5]
	s_and_saveexec_b64 s[4:5], s[0:1]
	s_cbranch_execnz .LBB6635_50
.LBB6635_40:
	s_or_b64 exec, exec, s[4:5]
	s_and_saveexec_b64 s[0:1], s[2:3]
	s_cbranch_execnz .LBB6635_51
.LBB6635_41:
	s_or_b64 exec, exec, s[0:1]
	s_and_saveexec_b64 s[0:1], s[18:19]
	s_cbranch_execnz .LBB6635_52
.LBB6635_42:
	s_or_b64 exec, exec, s[0:1]
	s_and_saveexec_b64 s[0:1], s[6:7]
	s_cbranch_execnz .LBB6635_53
.LBB6635_43:
	s_or_b64 exec, exec, s[0:1]
	s_and_saveexec_b64 s[0:1], s[8:9]
	s_cbranch_execnz .LBB6635_54
.LBB6635_44:
	s_or_b64 exec, exec, s[0:1]
	s_and_saveexec_b64 s[0:1], s[10:11]
	s_cbranch_execnz .LBB6635_55
.LBB6635_45:
	s_or_b64 exec, exec, s[0:1]
	s_and_saveexec_b64 s[0:1], s[12:13]
	s_cbranch_execnz .LBB6635_56
.LBB6635_46:
	s_or_b64 exec, exec, s[0:1]
	s_and_saveexec_b64 s[0:1], s[14:15]
	s_cbranch_execnz .LBB6635_57
.LBB6635_47:
	s_or_b64 exec, exec, s[0:1]
	s_and_saveexec_b64 s[0:1], s[16:17]
	s_cbranch_execnz .LBB6635_58
.LBB6635_48:
	s_endpgm
.LBB6635_49:
	ds_read_b32 v11, v16
	s_waitcnt lgkmcnt(0)
	global_store_dword v[0:1], v11, off
	s_or_b64 exec, exec, s[4:5]
	s_and_saveexec_b64 s[4:5], s[0:1]
	s_cbranch_execz .LBB6635_40
.LBB6635_50:
	s_waitcnt lgkmcnt(4)
	global_store_dword v[0:1], v8, off offset:512
	s_or_b64 exec, exec, s[4:5]
	s_and_saveexec_b64 s[0:1], s[2:3]
	s_cbranch_execz .LBB6635_41
.LBB6635_51:
	s_waitcnt lgkmcnt(4)
	global_store_dword v[0:1], v9, off offset:1024
	s_or_b64 exec, exec, s[0:1]
	s_and_saveexec_b64 s[0:1], s[18:19]
	s_cbranch_execz .LBB6635_42
.LBB6635_52:
	s_waitcnt lgkmcnt(3)
	global_store_dword v[0:1], v6, off offset:1536
	s_or_b64 exec, exec, s[0:1]
	s_and_saveexec_b64 s[0:1], s[6:7]
	s_cbranch_execz .LBB6635_43
.LBB6635_53:
	s_waitcnt lgkmcnt(3)
	global_store_dword v[0:1], v7, off offset:2048
	s_or_b64 exec, exec, s[0:1]
	s_and_saveexec_b64 s[0:1], s[8:9]
	s_cbranch_execz .LBB6635_44
.LBB6635_54:
	s_waitcnt lgkmcnt(2)
	global_store_dword v[0:1], v4, off offset:2560
	s_or_b64 exec, exec, s[0:1]
	s_and_saveexec_b64 s[0:1], s[10:11]
	s_cbranch_execz .LBB6635_45
.LBB6635_55:
	s_waitcnt lgkmcnt(2)
	global_store_dword v[0:1], v5, off offset:3072
	s_or_b64 exec, exec, s[0:1]
	s_and_saveexec_b64 s[0:1], s[12:13]
	s_cbranch_execz .LBB6635_46
.LBB6635_56:
	s_waitcnt lgkmcnt(1)
	global_store_dword v[0:1], v2, off offset:3584
	s_or_b64 exec, exec, s[0:1]
	s_and_saveexec_b64 s[0:1], s[14:15]
	s_cbranch_execz .LBB6635_47
.LBB6635_57:
	s_waitcnt lgkmcnt(2)
	v_add_co_u32_e32 v4, vcc, 0x1000, v0
	v_addc_co_u32_e32 v5, vcc, 0, v1, vcc
	s_waitcnt lgkmcnt(1)
	global_store_dword v[4:5], v3, off
	s_or_b64 exec, exec, s[0:1]
	s_and_saveexec_b64 s[0:1], s[16:17]
	s_cbranch_execz .LBB6635_48
.LBB6635_58:
	v_add_co_u32_e32 v0, vcc, 0x1000, v0
	v_addc_co_u32_e32 v1, vcc, 0, v1, vcc
	s_waitcnt lgkmcnt(0)
	global_store_dword v[0:1], v10, off offset:512
	s_endpgm
	.section	.rodata,"a",@progbits
	.p2align	6, 0x0
	.amdhsa_kernel _ZN7rocprim17ROCPRIM_400000_NS6detail17trampoline_kernelINS0_14default_configENS1_20scan_config_selectorIiEEZZNS1_9scan_implILNS1_25lookback_scan_determinismE0ELb0ELb0ES3_N6thrust23THRUST_200600_302600_NS6detail15normal_iteratorINS9_10device_ptrIiEEEESE_i9plus_mod3IiEiEEDaPvRmT3_T4_T5_mT6_P12ihipStream_tbENKUlT_T0_E_clISt17integral_constantIbLb1EESU_EEDaSP_SQ_EUlSP_E0_NS1_11comp_targetILNS1_3genE4ELNS1_11target_archE910ELNS1_3gpuE8ELNS1_3repE0EEENS1_30default_config_static_selectorELNS0_4arch9wavefront6targetE1EEEvT1_
		.amdhsa_group_segment_fixed_size 5120
		.amdhsa_private_segment_fixed_size 0
		.amdhsa_kernarg_size 40
		.amdhsa_user_sgpr_count 6
		.amdhsa_user_sgpr_private_segment_buffer 1
		.amdhsa_user_sgpr_dispatch_ptr 0
		.amdhsa_user_sgpr_queue_ptr 0
		.amdhsa_user_sgpr_kernarg_segment_ptr 1
		.amdhsa_user_sgpr_dispatch_id 0
		.amdhsa_user_sgpr_flat_scratch_init 0
		.amdhsa_user_sgpr_kernarg_preload_length 0
		.amdhsa_user_sgpr_kernarg_preload_offset 0
		.amdhsa_user_sgpr_private_segment_size 0
		.amdhsa_uses_dynamic_stack 0
		.amdhsa_system_sgpr_private_segment_wavefront_offset 0
		.amdhsa_system_sgpr_workgroup_id_x 1
		.amdhsa_system_sgpr_workgroup_id_y 0
		.amdhsa_system_sgpr_workgroup_id_z 0
		.amdhsa_system_sgpr_workgroup_info 0
		.amdhsa_system_vgpr_workitem_id 0
		.amdhsa_next_free_vgpr 22
		.amdhsa_next_free_sgpr 28
		.amdhsa_accum_offset 24
		.amdhsa_reserve_vcc 1
		.amdhsa_reserve_flat_scratch 0
		.amdhsa_float_round_mode_32 0
		.amdhsa_float_round_mode_16_64 0
		.amdhsa_float_denorm_mode_32 3
		.amdhsa_float_denorm_mode_16_64 3
		.amdhsa_dx10_clamp 1
		.amdhsa_ieee_mode 1
		.amdhsa_fp16_overflow 0
		.amdhsa_tg_split 0
		.amdhsa_exception_fp_ieee_invalid_op 0
		.amdhsa_exception_fp_denorm_src 0
		.amdhsa_exception_fp_ieee_div_zero 0
		.amdhsa_exception_fp_ieee_overflow 0
		.amdhsa_exception_fp_ieee_underflow 0
		.amdhsa_exception_fp_ieee_inexact 0
		.amdhsa_exception_int_div_zero 0
	.end_amdhsa_kernel
	.section	.text._ZN7rocprim17ROCPRIM_400000_NS6detail17trampoline_kernelINS0_14default_configENS1_20scan_config_selectorIiEEZZNS1_9scan_implILNS1_25lookback_scan_determinismE0ELb0ELb0ES3_N6thrust23THRUST_200600_302600_NS6detail15normal_iteratorINS9_10device_ptrIiEEEESE_i9plus_mod3IiEiEEDaPvRmT3_T4_T5_mT6_P12ihipStream_tbENKUlT_T0_E_clISt17integral_constantIbLb1EESU_EEDaSP_SQ_EUlSP_E0_NS1_11comp_targetILNS1_3genE4ELNS1_11target_archE910ELNS1_3gpuE8ELNS1_3repE0EEENS1_30default_config_static_selectorELNS0_4arch9wavefront6targetE1EEEvT1_,"axG",@progbits,_ZN7rocprim17ROCPRIM_400000_NS6detail17trampoline_kernelINS0_14default_configENS1_20scan_config_selectorIiEEZZNS1_9scan_implILNS1_25lookback_scan_determinismE0ELb0ELb0ES3_N6thrust23THRUST_200600_302600_NS6detail15normal_iteratorINS9_10device_ptrIiEEEESE_i9plus_mod3IiEiEEDaPvRmT3_T4_T5_mT6_P12ihipStream_tbENKUlT_T0_E_clISt17integral_constantIbLb1EESU_EEDaSP_SQ_EUlSP_E0_NS1_11comp_targetILNS1_3genE4ELNS1_11target_archE910ELNS1_3gpuE8ELNS1_3repE0EEENS1_30default_config_static_selectorELNS0_4arch9wavefront6targetE1EEEvT1_,comdat
.Lfunc_end6635:
	.size	_ZN7rocprim17ROCPRIM_400000_NS6detail17trampoline_kernelINS0_14default_configENS1_20scan_config_selectorIiEEZZNS1_9scan_implILNS1_25lookback_scan_determinismE0ELb0ELb0ES3_N6thrust23THRUST_200600_302600_NS6detail15normal_iteratorINS9_10device_ptrIiEEEESE_i9plus_mod3IiEiEEDaPvRmT3_T4_T5_mT6_P12ihipStream_tbENKUlT_T0_E_clISt17integral_constantIbLb1EESU_EEDaSP_SQ_EUlSP_E0_NS1_11comp_targetILNS1_3genE4ELNS1_11target_archE910ELNS1_3gpuE8ELNS1_3repE0EEENS1_30default_config_static_selectorELNS0_4arch9wavefront6targetE1EEEvT1_, .Lfunc_end6635-_ZN7rocprim17ROCPRIM_400000_NS6detail17trampoline_kernelINS0_14default_configENS1_20scan_config_selectorIiEEZZNS1_9scan_implILNS1_25lookback_scan_determinismE0ELb0ELb0ES3_N6thrust23THRUST_200600_302600_NS6detail15normal_iteratorINS9_10device_ptrIiEEEESE_i9plus_mod3IiEiEEDaPvRmT3_T4_T5_mT6_P12ihipStream_tbENKUlT_T0_E_clISt17integral_constantIbLb1EESU_EEDaSP_SQ_EUlSP_E0_NS1_11comp_targetILNS1_3genE4ELNS1_11target_archE910ELNS1_3gpuE8ELNS1_3repE0EEENS1_30default_config_static_selectorELNS0_4arch9wavefront6targetE1EEEvT1_
                                        ; -- End function
	.section	.AMDGPU.csdata,"",@progbits
; Kernel info:
; codeLenInByte = 2736
; NumSgprs: 32
; NumVgprs: 22
; NumAgprs: 0
; TotalNumVgprs: 22
; ScratchSize: 0
; MemoryBound: 0
; FloatMode: 240
; IeeeMode: 1
; LDSByteSize: 5120 bytes/workgroup (compile time only)
; SGPRBlocks: 3
; VGPRBlocks: 2
; NumSGPRsForWavesPerEU: 32
; NumVGPRsForWavesPerEU: 22
; AccumOffset: 24
; Occupancy: 6
; WaveLimiterHint : 1
; COMPUTE_PGM_RSRC2:SCRATCH_EN: 0
; COMPUTE_PGM_RSRC2:USER_SGPR: 6
; COMPUTE_PGM_RSRC2:TRAP_HANDLER: 0
; COMPUTE_PGM_RSRC2:TGID_X_EN: 1
; COMPUTE_PGM_RSRC2:TGID_Y_EN: 0
; COMPUTE_PGM_RSRC2:TGID_Z_EN: 0
; COMPUTE_PGM_RSRC2:TIDIG_COMP_CNT: 0
; COMPUTE_PGM_RSRC3_GFX90A:ACCUM_OFFSET: 5
; COMPUTE_PGM_RSRC3_GFX90A:TG_SPLIT: 0
	.section	.text._ZN7rocprim17ROCPRIM_400000_NS6detail17trampoline_kernelINS0_14default_configENS1_20scan_config_selectorIiEEZZNS1_9scan_implILNS1_25lookback_scan_determinismE0ELb0ELb0ES3_N6thrust23THRUST_200600_302600_NS6detail15normal_iteratorINS9_10device_ptrIiEEEESE_i9plus_mod3IiEiEEDaPvRmT3_T4_T5_mT6_P12ihipStream_tbENKUlT_T0_E_clISt17integral_constantIbLb1EESU_EEDaSP_SQ_EUlSP_E0_NS1_11comp_targetILNS1_3genE3ELNS1_11target_archE908ELNS1_3gpuE7ELNS1_3repE0EEENS1_30default_config_static_selectorELNS0_4arch9wavefront6targetE1EEEvT1_,"axG",@progbits,_ZN7rocprim17ROCPRIM_400000_NS6detail17trampoline_kernelINS0_14default_configENS1_20scan_config_selectorIiEEZZNS1_9scan_implILNS1_25lookback_scan_determinismE0ELb0ELb0ES3_N6thrust23THRUST_200600_302600_NS6detail15normal_iteratorINS9_10device_ptrIiEEEESE_i9plus_mod3IiEiEEDaPvRmT3_T4_T5_mT6_P12ihipStream_tbENKUlT_T0_E_clISt17integral_constantIbLb1EESU_EEDaSP_SQ_EUlSP_E0_NS1_11comp_targetILNS1_3genE3ELNS1_11target_archE908ELNS1_3gpuE7ELNS1_3repE0EEENS1_30default_config_static_selectorELNS0_4arch9wavefront6targetE1EEEvT1_,comdat
	.protected	_ZN7rocprim17ROCPRIM_400000_NS6detail17trampoline_kernelINS0_14default_configENS1_20scan_config_selectorIiEEZZNS1_9scan_implILNS1_25lookback_scan_determinismE0ELb0ELb0ES3_N6thrust23THRUST_200600_302600_NS6detail15normal_iteratorINS9_10device_ptrIiEEEESE_i9plus_mod3IiEiEEDaPvRmT3_T4_T5_mT6_P12ihipStream_tbENKUlT_T0_E_clISt17integral_constantIbLb1EESU_EEDaSP_SQ_EUlSP_E0_NS1_11comp_targetILNS1_3genE3ELNS1_11target_archE908ELNS1_3gpuE7ELNS1_3repE0EEENS1_30default_config_static_selectorELNS0_4arch9wavefront6targetE1EEEvT1_ ; -- Begin function _ZN7rocprim17ROCPRIM_400000_NS6detail17trampoline_kernelINS0_14default_configENS1_20scan_config_selectorIiEEZZNS1_9scan_implILNS1_25lookback_scan_determinismE0ELb0ELb0ES3_N6thrust23THRUST_200600_302600_NS6detail15normal_iteratorINS9_10device_ptrIiEEEESE_i9plus_mod3IiEiEEDaPvRmT3_T4_T5_mT6_P12ihipStream_tbENKUlT_T0_E_clISt17integral_constantIbLb1EESU_EEDaSP_SQ_EUlSP_E0_NS1_11comp_targetILNS1_3genE3ELNS1_11target_archE908ELNS1_3gpuE7ELNS1_3repE0EEENS1_30default_config_static_selectorELNS0_4arch9wavefront6targetE1EEEvT1_
	.globl	_ZN7rocprim17ROCPRIM_400000_NS6detail17trampoline_kernelINS0_14default_configENS1_20scan_config_selectorIiEEZZNS1_9scan_implILNS1_25lookback_scan_determinismE0ELb0ELb0ES3_N6thrust23THRUST_200600_302600_NS6detail15normal_iteratorINS9_10device_ptrIiEEEESE_i9plus_mod3IiEiEEDaPvRmT3_T4_T5_mT6_P12ihipStream_tbENKUlT_T0_E_clISt17integral_constantIbLb1EESU_EEDaSP_SQ_EUlSP_E0_NS1_11comp_targetILNS1_3genE3ELNS1_11target_archE908ELNS1_3gpuE7ELNS1_3repE0EEENS1_30default_config_static_selectorELNS0_4arch9wavefront6targetE1EEEvT1_
	.p2align	8
	.type	_ZN7rocprim17ROCPRIM_400000_NS6detail17trampoline_kernelINS0_14default_configENS1_20scan_config_selectorIiEEZZNS1_9scan_implILNS1_25lookback_scan_determinismE0ELb0ELb0ES3_N6thrust23THRUST_200600_302600_NS6detail15normal_iteratorINS9_10device_ptrIiEEEESE_i9plus_mod3IiEiEEDaPvRmT3_T4_T5_mT6_P12ihipStream_tbENKUlT_T0_E_clISt17integral_constantIbLb1EESU_EEDaSP_SQ_EUlSP_E0_NS1_11comp_targetILNS1_3genE3ELNS1_11target_archE908ELNS1_3gpuE7ELNS1_3repE0EEENS1_30default_config_static_selectorELNS0_4arch9wavefront6targetE1EEEvT1_,@function
_ZN7rocprim17ROCPRIM_400000_NS6detail17trampoline_kernelINS0_14default_configENS1_20scan_config_selectorIiEEZZNS1_9scan_implILNS1_25lookback_scan_determinismE0ELb0ELb0ES3_N6thrust23THRUST_200600_302600_NS6detail15normal_iteratorINS9_10device_ptrIiEEEESE_i9plus_mod3IiEiEEDaPvRmT3_T4_T5_mT6_P12ihipStream_tbENKUlT_T0_E_clISt17integral_constantIbLb1EESU_EEDaSP_SQ_EUlSP_E0_NS1_11comp_targetILNS1_3genE3ELNS1_11target_archE908ELNS1_3gpuE7ELNS1_3repE0EEENS1_30default_config_static_selectorELNS0_4arch9wavefront6targetE1EEEvT1_: ; @_ZN7rocprim17ROCPRIM_400000_NS6detail17trampoline_kernelINS0_14default_configENS1_20scan_config_selectorIiEEZZNS1_9scan_implILNS1_25lookback_scan_determinismE0ELb0ELb0ES3_N6thrust23THRUST_200600_302600_NS6detail15normal_iteratorINS9_10device_ptrIiEEEESE_i9plus_mod3IiEiEEDaPvRmT3_T4_T5_mT6_P12ihipStream_tbENKUlT_T0_E_clISt17integral_constantIbLb1EESU_EEDaSP_SQ_EUlSP_E0_NS1_11comp_targetILNS1_3genE3ELNS1_11target_archE908ELNS1_3gpuE7ELNS1_3repE0EEENS1_30default_config_static_selectorELNS0_4arch9wavefront6targetE1EEEvT1_
; %bb.0:
	.section	.rodata,"a",@progbits
	.p2align	6, 0x0
	.amdhsa_kernel _ZN7rocprim17ROCPRIM_400000_NS6detail17trampoline_kernelINS0_14default_configENS1_20scan_config_selectorIiEEZZNS1_9scan_implILNS1_25lookback_scan_determinismE0ELb0ELb0ES3_N6thrust23THRUST_200600_302600_NS6detail15normal_iteratorINS9_10device_ptrIiEEEESE_i9plus_mod3IiEiEEDaPvRmT3_T4_T5_mT6_P12ihipStream_tbENKUlT_T0_E_clISt17integral_constantIbLb1EESU_EEDaSP_SQ_EUlSP_E0_NS1_11comp_targetILNS1_3genE3ELNS1_11target_archE908ELNS1_3gpuE7ELNS1_3repE0EEENS1_30default_config_static_selectorELNS0_4arch9wavefront6targetE1EEEvT1_
		.amdhsa_group_segment_fixed_size 0
		.amdhsa_private_segment_fixed_size 0
		.amdhsa_kernarg_size 40
		.amdhsa_user_sgpr_count 6
		.amdhsa_user_sgpr_private_segment_buffer 1
		.amdhsa_user_sgpr_dispatch_ptr 0
		.amdhsa_user_sgpr_queue_ptr 0
		.amdhsa_user_sgpr_kernarg_segment_ptr 1
		.amdhsa_user_sgpr_dispatch_id 0
		.amdhsa_user_sgpr_flat_scratch_init 0
		.amdhsa_user_sgpr_kernarg_preload_length 0
		.amdhsa_user_sgpr_kernarg_preload_offset 0
		.amdhsa_user_sgpr_private_segment_size 0
		.amdhsa_uses_dynamic_stack 0
		.amdhsa_system_sgpr_private_segment_wavefront_offset 0
		.amdhsa_system_sgpr_workgroup_id_x 1
		.amdhsa_system_sgpr_workgroup_id_y 0
		.amdhsa_system_sgpr_workgroup_id_z 0
		.amdhsa_system_sgpr_workgroup_info 0
		.amdhsa_system_vgpr_workitem_id 0
		.amdhsa_next_free_vgpr 1
		.amdhsa_next_free_sgpr 0
		.amdhsa_accum_offset 4
		.amdhsa_reserve_vcc 0
		.amdhsa_reserve_flat_scratch 0
		.amdhsa_float_round_mode_32 0
		.amdhsa_float_round_mode_16_64 0
		.amdhsa_float_denorm_mode_32 3
		.amdhsa_float_denorm_mode_16_64 3
		.amdhsa_dx10_clamp 1
		.amdhsa_ieee_mode 1
		.amdhsa_fp16_overflow 0
		.amdhsa_tg_split 0
		.amdhsa_exception_fp_ieee_invalid_op 0
		.amdhsa_exception_fp_denorm_src 0
		.amdhsa_exception_fp_ieee_div_zero 0
		.amdhsa_exception_fp_ieee_overflow 0
		.amdhsa_exception_fp_ieee_underflow 0
		.amdhsa_exception_fp_ieee_inexact 0
		.amdhsa_exception_int_div_zero 0
	.end_amdhsa_kernel
	.section	.text._ZN7rocprim17ROCPRIM_400000_NS6detail17trampoline_kernelINS0_14default_configENS1_20scan_config_selectorIiEEZZNS1_9scan_implILNS1_25lookback_scan_determinismE0ELb0ELb0ES3_N6thrust23THRUST_200600_302600_NS6detail15normal_iteratorINS9_10device_ptrIiEEEESE_i9plus_mod3IiEiEEDaPvRmT3_T4_T5_mT6_P12ihipStream_tbENKUlT_T0_E_clISt17integral_constantIbLb1EESU_EEDaSP_SQ_EUlSP_E0_NS1_11comp_targetILNS1_3genE3ELNS1_11target_archE908ELNS1_3gpuE7ELNS1_3repE0EEENS1_30default_config_static_selectorELNS0_4arch9wavefront6targetE1EEEvT1_,"axG",@progbits,_ZN7rocprim17ROCPRIM_400000_NS6detail17trampoline_kernelINS0_14default_configENS1_20scan_config_selectorIiEEZZNS1_9scan_implILNS1_25lookback_scan_determinismE0ELb0ELb0ES3_N6thrust23THRUST_200600_302600_NS6detail15normal_iteratorINS9_10device_ptrIiEEEESE_i9plus_mod3IiEiEEDaPvRmT3_T4_T5_mT6_P12ihipStream_tbENKUlT_T0_E_clISt17integral_constantIbLb1EESU_EEDaSP_SQ_EUlSP_E0_NS1_11comp_targetILNS1_3genE3ELNS1_11target_archE908ELNS1_3gpuE7ELNS1_3repE0EEENS1_30default_config_static_selectorELNS0_4arch9wavefront6targetE1EEEvT1_,comdat
.Lfunc_end6636:
	.size	_ZN7rocprim17ROCPRIM_400000_NS6detail17trampoline_kernelINS0_14default_configENS1_20scan_config_selectorIiEEZZNS1_9scan_implILNS1_25lookback_scan_determinismE0ELb0ELb0ES3_N6thrust23THRUST_200600_302600_NS6detail15normal_iteratorINS9_10device_ptrIiEEEESE_i9plus_mod3IiEiEEDaPvRmT3_T4_T5_mT6_P12ihipStream_tbENKUlT_T0_E_clISt17integral_constantIbLb1EESU_EEDaSP_SQ_EUlSP_E0_NS1_11comp_targetILNS1_3genE3ELNS1_11target_archE908ELNS1_3gpuE7ELNS1_3repE0EEENS1_30default_config_static_selectorELNS0_4arch9wavefront6targetE1EEEvT1_, .Lfunc_end6636-_ZN7rocprim17ROCPRIM_400000_NS6detail17trampoline_kernelINS0_14default_configENS1_20scan_config_selectorIiEEZZNS1_9scan_implILNS1_25lookback_scan_determinismE0ELb0ELb0ES3_N6thrust23THRUST_200600_302600_NS6detail15normal_iteratorINS9_10device_ptrIiEEEESE_i9plus_mod3IiEiEEDaPvRmT3_T4_T5_mT6_P12ihipStream_tbENKUlT_T0_E_clISt17integral_constantIbLb1EESU_EEDaSP_SQ_EUlSP_E0_NS1_11comp_targetILNS1_3genE3ELNS1_11target_archE908ELNS1_3gpuE7ELNS1_3repE0EEENS1_30default_config_static_selectorELNS0_4arch9wavefront6targetE1EEEvT1_
                                        ; -- End function
	.section	.AMDGPU.csdata,"",@progbits
; Kernel info:
; codeLenInByte = 0
; NumSgprs: 4
; NumVgprs: 0
; NumAgprs: 0
; TotalNumVgprs: 0
; ScratchSize: 0
; MemoryBound: 0
; FloatMode: 240
; IeeeMode: 1
; LDSByteSize: 0 bytes/workgroup (compile time only)
; SGPRBlocks: 0
; VGPRBlocks: 0
; NumSGPRsForWavesPerEU: 4
; NumVGPRsForWavesPerEU: 1
; AccumOffset: 4
; Occupancy: 8
; WaveLimiterHint : 0
; COMPUTE_PGM_RSRC2:SCRATCH_EN: 0
; COMPUTE_PGM_RSRC2:USER_SGPR: 6
; COMPUTE_PGM_RSRC2:TRAP_HANDLER: 0
; COMPUTE_PGM_RSRC2:TGID_X_EN: 1
; COMPUTE_PGM_RSRC2:TGID_Y_EN: 0
; COMPUTE_PGM_RSRC2:TGID_Z_EN: 0
; COMPUTE_PGM_RSRC2:TIDIG_COMP_CNT: 0
; COMPUTE_PGM_RSRC3_GFX90A:ACCUM_OFFSET: 0
; COMPUTE_PGM_RSRC3_GFX90A:TG_SPLIT: 0
	.section	.text._ZN7rocprim17ROCPRIM_400000_NS6detail17trampoline_kernelINS0_14default_configENS1_20scan_config_selectorIiEEZZNS1_9scan_implILNS1_25lookback_scan_determinismE0ELb0ELb0ES3_N6thrust23THRUST_200600_302600_NS6detail15normal_iteratorINS9_10device_ptrIiEEEESE_i9plus_mod3IiEiEEDaPvRmT3_T4_T5_mT6_P12ihipStream_tbENKUlT_T0_E_clISt17integral_constantIbLb1EESU_EEDaSP_SQ_EUlSP_E0_NS1_11comp_targetILNS1_3genE2ELNS1_11target_archE906ELNS1_3gpuE6ELNS1_3repE0EEENS1_30default_config_static_selectorELNS0_4arch9wavefront6targetE1EEEvT1_,"axG",@progbits,_ZN7rocprim17ROCPRIM_400000_NS6detail17trampoline_kernelINS0_14default_configENS1_20scan_config_selectorIiEEZZNS1_9scan_implILNS1_25lookback_scan_determinismE0ELb0ELb0ES3_N6thrust23THRUST_200600_302600_NS6detail15normal_iteratorINS9_10device_ptrIiEEEESE_i9plus_mod3IiEiEEDaPvRmT3_T4_T5_mT6_P12ihipStream_tbENKUlT_T0_E_clISt17integral_constantIbLb1EESU_EEDaSP_SQ_EUlSP_E0_NS1_11comp_targetILNS1_3genE2ELNS1_11target_archE906ELNS1_3gpuE6ELNS1_3repE0EEENS1_30default_config_static_selectorELNS0_4arch9wavefront6targetE1EEEvT1_,comdat
	.protected	_ZN7rocprim17ROCPRIM_400000_NS6detail17trampoline_kernelINS0_14default_configENS1_20scan_config_selectorIiEEZZNS1_9scan_implILNS1_25lookback_scan_determinismE0ELb0ELb0ES3_N6thrust23THRUST_200600_302600_NS6detail15normal_iteratorINS9_10device_ptrIiEEEESE_i9plus_mod3IiEiEEDaPvRmT3_T4_T5_mT6_P12ihipStream_tbENKUlT_T0_E_clISt17integral_constantIbLb1EESU_EEDaSP_SQ_EUlSP_E0_NS1_11comp_targetILNS1_3genE2ELNS1_11target_archE906ELNS1_3gpuE6ELNS1_3repE0EEENS1_30default_config_static_selectorELNS0_4arch9wavefront6targetE1EEEvT1_ ; -- Begin function _ZN7rocprim17ROCPRIM_400000_NS6detail17trampoline_kernelINS0_14default_configENS1_20scan_config_selectorIiEEZZNS1_9scan_implILNS1_25lookback_scan_determinismE0ELb0ELb0ES3_N6thrust23THRUST_200600_302600_NS6detail15normal_iteratorINS9_10device_ptrIiEEEESE_i9plus_mod3IiEiEEDaPvRmT3_T4_T5_mT6_P12ihipStream_tbENKUlT_T0_E_clISt17integral_constantIbLb1EESU_EEDaSP_SQ_EUlSP_E0_NS1_11comp_targetILNS1_3genE2ELNS1_11target_archE906ELNS1_3gpuE6ELNS1_3repE0EEENS1_30default_config_static_selectorELNS0_4arch9wavefront6targetE1EEEvT1_
	.globl	_ZN7rocprim17ROCPRIM_400000_NS6detail17trampoline_kernelINS0_14default_configENS1_20scan_config_selectorIiEEZZNS1_9scan_implILNS1_25lookback_scan_determinismE0ELb0ELb0ES3_N6thrust23THRUST_200600_302600_NS6detail15normal_iteratorINS9_10device_ptrIiEEEESE_i9plus_mod3IiEiEEDaPvRmT3_T4_T5_mT6_P12ihipStream_tbENKUlT_T0_E_clISt17integral_constantIbLb1EESU_EEDaSP_SQ_EUlSP_E0_NS1_11comp_targetILNS1_3genE2ELNS1_11target_archE906ELNS1_3gpuE6ELNS1_3repE0EEENS1_30default_config_static_selectorELNS0_4arch9wavefront6targetE1EEEvT1_
	.p2align	8
	.type	_ZN7rocprim17ROCPRIM_400000_NS6detail17trampoline_kernelINS0_14default_configENS1_20scan_config_selectorIiEEZZNS1_9scan_implILNS1_25lookback_scan_determinismE0ELb0ELb0ES3_N6thrust23THRUST_200600_302600_NS6detail15normal_iteratorINS9_10device_ptrIiEEEESE_i9plus_mod3IiEiEEDaPvRmT3_T4_T5_mT6_P12ihipStream_tbENKUlT_T0_E_clISt17integral_constantIbLb1EESU_EEDaSP_SQ_EUlSP_E0_NS1_11comp_targetILNS1_3genE2ELNS1_11target_archE906ELNS1_3gpuE6ELNS1_3repE0EEENS1_30default_config_static_selectorELNS0_4arch9wavefront6targetE1EEEvT1_,@function
_ZN7rocprim17ROCPRIM_400000_NS6detail17trampoline_kernelINS0_14default_configENS1_20scan_config_selectorIiEEZZNS1_9scan_implILNS1_25lookback_scan_determinismE0ELb0ELb0ES3_N6thrust23THRUST_200600_302600_NS6detail15normal_iteratorINS9_10device_ptrIiEEEESE_i9plus_mod3IiEiEEDaPvRmT3_T4_T5_mT6_P12ihipStream_tbENKUlT_T0_E_clISt17integral_constantIbLb1EESU_EEDaSP_SQ_EUlSP_E0_NS1_11comp_targetILNS1_3genE2ELNS1_11target_archE906ELNS1_3gpuE6ELNS1_3repE0EEENS1_30default_config_static_selectorELNS0_4arch9wavefront6targetE1EEEvT1_: ; @_ZN7rocprim17ROCPRIM_400000_NS6detail17trampoline_kernelINS0_14default_configENS1_20scan_config_selectorIiEEZZNS1_9scan_implILNS1_25lookback_scan_determinismE0ELb0ELb0ES3_N6thrust23THRUST_200600_302600_NS6detail15normal_iteratorINS9_10device_ptrIiEEEESE_i9plus_mod3IiEiEEDaPvRmT3_T4_T5_mT6_P12ihipStream_tbENKUlT_T0_E_clISt17integral_constantIbLb1EESU_EEDaSP_SQ_EUlSP_E0_NS1_11comp_targetILNS1_3genE2ELNS1_11target_archE906ELNS1_3gpuE6ELNS1_3repE0EEENS1_30default_config_static_selectorELNS0_4arch9wavefront6targetE1EEEvT1_
; %bb.0:
	.section	.rodata,"a",@progbits
	.p2align	6, 0x0
	.amdhsa_kernel _ZN7rocprim17ROCPRIM_400000_NS6detail17trampoline_kernelINS0_14default_configENS1_20scan_config_selectorIiEEZZNS1_9scan_implILNS1_25lookback_scan_determinismE0ELb0ELb0ES3_N6thrust23THRUST_200600_302600_NS6detail15normal_iteratorINS9_10device_ptrIiEEEESE_i9plus_mod3IiEiEEDaPvRmT3_T4_T5_mT6_P12ihipStream_tbENKUlT_T0_E_clISt17integral_constantIbLb1EESU_EEDaSP_SQ_EUlSP_E0_NS1_11comp_targetILNS1_3genE2ELNS1_11target_archE906ELNS1_3gpuE6ELNS1_3repE0EEENS1_30default_config_static_selectorELNS0_4arch9wavefront6targetE1EEEvT1_
		.amdhsa_group_segment_fixed_size 0
		.amdhsa_private_segment_fixed_size 0
		.amdhsa_kernarg_size 40
		.amdhsa_user_sgpr_count 6
		.amdhsa_user_sgpr_private_segment_buffer 1
		.amdhsa_user_sgpr_dispatch_ptr 0
		.amdhsa_user_sgpr_queue_ptr 0
		.amdhsa_user_sgpr_kernarg_segment_ptr 1
		.amdhsa_user_sgpr_dispatch_id 0
		.amdhsa_user_sgpr_flat_scratch_init 0
		.amdhsa_user_sgpr_kernarg_preload_length 0
		.amdhsa_user_sgpr_kernarg_preload_offset 0
		.amdhsa_user_sgpr_private_segment_size 0
		.amdhsa_uses_dynamic_stack 0
		.amdhsa_system_sgpr_private_segment_wavefront_offset 0
		.amdhsa_system_sgpr_workgroup_id_x 1
		.amdhsa_system_sgpr_workgroup_id_y 0
		.amdhsa_system_sgpr_workgroup_id_z 0
		.amdhsa_system_sgpr_workgroup_info 0
		.amdhsa_system_vgpr_workitem_id 0
		.amdhsa_next_free_vgpr 1
		.amdhsa_next_free_sgpr 0
		.amdhsa_accum_offset 4
		.amdhsa_reserve_vcc 0
		.amdhsa_reserve_flat_scratch 0
		.amdhsa_float_round_mode_32 0
		.amdhsa_float_round_mode_16_64 0
		.amdhsa_float_denorm_mode_32 3
		.amdhsa_float_denorm_mode_16_64 3
		.amdhsa_dx10_clamp 1
		.amdhsa_ieee_mode 1
		.amdhsa_fp16_overflow 0
		.amdhsa_tg_split 0
		.amdhsa_exception_fp_ieee_invalid_op 0
		.amdhsa_exception_fp_denorm_src 0
		.amdhsa_exception_fp_ieee_div_zero 0
		.amdhsa_exception_fp_ieee_overflow 0
		.amdhsa_exception_fp_ieee_underflow 0
		.amdhsa_exception_fp_ieee_inexact 0
		.amdhsa_exception_int_div_zero 0
	.end_amdhsa_kernel
	.section	.text._ZN7rocprim17ROCPRIM_400000_NS6detail17trampoline_kernelINS0_14default_configENS1_20scan_config_selectorIiEEZZNS1_9scan_implILNS1_25lookback_scan_determinismE0ELb0ELb0ES3_N6thrust23THRUST_200600_302600_NS6detail15normal_iteratorINS9_10device_ptrIiEEEESE_i9plus_mod3IiEiEEDaPvRmT3_T4_T5_mT6_P12ihipStream_tbENKUlT_T0_E_clISt17integral_constantIbLb1EESU_EEDaSP_SQ_EUlSP_E0_NS1_11comp_targetILNS1_3genE2ELNS1_11target_archE906ELNS1_3gpuE6ELNS1_3repE0EEENS1_30default_config_static_selectorELNS0_4arch9wavefront6targetE1EEEvT1_,"axG",@progbits,_ZN7rocprim17ROCPRIM_400000_NS6detail17trampoline_kernelINS0_14default_configENS1_20scan_config_selectorIiEEZZNS1_9scan_implILNS1_25lookback_scan_determinismE0ELb0ELb0ES3_N6thrust23THRUST_200600_302600_NS6detail15normal_iteratorINS9_10device_ptrIiEEEESE_i9plus_mod3IiEiEEDaPvRmT3_T4_T5_mT6_P12ihipStream_tbENKUlT_T0_E_clISt17integral_constantIbLb1EESU_EEDaSP_SQ_EUlSP_E0_NS1_11comp_targetILNS1_3genE2ELNS1_11target_archE906ELNS1_3gpuE6ELNS1_3repE0EEENS1_30default_config_static_selectorELNS0_4arch9wavefront6targetE1EEEvT1_,comdat
.Lfunc_end6637:
	.size	_ZN7rocprim17ROCPRIM_400000_NS6detail17trampoline_kernelINS0_14default_configENS1_20scan_config_selectorIiEEZZNS1_9scan_implILNS1_25lookback_scan_determinismE0ELb0ELb0ES3_N6thrust23THRUST_200600_302600_NS6detail15normal_iteratorINS9_10device_ptrIiEEEESE_i9plus_mod3IiEiEEDaPvRmT3_T4_T5_mT6_P12ihipStream_tbENKUlT_T0_E_clISt17integral_constantIbLb1EESU_EEDaSP_SQ_EUlSP_E0_NS1_11comp_targetILNS1_3genE2ELNS1_11target_archE906ELNS1_3gpuE6ELNS1_3repE0EEENS1_30default_config_static_selectorELNS0_4arch9wavefront6targetE1EEEvT1_, .Lfunc_end6637-_ZN7rocprim17ROCPRIM_400000_NS6detail17trampoline_kernelINS0_14default_configENS1_20scan_config_selectorIiEEZZNS1_9scan_implILNS1_25lookback_scan_determinismE0ELb0ELb0ES3_N6thrust23THRUST_200600_302600_NS6detail15normal_iteratorINS9_10device_ptrIiEEEESE_i9plus_mod3IiEiEEDaPvRmT3_T4_T5_mT6_P12ihipStream_tbENKUlT_T0_E_clISt17integral_constantIbLb1EESU_EEDaSP_SQ_EUlSP_E0_NS1_11comp_targetILNS1_3genE2ELNS1_11target_archE906ELNS1_3gpuE6ELNS1_3repE0EEENS1_30default_config_static_selectorELNS0_4arch9wavefront6targetE1EEEvT1_
                                        ; -- End function
	.section	.AMDGPU.csdata,"",@progbits
; Kernel info:
; codeLenInByte = 0
; NumSgprs: 4
; NumVgprs: 0
; NumAgprs: 0
; TotalNumVgprs: 0
; ScratchSize: 0
; MemoryBound: 0
; FloatMode: 240
; IeeeMode: 1
; LDSByteSize: 0 bytes/workgroup (compile time only)
; SGPRBlocks: 0
; VGPRBlocks: 0
; NumSGPRsForWavesPerEU: 4
; NumVGPRsForWavesPerEU: 1
; AccumOffset: 4
; Occupancy: 8
; WaveLimiterHint : 0
; COMPUTE_PGM_RSRC2:SCRATCH_EN: 0
; COMPUTE_PGM_RSRC2:USER_SGPR: 6
; COMPUTE_PGM_RSRC2:TRAP_HANDLER: 0
; COMPUTE_PGM_RSRC2:TGID_X_EN: 1
; COMPUTE_PGM_RSRC2:TGID_Y_EN: 0
; COMPUTE_PGM_RSRC2:TGID_Z_EN: 0
; COMPUTE_PGM_RSRC2:TIDIG_COMP_CNT: 0
; COMPUTE_PGM_RSRC3_GFX90A:ACCUM_OFFSET: 0
; COMPUTE_PGM_RSRC3_GFX90A:TG_SPLIT: 0
	.section	.text._ZN7rocprim17ROCPRIM_400000_NS6detail17trampoline_kernelINS0_14default_configENS1_20scan_config_selectorIiEEZZNS1_9scan_implILNS1_25lookback_scan_determinismE0ELb0ELb0ES3_N6thrust23THRUST_200600_302600_NS6detail15normal_iteratorINS9_10device_ptrIiEEEESE_i9plus_mod3IiEiEEDaPvRmT3_T4_T5_mT6_P12ihipStream_tbENKUlT_T0_E_clISt17integral_constantIbLb1EESU_EEDaSP_SQ_EUlSP_E0_NS1_11comp_targetILNS1_3genE10ELNS1_11target_archE1201ELNS1_3gpuE5ELNS1_3repE0EEENS1_30default_config_static_selectorELNS0_4arch9wavefront6targetE1EEEvT1_,"axG",@progbits,_ZN7rocprim17ROCPRIM_400000_NS6detail17trampoline_kernelINS0_14default_configENS1_20scan_config_selectorIiEEZZNS1_9scan_implILNS1_25lookback_scan_determinismE0ELb0ELb0ES3_N6thrust23THRUST_200600_302600_NS6detail15normal_iteratorINS9_10device_ptrIiEEEESE_i9plus_mod3IiEiEEDaPvRmT3_T4_T5_mT6_P12ihipStream_tbENKUlT_T0_E_clISt17integral_constantIbLb1EESU_EEDaSP_SQ_EUlSP_E0_NS1_11comp_targetILNS1_3genE10ELNS1_11target_archE1201ELNS1_3gpuE5ELNS1_3repE0EEENS1_30default_config_static_selectorELNS0_4arch9wavefront6targetE1EEEvT1_,comdat
	.protected	_ZN7rocprim17ROCPRIM_400000_NS6detail17trampoline_kernelINS0_14default_configENS1_20scan_config_selectorIiEEZZNS1_9scan_implILNS1_25lookback_scan_determinismE0ELb0ELb0ES3_N6thrust23THRUST_200600_302600_NS6detail15normal_iteratorINS9_10device_ptrIiEEEESE_i9plus_mod3IiEiEEDaPvRmT3_T4_T5_mT6_P12ihipStream_tbENKUlT_T0_E_clISt17integral_constantIbLb1EESU_EEDaSP_SQ_EUlSP_E0_NS1_11comp_targetILNS1_3genE10ELNS1_11target_archE1201ELNS1_3gpuE5ELNS1_3repE0EEENS1_30default_config_static_selectorELNS0_4arch9wavefront6targetE1EEEvT1_ ; -- Begin function _ZN7rocprim17ROCPRIM_400000_NS6detail17trampoline_kernelINS0_14default_configENS1_20scan_config_selectorIiEEZZNS1_9scan_implILNS1_25lookback_scan_determinismE0ELb0ELb0ES3_N6thrust23THRUST_200600_302600_NS6detail15normal_iteratorINS9_10device_ptrIiEEEESE_i9plus_mod3IiEiEEDaPvRmT3_T4_T5_mT6_P12ihipStream_tbENKUlT_T0_E_clISt17integral_constantIbLb1EESU_EEDaSP_SQ_EUlSP_E0_NS1_11comp_targetILNS1_3genE10ELNS1_11target_archE1201ELNS1_3gpuE5ELNS1_3repE0EEENS1_30default_config_static_selectorELNS0_4arch9wavefront6targetE1EEEvT1_
	.globl	_ZN7rocprim17ROCPRIM_400000_NS6detail17trampoline_kernelINS0_14default_configENS1_20scan_config_selectorIiEEZZNS1_9scan_implILNS1_25lookback_scan_determinismE0ELb0ELb0ES3_N6thrust23THRUST_200600_302600_NS6detail15normal_iteratorINS9_10device_ptrIiEEEESE_i9plus_mod3IiEiEEDaPvRmT3_T4_T5_mT6_P12ihipStream_tbENKUlT_T0_E_clISt17integral_constantIbLb1EESU_EEDaSP_SQ_EUlSP_E0_NS1_11comp_targetILNS1_3genE10ELNS1_11target_archE1201ELNS1_3gpuE5ELNS1_3repE0EEENS1_30default_config_static_selectorELNS0_4arch9wavefront6targetE1EEEvT1_
	.p2align	8
	.type	_ZN7rocprim17ROCPRIM_400000_NS6detail17trampoline_kernelINS0_14default_configENS1_20scan_config_selectorIiEEZZNS1_9scan_implILNS1_25lookback_scan_determinismE0ELb0ELb0ES3_N6thrust23THRUST_200600_302600_NS6detail15normal_iteratorINS9_10device_ptrIiEEEESE_i9plus_mod3IiEiEEDaPvRmT3_T4_T5_mT6_P12ihipStream_tbENKUlT_T0_E_clISt17integral_constantIbLb1EESU_EEDaSP_SQ_EUlSP_E0_NS1_11comp_targetILNS1_3genE10ELNS1_11target_archE1201ELNS1_3gpuE5ELNS1_3repE0EEENS1_30default_config_static_selectorELNS0_4arch9wavefront6targetE1EEEvT1_,@function
_ZN7rocprim17ROCPRIM_400000_NS6detail17trampoline_kernelINS0_14default_configENS1_20scan_config_selectorIiEEZZNS1_9scan_implILNS1_25lookback_scan_determinismE0ELb0ELb0ES3_N6thrust23THRUST_200600_302600_NS6detail15normal_iteratorINS9_10device_ptrIiEEEESE_i9plus_mod3IiEiEEDaPvRmT3_T4_T5_mT6_P12ihipStream_tbENKUlT_T0_E_clISt17integral_constantIbLb1EESU_EEDaSP_SQ_EUlSP_E0_NS1_11comp_targetILNS1_3genE10ELNS1_11target_archE1201ELNS1_3gpuE5ELNS1_3repE0EEENS1_30default_config_static_selectorELNS0_4arch9wavefront6targetE1EEEvT1_: ; @_ZN7rocprim17ROCPRIM_400000_NS6detail17trampoline_kernelINS0_14default_configENS1_20scan_config_selectorIiEEZZNS1_9scan_implILNS1_25lookback_scan_determinismE0ELb0ELb0ES3_N6thrust23THRUST_200600_302600_NS6detail15normal_iteratorINS9_10device_ptrIiEEEESE_i9plus_mod3IiEiEEDaPvRmT3_T4_T5_mT6_P12ihipStream_tbENKUlT_T0_E_clISt17integral_constantIbLb1EESU_EEDaSP_SQ_EUlSP_E0_NS1_11comp_targetILNS1_3genE10ELNS1_11target_archE1201ELNS1_3gpuE5ELNS1_3repE0EEENS1_30default_config_static_selectorELNS0_4arch9wavefront6targetE1EEEvT1_
; %bb.0:
	.section	.rodata,"a",@progbits
	.p2align	6, 0x0
	.amdhsa_kernel _ZN7rocprim17ROCPRIM_400000_NS6detail17trampoline_kernelINS0_14default_configENS1_20scan_config_selectorIiEEZZNS1_9scan_implILNS1_25lookback_scan_determinismE0ELb0ELb0ES3_N6thrust23THRUST_200600_302600_NS6detail15normal_iteratorINS9_10device_ptrIiEEEESE_i9plus_mod3IiEiEEDaPvRmT3_T4_T5_mT6_P12ihipStream_tbENKUlT_T0_E_clISt17integral_constantIbLb1EESU_EEDaSP_SQ_EUlSP_E0_NS1_11comp_targetILNS1_3genE10ELNS1_11target_archE1201ELNS1_3gpuE5ELNS1_3repE0EEENS1_30default_config_static_selectorELNS0_4arch9wavefront6targetE1EEEvT1_
		.amdhsa_group_segment_fixed_size 0
		.amdhsa_private_segment_fixed_size 0
		.amdhsa_kernarg_size 40
		.amdhsa_user_sgpr_count 6
		.amdhsa_user_sgpr_private_segment_buffer 1
		.amdhsa_user_sgpr_dispatch_ptr 0
		.amdhsa_user_sgpr_queue_ptr 0
		.amdhsa_user_sgpr_kernarg_segment_ptr 1
		.amdhsa_user_sgpr_dispatch_id 0
		.amdhsa_user_sgpr_flat_scratch_init 0
		.amdhsa_user_sgpr_kernarg_preload_length 0
		.amdhsa_user_sgpr_kernarg_preload_offset 0
		.amdhsa_user_sgpr_private_segment_size 0
		.amdhsa_uses_dynamic_stack 0
		.amdhsa_system_sgpr_private_segment_wavefront_offset 0
		.amdhsa_system_sgpr_workgroup_id_x 1
		.amdhsa_system_sgpr_workgroup_id_y 0
		.amdhsa_system_sgpr_workgroup_id_z 0
		.amdhsa_system_sgpr_workgroup_info 0
		.amdhsa_system_vgpr_workitem_id 0
		.amdhsa_next_free_vgpr 1
		.amdhsa_next_free_sgpr 0
		.amdhsa_accum_offset 4
		.amdhsa_reserve_vcc 0
		.amdhsa_reserve_flat_scratch 0
		.amdhsa_float_round_mode_32 0
		.amdhsa_float_round_mode_16_64 0
		.amdhsa_float_denorm_mode_32 3
		.amdhsa_float_denorm_mode_16_64 3
		.amdhsa_dx10_clamp 1
		.amdhsa_ieee_mode 1
		.amdhsa_fp16_overflow 0
		.amdhsa_tg_split 0
		.amdhsa_exception_fp_ieee_invalid_op 0
		.amdhsa_exception_fp_denorm_src 0
		.amdhsa_exception_fp_ieee_div_zero 0
		.amdhsa_exception_fp_ieee_overflow 0
		.amdhsa_exception_fp_ieee_underflow 0
		.amdhsa_exception_fp_ieee_inexact 0
		.amdhsa_exception_int_div_zero 0
	.end_amdhsa_kernel
	.section	.text._ZN7rocprim17ROCPRIM_400000_NS6detail17trampoline_kernelINS0_14default_configENS1_20scan_config_selectorIiEEZZNS1_9scan_implILNS1_25lookback_scan_determinismE0ELb0ELb0ES3_N6thrust23THRUST_200600_302600_NS6detail15normal_iteratorINS9_10device_ptrIiEEEESE_i9plus_mod3IiEiEEDaPvRmT3_T4_T5_mT6_P12ihipStream_tbENKUlT_T0_E_clISt17integral_constantIbLb1EESU_EEDaSP_SQ_EUlSP_E0_NS1_11comp_targetILNS1_3genE10ELNS1_11target_archE1201ELNS1_3gpuE5ELNS1_3repE0EEENS1_30default_config_static_selectorELNS0_4arch9wavefront6targetE1EEEvT1_,"axG",@progbits,_ZN7rocprim17ROCPRIM_400000_NS6detail17trampoline_kernelINS0_14default_configENS1_20scan_config_selectorIiEEZZNS1_9scan_implILNS1_25lookback_scan_determinismE0ELb0ELb0ES3_N6thrust23THRUST_200600_302600_NS6detail15normal_iteratorINS9_10device_ptrIiEEEESE_i9plus_mod3IiEiEEDaPvRmT3_T4_T5_mT6_P12ihipStream_tbENKUlT_T0_E_clISt17integral_constantIbLb1EESU_EEDaSP_SQ_EUlSP_E0_NS1_11comp_targetILNS1_3genE10ELNS1_11target_archE1201ELNS1_3gpuE5ELNS1_3repE0EEENS1_30default_config_static_selectorELNS0_4arch9wavefront6targetE1EEEvT1_,comdat
.Lfunc_end6638:
	.size	_ZN7rocprim17ROCPRIM_400000_NS6detail17trampoline_kernelINS0_14default_configENS1_20scan_config_selectorIiEEZZNS1_9scan_implILNS1_25lookback_scan_determinismE0ELb0ELb0ES3_N6thrust23THRUST_200600_302600_NS6detail15normal_iteratorINS9_10device_ptrIiEEEESE_i9plus_mod3IiEiEEDaPvRmT3_T4_T5_mT6_P12ihipStream_tbENKUlT_T0_E_clISt17integral_constantIbLb1EESU_EEDaSP_SQ_EUlSP_E0_NS1_11comp_targetILNS1_3genE10ELNS1_11target_archE1201ELNS1_3gpuE5ELNS1_3repE0EEENS1_30default_config_static_selectorELNS0_4arch9wavefront6targetE1EEEvT1_, .Lfunc_end6638-_ZN7rocprim17ROCPRIM_400000_NS6detail17trampoline_kernelINS0_14default_configENS1_20scan_config_selectorIiEEZZNS1_9scan_implILNS1_25lookback_scan_determinismE0ELb0ELb0ES3_N6thrust23THRUST_200600_302600_NS6detail15normal_iteratorINS9_10device_ptrIiEEEESE_i9plus_mod3IiEiEEDaPvRmT3_T4_T5_mT6_P12ihipStream_tbENKUlT_T0_E_clISt17integral_constantIbLb1EESU_EEDaSP_SQ_EUlSP_E0_NS1_11comp_targetILNS1_3genE10ELNS1_11target_archE1201ELNS1_3gpuE5ELNS1_3repE0EEENS1_30default_config_static_selectorELNS0_4arch9wavefront6targetE1EEEvT1_
                                        ; -- End function
	.section	.AMDGPU.csdata,"",@progbits
; Kernel info:
; codeLenInByte = 0
; NumSgprs: 4
; NumVgprs: 0
; NumAgprs: 0
; TotalNumVgprs: 0
; ScratchSize: 0
; MemoryBound: 0
; FloatMode: 240
; IeeeMode: 1
; LDSByteSize: 0 bytes/workgroup (compile time only)
; SGPRBlocks: 0
; VGPRBlocks: 0
; NumSGPRsForWavesPerEU: 4
; NumVGPRsForWavesPerEU: 1
; AccumOffset: 4
; Occupancy: 8
; WaveLimiterHint : 0
; COMPUTE_PGM_RSRC2:SCRATCH_EN: 0
; COMPUTE_PGM_RSRC2:USER_SGPR: 6
; COMPUTE_PGM_RSRC2:TRAP_HANDLER: 0
; COMPUTE_PGM_RSRC2:TGID_X_EN: 1
; COMPUTE_PGM_RSRC2:TGID_Y_EN: 0
; COMPUTE_PGM_RSRC2:TGID_Z_EN: 0
; COMPUTE_PGM_RSRC2:TIDIG_COMP_CNT: 0
; COMPUTE_PGM_RSRC3_GFX90A:ACCUM_OFFSET: 0
; COMPUTE_PGM_RSRC3_GFX90A:TG_SPLIT: 0
	.section	.text._ZN7rocprim17ROCPRIM_400000_NS6detail17trampoline_kernelINS0_14default_configENS1_20scan_config_selectorIiEEZZNS1_9scan_implILNS1_25lookback_scan_determinismE0ELb0ELb0ES3_N6thrust23THRUST_200600_302600_NS6detail15normal_iteratorINS9_10device_ptrIiEEEESE_i9plus_mod3IiEiEEDaPvRmT3_T4_T5_mT6_P12ihipStream_tbENKUlT_T0_E_clISt17integral_constantIbLb1EESU_EEDaSP_SQ_EUlSP_E0_NS1_11comp_targetILNS1_3genE10ELNS1_11target_archE1200ELNS1_3gpuE4ELNS1_3repE0EEENS1_30default_config_static_selectorELNS0_4arch9wavefront6targetE1EEEvT1_,"axG",@progbits,_ZN7rocprim17ROCPRIM_400000_NS6detail17trampoline_kernelINS0_14default_configENS1_20scan_config_selectorIiEEZZNS1_9scan_implILNS1_25lookback_scan_determinismE0ELb0ELb0ES3_N6thrust23THRUST_200600_302600_NS6detail15normal_iteratorINS9_10device_ptrIiEEEESE_i9plus_mod3IiEiEEDaPvRmT3_T4_T5_mT6_P12ihipStream_tbENKUlT_T0_E_clISt17integral_constantIbLb1EESU_EEDaSP_SQ_EUlSP_E0_NS1_11comp_targetILNS1_3genE10ELNS1_11target_archE1200ELNS1_3gpuE4ELNS1_3repE0EEENS1_30default_config_static_selectorELNS0_4arch9wavefront6targetE1EEEvT1_,comdat
	.protected	_ZN7rocprim17ROCPRIM_400000_NS6detail17trampoline_kernelINS0_14default_configENS1_20scan_config_selectorIiEEZZNS1_9scan_implILNS1_25lookback_scan_determinismE0ELb0ELb0ES3_N6thrust23THRUST_200600_302600_NS6detail15normal_iteratorINS9_10device_ptrIiEEEESE_i9plus_mod3IiEiEEDaPvRmT3_T4_T5_mT6_P12ihipStream_tbENKUlT_T0_E_clISt17integral_constantIbLb1EESU_EEDaSP_SQ_EUlSP_E0_NS1_11comp_targetILNS1_3genE10ELNS1_11target_archE1200ELNS1_3gpuE4ELNS1_3repE0EEENS1_30default_config_static_selectorELNS0_4arch9wavefront6targetE1EEEvT1_ ; -- Begin function _ZN7rocprim17ROCPRIM_400000_NS6detail17trampoline_kernelINS0_14default_configENS1_20scan_config_selectorIiEEZZNS1_9scan_implILNS1_25lookback_scan_determinismE0ELb0ELb0ES3_N6thrust23THRUST_200600_302600_NS6detail15normal_iteratorINS9_10device_ptrIiEEEESE_i9plus_mod3IiEiEEDaPvRmT3_T4_T5_mT6_P12ihipStream_tbENKUlT_T0_E_clISt17integral_constantIbLb1EESU_EEDaSP_SQ_EUlSP_E0_NS1_11comp_targetILNS1_3genE10ELNS1_11target_archE1200ELNS1_3gpuE4ELNS1_3repE0EEENS1_30default_config_static_selectorELNS0_4arch9wavefront6targetE1EEEvT1_
	.globl	_ZN7rocprim17ROCPRIM_400000_NS6detail17trampoline_kernelINS0_14default_configENS1_20scan_config_selectorIiEEZZNS1_9scan_implILNS1_25lookback_scan_determinismE0ELb0ELb0ES3_N6thrust23THRUST_200600_302600_NS6detail15normal_iteratorINS9_10device_ptrIiEEEESE_i9plus_mod3IiEiEEDaPvRmT3_T4_T5_mT6_P12ihipStream_tbENKUlT_T0_E_clISt17integral_constantIbLb1EESU_EEDaSP_SQ_EUlSP_E0_NS1_11comp_targetILNS1_3genE10ELNS1_11target_archE1200ELNS1_3gpuE4ELNS1_3repE0EEENS1_30default_config_static_selectorELNS0_4arch9wavefront6targetE1EEEvT1_
	.p2align	8
	.type	_ZN7rocprim17ROCPRIM_400000_NS6detail17trampoline_kernelINS0_14default_configENS1_20scan_config_selectorIiEEZZNS1_9scan_implILNS1_25lookback_scan_determinismE0ELb0ELb0ES3_N6thrust23THRUST_200600_302600_NS6detail15normal_iteratorINS9_10device_ptrIiEEEESE_i9plus_mod3IiEiEEDaPvRmT3_T4_T5_mT6_P12ihipStream_tbENKUlT_T0_E_clISt17integral_constantIbLb1EESU_EEDaSP_SQ_EUlSP_E0_NS1_11comp_targetILNS1_3genE10ELNS1_11target_archE1200ELNS1_3gpuE4ELNS1_3repE0EEENS1_30default_config_static_selectorELNS0_4arch9wavefront6targetE1EEEvT1_,@function
_ZN7rocprim17ROCPRIM_400000_NS6detail17trampoline_kernelINS0_14default_configENS1_20scan_config_selectorIiEEZZNS1_9scan_implILNS1_25lookback_scan_determinismE0ELb0ELb0ES3_N6thrust23THRUST_200600_302600_NS6detail15normal_iteratorINS9_10device_ptrIiEEEESE_i9plus_mod3IiEiEEDaPvRmT3_T4_T5_mT6_P12ihipStream_tbENKUlT_T0_E_clISt17integral_constantIbLb1EESU_EEDaSP_SQ_EUlSP_E0_NS1_11comp_targetILNS1_3genE10ELNS1_11target_archE1200ELNS1_3gpuE4ELNS1_3repE0EEENS1_30default_config_static_selectorELNS0_4arch9wavefront6targetE1EEEvT1_: ; @_ZN7rocprim17ROCPRIM_400000_NS6detail17trampoline_kernelINS0_14default_configENS1_20scan_config_selectorIiEEZZNS1_9scan_implILNS1_25lookback_scan_determinismE0ELb0ELb0ES3_N6thrust23THRUST_200600_302600_NS6detail15normal_iteratorINS9_10device_ptrIiEEEESE_i9plus_mod3IiEiEEDaPvRmT3_T4_T5_mT6_P12ihipStream_tbENKUlT_T0_E_clISt17integral_constantIbLb1EESU_EEDaSP_SQ_EUlSP_E0_NS1_11comp_targetILNS1_3genE10ELNS1_11target_archE1200ELNS1_3gpuE4ELNS1_3repE0EEENS1_30default_config_static_selectorELNS0_4arch9wavefront6targetE1EEEvT1_
; %bb.0:
	.section	.rodata,"a",@progbits
	.p2align	6, 0x0
	.amdhsa_kernel _ZN7rocprim17ROCPRIM_400000_NS6detail17trampoline_kernelINS0_14default_configENS1_20scan_config_selectorIiEEZZNS1_9scan_implILNS1_25lookback_scan_determinismE0ELb0ELb0ES3_N6thrust23THRUST_200600_302600_NS6detail15normal_iteratorINS9_10device_ptrIiEEEESE_i9plus_mod3IiEiEEDaPvRmT3_T4_T5_mT6_P12ihipStream_tbENKUlT_T0_E_clISt17integral_constantIbLb1EESU_EEDaSP_SQ_EUlSP_E0_NS1_11comp_targetILNS1_3genE10ELNS1_11target_archE1200ELNS1_3gpuE4ELNS1_3repE0EEENS1_30default_config_static_selectorELNS0_4arch9wavefront6targetE1EEEvT1_
		.amdhsa_group_segment_fixed_size 0
		.amdhsa_private_segment_fixed_size 0
		.amdhsa_kernarg_size 40
		.amdhsa_user_sgpr_count 6
		.amdhsa_user_sgpr_private_segment_buffer 1
		.amdhsa_user_sgpr_dispatch_ptr 0
		.amdhsa_user_sgpr_queue_ptr 0
		.amdhsa_user_sgpr_kernarg_segment_ptr 1
		.amdhsa_user_sgpr_dispatch_id 0
		.amdhsa_user_sgpr_flat_scratch_init 0
		.amdhsa_user_sgpr_kernarg_preload_length 0
		.amdhsa_user_sgpr_kernarg_preload_offset 0
		.amdhsa_user_sgpr_private_segment_size 0
		.amdhsa_uses_dynamic_stack 0
		.amdhsa_system_sgpr_private_segment_wavefront_offset 0
		.amdhsa_system_sgpr_workgroup_id_x 1
		.amdhsa_system_sgpr_workgroup_id_y 0
		.amdhsa_system_sgpr_workgroup_id_z 0
		.amdhsa_system_sgpr_workgroup_info 0
		.amdhsa_system_vgpr_workitem_id 0
		.amdhsa_next_free_vgpr 1
		.amdhsa_next_free_sgpr 0
		.amdhsa_accum_offset 4
		.amdhsa_reserve_vcc 0
		.amdhsa_reserve_flat_scratch 0
		.amdhsa_float_round_mode_32 0
		.amdhsa_float_round_mode_16_64 0
		.amdhsa_float_denorm_mode_32 3
		.amdhsa_float_denorm_mode_16_64 3
		.amdhsa_dx10_clamp 1
		.amdhsa_ieee_mode 1
		.amdhsa_fp16_overflow 0
		.amdhsa_tg_split 0
		.amdhsa_exception_fp_ieee_invalid_op 0
		.amdhsa_exception_fp_denorm_src 0
		.amdhsa_exception_fp_ieee_div_zero 0
		.amdhsa_exception_fp_ieee_overflow 0
		.amdhsa_exception_fp_ieee_underflow 0
		.amdhsa_exception_fp_ieee_inexact 0
		.amdhsa_exception_int_div_zero 0
	.end_amdhsa_kernel
	.section	.text._ZN7rocprim17ROCPRIM_400000_NS6detail17trampoline_kernelINS0_14default_configENS1_20scan_config_selectorIiEEZZNS1_9scan_implILNS1_25lookback_scan_determinismE0ELb0ELb0ES3_N6thrust23THRUST_200600_302600_NS6detail15normal_iteratorINS9_10device_ptrIiEEEESE_i9plus_mod3IiEiEEDaPvRmT3_T4_T5_mT6_P12ihipStream_tbENKUlT_T0_E_clISt17integral_constantIbLb1EESU_EEDaSP_SQ_EUlSP_E0_NS1_11comp_targetILNS1_3genE10ELNS1_11target_archE1200ELNS1_3gpuE4ELNS1_3repE0EEENS1_30default_config_static_selectorELNS0_4arch9wavefront6targetE1EEEvT1_,"axG",@progbits,_ZN7rocprim17ROCPRIM_400000_NS6detail17trampoline_kernelINS0_14default_configENS1_20scan_config_selectorIiEEZZNS1_9scan_implILNS1_25lookback_scan_determinismE0ELb0ELb0ES3_N6thrust23THRUST_200600_302600_NS6detail15normal_iteratorINS9_10device_ptrIiEEEESE_i9plus_mod3IiEiEEDaPvRmT3_T4_T5_mT6_P12ihipStream_tbENKUlT_T0_E_clISt17integral_constantIbLb1EESU_EEDaSP_SQ_EUlSP_E0_NS1_11comp_targetILNS1_3genE10ELNS1_11target_archE1200ELNS1_3gpuE4ELNS1_3repE0EEENS1_30default_config_static_selectorELNS0_4arch9wavefront6targetE1EEEvT1_,comdat
.Lfunc_end6639:
	.size	_ZN7rocprim17ROCPRIM_400000_NS6detail17trampoline_kernelINS0_14default_configENS1_20scan_config_selectorIiEEZZNS1_9scan_implILNS1_25lookback_scan_determinismE0ELb0ELb0ES3_N6thrust23THRUST_200600_302600_NS6detail15normal_iteratorINS9_10device_ptrIiEEEESE_i9plus_mod3IiEiEEDaPvRmT3_T4_T5_mT6_P12ihipStream_tbENKUlT_T0_E_clISt17integral_constantIbLb1EESU_EEDaSP_SQ_EUlSP_E0_NS1_11comp_targetILNS1_3genE10ELNS1_11target_archE1200ELNS1_3gpuE4ELNS1_3repE0EEENS1_30default_config_static_selectorELNS0_4arch9wavefront6targetE1EEEvT1_, .Lfunc_end6639-_ZN7rocprim17ROCPRIM_400000_NS6detail17trampoline_kernelINS0_14default_configENS1_20scan_config_selectorIiEEZZNS1_9scan_implILNS1_25lookback_scan_determinismE0ELb0ELb0ES3_N6thrust23THRUST_200600_302600_NS6detail15normal_iteratorINS9_10device_ptrIiEEEESE_i9plus_mod3IiEiEEDaPvRmT3_T4_T5_mT6_P12ihipStream_tbENKUlT_T0_E_clISt17integral_constantIbLb1EESU_EEDaSP_SQ_EUlSP_E0_NS1_11comp_targetILNS1_3genE10ELNS1_11target_archE1200ELNS1_3gpuE4ELNS1_3repE0EEENS1_30default_config_static_selectorELNS0_4arch9wavefront6targetE1EEEvT1_
                                        ; -- End function
	.section	.AMDGPU.csdata,"",@progbits
; Kernel info:
; codeLenInByte = 0
; NumSgprs: 4
; NumVgprs: 0
; NumAgprs: 0
; TotalNumVgprs: 0
; ScratchSize: 0
; MemoryBound: 0
; FloatMode: 240
; IeeeMode: 1
; LDSByteSize: 0 bytes/workgroup (compile time only)
; SGPRBlocks: 0
; VGPRBlocks: 0
; NumSGPRsForWavesPerEU: 4
; NumVGPRsForWavesPerEU: 1
; AccumOffset: 4
; Occupancy: 8
; WaveLimiterHint : 0
; COMPUTE_PGM_RSRC2:SCRATCH_EN: 0
; COMPUTE_PGM_RSRC2:USER_SGPR: 6
; COMPUTE_PGM_RSRC2:TRAP_HANDLER: 0
; COMPUTE_PGM_RSRC2:TGID_X_EN: 1
; COMPUTE_PGM_RSRC2:TGID_Y_EN: 0
; COMPUTE_PGM_RSRC2:TGID_Z_EN: 0
; COMPUTE_PGM_RSRC2:TIDIG_COMP_CNT: 0
; COMPUTE_PGM_RSRC3_GFX90A:ACCUM_OFFSET: 0
; COMPUTE_PGM_RSRC3_GFX90A:TG_SPLIT: 0
	.section	.text._ZN7rocprim17ROCPRIM_400000_NS6detail17trampoline_kernelINS0_14default_configENS1_20scan_config_selectorIiEEZZNS1_9scan_implILNS1_25lookback_scan_determinismE0ELb0ELb0ES3_N6thrust23THRUST_200600_302600_NS6detail15normal_iteratorINS9_10device_ptrIiEEEESE_i9plus_mod3IiEiEEDaPvRmT3_T4_T5_mT6_P12ihipStream_tbENKUlT_T0_E_clISt17integral_constantIbLb1EESU_EEDaSP_SQ_EUlSP_E0_NS1_11comp_targetILNS1_3genE9ELNS1_11target_archE1100ELNS1_3gpuE3ELNS1_3repE0EEENS1_30default_config_static_selectorELNS0_4arch9wavefront6targetE1EEEvT1_,"axG",@progbits,_ZN7rocprim17ROCPRIM_400000_NS6detail17trampoline_kernelINS0_14default_configENS1_20scan_config_selectorIiEEZZNS1_9scan_implILNS1_25lookback_scan_determinismE0ELb0ELb0ES3_N6thrust23THRUST_200600_302600_NS6detail15normal_iteratorINS9_10device_ptrIiEEEESE_i9plus_mod3IiEiEEDaPvRmT3_T4_T5_mT6_P12ihipStream_tbENKUlT_T0_E_clISt17integral_constantIbLb1EESU_EEDaSP_SQ_EUlSP_E0_NS1_11comp_targetILNS1_3genE9ELNS1_11target_archE1100ELNS1_3gpuE3ELNS1_3repE0EEENS1_30default_config_static_selectorELNS0_4arch9wavefront6targetE1EEEvT1_,comdat
	.protected	_ZN7rocprim17ROCPRIM_400000_NS6detail17trampoline_kernelINS0_14default_configENS1_20scan_config_selectorIiEEZZNS1_9scan_implILNS1_25lookback_scan_determinismE0ELb0ELb0ES3_N6thrust23THRUST_200600_302600_NS6detail15normal_iteratorINS9_10device_ptrIiEEEESE_i9plus_mod3IiEiEEDaPvRmT3_T4_T5_mT6_P12ihipStream_tbENKUlT_T0_E_clISt17integral_constantIbLb1EESU_EEDaSP_SQ_EUlSP_E0_NS1_11comp_targetILNS1_3genE9ELNS1_11target_archE1100ELNS1_3gpuE3ELNS1_3repE0EEENS1_30default_config_static_selectorELNS0_4arch9wavefront6targetE1EEEvT1_ ; -- Begin function _ZN7rocprim17ROCPRIM_400000_NS6detail17trampoline_kernelINS0_14default_configENS1_20scan_config_selectorIiEEZZNS1_9scan_implILNS1_25lookback_scan_determinismE0ELb0ELb0ES3_N6thrust23THRUST_200600_302600_NS6detail15normal_iteratorINS9_10device_ptrIiEEEESE_i9plus_mod3IiEiEEDaPvRmT3_T4_T5_mT6_P12ihipStream_tbENKUlT_T0_E_clISt17integral_constantIbLb1EESU_EEDaSP_SQ_EUlSP_E0_NS1_11comp_targetILNS1_3genE9ELNS1_11target_archE1100ELNS1_3gpuE3ELNS1_3repE0EEENS1_30default_config_static_selectorELNS0_4arch9wavefront6targetE1EEEvT1_
	.globl	_ZN7rocprim17ROCPRIM_400000_NS6detail17trampoline_kernelINS0_14default_configENS1_20scan_config_selectorIiEEZZNS1_9scan_implILNS1_25lookback_scan_determinismE0ELb0ELb0ES3_N6thrust23THRUST_200600_302600_NS6detail15normal_iteratorINS9_10device_ptrIiEEEESE_i9plus_mod3IiEiEEDaPvRmT3_T4_T5_mT6_P12ihipStream_tbENKUlT_T0_E_clISt17integral_constantIbLb1EESU_EEDaSP_SQ_EUlSP_E0_NS1_11comp_targetILNS1_3genE9ELNS1_11target_archE1100ELNS1_3gpuE3ELNS1_3repE0EEENS1_30default_config_static_selectorELNS0_4arch9wavefront6targetE1EEEvT1_
	.p2align	8
	.type	_ZN7rocprim17ROCPRIM_400000_NS6detail17trampoline_kernelINS0_14default_configENS1_20scan_config_selectorIiEEZZNS1_9scan_implILNS1_25lookback_scan_determinismE0ELb0ELb0ES3_N6thrust23THRUST_200600_302600_NS6detail15normal_iteratorINS9_10device_ptrIiEEEESE_i9plus_mod3IiEiEEDaPvRmT3_T4_T5_mT6_P12ihipStream_tbENKUlT_T0_E_clISt17integral_constantIbLb1EESU_EEDaSP_SQ_EUlSP_E0_NS1_11comp_targetILNS1_3genE9ELNS1_11target_archE1100ELNS1_3gpuE3ELNS1_3repE0EEENS1_30default_config_static_selectorELNS0_4arch9wavefront6targetE1EEEvT1_,@function
_ZN7rocprim17ROCPRIM_400000_NS6detail17trampoline_kernelINS0_14default_configENS1_20scan_config_selectorIiEEZZNS1_9scan_implILNS1_25lookback_scan_determinismE0ELb0ELb0ES3_N6thrust23THRUST_200600_302600_NS6detail15normal_iteratorINS9_10device_ptrIiEEEESE_i9plus_mod3IiEiEEDaPvRmT3_T4_T5_mT6_P12ihipStream_tbENKUlT_T0_E_clISt17integral_constantIbLb1EESU_EEDaSP_SQ_EUlSP_E0_NS1_11comp_targetILNS1_3genE9ELNS1_11target_archE1100ELNS1_3gpuE3ELNS1_3repE0EEENS1_30default_config_static_selectorELNS0_4arch9wavefront6targetE1EEEvT1_: ; @_ZN7rocprim17ROCPRIM_400000_NS6detail17trampoline_kernelINS0_14default_configENS1_20scan_config_selectorIiEEZZNS1_9scan_implILNS1_25lookback_scan_determinismE0ELb0ELb0ES3_N6thrust23THRUST_200600_302600_NS6detail15normal_iteratorINS9_10device_ptrIiEEEESE_i9plus_mod3IiEiEEDaPvRmT3_T4_T5_mT6_P12ihipStream_tbENKUlT_T0_E_clISt17integral_constantIbLb1EESU_EEDaSP_SQ_EUlSP_E0_NS1_11comp_targetILNS1_3genE9ELNS1_11target_archE1100ELNS1_3gpuE3ELNS1_3repE0EEENS1_30default_config_static_selectorELNS0_4arch9wavefront6targetE1EEEvT1_
; %bb.0:
	.section	.rodata,"a",@progbits
	.p2align	6, 0x0
	.amdhsa_kernel _ZN7rocprim17ROCPRIM_400000_NS6detail17trampoline_kernelINS0_14default_configENS1_20scan_config_selectorIiEEZZNS1_9scan_implILNS1_25lookback_scan_determinismE0ELb0ELb0ES3_N6thrust23THRUST_200600_302600_NS6detail15normal_iteratorINS9_10device_ptrIiEEEESE_i9plus_mod3IiEiEEDaPvRmT3_T4_T5_mT6_P12ihipStream_tbENKUlT_T0_E_clISt17integral_constantIbLb1EESU_EEDaSP_SQ_EUlSP_E0_NS1_11comp_targetILNS1_3genE9ELNS1_11target_archE1100ELNS1_3gpuE3ELNS1_3repE0EEENS1_30default_config_static_selectorELNS0_4arch9wavefront6targetE1EEEvT1_
		.amdhsa_group_segment_fixed_size 0
		.amdhsa_private_segment_fixed_size 0
		.amdhsa_kernarg_size 40
		.amdhsa_user_sgpr_count 6
		.amdhsa_user_sgpr_private_segment_buffer 1
		.amdhsa_user_sgpr_dispatch_ptr 0
		.amdhsa_user_sgpr_queue_ptr 0
		.amdhsa_user_sgpr_kernarg_segment_ptr 1
		.amdhsa_user_sgpr_dispatch_id 0
		.amdhsa_user_sgpr_flat_scratch_init 0
		.amdhsa_user_sgpr_kernarg_preload_length 0
		.amdhsa_user_sgpr_kernarg_preload_offset 0
		.amdhsa_user_sgpr_private_segment_size 0
		.amdhsa_uses_dynamic_stack 0
		.amdhsa_system_sgpr_private_segment_wavefront_offset 0
		.amdhsa_system_sgpr_workgroup_id_x 1
		.amdhsa_system_sgpr_workgroup_id_y 0
		.amdhsa_system_sgpr_workgroup_id_z 0
		.amdhsa_system_sgpr_workgroup_info 0
		.amdhsa_system_vgpr_workitem_id 0
		.amdhsa_next_free_vgpr 1
		.amdhsa_next_free_sgpr 0
		.amdhsa_accum_offset 4
		.amdhsa_reserve_vcc 0
		.amdhsa_reserve_flat_scratch 0
		.amdhsa_float_round_mode_32 0
		.amdhsa_float_round_mode_16_64 0
		.amdhsa_float_denorm_mode_32 3
		.amdhsa_float_denorm_mode_16_64 3
		.amdhsa_dx10_clamp 1
		.amdhsa_ieee_mode 1
		.amdhsa_fp16_overflow 0
		.amdhsa_tg_split 0
		.amdhsa_exception_fp_ieee_invalid_op 0
		.amdhsa_exception_fp_denorm_src 0
		.amdhsa_exception_fp_ieee_div_zero 0
		.amdhsa_exception_fp_ieee_overflow 0
		.amdhsa_exception_fp_ieee_underflow 0
		.amdhsa_exception_fp_ieee_inexact 0
		.amdhsa_exception_int_div_zero 0
	.end_amdhsa_kernel
	.section	.text._ZN7rocprim17ROCPRIM_400000_NS6detail17trampoline_kernelINS0_14default_configENS1_20scan_config_selectorIiEEZZNS1_9scan_implILNS1_25lookback_scan_determinismE0ELb0ELb0ES3_N6thrust23THRUST_200600_302600_NS6detail15normal_iteratorINS9_10device_ptrIiEEEESE_i9plus_mod3IiEiEEDaPvRmT3_T4_T5_mT6_P12ihipStream_tbENKUlT_T0_E_clISt17integral_constantIbLb1EESU_EEDaSP_SQ_EUlSP_E0_NS1_11comp_targetILNS1_3genE9ELNS1_11target_archE1100ELNS1_3gpuE3ELNS1_3repE0EEENS1_30default_config_static_selectorELNS0_4arch9wavefront6targetE1EEEvT1_,"axG",@progbits,_ZN7rocprim17ROCPRIM_400000_NS6detail17trampoline_kernelINS0_14default_configENS1_20scan_config_selectorIiEEZZNS1_9scan_implILNS1_25lookback_scan_determinismE0ELb0ELb0ES3_N6thrust23THRUST_200600_302600_NS6detail15normal_iteratorINS9_10device_ptrIiEEEESE_i9plus_mod3IiEiEEDaPvRmT3_T4_T5_mT6_P12ihipStream_tbENKUlT_T0_E_clISt17integral_constantIbLb1EESU_EEDaSP_SQ_EUlSP_E0_NS1_11comp_targetILNS1_3genE9ELNS1_11target_archE1100ELNS1_3gpuE3ELNS1_3repE0EEENS1_30default_config_static_selectorELNS0_4arch9wavefront6targetE1EEEvT1_,comdat
.Lfunc_end6640:
	.size	_ZN7rocprim17ROCPRIM_400000_NS6detail17trampoline_kernelINS0_14default_configENS1_20scan_config_selectorIiEEZZNS1_9scan_implILNS1_25lookback_scan_determinismE0ELb0ELb0ES3_N6thrust23THRUST_200600_302600_NS6detail15normal_iteratorINS9_10device_ptrIiEEEESE_i9plus_mod3IiEiEEDaPvRmT3_T4_T5_mT6_P12ihipStream_tbENKUlT_T0_E_clISt17integral_constantIbLb1EESU_EEDaSP_SQ_EUlSP_E0_NS1_11comp_targetILNS1_3genE9ELNS1_11target_archE1100ELNS1_3gpuE3ELNS1_3repE0EEENS1_30default_config_static_selectorELNS0_4arch9wavefront6targetE1EEEvT1_, .Lfunc_end6640-_ZN7rocprim17ROCPRIM_400000_NS6detail17trampoline_kernelINS0_14default_configENS1_20scan_config_selectorIiEEZZNS1_9scan_implILNS1_25lookback_scan_determinismE0ELb0ELb0ES3_N6thrust23THRUST_200600_302600_NS6detail15normal_iteratorINS9_10device_ptrIiEEEESE_i9plus_mod3IiEiEEDaPvRmT3_T4_T5_mT6_P12ihipStream_tbENKUlT_T0_E_clISt17integral_constantIbLb1EESU_EEDaSP_SQ_EUlSP_E0_NS1_11comp_targetILNS1_3genE9ELNS1_11target_archE1100ELNS1_3gpuE3ELNS1_3repE0EEENS1_30default_config_static_selectorELNS0_4arch9wavefront6targetE1EEEvT1_
                                        ; -- End function
	.section	.AMDGPU.csdata,"",@progbits
; Kernel info:
; codeLenInByte = 0
; NumSgprs: 4
; NumVgprs: 0
; NumAgprs: 0
; TotalNumVgprs: 0
; ScratchSize: 0
; MemoryBound: 0
; FloatMode: 240
; IeeeMode: 1
; LDSByteSize: 0 bytes/workgroup (compile time only)
; SGPRBlocks: 0
; VGPRBlocks: 0
; NumSGPRsForWavesPerEU: 4
; NumVGPRsForWavesPerEU: 1
; AccumOffset: 4
; Occupancy: 8
; WaveLimiterHint : 0
; COMPUTE_PGM_RSRC2:SCRATCH_EN: 0
; COMPUTE_PGM_RSRC2:USER_SGPR: 6
; COMPUTE_PGM_RSRC2:TRAP_HANDLER: 0
; COMPUTE_PGM_RSRC2:TGID_X_EN: 1
; COMPUTE_PGM_RSRC2:TGID_Y_EN: 0
; COMPUTE_PGM_RSRC2:TGID_Z_EN: 0
; COMPUTE_PGM_RSRC2:TIDIG_COMP_CNT: 0
; COMPUTE_PGM_RSRC3_GFX90A:ACCUM_OFFSET: 0
; COMPUTE_PGM_RSRC3_GFX90A:TG_SPLIT: 0
	.section	.text._ZN7rocprim17ROCPRIM_400000_NS6detail17trampoline_kernelINS0_14default_configENS1_20scan_config_selectorIiEEZZNS1_9scan_implILNS1_25lookback_scan_determinismE0ELb0ELb0ES3_N6thrust23THRUST_200600_302600_NS6detail15normal_iteratorINS9_10device_ptrIiEEEESE_i9plus_mod3IiEiEEDaPvRmT3_T4_T5_mT6_P12ihipStream_tbENKUlT_T0_E_clISt17integral_constantIbLb1EESU_EEDaSP_SQ_EUlSP_E0_NS1_11comp_targetILNS1_3genE8ELNS1_11target_archE1030ELNS1_3gpuE2ELNS1_3repE0EEENS1_30default_config_static_selectorELNS0_4arch9wavefront6targetE1EEEvT1_,"axG",@progbits,_ZN7rocprim17ROCPRIM_400000_NS6detail17trampoline_kernelINS0_14default_configENS1_20scan_config_selectorIiEEZZNS1_9scan_implILNS1_25lookback_scan_determinismE0ELb0ELb0ES3_N6thrust23THRUST_200600_302600_NS6detail15normal_iteratorINS9_10device_ptrIiEEEESE_i9plus_mod3IiEiEEDaPvRmT3_T4_T5_mT6_P12ihipStream_tbENKUlT_T0_E_clISt17integral_constantIbLb1EESU_EEDaSP_SQ_EUlSP_E0_NS1_11comp_targetILNS1_3genE8ELNS1_11target_archE1030ELNS1_3gpuE2ELNS1_3repE0EEENS1_30default_config_static_selectorELNS0_4arch9wavefront6targetE1EEEvT1_,comdat
	.protected	_ZN7rocprim17ROCPRIM_400000_NS6detail17trampoline_kernelINS0_14default_configENS1_20scan_config_selectorIiEEZZNS1_9scan_implILNS1_25lookback_scan_determinismE0ELb0ELb0ES3_N6thrust23THRUST_200600_302600_NS6detail15normal_iteratorINS9_10device_ptrIiEEEESE_i9plus_mod3IiEiEEDaPvRmT3_T4_T5_mT6_P12ihipStream_tbENKUlT_T0_E_clISt17integral_constantIbLb1EESU_EEDaSP_SQ_EUlSP_E0_NS1_11comp_targetILNS1_3genE8ELNS1_11target_archE1030ELNS1_3gpuE2ELNS1_3repE0EEENS1_30default_config_static_selectorELNS0_4arch9wavefront6targetE1EEEvT1_ ; -- Begin function _ZN7rocprim17ROCPRIM_400000_NS6detail17trampoline_kernelINS0_14default_configENS1_20scan_config_selectorIiEEZZNS1_9scan_implILNS1_25lookback_scan_determinismE0ELb0ELb0ES3_N6thrust23THRUST_200600_302600_NS6detail15normal_iteratorINS9_10device_ptrIiEEEESE_i9plus_mod3IiEiEEDaPvRmT3_T4_T5_mT6_P12ihipStream_tbENKUlT_T0_E_clISt17integral_constantIbLb1EESU_EEDaSP_SQ_EUlSP_E0_NS1_11comp_targetILNS1_3genE8ELNS1_11target_archE1030ELNS1_3gpuE2ELNS1_3repE0EEENS1_30default_config_static_selectorELNS0_4arch9wavefront6targetE1EEEvT1_
	.globl	_ZN7rocprim17ROCPRIM_400000_NS6detail17trampoline_kernelINS0_14default_configENS1_20scan_config_selectorIiEEZZNS1_9scan_implILNS1_25lookback_scan_determinismE0ELb0ELb0ES3_N6thrust23THRUST_200600_302600_NS6detail15normal_iteratorINS9_10device_ptrIiEEEESE_i9plus_mod3IiEiEEDaPvRmT3_T4_T5_mT6_P12ihipStream_tbENKUlT_T0_E_clISt17integral_constantIbLb1EESU_EEDaSP_SQ_EUlSP_E0_NS1_11comp_targetILNS1_3genE8ELNS1_11target_archE1030ELNS1_3gpuE2ELNS1_3repE0EEENS1_30default_config_static_selectorELNS0_4arch9wavefront6targetE1EEEvT1_
	.p2align	8
	.type	_ZN7rocprim17ROCPRIM_400000_NS6detail17trampoline_kernelINS0_14default_configENS1_20scan_config_selectorIiEEZZNS1_9scan_implILNS1_25lookback_scan_determinismE0ELb0ELb0ES3_N6thrust23THRUST_200600_302600_NS6detail15normal_iteratorINS9_10device_ptrIiEEEESE_i9plus_mod3IiEiEEDaPvRmT3_T4_T5_mT6_P12ihipStream_tbENKUlT_T0_E_clISt17integral_constantIbLb1EESU_EEDaSP_SQ_EUlSP_E0_NS1_11comp_targetILNS1_3genE8ELNS1_11target_archE1030ELNS1_3gpuE2ELNS1_3repE0EEENS1_30default_config_static_selectorELNS0_4arch9wavefront6targetE1EEEvT1_,@function
_ZN7rocprim17ROCPRIM_400000_NS6detail17trampoline_kernelINS0_14default_configENS1_20scan_config_selectorIiEEZZNS1_9scan_implILNS1_25lookback_scan_determinismE0ELb0ELb0ES3_N6thrust23THRUST_200600_302600_NS6detail15normal_iteratorINS9_10device_ptrIiEEEESE_i9plus_mod3IiEiEEDaPvRmT3_T4_T5_mT6_P12ihipStream_tbENKUlT_T0_E_clISt17integral_constantIbLb1EESU_EEDaSP_SQ_EUlSP_E0_NS1_11comp_targetILNS1_3genE8ELNS1_11target_archE1030ELNS1_3gpuE2ELNS1_3repE0EEENS1_30default_config_static_selectorELNS0_4arch9wavefront6targetE1EEEvT1_: ; @_ZN7rocprim17ROCPRIM_400000_NS6detail17trampoline_kernelINS0_14default_configENS1_20scan_config_selectorIiEEZZNS1_9scan_implILNS1_25lookback_scan_determinismE0ELb0ELb0ES3_N6thrust23THRUST_200600_302600_NS6detail15normal_iteratorINS9_10device_ptrIiEEEESE_i9plus_mod3IiEiEEDaPvRmT3_T4_T5_mT6_P12ihipStream_tbENKUlT_T0_E_clISt17integral_constantIbLb1EESU_EEDaSP_SQ_EUlSP_E0_NS1_11comp_targetILNS1_3genE8ELNS1_11target_archE1030ELNS1_3gpuE2ELNS1_3repE0EEENS1_30default_config_static_selectorELNS0_4arch9wavefront6targetE1EEEvT1_
; %bb.0:
	.section	.rodata,"a",@progbits
	.p2align	6, 0x0
	.amdhsa_kernel _ZN7rocprim17ROCPRIM_400000_NS6detail17trampoline_kernelINS0_14default_configENS1_20scan_config_selectorIiEEZZNS1_9scan_implILNS1_25lookback_scan_determinismE0ELb0ELb0ES3_N6thrust23THRUST_200600_302600_NS6detail15normal_iteratorINS9_10device_ptrIiEEEESE_i9plus_mod3IiEiEEDaPvRmT3_T4_T5_mT6_P12ihipStream_tbENKUlT_T0_E_clISt17integral_constantIbLb1EESU_EEDaSP_SQ_EUlSP_E0_NS1_11comp_targetILNS1_3genE8ELNS1_11target_archE1030ELNS1_3gpuE2ELNS1_3repE0EEENS1_30default_config_static_selectorELNS0_4arch9wavefront6targetE1EEEvT1_
		.amdhsa_group_segment_fixed_size 0
		.amdhsa_private_segment_fixed_size 0
		.amdhsa_kernarg_size 40
		.amdhsa_user_sgpr_count 6
		.amdhsa_user_sgpr_private_segment_buffer 1
		.amdhsa_user_sgpr_dispatch_ptr 0
		.amdhsa_user_sgpr_queue_ptr 0
		.amdhsa_user_sgpr_kernarg_segment_ptr 1
		.amdhsa_user_sgpr_dispatch_id 0
		.amdhsa_user_sgpr_flat_scratch_init 0
		.amdhsa_user_sgpr_kernarg_preload_length 0
		.amdhsa_user_sgpr_kernarg_preload_offset 0
		.amdhsa_user_sgpr_private_segment_size 0
		.amdhsa_uses_dynamic_stack 0
		.amdhsa_system_sgpr_private_segment_wavefront_offset 0
		.amdhsa_system_sgpr_workgroup_id_x 1
		.amdhsa_system_sgpr_workgroup_id_y 0
		.amdhsa_system_sgpr_workgroup_id_z 0
		.amdhsa_system_sgpr_workgroup_info 0
		.amdhsa_system_vgpr_workitem_id 0
		.amdhsa_next_free_vgpr 1
		.amdhsa_next_free_sgpr 0
		.amdhsa_accum_offset 4
		.amdhsa_reserve_vcc 0
		.amdhsa_reserve_flat_scratch 0
		.amdhsa_float_round_mode_32 0
		.amdhsa_float_round_mode_16_64 0
		.amdhsa_float_denorm_mode_32 3
		.amdhsa_float_denorm_mode_16_64 3
		.amdhsa_dx10_clamp 1
		.amdhsa_ieee_mode 1
		.amdhsa_fp16_overflow 0
		.amdhsa_tg_split 0
		.amdhsa_exception_fp_ieee_invalid_op 0
		.amdhsa_exception_fp_denorm_src 0
		.amdhsa_exception_fp_ieee_div_zero 0
		.amdhsa_exception_fp_ieee_overflow 0
		.amdhsa_exception_fp_ieee_underflow 0
		.amdhsa_exception_fp_ieee_inexact 0
		.amdhsa_exception_int_div_zero 0
	.end_amdhsa_kernel
	.section	.text._ZN7rocprim17ROCPRIM_400000_NS6detail17trampoline_kernelINS0_14default_configENS1_20scan_config_selectorIiEEZZNS1_9scan_implILNS1_25lookback_scan_determinismE0ELb0ELb0ES3_N6thrust23THRUST_200600_302600_NS6detail15normal_iteratorINS9_10device_ptrIiEEEESE_i9plus_mod3IiEiEEDaPvRmT3_T4_T5_mT6_P12ihipStream_tbENKUlT_T0_E_clISt17integral_constantIbLb1EESU_EEDaSP_SQ_EUlSP_E0_NS1_11comp_targetILNS1_3genE8ELNS1_11target_archE1030ELNS1_3gpuE2ELNS1_3repE0EEENS1_30default_config_static_selectorELNS0_4arch9wavefront6targetE1EEEvT1_,"axG",@progbits,_ZN7rocprim17ROCPRIM_400000_NS6detail17trampoline_kernelINS0_14default_configENS1_20scan_config_selectorIiEEZZNS1_9scan_implILNS1_25lookback_scan_determinismE0ELb0ELb0ES3_N6thrust23THRUST_200600_302600_NS6detail15normal_iteratorINS9_10device_ptrIiEEEESE_i9plus_mod3IiEiEEDaPvRmT3_T4_T5_mT6_P12ihipStream_tbENKUlT_T0_E_clISt17integral_constantIbLb1EESU_EEDaSP_SQ_EUlSP_E0_NS1_11comp_targetILNS1_3genE8ELNS1_11target_archE1030ELNS1_3gpuE2ELNS1_3repE0EEENS1_30default_config_static_selectorELNS0_4arch9wavefront6targetE1EEEvT1_,comdat
.Lfunc_end6641:
	.size	_ZN7rocprim17ROCPRIM_400000_NS6detail17trampoline_kernelINS0_14default_configENS1_20scan_config_selectorIiEEZZNS1_9scan_implILNS1_25lookback_scan_determinismE0ELb0ELb0ES3_N6thrust23THRUST_200600_302600_NS6detail15normal_iteratorINS9_10device_ptrIiEEEESE_i9plus_mod3IiEiEEDaPvRmT3_T4_T5_mT6_P12ihipStream_tbENKUlT_T0_E_clISt17integral_constantIbLb1EESU_EEDaSP_SQ_EUlSP_E0_NS1_11comp_targetILNS1_3genE8ELNS1_11target_archE1030ELNS1_3gpuE2ELNS1_3repE0EEENS1_30default_config_static_selectorELNS0_4arch9wavefront6targetE1EEEvT1_, .Lfunc_end6641-_ZN7rocprim17ROCPRIM_400000_NS6detail17trampoline_kernelINS0_14default_configENS1_20scan_config_selectorIiEEZZNS1_9scan_implILNS1_25lookback_scan_determinismE0ELb0ELb0ES3_N6thrust23THRUST_200600_302600_NS6detail15normal_iteratorINS9_10device_ptrIiEEEESE_i9plus_mod3IiEiEEDaPvRmT3_T4_T5_mT6_P12ihipStream_tbENKUlT_T0_E_clISt17integral_constantIbLb1EESU_EEDaSP_SQ_EUlSP_E0_NS1_11comp_targetILNS1_3genE8ELNS1_11target_archE1030ELNS1_3gpuE2ELNS1_3repE0EEENS1_30default_config_static_selectorELNS0_4arch9wavefront6targetE1EEEvT1_
                                        ; -- End function
	.section	.AMDGPU.csdata,"",@progbits
; Kernel info:
; codeLenInByte = 0
; NumSgprs: 4
; NumVgprs: 0
; NumAgprs: 0
; TotalNumVgprs: 0
; ScratchSize: 0
; MemoryBound: 0
; FloatMode: 240
; IeeeMode: 1
; LDSByteSize: 0 bytes/workgroup (compile time only)
; SGPRBlocks: 0
; VGPRBlocks: 0
; NumSGPRsForWavesPerEU: 4
; NumVGPRsForWavesPerEU: 1
; AccumOffset: 4
; Occupancy: 8
; WaveLimiterHint : 0
; COMPUTE_PGM_RSRC2:SCRATCH_EN: 0
; COMPUTE_PGM_RSRC2:USER_SGPR: 6
; COMPUTE_PGM_RSRC2:TRAP_HANDLER: 0
; COMPUTE_PGM_RSRC2:TGID_X_EN: 1
; COMPUTE_PGM_RSRC2:TGID_Y_EN: 0
; COMPUTE_PGM_RSRC2:TGID_Z_EN: 0
; COMPUTE_PGM_RSRC2:TIDIG_COMP_CNT: 0
; COMPUTE_PGM_RSRC3_GFX90A:ACCUM_OFFSET: 0
; COMPUTE_PGM_RSRC3_GFX90A:TG_SPLIT: 0
	.section	.text._ZN7rocprim17ROCPRIM_400000_NS6detail17trampoline_kernelINS0_14default_configENS1_20scan_config_selectorIiEEZZNS1_9scan_implILNS1_25lookback_scan_determinismE0ELb0ELb0ES3_N6thrust23THRUST_200600_302600_NS6detail15normal_iteratorINS9_10device_ptrIiEEEESE_i9plus_mod3IiEiEEDaPvRmT3_T4_T5_mT6_P12ihipStream_tbENKUlT_T0_E_clISt17integral_constantIbLb1EEST_IbLb0EEEEDaSP_SQ_EUlSP_E_NS1_11comp_targetILNS1_3genE0ELNS1_11target_archE4294967295ELNS1_3gpuE0ELNS1_3repE0EEENS1_30default_config_static_selectorELNS0_4arch9wavefront6targetE1EEEvT1_,"axG",@progbits,_ZN7rocprim17ROCPRIM_400000_NS6detail17trampoline_kernelINS0_14default_configENS1_20scan_config_selectorIiEEZZNS1_9scan_implILNS1_25lookback_scan_determinismE0ELb0ELb0ES3_N6thrust23THRUST_200600_302600_NS6detail15normal_iteratorINS9_10device_ptrIiEEEESE_i9plus_mod3IiEiEEDaPvRmT3_T4_T5_mT6_P12ihipStream_tbENKUlT_T0_E_clISt17integral_constantIbLb1EEST_IbLb0EEEEDaSP_SQ_EUlSP_E_NS1_11comp_targetILNS1_3genE0ELNS1_11target_archE4294967295ELNS1_3gpuE0ELNS1_3repE0EEENS1_30default_config_static_selectorELNS0_4arch9wavefront6targetE1EEEvT1_,comdat
	.protected	_ZN7rocprim17ROCPRIM_400000_NS6detail17trampoline_kernelINS0_14default_configENS1_20scan_config_selectorIiEEZZNS1_9scan_implILNS1_25lookback_scan_determinismE0ELb0ELb0ES3_N6thrust23THRUST_200600_302600_NS6detail15normal_iteratorINS9_10device_ptrIiEEEESE_i9plus_mod3IiEiEEDaPvRmT3_T4_T5_mT6_P12ihipStream_tbENKUlT_T0_E_clISt17integral_constantIbLb1EEST_IbLb0EEEEDaSP_SQ_EUlSP_E_NS1_11comp_targetILNS1_3genE0ELNS1_11target_archE4294967295ELNS1_3gpuE0ELNS1_3repE0EEENS1_30default_config_static_selectorELNS0_4arch9wavefront6targetE1EEEvT1_ ; -- Begin function _ZN7rocprim17ROCPRIM_400000_NS6detail17trampoline_kernelINS0_14default_configENS1_20scan_config_selectorIiEEZZNS1_9scan_implILNS1_25lookback_scan_determinismE0ELb0ELb0ES3_N6thrust23THRUST_200600_302600_NS6detail15normal_iteratorINS9_10device_ptrIiEEEESE_i9plus_mod3IiEiEEDaPvRmT3_T4_T5_mT6_P12ihipStream_tbENKUlT_T0_E_clISt17integral_constantIbLb1EEST_IbLb0EEEEDaSP_SQ_EUlSP_E_NS1_11comp_targetILNS1_3genE0ELNS1_11target_archE4294967295ELNS1_3gpuE0ELNS1_3repE0EEENS1_30default_config_static_selectorELNS0_4arch9wavefront6targetE1EEEvT1_
	.globl	_ZN7rocprim17ROCPRIM_400000_NS6detail17trampoline_kernelINS0_14default_configENS1_20scan_config_selectorIiEEZZNS1_9scan_implILNS1_25lookback_scan_determinismE0ELb0ELb0ES3_N6thrust23THRUST_200600_302600_NS6detail15normal_iteratorINS9_10device_ptrIiEEEESE_i9plus_mod3IiEiEEDaPvRmT3_T4_T5_mT6_P12ihipStream_tbENKUlT_T0_E_clISt17integral_constantIbLb1EEST_IbLb0EEEEDaSP_SQ_EUlSP_E_NS1_11comp_targetILNS1_3genE0ELNS1_11target_archE4294967295ELNS1_3gpuE0ELNS1_3repE0EEENS1_30default_config_static_selectorELNS0_4arch9wavefront6targetE1EEEvT1_
	.p2align	8
	.type	_ZN7rocprim17ROCPRIM_400000_NS6detail17trampoline_kernelINS0_14default_configENS1_20scan_config_selectorIiEEZZNS1_9scan_implILNS1_25lookback_scan_determinismE0ELb0ELb0ES3_N6thrust23THRUST_200600_302600_NS6detail15normal_iteratorINS9_10device_ptrIiEEEESE_i9plus_mod3IiEiEEDaPvRmT3_T4_T5_mT6_P12ihipStream_tbENKUlT_T0_E_clISt17integral_constantIbLb1EEST_IbLb0EEEEDaSP_SQ_EUlSP_E_NS1_11comp_targetILNS1_3genE0ELNS1_11target_archE4294967295ELNS1_3gpuE0ELNS1_3repE0EEENS1_30default_config_static_selectorELNS0_4arch9wavefront6targetE1EEEvT1_,@function
_ZN7rocprim17ROCPRIM_400000_NS6detail17trampoline_kernelINS0_14default_configENS1_20scan_config_selectorIiEEZZNS1_9scan_implILNS1_25lookback_scan_determinismE0ELb0ELb0ES3_N6thrust23THRUST_200600_302600_NS6detail15normal_iteratorINS9_10device_ptrIiEEEESE_i9plus_mod3IiEiEEDaPvRmT3_T4_T5_mT6_P12ihipStream_tbENKUlT_T0_E_clISt17integral_constantIbLb1EEST_IbLb0EEEEDaSP_SQ_EUlSP_E_NS1_11comp_targetILNS1_3genE0ELNS1_11target_archE4294967295ELNS1_3gpuE0ELNS1_3repE0EEENS1_30default_config_static_selectorELNS0_4arch9wavefront6targetE1EEEvT1_: ; @_ZN7rocprim17ROCPRIM_400000_NS6detail17trampoline_kernelINS0_14default_configENS1_20scan_config_selectorIiEEZZNS1_9scan_implILNS1_25lookback_scan_determinismE0ELb0ELb0ES3_N6thrust23THRUST_200600_302600_NS6detail15normal_iteratorINS9_10device_ptrIiEEEESE_i9plus_mod3IiEiEEDaPvRmT3_T4_T5_mT6_P12ihipStream_tbENKUlT_T0_E_clISt17integral_constantIbLb1EEST_IbLb0EEEEDaSP_SQ_EUlSP_E_NS1_11comp_targetILNS1_3genE0ELNS1_11target_archE4294967295ELNS1_3gpuE0ELNS1_3repE0EEENS1_30default_config_static_selectorELNS0_4arch9wavefront6targetE1EEEvT1_
; %bb.0:
	.section	.rodata,"a",@progbits
	.p2align	6, 0x0
	.amdhsa_kernel _ZN7rocprim17ROCPRIM_400000_NS6detail17trampoline_kernelINS0_14default_configENS1_20scan_config_selectorIiEEZZNS1_9scan_implILNS1_25lookback_scan_determinismE0ELb0ELb0ES3_N6thrust23THRUST_200600_302600_NS6detail15normal_iteratorINS9_10device_ptrIiEEEESE_i9plus_mod3IiEiEEDaPvRmT3_T4_T5_mT6_P12ihipStream_tbENKUlT_T0_E_clISt17integral_constantIbLb1EEST_IbLb0EEEEDaSP_SQ_EUlSP_E_NS1_11comp_targetILNS1_3genE0ELNS1_11target_archE4294967295ELNS1_3gpuE0ELNS1_3repE0EEENS1_30default_config_static_selectorELNS0_4arch9wavefront6targetE1EEEvT1_
		.amdhsa_group_segment_fixed_size 0
		.amdhsa_private_segment_fixed_size 0
		.amdhsa_kernarg_size 104
		.amdhsa_user_sgpr_count 6
		.amdhsa_user_sgpr_private_segment_buffer 1
		.amdhsa_user_sgpr_dispatch_ptr 0
		.amdhsa_user_sgpr_queue_ptr 0
		.amdhsa_user_sgpr_kernarg_segment_ptr 1
		.amdhsa_user_sgpr_dispatch_id 0
		.amdhsa_user_sgpr_flat_scratch_init 0
		.amdhsa_user_sgpr_kernarg_preload_length 0
		.amdhsa_user_sgpr_kernarg_preload_offset 0
		.amdhsa_user_sgpr_private_segment_size 0
		.amdhsa_uses_dynamic_stack 0
		.amdhsa_system_sgpr_private_segment_wavefront_offset 0
		.amdhsa_system_sgpr_workgroup_id_x 1
		.amdhsa_system_sgpr_workgroup_id_y 0
		.amdhsa_system_sgpr_workgroup_id_z 0
		.amdhsa_system_sgpr_workgroup_info 0
		.amdhsa_system_vgpr_workitem_id 0
		.amdhsa_next_free_vgpr 1
		.amdhsa_next_free_sgpr 0
		.amdhsa_accum_offset 4
		.amdhsa_reserve_vcc 0
		.amdhsa_reserve_flat_scratch 0
		.amdhsa_float_round_mode_32 0
		.amdhsa_float_round_mode_16_64 0
		.amdhsa_float_denorm_mode_32 3
		.amdhsa_float_denorm_mode_16_64 3
		.amdhsa_dx10_clamp 1
		.amdhsa_ieee_mode 1
		.amdhsa_fp16_overflow 0
		.amdhsa_tg_split 0
		.amdhsa_exception_fp_ieee_invalid_op 0
		.amdhsa_exception_fp_denorm_src 0
		.amdhsa_exception_fp_ieee_div_zero 0
		.amdhsa_exception_fp_ieee_overflow 0
		.amdhsa_exception_fp_ieee_underflow 0
		.amdhsa_exception_fp_ieee_inexact 0
		.amdhsa_exception_int_div_zero 0
	.end_amdhsa_kernel
	.section	.text._ZN7rocprim17ROCPRIM_400000_NS6detail17trampoline_kernelINS0_14default_configENS1_20scan_config_selectorIiEEZZNS1_9scan_implILNS1_25lookback_scan_determinismE0ELb0ELb0ES3_N6thrust23THRUST_200600_302600_NS6detail15normal_iteratorINS9_10device_ptrIiEEEESE_i9plus_mod3IiEiEEDaPvRmT3_T4_T5_mT6_P12ihipStream_tbENKUlT_T0_E_clISt17integral_constantIbLb1EEST_IbLb0EEEEDaSP_SQ_EUlSP_E_NS1_11comp_targetILNS1_3genE0ELNS1_11target_archE4294967295ELNS1_3gpuE0ELNS1_3repE0EEENS1_30default_config_static_selectorELNS0_4arch9wavefront6targetE1EEEvT1_,"axG",@progbits,_ZN7rocprim17ROCPRIM_400000_NS6detail17trampoline_kernelINS0_14default_configENS1_20scan_config_selectorIiEEZZNS1_9scan_implILNS1_25lookback_scan_determinismE0ELb0ELb0ES3_N6thrust23THRUST_200600_302600_NS6detail15normal_iteratorINS9_10device_ptrIiEEEESE_i9plus_mod3IiEiEEDaPvRmT3_T4_T5_mT6_P12ihipStream_tbENKUlT_T0_E_clISt17integral_constantIbLb1EEST_IbLb0EEEEDaSP_SQ_EUlSP_E_NS1_11comp_targetILNS1_3genE0ELNS1_11target_archE4294967295ELNS1_3gpuE0ELNS1_3repE0EEENS1_30default_config_static_selectorELNS0_4arch9wavefront6targetE1EEEvT1_,comdat
.Lfunc_end6642:
	.size	_ZN7rocprim17ROCPRIM_400000_NS6detail17trampoline_kernelINS0_14default_configENS1_20scan_config_selectorIiEEZZNS1_9scan_implILNS1_25lookback_scan_determinismE0ELb0ELb0ES3_N6thrust23THRUST_200600_302600_NS6detail15normal_iteratorINS9_10device_ptrIiEEEESE_i9plus_mod3IiEiEEDaPvRmT3_T4_T5_mT6_P12ihipStream_tbENKUlT_T0_E_clISt17integral_constantIbLb1EEST_IbLb0EEEEDaSP_SQ_EUlSP_E_NS1_11comp_targetILNS1_3genE0ELNS1_11target_archE4294967295ELNS1_3gpuE0ELNS1_3repE0EEENS1_30default_config_static_selectorELNS0_4arch9wavefront6targetE1EEEvT1_, .Lfunc_end6642-_ZN7rocprim17ROCPRIM_400000_NS6detail17trampoline_kernelINS0_14default_configENS1_20scan_config_selectorIiEEZZNS1_9scan_implILNS1_25lookback_scan_determinismE0ELb0ELb0ES3_N6thrust23THRUST_200600_302600_NS6detail15normal_iteratorINS9_10device_ptrIiEEEESE_i9plus_mod3IiEiEEDaPvRmT3_T4_T5_mT6_P12ihipStream_tbENKUlT_T0_E_clISt17integral_constantIbLb1EEST_IbLb0EEEEDaSP_SQ_EUlSP_E_NS1_11comp_targetILNS1_3genE0ELNS1_11target_archE4294967295ELNS1_3gpuE0ELNS1_3repE0EEENS1_30default_config_static_selectorELNS0_4arch9wavefront6targetE1EEEvT1_
                                        ; -- End function
	.section	.AMDGPU.csdata,"",@progbits
; Kernel info:
; codeLenInByte = 0
; NumSgprs: 4
; NumVgprs: 0
; NumAgprs: 0
; TotalNumVgprs: 0
; ScratchSize: 0
; MemoryBound: 0
; FloatMode: 240
; IeeeMode: 1
; LDSByteSize: 0 bytes/workgroup (compile time only)
; SGPRBlocks: 0
; VGPRBlocks: 0
; NumSGPRsForWavesPerEU: 4
; NumVGPRsForWavesPerEU: 1
; AccumOffset: 4
; Occupancy: 8
; WaveLimiterHint : 0
; COMPUTE_PGM_RSRC2:SCRATCH_EN: 0
; COMPUTE_PGM_RSRC2:USER_SGPR: 6
; COMPUTE_PGM_RSRC2:TRAP_HANDLER: 0
; COMPUTE_PGM_RSRC2:TGID_X_EN: 1
; COMPUTE_PGM_RSRC2:TGID_Y_EN: 0
; COMPUTE_PGM_RSRC2:TGID_Z_EN: 0
; COMPUTE_PGM_RSRC2:TIDIG_COMP_CNT: 0
; COMPUTE_PGM_RSRC3_GFX90A:ACCUM_OFFSET: 0
; COMPUTE_PGM_RSRC3_GFX90A:TG_SPLIT: 0
	.section	.text._ZN7rocprim17ROCPRIM_400000_NS6detail17trampoline_kernelINS0_14default_configENS1_20scan_config_selectorIiEEZZNS1_9scan_implILNS1_25lookback_scan_determinismE0ELb0ELb0ES3_N6thrust23THRUST_200600_302600_NS6detail15normal_iteratorINS9_10device_ptrIiEEEESE_i9plus_mod3IiEiEEDaPvRmT3_T4_T5_mT6_P12ihipStream_tbENKUlT_T0_E_clISt17integral_constantIbLb1EEST_IbLb0EEEEDaSP_SQ_EUlSP_E_NS1_11comp_targetILNS1_3genE5ELNS1_11target_archE942ELNS1_3gpuE9ELNS1_3repE0EEENS1_30default_config_static_selectorELNS0_4arch9wavefront6targetE1EEEvT1_,"axG",@progbits,_ZN7rocprim17ROCPRIM_400000_NS6detail17trampoline_kernelINS0_14default_configENS1_20scan_config_selectorIiEEZZNS1_9scan_implILNS1_25lookback_scan_determinismE0ELb0ELb0ES3_N6thrust23THRUST_200600_302600_NS6detail15normal_iteratorINS9_10device_ptrIiEEEESE_i9plus_mod3IiEiEEDaPvRmT3_T4_T5_mT6_P12ihipStream_tbENKUlT_T0_E_clISt17integral_constantIbLb1EEST_IbLb0EEEEDaSP_SQ_EUlSP_E_NS1_11comp_targetILNS1_3genE5ELNS1_11target_archE942ELNS1_3gpuE9ELNS1_3repE0EEENS1_30default_config_static_selectorELNS0_4arch9wavefront6targetE1EEEvT1_,comdat
	.protected	_ZN7rocprim17ROCPRIM_400000_NS6detail17trampoline_kernelINS0_14default_configENS1_20scan_config_selectorIiEEZZNS1_9scan_implILNS1_25lookback_scan_determinismE0ELb0ELb0ES3_N6thrust23THRUST_200600_302600_NS6detail15normal_iteratorINS9_10device_ptrIiEEEESE_i9plus_mod3IiEiEEDaPvRmT3_T4_T5_mT6_P12ihipStream_tbENKUlT_T0_E_clISt17integral_constantIbLb1EEST_IbLb0EEEEDaSP_SQ_EUlSP_E_NS1_11comp_targetILNS1_3genE5ELNS1_11target_archE942ELNS1_3gpuE9ELNS1_3repE0EEENS1_30default_config_static_selectorELNS0_4arch9wavefront6targetE1EEEvT1_ ; -- Begin function _ZN7rocprim17ROCPRIM_400000_NS6detail17trampoline_kernelINS0_14default_configENS1_20scan_config_selectorIiEEZZNS1_9scan_implILNS1_25lookback_scan_determinismE0ELb0ELb0ES3_N6thrust23THRUST_200600_302600_NS6detail15normal_iteratorINS9_10device_ptrIiEEEESE_i9plus_mod3IiEiEEDaPvRmT3_T4_T5_mT6_P12ihipStream_tbENKUlT_T0_E_clISt17integral_constantIbLb1EEST_IbLb0EEEEDaSP_SQ_EUlSP_E_NS1_11comp_targetILNS1_3genE5ELNS1_11target_archE942ELNS1_3gpuE9ELNS1_3repE0EEENS1_30default_config_static_selectorELNS0_4arch9wavefront6targetE1EEEvT1_
	.globl	_ZN7rocprim17ROCPRIM_400000_NS6detail17trampoline_kernelINS0_14default_configENS1_20scan_config_selectorIiEEZZNS1_9scan_implILNS1_25lookback_scan_determinismE0ELb0ELb0ES3_N6thrust23THRUST_200600_302600_NS6detail15normal_iteratorINS9_10device_ptrIiEEEESE_i9plus_mod3IiEiEEDaPvRmT3_T4_T5_mT6_P12ihipStream_tbENKUlT_T0_E_clISt17integral_constantIbLb1EEST_IbLb0EEEEDaSP_SQ_EUlSP_E_NS1_11comp_targetILNS1_3genE5ELNS1_11target_archE942ELNS1_3gpuE9ELNS1_3repE0EEENS1_30default_config_static_selectorELNS0_4arch9wavefront6targetE1EEEvT1_
	.p2align	8
	.type	_ZN7rocprim17ROCPRIM_400000_NS6detail17trampoline_kernelINS0_14default_configENS1_20scan_config_selectorIiEEZZNS1_9scan_implILNS1_25lookback_scan_determinismE0ELb0ELb0ES3_N6thrust23THRUST_200600_302600_NS6detail15normal_iteratorINS9_10device_ptrIiEEEESE_i9plus_mod3IiEiEEDaPvRmT3_T4_T5_mT6_P12ihipStream_tbENKUlT_T0_E_clISt17integral_constantIbLb1EEST_IbLb0EEEEDaSP_SQ_EUlSP_E_NS1_11comp_targetILNS1_3genE5ELNS1_11target_archE942ELNS1_3gpuE9ELNS1_3repE0EEENS1_30default_config_static_selectorELNS0_4arch9wavefront6targetE1EEEvT1_,@function
_ZN7rocprim17ROCPRIM_400000_NS6detail17trampoline_kernelINS0_14default_configENS1_20scan_config_selectorIiEEZZNS1_9scan_implILNS1_25lookback_scan_determinismE0ELb0ELb0ES3_N6thrust23THRUST_200600_302600_NS6detail15normal_iteratorINS9_10device_ptrIiEEEESE_i9plus_mod3IiEiEEDaPvRmT3_T4_T5_mT6_P12ihipStream_tbENKUlT_T0_E_clISt17integral_constantIbLb1EEST_IbLb0EEEEDaSP_SQ_EUlSP_E_NS1_11comp_targetILNS1_3genE5ELNS1_11target_archE942ELNS1_3gpuE9ELNS1_3repE0EEENS1_30default_config_static_selectorELNS0_4arch9wavefront6targetE1EEEvT1_: ; @_ZN7rocprim17ROCPRIM_400000_NS6detail17trampoline_kernelINS0_14default_configENS1_20scan_config_selectorIiEEZZNS1_9scan_implILNS1_25lookback_scan_determinismE0ELb0ELb0ES3_N6thrust23THRUST_200600_302600_NS6detail15normal_iteratorINS9_10device_ptrIiEEEESE_i9plus_mod3IiEiEEDaPvRmT3_T4_T5_mT6_P12ihipStream_tbENKUlT_T0_E_clISt17integral_constantIbLb1EEST_IbLb0EEEEDaSP_SQ_EUlSP_E_NS1_11comp_targetILNS1_3genE5ELNS1_11target_archE942ELNS1_3gpuE9ELNS1_3repE0EEENS1_30default_config_static_selectorELNS0_4arch9wavefront6targetE1EEEvT1_
; %bb.0:
	.section	.rodata,"a",@progbits
	.p2align	6, 0x0
	.amdhsa_kernel _ZN7rocprim17ROCPRIM_400000_NS6detail17trampoline_kernelINS0_14default_configENS1_20scan_config_selectorIiEEZZNS1_9scan_implILNS1_25lookback_scan_determinismE0ELb0ELb0ES3_N6thrust23THRUST_200600_302600_NS6detail15normal_iteratorINS9_10device_ptrIiEEEESE_i9plus_mod3IiEiEEDaPvRmT3_T4_T5_mT6_P12ihipStream_tbENKUlT_T0_E_clISt17integral_constantIbLb1EEST_IbLb0EEEEDaSP_SQ_EUlSP_E_NS1_11comp_targetILNS1_3genE5ELNS1_11target_archE942ELNS1_3gpuE9ELNS1_3repE0EEENS1_30default_config_static_selectorELNS0_4arch9wavefront6targetE1EEEvT1_
		.amdhsa_group_segment_fixed_size 0
		.amdhsa_private_segment_fixed_size 0
		.amdhsa_kernarg_size 104
		.amdhsa_user_sgpr_count 6
		.amdhsa_user_sgpr_private_segment_buffer 1
		.amdhsa_user_sgpr_dispatch_ptr 0
		.amdhsa_user_sgpr_queue_ptr 0
		.amdhsa_user_sgpr_kernarg_segment_ptr 1
		.amdhsa_user_sgpr_dispatch_id 0
		.amdhsa_user_sgpr_flat_scratch_init 0
		.amdhsa_user_sgpr_kernarg_preload_length 0
		.amdhsa_user_sgpr_kernarg_preload_offset 0
		.amdhsa_user_sgpr_private_segment_size 0
		.amdhsa_uses_dynamic_stack 0
		.amdhsa_system_sgpr_private_segment_wavefront_offset 0
		.amdhsa_system_sgpr_workgroup_id_x 1
		.amdhsa_system_sgpr_workgroup_id_y 0
		.amdhsa_system_sgpr_workgroup_id_z 0
		.amdhsa_system_sgpr_workgroup_info 0
		.amdhsa_system_vgpr_workitem_id 0
		.amdhsa_next_free_vgpr 1
		.amdhsa_next_free_sgpr 0
		.amdhsa_accum_offset 4
		.amdhsa_reserve_vcc 0
		.amdhsa_reserve_flat_scratch 0
		.amdhsa_float_round_mode_32 0
		.amdhsa_float_round_mode_16_64 0
		.amdhsa_float_denorm_mode_32 3
		.amdhsa_float_denorm_mode_16_64 3
		.amdhsa_dx10_clamp 1
		.amdhsa_ieee_mode 1
		.amdhsa_fp16_overflow 0
		.amdhsa_tg_split 0
		.amdhsa_exception_fp_ieee_invalid_op 0
		.amdhsa_exception_fp_denorm_src 0
		.amdhsa_exception_fp_ieee_div_zero 0
		.amdhsa_exception_fp_ieee_overflow 0
		.amdhsa_exception_fp_ieee_underflow 0
		.amdhsa_exception_fp_ieee_inexact 0
		.amdhsa_exception_int_div_zero 0
	.end_amdhsa_kernel
	.section	.text._ZN7rocprim17ROCPRIM_400000_NS6detail17trampoline_kernelINS0_14default_configENS1_20scan_config_selectorIiEEZZNS1_9scan_implILNS1_25lookback_scan_determinismE0ELb0ELb0ES3_N6thrust23THRUST_200600_302600_NS6detail15normal_iteratorINS9_10device_ptrIiEEEESE_i9plus_mod3IiEiEEDaPvRmT3_T4_T5_mT6_P12ihipStream_tbENKUlT_T0_E_clISt17integral_constantIbLb1EEST_IbLb0EEEEDaSP_SQ_EUlSP_E_NS1_11comp_targetILNS1_3genE5ELNS1_11target_archE942ELNS1_3gpuE9ELNS1_3repE0EEENS1_30default_config_static_selectorELNS0_4arch9wavefront6targetE1EEEvT1_,"axG",@progbits,_ZN7rocprim17ROCPRIM_400000_NS6detail17trampoline_kernelINS0_14default_configENS1_20scan_config_selectorIiEEZZNS1_9scan_implILNS1_25lookback_scan_determinismE0ELb0ELb0ES3_N6thrust23THRUST_200600_302600_NS6detail15normal_iteratorINS9_10device_ptrIiEEEESE_i9plus_mod3IiEiEEDaPvRmT3_T4_T5_mT6_P12ihipStream_tbENKUlT_T0_E_clISt17integral_constantIbLb1EEST_IbLb0EEEEDaSP_SQ_EUlSP_E_NS1_11comp_targetILNS1_3genE5ELNS1_11target_archE942ELNS1_3gpuE9ELNS1_3repE0EEENS1_30default_config_static_selectorELNS0_4arch9wavefront6targetE1EEEvT1_,comdat
.Lfunc_end6643:
	.size	_ZN7rocprim17ROCPRIM_400000_NS6detail17trampoline_kernelINS0_14default_configENS1_20scan_config_selectorIiEEZZNS1_9scan_implILNS1_25lookback_scan_determinismE0ELb0ELb0ES3_N6thrust23THRUST_200600_302600_NS6detail15normal_iteratorINS9_10device_ptrIiEEEESE_i9plus_mod3IiEiEEDaPvRmT3_T4_T5_mT6_P12ihipStream_tbENKUlT_T0_E_clISt17integral_constantIbLb1EEST_IbLb0EEEEDaSP_SQ_EUlSP_E_NS1_11comp_targetILNS1_3genE5ELNS1_11target_archE942ELNS1_3gpuE9ELNS1_3repE0EEENS1_30default_config_static_selectorELNS0_4arch9wavefront6targetE1EEEvT1_, .Lfunc_end6643-_ZN7rocprim17ROCPRIM_400000_NS6detail17trampoline_kernelINS0_14default_configENS1_20scan_config_selectorIiEEZZNS1_9scan_implILNS1_25lookback_scan_determinismE0ELb0ELb0ES3_N6thrust23THRUST_200600_302600_NS6detail15normal_iteratorINS9_10device_ptrIiEEEESE_i9plus_mod3IiEiEEDaPvRmT3_T4_T5_mT6_P12ihipStream_tbENKUlT_T0_E_clISt17integral_constantIbLb1EEST_IbLb0EEEEDaSP_SQ_EUlSP_E_NS1_11comp_targetILNS1_3genE5ELNS1_11target_archE942ELNS1_3gpuE9ELNS1_3repE0EEENS1_30default_config_static_selectorELNS0_4arch9wavefront6targetE1EEEvT1_
                                        ; -- End function
	.section	.AMDGPU.csdata,"",@progbits
; Kernel info:
; codeLenInByte = 0
; NumSgprs: 4
; NumVgprs: 0
; NumAgprs: 0
; TotalNumVgprs: 0
; ScratchSize: 0
; MemoryBound: 0
; FloatMode: 240
; IeeeMode: 1
; LDSByteSize: 0 bytes/workgroup (compile time only)
; SGPRBlocks: 0
; VGPRBlocks: 0
; NumSGPRsForWavesPerEU: 4
; NumVGPRsForWavesPerEU: 1
; AccumOffset: 4
; Occupancy: 8
; WaveLimiterHint : 0
; COMPUTE_PGM_RSRC2:SCRATCH_EN: 0
; COMPUTE_PGM_RSRC2:USER_SGPR: 6
; COMPUTE_PGM_RSRC2:TRAP_HANDLER: 0
; COMPUTE_PGM_RSRC2:TGID_X_EN: 1
; COMPUTE_PGM_RSRC2:TGID_Y_EN: 0
; COMPUTE_PGM_RSRC2:TGID_Z_EN: 0
; COMPUTE_PGM_RSRC2:TIDIG_COMP_CNT: 0
; COMPUTE_PGM_RSRC3_GFX90A:ACCUM_OFFSET: 0
; COMPUTE_PGM_RSRC3_GFX90A:TG_SPLIT: 0
	.section	.text._ZN7rocprim17ROCPRIM_400000_NS6detail17trampoline_kernelINS0_14default_configENS1_20scan_config_selectorIiEEZZNS1_9scan_implILNS1_25lookback_scan_determinismE0ELb0ELb0ES3_N6thrust23THRUST_200600_302600_NS6detail15normal_iteratorINS9_10device_ptrIiEEEESE_i9plus_mod3IiEiEEDaPvRmT3_T4_T5_mT6_P12ihipStream_tbENKUlT_T0_E_clISt17integral_constantIbLb1EEST_IbLb0EEEEDaSP_SQ_EUlSP_E_NS1_11comp_targetILNS1_3genE4ELNS1_11target_archE910ELNS1_3gpuE8ELNS1_3repE0EEENS1_30default_config_static_selectorELNS0_4arch9wavefront6targetE1EEEvT1_,"axG",@progbits,_ZN7rocprim17ROCPRIM_400000_NS6detail17trampoline_kernelINS0_14default_configENS1_20scan_config_selectorIiEEZZNS1_9scan_implILNS1_25lookback_scan_determinismE0ELb0ELb0ES3_N6thrust23THRUST_200600_302600_NS6detail15normal_iteratorINS9_10device_ptrIiEEEESE_i9plus_mod3IiEiEEDaPvRmT3_T4_T5_mT6_P12ihipStream_tbENKUlT_T0_E_clISt17integral_constantIbLb1EEST_IbLb0EEEEDaSP_SQ_EUlSP_E_NS1_11comp_targetILNS1_3genE4ELNS1_11target_archE910ELNS1_3gpuE8ELNS1_3repE0EEENS1_30default_config_static_selectorELNS0_4arch9wavefront6targetE1EEEvT1_,comdat
	.protected	_ZN7rocprim17ROCPRIM_400000_NS6detail17trampoline_kernelINS0_14default_configENS1_20scan_config_selectorIiEEZZNS1_9scan_implILNS1_25lookback_scan_determinismE0ELb0ELb0ES3_N6thrust23THRUST_200600_302600_NS6detail15normal_iteratorINS9_10device_ptrIiEEEESE_i9plus_mod3IiEiEEDaPvRmT3_T4_T5_mT6_P12ihipStream_tbENKUlT_T0_E_clISt17integral_constantIbLb1EEST_IbLb0EEEEDaSP_SQ_EUlSP_E_NS1_11comp_targetILNS1_3genE4ELNS1_11target_archE910ELNS1_3gpuE8ELNS1_3repE0EEENS1_30default_config_static_selectorELNS0_4arch9wavefront6targetE1EEEvT1_ ; -- Begin function _ZN7rocprim17ROCPRIM_400000_NS6detail17trampoline_kernelINS0_14default_configENS1_20scan_config_selectorIiEEZZNS1_9scan_implILNS1_25lookback_scan_determinismE0ELb0ELb0ES3_N6thrust23THRUST_200600_302600_NS6detail15normal_iteratorINS9_10device_ptrIiEEEESE_i9plus_mod3IiEiEEDaPvRmT3_T4_T5_mT6_P12ihipStream_tbENKUlT_T0_E_clISt17integral_constantIbLb1EEST_IbLb0EEEEDaSP_SQ_EUlSP_E_NS1_11comp_targetILNS1_3genE4ELNS1_11target_archE910ELNS1_3gpuE8ELNS1_3repE0EEENS1_30default_config_static_selectorELNS0_4arch9wavefront6targetE1EEEvT1_
	.globl	_ZN7rocprim17ROCPRIM_400000_NS6detail17trampoline_kernelINS0_14default_configENS1_20scan_config_selectorIiEEZZNS1_9scan_implILNS1_25lookback_scan_determinismE0ELb0ELb0ES3_N6thrust23THRUST_200600_302600_NS6detail15normal_iteratorINS9_10device_ptrIiEEEESE_i9plus_mod3IiEiEEDaPvRmT3_T4_T5_mT6_P12ihipStream_tbENKUlT_T0_E_clISt17integral_constantIbLb1EEST_IbLb0EEEEDaSP_SQ_EUlSP_E_NS1_11comp_targetILNS1_3genE4ELNS1_11target_archE910ELNS1_3gpuE8ELNS1_3repE0EEENS1_30default_config_static_selectorELNS0_4arch9wavefront6targetE1EEEvT1_
	.p2align	8
	.type	_ZN7rocprim17ROCPRIM_400000_NS6detail17trampoline_kernelINS0_14default_configENS1_20scan_config_selectorIiEEZZNS1_9scan_implILNS1_25lookback_scan_determinismE0ELb0ELb0ES3_N6thrust23THRUST_200600_302600_NS6detail15normal_iteratorINS9_10device_ptrIiEEEESE_i9plus_mod3IiEiEEDaPvRmT3_T4_T5_mT6_P12ihipStream_tbENKUlT_T0_E_clISt17integral_constantIbLb1EEST_IbLb0EEEEDaSP_SQ_EUlSP_E_NS1_11comp_targetILNS1_3genE4ELNS1_11target_archE910ELNS1_3gpuE8ELNS1_3repE0EEENS1_30default_config_static_selectorELNS0_4arch9wavefront6targetE1EEEvT1_,@function
_ZN7rocprim17ROCPRIM_400000_NS6detail17trampoline_kernelINS0_14default_configENS1_20scan_config_selectorIiEEZZNS1_9scan_implILNS1_25lookback_scan_determinismE0ELb0ELb0ES3_N6thrust23THRUST_200600_302600_NS6detail15normal_iteratorINS9_10device_ptrIiEEEESE_i9plus_mod3IiEiEEDaPvRmT3_T4_T5_mT6_P12ihipStream_tbENKUlT_T0_E_clISt17integral_constantIbLb1EEST_IbLb0EEEEDaSP_SQ_EUlSP_E_NS1_11comp_targetILNS1_3genE4ELNS1_11target_archE910ELNS1_3gpuE8ELNS1_3repE0EEENS1_30default_config_static_selectorELNS0_4arch9wavefront6targetE1EEEvT1_: ; @_ZN7rocprim17ROCPRIM_400000_NS6detail17trampoline_kernelINS0_14default_configENS1_20scan_config_selectorIiEEZZNS1_9scan_implILNS1_25lookback_scan_determinismE0ELb0ELb0ES3_N6thrust23THRUST_200600_302600_NS6detail15normal_iteratorINS9_10device_ptrIiEEEESE_i9plus_mod3IiEiEEDaPvRmT3_T4_T5_mT6_P12ihipStream_tbENKUlT_T0_E_clISt17integral_constantIbLb1EEST_IbLb0EEEEDaSP_SQ_EUlSP_E_NS1_11comp_targetILNS1_3genE4ELNS1_11target_archE910ELNS1_3gpuE8ELNS1_3repE0EEENS1_30default_config_static_selectorELNS0_4arch9wavefront6targetE1EEEvT1_
; %bb.0:
	s_load_dwordx8 s[8:15], s[4:5], 0x0
	s_load_dword s1, s[4:5], 0x38
	s_mul_i32 s0, s6, 0x500
	v_lshlrev_b32_e32 v22, 2, v0
	s_waitcnt lgkmcnt(0)
	s_lshl_b64 s[20:21], s[10:11], 2
	s_add_u32 s2, s8, s20
	s_addc_u32 s3, s9, s21
	s_add_i32 s7, s1, -1
	s_mul_i32 s8, s7, 0x500
	s_sub_u32 s33, s14, s8
	s_subb_u32 s36, s15, 0
	s_mov_b32 s1, 0
	s_cmp_lg_u32 s6, s7
	s_cselect_b64 s[14:15], -1, 0
	s_lshl_b64 s[22:23], s[0:1], 2
	s_add_u32 s2, s2, s22
	s_addc_u32 s3, s3, s23
	s_mov_b64 s[0:1], -1
	s_and_b64 vcc, exec, s[14:15]
	s_cbranch_vccz .LBB6644_2
; %bb.1:
	v_mov_b32_e32 v1, s3
	v_add_co_u32_e32 v2, vcc, s2, v22
	v_addc_co_u32_e32 v3, vcc, 0, v1, vcc
	flat_load_dword v1, v[2:3]
	flat_load_dword v4, v[2:3] offset:512
	flat_load_dword v5, v[2:3] offset:1024
	;; [unrolled: 1-line block ×7, first 2 shown]
	v_add_co_u32_e32 v2, vcc, 0x1000, v2
	v_addc_co_u32_e32 v3, vcc, 0, v3, vcc
	flat_load_dword v11, v[2:3]
	flat_load_dword v12, v[2:3] offset:512
	s_mov_b64 s[0:1], 0
	s_waitcnt vmcnt(0) lgkmcnt(0)
	ds_write2st64_b32 v22, v1, v4 offset1:2
	ds_write2st64_b32 v22, v5, v6 offset0:4 offset1:6
	ds_write2st64_b32 v22, v7, v8 offset0:8 offset1:10
	;; [unrolled: 1-line block ×4, first 2 shown]
	s_waitcnt lgkmcnt(0)
	s_barrier
.LBB6644_2:
	s_load_dwordx4 s[16:19], s[4:5], 0x28
	s_andn2_b64 vcc, exec, s[0:1]
	v_cmp_gt_u32_e64 s[0:1], s33, v0
	s_cbranch_vccnz .LBB6644_24
; %bb.3:
	v_pk_mov_b32 v[2:3], s[2:3], s[2:3] op_sel:[0,1]
	flat_load_dword v1, v[2:3]
	s_waitcnt vmcnt(0) lgkmcnt(0)
	v_mov_b32_e32 v2, v1
	v_mov_b32_e32 v3, v1
	v_mov_b32_e32 v4, v1
	v_mov_b32_e32 v5, v1
	v_mov_b32_e32 v6, v1
	v_mov_b32_e32 v7, v1
	v_mov_b32_e32 v8, v1
	v_mov_b32_e32 v9, v1
	v_mov_b32_e32 v10, v1
	s_and_saveexec_b64 s[8:9], s[0:1]
	s_cbranch_execz .LBB6644_5
; %bb.4:
	v_mov_b32_e32 v11, s3
	v_add_co_u32_e32 v10, vcc, s2, v22
	v_addc_co_u32_e32 v11, vcc, 0, v11, vcc
	flat_load_dword v10, v[10:11]
.LBB6644_5:
	s_or_b64 exec, exec, s[8:9]
	v_or_b32_e32 v11, 0x80, v0
	v_cmp_gt_u32_e32 vcc, s33, v11
	s_and_saveexec_b64 s[0:1], vcc
	s_cbranch_execz .LBB6644_7
; %bb.6:
	v_mov_b32_e32 v1, s3
	v_add_co_u32_e32 v12, vcc, s2, v22
	v_addc_co_u32_e32 v13, vcc, 0, v1, vcc
	flat_load_dword v1, v[12:13] offset:512
.LBB6644_7:
	s_or_b64 exec, exec, s[0:1]
	v_or_b32_e32 v11, 0x100, v0
	v_cmp_gt_u32_e32 vcc, s33, v11
	s_and_saveexec_b64 s[0:1], vcc
	s_cbranch_execz .LBB6644_9
; %bb.8:
	v_mov_b32_e32 v2, s3
	v_add_co_u32_e32 v12, vcc, s2, v22
	v_addc_co_u32_e32 v13, vcc, 0, v2, vcc
	flat_load_dword v2, v[12:13] offset:1024
.LBB6644_9:
	;; [unrolled: 11-line block ×7, first 2 shown]
	s_or_b64 exec, exec, s[0:1]
	v_or_b32_e32 v11, 0x400, v0
	v_cmp_gt_u32_e32 vcc, s33, v11
	s_and_saveexec_b64 s[0:1], vcc
	s_cbranch_execz .LBB6644_21
; %bb.20:
	v_lshlrev_b32_e32 v8, 2, v11
	v_mov_b32_e32 v11, s3
	v_add_co_u32_e32 v12, vcc, s2, v8
	v_addc_co_u32_e32 v13, vcc, 0, v11, vcc
	flat_load_dword v8, v[12:13]
.LBB6644_21:
	s_or_b64 exec, exec, s[0:1]
	v_or_b32_e32 v11, 0x480, v0
	v_cmp_gt_u32_e32 vcc, s33, v11
	s_and_saveexec_b64 s[0:1], vcc
	s_cbranch_execz .LBB6644_23
; %bb.22:
	v_lshlrev_b32_e32 v9, 2, v11
	v_mov_b32_e32 v11, s3
	v_add_co_u32_e32 v12, vcc, s2, v9
	v_addc_co_u32_e32 v13, vcc, 0, v11, vcc
	flat_load_dword v9, v[12:13]
.LBB6644_23:
	s_or_b64 exec, exec, s[0:1]
	s_waitcnt vmcnt(0) lgkmcnt(0)
	ds_write2st64_b32 v22, v10, v1 offset1:2
	ds_write2st64_b32 v22, v2, v3 offset0:4 offset1:6
	ds_write2st64_b32 v22, v4, v5 offset0:8 offset1:10
	ds_write2st64_b32 v22, v6, v7 offset0:12 offset1:14
	ds_write2st64_b32 v22, v8, v9 offset0:16 offset1:18
	s_waitcnt lgkmcnt(0)
	s_barrier
.LBB6644_24:
	v_mul_u32_u24_e32 v23, 10, v0
	v_lshlrev_b32_e32 v1, 2, v23
	s_waitcnt lgkmcnt(0)
	ds_read2_b64 v[2:5], v1 offset1:1
	ds_read2_b64 v[16:19], v1 offset0:2 offset1:3
	ds_read_b64 v[20:21], v1 offset:32
	s_cmp_lg_u32 s6, 0
	v_lshrrev_b32_e32 v24, 5, v0
	v_cmp_gt_u32_e32 vcc, 64, v0
	s_waitcnt lgkmcnt(0)
	s_barrier
	s_cbranch_scc0 .LBB6644_94
; %bb.25:
	v_add_u32_e32 v6, v3, v2
	v_ashrrev_i32_e32 v7, 31, v6
	v_lshlrev_b64 v[6:7], 2, v[6:7]
	v_mov_b32_e32 v8, s17
	v_add_co_u32_e64 v6, s[0:1], s16, v6
	v_addc_co_u32_e64 v7, s[0:1], v8, v7, s[0:1]
	global_load_dword v6, v[6:7], off
	s_waitcnt vmcnt(0)
	v_add_u32_e32 v6, v6, v4
	v_ashrrev_i32_e32 v7, 31, v6
	v_lshlrev_b64 v[6:7], 2, v[6:7]
	v_add_co_u32_e64 v6, s[0:1], s16, v6
	v_addc_co_u32_e64 v7, s[0:1], v8, v7, s[0:1]
	global_load_dword v6, v[6:7], off
	s_waitcnt vmcnt(0)
	v_add_u32_e32 v6, v6, v5
	v_ashrrev_i32_e32 v7, 31, v6
	v_lshlrev_b64 v[6:7], 2, v[6:7]
	;; [unrolled: 7-line block ×8, first 2 shown]
	v_add_co_u32_e64 v6, s[0:1], s16, v6
	v_addc_co_u32_e64 v7, s[0:1], v8, v7, s[0:1]
	global_load_dword v25, v[6:7], off
	v_add_lshl_u32 v6, v24, v0, 2
	s_waitcnt vmcnt(0)
	ds_write_b32 v6, v25
	s_waitcnt lgkmcnt(0)
	s_barrier
	s_and_saveexec_b64 s[2:3], vcc
	s_cbranch_execz .LBB6644_39
; %bb.26:
	v_lshlrev_b32_e32 v6, 1, v0
	v_lshrrev_b32_e32 v7, 4, v0
	v_add_lshl_u32 v8, v7, v6, 2
	ds_read2_b32 v[6:7], v8 offset1:1
	v_mov_b32_e32 v9, s17
	s_waitcnt lgkmcnt(0)
	v_add_u32_e32 v10, v7, v6
	v_ashrrev_i32_e32 v11, 31, v10
	v_lshlrev_b64 v[10:11], 2, v[10:11]
	v_add_co_u32_e64 v10, s[0:1], s16, v10
	v_addc_co_u32_e64 v11, s[0:1], v9, v11, s[0:1]
	global_load_dword v9, v[10:11], off
	v_mbcnt_lo_u32_b32 v7, -1, 0
	v_mbcnt_hi_u32_b32 v7, -1, v7
	v_and_b32_e32 v10, 15, v7
	v_cmp_ne_u32_e64 s[0:1], 0, v10
	s_waitcnt vmcnt(0)
	v_mov_b32_dpp v11, v9 row_shr:1 row_mask:0xf bank_mask:0xf
	s_and_saveexec_b64 s[8:9], s[0:1]
	s_cbranch_execz .LBB6644_28
; %bb.27:
	v_add_u32_e32 v12, v11, v9
	v_ashrrev_i32_e32 v13, 31, v12
	v_lshlrev_b64 v[12:13], 2, v[12:13]
	v_mov_b32_e32 v9, s17
	v_add_co_u32_e64 v12, s[0:1], s16, v12
	v_addc_co_u32_e64 v13, s[0:1], v9, v13, s[0:1]
	global_load_dword v9, v[12:13], off
.LBB6644_28:
	s_or_b64 exec, exec, s[8:9]
	s_waitcnt vmcnt(0)
	v_mov_b32_dpp v11, v9 row_shr:2 row_mask:0xf bank_mask:0xf
	v_cmp_lt_u32_e64 s[0:1], 1, v10
	s_and_saveexec_b64 s[8:9], s[0:1]
	s_cbranch_execz .LBB6644_30
; %bb.29:
	v_add_u32_e32 v12, v11, v9
	v_ashrrev_i32_e32 v13, 31, v12
	v_lshlrev_b64 v[12:13], 2, v[12:13]
	v_mov_b32_e32 v9, s17
	v_add_co_u32_e64 v12, s[0:1], s16, v12
	v_addc_co_u32_e64 v13, s[0:1], v9, v13, s[0:1]
	global_load_dword v9, v[12:13], off
.LBB6644_30:
	s_or_b64 exec, exec, s[8:9]
	s_waitcnt vmcnt(0)
	v_mov_b32_dpp v11, v9 row_shr:4 row_mask:0xf bank_mask:0xf
	v_cmp_lt_u32_e64 s[0:1], 3, v10
	s_and_saveexec_b64 s[8:9], s[0:1]
	s_cbranch_execz .LBB6644_32
; %bb.31:
	v_add_u32_e32 v12, v11, v9
	v_ashrrev_i32_e32 v13, 31, v12
	v_lshlrev_b64 v[12:13], 2, v[12:13]
	v_mov_b32_e32 v9, s17
	v_add_co_u32_e64 v12, s[0:1], s16, v12
	v_addc_co_u32_e64 v13, s[0:1], v9, v13, s[0:1]
	global_load_dword v9, v[12:13], off
.LBB6644_32:
	s_or_b64 exec, exec, s[8:9]
	s_waitcnt vmcnt(0)
	v_mov_b32_dpp v11, v9 row_shr:8 row_mask:0xf bank_mask:0xf
	v_cmp_lt_u32_e64 s[0:1], 7, v10
	s_and_saveexec_b64 s[8:9], s[0:1]
	s_cbranch_execz .LBB6644_34
; %bb.33:
	v_add_u32_e32 v10, v11, v9
	v_ashrrev_i32_e32 v11, 31, v10
	v_lshlrev_b64 v[10:11], 2, v[10:11]
	v_mov_b32_e32 v9, s17
	v_add_co_u32_e64 v10, s[0:1], s16, v10
	v_addc_co_u32_e64 v11, s[0:1], v9, v11, s[0:1]
	global_load_dword v9, v[10:11], off
.LBB6644_34:
	s_or_b64 exec, exec, s[8:9]
	v_and_b32_e32 v11, 16, v7
	s_waitcnt vmcnt(0)
	v_mov_b32_dpp v10, v9 row_bcast:15 row_mask:0xf bank_mask:0xf
	v_cmp_ne_u32_e64 s[0:1], 0, v11
	s_and_saveexec_b64 s[8:9], s[0:1]
	s_cbranch_execz .LBB6644_36
; %bb.35:
	v_add_u32_e32 v10, v10, v9
	v_ashrrev_i32_e32 v11, 31, v10
	v_lshlrev_b64 v[10:11], 2, v[10:11]
	v_mov_b32_e32 v9, s17
	v_add_co_u32_e64 v10, s[0:1], s16, v10
	v_addc_co_u32_e64 v11, s[0:1], v9, v11, s[0:1]
	global_load_dword v9, v[10:11], off
.LBB6644_36:
	s_or_b64 exec, exec, s[8:9]
	s_waitcnt vmcnt(0)
	v_mov_b32_dpp v10, v9 row_bcast:31 row_mask:0xf bank_mask:0xf
	v_cmp_lt_u32_e64 s[0:1], 31, v7
	s_and_saveexec_b64 s[8:9], s[0:1]
	s_cbranch_execz .LBB6644_38
; %bb.37:
	v_add_u32_e32 v10, v10, v9
	v_ashrrev_i32_e32 v11, 31, v10
	v_lshlrev_b64 v[10:11], 2, v[10:11]
	v_mov_b32_e32 v9, s17
	v_add_co_u32_e64 v10, s[0:1], s16, v10
	v_addc_co_u32_e64 v11, s[0:1], v9, v11, s[0:1]
	global_load_dword v9, v[10:11], off
.LBB6644_38:
	s_or_b64 exec, exec, s[8:9]
	v_add_u32_e32 v10, -1, v7
	v_and_b32_e32 v11, 64, v7
	v_cmp_lt_i32_e64 s[0:1], v10, v11
	v_cndmask_b32_e64 v7, v10, v7, s[0:1]
	v_lshlrev_b32_e32 v7, 2, v7
	s_waitcnt vmcnt(0)
	ds_bpermute_b32 v7, v7, v9
	v_mov_b32_e32 v9, s17
	s_waitcnt lgkmcnt(0)
	v_add_u32_e32 v6, v7, v6
	v_ashrrev_i32_e32 v7, 31, v6
	v_lshlrev_b64 v[6:7], 2, v[6:7]
	v_add_co_u32_e64 v6, s[0:1], s16, v6
	v_addc_co_u32_e64 v7, s[0:1], v9, v7, s[0:1]
	global_load_dword v6, v[6:7], off
	v_cmp_eq_u32_e64 s[0:1], 0, v0
	; wave barrier
	s_waitcnt vmcnt(0)
	v_cndmask_b32_e64 v6, v6, v25, s[0:1]
	ds_write_b32 v8, v6
	; wave barrier
	ds_read_b32 v7, v8 offset:4
	s_waitcnt lgkmcnt(0)
	v_add_u32_e32 v6, v7, v6
	v_ashrrev_i32_e32 v7, 31, v6
	v_lshlrev_b64 v[6:7], 2, v[6:7]
	v_add_co_u32_e64 v6, s[0:1], s16, v6
	v_addc_co_u32_e64 v7, s[0:1], v9, v7, s[0:1]
	global_load_dword v6, v[6:7], off
	s_waitcnt vmcnt(0)
	ds_write_b32 v8, v6 offset:4
.LBB6644_39:
	s_or_b64 exec, exec, s[2:3]
	v_cmp_eq_u32_e64 s[2:3], 0, v0
	v_cmp_ne_u32_e64 s[0:1], 0, v0
	s_waitcnt lgkmcnt(0)
	s_barrier
	s_and_saveexec_b64 s[8:9], s[0:1]
	s_cbranch_execz .LBB6644_41
; %bb.40:
	v_add_u32_e32 v6, -1, v0
	v_lshrrev_b32_e32 v7, 5, v6
	v_add_lshl_u32 v6, v7, v6, 2
	ds_read_b32 v25, v6
.LBB6644_41:
	s_or_b64 exec, exec, s[8:9]
	s_and_saveexec_b64 s[10:11], vcc
	s_cbranch_execz .LBB6644_91
; %bb.42:
	v_mov_b32_e32 v15, 0
	ds_read_b32 v6, v15 offset:520
	v_mbcnt_lo_u32_b32 v7, -1, 0
	v_mbcnt_hi_u32_b32 v9, -1, v7
	s_mov_b32 s27, 0
	v_cmp_eq_u32_e64 s[8:9], 0, v9
	s_and_saveexec_b64 s[24:25], s[8:9]
	s_cbranch_execz .LBB6644_44
; %bb.43:
	s_add_i32 s26, s6, 64
	s_lshl_b64 s[26:27], s[26:27], 3
	s_add_u32 s26, s18, s26
	v_mov_b32_e32 v7, 1
	s_addc_u32 s27, s19, s27
	s_waitcnt lgkmcnt(0)
	global_store_dwordx2 v15, v[6:7], s[26:27]
.LBB6644_44:
	s_or_b64 exec, exec, s[24:25]
	v_xad_u32 v8, v9, -1, s6
	v_add_u32_e32 v14, 64, v8
	v_lshlrev_b64 v[10:11], 3, v[14:15]
	v_mov_b32_e32 v7, s19
	v_add_co_u32_e32 v10, vcc, s18, v10
	v_addc_co_u32_e32 v11, vcc, v7, v11, vcc
	global_load_dwordx2 v[12:13], v[10:11], off glc
	s_waitcnt vmcnt(0)
	v_cmp_eq_u16_sdwa s[26:27], v13, v15 src0_sel:BYTE_0 src1_sel:DWORD
	s_and_saveexec_b64 s[24:25], s[26:27]
	s_cbranch_execz .LBB6644_50
; %bb.45:
	s_mov_b32 s7, 1
	s_mov_b64 s[26:27], 0
	v_mov_b32_e32 v7, 0
.LBB6644_46:                            ; =>This Loop Header: Depth=1
                                        ;     Child Loop BB6644_47 Depth 2
	s_max_u32 s28, s7, 1
.LBB6644_47:                            ;   Parent Loop BB6644_46 Depth=1
                                        ; =>  This Inner Loop Header: Depth=2
	s_add_i32 s28, s28, -1
	s_cmp_eq_u32 s28, 0
	s_sleep 1
	s_cbranch_scc0 .LBB6644_47
; %bb.48:                               ;   in Loop: Header=BB6644_46 Depth=1
	global_load_dwordx2 v[12:13], v[10:11], off glc
	s_cmp_lt_u32 s7, 32
	s_cselect_b64 s[28:29], -1, 0
	s_cmp_lg_u64 s[28:29], 0
	s_addc_u32 s7, s7, 0
	s_waitcnt vmcnt(0)
	v_cmp_ne_u16_sdwa s[28:29], v13, v7 src0_sel:BYTE_0 src1_sel:DWORD
	s_or_b64 s[26:27], s[28:29], s[26:27]
	s_andn2_b64 exec, exec, s[26:27]
	s_cbranch_execnz .LBB6644_46
; %bb.49:
	s_or_b64 exec, exec, s[26:27]
.LBB6644_50:
	s_or_b64 exec, exec, s[24:25]
	v_mov_b32_e32 v7, 2
	v_cmp_eq_u16_sdwa s[24:25], v13, v7 src0_sel:BYTE_0 src1_sel:DWORD
	v_lshlrev_b64 v[10:11], v9, -1
	v_and_b32_e32 v7, s25, v11
	v_or_b32_e32 v7, 0x80000000, v7
	v_ffbl_b32_e32 v27, v7
	v_and_b32_e32 v7, 63, v9
	v_cmp_ne_u32_e32 vcc, 63, v7
	v_addc_co_u32_e32 v15, vcc, 0, v9, vcc
	v_lshlrev_b32_e32 v26, 2, v15
	ds_bpermute_b32 v15, v26, v12
	v_and_b32_e32 v14, s24, v10
	v_add_u32_e32 v27, 32, v27
	v_ffbl_b32_e32 v14, v14
	v_min_u32_e32 v14, v14, v27
	v_cmp_lt_u32_e32 vcc, v7, v14
	s_and_saveexec_b64 s[24:25], vcc
	s_cbranch_execz .LBB6644_52
; %bb.51:
	s_waitcnt lgkmcnt(0)
	v_add_u32_e32 v28, v15, v12
	v_ashrrev_i32_e32 v29, 31, v28
	v_lshlrev_b64 v[28:29], 2, v[28:29]
	v_mov_b32_e32 v12, s17
	v_add_co_u32_e32 v28, vcc, s16, v28
	v_addc_co_u32_e32 v29, vcc, v12, v29, vcc
	global_load_dword v12, v[28:29], off
.LBB6644_52:
	s_or_b64 exec, exec, s[24:25]
	v_cmp_gt_u32_e32 vcc, 62, v7
	s_waitcnt lgkmcnt(0)
	v_cndmask_b32_e64 v15, 0, 1, vcc
	v_lshlrev_b32_e32 v15, 1, v15
	v_add_lshl_u32 v27, v15, v9, 2
	s_waitcnt vmcnt(0)
	ds_bpermute_b32 v15, v27, v12
	v_add_u32_e32 v28, 2, v7
	v_cmp_le_u32_e32 vcc, v28, v14
	s_and_saveexec_b64 s[24:25], vcc
	s_cbranch_execz .LBB6644_54
; %bb.53:
	s_waitcnt lgkmcnt(0)
	v_add_u32_e32 v30, v15, v12
	v_ashrrev_i32_e32 v31, 31, v30
	v_lshlrev_b64 v[30:31], 2, v[30:31]
	v_mov_b32_e32 v12, s17
	v_add_co_u32_e32 v30, vcc, s16, v30
	v_addc_co_u32_e32 v31, vcc, v12, v31, vcc
	global_load_dword v12, v[30:31], off
.LBB6644_54:
	s_or_b64 exec, exec, s[24:25]
	v_cmp_gt_u32_e32 vcc, 60, v7
	s_waitcnt lgkmcnt(0)
	v_cndmask_b32_e64 v15, 0, 1, vcc
	v_lshlrev_b32_e32 v15, 2, v15
	v_add_lshl_u32 v29, v15, v9, 2
	s_waitcnt vmcnt(0)
	ds_bpermute_b32 v15, v29, v12
	v_add_u32_e32 v30, 4, v7
	v_cmp_le_u32_e32 vcc, v30, v14
	;; [unrolled: 22-line block ×5, first 2 shown]
	s_mov_b64 s[24:25], -1
                                        ; implicit-def: $vgpr14
	s_and_saveexec_b64 s[26:27], vcc
	s_cbranch_execz .LBB6644_62
; %bb.61:
	s_waitcnt lgkmcnt(0)
	v_add_u32_e32 v14, v9, v12
	s_xor_b64 s[24:25], exec, -1
.LBB6644_62:
	s_or_b64 exec, exec, s[26:27]
	s_mov_b64 s[26:27], 0
	s_waitcnt lgkmcnt(0)
	v_mov_b32_e32 v9, 0
	v_mov_b32_e32 v38, 2
                                        ; implicit-def: $sgpr28_sgpr29
	s_branch .LBB6644_64
.LBB6644_63:                            ;   in Loop: Header=BB6644_64 Depth=1
	s_or_b64 exec, exec, s[24:25]
	v_subrev_u32_e32 v8, 64, v8
	s_waitcnt vmcnt(0)
	v_add_u32_e32 v14, v12, v37
	s_mov_b64 s[24:25], 0
	s_mov_b64 s[26:27], 0
                                        ; implicit-def: $sgpr28_sgpr29
.LBB6644_64:                            ; =>This Loop Header: Depth=1
                                        ;     Child Loop BB6644_70 Depth 2
                                        ;       Child Loop BB6644_71 Depth 3
	s_waitcnt vmcnt(0)
	v_mov_b32_e32 v37, v12
	s_xor_b64 s[34:35], s[24:25], -1
	s_or_b64 s[28:29], s[28:29], exec
                                        ; implicit-def: $sgpr30_sgpr31
	s_and_saveexec_b64 s[38:39], s[34:35]
	s_xor_b64 s[34:35], exec, s[38:39]
	s_cbranch_execz .LBB6644_66
; %bb.65:                               ;   in Loop: Header=BB6644_64 Depth=1
	s_waitcnt lgkmcnt(0)
	v_ashrrev_i32_e32 v15, 31, v14
	v_lshlrev_b64 v[40:41], 2, v[14:15]
	v_mov_b32_e32 v12, s17
	v_add_co_u32_e32 v40, vcc, s16, v40
	v_addc_co_u32_e32 v41, vcc, v12, v41, vcc
	global_load_dword v12, v[40:41], off
	s_mov_b64 s[30:31], -1
	s_andn2_b64 s[28:29], s[28:29], exec
                                        ; implicit-def: $sgpr24_sgpr25
.LBB6644_66:                            ;   in Loop: Header=BB6644_64 Depth=1
	s_or_b64 exec, exec, s[34:35]
	s_and_b64 s[34:35], exec, s[28:29]
	s_or_b64 s[26:27], s[34:35], s[26:27]
	s_andn2_b64 s[24:25], s[24:25], exec
	s_and_b64 s[30:31], s[30:31], exec
	s_or_b64 s[24:25], s[24:25], s[30:31]
	s_andn2_b64 exec, exec, s[26:27]
	s_cbranch_execnz .LBB6644_64
; %bb.67:                               ;   in Loop: Header=BB6644_64 Depth=1
	s_or_b64 exec, exec, s[26:27]
	v_cmp_ne_u16_sdwa s[24:25], v13, v38 src0_sel:BYTE_0 src1_sel:DWORD
	s_waitcnt vmcnt(0)
	v_cndmask_b32_e64 v12, 0, 1, s[24:25]
	;;#ASMSTART
	;;#ASMEND
	v_cmp_ne_u32_e32 vcc, 0, v12
	s_cmp_lg_u64 vcc, exec
	s_cbranch_scc1 .LBB6644_86
; %bb.68:                               ;   in Loop: Header=BB6644_64 Depth=1
	v_lshlrev_b64 v[12:13], 3, v[8:9]
	s_waitcnt lgkmcnt(0)
	v_mov_b32_e32 v15, s19
	v_add_co_u32_e32 v14, vcc, s18, v12
	v_addc_co_u32_e32 v15, vcc, v15, v13, vcc
	global_load_dwordx2 v[12:13], v[14:15], off glc
	s_waitcnt vmcnt(0)
	v_cmp_eq_u16_sdwa s[26:27], v13, v9 src0_sel:BYTE_0 src1_sel:DWORD
	s_and_saveexec_b64 s[24:25], s[26:27]
	s_cbranch_execz .LBB6644_74
; %bb.69:                               ;   in Loop: Header=BB6644_64 Depth=1
	s_mov_b32 s7, 1
	s_mov_b64 s[26:27], 0
.LBB6644_70:                            ;   Parent Loop BB6644_64 Depth=1
                                        ; =>  This Loop Header: Depth=2
                                        ;       Child Loop BB6644_71 Depth 3
	s_max_u32 s28, s7, 1
.LBB6644_71:                            ;   Parent Loop BB6644_64 Depth=1
                                        ;     Parent Loop BB6644_70 Depth=2
                                        ; =>    This Inner Loop Header: Depth=3
	s_add_i32 s28, s28, -1
	s_cmp_eq_u32 s28, 0
	s_sleep 1
	s_cbranch_scc0 .LBB6644_71
; %bb.72:                               ;   in Loop: Header=BB6644_70 Depth=2
	global_load_dwordx2 v[12:13], v[14:15], off glc
	s_cmp_lt_u32 s7, 32
	s_cselect_b64 s[28:29], -1, 0
	s_cmp_lg_u64 s[28:29], 0
	s_addc_u32 s7, s7, 0
	s_waitcnt vmcnt(0)
	v_cmp_ne_u16_sdwa s[28:29], v13, v9 src0_sel:BYTE_0 src1_sel:DWORD
	s_or_b64 s[26:27], s[28:29], s[26:27]
	s_andn2_b64 exec, exec, s[26:27]
	s_cbranch_execnz .LBB6644_70
; %bb.73:                               ;   in Loop: Header=BB6644_64 Depth=1
	s_or_b64 exec, exec, s[26:27]
.LBB6644_74:                            ;   in Loop: Header=BB6644_64 Depth=1
	s_or_b64 exec, exec, s[24:25]
	v_cmp_eq_u16_sdwa s[24:25], v13, v38 src0_sel:BYTE_0 src1_sel:DWORD
	v_and_b32_e32 v14, s25, v11
	v_or_b32_e32 v14, 0x80000000, v14
	ds_bpermute_b32 v15, v26, v12
	v_and_b32_e32 v39, s24, v10
	v_ffbl_b32_e32 v14, v14
	v_add_u32_e32 v14, 32, v14
	v_ffbl_b32_e32 v39, v39
	v_min_u32_e32 v14, v39, v14
	v_cmp_lt_u32_e32 vcc, v7, v14
	s_and_saveexec_b64 s[24:25], vcc
	s_cbranch_execz .LBB6644_76
; %bb.75:                               ;   in Loop: Header=BB6644_64 Depth=1
	s_waitcnt lgkmcnt(0)
	v_add_u32_e32 v40, v15, v12
	v_ashrrev_i32_e32 v41, 31, v40
	v_lshlrev_b64 v[40:41], 2, v[40:41]
	v_mov_b32_e32 v12, s17
	v_add_co_u32_e32 v40, vcc, s16, v40
	v_addc_co_u32_e32 v41, vcc, v12, v41, vcc
	global_load_dword v12, v[40:41], off
.LBB6644_76:                            ;   in Loop: Header=BB6644_64 Depth=1
	s_or_b64 exec, exec, s[24:25]
	s_waitcnt vmcnt(0) lgkmcnt(0)
	ds_bpermute_b32 v15, v27, v12
	v_cmp_le_u32_e32 vcc, v28, v14
	s_and_saveexec_b64 s[24:25], vcc
	s_cbranch_execz .LBB6644_78
; %bb.77:                               ;   in Loop: Header=BB6644_64 Depth=1
	s_waitcnt lgkmcnt(0)
	v_add_u32_e32 v40, v15, v12
	v_ashrrev_i32_e32 v41, 31, v40
	v_lshlrev_b64 v[40:41], 2, v[40:41]
	v_mov_b32_e32 v12, s17
	v_add_co_u32_e32 v40, vcc, s16, v40
	v_addc_co_u32_e32 v41, vcc, v12, v41, vcc
	global_load_dword v12, v[40:41], off
.LBB6644_78:                            ;   in Loop: Header=BB6644_64 Depth=1
	s_or_b64 exec, exec, s[24:25]
	s_waitcnt vmcnt(0) lgkmcnt(0)
	ds_bpermute_b32 v15, v29, v12
	v_cmp_le_u32_e32 vcc, v30, v14
	;; [unrolled: 16-line block ×5, first 2 shown]
	s_and_saveexec_b64 s[24:25], vcc
	s_cbranch_execz .LBB6644_63
; %bb.85:                               ;   in Loop: Header=BB6644_64 Depth=1
	s_waitcnt lgkmcnt(0)
	v_add_u32_e32 v14, v15, v12
	v_ashrrev_i32_e32 v15, 31, v14
	v_lshlrev_b64 v[14:15], 2, v[14:15]
	v_mov_b32_e32 v12, s17
	v_add_co_u32_e32 v14, vcc, s16, v14
	v_addc_co_u32_e32 v15, vcc, v12, v15, vcc
	global_load_dword v12, v[14:15], off
	s_branch .LBB6644_63
.LBB6644_86:                            ;   in Loop: Header=BB6644_64 Depth=1
	s_mov_b64 s[24:25], -1
                                        ; implicit-def: $vgpr14
                                        ; implicit-def: $vgpr13
	s_mov_b64 s[26:27], 0
                                        ; implicit-def: $sgpr28_sgpr29
	s_cbranch_execz .LBB6644_64
; %bb.87:
	s_and_saveexec_b64 s[24:25], s[8:9]
	s_cbranch_execz .LBB6644_89
; %bb.88:
	v_add_u32_e32 v6, v37, v6
	v_ashrrev_i32_e32 v7, 31, v6
	v_lshlrev_b64 v[6:7], 2, v[6:7]
	v_mov_b32_e32 v8, s17
	v_add_co_u32_e32 v6, vcc, s16, v6
	v_addc_co_u32_e32 v7, vcc, v8, v7, vcc
	global_load_dword v6, v[6:7], off
	s_add_i32 s6, s6, 64
	s_mov_b32 s7, 0
	s_lshl_b64 s[6:7], s[6:7], 3
	s_add_u32 s6, s18, s6
	s_addc_u32 s7, s19, s7
	v_mov_b32_e32 v8, 0
	v_mov_b32_e32 v7, 2
	s_waitcnt vmcnt(0)
	global_store_dwordx2 v8, v[6:7], s[6:7]
.LBB6644_89:
	s_or_b64 exec, exec, s[24:25]
	s_and_b64 exec, exec, s[2:3]
	s_cbranch_execz .LBB6644_91
; %bb.90:
	v_mov_b32_e32 v6, 0
	ds_write_b32 v6, v37
.LBB6644_91:
	s_or_b64 exec, exec, s[10:11]
	v_mov_b32_e32 v6, 0
	s_waitcnt lgkmcnt(0)
	s_barrier
	ds_read_b32 v6, v6
	v_mov_b32_e32 v7, v2
	s_and_saveexec_b64 s[2:3], s[0:1]
	s_cbranch_execz .LBB6644_93
; %bb.92:
	v_add_u32_e32 v8, v25, v2
	v_ashrrev_i32_e32 v9, 31, v8
	v_lshlrev_b64 v[8:9], 2, v[8:9]
	v_mov_b32_e32 v7, s17
	v_add_co_u32_e32 v8, vcc, s16, v8
	v_addc_co_u32_e32 v9, vcc, v7, v9, vcc
	global_load_dword v7, v[8:9], off
.LBB6644_93:
	s_or_b64 exec, exec, s[2:3]
	s_waitcnt vmcnt(0) lgkmcnt(0)
	v_add_u32_e32 v6, v7, v6
	v_ashrrev_i32_e32 v7, 31, v6
	v_lshlrev_b64 v[6:7], 2, v[6:7]
	v_mov_b32_e32 v8, s17
	v_add_co_u32_e32 v6, vcc, s16, v6
	v_addc_co_u32_e32 v7, vcc, v8, v7, vcc
	global_load_dword v6, v[6:7], off
	v_mov_b32_e32 v7, s17
	v_mov_b32_e32 v10, s17
	;; [unrolled: 1-line block ×5, first 2 shown]
	s_waitcnt vmcnt(0)
	v_add_u32_e32 v8, v6, v3
	v_ashrrev_i32_e32 v9, 31, v8
	v_lshlrev_b64 v[8:9], 2, v[8:9]
	v_add_co_u32_e32 v8, vcc, s16, v8
	v_addc_co_u32_e32 v9, vcc, v7, v9, vcc
	global_load_dword v7, v[8:9], off
	s_waitcnt vmcnt(0)
	v_add_u32_e32 v8, v7, v4
	v_ashrrev_i32_e32 v9, 31, v8
	v_lshlrev_b64 v[8:9], 2, v[8:9]
	v_add_co_u32_e32 v8, vcc, s16, v8
	v_addc_co_u32_e32 v9, vcc, v10, v9, vcc
	global_load_dword v8, v[8:9], off
	v_mov_b32_e32 v9, s17
	s_waitcnt vmcnt(0)
	v_add_u32_e32 v10, v8, v5
	v_ashrrev_i32_e32 v11, 31, v10
	v_lshlrev_b64 v[10:11], 2, v[10:11]
	v_add_co_u32_e32 v10, vcc, s16, v10
	v_addc_co_u32_e32 v11, vcc, v9, v11, vcc
	global_load_dword v9, v[10:11], off
	s_waitcnt vmcnt(0)
	v_add_u32_e32 v10, v9, v16
	v_ashrrev_i32_e32 v11, 31, v10
	v_lshlrev_b64 v[10:11], 2, v[10:11]
	v_add_co_u32_e32 v10, vcc, s16, v10
	v_addc_co_u32_e32 v11, vcc, v12, v11, vcc
	global_load_dword v10, v[10:11], off
	v_mov_b32_e32 v11, s17
	;; [unrolled: 15-line block ×4, first 2 shown]
	s_waitcnt vmcnt(0)
	v_add_u32_e32 v26, v14, v21
	v_ashrrev_i32_e32 v27, 31, v26
	v_lshlrev_b64 v[26:27], 2, v[26:27]
	v_add_co_u32_e32 v26, vcc, s16, v26
	v_addc_co_u32_e32 v27, vcc, v15, v27, vcc
	global_load_dword v15, v[26:27], off
	s_load_dwordx8 s[4:11], s[4:5], 0x40
	s_branch .LBB6644_118
.LBB6644_94:
                                        ; implicit-def: $vgpr6_vgpr7_vgpr8_vgpr9_vgpr10_vgpr11_vgpr12_vgpr13_vgpr14_vgpr15
	s_load_dwordx8 s[4:11], s[4:5], 0x40
	s_cbranch_execz .LBB6644_118
; %bb.95:
	s_waitcnt lgkmcnt(0)
	s_cmp_lg_u64 s[8:9], 0
	s_cselect_b64 s[2:3], -1, 0
	v_cmp_eq_u32_e64 s[0:1], 0, v0
	s_waitcnt vmcnt(0)
	v_pk_mov_b32 v[14:15], v[10:11], v[10:11] op_sel:[0,1]
	v_cmp_ne_u32_e32 vcc, 0, v0
	s_and_b64 s[2:3], s[0:1], s[2:3]
	v_pk_mov_b32 v[12:13], v[8:9], v[8:9] op_sel:[0,1]
	v_pk_mov_b32 v[10:11], v[6:7], v[6:7] op_sel:[0,1]
	;; [unrolled: 1-line block ×4, first 2 shown]
	s_and_saveexec_b64 s[8:9], s[2:3]
	s_cbranch_execz .LBB6644_97
; %bb.96:
	v_mov_b32_e32 v6, 0
	global_load_dword v6, v6, s[4:5]
	v_mov_b32_e32 v8, s17
	s_waitcnt vmcnt(0)
	v_add_u32_e32 v6, v6, v2
	v_ashrrev_i32_e32 v7, 31, v6
	v_lshlrev_b64 v[6:7], 2, v[6:7]
	v_add_co_u32_e64 v6, s[2:3], s16, v6
	v_addc_co_u32_e64 v7, s[2:3], v8, v7, s[2:3]
	global_load_dword v6, v[6:7], off
	s_waitcnt vmcnt(0)
	v_mov_b32_e32 v2, v6
.LBB6644_97:
	s_or_b64 exec, exec, s[8:9]
	v_add_u32_e32 v8, v3, v2
	v_ashrrev_i32_e32 v9, 31, v8
	v_lshlrev_b64 v[10:11], 2, v[8:9]
	v_mov_b32_e32 v7, s17
	v_add_co_u32_e64 v10, s[2:3], s16, v10
	v_addc_co_u32_e64 v11, s[2:3], v7, v11, s[2:3]
	global_load_dword v7, v[10:11], off
	v_mov_b32_e32 v12, s17
	s_waitcnt vmcnt(0)
	v_add_u32_e32 v10, v4, v7
	v_ashrrev_i32_e32 v11, 31, v10
	v_lshlrev_b64 v[10:11], 2, v[10:11]
	v_add_co_u32_e64 v10, s[2:3], s16, v10
	v_addc_co_u32_e64 v11, s[2:3], v12, v11, s[2:3]
	global_load_dword v7, v[10:11], off
	s_waitcnt vmcnt(0)
	v_add_u32_e32 v10, v7, v5
	v_ashrrev_i32_e32 v11, 31, v10
	v_lshlrev_b64 v[10:11], 2, v[10:11]
	v_add_co_u32_e64 v10, s[2:3], s16, v10
	v_addc_co_u32_e64 v11, s[2:3], v12, v11, s[2:3]
	global_load_dword v7, v[10:11], off
	;; [unrolled: 7-line block ×8, first 2 shown]
	v_add_lshl_u32 v10, v24, v0, 2
	v_cmp_gt_u32_e64 s[2:3], 64, v0
	s_waitcnt vmcnt(0)
	ds_write_b32 v10, v7
	s_waitcnt lgkmcnt(0)
	s_barrier
	s_and_saveexec_b64 s[4:5], s[2:3]
	s_cbranch_execz .LBB6644_111
; %bb.98:
	v_lshlrev_b32_e32 v10, 1, v0
	v_lshrrev_b32_e32 v11, 4, v0
	v_add_lshl_u32 v12, v11, v10, 2
	ds_read2_b32 v[10:11], v12 offset1:1
	v_mov_b32_e32 v13, s17
	s_waitcnt lgkmcnt(0)
	v_add_u32_e32 v14, v11, v10
	v_ashrrev_i32_e32 v15, 31, v14
	v_lshlrev_b64 v[14:15], 2, v[14:15]
	v_add_co_u32_e64 v14, s[2:3], s16, v14
	v_addc_co_u32_e64 v15, s[2:3], v13, v15, s[2:3]
	global_load_dword v13, v[14:15], off
	v_mbcnt_lo_u32_b32 v11, -1, 0
	v_mbcnt_hi_u32_b32 v11, -1, v11
	v_and_b32_e32 v14, 15, v11
	v_cmp_ne_u32_e64 s[2:3], 0, v14
	s_waitcnt vmcnt(0)
	v_mov_b32_dpp v15, v13 row_shr:1 row_mask:0xf bank_mask:0xf
	s_and_saveexec_b64 s[8:9], s[2:3]
	s_cbranch_execz .LBB6644_100
; %bb.99:
	v_add_u32_e32 v24, v15, v13
	v_ashrrev_i32_e32 v25, 31, v24
	v_lshlrev_b64 v[24:25], 2, v[24:25]
	v_mov_b32_e32 v13, s17
	v_add_co_u32_e64 v24, s[2:3], s16, v24
	v_addc_co_u32_e64 v25, s[2:3], v13, v25, s[2:3]
	global_load_dword v13, v[24:25], off
.LBB6644_100:
	s_or_b64 exec, exec, s[8:9]
	s_waitcnt vmcnt(0)
	v_mov_b32_dpp v15, v13 row_shr:2 row_mask:0xf bank_mask:0xf
	v_cmp_lt_u32_e64 s[2:3], 1, v14
	s_and_saveexec_b64 s[8:9], s[2:3]
	s_cbranch_execz .LBB6644_102
; %bb.101:
	v_add_u32_e32 v24, v15, v13
	v_ashrrev_i32_e32 v25, 31, v24
	v_lshlrev_b64 v[24:25], 2, v[24:25]
	v_mov_b32_e32 v13, s17
	v_add_co_u32_e64 v24, s[2:3], s16, v24
	v_addc_co_u32_e64 v25, s[2:3], v13, v25, s[2:3]
	global_load_dword v13, v[24:25], off
.LBB6644_102:
	s_or_b64 exec, exec, s[8:9]
	s_waitcnt vmcnt(0)
	v_mov_b32_dpp v15, v13 row_shr:4 row_mask:0xf bank_mask:0xf
	v_cmp_lt_u32_e64 s[2:3], 3, v14
	;; [unrolled: 15-line block ×3, first 2 shown]
	s_and_saveexec_b64 s[8:9], s[2:3]
	s_cbranch_execz .LBB6644_106
; %bb.105:
	v_add_u32_e32 v14, v15, v13
	v_ashrrev_i32_e32 v15, 31, v14
	v_lshlrev_b64 v[14:15], 2, v[14:15]
	v_mov_b32_e32 v13, s17
	v_add_co_u32_e64 v14, s[2:3], s16, v14
	v_addc_co_u32_e64 v15, s[2:3], v13, v15, s[2:3]
	global_load_dword v13, v[14:15], off
.LBB6644_106:
	s_or_b64 exec, exec, s[8:9]
	v_and_b32_e32 v15, 16, v11
	s_waitcnt vmcnt(0)
	v_mov_b32_dpp v14, v13 row_bcast:15 row_mask:0xf bank_mask:0xf
	v_cmp_ne_u32_e64 s[2:3], 0, v15
	s_and_saveexec_b64 s[8:9], s[2:3]
	s_cbranch_execz .LBB6644_108
; %bb.107:
	v_add_u32_e32 v14, v14, v13
	v_ashrrev_i32_e32 v15, 31, v14
	v_lshlrev_b64 v[14:15], 2, v[14:15]
	v_mov_b32_e32 v13, s17
	v_add_co_u32_e64 v14, s[2:3], s16, v14
	v_addc_co_u32_e64 v15, s[2:3], v13, v15, s[2:3]
	global_load_dword v13, v[14:15], off
.LBB6644_108:
	s_or_b64 exec, exec, s[8:9]
	s_waitcnt vmcnt(0)
	v_mov_b32_dpp v14, v13 row_bcast:31 row_mask:0xf bank_mask:0xf
	v_cmp_lt_u32_e64 s[2:3], 31, v11
	s_and_saveexec_b64 s[8:9], s[2:3]
	s_cbranch_execz .LBB6644_110
; %bb.109:
	v_add_u32_e32 v14, v14, v13
	v_ashrrev_i32_e32 v15, 31, v14
	v_lshlrev_b64 v[14:15], 2, v[14:15]
	v_mov_b32_e32 v13, s17
	v_add_co_u32_e64 v14, s[2:3], s16, v14
	v_addc_co_u32_e64 v15, s[2:3], v13, v15, s[2:3]
	global_load_dword v13, v[14:15], off
.LBB6644_110:
	s_or_b64 exec, exec, s[8:9]
	v_add_u32_e32 v14, -1, v11
	v_and_b32_e32 v15, 64, v11
	v_cmp_lt_i32_e64 s[2:3], v14, v15
	v_cndmask_b32_e64 v11, v14, v11, s[2:3]
	v_lshlrev_b32_e32 v11, 2, v11
	s_waitcnt vmcnt(0)
	ds_bpermute_b32 v11, v11, v13
	v_mov_b32_e32 v13, s17
	s_waitcnt lgkmcnt(0)
	v_add_u32_e32 v10, v11, v10
	v_ashrrev_i32_e32 v11, 31, v10
	v_lshlrev_b64 v[10:11], 2, v[10:11]
	v_add_co_u32_e64 v10, s[2:3], s16, v10
	v_addc_co_u32_e64 v11, s[2:3], v13, v11, s[2:3]
	global_load_dword v10, v[10:11], off
	; wave barrier
	s_waitcnt vmcnt(0)
	v_cndmask_b32_e64 v10, v10, v7, s[0:1]
	ds_write_b32 v12, v10
	; wave barrier
	ds_read_b32 v11, v12 offset:4
	s_waitcnt lgkmcnt(0)
	v_add_u32_e32 v10, v11, v10
	v_ashrrev_i32_e32 v11, 31, v10
	v_lshlrev_b64 v[10:11], 2, v[10:11]
	v_add_co_u32_e64 v10, s[0:1], s16, v10
	v_addc_co_u32_e64 v11, s[0:1], v13, v11, s[0:1]
	global_load_dword v10, v[10:11], off
	s_waitcnt vmcnt(0)
	ds_write_b32 v12, v10 offset:4
.LBB6644_111:
	s_or_b64 exec, exec, s[4:5]
	s_waitcnt lgkmcnt(0)
	s_barrier
	s_and_saveexec_b64 s[0:1], vcc
	s_cbranch_execz .LBB6644_113
; %bb.112:
	v_add_u32_e32 v7, -1, v0
	v_lshrrev_b32_e32 v10, 5, v7
	v_add_lshl_u32 v7, v10, v7, 2
	ds_read_b32 v7, v7
.LBB6644_113:
	s_or_b64 exec, exec, s[0:1]
	s_and_saveexec_b64 s[0:1], vcc
	s_cbranch_execz .LBB6644_115
; %bb.114:
	s_waitcnt lgkmcnt(0)
	v_add_u32_e32 v6, v7, v2
	v_ashrrev_i32_e32 v7, 31, v6
	v_lshlrev_b64 v[6:7], 2, v[6:7]
	v_mov_b32_e32 v2, s17
	v_add_co_u32_e32 v6, vcc, s16, v6
	v_addc_co_u32_e32 v7, vcc, v2, v7, vcc
	global_load_dword v6, v[6:7], off
	;;#ASMSTART
	;;#ASMEND
	s_waitcnt vmcnt(0)
	v_add_u32_e32 v8, v6, v3
	v_ashrrev_i32_e32 v9, 31, v8
.LBB6644_115:
	s_or_b64 exec, exec, s[0:1]
	v_lshlrev_b64 v[2:3], 2, v[8:9]
	s_waitcnt lgkmcnt(0)
	v_mov_b32_e32 v7, s17
	v_add_co_u32_e32 v2, vcc, s16, v2
	v_addc_co_u32_e32 v3, vcc, v7, v3, vcc
	global_load_dword v7, v[2:3], off
	v_mov_b32_e32 v8, s17
	s_movk_i32 s0, 0x7f
	s_waitcnt vmcnt(0)
	v_add_u32_e32 v2, v7, v4
	v_ashrrev_i32_e32 v3, 31, v2
	v_lshlrev_b64 v[2:3], 2, v[2:3]
	v_add_co_u32_e32 v2, vcc, s16, v2
	v_addc_co_u32_e32 v3, vcc, v8, v3, vcc
	global_load_dword v8, v[2:3], off
	v_mov_b32_e32 v4, s17
	s_waitcnt vmcnt(0)
	v_add_u32_e32 v2, v8, v5
	v_ashrrev_i32_e32 v3, 31, v2
	v_lshlrev_b64 v[2:3], 2, v[2:3]
	v_add_co_u32_e32 v2, vcc, s16, v2
	v_addc_co_u32_e32 v3, vcc, v4, v3, vcc
	global_load_dword v9, v[2:3], off
	s_waitcnt vmcnt(0)
	v_add_u32_e32 v2, v9, v16
	v_ashrrev_i32_e32 v3, 31, v2
	v_lshlrev_b64 v[2:3], 2, v[2:3]
	v_add_co_u32_e32 v2, vcc, s16, v2
	v_addc_co_u32_e32 v3, vcc, v4, v3, vcc
	global_load_dword v10, v[2:3], off
	;; [unrolled: 7-line block ×7, first 2 shown]
	v_cmp_eq_u32_e32 vcc, s0, v0
	s_and_saveexec_b64 s[0:1], vcc
	s_cbranch_execz .LBB6644_117
; %bb.116:
	v_mov_b32_e32 v4, 0
	v_mov_b32_e32 v3, 2
	s_waitcnt vmcnt(0)
	v_mov_b32_e32 v2, v15
	global_store_dwordx2 v4, v[2:3], s[18:19] offset:512
.LBB6644_117:
	s_or_b64 exec, exec, s[0:1]
.LBB6644_118:
	s_add_u32 s0, s12, s20
	s_addc_u32 s1, s13, s21
	s_add_u32 s2, s0, s22
	s_addc_u32 s3, s1, s23
	s_mov_b64 s[0:1], -1
	s_and_b64 vcc, exec, s[14:15]
	s_waitcnt lgkmcnt(0)
	s_barrier
	s_cbranch_vccz .LBB6644_120
; %bb.119:
	ds_write2_b64 v1, v[6:7], v[8:9] offset1:1
	ds_write2_b64 v1, v[10:11], v[12:13] offset0:2 offset1:3
	s_waitcnt vmcnt(0)
	ds_write_b64 v1, v[14:15] offset:32
	s_waitcnt lgkmcnt(0)
	s_barrier
	ds_read2st64_b32 v[2:3], v22 offset1:2
	ds_read2st64_b32 v[4:5], v22 offset0:4 offset1:6
	ds_read2st64_b32 v[16:17], v22 offset0:8 offset1:10
	;; [unrolled: 1-line block ×4, first 2 shown]
	v_mov_b32_e32 v25, s3
	v_add_co_u32_e32 v24, vcc, s2, v22
	v_addc_co_u32_e32 v25, vcc, 0, v25, vcc
	s_waitcnt lgkmcnt(4)
	flat_store_dword v[24:25], v2
	flat_store_dword v[24:25], v3 offset:512
	s_waitcnt lgkmcnt(0)
	flat_store_dword v[24:25], v4 offset:1024
	flat_store_dword v[24:25], v5 offset:1536
	;; [unrolled: 1-line block ×6, first 2 shown]
	v_add_co_u32_e32 v2, vcc, 0x1000, v24
	v_addc_co_u32_e32 v3, vcc, 0, v25, vcc
	flat_store_dword v[2:3], v20
	flat_store_dword v[2:3], v21 offset:512
	s_mov_b64 s[0:1], 0
.LBB6644_120:
	s_andn2_b64 vcc, exec, s[0:1]
	s_cbranch_vccnz .LBB6644_176
; %bb.121:
	ds_write2_b64 v1, v[6:7], v[8:9] offset1:1
	ds_write2_b64 v1, v[10:11], v[12:13] offset0:2 offset1:3
	s_waitcnt vmcnt(0)
	ds_write_b64 v1, v[14:15] offset:32
	s_waitcnt lgkmcnt(0)
	s_barrier
	ds_read2st64_b32 v[2:3], v22 offset1:2
	ds_read2st64_b32 v[6:7], v22 offset0:4 offset1:6
	ds_read2st64_b32 v[4:5], v22 offset0:8 offset1:10
	;; [unrolled: 1-line block ×4, first 2 shown]
	v_mov_b32_e32 v13, s3
	v_add_co_u32_e32 v12, vcc, s2, v22
	v_addc_co_u32_e32 v13, vcc, 0, v13, vcc
	v_mov_b32_e32 v1, 0
	v_cmp_gt_u32_e32 vcc, s33, v0
	s_and_saveexec_b64 s[0:1], vcc
	s_cbranch_execz .LBB6644_123
; %bb.122:
	s_waitcnt lgkmcnt(4)
	flat_store_dword v[12:13], v2
.LBB6644_123:
	s_or_b64 exec, exec, s[0:1]
	v_or_b32_e32 v14, 0x80, v0
	v_cmp_gt_u32_e32 vcc, s33, v14
	s_and_saveexec_b64 s[0:1], vcc
	s_cbranch_execz .LBB6644_125
; %bb.124:
	s_waitcnt lgkmcnt(0)
	flat_store_dword v[12:13], v3 offset:512
.LBB6644_125:
	s_or_b64 exec, exec, s[0:1]
	v_or_b32_e32 v14, 0x100, v0
	v_cmp_gt_u32_e32 vcc, s33, v14
	s_and_saveexec_b64 s[0:1], vcc
	s_cbranch_execz .LBB6644_127
; %bb.126:
	s_waitcnt lgkmcnt(0)
	flat_store_dword v[12:13], v6 offset:1024
.LBB6644_127:
	;; [unrolled: 9-line block ×7, first 2 shown]
	s_or_b64 exec, exec, s[0:1]
	v_or_b32_e32 v14, 0x400, v0
	v_cmp_gt_u32_e32 vcc, s33, v14
	s_and_saveexec_b64 s[0:1], vcc
	s_cbranch_execz .LBB6644_139
; %bb.138:
	v_add_co_u32_e32 v14, vcc, 0x1000, v12
	v_addc_co_u32_e32 v15, vcc, 0, v13, vcc
	s_waitcnt lgkmcnt(0)
	flat_store_dword v[14:15], v10
.LBB6644_139:
	s_or_b64 exec, exec, s[0:1]
	v_or_b32_e32 v14, 0x480, v0
	v_cmp_gt_u32_e32 vcc, s33, v14
	s_and_saveexec_b64 s[0:1], vcc
	s_cbranch_execz .LBB6644_141
; %bb.140:
	v_add_co_u32_e32 v12, vcc, 0x1000, v12
	v_addc_co_u32_e32 v13, vcc, 0, v13, vcc
	s_waitcnt lgkmcnt(0)
	flat_store_dword v[12:13], v11 offset:512
.LBB6644_141:
	s_or_b64 exec, exec, s[0:1]
	v_cmp_lt_u64_e64 s[0:1], s[10:11], 2
	s_and_b64 vcc, exec, s[0:1]
	s_cbranch_vccnz .LBB6644_176
; %bb.142:
	s_add_u32 s0, s33, -1
	s_addc_u32 s1, s36, -1
	s_add_u32 s2, 0, 0x99986000
	s_addc_u32 s3, 0, 0x59
	s_add_i32 s3, s3, 0x19999940
	s_mul_hi_u32 s9, s2, -10
	s_sub_i32 s9, s9, s2
	s_mul_i32 s10, s3, -10
	s_mul_i32 s4, s2, -10
	s_add_i32 s9, s9, s10
	s_mul_hi_u32 s5, s3, s4
	s_mul_i32 s8, s3, s4
	s_mul_i32 s11, s2, s9
	s_mul_hi_u32 s4, s2, s4
	s_mul_hi_u32 s10, s2, s9
	s_add_u32 s4, s4, s11
	s_addc_u32 s10, 0, s10
	s_add_u32 s4, s4, s8
	s_mul_hi_u32 s11, s3, s9
	s_addc_u32 s4, s10, s5
	s_addc_u32 s5, s11, 0
	s_mul_i32 s8, s3, s9
	s_add_u32 s4, s4, s8
	v_mov_b32_e32 v12, s4
	s_addc_u32 s5, 0, s5
	v_add_co_u32_e32 v12, vcc, s2, v12
	s_cmp_lg_u64 vcc, 0
	s_addc_u32 s2, s3, s5
	v_readfirstlane_b32 s5, v12
	s_mul_i32 s4, s0, s2
	s_mul_hi_u32 s8, s0, s5
	s_mul_hi_u32 s3, s0, s2
	s_add_u32 s4, s8, s4
	s_addc_u32 s3, 0, s3
	s_mul_hi_u32 s9, s1, s5
	s_mul_i32 s5, s1, s5
	s_add_u32 s4, s4, s5
	s_mul_hi_u32 s8, s1, s2
	s_addc_u32 s3, s3, s9
	s_addc_u32 s4, s8, 0
	s_mul_i32 s2, s1, s2
	s_add_u32 s2, s3, s2
	s_addc_u32 s3, 0, s4
	s_add_u32 s4, s2, 1
	s_addc_u32 s5, s3, 0
	s_add_u32 s8, s2, 2
	s_mul_i32 s10, s3, 10
	s_mul_hi_u32 s11, s2, 10
	s_addc_u32 s9, s3, 0
	s_add_i32 s11, s11, s10
	s_mul_i32 s10, s2, 10
	v_mov_b32_e32 v12, s10
	v_sub_co_u32_e32 v12, vcc, s0, v12
	s_cmp_lg_u64 vcc, 0
	s_subb_u32 s10, s1, s11
	v_subrev_co_u32_e32 v13, vcc, 10, v12
	s_cmp_lg_u64 vcc, 0
	s_subb_u32 s11, s10, 0
	v_readfirstlane_b32 s12, v13
	s_cmp_gt_u32 s12, 9
	s_cselect_b32 s12, -1, 0
	s_cmp_eq_u32 s11, 0
	s_cselect_b32 s11, s12, -1
	s_cmp_lg_u32 s11, 0
	s_cselect_b32 s4, s8, s4
	v_readfirstlane_b32 s8, v12
	s_cselect_b32 s5, s9, s5
	s_cmp_gt_u32 s8, 9
	s_cselect_b32 s8, -1, 0
	s_cmp_eq_u32 s10, 0
	s_cselect_b32 s8, s8, -1
	s_cmp_lg_u32 s8, 0
	s_cselect_b32 s3, s5, s3
	s_cselect_b32 s2, s4, s2
	v_cmp_eq_u64_e32 vcc, s[2:3], v[0:1]
	s_and_saveexec_b64 s[2:3], vcc
	s_cbranch_execz .LBB6644_176
; %bb.143:
	v_mul_hi_u32_u24_e32 v1, 10, v0
	v_mov_b32_e32 v12, s1
	v_sub_co_u32_e32 v0, vcc, s0, v23
	v_subb_co_u32_e32 v1, vcc, v12, v1, vcc
	v_cmp_lt_i64_e32 vcc, 4, v[0:1]
	s_and_saveexec_b64 s[0:1], vcc
	s_xor_b64 s[0:1], exec, s[0:1]
	s_cbranch_execz .LBB6644_161
; %bb.144:
	v_cmp_lt_i64_e32 vcc, 6, v[0:1]
	s_and_saveexec_b64 s[2:3], vcc
	s_xor_b64 s[2:3], exec, s[2:3]
	s_cbranch_execz .LBB6644_154
; %bb.145:
	;; [unrolled: 5-line block ×4, first 2 shown]
	v_mov_b32_e32 v0, 0
	s_waitcnt lgkmcnt(0)
	global_store_dword v0, v11, s[6:7]
                                        ; implicit-def: $vgpr10_vgpr11
.LBB6644_148:
	s_andn2_saveexec_b64 s[8:9], s[8:9]
	s_cbranch_execz .LBB6644_150
; %bb.149:
	v_mov_b32_e32 v0, 0
	s_waitcnt lgkmcnt(0)
	global_store_dword v0, v10, s[6:7]
.LBB6644_150:
	s_or_b64 exec, exec, s[8:9]
                                        ; implicit-def: $vgpr8_vgpr9
.LBB6644_151:
	s_andn2_saveexec_b64 s[4:5], s[4:5]
	s_cbranch_execz .LBB6644_153
; %bb.152:
	v_mov_b32_e32 v0, 0
	s_waitcnt lgkmcnt(0)
	global_store_dword v0, v9, s[6:7]
.LBB6644_153:
	s_or_b64 exec, exec, s[4:5]
                                        ; implicit-def: $vgpr4_vgpr5
                                        ; implicit-def: $vgpr0_vgpr1
                                        ; implicit-def: $vgpr8_vgpr9
.LBB6644_154:
	s_andn2_saveexec_b64 s[2:3], s[2:3]
	s_cbranch_execz .LBB6644_160
; %bb.155:
	v_cmp_lt_i64_e32 vcc, 5, v[0:1]
	s_and_saveexec_b64 s[4:5], vcc
	s_xor_b64 s[4:5], exec, s[4:5]
	s_cbranch_execz .LBB6644_157
; %bb.156:
	v_mov_b32_e32 v0, 0
	s_waitcnt lgkmcnt(0)
	global_store_dword v0, v8, s[6:7]
                                        ; implicit-def: $vgpr4_vgpr5
.LBB6644_157:
	s_andn2_saveexec_b64 s[4:5], s[4:5]
	s_cbranch_execz .LBB6644_159
; %bb.158:
	v_mov_b32_e32 v0, 0
	s_waitcnt lgkmcnt(0)
	global_store_dword v0, v5, s[6:7]
.LBB6644_159:
	s_or_b64 exec, exec, s[4:5]
.LBB6644_160:
	s_or_b64 exec, exec, s[2:3]
                                        ; implicit-def: $vgpr0_vgpr1
                                        ; implicit-def: $vgpr6_vgpr7
                                        ; implicit-def: $vgpr2_vgpr3
                                        ; implicit-def: $vgpr4_vgpr5
.LBB6644_161:
	s_andn2_saveexec_b64 s[0:1], s[0:1]
	s_cbranch_execz .LBB6644_176
; %bb.162:
	v_cmp_lt_i64_e32 vcc, 2, v[0:1]
	s_and_saveexec_b64 s[0:1], vcc
	s_xor_b64 s[0:1], exec, s[0:1]
	s_cbranch_execz .LBB6644_168
; %bb.163:
	v_cmp_lt_i64_e32 vcc, 3, v[0:1]
	s_and_saveexec_b64 s[2:3], vcc
	s_xor_b64 s[2:3], exec, s[2:3]
	s_cbranch_execz .LBB6644_165
; %bb.164:
	v_mov_b32_e32 v0, 0
	s_waitcnt lgkmcnt(0)
	global_store_dword v0, v4, s[6:7]
                                        ; implicit-def: $vgpr6_vgpr7
.LBB6644_165:
	s_andn2_saveexec_b64 s[2:3], s[2:3]
	s_cbranch_execz .LBB6644_167
; %bb.166:
	v_mov_b32_e32 v0, 0
	s_waitcnt lgkmcnt(0)
	global_store_dword v0, v7, s[6:7]
.LBB6644_167:
	s_or_b64 exec, exec, s[2:3]
                                        ; implicit-def: $vgpr0_vgpr1
                                        ; implicit-def: $vgpr6_vgpr7
                                        ; implicit-def: $vgpr2_vgpr3
.LBB6644_168:
	s_andn2_saveexec_b64 s[0:1], s[0:1]
	s_cbranch_execz .LBB6644_176
; %bb.169:
	v_cmp_lt_i64_e32 vcc, 1, v[0:1]
	s_and_saveexec_b64 s[0:1], vcc
	s_xor_b64 s[0:1], exec, s[0:1]
	s_cbranch_execz .LBB6644_171
; %bb.170:
	v_mov_b32_e32 v0, 0
	s_waitcnt lgkmcnt(0)
	global_store_dword v0, v6, s[6:7]
                                        ; implicit-def: $vgpr2_vgpr3
                                        ; implicit-def: $vgpr0_vgpr1
.LBB6644_171:
	s_andn2_saveexec_b64 s[0:1], s[0:1]
	s_cbranch_execz .LBB6644_176
; %bb.172:
	v_cmp_ne_u64_e32 vcc, 1, v[0:1]
	s_and_saveexec_b64 s[0:1], vcc
	s_xor_b64 s[0:1], exec, s[0:1]
	s_cbranch_execz .LBB6644_174
; %bb.173:
	v_mov_b32_e32 v0, 0
	s_waitcnt lgkmcnt(0)
	global_store_dword v0, v2, s[6:7]
                                        ; implicit-def: $vgpr2_vgpr3
.LBB6644_174:
	s_andn2_saveexec_b64 s[0:1], s[0:1]
	s_cbranch_execz .LBB6644_176
; %bb.175:
	v_mov_b32_e32 v0, 0
	s_waitcnt lgkmcnt(0)
	global_store_dword v0, v3, s[6:7]
.LBB6644_176:
	s_endpgm
	.section	.rodata,"a",@progbits
	.p2align	6, 0x0
	.amdhsa_kernel _ZN7rocprim17ROCPRIM_400000_NS6detail17trampoline_kernelINS0_14default_configENS1_20scan_config_selectorIiEEZZNS1_9scan_implILNS1_25lookback_scan_determinismE0ELb0ELb0ES3_N6thrust23THRUST_200600_302600_NS6detail15normal_iteratorINS9_10device_ptrIiEEEESE_i9plus_mod3IiEiEEDaPvRmT3_T4_T5_mT6_P12ihipStream_tbENKUlT_T0_E_clISt17integral_constantIbLb1EEST_IbLb0EEEEDaSP_SQ_EUlSP_E_NS1_11comp_targetILNS1_3genE4ELNS1_11target_archE910ELNS1_3gpuE8ELNS1_3repE0EEENS1_30default_config_static_selectorELNS0_4arch9wavefront6targetE1EEEvT1_
		.amdhsa_group_segment_fixed_size 5120
		.amdhsa_private_segment_fixed_size 0
		.amdhsa_kernarg_size 104
		.amdhsa_user_sgpr_count 6
		.amdhsa_user_sgpr_private_segment_buffer 1
		.amdhsa_user_sgpr_dispatch_ptr 0
		.amdhsa_user_sgpr_queue_ptr 0
		.amdhsa_user_sgpr_kernarg_segment_ptr 1
		.amdhsa_user_sgpr_dispatch_id 0
		.amdhsa_user_sgpr_flat_scratch_init 0
		.amdhsa_user_sgpr_kernarg_preload_length 0
		.amdhsa_user_sgpr_kernarg_preload_offset 0
		.amdhsa_user_sgpr_private_segment_size 0
		.amdhsa_uses_dynamic_stack 0
		.amdhsa_system_sgpr_private_segment_wavefront_offset 0
		.amdhsa_system_sgpr_workgroup_id_x 1
		.amdhsa_system_sgpr_workgroup_id_y 0
		.amdhsa_system_sgpr_workgroup_id_z 0
		.amdhsa_system_sgpr_workgroup_info 0
		.amdhsa_system_vgpr_workitem_id 0
		.amdhsa_next_free_vgpr 42
		.amdhsa_next_free_sgpr 40
		.amdhsa_accum_offset 44
		.amdhsa_reserve_vcc 1
		.amdhsa_reserve_flat_scratch 0
		.amdhsa_float_round_mode_32 0
		.amdhsa_float_round_mode_16_64 0
		.amdhsa_float_denorm_mode_32 3
		.amdhsa_float_denorm_mode_16_64 3
		.amdhsa_dx10_clamp 1
		.amdhsa_ieee_mode 1
		.amdhsa_fp16_overflow 0
		.amdhsa_tg_split 0
		.amdhsa_exception_fp_ieee_invalid_op 0
		.amdhsa_exception_fp_denorm_src 0
		.amdhsa_exception_fp_ieee_div_zero 0
		.amdhsa_exception_fp_ieee_overflow 0
		.amdhsa_exception_fp_ieee_underflow 0
		.amdhsa_exception_fp_ieee_inexact 0
		.amdhsa_exception_int_div_zero 0
	.end_amdhsa_kernel
	.section	.text._ZN7rocprim17ROCPRIM_400000_NS6detail17trampoline_kernelINS0_14default_configENS1_20scan_config_selectorIiEEZZNS1_9scan_implILNS1_25lookback_scan_determinismE0ELb0ELb0ES3_N6thrust23THRUST_200600_302600_NS6detail15normal_iteratorINS9_10device_ptrIiEEEESE_i9plus_mod3IiEiEEDaPvRmT3_T4_T5_mT6_P12ihipStream_tbENKUlT_T0_E_clISt17integral_constantIbLb1EEST_IbLb0EEEEDaSP_SQ_EUlSP_E_NS1_11comp_targetILNS1_3genE4ELNS1_11target_archE910ELNS1_3gpuE8ELNS1_3repE0EEENS1_30default_config_static_selectorELNS0_4arch9wavefront6targetE1EEEvT1_,"axG",@progbits,_ZN7rocprim17ROCPRIM_400000_NS6detail17trampoline_kernelINS0_14default_configENS1_20scan_config_selectorIiEEZZNS1_9scan_implILNS1_25lookback_scan_determinismE0ELb0ELb0ES3_N6thrust23THRUST_200600_302600_NS6detail15normal_iteratorINS9_10device_ptrIiEEEESE_i9plus_mod3IiEiEEDaPvRmT3_T4_T5_mT6_P12ihipStream_tbENKUlT_T0_E_clISt17integral_constantIbLb1EEST_IbLb0EEEEDaSP_SQ_EUlSP_E_NS1_11comp_targetILNS1_3genE4ELNS1_11target_archE910ELNS1_3gpuE8ELNS1_3repE0EEENS1_30default_config_static_selectorELNS0_4arch9wavefront6targetE1EEEvT1_,comdat
.Lfunc_end6644:
	.size	_ZN7rocprim17ROCPRIM_400000_NS6detail17trampoline_kernelINS0_14default_configENS1_20scan_config_selectorIiEEZZNS1_9scan_implILNS1_25lookback_scan_determinismE0ELb0ELb0ES3_N6thrust23THRUST_200600_302600_NS6detail15normal_iteratorINS9_10device_ptrIiEEEESE_i9plus_mod3IiEiEEDaPvRmT3_T4_T5_mT6_P12ihipStream_tbENKUlT_T0_E_clISt17integral_constantIbLb1EEST_IbLb0EEEEDaSP_SQ_EUlSP_E_NS1_11comp_targetILNS1_3genE4ELNS1_11target_archE910ELNS1_3gpuE8ELNS1_3repE0EEENS1_30default_config_static_selectorELNS0_4arch9wavefront6targetE1EEEvT1_, .Lfunc_end6644-_ZN7rocprim17ROCPRIM_400000_NS6detail17trampoline_kernelINS0_14default_configENS1_20scan_config_selectorIiEEZZNS1_9scan_implILNS1_25lookback_scan_determinismE0ELb0ELb0ES3_N6thrust23THRUST_200600_302600_NS6detail15normal_iteratorINS9_10device_ptrIiEEEESE_i9plus_mod3IiEiEEDaPvRmT3_T4_T5_mT6_P12ihipStream_tbENKUlT_T0_E_clISt17integral_constantIbLb1EEST_IbLb0EEEEDaSP_SQ_EUlSP_E_NS1_11comp_targetILNS1_3genE4ELNS1_11target_archE910ELNS1_3gpuE8ELNS1_3repE0EEENS1_30default_config_static_selectorELNS0_4arch9wavefront6targetE1EEEvT1_
                                        ; -- End function
	.section	.AMDGPU.csdata,"",@progbits
; Kernel info:
; codeLenInByte = 7608
; NumSgprs: 44
; NumVgprs: 42
; NumAgprs: 0
; TotalNumVgprs: 42
; ScratchSize: 0
; MemoryBound: 0
; FloatMode: 240
; IeeeMode: 1
; LDSByteSize: 5120 bytes/workgroup (compile time only)
; SGPRBlocks: 5
; VGPRBlocks: 5
; NumSGPRsForWavesPerEU: 44
; NumVGPRsForWavesPerEU: 42
; AccumOffset: 44
; Occupancy: 6
; WaveLimiterHint : 1
; COMPUTE_PGM_RSRC2:SCRATCH_EN: 0
; COMPUTE_PGM_RSRC2:USER_SGPR: 6
; COMPUTE_PGM_RSRC2:TRAP_HANDLER: 0
; COMPUTE_PGM_RSRC2:TGID_X_EN: 1
; COMPUTE_PGM_RSRC2:TGID_Y_EN: 0
; COMPUTE_PGM_RSRC2:TGID_Z_EN: 0
; COMPUTE_PGM_RSRC2:TIDIG_COMP_CNT: 0
; COMPUTE_PGM_RSRC3_GFX90A:ACCUM_OFFSET: 10
; COMPUTE_PGM_RSRC3_GFX90A:TG_SPLIT: 0
	.section	.text._ZN7rocprim17ROCPRIM_400000_NS6detail17trampoline_kernelINS0_14default_configENS1_20scan_config_selectorIiEEZZNS1_9scan_implILNS1_25lookback_scan_determinismE0ELb0ELb0ES3_N6thrust23THRUST_200600_302600_NS6detail15normal_iteratorINS9_10device_ptrIiEEEESE_i9plus_mod3IiEiEEDaPvRmT3_T4_T5_mT6_P12ihipStream_tbENKUlT_T0_E_clISt17integral_constantIbLb1EEST_IbLb0EEEEDaSP_SQ_EUlSP_E_NS1_11comp_targetILNS1_3genE3ELNS1_11target_archE908ELNS1_3gpuE7ELNS1_3repE0EEENS1_30default_config_static_selectorELNS0_4arch9wavefront6targetE1EEEvT1_,"axG",@progbits,_ZN7rocprim17ROCPRIM_400000_NS6detail17trampoline_kernelINS0_14default_configENS1_20scan_config_selectorIiEEZZNS1_9scan_implILNS1_25lookback_scan_determinismE0ELb0ELb0ES3_N6thrust23THRUST_200600_302600_NS6detail15normal_iteratorINS9_10device_ptrIiEEEESE_i9plus_mod3IiEiEEDaPvRmT3_T4_T5_mT6_P12ihipStream_tbENKUlT_T0_E_clISt17integral_constantIbLb1EEST_IbLb0EEEEDaSP_SQ_EUlSP_E_NS1_11comp_targetILNS1_3genE3ELNS1_11target_archE908ELNS1_3gpuE7ELNS1_3repE0EEENS1_30default_config_static_selectorELNS0_4arch9wavefront6targetE1EEEvT1_,comdat
	.protected	_ZN7rocprim17ROCPRIM_400000_NS6detail17trampoline_kernelINS0_14default_configENS1_20scan_config_selectorIiEEZZNS1_9scan_implILNS1_25lookback_scan_determinismE0ELb0ELb0ES3_N6thrust23THRUST_200600_302600_NS6detail15normal_iteratorINS9_10device_ptrIiEEEESE_i9plus_mod3IiEiEEDaPvRmT3_T4_T5_mT6_P12ihipStream_tbENKUlT_T0_E_clISt17integral_constantIbLb1EEST_IbLb0EEEEDaSP_SQ_EUlSP_E_NS1_11comp_targetILNS1_3genE3ELNS1_11target_archE908ELNS1_3gpuE7ELNS1_3repE0EEENS1_30default_config_static_selectorELNS0_4arch9wavefront6targetE1EEEvT1_ ; -- Begin function _ZN7rocprim17ROCPRIM_400000_NS6detail17trampoline_kernelINS0_14default_configENS1_20scan_config_selectorIiEEZZNS1_9scan_implILNS1_25lookback_scan_determinismE0ELb0ELb0ES3_N6thrust23THRUST_200600_302600_NS6detail15normal_iteratorINS9_10device_ptrIiEEEESE_i9plus_mod3IiEiEEDaPvRmT3_T4_T5_mT6_P12ihipStream_tbENKUlT_T0_E_clISt17integral_constantIbLb1EEST_IbLb0EEEEDaSP_SQ_EUlSP_E_NS1_11comp_targetILNS1_3genE3ELNS1_11target_archE908ELNS1_3gpuE7ELNS1_3repE0EEENS1_30default_config_static_selectorELNS0_4arch9wavefront6targetE1EEEvT1_
	.globl	_ZN7rocprim17ROCPRIM_400000_NS6detail17trampoline_kernelINS0_14default_configENS1_20scan_config_selectorIiEEZZNS1_9scan_implILNS1_25lookback_scan_determinismE0ELb0ELb0ES3_N6thrust23THRUST_200600_302600_NS6detail15normal_iteratorINS9_10device_ptrIiEEEESE_i9plus_mod3IiEiEEDaPvRmT3_T4_T5_mT6_P12ihipStream_tbENKUlT_T0_E_clISt17integral_constantIbLb1EEST_IbLb0EEEEDaSP_SQ_EUlSP_E_NS1_11comp_targetILNS1_3genE3ELNS1_11target_archE908ELNS1_3gpuE7ELNS1_3repE0EEENS1_30default_config_static_selectorELNS0_4arch9wavefront6targetE1EEEvT1_
	.p2align	8
	.type	_ZN7rocprim17ROCPRIM_400000_NS6detail17trampoline_kernelINS0_14default_configENS1_20scan_config_selectorIiEEZZNS1_9scan_implILNS1_25lookback_scan_determinismE0ELb0ELb0ES3_N6thrust23THRUST_200600_302600_NS6detail15normal_iteratorINS9_10device_ptrIiEEEESE_i9plus_mod3IiEiEEDaPvRmT3_T4_T5_mT6_P12ihipStream_tbENKUlT_T0_E_clISt17integral_constantIbLb1EEST_IbLb0EEEEDaSP_SQ_EUlSP_E_NS1_11comp_targetILNS1_3genE3ELNS1_11target_archE908ELNS1_3gpuE7ELNS1_3repE0EEENS1_30default_config_static_selectorELNS0_4arch9wavefront6targetE1EEEvT1_,@function
_ZN7rocprim17ROCPRIM_400000_NS6detail17trampoline_kernelINS0_14default_configENS1_20scan_config_selectorIiEEZZNS1_9scan_implILNS1_25lookback_scan_determinismE0ELb0ELb0ES3_N6thrust23THRUST_200600_302600_NS6detail15normal_iteratorINS9_10device_ptrIiEEEESE_i9plus_mod3IiEiEEDaPvRmT3_T4_T5_mT6_P12ihipStream_tbENKUlT_T0_E_clISt17integral_constantIbLb1EEST_IbLb0EEEEDaSP_SQ_EUlSP_E_NS1_11comp_targetILNS1_3genE3ELNS1_11target_archE908ELNS1_3gpuE7ELNS1_3repE0EEENS1_30default_config_static_selectorELNS0_4arch9wavefront6targetE1EEEvT1_: ; @_ZN7rocprim17ROCPRIM_400000_NS6detail17trampoline_kernelINS0_14default_configENS1_20scan_config_selectorIiEEZZNS1_9scan_implILNS1_25lookback_scan_determinismE0ELb0ELb0ES3_N6thrust23THRUST_200600_302600_NS6detail15normal_iteratorINS9_10device_ptrIiEEEESE_i9plus_mod3IiEiEEDaPvRmT3_T4_T5_mT6_P12ihipStream_tbENKUlT_T0_E_clISt17integral_constantIbLb1EEST_IbLb0EEEEDaSP_SQ_EUlSP_E_NS1_11comp_targetILNS1_3genE3ELNS1_11target_archE908ELNS1_3gpuE7ELNS1_3repE0EEENS1_30default_config_static_selectorELNS0_4arch9wavefront6targetE1EEEvT1_
; %bb.0:
	.section	.rodata,"a",@progbits
	.p2align	6, 0x0
	.amdhsa_kernel _ZN7rocprim17ROCPRIM_400000_NS6detail17trampoline_kernelINS0_14default_configENS1_20scan_config_selectorIiEEZZNS1_9scan_implILNS1_25lookback_scan_determinismE0ELb0ELb0ES3_N6thrust23THRUST_200600_302600_NS6detail15normal_iteratorINS9_10device_ptrIiEEEESE_i9plus_mod3IiEiEEDaPvRmT3_T4_T5_mT6_P12ihipStream_tbENKUlT_T0_E_clISt17integral_constantIbLb1EEST_IbLb0EEEEDaSP_SQ_EUlSP_E_NS1_11comp_targetILNS1_3genE3ELNS1_11target_archE908ELNS1_3gpuE7ELNS1_3repE0EEENS1_30default_config_static_selectorELNS0_4arch9wavefront6targetE1EEEvT1_
		.amdhsa_group_segment_fixed_size 0
		.amdhsa_private_segment_fixed_size 0
		.amdhsa_kernarg_size 104
		.amdhsa_user_sgpr_count 6
		.amdhsa_user_sgpr_private_segment_buffer 1
		.amdhsa_user_sgpr_dispatch_ptr 0
		.amdhsa_user_sgpr_queue_ptr 0
		.amdhsa_user_sgpr_kernarg_segment_ptr 1
		.amdhsa_user_sgpr_dispatch_id 0
		.amdhsa_user_sgpr_flat_scratch_init 0
		.amdhsa_user_sgpr_kernarg_preload_length 0
		.amdhsa_user_sgpr_kernarg_preload_offset 0
		.amdhsa_user_sgpr_private_segment_size 0
		.amdhsa_uses_dynamic_stack 0
		.amdhsa_system_sgpr_private_segment_wavefront_offset 0
		.amdhsa_system_sgpr_workgroup_id_x 1
		.amdhsa_system_sgpr_workgroup_id_y 0
		.amdhsa_system_sgpr_workgroup_id_z 0
		.amdhsa_system_sgpr_workgroup_info 0
		.amdhsa_system_vgpr_workitem_id 0
		.amdhsa_next_free_vgpr 1
		.amdhsa_next_free_sgpr 0
		.amdhsa_accum_offset 4
		.amdhsa_reserve_vcc 0
		.amdhsa_reserve_flat_scratch 0
		.amdhsa_float_round_mode_32 0
		.amdhsa_float_round_mode_16_64 0
		.amdhsa_float_denorm_mode_32 3
		.amdhsa_float_denorm_mode_16_64 3
		.amdhsa_dx10_clamp 1
		.amdhsa_ieee_mode 1
		.amdhsa_fp16_overflow 0
		.amdhsa_tg_split 0
		.amdhsa_exception_fp_ieee_invalid_op 0
		.amdhsa_exception_fp_denorm_src 0
		.amdhsa_exception_fp_ieee_div_zero 0
		.amdhsa_exception_fp_ieee_overflow 0
		.amdhsa_exception_fp_ieee_underflow 0
		.amdhsa_exception_fp_ieee_inexact 0
		.amdhsa_exception_int_div_zero 0
	.end_amdhsa_kernel
	.section	.text._ZN7rocprim17ROCPRIM_400000_NS6detail17trampoline_kernelINS0_14default_configENS1_20scan_config_selectorIiEEZZNS1_9scan_implILNS1_25lookback_scan_determinismE0ELb0ELb0ES3_N6thrust23THRUST_200600_302600_NS6detail15normal_iteratorINS9_10device_ptrIiEEEESE_i9plus_mod3IiEiEEDaPvRmT3_T4_T5_mT6_P12ihipStream_tbENKUlT_T0_E_clISt17integral_constantIbLb1EEST_IbLb0EEEEDaSP_SQ_EUlSP_E_NS1_11comp_targetILNS1_3genE3ELNS1_11target_archE908ELNS1_3gpuE7ELNS1_3repE0EEENS1_30default_config_static_selectorELNS0_4arch9wavefront6targetE1EEEvT1_,"axG",@progbits,_ZN7rocprim17ROCPRIM_400000_NS6detail17trampoline_kernelINS0_14default_configENS1_20scan_config_selectorIiEEZZNS1_9scan_implILNS1_25lookback_scan_determinismE0ELb0ELb0ES3_N6thrust23THRUST_200600_302600_NS6detail15normal_iteratorINS9_10device_ptrIiEEEESE_i9plus_mod3IiEiEEDaPvRmT3_T4_T5_mT6_P12ihipStream_tbENKUlT_T0_E_clISt17integral_constantIbLb1EEST_IbLb0EEEEDaSP_SQ_EUlSP_E_NS1_11comp_targetILNS1_3genE3ELNS1_11target_archE908ELNS1_3gpuE7ELNS1_3repE0EEENS1_30default_config_static_selectorELNS0_4arch9wavefront6targetE1EEEvT1_,comdat
.Lfunc_end6645:
	.size	_ZN7rocprim17ROCPRIM_400000_NS6detail17trampoline_kernelINS0_14default_configENS1_20scan_config_selectorIiEEZZNS1_9scan_implILNS1_25lookback_scan_determinismE0ELb0ELb0ES3_N6thrust23THRUST_200600_302600_NS6detail15normal_iteratorINS9_10device_ptrIiEEEESE_i9plus_mod3IiEiEEDaPvRmT3_T4_T5_mT6_P12ihipStream_tbENKUlT_T0_E_clISt17integral_constantIbLb1EEST_IbLb0EEEEDaSP_SQ_EUlSP_E_NS1_11comp_targetILNS1_3genE3ELNS1_11target_archE908ELNS1_3gpuE7ELNS1_3repE0EEENS1_30default_config_static_selectorELNS0_4arch9wavefront6targetE1EEEvT1_, .Lfunc_end6645-_ZN7rocprim17ROCPRIM_400000_NS6detail17trampoline_kernelINS0_14default_configENS1_20scan_config_selectorIiEEZZNS1_9scan_implILNS1_25lookback_scan_determinismE0ELb0ELb0ES3_N6thrust23THRUST_200600_302600_NS6detail15normal_iteratorINS9_10device_ptrIiEEEESE_i9plus_mod3IiEiEEDaPvRmT3_T4_T5_mT6_P12ihipStream_tbENKUlT_T0_E_clISt17integral_constantIbLb1EEST_IbLb0EEEEDaSP_SQ_EUlSP_E_NS1_11comp_targetILNS1_3genE3ELNS1_11target_archE908ELNS1_3gpuE7ELNS1_3repE0EEENS1_30default_config_static_selectorELNS0_4arch9wavefront6targetE1EEEvT1_
                                        ; -- End function
	.section	.AMDGPU.csdata,"",@progbits
; Kernel info:
; codeLenInByte = 0
; NumSgprs: 4
; NumVgprs: 0
; NumAgprs: 0
; TotalNumVgprs: 0
; ScratchSize: 0
; MemoryBound: 0
; FloatMode: 240
; IeeeMode: 1
; LDSByteSize: 0 bytes/workgroup (compile time only)
; SGPRBlocks: 0
; VGPRBlocks: 0
; NumSGPRsForWavesPerEU: 4
; NumVGPRsForWavesPerEU: 1
; AccumOffset: 4
; Occupancy: 8
; WaveLimiterHint : 0
; COMPUTE_PGM_RSRC2:SCRATCH_EN: 0
; COMPUTE_PGM_RSRC2:USER_SGPR: 6
; COMPUTE_PGM_RSRC2:TRAP_HANDLER: 0
; COMPUTE_PGM_RSRC2:TGID_X_EN: 1
; COMPUTE_PGM_RSRC2:TGID_Y_EN: 0
; COMPUTE_PGM_RSRC2:TGID_Z_EN: 0
; COMPUTE_PGM_RSRC2:TIDIG_COMP_CNT: 0
; COMPUTE_PGM_RSRC3_GFX90A:ACCUM_OFFSET: 0
; COMPUTE_PGM_RSRC3_GFX90A:TG_SPLIT: 0
	.section	.text._ZN7rocprim17ROCPRIM_400000_NS6detail17trampoline_kernelINS0_14default_configENS1_20scan_config_selectorIiEEZZNS1_9scan_implILNS1_25lookback_scan_determinismE0ELb0ELb0ES3_N6thrust23THRUST_200600_302600_NS6detail15normal_iteratorINS9_10device_ptrIiEEEESE_i9plus_mod3IiEiEEDaPvRmT3_T4_T5_mT6_P12ihipStream_tbENKUlT_T0_E_clISt17integral_constantIbLb1EEST_IbLb0EEEEDaSP_SQ_EUlSP_E_NS1_11comp_targetILNS1_3genE2ELNS1_11target_archE906ELNS1_3gpuE6ELNS1_3repE0EEENS1_30default_config_static_selectorELNS0_4arch9wavefront6targetE1EEEvT1_,"axG",@progbits,_ZN7rocprim17ROCPRIM_400000_NS6detail17trampoline_kernelINS0_14default_configENS1_20scan_config_selectorIiEEZZNS1_9scan_implILNS1_25lookback_scan_determinismE0ELb0ELb0ES3_N6thrust23THRUST_200600_302600_NS6detail15normal_iteratorINS9_10device_ptrIiEEEESE_i9plus_mod3IiEiEEDaPvRmT3_T4_T5_mT6_P12ihipStream_tbENKUlT_T0_E_clISt17integral_constantIbLb1EEST_IbLb0EEEEDaSP_SQ_EUlSP_E_NS1_11comp_targetILNS1_3genE2ELNS1_11target_archE906ELNS1_3gpuE6ELNS1_3repE0EEENS1_30default_config_static_selectorELNS0_4arch9wavefront6targetE1EEEvT1_,comdat
	.protected	_ZN7rocprim17ROCPRIM_400000_NS6detail17trampoline_kernelINS0_14default_configENS1_20scan_config_selectorIiEEZZNS1_9scan_implILNS1_25lookback_scan_determinismE0ELb0ELb0ES3_N6thrust23THRUST_200600_302600_NS6detail15normal_iteratorINS9_10device_ptrIiEEEESE_i9plus_mod3IiEiEEDaPvRmT3_T4_T5_mT6_P12ihipStream_tbENKUlT_T0_E_clISt17integral_constantIbLb1EEST_IbLb0EEEEDaSP_SQ_EUlSP_E_NS1_11comp_targetILNS1_3genE2ELNS1_11target_archE906ELNS1_3gpuE6ELNS1_3repE0EEENS1_30default_config_static_selectorELNS0_4arch9wavefront6targetE1EEEvT1_ ; -- Begin function _ZN7rocprim17ROCPRIM_400000_NS6detail17trampoline_kernelINS0_14default_configENS1_20scan_config_selectorIiEEZZNS1_9scan_implILNS1_25lookback_scan_determinismE0ELb0ELb0ES3_N6thrust23THRUST_200600_302600_NS6detail15normal_iteratorINS9_10device_ptrIiEEEESE_i9plus_mod3IiEiEEDaPvRmT3_T4_T5_mT6_P12ihipStream_tbENKUlT_T0_E_clISt17integral_constantIbLb1EEST_IbLb0EEEEDaSP_SQ_EUlSP_E_NS1_11comp_targetILNS1_3genE2ELNS1_11target_archE906ELNS1_3gpuE6ELNS1_3repE0EEENS1_30default_config_static_selectorELNS0_4arch9wavefront6targetE1EEEvT1_
	.globl	_ZN7rocprim17ROCPRIM_400000_NS6detail17trampoline_kernelINS0_14default_configENS1_20scan_config_selectorIiEEZZNS1_9scan_implILNS1_25lookback_scan_determinismE0ELb0ELb0ES3_N6thrust23THRUST_200600_302600_NS6detail15normal_iteratorINS9_10device_ptrIiEEEESE_i9plus_mod3IiEiEEDaPvRmT3_T4_T5_mT6_P12ihipStream_tbENKUlT_T0_E_clISt17integral_constantIbLb1EEST_IbLb0EEEEDaSP_SQ_EUlSP_E_NS1_11comp_targetILNS1_3genE2ELNS1_11target_archE906ELNS1_3gpuE6ELNS1_3repE0EEENS1_30default_config_static_selectorELNS0_4arch9wavefront6targetE1EEEvT1_
	.p2align	8
	.type	_ZN7rocprim17ROCPRIM_400000_NS6detail17trampoline_kernelINS0_14default_configENS1_20scan_config_selectorIiEEZZNS1_9scan_implILNS1_25lookback_scan_determinismE0ELb0ELb0ES3_N6thrust23THRUST_200600_302600_NS6detail15normal_iteratorINS9_10device_ptrIiEEEESE_i9plus_mod3IiEiEEDaPvRmT3_T4_T5_mT6_P12ihipStream_tbENKUlT_T0_E_clISt17integral_constantIbLb1EEST_IbLb0EEEEDaSP_SQ_EUlSP_E_NS1_11comp_targetILNS1_3genE2ELNS1_11target_archE906ELNS1_3gpuE6ELNS1_3repE0EEENS1_30default_config_static_selectorELNS0_4arch9wavefront6targetE1EEEvT1_,@function
_ZN7rocprim17ROCPRIM_400000_NS6detail17trampoline_kernelINS0_14default_configENS1_20scan_config_selectorIiEEZZNS1_9scan_implILNS1_25lookback_scan_determinismE0ELb0ELb0ES3_N6thrust23THRUST_200600_302600_NS6detail15normal_iteratorINS9_10device_ptrIiEEEESE_i9plus_mod3IiEiEEDaPvRmT3_T4_T5_mT6_P12ihipStream_tbENKUlT_T0_E_clISt17integral_constantIbLb1EEST_IbLb0EEEEDaSP_SQ_EUlSP_E_NS1_11comp_targetILNS1_3genE2ELNS1_11target_archE906ELNS1_3gpuE6ELNS1_3repE0EEENS1_30default_config_static_selectorELNS0_4arch9wavefront6targetE1EEEvT1_: ; @_ZN7rocprim17ROCPRIM_400000_NS6detail17trampoline_kernelINS0_14default_configENS1_20scan_config_selectorIiEEZZNS1_9scan_implILNS1_25lookback_scan_determinismE0ELb0ELb0ES3_N6thrust23THRUST_200600_302600_NS6detail15normal_iteratorINS9_10device_ptrIiEEEESE_i9plus_mod3IiEiEEDaPvRmT3_T4_T5_mT6_P12ihipStream_tbENKUlT_T0_E_clISt17integral_constantIbLb1EEST_IbLb0EEEEDaSP_SQ_EUlSP_E_NS1_11comp_targetILNS1_3genE2ELNS1_11target_archE906ELNS1_3gpuE6ELNS1_3repE0EEENS1_30default_config_static_selectorELNS0_4arch9wavefront6targetE1EEEvT1_
; %bb.0:
	.section	.rodata,"a",@progbits
	.p2align	6, 0x0
	.amdhsa_kernel _ZN7rocprim17ROCPRIM_400000_NS6detail17trampoline_kernelINS0_14default_configENS1_20scan_config_selectorIiEEZZNS1_9scan_implILNS1_25lookback_scan_determinismE0ELb0ELb0ES3_N6thrust23THRUST_200600_302600_NS6detail15normal_iteratorINS9_10device_ptrIiEEEESE_i9plus_mod3IiEiEEDaPvRmT3_T4_T5_mT6_P12ihipStream_tbENKUlT_T0_E_clISt17integral_constantIbLb1EEST_IbLb0EEEEDaSP_SQ_EUlSP_E_NS1_11comp_targetILNS1_3genE2ELNS1_11target_archE906ELNS1_3gpuE6ELNS1_3repE0EEENS1_30default_config_static_selectorELNS0_4arch9wavefront6targetE1EEEvT1_
		.amdhsa_group_segment_fixed_size 0
		.amdhsa_private_segment_fixed_size 0
		.amdhsa_kernarg_size 104
		.amdhsa_user_sgpr_count 6
		.amdhsa_user_sgpr_private_segment_buffer 1
		.amdhsa_user_sgpr_dispatch_ptr 0
		.amdhsa_user_sgpr_queue_ptr 0
		.amdhsa_user_sgpr_kernarg_segment_ptr 1
		.amdhsa_user_sgpr_dispatch_id 0
		.amdhsa_user_sgpr_flat_scratch_init 0
		.amdhsa_user_sgpr_kernarg_preload_length 0
		.amdhsa_user_sgpr_kernarg_preload_offset 0
		.amdhsa_user_sgpr_private_segment_size 0
		.amdhsa_uses_dynamic_stack 0
		.amdhsa_system_sgpr_private_segment_wavefront_offset 0
		.amdhsa_system_sgpr_workgroup_id_x 1
		.amdhsa_system_sgpr_workgroup_id_y 0
		.amdhsa_system_sgpr_workgroup_id_z 0
		.amdhsa_system_sgpr_workgroup_info 0
		.amdhsa_system_vgpr_workitem_id 0
		.amdhsa_next_free_vgpr 1
		.amdhsa_next_free_sgpr 0
		.amdhsa_accum_offset 4
		.amdhsa_reserve_vcc 0
		.amdhsa_reserve_flat_scratch 0
		.amdhsa_float_round_mode_32 0
		.amdhsa_float_round_mode_16_64 0
		.amdhsa_float_denorm_mode_32 3
		.amdhsa_float_denorm_mode_16_64 3
		.amdhsa_dx10_clamp 1
		.amdhsa_ieee_mode 1
		.amdhsa_fp16_overflow 0
		.amdhsa_tg_split 0
		.amdhsa_exception_fp_ieee_invalid_op 0
		.amdhsa_exception_fp_denorm_src 0
		.amdhsa_exception_fp_ieee_div_zero 0
		.amdhsa_exception_fp_ieee_overflow 0
		.amdhsa_exception_fp_ieee_underflow 0
		.amdhsa_exception_fp_ieee_inexact 0
		.amdhsa_exception_int_div_zero 0
	.end_amdhsa_kernel
	.section	.text._ZN7rocprim17ROCPRIM_400000_NS6detail17trampoline_kernelINS0_14default_configENS1_20scan_config_selectorIiEEZZNS1_9scan_implILNS1_25lookback_scan_determinismE0ELb0ELb0ES3_N6thrust23THRUST_200600_302600_NS6detail15normal_iteratorINS9_10device_ptrIiEEEESE_i9plus_mod3IiEiEEDaPvRmT3_T4_T5_mT6_P12ihipStream_tbENKUlT_T0_E_clISt17integral_constantIbLb1EEST_IbLb0EEEEDaSP_SQ_EUlSP_E_NS1_11comp_targetILNS1_3genE2ELNS1_11target_archE906ELNS1_3gpuE6ELNS1_3repE0EEENS1_30default_config_static_selectorELNS0_4arch9wavefront6targetE1EEEvT1_,"axG",@progbits,_ZN7rocprim17ROCPRIM_400000_NS6detail17trampoline_kernelINS0_14default_configENS1_20scan_config_selectorIiEEZZNS1_9scan_implILNS1_25lookback_scan_determinismE0ELb0ELb0ES3_N6thrust23THRUST_200600_302600_NS6detail15normal_iteratorINS9_10device_ptrIiEEEESE_i9plus_mod3IiEiEEDaPvRmT3_T4_T5_mT6_P12ihipStream_tbENKUlT_T0_E_clISt17integral_constantIbLb1EEST_IbLb0EEEEDaSP_SQ_EUlSP_E_NS1_11comp_targetILNS1_3genE2ELNS1_11target_archE906ELNS1_3gpuE6ELNS1_3repE0EEENS1_30default_config_static_selectorELNS0_4arch9wavefront6targetE1EEEvT1_,comdat
.Lfunc_end6646:
	.size	_ZN7rocprim17ROCPRIM_400000_NS6detail17trampoline_kernelINS0_14default_configENS1_20scan_config_selectorIiEEZZNS1_9scan_implILNS1_25lookback_scan_determinismE0ELb0ELb0ES3_N6thrust23THRUST_200600_302600_NS6detail15normal_iteratorINS9_10device_ptrIiEEEESE_i9plus_mod3IiEiEEDaPvRmT3_T4_T5_mT6_P12ihipStream_tbENKUlT_T0_E_clISt17integral_constantIbLb1EEST_IbLb0EEEEDaSP_SQ_EUlSP_E_NS1_11comp_targetILNS1_3genE2ELNS1_11target_archE906ELNS1_3gpuE6ELNS1_3repE0EEENS1_30default_config_static_selectorELNS0_4arch9wavefront6targetE1EEEvT1_, .Lfunc_end6646-_ZN7rocprim17ROCPRIM_400000_NS6detail17trampoline_kernelINS0_14default_configENS1_20scan_config_selectorIiEEZZNS1_9scan_implILNS1_25lookback_scan_determinismE0ELb0ELb0ES3_N6thrust23THRUST_200600_302600_NS6detail15normal_iteratorINS9_10device_ptrIiEEEESE_i9plus_mod3IiEiEEDaPvRmT3_T4_T5_mT6_P12ihipStream_tbENKUlT_T0_E_clISt17integral_constantIbLb1EEST_IbLb0EEEEDaSP_SQ_EUlSP_E_NS1_11comp_targetILNS1_3genE2ELNS1_11target_archE906ELNS1_3gpuE6ELNS1_3repE0EEENS1_30default_config_static_selectorELNS0_4arch9wavefront6targetE1EEEvT1_
                                        ; -- End function
	.section	.AMDGPU.csdata,"",@progbits
; Kernel info:
; codeLenInByte = 0
; NumSgprs: 4
; NumVgprs: 0
; NumAgprs: 0
; TotalNumVgprs: 0
; ScratchSize: 0
; MemoryBound: 0
; FloatMode: 240
; IeeeMode: 1
; LDSByteSize: 0 bytes/workgroup (compile time only)
; SGPRBlocks: 0
; VGPRBlocks: 0
; NumSGPRsForWavesPerEU: 4
; NumVGPRsForWavesPerEU: 1
; AccumOffset: 4
; Occupancy: 8
; WaveLimiterHint : 0
; COMPUTE_PGM_RSRC2:SCRATCH_EN: 0
; COMPUTE_PGM_RSRC2:USER_SGPR: 6
; COMPUTE_PGM_RSRC2:TRAP_HANDLER: 0
; COMPUTE_PGM_RSRC2:TGID_X_EN: 1
; COMPUTE_PGM_RSRC2:TGID_Y_EN: 0
; COMPUTE_PGM_RSRC2:TGID_Z_EN: 0
; COMPUTE_PGM_RSRC2:TIDIG_COMP_CNT: 0
; COMPUTE_PGM_RSRC3_GFX90A:ACCUM_OFFSET: 0
; COMPUTE_PGM_RSRC3_GFX90A:TG_SPLIT: 0
	.section	.text._ZN7rocprim17ROCPRIM_400000_NS6detail17trampoline_kernelINS0_14default_configENS1_20scan_config_selectorIiEEZZNS1_9scan_implILNS1_25lookback_scan_determinismE0ELb0ELb0ES3_N6thrust23THRUST_200600_302600_NS6detail15normal_iteratorINS9_10device_ptrIiEEEESE_i9plus_mod3IiEiEEDaPvRmT3_T4_T5_mT6_P12ihipStream_tbENKUlT_T0_E_clISt17integral_constantIbLb1EEST_IbLb0EEEEDaSP_SQ_EUlSP_E_NS1_11comp_targetILNS1_3genE10ELNS1_11target_archE1201ELNS1_3gpuE5ELNS1_3repE0EEENS1_30default_config_static_selectorELNS0_4arch9wavefront6targetE1EEEvT1_,"axG",@progbits,_ZN7rocprim17ROCPRIM_400000_NS6detail17trampoline_kernelINS0_14default_configENS1_20scan_config_selectorIiEEZZNS1_9scan_implILNS1_25lookback_scan_determinismE0ELb0ELb0ES3_N6thrust23THRUST_200600_302600_NS6detail15normal_iteratorINS9_10device_ptrIiEEEESE_i9plus_mod3IiEiEEDaPvRmT3_T4_T5_mT6_P12ihipStream_tbENKUlT_T0_E_clISt17integral_constantIbLb1EEST_IbLb0EEEEDaSP_SQ_EUlSP_E_NS1_11comp_targetILNS1_3genE10ELNS1_11target_archE1201ELNS1_3gpuE5ELNS1_3repE0EEENS1_30default_config_static_selectorELNS0_4arch9wavefront6targetE1EEEvT1_,comdat
	.protected	_ZN7rocprim17ROCPRIM_400000_NS6detail17trampoline_kernelINS0_14default_configENS1_20scan_config_selectorIiEEZZNS1_9scan_implILNS1_25lookback_scan_determinismE0ELb0ELb0ES3_N6thrust23THRUST_200600_302600_NS6detail15normal_iteratorINS9_10device_ptrIiEEEESE_i9plus_mod3IiEiEEDaPvRmT3_T4_T5_mT6_P12ihipStream_tbENKUlT_T0_E_clISt17integral_constantIbLb1EEST_IbLb0EEEEDaSP_SQ_EUlSP_E_NS1_11comp_targetILNS1_3genE10ELNS1_11target_archE1201ELNS1_3gpuE5ELNS1_3repE0EEENS1_30default_config_static_selectorELNS0_4arch9wavefront6targetE1EEEvT1_ ; -- Begin function _ZN7rocprim17ROCPRIM_400000_NS6detail17trampoline_kernelINS0_14default_configENS1_20scan_config_selectorIiEEZZNS1_9scan_implILNS1_25lookback_scan_determinismE0ELb0ELb0ES3_N6thrust23THRUST_200600_302600_NS6detail15normal_iteratorINS9_10device_ptrIiEEEESE_i9plus_mod3IiEiEEDaPvRmT3_T4_T5_mT6_P12ihipStream_tbENKUlT_T0_E_clISt17integral_constantIbLb1EEST_IbLb0EEEEDaSP_SQ_EUlSP_E_NS1_11comp_targetILNS1_3genE10ELNS1_11target_archE1201ELNS1_3gpuE5ELNS1_3repE0EEENS1_30default_config_static_selectorELNS0_4arch9wavefront6targetE1EEEvT1_
	.globl	_ZN7rocprim17ROCPRIM_400000_NS6detail17trampoline_kernelINS0_14default_configENS1_20scan_config_selectorIiEEZZNS1_9scan_implILNS1_25lookback_scan_determinismE0ELb0ELb0ES3_N6thrust23THRUST_200600_302600_NS6detail15normal_iteratorINS9_10device_ptrIiEEEESE_i9plus_mod3IiEiEEDaPvRmT3_T4_T5_mT6_P12ihipStream_tbENKUlT_T0_E_clISt17integral_constantIbLb1EEST_IbLb0EEEEDaSP_SQ_EUlSP_E_NS1_11comp_targetILNS1_3genE10ELNS1_11target_archE1201ELNS1_3gpuE5ELNS1_3repE0EEENS1_30default_config_static_selectorELNS0_4arch9wavefront6targetE1EEEvT1_
	.p2align	8
	.type	_ZN7rocprim17ROCPRIM_400000_NS6detail17trampoline_kernelINS0_14default_configENS1_20scan_config_selectorIiEEZZNS1_9scan_implILNS1_25lookback_scan_determinismE0ELb0ELb0ES3_N6thrust23THRUST_200600_302600_NS6detail15normal_iteratorINS9_10device_ptrIiEEEESE_i9plus_mod3IiEiEEDaPvRmT3_T4_T5_mT6_P12ihipStream_tbENKUlT_T0_E_clISt17integral_constantIbLb1EEST_IbLb0EEEEDaSP_SQ_EUlSP_E_NS1_11comp_targetILNS1_3genE10ELNS1_11target_archE1201ELNS1_3gpuE5ELNS1_3repE0EEENS1_30default_config_static_selectorELNS0_4arch9wavefront6targetE1EEEvT1_,@function
_ZN7rocprim17ROCPRIM_400000_NS6detail17trampoline_kernelINS0_14default_configENS1_20scan_config_selectorIiEEZZNS1_9scan_implILNS1_25lookback_scan_determinismE0ELb0ELb0ES3_N6thrust23THRUST_200600_302600_NS6detail15normal_iteratorINS9_10device_ptrIiEEEESE_i9plus_mod3IiEiEEDaPvRmT3_T4_T5_mT6_P12ihipStream_tbENKUlT_T0_E_clISt17integral_constantIbLb1EEST_IbLb0EEEEDaSP_SQ_EUlSP_E_NS1_11comp_targetILNS1_3genE10ELNS1_11target_archE1201ELNS1_3gpuE5ELNS1_3repE0EEENS1_30default_config_static_selectorELNS0_4arch9wavefront6targetE1EEEvT1_: ; @_ZN7rocprim17ROCPRIM_400000_NS6detail17trampoline_kernelINS0_14default_configENS1_20scan_config_selectorIiEEZZNS1_9scan_implILNS1_25lookback_scan_determinismE0ELb0ELb0ES3_N6thrust23THRUST_200600_302600_NS6detail15normal_iteratorINS9_10device_ptrIiEEEESE_i9plus_mod3IiEiEEDaPvRmT3_T4_T5_mT6_P12ihipStream_tbENKUlT_T0_E_clISt17integral_constantIbLb1EEST_IbLb0EEEEDaSP_SQ_EUlSP_E_NS1_11comp_targetILNS1_3genE10ELNS1_11target_archE1201ELNS1_3gpuE5ELNS1_3repE0EEENS1_30default_config_static_selectorELNS0_4arch9wavefront6targetE1EEEvT1_
; %bb.0:
	.section	.rodata,"a",@progbits
	.p2align	6, 0x0
	.amdhsa_kernel _ZN7rocprim17ROCPRIM_400000_NS6detail17trampoline_kernelINS0_14default_configENS1_20scan_config_selectorIiEEZZNS1_9scan_implILNS1_25lookback_scan_determinismE0ELb0ELb0ES3_N6thrust23THRUST_200600_302600_NS6detail15normal_iteratorINS9_10device_ptrIiEEEESE_i9plus_mod3IiEiEEDaPvRmT3_T4_T5_mT6_P12ihipStream_tbENKUlT_T0_E_clISt17integral_constantIbLb1EEST_IbLb0EEEEDaSP_SQ_EUlSP_E_NS1_11comp_targetILNS1_3genE10ELNS1_11target_archE1201ELNS1_3gpuE5ELNS1_3repE0EEENS1_30default_config_static_selectorELNS0_4arch9wavefront6targetE1EEEvT1_
		.amdhsa_group_segment_fixed_size 0
		.amdhsa_private_segment_fixed_size 0
		.amdhsa_kernarg_size 104
		.amdhsa_user_sgpr_count 6
		.amdhsa_user_sgpr_private_segment_buffer 1
		.amdhsa_user_sgpr_dispatch_ptr 0
		.amdhsa_user_sgpr_queue_ptr 0
		.amdhsa_user_sgpr_kernarg_segment_ptr 1
		.amdhsa_user_sgpr_dispatch_id 0
		.amdhsa_user_sgpr_flat_scratch_init 0
		.amdhsa_user_sgpr_kernarg_preload_length 0
		.amdhsa_user_sgpr_kernarg_preload_offset 0
		.amdhsa_user_sgpr_private_segment_size 0
		.amdhsa_uses_dynamic_stack 0
		.amdhsa_system_sgpr_private_segment_wavefront_offset 0
		.amdhsa_system_sgpr_workgroup_id_x 1
		.amdhsa_system_sgpr_workgroup_id_y 0
		.amdhsa_system_sgpr_workgroup_id_z 0
		.amdhsa_system_sgpr_workgroup_info 0
		.amdhsa_system_vgpr_workitem_id 0
		.amdhsa_next_free_vgpr 1
		.amdhsa_next_free_sgpr 0
		.amdhsa_accum_offset 4
		.amdhsa_reserve_vcc 0
		.amdhsa_reserve_flat_scratch 0
		.amdhsa_float_round_mode_32 0
		.amdhsa_float_round_mode_16_64 0
		.amdhsa_float_denorm_mode_32 3
		.amdhsa_float_denorm_mode_16_64 3
		.amdhsa_dx10_clamp 1
		.amdhsa_ieee_mode 1
		.amdhsa_fp16_overflow 0
		.amdhsa_tg_split 0
		.amdhsa_exception_fp_ieee_invalid_op 0
		.amdhsa_exception_fp_denorm_src 0
		.amdhsa_exception_fp_ieee_div_zero 0
		.amdhsa_exception_fp_ieee_overflow 0
		.amdhsa_exception_fp_ieee_underflow 0
		.amdhsa_exception_fp_ieee_inexact 0
		.amdhsa_exception_int_div_zero 0
	.end_amdhsa_kernel
	.section	.text._ZN7rocprim17ROCPRIM_400000_NS6detail17trampoline_kernelINS0_14default_configENS1_20scan_config_selectorIiEEZZNS1_9scan_implILNS1_25lookback_scan_determinismE0ELb0ELb0ES3_N6thrust23THRUST_200600_302600_NS6detail15normal_iteratorINS9_10device_ptrIiEEEESE_i9plus_mod3IiEiEEDaPvRmT3_T4_T5_mT6_P12ihipStream_tbENKUlT_T0_E_clISt17integral_constantIbLb1EEST_IbLb0EEEEDaSP_SQ_EUlSP_E_NS1_11comp_targetILNS1_3genE10ELNS1_11target_archE1201ELNS1_3gpuE5ELNS1_3repE0EEENS1_30default_config_static_selectorELNS0_4arch9wavefront6targetE1EEEvT1_,"axG",@progbits,_ZN7rocprim17ROCPRIM_400000_NS6detail17trampoline_kernelINS0_14default_configENS1_20scan_config_selectorIiEEZZNS1_9scan_implILNS1_25lookback_scan_determinismE0ELb0ELb0ES3_N6thrust23THRUST_200600_302600_NS6detail15normal_iteratorINS9_10device_ptrIiEEEESE_i9plus_mod3IiEiEEDaPvRmT3_T4_T5_mT6_P12ihipStream_tbENKUlT_T0_E_clISt17integral_constantIbLb1EEST_IbLb0EEEEDaSP_SQ_EUlSP_E_NS1_11comp_targetILNS1_3genE10ELNS1_11target_archE1201ELNS1_3gpuE5ELNS1_3repE0EEENS1_30default_config_static_selectorELNS0_4arch9wavefront6targetE1EEEvT1_,comdat
.Lfunc_end6647:
	.size	_ZN7rocprim17ROCPRIM_400000_NS6detail17trampoline_kernelINS0_14default_configENS1_20scan_config_selectorIiEEZZNS1_9scan_implILNS1_25lookback_scan_determinismE0ELb0ELb0ES3_N6thrust23THRUST_200600_302600_NS6detail15normal_iteratorINS9_10device_ptrIiEEEESE_i9plus_mod3IiEiEEDaPvRmT3_T4_T5_mT6_P12ihipStream_tbENKUlT_T0_E_clISt17integral_constantIbLb1EEST_IbLb0EEEEDaSP_SQ_EUlSP_E_NS1_11comp_targetILNS1_3genE10ELNS1_11target_archE1201ELNS1_3gpuE5ELNS1_3repE0EEENS1_30default_config_static_selectorELNS0_4arch9wavefront6targetE1EEEvT1_, .Lfunc_end6647-_ZN7rocprim17ROCPRIM_400000_NS6detail17trampoline_kernelINS0_14default_configENS1_20scan_config_selectorIiEEZZNS1_9scan_implILNS1_25lookback_scan_determinismE0ELb0ELb0ES3_N6thrust23THRUST_200600_302600_NS6detail15normal_iteratorINS9_10device_ptrIiEEEESE_i9plus_mod3IiEiEEDaPvRmT3_T4_T5_mT6_P12ihipStream_tbENKUlT_T0_E_clISt17integral_constantIbLb1EEST_IbLb0EEEEDaSP_SQ_EUlSP_E_NS1_11comp_targetILNS1_3genE10ELNS1_11target_archE1201ELNS1_3gpuE5ELNS1_3repE0EEENS1_30default_config_static_selectorELNS0_4arch9wavefront6targetE1EEEvT1_
                                        ; -- End function
	.section	.AMDGPU.csdata,"",@progbits
; Kernel info:
; codeLenInByte = 0
; NumSgprs: 4
; NumVgprs: 0
; NumAgprs: 0
; TotalNumVgprs: 0
; ScratchSize: 0
; MemoryBound: 0
; FloatMode: 240
; IeeeMode: 1
; LDSByteSize: 0 bytes/workgroup (compile time only)
; SGPRBlocks: 0
; VGPRBlocks: 0
; NumSGPRsForWavesPerEU: 4
; NumVGPRsForWavesPerEU: 1
; AccumOffset: 4
; Occupancy: 8
; WaveLimiterHint : 0
; COMPUTE_PGM_RSRC2:SCRATCH_EN: 0
; COMPUTE_PGM_RSRC2:USER_SGPR: 6
; COMPUTE_PGM_RSRC2:TRAP_HANDLER: 0
; COMPUTE_PGM_RSRC2:TGID_X_EN: 1
; COMPUTE_PGM_RSRC2:TGID_Y_EN: 0
; COMPUTE_PGM_RSRC2:TGID_Z_EN: 0
; COMPUTE_PGM_RSRC2:TIDIG_COMP_CNT: 0
; COMPUTE_PGM_RSRC3_GFX90A:ACCUM_OFFSET: 0
; COMPUTE_PGM_RSRC3_GFX90A:TG_SPLIT: 0
	.section	.text._ZN7rocprim17ROCPRIM_400000_NS6detail17trampoline_kernelINS0_14default_configENS1_20scan_config_selectorIiEEZZNS1_9scan_implILNS1_25lookback_scan_determinismE0ELb0ELb0ES3_N6thrust23THRUST_200600_302600_NS6detail15normal_iteratorINS9_10device_ptrIiEEEESE_i9plus_mod3IiEiEEDaPvRmT3_T4_T5_mT6_P12ihipStream_tbENKUlT_T0_E_clISt17integral_constantIbLb1EEST_IbLb0EEEEDaSP_SQ_EUlSP_E_NS1_11comp_targetILNS1_3genE10ELNS1_11target_archE1200ELNS1_3gpuE4ELNS1_3repE0EEENS1_30default_config_static_selectorELNS0_4arch9wavefront6targetE1EEEvT1_,"axG",@progbits,_ZN7rocprim17ROCPRIM_400000_NS6detail17trampoline_kernelINS0_14default_configENS1_20scan_config_selectorIiEEZZNS1_9scan_implILNS1_25lookback_scan_determinismE0ELb0ELb0ES3_N6thrust23THRUST_200600_302600_NS6detail15normal_iteratorINS9_10device_ptrIiEEEESE_i9plus_mod3IiEiEEDaPvRmT3_T4_T5_mT6_P12ihipStream_tbENKUlT_T0_E_clISt17integral_constantIbLb1EEST_IbLb0EEEEDaSP_SQ_EUlSP_E_NS1_11comp_targetILNS1_3genE10ELNS1_11target_archE1200ELNS1_3gpuE4ELNS1_3repE0EEENS1_30default_config_static_selectorELNS0_4arch9wavefront6targetE1EEEvT1_,comdat
	.protected	_ZN7rocprim17ROCPRIM_400000_NS6detail17trampoline_kernelINS0_14default_configENS1_20scan_config_selectorIiEEZZNS1_9scan_implILNS1_25lookback_scan_determinismE0ELb0ELb0ES3_N6thrust23THRUST_200600_302600_NS6detail15normal_iteratorINS9_10device_ptrIiEEEESE_i9plus_mod3IiEiEEDaPvRmT3_T4_T5_mT6_P12ihipStream_tbENKUlT_T0_E_clISt17integral_constantIbLb1EEST_IbLb0EEEEDaSP_SQ_EUlSP_E_NS1_11comp_targetILNS1_3genE10ELNS1_11target_archE1200ELNS1_3gpuE4ELNS1_3repE0EEENS1_30default_config_static_selectorELNS0_4arch9wavefront6targetE1EEEvT1_ ; -- Begin function _ZN7rocprim17ROCPRIM_400000_NS6detail17trampoline_kernelINS0_14default_configENS1_20scan_config_selectorIiEEZZNS1_9scan_implILNS1_25lookback_scan_determinismE0ELb0ELb0ES3_N6thrust23THRUST_200600_302600_NS6detail15normal_iteratorINS9_10device_ptrIiEEEESE_i9plus_mod3IiEiEEDaPvRmT3_T4_T5_mT6_P12ihipStream_tbENKUlT_T0_E_clISt17integral_constantIbLb1EEST_IbLb0EEEEDaSP_SQ_EUlSP_E_NS1_11comp_targetILNS1_3genE10ELNS1_11target_archE1200ELNS1_3gpuE4ELNS1_3repE0EEENS1_30default_config_static_selectorELNS0_4arch9wavefront6targetE1EEEvT1_
	.globl	_ZN7rocprim17ROCPRIM_400000_NS6detail17trampoline_kernelINS0_14default_configENS1_20scan_config_selectorIiEEZZNS1_9scan_implILNS1_25lookback_scan_determinismE0ELb0ELb0ES3_N6thrust23THRUST_200600_302600_NS6detail15normal_iteratorINS9_10device_ptrIiEEEESE_i9plus_mod3IiEiEEDaPvRmT3_T4_T5_mT6_P12ihipStream_tbENKUlT_T0_E_clISt17integral_constantIbLb1EEST_IbLb0EEEEDaSP_SQ_EUlSP_E_NS1_11comp_targetILNS1_3genE10ELNS1_11target_archE1200ELNS1_3gpuE4ELNS1_3repE0EEENS1_30default_config_static_selectorELNS0_4arch9wavefront6targetE1EEEvT1_
	.p2align	8
	.type	_ZN7rocprim17ROCPRIM_400000_NS6detail17trampoline_kernelINS0_14default_configENS1_20scan_config_selectorIiEEZZNS1_9scan_implILNS1_25lookback_scan_determinismE0ELb0ELb0ES3_N6thrust23THRUST_200600_302600_NS6detail15normal_iteratorINS9_10device_ptrIiEEEESE_i9plus_mod3IiEiEEDaPvRmT3_T4_T5_mT6_P12ihipStream_tbENKUlT_T0_E_clISt17integral_constantIbLb1EEST_IbLb0EEEEDaSP_SQ_EUlSP_E_NS1_11comp_targetILNS1_3genE10ELNS1_11target_archE1200ELNS1_3gpuE4ELNS1_3repE0EEENS1_30default_config_static_selectorELNS0_4arch9wavefront6targetE1EEEvT1_,@function
_ZN7rocprim17ROCPRIM_400000_NS6detail17trampoline_kernelINS0_14default_configENS1_20scan_config_selectorIiEEZZNS1_9scan_implILNS1_25lookback_scan_determinismE0ELb0ELb0ES3_N6thrust23THRUST_200600_302600_NS6detail15normal_iteratorINS9_10device_ptrIiEEEESE_i9plus_mod3IiEiEEDaPvRmT3_T4_T5_mT6_P12ihipStream_tbENKUlT_T0_E_clISt17integral_constantIbLb1EEST_IbLb0EEEEDaSP_SQ_EUlSP_E_NS1_11comp_targetILNS1_3genE10ELNS1_11target_archE1200ELNS1_3gpuE4ELNS1_3repE0EEENS1_30default_config_static_selectorELNS0_4arch9wavefront6targetE1EEEvT1_: ; @_ZN7rocprim17ROCPRIM_400000_NS6detail17trampoline_kernelINS0_14default_configENS1_20scan_config_selectorIiEEZZNS1_9scan_implILNS1_25lookback_scan_determinismE0ELb0ELb0ES3_N6thrust23THRUST_200600_302600_NS6detail15normal_iteratorINS9_10device_ptrIiEEEESE_i9plus_mod3IiEiEEDaPvRmT3_T4_T5_mT6_P12ihipStream_tbENKUlT_T0_E_clISt17integral_constantIbLb1EEST_IbLb0EEEEDaSP_SQ_EUlSP_E_NS1_11comp_targetILNS1_3genE10ELNS1_11target_archE1200ELNS1_3gpuE4ELNS1_3repE0EEENS1_30default_config_static_selectorELNS0_4arch9wavefront6targetE1EEEvT1_
; %bb.0:
	.section	.rodata,"a",@progbits
	.p2align	6, 0x0
	.amdhsa_kernel _ZN7rocprim17ROCPRIM_400000_NS6detail17trampoline_kernelINS0_14default_configENS1_20scan_config_selectorIiEEZZNS1_9scan_implILNS1_25lookback_scan_determinismE0ELb0ELb0ES3_N6thrust23THRUST_200600_302600_NS6detail15normal_iteratorINS9_10device_ptrIiEEEESE_i9plus_mod3IiEiEEDaPvRmT3_T4_T5_mT6_P12ihipStream_tbENKUlT_T0_E_clISt17integral_constantIbLb1EEST_IbLb0EEEEDaSP_SQ_EUlSP_E_NS1_11comp_targetILNS1_3genE10ELNS1_11target_archE1200ELNS1_3gpuE4ELNS1_3repE0EEENS1_30default_config_static_selectorELNS0_4arch9wavefront6targetE1EEEvT1_
		.amdhsa_group_segment_fixed_size 0
		.amdhsa_private_segment_fixed_size 0
		.amdhsa_kernarg_size 104
		.amdhsa_user_sgpr_count 6
		.amdhsa_user_sgpr_private_segment_buffer 1
		.amdhsa_user_sgpr_dispatch_ptr 0
		.amdhsa_user_sgpr_queue_ptr 0
		.amdhsa_user_sgpr_kernarg_segment_ptr 1
		.amdhsa_user_sgpr_dispatch_id 0
		.amdhsa_user_sgpr_flat_scratch_init 0
		.amdhsa_user_sgpr_kernarg_preload_length 0
		.amdhsa_user_sgpr_kernarg_preload_offset 0
		.amdhsa_user_sgpr_private_segment_size 0
		.amdhsa_uses_dynamic_stack 0
		.amdhsa_system_sgpr_private_segment_wavefront_offset 0
		.amdhsa_system_sgpr_workgroup_id_x 1
		.amdhsa_system_sgpr_workgroup_id_y 0
		.amdhsa_system_sgpr_workgroup_id_z 0
		.amdhsa_system_sgpr_workgroup_info 0
		.amdhsa_system_vgpr_workitem_id 0
		.amdhsa_next_free_vgpr 1
		.amdhsa_next_free_sgpr 0
		.amdhsa_accum_offset 4
		.amdhsa_reserve_vcc 0
		.amdhsa_reserve_flat_scratch 0
		.amdhsa_float_round_mode_32 0
		.amdhsa_float_round_mode_16_64 0
		.amdhsa_float_denorm_mode_32 3
		.amdhsa_float_denorm_mode_16_64 3
		.amdhsa_dx10_clamp 1
		.amdhsa_ieee_mode 1
		.amdhsa_fp16_overflow 0
		.amdhsa_tg_split 0
		.amdhsa_exception_fp_ieee_invalid_op 0
		.amdhsa_exception_fp_denorm_src 0
		.amdhsa_exception_fp_ieee_div_zero 0
		.amdhsa_exception_fp_ieee_overflow 0
		.amdhsa_exception_fp_ieee_underflow 0
		.amdhsa_exception_fp_ieee_inexact 0
		.amdhsa_exception_int_div_zero 0
	.end_amdhsa_kernel
	.section	.text._ZN7rocprim17ROCPRIM_400000_NS6detail17trampoline_kernelINS0_14default_configENS1_20scan_config_selectorIiEEZZNS1_9scan_implILNS1_25lookback_scan_determinismE0ELb0ELb0ES3_N6thrust23THRUST_200600_302600_NS6detail15normal_iteratorINS9_10device_ptrIiEEEESE_i9plus_mod3IiEiEEDaPvRmT3_T4_T5_mT6_P12ihipStream_tbENKUlT_T0_E_clISt17integral_constantIbLb1EEST_IbLb0EEEEDaSP_SQ_EUlSP_E_NS1_11comp_targetILNS1_3genE10ELNS1_11target_archE1200ELNS1_3gpuE4ELNS1_3repE0EEENS1_30default_config_static_selectorELNS0_4arch9wavefront6targetE1EEEvT1_,"axG",@progbits,_ZN7rocprim17ROCPRIM_400000_NS6detail17trampoline_kernelINS0_14default_configENS1_20scan_config_selectorIiEEZZNS1_9scan_implILNS1_25lookback_scan_determinismE0ELb0ELb0ES3_N6thrust23THRUST_200600_302600_NS6detail15normal_iteratorINS9_10device_ptrIiEEEESE_i9plus_mod3IiEiEEDaPvRmT3_T4_T5_mT6_P12ihipStream_tbENKUlT_T0_E_clISt17integral_constantIbLb1EEST_IbLb0EEEEDaSP_SQ_EUlSP_E_NS1_11comp_targetILNS1_3genE10ELNS1_11target_archE1200ELNS1_3gpuE4ELNS1_3repE0EEENS1_30default_config_static_selectorELNS0_4arch9wavefront6targetE1EEEvT1_,comdat
.Lfunc_end6648:
	.size	_ZN7rocprim17ROCPRIM_400000_NS6detail17trampoline_kernelINS0_14default_configENS1_20scan_config_selectorIiEEZZNS1_9scan_implILNS1_25lookback_scan_determinismE0ELb0ELb0ES3_N6thrust23THRUST_200600_302600_NS6detail15normal_iteratorINS9_10device_ptrIiEEEESE_i9plus_mod3IiEiEEDaPvRmT3_T4_T5_mT6_P12ihipStream_tbENKUlT_T0_E_clISt17integral_constantIbLb1EEST_IbLb0EEEEDaSP_SQ_EUlSP_E_NS1_11comp_targetILNS1_3genE10ELNS1_11target_archE1200ELNS1_3gpuE4ELNS1_3repE0EEENS1_30default_config_static_selectorELNS0_4arch9wavefront6targetE1EEEvT1_, .Lfunc_end6648-_ZN7rocprim17ROCPRIM_400000_NS6detail17trampoline_kernelINS0_14default_configENS1_20scan_config_selectorIiEEZZNS1_9scan_implILNS1_25lookback_scan_determinismE0ELb0ELb0ES3_N6thrust23THRUST_200600_302600_NS6detail15normal_iteratorINS9_10device_ptrIiEEEESE_i9plus_mod3IiEiEEDaPvRmT3_T4_T5_mT6_P12ihipStream_tbENKUlT_T0_E_clISt17integral_constantIbLb1EEST_IbLb0EEEEDaSP_SQ_EUlSP_E_NS1_11comp_targetILNS1_3genE10ELNS1_11target_archE1200ELNS1_3gpuE4ELNS1_3repE0EEENS1_30default_config_static_selectorELNS0_4arch9wavefront6targetE1EEEvT1_
                                        ; -- End function
	.section	.AMDGPU.csdata,"",@progbits
; Kernel info:
; codeLenInByte = 0
; NumSgprs: 4
; NumVgprs: 0
; NumAgprs: 0
; TotalNumVgprs: 0
; ScratchSize: 0
; MemoryBound: 0
; FloatMode: 240
; IeeeMode: 1
; LDSByteSize: 0 bytes/workgroup (compile time only)
; SGPRBlocks: 0
; VGPRBlocks: 0
; NumSGPRsForWavesPerEU: 4
; NumVGPRsForWavesPerEU: 1
; AccumOffset: 4
; Occupancy: 8
; WaveLimiterHint : 0
; COMPUTE_PGM_RSRC2:SCRATCH_EN: 0
; COMPUTE_PGM_RSRC2:USER_SGPR: 6
; COMPUTE_PGM_RSRC2:TRAP_HANDLER: 0
; COMPUTE_PGM_RSRC2:TGID_X_EN: 1
; COMPUTE_PGM_RSRC2:TGID_Y_EN: 0
; COMPUTE_PGM_RSRC2:TGID_Z_EN: 0
; COMPUTE_PGM_RSRC2:TIDIG_COMP_CNT: 0
; COMPUTE_PGM_RSRC3_GFX90A:ACCUM_OFFSET: 0
; COMPUTE_PGM_RSRC3_GFX90A:TG_SPLIT: 0
	.section	.text._ZN7rocprim17ROCPRIM_400000_NS6detail17trampoline_kernelINS0_14default_configENS1_20scan_config_selectorIiEEZZNS1_9scan_implILNS1_25lookback_scan_determinismE0ELb0ELb0ES3_N6thrust23THRUST_200600_302600_NS6detail15normal_iteratorINS9_10device_ptrIiEEEESE_i9plus_mod3IiEiEEDaPvRmT3_T4_T5_mT6_P12ihipStream_tbENKUlT_T0_E_clISt17integral_constantIbLb1EEST_IbLb0EEEEDaSP_SQ_EUlSP_E_NS1_11comp_targetILNS1_3genE9ELNS1_11target_archE1100ELNS1_3gpuE3ELNS1_3repE0EEENS1_30default_config_static_selectorELNS0_4arch9wavefront6targetE1EEEvT1_,"axG",@progbits,_ZN7rocprim17ROCPRIM_400000_NS6detail17trampoline_kernelINS0_14default_configENS1_20scan_config_selectorIiEEZZNS1_9scan_implILNS1_25lookback_scan_determinismE0ELb0ELb0ES3_N6thrust23THRUST_200600_302600_NS6detail15normal_iteratorINS9_10device_ptrIiEEEESE_i9plus_mod3IiEiEEDaPvRmT3_T4_T5_mT6_P12ihipStream_tbENKUlT_T0_E_clISt17integral_constantIbLb1EEST_IbLb0EEEEDaSP_SQ_EUlSP_E_NS1_11comp_targetILNS1_3genE9ELNS1_11target_archE1100ELNS1_3gpuE3ELNS1_3repE0EEENS1_30default_config_static_selectorELNS0_4arch9wavefront6targetE1EEEvT1_,comdat
	.protected	_ZN7rocprim17ROCPRIM_400000_NS6detail17trampoline_kernelINS0_14default_configENS1_20scan_config_selectorIiEEZZNS1_9scan_implILNS1_25lookback_scan_determinismE0ELb0ELb0ES3_N6thrust23THRUST_200600_302600_NS6detail15normal_iteratorINS9_10device_ptrIiEEEESE_i9plus_mod3IiEiEEDaPvRmT3_T4_T5_mT6_P12ihipStream_tbENKUlT_T0_E_clISt17integral_constantIbLb1EEST_IbLb0EEEEDaSP_SQ_EUlSP_E_NS1_11comp_targetILNS1_3genE9ELNS1_11target_archE1100ELNS1_3gpuE3ELNS1_3repE0EEENS1_30default_config_static_selectorELNS0_4arch9wavefront6targetE1EEEvT1_ ; -- Begin function _ZN7rocprim17ROCPRIM_400000_NS6detail17trampoline_kernelINS0_14default_configENS1_20scan_config_selectorIiEEZZNS1_9scan_implILNS1_25lookback_scan_determinismE0ELb0ELb0ES3_N6thrust23THRUST_200600_302600_NS6detail15normal_iteratorINS9_10device_ptrIiEEEESE_i9plus_mod3IiEiEEDaPvRmT3_T4_T5_mT6_P12ihipStream_tbENKUlT_T0_E_clISt17integral_constantIbLb1EEST_IbLb0EEEEDaSP_SQ_EUlSP_E_NS1_11comp_targetILNS1_3genE9ELNS1_11target_archE1100ELNS1_3gpuE3ELNS1_3repE0EEENS1_30default_config_static_selectorELNS0_4arch9wavefront6targetE1EEEvT1_
	.globl	_ZN7rocprim17ROCPRIM_400000_NS6detail17trampoline_kernelINS0_14default_configENS1_20scan_config_selectorIiEEZZNS1_9scan_implILNS1_25lookback_scan_determinismE0ELb0ELb0ES3_N6thrust23THRUST_200600_302600_NS6detail15normal_iteratorINS9_10device_ptrIiEEEESE_i9plus_mod3IiEiEEDaPvRmT3_T4_T5_mT6_P12ihipStream_tbENKUlT_T0_E_clISt17integral_constantIbLb1EEST_IbLb0EEEEDaSP_SQ_EUlSP_E_NS1_11comp_targetILNS1_3genE9ELNS1_11target_archE1100ELNS1_3gpuE3ELNS1_3repE0EEENS1_30default_config_static_selectorELNS0_4arch9wavefront6targetE1EEEvT1_
	.p2align	8
	.type	_ZN7rocprim17ROCPRIM_400000_NS6detail17trampoline_kernelINS0_14default_configENS1_20scan_config_selectorIiEEZZNS1_9scan_implILNS1_25lookback_scan_determinismE0ELb0ELb0ES3_N6thrust23THRUST_200600_302600_NS6detail15normal_iteratorINS9_10device_ptrIiEEEESE_i9plus_mod3IiEiEEDaPvRmT3_T4_T5_mT6_P12ihipStream_tbENKUlT_T0_E_clISt17integral_constantIbLb1EEST_IbLb0EEEEDaSP_SQ_EUlSP_E_NS1_11comp_targetILNS1_3genE9ELNS1_11target_archE1100ELNS1_3gpuE3ELNS1_3repE0EEENS1_30default_config_static_selectorELNS0_4arch9wavefront6targetE1EEEvT1_,@function
_ZN7rocprim17ROCPRIM_400000_NS6detail17trampoline_kernelINS0_14default_configENS1_20scan_config_selectorIiEEZZNS1_9scan_implILNS1_25lookback_scan_determinismE0ELb0ELb0ES3_N6thrust23THRUST_200600_302600_NS6detail15normal_iteratorINS9_10device_ptrIiEEEESE_i9plus_mod3IiEiEEDaPvRmT3_T4_T5_mT6_P12ihipStream_tbENKUlT_T0_E_clISt17integral_constantIbLb1EEST_IbLb0EEEEDaSP_SQ_EUlSP_E_NS1_11comp_targetILNS1_3genE9ELNS1_11target_archE1100ELNS1_3gpuE3ELNS1_3repE0EEENS1_30default_config_static_selectorELNS0_4arch9wavefront6targetE1EEEvT1_: ; @_ZN7rocprim17ROCPRIM_400000_NS6detail17trampoline_kernelINS0_14default_configENS1_20scan_config_selectorIiEEZZNS1_9scan_implILNS1_25lookback_scan_determinismE0ELb0ELb0ES3_N6thrust23THRUST_200600_302600_NS6detail15normal_iteratorINS9_10device_ptrIiEEEESE_i9plus_mod3IiEiEEDaPvRmT3_T4_T5_mT6_P12ihipStream_tbENKUlT_T0_E_clISt17integral_constantIbLb1EEST_IbLb0EEEEDaSP_SQ_EUlSP_E_NS1_11comp_targetILNS1_3genE9ELNS1_11target_archE1100ELNS1_3gpuE3ELNS1_3repE0EEENS1_30default_config_static_selectorELNS0_4arch9wavefront6targetE1EEEvT1_
; %bb.0:
	.section	.rodata,"a",@progbits
	.p2align	6, 0x0
	.amdhsa_kernel _ZN7rocprim17ROCPRIM_400000_NS6detail17trampoline_kernelINS0_14default_configENS1_20scan_config_selectorIiEEZZNS1_9scan_implILNS1_25lookback_scan_determinismE0ELb0ELb0ES3_N6thrust23THRUST_200600_302600_NS6detail15normal_iteratorINS9_10device_ptrIiEEEESE_i9plus_mod3IiEiEEDaPvRmT3_T4_T5_mT6_P12ihipStream_tbENKUlT_T0_E_clISt17integral_constantIbLb1EEST_IbLb0EEEEDaSP_SQ_EUlSP_E_NS1_11comp_targetILNS1_3genE9ELNS1_11target_archE1100ELNS1_3gpuE3ELNS1_3repE0EEENS1_30default_config_static_selectorELNS0_4arch9wavefront6targetE1EEEvT1_
		.amdhsa_group_segment_fixed_size 0
		.amdhsa_private_segment_fixed_size 0
		.amdhsa_kernarg_size 104
		.amdhsa_user_sgpr_count 6
		.amdhsa_user_sgpr_private_segment_buffer 1
		.amdhsa_user_sgpr_dispatch_ptr 0
		.amdhsa_user_sgpr_queue_ptr 0
		.amdhsa_user_sgpr_kernarg_segment_ptr 1
		.amdhsa_user_sgpr_dispatch_id 0
		.amdhsa_user_sgpr_flat_scratch_init 0
		.amdhsa_user_sgpr_kernarg_preload_length 0
		.amdhsa_user_sgpr_kernarg_preload_offset 0
		.amdhsa_user_sgpr_private_segment_size 0
		.amdhsa_uses_dynamic_stack 0
		.amdhsa_system_sgpr_private_segment_wavefront_offset 0
		.amdhsa_system_sgpr_workgroup_id_x 1
		.amdhsa_system_sgpr_workgroup_id_y 0
		.amdhsa_system_sgpr_workgroup_id_z 0
		.amdhsa_system_sgpr_workgroup_info 0
		.amdhsa_system_vgpr_workitem_id 0
		.amdhsa_next_free_vgpr 1
		.amdhsa_next_free_sgpr 0
		.amdhsa_accum_offset 4
		.amdhsa_reserve_vcc 0
		.amdhsa_reserve_flat_scratch 0
		.amdhsa_float_round_mode_32 0
		.amdhsa_float_round_mode_16_64 0
		.amdhsa_float_denorm_mode_32 3
		.amdhsa_float_denorm_mode_16_64 3
		.amdhsa_dx10_clamp 1
		.amdhsa_ieee_mode 1
		.amdhsa_fp16_overflow 0
		.amdhsa_tg_split 0
		.amdhsa_exception_fp_ieee_invalid_op 0
		.amdhsa_exception_fp_denorm_src 0
		.amdhsa_exception_fp_ieee_div_zero 0
		.amdhsa_exception_fp_ieee_overflow 0
		.amdhsa_exception_fp_ieee_underflow 0
		.amdhsa_exception_fp_ieee_inexact 0
		.amdhsa_exception_int_div_zero 0
	.end_amdhsa_kernel
	.section	.text._ZN7rocprim17ROCPRIM_400000_NS6detail17trampoline_kernelINS0_14default_configENS1_20scan_config_selectorIiEEZZNS1_9scan_implILNS1_25lookback_scan_determinismE0ELb0ELb0ES3_N6thrust23THRUST_200600_302600_NS6detail15normal_iteratorINS9_10device_ptrIiEEEESE_i9plus_mod3IiEiEEDaPvRmT3_T4_T5_mT6_P12ihipStream_tbENKUlT_T0_E_clISt17integral_constantIbLb1EEST_IbLb0EEEEDaSP_SQ_EUlSP_E_NS1_11comp_targetILNS1_3genE9ELNS1_11target_archE1100ELNS1_3gpuE3ELNS1_3repE0EEENS1_30default_config_static_selectorELNS0_4arch9wavefront6targetE1EEEvT1_,"axG",@progbits,_ZN7rocprim17ROCPRIM_400000_NS6detail17trampoline_kernelINS0_14default_configENS1_20scan_config_selectorIiEEZZNS1_9scan_implILNS1_25lookback_scan_determinismE0ELb0ELb0ES3_N6thrust23THRUST_200600_302600_NS6detail15normal_iteratorINS9_10device_ptrIiEEEESE_i9plus_mod3IiEiEEDaPvRmT3_T4_T5_mT6_P12ihipStream_tbENKUlT_T0_E_clISt17integral_constantIbLb1EEST_IbLb0EEEEDaSP_SQ_EUlSP_E_NS1_11comp_targetILNS1_3genE9ELNS1_11target_archE1100ELNS1_3gpuE3ELNS1_3repE0EEENS1_30default_config_static_selectorELNS0_4arch9wavefront6targetE1EEEvT1_,comdat
.Lfunc_end6649:
	.size	_ZN7rocprim17ROCPRIM_400000_NS6detail17trampoline_kernelINS0_14default_configENS1_20scan_config_selectorIiEEZZNS1_9scan_implILNS1_25lookback_scan_determinismE0ELb0ELb0ES3_N6thrust23THRUST_200600_302600_NS6detail15normal_iteratorINS9_10device_ptrIiEEEESE_i9plus_mod3IiEiEEDaPvRmT3_T4_T5_mT6_P12ihipStream_tbENKUlT_T0_E_clISt17integral_constantIbLb1EEST_IbLb0EEEEDaSP_SQ_EUlSP_E_NS1_11comp_targetILNS1_3genE9ELNS1_11target_archE1100ELNS1_3gpuE3ELNS1_3repE0EEENS1_30default_config_static_selectorELNS0_4arch9wavefront6targetE1EEEvT1_, .Lfunc_end6649-_ZN7rocprim17ROCPRIM_400000_NS6detail17trampoline_kernelINS0_14default_configENS1_20scan_config_selectorIiEEZZNS1_9scan_implILNS1_25lookback_scan_determinismE0ELb0ELb0ES3_N6thrust23THRUST_200600_302600_NS6detail15normal_iteratorINS9_10device_ptrIiEEEESE_i9plus_mod3IiEiEEDaPvRmT3_T4_T5_mT6_P12ihipStream_tbENKUlT_T0_E_clISt17integral_constantIbLb1EEST_IbLb0EEEEDaSP_SQ_EUlSP_E_NS1_11comp_targetILNS1_3genE9ELNS1_11target_archE1100ELNS1_3gpuE3ELNS1_3repE0EEENS1_30default_config_static_selectorELNS0_4arch9wavefront6targetE1EEEvT1_
                                        ; -- End function
	.section	.AMDGPU.csdata,"",@progbits
; Kernel info:
; codeLenInByte = 0
; NumSgprs: 4
; NumVgprs: 0
; NumAgprs: 0
; TotalNumVgprs: 0
; ScratchSize: 0
; MemoryBound: 0
; FloatMode: 240
; IeeeMode: 1
; LDSByteSize: 0 bytes/workgroup (compile time only)
; SGPRBlocks: 0
; VGPRBlocks: 0
; NumSGPRsForWavesPerEU: 4
; NumVGPRsForWavesPerEU: 1
; AccumOffset: 4
; Occupancy: 8
; WaveLimiterHint : 0
; COMPUTE_PGM_RSRC2:SCRATCH_EN: 0
; COMPUTE_PGM_RSRC2:USER_SGPR: 6
; COMPUTE_PGM_RSRC2:TRAP_HANDLER: 0
; COMPUTE_PGM_RSRC2:TGID_X_EN: 1
; COMPUTE_PGM_RSRC2:TGID_Y_EN: 0
; COMPUTE_PGM_RSRC2:TGID_Z_EN: 0
; COMPUTE_PGM_RSRC2:TIDIG_COMP_CNT: 0
; COMPUTE_PGM_RSRC3_GFX90A:ACCUM_OFFSET: 0
; COMPUTE_PGM_RSRC3_GFX90A:TG_SPLIT: 0
	.section	.text._ZN7rocprim17ROCPRIM_400000_NS6detail17trampoline_kernelINS0_14default_configENS1_20scan_config_selectorIiEEZZNS1_9scan_implILNS1_25lookback_scan_determinismE0ELb0ELb0ES3_N6thrust23THRUST_200600_302600_NS6detail15normal_iteratorINS9_10device_ptrIiEEEESE_i9plus_mod3IiEiEEDaPvRmT3_T4_T5_mT6_P12ihipStream_tbENKUlT_T0_E_clISt17integral_constantIbLb1EEST_IbLb0EEEEDaSP_SQ_EUlSP_E_NS1_11comp_targetILNS1_3genE8ELNS1_11target_archE1030ELNS1_3gpuE2ELNS1_3repE0EEENS1_30default_config_static_selectorELNS0_4arch9wavefront6targetE1EEEvT1_,"axG",@progbits,_ZN7rocprim17ROCPRIM_400000_NS6detail17trampoline_kernelINS0_14default_configENS1_20scan_config_selectorIiEEZZNS1_9scan_implILNS1_25lookback_scan_determinismE0ELb0ELb0ES3_N6thrust23THRUST_200600_302600_NS6detail15normal_iteratorINS9_10device_ptrIiEEEESE_i9plus_mod3IiEiEEDaPvRmT3_T4_T5_mT6_P12ihipStream_tbENKUlT_T0_E_clISt17integral_constantIbLb1EEST_IbLb0EEEEDaSP_SQ_EUlSP_E_NS1_11comp_targetILNS1_3genE8ELNS1_11target_archE1030ELNS1_3gpuE2ELNS1_3repE0EEENS1_30default_config_static_selectorELNS0_4arch9wavefront6targetE1EEEvT1_,comdat
	.protected	_ZN7rocprim17ROCPRIM_400000_NS6detail17trampoline_kernelINS0_14default_configENS1_20scan_config_selectorIiEEZZNS1_9scan_implILNS1_25lookback_scan_determinismE0ELb0ELb0ES3_N6thrust23THRUST_200600_302600_NS6detail15normal_iteratorINS9_10device_ptrIiEEEESE_i9plus_mod3IiEiEEDaPvRmT3_T4_T5_mT6_P12ihipStream_tbENKUlT_T0_E_clISt17integral_constantIbLb1EEST_IbLb0EEEEDaSP_SQ_EUlSP_E_NS1_11comp_targetILNS1_3genE8ELNS1_11target_archE1030ELNS1_3gpuE2ELNS1_3repE0EEENS1_30default_config_static_selectorELNS0_4arch9wavefront6targetE1EEEvT1_ ; -- Begin function _ZN7rocprim17ROCPRIM_400000_NS6detail17trampoline_kernelINS0_14default_configENS1_20scan_config_selectorIiEEZZNS1_9scan_implILNS1_25lookback_scan_determinismE0ELb0ELb0ES3_N6thrust23THRUST_200600_302600_NS6detail15normal_iteratorINS9_10device_ptrIiEEEESE_i9plus_mod3IiEiEEDaPvRmT3_T4_T5_mT6_P12ihipStream_tbENKUlT_T0_E_clISt17integral_constantIbLb1EEST_IbLb0EEEEDaSP_SQ_EUlSP_E_NS1_11comp_targetILNS1_3genE8ELNS1_11target_archE1030ELNS1_3gpuE2ELNS1_3repE0EEENS1_30default_config_static_selectorELNS0_4arch9wavefront6targetE1EEEvT1_
	.globl	_ZN7rocprim17ROCPRIM_400000_NS6detail17trampoline_kernelINS0_14default_configENS1_20scan_config_selectorIiEEZZNS1_9scan_implILNS1_25lookback_scan_determinismE0ELb0ELb0ES3_N6thrust23THRUST_200600_302600_NS6detail15normal_iteratorINS9_10device_ptrIiEEEESE_i9plus_mod3IiEiEEDaPvRmT3_T4_T5_mT6_P12ihipStream_tbENKUlT_T0_E_clISt17integral_constantIbLb1EEST_IbLb0EEEEDaSP_SQ_EUlSP_E_NS1_11comp_targetILNS1_3genE8ELNS1_11target_archE1030ELNS1_3gpuE2ELNS1_3repE0EEENS1_30default_config_static_selectorELNS0_4arch9wavefront6targetE1EEEvT1_
	.p2align	8
	.type	_ZN7rocprim17ROCPRIM_400000_NS6detail17trampoline_kernelINS0_14default_configENS1_20scan_config_selectorIiEEZZNS1_9scan_implILNS1_25lookback_scan_determinismE0ELb0ELb0ES3_N6thrust23THRUST_200600_302600_NS6detail15normal_iteratorINS9_10device_ptrIiEEEESE_i9plus_mod3IiEiEEDaPvRmT3_T4_T5_mT6_P12ihipStream_tbENKUlT_T0_E_clISt17integral_constantIbLb1EEST_IbLb0EEEEDaSP_SQ_EUlSP_E_NS1_11comp_targetILNS1_3genE8ELNS1_11target_archE1030ELNS1_3gpuE2ELNS1_3repE0EEENS1_30default_config_static_selectorELNS0_4arch9wavefront6targetE1EEEvT1_,@function
_ZN7rocprim17ROCPRIM_400000_NS6detail17trampoline_kernelINS0_14default_configENS1_20scan_config_selectorIiEEZZNS1_9scan_implILNS1_25lookback_scan_determinismE0ELb0ELb0ES3_N6thrust23THRUST_200600_302600_NS6detail15normal_iteratorINS9_10device_ptrIiEEEESE_i9plus_mod3IiEiEEDaPvRmT3_T4_T5_mT6_P12ihipStream_tbENKUlT_T0_E_clISt17integral_constantIbLb1EEST_IbLb0EEEEDaSP_SQ_EUlSP_E_NS1_11comp_targetILNS1_3genE8ELNS1_11target_archE1030ELNS1_3gpuE2ELNS1_3repE0EEENS1_30default_config_static_selectorELNS0_4arch9wavefront6targetE1EEEvT1_: ; @_ZN7rocprim17ROCPRIM_400000_NS6detail17trampoline_kernelINS0_14default_configENS1_20scan_config_selectorIiEEZZNS1_9scan_implILNS1_25lookback_scan_determinismE0ELb0ELb0ES3_N6thrust23THRUST_200600_302600_NS6detail15normal_iteratorINS9_10device_ptrIiEEEESE_i9plus_mod3IiEiEEDaPvRmT3_T4_T5_mT6_P12ihipStream_tbENKUlT_T0_E_clISt17integral_constantIbLb1EEST_IbLb0EEEEDaSP_SQ_EUlSP_E_NS1_11comp_targetILNS1_3genE8ELNS1_11target_archE1030ELNS1_3gpuE2ELNS1_3repE0EEENS1_30default_config_static_selectorELNS0_4arch9wavefront6targetE1EEEvT1_
; %bb.0:
	.section	.rodata,"a",@progbits
	.p2align	6, 0x0
	.amdhsa_kernel _ZN7rocprim17ROCPRIM_400000_NS6detail17trampoline_kernelINS0_14default_configENS1_20scan_config_selectorIiEEZZNS1_9scan_implILNS1_25lookback_scan_determinismE0ELb0ELb0ES3_N6thrust23THRUST_200600_302600_NS6detail15normal_iteratorINS9_10device_ptrIiEEEESE_i9plus_mod3IiEiEEDaPvRmT3_T4_T5_mT6_P12ihipStream_tbENKUlT_T0_E_clISt17integral_constantIbLb1EEST_IbLb0EEEEDaSP_SQ_EUlSP_E_NS1_11comp_targetILNS1_3genE8ELNS1_11target_archE1030ELNS1_3gpuE2ELNS1_3repE0EEENS1_30default_config_static_selectorELNS0_4arch9wavefront6targetE1EEEvT1_
		.amdhsa_group_segment_fixed_size 0
		.amdhsa_private_segment_fixed_size 0
		.amdhsa_kernarg_size 104
		.amdhsa_user_sgpr_count 6
		.amdhsa_user_sgpr_private_segment_buffer 1
		.amdhsa_user_sgpr_dispatch_ptr 0
		.amdhsa_user_sgpr_queue_ptr 0
		.amdhsa_user_sgpr_kernarg_segment_ptr 1
		.amdhsa_user_sgpr_dispatch_id 0
		.amdhsa_user_sgpr_flat_scratch_init 0
		.amdhsa_user_sgpr_kernarg_preload_length 0
		.amdhsa_user_sgpr_kernarg_preload_offset 0
		.amdhsa_user_sgpr_private_segment_size 0
		.amdhsa_uses_dynamic_stack 0
		.amdhsa_system_sgpr_private_segment_wavefront_offset 0
		.amdhsa_system_sgpr_workgroup_id_x 1
		.amdhsa_system_sgpr_workgroup_id_y 0
		.amdhsa_system_sgpr_workgroup_id_z 0
		.amdhsa_system_sgpr_workgroup_info 0
		.amdhsa_system_vgpr_workitem_id 0
		.amdhsa_next_free_vgpr 1
		.amdhsa_next_free_sgpr 0
		.amdhsa_accum_offset 4
		.amdhsa_reserve_vcc 0
		.amdhsa_reserve_flat_scratch 0
		.amdhsa_float_round_mode_32 0
		.amdhsa_float_round_mode_16_64 0
		.amdhsa_float_denorm_mode_32 3
		.amdhsa_float_denorm_mode_16_64 3
		.amdhsa_dx10_clamp 1
		.amdhsa_ieee_mode 1
		.amdhsa_fp16_overflow 0
		.amdhsa_tg_split 0
		.amdhsa_exception_fp_ieee_invalid_op 0
		.amdhsa_exception_fp_denorm_src 0
		.amdhsa_exception_fp_ieee_div_zero 0
		.amdhsa_exception_fp_ieee_overflow 0
		.amdhsa_exception_fp_ieee_underflow 0
		.amdhsa_exception_fp_ieee_inexact 0
		.amdhsa_exception_int_div_zero 0
	.end_amdhsa_kernel
	.section	.text._ZN7rocprim17ROCPRIM_400000_NS6detail17trampoline_kernelINS0_14default_configENS1_20scan_config_selectorIiEEZZNS1_9scan_implILNS1_25lookback_scan_determinismE0ELb0ELb0ES3_N6thrust23THRUST_200600_302600_NS6detail15normal_iteratorINS9_10device_ptrIiEEEESE_i9plus_mod3IiEiEEDaPvRmT3_T4_T5_mT6_P12ihipStream_tbENKUlT_T0_E_clISt17integral_constantIbLb1EEST_IbLb0EEEEDaSP_SQ_EUlSP_E_NS1_11comp_targetILNS1_3genE8ELNS1_11target_archE1030ELNS1_3gpuE2ELNS1_3repE0EEENS1_30default_config_static_selectorELNS0_4arch9wavefront6targetE1EEEvT1_,"axG",@progbits,_ZN7rocprim17ROCPRIM_400000_NS6detail17trampoline_kernelINS0_14default_configENS1_20scan_config_selectorIiEEZZNS1_9scan_implILNS1_25lookback_scan_determinismE0ELb0ELb0ES3_N6thrust23THRUST_200600_302600_NS6detail15normal_iteratorINS9_10device_ptrIiEEEESE_i9plus_mod3IiEiEEDaPvRmT3_T4_T5_mT6_P12ihipStream_tbENKUlT_T0_E_clISt17integral_constantIbLb1EEST_IbLb0EEEEDaSP_SQ_EUlSP_E_NS1_11comp_targetILNS1_3genE8ELNS1_11target_archE1030ELNS1_3gpuE2ELNS1_3repE0EEENS1_30default_config_static_selectorELNS0_4arch9wavefront6targetE1EEEvT1_,comdat
.Lfunc_end6650:
	.size	_ZN7rocprim17ROCPRIM_400000_NS6detail17trampoline_kernelINS0_14default_configENS1_20scan_config_selectorIiEEZZNS1_9scan_implILNS1_25lookback_scan_determinismE0ELb0ELb0ES3_N6thrust23THRUST_200600_302600_NS6detail15normal_iteratorINS9_10device_ptrIiEEEESE_i9plus_mod3IiEiEEDaPvRmT3_T4_T5_mT6_P12ihipStream_tbENKUlT_T0_E_clISt17integral_constantIbLb1EEST_IbLb0EEEEDaSP_SQ_EUlSP_E_NS1_11comp_targetILNS1_3genE8ELNS1_11target_archE1030ELNS1_3gpuE2ELNS1_3repE0EEENS1_30default_config_static_selectorELNS0_4arch9wavefront6targetE1EEEvT1_, .Lfunc_end6650-_ZN7rocprim17ROCPRIM_400000_NS6detail17trampoline_kernelINS0_14default_configENS1_20scan_config_selectorIiEEZZNS1_9scan_implILNS1_25lookback_scan_determinismE0ELb0ELb0ES3_N6thrust23THRUST_200600_302600_NS6detail15normal_iteratorINS9_10device_ptrIiEEEESE_i9plus_mod3IiEiEEDaPvRmT3_T4_T5_mT6_P12ihipStream_tbENKUlT_T0_E_clISt17integral_constantIbLb1EEST_IbLb0EEEEDaSP_SQ_EUlSP_E_NS1_11comp_targetILNS1_3genE8ELNS1_11target_archE1030ELNS1_3gpuE2ELNS1_3repE0EEENS1_30default_config_static_selectorELNS0_4arch9wavefront6targetE1EEEvT1_
                                        ; -- End function
	.section	.AMDGPU.csdata,"",@progbits
; Kernel info:
; codeLenInByte = 0
; NumSgprs: 4
; NumVgprs: 0
; NumAgprs: 0
; TotalNumVgprs: 0
; ScratchSize: 0
; MemoryBound: 0
; FloatMode: 240
; IeeeMode: 1
; LDSByteSize: 0 bytes/workgroup (compile time only)
; SGPRBlocks: 0
; VGPRBlocks: 0
; NumSGPRsForWavesPerEU: 4
; NumVGPRsForWavesPerEU: 1
; AccumOffset: 4
; Occupancy: 8
; WaveLimiterHint : 0
; COMPUTE_PGM_RSRC2:SCRATCH_EN: 0
; COMPUTE_PGM_RSRC2:USER_SGPR: 6
; COMPUTE_PGM_RSRC2:TRAP_HANDLER: 0
; COMPUTE_PGM_RSRC2:TGID_X_EN: 1
; COMPUTE_PGM_RSRC2:TGID_Y_EN: 0
; COMPUTE_PGM_RSRC2:TGID_Z_EN: 0
; COMPUTE_PGM_RSRC2:TIDIG_COMP_CNT: 0
; COMPUTE_PGM_RSRC3_GFX90A:ACCUM_OFFSET: 0
; COMPUTE_PGM_RSRC3_GFX90A:TG_SPLIT: 0
	.section	.text._ZN7rocprim17ROCPRIM_400000_NS6detail17trampoline_kernelINS0_14default_configENS1_20scan_config_selectorIiEEZZNS1_9scan_implILNS1_25lookback_scan_determinismE0ELb0ELb0ES3_N6thrust23THRUST_200600_302600_NS6detail15normal_iteratorINS9_10device_ptrIiEEEESE_i9plus_mod3IiEiEEDaPvRmT3_T4_T5_mT6_P12ihipStream_tbENKUlT_T0_E_clISt17integral_constantIbLb1EEST_IbLb0EEEEDaSP_SQ_EUlSP_E0_NS1_11comp_targetILNS1_3genE0ELNS1_11target_archE4294967295ELNS1_3gpuE0ELNS1_3repE0EEENS1_30default_config_static_selectorELNS0_4arch9wavefront6targetE1EEEvT1_,"axG",@progbits,_ZN7rocprim17ROCPRIM_400000_NS6detail17trampoline_kernelINS0_14default_configENS1_20scan_config_selectorIiEEZZNS1_9scan_implILNS1_25lookback_scan_determinismE0ELb0ELb0ES3_N6thrust23THRUST_200600_302600_NS6detail15normal_iteratorINS9_10device_ptrIiEEEESE_i9plus_mod3IiEiEEDaPvRmT3_T4_T5_mT6_P12ihipStream_tbENKUlT_T0_E_clISt17integral_constantIbLb1EEST_IbLb0EEEEDaSP_SQ_EUlSP_E0_NS1_11comp_targetILNS1_3genE0ELNS1_11target_archE4294967295ELNS1_3gpuE0ELNS1_3repE0EEENS1_30default_config_static_selectorELNS0_4arch9wavefront6targetE1EEEvT1_,comdat
	.protected	_ZN7rocprim17ROCPRIM_400000_NS6detail17trampoline_kernelINS0_14default_configENS1_20scan_config_selectorIiEEZZNS1_9scan_implILNS1_25lookback_scan_determinismE0ELb0ELb0ES3_N6thrust23THRUST_200600_302600_NS6detail15normal_iteratorINS9_10device_ptrIiEEEESE_i9plus_mod3IiEiEEDaPvRmT3_T4_T5_mT6_P12ihipStream_tbENKUlT_T0_E_clISt17integral_constantIbLb1EEST_IbLb0EEEEDaSP_SQ_EUlSP_E0_NS1_11comp_targetILNS1_3genE0ELNS1_11target_archE4294967295ELNS1_3gpuE0ELNS1_3repE0EEENS1_30default_config_static_selectorELNS0_4arch9wavefront6targetE1EEEvT1_ ; -- Begin function _ZN7rocprim17ROCPRIM_400000_NS6detail17trampoline_kernelINS0_14default_configENS1_20scan_config_selectorIiEEZZNS1_9scan_implILNS1_25lookback_scan_determinismE0ELb0ELb0ES3_N6thrust23THRUST_200600_302600_NS6detail15normal_iteratorINS9_10device_ptrIiEEEESE_i9plus_mod3IiEiEEDaPvRmT3_T4_T5_mT6_P12ihipStream_tbENKUlT_T0_E_clISt17integral_constantIbLb1EEST_IbLb0EEEEDaSP_SQ_EUlSP_E0_NS1_11comp_targetILNS1_3genE0ELNS1_11target_archE4294967295ELNS1_3gpuE0ELNS1_3repE0EEENS1_30default_config_static_selectorELNS0_4arch9wavefront6targetE1EEEvT1_
	.globl	_ZN7rocprim17ROCPRIM_400000_NS6detail17trampoline_kernelINS0_14default_configENS1_20scan_config_selectorIiEEZZNS1_9scan_implILNS1_25lookback_scan_determinismE0ELb0ELb0ES3_N6thrust23THRUST_200600_302600_NS6detail15normal_iteratorINS9_10device_ptrIiEEEESE_i9plus_mod3IiEiEEDaPvRmT3_T4_T5_mT6_P12ihipStream_tbENKUlT_T0_E_clISt17integral_constantIbLb1EEST_IbLb0EEEEDaSP_SQ_EUlSP_E0_NS1_11comp_targetILNS1_3genE0ELNS1_11target_archE4294967295ELNS1_3gpuE0ELNS1_3repE0EEENS1_30default_config_static_selectorELNS0_4arch9wavefront6targetE1EEEvT1_
	.p2align	8
	.type	_ZN7rocprim17ROCPRIM_400000_NS6detail17trampoline_kernelINS0_14default_configENS1_20scan_config_selectorIiEEZZNS1_9scan_implILNS1_25lookback_scan_determinismE0ELb0ELb0ES3_N6thrust23THRUST_200600_302600_NS6detail15normal_iteratorINS9_10device_ptrIiEEEESE_i9plus_mod3IiEiEEDaPvRmT3_T4_T5_mT6_P12ihipStream_tbENKUlT_T0_E_clISt17integral_constantIbLb1EEST_IbLb0EEEEDaSP_SQ_EUlSP_E0_NS1_11comp_targetILNS1_3genE0ELNS1_11target_archE4294967295ELNS1_3gpuE0ELNS1_3repE0EEENS1_30default_config_static_selectorELNS0_4arch9wavefront6targetE1EEEvT1_,@function
_ZN7rocprim17ROCPRIM_400000_NS6detail17trampoline_kernelINS0_14default_configENS1_20scan_config_selectorIiEEZZNS1_9scan_implILNS1_25lookback_scan_determinismE0ELb0ELb0ES3_N6thrust23THRUST_200600_302600_NS6detail15normal_iteratorINS9_10device_ptrIiEEEESE_i9plus_mod3IiEiEEDaPvRmT3_T4_T5_mT6_P12ihipStream_tbENKUlT_T0_E_clISt17integral_constantIbLb1EEST_IbLb0EEEEDaSP_SQ_EUlSP_E0_NS1_11comp_targetILNS1_3genE0ELNS1_11target_archE4294967295ELNS1_3gpuE0ELNS1_3repE0EEENS1_30default_config_static_selectorELNS0_4arch9wavefront6targetE1EEEvT1_: ; @_ZN7rocprim17ROCPRIM_400000_NS6detail17trampoline_kernelINS0_14default_configENS1_20scan_config_selectorIiEEZZNS1_9scan_implILNS1_25lookback_scan_determinismE0ELb0ELb0ES3_N6thrust23THRUST_200600_302600_NS6detail15normal_iteratorINS9_10device_ptrIiEEEESE_i9plus_mod3IiEiEEDaPvRmT3_T4_T5_mT6_P12ihipStream_tbENKUlT_T0_E_clISt17integral_constantIbLb1EEST_IbLb0EEEEDaSP_SQ_EUlSP_E0_NS1_11comp_targetILNS1_3genE0ELNS1_11target_archE4294967295ELNS1_3gpuE0ELNS1_3repE0EEENS1_30default_config_static_selectorELNS0_4arch9wavefront6targetE1EEEvT1_
; %bb.0:
	.section	.rodata,"a",@progbits
	.p2align	6, 0x0
	.amdhsa_kernel _ZN7rocprim17ROCPRIM_400000_NS6detail17trampoline_kernelINS0_14default_configENS1_20scan_config_selectorIiEEZZNS1_9scan_implILNS1_25lookback_scan_determinismE0ELb0ELb0ES3_N6thrust23THRUST_200600_302600_NS6detail15normal_iteratorINS9_10device_ptrIiEEEESE_i9plus_mod3IiEiEEDaPvRmT3_T4_T5_mT6_P12ihipStream_tbENKUlT_T0_E_clISt17integral_constantIbLb1EEST_IbLb0EEEEDaSP_SQ_EUlSP_E0_NS1_11comp_targetILNS1_3genE0ELNS1_11target_archE4294967295ELNS1_3gpuE0ELNS1_3repE0EEENS1_30default_config_static_selectorELNS0_4arch9wavefront6targetE1EEEvT1_
		.amdhsa_group_segment_fixed_size 0
		.amdhsa_private_segment_fixed_size 0
		.amdhsa_kernarg_size 40
		.amdhsa_user_sgpr_count 6
		.amdhsa_user_sgpr_private_segment_buffer 1
		.amdhsa_user_sgpr_dispatch_ptr 0
		.amdhsa_user_sgpr_queue_ptr 0
		.amdhsa_user_sgpr_kernarg_segment_ptr 1
		.amdhsa_user_sgpr_dispatch_id 0
		.amdhsa_user_sgpr_flat_scratch_init 0
		.amdhsa_user_sgpr_kernarg_preload_length 0
		.amdhsa_user_sgpr_kernarg_preload_offset 0
		.amdhsa_user_sgpr_private_segment_size 0
		.amdhsa_uses_dynamic_stack 0
		.amdhsa_system_sgpr_private_segment_wavefront_offset 0
		.amdhsa_system_sgpr_workgroup_id_x 1
		.amdhsa_system_sgpr_workgroup_id_y 0
		.amdhsa_system_sgpr_workgroup_id_z 0
		.amdhsa_system_sgpr_workgroup_info 0
		.amdhsa_system_vgpr_workitem_id 0
		.amdhsa_next_free_vgpr 1
		.amdhsa_next_free_sgpr 0
		.amdhsa_accum_offset 4
		.amdhsa_reserve_vcc 0
		.amdhsa_reserve_flat_scratch 0
		.amdhsa_float_round_mode_32 0
		.amdhsa_float_round_mode_16_64 0
		.amdhsa_float_denorm_mode_32 3
		.amdhsa_float_denorm_mode_16_64 3
		.amdhsa_dx10_clamp 1
		.amdhsa_ieee_mode 1
		.amdhsa_fp16_overflow 0
		.amdhsa_tg_split 0
		.amdhsa_exception_fp_ieee_invalid_op 0
		.amdhsa_exception_fp_denorm_src 0
		.amdhsa_exception_fp_ieee_div_zero 0
		.amdhsa_exception_fp_ieee_overflow 0
		.amdhsa_exception_fp_ieee_underflow 0
		.amdhsa_exception_fp_ieee_inexact 0
		.amdhsa_exception_int_div_zero 0
	.end_amdhsa_kernel
	.section	.text._ZN7rocprim17ROCPRIM_400000_NS6detail17trampoline_kernelINS0_14default_configENS1_20scan_config_selectorIiEEZZNS1_9scan_implILNS1_25lookback_scan_determinismE0ELb0ELb0ES3_N6thrust23THRUST_200600_302600_NS6detail15normal_iteratorINS9_10device_ptrIiEEEESE_i9plus_mod3IiEiEEDaPvRmT3_T4_T5_mT6_P12ihipStream_tbENKUlT_T0_E_clISt17integral_constantIbLb1EEST_IbLb0EEEEDaSP_SQ_EUlSP_E0_NS1_11comp_targetILNS1_3genE0ELNS1_11target_archE4294967295ELNS1_3gpuE0ELNS1_3repE0EEENS1_30default_config_static_selectorELNS0_4arch9wavefront6targetE1EEEvT1_,"axG",@progbits,_ZN7rocprim17ROCPRIM_400000_NS6detail17trampoline_kernelINS0_14default_configENS1_20scan_config_selectorIiEEZZNS1_9scan_implILNS1_25lookback_scan_determinismE0ELb0ELb0ES3_N6thrust23THRUST_200600_302600_NS6detail15normal_iteratorINS9_10device_ptrIiEEEESE_i9plus_mod3IiEiEEDaPvRmT3_T4_T5_mT6_P12ihipStream_tbENKUlT_T0_E_clISt17integral_constantIbLb1EEST_IbLb0EEEEDaSP_SQ_EUlSP_E0_NS1_11comp_targetILNS1_3genE0ELNS1_11target_archE4294967295ELNS1_3gpuE0ELNS1_3repE0EEENS1_30default_config_static_selectorELNS0_4arch9wavefront6targetE1EEEvT1_,comdat
.Lfunc_end6651:
	.size	_ZN7rocprim17ROCPRIM_400000_NS6detail17trampoline_kernelINS0_14default_configENS1_20scan_config_selectorIiEEZZNS1_9scan_implILNS1_25lookback_scan_determinismE0ELb0ELb0ES3_N6thrust23THRUST_200600_302600_NS6detail15normal_iteratorINS9_10device_ptrIiEEEESE_i9plus_mod3IiEiEEDaPvRmT3_T4_T5_mT6_P12ihipStream_tbENKUlT_T0_E_clISt17integral_constantIbLb1EEST_IbLb0EEEEDaSP_SQ_EUlSP_E0_NS1_11comp_targetILNS1_3genE0ELNS1_11target_archE4294967295ELNS1_3gpuE0ELNS1_3repE0EEENS1_30default_config_static_selectorELNS0_4arch9wavefront6targetE1EEEvT1_, .Lfunc_end6651-_ZN7rocprim17ROCPRIM_400000_NS6detail17trampoline_kernelINS0_14default_configENS1_20scan_config_selectorIiEEZZNS1_9scan_implILNS1_25lookback_scan_determinismE0ELb0ELb0ES3_N6thrust23THRUST_200600_302600_NS6detail15normal_iteratorINS9_10device_ptrIiEEEESE_i9plus_mod3IiEiEEDaPvRmT3_T4_T5_mT6_P12ihipStream_tbENKUlT_T0_E_clISt17integral_constantIbLb1EEST_IbLb0EEEEDaSP_SQ_EUlSP_E0_NS1_11comp_targetILNS1_3genE0ELNS1_11target_archE4294967295ELNS1_3gpuE0ELNS1_3repE0EEENS1_30default_config_static_selectorELNS0_4arch9wavefront6targetE1EEEvT1_
                                        ; -- End function
	.section	.AMDGPU.csdata,"",@progbits
; Kernel info:
; codeLenInByte = 0
; NumSgprs: 4
; NumVgprs: 0
; NumAgprs: 0
; TotalNumVgprs: 0
; ScratchSize: 0
; MemoryBound: 0
; FloatMode: 240
; IeeeMode: 1
; LDSByteSize: 0 bytes/workgroup (compile time only)
; SGPRBlocks: 0
; VGPRBlocks: 0
; NumSGPRsForWavesPerEU: 4
; NumVGPRsForWavesPerEU: 1
; AccumOffset: 4
; Occupancy: 8
; WaveLimiterHint : 0
; COMPUTE_PGM_RSRC2:SCRATCH_EN: 0
; COMPUTE_PGM_RSRC2:USER_SGPR: 6
; COMPUTE_PGM_RSRC2:TRAP_HANDLER: 0
; COMPUTE_PGM_RSRC2:TGID_X_EN: 1
; COMPUTE_PGM_RSRC2:TGID_Y_EN: 0
; COMPUTE_PGM_RSRC2:TGID_Z_EN: 0
; COMPUTE_PGM_RSRC2:TIDIG_COMP_CNT: 0
; COMPUTE_PGM_RSRC3_GFX90A:ACCUM_OFFSET: 0
; COMPUTE_PGM_RSRC3_GFX90A:TG_SPLIT: 0
	.section	.text._ZN7rocprim17ROCPRIM_400000_NS6detail17trampoline_kernelINS0_14default_configENS1_20scan_config_selectorIiEEZZNS1_9scan_implILNS1_25lookback_scan_determinismE0ELb0ELb0ES3_N6thrust23THRUST_200600_302600_NS6detail15normal_iteratorINS9_10device_ptrIiEEEESE_i9plus_mod3IiEiEEDaPvRmT3_T4_T5_mT6_P12ihipStream_tbENKUlT_T0_E_clISt17integral_constantIbLb1EEST_IbLb0EEEEDaSP_SQ_EUlSP_E0_NS1_11comp_targetILNS1_3genE5ELNS1_11target_archE942ELNS1_3gpuE9ELNS1_3repE0EEENS1_30default_config_static_selectorELNS0_4arch9wavefront6targetE1EEEvT1_,"axG",@progbits,_ZN7rocprim17ROCPRIM_400000_NS6detail17trampoline_kernelINS0_14default_configENS1_20scan_config_selectorIiEEZZNS1_9scan_implILNS1_25lookback_scan_determinismE0ELb0ELb0ES3_N6thrust23THRUST_200600_302600_NS6detail15normal_iteratorINS9_10device_ptrIiEEEESE_i9plus_mod3IiEiEEDaPvRmT3_T4_T5_mT6_P12ihipStream_tbENKUlT_T0_E_clISt17integral_constantIbLb1EEST_IbLb0EEEEDaSP_SQ_EUlSP_E0_NS1_11comp_targetILNS1_3genE5ELNS1_11target_archE942ELNS1_3gpuE9ELNS1_3repE0EEENS1_30default_config_static_selectorELNS0_4arch9wavefront6targetE1EEEvT1_,comdat
	.protected	_ZN7rocprim17ROCPRIM_400000_NS6detail17trampoline_kernelINS0_14default_configENS1_20scan_config_selectorIiEEZZNS1_9scan_implILNS1_25lookback_scan_determinismE0ELb0ELb0ES3_N6thrust23THRUST_200600_302600_NS6detail15normal_iteratorINS9_10device_ptrIiEEEESE_i9plus_mod3IiEiEEDaPvRmT3_T4_T5_mT6_P12ihipStream_tbENKUlT_T0_E_clISt17integral_constantIbLb1EEST_IbLb0EEEEDaSP_SQ_EUlSP_E0_NS1_11comp_targetILNS1_3genE5ELNS1_11target_archE942ELNS1_3gpuE9ELNS1_3repE0EEENS1_30default_config_static_selectorELNS0_4arch9wavefront6targetE1EEEvT1_ ; -- Begin function _ZN7rocprim17ROCPRIM_400000_NS6detail17trampoline_kernelINS0_14default_configENS1_20scan_config_selectorIiEEZZNS1_9scan_implILNS1_25lookback_scan_determinismE0ELb0ELb0ES3_N6thrust23THRUST_200600_302600_NS6detail15normal_iteratorINS9_10device_ptrIiEEEESE_i9plus_mod3IiEiEEDaPvRmT3_T4_T5_mT6_P12ihipStream_tbENKUlT_T0_E_clISt17integral_constantIbLb1EEST_IbLb0EEEEDaSP_SQ_EUlSP_E0_NS1_11comp_targetILNS1_3genE5ELNS1_11target_archE942ELNS1_3gpuE9ELNS1_3repE0EEENS1_30default_config_static_selectorELNS0_4arch9wavefront6targetE1EEEvT1_
	.globl	_ZN7rocprim17ROCPRIM_400000_NS6detail17trampoline_kernelINS0_14default_configENS1_20scan_config_selectorIiEEZZNS1_9scan_implILNS1_25lookback_scan_determinismE0ELb0ELb0ES3_N6thrust23THRUST_200600_302600_NS6detail15normal_iteratorINS9_10device_ptrIiEEEESE_i9plus_mod3IiEiEEDaPvRmT3_T4_T5_mT6_P12ihipStream_tbENKUlT_T0_E_clISt17integral_constantIbLb1EEST_IbLb0EEEEDaSP_SQ_EUlSP_E0_NS1_11comp_targetILNS1_3genE5ELNS1_11target_archE942ELNS1_3gpuE9ELNS1_3repE0EEENS1_30default_config_static_selectorELNS0_4arch9wavefront6targetE1EEEvT1_
	.p2align	8
	.type	_ZN7rocprim17ROCPRIM_400000_NS6detail17trampoline_kernelINS0_14default_configENS1_20scan_config_selectorIiEEZZNS1_9scan_implILNS1_25lookback_scan_determinismE0ELb0ELb0ES3_N6thrust23THRUST_200600_302600_NS6detail15normal_iteratorINS9_10device_ptrIiEEEESE_i9plus_mod3IiEiEEDaPvRmT3_T4_T5_mT6_P12ihipStream_tbENKUlT_T0_E_clISt17integral_constantIbLb1EEST_IbLb0EEEEDaSP_SQ_EUlSP_E0_NS1_11comp_targetILNS1_3genE5ELNS1_11target_archE942ELNS1_3gpuE9ELNS1_3repE0EEENS1_30default_config_static_selectorELNS0_4arch9wavefront6targetE1EEEvT1_,@function
_ZN7rocprim17ROCPRIM_400000_NS6detail17trampoline_kernelINS0_14default_configENS1_20scan_config_selectorIiEEZZNS1_9scan_implILNS1_25lookback_scan_determinismE0ELb0ELb0ES3_N6thrust23THRUST_200600_302600_NS6detail15normal_iteratorINS9_10device_ptrIiEEEESE_i9plus_mod3IiEiEEDaPvRmT3_T4_T5_mT6_P12ihipStream_tbENKUlT_T0_E_clISt17integral_constantIbLb1EEST_IbLb0EEEEDaSP_SQ_EUlSP_E0_NS1_11comp_targetILNS1_3genE5ELNS1_11target_archE942ELNS1_3gpuE9ELNS1_3repE0EEENS1_30default_config_static_selectorELNS0_4arch9wavefront6targetE1EEEvT1_: ; @_ZN7rocprim17ROCPRIM_400000_NS6detail17trampoline_kernelINS0_14default_configENS1_20scan_config_selectorIiEEZZNS1_9scan_implILNS1_25lookback_scan_determinismE0ELb0ELb0ES3_N6thrust23THRUST_200600_302600_NS6detail15normal_iteratorINS9_10device_ptrIiEEEESE_i9plus_mod3IiEiEEDaPvRmT3_T4_T5_mT6_P12ihipStream_tbENKUlT_T0_E_clISt17integral_constantIbLb1EEST_IbLb0EEEEDaSP_SQ_EUlSP_E0_NS1_11comp_targetILNS1_3genE5ELNS1_11target_archE942ELNS1_3gpuE9ELNS1_3repE0EEENS1_30default_config_static_selectorELNS0_4arch9wavefront6targetE1EEEvT1_
; %bb.0:
	.section	.rodata,"a",@progbits
	.p2align	6, 0x0
	.amdhsa_kernel _ZN7rocprim17ROCPRIM_400000_NS6detail17trampoline_kernelINS0_14default_configENS1_20scan_config_selectorIiEEZZNS1_9scan_implILNS1_25lookback_scan_determinismE0ELb0ELb0ES3_N6thrust23THRUST_200600_302600_NS6detail15normal_iteratorINS9_10device_ptrIiEEEESE_i9plus_mod3IiEiEEDaPvRmT3_T4_T5_mT6_P12ihipStream_tbENKUlT_T0_E_clISt17integral_constantIbLb1EEST_IbLb0EEEEDaSP_SQ_EUlSP_E0_NS1_11comp_targetILNS1_3genE5ELNS1_11target_archE942ELNS1_3gpuE9ELNS1_3repE0EEENS1_30default_config_static_selectorELNS0_4arch9wavefront6targetE1EEEvT1_
		.amdhsa_group_segment_fixed_size 0
		.amdhsa_private_segment_fixed_size 0
		.amdhsa_kernarg_size 40
		.amdhsa_user_sgpr_count 6
		.amdhsa_user_sgpr_private_segment_buffer 1
		.amdhsa_user_sgpr_dispatch_ptr 0
		.amdhsa_user_sgpr_queue_ptr 0
		.amdhsa_user_sgpr_kernarg_segment_ptr 1
		.amdhsa_user_sgpr_dispatch_id 0
		.amdhsa_user_sgpr_flat_scratch_init 0
		.amdhsa_user_sgpr_kernarg_preload_length 0
		.amdhsa_user_sgpr_kernarg_preload_offset 0
		.amdhsa_user_sgpr_private_segment_size 0
		.amdhsa_uses_dynamic_stack 0
		.amdhsa_system_sgpr_private_segment_wavefront_offset 0
		.amdhsa_system_sgpr_workgroup_id_x 1
		.amdhsa_system_sgpr_workgroup_id_y 0
		.amdhsa_system_sgpr_workgroup_id_z 0
		.amdhsa_system_sgpr_workgroup_info 0
		.amdhsa_system_vgpr_workitem_id 0
		.amdhsa_next_free_vgpr 1
		.amdhsa_next_free_sgpr 0
		.amdhsa_accum_offset 4
		.amdhsa_reserve_vcc 0
		.amdhsa_reserve_flat_scratch 0
		.amdhsa_float_round_mode_32 0
		.amdhsa_float_round_mode_16_64 0
		.amdhsa_float_denorm_mode_32 3
		.amdhsa_float_denorm_mode_16_64 3
		.amdhsa_dx10_clamp 1
		.amdhsa_ieee_mode 1
		.amdhsa_fp16_overflow 0
		.amdhsa_tg_split 0
		.amdhsa_exception_fp_ieee_invalid_op 0
		.amdhsa_exception_fp_denorm_src 0
		.amdhsa_exception_fp_ieee_div_zero 0
		.amdhsa_exception_fp_ieee_overflow 0
		.amdhsa_exception_fp_ieee_underflow 0
		.amdhsa_exception_fp_ieee_inexact 0
		.amdhsa_exception_int_div_zero 0
	.end_amdhsa_kernel
	.section	.text._ZN7rocprim17ROCPRIM_400000_NS6detail17trampoline_kernelINS0_14default_configENS1_20scan_config_selectorIiEEZZNS1_9scan_implILNS1_25lookback_scan_determinismE0ELb0ELb0ES3_N6thrust23THRUST_200600_302600_NS6detail15normal_iteratorINS9_10device_ptrIiEEEESE_i9plus_mod3IiEiEEDaPvRmT3_T4_T5_mT6_P12ihipStream_tbENKUlT_T0_E_clISt17integral_constantIbLb1EEST_IbLb0EEEEDaSP_SQ_EUlSP_E0_NS1_11comp_targetILNS1_3genE5ELNS1_11target_archE942ELNS1_3gpuE9ELNS1_3repE0EEENS1_30default_config_static_selectorELNS0_4arch9wavefront6targetE1EEEvT1_,"axG",@progbits,_ZN7rocprim17ROCPRIM_400000_NS6detail17trampoline_kernelINS0_14default_configENS1_20scan_config_selectorIiEEZZNS1_9scan_implILNS1_25lookback_scan_determinismE0ELb0ELb0ES3_N6thrust23THRUST_200600_302600_NS6detail15normal_iteratorINS9_10device_ptrIiEEEESE_i9plus_mod3IiEiEEDaPvRmT3_T4_T5_mT6_P12ihipStream_tbENKUlT_T0_E_clISt17integral_constantIbLb1EEST_IbLb0EEEEDaSP_SQ_EUlSP_E0_NS1_11comp_targetILNS1_3genE5ELNS1_11target_archE942ELNS1_3gpuE9ELNS1_3repE0EEENS1_30default_config_static_selectorELNS0_4arch9wavefront6targetE1EEEvT1_,comdat
.Lfunc_end6652:
	.size	_ZN7rocprim17ROCPRIM_400000_NS6detail17trampoline_kernelINS0_14default_configENS1_20scan_config_selectorIiEEZZNS1_9scan_implILNS1_25lookback_scan_determinismE0ELb0ELb0ES3_N6thrust23THRUST_200600_302600_NS6detail15normal_iteratorINS9_10device_ptrIiEEEESE_i9plus_mod3IiEiEEDaPvRmT3_T4_T5_mT6_P12ihipStream_tbENKUlT_T0_E_clISt17integral_constantIbLb1EEST_IbLb0EEEEDaSP_SQ_EUlSP_E0_NS1_11comp_targetILNS1_3genE5ELNS1_11target_archE942ELNS1_3gpuE9ELNS1_3repE0EEENS1_30default_config_static_selectorELNS0_4arch9wavefront6targetE1EEEvT1_, .Lfunc_end6652-_ZN7rocprim17ROCPRIM_400000_NS6detail17trampoline_kernelINS0_14default_configENS1_20scan_config_selectorIiEEZZNS1_9scan_implILNS1_25lookback_scan_determinismE0ELb0ELb0ES3_N6thrust23THRUST_200600_302600_NS6detail15normal_iteratorINS9_10device_ptrIiEEEESE_i9plus_mod3IiEiEEDaPvRmT3_T4_T5_mT6_P12ihipStream_tbENKUlT_T0_E_clISt17integral_constantIbLb1EEST_IbLb0EEEEDaSP_SQ_EUlSP_E0_NS1_11comp_targetILNS1_3genE5ELNS1_11target_archE942ELNS1_3gpuE9ELNS1_3repE0EEENS1_30default_config_static_selectorELNS0_4arch9wavefront6targetE1EEEvT1_
                                        ; -- End function
	.section	.AMDGPU.csdata,"",@progbits
; Kernel info:
; codeLenInByte = 0
; NumSgprs: 4
; NumVgprs: 0
; NumAgprs: 0
; TotalNumVgprs: 0
; ScratchSize: 0
; MemoryBound: 0
; FloatMode: 240
; IeeeMode: 1
; LDSByteSize: 0 bytes/workgroup (compile time only)
; SGPRBlocks: 0
; VGPRBlocks: 0
; NumSGPRsForWavesPerEU: 4
; NumVGPRsForWavesPerEU: 1
; AccumOffset: 4
; Occupancy: 8
; WaveLimiterHint : 0
; COMPUTE_PGM_RSRC2:SCRATCH_EN: 0
; COMPUTE_PGM_RSRC2:USER_SGPR: 6
; COMPUTE_PGM_RSRC2:TRAP_HANDLER: 0
; COMPUTE_PGM_RSRC2:TGID_X_EN: 1
; COMPUTE_PGM_RSRC2:TGID_Y_EN: 0
; COMPUTE_PGM_RSRC2:TGID_Z_EN: 0
; COMPUTE_PGM_RSRC2:TIDIG_COMP_CNT: 0
; COMPUTE_PGM_RSRC3_GFX90A:ACCUM_OFFSET: 0
; COMPUTE_PGM_RSRC3_GFX90A:TG_SPLIT: 0
	.section	.text._ZN7rocprim17ROCPRIM_400000_NS6detail17trampoline_kernelINS0_14default_configENS1_20scan_config_selectorIiEEZZNS1_9scan_implILNS1_25lookback_scan_determinismE0ELb0ELb0ES3_N6thrust23THRUST_200600_302600_NS6detail15normal_iteratorINS9_10device_ptrIiEEEESE_i9plus_mod3IiEiEEDaPvRmT3_T4_T5_mT6_P12ihipStream_tbENKUlT_T0_E_clISt17integral_constantIbLb1EEST_IbLb0EEEEDaSP_SQ_EUlSP_E0_NS1_11comp_targetILNS1_3genE4ELNS1_11target_archE910ELNS1_3gpuE8ELNS1_3repE0EEENS1_30default_config_static_selectorELNS0_4arch9wavefront6targetE1EEEvT1_,"axG",@progbits,_ZN7rocprim17ROCPRIM_400000_NS6detail17trampoline_kernelINS0_14default_configENS1_20scan_config_selectorIiEEZZNS1_9scan_implILNS1_25lookback_scan_determinismE0ELb0ELb0ES3_N6thrust23THRUST_200600_302600_NS6detail15normal_iteratorINS9_10device_ptrIiEEEESE_i9plus_mod3IiEiEEDaPvRmT3_T4_T5_mT6_P12ihipStream_tbENKUlT_T0_E_clISt17integral_constantIbLb1EEST_IbLb0EEEEDaSP_SQ_EUlSP_E0_NS1_11comp_targetILNS1_3genE4ELNS1_11target_archE910ELNS1_3gpuE8ELNS1_3repE0EEENS1_30default_config_static_selectorELNS0_4arch9wavefront6targetE1EEEvT1_,comdat
	.protected	_ZN7rocprim17ROCPRIM_400000_NS6detail17trampoline_kernelINS0_14default_configENS1_20scan_config_selectorIiEEZZNS1_9scan_implILNS1_25lookback_scan_determinismE0ELb0ELb0ES3_N6thrust23THRUST_200600_302600_NS6detail15normal_iteratorINS9_10device_ptrIiEEEESE_i9plus_mod3IiEiEEDaPvRmT3_T4_T5_mT6_P12ihipStream_tbENKUlT_T0_E_clISt17integral_constantIbLb1EEST_IbLb0EEEEDaSP_SQ_EUlSP_E0_NS1_11comp_targetILNS1_3genE4ELNS1_11target_archE910ELNS1_3gpuE8ELNS1_3repE0EEENS1_30default_config_static_selectorELNS0_4arch9wavefront6targetE1EEEvT1_ ; -- Begin function _ZN7rocprim17ROCPRIM_400000_NS6detail17trampoline_kernelINS0_14default_configENS1_20scan_config_selectorIiEEZZNS1_9scan_implILNS1_25lookback_scan_determinismE0ELb0ELb0ES3_N6thrust23THRUST_200600_302600_NS6detail15normal_iteratorINS9_10device_ptrIiEEEESE_i9plus_mod3IiEiEEDaPvRmT3_T4_T5_mT6_P12ihipStream_tbENKUlT_T0_E_clISt17integral_constantIbLb1EEST_IbLb0EEEEDaSP_SQ_EUlSP_E0_NS1_11comp_targetILNS1_3genE4ELNS1_11target_archE910ELNS1_3gpuE8ELNS1_3repE0EEENS1_30default_config_static_selectorELNS0_4arch9wavefront6targetE1EEEvT1_
	.globl	_ZN7rocprim17ROCPRIM_400000_NS6detail17trampoline_kernelINS0_14default_configENS1_20scan_config_selectorIiEEZZNS1_9scan_implILNS1_25lookback_scan_determinismE0ELb0ELb0ES3_N6thrust23THRUST_200600_302600_NS6detail15normal_iteratorINS9_10device_ptrIiEEEESE_i9plus_mod3IiEiEEDaPvRmT3_T4_T5_mT6_P12ihipStream_tbENKUlT_T0_E_clISt17integral_constantIbLb1EEST_IbLb0EEEEDaSP_SQ_EUlSP_E0_NS1_11comp_targetILNS1_3genE4ELNS1_11target_archE910ELNS1_3gpuE8ELNS1_3repE0EEENS1_30default_config_static_selectorELNS0_4arch9wavefront6targetE1EEEvT1_
	.p2align	8
	.type	_ZN7rocprim17ROCPRIM_400000_NS6detail17trampoline_kernelINS0_14default_configENS1_20scan_config_selectorIiEEZZNS1_9scan_implILNS1_25lookback_scan_determinismE0ELb0ELb0ES3_N6thrust23THRUST_200600_302600_NS6detail15normal_iteratorINS9_10device_ptrIiEEEESE_i9plus_mod3IiEiEEDaPvRmT3_T4_T5_mT6_P12ihipStream_tbENKUlT_T0_E_clISt17integral_constantIbLb1EEST_IbLb0EEEEDaSP_SQ_EUlSP_E0_NS1_11comp_targetILNS1_3genE4ELNS1_11target_archE910ELNS1_3gpuE8ELNS1_3repE0EEENS1_30default_config_static_selectorELNS0_4arch9wavefront6targetE1EEEvT1_,@function
_ZN7rocprim17ROCPRIM_400000_NS6detail17trampoline_kernelINS0_14default_configENS1_20scan_config_selectorIiEEZZNS1_9scan_implILNS1_25lookback_scan_determinismE0ELb0ELb0ES3_N6thrust23THRUST_200600_302600_NS6detail15normal_iteratorINS9_10device_ptrIiEEEESE_i9plus_mod3IiEiEEDaPvRmT3_T4_T5_mT6_P12ihipStream_tbENKUlT_T0_E_clISt17integral_constantIbLb1EEST_IbLb0EEEEDaSP_SQ_EUlSP_E0_NS1_11comp_targetILNS1_3genE4ELNS1_11target_archE910ELNS1_3gpuE8ELNS1_3repE0EEENS1_30default_config_static_selectorELNS0_4arch9wavefront6targetE1EEEvT1_: ; @_ZN7rocprim17ROCPRIM_400000_NS6detail17trampoline_kernelINS0_14default_configENS1_20scan_config_selectorIiEEZZNS1_9scan_implILNS1_25lookback_scan_determinismE0ELb0ELb0ES3_N6thrust23THRUST_200600_302600_NS6detail15normal_iteratorINS9_10device_ptrIiEEEESE_i9plus_mod3IiEiEEDaPvRmT3_T4_T5_mT6_P12ihipStream_tbENKUlT_T0_E_clISt17integral_constantIbLb1EEST_IbLb0EEEEDaSP_SQ_EUlSP_E0_NS1_11comp_targetILNS1_3genE4ELNS1_11target_archE910ELNS1_3gpuE8ELNS1_3repE0EEENS1_30default_config_static_selectorELNS0_4arch9wavefront6targetE1EEEvT1_
; %bb.0:
	s_load_dwordx4 s[24:27], s[4:5], 0x0
	v_lshlrev_b32_e32 v16, 2, v0
	s_waitcnt lgkmcnt(0)
	s_load_dword s27, s[24:25], 0x0
	v_cmp_gt_u32_e32 vcc, s26, v0
	s_waitcnt lgkmcnt(0)
	v_mov_b32_e32 v1, s27
	s_and_saveexec_b64 s[0:1], vcc
	s_cbranch_execz .LBB6653_2
; %bb.1:
	global_load_dword v1, v16, s[24:25]
.LBB6653_2:
	s_or_b64 exec, exec, s[0:1]
	v_or_b32_e32 v2, 0x80, v0
	v_cmp_gt_u32_e64 s[0:1], s26, v2
	v_mov_b32_e32 v2, s27
	s_and_saveexec_b64 s[2:3], s[0:1]
	s_cbranch_execz .LBB6653_4
; %bb.3:
	global_load_dword v2, v16, s[24:25] offset:512
.LBB6653_4:
	s_or_b64 exec, exec, s[2:3]
	v_or_b32_e32 v3, 0x100, v0
	v_cmp_gt_u32_e64 s[2:3], s26, v3
	v_mov_b32_e32 v3, s27
	s_and_saveexec_b64 s[6:7], s[2:3]
	s_cbranch_execz .LBB6653_6
; %bb.5:
	global_load_dword v3, v16, s[24:25] offset:1024
.LBB6653_6:
	;; [unrolled: 9-line block ×7, first 2 shown]
	s_or_b64 exec, exec, s[14:15]
	v_or_b32_e32 v10, 0x400, v0
	v_cmp_gt_u32_e64 s[14:15], s26, v10
	v_mov_b32_e32 v9, s27
	s_and_saveexec_b64 s[16:17], s[14:15]
	s_cbranch_execz .LBB6653_18
; %bb.17:
	v_lshlrev_b32_e32 v9, 2, v10
	global_load_dword v9, v9, s[24:25]
.LBB6653_18:
	s_or_b64 exec, exec, s[16:17]
	s_load_dwordx4 s[20:23], s[4:5], 0x18
	v_or_b32_e32 v11, 0x480, v0
	v_cmp_gt_u32_e64 s[16:17], s26, v11
	v_mov_b32_e32 v10, s27
	s_and_saveexec_b64 s[4:5], s[16:17]
	s_cbranch_execz .LBB6653_20
; %bb.19:
	v_lshlrev_b32_e32 v10, 2, v11
	global_load_dword v10, v10, s[24:25]
.LBB6653_20:
	s_or_b64 exec, exec, s[4:5]
	s_waitcnt vmcnt(0)
	ds_write2st64_b32 v16, v1, v2 offset1:2
	ds_write2st64_b32 v16, v3, v4 offset0:4 offset1:6
	ds_write2st64_b32 v16, v5, v6 offset0:8 offset1:10
	;; [unrolled: 1-line block ×4, first 2 shown]
	v_mad_u32_u24 v1, v0, 36, v16
	s_waitcnt lgkmcnt(0)
	s_barrier
	ds_read2_b64 v[2:5], v1 offset1:1
	ds_read2_b64 v[6:9], v1 offset0:2 offset1:3
	ds_read_b64 v[10:11], v1 offset:32
	v_mov_b32_e32 v1, s21
	s_waitcnt lgkmcnt(0)
	v_add_u32_e32 v12, v3, v2
	v_ashrrev_i32_e32 v13, 31, v12
	v_lshlrev_b64 v[14:15], 2, v[12:13]
	v_add_co_u32_e64 v14, s[4:5], s20, v14
	v_addc_co_u32_e64 v15, s[4:5], v1, v15, s[4:5]
	s_barrier
	global_load_dword v1, v[14:15], off
	v_mov_b32_e32 v17, s21
	s_waitcnt vmcnt(0)
	v_add_u32_e32 v14, v1, v4
	v_ashrrev_i32_e32 v15, 31, v14
	v_lshlrev_b64 v[14:15], 2, v[14:15]
	v_add_co_u32_e64 v14, s[4:5], s20, v14
	v_addc_co_u32_e64 v15, s[4:5], v17, v15, s[4:5]
	global_load_dword v1, v[14:15], off
	s_waitcnt vmcnt(0)
	v_add_u32_e32 v14, v1, v5
	v_ashrrev_i32_e32 v15, 31, v14
	v_lshlrev_b64 v[14:15], 2, v[14:15]
	v_add_co_u32_e64 v14, s[4:5], s20, v14
	v_addc_co_u32_e64 v15, s[4:5], v17, v15, s[4:5]
	global_load_dword v1, v[14:15], off
	;; [unrolled: 7-line block ×8, first 2 shown]
	v_lshrrev_b32_e32 v14, 3, v0
	v_and_b32_e32 v14, 12, v14
	v_add_u32_e32 v14, v16, v14
	v_cmp_gt_u32_e64 s[4:5], 64, v0
	s_waitcnt vmcnt(0)
	ds_write_b32 v14, v1
	s_waitcnt lgkmcnt(0)
	s_barrier
	s_and_saveexec_b64 s[24:25], s[4:5]
	s_cbranch_execz .LBB6653_34
; %bb.21:
	v_lshlrev_b32_e32 v14, 1, v0
	v_lshrrev_b32_e32 v15, 4, v0
	v_add_lshl_u32 v17, v15, v14, 2
	ds_read2_b32 v[14:15], v17 offset1:1
	v_mov_b32_e32 v20, s21
	s_waitcnt lgkmcnt(0)
	v_add_u32_e32 v18, v15, v14
	v_ashrrev_i32_e32 v19, 31, v18
	v_lshlrev_b64 v[18:19], 2, v[18:19]
	v_add_co_u32_e64 v18, s[4:5], s20, v18
	v_addc_co_u32_e64 v19, s[4:5], v20, v19, s[4:5]
	global_load_dword v18, v[18:19], off
	v_mbcnt_lo_u32_b32 v15, -1, 0
	v_mbcnt_hi_u32_b32 v15, -1, v15
	v_and_b32_e32 v19, 15, v15
	v_cmp_ne_u32_e64 s[4:5], 0, v19
	s_waitcnt vmcnt(0)
	v_mov_b32_dpp v20, v18 row_shr:1 row_mask:0xf bank_mask:0xf
	s_and_saveexec_b64 s[26:27], s[4:5]
	s_cbranch_execz .LBB6653_23
; %bb.22:
	v_add_u32_e32 v20, v20, v18
	v_ashrrev_i32_e32 v21, 31, v20
	v_lshlrev_b64 v[20:21], 2, v[20:21]
	v_mov_b32_e32 v18, s21
	v_add_co_u32_e64 v20, s[4:5], s20, v20
	v_addc_co_u32_e64 v21, s[4:5], v18, v21, s[4:5]
	global_load_dword v18, v[20:21], off
.LBB6653_23:
	s_or_b64 exec, exec, s[26:27]
	s_waitcnt vmcnt(0)
	v_mov_b32_dpp v20, v18 row_shr:2 row_mask:0xf bank_mask:0xf
	v_cmp_lt_u32_e64 s[4:5], 1, v19
	s_and_saveexec_b64 s[26:27], s[4:5]
	s_cbranch_execz .LBB6653_25
; %bb.24:
	v_add_u32_e32 v20, v20, v18
	v_ashrrev_i32_e32 v21, 31, v20
	v_lshlrev_b64 v[20:21], 2, v[20:21]
	v_mov_b32_e32 v18, s21
	v_add_co_u32_e64 v20, s[4:5], s20, v20
	v_addc_co_u32_e64 v21, s[4:5], v18, v21, s[4:5]
	global_load_dword v18, v[20:21], off
.LBB6653_25:
	s_or_b64 exec, exec, s[26:27]
	s_waitcnt vmcnt(0)
	v_mov_b32_dpp v20, v18 row_shr:4 row_mask:0xf bank_mask:0xf
	v_cmp_lt_u32_e64 s[4:5], 3, v19
	;; [unrolled: 15-line block ×3, first 2 shown]
	s_and_saveexec_b64 s[26:27], s[4:5]
	s_cbranch_execz .LBB6653_29
; %bb.28:
	v_add_u32_e32 v18, v20, v18
	v_ashrrev_i32_e32 v19, 31, v18
	v_lshlrev_b64 v[18:19], 2, v[18:19]
	v_mov_b32_e32 v20, s21
	v_add_co_u32_e64 v18, s[4:5], s20, v18
	v_addc_co_u32_e64 v19, s[4:5], v20, v19, s[4:5]
	global_load_dword v18, v[18:19], off
.LBB6653_29:
	s_or_b64 exec, exec, s[26:27]
	v_and_b32_e32 v20, 16, v15
	s_waitcnt vmcnt(0)
	v_mov_b32_dpp v19, v18 row_bcast:15 row_mask:0xf bank_mask:0xf
	v_cmp_ne_u32_e64 s[4:5], 0, v20
	s_and_saveexec_b64 s[26:27], s[4:5]
	s_cbranch_execz .LBB6653_31
; %bb.30:
	v_add_u32_e32 v18, v19, v18
	v_ashrrev_i32_e32 v19, 31, v18
	v_lshlrev_b64 v[18:19], 2, v[18:19]
	v_mov_b32_e32 v20, s21
	v_add_co_u32_e64 v18, s[4:5], s20, v18
	v_addc_co_u32_e64 v19, s[4:5], v20, v19, s[4:5]
	global_load_dword v18, v[18:19], off
.LBB6653_31:
	s_or_b64 exec, exec, s[26:27]
	s_waitcnt vmcnt(0)
	v_mov_b32_dpp v19, v18 row_bcast:31 row_mask:0xf bank_mask:0xf
	v_cmp_lt_u32_e64 s[4:5], 31, v15
	s_and_saveexec_b64 s[26:27], s[4:5]
	s_cbranch_execz .LBB6653_33
; %bb.32:
	v_add_u32_e32 v18, v19, v18
	v_ashrrev_i32_e32 v19, 31, v18
	v_lshlrev_b64 v[18:19], 2, v[18:19]
	v_mov_b32_e32 v20, s21
	v_add_co_u32_e64 v18, s[4:5], s20, v18
	v_addc_co_u32_e64 v19, s[4:5], v20, v19, s[4:5]
	global_load_dword v18, v[18:19], off
.LBB6653_33:
	s_or_b64 exec, exec, s[26:27]
	v_add_u32_e32 v19, -1, v15
	v_and_b32_e32 v20, 64, v15
	v_cmp_lt_i32_e64 s[4:5], v19, v20
	v_cndmask_b32_e64 v15, v19, v15, s[4:5]
	v_lshlrev_b32_e32 v15, 2, v15
	s_waitcnt vmcnt(0)
	ds_bpermute_b32 v15, v15, v18
	v_mov_b32_e32 v18, s21
	s_waitcnt lgkmcnt(0)
	v_add_u32_e32 v14, v15, v14
	v_ashrrev_i32_e32 v15, 31, v14
	v_lshlrev_b64 v[14:15], 2, v[14:15]
	v_add_co_u32_e64 v14, s[4:5], s20, v14
	v_addc_co_u32_e64 v15, s[4:5], v18, v15, s[4:5]
	global_load_dword v14, v[14:15], off
	v_cmp_eq_u32_e64 s[4:5], 0, v0
	; wave barrier
	s_waitcnt vmcnt(0)
	v_cndmask_b32_e64 v14, v14, v1, s[4:5]
	ds_write_b32 v17, v14
	; wave barrier
	ds_read_b32 v15, v17 offset:4
	s_waitcnt lgkmcnt(0)
	v_add_u32_e32 v14, v15, v14
	v_ashrrev_i32_e32 v15, 31, v14
	v_lshlrev_b64 v[14:15], 2, v[14:15]
	v_add_co_u32_e64 v14, s[4:5], s20, v14
	v_addc_co_u32_e64 v15, s[4:5], v18, v15, s[4:5]
	global_load_dword v14, v[14:15], off
	s_waitcnt vmcnt(0)
	ds_write_b32 v17, v14 offset:4
.LBB6653_34:
	s_or_b64 exec, exec, s[24:25]
	v_mul_u32_u24_e32 v14, 36, v0
	v_cmp_ne_u32_e64 s[4:5], 0, v0
	s_waitcnt lgkmcnt(0)
	s_barrier
	s_and_saveexec_b64 s[24:25], s[4:5]
	s_cbranch_execz .LBB6653_36
; %bb.35:
	v_add_u32_e32 v0, -1, v0
	v_lshrrev_b32_e32 v1, 5, v0
	v_add_lshl_u32 v0, v1, v0, 2
	ds_read_b32 v1, v0
.LBB6653_36:
	s_or_b64 exec, exec, s[24:25]
	s_and_saveexec_b64 s[24:25], s[4:5]
	s_cbranch_execz .LBB6653_38
; %bb.37:
	s_waitcnt lgkmcnt(0)
	v_add_u32_e32 v0, v1, v2
	v_ashrrev_i32_e32 v1, 31, v0
	v_lshlrev_b64 v[0:1], 2, v[0:1]
	v_mov_b32_e32 v2, s21
	v_add_co_u32_e64 v0, s[4:5], s20, v0
	v_addc_co_u32_e64 v1, s[4:5], v2, v1, s[4:5]
	global_load_dword v2, v[0:1], off
	;;#ASMSTART
	;;#ASMEND
	s_waitcnt vmcnt(0)
	v_add_u32_e32 v12, v2, v3
	v_ashrrev_i32_e32 v13, 31, v12
.LBB6653_38:
	s_or_b64 exec, exec, s[24:25]
	s_waitcnt lgkmcnt(0)
	v_lshlrev_b64 v[0:1], 2, v[12:13]
	v_mov_b32_e32 v3, s21
	v_add_co_u32_e64 v0, s[4:5], s20, v0
	v_addc_co_u32_e64 v1, s[4:5], v3, v1, s[4:5]
	global_load_dword v12, v[0:1], off
	s_waitcnt vmcnt(0)
	v_add_u32_e32 v0, v12, v4
	v_ashrrev_i32_e32 v1, 31, v0
	v_lshlrev_b64 v[0:1], 2, v[0:1]
	v_add_co_u32_e64 v0, s[4:5], s20, v0
	v_addc_co_u32_e64 v1, s[4:5], v3, v1, s[4:5]
	global_load_dword v4, v[0:1], off
	s_waitcnt vmcnt(0)
	v_add_u32_e32 v0, v4, v5
	v_ashrrev_i32_e32 v1, 31, v0
	v_lshlrev_b64 v[0:1], 2, v[0:1]
	;; [unrolled: 7-line block ×8, first 2 shown]
	v_add_co_u32_e64 v0, s[4:5], s20, v0
	v_addc_co_u32_e64 v1, s[4:5], v3, v1, s[4:5]
	global_load_dword v0, v[0:1], off
	v_add_u32_e32 v1, v16, v14
	s_barrier
	ds_write2_b32 v1, v12, v4 offset0:1 offset1:2
	ds_write2_b32 v1, v5, v6 offset0:3 offset1:4
	;; [unrolled: 1-line block ×4, first 2 shown]
	s_waitcnt vmcnt(0)
	ds_write2_b32 v1, v2, v0 offset1:9
	s_waitcnt lgkmcnt(0)
	s_barrier
	ds_read2st64_b32 v[8:9], v16 offset0:2 offset1:4
	ds_read2st64_b32 v[6:7], v16 offset0:6 offset1:8
	;; [unrolled: 1-line block ×4, first 2 shown]
	ds_read_b32 v10, v16 offset:4608
	v_mov_b32_e32 v1, s23
	v_add_co_u32_e64 v0, s[4:5], s22, v16
	v_addc_co_u32_e64 v1, s[4:5], 0, v1, s[4:5]
	s_and_saveexec_b64 s[4:5], vcc
	s_cbranch_execnz .LBB6653_49
; %bb.39:
	s_or_b64 exec, exec, s[4:5]
	s_and_saveexec_b64 s[4:5], s[0:1]
	s_cbranch_execnz .LBB6653_50
.LBB6653_40:
	s_or_b64 exec, exec, s[4:5]
	s_and_saveexec_b64 s[0:1], s[2:3]
	s_cbranch_execnz .LBB6653_51
.LBB6653_41:
	s_or_b64 exec, exec, s[0:1]
	s_and_saveexec_b64 s[0:1], s[18:19]
	s_cbranch_execnz .LBB6653_52
.LBB6653_42:
	s_or_b64 exec, exec, s[0:1]
	s_and_saveexec_b64 s[0:1], s[6:7]
	s_cbranch_execnz .LBB6653_53
.LBB6653_43:
	s_or_b64 exec, exec, s[0:1]
	s_and_saveexec_b64 s[0:1], s[8:9]
	s_cbranch_execnz .LBB6653_54
.LBB6653_44:
	s_or_b64 exec, exec, s[0:1]
	s_and_saveexec_b64 s[0:1], s[10:11]
	s_cbranch_execnz .LBB6653_55
.LBB6653_45:
	s_or_b64 exec, exec, s[0:1]
	s_and_saveexec_b64 s[0:1], s[12:13]
	s_cbranch_execnz .LBB6653_56
.LBB6653_46:
	s_or_b64 exec, exec, s[0:1]
	s_and_saveexec_b64 s[0:1], s[14:15]
	s_cbranch_execnz .LBB6653_57
.LBB6653_47:
	s_or_b64 exec, exec, s[0:1]
	s_and_saveexec_b64 s[0:1], s[16:17]
	s_cbranch_execnz .LBB6653_58
.LBB6653_48:
	s_endpgm
.LBB6653_49:
	ds_read_b32 v11, v16
	s_waitcnt lgkmcnt(0)
	global_store_dword v[0:1], v11, off
	s_or_b64 exec, exec, s[4:5]
	s_and_saveexec_b64 s[4:5], s[0:1]
	s_cbranch_execz .LBB6653_40
.LBB6653_50:
	s_waitcnt lgkmcnt(4)
	global_store_dword v[0:1], v8, off offset:512
	s_or_b64 exec, exec, s[4:5]
	s_and_saveexec_b64 s[0:1], s[2:3]
	s_cbranch_execz .LBB6653_41
.LBB6653_51:
	s_waitcnt lgkmcnt(4)
	global_store_dword v[0:1], v9, off offset:1024
	s_or_b64 exec, exec, s[0:1]
	s_and_saveexec_b64 s[0:1], s[18:19]
	s_cbranch_execz .LBB6653_42
.LBB6653_52:
	s_waitcnt lgkmcnt(3)
	global_store_dword v[0:1], v6, off offset:1536
	s_or_b64 exec, exec, s[0:1]
	s_and_saveexec_b64 s[0:1], s[6:7]
	s_cbranch_execz .LBB6653_43
.LBB6653_53:
	s_waitcnt lgkmcnt(3)
	global_store_dword v[0:1], v7, off offset:2048
	s_or_b64 exec, exec, s[0:1]
	s_and_saveexec_b64 s[0:1], s[8:9]
	s_cbranch_execz .LBB6653_44
.LBB6653_54:
	s_waitcnt lgkmcnt(2)
	global_store_dword v[0:1], v4, off offset:2560
	s_or_b64 exec, exec, s[0:1]
	s_and_saveexec_b64 s[0:1], s[10:11]
	s_cbranch_execz .LBB6653_45
.LBB6653_55:
	s_waitcnt lgkmcnt(2)
	global_store_dword v[0:1], v5, off offset:3072
	s_or_b64 exec, exec, s[0:1]
	s_and_saveexec_b64 s[0:1], s[12:13]
	s_cbranch_execz .LBB6653_46
.LBB6653_56:
	s_waitcnt lgkmcnt(1)
	global_store_dword v[0:1], v2, off offset:3584
	s_or_b64 exec, exec, s[0:1]
	s_and_saveexec_b64 s[0:1], s[14:15]
	s_cbranch_execz .LBB6653_47
.LBB6653_57:
	s_waitcnt lgkmcnt(2)
	v_add_co_u32_e32 v4, vcc, 0x1000, v0
	v_addc_co_u32_e32 v5, vcc, 0, v1, vcc
	s_waitcnt lgkmcnt(1)
	global_store_dword v[4:5], v3, off
	s_or_b64 exec, exec, s[0:1]
	s_and_saveexec_b64 s[0:1], s[16:17]
	s_cbranch_execz .LBB6653_48
.LBB6653_58:
	v_add_co_u32_e32 v0, vcc, 0x1000, v0
	v_addc_co_u32_e32 v1, vcc, 0, v1, vcc
	s_waitcnt lgkmcnt(0)
	global_store_dword v[0:1], v10, off offset:512
	s_endpgm
	.section	.rodata,"a",@progbits
	.p2align	6, 0x0
	.amdhsa_kernel _ZN7rocprim17ROCPRIM_400000_NS6detail17trampoline_kernelINS0_14default_configENS1_20scan_config_selectorIiEEZZNS1_9scan_implILNS1_25lookback_scan_determinismE0ELb0ELb0ES3_N6thrust23THRUST_200600_302600_NS6detail15normal_iteratorINS9_10device_ptrIiEEEESE_i9plus_mod3IiEiEEDaPvRmT3_T4_T5_mT6_P12ihipStream_tbENKUlT_T0_E_clISt17integral_constantIbLb1EEST_IbLb0EEEEDaSP_SQ_EUlSP_E0_NS1_11comp_targetILNS1_3genE4ELNS1_11target_archE910ELNS1_3gpuE8ELNS1_3repE0EEENS1_30default_config_static_selectorELNS0_4arch9wavefront6targetE1EEEvT1_
		.amdhsa_group_segment_fixed_size 5120
		.amdhsa_private_segment_fixed_size 0
		.amdhsa_kernarg_size 40
		.amdhsa_user_sgpr_count 6
		.amdhsa_user_sgpr_private_segment_buffer 1
		.amdhsa_user_sgpr_dispatch_ptr 0
		.amdhsa_user_sgpr_queue_ptr 0
		.amdhsa_user_sgpr_kernarg_segment_ptr 1
		.amdhsa_user_sgpr_dispatch_id 0
		.amdhsa_user_sgpr_flat_scratch_init 0
		.amdhsa_user_sgpr_kernarg_preload_length 0
		.amdhsa_user_sgpr_kernarg_preload_offset 0
		.amdhsa_user_sgpr_private_segment_size 0
		.amdhsa_uses_dynamic_stack 0
		.amdhsa_system_sgpr_private_segment_wavefront_offset 0
		.amdhsa_system_sgpr_workgroup_id_x 1
		.amdhsa_system_sgpr_workgroup_id_y 0
		.amdhsa_system_sgpr_workgroup_id_z 0
		.amdhsa_system_sgpr_workgroup_info 0
		.amdhsa_system_vgpr_workitem_id 0
		.amdhsa_next_free_vgpr 22
		.amdhsa_next_free_sgpr 28
		.amdhsa_accum_offset 24
		.amdhsa_reserve_vcc 1
		.amdhsa_reserve_flat_scratch 0
		.amdhsa_float_round_mode_32 0
		.amdhsa_float_round_mode_16_64 0
		.amdhsa_float_denorm_mode_32 3
		.amdhsa_float_denorm_mode_16_64 3
		.amdhsa_dx10_clamp 1
		.amdhsa_ieee_mode 1
		.amdhsa_fp16_overflow 0
		.amdhsa_tg_split 0
		.amdhsa_exception_fp_ieee_invalid_op 0
		.amdhsa_exception_fp_denorm_src 0
		.amdhsa_exception_fp_ieee_div_zero 0
		.amdhsa_exception_fp_ieee_overflow 0
		.amdhsa_exception_fp_ieee_underflow 0
		.amdhsa_exception_fp_ieee_inexact 0
		.amdhsa_exception_int_div_zero 0
	.end_amdhsa_kernel
	.section	.text._ZN7rocprim17ROCPRIM_400000_NS6detail17trampoline_kernelINS0_14default_configENS1_20scan_config_selectorIiEEZZNS1_9scan_implILNS1_25lookback_scan_determinismE0ELb0ELb0ES3_N6thrust23THRUST_200600_302600_NS6detail15normal_iteratorINS9_10device_ptrIiEEEESE_i9plus_mod3IiEiEEDaPvRmT3_T4_T5_mT6_P12ihipStream_tbENKUlT_T0_E_clISt17integral_constantIbLb1EEST_IbLb0EEEEDaSP_SQ_EUlSP_E0_NS1_11comp_targetILNS1_3genE4ELNS1_11target_archE910ELNS1_3gpuE8ELNS1_3repE0EEENS1_30default_config_static_selectorELNS0_4arch9wavefront6targetE1EEEvT1_,"axG",@progbits,_ZN7rocprim17ROCPRIM_400000_NS6detail17trampoline_kernelINS0_14default_configENS1_20scan_config_selectorIiEEZZNS1_9scan_implILNS1_25lookback_scan_determinismE0ELb0ELb0ES3_N6thrust23THRUST_200600_302600_NS6detail15normal_iteratorINS9_10device_ptrIiEEEESE_i9plus_mod3IiEiEEDaPvRmT3_T4_T5_mT6_P12ihipStream_tbENKUlT_T0_E_clISt17integral_constantIbLb1EEST_IbLb0EEEEDaSP_SQ_EUlSP_E0_NS1_11comp_targetILNS1_3genE4ELNS1_11target_archE910ELNS1_3gpuE8ELNS1_3repE0EEENS1_30default_config_static_selectorELNS0_4arch9wavefront6targetE1EEEvT1_,comdat
.Lfunc_end6653:
	.size	_ZN7rocprim17ROCPRIM_400000_NS6detail17trampoline_kernelINS0_14default_configENS1_20scan_config_selectorIiEEZZNS1_9scan_implILNS1_25lookback_scan_determinismE0ELb0ELb0ES3_N6thrust23THRUST_200600_302600_NS6detail15normal_iteratorINS9_10device_ptrIiEEEESE_i9plus_mod3IiEiEEDaPvRmT3_T4_T5_mT6_P12ihipStream_tbENKUlT_T0_E_clISt17integral_constantIbLb1EEST_IbLb0EEEEDaSP_SQ_EUlSP_E0_NS1_11comp_targetILNS1_3genE4ELNS1_11target_archE910ELNS1_3gpuE8ELNS1_3repE0EEENS1_30default_config_static_selectorELNS0_4arch9wavefront6targetE1EEEvT1_, .Lfunc_end6653-_ZN7rocprim17ROCPRIM_400000_NS6detail17trampoline_kernelINS0_14default_configENS1_20scan_config_selectorIiEEZZNS1_9scan_implILNS1_25lookback_scan_determinismE0ELb0ELb0ES3_N6thrust23THRUST_200600_302600_NS6detail15normal_iteratorINS9_10device_ptrIiEEEESE_i9plus_mod3IiEiEEDaPvRmT3_T4_T5_mT6_P12ihipStream_tbENKUlT_T0_E_clISt17integral_constantIbLb1EEST_IbLb0EEEEDaSP_SQ_EUlSP_E0_NS1_11comp_targetILNS1_3genE4ELNS1_11target_archE910ELNS1_3gpuE8ELNS1_3repE0EEENS1_30default_config_static_selectorELNS0_4arch9wavefront6targetE1EEEvT1_
                                        ; -- End function
	.section	.AMDGPU.csdata,"",@progbits
; Kernel info:
; codeLenInByte = 2736
; NumSgprs: 32
; NumVgprs: 22
; NumAgprs: 0
; TotalNumVgprs: 22
; ScratchSize: 0
; MemoryBound: 0
; FloatMode: 240
; IeeeMode: 1
; LDSByteSize: 5120 bytes/workgroup (compile time only)
; SGPRBlocks: 3
; VGPRBlocks: 2
; NumSGPRsForWavesPerEU: 32
; NumVGPRsForWavesPerEU: 22
; AccumOffset: 24
; Occupancy: 6
; WaveLimiterHint : 1
; COMPUTE_PGM_RSRC2:SCRATCH_EN: 0
; COMPUTE_PGM_RSRC2:USER_SGPR: 6
; COMPUTE_PGM_RSRC2:TRAP_HANDLER: 0
; COMPUTE_PGM_RSRC2:TGID_X_EN: 1
; COMPUTE_PGM_RSRC2:TGID_Y_EN: 0
; COMPUTE_PGM_RSRC2:TGID_Z_EN: 0
; COMPUTE_PGM_RSRC2:TIDIG_COMP_CNT: 0
; COMPUTE_PGM_RSRC3_GFX90A:ACCUM_OFFSET: 5
; COMPUTE_PGM_RSRC3_GFX90A:TG_SPLIT: 0
	.section	.text._ZN7rocprim17ROCPRIM_400000_NS6detail17trampoline_kernelINS0_14default_configENS1_20scan_config_selectorIiEEZZNS1_9scan_implILNS1_25lookback_scan_determinismE0ELb0ELb0ES3_N6thrust23THRUST_200600_302600_NS6detail15normal_iteratorINS9_10device_ptrIiEEEESE_i9plus_mod3IiEiEEDaPvRmT3_T4_T5_mT6_P12ihipStream_tbENKUlT_T0_E_clISt17integral_constantIbLb1EEST_IbLb0EEEEDaSP_SQ_EUlSP_E0_NS1_11comp_targetILNS1_3genE3ELNS1_11target_archE908ELNS1_3gpuE7ELNS1_3repE0EEENS1_30default_config_static_selectorELNS0_4arch9wavefront6targetE1EEEvT1_,"axG",@progbits,_ZN7rocprim17ROCPRIM_400000_NS6detail17trampoline_kernelINS0_14default_configENS1_20scan_config_selectorIiEEZZNS1_9scan_implILNS1_25lookback_scan_determinismE0ELb0ELb0ES3_N6thrust23THRUST_200600_302600_NS6detail15normal_iteratorINS9_10device_ptrIiEEEESE_i9plus_mod3IiEiEEDaPvRmT3_T4_T5_mT6_P12ihipStream_tbENKUlT_T0_E_clISt17integral_constantIbLb1EEST_IbLb0EEEEDaSP_SQ_EUlSP_E0_NS1_11comp_targetILNS1_3genE3ELNS1_11target_archE908ELNS1_3gpuE7ELNS1_3repE0EEENS1_30default_config_static_selectorELNS0_4arch9wavefront6targetE1EEEvT1_,comdat
	.protected	_ZN7rocprim17ROCPRIM_400000_NS6detail17trampoline_kernelINS0_14default_configENS1_20scan_config_selectorIiEEZZNS1_9scan_implILNS1_25lookback_scan_determinismE0ELb0ELb0ES3_N6thrust23THRUST_200600_302600_NS6detail15normal_iteratorINS9_10device_ptrIiEEEESE_i9plus_mod3IiEiEEDaPvRmT3_T4_T5_mT6_P12ihipStream_tbENKUlT_T0_E_clISt17integral_constantIbLb1EEST_IbLb0EEEEDaSP_SQ_EUlSP_E0_NS1_11comp_targetILNS1_3genE3ELNS1_11target_archE908ELNS1_3gpuE7ELNS1_3repE0EEENS1_30default_config_static_selectorELNS0_4arch9wavefront6targetE1EEEvT1_ ; -- Begin function _ZN7rocprim17ROCPRIM_400000_NS6detail17trampoline_kernelINS0_14default_configENS1_20scan_config_selectorIiEEZZNS1_9scan_implILNS1_25lookback_scan_determinismE0ELb0ELb0ES3_N6thrust23THRUST_200600_302600_NS6detail15normal_iteratorINS9_10device_ptrIiEEEESE_i9plus_mod3IiEiEEDaPvRmT3_T4_T5_mT6_P12ihipStream_tbENKUlT_T0_E_clISt17integral_constantIbLb1EEST_IbLb0EEEEDaSP_SQ_EUlSP_E0_NS1_11comp_targetILNS1_3genE3ELNS1_11target_archE908ELNS1_3gpuE7ELNS1_3repE0EEENS1_30default_config_static_selectorELNS0_4arch9wavefront6targetE1EEEvT1_
	.globl	_ZN7rocprim17ROCPRIM_400000_NS6detail17trampoline_kernelINS0_14default_configENS1_20scan_config_selectorIiEEZZNS1_9scan_implILNS1_25lookback_scan_determinismE0ELb0ELb0ES3_N6thrust23THRUST_200600_302600_NS6detail15normal_iteratorINS9_10device_ptrIiEEEESE_i9plus_mod3IiEiEEDaPvRmT3_T4_T5_mT6_P12ihipStream_tbENKUlT_T0_E_clISt17integral_constantIbLb1EEST_IbLb0EEEEDaSP_SQ_EUlSP_E0_NS1_11comp_targetILNS1_3genE3ELNS1_11target_archE908ELNS1_3gpuE7ELNS1_3repE0EEENS1_30default_config_static_selectorELNS0_4arch9wavefront6targetE1EEEvT1_
	.p2align	8
	.type	_ZN7rocprim17ROCPRIM_400000_NS6detail17trampoline_kernelINS0_14default_configENS1_20scan_config_selectorIiEEZZNS1_9scan_implILNS1_25lookback_scan_determinismE0ELb0ELb0ES3_N6thrust23THRUST_200600_302600_NS6detail15normal_iteratorINS9_10device_ptrIiEEEESE_i9plus_mod3IiEiEEDaPvRmT3_T4_T5_mT6_P12ihipStream_tbENKUlT_T0_E_clISt17integral_constantIbLb1EEST_IbLb0EEEEDaSP_SQ_EUlSP_E0_NS1_11comp_targetILNS1_3genE3ELNS1_11target_archE908ELNS1_3gpuE7ELNS1_3repE0EEENS1_30default_config_static_selectorELNS0_4arch9wavefront6targetE1EEEvT1_,@function
_ZN7rocprim17ROCPRIM_400000_NS6detail17trampoline_kernelINS0_14default_configENS1_20scan_config_selectorIiEEZZNS1_9scan_implILNS1_25lookback_scan_determinismE0ELb0ELb0ES3_N6thrust23THRUST_200600_302600_NS6detail15normal_iteratorINS9_10device_ptrIiEEEESE_i9plus_mod3IiEiEEDaPvRmT3_T4_T5_mT6_P12ihipStream_tbENKUlT_T0_E_clISt17integral_constantIbLb1EEST_IbLb0EEEEDaSP_SQ_EUlSP_E0_NS1_11comp_targetILNS1_3genE3ELNS1_11target_archE908ELNS1_3gpuE7ELNS1_3repE0EEENS1_30default_config_static_selectorELNS0_4arch9wavefront6targetE1EEEvT1_: ; @_ZN7rocprim17ROCPRIM_400000_NS6detail17trampoline_kernelINS0_14default_configENS1_20scan_config_selectorIiEEZZNS1_9scan_implILNS1_25lookback_scan_determinismE0ELb0ELb0ES3_N6thrust23THRUST_200600_302600_NS6detail15normal_iteratorINS9_10device_ptrIiEEEESE_i9plus_mod3IiEiEEDaPvRmT3_T4_T5_mT6_P12ihipStream_tbENKUlT_T0_E_clISt17integral_constantIbLb1EEST_IbLb0EEEEDaSP_SQ_EUlSP_E0_NS1_11comp_targetILNS1_3genE3ELNS1_11target_archE908ELNS1_3gpuE7ELNS1_3repE0EEENS1_30default_config_static_selectorELNS0_4arch9wavefront6targetE1EEEvT1_
; %bb.0:
	.section	.rodata,"a",@progbits
	.p2align	6, 0x0
	.amdhsa_kernel _ZN7rocprim17ROCPRIM_400000_NS6detail17trampoline_kernelINS0_14default_configENS1_20scan_config_selectorIiEEZZNS1_9scan_implILNS1_25lookback_scan_determinismE0ELb0ELb0ES3_N6thrust23THRUST_200600_302600_NS6detail15normal_iteratorINS9_10device_ptrIiEEEESE_i9plus_mod3IiEiEEDaPvRmT3_T4_T5_mT6_P12ihipStream_tbENKUlT_T0_E_clISt17integral_constantIbLb1EEST_IbLb0EEEEDaSP_SQ_EUlSP_E0_NS1_11comp_targetILNS1_3genE3ELNS1_11target_archE908ELNS1_3gpuE7ELNS1_3repE0EEENS1_30default_config_static_selectorELNS0_4arch9wavefront6targetE1EEEvT1_
		.amdhsa_group_segment_fixed_size 0
		.amdhsa_private_segment_fixed_size 0
		.amdhsa_kernarg_size 40
		.amdhsa_user_sgpr_count 6
		.amdhsa_user_sgpr_private_segment_buffer 1
		.amdhsa_user_sgpr_dispatch_ptr 0
		.amdhsa_user_sgpr_queue_ptr 0
		.amdhsa_user_sgpr_kernarg_segment_ptr 1
		.amdhsa_user_sgpr_dispatch_id 0
		.amdhsa_user_sgpr_flat_scratch_init 0
		.amdhsa_user_sgpr_kernarg_preload_length 0
		.amdhsa_user_sgpr_kernarg_preload_offset 0
		.amdhsa_user_sgpr_private_segment_size 0
		.amdhsa_uses_dynamic_stack 0
		.amdhsa_system_sgpr_private_segment_wavefront_offset 0
		.amdhsa_system_sgpr_workgroup_id_x 1
		.amdhsa_system_sgpr_workgroup_id_y 0
		.amdhsa_system_sgpr_workgroup_id_z 0
		.amdhsa_system_sgpr_workgroup_info 0
		.amdhsa_system_vgpr_workitem_id 0
		.amdhsa_next_free_vgpr 1
		.amdhsa_next_free_sgpr 0
		.amdhsa_accum_offset 4
		.amdhsa_reserve_vcc 0
		.amdhsa_reserve_flat_scratch 0
		.amdhsa_float_round_mode_32 0
		.amdhsa_float_round_mode_16_64 0
		.amdhsa_float_denorm_mode_32 3
		.amdhsa_float_denorm_mode_16_64 3
		.amdhsa_dx10_clamp 1
		.amdhsa_ieee_mode 1
		.amdhsa_fp16_overflow 0
		.amdhsa_tg_split 0
		.amdhsa_exception_fp_ieee_invalid_op 0
		.amdhsa_exception_fp_denorm_src 0
		.amdhsa_exception_fp_ieee_div_zero 0
		.amdhsa_exception_fp_ieee_overflow 0
		.amdhsa_exception_fp_ieee_underflow 0
		.amdhsa_exception_fp_ieee_inexact 0
		.amdhsa_exception_int_div_zero 0
	.end_amdhsa_kernel
	.section	.text._ZN7rocprim17ROCPRIM_400000_NS6detail17trampoline_kernelINS0_14default_configENS1_20scan_config_selectorIiEEZZNS1_9scan_implILNS1_25lookback_scan_determinismE0ELb0ELb0ES3_N6thrust23THRUST_200600_302600_NS6detail15normal_iteratorINS9_10device_ptrIiEEEESE_i9plus_mod3IiEiEEDaPvRmT3_T4_T5_mT6_P12ihipStream_tbENKUlT_T0_E_clISt17integral_constantIbLb1EEST_IbLb0EEEEDaSP_SQ_EUlSP_E0_NS1_11comp_targetILNS1_3genE3ELNS1_11target_archE908ELNS1_3gpuE7ELNS1_3repE0EEENS1_30default_config_static_selectorELNS0_4arch9wavefront6targetE1EEEvT1_,"axG",@progbits,_ZN7rocprim17ROCPRIM_400000_NS6detail17trampoline_kernelINS0_14default_configENS1_20scan_config_selectorIiEEZZNS1_9scan_implILNS1_25lookback_scan_determinismE0ELb0ELb0ES3_N6thrust23THRUST_200600_302600_NS6detail15normal_iteratorINS9_10device_ptrIiEEEESE_i9plus_mod3IiEiEEDaPvRmT3_T4_T5_mT6_P12ihipStream_tbENKUlT_T0_E_clISt17integral_constantIbLb1EEST_IbLb0EEEEDaSP_SQ_EUlSP_E0_NS1_11comp_targetILNS1_3genE3ELNS1_11target_archE908ELNS1_3gpuE7ELNS1_3repE0EEENS1_30default_config_static_selectorELNS0_4arch9wavefront6targetE1EEEvT1_,comdat
.Lfunc_end6654:
	.size	_ZN7rocprim17ROCPRIM_400000_NS6detail17trampoline_kernelINS0_14default_configENS1_20scan_config_selectorIiEEZZNS1_9scan_implILNS1_25lookback_scan_determinismE0ELb0ELb0ES3_N6thrust23THRUST_200600_302600_NS6detail15normal_iteratorINS9_10device_ptrIiEEEESE_i9plus_mod3IiEiEEDaPvRmT3_T4_T5_mT6_P12ihipStream_tbENKUlT_T0_E_clISt17integral_constantIbLb1EEST_IbLb0EEEEDaSP_SQ_EUlSP_E0_NS1_11comp_targetILNS1_3genE3ELNS1_11target_archE908ELNS1_3gpuE7ELNS1_3repE0EEENS1_30default_config_static_selectorELNS0_4arch9wavefront6targetE1EEEvT1_, .Lfunc_end6654-_ZN7rocprim17ROCPRIM_400000_NS6detail17trampoline_kernelINS0_14default_configENS1_20scan_config_selectorIiEEZZNS1_9scan_implILNS1_25lookback_scan_determinismE0ELb0ELb0ES3_N6thrust23THRUST_200600_302600_NS6detail15normal_iteratorINS9_10device_ptrIiEEEESE_i9plus_mod3IiEiEEDaPvRmT3_T4_T5_mT6_P12ihipStream_tbENKUlT_T0_E_clISt17integral_constantIbLb1EEST_IbLb0EEEEDaSP_SQ_EUlSP_E0_NS1_11comp_targetILNS1_3genE3ELNS1_11target_archE908ELNS1_3gpuE7ELNS1_3repE0EEENS1_30default_config_static_selectorELNS0_4arch9wavefront6targetE1EEEvT1_
                                        ; -- End function
	.section	.AMDGPU.csdata,"",@progbits
; Kernel info:
; codeLenInByte = 0
; NumSgprs: 4
; NumVgprs: 0
; NumAgprs: 0
; TotalNumVgprs: 0
; ScratchSize: 0
; MemoryBound: 0
; FloatMode: 240
; IeeeMode: 1
; LDSByteSize: 0 bytes/workgroup (compile time only)
; SGPRBlocks: 0
; VGPRBlocks: 0
; NumSGPRsForWavesPerEU: 4
; NumVGPRsForWavesPerEU: 1
; AccumOffset: 4
; Occupancy: 8
; WaveLimiterHint : 0
; COMPUTE_PGM_RSRC2:SCRATCH_EN: 0
; COMPUTE_PGM_RSRC2:USER_SGPR: 6
; COMPUTE_PGM_RSRC2:TRAP_HANDLER: 0
; COMPUTE_PGM_RSRC2:TGID_X_EN: 1
; COMPUTE_PGM_RSRC2:TGID_Y_EN: 0
; COMPUTE_PGM_RSRC2:TGID_Z_EN: 0
; COMPUTE_PGM_RSRC2:TIDIG_COMP_CNT: 0
; COMPUTE_PGM_RSRC3_GFX90A:ACCUM_OFFSET: 0
; COMPUTE_PGM_RSRC3_GFX90A:TG_SPLIT: 0
	.section	.text._ZN7rocprim17ROCPRIM_400000_NS6detail17trampoline_kernelINS0_14default_configENS1_20scan_config_selectorIiEEZZNS1_9scan_implILNS1_25lookback_scan_determinismE0ELb0ELb0ES3_N6thrust23THRUST_200600_302600_NS6detail15normal_iteratorINS9_10device_ptrIiEEEESE_i9plus_mod3IiEiEEDaPvRmT3_T4_T5_mT6_P12ihipStream_tbENKUlT_T0_E_clISt17integral_constantIbLb1EEST_IbLb0EEEEDaSP_SQ_EUlSP_E0_NS1_11comp_targetILNS1_3genE2ELNS1_11target_archE906ELNS1_3gpuE6ELNS1_3repE0EEENS1_30default_config_static_selectorELNS0_4arch9wavefront6targetE1EEEvT1_,"axG",@progbits,_ZN7rocprim17ROCPRIM_400000_NS6detail17trampoline_kernelINS0_14default_configENS1_20scan_config_selectorIiEEZZNS1_9scan_implILNS1_25lookback_scan_determinismE0ELb0ELb0ES3_N6thrust23THRUST_200600_302600_NS6detail15normal_iteratorINS9_10device_ptrIiEEEESE_i9plus_mod3IiEiEEDaPvRmT3_T4_T5_mT6_P12ihipStream_tbENKUlT_T0_E_clISt17integral_constantIbLb1EEST_IbLb0EEEEDaSP_SQ_EUlSP_E0_NS1_11comp_targetILNS1_3genE2ELNS1_11target_archE906ELNS1_3gpuE6ELNS1_3repE0EEENS1_30default_config_static_selectorELNS0_4arch9wavefront6targetE1EEEvT1_,comdat
	.protected	_ZN7rocprim17ROCPRIM_400000_NS6detail17trampoline_kernelINS0_14default_configENS1_20scan_config_selectorIiEEZZNS1_9scan_implILNS1_25lookback_scan_determinismE0ELb0ELb0ES3_N6thrust23THRUST_200600_302600_NS6detail15normal_iteratorINS9_10device_ptrIiEEEESE_i9plus_mod3IiEiEEDaPvRmT3_T4_T5_mT6_P12ihipStream_tbENKUlT_T0_E_clISt17integral_constantIbLb1EEST_IbLb0EEEEDaSP_SQ_EUlSP_E0_NS1_11comp_targetILNS1_3genE2ELNS1_11target_archE906ELNS1_3gpuE6ELNS1_3repE0EEENS1_30default_config_static_selectorELNS0_4arch9wavefront6targetE1EEEvT1_ ; -- Begin function _ZN7rocprim17ROCPRIM_400000_NS6detail17trampoline_kernelINS0_14default_configENS1_20scan_config_selectorIiEEZZNS1_9scan_implILNS1_25lookback_scan_determinismE0ELb0ELb0ES3_N6thrust23THRUST_200600_302600_NS6detail15normal_iteratorINS9_10device_ptrIiEEEESE_i9plus_mod3IiEiEEDaPvRmT3_T4_T5_mT6_P12ihipStream_tbENKUlT_T0_E_clISt17integral_constantIbLb1EEST_IbLb0EEEEDaSP_SQ_EUlSP_E0_NS1_11comp_targetILNS1_3genE2ELNS1_11target_archE906ELNS1_3gpuE6ELNS1_3repE0EEENS1_30default_config_static_selectorELNS0_4arch9wavefront6targetE1EEEvT1_
	.globl	_ZN7rocprim17ROCPRIM_400000_NS6detail17trampoline_kernelINS0_14default_configENS1_20scan_config_selectorIiEEZZNS1_9scan_implILNS1_25lookback_scan_determinismE0ELb0ELb0ES3_N6thrust23THRUST_200600_302600_NS6detail15normal_iteratorINS9_10device_ptrIiEEEESE_i9plus_mod3IiEiEEDaPvRmT3_T4_T5_mT6_P12ihipStream_tbENKUlT_T0_E_clISt17integral_constantIbLb1EEST_IbLb0EEEEDaSP_SQ_EUlSP_E0_NS1_11comp_targetILNS1_3genE2ELNS1_11target_archE906ELNS1_3gpuE6ELNS1_3repE0EEENS1_30default_config_static_selectorELNS0_4arch9wavefront6targetE1EEEvT1_
	.p2align	8
	.type	_ZN7rocprim17ROCPRIM_400000_NS6detail17trampoline_kernelINS0_14default_configENS1_20scan_config_selectorIiEEZZNS1_9scan_implILNS1_25lookback_scan_determinismE0ELb0ELb0ES3_N6thrust23THRUST_200600_302600_NS6detail15normal_iteratorINS9_10device_ptrIiEEEESE_i9plus_mod3IiEiEEDaPvRmT3_T4_T5_mT6_P12ihipStream_tbENKUlT_T0_E_clISt17integral_constantIbLb1EEST_IbLb0EEEEDaSP_SQ_EUlSP_E0_NS1_11comp_targetILNS1_3genE2ELNS1_11target_archE906ELNS1_3gpuE6ELNS1_3repE0EEENS1_30default_config_static_selectorELNS0_4arch9wavefront6targetE1EEEvT1_,@function
_ZN7rocprim17ROCPRIM_400000_NS6detail17trampoline_kernelINS0_14default_configENS1_20scan_config_selectorIiEEZZNS1_9scan_implILNS1_25lookback_scan_determinismE0ELb0ELb0ES3_N6thrust23THRUST_200600_302600_NS6detail15normal_iteratorINS9_10device_ptrIiEEEESE_i9plus_mod3IiEiEEDaPvRmT3_T4_T5_mT6_P12ihipStream_tbENKUlT_T0_E_clISt17integral_constantIbLb1EEST_IbLb0EEEEDaSP_SQ_EUlSP_E0_NS1_11comp_targetILNS1_3genE2ELNS1_11target_archE906ELNS1_3gpuE6ELNS1_3repE0EEENS1_30default_config_static_selectorELNS0_4arch9wavefront6targetE1EEEvT1_: ; @_ZN7rocprim17ROCPRIM_400000_NS6detail17trampoline_kernelINS0_14default_configENS1_20scan_config_selectorIiEEZZNS1_9scan_implILNS1_25lookback_scan_determinismE0ELb0ELb0ES3_N6thrust23THRUST_200600_302600_NS6detail15normal_iteratorINS9_10device_ptrIiEEEESE_i9plus_mod3IiEiEEDaPvRmT3_T4_T5_mT6_P12ihipStream_tbENKUlT_T0_E_clISt17integral_constantIbLb1EEST_IbLb0EEEEDaSP_SQ_EUlSP_E0_NS1_11comp_targetILNS1_3genE2ELNS1_11target_archE906ELNS1_3gpuE6ELNS1_3repE0EEENS1_30default_config_static_selectorELNS0_4arch9wavefront6targetE1EEEvT1_
; %bb.0:
	.section	.rodata,"a",@progbits
	.p2align	6, 0x0
	.amdhsa_kernel _ZN7rocprim17ROCPRIM_400000_NS6detail17trampoline_kernelINS0_14default_configENS1_20scan_config_selectorIiEEZZNS1_9scan_implILNS1_25lookback_scan_determinismE0ELb0ELb0ES3_N6thrust23THRUST_200600_302600_NS6detail15normal_iteratorINS9_10device_ptrIiEEEESE_i9plus_mod3IiEiEEDaPvRmT3_T4_T5_mT6_P12ihipStream_tbENKUlT_T0_E_clISt17integral_constantIbLb1EEST_IbLb0EEEEDaSP_SQ_EUlSP_E0_NS1_11comp_targetILNS1_3genE2ELNS1_11target_archE906ELNS1_3gpuE6ELNS1_3repE0EEENS1_30default_config_static_selectorELNS0_4arch9wavefront6targetE1EEEvT1_
		.amdhsa_group_segment_fixed_size 0
		.amdhsa_private_segment_fixed_size 0
		.amdhsa_kernarg_size 40
		.amdhsa_user_sgpr_count 6
		.amdhsa_user_sgpr_private_segment_buffer 1
		.amdhsa_user_sgpr_dispatch_ptr 0
		.amdhsa_user_sgpr_queue_ptr 0
		.amdhsa_user_sgpr_kernarg_segment_ptr 1
		.amdhsa_user_sgpr_dispatch_id 0
		.amdhsa_user_sgpr_flat_scratch_init 0
		.amdhsa_user_sgpr_kernarg_preload_length 0
		.amdhsa_user_sgpr_kernarg_preload_offset 0
		.amdhsa_user_sgpr_private_segment_size 0
		.amdhsa_uses_dynamic_stack 0
		.amdhsa_system_sgpr_private_segment_wavefront_offset 0
		.amdhsa_system_sgpr_workgroup_id_x 1
		.amdhsa_system_sgpr_workgroup_id_y 0
		.amdhsa_system_sgpr_workgroup_id_z 0
		.amdhsa_system_sgpr_workgroup_info 0
		.amdhsa_system_vgpr_workitem_id 0
		.amdhsa_next_free_vgpr 1
		.amdhsa_next_free_sgpr 0
		.amdhsa_accum_offset 4
		.amdhsa_reserve_vcc 0
		.amdhsa_reserve_flat_scratch 0
		.amdhsa_float_round_mode_32 0
		.amdhsa_float_round_mode_16_64 0
		.amdhsa_float_denorm_mode_32 3
		.amdhsa_float_denorm_mode_16_64 3
		.amdhsa_dx10_clamp 1
		.amdhsa_ieee_mode 1
		.amdhsa_fp16_overflow 0
		.amdhsa_tg_split 0
		.amdhsa_exception_fp_ieee_invalid_op 0
		.amdhsa_exception_fp_denorm_src 0
		.amdhsa_exception_fp_ieee_div_zero 0
		.amdhsa_exception_fp_ieee_overflow 0
		.amdhsa_exception_fp_ieee_underflow 0
		.amdhsa_exception_fp_ieee_inexact 0
		.amdhsa_exception_int_div_zero 0
	.end_amdhsa_kernel
	.section	.text._ZN7rocprim17ROCPRIM_400000_NS6detail17trampoline_kernelINS0_14default_configENS1_20scan_config_selectorIiEEZZNS1_9scan_implILNS1_25lookback_scan_determinismE0ELb0ELb0ES3_N6thrust23THRUST_200600_302600_NS6detail15normal_iteratorINS9_10device_ptrIiEEEESE_i9plus_mod3IiEiEEDaPvRmT3_T4_T5_mT6_P12ihipStream_tbENKUlT_T0_E_clISt17integral_constantIbLb1EEST_IbLb0EEEEDaSP_SQ_EUlSP_E0_NS1_11comp_targetILNS1_3genE2ELNS1_11target_archE906ELNS1_3gpuE6ELNS1_3repE0EEENS1_30default_config_static_selectorELNS0_4arch9wavefront6targetE1EEEvT1_,"axG",@progbits,_ZN7rocprim17ROCPRIM_400000_NS6detail17trampoline_kernelINS0_14default_configENS1_20scan_config_selectorIiEEZZNS1_9scan_implILNS1_25lookback_scan_determinismE0ELb0ELb0ES3_N6thrust23THRUST_200600_302600_NS6detail15normal_iteratorINS9_10device_ptrIiEEEESE_i9plus_mod3IiEiEEDaPvRmT3_T4_T5_mT6_P12ihipStream_tbENKUlT_T0_E_clISt17integral_constantIbLb1EEST_IbLb0EEEEDaSP_SQ_EUlSP_E0_NS1_11comp_targetILNS1_3genE2ELNS1_11target_archE906ELNS1_3gpuE6ELNS1_3repE0EEENS1_30default_config_static_selectorELNS0_4arch9wavefront6targetE1EEEvT1_,comdat
.Lfunc_end6655:
	.size	_ZN7rocprim17ROCPRIM_400000_NS6detail17trampoline_kernelINS0_14default_configENS1_20scan_config_selectorIiEEZZNS1_9scan_implILNS1_25lookback_scan_determinismE0ELb0ELb0ES3_N6thrust23THRUST_200600_302600_NS6detail15normal_iteratorINS9_10device_ptrIiEEEESE_i9plus_mod3IiEiEEDaPvRmT3_T4_T5_mT6_P12ihipStream_tbENKUlT_T0_E_clISt17integral_constantIbLb1EEST_IbLb0EEEEDaSP_SQ_EUlSP_E0_NS1_11comp_targetILNS1_3genE2ELNS1_11target_archE906ELNS1_3gpuE6ELNS1_3repE0EEENS1_30default_config_static_selectorELNS0_4arch9wavefront6targetE1EEEvT1_, .Lfunc_end6655-_ZN7rocprim17ROCPRIM_400000_NS6detail17trampoline_kernelINS0_14default_configENS1_20scan_config_selectorIiEEZZNS1_9scan_implILNS1_25lookback_scan_determinismE0ELb0ELb0ES3_N6thrust23THRUST_200600_302600_NS6detail15normal_iteratorINS9_10device_ptrIiEEEESE_i9plus_mod3IiEiEEDaPvRmT3_T4_T5_mT6_P12ihipStream_tbENKUlT_T0_E_clISt17integral_constantIbLb1EEST_IbLb0EEEEDaSP_SQ_EUlSP_E0_NS1_11comp_targetILNS1_3genE2ELNS1_11target_archE906ELNS1_3gpuE6ELNS1_3repE0EEENS1_30default_config_static_selectorELNS0_4arch9wavefront6targetE1EEEvT1_
                                        ; -- End function
	.section	.AMDGPU.csdata,"",@progbits
; Kernel info:
; codeLenInByte = 0
; NumSgprs: 4
; NumVgprs: 0
; NumAgprs: 0
; TotalNumVgprs: 0
; ScratchSize: 0
; MemoryBound: 0
; FloatMode: 240
; IeeeMode: 1
; LDSByteSize: 0 bytes/workgroup (compile time only)
; SGPRBlocks: 0
; VGPRBlocks: 0
; NumSGPRsForWavesPerEU: 4
; NumVGPRsForWavesPerEU: 1
; AccumOffset: 4
; Occupancy: 8
; WaveLimiterHint : 0
; COMPUTE_PGM_RSRC2:SCRATCH_EN: 0
; COMPUTE_PGM_RSRC2:USER_SGPR: 6
; COMPUTE_PGM_RSRC2:TRAP_HANDLER: 0
; COMPUTE_PGM_RSRC2:TGID_X_EN: 1
; COMPUTE_PGM_RSRC2:TGID_Y_EN: 0
; COMPUTE_PGM_RSRC2:TGID_Z_EN: 0
; COMPUTE_PGM_RSRC2:TIDIG_COMP_CNT: 0
; COMPUTE_PGM_RSRC3_GFX90A:ACCUM_OFFSET: 0
; COMPUTE_PGM_RSRC3_GFX90A:TG_SPLIT: 0
	.section	.text._ZN7rocprim17ROCPRIM_400000_NS6detail17trampoline_kernelINS0_14default_configENS1_20scan_config_selectorIiEEZZNS1_9scan_implILNS1_25lookback_scan_determinismE0ELb0ELb0ES3_N6thrust23THRUST_200600_302600_NS6detail15normal_iteratorINS9_10device_ptrIiEEEESE_i9plus_mod3IiEiEEDaPvRmT3_T4_T5_mT6_P12ihipStream_tbENKUlT_T0_E_clISt17integral_constantIbLb1EEST_IbLb0EEEEDaSP_SQ_EUlSP_E0_NS1_11comp_targetILNS1_3genE10ELNS1_11target_archE1201ELNS1_3gpuE5ELNS1_3repE0EEENS1_30default_config_static_selectorELNS0_4arch9wavefront6targetE1EEEvT1_,"axG",@progbits,_ZN7rocprim17ROCPRIM_400000_NS6detail17trampoline_kernelINS0_14default_configENS1_20scan_config_selectorIiEEZZNS1_9scan_implILNS1_25lookback_scan_determinismE0ELb0ELb0ES3_N6thrust23THRUST_200600_302600_NS6detail15normal_iteratorINS9_10device_ptrIiEEEESE_i9plus_mod3IiEiEEDaPvRmT3_T4_T5_mT6_P12ihipStream_tbENKUlT_T0_E_clISt17integral_constantIbLb1EEST_IbLb0EEEEDaSP_SQ_EUlSP_E0_NS1_11comp_targetILNS1_3genE10ELNS1_11target_archE1201ELNS1_3gpuE5ELNS1_3repE0EEENS1_30default_config_static_selectorELNS0_4arch9wavefront6targetE1EEEvT1_,comdat
	.protected	_ZN7rocprim17ROCPRIM_400000_NS6detail17trampoline_kernelINS0_14default_configENS1_20scan_config_selectorIiEEZZNS1_9scan_implILNS1_25lookback_scan_determinismE0ELb0ELb0ES3_N6thrust23THRUST_200600_302600_NS6detail15normal_iteratorINS9_10device_ptrIiEEEESE_i9plus_mod3IiEiEEDaPvRmT3_T4_T5_mT6_P12ihipStream_tbENKUlT_T0_E_clISt17integral_constantIbLb1EEST_IbLb0EEEEDaSP_SQ_EUlSP_E0_NS1_11comp_targetILNS1_3genE10ELNS1_11target_archE1201ELNS1_3gpuE5ELNS1_3repE0EEENS1_30default_config_static_selectorELNS0_4arch9wavefront6targetE1EEEvT1_ ; -- Begin function _ZN7rocprim17ROCPRIM_400000_NS6detail17trampoline_kernelINS0_14default_configENS1_20scan_config_selectorIiEEZZNS1_9scan_implILNS1_25lookback_scan_determinismE0ELb0ELb0ES3_N6thrust23THRUST_200600_302600_NS6detail15normal_iteratorINS9_10device_ptrIiEEEESE_i9plus_mod3IiEiEEDaPvRmT3_T4_T5_mT6_P12ihipStream_tbENKUlT_T0_E_clISt17integral_constantIbLb1EEST_IbLb0EEEEDaSP_SQ_EUlSP_E0_NS1_11comp_targetILNS1_3genE10ELNS1_11target_archE1201ELNS1_3gpuE5ELNS1_3repE0EEENS1_30default_config_static_selectorELNS0_4arch9wavefront6targetE1EEEvT1_
	.globl	_ZN7rocprim17ROCPRIM_400000_NS6detail17trampoline_kernelINS0_14default_configENS1_20scan_config_selectorIiEEZZNS1_9scan_implILNS1_25lookback_scan_determinismE0ELb0ELb0ES3_N6thrust23THRUST_200600_302600_NS6detail15normal_iteratorINS9_10device_ptrIiEEEESE_i9plus_mod3IiEiEEDaPvRmT3_T4_T5_mT6_P12ihipStream_tbENKUlT_T0_E_clISt17integral_constantIbLb1EEST_IbLb0EEEEDaSP_SQ_EUlSP_E0_NS1_11comp_targetILNS1_3genE10ELNS1_11target_archE1201ELNS1_3gpuE5ELNS1_3repE0EEENS1_30default_config_static_selectorELNS0_4arch9wavefront6targetE1EEEvT1_
	.p2align	8
	.type	_ZN7rocprim17ROCPRIM_400000_NS6detail17trampoline_kernelINS0_14default_configENS1_20scan_config_selectorIiEEZZNS1_9scan_implILNS1_25lookback_scan_determinismE0ELb0ELb0ES3_N6thrust23THRUST_200600_302600_NS6detail15normal_iteratorINS9_10device_ptrIiEEEESE_i9plus_mod3IiEiEEDaPvRmT3_T4_T5_mT6_P12ihipStream_tbENKUlT_T0_E_clISt17integral_constantIbLb1EEST_IbLb0EEEEDaSP_SQ_EUlSP_E0_NS1_11comp_targetILNS1_3genE10ELNS1_11target_archE1201ELNS1_3gpuE5ELNS1_3repE0EEENS1_30default_config_static_selectorELNS0_4arch9wavefront6targetE1EEEvT1_,@function
_ZN7rocprim17ROCPRIM_400000_NS6detail17trampoline_kernelINS0_14default_configENS1_20scan_config_selectorIiEEZZNS1_9scan_implILNS1_25lookback_scan_determinismE0ELb0ELb0ES3_N6thrust23THRUST_200600_302600_NS6detail15normal_iteratorINS9_10device_ptrIiEEEESE_i9plus_mod3IiEiEEDaPvRmT3_T4_T5_mT6_P12ihipStream_tbENKUlT_T0_E_clISt17integral_constantIbLb1EEST_IbLb0EEEEDaSP_SQ_EUlSP_E0_NS1_11comp_targetILNS1_3genE10ELNS1_11target_archE1201ELNS1_3gpuE5ELNS1_3repE0EEENS1_30default_config_static_selectorELNS0_4arch9wavefront6targetE1EEEvT1_: ; @_ZN7rocprim17ROCPRIM_400000_NS6detail17trampoline_kernelINS0_14default_configENS1_20scan_config_selectorIiEEZZNS1_9scan_implILNS1_25lookback_scan_determinismE0ELb0ELb0ES3_N6thrust23THRUST_200600_302600_NS6detail15normal_iteratorINS9_10device_ptrIiEEEESE_i9plus_mod3IiEiEEDaPvRmT3_T4_T5_mT6_P12ihipStream_tbENKUlT_T0_E_clISt17integral_constantIbLb1EEST_IbLb0EEEEDaSP_SQ_EUlSP_E0_NS1_11comp_targetILNS1_3genE10ELNS1_11target_archE1201ELNS1_3gpuE5ELNS1_3repE0EEENS1_30default_config_static_selectorELNS0_4arch9wavefront6targetE1EEEvT1_
; %bb.0:
	.section	.rodata,"a",@progbits
	.p2align	6, 0x0
	.amdhsa_kernel _ZN7rocprim17ROCPRIM_400000_NS6detail17trampoline_kernelINS0_14default_configENS1_20scan_config_selectorIiEEZZNS1_9scan_implILNS1_25lookback_scan_determinismE0ELb0ELb0ES3_N6thrust23THRUST_200600_302600_NS6detail15normal_iteratorINS9_10device_ptrIiEEEESE_i9plus_mod3IiEiEEDaPvRmT3_T4_T5_mT6_P12ihipStream_tbENKUlT_T0_E_clISt17integral_constantIbLb1EEST_IbLb0EEEEDaSP_SQ_EUlSP_E0_NS1_11comp_targetILNS1_3genE10ELNS1_11target_archE1201ELNS1_3gpuE5ELNS1_3repE0EEENS1_30default_config_static_selectorELNS0_4arch9wavefront6targetE1EEEvT1_
		.amdhsa_group_segment_fixed_size 0
		.amdhsa_private_segment_fixed_size 0
		.amdhsa_kernarg_size 40
		.amdhsa_user_sgpr_count 6
		.amdhsa_user_sgpr_private_segment_buffer 1
		.amdhsa_user_sgpr_dispatch_ptr 0
		.amdhsa_user_sgpr_queue_ptr 0
		.amdhsa_user_sgpr_kernarg_segment_ptr 1
		.amdhsa_user_sgpr_dispatch_id 0
		.amdhsa_user_sgpr_flat_scratch_init 0
		.amdhsa_user_sgpr_kernarg_preload_length 0
		.amdhsa_user_sgpr_kernarg_preload_offset 0
		.amdhsa_user_sgpr_private_segment_size 0
		.amdhsa_uses_dynamic_stack 0
		.amdhsa_system_sgpr_private_segment_wavefront_offset 0
		.amdhsa_system_sgpr_workgroup_id_x 1
		.amdhsa_system_sgpr_workgroup_id_y 0
		.amdhsa_system_sgpr_workgroup_id_z 0
		.amdhsa_system_sgpr_workgroup_info 0
		.amdhsa_system_vgpr_workitem_id 0
		.amdhsa_next_free_vgpr 1
		.amdhsa_next_free_sgpr 0
		.amdhsa_accum_offset 4
		.amdhsa_reserve_vcc 0
		.amdhsa_reserve_flat_scratch 0
		.amdhsa_float_round_mode_32 0
		.amdhsa_float_round_mode_16_64 0
		.amdhsa_float_denorm_mode_32 3
		.amdhsa_float_denorm_mode_16_64 3
		.amdhsa_dx10_clamp 1
		.amdhsa_ieee_mode 1
		.amdhsa_fp16_overflow 0
		.amdhsa_tg_split 0
		.amdhsa_exception_fp_ieee_invalid_op 0
		.amdhsa_exception_fp_denorm_src 0
		.amdhsa_exception_fp_ieee_div_zero 0
		.amdhsa_exception_fp_ieee_overflow 0
		.amdhsa_exception_fp_ieee_underflow 0
		.amdhsa_exception_fp_ieee_inexact 0
		.amdhsa_exception_int_div_zero 0
	.end_amdhsa_kernel
	.section	.text._ZN7rocprim17ROCPRIM_400000_NS6detail17trampoline_kernelINS0_14default_configENS1_20scan_config_selectorIiEEZZNS1_9scan_implILNS1_25lookback_scan_determinismE0ELb0ELb0ES3_N6thrust23THRUST_200600_302600_NS6detail15normal_iteratorINS9_10device_ptrIiEEEESE_i9plus_mod3IiEiEEDaPvRmT3_T4_T5_mT6_P12ihipStream_tbENKUlT_T0_E_clISt17integral_constantIbLb1EEST_IbLb0EEEEDaSP_SQ_EUlSP_E0_NS1_11comp_targetILNS1_3genE10ELNS1_11target_archE1201ELNS1_3gpuE5ELNS1_3repE0EEENS1_30default_config_static_selectorELNS0_4arch9wavefront6targetE1EEEvT1_,"axG",@progbits,_ZN7rocprim17ROCPRIM_400000_NS6detail17trampoline_kernelINS0_14default_configENS1_20scan_config_selectorIiEEZZNS1_9scan_implILNS1_25lookback_scan_determinismE0ELb0ELb0ES3_N6thrust23THRUST_200600_302600_NS6detail15normal_iteratorINS9_10device_ptrIiEEEESE_i9plus_mod3IiEiEEDaPvRmT3_T4_T5_mT6_P12ihipStream_tbENKUlT_T0_E_clISt17integral_constantIbLb1EEST_IbLb0EEEEDaSP_SQ_EUlSP_E0_NS1_11comp_targetILNS1_3genE10ELNS1_11target_archE1201ELNS1_3gpuE5ELNS1_3repE0EEENS1_30default_config_static_selectorELNS0_4arch9wavefront6targetE1EEEvT1_,comdat
.Lfunc_end6656:
	.size	_ZN7rocprim17ROCPRIM_400000_NS6detail17trampoline_kernelINS0_14default_configENS1_20scan_config_selectorIiEEZZNS1_9scan_implILNS1_25lookback_scan_determinismE0ELb0ELb0ES3_N6thrust23THRUST_200600_302600_NS6detail15normal_iteratorINS9_10device_ptrIiEEEESE_i9plus_mod3IiEiEEDaPvRmT3_T4_T5_mT6_P12ihipStream_tbENKUlT_T0_E_clISt17integral_constantIbLb1EEST_IbLb0EEEEDaSP_SQ_EUlSP_E0_NS1_11comp_targetILNS1_3genE10ELNS1_11target_archE1201ELNS1_3gpuE5ELNS1_3repE0EEENS1_30default_config_static_selectorELNS0_4arch9wavefront6targetE1EEEvT1_, .Lfunc_end6656-_ZN7rocprim17ROCPRIM_400000_NS6detail17trampoline_kernelINS0_14default_configENS1_20scan_config_selectorIiEEZZNS1_9scan_implILNS1_25lookback_scan_determinismE0ELb0ELb0ES3_N6thrust23THRUST_200600_302600_NS6detail15normal_iteratorINS9_10device_ptrIiEEEESE_i9plus_mod3IiEiEEDaPvRmT3_T4_T5_mT6_P12ihipStream_tbENKUlT_T0_E_clISt17integral_constantIbLb1EEST_IbLb0EEEEDaSP_SQ_EUlSP_E0_NS1_11comp_targetILNS1_3genE10ELNS1_11target_archE1201ELNS1_3gpuE5ELNS1_3repE0EEENS1_30default_config_static_selectorELNS0_4arch9wavefront6targetE1EEEvT1_
                                        ; -- End function
	.section	.AMDGPU.csdata,"",@progbits
; Kernel info:
; codeLenInByte = 0
; NumSgprs: 4
; NumVgprs: 0
; NumAgprs: 0
; TotalNumVgprs: 0
; ScratchSize: 0
; MemoryBound: 0
; FloatMode: 240
; IeeeMode: 1
; LDSByteSize: 0 bytes/workgroup (compile time only)
; SGPRBlocks: 0
; VGPRBlocks: 0
; NumSGPRsForWavesPerEU: 4
; NumVGPRsForWavesPerEU: 1
; AccumOffset: 4
; Occupancy: 8
; WaveLimiterHint : 0
; COMPUTE_PGM_RSRC2:SCRATCH_EN: 0
; COMPUTE_PGM_RSRC2:USER_SGPR: 6
; COMPUTE_PGM_RSRC2:TRAP_HANDLER: 0
; COMPUTE_PGM_RSRC2:TGID_X_EN: 1
; COMPUTE_PGM_RSRC2:TGID_Y_EN: 0
; COMPUTE_PGM_RSRC2:TGID_Z_EN: 0
; COMPUTE_PGM_RSRC2:TIDIG_COMP_CNT: 0
; COMPUTE_PGM_RSRC3_GFX90A:ACCUM_OFFSET: 0
; COMPUTE_PGM_RSRC3_GFX90A:TG_SPLIT: 0
	.section	.text._ZN7rocprim17ROCPRIM_400000_NS6detail17trampoline_kernelINS0_14default_configENS1_20scan_config_selectorIiEEZZNS1_9scan_implILNS1_25lookback_scan_determinismE0ELb0ELb0ES3_N6thrust23THRUST_200600_302600_NS6detail15normal_iteratorINS9_10device_ptrIiEEEESE_i9plus_mod3IiEiEEDaPvRmT3_T4_T5_mT6_P12ihipStream_tbENKUlT_T0_E_clISt17integral_constantIbLb1EEST_IbLb0EEEEDaSP_SQ_EUlSP_E0_NS1_11comp_targetILNS1_3genE10ELNS1_11target_archE1200ELNS1_3gpuE4ELNS1_3repE0EEENS1_30default_config_static_selectorELNS0_4arch9wavefront6targetE1EEEvT1_,"axG",@progbits,_ZN7rocprim17ROCPRIM_400000_NS6detail17trampoline_kernelINS0_14default_configENS1_20scan_config_selectorIiEEZZNS1_9scan_implILNS1_25lookback_scan_determinismE0ELb0ELb0ES3_N6thrust23THRUST_200600_302600_NS6detail15normal_iteratorINS9_10device_ptrIiEEEESE_i9plus_mod3IiEiEEDaPvRmT3_T4_T5_mT6_P12ihipStream_tbENKUlT_T0_E_clISt17integral_constantIbLb1EEST_IbLb0EEEEDaSP_SQ_EUlSP_E0_NS1_11comp_targetILNS1_3genE10ELNS1_11target_archE1200ELNS1_3gpuE4ELNS1_3repE0EEENS1_30default_config_static_selectorELNS0_4arch9wavefront6targetE1EEEvT1_,comdat
	.protected	_ZN7rocprim17ROCPRIM_400000_NS6detail17trampoline_kernelINS0_14default_configENS1_20scan_config_selectorIiEEZZNS1_9scan_implILNS1_25lookback_scan_determinismE0ELb0ELb0ES3_N6thrust23THRUST_200600_302600_NS6detail15normal_iteratorINS9_10device_ptrIiEEEESE_i9plus_mod3IiEiEEDaPvRmT3_T4_T5_mT6_P12ihipStream_tbENKUlT_T0_E_clISt17integral_constantIbLb1EEST_IbLb0EEEEDaSP_SQ_EUlSP_E0_NS1_11comp_targetILNS1_3genE10ELNS1_11target_archE1200ELNS1_3gpuE4ELNS1_3repE0EEENS1_30default_config_static_selectorELNS0_4arch9wavefront6targetE1EEEvT1_ ; -- Begin function _ZN7rocprim17ROCPRIM_400000_NS6detail17trampoline_kernelINS0_14default_configENS1_20scan_config_selectorIiEEZZNS1_9scan_implILNS1_25lookback_scan_determinismE0ELb0ELb0ES3_N6thrust23THRUST_200600_302600_NS6detail15normal_iteratorINS9_10device_ptrIiEEEESE_i9plus_mod3IiEiEEDaPvRmT3_T4_T5_mT6_P12ihipStream_tbENKUlT_T0_E_clISt17integral_constantIbLb1EEST_IbLb0EEEEDaSP_SQ_EUlSP_E0_NS1_11comp_targetILNS1_3genE10ELNS1_11target_archE1200ELNS1_3gpuE4ELNS1_3repE0EEENS1_30default_config_static_selectorELNS0_4arch9wavefront6targetE1EEEvT1_
	.globl	_ZN7rocprim17ROCPRIM_400000_NS6detail17trampoline_kernelINS0_14default_configENS1_20scan_config_selectorIiEEZZNS1_9scan_implILNS1_25lookback_scan_determinismE0ELb0ELb0ES3_N6thrust23THRUST_200600_302600_NS6detail15normal_iteratorINS9_10device_ptrIiEEEESE_i9plus_mod3IiEiEEDaPvRmT3_T4_T5_mT6_P12ihipStream_tbENKUlT_T0_E_clISt17integral_constantIbLb1EEST_IbLb0EEEEDaSP_SQ_EUlSP_E0_NS1_11comp_targetILNS1_3genE10ELNS1_11target_archE1200ELNS1_3gpuE4ELNS1_3repE0EEENS1_30default_config_static_selectorELNS0_4arch9wavefront6targetE1EEEvT1_
	.p2align	8
	.type	_ZN7rocprim17ROCPRIM_400000_NS6detail17trampoline_kernelINS0_14default_configENS1_20scan_config_selectorIiEEZZNS1_9scan_implILNS1_25lookback_scan_determinismE0ELb0ELb0ES3_N6thrust23THRUST_200600_302600_NS6detail15normal_iteratorINS9_10device_ptrIiEEEESE_i9plus_mod3IiEiEEDaPvRmT3_T4_T5_mT6_P12ihipStream_tbENKUlT_T0_E_clISt17integral_constantIbLb1EEST_IbLb0EEEEDaSP_SQ_EUlSP_E0_NS1_11comp_targetILNS1_3genE10ELNS1_11target_archE1200ELNS1_3gpuE4ELNS1_3repE0EEENS1_30default_config_static_selectorELNS0_4arch9wavefront6targetE1EEEvT1_,@function
_ZN7rocprim17ROCPRIM_400000_NS6detail17trampoline_kernelINS0_14default_configENS1_20scan_config_selectorIiEEZZNS1_9scan_implILNS1_25lookback_scan_determinismE0ELb0ELb0ES3_N6thrust23THRUST_200600_302600_NS6detail15normal_iteratorINS9_10device_ptrIiEEEESE_i9plus_mod3IiEiEEDaPvRmT3_T4_T5_mT6_P12ihipStream_tbENKUlT_T0_E_clISt17integral_constantIbLb1EEST_IbLb0EEEEDaSP_SQ_EUlSP_E0_NS1_11comp_targetILNS1_3genE10ELNS1_11target_archE1200ELNS1_3gpuE4ELNS1_3repE0EEENS1_30default_config_static_selectorELNS0_4arch9wavefront6targetE1EEEvT1_: ; @_ZN7rocprim17ROCPRIM_400000_NS6detail17trampoline_kernelINS0_14default_configENS1_20scan_config_selectorIiEEZZNS1_9scan_implILNS1_25lookback_scan_determinismE0ELb0ELb0ES3_N6thrust23THRUST_200600_302600_NS6detail15normal_iteratorINS9_10device_ptrIiEEEESE_i9plus_mod3IiEiEEDaPvRmT3_T4_T5_mT6_P12ihipStream_tbENKUlT_T0_E_clISt17integral_constantIbLb1EEST_IbLb0EEEEDaSP_SQ_EUlSP_E0_NS1_11comp_targetILNS1_3genE10ELNS1_11target_archE1200ELNS1_3gpuE4ELNS1_3repE0EEENS1_30default_config_static_selectorELNS0_4arch9wavefront6targetE1EEEvT1_
; %bb.0:
	.section	.rodata,"a",@progbits
	.p2align	6, 0x0
	.amdhsa_kernel _ZN7rocprim17ROCPRIM_400000_NS6detail17trampoline_kernelINS0_14default_configENS1_20scan_config_selectorIiEEZZNS1_9scan_implILNS1_25lookback_scan_determinismE0ELb0ELb0ES3_N6thrust23THRUST_200600_302600_NS6detail15normal_iteratorINS9_10device_ptrIiEEEESE_i9plus_mod3IiEiEEDaPvRmT3_T4_T5_mT6_P12ihipStream_tbENKUlT_T0_E_clISt17integral_constantIbLb1EEST_IbLb0EEEEDaSP_SQ_EUlSP_E0_NS1_11comp_targetILNS1_3genE10ELNS1_11target_archE1200ELNS1_3gpuE4ELNS1_3repE0EEENS1_30default_config_static_selectorELNS0_4arch9wavefront6targetE1EEEvT1_
		.amdhsa_group_segment_fixed_size 0
		.amdhsa_private_segment_fixed_size 0
		.amdhsa_kernarg_size 40
		.amdhsa_user_sgpr_count 6
		.amdhsa_user_sgpr_private_segment_buffer 1
		.amdhsa_user_sgpr_dispatch_ptr 0
		.amdhsa_user_sgpr_queue_ptr 0
		.amdhsa_user_sgpr_kernarg_segment_ptr 1
		.amdhsa_user_sgpr_dispatch_id 0
		.amdhsa_user_sgpr_flat_scratch_init 0
		.amdhsa_user_sgpr_kernarg_preload_length 0
		.amdhsa_user_sgpr_kernarg_preload_offset 0
		.amdhsa_user_sgpr_private_segment_size 0
		.amdhsa_uses_dynamic_stack 0
		.amdhsa_system_sgpr_private_segment_wavefront_offset 0
		.amdhsa_system_sgpr_workgroup_id_x 1
		.amdhsa_system_sgpr_workgroup_id_y 0
		.amdhsa_system_sgpr_workgroup_id_z 0
		.amdhsa_system_sgpr_workgroup_info 0
		.amdhsa_system_vgpr_workitem_id 0
		.amdhsa_next_free_vgpr 1
		.amdhsa_next_free_sgpr 0
		.amdhsa_accum_offset 4
		.amdhsa_reserve_vcc 0
		.amdhsa_reserve_flat_scratch 0
		.amdhsa_float_round_mode_32 0
		.amdhsa_float_round_mode_16_64 0
		.amdhsa_float_denorm_mode_32 3
		.amdhsa_float_denorm_mode_16_64 3
		.amdhsa_dx10_clamp 1
		.amdhsa_ieee_mode 1
		.amdhsa_fp16_overflow 0
		.amdhsa_tg_split 0
		.amdhsa_exception_fp_ieee_invalid_op 0
		.amdhsa_exception_fp_denorm_src 0
		.amdhsa_exception_fp_ieee_div_zero 0
		.amdhsa_exception_fp_ieee_overflow 0
		.amdhsa_exception_fp_ieee_underflow 0
		.amdhsa_exception_fp_ieee_inexact 0
		.amdhsa_exception_int_div_zero 0
	.end_amdhsa_kernel
	.section	.text._ZN7rocprim17ROCPRIM_400000_NS6detail17trampoline_kernelINS0_14default_configENS1_20scan_config_selectorIiEEZZNS1_9scan_implILNS1_25lookback_scan_determinismE0ELb0ELb0ES3_N6thrust23THRUST_200600_302600_NS6detail15normal_iteratorINS9_10device_ptrIiEEEESE_i9plus_mod3IiEiEEDaPvRmT3_T4_T5_mT6_P12ihipStream_tbENKUlT_T0_E_clISt17integral_constantIbLb1EEST_IbLb0EEEEDaSP_SQ_EUlSP_E0_NS1_11comp_targetILNS1_3genE10ELNS1_11target_archE1200ELNS1_3gpuE4ELNS1_3repE0EEENS1_30default_config_static_selectorELNS0_4arch9wavefront6targetE1EEEvT1_,"axG",@progbits,_ZN7rocprim17ROCPRIM_400000_NS6detail17trampoline_kernelINS0_14default_configENS1_20scan_config_selectorIiEEZZNS1_9scan_implILNS1_25lookback_scan_determinismE0ELb0ELb0ES3_N6thrust23THRUST_200600_302600_NS6detail15normal_iteratorINS9_10device_ptrIiEEEESE_i9plus_mod3IiEiEEDaPvRmT3_T4_T5_mT6_P12ihipStream_tbENKUlT_T0_E_clISt17integral_constantIbLb1EEST_IbLb0EEEEDaSP_SQ_EUlSP_E0_NS1_11comp_targetILNS1_3genE10ELNS1_11target_archE1200ELNS1_3gpuE4ELNS1_3repE0EEENS1_30default_config_static_selectorELNS0_4arch9wavefront6targetE1EEEvT1_,comdat
.Lfunc_end6657:
	.size	_ZN7rocprim17ROCPRIM_400000_NS6detail17trampoline_kernelINS0_14default_configENS1_20scan_config_selectorIiEEZZNS1_9scan_implILNS1_25lookback_scan_determinismE0ELb0ELb0ES3_N6thrust23THRUST_200600_302600_NS6detail15normal_iteratorINS9_10device_ptrIiEEEESE_i9plus_mod3IiEiEEDaPvRmT3_T4_T5_mT6_P12ihipStream_tbENKUlT_T0_E_clISt17integral_constantIbLb1EEST_IbLb0EEEEDaSP_SQ_EUlSP_E0_NS1_11comp_targetILNS1_3genE10ELNS1_11target_archE1200ELNS1_3gpuE4ELNS1_3repE0EEENS1_30default_config_static_selectorELNS0_4arch9wavefront6targetE1EEEvT1_, .Lfunc_end6657-_ZN7rocprim17ROCPRIM_400000_NS6detail17trampoline_kernelINS0_14default_configENS1_20scan_config_selectorIiEEZZNS1_9scan_implILNS1_25lookback_scan_determinismE0ELb0ELb0ES3_N6thrust23THRUST_200600_302600_NS6detail15normal_iteratorINS9_10device_ptrIiEEEESE_i9plus_mod3IiEiEEDaPvRmT3_T4_T5_mT6_P12ihipStream_tbENKUlT_T0_E_clISt17integral_constantIbLb1EEST_IbLb0EEEEDaSP_SQ_EUlSP_E0_NS1_11comp_targetILNS1_3genE10ELNS1_11target_archE1200ELNS1_3gpuE4ELNS1_3repE0EEENS1_30default_config_static_selectorELNS0_4arch9wavefront6targetE1EEEvT1_
                                        ; -- End function
	.section	.AMDGPU.csdata,"",@progbits
; Kernel info:
; codeLenInByte = 0
; NumSgprs: 4
; NumVgprs: 0
; NumAgprs: 0
; TotalNumVgprs: 0
; ScratchSize: 0
; MemoryBound: 0
; FloatMode: 240
; IeeeMode: 1
; LDSByteSize: 0 bytes/workgroup (compile time only)
; SGPRBlocks: 0
; VGPRBlocks: 0
; NumSGPRsForWavesPerEU: 4
; NumVGPRsForWavesPerEU: 1
; AccumOffset: 4
; Occupancy: 8
; WaveLimiterHint : 0
; COMPUTE_PGM_RSRC2:SCRATCH_EN: 0
; COMPUTE_PGM_RSRC2:USER_SGPR: 6
; COMPUTE_PGM_RSRC2:TRAP_HANDLER: 0
; COMPUTE_PGM_RSRC2:TGID_X_EN: 1
; COMPUTE_PGM_RSRC2:TGID_Y_EN: 0
; COMPUTE_PGM_RSRC2:TGID_Z_EN: 0
; COMPUTE_PGM_RSRC2:TIDIG_COMP_CNT: 0
; COMPUTE_PGM_RSRC3_GFX90A:ACCUM_OFFSET: 0
; COMPUTE_PGM_RSRC3_GFX90A:TG_SPLIT: 0
	.section	.text._ZN7rocprim17ROCPRIM_400000_NS6detail17trampoline_kernelINS0_14default_configENS1_20scan_config_selectorIiEEZZNS1_9scan_implILNS1_25lookback_scan_determinismE0ELb0ELb0ES3_N6thrust23THRUST_200600_302600_NS6detail15normal_iteratorINS9_10device_ptrIiEEEESE_i9plus_mod3IiEiEEDaPvRmT3_T4_T5_mT6_P12ihipStream_tbENKUlT_T0_E_clISt17integral_constantIbLb1EEST_IbLb0EEEEDaSP_SQ_EUlSP_E0_NS1_11comp_targetILNS1_3genE9ELNS1_11target_archE1100ELNS1_3gpuE3ELNS1_3repE0EEENS1_30default_config_static_selectorELNS0_4arch9wavefront6targetE1EEEvT1_,"axG",@progbits,_ZN7rocprim17ROCPRIM_400000_NS6detail17trampoline_kernelINS0_14default_configENS1_20scan_config_selectorIiEEZZNS1_9scan_implILNS1_25lookback_scan_determinismE0ELb0ELb0ES3_N6thrust23THRUST_200600_302600_NS6detail15normal_iteratorINS9_10device_ptrIiEEEESE_i9plus_mod3IiEiEEDaPvRmT3_T4_T5_mT6_P12ihipStream_tbENKUlT_T0_E_clISt17integral_constantIbLb1EEST_IbLb0EEEEDaSP_SQ_EUlSP_E0_NS1_11comp_targetILNS1_3genE9ELNS1_11target_archE1100ELNS1_3gpuE3ELNS1_3repE0EEENS1_30default_config_static_selectorELNS0_4arch9wavefront6targetE1EEEvT1_,comdat
	.protected	_ZN7rocprim17ROCPRIM_400000_NS6detail17trampoline_kernelINS0_14default_configENS1_20scan_config_selectorIiEEZZNS1_9scan_implILNS1_25lookback_scan_determinismE0ELb0ELb0ES3_N6thrust23THRUST_200600_302600_NS6detail15normal_iteratorINS9_10device_ptrIiEEEESE_i9plus_mod3IiEiEEDaPvRmT3_T4_T5_mT6_P12ihipStream_tbENKUlT_T0_E_clISt17integral_constantIbLb1EEST_IbLb0EEEEDaSP_SQ_EUlSP_E0_NS1_11comp_targetILNS1_3genE9ELNS1_11target_archE1100ELNS1_3gpuE3ELNS1_3repE0EEENS1_30default_config_static_selectorELNS0_4arch9wavefront6targetE1EEEvT1_ ; -- Begin function _ZN7rocprim17ROCPRIM_400000_NS6detail17trampoline_kernelINS0_14default_configENS1_20scan_config_selectorIiEEZZNS1_9scan_implILNS1_25lookback_scan_determinismE0ELb0ELb0ES3_N6thrust23THRUST_200600_302600_NS6detail15normal_iteratorINS9_10device_ptrIiEEEESE_i9plus_mod3IiEiEEDaPvRmT3_T4_T5_mT6_P12ihipStream_tbENKUlT_T0_E_clISt17integral_constantIbLb1EEST_IbLb0EEEEDaSP_SQ_EUlSP_E0_NS1_11comp_targetILNS1_3genE9ELNS1_11target_archE1100ELNS1_3gpuE3ELNS1_3repE0EEENS1_30default_config_static_selectorELNS0_4arch9wavefront6targetE1EEEvT1_
	.globl	_ZN7rocprim17ROCPRIM_400000_NS6detail17trampoline_kernelINS0_14default_configENS1_20scan_config_selectorIiEEZZNS1_9scan_implILNS1_25lookback_scan_determinismE0ELb0ELb0ES3_N6thrust23THRUST_200600_302600_NS6detail15normal_iteratorINS9_10device_ptrIiEEEESE_i9plus_mod3IiEiEEDaPvRmT3_T4_T5_mT6_P12ihipStream_tbENKUlT_T0_E_clISt17integral_constantIbLb1EEST_IbLb0EEEEDaSP_SQ_EUlSP_E0_NS1_11comp_targetILNS1_3genE9ELNS1_11target_archE1100ELNS1_3gpuE3ELNS1_3repE0EEENS1_30default_config_static_selectorELNS0_4arch9wavefront6targetE1EEEvT1_
	.p2align	8
	.type	_ZN7rocprim17ROCPRIM_400000_NS6detail17trampoline_kernelINS0_14default_configENS1_20scan_config_selectorIiEEZZNS1_9scan_implILNS1_25lookback_scan_determinismE0ELb0ELb0ES3_N6thrust23THRUST_200600_302600_NS6detail15normal_iteratorINS9_10device_ptrIiEEEESE_i9plus_mod3IiEiEEDaPvRmT3_T4_T5_mT6_P12ihipStream_tbENKUlT_T0_E_clISt17integral_constantIbLb1EEST_IbLb0EEEEDaSP_SQ_EUlSP_E0_NS1_11comp_targetILNS1_3genE9ELNS1_11target_archE1100ELNS1_3gpuE3ELNS1_3repE0EEENS1_30default_config_static_selectorELNS0_4arch9wavefront6targetE1EEEvT1_,@function
_ZN7rocprim17ROCPRIM_400000_NS6detail17trampoline_kernelINS0_14default_configENS1_20scan_config_selectorIiEEZZNS1_9scan_implILNS1_25lookback_scan_determinismE0ELb0ELb0ES3_N6thrust23THRUST_200600_302600_NS6detail15normal_iteratorINS9_10device_ptrIiEEEESE_i9plus_mod3IiEiEEDaPvRmT3_T4_T5_mT6_P12ihipStream_tbENKUlT_T0_E_clISt17integral_constantIbLb1EEST_IbLb0EEEEDaSP_SQ_EUlSP_E0_NS1_11comp_targetILNS1_3genE9ELNS1_11target_archE1100ELNS1_3gpuE3ELNS1_3repE0EEENS1_30default_config_static_selectorELNS0_4arch9wavefront6targetE1EEEvT1_: ; @_ZN7rocprim17ROCPRIM_400000_NS6detail17trampoline_kernelINS0_14default_configENS1_20scan_config_selectorIiEEZZNS1_9scan_implILNS1_25lookback_scan_determinismE0ELb0ELb0ES3_N6thrust23THRUST_200600_302600_NS6detail15normal_iteratorINS9_10device_ptrIiEEEESE_i9plus_mod3IiEiEEDaPvRmT3_T4_T5_mT6_P12ihipStream_tbENKUlT_T0_E_clISt17integral_constantIbLb1EEST_IbLb0EEEEDaSP_SQ_EUlSP_E0_NS1_11comp_targetILNS1_3genE9ELNS1_11target_archE1100ELNS1_3gpuE3ELNS1_3repE0EEENS1_30default_config_static_selectorELNS0_4arch9wavefront6targetE1EEEvT1_
; %bb.0:
	.section	.rodata,"a",@progbits
	.p2align	6, 0x0
	.amdhsa_kernel _ZN7rocprim17ROCPRIM_400000_NS6detail17trampoline_kernelINS0_14default_configENS1_20scan_config_selectorIiEEZZNS1_9scan_implILNS1_25lookback_scan_determinismE0ELb0ELb0ES3_N6thrust23THRUST_200600_302600_NS6detail15normal_iteratorINS9_10device_ptrIiEEEESE_i9plus_mod3IiEiEEDaPvRmT3_T4_T5_mT6_P12ihipStream_tbENKUlT_T0_E_clISt17integral_constantIbLb1EEST_IbLb0EEEEDaSP_SQ_EUlSP_E0_NS1_11comp_targetILNS1_3genE9ELNS1_11target_archE1100ELNS1_3gpuE3ELNS1_3repE0EEENS1_30default_config_static_selectorELNS0_4arch9wavefront6targetE1EEEvT1_
		.amdhsa_group_segment_fixed_size 0
		.amdhsa_private_segment_fixed_size 0
		.amdhsa_kernarg_size 40
		.amdhsa_user_sgpr_count 6
		.amdhsa_user_sgpr_private_segment_buffer 1
		.amdhsa_user_sgpr_dispatch_ptr 0
		.amdhsa_user_sgpr_queue_ptr 0
		.amdhsa_user_sgpr_kernarg_segment_ptr 1
		.amdhsa_user_sgpr_dispatch_id 0
		.amdhsa_user_sgpr_flat_scratch_init 0
		.amdhsa_user_sgpr_kernarg_preload_length 0
		.amdhsa_user_sgpr_kernarg_preload_offset 0
		.amdhsa_user_sgpr_private_segment_size 0
		.amdhsa_uses_dynamic_stack 0
		.amdhsa_system_sgpr_private_segment_wavefront_offset 0
		.amdhsa_system_sgpr_workgroup_id_x 1
		.amdhsa_system_sgpr_workgroup_id_y 0
		.amdhsa_system_sgpr_workgroup_id_z 0
		.amdhsa_system_sgpr_workgroup_info 0
		.amdhsa_system_vgpr_workitem_id 0
		.amdhsa_next_free_vgpr 1
		.amdhsa_next_free_sgpr 0
		.amdhsa_accum_offset 4
		.amdhsa_reserve_vcc 0
		.amdhsa_reserve_flat_scratch 0
		.amdhsa_float_round_mode_32 0
		.amdhsa_float_round_mode_16_64 0
		.amdhsa_float_denorm_mode_32 3
		.amdhsa_float_denorm_mode_16_64 3
		.amdhsa_dx10_clamp 1
		.amdhsa_ieee_mode 1
		.amdhsa_fp16_overflow 0
		.amdhsa_tg_split 0
		.amdhsa_exception_fp_ieee_invalid_op 0
		.amdhsa_exception_fp_denorm_src 0
		.amdhsa_exception_fp_ieee_div_zero 0
		.amdhsa_exception_fp_ieee_overflow 0
		.amdhsa_exception_fp_ieee_underflow 0
		.amdhsa_exception_fp_ieee_inexact 0
		.amdhsa_exception_int_div_zero 0
	.end_amdhsa_kernel
	.section	.text._ZN7rocprim17ROCPRIM_400000_NS6detail17trampoline_kernelINS0_14default_configENS1_20scan_config_selectorIiEEZZNS1_9scan_implILNS1_25lookback_scan_determinismE0ELb0ELb0ES3_N6thrust23THRUST_200600_302600_NS6detail15normal_iteratorINS9_10device_ptrIiEEEESE_i9plus_mod3IiEiEEDaPvRmT3_T4_T5_mT6_P12ihipStream_tbENKUlT_T0_E_clISt17integral_constantIbLb1EEST_IbLb0EEEEDaSP_SQ_EUlSP_E0_NS1_11comp_targetILNS1_3genE9ELNS1_11target_archE1100ELNS1_3gpuE3ELNS1_3repE0EEENS1_30default_config_static_selectorELNS0_4arch9wavefront6targetE1EEEvT1_,"axG",@progbits,_ZN7rocprim17ROCPRIM_400000_NS6detail17trampoline_kernelINS0_14default_configENS1_20scan_config_selectorIiEEZZNS1_9scan_implILNS1_25lookback_scan_determinismE0ELb0ELb0ES3_N6thrust23THRUST_200600_302600_NS6detail15normal_iteratorINS9_10device_ptrIiEEEESE_i9plus_mod3IiEiEEDaPvRmT3_T4_T5_mT6_P12ihipStream_tbENKUlT_T0_E_clISt17integral_constantIbLb1EEST_IbLb0EEEEDaSP_SQ_EUlSP_E0_NS1_11comp_targetILNS1_3genE9ELNS1_11target_archE1100ELNS1_3gpuE3ELNS1_3repE0EEENS1_30default_config_static_selectorELNS0_4arch9wavefront6targetE1EEEvT1_,comdat
.Lfunc_end6658:
	.size	_ZN7rocprim17ROCPRIM_400000_NS6detail17trampoline_kernelINS0_14default_configENS1_20scan_config_selectorIiEEZZNS1_9scan_implILNS1_25lookback_scan_determinismE0ELb0ELb0ES3_N6thrust23THRUST_200600_302600_NS6detail15normal_iteratorINS9_10device_ptrIiEEEESE_i9plus_mod3IiEiEEDaPvRmT3_T4_T5_mT6_P12ihipStream_tbENKUlT_T0_E_clISt17integral_constantIbLb1EEST_IbLb0EEEEDaSP_SQ_EUlSP_E0_NS1_11comp_targetILNS1_3genE9ELNS1_11target_archE1100ELNS1_3gpuE3ELNS1_3repE0EEENS1_30default_config_static_selectorELNS0_4arch9wavefront6targetE1EEEvT1_, .Lfunc_end6658-_ZN7rocprim17ROCPRIM_400000_NS6detail17trampoline_kernelINS0_14default_configENS1_20scan_config_selectorIiEEZZNS1_9scan_implILNS1_25lookback_scan_determinismE0ELb0ELb0ES3_N6thrust23THRUST_200600_302600_NS6detail15normal_iteratorINS9_10device_ptrIiEEEESE_i9plus_mod3IiEiEEDaPvRmT3_T4_T5_mT6_P12ihipStream_tbENKUlT_T0_E_clISt17integral_constantIbLb1EEST_IbLb0EEEEDaSP_SQ_EUlSP_E0_NS1_11comp_targetILNS1_3genE9ELNS1_11target_archE1100ELNS1_3gpuE3ELNS1_3repE0EEENS1_30default_config_static_selectorELNS0_4arch9wavefront6targetE1EEEvT1_
                                        ; -- End function
	.section	.AMDGPU.csdata,"",@progbits
; Kernel info:
; codeLenInByte = 0
; NumSgprs: 4
; NumVgprs: 0
; NumAgprs: 0
; TotalNumVgprs: 0
; ScratchSize: 0
; MemoryBound: 0
; FloatMode: 240
; IeeeMode: 1
; LDSByteSize: 0 bytes/workgroup (compile time only)
; SGPRBlocks: 0
; VGPRBlocks: 0
; NumSGPRsForWavesPerEU: 4
; NumVGPRsForWavesPerEU: 1
; AccumOffset: 4
; Occupancy: 8
; WaveLimiterHint : 0
; COMPUTE_PGM_RSRC2:SCRATCH_EN: 0
; COMPUTE_PGM_RSRC2:USER_SGPR: 6
; COMPUTE_PGM_RSRC2:TRAP_HANDLER: 0
; COMPUTE_PGM_RSRC2:TGID_X_EN: 1
; COMPUTE_PGM_RSRC2:TGID_Y_EN: 0
; COMPUTE_PGM_RSRC2:TGID_Z_EN: 0
; COMPUTE_PGM_RSRC2:TIDIG_COMP_CNT: 0
; COMPUTE_PGM_RSRC3_GFX90A:ACCUM_OFFSET: 0
; COMPUTE_PGM_RSRC3_GFX90A:TG_SPLIT: 0
	.section	.text._ZN7rocprim17ROCPRIM_400000_NS6detail17trampoline_kernelINS0_14default_configENS1_20scan_config_selectorIiEEZZNS1_9scan_implILNS1_25lookback_scan_determinismE0ELb0ELb0ES3_N6thrust23THRUST_200600_302600_NS6detail15normal_iteratorINS9_10device_ptrIiEEEESE_i9plus_mod3IiEiEEDaPvRmT3_T4_T5_mT6_P12ihipStream_tbENKUlT_T0_E_clISt17integral_constantIbLb1EEST_IbLb0EEEEDaSP_SQ_EUlSP_E0_NS1_11comp_targetILNS1_3genE8ELNS1_11target_archE1030ELNS1_3gpuE2ELNS1_3repE0EEENS1_30default_config_static_selectorELNS0_4arch9wavefront6targetE1EEEvT1_,"axG",@progbits,_ZN7rocprim17ROCPRIM_400000_NS6detail17trampoline_kernelINS0_14default_configENS1_20scan_config_selectorIiEEZZNS1_9scan_implILNS1_25lookback_scan_determinismE0ELb0ELb0ES3_N6thrust23THRUST_200600_302600_NS6detail15normal_iteratorINS9_10device_ptrIiEEEESE_i9plus_mod3IiEiEEDaPvRmT3_T4_T5_mT6_P12ihipStream_tbENKUlT_T0_E_clISt17integral_constantIbLb1EEST_IbLb0EEEEDaSP_SQ_EUlSP_E0_NS1_11comp_targetILNS1_3genE8ELNS1_11target_archE1030ELNS1_3gpuE2ELNS1_3repE0EEENS1_30default_config_static_selectorELNS0_4arch9wavefront6targetE1EEEvT1_,comdat
	.protected	_ZN7rocprim17ROCPRIM_400000_NS6detail17trampoline_kernelINS0_14default_configENS1_20scan_config_selectorIiEEZZNS1_9scan_implILNS1_25lookback_scan_determinismE0ELb0ELb0ES3_N6thrust23THRUST_200600_302600_NS6detail15normal_iteratorINS9_10device_ptrIiEEEESE_i9plus_mod3IiEiEEDaPvRmT3_T4_T5_mT6_P12ihipStream_tbENKUlT_T0_E_clISt17integral_constantIbLb1EEST_IbLb0EEEEDaSP_SQ_EUlSP_E0_NS1_11comp_targetILNS1_3genE8ELNS1_11target_archE1030ELNS1_3gpuE2ELNS1_3repE0EEENS1_30default_config_static_selectorELNS0_4arch9wavefront6targetE1EEEvT1_ ; -- Begin function _ZN7rocprim17ROCPRIM_400000_NS6detail17trampoline_kernelINS0_14default_configENS1_20scan_config_selectorIiEEZZNS1_9scan_implILNS1_25lookback_scan_determinismE0ELb0ELb0ES3_N6thrust23THRUST_200600_302600_NS6detail15normal_iteratorINS9_10device_ptrIiEEEESE_i9plus_mod3IiEiEEDaPvRmT3_T4_T5_mT6_P12ihipStream_tbENKUlT_T0_E_clISt17integral_constantIbLb1EEST_IbLb0EEEEDaSP_SQ_EUlSP_E0_NS1_11comp_targetILNS1_3genE8ELNS1_11target_archE1030ELNS1_3gpuE2ELNS1_3repE0EEENS1_30default_config_static_selectorELNS0_4arch9wavefront6targetE1EEEvT1_
	.globl	_ZN7rocprim17ROCPRIM_400000_NS6detail17trampoline_kernelINS0_14default_configENS1_20scan_config_selectorIiEEZZNS1_9scan_implILNS1_25lookback_scan_determinismE0ELb0ELb0ES3_N6thrust23THRUST_200600_302600_NS6detail15normal_iteratorINS9_10device_ptrIiEEEESE_i9plus_mod3IiEiEEDaPvRmT3_T4_T5_mT6_P12ihipStream_tbENKUlT_T0_E_clISt17integral_constantIbLb1EEST_IbLb0EEEEDaSP_SQ_EUlSP_E0_NS1_11comp_targetILNS1_3genE8ELNS1_11target_archE1030ELNS1_3gpuE2ELNS1_3repE0EEENS1_30default_config_static_selectorELNS0_4arch9wavefront6targetE1EEEvT1_
	.p2align	8
	.type	_ZN7rocprim17ROCPRIM_400000_NS6detail17trampoline_kernelINS0_14default_configENS1_20scan_config_selectorIiEEZZNS1_9scan_implILNS1_25lookback_scan_determinismE0ELb0ELb0ES3_N6thrust23THRUST_200600_302600_NS6detail15normal_iteratorINS9_10device_ptrIiEEEESE_i9plus_mod3IiEiEEDaPvRmT3_T4_T5_mT6_P12ihipStream_tbENKUlT_T0_E_clISt17integral_constantIbLb1EEST_IbLb0EEEEDaSP_SQ_EUlSP_E0_NS1_11comp_targetILNS1_3genE8ELNS1_11target_archE1030ELNS1_3gpuE2ELNS1_3repE0EEENS1_30default_config_static_selectorELNS0_4arch9wavefront6targetE1EEEvT1_,@function
_ZN7rocprim17ROCPRIM_400000_NS6detail17trampoline_kernelINS0_14default_configENS1_20scan_config_selectorIiEEZZNS1_9scan_implILNS1_25lookback_scan_determinismE0ELb0ELb0ES3_N6thrust23THRUST_200600_302600_NS6detail15normal_iteratorINS9_10device_ptrIiEEEESE_i9plus_mod3IiEiEEDaPvRmT3_T4_T5_mT6_P12ihipStream_tbENKUlT_T0_E_clISt17integral_constantIbLb1EEST_IbLb0EEEEDaSP_SQ_EUlSP_E0_NS1_11comp_targetILNS1_3genE8ELNS1_11target_archE1030ELNS1_3gpuE2ELNS1_3repE0EEENS1_30default_config_static_selectorELNS0_4arch9wavefront6targetE1EEEvT1_: ; @_ZN7rocprim17ROCPRIM_400000_NS6detail17trampoline_kernelINS0_14default_configENS1_20scan_config_selectorIiEEZZNS1_9scan_implILNS1_25lookback_scan_determinismE0ELb0ELb0ES3_N6thrust23THRUST_200600_302600_NS6detail15normal_iteratorINS9_10device_ptrIiEEEESE_i9plus_mod3IiEiEEDaPvRmT3_T4_T5_mT6_P12ihipStream_tbENKUlT_T0_E_clISt17integral_constantIbLb1EEST_IbLb0EEEEDaSP_SQ_EUlSP_E0_NS1_11comp_targetILNS1_3genE8ELNS1_11target_archE1030ELNS1_3gpuE2ELNS1_3repE0EEENS1_30default_config_static_selectorELNS0_4arch9wavefront6targetE1EEEvT1_
; %bb.0:
	.section	.rodata,"a",@progbits
	.p2align	6, 0x0
	.amdhsa_kernel _ZN7rocprim17ROCPRIM_400000_NS6detail17trampoline_kernelINS0_14default_configENS1_20scan_config_selectorIiEEZZNS1_9scan_implILNS1_25lookback_scan_determinismE0ELb0ELb0ES3_N6thrust23THRUST_200600_302600_NS6detail15normal_iteratorINS9_10device_ptrIiEEEESE_i9plus_mod3IiEiEEDaPvRmT3_T4_T5_mT6_P12ihipStream_tbENKUlT_T0_E_clISt17integral_constantIbLb1EEST_IbLb0EEEEDaSP_SQ_EUlSP_E0_NS1_11comp_targetILNS1_3genE8ELNS1_11target_archE1030ELNS1_3gpuE2ELNS1_3repE0EEENS1_30default_config_static_selectorELNS0_4arch9wavefront6targetE1EEEvT1_
		.amdhsa_group_segment_fixed_size 0
		.amdhsa_private_segment_fixed_size 0
		.amdhsa_kernarg_size 40
		.amdhsa_user_sgpr_count 6
		.amdhsa_user_sgpr_private_segment_buffer 1
		.amdhsa_user_sgpr_dispatch_ptr 0
		.amdhsa_user_sgpr_queue_ptr 0
		.amdhsa_user_sgpr_kernarg_segment_ptr 1
		.amdhsa_user_sgpr_dispatch_id 0
		.amdhsa_user_sgpr_flat_scratch_init 0
		.amdhsa_user_sgpr_kernarg_preload_length 0
		.amdhsa_user_sgpr_kernarg_preload_offset 0
		.amdhsa_user_sgpr_private_segment_size 0
		.amdhsa_uses_dynamic_stack 0
		.amdhsa_system_sgpr_private_segment_wavefront_offset 0
		.amdhsa_system_sgpr_workgroup_id_x 1
		.amdhsa_system_sgpr_workgroup_id_y 0
		.amdhsa_system_sgpr_workgroup_id_z 0
		.amdhsa_system_sgpr_workgroup_info 0
		.amdhsa_system_vgpr_workitem_id 0
		.amdhsa_next_free_vgpr 1
		.amdhsa_next_free_sgpr 0
		.amdhsa_accum_offset 4
		.amdhsa_reserve_vcc 0
		.amdhsa_reserve_flat_scratch 0
		.amdhsa_float_round_mode_32 0
		.amdhsa_float_round_mode_16_64 0
		.amdhsa_float_denorm_mode_32 3
		.amdhsa_float_denorm_mode_16_64 3
		.amdhsa_dx10_clamp 1
		.amdhsa_ieee_mode 1
		.amdhsa_fp16_overflow 0
		.amdhsa_tg_split 0
		.amdhsa_exception_fp_ieee_invalid_op 0
		.amdhsa_exception_fp_denorm_src 0
		.amdhsa_exception_fp_ieee_div_zero 0
		.amdhsa_exception_fp_ieee_overflow 0
		.amdhsa_exception_fp_ieee_underflow 0
		.amdhsa_exception_fp_ieee_inexact 0
		.amdhsa_exception_int_div_zero 0
	.end_amdhsa_kernel
	.section	.text._ZN7rocprim17ROCPRIM_400000_NS6detail17trampoline_kernelINS0_14default_configENS1_20scan_config_selectorIiEEZZNS1_9scan_implILNS1_25lookback_scan_determinismE0ELb0ELb0ES3_N6thrust23THRUST_200600_302600_NS6detail15normal_iteratorINS9_10device_ptrIiEEEESE_i9plus_mod3IiEiEEDaPvRmT3_T4_T5_mT6_P12ihipStream_tbENKUlT_T0_E_clISt17integral_constantIbLb1EEST_IbLb0EEEEDaSP_SQ_EUlSP_E0_NS1_11comp_targetILNS1_3genE8ELNS1_11target_archE1030ELNS1_3gpuE2ELNS1_3repE0EEENS1_30default_config_static_selectorELNS0_4arch9wavefront6targetE1EEEvT1_,"axG",@progbits,_ZN7rocprim17ROCPRIM_400000_NS6detail17trampoline_kernelINS0_14default_configENS1_20scan_config_selectorIiEEZZNS1_9scan_implILNS1_25lookback_scan_determinismE0ELb0ELb0ES3_N6thrust23THRUST_200600_302600_NS6detail15normal_iteratorINS9_10device_ptrIiEEEESE_i9plus_mod3IiEiEEDaPvRmT3_T4_T5_mT6_P12ihipStream_tbENKUlT_T0_E_clISt17integral_constantIbLb1EEST_IbLb0EEEEDaSP_SQ_EUlSP_E0_NS1_11comp_targetILNS1_3genE8ELNS1_11target_archE1030ELNS1_3gpuE2ELNS1_3repE0EEENS1_30default_config_static_selectorELNS0_4arch9wavefront6targetE1EEEvT1_,comdat
.Lfunc_end6659:
	.size	_ZN7rocprim17ROCPRIM_400000_NS6detail17trampoline_kernelINS0_14default_configENS1_20scan_config_selectorIiEEZZNS1_9scan_implILNS1_25lookback_scan_determinismE0ELb0ELb0ES3_N6thrust23THRUST_200600_302600_NS6detail15normal_iteratorINS9_10device_ptrIiEEEESE_i9plus_mod3IiEiEEDaPvRmT3_T4_T5_mT6_P12ihipStream_tbENKUlT_T0_E_clISt17integral_constantIbLb1EEST_IbLb0EEEEDaSP_SQ_EUlSP_E0_NS1_11comp_targetILNS1_3genE8ELNS1_11target_archE1030ELNS1_3gpuE2ELNS1_3repE0EEENS1_30default_config_static_selectorELNS0_4arch9wavefront6targetE1EEEvT1_, .Lfunc_end6659-_ZN7rocprim17ROCPRIM_400000_NS6detail17trampoline_kernelINS0_14default_configENS1_20scan_config_selectorIiEEZZNS1_9scan_implILNS1_25lookback_scan_determinismE0ELb0ELb0ES3_N6thrust23THRUST_200600_302600_NS6detail15normal_iteratorINS9_10device_ptrIiEEEESE_i9plus_mod3IiEiEEDaPvRmT3_T4_T5_mT6_P12ihipStream_tbENKUlT_T0_E_clISt17integral_constantIbLb1EEST_IbLb0EEEEDaSP_SQ_EUlSP_E0_NS1_11comp_targetILNS1_3genE8ELNS1_11target_archE1030ELNS1_3gpuE2ELNS1_3repE0EEENS1_30default_config_static_selectorELNS0_4arch9wavefront6targetE1EEEvT1_
                                        ; -- End function
	.section	.AMDGPU.csdata,"",@progbits
; Kernel info:
; codeLenInByte = 0
; NumSgprs: 4
; NumVgprs: 0
; NumAgprs: 0
; TotalNumVgprs: 0
; ScratchSize: 0
; MemoryBound: 0
; FloatMode: 240
; IeeeMode: 1
; LDSByteSize: 0 bytes/workgroup (compile time only)
; SGPRBlocks: 0
; VGPRBlocks: 0
; NumSGPRsForWavesPerEU: 4
; NumVGPRsForWavesPerEU: 1
; AccumOffset: 4
; Occupancy: 8
; WaveLimiterHint : 0
; COMPUTE_PGM_RSRC2:SCRATCH_EN: 0
; COMPUTE_PGM_RSRC2:USER_SGPR: 6
; COMPUTE_PGM_RSRC2:TRAP_HANDLER: 0
; COMPUTE_PGM_RSRC2:TGID_X_EN: 1
; COMPUTE_PGM_RSRC2:TGID_Y_EN: 0
; COMPUTE_PGM_RSRC2:TGID_Z_EN: 0
; COMPUTE_PGM_RSRC2:TIDIG_COMP_CNT: 0
; COMPUTE_PGM_RSRC3_GFX90A:ACCUM_OFFSET: 0
; COMPUTE_PGM_RSRC3_GFX90A:TG_SPLIT: 0
	.section	.text._ZN7rocprim17ROCPRIM_400000_NS6detail17trampoline_kernelINS0_14default_configENS1_20scan_config_selectorIiEEZZNS1_9scan_implILNS1_25lookback_scan_determinismE0ELb0ELb0ES3_N6thrust23THRUST_200600_302600_NS6detail15normal_iteratorINS9_10device_ptrIiEEEESE_i9plus_mod3IiEiEEDaPvRmT3_T4_T5_mT6_P12ihipStream_tbENKUlT_T0_E_clISt17integral_constantIbLb0EEST_IbLb1EEEEDaSP_SQ_EUlSP_E_NS1_11comp_targetILNS1_3genE0ELNS1_11target_archE4294967295ELNS1_3gpuE0ELNS1_3repE0EEENS1_30default_config_static_selectorELNS0_4arch9wavefront6targetE1EEEvT1_,"axG",@progbits,_ZN7rocprim17ROCPRIM_400000_NS6detail17trampoline_kernelINS0_14default_configENS1_20scan_config_selectorIiEEZZNS1_9scan_implILNS1_25lookback_scan_determinismE0ELb0ELb0ES3_N6thrust23THRUST_200600_302600_NS6detail15normal_iteratorINS9_10device_ptrIiEEEESE_i9plus_mod3IiEiEEDaPvRmT3_T4_T5_mT6_P12ihipStream_tbENKUlT_T0_E_clISt17integral_constantIbLb0EEST_IbLb1EEEEDaSP_SQ_EUlSP_E_NS1_11comp_targetILNS1_3genE0ELNS1_11target_archE4294967295ELNS1_3gpuE0ELNS1_3repE0EEENS1_30default_config_static_selectorELNS0_4arch9wavefront6targetE1EEEvT1_,comdat
	.protected	_ZN7rocprim17ROCPRIM_400000_NS6detail17trampoline_kernelINS0_14default_configENS1_20scan_config_selectorIiEEZZNS1_9scan_implILNS1_25lookback_scan_determinismE0ELb0ELb0ES3_N6thrust23THRUST_200600_302600_NS6detail15normal_iteratorINS9_10device_ptrIiEEEESE_i9plus_mod3IiEiEEDaPvRmT3_T4_T5_mT6_P12ihipStream_tbENKUlT_T0_E_clISt17integral_constantIbLb0EEST_IbLb1EEEEDaSP_SQ_EUlSP_E_NS1_11comp_targetILNS1_3genE0ELNS1_11target_archE4294967295ELNS1_3gpuE0ELNS1_3repE0EEENS1_30default_config_static_selectorELNS0_4arch9wavefront6targetE1EEEvT1_ ; -- Begin function _ZN7rocprim17ROCPRIM_400000_NS6detail17trampoline_kernelINS0_14default_configENS1_20scan_config_selectorIiEEZZNS1_9scan_implILNS1_25lookback_scan_determinismE0ELb0ELb0ES3_N6thrust23THRUST_200600_302600_NS6detail15normal_iteratorINS9_10device_ptrIiEEEESE_i9plus_mod3IiEiEEDaPvRmT3_T4_T5_mT6_P12ihipStream_tbENKUlT_T0_E_clISt17integral_constantIbLb0EEST_IbLb1EEEEDaSP_SQ_EUlSP_E_NS1_11comp_targetILNS1_3genE0ELNS1_11target_archE4294967295ELNS1_3gpuE0ELNS1_3repE0EEENS1_30default_config_static_selectorELNS0_4arch9wavefront6targetE1EEEvT1_
	.globl	_ZN7rocprim17ROCPRIM_400000_NS6detail17trampoline_kernelINS0_14default_configENS1_20scan_config_selectorIiEEZZNS1_9scan_implILNS1_25lookback_scan_determinismE0ELb0ELb0ES3_N6thrust23THRUST_200600_302600_NS6detail15normal_iteratorINS9_10device_ptrIiEEEESE_i9plus_mod3IiEiEEDaPvRmT3_T4_T5_mT6_P12ihipStream_tbENKUlT_T0_E_clISt17integral_constantIbLb0EEST_IbLb1EEEEDaSP_SQ_EUlSP_E_NS1_11comp_targetILNS1_3genE0ELNS1_11target_archE4294967295ELNS1_3gpuE0ELNS1_3repE0EEENS1_30default_config_static_selectorELNS0_4arch9wavefront6targetE1EEEvT1_
	.p2align	8
	.type	_ZN7rocprim17ROCPRIM_400000_NS6detail17trampoline_kernelINS0_14default_configENS1_20scan_config_selectorIiEEZZNS1_9scan_implILNS1_25lookback_scan_determinismE0ELb0ELb0ES3_N6thrust23THRUST_200600_302600_NS6detail15normal_iteratorINS9_10device_ptrIiEEEESE_i9plus_mod3IiEiEEDaPvRmT3_T4_T5_mT6_P12ihipStream_tbENKUlT_T0_E_clISt17integral_constantIbLb0EEST_IbLb1EEEEDaSP_SQ_EUlSP_E_NS1_11comp_targetILNS1_3genE0ELNS1_11target_archE4294967295ELNS1_3gpuE0ELNS1_3repE0EEENS1_30default_config_static_selectorELNS0_4arch9wavefront6targetE1EEEvT1_,@function
_ZN7rocprim17ROCPRIM_400000_NS6detail17trampoline_kernelINS0_14default_configENS1_20scan_config_selectorIiEEZZNS1_9scan_implILNS1_25lookback_scan_determinismE0ELb0ELb0ES3_N6thrust23THRUST_200600_302600_NS6detail15normal_iteratorINS9_10device_ptrIiEEEESE_i9plus_mod3IiEiEEDaPvRmT3_T4_T5_mT6_P12ihipStream_tbENKUlT_T0_E_clISt17integral_constantIbLb0EEST_IbLb1EEEEDaSP_SQ_EUlSP_E_NS1_11comp_targetILNS1_3genE0ELNS1_11target_archE4294967295ELNS1_3gpuE0ELNS1_3repE0EEENS1_30default_config_static_selectorELNS0_4arch9wavefront6targetE1EEEvT1_: ; @_ZN7rocprim17ROCPRIM_400000_NS6detail17trampoline_kernelINS0_14default_configENS1_20scan_config_selectorIiEEZZNS1_9scan_implILNS1_25lookback_scan_determinismE0ELb0ELb0ES3_N6thrust23THRUST_200600_302600_NS6detail15normal_iteratorINS9_10device_ptrIiEEEESE_i9plus_mod3IiEiEEDaPvRmT3_T4_T5_mT6_P12ihipStream_tbENKUlT_T0_E_clISt17integral_constantIbLb0EEST_IbLb1EEEEDaSP_SQ_EUlSP_E_NS1_11comp_targetILNS1_3genE0ELNS1_11target_archE4294967295ELNS1_3gpuE0ELNS1_3repE0EEENS1_30default_config_static_selectorELNS0_4arch9wavefront6targetE1EEEvT1_
; %bb.0:
	.section	.rodata,"a",@progbits
	.p2align	6, 0x0
	.amdhsa_kernel _ZN7rocprim17ROCPRIM_400000_NS6detail17trampoline_kernelINS0_14default_configENS1_20scan_config_selectorIiEEZZNS1_9scan_implILNS1_25lookback_scan_determinismE0ELb0ELb0ES3_N6thrust23THRUST_200600_302600_NS6detail15normal_iteratorINS9_10device_ptrIiEEEESE_i9plus_mod3IiEiEEDaPvRmT3_T4_T5_mT6_P12ihipStream_tbENKUlT_T0_E_clISt17integral_constantIbLb0EEST_IbLb1EEEEDaSP_SQ_EUlSP_E_NS1_11comp_targetILNS1_3genE0ELNS1_11target_archE4294967295ELNS1_3gpuE0ELNS1_3repE0EEENS1_30default_config_static_selectorELNS0_4arch9wavefront6targetE1EEEvT1_
		.amdhsa_group_segment_fixed_size 0
		.amdhsa_private_segment_fixed_size 0
		.amdhsa_kernarg_size 104
		.amdhsa_user_sgpr_count 6
		.amdhsa_user_sgpr_private_segment_buffer 1
		.amdhsa_user_sgpr_dispatch_ptr 0
		.amdhsa_user_sgpr_queue_ptr 0
		.amdhsa_user_sgpr_kernarg_segment_ptr 1
		.amdhsa_user_sgpr_dispatch_id 0
		.amdhsa_user_sgpr_flat_scratch_init 0
		.amdhsa_user_sgpr_kernarg_preload_length 0
		.amdhsa_user_sgpr_kernarg_preload_offset 0
		.amdhsa_user_sgpr_private_segment_size 0
		.amdhsa_uses_dynamic_stack 0
		.amdhsa_system_sgpr_private_segment_wavefront_offset 0
		.amdhsa_system_sgpr_workgroup_id_x 1
		.amdhsa_system_sgpr_workgroup_id_y 0
		.amdhsa_system_sgpr_workgroup_id_z 0
		.amdhsa_system_sgpr_workgroup_info 0
		.amdhsa_system_vgpr_workitem_id 0
		.amdhsa_next_free_vgpr 1
		.amdhsa_next_free_sgpr 0
		.amdhsa_accum_offset 4
		.amdhsa_reserve_vcc 0
		.amdhsa_reserve_flat_scratch 0
		.amdhsa_float_round_mode_32 0
		.amdhsa_float_round_mode_16_64 0
		.amdhsa_float_denorm_mode_32 3
		.amdhsa_float_denorm_mode_16_64 3
		.amdhsa_dx10_clamp 1
		.amdhsa_ieee_mode 1
		.amdhsa_fp16_overflow 0
		.amdhsa_tg_split 0
		.amdhsa_exception_fp_ieee_invalid_op 0
		.amdhsa_exception_fp_denorm_src 0
		.amdhsa_exception_fp_ieee_div_zero 0
		.amdhsa_exception_fp_ieee_overflow 0
		.amdhsa_exception_fp_ieee_underflow 0
		.amdhsa_exception_fp_ieee_inexact 0
		.amdhsa_exception_int_div_zero 0
	.end_amdhsa_kernel
	.section	.text._ZN7rocprim17ROCPRIM_400000_NS6detail17trampoline_kernelINS0_14default_configENS1_20scan_config_selectorIiEEZZNS1_9scan_implILNS1_25lookback_scan_determinismE0ELb0ELb0ES3_N6thrust23THRUST_200600_302600_NS6detail15normal_iteratorINS9_10device_ptrIiEEEESE_i9plus_mod3IiEiEEDaPvRmT3_T4_T5_mT6_P12ihipStream_tbENKUlT_T0_E_clISt17integral_constantIbLb0EEST_IbLb1EEEEDaSP_SQ_EUlSP_E_NS1_11comp_targetILNS1_3genE0ELNS1_11target_archE4294967295ELNS1_3gpuE0ELNS1_3repE0EEENS1_30default_config_static_selectorELNS0_4arch9wavefront6targetE1EEEvT1_,"axG",@progbits,_ZN7rocprim17ROCPRIM_400000_NS6detail17trampoline_kernelINS0_14default_configENS1_20scan_config_selectorIiEEZZNS1_9scan_implILNS1_25lookback_scan_determinismE0ELb0ELb0ES3_N6thrust23THRUST_200600_302600_NS6detail15normal_iteratorINS9_10device_ptrIiEEEESE_i9plus_mod3IiEiEEDaPvRmT3_T4_T5_mT6_P12ihipStream_tbENKUlT_T0_E_clISt17integral_constantIbLb0EEST_IbLb1EEEEDaSP_SQ_EUlSP_E_NS1_11comp_targetILNS1_3genE0ELNS1_11target_archE4294967295ELNS1_3gpuE0ELNS1_3repE0EEENS1_30default_config_static_selectorELNS0_4arch9wavefront6targetE1EEEvT1_,comdat
.Lfunc_end6660:
	.size	_ZN7rocprim17ROCPRIM_400000_NS6detail17trampoline_kernelINS0_14default_configENS1_20scan_config_selectorIiEEZZNS1_9scan_implILNS1_25lookback_scan_determinismE0ELb0ELb0ES3_N6thrust23THRUST_200600_302600_NS6detail15normal_iteratorINS9_10device_ptrIiEEEESE_i9plus_mod3IiEiEEDaPvRmT3_T4_T5_mT6_P12ihipStream_tbENKUlT_T0_E_clISt17integral_constantIbLb0EEST_IbLb1EEEEDaSP_SQ_EUlSP_E_NS1_11comp_targetILNS1_3genE0ELNS1_11target_archE4294967295ELNS1_3gpuE0ELNS1_3repE0EEENS1_30default_config_static_selectorELNS0_4arch9wavefront6targetE1EEEvT1_, .Lfunc_end6660-_ZN7rocprim17ROCPRIM_400000_NS6detail17trampoline_kernelINS0_14default_configENS1_20scan_config_selectorIiEEZZNS1_9scan_implILNS1_25lookback_scan_determinismE0ELb0ELb0ES3_N6thrust23THRUST_200600_302600_NS6detail15normal_iteratorINS9_10device_ptrIiEEEESE_i9plus_mod3IiEiEEDaPvRmT3_T4_T5_mT6_P12ihipStream_tbENKUlT_T0_E_clISt17integral_constantIbLb0EEST_IbLb1EEEEDaSP_SQ_EUlSP_E_NS1_11comp_targetILNS1_3genE0ELNS1_11target_archE4294967295ELNS1_3gpuE0ELNS1_3repE0EEENS1_30default_config_static_selectorELNS0_4arch9wavefront6targetE1EEEvT1_
                                        ; -- End function
	.section	.AMDGPU.csdata,"",@progbits
; Kernel info:
; codeLenInByte = 0
; NumSgprs: 4
; NumVgprs: 0
; NumAgprs: 0
; TotalNumVgprs: 0
; ScratchSize: 0
; MemoryBound: 0
; FloatMode: 240
; IeeeMode: 1
; LDSByteSize: 0 bytes/workgroup (compile time only)
; SGPRBlocks: 0
; VGPRBlocks: 0
; NumSGPRsForWavesPerEU: 4
; NumVGPRsForWavesPerEU: 1
; AccumOffset: 4
; Occupancy: 8
; WaveLimiterHint : 0
; COMPUTE_PGM_RSRC2:SCRATCH_EN: 0
; COMPUTE_PGM_RSRC2:USER_SGPR: 6
; COMPUTE_PGM_RSRC2:TRAP_HANDLER: 0
; COMPUTE_PGM_RSRC2:TGID_X_EN: 1
; COMPUTE_PGM_RSRC2:TGID_Y_EN: 0
; COMPUTE_PGM_RSRC2:TGID_Z_EN: 0
; COMPUTE_PGM_RSRC2:TIDIG_COMP_CNT: 0
; COMPUTE_PGM_RSRC3_GFX90A:ACCUM_OFFSET: 0
; COMPUTE_PGM_RSRC3_GFX90A:TG_SPLIT: 0
	.section	.text._ZN7rocprim17ROCPRIM_400000_NS6detail17trampoline_kernelINS0_14default_configENS1_20scan_config_selectorIiEEZZNS1_9scan_implILNS1_25lookback_scan_determinismE0ELb0ELb0ES3_N6thrust23THRUST_200600_302600_NS6detail15normal_iteratorINS9_10device_ptrIiEEEESE_i9plus_mod3IiEiEEDaPvRmT3_T4_T5_mT6_P12ihipStream_tbENKUlT_T0_E_clISt17integral_constantIbLb0EEST_IbLb1EEEEDaSP_SQ_EUlSP_E_NS1_11comp_targetILNS1_3genE5ELNS1_11target_archE942ELNS1_3gpuE9ELNS1_3repE0EEENS1_30default_config_static_selectorELNS0_4arch9wavefront6targetE1EEEvT1_,"axG",@progbits,_ZN7rocprim17ROCPRIM_400000_NS6detail17trampoline_kernelINS0_14default_configENS1_20scan_config_selectorIiEEZZNS1_9scan_implILNS1_25lookback_scan_determinismE0ELb0ELb0ES3_N6thrust23THRUST_200600_302600_NS6detail15normal_iteratorINS9_10device_ptrIiEEEESE_i9plus_mod3IiEiEEDaPvRmT3_T4_T5_mT6_P12ihipStream_tbENKUlT_T0_E_clISt17integral_constantIbLb0EEST_IbLb1EEEEDaSP_SQ_EUlSP_E_NS1_11comp_targetILNS1_3genE5ELNS1_11target_archE942ELNS1_3gpuE9ELNS1_3repE0EEENS1_30default_config_static_selectorELNS0_4arch9wavefront6targetE1EEEvT1_,comdat
	.protected	_ZN7rocprim17ROCPRIM_400000_NS6detail17trampoline_kernelINS0_14default_configENS1_20scan_config_selectorIiEEZZNS1_9scan_implILNS1_25lookback_scan_determinismE0ELb0ELb0ES3_N6thrust23THRUST_200600_302600_NS6detail15normal_iteratorINS9_10device_ptrIiEEEESE_i9plus_mod3IiEiEEDaPvRmT3_T4_T5_mT6_P12ihipStream_tbENKUlT_T0_E_clISt17integral_constantIbLb0EEST_IbLb1EEEEDaSP_SQ_EUlSP_E_NS1_11comp_targetILNS1_3genE5ELNS1_11target_archE942ELNS1_3gpuE9ELNS1_3repE0EEENS1_30default_config_static_selectorELNS0_4arch9wavefront6targetE1EEEvT1_ ; -- Begin function _ZN7rocprim17ROCPRIM_400000_NS6detail17trampoline_kernelINS0_14default_configENS1_20scan_config_selectorIiEEZZNS1_9scan_implILNS1_25lookback_scan_determinismE0ELb0ELb0ES3_N6thrust23THRUST_200600_302600_NS6detail15normal_iteratorINS9_10device_ptrIiEEEESE_i9plus_mod3IiEiEEDaPvRmT3_T4_T5_mT6_P12ihipStream_tbENKUlT_T0_E_clISt17integral_constantIbLb0EEST_IbLb1EEEEDaSP_SQ_EUlSP_E_NS1_11comp_targetILNS1_3genE5ELNS1_11target_archE942ELNS1_3gpuE9ELNS1_3repE0EEENS1_30default_config_static_selectorELNS0_4arch9wavefront6targetE1EEEvT1_
	.globl	_ZN7rocprim17ROCPRIM_400000_NS6detail17trampoline_kernelINS0_14default_configENS1_20scan_config_selectorIiEEZZNS1_9scan_implILNS1_25lookback_scan_determinismE0ELb0ELb0ES3_N6thrust23THRUST_200600_302600_NS6detail15normal_iteratorINS9_10device_ptrIiEEEESE_i9plus_mod3IiEiEEDaPvRmT3_T4_T5_mT6_P12ihipStream_tbENKUlT_T0_E_clISt17integral_constantIbLb0EEST_IbLb1EEEEDaSP_SQ_EUlSP_E_NS1_11comp_targetILNS1_3genE5ELNS1_11target_archE942ELNS1_3gpuE9ELNS1_3repE0EEENS1_30default_config_static_selectorELNS0_4arch9wavefront6targetE1EEEvT1_
	.p2align	8
	.type	_ZN7rocprim17ROCPRIM_400000_NS6detail17trampoline_kernelINS0_14default_configENS1_20scan_config_selectorIiEEZZNS1_9scan_implILNS1_25lookback_scan_determinismE0ELb0ELb0ES3_N6thrust23THRUST_200600_302600_NS6detail15normal_iteratorINS9_10device_ptrIiEEEESE_i9plus_mod3IiEiEEDaPvRmT3_T4_T5_mT6_P12ihipStream_tbENKUlT_T0_E_clISt17integral_constantIbLb0EEST_IbLb1EEEEDaSP_SQ_EUlSP_E_NS1_11comp_targetILNS1_3genE5ELNS1_11target_archE942ELNS1_3gpuE9ELNS1_3repE0EEENS1_30default_config_static_selectorELNS0_4arch9wavefront6targetE1EEEvT1_,@function
_ZN7rocprim17ROCPRIM_400000_NS6detail17trampoline_kernelINS0_14default_configENS1_20scan_config_selectorIiEEZZNS1_9scan_implILNS1_25lookback_scan_determinismE0ELb0ELb0ES3_N6thrust23THRUST_200600_302600_NS6detail15normal_iteratorINS9_10device_ptrIiEEEESE_i9plus_mod3IiEiEEDaPvRmT3_T4_T5_mT6_P12ihipStream_tbENKUlT_T0_E_clISt17integral_constantIbLb0EEST_IbLb1EEEEDaSP_SQ_EUlSP_E_NS1_11comp_targetILNS1_3genE5ELNS1_11target_archE942ELNS1_3gpuE9ELNS1_3repE0EEENS1_30default_config_static_selectorELNS0_4arch9wavefront6targetE1EEEvT1_: ; @_ZN7rocprim17ROCPRIM_400000_NS6detail17trampoline_kernelINS0_14default_configENS1_20scan_config_selectorIiEEZZNS1_9scan_implILNS1_25lookback_scan_determinismE0ELb0ELb0ES3_N6thrust23THRUST_200600_302600_NS6detail15normal_iteratorINS9_10device_ptrIiEEEESE_i9plus_mod3IiEiEEDaPvRmT3_T4_T5_mT6_P12ihipStream_tbENKUlT_T0_E_clISt17integral_constantIbLb0EEST_IbLb1EEEEDaSP_SQ_EUlSP_E_NS1_11comp_targetILNS1_3genE5ELNS1_11target_archE942ELNS1_3gpuE9ELNS1_3repE0EEENS1_30default_config_static_selectorELNS0_4arch9wavefront6targetE1EEEvT1_
; %bb.0:
	.section	.rodata,"a",@progbits
	.p2align	6, 0x0
	.amdhsa_kernel _ZN7rocprim17ROCPRIM_400000_NS6detail17trampoline_kernelINS0_14default_configENS1_20scan_config_selectorIiEEZZNS1_9scan_implILNS1_25lookback_scan_determinismE0ELb0ELb0ES3_N6thrust23THRUST_200600_302600_NS6detail15normal_iteratorINS9_10device_ptrIiEEEESE_i9plus_mod3IiEiEEDaPvRmT3_T4_T5_mT6_P12ihipStream_tbENKUlT_T0_E_clISt17integral_constantIbLb0EEST_IbLb1EEEEDaSP_SQ_EUlSP_E_NS1_11comp_targetILNS1_3genE5ELNS1_11target_archE942ELNS1_3gpuE9ELNS1_3repE0EEENS1_30default_config_static_selectorELNS0_4arch9wavefront6targetE1EEEvT1_
		.amdhsa_group_segment_fixed_size 0
		.amdhsa_private_segment_fixed_size 0
		.amdhsa_kernarg_size 104
		.amdhsa_user_sgpr_count 6
		.amdhsa_user_sgpr_private_segment_buffer 1
		.amdhsa_user_sgpr_dispatch_ptr 0
		.amdhsa_user_sgpr_queue_ptr 0
		.amdhsa_user_sgpr_kernarg_segment_ptr 1
		.amdhsa_user_sgpr_dispatch_id 0
		.amdhsa_user_sgpr_flat_scratch_init 0
		.amdhsa_user_sgpr_kernarg_preload_length 0
		.amdhsa_user_sgpr_kernarg_preload_offset 0
		.amdhsa_user_sgpr_private_segment_size 0
		.amdhsa_uses_dynamic_stack 0
		.amdhsa_system_sgpr_private_segment_wavefront_offset 0
		.amdhsa_system_sgpr_workgroup_id_x 1
		.amdhsa_system_sgpr_workgroup_id_y 0
		.amdhsa_system_sgpr_workgroup_id_z 0
		.amdhsa_system_sgpr_workgroup_info 0
		.amdhsa_system_vgpr_workitem_id 0
		.amdhsa_next_free_vgpr 1
		.amdhsa_next_free_sgpr 0
		.amdhsa_accum_offset 4
		.amdhsa_reserve_vcc 0
		.amdhsa_reserve_flat_scratch 0
		.amdhsa_float_round_mode_32 0
		.amdhsa_float_round_mode_16_64 0
		.amdhsa_float_denorm_mode_32 3
		.amdhsa_float_denorm_mode_16_64 3
		.amdhsa_dx10_clamp 1
		.amdhsa_ieee_mode 1
		.amdhsa_fp16_overflow 0
		.amdhsa_tg_split 0
		.amdhsa_exception_fp_ieee_invalid_op 0
		.amdhsa_exception_fp_denorm_src 0
		.amdhsa_exception_fp_ieee_div_zero 0
		.amdhsa_exception_fp_ieee_overflow 0
		.amdhsa_exception_fp_ieee_underflow 0
		.amdhsa_exception_fp_ieee_inexact 0
		.amdhsa_exception_int_div_zero 0
	.end_amdhsa_kernel
	.section	.text._ZN7rocprim17ROCPRIM_400000_NS6detail17trampoline_kernelINS0_14default_configENS1_20scan_config_selectorIiEEZZNS1_9scan_implILNS1_25lookback_scan_determinismE0ELb0ELb0ES3_N6thrust23THRUST_200600_302600_NS6detail15normal_iteratorINS9_10device_ptrIiEEEESE_i9plus_mod3IiEiEEDaPvRmT3_T4_T5_mT6_P12ihipStream_tbENKUlT_T0_E_clISt17integral_constantIbLb0EEST_IbLb1EEEEDaSP_SQ_EUlSP_E_NS1_11comp_targetILNS1_3genE5ELNS1_11target_archE942ELNS1_3gpuE9ELNS1_3repE0EEENS1_30default_config_static_selectorELNS0_4arch9wavefront6targetE1EEEvT1_,"axG",@progbits,_ZN7rocprim17ROCPRIM_400000_NS6detail17trampoline_kernelINS0_14default_configENS1_20scan_config_selectorIiEEZZNS1_9scan_implILNS1_25lookback_scan_determinismE0ELb0ELb0ES3_N6thrust23THRUST_200600_302600_NS6detail15normal_iteratorINS9_10device_ptrIiEEEESE_i9plus_mod3IiEiEEDaPvRmT3_T4_T5_mT6_P12ihipStream_tbENKUlT_T0_E_clISt17integral_constantIbLb0EEST_IbLb1EEEEDaSP_SQ_EUlSP_E_NS1_11comp_targetILNS1_3genE5ELNS1_11target_archE942ELNS1_3gpuE9ELNS1_3repE0EEENS1_30default_config_static_selectorELNS0_4arch9wavefront6targetE1EEEvT1_,comdat
.Lfunc_end6661:
	.size	_ZN7rocprim17ROCPRIM_400000_NS6detail17trampoline_kernelINS0_14default_configENS1_20scan_config_selectorIiEEZZNS1_9scan_implILNS1_25lookback_scan_determinismE0ELb0ELb0ES3_N6thrust23THRUST_200600_302600_NS6detail15normal_iteratorINS9_10device_ptrIiEEEESE_i9plus_mod3IiEiEEDaPvRmT3_T4_T5_mT6_P12ihipStream_tbENKUlT_T0_E_clISt17integral_constantIbLb0EEST_IbLb1EEEEDaSP_SQ_EUlSP_E_NS1_11comp_targetILNS1_3genE5ELNS1_11target_archE942ELNS1_3gpuE9ELNS1_3repE0EEENS1_30default_config_static_selectorELNS0_4arch9wavefront6targetE1EEEvT1_, .Lfunc_end6661-_ZN7rocprim17ROCPRIM_400000_NS6detail17trampoline_kernelINS0_14default_configENS1_20scan_config_selectorIiEEZZNS1_9scan_implILNS1_25lookback_scan_determinismE0ELb0ELb0ES3_N6thrust23THRUST_200600_302600_NS6detail15normal_iteratorINS9_10device_ptrIiEEEESE_i9plus_mod3IiEiEEDaPvRmT3_T4_T5_mT6_P12ihipStream_tbENKUlT_T0_E_clISt17integral_constantIbLb0EEST_IbLb1EEEEDaSP_SQ_EUlSP_E_NS1_11comp_targetILNS1_3genE5ELNS1_11target_archE942ELNS1_3gpuE9ELNS1_3repE0EEENS1_30default_config_static_selectorELNS0_4arch9wavefront6targetE1EEEvT1_
                                        ; -- End function
	.section	.AMDGPU.csdata,"",@progbits
; Kernel info:
; codeLenInByte = 0
; NumSgprs: 4
; NumVgprs: 0
; NumAgprs: 0
; TotalNumVgprs: 0
; ScratchSize: 0
; MemoryBound: 0
; FloatMode: 240
; IeeeMode: 1
; LDSByteSize: 0 bytes/workgroup (compile time only)
; SGPRBlocks: 0
; VGPRBlocks: 0
; NumSGPRsForWavesPerEU: 4
; NumVGPRsForWavesPerEU: 1
; AccumOffset: 4
; Occupancy: 8
; WaveLimiterHint : 0
; COMPUTE_PGM_RSRC2:SCRATCH_EN: 0
; COMPUTE_PGM_RSRC2:USER_SGPR: 6
; COMPUTE_PGM_RSRC2:TRAP_HANDLER: 0
; COMPUTE_PGM_RSRC2:TGID_X_EN: 1
; COMPUTE_PGM_RSRC2:TGID_Y_EN: 0
; COMPUTE_PGM_RSRC2:TGID_Z_EN: 0
; COMPUTE_PGM_RSRC2:TIDIG_COMP_CNT: 0
; COMPUTE_PGM_RSRC3_GFX90A:ACCUM_OFFSET: 0
; COMPUTE_PGM_RSRC3_GFX90A:TG_SPLIT: 0
	.section	.text._ZN7rocprim17ROCPRIM_400000_NS6detail17trampoline_kernelINS0_14default_configENS1_20scan_config_selectorIiEEZZNS1_9scan_implILNS1_25lookback_scan_determinismE0ELb0ELb0ES3_N6thrust23THRUST_200600_302600_NS6detail15normal_iteratorINS9_10device_ptrIiEEEESE_i9plus_mod3IiEiEEDaPvRmT3_T4_T5_mT6_P12ihipStream_tbENKUlT_T0_E_clISt17integral_constantIbLb0EEST_IbLb1EEEEDaSP_SQ_EUlSP_E_NS1_11comp_targetILNS1_3genE4ELNS1_11target_archE910ELNS1_3gpuE8ELNS1_3repE0EEENS1_30default_config_static_selectorELNS0_4arch9wavefront6targetE1EEEvT1_,"axG",@progbits,_ZN7rocprim17ROCPRIM_400000_NS6detail17trampoline_kernelINS0_14default_configENS1_20scan_config_selectorIiEEZZNS1_9scan_implILNS1_25lookback_scan_determinismE0ELb0ELb0ES3_N6thrust23THRUST_200600_302600_NS6detail15normal_iteratorINS9_10device_ptrIiEEEESE_i9plus_mod3IiEiEEDaPvRmT3_T4_T5_mT6_P12ihipStream_tbENKUlT_T0_E_clISt17integral_constantIbLb0EEST_IbLb1EEEEDaSP_SQ_EUlSP_E_NS1_11comp_targetILNS1_3genE4ELNS1_11target_archE910ELNS1_3gpuE8ELNS1_3repE0EEENS1_30default_config_static_selectorELNS0_4arch9wavefront6targetE1EEEvT1_,comdat
	.protected	_ZN7rocprim17ROCPRIM_400000_NS6detail17trampoline_kernelINS0_14default_configENS1_20scan_config_selectorIiEEZZNS1_9scan_implILNS1_25lookback_scan_determinismE0ELb0ELb0ES3_N6thrust23THRUST_200600_302600_NS6detail15normal_iteratorINS9_10device_ptrIiEEEESE_i9plus_mod3IiEiEEDaPvRmT3_T4_T5_mT6_P12ihipStream_tbENKUlT_T0_E_clISt17integral_constantIbLb0EEST_IbLb1EEEEDaSP_SQ_EUlSP_E_NS1_11comp_targetILNS1_3genE4ELNS1_11target_archE910ELNS1_3gpuE8ELNS1_3repE0EEENS1_30default_config_static_selectorELNS0_4arch9wavefront6targetE1EEEvT1_ ; -- Begin function _ZN7rocprim17ROCPRIM_400000_NS6detail17trampoline_kernelINS0_14default_configENS1_20scan_config_selectorIiEEZZNS1_9scan_implILNS1_25lookback_scan_determinismE0ELb0ELb0ES3_N6thrust23THRUST_200600_302600_NS6detail15normal_iteratorINS9_10device_ptrIiEEEESE_i9plus_mod3IiEiEEDaPvRmT3_T4_T5_mT6_P12ihipStream_tbENKUlT_T0_E_clISt17integral_constantIbLb0EEST_IbLb1EEEEDaSP_SQ_EUlSP_E_NS1_11comp_targetILNS1_3genE4ELNS1_11target_archE910ELNS1_3gpuE8ELNS1_3repE0EEENS1_30default_config_static_selectorELNS0_4arch9wavefront6targetE1EEEvT1_
	.globl	_ZN7rocprim17ROCPRIM_400000_NS6detail17trampoline_kernelINS0_14default_configENS1_20scan_config_selectorIiEEZZNS1_9scan_implILNS1_25lookback_scan_determinismE0ELb0ELb0ES3_N6thrust23THRUST_200600_302600_NS6detail15normal_iteratorINS9_10device_ptrIiEEEESE_i9plus_mod3IiEiEEDaPvRmT3_T4_T5_mT6_P12ihipStream_tbENKUlT_T0_E_clISt17integral_constantIbLb0EEST_IbLb1EEEEDaSP_SQ_EUlSP_E_NS1_11comp_targetILNS1_3genE4ELNS1_11target_archE910ELNS1_3gpuE8ELNS1_3repE0EEENS1_30default_config_static_selectorELNS0_4arch9wavefront6targetE1EEEvT1_
	.p2align	8
	.type	_ZN7rocprim17ROCPRIM_400000_NS6detail17trampoline_kernelINS0_14default_configENS1_20scan_config_selectorIiEEZZNS1_9scan_implILNS1_25lookback_scan_determinismE0ELb0ELb0ES3_N6thrust23THRUST_200600_302600_NS6detail15normal_iteratorINS9_10device_ptrIiEEEESE_i9plus_mod3IiEiEEDaPvRmT3_T4_T5_mT6_P12ihipStream_tbENKUlT_T0_E_clISt17integral_constantIbLb0EEST_IbLb1EEEEDaSP_SQ_EUlSP_E_NS1_11comp_targetILNS1_3genE4ELNS1_11target_archE910ELNS1_3gpuE8ELNS1_3repE0EEENS1_30default_config_static_selectorELNS0_4arch9wavefront6targetE1EEEvT1_,@function
_ZN7rocprim17ROCPRIM_400000_NS6detail17trampoline_kernelINS0_14default_configENS1_20scan_config_selectorIiEEZZNS1_9scan_implILNS1_25lookback_scan_determinismE0ELb0ELb0ES3_N6thrust23THRUST_200600_302600_NS6detail15normal_iteratorINS9_10device_ptrIiEEEESE_i9plus_mod3IiEiEEDaPvRmT3_T4_T5_mT6_P12ihipStream_tbENKUlT_T0_E_clISt17integral_constantIbLb0EEST_IbLb1EEEEDaSP_SQ_EUlSP_E_NS1_11comp_targetILNS1_3genE4ELNS1_11target_archE910ELNS1_3gpuE8ELNS1_3repE0EEENS1_30default_config_static_selectorELNS0_4arch9wavefront6targetE1EEEvT1_: ; @_ZN7rocprim17ROCPRIM_400000_NS6detail17trampoline_kernelINS0_14default_configENS1_20scan_config_selectorIiEEZZNS1_9scan_implILNS1_25lookback_scan_determinismE0ELb0ELb0ES3_N6thrust23THRUST_200600_302600_NS6detail15normal_iteratorINS9_10device_ptrIiEEEESE_i9plus_mod3IiEiEEDaPvRmT3_T4_T5_mT6_P12ihipStream_tbENKUlT_T0_E_clISt17integral_constantIbLb0EEST_IbLb1EEEEDaSP_SQ_EUlSP_E_NS1_11comp_targetILNS1_3genE4ELNS1_11target_archE910ELNS1_3gpuE8ELNS1_3repE0EEENS1_30default_config_static_selectorELNS0_4arch9wavefront6targetE1EEEvT1_
; %bb.0:
	v_cmp_ne_u32_e64 s[0:1], 0, v0
	v_cmp_eq_u32_e64 s[2:3], 0, v0
	s_and_saveexec_b64 s[6:7], s[2:3]
	s_cbranch_execz .LBB6662_4
; %bb.1:
	s_mov_b64 s[10:11], exec
	v_mbcnt_lo_u32_b32 v1, s10, 0
	v_mbcnt_hi_u32_b32 v1, s11, v1
	v_cmp_eq_u32_e32 vcc, 0, v1
                                        ; implicit-def: $vgpr2
	s_and_saveexec_b64 s[8:9], vcc
	s_cbranch_execz .LBB6662_3
; %bb.2:
	s_load_dwordx2 s[12:13], s[4:5], 0x60
	s_bcnt1_i32_b64 s10, s[10:11]
	v_mov_b32_e32 v2, 0
	v_mov_b32_e32 v3, s10
	s_waitcnt lgkmcnt(0)
	global_atomic_add v2, v2, v3, s[12:13] glc
.LBB6662_3:
	s_or_b64 exec, exec, s[8:9]
	s_waitcnt vmcnt(0)
	v_readfirstlane_b32 s8, v2
	v_add_u32_e32 v1, s8, v1
	v_mov_b32_e32 v2, 0
	ds_write_b32 v2, v1
.LBB6662_4:
	s_or_b64 exec, exec, s[6:7]
	s_load_dwordx8 s[16:23], s[4:5], 0x0
	s_load_dwordx4 s[24:27], s[4:5], 0x28
	s_load_dword s28, s[4:5], 0x38
	s_load_dwordx8 s[8:15], s[4:5], 0x40
	v_mov_b32_e32 v1, 0
	s_waitcnt lgkmcnt(0)
	s_barrier
	ds_read_b32 v1, v1
	s_lshl_b64 s[6:7], s[18:19], 2
	s_add_u32 s29, s16, s6
	s_addc_u32 s30, s17, s7
	s_add_i32 s16, s28, -1
	s_mul_i32 s17, s16, 0x500
	s_sub_u32 s33, s22, s17
	s_waitcnt lgkmcnt(0)
	v_readfirstlane_b32 s41, v1
	s_subb_u32 s40, s23, 0
	s_mul_i32 s4, s41, 0x500
	s_mov_b32 s5, 0
	s_cmp_lg_u32 s41, s16
	s_cselect_b64 s[16:17], -1, 0
	s_lshl_b64 s[18:19], s[4:5], 2
	s_add_u32 s22, s29, s18
	s_addc_u32 s23, s30, s19
	s_mov_b64 s[4:5], -1
	s_and_b64 vcc, exec, s[16:17]
	v_lshlrev_b32_e32 v22, 2, v0
	s_barrier
	s_cbranch_vccz .LBB6662_6
; %bb.5:
	v_mov_b32_e32 v1, s23
	v_add_co_u32_e32 v2, vcc, s22, v22
	v_addc_co_u32_e32 v3, vcc, 0, v1, vcc
	flat_load_dword v1, v[2:3]
	flat_load_dword v4, v[2:3] offset:512
	flat_load_dword v5, v[2:3] offset:1024
	;; [unrolled: 1-line block ×7, first 2 shown]
	v_add_co_u32_e32 v2, vcc, 0x1000, v2
	v_addc_co_u32_e32 v3, vcc, 0, v3, vcc
	flat_load_dword v11, v[2:3]
	flat_load_dword v12, v[2:3] offset:512
	s_mov_b64 s[4:5], 0
	s_waitcnt vmcnt(0) lgkmcnt(0)
	ds_write2st64_b32 v22, v1, v4 offset1:2
	ds_write2st64_b32 v22, v5, v6 offset0:4 offset1:6
	ds_write2st64_b32 v22, v7, v8 offset0:8 offset1:10
	;; [unrolled: 1-line block ×4, first 2 shown]
	s_waitcnt lgkmcnt(0)
	s_barrier
.LBB6662_6:
	s_andn2_b64 vcc, exec, s[4:5]
	v_cmp_gt_u32_e64 s[4:5], s33, v0
	s_cbranch_vccnz .LBB6662_28
; %bb.7:
	v_pk_mov_b32 v[2:3], s[22:23], s[22:23] op_sel:[0,1]
	flat_load_dword v1, v[2:3]
	s_waitcnt vmcnt(0) lgkmcnt(0)
	v_mov_b32_e32 v2, v1
	v_mov_b32_e32 v3, v1
	;; [unrolled: 1-line block ×9, first 2 shown]
	s_and_saveexec_b64 s[28:29], s[4:5]
	s_cbranch_execz .LBB6662_9
; %bb.8:
	v_mov_b32_e32 v11, s23
	v_add_co_u32_e32 v10, vcc, s22, v22
	v_addc_co_u32_e32 v11, vcc, 0, v11, vcc
	flat_load_dword v10, v[10:11]
.LBB6662_9:
	s_or_b64 exec, exec, s[28:29]
	v_or_b32_e32 v11, 0x80, v0
	v_cmp_gt_u32_e32 vcc, s33, v11
	s_and_saveexec_b64 s[4:5], vcc
	s_cbranch_execz .LBB6662_11
; %bb.10:
	v_mov_b32_e32 v1, s23
	v_add_co_u32_e32 v12, vcc, s22, v22
	v_addc_co_u32_e32 v13, vcc, 0, v1, vcc
	flat_load_dword v1, v[12:13] offset:512
.LBB6662_11:
	s_or_b64 exec, exec, s[4:5]
	v_or_b32_e32 v11, 0x100, v0
	v_cmp_gt_u32_e32 vcc, s33, v11
	s_and_saveexec_b64 s[4:5], vcc
	s_cbranch_execz .LBB6662_13
; %bb.12:
	v_mov_b32_e32 v2, s23
	v_add_co_u32_e32 v12, vcc, s22, v22
	v_addc_co_u32_e32 v13, vcc, 0, v2, vcc
	flat_load_dword v2, v[12:13] offset:1024
.LBB6662_13:
	;; [unrolled: 11-line block ×7, first 2 shown]
	s_or_b64 exec, exec, s[4:5]
	v_or_b32_e32 v11, 0x400, v0
	v_cmp_gt_u32_e32 vcc, s33, v11
	s_and_saveexec_b64 s[4:5], vcc
	s_cbranch_execz .LBB6662_25
; %bb.24:
	v_lshlrev_b32_e32 v8, 2, v11
	v_mov_b32_e32 v11, s23
	v_add_co_u32_e32 v12, vcc, s22, v8
	v_addc_co_u32_e32 v13, vcc, 0, v11, vcc
	flat_load_dword v8, v[12:13]
.LBB6662_25:
	s_or_b64 exec, exec, s[4:5]
	v_or_b32_e32 v11, 0x480, v0
	v_cmp_gt_u32_e32 vcc, s33, v11
	s_and_saveexec_b64 s[4:5], vcc
	s_cbranch_execz .LBB6662_27
; %bb.26:
	v_lshlrev_b32_e32 v9, 2, v11
	v_mov_b32_e32 v11, s23
	v_add_co_u32_e32 v12, vcc, s22, v9
	v_addc_co_u32_e32 v13, vcc, 0, v11, vcc
	flat_load_dword v9, v[12:13]
.LBB6662_27:
	s_or_b64 exec, exec, s[4:5]
	s_waitcnt vmcnt(0) lgkmcnt(0)
	ds_write2st64_b32 v22, v10, v1 offset1:2
	ds_write2st64_b32 v22, v2, v3 offset0:4 offset1:6
	ds_write2st64_b32 v22, v4, v5 offset0:8 offset1:10
	;; [unrolled: 1-line block ×4, first 2 shown]
	s_waitcnt lgkmcnt(0)
	s_barrier
.LBB6662_28:
	v_mul_u32_u24_e32 v23, 10, v0
	v_lshlrev_b32_e32 v1, 2, v23
	ds_read2_b64 v[2:5], v1 offset1:1
	ds_read2_b64 v[16:19], v1 offset0:2 offset1:3
	ds_read_b64 v[20:21], v1 offset:32
	s_cmp_lg_u32 s41, 0
	v_lshrrev_b32_e32 v24, 5, v0
	v_cmp_gt_u32_e32 vcc, 64, v0
	s_waitcnt lgkmcnt(0)
	s_barrier
	s_cbranch_scc0 .LBB6662_94
; %bb.29:
	v_add_u32_e32 v6, v3, v2
	v_ashrrev_i32_e32 v7, 31, v6
	v_lshlrev_b64 v[6:7], 2, v[6:7]
	v_mov_b32_e32 v8, s25
	v_add_co_u32_e64 v6, s[4:5], s24, v6
	v_addc_co_u32_e64 v7, s[4:5], v8, v7, s[4:5]
	global_load_dword v6, v[6:7], off
	s_waitcnt vmcnt(0)
	v_add_u32_e32 v6, v6, v4
	v_ashrrev_i32_e32 v7, 31, v6
	v_lshlrev_b64 v[6:7], 2, v[6:7]
	v_add_co_u32_e64 v6, s[4:5], s24, v6
	v_addc_co_u32_e64 v7, s[4:5], v8, v7, s[4:5]
	global_load_dword v6, v[6:7], off
	s_waitcnt vmcnt(0)
	v_add_u32_e32 v6, v6, v5
	v_ashrrev_i32_e32 v7, 31, v6
	v_lshlrev_b64 v[6:7], 2, v[6:7]
	;; [unrolled: 7-line block ×8, first 2 shown]
	v_add_co_u32_e64 v6, s[4:5], s24, v6
	v_addc_co_u32_e64 v7, s[4:5], v8, v7, s[4:5]
	global_load_dword v25, v[6:7], off
	v_add_lshl_u32 v6, v24, v0, 2
	s_waitcnt vmcnt(0)
	ds_write_b32 v6, v25
	s_waitcnt lgkmcnt(0)
	s_barrier
	s_and_saveexec_b64 s[22:23], vcc
	s_cbranch_execz .LBB6662_43
; %bb.30:
	v_lshlrev_b32_e32 v6, 1, v0
	v_lshrrev_b32_e32 v7, 4, v0
	v_add_lshl_u32 v8, v7, v6, 2
	ds_read2_b32 v[6:7], v8 offset1:1
	v_mov_b32_e32 v9, s25
	s_waitcnt lgkmcnt(0)
	v_add_u32_e32 v10, v7, v6
	v_ashrrev_i32_e32 v11, 31, v10
	v_lshlrev_b64 v[10:11], 2, v[10:11]
	v_add_co_u32_e64 v10, s[4:5], s24, v10
	v_addc_co_u32_e64 v11, s[4:5], v9, v11, s[4:5]
	global_load_dword v9, v[10:11], off
	v_mbcnt_lo_u32_b32 v7, -1, 0
	v_mbcnt_hi_u32_b32 v7, -1, v7
	v_and_b32_e32 v10, 15, v7
	v_cmp_ne_u32_e64 s[4:5], 0, v10
	s_waitcnt vmcnt(0)
	v_mov_b32_dpp v11, v9 row_shr:1 row_mask:0xf bank_mask:0xf
	s_and_saveexec_b64 s[28:29], s[4:5]
	s_cbranch_execz .LBB6662_32
; %bb.31:
	v_add_u32_e32 v12, v11, v9
	v_ashrrev_i32_e32 v13, 31, v12
	v_lshlrev_b64 v[12:13], 2, v[12:13]
	v_mov_b32_e32 v9, s25
	v_add_co_u32_e64 v12, s[4:5], s24, v12
	v_addc_co_u32_e64 v13, s[4:5], v9, v13, s[4:5]
	global_load_dword v9, v[12:13], off
.LBB6662_32:
	s_or_b64 exec, exec, s[28:29]
	s_waitcnt vmcnt(0)
	v_mov_b32_dpp v11, v9 row_shr:2 row_mask:0xf bank_mask:0xf
	v_cmp_lt_u32_e64 s[4:5], 1, v10
	s_and_saveexec_b64 s[28:29], s[4:5]
	s_cbranch_execz .LBB6662_34
; %bb.33:
	v_add_u32_e32 v12, v11, v9
	v_ashrrev_i32_e32 v13, 31, v12
	v_lshlrev_b64 v[12:13], 2, v[12:13]
	v_mov_b32_e32 v9, s25
	v_add_co_u32_e64 v12, s[4:5], s24, v12
	v_addc_co_u32_e64 v13, s[4:5], v9, v13, s[4:5]
	global_load_dword v9, v[12:13], off
.LBB6662_34:
	s_or_b64 exec, exec, s[28:29]
	s_waitcnt vmcnt(0)
	v_mov_b32_dpp v11, v9 row_shr:4 row_mask:0xf bank_mask:0xf
	v_cmp_lt_u32_e64 s[4:5], 3, v10
	;; [unrolled: 15-line block ×3, first 2 shown]
	s_and_saveexec_b64 s[28:29], s[4:5]
	s_cbranch_execz .LBB6662_38
; %bb.37:
	v_add_u32_e32 v10, v11, v9
	v_ashrrev_i32_e32 v11, 31, v10
	v_lshlrev_b64 v[10:11], 2, v[10:11]
	v_mov_b32_e32 v9, s25
	v_add_co_u32_e64 v10, s[4:5], s24, v10
	v_addc_co_u32_e64 v11, s[4:5], v9, v11, s[4:5]
	global_load_dword v9, v[10:11], off
.LBB6662_38:
	s_or_b64 exec, exec, s[28:29]
	v_and_b32_e32 v11, 16, v7
	s_waitcnt vmcnt(0)
	v_mov_b32_dpp v10, v9 row_bcast:15 row_mask:0xf bank_mask:0xf
	v_cmp_ne_u32_e64 s[4:5], 0, v11
	s_and_saveexec_b64 s[28:29], s[4:5]
	s_cbranch_execz .LBB6662_40
; %bb.39:
	v_add_u32_e32 v10, v10, v9
	v_ashrrev_i32_e32 v11, 31, v10
	v_lshlrev_b64 v[10:11], 2, v[10:11]
	v_mov_b32_e32 v9, s25
	v_add_co_u32_e64 v10, s[4:5], s24, v10
	v_addc_co_u32_e64 v11, s[4:5], v9, v11, s[4:5]
	global_load_dword v9, v[10:11], off
.LBB6662_40:
	s_or_b64 exec, exec, s[28:29]
	s_waitcnt vmcnt(0)
	v_mov_b32_dpp v10, v9 row_bcast:31 row_mask:0xf bank_mask:0xf
	v_cmp_lt_u32_e64 s[4:5], 31, v7
	s_and_saveexec_b64 s[28:29], s[4:5]
	s_cbranch_execz .LBB6662_42
; %bb.41:
	v_add_u32_e32 v10, v10, v9
	v_ashrrev_i32_e32 v11, 31, v10
	v_lshlrev_b64 v[10:11], 2, v[10:11]
	v_mov_b32_e32 v9, s25
	v_add_co_u32_e64 v10, s[4:5], s24, v10
	v_addc_co_u32_e64 v11, s[4:5], v9, v11, s[4:5]
	global_load_dword v9, v[10:11], off
.LBB6662_42:
	s_or_b64 exec, exec, s[28:29]
	v_add_u32_e32 v10, -1, v7
	v_and_b32_e32 v11, 64, v7
	v_cmp_lt_i32_e64 s[4:5], v10, v11
	v_cndmask_b32_e64 v7, v10, v7, s[4:5]
	v_lshlrev_b32_e32 v7, 2, v7
	s_waitcnt vmcnt(0)
	ds_bpermute_b32 v7, v7, v9
	v_mov_b32_e32 v9, s25
	s_waitcnt lgkmcnt(0)
	v_add_u32_e32 v6, v7, v6
	v_ashrrev_i32_e32 v7, 31, v6
	v_lshlrev_b64 v[6:7], 2, v[6:7]
	v_add_co_u32_e64 v6, s[4:5], s24, v6
	v_addc_co_u32_e64 v7, s[4:5], v9, v7, s[4:5]
	global_load_dword v6, v[6:7], off
	; wave barrier
	s_waitcnt vmcnt(0)
	v_cndmask_b32_e64 v6, v6, v25, s[2:3]
	ds_write_b32 v8, v6
	; wave barrier
	ds_read_b32 v7, v8 offset:4
	s_waitcnt lgkmcnt(0)
	v_add_u32_e32 v6, v7, v6
	v_ashrrev_i32_e32 v7, 31, v6
	v_lshlrev_b64 v[6:7], 2, v[6:7]
	v_add_co_u32_e64 v6, s[4:5], s24, v6
	v_addc_co_u32_e64 v7, s[4:5], v9, v7, s[4:5]
	global_load_dword v6, v[6:7], off
	s_waitcnt vmcnt(0)
	ds_write_b32 v8, v6 offset:4
.LBB6662_43:
	s_or_b64 exec, exec, s[22:23]
	s_waitcnt lgkmcnt(0)
	s_barrier
	s_and_saveexec_b64 s[4:5], s[0:1]
	s_cbranch_execz .LBB6662_45
; %bb.44:
	v_add_u32_e32 v6, -1, v0
	v_lshrrev_b32_e32 v7, 5, v6
	v_add_lshl_u32 v6, v7, v6, 2
	ds_read_b32 v25, v6
.LBB6662_45:
	s_or_b64 exec, exec, s[4:5]
	s_and_saveexec_b64 s[22:23], vcc
	s_cbranch_execz .LBB6662_91
; %bb.46:
	v_mov_b32_e32 v13, 0
	ds_read_b32 v6, v13 offset:520
	v_mbcnt_lo_u32_b32 v7, -1, 0
	v_mbcnt_hi_u32_b32 v9, -1, v7
	s_mov_b32 s31, 0
	v_cmp_eq_u32_e64 s[4:5], 0, v9
	s_and_saveexec_b64 s[28:29], s[4:5]
	s_cbranch_execz .LBB6662_48
; %bb.47:
	s_add_i32 s30, s41, 64
	s_lshl_b64 s[30:31], s[30:31], 3
	s_add_u32 s30, s26, s30
	v_mov_b32_e32 v7, 1
	s_addc_u32 s31, s27, s31
	s_waitcnt lgkmcnt(0)
	global_store_dwordx2 v13, v[6:7], s[30:31]
.LBB6662_48:
	s_or_b64 exec, exec, s[28:29]
	v_xad_u32 v8, v9, -1, s41
	v_add_u32_e32 v12, 64, v8
	v_lshlrev_b64 v[10:11], 3, v[12:13]
	v_mov_b32_e32 v7, s27
	v_add_co_u32_e32 v14, vcc, s26, v10
	v_addc_co_u32_e32 v15, vcc, v7, v11, vcc
	global_load_dwordx2 v[10:11], v[14:15], off glc
	s_waitcnt vmcnt(0)
	v_cmp_eq_u16_sdwa s[30:31], v11, v13 src0_sel:BYTE_0 src1_sel:DWORD
	s_and_saveexec_b64 s[28:29], s[30:31]
	s_cbranch_execz .LBB6662_52
; %bb.49:
	s_mov_b64 s[30:31], 0
	v_mov_b32_e32 v7, 0
.LBB6662_50:                            ; =>This Inner Loop Header: Depth=1
	global_load_dwordx2 v[10:11], v[14:15], off glc
	s_waitcnt vmcnt(0)
	v_cmp_ne_u16_sdwa s[34:35], v11, v7 src0_sel:BYTE_0 src1_sel:DWORD
	s_or_b64 s[30:31], s[34:35], s[30:31]
	s_andn2_b64 exec, exec, s[30:31]
	s_cbranch_execnz .LBB6662_50
; %bb.51:
	s_or_b64 exec, exec, s[30:31]
.LBB6662_52:
	s_or_b64 exec, exec, s[28:29]
	v_mov_b32_e32 v7, 2
	v_cmp_eq_u16_sdwa s[28:29], v11, v7 src0_sel:BYTE_0 src1_sel:DWORD
	v_lshlrev_b64 v[12:13], v9, -1
	v_and_b32_e32 v7, s29, v13
	v_or_b32_e32 v7, 0x80000000, v7
	v_ffbl_b32_e32 v27, v7
	v_and_b32_e32 v7, 63, v9
	v_cmp_ne_u32_e32 vcc, 63, v7
	v_addc_co_u32_e32 v15, vcc, 0, v9, vcc
	v_lshlrev_b32_e32 v26, 2, v15
	ds_bpermute_b32 v15, v26, v10
	v_and_b32_e32 v14, s28, v12
	v_add_u32_e32 v27, 32, v27
	v_ffbl_b32_e32 v14, v14
	v_min_u32_e32 v14, v14, v27
	v_cmp_lt_u32_e32 vcc, v7, v14
	s_and_saveexec_b64 s[28:29], vcc
	s_cbranch_execz .LBB6662_54
; %bb.53:
	s_waitcnt lgkmcnt(0)
	v_add_u32_e32 v28, v15, v10
	v_ashrrev_i32_e32 v29, 31, v28
	v_lshlrev_b64 v[28:29], 2, v[28:29]
	v_mov_b32_e32 v10, s25
	v_add_co_u32_e32 v28, vcc, s24, v28
	v_addc_co_u32_e32 v29, vcc, v10, v29, vcc
	global_load_dword v10, v[28:29], off
.LBB6662_54:
	s_or_b64 exec, exec, s[28:29]
	v_cmp_gt_u32_e32 vcc, 62, v7
	s_waitcnt lgkmcnt(0)
	v_cndmask_b32_e64 v15, 0, 1, vcc
	v_lshlrev_b32_e32 v15, 1, v15
	v_add_lshl_u32 v27, v15, v9, 2
	s_waitcnt vmcnt(0)
	ds_bpermute_b32 v15, v27, v10
	v_add_u32_e32 v28, 2, v7
	v_cmp_le_u32_e32 vcc, v28, v14
	s_and_saveexec_b64 s[28:29], vcc
	s_cbranch_execz .LBB6662_56
; %bb.55:
	s_waitcnt lgkmcnt(0)
	v_add_u32_e32 v30, v15, v10
	v_ashrrev_i32_e32 v31, 31, v30
	v_lshlrev_b64 v[30:31], 2, v[30:31]
	v_mov_b32_e32 v10, s25
	v_add_co_u32_e32 v30, vcc, s24, v30
	v_addc_co_u32_e32 v31, vcc, v10, v31, vcc
	global_load_dword v10, v[30:31], off
.LBB6662_56:
	s_or_b64 exec, exec, s[28:29]
	v_cmp_gt_u32_e32 vcc, 60, v7
	s_waitcnt lgkmcnt(0)
	v_cndmask_b32_e64 v15, 0, 1, vcc
	v_lshlrev_b32_e32 v15, 2, v15
	v_add_lshl_u32 v29, v15, v9, 2
	s_waitcnt vmcnt(0)
	ds_bpermute_b32 v15, v29, v10
	v_add_u32_e32 v30, 4, v7
	v_cmp_le_u32_e32 vcc, v30, v14
	;; [unrolled: 22-line block ×5, first 2 shown]
	s_mov_b64 s[28:29], -1
                                        ; implicit-def: $vgpr14
	s_and_saveexec_b64 s[30:31], vcc
	s_cbranch_execz .LBB6662_64
; %bb.63:
	s_waitcnt lgkmcnt(0)
	v_add_u32_e32 v14, v9, v10
	s_xor_b64 s[28:29], exec, -1
.LBB6662_64:
	s_or_b64 exec, exec, s[30:31]
	s_mov_b64 s[30:31], 0
	s_waitcnt lgkmcnt(0)
	v_mov_b32_e32 v9, 0
	v_mov_b32_e32 v38, 2
                                        ; implicit-def: $sgpr34_sgpr35
	s_branch .LBB6662_66
.LBB6662_65:                            ;   in Loop: Header=BB6662_66 Depth=1
	s_or_b64 exec, exec, s[28:29]
	v_subrev_u32_e32 v8, 64, v8
	s_waitcnt vmcnt(0)
	v_add_u32_e32 v14, v10, v37
	s_mov_b64 s[28:29], 0
	s_mov_b64 s[30:31], 0
                                        ; implicit-def: $sgpr34_sgpr35
.LBB6662_66:                            ; =>This Loop Header: Depth=1
                                        ;     Child Loop BB6662_72 Depth 2
	s_waitcnt vmcnt(0)
	v_mov_b32_e32 v37, v10
	s_xor_b64 s[38:39], s[28:29], -1
	s_or_b64 s[34:35], s[34:35], exec
                                        ; implicit-def: $sgpr36_sgpr37
	s_and_saveexec_b64 s[42:43], s[38:39]
	s_xor_b64 s[38:39], exec, s[42:43]
	s_cbranch_execz .LBB6662_68
; %bb.67:                               ;   in Loop: Header=BB6662_66 Depth=1
	s_waitcnt lgkmcnt(0)
	v_ashrrev_i32_e32 v15, 31, v14
	v_lshlrev_b64 v[40:41], 2, v[14:15]
	v_mov_b32_e32 v10, s25
	v_add_co_u32_e32 v40, vcc, s24, v40
	v_addc_co_u32_e32 v41, vcc, v10, v41, vcc
	global_load_dword v10, v[40:41], off
	s_mov_b64 s[36:37], -1
	s_andn2_b64 s[34:35], s[34:35], exec
                                        ; implicit-def: $sgpr28_sgpr29
.LBB6662_68:                            ;   in Loop: Header=BB6662_66 Depth=1
	s_or_b64 exec, exec, s[38:39]
	s_and_b64 s[38:39], exec, s[34:35]
	s_or_b64 s[30:31], s[38:39], s[30:31]
	s_andn2_b64 s[28:29], s[28:29], exec
	s_and_b64 s[36:37], s[36:37], exec
	s_or_b64 s[28:29], s[28:29], s[36:37]
	s_andn2_b64 exec, exec, s[30:31]
	s_cbranch_execnz .LBB6662_66
; %bb.69:                               ;   in Loop: Header=BB6662_66 Depth=1
	s_or_b64 exec, exec, s[30:31]
	v_cmp_ne_u16_sdwa s[28:29], v11, v38 src0_sel:BYTE_0 src1_sel:DWORD
	s_waitcnt vmcnt(0)
	v_cndmask_b32_e64 v10, 0, 1, s[28:29]
	;;#ASMSTART
	;;#ASMEND
	v_cmp_ne_u32_e32 vcc, 0, v10
	s_cmp_lg_u64 vcc, exec
	s_cbranch_scc1 .LBB6662_86
; %bb.70:                               ;   in Loop: Header=BB6662_66 Depth=1
	v_lshlrev_b64 v[10:11], 3, v[8:9]
	s_waitcnt lgkmcnt(0)
	v_mov_b32_e32 v15, s27
	v_add_co_u32_e32 v14, vcc, s26, v10
	v_addc_co_u32_e32 v15, vcc, v15, v11, vcc
	global_load_dwordx2 v[10:11], v[14:15], off glc
	s_waitcnt vmcnt(0)
	v_cmp_eq_u16_sdwa s[30:31], v11, v9 src0_sel:BYTE_0 src1_sel:DWORD
	s_and_saveexec_b64 s[28:29], s[30:31]
	s_cbranch_execz .LBB6662_74
; %bb.71:                               ;   in Loop: Header=BB6662_66 Depth=1
	s_mov_b64 s[30:31], 0
.LBB6662_72:                            ;   Parent Loop BB6662_66 Depth=1
                                        ; =>  This Inner Loop Header: Depth=2
	global_load_dwordx2 v[10:11], v[14:15], off glc
	s_waitcnt vmcnt(0)
	v_cmp_ne_u16_sdwa s[34:35], v11, v9 src0_sel:BYTE_0 src1_sel:DWORD
	s_or_b64 s[30:31], s[34:35], s[30:31]
	s_andn2_b64 exec, exec, s[30:31]
	s_cbranch_execnz .LBB6662_72
; %bb.73:                               ;   in Loop: Header=BB6662_66 Depth=1
	s_or_b64 exec, exec, s[30:31]
.LBB6662_74:                            ;   in Loop: Header=BB6662_66 Depth=1
	s_or_b64 exec, exec, s[28:29]
	v_cmp_eq_u16_sdwa s[28:29], v11, v38 src0_sel:BYTE_0 src1_sel:DWORD
	v_and_b32_e32 v14, s29, v13
	v_or_b32_e32 v14, 0x80000000, v14
	ds_bpermute_b32 v15, v26, v10
	v_and_b32_e32 v39, s28, v12
	v_ffbl_b32_e32 v14, v14
	v_add_u32_e32 v14, 32, v14
	v_ffbl_b32_e32 v39, v39
	v_min_u32_e32 v14, v39, v14
	v_cmp_lt_u32_e32 vcc, v7, v14
	s_and_saveexec_b64 s[28:29], vcc
	s_cbranch_execz .LBB6662_76
; %bb.75:                               ;   in Loop: Header=BB6662_66 Depth=1
	s_waitcnt lgkmcnt(0)
	v_add_u32_e32 v40, v15, v10
	v_ashrrev_i32_e32 v41, 31, v40
	v_lshlrev_b64 v[40:41], 2, v[40:41]
	v_mov_b32_e32 v10, s25
	v_add_co_u32_e32 v40, vcc, s24, v40
	v_addc_co_u32_e32 v41, vcc, v10, v41, vcc
	global_load_dword v10, v[40:41], off
.LBB6662_76:                            ;   in Loop: Header=BB6662_66 Depth=1
	s_or_b64 exec, exec, s[28:29]
	s_waitcnt vmcnt(0) lgkmcnt(0)
	ds_bpermute_b32 v15, v27, v10
	v_cmp_le_u32_e32 vcc, v28, v14
	s_and_saveexec_b64 s[28:29], vcc
	s_cbranch_execz .LBB6662_78
; %bb.77:                               ;   in Loop: Header=BB6662_66 Depth=1
	s_waitcnt lgkmcnt(0)
	v_add_u32_e32 v40, v15, v10
	v_ashrrev_i32_e32 v41, 31, v40
	v_lshlrev_b64 v[40:41], 2, v[40:41]
	v_mov_b32_e32 v10, s25
	v_add_co_u32_e32 v40, vcc, s24, v40
	v_addc_co_u32_e32 v41, vcc, v10, v41, vcc
	global_load_dword v10, v[40:41], off
.LBB6662_78:                            ;   in Loop: Header=BB6662_66 Depth=1
	s_or_b64 exec, exec, s[28:29]
	s_waitcnt vmcnt(0) lgkmcnt(0)
	ds_bpermute_b32 v15, v29, v10
	v_cmp_le_u32_e32 vcc, v30, v14
	;; [unrolled: 16-line block ×5, first 2 shown]
	s_and_saveexec_b64 s[28:29], vcc
	s_cbranch_execz .LBB6662_65
; %bb.85:                               ;   in Loop: Header=BB6662_66 Depth=1
	s_waitcnt lgkmcnt(0)
	v_add_u32_e32 v14, v15, v10
	v_ashrrev_i32_e32 v15, 31, v14
	v_lshlrev_b64 v[14:15], 2, v[14:15]
	v_mov_b32_e32 v10, s25
	v_add_co_u32_e32 v14, vcc, s24, v14
	v_addc_co_u32_e32 v15, vcc, v10, v15, vcc
	global_load_dword v10, v[14:15], off
	s_branch .LBB6662_65
.LBB6662_86:                            ;   in Loop: Header=BB6662_66 Depth=1
	s_mov_b64 s[28:29], -1
                                        ; implicit-def: $vgpr14
                                        ; implicit-def: $vgpr11
	s_mov_b64 s[30:31], 0
                                        ; implicit-def: $sgpr34_sgpr35
	s_cbranch_execz .LBB6662_66
; %bb.87:
	s_and_saveexec_b64 s[28:29], s[4:5]
	s_cbranch_execz .LBB6662_89
; %bb.88:
	v_add_u32_e32 v6, v37, v6
	v_ashrrev_i32_e32 v7, 31, v6
	v_lshlrev_b64 v[6:7], 2, v[6:7]
	v_mov_b32_e32 v8, s25
	v_add_co_u32_e32 v6, vcc, s24, v6
	v_addc_co_u32_e32 v7, vcc, v8, v7, vcc
	global_load_dword v6, v[6:7], off
	s_add_i32 s4, s41, 64
	s_mov_b32 s5, 0
	s_lshl_b64 s[4:5], s[4:5], 3
	s_add_u32 s4, s26, s4
	s_addc_u32 s5, s27, s5
	v_mov_b32_e32 v8, 0
	v_mov_b32_e32 v7, 2
	s_waitcnt vmcnt(0)
	global_store_dwordx2 v8, v[6:7], s[4:5]
.LBB6662_89:
	s_or_b64 exec, exec, s[28:29]
	s_and_b64 exec, exec, s[2:3]
	s_cbranch_execz .LBB6662_91
; %bb.90:
	v_mov_b32_e32 v6, 0
	ds_write_b32 v6, v37
.LBB6662_91:
	s_or_b64 exec, exec, s[22:23]
	v_mov_b32_e32 v6, 0
	s_waitcnt lgkmcnt(0)
	s_barrier
	ds_read_b32 v6, v6
	v_mov_b32_e32 v7, v2
	s_and_saveexec_b64 s[4:5], s[0:1]
	s_cbranch_execz .LBB6662_93
; %bb.92:
	v_add_u32_e32 v8, v25, v2
	v_ashrrev_i32_e32 v9, 31, v8
	v_lshlrev_b64 v[8:9], 2, v[8:9]
	v_mov_b32_e32 v7, s25
	v_add_co_u32_e32 v8, vcc, s24, v8
	v_addc_co_u32_e32 v9, vcc, v7, v9, vcc
	global_load_dword v7, v[8:9], off
.LBB6662_93:
	s_or_b64 exec, exec, s[4:5]
	s_waitcnt vmcnt(0) lgkmcnt(0)
	v_add_u32_e32 v6, v7, v6
	v_ashrrev_i32_e32 v7, 31, v6
	v_lshlrev_b64 v[6:7], 2, v[6:7]
	v_mov_b32_e32 v8, s25
	v_add_co_u32_e32 v6, vcc, s24, v6
	v_addc_co_u32_e32 v7, vcc, v8, v7, vcc
	global_load_dword v6, v[6:7], off
	v_mov_b32_e32 v7, s25
	v_mov_b32_e32 v10, s25
	;; [unrolled: 1-line block ×5, first 2 shown]
	s_waitcnt vmcnt(0)
	v_add_u32_e32 v8, v6, v3
	v_ashrrev_i32_e32 v9, 31, v8
	v_lshlrev_b64 v[8:9], 2, v[8:9]
	v_add_co_u32_e32 v8, vcc, s24, v8
	v_addc_co_u32_e32 v9, vcc, v7, v9, vcc
	global_load_dword v7, v[8:9], off
	s_waitcnt vmcnt(0)
	v_add_u32_e32 v8, v7, v4
	v_ashrrev_i32_e32 v9, 31, v8
	v_lshlrev_b64 v[8:9], 2, v[8:9]
	v_add_co_u32_e32 v8, vcc, s24, v8
	v_addc_co_u32_e32 v9, vcc, v10, v9, vcc
	global_load_dword v8, v[8:9], off
	v_mov_b32_e32 v9, s25
	s_waitcnt vmcnt(0)
	v_add_u32_e32 v10, v8, v5
	v_ashrrev_i32_e32 v11, 31, v10
	v_lshlrev_b64 v[10:11], 2, v[10:11]
	v_add_co_u32_e32 v10, vcc, s24, v10
	v_addc_co_u32_e32 v11, vcc, v9, v11, vcc
	global_load_dword v9, v[10:11], off
	s_waitcnt vmcnt(0)
	v_add_u32_e32 v10, v9, v16
	v_ashrrev_i32_e32 v11, 31, v10
	v_lshlrev_b64 v[10:11], 2, v[10:11]
	v_add_co_u32_e32 v10, vcc, s24, v10
	v_addc_co_u32_e32 v11, vcc, v12, v11, vcc
	global_load_dword v10, v[10:11], off
	v_mov_b32_e32 v11, s25
	;; [unrolled: 15-line block ×4, first 2 shown]
	s_waitcnt vmcnt(0)
	v_add_u32_e32 v26, v14, v21
	v_ashrrev_i32_e32 v27, 31, v26
	v_lshlrev_b64 v[26:27], 2, v[26:27]
	v_add_co_u32_e32 v26, vcc, s24, v26
	v_addc_co_u32_e32 v27, vcc, v15, v27, vcc
	global_load_dword v15, v[26:27], off
	s_branch .LBB6662_118
.LBB6662_94:
                                        ; implicit-def: $vgpr6_vgpr7_vgpr8_vgpr9_vgpr10_vgpr11_vgpr12_vgpr13_vgpr14_vgpr15
	s_cbranch_execz .LBB6662_118
; %bb.95:
	s_cmp_lg_u64 s[12:13], 0
	s_cselect_b64 s[4:5], -1, 0
	s_waitcnt vmcnt(0)
	v_pk_mov_b32 v[14:15], v[10:11], v[10:11] op_sel:[0,1]
	s_and_b64 s[12:13], s[2:3], s[4:5]
	v_pk_mov_b32 v[12:13], v[8:9], v[8:9] op_sel:[0,1]
	v_pk_mov_b32 v[10:11], v[6:7], v[6:7] op_sel:[0,1]
	;; [unrolled: 1-line block ×4, first 2 shown]
	s_and_saveexec_b64 s[4:5], s[12:13]
	s_cbranch_execz .LBB6662_97
; %bb.96:
	v_mov_b32_e32 v6, 0
	global_load_dword v6, v6, s[8:9]
	v_mov_b32_e32 v8, s25
	s_waitcnt vmcnt(0)
	v_add_u32_e32 v6, v6, v2
	v_ashrrev_i32_e32 v7, 31, v6
	v_lshlrev_b64 v[6:7], 2, v[6:7]
	v_add_co_u32_e32 v6, vcc, s24, v6
	v_addc_co_u32_e32 v7, vcc, v8, v7, vcc
	global_load_dword v6, v[6:7], off
	s_waitcnt vmcnt(0)
	v_mov_b32_e32 v2, v6
.LBB6662_97:
	s_or_b64 exec, exec, s[4:5]
	v_add_u32_e32 v8, v3, v2
	v_ashrrev_i32_e32 v9, 31, v8
	v_lshlrev_b64 v[10:11], 2, v[8:9]
	v_mov_b32_e32 v7, s25
	v_add_co_u32_e32 v10, vcc, s24, v10
	v_addc_co_u32_e32 v11, vcc, v7, v11, vcc
	global_load_dword v7, v[10:11], off
	v_mov_b32_e32 v12, s25
	s_waitcnt vmcnt(0)
	v_add_u32_e32 v10, v4, v7
	v_ashrrev_i32_e32 v11, 31, v10
	v_lshlrev_b64 v[10:11], 2, v[10:11]
	v_add_co_u32_e32 v10, vcc, s24, v10
	v_addc_co_u32_e32 v11, vcc, v12, v11, vcc
	global_load_dword v7, v[10:11], off
	s_waitcnt vmcnt(0)
	v_add_u32_e32 v10, v7, v5
	v_ashrrev_i32_e32 v11, 31, v10
	v_lshlrev_b64 v[10:11], 2, v[10:11]
	v_add_co_u32_e32 v10, vcc, s24, v10
	v_addc_co_u32_e32 v11, vcc, v12, v11, vcc
	global_load_dword v7, v[10:11], off
	;; [unrolled: 7-line block ×8, first 2 shown]
	v_add_lshl_u32 v10, v24, v0, 2
	v_cmp_gt_u32_e32 vcc, 64, v0
	s_waitcnt vmcnt(0)
	ds_write_b32 v10, v7
	s_waitcnt lgkmcnt(0)
	s_barrier
	s_and_saveexec_b64 s[4:5], vcc
	s_cbranch_execz .LBB6662_111
; %bb.98:
	v_lshlrev_b32_e32 v10, 1, v0
	v_lshrrev_b32_e32 v11, 4, v0
	v_add_lshl_u32 v12, v11, v10, 2
	ds_read2_b32 v[10:11], v12 offset1:1
	v_mov_b32_e32 v13, s25
	s_waitcnt lgkmcnt(0)
	v_add_u32_e32 v14, v11, v10
	v_ashrrev_i32_e32 v15, 31, v14
	v_lshlrev_b64 v[14:15], 2, v[14:15]
	v_add_co_u32_e32 v14, vcc, s24, v14
	v_addc_co_u32_e32 v15, vcc, v13, v15, vcc
	global_load_dword v13, v[14:15], off
	v_mbcnt_lo_u32_b32 v11, -1, 0
	v_mbcnt_hi_u32_b32 v11, -1, v11
	v_and_b32_e32 v14, 15, v11
	v_cmp_ne_u32_e32 vcc, 0, v14
	s_waitcnt vmcnt(0)
	v_mov_b32_dpp v15, v13 row_shr:1 row_mask:0xf bank_mask:0xf
	s_and_saveexec_b64 s[8:9], vcc
	s_cbranch_execz .LBB6662_100
; %bb.99:
	v_add_u32_e32 v24, v15, v13
	v_ashrrev_i32_e32 v25, 31, v24
	v_lshlrev_b64 v[24:25], 2, v[24:25]
	v_mov_b32_e32 v13, s25
	v_add_co_u32_e32 v24, vcc, s24, v24
	v_addc_co_u32_e32 v25, vcc, v13, v25, vcc
	global_load_dword v13, v[24:25], off
.LBB6662_100:
	s_or_b64 exec, exec, s[8:9]
	s_waitcnt vmcnt(0)
	v_mov_b32_dpp v15, v13 row_shr:2 row_mask:0xf bank_mask:0xf
	v_cmp_lt_u32_e32 vcc, 1, v14
	s_and_saveexec_b64 s[8:9], vcc
	s_cbranch_execz .LBB6662_102
; %bb.101:
	v_add_u32_e32 v24, v15, v13
	v_ashrrev_i32_e32 v25, 31, v24
	v_lshlrev_b64 v[24:25], 2, v[24:25]
	v_mov_b32_e32 v13, s25
	v_add_co_u32_e32 v24, vcc, s24, v24
	v_addc_co_u32_e32 v25, vcc, v13, v25, vcc
	global_load_dword v13, v[24:25], off
.LBB6662_102:
	s_or_b64 exec, exec, s[8:9]
	s_waitcnt vmcnt(0)
	v_mov_b32_dpp v15, v13 row_shr:4 row_mask:0xf bank_mask:0xf
	v_cmp_lt_u32_e32 vcc, 3, v14
	;; [unrolled: 15-line block ×3, first 2 shown]
	s_and_saveexec_b64 s[8:9], vcc
	s_cbranch_execz .LBB6662_106
; %bb.105:
	v_add_u32_e32 v14, v15, v13
	v_ashrrev_i32_e32 v15, 31, v14
	v_lshlrev_b64 v[14:15], 2, v[14:15]
	v_mov_b32_e32 v13, s25
	v_add_co_u32_e32 v14, vcc, s24, v14
	v_addc_co_u32_e32 v15, vcc, v13, v15, vcc
	global_load_dword v13, v[14:15], off
.LBB6662_106:
	s_or_b64 exec, exec, s[8:9]
	v_and_b32_e32 v15, 16, v11
	s_waitcnt vmcnt(0)
	v_mov_b32_dpp v14, v13 row_bcast:15 row_mask:0xf bank_mask:0xf
	v_cmp_ne_u32_e32 vcc, 0, v15
	s_and_saveexec_b64 s[8:9], vcc
	s_cbranch_execz .LBB6662_108
; %bb.107:
	v_add_u32_e32 v14, v14, v13
	v_ashrrev_i32_e32 v15, 31, v14
	v_lshlrev_b64 v[14:15], 2, v[14:15]
	v_mov_b32_e32 v13, s25
	v_add_co_u32_e32 v14, vcc, s24, v14
	v_addc_co_u32_e32 v15, vcc, v13, v15, vcc
	global_load_dword v13, v[14:15], off
.LBB6662_108:
	s_or_b64 exec, exec, s[8:9]
	s_waitcnt vmcnt(0)
	v_mov_b32_dpp v14, v13 row_bcast:31 row_mask:0xf bank_mask:0xf
	v_cmp_lt_u32_e32 vcc, 31, v11
	s_and_saveexec_b64 s[8:9], vcc
	s_cbranch_execz .LBB6662_110
; %bb.109:
	v_add_u32_e32 v14, v14, v13
	v_ashrrev_i32_e32 v15, 31, v14
	v_lshlrev_b64 v[14:15], 2, v[14:15]
	v_mov_b32_e32 v13, s25
	v_add_co_u32_e32 v14, vcc, s24, v14
	v_addc_co_u32_e32 v15, vcc, v13, v15, vcc
	global_load_dword v13, v[14:15], off
.LBB6662_110:
	s_or_b64 exec, exec, s[8:9]
	v_add_u32_e32 v14, -1, v11
	v_and_b32_e32 v15, 64, v11
	v_cmp_lt_i32_e32 vcc, v14, v15
	v_cndmask_b32_e32 v11, v14, v11, vcc
	v_lshlrev_b32_e32 v11, 2, v11
	s_waitcnt vmcnt(0)
	ds_bpermute_b32 v11, v11, v13
	v_mov_b32_e32 v13, s25
	s_waitcnt lgkmcnt(0)
	v_add_u32_e32 v10, v11, v10
	v_ashrrev_i32_e32 v11, 31, v10
	v_lshlrev_b64 v[10:11], 2, v[10:11]
	v_add_co_u32_e32 v10, vcc, s24, v10
	v_addc_co_u32_e32 v11, vcc, v13, v11, vcc
	global_load_dword v10, v[10:11], off
	; wave barrier
	s_waitcnt vmcnt(0)
	v_cndmask_b32_e64 v10, v10, v7, s[2:3]
	ds_write_b32 v12, v10
	; wave barrier
	ds_read_b32 v11, v12 offset:4
	s_waitcnt lgkmcnt(0)
	v_add_u32_e32 v10, v11, v10
	v_ashrrev_i32_e32 v11, 31, v10
	v_lshlrev_b64 v[10:11], 2, v[10:11]
	v_add_co_u32_e32 v10, vcc, s24, v10
	v_addc_co_u32_e32 v11, vcc, v13, v11, vcc
	global_load_dword v10, v[10:11], off
	s_waitcnt vmcnt(0)
	ds_write_b32 v12, v10 offset:4
.LBB6662_111:
	s_or_b64 exec, exec, s[4:5]
	s_waitcnt lgkmcnt(0)
	s_barrier
	s_and_saveexec_b64 s[2:3], s[0:1]
	s_cbranch_execz .LBB6662_113
; %bb.112:
	v_add_u32_e32 v7, -1, v0
	v_lshrrev_b32_e32 v10, 5, v7
	v_add_lshl_u32 v7, v10, v7, 2
	ds_read_b32 v7, v7
.LBB6662_113:
	s_or_b64 exec, exec, s[2:3]
	s_and_saveexec_b64 s[2:3], s[0:1]
	s_cbranch_execz .LBB6662_115
; %bb.114:
	s_waitcnt lgkmcnt(0)
	v_add_u32_e32 v6, v7, v2
	v_ashrrev_i32_e32 v7, 31, v6
	v_lshlrev_b64 v[6:7], 2, v[6:7]
	v_mov_b32_e32 v2, s25
	v_add_co_u32_e32 v6, vcc, s24, v6
	v_addc_co_u32_e32 v7, vcc, v2, v7, vcc
	global_load_dword v6, v[6:7], off
	;;#ASMSTART
	;;#ASMEND
	s_waitcnt vmcnt(0)
	v_add_u32_e32 v8, v6, v3
	v_ashrrev_i32_e32 v9, 31, v8
.LBB6662_115:
	s_or_b64 exec, exec, s[2:3]
	v_lshlrev_b64 v[2:3], 2, v[8:9]
	s_waitcnt lgkmcnt(0)
	v_mov_b32_e32 v7, s25
	v_add_co_u32_e32 v2, vcc, s24, v2
	v_addc_co_u32_e32 v3, vcc, v7, v3, vcc
	global_load_dword v7, v[2:3], off
	v_mov_b32_e32 v8, s25
	s_movk_i32 s0, 0x7f
	s_waitcnt vmcnt(0)
	v_add_u32_e32 v2, v7, v4
	v_ashrrev_i32_e32 v3, 31, v2
	v_lshlrev_b64 v[2:3], 2, v[2:3]
	v_add_co_u32_e32 v2, vcc, s24, v2
	v_addc_co_u32_e32 v3, vcc, v8, v3, vcc
	global_load_dword v8, v[2:3], off
	v_mov_b32_e32 v4, s25
	s_waitcnt vmcnt(0)
	v_add_u32_e32 v2, v8, v5
	v_ashrrev_i32_e32 v3, 31, v2
	v_lshlrev_b64 v[2:3], 2, v[2:3]
	v_add_co_u32_e32 v2, vcc, s24, v2
	v_addc_co_u32_e32 v3, vcc, v4, v3, vcc
	global_load_dword v9, v[2:3], off
	s_waitcnt vmcnt(0)
	v_add_u32_e32 v2, v9, v16
	v_ashrrev_i32_e32 v3, 31, v2
	v_lshlrev_b64 v[2:3], 2, v[2:3]
	v_add_co_u32_e32 v2, vcc, s24, v2
	v_addc_co_u32_e32 v3, vcc, v4, v3, vcc
	global_load_dword v10, v[2:3], off
	;; [unrolled: 7-line block ×7, first 2 shown]
	v_cmp_eq_u32_e32 vcc, s0, v0
	s_and_saveexec_b64 s[0:1], vcc
	s_cbranch_execz .LBB6662_117
; %bb.116:
	v_mov_b32_e32 v4, 0
	v_mov_b32_e32 v3, 2
	s_waitcnt vmcnt(0)
	v_mov_b32_e32 v2, v15
	global_store_dwordx2 v4, v[2:3], s[26:27] offset:512
.LBB6662_117:
	s_or_b64 exec, exec, s[0:1]
.LBB6662_118:
	s_add_u32 s0, s20, s6
	s_addc_u32 s1, s21, s7
	s_add_u32 s2, s0, s18
	s_addc_u32 s3, s1, s19
	s_mov_b64 s[0:1], -1
	s_and_b64 vcc, exec, s[16:17]
	s_barrier
	s_cbranch_vccz .LBB6662_120
; %bb.119:
	ds_write2_b64 v1, v[6:7], v[8:9] offset1:1
	ds_write2_b64 v1, v[10:11], v[12:13] offset0:2 offset1:3
	s_waitcnt vmcnt(0)
	ds_write_b64 v1, v[14:15] offset:32
	s_waitcnt lgkmcnt(0)
	s_barrier
	ds_read2st64_b32 v[2:3], v22 offset1:2
	ds_read2st64_b32 v[4:5], v22 offset0:4 offset1:6
	ds_read2st64_b32 v[16:17], v22 offset0:8 offset1:10
	ds_read2st64_b32 v[18:19], v22 offset0:12 offset1:14
	ds_read2st64_b32 v[20:21], v22 offset0:16 offset1:18
	v_mov_b32_e32 v25, s3
	v_add_co_u32_e32 v24, vcc, s2, v22
	v_addc_co_u32_e32 v25, vcc, 0, v25, vcc
	s_waitcnt lgkmcnt(4)
	flat_store_dword v[24:25], v2
	flat_store_dword v[24:25], v3 offset:512
	s_waitcnt lgkmcnt(0)
	flat_store_dword v[24:25], v4 offset:1024
	flat_store_dword v[24:25], v5 offset:1536
	;; [unrolled: 1-line block ×6, first 2 shown]
	v_add_co_u32_e32 v2, vcc, 0x1000, v24
	v_addc_co_u32_e32 v3, vcc, 0, v25, vcc
	flat_store_dword v[2:3], v20
	flat_store_dword v[2:3], v21 offset:512
	s_mov_b64 s[0:1], 0
.LBB6662_120:
	s_andn2_b64 vcc, exec, s[0:1]
	s_cbranch_vccnz .LBB6662_176
; %bb.121:
	ds_write2_b64 v1, v[6:7], v[8:9] offset1:1
	ds_write2_b64 v1, v[10:11], v[12:13] offset0:2 offset1:3
	s_waitcnt vmcnt(0)
	ds_write_b64 v1, v[14:15] offset:32
	s_waitcnt lgkmcnt(0)
	s_barrier
	ds_read2st64_b32 v[2:3], v22 offset1:2
	ds_read2st64_b32 v[6:7], v22 offset0:4 offset1:6
	ds_read2st64_b32 v[4:5], v22 offset0:8 offset1:10
	;; [unrolled: 1-line block ×4, first 2 shown]
	v_mov_b32_e32 v13, s3
	v_add_co_u32_e32 v12, vcc, s2, v22
	v_addc_co_u32_e32 v13, vcc, 0, v13, vcc
	v_mov_b32_e32 v1, 0
	v_cmp_gt_u32_e32 vcc, s33, v0
	s_and_saveexec_b64 s[0:1], vcc
	s_cbranch_execz .LBB6662_123
; %bb.122:
	s_waitcnt lgkmcnt(4)
	flat_store_dword v[12:13], v2
.LBB6662_123:
	s_or_b64 exec, exec, s[0:1]
	v_or_b32_e32 v14, 0x80, v0
	v_cmp_gt_u32_e32 vcc, s33, v14
	s_and_saveexec_b64 s[0:1], vcc
	s_cbranch_execz .LBB6662_125
; %bb.124:
	s_waitcnt lgkmcnt(0)
	flat_store_dword v[12:13], v3 offset:512
.LBB6662_125:
	s_or_b64 exec, exec, s[0:1]
	v_or_b32_e32 v14, 0x100, v0
	v_cmp_gt_u32_e32 vcc, s33, v14
	s_and_saveexec_b64 s[0:1], vcc
	s_cbranch_execz .LBB6662_127
; %bb.126:
	s_waitcnt lgkmcnt(0)
	flat_store_dword v[12:13], v6 offset:1024
.LBB6662_127:
	;; [unrolled: 9-line block ×7, first 2 shown]
	s_or_b64 exec, exec, s[0:1]
	v_or_b32_e32 v14, 0x400, v0
	v_cmp_gt_u32_e32 vcc, s33, v14
	s_and_saveexec_b64 s[0:1], vcc
	s_cbranch_execz .LBB6662_139
; %bb.138:
	v_add_co_u32_e32 v14, vcc, 0x1000, v12
	v_addc_co_u32_e32 v15, vcc, 0, v13, vcc
	s_waitcnt lgkmcnt(0)
	flat_store_dword v[14:15], v10
.LBB6662_139:
	s_or_b64 exec, exec, s[0:1]
	v_or_b32_e32 v14, 0x480, v0
	v_cmp_gt_u32_e32 vcc, s33, v14
	s_and_saveexec_b64 s[0:1], vcc
	s_cbranch_execz .LBB6662_141
; %bb.140:
	v_add_co_u32_e32 v12, vcc, 0x1000, v12
	v_addc_co_u32_e32 v13, vcc, 0, v13, vcc
	s_waitcnt lgkmcnt(0)
	flat_store_dword v[12:13], v11 offset:512
.LBB6662_141:
	s_or_b64 exec, exec, s[0:1]
	v_cmp_lt_u64_e64 s[0:1], s[14:15], 2
	s_and_b64 vcc, exec, s[0:1]
	s_cbranch_vccnz .LBB6662_176
; %bb.142:
	s_add_u32 s0, s33, -1
	s_addc_u32 s1, s40, -1
	s_add_u32 s2, 0, 0x99986000
	s_addc_u32 s3, 0, 0x59
	s_add_i32 s3, s3, 0x19999940
	s_mul_hi_u32 s7, s2, -10
	s_sub_i32 s7, s7, s2
	s_mul_i32 s8, s3, -10
	s_mul_i32 s4, s2, -10
	s_add_i32 s7, s7, s8
	s_mul_hi_u32 s5, s3, s4
	s_mul_i32 s6, s3, s4
	s_mul_i32 s9, s2, s7
	s_mul_hi_u32 s4, s2, s4
	s_mul_hi_u32 s8, s2, s7
	s_add_u32 s4, s4, s9
	s_addc_u32 s8, 0, s8
	s_add_u32 s4, s4, s6
	s_mul_hi_u32 s9, s3, s7
	s_addc_u32 s4, s8, s5
	s_addc_u32 s5, s9, 0
	s_mul_i32 s6, s3, s7
	s_add_u32 s4, s4, s6
	v_mov_b32_e32 v12, s4
	s_addc_u32 s5, 0, s5
	v_add_co_u32_e32 v12, vcc, s2, v12
	s_cmp_lg_u64 vcc, 0
	s_addc_u32 s2, s3, s5
	v_readfirstlane_b32 s5, v12
	s_mul_i32 s4, s0, s2
	s_mul_hi_u32 s6, s0, s5
	s_mul_hi_u32 s3, s0, s2
	s_add_u32 s4, s6, s4
	s_addc_u32 s3, 0, s3
	s_mul_hi_u32 s7, s1, s5
	s_mul_i32 s5, s1, s5
	s_add_u32 s4, s4, s5
	s_mul_hi_u32 s6, s1, s2
	s_addc_u32 s3, s3, s7
	s_addc_u32 s4, s6, 0
	s_mul_i32 s2, s1, s2
	s_add_u32 s2, s3, s2
	s_addc_u32 s3, 0, s4
	s_add_u32 s4, s2, 1
	s_addc_u32 s5, s3, 0
	s_add_u32 s6, s2, 2
	s_mul_i32 s8, s3, 10
	s_mul_hi_u32 s9, s2, 10
	s_addc_u32 s7, s3, 0
	s_add_i32 s9, s9, s8
	s_mul_i32 s8, s2, 10
	v_mov_b32_e32 v12, s8
	v_sub_co_u32_e32 v12, vcc, s0, v12
	s_cmp_lg_u64 vcc, 0
	s_subb_u32 s8, s1, s9
	v_subrev_co_u32_e32 v13, vcc, 10, v12
	s_cmp_lg_u64 vcc, 0
	s_subb_u32 s9, s8, 0
	v_readfirstlane_b32 s12, v13
	s_cmp_gt_u32 s12, 9
	s_cselect_b32 s12, -1, 0
	s_cmp_eq_u32 s9, 0
	s_cselect_b32 s9, s12, -1
	s_cmp_lg_u32 s9, 0
	s_cselect_b32 s4, s6, s4
	v_readfirstlane_b32 s6, v12
	s_cselect_b32 s5, s7, s5
	s_cmp_gt_u32 s6, 9
	s_cselect_b32 s6, -1, 0
	s_cmp_eq_u32 s8, 0
	s_cselect_b32 s6, s6, -1
	s_cmp_lg_u32 s6, 0
	s_cselect_b32 s3, s5, s3
	s_cselect_b32 s2, s4, s2
	v_cmp_eq_u64_e32 vcc, s[2:3], v[0:1]
	s_and_saveexec_b64 s[2:3], vcc
	s_cbranch_execz .LBB6662_176
; %bb.143:
	v_mul_hi_u32_u24_e32 v1, 10, v0
	v_mov_b32_e32 v12, s1
	v_sub_co_u32_e32 v0, vcc, s0, v23
	v_subb_co_u32_e32 v1, vcc, v12, v1, vcc
	v_cmp_lt_i64_e32 vcc, 4, v[0:1]
	s_and_saveexec_b64 s[0:1], vcc
	s_xor_b64 s[0:1], exec, s[0:1]
	s_cbranch_execz .LBB6662_161
; %bb.144:
	v_cmp_lt_i64_e32 vcc, 6, v[0:1]
	s_and_saveexec_b64 s[2:3], vcc
	s_xor_b64 s[2:3], exec, s[2:3]
	s_cbranch_execz .LBB6662_154
; %bb.145:
	;; [unrolled: 5-line block ×4, first 2 shown]
	v_mov_b32_e32 v0, 0
	s_waitcnt lgkmcnt(0)
	global_store_dword v0, v11, s[10:11]
                                        ; implicit-def: $vgpr10_vgpr11
.LBB6662_148:
	s_andn2_saveexec_b64 s[6:7], s[6:7]
	s_cbranch_execz .LBB6662_150
; %bb.149:
	v_mov_b32_e32 v0, 0
	s_waitcnt lgkmcnt(0)
	global_store_dword v0, v10, s[10:11]
.LBB6662_150:
	s_or_b64 exec, exec, s[6:7]
                                        ; implicit-def: $vgpr8_vgpr9
.LBB6662_151:
	s_andn2_saveexec_b64 s[4:5], s[4:5]
	s_cbranch_execz .LBB6662_153
; %bb.152:
	v_mov_b32_e32 v0, 0
	s_waitcnt lgkmcnt(0)
	global_store_dword v0, v9, s[10:11]
.LBB6662_153:
	s_or_b64 exec, exec, s[4:5]
                                        ; implicit-def: $vgpr4_vgpr5
                                        ; implicit-def: $vgpr0_vgpr1
                                        ; implicit-def: $vgpr8_vgpr9
.LBB6662_154:
	s_andn2_saveexec_b64 s[2:3], s[2:3]
	s_cbranch_execz .LBB6662_160
; %bb.155:
	v_cmp_lt_i64_e32 vcc, 5, v[0:1]
	s_and_saveexec_b64 s[4:5], vcc
	s_xor_b64 s[4:5], exec, s[4:5]
	s_cbranch_execz .LBB6662_157
; %bb.156:
	v_mov_b32_e32 v0, 0
	s_waitcnt lgkmcnt(0)
	global_store_dword v0, v8, s[10:11]
                                        ; implicit-def: $vgpr4_vgpr5
.LBB6662_157:
	s_andn2_saveexec_b64 s[4:5], s[4:5]
	s_cbranch_execz .LBB6662_159
; %bb.158:
	v_mov_b32_e32 v0, 0
	s_waitcnt lgkmcnt(0)
	global_store_dword v0, v5, s[10:11]
.LBB6662_159:
	s_or_b64 exec, exec, s[4:5]
.LBB6662_160:
	s_or_b64 exec, exec, s[2:3]
                                        ; implicit-def: $vgpr0_vgpr1
                                        ; implicit-def: $vgpr6_vgpr7
                                        ; implicit-def: $vgpr2_vgpr3
                                        ; implicit-def: $vgpr4_vgpr5
.LBB6662_161:
	s_andn2_saveexec_b64 s[0:1], s[0:1]
	s_cbranch_execz .LBB6662_176
; %bb.162:
	v_cmp_lt_i64_e32 vcc, 2, v[0:1]
	s_and_saveexec_b64 s[0:1], vcc
	s_xor_b64 s[0:1], exec, s[0:1]
	s_cbranch_execz .LBB6662_168
; %bb.163:
	v_cmp_lt_i64_e32 vcc, 3, v[0:1]
	s_and_saveexec_b64 s[2:3], vcc
	s_xor_b64 s[2:3], exec, s[2:3]
	s_cbranch_execz .LBB6662_165
; %bb.164:
	v_mov_b32_e32 v0, 0
	s_waitcnt lgkmcnt(0)
	global_store_dword v0, v4, s[10:11]
                                        ; implicit-def: $vgpr6_vgpr7
.LBB6662_165:
	s_andn2_saveexec_b64 s[2:3], s[2:3]
	s_cbranch_execz .LBB6662_167
; %bb.166:
	v_mov_b32_e32 v0, 0
	s_waitcnt lgkmcnt(0)
	global_store_dword v0, v7, s[10:11]
.LBB6662_167:
	s_or_b64 exec, exec, s[2:3]
                                        ; implicit-def: $vgpr0_vgpr1
                                        ; implicit-def: $vgpr6_vgpr7
                                        ; implicit-def: $vgpr2_vgpr3
.LBB6662_168:
	s_andn2_saveexec_b64 s[0:1], s[0:1]
	s_cbranch_execz .LBB6662_176
; %bb.169:
	v_cmp_lt_i64_e32 vcc, 1, v[0:1]
	s_and_saveexec_b64 s[0:1], vcc
	s_xor_b64 s[0:1], exec, s[0:1]
	s_cbranch_execz .LBB6662_171
; %bb.170:
	v_mov_b32_e32 v0, 0
	s_waitcnt lgkmcnt(0)
	global_store_dword v0, v6, s[10:11]
                                        ; implicit-def: $vgpr2_vgpr3
                                        ; implicit-def: $vgpr0_vgpr1
.LBB6662_171:
	s_andn2_saveexec_b64 s[0:1], s[0:1]
	s_cbranch_execz .LBB6662_176
; %bb.172:
	v_cmp_ne_u64_e32 vcc, 1, v[0:1]
	s_and_saveexec_b64 s[0:1], vcc
	s_xor_b64 s[0:1], exec, s[0:1]
	s_cbranch_execz .LBB6662_174
; %bb.173:
	v_mov_b32_e32 v0, 0
	s_waitcnt lgkmcnt(0)
	global_store_dword v0, v2, s[10:11]
                                        ; implicit-def: $vgpr2_vgpr3
.LBB6662_174:
	s_andn2_saveexec_b64 s[0:1], s[0:1]
	s_cbranch_execz .LBB6662_176
; %bb.175:
	v_mov_b32_e32 v0, 0
	s_waitcnt lgkmcnt(0)
	global_store_dword v0, v3, s[10:11]
.LBB6662_176:
	s_endpgm
	.section	.rodata,"a",@progbits
	.p2align	6, 0x0
	.amdhsa_kernel _ZN7rocprim17ROCPRIM_400000_NS6detail17trampoline_kernelINS0_14default_configENS1_20scan_config_selectorIiEEZZNS1_9scan_implILNS1_25lookback_scan_determinismE0ELb0ELb0ES3_N6thrust23THRUST_200600_302600_NS6detail15normal_iteratorINS9_10device_ptrIiEEEESE_i9plus_mod3IiEiEEDaPvRmT3_T4_T5_mT6_P12ihipStream_tbENKUlT_T0_E_clISt17integral_constantIbLb0EEST_IbLb1EEEEDaSP_SQ_EUlSP_E_NS1_11comp_targetILNS1_3genE4ELNS1_11target_archE910ELNS1_3gpuE8ELNS1_3repE0EEENS1_30default_config_static_selectorELNS0_4arch9wavefront6targetE1EEEvT1_
		.amdhsa_group_segment_fixed_size 5120
		.amdhsa_private_segment_fixed_size 0
		.amdhsa_kernarg_size 104
		.amdhsa_user_sgpr_count 6
		.amdhsa_user_sgpr_private_segment_buffer 1
		.amdhsa_user_sgpr_dispatch_ptr 0
		.amdhsa_user_sgpr_queue_ptr 0
		.amdhsa_user_sgpr_kernarg_segment_ptr 1
		.amdhsa_user_sgpr_dispatch_id 0
		.amdhsa_user_sgpr_flat_scratch_init 0
		.amdhsa_user_sgpr_kernarg_preload_length 0
		.amdhsa_user_sgpr_kernarg_preload_offset 0
		.amdhsa_user_sgpr_private_segment_size 0
		.amdhsa_uses_dynamic_stack 0
		.amdhsa_system_sgpr_private_segment_wavefront_offset 0
		.amdhsa_system_sgpr_workgroup_id_x 1
		.amdhsa_system_sgpr_workgroup_id_y 0
		.amdhsa_system_sgpr_workgroup_id_z 0
		.amdhsa_system_sgpr_workgroup_info 0
		.amdhsa_system_vgpr_workitem_id 0
		.amdhsa_next_free_vgpr 42
		.amdhsa_next_free_sgpr 44
		.amdhsa_accum_offset 44
		.amdhsa_reserve_vcc 1
		.amdhsa_reserve_flat_scratch 0
		.amdhsa_float_round_mode_32 0
		.amdhsa_float_round_mode_16_64 0
		.amdhsa_float_denorm_mode_32 3
		.amdhsa_float_denorm_mode_16_64 3
		.amdhsa_dx10_clamp 1
		.amdhsa_ieee_mode 1
		.amdhsa_fp16_overflow 0
		.amdhsa_tg_split 0
		.amdhsa_exception_fp_ieee_invalid_op 0
		.amdhsa_exception_fp_denorm_src 0
		.amdhsa_exception_fp_ieee_div_zero 0
		.amdhsa_exception_fp_ieee_overflow 0
		.amdhsa_exception_fp_ieee_underflow 0
		.amdhsa_exception_fp_ieee_inexact 0
		.amdhsa_exception_int_div_zero 0
	.end_amdhsa_kernel
	.section	.text._ZN7rocprim17ROCPRIM_400000_NS6detail17trampoline_kernelINS0_14default_configENS1_20scan_config_selectorIiEEZZNS1_9scan_implILNS1_25lookback_scan_determinismE0ELb0ELb0ES3_N6thrust23THRUST_200600_302600_NS6detail15normal_iteratorINS9_10device_ptrIiEEEESE_i9plus_mod3IiEiEEDaPvRmT3_T4_T5_mT6_P12ihipStream_tbENKUlT_T0_E_clISt17integral_constantIbLb0EEST_IbLb1EEEEDaSP_SQ_EUlSP_E_NS1_11comp_targetILNS1_3genE4ELNS1_11target_archE910ELNS1_3gpuE8ELNS1_3repE0EEENS1_30default_config_static_selectorELNS0_4arch9wavefront6targetE1EEEvT1_,"axG",@progbits,_ZN7rocprim17ROCPRIM_400000_NS6detail17trampoline_kernelINS0_14default_configENS1_20scan_config_selectorIiEEZZNS1_9scan_implILNS1_25lookback_scan_determinismE0ELb0ELb0ES3_N6thrust23THRUST_200600_302600_NS6detail15normal_iteratorINS9_10device_ptrIiEEEESE_i9plus_mod3IiEiEEDaPvRmT3_T4_T5_mT6_P12ihipStream_tbENKUlT_T0_E_clISt17integral_constantIbLb0EEST_IbLb1EEEEDaSP_SQ_EUlSP_E_NS1_11comp_targetILNS1_3genE4ELNS1_11target_archE910ELNS1_3gpuE8ELNS1_3repE0EEENS1_30default_config_static_selectorELNS0_4arch9wavefront6targetE1EEEvT1_,comdat
.Lfunc_end6662:
	.size	_ZN7rocprim17ROCPRIM_400000_NS6detail17trampoline_kernelINS0_14default_configENS1_20scan_config_selectorIiEEZZNS1_9scan_implILNS1_25lookback_scan_determinismE0ELb0ELb0ES3_N6thrust23THRUST_200600_302600_NS6detail15normal_iteratorINS9_10device_ptrIiEEEESE_i9plus_mod3IiEiEEDaPvRmT3_T4_T5_mT6_P12ihipStream_tbENKUlT_T0_E_clISt17integral_constantIbLb0EEST_IbLb1EEEEDaSP_SQ_EUlSP_E_NS1_11comp_targetILNS1_3genE4ELNS1_11target_archE910ELNS1_3gpuE8ELNS1_3repE0EEENS1_30default_config_static_selectorELNS0_4arch9wavefront6targetE1EEEvT1_, .Lfunc_end6662-_ZN7rocprim17ROCPRIM_400000_NS6detail17trampoline_kernelINS0_14default_configENS1_20scan_config_selectorIiEEZZNS1_9scan_implILNS1_25lookback_scan_determinismE0ELb0ELb0ES3_N6thrust23THRUST_200600_302600_NS6detail15normal_iteratorINS9_10device_ptrIiEEEESE_i9plus_mod3IiEiEEDaPvRmT3_T4_T5_mT6_P12ihipStream_tbENKUlT_T0_E_clISt17integral_constantIbLb0EEST_IbLb1EEEEDaSP_SQ_EUlSP_E_NS1_11comp_targetILNS1_3genE4ELNS1_11target_archE910ELNS1_3gpuE8ELNS1_3repE0EEENS1_30default_config_static_selectorELNS0_4arch9wavefront6targetE1EEEvT1_
                                        ; -- End function
	.section	.AMDGPU.csdata,"",@progbits
; Kernel info:
; codeLenInByte = 7432
; NumSgprs: 48
; NumVgprs: 42
; NumAgprs: 0
; TotalNumVgprs: 42
; ScratchSize: 0
; MemoryBound: 0
; FloatMode: 240
; IeeeMode: 1
; LDSByteSize: 5120 bytes/workgroup (compile time only)
; SGPRBlocks: 5
; VGPRBlocks: 5
; NumSGPRsForWavesPerEU: 48
; NumVGPRsForWavesPerEU: 42
; AccumOffset: 44
; Occupancy: 6
; WaveLimiterHint : 1
; COMPUTE_PGM_RSRC2:SCRATCH_EN: 0
; COMPUTE_PGM_RSRC2:USER_SGPR: 6
; COMPUTE_PGM_RSRC2:TRAP_HANDLER: 0
; COMPUTE_PGM_RSRC2:TGID_X_EN: 1
; COMPUTE_PGM_RSRC2:TGID_Y_EN: 0
; COMPUTE_PGM_RSRC2:TGID_Z_EN: 0
; COMPUTE_PGM_RSRC2:TIDIG_COMP_CNT: 0
; COMPUTE_PGM_RSRC3_GFX90A:ACCUM_OFFSET: 10
; COMPUTE_PGM_RSRC3_GFX90A:TG_SPLIT: 0
	.section	.text._ZN7rocprim17ROCPRIM_400000_NS6detail17trampoline_kernelINS0_14default_configENS1_20scan_config_selectorIiEEZZNS1_9scan_implILNS1_25lookback_scan_determinismE0ELb0ELb0ES3_N6thrust23THRUST_200600_302600_NS6detail15normal_iteratorINS9_10device_ptrIiEEEESE_i9plus_mod3IiEiEEDaPvRmT3_T4_T5_mT6_P12ihipStream_tbENKUlT_T0_E_clISt17integral_constantIbLb0EEST_IbLb1EEEEDaSP_SQ_EUlSP_E_NS1_11comp_targetILNS1_3genE3ELNS1_11target_archE908ELNS1_3gpuE7ELNS1_3repE0EEENS1_30default_config_static_selectorELNS0_4arch9wavefront6targetE1EEEvT1_,"axG",@progbits,_ZN7rocprim17ROCPRIM_400000_NS6detail17trampoline_kernelINS0_14default_configENS1_20scan_config_selectorIiEEZZNS1_9scan_implILNS1_25lookback_scan_determinismE0ELb0ELb0ES3_N6thrust23THRUST_200600_302600_NS6detail15normal_iteratorINS9_10device_ptrIiEEEESE_i9plus_mod3IiEiEEDaPvRmT3_T4_T5_mT6_P12ihipStream_tbENKUlT_T0_E_clISt17integral_constantIbLb0EEST_IbLb1EEEEDaSP_SQ_EUlSP_E_NS1_11comp_targetILNS1_3genE3ELNS1_11target_archE908ELNS1_3gpuE7ELNS1_3repE0EEENS1_30default_config_static_selectorELNS0_4arch9wavefront6targetE1EEEvT1_,comdat
	.protected	_ZN7rocprim17ROCPRIM_400000_NS6detail17trampoline_kernelINS0_14default_configENS1_20scan_config_selectorIiEEZZNS1_9scan_implILNS1_25lookback_scan_determinismE0ELb0ELb0ES3_N6thrust23THRUST_200600_302600_NS6detail15normal_iteratorINS9_10device_ptrIiEEEESE_i9plus_mod3IiEiEEDaPvRmT3_T4_T5_mT6_P12ihipStream_tbENKUlT_T0_E_clISt17integral_constantIbLb0EEST_IbLb1EEEEDaSP_SQ_EUlSP_E_NS1_11comp_targetILNS1_3genE3ELNS1_11target_archE908ELNS1_3gpuE7ELNS1_3repE0EEENS1_30default_config_static_selectorELNS0_4arch9wavefront6targetE1EEEvT1_ ; -- Begin function _ZN7rocprim17ROCPRIM_400000_NS6detail17trampoline_kernelINS0_14default_configENS1_20scan_config_selectorIiEEZZNS1_9scan_implILNS1_25lookback_scan_determinismE0ELb0ELb0ES3_N6thrust23THRUST_200600_302600_NS6detail15normal_iteratorINS9_10device_ptrIiEEEESE_i9plus_mod3IiEiEEDaPvRmT3_T4_T5_mT6_P12ihipStream_tbENKUlT_T0_E_clISt17integral_constantIbLb0EEST_IbLb1EEEEDaSP_SQ_EUlSP_E_NS1_11comp_targetILNS1_3genE3ELNS1_11target_archE908ELNS1_3gpuE7ELNS1_3repE0EEENS1_30default_config_static_selectorELNS0_4arch9wavefront6targetE1EEEvT1_
	.globl	_ZN7rocprim17ROCPRIM_400000_NS6detail17trampoline_kernelINS0_14default_configENS1_20scan_config_selectorIiEEZZNS1_9scan_implILNS1_25lookback_scan_determinismE0ELb0ELb0ES3_N6thrust23THRUST_200600_302600_NS6detail15normal_iteratorINS9_10device_ptrIiEEEESE_i9plus_mod3IiEiEEDaPvRmT3_T4_T5_mT6_P12ihipStream_tbENKUlT_T0_E_clISt17integral_constantIbLb0EEST_IbLb1EEEEDaSP_SQ_EUlSP_E_NS1_11comp_targetILNS1_3genE3ELNS1_11target_archE908ELNS1_3gpuE7ELNS1_3repE0EEENS1_30default_config_static_selectorELNS0_4arch9wavefront6targetE1EEEvT1_
	.p2align	8
	.type	_ZN7rocprim17ROCPRIM_400000_NS6detail17trampoline_kernelINS0_14default_configENS1_20scan_config_selectorIiEEZZNS1_9scan_implILNS1_25lookback_scan_determinismE0ELb0ELb0ES3_N6thrust23THRUST_200600_302600_NS6detail15normal_iteratorINS9_10device_ptrIiEEEESE_i9plus_mod3IiEiEEDaPvRmT3_T4_T5_mT6_P12ihipStream_tbENKUlT_T0_E_clISt17integral_constantIbLb0EEST_IbLb1EEEEDaSP_SQ_EUlSP_E_NS1_11comp_targetILNS1_3genE3ELNS1_11target_archE908ELNS1_3gpuE7ELNS1_3repE0EEENS1_30default_config_static_selectorELNS0_4arch9wavefront6targetE1EEEvT1_,@function
_ZN7rocprim17ROCPRIM_400000_NS6detail17trampoline_kernelINS0_14default_configENS1_20scan_config_selectorIiEEZZNS1_9scan_implILNS1_25lookback_scan_determinismE0ELb0ELb0ES3_N6thrust23THRUST_200600_302600_NS6detail15normal_iteratorINS9_10device_ptrIiEEEESE_i9plus_mod3IiEiEEDaPvRmT3_T4_T5_mT6_P12ihipStream_tbENKUlT_T0_E_clISt17integral_constantIbLb0EEST_IbLb1EEEEDaSP_SQ_EUlSP_E_NS1_11comp_targetILNS1_3genE3ELNS1_11target_archE908ELNS1_3gpuE7ELNS1_3repE0EEENS1_30default_config_static_selectorELNS0_4arch9wavefront6targetE1EEEvT1_: ; @_ZN7rocprim17ROCPRIM_400000_NS6detail17trampoline_kernelINS0_14default_configENS1_20scan_config_selectorIiEEZZNS1_9scan_implILNS1_25lookback_scan_determinismE0ELb0ELb0ES3_N6thrust23THRUST_200600_302600_NS6detail15normal_iteratorINS9_10device_ptrIiEEEESE_i9plus_mod3IiEiEEDaPvRmT3_T4_T5_mT6_P12ihipStream_tbENKUlT_T0_E_clISt17integral_constantIbLb0EEST_IbLb1EEEEDaSP_SQ_EUlSP_E_NS1_11comp_targetILNS1_3genE3ELNS1_11target_archE908ELNS1_3gpuE7ELNS1_3repE0EEENS1_30default_config_static_selectorELNS0_4arch9wavefront6targetE1EEEvT1_
; %bb.0:
	.section	.rodata,"a",@progbits
	.p2align	6, 0x0
	.amdhsa_kernel _ZN7rocprim17ROCPRIM_400000_NS6detail17trampoline_kernelINS0_14default_configENS1_20scan_config_selectorIiEEZZNS1_9scan_implILNS1_25lookback_scan_determinismE0ELb0ELb0ES3_N6thrust23THRUST_200600_302600_NS6detail15normal_iteratorINS9_10device_ptrIiEEEESE_i9plus_mod3IiEiEEDaPvRmT3_T4_T5_mT6_P12ihipStream_tbENKUlT_T0_E_clISt17integral_constantIbLb0EEST_IbLb1EEEEDaSP_SQ_EUlSP_E_NS1_11comp_targetILNS1_3genE3ELNS1_11target_archE908ELNS1_3gpuE7ELNS1_3repE0EEENS1_30default_config_static_selectorELNS0_4arch9wavefront6targetE1EEEvT1_
		.amdhsa_group_segment_fixed_size 0
		.amdhsa_private_segment_fixed_size 0
		.amdhsa_kernarg_size 104
		.amdhsa_user_sgpr_count 6
		.amdhsa_user_sgpr_private_segment_buffer 1
		.amdhsa_user_sgpr_dispatch_ptr 0
		.amdhsa_user_sgpr_queue_ptr 0
		.amdhsa_user_sgpr_kernarg_segment_ptr 1
		.amdhsa_user_sgpr_dispatch_id 0
		.amdhsa_user_sgpr_flat_scratch_init 0
		.amdhsa_user_sgpr_kernarg_preload_length 0
		.amdhsa_user_sgpr_kernarg_preload_offset 0
		.amdhsa_user_sgpr_private_segment_size 0
		.amdhsa_uses_dynamic_stack 0
		.amdhsa_system_sgpr_private_segment_wavefront_offset 0
		.amdhsa_system_sgpr_workgroup_id_x 1
		.amdhsa_system_sgpr_workgroup_id_y 0
		.amdhsa_system_sgpr_workgroup_id_z 0
		.amdhsa_system_sgpr_workgroup_info 0
		.amdhsa_system_vgpr_workitem_id 0
		.amdhsa_next_free_vgpr 1
		.amdhsa_next_free_sgpr 0
		.amdhsa_accum_offset 4
		.amdhsa_reserve_vcc 0
		.amdhsa_reserve_flat_scratch 0
		.amdhsa_float_round_mode_32 0
		.amdhsa_float_round_mode_16_64 0
		.amdhsa_float_denorm_mode_32 3
		.amdhsa_float_denorm_mode_16_64 3
		.amdhsa_dx10_clamp 1
		.amdhsa_ieee_mode 1
		.amdhsa_fp16_overflow 0
		.amdhsa_tg_split 0
		.amdhsa_exception_fp_ieee_invalid_op 0
		.amdhsa_exception_fp_denorm_src 0
		.amdhsa_exception_fp_ieee_div_zero 0
		.amdhsa_exception_fp_ieee_overflow 0
		.amdhsa_exception_fp_ieee_underflow 0
		.amdhsa_exception_fp_ieee_inexact 0
		.amdhsa_exception_int_div_zero 0
	.end_amdhsa_kernel
	.section	.text._ZN7rocprim17ROCPRIM_400000_NS6detail17trampoline_kernelINS0_14default_configENS1_20scan_config_selectorIiEEZZNS1_9scan_implILNS1_25lookback_scan_determinismE0ELb0ELb0ES3_N6thrust23THRUST_200600_302600_NS6detail15normal_iteratorINS9_10device_ptrIiEEEESE_i9plus_mod3IiEiEEDaPvRmT3_T4_T5_mT6_P12ihipStream_tbENKUlT_T0_E_clISt17integral_constantIbLb0EEST_IbLb1EEEEDaSP_SQ_EUlSP_E_NS1_11comp_targetILNS1_3genE3ELNS1_11target_archE908ELNS1_3gpuE7ELNS1_3repE0EEENS1_30default_config_static_selectorELNS0_4arch9wavefront6targetE1EEEvT1_,"axG",@progbits,_ZN7rocprim17ROCPRIM_400000_NS6detail17trampoline_kernelINS0_14default_configENS1_20scan_config_selectorIiEEZZNS1_9scan_implILNS1_25lookback_scan_determinismE0ELb0ELb0ES3_N6thrust23THRUST_200600_302600_NS6detail15normal_iteratorINS9_10device_ptrIiEEEESE_i9plus_mod3IiEiEEDaPvRmT3_T4_T5_mT6_P12ihipStream_tbENKUlT_T0_E_clISt17integral_constantIbLb0EEST_IbLb1EEEEDaSP_SQ_EUlSP_E_NS1_11comp_targetILNS1_3genE3ELNS1_11target_archE908ELNS1_3gpuE7ELNS1_3repE0EEENS1_30default_config_static_selectorELNS0_4arch9wavefront6targetE1EEEvT1_,comdat
.Lfunc_end6663:
	.size	_ZN7rocprim17ROCPRIM_400000_NS6detail17trampoline_kernelINS0_14default_configENS1_20scan_config_selectorIiEEZZNS1_9scan_implILNS1_25lookback_scan_determinismE0ELb0ELb0ES3_N6thrust23THRUST_200600_302600_NS6detail15normal_iteratorINS9_10device_ptrIiEEEESE_i9plus_mod3IiEiEEDaPvRmT3_T4_T5_mT6_P12ihipStream_tbENKUlT_T0_E_clISt17integral_constantIbLb0EEST_IbLb1EEEEDaSP_SQ_EUlSP_E_NS1_11comp_targetILNS1_3genE3ELNS1_11target_archE908ELNS1_3gpuE7ELNS1_3repE0EEENS1_30default_config_static_selectorELNS0_4arch9wavefront6targetE1EEEvT1_, .Lfunc_end6663-_ZN7rocprim17ROCPRIM_400000_NS6detail17trampoline_kernelINS0_14default_configENS1_20scan_config_selectorIiEEZZNS1_9scan_implILNS1_25lookback_scan_determinismE0ELb0ELb0ES3_N6thrust23THRUST_200600_302600_NS6detail15normal_iteratorINS9_10device_ptrIiEEEESE_i9plus_mod3IiEiEEDaPvRmT3_T4_T5_mT6_P12ihipStream_tbENKUlT_T0_E_clISt17integral_constantIbLb0EEST_IbLb1EEEEDaSP_SQ_EUlSP_E_NS1_11comp_targetILNS1_3genE3ELNS1_11target_archE908ELNS1_3gpuE7ELNS1_3repE0EEENS1_30default_config_static_selectorELNS0_4arch9wavefront6targetE1EEEvT1_
                                        ; -- End function
	.section	.AMDGPU.csdata,"",@progbits
; Kernel info:
; codeLenInByte = 0
; NumSgprs: 4
; NumVgprs: 0
; NumAgprs: 0
; TotalNumVgprs: 0
; ScratchSize: 0
; MemoryBound: 0
; FloatMode: 240
; IeeeMode: 1
; LDSByteSize: 0 bytes/workgroup (compile time only)
; SGPRBlocks: 0
; VGPRBlocks: 0
; NumSGPRsForWavesPerEU: 4
; NumVGPRsForWavesPerEU: 1
; AccumOffset: 4
; Occupancy: 8
; WaveLimiterHint : 0
; COMPUTE_PGM_RSRC2:SCRATCH_EN: 0
; COMPUTE_PGM_RSRC2:USER_SGPR: 6
; COMPUTE_PGM_RSRC2:TRAP_HANDLER: 0
; COMPUTE_PGM_RSRC2:TGID_X_EN: 1
; COMPUTE_PGM_RSRC2:TGID_Y_EN: 0
; COMPUTE_PGM_RSRC2:TGID_Z_EN: 0
; COMPUTE_PGM_RSRC2:TIDIG_COMP_CNT: 0
; COMPUTE_PGM_RSRC3_GFX90A:ACCUM_OFFSET: 0
; COMPUTE_PGM_RSRC3_GFX90A:TG_SPLIT: 0
	.section	.text._ZN7rocprim17ROCPRIM_400000_NS6detail17trampoline_kernelINS0_14default_configENS1_20scan_config_selectorIiEEZZNS1_9scan_implILNS1_25lookback_scan_determinismE0ELb0ELb0ES3_N6thrust23THRUST_200600_302600_NS6detail15normal_iteratorINS9_10device_ptrIiEEEESE_i9plus_mod3IiEiEEDaPvRmT3_T4_T5_mT6_P12ihipStream_tbENKUlT_T0_E_clISt17integral_constantIbLb0EEST_IbLb1EEEEDaSP_SQ_EUlSP_E_NS1_11comp_targetILNS1_3genE2ELNS1_11target_archE906ELNS1_3gpuE6ELNS1_3repE0EEENS1_30default_config_static_selectorELNS0_4arch9wavefront6targetE1EEEvT1_,"axG",@progbits,_ZN7rocprim17ROCPRIM_400000_NS6detail17trampoline_kernelINS0_14default_configENS1_20scan_config_selectorIiEEZZNS1_9scan_implILNS1_25lookback_scan_determinismE0ELb0ELb0ES3_N6thrust23THRUST_200600_302600_NS6detail15normal_iteratorINS9_10device_ptrIiEEEESE_i9plus_mod3IiEiEEDaPvRmT3_T4_T5_mT6_P12ihipStream_tbENKUlT_T0_E_clISt17integral_constantIbLb0EEST_IbLb1EEEEDaSP_SQ_EUlSP_E_NS1_11comp_targetILNS1_3genE2ELNS1_11target_archE906ELNS1_3gpuE6ELNS1_3repE0EEENS1_30default_config_static_selectorELNS0_4arch9wavefront6targetE1EEEvT1_,comdat
	.protected	_ZN7rocprim17ROCPRIM_400000_NS6detail17trampoline_kernelINS0_14default_configENS1_20scan_config_selectorIiEEZZNS1_9scan_implILNS1_25lookback_scan_determinismE0ELb0ELb0ES3_N6thrust23THRUST_200600_302600_NS6detail15normal_iteratorINS9_10device_ptrIiEEEESE_i9plus_mod3IiEiEEDaPvRmT3_T4_T5_mT6_P12ihipStream_tbENKUlT_T0_E_clISt17integral_constantIbLb0EEST_IbLb1EEEEDaSP_SQ_EUlSP_E_NS1_11comp_targetILNS1_3genE2ELNS1_11target_archE906ELNS1_3gpuE6ELNS1_3repE0EEENS1_30default_config_static_selectorELNS0_4arch9wavefront6targetE1EEEvT1_ ; -- Begin function _ZN7rocprim17ROCPRIM_400000_NS6detail17trampoline_kernelINS0_14default_configENS1_20scan_config_selectorIiEEZZNS1_9scan_implILNS1_25lookback_scan_determinismE0ELb0ELb0ES3_N6thrust23THRUST_200600_302600_NS6detail15normal_iteratorINS9_10device_ptrIiEEEESE_i9plus_mod3IiEiEEDaPvRmT3_T4_T5_mT6_P12ihipStream_tbENKUlT_T0_E_clISt17integral_constantIbLb0EEST_IbLb1EEEEDaSP_SQ_EUlSP_E_NS1_11comp_targetILNS1_3genE2ELNS1_11target_archE906ELNS1_3gpuE6ELNS1_3repE0EEENS1_30default_config_static_selectorELNS0_4arch9wavefront6targetE1EEEvT1_
	.globl	_ZN7rocprim17ROCPRIM_400000_NS6detail17trampoline_kernelINS0_14default_configENS1_20scan_config_selectorIiEEZZNS1_9scan_implILNS1_25lookback_scan_determinismE0ELb0ELb0ES3_N6thrust23THRUST_200600_302600_NS6detail15normal_iteratorINS9_10device_ptrIiEEEESE_i9plus_mod3IiEiEEDaPvRmT3_T4_T5_mT6_P12ihipStream_tbENKUlT_T0_E_clISt17integral_constantIbLb0EEST_IbLb1EEEEDaSP_SQ_EUlSP_E_NS1_11comp_targetILNS1_3genE2ELNS1_11target_archE906ELNS1_3gpuE6ELNS1_3repE0EEENS1_30default_config_static_selectorELNS0_4arch9wavefront6targetE1EEEvT1_
	.p2align	8
	.type	_ZN7rocprim17ROCPRIM_400000_NS6detail17trampoline_kernelINS0_14default_configENS1_20scan_config_selectorIiEEZZNS1_9scan_implILNS1_25lookback_scan_determinismE0ELb0ELb0ES3_N6thrust23THRUST_200600_302600_NS6detail15normal_iteratorINS9_10device_ptrIiEEEESE_i9plus_mod3IiEiEEDaPvRmT3_T4_T5_mT6_P12ihipStream_tbENKUlT_T0_E_clISt17integral_constantIbLb0EEST_IbLb1EEEEDaSP_SQ_EUlSP_E_NS1_11comp_targetILNS1_3genE2ELNS1_11target_archE906ELNS1_3gpuE6ELNS1_3repE0EEENS1_30default_config_static_selectorELNS0_4arch9wavefront6targetE1EEEvT1_,@function
_ZN7rocprim17ROCPRIM_400000_NS6detail17trampoline_kernelINS0_14default_configENS1_20scan_config_selectorIiEEZZNS1_9scan_implILNS1_25lookback_scan_determinismE0ELb0ELb0ES3_N6thrust23THRUST_200600_302600_NS6detail15normal_iteratorINS9_10device_ptrIiEEEESE_i9plus_mod3IiEiEEDaPvRmT3_T4_T5_mT6_P12ihipStream_tbENKUlT_T0_E_clISt17integral_constantIbLb0EEST_IbLb1EEEEDaSP_SQ_EUlSP_E_NS1_11comp_targetILNS1_3genE2ELNS1_11target_archE906ELNS1_3gpuE6ELNS1_3repE0EEENS1_30default_config_static_selectorELNS0_4arch9wavefront6targetE1EEEvT1_: ; @_ZN7rocprim17ROCPRIM_400000_NS6detail17trampoline_kernelINS0_14default_configENS1_20scan_config_selectorIiEEZZNS1_9scan_implILNS1_25lookback_scan_determinismE0ELb0ELb0ES3_N6thrust23THRUST_200600_302600_NS6detail15normal_iteratorINS9_10device_ptrIiEEEESE_i9plus_mod3IiEiEEDaPvRmT3_T4_T5_mT6_P12ihipStream_tbENKUlT_T0_E_clISt17integral_constantIbLb0EEST_IbLb1EEEEDaSP_SQ_EUlSP_E_NS1_11comp_targetILNS1_3genE2ELNS1_11target_archE906ELNS1_3gpuE6ELNS1_3repE0EEENS1_30default_config_static_selectorELNS0_4arch9wavefront6targetE1EEEvT1_
; %bb.0:
	.section	.rodata,"a",@progbits
	.p2align	6, 0x0
	.amdhsa_kernel _ZN7rocprim17ROCPRIM_400000_NS6detail17trampoline_kernelINS0_14default_configENS1_20scan_config_selectorIiEEZZNS1_9scan_implILNS1_25lookback_scan_determinismE0ELb0ELb0ES3_N6thrust23THRUST_200600_302600_NS6detail15normal_iteratorINS9_10device_ptrIiEEEESE_i9plus_mod3IiEiEEDaPvRmT3_T4_T5_mT6_P12ihipStream_tbENKUlT_T0_E_clISt17integral_constantIbLb0EEST_IbLb1EEEEDaSP_SQ_EUlSP_E_NS1_11comp_targetILNS1_3genE2ELNS1_11target_archE906ELNS1_3gpuE6ELNS1_3repE0EEENS1_30default_config_static_selectorELNS0_4arch9wavefront6targetE1EEEvT1_
		.amdhsa_group_segment_fixed_size 0
		.amdhsa_private_segment_fixed_size 0
		.amdhsa_kernarg_size 104
		.amdhsa_user_sgpr_count 6
		.amdhsa_user_sgpr_private_segment_buffer 1
		.amdhsa_user_sgpr_dispatch_ptr 0
		.amdhsa_user_sgpr_queue_ptr 0
		.amdhsa_user_sgpr_kernarg_segment_ptr 1
		.amdhsa_user_sgpr_dispatch_id 0
		.amdhsa_user_sgpr_flat_scratch_init 0
		.amdhsa_user_sgpr_kernarg_preload_length 0
		.amdhsa_user_sgpr_kernarg_preload_offset 0
		.amdhsa_user_sgpr_private_segment_size 0
		.amdhsa_uses_dynamic_stack 0
		.amdhsa_system_sgpr_private_segment_wavefront_offset 0
		.amdhsa_system_sgpr_workgroup_id_x 1
		.amdhsa_system_sgpr_workgroup_id_y 0
		.amdhsa_system_sgpr_workgroup_id_z 0
		.amdhsa_system_sgpr_workgroup_info 0
		.amdhsa_system_vgpr_workitem_id 0
		.amdhsa_next_free_vgpr 1
		.amdhsa_next_free_sgpr 0
		.amdhsa_accum_offset 4
		.amdhsa_reserve_vcc 0
		.amdhsa_reserve_flat_scratch 0
		.amdhsa_float_round_mode_32 0
		.amdhsa_float_round_mode_16_64 0
		.amdhsa_float_denorm_mode_32 3
		.amdhsa_float_denorm_mode_16_64 3
		.amdhsa_dx10_clamp 1
		.amdhsa_ieee_mode 1
		.amdhsa_fp16_overflow 0
		.amdhsa_tg_split 0
		.amdhsa_exception_fp_ieee_invalid_op 0
		.amdhsa_exception_fp_denorm_src 0
		.amdhsa_exception_fp_ieee_div_zero 0
		.amdhsa_exception_fp_ieee_overflow 0
		.amdhsa_exception_fp_ieee_underflow 0
		.amdhsa_exception_fp_ieee_inexact 0
		.amdhsa_exception_int_div_zero 0
	.end_amdhsa_kernel
	.section	.text._ZN7rocprim17ROCPRIM_400000_NS6detail17trampoline_kernelINS0_14default_configENS1_20scan_config_selectorIiEEZZNS1_9scan_implILNS1_25lookback_scan_determinismE0ELb0ELb0ES3_N6thrust23THRUST_200600_302600_NS6detail15normal_iteratorINS9_10device_ptrIiEEEESE_i9plus_mod3IiEiEEDaPvRmT3_T4_T5_mT6_P12ihipStream_tbENKUlT_T0_E_clISt17integral_constantIbLb0EEST_IbLb1EEEEDaSP_SQ_EUlSP_E_NS1_11comp_targetILNS1_3genE2ELNS1_11target_archE906ELNS1_3gpuE6ELNS1_3repE0EEENS1_30default_config_static_selectorELNS0_4arch9wavefront6targetE1EEEvT1_,"axG",@progbits,_ZN7rocprim17ROCPRIM_400000_NS6detail17trampoline_kernelINS0_14default_configENS1_20scan_config_selectorIiEEZZNS1_9scan_implILNS1_25lookback_scan_determinismE0ELb0ELb0ES3_N6thrust23THRUST_200600_302600_NS6detail15normal_iteratorINS9_10device_ptrIiEEEESE_i9plus_mod3IiEiEEDaPvRmT3_T4_T5_mT6_P12ihipStream_tbENKUlT_T0_E_clISt17integral_constantIbLb0EEST_IbLb1EEEEDaSP_SQ_EUlSP_E_NS1_11comp_targetILNS1_3genE2ELNS1_11target_archE906ELNS1_3gpuE6ELNS1_3repE0EEENS1_30default_config_static_selectorELNS0_4arch9wavefront6targetE1EEEvT1_,comdat
.Lfunc_end6664:
	.size	_ZN7rocprim17ROCPRIM_400000_NS6detail17trampoline_kernelINS0_14default_configENS1_20scan_config_selectorIiEEZZNS1_9scan_implILNS1_25lookback_scan_determinismE0ELb0ELb0ES3_N6thrust23THRUST_200600_302600_NS6detail15normal_iteratorINS9_10device_ptrIiEEEESE_i9plus_mod3IiEiEEDaPvRmT3_T4_T5_mT6_P12ihipStream_tbENKUlT_T0_E_clISt17integral_constantIbLb0EEST_IbLb1EEEEDaSP_SQ_EUlSP_E_NS1_11comp_targetILNS1_3genE2ELNS1_11target_archE906ELNS1_3gpuE6ELNS1_3repE0EEENS1_30default_config_static_selectorELNS0_4arch9wavefront6targetE1EEEvT1_, .Lfunc_end6664-_ZN7rocprim17ROCPRIM_400000_NS6detail17trampoline_kernelINS0_14default_configENS1_20scan_config_selectorIiEEZZNS1_9scan_implILNS1_25lookback_scan_determinismE0ELb0ELb0ES3_N6thrust23THRUST_200600_302600_NS6detail15normal_iteratorINS9_10device_ptrIiEEEESE_i9plus_mod3IiEiEEDaPvRmT3_T4_T5_mT6_P12ihipStream_tbENKUlT_T0_E_clISt17integral_constantIbLb0EEST_IbLb1EEEEDaSP_SQ_EUlSP_E_NS1_11comp_targetILNS1_3genE2ELNS1_11target_archE906ELNS1_3gpuE6ELNS1_3repE0EEENS1_30default_config_static_selectorELNS0_4arch9wavefront6targetE1EEEvT1_
                                        ; -- End function
	.section	.AMDGPU.csdata,"",@progbits
; Kernel info:
; codeLenInByte = 0
; NumSgprs: 4
; NumVgprs: 0
; NumAgprs: 0
; TotalNumVgprs: 0
; ScratchSize: 0
; MemoryBound: 0
; FloatMode: 240
; IeeeMode: 1
; LDSByteSize: 0 bytes/workgroup (compile time only)
; SGPRBlocks: 0
; VGPRBlocks: 0
; NumSGPRsForWavesPerEU: 4
; NumVGPRsForWavesPerEU: 1
; AccumOffset: 4
; Occupancy: 8
; WaveLimiterHint : 0
; COMPUTE_PGM_RSRC2:SCRATCH_EN: 0
; COMPUTE_PGM_RSRC2:USER_SGPR: 6
; COMPUTE_PGM_RSRC2:TRAP_HANDLER: 0
; COMPUTE_PGM_RSRC2:TGID_X_EN: 1
; COMPUTE_PGM_RSRC2:TGID_Y_EN: 0
; COMPUTE_PGM_RSRC2:TGID_Z_EN: 0
; COMPUTE_PGM_RSRC2:TIDIG_COMP_CNT: 0
; COMPUTE_PGM_RSRC3_GFX90A:ACCUM_OFFSET: 0
; COMPUTE_PGM_RSRC3_GFX90A:TG_SPLIT: 0
	.section	.text._ZN7rocprim17ROCPRIM_400000_NS6detail17trampoline_kernelINS0_14default_configENS1_20scan_config_selectorIiEEZZNS1_9scan_implILNS1_25lookback_scan_determinismE0ELb0ELb0ES3_N6thrust23THRUST_200600_302600_NS6detail15normal_iteratorINS9_10device_ptrIiEEEESE_i9plus_mod3IiEiEEDaPvRmT3_T4_T5_mT6_P12ihipStream_tbENKUlT_T0_E_clISt17integral_constantIbLb0EEST_IbLb1EEEEDaSP_SQ_EUlSP_E_NS1_11comp_targetILNS1_3genE10ELNS1_11target_archE1201ELNS1_3gpuE5ELNS1_3repE0EEENS1_30default_config_static_selectorELNS0_4arch9wavefront6targetE1EEEvT1_,"axG",@progbits,_ZN7rocprim17ROCPRIM_400000_NS6detail17trampoline_kernelINS0_14default_configENS1_20scan_config_selectorIiEEZZNS1_9scan_implILNS1_25lookback_scan_determinismE0ELb0ELb0ES3_N6thrust23THRUST_200600_302600_NS6detail15normal_iteratorINS9_10device_ptrIiEEEESE_i9plus_mod3IiEiEEDaPvRmT3_T4_T5_mT6_P12ihipStream_tbENKUlT_T0_E_clISt17integral_constantIbLb0EEST_IbLb1EEEEDaSP_SQ_EUlSP_E_NS1_11comp_targetILNS1_3genE10ELNS1_11target_archE1201ELNS1_3gpuE5ELNS1_3repE0EEENS1_30default_config_static_selectorELNS0_4arch9wavefront6targetE1EEEvT1_,comdat
	.protected	_ZN7rocprim17ROCPRIM_400000_NS6detail17trampoline_kernelINS0_14default_configENS1_20scan_config_selectorIiEEZZNS1_9scan_implILNS1_25lookback_scan_determinismE0ELb0ELb0ES3_N6thrust23THRUST_200600_302600_NS6detail15normal_iteratorINS9_10device_ptrIiEEEESE_i9plus_mod3IiEiEEDaPvRmT3_T4_T5_mT6_P12ihipStream_tbENKUlT_T0_E_clISt17integral_constantIbLb0EEST_IbLb1EEEEDaSP_SQ_EUlSP_E_NS1_11comp_targetILNS1_3genE10ELNS1_11target_archE1201ELNS1_3gpuE5ELNS1_3repE0EEENS1_30default_config_static_selectorELNS0_4arch9wavefront6targetE1EEEvT1_ ; -- Begin function _ZN7rocprim17ROCPRIM_400000_NS6detail17trampoline_kernelINS0_14default_configENS1_20scan_config_selectorIiEEZZNS1_9scan_implILNS1_25lookback_scan_determinismE0ELb0ELb0ES3_N6thrust23THRUST_200600_302600_NS6detail15normal_iteratorINS9_10device_ptrIiEEEESE_i9plus_mod3IiEiEEDaPvRmT3_T4_T5_mT6_P12ihipStream_tbENKUlT_T0_E_clISt17integral_constantIbLb0EEST_IbLb1EEEEDaSP_SQ_EUlSP_E_NS1_11comp_targetILNS1_3genE10ELNS1_11target_archE1201ELNS1_3gpuE5ELNS1_3repE0EEENS1_30default_config_static_selectorELNS0_4arch9wavefront6targetE1EEEvT1_
	.globl	_ZN7rocprim17ROCPRIM_400000_NS6detail17trampoline_kernelINS0_14default_configENS1_20scan_config_selectorIiEEZZNS1_9scan_implILNS1_25lookback_scan_determinismE0ELb0ELb0ES3_N6thrust23THRUST_200600_302600_NS6detail15normal_iteratorINS9_10device_ptrIiEEEESE_i9plus_mod3IiEiEEDaPvRmT3_T4_T5_mT6_P12ihipStream_tbENKUlT_T0_E_clISt17integral_constantIbLb0EEST_IbLb1EEEEDaSP_SQ_EUlSP_E_NS1_11comp_targetILNS1_3genE10ELNS1_11target_archE1201ELNS1_3gpuE5ELNS1_3repE0EEENS1_30default_config_static_selectorELNS0_4arch9wavefront6targetE1EEEvT1_
	.p2align	8
	.type	_ZN7rocprim17ROCPRIM_400000_NS6detail17trampoline_kernelINS0_14default_configENS1_20scan_config_selectorIiEEZZNS1_9scan_implILNS1_25lookback_scan_determinismE0ELb0ELb0ES3_N6thrust23THRUST_200600_302600_NS6detail15normal_iteratorINS9_10device_ptrIiEEEESE_i9plus_mod3IiEiEEDaPvRmT3_T4_T5_mT6_P12ihipStream_tbENKUlT_T0_E_clISt17integral_constantIbLb0EEST_IbLb1EEEEDaSP_SQ_EUlSP_E_NS1_11comp_targetILNS1_3genE10ELNS1_11target_archE1201ELNS1_3gpuE5ELNS1_3repE0EEENS1_30default_config_static_selectorELNS0_4arch9wavefront6targetE1EEEvT1_,@function
_ZN7rocprim17ROCPRIM_400000_NS6detail17trampoline_kernelINS0_14default_configENS1_20scan_config_selectorIiEEZZNS1_9scan_implILNS1_25lookback_scan_determinismE0ELb0ELb0ES3_N6thrust23THRUST_200600_302600_NS6detail15normal_iteratorINS9_10device_ptrIiEEEESE_i9plus_mod3IiEiEEDaPvRmT3_T4_T5_mT6_P12ihipStream_tbENKUlT_T0_E_clISt17integral_constantIbLb0EEST_IbLb1EEEEDaSP_SQ_EUlSP_E_NS1_11comp_targetILNS1_3genE10ELNS1_11target_archE1201ELNS1_3gpuE5ELNS1_3repE0EEENS1_30default_config_static_selectorELNS0_4arch9wavefront6targetE1EEEvT1_: ; @_ZN7rocprim17ROCPRIM_400000_NS6detail17trampoline_kernelINS0_14default_configENS1_20scan_config_selectorIiEEZZNS1_9scan_implILNS1_25lookback_scan_determinismE0ELb0ELb0ES3_N6thrust23THRUST_200600_302600_NS6detail15normal_iteratorINS9_10device_ptrIiEEEESE_i9plus_mod3IiEiEEDaPvRmT3_T4_T5_mT6_P12ihipStream_tbENKUlT_T0_E_clISt17integral_constantIbLb0EEST_IbLb1EEEEDaSP_SQ_EUlSP_E_NS1_11comp_targetILNS1_3genE10ELNS1_11target_archE1201ELNS1_3gpuE5ELNS1_3repE0EEENS1_30default_config_static_selectorELNS0_4arch9wavefront6targetE1EEEvT1_
; %bb.0:
	.section	.rodata,"a",@progbits
	.p2align	6, 0x0
	.amdhsa_kernel _ZN7rocprim17ROCPRIM_400000_NS6detail17trampoline_kernelINS0_14default_configENS1_20scan_config_selectorIiEEZZNS1_9scan_implILNS1_25lookback_scan_determinismE0ELb0ELb0ES3_N6thrust23THRUST_200600_302600_NS6detail15normal_iteratorINS9_10device_ptrIiEEEESE_i9plus_mod3IiEiEEDaPvRmT3_T4_T5_mT6_P12ihipStream_tbENKUlT_T0_E_clISt17integral_constantIbLb0EEST_IbLb1EEEEDaSP_SQ_EUlSP_E_NS1_11comp_targetILNS1_3genE10ELNS1_11target_archE1201ELNS1_3gpuE5ELNS1_3repE0EEENS1_30default_config_static_selectorELNS0_4arch9wavefront6targetE1EEEvT1_
		.amdhsa_group_segment_fixed_size 0
		.amdhsa_private_segment_fixed_size 0
		.amdhsa_kernarg_size 104
		.amdhsa_user_sgpr_count 6
		.amdhsa_user_sgpr_private_segment_buffer 1
		.amdhsa_user_sgpr_dispatch_ptr 0
		.amdhsa_user_sgpr_queue_ptr 0
		.amdhsa_user_sgpr_kernarg_segment_ptr 1
		.amdhsa_user_sgpr_dispatch_id 0
		.amdhsa_user_sgpr_flat_scratch_init 0
		.amdhsa_user_sgpr_kernarg_preload_length 0
		.amdhsa_user_sgpr_kernarg_preload_offset 0
		.amdhsa_user_sgpr_private_segment_size 0
		.amdhsa_uses_dynamic_stack 0
		.amdhsa_system_sgpr_private_segment_wavefront_offset 0
		.amdhsa_system_sgpr_workgroup_id_x 1
		.amdhsa_system_sgpr_workgroup_id_y 0
		.amdhsa_system_sgpr_workgroup_id_z 0
		.amdhsa_system_sgpr_workgroup_info 0
		.amdhsa_system_vgpr_workitem_id 0
		.amdhsa_next_free_vgpr 1
		.amdhsa_next_free_sgpr 0
		.amdhsa_accum_offset 4
		.amdhsa_reserve_vcc 0
		.amdhsa_reserve_flat_scratch 0
		.amdhsa_float_round_mode_32 0
		.amdhsa_float_round_mode_16_64 0
		.amdhsa_float_denorm_mode_32 3
		.amdhsa_float_denorm_mode_16_64 3
		.amdhsa_dx10_clamp 1
		.amdhsa_ieee_mode 1
		.amdhsa_fp16_overflow 0
		.amdhsa_tg_split 0
		.amdhsa_exception_fp_ieee_invalid_op 0
		.amdhsa_exception_fp_denorm_src 0
		.amdhsa_exception_fp_ieee_div_zero 0
		.amdhsa_exception_fp_ieee_overflow 0
		.amdhsa_exception_fp_ieee_underflow 0
		.amdhsa_exception_fp_ieee_inexact 0
		.amdhsa_exception_int_div_zero 0
	.end_amdhsa_kernel
	.section	.text._ZN7rocprim17ROCPRIM_400000_NS6detail17trampoline_kernelINS0_14default_configENS1_20scan_config_selectorIiEEZZNS1_9scan_implILNS1_25lookback_scan_determinismE0ELb0ELb0ES3_N6thrust23THRUST_200600_302600_NS6detail15normal_iteratorINS9_10device_ptrIiEEEESE_i9plus_mod3IiEiEEDaPvRmT3_T4_T5_mT6_P12ihipStream_tbENKUlT_T0_E_clISt17integral_constantIbLb0EEST_IbLb1EEEEDaSP_SQ_EUlSP_E_NS1_11comp_targetILNS1_3genE10ELNS1_11target_archE1201ELNS1_3gpuE5ELNS1_3repE0EEENS1_30default_config_static_selectorELNS0_4arch9wavefront6targetE1EEEvT1_,"axG",@progbits,_ZN7rocprim17ROCPRIM_400000_NS6detail17trampoline_kernelINS0_14default_configENS1_20scan_config_selectorIiEEZZNS1_9scan_implILNS1_25lookback_scan_determinismE0ELb0ELb0ES3_N6thrust23THRUST_200600_302600_NS6detail15normal_iteratorINS9_10device_ptrIiEEEESE_i9plus_mod3IiEiEEDaPvRmT3_T4_T5_mT6_P12ihipStream_tbENKUlT_T0_E_clISt17integral_constantIbLb0EEST_IbLb1EEEEDaSP_SQ_EUlSP_E_NS1_11comp_targetILNS1_3genE10ELNS1_11target_archE1201ELNS1_3gpuE5ELNS1_3repE0EEENS1_30default_config_static_selectorELNS0_4arch9wavefront6targetE1EEEvT1_,comdat
.Lfunc_end6665:
	.size	_ZN7rocprim17ROCPRIM_400000_NS6detail17trampoline_kernelINS0_14default_configENS1_20scan_config_selectorIiEEZZNS1_9scan_implILNS1_25lookback_scan_determinismE0ELb0ELb0ES3_N6thrust23THRUST_200600_302600_NS6detail15normal_iteratorINS9_10device_ptrIiEEEESE_i9plus_mod3IiEiEEDaPvRmT3_T4_T5_mT6_P12ihipStream_tbENKUlT_T0_E_clISt17integral_constantIbLb0EEST_IbLb1EEEEDaSP_SQ_EUlSP_E_NS1_11comp_targetILNS1_3genE10ELNS1_11target_archE1201ELNS1_3gpuE5ELNS1_3repE0EEENS1_30default_config_static_selectorELNS0_4arch9wavefront6targetE1EEEvT1_, .Lfunc_end6665-_ZN7rocprim17ROCPRIM_400000_NS6detail17trampoline_kernelINS0_14default_configENS1_20scan_config_selectorIiEEZZNS1_9scan_implILNS1_25lookback_scan_determinismE0ELb0ELb0ES3_N6thrust23THRUST_200600_302600_NS6detail15normal_iteratorINS9_10device_ptrIiEEEESE_i9plus_mod3IiEiEEDaPvRmT3_T4_T5_mT6_P12ihipStream_tbENKUlT_T0_E_clISt17integral_constantIbLb0EEST_IbLb1EEEEDaSP_SQ_EUlSP_E_NS1_11comp_targetILNS1_3genE10ELNS1_11target_archE1201ELNS1_3gpuE5ELNS1_3repE0EEENS1_30default_config_static_selectorELNS0_4arch9wavefront6targetE1EEEvT1_
                                        ; -- End function
	.section	.AMDGPU.csdata,"",@progbits
; Kernel info:
; codeLenInByte = 0
; NumSgprs: 4
; NumVgprs: 0
; NumAgprs: 0
; TotalNumVgprs: 0
; ScratchSize: 0
; MemoryBound: 0
; FloatMode: 240
; IeeeMode: 1
; LDSByteSize: 0 bytes/workgroup (compile time only)
; SGPRBlocks: 0
; VGPRBlocks: 0
; NumSGPRsForWavesPerEU: 4
; NumVGPRsForWavesPerEU: 1
; AccumOffset: 4
; Occupancy: 8
; WaveLimiterHint : 0
; COMPUTE_PGM_RSRC2:SCRATCH_EN: 0
; COMPUTE_PGM_RSRC2:USER_SGPR: 6
; COMPUTE_PGM_RSRC2:TRAP_HANDLER: 0
; COMPUTE_PGM_RSRC2:TGID_X_EN: 1
; COMPUTE_PGM_RSRC2:TGID_Y_EN: 0
; COMPUTE_PGM_RSRC2:TGID_Z_EN: 0
; COMPUTE_PGM_RSRC2:TIDIG_COMP_CNT: 0
; COMPUTE_PGM_RSRC3_GFX90A:ACCUM_OFFSET: 0
; COMPUTE_PGM_RSRC3_GFX90A:TG_SPLIT: 0
	.section	.text._ZN7rocprim17ROCPRIM_400000_NS6detail17trampoline_kernelINS0_14default_configENS1_20scan_config_selectorIiEEZZNS1_9scan_implILNS1_25lookback_scan_determinismE0ELb0ELb0ES3_N6thrust23THRUST_200600_302600_NS6detail15normal_iteratorINS9_10device_ptrIiEEEESE_i9plus_mod3IiEiEEDaPvRmT3_T4_T5_mT6_P12ihipStream_tbENKUlT_T0_E_clISt17integral_constantIbLb0EEST_IbLb1EEEEDaSP_SQ_EUlSP_E_NS1_11comp_targetILNS1_3genE10ELNS1_11target_archE1200ELNS1_3gpuE4ELNS1_3repE0EEENS1_30default_config_static_selectorELNS0_4arch9wavefront6targetE1EEEvT1_,"axG",@progbits,_ZN7rocprim17ROCPRIM_400000_NS6detail17trampoline_kernelINS0_14default_configENS1_20scan_config_selectorIiEEZZNS1_9scan_implILNS1_25lookback_scan_determinismE0ELb0ELb0ES3_N6thrust23THRUST_200600_302600_NS6detail15normal_iteratorINS9_10device_ptrIiEEEESE_i9plus_mod3IiEiEEDaPvRmT3_T4_T5_mT6_P12ihipStream_tbENKUlT_T0_E_clISt17integral_constantIbLb0EEST_IbLb1EEEEDaSP_SQ_EUlSP_E_NS1_11comp_targetILNS1_3genE10ELNS1_11target_archE1200ELNS1_3gpuE4ELNS1_3repE0EEENS1_30default_config_static_selectorELNS0_4arch9wavefront6targetE1EEEvT1_,comdat
	.protected	_ZN7rocprim17ROCPRIM_400000_NS6detail17trampoline_kernelINS0_14default_configENS1_20scan_config_selectorIiEEZZNS1_9scan_implILNS1_25lookback_scan_determinismE0ELb0ELb0ES3_N6thrust23THRUST_200600_302600_NS6detail15normal_iteratorINS9_10device_ptrIiEEEESE_i9plus_mod3IiEiEEDaPvRmT3_T4_T5_mT6_P12ihipStream_tbENKUlT_T0_E_clISt17integral_constantIbLb0EEST_IbLb1EEEEDaSP_SQ_EUlSP_E_NS1_11comp_targetILNS1_3genE10ELNS1_11target_archE1200ELNS1_3gpuE4ELNS1_3repE0EEENS1_30default_config_static_selectorELNS0_4arch9wavefront6targetE1EEEvT1_ ; -- Begin function _ZN7rocprim17ROCPRIM_400000_NS6detail17trampoline_kernelINS0_14default_configENS1_20scan_config_selectorIiEEZZNS1_9scan_implILNS1_25lookback_scan_determinismE0ELb0ELb0ES3_N6thrust23THRUST_200600_302600_NS6detail15normal_iteratorINS9_10device_ptrIiEEEESE_i9plus_mod3IiEiEEDaPvRmT3_T4_T5_mT6_P12ihipStream_tbENKUlT_T0_E_clISt17integral_constantIbLb0EEST_IbLb1EEEEDaSP_SQ_EUlSP_E_NS1_11comp_targetILNS1_3genE10ELNS1_11target_archE1200ELNS1_3gpuE4ELNS1_3repE0EEENS1_30default_config_static_selectorELNS0_4arch9wavefront6targetE1EEEvT1_
	.globl	_ZN7rocprim17ROCPRIM_400000_NS6detail17trampoline_kernelINS0_14default_configENS1_20scan_config_selectorIiEEZZNS1_9scan_implILNS1_25lookback_scan_determinismE0ELb0ELb0ES3_N6thrust23THRUST_200600_302600_NS6detail15normal_iteratorINS9_10device_ptrIiEEEESE_i9plus_mod3IiEiEEDaPvRmT3_T4_T5_mT6_P12ihipStream_tbENKUlT_T0_E_clISt17integral_constantIbLb0EEST_IbLb1EEEEDaSP_SQ_EUlSP_E_NS1_11comp_targetILNS1_3genE10ELNS1_11target_archE1200ELNS1_3gpuE4ELNS1_3repE0EEENS1_30default_config_static_selectorELNS0_4arch9wavefront6targetE1EEEvT1_
	.p2align	8
	.type	_ZN7rocprim17ROCPRIM_400000_NS6detail17trampoline_kernelINS0_14default_configENS1_20scan_config_selectorIiEEZZNS1_9scan_implILNS1_25lookback_scan_determinismE0ELb0ELb0ES3_N6thrust23THRUST_200600_302600_NS6detail15normal_iteratorINS9_10device_ptrIiEEEESE_i9plus_mod3IiEiEEDaPvRmT3_T4_T5_mT6_P12ihipStream_tbENKUlT_T0_E_clISt17integral_constantIbLb0EEST_IbLb1EEEEDaSP_SQ_EUlSP_E_NS1_11comp_targetILNS1_3genE10ELNS1_11target_archE1200ELNS1_3gpuE4ELNS1_3repE0EEENS1_30default_config_static_selectorELNS0_4arch9wavefront6targetE1EEEvT1_,@function
_ZN7rocprim17ROCPRIM_400000_NS6detail17trampoline_kernelINS0_14default_configENS1_20scan_config_selectorIiEEZZNS1_9scan_implILNS1_25lookback_scan_determinismE0ELb0ELb0ES3_N6thrust23THRUST_200600_302600_NS6detail15normal_iteratorINS9_10device_ptrIiEEEESE_i9plus_mod3IiEiEEDaPvRmT3_T4_T5_mT6_P12ihipStream_tbENKUlT_T0_E_clISt17integral_constantIbLb0EEST_IbLb1EEEEDaSP_SQ_EUlSP_E_NS1_11comp_targetILNS1_3genE10ELNS1_11target_archE1200ELNS1_3gpuE4ELNS1_3repE0EEENS1_30default_config_static_selectorELNS0_4arch9wavefront6targetE1EEEvT1_: ; @_ZN7rocprim17ROCPRIM_400000_NS6detail17trampoline_kernelINS0_14default_configENS1_20scan_config_selectorIiEEZZNS1_9scan_implILNS1_25lookback_scan_determinismE0ELb0ELb0ES3_N6thrust23THRUST_200600_302600_NS6detail15normal_iteratorINS9_10device_ptrIiEEEESE_i9plus_mod3IiEiEEDaPvRmT3_T4_T5_mT6_P12ihipStream_tbENKUlT_T0_E_clISt17integral_constantIbLb0EEST_IbLb1EEEEDaSP_SQ_EUlSP_E_NS1_11comp_targetILNS1_3genE10ELNS1_11target_archE1200ELNS1_3gpuE4ELNS1_3repE0EEENS1_30default_config_static_selectorELNS0_4arch9wavefront6targetE1EEEvT1_
; %bb.0:
	.section	.rodata,"a",@progbits
	.p2align	6, 0x0
	.amdhsa_kernel _ZN7rocprim17ROCPRIM_400000_NS6detail17trampoline_kernelINS0_14default_configENS1_20scan_config_selectorIiEEZZNS1_9scan_implILNS1_25lookback_scan_determinismE0ELb0ELb0ES3_N6thrust23THRUST_200600_302600_NS6detail15normal_iteratorINS9_10device_ptrIiEEEESE_i9plus_mod3IiEiEEDaPvRmT3_T4_T5_mT6_P12ihipStream_tbENKUlT_T0_E_clISt17integral_constantIbLb0EEST_IbLb1EEEEDaSP_SQ_EUlSP_E_NS1_11comp_targetILNS1_3genE10ELNS1_11target_archE1200ELNS1_3gpuE4ELNS1_3repE0EEENS1_30default_config_static_selectorELNS0_4arch9wavefront6targetE1EEEvT1_
		.amdhsa_group_segment_fixed_size 0
		.amdhsa_private_segment_fixed_size 0
		.amdhsa_kernarg_size 104
		.amdhsa_user_sgpr_count 6
		.amdhsa_user_sgpr_private_segment_buffer 1
		.amdhsa_user_sgpr_dispatch_ptr 0
		.amdhsa_user_sgpr_queue_ptr 0
		.amdhsa_user_sgpr_kernarg_segment_ptr 1
		.amdhsa_user_sgpr_dispatch_id 0
		.amdhsa_user_sgpr_flat_scratch_init 0
		.amdhsa_user_sgpr_kernarg_preload_length 0
		.amdhsa_user_sgpr_kernarg_preload_offset 0
		.amdhsa_user_sgpr_private_segment_size 0
		.amdhsa_uses_dynamic_stack 0
		.amdhsa_system_sgpr_private_segment_wavefront_offset 0
		.amdhsa_system_sgpr_workgroup_id_x 1
		.amdhsa_system_sgpr_workgroup_id_y 0
		.amdhsa_system_sgpr_workgroup_id_z 0
		.amdhsa_system_sgpr_workgroup_info 0
		.amdhsa_system_vgpr_workitem_id 0
		.amdhsa_next_free_vgpr 1
		.amdhsa_next_free_sgpr 0
		.amdhsa_accum_offset 4
		.amdhsa_reserve_vcc 0
		.amdhsa_reserve_flat_scratch 0
		.amdhsa_float_round_mode_32 0
		.amdhsa_float_round_mode_16_64 0
		.amdhsa_float_denorm_mode_32 3
		.amdhsa_float_denorm_mode_16_64 3
		.amdhsa_dx10_clamp 1
		.amdhsa_ieee_mode 1
		.amdhsa_fp16_overflow 0
		.amdhsa_tg_split 0
		.amdhsa_exception_fp_ieee_invalid_op 0
		.amdhsa_exception_fp_denorm_src 0
		.amdhsa_exception_fp_ieee_div_zero 0
		.amdhsa_exception_fp_ieee_overflow 0
		.amdhsa_exception_fp_ieee_underflow 0
		.amdhsa_exception_fp_ieee_inexact 0
		.amdhsa_exception_int_div_zero 0
	.end_amdhsa_kernel
	.section	.text._ZN7rocprim17ROCPRIM_400000_NS6detail17trampoline_kernelINS0_14default_configENS1_20scan_config_selectorIiEEZZNS1_9scan_implILNS1_25lookback_scan_determinismE0ELb0ELb0ES3_N6thrust23THRUST_200600_302600_NS6detail15normal_iteratorINS9_10device_ptrIiEEEESE_i9plus_mod3IiEiEEDaPvRmT3_T4_T5_mT6_P12ihipStream_tbENKUlT_T0_E_clISt17integral_constantIbLb0EEST_IbLb1EEEEDaSP_SQ_EUlSP_E_NS1_11comp_targetILNS1_3genE10ELNS1_11target_archE1200ELNS1_3gpuE4ELNS1_3repE0EEENS1_30default_config_static_selectorELNS0_4arch9wavefront6targetE1EEEvT1_,"axG",@progbits,_ZN7rocprim17ROCPRIM_400000_NS6detail17trampoline_kernelINS0_14default_configENS1_20scan_config_selectorIiEEZZNS1_9scan_implILNS1_25lookback_scan_determinismE0ELb0ELb0ES3_N6thrust23THRUST_200600_302600_NS6detail15normal_iteratorINS9_10device_ptrIiEEEESE_i9plus_mod3IiEiEEDaPvRmT3_T4_T5_mT6_P12ihipStream_tbENKUlT_T0_E_clISt17integral_constantIbLb0EEST_IbLb1EEEEDaSP_SQ_EUlSP_E_NS1_11comp_targetILNS1_3genE10ELNS1_11target_archE1200ELNS1_3gpuE4ELNS1_3repE0EEENS1_30default_config_static_selectorELNS0_4arch9wavefront6targetE1EEEvT1_,comdat
.Lfunc_end6666:
	.size	_ZN7rocprim17ROCPRIM_400000_NS6detail17trampoline_kernelINS0_14default_configENS1_20scan_config_selectorIiEEZZNS1_9scan_implILNS1_25lookback_scan_determinismE0ELb0ELb0ES3_N6thrust23THRUST_200600_302600_NS6detail15normal_iteratorINS9_10device_ptrIiEEEESE_i9plus_mod3IiEiEEDaPvRmT3_T4_T5_mT6_P12ihipStream_tbENKUlT_T0_E_clISt17integral_constantIbLb0EEST_IbLb1EEEEDaSP_SQ_EUlSP_E_NS1_11comp_targetILNS1_3genE10ELNS1_11target_archE1200ELNS1_3gpuE4ELNS1_3repE0EEENS1_30default_config_static_selectorELNS0_4arch9wavefront6targetE1EEEvT1_, .Lfunc_end6666-_ZN7rocprim17ROCPRIM_400000_NS6detail17trampoline_kernelINS0_14default_configENS1_20scan_config_selectorIiEEZZNS1_9scan_implILNS1_25lookback_scan_determinismE0ELb0ELb0ES3_N6thrust23THRUST_200600_302600_NS6detail15normal_iteratorINS9_10device_ptrIiEEEESE_i9plus_mod3IiEiEEDaPvRmT3_T4_T5_mT6_P12ihipStream_tbENKUlT_T0_E_clISt17integral_constantIbLb0EEST_IbLb1EEEEDaSP_SQ_EUlSP_E_NS1_11comp_targetILNS1_3genE10ELNS1_11target_archE1200ELNS1_3gpuE4ELNS1_3repE0EEENS1_30default_config_static_selectorELNS0_4arch9wavefront6targetE1EEEvT1_
                                        ; -- End function
	.section	.AMDGPU.csdata,"",@progbits
; Kernel info:
; codeLenInByte = 0
; NumSgprs: 4
; NumVgprs: 0
; NumAgprs: 0
; TotalNumVgprs: 0
; ScratchSize: 0
; MemoryBound: 0
; FloatMode: 240
; IeeeMode: 1
; LDSByteSize: 0 bytes/workgroup (compile time only)
; SGPRBlocks: 0
; VGPRBlocks: 0
; NumSGPRsForWavesPerEU: 4
; NumVGPRsForWavesPerEU: 1
; AccumOffset: 4
; Occupancy: 8
; WaveLimiterHint : 0
; COMPUTE_PGM_RSRC2:SCRATCH_EN: 0
; COMPUTE_PGM_RSRC2:USER_SGPR: 6
; COMPUTE_PGM_RSRC2:TRAP_HANDLER: 0
; COMPUTE_PGM_RSRC2:TGID_X_EN: 1
; COMPUTE_PGM_RSRC2:TGID_Y_EN: 0
; COMPUTE_PGM_RSRC2:TGID_Z_EN: 0
; COMPUTE_PGM_RSRC2:TIDIG_COMP_CNT: 0
; COMPUTE_PGM_RSRC3_GFX90A:ACCUM_OFFSET: 0
; COMPUTE_PGM_RSRC3_GFX90A:TG_SPLIT: 0
	.section	.text._ZN7rocprim17ROCPRIM_400000_NS6detail17trampoline_kernelINS0_14default_configENS1_20scan_config_selectorIiEEZZNS1_9scan_implILNS1_25lookback_scan_determinismE0ELb0ELb0ES3_N6thrust23THRUST_200600_302600_NS6detail15normal_iteratorINS9_10device_ptrIiEEEESE_i9plus_mod3IiEiEEDaPvRmT3_T4_T5_mT6_P12ihipStream_tbENKUlT_T0_E_clISt17integral_constantIbLb0EEST_IbLb1EEEEDaSP_SQ_EUlSP_E_NS1_11comp_targetILNS1_3genE9ELNS1_11target_archE1100ELNS1_3gpuE3ELNS1_3repE0EEENS1_30default_config_static_selectorELNS0_4arch9wavefront6targetE1EEEvT1_,"axG",@progbits,_ZN7rocprim17ROCPRIM_400000_NS6detail17trampoline_kernelINS0_14default_configENS1_20scan_config_selectorIiEEZZNS1_9scan_implILNS1_25lookback_scan_determinismE0ELb0ELb0ES3_N6thrust23THRUST_200600_302600_NS6detail15normal_iteratorINS9_10device_ptrIiEEEESE_i9plus_mod3IiEiEEDaPvRmT3_T4_T5_mT6_P12ihipStream_tbENKUlT_T0_E_clISt17integral_constantIbLb0EEST_IbLb1EEEEDaSP_SQ_EUlSP_E_NS1_11comp_targetILNS1_3genE9ELNS1_11target_archE1100ELNS1_3gpuE3ELNS1_3repE0EEENS1_30default_config_static_selectorELNS0_4arch9wavefront6targetE1EEEvT1_,comdat
	.protected	_ZN7rocprim17ROCPRIM_400000_NS6detail17trampoline_kernelINS0_14default_configENS1_20scan_config_selectorIiEEZZNS1_9scan_implILNS1_25lookback_scan_determinismE0ELb0ELb0ES3_N6thrust23THRUST_200600_302600_NS6detail15normal_iteratorINS9_10device_ptrIiEEEESE_i9plus_mod3IiEiEEDaPvRmT3_T4_T5_mT6_P12ihipStream_tbENKUlT_T0_E_clISt17integral_constantIbLb0EEST_IbLb1EEEEDaSP_SQ_EUlSP_E_NS1_11comp_targetILNS1_3genE9ELNS1_11target_archE1100ELNS1_3gpuE3ELNS1_3repE0EEENS1_30default_config_static_selectorELNS0_4arch9wavefront6targetE1EEEvT1_ ; -- Begin function _ZN7rocprim17ROCPRIM_400000_NS6detail17trampoline_kernelINS0_14default_configENS1_20scan_config_selectorIiEEZZNS1_9scan_implILNS1_25lookback_scan_determinismE0ELb0ELb0ES3_N6thrust23THRUST_200600_302600_NS6detail15normal_iteratorINS9_10device_ptrIiEEEESE_i9plus_mod3IiEiEEDaPvRmT3_T4_T5_mT6_P12ihipStream_tbENKUlT_T0_E_clISt17integral_constantIbLb0EEST_IbLb1EEEEDaSP_SQ_EUlSP_E_NS1_11comp_targetILNS1_3genE9ELNS1_11target_archE1100ELNS1_3gpuE3ELNS1_3repE0EEENS1_30default_config_static_selectorELNS0_4arch9wavefront6targetE1EEEvT1_
	.globl	_ZN7rocprim17ROCPRIM_400000_NS6detail17trampoline_kernelINS0_14default_configENS1_20scan_config_selectorIiEEZZNS1_9scan_implILNS1_25lookback_scan_determinismE0ELb0ELb0ES3_N6thrust23THRUST_200600_302600_NS6detail15normal_iteratorINS9_10device_ptrIiEEEESE_i9plus_mod3IiEiEEDaPvRmT3_T4_T5_mT6_P12ihipStream_tbENKUlT_T0_E_clISt17integral_constantIbLb0EEST_IbLb1EEEEDaSP_SQ_EUlSP_E_NS1_11comp_targetILNS1_3genE9ELNS1_11target_archE1100ELNS1_3gpuE3ELNS1_3repE0EEENS1_30default_config_static_selectorELNS0_4arch9wavefront6targetE1EEEvT1_
	.p2align	8
	.type	_ZN7rocprim17ROCPRIM_400000_NS6detail17trampoline_kernelINS0_14default_configENS1_20scan_config_selectorIiEEZZNS1_9scan_implILNS1_25lookback_scan_determinismE0ELb0ELb0ES3_N6thrust23THRUST_200600_302600_NS6detail15normal_iteratorINS9_10device_ptrIiEEEESE_i9plus_mod3IiEiEEDaPvRmT3_T4_T5_mT6_P12ihipStream_tbENKUlT_T0_E_clISt17integral_constantIbLb0EEST_IbLb1EEEEDaSP_SQ_EUlSP_E_NS1_11comp_targetILNS1_3genE9ELNS1_11target_archE1100ELNS1_3gpuE3ELNS1_3repE0EEENS1_30default_config_static_selectorELNS0_4arch9wavefront6targetE1EEEvT1_,@function
_ZN7rocprim17ROCPRIM_400000_NS6detail17trampoline_kernelINS0_14default_configENS1_20scan_config_selectorIiEEZZNS1_9scan_implILNS1_25lookback_scan_determinismE0ELb0ELb0ES3_N6thrust23THRUST_200600_302600_NS6detail15normal_iteratorINS9_10device_ptrIiEEEESE_i9plus_mod3IiEiEEDaPvRmT3_T4_T5_mT6_P12ihipStream_tbENKUlT_T0_E_clISt17integral_constantIbLb0EEST_IbLb1EEEEDaSP_SQ_EUlSP_E_NS1_11comp_targetILNS1_3genE9ELNS1_11target_archE1100ELNS1_3gpuE3ELNS1_3repE0EEENS1_30default_config_static_selectorELNS0_4arch9wavefront6targetE1EEEvT1_: ; @_ZN7rocprim17ROCPRIM_400000_NS6detail17trampoline_kernelINS0_14default_configENS1_20scan_config_selectorIiEEZZNS1_9scan_implILNS1_25lookback_scan_determinismE0ELb0ELb0ES3_N6thrust23THRUST_200600_302600_NS6detail15normal_iteratorINS9_10device_ptrIiEEEESE_i9plus_mod3IiEiEEDaPvRmT3_T4_T5_mT6_P12ihipStream_tbENKUlT_T0_E_clISt17integral_constantIbLb0EEST_IbLb1EEEEDaSP_SQ_EUlSP_E_NS1_11comp_targetILNS1_3genE9ELNS1_11target_archE1100ELNS1_3gpuE3ELNS1_3repE0EEENS1_30default_config_static_selectorELNS0_4arch9wavefront6targetE1EEEvT1_
; %bb.0:
	.section	.rodata,"a",@progbits
	.p2align	6, 0x0
	.amdhsa_kernel _ZN7rocprim17ROCPRIM_400000_NS6detail17trampoline_kernelINS0_14default_configENS1_20scan_config_selectorIiEEZZNS1_9scan_implILNS1_25lookback_scan_determinismE0ELb0ELb0ES3_N6thrust23THRUST_200600_302600_NS6detail15normal_iteratorINS9_10device_ptrIiEEEESE_i9plus_mod3IiEiEEDaPvRmT3_T4_T5_mT6_P12ihipStream_tbENKUlT_T0_E_clISt17integral_constantIbLb0EEST_IbLb1EEEEDaSP_SQ_EUlSP_E_NS1_11comp_targetILNS1_3genE9ELNS1_11target_archE1100ELNS1_3gpuE3ELNS1_3repE0EEENS1_30default_config_static_selectorELNS0_4arch9wavefront6targetE1EEEvT1_
		.amdhsa_group_segment_fixed_size 0
		.amdhsa_private_segment_fixed_size 0
		.amdhsa_kernarg_size 104
		.amdhsa_user_sgpr_count 6
		.amdhsa_user_sgpr_private_segment_buffer 1
		.amdhsa_user_sgpr_dispatch_ptr 0
		.amdhsa_user_sgpr_queue_ptr 0
		.amdhsa_user_sgpr_kernarg_segment_ptr 1
		.amdhsa_user_sgpr_dispatch_id 0
		.amdhsa_user_sgpr_flat_scratch_init 0
		.amdhsa_user_sgpr_kernarg_preload_length 0
		.amdhsa_user_sgpr_kernarg_preload_offset 0
		.amdhsa_user_sgpr_private_segment_size 0
		.amdhsa_uses_dynamic_stack 0
		.amdhsa_system_sgpr_private_segment_wavefront_offset 0
		.amdhsa_system_sgpr_workgroup_id_x 1
		.amdhsa_system_sgpr_workgroup_id_y 0
		.amdhsa_system_sgpr_workgroup_id_z 0
		.amdhsa_system_sgpr_workgroup_info 0
		.amdhsa_system_vgpr_workitem_id 0
		.amdhsa_next_free_vgpr 1
		.amdhsa_next_free_sgpr 0
		.amdhsa_accum_offset 4
		.amdhsa_reserve_vcc 0
		.amdhsa_reserve_flat_scratch 0
		.amdhsa_float_round_mode_32 0
		.amdhsa_float_round_mode_16_64 0
		.amdhsa_float_denorm_mode_32 3
		.amdhsa_float_denorm_mode_16_64 3
		.amdhsa_dx10_clamp 1
		.amdhsa_ieee_mode 1
		.amdhsa_fp16_overflow 0
		.amdhsa_tg_split 0
		.amdhsa_exception_fp_ieee_invalid_op 0
		.amdhsa_exception_fp_denorm_src 0
		.amdhsa_exception_fp_ieee_div_zero 0
		.amdhsa_exception_fp_ieee_overflow 0
		.amdhsa_exception_fp_ieee_underflow 0
		.amdhsa_exception_fp_ieee_inexact 0
		.amdhsa_exception_int_div_zero 0
	.end_amdhsa_kernel
	.section	.text._ZN7rocprim17ROCPRIM_400000_NS6detail17trampoline_kernelINS0_14default_configENS1_20scan_config_selectorIiEEZZNS1_9scan_implILNS1_25lookback_scan_determinismE0ELb0ELb0ES3_N6thrust23THRUST_200600_302600_NS6detail15normal_iteratorINS9_10device_ptrIiEEEESE_i9plus_mod3IiEiEEDaPvRmT3_T4_T5_mT6_P12ihipStream_tbENKUlT_T0_E_clISt17integral_constantIbLb0EEST_IbLb1EEEEDaSP_SQ_EUlSP_E_NS1_11comp_targetILNS1_3genE9ELNS1_11target_archE1100ELNS1_3gpuE3ELNS1_3repE0EEENS1_30default_config_static_selectorELNS0_4arch9wavefront6targetE1EEEvT1_,"axG",@progbits,_ZN7rocprim17ROCPRIM_400000_NS6detail17trampoline_kernelINS0_14default_configENS1_20scan_config_selectorIiEEZZNS1_9scan_implILNS1_25lookback_scan_determinismE0ELb0ELb0ES3_N6thrust23THRUST_200600_302600_NS6detail15normal_iteratorINS9_10device_ptrIiEEEESE_i9plus_mod3IiEiEEDaPvRmT3_T4_T5_mT6_P12ihipStream_tbENKUlT_T0_E_clISt17integral_constantIbLb0EEST_IbLb1EEEEDaSP_SQ_EUlSP_E_NS1_11comp_targetILNS1_3genE9ELNS1_11target_archE1100ELNS1_3gpuE3ELNS1_3repE0EEENS1_30default_config_static_selectorELNS0_4arch9wavefront6targetE1EEEvT1_,comdat
.Lfunc_end6667:
	.size	_ZN7rocprim17ROCPRIM_400000_NS6detail17trampoline_kernelINS0_14default_configENS1_20scan_config_selectorIiEEZZNS1_9scan_implILNS1_25lookback_scan_determinismE0ELb0ELb0ES3_N6thrust23THRUST_200600_302600_NS6detail15normal_iteratorINS9_10device_ptrIiEEEESE_i9plus_mod3IiEiEEDaPvRmT3_T4_T5_mT6_P12ihipStream_tbENKUlT_T0_E_clISt17integral_constantIbLb0EEST_IbLb1EEEEDaSP_SQ_EUlSP_E_NS1_11comp_targetILNS1_3genE9ELNS1_11target_archE1100ELNS1_3gpuE3ELNS1_3repE0EEENS1_30default_config_static_selectorELNS0_4arch9wavefront6targetE1EEEvT1_, .Lfunc_end6667-_ZN7rocprim17ROCPRIM_400000_NS6detail17trampoline_kernelINS0_14default_configENS1_20scan_config_selectorIiEEZZNS1_9scan_implILNS1_25lookback_scan_determinismE0ELb0ELb0ES3_N6thrust23THRUST_200600_302600_NS6detail15normal_iteratorINS9_10device_ptrIiEEEESE_i9plus_mod3IiEiEEDaPvRmT3_T4_T5_mT6_P12ihipStream_tbENKUlT_T0_E_clISt17integral_constantIbLb0EEST_IbLb1EEEEDaSP_SQ_EUlSP_E_NS1_11comp_targetILNS1_3genE9ELNS1_11target_archE1100ELNS1_3gpuE3ELNS1_3repE0EEENS1_30default_config_static_selectorELNS0_4arch9wavefront6targetE1EEEvT1_
                                        ; -- End function
	.section	.AMDGPU.csdata,"",@progbits
; Kernel info:
; codeLenInByte = 0
; NumSgprs: 4
; NumVgprs: 0
; NumAgprs: 0
; TotalNumVgprs: 0
; ScratchSize: 0
; MemoryBound: 0
; FloatMode: 240
; IeeeMode: 1
; LDSByteSize: 0 bytes/workgroup (compile time only)
; SGPRBlocks: 0
; VGPRBlocks: 0
; NumSGPRsForWavesPerEU: 4
; NumVGPRsForWavesPerEU: 1
; AccumOffset: 4
; Occupancy: 8
; WaveLimiterHint : 0
; COMPUTE_PGM_RSRC2:SCRATCH_EN: 0
; COMPUTE_PGM_RSRC2:USER_SGPR: 6
; COMPUTE_PGM_RSRC2:TRAP_HANDLER: 0
; COMPUTE_PGM_RSRC2:TGID_X_EN: 1
; COMPUTE_PGM_RSRC2:TGID_Y_EN: 0
; COMPUTE_PGM_RSRC2:TGID_Z_EN: 0
; COMPUTE_PGM_RSRC2:TIDIG_COMP_CNT: 0
; COMPUTE_PGM_RSRC3_GFX90A:ACCUM_OFFSET: 0
; COMPUTE_PGM_RSRC3_GFX90A:TG_SPLIT: 0
	.section	.text._ZN7rocprim17ROCPRIM_400000_NS6detail17trampoline_kernelINS0_14default_configENS1_20scan_config_selectorIiEEZZNS1_9scan_implILNS1_25lookback_scan_determinismE0ELb0ELb0ES3_N6thrust23THRUST_200600_302600_NS6detail15normal_iteratorINS9_10device_ptrIiEEEESE_i9plus_mod3IiEiEEDaPvRmT3_T4_T5_mT6_P12ihipStream_tbENKUlT_T0_E_clISt17integral_constantIbLb0EEST_IbLb1EEEEDaSP_SQ_EUlSP_E_NS1_11comp_targetILNS1_3genE8ELNS1_11target_archE1030ELNS1_3gpuE2ELNS1_3repE0EEENS1_30default_config_static_selectorELNS0_4arch9wavefront6targetE1EEEvT1_,"axG",@progbits,_ZN7rocprim17ROCPRIM_400000_NS6detail17trampoline_kernelINS0_14default_configENS1_20scan_config_selectorIiEEZZNS1_9scan_implILNS1_25lookback_scan_determinismE0ELb0ELb0ES3_N6thrust23THRUST_200600_302600_NS6detail15normal_iteratorINS9_10device_ptrIiEEEESE_i9plus_mod3IiEiEEDaPvRmT3_T4_T5_mT6_P12ihipStream_tbENKUlT_T0_E_clISt17integral_constantIbLb0EEST_IbLb1EEEEDaSP_SQ_EUlSP_E_NS1_11comp_targetILNS1_3genE8ELNS1_11target_archE1030ELNS1_3gpuE2ELNS1_3repE0EEENS1_30default_config_static_selectorELNS0_4arch9wavefront6targetE1EEEvT1_,comdat
	.protected	_ZN7rocprim17ROCPRIM_400000_NS6detail17trampoline_kernelINS0_14default_configENS1_20scan_config_selectorIiEEZZNS1_9scan_implILNS1_25lookback_scan_determinismE0ELb0ELb0ES3_N6thrust23THRUST_200600_302600_NS6detail15normal_iteratorINS9_10device_ptrIiEEEESE_i9plus_mod3IiEiEEDaPvRmT3_T4_T5_mT6_P12ihipStream_tbENKUlT_T0_E_clISt17integral_constantIbLb0EEST_IbLb1EEEEDaSP_SQ_EUlSP_E_NS1_11comp_targetILNS1_3genE8ELNS1_11target_archE1030ELNS1_3gpuE2ELNS1_3repE0EEENS1_30default_config_static_selectorELNS0_4arch9wavefront6targetE1EEEvT1_ ; -- Begin function _ZN7rocprim17ROCPRIM_400000_NS6detail17trampoline_kernelINS0_14default_configENS1_20scan_config_selectorIiEEZZNS1_9scan_implILNS1_25lookback_scan_determinismE0ELb0ELb0ES3_N6thrust23THRUST_200600_302600_NS6detail15normal_iteratorINS9_10device_ptrIiEEEESE_i9plus_mod3IiEiEEDaPvRmT3_T4_T5_mT6_P12ihipStream_tbENKUlT_T0_E_clISt17integral_constantIbLb0EEST_IbLb1EEEEDaSP_SQ_EUlSP_E_NS1_11comp_targetILNS1_3genE8ELNS1_11target_archE1030ELNS1_3gpuE2ELNS1_3repE0EEENS1_30default_config_static_selectorELNS0_4arch9wavefront6targetE1EEEvT1_
	.globl	_ZN7rocprim17ROCPRIM_400000_NS6detail17trampoline_kernelINS0_14default_configENS1_20scan_config_selectorIiEEZZNS1_9scan_implILNS1_25lookback_scan_determinismE0ELb0ELb0ES3_N6thrust23THRUST_200600_302600_NS6detail15normal_iteratorINS9_10device_ptrIiEEEESE_i9plus_mod3IiEiEEDaPvRmT3_T4_T5_mT6_P12ihipStream_tbENKUlT_T0_E_clISt17integral_constantIbLb0EEST_IbLb1EEEEDaSP_SQ_EUlSP_E_NS1_11comp_targetILNS1_3genE8ELNS1_11target_archE1030ELNS1_3gpuE2ELNS1_3repE0EEENS1_30default_config_static_selectorELNS0_4arch9wavefront6targetE1EEEvT1_
	.p2align	8
	.type	_ZN7rocprim17ROCPRIM_400000_NS6detail17trampoline_kernelINS0_14default_configENS1_20scan_config_selectorIiEEZZNS1_9scan_implILNS1_25lookback_scan_determinismE0ELb0ELb0ES3_N6thrust23THRUST_200600_302600_NS6detail15normal_iteratorINS9_10device_ptrIiEEEESE_i9plus_mod3IiEiEEDaPvRmT3_T4_T5_mT6_P12ihipStream_tbENKUlT_T0_E_clISt17integral_constantIbLb0EEST_IbLb1EEEEDaSP_SQ_EUlSP_E_NS1_11comp_targetILNS1_3genE8ELNS1_11target_archE1030ELNS1_3gpuE2ELNS1_3repE0EEENS1_30default_config_static_selectorELNS0_4arch9wavefront6targetE1EEEvT1_,@function
_ZN7rocprim17ROCPRIM_400000_NS6detail17trampoline_kernelINS0_14default_configENS1_20scan_config_selectorIiEEZZNS1_9scan_implILNS1_25lookback_scan_determinismE0ELb0ELb0ES3_N6thrust23THRUST_200600_302600_NS6detail15normal_iteratorINS9_10device_ptrIiEEEESE_i9plus_mod3IiEiEEDaPvRmT3_T4_T5_mT6_P12ihipStream_tbENKUlT_T0_E_clISt17integral_constantIbLb0EEST_IbLb1EEEEDaSP_SQ_EUlSP_E_NS1_11comp_targetILNS1_3genE8ELNS1_11target_archE1030ELNS1_3gpuE2ELNS1_3repE0EEENS1_30default_config_static_selectorELNS0_4arch9wavefront6targetE1EEEvT1_: ; @_ZN7rocprim17ROCPRIM_400000_NS6detail17trampoline_kernelINS0_14default_configENS1_20scan_config_selectorIiEEZZNS1_9scan_implILNS1_25lookback_scan_determinismE0ELb0ELb0ES3_N6thrust23THRUST_200600_302600_NS6detail15normal_iteratorINS9_10device_ptrIiEEEESE_i9plus_mod3IiEiEEDaPvRmT3_T4_T5_mT6_P12ihipStream_tbENKUlT_T0_E_clISt17integral_constantIbLb0EEST_IbLb1EEEEDaSP_SQ_EUlSP_E_NS1_11comp_targetILNS1_3genE8ELNS1_11target_archE1030ELNS1_3gpuE2ELNS1_3repE0EEENS1_30default_config_static_selectorELNS0_4arch9wavefront6targetE1EEEvT1_
; %bb.0:
	.section	.rodata,"a",@progbits
	.p2align	6, 0x0
	.amdhsa_kernel _ZN7rocprim17ROCPRIM_400000_NS6detail17trampoline_kernelINS0_14default_configENS1_20scan_config_selectorIiEEZZNS1_9scan_implILNS1_25lookback_scan_determinismE0ELb0ELb0ES3_N6thrust23THRUST_200600_302600_NS6detail15normal_iteratorINS9_10device_ptrIiEEEESE_i9plus_mod3IiEiEEDaPvRmT3_T4_T5_mT6_P12ihipStream_tbENKUlT_T0_E_clISt17integral_constantIbLb0EEST_IbLb1EEEEDaSP_SQ_EUlSP_E_NS1_11comp_targetILNS1_3genE8ELNS1_11target_archE1030ELNS1_3gpuE2ELNS1_3repE0EEENS1_30default_config_static_selectorELNS0_4arch9wavefront6targetE1EEEvT1_
		.amdhsa_group_segment_fixed_size 0
		.amdhsa_private_segment_fixed_size 0
		.amdhsa_kernarg_size 104
		.amdhsa_user_sgpr_count 6
		.amdhsa_user_sgpr_private_segment_buffer 1
		.amdhsa_user_sgpr_dispatch_ptr 0
		.amdhsa_user_sgpr_queue_ptr 0
		.amdhsa_user_sgpr_kernarg_segment_ptr 1
		.amdhsa_user_sgpr_dispatch_id 0
		.amdhsa_user_sgpr_flat_scratch_init 0
		.amdhsa_user_sgpr_kernarg_preload_length 0
		.amdhsa_user_sgpr_kernarg_preload_offset 0
		.amdhsa_user_sgpr_private_segment_size 0
		.amdhsa_uses_dynamic_stack 0
		.amdhsa_system_sgpr_private_segment_wavefront_offset 0
		.amdhsa_system_sgpr_workgroup_id_x 1
		.amdhsa_system_sgpr_workgroup_id_y 0
		.amdhsa_system_sgpr_workgroup_id_z 0
		.amdhsa_system_sgpr_workgroup_info 0
		.amdhsa_system_vgpr_workitem_id 0
		.amdhsa_next_free_vgpr 1
		.amdhsa_next_free_sgpr 0
		.amdhsa_accum_offset 4
		.amdhsa_reserve_vcc 0
		.amdhsa_reserve_flat_scratch 0
		.amdhsa_float_round_mode_32 0
		.amdhsa_float_round_mode_16_64 0
		.amdhsa_float_denorm_mode_32 3
		.amdhsa_float_denorm_mode_16_64 3
		.amdhsa_dx10_clamp 1
		.amdhsa_ieee_mode 1
		.amdhsa_fp16_overflow 0
		.amdhsa_tg_split 0
		.amdhsa_exception_fp_ieee_invalid_op 0
		.amdhsa_exception_fp_denorm_src 0
		.amdhsa_exception_fp_ieee_div_zero 0
		.amdhsa_exception_fp_ieee_overflow 0
		.amdhsa_exception_fp_ieee_underflow 0
		.amdhsa_exception_fp_ieee_inexact 0
		.amdhsa_exception_int_div_zero 0
	.end_amdhsa_kernel
	.section	.text._ZN7rocprim17ROCPRIM_400000_NS6detail17trampoline_kernelINS0_14default_configENS1_20scan_config_selectorIiEEZZNS1_9scan_implILNS1_25lookback_scan_determinismE0ELb0ELb0ES3_N6thrust23THRUST_200600_302600_NS6detail15normal_iteratorINS9_10device_ptrIiEEEESE_i9plus_mod3IiEiEEDaPvRmT3_T4_T5_mT6_P12ihipStream_tbENKUlT_T0_E_clISt17integral_constantIbLb0EEST_IbLb1EEEEDaSP_SQ_EUlSP_E_NS1_11comp_targetILNS1_3genE8ELNS1_11target_archE1030ELNS1_3gpuE2ELNS1_3repE0EEENS1_30default_config_static_selectorELNS0_4arch9wavefront6targetE1EEEvT1_,"axG",@progbits,_ZN7rocprim17ROCPRIM_400000_NS6detail17trampoline_kernelINS0_14default_configENS1_20scan_config_selectorIiEEZZNS1_9scan_implILNS1_25lookback_scan_determinismE0ELb0ELb0ES3_N6thrust23THRUST_200600_302600_NS6detail15normal_iteratorINS9_10device_ptrIiEEEESE_i9plus_mod3IiEiEEDaPvRmT3_T4_T5_mT6_P12ihipStream_tbENKUlT_T0_E_clISt17integral_constantIbLb0EEST_IbLb1EEEEDaSP_SQ_EUlSP_E_NS1_11comp_targetILNS1_3genE8ELNS1_11target_archE1030ELNS1_3gpuE2ELNS1_3repE0EEENS1_30default_config_static_selectorELNS0_4arch9wavefront6targetE1EEEvT1_,comdat
.Lfunc_end6668:
	.size	_ZN7rocprim17ROCPRIM_400000_NS6detail17trampoline_kernelINS0_14default_configENS1_20scan_config_selectorIiEEZZNS1_9scan_implILNS1_25lookback_scan_determinismE0ELb0ELb0ES3_N6thrust23THRUST_200600_302600_NS6detail15normal_iteratorINS9_10device_ptrIiEEEESE_i9plus_mod3IiEiEEDaPvRmT3_T4_T5_mT6_P12ihipStream_tbENKUlT_T0_E_clISt17integral_constantIbLb0EEST_IbLb1EEEEDaSP_SQ_EUlSP_E_NS1_11comp_targetILNS1_3genE8ELNS1_11target_archE1030ELNS1_3gpuE2ELNS1_3repE0EEENS1_30default_config_static_selectorELNS0_4arch9wavefront6targetE1EEEvT1_, .Lfunc_end6668-_ZN7rocprim17ROCPRIM_400000_NS6detail17trampoline_kernelINS0_14default_configENS1_20scan_config_selectorIiEEZZNS1_9scan_implILNS1_25lookback_scan_determinismE0ELb0ELb0ES3_N6thrust23THRUST_200600_302600_NS6detail15normal_iteratorINS9_10device_ptrIiEEEESE_i9plus_mod3IiEiEEDaPvRmT3_T4_T5_mT6_P12ihipStream_tbENKUlT_T0_E_clISt17integral_constantIbLb0EEST_IbLb1EEEEDaSP_SQ_EUlSP_E_NS1_11comp_targetILNS1_3genE8ELNS1_11target_archE1030ELNS1_3gpuE2ELNS1_3repE0EEENS1_30default_config_static_selectorELNS0_4arch9wavefront6targetE1EEEvT1_
                                        ; -- End function
	.section	.AMDGPU.csdata,"",@progbits
; Kernel info:
; codeLenInByte = 0
; NumSgprs: 4
; NumVgprs: 0
; NumAgprs: 0
; TotalNumVgprs: 0
; ScratchSize: 0
; MemoryBound: 0
; FloatMode: 240
; IeeeMode: 1
; LDSByteSize: 0 bytes/workgroup (compile time only)
; SGPRBlocks: 0
; VGPRBlocks: 0
; NumSGPRsForWavesPerEU: 4
; NumVGPRsForWavesPerEU: 1
; AccumOffset: 4
; Occupancy: 8
; WaveLimiterHint : 0
; COMPUTE_PGM_RSRC2:SCRATCH_EN: 0
; COMPUTE_PGM_RSRC2:USER_SGPR: 6
; COMPUTE_PGM_RSRC2:TRAP_HANDLER: 0
; COMPUTE_PGM_RSRC2:TGID_X_EN: 1
; COMPUTE_PGM_RSRC2:TGID_Y_EN: 0
; COMPUTE_PGM_RSRC2:TGID_Z_EN: 0
; COMPUTE_PGM_RSRC2:TIDIG_COMP_CNT: 0
; COMPUTE_PGM_RSRC3_GFX90A:ACCUM_OFFSET: 0
; COMPUTE_PGM_RSRC3_GFX90A:TG_SPLIT: 0
	.section	.text._ZN7rocprim17ROCPRIM_400000_NS6detail17trampoline_kernelINS0_14default_configENS1_20scan_config_selectorIiEEZZNS1_9scan_implILNS1_25lookback_scan_determinismE0ELb0ELb0ES3_N6thrust23THRUST_200600_302600_NS6detail15normal_iteratorINS9_10device_ptrIiEEEESE_i9plus_mod3IiEiEEDaPvRmT3_T4_T5_mT6_P12ihipStream_tbENKUlT_T0_E_clISt17integral_constantIbLb0EEST_IbLb1EEEEDaSP_SQ_EUlSP_E0_NS1_11comp_targetILNS1_3genE0ELNS1_11target_archE4294967295ELNS1_3gpuE0ELNS1_3repE0EEENS1_30default_config_static_selectorELNS0_4arch9wavefront6targetE1EEEvT1_,"axG",@progbits,_ZN7rocprim17ROCPRIM_400000_NS6detail17trampoline_kernelINS0_14default_configENS1_20scan_config_selectorIiEEZZNS1_9scan_implILNS1_25lookback_scan_determinismE0ELb0ELb0ES3_N6thrust23THRUST_200600_302600_NS6detail15normal_iteratorINS9_10device_ptrIiEEEESE_i9plus_mod3IiEiEEDaPvRmT3_T4_T5_mT6_P12ihipStream_tbENKUlT_T0_E_clISt17integral_constantIbLb0EEST_IbLb1EEEEDaSP_SQ_EUlSP_E0_NS1_11comp_targetILNS1_3genE0ELNS1_11target_archE4294967295ELNS1_3gpuE0ELNS1_3repE0EEENS1_30default_config_static_selectorELNS0_4arch9wavefront6targetE1EEEvT1_,comdat
	.protected	_ZN7rocprim17ROCPRIM_400000_NS6detail17trampoline_kernelINS0_14default_configENS1_20scan_config_selectorIiEEZZNS1_9scan_implILNS1_25lookback_scan_determinismE0ELb0ELb0ES3_N6thrust23THRUST_200600_302600_NS6detail15normal_iteratorINS9_10device_ptrIiEEEESE_i9plus_mod3IiEiEEDaPvRmT3_T4_T5_mT6_P12ihipStream_tbENKUlT_T0_E_clISt17integral_constantIbLb0EEST_IbLb1EEEEDaSP_SQ_EUlSP_E0_NS1_11comp_targetILNS1_3genE0ELNS1_11target_archE4294967295ELNS1_3gpuE0ELNS1_3repE0EEENS1_30default_config_static_selectorELNS0_4arch9wavefront6targetE1EEEvT1_ ; -- Begin function _ZN7rocprim17ROCPRIM_400000_NS6detail17trampoline_kernelINS0_14default_configENS1_20scan_config_selectorIiEEZZNS1_9scan_implILNS1_25lookback_scan_determinismE0ELb0ELb0ES3_N6thrust23THRUST_200600_302600_NS6detail15normal_iteratorINS9_10device_ptrIiEEEESE_i9plus_mod3IiEiEEDaPvRmT3_T4_T5_mT6_P12ihipStream_tbENKUlT_T0_E_clISt17integral_constantIbLb0EEST_IbLb1EEEEDaSP_SQ_EUlSP_E0_NS1_11comp_targetILNS1_3genE0ELNS1_11target_archE4294967295ELNS1_3gpuE0ELNS1_3repE0EEENS1_30default_config_static_selectorELNS0_4arch9wavefront6targetE1EEEvT1_
	.globl	_ZN7rocprim17ROCPRIM_400000_NS6detail17trampoline_kernelINS0_14default_configENS1_20scan_config_selectorIiEEZZNS1_9scan_implILNS1_25lookback_scan_determinismE0ELb0ELb0ES3_N6thrust23THRUST_200600_302600_NS6detail15normal_iteratorINS9_10device_ptrIiEEEESE_i9plus_mod3IiEiEEDaPvRmT3_T4_T5_mT6_P12ihipStream_tbENKUlT_T0_E_clISt17integral_constantIbLb0EEST_IbLb1EEEEDaSP_SQ_EUlSP_E0_NS1_11comp_targetILNS1_3genE0ELNS1_11target_archE4294967295ELNS1_3gpuE0ELNS1_3repE0EEENS1_30default_config_static_selectorELNS0_4arch9wavefront6targetE1EEEvT1_
	.p2align	8
	.type	_ZN7rocprim17ROCPRIM_400000_NS6detail17trampoline_kernelINS0_14default_configENS1_20scan_config_selectorIiEEZZNS1_9scan_implILNS1_25lookback_scan_determinismE0ELb0ELb0ES3_N6thrust23THRUST_200600_302600_NS6detail15normal_iteratorINS9_10device_ptrIiEEEESE_i9plus_mod3IiEiEEDaPvRmT3_T4_T5_mT6_P12ihipStream_tbENKUlT_T0_E_clISt17integral_constantIbLb0EEST_IbLb1EEEEDaSP_SQ_EUlSP_E0_NS1_11comp_targetILNS1_3genE0ELNS1_11target_archE4294967295ELNS1_3gpuE0ELNS1_3repE0EEENS1_30default_config_static_selectorELNS0_4arch9wavefront6targetE1EEEvT1_,@function
_ZN7rocprim17ROCPRIM_400000_NS6detail17trampoline_kernelINS0_14default_configENS1_20scan_config_selectorIiEEZZNS1_9scan_implILNS1_25lookback_scan_determinismE0ELb0ELb0ES3_N6thrust23THRUST_200600_302600_NS6detail15normal_iteratorINS9_10device_ptrIiEEEESE_i9plus_mod3IiEiEEDaPvRmT3_T4_T5_mT6_P12ihipStream_tbENKUlT_T0_E_clISt17integral_constantIbLb0EEST_IbLb1EEEEDaSP_SQ_EUlSP_E0_NS1_11comp_targetILNS1_3genE0ELNS1_11target_archE4294967295ELNS1_3gpuE0ELNS1_3repE0EEENS1_30default_config_static_selectorELNS0_4arch9wavefront6targetE1EEEvT1_: ; @_ZN7rocprim17ROCPRIM_400000_NS6detail17trampoline_kernelINS0_14default_configENS1_20scan_config_selectorIiEEZZNS1_9scan_implILNS1_25lookback_scan_determinismE0ELb0ELb0ES3_N6thrust23THRUST_200600_302600_NS6detail15normal_iteratorINS9_10device_ptrIiEEEESE_i9plus_mod3IiEiEEDaPvRmT3_T4_T5_mT6_P12ihipStream_tbENKUlT_T0_E_clISt17integral_constantIbLb0EEST_IbLb1EEEEDaSP_SQ_EUlSP_E0_NS1_11comp_targetILNS1_3genE0ELNS1_11target_archE4294967295ELNS1_3gpuE0ELNS1_3repE0EEENS1_30default_config_static_selectorELNS0_4arch9wavefront6targetE1EEEvT1_
; %bb.0:
	.section	.rodata,"a",@progbits
	.p2align	6, 0x0
	.amdhsa_kernel _ZN7rocprim17ROCPRIM_400000_NS6detail17trampoline_kernelINS0_14default_configENS1_20scan_config_selectorIiEEZZNS1_9scan_implILNS1_25lookback_scan_determinismE0ELb0ELb0ES3_N6thrust23THRUST_200600_302600_NS6detail15normal_iteratorINS9_10device_ptrIiEEEESE_i9plus_mod3IiEiEEDaPvRmT3_T4_T5_mT6_P12ihipStream_tbENKUlT_T0_E_clISt17integral_constantIbLb0EEST_IbLb1EEEEDaSP_SQ_EUlSP_E0_NS1_11comp_targetILNS1_3genE0ELNS1_11target_archE4294967295ELNS1_3gpuE0ELNS1_3repE0EEENS1_30default_config_static_selectorELNS0_4arch9wavefront6targetE1EEEvT1_
		.amdhsa_group_segment_fixed_size 0
		.amdhsa_private_segment_fixed_size 0
		.amdhsa_kernarg_size 40
		.amdhsa_user_sgpr_count 6
		.amdhsa_user_sgpr_private_segment_buffer 1
		.amdhsa_user_sgpr_dispatch_ptr 0
		.amdhsa_user_sgpr_queue_ptr 0
		.amdhsa_user_sgpr_kernarg_segment_ptr 1
		.amdhsa_user_sgpr_dispatch_id 0
		.amdhsa_user_sgpr_flat_scratch_init 0
		.amdhsa_user_sgpr_kernarg_preload_length 0
		.amdhsa_user_sgpr_kernarg_preload_offset 0
		.amdhsa_user_sgpr_private_segment_size 0
		.amdhsa_uses_dynamic_stack 0
		.amdhsa_system_sgpr_private_segment_wavefront_offset 0
		.amdhsa_system_sgpr_workgroup_id_x 1
		.amdhsa_system_sgpr_workgroup_id_y 0
		.amdhsa_system_sgpr_workgroup_id_z 0
		.amdhsa_system_sgpr_workgroup_info 0
		.amdhsa_system_vgpr_workitem_id 0
		.amdhsa_next_free_vgpr 1
		.amdhsa_next_free_sgpr 0
		.amdhsa_accum_offset 4
		.amdhsa_reserve_vcc 0
		.amdhsa_reserve_flat_scratch 0
		.amdhsa_float_round_mode_32 0
		.amdhsa_float_round_mode_16_64 0
		.amdhsa_float_denorm_mode_32 3
		.amdhsa_float_denorm_mode_16_64 3
		.amdhsa_dx10_clamp 1
		.amdhsa_ieee_mode 1
		.amdhsa_fp16_overflow 0
		.amdhsa_tg_split 0
		.amdhsa_exception_fp_ieee_invalid_op 0
		.amdhsa_exception_fp_denorm_src 0
		.amdhsa_exception_fp_ieee_div_zero 0
		.amdhsa_exception_fp_ieee_overflow 0
		.amdhsa_exception_fp_ieee_underflow 0
		.amdhsa_exception_fp_ieee_inexact 0
		.amdhsa_exception_int_div_zero 0
	.end_amdhsa_kernel
	.section	.text._ZN7rocprim17ROCPRIM_400000_NS6detail17trampoline_kernelINS0_14default_configENS1_20scan_config_selectorIiEEZZNS1_9scan_implILNS1_25lookback_scan_determinismE0ELb0ELb0ES3_N6thrust23THRUST_200600_302600_NS6detail15normal_iteratorINS9_10device_ptrIiEEEESE_i9plus_mod3IiEiEEDaPvRmT3_T4_T5_mT6_P12ihipStream_tbENKUlT_T0_E_clISt17integral_constantIbLb0EEST_IbLb1EEEEDaSP_SQ_EUlSP_E0_NS1_11comp_targetILNS1_3genE0ELNS1_11target_archE4294967295ELNS1_3gpuE0ELNS1_3repE0EEENS1_30default_config_static_selectorELNS0_4arch9wavefront6targetE1EEEvT1_,"axG",@progbits,_ZN7rocprim17ROCPRIM_400000_NS6detail17trampoline_kernelINS0_14default_configENS1_20scan_config_selectorIiEEZZNS1_9scan_implILNS1_25lookback_scan_determinismE0ELb0ELb0ES3_N6thrust23THRUST_200600_302600_NS6detail15normal_iteratorINS9_10device_ptrIiEEEESE_i9plus_mod3IiEiEEDaPvRmT3_T4_T5_mT6_P12ihipStream_tbENKUlT_T0_E_clISt17integral_constantIbLb0EEST_IbLb1EEEEDaSP_SQ_EUlSP_E0_NS1_11comp_targetILNS1_3genE0ELNS1_11target_archE4294967295ELNS1_3gpuE0ELNS1_3repE0EEENS1_30default_config_static_selectorELNS0_4arch9wavefront6targetE1EEEvT1_,comdat
.Lfunc_end6669:
	.size	_ZN7rocprim17ROCPRIM_400000_NS6detail17trampoline_kernelINS0_14default_configENS1_20scan_config_selectorIiEEZZNS1_9scan_implILNS1_25lookback_scan_determinismE0ELb0ELb0ES3_N6thrust23THRUST_200600_302600_NS6detail15normal_iteratorINS9_10device_ptrIiEEEESE_i9plus_mod3IiEiEEDaPvRmT3_T4_T5_mT6_P12ihipStream_tbENKUlT_T0_E_clISt17integral_constantIbLb0EEST_IbLb1EEEEDaSP_SQ_EUlSP_E0_NS1_11comp_targetILNS1_3genE0ELNS1_11target_archE4294967295ELNS1_3gpuE0ELNS1_3repE0EEENS1_30default_config_static_selectorELNS0_4arch9wavefront6targetE1EEEvT1_, .Lfunc_end6669-_ZN7rocprim17ROCPRIM_400000_NS6detail17trampoline_kernelINS0_14default_configENS1_20scan_config_selectorIiEEZZNS1_9scan_implILNS1_25lookback_scan_determinismE0ELb0ELb0ES3_N6thrust23THRUST_200600_302600_NS6detail15normal_iteratorINS9_10device_ptrIiEEEESE_i9plus_mod3IiEiEEDaPvRmT3_T4_T5_mT6_P12ihipStream_tbENKUlT_T0_E_clISt17integral_constantIbLb0EEST_IbLb1EEEEDaSP_SQ_EUlSP_E0_NS1_11comp_targetILNS1_3genE0ELNS1_11target_archE4294967295ELNS1_3gpuE0ELNS1_3repE0EEENS1_30default_config_static_selectorELNS0_4arch9wavefront6targetE1EEEvT1_
                                        ; -- End function
	.section	.AMDGPU.csdata,"",@progbits
; Kernel info:
; codeLenInByte = 0
; NumSgprs: 4
; NumVgprs: 0
; NumAgprs: 0
; TotalNumVgprs: 0
; ScratchSize: 0
; MemoryBound: 0
; FloatMode: 240
; IeeeMode: 1
; LDSByteSize: 0 bytes/workgroup (compile time only)
; SGPRBlocks: 0
; VGPRBlocks: 0
; NumSGPRsForWavesPerEU: 4
; NumVGPRsForWavesPerEU: 1
; AccumOffset: 4
; Occupancy: 8
; WaveLimiterHint : 0
; COMPUTE_PGM_RSRC2:SCRATCH_EN: 0
; COMPUTE_PGM_RSRC2:USER_SGPR: 6
; COMPUTE_PGM_RSRC2:TRAP_HANDLER: 0
; COMPUTE_PGM_RSRC2:TGID_X_EN: 1
; COMPUTE_PGM_RSRC2:TGID_Y_EN: 0
; COMPUTE_PGM_RSRC2:TGID_Z_EN: 0
; COMPUTE_PGM_RSRC2:TIDIG_COMP_CNT: 0
; COMPUTE_PGM_RSRC3_GFX90A:ACCUM_OFFSET: 0
; COMPUTE_PGM_RSRC3_GFX90A:TG_SPLIT: 0
	.section	.text._ZN7rocprim17ROCPRIM_400000_NS6detail17trampoline_kernelINS0_14default_configENS1_20scan_config_selectorIiEEZZNS1_9scan_implILNS1_25lookback_scan_determinismE0ELb0ELb0ES3_N6thrust23THRUST_200600_302600_NS6detail15normal_iteratorINS9_10device_ptrIiEEEESE_i9plus_mod3IiEiEEDaPvRmT3_T4_T5_mT6_P12ihipStream_tbENKUlT_T0_E_clISt17integral_constantIbLb0EEST_IbLb1EEEEDaSP_SQ_EUlSP_E0_NS1_11comp_targetILNS1_3genE5ELNS1_11target_archE942ELNS1_3gpuE9ELNS1_3repE0EEENS1_30default_config_static_selectorELNS0_4arch9wavefront6targetE1EEEvT1_,"axG",@progbits,_ZN7rocprim17ROCPRIM_400000_NS6detail17trampoline_kernelINS0_14default_configENS1_20scan_config_selectorIiEEZZNS1_9scan_implILNS1_25lookback_scan_determinismE0ELb0ELb0ES3_N6thrust23THRUST_200600_302600_NS6detail15normal_iteratorINS9_10device_ptrIiEEEESE_i9plus_mod3IiEiEEDaPvRmT3_T4_T5_mT6_P12ihipStream_tbENKUlT_T0_E_clISt17integral_constantIbLb0EEST_IbLb1EEEEDaSP_SQ_EUlSP_E0_NS1_11comp_targetILNS1_3genE5ELNS1_11target_archE942ELNS1_3gpuE9ELNS1_3repE0EEENS1_30default_config_static_selectorELNS0_4arch9wavefront6targetE1EEEvT1_,comdat
	.protected	_ZN7rocprim17ROCPRIM_400000_NS6detail17trampoline_kernelINS0_14default_configENS1_20scan_config_selectorIiEEZZNS1_9scan_implILNS1_25lookback_scan_determinismE0ELb0ELb0ES3_N6thrust23THRUST_200600_302600_NS6detail15normal_iteratorINS9_10device_ptrIiEEEESE_i9plus_mod3IiEiEEDaPvRmT3_T4_T5_mT6_P12ihipStream_tbENKUlT_T0_E_clISt17integral_constantIbLb0EEST_IbLb1EEEEDaSP_SQ_EUlSP_E0_NS1_11comp_targetILNS1_3genE5ELNS1_11target_archE942ELNS1_3gpuE9ELNS1_3repE0EEENS1_30default_config_static_selectorELNS0_4arch9wavefront6targetE1EEEvT1_ ; -- Begin function _ZN7rocprim17ROCPRIM_400000_NS6detail17trampoline_kernelINS0_14default_configENS1_20scan_config_selectorIiEEZZNS1_9scan_implILNS1_25lookback_scan_determinismE0ELb0ELb0ES3_N6thrust23THRUST_200600_302600_NS6detail15normal_iteratorINS9_10device_ptrIiEEEESE_i9plus_mod3IiEiEEDaPvRmT3_T4_T5_mT6_P12ihipStream_tbENKUlT_T0_E_clISt17integral_constantIbLb0EEST_IbLb1EEEEDaSP_SQ_EUlSP_E0_NS1_11comp_targetILNS1_3genE5ELNS1_11target_archE942ELNS1_3gpuE9ELNS1_3repE0EEENS1_30default_config_static_selectorELNS0_4arch9wavefront6targetE1EEEvT1_
	.globl	_ZN7rocprim17ROCPRIM_400000_NS6detail17trampoline_kernelINS0_14default_configENS1_20scan_config_selectorIiEEZZNS1_9scan_implILNS1_25lookback_scan_determinismE0ELb0ELb0ES3_N6thrust23THRUST_200600_302600_NS6detail15normal_iteratorINS9_10device_ptrIiEEEESE_i9plus_mod3IiEiEEDaPvRmT3_T4_T5_mT6_P12ihipStream_tbENKUlT_T0_E_clISt17integral_constantIbLb0EEST_IbLb1EEEEDaSP_SQ_EUlSP_E0_NS1_11comp_targetILNS1_3genE5ELNS1_11target_archE942ELNS1_3gpuE9ELNS1_3repE0EEENS1_30default_config_static_selectorELNS0_4arch9wavefront6targetE1EEEvT1_
	.p2align	8
	.type	_ZN7rocprim17ROCPRIM_400000_NS6detail17trampoline_kernelINS0_14default_configENS1_20scan_config_selectorIiEEZZNS1_9scan_implILNS1_25lookback_scan_determinismE0ELb0ELb0ES3_N6thrust23THRUST_200600_302600_NS6detail15normal_iteratorINS9_10device_ptrIiEEEESE_i9plus_mod3IiEiEEDaPvRmT3_T4_T5_mT6_P12ihipStream_tbENKUlT_T0_E_clISt17integral_constantIbLb0EEST_IbLb1EEEEDaSP_SQ_EUlSP_E0_NS1_11comp_targetILNS1_3genE5ELNS1_11target_archE942ELNS1_3gpuE9ELNS1_3repE0EEENS1_30default_config_static_selectorELNS0_4arch9wavefront6targetE1EEEvT1_,@function
_ZN7rocprim17ROCPRIM_400000_NS6detail17trampoline_kernelINS0_14default_configENS1_20scan_config_selectorIiEEZZNS1_9scan_implILNS1_25lookback_scan_determinismE0ELb0ELb0ES3_N6thrust23THRUST_200600_302600_NS6detail15normal_iteratorINS9_10device_ptrIiEEEESE_i9plus_mod3IiEiEEDaPvRmT3_T4_T5_mT6_P12ihipStream_tbENKUlT_T0_E_clISt17integral_constantIbLb0EEST_IbLb1EEEEDaSP_SQ_EUlSP_E0_NS1_11comp_targetILNS1_3genE5ELNS1_11target_archE942ELNS1_3gpuE9ELNS1_3repE0EEENS1_30default_config_static_selectorELNS0_4arch9wavefront6targetE1EEEvT1_: ; @_ZN7rocprim17ROCPRIM_400000_NS6detail17trampoline_kernelINS0_14default_configENS1_20scan_config_selectorIiEEZZNS1_9scan_implILNS1_25lookback_scan_determinismE0ELb0ELb0ES3_N6thrust23THRUST_200600_302600_NS6detail15normal_iteratorINS9_10device_ptrIiEEEESE_i9plus_mod3IiEiEEDaPvRmT3_T4_T5_mT6_P12ihipStream_tbENKUlT_T0_E_clISt17integral_constantIbLb0EEST_IbLb1EEEEDaSP_SQ_EUlSP_E0_NS1_11comp_targetILNS1_3genE5ELNS1_11target_archE942ELNS1_3gpuE9ELNS1_3repE0EEENS1_30default_config_static_selectorELNS0_4arch9wavefront6targetE1EEEvT1_
; %bb.0:
	.section	.rodata,"a",@progbits
	.p2align	6, 0x0
	.amdhsa_kernel _ZN7rocprim17ROCPRIM_400000_NS6detail17trampoline_kernelINS0_14default_configENS1_20scan_config_selectorIiEEZZNS1_9scan_implILNS1_25lookback_scan_determinismE0ELb0ELb0ES3_N6thrust23THRUST_200600_302600_NS6detail15normal_iteratorINS9_10device_ptrIiEEEESE_i9plus_mod3IiEiEEDaPvRmT3_T4_T5_mT6_P12ihipStream_tbENKUlT_T0_E_clISt17integral_constantIbLb0EEST_IbLb1EEEEDaSP_SQ_EUlSP_E0_NS1_11comp_targetILNS1_3genE5ELNS1_11target_archE942ELNS1_3gpuE9ELNS1_3repE0EEENS1_30default_config_static_selectorELNS0_4arch9wavefront6targetE1EEEvT1_
		.amdhsa_group_segment_fixed_size 0
		.amdhsa_private_segment_fixed_size 0
		.amdhsa_kernarg_size 40
		.amdhsa_user_sgpr_count 6
		.amdhsa_user_sgpr_private_segment_buffer 1
		.amdhsa_user_sgpr_dispatch_ptr 0
		.amdhsa_user_sgpr_queue_ptr 0
		.amdhsa_user_sgpr_kernarg_segment_ptr 1
		.amdhsa_user_sgpr_dispatch_id 0
		.amdhsa_user_sgpr_flat_scratch_init 0
		.amdhsa_user_sgpr_kernarg_preload_length 0
		.amdhsa_user_sgpr_kernarg_preload_offset 0
		.amdhsa_user_sgpr_private_segment_size 0
		.amdhsa_uses_dynamic_stack 0
		.amdhsa_system_sgpr_private_segment_wavefront_offset 0
		.amdhsa_system_sgpr_workgroup_id_x 1
		.amdhsa_system_sgpr_workgroup_id_y 0
		.amdhsa_system_sgpr_workgroup_id_z 0
		.amdhsa_system_sgpr_workgroup_info 0
		.amdhsa_system_vgpr_workitem_id 0
		.amdhsa_next_free_vgpr 1
		.amdhsa_next_free_sgpr 0
		.amdhsa_accum_offset 4
		.amdhsa_reserve_vcc 0
		.amdhsa_reserve_flat_scratch 0
		.amdhsa_float_round_mode_32 0
		.amdhsa_float_round_mode_16_64 0
		.amdhsa_float_denorm_mode_32 3
		.amdhsa_float_denorm_mode_16_64 3
		.amdhsa_dx10_clamp 1
		.amdhsa_ieee_mode 1
		.amdhsa_fp16_overflow 0
		.amdhsa_tg_split 0
		.amdhsa_exception_fp_ieee_invalid_op 0
		.amdhsa_exception_fp_denorm_src 0
		.amdhsa_exception_fp_ieee_div_zero 0
		.amdhsa_exception_fp_ieee_overflow 0
		.amdhsa_exception_fp_ieee_underflow 0
		.amdhsa_exception_fp_ieee_inexact 0
		.amdhsa_exception_int_div_zero 0
	.end_amdhsa_kernel
	.section	.text._ZN7rocprim17ROCPRIM_400000_NS6detail17trampoline_kernelINS0_14default_configENS1_20scan_config_selectorIiEEZZNS1_9scan_implILNS1_25lookback_scan_determinismE0ELb0ELb0ES3_N6thrust23THRUST_200600_302600_NS6detail15normal_iteratorINS9_10device_ptrIiEEEESE_i9plus_mod3IiEiEEDaPvRmT3_T4_T5_mT6_P12ihipStream_tbENKUlT_T0_E_clISt17integral_constantIbLb0EEST_IbLb1EEEEDaSP_SQ_EUlSP_E0_NS1_11comp_targetILNS1_3genE5ELNS1_11target_archE942ELNS1_3gpuE9ELNS1_3repE0EEENS1_30default_config_static_selectorELNS0_4arch9wavefront6targetE1EEEvT1_,"axG",@progbits,_ZN7rocprim17ROCPRIM_400000_NS6detail17trampoline_kernelINS0_14default_configENS1_20scan_config_selectorIiEEZZNS1_9scan_implILNS1_25lookback_scan_determinismE0ELb0ELb0ES3_N6thrust23THRUST_200600_302600_NS6detail15normal_iteratorINS9_10device_ptrIiEEEESE_i9plus_mod3IiEiEEDaPvRmT3_T4_T5_mT6_P12ihipStream_tbENKUlT_T0_E_clISt17integral_constantIbLb0EEST_IbLb1EEEEDaSP_SQ_EUlSP_E0_NS1_11comp_targetILNS1_3genE5ELNS1_11target_archE942ELNS1_3gpuE9ELNS1_3repE0EEENS1_30default_config_static_selectorELNS0_4arch9wavefront6targetE1EEEvT1_,comdat
.Lfunc_end6670:
	.size	_ZN7rocprim17ROCPRIM_400000_NS6detail17trampoline_kernelINS0_14default_configENS1_20scan_config_selectorIiEEZZNS1_9scan_implILNS1_25lookback_scan_determinismE0ELb0ELb0ES3_N6thrust23THRUST_200600_302600_NS6detail15normal_iteratorINS9_10device_ptrIiEEEESE_i9plus_mod3IiEiEEDaPvRmT3_T4_T5_mT6_P12ihipStream_tbENKUlT_T0_E_clISt17integral_constantIbLb0EEST_IbLb1EEEEDaSP_SQ_EUlSP_E0_NS1_11comp_targetILNS1_3genE5ELNS1_11target_archE942ELNS1_3gpuE9ELNS1_3repE0EEENS1_30default_config_static_selectorELNS0_4arch9wavefront6targetE1EEEvT1_, .Lfunc_end6670-_ZN7rocprim17ROCPRIM_400000_NS6detail17trampoline_kernelINS0_14default_configENS1_20scan_config_selectorIiEEZZNS1_9scan_implILNS1_25lookback_scan_determinismE0ELb0ELb0ES3_N6thrust23THRUST_200600_302600_NS6detail15normal_iteratorINS9_10device_ptrIiEEEESE_i9plus_mod3IiEiEEDaPvRmT3_T4_T5_mT6_P12ihipStream_tbENKUlT_T0_E_clISt17integral_constantIbLb0EEST_IbLb1EEEEDaSP_SQ_EUlSP_E0_NS1_11comp_targetILNS1_3genE5ELNS1_11target_archE942ELNS1_3gpuE9ELNS1_3repE0EEENS1_30default_config_static_selectorELNS0_4arch9wavefront6targetE1EEEvT1_
                                        ; -- End function
	.section	.AMDGPU.csdata,"",@progbits
; Kernel info:
; codeLenInByte = 0
; NumSgprs: 4
; NumVgprs: 0
; NumAgprs: 0
; TotalNumVgprs: 0
; ScratchSize: 0
; MemoryBound: 0
; FloatMode: 240
; IeeeMode: 1
; LDSByteSize: 0 bytes/workgroup (compile time only)
; SGPRBlocks: 0
; VGPRBlocks: 0
; NumSGPRsForWavesPerEU: 4
; NumVGPRsForWavesPerEU: 1
; AccumOffset: 4
; Occupancy: 8
; WaveLimiterHint : 0
; COMPUTE_PGM_RSRC2:SCRATCH_EN: 0
; COMPUTE_PGM_RSRC2:USER_SGPR: 6
; COMPUTE_PGM_RSRC2:TRAP_HANDLER: 0
; COMPUTE_PGM_RSRC2:TGID_X_EN: 1
; COMPUTE_PGM_RSRC2:TGID_Y_EN: 0
; COMPUTE_PGM_RSRC2:TGID_Z_EN: 0
; COMPUTE_PGM_RSRC2:TIDIG_COMP_CNT: 0
; COMPUTE_PGM_RSRC3_GFX90A:ACCUM_OFFSET: 0
; COMPUTE_PGM_RSRC3_GFX90A:TG_SPLIT: 0
	.section	.text._ZN7rocprim17ROCPRIM_400000_NS6detail17trampoline_kernelINS0_14default_configENS1_20scan_config_selectorIiEEZZNS1_9scan_implILNS1_25lookback_scan_determinismE0ELb0ELb0ES3_N6thrust23THRUST_200600_302600_NS6detail15normal_iteratorINS9_10device_ptrIiEEEESE_i9plus_mod3IiEiEEDaPvRmT3_T4_T5_mT6_P12ihipStream_tbENKUlT_T0_E_clISt17integral_constantIbLb0EEST_IbLb1EEEEDaSP_SQ_EUlSP_E0_NS1_11comp_targetILNS1_3genE4ELNS1_11target_archE910ELNS1_3gpuE8ELNS1_3repE0EEENS1_30default_config_static_selectorELNS0_4arch9wavefront6targetE1EEEvT1_,"axG",@progbits,_ZN7rocprim17ROCPRIM_400000_NS6detail17trampoline_kernelINS0_14default_configENS1_20scan_config_selectorIiEEZZNS1_9scan_implILNS1_25lookback_scan_determinismE0ELb0ELb0ES3_N6thrust23THRUST_200600_302600_NS6detail15normal_iteratorINS9_10device_ptrIiEEEESE_i9plus_mod3IiEiEEDaPvRmT3_T4_T5_mT6_P12ihipStream_tbENKUlT_T0_E_clISt17integral_constantIbLb0EEST_IbLb1EEEEDaSP_SQ_EUlSP_E0_NS1_11comp_targetILNS1_3genE4ELNS1_11target_archE910ELNS1_3gpuE8ELNS1_3repE0EEENS1_30default_config_static_selectorELNS0_4arch9wavefront6targetE1EEEvT1_,comdat
	.protected	_ZN7rocprim17ROCPRIM_400000_NS6detail17trampoline_kernelINS0_14default_configENS1_20scan_config_selectorIiEEZZNS1_9scan_implILNS1_25lookback_scan_determinismE0ELb0ELb0ES3_N6thrust23THRUST_200600_302600_NS6detail15normal_iteratorINS9_10device_ptrIiEEEESE_i9plus_mod3IiEiEEDaPvRmT3_T4_T5_mT6_P12ihipStream_tbENKUlT_T0_E_clISt17integral_constantIbLb0EEST_IbLb1EEEEDaSP_SQ_EUlSP_E0_NS1_11comp_targetILNS1_3genE4ELNS1_11target_archE910ELNS1_3gpuE8ELNS1_3repE0EEENS1_30default_config_static_selectorELNS0_4arch9wavefront6targetE1EEEvT1_ ; -- Begin function _ZN7rocprim17ROCPRIM_400000_NS6detail17trampoline_kernelINS0_14default_configENS1_20scan_config_selectorIiEEZZNS1_9scan_implILNS1_25lookback_scan_determinismE0ELb0ELb0ES3_N6thrust23THRUST_200600_302600_NS6detail15normal_iteratorINS9_10device_ptrIiEEEESE_i9plus_mod3IiEiEEDaPvRmT3_T4_T5_mT6_P12ihipStream_tbENKUlT_T0_E_clISt17integral_constantIbLb0EEST_IbLb1EEEEDaSP_SQ_EUlSP_E0_NS1_11comp_targetILNS1_3genE4ELNS1_11target_archE910ELNS1_3gpuE8ELNS1_3repE0EEENS1_30default_config_static_selectorELNS0_4arch9wavefront6targetE1EEEvT1_
	.globl	_ZN7rocprim17ROCPRIM_400000_NS6detail17trampoline_kernelINS0_14default_configENS1_20scan_config_selectorIiEEZZNS1_9scan_implILNS1_25lookback_scan_determinismE0ELb0ELb0ES3_N6thrust23THRUST_200600_302600_NS6detail15normal_iteratorINS9_10device_ptrIiEEEESE_i9plus_mod3IiEiEEDaPvRmT3_T4_T5_mT6_P12ihipStream_tbENKUlT_T0_E_clISt17integral_constantIbLb0EEST_IbLb1EEEEDaSP_SQ_EUlSP_E0_NS1_11comp_targetILNS1_3genE4ELNS1_11target_archE910ELNS1_3gpuE8ELNS1_3repE0EEENS1_30default_config_static_selectorELNS0_4arch9wavefront6targetE1EEEvT1_
	.p2align	8
	.type	_ZN7rocprim17ROCPRIM_400000_NS6detail17trampoline_kernelINS0_14default_configENS1_20scan_config_selectorIiEEZZNS1_9scan_implILNS1_25lookback_scan_determinismE0ELb0ELb0ES3_N6thrust23THRUST_200600_302600_NS6detail15normal_iteratorINS9_10device_ptrIiEEEESE_i9plus_mod3IiEiEEDaPvRmT3_T4_T5_mT6_P12ihipStream_tbENKUlT_T0_E_clISt17integral_constantIbLb0EEST_IbLb1EEEEDaSP_SQ_EUlSP_E0_NS1_11comp_targetILNS1_3genE4ELNS1_11target_archE910ELNS1_3gpuE8ELNS1_3repE0EEENS1_30default_config_static_selectorELNS0_4arch9wavefront6targetE1EEEvT1_,@function
_ZN7rocprim17ROCPRIM_400000_NS6detail17trampoline_kernelINS0_14default_configENS1_20scan_config_selectorIiEEZZNS1_9scan_implILNS1_25lookback_scan_determinismE0ELb0ELb0ES3_N6thrust23THRUST_200600_302600_NS6detail15normal_iteratorINS9_10device_ptrIiEEEESE_i9plus_mod3IiEiEEDaPvRmT3_T4_T5_mT6_P12ihipStream_tbENKUlT_T0_E_clISt17integral_constantIbLb0EEST_IbLb1EEEEDaSP_SQ_EUlSP_E0_NS1_11comp_targetILNS1_3genE4ELNS1_11target_archE910ELNS1_3gpuE8ELNS1_3repE0EEENS1_30default_config_static_selectorELNS0_4arch9wavefront6targetE1EEEvT1_: ; @_ZN7rocprim17ROCPRIM_400000_NS6detail17trampoline_kernelINS0_14default_configENS1_20scan_config_selectorIiEEZZNS1_9scan_implILNS1_25lookback_scan_determinismE0ELb0ELb0ES3_N6thrust23THRUST_200600_302600_NS6detail15normal_iteratorINS9_10device_ptrIiEEEESE_i9plus_mod3IiEiEEDaPvRmT3_T4_T5_mT6_P12ihipStream_tbENKUlT_T0_E_clISt17integral_constantIbLb0EEST_IbLb1EEEEDaSP_SQ_EUlSP_E0_NS1_11comp_targetILNS1_3genE4ELNS1_11target_archE910ELNS1_3gpuE8ELNS1_3repE0EEENS1_30default_config_static_selectorELNS0_4arch9wavefront6targetE1EEEvT1_
; %bb.0:
	s_load_dwordx4 s[24:27], s[4:5], 0x0
	v_lshlrev_b32_e32 v16, 2, v0
	s_waitcnt lgkmcnt(0)
	s_load_dword s27, s[24:25], 0x0
	v_cmp_gt_u32_e32 vcc, s26, v0
	s_waitcnt lgkmcnt(0)
	v_mov_b32_e32 v1, s27
	s_and_saveexec_b64 s[0:1], vcc
	s_cbranch_execz .LBB6671_2
; %bb.1:
	global_load_dword v1, v16, s[24:25]
.LBB6671_2:
	s_or_b64 exec, exec, s[0:1]
	v_or_b32_e32 v2, 0x80, v0
	v_cmp_gt_u32_e64 s[0:1], s26, v2
	v_mov_b32_e32 v2, s27
	s_and_saveexec_b64 s[2:3], s[0:1]
	s_cbranch_execz .LBB6671_4
; %bb.3:
	global_load_dword v2, v16, s[24:25] offset:512
.LBB6671_4:
	s_or_b64 exec, exec, s[2:3]
	v_or_b32_e32 v3, 0x100, v0
	v_cmp_gt_u32_e64 s[2:3], s26, v3
	v_mov_b32_e32 v3, s27
	s_and_saveexec_b64 s[6:7], s[2:3]
	s_cbranch_execz .LBB6671_6
; %bb.5:
	global_load_dword v3, v16, s[24:25] offset:1024
.LBB6671_6:
	s_or_b64 exec, exec, s[6:7]
	v_or_b32_e32 v4, 0x180, v0
	v_cmp_gt_u32_e64 s[18:19], s26, v4
	v_mov_b32_e32 v4, s27
	s_and_saveexec_b64 s[6:7], s[18:19]
	s_cbranch_execz .LBB6671_8
; %bb.7:
	global_load_dword v4, v16, s[24:25] offset:1536
.LBB6671_8:
	s_or_b64 exec, exec, s[6:7]
	v_or_b32_e32 v5, 0x200, v0
	v_cmp_gt_u32_e64 s[6:7], s26, v5
	v_mov_b32_e32 v5, s27
	s_and_saveexec_b64 s[8:9], s[6:7]
	s_cbranch_execz .LBB6671_10
; %bb.9:
	global_load_dword v5, v16, s[24:25] offset:2048
.LBB6671_10:
	s_or_b64 exec, exec, s[8:9]
	v_or_b32_e32 v6, 0x280, v0
	v_cmp_gt_u32_e64 s[8:9], s26, v6
	v_mov_b32_e32 v6, s27
	s_and_saveexec_b64 s[10:11], s[8:9]
	s_cbranch_execz .LBB6671_12
; %bb.11:
	global_load_dword v6, v16, s[24:25] offset:2560
.LBB6671_12:
	s_or_b64 exec, exec, s[10:11]
	v_or_b32_e32 v7, 0x300, v0
	v_cmp_gt_u32_e64 s[10:11], s26, v7
	v_mov_b32_e32 v7, s27
	s_and_saveexec_b64 s[12:13], s[10:11]
	s_cbranch_execz .LBB6671_14
; %bb.13:
	global_load_dword v7, v16, s[24:25] offset:3072
.LBB6671_14:
	s_or_b64 exec, exec, s[12:13]
	v_or_b32_e32 v8, 0x380, v0
	v_cmp_gt_u32_e64 s[12:13], s26, v8
	v_mov_b32_e32 v8, s27
	s_and_saveexec_b64 s[14:15], s[12:13]
	s_cbranch_execz .LBB6671_16
; %bb.15:
	global_load_dword v8, v16, s[24:25] offset:3584
.LBB6671_16:
	s_or_b64 exec, exec, s[14:15]
	v_or_b32_e32 v10, 0x400, v0
	v_cmp_gt_u32_e64 s[14:15], s26, v10
	v_mov_b32_e32 v9, s27
	s_and_saveexec_b64 s[16:17], s[14:15]
	s_cbranch_execz .LBB6671_18
; %bb.17:
	v_lshlrev_b32_e32 v9, 2, v10
	global_load_dword v9, v9, s[24:25]
.LBB6671_18:
	s_or_b64 exec, exec, s[16:17]
	s_load_dwordx4 s[20:23], s[4:5], 0x18
	v_or_b32_e32 v11, 0x480, v0
	v_cmp_gt_u32_e64 s[16:17], s26, v11
	v_mov_b32_e32 v10, s27
	s_and_saveexec_b64 s[4:5], s[16:17]
	s_cbranch_execz .LBB6671_20
; %bb.19:
	v_lshlrev_b32_e32 v10, 2, v11
	global_load_dword v10, v10, s[24:25]
.LBB6671_20:
	s_or_b64 exec, exec, s[4:5]
	s_waitcnt vmcnt(0)
	ds_write2st64_b32 v16, v1, v2 offset1:2
	ds_write2st64_b32 v16, v3, v4 offset0:4 offset1:6
	ds_write2st64_b32 v16, v5, v6 offset0:8 offset1:10
	;; [unrolled: 1-line block ×4, first 2 shown]
	v_mad_u32_u24 v1, v0, 36, v16
	s_waitcnt lgkmcnt(0)
	s_barrier
	ds_read2_b64 v[2:5], v1 offset1:1
	ds_read2_b64 v[6:9], v1 offset0:2 offset1:3
	ds_read_b64 v[10:11], v1 offset:32
	v_mov_b32_e32 v1, s21
	s_waitcnt lgkmcnt(0)
	v_add_u32_e32 v12, v3, v2
	v_ashrrev_i32_e32 v13, 31, v12
	v_lshlrev_b64 v[14:15], 2, v[12:13]
	v_add_co_u32_e64 v14, s[4:5], s20, v14
	v_addc_co_u32_e64 v15, s[4:5], v1, v15, s[4:5]
	s_barrier
	global_load_dword v1, v[14:15], off
	v_mov_b32_e32 v17, s21
	s_waitcnt vmcnt(0)
	v_add_u32_e32 v14, v1, v4
	v_ashrrev_i32_e32 v15, 31, v14
	v_lshlrev_b64 v[14:15], 2, v[14:15]
	v_add_co_u32_e64 v14, s[4:5], s20, v14
	v_addc_co_u32_e64 v15, s[4:5], v17, v15, s[4:5]
	global_load_dword v1, v[14:15], off
	s_waitcnt vmcnt(0)
	v_add_u32_e32 v14, v1, v5
	v_ashrrev_i32_e32 v15, 31, v14
	v_lshlrev_b64 v[14:15], 2, v[14:15]
	v_add_co_u32_e64 v14, s[4:5], s20, v14
	v_addc_co_u32_e64 v15, s[4:5], v17, v15, s[4:5]
	global_load_dword v1, v[14:15], off
	s_waitcnt vmcnt(0)
	v_add_u32_e32 v14, v1, v6
	v_ashrrev_i32_e32 v15, 31, v14
	v_lshlrev_b64 v[14:15], 2, v[14:15]
	v_add_co_u32_e64 v14, s[4:5], s20, v14
	v_addc_co_u32_e64 v15, s[4:5], v17, v15, s[4:5]
	global_load_dword v1, v[14:15], off
	s_waitcnt vmcnt(0)
	v_add_u32_e32 v14, v1, v7
	v_ashrrev_i32_e32 v15, 31, v14
	v_lshlrev_b64 v[14:15], 2, v[14:15]
	v_add_co_u32_e64 v14, s[4:5], s20, v14
	v_addc_co_u32_e64 v15, s[4:5], v17, v15, s[4:5]
	global_load_dword v1, v[14:15], off
	s_waitcnt vmcnt(0)
	v_add_u32_e32 v14, v1, v8
	v_ashrrev_i32_e32 v15, 31, v14
	v_lshlrev_b64 v[14:15], 2, v[14:15]
	v_add_co_u32_e64 v14, s[4:5], s20, v14
	v_addc_co_u32_e64 v15, s[4:5], v17, v15, s[4:5]
	global_load_dword v1, v[14:15], off
	s_waitcnt vmcnt(0)
	v_add_u32_e32 v14, v1, v9
	v_ashrrev_i32_e32 v15, 31, v14
	v_lshlrev_b64 v[14:15], 2, v[14:15]
	v_add_co_u32_e64 v14, s[4:5], s20, v14
	v_addc_co_u32_e64 v15, s[4:5], v17, v15, s[4:5]
	global_load_dword v1, v[14:15], off
	s_waitcnt vmcnt(0)
	v_add_u32_e32 v14, v1, v10
	v_ashrrev_i32_e32 v15, 31, v14
	v_lshlrev_b64 v[14:15], 2, v[14:15]
	v_add_co_u32_e64 v14, s[4:5], s20, v14
	v_addc_co_u32_e64 v15, s[4:5], v17, v15, s[4:5]
	global_load_dword v1, v[14:15], off
	s_waitcnt vmcnt(0)
	v_add_u32_e32 v14, v1, v11
	v_ashrrev_i32_e32 v15, 31, v14
	v_lshlrev_b64 v[14:15], 2, v[14:15]
	v_add_co_u32_e64 v14, s[4:5], s20, v14
	v_addc_co_u32_e64 v15, s[4:5], v17, v15, s[4:5]
	global_load_dword v1, v[14:15], off
	v_lshrrev_b32_e32 v14, 3, v0
	v_and_b32_e32 v14, 12, v14
	v_add_u32_e32 v14, v16, v14
	v_cmp_gt_u32_e64 s[4:5], 64, v0
	s_waitcnt vmcnt(0)
	ds_write_b32 v14, v1
	s_waitcnt lgkmcnt(0)
	s_barrier
	s_and_saveexec_b64 s[24:25], s[4:5]
	s_cbranch_execz .LBB6671_34
; %bb.21:
	v_lshlrev_b32_e32 v14, 1, v0
	v_lshrrev_b32_e32 v15, 4, v0
	v_add_lshl_u32 v17, v15, v14, 2
	ds_read2_b32 v[14:15], v17 offset1:1
	v_mov_b32_e32 v20, s21
	s_waitcnt lgkmcnt(0)
	v_add_u32_e32 v18, v15, v14
	v_ashrrev_i32_e32 v19, 31, v18
	v_lshlrev_b64 v[18:19], 2, v[18:19]
	v_add_co_u32_e64 v18, s[4:5], s20, v18
	v_addc_co_u32_e64 v19, s[4:5], v20, v19, s[4:5]
	global_load_dword v18, v[18:19], off
	v_mbcnt_lo_u32_b32 v15, -1, 0
	v_mbcnt_hi_u32_b32 v15, -1, v15
	v_and_b32_e32 v19, 15, v15
	v_cmp_ne_u32_e64 s[4:5], 0, v19
	s_waitcnt vmcnt(0)
	v_mov_b32_dpp v20, v18 row_shr:1 row_mask:0xf bank_mask:0xf
	s_and_saveexec_b64 s[26:27], s[4:5]
	s_cbranch_execz .LBB6671_23
; %bb.22:
	v_add_u32_e32 v20, v20, v18
	v_ashrrev_i32_e32 v21, 31, v20
	v_lshlrev_b64 v[20:21], 2, v[20:21]
	v_mov_b32_e32 v18, s21
	v_add_co_u32_e64 v20, s[4:5], s20, v20
	v_addc_co_u32_e64 v21, s[4:5], v18, v21, s[4:5]
	global_load_dword v18, v[20:21], off
.LBB6671_23:
	s_or_b64 exec, exec, s[26:27]
	s_waitcnt vmcnt(0)
	v_mov_b32_dpp v20, v18 row_shr:2 row_mask:0xf bank_mask:0xf
	v_cmp_lt_u32_e64 s[4:5], 1, v19
	s_and_saveexec_b64 s[26:27], s[4:5]
	s_cbranch_execz .LBB6671_25
; %bb.24:
	v_add_u32_e32 v20, v20, v18
	v_ashrrev_i32_e32 v21, 31, v20
	v_lshlrev_b64 v[20:21], 2, v[20:21]
	v_mov_b32_e32 v18, s21
	v_add_co_u32_e64 v20, s[4:5], s20, v20
	v_addc_co_u32_e64 v21, s[4:5], v18, v21, s[4:5]
	global_load_dword v18, v[20:21], off
.LBB6671_25:
	s_or_b64 exec, exec, s[26:27]
	s_waitcnt vmcnt(0)
	v_mov_b32_dpp v20, v18 row_shr:4 row_mask:0xf bank_mask:0xf
	v_cmp_lt_u32_e64 s[4:5], 3, v19
	s_and_saveexec_b64 s[26:27], s[4:5]
	s_cbranch_execz .LBB6671_27
; %bb.26:
	v_add_u32_e32 v20, v20, v18
	v_ashrrev_i32_e32 v21, 31, v20
	v_lshlrev_b64 v[20:21], 2, v[20:21]
	v_mov_b32_e32 v18, s21
	v_add_co_u32_e64 v20, s[4:5], s20, v20
	v_addc_co_u32_e64 v21, s[4:5], v18, v21, s[4:5]
	global_load_dword v18, v[20:21], off
.LBB6671_27:
	s_or_b64 exec, exec, s[26:27]
	s_waitcnt vmcnt(0)
	v_mov_b32_dpp v20, v18 row_shr:8 row_mask:0xf bank_mask:0xf
	v_cmp_lt_u32_e64 s[4:5], 7, v19
	s_and_saveexec_b64 s[26:27], s[4:5]
	s_cbranch_execz .LBB6671_29
; %bb.28:
	v_add_u32_e32 v18, v20, v18
	v_ashrrev_i32_e32 v19, 31, v18
	v_lshlrev_b64 v[18:19], 2, v[18:19]
	v_mov_b32_e32 v20, s21
	v_add_co_u32_e64 v18, s[4:5], s20, v18
	v_addc_co_u32_e64 v19, s[4:5], v20, v19, s[4:5]
	global_load_dword v18, v[18:19], off
.LBB6671_29:
	s_or_b64 exec, exec, s[26:27]
	v_and_b32_e32 v20, 16, v15
	s_waitcnt vmcnt(0)
	v_mov_b32_dpp v19, v18 row_bcast:15 row_mask:0xf bank_mask:0xf
	v_cmp_ne_u32_e64 s[4:5], 0, v20
	s_and_saveexec_b64 s[26:27], s[4:5]
	s_cbranch_execz .LBB6671_31
; %bb.30:
	v_add_u32_e32 v18, v19, v18
	v_ashrrev_i32_e32 v19, 31, v18
	v_lshlrev_b64 v[18:19], 2, v[18:19]
	v_mov_b32_e32 v20, s21
	v_add_co_u32_e64 v18, s[4:5], s20, v18
	v_addc_co_u32_e64 v19, s[4:5], v20, v19, s[4:5]
	global_load_dword v18, v[18:19], off
.LBB6671_31:
	s_or_b64 exec, exec, s[26:27]
	s_waitcnt vmcnt(0)
	v_mov_b32_dpp v19, v18 row_bcast:31 row_mask:0xf bank_mask:0xf
	v_cmp_lt_u32_e64 s[4:5], 31, v15
	s_and_saveexec_b64 s[26:27], s[4:5]
	s_cbranch_execz .LBB6671_33
; %bb.32:
	v_add_u32_e32 v18, v19, v18
	v_ashrrev_i32_e32 v19, 31, v18
	v_lshlrev_b64 v[18:19], 2, v[18:19]
	v_mov_b32_e32 v20, s21
	v_add_co_u32_e64 v18, s[4:5], s20, v18
	v_addc_co_u32_e64 v19, s[4:5], v20, v19, s[4:5]
	global_load_dword v18, v[18:19], off
.LBB6671_33:
	s_or_b64 exec, exec, s[26:27]
	v_add_u32_e32 v19, -1, v15
	v_and_b32_e32 v20, 64, v15
	v_cmp_lt_i32_e64 s[4:5], v19, v20
	v_cndmask_b32_e64 v15, v19, v15, s[4:5]
	v_lshlrev_b32_e32 v15, 2, v15
	s_waitcnt vmcnt(0)
	ds_bpermute_b32 v15, v15, v18
	v_mov_b32_e32 v18, s21
	s_waitcnt lgkmcnt(0)
	v_add_u32_e32 v14, v15, v14
	v_ashrrev_i32_e32 v15, 31, v14
	v_lshlrev_b64 v[14:15], 2, v[14:15]
	v_add_co_u32_e64 v14, s[4:5], s20, v14
	v_addc_co_u32_e64 v15, s[4:5], v18, v15, s[4:5]
	global_load_dword v14, v[14:15], off
	v_cmp_eq_u32_e64 s[4:5], 0, v0
	; wave barrier
	s_waitcnt vmcnt(0)
	v_cndmask_b32_e64 v14, v14, v1, s[4:5]
	ds_write_b32 v17, v14
	; wave barrier
	ds_read_b32 v15, v17 offset:4
	s_waitcnt lgkmcnt(0)
	v_add_u32_e32 v14, v15, v14
	v_ashrrev_i32_e32 v15, 31, v14
	v_lshlrev_b64 v[14:15], 2, v[14:15]
	v_add_co_u32_e64 v14, s[4:5], s20, v14
	v_addc_co_u32_e64 v15, s[4:5], v18, v15, s[4:5]
	global_load_dword v14, v[14:15], off
	s_waitcnt vmcnt(0)
	ds_write_b32 v17, v14 offset:4
.LBB6671_34:
	s_or_b64 exec, exec, s[24:25]
	v_mul_u32_u24_e32 v14, 36, v0
	v_cmp_ne_u32_e64 s[4:5], 0, v0
	s_waitcnt lgkmcnt(0)
	s_barrier
	s_and_saveexec_b64 s[24:25], s[4:5]
	s_cbranch_execz .LBB6671_36
; %bb.35:
	v_add_u32_e32 v0, -1, v0
	v_lshrrev_b32_e32 v1, 5, v0
	v_add_lshl_u32 v0, v1, v0, 2
	ds_read_b32 v1, v0
.LBB6671_36:
	s_or_b64 exec, exec, s[24:25]
	s_and_saveexec_b64 s[24:25], s[4:5]
	s_cbranch_execz .LBB6671_38
; %bb.37:
	s_waitcnt lgkmcnt(0)
	v_add_u32_e32 v0, v1, v2
	v_ashrrev_i32_e32 v1, 31, v0
	v_lshlrev_b64 v[0:1], 2, v[0:1]
	v_mov_b32_e32 v2, s21
	v_add_co_u32_e64 v0, s[4:5], s20, v0
	v_addc_co_u32_e64 v1, s[4:5], v2, v1, s[4:5]
	global_load_dword v2, v[0:1], off
	;;#ASMSTART
	;;#ASMEND
	s_waitcnt vmcnt(0)
	v_add_u32_e32 v12, v2, v3
	v_ashrrev_i32_e32 v13, 31, v12
.LBB6671_38:
	s_or_b64 exec, exec, s[24:25]
	s_waitcnt lgkmcnt(0)
	v_lshlrev_b64 v[0:1], 2, v[12:13]
	v_mov_b32_e32 v3, s21
	v_add_co_u32_e64 v0, s[4:5], s20, v0
	v_addc_co_u32_e64 v1, s[4:5], v3, v1, s[4:5]
	global_load_dword v12, v[0:1], off
	s_waitcnt vmcnt(0)
	v_add_u32_e32 v0, v12, v4
	v_ashrrev_i32_e32 v1, 31, v0
	v_lshlrev_b64 v[0:1], 2, v[0:1]
	v_add_co_u32_e64 v0, s[4:5], s20, v0
	v_addc_co_u32_e64 v1, s[4:5], v3, v1, s[4:5]
	global_load_dword v4, v[0:1], off
	s_waitcnt vmcnt(0)
	v_add_u32_e32 v0, v4, v5
	v_ashrrev_i32_e32 v1, 31, v0
	v_lshlrev_b64 v[0:1], 2, v[0:1]
	;; [unrolled: 7-line block ×8, first 2 shown]
	v_add_co_u32_e64 v0, s[4:5], s20, v0
	v_addc_co_u32_e64 v1, s[4:5], v3, v1, s[4:5]
	global_load_dword v0, v[0:1], off
	v_add_u32_e32 v1, v16, v14
	s_barrier
	ds_write2_b32 v1, v12, v4 offset0:1 offset1:2
	ds_write2_b32 v1, v5, v6 offset0:3 offset1:4
	;; [unrolled: 1-line block ×4, first 2 shown]
	s_waitcnt vmcnt(0)
	ds_write2_b32 v1, v2, v0 offset1:9
	s_waitcnt lgkmcnt(0)
	s_barrier
	ds_read2st64_b32 v[8:9], v16 offset0:2 offset1:4
	ds_read2st64_b32 v[6:7], v16 offset0:6 offset1:8
	;; [unrolled: 1-line block ×4, first 2 shown]
	ds_read_b32 v10, v16 offset:4608
	v_mov_b32_e32 v1, s23
	v_add_co_u32_e64 v0, s[4:5], s22, v16
	v_addc_co_u32_e64 v1, s[4:5], 0, v1, s[4:5]
	s_and_saveexec_b64 s[4:5], vcc
	s_cbranch_execnz .LBB6671_49
; %bb.39:
	s_or_b64 exec, exec, s[4:5]
	s_and_saveexec_b64 s[4:5], s[0:1]
	s_cbranch_execnz .LBB6671_50
.LBB6671_40:
	s_or_b64 exec, exec, s[4:5]
	s_and_saveexec_b64 s[0:1], s[2:3]
	s_cbranch_execnz .LBB6671_51
.LBB6671_41:
	s_or_b64 exec, exec, s[0:1]
	s_and_saveexec_b64 s[0:1], s[18:19]
	s_cbranch_execnz .LBB6671_52
.LBB6671_42:
	s_or_b64 exec, exec, s[0:1]
	s_and_saveexec_b64 s[0:1], s[6:7]
	s_cbranch_execnz .LBB6671_53
.LBB6671_43:
	s_or_b64 exec, exec, s[0:1]
	s_and_saveexec_b64 s[0:1], s[8:9]
	s_cbranch_execnz .LBB6671_54
.LBB6671_44:
	s_or_b64 exec, exec, s[0:1]
	s_and_saveexec_b64 s[0:1], s[10:11]
	s_cbranch_execnz .LBB6671_55
.LBB6671_45:
	s_or_b64 exec, exec, s[0:1]
	s_and_saveexec_b64 s[0:1], s[12:13]
	s_cbranch_execnz .LBB6671_56
.LBB6671_46:
	s_or_b64 exec, exec, s[0:1]
	s_and_saveexec_b64 s[0:1], s[14:15]
	s_cbranch_execnz .LBB6671_57
.LBB6671_47:
	s_or_b64 exec, exec, s[0:1]
	s_and_saveexec_b64 s[0:1], s[16:17]
	s_cbranch_execnz .LBB6671_58
.LBB6671_48:
	s_endpgm
.LBB6671_49:
	ds_read_b32 v11, v16
	s_waitcnt lgkmcnt(0)
	global_store_dword v[0:1], v11, off
	s_or_b64 exec, exec, s[4:5]
	s_and_saveexec_b64 s[4:5], s[0:1]
	s_cbranch_execz .LBB6671_40
.LBB6671_50:
	s_waitcnt lgkmcnt(4)
	global_store_dword v[0:1], v8, off offset:512
	s_or_b64 exec, exec, s[4:5]
	s_and_saveexec_b64 s[0:1], s[2:3]
	s_cbranch_execz .LBB6671_41
.LBB6671_51:
	s_waitcnt lgkmcnt(4)
	global_store_dword v[0:1], v9, off offset:1024
	s_or_b64 exec, exec, s[0:1]
	s_and_saveexec_b64 s[0:1], s[18:19]
	s_cbranch_execz .LBB6671_42
.LBB6671_52:
	s_waitcnt lgkmcnt(3)
	global_store_dword v[0:1], v6, off offset:1536
	s_or_b64 exec, exec, s[0:1]
	s_and_saveexec_b64 s[0:1], s[6:7]
	s_cbranch_execz .LBB6671_43
.LBB6671_53:
	s_waitcnt lgkmcnt(3)
	global_store_dword v[0:1], v7, off offset:2048
	s_or_b64 exec, exec, s[0:1]
	s_and_saveexec_b64 s[0:1], s[8:9]
	s_cbranch_execz .LBB6671_44
.LBB6671_54:
	s_waitcnt lgkmcnt(2)
	global_store_dword v[0:1], v4, off offset:2560
	s_or_b64 exec, exec, s[0:1]
	s_and_saveexec_b64 s[0:1], s[10:11]
	s_cbranch_execz .LBB6671_45
.LBB6671_55:
	s_waitcnt lgkmcnt(2)
	global_store_dword v[0:1], v5, off offset:3072
	s_or_b64 exec, exec, s[0:1]
	s_and_saveexec_b64 s[0:1], s[12:13]
	s_cbranch_execz .LBB6671_46
.LBB6671_56:
	s_waitcnt lgkmcnt(1)
	global_store_dword v[0:1], v2, off offset:3584
	s_or_b64 exec, exec, s[0:1]
	s_and_saveexec_b64 s[0:1], s[14:15]
	s_cbranch_execz .LBB6671_47
.LBB6671_57:
	s_waitcnt lgkmcnt(2)
	v_add_co_u32_e32 v4, vcc, 0x1000, v0
	v_addc_co_u32_e32 v5, vcc, 0, v1, vcc
	s_waitcnt lgkmcnt(1)
	global_store_dword v[4:5], v3, off
	s_or_b64 exec, exec, s[0:1]
	s_and_saveexec_b64 s[0:1], s[16:17]
	s_cbranch_execz .LBB6671_48
.LBB6671_58:
	v_add_co_u32_e32 v0, vcc, 0x1000, v0
	v_addc_co_u32_e32 v1, vcc, 0, v1, vcc
	s_waitcnt lgkmcnt(0)
	global_store_dword v[0:1], v10, off offset:512
	s_endpgm
	.section	.rodata,"a",@progbits
	.p2align	6, 0x0
	.amdhsa_kernel _ZN7rocprim17ROCPRIM_400000_NS6detail17trampoline_kernelINS0_14default_configENS1_20scan_config_selectorIiEEZZNS1_9scan_implILNS1_25lookback_scan_determinismE0ELb0ELb0ES3_N6thrust23THRUST_200600_302600_NS6detail15normal_iteratorINS9_10device_ptrIiEEEESE_i9plus_mod3IiEiEEDaPvRmT3_T4_T5_mT6_P12ihipStream_tbENKUlT_T0_E_clISt17integral_constantIbLb0EEST_IbLb1EEEEDaSP_SQ_EUlSP_E0_NS1_11comp_targetILNS1_3genE4ELNS1_11target_archE910ELNS1_3gpuE8ELNS1_3repE0EEENS1_30default_config_static_selectorELNS0_4arch9wavefront6targetE1EEEvT1_
		.amdhsa_group_segment_fixed_size 5120
		.amdhsa_private_segment_fixed_size 0
		.amdhsa_kernarg_size 40
		.amdhsa_user_sgpr_count 6
		.amdhsa_user_sgpr_private_segment_buffer 1
		.amdhsa_user_sgpr_dispatch_ptr 0
		.amdhsa_user_sgpr_queue_ptr 0
		.amdhsa_user_sgpr_kernarg_segment_ptr 1
		.amdhsa_user_sgpr_dispatch_id 0
		.amdhsa_user_sgpr_flat_scratch_init 0
		.amdhsa_user_sgpr_kernarg_preload_length 0
		.amdhsa_user_sgpr_kernarg_preload_offset 0
		.amdhsa_user_sgpr_private_segment_size 0
		.amdhsa_uses_dynamic_stack 0
		.amdhsa_system_sgpr_private_segment_wavefront_offset 0
		.amdhsa_system_sgpr_workgroup_id_x 1
		.amdhsa_system_sgpr_workgroup_id_y 0
		.amdhsa_system_sgpr_workgroup_id_z 0
		.amdhsa_system_sgpr_workgroup_info 0
		.amdhsa_system_vgpr_workitem_id 0
		.amdhsa_next_free_vgpr 22
		.amdhsa_next_free_sgpr 28
		.amdhsa_accum_offset 24
		.amdhsa_reserve_vcc 1
		.amdhsa_reserve_flat_scratch 0
		.amdhsa_float_round_mode_32 0
		.amdhsa_float_round_mode_16_64 0
		.amdhsa_float_denorm_mode_32 3
		.amdhsa_float_denorm_mode_16_64 3
		.amdhsa_dx10_clamp 1
		.amdhsa_ieee_mode 1
		.amdhsa_fp16_overflow 0
		.amdhsa_tg_split 0
		.amdhsa_exception_fp_ieee_invalid_op 0
		.amdhsa_exception_fp_denorm_src 0
		.amdhsa_exception_fp_ieee_div_zero 0
		.amdhsa_exception_fp_ieee_overflow 0
		.amdhsa_exception_fp_ieee_underflow 0
		.amdhsa_exception_fp_ieee_inexact 0
		.amdhsa_exception_int_div_zero 0
	.end_amdhsa_kernel
	.section	.text._ZN7rocprim17ROCPRIM_400000_NS6detail17trampoline_kernelINS0_14default_configENS1_20scan_config_selectorIiEEZZNS1_9scan_implILNS1_25lookback_scan_determinismE0ELb0ELb0ES3_N6thrust23THRUST_200600_302600_NS6detail15normal_iteratorINS9_10device_ptrIiEEEESE_i9plus_mod3IiEiEEDaPvRmT3_T4_T5_mT6_P12ihipStream_tbENKUlT_T0_E_clISt17integral_constantIbLb0EEST_IbLb1EEEEDaSP_SQ_EUlSP_E0_NS1_11comp_targetILNS1_3genE4ELNS1_11target_archE910ELNS1_3gpuE8ELNS1_3repE0EEENS1_30default_config_static_selectorELNS0_4arch9wavefront6targetE1EEEvT1_,"axG",@progbits,_ZN7rocprim17ROCPRIM_400000_NS6detail17trampoline_kernelINS0_14default_configENS1_20scan_config_selectorIiEEZZNS1_9scan_implILNS1_25lookback_scan_determinismE0ELb0ELb0ES3_N6thrust23THRUST_200600_302600_NS6detail15normal_iteratorINS9_10device_ptrIiEEEESE_i9plus_mod3IiEiEEDaPvRmT3_T4_T5_mT6_P12ihipStream_tbENKUlT_T0_E_clISt17integral_constantIbLb0EEST_IbLb1EEEEDaSP_SQ_EUlSP_E0_NS1_11comp_targetILNS1_3genE4ELNS1_11target_archE910ELNS1_3gpuE8ELNS1_3repE0EEENS1_30default_config_static_selectorELNS0_4arch9wavefront6targetE1EEEvT1_,comdat
.Lfunc_end6671:
	.size	_ZN7rocprim17ROCPRIM_400000_NS6detail17trampoline_kernelINS0_14default_configENS1_20scan_config_selectorIiEEZZNS1_9scan_implILNS1_25lookback_scan_determinismE0ELb0ELb0ES3_N6thrust23THRUST_200600_302600_NS6detail15normal_iteratorINS9_10device_ptrIiEEEESE_i9plus_mod3IiEiEEDaPvRmT3_T4_T5_mT6_P12ihipStream_tbENKUlT_T0_E_clISt17integral_constantIbLb0EEST_IbLb1EEEEDaSP_SQ_EUlSP_E0_NS1_11comp_targetILNS1_3genE4ELNS1_11target_archE910ELNS1_3gpuE8ELNS1_3repE0EEENS1_30default_config_static_selectorELNS0_4arch9wavefront6targetE1EEEvT1_, .Lfunc_end6671-_ZN7rocprim17ROCPRIM_400000_NS6detail17trampoline_kernelINS0_14default_configENS1_20scan_config_selectorIiEEZZNS1_9scan_implILNS1_25lookback_scan_determinismE0ELb0ELb0ES3_N6thrust23THRUST_200600_302600_NS6detail15normal_iteratorINS9_10device_ptrIiEEEESE_i9plus_mod3IiEiEEDaPvRmT3_T4_T5_mT6_P12ihipStream_tbENKUlT_T0_E_clISt17integral_constantIbLb0EEST_IbLb1EEEEDaSP_SQ_EUlSP_E0_NS1_11comp_targetILNS1_3genE4ELNS1_11target_archE910ELNS1_3gpuE8ELNS1_3repE0EEENS1_30default_config_static_selectorELNS0_4arch9wavefront6targetE1EEEvT1_
                                        ; -- End function
	.section	.AMDGPU.csdata,"",@progbits
; Kernel info:
; codeLenInByte = 2736
; NumSgprs: 32
; NumVgprs: 22
; NumAgprs: 0
; TotalNumVgprs: 22
; ScratchSize: 0
; MemoryBound: 0
; FloatMode: 240
; IeeeMode: 1
; LDSByteSize: 5120 bytes/workgroup (compile time only)
; SGPRBlocks: 3
; VGPRBlocks: 2
; NumSGPRsForWavesPerEU: 32
; NumVGPRsForWavesPerEU: 22
; AccumOffset: 24
; Occupancy: 6
; WaveLimiterHint : 1
; COMPUTE_PGM_RSRC2:SCRATCH_EN: 0
; COMPUTE_PGM_RSRC2:USER_SGPR: 6
; COMPUTE_PGM_RSRC2:TRAP_HANDLER: 0
; COMPUTE_PGM_RSRC2:TGID_X_EN: 1
; COMPUTE_PGM_RSRC2:TGID_Y_EN: 0
; COMPUTE_PGM_RSRC2:TGID_Z_EN: 0
; COMPUTE_PGM_RSRC2:TIDIG_COMP_CNT: 0
; COMPUTE_PGM_RSRC3_GFX90A:ACCUM_OFFSET: 5
; COMPUTE_PGM_RSRC3_GFX90A:TG_SPLIT: 0
	.section	.text._ZN7rocprim17ROCPRIM_400000_NS6detail17trampoline_kernelINS0_14default_configENS1_20scan_config_selectorIiEEZZNS1_9scan_implILNS1_25lookback_scan_determinismE0ELb0ELb0ES3_N6thrust23THRUST_200600_302600_NS6detail15normal_iteratorINS9_10device_ptrIiEEEESE_i9plus_mod3IiEiEEDaPvRmT3_T4_T5_mT6_P12ihipStream_tbENKUlT_T0_E_clISt17integral_constantIbLb0EEST_IbLb1EEEEDaSP_SQ_EUlSP_E0_NS1_11comp_targetILNS1_3genE3ELNS1_11target_archE908ELNS1_3gpuE7ELNS1_3repE0EEENS1_30default_config_static_selectorELNS0_4arch9wavefront6targetE1EEEvT1_,"axG",@progbits,_ZN7rocprim17ROCPRIM_400000_NS6detail17trampoline_kernelINS0_14default_configENS1_20scan_config_selectorIiEEZZNS1_9scan_implILNS1_25lookback_scan_determinismE0ELb0ELb0ES3_N6thrust23THRUST_200600_302600_NS6detail15normal_iteratorINS9_10device_ptrIiEEEESE_i9plus_mod3IiEiEEDaPvRmT3_T4_T5_mT6_P12ihipStream_tbENKUlT_T0_E_clISt17integral_constantIbLb0EEST_IbLb1EEEEDaSP_SQ_EUlSP_E0_NS1_11comp_targetILNS1_3genE3ELNS1_11target_archE908ELNS1_3gpuE7ELNS1_3repE0EEENS1_30default_config_static_selectorELNS0_4arch9wavefront6targetE1EEEvT1_,comdat
	.protected	_ZN7rocprim17ROCPRIM_400000_NS6detail17trampoline_kernelINS0_14default_configENS1_20scan_config_selectorIiEEZZNS1_9scan_implILNS1_25lookback_scan_determinismE0ELb0ELb0ES3_N6thrust23THRUST_200600_302600_NS6detail15normal_iteratorINS9_10device_ptrIiEEEESE_i9plus_mod3IiEiEEDaPvRmT3_T4_T5_mT6_P12ihipStream_tbENKUlT_T0_E_clISt17integral_constantIbLb0EEST_IbLb1EEEEDaSP_SQ_EUlSP_E0_NS1_11comp_targetILNS1_3genE3ELNS1_11target_archE908ELNS1_3gpuE7ELNS1_3repE0EEENS1_30default_config_static_selectorELNS0_4arch9wavefront6targetE1EEEvT1_ ; -- Begin function _ZN7rocprim17ROCPRIM_400000_NS6detail17trampoline_kernelINS0_14default_configENS1_20scan_config_selectorIiEEZZNS1_9scan_implILNS1_25lookback_scan_determinismE0ELb0ELb0ES3_N6thrust23THRUST_200600_302600_NS6detail15normal_iteratorINS9_10device_ptrIiEEEESE_i9plus_mod3IiEiEEDaPvRmT3_T4_T5_mT6_P12ihipStream_tbENKUlT_T0_E_clISt17integral_constantIbLb0EEST_IbLb1EEEEDaSP_SQ_EUlSP_E0_NS1_11comp_targetILNS1_3genE3ELNS1_11target_archE908ELNS1_3gpuE7ELNS1_3repE0EEENS1_30default_config_static_selectorELNS0_4arch9wavefront6targetE1EEEvT1_
	.globl	_ZN7rocprim17ROCPRIM_400000_NS6detail17trampoline_kernelINS0_14default_configENS1_20scan_config_selectorIiEEZZNS1_9scan_implILNS1_25lookback_scan_determinismE0ELb0ELb0ES3_N6thrust23THRUST_200600_302600_NS6detail15normal_iteratorINS9_10device_ptrIiEEEESE_i9plus_mod3IiEiEEDaPvRmT3_T4_T5_mT6_P12ihipStream_tbENKUlT_T0_E_clISt17integral_constantIbLb0EEST_IbLb1EEEEDaSP_SQ_EUlSP_E0_NS1_11comp_targetILNS1_3genE3ELNS1_11target_archE908ELNS1_3gpuE7ELNS1_3repE0EEENS1_30default_config_static_selectorELNS0_4arch9wavefront6targetE1EEEvT1_
	.p2align	8
	.type	_ZN7rocprim17ROCPRIM_400000_NS6detail17trampoline_kernelINS0_14default_configENS1_20scan_config_selectorIiEEZZNS1_9scan_implILNS1_25lookback_scan_determinismE0ELb0ELb0ES3_N6thrust23THRUST_200600_302600_NS6detail15normal_iteratorINS9_10device_ptrIiEEEESE_i9plus_mod3IiEiEEDaPvRmT3_T4_T5_mT6_P12ihipStream_tbENKUlT_T0_E_clISt17integral_constantIbLb0EEST_IbLb1EEEEDaSP_SQ_EUlSP_E0_NS1_11comp_targetILNS1_3genE3ELNS1_11target_archE908ELNS1_3gpuE7ELNS1_3repE0EEENS1_30default_config_static_selectorELNS0_4arch9wavefront6targetE1EEEvT1_,@function
_ZN7rocprim17ROCPRIM_400000_NS6detail17trampoline_kernelINS0_14default_configENS1_20scan_config_selectorIiEEZZNS1_9scan_implILNS1_25lookback_scan_determinismE0ELb0ELb0ES3_N6thrust23THRUST_200600_302600_NS6detail15normal_iteratorINS9_10device_ptrIiEEEESE_i9plus_mod3IiEiEEDaPvRmT3_T4_T5_mT6_P12ihipStream_tbENKUlT_T0_E_clISt17integral_constantIbLb0EEST_IbLb1EEEEDaSP_SQ_EUlSP_E0_NS1_11comp_targetILNS1_3genE3ELNS1_11target_archE908ELNS1_3gpuE7ELNS1_3repE0EEENS1_30default_config_static_selectorELNS0_4arch9wavefront6targetE1EEEvT1_: ; @_ZN7rocprim17ROCPRIM_400000_NS6detail17trampoline_kernelINS0_14default_configENS1_20scan_config_selectorIiEEZZNS1_9scan_implILNS1_25lookback_scan_determinismE0ELb0ELb0ES3_N6thrust23THRUST_200600_302600_NS6detail15normal_iteratorINS9_10device_ptrIiEEEESE_i9plus_mod3IiEiEEDaPvRmT3_T4_T5_mT6_P12ihipStream_tbENKUlT_T0_E_clISt17integral_constantIbLb0EEST_IbLb1EEEEDaSP_SQ_EUlSP_E0_NS1_11comp_targetILNS1_3genE3ELNS1_11target_archE908ELNS1_3gpuE7ELNS1_3repE0EEENS1_30default_config_static_selectorELNS0_4arch9wavefront6targetE1EEEvT1_
; %bb.0:
	.section	.rodata,"a",@progbits
	.p2align	6, 0x0
	.amdhsa_kernel _ZN7rocprim17ROCPRIM_400000_NS6detail17trampoline_kernelINS0_14default_configENS1_20scan_config_selectorIiEEZZNS1_9scan_implILNS1_25lookback_scan_determinismE0ELb0ELb0ES3_N6thrust23THRUST_200600_302600_NS6detail15normal_iteratorINS9_10device_ptrIiEEEESE_i9plus_mod3IiEiEEDaPvRmT3_T4_T5_mT6_P12ihipStream_tbENKUlT_T0_E_clISt17integral_constantIbLb0EEST_IbLb1EEEEDaSP_SQ_EUlSP_E0_NS1_11comp_targetILNS1_3genE3ELNS1_11target_archE908ELNS1_3gpuE7ELNS1_3repE0EEENS1_30default_config_static_selectorELNS0_4arch9wavefront6targetE1EEEvT1_
		.amdhsa_group_segment_fixed_size 0
		.amdhsa_private_segment_fixed_size 0
		.amdhsa_kernarg_size 40
		.amdhsa_user_sgpr_count 6
		.amdhsa_user_sgpr_private_segment_buffer 1
		.amdhsa_user_sgpr_dispatch_ptr 0
		.amdhsa_user_sgpr_queue_ptr 0
		.amdhsa_user_sgpr_kernarg_segment_ptr 1
		.amdhsa_user_sgpr_dispatch_id 0
		.amdhsa_user_sgpr_flat_scratch_init 0
		.amdhsa_user_sgpr_kernarg_preload_length 0
		.amdhsa_user_sgpr_kernarg_preload_offset 0
		.amdhsa_user_sgpr_private_segment_size 0
		.amdhsa_uses_dynamic_stack 0
		.amdhsa_system_sgpr_private_segment_wavefront_offset 0
		.amdhsa_system_sgpr_workgroup_id_x 1
		.amdhsa_system_sgpr_workgroup_id_y 0
		.amdhsa_system_sgpr_workgroup_id_z 0
		.amdhsa_system_sgpr_workgroup_info 0
		.amdhsa_system_vgpr_workitem_id 0
		.amdhsa_next_free_vgpr 1
		.amdhsa_next_free_sgpr 0
		.amdhsa_accum_offset 4
		.amdhsa_reserve_vcc 0
		.amdhsa_reserve_flat_scratch 0
		.amdhsa_float_round_mode_32 0
		.amdhsa_float_round_mode_16_64 0
		.amdhsa_float_denorm_mode_32 3
		.amdhsa_float_denorm_mode_16_64 3
		.amdhsa_dx10_clamp 1
		.amdhsa_ieee_mode 1
		.amdhsa_fp16_overflow 0
		.amdhsa_tg_split 0
		.amdhsa_exception_fp_ieee_invalid_op 0
		.amdhsa_exception_fp_denorm_src 0
		.amdhsa_exception_fp_ieee_div_zero 0
		.amdhsa_exception_fp_ieee_overflow 0
		.amdhsa_exception_fp_ieee_underflow 0
		.amdhsa_exception_fp_ieee_inexact 0
		.amdhsa_exception_int_div_zero 0
	.end_amdhsa_kernel
	.section	.text._ZN7rocprim17ROCPRIM_400000_NS6detail17trampoline_kernelINS0_14default_configENS1_20scan_config_selectorIiEEZZNS1_9scan_implILNS1_25lookback_scan_determinismE0ELb0ELb0ES3_N6thrust23THRUST_200600_302600_NS6detail15normal_iteratorINS9_10device_ptrIiEEEESE_i9plus_mod3IiEiEEDaPvRmT3_T4_T5_mT6_P12ihipStream_tbENKUlT_T0_E_clISt17integral_constantIbLb0EEST_IbLb1EEEEDaSP_SQ_EUlSP_E0_NS1_11comp_targetILNS1_3genE3ELNS1_11target_archE908ELNS1_3gpuE7ELNS1_3repE0EEENS1_30default_config_static_selectorELNS0_4arch9wavefront6targetE1EEEvT1_,"axG",@progbits,_ZN7rocprim17ROCPRIM_400000_NS6detail17trampoline_kernelINS0_14default_configENS1_20scan_config_selectorIiEEZZNS1_9scan_implILNS1_25lookback_scan_determinismE0ELb0ELb0ES3_N6thrust23THRUST_200600_302600_NS6detail15normal_iteratorINS9_10device_ptrIiEEEESE_i9plus_mod3IiEiEEDaPvRmT3_T4_T5_mT6_P12ihipStream_tbENKUlT_T0_E_clISt17integral_constantIbLb0EEST_IbLb1EEEEDaSP_SQ_EUlSP_E0_NS1_11comp_targetILNS1_3genE3ELNS1_11target_archE908ELNS1_3gpuE7ELNS1_3repE0EEENS1_30default_config_static_selectorELNS0_4arch9wavefront6targetE1EEEvT1_,comdat
.Lfunc_end6672:
	.size	_ZN7rocprim17ROCPRIM_400000_NS6detail17trampoline_kernelINS0_14default_configENS1_20scan_config_selectorIiEEZZNS1_9scan_implILNS1_25lookback_scan_determinismE0ELb0ELb0ES3_N6thrust23THRUST_200600_302600_NS6detail15normal_iteratorINS9_10device_ptrIiEEEESE_i9plus_mod3IiEiEEDaPvRmT3_T4_T5_mT6_P12ihipStream_tbENKUlT_T0_E_clISt17integral_constantIbLb0EEST_IbLb1EEEEDaSP_SQ_EUlSP_E0_NS1_11comp_targetILNS1_3genE3ELNS1_11target_archE908ELNS1_3gpuE7ELNS1_3repE0EEENS1_30default_config_static_selectorELNS0_4arch9wavefront6targetE1EEEvT1_, .Lfunc_end6672-_ZN7rocprim17ROCPRIM_400000_NS6detail17trampoline_kernelINS0_14default_configENS1_20scan_config_selectorIiEEZZNS1_9scan_implILNS1_25lookback_scan_determinismE0ELb0ELb0ES3_N6thrust23THRUST_200600_302600_NS6detail15normal_iteratorINS9_10device_ptrIiEEEESE_i9plus_mod3IiEiEEDaPvRmT3_T4_T5_mT6_P12ihipStream_tbENKUlT_T0_E_clISt17integral_constantIbLb0EEST_IbLb1EEEEDaSP_SQ_EUlSP_E0_NS1_11comp_targetILNS1_3genE3ELNS1_11target_archE908ELNS1_3gpuE7ELNS1_3repE0EEENS1_30default_config_static_selectorELNS0_4arch9wavefront6targetE1EEEvT1_
                                        ; -- End function
	.section	.AMDGPU.csdata,"",@progbits
; Kernel info:
; codeLenInByte = 0
; NumSgprs: 4
; NumVgprs: 0
; NumAgprs: 0
; TotalNumVgprs: 0
; ScratchSize: 0
; MemoryBound: 0
; FloatMode: 240
; IeeeMode: 1
; LDSByteSize: 0 bytes/workgroup (compile time only)
; SGPRBlocks: 0
; VGPRBlocks: 0
; NumSGPRsForWavesPerEU: 4
; NumVGPRsForWavesPerEU: 1
; AccumOffset: 4
; Occupancy: 8
; WaveLimiterHint : 0
; COMPUTE_PGM_RSRC2:SCRATCH_EN: 0
; COMPUTE_PGM_RSRC2:USER_SGPR: 6
; COMPUTE_PGM_RSRC2:TRAP_HANDLER: 0
; COMPUTE_PGM_RSRC2:TGID_X_EN: 1
; COMPUTE_PGM_RSRC2:TGID_Y_EN: 0
; COMPUTE_PGM_RSRC2:TGID_Z_EN: 0
; COMPUTE_PGM_RSRC2:TIDIG_COMP_CNT: 0
; COMPUTE_PGM_RSRC3_GFX90A:ACCUM_OFFSET: 0
; COMPUTE_PGM_RSRC3_GFX90A:TG_SPLIT: 0
	.section	.text._ZN7rocprim17ROCPRIM_400000_NS6detail17trampoline_kernelINS0_14default_configENS1_20scan_config_selectorIiEEZZNS1_9scan_implILNS1_25lookback_scan_determinismE0ELb0ELb0ES3_N6thrust23THRUST_200600_302600_NS6detail15normal_iteratorINS9_10device_ptrIiEEEESE_i9plus_mod3IiEiEEDaPvRmT3_T4_T5_mT6_P12ihipStream_tbENKUlT_T0_E_clISt17integral_constantIbLb0EEST_IbLb1EEEEDaSP_SQ_EUlSP_E0_NS1_11comp_targetILNS1_3genE2ELNS1_11target_archE906ELNS1_3gpuE6ELNS1_3repE0EEENS1_30default_config_static_selectorELNS0_4arch9wavefront6targetE1EEEvT1_,"axG",@progbits,_ZN7rocprim17ROCPRIM_400000_NS6detail17trampoline_kernelINS0_14default_configENS1_20scan_config_selectorIiEEZZNS1_9scan_implILNS1_25lookback_scan_determinismE0ELb0ELb0ES3_N6thrust23THRUST_200600_302600_NS6detail15normal_iteratorINS9_10device_ptrIiEEEESE_i9plus_mod3IiEiEEDaPvRmT3_T4_T5_mT6_P12ihipStream_tbENKUlT_T0_E_clISt17integral_constantIbLb0EEST_IbLb1EEEEDaSP_SQ_EUlSP_E0_NS1_11comp_targetILNS1_3genE2ELNS1_11target_archE906ELNS1_3gpuE6ELNS1_3repE0EEENS1_30default_config_static_selectorELNS0_4arch9wavefront6targetE1EEEvT1_,comdat
	.protected	_ZN7rocprim17ROCPRIM_400000_NS6detail17trampoline_kernelINS0_14default_configENS1_20scan_config_selectorIiEEZZNS1_9scan_implILNS1_25lookback_scan_determinismE0ELb0ELb0ES3_N6thrust23THRUST_200600_302600_NS6detail15normal_iteratorINS9_10device_ptrIiEEEESE_i9plus_mod3IiEiEEDaPvRmT3_T4_T5_mT6_P12ihipStream_tbENKUlT_T0_E_clISt17integral_constantIbLb0EEST_IbLb1EEEEDaSP_SQ_EUlSP_E0_NS1_11comp_targetILNS1_3genE2ELNS1_11target_archE906ELNS1_3gpuE6ELNS1_3repE0EEENS1_30default_config_static_selectorELNS0_4arch9wavefront6targetE1EEEvT1_ ; -- Begin function _ZN7rocprim17ROCPRIM_400000_NS6detail17trampoline_kernelINS0_14default_configENS1_20scan_config_selectorIiEEZZNS1_9scan_implILNS1_25lookback_scan_determinismE0ELb0ELb0ES3_N6thrust23THRUST_200600_302600_NS6detail15normal_iteratorINS9_10device_ptrIiEEEESE_i9plus_mod3IiEiEEDaPvRmT3_T4_T5_mT6_P12ihipStream_tbENKUlT_T0_E_clISt17integral_constantIbLb0EEST_IbLb1EEEEDaSP_SQ_EUlSP_E0_NS1_11comp_targetILNS1_3genE2ELNS1_11target_archE906ELNS1_3gpuE6ELNS1_3repE0EEENS1_30default_config_static_selectorELNS0_4arch9wavefront6targetE1EEEvT1_
	.globl	_ZN7rocprim17ROCPRIM_400000_NS6detail17trampoline_kernelINS0_14default_configENS1_20scan_config_selectorIiEEZZNS1_9scan_implILNS1_25lookback_scan_determinismE0ELb0ELb0ES3_N6thrust23THRUST_200600_302600_NS6detail15normal_iteratorINS9_10device_ptrIiEEEESE_i9plus_mod3IiEiEEDaPvRmT3_T4_T5_mT6_P12ihipStream_tbENKUlT_T0_E_clISt17integral_constantIbLb0EEST_IbLb1EEEEDaSP_SQ_EUlSP_E0_NS1_11comp_targetILNS1_3genE2ELNS1_11target_archE906ELNS1_3gpuE6ELNS1_3repE0EEENS1_30default_config_static_selectorELNS0_4arch9wavefront6targetE1EEEvT1_
	.p2align	8
	.type	_ZN7rocprim17ROCPRIM_400000_NS6detail17trampoline_kernelINS0_14default_configENS1_20scan_config_selectorIiEEZZNS1_9scan_implILNS1_25lookback_scan_determinismE0ELb0ELb0ES3_N6thrust23THRUST_200600_302600_NS6detail15normal_iteratorINS9_10device_ptrIiEEEESE_i9plus_mod3IiEiEEDaPvRmT3_T4_T5_mT6_P12ihipStream_tbENKUlT_T0_E_clISt17integral_constantIbLb0EEST_IbLb1EEEEDaSP_SQ_EUlSP_E0_NS1_11comp_targetILNS1_3genE2ELNS1_11target_archE906ELNS1_3gpuE6ELNS1_3repE0EEENS1_30default_config_static_selectorELNS0_4arch9wavefront6targetE1EEEvT1_,@function
_ZN7rocprim17ROCPRIM_400000_NS6detail17trampoline_kernelINS0_14default_configENS1_20scan_config_selectorIiEEZZNS1_9scan_implILNS1_25lookback_scan_determinismE0ELb0ELb0ES3_N6thrust23THRUST_200600_302600_NS6detail15normal_iteratorINS9_10device_ptrIiEEEESE_i9plus_mod3IiEiEEDaPvRmT3_T4_T5_mT6_P12ihipStream_tbENKUlT_T0_E_clISt17integral_constantIbLb0EEST_IbLb1EEEEDaSP_SQ_EUlSP_E0_NS1_11comp_targetILNS1_3genE2ELNS1_11target_archE906ELNS1_3gpuE6ELNS1_3repE0EEENS1_30default_config_static_selectorELNS0_4arch9wavefront6targetE1EEEvT1_: ; @_ZN7rocprim17ROCPRIM_400000_NS6detail17trampoline_kernelINS0_14default_configENS1_20scan_config_selectorIiEEZZNS1_9scan_implILNS1_25lookback_scan_determinismE0ELb0ELb0ES3_N6thrust23THRUST_200600_302600_NS6detail15normal_iteratorINS9_10device_ptrIiEEEESE_i9plus_mod3IiEiEEDaPvRmT3_T4_T5_mT6_P12ihipStream_tbENKUlT_T0_E_clISt17integral_constantIbLb0EEST_IbLb1EEEEDaSP_SQ_EUlSP_E0_NS1_11comp_targetILNS1_3genE2ELNS1_11target_archE906ELNS1_3gpuE6ELNS1_3repE0EEENS1_30default_config_static_selectorELNS0_4arch9wavefront6targetE1EEEvT1_
; %bb.0:
	.section	.rodata,"a",@progbits
	.p2align	6, 0x0
	.amdhsa_kernel _ZN7rocprim17ROCPRIM_400000_NS6detail17trampoline_kernelINS0_14default_configENS1_20scan_config_selectorIiEEZZNS1_9scan_implILNS1_25lookback_scan_determinismE0ELb0ELb0ES3_N6thrust23THRUST_200600_302600_NS6detail15normal_iteratorINS9_10device_ptrIiEEEESE_i9plus_mod3IiEiEEDaPvRmT3_T4_T5_mT6_P12ihipStream_tbENKUlT_T0_E_clISt17integral_constantIbLb0EEST_IbLb1EEEEDaSP_SQ_EUlSP_E0_NS1_11comp_targetILNS1_3genE2ELNS1_11target_archE906ELNS1_3gpuE6ELNS1_3repE0EEENS1_30default_config_static_selectorELNS0_4arch9wavefront6targetE1EEEvT1_
		.amdhsa_group_segment_fixed_size 0
		.amdhsa_private_segment_fixed_size 0
		.amdhsa_kernarg_size 40
		.amdhsa_user_sgpr_count 6
		.amdhsa_user_sgpr_private_segment_buffer 1
		.amdhsa_user_sgpr_dispatch_ptr 0
		.amdhsa_user_sgpr_queue_ptr 0
		.amdhsa_user_sgpr_kernarg_segment_ptr 1
		.amdhsa_user_sgpr_dispatch_id 0
		.amdhsa_user_sgpr_flat_scratch_init 0
		.amdhsa_user_sgpr_kernarg_preload_length 0
		.amdhsa_user_sgpr_kernarg_preload_offset 0
		.amdhsa_user_sgpr_private_segment_size 0
		.amdhsa_uses_dynamic_stack 0
		.amdhsa_system_sgpr_private_segment_wavefront_offset 0
		.amdhsa_system_sgpr_workgroup_id_x 1
		.amdhsa_system_sgpr_workgroup_id_y 0
		.amdhsa_system_sgpr_workgroup_id_z 0
		.amdhsa_system_sgpr_workgroup_info 0
		.amdhsa_system_vgpr_workitem_id 0
		.amdhsa_next_free_vgpr 1
		.amdhsa_next_free_sgpr 0
		.amdhsa_accum_offset 4
		.amdhsa_reserve_vcc 0
		.amdhsa_reserve_flat_scratch 0
		.amdhsa_float_round_mode_32 0
		.amdhsa_float_round_mode_16_64 0
		.amdhsa_float_denorm_mode_32 3
		.amdhsa_float_denorm_mode_16_64 3
		.amdhsa_dx10_clamp 1
		.amdhsa_ieee_mode 1
		.amdhsa_fp16_overflow 0
		.amdhsa_tg_split 0
		.amdhsa_exception_fp_ieee_invalid_op 0
		.amdhsa_exception_fp_denorm_src 0
		.amdhsa_exception_fp_ieee_div_zero 0
		.amdhsa_exception_fp_ieee_overflow 0
		.amdhsa_exception_fp_ieee_underflow 0
		.amdhsa_exception_fp_ieee_inexact 0
		.amdhsa_exception_int_div_zero 0
	.end_amdhsa_kernel
	.section	.text._ZN7rocprim17ROCPRIM_400000_NS6detail17trampoline_kernelINS0_14default_configENS1_20scan_config_selectorIiEEZZNS1_9scan_implILNS1_25lookback_scan_determinismE0ELb0ELb0ES3_N6thrust23THRUST_200600_302600_NS6detail15normal_iteratorINS9_10device_ptrIiEEEESE_i9plus_mod3IiEiEEDaPvRmT3_T4_T5_mT6_P12ihipStream_tbENKUlT_T0_E_clISt17integral_constantIbLb0EEST_IbLb1EEEEDaSP_SQ_EUlSP_E0_NS1_11comp_targetILNS1_3genE2ELNS1_11target_archE906ELNS1_3gpuE6ELNS1_3repE0EEENS1_30default_config_static_selectorELNS0_4arch9wavefront6targetE1EEEvT1_,"axG",@progbits,_ZN7rocprim17ROCPRIM_400000_NS6detail17trampoline_kernelINS0_14default_configENS1_20scan_config_selectorIiEEZZNS1_9scan_implILNS1_25lookback_scan_determinismE0ELb0ELb0ES3_N6thrust23THRUST_200600_302600_NS6detail15normal_iteratorINS9_10device_ptrIiEEEESE_i9plus_mod3IiEiEEDaPvRmT3_T4_T5_mT6_P12ihipStream_tbENKUlT_T0_E_clISt17integral_constantIbLb0EEST_IbLb1EEEEDaSP_SQ_EUlSP_E0_NS1_11comp_targetILNS1_3genE2ELNS1_11target_archE906ELNS1_3gpuE6ELNS1_3repE0EEENS1_30default_config_static_selectorELNS0_4arch9wavefront6targetE1EEEvT1_,comdat
.Lfunc_end6673:
	.size	_ZN7rocprim17ROCPRIM_400000_NS6detail17trampoline_kernelINS0_14default_configENS1_20scan_config_selectorIiEEZZNS1_9scan_implILNS1_25lookback_scan_determinismE0ELb0ELb0ES3_N6thrust23THRUST_200600_302600_NS6detail15normal_iteratorINS9_10device_ptrIiEEEESE_i9plus_mod3IiEiEEDaPvRmT3_T4_T5_mT6_P12ihipStream_tbENKUlT_T0_E_clISt17integral_constantIbLb0EEST_IbLb1EEEEDaSP_SQ_EUlSP_E0_NS1_11comp_targetILNS1_3genE2ELNS1_11target_archE906ELNS1_3gpuE6ELNS1_3repE0EEENS1_30default_config_static_selectorELNS0_4arch9wavefront6targetE1EEEvT1_, .Lfunc_end6673-_ZN7rocprim17ROCPRIM_400000_NS6detail17trampoline_kernelINS0_14default_configENS1_20scan_config_selectorIiEEZZNS1_9scan_implILNS1_25lookback_scan_determinismE0ELb0ELb0ES3_N6thrust23THRUST_200600_302600_NS6detail15normal_iteratorINS9_10device_ptrIiEEEESE_i9plus_mod3IiEiEEDaPvRmT3_T4_T5_mT6_P12ihipStream_tbENKUlT_T0_E_clISt17integral_constantIbLb0EEST_IbLb1EEEEDaSP_SQ_EUlSP_E0_NS1_11comp_targetILNS1_3genE2ELNS1_11target_archE906ELNS1_3gpuE6ELNS1_3repE0EEENS1_30default_config_static_selectorELNS0_4arch9wavefront6targetE1EEEvT1_
                                        ; -- End function
	.section	.AMDGPU.csdata,"",@progbits
; Kernel info:
; codeLenInByte = 0
; NumSgprs: 4
; NumVgprs: 0
; NumAgprs: 0
; TotalNumVgprs: 0
; ScratchSize: 0
; MemoryBound: 0
; FloatMode: 240
; IeeeMode: 1
; LDSByteSize: 0 bytes/workgroup (compile time only)
; SGPRBlocks: 0
; VGPRBlocks: 0
; NumSGPRsForWavesPerEU: 4
; NumVGPRsForWavesPerEU: 1
; AccumOffset: 4
; Occupancy: 8
; WaveLimiterHint : 0
; COMPUTE_PGM_RSRC2:SCRATCH_EN: 0
; COMPUTE_PGM_RSRC2:USER_SGPR: 6
; COMPUTE_PGM_RSRC2:TRAP_HANDLER: 0
; COMPUTE_PGM_RSRC2:TGID_X_EN: 1
; COMPUTE_PGM_RSRC2:TGID_Y_EN: 0
; COMPUTE_PGM_RSRC2:TGID_Z_EN: 0
; COMPUTE_PGM_RSRC2:TIDIG_COMP_CNT: 0
; COMPUTE_PGM_RSRC3_GFX90A:ACCUM_OFFSET: 0
; COMPUTE_PGM_RSRC3_GFX90A:TG_SPLIT: 0
	.section	.text._ZN7rocprim17ROCPRIM_400000_NS6detail17trampoline_kernelINS0_14default_configENS1_20scan_config_selectorIiEEZZNS1_9scan_implILNS1_25lookback_scan_determinismE0ELb0ELb0ES3_N6thrust23THRUST_200600_302600_NS6detail15normal_iteratorINS9_10device_ptrIiEEEESE_i9plus_mod3IiEiEEDaPvRmT3_T4_T5_mT6_P12ihipStream_tbENKUlT_T0_E_clISt17integral_constantIbLb0EEST_IbLb1EEEEDaSP_SQ_EUlSP_E0_NS1_11comp_targetILNS1_3genE10ELNS1_11target_archE1201ELNS1_3gpuE5ELNS1_3repE0EEENS1_30default_config_static_selectorELNS0_4arch9wavefront6targetE1EEEvT1_,"axG",@progbits,_ZN7rocprim17ROCPRIM_400000_NS6detail17trampoline_kernelINS0_14default_configENS1_20scan_config_selectorIiEEZZNS1_9scan_implILNS1_25lookback_scan_determinismE0ELb0ELb0ES3_N6thrust23THRUST_200600_302600_NS6detail15normal_iteratorINS9_10device_ptrIiEEEESE_i9plus_mod3IiEiEEDaPvRmT3_T4_T5_mT6_P12ihipStream_tbENKUlT_T0_E_clISt17integral_constantIbLb0EEST_IbLb1EEEEDaSP_SQ_EUlSP_E0_NS1_11comp_targetILNS1_3genE10ELNS1_11target_archE1201ELNS1_3gpuE5ELNS1_3repE0EEENS1_30default_config_static_selectorELNS0_4arch9wavefront6targetE1EEEvT1_,comdat
	.protected	_ZN7rocprim17ROCPRIM_400000_NS6detail17trampoline_kernelINS0_14default_configENS1_20scan_config_selectorIiEEZZNS1_9scan_implILNS1_25lookback_scan_determinismE0ELb0ELb0ES3_N6thrust23THRUST_200600_302600_NS6detail15normal_iteratorINS9_10device_ptrIiEEEESE_i9plus_mod3IiEiEEDaPvRmT3_T4_T5_mT6_P12ihipStream_tbENKUlT_T0_E_clISt17integral_constantIbLb0EEST_IbLb1EEEEDaSP_SQ_EUlSP_E0_NS1_11comp_targetILNS1_3genE10ELNS1_11target_archE1201ELNS1_3gpuE5ELNS1_3repE0EEENS1_30default_config_static_selectorELNS0_4arch9wavefront6targetE1EEEvT1_ ; -- Begin function _ZN7rocprim17ROCPRIM_400000_NS6detail17trampoline_kernelINS0_14default_configENS1_20scan_config_selectorIiEEZZNS1_9scan_implILNS1_25lookback_scan_determinismE0ELb0ELb0ES3_N6thrust23THRUST_200600_302600_NS6detail15normal_iteratorINS9_10device_ptrIiEEEESE_i9plus_mod3IiEiEEDaPvRmT3_T4_T5_mT6_P12ihipStream_tbENKUlT_T0_E_clISt17integral_constantIbLb0EEST_IbLb1EEEEDaSP_SQ_EUlSP_E0_NS1_11comp_targetILNS1_3genE10ELNS1_11target_archE1201ELNS1_3gpuE5ELNS1_3repE0EEENS1_30default_config_static_selectorELNS0_4arch9wavefront6targetE1EEEvT1_
	.globl	_ZN7rocprim17ROCPRIM_400000_NS6detail17trampoline_kernelINS0_14default_configENS1_20scan_config_selectorIiEEZZNS1_9scan_implILNS1_25lookback_scan_determinismE0ELb0ELb0ES3_N6thrust23THRUST_200600_302600_NS6detail15normal_iteratorINS9_10device_ptrIiEEEESE_i9plus_mod3IiEiEEDaPvRmT3_T4_T5_mT6_P12ihipStream_tbENKUlT_T0_E_clISt17integral_constantIbLb0EEST_IbLb1EEEEDaSP_SQ_EUlSP_E0_NS1_11comp_targetILNS1_3genE10ELNS1_11target_archE1201ELNS1_3gpuE5ELNS1_3repE0EEENS1_30default_config_static_selectorELNS0_4arch9wavefront6targetE1EEEvT1_
	.p2align	8
	.type	_ZN7rocprim17ROCPRIM_400000_NS6detail17trampoline_kernelINS0_14default_configENS1_20scan_config_selectorIiEEZZNS1_9scan_implILNS1_25lookback_scan_determinismE0ELb0ELb0ES3_N6thrust23THRUST_200600_302600_NS6detail15normal_iteratorINS9_10device_ptrIiEEEESE_i9plus_mod3IiEiEEDaPvRmT3_T4_T5_mT6_P12ihipStream_tbENKUlT_T0_E_clISt17integral_constantIbLb0EEST_IbLb1EEEEDaSP_SQ_EUlSP_E0_NS1_11comp_targetILNS1_3genE10ELNS1_11target_archE1201ELNS1_3gpuE5ELNS1_3repE0EEENS1_30default_config_static_selectorELNS0_4arch9wavefront6targetE1EEEvT1_,@function
_ZN7rocprim17ROCPRIM_400000_NS6detail17trampoline_kernelINS0_14default_configENS1_20scan_config_selectorIiEEZZNS1_9scan_implILNS1_25lookback_scan_determinismE0ELb0ELb0ES3_N6thrust23THRUST_200600_302600_NS6detail15normal_iteratorINS9_10device_ptrIiEEEESE_i9plus_mod3IiEiEEDaPvRmT3_T4_T5_mT6_P12ihipStream_tbENKUlT_T0_E_clISt17integral_constantIbLb0EEST_IbLb1EEEEDaSP_SQ_EUlSP_E0_NS1_11comp_targetILNS1_3genE10ELNS1_11target_archE1201ELNS1_3gpuE5ELNS1_3repE0EEENS1_30default_config_static_selectorELNS0_4arch9wavefront6targetE1EEEvT1_: ; @_ZN7rocprim17ROCPRIM_400000_NS6detail17trampoline_kernelINS0_14default_configENS1_20scan_config_selectorIiEEZZNS1_9scan_implILNS1_25lookback_scan_determinismE0ELb0ELb0ES3_N6thrust23THRUST_200600_302600_NS6detail15normal_iteratorINS9_10device_ptrIiEEEESE_i9plus_mod3IiEiEEDaPvRmT3_T4_T5_mT6_P12ihipStream_tbENKUlT_T0_E_clISt17integral_constantIbLb0EEST_IbLb1EEEEDaSP_SQ_EUlSP_E0_NS1_11comp_targetILNS1_3genE10ELNS1_11target_archE1201ELNS1_3gpuE5ELNS1_3repE0EEENS1_30default_config_static_selectorELNS0_4arch9wavefront6targetE1EEEvT1_
; %bb.0:
	.section	.rodata,"a",@progbits
	.p2align	6, 0x0
	.amdhsa_kernel _ZN7rocprim17ROCPRIM_400000_NS6detail17trampoline_kernelINS0_14default_configENS1_20scan_config_selectorIiEEZZNS1_9scan_implILNS1_25lookback_scan_determinismE0ELb0ELb0ES3_N6thrust23THRUST_200600_302600_NS6detail15normal_iteratorINS9_10device_ptrIiEEEESE_i9plus_mod3IiEiEEDaPvRmT3_T4_T5_mT6_P12ihipStream_tbENKUlT_T0_E_clISt17integral_constantIbLb0EEST_IbLb1EEEEDaSP_SQ_EUlSP_E0_NS1_11comp_targetILNS1_3genE10ELNS1_11target_archE1201ELNS1_3gpuE5ELNS1_3repE0EEENS1_30default_config_static_selectorELNS0_4arch9wavefront6targetE1EEEvT1_
		.amdhsa_group_segment_fixed_size 0
		.amdhsa_private_segment_fixed_size 0
		.amdhsa_kernarg_size 40
		.amdhsa_user_sgpr_count 6
		.amdhsa_user_sgpr_private_segment_buffer 1
		.amdhsa_user_sgpr_dispatch_ptr 0
		.amdhsa_user_sgpr_queue_ptr 0
		.amdhsa_user_sgpr_kernarg_segment_ptr 1
		.amdhsa_user_sgpr_dispatch_id 0
		.amdhsa_user_sgpr_flat_scratch_init 0
		.amdhsa_user_sgpr_kernarg_preload_length 0
		.amdhsa_user_sgpr_kernarg_preload_offset 0
		.amdhsa_user_sgpr_private_segment_size 0
		.amdhsa_uses_dynamic_stack 0
		.amdhsa_system_sgpr_private_segment_wavefront_offset 0
		.amdhsa_system_sgpr_workgroup_id_x 1
		.amdhsa_system_sgpr_workgroup_id_y 0
		.amdhsa_system_sgpr_workgroup_id_z 0
		.amdhsa_system_sgpr_workgroup_info 0
		.amdhsa_system_vgpr_workitem_id 0
		.amdhsa_next_free_vgpr 1
		.amdhsa_next_free_sgpr 0
		.amdhsa_accum_offset 4
		.amdhsa_reserve_vcc 0
		.amdhsa_reserve_flat_scratch 0
		.amdhsa_float_round_mode_32 0
		.amdhsa_float_round_mode_16_64 0
		.amdhsa_float_denorm_mode_32 3
		.amdhsa_float_denorm_mode_16_64 3
		.amdhsa_dx10_clamp 1
		.amdhsa_ieee_mode 1
		.amdhsa_fp16_overflow 0
		.amdhsa_tg_split 0
		.amdhsa_exception_fp_ieee_invalid_op 0
		.amdhsa_exception_fp_denorm_src 0
		.amdhsa_exception_fp_ieee_div_zero 0
		.amdhsa_exception_fp_ieee_overflow 0
		.amdhsa_exception_fp_ieee_underflow 0
		.amdhsa_exception_fp_ieee_inexact 0
		.amdhsa_exception_int_div_zero 0
	.end_amdhsa_kernel
	.section	.text._ZN7rocprim17ROCPRIM_400000_NS6detail17trampoline_kernelINS0_14default_configENS1_20scan_config_selectorIiEEZZNS1_9scan_implILNS1_25lookback_scan_determinismE0ELb0ELb0ES3_N6thrust23THRUST_200600_302600_NS6detail15normal_iteratorINS9_10device_ptrIiEEEESE_i9plus_mod3IiEiEEDaPvRmT3_T4_T5_mT6_P12ihipStream_tbENKUlT_T0_E_clISt17integral_constantIbLb0EEST_IbLb1EEEEDaSP_SQ_EUlSP_E0_NS1_11comp_targetILNS1_3genE10ELNS1_11target_archE1201ELNS1_3gpuE5ELNS1_3repE0EEENS1_30default_config_static_selectorELNS0_4arch9wavefront6targetE1EEEvT1_,"axG",@progbits,_ZN7rocprim17ROCPRIM_400000_NS6detail17trampoline_kernelINS0_14default_configENS1_20scan_config_selectorIiEEZZNS1_9scan_implILNS1_25lookback_scan_determinismE0ELb0ELb0ES3_N6thrust23THRUST_200600_302600_NS6detail15normal_iteratorINS9_10device_ptrIiEEEESE_i9plus_mod3IiEiEEDaPvRmT3_T4_T5_mT6_P12ihipStream_tbENKUlT_T0_E_clISt17integral_constantIbLb0EEST_IbLb1EEEEDaSP_SQ_EUlSP_E0_NS1_11comp_targetILNS1_3genE10ELNS1_11target_archE1201ELNS1_3gpuE5ELNS1_3repE0EEENS1_30default_config_static_selectorELNS0_4arch9wavefront6targetE1EEEvT1_,comdat
.Lfunc_end6674:
	.size	_ZN7rocprim17ROCPRIM_400000_NS6detail17trampoline_kernelINS0_14default_configENS1_20scan_config_selectorIiEEZZNS1_9scan_implILNS1_25lookback_scan_determinismE0ELb0ELb0ES3_N6thrust23THRUST_200600_302600_NS6detail15normal_iteratorINS9_10device_ptrIiEEEESE_i9plus_mod3IiEiEEDaPvRmT3_T4_T5_mT6_P12ihipStream_tbENKUlT_T0_E_clISt17integral_constantIbLb0EEST_IbLb1EEEEDaSP_SQ_EUlSP_E0_NS1_11comp_targetILNS1_3genE10ELNS1_11target_archE1201ELNS1_3gpuE5ELNS1_3repE0EEENS1_30default_config_static_selectorELNS0_4arch9wavefront6targetE1EEEvT1_, .Lfunc_end6674-_ZN7rocprim17ROCPRIM_400000_NS6detail17trampoline_kernelINS0_14default_configENS1_20scan_config_selectorIiEEZZNS1_9scan_implILNS1_25lookback_scan_determinismE0ELb0ELb0ES3_N6thrust23THRUST_200600_302600_NS6detail15normal_iteratorINS9_10device_ptrIiEEEESE_i9plus_mod3IiEiEEDaPvRmT3_T4_T5_mT6_P12ihipStream_tbENKUlT_T0_E_clISt17integral_constantIbLb0EEST_IbLb1EEEEDaSP_SQ_EUlSP_E0_NS1_11comp_targetILNS1_3genE10ELNS1_11target_archE1201ELNS1_3gpuE5ELNS1_3repE0EEENS1_30default_config_static_selectorELNS0_4arch9wavefront6targetE1EEEvT1_
                                        ; -- End function
	.section	.AMDGPU.csdata,"",@progbits
; Kernel info:
; codeLenInByte = 0
; NumSgprs: 4
; NumVgprs: 0
; NumAgprs: 0
; TotalNumVgprs: 0
; ScratchSize: 0
; MemoryBound: 0
; FloatMode: 240
; IeeeMode: 1
; LDSByteSize: 0 bytes/workgroup (compile time only)
; SGPRBlocks: 0
; VGPRBlocks: 0
; NumSGPRsForWavesPerEU: 4
; NumVGPRsForWavesPerEU: 1
; AccumOffset: 4
; Occupancy: 8
; WaveLimiterHint : 0
; COMPUTE_PGM_RSRC2:SCRATCH_EN: 0
; COMPUTE_PGM_RSRC2:USER_SGPR: 6
; COMPUTE_PGM_RSRC2:TRAP_HANDLER: 0
; COMPUTE_PGM_RSRC2:TGID_X_EN: 1
; COMPUTE_PGM_RSRC2:TGID_Y_EN: 0
; COMPUTE_PGM_RSRC2:TGID_Z_EN: 0
; COMPUTE_PGM_RSRC2:TIDIG_COMP_CNT: 0
; COMPUTE_PGM_RSRC3_GFX90A:ACCUM_OFFSET: 0
; COMPUTE_PGM_RSRC3_GFX90A:TG_SPLIT: 0
	.section	.text._ZN7rocprim17ROCPRIM_400000_NS6detail17trampoline_kernelINS0_14default_configENS1_20scan_config_selectorIiEEZZNS1_9scan_implILNS1_25lookback_scan_determinismE0ELb0ELb0ES3_N6thrust23THRUST_200600_302600_NS6detail15normal_iteratorINS9_10device_ptrIiEEEESE_i9plus_mod3IiEiEEDaPvRmT3_T4_T5_mT6_P12ihipStream_tbENKUlT_T0_E_clISt17integral_constantIbLb0EEST_IbLb1EEEEDaSP_SQ_EUlSP_E0_NS1_11comp_targetILNS1_3genE10ELNS1_11target_archE1200ELNS1_3gpuE4ELNS1_3repE0EEENS1_30default_config_static_selectorELNS0_4arch9wavefront6targetE1EEEvT1_,"axG",@progbits,_ZN7rocprim17ROCPRIM_400000_NS6detail17trampoline_kernelINS0_14default_configENS1_20scan_config_selectorIiEEZZNS1_9scan_implILNS1_25lookback_scan_determinismE0ELb0ELb0ES3_N6thrust23THRUST_200600_302600_NS6detail15normal_iteratorINS9_10device_ptrIiEEEESE_i9plus_mod3IiEiEEDaPvRmT3_T4_T5_mT6_P12ihipStream_tbENKUlT_T0_E_clISt17integral_constantIbLb0EEST_IbLb1EEEEDaSP_SQ_EUlSP_E0_NS1_11comp_targetILNS1_3genE10ELNS1_11target_archE1200ELNS1_3gpuE4ELNS1_3repE0EEENS1_30default_config_static_selectorELNS0_4arch9wavefront6targetE1EEEvT1_,comdat
	.protected	_ZN7rocprim17ROCPRIM_400000_NS6detail17trampoline_kernelINS0_14default_configENS1_20scan_config_selectorIiEEZZNS1_9scan_implILNS1_25lookback_scan_determinismE0ELb0ELb0ES3_N6thrust23THRUST_200600_302600_NS6detail15normal_iteratorINS9_10device_ptrIiEEEESE_i9plus_mod3IiEiEEDaPvRmT3_T4_T5_mT6_P12ihipStream_tbENKUlT_T0_E_clISt17integral_constantIbLb0EEST_IbLb1EEEEDaSP_SQ_EUlSP_E0_NS1_11comp_targetILNS1_3genE10ELNS1_11target_archE1200ELNS1_3gpuE4ELNS1_3repE0EEENS1_30default_config_static_selectorELNS0_4arch9wavefront6targetE1EEEvT1_ ; -- Begin function _ZN7rocprim17ROCPRIM_400000_NS6detail17trampoline_kernelINS0_14default_configENS1_20scan_config_selectorIiEEZZNS1_9scan_implILNS1_25lookback_scan_determinismE0ELb0ELb0ES3_N6thrust23THRUST_200600_302600_NS6detail15normal_iteratorINS9_10device_ptrIiEEEESE_i9plus_mod3IiEiEEDaPvRmT3_T4_T5_mT6_P12ihipStream_tbENKUlT_T0_E_clISt17integral_constantIbLb0EEST_IbLb1EEEEDaSP_SQ_EUlSP_E0_NS1_11comp_targetILNS1_3genE10ELNS1_11target_archE1200ELNS1_3gpuE4ELNS1_3repE0EEENS1_30default_config_static_selectorELNS0_4arch9wavefront6targetE1EEEvT1_
	.globl	_ZN7rocprim17ROCPRIM_400000_NS6detail17trampoline_kernelINS0_14default_configENS1_20scan_config_selectorIiEEZZNS1_9scan_implILNS1_25lookback_scan_determinismE0ELb0ELb0ES3_N6thrust23THRUST_200600_302600_NS6detail15normal_iteratorINS9_10device_ptrIiEEEESE_i9plus_mod3IiEiEEDaPvRmT3_T4_T5_mT6_P12ihipStream_tbENKUlT_T0_E_clISt17integral_constantIbLb0EEST_IbLb1EEEEDaSP_SQ_EUlSP_E0_NS1_11comp_targetILNS1_3genE10ELNS1_11target_archE1200ELNS1_3gpuE4ELNS1_3repE0EEENS1_30default_config_static_selectorELNS0_4arch9wavefront6targetE1EEEvT1_
	.p2align	8
	.type	_ZN7rocprim17ROCPRIM_400000_NS6detail17trampoline_kernelINS0_14default_configENS1_20scan_config_selectorIiEEZZNS1_9scan_implILNS1_25lookback_scan_determinismE0ELb0ELb0ES3_N6thrust23THRUST_200600_302600_NS6detail15normal_iteratorINS9_10device_ptrIiEEEESE_i9plus_mod3IiEiEEDaPvRmT3_T4_T5_mT6_P12ihipStream_tbENKUlT_T0_E_clISt17integral_constantIbLb0EEST_IbLb1EEEEDaSP_SQ_EUlSP_E0_NS1_11comp_targetILNS1_3genE10ELNS1_11target_archE1200ELNS1_3gpuE4ELNS1_3repE0EEENS1_30default_config_static_selectorELNS0_4arch9wavefront6targetE1EEEvT1_,@function
_ZN7rocprim17ROCPRIM_400000_NS6detail17trampoline_kernelINS0_14default_configENS1_20scan_config_selectorIiEEZZNS1_9scan_implILNS1_25lookback_scan_determinismE0ELb0ELb0ES3_N6thrust23THRUST_200600_302600_NS6detail15normal_iteratorINS9_10device_ptrIiEEEESE_i9plus_mod3IiEiEEDaPvRmT3_T4_T5_mT6_P12ihipStream_tbENKUlT_T0_E_clISt17integral_constantIbLb0EEST_IbLb1EEEEDaSP_SQ_EUlSP_E0_NS1_11comp_targetILNS1_3genE10ELNS1_11target_archE1200ELNS1_3gpuE4ELNS1_3repE0EEENS1_30default_config_static_selectorELNS0_4arch9wavefront6targetE1EEEvT1_: ; @_ZN7rocprim17ROCPRIM_400000_NS6detail17trampoline_kernelINS0_14default_configENS1_20scan_config_selectorIiEEZZNS1_9scan_implILNS1_25lookback_scan_determinismE0ELb0ELb0ES3_N6thrust23THRUST_200600_302600_NS6detail15normal_iteratorINS9_10device_ptrIiEEEESE_i9plus_mod3IiEiEEDaPvRmT3_T4_T5_mT6_P12ihipStream_tbENKUlT_T0_E_clISt17integral_constantIbLb0EEST_IbLb1EEEEDaSP_SQ_EUlSP_E0_NS1_11comp_targetILNS1_3genE10ELNS1_11target_archE1200ELNS1_3gpuE4ELNS1_3repE0EEENS1_30default_config_static_selectorELNS0_4arch9wavefront6targetE1EEEvT1_
; %bb.0:
	.section	.rodata,"a",@progbits
	.p2align	6, 0x0
	.amdhsa_kernel _ZN7rocprim17ROCPRIM_400000_NS6detail17trampoline_kernelINS0_14default_configENS1_20scan_config_selectorIiEEZZNS1_9scan_implILNS1_25lookback_scan_determinismE0ELb0ELb0ES3_N6thrust23THRUST_200600_302600_NS6detail15normal_iteratorINS9_10device_ptrIiEEEESE_i9plus_mod3IiEiEEDaPvRmT3_T4_T5_mT6_P12ihipStream_tbENKUlT_T0_E_clISt17integral_constantIbLb0EEST_IbLb1EEEEDaSP_SQ_EUlSP_E0_NS1_11comp_targetILNS1_3genE10ELNS1_11target_archE1200ELNS1_3gpuE4ELNS1_3repE0EEENS1_30default_config_static_selectorELNS0_4arch9wavefront6targetE1EEEvT1_
		.amdhsa_group_segment_fixed_size 0
		.amdhsa_private_segment_fixed_size 0
		.amdhsa_kernarg_size 40
		.amdhsa_user_sgpr_count 6
		.amdhsa_user_sgpr_private_segment_buffer 1
		.amdhsa_user_sgpr_dispatch_ptr 0
		.amdhsa_user_sgpr_queue_ptr 0
		.amdhsa_user_sgpr_kernarg_segment_ptr 1
		.amdhsa_user_sgpr_dispatch_id 0
		.amdhsa_user_sgpr_flat_scratch_init 0
		.amdhsa_user_sgpr_kernarg_preload_length 0
		.amdhsa_user_sgpr_kernarg_preload_offset 0
		.amdhsa_user_sgpr_private_segment_size 0
		.amdhsa_uses_dynamic_stack 0
		.amdhsa_system_sgpr_private_segment_wavefront_offset 0
		.amdhsa_system_sgpr_workgroup_id_x 1
		.amdhsa_system_sgpr_workgroup_id_y 0
		.amdhsa_system_sgpr_workgroup_id_z 0
		.amdhsa_system_sgpr_workgroup_info 0
		.amdhsa_system_vgpr_workitem_id 0
		.amdhsa_next_free_vgpr 1
		.amdhsa_next_free_sgpr 0
		.amdhsa_accum_offset 4
		.amdhsa_reserve_vcc 0
		.amdhsa_reserve_flat_scratch 0
		.amdhsa_float_round_mode_32 0
		.amdhsa_float_round_mode_16_64 0
		.amdhsa_float_denorm_mode_32 3
		.amdhsa_float_denorm_mode_16_64 3
		.amdhsa_dx10_clamp 1
		.amdhsa_ieee_mode 1
		.amdhsa_fp16_overflow 0
		.amdhsa_tg_split 0
		.amdhsa_exception_fp_ieee_invalid_op 0
		.amdhsa_exception_fp_denorm_src 0
		.amdhsa_exception_fp_ieee_div_zero 0
		.amdhsa_exception_fp_ieee_overflow 0
		.amdhsa_exception_fp_ieee_underflow 0
		.amdhsa_exception_fp_ieee_inexact 0
		.amdhsa_exception_int_div_zero 0
	.end_amdhsa_kernel
	.section	.text._ZN7rocprim17ROCPRIM_400000_NS6detail17trampoline_kernelINS0_14default_configENS1_20scan_config_selectorIiEEZZNS1_9scan_implILNS1_25lookback_scan_determinismE0ELb0ELb0ES3_N6thrust23THRUST_200600_302600_NS6detail15normal_iteratorINS9_10device_ptrIiEEEESE_i9plus_mod3IiEiEEDaPvRmT3_T4_T5_mT6_P12ihipStream_tbENKUlT_T0_E_clISt17integral_constantIbLb0EEST_IbLb1EEEEDaSP_SQ_EUlSP_E0_NS1_11comp_targetILNS1_3genE10ELNS1_11target_archE1200ELNS1_3gpuE4ELNS1_3repE0EEENS1_30default_config_static_selectorELNS0_4arch9wavefront6targetE1EEEvT1_,"axG",@progbits,_ZN7rocprim17ROCPRIM_400000_NS6detail17trampoline_kernelINS0_14default_configENS1_20scan_config_selectorIiEEZZNS1_9scan_implILNS1_25lookback_scan_determinismE0ELb0ELb0ES3_N6thrust23THRUST_200600_302600_NS6detail15normal_iteratorINS9_10device_ptrIiEEEESE_i9plus_mod3IiEiEEDaPvRmT3_T4_T5_mT6_P12ihipStream_tbENKUlT_T0_E_clISt17integral_constantIbLb0EEST_IbLb1EEEEDaSP_SQ_EUlSP_E0_NS1_11comp_targetILNS1_3genE10ELNS1_11target_archE1200ELNS1_3gpuE4ELNS1_3repE0EEENS1_30default_config_static_selectorELNS0_4arch9wavefront6targetE1EEEvT1_,comdat
.Lfunc_end6675:
	.size	_ZN7rocprim17ROCPRIM_400000_NS6detail17trampoline_kernelINS0_14default_configENS1_20scan_config_selectorIiEEZZNS1_9scan_implILNS1_25lookback_scan_determinismE0ELb0ELb0ES3_N6thrust23THRUST_200600_302600_NS6detail15normal_iteratorINS9_10device_ptrIiEEEESE_i9plus_mod3IiEiEEDaPvRmT3_T4_T5_mT6_P12ihipStream_tbENKUlT_T0_E_clISt17integral_constantIbLb0EEST_IbLb1EEEEDaSP_SQ_EUlSP_E0_NS1_11comp_targetILNS1_3genE10ELNS1_11target_archE1200ELNS1_3gpuE4ELNS1_3repE0EEENS1_30default_config_static_selectorELNS0_4arch9wavefront6targetE1EEEvT1_, .Lfunc_end6675-_ZN7rocprim17ROCPRIM_400000_NS6detail17trampoline_kernelINS0_14default_configENS1_20scan_config_selectorIiEEZZNS1_9scan_implILNS1_25lookback_scan_determinismE0ELb0ELb0ES3_N6thrust23THRUST_200600_302600_NS6detail15normal_iteratorINS9_10device_ptrIiEEEESE_i9plus_mod3IiEiEEDaPvRmT3_T4_T5_mT6_P12ihipStream_tbENKUlT_T0_E_clISt17integral_constantIbLb0EEST_IbLb1EEEEDaSP_SQ_EUlSP_E0_NS1_11comp_targetILNS1_3genE10ELNS1_11target_archE1200ELNS1_3gpuE4ELNS1_3repE0EEENS1_30default_config_static_selectorELNS0_4arch9wavefront6targetE1EEEvT1_
                                        ; -- End function
	.section	.AMDGPU.csdata,"",@progbits
; Kernel info:
; codeLenInByte = 0
; NumSgprs: 4
; NumVgprs: 0
; NumAgprs: 0
; TotalNumVgprs: 0
; ScratchSize: 0
; MemoryBound: 0
; FloatMode: 240
; IeeeMode: 1
; LDSByteSize: 0 bytes/workgroup (compile time only)
; SGPRBlocks: 0
; VGPRBlocks: 0
; NumSGPRsForWavesPerEU: 4
; NumVGPRsForWavesPerEU: 1
; AccumOffset: 4
; Occupancy: 8
; WaveLimiterHint : 0
; COMPUTE_PGM_RSRC2:SCRATCH_EN: 0
; COMPUTE_PGM_RSRC2:USER_SGPR: 6
; COMPUTE_PGM_RSRC2:TRAP_HANDLER: 0
; COMPUTE_PGM_RSRC2:TGID_X_EN: 1
; COMPUTE_PGM_RSRC2:TGID_Y_EN: 0
; COMPUTE_PGM_RSRC2:TGID_Z_EN: 0
; COMPUTE_PGM_RSRC2:TIDIG_COMP_CNT: 0
; COMPUTE_PGM_RSRC3_GFX90A:ACCUM_OFFSET: 0
; COMPUTE_PGM_RSRC3_GFX90A:TG_SPLIT: 0
	.section	.text._ZN7rocprim17ROCPRIM_400000_NS6detail17trampoline_kernelINS0_14default_configENS1_20scan_config_selectorIiEEZZNS1_9scan_implILNS1_25lookback_scan_determinismE0ELb0ELb0ES3_N6thrust23THRUST_200600_302600_NS6detail15normal_iteratorINS9_10device_ptrIiEEEESE_i9plus_mod3IiEiEEDaPvRmT3_T4_T5_mT6_P12ihipStream_tbENKUlT_T0_E_clISt17integral_constantIbLb0EEST_IbLb1EEEEDaSP_SQ_EUlSP_E0_NS1_11comp_targetILNS1_3genE9ELNS1_11target_archE1100ELNS1_3gpuE3ELNS1_3repE0EEENS1_30default_config_static_selectorELNS0_4arch9wavefront6targetE1EEEvT1_,"axG",@progbits,_ZN7rocprim17ROCPRIM_400000_NS6detail17trampoline_kernelINS0_14default_configENS1_20scan_config_selectorIiEEZZNS1_9scan_implILNS1_25lookback_scan_determinismE0ELb0ELb0ES3_N6thrust23THRUST_200600_302600_NS6detail15normal_iteratorINS9_10device_ptrIiEEEESE_i9plus_mod3IiEiEEDaPvRmT3_T4_T5_mT6_P12ihipStream_tbENKUlT_T0_E_clISt17integral_constantIbLb0EEST_IbLb1EEEEDaSP_SQ_EUlSP_E0_NS1_11comp_targetILNS1_3genE9ELNS1_11target_archE1100ELNS1_3gpuE3ELNS1_3repE0EEENS1_30default_config_static_selectorELNS0_4arch9wavefront6targetE1EEEvT1_,comdat
	.protected	_ZN7rocprim17ROCPRIM_400000_NS6detail17trampoline_kernelINS0_14default_configENS1_20scan_config_selectorIiEEZZNS1_9scan_implILNS1_25lookback_scan_determinismE0ELb0ELb0ES3_N6thrust23THRUST_200600_302600_NS6detail15normal_iteratorINS9_10device_ptrIiEEEESE_i9plus_mod3IiEiEEDaPvRmT3_T4_T5_mT6_P12ihipStream_tbENKUlT_T0_E_clISt17integral_constantIbLb0EEST_IbLb1EEEEDaSP_SQ_EUlSP_E0_NS1_11comp_targetILNS1_3genE9ELNS1_11target_archE1100ELNS1_3gpuE3ELNS1_3repE0EEENS1_30default_config_static_selectorELNS0_4arch9wavefront6targetE1EEEvT1_ ; -- Begin function _ZN7rocprim17ROCPRIM_400000_NS6detail17trampoline_kernelINS0_14default_configENS1_20scan_config_selectorIiEEZZNS1_9scan_implILNS1_25lookback_scan_determinismE0ELb0ELb0ES3_N6thrust23THRUST_200600_302600_NS6detail15normal_iteratorINS9_10device_ptrIiEEEESE_i9plus_mod3IiEiEEDaPvRmT3_T4_T5_mT6_P12ihipStream_tbENKUlT_T0_E_clISt17integral_constantIbLb0EEST_IbLb1EEEEDaSP_SQ_EUlSP_E0_NS1_11comp_targetILNS1_3genE9ELNS1_11target_archE1100ELNS1_3gpuE3ELNS1_3repE0EEENS1_30default_config_static_selectorELNS0_4arch9wavefront6targetE1EEEvT1_
	.globl	_ZN7rocprim17ROCPRIM_400000_NS6detail17trampoline_kernelINS0_14default_configENS1_20scan_config_selectorIiEEZZNS1_9scan_implILNS1_25lookback_scan_determinismE0ELb0ELb0ES3_N6thrust23THRUST_200600_302600_NS6detail15normal_iteratorINS9_10device_ptrIiEEEESE_i9plus_mod3IiEiEEDaPvRmT3_T4_T5_mT6_P12ihipStream_tbENKUlT_T0_E_clISt17integral_constantIbLb0EEST_IbLb1EEEEDaSP_SQ_EUlSP_E0_NS1_11comp_targetILNS1_3genE9ELNS1_11target_archE1100ELNS1_3gpuE3ELNS1_3repE0EEENS1_30default_config_static_selectorELNS0_4arch9wavefront6targetE1EEEvT1_
	.p2align	8
	.type	_ZN7rocprim17ROCPRIM_400000_NS6detail17trampoline_kernelINS0_14default_configENS1_20scan_config_selectorIiEEZZNS1_9scan_implILNS1_25lookback_scan_determinismE0ELb0ELb0ES3_N6thrust23THRUST_200600_302600_NS6detail15normal_iteratorINS9_10device_ptrIiEEEESE_i9plus_mod3IiEiEEDaPvRmT3_T4_T5_mT6_P12ihipStream_tbENKUlT_T0_E_clISt17integral_constantIbLb0EEST_IbLb1EEEEDaSP_SQ_EUlSP_E0_NS1_11comp_targetILNS1_3genE9ELNS1_11target_archE1100ELNS1_3gpuE3ELNS1_3repE0EEENS1_30default_config_static_selectorELNS0_4arch9wavefront6targetE1EEEvT1_,@function
_ZN7rocprim17ROCPRIM_400000_NS6detail17trampoline_kernelINS0_14default_configENS1_20scan_config_selectorIiEEZZNS1_9scan_implILNS1_25lookback_scan_determinismE0ELb0ELb0ES3_N6thrust23THRUST_200600_302600_NS6detail15normal_iteratorINS9_10device_ptrIiEEEESE_i9plus_mod3IiEiEEDaPvRmT3_T4_T5_mT6_P12ihipStream_tbENKUlT_T0_E_clISt17integral_constantIbLb0EEST_IbLb1EEEEDaSP_SQ_EUlSP_E0_NS1_11comp_targetILNS1_3genE9ELNS1_11target_archE1100ELNS1_3gpuE3ELNS1_3repE0EEENS1_30default_config_static_selectorELNS0_4arch9wavefront6targetE1EEEvT1_: ; @_ZN7rocprim17ROCPRIM_400000_NS6detail17trampoline_kernelINS0_14default_configENS1_20scan_config_selectorIiEEZZNS1_9scan_implILNS1_25lookback_scan_determinismE0ELb0ELb0ES3_N6thrust23THRUST_200600_302600_NS6detail15normal_iteratorINS9_10device_ptrIiEEEESE_i9plus_mod3IiEiEEDaPvRmT3_T4_T5_mT6_P12ihipStream_tbENKUlT_T0_E_clISt17integral_constantIbLb0EEST_IbLb1EEEEDaSP_SQ_EUlSP_E0_NS1_11comp_targetILNS1_3genE9ELNS1_11target_archE1100ELNS1_3gpuE3ELNS1_3repE0EEENS1_30default_config_static_selectorELNS0_4arch9wavefront6targetE1EEEvT1_
; %bb.0:
	.section	.rodata,"a",@progbits
	.p2align	6, 0x0
	.amdhsa_kernel _ZN7rocprim17ROCPRIM_400000_NS6detail17trampoline_kernelINS0_14default_configENS1_20scan_config_selectorIiEEZZNS1_9scan_implILNS1_25lookback_scan_determinismE0ELb0ELb0ES3_N6thrust23THRUST_200600_302600_NS6detail15normal_iteratorINS9_10device_ptrIiEEEESE_i9plus_mod3IiEiEEDaPvRmT3_T4_T5_mT6_P12ihipStream_tbENKUlT_T0_E_clISt17integral_constantIbLb0EEST_IbLb1EEEEDaSP_SQ_EUlSP_E0_NS1_11comp_targetILNS1_3genE9ELNS1_11target_archE1100ELNS1_3gpuE3ELNS1_3repE0EEENS1_30default_config_static_selectorELNS0_4arch9wavefront6targetE1EEEvT1_
		.amdhsa_group_segment_fixed_size 0
		.amdhsa_private_segment_fixed_size 0
		.amdhsa_kernarg_size 40
		.amdhsa_user_sgpr_count 6
		.amdhsa_user_sgpr_private_segment_buffer 1
		.amdhsa_user_sgpr_dispatch_ptr 0
		.amdhsa_user_sgpr_queue_ptr 0
		.amdhsa_user_sgpr_kernarg_segment_ptr 1
		.amdhsa_user_sgpr_dispatch_id 0
		.amdhsa_user_sgpr_flat_scratch_init 0
		.amdhsa_user_sgpr_kernarg_preload_length 0
		.amdhsa_user_sgpr_kernarg_preload_offset 0
		.amdhsa_user_sgpr_private_segment_size 0
		.amdhsa_uses_dynamic_stack 0
		.amdhsa_system_sgpr_private_segment_wavefront_offset 0
		.amdhsa_system_sgpr_workgroup_id_x 1
		.amdhsa_system_sgpr_workgroup_id_y 0
		.amdhsa_system_sgpr_workgroup_id_z 0
		.amdhsa_system_sgpr_workgroup_info 0
		.amdhsa_system_vgpr_workitem_id 0
		.amdhsa_next_free_vgpr 1
		.amdhsa_next_free_sgpr 0
		.amdhsa_accum_offset 4
		.amdhsa_reserve_vcc 0
		.amdhsa_reserve_flat_scratch 0
		.amdhsa_float_round_mode_32 0
		.amdhsa_float_round_mode_16_64 0
		.amdhsa_float_denorm_mode_32 3
		.amdhsa_float_denorm_mode_16_64 3
		.amdhsa_dx10_clamp 1
		.amdhsa_ieee_mode 1
		.amdhsa_fp16_overflow 0
		.amdhsa_tg_split 0
		.amdhsa_exception_fp_ieee_invalid_op 0
		.amdhsa_exception_fp_denorm_src 0
		.amdhsa_exception_fp_ieee_div_zero 0
		.amdhsa_exception_fp_ieee_overflow 0
		.amdhsa_exception_fp_ieee_underflow 0
		.amdhsa_exception_fp_ieee_inexact 0
		.amdhsa_exception_int_div_zero 0
	.end_amdhsa_kernel
	.section	.text._ZN7rocprim17ROCPRIM_400000_NS6detail17trampoline_kernelINS0_14default_configENS1_20scan_config_selectorIiEEZZNS1_9scan_implILNS1_25lookback_scan_determinismE0ELb0ELb0ES3_N6thrust23THRUST_200600_302600_NS6detail15normal_iteratorINS9_10device_ptrIiEEEESE_i9plus_mod3IiEiEEDaPvRmT3_T4_T5_mT6_P12ihipStream_tbENKUlT_T0_E_clISt17integral_constantIbLb0EEST_IbLb1EEEEDaSP_SQ_EUlSP_E0_NS1_11comp_targetILNS1_3genE9ELNS1_11target_archE1100ELNS1_3gpuE3ELNS1_3repE0EEENS1_30default_config_static_selectorELNS0_4arch9wavefront6targetE1EEEvT1_,"axG",@progbits,_ZN7rocprim17ROCPRIM_400000_NS6detail17trampoline_kernelINS0_14default_configENS1_20scan_config_selectorIiEEZZNS1_9scan_implILNS1_25lookback_scan_determinismE0ELb0ELb0ES3_N6thrust23THRUST_200600_302600_NS6detail15normal_iteratorINS9_10device_ptrIiEEEESE_i9plus_mod3IiEiEEDaPvRmT3_T4_T5_mT6_P12ihipStream_tbENKUlT_T0_E_clISt17integral_constantIbLb0EEST_IbLb1EEEEDaSP_SQ_EUlSP_E0_NS1_11comp_targetILNS1_3genE9ELNS1_11target_archE1100ELNS1_3gpuE3ELNS1_3repE0EEENS1_30default_config_static_selectorELNS0_4arch9wavefront6targetE1EEEvT1_,comdat
.Lfunc_end6676:
	.size	_ZN7rocprim17ROCPRIM_400000_NS6detail17trampoline_kernelINS0_14default_configENS1_20scan_config_selectorIiEEZZNS1_9scan_implILNS1_25lookback_scan_determinismE0ELb0ELb0ES3_N6thrust23THRUST_200600_302600_NS6detail15normal_iteratorINS9_10device_ptrIiEEEESE_i9plus_mod3IiEiEEDaPvRmT3_T4_T5_mT6_P12ihipStream_tbENKUlT_T0_E_clISt17integral_constantIbLb0EEST_IbLb1EEEEDaSP_SQ_EUlSP_E0_NS1_11comp_targetILNS1_3genE9ELNS1_11target_archE1100ELNS1_3gpuE3ELNS1_3repE0EEENS1_30default_config_static_selectorELNS0_4arch9wavefront6targetE1EEEvT1_, .Lfunc_end6676-_ZN7rocprim17ROCPRIM_400000_NS6detail17trampoline_kernelINS0_14default_configENS1_20scan_config_selectorIiEEZZNS1_9scan_implILNS1_25lookback_scan_determinismE0ELb0ELb0ES3_N6thrust23THRUST_200600_302600_NS6detail15normal_iteratorINS9_10device_ptrIiEEEESE_i9plus_mod3IiEiEEDaPvRmT3_T4_T5_mT6_P12ihipStream_tbENKUlT_T0_E_clISt17integral_constantIbLb0EEST_IbLb1EEEEDaSP_SQ_EUlSP_E0_NS1_11comp_targetILNS1_3genE9ELNS1_11target_archE1100ELNS1_3gpuE3ELNS1_3repE0EEENS1_30default_config_static_selectorELNS0_4arch9wavefront6targetE1EEEvT1_
                                        ; -- End function
	.section	.AMDGPU.csdata,"",@progbits
; Kernel info:
; codeLenInByte = 0
; NumSgprs: 4
; NumVgprs: 0
; NumAgprs: 0
; TotalNumVgprs: 0
; ScratchSize: 0
; MemoryBound: 0
; FloatMode: 240
; IeeeMode: 1
; LDSByteSize: 0 bytes/workgroup (compile time only)
; SGPRBlocks: 0
; VGPRBlocks: 0
; NumSGPRsForWavesPerEU: 4
; NumVGPRsForWavesPerEU: 1
; AccumOffset: 4
; Occupancy: 8
; WaveLimiterHint : 0
; COMPUTE_PGM_RSRC2:SCRATCH_EN: 0
; COMPUTE_PGM_RSRC2:USER_SGPR: 6
; COMPUTE_PGM_RSRC2:TRAP_HANDLER: 0
; COMPUTE_PGM_RSRC2:TGID_X_EN: 1
; COMPUTE_PGM_RSRC2:TGID_Y_EN: 0
; COMPUTE_PGM_RSRC2:TGID_Z_EN: 0
; COMPUTE_PGM_RSRC2:TIDIG_COMP_CNT: 0
; COMPUTE_PGM_RSRC3_GFX90A:ACCUM_OFFSET: 0
; COMPUTE_PGM_RSRC3_GFX90A:TG_SPLIT: 0
	.section	.text._ZN7rocprim17ROCPRIM_400000_NS6detail17trampoline_kernelINS0_14default_configENS1_20scan_config_selectorIiEEZZNS1_9scan_implILNS1_25lookback_scan_determinismE0ELb0ELb0ES3_N6thrust23THRUST_200600_302600_NS6detail15normal_iteratorINS9_10device_ptrIiEEEESE_i9plus_mod3IiEiEEDaPvRmT3_T4_T5_mT6_P12ihipStream_tbENKUlT_T0_E_clISt17integral_constantIbLb0EEST_IbLb1EEEEDaSP_SQ_EUlSP_E0_NS1_11comp_targetILNS1_3genE8ELNS1_11target_archE1030ELNS1_3gpuE2ELNS1_3repE0EEENS1_30default_config_static_selectorELNS0_4arch9wavefront6targetE1EEEvT1_,"axG",@progbits,_ZN7rocprim17ROCPRIM_400000_NS6detail17trampoline_kernelINS0_14default_configENS1_20scan_config_selectorIiEEZZNS1_9scan_implILNS1_25lookback_scan_determinismE0ELb0ELb0ES3_N6thrust23THRUST_200600_302600_NS6detail15normal_iteratorINS9_10device_ptrIiEEEESE_i9plus_mod3IiEiEEDaPvRmT3_T4_T5_mT6_P12ihipStream_tbENKUlT_T0_E_clISt17integral_constantIbLb0EEST_IbLb1EEEEDaSP_SQ_EUlSP_E0_NS1_11comp_targetILNS1_3genE8ELNS1_11target_archE1030ELNS1_3gpuE2ELNS1_3repE0EEENS1_30default_config_static_selectorELNS0_4arch9wavefront6targetE1EEEvT1_,comdat
	.protected	_ZN7rocprim17ROCPRIM_400000_NS6detail17trampoline_kernelINS0_14default_configENS1_20scan_config_selectorIiEEZZNS1_9scan_implILNS1_25lookback_scan_determinismE0ELb0ELb0ES3_N6thrust23THRUST_200600_302600_NS6detail15normal_iteratorINS9_10device_ptrIiEEEESE_i9plus_mod3IiEiEEDaPvRmT3_T4_T5_mT6_P12ihipStream_tbENKUlT_T0_E_clISt17integral_constantIbLb0EEST_IbLb1EEEEDaSP_SQ_EUlSP_E0_NS1_11comp_targetILNS1_3genE8ELNS1_11target_archE1030ELNS1_3gpuE2ELNS1_3repE0EEENS1_30default_config_static_selectorELNS0_4arch9wavefront6targetE1EEEvT1_ ; -- Begin function _ZN7rocprim17ROCPRIM_400000_NS6detail17trampoline_kernelINS0_14default_configENS1_20scan_config_selectorIiEEZZNS1_9scan_implILNS1_25lookback_scan_determinismE0ELb0ELb0ES3_N6thrust23THRUST_200600_302600_NS6detail15normal_iteratorINS9_10device_ptrIiEEEESE_i9plus_mod3IiEiEEDaPvRmT3_T4_T5_mT6_P12ihipStream_tbENKUlT_T0_E_clISt17integral_constantIbLb0EEST_IbLb1EEEEDaSP_SQ_EUlSP_E0_NS1_11comp_targetILNS1_3genE8ELNS1_11target_archE1030ELNS1_3gpuE2ELNS1_3repE0EEENS1_30default_config_static_selectorELNS0_4arch9wavefront6targetE1EEEvT1_
	.globl	_ZN7rocprim17ROCPRIM_400000_NS6detail17trampoline_kernelINS0_14default_configENS1_20scan_config_selectorIiEEZZNS1_9scan_implILNS1_25lookback_scan_determinismE0ELb0ELb0ES3_N6thrust23THRUST_200600_302600_NS6detail15normal_iteratorINS9_10device_ptrIiEEEESE_i9plus_mod3IiEiEEDaPvRmT3_T4_T5_mT6_P12ihipStream_tbENKUlT_T0_E_clISt17integral_constantIbLb0EEST_IbLb1EEEEDaSP_SQ_EUlSP_E0_NS1_11comp_targetILNS1_3genE8ELNS1_11target_archE1030ELNS1_3gpuE2ELNS1_3repE0EEENS1_30default_config_static_selectorELNS0_4arch9wavefront6targetE1EEEvT1_
	.p2align	8
	.type	_ZN7rocprim17ROCPRIM_400000_NS6detail17trampoline_kernelINS0_14default_configENS1_20scan_config_selectorIiEEZZNS1_9scan_implILNS1_25lookback_scan_determinismE0ELb0ELb0ES3_N6thrust23THRUST_200600_302600_NS6detail15normal_iteratorINS9_10device_ptrIiEEEESE_i9plus_mod3IiEiEEDaPvRmT3_T4_T5_mT6_P12ihipStream_tbENKUlT_T0_E_clISt17integral_constantIbLb0EEST_IbLb1EEEEDaSP_SQ_EUlSP_E0_NS1_11comp_targetILNS1_3genE8ELNS1_11target_archE1030ELNS1_3gpuE2ELNS1_3repE0EEENS1_30default_config_static_selectorELNS0_4arch9wavefront6targetE1EEEvT1_,@function
_ZN7rocprim17ROCPRIM_400000_NS6detail17trampoline_kernelINS0_14default_configENS1_20scan_config_selectorIiEEZZNS1_9scan_implILNS1_25lookback_scan_determinismE0ELb0ELb0ES3_N6thrust23THRUST_200600_302600_NS6detail15normal_iteratorINS9_10device_ptrIiEEEESE_i9plus_mod3IiEiEEDaPvRmT3_T4_T5_mT6_P12ihipStream_tbENKUlT_T0_E_clISt17integral_constantIbLb0EEST_IbLb1EEEEDaSP_SQ_EUlSP_E0_NS1_11comp_targetILNS1_3genE8ELNS1_11target_archE1030ELNS1_3gpuE2ELNS1_3repE0EEENS1_30default_config_static_selectorELNS0_4arch9wavefront6targetE1EEEvT1_: ; @_ZN7rocprim17ROCPRIM_400000_NS6detail17trampoline_kernelINS0_14default_configENS1_20scan_config_selectorIiEEZZNS1_9scan_implILNS1_25lookback_scan_determinismE0ELb0ELb0ES3_N6thrust23THRUST_200600_302600_NS6detail15normal_iteratorINS9_10device_ptrIiEEEESE_i9plus_mod3IiEiEEDaPvRmT3_T4_T5_mT6_P12ihipStream_tbENKUlT_T0_E_clISt17integral_constantIbLb0EEST_IbLb1EEEEDaSP_SQ_EUlSP_E0_NS1_11comp_targetILNS1_3genE8ELNS1_11target_archE1030ELNS1_3gpuE2ELNS1_3repE0EEENS1_30default_config_static_selectorELNS0_4arch9wavefront6targetE1EEEvT1_
; %bb.0:
	.section	.rodata,"a",@progbits
	.p2align	6, 0x0
	.amdhsa_kernel _ZN7rocprim17ROCPRIM_400000_NS6detail17trampoline_kernelINS0_14default_configENS1_20scan_config_selectorIiEEZZNS1_9scan_implILNS1_25lookback_scan_determinismE0ELb0ELb0ES3_N6thrust23THRUST_200600_302600_NS6detail15normal_iteratorINS9_10device_ptrIiEEEESE_i9plus_mod3IiEiEEDaPvRmT3_T4_T5_mT6_P12ihipStream_tbENKUlT_T0_E_clISt17integral_constantIbLb0EEST_IbLb1EEEEDaSP_SQ_EUlSP_E0_NS1_11comp_targetILNS1_3genE8ELNS1_11target_archE1030ELNS1_3gpuE2ELNS1_3repE0EEENS1_30default_config_static_selectorELNS0_4arch9wavefront6targetE1EEEvT1_
		.amdhsa_group_segment_fixed_size 0
		.amdhsa_private_segment_fixed_size 0
		.amdhsa_kernarg_size 40
		.amdhsa_user_sgpr_count 6
		.amdhsa_user_sgpr_private_segment_buffer 1
		.amdhsa_user_sgpr_dispatch_ptr 0
		.amdhsa_user_sgpr_queue_ptr 0
		.amdhsa_user_sgpr_kernarg_segment_ptr 1
		.amdhsa_user_sgpr_dispatch_id 0
		.amdhsa_user_sgpr_flat_scratch_init 0
		.amdhsa_user_sgpr_kernarg_preload_length 0
		.amdhsa_user_sgpr_kernarg_preload_offset 0
		.amdhsa_user_sgpr_private_segment_size 0
		.amdhsa_uses_dynamic_stack 0
		.amdhsa_system_sgpr_private_segment_wavefront_offset 0
		.amdhsa_system_sgpr_workgroup_id_x 1
		.amdhsa_system_sgpr_workgroup_id_y 0
		.amdhsa_system_sgpr_workgroup_id_z 0
		.amdhsa_system_sgpr_workgroup_info 0
		.amdhsa_system_vgpr_workitem_id 0
		.amdhsa_next_free_vgpr 1
		.amdhsa_next_free_sgpr 0
		.amdhsa_accum_offset 4
		.amdhsa_reserve_vcc 0
		.amdhsa_reserve_flat_scratch 0
		.amdhsa_float_round_mode_32 0
		.amdhsa_float_round_mode_16_64 0
		.amdhsa_float_denorm_mode_32 3
		.amdhsa_float_denorm_mode_16_64 3
		.amdhsa_dx10_clamp 1
		.amdhsa_ieee_mode 1
		.amdhsa_fp16_overflow 0
		.amdhsa_tg_split 0
		.amdhsa_exception_fp_ieee_invalid_op 0
		.amdhsa_exception_fp_denorm_src 0
		.amdhsa_exception_fp_ieee_div_zero 0
		.amdhsa_exception_fp_ieee_overflow 0
		.amdhsa_exception_fp_ieee_underflow 0
		.amdhsa_exception_fp_ieee_inexact 0
		.amdhsa_exception_int_div_zero 0
	.end_amdhsa_kernel
	.section	.text._ZN7rocprim17ROCPRIM_400000_NS6detail17trampoline_kernelINS0_14default_configENS1_20scan_config_selectorIiEEZZNS1_9scan_implILNS1_25lookback_scan_determinismE0ELb0ELb0ES3_N6thrust23THRUST_200600_302600_NS6detail15normal_iteratorINS9_10device_ptrIiEEEESE_i9plus_mod3IiEiEEDaPvRmT3_T4_T5_mT6_P12ihipStream_tbENKUlT_T0_E_clISt17integral_constantIbLb0EEST_IbLb1EEEEDaSP_SQ_EUlSP_E0_NS1_11comp_targetILNS1_3genE8ELNS1_11target_archE1030ELNS1_3gpuE2ELNS1_3repE0EEENS1_30default_config_static_selectorELNS0_4arch9wavefront6targetE1EEEvT1_,"axG",@progbits,_ZN7rocprim17ROCPRIM_400000_NS6detail17trampoline_kernelINS0_14default_configENS1_20scan_config_selectorIiEEZZNS1_9scan_implILNS1_25lookback_scan_determinismE0ELb0ELb0ES3_N6thrust23THRUST_200600_302600_NS6detail15normal_iteratorINS9_10device_ptrIiEEEESE_i9plus_mod3IiEiEEDaPvRmT3_T4_T5_mT6_P12ihipStream_tbENKUlT_T0_E_clISt17integral_constantIbLb0EEST_IbLb1EEEEDaSP_SQ_EUlSP_E0_NS1_11comp_targetILNS1_3genE8ELNS1_11target_archE1030ELNS1_3gpuE2ELNS1_3repE0EEENS1_30default_config_static_selectorELNS0_4arch9wavefront6targetE1EEEvT1_,comdat
.Lfunc_end6677:
	.size	_ZN7rocprim17ROCPRIM_400000_NS6detail17trampoline_kernelINS0_14default_configENS1_20scan_config_selectorIiEEZZNS1_9scan_implILNS1_25lookback_scan_determinismE0ELb0ELb0ES3_N6thrust23THRUST_200600_302600_NS6detail15normal_iteratorINS9_10device_ptrIiEEEESE_i9plus_mod3IiEiEEDaPvRmT3_T4_T5_mT6_P12ihipStream_tbENKUlT_T0_E_clISt17integral_constantIbLb0EEST_IbLb1EEEEDaSP_SQ_EUlSP_E0_NS1_11comp_targetILNS1_3genE8ELNS1_11target_archE1030ELNS1_3gpuE2ELNS1_3repE0EEENS1_30default_config_static_selectorELNS0_4arch9wavefront6targetE1EEEvT1_, .Lfunc_end6677-_ZN7rocprim17ROCPRIM_400000_NS6detail17trampoline_kernelINS0_14default_configENS1_20scan_config_selectorIiEEZZNS1_9scan_implILNS1_25lookback_scan_determinismE0ELb0ELb0ES3_N6thrust23THRUST_200600_302600_NS6detail15normal_iteratorINS9_10device_ptrIiEEEESE_i9plus_mod3IiEiEEDaPvRmT3_T4_T5_mT6_P12ihipStream_tbENKUlT_T0_E_clISt17integral_constantIbLb0EEST_IbLb1EEEEDaSP_SQ_EUlSP_E0_NS1_11comp_targetILNS1_3genE8ELNS1_11target_archE1030ELNS1_3gpuE2ELNS1_3repE0EEENS1_30default_config_static_selectorELNS0_4arch9wavefront6targetE1EEEvT1_
                                        ; -- End function
	.section	.AMDGPU.csdata,"",@progbits
; Kernel info:
; codeLenInByte = 0
; NumSgprs: 4
; NumVgprs: 0
; NumAgprs: 0
; TotalNumVgprs: 0
; ScratchSize: 0
; MemoryBound: 0
; FloatMode: 240
; IeeeMode: 1
; LDSByteSize: 0 bytes/workgroup (compile time only)
; SGPRBlocks: 0
; VGPRBlocks: 0
; NumSGPRsForWavesPerEU: 4
; NumVGPRsForWavesPerEU: 1
; AccumOffset: 4
; Occupancy: 8
; WaveLimiterHint : 0
; COMPUTE_PGM_RSRC2:SCRATCH_EN: 0
; COMPUTE_PGM_RSRC2:USER_SGPR: 6
; COMPUTE_PGM_RSRC2:TRAP_HANDLER: 0
; COMPUTE_PGM_RSRC2:TGID_X_EN: 1
; COMPUTE_PGM_RSRC2:TGID_Y_EN: 0
; COMPUTE_PGM_RSRC2:TGID_Z_EN: 0
; COMPUTE_PGM_RSRC2:TIDIG_COMP_CNT: 0
; COMPUTE_PGM_RSRC3_GFX90A:ACCUM_OFFSET: 0
; COMPUTE_PGM_RSRC3_GFX90A:TG_SPLIT: 0
	.section	.text._ZN7rocprim17ROCPRIM_400000_NS6detail17trampoline_kernelINS0_14default_configENS1_20scan_config_selectorIsEEZZNS1_9scan_implILNS1_25lookback_scan_determinismE0ELb0ELb0ES3_N6thrust23THRUST_200600_302600_NS6detail15normal_iteratorINS9_10device_ptrIsEEEESE_s9plus_mod3IsEsEEDaPvRmT3_T4_T5_mT6_P12ihipStream_tbENKUlT_T0_E_clISt17integral_constantIbLb0EESU_EEDaSP_SQ_EUlSP_E_NS1_11comp_targetILNS1_3genE0ELNS1_11target_archE4294967295ELNS1_3gpuE0ELNS1_3repE0EEENS1_30default_config_static_selectorELNS0_4arch9wavefront6targetE1EEEvT1_,"axG",@progbits,_ZN7rocprim17ROCPRIM_400000_NS6detail17trampoline_kernelINS0_14default_configENS1_20scan_config_selectorIsEEZZNS1_9scan_implILNS1_25lookback_scan_determinismE0ELb0ELb0ES3_N6thrust23THRUST_200600_302600_NS6detail15normal_iteratorINS9_10device_ptrIsEEEESE_s9plus_mod3IsEsEEDaPvRmT3_T4_T5_mT6_P12ihipStream_tbENKUlT_T0_E_clISt17integral_constantIbLb0EESU_EEDaSP_SQ_EUlSP_E_NS1_11comp_targetILNS1_3genE0ELNS1_11target_archE4294967295ELNS1_3gpuE0ELNS1_3repE0EEENS1_30default_config_static_selectorELNS0_4arch9wavefront6targetE1EEEvT1_,comdat
	.protected	_ZN7rocprim17ROCPRIM_400000_NS6detail17trampoline_kernelINS0_14default_configENS1_20scan_config_selectorIsEEZZNS1_9scan_implILNS1_25lookback_scan_determinismE0ELb0ELb0ES3_N6thrust23THRUST_200600_302600_NS6detail15normal_iteratorINS9_10device_ptrIsEEEESE_s9plus_mod3IsEsEEDaPvRmT3_T4_T5_mT6_P12ihipStream_tbENKUlT_T0_E_clISt17integral_constantIbLb0EESU_EEDaSP_SQ_EUlSP_E_NS1_11comp_targetILNS1_3genE0ELNS1_11target_archE4294967295ELNS1_3gpuE0ELNS1_3repE0EEENS1_30default_config_static_selectorELNS0_4arch9wavefront6targetE1EEEvT1_ ; -- Begin function _ZN7rocprim17ROCPRIM_400000_NS6detail17trampoline_kernelINS0_14default_configENS1_20scan_config_selectorIsEEZZNS1_9scan_implILNS1_25lookback_scan_determinismE0ELb0ELb0ES3_N6thrust23THRUST_200600_302600_NS6detail15normal_iteratorINS9_10device_ptrIsEEEESE_s9plus_mod3IsEsEEDaPvRmT3_T4_T5_mT6_P12ihipStream_tbENKUlT_T0_E_clISt17integral_constantIbLb0EESU_EEDaSP_SQ_EUlSP_E_NS1_11comp_targetILNS1_3genE0ELNS1_11target_archE4294967295ELNS1_3gpuE0ELNS1_3repE0EEENS1_30default_config_static_selectorELNS0_4arch9wavefront6targetE1EEEvT1_
	.globl	_ZN7rocprim17ROCPRIM_400000_NS6detail17trampoline_kernelINS0_14default_configENS1_20scan_config_selectorIsEEZZNS1_9scan_implILNS1_25lookback_scan_determinismE0ELb0ELb0ES3_N6thrust23THRUST_200600_302600_NS6detail15normal_iteratorINS9_10device_ptrIsEEEESE_s9plus_mod3IsEsEEDaPvRmT3_T4_T5_mT6_P12ihipStream_tbENKUlT_T0_E_clISt17integral_constantIbLb0EESU_EEDaSP_SQ_EUlSP_E_NS1_11comp_targetILNS1_3genE0ELNS1_11target_archE4294967295ELNS1_3gpuE0ELNS1_3repE0EEENS1_30default_config_static_selectorELNS0_4arch9wavefront6targetE1EEEvT1_
	.p2align	8
	.type	_ZN7rocprim17ROCPRIM_400000_NS6detail17trampoline_kernelINS0_14default_configENS1_20scan_config_selectorIsEEZZNS1_9scan_implILNS1_25lookback_scan_determinismE0ELb0ELb0ES3_N6thrust23THRUST_200600_302600_NS6detail15normal_iteratorINS9_10device_ptrIsEEEESE_s9plus_mod3IsEsEEDaPvRmT3_T4_T5_mT6_P12ihipStream_tbENKUlT_T0_E_clISt17integral_constantIbLb0EESU_EEDaSP_SQ_EUlSP_E_NS1_11comp_targetILNS1_3genE0ELNS1_11target_archE4294967295ELNS1_3gpuE0ELNS1_3repE0EEENS1_30default_config_static_selectorELNS0_4arch9wavefront6targetE1EEEvT1_,@function
_ZN7rocprim17ROCPRIM_400000_NS6detail17trampoline_kernelINS0_14default_configENS1_20scan_config_selectorIsEEZZNS1_9scan_implILNS1_25lookback_scan_determinismE0ELb0ELb0ES3_N6thrust23THRUST_200600_302600_NS6detail15normal_iteratorINS9_10device_ptrIsEEEESE_s9plus_mod3IsEsEEDaPvRmT3_T4_T5_mT6_P12ihipStream_tbENKUlT_T0_E_clISt17integral_constantIbLb0EESU_EEDaSP_SQ_EUlSP_E_NS1_11comp_targetILNS1_3genE0ELNS1_11target_archE4294967295ELNS1_3gpuE0ELNS1_3repE0EEENS1_30default_config_static_selectorELNS0_4arch9wavefront6targetE1EEEvT1_: ; @_ZN7rocprim17ROCPRIM_400000_NS6detail17trampoline_kernelINS0_14default_configENS1_20scan_config_selectorIsEEZZNS1_9scan_implILNS1_25lookback_scan_determinismE0ELb0ELb0ES3_N6thrust23THRUST_200600_302600_NS6detail15normal_iteratorINS9_10device_ptrIsEEEESE_s9plus_mod3IsEsEEDaPvRmT3_T4_T5_mT6_P12ihipStream_tbENKUlT_T0_E_clISt17integral_constantIbLb0EESU_EEDaSP_SQ_EUlSP_E_NS1_11comp_targetILNS1_3genE0ELNS1_11target_archE4294967295ELNS1_3gpuE0ELNS1_3repE0EEENS1_30default_config_static_selectorELNS0_4arch9wavefront6targetE1EEEvT1_
; %bb.0:
	.section	.rodata,"a",@progbits
	.p2align	6, 0x0
	.amdhsa_kernel _ZN7rocprim17ROCPRIM_400000_NS6detail17trampoline_kernelINS0_14default_configENS1_20scan_config_selectorIsEEZZNS1_9scan_implILNS1_25lookback_scan_determinismE0ELb0ELb0ES3_N6thrust23THRUST_200600_302600_NS6detail15normal_iteratorINS9_10device_ptrIsEEEESE_s9plus_mod3IsEsEEDaPvRmT3_T4_T5_mT6_P12ihipStream_tbENKUlT_T0_E_clISt17integral_constantIbLb0EESU_EEDaSP_SQ_EUlSP_E_NS1_11comp_targetILNS1_3genE0ELNS1_11target_archE4294967295ELNS1_3gpuE0ELNS1_3repE0EEENS1_30default_config_static_selectorELNS0_4arch9wavefront6targetE1EEEvT1_
		.amdhsa_group_segment_fixed_size 0
		.amdhsa_private_segment_fixed_size 0
		.amdhsa_kernarg_size 104
		.amdhsa_user_sgpr_count 6
		.amdhsa_user_sgpr_private_segment_buffer 1
		.amdhsa_user_sgpr_dispatch_ptr 0
		.amdhsa_user_sgpr_queue_ptr 0
		.amdhsa_user_sgpr_kernarg_segment_ptr 1
		.amdhsa_user_sgpr_dispatch_id 0
		.amdhsa_user_sgpr_flat_scratch_init 0
		.amdhsa_user_sgpr_kernarg_preload_length 0
		.amdhsa_user_sgpr_kernarg_preload_offset 0
		.amdhsa_user_sgpr_private_segment_size 0
		.amdhsa_uses_dynamic_stack 0
		.amdhsa_system_sgpr_private_segment_wavefront_offset 0
		.amdhsa_system_sgpr_workgroup_id_x 1
		.amdhsa_system_sgpr_workgroup_id_y 0
		.amdhsa_system_sgpr_workgroup_id_z 0
		.amdhsa_system_sgpr_workgroup_info 0
		.amdhsa_system_vgpr_workitem_id 0
		.amdhsa_next_free_vgpr 1
		.amdhsa_next_free_sgpr 0
		.amdhsa_accum_offset 4
		.amdhsa_reserve_vcc 0
		.amdhsa_reserve_flat_scratch 0
		.amdhsa_float_round_mode_32 0
		.amdhsa_float_round_mode_16_64 0
		.amdhsa_float_denorm_mode_32 3
		.amdhsa_float_denorm_mode_16_64 3
		.amdhsa_dx10_clamp 1
		.amdhsa_ieee_mode 1
		.amdhsa_fp16_overflow 0
		.amdhsa_tg_split 0
		.amdhsa_exception_fp_ieee_invalid_op 0
		.amdhsa_exception_fp_denorm_src 0
		.amdhsa_exception_fp_ieee_div_zero 0
		.amdhsa_exception_fp_ieee_overflow 0
		.amdhsa_exception_fp_ieee_underflow 0
		.amdhsa_exception_fp_ieee_inexact 0
		.amdhsa_exception_int_div_zero 0
	.end_amdhsa_kernel
	.section	.text._ZN7rocprim17ROCPRIM_400000_NS6detail17trampoline_kernelINS0_14default_configENS1_20scan_config_selectorIsEEZZNS1_9scan_implILNS1_25lookback_scan_determinismE0ELb0ELb0ES3_N6thrust23THRUST_200600_302600_NS6detail15normal_iteratorINS9_10device_ptrIsEEEESE_s9plus_mod3IsEsEEDaPvRmT3_T4_T5_mT6_P12ihipStream_tbENKUlT_T0_E_clISt17integral_constantIbLb0EESU_EEDaSP_SQ_EUlSP_E_NS1_11comp_targetILNS1_3genE0ELNS1_11target_archE4294967295ELNS1_3gpuE0ELNS1_3repE0EEENS1_30default_config_static_selectorELNS0_4arch9wavefront6targetE1EEEvT1_,"axG",@progbits,_ZN7rocprim17ROCPRIM_400000_NS6detail17trampoline_kernelINS0_14default_configENS1_20scan_config_selectorIsEEZZNS1_9scan_implILNS1_25lookback_scan_determinismE0ELb0ELb0ES3_N6thrust23THRUST_200600_302600_NS6detail15normal_iteratorINS9_10device_ptrIsEEEESE_s9plus_mod3IsEsEEDaPvRmT3_T4_T5_mT6_P12ihipStream_tbENKUlT_T0_E_clISt17integral_constantIbLb0EESU_EEDaSP_SQ_EUlSP_E_NS1_11comp_targetILNS1_3genE0ELNS1_11target_archE4294967295ELNS1_3gpuE0ELNS1_3repE0EEENS1_30default_config_static_selectorELNS0_4arch9wavefront6targetE1EEEvT1_,comdat
.Lfunc_end6678:
	.size	_ZN7rocprim17ROCPRIM_400000_NS6detail17trampoline_kernelINS0_14default_configENS1_20scan_config_selectorIsEEZZNS1_9scan_implILNS1_25lookback_scan_determinismE0ELb0ELb0ES3_N6thrust23THRUST_200600_302600_NS6detail15normal_iteratorINS9_10device_ptrIsEEEESE_s9plus_mod3IsEsEEDaPvRmT3_T4_T5_mT6_P12ihipStream_tbENKUlT_T0_E_clISt17integral_constantIbLb0EESU_EEDaSP_SQ_EUlSP_E_NS1_11comp_targetILNS1_3genE0ELNS1_11target_archE4294967295ELNS1_3gpuE0ELNS1_3repE0EEENS1_30default_config_static_selectorELNS0_4arch9wavefront6targetE1EEEvT1_, .Lfunc_end6678-_ZN7rocprim17ROCPRIM_400000_NS6detail17trampoline_kernelINS0_14default_configENS1_20scan_config_selectorIsEEZZNS1_9scan_implILNS1_25lookback_scan_determinismE0ELb0ELb0ES3_N6thrust23THRUST_200600_302600_NS6detail15normal_iteratorINS9_10device_ptrIsEEEESE_s9plus_mod3IsEsEEDaPvRmT3_T4_T5_mT6_P12ihipStream_tbENKUlT_T0_E_clISt17integral_constantIbLb0EESU_EEDaSP_SQ_EUlSP_E_NS1_11comp_targetILNS1_3genE0ELNS1_11target_archE4294967295ELNS1_3gpuE0ELNS1_3repE0EEENS1_30default_config_static_selectorELNS0_4arch9wavefront6targetE1EEEvT1_
                                        ; -- End function
	.section	.AMDGPU.csdata,"",@progbits
; Kernel info:
; codeLenInByte = 0
; NumSgprs: 4
; NumVgprs: 0
; NumAgprs: 0
; TotalNumVgprs: 0
; ScratchSize: 0
; MemoryBound: 0
; FloatMode: 240
; IeeeMode: 1
; LDSByteSize: 0 bytes/workgroup (compile time only)
; SGPRBlocks: 0
; VGPRBlocks: 0
; NumSGPRsForWavesPerEU: 4
; NumVGPRsForWavesPerEU: 1
; AccumOffset: 4
; Occupancy: 8
; WaveLimiterHint : 0
; COMPUTE_PGM_RSRC2:SCRATCH_EN: 0
; COMPUTE_PGM_RSRC2:USER_SGPR: 6
; COMPUTE_PGM_RSRC2:TRAP_HANDLER: 0
; COMPUTE_PGM_RSRC2:TGID_X_EN: 1
; COMPUTE_PGM_RSRC2:TGID_Y_EN: 0
; COMPUTE_PGM_RSRC2:TGID_Z_EN: 0
; COMPUTE_PGM_RSRC2:TIDIG_COMP_CNT: 0
; COMPUTE_PGM_RSRC3_GFX90A:ACCUM_OFFSET: 0
; COMPUTE_PGM_RSRC3_GFX90A:TG_SPLIT: 0
	.section	.text._ZN7rocprim17ROCPRIM_400000_NS6detail17trampoline_kernelINS0_14default_configENS1_20scan_config_selectorIsEEZZNS1_9scan_implILNS1_25lookback_scan_determinismE0ELb0ELb0ES3_N6thrust23THRUST_200600_302600_NS6detail15normal_iteratorINS9_10device_ptrIsEEEESE_s9plus_mod3IsEsEEDaPvRmT3_T4_T5_mT6_P12ihipStream_tbENKUlT_T0_E_clISt17integral_constantIbLb0EESU_EEDaSP_SQ_EUlSP_E_NS1_11comp_targetILNS1_3genE5ELNS1_11target_archE942ELNS1_3gpuE9ELNS1_3repE0EEENS1_30default_config_static_selectorELNS0_4arch9wavefront6targetE1EEEvT1_,"axG",@progbits,_ZN7rocprim17ROCPRIM_400000_NS6detail17trampoline_kernelINS0_14default_configENS1_20scan_config_selectorIsEEZZNS1_9scan_implILNS1_25lookback_scan_determinismE0ELb0ELb0ES3_N6thrust23THRUST_200600_302600_NS6detail15normal_iteratorINS9_10device_ptrIsEEEESE_s9plus_mod3IsEsEEDaPvRmT3_T4_T5_mT6_P12ihipStream_tbENKUlT_T0_E_clISt17integral_constantIbLb0EESU_EEDaSP_SQ_EUlSP_E_NS1_11comp_targetILNS1_3genE5ELNS1_11target_archE942ELNS1_3gpuE9ELNS1_3repE0EEENS1_30default_config_static_selectorELNS0_4arch9wavefront6targetE1EEEvT1_,comdat
	.protected	_ZN7rocprim17ROCPRIM_400000_NS6detail17trampoline_kernelINS0_14default_configENS1_20scan_config_selectorIsEEZZNS1_9scan_implILNS1_25lookback_scan_determinismE0ELb0ELb0ES3_N6thrust23THRUST_200600_302600_NS6detail15normal_iteratorINS9_10device_ptrIsEEEESE_s9plus_mod3IsEsEEDaPvRmT3_T4_T5_mT6_P12ihipStream_tbENKUlT_T0_E_clISt17integral_constantIbLb0EESU_EEDaSP_SQ_EUlSP_E_NS1_11comp_targetILNS1_3genE5ELNS1_11target_archE942ELNS1_3gpuE9ELNS1_3repE0EEENS1_30default_config_static_selectorELNS0_4arch9wavefront6targetE1EEEvT1_ ; -- Begin function _ZN7rocprim17ROCPRIM_400000_NS6detail17trampoline_kernelINS0_14default_configENS1_20scan_config_selectorIsEEZZNS1_9scan_implILNS1_25lookback_scan_determinismE0ELb0ELb0ES3_N6thrust23THRUST_200600_302600_NS6detail15normal_iteratorINS9_10device_ptrIsEEEESE_s9plus_mod3IsEsEEDaPvRmT3_T4_T5_mT6_P12ihipStream_tbENKUlT_T0_E_clISt17integral_constantIbLb0EESU_EEDaSP_SQ_EUlSP_E_NS1_11comp_targetILNS1_3genE5ELNS1_11target_archE942ELNS1_3gpuE9ELNS1_3repE0EEENS1_30default_config_static_selectorELNS0_4arch9wavefront6targetE1EEEvT1_
	.globl	_ZN7rocprim17ROCPRIM_400000_NS6detail17trampoline_kernelINS0_14default_configENS1_20scan_config_selectorIsEEZZNS1_9scan_implILNS1_25lookback_scan_determinismE0ELb0ELb0ES3_N6thrust23THRUST_200600_302600_NS6detail15normal_iteratorINS9_10device_ptrIsEEEESE_s9plus_mod3IsEsEEDaPvRmT3_T4_T5_mT6_P12ihipStream_tbENKUlT_T0_E_clISt17integral_constantIbLb0EESU_EEDaSP_SQ_EUlSP_E_NS1_11comp_targetILNS1_3genE5ELNS1_11target_archE942ELNS1_3gpuE9ELNS1_3repE0EEENS1_30default_config_static_selectorELNS0_4arch9wavefront6targetE1EEEvT1_
	.p2align	8
	.type	_ZN7rocprim17ROCPRIM_400000_NS6detail17trampoline_kernelINS0_14default_configENS1_20scan_config_selectorIsEEZZNS1_9scan_implILNS1_25lookback_scan_determinismE0ELb0ELb0ES3_N6thrust23THRUST_200600_302600_NS6detail15normal_iteratorINS9_10device_ptrIsEEEESE_s9plus_mod3IsEsEEDaPvRmT3_T4_T5_mT6_P12ihipStream_tbENKUlT_T0_E_clISt17integral_constantIbLb0EESU_EEDaSP_SQ_EUlSP_E_NS1_11comp_targetILNS1_3genE5ELNS1_11target_archE942ELNS1_3gpuE9ELNS1_3repE0EEENS1_30default_config_static_selectorELNS0_4arch9wavefront6targetE1EEEvT1_,@function
_ZN7rocprim17ROCPRIM_400000_NS6detail17trampoline_kernelINS0_14default_configENS1_20scan_config_selectorIsEEZZNS1_9scan_implILNS1_25lookback_scan_determinismE0ELb0ELb0ES3_N6thrust23THRUST_200600_302600_NS6detail15normal_iteratorINS9_10device_ptrIsEEEESE_s9plus_mod3IsEsEEDaPvRmT3_T4_T5_mT6_P12ihipStream_tbENKUlT_T0_E_clISt17integral_constantIbLb0EESU_EEDaSP_SQ_EUlSP_E_NS1_11comp_targetILNS1_3genE5ELNS1_11target_archE942ELNS1_3gpuE9ELNS1_3repE0EEENS1_30default_config_static_selectorELNS0_4arch9wavefront6targetE1EEEvT1_: ; @_ZN7rocprim17ROCPRIM_400000_NS6detail17trampoline_kernelINS0_14default_configENS1_20scan_config_selectorIsEEZZNS1_9scan_implILNS1_25lookback_scan_determinismE0ELb0ELb0ES3_N6thrust23THRUST_200600_302600_NS6detail15normal_iteratorINS9_10device_ptrIsEEEESE_s9plus_mod3IsEsEEDaPvRmT3_T4_T5_mT6_P12ihipStream_tbENKUlT_T0_E_clISt17integral_constantIbLb0EESU_EEDaSP_SQ_EUlSP_E_NS1_11comp_targetILNS1_3genE5ELNS1_11target_archE942ELNS1_3gpuE9ELNS1_3repE0EEENS1_30default_config_static_selectorELNS0_4arch9wavefront6targetE1EEEvT1_
; %bb.0:
	.section	.rodata,"a",@progbits
	.p2align	6, 0x0
	.amdhsa_kernel _ZN7rocprim17ROCPRIM_400000_NS6detail17trampoline_kernelINS0_14default_configENS1_20scan_config_selectorIsEEZZNS1_9scan_implILNS1_25lookback_scan_determinismE0ELb0ELb0ES3_N6thrust23THRUST_200600_302600_NS6detail15normal_iteratorINS9_10device_ptrIsEEEESE_s9plus_mod3IsEsEEDaPvRmT3_T4_T5_mT6_P12ihipStream_tbENKUlT_T0_E_clISt17integral_constantIbLb0EESU_EEDaSP_SQ_EUlSP_E_NS1_11comp_targetILNS1_3genE5ELNS1_11target_archE942ELNS1_3gpuE9ELNS1_3repE0EEENS1_30default_config_static_selectorELNS0_4arch9wavefront6targetE1EEEvT1_
		.amdhsa_group_segment_fixed_size 0
		.amdhsa_private_segment_fixed_size 0
		.amdhsa_kernarg_size 104
		.amdhsa_user_sgpr_count 6
		.amdhsa_user_sgpr_private_segment_buffer 1
		.amdhsa_user_sgpr_dispatch_ptr 0
		.amdhsa_user_sgpr_queue_ptr 0
		.amdhsa_user_sgpr_kernarg_segment_ptr 1
		.amdhsa_user_sgpr_dispatch_id 0
		.amdhsa_user_sgpr_flat_scratch_init 0
		.amdhsa_user_sgpr_kernarg_preload_length 0
		.amdhsa_user_sgpr_kernarg_preload_offset 0
		.amdhsa_user_sgpr_private_segment_size 0
		.amdhsa_uses_dynamic_stack 0
		.amdhsa_system_sgpr_private_segment_wavefront_offset 0
		.amdhsa_system_sgpr_workgroup_id_x 1
		.amdhsa_system_sgpr_workgroup_id_y 0
		.amdhsa_system_sgpr_workgroup_id_z 0
		.amdhsa_system_sgpr_workgroup_info 0
		.amdhsa_system_vgpr_workitem_id 0
		.amdhsa_next_free_vgpr 1
		.amdhsa_next_free_sgpr 0
		.amdhsa_accum_offset 4
		.amdhsa_reserve_vcc 0
		.amdhsa_reserve_flat_scratch 0
		.amdhsa_float_round_mode_32 0
		.amdhsa_float_round_mode_16_64 0
		.amdhsa_float_denorm_mode_32 3
		.amdhsa_float_denorm_mode_16_64 3
		.amdhsa_dx10_clamp 1
		.amdhsa_ieee_mode 1
		.amdhsa_fp16_overflow 0
		.amdhsa_tg_split 0
		.amdhsa_exception_fp_ieee_invalid_op 0
		.amdhsa_exception_fp_denorm_src 0
		.amdhsa_exception_fp_ieee_div_zero 0
		.amdhsa_exception_fp_ieee_overflow 0
		.amdhsa_exception_fp_ieee_underflow 0
		.amdhsa_exception_fp_ieee_inexact 0
		.amdhsa_exception_int_div_zero 0
	.end_amdhsa_kernel
	.section	.text._ZN7rocprim17ROCPRIM_400000_NS6detail17trampoline_kernelINS0_14default_configENS1_20scan_config_selectorIsEEZZNS1_9scan_implILNS1_25lookback_scan_determinismE0ELb0ELb0ES3_N6thrust23THRUST_200600_302600_NS6detail15normal_iteratorINS9_10device_ptrIsEEEESE_s9plus_mod3IsEsEEDaPvRmT3_T4_T5_mT6_P12ihipStream_tbENKUlT_T0_E_clISt17integral_constantIbLb0EESU_EEDaSP_SQ_EUlSP_E_NS1_11comp_targetILNS1_3genE5ELNS1_11target_archE942ELNS1_3gpuE9ELNS1_3repE0EEENS1_30default_config_static_selectorELNS0_4arch9wavefront6targetE1EEEvT1_,"axG",@progbits,_ZN7rocprim17ROCPRIM_400000_NS6detail17trampoline_kernelINS0_14default_configENS1_20scan_config_selectorIsEEZZNS1_9scan_implILNS1_25lookback_scan_determinismE0ELb0ELb0ES3_N6thrust23THRUST_200600_302600_NS6detail15normal_iteratorINS9_10device_ptrIsEEEESE_s9plus_mod3IsEsEEDaPvRmT3_T4_T5_mT6_P12ihipStream_tbENKUlT_T0_E_clISt17integral_constantIbLb0EESU_EEDaSP_SQ_EUlSP_E_NS1_11comp_targetILNS1_3genE5ELNS1_11target_archE942ELNS1_3gpuE9ELNS1_3repE0EEENS1_30default_config_static_selectorELNS0_4arch9wavefront6targetE1EEEvT1_,comdat
.Lfunc_end6679:
	.size	_ZN7rocprim17ROCPRIM_400000_NS6detail17trampoline_kernelINS0_14default_configENS1_20scan_config_selectorIsEEZZNS1_9scan_implILNS1_25lookback_scan_determinismE0ELb0ELb0ES3_N6thrust23THRUST_200600_302600_NS6detail15normal_iteratorINS9_10device_ptrIsEEEESE_s9plus_mod3IsEsEEDaPvRmT3_T4_T5_mT6_P12ihipStream_tbENKUlT_T0_E_clISt17integral_constantIbLb0EESU_EEDaSP_SQ_EUlSP_E_NS1_11comp_targetILNS1_3genE5ELNS1_11target_archE942ELNS1_3gpuE9ELNS1_3repE0EEENS1_30default_config_static_selectorELNS0_4arch9wavefront6targetE1EEEvT1_, .Lfunc_end6679-_ZN7rocprim17ROCPRIM_400000_NS6detail17trampoline_kernelINS0_14default_configENS1_20scan_config_selectorIsEEZZNS1_9scan_implILNS1_25lookback_scan_determinismE0ELb0ELb0ES3_N6thrust23THRUST_200600_302600_NS6detail15normal_iteratorINS9_10device_ptrIsEEEESE_s9plus_mod3IsEsEEDaPvRmT3_T4_T5_mT6_P12ihipStream_tbENKUlT_T0_E_clISt17integral_constantIbLb0EESU_EEDaSP_SQ_EUlSP_E_NS1_11comp_targetILNS1_3genE5ELNS1_11target_archE942ELNS1_3gpuE9ELNS1_3repE0EEENS1_30default_config_static_selectorELNS0_4arch9wavefront6targetE1EEEvT1_
                                        ; -- End function
	.section	.AMDGPU.csdata,"",@progbits
; Kernel info:
; codeLenInByte = 0
; NumSgprs: 4
; NumVgprs: 0
; NumAgprs: 0
; TotalNumVgprs: 0
; ScratchSize: 0
; MemoryBound: 0
; FloatMode: 240
; IeeeMode: 1
; LDSByteSize: 0 bytes/workgroup (compile time only)
; SGPRBlocks: 0
; VGPRBlocks: 0
; NumSGPRsForWavesPerEU: 4
; NumVGPRsForWavesPerEU: 1
; AccumOffset: 4
; Occupancy: 8
; WaveLimiterHint : 0
; COMPUTE_PGM_RSRC2:SCRATCH_EN: 0
; COMPUTE_PGM_RSRC2:USER_SGPR: 6
; COMPUTE_PGM_RSRC2:TRAP_HANDLER: 0
; COMPUTE_PGM_RSRC2:TGID_X_EN: 1
; COMPUTE_PGM_RSRC2:TGID_Y_EN: 0
; COMPUTE_PGM_RSRC2:TGID_Z_EN: 0
; COMPUTE_PGM_RSRC2:TIDIG_COMP_CNT: 0
; COMPUTE_PGM_RSRC3_GFX90A:ACCUM_OFFSET: 0
; COMPUTE_PGM_RSRC3_GFX90A:TG_SPLIT: 0
	.section	.text._ZN7rocprim17ROCPRIM_400000_NS6detail17trampoline_kernelINS0_14default_configENS1_20scan_config_selectorIsEEZZNS1_9scan_implILNS1_25lookback_scan_determinismE0ELb0ELb0ES3_N6thrust23THRUST_200600_302600_NS6detail15normal_iteratorINS9_10device_ptrIsEEEESE_s9plus_mod3IsEsEEDaPvRmT3_T4_T5_mT6_P12ihipStream_tbENKUlT_T0_E_clISt17integral_constantIbLb0EESU_EEDaSP_SQ_EUlSP_E_NS1_11comp_targetILNS1_3genE4ELNS1_11target_archE910ELNS1_3gpuE8ELNS1_3repE0EEENS1_30default_config_static_selectorELNS0_4arch9wavefront6targetE1EEEvT1_,"axG",@progbits,_ZN7rocprim17ROCPRIM_400000_NS6detail17trampoline_kernelINS0_14default_configENS1_20scan_config_selectorIsEEZZNS1_9scan_implILNS1_25lookback_scan_determinismE0ELb0ELb0ES3_N6thrust23THRUST_200600_302600_NS6detail15normal_iteratorINS9_10device_ptrIsEEEESE_s9plus_mod3IsEsEEDaPvRmT3_T4_T5_mT6_P12ihipStream_tbENKUlT_T0_E_clISt17integral_constantIbLb0EESU_EEDaSP_SQ_EUlSP_E_NS1_11comp_targetILNS1_3genE4ELNS1_11target_archE910ELNS1_3gpuE8ELNS1_3repE0EEENS1_30default_config_static_selectorELNS0_4arch9wavefront6targetE1EEEvT1_,comdat
	.protected	_ZN7rocprim17ROCPRIM_400000_NS6detail17trampoline_kernelINS0_14default_configENS1_20scan_config_selectorIsEEZZNS1_9scan_implILNS1_25lookback_scan_determinismE0ELb0ELb0ES3_N6thrust23THRUST_200600_302600_NS6detail15normal_iteratorINS9_10device_ptrIsEEEESE_s9plus_mod3IsEsEEDaPvRmT3_T4_T5_mT6_P12ihipStream_tbENKUlT_T0_E_clISt17integral_constantIbLb0EESU_EEDaSP_SQ_EUlSP_E_NS1_11comp_targetILNS1_3genE4ELNS1_11target_archE910ELNS1_3gpuE8ELNS1_3repE0EEENS1_30default_config_static_selectorELNS0_4arch9wavefront6targetE1EEEvT1_ ; -- Begin function _ZN7rocprim17ROCPRIM_400000_NS6detail17trampoline_kernelINS0_14default_configENS1_20scan_config_selectorIsEEZZNS1_9scan_implILNS1_25lookback_scan_determinismE0ELb0ELb0ES3_N6thrust23THRUST_200600_302600_NS6detail15normal_iteratorINS9_10device_ptrIsEEEESE_s9plus_mod3IsEsEEDaPvRmT3_T4_T5_mT6_P12ihipStream_tbENKUlT_T0_E_clISt17integral_constantIbLb0EESU_EEDaSP_SQ_EUlSP_E_NS1_11comp_targetILNS1_3genE4ELNS1_11target_archE910ELNS1_3gpuE8ELNS1_3repE0EEENS1_30default_config_static_selectorELNS0_4arch9wavefront6targetE1EEEvT1_
	.globl	_ZN7rocprim17ROCPRIM_400000_NS6detail17trampoline_kernelINS0_14default_configENS1_20scan_config_selectorIsEEZZNS1_9scan_implILNS1_25lookback_scan_determinismE0ELb0ELb0ES3_N6thrust23THRUST_200600_302600_NS6detail15normal_iteratorINS9_10device_ptrIsEEEESE_s9plus_mod3IsEsEEDaPvRmT3_T4_T5_mT6_P12ihipStream_tbENKUlT_T0_E_clISt17integral_constantIbLb0EESU_EEDaSP_SQ_EUlSP_E_NS1_11comp_targetILNS1_3genE4ELNS1_11target_archE910ELNS1_3gpuE8ELNS1_3repE0EEENS1_30default_config_static_selectorELNS0_4arch9wavefront6targetE1EEEvT1_
	.p2align	8
	.type	_ZN7rocprim17ROCPRIM_400000_NS6detail17trampoline_kernelINS0_14default_configENS1_20scan_config_selectorIsEEZZNS1_9scan_implILNS1_25lookback_scan_determinismE0ELb0ELb0ES3_N6thrust23THRUST_200600_302600_NS6detail15normal_iteratorINS9_10device_ptrIsEEEESE_s9plus_mod3IsEsEEDaPvRmT3_T4_T5_mT6_P12ihipStream_tbENKUlT_T0_E_clISt17integral_constantIbLb0EESU_EEDaSP_SQ_EUlSP_E_NS1_11comp_targetILNS1_3genE4ELNS1_11target_archE910ELNS1_3gpuE8ELNS1_3repE0EEENS1_30default_config_static_selectorELNS0_4arch9wavefront6targetE1EEEvT1_,@function
_ZN7rocprim17ROCPRIM_400000_NS6detail17trampoline_kernelINS0_14default_configENS1_20scan_config_selectorIsEEZZNS1_9scan_implILNS1_25lookback_scan_determinismE0ELb0ELb0ES3_N6thrust23THRUST_200600_302600_NS6detail15normal_iteratorINS9_10device_ptrIsEEEESE_s9plus_mod3IsEsEEDaPvRmT3_T4_T5_mT6_P12ihipStream_tbENKUlT_T0_E_clISt17integral_constantIbLb0EESU_EEDaSP_SQ_EUlSP_E_NS1_11comp_targetILNS1_3genE4ELNS1_11target_archE910ELNS1_3gpuE8ELNS1_3repE0EEENS1_30default_config_static_selectorELNS0_4arch9wavefront6targetE1EEEvT1_: ; @_ZN7rocprim17ROCPRIM_400000_NS6detail17trampoline_kernelINS0_14default_configENS1_20scan_config_selectorIsEEZZNS1_9scan_implILNS1_25lookback_scan_determinismE0ELb0ELb0ES3_N6thrust23THRUST_200600_302600_NS6detail15normal_iteratorINS9_10device_ptrIsEEEESE_s9plus_mod3IsEsEEDaPvRmT3_T4_T5_mT6_P12ihipStream_tbENKUlT_T0_E_clISt17integral_constantIbLb0EESU_EEDaSP_SQ_EUlSP_E_NS1_11comp_targetILNS1_3genE4ELNS1_11target_archE910ELNS1_3gpuE8ELNS1_3repE0EEENS1_30default_config_static_selectorELNS0_4arch9wavefront6targetE1EEEvT1_
; %bb.0:
	s_load_dwordx8 s[8:15], s[4:5], 0x0
	s_load_dword s1, s[4:5], 0x38
	s_mul_i32 s0, s6, 0x600
	v_lshlrev_b32_e32 v108, 1, v0
	s_waitcnt lgkmcnt(0)
	s_lshl_b64 s[20:21], s[10:11], 1
	s_add_u32 s2, s8, s20
	s_addc_u32 s3, s9, s21
	s_add_i32 s7, s1, -1
	s_mul_i32 s8, s7, 0x600
	s_sub_u32 s30, s14, s8
	s_subb_u32 s31, s15, 0
	s_mov_b32 s1, 0
	s_cmp_lg_u32 s6, s7
	s_cselect_b64 s[14:15], -1, 0
	s_lshl_b64 s[22:23], s[0:1], 1
	s_add_u32 s2, s2, s22
	s_addc_u32 s3, s3, s23
	s_mov_b64 s[0:1], -1
	s_and_b64 vcc, exec, s[14:15]
	s_cbranch_vccz .LBB6680_2
; %bb.1:
	v_mov_b32_e32 v1, s3
	v_add_co_u32_e32 v2, vcc, s2, v108
	v_addc_co_u32_e32 v3, vcc, 0, v1, vcc
	flat_load_ushort v1, v[2:3]
	flat_load_ushort v4, v[2:3] offset:128
	flat_load_ushort v5, v[2:3] offset:256
	;; [unrolled: 1-line block ×23, first 2 shown]
	s_mov_b64 s[0:1], 0
	s_waitcnt vmcnt(0) lgkmcnt(0)
	ds_write_b16 v108, v1
	ds_write_b16 v108, v4 offset:128
	ds_write_b16 v108, v5 offset:256
	;; [unrolled: 1-line block ×23, first 2 shown]
	s_waitcnt lgkmcnt(0)
	; wave barrier
.LBB6680_2:
	s_load_dwordx4 s[16:19], s[4:5], 0x28
	s_andn2_b64 vcc, exec, s[0:1]
	v_cmp_gt_u32_e64 s[0:1], s30, v0
	s_cbranch_vccnz .LBB6680_52
; %bb.3:
	v_pk_mov_b32 v[2:3], s[2:3], s[2:3] op_sel:[0,1]
	flat_load_ushort v1, v[2:3]
	s_waitcnt vmcnt(0) lgkmcnt(0)
	v_mov_b32_e32 v2, v1
	s_and_saveexec_b64 s[8:9], s[0:1]
	s_cbranch_execz .LBB6680_5
; %bb.4:
	v_mov_b32_e32 v3, s3
	v_add_co_u32_e32 v2, vcc, s2, v108
	v_addc_co_u32_e32 v3, vcc, 0, v3, vcc
	flat_load_ushort v2, v[2:3]
.LBB6680_5:
	s_or_b64 exec, exec, s[8:9]
	v_or_b32_e32 v3, 64, v0
	v_cmp_gt_u32_e32 vcc, s30, v3
	v_mov_b32_e32 v3, v1
	s_and_saveexec_b64 s[0:1], vcc
	s_cbranch_execz .LBB6680_7
; %bb.6:
	v_mov_b32_e32 v3, s3
	v_add_co_u32_e32 v4, vcc, s2, v108
	v_addc_co_u32_e32 v5, vcc, 0, v3, vcc
	flat_load_ushort v3, v[4:5] offset:128
.LBB6680_7:
	s_or_b64 exec, exec, s[0:1]
	v_or_b32_e32 v4, 0x80, v0
	v_cmp_gt_u32_e32 vcc, s30, v4
	v_mov_b32_e32 v4, v1
	s_and_saveexec_b64 s[0:1], vcc
	s_cbranch_execz .LBB6680_9
; %bb.8:
	v_mov_b32_e32 v5, s3
	v_add_co_u32_e32 v4, vcc, s2, v108
	v_addc_co_u32_e32 v5, vcc, 0, v5, vcc
	flat_load_ushort v4, v[4:5] offset:256
.LBB6680_9:
	;; [unrolled: 12-line block ×22, first 2 shown]
	s_or_b64 exec, exec, s[0:1]
	v_or_b32_e32 v25, 0x5c0, v0
	v_cmp_gt_u32_e32 vcc, s30, v25
	s_and_saveexec_b64 s[0:1], vcc
	s_cbranch_execz .LBB6680_51
; %bb.50:
	v_mov_b32_e32 v1, s3
	v_add_co_u32_e32 v26, vcc, s2, v108
	v_addc_co_u32_e32 v27, vcc, 0, v1, vcc
	flat_load_ushort v1, v[26:27] offset:2944
.LBB6680_51:
	s_or_b64 exec, exec, s[0:1]
	s_waitcnt vmcnt(0) lgkmcnt(0)
	ds_write_b16 v108, v2
	ds_write_b16 v108, v3 offset:128
	ds_write_b16 v108, v4 offset:256
	;; [unrolled: 1-line block ×23, first 2 shown]
	s_waitcnt lgkmcnt(0)
	; wave barrier
.LBB6680_52:
	v_mul_u32_u24_e32 v109, 24, v0
	v_lshlrev_b32_e32 v1, 1, v109
	s_waitcnt lgkmcnt(0)
	ds_read_b128 v[2:5], v1
	ds_read_b128 v[6:9], v1 offset:16
	ds_read_b128 v[50:53], v1 offset:32
	s_cmp_lg_u32 s6, 0
	v_mbcnt_lo_u32_b32 v110, -1, 0
	s_waitcnt lgkmcnt(2)
	v_lshrrev_b32_e32 v10, 16, v2
	v_lshrrev_b32_e32 v11, 16, v3
	v_lshrrev_b32_e32 v12, 16, v4
	v_lshrrev_b32_e32 v13, 16, v5
	s_waitcnt lgkmcnt(1)
	v_lshrrev_b32_e32 v14, 16, v6
	v_lshrrev_b32_e32 v15, 16, v7
	v_lshrrev_b32_e32 v16, 16, v8
	v_lshrrev_b32_e32 v17, 16, v9
	;; [unrolled: 5-line block ×3, first 2 shown]
	v_bfe_i32 v48, v10, 0, 16
	v_bfe_i32 v46, v3, 0, 16
	;; [unrolled: 1-line block ×23, first 2 shown]
	s_waitcnt lgkmcnt(0)
	; wave barrier
	s_cbranch_scc0 .LBB6680_116
; %bb.53:
	v_bfe_i32 v62, v2, 0, 16
	v_ashrrev_i32_e32 v63, 31, v62
	v_lshlrev_b64 v[68:69], 1, v[62:63]
	v_ashrrev_i32_e32 v49, 31, v48
	v_mov_b32_e32 v3, s17
	v_add_co_u32_e32 v5, vcc, s16, v68
	v_addc_co_u32_e32 v3, vcc, v3, v69, vcc
	v_lshlrev_b64 v[50:51], 1, v[48:49]
	v_add_co_u32_e32 v52, vcc, v5, v50
	v_addc_co_u32_e32 v53, vcc, v3, v51, vcc
	global_load_ushort v3, v[52:53], off
	v_ashrrev_i32_e32 v47, 31, v46
	v_mov_b32_e32 v5, s17
	v_lshlrev_b64 v[52:53], 1, v[46:47]
	v_ashrrev_i32_e32 v45, 31, v44
	v_ashrrev_i32_e32 v43, 31, v42
	v_ashrrev_i32_e32 v41, 31, v40
	v_ashrrev_i32_e32 v39, 31, v38
	v_ashrrev_i32_e32 v37, 31, v36
	v_ashrrev_i32_e32 v35, 31, v34
	v_ashrrev_i32_e32 v33, 31, v32
	v_ashrrev_i32_e32 v31, 31, v30
	v_ashrrev_i32_e32 v29, 31, v28
	v_ashrrev_i32_e32 v27, 31, v26
	v_ashrrev_i32_e32 v25, 31, v24
	v_ashrrev_i32_e32 v23, 31, v22
	v_ashrrev_i32_e32 v21, 31, v20
	v_ashrrev_i32_e32 v19, 31, v18
	v_ashrrev_i32_e32 v17, 31, v16
	v_ashrrev_i32_e32 v15, 31, v14
	v_ashrrev_i32_e32 v13, 31, v12
	v_ashrrev_i32_e32 v11, 31, v10
	v_ashrrev_i32_e32 v9, 31, v8
	v_ashrrev_i32_e32 v7, 31, v6
	s_waitcnt vmcnt(0)
	v_bfe_i32 v54, v3, 0, 16
	v_ashrrev_i32_e32 v55, 31, v54
	v_lshlrev_b64 v[54:55], 1, v[54:55]
	v_add_co_u32_e32 v3, vcc, s16, v54
	v_addc_co_u32_e32 v5, vcc, v5, v55, vcc
	v_add_co_u32_e32 v54, vcc, v3, v52
	v_addc_co_u32_e32 v55, vcc, v5, v53, vcc
	global_load_ushort v3, v[54:55], off
	v_mov_b32_e32 v5, s17
	v_lshlrev_b64 v[54:55], 1, v[44:45]
	s_waitcnt vmcnt(0)
	v_bfe_i32 v56, v3, 0, 16
	v_ashrrev_i32_e32 v57, 31, v56
	v_lshlrev_b64 v[56:57], 1, v[56:57]
	v_add_co_u32_e32 v3, vcc, s16, v56
	v_addc_co_u32_e32 v5, vcc, v5, v57, vcc
	v_add_co_u32_e32 v56, vcc, v3, v54
	v_addc_co_u32_e32 v57, vcc, v5, v55, vcc
	global_load_ushort v3, v[56:57], off
	v_mov_b32_e32 v5, s17
	v_lshlrev_b64 v[56:57], 1, v[42:43]
	;; [unrolled: 11-line block ×14, first 2 shown]
	v_mbcnt_hi_u32_b32 v19, -1, v110
	s_waitcnt vmcnt(0)
	v_bfe_i32 v86, v3, 0, 16
	v_ashrrev_i32_e32 v87, 31, v86
	v_lshlrev_b64 v[86:87], 1, v[86:87]
	v_add_co_u32_e32 v3, vcc, s16, v86
	v_addc_co_u32_e32 v5, vcc, v5, v87, vcc
	v_add_co_u32_e32 v86, vcc, v3, v84
	v_addc_co_u32_e32 v87, vcc, v5, v85, vcc
	global_load_ushort v3, v[86:87], off
	v_mov_b32_e32 v5, s17
	v_lshlrev_b64 v[86:87], 1, v[16:17]
	s_waitcnt vmcnt(0)
	v_bfe_i32 v88, v3, 0, 16
	v_ashrrev_i32_e32 v89, 31, v88
	v_lshlrev_b64 v[88:89], 1, v[88:89]
	v_add_co_u32_e32 v3, vcc, s16, v88
	v_addc_co_u32_e32 v5, vcc, v5, v89, vcc
	v_add_co_u32_e32 v88, vcc, v3, v86
	v_addc_co_u32_e32 v89, vcc, v5, v87, vcc
	global_load_ushort v3, v[88:89], off
	v_mov_b32_e32 v5, s17
	v_lshlrev_b64 v[88:89], 1, v[14:15]
	;; [unrolled: 11-line block ×6, first 2 shown]
	v_mov_b32_e32 v7, s17
	s_waitcnt vmcnt(0)
	v_bfe_i32 v98, v3, 0, 16
	v_ashrrev_i32_e32 v99, 31, v98
	v_lshlrev_b64 v[98:99], 1, v[98:99]
	v_add_co_u32_e32 v3, vcc, s16, v98
	v_addc_co_u32_e32 v5, vcc, v5, v99, vcc
	v_add_co_u32_e32 v98, vcc, v3, v96
	v_addc_co_u32_e32 v99, vcc, v5, v97, vcc
	global_load_ushort v3, v[98:99], off
	v_ashrrev_i32_e32 v5, 31, v4
	v_lshlrev_b64 v[98:99], 1, v[4:5]
	s_waitcnt vmcnt(0)
	v_bfe_i32 v100, v3, 0, 16
	v_ashrrev_i32_e32 v101, 31, v100
	v_lshlrev_b64 v[100:101], 1, v[100:101]
	v_add_co_u32_e32 v3, vcc, s16, v100
	v_addc_co_u32_e32 v5, vcc, v7, v101, vcc
	v_add_co_u32_e32 v100, vcc, v3, v98
	v_addc_co_u32_e32 v101, vcc, v5, v99, vcc
	global_load_ushort v3, v[100:101], off
	v_and_b32_e32 v5, 15, v19
	v_cmp_ne_u32_e32 vcc, 0, v5
	s_waitcnt vmcnt(0)
	v_and_b32_e32 v7, 0xffff, v3
	s_nop 1
	v_mov_b32_dpp v9, v7 row_shr:1 row_mask:0xf bank_mask:0xf
	s_and_saveexec_b64 s[0:1], vcc
	s_cbranch_execz .LBB6680_55
; %bb.54:
	v_lshlrev_b32_e32 v101, 16, v9
	v_mov_b32_e32 v100, 0
	v_ashrrev_i64 v[100:101], 47, v[100:101]
	v_mov_b32_e32 v7, s17
	v_add_co_u32_e32 v9, vcc, s16, v100
	v_bfe_i32 v100, v3, 0, 16
	v_addc_co_u32_e32 v7, vcc, v7, v101, vcc
	v_ashrrev_i32_e32 v101, 31, v100
	v_lshlrev_b64 v[100:101], 1, v[100:101]
	v_add_co_u32_e32 v100, vcc, v9, v100
	v_addc_co_u32_e32 v101, vcc, v7, v101, vcc
	global_load_ushort v3, v[100:101], off
	s_waitcnt vmcnt(0)
	v_and_b32_e32 v7, 0xffff, v3
.LBB6680_55:
	s_or_b64 exec, exec, s[0:1]
	s_nop 0
	v_mov_b32_dpp v9, v7 row_shr:2 row_mask:0xf bank_mask:0xf
	v_cmp_lt_u32_e32 vcc, 1, v5
	s_and_saveexec_b64 s[0:1], vcc
	s_cbranch_execz .LBB6680_57
; %bb.56:
	v_lshlrev_b32_e32 v101, 16, v9
	v_mov_b32_e32 v100, 0
	v_ashrrev_i64 v[100:101], 47, v[100:101]
	v_mov_b32_e32 v7, s17
	v_add_co_u32_e32 v9, vcc, s16, v100
	v_bfe_i32 v100, v3, 0, 16
	v_addc_co_u32_e32 v7, vcc, v7, v101, vcc
	v_ashrrev_i32_e32 v101, 31, v100
	v_lshlrev_b64 v[100:101], 1, v[100:101]
	v_add_co_u32_e32 v100, vcc, v9, v100
	v_addc_co_u32_e32 v101, vcc, v7, v101, vcc
	global_load_ushort v3, v[100:101], off
	s_waitcnt vmcnt(0)
	v_and_b32_e32 v7, 0xffff, v3
.LBB6680_57:
	s_or_b64 exec, exec, s[0:1]
	s_nop 0
	v_mov_b32_dpp v9, v7 row_shr:4 row_mask:0xf bank_mask:0xf
	v_cmp_lt_u32_e32 vcc, 3, v5
	s_and_saveexec_b64 s[0:1], vcc
	s_cbranch_execz .LBB6680_59
; %bb.58:
	v_lshlrev_b32_e32 v101, 16, v9
	v_mov_b32_e32 v100, 0
	v_ashrrev_i64 v[100:101], 47, v[100:101]
	v_mov_b32_e32 v7, s17
	v_add_co_u32_e32 v9, vcc, s16, v100
	v_bfe_i32 v100, v3, 0, 16
	v_addc_co_u32_e32 v7, vcc, v7, v101, vcc
	v_ashrrev_i32_e32 v101, 31, v100
	v_lshlrev_b64 v[100:101], 1, v[100:101]
	v_add_co_u32_e32 v100, vcc, v9, v100
	v_addc_co_u32_e32 v101, vcc, v7, v101, vcc
	global_load_ushort v3, v[100:101], off
	s_waitcnt vmcnt(0)
	v_and_b32_e32 v7, 0xffff, v3
.LBB6680_59:
	s_or_b64 exec, exec, s[0:1]
	s_nop 0
	v_mov_b32_dpp v9, v7 row_shr:8 row_mask:0xf bank_mask:0xf
	v_cmp_lt_u32_e32 vcc, 7, v5
	s_and_saveexec_b64 s[0:1], vcc
	s_cbranch_execz .LBB6680_61
; %bb.60:
	v_lshlrev_b32_e32 v101, 16, v9
	v_mov_b32_e32 v100, 0
	v_ashrrev_i64 v[100:101], 47, v[100:101]
	v_mov_b32_e32 v5, s17
	v_add_co_u32_e32 v7, vcc, s16, v100
	v_bfe_i32 v100, v3, 0, 16
	v_addc_co_u32_e32 v5, vcc, v5, v101, vcc
	v_ashrrev_i32_e32 v101, 31, v100
	v_lshlrev_b64 v[100:101], 1, v[100:101]
	v_add_co_u32_e32 v100, vcc, v7, v100
	v_addc_co_u32_e32 v101, vcc, v5, v101, vcc
	global_load_ushort v3, v[100:101], off
	s_waitcnt vmcnt(0)
	v_and_b32_e32 v7, 0xffff, v3
.LBB6680_61:
	s_or_b64 exec, exec, s[0:1]
	v_and_b32_e32 v9, 16, v19
	v_mov_b32_dpp v5, v7 row_bcast:15 row_mask:0xf bank_mask:0xf
	v_cmp_ne_u32_e32 vcc, 0, v9
	s_and_saveexec_b64 s[0:1], vcc
	s_cbranch_execz .LBB6680_63
; %bb.62:
	v_lshlrev_b32_e32 v101, 16, v5
	v_mov_b32_e32 v100, 0
	v_ashrrev_i64 v[100:101], 47, v[100:101]
	v_mov_b32_e32 v5, s17
	v_add_co_u32_e32 v7, vcc, s16, v100
	v_bfe_i32 v100, v3, 0, 16
	v_addc_co_u32_e32 v5, vcc, v5, v101, vcc
	v_ashrrev_i32_e32 v101, 31, v100
	v_lshlrev_b64 v[100:101], 1, v[100:101]
	v_add_co_u32_e32 v100, vcc, v7, v100
	v_addc_co_u32_e32 v101, vcc, v5, v101, vcc
	global_load_ushort v3, v[100:101], off
	s_waitcnt vmcnt(0)
	v_and_b32_e32 v7, 0xffff, v3
.LBB6680_63:
	s_or_b64 exec, exec, s[0:1]
	s_nop 0
	v_mov_b32_dpp v5, v7 row_bcast:31 row_mask:0xf bank_mask:0xf
	v_cmp_lt_u32_e32 vcc, 31, v19
	s_and_saveexec_b64 s[0:1], vcc
	s_cbranch_execz .LBB6680_65
; %bb.64:
	v_lshlrev_b32_e32 v101, 16, v5
	v_mov_b32_e32 v100, 0
	v_ashrrev_i64 v[100:101], 47, v[100:101]
	v_mov_b32_e32 v5, s17
	v_add_co_u32_e32 v7, vcc, s16, v100
	v_bfe_i32 v100, v3, 0, 16
	v_addc_co_u32_e32 v5, vcc, v5, v101, vcc
	v_ashrrev_i32_e32 v101, 31, v100
	v_lshlrev_b64 v[100:101], 1, v[100:101]
	v_add_co_u32_e32 v100, vcc, v7, v100
	v_addc_co_u32_e32 v101, vcc, v5, v101, vcc
	global_load_ushort v3, v[100:101], off
.LBB6680_65:
	s_or_b64 exec, exec, s[0:1]
	v_cmp_eq_u32_e32 vcc, 63, v0
	s_and_saveexec_b64 s[0:1], vcc
	s_cbranch_execz .LBB6680_67
; %bb.66:
	v_mov_b32_e32 v5, 0
	s_waitcnt vmcnt(0)
	ds_write_b16 v5, v3
.LBB6680_67:
	s_or_b64 exec, exec, s[0:1]
	v_add_u32_e32 v5, -1, v19
	v_and_b32_e32 v7, 64, v19
	v_cmp_lt_i32_e32 vcc, v5, v7
	v_cndmask_b32_e32 v5, v5, v19, vcc
	s_waitcnt vmcnt(0)
	v_and_b32_e32 v3, 0xffff, v3
	v_lshlrev_b32_e32 v5, 2, v5
	ds_bpermute_b32 v3, v5, v3
	v_cmp_gt_u32_e32 vcc, 64, v0
	s_waitcnt lgkmcnt(0)
	; wave barrier
	s_waitcnt lgkmcnt(0)
	s_and_saveexec_b64 s[2:3], vcc
	s_cbranch_execz .LBB6680_113
; %bb.68:
	v_mov_b32_e32 v105, 0
	ds_read_u16 v100, v105
	s_mov_b32 s11, 0
	v_cmp_eq_u32_e64 s[0:1], 0, v19
	s_and_saveexec_b64 s[8:9], s[0:1]
	s_cbranch_execz .LBB6680_70
; %bb.69:
	s_add_i32 s10, s6, 64
	s_lshl_b64 s[10:11], s[10:11], 2
	s_add_u32 s10, s18, s10
	s_waitcnt lgkmcnt(0)
	v_or_b32_e32 v5, 0x10000, v100
	s_addc_u32 s11, s19, s11
	global_store_dword v105, v5, s[10:11]
.LBB6680_70:
	s_or_b64 exec, exec, s[8:9]
	v_xad_u32 v102, v19, -1, s6
	v_add_u32_e32 v104, 64, v102
	v_lshlrev_b64 v[106:107], 2, v[104:105]
	v_mov_b32_e32 v5, s19
	v_add_co_u32_e32 v106, vcc, s18, v106
	v_addc_co_u32_e32 v107, vcc, v5, v107, vcc
	global_load_dword v35, v[106:107], off glc
	s_waitcnt vmcnt(0)
	v_lshrrev_b32_e32 v5, 16, v35
	v_cmp_eq_u16_sdwa s[10:11], v5, v105 src0_sel:BYTE_0 src1_sel:DWORD
	s_and_saveexec_b64 s[8:9], s[10:11]
	s_cbranch_execz .LBB6680_74
; %bb.71:
	s_mov_b64 s[10:11], 0
	v_mov_b32_e32 v7, 0
.LBB6680_72:                            ; =>This Inner Loop Header: Depth=1
	global_load_dword v35, v[106:107], off glc
	s_waitcnt vmcnt(0)
	v_lshrrev_b32_e32 v5, 16, v35
	v_cmp_ne_u16_sdwa s[24:25], v5, v7 src0_sel:BYTE_0 src1_sel:DWORD
	s_or_b64 s[10:11], s[24:25], s[10:11]
	s_andn2_b64 exec, exec, s[10:11]
	s_cbranch_execnz .LBB6680_72
; %bb.73:
	s_or_b64 exec, exec, s[10:11]
.LBB6680_74:
	s_or_b64 exec, exec, s[8:9]
	v_mov_b32_e32 v7, 2
	v_cmp_eq_u16_sdwa s[8:9], v5, v7 src0_sel:BYTE_0 src1_sel:DWORD
	v_lshlrev_b64 v[104:105], v19, -1
	v_and_b32_e32 v7, s9, v105
	v_or_b32_e32 v7, 0x80000000, v7
	v_ffbl_b32_e32 v15, v7
	v_and_b32_e32 v7, 63, v19
	v_cmp_ne_u32_e32 vcc, 63, v7
	v_addc_co_u32_e32 v9, vcc, 0, v19, vcc
	v_and_b32_e32 v29, 0xffff, v35
	v_lshlrev_b32_e32 v9, 2, v9
	ds_bpermute_b32 v11, v9, v29
	v_and_b32_e32 v13, s8, v104
	v_add_u32_e32 v15, 32, v15
	v_ffbl_b32_e32 v13, v13
	v_min_u32_e32 v31, v13, v15
	v_cmp_lt_u32_e32 vcc, v7, v31
	s_and_saveexec_b64 s[8:9], vcc
	s_cbranch_execz .LBB6680_76
; %bb.75:
	s_waitcnt lgkmcnt(0)
	v_lshlrev_b32_e32 v107, 16, v11
	v_mov_b32_e32 v106, 0
	v_ashrrev_i64 v[106:107], 47, v[106:107]
	v_mov_b32_e32 v11, s17
	v_add_co_u32_e32 v13, vcc, s16, v106
	v_bfe_i32 v106, v35, 0, 16
	v_addc_co_u32_e32 v11, vcc, v11, v107, vcc
	v_ashrrev_i32_e32 v107, 31, v106
	v_lshlrev_b64 v[106:107], 1, v[106:107]
	v_add_co_u32_e32 v106, vcc, v13, v106
	v_addc_co_u32_e32 v107, vcc, v11, v107, vcc
	global_load_ushort v35, v[106:107], off
	s_waitcnt vmcnt(0)
	v_and_b32_e32 v29, 0xffff, v35
.LBB6680_76:
	s_or_b64 exec, exec, s[8:9]
	v_cmp_gt_u32_e32 vcc, 62, v7
	s_waitcnt lgkmcnt(0)
	v_cndmask_b32_e64 v11, 0, 1, vcc
	v_lshlrev_b32_e32 v11, 1, v11
	v_add_lshl_u32 v11, v11, v19, 2
	ds_bpermute_b32 v15, v11, v29
	v_add_u32_e32 v13, 2, v7
	v_cmp_le_u32_e32 vcc, v13, v31
	s_and_saveexec_b64 s[8:9], vcc
	s_cbranch_execz .LBB6680_78
; %bb.77:
	s_waitcnt lgkmcnt(0)
	v_lshlrev_b32_e32 v107, 16, v15
	v_mov_b32_e32 v106, 0
	v_ashrrev_i64 v[106:107], 47, v[106:107]
	v_mov_b32_e32 v15, s17
	v_add_co_u32_e32 v17, vcc, s16, v106
	v_bfe_i32 v106, v35, 0, 16
	v_addc_co_u32_e32 v15, vcc, v15, v107, vcc
	v_ashrrev_i32_e32 v107, 31, v106
	v_lshlrev_b64 v[106:107], 1, v[106:107]
	v_add_co_u32_e32 v106, vcc, v17, v106
	v_addc_co_u32_e32 v107, vcc, v15, v107, vcc
	global_load_ushort v35, v[106:107], off
	s_waitcnt vmcnt(0)
	v_and_b32_e32 v29, 0xffff, v35
.LBB6680_78:
	s_or_b64 exec, exec, s[8:9]
	v_cmp_gt_u32_e32 vcc, 60, v7
	s_waitcnt lgkmcnt(0)
	v_cndmask_b32_e64 v15, 0, 1, vcc
	v_lshlrev_b32_e32 v15, 2, v15
	v_add_lshl_u32 v15, v15, v19, 2
	ds_bpermute_b32 v21, v15, v29
	v_add_u32_e32 v17, 4, v7
	v_cmp_le_u32_e32 vcc, v17, v31
	s_and_saveexec_b64 s[8:9], vcc
	s_cbranch_execz .LBB6680_80
; %bb.79:
	s_waitcnt lgkmcnt(0)
	v_lshlrev_b32_e32 v107, 16, v21
	v_mov_b32_e32 v106, 0
	v_ashrrev_i64 v[106:107], 47, v[106:107]
	v_mov_b32_e32 v21, s17
	v_add_co_u32_e32 v23, vcc, s16, v106
	v_bfe_i32 v106, v35, 0, 16
	v_addc_co_u32_e32 v21, vcc, v21, v107, vcc
	v_ashrrev_i32_e32 v107, 31, v106
	v_lshlrev_b64 v[106:107], 1, v[106:107]
	v_add_co_u32_e32 v106, vcc, v23, v106
	v_addc_co_u32_e32 v107, vcc, v21, v107, vcc
	global_load_ushort v35, v[106:107], off
	s_waitcnt vmcnt(0)
	v_and_b32_e32 v29, 0xffff, v35
.LBB6680_80:
	s_or_b64 exec, exec, s[8:9]
	v_cmp_gt_u32_e32 vcc, 56, v7
	s_waitcnt lgkmcnt(0)
	v_cndmask_b32_e64 v21, 0, 1, vcc
	v_lshlrev_b32_e32 v21, 3, v21
	v_add_lshl_u32 v21, v21, v19, 2
	ds_bpermute_b32 v25, v21, v29
	v_add_u32_e32 v23, 8, v7
	v_cmp_le_u32_e32 vcc, v23, v31
	s_and_saveexec_b64 s[8:9], vcc
	s_cbranch_execz .LBB6680_82
; %bb.81:
	s_waitcnt lgkmcnt(0)
	v_lshlrev_b32_e32 v107, 16, v25
	v_mov_b32_e32 v106, 0
	v_ashrrev_i64 v[106:107], 47, v[106:107]
	v_mov_b32_e32 v25, s17
	v_add_co_u32_e32 v27, vcc, s16, v106
	v_bfe_i32 v106, v35, 0, 16
	v_addc_co_u32_e32 v25, vcc, v25, v107, vcc
	v_ashrrev_i32_e32 v107, 31, v106
	v_lshlrev_b64 v[106:107], 1, v[106:107]
	v_add_co_u32_e32 v106, vcc, v27, v106
	v_addc_co_u32_e32 v107, vcc, v25, v107, vcc
	global_load_ushort v35, v[106:107], off
	s_waitcnt vmcnt(0)
	v_and_b32_e32 v29, 0xffff, v35
.LBB6680_82:
	s_or_b64 exec, exec, s[8:9]
	v_cmp_gt_u32_e32 vcc, 48, v7
	s_waitcnt lgkmcnt(0)
	v_cndmask_b32_e64 v25, 0, 1, vcc
	v_lshlrev_b32_e32 v25, 4, v25
	v_add_lshl_u32 v25, v25, v19, 2
	ds_bpermute_b32 v33, v25, v29
	v_add_u32_e32 v27, 16, v7
	v_cmp_le_u32_e32 vcc, v27, v31
	s_and_saveexec_b64 s[8:9], vcc
	s_cbranch_execz .LBB6680_84
; %bb.83:
	s_waitcnt lgkmcnt(0)
	v_lshlrev_b32_e32 v107, 16, v33
	v_mov_b32_e32 v106, 0
	v_ashrrev_i64 v[106:107], 47, v[106:107]
	v_mov_b32_e32 v29, s17
	v_add_co_u32_e32 v33, vcc, s16, v106
	v_bfe_i32 v106, v35, 0, 16
	v_addc_co_u32_e32 v29, vcc, v29, v107, vcc
	v_ashrrev_i32_e32 v107, 31, v106
	v_lshlrev_b64 v[106:107], 1, v[106:107]
	v_add_co_u32_e32 v106, vcc, v33, v106
	v_addc_co_u32_e32 v107, vcc, v29, v107, vcc
	global_load_ushort v35, v[106:107], off
	s_waitcnt vmcnt(0)
	v_and_b32_e32 v29, 0xffff, v35
.LBB6680_84:
	s_or_b64 exec, exec, s[8:9]
	v_cmp_gt_u32_e32 vcc, 32, v7
	s_waitcnt lgkmcnt(0)
	v_cndmask_b32_e64 v33, 0, 1, vcc
	v_lshlrev_b32_e32 v33, 5, v33
	v_add_lshl_u32 v19, v33, v19, 2
	ds_bpermute_b32 v33, v19, v29
	v_add_u32_e32 v29, 32, v7
	v_cmp_le_u32_e32 vcc, v29, v31
	s_mov_b64 s[8:9], -1
                                        ; implicit-def: $vgpr106_vgpr107
	s_and_saveexec_b64 s[10:11], vcc
	s_cbranch_execz .LBB6680_86
; %bb.85:
	s_waitcnt lgkmcnt(0)
	v_lshlrev_b32_e32 v107, 16, v33
	v_mov_b32_e32 v106, 0
	v_ashrrev_i64 v[106:107], 47, v[106:107]
	v_mov_b32_e32 v31, s17
	v_add_co_u32_e32 v33, vcc, s16, v106
	v_bfe_i32 v106, v35, 0, 16
	v_addc_co_u32_e32 v31, vcc, v31, v107, vcc
	v_ashrrev_i32_e32 v107, 31, v106
	v_lshlrev_b64 v[106:107], 1, v[106:107]
	v_add_co_u32_e32 v106, vcc, v33, v106
	v_addc_co_u32_e32 v107, vcc, v31, v107, vcc
	s_xor_b64 s[8:9], exec, -1
                                        ; implicit-def: $vgpr35
.LBB6680_86:
	s_or_b64 exec, exec, s[10:11]
	s_mov_b64 s[10:11], 0
	v_mov_b32_e32 v103, 0
	s_waitcnt lgkmcnt(0)
	v_mov_b32_e32 v33, 2
                                        ; implicit-def: $sgpr24_sgpr25
	s_branch .LBB6680_88
.LBB6680_87:                            ;   in Loop: Header=BB6680_88 Depth=1
	s_or_b64 exec, exec, s[8:9]
	s_waitcnt vmcnt(0)
	v_bfe_i32 v106, v35, 0, 16
	v_ashrrev_i32_e32 v107, 31, v106
	v_bfe_i32 v112, v31, 0, 16
	v_lshlrev_b64 v[106:107], 1, v[106:107]
	v_ashrrev_i32_e32 v113, 31, v112
	v_mov_b32_e32 v35, s17
	v_add_co_u32_e32 v37, vcc, s16, v106
	v_addc_co_u32_e32 v35, vcc, v35, v107, vcc
	v_lshlrev_b64 v[106:107], 1, v[112:113]
	v_add_co_u32_e32 v106, vcc, v37, v106
	v_subrev_u32_e32 v102, 64, v102
	v_addc_co_u32_e32 v107, vcc, v35, v107, vcc
	s_mov_b64 s[8:9], 0
	s_mov_b64 s[10:11], 0
                                        ; implicit-def: $sgpr24_sgpr25
                                        ; implicit-def: $vgpr35
.LBB6680_88:                            ; =>This Loop Header: Depth=1
                                        ;     Child Loop BB6680_94 Depth 2
	s_waitcnt vmcnt(0)
	v_mov_b32_e32 v31, v35
	s_xor_b64 s[28:29], s[8:9], -1
	s_or_b64 s[24:25], s[24:25], exec
                                        ; implicit-def: $sgpr26_sgpr27
                                        ; implicit-def: $vgpr35
	s_and_saveexec_b64 s[34:35], s[28:29]
	s_xor_b64 s[28:29], exec, s[34:35]
	s_cbranch_execz .LBB6680_90
; %bb.89:                               ;   in Loop: Header=BB6680_88 Depth=1
	global_load_ushort v35, v[106:107], off
	s_mov_b64 s[26:27], -1
	s_andn2_b64 s[24:25], s[24:25], exec
                                        ; implicit-def: $sgpr8_sgpr9
.LBB6680_90:                            ;   in Loop: Header=BB6680_88 Depth=1
	s_or_b64 exec, exec, s[28:29]
	s_and_b64 s[28:29], exec, s[24:25]
	s_or_b64 s[10:11], s[28:29], s[10:11]
	s_andn2_b64 s[8:9], s[8:9], exec
	s_and_b64 s[26:27], s[26:27], exec
	s_or_b64 s[8:9], s[8:9], s[26:27]
	s_andn2_b64 exec, exec, s[10:11]
	s_cbranch_execnz .LBB6680_88
; %bb.91:                               ;   in Loop: Header=BB6680_88 Depth=1
	s_or_b64 exec, exec, s[10:11]
	v_cmp_ne_u16_sdwa s[8:9], v5, v33 src0_sel:BYTE_0 src1_sel:DWORD
	v_cndmask_b32_e64 v5, 0, 1, s[8:9]
	;;#ASMSTART
	;;#ASMEND
	v_cmp_ne_u32_e32 vcc, 0, v5
	s_cmp_lg_u64 vcc, exec
	s_cbranch_scc1 .LBB6680_108
; %bb.92:                               ;   in Loop: Header=BB6680_88 Depth=1
	v_lshlrev_b64 v[106:107], 2, v[102:103]
	v_mov_b32_e32 v5, s19
	v_add_co_u32_e32 v106, vcc, s18, v106
	v_addc_co_u32_e32 v107, vcc, v5, v107, vcc
	global_load_dword v35, v[106:107], off glc
	s_waitcnt vmcnt(0)
	v_lshrrev_b32_e32 v5, 16, v35
	v_cmp_eq_u16_sdwa s[10:11], v5, v103 src0_sel:BYTE_0 src1_sel:DWORD
	s_and_saveexec_b64 s[8:9], s[10:11]
	s_cbranch_execz .LBB6680_96
; %bb.93:                               ;   in Loop: Header=BB6680_88 Depth=1
	s_mov_b64 s[10:11], 0
.LBB6680_94:                            ;   Parent Loop BB6680_88 Depth=1
                                        ; =>  This Inner Loop Header: Depth=2
	global_load_dword v35, v[106:107], off glc
	s_waitcnt vmcnt(0)
	v_lshrrev_b32_e32 v5, 16, v35
	v_cmp_ne_u16_sdwa s[24:25], v5, v103 src0_sel:BYTE_0 src1_sel:DWORD
	s_or_b64 s[10:11], s[24:25], s[10:11]
	s_andn2_b64 exec, exec, s[10:11]
	s_cbranch_execnz .LBB6680_94
; %bb.95:                               ;   in Loop: Header=BB6680_88 Depth=1
	s_or_b64 exec, exec, s[10:11]
.LBB6680_96:                            ;   in Loop: Header=BB6680_88 Depth=1
	s_or_b64 exec, exec, s[8:9]
	v_cmp_eq_u16_sdwa s[8:9], v5, v33 src0_sel:BYTE_0 src1_sel:DWORD
	v_and_b32_e32 v37, s9, v105
	s_waitcnt lgkmcnt(0)
	v_and_b32_e32 v39, 0xffff, v35
	v_or_b32_e32 v37, 0x80000000, v37
	ds_bpermute_b32 v41, v9, v39
	v_and_b32_e32 v43, s8, v104
	v_ffbl_b32_e32 v37, v37
	v_add_u32_e32 v37, 32, v37
	v_ffbl_b32_e32 v43, v43
	v_min_u32_e32 v37, v43, v37
	v_cmp_lt_u32_e32 vcc, v7, v37
	s_and_saveexec_b64 s[8:9], vcc
	s_cbranch_execz .LBB6680_98
; %bb.97:                               ;   in Loop: Header=BB6680_88 Depth=1
	s_waitcnt lgkmcnt(0)
	v_lshlrev_b32_e32 v107, 16, v41
	v_mov_b32_e32 v106, v103
	v_ashrrev_i64 v[106:107], 47, v[106:107]
	v_mov_b32_e32 v39, s17
	v_add_co_u32_e32 v41, vcc, s16, v106
	v_bfe_i32 v106, v35, 0, 16
	v_addc_co_u32_e32 v39, vcc, v39, v107, vcc
	v_ashrrev_i32_e32 v107, 31, v106
	v_lshlrev_b64 v[106:107], 1, v[106:107]
	v_add_co_u32_e32 v106, vcc, v41, v106
	v_addc_co_u32_e32 v107, vcc, v39, v107, vcc
	global_load_ushort v35, v[106:107], off
	s_waitcnt vmcnt(0)
	v_and_b32_e32 v39, 0xffff, v35
.LBB6680_98:                            ;   in Loop: Header=BB6680_88 Depth=1
	s_or_b64 exec, exec, s[8:9]
	s_waitcnt lgkmcnt(0)
	ds_bpermute_b32 v41, v11, v39
	v_cmp_le_u32_e32 vcc, v13, v37
	s_and_saveexec_b64 s[8:9], vcc
	s_cbranch_execz .LBB6680_100
; %bb.99:                               ;   in Loop: Header=BB6680_88 Depth=1
	s_waitcnt lgkmcnt(0)
	v_lshlrev_b32_e32 v107, 16, v41
	v_mov_b32_e32 v106, v103
	v_ashrrev_i64 v[106:107], 47, v[106:107]
	v_mov_b32_e32 v39, s17
	v_add_co_u32_e32 v41, vcc, s16, v106
	v_bfe_i32 v106, v35, 0, 16
	v_addc_co_u32_e32 v39, vcc, v39, v107, vcc
	v_ashrrev_i32_e32 v107, 31, v106
	v_lshlrev_b64 v[106:107], 1, v[106:107]
	v_add_co_u32_e32 v106, vcc, v41, v106
	v_addc_co_u32_e32 v107, vcc, v39, v107, vcc
	global_load_ushort v35, v[106:107], off
	s_waitcnt vmcnt(0)
	v_and_b32_e32 v39, 0xffff, v35
.LBB6680_100:                           ;   in Loop: Header=BB6680_88 Depth=1
	s_or_b64 exec, exec, s[8:9]
	s_waitcnt lgkmcnt(0)
	ds_bpermute_b32 v41, v15, v39
	v_cmp_le_u32_e32 vcc, v17, v37
	s_and_saveexec_b64 s[8:9], vcc
	s_cbranch_execz .LBB6680_102
; %bb.101:                              ;   in Loop: Header=BB6680_88 Depth=1
	s_waitcnt lgkmcnt(0)
	v_lshlrev_b32_e32 v107, 16, v41
	v_mov_b32_e32 v106, v103
	v_ashrrev_i64 v[106:107], 47, v[106:107]
	v_mov_b32_e32 v39, s17
	v_add_co_u32_e32 v41, vcc, s16, v106
	v_bfe_i32 v106, v35, 0, 16
	v_addc_co_u32_e32 v39, vcc, v39, v107, vcc
	v_ashrrev_i32_e32 v107, 31, v106
	v_lshlrev_b64 v[106:107], 1, v[106:107]
	v_add_co_u32_e32 v106, vcc, v41, v106
	v_addc_co_u32_e32 v107, vcc, v39, v107, vcc
	global_load_ushort v35, v[106:107], off
	s_waitcnt vmcnt(0)
	v_and_b32_e32 v39, 0xffff, v35
.LBB6680_102:                           ;   in Loop: Header=BB6680_88 Depth=1
	s_or_b64 exec, exec, s[8:9]
	s_waitcnt lgkmcnt(0)
	ds_bpermute_b32 v41, v21, v39
	v_cmp_le_u32_e32 vcc, v23, v37
	s_and_saveexec_b64 s[8:9], vcc
	s_cbranch_execz .LBB6680_104
; %bb.103:                              ;   in Loop: Header=BB6680_88 Depth=1
	s_waitcnt lgkmcnt(0)
	v_lshlrev_b32_e32 v107, 16, v41
	v_mov_b32_e32 v106, v103
	v_ashrrev_i64 v[106:107], 47, v[106:107]
	v_mov_b32_e32 v39, s17
	v_add_co_u32_e32 v41, vcc, s16, v106
	v_bfe_i32 v106, v35, 0, 16
	v_addc_co_u32_e32 v39, vcc, v39, v107, vcc
	v_ashrrev_i32_e32 v107, 31, v106
	v_lshlrev_b64 v[106:107], 1, v[106:107]
	v_add_co_u32_e32 v106, vcc, v41, v106
	v_addc_co_u32_e32 v107, vcc, v39, v107, vcc
	global_load_ushort v35, v[106:107], off
	s_waitcnt vmcnt(0)
	v_and_b32_e32 v39, 0xffff, v35
.LBB6680_104:                           ;   in Loop: Header=BB6680_88 Depth=1
	;; [unrolled: 23-line block ×3, first 2 shown]
	s_or_b64 exec, exec, s[8:9]
	ds_bpermute_b32 v39, v19, v39
	v_cmp_le_u32_e32 vcc, v29, v37
	s_and_saveexec_b64 s[8:9], vcc
	s_cbranch_execz .LBB6680_87
; %bb.107:                              ;   in Loop: Header=BB6680_88 Depth=1
	s_waitcnt lgkmcnt(0)
	v_lshlrev_b32_e32 v107, 16, v39
	v_mov_b32_e32 v106, v103
	v_ashrrev_i64 v[106:107], 47, v[106:107]
	v_mov_b32_e32 v37, s17
	v_add_co_u32_e32 v39, vcc, s16, v106
	v_bfe_i32 v106, v35, 0, 16
	v_addc_co_u32_e32 v37, vcc, v37, v107, vcc
	v_ashrrev_i32_e32 v107, 31, v106
	v_lshlrev_b64 v[106:107], 1, v[106:107]
	v_add_co_u32_e32 v106, vcc, v39, v106
	v_addc_co_u32_e32 v107, vcc, v37, v107, vcc
	global_load_ushort v35, v[106:107], off
	s_branch .LBB6680_87
.LBB6680_108:                           ;   in Loop: Header=BB6680_88 Depth=1
	s_mov_b64 s[8:9], -1
                                        ; implicit-def: $vgpr106_vgpr107
                                        ; implicit-def: $vgpr5
	s_mov_b64 s[10:11], 0
                                        ; implicit-def: $sgpr24_sgpr25
                                        ; implicit-def: $vgpr35
	s_cbranch_execz .LBB6680_88
; %bb.109:
	s_and_saveexec_b64 s[8:9], s[0:1]
	s_cbranch_execz .LBB6680_111
; %bb.110:
	v_bfe_i32 v100, v100, 0, 16
	v_ashrrev_i32_e32 v101, 31, v100
	v_bfe_i32 v102, v31, 0, 16
	v_lshlrev_b64 v[100:101], 1, v[100:101]
	v_ashrrev_i32_e32 v103, 31, v102
	v_mov_b32_e32 v5, s17
	v_add_co_u32_e32 v7, vcc, s16, v100
	v_lshlrev_b64 v[102:103], 1, v[102:103]
	v_addc_co_u32_e32 v5, vcc, v101, v5, vcc
	v_add_co_u32_e32 v100, vcc, v7, v102
	v_addc_co_u32_e32 v101, vcc, v5, v103, vcc
	global_load_ushort v5, v[100:101], off
	s_add_i32 s0, s6, 64
	s_mov_b32 s1, 0
	s_lshl_b64 s[0:1], s[0:1], 2
	s_add_u32 s0, s18, s0
	s_addc_u32 s1, s19, s1
	v_mov_b32_e32 v7, 0
	s_waitcnt vmcnt(0)
	v_or_b32_e32 v5, 0x20000, v5
	global_store_dword v7, v5, s[0:1]
.LBB6680_111:
	s_or_b64 exec, exec, s[8:9]
	v_cmp_eq_u32_e32 vcc, 0, v0
	s_and_b64 exec, exec, vcc
	s_cbranch_execz .LBB6680_113
; %bb.112:
	v_mov_b32_e32 v5, 0
	ds_write_b16 v5, v31
.LBB6680_113:
	s_or_b64 exec, exec, s[2:3]
	v_mov_b32_e32 v100, 0
	s_waitcnt lgkmcnt(0)
	; wave barrier
	s_waitcnt lgkmcnt(0)
	ds_read_u16 v5, v100
	v_cmp_ne_u32_e32 vcc, 0, v0
	s_waitcnt lgkmcnt(0)
	v_readfirstlane_b32 s2, v5
	s_and_saveexec_b64 s[0:1], vcc
	s_cbranch_execz .LBB6680_115
; %bb.114:
	v_lshlrev_b32_e32 v101, 16, v3
	v_ashrrev_i64 v[62:63], 47, v[100:101]
	v_mov_b32_e32 v3, s17
	v_add_co_u32_e32 v5, vcc, s16, v62
	v_addc_co_u32_e32 v3, vcc, v3, v63, vcc
	v_add_co_u32_e32 v62, vcc, v5, v68
	v_addc_co_u32_e32 v63, vcc, v3, v69, vcc
	global_load_ushort v3, v[62:63], off
	s_waitcnt vmcnt(0)
	v_bfe_i32 v62, v3, 0, 16
	v_ashrrev_i32_e32 v63, 31, v62
.LBB6680_115:
	s_or_b64 exec, exec, s[0:1]
	s_sext_i32_i16 s0, s2
	s_ashr_i32 s1, s0, 31
	s_lshl_b64 s[0:1], s[0:1], 1
	s_add_u32 s0, s16, s0
	s_addc_u32 s1, s17, s1
	v_lshlrev_b64 v[62:63], 1, v[62:63]
	v_mov_b32_e32 v3, s1
	v_add_co_u32_e32 v62, vcc, s0, v62
	v_addc_co_u32_e32 v63, vcc, v3, v63, vcc
	global_load_ushort v62, v[62:63], off
	v_mov_b32_e32 v3, s17
	s_waitcnt vmcnt(0)
	v_bfe_i32 v68, v62, 0, 16
	v_ashrrev_i32_e32 v69, 31, v68
	v_lshlrev_b64 v[68:69], 1, v[68:69]
	v_add_co_u32_e32 v5, vcc, s16, v68
	v_addc_co_u32_e32 v3, vcc, v3, v69, vcc
	v_add_co_u32_e32 v50, vcc, v5, v50
	v_addc_co_u32_e32 v51, vcc, v3, v51, vcc
	global_load_ushort v3, v[50:51], off
	v_mov_b32_e32 v5, s17
	s_waitcnt vmcnt(0)
	v_bfe_i32 v50, v3, 0, 16
	v_ashrrev_i32_e32 v51, 31, v50
	v_lshlrev_b64 v[50:51], 1, v[50:51]
	v_add_co_u32_e32 v7, vcc, s16, v50
	v_addc_co_u32_e32 v5, vcc, v5, v51, vcc
	;; [unrolled: 10-line block ×23, first 2 shown]
	v_add_co_u32_e32 v50, vcc, v49, v98
	v_addc_co_u32_e32 v51, vcc, v5, v99, vcc
	global_load_ushort v5, v[50:51], off
	s_load_dwordx8 s[4:11], s[4:5], 0x40
	s_branch .LBB6680_138
.LBB6680_116:
                                        ; implicit-def: $vgpr62
                                        ; implicit-def: $vgpr3
                                        ; implicit-def: $vgpr47
                                        ; implicit-def: $vgpr45
                                        ; implicit-def: $vgpr43
                                        ; implicit-def: $vgpr41
                                        ; implicit-def: $vgpr39
                                        ; implicit-def: $vgpr37
                                        ; implicit-def: $vgpr35
                                        ; implicit-def: $vgpr33
                                        ; implicit-def: $vgpr31
                                        ; implicit-def: $vgpr29
                                        ; implicit-def: $vgpr27
                                        ; implicit-def: $vgpr25
                                        ; implicit-def: $vgpr23
                                        ; implicit-def: $vgpr21
                                        ; implicit-def: $vgpr19
                                        ; implicit-def: $vgpr17
                                        ; implicit-def: $vgpr15
                                        ; implicit-def: $vgpr13
                                        ; implicit-def: $vgpr11
                                        ; implicit-def: $vgpr9
                                        ; implicit-def: $vgpr7
                                        ; implicit-def: $vgpr5
	s_load_dwordx8 s[4:11], s[4:5], 0x40
	s_cbranch_execz .LBB6680_138
; %bb.117:
	s_waitcnt lgkmcnt(0)
	s_cmp_lg_u64 s[8:9], 0
	s_cselect_b64 s[2:3], -1, 0
	v_cmp_eq_u32_e64 s[0:1], 0, v0
	v_cmp_ne_u32_e32 vcc, 0, v0
	s_and_b64 s[0:1], s[0:1], s[2:3]
	v_mov_b32_e32 v62, v2
	s_and_saveexec_b64 s[2:3], s[0:1]
	s_cbranch_execz .LBB6680_119
; %bb.118:
	v_mov_b32_e32 v3, 0
	global_load_ushort v5, v3, s[4:5]
	v_bfe_i32 v2, v2, 0, 16
	v_ashrrev_i32_e32 v3, 31, v2
	v_lshlrev_b64 v[2:3], 1, v[2:3]
	s_waitcnt vmcnt(0)
	v_readfirstlane_b32 s0, v5
	s_sext_i32_i16 s0, s0
	s_ashr_i32 s1, s0, 31
	s_lshl_b64 s[0:1], s[0:1], 1
	s_add_u32 s0, s16, s0
	s_addc_u32 s1, s17, s1
	v_mov_b32_e32 v5, s1
	v_add_co_u32_e64 v2, s[0:1], s0, v2
	v_addc_co_u32_e64 v3, s[0:1], v5, v3, s[0:1]
	global_load_ushort v62, v[2:3], off
.LBB6680_119:
	s_or_b64 exec, exec, s[2:3]
	s_waitcnt vmcnt(0)
	v_bfe_i32 v50, v62, 0, 16
	v_ashrrev_i32_e32 v51, 31, v50
	v_lshlrev_b64 v[52:53], 1, v[50:51]
	v_ashrrev_i32_e32 v49, 31, v48
	v_mov_b32_e32 v2, s17
	v_add_co_u32_e64 v5, s[0:1], s16, v52
	v_addc_co_u32_e64 v7, s[0:1], v2, v53, s[0:1]
	v_lshlrev_b64 v[2:3], 1, v[48:49]
	v_add_co_u32_e64 v48, s[0:1], v5, v2
	v_addc_co_u32_e64 v49, s[0:1], v7, v3, s[0:1]
	global_load_ushort v5, v[48:49], off
	v_ashrrev_i32_e32 v47, 31, v46
	v_mov_b32_e32 v7, s17
	v_lshlrev_b64 v[46:47], 1, v[46:47]
	v_ashrrev_i32_e32 v45, 31, v44
	v_lshlrev_b64 v[44:45], 1, v[44:45]
	v_ashrrev_i32_e32 v43, 31, v42
	;; [unrolled: 2-line block ×19, first 2 shown]
	v_lshlrev_b64 v[8:9], 1, v[8:9]
	v_mov_b32_e32 v54, s17
	s_waitcnt vmcnt(0)
	v_bfe_i32 v48, v5, 0, 16
	v_ashrrev_i32_e32 v49, 31, v48
	v_lshlrev_b64 v[48:49], 1, v[48:49]
	v_add_co_u32_e64 v5, s[0:1], s16, v48
	v_addc_co_u32_e64 v7, s[0:1], v7, v49, s[0:1]
	v_add_co_u32_e64 v48, s[0:1], v5, v46
	v_addc_co_u32_e64 v49, s[0:1], v7, v47, s[0:1]
	global_load_ushort v5, v[48:49], off
	v_mov_b32_e32 v7, s17
	s_waitcnt vmcnt(0)
	v_bfe_i32 v48, v5, 0, 16
	v_ashrrev_i32_e32 v49, 31, v48
	v_lshlrev_b64 v[48:49], 1, v[48:49]
	v_add_co_u32_e64 v5, s[0:1], s16, v48
	v_addc_co_u32_e64 v7, s[0:1], v7, v49, s[0:1]
	v_add_co_u32_e64 v48, s[0:1], v5, v44
	v_addc_co_u32_e64 v49, s[0:1], v7, v45, s[0:1]
	global_load_ushort v5, v[48:49], off
	;; [unrolled: 10-line block ×20, first 2 shown]
	v_ashrrev_i32_e32 v7, 31, v6
	v_lshlrev_b64 v[6:7], 1, v[6:7]
	s_waitcnt vmcnt(0)
	v_bfe_i32 v48, v5, 0, 16
	v_ashrrev_i32_e32 v49, 31, v48
	v_lshlrev_b64 v[48:49], 1, v[48:49]
	v_add_co_u32_e64 v5, s[0:1], s16, v48
	v_addc_co_u32_e64 v49, s[0:1], v54, v49, s[0:1]
	v_add_co_u32_e64 v48, s[0:1], v5, v6
	v_addc_co_u32_e64 v49, s[0:1], v49, v7, s[0:1]
	global_load_ushort v48, v[48:49], off
	v_ashrrev_i32_e32 v5, 31, v4
	v_lshlrev_b64 v[4:5], 1, v[4:5]
	s_waitcnt vmcnt(0)
	v_bfe_i32 v48, v48, 0, 16
	v_ashrrev_i32_e32 v49, 31, v48
	v_lshlrev_b64 v[48:49], 1, v[48:49]
	v_add_co_u32_e64 v48, s[0:1], s16, v48
	v_addc_co_u32_e64 v49, s[0:1], v54, v49, s[0:1]
	v_add_co_u32_e64 v48, s[0:1], v48, v4
	v_addc_co_u32_e64 v49, s[0:1], v49, v5, s[0:1]
	global_load_ushort v49, v[48:49], off
	v_mbcnt_hi_u32_b32 v48, -1, v110
	v_and_b32_e32 v54, 15, v48
	v_cmp_ne_u32_e64 s[0:1], 0, v54
	s_waitcnt vmcnt(0)
	v_and_b32_e32 v55, 0xffff, v49
	s_nop 1
	v_mov_b32_dpp v56, v55 row_shr:1 row_mask:0xf bank_mask:0xf
	s_and_saveexec_b64 s[2:3], s[0:1]
	s_cbranch_execz .LBB6680_121
; %bb.120:
	v_lshlrev_b32_e32 v57, 16, v56
	v_mov_b32_e32 v56, 0
	v_ashrrev_i64 v[56:57], 47, v[56:57]
	v_mov_b32_e32 v55, s17
	v_add_co_u32_e64 v58, s[0:1], s16, v56
	v_bfe_i32 v56, v49, 0, 16
	v_addc_co_u32_e64 v55, s[0:1], v55, v57, s[0:1]
	v_ashrrev_i32_e32 v57, 31, v56
	v_lshlrev_b64 v[56:57], 1, v[56:57]
	v_add_co_u32_e64 v56, s[0:1], v58, v56
	v_addc_co_u32_e64 v57, s[0:1], v55, v57, s[0:1]
	global_load_ushort v49, v[56:57], off
	s_waitcnt vmcnt(0)
	v_and_b32_e32 v55, 0xffff, v49
.LBB6680_121:
	s_or_b64 exec, exec, s[2:3]
	s_nop 0
	v_mov_b32_dpp v56, v55 row_shr:2 row_mask:0xf bank_mask:0xf
	v_cmp_lt_u32_e64 s[0:1], 1, v54
	s_and_saveexec_b64 s[2:3], s[0:1]
	s_cbranch_execz .LBB6680_123
; %bb.122:
	v_lshlrev_b32_e32 v57, 16, v56
	v_mov_b32_e32 v56, 0
	v_ashrrev_i64 v[56:57], 47, v[56:57]
	v_mov_b32_e32 v55, s17
	v_add_co_u32_e64 v58, s[0:1], s16, v56
	v_bfe_i32 v56, v49, 0, 16
	v_addc_co_u32_e64 v55, s[0:1], v55, v57, s[0:1]
	v_ashrrev_i32_e32 v57, 31, v56
	v_lshlrev_b64 v[56:57], 1, v[56:57]
	v_add_co_u32_e64 v56, s[0:1], v58, v56
	v_addc_co_u32_e64 v57, s[0:1], v55, v57, s[0:1]
	global_load_ushort v49, v[56:57], off
	s_waitcnt vmcnt(0)
	v_and_b32_e32 v55, 0xffff, v49
.LBB6680_123:
	s_or_b64 exec, exec, s[2:3]
	s_nop 0
	v_mov_b32_dpp v56, v55 row_shr:4 row_mask:0xf bank_mask:0xf
	v_cmp_lt_u32_e64 s[0:1], 3, v54
	;; [unrolled: 22-line block ×3, first 2 shown]
	s_and_saveexec_b64 s[2:3], s[0:1]
	s_cbranch_execz .LBB6680_127
; %bb.126:
	v_lshlrev_b32_e32 v55, 16, v56
	v_mov_b32_e32 v54, 0
	v_ashrrev_i64 v[54:55], 47, v[54:55]
	v_mov_b32_e32 v56, s17
	v_add_co_u32_e64 v57, s[0:1], s16, v54
	v_bfe_i32 v54, v49, 0, 16
	v_addc_co_u32_e64 v56, s[0:1], v56, v55, s[0:1]
	v_ashrrev_i32_e32 v55, 31, v54
	v_lshlrev_b64 v[54:55], 1, v[54:55]
	v_add_co_u32_e64 v54, s[0:1], v57, v54
	v_addc_co_u32_e64 v55, s[0:1], v56, v55, s[0:1]
	global_load_ushort v49, v[54:55], off
	s_waitcnt vmcnt(0)
	v_and_b32_e32 v55, 0xffff, v49
.LBB6680_127:
	s_or_b64 exec, exec, s[2:3]
	v_and_b32_e32 v56, 16, v48
	v_mov_b32_dpp v54, v55 row_bcast:15 row_mask:0xf bank_mask:0xf
	v_cmp_ne_u32_e64 s[0:1], 0, v56
	s_and_saveexec_b64 s[2:3], s[0:1]
	s_cbranch_execz .LBB6680_129
; %bb.128:
	v_lshlrev_b32_e32 v55, 16, v54
	v_mov_b32_e32 v54, 0
	v_ashrrev_i64 v[54:55], 47, v[54:55]
	v_mov_b32_e32 v56, s17
	v_add_co_u32_e64 v57, s[0:1], s16, v54
	v_bfe_i32 v54, v49, 0, 16
	v_addc_co_u32_e64 v56, s[0:1], v56, v55, s[0:1]
	v_ashrrev_i32_e32 v55, 31, v54
	v_lshlrev_b64 v[54:55], 1, v[54:55]
	v_add_co_u32_e64 v54, s[0:1], v57, v54
	v_addc_co_u32_e64 v55, s[0:1], v56, v55, s[0:1]
	global_load_ushort v49, v[54:55], off
	s_waitcnt vmcnt(0)
	v_and_b32_e32 v55, 0xffff, v49
.LBB6680_129:
	s_or_b64 exec, exec, s[2:3]
	s_nop 0
	v_mov_b32_dpp v54, v55 row_bcast:31 row_mask:0xf bank_mask:0xf
	v_cmp_lt_u32_e64 s[0:1], 31, v48
	s_and_saveexec_b64 s[2:3], s[0:1]
	s_cbranch_execz .LBB6680_131
; %bb.130:
	v_lshlrev_b32_e32 v55, 16, v54
	v_mov_b32_e32 v54, 0
	v_ashrrev_i64 v[54:55], 47, v[54:55]
	v_mov_b32_e32 v56, s17
	v_add_co_u32_e64 v57, s[0:1], s16, v54
	v_bfe_i32 v54, v49, 0, 16
	v_addc_co_u32_e64 v56, s[0:1], v56, v55, s[0:1]
	v_ashrrev_i32_e32 v55, 31, v54
	v_lshlrev_b64 v[54:55], 1, v[54:55]
	v_add_co_u32_e64 v54, s[0:1], v57, v54
	v_addc_co_u32_e64 v55, s[0:1], v56, v55, s[0:1]
	global_load_ushort v49, v[54:55], off
.LBB6680_131:
	s_or_b64 exec, exec, s[2:3]
	v_cmp_eq_u32_e64 s[0:1], 63, v0
	s_and_saveexec_b64 s[2:3], s[0:1]
	s_cbranch_execz .LBB6680_133
; %bb.132:
	v_mov_b32_e32 v54, 0
	s_waitcnt vmcnt(0)
	ds_write_b16 v54, v49
.LBB6680_133:
	s_or_b64 exec, exec, s[2:3]
	v_add_u32_e32 v54, -1, v48
	v_and_b32_e32 v55, 64, v48
	v_cmp_lt_i32_e64 s[2:3], v54, v55
	v_cndmask_b32_e64 v48, v54, v48, s[2:3]
	s_waitcnt vmcnt(0)
	v_and_b32_e32 v49, 0xffff, v49
	v_lshlrev_b32_e32 v48, 2, v48
	ds_bpermute_b32 v48, v48, v49
	s_waitcnt lgkmcnt(0)
	; wave barrier
	s_waitcnt lgkmcnt(0)
	s_and_saveexec_b64 s[2:3], vcc
	s_cbranch_execz .LBB6680_135
; %bb.134:
	v_lshlrev_b32_e32 v49, 16, v48
	v_mov_b32_e32 v48, 0
	v_ashrrev_i64 v[48:49], 47, v[48:49]
	v_mov_b32_e32 v50, s17
	v_add_co_u32_e32 v48, vcc, s16, v48
	v_addc_co_u32_e32 v49, vcc, v50, v49, vcc
	v_add_co_u32_e32 v48, vcc, v48, v52
	v_addc_co_u32_e32 v49, vcc, v49, v53, vcc
	global_load_ushort v62, v[48:49], off
	;;#ASMSTART
	;;#ASMEND
	s_waitcnt vmcnt(0)
	v_bfe_i32 v50, v62, 0, 16
	v_ashrrev_i32_e32 v51, 31, v50
.LBB6680_135:
	s_or_b64 exec, exec, s[2:3]
	v_lshlrev_b64 v[48:49], 1, v[50:51]
	v_mov_b32_e32 v50, s17
	v_add_co_u32_e32 v48, vcc, s16, v48
	v_addc_co_u32_e32 v49, vcc, v50, v49, vcc
	v_add_co_u32_e32 v2, vcc, v48, v2
	v_addc_co_u32_e32 v3, vcc, v49, v3, vcc
	global_load_ushort v3, v[2:3], off
	v_mov_b32_e32 v2, s17
	s_waitcnt vmcnt(0)
	v_bfe_i32 v48, v3, 0, 16
	v_ashrrev_i32_e32 v49, 31, v48
	v_lshlrev_b64 v[48:49], 1, v[48:49]
	v_add_co_u32_e32 v48, vcc, s16, v48
	v_addc_co_u32_e32 v2, vcc, v2, v49, vcc
	v_add_co_u32_e32 v46, vcc, v48, v46
	v_addc_co_u32_e32 v47, vcc, v2, v47, vcc
	global_load_ushort v47, v[46:47], off
	v_mov_b32_e32 v2, s17
	s_waitcnt vmcnt(0)
	v_bfe_i32 v48, v47, 0, 16
	v_ashrrev_i32_e32 v49, 31, v48
	v_lshlrev_b64 v[48:49], 1, v[48:49]
	v_add_co_u32_e32 v46, vcc, s16, v48
	v_addc_co_u32_e32 v2, vcc, v2, v49, vcc
	v_add_co_u32_e32 v44, vcc, v46, v44
	v_addc_co_u32_e32 v45, vcc, v2, v45, vcc
	global_load_ushort v45, v[44:45], off
	v_mov_b32_e32 v2, s17
	s_waitcnt vmcnt(0)
	v_bfe_i32 v48, v45, 0, 16
	v_ashrrev_i32_e32 v49, 31, v48
	v_lshlrev_b64 v[48:49], 1, v[48:49]
	v_add_co_u32_e32 v44, vcc, s16, v48
	v_addc_co_u32_e32 v2, vcc, v2, v49, vcc
	v_add_co_u32_e32 v42, vcc, v44, v42
	v_addc_co_u32_e32 v43, vcc, v2, v43, vcc
	global_load_ushort v43, v[42:43], off
	v_mov_b32_e32 v2, s17
	s_waitcnt vmcnt(0)
	v_bfe_i32 v48, v43, 0, 16
	v_ashrrev_i32_e32 v49, 31, v48
	v_lshlrev_b64 v[48:49], 1, v[48:49]
	v_add_co_u32_e32 v42, vcc, s16, v48
	v_addc_co_u32_e32 v2, vcc, v2, v49, vcc
	v_add_co_u32_e32 v40, vcc, v42, v40
	v_addc_co_u32_e32 v41, vcc, v2, v41, vcc
	global_load_ushort v41, v[40:41], off
	v_mov_b32_e32 v2, s17
	s_waitcnt vmcnt(0)
	v_bfe_i32 v48, v41, 0, 16
	v_ashrrev_i32_e32 v49, 31, v48
	v_lshlrev_b64 v[48:49], 1, v[48:49]
	v_add_co_u32_e32 v40, vcc, s16, v48
	v_addc_co_u32_e32 v2, vcc, v2, v49, vcc
	v_add_co_u32_e32 v38, vcc, v40, v38
	v_addc_co_u32_e32 v39, vcc, v2, v39, vcc
	global_load_ushort v39, v[38:39], off
	v_mov_b32_e32 v2, s17
	s_waitcnt vmcnt(0)
	v_bfe_i32 v48, v39, 0, 16
	v_ashrrev_i32_e32 v49, 31, v48
	v_lshlrev_b64 v[48:49], 1, v[48:49]
	v_add_co_u32_e32 v38, vcc, s16, v48
	v_addc_co_u32_e32 v2, vcc, v2, v49, vcc
	v_add_co_u32_e32 v36, vcc, v38, v36
	v_addc_co_u32_e32 v37, vcc, v2, v37, vcc
	global_load_ushort v37, v[36:37], off
	v_mov_b32_e32 v2, s17
	s_waitcnt vmcnt(0)
	v_bfe_i32 v48, v37, 0, 16
	v_ashrrev_i32_e32 v49, 31, v48
	v_lshlrev_b64 v[48:49], 1, v[48:49]
	v_add_co_u32_e32 v36, vcc, s16, v48
	v_addc_co_u32_e32 v2, vcc, v2, v49, vcc
	v_add_co_u32_e32 v34, vcc, v36, v34
	v_addc_co_u32_e32 v35, vcc, v2, v35, vcc
	global_load_ushort v35, v[34:35], off
	v_mov_b32_e32 v2, s17
	s_waitcnt vmcnt(0)
	v_bfe_i32 v48, v35, 0, 16
	v_ashrrev_i32_e32 v49, 31, v48
	v_lshlrev_b64 v[48:49], 1, v[48:49]
	v_add_co_u32_e32 v34, vcc, s16, v48
	v_addc_co_u32_e32 v2, vcc, v2, v49, vcc
	v_add_co_u32_e32 v32, vcc, v34, v32
	v_addc_co_u32_e32 v33, vcc, v2, v33, vcc
	global_load_ushort v33, v[32:33], off
	v_mov_b32_e32 v2, s17
	s_waitcnt vmcnt(0)
	v_bfe_i32 v48, v33, 0, 16
	v_ashrrev_i32_e32 v49, 31, v48
	v_lshlrev_b64 v[48:49], 1, v[48:49]
	v_add_co_u32_e32 v32, vcc, s16, v48
	v_addc_co_u32_e32 v2, vcc, v2, v49, vcc
	v_add_co_u32_e32 v30, vcc, v32, v30
	v_addc_co_u32_e32 v31, vcc, v2, v31, vcc
	global_load_ushort v31, v[30:31], off
	v_mov_b32_e32 v2, s17
	s_waitcnt vmcnt(0)
	v_bfe_i32 v48, v31, 0, 16
	v_ashrrev_i32_e32 v49, 31, v48
	v_lshlrev_b64 v[48:49], 1, v[48:49]
	v_add_co_u32_e32 v30, vcc, s16, v48
	v_addc_co_u32_e32 v2, vcc, v2, v49, vcc
	v_add_co_u32_e32 v28, vcc, v30, v28
	v_addc_co_u32_e32 v29, vcc, v2, v29, vcc
	global_load_ushort v29, v[28:29], off
	v_mov_b32_e32 v2, s17
	s_waitcnt vmcnt(0)
	v_bfe_i32 v48, v29, 0, 16
	v_ashrrev_i32_e32 v49, 31, v48
	v_lshlrev_b64 v[48:49], 1, v[48:49]
	v_add_co_u32_e32 v28, vcc, s16, v48
	v_addc_co_u32_e32 v2, vcc, v2, v49, vcc
	v_add_co_u32_e32 v26, vcc, v28, v26
	v_addc_co_u32_e32 v27, vcc, v2, v27, vcc
	global_load_ushort v27, v[26:27], off
	v_mov_b32_e32 v2, s17
	s_waitcnt vmcnt(0)
	v_bfe_i32 v48, v27, 0, 16
	v_ashrrev_i32_e32 v49, 31, v48
	v_lshlrev_b64 v[48:49], 1, v[48:49]
	v_add_co_u32_e32 v26, vcc, s16, v48
	v_addc_co_u32_e32 v2, vcc, v2, v49, vcc
	v_add_co_u32_e32 v24, vcc, v26, v24
	v_addc_co_u32_e32 v25, vcc, v2, v25, vcc
	global_load_ushort v25, v[24:25], off
	v_mov_b32_e32 v2, s17
	s_waitcnt vmcnt(0)
	v_bfe_i32 v48, v25, 0, 16
	v_ashrrev_i32_e32 v49, 31, v48
	v_lshlrev_b64 v[48:49], 1, v[48:49]
	v_add_co_u32_e32 v24, vcc, s16, v48
	v_addc_co_u32_e32 v2, vcc, v2, v49, vcc
	v_add_co_u32_e32 v22, vcc, v24, v22
	v_addc_co_u32_e32 v23, vcc, v2, v23, vcc
	global_load_ushort v23, v[22:23], off
	v_mov_b32_e32 v2, s17
	s_waitcnt vmcnt(0)
	v_bfe_i32 v48, v23, 0, 16
	v_ashrrev_i32_e32 v49, 31, v48
	v_lshlrev_b64 v[48:49], 1, v[48:49]
	v_add_co_u32_e32 v22, vcc, s16, v48
	v_addc_co_u32_e32 v2, vcc, v2, v49, vcc
	v_add_co_u32_e32 v20, vcc, v22, v20
	v_addc_co_u32_e32 v21, vcc, v2, v21, vcc
	global_load_ushort v21, v[20:21], off
	v_mov_b32_e32 v2, s17
	s_waitcnt vmcnt(0)
	v_bfe_i32 v48, v21, 0, 16
	v_ashrrev_i32_e32 v49, 31, v48
	v_lshlrev_b64 v[48:49], 1, v[48:49]
	v_add_co_u32_e32 v20, vcc, s16, v48
	v_addc_co_u32_e32 v2, vcc, v2, v49, vcc
	v_add_co_u32_e32 v18, vcc, v20, v18
	v_addc_co_u32_e32 v19, vcc, v2, v19, vcc
	global_load_ushort v19, v[18:19], off
	v_mov_b32_e32 v2, s17
	s_waitcnt vmcnt(0)
	v_bfe_i32 v48, v19, 0, 16
	v_ashrrev_i32_e32 v49, 31, v48
	v_lshlrev_b64 v[48:49], 1, v[48:49]
	v_add_co_u32_e32 v18, vcc, s16, v48
	v_addc_co_u32_e32 v2, vcc, v2, v49, vcc
	v_add_co_u32_e32 v16, vcc, v18, v16
	v_addc_co_u32_e32 v17, vcc, v2, v17, vcc
	global_load_ushort v17, v[16:17], off
	v_mov_b32_e32 v2, s17
	s_waitcnt vmcnt(0)
	v_bfe_i32 v48, v17, 0, 16
	v_ashrrev_i32_e32 v49, 31, v48
	v_lshlrev_b64 v[48:49], 1, v[48:49]
	v_add_co_u32_e32 v16, vcc, s16, v48
	v_addc_co_u32_e32 v2, vcc, v2, v49, vcc
	v_add_co_u32_e32 v14, vcc, v16, v14
	v_addc_co_u32_e32 v15, vcc, v2, v15, vcc
	global_load_ushort v15, v[14:15], off
	v_mov_b32_e32 v2, s17
	s_waitcnt vmcnt(0)
	v_bfe_i32 v48, v15, 0, 16
	v_ashrrev_i32_e32 v49, 31, v48
	v_lshlrev_b64 v[48:49], 1, v[48:49]
	v_add_co_u32_e32 v14, vcc, s16, v48
	v_addc_co_u32_e32 v2, vcc, v2, v49, vcc
	v_add_co_u32_e32 v12, vcc, v14, v12
	v_addc_co_u32_e32 v13, vcc, v2, v13, vcc
	global_load_ushort v13, v[12:13], off
	v_mov_b32_e32 v2, s17
	s_waitcnt vmcnt(0)
	v_bfe_i32 v48, v13, 0, 16
	v_ashrrev_i32_e32 v49, 31, v48
	v_lshlrev_b64 v[48:49], 1, v[48:49]
	v_add_co_u32_e32 v12, vcc, s16, v48
	v_addc_co_u32_e32 v2, vcc, v2, v49, vcc
	v_add_co_u32_e32 v10, vcc, v12, v10
	v_addc_co_u32_e32 v11, vcc, v2, v11, vcc
	global_load_ushort v11, v[10:11], off
	v_mov_b32_e32 v2, s17
	s_waitcnt vmcnt(0)
	v_bfe_i32 v48, v11, 0, 16
	v_ashrrev_i32_e32 v49, 31, v48
	v_lshlrev_b64 v[48:49], 1, v[48:49]
	v_add_co_u32_e32 v10, vcc, s16, v48
	v_addc_co_u32_e32 v2, vcc, v2, v49, vcc
	v_add_co_u32_e32 v8, vcc, v10, v8
	v_addc_co_u32_e32 v9, vcc, v2, v9, vcc
	global_load_ushort v9, v[8:9], off
	v_mov_b32_e32 v2, s17
	s_waitcnt vmcnt(0)
	v_bfe_i32 v48, v9, 0, 16
	v_ashrrev_i32_e32 v49, 31, v48
	v_lshlrev_b64 v[48:49], 1, v[48:49]
	v_add_co_u32_e32 v8, vcc, s16, v48
	v_addc_co_u32_e32 v2, vcc, v2, v49, vcc
	v_add_co_u32_e32 v6, vcc, v8, v6
	v_addc_co_u32_e32 v7, vcc, v2, v7, vcc
	global_load_ushort v7, v[6:7], off
	v_mov_b32_e32 v2, s17
	s_waitcnt vmcnt(0)
	v_bfe_i32 v48, v7, 0, 16
	v_ashrrev_i32_e32 v49, 31, v48
	v_lshlrev_b64 v[48:49], 1, v[48:49]
	v_add_co_u32_e32 v6, vcc, s16, v48
	v_addc_co_u32_e32 v2, vcc, v2, v49, vcc
	v_add_co_u32_e32 v4, vcc, v6, v4
	v_addc_co_u32_e32 v5, vcc, v2, v5, vcc
	global_load_ushort v5, v[4:5], off
	s_and_saveexec_b64 s[2:3], s[0:1]
	s_cbranch_execz .LBB6680_137
; %bb.136:
	s_mov_b32 s0, 0x20000
	v_mov_b32_e32 v2, 0
	s_waitcnt vmcnt(0)
	v_or_b32_sdwa v4, v5, s0 dst_sel:DWORD dst_unused:UNUSED_PAD src0_sel:WORD_0 src1_sel:DWORD
	global_store_dword v2, v4, s[18:19] offset:256
.LBB6680_137:
	s_or_b64 exec, exec, s[2:3]
.LBB6680_138:
	s_add_u32 s0, s12, s20
	s_addc_u32 s1, s13, s21
	s_add_u32 s2, s0, s22
	s_addc_u32 s3, s1, s23
	s_mov_b64 s[0:1], -1
	s_and_b64 vcc, exec, s[14:15]
	s_waitcnt lgkmcnt(0)
	; wave barrier
	s_waitcnt lgkmcnt(0)
	s_cbranch_vccz .LBB6680_140
; %bb.139:
	s_mov_b32 s0, 0x5040100
	v_perm_b32 v51, v37, v39, s0
	v_perm_b32 v50, v41, v43, s0
	;; [unrolled: 1-line block ×4, first 2 shown]
	ds_write_b128 v1, v[48:51]
	v_perm_b32 v51, v21, v23, s0
	v_perm_b32 v50, v25, v27, s0
	;; [unrolled: 1-line block ×4, first 2 shown]
	ds_write_b128 v1, v[48:51] offset:16
	s_waitcnt vmcnt(0)
	v_perm_b32 v51, v5, v7, s0
	v_perm_b32 v50, v9, v11, s0
	;; [unrolled: 1-line block ×4, first 2 shown]
	ds_write_b128 v1, v[48:51] offset:32
	s_waitcnt lgkmcnt(0)
	; wave barrier
	s_waitcnt lgkmcnt(0)
	ds_read_u16 v2, v108
	ds_read_u16 v4, v108 offset:128
	ds_read_u16 v6, v108 offset:256
	;; [unrolled: 1-line block ×23, first 2 shown]
	v_mov_b32_e32 v49, s3
	v_add_co_u32_e32 v48, vcc, s2, v108
	v_addc_co_u32_e32 v49, vcc, 0, v49, vcc
	s_waitcnt lgkmcnt(14)
	flat_store_short v[48:49], v2
	flat_store_short v[48:49], v4 offset:128
	flat_store_short v[48:49], v6 offset:256
	;; [unrolled: 1-line block ×9, first 2 shown]
	s_waitcnt lgkmcnt(0)
	flat_store_short v[48:49], v22 offset:1280
	flat_store_short v[48:49], v24 offset:1408
	;; [unrolled: 1-line block ×14, first 2 shown]
	s_mov_b64 s[0:1], 0
.LBB6680_140:
	s_andn2_b64 vcc, exec, s[0:1]
	s_cbranch_vccnz .LBB6680_197
; %bb.141:
	s_mov_b32 s0, 0x5040100
	v_perm_b32 v39, v37, v39, s0
	v_perm_b32 v38, v41, v43, s0
	;; [unrolled: 1-line block ×8, first 2 shown]
	s_waitcnt vmcnt(0)
	v_perm_b32 v5, v5, v7, s0
	v_perm_b32 v4, v9, v11, s0
	;; [unrolled: 1-line block ×4, first 2 shown]
	ds_write_b128 v1, v[36:39]
	ds_write_b128 v1, v[20:23] offset:16
	ds_write_b128 v1, v[2:5] offset:32
	s_waitcnt lgkmcnt(0)
	; wave barrier
	s_waitcnt lgkmcnt(0)
	ds_read_u16 v5, v108
	ds_read_u16 v4, v108 offset:128
	ds_read_u16 v7, v108 offset:256
	;; [unrolled: 1-line block ×23, first 2 shown]
	v_mov_b32_e32 v3, s3
	v_add_co_u32_e32 v2, vcc, s2, v108
	v_addc_co_u32_e32 v3, vcc, 0, v3, vcc
	v_mov_b32_e32 v1, 0
	v_cmp_gt_u32_e32 vcc, s30, v0
	s_and_saveexec_b64 s[0:1], vcc
	s_cbranch_execz .LBB6680_143
; %bb.142:
	s_waitcnt lgkmcnt(14)
	flat_store_short v[2:3], v5
.LBB6680_143:
	s_or_b64 exec, exec, s[0:1]
	v_or_b32_e32 v28, 64, v0
	v_cmp_gt_u32_e32 vcc, s30, v28
	s_and_saveexec_b64 s[0:1], vcc
	s_cbranch_execz .LBB6680_145
; %bb.144:
	s_waitcnt lgkmcnt(0)
	flat_store_short v[2:3], v4 offset:128
.LBB6680_145:
	s_or_b64 exec, exec, s[0:1]
	v_or_b32_e32 v28, 0x80, v0
	v_cmp_gt_u32_e32 vcc, s30, v28
	s_and_saveexec_b64 s[0:1], vcc
	s_cbranch_execz .LBB6680_147
; %bb.146:
	s_waitcnt lgkmcnt(0)
	flat_store_short v[2:3], v7 offset:256
.LBB6680_147:
	;; [unrolled: 9-line block ×23, first 2 shown]
	s_or_b64 exec, exec, s[0:1]
	v_cmp_lt_u64_e64 s[0:1], s[10:11], 2
	s_and_b64 vcc, exec, s[0:1]
	s_cbranch_vccnz .LBB6680_197
; %bb.190:
	s_add_u32 s0, s30, -1
	s_addc_u32 s1, s31, -1
	s_add_u32 s2, 0, 0xaaaa0000
	s_addc_u32 s3, 0, 42
	s_add_i32 s3, s3, 0xaaaaa80
	s_mul_hi_u32 s9, s2, 0xffffffe8
	s_sub_i32 s9, s9, s2
	s_mul_i32 s10, s3, 0xffffffe8
	s_mul_i32 s4, s2, 0xffffffe8
	s_add_i32 s9, s9, s10
	s_mul_hi_u32 s5, s3, s4
	s_mul_i32 s8, s3, s4
	s_mul_i32 s11, s2, s9
	s_mul_hi_u32 s4, s2, s4
	s_mul_hi_u32 s10, s2, s9
	s_add_u32 s4, s4, s11
	s_addc_u32 s10, 0, s10
	s_add_u32 s4, s4, s8
	s_mul_hi_u32 s11, s3, s9
	s_addc_u32 s4, s10, s5
	s_addc_u32 s5, s11, 0
	s_mul_i32 s8, s3, s9
	s_add_u32 s4, s4, s8
	v_mov_b32_e32 v2, s4
	s_addc_u32 s5, 0, s5
	v_add_co_u32_e32 v2, vcc, s2, v2
	s_cmp_lg_u64 vcc, 0
	s_addc_u32 s2, s3, s5
	v_readfirstlane_b32 s5, v2
	s_mul_i32 s4, s0, s2
	s_mul_hi_u32 s8, s0, s5
	s_mul_hi_u32 s3, s0, s2
	s_add_u32 s4, s8, s4
	s_addc_u32 s3, 0, s3
	s_mul_hi_u32 s9, s1, s5
	s_mul_i32 s5, s1, s5
	s_add_u32 s4, s4, s5
	s_mul_hi_u32 s8, s1, s2
	s_addc_u32 s3, s3, s9
	s_addc_u32 s4, s8, 0
	s_mul_i32 s2, s1, s2
	s_add_u32 s2, s3, s2
	s_addc_u32 s3, 0, s4
	s_add_u32 s4, s2, 1
	s_addc_u32 s5, s3, 0
	s_add_u32 s8, s2, 2
	s_mul_i32 s10, s3, 24
	s_mul_hi_u32 s11, s2, 24
	s_addc_u32 s9, s3, 0
	s_add_i32 s11, s11, s10
	s_mul_i32 s10, s2, 24
	v_mov_b32_e32 v2, s10
	v_sub_co_u32_e32 v2, vcc, s0, v2
	s_cmp_lg_u64 vcc, 0
	s_subb_u32 s10, s1, s11
	v_subrev_co_u32_e32 v3, vcc, 24, v2
	s_cmp_lg_u64 vcc, 0
	s_subb_u32 s11, s10, 0
	v_readfirstlane_b32 s12, v3
	s_cmp_gt_u32 s12, 23
	s_cselect_b32 s12, -1, 0
	s_cmp_eq_u32 s11, 0
	s_cselect_b32 s11, s12, -1
	s_cmp_lg_u32 s11, 0
	s_cselect_b32 s4, s8, s4
	v_readfirstlane_b32 s8, v2
	s_cselect_b32 s5, s9, s5
	s_cmp_gt_u32 s8, 23
	s_cselect_b32 s8, -1, 0
	s_cmp_eq_u32 s10, 0
	s_cselect_b32 s8, s8, -1
	s_cmp_lg_u32 s8, 0
	s_cselect_b32 s3, s5, s3
	s_cselect_b32 s2, s4, s2
	v_cmp_eq_u64_e32 vcc, s[2:3], v[0:1]
	s_and_saveexec_b64 s[2:3], vcc
	s_cbranch_execz .LBB6680_197
; %bb.191:
	v_mul_hi_u32_u24_e32 v1, 24, v0
	v_mov_b32_e32 v2, s1
	v_sub_co_u32_e32 v0, vcc, s0, v109
	v_subb_co_u32_e32 v1, vcc, v2, v1, vcc
	v_cmp_lt_i64_e32 vcc, 11, v[0:1]
	s_mov_b64 s[0:1], 0
	s_mov_b64 s[10:11], 0
	;; [unrolled: 1-line block ×4, first 2 shown]
	s_and_saveexec_b64 s[2:3], vcc
	s_xor_b64 s[2:3], exec, s[2:3]
	s_cbranch_execnz .LBB6680_198
; %bb.192:
	s_andn2_saveexec_b64 s[2:3], s[2:3]
	s_cbranch_execnz .LBB6680_243
.LBB6680_193:
	s_or_b64 exec, exec, s[2:3]
	s_and_saveexec_b64 s[2:3], s[10:11]
	s_cbranch_execnz .LBB6680_260
.LBB6680_194:
	s_or_b64 exec, exec, s[2:3]
	s_and_saveexec_b64 s[2:3], s[8:9]
	s_cbranch_execnz .LBB6680_261
.LBB6680_195:
	s_or_b64 exec, exec, s[2:3]
	s_and_saveexec_b64 s[2:3], s[4:5]
	s_xor_b64 s[2:3], exec, s[2:3]
	s_cbranch_execnz .LBB6680_262
.LBB6680_196:
	s_or_b64 exec, exec, s[2:3]
	s_and_b64 exec, exec, s[0:1]
	s_cbranch_execnz .LBB6680_263
.LBB6680_197:
	s_endpgm
.LBB6680_198:
	v_cmp_lt_i64_e32 vcc, 17, v[0:1]
	s_and_saveexec_b64 s[12:13], vcc
	s_xor_b64 s[12:13], exec, s[12:13]
	s_cbranch_execz .LBB6680_220
; %bb.199:
	v_cmp_lt_i64_e32 vcc, 20, v[0:1]
                                        ; implicit-def: $vgpr10
	s_and_saveexec_b64 s[14:15], vcc
	s_xor_b64 s[14:15], exec, s[14:15]
	s_cbranch_execz .LBB6680_209
; %bb.200:
	v_cmp_lt_i64_e32 vcc, 21, v[0:1]
	s_mov_b64 s[16:17], 0
                                        ; implicit-def: $vgpr10
	s_and_saveexec_b64 s[4:5], vcc
	s_xor_b64 s[4:5], exec, s[4:5]
	s_cbranch_execz .LBB6680_206
; %bb.201:
	v_cmp_lt_i64_e32 vcc, 22, v[0:1]
	s_and_saveexec_b64 s[16:17], vcc
	s_xor_b64 s[16:17], exec, s[16:17]
	s_cbranch_execz .LBB6680_203
; %bb.202:
	v_mov_b32_e32 v2, 0
	s_waitcnt lgkmcnt(0)
	global_store_short v2, v27, s[6:7]
                                        ; implicit-def: $vgpr26
.LBB6680_203:
	s_or_saveexec_b64 s[16:17], s[16:17]
	s_mov_b64 s[18:19], 0
	s_xor_b64 exec, exec, s[16:17]
; %bb.204:
	s_mov_b64 s[18:19], exec
; %bb.205:
	s_or_b64 exec, exec, s[16:17]
	s_and_b64 s[16:17], s[18:19], exec
	s_waitcnt lgkmcnt(0)
	v_mov_b32_e32 v10, v26
                                        ; implicit-def: $vgpr11
.LBB6680_206:
	s_andn2_saveexec_b64 s[4:5], s[4:5]
; %bb.207:
	s_mov_b64 s[8:9], exec
                                        ; implicit-def: $vgpr10
; %bb.208:
	s_or_b64 exec, exec, s[4:5]
	s_and_b64 s[4:5], s[16:17], exec
	s_and_b64 s[8:9], s[8:9], exec
                                        ; implicit-def: $vgpr24
                                        ; implicit-def: $vgpr12
                                        ; implicit-def: $vgpr21
.LBB6680_209:
	s_andn2_saveexec_b64 s[14:15], s[14:15]
	s_cbranch_execz .LBB6680_219
; %bb.210:
	v_cmp_lt_i64_e32 vcc, 18, v[0:1]
	s_mov_b64 s[16:17], 0
	s_and_saveexec_b64 s[10:11], vcc
	s_xor_b64 s[10:11], exec, s[10:11]
	s_cbranch_execz .LBB6680_216
; %bb.211:
	v_cmp_lt_i64_e32 vcc, 19, v[0:1]
	s_and_saveexec_b64 s[18:19], vcc
	s_xor_b64 s[18:19], exec, s[18:19]
; %bb.212:
	s_mov_b64 s[16:17], exec
                                        ; implicit-def: $vgpr21
; %bb.213:
	s_andn2_saveexec_b64 s[18:19], s[18:19]
	s_cbranch_execz .LBB6680_215
; %bb.214:
	v_mov_b32_e32 v2, 0
	s_waitcnt lgkmcnt(0)
	global_store_short v2, v21, s[6:7]
                                        ; implicit-def: $vgpr12
.LBB6680_215:
	s_or_b64 exec, exec, s[18:19]
	s_and_b64 s[16:17], s[16:17], exec
                                        ; implicit-def: $vgpr24
.LBB6680_216:
	s_andn2_saveexec_b64 s[10:11], s[10:11]
	s_cbranch_execz .LBB6680_218
; %bb.217:
	v_mov_b32_e32 v2, 0
	s_waitcnt lgkmcnt(0)
	global_store_short v2, v24, s[6:7]
                                        ; implicit-def: $vgpr12
.LBB6680_218:
	s_or_b64 exec, exec, s[10:11]
	s_and_b64 s[10:11], s[16:17], exec
                                        ; implicit-def: $vgpr10
                                        ; implicit-def: $vgpr11
.LBB6680_219:
	s_or_b64 exec, exec, s[14:15]
	s_and_b64 s[4:5], s[4:5], exec
	s_and_b64 s[8:9], s[8:9], exec
	s_and_b64 s[10:11], s[10:11], exec
                                        ; implicit-def: $vgpr18
                                        ; implicit-def: $vgpr13
                                        ; implicit-def: $vgpr14
                                        ; implicit-def: $vgpr22
                                        ; implicit-def: $vgpr25
.LBB6680_220:
	s_andn2_saveexec_b64 s[12:13], s[12:13]
	s_cbranch_execz .LBB6680_242
; %bb.221:
	v_cmp_lt_i64_e32 vcc, 14, v[0:1]
	s_mov_b64 s[14:15], s[4:5]
	s_and_saveexec_b64 s[16:17], vcc
	s_xor_b64 s[16:17], exec, s[16:17]
	s_cbranch_execz .LBB6680_231
; %bb.222:
	v_cmp_lt_i64_e32 vcc, 15, v[0:1]
	s_and_saveexec_b64 s[14:15], vcc
	s_xor_b64 s[14:15], exec, s[14:15]
	s_cbranch_execz .LBB6680_228
; %bb.223:
	v_cmp_lt_i64_e32 vcc, 16, v[0:1]
	s_and_saveexec_b64 s[18:19], vcc
	s_xor_b64 s[18:19], exec, s[18:19]
	s_cbranch_execz .LBB6680_225
; %bb.224:
	v_mov_b32_e32 v2, 0
	s_waitcnt lgkmcnt(0)
	global_store_short v2, v25, s[6:7]
                                        ; implicit-def: $vgpr22
.LBB6680_225:
	s_andn2_saveexec_b64 s[18:19], s[18:19]
	s_cbranch_execz .LBB6680_227
; %bb.226:
	v_mov_b32_e32 v2, 0
	s_waitcnt lgkmcnt(0)
	global_store_short v2, v22, s[6:7]
.LBB6680_227:
	s_or_b64 exec, exec, s[18:19]
                                        ; implicit-def: $vgpr10
.LBB6680_228:
	s_or_saveexec_b64 s[14:15], s[14:15]
	s_mov_b64 s[18:19], s[4:5]
	s_xor_b64 exec, exec, s[14:15]
; %bb.229:
	s_or_b64 s[18:19], s[4:5], exec
; %bb.230:
	s_or_b64 exec, exec, s[14:15]
	s_andn2_b64 s[14:15], s[4:5], exec
	s_and_b64 s[18:19], s[18:19], exec
	s_or_b64 s[14:15], s[14:15], s[18:19]
                                        ; implicit-def: $vgpr18
                                        ; implicit-def: $vgpr13
                                        ; implicit-def: $vgpr14
.LBB6680_231:
	s_or_saveexec_b64 s[16:17], s[16:17]
	s_mov_b64 s[18:19], s[8:9]
                                        ; implicit-def: $vgpr11
	s_xor_b64 exec, exec, s[16:17]
	s_cbranch_execz .LBB6680_241
; %bb.232:
	v_cmp_lt_i64_e32 vcc, 12, v[0:1]
	s_mov_b64 s[20:21], s[8:9]
	s_mov_b64 s[22:23], s[14:15]
                                        ; implicit-def: $vgpr10
                                        ; implicit-def: $vgpr11
	s_and_saveexec_b64 s[18:19], vcc
	s_xor_b64 s[18:19], exec, s[18:19]
	s_cbranch_execz .LBB6680_238
; %bb.233:
	v_cmp_lt_i64_e32 vcc, 13, v[0:1]
	s_mov_b64 s[20:21], s[14:15]
	s_and_saveexec_b64 s[22:23], vcc
	s_xor_b64 s[22:23], exec, s[22:23]
; %bb.234:
	s_or_b64 s[20:21], s[14:15], exec
                                        ; implicit-def: $vgpr13
; %bb.235:
	s_or_saveexec_b64 s[22:23], s[22:23]
	s_mov_b64 s[24:25], s[8:9]
	s_xor_b64 exec, exec, s[22:23]
; %bb.236:
	s_or_b64 s[24:25], s[8:9], exec
                                        ; implicit-def: $vgpr14
; %bb.237:
	s_or_b64 exec, exec, s[22:23]
	s_andn2_b64 s[22:23], s[14:15], exec
	s_and_b64 s[20:21], s[20:21], exec
	s_or_b64 s[22:23], s[22:23], s[20:21]
	s_andn2_b64 s[20:21], s[8:9], exec
	s_and_b64 s[24:25], s[24:25], exec
	s_or_b64 s[20:21], s[20:21], s[24:25]
	s_waitcnt lgkmcnt(0)
	v_mov_b32_e32 v10, v14
	v_mov_b32_e32 v11, v13
                                        ; implicit-def: $vgpr18
.LBB6680_238:
	s_andn2_saveexec_b64 s[18:19], s[18:19]
	s_cbranch_execz .LBB6680_240
; %bb.239:
	s_or_b64 s[20:21], s[20:21], exec
                                        ; implicit-def: $vgpr10
	s_waitcnt lgkmcnt(0)
	v_mov_b32_e32 v11, v18
.LBB6680_240:
	s_or_b64 exec, exec, s[18:19]
	s_andn2_b64 s[14:15], s[14:15], exec
	s_and_b64 s[18:19], s[22:23], exec
	s_or_b64 s[14:15], s[14:15], s[18:19]
	s_andn2_b64 s[18:19], s[8:9], exec
	s_and_b64 s[20:21], s[20:21], exec
	s_or_b64 s[18:19], s[18:19], s[20:21]
.LBB6680_241:
	s_or_b64 exec, exec, s[16:17]
	s_andn2_b64 s[4:5], s[4:5], exec
	s_and_b64 s[14:15], s[14:15], exec
	s_or_b64 s[4:5], s[4:5], s[14:15]
	s_andn2_b64 s[8:9], s[8:9], exec
	s_and_b64 s[14:15], s[18:19], exec
	s_or_b64 s[8:9], s[8:9], s[14:15]
                                        ; implicit-def: $vgpr12
.LBB6680_242:
	s_or_b64 exec, exec, s[12:13]
	s_and_b64 s[4:5], s[4:5], exec
	s_and_b64 s[8:9], s[8:9], exec
	;; [unrolled: 1-line block ×3, first 2 shown]
                                        ; implicit-def: $vgpr17
                                        ; implicit-def: $vgpr15
                                        ; implicit-def: $vgpr16
                                        ; implicit-def: $vgpr23
                                        ; implicit-def: $vgpr20
                                        ; implicit-def: $vgpr19
	s_andn2_saveexec_b64 s[2:3], s[2:3]
	s_cbranch_execz .LBB6680_193
.LBB6680_243:
	v_cmp_lt_i64_e32 vcc, 5, v[0:1]
	s_mov_b64 s[14:15], -1
	s_mov_b64 s[12:13], s[10:11]
	s_mov_b64 s[16:17], s[8:9]
	;; [unrolled: 1-line block ×3, first 2 shown]
                                        ; implicit-def: $vgpr10
                                        ; implicit-def: $vgpr11
                                        ; implicit-def: $vgpr12
	s_and_saveexec_b64 s[0:1], vcc
	s_cbranch_execz .LBB6680_259
; %bb.244:
	v_cmp_lt_i64_e32 vcc, 8, v[0:1]
	s_mov_b64 s[12:13], s[10:11]
                                        ; implicit-def: $vgpr12
	s_and_saveexec_b64 s[14:15], vcc
	s_xor_b64 s[14:15], exec, s[14:15]
	s_cbranch_execz .LBB6680_254
; %bb.245:
	v_cmp_lt_i64_e32 vcc, 9, v[0:1]
	s_and_saveexec_b64 s[12:13], vcc
	s_xor_b64 s[12:13], exec, s[12:13]
	s_cbranch_execz .LBB6680_251
; %bb.246:
	v_cmp_lt_i64_e32 vcc, 10, v[0:1]
	s_and_saveexec_b64 s[16:17], vcc
	s_xor_b64 s[16:17], exec, s[16:17]
; %bb.247:
                                        ; implicit-def: $vgpr20
; %bb.248:
	s_andn2_saveexec_b64 s[16:17], s[16:17]
	s_cbranch_execz .LBB6680_250
; %bb.249:
	s_waitcnt lgkmcnt(0)
	v_mov_b32_e32 v19, v20
.LBB6680_250:
	s_or_b64 exec, exec, s[16:17]
                                        ; implicit-def: $vgpr23
.LBB6680_251:
	s_andn2_saveexec_b64 s[12:13], s[12:13]
	s_cbranch_execz .LBB6680_253
; %bb.252:
	s_waitcnt lgkmcnt(0)
	v_mov_b32_e32 v19, v23
.LBB6680_253:
	s_or_b64 exec, exec, s[12:13]
	s_or_b64 s[12:13], s[10:11], exec
	s_waitcnt lgkmcnt(0)
	v_mov_b32_e32 v12, v19
                                        ; implicit-def: $vgpr17
                                        ; implicit-def: $vgpr15
                                        ; implicit-def: $vgpr16
.LBB6680_254:
	s_or_saveexec_b64 s[14:15], s[14:15]
	s_mov_b64 s[16:17], s[8:9]
	s_mov_b64 s[20:21], s[4:5]
                                        ; implicit-def: $vgpr10
                                        ; implicit-def: $vgpr11
	s_xor_b64 exec, exec, s[14:15]
	s_cbranch_execz .LBB6680_258
; %bb.255:
	v_cmp_lt_i64_e32 vcc, 6, v[0:1]
	s_mov_b64 s[20:21], -1
	s_mov_b64 s[18:19], s[12:13]
	s_mov_b64 s[16:17], s[8:9]
	s_and_saveexec_b64 s[22:23], vcc
; %bb.256:
	v_cmp_lt_i64_e32 vcc, 7, v[0:1]
	s_andn2_b64 s[18:19], s[12:13], exec
	s_and_b64 s[24:25], vcc, exec
	s_xor_b64 s[20:21], exec, -1
	s_or_b64 s[16:17], s[8:9], exec
	s_or_b64 s[18:19], s[18:19], s[24:25]
                                        ; implicit-def: $vgpr17
; %bb.257:
	s_or_b64 exec, exec, s[22:23]
	s_andn2_b64 s[22:23], s[4:5], exec
	s_and_b64 s[20:21], s[20:21], exec
	s_or_b64 s[20:21], s[22:23], s[20:21]
	s_andn2_b64 s[22:23], s[8:9], exec
	s_and_b64 s[16:17], s[16:17], exec
	s_andn2_b64 s[12:13], s[12:13], exec
	s_and_b64 s[18:19], s[18:19], exec
	s_or_b64 s[16:17], s[22:23], s[16:17]
	s_or_b64 s[12:13], s[12:13], s[18:19]
	s_waitcnt lgkmcnt(0)
	v_mov_b32_e32 v10, v17
	v_mov_b32_e32 v11, v15
	;; [unrolled: 1-line block ×3, first 2 shown]
.LBB6680_258:
	s_or_b64 exec, exec, s[14:15]
	s_andn2_b64 s[18:19], s[4:5], exec
	s_and_b64 s[20:21], s[20:21], exec
	s_or_b64 s[18:19], s[18:19], s[20:21]
	s_andn2_b64 s[20:21], s[8:9], exec
	s_and_b64 s[16:17], s[16:17], exec
	s_or_b64 s[16:17], s[20:21], s[16:17]
	s_andn2_b64 s[20:21], s[10:11], exec
	s_and_b64 s[12:13], s[12:13], exec
	s_xor_b64 s[14:15], exec, -1
	s_or_b64 s[12:13], s[20:21], s[12:13]
.LBB6680_259:
	s_or_b64 exec, exec, s[0:1]
	s_and_b64 s[0:1], s[14:15], exec
	s_andn2_b64 s[4:5], s[4:5], exec
	s_and_b64 s[14:15], s[18:19], exec
	s_or_b64 s[4:5], s[4:5], s[14:15]
	s_andn2_b64 s[8:9], s[8:9], exec
	s_and_b64 s[14:15], s[16:17], exec
	s_andn2_b64 s[10:11], s[10:11], exec
	s_and_b64 s[12:13], s[12:13], exec
	s_or_b64 s[8:9], s[8:9], s[14:15]
	s_or_b64 s[10:11], s[10:11], s[12:13]
	s_or_b64 exec, exec, s[2:3]
	s_and_saveexec_b64 s[2:3], s[10:11]
	s_cbranch_execz .LBB6680_194
.LBB6680_260:
	v_mov_b32_e32 v2, 0
	s_andn2_b64 s[8:9], s[8:9], exec
	s_waitcnt lgkmcnt(0)
	global_store_short v2, v12, s[6:7]
                                        ; implicit-def: $vgpr10
                                        ; implicit-def: $vgpr11
	s_or_b64 exec, exec, s[2:3]
	s_and_saveexec_b64 s[2:3], s[8:9]
	s_cbranch_execz .LBB6680_195
.LBB6680_261:
	v_mov_b32_e32 v2, 0
	s_waitcnt lgkmcnt(0)
	global_store_short v2, v11, s[6:7]
                                        ; implicit-def: $vgpr10
	s_or_b64 exec, exec, s[2:3]
	s_and_saveexec_b64 s[2:3], s[4:5]
	s_xor_b64 s[2:3], exec, s[2:3]
	s_cbranch_execz .LBB6680_196
.LBB6680_262:
	v_mov_b32_e32 v2, 0
	s_waitcnt lgkmcnt(0)
	global_store_short v2, v10, s[6:7]
	s_or_b64 exec, exec, s[2:3]
	s_and_b64 exec, exec, s[0:1]
	s_cbranch_execz .LBB6680_197
.LBB6680_263:
	v_cmp_lt_i64_e32 vcc, 2, v[0:1]
	s_and_saveexec_b64 s[0:1], vcc
	s_xor_b64 s[0:1], exec, s[0:1]
	s_cbranch_execz .LBB6680_273
; %bb.264:
	v_cmp_lt_i64_e32 vcc, 3, v[0:1]
	s_and_saveexec_b64 s[2:3], vcc
	s_xor_b64 s[2:3], exec, s[2:3]
	s_cbranch_execz .LBB6680_270
; %bb.265:
	;; [unrolled: 5-line block ×3, first 2 shown]
	v_mov_b32_e32 v0, 0
	s_waitcnt lgkmcnt(0)
	global_store_short v0, v9, s[6:7]
                                        ; implicit-def: $vgpr6
.LBB6680_267:
	s_andn2_saveexec_b64 s[4:5], s[4:5]
	s_cbranch_execz .LBB6680_269
; %bb.268:
	v_mov_b32_e32 v0, 0
	s_waitcnt lgkmcnt(0)
	global_store_short v0, v6, s[6:7]
.LBB6680_269:
	s_or_b64 exec, exec, s[4:5]
                                        ; implicit-def: $vgpr8
.LBB6680_270:
	s_andn2_saveexec_b64 s[2:3], s[2:3]
	s_cbranch_execz .LBB6680_272
; %bb.271:
	v_mov_b32_e32 v0, 0
	s_waitcnt lgkmcnt(0)
	global_store_short v0, v8, s[6:7]
.LBB6680_272:
	s_or_b64 exec, exec, s[2:3]
                                        ; implicit-def: $vgpr0_vgpr1
                                        ; implicit-def: $vgpr7
                                        ; implicit-def: $vgpr4
                                        ; implicit-def: $vgpr5
.LBB6680_273:
	s_andn2_saveexec_b64 s[0:1], s[0:1]
	s_cbranch_execz .LBB6680_197
; %bb.274:
	v_cmp_lt_i64_e32 vcc, 1, v[0:1]
	s_and_saveexec_b64 s[0:1], vcc
	s_xor_b64 s[0:1], exec, s[0:1]
	s_cbranch_execz .LBB6680_276
; %bb.275:
	v_mov_b32_e32 v0, 0
	s_waitcnt lgkmcnt(0)
	global_store_short v0, v7, s[6:7]
                                        ; implicit-def: $vgpr4
                                        ; implicit-def: $vgpr0_vgpr1
                                        ; implicit-def: $vgpr5
.LBB6680_276:
	s_andn2_saveexec_b64 s[0:1], s[0:1]
	s_cbranch_execz .LBB6680_197
; %bb.277:
	v_cmp_ne_u64_e32 vcc, 1, v[0:1]
	s_and_saveexec_b64 s[0:1], vcc
	s_xor_b64 s[0:1], exec, s[0:1]
	s_cbranch_execz .LBB6680_279
; %bb.278:
	v_mov_b32_e32 v0, 0
	s_waitcnt lgkmcnt(0)
	global_store_short v0, v5, s[6:7]
                                        ; implicit-def: $vgpr4
.LBB6680_279:
	s_andn2_saveexec_b64 s[0:1], s[0:1]
	s_cbranch_execz .LBB6680_197
; %bb.280:
	v_mov_b32_e32 v0, 0
	s_waitcnt lgkmcnt(0)
	global_store_short v0, v4, s[6:7]
	s_endpgm
	.section	.rodata,"a",@progbits
	.p2align	6, 0x0
	.amdhsa_kernel _ZN7rocprim17ROCPRIM_400000_NS6detail17trampoline_kernelINS0_14default_configENS1_20scan_config_selectorIsEEZZNS1_9scan_implILNS1_25lookback_scan_determinismE0ELb0ELb0ES3_N6thrust23THRUST_200600_302600_NS6detail15normal_iteratorINS9_10device_ptrIsEEEESE_s9plus_mod3IsEsEEDaPvRmT3_T4_T5_mT6_P12ihipStream_tbENKUlT_T0_E_clISt17integral_constantIbLb0EESU_EEDaSP_SQ_EUlSP_E_NS1_11comp_targetILNS1_3genE4ELNS1_11target_archE910ELNS1_3gpuE8ELNS1_3repE0EEENS1_30default_config_static_selectorELNS0_4arch9wavefront6targetE1EEEvT1_
		.amdhsa_group_segment_fixed_size 3072
		.amdhsa_private_segment_fixed_size 0
		.amdhsa_kernarg_size 104
		.amdhsa_user_sgpr_count 6
		.amdhsa_user_sgpr_private_segment_buffer 1
		.amdhsa_user_sgpr_dispatch_ptr 0
		.amdhsa_user_sgpr_queue_ptr 0
		.amdhsa_user_sgpr_kernarg_segment_ptr 1
		.amdhsa_user_sgpr_dispatch_id 0
		.amdhsa_user_sgpr_flat_scratch_init 0
		.amdhsa_user_sgpr_kernarg_preload_length 0
		.amdhsa_user_sgpr_kernarg_preload_offset 0
		.amdhsa_user_sgpr_private_segment_size 0
		.amdhsa_uses_dynamic_stack 0
		.amdhsa_system_sgpr_private_segment_wavefront_offset 0
		.amdhsa_system_sgpr_workgroup_id_x 1
		.amdhsa_system_sgpr_workgroup_id_y 0
		.amdhsa_system_sgpr_workgroup_id_z 0
		.amdhsa_system_sgpr_workgroup_info 0
		.amdhsa_system_vgpr_workitem_id 0
		.amdhsa_next_free_vgpr 114
		.amdhsa_next_free_sgpr 36
		.amdhsa_accum_offset 116
		.amdhsa_reserve_vcc 1
		.amdhsa_reserve_flat_scratch 0
		.amdhsa_float_round_mode_32 0
		.amdhsa_float_round_mode_16_64 0
		.amdhsa_float_denorm_mode_32 3
		.amdhsa_float_denorm_mode_16_64 3
		.amdhsa_dx10_clamp 1
		.amdhsa_ieee_mode 1
		.amdhsa_fp16_overflow 0
		.amdhsa_tg_split 0
		.amdhsa_exception_fp_ieee_invalid_op 0
		.amdhsa_exception_fp_denorm_src 0
		.amdhsa_exception_fp_ieee_div_zero 0
		.amdhsa_exception_fp_ieee_overflow 0
		.amdhsa_exception_fp_ieee_underflow 0
		.amdhsa_exception_fp_ieee_inexact 0
		.amdhsa_exception_int_div_zero 0
	.end_amdhsa_kernel
	.section	.text._ZN7rocprim17ROCPRIM_400000_NS6detail17trampoline_kernelINS0_14default_configENS1_20scan_config_selectorIsEEZZNS1_9scan_implILNS1_25lookback_scan_determinismE0ELb0ELb0ES3_N6thrust23THRUST_200600_302600_NS6detail15normal_iteratorINS9_10device_ptrIsEEEESE_s9plus_mod3IsEsEEDaPvRmT3_T4_T5_mT6_P12ihipStream_tbENKUlT_T0_E_clISt17integral_constantIbLb0EESU_EEDaSP_SQ_EUlSP_E_NS1_11comp_targetILNS1_3genE4ELNS1_11target_archE910ELNS1_3gpuE8ELNS1_3repE0EEENS1_30default_config_static_selectorELNS0_4arch9wavefront6targetE1EEEvT1_,"axG",@progbits,_ZN7rocprim17ROCPRIM_400000_NS6detail17trampoline_kernelINS0_14default_configENS1_20scan_config_selectorIsEEZZNS1_9scan_implILNS1_25lookback_scan_determinismE0ELb0ELb0ES3_N6thrust23THRUST_200600_302600_NS6detail15normal_iteratorINS9_10device_ptrIsEEEESE_s9plus_mod3IsEsEEDaPvRmT3_T4_T5_mT6_P12ihipStream_tbENKUlT_T0_E_clISt17integral_constantIbLb0EESU_EEDaSP_SQ_EUlSP_E_NS1_11comp_targetILNS1_3genE4ELNS1_11target_archE910ELNS1_3gpuE8ELNS1_3repE0EEENS1_30default_config_static_selectorELNS0_4arch9wavefront6targetE1EEEvT1_,comdat
.Lfunc_end6680:
	.size	_ZN7rocprim17ROCPRIM_400000_NS6detail17trampoline_kernelINS0_14default_configENS1_20scan_config_selectorIsEEZZNS1_9scan_implILNS1_25lookback_scan_determinismE0ELb0ELb0ES3_N6thrust23THRUST_200600_302600_NS6detail15normal_iteratorINS9_10device_ptrIsEEEESE_s9plus_mod3IsEsEEDaPvRmT3_T4_T5_mT6_P12ihipStream_tbENKUlT_T0_E_clISt17integral_constantIbLb0EESU_EEDaSP_SQ_EUlSP_E_NS1_11comp_targetILNS1_3genE4ELNS1_11target_archE910ELNS1_3gpuE8ELNS1_3repE0EEENS1_30default_config_static_selectorELNS0_4arch9wavefront6targetE1EEEvT1_, .Lfunc_end6680-_ZN7rocprim17ROCPRIM_400000_NS6detail17trampoline_kernelINS0_14default_configENS1_20scan_config_selectorIsEEZZNS1_9scan_implILNS1_25lookback_scan_determinismE0ELb0ELb0ES3_N6thrust23THRUST_200600_302600_NS6detail15normal_iteratorINS9_10device_ptrIsEEEESE_s9plus_mod3IsEsEEDaPvRmT3_T4_T5_mT6_P12ihipStream_tbENKUlT_T0_E_clISt17integral_constantIbLb0EESU_EEDaSP_SQ_EUlSP_E_NS1_11comp_targetILNS1_3genE4ELNS1_11target_archE910ELNS1_3gpuE8ELNS1_3repE0EEENS1_30default_config_static_selectorELNS0_4arch9wavefront6targetE1EEEvT1_
                                        ; -- End function
	.section	.AMDGPU.csdata,"",@progbits
; Kernel info:
; codeLenInByte = 15576
; NumSgprs: 40
; NumVgprs: 114
; NumAgprs: 0
; TotalNumVgprs: 114
; ScratchSize: 0
; MemoryBound: 0
; FloatMode: 240
; IeeeMode: 1
; LDSByteSize: 3072 bytes/workgroup (compile time only)
; SGPRBlocks: 4
; VGPRBlocks: 14
; NumSGPRsForWavesPerEU: 40
; NumVGPRsForWavesPerEU: 114
; AccumOffset: 116
; Occupancy: 4
; WaveLimiterHint : 1
; COMPUTE_PGM_RSRC2:SCRATCH_EN: 0
; COMPUTE_PGM_RSRC2:USER_SGPR: 6
; COMPUTE_PGM_RSRC2:TRAP_HANDLER: 0
; COMPUTE_PGM_RSRC2:TGID_X_EN: 1
; COMPUTE_PGM_RSRC2:TGID_Y_EN: 0
; COMPUTE_PGM_RSRC2:TGID_Z_EN: 0
; COMPUTE_PGM_RSRC2:TIDIG_COMP_CNT: 0
; COMPUTE_PGM_RSRC3_GFX90A:ACCUM_OFFSET: 28
; COMPUTE_PGM_RSRC3_GFX90A:TG_SPLIT: 0
	.section	.text._ZN7rocprim17ROCPRIM_400000_NS6detail17trampoline_kernelINS0_14default_configENS1_20scan_config_selectorIsEEZZNS1_9scan_implILNS1_25lookback_scan_determinismE0ELb0ELb0ES3_N6thrust23THRUST_200600_302600_NS6detail15normal_iteratorINS9_10device_ptrIsEEEESE_s9plus_mod3IsEsEEDaPvRmT3_T4_T5_mT6_P12ihipStream_tbENKUlT_T0_E_clISt17integral_constantIbLb0EESU_EEDaSP_SQ_EUlSP_E_NS1_11comp_targetILNS1_3genE3ELNS1_11target_archE908ELNS1_3gpuE7ELNS1_3repE0EEENS1_30default_config_static_selectorELNS0_4arch9wavefront6targetE1EEEvT1_,"axG",@progbits,_ZN7rocprim17ROCPRIM_400000_NS6detail17trampoline_kernelINS0_14default_configENS1_20scan_config_selectorIsEEZZNS1_9scan_implILNS1_25lookback_scan_determinismE0ELb0ELb0ES3_N6thrust23THRUST_200600_302600_NS6detail15normal_iteratorINS9_10device_ptrIsEEEESE_s9plus_mod3IsEsEEDaPvRmT3_T4_T5_mT6_P12ihipStream_tbENKUlT_T0_E_clISt17integral_constantIbLb0EESU_EEDaSP_SQ_EUlSP_E_NS1_11comp_targetILNS1_3genE3ELNS1_11target_archE908ELNS1_3gpuE7ELNS1_3repE0EEENS1_30default_config_static_selectorELNS0_4arch9wavefront6targetE1EEEvT1_,comdat
	.protected	_ZN7rocprim17ROCPRIM_400000_NS6detail17trampoline_kernelINS0_14default_configENS1_20scan_config_selectorIsEEZZNS1_9scan_implILNS1_25lookback_scan_determinismE0ELb0ELb0ES3_N6thrust23THRUST_200600_302600_NS6detail15normal_iteratorINS9_10device_ptrIsEEEESE_s9plus_mod3IsEsEEDaPvRmT3_T4_T5_mT6_P12ihipStream_tbENKUlT_T0_E_clISt17integral_constantIbLb0EESU_EEDaSP_SQ_EUlSP_E_NS1_11comp_targetILNS1_3genE3ELNS1_11target_archE908ELNS1_3gpuE7ELNS1_3repE0EEENS1_30default_config_static_selectorELNS0_4arch9wavefront6targetE1EEEvT1_ ; -- Begin function _ZN7rocprim17ROCPRIM_400000_NS6detail17trampoline_kernelINS0_14default_configENS1_20scan_config_selectorIsEEZZNS1_9scan_implILNS1_25lookback_scan_determinismE0ELb0ELb0ES3_N6thrust23THRUST_200600_302600_NS6detail15normal_iteratorINS9_10device_ptrIsEEEESE_s9plus_mod3IsEsEEDaPvRmT3_T4_T5_mT6_P12ihipStream_tbENKUlT_T0_E_clISt17integral_constantIbLb0EESU_EEDaSP_SQ_EUlSP_E_NS1_11comp_targetILNS1_3genE3ELNS1_11target_archE908ELNS1_3gpuE7ELNS1_3repE0EEENS1_30default_config_static_selectorELNS0_4arch9wavefront6targetE1EEEvT1_
	.globl	_ZN7rocprim17ROCPRIM_400000_NS6detail17trampoline_kernelINS0_14default_configENS1_20scan_config_selectorIsEEZZNS1_9scan_implILNS1_25lookback_scan_determinismE0ELb0ELb0ES3_N6thrust23THRUST_200600_302600_NS6detail15normal_iteratorINS9_10device_ptrIsEEEESE_s9plus_mod3IsEsEEDaPvRmT3_T4_T5_mT6_P12ihipStream_tbENKUlT_T0_E_clISt17integral_constantIbLb0EESU_EEDaSP_SQ_EUlSP_E_NS1_11comp_targetILNS1_3genE3ELNS1_11target_archE908ELNS1_3gpuE7ELNS1_3repE0EEENS1_30default_config_static_selectorELNS0_4arch9wavefront6targetE1EEEvT1_
	.p2align	8
	.type	_ZN7rocprim17ROCPRIM_400000_NS6detail17trampoline_kernelINS0_14default_configENS1_20scan_config_selectorIsEEZZNS1_9scan_implILNS1_25lookback_scan_determinismE0ELb0ELb0ES3_N6thrust23THRUST_200600_302600_NS6detail15normal_iteratorINS9_10device_ptrIsEEEESE_s9plus_mod3IsEsEEDaPvRmT3_T4_T5_mT6_P12ihipStream_tbENKUlT_T0_E_clISt17integral_constantIbLb0EESU_EEDaSP_SQ_EUlSP_E_NS1_11comp_targetILNS1_3genE3ELNS1_11target_archE908ELNS1_3gpuE7ELNS1_3repE0EEENS1_30default_config_static_selectorELNS0_4arch9wavefront6targetE1EEEvT1_,@function
_ZN7rocprim17ROCPRIM_400000_NS6detail17trampoline_kernelINS0_14default_configENS1_20scan_config_selectorIsEEZZNS1_9scan_implILNS1_25lookback_scan_determinismE0ELb0ELb0ES3_N6thrust23THRUST_200600_302600_NS6detail15normal_iteratorINS9_10device_ptrIsEEEESE_s9plus_mod3IsEsEEDaPvRmT3_T4_T5_mT6_P12ihipStream_tbENKUlT_T0_E_clISt17integral_constantIbLb0EESU_EEDaSP_SQ_EUlSP_E_NS1_11comp_targetILNS1_3genE3ELNS1_11target_archE908ELNS1_3gpuE7ELNS1_3repE0EEENS1_30default_config_static_selectorELNS0_4arch9wavefront6targetE1EEEvT1_: ; @_ZN7rocprim17ROCPRIM_400000_NS6detail17trampoline_kernelINS0_14default_configENS1_20scan_config_selectorIsEEZZNS1_9scan_implILNS1_25lookback_scan_determinismE0ELb0ELb0ES3_N6thrust23THRUST_200600_302600_NS6detail15normal_iteratorINS9_10device_ptrIsEEEESE_s9plus_mod3IsEsEEDaPvRmT3_T4_T5_mT6_P12ihipStream_tbENKUlT_T0_E_clISt17integral_constantIbLb0EESU_EEDaSP_SQ_EUlSP_E_NS1_11comp_targetILNS1_3genE3ELNS1_11target_archE908ELNS1_3gpuE7ELNS1_3repE0EEENS1_30default_config_static_selectorELNS0_4arch9wavefront6targetE1EEEvT1_
; %bb.0:
	.section	.rodata,"a",@progbits
	.p2align	6, 0x0
	.amdhsa_kernel _ZN7rocprim17ROCPRIM_400000_NS6detail17trampoline_kernelINS0_14default_configENS1_20scan_config_selectorIsEEZZNS1_9scan_implILNS1_25lookback_scan_determinismE0ELb0ELb0ES3_N6thrust23THRUST_200600_302600_NS6detail15normal_iteratorINS9_10device_ptrIsEEEESE_s9plus_mod3IsEsEEDaPvRmT3_T4_T5_mT6_P12ihipStream_tbENKUlT_T0_E_clISt17integral_constantIbLb0EESU_EEDaSP_SQ_EUlSP_E_NS1_11comp_targetILNS1_3genE3ELNS1_11target_archE908ELNS1_3gpuE7ELNS1_3repE0EEENS1_30default_config_static_selectorELNS0_4arch9wavefront6targetE1EEEvT1_
		.amdhsa_group_segment_fixed_size 0
		.amdhsa_private_segment_fixed_size 0
		.amdhsa_kernarg_size 104
		.amdhsa_user_sgpr_count 6
		.amdhsa_user_sgpr_private_segment_buffer 1
		.amdhsa_user_sgpr_dispatch_ptr 0
		.amdhsa_user_sgpr_queue_ptr 0
		.amdhsa_user_sgpr_kernarg_segment_ptr 1
		.amdhsa_user_sgpr_dispatch_id 0
		.amdhsa_user_sgpr_flat_scratch_init 0
		.amdhsa_user_sgpr_kernarg_preload_length 0
		.amdhsa_user_sgpr_kernarg_preload_offset 0
		.amdhsa_user_sgpr_private_segment_size 0
		.amdhsa_uses_dynamic_stack 0
		.amdhsa_system_sgpr_private_segment_wavefront_offset 0
		.amdhsa_system_sgpr_workgroup_id_x 1
		.amdhsa_system_sgpr_workgroup_id_y 0
		.amdhsa_system_sgpr_workgroup_id_z 0
		.amdhsa_system_sgpr_workgroup_info 0
		.amdhsa_system_vgpr_workitem_id 0
		.amdhsa_next_free_vgpr 1
		.amdhsa_next_free_sgpr 0
		.amdhsa_accum_offset 4
		.amdhsa_reserve_vcc 0
		.amdhsa_reserve_flat_scratch 0
		.amdhsa_float_round_mode_32 0
		.amdhsa_float_round_mode_16_64 0
		.amdhsa_float_denorm_mode_32 3
		.amdhsa_float_denorm_mode_16_64 3
		.amdhsa_dx10_clamp 1
		.amdhsa_ieee_mode 1
		.amdhsa_fp16_overflow 0
		.amdhsa_tg_split 0
		.amdhsa_exception_fp_ieee_invalid_op 0
		.amdhsa_exception_fp_denorm_src 0
		.amdhsa_exception_fp_ieee_div_zero 0
		.amdhsa_exception_fp_ieee_overflow 0
		.amdhsa_exception_fp_ieee_underflow 0
		.amdhsa_exception_fp_ieee_inexact 0
		.amdhsa_exception_int_div_zero 0
	.end_amdhsa_kernel
	.section	.text._ZN7rocprim17ROCPRIM_400000_NS6detail17trampoline_kernelINS0_14default_configENS1_20scan_config_selectorIsEEZZNS1_9scan_implILNS1_25lookback_scan_determinismE0ELb0ELb0ES3_N6thrust23THRUST_200600_302600_NS6detail15normal_iteratorINS9_10device_ptrIsEEEESE_s9plus_mod3IsEsEEDaPvRmT3_T4_T5_mT6_P12ihipStream_tbENKUlT_T0_E_clISt17integral_constantIbLb0EESU_EEDaSP_SQ_EUlSP_E_NS1_11comp_targetILNS1_3genE3ELNS1_11target_archE908ELNS1_3gpuE7ELNS1_3repE0EEENS1_30default_config_static_selectorELNS0_4arch9wavefront6targetE1EEEvT1_,"axG",@progbits,_ZN7rocprim17ROCPRIM_400000_NS6detail17trampoline_kernelINS0_14default_configENS1_20scan_config_selectorIsEEZZNS1_9scan_implILNS1_25lookback_scan_determinismE0ELb0ELb0ES3_N6thrust23THRUST_200600_302600_NS6detail15normal_iteratorINS9_10device_ptrIsEEEESE_s9plus_mod3IsEsEEDaPvRmT3_T4_T5_mT6_P12ihipStream_tbENKUlT_T0_E_clISt17integral_constantIbLb0EESU_EEDaSP_SQ_EUlSP_E_NS1_11comp_targetILNS1_3genE3ELNS1_11target_archE908ELNS1_3gpuE7ELNS1_3repE0EEENS1_30default_config_static_selectorELNS0_4arch9wavefront6targetE1EEEvT1_,comdat
.Lfunc_end6681:
	.size	_ZN7rocprim17ROCPRIM_400000_NS6detail17trampoline_kernelINS0_14default_configENS1_20scan_config_selectorIsEEZZNS1_9scan_implILNS1_25lookback_scan_determinismE0ELb0ELb0ES3_N6thrust23THRUST_200600_302600_NS6detail15normal_iteratorINS9_10device_ptrIsEEEESE_s9plus_mod3IsEsEEDaPvRmT3_T4_T5_mT6_P12ihipStream_tbENKUlT_T0_E_clISt17integral_constantIbLb0EESU_EEDaSP_SQ_EUlSP_E_NS1_11comp_targetILNS1_3genE3ELNS1_11target_archE908ELNS1_3gpuE7ELNS1_3repE0EEENS1_30default_config_static_selectorELNS0_4arch9wavefront6targetE1EEEvT1_, .Lfunc_end6681-_ZN7rocprim17ROCPRIM_400000_NS6detail17trampoline_kernelINS0_14default_configENS1_20scan_config_selectorIsEEZZNS1_9scan_implILNS1_25lookback_scan_determinismE0ELb0ELb0ES3_N6thrust23THRUST_200600_302600_NS6detail15normal_iteratorINS9_10device_ptrIsEEEESE_s9plus_mod3IsEsEEDaPvRmT3_T4_T5_mT6_P12ihipStream_tbENKUlT_T0_E_clISt17integral_constantIbLb0EESU_EEDaSP_SQ_EUlSP_E_NS1_11comp_targetILNS1_3genE3ELNS1_11target_archE908ELNS1_3gpuE7ELNS1_3repE0EEENS1_30default_config_static_selectorELNS0_4arch9wavefront6targetE1EEEvT1_
                                        ; -- End function
	.section	.AMDGPU.csdata,"",@progbits
; Kernel info:
; codeLenInByte = 0
; NumSgprs: 4
; NumVgprs: 0
; NumAgprs: 0
; TotalNumVgprs: 0
; ScratchSize: 0
; MemoryBound: 0
; FloatMode: 240
; IeeeMode: 1
; LDSByteSize: 0 bytes/workgroup (compile time only)
; SGPRBlocks: 0
; VGPRBlocks: 0
; NumSGPRsForWavesPerEU: 4
; NumVGPRsForWavesPerEU: 1
; AccumOffset: 4
; Occupancy: 8
; WaveLimiterHint : 0
; COMPUTE_PGM_RSRC2:SCRATCH_EN: 0
; COMPUTE_PGM_RSRC2:USER_SGPR: 6
; COMPUTE_PGM_RSRC2:TRAP_HANDLER: 0
; COMPUTE_PGM_RSRC2:TGID_X_EN: 1
; COMPUTE_PGM_RSRC2:TGID_Y_EN: 0
; COMPUTE_PGM_RSRC2:TGID_Z_EN: 0
; COMPUTE_PGM_RSRC2:TIDIG_COMP_CNT: 0
; COMPUTE_PGM_RSRC3_GFX90A:ACCUM_OFFSET: 0
; COMPUTE_PGM_RSRC3_GFX90A:TG_SPLIT: 0
	.section	.text._ZN7rocprim17ROCPRIM_400000_NS6detail17trampoline_kernelINS0_14default_configENS1_20scan_config_selectorIsEEZZNS1_9scan_implILNS1_25lookback_scan_determinismE0ELb0ELb0ES3_N6thrust23THRUST_200600_302600_NS6detail15normal_iteratorINS9_10device_ptrIsEEEESE_s9plus_mod3IsEsEEDaPvRmT3_T4_T5_mT6_P12ihipStream_tbENKUlT_T0_E_clISt17integral_constantIbLb0EESU_EEDaSP_SQ_EUlSP_E_NS1_11comp_targetILNS1_3genE2ELNS1_11target_archE906ELNS1_3gpuE6ELNS1_3repE0EEENS1_30default_config_static_selectorELNS0_4arch9wavefront6targetE1EEEvT1_,"axG",@progbits,_ZN7rocprim17ROCPRIM_400000_NS6detail17trampoline_kernelINS0_14default_configENS1_20scan_config_selectorIsEEZZNS1_9scan_implILNS1_25lookback_scan_determinismE0ELb0ELb0ES3_N6thrust23THRUST_200600_302600_NS6detail15normal_iteratorINS9_10device_ptrIsEEEESE_s9plus_mod3IsEsEEDaPvRmT3_T4_T5_mT6_P12ihipStream_tbENKUlT_T0_E_clISt17integral_constantIbLb0EESU_EEDaSP_SQ_EUlSP_E_NS1_11comp_targetILNS1_3genE2ELNS1_11target_archE906ELNS1_3gpuE6ELNS1_3repE0EEENS1_30default_config_static_selectorELNS0_4arch9wavefront6targetE1EEEvT1_,comdat
	.protected	_ZN7rocprim17ROCPRIM_400000_NS6detail17trampoline_kernelINS0_14default_configENS1_20scan_config_selectorIsEEZZNS1_9scan_implILNS1_25lookback_scan_determinismE0ELb0ELb0ES3_N6thrust23THRUST_200600_302600_NS6detail15normal_iteratorINS9_10device_ptrIsEEEESE_s9plus_mod3IsEsEEDaPvRmT3_T4_T5_mT6_P12ihipStream_tbENKUlT_T0_E_clISt17integral_constantIbLb0EESU_EEDaSP_SQ_EUlSP_E_NS1_11comp_targetILNS1_3genE2ELNS1_11target_archE906ELNS1_3gpuE6ELNS1_3repE0EEENS1_30default_config_static_selectorELNS0_4arch9wavefront6targetE1EEEvT1_ ; -- Begin function _ZN7rocprim17ROCPRIM_400000_NS6detail17trampoline_kernelINS0_14default_configENS1_20scan_config_selectorIsEEZZNS1_9scan_implILNS1_25lookback_scan_determinismE0ELb0ELb0ES3_N6thrust23THRUST_200600_302600_NS6detail15normal_iteratorINS9_10device_ptrIsEEEESE_s9plus_mod3IsEsEEDaPvRmT3_T4_T5_mT6_P12ihipStream_tbENKUlT_T0_E_clISt17integral_constantIbLb0EESU_EEDaSP_SQ_EUlSP_E_NS1_11comp_targetILNS1_3genE2ELNS1_11target_archE906ELNS1_3gpuE6ELNS1_3repE0EEENS1_30default_config_static_selectorELNS0_4arch9wavefront6targetE1EEEvT1_
	.globl	_ZN7rocprim17ROCPRIM_400000_NS6detail17trampoline_kernelINS0_14default_configENS1_20scan_config_selectorIsEEZZNS1_9scan_implILNS1_25lookback_scan_determinismE0ELb0ELb0ES3_N6thrust23THRUST_200600_302600_NS6detail15normal_iteratorINS9_10device_ptrIsEEEESE_s9plus_mod3IsEsEEDaPvRmT3_T4_T5_mT6_P12ihipStream_tbENKUlT_T0_E_clISt17integral_constantIbLb0EESU_EEDaSP_SQ_EUlSP_E_NS1_11comp_targetILNS1_3genE2ELNS1_11target_archE906ELNS1_3gpuE6ELNS1_3repE0EEENS1_30default_config_static_selectorELNS0_4arch9wavefront6targetE1EEEvT1_
	.p2align	8
	.type	_ZN7rocprim17ROCPRIM_400000_NS6detail17trampoline_kernelINS0_14default_configENS1_20scan_config_selectorIsEEZZNS1_9scan_implILNS1_25lookback_scan_determinismE0ELb0ELb0ES3_N6thrust23THRUST_200600_302600_NS6detail15normal_iteratorINS9_10device_ptrIsEEEESE_s9plus_mod3IsEsEEDaPvRmT3_T4_T5_mT6_P12ihipStream_tbENKUlT_T0_E_clISt17integral_constantIbLb0EESU_EEDaSP_SQ_EUlSP_E_NS1_11comp_targetILNS1_3genE2ELNS1_11target_archE906ELNS1_3gpuE6ELNS1_3repE0EEENS1_30default_config_static_selectorELNS0_4arch9wavefront6targetE1EEEvT1_,@function
_ZN7rocprim17ROCPRIM_400000_NS6detail17trampoline_kernelINS0_14default_configENS1_20scan_config_selectorIsEEZZNS1_9scan_implILNS1_25lookback_scan_determinismE0ELb0ELb0ES3_N6thrust23THRUST_200600_302600_NS6detail15normal_iteratorINS9_10device_ptrIsEEEESE_s9plus_mod3IsEsEEDaPvRmT3_T4_T5_mT6_P12ihipStream_tbENKUlT_T0_E_clISt17integral_constantIbLb0EESU_EEDaSP_SQ_EUlSP_E_NS1_11comp_targetILNS1_3genE2ELNS1_11target_archE906ELNS1_3gpuE6ELNS1_3repE0EEENS1_30default_config_static_selectorELNS0_4arch9wavefront6targetE1EEEvT1_: ; @_ZN7rocprim17ROCPRIM_400000_NS6detail17trampoline_kernelINS0_14default_configENS1_20scan_config_selectorIsEEZZNS1_9scan_implILNS1_25lookback_scan_determinismE0ELb0ELb0ES3_N6thrust23THRUST_200600_302600_NS6detail15normal_iteratorINS9_10device_ptrIsEEEESE_s9plus_mod3IsEsEEDaPvRmT3_T4_T5_mT6_P12ihipStream_tbENKUlT_T0_E_clISt17integral_constantIbLb0EESU_EEDaSP_SQ_EUlSP_E_NS1_11comp_targetILNS1_3genE2ELNS1_11target_archE906ELNS1_3gpuE6ELNS1_3repE0EEENS1_30default_config_static_selectorELNS0_4arch9wavefront6targetE1EEEvT1_
; %bb.0:
	.section	.rodata,"a",@progbits
	.p2align	6, 0x0
	.amdhsa_kernel _ZN7rocprim17ROCPRIM_400000_NS6detail17trampoline_kernelINS0_14default_configENS1_20scan_config_selectorIsEEZZNS1_9scan_implILNS1_25lookback_scan_determinismE0ELb0ELb0ES3_N6thrust23THRUST_200600_302600_NS6detail15normal_iteratorINS9_10device_ptrIsEEEESE_s9plus_mod3IsEsEEDaPvRmT3_T4_T5_mT6_P12ihipStream_tbENKUlT_T0_E_clISt17integral_constantIbLb0EESU_EEDaSP_SQ_EUlSP_E_NS1_11comp_targetILNS1_3genE2ELNS1_11target_archE906ELNS1_3gpuE6ELNS1_3repE0EEENS1_30default_config_static_selectorELNS0_4arch9wavefront6targetE1EEEvT1_
		.amdhsa_group_segment_fixed_size 0
		.amdhsa_private_segment_fixed_size 0
		.amdhsa_kernarg_size 104
		.amdhsa_user_sgpr_count 6
		.amdhsa_user_sgpr_private_segment_buffer 1
		.amdhsa_user_sgpr_dispatch_ptr 0
		.amdhsa_user_sgpr_queue_ptr 0
		.amdhsa_user_sgpr_kernarg_segment_ptr 1
		.amdhsa_user_sgpr_dispatch_id 0
		.amdhsa_user_sgpr_flat_scratch_init 0
		.amdhsa_user_sgpr_kernarg_preload_length 0
		.amdhsa_user_sgpr_kernarg_preload_offset 0
		.amdhsa_user_sgpr_private_segment_size 0
		.amdhsa_uses_dynamic_stack 0
		.amdhsa_system_sgpr_private_segment_wavefront_offset 0
		.amdhsa_system_sgpr_workgroup_id_x 1
		.amdhsa_system_sgpr_workgroup_id_y 0
		.amdhsa_system_sgpr_workgroup_id_z 0
		.amdhsa_system_sgpr_workgroup_info 0
		.amdhsa_system_vgpr_workitem_id 0
		.amdhsa_next_free_vgpr 1
		.amdhsa_next_free_sgpr 0
		.amdhsa_accum_offset 4
		.amdhsa_reserve_vcc 0
		.amdhsa_reserve_flat_scratch 0
		.amdhsa_float_round_mode_32 0
		.amdhsa_float_round_mode_16_64 0
		.amdhsa_float_denorm_mode_32 3
		.amdhsa_float_denorm_mode_16_64 3
		.amdhsa_dx10_clamp 1
		.amdhsa_ieee_mode 1
		.amdhsa_fp16_overflow 0
		.amdhsa_tg_split 0
		.amdhsa_exception_fp_ieee_invalid_op 0
		.amdhsa_exception_fp_denorm_src 0
		.amdhsa_exception_fp_ieee_div_zero 0
		.amdhsa_exception_fp_ieee_overflow 0
		.amdhsa_exception_fp_ieee_underflow 0
		.amdhsa_exception_fp_ieee_inexact 0
		.amdhsa_exception_int_div_zero 0
	.end_amdhsa_kernel
	.section	.text._ZN7rocprim17ROCPRIM_400000_NS6detail17trampoline_kernelINS0_14default_configENS1_20scan_config_selectorIsEEZZNS1_9scan_implILNS1_25lookback_scan_determinismE0ELb0ELb0ES3_N6thrust23THRUST_200600_302600_NS6detail15normal_iteratorINS9_10device_ptrIsEEEESE_s9plus_mod3IsEsEEDaPvRmT3_T4_T5_mT6_P12ihipStream_tbENKUlT_T0_E_clISt17integral_constantIbLb0EESU_EEDaSP_SQ_EUlSP_E_NS1_11comp_targetILNS1_3genE2ELNS1_11target_archE906ELNS1_3gpuE6ELNS1_3repE0EEENS1_30default_config_static_selectorELNS0_4arch9wavefront6targetE1EEEvT1_,"axG",@progbits,_ZN7rocprim17ROCPRIM_400000_NS6detail17trampoline_kernelINS0_14default_configENS1_20scan_config_selectorIsEEZZNS1_9scan_implILNS1_25lookback_scan_determinismE0ELb0ELb0ES3_N6thrust23THRUST_200600_302600_NS6detail15normal_iteratorINS9_10device_ptrIsEEEESE_s9plus_mod3IsEsEEDaPvRmT3_T4_T5_mT6_P12ihipStream_tbENKUlT_T0_E_clISt17integral_constantIbLb0EESU_EEDaSP_SQ_EUlSP_E_NS1_11comp_targetILNS1_3genE2ELNS1_11target_archE906ELNS1_3gpuE6ELNS1_3repE0EEENS1_30default_config_static_selectorELNS0_4arch9wavefront6targetE1EEEvT1_,comdat
.Lfunc_end6682:
	.size	_ZN7rocprim17ROCPRIM_400000_NS6detail17trampoline_kernelINS0_14default_configENS1_20scan_config_selectorIsEEZZNS1_9scan_implILNS1_25lookback_scan_determinismE0ELb0ELb0ES3_N6thrust23THRUST_200600_302600_NS6detail15normal_iteratorINS9_10device_ptrIsEEEESE_s9plus_mod3IsEsEEDaPvRmT3_T4_T5_mT6_P12ihipStream_tbENKUlT_T0_E_clISt17integral_constantIbLb0EESU_EEDaSP_SQ_EUlSP_E_NS1_11comp_targetILNS1_3genE2ELNS1_11target_archE906ELNS1_3gpuE6ELNS1_3repE0EEENS1_30default_config_static_selectorELNS0_4arch9wavefront6targetE1EEEvT1_, .Lfunc_end6682-_ZN7rocprim17ROCPRIM_400000_NS6detail17trampoline_kernelINS0_14default_configENS1_20scan_config_selectorIsEEZZNS1_9scan_implILNS1_25lookback_scan_determinismE0ELb0ELb0ES3_N6thrust23THRUST_200600_302600_NS6detail15normal_iteratorINS9_10device_ptrIsEEEESE_s9plus_mod3IsEsEEDaPvRmT3_T4_T5_mT6_P12ihipStream_tbENKUlT_T0_E_clISt17integral_constantIbLb0EESU_EEDaSP_SQ_EUlSP_E_NS1_11comp_targetILNS1_3genE2ELNS1_11target_archE906ELNS1_3gpuE6ELNS1_3repE0EEENS1_30default_config_static_selectorELNS0_4arch9wavefront6targetE1EEEvT1_
                                        ; -- End function
	.section	.AMDGPU.csdata,"",@progbits
; Kernel info:
; codeLenInByte = 0
; NumSgprs: 4
; NumVgprs: 0
; NumAgprs: 0
; TotalNumVgprs: 0
; ScratchSize: 0
; MemoryBound: 0
; FloatMode: 240
; IeeeMode: 1
; LDSByteSize: 0 bytes/workgroup (compile time only)
; SGPRBlocks: 0
; VGPRBlocks: 0
; NumSGPRsForWavesPerEU: 4
; NumVGPRsForWavesPerEU: 1
; AccumOffset: 4
; Occupancy: 8
; WaveLimiterHint : 0
; COMPUTE_PGM_RSRC2:SCRATCH_EN: 0
; COMPUTE_PGM_RSRC2:USER_SGPR: 6
; COMPUTE_PGM_RSRC2:TRAP_HANDLER: 0
; COMPUTE_PGM_RSRC2:TGID_X_EN: 1
; COMPUTE_PGM_RSRC2:TGID_Y_EN: 0
; COMPUTE_PGM_RSRC2:TGID_Z_EN: 0
; COMPUTE_PGM_RSRC2:TIDIG_COMP_CNT: 0
; COMPUTE_PGM_RSRC3_GFX90A:ACCUM_OFFSET: 0
; COMPUTE_PGM_RSRC3_GFX90A:TG_SPLIT: 0
	.section	.text._ZN7rocprim17ROCPRIM_400000_NS6detail17trampoline_kernelINS0_14default_configENS1_20scan_config_selectorIsEEZZNS1_9scan_implILNS1_25lookback_scan_determinismE0ELb0ELb0ES3_N6thrust23THRUST_200600_302600_NS6detail15normal_iteratorINS9_10device_ptrIsEEEESE_s9plus_mod3IsEsEEDaPvRmT3_T4_T5_mT6_P12ihipStream_tbENKUlT_T0_E_clISt17integral_constantIbLb0EESU_EEDaSP_SQ_EUlSP_E_NS1_11comp_targetILNS1_3genE10ELNS1_11target_archE1201ELNS1_3gpuE5ELNS1_3repE0EEENS1_30default_config_static_selectorELNS0_4arch9wavefront6targetE1EEEvT1_,"axG",@progbits,_ZN7rocprim17ROCPRIM_400000_NS6detail17trampoline_kernelINS0_14default_configENS1_20scan_config_selectorIsEEZZNS1_9scan_implILNS1_25lookback_scan_determinismE0ELb0ELb0ES3_N6thrust23THRUST_200600_302600_NS6detail15normal_iteratorINS9_10device_ptrIsEEEESE_s9plus_mod3IsEsEEDaPvRmT3_T4_T5_mT6_P12ihipStream_tbENKUlT_T0_E_clISt17integral_constantIbLb0EESU_EEDaSP_SQ_EUlSP_E_NS1_11comp_targetILNS1_3genE10ELNS1_11target_archE1201ELNS1_3gpuE5ELNS1_3repE0EEENS1_30default_config_static_selectorELNS0_4arch9wavefront6targetE1EEEvT1_,comdat
	.protected	_ZN7rocprim17ROCPRIM_400000_NS6detail17trampoline_kernelINS0_14default_configENS1_20scan_config_selectorIsEEZZNS1_9scan_implILNS1_25lookback_scan_determinismE0ELb0ELb0ES3_N6thrust23THRUST_200600_302600_NS6detail15normal_iteratorINS9_10device_ptrIsEEEESE_s9plus_mod3IsEsEEDaPvRmT3_T4_T5_mT6_P12ihipStream_tbENKUlT_T0_E_clISt17integral_constantIbLb0EESU_EEDaSP_SQ_EUlSP_E_NS1_11comp_targetILNS1_3genE10ELNS1_11target_archE1201ELNS1_3gpuE5ELNS1_3repE0EEENS1_30default_config_static_selectorELNS0_4arch9wavefront6targetE1EEEvT1_ ; -- Begin function _ZN7rocprim17ROCPRIM_400000_NS6detail17trampoline_kernelINS0_14default_configENS1_20scan_config_selectorIsEEZZNS1_9scan_implILNS1_25lookback_scan_determinismE0ELb0ELb0ES3_N6thrust23THRUST_200600_302600_NS6detail15normal_iteratorINS9_10device_ptrIsEEEESE_s9plus_mod3IsEsEEDaPvRmT3_T4_T5_mT6_P12ihipStream_tbENKUlT_T0_E_clISt17integral_constantIbLb0EESU_EEDaSP_SQ_EUlSP_E_NS1_11comp_targetILNS1_3genE10ELNS1_11target_archE1201ELNS1_3gpuE5ELNS1_3repE0EEENS1_30default_config_static_selectorELNS0_4arch9wavefront6targetE1EEEvT1_
	.globl	_ZN7rocprim17ROCPRIM_400000_NS6detail17trampoline_kernelINS0_14default_configENS1_20scan_config_selectorIsEEZZNS1_9scan_implILNS1_25lookback_scan_determinismE0ELb0ELb0ES3_N6thrust23THRUST_200600_302600_NS6detail15normal_iteratorINS9_10device_ptrIsEEEESE_s9plus_mod3IsEsEEDaPvRmT3_T4_T5_mT6_P12ihipStream_tbENKUlT_T0_E_clISt17integral_constantIbLb0EESU_EEDaSP_SQ_EUlSP_E_NS1_11comp_targetILNS1_3genE10ELNS1_11target_archE1201ELNS1_3gpuE5ELNS1_3repE0EEENS1_30default_config_static_selectorELNS0_4arch9wavefront6targetE1EEEvT1_
	.p2align	8
	.type	_ZN7rocprim17ROCPRIM_400000_NS6detail17trampoline_kernelINS0_14default_configENS1_20scan_config_selectorIsEEZZNS1_9scan_implILNS1_25lookback_scan_determinismE0ELb0ELb0ES3_N6thrust23THRUST_200600_302600_NS6detail15normal_iteratorINS9_10device_ptrIsEEEESE_s9plus_mod3IsEsEEDaPvRmT3_T4_T5_mT6_P12ihipStream_tbENKUlT_T0_E_clISt17integral_constantIbLb0EESU_EEDaSP_SQ_EUlSP_E_NS1_11comp_targetILNS1_3genE10ELNS1_11target_archE1201ELNS1_3gpuE5ELNS1_3repE0EEENS1_30default_config_static_selectorELNS0_4arch9wavefront6targetE1EEEvT1_,@function
_ZN7rocprim17ROCPRIM_400000_NS6detail17trampoline_kernelINS0_14default_configENS1_20scan_config_selectorIsEEZZNS1_9scan_implILNS1_25lookback_scan_determinismE0ELb0ELb0ES3_N6thrust23THRUST_200600_302600_NS6detail15normal_iteratorINS9_10device_ptrIsEEEESE_s9plus_mod3IsEsEEDaPvRmT3_T4_T5_mT6_P12ihipStream_tbENKUlT_T0_E_clISt17integral_constantIbLb0EESU_EEDaSP_SQ_EUlSP_E_NS1_11comp_targetILNS1_3genE10ELNS1_11target_archE1201ELNS1_3gpuE5ELNS1_3repE0EEENS1_30default_config_static_selectorELNS0_4arch9wavefront6targetE1EEEvT1_: ; @_ZN7rocprim17ROCPRIM_400000_NS6detail17trampoline_kernelINS0_14default_configENS1_20scan_config_selectorIsEEZZNS1_9scan_implILNS1_25lookback_scan_determinismE0ELb0ELb0ES3_N6thrust23THRUST_200600_302600_NS6detail15normal_iteratorINS9_10device_ptrIsEEEESE_s9plus_mod3IsEsEEDaPvRmT3_T4_T5_mT6_P12ihipStream_tbENKUlT_T0_E_clISt17integral_constantIbLb0EESU_EEDaSP_SQ_EUlSP_E_NS1_11comp_targetILNS1_3genE10ELNS1_11target_archE1201ELNS1_3gpuE5ELNS1_3repE0EEENS1_30default_config_static_selectorELNS0_4arch9wavefront6targetE1EEEvT1_
; %bb.0:
	.section	.rodata,"a",@progbits
	.p2align	6, 0x0
	.amdhsa_kernel _ZN7rocprim17ROCPRIM_400000_NS6detail17trampoline_kernelINS0_14default_configENS1_20scan_config_selectorIsEEZZNS1_9scan_implILNS1_25lookback_scan_determinismE0ELb0ELb0ES3_N6thrust23THRUST_200600_302600_NS6detail15normal_iteratorINS9_10device_ptrIsEEEESE_s9plus_mod3IsEsEEDaPvRmT3_T4_T5_mT6_P12ihipStream_tbENKUlT_T0_E_clISt17integral_constantIbLb0EESU_EEDaSP_SQ_EUlSP_E_NS1_11comp_targetILNS1_3genE10ELNS1_11target_archE1201ELNS1_3gpuE5ELNS1_3repE0EEENS1_30default_config_static_selectorELNS0_4arch9wavefront6targetE1EEEvT1_
		.amdhsa_group_segment_fixed_size 0
		.amdhsa_private_segment_fixed_size 0
		.amdhsa_kernarg_size 104
		.amdhsa_user_sgpr_count 6
		.amdhsa_user_sgpr_private_segment_buffer 1
		.amdhsa_user_sgpr_dispatch_ptr 0
		.amdhsa_user_sgpr_queue_ptr 0
		.amdhsa_user_sgpr_kernarg_segment_ptr 1
		.amdhsa_user_sgpr_dispatch_id 0
		.amdhsa_user_sgpr_flat_scratch_init 0
		.amdhsa_user_sgpr_kernarg_preload_length 0
		.amdhsa_user_sgpr_kernarg_preload_offset 0
		.amdhsa_user_sgpr_private_segment_size 0
		.amdhsa_uses_dynamic_stack 0
		.amdhsa_system_sgpr_private_segment_wavefront_offset 0
		.amdhsa_system_sgpr_workgroup_id_x 1
		.amdhsa_system_sgpr_workgroup_id_y 0
		.amdhsa_system_sgpr_workgroup_id_z 0
		.amdhsa_system_sgpr_workgroup_info 0
		.amdhsa_system_vgpr_workitem_id 0
		.amdhsa_next_free_vgpr 1
		.amdhsa_next_free_sgpr 0
		.amdhsa_accum_offset 4
		.amdhsa_reserve_vcc 0
		.amdhsa_reserve_flat_scratch 0
		.amdhsa_float_round_mode_32 0
		.amdhsa_float_round_mode_16_64 0
		.amdhsa_float_denorm_mode_32 3
		.amdhsa_float_denorm_mode_16_64 3
		.amdhsa_dx10_clamp 1
		.amdhsa_ieee_mode 1
		.amdhsa_fp16_overflow 0
		.amdhsa_tg_split 0
		.amdhsa_exception_fp_ieee_invalid_op 0
		.amdhsa_exception_fp_denorm_src 0
		.amdhsa_exception_fp_ieee_div_zero 0
		.amdhsa_exception_fp_ieee_overflow 0
		.amdhsa_exception_fp_ieee_underflow 0
		.amdhsa_exception_fp_ieee_inexact 0
		.amdhsa_exception_int_div_zero 0
	.end_amdhsa_kernel
	.section	.text._ZN7rocprim17ROCPRIM_400000_NS6detail17trampoline_kernelINS0_14default_configENS1_20scan_config_selectorIsEEZZNS1_9scan_implILNS1_25lookback_scan_determinismE0ELb0ELb0ES3_N6thrust23THRUST_200600_302600_NS6detail15normal_iteratorINS9_10device_ptrIsEEEESE_s9plus_mod3IsEsEEDaPvRmT3_T4_T5_mT6_P12ihipStream_tbENKUlT_T0_E_clISt17integral_constantIbLb0EESU_EEDaSP_SQ_EUlSP_E_NS1_11comp_targetILNS1_3genE10ELNS1_11target_archE1201ELNS1_3gpuE5ELNS1_3repE0EEENS1_30default_config_static_selectorELNS0_4arch9wavefront6targetE1EEEvT1_,"axG",@progbits,_ZN7rocprim17ROCPRIM_400000_NS6detail17trampoline_kernelINS0_14default_configENS1_20scan_config_selectorIsEEZZNS1_9scan_implILNS1_25lookback_scan_determinismE0ELb0ELb0ES3_N6thrust23THRUST_200600_302600_NS6detail15normal_iteratorINS9_10device_ptrIsEEEESE_s9plus_mod3IsEsEEDaPvRmT3_T4_T5_mT6_P12ihipStream_tbENKUlT_T0_E_clISt17integral_constantIbLb0EESU_EEDaSP_SQ_EUlSP_E_NS1_11comp_targetILNS1_3genE10ELNS1_11target_archE1201ELNS1_3gpuE5ELNS1_3repE0EEENS1_30default_config_static_selectorELNS0_4arch9wavefront6targetE1EEEvT1_,comdat
.Lfunc_end6683:
	.size	_ZN7rocprim17ROCPRIM_400000_NS6detail17trampoline_kernelINS0_14default_configENS1_20scan_config_selectorIsEEZZNS1_9scan_implILNS1_25lookback_scan_determinismE0ELb0ELb0ES3_N6thrust23THRUST_200600_302600_NS6detail15normal_iteratorINS9_10device_ptrIsEEEESE_s9plus_mod3IsEsEEDaPvRmT3_T4_T5_mT6_P12ihipStream_tbENKUlT_T0_E_clISt17integral_constantIbLb0EESU_EEDaSP_SQ_EUlSP_E_NS1_11comp_targetILNS1_3genE10ELNS1_11target_archE1201ELNS1_3gpuE5ELNS1_3repE0EEENS1_30default_config_static_selectorELNS0_4arch9wavefront6targetE1EEEvT1_, .Lfunc_end6683-_ZN7rocprim17ROCPRIM_400000_NS6detail17trampoline_kernelINS0_14default_configENS1_20scan_config_selectorIsEEZZNS1_9scan_implILNS1_25lookback_scan_determinismE0ELb0ELb0ES3_N6thrust23THRUST_200600_302600_NS6detail15normal_iteratorINS9_10device_ptrIsEEEESE_s9plus_mod3IsEsEEDaPvRmT3_T4_T5_mT6_P12ihipStream_tbENKUlT_T0_E_clISt17integral_constantIbLb0EESU_EEDaSP_SQ_EUlSP_E_NS1_11comp_targetILNS1_3genE10ELNS1_11target_archE1201ELNS1_3gpuE5ELNS1_3repE0EEENS1_30default_config_static_selectorELNS0_4arch9wavefront6targetE1EEEvT1_
                                        ; -- End function
	.section	.AMDGPU.csdata,"",@progbits
; Kernel info:
; codeLenInByte = 0
; NumSgprs: 4
; NumVgprs: 0
; NumAgprs: 0
; TotalNumVgprs: 0
; ScratchSize: 0
; MemoryBound: 0
; FloatMode: 240
; IeeeMode: 1
; LDSByteSize: 0 bytes/workgroup (compile time only)
; SGPRBlocks: 0
; VGPRBlocks: 0
; NumSGPRsForWavesPerEU: 4
; NumVGPRsForWavesPerEU: 1
; AccumOffset: 4
; Occupancy: 8
; WaveLimiterHint : 0
; COMPUTE_PGM_RSRC2:SCRATCH_EN: 0
; COMPUTE_PGM_RSRC2:USER_SGPR: 6
; COMPUTE_PGM_RSRC2:TRAP_HANDLER: 0
; COMPUTE_PGM_RSRC2:TGID_X_EN: 1
; COMPUTE_PGM_RSRC2:TGID_Y_EN: 0
; COMPUTE_PGM_RSRC2:TGID_Z_EN: 0
; COMPUTE_PGM_RSRC2:TIDIG_COMP_CNT: 0
; COMPUTE_PGM_RSRC3_GFX90A:ACCUM_OFFSET: 0
; COMPUTE_PGM_RSRC3_GFX90A:TG_SPLIT: 0
	.section	.text._ZN7rocprim17ROCPRIM_400000_NS6detail17trampoline_kernelINS0_14default_configENS1_20scan_config_selectorIsEEZZNS1_9scan_implILNS1_25lookback_scan_determinismE0ELb0ELb0ES3_N6thrust23THRUST_200600_302600_NS6detail15normal_iteratorINS9_10device_ptrIsEEEESE_s9plus_mod3IsEsEEDaPvRmT3_T4_T5_mT6_P12ihipStream_tbENKUlT_T0_E_clISt17integral_constantIbLb0EESU_EEDaSP_SQ_EUlSP_E_NS1_11comp_targetILNS1_3genE10ELNS1_11target_archE1200ELNS1_3gpuE4ELNS1_3repE0EEENS1_30default_config_static_selectorELNS0_4arch9wavefront6targetE1EEEvT1_,"axG",@progbits,_ZN7rocprim17ROCPRIM_400000_NS6detail17trampoline_kernelINS0_14default_configENS1_20scan_config_selectorIsEEZZNS1_9scan_implILNS1_25lookback_scan_determinismE0ELb0ELb0ES3_N6thrust23THRUST_200600_302600_NS6detail15normal_iteratorINS9_10device_ptrIsEEEESE_s9plus_mod3IsEsEEDaPvRmT3_T4_T5_mT6_P12ihipStream_tbENKUlT_T0_E_clISt17integral_constantIbLb0EESU_EEDaSP_SQ_EUlSP_E_NS1_11comp_targetILNS1_3genE10ELNS1_11target_archE1200ELNS1_3gpuE4ELNS1_3repE0EEENS1_30default_config_static_selectorELNS0_4arch9wavefront6targetE1EEEvT1_,comdat
	.protected	_ZN7rocprim17ROCPRIM_400000_NS6detail17trampoline_kernelINS0_14default_configENS1_20scan_config_selectorIsEEZZNS1_9scan_implILNS1_25lookback_scan_determinismE0ELb0ELb0ES3_N6thrust23THRUST_200600_302600_NS6detail15normal_iteratorINS9_10device_ptrIsEEEESE_s9plus_mod3IsEsEEDaPvRmT3_T4_T5_mT6_P12ihipStream_tbENKUlT_T0_E_clISt17integral_constantIbLb0EESU_EEDaSP_SQ_EUlSP_E_NS1_11comp_targetILNS1_3genE10ELNS1_11target_archE1200ELNS1_3gpuE4ELNS1_3repE0EEENS1_30default_config_static_selectorELNS0_4arch9wavefront6targetE1EEEvT1_ ; -- Begin function _ZN7rocprim17ROCPRIM_400000_NS6detail17trampoline_kernelINS0_14default_configENS1_20scan_config_selectorIsEEZZNS1_9scan_implILNS1_25lookback_scan_determinismE0ELb0ELb0ES3_N6thrust23THRUST_200600_302600_NS6detail15normal_iteratorINS9_10device_ptrIsEEEESE_s9plus_mod3IsEsEEDaPvRmT3_T4_T5_mT6_P12ihipStream_tbENKUlT_T0_E_clISt17integral_constantIbLb0EESU_EEDaSP_SQ_EUlSP_E_NS1_11comp_targetILNS1_3genE10ELNS1_11target_archE1200ELNS1_3gpuE4ELNS1_3repE0EEENS1_30default_config_static_selectorELNS0_4arch9wavefront6targetE1EEEvT1_
	.globl	_ZN7rocprim17ROCPRIM_400000_NS6detail17trampoline_kernelINS0_14default_configENS1_20scan_config_selectorIsEEZZNS1_9scan_implILNS1_25lookback_scan_determinismE0ELb0ELb0ES3_N6thrust23THRUST_200600_302600_NS6detail15normal_iteratorINS9_10device_ptrIsEEEESE_s9plus_mod3IsEsEEDaPvRmT3_T4_T5_mT6_P12ihipStream_tbENKUlT_T0_E_clISt17integral_constantIbLb0EESU_EEDaSP_SQ_EUlSP_E_NS1_11comp_targetILNS1_3genE10ELNS1_11target_archE1200ELNS1_3gpuE4ELNS1_3repE0EEENS1_30default_config_static_selectorELNS0_4arch9wavefront6targetE1EEEvT1_
	.p2align	8
	.type	_ZN7rocprim17ROCPRIM_400000_NS6detail17trampoline_kernelINS0_14default_configENS1_20scan_config_selectorIsEEZZNS1_9scan_implILNS1_25lookback_scan_determinismE0ELb0ELb0ES3_N6thrust23THRUST_200600_302600_NS6detail15normal_iteratorINS9_10device_ptrIsEEEESE_s9plus_mod3IsEsEEDaPvRmT3_T4_T5_mT6_P12ihipStream_tbENKUlT_T0_E_clISt17integral_constantIbLb0EESU_EEDaSP_SQ_EUlSP_E_NS1_11comp_targetILNS1_3genE10ELNS1_11target_archE1200ELNS1_3gpuE4ELNS1_3repE0EEENS1_30default_config_static_selectorELNS0_4arch9wavefront6targetE1EEEvT1_,@function
_ZN7rocprim17ROCPRIM_400000_NS6detail17trampoline_kernelINS0_14default_configENS1_20scan_config_selectorIsEEZZNS1_9scan_implILNS1_25lookback_scan_determinismE0ELb0ELb0ES3_N6thrust23THRUST_200600_302600_NS6detail15normal_iteratorINS9_10device_ptrIsEEEESE_s9plus_mod3IsEsEEDaPvRmT3_T4_T5_mT6_P12ihipStream_tbENKUlT_T0_E_clISt17integral_constantIbLb0EESU_EEDaSP_SQ_EUlSP_E_NS1_11comp_targetILNS1_3genE10ELNS1_11target_archE1200ELNS1_3gpuE4ELNS1_3repE0EEENS1_30default_config_static_selectorELNS0_4arch9wavefront6targetE1EEEvT1_: ; @_ZN7rocprim17ROCPRIM_400000_NS6detail17trampoline_kernelINS0_14default_configENS1_20scan_config_selectorIsEEZZNS1_9scan_implILNS1_25lookback_scan_determinismE0ELb0ELb0ES3_N6thrust23THRUST_200600_302600_NS6detail15normal_iteratorINS9_10device_ptrIsEEEESE_s9plus_mod3IsEsEEDaPvRmT3_T4_T5_mT6_P12ihipStream_tbENKUlT_T0_E_clISt17integral_constantIbLb0EESU_EEDaSP_SQ_EUlSP_E_NS1_11comp_targetILNS1_3genE10ELNS1_11target_archE1200ELNS1_3gpuE4ELNS1_3repE0EEENS1_30default_config_static_selectorELNS0_4arch9wavefront6targetE1EEEvT1_
; %bb.0:
	.section	.rodata,"a",@progbits
	.p2align	6, 0x0
	.amdhsa_kernel _ZN7rocprim17ROCPRIM_400000_NS6detail17trampoline_kernelINS0_14default_configENS1_20scan_config_selectorIsEEZZNS1_9scan_implILNS1_25lookback_scan_determinismE0ELb0ELb0ES3_N6thrust23THRUST_200600_302600_NS6detail15normal_iteratorINS9_10device_ptrIsEEEESE_s9plus_mod3IsEsEEDaPvRmT3_T4_T5_mT6_P12ihipStream_tbENKUlT_T0_E_clISt17integral_constantIbLb0EESU_EEDaSP_SQ_EUlSP_E_NS1_11comp_targetILNS1_3genE10ELNS1_11target_archE1200ELNS1_3gpuE4ELNS1_3repE0EEENS1_30default_config_static_selectorELNS0_4arch9wavefront6targetE1EEEvT1_
		.amdhsa_group_segment_fixed_size 0
		.amdhsa_private_segment_fixed_size 0
		.amdhsa_kernarg_size 104
		.amdhsa_user_sgpr_count 6
		.amdhsa_user_sgpr_private_segment_buffer 1
		.amdhsa_user_sgpr_dispatch_ptr 0
		.amdhsa_user_sgpr_queue_ptr 0
		.amdhsa_user_sgpr_kernarg_segment_ptr 1
		.amdhsa_user_sgpr_dispatch_id 0
		.amdhsa_user_sgpr_flat_scratch_init 0
		.amdhsa_user_sgpr_kernarg_preload_length 0
		.amdhsa_user_sgpr_kernarg_preload_offset 0
		.amdhsa_user_sgpr_private_segment_size 0
		.amdhsa_uses_dynamic_stack 0
		.amdhsa_system_sgpr_private_segment_wavefront_offset 0
		.amdhsa_system_sgpr_workgroup_id_x 1
		.amdhsa_system_sgpr_workgroup_id_y 0
		.amdhsa_system_sgpr_workgroup_id_z 0
		.amdhsa_system_sgpr_workgroup_info 0
		.amdhsa_system_vgpr_workitem_id 0
		.amdhsa_next_free_vgpr 1
		.amdhsa_next_free_sgpr 0
		.amdhsa_accum_offset 4
		.amdhsa_reserve_vcc 0
		.amdhsa_reserve_flat_scratch 0
		.amdhsa_float_round_mode_32 0
		.amdhsa_float_round_mode_16_64 0
		.amdhsa_float_denorm_mode_32 3
		.amdhsa_float_denorm_mode_16_64 3
		.amdhsa_dx10_clamp 1
		.amdhsa_ieee_mode 1
		.amdhsa_fp16_overflow 0
		.amdhsa_tg_split 0
		.amdhsa_exception_fp_ieee_invalid_op 0
		.amdhsa_exception_fp_denorm_src 0
		.amdhsa_exception_fp_ieee_div_zero 0
		.amdhsa_exception_fp_ieee_overflow 0
		.amdhsa_exception_fp_ieee_underflow 0
		.amdhsa_exception_fp_ieee_inexact 0
		.amdhsa_exception_int_div_zero 0
	.end_amdhsa_kernel
	.section	.text._ZN7rocprim17ROCPRIM_400000_NS6detail17trampoline_kernelINS0_14default_configENS1_20scan_config_selectorIsEEZZNS1_9scan_implILNS1_25lookback_scan_determinismE0ELb0ELb0ES3_N6thrust23THRUST_200600_302600_NS6detail15normal_iteratorINS9_10device_ptrIsEEEESE_s9plus_mod3IsEsEEDaPvRmT3_T4_T5_mT6_P12ihipStream_tbENKUlT_T0_E_clISt17integral_constantIbLb0EESU_EEDaSP_SQ_EUlSP_E_NS1_11comp_targetILNS1_3genE10ELNS1_11target_archE1200ELNS1_3gpuE4ELNS1_3repE0EEENS1_30default_config_static_selectorELNS0_4arch9wavefront6targetE1EEEvT1_,"axG",@progbits,_ZN7rocprim17ROCPRIM_400000_NS6detail17trampoline_kernelINS0_14default_configENS1_20scan_config_selectorIsEEZZNS1_9scan_implILNS1_25lookback_scan_determinismE0ELb0ELb0ES3_N6thrust23THRUST_200600_302600_NS6detail15normal_iteratorINS9_10device_ptrIsEEEESE_s9plus_mod3IsEsEEDaPvRmT3_T4_T5_mT6_P12ihipStream_tbENKUlT_T0_E_clISt17integral_constantIbLb0EESU_EEDaSP_SQ_EUlSP_E_NS1_11comp_targetILNS1_3genE10ELNS1_11target_archE1200ELNS1_3gpuE4ELNS1_3repE0EEENS1_30default_config_static_selectorELNS0_4arch9wavefront6targetE1EEEvT1_,comdat
.Lfunc_end6684:
	.size	_ZN7rocprim17ROCPRIM_400000_NS6detail17trampoline_kernelINS0_14default_configENS1_20scan_config_selectorIsEEZZNS1_9scan_implILNS1_25lookback_scan_determinismE0ELb0ELb0ES3_N6thrust23THRUST_200600_302600_NS6detail15normal_iteratorINS9_10device_ptrIsEEEESE_s9plus_mod3IsEsEEDaPvRmT3_T4_T5_mT6_P12ihipStream_tbENKUlT_T0_E_clISt17integral_constantIbLb0EESU_EEDaSP_SQ_EUlSP_E_NS1_11comp_targetILNS1_3genE10ELNS1_11target_archE1200ELNS1_3gpuE4ELNS1_3repE0EEENS1_30default_config_static_selectorELNS0_4arch9wavefront6targetE1EEEvT1_, .Lfunc_end6684-_ZN7rocprim17ROCPRIM_400000_NS6detail17trampoline_kernelINS0_14default_configENS1_20scan_config_selectorIsEEZZNS1_9scan_implILNS1_25lookback_scan_determinismE0ELb0ELb0ES3_N6thrust23THRUST_200600_302600_NS6detail15normal_iteratorINS9_10device_ptrIsEEEESE_s9plus_mod3IsEsEEDaPvRmT3_T4_T5_mT6_P12ihipStream_tbENKUlT_T0_E_clISt17integral_constantIbLb0EESU_EEDaSP_SQ_EUlSP_E_NS1_11comp_targetILNS1_3genE10ELNS1_11target_archE1200ELNS1_3gpuE4ELNS1_3repE0EEENS1_30default_config_static_selectorELNS0_4arch9wavefront6targetE1EEEvT1_
                                        ; -- End function
	.section	.AMDGPU.csdata,"",@progbits
; Kernel info:
; codeLenInByte = 0
; NumSgprs: 4
; NumVgprs: 0
; NumAgprs: 0
; TotalNumVgprs: 0
; ScratchSize: 0
; MemoryBound: 0
; FloatMode: 240
; IeeeMode: 1
; LDSByteSize: 0 bytes/workgroup (compile time only)
; SGPRBlocks: 0
; VGPRBlocks: 0
; NumSGPRsForWavesPerEU: 4
; NumVGPRsForWavesPerEU: 1
; AccumOffset: 4
; Occupancy: 8
; WaveLimiterHint : 0
; COMPUTE_PGM_RSRC2:SCRATCH_EN: 0
; COMPUTE_PGM_RSRC2:USER_SGPR: 6
; COMPUTE_PGM_RSRC2:TRAP_HANDLER: 0
; COMPUTE_PGM_RSRC2:TGID_X_EN: 1
; COMPUTE_PGM_RSRC2:TGID_Y_EN: 0
; COMPUTE_PGM_RSRC2:TGID_Z_EN: 0
; COMPUTE_PGM_RSRC2:TIDIG_COMP_CNT: 0
; COMPUTE_PGM_RSRC3_GFX90A:ACCUM_OFFSET: 0
; COMPUTE_PGM_RSRC3_GFX90A:TG_SPLIT: 0
	.section	.text._ZN7rocprim17ROCPRIM_400000_NS6detail17trampoline_kernelINS0_14default_configENS1_20scan_config_selectorIsEEZZNS1_9scan_implILNS1_25lookback_scan_determinismE0ELb0ELb0ES3_N6thrust23THRUST_200600_302600_NS6detail15normal_iteratorINS9_10device_ptrIsEEEESE_s9plus_mod3IsEsEEDaPvRmT3_T4_T5_mT6_P12ihipStream_tbENKUlT_T0_E_clISt17integral_constantIbLb0EESU_EEDaSP_SQ_EUlSP_E_NS1_11comp_targetILNS1_3genE9ELNS1_11target_archE1100ELNS1_3gpuE3ELNS1_3repE0EEENS1_30default_config_static_selectorELNS0_4arch9wavefront6targetE1EEEvT1_,"axG",@progbits,_ZN7rocprim17ROCPRIM_400000_NS6detail17trampoline_kernelINS0_14default_configENS1_20scan_config_selectorIsEEZZNS1_9scan_implILNS1_25lookback_scan_determinismE0ELb0ELb0ES3_N6thrust23THRUST_200600_302600_NS6detail15normal_iteratorINS9_10device_ptrIsEEEESE_s9plus_mod3IsEsEEDaPvRmT3_T4_T5_mT6_P12ihipStream_tbENKUlT_T0_E_clISt17integral_constantIbLb0EESU_EEDaSP_SQ_EUlSP_E_NS1_11comp_targetILNS1_3genE9ELNS1_11target_archE1100ELNS1_3gpuE3ELNS1_3repE0EEENS1_30default_config_static_selectorELNS0_4arch9wavefront6targetE1EEEvT1_,comdat
	.protected	_ZN7rocprim17ROCPRIM_400000_NS6detail17trampoline_kernelINS0_14default_configENS1_20scan_config_selectorIsEEZZNS1_9scan_implILNS1_25lookback_scan_determinismE0ELb0ELb0ES3_N6thrust23THRUST_200600_302600_NS6detail15normal_iteratorINS9_10device_ptrIsEEEESE_s9plus_mod3IsEsEEDaPvRmT3_T4_T5_mT6_P12ihipStream_tbENKUlT_T0_E_clISt17integral_constantIbLb0EESU_EEDaSP_SQ_EUlSP_E_NS1_11comp_targetILNS1_3genE9ELNS1_11target_archE1100ELNS1_3gpuE3ELNS1_3repE0EEENS1_30default_config_static_selectorELNS0_4arch9wavefront6targetE1EEEvT1_ ; -- Begin function _ZN7rocprim17ROCPRIM_400000_NS6detail17trampoline_kernelINS0_14default_configENS1_20scan_config_selectorIsEEZZNS1_9scan_implILNS1_25lookback_scan_determinismE0ELb0ELb0ES3_N6thrust23THRUST_200600_302600_NS6detail15normal_iteratorINS9_10device_ptrIsEEEESE_s9plus_mod3IsEsEEDaPvRmT3_T4_T5_mT6_P12ihipStream_tbENKUlT_T0_E_clISt17integral_constantIbLb0EESU_EEDaSP_SQ_EUlSP_E_NS1_11comp_targetILNS1_3genE9ELNS1_11target_archE1100ELNS1_3gpuE3ELNS1_3repE0EEENS1_30default_config_static_selectorELNS0_4arch9wavefront6targetE1EEEvT1_
	.globl	_ZN7rocprim17ROCPRIM_400000_NS6detail17trampoline_kernelINS0_14default_configENS1_20scan_config_selectorIsEEZZNS1_9scan_implILNS1_25lookback_scan_determinismE0ELb0ELb0ES3_N6thrust23THRUST_200600_302600_NS6detail15normal_iteratorINS9_10device_ptrIsEEEESE_s9plus_mod3IsEsEEDaPvRmT3_T4_T5_mT6_P12ihipStream_tbENKUlT_T0_E_clISt17integral_constantIbLb0EESU_EEDaSP_SQ_EUlSP_E_NS1_11comp_targetILNS1_3genE9ELNS1_11target_archE1100ELNS1_3gpuE3ELNS1_3repE0EEENS1_30default_config_static_selectorELNS0_4arch9wavefront6targetE1EEEvT1_
	.p2align	8
	.type	_ZN7rocprim17ROCPRIM_400000_NS6detail17trampoline_kernelINS0_14default_configENS1_20scan_config_selectorIsEEZZNS1_9scan_implILNS1_25lookback_scan_determinismE0ELb0ELb0ES3_N6thrust23THRUST_200600_302600_NS6detail15normal_iteratorINS9_10device_ptrIsEEEESE_s9plus_mod3IsEsEEDaPvRmT3_T4_T5_mT6_P12ihipStream_tbENKUlT_T0_E_clISt17integral_constantIbLb0EESU_EEDaSP_SQ_EUlSP_E_NS1_11comp_targetILNS1_3genE9ELNS1_11target_archE1100ELNS1_3gpuE3ELNS1_3repE0EEENS1_30default_config_static_selectorELNS0_4arch9wavefront6targetE1EEEvT1_,@function
_ZN7rocprim17ROCPRIM_400000_NS6detail17trampoline_kernelINS0_14default_configENS1_20scan_config_selectorIsEEZZNS1_9scan_implILNS1_25lookback_scan_determinismE0ELb0ELb0ES3_N6thrust23THRUST_200600_302600_NS6detail15normal_iteratorINS9_10device_ptrIsEEEESE_s9plus_mod3IsEsEEDaPvRmT3_T4_T5_mT6_P12ihipStream_tbENKUlT_T0_E_clISt17integral_constantIbLb0EESU_EEDaSP_SQ_EUlSP_E_NS1_11comp_targetILNS1_3genE9ELNS1_11target_archE1100ELNS1_3gpuE3ELNS1_3repE0EEENS1_30default_config_static_selectorELNS0_4arch9wavefront6targetE1EEEvT1_: ; @_ZN7rocprim17ROCPRIM_400000_NS6detail17trampoline_kernelINS0_14default_configENS1_20scan_config_selectorIsEEZZNS1_9scan_implILNS1_25lookback_scan_determinismE0ELb0ELb0ES3_N6thrust23THRUST_200600_302600_NS6detail15normal_iteratorINS9_10device_ptrIsEEEESE_s9plus_mod3IsEsEEDaPvRmT3_T4_T5_mT6_P12ihipStream_tbENKUlT_T0_E_clISt17integral_constantIbLb0EESU_EEDaSP_SQ_EUlSP_E_NS1_11comp_targetILNS1_3genE9ELNS1_11target_archE1100ELNS1_3gpuE3ELNS1_3repE0EEENS1_30default_config_static_selectorELNS0_4arch9wavefront6targetE1EEEvT1_
; %bb.0:
	.section	.rodata,"a",@progbits
	.p2align	6, 0x0
	.amdhsa_kernel _ZN7rocprim17ROCPRIM_400000_NS6detail17trampoline_kernelINS0_14default_configENS1_20scan_config_selectorIsEEZZNS1_9scan_implILNS1_25lookback_scan_determinismE0ELb0ELb0ES3_N6thrust23THRUST_200600_302600_NS6detail15normal_iteratorINS9_10device_ptrIsEEEESE_s9plus_mod3IsEsEEDaPvRmT3_T4_T5_mT6_P12ihipStream_tbENKUlT_T0_E_clISt17integral_constantIbLb0EESU_EEDaSP_SQ_EUlSP_E_NS1_11comp_targetILNS1_3genE9ELNS1_11target_archE1100ELNS1_3gpuE3ELNS1_3repE0EEENS1_30default_config_static_selectorELNS0_4arch9wavefront6targetE1EEEvT1_
		.amdhsa_group_segment_fixed_size 0
		.amdhsa_private_segment_fixed_size 0
		.amdhsa_kernarg_size 104
		.amdhsa_user_sgpr_count 6
		.amdhsa_user_sgpr_private_segment_buffer 1
		.amdhsa_user_sgpr_dispatch_ptr 0
		.amdhsa_user_sgpr_queue_ptr 0
		.amdhsa_user_sgpr_kernarg_segment_ptr 1
		.amdhsa_user_sgpr_dispatch_id 0
		.amdhsa_user_sgpr_flat_scratch_init 0
		.amdhsa_user_sgpr_kernarg_preload_length 0
		.amdhsa_user_sgpr_kernarg_preload_offset 0
		.amdhsa_user_sgpr_private_segment_size 0
		.amdhsa_uses_dynamic_stack 0
		.amdhsa_system_sgpr_private_segment_wavefront_offset 0
		.amdhsa_system_sgpr_workgroup_id_x 1
		.amdhsa_system_sgpr_workgroup_id_y 0
		.amdhsa_system_sgpr_workgroup_id_z 0
		.amdhsa_system_sgpr_workgroup_info 0
		.amdhsa_system_vgpr_workitem_id 0
		.amdhsa_next_free_vgpr 1
		.amdhsa_next_free_sgpr 0
		.amdhsa_accum_offset 4
		.amdhsa_reserve_vcc 0
		.amdhsa_reserve_flat_scratch 0
		.amdhsa_float_round_mode_32 0
		.amdhsa_float_round_mode_16_64 0
		.amdhsa_float_denorm_mode_32 3
		.amdhsa_float_denorm_mode_16_64 3
		.amdhsa_dx10_clamp 1
		.amdhsa_ieee_mode 1
		.amdhsa_fp16_overflow 0
		.amdhsa_tg_split 0
		.amdhsa_exception_fp_ieee_invalid_op 0
		.amdhsa_exception_fp_denorm_src 0
		.amdhsa_exception_fp_ieee_div_zero 0
		.amdhsa_exception_fp_ieee_overflow 0
		.amdhsa_exception_fp_ieee_underflow 0
		.amdhsa_exception_fp_ieee_inexact 0
		.amdhsa_exception_int_div_zero 0
	.end_amdhsa_kernel
	.section	.text._ZN7rocprim17ROCPRIM_400000_NS6detail17trampoline_kernelINS0_14default_configENS1_20scan_config_selectorIsEEZZNS1_9scan_implILNS1_25lookback_scan_determinismE0ELb0ELb0ES3_N6thrust23THRUST_200600_302600_NS6detail15normal_iteratorINS9_10device_ptrIsEEEESE_s9plus_mod3IsEsEEDaPvRmT3_T4_T5_mT6_P12ihipStream_tbENKUlT_T0_E_clISt17integral_constantIbLb0EESU_EEDaSP_SQ_EUlSP_E_NS1_11comp_targetILNS1_3genE9ELNS1_11target_archE1100ELNS1_3gpuE3ELNS1_3repE0EEENS1_30default_config_static_selectorELNS0_4arch9wavefront6targetE1EEEvT1_,"axG",@progbits,_ZN7rocprim17ROCPRIM_400000_NS6detail17trampoline_kernelINS0_14default_configENS1_20scan_config_selectorIsEEZZNS1_9scan_implILNS1_25lookback_scan_determinismE0ELb0ELb0ES3_N6thrust23THRUST_200600_302600_NS6detail15normal_iteratorINS9_10device_ptrIsEEEESE_s9plus_mod3IsEsEEDaPvRmT3_T4_T5_mT6_P12ihipStream_tbENKUlT_T0_E_clISt17integral_constantIbLb0EESU_EEDaSP_SQ_EUlSP_E_NS1_11comp_targetILNS1_3genE9ELNS1_11target_archE1100ELNS1_3gpuE3ELNS1_3repE0EEENS1_30default_config_static_selectorELNS0_4arch9wavefront6targetE1EEEvT1_,comdat
.Lfunc_end6685:
	.size	_ZN7rocprim17ROCPRIM_400000_NS6detail17trampoline_kernelINS0_14default_configENS1_20scan_config_selectorIsEEZZNS1_9scan_implILNS1_25lookback_scan_determinismE0ELb0ELb0ES3_N6thrust23THRUST_200600_302600_NS6detail15normal_iteratorINS9_10device_ptrIsEEEESE_s9plus_mod3IsEsEEDaPvRmT3_T4_T5_mT6_P12ihipStream_tbENKUlT_T0_E_clISt17integral_constantIbLb0EESU_EEDaSP_SQ_EUlSP_E_NS1_11comp_targetILNS1_3genE9ELNS1_11target_archE1100ELNS1_3gpuE3ELNS1_3repE0EEENS1_30default_config_static_selectorELNS0_4arch9wavefront6targetE1EEEvT1_, .Lfunc_end6685-_ZN7rocprim17ROCPRIM_400000_NS6detail17trampoline_kernelINS0_14default_configENS1_20scan_config_selectorIsEEZZNS1_9scan_implILNS1_25lookback_scan_determinismE0ELb0ELb0ES3_N6thrust23THRUST_200600_302600_NS6detail15normal_iteratorINS9_10device_ptrIsEEEESE_s9plus_mod3IsEsEEDaPvRmT3_T4_T5_mT6_P12ihipStream_tbENKUlT_T0_E_clISt17integral_constantIbLb0EESU_EEDaSP_SQ_EUlSP_E_NS1_11comp_targetILNS1_3genE9ELNS1_11target_archE1100ELNS1_3gpuE3ELNS1_3repE0EEENS1_30default_config_static_selectorELNS0_4arch9wavefront6targetE1EEEvT1_
                                        ; -- End function
	.section	.AMDGPU.csdata,"",@progbits
; Kernel info:
; codeLenInByte = 0
; NumSgprs: 4
; NumVgprs: 0
; NumAgprs: 0
; TotalNumVgprs: 0
; ScratchSize: 0
; MemoryBound: 0
; FloatMode: 240
; IeeeMode: 1
; LDSByteSize: 0 bytes/workgroup (compile time only)
; SGPRBlocks: 0
; VGPRBlocks: 0
; NumSGPRsForWavesPerEU: 4
; NumVGPRsForWavesPerEU: 1
; AccumOffset: 4
; Occupancy: 8
; WaveLimiterHint : 0
; COMPUTE_PGM_RSRC2:SCRATCH_EN: 0
; COMPUTE_PGM_RSRC2:USER_SGPR: 6
; COMPUTE_PGM_RSRC2:TRAP_HANDLER: 0
; COMPUTE_PGM_RSRC2:TGID_X_EN: 1
; COMPUTE_PGM_RSRC2:TGID_Y_EN: 0
; COMPUTE_PGM_RSRC2:TGID_Z_EN: 0
; COMPUTE_PGM_RSRC2:TIDIG_COMP_CNT: 0
; COMPUTE_PGM_RSRC3_GFX90A:ACCUM_OFFSET: 0
; COMPUTE_PGM_RSRC3_GFX90A:TG_SPLIT: 0
	.section	.text._ZN7rocprim17ROCPRIM_400000_NS6detail17trampoline_kernelINS0_14default_configENS1_20scan_config_selectorIsEEZZNS1_9scan_implILNS1_25lookback_scan_determinismE0ELb0ELb0ES3_N6thrust23THRUST_200600_302600_NS6detail15normal_iteratorINS9_10device_ptrIsEEEESE_s9plus_mod3IsEsEEDaPvRmT3_T4_T5_mT6_P12ihipStream_tbENKUlT_T0_E_clISt17integral_constantIbLb0EESU_EEDaSP_SQ_EUlSP_E_NS1_11comp_targetILNS1_3genE8ELNS1_11target_archE1030ELNS1_3gpuE2ELNS1_3repE0EEENS1_30default_config_static_selectorELNS0_4arch9wavefront6targetE1EEEvT1_,"axG",@progbits,_ZN7rocprim17ROCPRIM_400000_NS6detail17trampoline_kernelINS0_14default_configENS1_20scan_config_selectorIsEEZZNS1_9scan_implILNS1_25lookback_scan_determinismE0ELb0ELb0ES3_N6thrust23THRUST_200600_302600_NS6detail15normal_iteratorINS9_10device_ptrIsEEEESE_s9plus_mod3IsEsEEDaPvRmT3_T4_T5_mT6_P12ihipStream_tbENKUlT_T0_E_clISt17integral_constantIbLb0EESU_EEDaSP_SQ_EUlSP_E_NS1_11comp_targetILNS1_3genE8ELNS1_11target_archE1030ELNS1_3gpuE2ELNS1_3repE0EEENS1_30default_config_static_selectorELNS0_4arch9wavefront6targetE1EEEvT1_,comdat
	.protected	_ZN7rocprim17ROCPRIM_400000_NS6detail17trampoline_kernelINS0_14default_configENS1_20scan_config_selectorIsEEZZNS1_9scan_implILNS1_25lookback_scan_determinismE0ELb0ELb0ES3_N6thrust23THRUST_200600_302600_NS6detail15normal_iteratorINS9_10device_ptrIsEEEESE_s9plus_mod3IsEsEEDaPvRmT3_T4_T5_mT6_P12ihipStream_tbENKUlT_T0_E_clISt17integral_constantIbLb0EESU_EEDaSP_SQ_EUlSP_E_NS1_11comp_targetILNS1_3genE8ELNS1_11target_archE1030ELNS1_3gpuE2ELNS1_3repE0EEENS1_30default_config_static_selectorELNS0_4arch9wavefront6targetE1EEEvT1_ ; -- Begin function _ZN7rocprim17ROCPRIM_400000_NS6detail17trampoline_kernelINS0_14default_configENS1_20scan_config_selectorIsEEZZNS1_9scan_implILNS1_25lookback_scan_determinismE0ELb0ELb0ES3_N6thrust23THRUST_200600_302600_NS6detail15normal_iteratorINS9_10device_ptrIsEEEESE_s9plus_mod3IsEsEEDaPvRmT3_T4_T5_mT6_P12ihipStream_tbENKUlT_T0_E_clISt17integral_constantIbLb0EESU_EEDaSP_SQ_EUlSP_E_NS1_11comp_targetILNS1_3genE8ELNS1_11target_archE1030ELNS1_3gpuE2ELNS1_3repE0EEENS1_30default_config_static_selectorELNS0_4arch9wavefront6targetE1EEEvT1_
	.globl	_ZN7rocprim17ROCPRIM_400000_NS6detail17trampoline_kernelINS0_14default_configENS1_20scan_config_selectorIsEEZZNS1_9scan_implILNS1_25lookback_scan_determinismE0ELb0ELb0ES3_N6thrust23THRUST_200600_302600_NS6detail15normal_iteratorINS9_10device_ptrIsEEEESE_s9plus_mod3IsEsEEDaPvRmT3_T4_T5_mT6_P12ihipStream_tbENKUlT_T0_E_clISt17integral_constantIbLb0EESU_EEDaSP_SQ_EUlSP_E_NS1_11comp_targetILNS1_3genE8ELNS1_11target_archE1030ELNS1_3gpuE2ELNS1_3repE0EEENS1_30default_config_static_selectorELNS0_4arch9wavefront6targetE1EEEvT1_
	.p2align	8
	.type	_ZN7rocprim17ROCPRIM_400000_NS6detail17trampoline_kernelINS0_14default_configENS1_20scan_config_selectorIsEEZZNS1_9scan_implILNS1_25lookback_scan_determinismE0ELb0ELb0ES3_N6thrust23THRUST_200600_302600_NS6detail15normal_iteratorINS9_10device_ptrIsEEEESE_s9plus_mod3IsEsEEDaPvRmT3_T4_T5_mT6_P12ihipStream_tbENKUlT_T0_E_clISt17integral_constantIbLb0EESU_EEDaSP_SQ_EUlSP_E_NS1_11comp_targetILNS1_3genE8ELNS1_11target_archE1030ELNS1_3gpuE2ELNS1_3repE0EEENS1_30default_config_static_selectorELNS0_4arch9wavefront6targetE1EEEvT1_,@function
_ZN7rocprim17ROCPRIM_400000_NS6detail17trampoline_kernelINS0_14default_configENS1_20scan_config_selectorIsEEZZNS1_9scan_implILNS1_25lookback_scan_determinismE0ELb0ELb0ES3_N6thrust23THRUST_200600_302600_NS6detail15normal_iteratorINS9_10device_ptrIsEEEESE_s9plus_mod3IsEsEEDaPvRmT3_T4_T5_mT6_P12ihipStream_tbENKUlT_T0_E_clISt17integral_constantIbLb0EESU_EEDaSP_SQ_EUlSP_E_NS1_11comp_targetILNS1_3genE8ELNS1_11target_archE1030ELNS1_3gpuE2ELNS1_3repE0EEENS1_30default_config_static_selectorELNS0_4arch9wavefront6targetE1EEEvT1_: ; @_ZN7rocprim17ROCPRIM_400000_NS6detail17trampoline_kernelINS0_14default_configENS1_20scan_config_selectorIsEEZZNS1_9scan_implILNS1_25lookback_scan_determinismE0ELb0ELb0ES3_N6thrust23THRUST_200600_302600_NS6detail15normal_iteratorINS9_10device_ptrIsEEEESE_s9plus_mod3IsEsEEDaPvRmT3_T4_T5_mT6_P12ihipStream_tbENKUlT_T0_E_clISt17integral_constantIbLb0EESU_EEDaSP_SQ_EUlSP_E_NS1_11comp_targetILNS1_3genE8ELNS1_11target_archE1030ELNS1_3gpuE2ELNS1_3repE0EEENS1_30default_config_static_selectorELNS0_4arch9wavefront6targetE1EEEvT1_
; %bb.0:
	.section	.rodata,"a",@progbits
	.p2align	6, 0x0
	.amdhsa_kernel _ZN7rocprim17ROCPRIM_400000_NS6detail17trampoline_kernelINS0_14default_configENS1_20scan_config_selectorIsEEZZNS1_9scan_implILNS1_25lookback_scan_determinismE0ELb0ELb0ES3_N6thrust23THRUST_200600_302600_NS6detail15normal_iteratorINS9_10device_ptrIsEEEESE_s9plus_mod3IsEsEEDaPvRmT3_T4_T5_mT6_P12ihipStream_tbENKUlT_T0_E_clISt17integral_constantIbLb0EESU_EEDaSP_SQ_EUlSP_E_NS1_11comp_targetILNS1_3genE8ELNS1_11target_archE1030ELNS1_3gpuE2ELNS1_3repE0EEENS1_30default_config_static_selectorELNS0_4arch9wavefront6targetE1EEEvT1_
		.amdhsa_group_segment_fixed_size 0
		.amdhsa_private_segment_fixed_size 0
		.amdhsa_kernarg_size 104
		.amdhsa_user_sgpr_count 6
		.amdhsa_user_sgpr_private_segment_buffer 1
		.amdhsa_user_sgpr_dispatch_ptr 0
		.amdhsa_user_sgpr_queue_ptr 0
		.amdhsa_user_sgpr_kernarg_segment_ptr 1
		.amdhsa_user_sgpr_dispatch_id 0
		.amdhsa_user_sgpr_flat_scratch_init 0
		.amdhsa_user_sgpr_kernarg_preload_length 0
		.amdhsa_user_sgpr_kernarg_preload_offset 0
		.amdhsa_user_sgpr_private_segment_size 0
		.amdhsa_uses_dynamic_stack 0
		.amdhsa_system_sgpr_private_segment_wavefront_offset 0
		.amdhsa_system_sgpr_workgroup_id_x 1
		.amdhsa_system_sgpr_workgroup_id_y 0
		.amdhsa_system_sgpr_workgroup_id_z 0
		.amdhsa_system_sgpr_workgroup_info 0
		.amdhsa_system_vgpr_workitem_id 0
		.amdhsa_next_free_vgpr 1
		.amdhsa_next_free_sgpr 0
		.amdhsa_accum_offset 4
		.amdhsa_reserve_vcc 0
		.amdhsa_reserve_flat_scratch 0
		.amdhsa_float_round_mode_32 0
		.amdhsa_float_round_mode_16_64 0
		.amdhsa_float_denorm_mode_32 3
		.amdhsa_float_denorm_mode_16_64 3
		.amdhsa_dx10_clamp 1
		.amdhsa_ieee_mode 1
		.amdhsa_fp16_overflow 0
		.amdhsa_tg_split 0
		.amdhsa_exception_fp_ieee_invalid_op 0
		.amdhsa_exception_fp_denorm_src 0
		.amdhsa_exception_fp_ieee_div_zero 0
		.amdhsa_exception_fp_ieee_overflow 0
		.amdhsa_exception_fp_ieee_underflow 0
		.amdhsa_exception_fp_ieee_inexact 0
		.amdhsa_exception_int_div_zero 0
	.end_amdhsa_kernel
	.section	.text._ZN7rocprim17ROCPRIM_400000_NS6detail17trampoline_kernelINS0_14default_configENS1_20scan_config_selectorIsEEZZNS1_9scan_implILNS1_25lookback_scan_determinismE0ELb0ELb0ES3_N6thrust23THRUST_200600_302600_NS6detail15normal_iteratorINS9_10device_ptrIsEEEESE_s9plus_mod3IsEsEEDaPvRmT3_T4_T5_mT6_P12ihipStream_tbENKUlT_T0_E_clISt17integral_constantIbLb0EESU_EEDaSP_SQ_EUlSP_E_NS1_11comp_targetILNS1_3genE8ELNS1_11target_archE1030ELNS1_3gpuE2ELNS1_3repE0EEENS1_30default_config_static_selectorELNS0_4arch9wavefront6targetE1EEEvT1_,"axG",@progbits,_ZN7rocprim17ROCPRIM_400000_NS6detail17trampoline_kernelINS0_14default_configENS1_20scan_config_selectorIsEEZZNS1_9scan_implILNS1_25lookback_scan_determinismE0ELb0ELb0ES3_N6thrust23THRUST_200600_302600_NS6detail15normal_iteratorINS9_10device_ptrIsEEEESE_s9plus_mod3IsEsEEDaPvRmT3_T4_T5_mT6_P12ihipStream_tbENKUlT_T0_E_clISt17integral_constantIbLb0EESU_EEDaSP_SQ_EUlSP_E_NS1_11comp_targetILNS1_3genE8ELNS1_11target_archE1030ELNS1_3gpuE2ELNS1_3repE0EEENS1_30default_config_static_selectorELNS0_4arch9wavefront6targetE1EEEvT1_,comdat
.Lfunc_end6686:
	.size	_ZN7rocprim17ROCPRIM_400000_NS6detail17trampoline_kernelINS0_14default_configENS1_20scan_config_selectorIsEEZZNS1_9scan_implILNS1_25lookback_scan_determinismE0ELb0ELb0ES3_N6thrust23THRUST_200600_302600_NS6detail15normal_iteratorINS9_10device_ptrIsEEEESE_s9plus_mod3IsEsEEDaPvRmT3_T4_T5_mT6_P12ihipStream_tbENKUlT_T0_E_clISt17integral_constantIbLb0EESU_EEDaSP_SQ_EUlSP_E_NS1_11comp_targetILNS1_3genE8ELNS1_11target_archE1030ELNS1_3gpuE2ELNS1_3repE0EEENS1_30default_config_static_selectorELNS0_4arch9wavefront6targetE1EEEvT1_, .Lfunc_end6686-_ZN7rocprim17ROCPRIM_400000_NS6detail17trampoline_kernelINS0_14default_configENS1_20scan_config_selectorIsEEZZNS1_9scan_implILNS1_25lookback_scan_determinismE0ELb0ELb0ES3_N6thrust23THRUST_200600_302600_NS6detail15normal_iteratorINS9_10device_ptrIsEEEESE_s9plus_mod3IsEsEEDaPvRmT3_T4_T5_mT6_P12ihipStream_tbENKUlT_T0_E_clISt17integral_constantIbLb0EESU_EEDaSP_SQ_EUlSP_E_NS1_11comp_targetILNS1_3genE8ELNS1_11target_archE1030ELNS1_3gpuE2ELNS1_3repE0EEENS1_30default_config_static_selectorELNS0_4arch9wavefront6targetE1EEEvT1_
                                        ; -- End function
	.section	.AMDGPU.csdata,"",@progbits
; Kernel info:
; codeLenInByte = 0
; NumSgprs: 4
; NumVgprs: 0
; NumAgprs: 0
; TotalNumVgprs: 0
; ScratchSize: 0
; MemoryBound: 0
; FloatMode: 240
; IeeeMode: 1
; LDSByteSize: 0 bytes/workgroup (compile time only)
; SGPRBlocks: 0
; VGPRBlocks: 0
; NumSGPRsForWavesPerEU: 4
; NumVGPRsForWavesPerEU: 1
; AccumOffset: 4
; Occupancy: 8
; WaveLimiterHint : 0
; COMPUTE_PGM_RSRC2:SCRATCH_EN: 0
; COMPUTE_PGM_RSRC2:USER_SGPR: 6
; COMPUTE_PGM_RSRC2:TRAP_HANDLER: 0
; COMPUTE_PGM_RSRC2:TGID_X_EN: 1
; COMPUTE_PGM_RSRC2:TGID_Y_EN: 0
; COMPUTE_PGM_RSRC2:TGID_Z_EN: 0
; COMPUTE_PGM_RSRC2:TIDIG_COMP_CNT: 0
; COMPUTE_PGM_RSRC3_GFX90A:ACCUM_OFFSET: 0
; COMPUTE_PGM_RSRC3_GFX90A:TG_SPLIT: 0
	.section	.text._ZN7rocprim17ROCPRIM_400000_NS6detail17trampoline_kernelINS0_14default_configENS1_20scan_config_selectorIsEEZZNS1_9scan_implILNS1_25lookback_scan_determinismE0ELb0ELb0ES3_N6thrust23THRUST_200600_302600_NS6detail15normal_iteratorINS9_10device_ptrIsEEEESE_s9plus_mod3IsEsEEDaPvRmT3_T4_T5_mT6_P12ihipStream_tbENKUlT_T0_E_clISt17integral_constantIbLb0EESU_EEDaSP_SQ_EUlSP_E0_NS1_11comp_targetILNS1_3genE0ELNS1_11target_archE4294967295ELNS1_3gpuE0ELNS1_3repE0EEENS1_30default_config_static_selectorELNS0_4arch9wavefront6targetE1EEEvT1_,"axG",@progbits,_ZN7rocprim17ROCPRIM_400000_NS6detail17trampoline_kernelINS0_14default_configENS1_20scan_config_selectorIsEEZZNS1_9scan_implILNS1_25lookback_scan_determinismE0ELb0ELb0ES3_N6thrust23THRUST_200600_302600_NS6detail15normal_iteratorINS9_10device_ptrIsEEEESE_s9plus_mod3IsEsEEDaPvRmT3_T4_T5_mT6_P12ihipStream_tbENKUlT_T0_E_clISt17integral_constantIbLb0EESU_EEDaSP_SQ_EUlSP_E0_NS1_11comp_targetILNS1_3genE0ELNS1_11target_archE4294967295ELNS1_3gpuE0ELNS1_3repE0EEENS1_30default_config_static_selectorELNS0_4arch9wavefront6targetE1EEEvT1_,comdat
	.protected	_ZN7rocprim17ROCPRIM_400000_NS6detail17trampoline_kernelINS0_14default_configENS1_20scan_config_selectorIsEEZZNS1_9scan_implILNS1_25lookback_scan_determinismE0ELb0ELb0ES3_N6thrust23THRUST_200600_302600_NS6detail15normal_iteratorINS9_10device_ptrIsEEEESE_s9plus_mod3IsEsEEDaPvRmT3_T4_T5_mT6_P12ihipStream_tbENKUlT_T0_E_clISt17integral_constantIbLb0EESU_EEDaSP_SQ_EUlSP_E0_NS1_11comp_targetILNS1_3genE0ELNS1_11target_archE4294967295ELNS1_3gpuE0ELNS1_3repE0EEENS1_30default_config_static_selectorELNS0_4arch9wavefront6targetE1EEEvT1_ ; -- Begin function _ZN7rocprim17ROCPRIM_400000_NS6detail17trampoline_kernelINS0_14default_configENS1_20scan_config_selectorIsEEZZNS1_9scan_implILNS1_25lookback_scan_determinismE0ELb0ELb0ES3_N6thrust23THRUST_200600_302600_NS6detail15normal_iteratorINS9_10device_ptrIsEEEESE_s9plus_mod3IsEsEEDaPvRmT3_T4_T5_mT6_P12ihipStream_tbENKUlT_T0_E_clISt17integral_constantIbLb0EESU_EEDaSP_SQ_EUlSP_E0_NS1_11comp_targetILNS1_3genE0ELNS1_11target_archE4294967295ELNS1_3gpuE0ELNS1_3repE0EEENS1_30default_config_static_selectorELNS0_4arch9wavefront6targetE1EEEvT1_
	.globl	_ZN7rocprim17ROCPRIM_400000_NS6detail17trampoline_kernelINS0_14default_configENS1_20scan_config_selectorIsEEZZNS1_9scan_implILNS1_25lookback_scan_determinismE0ELb0ELb0ES3_N6thrust23THRUST_200600_302600_NS6detail15normal_iteratorINS9_10device_ptrIsEEEESE_s9plus_mod3IsEsEEDaPvRmT3_T4_T5_mT6_P12ihipStream_tbENKUlT_T0_E_clISt17integral_constantIbLb0EESU_EEDaSP_SQ_EUlSP_E0_NS1_11comp_targetILNS1_3genE0ELNS1_11target_archE4294967295ELNS1_3gpuE0ELNS1_3repE0EEENS1_30default_config_static_selectorELNS0_4arch9wavefront6targetE1EEEvT1_
	.p2align	8
	.type	_ZN7rocprim17ROCPRIM_400000_NS6detail17trampoline_kernelINS0_14default_configENS1_20scan_config_selectorIsEEZZNS1_9scan_implILNS1_25lookback_scan_determinismE0ELb0ELb0ES3_N6thrust23THRUST_200600_302600_NS6detail15normal_iteratorINS9_10device_ptrIsEEEESE_s9plus_mod3IsEsEEDaPvRmT3_T4_T5_mT6_P12ihipStream_tbENKUlT_T0_E_clISt17integral_constantIbLb0EESU_EEDaSP_SQ_EUlSP_E0_NS1_11comp_targetILNS1_3genE0ELNS1_11target_archE4294967295ELNS1_3gpuE0ELNS1_3repE0EEENS1_30default_config_static_selectorELNS0_4arch9wavefront6targetE1EEEvT1_,@function
_ZN7rocprim17ROCPRIM_400000_NS6detail17trampoline_kernelINS0_14default_configENS1_20scan_config_selectorIsEEZZNS1_9scan_implILNS1_25lookback_scan_determinismE0ELb0ELb0ES3_N6thrust23THRUST_200600_302600_NS6detail15normal_iteratorINS9_10device_ptrIsEEEESE_s9plus_mod3IsEsEEDaPvRmT3_T4_T5_mT6_P12ihipStream_tbENKUlT_T0_E_clISt17integral_constantIbLb0EESU_EEDaSP_SQ_EUlSP_E0_NS1_11comp_targetILNS1_3genE0ELNS1_11target_archE4294967295ELNS1_3gpuE0ELNS1_3repE0EEENS1_30default_config_static_selectorELNS0_4arch9wavefront6targetE1EEEvT1_: ; @_ZN7rocprim17ROCPRIM_400000_NS6detail17trampoline_kernelINS0_14default_configENS1_20scan_config_selectorIsEEZZNS1_9scan_implILNS1_25lookback_scan_determinismE0ELb0ELb0ES3_N6thrust23THRUST_200600_302600_NS6detail15normal_iteratorINS9_10device_ptrIsEEEESE_s9plus_mod3IsEsEEDaPvRmT3_T4_T5_mT6_P12ihipStream_tbENKUlT_T0_E_clISt17integral_constantIbLb0EESU_EEDaSP_SQ_EUlSP_E0_NS1_11comp_targetILNS1_3genE0ELNS1_11target_archE4294967295ELNS1_3gpuE0ELNS1_3repE0EEENS1_30default_config_static_selectorELNS0_4arch9wavefront6targetE1EEEvT1_
; %bb.0:
	.section	.rodata,"a",@progbits
	.p2align	6, 0x0
	.amdhsa_kernel _ZN7rocprim17ROCPRIM_400000_NS6detail17trampoline_kernelINS0_14default_configENS1_20scan_config_selectorIsEEZZNS1_9scan_implILNS1_25lookback_scan_determinismE0ELb0ELb0ES3_N6thrust23THRUST_200600_302600_NS6detail15normal_iteratorINS9_10device_ptrIsEEEESE_s9plus_mod3IsEsEEDaPvRmT3_T4_T5_mT6_P12ihipStream_tbENKUlT_T0_E_clISt17integral_constantIbLb0EESU_EEDaSP_SQ_EUlSP_E0_NS1_11comp_targetILNS1_3genE0ELNS1_11target_archE4294967295ELNS1_3gpuE0ELNS1_3repE0EEENS1_30default_config_static_selectorELNS0_4arch9wavefront6targetE1EEEvT1_
		.amdhsa_group_segment_fixed_size 0
		.amdhsa_private_segment_fixed_size 0
		.amdhsa_kernarg_size 40
		.amdhsa_user_sgpr_count 6
		.amdhsa_user_sgpr_private_segment_buffer 1
		.amdhsa_user_sgpr_dispatch_ptr 0
		.amdhsa_user_sgpr_queue_ptr 0
		.amdhsa_user_sgpr_kernarg_segment_ptr 1
		.amdhsa_user_sgpr_dispatch_id 0
		.amdhsa_user_sgpr_flat_scratch_init 0
		.amdhsa_user_sgpr_kernarg_preload_length 0
		.amdhsa_user_sgpr_kernarg_preload_offset 0
		.amdhsa_user_sgpr_private_segment_size 0
		.amdhsa_uses_dynamic_stack 0
		.amdhsa_system_sgpr_private_segment_wavefront_offset 0
		.amdhsa_system_sgpr_workgroup_id_x 1
		.amdhsa_system_sgpr_workgroup_id_y 0
		.amdhsa_system_sgpr_workgroup_id_z 0
		.amdhsa_system_sgpr_workgroup_info 0
		.amdhsa_system_vgpr_workitem_id 0
		.amdhsa_next_free_vgpr 1
		.amdhsa_next_free_sgpr 0
		.amdhsa_accum_offset 4
		.amdhsa_reserve_vcc 0
		.amdhsa_reserve_flat_scratch 0
		.amdhsa_float_round_mode_32 0
		.amdhsa_float_round_mode_16_64 0
		.amdhsa_float_denorm_mode_32 3
		.amdhsa_float_denorm_mode_16_64 3
		.amdhsa_dx10_clamp 1
		.amdhsa_ieee_mode 1
		.amdhsa_fp16_overflow 0
		.amdhsa_tg_split 0
		.amdhsa_exception_fp_ieee_invalid_op 0
		.amdhsa_exception_fp_denorm_src 0
		.amdhsa_exception_fp_ieee_div_zero 0
		.amdhsa_exception_fp_ieee_overflow 0
		.amdhsa_exception_fp_ieee_underflow 0
		.amdhsa_exception_fp_ieee_inexact 0
		.amdhsa_exception_int_div_zero 0
	.end_amdhsa_kernel
	.section	.text._ZN7rocprim17ROCPRIM_400000_NS6detail17trampoline_kernelINS0_14default_configENS1_20scan_config_selectorIsEEZZNS1_9scan_implILNS1_25lookback_scan_determinismE0ELb0ELb0ES3_N6thrust23THRUST_200600_302600_NS6detail15normal_iteratorINS9_10device_ptrIsEEEESE_s9plus_mod3IsEsEEDaPvRmT3_T4_T5_mT6_P12ihipStream_tbENKUlT_T0_E_clISt17integral_constantIbLb0EESU_EEDaSP_SQ_EUlSP_E0_NS1_11comp_targetILNS1_3genE0ELNS1_11target_archE4294967295ELNS1_3gpuE0ELNS1_3repE0EEENS1_30default_config_static_selectorELNS0_4arch9wavefront6targetE1EEEvT1_,"axG",@progbits,_ZN7rocprim17ROCPRIM_400000_NS6detail17trampoline_kernelINS0_14default_configENS1_20scan_config_selectorIsEEZZNS1_9scan_implILNS1_25lookback_scan_determinismE0ELb0ELb0ES3_N6thrust23THRUST_200600_302600_NS6detail15normal_iteratorINS9_10device_ptrIsEEEESE_s9plus_mod3IsEsEEDaPvRmT3_T4_T5_mT6_P12ihipStream_tbENKUlT_T0_E_clISt17integral_constantIbLb0EESU_EEDaSP_SQ_EUlSP_E0_NS1_11comp_targetILNS1_3genE0ELNS1_11target_archE4294967295ELNS1_3gpuE0ELNS1_3repE0EEENS1_30default_config_static_selectorELNS0_4arch9wavefront6targetE1EEEvT1_,comdat
.Lfunc_end6687:
	.size	_ZN7rocprim17ROCPRIM_400000_NS6detail17trampoline_kernelINS0_14default_configENS1_20scan_config_selectorIsEEZZNS1_9scan_implILNS1_25lookback_scan_determinismE0ELb0ELb0ES3_N6thrust23THRUST_200600_302600_NS6detail15normal_iteratorINS9_10device_ptrIsEEEESE_s9plus_mod3IsEsEEDaPvRmT3_T4_T5_mT6_P12ihipStream_tbENKUlT_T0_E_clISt17integral_constantIbLb0EESU_EEDaSP_SQ_EUlSP_E0_NS1_11comp_targetILNS1_3genE0ELNS1_11target_archE4294967295ELNS1_3gpuE0ELNS1_3repE0EEENS1_30default_config_static_selectorELNS0_4arch9wavefront6targetE1EEEvT1_, .Lfunc_end6687-_ZN7rocprim17ROCPRIM_400000_NS6detail17trampoline_kernelINS0_14default_configENS1_20scan_config_selectorIsEEZZNS1_9scan_implILNS1_25lookback_scan_determinismE0ELb0ELb0ES3_N6thrust23THRUST_200600_302600_NS6detail15normal_iteratorINS9_10device_ptrIsEEEESE_s9plus_mod3IsEsEEDaPvRmT3_T4_T5_mT6_P12ihipStream_tbENKUlT_T0_E_clISt17integral_constantIbLb0EESU_EEDaSP_SQ_EUlSP_E0_NS1_11comp_targetILNS1_3genE0ELNS1_11target_archE4294967295ELNS1_3gpuE0ELNS1_3repE0EEENS1_30default_config_static_selectorELNS0_4arch9wavefront6targetE1EEEvT1_
                                        ; -- End function
	.section	.AMDGPU.csdata,"",@progbits
; Kernel info:
; codeLenInByte = 0
; NumSgprs: 4
; NumVgprs: 0
; NumAgprs: 0
; TotalNumVgprs: 0
; ScratchSize: 0
; MemoryBound: 0
; FloatMode: 240
; IeeeMode: 1
; LDSByteSize: 0 bytes/workgroup (compile time only)
; SGPRBlocks: 0
; VGPRBlocks: 0
; NumSGPRsForWavesPerEU: 4
; NumVGPRsForWavesPerEU: 1
; AccumOffset: 4
; Occupancy: 8
; WaveLimiterHint : 0
; COMPUTE_PGM_RSRC2:SCRATCH_EN: 0
; COMPUTE_PGM_RSRC2:USER_SGPR: 6
; COMPUTE_PGM_RSRC2:TRAP_HANDLER: 0
; COMPUTE_PGM_RSRC2:TGID_X_EN: 1
; COMPUTE_PGM_RSRC2:TGID_Y_EN: 0
; COMPUTE_PGM_RSRC2:TGID_Z_EN: 0
; COMPUTE_PGM_RSRC2:TIDIG_COMP_CNT: 0
; COMPUTE_PGM_RSRC3_GFX90A:ACCUM_OFFSET: 0
; COMPUTE_PGM_RSRC3_GFX90A:TG_SPLIT: 0
	.section	.text._ZN7rocprim17ROCPRIM_400000_NS6detail17trampoline_kernelINS0_14default_configENS1_20scan_config_selectorIsEEZZNS1_9scan_implILNS1_25lookback_scan_determinismE0ELb0ELb0ES3_N6thrust23THRUST_200600_302600_NS6detail15normal_iteratorINS9_10device_ptrIsEEEESE_s9plus_mod3IsEsEEDaPvRmT3_T4_T5_mT6_P12ihipStream_tbENKUlT_T0_E_clISt17integral_constantIbLb0EESU_EEDaSP_SQ_EUlSP_E0_NS1_11comp_targetILNS1_3genE5ELNS1_11target_archE942ELNS1_3gpuE9ELNS1_3repE0EEENS1_30default_config_static_selectorELNS0_4arch9wavefront6targetE1EEEvT1_,"axG",@progbits,_ZN7rocprim17ROCPRIM_400000_NS6detail17trampoline_kernelINS0_14default_configENS1_20scan_config_selectorIsEEZZNS1_9scan_implILNS1_25lookback_scan_determinismE0ELb0ELb0ES3_N6thrust23THRUST_200600_302600_NS6detail15normal_iteratorINS9_10device_ptrIsEEEESE_s9plus_mod3IsEsEEDaPvRmT3_T4_T5_mT6_P12ihipStream_tbENKUlT_T0_E_clISt17integral_constantIbLb0EESU_EEDaSP_SQ_EUlSP_E0_NS1_11comp_targetILNS1_3genE5ELNS1_11target_archE942ELNS1_3gpuE9ELNS1_3repE0EEENS1_30default_config_static_selectorELNS0_4arch9wavefront6targetE1EEEvT1_,comdat
	.protected	_ZN7rocprim17ROCPRIM_400000_NS6detail17trampoline_kernelINS0_14default_configENS1_20scan_config_selectorIsEEZZNS1_9scan_implILNS1_25lookback_scan_determinismE0ELb0ELb0ES3_N6thrust23THRUST_200600_302600_NS6detail15normal_iteratorINS9_10device_ptrIsEEEESE_s9plus_mod3IsEsEEDaPvRmT3_T4_T5_mT6_P12ihipStream_tbENKUlT_T0_E_clISt17integral_constantIbLb0EESU_EEDaSP_SQ_EUlSP_E0_NS1_11comp_targetILNS1_3genE5ELNS1_11target_archE942ELNS1_3gpuE9ELNS1_3repE0EEENS1_30default_config_static_selectorELNS0_4arch9wavefront6targetE1EEEvT1_ ; -- Begin function _ZN7rocprim17ROCPRIM_400000_NS6detail17trampoline_kernelINS0_14default_configENS1_20scan_config_selectorIsEEZZNS1_9scan_implILNS1_25lookback_scan_determinismE0ELb0ELb0ES3_N6thrust23THRUST_200600_302600_NS6detail15normal_iteratorINS9_10device_ptrIsEEEESE_s9plus_mod3IsEsEEDaPvRmT3_T4_T5_mT6_P12ihipStream_tbENKUlT_T0_E_clISt17integral_constantIbLb0EESU_EEDaSP_SQ_EUlSP_E0_NS1_11comp_targetILNS1_3genE5ELNS1_11target_archE942ELNS1_3gpuE9ELNS1_3repE0EEENS1_30default_config_static_selectorELNS0_4arch9wavefront6targetE1EEEvT1_
	.globl	_ZN7rocprim17ROCPRIM_400000_NS6detail17trampoline_kernelINS0_14default_configENS1_20scan_config_selectorIsEEZZNS1_9scan_implILNS1_25lookback_scan_determinismE0ELb0ELb0ES3_N6thrust23THRUST_200600_302600_NS6detail15normal_iteratorINS9_10device_ptrIsEEEESE_s9plus_mod3IsEsEEDaPvRmT3_T4_T5_mT6_P12ihipStream_tbENKUlT_T0_E_clISt17integral_constantIbLb0EESU_EEDaSP_SQ_EUlSP_E0_NS1_11comp_targetILNS1_3genE5ELNS1_11target_archE942ELNS1_3gpuE9ELNS1_3repE0EEENS1_30default_config_static_selectorELNS0_4arch9wavefront6targetE1EEEvT1_
	.p2align	8
	.type	_ZN7rocprim17ROCPRIM_400000_NS6detail17trampoline_kernelINS0_14default_configENS1_20scan_config_selectorIsEEZZNS1_9scan_implILNS1_25lookback_scan_determinismE0ELb0ELb0ES3_N6thrust23THRUST_200600_302600_NS6detail15normal_iteratorINS9_10device_ptrIsEEEESE_s9plus_mod3IsEsEEDaPvRmT3_T4_T5_mT6_P12ihipStream_tbENKUlT_T0_E_clISt17integral_constantIbLb0EESU_EEDaSP_SQ_EUlSP_E0_NS1_11comp_targetILNS1_3genE5ELNS1_11target_archE942ELNS1_3gpuE9ELNS1_3repE0EEENS1_30default_config_static_selectorELNS0_4arch9wavefront6targetE1EEEvT1_,@function
_ZN7rocprim17ROCPRIM_400000_NS6detail17trampoline_kernelINS0_14default_configENS1_20scan_config_selectorIsEEZZNS1_9scan_implILNS1_25lookback_scan_determinismE0ELb0ELb0ES3_N6thrust23THRUST_200600_302600_NS6detail15normal_iteratorINS9_10device_ptrIsEEEESE_s9plus_mod3IsEsEEDaPvRmT3_T4_T5_mT6_P12ihipStream_tbENKUlT_T0_E_clISt17integral_constantIbLb0EESU_EEDaSP_SQ_EUlSP_E0_NS1_11comp_targetILNS1_3genE5ELNS1_11target_archE942ELNS1_3gpuE9ELNS1_3repE0EEENS1_30default_config_static_selectorELNS0_4arch9wavefront6targetE1EEEvT1_: ; @_ZN7rocprim17ROCPRIM_400000_NS6detail17trampoline_kernelINS0_14default_configENS1_20scan_config_selectorIsEEZZNS1_9scan_implILNS1_25lookback_scan_determinismE0ELb0ELb0ES3_N6thrust23THRUST_200600_302600_NS6detail15normal_iteratorINS9_10device_ptrIsEEEESE_s9plus_mod3IsEsEEDaPvRmT3_T4_T5_mT6_P12ihipStream_tbENKUlT_T0_E_clISt17integral_constantIbLb0EESU_EEDaSP_SQ_EUlSP_E0_NS1_11comp_targetILNS1_3genE5ELNS1_11target_archE942ELNS1_3gpuE9ELNS1_3repE0EEENS1_30default_config_static_selectorELNS0_4arch9wavefront6targetE1EEEvT1_
; %bb.0:
	.section	.rodata,"a",@progbits
	.p2align	6, 0x0
	.amdhsa_kernel _ZN7rocprim17ROCPRIM_400000_NS6detail17trampoline_kernelINS0_14default_configENS1_20scan_config_selectorIsEEZZNS1_9scan_implILNS1_25lookback_scan_determinismE0ELb0ELb0ES3_N6thrust23THRUST_200600_302600_NS6detail15normal_iteratorINS9_10device_ptrIsEEEESE_s9plus_mod3IsEsEEDaPvRmT3_T4_T5_mT6_P12ihipStream_tbENKUlT_T0_E_clISt17integral_constantIbLb0EESU_EEDaSP_SQ_EUlSP_E0_NS1_11comp_targetILNS1_3genE5ELNS1_11target_archE942ELNS1_3gpuE9ELNS1_3repE0EEENS1_30default_config_static_selectorELNS0_4arch9wavefront6targetE1EEEvT1_
		.amdhsa_group_segment_fixed_size 0
		.amdhsa_private_segment_fixed_size 0
		.amdhsa_kernarg_size 40
		.amdhsa_user_sgpr_count 6
		.amdhsa_user_sgpr_private_segment_buffer 1
		.amdhsa_user_sgpr_dispatch_ptr 0
		.amdhsa_user_sgpr_queue_ptr 0
		.amdhsa_user_sgpr_kernarg_segment_ptr 1
		.amdhsa_user_sgpr_dispatch_id 0
		.amdhsa_user_sgpr_flat_scratch_init 0
		.amdhsa_user_sgpr_kernarg_preload_length 0
		.amdhsa_user_sgpr_kernarg_preload_offset 0
		.amdhsa_user_sgpr_private_segment_size 0
		.amdhsa_uses_dynamic_stack 0
		.amdhsa_system_sgpr_private_segment_wavefront_offset 0
		.amdhsa_system_sgpr_workgroup_id_x 1
		.amdhsa_system_sgpr_workgroup_id_y 0
		.amdhsa_system_sgpr_workgroup_id_z 0
		.amdhsa_system_sgpr_workgroup_info 0
		.amdhsa_system_vgpr_workitem_id 0
		.amdhsa_next_free_vgpr 1
		.amdhsa_next_free_sgpr 0
		.amdhsa_accum_offset 4
		.amdhsa_reserve_vcc 0
		.amdhsa_reserve_flat_scratch 0
		.amdhsa_float_round_mode_32 0
		.amdhsa_float_round_mode_16_64 0
		.amdhsa_float_denorm_mode_32 3
		.amdhsa_float_denorm_mode_16_64 3
		.amdhsa_dx10_clamp 1
		.amdhsa_ieee_mode 1
		.amdhsa_fp16_overflow 0
		.amdhsa_tg_split 0
		.amdhsa_exception_fp_ieee_invalid_op 0
		.amdhsa_exception_fp_denorm_src 0
		.amdhsa_exception_fp_ieee_div_zero 0
		.amdhsa_exception_fp_ieee_overflow 0
		.amdhsa_exception_fp_ieee_underflow 0
		.amdhsa_exception_fp_ieee_inexact 0
		.amdhsa_exception_int_div_zero 0
	.end_amdhsa_kernel
	.section	.text._ZN7rocprim17ROCPRIM_400000_NS6detail17trampoline_kernelINS0_14default_configENS1_20scan_config_selectorIsEEZZNS1_9scan_implILNS1_25lookback_scan_determinismE0ELb0ELb0ES3_N6thrust23THRUST_200600_302600_NS6detail15normal_iteratorINS9_10device_ptrIsEEEESE_s9plus_mod3IsEsEEDaPvRmT3_T4_T5_mT6_P12ihipStream_tbENKUlT_T0_E_clISt17integral_constantIbLb0EESU_EEDaSP_SQ_EUlSP_E0_NS1_11comp_targetILNS1_3genE5ELNS1_11target_archE942ELNS1_3gpuE9ELNS1_3repE0EEENS1_30default_config_static_selectorELNS0_4arch9wavefront6targetE1EEEvT1_,"axG",@progbits,_ZN7rocprim17ROCPRIM_400000_NS6detail17trampoline_kernelINS0_14default_configENS1_20scan_config_selectorIsEEZZNS1_9scan_implILNS1_25lookback_scan_determinismE0ELb0ELb0ES3_N6thrust23THRUST_200600_302600_NS6detail15normal_iteratorINS9_10device_ptrIsEEEESE_s9plus_mod3IsEsEEDaPvRmT3_T4_T5_mT6_P12ihipStream_tbENKUlT_T0_E_clISt17integral_constantIbLb0EESU_EEDaSP_SQ_EUlSP_E0_NS1_11comp_targetILNS1_3genE5ELNS1_11target_archE942ELNS1_3gpuE9ELNS1_3repE0EEENS1_30default_config_static_selectorELNS0_4arch9wavefront6targetE1EEEvT1_,comdat
.Lfunc_end6688:
	.size	_ZN7rocprim17ROCPRIM_400000_NS6detail17trampoline_kernelINS0_14default_configENS1_20scan_config_selectorIsEEZZNS1_9scan_implILNS1_25lookback_scan_determinismE0ELb0ELb0ES3_N6thrust23THRUST_200600_302600_NS6detail15normal_iteratorINS9_10device_ptrIsEEEESE_s9plus_mod3IsEsEEDaPvRmT3_T4_T5_mT6_P12ihipStream_tbENKUlT_T0_E_clISt17integral_constantIbLb0EESU_EEDaSP_SQ_EUlSP_E0_NS1_11comp_targetILNS1_3genE5ELNS1_11target_archE942ELNS1_3gpuE9ELNS1_3repE0EEENS1_30default_config_static_selectorELNS0_4arch9wavefront6targetE1EEEvT1_, .Lfunc_end6688-_ZN7rocprim17ROCPRIM_400000_NS6detail17trampoline_kernelINS0_14default_configENS1_20scan_config_selectorIsEEZZNS1_9scan_implILNS1_25lookback_scan_determinismE0ELb0ELb0ES3_N6thrust23THRUST_200600_302600_NS6detail15normal_iteratorINS9_10device_ptrIsEEEESE_s9plus_mod3IsEsEEDaPvRmT3_T4_T5_mT6_P12ihipStream_tbENKUlT_T0_E_clISt17integral_constantIbLb0EESU_EEDaSP_SQ_EUlSP_E0_NS1_11comp_targetILNS1_3genE5ELNS1_11target_archE942ELNS1_3gpuE9ELNS1_3repE0EEENS1_30default_config_static_selectorELNS0_4arch9wavefront6targetE1EEEvT1_
                                        ; -- End function
	.section	.AMDGPU.csdata,"",@progbits
; Kernel info:
; codeLenInByte = 0
; NumSgprs: 4
; NumVgprs: 0
; NumAgprs: 0
; TotalNumVgprs: 0
; ScratchSize: 0
; MemoryBound: 0
; FloatMode: 240
; IeeeMode: 1
; LDSByteSize: 0 bytes/workgroup (compile time only)
; SGPRBlocks: 0
; VGPRBlocks: 0
; NumSGPRsForWavesPerEU: 4
; NumVGPRsForWavesPerEU: 1
; AccumOffset: 4
; Occupancy: 8
; WaveLimiterHint : 0
; COMPUTE_PGM_RSRC2:SCRATCH_EN: 0
; COMPUTE_PGM_RSRC2:USER_SGPR: 6
; COMPUTE_PGM_RSRC2:TRAP_HANDLER: 0
; COMPUTE_PGM_RSRC2:TGID_X_EN: 1
; COMPUTE_PGM_RSRC2:TGID_Y_EN: 0
; COMPUTE_PGM_RSRC2:TGID_Z_EN: 0
; COMPUTE_PGM_RSRC2:TIDIG_COMP_CNT: 0
; COMPUTE_PGM_RSRC3_GFX90A:ACCUM_OFFSET: 0
; COMPUTE_PGM_RSRC3_GFX90A:TG_SPLIT: 0
	.section	.text._ZN7rocprim17ROCPRIM_400000_NS6detail17trampoline_kernelINS0_14default_configENS1_20scan_config_selectorIsEEZZNS1_9scan_implILNS1_25lookback_scan_determinismE0ELb0ELb0ES3_N6thrust23THRUST_200600_302600_NS6detail15normal_iteratorINS9_10device_ptrIsEEEESE_s9plus_mod3IsEsEEDaPvRmT3_T4_T5_mT6_P12ihipStream_tbENKUlT_T0_E_clISt17integral_constantIbLb0EESU_EEDaSP_SQ_EUlSP_E0_NS1_11comp_targetILNS1_3genE4ELNS1_11target_archE910ELNS1_3gpuE8ELNS1_3repE0EEENS1_30default_config_static_selectorELNS0_4arch9wavefront6targetE1EEEvT1_,"axG",@progbits,_ZN7rocprim17ROCPRIM_400000_NS6detail17trampoline_kernelINS0_14default_configENS1_20scan_config_selectorIsEEZZNS1_9scan_implILNS1_25lookback_scan_determinismE0ELb0ELb0ES3_N6thrust23THRUST_200600_302600_NS6detail15normal_iteratorINS9_10device_ptrIsEEEESE_s9plus_mod3IsEsEEDaPvRmT3_T4_T5_mT6_P12ihipStream_tbENKUlT_T0_E_clISt17integral_constantIbLb0EESU_EEDaSP_SQ_EUlSP_E0_NS1_11comp_targetILNS1_3genE4ELNS1_11target_archE910ELNS1_3gpuE8ELNS1_3repE0EEENS1_30default_config_static_selectorELNS0_4arch9wavefront6targetE1EEEvT1_,comdat
	.protected	_ZN7rocprim17ROCPRIM_400000_NS6detail17trampoline_kernelINS0_14default_configENS1_20scan_config_selectorIsEEZZNS1_9scan_implILNS1_25lookback_scan_determinismE0ELb0ELb0ES3_N6thrust23THRUST_200600_302600_NS6detail15normal_iteratorINS9_10device_ptrIsEEEESE_s9plus_mod3IsEsEEDaPvRmT3_T4_T5_mT6_P12ihipStream_tbENKUlT_T0_E_clISt17integral_constantIbLb0EESU_EEDaSP_SQ_EUlSP_E0_NS1_11comp_targetILNS1_3genE4ELNS1_11target_archE910ELNS1_3gpuE8ELNS1_3repE0EEENS1_30default_config_static_selectorELNS0_4arch9wavefront6targetE1EEEvT1_ ; -- Begin function _ZN7rocprim17ROCPRIM_400000_NS6detail17trampoline_kernelINS0_14default_configENS1_20scan_config_selectorIsEEZZNS1_9scan_implILNS1_25lookback_scan_determinismE0ELb0ELb0ES3_N6thrust23THRUST_200600_302600_NS6detail15normal_iteratorINS9_10device_ptrIsEEEESE_s9plus_mod3IsEsEEDaPvRmT3_T4_T5_mT6_P12ihipStream_tbENKUlT_T0_E_clISt17integral_constantIbLb0EESU_EEDaSP_SQ_EUlSP_E0_NS1_11comp_targetILNS1_3genE4ELNS1_11target_archE910ELNS1_3gpuE8ELNS1_3repE0EEENS1_30default_config_static_selectorELNS0_4arch9wavefront6targetE1EEEvT1_
	.globl	_ZN7rocprim17ROCPRIM_400000_NS6detail17trampoline_kernelINS0_14default_configENS1_20scan_config_selectorIsEEZZNS1_9scan_implILNS1_25lookback_scan_determinismE0ELb0ELb0ES3_N6thrust23THRUST_200600_302600_NS6detail15normal_iteratorINS9_10device_ptrIsEEEESE_s9plus_mod3IsEsEEDaPvRmT3_T4_T5_mT6_P12ihipStream_tbENKUlT_T0_E_clISt17integral_constantIbLb0EESU_EEDaSP_SQ_EUlSP_E0_NS1_11comp_targetILNS1_3genE4ELNS1_11target_archE910ELNS1_3gpuE8ELNS1_3repE0EEENS1_30default_config_static_selectorELNS0_4arch9wavefront6targetE1EEEvT1_
	.p2align	8
	.type	_ZN7rocprim17ROCPRIM_400000_NS6detail17trampoline_kernelINS0_14default_configENS1_20scan_config_selectorIsEEZZNS1_9scan_implILNS1_25lookback_scan_determinismE0ELb0ELb0ES3_N6thrust23THRUST_200600_302600_NS6detail15normal_iteratorINS9_10device_ptrIsEEEESE_s9plus_mod3IsEsEEDaPvRmT3_T4_T5_mT6_P12ihipStream_tbENKUlT_T0_E_clISt17integral_constantIbLb0EESU_EEDaSP_SQ_EUlSP_E0_NS1_11comp_targetILNS1_3genE4ELNS1_11target_archE910ELNS1_3gpuE8ELNS1_3repE0EEENS1_30default_config_static_selectorELNS0_4arch9wavefront6targetE1EEEvT1_,@function
_ZN7rocprim17ROCPRIM_400000_NS6detail17trampoline_kernelINS0_14default_configENS1_20scan_config_selectorIsEEZZNS1_9scan_implILNS1_25lookback_scan_determinismE0ELb0ELb0ES3_N6thrust23THRUST_200600_302600_NS6detail15normal_iteratorINS9_10device_ptrIsEEEESE_s9plus_mod3IsEsEEDaPvRmT3_T4_T5_mT6_P12ihipStream_tbENKUlT_T0_E_clISt17integral_constantIbLb0EESU_EEDaSP_SQ_EUlSP_E0_NS1_11comp_targetILNS1_3genE4ELNS1_11target_archE910ELNS1_3gpuE8ELNS1_3repE0EEENS1_30default_config_static_selectorELNS0_4arch9wavefront6targetE1EEEvT1_: ; @_ZN7rocprim17ROCPRIM_400000_NS6detail17trampoline_kernelINS0_14default_configENS1_20scan_config_selectorIsEEZZNS1_9scan_implILNS1_25lookback_scan_determinismE0ELb0ELb0ES3_N6thrust23THRUST_200600_302600_NS6detail15normal_iteratorINS9_10device_ptrIsEEEESE_s9plus_mod3IsEsEEDaPvRmT3_T4_T5_mT6_P12ihipStream_tbENKUlT_T0_E_clISt17integral_constantIbLb0EESU_EEDaSP_SQ_EUlSP_E0_NS1_11comp_targetILNS1_3genE4ELNS1_11target_archE910ELNS1_3gpuE8ELNS1_3repE0EEENS1_30default_config_static_selectorELNS0_4arch9wavefront6targetE1EEEvT1_
; %bb.0:
	s_load_dwordx4 s[56:59], s[4:5], 0x0
	v_mov_b32_e32 v1, 0
	v_lshlrev_b32_e32 v54, 1, v0
	s_waitcnt lgkmcnt(0)
	global_load_ushort v2, v1, s[56:57]
	v_cmp_gt_u32_e32 vcc, s58, v0
	s_waitcnt vmcnt(0)
	v_mov_b32_e32 v3, v2
	s_and_saveexec_b64 s[0:1], vcc
	s_cbranch_execz .LBB6689_2
; %bb.1:
	global_load_ushort v3, v54, s[56:57]
.LBB6689_2:
	s_or_b64 exec, exec, s[0:1]
	v_or_b32_e32 v1, 64, v0
	v_cmp_gt_u32_e64 s[0:1], s58, v1
	v_mov_b32_e32 v4, v2
	s_and_saveexec_b64 s[2:3], s[0:1]
	s_cbranch_execz .LBB6689_4
; %bb.3:
	global_load_ushort v4, v54, s[56:57] offset:128
.LBB6689_4:
	s_or_b64 exec, exec, s[2:3]
	v_or_b32_e32 v1, 0x80, v0
	v_cmp_gt_u32_e64 s[2:3], s58, v1
	v_mov_b32_e32 v5, v2
	s_and_saveexec_b64 s[6:7], s[2:3]
	s_cbranch_execz .LBB6689_6
; %bb.5:
	global_load_ushort v5, v54, s[56:57] offset:256
.LBB6689_6:
	;; [unrolled: 9-line block ×22, first 2 shown]
	s_or_b64 exec, exec, s[46:47]
	v_or_b32_e32 v1, 0x5c0, v0
	v_cmp_gt_u32_e64 s[46:47], s58, v1
	v_cmp_le_u32_e64 s[50:51], s58, v1
	s_and_saveexec_b64 s[52:53], s[50:51]
	s_xor_b64 s[50:51], exec, s[52:53]
; %bb.47:
	v_mov_b32_e32 v1, 0
; %bb.48:
	s_or_saveexec_b64 s[50:51], s[50:51]
	s_load_dwordx4 s[52:55], s[4:5], 0x18
	s_xor_b64 exec, exec, s[50:51]
	s_cbranch_execz .LBB6689_50
; %bb.49:
	global_load_ushort v2, v54, s[56:57] offset:2944
	v_mov_b32_e32 v1, 0
.LBB6689_50:
	s_or_b64 exec, exec, s[50:51]
	s_waitcnt vmcnt(0)
	ds_write_b16 v54, v3
	ds_write_b16 v54, v4 offset:128
	ds_write_b16 v54, v5 offset:256
	ds_write_b16 v54, v6 offset:384
	ds_write_b16 v54, v7 offset:512
	ds_write_b16 v54, v8 offset:640
	ds_write_b16 v54, v9 offset:768
	ds_write_b16 v54, v10 offset:896
	ds_write_b16 v54, v11 offset:1024
	ds_write_b16 v54, v12 offset:1152
	ds_write_b16 v54, v13 offset:1280
	ds_write_b16 v54, v14 offset:1408
	ds_write_b16 v54, v15 offset:1536
	ds_write_b16 v54, v16 offset:1664
	ds_write_b16 v54, v17 offset:1792
	ds_write_b16 v54, v18 offset:1920
	ds_write_b16 v54, v19 offset:2048
	ds_write_b16 v54, v20 offset:2176
	ds_write_b16 v54, v21 offset:2304
	ds_write_b16 v54, v22 offset:2432
	ds_write_b16 v54, v23 offset:2560
	ds_write_b16 v54, v24 offset:2688
	ds_write_b16 v54, v25 offset:2816
	ds_write_b16 v54, v2 offset:2944
	v_mad_u32_u24 v6, v0, 46, v54
	s_waitcnt lgkmcnt(0)
	; wave barrier
	s_waitcnt lgkmcnt(0)
	ds_read_b128 v[2:5], v6
	ds_read_b128 v[10:13], v6 offset:16
	ds_read_b128 v[6:9], v6 offset:32
	v_mov_b32_e32 v16, s53
	s_waitcnt lgkmcnt(0)
	v_bfe_i32 v18, v2, 0, 16
	v_lshrrev_b32_e32 v14, 16, v2
	v_ashrrev_i32_e32 v19, 31, v18
	v_bfe_i32 v14, v14, 0, 16
	v_lshlrev_b64 v[20:21], 1, v[18:19]
	v_ashrrev_i32_e32 v15, 31, v14
	v_add_co_u32_e64 v17, s[4:5], s52, v20
	v_addc_co_u32_e64 v22, s[4:5], v16, v21, s[4:5]
	v_lshlrev_b64 v[14:15], 1, v[14:15]
	v_add_co_u32_e64 v16, s[4:5], v17, v14
	v_addc_co_u32_e64 v17, s[4:5], v22, v15, s[4:5]
	; wave barrier
	global_load_ushort v22, v[16:17], off
	v_bfe_i32 v16, v3, 0, 16
	v_mov_b32_e32 v24, s53
	v_ashrrev_i32_e32 v17, 31, v16
	v_lshlrev_b64 v[16:17], 1, v[16:17]
	v_lshrrev_b32_e32 v3, 16, v3
	v_mov_b32_e32 v26, s53
	v_mov_b32_e32 v28, s53
	;; [unrolled: 1-line block ×15, first 2 shown]
	s_waitcnt vmcnt(0)
	v_bfe_i32 v22, v22, 0, 16
	v_ashrrev_i32_e32 v23, 31, v22
	v_lshlrev_b64 v[22:23], 1, v[22:23]
	v_add_co_u32_e64 v22, s[4:5], s52, v22
	v_addc_co_u32_e64 v23, s[4:5], v24, v23, s[4:5]
	v_add_co_u32_e64 v22, s[4:5], v22, v16
	v_addc_co_u32_e64 v23, s[4:5], v23, v17, s[4:5]
	global_load_ushort v24, v[22:23], off
	v_bfe_i32 v22, v3, 0, 16
	v_ashrrev_i32_e32 v23, 31, v22
	v_lshlrev_b64 v[22:23], 1, v[22:23]
	s_waitcnt vmcnt(0)
	v_bfe_i32 v24, v24, 0, 16
	v_ashrrev_i32_e32 v25, 31, v24
	v_lshlrev_b64 v[24:25], 1, v[24:25]
	v_add_co_u32_e64 v3, s[4:5], s52, v24
	v_addc_co_u32_e64 v25, s[4:5], v26, v25, s[4:5]
	v_add_co_u32_e64 v24, s[4:5], v3, v22
	v_addc_co_u32_e64 v25, s[4:5], v25, v23, s[4:5]
	global_load_ushort v3, v[24:25], off
	v_bfe_i32 v24, v4, 0, 16
	v_ashrrev_i32_e32 v25, 31, v24
	v_lshlrev_b64 v[24:25], 1, v[24:25]
	v_lshrrev_b32_e32 v4, 16, v4
	s_waitcnt vmcnt(0)
	v_bfe_i32 v26, v3, 0, 16
	v_ashrrev_i32_e32 v27, 31, v26
	v_lshlrev_b64 v[26:27], 1, v[26:27]
	v_add_co_u32_e64 v3, s[4:5], s52, v26
	v_addc_co_u32_e64 v27, s[4:5], v28, v27, s[4:5]
	v_add_co_u32_e64 v26, s[4:5], v3, v24
	v_addc_co_u32_e64 v27, s[4:5], v27, v25, s[4:5]
	global_load_ushort v3, v[26:27], off
	v_bfe_i32 v26, v4, 0, 16
	v_ashrrev_i32_e32 v27, 31, v26
	v_lshlrev_b64 v[26:27], 1, v[26:27]
	s_waitcnt vmcnt(0)
	v_bfe_i32 v28, v3, 0, 16
	v_ashrrev_i32_e32 v29, 31, v28
	v_lshlrev_b64 v[28:29], 1, v[28:29]
	v_add_co_u32_e64 v3, s[4:5], s52, v28
	v_addc_co_u32_e64 v4, s[4:5], v30, v29, s[4:5]
	v_add_co_u32_e64 v28, s[4:5], v3, v26
	v_addc_co_u32_e64 v29, s[4:5], v4, v27, s[4:5]
	global_load_ushort v3, v[28:29], off
	v_bfe_i32 v28, v5, 0, 16
	v_mov_b32_e32 v4, s53
	v_ashrrev_i32_e32 v29, 31, v28
	v_lshlrev_b64 v[28:29], 1, v[28:29]
	s_waitcnt vmcnt(0)
	v_bfe_i32 v30, v3, 0, 16
	v_ashrrev_i32_e32 v31, 31, v30
	v_lshlrev_b64 v[30:31], 1, v[30:31]
	v_add_co_u32_e64 v3, s[4:5], s52, v30
	v_addc_co_u32_e64 v4, s[4:5], v4, v31, s[4:5]
	v_add_co_u32_e64 v30, s[4:5], v3, v28
	v_addc_co_u32_e64 v31, s[4:5], v4, v29, s[4:5]
	global_load_ushort v3, v[30:31], off
	v_lshrrev_b32_e32 v4, 16, v5
	v_bfe_i32 v4, v4, 0, 16
	v_ashrrev_i32_e32 v5, 31, v4
	v_lshlrev_b64 v[4:5], 1, v[4:5]
	s_waitcnt vmcnt(0)
	v_bfe_i32 v30, v3, 0, 16
	v_ashrrev_i32_e32 v31, 31, v30
	v_lshlrev_b64 v[30:31], 1, v[30:31]
	v_add_co_u32_e64 v3, s[4:5], s52, v30
	v_addc_co_u32_e64 v31, s[4:5], v32, v31, s[4:5]
	v_add_co_u32_e64 v30, s[4:5], v3, v4
	v_addc_co_u32_e64 v31, s[4:5], v31, v5, s[4:5]
	global_load_ushort v3, v[30:31], off
	v_bfe_i32 v30, v10, 0, 16
	v_ashrrev_i32_e32 v31, 31, v30
	v_lshlrev_b64 v[30:31], 1, v[30:31]
	v_lshrrev_b32_e32 v10, 16, v10
	s_waitcnt vmcnt(0)
	v_bfe_i32 v32, v3, 0, 16
	v_ashrrev_i32_e32 v33, 31, v32
	v_lshlrev_b64 v[32:33], 1, v[32:33]
	v_add_co_u32_e64 v3, s[4:5], s52, v32
	v_addc_co_u32_e64 v33, s[4:5], v34, v33, s[4:5]
	v_add_co_u32_e64 v32, s[4:5], v3, v30
	v_addc_co_u32_e64 v33, s[4:5], v33, v31, s[4:5]
	global_load_ushort v3, v[32:33], off
	v_bfe_i32 v32, v10, 0, 16
	v_ashrrev_i32_e32 v33, 31, v32
	v_lshlrev_b64 v[32:33], 1, v[32:33]
	s_waitcnt vmcnt(0)
	v_bfe_i32 v34, v3, 0, 16
	v_ashrrev_i32_e32 v35, 31, v34
	v_lshlrev_b64 v[34:35], 1, v[34:35]
	v_add_co_u32_e64 v3, s[4:5], s52, v34
	v_addc_co_u32_e64 v10, s[4:5], v36, v35, s[4:5]
	v_add_co_u32_e64 v34, s[4:5], v3, v32
	v_addc_co_u32_e64 v35, s[4:5], v10, v33, s[4:5]
	global_load_ushort v3, v[34:35], off
	v_bfe_i32 v34, v11, 0, 16
	v_mov_b32_e32 v10, s53
	v_ashrrev_i32_e32 v35, 31, v34
	v_lshlrev_b64 v[34:35], 1, v[34:35]
	s_waitcnt vmcnt(0)
	v_bfe_i32 v36, v3, 0, 16
	v_ashrrev_i32_e32 v37, 31, v36
	v_lshlrev_b64 v[36:37], 1, v[36:37]
	v_add_co_u32_e64 v3, s[4:5], s52, v36
	v_addc_co_u32_e64 v10, s[4:5], v10, v37, s[4:5]
	v_add_co_u32_e64 v36, s[4:5], v3, v34
	v_addc_co_u32_e64 v37, s[4:5], v10, v35, s[4:5]
	global_load_ushort v3, v[36:37], off
	v_lshrrev_b32_e32 v10, 16, v11
	;; [unrolled: 51-line block ×5, first 2 shown]
	v_bfe_i32 v8, v8, 0, 16
	v_ashrrev_i32_e32 v9, 31, v8
	v_lshlrev_b64 v[8:9], 1, v[8:9]
	s_waitcnt vmcnt(0)
	v_bfe_i32 v56, v3, 0, 16
	v_ashrrev_i32_e32 v57, 31, v56
	v_lshlrev_b64 v[56:57], 1, v[56:57]
	v_add_co_u32_e64 v3, s[4:5], s52, v56
	v_addc_co_u32_e64 v55, s[4:5], v55, v57, s[4:5]
	v_add_co_u32_e64 v56, s[4:5], v3, v8
	v_addc_co_u32_e64 v57, s[4:5], v55, v9, s[4:5]
	global_load_ushort v55, v[56:57], off
	v_mbcnt_lo_u32_b32 v3, -1, 0
	v_mbcnt_hi_u32_b32 v3, -1, v3
	v_and_b32_e32 v56, 15, v3
	v_cmp_ne_u32_e64 s[4:5], 0, v56
	s_waitcnt vmcnt(0)
	v_and_b32_e32 v57, 0xffff, v55
	s_nop 1
	v_mov_b32_dpp v58, v57 row_shr:1 row_mask:0xf bank_mask:0xf
	s_and_saveexec_b64 s[50:51], s[4:5]
	s_cbranch_execz .LBB6689_52
; %bb.51:
	v_lshlrev_b32_e32 v59, 16, v58
	v_mov_b32_e32 v58, 0
	v_ashrrev_i64 v[58:59], 47, v[58:59]
	v_mov_b32_e32 v57, s53
	v_add_co_u32_e64 v60, s[4:5], s52, v58
	v_bfe_i32 v58, v55, 0, 16
	v_addc_co_u32_e64 v57, s[4:5], v57, v59, s[4:5]
	v_ashrrev_i32_e32 v59, 31, v58
	v_lshlrev_b64 v[58:59], 1, v[58:59]
	v_add_co_u32_e64 v58, s[4:5], v60, v58
	v_addc_co_u32_e64 v59, s[4:5], v57, v59, s[4:5]
	global_load_ushort v55, v[58:59], off
	s_waitcnt vmcnt(0)
	v_and_b32_e32 v57, 0xffff, v55
.LBB6689_52:
	s_or_b64 exec, exec, s[50:51]
	s_nop 0
	v_mov_b32_dpp v58, v57 row_shr:2 row_mask:0xf bank_mask:0xf
	v_cmp_lt_u32_e64 s[4:5], 1, v56
	s_and_saveexec_b64 s[50:51], s[4:5]
	s_cbranch_execz .LBB6689_54
; %bb.53:
	v_lshlrev_b32_e32 v59, 16, v58
	v_mov_b32_e32 v58, 0
	v_ashrrev_i64 v[58:59], 47, v[58:59]
	v_mov_b32_e32 v57, s53
	v_add_co_u32_e64 v60, s[4:5], s52, v58
	v_bfe_i32 v58, v55, 0, 16
	v_addc_co_u32_e64 v57, s[4:5], v57, v59, s[4:5]
	v_ashrrev_i32_e32 v59, 31, v58
	v_lshlrev_b64 v[58:59], 1, v[58:59]
	v_add_co_u32_e64 v58, s[4:5], v60, v58
	v_addc_co_u32_e64 v59, s[4:5], v57, v59, s[4:5]
	global_load_ushort v55, v[58:59], off
	s_waitcnt vmcnt(0)
	v_and_b32_e32 v57, 0xffff, v55
.LBB6689_54:
	s_or_b64 exec, exec, s[50:51]
	s_nop 0
	v_mov_b32_dpp v58, v57 row_shr:4 row_mask:0xf bank_mask:0xf
	v_cmp_lt_u32_e64 s[4:5], 3, v56
	;; [unrolled: 22-line block ×3, first 2 shown]
	s_and_saveexec_b64 s[50:51], s[4:5]
	s_cbranch_execz .LBB6689_58
; %bb.57:
	v_lshlrev_b32_e32 v57, 16, v58
	v_mov_b32_e32 v56, 0
	v_ashrrev_i64 v[56:57], 47, v[56:57]
	v_mov_b32_e32 v58, s53
	v_add_co_u32_e64 v59, s[4:5], s52, v56
	v_bfe_i32 v56, v55, 0, 16
	v_addc_co_u32_e64 v58, s[4:5], v58, v57, s[4:5]
	v_ashrrev_i32_e32 v57, 31, v56
	v_lshlrev_b64 v[56:57], 1, v[56:57]
	v_add_co_u32_e64 v56, s[4:5], v59, v56
	v_addc_co_u32_e64 v57, s[4:5], v58, v57, s[4:5]
	global_load_ushort v55, v[56:57], off
	s_waitcnt vmcnt(0)
	v_and_b32_e32 v57, 0xffff, v55
.LBB6689_58:
	s_or_b64 exec, exec, s[50:51]
	v_and_b32_e32 v58, 16, v3
	v_mov_b32_dpp v56, v57 row_bcast:15 row_mask:0xf bank_mask:0xf
	v_cmp_ne_u32_e64 s[4:5], 0, v58
	s_and_saveexec_b64 s[50:51], s[4:5]
	s_cbranch_execz .LBB6689_60
; %bb.59:
	v_lshlrev_b32_e32 v57, 16, v56
	v_mov_b32_e32 v56, 0
	v_ashrrev_i64 v[56:57], 47, v[56:57]
	v_mov_b32_e32 v58, s53
	v_add_co_u32_e64 v59, s[4:5], s52, v56
	v_bfe_i32 v56, v55, 0, 16
	v_addc_co_u32_e64 v58, s[4:5], v58, v57, s[4:5]
	v_ashrrev_i32_e32 v57, 31, v56
	v_lshlrev_b64 v[56:57], 1, v[56:57]
	v_add_co_u32_e64 v56, s[4:5], v59, v56
	v_addc_co_u32_e64 v57, s[4:5], v58, v57, s[4:5]
	global_load_ushort v55, v[56:57], off
	s_waitcnt vmcnt(0)
	v_and_b32_e32 v57, 0xffff, v55
.LBB6689_60:
	s_or_b64 exec, exec, s[50:51]
	s_nop 0
	v_mov_b32_dpp v56, v57 row_bcast:31 row_mask:0xf bank_mask:0xf
	v_cmp_lt_u32_e64 s[4:5], 31, v3
	s_and_saveexec_b64 s[50:51], s[4:5]
	s_cbranch_execz .LBB6689_62
; %bb.61:
	v_lshlrev_b32_e32 v57, 16, v56
	v_mov_b32_e32 v56, 0
	v_ashrrev_i64 v[56:57], 47, v[56:57]
	v_mov_b32_e32 v58, s53
	v_add_co_u32_e64 v59, s[4:5], s52, v56
	v_bfe_i32 v56, v55, 0, 16
	v_addc_co_u32_e64 v58, s[4:5], v58, v57, s[4:5]
	v_ashrrev_i32_e32 v57, 31, v56
	v_lshlrev_b64 v[56:57], 1, v[56:57]
	v_add_co_u32_e64 v56, s[4:5], v59, v56
	v_addc_co_u32_e64 v57, s[4:5], v58, v57, s[4:5]
	global_load_ushort v55, v[56:57], off
.LBB6689_62:
	s_or_b64 exec, exec, s[50:51]
	v_cmp_eq_u32_e64 s[4:5], 63, v0
	s_and_saveexec_b64 s[50:51], s[4:5]
	s_cbranch_execz .LBB6689_64
; %bb.63:
	v_mov_b32_e32 v56, 0
	s_waitcnt vmcnt(0)
	ds_write_b16 v56, v55
.LBB6689_64:
	s_or_b64 exec, exec, s[50:51]
	v_add_u32_e32 v56, -1, v3
	v_and_b32_e32 v57, 64, v3
	v_cmp_lt_i32_e64 s[4:5], v56, v57
	v_cndmask_b32_e64 v3, v56, v3, s[4:5]
	s_waitcnt vmcnt(0)
	v_and_b32_e32 v55, 0xffff, v55
	v_lshlrev_b32_e32 v3, 2, v3
	ds_bpermute_b32 v55, v3, v55
	v_mul_u32_u24_e32 v3, 46, v0
	v_cmp_ne_u32_e64 s[4:5], 0, v0
	s_waitcnt lgkmcnt(0)
	; wave barrier
	s_waitcnt lgkmcnt(0)
	s_and_saveexec_b64 s[50:51], s[4:5]
	s_cbranch_execz .LBB6689_66
; %bb.65:
	v_lshlrev_b32_e32 v19, 16, v55
	v_mov_b32_e32 v18, 0
	v_ashrrev_i64 v[18:19], 47, v[18:19]
	v_mov_b32_e32 v2, s53
	v_add_co_u32_e64 v18, s[4:5], s52, v18
	v_addc_co_u32_e64 v2, s[4:5], v2, v19, s[4:5]
	v_add_co_u32_e64 v18, s[4:5], v18, v20
	v_addc_co_u32_e64 v19, s[4:5], v2, v21, s[4:5]
	global_load_ushort v2, v[18:19], off
	;;#ASMSTART
	;;#ASMEND
	s_waitcnt vmcnt(0)
	v_bfe_i32 v18, v2, 0, 16
	v_ashrrev_i32_e32 v19, 31, v18
.LBB6689_66:
	s_or_b64 exec, exec, s[50:51]
	v_lshlrev_b64 v[18:19], 1, v[18:19]
	v_mov_b32_e32 v20, s53
	v_add_co_u32_e64 v18, s[4:5], s52, v18
	v_addc_co_u32_e64 v19, s[4:5], v20, v19, s[4:5]
	v_add_co_u32_e64 v14, s[4:5], v18, v14
	v_addc_co_u32_e64 v15, s[4:5], v19, v15, s[4:5]
	global_load_ushort v18, v[14:15], off
	s_waitcnt vmcnt(0)
	v_bfe_i32 v14, v18, 0, 16
	v_ashrrev_i32_e32 v15, 31, v14
	v_lshlrev_b64 v[14:15], 1, v[14:15]
	v_add_co_u32_e64 v14, s[4:5], s52, v14
	v_addc_co_u32_e64 v15, s[4:5], v20, v15, s[4:5]
	v_add_co_u32_e64 v14, s[4:5], v14, v16
	v_addc_co_u32_e64 v15, s[4:5], v15, v17, s[4:5]
	global_load_ushort v16, v[14:15], off
	s_waitcnt vmcnt(0)
	v_bfe_i32 v14, v16, 0, 16
	v_ashrrev_i32_e32 v15, 31, v14
	v_lshlrev_b64 v[14:15], 1, v[14:15]
	v_add_co_u32_e64 v14, s[4:5], s52, v14
	v_addc_co_u32_e64 v15, s[4:5], v20, v15, s[4:5]
	v_add_co_u32_e64 v14, s[4:5], v14, v22
	v_addc_co_u32_e64 v15, s[4:5], v15, v23, s[4:5]
	global_load_ushort v17, v[14:15], off
	s_waitcnt vmcnt(0)
	v_bfe_i32 v14, v17, 0, 16
	v_ashrrev_i32_e32 v15, 31, v14
	v_lshlrev_b64 v[14:15], 1, v[14:15]
	v_add_co_u32_e64 v14, s[4:5], s52, v14
	v_addc_co_u32_e64 v15, s[4:5], v20, v15, s[4:5]
	v_add_co_u32_e64 v14, s[4:5], v14, v24
	v_addc_co_u32_e64 v15, s[4:5], v15, v25, s[4:5]
	global_load_ushort v19, v[14:15], off
	s_waitcnt vmcnt(0)
	v_bfe_i32 v14, v19, 0, 16
	v_ashrrev_i32_e32 v15, 31, v14
	v_lshlrev_b64 v[14:15], 1, v[14:15]
	v_add_co_u32_e64 v14, s[4:5], s52, v14
	v_addc_co_u32_e64 v15, s[4:5], v20, v15, s[4:5]
	v_add_co_u32_e64 v14, s[4:5], v14, v26
	v_addc_co_u32_e64 v15, s[4:5], v15, v27, s[4:5]
	global_load_ushort v21, v[14:15], off
	v_lshlrev_b64 v[26:27], 1, v[0:1]
	s_waitcnt vmcnt(0)
	v_bfe_i32 v14, v21, 0, 16
	v_ashrrev_i32_e32 v15, 31, v14
	v_lshlrev_b64 v[14:15], 1, v[14:15]
	v_add_co_u32_e64 v14, s[4:5], s52, v14
	v_addc_co_u32_e64 v15, s[4:5], v20, v15, s[4:5]
	v_add_co_u32_e64 v14, s[4:5], v14, v28
	v_addc_co_u32_e64 v15, s[4:5], v15, v29, s[4:5]
	global_load_ushort v22, v[14:15], off
	s_waitcnt vmcnt(0)
	v_bfe_i32 v14, v22, 0, 16
	v_ashrrev_i32_e32 v15, 31, v14
	v_lshlrev_b64 v[14:15], 1, v[14:15]
	v_add_co_u32_e64 v14, s[4:5], s52, v14
	v_addc_co_u32_e64 v15, s[4:5], v20, v15, s[4:5]
	v_add_co_u32_e64 v4, s[4:5], v14, v4
	v_addc_co_u32_e64 v5, s[4:5], v15, v5, s[4:5]
	global_load_ushort v14, v[4:5], off
	;; [unrolled: 9-line block ×5, first 2 shown]
	v_add_u32_e32 v35, v54, v3
	s_waitcnt vmcnt(0)
	v_bfe_i32 v4, v24, 0, 16
	v_ashrrev_i32_e32 v5, 31, v4
	v_lshlrev_b64 v[4:5], 1, v[4:5]
	v_add_co_u32_e64 v4, s[4:5], s52, v4
	v_addc_co_u32_e64 v5, s[4:5], v20, v5, s[4:5]
	v_add_co_u32_e64 v4, s[4:5], v4, v10
	v_addc_co_u32_e64 v5, s[4:5], v5, v11, s[4:5]
	global_load_ushort v10, v[4:5], off
	s_waitcnt vmcnt(0)
	v_bfe_i32 v4, v10, 0, 16
	v_ashrrev_i32_e32 v5, 31, v4
	v_lshlrev_b64 v[4:5], 1, v[4:5]
	v_add_co_u32_e64 v4, s[4:5], s52, v4
	v_addc_co_u32_e64 v5, s[4:5], v20, v5, s[4:5]
	v_add_co_u32_e64 v4, s[4:5], v4, v36
	v_addc_co_u32_e64 v5, s[4:5], v5, v37, s[4:5]
	global_load_ushort v11, v[4:5], off
	;; [unrolled: 9-line block ×13, first 2 shown]
	s_mov_b32 s4, 0x5040100
	v_perm_b32 v0, v18, v2, s4
	v_perm_b32 v1, v17, v16, s4
	;; [unrolled: 1-line block ×11, first 2 shown]
	s_waitcnt lgkmcnt(0)
	; wave barrier
	ds_write_b128 v35, v[0:3]
	ds_write_b128 v35, v[4:7] offset:16
	v_mov_b32_e32 v1, s55
	s_waitcnt vmcnt(0)
	v_perm_b32 v11, v20, v34, s4
	ds_write_b128 v35, v[8:11] offset:32
	s_waitcnt lgkmcnt(0)
	; wave barrier
	s_waitcnt lgkmcnt(0)
	ds_read_u16 v24, v54 offset:128
	ds_read_u16 v23, v54 offset:256
	ds_read_u16 v22, v54 offset:384
	ds_read_u16 v21, v54 offset:512
	ds_read_u16 v20, v54 offset:640
	ds_read_u16 v19, v54 offset:768
	ds_read_u16 v18, v54 offset:896
	ds_read_u16 v17, v54 offset:1024
	ds_read_u16 v16, v54 offset:1152
	ds_read_u16 v15, v54 offset:1280
	ds_read_u16 v14, v54 offset:1408
	ds_read_u16 v13, v54 offset:1536
	ds_read_u16 v12, v54 offset:1664
	ds_read_u16 v11, v54 offset:1792
	ds_read_u16 v10, v54 offset:1920
	ds_read_u16 v9, v54 offset:2048
	ds_read_u16 v8, v54 offset:2176
	ds_read_u16 v7, v54 offset:2304
	ds_read_u16 v6, v54 offset:2432
	ds_read_u16 v5, v54 offset:2560
	ds_read_u16 v4, v54 offset:2688
	ds_read_u16 v3, v54 offset:2816
	ds_read_u16 v2, v54 offset:2944
	v_add_co_u32_e64 v0, s[4:5], s54, v26
	v_addc_co_u32_e64 v1, s[4:5], v1, v27, s[4:5]
	s_and_saveexec_b64 s[4:5], vcc
	s_cbranch_execnz .LBB6689_91
; %bb.67:
	s_or_b64 exec, exec, s[4:5]
	s_and_saveexec_b64 s[4:5], s[0:1]
	s_cbranch_execnz .LBB6689_92
.LBB6689_68:
	s_or_b64 exec, exec, s[4:5]
	s_and_saveexec_b64 s[0:1], s[2:3]
	s_cbranch_execnz .LBB6689_93
.LBB6689_69:
	s_or_b64 exec, exec, s[0:1]
	s_and_saveexec_b64 s[0:1], s[48:49]
	s_cbranch_execnz .LBB6689_94
.LBB6689_70:
	s_or_b64 exec, exec, s[0:1]
	s_and_saveexec_b64 s[0:1], s[6:7]
	s_cbranch_execnz .LBB6689_95
.LBB6689_71:
	s_or_b64 exec, exec, s[0:1]
	s_and_saveexec_b64 s[0:1], s[8:9]
	s_cbranch_execnz .LBB6689_96
.LBB6689_72:
	s_or_b64 exec, exec, s[0:1]
	s_and_saveexec_b64 s[0:1], s[10:11]
	s_cbranch_execnz .LBB6689_97
.LBB6689_73:
	s_or_b64 exec, exec, s[0:1]
	s_and_saveexec_b64 s[0:1], s[12:13]
	s_cbranch_execnz .LBB6689_98
.LBB6689_74:
	s_or_b64 exec, exec, s[0:1]
	s_and_saveexec_b64 s[0:1], s[14:15]
	s_cbranch_execnz .LBB6689_99
.LBB6689_75:
	s_or_b64 exec, exec, s[0:1]
	s_and_saveexec_b64 s[0:1], s[16:17]
	s_cbranch_execnz .LBB6689_100
.LBB6689_76:
	s_or_b64 exec, exec, s[0:1]
	s_and_saveexec_b64 s[0:1], s[18:19]
	s_cbranch_execnz .LBB6689_101
.LBB6689_77:
	s_or_b64 exec, exec, s[0:1]
	s_and_saveexec_b64 s[0:1], s[20:21]
	s_cbranch_execnz .LBB6689_102
.LBB6689_78:
	s_or_b64 exec, exec, s[0:1]
	s_and_saveexec_b64 s[0:1], s[22:23]
	s_cbranch_execnz .LBB6689_103
.LBB6689_79:
	s_or_b64 exec, exec, s[0:1]
	s_and_saveexec_b64 s[0:1], s[24:25]
	s_cbranch_execnz .LBB6689_104
.LBB6689_80:
	s_or_b64 exec, exec, s[0:1]
	s_and_saveexec_b64 s[0:1], s[26:27]
	s_cbranch_execnz .LBB6689_105
.LBB6689_81:
	s_or_b64 exec, exec, s[0:1]
	s_and_saveexec_b64 s[0:1], s[28:29]
	s_cbranch_execnz .LBB6689_106
.LBB6689_82:
	s_or_b64 exec, exec, s[0:1]
	s_and_saveexec_b64 s[0:1], s[30:31]
	s_cbranch_execnz .LBB6689_107
.LBB6689_83:
	s_or_b64 exec, exec, s[0:1]
	s_and_saveexec_b64 s[0:1], s[34:35]
	s_cbranch_execnz .LBB6689_108
.LBB6689_84:
	s_or_b64 exec, exec, s[0:1]
	s_and_saveexec_b64 s[0:1], s[36:37]
	s_cbranch_execnz .LBB6689_109
.LBB6689_85:
	s_or_b64 exec, exec, s[0:1]
	s_and_saveexec_b64 s[0:1], s[38:39]
	s_cbranch_execnz .LBB6689_110
.LBB6689_86:
	s_or_b64 exec, exec, s[0:1]
	s_and_saveexec_b64 s[0:1], s[40:41]
	s_cbranch_execnz .LBB6689_111
.LBB6689_87:
	s_or_b64 exec, exec, s[0:1]
	s_and_saveexec_b64 s[0:1], s[42:43]
	s_cbranch_execnz .LBB6689_112
.LBB6689_88:
	s_or_b64 exec, exec, s[0:1]
	s_and_saveexec_b64 s[0:1], s[44:45]
	s_cbranch_execnz .LBB6689_113
.LBB6689_89:
	s_or_b64 exec, exec, s[0:1]
	s_and_saveexec_b64 s[0:1], s[46:47]
	s_cbranch_execnz .LBB6689_114
.LBB6689_90:
	s_endpgm
.LBB6689_91:
	ds_read_u16 v25, v54
	s_waitcnt lgkmcnt(0)
	global_store_short v[0:1], v25, off
	s_or_b64 exec, exec, s[4:5]
	s_and_saveexec_b64 s[4:5], s[0:1]
	s_cbranch_execz .LBB6689_68
.LBB6689_92:
	s_waitcnt lgkmcnt(14)
	global_store_short v[0:1], v24, off offset:128
	s_or_b64 exec, exec, s[4:5]
	s_and_saveexec_b64 s[0:1], s[2:3]
	s_cbranch_execz .LBB6689_69
.LBB6689_93:
	s_waitcnt lgkmcnt(14)
	global_store_short v[0:1], v23, off offset:256
	s_or_b64 exec, exec, s[0:1]
	s_and_saveexec_b64 s[0:1], s[48:49]
	s_cbranch_execz .LBB6689_70
.LBB6689_94:
	s_waitcnt lgkmcnt(14)
	global_store_short v[0:1], v22, off offset:384
	s_or_b64 exec, exec, s[0:1]
	s_and_saveexec_b64 s[0:1], s[6:7]
	s_cbranch_execz .LBB6689_71
.LBB6689_95:
	s_waitcnt lgkmcnt(14)
	global_store_short v[0:1], v21, off offset:512
	s_or_b64 exec, exec, s[0:1]
	s_and_saveexec_b64 s[0:1], s[8:9]
	s_cbranch_execz .LBB6689_72
.LBB6689_96:
	s_waitcnt lgkmcnt(14)
	global_store_short v[0:1], v20, off offset:640
	s_or_b64 exec, exec, s[0:1]
	s_and_saveexec_b64 s[0:1], s[10:11]
	s_cbranch_execz .LBB6689_73
.LBB6689_97:
	s_waitcnt lgkmcnt(14)
	global_store_short v[0:1], v19, off offset:768
	s_or_b64 exec, exec, s[0:1]
	s_and_saveexec_b64 s[0:1], s[12:13]
	s_cbranch_execz .LBB6689_74
.LBB6689_98:
	s_waitcnt lgkmcnt(14)
	global_store_short v[0:1], v18, off offset:896
	s_or_b64 exec, exec, s[0:1]
	s_and_saveexec_b64 s[0:1], s[14:15]
	s_cbranch_execz .LBB6689_75
.LBB6689_99:
	s_waitcnt lgkmcnt(14)
	global_store_short v[0:1], v17, off offset:1024
	s_or_b64 exec, exec, s[0:1]
	s_and_saveexec_b64 s[0:1], s[16:17]
	s_cbranch_execz .LBB6689_76
.LBB6689_100:
	s_waitcnt lgkmcnt(14)
	global_store_short v[0:1], v16, off offset:1152
	s_or_b64 exec, exec, s[0:1]
	s_and_saveexec_b64 s[0:1], s[18:19]
	s_cbranch_execz .LBB6689_77
.LBB6689_101:
	s_waitcnt lgkmcnt(13)
	global_store_short v[0:1], v15, off offset:1280
	s_or_b64 exec, exec, s[0:1]
	s_and_saveexec_b64 s[0:1], s[20:21]
	s_cbranch_execz .LBB6689_78
.LBB6689_102:
	s_waitcnt lgkmcnt(12)
	global_store_short v[0:1], v14, off offset:1408
	s_or_b64 exec, exec, s[0:1]
	s_and_saveexec_b64 s[0:1], s[22:23]
	s_cbranch_execz .LBB6689_79
.LBB6689_103:
	s_waitcnt lgkmcnt(11)
	global_store_short v[0:1], v13, off offset:1536
	s_or_b64 exec, exec, s[0:1]
	s_and_saveexec_b64 s[0:1], s[24:25]
	s_cbranch_execz .LBB6689_80
.LBB6689_104:
	s_waitcnt lgkmcnt(10)
	global_store_short v[0:1], v12, off offset:1664
	s_or_b64 exec, exec, s[0:1]
	s_and_saveexec_b64 s[0:1], s[26:27]
	s_cbranch_execz .LBB6689_81
.LBB6689_105:
	s_waitcnt lgkmcnt(9)
	global_store_short v[0:1], v11, off offset:1792
	s_or_b64 exec, exec, s[0:1]
	s_and_saveexec_b64 s[0:1], s[28:29]
	s_cbranch_execz .LBB6689_82
.LBB6689_106:
	s_waitcnt lgkmcnt(8)
	global_store_short v[0:1], v10, off offset:1920
	s_or_b64 exec, exec, s[0:1]
	s_and_saveexec_b64 s[0:1], s[30:31]
	s_cbranch_execz .LBB6689_83
.LBB6689_107:
	s_waitcnt lgkmcnt(7)
	global_store_short v[0:1], v9, off offset:2048
	s_or_b64 exec, exec, s[0:1]
	s_and_saveexec_b64 s[0:1], s[34:35]
	s_cbranch_execz .LBB6689_84
.LBB6689_108:
	s_waitcnt lgkmcnt(6)
	global_store_short v[0:1], v8, off offset:2176
	s_or_b64 exec, exec, s[0:1]
	s_and_saveexec_b64 s[0:1], s[36:37]
	s_cbranch_execz .LBB6689_85
.LBB6689_109:
	s_waitcnt lgkmcnt(5)
	global_store_short v[0:1], v7, off offset:2304
	s_or_b64 exec, exec, s[0:1]
	s_and_saveexec_b64 s[0:1], s[38:39]
	s_cbranch_execz .LBB6689_86
.LBB6689_110:
	s_waitcnt lgkmcnt(4)
	global_store_short v[0:1], v6, off offset:2432
	s_or_b64 exec, exec, s[0:1]
	s_and_saveexec_b64 s[0:1], s[40:41]
	s_cbranch_execz .LBB6689_87
.LBB6689_111:
	s_waitcnt lgkmcnt(3)
	global_store_short v[0:1], v5, off offset:2560
	s_or_b64 exec, exec, s[0:1]
	s_and_saveexec_b64 s[0:1], s[42:43]
	s_cbranch_execz .LBB6689_88
.LBB6689_112:
	s_waitcnt lgkmcnt(2)
	global_store_short v[0:1], v4, off offset:2688
	s_or_b64 exec, exec, s[0:1]
	s_and_saveexec_b64 s[0:1], s[44:45]
	s_cbranch_execz .LBB6689_89
.LBB6689_113:
	s_waitcnt lgkmcnt(1)
	global_store_short v[0:1], v3, off offset:2816
	s_or_b64 exec, exec, s[0:1]
	s_and_saveexec_b64 s[0:1], s[46:47]
	s_cbranch_execz .LBB6689_90
.LBB6689_114:
	s_waitcnt lgkmcnt(0)
	global_store_short v[0:1], v2, off offset:2944
	s_endpgm
	.section	.rodata,"a",@progbits
	.p2align	6, 0x0
	.amdhsa_kernel _ZN7rocprim17ROCPRIM_400000_NS6detail17trampoline_kernelINS0_14default_configENS1_20scan_config_selectorIsEEZZNS1_9scan_implILNS1_25lookback_scan_determinismE0ELb0ELb0ES3_N6thrust23THRUST_200600_302600_NS6detail15normal_iteratorINS9_10device_ptrIsEEEESE_s9plus_mod3IsEsEEDaPvRmT3_T4_T5_mT6_P12ihipStream_tbENKUlT_T0_E_clISt17integral_constantIbLb0EESU_EEDaSP_SQ_EUlSP_E0_NS1_11comp_targetILNS1_3genE4ELNS1_11target_archE910ELNS1_3gpuE8ELNS1_3repE0EEENS1_30default_config_static_selectorELNS0_4arch9wavefront6targetE1EEEvT1_
		.amdhsa_group_segment_fixed_size 3072
		.amdhsa_private_segment_fixed_size 0
		.amdhsa_kernarg_size 40
		.amdhsa_user_sgpr_count 6
		.amdhsa_user_sgpr_private_segment_buffer 1
		.amdhsa_user_sgpr_dispatch_ptr 0
		.amdhsa_user_sgpr_queue_ptr 0
		.amdhsa_user_sgpr_kernarg_segment_ptr 1
		.amdhsa_user_sgpr_dispatch_id 0
		.amdhsa_user_sgpr_flat_scratch_init 0
		.amdhsa_user_sgpr_kernarg_preload_length 0
		.amdhsa_user_sgpr_kernarg_preload_offset 0
		.amdhsa_user_sgpr_private_segment_size 0
		.amdhsa_uses_dynamic_stack 0
		.amdhsa_system_sgpr_private_segment_wavefront_offset 0
		.amdhsa_system_sgpr_workgroup_id_x 1
		.amdhsa_system_sgpr_workgroup_id_y 0
		.amdhsa_system_sgpr_workgroup_id_z 0
		.amdhsa_system_sgpr_workgroup_info 0
		.amdhsa_system_vgpr_workitem_id 0
		.amdhsa_next_free_vgpr 61
		.amdhsa_next_free_sgpr 60
		.amdhsa_accum_offset 64
		.amdhsa_reserve_vcc 1
		.amdhsa_reserve_flat_scratch 0
		.amdhsa_float_round_mode_32 0
		.amdhsa_float_round_mode_16_64 0
		.amdhsa_float_denorm_mode_32 3
		.amdhsa_float_denorm_mode_16_64 3
		.amdhsa_dx10_clamp 1
		.amdhsa_ieee_mode 1
		.amdhsa_fp16_overflow 0
		.amdhsa_tg_split 0
		.amdhsa_exception_fp_ieee_invalid_op 0
		.amdhsa_exception_fp_denorm_src 0
		.amdhsa_exception_fp_ieee_div_zero 0
		.amdhsa_exception_fp_ieee_overflow 0
		.amdhsa_exception_fp_ieee_underflow 0
		.amdhsa_exception_fp_ieee_inexact 0
		.amdhsa_exception_int_div_zero 0
	.end_amdhsa_kernel
	.section	.text._ZN7rocprim17ROCPRIM_400000_NS6detail17trampoline_kernelINS0_14default_configENS1_20scan_config_selectorIsEEZZNS1_9scan_implILNS1_25lookback_scan_determinismE0ELb0ELb0ES3_N6thrust23THRUST_200600_302600_NS6detail15normal_iteratorINS9_10device_ptrIsEEEESE_s9plus_mod3IsEsEEDaPvRmT3_T4_T5_mT6_P12ihipStream_tbENKUlT_T0_E_clISt17integral_constantIbLb0EESU_EEDaSP_SQ_EUlSP_E0_NS1_11comp_targetILNS1_3genE4ELNS1_11target_archE910ELNS1_3gpuE8ELNS1_3repE0EEENS1_30default_config_static_selectorELNS0_4arch9wavefront6targetE1EEEvT1_,"axG",@progbits,_ZN7rocprim17ROCPRIM_400000_NS6detail17trampoline_kernelINS0_14default_configENS1_20scan_config_selectorIsEEZZNS1_9scan_implILNS1_25lookback_scan_determinismE0ELb0ELb0ES3_N6thrust23THRUST_200600_302600_NS6detail15normal_iteratorINS9_10device_ptrIsEEEESE_s9plus_mod3IsEsEEDaPvRmT3_T4_T5_mT6_P12ihipStream_tbENKUlT_T0_E_clISt17integral_constantIbLb0EESU_EEDaSP_SQ_EUlSP_E0_NS1_11comp_targetILNS1_3genE4ELNS1_11target_archE910ELNS1_3gpuE8ELNS1_3repE0EEENS1_30default_config_static_selectorELNS0_4arch9wavefront6targetE1EEEvT1_,comdat
.Lfunc_end6689:
	.size	_ZN7rocprim17ROCPRIM_400000_NS6detail17trampoline_kernelINS0_14default_configENS1_20scan_config_selectorIsEEZZNS1_9scan_implILNS1_25lookback_scan_determinismE0ELb0ELb0ES3_N6thrust23THRUST_200600_302600_NS6detail15normal_iteratorINS9_10device_ptrIsEEEESE_s9plus_mod3IsEsEEDaPvRmT3_T4_T5_mT6_P12ihipStream_tbENKUlT_T0_E_clISt17integral_constantIbLb0EESU_EEDaSP_SQ_EUlSP_E0_NS1_11comp_targetILNS1_3genE4ELNS1_11target_archE910ELNS1_3gpuE8ELNS1_3repE0EEENS1_30default_config_static_selectorELNS0_4arch9wavefront6targetE1EEEvT1_, .Lfunc_end6689-_ZN7rocprim17ROCPRIM_400000_NS6detail17trampoline_kernelINS0_14default_configENS1_20scan_config_selectorIsEEZZNS1_9scan_implILNS1_25lookback_scan_determinismE0ELb0ELb0ES3_N6thrust23THRUST_200600_302600_NS6detail15normal_iteratorINS9_10device_ptrIsEEEESE_s9plus_mod3IsEsEEDaPvRmT3_T4_T5_mT6_P12ihipStream_tbENKUlT_T0_E_clISt17integral_constantIbLb0EESU_EEDaSP_SQ_EUlSP_E0_NS1_11comp_targetILNS1_3genE4ELNS1_11target_archE910ELNS1_3gpuE8ELNS1_3repE0EEENS1_30default_config_static_selectorELNS0_4arch9wavefront6targetE1EEEvT1_
                                        ; -- End function
	.section	.AMDGPU.csdata,"",@progbits
; Kernel info:
; codeLenInByte = 6952
; NumSgprs: 64
; NumVgprs: 61
; NumAgprs: 0
; TotalNumVgprs: 61
; ScratchSize: 0
; MemoryBound: 0
; FloatMode: 240
; IeeeMode: 1
; LDSByteSize: 3072 bytes/workgroup (compile time only)
; SGPRBlocks: 7
; VGPRBlocks: 7
; NumSGPRsForWavesPerEU: 64
; NumVGPRsForWavesPerEU: 61
; AccumOffset: 64
; Occupancy: 6
; WaveLimiterHint : 1
; COMPUTE_PGM_RSRC2:SCRATCH_EN: 0
; COMPUTE_PGM_RSRC2:USER_SGPR: 6
; COMPUTE_PGM_RSRC2:TRAP_HANDLER: 0
; COMPUTE_PGM_RSRC2:TGID_X_EN: 1
; COMPUTE_PGM_RSRC2:TGID_Y_EN: 0
; COMPUTE_PGM_RSRC2:TGID_Z_EN: 0
; COMPUTE_PGM_RSRC2:TIDIG_COMP_CNT: 0
; COMPUTE_PGM_RSRC3_GFX90A:ACCUM_OFFSET: 15
; COMPUTE_PGM_RSRC3_GFX90A:TG_SPLIT: 0
	.section	.text._ZN7rocprim17ROCPRIM_400000_NS6detail17trampoline_kernelINS0_14default_configENS1_20scan_config_selectorIsEEZZNS1_9scan_implILNS1_25lookback_scan_determinismE0ELb0ELb0ES3_N6thrust23THRUST_200600_302600_NS6detail15normal_iteratorINS9_10device_ptrIsEEEESE_s9plus_mod3IsEsEEDaPvRmT3_T4_T5_mT6_P12ihipStream_tbENKUlT_T0_E_clISt17integral_constantIbLb0EESU_EEDaSP_SQ_EUlSP_E0_NS1_11comp_targetILNS1_3genE3ELNS1_11target_archE908ELNS1_3gpuE7ELNS1_3repE0EEENS1_30default_config_static_selectorELNS0_4arch9wavefront6targetE1EEEvT1_,"axG",@progbits,_ZN7rocprim17ROCPRIM_400000_NS6detail17trampoline_kernelINS0_14default_configENS1_20scan_config_selectorIsEEZZNS1_9scan_implILNS1_25lookback_scan_determinismE0ELb0ELb0ES3_N6thrust23THRUST_200600_302600_NS6detail15normal_iteratorINS9_10device_ptrIsEEEESE_s9plus_mod3IsEsEEDaPvRmT3_T4_T5_mT6_P12ihipStream_tbENKUlT_T0_E_clISt17integral_constantIbLb0EESU_EEDaSP_SQ_EUlSP_E0_NS1_11comp_targetILNS1_3genE3ELNS1_11target_archE908ELNS1_3gpuE7ELNS1_3repE0EEENS1_30default_config_static_selectorELNS0_4arch9wavefront6targetE1EEEvT1_,comdat
	.protected	_ZN7rocprim17ROCPRIM_400000_NS6detail17trampoline_kernelINS0_14default_configENS1_20scan_config_selectorIsEEZZNS1_9scan_implILNS1_25lookback_scan_determinismE0ELb0ELb0ES3_N6thrust23THRUST_200600_302600_NS6detail15normal_iteratorINS9_10device_ptrIsEEEESE_s9plus_mod3IsEsEEDaPvRmT3_T4_T5_mT6_P12ihipStream_tbENKUlT_T0_E_clISt17integral_constantIbLb0EESU_EEDaSP_SQ_EUlSP_E0_NS1_11comp_targetILNS1_3genE3ELNS1_11target_archE908ELNS1_3gpuE7ELNS1_3repE0EEENS1_30default_config_static_selectorELNS0_4arch9wavefront6targetE1EEEvT1_ ; -- Begin function _ZN7rocprim17ROCPRIM_400000_NS6detail17trampoline_kernelINS0_14default_configENS1_20scan_config_selectorIsEEZZNS1_9scan_implILNS1_25lookback_scan_determinismE0ELb0ELb0ES3_N6thrust23THRUST_200600_302600_NS6detail15normal_iteratorINS9_10device_ptrIsEEEESE_s9plus_mod3IsEsEEDaPvRmT3_T4_T5_mT6_P12ihipStream_tbENKUlT_T0_E_clISt17integral_constantIbLb0EESU_EEDaSP_SQ_EUlSP_E0_NS1_11comp_targetILNS1_3genE3ELNS1_11target_archE908ELNS1_3gpuE7ELNS1_3repE0EEENS1_30default_config_static_selectorELNS0_4arch9wavefront6targetE1EEEvT1_
	.globl	_ZN7rocprim17ROCPRIM_400000_NS6detail17trampoline_kernelINS0_14default_configENS1_20scan_config_selectorIsEEZZNS1_9scan_implILNS1_25lookback_scan_determinismE0ELb0ELb0ES3_N6thrust23THRUST_200600_302600_NS6detail15normal_iteratorINS9_10device_ptrIsEEEESE_s9plus_mod3IsEsEEDaPvRmT3_T4_T5_mT6_P12ihipStream_tbENKUlT_T0_E_clISt17integral_constantIbLb0EESU_EEDaSP_SQ_EUlSP_E0_NS1_11comp_targetILNS1_3genE3ELNS1_11target_archE908ELNS1_3gpuE7ELNS1_3repE0EEENS1_30default_config_static_selectorELNS0_4arch9wavefront6targetE1EEEvT1_
	.p2align	8
	.type	_ZN7rocprim17ROCPRIM_400000_NS6detail17trampoline_kernelINS0_14default_configENS1_20scan_config_selectorIsEEZZNS1_9scan_implILNS1_25lookback_scan_determinismE0ELb0ELb0ES3_N6thrust23THRUST_200600_302600_NS6detail15normal_iteratorINS9_10device_ptrIsEEEESE_s9plus_mod3IsEsEEDaPvRmT3_T4_T5_mT6_P12ihipStream_tbENKUlT_T0_E_clISt17integral_constantIbLb0EESU_EEDaSP_SQ_EUlSP_E0_NS1_11comp_targetILNS1_3genE3ELNS1_11target_archE908ELNS1_3gpuE7ELNS1_3repE0EEENS1_30default_config_static_selectorELNS0_4arch9wavefront6targetE1EEEvT1_,@function
_ZN7rocprim17ROCPRIM_400000_NS6detail17trampoline_kernelINS0_14default_configENS1_20scan_config_selectorIsEEZZNS1_9scan_implILNS1_25lookback_scan_determinismE0ELb0ELb0ES3_N6thrust23THRUST_200600_302600_NS6detail15normal_iteratorINS9_10device_ptrIsEEEESE_s9plus_mod3IsEsEEDaPvRmT3_T4_T5_mT6_P12ihipStream_tbENKUlT_T0_E_clISt17integral_constantIbLb0EESU_EEDaSP_SQ_EUlSP_E0_NS1_11comp_targetILNS1_3genE3ELNS1_11target_archE908ELNS1_3gpuE7ELNS1_3repE0EEENS1_30default_config_static_selectorELNS0_4arch9wavefront6targetE1EEEvT1_: ; @_ZN7rocprim17ROCPRIM_400000_NS6detail17trampoline_kernelINS0_14default_configENS1_20scan_config_selectorIsEEZZNS1_9scan_implILNS1_25lookback_scan_determinismE0ELb0ELb0ES3_N6thrust23THRUST_200600_302600_NS6detail15normal_iteratorINS9_10device_ptrIsEEEESE_s9plus_mod3IsEsEEDaPvRmT3_T4_T5_mT6_P12ihipStream_tbENKUlT_T0_E_clISt17integral_constantIbLb0EESU_EEDaSP_SQ_EUlSP_E0_NS1_11comp_targetILNS1_3genE3ELNS1_11target_archE908ELNS1_3gpuE7ELNS1_3repE0EEENS1_30default_config_static_selectorELNS0_4arch9wavefront6targetE1EEEvT1_
; %bb.0:
	.section	.rodata,"a",@progbits
	.p2align	6, 0x0
	.amdhsa_kernel _ZN7rocprim17ROCPRIM_400000_NS6detail17trampoline_kernelINS0_14default_configENS1_20scan_config_selectorIsEEZZNS1_9scan_implILNS1_25lookback_scan_determinismE0ELb0ELb0ES3_N6thrust23THRUST_200600_302600_NS6detail15normal_iteratorINS9_10device_ptrIsEEEESE_s9plus_mod3IsEsEEDaPvRmT3_T4_T5_mT6_P12ihipStream_tbENKUlT_T0_E_clISt17integral_constantIbLb0EESU_EEDaSP_SQ_EUlSP_E0_NS1_11comp_targetILNS1_3genE3ELNS1_11target_archE908ELNS1_3gpuE7ELNS1_3repE0EEENS1_30default_config_static_selectorELNS0_4arch9wavefront6targetE1EEEvT1_
		.amdhsa_group_segment_fixed_size 0
		.amdhsa_private_segment_fixed_size 0
		.amdhsa_kernarg_size 40
		.amdhsa_user_sgpr_count 6
		.amdhsa_user_sgpr_private_segment_buffer 1
		.amdhsa_user_sgpr_dispatch_ptr 0
		.amdhsa_user_sgpr_queue_ptr 0
		.amdhsa_user_sgpr_kernarg_segment_ptr 1
		.amdhsa_user_sgpr_dispatch_id 0
		.amdhsa_user_sgpr_flat_scratch_init 0
		.amdhsa_user_sgpr_kernarg_preload_length 0
		.amdhsa_user_sgpr_kernarg_preload_offset 0
		.amdhsa_user_sgpr_private_segment_size 0
		.amdhsa_uses_dynamic_stack 0
		.amdhsa_system_sgpr_private_segment_wavefront_offset 0
		.amdhsa_system_sgpr_workgroup_id_x 1
		.amdhsa_system_sgpr_workgroup_id_y 0
		.amdhsa_system_sgpr_workgroup_id_z 0
		.amdhsa_system_sgpr_workgroup_info 0
		.amdhsa_system_vgpr_workitem_id 0
		.amdhsa_next_free_vgpr 1
		.amdhsa_next_free_sgpr 0
		.amdhsa_accum_offset 4
		.amdhsa_reserve_vcc 0
		.amdhsa_reserve_flat_scratch 0
		.amdhsa_float_round_mode_32 0
		.amdhsa_float_round_mode_16_64 0
		.amdhsa_float_denorm_mode_32 3
		.amdhsa_float_denorm_mode_16_64 3
		.amdhsa_dx10_clamp 1
		.amdhsa_ieee_mode 1
		.amdhsa_fp16_overflow 0
		.amdhsa_tg_split 0
		.amdhsa_exception_fp_ieee_invalid_op 0
		.amdhsa_exception_fp_denorm_src 0
		.amdhsa_exception_fp_ieee_div_zero 0
		.amdhsa_exception_fp_ieee_overflow 0
		.amdhsa_exception_fp_ieee_underflow 0
		.amdhsa_exception_fp_ieee_inexact 0
		.amdhsa_exception_int_div_zero 0
	.end_amdhsa_kernel
	.section	.text._ZN7rocprim17ROCPRIM_400000_NS6detail17trampoline_kernelINS0_14default_configENS1_20scan_config_selectorIsEEZZNS1_9scan_implILNS1_25lookback_scan_determinismE0ELb0ELb0ES3_N6thrust23THRUST_200600_302600_NS6detail15normal_iteratorINS9_10device_ptrIsEEEESE_s9plus_mod3IsEsEEDaPvRmT3_T4_T5_mT6_P12ihipStream_tbENKUlT_T0_E_clISt17integral_constantIbLb0EESU_EEDaSP_SQ_EUlSP_E0_NS1_11comp_targetILNS1_3genE3ELNS1_11target_archE908ELNS1_3gpuE7ELNS1_3repE0EEENS1_30default_config_static_selectorELNS0_4arch9wavefront6targetE1EEEvT1_,"axG",@progbits,_ZN7rocprim17ROCPRIM_400000_NS6detail17trampoline_kernelINS0_14default_configENS1_20scan_config_selectorIsEEZZNS1_9scan_implILNS1_25lookback_scan_determinismE0ELb0ELb0ES3_N6thrust23THRUST_200600_302600_NS6detail15normal_iteratorINS9_10device_ptrIsEEEESE_s9plus_mod3IsEsEEDaPvRmT3_T4_T5_mT6_P12ihipStream_tbENKUlT_T0_E_clISt17integral_constantIbLb0EESU_EEDaSP_SQ_EUlSP_E0_NS1_11comp_targetILNS1_3genE3ELNS1_11target_archE908ELNS1_3gpuE7ELNS1_3repE0EEENS1_30default_config_static_selectorELNS0_4arch9wavefront6targetE1EEEvT1_,comdat
.Lfunc_end6690:
	.size	_ZN7rocprim17ROCPRIM_400000_NS6detail17trampoline_kernelINS0_14default_configENS1_20scan_config_selectorIsEEZZNS1_9scan_implILNS1_25lookback_scan_determinismE0ELb0ELb0ES3_N6thrust23THRUST_200600_302600_NS6detail15normal_iteratorINS9_10device_ptrIsEEEESE_s9plus_mod3IsEsEEDaPvRmT3_T4_T5_mT6_P12ihipStream_tbENKUlT_T0_E_clISt17integral_constantIbLb0EESU_EEDaSP_SQ_EUlSP_E0_NS1_11comp_targetILNS1_3genE3ELNS1_11target_archE908ELNS1_3gpuE7ELNS1_3repE0EEENS1_30default_config_static_selectorELNS0_4arch9wavefront6targetE1EEEvT1_, .Lfunc_end6690-_ZN7rocprim17ROCPRIM_400000_NS6detail17trampoline_kernelINS0_14default_configENS1_20scan_config_selectorIsEEZZNS1_9scan_implILNS1_25lookback_scan_determinismE0ELb0ELb0ES3_N6thrust23THRUST_200600_302600_NS6detail15normal_iteratorINS9_10device_ptrIsEEEESE_s9plus_mod3IsEsEEDaPvRmT3_T4_T5_mT6_P12ihipStream_tbENKUlT_T0_E_clISt17integral_constantIbLb0EESU_EEDaSP_SQ_EUlSP_E0_NS1_11comp_targetILNS1_3genE3ELNS1_11target_archE908ELNS1_3gpuE7ELNS1_3repE0EEENS1_30default_config_static_selectorELNS0_4arch9wavefront6targetE1EEEvT1_
                                        ; -- End function
	.section	.AMDGPU.csdata,"",@progbits
; Kernel info:
; codeLenInByte = 0
; NumSgprs: 4
; NumVgprs: 0
; NumAgprs: 0
; TotalNumVgprs: 0
; ScratchSize: 0
; MemoryBound: 0
; FloatMode: 240
; IeeeMode: 1
; LDSByteSize: 0 bytes/workgroup (compile time only)
; SGPRBlocks: 0
; VGPRBlocks: 0
; NumSGPRsForWavesPerEU: 4
; NumVGPRsForWavesPerEU: 1
; AccumOffset: 4
; Occupancy: 8
; WaveLimiterHint : 0
; COMPUTE_PGM_RSRC2:SCRATCH_EN: 0
; COMPUTE_PGM_RSRC2:USER_SGPR: 6
; COMPUTE_PGM_RSRC2:TRAP_HANDLER: 0
; COMPUTE_PGM_RSRC2:TGID_X_EN: 1
; COMPUTE_PGM_RSRC2:TGID_Y_EN: 0
; COMPUTE_PGM_RSRC2:TGID_Z_EN: 0
; COMPUTE_PGM_RSRC2:TIDIG_COMP_CNT: 0
; COMPUTE_PGM_RSRC3_GFX90A:ACCUM_OFFSET: 0
; COMPUTE_PGM_RSRC3_GFX90A:TG_SPLIT: 0
	.section	.text._ZN7rocprim17ROCPRIM_400000_NS6detail17trampoline_kernelINS0_14default_configENS1_20scan_config_selectorIsEEZZNS1_9scan_implILNS1_25lookback_scan_determinismE0ELb0ELb0ES3_N6thrust23THRUST_200600_302600_NS6detail15normal_iteratorINS9_10device_ptrIsEEEESE_s9plus_mod3IsEsEEDaPvRmT3_T4_T5_mT6_P12ihipStream_tbENKUlT_T0_E_clISt17integral_constantIbLb0EESU_EEDaSP_SQ_EUlSP_E0_NS1_11comp_targetILNS1_3genE2ELNS1_11target_archE906ELNS1_3gpuE6ELNS1_3repE0EEENS1_30default_config_static_selectorELNS0_4arch9wavefront6targetE1EEEvT1_,"axG",@progbits,_ZN7rocprim17ROCPRIM_400000_NS6detail17trampoline_kernelINS0_14default_configENS1_20scan_config_selectorIsEEZZNS1_9scan_implILNS1_25lookback_scan_determinismE0ELb0ELb0ES3_N6thrust23THRUST_200600_302600_NS6detail15normal_iteratorINS9_10device_ptrIsEEEESE_s9plus_mod3IsEsEEDaPvRmT3_T4_T5_mT6_P12ihipStream_tbENKUlT_T0_E_clISt17integral_constantIbLb0EESU_EEDaSP_SQ_EUlSP_E0_NS1_11comp_targetILNS1_3genE2ELNS1_11target_archE906ELNS1_3gpuE6ELNS1_3repE0EEENS1_30default_config_static_selectorELNS0_4arch9wavefront6targetE1EEEvT1_,comdat
	.protected	_ZN7rocprim17ROCPRIM_400000_NS6detail17trampoline_kernelINS0_14default_configENS1_20scan_config_selectorIsEEZZNS1_9scan_implILNS1_25lookback_scan_determinismE0ELb0ELb0ES3_N6thrust23THRUST_200600_302600_NS6detail15normal_iteratorINS9_10device_ptrIsEEEESE_s9plus_mod3IsEsEEDaPvRmT3_T4_T5_mT6_P12ihipStream_tbENKUlT_T0_E_clISt17integral_constantIbLb0EESU_EEDaSP_SQ_EUlSP_E0_NS1_11comp_targetILNS1_3genE2ELNS1_11target_archE906ELNS1_3gpuE6ELNS1_3repE0EEENS1_30default_config_static_selectorELNS0_4arch9wavefront6targetE1EEEvT1_ ; -- Begin function _ZN7rocprim17ROCPRIM_400000_NS6detail17trampoline_kernelINS0_14default_configENS1_20scan_config_selectorIsEEZZNS1_9scan_implILNS1_25lookback_scan_determinismE0ELb0ELb0ES3_N6thrust23THRUST_200600_302600_NS6detail15normal_iteratorINS9_10device_ptrIsEEEESE_s9plus_mod3IsEsEEDaPvRmT3_T4_T5_mT6_P12ihipStream_tbENKUlT_T0_E_clISt17integral_constantIbLb0EESU_EEDaSP_SQ_EUlSP_E0_NS1_11comp_targetILNS1_3genE2ELNS1_11target_archE906ELNS1_3gpuE6ELNS1_3repE0EEENS1_30default_config_static_selectorELNS0_4arch9wavefront6targetE1EEEvT1_
	.globl	_ZN7rocprim17ROCPRIM_400000_NS6detail17trampoline_kernelINS0_14default_configENS1_20scan_config_selectorIsEEZZNS1_9scan_implILNS1_25lookback_scan_determinismE0ELb0ELb0ES3_N6thrust23THRUST_200600_302600_NS6detail15normal_iteratorINS9_10device_ptrIsEEEESE_s9plus_mod3IsEsEEDaPvRmT3_T4_T5_mT6_P12ihipStream_tbENKUlT_T0_E_clISt17integral_constantIbLb0EESU_EEDaSP_SQ_EUlSP_E0_NS1_11comp_targetILNS1_3genE2ELNS1_11target_archE906ELNS1_3gpuE6ELNS1_3repE0EEENS1_30default_config_static_selectorELNS0_4arch9wavefront6targetE1EEEvT1_
	.p2align	8
	.type	_ZN7rocprim17ROCPRIM_400000_NS6detail17trampoline_kernelINS0_14default_configENS1_20scan_config_selectorIsEEZZNS1_9scan_implILNS1_25lookback_scan_determinismE0ELb0ELb0ES3_N6thrust23THRUST_200600_302600_NS6detail15normal_iteratorINS9_10device_ptrIsEEEESE_s9plus_mod3IsEsEEDaPvRmT3_T4_T5_mT6_P12ihipStream_tbENKUlT_T0_E_clISt17integral_constantIbLb0EESU_EEDaSP_SQ_EUlSP_E0_NS1_11comp_targetILNS1_3genE2ELNS1_11target_archE906ELNS1_3gpuE6ELNS1_3repE0EEENS1_30default_config_static_selectorELNS0_4arch9wavefront6targetE1EEEvT1_,@function
_ZN7rocprim17ROCPRIM_400000_NS6detail17trampoline_kernelINS0_14default_configENS1_20scan_config_selectorIsEEZZNS1_9scan_implILNS1_25lookback_scan_determinismE0ELb0ELb0ES3_N6thrust23THRUST_200600_302600_NS6detail15normal_iteratorINS9_10device_ptrIsEEEESE_s9plus_mod3IsEsEEDaPvRmT3_T4_T5_mT6_P12ihipStream_tbENKUlT_T0_E_clISt17integral_constantIbLb0EESU_EEDaSP_SQ_EUlSP_E0_NS1_11comp_targetILNS1_3genE2ELNS1_11target_archE906ELNS1_3gpuE6ELNS1_3repE0EEENS1_30default_config_static_selectorELNS0_4arch9wavefront6targetE1EEEvT1_: ; @_ZN7rocprim17ROCPRIM_400000_NS6detail17trampoline_kernelINS0_14default_configENS1_20scan_config_selectorIsEEZZNS1_9scan_implILNS1_25lookback_scan_determinismE0ELb0ELb0ES3_N6thrust23THRUST_200600_302600_NS6detail15normal_iteratorINS9_10device_ptrIsEEEESE_s9plus_mod3IsEsEEDaPvRmT3_T4_T5_mT6_P12ihipStream_tbENKUlT_T0_E_clISt17integral_constantIbLb0EESU_EEDaSP_SQ_EUlSP_E0_NS1_11comp_targetILNS1_3genE2ELNS1_11target_archE906ELNS1_3gpuE6ELNS1_3repE0EEENS1_30default_config_static_selectorELNS0_4arch9wavefront6targetE1EEEvT1_
; %bb.0:
	.section	.rodata,"a",@progbits
	.p2align	6, 0x0
	.amdhsa_kernel _ZN7rocprim17ROCPRIM_400000_NS6detail17trampoline_kernelINS0_14default_configENS1_20scan_config_selectorIsEEZZNS1_9scan_implILNS1_25lookback_scan_determinismE0ELb0ELb0ES3_N6thrust23THRUST_200600_302600_NS6detail15normal_iteratorINS9_10device_ptrIsEEEESE_s9plus_mod3IsEsEEDaPvRmT3_T4_T5_mT6_P12ihipStream_tbENKUlT_T0_E_clISt17integral_constantIbLb0EESU_EEDaSP_SQ_EUlSP_E0_NS1_11comp_targetILNS1_3genE2ELNS1_11target_archE906ELNS1_3gpuE6ELNS1_3repE0EEENS1_30default_config_static_selectorELNS0_4arch9wavefront6targetE1EEEvT1_
		.amdhsa_group_segment_fixed_size 0
		.amdhsa_private_segment_fixed_size 0
		.amdhsa_kernarg_size 40
		.amdhsa_user_sgpr_count 6
		.amdhsa_user_sgpr_private_segment_buffer 1
		.amdhsa_user_sgpr_dispatch_ptr 0
		.amdhsa_user_sgpr_queue_ptr 0
		.amdhsa_user_sgpr_kernarg_segment_ptr 1
		.amdhsa_user_sgpr_dispatch_id 0
		.amdhsa_user_sgpr_flat_scratch_init 0
		.amdhsa_user_sgpr_kernarg_preload_length 0
		.amdhsa_user_sgpr_kernarg_preload_offset 0
		.amdhsa_user_sgpr_private_segment_size 0
		.amdhsa_uses_dynamic_stack 0
		.amdhsa_system_sgpr_private_segment_wavefront_offset 0
		.amdhsa_system_sgpr_workgroup_id_x 1
		.amdhsa_system_sgpr_workgroup_id_y 0
		.amdhsa_system_sgpr_workgroup_id_z 0
		.amdhsa_system_sgpr_workgroup_info 0
		.amdhsa_system_vgpr_workitem_id 0
		.amdhsa_next_free_vgpr 1
		.amdhsa_next_free_sgpr 0
		.amdhsa_accum_offset 4
		.amdhsa_reserve_vcc 0
		.amdhsa_reserve_flat_scratch 0
		.amdhsa_float_round_mode_32 0
		.amdhsa_float_round_mode_16_64 0
		.amdhsa_float_denorm_mode_32 3
		.amdhsa_float_denorm_mode_16_64 3
		.amdhsa_dx10_clamp 1
		.amdhsa_ieee_mode 1
		.amdhsa_fp16_overflow 0
		.amdhsa_tg_split 0
		.amdhsa_exception_fp_ieee_invalid_op 0
		.amdhsa_exception_fp_denorm_src 0
		.amdhsa_exception_fp_ieee_div_zero 0
		.amdhsa_exception_fp_ieee_overflow 0
		.amdhsa_exception_fp_ieee_underflow 0
		.amdhsa_exception_fp_ieee_inexact 0
		.amdhsa_exception_int_div_zero 0
	.end_amdhsa_kernel
	.section	.text._ZN7rocprim17ROCPRIM_400000_NS6detail17trampoline_kernelINS0_14default_configENS1_20scan_config_selectorIsEEZZNS1_9scan_implILNS1_25lookback_scan_determinismE0ELb0ELb0ES3_N6thrust23THRUST_200600_302600_NS6detail15normal_iteratorINS9_10device_ptrIsEEEESE_s9plus_mod3IsEsEEDaPvRmT3_T4_T5_mT6_P12ihipStream_tbENKUlT_T0_E_clISt17integral_constantIbLb0EESU_EEDaSP_SQ_EUlSP_E0_NS1_11comp_targetILNS1_3genE2ELNS1_11target_archE906ELNS1_3gpuE6ELNS1_3repE0EEENS1_30default_config_static_selectorELNS0_4arch9wavefront6targetE1EEEvT1_,"axG",@progbits,_ZN7rocprim17ROCPRIM_400000_NS6detail17trampoline_kernelINS0_14default_configENS1_20scan_config_selectorIsEEZZNS1_9scan_implILNS1_25lookback_scan_determinismE0ELb0ELb0ES3_N6thrust23THRUST_200600_302600_NS6detail15normal_iteratorINS9_10device_ptrIsEEEESE_s9plus_mod3IsEsEEDaPvRmT3_T4_T5_mT6_P12ihipStream_tbENKUlT_T0_E_clISt17integral_constantIbLb0EESU_EEDaSP_SQ_EUlSP_E0_NS1_11comp_targetILNS1_3genE2ELNS1_11target_archE906ELNS1_3gpuE6ELNS1_3repE0EEENS1_30default_config_static_selectorELNS0_4arch9wavefront6targetE1EEEvT1_,comdat
.Lfunc_end6691:
	.size	_ZN7rocprim17ROCPRIM_400000_NS6detail17trampoline_kernelINS0_14default_configENS1_20scan_config_selectorIsEEZZNS1_9scan_implILNS1_25lookback_scan_determinismE0ELb0ELb0ES3_N6thrust23THRUST_200600_302600_NS6detail15normal_iteratorINS9_10device_ptrIsEEEESE_s9plus_mod3IsEsEEDaPvRmT3_T4_T5_mT6_P12ihipStream_tbENKUlT_T0_E_clISt17integral_constantIbLb0EESU_EEDaSP_SQ_EUlSP_E0_NS1_11comp_targetILNS1_3genE2ELNS1_11target_archE906ELNS1_3gpuE6ELNS1_3repE0EEENS1_30default_config_static_selectorELNS0_4arch9wavefront6targetE1EEEvT1_, .Lfunc_end6691-_ZN7rocprim17ROCPRIM_400000_NS6detail17trampoline_kernelINS0_14default_configENS1_20scan_config_selectorIsEEZZNS1_9scan_implILNS1_25lookback_scan_determinismE0ELb0ELb0ES3_N6thrust23THRUST_200600_302600_NS6detail15normal_iteratorINS9_10device_ptrIsEEEESE_s9plus_mod3IsEsEEDaPvRmT3_T4_T5_mT6_P12ihipStream_tbENKUlT_T0_E_clISt17integral_constantIbLb0EESU_EEDaSP_SQ_EUlSP_E0_NS1_11comp_targetILNS1_3genE2ELNS1_11target_archE906ELNS1_3gpuE6ELNS1_3repE0EEENS1_30default_config_static_selectorELNS0_4arch9wavefront6targetE1EEEvT1_
                                        ; -- End function
	.section	.AMDGPU.csdata,"",@progbits
; Kernel info:
; codeLenInByte = 0
; NumSgprs: 4
; NumVgprs: 0
; NumAgprs: 0
; TotalNumVgprs: 0
; ScratchSize: 0
; MemoryBound: 0
; FloatMode: 240
; IeeeMode: 1
; LDSByteSize: 0 bytes/workgroup (compile time only)
; SGPRBlocks: 0
; VGPRBlocks: 0
; NumSGPRsForWavesPerEU: 4
; NumVGPRsForWavesPerEU: 1
; AccumOffset: 4
; Occupancy: 8
; WaveLimiterHint : 0
; COMPUTE_PGM_RSRC2:SCRATCH_EN: 0
; COMPUTE_PGM_RSRC2:USER_SGPR: 6
; COMPUTE_PGM_RSRC2:TRAP_HANDLER: 0
; COMPUTE_PGM_RSRC2:TGID_X_EN: 1
; COMPUTE_PGM_RSRC2:TGID_Y_EN: 0
; COMPUTE_PGM_RSRC2:TGID_Z_EN: 0
; COMPUTE_PGM_RSRC2:TIDIG_COMP_CNT: 0
; COMPUTE_PGM_RSRC3_GFX90A:ACCUM_OFFSET: 0
; COMPUTE_PGM_RSRC3_GFX90A:TG_SPLIT: 0
	.section	.text._ZN7rocprim17ROCPRIM_400000_NS6detail17trampoline_kernelINS0_14default_configENS1_20scan_config_selectorIsEEZZNS1_9scan_implILNS1_25lookback_scan_determinismE0ELb0ELb0ES3_N6thrust23THRUST_200600_302600_NS6detail15normal_iteratorINS9_10device_ptrIsEEEESE_s9plus_mod3IsEsEEDaPvRmT3_T4_T5_mT6_P12ihipStream_tbENKUlT_T0_E_clISt17integral_constantIbLb0EESU_EEDaSP_SQ_EUlSP_E0_NS1_11comp_targetILNS1_3genE10ELNS1_11target_archE1201ELNS1_3gpuE5ELNS1_3repE0EEENS1_30default_config_static_selectorELNS0_4arch9wavefront6targetE1EEEvT1_,"axG",@progbits,_ZN7rocprim17ROCPRIM_400000_NS6detail17trampoline_kernelINS0_14default_configENS1_20scan_config_selectorIsEEZZNS1_9scan_implILNS1_25lookback_scan_determinismE0ELb0ELb0ES3_N6thrust23THRUST_200600_302600_NS6detail15normal_iteratorINS9_10device_ptrIsEEEESE_s9plus_mod3IsEsEEDaPvRmT3_T4_T5_mT6_P12ihipStream_tbENKUlT_T0_E_clISt17integral_constantIbLb0EESU_EEDaSP_SQ_EUlSP_E0_NS1_11comp_targetILNS1_3genE10ELNS1_11target_archE1201ELNS1_3gpuE5ELNS1_3repE0EEENS1_30default_config_static_selectorELNS0_4arch9wavefront6targetE1EEEvT1_,comdat
	.protected	_ZN7rocprim17ROCPRIM_400000_NS6detail17trampoline_kernelINS0_14default_configENS1_20scan_config_selectorIsEEZZNS1_9scan_implILNS1_25lookback_scan_determinismE0ELb0ELb0ES3_N6thrust23THRUST_200600_302600_NS6detail15normal_iteratorINS9_10device_ptrIsEEEESE_s9plus_mod3IsEsEEDaPvRmT3_T4_T5_mT6_P12ihipStream_tbENKUlT_T0_E_clISt17integral_constantIbLb0EESU_EEDaSP_SQ_EUlSP_E0_NS1_11comp_targetILNS1_3genE10ELNS1_11target_archE1201ELNS1_3gpuE5ELNS1_3repE0EEENS1_30default_config_static_selectorELNS0_4arch9wavefront6targetE1EEEvT1_ ; -- Begin function _ZN7rocprim17ROCPRIM_400000_NS6detail17trampoline_kernelINS0_14default_configENS1_20scan_config_selectorIsEEZZNS1_9scan_implILNS1_25lookback_scan_determinismE0ELb0ELb0ES3_N6thrust23THRUST_200600_302600_NS6detail15normal_iteratorINS9_10device_ptrIsEEEESE_s9plus_mod3IsEsEEDaPvRmT3_T4_T5_mT6_P12ihipStream_tbENKUlT_T0_E_clISt17integral_constantIbLb0EESU_EEDaSP_SQ_EUlSP_E0_NS1_11comp_targetILNS1_3genE10ELNS1_11target_archE1201ELNS1_3gpuE5ELNS1_3repE0EEENS1_30default_config_static_selectorELNS0_4arch9wavefront6targetE1EEEvT1_
	.globl	_ZN7rocprim17ROCPRIM_400000_NS6detail17trampoline_kernelINS0_14default_configENS1_20scan_config_selectorIsEEZZNS1_9scan_implILNS1_25lookback_scan_determinismE0ELb0ELb0ES3_N6thrust23THRUST_200600_302600_NS6detail15normal_iteratorINS9_10device_ptrIsEEEESE_s9plus_mod3IsEsEEDaPvRmT3_T4_T5_mT6_P12ihipStream_tbENKUlT_T0_E_clISt17integral_constantIbLb0EESU_EEDaSP_SQ_EUlSP_E0_NS1_11comp_targetILNS1_3genE10ELNS1_11target_archE1201ELNS1_3gpuE5ELNS1_3repE0EEENS1_30default_config_static_selectorELNS0_4arch9wavefront6targetE1EEEvT1_
	.p2align	8
	.type	_ZN7rocprim17ROCPRIM_400000_NS6detail17trampoline_kernelINS0_14default_configENS1_20scan_config_selectorIsEEZZNS1_9scan_implILNS1_25lookback_scan_determinismE0ELb0ELb0ES3_N6thrust23THRUST_200600_302600_NS6detail15normal_iteratorINS9_10device_ptrIsEEEESE_s9plus_mod3IsEsEEDaPvRmT3_T4_T5_mT6_P12ihipStream_tbENKUlT_T0_E_clISt17integral_constantIbLb0EESU_EEDaSP_SQ_EUlSP_E0_NS1_11comp_targetILNS1_3genE10ELNS1_11target_archE1201ELNS1_3gpuE5ELNS1_3repE0EEENS1_30default_config_static_selectorELNS0_4arch9wavefront6targetE1EEEvT1_,@function
_ZN7rocprim17ROCPRIM_400000_NS6detail17trampoline_kernelINS0_14default_configENS1_20scan_config_selectorIsEEZZNS1_9scan_implILNS1_25lookback_scan_determinismE0ELb0ELb0ES3_N6thrust23THRUST_200600_302600_NS6detail15normal_iteratorINS9_10device_ptrIsEEEESE_s9plus_mod3IsEsEEDaPvRmT3_T4_T5_mT6_P12ihipStream_tbENKUlT_T0_E_clISt17integral_constantIbLb0EESU_EEDaSP_SQ_EUlSP_E0_NS1_11comp_targetILNS1_3genE10ELNS1_11target_archE1201ELNS1_3gpuE5ELNS1_3repE0EEENS1_30default_config_static_selectorELNS0_4arch9wavefront6targetE1EEEvT1_: ; @_ZN7rocprim17ROCPRIM_400000_NS6detail17trampoline_kernelINS0_14default_configENS1_20scan_config_selectorIsEEZZNS1_9scan_implILNS1_25lookback_scan_determinismE0ELb0ELb0ES3_N6thrust23THRUST_200600_302600_NS6detail15normal_iteratorINS9_10device_ptrIsEEEESE_s9plus_mod3IsEsEEDaPvRmT3_T4_T5_mT6_P12ihipStream_tbENKUlT_T0_E_clISt17integral_constantIbLb0EESU_EEDaSP_SQ_EUlSP_E0_NS1_11comp_targetILNS1_3genE10ELNS1_11target_archE1201ELNS1_3gpuE5ELNS1_3repE0EEENS1_30default_config_static_selectorELNS0_4arch9wavefront6targetE1EEEvT1_
; %bb.0:
	.section	.rodata,"a",@progbits
	.p2align	6, 0x0
	.amdhsa_kernel _ZN7rocprim17ROCPRIM_400000_NS6detail17trampoline_kernelINS0_14default_configENS1_20scan_config_selectorIsEEZZNS1_9scan_implILNS1_25lookback_scan_determinismE0ELb0ELb0ES3_N6thrust23THRUST_200600_302600_NS6detail15normal_iteratorINS9_10device_ptrIsEEEESE_s9plus_mod3IsEsEEDaPvRmT3_T4_T5_mT6_P12ihipStream_tbENKUlT_T0_E_clISt17integral_constantIbLb0EESU_EEDaSP_SQ_EUlSP_E0_NS1_11comp_targetILNS1_3genE10ELNS1_11target_archE1201ELNS1_3gpuE5ELNS1_3repE0EEENS1_30default_config_static_selectorELNS0_4arch9wavefront6targetE1EEEvT1_
		.amdhsa_group_segment_fixed_size 0
		.amdhsa_private_segment_fixed_size 0
		.amdhsa_kernarg_size 40
		.amdhsa_user_sgpr_count 6
		.amdhsa_user_sgpr_private_segment_buffer 1
		.amdhsa_user_sgpr_dispatch_ptr 0
		.amdhsa_user_sgpr_queue_ptr 0
		.amdhsa_user_sgpr_kernarg_segment_ptr 1
		.amdhsa_user_sgpr_dispatch_id 0
		.amdhsa_user_sgpr_flat_scratch_init 0
		.amdhsa_user_sgpr_kernarg_preload_length 0
		.amdhsa_user_sgpr_kernarg_preload_offset 0
		.amdhsa_user_sgpr_private_segment_size 0
		.amdhsa_uses_dynamic_stack 0
		.amdhsa_system_sgpr_private_segment_wavefront_offset 0
		.amdhsa_system_sgpr_workgroup_id_x 1
		.amdhsa_system_sgpr_workgroup_id_y 0
		.amdhsa_system_sgpr_workgroup_id_z 0
		.amdhsa_system_sgpr_workgroup_info 0
		.amdhsa_system_vgpr_workitem_id 0
		.amdhsa_next_free_vgpr 1
		.amdhsa_next_free_sgpr 0
		.amdhsa_accum_offset 4
		.amdhsa_reserve_vcc 0
		.amdhsa_reserve_flat_scratch 0
		.amdhsa_float_round_mode_32 0
		.amdhsa_float_round_mode_16_64 0
		.amdhsa_float_denorm_mode_32 3
		.amdhsa_float_denorm_mode_16_64 3
		.amdhsa_dx10_clamp 1
		.amdhsa_ieee_mode 1
		.amdhsa_fp16_overflow 0
		.amdhsa_tg_split 0
		.amdhsa_exception_fp_ieee_invalid_op 0
		.amdhsa_exception_fp_denorm_src 0
		.amdhsa_exception_fp_ieee_div_zero 0
		.amdhsa_exception_fp_ieee_overflow 0
		.amdhsa_exception_fp_ieee_underflow 0
		.amdhsa_exception_fp_ieee_inexact 0
		.amdhsa_exception_int_div_zero 0
	.end_amdhsa_kernel
	.section	.text._ZN7rocprim17ROCPRIM_400000_NS6detail17trampoline_kernelINS0_14default_configENS1_20scan_config_selectorIsEEZZNS1_9scan_implILNS1_25lookback_scan_determinismE0ELb0ELb0ES3_N6thrust23THRUST_200600_302600_NS6detail15normal_iteratorINS9_10device_ptrIsEEEESE_s9plus_mod3IsEsEEDaPvRmT3_T4_T5_mT6_P12ihipStream_tbENKUlT_T0_E_clISt17integral_constantIbLb0EESU_EEDaSP_SQ_EUlSP_E0_NS1_11comp_targetILNS1_3genE10ELNS1_11target_archE1201ELNS1_3gpuE5ELNS1_3repE0EEENS1_30default_config_static_selectorELNS0_4arch9wavefront6targetE1EEEvT1_,"axG",@progbits,_ZN7rocprim17ROCPRIM_400000_NS6detail17trampoline_kernelINS0_14default_configENS1_20scan_config_selectorIsEEZZNS1_9scan_implILNS1_25lookback_scan_determinismE0ELb0ELb0ES3_N6thrust23THRUST_200600_302600_NS6detail15normal_iteratorINS9_10device_ptrIsEEEESE_s9plus_mod3IsEsEEDaPvRmT3_T4_T5_mT6_P12ihipStream_tbENKUlT_T0_E_clISt17integral_constantIbLb0EESU_EEDaSP_SQ_EUlSP_E0_NS1_11comp_targetILNS1_3genE10ELNS1_11target_archE1201ELNS1_3gpuE5ELNS1_3repE0EEENS1_30default_config_static_selectorELNS0_4arch9wavefront6targetE1EEEvT1_,comdat
.Lfunc_end6692:
	.size	_ZN7rocprim17ROCPRIM_400000_NS6detail17trampoline_kernelINS0_14default_configENS1_20scan_config_selectorIsEEZZNS1_9scan_implILNS1_25lookback_scan_determinismE0ELb0ELb0ES3_N6thrust23THRUST_200600_302600_NS6detail15normal_iteratorINS9_10device_ptrIsEEEESE_s9plus_mod3IsEsEEDaPvRmT3_T4_T5_mT6_P12ihipStream_tbENKUlT_T0_E_clISt17integral_constantIbLb0EESU_EEDaSP_SQ_EUlSP_E0_NS1_11comp_targetILNS1_3genE10ELNS1_11target_archE1201ELNS1_3gpuE5ELNS1_3repE0EEENS1_30default_config_static_selectorELNS0_4arch9wavefront6targetE1EEEvT1_, .Lfunc_end6692-_ZN7rocprim17ROCPRIM_400000_NS6detail17trampoline_kernelINS0_14default_configENS1_20scan_config_selectorIsEEZZNS1_9scan_implILNS1_25lookback_scan_determinismE0ELb0ELb0ES3_N6thrust23THRUST_200600_302600_NS6detail15normal_iteratorINS9_10device_ptrIsEEEESE_s9plus_mod3IsEsEEDaPvRmT3_T4_T5_mT6_P12ihipStream_tbENKUlT_T0_E_clISt17integral_constantIbLb0EESU_EEDaSP_SQ_EUlSP_E0_NS1_11comp_targetILNS1_3genE10ELNS1_11target_archE1201ELNS1_3gpuE5ELNS1_3repE0EEENS1_30default_config_static_selectorELNS0_4arch9wavefront6targetE1EEEvT1_
                                        ; -- End function
	.section	.AMDGPU.csdata,"",@progbits
; Kernel info:
; codeLenInByte = 0
; NumSgprs: 4
; NumVgprs: 0
; NumAgprs: 0
; TotalNumVgprs: 0
; ScratchSize: 0
; MemoryBound: 0
; FloatMode: 240
; IeeeMode: 1
; LDSByteSize: 0 bytes/workgroup (compile time only)
; SGPRBlocks: 0
; VGPRBlocks: 0
; NumSGPRsForWavesPerEU: 4
; NumVGPRsForWavesPerEU: 1
; AccumOffset: 4
; Occupancy: 8
; WaveLimiterHint : 0
; COMPUTE_PGM_RSRC2:SCRATCH_EN: 0
; COMPUTE_PGM_RSRC2:USER_SGPR: 6
; COMPUTE_PGM_RSRC2:TRAP_HANDLER: 0
; COMPUTE_PGM_RSRC2:TGID_X_EN: 1
; COMPUTE_PGM_RSRC2:TGID_Y_EN: 0
; COMPUTE_PGM_RSRC2:TGID_Z_EN: 0
; COMPUTE_PGM_RSRC2:TIDIG_COMP_CNT: 0
; COMPUTE_PGM_RSRC3_GFX90A:ACCUM_OFFSET: 0
; COMPUTE_PGM_RSRC3_GFX90A:TG_SPLIT: 0
	.section	.text._ZN7rocprim17ROCPRIM_400000_NS6detail17trampoline_kernelINS0_14default_configENS1_20scan_config_selectorIsEEZZNS1_9scan_implILNS1_25lookback_scan_determinismE0ELb0ELb0ES3_N6thrust23THRUST_200600_302600_NS6detail15normal_iteratorINS9_10device_ptrIsEEEESE_s9plus_mod3IsEsEEDaPvRmT3_T4_T5_mT6_P12ihipStream_tbENKUlT_T0_E_clISt17integral_constantIbLb0EESU_EEDaSP_SQ_EUlSP_E0_NS1_11comp_targetILNS1_3genE10ELNS1_11target_archE1200ELNS1_3gpuE4ELNS1_3repE0EEENS1_30default_config_static_selectorELNS0_4arch9wavefront6targetE1EEEvT1_,"axG",@progbits,_ZN7rocprim17ROCPRIM_400000_NS6detail17trampoline_kernelINS0_14default_configENS1_20scan_config_selectorIsEEZZNS1_9scan_implILNS1_25lookback_scan_determinismE0ELb0ELb0ES3_N6thrust23THRUST_200600_302600_NS6detail15normal_iteratorINS9_10device_ptrIsEEEESE_s9plus_mod3IsEsEEDaPvRmT3_T4_T5_mT6_P12ihipStream_tbENKUlT_T0_E_clISt17integral_constantIbLb0EESU_EEDaSP_SQ_EUlSP_E0_NS1_11comp_targetILNS1_3genE10ELNS1_11target_archE1200ELNS1_3gpuE4ELNS1_3repE0EEENS1_30default_config_static_selectorELNS0_4arch9wavefront6targetE1EEEvT1_,comdat
	.protected	_ZN7rocprim17ROCPRIM_400000_NS6detail17trampoline_kernelINS0_14default_configENS1_20scan_config_selectorIsEEZZNS1_9scan_implILNS1_25lookback_scan_determinismE0ELb0ELb0ES3_N6thrust23THRUST_200600_302600_NS6detail15normal_iteratorINS9_10device_ptrIsEEEESE_s9plus_mod3IsEsEEDaPvRmT3_T4_T5_mT6_P12ihipStream_tbENKUlT_T0_E_clISt17integral_constantIbLb0EESU_EEDaSP_SQ_EUlSP_E0_NS1_11comp_targetILNS1_3genE10ELNS1_11target_archE1200ELNS1_3gpuE4ELNS1_3repE0EEENS1_30default_config_static_selectorELNS0_4arch9wavefront6targetE1EEEvT1_ ; -- Begin function _ZN7rocprim17ROCPRIM_400000_NS6detail17trampoline_kernelINS0_14default_configENS1_20scan_config_selectorIsEEZZNS1_9scan_implILNS1_25lookback_scan_determinismE0ELb0ELb0ES3_N6thrust23THRUST_200600_302600_NS6detail15normal_iteratorINS9_10device_ptrIsEEEESE_s9plus_mod3IsEsEEDaPvRmT3_T4_T5_mT6_P12ihipStream_tbENKUlT_T0_E_clISt17integral_constantIbLb0EESU_EEDaSP_SQ_EUlSP_E0_NS1_11comp_targetILNS1_3genE10ELNS1_11target_archE1200ELNS1_3gpuE4ELNS1_3repE0EEENS1_30default_config_static_selectorELNS0_4arch9wavefront6targetE1EEEvT1_
	.globl	_ZN7rocprim17ROCPRIM_400000_NS6detail17trampoline_kernelINS0_14default_configENS1_20scan_config_selectorIsEEZZNS1_9scan_implILNS1_25lookback_scan_determinismE0ELb0ELb0ES3_N6thrust23THRUST_200600_302600_NS6detail15normal_iteratorINS9_10device_ptrIsEEEESE_s9plus_mod3IsEsEEDaPvRmT3_T4_T5_mT6_P12ihipStream_tbENKUlT_T0_E_clISt17integral_constantIbLb0EESU_EEDaSP_SQ_EUlSP_E0_NS1_11comp_targetILNS1_3genE10ELNS1_11target_archE1200ELNS1_3gpuE4ELNS1_3repE0EEENS1_30default_config_static_selectorELNS0_4arch9wavefront6targetE1EEEvT1_
	.p2align	8
	.type	_ZN7rocprim17ROCPRIM_400000_NS6detail17trampoline_kernelINS0_14default_configENS1_20scan_config_selectorIsEEZZNS1_9scan_implILNS1_25lookback_scan_determinismE0ELb0ELb0ES3_N6thrust23THRUST_200600_302600_NS6detail15normal_iteratorINS9_10device_ptrIsEEEESE_s9plus_mod3IsEsEEDaPvRmT3_T4_T5_mT6_P12ihipStream_tbENKUlT_T0_E_clISt17integral_constantIbLb0EESU_EEDaSP_SQ_EUlSP_E0_NS1_11comp_targetILNS1_3genE10ELNS1_11target_archE1200ELNS1_3gpuE4ELNS1_3repE0EEENS1_30default_config_static_selectorELNS0_4arch9wavefront6targetE1EEEvT1_,@function
_ZN7rocprim17ROCPRIM_400000_NS6detail17trampoline_kernelINS0_14default_configENS1_20scan_config_selectorIsEEZZNS1_9scan_implILNS1_25lookback_scan_determinismE0ELb0ELb0ES3_N6thrust23THRUST_200600_302600_NS6detail15normal_iteratorINS9_10device_ptrIsEEEESE_s9plus_mod3IsEsEEDaPvRmT3_T4_T5_mT6_P12ihipStream_tbENKUlT_T0_E_clISt17integral_constantIbLb0EESU_EEDaSP_SQ_EUlSP_E0_NS1_11comp_targetILNS1_3genE10ELNS1_11target_archE1200ELNS1_3gpuE4ELNS1_3repE0EEENS1_30default_config_static_selectorELNS0_4arch9wavefront6targetE1EEEvT1_: ; @_ZN7rocprim17ROCPRIM_400000_NS6detail17trampoline_kernelINS0_14default_configENS1_20scan_config_selectorIsEEZZNS1_9scan_implILNS1_25lookback_scan_determinismE0ELb0ELb0ES3_N6thrust23THRUST_200600_302600_NS6detail15normal_iteratorINS9_10device_ptrIsEEEESE_s9plus_mod3IsEsEEDaPvRmT3_T4_T5_mT6_P12ihipStream_tbENKUlT_T0_E_clISt17integral_constantIbLb0EESU_EEDaSP_SQ_EUlSP_E0_NS1_11comp_targetILNS1_3genE10ELNS1_11target_archE1200ELNS1_3gpuE4ELNS1_3repE0EEENS1_30default_config_static_selectorELNS0_4arch9wavefront6targetE1EEEvT1_
; %bb.0:
	.section	.rodata,"a",@progbits
	.p2align	6, 0x0
	.amdhsa_kernel _ZN7rocprim17ROCPRIM_400000_NS6detail17trampoline_kernelINS0_14default_configENS1_20scan_config_selectorIsEEZZNS1_9scan_implILNS1_25lookback_scan_determinismE0ELb0ELb0ES3_N6thrust23THRUST_200600_302600_NS6detail15normal_iteratorINS9_10device_ptrIsEEEESE_s9plus_mod3IsEsEEDaPvRmT3_T4_T5_mT6_P12ihipStream_tbENKUlT_T0_E_clISt17integral_constantIbLb0EESU_EEDaSP_SQ_EUlSP_E0_NS1_11comp_targetILNS1_3genE10ELNS1_11target_archE1200ELNS1_3gpuE4ELNS1_3repE0EEENS1_30default_config_static_selectorELNS0_4arch9wavefront6targetE1EEEvT1_
		.amdhsa_group_segment_fixed_size 0
		.amdhsa_private_segment_fixed_size 0
		.amdhsa_kernarg_size 40
		.amdhsa_user_sgpr_count 6
		.amdhsa_user_sgpr_private_segment_buffer 1
		.amdhsa_user_sgpr_dispatch_ptr 0
		.amdhsa_user_sgpr_queue_ptr 0
		.amdhsa_user_sgpr_kernarg_segment_ptr 1
		.amdhsa_user_sgpr_dispatch_id 0
		.amdhsa_user_sgpr_flat_scratch_init 0
		.amdhsa_user_sgpr_kernarg_preload_length 0
		.amdhsa_user_sgpr_kernarg_preload_offset 0
		.amdhsa_user_sgpr_private_segment_size 0
		.amdhsa_uses_dynamic_stack 0
		.amdhsa_system_sgpr_private_segment_wavefront_offset 0
		.amdhsa_system_sgpr_workgroup_id_x 1
		.amdhsa_system_sgpr_workgroup_id_y 0
		.amdhsa_system_sgpr_workgroup_id_z 0
		.amdhsa_system_sgpr_workgroup_info 0
		.amdhsa_system_vgpr_workitem_id 0
		.amdhsa_next_free_vgpr 1
		.amdhsa_next_free_sgpr 0
		.amdhsa_accum_offset 4
		.amdhsa_reserve_vcc 0
		.amdhsa_reserve_flat_scratch 0
		.amdhsa_float_round_mode_32 0
		.amdhsa_float_round_mode_16_64 0
		.amdhsa_float_denorm_mode_32 3
		.amdhsa_float_denorm_mode_16_64 3
		.amdhsa_dx10_clamp 1
		.amdhsa_ieee_mode 1
		.amdhsa_fp16_overflow 0
		.amdhsa_tg_split 0
		.amdhsa_exception_fp_ieee_invalid_op 0
		.amdhsa_exception_fp_denorm_src 0
		.amdhsa_exception_fp_ieee_div_zero 0
		.amdhsa_exception_fp_ieee_overflow 0
		.amdhsa_exception_fp_ieee_underflow 0
		.amdhsa_exception_fp_ieee_inexact 0
		.amdhsa_exception_int_div_zero 0
	.end_amdhsa_kernel
	.section	.text._ZN7rocprim17ROCPRIM_400000_NS6detail17trampoline_kernelINS0_14default_configENS1_20scan_config_selectorIsEEZZNS1_9scan_implILNS1_25lookback_scan_determinismE0ELb0ELb0ES3_N6thrust23THRUST_200600_302600_NS6detail15normal_iteratorINS9_10device_ptrIsEEEESE_s9plus_mod3IsEsEEDaPvRmT3_T4_T5_mT6_P12ihipStream_tbENKUlT_T0_E_clISt17integral_constantIbLb0EESU_EEDaSP_SQ_EUlSP_E0_NS1_11comp_targetILNS1_3genE10ELNS1_11target_archE1200ELNS1_3gpuE4ELNS1_3repE0EEENS1_30default_config_static_selectorELNS0_4arch9wavefront6targetE1EEEvT1_,"axG",@progbits,_ZN7rocprim17ROCPRIM_400000_NS6detail17trampoline_kernelINS0_14default_configENS1_20scan_config_selectorIsEEZZNS1_9scan_implILNS1_25lookback_scan_determinismE0ELb0ELb0ES3_N6thrust23THRUST_200600_302600_NS6detail15normal_iteratorINS9_10device_ptrIsEEEESE_s9plus_mod3IsEsEEDaPvRmT3_T4_T5_mT6_P12ihipStream_tbENKUlT_T0_E_clISt17integral_constantIbLb0EESU_EEDaSP_SQ_EUlSP_E0_NS1_11comp_targetILNS1_3genE10ELNS1_11target_archE1200ELNS1_3gpuE4ELNS1_3repE0EEENS1_30default_config_static_selectorELNS0_4arch9wavefront6targetE1EEEvT1_,comdat
.Lfunc_end6693:
	.size	_ZN7rocprim17ROCPRIM_400000_NS6detail17trampoline_kernelINS0_14default_configENS1_20scan_config_selectorIsEEZZNS1_9scan_implILNS1_25lookback_scan_determinismE0ELb0ELb0ES3_N6thrust23THRUST_200600_302600_NS6detail15normal_iteratorINS9_10device_ptrIsEEEESE_s9plus_mod3IsEsEEDaPvRmT3_T4_T5_mT6_P12ihipStream_tbENKUlT_T0_E_clISt17integral_constantIbLb0EESU_EEDaSP_SQ_EUlSP_E0_NS1_11comp_targetILNS1_3genE10ELNS1_11target_archE1200ELNS1_3gpuE4ELNS1_3repE0EEENS1_30default_config_static_selectorELNS0_4arch9wavefront6targetE1EEEvT1_, .Lfunc_end6693-_ZN7rocprim17ROCPRIM_400000_NS6detail17trampoline_kernelINS0_14default_configENS1_20scan_config_selectorIsEEZZNS1_9scan_implILNS1_25lookback_scan_determinismE0ELb0ELb0ES3_N6thrust23THRUST_200600_302600_NS6detail15normal_iteratorINS9_10device_ptrIsEEEESE_s9plus_mod3IsEsEEDaPvRmT3_T4_T5_mT6_P12ihipStream_tbENKUlT_T0_E_clISt17integral_constantIbLb0EESU_EEDaSP_SQ_EUlSP_E0_NS1_11comp_targetILNS1_3genE10ELNS1_11target_archE1200ELNS1_3gpuE4ELNS1_3repE0EEENS1_30default_config_static_selectorELNS0_4arch9wavefront6targetE1EEEvT1_
                                        ; -- End function
	.section	.AMDGPU.csdata,"",@progbits
; Kernel info:
; codeLenInByte = 0
; NumSgprs: 4
; NumVgprs: 0
; NumAgprs: 0
; TotalNumVgprs: 0
; ScratchSize: 0
; MemoryBound: 0
; FloatMode: 240
; IeeeMode: 1
; LDSByteSize: 0 bytes/workgroup (compile time only)
; SGPRBlocks: 0
; VGPRBlocks: 0
; NumSGPRsForWavesPerEU: 4
; NumVGPRsForWavesPerEU: 1
; AccumOffset: 4
; Occupancy: 8
; WaveLimiterHint : 0
; COMPUTE_PGM_RSRC2:SCRATCH_EN: 0
; COMPUTE_PGM_RSRC2:USER_SGPR: 6
; COMPUTE_PGM_RSRC2:TRAP_HANDLER: 0
; COMPUTE_PGM_RSRC2:TGID_X_EN: 1
; COMPUTE_PGM_RSRC2:TGID_Y_EN: 0
; COMPUTE_PGM_RSRC2:TGID_Z_EN: 0
; COMPUTE_PGM_RSRC2:TIDIG_COMP_CNT: 0
; COMPUTE_PGM_RSRC3_GFX90A:ACCUM_OFFSET: 0
; COMPUTE_PGM_RSRC3_GFX90A:TG_SPLIT: 0
	.section	.text._ZN7rocprim17ROCPRIM_400000_NS6detail17trampoline_kernelINS0_14default_configENS1_20scan_config_selectorIsEEZZNS1_9scan_implILNS1_25lookback_scan_determinismE0ELb0ELb0ES3_N6thrust23THRUST_200600_302600_NS6detail15normal_iteratorINS9_10device_ptrIsEEEESE_s9plus_mod3IsEsEEDaPvRmT3_T4_T5_mT6_P12ihipStream_tbENKUlT_T0_E_clISt17integral_constantIbLb0EESU_EEDaSP_SQ_EUlSP_E0_NS1_11comp_targetILNS1_3genE9ELNS1_11target_archE1100ELNS1_3gpuE3ELNS1_3repE0EEENS1_30default_config_static_selectorELNS0_4arch9wavefront6targetE1EEEvT1_,"axG",@progbits,_ZN7rocprim17ROCPRIM_400000_NS6detail17trampoline_kernelINS0_14default_configENS1_20scan_config_selectorIsEEZZNS1_9scan_implILNS1_25lookback_scan_determinismE0ELb0ELb0ES3_N6thrust23THRUST_200600_302600_NS6detail15normal_iteratorINS9_10device_ptrIsEEEESE_s9plus_mod3IsEsEEDaPvRmT3_T4_T5_mT6_P12ihipStream_tbENKUlT_T0_E_clISt17integral_constantIbLb0EESU_EEDaSP_SQ_EUlSP_E0_NS1_11comp_targetILNS1_3genE9ELNS1_11target_archE1100ELNS1_3gpuE3ELNS1_3repE0EEENS1_30default_config_static_selectorELNS0_4arch9wavefront6targetE1EEEvT1_,comdat
	.protected	_ZN7rocprim17ROCPRIM_400000_NS6detail17trampoline_kernelINS0_14default_configENS1_20scan_config_selectorIsEEZZNS1_9scan_implILNS1_25lookback_scan_determinismE0ELb0ELb0ES3_N6thrust23THRUST_200600_302600_NS6detail15normal_iteratorINS9_10device_ptrIsEEEESE_s9plus_mod3IsEsEEDaPvRmT3_T4_T5_mT6_P12ihipStream_tbENKUlT_T0_E_clISt17integral_constantIbLb0EESU_EEDaSP_SQ_EUlSP_E0_NS1_11comp_targetILNS1_3genE9ELNS1_11target_archE1100ELNS1_3gpuE3ELNS1_3repE0EEENS1_30default_config_static_selectorELNS0_4arch9wavefront6targetE1EEEvT1_ ; -- Begin function _ZN7rocprim17ROCPRIM_400000_NS6detail17trampoline_kernelINS0_14default_configENS1_20scan_config_selectorIsEEZZNS1_9scan_implILNS1_25lookback_scan_determinismE0ELb0ELb0ES3_N6thrust23THRUST_200600_302600_NS6detail15normal_iteratorINS9_10device_ptrIsEEEESE_s9plus_mod3IsEsEEDaPvRmT3_T4_T5_mT6_P12ihipStream_tbENKUlT_T0_E_clISt17integral_constantIbLb0EESU_EEDaSP_SQ_EUlSP_E0_NS1_11comp_targetILNS1_3genE9ELNS1_11target_archE1100ELNS1_3gpuE3ELNS1_3repE0EEENS1_30default_config_static_selectorELNS0_4arch9wavefront6targetE1EEEvT1_
	.globl	_ZN7rocprim17ROCPRIM_400000_NS6detail17trampoline_kernelINS0_14default_configENS1_20scan_config_selectorIsEEZZNS1_9scan_implILNS1_25lookback_scan_determinismE0ELb0ELb0ES3_N6thrust23THRUST_200600_302600_NS6detail15normal_iteratorINS9_10device_ptrIsEEEESE_s9plus_mod3IsEsEEDaPvRmT3_T4_T5_mT6_P12ihipStream_tbENKUlT_T0_E_clISt17integral_constantIbLb0EESU_EEDaSP_SQ_EUlSP_E0_NS1_11comp_targetILNS1_3genE9ELNS1_11target_archE1100ELNS1_3gpuE3ELNS1_3repE0EEENS1_30default_config_static_selectorELNS0_4arch9wavefront6targetE1EEEvT1_
	.p2align	8
	.type	_ZN7rocprim17ROCPRIM_400000_NS6detail17trampoline_kernelINS0_14default_configENS1_20scan_config_selectorIsEEZZNS1_9scan_implILNS1_25lookback_scan_determinismE0ELb0ELb0ES3_N6thrust23THRUST_200600_302600_NS6detail15normal_iteratorINS9_10device_ptrIsEEEESE_s9plus_mod3IsEsEEDaPvRmT3_T4_T5_mT6_P12ihipStream_tbENKUlT_T0_E_clISt17integral_constantIbLb0EESU_EEDaSP_SQ_EUlSP_E0_NS1_11comp_targetILNS1_3genE9ELNS1_11target_archE1100ELNS1_3gpuE3ELNS1_3repE0EEENS1_30default_config_static_selectorELNS0_4arch9wavefront6targetE1EEEvT1_,@function
_ZN7rocprim17ROCPRIM_400000_NS6detail17trampoline_kernelINS0_14default_configENS1_20scan_config_selectorIsEEZZNS1_9scan_implILNS1_25lookback_scan_determinismE0ELb0ELb0ES3_N6thrust23THRUST_200600_302600_NS6detail15normal_iteratorINS9_10device_ptrIsEEEESE_s9plus_mod3IsEsEEDaPvRmT3_T4_T5_mT6_P12ihipStream_tbENKUlT_T0_E_clISt17integral_constantIbLb0EESU_EEDaSP_SQ_EUlSP_E0_NS1_11comp_targetILNS1_3genE9ELNS1_11target_archE1100ELNS1_3gpuE3ELNS1_3repE0EEENS1_30default_config_static_selectorELNS0_4arch9wavefront6targetE1EEEvT1_: ; @_ZN7rocprim17ROCPRIM_400000_NS6detail17trampoline_kernelINS0_14default_configENS1_20scan_config_selectorIsEEZZNS1_9scan_implILNS1_25lookback_scan_determinismE0ELb0ELb0ES3_N6thrust23THRUST_200600_302600_NS6detail15normal_iteratorINS9_10device_ptrIsEEEESE_s9plus_mod3IsEsEEDaPvRmT3_T4_T5_mT6_P12ihipStream_tbENKUlT_T0_E_clISt17integral_constantIbLb0EESU_EEDaSP_SQ_EUlSP_E0_NS1_11comp_targetILNS1_3genE9ELNS1_11target_archE1100ELNS1_3gpuE3ELNS1_3repE0EEENS1_30default_config_static_selectorELNS0_4arch9wavefront6targetE1EEEvT1_
; %bb.0:
	.section	.rodata,"a",@progbits
	.p2align	6, 0x0
	.amdhsa_kernel _ZN7rocprim17ROCPRIM_400000_NS6detail17trampoline_kernelINS0_14default_configENS1_20scan_config_selectorIsEEZZNS1_9scan_implILNS1_25lookback_scan_determinismE0ELb0ELb0ES3_N6thrust23THRUST_200600_302600_NS6detail15normal_iteratorINS9_10device_ptrIsEEEESE_s9plus_mod3IsEsEEDaPvRmT3_T4_T5_mT6_P12ihipStream_tbENKUlT_T0_E_clISt17integral_constantIbLb0EESU_EEDaSP_SQ_EUlSP_E0_NS1_11comp_targetILNS1_3genE9ELNS1_11target_archE1100ELNS1_3gpuE3ELNS1_3repE0EEENS1_30default_config_static_selectorELNS0_4arch9wavefront6targetE1EEEvT1_
		.amdhsa_group_segment_fixed_size 0
		.amdhsa_private_segment_fixed_size 0
		.amdhsa_kernarg_size 40
		.amdhsa_user_sgpr_count 6
		.amdhsa_user_sgpr_private_segment_buffer 1
		.amdhsa_user_sgpr_dispatch_ptr 0
		.amdhsa_user_sgpr_queue_ptr 0
		.amdhsa_user_sgpr_kernarg_segment_ptr 1
		.amdhsa_user_sgpr_dispatch_id 0
		.amdhsa_user_sgpr_flat_scratch_init 0
		.amdhsa_user_sgpr_kernarg_preload_length 0
		.amdhsa_user_sgpr_kernarg_preload_offset 0
		.amdhsa_user_sgpr_private_segment_size 0
		.amdhsa_uses_dynamic_stack 0
		.amdhsa_system_sgpr_private_segment_wavefront_offset 0
		.amdhsa_system_sgpr_workgroup_id_x 1
		.amdhsa_system_sgpr_workgroup_id_y 0
		.amdhsa_system_sgpr_workgroup_id_z 0
		.amdhsa_system_sgpr_workgroup_info 0
		.amdhsa_system_vgpr_workitem_id 0
		.amdhsa_next_free_vgpr 1
		.amdhsa_next_free_sgpr 0
		.amdhsa_accum_offset 4
		.amdhsa_reserve_vcc 0
		.amdhsa_reserve_flat_scratch 0
		.amdhsa_float_round_mode_32 0
		.amdhsa_float_round_mode_16_64 0
		.amdhsa_float_denorm_mode_32 3
		.amdhsa_float_denorm_mode_16_64 3
		.amdhsa_dx10_clamp 1
		.amdhsa_ieee_mode 1
		.amdhsa_fp16_overflow 0
		.amdhsa_tg_split 0
		.amdhsa_exception_fp_ieee_invalid_op 0
		.amdhsa_exception_fp_denorm_src 0
		.amdhsa_exception_fp_ieee_div_zero 0
		.amdhsa_exception_fp_ieee_overflow 0
		.amdhsa_exception_fp_ieee_underflow 0
		.amdhsa_exception_fp_ieee_inexact 0
		.amdhsa_exception_int_div_zero 0
	.end_amdhsa_kernel
	.section	.text._ZN7rocprim17ROCPRIM_400000_NS6detail17trampoline_kernelINS0_14default_configENS1_20scan_config_selectorIsEEZZNS1_9scan_implILNS1_25lookback_scan_determinismE0ELb0ELb0ES3_N6thrust23THRUST_200600_302600_NS6detail15normal_iteratorINS9_10device_ptrIsEEEESE_s9plus_mod3IsEsEEDaPvRmT3_T4_T5_mT6_P12ihipStream_tbENKUlT_T0_E_clISt17integral_constantIbLb0EESU_EEDaSP_SQ_EUlSP_E0_NS1_11comp_targetILNS1_3genE9ELNS1_11target_archE1100ELNS1_3gpuE3ELNS1_3repE0EEENS1_30default_config_static_selectorELNS0_4arch9wavefront6targetE1EEEvT1_,"axG",@progbits,_ZN7rocprim17ROCPRIM_400000_NS6detail17trampoline_kernelINS0_14default_configENS1_20scan_config_selectorIsEEZZNS1_9scan_implILNS1_25lookback_scan_determinismE0ELb0ELb0ES3_N6thrust23THRUST_200600_302600_NS6detail15normal_iteratorINS9_10device_ptrIsEEEESE_s9plus_mod3IsEsEEDaPvRmT3_T4_T5_mT6_P12ihipStream_tbENKUlT_T0_E_clISt17integral_constantIbLb0EESU_EEDaSP_SQ_EUlSP_E0_NS1_11comp_targetILNS1_3genE9ELNS1_11target_archE1100ELNS1_3gpuE3ELNS1_3repE0EEENS1_30default_config_static_selectorELNS0_4arch9wavefront6targetE1EEEvT1_,comdat
.Lfunc_end6694:
	.size	_ZN7rocprim17ROCPRIM_400000_NS6detail17trampoline_kernelINS0_14default_configENS1_20scan_config_selectorIsEEZZNS1_9scan_implILNS1_25lookback_scan_determinismE0ELb0ELb0ES3_N6thrust23THRUST_200600_302600_NS6detail15normal_iteratorINS9_10device_ptrIsEEEESE_s9plus_mod3IsEsEEDaPvRmT3_T4_T5_mT6_P12ihipStream_tbENKUlT_T0_E_clISt17integral_constantIbLb0EESU_EEDaSP_SQ_EUlSP_E0_NS1_11comp_targetILNS1_3genE9ELNS1_11target_archE1100ELNS1_3gpuE3ELNS1_3repE0EEENS1_30default_config_static_selectorELNS0_4arch9wavefront6targetE1EEEvT1_, .Lfunc_end6694-_ZN7rocprim17ROCPRIM_400000_NS6detail17trampoline_kernelINS0_14default_configENS1_20scan_config_selectorIsEEZZNS1_9scan_implILNS1_25lookback_scan_determinismE0ELb0ELb0ES3_N6thrust23THRUST_200600_302600_NS6detail15normal_iteratorINS9_10device_ptrIsEEEESE_s9plus_mod3IsEsEEDaPvRmT3_T4_T5_mT6_P12ihipStream_tbENKUlT_T0_E_clISt17integral_constantIbLb0EESU_EEDaSP_SQ_EUlSP_E0_NS1_11comp_targetILNS1_3genE9ELNS1_11target_archE1100ELNS1_3gpuE3ELNS1_3repE0EEENS1_30default_config_static_selectorELNS0_4arch9wavefront6targetE1EEEvT1_
                                        ; -- End function
	.section	.AMDGPU.csdata,"",@progbits
; Kernel info:
; codeLenInByte = 0
; NumSgprs: 4
; NumVgprs: 0
; NumAgprs: 0
; TotalNumVgprs: 0
; ScratchSize: 0
; MemoryBound: 0
; FloatMode: 240
; IeeeMode: 1
; LDSByteSize: 0 bytes/workgroup (compile time only)
; SGPRBlocks: 0
; VGPRBlocks: 0
; NumSGPRsForWavesPerEU: 4
; NumVGPRsForWavesPerEU: 1
; AccumOffset: 4
; Occupancy: 8
; WaveLimiterHint : 0
; COMPUTE_PGM_RSRC2:SCRATCH_EN: 0
; COMPUTE_PGM_RSRC2:USER_SGPR: 6
; COMPUTE_PGM_RSRC2:TRAP_HANDLER: 0
; COMPUTE_PGM_RSRC2:TGID_X_EN: 1
; COMPUTE_PGM_RSRC2:TGID_Y_EN: 0
; COMPUTE_PGM_RSRC2:TGID_Z_EN: 0
; COMPUTE_PGM_RSRC2:TIDIG_COMP_CNT: 0
; COMPUTE_PGM_RSRC3_GFX90A:ACCUM_OFFSET: 0
; COMPUTE_PGM_RSRC3_GFX90A:TG_SPLIT: 0
	.section	.text._ZN7rocprim17ROCPRIM_400000_NS6detail17trampoline_kernelINS0_14default_configENS1_20scan_config_selectorIsEEZZNS1_9scan_implILNS1_25lookback_scan_determinismE0ELb0ELb0ES3_N6thrust23THRUST_200600_302600_NS6detail15normal_iteratorINS9_10device_ptrIsEEEESE_s9plus_mod3IsEsEEDaPvRmT3_T4_T5_mT6_P12ihipStream_tbENKUlT_T0_E_clISt17integral_constantIbLb0EESU_EEDaSP_SQ_EUlSP_E0_NS1_11comp_targetILNS1_3genE8ELNS1_11target_archE1030ELNS1_3gpuE2ELNS1_3repE0EEENS1_30default_config_static_selectorELNS0_4arch9wavefront6targetE1EEEvT1_,"axG",@progbits,_ZN7rocprim17ROCPRIM_400000_NS6detail17trampoline_kernelINS0_14default_configENS1_20scan_config_selectorIsEEZZNS1_9scan_implILNS1_25lookback_scan_determinismE0ELb0ELb0ES3_N6thrust23THRUST_200600_302600_NS6detail15normal_iteratorINS9_10device_ptrIsEEEESE_s9plus_mod3IsEsEEDaPvRmT3_T4_T5_mT6_P12ihipStream_tbENKUlT_T0_E_clISt17integral_constantIbLb0EESU_EEDaSP_SQ_EUlSP_E0_NS1_11comp_targetILNS1_3genE8ELNS1_11target_archE1030ELNS1_3gpuE2ELNS1_3repE0EEENS1_30default_config_static_selectorELNS0_4arch9wavefront6targetE1EEEvT1_,comdat
	.protected	_ZN7rocprim17ROCPRIM_400000_NS6detail17trampoline_kernelINS0_14default_configENS1_20scan_config_selectorIsEEZZNS1_9scan_implILNS1_25lookback_scan_determinismE0ELb0ELb0ES3_N6thrust23THRUST_200600_302600_NS6detail15normal_iteratorINS9_10device_ptrIsEEEESE_s9plus_mod3IsEsEEDaPvRmT3_T4_T5_mT6_P12ihipStream_tbENKUlT_T0_E_clISt17integral_constantIbLb0EESU_EEDaSP_SQ_EUlSP_E0_NS1_11comp_targetILNS1_3genE8ELNS1_11target_archE1030ELNS1_3gpuE2ELNS1_3repE0EEENS1_30default_config_static_selectorELNS0_4arch9wavefront6targetE1EEEvT1_ ; -- Begin function _ZN7rocprim17ROCPRIM_400000_NS6detail17trampoline_kernelINS0_14default_configENS1_20scan_config_selectorIsEEZZNS1_9scan_implILNS1_25lookback_scan_determinismE0ELb0ELb0ES3_N6thrust23THRUST_200600_302600_NS6detail15normal_iteratorINS9_10device_ptrIsEEEESE_s9plus_mod3IsEsEEDaPvRmT3_T4_T5_mT6_P12ihipStream_tbENKUlT_T0_E_clISt17integral_constantIbLb0EESU_EEDaSP_SQ_EUlSP_E0_NS1_11comp_targetILNS1_3genE8ELNS1_11target_archE1030ELNS1_3gpuE2ELNS1_3repE0EEENS1_30default_config_static_selectorELNS0_4arch9wavefront6targetE1EEEvT1_
	.globl	_ZN7rocprim17ROCPRIM_400000_NS6detail17trampoline_kernelINS0_14default_configENS1_20scan_config_selectorIsEEZZNS1_9scan_implILNS1_25lookback_scan_determinismE0ELb0ELb0ES3_N6thrust23THRUST_200600_302600_NS6detail15normal_iteratorINS9_10device_ptrIsEEEESE_s9plus_mod3IsEsEEDaPvRmT3_T4_T5_mT6_P12ihipStream_tbENKUlT_T0_E_clISt17integral_constantIbLb0EESU_EEDaSP_SQ_EUlSP_E0_NS1_11comp_targetILNS1_3genE8ELNS1_11target_archE1030ELNS1_3gpuE2ELNS1_3repE0EEENS1_30default_config_static_selectorELNS0_4arch9wavefront6targetE1EEEvT1_
	.p2align	8
	.type	_ZN7rocprim17ROCPRIM_400000_NS6detail17trampoline_kernelINS0_14default_configENS1_20scan_config_selectorIsEEZZNS1_9scan_implILNS1_25lookback_scan_determinismE0ELb0ELb0ES3_N6thrust23THRUST_200600_302600_NS6detail15normal_iteratorINS9_10device_ptrIsEEEESE_s9plus_mod3IsEsEEDaPvRmT3_T4_T5_mT6_P12ihipStream_tbENKUlT_T0_E_clISt17integral_constantIbLb0EESU_EEDaSP_SQ_EUlSP_E0_NS1_11comp_targetILNS1_3genE8ELNS1_11target_archE1030ELNS1_3gpuE2ELNS1_3repE0EEENS1_30default_config_static_selectorELNS0_4arch9wavefront6targetE1EEEvT1_,@function
_ZN7rocprim17ROCPRIM_400000_NS6detail17trampoline_kernelINS0_14default_configENS1_20scan_config_selectorIsEEZZNS1_9scan_implILNS1_25lookback_scan_determinismE0ELb0ELb0ES3_N6thrust23THRUST_200600_302600_NS6detail15normal_iteratorINS9_10device_ptrIsEEEESE_s9plus_mod3IsEsEEDaPvRmT3_T4_T5_mT6_P12ihipStream_tbENKUlT_T0_E_clISt17integral_constantIbLb0EESU_EEDaSP_SQ_EUlSP_E0_NS1_11comp_targetILNS1_3genE8ELNS1_11target_archE1030ELNS1_3gpuE2ELNS1_3repE0EEENS1_30default_config_static_selectorELNS0_4arch9wavefront6targetE1EEEvT1_: ; @_ZN7rocprim17ROCPRIM_400000_NS6detail17trampoline_kernelINS0_14default_configENS1_20scan_config_selectorIsEEZZNS1_9scan_implILNS1_25lookback_scan_determinismE0ELb0ELb0ES3_N6thrust23THRUST_200600_302600_NS6detail15normal_iteratorINS9_10device_ptrIsEEEESE_s9plus_mod3IsEsEEDaPvRmT3_T4_T5_mT6_P12ihipStream_tbENKUlT_T0_E_clISt17integral_constantIbLb0EESU_EEDaSP_SQ_EUlSP_E0_NS1_11comp_targetILNS1_3genE8ELNS1_11target_archE1030ELNS1_3gpuE2ELNS1_3repE0EEENS1_30default_config_static_selectorELNS0_4arch9wavefront6targetE1EEEvT1_
; %bb.0:
	.section	.rodata,"a",@progbits
	.p2align	6, 0x0
	.amdhsa_kernel _ZN7rocprim17ROCPRIM_400000_NS6detail17trampoline_kernelINS0_14default_configENS1_20scan_config_selectorIsEEZZNS1_9scan_implILNS1_25lookback_scan_determinismE0ELb0ELb0ES3_N6thrust23THRUST_200600_302600_NS6detail15normal_iteratorINS9_10device_ptrIsEEEESE_s9plus_mod3IsEsEEDaPvRmT3_T4_T5_mT6_P12ihipStream_tbENKUlT_T0_E_clISt17integral_constantIbLb0EESU_EEDaSP_SQ_EUlSP_E0_NS1_11comp_targetILNS1_3genE8ELNS1_11target_archE1030ELNS1_3gpuE2ELNS1_3repE0EEENS1_30default_config_static_selectorELNS0_4arch9wavefront6targetE1EEEvT1_
		.amdhsa_group_segment_fixed_size 0
		.amdhsa_private_segment_fixed_size 0
		.amdhsa_kernarg_size 40
		.amdhsa_user_sgpr_count 6
		.amdhsa_user_sgpr_private_segment_buffer 1
		.amdhsa_user_sgpr_dispatch_ptr 0
		.amdhsa_user_sgpr_queue_ptr 0
		.amdhsa_user_sgpr_kernarg_segment_ptr 1
		.amdhsa_user_sgpr_dispatch_id 0
		.amdhsa_user_sgpr_flat_scratch_init 0
		.amdhsa_user_sgpr_kernarg_preload_length 0
		.amdhsa_user_sgpr_kernarg_preload_offset 0
		.amdhsa_user_sgpr_private_segment_size 0
		.amdhsa_uses_dynamic_stack 0
		.amdhsa_system_sgpr_private_segment_wavefront_offset 0
		.amdhsa_system_sgpr_workgroup_id_x 1
		.amdhsa_system_sgpr_workgroup_id_y 0
		.amdhsa_system_sgpr_workgroup_id_z 0
		.amdhsa_system_sgpr_workgroup_info 0
		.amdhsa_system_vgpr_workitem_id 0
		.amdhsa_next_free_vgpr 1
		.amdhsa_next_free_sgpr 0
		.amdhsa_accum_offset 4
		.amdhsa_reserve_vcc 0
		.amdhsa_reserve_flat_scratch 0
		.amdhsa_float_round_mode_32 0
		.amdhsa_float_round_mode_16_64 0
		.amdhsa_float_denorm_mode_32 3
		.amdhsa_float_denorm_mode_16_64 3
		.amdhsa_dx10_clamp 1
		.amdhsa_ieee_mode 1
		.amdhsa_fp16_overflow 0
		.amdhsa_tg_split 0
		.amdhsa_exception_fp_ieee_invalid_op 0
		.amdhsa_exception_fp_denorm_src 0
		.amdhsa_exception_fp_ieee_div_zero 0
		.amdhsa_exception_fp_ieee_overflow 0
		.amdhsa_exception_fp_ieee_underflow 0
		.amdhsa_exception_fp_ieee_inexact 0
		.amdhsa_exception_int_div_zero 0
	.end_amdhsa_kernel
	.section	.text._ZN7rocprim17ROCPRIM_400000_NS6detail17trampoline_kernelINS0_14default_configENS1_20scan_config_selectorIsEEZZNS1_9scan_implILNS1_25lookback_scan_determinismE0ELb0ELb0ES3_N6thrust23THRUST_200600_302600_NS6detail15normal_iteratorINS9_10device_ptrIsEEEESE_s9plus_mod3IsEsEEDaPvRmT3_T4_T5_mT6_P12ihipStream_tbENKUlT_T0_E_clISt17integral_constantIbLb0EESU_EEDaSP_SQ_EUlSP_E0_NS1_11comp_targetILNS1_3genE8ELNS1_11target_archE1030ELNS1_3gpuE2ELNS1_3repE0EEENS1_30default_config_static_selectorELNS0_4arch9wavefront6targetE1EEEvT1_,"axG",@progbits,_ZN7rocprim17ROCPRIM_400000_NS6detail17trampoline_kernelINS0_14default_configENS1_20scan_config_selectorIsEEZZNS1_9scan_implILNS1_25lookback_scan_determinismE0ELb0ELb0ES3_N6thrust23THRUST_200600_302600_NS6detail15normal_iteratorINS9_10device_ptrIsEEEESE_s9plus_mod3IsEsEEDaPvRmT3_T4_T5_mT6_P12ihipStream_tbENKUlT_T0_E_clISt17integral_constantIbLb0EESU_EEDaSP_SQ_EUlSP_E0_NS1_11comp_targetILNS1_3genE8ELNS1_11target_archE1030ELNS1_3gpuE2ELNS1_3repE0EEENS1_30default_config_static_selectorELNS0_4arch9wavefront6targetE1EEEvT1_,comdat
.Lfunc_end6695:
	.size	_ZN7rocprim17ROCPRIM_400000_NS6detail17trampoline_kernelINS0_14default_configENS1_20scan_config_selectorIsEEZZNS1_9scan_implILNS1_25lookback_scan_determinismE0ELb0ELb0ES3_N6thrust23THRUST_200600_302600_NS6detail15normal_iteratorINS9_10device_ptrIsEEEESE_s9plus_mod3IsEsEEDaPvRmT3_T4_T5_mT6_P12ihipStream_tbENKUlT_T0_E_clISt17integral_constantIbLb0EESU_EEDaSP_SQ_EUlSP_E0_NS1_11comp_targetILNS1_3genE8ELNS1_11target_archE1030ELNS1_3gpuE2ELNS1_3repE0EEENS1_30default_config_static_selectorELNS0_4arch9wavefront6targetE1EEEvT1_, .Lfunc_end6695-_ZN7rocprim17ROCPRIM_400000_NS6detail17trampoline_kernelINS0_14default_configENS1_20scan_config_selectorIsEEZZNS1_9scan_implILNS1_25lookback_scan_determinismE0ELb0ELb0ES3_N6thrust23THRUST_200600_302600_NS6detail15normal_iteratorINS9_10device_ptrIsEEEESE_s9plus_mod3IsEsEEDaPvRmT3_T4_T5_mT6_P12ihipStream_tbENKUlT_T0_E_clISt17integral_constantIbLb0EESU_EEDaSP_SQ_EUlSP_E0_NS1_11comp_targetILNS1_3genE8ELNS1_11target_archE1030ELNS1_3gpuE2ELNS1_3repE0EEENS1_30default_config_static_selectorELNS0_4arch9wavefront6targetE1EEEvT1_
                                        ; -- End function
	.section	.AMDGPU.csdata,"",@progbits
; Kernel info:
; codeLenInByte = 0
; NumSgprs: 4
; NumVgprs: 0
; NumAgprs: 0
; TotalNumVgprs: 0
; ScratchSize: 0
; MemoryBound: 0
; FloatMode: 240
; IeeeMode: 1
; LDSByteSize: 0 bytes/workgroup (compile time only)
; SGPRBlocks: 0
; VGPRBlocks: 0
; NumSGPRsForWavesPerEU: 4
; NumVGPRsForWavesPerEU: 1
; AccumOffset: 4
; Occupancy: 8
; WaveLimiterHint : 0
; COMPUTE_PGM_RSRC2:SCRATCH_EN: 0
; COMPUTE_PGM_RSRC2:USER_SGPR: 6
; COMPUTE_PGM_RSRC2:TRAP_HANDLER: 0
; COMPUTE_PGM_RSRC2:TGID_X_EN: 1
; COMPUTE_PGM_RSRC2:TGID_Y_EN: 0
; COMPUTE_PGM_RSRC2:TGID_Z_EN: 0
; COMPUTE_PGM_RSRC2:TIDIG_COMP_CNT: 0
; COMPUTE_PGM_RSRC3_GFX90A:ACCUM_OFFSET: 0
; COMPUTE_PGM_RSRC3_GFX90A:TG_SPLIT: 0
	.section	.text._ZN7rocprim17ROCPRIM_400000_NS6detail17trampoline_kernelINS0_14default_configENS1_20scan_config_selectorIsEEZZNS1_9scan_implILNS1_25lookback_scan_determinismE0ELb0ELb0ES3_N6thrust23THRUST_200600_302600_NS6detail15normal_iteratorINS9_10device_ptrIsEEEESE_s9plus_mod3IsEsEEDaPvRmT3_T4_T5_mT6_P12ihipStream_tbENKUlT_T0_E_clISt17integral_constantIbLb1EESU_EEDaSP_SQ_EUlSP_E_NS1_11comp_targetILNS1_3genE0ELNS1_11target_archE4294967295ELNS1_3gpuE0ELNS1_3repE0EEENS1_30default_config_static_selectorELNS0_4arch9wavefront6targetE1EEEvT1_,"axG",@progbits,_ZN7rocprim17ROCPRIM_400000_NS6detail17trampoline_kernelINS0_14default_configENS1_20scan_config_selectorIsEEZZNS1_9scan_implILNS1_25lookback_scan_determinismE0ELb0ELb0ES3_N6thrust23THRUST_200600_302600_NS6detail15normal_iteratorINS9_10device_ptrIsEEEESE_s9plus_mod3IsEsEEDaPvRmT3_T4_T5_mT6_P12ihipStream_tbENKUlT_T0_E_clISt17integral_constantIbLb1EESU_EEDaSP_SQ_EUlSP_E_NS1_11comp_targetILNS1_3genE0ELNS1_11target_archE4294967295ELNS1_3gpuE0ELNS1_3repE0EEENS1_30default_config_static_selectorELNS0_4arch9wavefront6targetE1EEEvT1_,comdat
	.protected	_ZN7rocprim17ROCPRIM_400000_NS6detail17trampoline_kernelINS0_14default_configENS1_20scan_config_selectorIsEEZZNS1_9scan_implILNS1_25lookback_scan_determinismE0ELb0ELb0ES3_N6thrust23THRUST_200600_302600_NS6detail15normal_iteratorINS9_10device_ptrIsEEEESE_s9plus_mod3IsEsEEDaPvRmT3_T4_T5_mT6_P12ihipStream_tbENKUlT_T0_E_clISt17integral_constantIbLb1EESU_EEDaSP_SQ_EUlSP_E_NS1_11comp_targetILNS1_3genE0ELNS1_11target_archE4294967295ELNS1_3gpuE0ELNS1_3repE0EEENS1_30default_config_static_selectorELNS0_4arch9wavefront6targetE1EEEvT1_ ; -- Begin function _ZN7rocprim17ROCPRIM_400000_NS6detail17trampoline_kernelINS0_14default_configENS1_20scan_config_selectorIsEEZZNS1_9scan_implILNS1_25lookback_scan_determinismE0ELb0ELb0ES3_N6thrust23THRUST_200600_302600_NS6detail15normal_iteratorINS9_10device_ptrIsEEEESE_s9plus_mod3IsEsEEDaPvRmT3_T4_T5_mT6_P12ihipStream_tbENKUlT_T0_E_clISt17integral_constantIbLb1EESU_EEDaSP_SQ_EUlSP_E_NS1_11comp_targetILNS1_3genE0ELNS1_11target_archE4294967295ELNS1_3gpuE0ELNS1_3repE0EEENS1_30default_config_static_selectorELNS0_4arch9wavefront6targetE1EEEvT1_
	.globl	_ZN7rocprim17ROCPRIM_400000_NS6detail17trampoline_kernelINS0_14default_configENS1_20scan_config_selectorIsEEZZNS1_9scan_implILNS1_25lookback_scan_determinismE0ELb0ELb0ES3_N6thrust23THRUST_200600_302600_NS6detail15normal_iteratorINS9_10device_ptrIsEEEESE_s9plus_mod3IsEsEEDaPvRmT3_T4_T5_mT6_P12ihipStream_tbENKUlT_T0_E_clISt17integral_constantIbLb1EESU_EEDaSP_SQ_EUlSP_E_NS1_11comp_targetILNS1_3genE0ELNS1_11target_archE4294967295ELNS1_3gpuE0ELNS1_3repE0EEENS1_30default_config_static_selectorELNS0_4arch9wavefront6targetE1EEEvT1_
	.p2align	8
	.type	_ZN7rocprim17ROCPRIM_400000_NS6detail17trampoline_kernelINS0_14default_configENS1_20scan_config_selectorIsEEZZNS1_9scan_implILNS1_25lookback_scan_determinismE0ELb0ELb0ES3_N6thrust23THRUST_200600_302600_NS6detail15normal_iteratorINS9_10device_ptrIsEEEESE_s9plus_mod3IsEsEEDaPvRmT3_T4_T5_mT6_P12ihipStream_tbENKUlT_T0_E_clISt17integral_constantIbLb1EESU_EEDaSP_SQ_EUlSP_E_NS1_11comp_targetILNS1_3genE0ELNS1_11target_archE4294967295ELNS1_3gpuE0ELNS1_3repE0EEENS1_30default_config_static_selectorELNS0_4arch9wavefront6targetE1EEEvT1_,@function
_ZN7rocprim17ROCPRIM_400000_NS6detail17trampoline_kernelINS0_14default_configENS1_20scan_config_selectorIsEEZZNS1_9scan_implILNS1_25lookback_scan_determinismE0ELb0ELb0ES3_N6thrust23THRUST_200600_302600_NS6detail15normal_iteratorINS9_10device_ptrIsEEEESE_s9plus_mod3IsEsEEDaPvRmT3_T4_T5_mT6_P12ihipStream_tbENKUlT_T0_E_clISt17integral_constantIbLb1EESU_EEDaSP_SQ_EUlSP_E_NS1_11comp_targetILNS1_3genE0ELNS1_11target_archE4294967295ELNS1_3gpuE0ELNS1_3repE0EEENS1_30default_config_static_selectorELNS0_4arch9wavefront6targetE1EEEvT1_: ; @_ZN7rocprim17ROCPRIM_400000_NS6detail17trampoline_kernelINS0_14default_configENS1_20scan_config_selectorIsEEZZNS1_9scan_implILNS1_25lookback_scan_determinismE0ELb0ELb0ES3_N6thrust23THRUST_200600_302600_NS6detail15normal_iteratorINS9_10device_ptrIsEEEESE_s9plus_mod3IsEsEEDaPvRmT3_T4_T5_mT6_P12ihipStream_tbENKUlT_T0_E_clISt17integral_constantIbLb1EESU_EEDaSP_SQ_EUlSP_E_NS1_11comp_targetILNS1_3genE0ELNS1_11target_archE4294967295ELNS1_3gpuE0ELNS1_3repE0EEENS1_30default_config_static_selectorELNS0_4arch9wavefront6targetE1EEEvT1_
; %bb.0:
	.section	.rodata,"a",@progbits
	.p2align	6, 0x0
	.amdhsa_kernel _ZN7rocprim17ROCPRIM_400000_NS6detail17trampoline_kernelINS0_14default_configENS1_20scan_config_selectorIsEEZZNS1_9scan_implILNS1_25lookback_scan_determinismE0ELb0ELb0ES3_N6thrust23THRUST_200600_302600_NS6detail15normal_iteratorINS9_10device_ptrIsEEEESE_s9plus_mod3IsEsEEDaPvRmT3_T4_T5_mT6_P12ihipStream_tbENKUlT_T0_E_clISt17integral_constantIbLb1EESU_EEDaSP_SQ_EUlSP_E_NS1_11comp_targetILNS1_3genE0ELNS1_11target_archE4294967295ELNS1_3gpuE0ELNS1_3repE0EEENS1_30default_config_static_selectorELNS0_4arch9wavefront6targetE1EEEvT1_
		.amdhsa_group_segment_fixed_size 0
		.amdhsa_private_segment_fixed_size 0
		.amdhsa_kernarg_size 104
		.amdhsa_user_sgpr_count 6
		.amdhsa_user_sgpr_private_segment_buffer 1
		.amdhsa_user_sgpr_dispatch_ptr 0
		.amdhsa_user_sgpr_queue_ptr 0
		.amdhsa_user_sgpr_kernarg_segment_ptr 1
		.amdhsa_user_sgpr_dispatch_id 0
		.amdhsa_user_sgpr_flat_scratch_init 0
		.amdhsa_user_sgpr_kernarg_preload_length 0
		.amdhsa_user_sgpr_kernarg_preload_offset 0
		.amdhsa_user_sgpr_private_segment_size 0
		.amdhsa_uses_dynamic_stack 0
		.amdhsa_system_sgpr_private_segment_wavefront_offset 0
		.amdhsa_system_sgpr_workgroup_id_x 1
		.amdhsa_system_sgpr_workgroup_id_y 0
		.amdhsa_system_sgpr_workgroup_id_z 0
		.amdhsa_system_sgpr_workgroup_info 0
		.amdhsa_system_vgpr_workitem_id 0
		.amdhsa_next_free_vgpr 1
		.amdhsa_next_free_sgpr 0
		.amdhsa_accum_offset 4
		.amdhsa_reserve_vcc 0
		.amdhsa_reserve_flat_scratch 0
		.amdhsa_float_round_mode_32 0
		.amdhsa_float_round_mode_16_64 0
		.amdhsa_float_denorm_mode_32 3
		.amdhsa_float_denorm_mode_16_64 3
		.amdhsa_dx10_clamp 1
		.amdhsa_ieee_mode 1
		.amdhsa_fp16_overflow 0
		.amdhsa_tg_split 0
		.amdhsa_exception_fp_ieee_invalid_op 0
		.amdhsa_exception_fp_denorm_src 0
		.amdhsa_exception_fp_ieee_div_zero 0
		.amdhsa_exception_fp_ieee_overflow 0
		.amdhsa_exception_fp_ieee_underflow 0
		.amdhsa_exception_fp_ieee_inexact 0
		.amdhsa_exception_int_div_zero 0
	.end_amdhsa_kernel
	.section	.text._ZN7rocprim17ROCPRIM_400000_NS6detail17trampoline_kernelINS0_14default_configENS1_20scan_config_selectorIsEEZZNS1_9scan_implILNS1_25lookback_scan_determinismE0ELb0ELb0ES3_N6thrust23THRUST_200600_302600_NS6detail15normal_iteratorINS9_10device_ptrIsEEEESE_s9plus_mod3IsEsEEDaPvRmT3_T4_T5_mT6_P12ihipStream_tbENKUlT_T0_E_clISt17integral_constantIbLb1EESU_EEDaSP_SQ_EUlSP_E_NS1_11comp_targetILNS1_3genE0ELNS1_11target_archE4294967295ELNS1_3gpuE0ELNS1_3repE0EEENS1_30default_config_static_selectorELNS0_4arch9wavefront6targetE1EEEvT1_,"axG",@progbits,_ZN7rocprim17ROCPRIM_400000_NS6detail17trampoline_kernelINS0_14default_configENS1_20scan_config_selectorIsEEZZNS1_9scan_implILNS1_25lookback_scan_determinismE0ELb0ELb0ES3_N6thrust23THRUST_200600_302600_NS6detail15normal_iteratorINS9_10device_ptrIsEEEESE_s9plus_mod3IsEsEEDaPvRmT3_T4_T5_mT6_P12ihipStream_tbENKUlT_T0_E_clISt17integral_constantIbLb1EESU_EEDaSP_SQ_EUlSP_E_NS1_11comp_targetILNS1_3genE0ELNS1_11target_archE4294967295ELNS1_3gpuE0ELNS1_3repE0EEENS1_30default_config_static_selectorELNS0_4arch9wavefront6targetE1EEEvT1_,comdat
.Lfunc_end6696:
	.size	_ZN7rocprim17ROCPRIM_400000_NS6detail17trampoline_kernelINS0_14default_configENS1_20scan_config_selectorIsEEZZNS1_9scan_implILNS1_25lookback_scan_determinismE0ELb0ELb0ES3_N6thrust23THRUST_200600_302600_NS6detail15normal_iteratorINS9_10device_ptrIsEEEESE_s9plus_mod3IsEsEEDaPvRmT3_T4_T5_mT6_P12ihipStream_tbENKUlT_T0_E_clISt17integral_constantIbLb1EESU_EEDaSP_SQ_EUlSP_E_NS1_11comp_targetILNS1_3genE0ELNS1_11target_archE4294967295ELNS1_3gpuE0ELNS1_3repE0EEENS1_30default_config_static_selectorELNS0_4arch9wavefront6targetE1EEEvT1_, .Lfunc_end6696-_ZN7rocprim17ROCPRIM_400000_NS6detail17trampoline_kernelINS0_14default_configENS1_20scan_config_selectorIsEEZZNS1_9scan_implILNS1_25lookback_scan_determinismE0ELb0ELb0ES3_N6thrust23THRUST_200600_302600_NS6detail15normal_iteratorINS9_10device_ptrIsEEEESE_s9plus_mod3IsEsEEDaPvRmT3_T4_T5_mT6_P12ihipStream_tbENKUlT_T0_E_clISt17integral_constantIbLb1EESU_EEDaSP_SQ_EUlSP_E_NS1_11comp_targetILNS1_3genE0ELNS1_11target_archE4294967295ELNS1_3gpuE0ELNS1_3repE0EEENS1_30default_config_static_selectorELNS0_4arch9wavefront6targetE1EEEvT1_
                                        ; -- End function
	.section	.AMDGPU.csdata,"",@progbits
; Kernel info:
; codeLenInByte = 0
; NumSgprs: 4
; NumVgprs: 0
; NumAgprs: 0
; TotalNumVgprs: 0
; ScratchSize: 0
; MemoryBound: 0
; FloatMode: 240
; IeeeMode: 1
; LDSByteSize: 0 bytes/workgroup (compile time only)
; SGPRBlocks: 0
; VGPRBlocks: 0
; NumSGPRsForWavesPerEU: 4
; NumVGPRsForWavesPerEU: 1
; AccumOffset: 4
; Occupancy: 8
; WaveLimiterHint : 0
; COMPUTE_PGM_RSRC2:SCRATCH_EN: 0
; COMPUTE_PGM_RSRC2:USER_SGPR: 6
; COMPUTE_PGM_RSRC2:TRAP_HANDLER: 0
; COMPUTE_PGM_RSRC2:TGID_X_EN: 1
; COMPUTE_PGM_RSRC2:TGID_Y_EN: 0
; COMPUTE_PGM_RSRC2:TGID_Z_EN: 0
; COMPUTE_PGM_RSRC2:TIDIG_COMP_CNT: 0
; COMPUTE_PGM_RSRC3_GFX90A:ACCUM_OFFSET: 0
; COMPUTE_PGM_RSRC3_GFX90A:TG_SPLIT: 0
	.section	.text._ZN7rocprim17ROCPRIM_400000_NS6detail17trampoline_kernelINS0_14default_configENS1_20scan_config_selectorIsEEZZNS1_9scan_implILNS1_25lookback_scan_determinismE0ELb0ELb0ES3_N6thrust23THRUST_200600_302600_NS6detail15normal_iteratorINS9_10device_ptrIsEEEESE_s9plus_mod3IsEsEEDaPvRmT3_T4_T5_mT6_P12ihipStream_tbENKUlT_T0_E_clISt17integral_constantIbLb1EESU_EEDaSP_SQ_EUlSP_E_NS1_11comp_targetILNS1_3genE5ELNS1_11target_archE942ELNS1_3gpuE9ELNS1_3repE0EEENS1_30default_config_static_selectorELNS0_4arch9wavefront6targetE1EEEvT1_,"axG",@progbits,_ZN7rocprim17ROCPRIM_400000_NS6detail17trampoline_kernelINS0_14default_configENS1_20scan_config_selectorIsEEZZNS1_9scan_implILNS1_25lookback_scan_determinismE0ELb0ELb0ES3_N6thrust23THRUST_200600_302600_NS6detail15normal_iteratorINS9_10device_ptrIsEEEESE_s9plus_mod3IsEsEEDaPvRmT3_T4_T5_mT6_P12ihipStream_tbENKUlT_T0_E_clISt17integral_constantIbLb1EESU_EEDaSP_SQ_EUlSP_E_NS1_11comp_targetILNS1_3genE5ELNS1_11target_archE942ELNS1_3gpuE9ELNS1_3repE0EEENS1_30default_config_static_selectorELNS0_4arch9wavefront6targetE1EEEvT1_,comdat
	.protected	_ZN7rocprim17ROCPRIM_400000_NS6detail17trampoline_kernelINS0_14default_configENS1_20scan_config_selectorIsEEZZNS1_9scan_implILNS1_25lookback_scan_determinismE0ELb0ELb0ES3_N6thrust23THRUST_200600_302600_NS6detail15normal_iteratorINS9_10device_ptrIsEEEESE_s9plus_mod3IsEsEEDaPvRmT3_T4_T5_mT6_P12ihipStream_tbENKUlT_T0_E_clISt17integral_constantIbLb1EESU_EEDaSP_SQ_EUlSP_E_NS1_11comp_targetILNS1_3genE5ELNS1_11target_archE942ELNS1_3gpuE9ELNS1_3repE0EEENS1_30default_config_static_selectorELNS0_4arch9wavefront6targetE1EEEvT1_ ; -- Begin function _ZN7rocprim17ROCPRIM_400000_NS6detail17trampoline_kernelINS0_14default_configENS1_20scan_config_selectorIsEEZZNS1_9scan_implILNS1_25lookback_scan_determinismE0ELb0ELb0ES3_N6thrust23THRUST_200600_302600_NS6detail15normal_iteratorINS9_10device_ptrIsEEEESE_s9plus_mod3IsEsEEDaPvRmT3_T4_T5_mT6_P12ihipStream_tbENKUlT_T0_E_clISt17integral_constantIbLb1EESU_EEDaSP_SQ_EUlSP_E_NS1_11comp_targetILNS1_3genE5ELNS1_11target_archE942ELNS1_3gpuE9ELNS1_3repE0EEENS1_30default_config_static_selectorELNS0_4arch9wavefront6targetE1EEEvT1_
	.globl	_ZN7rocprim17ROCPRIM_400000_NS6detail17trampoline_kernelINS0_14default_configENS1_20scan_config_selectorIsEEZZNS1_9scan_implILNS1_25lookback_scan_determinismE0ELb0ELb0ES3_N6thrust23THRUST_200600_302600_NS6detail15normal_iteratorINS9_10device_ptrIsEEEESE_s9plus_mod3IsEsEEDaPvRmT3_T4_T5_mT6_P12ihipStream_tbENKUlT_T0_E_clISt17integral_constantIbLb1EESU_EEDaSP_SQ_EUlSP_E_NS1_11comp_targetILNS1_3genE5ELNS1_11target_archE942ELNS1_3gpuE9ELNS1_3repE0EEENS1_30default_config_static_selectorELNS0_4arch9wavefront6targetE1EEEvT1_
	.p2align	8
	.type	_ZN7rocprim17ROCPRIM_400000_NS6detail17trampoline_kernelINS0_14default_configENS1_20scan_config_selectorIsEEZZNS1_9scan_implILNS1_25lookback_scan_determinismE0ELb0ELb0ES3_N6thrust23THRUST_200600_302600_NS6detail15normal_iteratorINS9_10device_ptrIsEEEESE_s9plus_mod3IsEsEEDaPvRmT3_T4_T5_mT6_P12ihipStream_tbENKUlT_T0_E_clISt17integral_constantIbLb1EESU_EEDaSP_SQ_EUlSP_E_NS1_11comp_targetILNS1_3genE5ELNS1_11target_archE942ELNS1_3gpuE9ELNS1_3repE0EEENS1_30default_config_static_selectorELNS0_4arch9wavefront6targetE1EEEvT1_,@function
_ZN7rocprim17ROCPRIM_400000_NS6detail17trampoline_kernelINS0_14default_configENS1_20scan_config_selectorIsEEZZNS1_9scan_implILNS1_25lookback_scan_determinismE0ELb0ELb0ES3_N6thrust23THRUST_200600_302600_NS6detail15normal_iteratorINS9_10device_ptrIsEEEESE_s9plus_mod3IsEsEEDaPvRmT3_T4_T5_mT6_P12ihipStream_tbENKUlT_T0_E_clISt17integral_constantIbLb1EESU_EEDaSP_SQ_EUlSP_E_NS1_11comp_targetILNS1_3genE5ELNS1_11target_archE942ELNS1_3gpuE9ELNS1_3repE0EEENS1_30default_config_static_selectorELNS0_4arch9wavefront6targetE1EEEvT1_: ; @_ZN7rocprim17ROCPRIM_400000_NS6detail17trampoline_kernelINS0_14default_configENS1_20scan_config_selectorIsEEZZNS1_9scan_implILNS1_25lookback_scan_determinismE0ELb0ELb0ES3_N6thrust23THRUST_200600_302600_NS6detail15normal_iteratorINS9_10device_ptrIsEEEESE_s9plus_mod3IsEsEEDaPvRmT3_T4_T5_mT6_P12ihipStream_tbENKUlT_T0_E_clISt17integral_constantIbLb1EESU_EEDaSP_SQ_EUlSP_E_NS1_11comp_targetILNS1_3genE5ELNS1_11target_archE942ELNS1_3gpuE9ELNS1_3repE0EEENS1_30default_config_static_selectorELNS0_4arch9wavefront6targetE1EEEvT1_
; %bb.0:
	.section	.rodata,"a",@progbits
	.p2align	6, 0x0
	.amdhsa_kernel _ZN7rocprim17ROCPRIM_400000_NS6detail17trampoline_kernelINS0_14default_configENS1_20scan_config_selectorIsEEZZNS1_9scan_implILNS1_25lookback_scan_determinismE0ELb0ELb0ES3_N6thrust23THRUST_200600_302600_NS6detail15normal_iteratorINS9_10device_ptrIsEEEESE_s9plus_mod3IsEsEEDaPvRmT3_T4_T5_mT6_P12ihipStream_tbENKUlT_T0_E_clISt17integral_constantIbLb1EESU_EEDaSP_SQ_EUlSP_E_NS1_11comp_targetILNS1_3genE5ELNS1_11target_archE942ELNS1_3gpuE9ELNS1_3repE0EEENS1_30default_config_static_selectorELNS0_4arch9wavefront6targetE1EEEvT1_
		.amdhsa_group_segment_fixed_size 0
		.amdhsa_private_segment_fixed_size 0
		.amdhsa_kernarg_size 104
		.amdhsa_user_sgpr_count 6
		.amdhsa_user_sgpr_private_segment_buffer 1
		.amdhsa_user_sgpr_dispatch_ptr 0
		.amdhsa_user_sgpr_queue_ptr 0
		.amdhsa_user_sgpr_kernarg_segment_ptr 1
		.amdhsa_user_sgpr_dispatch_id 0
		.amdhsa_user_sgpr_flat_scratch_init 0
		.amdhsa_user_sgpr_kernarg_preload_length 0
		.amdhsa_user_sgpr_kernarg_preload_offset 0
		.amdhsa_user_sgpr_private_segment_size 0
		.amdhsa_uses_dynamic_stack 0
		.amdhsa_system_sgpr_private_segment_wavefront_offset 0
		.amdhsa_system_sgpr_workgroup_id_x 1
		.amdhsa_system_sgpr_workgroup_id_y 0
		.amdhsa_system_sgpr_workgroup_id_z 0
		.amdhsa_system_sgpr_workgroup_info 0
		.amdhsa_system_vgpr_workitem_id 0
		.amdhsa_next_free_vgpr 1
		.amdhsa_next_free_sgpr 0
		.amdhsa_accum_offset 4
		.amdhsa_reserve_vcc 0
		.amdhsa_reserve_flat_scratch 0
		.amdhsa_float_round_mode_32 0
		.amdhsa_float_round_mode_16_64 0
		.amdhsa_float_denorm_mode_32 3
		.amdhsa_float_denorm_mode_16_64 3
		.amdhsa_dx10_clamp 1
		.amdhsa_ieee_mode 1
		.amdhsa_fp16_overflow 0
		.amdhsa_tg_split 0
		.amdhsa_exception_fp_ieee_invalid_op 0
		.amdhsa_exception_fp_denorm_src 0
		.amdhsa_exception_fp_ieee_div_zero 0
		.amdhsa_exception_fp_ieee_overflow 0
		.amdhsa_exception_fp_ieee_underflow 0
		.amdhsa_exception_fp_ieee_inexact 0
		.amdhsa_exception_int_div_zero 0
	.end_amdhsa_kernel
	.section	.text._ZN7rocprim17ROCPRIM_400000_NS6detail17trampoline_kernelINS0_14default_configENS1_20scan_config_selectorIsEEZZNS1_9scan_implILNS1_25lookback_scan_determinismE0ELb0ELb0ES3_N6thrust23THRUST_200600_302600_NS6detail15normal_iteratorINS9_10device_ptrIsEEEESE_s9plus_mod3IsEsEEDaPvRmT3_T4_T5_mT6_P12ihipStream_tbENKUlT_T0_E_clISt17integral_constantIbLb1EESU_EEDaSP_SQ_EUlSP_E_NS1_11comp_targetILNS1_3genE5ELNS1_11target_archE942ELNS1_3gpuE9ELNS1_3repE0EEENS1_30default_config_static_selectorELNS0_4arch9wavefront6targetE1EEEvT1_,"axG",@progbits,_ZN7rocprim17ROCPRIM_400000_NS6detail17trampoline_kernelINS0_14default_configENS1_20scan_config_selectorIsEEZZNS1_9scan_implILNS1_25lookback_scan_determinismE0ELb0ELb0ES3_N6thrust23THRUST_200600_302600_NS6detail15normal_iteratorINS9_10device_ptrIsEEEESE_s9plus_mod3IsEsEEDaPvRmT3_T4_T5_mT6_P12ihipStream_tbENKUlT_T0_E_clISt17integral_constantIbLb1EESU_EEDaSP_SQ_EUlSP_E_NS1_11comp_targetILNS1_3genE5ELNS1_11target_archE942ELNS1_3gpuE9ELNS1_3repE0EEENS1_30default_config_static_selectorELNS0_4arch9wavefront6targetE1EEEvT1_,comdat
.Lfunc_end6697:
	.size	_ZN7rocprim17ROCPRIM_400000_NS6detail17trampoline_kernelINS0_14default_configENS1_20scan_config_selectorIsEEZZNS1_9scan_implILNS1_25lookback_scan_determinismE0ELb0ELb0ES3_N6thrust23THRUST_200600_302600_NS6detail15normal_iteratorINS9_10device_ptrIsEEEESE_s9plus_mod3IsEsEEDaPvRmT3_T4_T5_mT6_P12ihipStream_tbENKUlT_T0_E_clISt17integral_constantIbLb1EESU_EEDaSP_SQ_EUlSP_E_NS1_11comp_targetILNS1_3genE5ELNS1_11target_archE942ELNS1_3gpuE9ELNS1_3repE0EEENS1_30default_config_static_selectorELNS0_4arch9wavefront6targetE1EEEvT1_, .Lfunc_end6697-_ZN7rocprim17ROCPRIM_400000_NS6detail17trampoline_kernelINS0_14default_configENS1_20scan_config_selectorIsEEZZNS1_9scan_implILNS1_25lookback_scan_determinismE0ELb0ELb0ES3_N6thrust23THRUST_200600_302600_NS6detail15normal_iteratorINS9_10device_ptrIsEEEESE_s9plus_mod3IsEsEEDaPvRmT3_T4_T5_mT6_P12ihipStream_tbENKUlT_T0_E_clISt17integral_constantIbLb1EESU_EEDaSP_SQ_EUlSP_E_NS1_11comp_targetILNS1_3genE5ELNS1_11target_archE942ELNS1_3gpuE9ELNS1_3repE0EEENS1_30default_config_static_selectorELNS0_4arch9wavefront6targetE1EEEvT1_
                                        ; -- End function
	.section	.AMDGPU.csdata,"",@progbits
; Kernel info:
; codeLenInByte = 0
; NumSgprs: 4
; NumVgprs: 0
; NumAgprs: 0
; TotalNumVgprs: 0
; ScratchSize: 0
; MemoryBound: 0
; FloatMode: 240
; IeeeMode: 1
; LDSByteSize: 0 bytes/workgroup (compile time only)
; SGPRBlocks: 0
; VGPRBlocks: 0
; NumSGPRsForWavesPerEU: 4
; NumVGPRsForWavesPerEU: 1
; AccumOffset: 4
; Occupancy: 8
; WaveLimiterHint : 0
; COMPUTE_PGM_RSRC2:SCRATCH_EN: 0
; COMPUTE_PGM_RSRC2:USER_SGPR: 6
; COMPUTE_PGM_RSRC2:TRAP_HANDLER: 0
; COMPUTE_PGM_RSRC2:TGID_X_EN: 1
; COMPUTE_PGM_RSRC2:TGID_Y_EN: 0
; COMPUTE_PGM_RSRC2:TGID_Z_EN: 0
; COMPUTE_PGM_RSRC2:TIDIG_COMP_CNT: 0
; COMPUTE_PGM_RSRC3_GFX90A:ACCUM_OFFSET: 0
; COMPUTE_PGM_RSRC3_GFX90A:TG_SPLIT: 0
	.section	.text._ZN7rocprim17ROCPRIM_400000_NS6detail17trampoline_kernelINS0_14default_configENS1_20scan_config_selectorIsEEZZNS1_9scan_implILNS1_25lookback_scan_determinismE0ELb0ELb0ES3_N6thrust23THRUST_200600_302600_NS6detail15normal_iteratorINS9_10device_ptrIsEEEESE_s9plus_mod3IsEsEEDaPvRmT3_T4_T5_mT6_P12ihipStream_tbENKUlT_T0_E_clISt17integral_constantIbLb1EESU_EEDaSP_SQ_EUlSP_E_NS1_11comp_targetILNS1_3genE4ELNS1_11target_archE910ELNS1_3gpuE8ELNS1_3repE0EEENS1_30default_config_static_selectorELNS0_4arch9wavefront6targetE1EEEvT1_,"axG",@progbits,_ZN7rocprim17ROCPRIM_400000_NS6detail17trampoline_kernelINS0_14default_configENS1_20scan_config_selectorIsEEZZNS1_9scan_implILNS1_25lookback_scan_determinismE0ELb0ELb0ES3_N6thrust23THRUST_200600_302600_NS6detail15normal_iteratorINS9_10device_ptrIsEEEESE_s9plus_mod3IsEsEEDaPvRmT3_T4_T5_mT6_P12ihipStream_tbENKUlT_T0_E_clISt17integral_constantIbLb1EESU_EEDaSP_SQ_EUlSP_E_NS1_11comp_targetILNS1_3genE4ELNS1_11target_archE910ELNS1_3gpuE8ELNS1_3repE0EEENS1_30default_config_static_selectorELNS0_4arch9wavefront6targetE1EEEvT1_,comdat
	.protected	_ZN7rocprim17ROCPRIM_400000_NS6detail17trampoline_kernelINS0_14default_configENS1_20scan_config_selectorIsEEZZNS1_9scan_implILNS1_25lookback_scan_determinismE0ELb0ELb0ES3_N6thrust23THRUST_200600_302600_NS6detail15normal_iteratorINS9_10device_ptrIsEEEESE_s9plus_mod3IsEsEEDaPvRmT3_T4_T5_mT6_P12ihipStream_tbENKUlT_T0_E_clISt17integral_constantIbLb1EESU_EEDaSP_SQ_EUlSP_E_NS1_11comp_targetILNS1_3genE4ELNS1_11target_archE910ELNS1_3gpuE8ELNS1_3repE0EEENS1_30default_config_static_selectorELNS0_4arch9wavefront6targetE1EEEvT1_ ; -- Begin function _ZN7rocprim17ROCPRIM_400000_NS6detail17trampoline_kernelINS0_14default_configENS1_20scan_config_selectorIsEEZZNS1_9scan_implILNS1_25lookback_scan_determinismE0ELb0ELb0ES3_N6thrust23THRUST_200600_302600_NS6detail15normal_iteratorINS9_10device_ptrIsEEEESE_s9plus_mod3IsEsEEDaPvRmT3_T4_T5_mT6_P12ihipStream_tbENKUlT_T0_E_clISt17integral_constantIbLb1EESU_EEDaSP_SQ_EUlSP_E_NS1_11comp_targetILNS1_3genE4ELNS1_11target_archE910ELNS1_3gpuE8ELNS1_3repE0EEENS1_30default_config_static_selectorELNS0_4arch9wavefront6targetE1EEEvT1_
	.globl	_ZN7rocprim17ROCPRIM_400000_NS6detail17trampoline_kernelINS0_14default_configENS1_20scan_config_selectorIsEEZZNS1_9scan_implILNS1_25lookback_scan_determinismE0ELb0ELb0ES3_N6thrust23THRUST_200600_302600_NS6detail15normal_iteratorINS9_10device_ptrIsEEEESE_s9plus_mod3IsEsEEDaPvRmT3_T4_T5_mT6_P12ihipStream_tbENKUlT_T0_E_clISt17integral_constantIbLb1EESU_EEDaSP_SQ_EUlSP_E_NS1_11comp_targetILNS1_3genE4ELNS1_11target_archE910ELNS1_3gpuE8ELNS1_3repE0EEENS1_30default_config_static_selectorELNS0_4arch9wavefront6targetE1EEEvT1_
	.p2align	8
	.type	_ZN7rocprim17ROCPRIM_400000_NS6detail17trampoline_kernelINS0_14default_configENS1_20scan_config_selectorIsEEZZNS1_9scan_implILNS1_25lookback_scan_determinismE0ELb0ELb0ES3_N6thrust23THRUST_200600_302600_NS6detail15normal_iteratorINS9_10device_ptrIsEEEESE_s9plus_mod3IsEsEEDaPvRmT3_T4_T5_mT6_P12ihipStream_tbENKUlT_T0_E_clISt17integral_constantIbLb1EESU_EEDaSP_SQ_EUlSP_E_NS1_11comp_targetILNS1_3genE4ELNS1_11target_archE910ELNS1_3gpuE8ELNS1_3repE0EEENS1_30default_config_static_selectorELNS0_4arch9wavefront6targetE1EEEvT1_,@function
_ZN7rocprim17ROCPRIM_400000_NS6detail17trampoline_kernelINS0_14default_configENS1_20scan_config_selectorIsEEZZNS1_9scan_implILNS1_25lookback_scan_determinismE0ELb0ELb0ES3_N6thrust23THRUST_200600_302600_NS6detail15normal_iteratorINS9_10device_ptrIsEEEESE_s9plus_mod3IsEsEEDaPvRmT3_T4_T5_mT6_P12ihipStream_tbENKUlT_T0_E_clISt17integral_constantIbLb1EESU_EEDaSP_SQ_EUlSP_E_NS1_11comp_targetILNS1_3genE4ELNS1_11target_archE910ELNS1_3gpuE8ELNS1_3repE0EEENS1_30default_config_static_selectorELNS0_4arch9wavefront6targetE1EEEvT1_: ; @_ZN7rocprim17ROCPRIM_400000_NS6detail17trampoline_kernelINS0_14default_configENS1_20scan_config_selectorIsEEZZNS1_9scan_implILNS1_25lookback_scan_determinismE0ELb0ELb0ES3_N6thrust23THRUST_200600_302600_NS6detail15normal_iteratorINS9_10device_ptrIsEEEESE_s9plus_mod3IsEsEEDaPvRmT3_T4_T5_mT6_P12ihipStream_tbENKUlT_T0_E_clISt17integral_constantIbLb1EESU_EEDaSP_SQ_EUlSP_E_NS1_11comp_targetILNS1_3genE4ELNS1_11target_archE910ELNS1_3gpuE8ELNS1_3repE0EEENS1_30default_config_static_selectorELNS0_4arch9wavefront6targetE1EEEvT1_
; %bb.0:
	v_cmp_ne_u32_e64 s[0:1], 0, v0
	v_cmp_eq_u32_e64 s[2:3], 0, v0
	s_and_saveexec_b64 s[6:7], s[2:3]
	s_cbranch_execz .LBB6698_4
; %bb.1:
	s_mov_b64 s[10:11], exec
	v_mbcnt_lo_u32_b32 v1, s10, 0
	v_mbcnt_hi_u32_b32 v1, s11, v1
	v_cmp_eq_u32_e32 vcc, 0, v1
                                        ; implicit-def: $vgpr2
	s_and_saveexec_b64 s[8:9], vcc
	s_cbranch_execz .LBB6698_3
; %bb.2:
	s_load_dwordx2 s[12:13], s[4:5], 0x60
	s_bcnt1_i32_b64 s10, s[10:11]
	v_mov_b32_e32 v2, 0
	v_mov_b32_e32 v3, s10
	s_waitcnt lgkmcnt(0)
	global_atomic_add v2, v2, v3, s[12:13] glc
.LBB6698_3:
	s_or_b64 exec, exec, s[8:9]
	s_waitcnt vmcnt(0)
	v_readfirstlane_b32 s8, v2
	v_add_u32_e32 v1, s8, v1
	v_mov_b32_e32 v2, 0
	ds_write_b32 v2, v1
.LBB6698_4:
	s_or_b64 exec, exec, s[6:7]
	s_load_dwordx8 s[16:23], s[4:5], 0x0
	s_load_dwordx4 s[24:27], s[4:5], 0x28
	s_load_dword s28, s[4:5], 0x38
	s_load_dwordx8 s[8:15], s[4:5], 0x40
	v_mov_b32_e32 v1, 0
	s_waitcnt lgkmcnt(0)
	; wave barrier
	s_waitcnt lgkmcnt(0)
	ds_read_b32 v1, v1
	s_lshl_b64 s[6:7], s[18:19], 1
	s_add_u32 s29, s16, s6
	s_addc_u32 s30, s17, s7
	s_add_i32 s16, s28, -1
	s_mul_i32 s17, s16, 0x600
	s_sub_u32 s33, s22, s17
	s_waitcnt lgkmcnt(0)
	v_readfirstlane_b32 s41, v1
	s_subb_u32 s40, s23, 0
	s_mul_i32 s4, s41, 0x600
	s_mov_b32 s5, 0
	s_cmp_lg_u32 s41, s16
	s_cselect_b64 s[16:17], -1, 0
	s_lshl_b64 s[18:19], s[4:5], 1
	s_add_u32 s22, s29, s18
	s_addc_u32 s23, s30, s19
	s_mov_b64 s[4:5], -1
	s_and_b64 vcc, exec, s[16:17]
	v_lshlrev_b32_e32 v108, 1, v0
	s_waitcnt lgkmcnt(0)
	; wave barrier
	s_cbranch_vccz .LBB6698_6
; %bb.5:
	v_mov_b32_e32 v1, s23
	v_add_co_u32_e32 v2, vcc, s22, v108
	v_addc_co_u32_e32 v3, vcc, 0, v1, vcc
	flat_load_ushort v1, v[2:3]
	flat_load_ushort v4, v[2:3] offset:128
	flat_load_ushort v5, v[2:3] offset:256
	;; [unrolled: 1-line block ×23, first 2 shown]
	s_mov_b64 s[4:5], 0
	s_waitcnt vmcnt(0) lgkmcnt(0)
	ds_write_b16 v108, v1
	ds_write_b16 v108, v4 offset:128
	ds_write_b16 v108, v5 offset:256
	;; [unrolled: 1-line block ×23, first 2 shown]
	s_waitcnt lgkmcnt(0)
	; wave barrier
.LBB6698_6:
	s_andn2_b64 vcc, exec, s[4:5]
	v_cmp_gt_u32_e64 s[4:5], s33, v0
	s_cbranch_vccnz .LBB6698_56
; %bb.7:
	v_pk_mov_b32 v[2:3], s[22:23], s[22:23] op_sel:[0,1]
	flat_load_ushort v1, v[2:3]
	s_waitcnt vmcnt(0) lgkmcnt(0)
	v_mov_b32_e32 v2, v1
	s_and_saveexec_b64 s[28:29], s[4:5]
	s_cbranch_execz .LBB6698_9
; %bb.8:
	v_mov_b32_e32 v3, s23
	v_add_co_u32_e32 v2, vcc, s22, v108
	v_addc_co_u32_e32 v3, vcc, 0, v3, vcc
	flat_load_ushort v2, v[2:3]
.LBB6698_9:
	s_or_b64 exec, exec, s[28:29]
	v_or_b32_e32 v3, 64, v0
	v_cmp_gt_u32_e32 vcc, s33, v3
	v_mov_b32_e32 v3, v1
	s_and_saveexec_b64 s[4:5], vcc
	s_cbranch_execz .LBB6698_11
; %bb.10:
	v_mov_b32_e32 v3, s23
	v_add_co_u32_e32 v4, vcc, s22, v108
	v_addc_co_u32_e32 v5, vcc, 0, v3, vcc
	flat_load_ushort v3, v[4:5] offset:128
.LBB6698_11:
	s_or_b64 exec, exec, s[4:5]
	v_or_b32_e32 v4, 0x80, v0
	v_cmp_gt_u32_e32 vcc, s33, v4
	v_mov_b32_e32 v4, v1
	s_and_saveexec_b64 s[4:5], vcc
	s_cbranch_execz .LBB6698_13
; %bb.12:
	v_mov_b32_e32 v5, s23
	v_add_co_u32_e32 v4, vcc, s22, v108
	v_addc_co_u32_e32 v5, vcc, 0, v5, vcc
	flat_load_ushort v4, v[4:5] offset:256
.LBB6698_13:
	s_or_b64 exec, exec, s[4:5]
	v_or_b32_e32 v5, 0xc0, v0
	v_cmp_gt_u32_e32 vcc, s33, v5
	v_mov_b32_e32 v5, v1
	s_and_saveexec_b64 s[4:5], vcc
	s_cbranch_execz .LBB6698_15
; %bb.14:
	v_mov_b32_e32 v5, s23
	v_add_co_u32_e32 v6, vcc, s22, v108
	v_addc_co_u32_e32 v7, vcc, 0, v5, vcc
	flat_load_ushort v5, v[6:7] offset:384
.LBB6698_15:
	s_or_b64 exec, exec, s[4:5]
	v_or_b32_e32 v6, 0x100, v0
	v_cmp_gt_u32_e32 vcc, s33, v6
	v_mov_b32_e32 v6, v1
	s_and_saveexec_b64 s[4:5], vcc
	s_cbranch_execz .LBB6698_17
; %bb.16:
	v_mov_b32_e32 v7, s23
	v_add_co_u32_e32 v6, vcc, s22, v108
	v_addc_co_u32_e32 v7, vcc, 0, v7, vcc
	flat_load_ushort v6, v[6:7] offset:512
.LBB6698_17:
	s_or_b64 exec, exec, s[4:5]
	v_or_b32_e32 v7, 0x140, v0
	v_cmp_gt_u32_e32 vcc, s33, v7
	v_mov_b32_e32 v7, v1
	s_and_saveexec_b64 s[4:5], vcc
	s_cbranch_execz .LBB6698_19
; %bb.18:
	v_mov_b32_e32 v7, s23
	v_add_co_u32_e32 v8, vcc, s22, v108
	v_addc_co_u32_e32 v9, vcc, 0, v7, vcc
	flat_load_ushort v7, v[8:9] offset:640
.LBB6698_19:
	s_or_b64 exec, exec, s[4:5]
	v_or_b32_e32 v8, 0x180, v0
	v_cmp_gt_u32_e32 vcc, s33, v8
	v_mov_b32_e32 v8, v1
	s_and_saveexec_b64 s[4:5], vcc
	s_cbranch_execz .LBB6698_21
; %bb.20:
	v_mov_b32_e32 v9, s23
	v_add_co_u32_e32 v8, vcc, s22, v108
	v_addc_co_u32_e32 v9, vcc, 0, v9, vcc
	flat_load_ushort v8, v[8:9] offset:768
.LBB6698_21:
	s_or_b64 exec, exec, s[4:5]
	v_or_b32_e32 v9, 0x1c0, v0
	v_cmp_gt_u32_e32 vcc, s33, v9
	v_mov_b32_e32 v9, v1
	s_and_saveexec_b64 s[4:5], vcc
	s_cbranch_execz .LBB6698_23
; %bb.22:
	v_mov_b32_e32 v9, s23
	v_add_co_u32_e32 v10, vcc, s22, v108
	v_addc_co_u32_e32 v11, vcc, 0, v9, vcc
	flat_load_ushort v9, v[10:11] offset:896
.LBB6698_23:
	s_or_b64 exec, exec, s[4:5]
	v_or_b32_e32 v10, 0x200, v0
	v_cmp_gt_u32_e32 vcc, s33, v10
	v_mov_b32_e32 v10, v1
	s_and_saveexec_b64 s[4:5], vcc
	s_cbranch_execz .LBB6698_25
; %bb.24:
	v_mov_b32_e32 v11, s23
	v_add_co_u32_e32 v10, vcc, s22, v108
	v_addc_co_u32_e32 v11, vcc, 0, v11, vcc
	flat_load_ushort v10, v[10:11] offset:1024
.LBB6698_25:
	s_or_b64 exec, exec, s[4:5]
	v_or_b32_e32 v11, 0x240, v0
	v_cmp_gt_u32_e32 vcc, s33, v11
	v_mov_b32_e32 v11, v1
	s_and_saveexec_b64 s[4:5], vcc
	s_cbranch_execz .LBB6698_27
; %bb.26:
	v_mov_b32_e32 v11, s23
	v_add_co_u32_e32 v12, vcc, s22, v108
	v_addc_co_u32_e32 v13, vcc, 0, v11, vcc
	flat_load_ushort v11, v[12:13] offset:1152
.LBB6698_27:
	s_or_b64 exec, exec, s[4:5]
	v_or_b32_e32 v12, 0x280, v0
	v_cmp_gt_u32_e32 vcc, s33, v12
	v_mov_b32_e32 v12, v1
	s_and_saveexec_b64 s[4:5], vcc
	s_cbranch_execz .LBB6698_29
; %bb.28:
	v_mov_b32_e32 v13, s23
	v_add_co_u32_e32 v12, vcc, s22, v108
	v_addc_co_u32_e32 v13, vcc, 0, v13, vcc
	flat_load_ushort v12, v[12:13] offset:1280
.LBB6698_29:
	s_or_b64 exec, exec, s[4:5]
	v_or_b32_e32 v13, 0x2c0, v0
	v_cmp_gt_u32_e32 vcc, s33, v13
	v_mov_b32_e32 v13, v1
	s_and_saveexec_b64 s[4:5], vcc
	s_cbranch_execz .LBB6698_31
; %bb.30:
	v_mov_b32_e32 v13, s23
	v_add_co_u32_e32 v14, vcc, s22, v108
	v_addc_co_u32_e32 v15, vcc, 0, v13, vcc
	flat_load_ushort v13, v[14:15] offset:1408
.LBB6698_31:
	s_or_b64 exec, exec, s[4:5]
	v_or_b32_e32 v14, 0x300, v0
	v_cmp_gt_u32_e32 vcc, s33, v14
	v_mov_b32_e32 v14, v1
	s_and_saveexec_b64 s[4:5], vcc
	s_cbranch_execz .LBB6698_33
; %bb.32:
	v_mov_b32_e32 v15, s23
	v_add_co_u32_e32 v14, vcc, s22, v108
	v_addc_co_u32_e32 v15, vcc, 0, v15, vcc
	flat_load_ushort v14, v[14:15] offset:1536
.LBB6698_33:
	s_or_b64 exec, exec, s[4:5]
	v_or_b32_e32 v15, 0x340, v0
	v_cmp_gt_u32_e32 vcc, s33, v15
	v_mov_b32_e32 v15, v1
	s_and_saveexec_b64 s[4:5], vcc
	s_cbranch_execz .LBB6698_35
; %bb.34:
	v_mov_b32_e32 v15, s23
	v_add_co_u32_e32 v16, vcc, s22, v108
	v_addc_co_u32_e32 v17, vcc, 0, v15, vcc
	flat_load_ushort v15, v[16:17] offset:1664
.LBB6698_35:
	s_or_b64 exec, exec, s[4:5]
	v_or_b32_e32 v16, 0x380, v0
	v_cmp_gt_u32_e32 vcc, s33, v16
	v_mov_b32_e32 v16, v1
	s_and_saveexec_b64 s[4:5], vcc
	s_cbranch_execz .LBB6698_37
; %bb.36:
	v_mov_b32_e32 v17, s23
	v_add_co_u32_e32 v16, vcc, s22, v108
	v_addc_co_u32_e32 v17, vcc, 0, v17, vcc
	flat_load_ushort v16, v[16:17] offset:1792
.LBB6698_37:
	s_or_b64 exec, exec, s[4:5]
	v_or_b32_e32 v17, 0x3c0, v0
	v_cmp_gt_u32_e32 vcc, s33, v17
	v_mov_b32_e32 v17, v1
	s_and_saveexec_b64 s[4:5], vcc
	s_cbranch_execz .LBB6698_39
; %bb.38:
	v_mov_b32_e32 v17, s23
	v_add_co_u32_e32 v18, vcc, s22, v108
	v_addc_co_u32_e32 v19, vcc, 0, v17, vcc
	flat_load_ushort v17, v[18:19] offset:1920
.LBB6698_39:
	s_or_b64 exec, exec, s[4:5]
	v_or_b32_e32 v18, 0x400, v0
	v_cmp_gt_u32_e32 vcc, s33, v18
	v_mov_b32_e32 v18, v1
	s_and_saveexec_b64 s[4:5], vcc
	s_cbranch_execz .LBB6698_41
; %bb.40:
	v_mov_b32_e32 v19, s23
	v_add_co_u32_e32 v18, vcc, s22, v108
	v_addc_co_u32_e32 v19, vcc, 0, v19, vcc
	flat_load_ushort v18, v[18:19] offset:2048
.LBB6698_41:
	s_or_b64 exec, exec, s[4:5]
	v_or_b32_e32 v19, 0x440, v0
	v_cmp_gt_u32_e32 vcc, s33, v19
	v_mov_b32_e32 v19, v1
	s_and_saveexec_b64 s[4:5], vcc
	s_cbranch_execz .LBB6698_43
; %bb.42:
	v_mov_b32_e32 v19, s23
	v_add_co_u32_e32 v20, vcc, s22, v108
	v_addc_co_u32_e32 v21, vcc, 0, v19, vcc
	flat_load_ushort v19, v[20:21] offset:2176
.LBB6698_43:
	s_or_b64 exec, exec, s[4:5]
	v_or_b32_e32 v20, 0x480, v0
	v_cmp_gt_u32_e32 vcc, s33, v20
	v_mov_b32_e32 v20, v1
	s_and_saveexec_b64 s[4:5], vcc
	s_cbranch_execz .LBB6698_45
; %bb.44:
	v_mov_b32_e32 v21, s23
	v_add_co_u32_e32 v20, vcc, s22, v108
	v_addc_co_u32_e32 v21, vcc, 0, v21, vcc
	flat_load_ushort v20, v[20:21] offset:2304
.LBB6698_45:
	s_or_b64 exec, exec, s[4:5]
	v_or_b32_e32 v21, 0x4c0, v0
	v_cmp_gt_u32_e32 vcc, s33, v21
	v_mov_b32_e32 v21, v1
	s_and_saveexec_b64 s[4:5], vcc
	s_cbranch_execz .LBB6698_47
; %bb.46:
	v_mov_b32_e32 v21, s23
	v_add_co_u32_e32 v22, vcc, s22, v108
	v_addc_co_u32_e32 v23, vcc, 0, v21, vcc
	flat_load_ushort v21, v[22:23] offset:2432
.LBB6698_47:
	s_or_b64 exec, exec, s[4:5]
	v_or_b32_e32 v22, 0x500, v0
	v_cmp_gt_u32_e32 vcc, s33, v22
	v_mov_b32_e32 v22, v1
	s_and_saveexec_b64 s[4:5], vcc
	s_cbranch_execz .LBB6698_49
; %bb.48:
	v_mov_b32_e32 v23, s23
	v_add_co_u32_e32 v22, vcc, s22, v108
	v_addc_co_u32_e32 v23, vcc, 0, v23, vcc
	flat_load_ushort v22, v[22:23] offset:2560
.LBB6698_49:
	s_or_b64 exec, exec, s[4:5]
	v_or_b32_e32 v23, 0x540, v0
	v_cmp_gt_u32_e32 vcc, s33, v23
	v_mov_b32_e32 v23, v1
	s_and_saveexec_b64 s[4:5], vcc
	s_cbranch_execz .LBB6698_51
; %bb.50:
	v_mov_b32_e32 v23, s23
	v_add_co_u32_e32 v24, vcc, s22, v108
	v_addc_co_u32_e32 v25, vcc, 0, v23, vcc
	flat_load_ushort v23, v[24:25] offset:2688
.LBB6698_51:
	s_or_b64 exec, exec, s[4:5]
	v_or_b32_e32 v24, 0x580, v0
	v_cmp_gt_u32_e32 vcc, s33, v24
	v_mov_b32_e32 v24, v1
	s_and_saveexec_b64 s[4:5], vcc
	s_cbranch_execz .LBB6698_53
; %bb.52:
	v_mov_b32_e32 v25, s23
	v_add_co_u32_e32 v24, vcc, s22, v108
	v_addc_co_u32_e32 v25, vcc, 0, v25, vcc
	flat_load_ushort v24, v[24:25] offset:2816
.LBB6698_53:
	s_or_b64 exec, exec, s[4:5]
	v_or_b32_e32 v25, 0x5c0, v0
	v_cmp_gt_u32_e32 vcc, s33, v25
	s_and_saveexec_b64 s[4:5], vcc
	s_cbranch_execz .LBB6698_55
; %bb.54:
	v_mov_b32_e32 v1, s23
	v_add_co_u32_e32 v26, vcc, s22, v108
	v_addc_co_u32_e32 v27, vcc, 0, v1, vcc
	flat_load_ushort v1, v[26:27] offset:2944
.LBB6698_55:
	s_or_b64 exec, exec, s[4:5]
	s_waitcnt vmcnt(0) lgkmcnt(0)
	ds_write_b16 v108, v2
	ds_write_b16 v108, v3 offset:128
	ds_write_b16 v108, v4 offset:256
	;; [unrolled: 1-line block ×23, first 2 shown]
	s_waitcnt lgkmcnt(0)
	; wave barrier
.LBB6698_56:
	v_mul_u32_u24_e32 v109, 24, v0
	v_lshlrev_b32_e32 v1, 1, v109
	s_waitcnt lgkmcnt(0)
	ds_read_b128 v[2:5], v1
	ds_read_b128 v[6:9], v1 offset:16
	ds_read_b128 v[50:53], v1 offset:32
	s_cmp_lg_u32 s41, 0
	v_mbcnt_lo_u32_b32 v110, -1, 0
	s_waitcnt lgkmcnt(2)
	v_lshrrev_b32_e32 v10, 16, v2
	v_lshrrev_b32_e32 v11, 16, v3
	v_lshrrev_b32_e32 v12, 16, v4
	v_lshrrev_b32_e32 v13, 16, v5
	s_waitcnt lgkmcnt(1)
	v_lshrrev_b32_e32 v14, 16, v6
	v_lshrrev_b32_e32 v15, 16, v7
	v_lshrrev_b32_e32 v16, 16, v8
	v_lshrrev_b32_e32 v17, 16, v9
	s_waitcnt lgkmcnt(0)
	v_lshrrev_b32_e32 v19, 16, v50
	v_lshrrev_b32_e32 v21, 16, v51
	v_lshrrev_b32_e32 v23, 16, v52
	v_lshrrev_b32_e32 v25, 16, v53
	v_bfe_i32 v48, v10, 0, 16
	v_bfe_i32 v46, v3, 0, 16
	;; [unrolled: 1-line block ×23, first 2 shown]
	s_waitcnt lgkmcnt(0)
	; wave barrier
	s_cbranch_scc0 .LBB6698_124
; %bb.57:
	v_bfe_i32 v62, v2, 0, 16
	v_ashrrev_i32_e32 v63, 31, v62
	v_lshlrev_b64 v[68:69], 1, v[62:63]
	v_ashrrev_i32_e32 v49, 31, v48
	v_mov_b32_e32 v3, s25
	v_add_co_u32_e32 v5, vcc, s24, v68
	v_addc_co_u32_e32 v3, vcc, v3, v69, vcc
	v_lshlrev_b64 v[50:51], 1, v[48:49]
	v_add_co_u32_e32 v52, vcc, v5, v50
	v_addc_co_u32_e32 v53, vcc, v3, v51, vcc
	global_load_ushort v3, v[52:53], off
	v_ashrrev_i32_e32 v47, 31, v46
	v_mov_b32_e32 v5, s25
	v_lshlrev_b64 v[52:53], 1, v[46:47]
	v_ashrrev_i32_e32 v45, 31, v44
	v_ashrrev_i32_e32 v43, 31, v42
	;; [unrolled: 1-line block ×20, first 2 shown]
	s_waitcnt vmcnt(0)
	v_bfe_i32 v54, v3, 0, 16
	v_ashrrev_i32_e32 v55, 31, v54
	v_lshlrev_b64 v[54:55], 1, v[54:55]
	v_add_co_u32_e32 v3, vcc, s24, v54
	v_addc_co_u32_e32 v5, vcc, v5, v55, vcc
	v_add_co_u32_e32 v54, vcc, v3, v52
	v_addc_co_u32_e32 v55, vcc, v5, v53, vcc
	global_load_ushort v3, v[54:55], off
	v_mov_b32_e32 v5, s25
	v_lshlrev_b64 v[54:55], 1, v[44:45]
	s_waitcnt vmcnt(0)
	v_bfe_i32 v56, v3, 0, 16
	v_ashrrev_i32_e32 v57, 31, v56
	v_lshlrev_b64 v[56:57], 1, v[56:57]
	v_add_co_u32_e32 v3, vcc, s24, v56
	v_addc_co_u32_e32 v5, vcc, v5, v57, vcc
	v_add_co_u32_e32 v56, vcc, v3, v54
	v_addc_co_u32_e32 v57, vcc, v5, v55, vcc
	global_load_ushort v3, v[56:57], off
	v_mov_b32_e32 v5, s25
	v_lshlrev_b64 v[56:57], 1, v[42:43]
	;; [unrolled: 11-line block ×14, first 2 shown]
	v_mbcnt_hi_u32_b32 v19, -1, v110
	s_waitcnt vmcnt(0)
	v_bfe_i32 v86, v3, 0, 16
	v_ashrrev_i32_e32 v87, 31, v86
	v_lshlrev_b64 v[86:87], 1, v[86:87]
	v_add_co_u32_e32 v3, vcc, s24, v86
	v_addc_co_u32_e32 v5, vcc, v5, v87, vcc
	v_add_co_u32_e32 v86, vcc, v3, v84
	v_addc_co_u32_e32 v87, vcc, v5, v85, vcc
	global_load_ushort v3, v[86:87], off
	v_mov_b32_e32 v5, s25
	v_lshlrev_b64 v[86:87], 1, v[16:17]
	s_waitcnt vmcnt(0)
	v_bfe_i32 v88, v3, 0, 16
	v_ashrrev_i32_e32 v89, 31, v88
	v_lshlrev_b64 v[88:89], 1, v[88:89]
	v_add_co_u32_e32 v3, vcc, s24, v88
	v_addc_co_u32_e32 v5, vcc, v5, v89, vcc
	v_add_co_u32_e32 v88, vcc, v3, v86
	v_addc_co_u32_e32 v89, vcc, v5, v87, vcc
	global_load_ushort v3, v[88:89], off
	v_mov_b32_e32 v5, s25
	v_lshlrev_b64 v[88:89], 1, v[14:15]
	;; [unrolled: 11-line block ×6, first 2 shown]
	v_mov_b32_e32 v7, s25
	s_waitcnt vmcnt(0)
	v_bfe_i32 v98, v3, 0, 16
	v_ashrrev_i32_e32 v99, 31, v98
	v_lshlrev_b64 v[98:99], 1, v[98:99]
	v_add_co_u32_e32 v3, vcc, s24, v98
	v_addc_co_u32_e32 v5, vcc, v5, v99, vcc
	v_add_co_u32_e32 v98, vcc, v3, v96
	v_addc_co_u32_e32 v99, vcc, v5, v97, vcc
	global_load_ushort v3, v[98:99], off
	v_ashrrev_i32_e32 v5, 31, v4
	v_lshlrev_b64 v[98:99], 1, v[4:5]
	s_waitcnt vmcnt(0)
	v_bfe_i32 v100, v3, 0, 16
	v_ashrrev_i32_e32 v101, 31, v100
	v_lshlrev_b64 v[100:101], 1, v[100:101]
	v_add_co_u32_e32 v3, vcc, s24, v100
	v_addc_co_u32_e32 v5, vcc, v7, v101, vcc
	v_add_co_u32_e32 v100, vcc, v3, v98
	v_addc_co_u32_e32 v101, vcc, v5, v99, vcc
	global_load_ushort v3, v[100:101], off
	v_and_b32_e32 v5, 15, v19
	v_cmp_ne_u32_e32 vcc, 0, v5
	s_waitcnt vmcnt(0)
	v_and_b32_e32 v7, 0xffff, v3
	s_nop 1
	v_mov_b32_dpp v9, v7 row_shr:1 row_mask:0xf bank_mask:0xf
	s_and_saveexec_b64 s[4:5], vcc
	s_cbranch_execz .LBB6698_59
; %bb.58:
	v_lshlrev_b32_e32 v101, 16, v9
	v_mov_b32_e32 v100, 0
	v_ashrrev_i64 v[100:101], 47, v[100:101]
	v_mov_b32_e32 v7, s25
	v_add_co_u32_e32 v9, vcc, s24, v100
	v_bfe_i32 v100, v3, 0, 16
	v_addc_co_u32_e32 v7, vcc, v7, v101, vcc
	v_ashrrev_i32_e32 v101, 31, v100
	v_lshlrev_b64 v[100:101], 1, v[100:101]
	v_add_co_u32_e32 v100, vcc, v9, v100
	v_addc_co_u32_e32 v101, vcc, v7, v101, vcc
	global_load_ushort v3, v[100:101], off
	s_waitcnt vmcnt(0)
	v_and_b32_e32 v7, 0xffff, v3
.LBB6698_59:
	s_or_b64 exec, exec, s[4:5]
	s_nop 0
	v_mov_b32_dpp v9, v7 row_shr:2 row_mask:0xf bank_mask:0xf
	v_cmp_lt_u32_e32 vcc, 1, v5
	s_and_saveexec_b64 s[4:5], vcc
	s_cbranch_execz .LBB6698_61
; %bb.60:
	v_lshlrev_b32_e32 v101, 16, v9
	v_mov_b32_e32 v100, 0
	v_ashrrev_i64 v[100:101], 47, v[100:101]
	v_mov_b32_e32 v7, s25
	v_add_co_u32_e32 v9, vcc, s24, v100
	v_bfe_i32 v100, v3, 0, 16
	v_addc_co_u32_e32 v7, vcc, v7, v101, vcc
	v_ashrrev_i32_e32 v101, 31, v100
	v_lshlrev_b64 v[100:101], 1, v[100:101]
	v_add_co_u32_e32 v100, vcc, v9, v100
	v_addc_co_u32_e32 v101, vcc, v7, v101, vcc
	global_load_ushort v3, v[100:101], off
	s_waitcnt vmcnt(0)
	v_and_b32_e32 v7, 0xffff, v3
.LBB6698_61:
	s_or_b64 exec, exec, s[4:5]
	s_nop 0
	v_mov_b32_dpp v9, v7 row_shr:4 row_mask:0xf bank_mask:0xf
	v_cmp_lt_u32_e32 vcc, 3, v5
	;; [unrolled: 22-line block ×3, first 2 shown]
	s_and_saveexec_b64 s[4:5], vcc
	s_cbranch_execz .LBB6698_65
; %bb.64:
	v_lshlrev_b32_e32 v101, 16, v9
	v_mov_b32_e32 v100, 0
	v_ashrrev_i64 v[100:101], 47, v[100:101]
	v_mov_b32_e32 v5, s25
	v_add_co_u32_e32 v7, vcc, s24, v100
	v_bfe_i32 v100, v3, 0, 16
	v_addc_co_u32_e32 v5, vcc, v5, v101, vcc
	v_ashrrev_i32_e32 v101, 31, v100
	v_lshlrev_b64 v[100:101], 1, v[100:101]
	v_add_co_u32_e32 v100, vcc, v7, v100
	v_addc_co_u32_e32 v101, vcc, v5, v101, vcc
	global_load_ushort v3, v[100:101], off
	s_waitcnt vmcnt(0)
	v_and_b32_e32 v7, 0xffff, v3
.LBB6698_65:
	s_or_b64 exec, exec, s[4:5]
	v_and_b32_e32 v9, 16, v19
	v_mov_b32_dpp v5, v7 row_bcast:15 row_mask:0xf bank_mask:0xf
	v_cmp_ne_u32_e32 vcc, 0, v9
	s_and_saveexec_b64 s[4:5], vcc
	s_cbranch_execz .LBB6698_67
; %bb.66:
	v_lshlrev_b32_e32 v101, 16, v5
	v_mov_b32_e32 v100, 0
	v_ashrrev_i64 v[100:101], 47, v[100:101]
	v_mov_b32_e32 v5, s25
	v_add_co_u32_e32 v7, vcc, s24, v100
	v_bfe_i32 v100, v3, 0, 16
	v_addc_co_u32_e32 v5, vcc, v5, v101, vcc
	v_ashrrev_i32_e32 v101, 31, v100
	v_lshlrev_b64 v[100:101], 1, v[100:101]
	v_add_co_u32_e32 v100, vcc, v7, v100
	v_addc_co_u32_e32 v101, vcc, v5, v101, vcc
	global_load_ushort v3, v[100:101], off
	s_waitcnt vmcnt(0)
	v_and_b32_e32 v7, 0xffff, v3
.LBB6698_67:
	s_or_b64 exec, exec, s[4:5]
	s_nop 0
	v_mov_b32_dpp v5, v7 row_bcast:31 row_mask:0xf bank_mask:0xf
	v_cmp_lt_u32_e32 vcc, 31, v19
	s_and_saveexec_b64 s[4:5], vcc
	s_cbranch_execz .LBB6698_69
; %bb.68:
	v_lshlrev_b32_e32 v101, 16, v5
	v_mov_b32_e32 v100, 0
	v_ashrrev_i64 v[100:101], 47, v[100:101]
	v_mov_b32_e32 v5, s25
	v_add_co_u32_e32 v7, vcc, s24, v100
	v_bfe_i32 v100, v3, 0, 16
	v_addc_co_u32_e32 v5, vcc, v5, v101, vcc
	v_ashrrev_i32_e32 v101, 31, v100
	v_lshlrev_b64 v[100:101], 1, v[100:101]
	v_add_co_u32_e32 v100, vcc, v7, v100
	v_addc_co_u32_e32 v101, vcc, v5, v101, vcc
	global_load_ushort v3, v[100:101], off
.LBB6698_69:
	s_or_b64 exec, exec, s[4:5]
	v_cmp_eq_u32_e32 vcc, 63, v0
	s_and_saveexec_b64 s[4:5], vcc
	s_cbranch_execz .LBB6698_71
; %bb.70:
	v_mov_b32_e32 v5, 0
	s_waitcnt vmcnt(0)
	ds_write_b16 v5, v3
.LBB6698_71:
	s_or_b64 exec, exec, s[4:5]
	v_add_u32_e32 v5, -1, v19
	v_and_b32_e32 v7, 64, v19
	v_cmp_lt_i32_e32 vcc, v5, v7
	v_cndmask_b32_e32 v5, v5, v19, vcc
	s_waitcnt vmcnt(0)
	v_and_b32_e32 v3, 0xffff, v3
	v_lshlrev_b32_e32 v5, 2, v5
	ds_bpermute_b32 v3, v5, v3
	v_cmp_gt_u32_e32 vcc, 64, v0
	s_waitcnt lgkmcnt(0)
	; wave barrier
	s_waitcnt lgkmcnt(0)
	s_and_saveexec_b64 s[22:23], vcc
	s_cbranch_execz .LBB6698_121
; %bb.72:
	v_mov_b32_e32 v107, 0
	ds_read_u16 v100, v107
	s_mov_b32 s31, 0
	v_cmp_eq_u32_e64 s[4:5], 0, v19
	s_and_saveexec_b64 s[28:29], s[4:5]
	s_cbranch_execz .LBB6698_74
; %bb.73:
	s_add_i32 s30, s41, 64
	s_lshl_b64 s[30:31], s[30:31], 2
	s_add_u32 s30, s26, s30
	s_waitcnt lgkmcnt(0)
	v_or_b32_e32 v5, 0x10000, v100
	s_addc_u32 s31, s27, s31
	global_store_dword v107, v5, s[30:31]
.LBB6698_74:
	s_or_b64 exec, exec, s[28:29]
	v_xad_u32 v102, v19, -1, s41
	v_add_u32_e32 v106, 64, v102
	v_lshlrev_b64 v[104:105], 2, v[106:107]
	v_mov_b32_e32 v5, s27
	v_add_co_u32_e32 v104, vcc, s26, v104
	v_addc_co_u32_e32 v105, vcc, v5, v105, vcc
	global_load_dword v35, v[104:105], off glc
	s_waitcnt vmcnt(0)
	v_lshrrev_b32_e32 v9, 16, v35
	v_cmp_eq_u16_sdwa s[30:31], v9, v107 src0_sel:BYTE_0 src1_sel:DWORD
	s_and_saveexec_b64 s[28:29], s[30:31]
	s_cbranch_execz .LBB6698_80
; %bb.75:
	s_mov_b32 s34, 1
	s_mov_b64 s[30:31], 0
	v_mov_b32_e32 v5, 0
.LBB6698_76:                            ; =>This Loop Header: Depth=1
                                        ;     Child Loop BB6698_77 Depth 2
	s_max_u32 s35, s34, 1
.LBB6698_77:                            ;   Parent Loop BB6698_76 Depth=1
                                        ; =>  This Inner Loop Header: Depth=2
	s_add_i32 s35, s35, -1
	s_cmp_eq_u32 s35, 0
	s_sleep 1
	s_cbranch_scc0 .LBB6698_77
; %bb.78:                               ;   in Loop: Header=BB6698_76 Depth=1
	global_load_dword v35, v[104:105], off glc
	s_cmp_lt_u32 s34, 32
	s_cselect_b64 s[36:37], -1, 0
	s_cmp_lg_u64 s[36:37], 0
	s_addc_u32 s34, s34, 0
	s_waitcnt vmcnt(0)
	v_lshrrev_b32_e32 v9, 16, v35
	v_cmp_ne_u16_sdwa s[36:37], v9, v5 src0_sel:BYTE_0 src1_sel:DWORD
	s_or_b64 s[30:31], s[36:37], s[30:31]
	s_andn2_b64 exec, exec, s[30:31]
	s_cbranch_execnz .LBB6698_76
; %bb.79:
	s_or_b64 exec, exec, s[30:31]
.LBB6698_80:
	s_or_b64 exec, exec, s[28:29]
	v_mov_b32_e32 v5, 2
	v_cmp_eq_u16_sdwa s[28:29], v9, v5 src0_sel:BYTE_0 src1_sel:DWORD
	v_lshlrev_b64 v[104:105], v19, -1
	v_and_b32_e32 v5, s29, v105
	v_or_b32_e32 v5, 0x80000000, v5
	v_ffbl_b32_e32 v15, v5
	v_and_b32_e32 v5, 63, v19
	v_cmp_ne_u32_e32 vcc, 63, v5
	v_addc_co_u32_e32 v7, vcc, 0, v19, vcc
	v_and_b32_e32 v29, 0xffff, v35
	v_lshlrev_b32_e32 v7, 2, v7
	ds_bpermute_b32 v11, v7, v29
	v_and_b32_e32 v13, s28, v104
	v_add_u32_e32 v15, 32, v15
	v_ffbl_b32_e32 v13, v13
	v_min_u32_e32 v31, v13, v15
	v_cmp_lt_u32_e32 vcc, v5, v31
	s_and_saveexec_b64 s[28:29], vcc
	s_cbranch_execz .LBB6698_82
; %bb.81:
	s_waitcnt lgkmcnt(0)
	v_lshlrev_b32_e32 v107, 16, v11
	v_mov_b32_e32 v106, 0
	v_ashrrev_i64 v[106:107], 47, v[106:107]
	v_mov_b32_e32 v11, s25
	v_add_co_u32_e32 v13, vcc, s24, v106
	v_bfe_i32 v106, v35, 0, 16
	v_addc_co_u32_e32 v11, vcc, v11, v107, vcc
	v_ashrrev_i32_e32 v107, 31, v106
	v_lshlrev_b64 v[106:107], 1, v[106:107]
	v_add_co_u32_e32 v106, vcc, v13, v106
	v_addc_co_u32_e32 v107, vcc, v11, v107, vcc
	global_load_ushort v35, v[106:107], off
	s_waitcnt vmcnt(0)
	v_and_b32_e32 v29, 0xffff, v35
.LBB6698_82:
	s_or_b64 exec, exec, s[28:29]
	v_cmp_gt_u32_e32 vcc, 62, v5
	s_waitcnt lgkmcnt(0)
	v_cndmask_b32_e64 v11, 0, 1, vcc
	v_lshlrev_b32_e32 v11, 1, v11
	v_add_lshl_u32 v11, v11, v19, 2
	ds_bpermute_b32 v15, v11, v29
	v_add_u32_e32 v13, 2, v5
	v_cmp_le_u32_e32 vcc, v13, v31
	s_and_saveexec_b64 s[28:29], vcc
	s_cbranch_execz .LBB6698_84
; %bb.83:
	s_waitcnt lgkmcnt(0)
	v_lshlrev_b32_e32 v107, 16, v15
	v_mov_b32_e32 v106, 0
	v_ashrrev_i64 v[106:107], 47, v[106:107]
	v_mov_b32_e32 v15, s25
	v_add_co_u32_e32 v17, vcc, s24, v106
	v_bfe_i32 v106, v35, 0, 16
	v_addc_co_u32_e32 v15, vcc, v15, v107, vcc
	v_ashrrev_i32_e32 v107, 31, v106
	v_lshlrev_b64 v[106:107], 1, v[106:107]
	v_add_co_u32_e32 v106, vcc, v17, v106
	v_addc_co_u32_e32 v107, vcc, v15, v107, vcc
	global_load_ushort v35, v[106:107], off
	s_waitcnt vmcnt(0)
	v_and_b32_e32 v29, 0xffff, v35
.LBB6698_84:
	s_or_b64 exec, exec, s[28:29]
	v_cmp_gt_u32_e32 vcc, 60, v5
	s_waitcnt lgkmcnt(0)
	v_cndmask_b32_e64 v15, 0, 1, vcc
	v_lshlrev_b32_e32 v15, 2, v15
	v_add_lshl_u32 v15, v15, v19, 2
	ds_bpermute_b32 v21, v15, v29
	v_add_u32_e32 v17, 4, v5
	v_cmp_le_u32_e32 vcc, v17, v31
	s_and_saveexec_b64 s[28:29], vcc
	s_cbranch_execz .LBB6698_86
; %bb.85:
	s_waitcnt lgkmcnt(0)
	v_lshlrev_b32_e32 v107, 16, v21
	v_mov_b32_e32 v106, 0
	v_ashrrev_i64 v[106:107], 47, v[106:107]
	v_mov_b32_e32 v21, s25
	v_add_co_u32_e32 v23, vcc, s24, v106
	v_bfe_i32 v106, v35, 0, 16
	v_addc_co_u32_e32 v21, vcc, v21, v107, vcc
	v_ashrrev_i32_e32 v107, 31, v106
	v_lshlrev_b64 v[106:107], 1, v[106:107]
	v_add_co_u32_e32 v106, vcc, v23, v106
	v_addc_co_u32_e32 v107, vcc, v21, v107, vcc
	global_load_ushort v35, v[106:107], off
	s_waitcnt vmcnt(0)
	v_and_b32_e32 v29, 0xffff, v35
.LBB6698_86:
	s_or_b64 exec, exec, s[28:29]
	v_cmp_gt_u32_e32 vcc, 56, v5
	s_waitcnt lgkmcnt(0)
	v_cndmask_b32_e64 v21, 0, 1, vcc
	v_lshlrev_b32_e32 v21, 3, v21
	v_add_lshl_u32 v21, v21, v19, 2
	ds_bpermute_b32 v25, v21, v29
	v_add_u32_e32 v23, 8, v5
	v_cmp_le_u32_e32 vcc, v23, v31
	s_and_saveexec_b64 s[28:29], vcc
	s_cbranch_execz .LBB6698_88
; %bb.87:
	s_waitcnt lgkmcnt(0)
	v_lshlrev_b32_e32 v107, 16, v25
	v_mov_b32_e32 v106, 0
	v_ashrrev_i64 v[106:107], 47, v[106:107]
	v_mov_b32_e32 v25, s25
	v_add_co_u32_e32 v27, vcc, s24, v106
	v_bfe_i32 v106, v35, 0, 16
	v_addc_co_u32_e32 v25, vcc, v25, v107, vcc
	v_ashrrev_i32_e32 v107, 31, v106
	v_lshlrev_b64 v[106:107], 1, v[106:107]
	v_add_co_u32_e32 v106, vcc, v27, v106
	v_addc_co_u32_e32 v107, vcc, v25, v107, vcc
	global_load_ushort v35, v[106:107], off
	s_waitcnt vmcnt(0)
	v_and_b32_e32 v29, 0xffff, v35
.LBB6698_88:
	s_or_b64 exec, exec, s[28:29]
	v_cmp_gt_u32_e32 vcc, 48, v5
	s_waitcnt lgkmcnt(0)
	v_cndmask_b32_e64 v25, 0, 1, vcc
	v_lshlrev_b32_e32 v25, 4, v25
	v_add_lshl_u32 v25, v25, v19, 2
	ds_bpermute_b32 v33, v25, v29
	v_add_u32_e32 v27, 16, v5
	v_cmp_le_u32_e32 vcc, v27, v31
	s_and_saveexec_b64 s[28:29], vcc
	s_cbranch_execz .LBB6698_90
; %bb.89:
	s_waitcnt lgkmcnt(0)
	v_lshlrev_b32_e32 v107, 16, v33
	v_mov_b32_e32 v106, 0
	v_ashrrev_i64 v[106:107], 47, v[106:107]
	v_mov_b32_e32 v29, s25
	v_add_co_u32_e32 v33, vcc, s24, v106
	v_bfe_i32 v106, v35, 0, 16
	v_addc_co_u32_e32 v29, vcc, v29, v107, vcc
	v_ashrrev_i32_e32 v107, 31, v106
	v_lshlrev_b64 v[106:107], 1, v[106:107]
	v_add_co_u32_e32 v106, vcc, v33, v106
	v_addc_co_u32_e32 v107, vcc, v29, v107, vcc
	global_load_ushort v35, v[106:107], off
	s_waitcnt vmcnt(0)
	v_and_b32_e32 v29, 0xffff, v35
.LBB6698_90:
	s_or_b64 exec, exec, s[28:29]
	v_cmp_gt_u32_e32 vcc, 32, v5
	s_waitcnt lgkmcnt(0)
	v_cndmask_b32_e64 v33, 0, 1, vcc
	v_lshlrev_b32_e32 v33, 5, v33
	v_add_lshl_u32 v19, v33, v19, 2
	ds_bpermute_b32 v33, v19, v29
	v_add_u32_e32 v29, 32, v5
	v_cmp_le_u32_e32 vcc, v29, v31
	s_mov_b64 s[28:29], -1
                                        ; implicit-def: $vgpr106_vgpr107
	s_and_saveexec_b64 s[30:31], vcc
	s_cbranch_execz .LBB6698_92
; %bb.91:
	s_waitcnt lgkmcnt(0)
	v_lshlrev_b32_e32 v107, 16, v33
	v_mov_b32_e32 v106, 0
	v_ashrrev_i64 v[106:107], 47, v[106:107]
	v_mov_b32_e32 v31, s25
	v_add_co_u32_e32 v33, vcc, s24, v106
	v_bfe_i32 v106, v35, 0, 16
	v_addc_co_u32_e32 v31, vcc, v31, v107, vcc
	v_ashrrev_i32_e32 v107, 31, v106
	v_lshlrev_b64 v[106:107], 1, v[106:107]
	v_add_co_u32_e32 v106, vcc, v33, v106
	v_addc_co_u32_e32 v107, vcc, v31, v107, vcc
	s_xor_b64 s[28:29], exec, -1
                                        ; implicit-def: $vgpr35
.LBB6698_92:
	s_or_b64 exec, exec, s[30:31]
	s_mov_b64 s[30:31], 0
	v_mov_b32_e32 v103, 0
	s_waitcnt lgkmcnt(0)
	v_mov_b32_e32 v33, 2
                                        ; implicit-def: $sgpr34_sgpr35
	s_branch .LBB6698_94
.LBB6698_93:                            ;   in Loop: Header=BB6698_94 Depth=1
	s_or_b64 exec, exec, s[28:29]
	s_waitcnt vmcnt(0)
	v_bfe_i32 v106, v35, 0, 16
	v_ashrrev_i32_e32 v107, 31, v106
	v_bfe_i32 v112, v31, 0, 16
	v_lshlrev_b64 v[106:107], 1, v[106:107]
	v_ashrrev_i32_e32 v113, 31, v112
	v_mov_b32_e32 v35, s25
	v_add_co_u32_e32 v37, vcc, s24, v106
	v_addc_co_u32_e32 v35, vcc, v35, v107, vcc
	v_lshlrev_b64 v[106:107], 1, v[112:113]
	v_add_co_u32_e32 v106, vcc, v37, v106
	v_subrev_u32_e32 v102, 64, v102
	v_addc_co_u32_e32 v107, vcc, v35, v107, vcc
	s_mov_b64 s[28:29], 0
	s_mov_b64 s[30:31], 0
                                        ; implicit-def: $sgpr34_sgpr35
                                        ; implicit-def: $vgpr35
.LBB6698_94:                            ; =>This Loop Header: Depth=1
                                        ;     Child Loop BB6698_100 Depth 2
                                        ;       Child Loop BB6698_101 Depth 3
	s_waitcnt vmcnt(0)
	v_mov_b32_e32 v31, v35
	s_xor_b64 s[38:39], s[28:29], -1
	s_or_b64 s[34:35], s[34:35], exec
                                        ; implicit-def: $sgpr36_sgpr37
                                        ; implicit-def: $vgpr35
	s_and_saveexec_b64 s[42:43], s[38:39]
	s_xor_b64 s[38:39], exec, s[42:43]
	s_cbranch_execz .LBB6698_96
; %bb.95:                               ;   in Loop: Header=BB6698_94 Depth=1
	global_load_ushort v35, v[106:107], off
	s_mov_b64 s[36:37], -1
	s_andn2_b64 s[34:35], s[34:35], exec
                                        ; implicit-def: $sgpr28_sgpr29
.LBB6698_96:                            ;   in Loop: Header=BB6698_94 Depth=1
	s_or_b64 exec, exec, s[38:39]
	s_and_b64 s[38:39], exec, s[34:35]
	s_or_b64 s[30:31], s[38:39], s[30:31]
	s_andn2_b64 s[28:29], s[28:29], exec
	s_and_b64 s[36:37], s[36:37], exec
	s_or_b64 s[28:29], s[28:29], s[36:37]
	s_andn2_b64 exec, exec, s[30:31]
	s_cbranch_execnz .LBB6698_94
; %bb.97:                               ;   in Loop: Header=BB6698_94 Depth=1
	s_or_b64 exec, exec, s[30:31]
	v_cmp_ne_u16_sdwa s[28:29], v9, v33 src0_sel:BYTE_0 src1_sel:DWORD
	v_cndmask_b32_e64 v9, 0, 1, s[28:29]
	;;#ASMSTART
	;;#ASMEND
	v_cmp_ne_u32_e32 vcc, 0, v9
	s_cmp_lg_u64 vcc, exec
	s_cbranch_scc1 .LBB6698_116
; %bb.98:                               ;   in Loop: Header=BB6698_94 Depth=1
	v_lshlrev_b64 v[106:107], 2, v[102:103]
	v_mov_b32_e32 v9, s27
	v_add_co_u32_e32 v106, vcc, s26, v106
	v_addc_co_u32_e32 v107, vcc, v9, v107, vcc
	global_load_dword v35, v[106:107], off glc
	s_waitcnt vmcnt(0)
	v_lshrrev_b32_e32 v9, 16, v35
	v_cmp_eq_u16_sdwa s[30:31], v9, v103 src0_sel:BYTE_0 src1_sel:DWORD
	s_and_saveexec_b64 s[28:29], s[30:31]
	s_cbranch_execz .LBB6698_104
; %bb.99:                               ;   in Loop: Header=BB6698_94 Depth=1
	s_mov_b32 s34, 1
	s_mov_b64 s[30:31], 0
.LBB6698_100:                           ;   Parent Loop BB6698_94 Depth=1
                                        ; =>  This Loop Header: Depth=2
                                        ;       Child Loop BB6698_101 Depth 3
	s_max_u32 s35, s34, 1
.LBB6698_101:                           ;   Parent Loop BB6698_94 Depth=1
                                        ;     Parent Loop BB6698_100 Depth=2
                                        ; =>    This Inner Loop Header: Depth=3
	s_add_i32 s35, s35, -1
	s_cmp_eq_u32 s35, 0
	s_sleep 1
	s_cbranch_scc0 .LBB6698_101
; %bb.102:                              ;   in Loop: Header=BB6698_100 Depth=2
	global_load_dword v35, v[106:107], off glc
	s_cmp_lt_u32 s34, 32
	s_cselect_b64 s[36:37], -1, 0
	s_cmp_lg_u64 s[36:37], 0
	s_addc_u32 s34, s34, 0
	s_waitcnt vmcnt(0)
	v_lshrrev_b32_e32 v9, 16, v35
	v_cmp_ne_u16_sdwa s[36:37], v9, v103 src0_sel:BYTE_0 src1_sel:DWORD
	s_or_b64 s[30:31], s[36:37], s[30:31]
	s_andn2_b64 exec, exec, s[30:31]
	s_cbranch_execnz .LBB6698_100
; %bb.103:                              ;   in Loop: Header=BB6698_94 Depth=1
	s_or_b64 exec, exec, s[30:31]
.LBB6698_104:                           ;   in Loop: Header=BB6698_94 Depth=1
	s_or_b64 exec, exec, s[28:29]
	v_cmp_eq_u16_sdwa s[28:29], v9, v33 src0_sel:BYTE_0 src1_sel:DWORD
	v_and_b32_e32 v37, s29, v105
	s_waitcnt lgkmcnt(0)
	v_and_b32_e32 v39, 0xffff, v35
	v_or_b32_e32 v37, 0x80000000, v37
	ds_bpermute_b32 v41, v7, v39
	v_and_b32_e32 v43, s28, v104
	v_ffbl_b32_e32 v37, v37
	v_add_u32_e32 v37, 32, v37
	v_ffbl_b32_e32 v43, v43
	v_min_u32_e32 v37, v43, v37
	v_cmp_lt_u32_e32 vcc, v5, v37
	s_and_saveexec_b64 s[28:29], vcc
	s_cbranch_execz .LBB6698_106
; %bb.105:                              ;   in Loop: Header=BB6698_94 Depth=1
	s_waitcnt lgkmcnt(0)
	v_lshlrev_b32_e32 v107, 16, v41
	v_mov_b32_e32 v106, v103
	v_ashrrev_i64 v[106:107], 47, v[106:107]
	v_mov_b32_e32 v39, s25
	v_add_co_u32_e32 v41, vcc, s24, v106
	v_bfe_i32 v106, v35, 0, 16
	v_addc_co_u32_e32 v39, vcc, v39, v107, vcc
	v_ashrrev_i32_e32 v107, 31, v106
	v_lshlrev_b64 v[106:107], 1, v[106:107]
	v_add_co_u32_e32 v106, vcc, v41, v106
	v_addc_co_u32_e32 v107, vcc, v39, v107, vcc
	global_load_ushort v35, v[106:107], off
	s_waitcnt vmcnt(0)
	v_and_b32_e32 v39, 0xffff, v35
.LBB6698_106:                           ;   in Loop: Header=BB6698_94 Depth=1
	s_or_b64 exec, exec, s[28:29]
	s_waitcnt lgkmcnt(0)
	ds_bpermute_b32 v41, v11, v39
	v_cmp_le_u32_e32 vcc, v13, v37
	s_and_saveexec_b64 s[28:29], vcc
	s_cbranch_execz .LBB6698_108
; %bb.107:                              ;   in Loop: Header=BB6698_94 Depth=1
	s_waitcnt lgkmcnt(0)
	v_lshlrev_b32_e32 v107, 16, v41
	v_mov_b32_e32 v106, v103
	v_ashrrev_i64 v[106:107], 47, v[106:107]
	v_mov_b32_e32 v39, s25
	v_add_co_u32_e32 v41, vcc, s24, v106
	v_bfe_i32 v106, v35, 0, 16
	v_addc_co_u32_e32 v39, vcc, v39, v107, vcc
	v_ashrrev_i32_e32 v107, 31, v106
	v_lshlrev_b64 v[106:107], 1, v[106:107]
	v_add_co_u32_e32 v106, vcc, v41, v106
	v_addc_co_u32_e32 v107, vcc, v39, v107, vcc
	global_load_ushort v35, v[106:107], off
	s_waitcnt vmcnt(0)
	v_and_b32_e32 v39, 0xffff, v35
.LBB6698_108:                           ;   in Loop: Header=BB6698_94 Depth=1
	s_or_b64 exec, exec, s[28:29]
	s_waitcnt lgkmcnt(0)
	ds_bpermute_b32 v41, v15, v39
	v_cmp_le_u32_e32 vcc, v17, v37
	;; [unrolled: 23-line block ×4, first 2 shown]
	s_and_saveexec_b64 s[28:29], vcc
	s_cbranch_execz .LBB6698_114
; %bb.113:                              ;   in Loop: Header=BB6698_94 Depth=1
	s_waitcnt lgkmcnt(0)
	v_lshlrev_b32_e32 v107, 16, v41
	v_mov_b32_e32 v106, v103
	v_ashrrev_i64 v[106:107], 47, v[106:107]
	v_mov_b32_e32 v39, s25
	v_add_co_u32_e32 v41, vcc, s24, v106
	v_bfe_i32 v106, v35, 0, 16
	v_addc_co_u32_e32 v39, vcc, v39, v107, vcc
	v_ashrrev_i32_e32 v107, 31, v106
	v_lshlrev_b64 v[106:107], 1, v[106:107]
	v_add_co_u32_e32 v106, vcc, v41, v106
	v_addc_co_u32_e32 v107, vcc, v39, v107, vcc
	global_load_ushort v35, v[106:107], off
	s_waitcnt vmcnt(0)
	v_and_b32_e32 v39, 0xffff, v35
.LBB6698_114:                           ;   in Loop: Header=BB6698_94 Depth=1
	s_or_b64 exec, exec, s[28:29]
	ds_bpermute_b32 v39, v19, v39
	v_cmp_le_u32_e32 vcc, v29, v37
	s_and_saveexec_b64 s[28:29], vcc
	s_cbranch_execz .LBB6698_93
; %bb.115:                              ;   in Loop: Header=BB6698_94 Depth=1
	s_waitcnt lgkmcnt(0)
	v_lshlrev_b32_e32 v107, 16, v39
	v_mov_b32_e32 v106, v103
	v_ashrrev_i64 v[106:107], 47, v[106:107]
	v_mov_b32_e32 v37, s25
	v_add_co_u32_e32 v39, vcc, s24, v106
	v_bfe_i32 v106, v35, 0, 16
	v_addc_co_u32_e32 v37, vcc, v37, v107, vcc
	v_ashrrev_i32_e32 v107, 31, v106
	v_lshlrev_b64 v[106:107], 1, v[106:107]
	v_add_co_u32_e32 v106, vcc, v39, v106
	v_addc_co_u32_e32 v107, vcc, v37, v107, vcc
	global_load_ushort v35, v[106:107], off
	s_branch .LBB6698_93
.LBB6698_116:                           ;   in Loop: Header=BB6698_94 Depth=1
	s_mov_b64 s[28:29], -1
                                        ; implicit-def: $vgpr106_vgpr107
                                        ; implicit-def: $vgpr9
	s_mov_b64 s[30:31], 0
                                        ; implicit-def: $sgpr34_sgpr35
                                        ; implicit-def: $vgpr35
	s_cbranch_execz .LBB6698_94
; %bb.117:
	s_and_saveexec_b64 s[28:29], s[4:5]
	s_cbranch_execz .LBB6698_119
; %bb.118:
	v_bfe_i32 v100, v100, 0, 16
	v_ashrrev_i32_e32 v101, 31, v100
	v_bfe_i32 v102, v31, 0, 16
	v_lshlrev_b64 v[100:101], 1, v[100:101]
	v_ashrrev_i32_e32 v103, 31, v102
	v_mov_b32_e32 v5, s25
	v_add_co_u32_e32 v7, vcc, s24, v100
	v_lshlrev_b64 v[102:103], 1, v[102:103]
	v_addc_co_u32_e32 v5, vcc, v101, v5, vcc
	v_add_co_u32_e32 v100, vcc, v7, v102
	v_addc_co_u32_e32 v101, vcc, v5, v103, vcc
	global_load_ushort v5, v[100:101], off
	s_add_i32 s4, s41, 64
	s_mov_b32 s5, 0
	s_lshl_b64 s[4:5], s[4:5], 2
	s_add_u32 s4, s26, s4
	s_addc_u32 s5, s27, s5
	v_mov_b32_e32 v7, 0
	s_waitcnt vmcnt(0)
	v_or_b32_e32 v5, 0x20000, v5
	global_store_dword v7, v5, s[4:5]
.LBB6698_119:
	s_or_b64 exec, exec, s[28:29]
	s_and_b64 exec, exec, s[2:3]
	s_cbranch_execz .LBB6698_121
; %bb.120:
	v_mov_b32_e32 v5, 0
	ds_write_b16 v5, v31
.LBB6698_121:
	s_or_b64 exec, exec, s[22:23]
	v_mov_b32_e32 v100, 0
	s_waitcnt lgkmcnt(0)
	; wave barrier
	s_waitcnt lgkmcnt(0)
	ds_read_u16 v5, v100
	s_waitcnt lgkmcnt(0)
	v_readfirstlane_b32 s22, v5
	s_and_saveexec_b64 s[4:5], s[0:1]
	s_cbranch_execz .LBB6698_123
; %bb.122:
	v_lshlrev_b32_e32 v101, 16, v3
	v_ashrrev_i64 v[62:63], 47, v[100:101]
	v_mov_b32_e32 v3, s25
	v_add_co_u32_e32 v5, vcc, s24, v62
	v_addc_co_u32_e32 v3, vcc, v3, v63, vcc
	v_add_co_u32_e32 v62, vcc, v5, v68
	v_addc_co_u32_e32 v63, vcc, v3, v69, vcc
	global_load_ushort v3, v[62:63], off
	s_waitcnt vmcnt(0)
	v_bfe_i32 v62, v3, 0, 16
	v_ashrrev_i32_e32 v63, 31, v62
.LBB6698_123:
	s_or_b64 exec, exec, s[4:5]
	s_sext_i32_i16 s4, s22
	s_ashr_i32 s5, s4, 31
	s_lshl_b64 s[4:5], s[4:5], 1
	s_add_u32 s4, s24, s4
	s_addc_u32 s5, s25, s5
	v_lshlrev_b64 v[62:63], 1, v[62:63]
	v_mov_b32_e32 v3, s5
	v_add_co_u32_e32 v62, vcc, s4, v62
	v_addc_co_u32_e32 v63, vcc, v3, v63, vcc
	global_load_ushort v62, v[62:63], off
	v_mov_b32_e32 v3, s25
	s_waitcnt vmcnt(0)
	v_bfe_i32 v68, v62, 0, 16
	v_ashrrev_i32_e32 v69, 31, v68
	v_lshlrev_b64 v[68:69], 1, v[68:69]
	v_add_co_u32_e32 v5, vcc, s24, v68
	v_addc_co_u32_e32 v3, vcc, v3, v69, vcc
	v_add_co_u32_e32 v50, vcc, v5, v50
	v_addc_co_u32_e32 v51, vcc, v3, v51, vcc
	global_load_ushort v3, v[50:51], off
	v_mov_b32_e32 v5, s25
	s_waitcnt vmcnt(0)
	v_bfe_i32 v50, v3, 0, 16
	v_ashrrev_i32_e32 v51, 31, v50
	v_lshlrev_b64 v[50:51], 1, v[50:51]
	v_add_co_u32_e32 v7, vcc, s24, v50
	v_addc_co_u32_e32 v5, vcc, v5, v51, vcc
	;; [unrolled: 10-line block ×23, first 2 shown]
	v_add_co_u32_e32 v50, vcc, v49, v98
	v_addc_co_u32_e32 v51, vcc, v5, v99, vcc
	global_load_ushort v5, v[50:51], off
	s_branch .LBB6698_146
.LBB6698_124:
                                        ; implicit-def: $vgpr62
                                        ; implicit-def: $vgpr3
                                        ; implicit-def: $vgpr47
                                        ; implicit-def: $vgpr45
                                        ; implicit-def: $vgpr43
                                        ; implicit-def: $vgpr41
                                        ; implicit-def: $vgpr39
                                        ; implicit-def: $vgpr37
                                        ; implicit-def: $vgpr35
                                        ; implicit-def: $vgpr33
                                        ; implicit-def: $vgpr31
                                        ; implicit-def: $vgpr29
                                        ; implicit-def: $vgpr27
                                        ; implicit-def: $vgpr25
                                        ; implicit-def: $vgpr23
                                        ; implicit-def: $vgpr21
                                        ; implicit-def: $vgpr19
                                        ; implicit-def: $vgpr17
                                        ; implicit-def: $vgpr15
                                        ; implicit-def: $vgpr13
                                        ; implicit-def: $vgpr11
                                        ; implicit-def: $vgpr9
                                        ; implicit-def: $vgpr7
                                        ; implicit-def: $vgpr5
	s_cbranch_execz .LBB6698_146
; %bb.125:
	s_cmp_lg_u64 s[12:13], 0
	s_cselect_b64 s[4:5], -1, 0
	s_and_b64 s[4:5], s[2:3], s[4:5]
	v_mov_b32_e32 v62, v2
	s_and_saveexec_b64 s[2:3], s[4:5]
	s_cbranch_execz .LBB6698_127
; %bb.126:
	v_mov_b32_e32 v3, 0
	global_load_ushort v5, v3, s[8:9]
	v_bfe_i32 v2, v2, 0, 16
	v_ashrrev_i32_e32 v3, 31, v2
	v_lshlrev_b64 v[2:3], 1, v[2:3]
	s_waitcnt vmcnt(0)
	v_readfirstlane_b32 s4, v5
	s_sext_i32_i16 s4, s4
	s_ashr_i32 s5, s4, 31
	s_lshl_b64 s[4:5], s[4:5], 1
	s_add_u32 s4, s24, s4
	s_addc_u32 s5, s25, s5
	v_mov_b32_e32 v5, s5
	v_add_co_u32_e32 v2, vcc, s4, v2
	v_addc_co_u32_e32 v3, vcc, v5, v3, vcc
	global_load_ushort v62, v[2:3], off
.LBB6698_127:
	s_or_b64 exec, exec, s[2:3]
	s_waitcnt vmcnt(0)
	v_bfe_i32 v50, v62, 0, 16
	v_ashrrev_i32_e32 v51, 31, v50
	v_lshlrev_b64 v[52:53], 1, v[50:51]
	v_ashrrev_i32_e32 v49, 31, v48
	v_mov_b32_e32 v2, s25
	v_add_co_u32_e32 v5, vcc, s24, v52
	v_addc_co_u32_e32 v7, vcc, v2, v53, vcc
	v_lshlrev_b64 v[2:3], 1, v[48:49]
	v_add_co_u32_e32 v48, vcc, v5, v2
	v_addc_co_u32_e32 v49, vcc, v7, v3, vcc
	global_load_ushort v5, v[48:49], off
	v_ashrrev_i32_e32 v47, 31, v46
	v_mov_b32_e32 v7, s25
	v_lshlrev_b64 v[46:47], 1, v[46:47]
	v_ashrrev_i32_e32 v45, 31, v44
	v_lshlrev_b64 v[44:45], 1, v[44:45]
	v_ashrrev_i32_e32 v43, 31, v42
	;; [unrolled: 2-line block ×19, first 2 shown]
	v_lshlrev_b64 v[8:9], 1, v[8:9]
	v_mov_b32_e32 v54, s25
	s_waitcnt vmcnt(0)
	v_bfe_i32 v48, v5, 0, 16
	v_ashrrev_i32_e32 v49, 31, v48
	v_lshlrev_b64 v[48:49], 1, v[48:49]
	v_add_co_u32_e32 v5, vcc, s24, v48
	v_addc_co_u32_e32 v7, vcc, v7, v49, vcc
	v_add_co_u32_e32 v48, vcc, v5, v46
	v_addc_co_u32_e32 v49, vcc, v7, v47, vcc
	global_load_ushort v5, v[48:49], off
	v_mov_b32_e32 v7, s25
	s_waitcnt vmcnt(0)
	v_bfe_i32 v48, v5, 0, 16
	v_ashrrev_i32_e32 v49, 31, v48
	v_lshlrev_b64 v[48:49], 1, v[48:49]
	v_add_co_u32_e32 v5, vcc, s24, v48
	v_addc_co_u32_e32 v7, vcc, v7, v49, vcc
	v_add_co_u32_e32 v48, vcc, v5, v44
	v_addc_co_u32_e32 v49, vcc, v7, v45, vcc
	global_load_ushort v5, v[48:49], off
	;; [unrolled: 10-line block ×20, first 2 shown]
	v_ashrrev_i32_e32 v7, 31, v6
	v_lshlrev_b64 v[6:7], 1, v[6:7]
	s_waitcnt vmcnt(0)
	v_bfe_i32 v48, v5, 0, 16
	v_ashrrev_i32_e32 v49, 31, v48
	v_lshlrev_b64 v[48:49], 1, v[48:49]
	v_add_co_u32_e32 v5, vcc, s24, v48
	v_addc_co_u32_e32 v49, vcc, v54, v49, vcc
	v_add_co_u32_e32 v48, vcc, v5, v6
	v_addc_co_u32_e32 v49, vcc, v49, v7, vcc
	global_load_ushort v48, v[48:49], off
	v_ashrrev_i32_e32 v5, 31, v4
	v_lshlrev_b64 v[4:5], 1, v[4:5]
	s_waitcnt vmcnt(0)
	v_bfe_i32 v48, v48, 0, 16
	v_ashrrev_i32_e32 v49, 31, v48
	v_lshlrev_b64 v[48:49], 1, v[48:49]
	v_add_co_u32_e32 v48, vcc, s24, v48
	v_addc_co_u32_e32 v49, vcc, v54, v49, vcc
	v_add_co_u32_e32 v48, vcc, v48, v4
	v_addc_co_u32_e32 v49, vcc, v49, v5, vcc
	global_load_ushort v49, v[48:49], off
	v_mbcnt_hi_u32_b32 v48, -1, v110
	v_and_b32_e32 v54, 15, v48
	v_cmp_ne_u32_e32 vcc, 0, v54
	s_waitcnt vmcnt(0)
	v_and_b32_e32 v55, 0xffff, v49
	s_nop 1
	v_mov_b32_dpp v56, v55 row_shr:1 row_mask:0xf bank_mask:0xf
	s_and_saveexec_b64 s[2:3], vcc
	s_cbranch_execz .LBB6698_129
; %bb.128:
	v_lshlrev_b32_e32 v57, 16, v56
	v_mov_b32_e32 v56, 0
	v_ashrrev_i64 v[56:57], 47, v[56:57]
	v_mov_b32_e32 v55, s25
	v_add_co_u32_e32 v58, vcc, s24, v56
	v_bfe_i32 v56, v49, 0, 16
	v_addc_co_u32_e32 v55, vcc, v55, v57, vcc
	v_ashrrev_i32_e32 v57, 31, v56
	v_lshlrev_b64 v[56:57], 1, v[56:57]
	v_add_co_u32_e32 v56, vcc, v58, v56
	v_addc_co_u32_e32 v57, vcc, v55, v57, vcc
	global_load_ushort v49, v[56:57], off
	s_waitcnt vmcnt(0)
	v_and_b32_e32 v55, 0xffff, v49
.LBB6698_129:
	s_or_b64 exec, exec, s[2:3]
	s_nop 0
	v_mov_b32_dpp v56, v55 row_shr:2 row_mask:0xf bank_mask:0xf
	v_cmp_lt_u32_e32 vcc, 1, v54
	s_and_saveexec_b64 s[2:3], vcc
	s_cbranch_execz .LBB6698_131
; %bb.130:
	v_lshlrev_b32_e32 v57, 16, v56
	v_mov_b32_e32 v56, 0
	v_ashrrev_i64 v[56:57], 47, v[56:57]
	v_mov_b32_e32 v55, s25
	v_add_co_u32_e32 v58, vcc, s24, v56
	v_bfe_i32 v56, v49, 0, 16
	v_addc_co_u32_e32 v55, vcc, v55, v57, vcc
	v_ashrrev_i32_e32 v57, 31, v56
	v_lshlrev_b64 v[56:57], 1, v[56:57]
	v_add_co_u32_e32 v56, vcc, v58, v56
	v_addc_co_u32_e32 v57, vcc, v55, v57, vcc
	global_load_ushort v49, v[56:57], off
	s_waitcnt vmcnt(0)
	v_and_b32_e32 v55, 0xffff, v49
.LBB6698_131:
	s_or_b64 exec, exec, s[2:3]
	s_nop 0
	v_mov_b32_dpp v56, v55 row_shr:4 row_mask:0xf bank_mask:0xf
	v_cmp_lt_u32_e32 vcc, 3, v54
	;; [unrolled: 22-line block ×3, first 2 shown]
	s_and_saveexec_b64 s[2:3], vcc
	s_cbranch_execz .LBB6698_135
; %bb.134:
	v_lshlrev_b32_e32 v55, 16, v56
	v_mov_b32_e32 v54, 0
	v_ashrrev_i64 v[54:55], 47, v[54:55]
	v_mov_b32_e32 v56, s25
	v_add_co_u32_e32 v57, vcc, s24, v54
	v_bfe_i32 v54, v49, 0, 16
	v_addc_co_u32_e32 v56, vcc, v56, v55, vcc
	v_ashrrev_i32_e32 v55, 31, v54
	v_lshlrev_b64 v[54:55], 1, v[54:55]
	v_add_co_u32_e32 v54, vcc, v57, v54
	v_addc_co_u32_e32 v55, vcc, v56, v55, vcc
	global_load_ushort v49, v[54:55], off
	s_waitcnt vmcnt(0)
	v_and_b32_e32 v55, 0xffff, v49
.LBB6698_135:
	s_or_b64 exec, exec, s[2:3]
	v_and_b32_e32 v56, 16, v48
	v_mov_b32_dpp v54, v55 row_bcast:15 row_mask:0xf bank_mask:0xf
	v_cmp_ne_u32_e32 vcc, 0, v56
	s_and_saveexec_b64 s[2:3], vcc
	s_cbranch_execz .LBB6698_137
; %bb.136:
	v_lshlrev_b32_e32 v55, 16, v54
	v_mov_b32_e32 v54, 0
	v_ashrrev_i64 v[54:55], 47, v[54:55]
	v_mov_b32_e32 v56, s25
	v_add_co_u32_e32 v57, vcc, s24, v54
	v_bfe_i32 v54, v49, 0, 16
	v_addc_co_u32_e32 v56, vcc, v56, v55, vcc
	v_ashrrev_i32_e32 v55, 31, v54
	v_lshlrev_b64 v[54:55], 1, v[54:55]
	v_add_co_u32_e32 v54, vcc, v57, v54
	v_addc_co_u32_e32 v55, vcc, v56, v55, vcc
	global_load_ushort v49, v[54:55], off
	s_waitcnt vmcnt(0)
	v_and_b32_e32 v55, 0xffff, v49
.LBB6698_137:
	s_or_b64 exec, exec, s[2:3]
	s_nop 0
	v_mov_b32_dpp v54, v55 row_bcast:31 row_mask:0xf bank_mask:0xf
	v_cmp_lt_u32_e32 vcc, 31, v48
	s_and_saveexec_b64 s[2:3], vcc
	s_cbranch_execz .LBB6698_139
; %bb.138:
	v_lshlrev_b32_e32 v55, 16, v54
	v_mov_b32_e32 v54, 0
	v_ashrrev_i64 v[54:55], 47, v[54:55]
	v_mov_b32_e32 v56, s25
	v_add_co_u32_e32 v57, vcc, s24, v54
	v_bfe_i32 v54, v49, 0, 16
	v_addc_co_u32_e32 v56, vcc, v56, v55, vcc
	v_ashrrev_i32_e32 v55, 31, v54
	v_lshlrev_b64 v[54:55], 1, v[54:55]
	v_add_co_u32_e32 v54, vcc, v57, v54
	v_addc_co_u32_e32 v55, vcc, v56, v55, vcc
	global_load_ushort v49, v[54:55], off
.LBB6698_139:
	s_or_b64 exec, exec, s[2:3]
	v_cmp_eq_u32_e32 vcc, 63, v0
	s_and_saveexec_b64 s[2:3], vcc
	s_cbranch_execz .LBB6698_141
; %bb.140:
	v_mov_b32_e32 v54, 0
	s_waitcnt vmcnt(0)
	ds_write_b16 v54, v49
.LBB6698_141:
	s_or_b64 exec, exec, s[2:3]
	v_add_u32_e32 v54, -1, v48
	v_and_b32_e32 v55, 64, v48
	v_cmp_lt_i32_e64 s[2:3], v54, v55
	v_cndmask_b32_e64 v48, v54, v48, s[2:3]
	s_waitcnt vmcnt(0)
	v_and_b32_e32 v49, 0xffff, v49
	v_lshlrev_b32_e32 v48, 2, v48
	ds_bpermute_b32 v48, v48, v49
	s_waitcnt lgkmcnt(0)
	; wave barrier
	s_waitcnt lgkmcnt(0)
	s_and_saveexec_b64 s[2:3], s[0:1]
	s_cbranch_execz .LBB6698_143
; %bb.142:
	v_lshlrev_b32_e32 v49, 16, v48
	v_mov_b32_e32 v48, 0
	v_ashrrev_i64 v[48:49], 47, v[48:49]
	v_mov_b32_e32 v50, s25
	v_add_co_u32_e64 v48, s[0:1], s24, v48
	v_addc_co_u32_e64 v49, s[0:1], v50, v49, s[0:1]
	v_add_co_u32_e64 v48, s[0:1], v48, v52
	v_addc_co_u32_e64 v49, s[0:1], v49, v53, s[0:1]
	global_load_ushort v62, v[48:49], off
	;;#ASMSTART
	;;#ASMEND
	s_waitcnt vmcnt(0)
	v_bfe_i32 v50, v62, 0, 16
	v_ashrrev_i32_e32 v51, 31, v50
.LBB6698_143:
	s_or_b64 exec, exec, s[2:3]
	v_lshlrev_b64 v[48:49], 1, v[50:51]
	v_mov_b32_e32 v50, s25
	v_add_co_u32_e64 v48, s[0:1], s24, v48
	v_addc_co_u32_e64 v49, s[0:1], v50, v49, s[0:1]
	v_add_co_u32_e64 v2, s[0:1], v48, v2
	v_addc_co_u32_e64 v3, s[0:1], v49, v3, s[0:1]
	global_load_ushort v3, v[2:3], off
	v_mov_b32_e32 v2, s25
	s_waitcnt vmcnt(0)
	v_bfe_i32 v48, v3, 0, 16
	v_ashrrev_i32_e32 v49, 31, v48
	v_lshlrev_b64 v[48:49], 1, v[48:49]
	v_add_co_u32_e64 v48, s[0:1], s24, v48
	v_addc_co_u32_e64 v2, s[0:1], v2, v49, s[0:1]
	v_add_co_u32_e64 v46, s[0:1], v48, v46
	v_addc_co_u32_e64 v47, s[0:1], v2, v47, s[0:1]
	global_load_ushort v47, v[46:47], off
	v_mov_b32_e32 v2, s25
	s_waitcnt vmcnt(0)
	v_bfe_i32 v48, v47, 0, 16
	v_ashrrev_i32_e32 v49, 31, v48
	v_lshlrev_b64 v[48:49], 1, v[48:49]
	;; [unrolled: 10-line block ×22, first 2 shown]
	v_add_co_u32_e64 v6, s[0:1], s24, v48
	v_addc_co_u32_e64 v2, s[0:1], v2, v49, s[0:1]
	v_add_co_u32_e64 v4, s[0:1], v6, v4
	v_addc_co_u32_e64 v5, s[0:1], v2, v5, s[0:1]
	global_load_ushort v5, v[4:5], off
	s_and_saveexec_b64 s[0:1], vcc
	s_cbranch_execz .LBB6698_145
; %bb.144:
	s_mov_b32 s2, 0x20000
	v_mov_b32_e32 v2, 0
	s_waitcnt vmcnt(0)
	v_or_b32_sdwa v4, v5, s2 dst_sel:DWORD dst_unused:UNUSED_PAD src0_sel:WORD_0 src1_sel:DWORD
	global_store_dword v2, v4, s[26:27] offset:256
.LBB6698_145:
	s_or_b64 exec, exec, s[0:1]
.LBB6698_146:
	s_add_u32 s0, s20, s6
	s_addc_u32 s1, s21, s7
	s_add_u32 s2, s0, s18
	s_addc_u32 s3, s1, s19
	s_mov_b64 s[0:1], -1
	s_and_b64 vcc, exec, s[16:17]
	s_waitcnt lgkmcnt(0)
	; wave barrier
	s_cbranch_vccz .LBB6698_148
; %bb.147:
	s_mov_b32 s0, 0x5040100
	v_perm_b32 v51, v37, v39, s0
	v_perm_b32 v50, v41, v43, s0
	;; [unrolled: 1-line block ×4, first 2 shown]
	ds_write_b128 v1, v[48:51]
	v_perm_b32 v51, v21, v23, s0
	v_perm_b32 v50, v25, v27, s0
	;; [unrolled: 1-line block ×4, first 2 shown]
	ds_write_b128 v1, v[48:51] offset:16
	s_waitcnt vmcnt(0)
	v_perm_b32 v51, v5, v7, s0
	v_perm_b32 v50, v9, v11, s0
	;; [unrolled: 1-line block ×4, first 2 shown]
	ds_write_b128 v1, v[48:51] offset:32
	s_waitcnt lgkmcnt(0)
	; wave barrier
	s_waitcnt lgkmcnt(0)
	ds_read_u16 v2, v108
	ds_read_u16 v4, v108 offset:128
	ds_read_u16 v6, v108 offset:256
	ds_read_u16 v8, v108 offset:384
	ds_read_u16 v10, v108 offset:512
	ds_read_u16 v12, v108 offset:640
	ds_read_u16 v14, v108 offset:768
	ds_read_u16 v16, v108 offset:896
	ds_read_u16 v18, v108 offset:1024
	ds_read_u16 v20, v108 offset:1152
	ds_read_u16 v22, v108 offset:1280
	ds_read_u16 v24, v108 offset:1408
	ds_read_u16 v26, v108 offset:1536
	ds_read_u16 v28, v108 offset:1664
	ds_read_u16 v30, v108 offset:1792
	ds_read_u16 v32, v108 offset:1920
	ds_read_u16 v34, v108 offset:2048
	ds_read_u16 v36, v108 offset:2176
	ds_read_u16 v38, v108 offset:2304
	ds_read_u16 v40, v108 offset:2432
	ds_read_u16 v42, v108 offset:2560
	ds_read_u16 v44, v108 offset:2688
	ds_read_u16 v46, v108 offset:2816
	ds_read_u16 v50, v108 offset:2944
	v_mov_b32_e32 v49, s3
	v_add_co_u32_e32 v48, vcc, s2, v108
	v_addc_co_u32_e32 v49, vcc, 0, v49, vcc
	s_waitcnt lgkmcnt(14)
	flat_store_short v[48:49], v2
	flat_store_short v[48:49], v4 offset:128
	flat_store_short v[48:49], v6 offset:256
	;; [unrolled: 1-line block ×9, first 2 shown]
	s_waitcnt lgkmcnt(0)
	flat_store_short v[48:49], v22 offset:1280
	flat_store_short v[48:49], v24 offset:1408
	;; [unrolled: 1-line block ×14, first 2 shown]
	s_mov_b64 s[0:1], 0
.LBB6698_148:
	s_andn2_b64 vcc, exec, s[0:1]
	s_cbranch_vccnz .LBB6698_205
; %bb.149:
	s_mov_b32 s0, 0x5040100
	v_perm_b32 v39, v37, v39, s0
	v_perm_b32 v38, v41, v43, s0
	;; [unrolled: 1-line block ×8, first 2 shown]
	s_waitcnt vmcnt(0)
	v_perm_b32 v5, v5, v7, s0
	v_perm_b32 v4, v9, v11, s0
	;; [unrolled: 1-line block ×4, first 2 shown]
	ds_write_b128 v1, v[36:39]
	ds_write_b128 v1, v[20:23] offset:16
	ds_write_b128 v1, v[2:5] offset:32
	s_waitcnt lgkmcnt(0)
	; wave barrier
	s_waitcnt lgkmcnt(0)
	ds_read_u16 v5, v108
	ds_read_u16 v4, v108 offset:128
	ds_read_u16 v7, v108 offset:256
	;; [unrolled: 1-line block ×23, first 2 shown]
	v_mov_b32_e32 v3, s3
	v_add_co_u32_e32 v2, vcc, s2, v108
	v_addc_co_u32_e32 v3, vcc, 0, v3, vcc
	v_mov_b32_e32 v1, 0
	v_cmp_gt_u32_e32 vcc, s33, v0
	s_and_saveexec_b64 s[0:1], vcc
	s_cbranch_execz .LBB6698_151
; %bb.150:
	s_waitcnt lgkmcnt(14)
	flat_store_short v[2:3], v5
.LBB6698_151:
	s_or_b64 exec, exec, s[0:1]
	v_or_b32_e32 v28, 64, v0
	v_cmp_gt_u32_e32 vcc, s33, v28
	s_and_saveexec_b64 s[0:1], vcc
	s_cbranch_execz .LBB6698_153
; %bb.152:
	s_waitcnt lgkmcnt(0)
	flat_store_short v[2:3], v4 offset:128
.LBB6698_153:
	s_or_b64 exec, exec, s[0:1]
	v_or_b32_e32 v28, 0x80, v0
	v_cmp_gt_u32_e32 vcc, s33, v28
	s_and_saveexec_b64 s[0:1], vcc
	s_cbranch_execz .LBB6698_155
; %bb.154:
	s_waitcnt lgkmcnt(0)
	flat_store_short v[2:3], v7 offset:256
.LBB6698_155:
	s_or_b64 exec, exec, s[0:1]
	v_or_b32_e32 v28, 0xc0, v0
	v_cmp_gt_u32_e32 vcc, s33, v28
	s_and_saveexec_b64 s[0:1], vcc
	s_cbranch_execz .LBB6698_157
; %bb.156:
	s_waitcnt lgkmcnt(0)
	flat_store_short v[2:3], v8 offset:384
.LBB6698_157:
	s_or_b64 exec, exec, s[0:1]
	v_or_b32_e32 v28, 0x100, v0
	v_cmp_gt_u32_e32 vcc, s33, v28
	s_and_saveexec_b64 s[0:1], vcc
	s_cbranch_execz .LBB6698_159
; %bb.158:
	s_waitcnt lgkmcnt(0)
	flat_store_short v[2:3], v6 offset:512
.LBB6698_159:
	s_or_b64 exec, exec, s[0:1]
	v_or_b32_e32 v28, 0x140, v0
	v_cmp_gt_u32_e32 vcc, s33, v28
	s_and_saveexec_b64 s[0:1], vcc
	s_cbranch_execz .LBB6698_161
; %bb.160:
	s_waitcnt lgkmcnt(0)
	flat_store_short v[2:3], v9 offset:640
.LBB6698_161:
	s_or_b64 exec, exec, s[0:1]
	v_or_b32_e32 v28, 0x180, v0
	v_cmp_gt_u32_e32 vcc, s33, v28
	s_and_saveexec_b64 s[0:1], vcc
	s_cbranch_execz .LBB6698_163
; %bb.162:
	s_waitcnt lgkmcnt(0)
	flat_store_short v[2:3], v17 offset:768
.LBB6698_163:
	s_or_b64 exec, exec, s[0:1]
	v_or_b32_e32 v28, 0x1c0, v0
	v_cmp_gt_u32_e32 vcc, s33, v28
	s_and_saveexec_b64 s[0:1], vcc
	s_cbranch_execz .LBB6698_165
; %bb.164:
	s_waitcnt lgkmcnt(0)
	flat_store_short v[2:3], v15 offset:896
.LBB6698_165:
	s_or_b64 exec, exec, s[0:1]
	v_or_b32_e32 v28, 0x200, v0
	v_cmp_gt_u32_e32 vcc, s33, v28
	s_and_saveexec_b64 s[0:1], vcc
	s_cbranch_execz .LBB6698_167
; %bb.166:
	s_waitcnt lgkmcnt(0)
	flat_store_short v[2:3], v16 offset:1024
.LBB6698_167:
	s_or_b64 exec, exec, s[0:1]
	v_or_b32_e32 v28, 0x240, v0
	v_cmp_gt_u32_e32 vcc, s33, v28
	s_and_saveexec_b64 s[0:1], vcc
	s_cbranch_execz .LBB6698_169
; %bb.168:
	s_waitcnt lgkmcnt(0)
	flat_store_short v[2:3], v23 offset:1152
.LBB6698_169:
	s_or_b64 exec, exec, s[0:1]
	v_or_b32_e32 v28, 0x280, v0
	v_cmp_gt_u32_e32 vcc, s33, v28
	s_and_saveexec_b64 s[0:1], vcc
	s_cbranch_execz .LBB6698_171
; %bb.170:
	s_waitcnt lgkmcnt(0)
	flat_store_short v[2:3], v20 offset:1280
.LBB6698_171:
	s_or_b64 exec, exec, s[0:1]
	v_or_b32_e32 v28, 0x2c0, v0
	v_cmp_gt_u32_e32 vcc, s33, v28
	s_and_saveexec_b64 s[0:1], vcc
	s_cbranch_execz .LBB6698_173
; %bb.172:
	s_waitcnt lgkmcnt(0)
	flat_store_short v[2:3], v19 offset:1408
.LBB6698_173:
	s_or_b64 exec, exec, s[0:1]
	v_or_b32_e32 v28, 0x300, v0
	v_cmp_gt_u32_e32 vcc, s33, v28
	s_and_saveexec_b64 s[0:1], vcc
	s_cbranch_execz .LBB6698_175
; %bb.174:
	s_waitcnt lgkmcnt(0)
	flat_store_short v[2:3], v18 offset:1536
.LBB6698_175:
	s_or_b64 exec, exec, s[0:1]
	v_or_b32_e32 v28, 0x340, v0
	v_cmp_gt_u32_e32 vcc, s33, v28
	s_and_saveexec_b64 s[0:1], vcc
	s_cbranch_execz .LBB6698_177
; %bb.176:
	s_waitcnt lgkmcnt(0)
	flat_store_short v[2:3], v13 offset:1664
.LBB6698_177:
	s_or_b64 exec, exec, s[0:1]
	v_or_b32_e32 v28, 0x380, v0
	v_cmp_gt_u32_e32 vcc, s33, v28
	s_and_saveexec_b64 s[0:1], vcc
	s_cbranch_execz .LBB6698_179
; %bb.178:
	s_waitcnt lgkmcnt(0)
	flat_store_short v[2:3], v14 offset:1792
.LBB6698_179:
	s_or_b64 exec, exec, s[0:1]
	v_or_b32_e32 v28, 0x3c0, v0
	v_cmp_gt_u32_e32 vcc, s33, v28
	s_and_saveexec_b64 s[0:1], vcc
	s_cbranch_execz .LBB6698_181
; %bb.180:
	s_waitcnt lgkmcnt(0)
	flat_store_short v[2:3], v10 offset:1920
.LBB6698_181:
	s_or_b64 exec, exec, s[0:1]
	v_or_b32_e32 v28, 0x400, v0
	v_cmp_gt_u32_e32 vcc, s33, v28
	s_and_saveexec_b64 s[0:1], vcc
	s_cbranch_execz .LBB6698_183
; %bb.182:
	s_waitcnt lgkmcnt(0)
	flat_store_short v[2:3], v22 offset:2048
.LBB6698_183:
	s_or_b64 exec, exec, s[0:1]
	v_or_b32_e32 v28, 0x440, v0
	v_cmp_gt_u32_e32 vcc, s33, v28
	s_and_saveexec_b64 s[0:1], vcc
	s_cbranch_execz .LBB6698_185
; %bb.184:
	s_waitcnt lgkmcnt(0)
	flat_store_short v[2:3], v25 offset:2176
.LBB6698_185:
	s_or_b64 exec, exec, s[0:1]
	v_or_b32_e32 v28, 0x480, v0
	v_cmp_gt_u32_e32 vcc, s33, v28
	s_and_saveexec_b64 s[0:1], vcc
	s_cbranch_execz .LBB6698_187
; %bb.186:
	s_waitcnt lgkmcnt(0)
	flat_store_short v[2:3], v24 offset:2304
.LBB6698_187:
	s_or_b64 exec, exec, s[0:1]
	v_or_b32_e32 v28, 0x4c0, v0
	v_cmp_gt_u32_e32 vcc, s33, v28
	s_and_saveexec_b64 s[0:1], vcc
	s_cbranch_execz .LBB6698_189
; %bb.188:
	s_waitcnt lgkmcnt(0)
	flat_store_short v[2:3], v21 offset:2432
.LBB6698_189:
	s_or_b64 exec, exec, s[0:1]
	v_or_b32_e32 v28, 0x500, v0
	v_cmp_gt_u32_e32 vcc, s33, v28
	s_and_saveexec_b64 s[0:1], vcc
	s_cbranch_execz .LBB6698_191
; %bb.190:
	s_waitcnt lgkmcnt(0)
	flat_store_short v[2:3], v12 offset:2560
.LBB6698_191:
	s_or_b64 exec, exec, s[0:1]
	v_or_b32_e32 v28, 0x540, v0
	v_cmp_gt_u32_e32 vcc, s33, v28
	s_and_saveexec_b64 s[0:1], vcc
	s_cbranch_execz .LBB6698_193
; %bb.192:
	s_waitcnt lgkmcnt(0)
	flat_store_short v[2:3], v11 offset:2688
.LBB6698_193:
	s_or_b64 exec, exec, s[0:1]
	v_or_b32_e32 v28, 0x580, v0
	v_cmp_gt_u32_e32 vcc, s33, v28
	s_and_saveexec_b64 s[0:1], vcc
	s_cbranch_execz .LBB6698_195
; %bb.194:
	s_waitcnt lgkmcnt(0)
	flat_store_short v[2:3], v26 offset:2816
.LBB6698_195:
	s_or_b64 exec, exec, s[0:1]
	v_or_b32_e32 v28, 0x5c0, v0
	v_cmp_gt_u32_e32 vcc, s33, v28
	s_and_saveexec_b64 s[0:1], vcc
	s_cbranch_execz .LBB6698_197
; %bb.196:
	s_waitcnt lgkmcnt(0)
	flat_store_short v[2:3], v27 offset:2944
.LBB6698_197:
	s_or_b64 exec, exec, s[0:1]
	v_cmp_lt_u64_e64 s[0:1], s[14:15], 2
	s_and_b64 vcc, exec, s[0:1]
	s_cbranch_vccnz .LBB6698_205
; %bb.198:
	s_add_u32 s0, s33, -1
	s_addc_u32 s1, s40, -1
	s_add_u32 s2, 0, 0xaaaa0000
	s_addc_u32 s3, 0, 42
	s_add_i32 s3, s3, 0xaaaaa80
	s_mul_hi_u32 s7, s2, 0xffffffe8
	s_sub_i32 s7, s7, s2
	s_mul_i32 s8, s3, 0xffffffe8
	s_mul_i32 s4, s2, 0xffffffe8
	s_add_i32 s7, s7, s8
	s_mul_hi_u32 s5, s3, s4
	s_mul_i32 s6, s3, s4
	s_mul_i32 s9, s2, s7
	s_mul_hi_u32 s4, s2, s4
	s_mul_hi_u32 s8, s2, s7
	s_add_u32 s4, s4, s9
	s_addc_u32 s8, 0, s8
	s_add_u32 s4, s4, s6
	s_mul_hi_u32 s9, s3, s7
	s_addc_u32 s4, s8, s5
	s_addc_u32 s5, s9, 0
	s_mul_i32 s6, s3, s7
	s_add_u32 s4, s4, s6
	v_mov_b32_e32 v2, s4
	s_addc_u32 s5, 0, s5
	v_add_co_u32_e32 v2, vcc, s2, v2
	s_cmp_lg_u64 vcc, 0
	s_addc_u32 s2, s3, s5
	v_readfirstlane_b32 s5, v2
	s_mul_i32 s4, s0, s2
	s_mul_hi_u32 s6, s0, s5
	s_mul_hi_u32 s3, s0, s2
	s_add_u32 s4, s6, s4
	s_addc_u32 s3, 0, s3
	s_mul_hi_u32 s7, s1, s5
	s_mul_i32 s5, s1, s5
	s_add_u32 s4, s4, s5
	s_mul_hi_u32 s6, s1, s2
	s_addc_u32 s3, s3, s7
	s_addc_u32 s4, s6, 0
	s_mul_i32 s2, s1, s2
	s_add_u32 s2, s3, s2
	s_addc_u32 s3, 0, s4
	s_add_u32 s4, s2, 1
	s_addc_u32 s5, s3, 0
	s_add_u32 s6, s2, 2
	s_mul_i32 s8, s3, 24
	s_mul_hi_u32 s9, s2, 24
	s_addc_u32 s7, s3, 0
	s_add_i32 s9, s9, s8
	s_mul_i32 s8, s2, 24
	v_mov_b32_e32 v2, s8
	v_sub_co_u32_e32 v2, vcc, s0, v2
	s_cmp_lg_u64 vcc, 0
	s_subb_u32 s8, s1, s9
	v_subrev_co_u32_e32 v3, vcc, 24, v2
	s_cmp_lg_u64 vcc, 0
	s_subb_u32 s9, s8, 0
	v_readfirstlane_b32 s12, v3
	s_cmp_gt_u32 s12, 23
	s_cselect_b32 s12, -1, 0
	s_cmp_eq_u32 s9, 0
	s_cselect_b32 s9, s12, -1
	s_cmp_lg_u32 s9, 0
	s_cselect_b32 s4, s6, s4
	v_readfirstlane_b32 s6, v2
	s_cselect_b32 s5, s7, s5
	s_cmp_gt_u32 s6, 23
	s_cselect_b32 s6, -1, 0
	s_cmp_eq_u32 s8, 0
	s_cselect_b32 s6, s6, -1
	s_cmp_lg_u32 s6, 0
	s_cselect_b32 s3, s5, s3
	s_cselect_b32 s2, s4, s2
	v_cmp_eq_u64_e32 vcc, s[2:3], v[0:1]
	s_and_saveexec_b64 s[2:3], vcc
	s_cbranch_execz .LBB6698_205
; %bb.199:
	v_mul_hi_u32_u24_e32 v1, 24, v0
	v_mov_b32_e32 v2, s1
	v_sub_co_u32_e32 v0, vcc, s0, v109
	v_subb_co_u32_e32 v1, vcc, v2, v1, vcc
	v_cmp_lt_i64_e32 vcc, 11, v[0:1]
	s_mov_b64 s[0:1], 0
	s_mov_b64 s[8:9], 0
	;; [unrolled: 1-line block ×4, first 2 shown]
	s_and_saveexec_b64 s[2:3], vcc
	s_xor_b64 s[2:3], exec, s[2:3]
	s_cbranch_execnz .LBB6698_206
; %bb.200:
	s_andn2_saveexec_b64 s[2:3], s[2:3]
	s_cbranch_execnz .LBB6698_251
.LBB6698_201:
	s_or_b64 exec, exec, s[2:3]
	s_and_saveexec_b64 s[2:3], s[8:9]
	s_cbranch_execnz .LBB6698_268
.LBB6698_202:
	s_or_b64 exec, exec, s[2:3]
	s_and_saveexec_b64 s[2:3], s[6:7]
	s_cbranch_execnz .LBB6698_269
.LBB6698_203:
	s_or_b64 exec, exec, s[2:3]
	s_and_saveexec_b64 s[2:3], s[4:5]
	s_xor_b64 s[2:3], exec, s[2:3]
	s_cbranch_execnz .LBB6698_270
.LBB6698_204:
	s_or_b64 exec, exec, s[2:3]
	s_and_b64 exec, exec, s[0:1]
	s_cbranch_execnz .LBB6698_271
.LBB6698_205:
	s_endpgm
.LBB6698_206:
	v_cmp_lt_i64_e32 vcc, 17, v[0:1]
	s_and_saveexec_b64 s[12:13], vcc
	s_xor_b64 s[12:13], exec, s[12:13]
	s_cbranch_execz .LBB6698_228
; %bb.207:
	v_cmp_lt_i64_e32 vcc, 20, v[0:1]
                                        ; implicit-def: $vgpr10
	s_and_saveexec_b64 s[14:15], vcc
	s_xor_b64 s[14:15], exec, s[14:15]
	s_cbranch_execz .LBB6698_217
; %bb.208:
	v_cmp_lt_i64_e32 vcc, 21, v[0:1]
	s_mov_b64 s[16:17], 0
                                        ; implicit-def: $vgpr10
	s_and_saveexec_b64 s[4:5], vcc
	s_xor_b64 s[4:5], exec, s[4:5]
	s_cbranch_execz .LBB6698_214
; %bb.209:
	v_cmp_lt_i64_e32 vcc, 22, v[0:1]
	s_and_saveexec_b64 s[16:17], vcc
	s_xor_b64 s[16:17], exec, s[16:17]
	s_cbranch_execz .LBB6698_211
; %bb.210:
	v_mov_b32_e32 v2, 0
	s_waitcnt lgkmcnt(0)
	global_store_short v2, v27, s[10:11]
                                        ; implicit-def: $vgpr26
.LBB6698_211:
	s_or_saveexec_b64 s[16:17], s[16:17]
	s_mov_b64 s[18:19], 0
	s_xor_b64 exec, exec, s[16:17]
; %bb.212:
	s_mov_b64 s[18:19], exec
; %bb.213:
	s_or_b64 exec, exec, s[16:17]
	s_and_b64 s[16:17], s[18:19], exec
	s_waitcnt lgkmcnt(0)
	v_mov_b32_e32 v10, v26
                                        ; implicit-def: $vgpr11
.LBB6698_214:
	s_andn2_saveexec_b64 s[4:5], s[4:5]
; %bb.215:
	s_mov_b64 s[6:7], exec
                                        ; implicit-def: $vgpr10
; %bb.216:
	s_or_b64 exec, exec, s[4:5]
	s_and_b64 s[4:5], s[16:17], exec
	s_and_b64 s[6:7], s[6:7], exec
                                        ; implicit-def: $vgpr24
                                        ; implicit-def: $vgpr12
                                        ; implicit-def: $vgpr21
.LBB6698_217:
	s_andn2_saveexec_b64 s[14:15], s[14:15]
	s_cbranch_execz .LBB6698_227
; %bb.218:
	v_cmp_lt_i64_e32 vcc, 18, v[0:1]
	s_mov_b64 s[16:17], 0
	s_and_saveexec_b64 s[8:9], vcc
	s_xor_b64 s[8:9], exec, s[8:9]
	s_cbranch_execz .LBB6698_224
; %bb.219:
	v_cmp_lt_i64_e32 vcc, 19, v[0:1]
	s_and_saveexec_b64 s[18:19], vcc
	s_xor_b64 s[18:19], exec, s[18:19]
; %bb.220:
	s_mov_b64 s[16:17], exec
                                        ; implicit-def: $vgpr21
; %bb.221:
	s_andn2_saveexec_b64 s[18:19], s[18:19]
	s_cbranch_execz .LBB6698_223
; %bb.222:
	v_mov_b32_e32 v2, 0
	s_waitcnt lgkmcnt(0)
	global_store_short v2, v21, s[10:11]
                                        ; implicit-def: $vgpr12
.LBB6698_223:
	s_or_b64 exec, exec, s[18:19]
	s_and_b64 s[16:17], s[16:17], exec
                                        ; implicit-def: $vgpr24
.LBB6698_224:
	s_andn2_saveexec_b64 s[8:9], s[8:9]
	s_cbranch_execz .LBB6698_226
; %bb.225:
	v_mov_b32_e32 v2, 0
	s_waitcnt lgkmcnt(0)
	global_store_short v2, v24, s[10:11]
                                        ; implicit-def: $vgpr12
.LBB6698_226:
	s_or_b64 exec, exec, s[8:9]
	s_and_b64 s[8:9], s[16:17], exec
                                        ; implicit-def: $vgpr10
                                        ; implicit-def: $vgpr11
.LBB6698_227:
	s_or_b64 exec, exec, s[14:15]
	s_and_b64 s[4:5], s[4:5], exec
	s_and_b64 s[6:7], s[6:7], exec
	;; [unrolled: 1-line block ×3, first 2 shown]
                                        ; implicit-def: $vgpr18
                                        ; implicit-def: $vgpr13
                                        ; implicit-def: $vgpr14
                                        ; implicit-def: $vgpr22
                                        ; implicit-def: $vgpr25
.LBB6698_228:
	s_andn2_saveexec_b64 s[12:13], s[12:13]
	s_cbranch_execz .LBB6698_250
; %bb.229:
	v_cmp_lt_i64_e32 vcc, 14, v[0:1]
	s_mov_b64 s[14:15], s[4:5]
	s_and_saveexec_b64 s[16:17], vcc
	s_xor_b64 s[16:17], exec, s[16:17]
	s_cbranch_execz .LBB6698_239
; %bb.230:
	v_cmp_lt_i64_e32 vcc, 15, v[0:1]
	s_and_saveexec_b64 s[14:15], vcc
	s_xor_b64 s[14:15], exec, s[14:15]
	s_cbranch_execz .LBB6698_236
; %bb.231:
	v_cmp_lt_i64_e32 vcc, 16, v[0:1]
	s_and_saveexec_b64 s[18:19], vcc
	s_xor_b64 s[18:19], exec, s[18:19]
	s_cbranch_execz .LBB6698_233
; %bb.232:
	v_mov_b32_e32 v2, 0
	s_waitcnt lgkmcnt(0)
	global_store_short v2, v25, s[10:11]
                                        ; implicit-def: $vgpr22
.LBB6698_233:
	s_andn2_saveexec_b64 s[18:19], s[18:19]
	s_cbranch_execz .LBB6698_235
; %bb.234:
	v_mov_b32_e32 v2, 0
	s_waitcnt lgkmcnt(0)
	global_store_short v2, v22, s[10:11]
.LBB6698_235:
	s_or_b64 exec, exec, s[18:19]
                                        ; implicit-def: $vgpr10
.LBB6698_236:
	s_or_saveexec_b64 s[14:15], s[14:15]
	s_mov_b64 s[18:19], s[4:5]
	s_xor_b64 exec, exec, s[14:15]
; %bb.237:
	s_or_b64 s[18:19], s[4:5], exec
; %bb.238:
	s_or_b64 exec, exec, s[14:15]
	s_andn2_b64 s[14:15], s[4:5], exec
	s_and_b64 s[18:19], s[18:19], exec
	s_or_b64 s[14:15], s[14:15], s[18:19]
                                        ; implicit-def: $vgpr18
                                        ; implicit-def: $vgpr13
                                        ; implicit-def: $vgpr14
.LBB6698_239:
	s_or_saveexec_b64 s[16:17], s[16:17]
	s_mov_b64 s[18:19], s[6:7]
                                        ; implicit-def: $vgpr11
	s_xor_b64 exec, exec, s[16:17]
	s_cbranch_execz .LBB6698_249
; %bb.240:
	v_cmp_lt_i64_e32 vcc, 12, v[0:1]
	s_mov_b64 s[20:21], s[6:7]
	s_mov_b64 s[22:23], s[14:15]
                                        ; implicit-def: $vgpr10
                                        ; implicit-def: $vgpr11
	s_and_saveexec_b64 s[18:19], vcc
	s_xor_b64 s[18:19], exec, s[18:19]
	s_cbranch_execz .LBB6698_246
; %bb.241:
	v_cmp_lt_i64_e32 vcc, 13, v[0:1]
	s_mov_b64 s[20:21], s[14:15]
	s_and_saveexec_b64 s[22:23], vcc
	s_xor_b64 s[22:23], exec, s[22:23]
; %bb.242:
	s_or_b64 s[20:21], s[14:15], exec
                                        ; implicit-def: $vgpr13
; %bb.243:
	s_or_saveexec_b64 s[22:23], s[22:23]
	s_mov_b64 s[24:25], s[6:7]
	s_xor_b64 exec, exec, s[22:23]
; %bb.244:
	s_or_b64 s[24:25], s[6:7], exec
                                        ; implicit-def: $vgpr14
; %bb.245:
	s_or_b64 exec, exec, s[22:23]
	s_andn2_b64 s[22:23], s[14:15], exec
	s_and_b64 s[20:21], s[20:21], exec
	s_or_b64 s[22:23], s[22:23], s[20:21]
	s_andn2_b64 s[20:21], s[6:7], exec
	s_and_b64 s[24:25], s[24:25], exec
	s_or_b64 s[20:21], s[20:21], s[24:25]
	s_waitcnt lgkmcnt(0)
	v_mov_b32_e32 v10, v14
	v_mov_b32_e32 v11, v13
                                        ; implicit-def: $vgpr18
.LBB6698_246:
	s_andn2_saveexec_b64 s[18:19], s[18:19]
	s_cbranch_execz .LBB6698_248
; %bb.247:
	s_or_b64 s[20:21], s[20:21], exec
                                        ; implicit-def: $vgpr10
	s_waitcnt lgkmcnt(0)
	v_mov_b32_e32 v11, v18
.LBB6698_248:
	s_or_b64 exec, exec, s[18:19]
	s_andn2_b64 s[14:15], s[14:15], exec
	s_and_b64 s[18:19], s[22:23], exec
	s_or_b64 s[14:15], s[14:15], s[18:19]
	s_andn2_b64 s[18:19], s[6:7], exec
	s_and_b64 s[20:21], s[20:21], exec
	s_or_b64 s[18:19], s[18:19], s[20:21]
.LBB6698_249:
	s_or_b64 exec, exec, s[16:17]
	s_andn2_b64 s[4:5], s[4:5], exec
	s_and_b64 s[14:15], s[14:15], exec
	s_or_b64 s[4:5], s[4:5], s[14:15]
	s_andn2_b64 s[6:7], s[6:7], exec
	s_and_b64 s[14:15], s[18:19], exec
	s_or_b64 s[6:7], s[6:7], s[14:15]
                                        ; implicit-def: $vgpr12
.LBB6698_250:
	s_or_b64 exec, exec, s[12:13]
	s_and_b64 s[4:5], s[4:5], exec
	s_and_b64 s[6:7], s[6:7], exec
	s_and_b64 s[8:9], s[8:9], exec
                                        ; implicit-def: $vgpr17
                                        ; implicit-def: $vgpr15
                                        ; implicit-def: $vgpr16
                                        ; implicit-def: $vgpr23
                                        ; implicit-def: $vgpr20
                                        ; implicit-def: $vgpr19
	s_andn2_saveexec_b64 s[2:3], s[2:3]
	s_cbranch_execz .LBB6698_201
.LBB6698_251:
	v_cmp_lt_i64_e32 vcc, 5, v[0:1]
	s_mov_b64 s[14:15], -1
	s_mov_b64 s[12:13], s[8:9]
	s_mov_b64 s[16:17], s[6:7]
	;; [unrolled: 1-line block ×3, first 2 shown]
                                        ; implicit-def: $vgpr10
                                        ; implicit-def: $vgpr11
                                        ; implicit-def: $vgpr12
	s_and_saveexec_b64 s[0:1], vcc
	s_cbranch_execz .LBB6698_267
; %bb.252:
	v_cmp_lt_i64_e32 vcc, 8, v[0:1]
	s_mov_b64 s[12:13], s[8:9]
                                        ; implicit-def: $vgpr12
	s_and_saveexec_b64 s[14:15], vcc
	s_xor_b64 s[14:15], exec, s[14:15]
	s_cbranch_execz .LBB6698_262
; %bb.253:
	v_cmp_lt_i64_e32 vcc, 9, v[0:1]
	s_and_saveexec_b64 s[12:13], vcc
	s_xor_b64 s[12:13], exec, s[12:13]
	s_cbranch_execz .LBB6698_259
; %bb.254:
	v_cmp_lt_i64_e32 vcc, 10, v[0:1]
	s_and_saveexec_b64 s[16:17], vcc
	s_xor_b64 s[16:17], exec, s[16:17]
; %bb.255:
                                        ; implicit-def: $vgpr20
; %bb.256:
	s_andn2_saveexec_b64 s[16:17], s[16:17]
	s_cbranch_execz .LBB6698_258
; %bb.257:
	s_waitcnt lgkmcnt(0)
	v_mov_b32_e32 v19, v20
.LBB6698_258:
	s_or_b64 exec, exec, s[16:17]
                                        ; implicit-def: $vgpr23
.LBB6698_259:
	s_andn2_saveexec_b64 s[12:13], s[12:13]
	s_cbranch_execz .LBB6698_261
; %bb.260:
	s_waitcnt lgkmcnt(0)
	v_mov_b32_e32 v19, v23
.LBB6698_261:
	s_or_b64 exec, exec, s[12:13]
	s_or_b64 s[12:13], s[8:9], exec
	s_waitcnt lgkmcnt(0)
	v_mov_b32_e32 v12, v19
                                        ; implicit-def: $vgpr17
                                        ; implicit-def: $vgpr15
                                        ; implicit-def: $vgpr16
.LBB6698_262:
	s_or_saveexec_b64 s[14:15], s[14:15]
	s_mov_b64 s[16:17], s[6:7]
	s_mov_b64 s[20:21], s[4:5]
                                        ; implicit-def: $vgpr10
                                        ; implicit-def: $vgpr11
	s_xor_b64 exec, exec, s[14:15]
	s_cbranch_execz .LBB6698_266
; %bb.263:
	v_cmp_lt_i64_e32 vcc, 6, v[0:1]
	s_mov_b64 s[20:21], -1
	s_mov_b64 s[18:19], s[12:13]
	s_mov_b64 s[16:17], s[6:7]
	s_and_saveexec_b64 s[22:23], vcc
; %bb.264:
	v_cmp_lt_i64_e32 vcc, 7, v[0:1]
	s_andn2_b64 s[18:19], s[12:13], exec
	s_and_b64 s[24:25], vcc, exec
	s_xor_b64 s[20:21], exec, -1
	s_or_b64 s[16:17], s[6:7], exec
	s_or_b64 s[18:19], s[18:19], s[24:25]
                                        ; implicit-def: $vgpr17
; %bb.265:
	s_or_b64 exec, exec, s[22:23]
	s_andn2_b64 s[22:23], s[4:5], exec
	s_and_b64 s[20:21], s[20:21], exec
	s_or_b64 s[20:21], s[22:23], s[20:21]
	s_andn2_b64 s[22:23], s[6:7], exec
	s_and_b64 s[16:17], s[16:17], exec
	s_andn2_b64 s[12:13], s[12:13], exec
	s_and_b64 s[18:19], s[18:19], exec
	s_or_b64 s[16:17], s[22:23], s[16:17]
	s_or_b64 s[12:13], s[12:13], s[18:19]
	s_waitcnt lgkmcnt(0)
	v_mov_b32_e32 v10, v17
	v_mov_b32_e32 v11, v15
	;; [unrolled: 1-line block ×3, first 2 shown]
.LBB6698_266:
	s_or_b64 exec, exec, s[14:15]
	s_andn2_b64 s[18:19], s[4:5], exec
	s_and_b64 s[20:21], s[20:21], exec
	s_or_b64 s[18:19], s[18:19], s[20:21]
	s_andn2_b64 s[20:21], s[6:7], exec
	s_and_b64 s[16:17], s[16:17], exec
	s_or_b64 s[16:17], s[20:21], s[16:17]
	s_andn2_b64 s[20:21], s[8:9], exec
	s_and_b64 s[12:13], s[12:13], exec
	s_xor_b64 s[14:15], exec, -1
	s_or_b64 s[12:13], s[20:21], s[12:13]
.LBB6698_267:
	s_or_b64 exec, exec, s[0:1]
	s_and_b64 s[0:1], s[14:15], exec
	s_andn2_b64 s[4:5], s[4:5], exec
	s_and_b64 s[14:15], s[18:19], exec
	s_or_b64 s[4:5], s[4:5], s[14:15]
	s_andn2_b64 s[6:7], s[6:7], exec
	s_and_b64 s[14:15], s[16:17], exec
	s_andn2_b64 s[8:9], s[8:9], exec
	s_and_b64 s[12:13], s[12:13], exec
	s_or_b64 s[6:7], s[6:7], s[14:15]
	s_or_b64 s[8:9], s[8:9], s[12:13]
	s_or_b64 exec, exec, s[2:3]
	s_and_saveexec_b64 s[2:3], s[8:9]
	s_cbranch_execz .LBB6698_202
.LBB6698_268:
	v_mov_b32_e32 v2, 0
	s_andn2_b64 s[6:7], s[6:7], exec
	s_waitcnt lgkmcnt(0)
	global_store_short v2, v12, s[10:11]
                                        ; implicit-def: $vgpr10
                                        ; implicit-def: $vgpr11
	s_or_b64 exec, exec, s[2:3]
	s_and_saveexec_b64 s[2:3], s[6:7]
	s_cbranch_execz .LBB6698_203
.LBB6698_269:
	v_mov_b32_e32 v2, 0
	s_waitcnt lgkmcnt(0)
	global_store_short v2, v11, s[10:11]
                                        ; implicit-def: $vgpr10
	s_or_b64 exec, exec, s[2:3]
	s_and_saveexec_b64 s[2:3], s[4:5]
	s_xor_b64 s[2:3], exec, s[2:3]
	s_cbranch_execz .LBB6698_204
.LBB6698_270:
	v_mov_b32_e32 v2, 0
	s_waitcnt lgkmcnt(0)
	global_store_short v2, v10, s[10:11]
	s_or_b64 exec, exec, s[2:3]
	s_and_b64 exec, exec, s[0:1]
	s_cbranch_execz .LBB6698_205
.LBB6698_271:
	v_cmp_lt_i64_e32 vcc, 2, v[0:1]
	s_and_saveexec_b64 s[0:1], vcc
	s_xor_b64 s[0:1], exec, s[0:1]
	s_cbranch_execz .LBB6698_281
; %bb.272:
	v_cmp_lt_i64_e32 vcc, 3, v[0:1]
	s_and_saveexec_b64 s[2:3], vcc
	s_xor_b64 s[2:3], exec, s[2:3]
	s_cbranch_execz .LBB6698_278
; %bb.273:
	;; [unrolled: 5-line block ×3, first 2 shown]
	v_mov_b32_e32 v0, 0
	s_waitcnt lgkmcnt(0)
	global_store_short v0, v9, s[10:11]
                                        ; implicit-def: $vgpr6
.LBB6698_275:
	s_andn2_saveexec_b64 s[4:5], s[4:5]
	s_cbranch_execz .LBB6698_277
; %bb.276:
	v_mov_b32_e32 v0, 0
	s_waitcnt lgkmcnt(0)
	global_store_short v0, v6, s[10:11]
.LBB6698_277:
	s_or_b64 exec, exec, s[4:5]
                                        ; implicit-def: $vgpr8
.LBB6698_278:
	s_andn2_saveexec_b64 s[2:3], s[2:3]
	s_cbranch_execz .LBB6698_280
; %bb.279:
	v_mov_b32_e32 v0, 0
	s_waitcnt lgkmcnt(0)
	global_store_short v0, v8, s[10:11]
.LBB6698_280:
	s_or_b64 exec, exec, s[2:3]
                                        ; implicit-def: $vgpr0_vgpr1
                                        ; implicit-def: $vgpr7
                                        ; implicit-def: $vgpr4
                                        ; implicit-def: $vgpr5
.LBB6698_281:
	s_andn2_saveexec_b64 s[0:1], s[0:1]
	s_cbranch_execz .LBB6698_205
; %bb.282:
	v_cmp_lt_i64_e32 vcc, 1, v[0:1]
	s_and_saveexec_b64 s[0:1], vcc
	s_xor_b64 s[0:1], exec, s[0:1]
	s_cbranch_execz .LBB6698_284
; %bb.283:
	v_mov_b32_e32 v0, 0
	s_waitcnt lgkmcnt(0)
	global_store_short v0, v7, s[10:11]
                                        ; implicit-def: $vgpr4
                                        ; implicit-def: $vgpr0_vgpr1
                                        ; implicit-def: $vgpr5
.LBB6698_284:
	s_andn2_saveexec_b64 s[0:1], s[0:1]
	s_cbranch_execz .LBB6698_205
; %bb.285:
	v_cmp_ne_u64_e32 vcc, 1, v[0:1]
	s_and_saveexec_b64 s[0:1], vcc
	s_xor_b64 s[0:1], exec, s[0:1]
	s_cbranch_execz .LBB6698_287
; %bb.286:
	v_mov_b32_e32 v0, 0
	s_waitcnt lgkmcnt(0)
	global_store_short v0, v5, s[10:11]
                                        ; implicit-def: $vgpr4
.LBB6698_287:
	s_andn2_saveexec_b64 s[0:1], s[0:1]
	s_cbranch_execz .LBB6698_205
; %bb.288:
	v_mov_b32_e32 v0, 0
	s_waitcnt lgkmcnt(0)
	global_store_short v0, v4, s[10:11]
	s_endpgm
	.section	.rodata,"a",@progbits
	.p2align	6, 0x0
	.amdhsa_kernel _ZN7rocprim17ROCPRIM_400000_NS6detail17trampoline_kernelINS0_14default_configENS1_20scan_config_selectorIsEEZZNS1_9scan_implILNS1_25lookback_scan_determinismE0ELb0ELb0ES3_N6thrust23THRUST_200600_302600_NS6detail15normal_iteratorINS9_10device_ptrIsEEEESE_s9plus_mod3IsEsEEDaPvRmT3_T4_T5_mT6_P12ihipStream_tbENKUlT_T0_E_clISt17integral_constantIbLb1EESU_EEDaSP_SQ_EUlSP_E_NS1_11comp_targetILNS1_3genE4ELNS1_11target_archE910ELNS1_3gpuE8ELNS1_3repE0EEENS1_30default_config_static_selectorELNS0_4arch9wavefront6targetE1EEEvT1_
		.amdhsa_group_segment_fixed_size 3072
		.amdhsa_private_segment_fixed_size 0
		.amdhsa_kernarg_size 104
		.amdhsa_user_sgpr_count 6
		.amdhsa_user_sgpr_private_segment_buffer 1
		.amdhsa_user_sgpr_dispatch_ptr 0
		.amdhsa_user_sgpr_queue_ptr 0
		.amdhsa_user_sgpr_kernarg_segment_ptr 1
		.amdhsa_user_sgpr_dispatch_id 0
		.amdhsa_user_sgpr_flat_scratch_init 0
		.amdhsa_user_sgpr_kernarg_preload_length 0
		.amdhsa_user_sgpr_kernarg_preload_offset 0
		.amdhsa_user_sgpr_private_segment_size 0
		.amdhsa_uses_dynamic_stack 0
		.amdhsa_system_sgpr_private_segment_wavefront_offset 0
		.amdhsa_system_sgpr_workgroup_id_x 1
		.amdhsa_system_sgpr_workgroup_id_y 0
		.amdhsa_system_sgpr_workgroup_id_z 0
		.amdhsa_system_sgpr_workgroup_info 0
		.amdhsa_system_vgpr_workitem_id 0
		.amdhsa_next_free_vgpr 114
		.amdhsa_next_free_sgpr 44
		.amdhsa_accum_offset 116
		.amdhsa_reserve_vcc 1
		.amdhsa_reserve_flat_scratch 0
		.amdhsa_float_round_mode_32 0
		.amdhsa_float_round_mode_16_64 0
		.amdhsa_float_denorm_mode_32 3
		.amdhsa_float_denorm_mode_16_64 3
		.amdhsa_dx10_clamp 1
		.amdhsa_ieee_mode 1
		.amdhsa_fp16_overflow 0
		.amdhsa_tg_split 0
		.amdhsa_exception_fp_ieee_invalid_op 0
		.amdhsa_exception_fp_denorm_src 0
		.amdhsa_exception_fp_ieee_div_zero 0
		.amdhsa_exception_fp_ieee_overflow 0
		.amdhsa_exception_fp_ieee_underflow 0
		.amdhsa_exception_fp_ieee_inexact 0
		.amdhsa_exception_int_div_zero 0
	.end_amdhsa_kernel
	.section	.text._ZN7rocprim17ROCPRIM_400000_NS6detail17trampoline_kernelINS0_14default_configENS1_20scan_config_selectorIsEEZZNS1_9scan_implILNS1_25lookback_scan_determinismE0ELb0ELb0ES3_N6thrust23THRUST_200600_302600_NS6detail15normal_iteratorINS9_10device_ptrIsEEEESE_s9plus_mod3IsEsEEDaPvRmT3_T4_T5_mT6_P12ihipStream_tbENKUlT_T0_E_clISt17integral_constantIbLb1EESU_EEDaSP_SQ_EUlSP_E_NS1_11comp_targetILNS1_3genE4ELNS1_11target_archE910ELNS1_3gpuE8ELNS1_3repE0EEENS1_30default_config_static_selectorELNS0_4arch9wavefront6targetE1EEEvT1_,"axG",@progbits,_ZN7rocprim17ROCPRIM_400000_NS6detail17trampoline_kernelINS0_14default_configENS1_20scan_config_selectorIsEEZZNS1_9scan_implILNS1_25lookback_scan_determinismE0ELb0ELb0ES3_N6thrust23THRUST_200600_302600_NS6detail15normal_iteratorINS9_10device_ptrIsEEEESE_s9plus_mod3IsEsEEDaPvRmT3_T4_T5_mT6_P12ihipStream_tbENKUlT_T0_E_clISt17integral_constantIbLb1EESU_EEDaSP_SQ_EUlSP_E_NS1_11comp_targetILNS1_3genE4ELNS1_11target_archE910ELNS1_3gpuE8ELNS1_3repE0EEENS1_30default_config_static_selectorELNS0_4arch9wavefront6targetE1EEEvT1_,comdat
.Lfunc_end6698:
	.size	_ZN7rocprim17ROCPRIM_400000_NS6detail17trampoline_kernelINS0_14default_configENS1_20scan_config_selectorIsEEZZNS1_9scan_implILNS1_25lookback_scan_determinismE0ELb0ELb0ES3_N6thrust23THRUST_200600_302600_NS6detail15normal_iteratorINS9_10device_ptrIsEEEESE_s9plus_mod3IsEsEEDaPvRmT3_T4_T5_mT6_P12ihipStream_tbENKUlT_T0_E_clISt17integral_constantIbLb1EESU_EEDaSP_SQ_EUlSP_E_NS1_11comp_targetILNS1_3genE4ELNS1_11target_archE910ELNS1_3gpuE8ELNS1_3repE0EEENS1_30default_config_static_selectorELNS0_4arch9wavefront6targetE1EEEvT1_, .Lfunc_end6698-_ZN7rocprim17ROCPRIM_400000_NS6detail17trampoline_kernelINS0_14default_configENS1_20scan_config_selectorIsEEZZNS1_9scan_implILNS1_25lookback_scan_determinismE0ELb0ELb0ES3_N6thrust23THRUST_200600_302600_NS6detail15normal_iteratorINS9_10device_ptrIsEEEESE_s9plus_mod3IsEsEEDaPvRmT3_T4_T5_mT6_P12ihipStream_tbENKUlT_T0_E_clISt17integral_constantIbLb1EESU_EEDaSP_SQ_EUlSP_E_NS1_11comp_targetILNS1_3genE4ELNS1_11target_archE910ELNS1_3gpuE8ELNS1_3repE0EEENS1_30default_config_static_selectorELNS0_4arch9wavefront6targetE1EEEvT1_
                                        ; -- End function
	.section	.AMDGPU.csdata,"",@progbits
; Kernel info:
; codeLenInByte = 15652
; NumSgprs: 48
; NumVgprs: 114
; NumAgprs: 0
; TotalNumVgprs: 114
; ScratchSize: 0
; MemoryBound: 0
; FloatMode: 240
; IeeeMode: 1
; LDSByteSize: 3072 bytes/workgroup (compile time only)
; SGPRBlocks: 5
; VGPRBlocks: 14
; NumSGPRsForWavesPerEU: 48
; NumVGPRsForWavesPerEU: 114
; AccumOffset: 116
; Occupancy: 4
; WaveLimiterHint : 1
; COMPUTE_PGM_RSRC2:SCRATCH_EN: 0
; COMPUTE_PGM_RSRC2:USER_SGPR: 6
; COMPUTE_PGM_RSRC2:TRAP_HANDLER: 0
; COMPUTE_PGM_RSRC2:TGID_X_EN: 1
; COMPUTE_PGM_RSRC2:TGID_Y_EN: 0
; COMPUTE_PGM_RSRC2:TGID_Z_EN: 0
; COMPUTE_PGM_RSRC2:TIDIG_COMP_CNT: 0
; COMPUTE_PGM_RSRC3_GFX90A:ACCUM_OFFSET: 28
; COMPUTE_PGM_RSRC3_GFX90A:TG_SPLIT: 0
	.section	.text._ZN7rocprim17ROCPRIM_400000_NS6detail17trampoline_kernelINS0_14default_configENS1_20scan_config_selectorIsEEZZNS1_9scan_implILNS1_25lookback_scan_determinismE0ELb0ELb0ES3_N6thrust23THRUST_200600_302600_NS6detail15normal_iteratorINS9_10device_ptrIsEEEESE_s9plus_mod3IsEsEEDaPvRmT3_T4_T5_mT6_P12ihipStream_tbENKUlT_T0_E_clISt17integral_constantIbLb1EESU_EEDaSP_SQ_EUlSP_E_NS1_11comp_targetILNS1_3genE3ELNS1_11target_archE908ELNS1_3gpuE7ELNS1_3repE0EEENS1_30default_config_static_selectorELNS0_4arch9wavefront6targetE1EEEvT1_,"axG",@progbits,_ZN7rocprim17ROCPRIM_400000_NS6detail17trampoline_kernelINS0_14default_configENS1_20scan_config_selectorIsEEZZNS1_9scan_implILNS1_25lookback_scan_determinismE0ELb0ELb0ES3_N6thrust23THRUST_200600_302600_NS6detail15normal_iteratorINS9_10device_ptrIsEEEESE_s9plus_mod3IsEsEEDaPvRmT3_T4_T5_mT6_P12ihipStream_tbENKUlT_T0_E_clISt17integral_constantIbLb1EESU_EEDaSP_SQ_EUlSP_E_NS1_11comp_targetILNS1_3genE3ELNS1_11target_archE908ELNS1_3gpuE7ELNS1_3repE0EEENS1_30default_config_static_selectorELNS0_4arch9wavefront6targetE1EEEvT1_,comdat
	.protected	_ZN7rocprim17ROCPRIM_400000_NS6detail17trampoline_kernelINS0_14default_configENS1_20scan_config_selectorIsEEZZNS1_9scan_implILNS1_25lookback_scan_determinismE0ELb0ELb0ES3_N6thrust23THRUST_200600_302600_NS6detail15normal_iteratorINS9_10device_ptrIsEEEESE_s9plus_mod3IsEsEEDaPvRmT3_T4_T5_mT6_P12ihipStream_tbENKUlT_T0_E_clISt17integral_constantIbLb1EESU_EEDaSP_SQ_EUlSP_E_NS1_11comp_targetILNS1_3genE3ELNS1_11target_archE908ELNS1_3gpuE7ELNS1_3repE0EEENS1_30default_config_static_selectorELNS0_4arch9wavefront6targetE1EEEvT1_ ; -- Begin function _ZN7rocprim17ROCPRIM_400000_NS6detail17trampoline_kernelINS0_14default_configENS1_20scan_config_selectorIsEEZZNS1_9scan_implILNS1_25lookback_scan_determinismE0ELb0ELb0ES3_N6thrust23THRUST_200600_302600_NS6detail15normal_iteratorINS9_10device_ptrIsEEEESE_s9plus_mod3IsEsEEDaPvRmT3_T4_T5_mT6_P12ihipStream_tbENKUlT_T0_E_clISt17integral_constantIbLb1EESU_EEDaSP_SQ_EUlSP_E_NS1_11comp_targetILNS1_3genE3ELNS1_11target_archE908ELNS1_3gpuE7ELNS1_3repE0EEENS1_30default_config_static_selectorELNS0_4arch9wavefront6targetE1EEEvT1_
	.globl	_ZN7rocprim17ROCPRIM_400000_NS6detail17trampoline_kernelINS0_14default_configENS1_20scan_config_selectorIsEEZZNS1_9scan_implILNS1_25lookback_scan_determinismE0ELb0ELb0ES3_N6thrust23THRUST_200600_302600_NS6detail15normal_iteratorINS9_10device_ptrIsEEEESE_s9plus_mod3IsEsEEDaPvRmT3_T4_T5_mT6_P12ihipStream_tbENKUlT_T0_E_clISt17integral_constantIbLb1EESU_EEDaSP_SQ_EUlSP_E_NS1_11comp_targetILNS1_3genE3ELNS1_11target_archE908ELNS1_3gpuE7ELNS1_3repE0EEENS1_30default_config_static_selectorELNS0_4arch9wavefront6targetE1EEEvT1_
	.p2align	8
	.type	_ZN7rocprim17ROCPRIM_400000_NS6detail17trampoline_kernelINS0_14default_configENS1_20scan_config_selectorIsEEZZNS1_9scan_implILNS1_25lookback_scan_determinismE0ELb0ELb0ES3_N6thrust23THRUST_200600_302600_NS6detail15normal_iteratorINS9_10device_ptrIsEEEESE_s9plus_mod3IsEsEEDaPvRmT3_T4_T5_mT6_P12ihipStream_tbENKUlT_T0_E_clISt17integral_constantIbLb1EESU_EEDaSP_SQ_EUlSP_E_NS1_11comp_targetILNS1_3genE3ELNS1_11target_archE908ELNS1_3gpuE7ELNS1_3repE0EEENS1_30default_config_static_selectorELNS0_4arch9wavefront6targetE1EEEvT1_,@function
_ZN7rocprim17ROCPRIM_400000_NS6detail17trampoline_kernelINS0_14default_configENS1_20scan_config_selectorIsEEZZNS1_9scan_implILNS1_25lookback_scan_determinismE0ELb0ELb0ES3_N6thrust23THRUST_200600_302600_NS6detail15normal_iteratorINS9_10device_ptrIsEEEESE_s9plus_mod3IsEsEEDaPvRmT3_T4_T5_mT6_P12ihipStream_tbENKUlT_T0_E_clISt17integral_constantIbLb1EESU_EEDaSP_SQ_EUlSP_E_NS1_11comp_targetILNS1_3genE3ELNS1_11target_archE908ELNS1_3gpuE7ELNS1_3repE0EEENS1_30default_config_static_selectorELNS0_4arch9wavefront6targetE1EEEvT1_: ; @_ZN7rocprim17ROCPRIM_400000_NS6detail17trampoline_kernelINS0_14default_configENS1_20scan_config_selectorIsEEZZNS1_9scan_implILNS1_25lookback_scan_determinismE0ELb0ELb0ES3_N6thrust23THRUST_200600_302600_NS6detail15normal_iteratorINS9_10device_ptrIsEEEESE_s9plus_mod3IsEsEEDaPvRmT3_T4_T5_mT6_P12ihipStream_tbENKUlT_T0_E_clISt17integral_constantIbLb1EESU_EEDaSP_SQ_EUlSP_E_NS1_11comp_targetILNS1_3genE3ELNS1_11target_archE908ELNS1_3gpuE7ELNS1_3repE0EEENS1_30default_config_static_selectorELNS0_4arch9wavefront6targetE1EEEvT1_
; %bb.0:
	.section	.rodata,"a",@progbits
	.p2align	6, 0x0
	.amdhsa_kernel _ZN7rocprim17ROCPRIM_400000_NS6detail17trampoline_kernelINS0_14default_configENS1_20scan_config_selectorIsEEZZNS1_9scan_implILNS1_25lookback_scan_determinismE0ELb0ELb0ES3_N6thrust23THRUST_200600_302600_NS6detail15normal_iteratorINS9_10device_ptrIsEEEESE_s9plus_mod3IsEsEEDaPvRmT3_T4_T5_mT6_P12ihipStream_tbENKUlT_T0_E_clISt17integral_constantIbLb1EESU_EEDaSP_SQ_EUlSP_E_NS1_11comp_targetILNS1_3genE3ELNS1_11target_archE908ELNS1_3gpuE7ELNS1_3repE0EEENS1_30default_config_static_selectorELNS0_4arch9wavefront6targetE1EEEvT1_
		.amdhsa_group_segment_fixed_size 0
		.amdhsa_private_segment_fixed_size 0
		.amdhsa_kernarg_size 104
		.amdhsa_user_sgpr_count 6
		.amdhsa_user_sgpr_private_segment_buffer 1
		.amdhsa_user_sgpr_dispatch_ptr 0
		.amdhsa_user_sgpr_queue_ptr 0
		.amdhsa_user_sgpr_kernarg_segment_ptr 1
		.amdhsa_user_sgpr_dispatch_id 0
		.amdhsa_user_sgpr_flat_scratch_init 0
		.amdhsa_user_sgpr_kernarg_preload_length 0
		.amdhsa_user_sgpr_kernarg_preload_offset 0
		.amdhsa_user_sgpr_private_segment_size 0
		.amdhsa_uses_dynamic_stack 0
		.amdhsa_system_sgpr_private_segment_wavefront_offset 0
		.amdhsa_system_sgpr_workgroup_id_x 1
		.amdhsa_system_sgpr_workgroup_id_y 0
		.amdhsa_system_sgpr_workgroup_id_z 0
		.amdhsa_system_sgpr_workgroup_info 0
		.amdhsa_system_vgpr_workitem_id 0
		.amdhsa_next_free_vgpr 1
		.amdhsa_next_free_sgpr 0
		.amdhsa_accum_offset 4
		.amdhsa_reserve_vcc 0
		.amdhsa_reserve_flat_scratch 0
		.amdhsa_float_round_mode_32 0
		.amdhsa_float_round_mode_16_64 0
		.amdhsa_float_denorm_mode_32 3
		.amdhsa_float_denorm_mode_16_64 3
		.amdhsa_dx10_clamp 1
		.amdhsa_ieee_mode 1
		.amdhsa_fp16_overflow 0
		.amdhsa_tg_split 0
		.amdhsa_exception_fp_ieee_invalid_op 0
		.amdhsa_exception_fp_denorm_src 0
		.amdhsa_exception_fp_ieee_div_zero 0
		.amdhsa_exception_fp_ieee_overflow 0
		.amdhsa_exception_fp_ieee_underflow 0
		.amdhsa_exception_fp_ieee_inexact 0
		.amdhsa_exception_int_div_zero 0
	.end_amdhsa_kernel
	.section	.text._ZN7rocprim17ROCPRIM_400000_NS6detail17trampoline_kernelINS0_14default_configENS1_20scan_config_selectorIsEEZZNS1_9scan_implILNS1_25lookback_scan_determinismE0ELb0ELb0ES3_N6thrust23THRUST_200600_302600_NS6detail15normal_iteratorINS9_10device_ptrIsEEEESE_s9plus_mod3IsEsEEDaPvRmT3_T4_T5_mT6_P12ihipStream_tbENKUlT_T0_E_clISt17integral_constantIbLb1EESU_EEDaSP_SQ_EUlSP_E_NS1_11comp_targetILNS1_3genE3ELNS1_11target_archE908ELNS1_3gpuE7ELNS1_3repE0EEENS1_30default_config_static_selectorELNS0_4arch9wavefront6targetE1EEEvT1_,"axG",@progbits,_ZN7rocprim17ROCPRIM_400000_NS6detail17trampoline_kernelINS0_14default_configENS1_20scan_config_selectorIsEEZZNS1_9scan_implILNS1_25lookback_scan_determinismE0ELb0ELb0ES3_N6thrust23THRUST_200600_302600_NS6detail15normal_iteratorINS9_10device_ptrIsEEEESE_s9plus_mod3IsEsEEDaPvRmT3_T4_T5_mT6_P12ihipStream_tbENKUlT_T0_E_clISt17integral_constantIbLb1EESU_EEDaSP_SQ_EUlSP_E_NS1_11comp_targetILNS1_3genE3ELNS1_11target_archE908ELNS1_3gpuE7ELNS1_3repE0EEENS1_30default_config_static_selectorELNS0_4arch9wavefront6targetE1EEEvT1_,comdat
.Lfunc_end6699:
	.size	_ZN7rocprim17ROCPRIM_400000_NS6detail17trampoline_kernelINS0_14default_configENS1_20scan_config_selectorIsEEZZNS1_9scan_implILNS1_25lookback_scan_determinismE0ELb0ELb0ES3_N6thrust23THRUST_200600_302600_NS6detail15normal_iteratorINS9_10device_ptrIsEEEESE_s9plus_mod3IsEsEEDaPvRmT3_T4_T5_mT6_P12ihipStream_tbENKUlT_T0_E_clISt17integral_constantIbLb1EESU_EEDaSP_SQ_EUlSP_E_NS1_11comp_targetILNS1_3genE3ELNS1_11target_archE908ELNS1_3gpuE7ELNS1_3repE0EEENS1_30default_config_static_selectorELNS0_4arch9wavefront6targetE1EEEvT1_, .Lfunc_end6699-_ZN7rocprim17ROCPRIM_400000_NS6detail17trampoline_kernelINS0_14default_configENS1_20scan_config_selectorIsEEZZNS1_9scan_implILNS1_25lookback_scan_determinismE0ELb0ELb0ES3_N6thrust23THRUST_200600_302600_NS6detail15normal_iteratorINS9_10device_ptrIsEEEESE_s9plus_mod3IsEsEEDaPvRmT3_T4_T5_mT6_P12ihipStream_tbENKUlT_T0_E_clISt17integral_constantIbLb1EESU_EEDaSP_SQ_EUlSP_E_NS1_11comp_targetILNS1_3genE3ELNS1_11target_archE908ELNS1_3gpuE7ELNS1_3repE0EEENS1_30default_config_static_selectorELNS0_4arch9wavefront6targetE1EEEvT1_
                                        ; -- End function
	.section	.AMDGPU.csdata,"",@progbits
; Kernel info:
; codeLenInByte = 0
; NumSgprs: 4
; NumVgprs: 0
; NumAgprs: 0
; TotalNumVgprs: 0
; ScratchSize: 0
; MemoryBound: 0
; FloatMode: 240
; IeeeMode: 1
; LDSByteSize: 0 bytes/workgroup (compile time only)
; SGPRBlocks: 0
; VGPRBlocks: 0
; NumSGPRsForWavesPerEU: 4
; NumVGPRsForWavesPerEU: 1
; AccumOffset: 4
; Occupancy: 8
; WaveLimiterHint : 0
; COMPUTE_PGM_RSRC2:SCRATCH_EN: 0
; COMPUTE_PGM_RSRC2:USER_SGPR: 6
; COMPUTE_PGM_RSRC2:TRAP_HANDLER: 0
; COMPUTE_PGM_RSRC2:TGID_X_EN: 1
; COMPUTE_PGM_RSRC2:TGID_Y_EN: 0
; COMPUTE_PGM_RSRC2:TGID_Z_EN: 0
; COMPUTE_PGM_RSRC2:TIDIG_COMP_CNT: 0
; COMPUTE_PGM_RSRC3_GFX90A:ACCUM_OFFSET: 0
; COMPUTE_PGM_RSRC3_GFX90A:TG_SPLIT: 0
	.section	.text._ZN7rocprim17ROCPRIM_400000_NS6detail17trampoline_kernelINS0_14default_configENS1_20scan_config_selectorIsEEZZNS1_9scan_implILNS1_25lookback_scan_determinismE0ELb0ELb0ES3_N6thrust23THRUST_200600_302600_NS6detail15normal_iteratorINS9_10device_ptrIsEEEESE_s9plus_mod3IsEsEEDaPvRmT3_T4_T5_mT6_P12ihipStream_tbENKUlT_T0_E_clISt17integral_constantIbLb1EESU_EEDaSP_SQ_EUlSP_E_NS1_11comp_targetILNS1_3genE2ELNS1_11target_archE906ELNS1_3gpuE6ELNS1_3repE0EEENS1_30default_config_static_selectorELNS0_4arch9wavefront6targetE1EEEvT1_,"axG",@progbits,_ZN7rocprim17ROCPRIM_400000_NS6detail17trampoline_kernelINS0_14default_configENS1_20scan_config_selectorIsEEZZNS1_9scan_implILNS1_25lookback_scan_determinismE0ELb0ELb0ES3_N6thrust23THRUST_200600_302600_NS6detail15normal_iteratorINS9_10device_ptrIsEEEESE_s9plus_mod3IsEsEEDaPvRmT3_T4_T5_mT6_P12ihipStream_tbENKUlT_T0_E_clISt17integral_constantIbLb1EESU_EEDaSP_SQ_EUlSP_E_NS1_11comp_targetILNS1_3genE2ELNS1_11target_archE906ELNS1_3gpuE6ELNS1_3repE0EEENS1_30default_config_static_selectorELNS0_4arch9wavefront6targetE1EEEvT1_,comdat
	.protected	_ZN7rocprim17ROCPRIM_400000_NS6detail17trampoline_kernelINS0_14default_configENS1_20scan_config_selectorIsEEZZNS1_9scan_implILNS1_25lookback_scan_determinismE0ELb0ELb0ES3_N6thrust23THRUST_200600_302600_NS6detail15normal_iteratorINS9_10device_ptrIsEEEESE_s9plus_mod3IsEsEEDaPvRmT3_T4_T5_mT6_P12ihipStream_tbENKUlT_T0_E_clISt17integral_constantIbLb1EESU_EEDaSP_SQ_EUlSP_E_NS1_11comp_targetILNS1_3genE2ELNS1_11target_archE906ELNS1_3gpuE6ELNS1_3repE0EEENS1_30default_config_static_selectorELNS0_4arch9wavefront6targetE1EEEvT1_ ; -- Begin function _ZN7rocprim17ROCPRIM_400000_NS6detail17trampoline_kernelINS0_14default_configENS1_20scan_config_selectorIsEEZZNS1_9scan_implILNS1_25lookback_scan_determinismE0ELb0ELb0ES3_N6thrust23THRUST_200600_302600_NS6detail15normal_iteratorINS9_10device_ptrIsEEEESE_s9plus_mod3IsEsEEDaPvRmT3_T4_T5_mT6_P12ihipStream_tbENKUlT_T0_E_clISt17integral_constantIbLb1EESU_EEDaSP_SQ_EUlSP_E_NS1_11comp_targetILNS1_3genE2ELNS1_11target_archE906ELNS1_3gpuE6ELNS1_3repE0EEENS1_30default_config_static_selectorELNS0_4arch9wavefront6targetE1EEEvT1_
	.globl	_ZN7rocprim17ROCPRIM_400000_NS6detail17trampoline_kernelINS0_14default_configENS1_20scan_config_selectorIsEEZZNS1_9scan_implILNS1_25lookback_scan_determinismE0ELb0ELb0ES3_N6thrust23THRUST_200600_302600_NS6detail15normal_iteratorINS9_10device_ptrIsEEEESE_s9plus_mod3IsEsEEDaPvRmT3_T4_T5_mT6_P12ihipStream_tbENKUlT_T0_E_clISt17integral_constantIbLb1EESU_EEDaSP_SQ_EUlSP_E_NS1_11comp_targetILNS1_3genE2ELNS1_11target_archE906ELNS1_3gpuE6ELNS1_3repE0EEENS1_30default_config_static_selectorELNS0_4arch9wavefront6targetE1EEEvT1_
	.p2align	8
	.type	_ZN7rocprim17ROCPRIM_400000_NS6detail17trampoline_kernelINS0_14default_configENS1_20scan_config_selectorIsEEZZNS1_9scan_implILNS1_25lookback_scan_determinismE0ELb0ELb0ES3_N6thrust23THRUST_200600_302600_NS6detail15normal_iteratorINS9_10device_ptrIsEEEESE_s9plus_mod3IsEsEEDaPvRmT3_T4_T5_mT6_P12ihipStream_tbENKUlT_T0_E_clISt17integral_constantIbLb1EESU_EEDaSP_SQ_EUlSP_E_NS1_11comp_targetILNS1_3genE2ELNS1_11target_archE906ELNS1_3gpuE6ELNS1_3repE0EEENS1_30default_config_static_selectorELNS0_4arch9wavefront6targetE1EEEvT1_,@function
_ZN7rocprim17ROCPRIM_400000_NS6detail17trampoline_kernelINS0_14default_configENS1_20scan_config_selectorIsEEZZNS1_9scan_implILNS1_25lookback_scan_determinismE0ELb0ELb0ES3_N6thrust23THRUST_200600_302600_NS6detail15normal_iteratorINS9_10device_ptrIsEEEESE_s9plus_mod3IsEsEEDaPvRmT3_T4_T5_mT6_P12ihipStream_tbENKUlT_T0_E_clISt17integral_constantIbLb1EESU_EEDaSP_SQ_EUlSP_E_NS1_11comp_targetILNS1_3genE2ELNS1_11target_archE906ELNS1_3gpuE6ELNS1_3repE0EEENS1_30default_config_static_selectorELNS0_4arch9wavefront6targetE1EEEvT1_: ; @_ZN7rocprim17ROCPRIM_400000_NS6detail17trampoline_kernelINS0_14default_configENS1_20scan_config_selectorIsEEZZNS1_9scan_implILNS1_25lookback_scan_determinismE0ELb0ELb0ES3_N6thrust23THRUST_200600_302600_NS6detail15normal_iteratorINS9_10device_ptrIsEEEESE_s9plus_mod3IsEsEEDaPvRmT3_T4_T5_mT6_P12ihipStream_tbENKUlT_T0_E_clISt17integral_constantIbLb1EESU_EEDaSP_SQ_EUlSP_E_NS1_11comp_targetILNS1_3genE2ELNS1_11target_archE906ELNS1_3gpuE6ELNS1_3repE0EEENS1_30default_config_static_selectorELNS0_4arch9wavefront6targetE1EEEvT1_
; %bb.0:
	.section	.rodata,"a",@progbits
	.p2align	6, 0x0
	.amdhsa_kernel _ZN7rocprim17ROCPRIM_400000_NS6detail17trampoline_kernelINS0_14default_configENS1_20scan_config_selectorIsEEZZNS1_9scan_implILNS1_25lookback_scan_determinismE0ELb0ELb0ES3_N6thrust23THRUST_200600_302600_NS6detail15normal_iteratorINS9_10device_ptrIsEEEESE_s9plus_mod3IsEsEEDaPvRmT3_T4_T5_mT6_P12ihipStream_tbENKUlT_T0_E_clISt17integral_constantIbLb1EESU_EEDaSP_SQ_EUlSP_E_NS1_11comp_targetILNS1_3genE2ELNS1_11target_archE906ELNS1_3gpuE6ELNS1_3repE0EEENS1_30default_config_static_selectorELNS0_4arch9wavefront6targetE1EEEvT1_
		.amdhsa_group_segment_fixed_size 0
		.amdhsa_private_segment_fixed_size 0
		.amdhsa_kernarg_size 104
		.amdhsa_user_sgpr_count 6
		.amdhsa_user_sgpr_private_segment_buffer 1
		.amdhsa_user_sgpr_dispatch_ptr 0
		.amdhsa_user_sgpr_queue_ptr 0
		.amdhsa_user_sgpr_kernarg_segment_ptr 1
		.amdhsa_user_sgpr_dispatch_id 0
		.amdhsa_user_sgpr_flat_scratch_init 0
		.amdhsa_user_sgpr_kernarg_preload_length 0
		.amdhsa_user_sgpr_kernarg_preload_offset 0
		.amdhsa_user_sgpr_private_segment_size 0
		.amdhsa_uses_dynamic_stack 0
		.amdhsa_system_sgpr_private_segment_wavefront_offset 0
		.amdhsa_system_sgpr_workgroup_id_x 1
		.amdhsa_system_sgpr_workgroup_id_y 0
		.amdhsa_system_sgpr_workgroup_id_z 0
		.amdhsa_system_sgpr_workgroup_info 0
		.amdhsa_system_vgpr_workitem_id 0
		.amdhsa_next_free_vgpr 1
		.amdhsa_next_free_sgpr 0
		.amdhsa_accum_offset 4
		.amdhsa_reserve_vcc 0
		.amdhsa_reserve_flat_scratch 0
		.amdhsa_float_round_mode_32 0
		.amdhsa_float_round_mode_16_64 0
		.amdhsa_float_denorm_mode_32 3
		.amdhsa_float_denorm_mode_16_64 3
		.amdhsa_dx10_clamp 1
		.amdhsa_ieee_mode 1
		.amdhsa_fp16_overflow 0
		.amdhsa_tg_split 0
		.amdhsa_exception_fp_ieee_invalid_op 0
		.amdhsa_exception_fp_denorm_src 0
		.amdhsa_exception_fp_ieee_div_zero 0
		.amdhsa_exception_fp_ieee_overflow 0
		.amdhsa_exception_fp_ieee_underflow 0
		.amdhsa_exception_fp_ieee_inexact 0
		.amdhsa_exception_int_div_zero 0
	.end_amdhsa_kernel
	.section	.text._ZN7rocprim17ROCPRIM_400000_NS6detail17trampoline_kernelINS0_14default_configENS1_20scan_config_selectorIsEEZZNS1_9scan_implILNS1_25lookback_scan_determinismE0ELb0ELb0ES3_N6thrust23THRUST_200600_302600_NS6detail15normal_iteratorINS9_10device_ptrIsEEEESE_s9plus_mod3IsEsEEDaPvRmT3_T4_T5_mT6_P12ihipStream_tbENKUlT_T0_E_clISt17integral_constantIbLb1EESU_EEDaSP_SQ_EUlSP_E_NS1_11comp_targetILNS1_3genE2ELNS1_11target_archE906ELNS1_3gpuE6ELNS1_3repE0EEENS1_30default_config_static_selectorELNS0_4arch9wavefront6targetE1EEEvT1_,"axG",@progbits,_ZN7rocprim17ROCPRIM_400000_NS6detail17trampoline_kernelINS0_14default_configENS1_20scan_config_selectorIsEEZZNS1_9scan_implILNS1_25lookback_scan_determinismE0ELb0ELb0ES3_N6thrust23THRUST_200600_302600_NS6detail15normal_iteratorINS9_10device_ptrIsEEEESE_s9plus_mod3IsEsEEDaPvRmT3_T4_T5_mT6_P12ihipStream_tbENKUlT_T0_E_clISt17integral_constantIbLb1EESU_EEDaSP_SQ_EUlSP_E_NS1_11comp_targetILNS1_3genE2ELNS1_11target_archE906ELNS1_3gpuE6ELNS1_3repE0EEENS1_30default_config_static_selectorELNS0_4arch9wavefront6targetE1EEEvT1_,comdat
.Lfunc_end6700:
	.size	_ZN7rocprim17ROCPRIM_400000_NS6detail17trampoline_kernelINS0_14default_configENS1_20scan_config_selectorIsEEZZNS1_9scan_implILNS1_25lookback_scan_determinismE0ELb0ELb0ES3_N6thrust23THRUST_200600_302600_NS6detail15normal_iteratorINS9_10device_ptrIsEEEESE_s9plus_mod3IsEsEEDaPvRmT3_T4_T5_mT6_P12ihipStream_tbENKUlT_T0_E_clISt17integral_constantIbLb1EESU_EEDaSP_SQ_EUlSP_E_NS1_11comp_targetILNS1_3genE2ELNS1_11target_archE906ELNS1_3gpuE6ELNS1_3repE0EEENS1_30default_config_static_selectorELNS0_4arch9wavefront6targetE1EEEvT1_, .Lfunc_end6700-_ZN7rocprim17ROCPRIM_400000_NS6detail17trampoline_kernelINS0_14default_configENS1_20scan_config_selectorIsEEZZNS1_9scan_implILNS1_25lookback_scan_determinismE0ELb0ELb0ES3_N6thrust23THRUST_200600_302600_NS6detail15normal_iteratorINS9_10device_ptrIsEEEESE_s9plus_mod3IsEsEEDaPvRmT3_T4_T5_mT6_P12ihipStream_tbENKUlT_T0_E_clISt17integral_constantIbLb1EESU_EEDaSP_SQ_EUlSP_E_NS1_11comp_targetILNS1_3genE2ELNS1_11target_archE906ELNS1_3gpuE6ELNS1_3repE0EEENS1_30default_config_static_selectorELNS0_4arch9wavefront6targetE1EEEvT1_
                                        ; -- End function
	.section	.AMDGPU.csdata,"",@progbits
; Kernel info:
; codeLenInByte = 0
; NumSgprs: 4
; NumVgprs: 0
; NumAgprs: 0
; TotalNumVgprs: 0
; ScratchSize: 0
; MemoryBound: 0
; FloatMode: 240
; IeeeMode: 1
; LDSByteSize: 0 bytes/workgroup (compile time only)
; SGPRBlocks: 0
; VGPRBlocks: 0
; NumSGPRsForWavesPerEU: 4
; NumVGPRsForWavesPerEU: 1
; AccumOffset: 4
; Occupancy: 8
; WaveLimiterHint : 0
; COMPUTE_PGM_RSRC2:SCRATCH_EN: 0
; COMPUTE_PGM_RSRC2:USER_SGPR: 6
; COMPUTE_PGM_RSRC2:TRAP_HANDLER: 0
; COMPUTE_PGM_RSRC2:TGID_X_EN: 1
; COMPUTE_PGM_RSRC2:TGID_Y_EN: 0
; COMPUTE_PGM_RSRC2:TGID_Z_EN: 0
; COMPUTE_PGM_RSRC2:TIDIG_COMP_CNT: 0
; COMPUTE_PGM_RSRC3_GFX90A:ACCUM_OFFSET: 0
; COMPUTE_PGM_RSRC3_GFX90A:TG_SPLIT: 0
	.section	.text._ZN7rocprim17ROCPRIM_400000_NS6detail17trampoline_kernelINS0_14default_configENS1_20scan_config_selectorIsEEZZNS1_9scan_implILNS1_25lookback_scan_determinismE0ELb0ELb0ES3_N6thrust23THRUST_200600_302600_NS6detail15normal_iteratorINS9_10device_ptrIsEEEESE_s9plus_mod3IsEsEEDaPvRmT3_T4_T5_mT6_P12ihipStream_tbENKUlT_T0_E_clISt17integral_constantIbLb1EESU_EEDaSP_SQ_EUlSP_E_NS1_11comp_targetILNS1_3genE10ELNS1_11target_archE1201ELNS1_3gpuE5ELNS1_3repE0EEENS1_30default_config_static_selectorELNS0_4arch9wavefront6targetE1EEEvT1_,"axG",@progbits,_ZN7rocprim17ROCPRIM_400000_NS6detail17trampoline_kernelINS0_14default_configENS1_20scan_config_selectorIsEEZZNS1_9scan_implILNS1_25lookback_scan_determinismE0ELb0ELb0ES3_N6thrust23THRUST_200600_302600_NS6detail15normal_iteratorINS9_10device_ptrIsEEEESE_s9plus_mod3IsEsEEDaPvRmT3_T4_T5_mT6_P12ihipStream_tbENKUlT_T0_E_clISt17integral_constantIbLb1EESU_EEDaSP_SQ_EUlSP_E_NS1_11comp_targetILNS1_3genE10ELNS1_11target_archE1201ELNS1_3gpuE5ELNS1_3repE0EEENS1_30default_config_static_selectorELNS0_4arch9wavefront6targetE1EEEvT1_,comdat
	.protected	_ZN7rocprim17ROCPRIM_400000_NS6detail17trampoline_kernelINS0_14default_configENS1_20scan_config_selectorIsEEZZNS1_9scan_implILNS1_25lookback_scan_determinismE0ELb0ELb0ES3_N6thrust23THRUST_200600_302600_NS6detail15normal_iteratorINS9_10device_ptrIsEEEESE_s9plus_mod3IsEsEEDaPvRmT3_T4_T5_mT6_P12ihipStream_tbENKUlT_T0_E_clISt17integral_constantIbLb1EESU_EEDaSP_SQ_EUlSP_E_NS1_11comp_targetILNS1_3genE10ELNS1_11target_archE1201ELNS1_3gpuE5ELNS1_3repE0EEENS1_30default_config_static_selectorELNS0_4arch9wavefront6targetE1EEEvT1_ ; -- Begin function _ZN7rocprim17ROCPRIM_400000_NS6detail17trampoline_kernelINS0_14default_configENS1_20scan_config_selectorIsEEZZNS1_9scan_implILNS1_25lookback_scan_determinismE0ELb0ELb0ES3_N6thrust23THRUST_200600_302600_NS6detail15normal_iteratorINS9_10device_ptrIsEEEESE_s9plus_mod3IsEsEEDaPvRmT3_T4_T5_mT6_P12ihipStream_tbENKUlT_T0_E_clISt17integral_constantIbLb1EESU_EEDaSP_SQ_EUlSP_E_NS1_11comp_targetILNS1_3genE10ELNS1_11target_archE1201ELNS1_3gpuE5ELNS1_3repE0EEENS1_30default_config_static_selectorELNS0_4arch9wavefront6targetE1EEEvT1_
	.globl	_ZN7rocprim17ROCPRIM_400000_NS6detail17trampoline_kernelINS0_14default_configENS1_20scan_config_selectorIsEEZZNS1_9scan_implILNS1_25lookback_scan_determinismE0ELb0ELb0ES3_N6thrust23THRUST_200600_302600_NS6detail15normal_iteratorINS9_10device_ptrIsEEEESE_s9plus_mod3IsEsEEDaPvRmT3_T4_T5_mT6_P12ihipStream_tbENKUlT_T0_E_clISt17integral_constantIbLb1EESU_EEDaSP_SQ_EUlSP_E_NS1_11comp_targetILNS1_3genE10ELNS1_11target_archE1201ELNS1_3gpuE5ELNS1_3repE0EEENS1_30default_config_static_selectorELNS0_4arch9wavefront6targetE1EEEvT1_
	.p2align	8
	.type	_ZN7rocprim17ROCPRIM_400000_NS6detail17trampoline_kernelINS0_14default_configENS1_20scan_config_selectorIsEEZZNS1_9scan_implILNS1_25lookback_scan_determinismE0ELb0ELb0ES3_N6thrust23THRUST_200600_302600_NS6detail15normal_iteratorINS9_10device_ptrIsEEEESE_s9plus_mod3IsEsEEDaPvRmT3_T4_T5_mT6_P12ihipStream_tbENKUlT_T0_E_clISt17integral_constantIbLb1EESU_EEDaSP_SQ_EUlSP_E_NS1_11comp_targetILNS1_3genE10ELNS1_11target_archE1201ELNS1_3gpuE5ELNS1_3repE0EEENS1_30default_config_static_selectorELNS0_4arch9wavefront6targetE1EEEvT1_,@function
_ZN7rocprim17ROCPRIM_400000_NS6detail17trampoline_kernelINS0_14default_configENS1_20scan_config_selectorIsEEZZNS1_9scan_implILNS1_25lookback_scan_determinismE0ELb0ELb0ES3_N6thrust23THRUST_200600_302600_NS6detail15normal_iteratorINS9_10device_ptrIsEEEESE_s9plus_mod3IsEsEEDaPvRmT3_T4_T5_mT6_P12ihipStream_tbENKUlT_T0_E_clISt17integral_constantIbLb1EESU_EEDaSP_SQ_EUlSP_E_NS1_11comp_targetILNS1_3genE10ELNS1_11target_archE1201ELNS1_3gpuE5ELNS1_3repE0EEENS1_30default_config_static_selectorELNS0_4arch9wavefront6targetE1EEEvT1_: ; @_ZN7rocprim17ROCPRIM_400000_NS6detail17trampoline_kernelINS0_14default_configENS1_20scan_config_selectorIsEEZZNS1_9scan_implILNS1_25lookback_scan_determinismE0ELb0ELb0ES3_N6thrust23THRUST_200600_302600_NS6detail15normal_iteratorINS9_10device_ptrIsEEEESE_s9plus_mod3IsEsEEDaPvRmT3_T4_T5_mT6_P12ihipStream_tbENKUlT_T0_E_clISt17integral_constantIbLb1EESU_EEDaSP_SQ_EUlSP_E_NS1_11comp_targetILNS1_3genE10ELNS1_11target_archE1201ELNS1_3gpuE5ELNS1_3repE0EEENS1_30default_config_static_selectorELNS0_4arch9wavefront6targetE1EEEvT1_
; %bb.0:
	.section	.rodata,"a",@progbits
	.p2align	6, 0x0
	.amdhsa_kernel _ZN7rocprim17ROCPRIM_400000_NS6detail17trampoline_kernelINS0_14default_configENS1_20scan_config_selectorIsEEZZNS1_9scan_implILNS1_25lookback_scan_determinismE0ELb0ELb0ES3_N6thrust23THRUST_200600_302600_NS6detail15normal_iteratorINS9_10device_ptrIsEEEESE_s9plus_mod3IsEsEEDaPvRmT3_T4_T5_mT6_P12ihipStream_tbENKUlT_T0_E_clISt17integral_constantIbLb1EESU_EEDaSP_SQ_EUlSP_E_NS1_11comp_targetILNS1_3genE10ELNS1_11target_archE1201ELNS1_3gpuE5ELNS1_3repE0EEENS1_30default_config_static_selectorELNS0_4arch9wavefront6targetE1EEEvT1_
		.amdhsa_group_segment_fixed_size 0
		.amdhsa_private_segment_fixed_size 0
		.amdhsa_kernarg_size 104
		.amdhsa_user_sgpr_count 6
		.amdhsa_user_sgpr_private_segment_buffer 1
		.amdhsa_user_sgpr_dispatch_ptr 0
		.amdhsa_user_sgpr_queue_ptr 0
		.amdhsa_user_sgpr_kernarg_segment_ptr 1
		.amdhsa_user_sgpr_dispatch_id 0
		.amdhsa_user_sgpr_flat_scratch_init 0
		.amdhsa_user_sgpr_kernarg_preload_length 0
		.amdhsa_user_sgpr_kernarg_preload_offset 0
		.amdhsa_user_sgpr_private_segment_size 0
		.amdhsa_uses_dynamic_stack 0
		.amdhsa_system_sgpr_private_segment_wavefront_offset 0
		.amdhsa_system_sgpr_workgroup_id_x 1
		.amdhsa_system_sgpr_workgroup_id_y 0
		.amdhsa_system_sgpr_workgroup_id_z 0
		.amdhsa_system_sgpr_workgroup_info 0
		.amdhsa_system_vgpr_workitem_id 0
		.amdhsa_next_free_vgpr 1
		.amdhsa_next_free_sgpr 0
		.amdhsa_accum_offset 4
		.amdhsa_reserve_vcc 0
		.amdhsa_reserve_flat_scratch 0
		.amdhsa_float_round_mode_32 0
		.amdhsa_float_round_mode_16_64 0
		.amdhsa_float_denorm_mode_32 3
		.amdhsa_float_denorm_mode_16_64 3
		.amdhsa_dx10_clamp 1
		.amdhsa_ieee_mode 1
		.amdhsa_fp16_overflow 0
		.amdhsa_tg_split 0
		.amdhsa_exception_fp_ieee_invalid_op 0
		.amdhsa_exception_fp_denorm_src 0
		.amdhsa_exception_fp_ieee_div_zero 0
		.amdhsa_exception_fp_ieee_overflow 0
		.amdhsa_exception_fp_ieee_underflow 0
		.amdhsa_exception_fp_ieee_inexact 0
		.amdhsa_exception_int_div_zero 0
	.end_amdhsa_kernel
	.section	.text._ZN7rocprim17ROCPRIM_400000_NS6detail17trampoline_kernelINS0_14default_configENS1_20scan_config_selectorIsEEZZNS1_9scan_implILNS1_25lookback_scan_determinismE0ELb0ELb0ES3_N6thrust23THRUST_200600_302600_NS6detail15normal_iteratorINS9_10device_ptrIsEEEESE_s9plus_mod3IsEsEEDaPvRmT3_T4_T5_mT6_P12ihipStream_tbENKUlT_T0_E_clISt17integral_constantIbLb1EESU_EEDaSP_SQ_EUlSP_E_NS1_11comp_targetILNS1_3genE10ELNS1_11target_archE1201ELNS1_3gpuE5ELNS1_3repE0EEENS1_30default_config_static_selectorELNS0_4arch9wavefront6targetE1EEEvT1_,"axG",@progbits,_ZN7rocprim17ROCPRIM_400000_NS6detail17trampoline_kernelINS0_14default_configENS1_20scan_config_selectorIsEEZZNS1_9scan_implILNS1_25lookback_scan_determinismE0ELb0ELb0ES3_N6thrust23THRUST_200600_302600_NS6detail15normal_iteratorINS9_10device_ptrIsEEEESE_s9plus_mod3IsEsEEDaPvRmT3_T4_T5_mT6_P12ihipStream_tbENKUlT_T0_E_clISt17integral_constantIbLb1EESU_EEDaSP_SQ_EUlSP_E_NS1_11comp_targetILNS1_3genE10ELNS1_11target_archE1201ELNS1_3gpuE5ELNS1_3repE0EEENS1_30default_config_static_selectorELNS0_4arch9wavefront6targetE1EEEvT1_,comdat
.Lfunc_end6701:
	.size	_ZN7rocprim17ROCPRIM_400000_NS6detail17trampoline_kernelINS0_14default_configENS1_20scan_config_selectorIsEEZZNS1_9scan_implILNS1_25lookback_scan_determinismE0ELb0ELb0ES3_N6thrust23THRUST_200600_302600_NS6detail15normal_iteratorINS9_10device_ptrIsEEEESE_s9plus_mod3IsEsEEDaPvRmT3_T4_T5_mT6_P12ihipStream_tbENKUlT_T0_E_clISt17integral_constantIbLb1EESU_EEDaSP_SQ_EUlSP_E_NS1_11comp_targetILNS1_3genE10ELNS1_11target_archE1201ELNS1_3gpuE5ELNS1_3repE0EEENS1_30default_config_static_selectorELNS0_4arch9wavefront6targetE1EEEvT1_, .Lfunc_end6701-_ZN7rocprim17ROCPRIM_400000_NS6detail17trampoline_kernelINS0_14default_configENS1_20scan_config_selectorIsEEZZNS1_9scan_implILNS1_25lookback_scan_determinismE0ELb0ELb0ES3_N6thrust23THRUST_200600_302600_NS6detail15normal_iteratorINS9_10device_ptrIsEEEESE_s9plus_mod3IsEsEEDaPvRmT3_T4_T5_mT6_P12ihipStream_tbENKUlT_T0_E_clISt17integral_constantIbLb1EESU_EEDaSP_SQ_EUlSP_E_NS1_11comp_targetILNS1_3genE10ELNS1_11target_archE1201ELNS1_3gpuE5ELNS1_3repE0EEENS1_30default_config_static_selectorELNS0_4arch9wavefront6targetE1EEEvT1_
                                        ; -- End function
	.section	.AMDGPU.csdata,"",@progbits
; Kernel info:
; codeLenInByte = 0
; NumSgprs: 4
; NumVgprs: 0
; NumAgprs: 0
; TotalNumVgprs: 0
; ScratchSize: 0
; MemoryBound: 0
; FloatMode: 240
; IeeeMode: 1
; LDSByteSize: 0 bytes/workgroup (compile time only)
; SGPRBlocks: 0
; VGPRBlocks: 0
; NumSGPRsForWavesPerEU: 4
; NumVGPRsForWavesPerEU: 1
; AccumOffset: 4
; Occupancy: 8
; WaveLimiterHint : 0
; COMPUTE_PGM_RSRC2:SCRATCH_EN: 0
; COMPUTE_PGM_RSRC2:USER_SGPR: 6
; COMPUTE_PGM_RSRC2:TRAP_HANDLER: 0
; COMPUTE_PGM_RSRC2:TGID_X_EN: 1
; COMPUTE_PGM_RSRC2:TGID_Y_EN: 0
; COMPUTE_PGM_RSRC2:TGID_Z_EN: 0
; COMPUTE_PGM_RSRC2:TIDIG_COMP_CNT: 0
; COMPUTE_PGM_RSRC3_GFX90A:ACCUM_OFFSET: 0
; COMPUTE_PGM_RSRC3_GFX90A:TG_SPLIT: 0
	.section	.text._ZN7rocprim17ROCPRIM_400000_NS6detail17trampoline_kernelINS0_14default_configENS1_20scan_config_selectorIsEEZZNS1_9scan_implILNS1_25lookback_scan_determinismE0ELb0ELb0ES3_N6thrust23THRUST_200600_302600_NS6detail15normal_iteratorINS9_10device_ptrIsEEEESE_s9plus_mod3IsEsEEDaPvRmT3_T4_T5_mT6_P12ihipStream_tbENKUlT_T0_E_clISt17integral_constantIbLb1EESU_EEDaSP_SQ_EUlSP_E_NS1_11comp_targetILNS1_3genE10ELNS1_11target_archE1200ELNS1_3gpuE4ELNS1_3repE0EEENS1_30default_config_static_selectorELNS0_4arch9wavefront6targetE1EEEvT1_,"axG",@progbits,_ZN7rocprim17ROCPRIM_400000_NS6detail17trampoline_kernelINS0_14default_configENS1_20scan_config_selectorIsEEZZNS1_9scan_implILNS1_25lookback_scan_determinismE0ELb0ELb0ES3_N6thrust23THRUST_200600_302600_NS6detail15normal_iteratorINS9_10device_ptrIsEEEESE_s9plus_mod3IsEsEEDaPvRmT3_T4_T5_mT6_P12ihipStream_tbENKUlT_T0_E_clISt17integral_constantIbLb1EESU_EEDaSP_SQ_EUlSP_E_NS1_11comp_targetILNS1_3genE10ELNS1_11target_archE1200ELNS1_3gpuE4ELNS1_3repE0EEENS1_30default_config_static_selectorELNS0_4arch9wavefront6targetE1EEEvT1_,comdat
	.protected	_ZN7rocprim17ROCPRIM_400000_NS6detail17trampoline_kernelINS0_14default_configENS1_20scan_config_selectorIsEEZZNS1_9scan_implILNS1_25lookback_scan_determinismE0ELb0ELb0ES3_N6thrust23THRUST_200600_302600_NS6detail15normal_iteratorINS9_10device_ptrIsEEEESE_s9plus_mod3IsEsEEDaPvRmT3_T4_T5_mT6_P12ihipStream_tbENKUlT_T0_E_clISt17integral_constantIbLb1EESU_EEDaSP_SQ_EUlSP_E_NS1_11comp_targetILNS1_3genE10ELNS1_11target_archE1200ELNS1_3gpuE4ELNS1_3repE0EEENS1_30default_config_static_selectorELNS0_4arch9wavefront6targetE1EEEvT1_ ; -- Begin function _ZN7rocprim17ROCPRIM_400000_NS6detail17trampoline_kernelINS0_14default_configENS1_20scan_config_selectorIsEEZZNS1_9scan_implILNS1_25lookback_scan_determinismE0ELb0ELb0ES3_N6thrust23THRUST_200600_302600_NS6detail15normal_iteratorINS9_10device_ptrIsEEEESE_s9plus_mod3IsEsEEDaPvRmT3_T4_T5_mT6_P12ihipStream_tbENKUlT_T0_E_clISt17integral_constantIbLb1EESU_EEDaSP_SQ_EUlSP_E_NS1_11comp_targetILNS1_3genE10ELNS1_11target_archE1200ELNS1_3gpuE4ELNS1_3repE0EEENS1_30default_config_static_selectorELNS0_4arch9wavefront6targetE1EEEvT1_
	.globl	_ZN7rocprim17ROCPRIM_400000_NS6detail17trampoline_kernelINS0_14default_configENS1_20scan_config_selectorIsEEZZNS1_9scan_implILNS1_25lookback_scan_determinismE0ELb0ELb0ES3_N6thrust23THRUST_200600_302600_NS6detail15normal_iteratorINS9_10device_ptrIsEEEESE_s9plus_mod3IsEsEEDaPvRmT3_T4_T5_mT6_P12ihipStream_tbENKUlT_T0_E_clISt17integral_constantIbLb1EESU_EEDaSP_SQ_EUlSP_E_NS1_11comp_targetILNS1_3genE10ELNS1_11target_archE1200ELNS1_3gpuE4ELNS1_3repE0EEENS1_30default_config_static_selectorELNS0_4arch9wavefront6targetE1EEEvT1_
	.p2align	8
	.type	_ZN7rocprim17ROCPRIM_400000_NS6detail17trampoline_kernelINS0_14default_configENS1_20scan_config_selectorIsEEZZNS1_9scan_implILNS1_25lookback_scan_determinismE0ELb0ELb0ES3_N6thrust23THRUST_200600_302600_NS6detail15normal_iteratorINS9_10device_ptrIsEEEESE_s9plus_mod3IsEsEEDaPvRmT3_T4_T5_mT6_P12ihipStream_tbENKUlT_T0_E_clISt17integral_constantIbLb1EESU_EEDaSP_SQ_EUlSP_E_NS1_11comp_targetILNS1_3genE10ELNS1_11target_archE1200ELNS1_3gpuE4ELNS1_3repE0EEENS1_30default_config_static_selectorELNS0_4arch9wavefront6targetE1EEEvT1_,@function
_ZN7rocprim17ROCPRIM_400000_NS6detail17trampoline_kernelINS0_14default_configENS1_20scan_config_selectorIsEEZZNS1_9scan_implILNS1_25lookback_scan_determinismE0ELb0ELb0ES3_N6thrust23THRUST_200600_302600_NS6detail15normal_iteratorINS9_10device_ptrIsEEEESE_s9plus_mod3IsEsEEDaPvRmT3_T4_T5_mT6_P12ihipStream_tbENKUlT_T0_E_clISt17integral_constantIbLb1EESU_EEDaSP_SQ_EUlSP_E_NS1_11comp_targetILNS1_3genE10ELNS1_11target_archE1200ELNS1_3gpuE4ELNS1_3repE0EEENS1_30default_config_static_selectorELNS0_4arch9wavefront6targetE1EEEvT1_: ; @_ZN7rocprim17ROCPRIM_400000_NS6detail17trampoline_kernelINS0_14default_configENS1_20scan_config_selectorIsEEZZNS1_9scan_implILNS1_25lookback_scan_determinismE0ELb0ELb0ES3_N6thrust23THRUST_200600_302600_NS6detail15normal_iteratorINS9_10device_ptrIsEEEESE_s9plus_mod3IsEsEEDaPvRmT3_T4_T5_mT6_P12ihipStream_tbENKUlT_T0_E_clISt17integral_constantIbLb1EESU_EEDaSP_SQ_EUlSP_E_NS1_11comp_targetILNS1_3genE10ELNS1_11target_archE1200ELNS1_3gpuE4ELNS1_3repE0EEENS1_30default_config_static_selectorELNS0_4arch9wavefront6targetE1EEEvT1_
; %bb.0:
	.section	.rodata,"a",@progbits
	.p2align	6, 0x0
	.amdhsa_kernel _ZN7rocprim17ROCPRIM_400000_NS6detail17trampoline_kernelINS0_14default_configENS1_20scan_config_selectorIsEEZZNS1_9scan_implILNS1_25lookback_scan_determinismE0ELb0ELb0ES3_N6thrust23THRUST_200600_302600_NS6detail15normal_iteratorINS9_10device_ptrIsEEEESE_s9plus_mod3IsEsEEDaPvRmT3_T4_T5_mT6_P12ihipStream_tbENKUlT_T0_E_clISt17integral_constantIbLb1EESU_EEDaSP_SQ_EUlSP_E_NS1_11comp_targetILNS1_3genE10ELNS1_11target_archE1200ELNS1_3gpuE4ELNS1_3repE0EEENS1_30default_config_static_selectorELNS0_4arch9wavefront6targetE1EEEvT1_
		.amdhsa_group_segment_fixed_size 0
		.amdhsa_private_segment_fixed_size 0
		.amdhsa_kernarg_size 104
		.amdhsa_user_sgpr_count 6
		.amdhsa_user_sgpr_private_segment_buffer 1
		.amdhsa_user_sgpr_dispatch_ptr 0
		.amdhsa_user_sgpr_queue_ptr 0
		.amdhsa_user_sgpr_kernarg_segment_ptr 1
		.amdhsa_user_sgpr_dispatch_id 0
		.amdhsa_user_sgpr_flat_scratch_init 0
		.amdhsa_user_sgpr_kernarg_preload_length 0
		.amdhsa_user_sgpr_kernarg_preload_offset 0
		.amdhsa_user_sgpr_private_segment_size 0
		.amdhsa_uses_dynamic_stack 0
		.amdhsa_system_sgpr_private_segment_wavefront_offset 0
		.amdhsa_system_sgpr_workgroup_id_x 1
		.amdhsa_system_sgpr_workgroup_id_y 0
		.amdhsa_system_sgpr_workgroup_id_z 0
		.amdhsa_system_sgpr_workgroup_info 0
		.amdhsa_system_vgpr_workitem_id 0
		.amdhsa_next_free_vgpr 1
		.amdhsa_next_free_sgpr 0
		.amdhsa_accum_offset 4
		.amdhsa_reserve_vcc 0
		.amdhsa_reserve_flat_scratch 0
		.amdhsa_float_round_mode_32 0
		.amdhsa_float_round_mode_16_64 0
		.amdhsa_float_denorm_mode_32 3
		.amdhsa_float_denorm_mode_16_64 3
		.amdhsa_dx10_clamp 1
		.amdhsa_ieee_mode 1
		.amdhsa_fp16_overflow 0
		.amdhsa_tg_split 0
		.amdhsa_exception_fp_ieee_invalid_op 0
		.amdhsa_exception_fp_denorm_src 0
		.amdhsa_exception_fp_ieee_div_zero 0
		.amdhsa_exception_fp_ieee_overflow 0
		.amdhsa_exception_fp_ieee_underflow 0
		.amdhsa_exception_fp_ieee_inexact 0
		.amdhsa_exception_int_div_zero 0
	.end_amdhsa_kernel
	.section	.text._ZN7rocprim17ROCPRIM_400000_NS6detail17trampoline_kernelINS0_14default_configENS1_20scan_config_selectorIsEEZZNS1_9scan_implILNS1_25lookback_scan_determinismE0ELb0ELb0ES3_N6thrust23THRUST_200600_302600_NS6detail15normal_iteratorINS9_10device_ptrIsEEEESE_s9plus_mod3IsEsEEDaPvRmT3_T4_T5_mT6_P12ihipStream_tbENKUlT_T0_E_clISt17integral_constantIbLb1EESU_EEDaSP_SQ_EUlSP_E_NS1_11comp_targetILNS1_3genE10ELNS1_11target_archE1200ELNS1_3gpuE4ELNS1_3repE0EEENS1_30default_config_static_selectorELNS0_4arch9wavefront6targetE1EEEvT1_,"axG",@progbits,_ZN7rocprim17ROCPRIM_400000_NS6detail17trampoline_kernelINS0_14default_configENS1_20scan_config_selectorIsEEZZNS1_9scan_implILNS1_25lookback_scan_determinismE0ELb0ELb0ES3_N6thrust23THRUST_200600_302600_NS6detail15normal_iteratorINS9_10device_ptrIsEEEESE_s9plus_mod3IsEsEEDaPvRmT3_T4_T5_mT6_P12ihipStream_tbENKUlT_T0_E_clISt17integral_constantIbLb1EESU_EEDaSP_SQ_EUlSP_E_NS1_11comp_targetILNS1_3genE10ELNS1_11target_archE1200ELNS1_3gpuE4ELNS1_3repE0EEENS1_30default_config_static_selectorELNS0_4arch9wavefront6targetE1EEEvT1_,comdat
.Lfunc_end6702:
	.size	_ZN7rocprim17ROCPRIM_400000_NS6detail17trampoline_kernelINS0_14default_configENS1_20scan_config_selectorIsEEZZNS1_9scan_implILNS1_25lookback_scan_determinismE0ELb0ELb0ES3_N6thrust23THRUST_200600_302600_NS6detail15normal_iteratorINS9_10device_ptrIsEEEESE_s9plus_mod3IsEsEEDaPvRmT3_T4_T5_mT6_P12ihipStream_tbENKUlT_T0_E_clISt17integral_constantIbLb1EESU_EEDaSP_SQ_EUlSP_E_NS1_11comp_targetILNS1_3genE10ELNS1_11target_archE1200ELNS1_3gpuE4ELNS1_3repE0EEENS1_30default_config_static_selectorELNS0_4arch9wavefront6targetE1EEEvT1_, .Lfunc_end6702-_ZN7rocprim17ROCPRIM_400000_NS6detail17trampoline_kernelINS0_14default_configENS1_20scan_config_selectorIsEEZZNS1_9scan_implILNS1_25lookback_scan_determinismE0ELb0ELb0ES3_N6thrust23THRUST_200600_302600_NS6detail15normal_iteratorINS9_10device_ptrIsEEEESE_s9plus_mod3IsEsEEDaPvRmT3_T4_T5_mT6_P12ihipStream_tbENKUlT_T0_E_clISt17integral_constantIbLb1EESU_EEDaSP_SQ_EUlSP_E_NS1_11comp_targetILNS1_3genE10ELNS1_11target_archE1200ELNS1_3gpuE4ELNS1_3repE0EEENS1_30default_config_static_selectorELNS0_4arch9wavefront6targetE1EEEvT1_
                                        ; -- End function
	.section	.AMDGPU.csdata,"",@progbits
; Kernel info:
; codeLenInByte = 0
; NumSgprs: 4
; NumVgprs: 0
; NumAgprs: 0
; TotalNumVgprs: 0
; ScratchSize: 0
; MemoryBound: 0
; FloatMode: 240
; IeeeMode: 1
; LDSByteSize: 0 bytes/workgroup (compile time only)
; SGPRBlocks: 0
; VGPRBlocks: 0
; NumSGPRsForWavesPerEU: 4
; NumVGPRsForWavesPerEU: 1
; AccumOffset: 4
; Occupancy: 8
; WaveLimiterHint : 0
; COMPUTE_PGM_RSRC2:SCRATCH_EN: 0
; COMPUTE_PGM_RSRC2:USER_SGPR: 6
; COMPUTE_PGM_RSRC2:TRAP_HANDLER: 0
; COMPUTE_PGM_RSRC2:TGID_X_EN: 1
; COMPUTE_PGM_RSRC2:TGID_Y_EN: 0
; COMPUTE_PGM_RSRC2:TGID_Z_EN: 0
; COMPUTE_PGM_RSRC2:TIDIG_COMP_CNT: 0
; COMPUTE_PGM_RSRC3_GFX90A:ACCUM_OFFSET: 0
; COMPUTE_PGM_RSRC3_GFX90A:TG_SPLIT: 0
	.section	.text._ZN7rocprim17ROCPRIM_400000_NS6detail17trampoline_kernelINS0_14default_configENS1_20scan_config_selectorIsEEZZNS1_9scan_implILNS1_25lookback_scan_determinismE0ELb0ELb0ES3_N6thrust23THRUST_200600_302600_NS6detail15normal_iteratorINS9_10device_ptrIsEEEESE_s9plus_mod3IsEsEEDaPvRmT3_T4_T5_mT6_P12ihipStream_tbENKUlT_T0_E_clISt17integral_constantIbLb1EESU_EEDaSP_SQ_EUlSP_E_NS1_11comp_targetILNS1_3genE9ELNS1_11target_archE1100ELNS1_3gpuE3ELNS1_3repE0EEENS1_30default_config_static_selectorELNS0_4arch9wavefront6targetE1EEEvT1_,"axG",@progbits,_ZN7rocprim17ROCPRIM_400000_NS6detail17trampoline_kernelINS0_14default_configENS1_20scan_config_selectorIsEEZZNS1_9scan_implILNS1_25lookback_scan_determinismE0ELb0ELb0ES3_N6thrust23THRUST_200600_302600_NS6detail15normal_iteratorINS9_10device_ptrIsEEEESE_s9plus_mod3IsEsEEDaPvRmT3_T4_T5_mT6_P12ihipStream_tbENKUlT_T0_E_clISt17integral_constantIbLb1EESU_EEDaSP_SQ_EUlSP_E_NS1_11comp_targetILNS1_3genE9ELNS1_11target_archE1100ELNS1_3gpuE3ELNS1_3repE0EEENS1_30default_config_static_selectorELNS0_4arch9wavefront6targetE1EEEvT1_,comdat
	.protected	_ZN7rocprim17ROCPRIM_400000_NS6detail17trampoline_kernelINS0_14default_configENS1_20scan_config_selectorIsEEZZNS1_9scan_implILNS1_25lookback_scan_determinismE0ELb0ELb0ES3_N6thrust23THRUST_200600_302600_NS6detail15normal_iteratorINS9_10device_ptrIsEEEESE_s9plus_mod3IsEsEEDaPvRmT3_T4_T5_mT6_P12ihipStream_tbENKUlT_T0_E_clISt17integral_constantIbLb1EESU_EEDaSP_SQ_EUlSP_E_NS1_11comp_targetILNS1_3genE9ELNS1_11target_archE1100ELNS1_3gpuE3ELNS1_3repE0EEENS1_30default_config_static_selectorELNS0_4arch9wavefront6targetE1EEEvT1_ ; -- Begin function _ZN7rocprim17ROCPRIM_400000_NS6detail17trampoline_kernelINS0_14default_configENS1_20scan_config_selectorIsEEZZNS1_9scan_implILNS1_25lookback_scan_determinismE0ELb0ELb0ES3_N6thrust23THRUST_200600_302600_NS6detail15normal_iteratorINS9_10device_ptrIsEEEESE_s9plus_mod3IsEsEEDaPvRmT3_T4_T5_mT6_P12ihipStream_tbENKUlT_T0_E_clISt17integral_constantIbLb1EESU_EEDaSP_SQ_EUlSP_E_NS1_11comp_targetILNS1_3genE9ELNS1_11target_archE1100ELNS1_3gpuE3ELNS1_3repE0EEENS1_30default_config_static_selectorELNS0_4arch9wavefront6targetE1EEEvT1_
	.globl	_ZN7rocprim17ROCPRIM_400000_NS6detail17trampoline_kernelINS0_14default_configENS1_20scan_config_selectorIsEEZZNS1_9scan_implILNS1_25lookback_scan_determinismE0ELb0ELb0ES3_N6thrust23THRUST_200600_302600_NS6detail15normal_iteratorINS9_10device_ptrIsEEEESE_s9plus_mod3IsEsEEDaPvRmT3_T4_T5_mT6_P12ihipStream_tbENKUlT_T0_E_clISt17integral_constantIbLb1EESU_EEDaSP_SQ_EUlSP_E_NS1_11comp_targetILNS1_3genE9ELNS1_11target_archE1100ELNS1_3gpuE3ELNS1_3repE0EEENS1_30default_config_static_selectorELNS0_4arch9wavefront6targetE1EEEvT1_
	.p2align	8
	.type	_ZN7rocprim17ROCPRIM_400000_NS6detail17trampoline_kernelINS0_14default_configENS1_20scan_config_selectorIsEEZZNS1_9scan_implILNS1_25lookback_scan_determinismE0ELb0ELb0ES3_N6thrust23THRUST_200600_302600_NS6detail15normal_iteratorINS9_10device_ptrIsEEEESE_s9plus_mod3IsEsEEDaPvRmT3_T4_T5_mT6_P12ihipStream_tbENKUlT_T0_E_clISt17integral_constantIbLb1EESU_EEDaSP_SQ_EUlSP_E_NS1_11comp_targetILNS1_3genE9ELNS1_11target_archE1100ELNS1_3gpuE3ELNS1_3repE0EEENS1_30default_config_static_selectorELNS0_4arch9wavefront6targetE1EEEvT1_,@function
_ZN7rocprim17ROCPRIM_400000_NS6detail17trampoline_kernelINS0_14default_configENS1_20scan_config_selectorIsEEZZNS1_9scan_implILNS1_25lookback_scan_determinismE0ELb0ELb0ES3_N6thrust23THRUST_200600_302600_NS6detail15normal_iteratorINS9_10device_ptrIsEEEESE_s9plus_mod3IsEsEEDaPvRmT3_T4_T5_mT6_P12ihipStream_tbENKUlT_T0_E_clISt17integral_constantIbLb1EESU_EEDaSP_SQ_EUlSP_E_NS1_11comp_targetILNS1_3genE9ELNS1_11target_archE1100ELNS1_3gpuE3ELNS1_3repE0EEENS1_30default_config_static_selectorELNS0_4arch9wavefront6targetE1EEEvT1_: ; @_ZN7rocprim17ROCPRIM_400000_NS6detail17trampoline_kernelINS0_14default_configENS1_20scan_config_selectorIsEEZZNS1_9scan_implILNS1_25lookback_scan_determinismE0ELb0ELb0ES3_N6thrust23THRUST_200600_302600_NS6detail15normal_iteratorINS9_10device_ptrIsEEEESE_s9plus_mod3IsEsEEDaPvRmT3_T4_T5_mT6_P12ihipStream_tbENKUlT_T0_E_clISt17integral_constantIbLb1EESU_EEDaSP_SQ_EUlSP_E_NS1_11comp_targetILNS1_3genE9ELNS1_11target_archE1100ELNS1_3gpuE3ELNS1_3repE0EEENS1_30default_config_static_selectorELNS0_4arch9wavefront6targetE1EEEvT1_
; %bb.0:
	.section	.rodata,"a",@progbits
	.p2align	6, 0x0
	.amdhsa_kernel _ZN7rocprim17ROCPRIM_400000_NS6detail17trampoline_kernelINS0_14default_configENS1_20scan_config_selectorIsEEZZNS1_9scan_implILNS1_25lookback_scan_determinismE0ELb0ELb0ES3_N6thrust23THRUST_200600_302600_NS6detail15normal_iteratorINS9_10device_ptrIsEEEESE_s9plus_mod3IsEsEEDaPvRmT3_T4_T5_mT6_P12ihipStream_tbENKUlT_T0_E_clISt17integral_constantIbLb1EESU_EEDaSP_SQ_EUlSP_E_NS1_11comp_targetILNS1_3genE9ELNS1_11target_archE1100ELNS1_3gpuE3ELNS1_3repE0EEENS1_30default_config_static_selectorELNS0_4arch9wavefront6targetE1EEEvT1_
		.amdhsa_group_segment_fixed_size 0
		.amdhsa_private_segment_fixed_size 0
		.amdhsa_kernarg_size 104
		.amdhsa_user_sgpr_count 6
		.amdhsa_user_sgpr_private_segment_buffer 1
		.amdhsa_user_sgpr_dispatch_ptr 0
		.amdhsa_user_sgpr_queue_ptr 0
		.amdhsa_user_sgpr_kernarg_segment_ptr 1
		.amdhsa_user_sgpr_dispatch_id 0
		.amdhsa_user_sgpr_flat_scratch_init 0
		.amdhsa_user_sgpr_kernarg_preload_length 0
		.amdhsa_user_sgpr_kernarg_preload_offset 0
		.amdhsa_user_sgpr_private_segment_size 0
		.amdhsa_uses_dynamic_stack 0
		.amdhsa_system_sgpr_private_segment_wavefront_offset 0
		.amdhsa_system_sgpr_workgroup_id_x 1
		.amdhsa_system_sgpr_workgroup_id_y 0
		.amdhsa_system_sgpr_workgroup_id_z 0
		.amdhsa_system_sgpr_workgroup_info 0
		.amdhsa_system_vgpr_workitem_id 0
		.amdhsa_next_free_vgpr 1
		.amdhsa_next_free_sgpr 0
		.amdhsa_accum_offset 4
		.amdhsa_reserve_vcc 0
		.amdhsa_reserve_flat_scratch 0
		.amdhsa_float_round_mode_32 0
		.amdhsa_float_round_mode_16_64 0
		.amdhsa_float_denorm_mode_32 3
		.amdhsa_float_denorm_mode_16_64 3
		.amdhsa_dx10_clamp 1
		.amdhsa_ieee_mode 1
		.amdhsa_fp16_overflow 0
		.amdhsa_tg_split 0
		.amdhsa_exception_fp_ieee_invalid_op 0
		.amdhsa_exception_fp_denorm_src 0
		.amdhsa_exception_fp_ieee_div_zero 0
		.amdhsa_exception_fp_ieee_overflow 0
		.amdhsa_exception_fp_ieee_underflow 0
		.amdhsa_exception_fp_ieee_inexact 0
		.amdhsa_exception_int_div_zero 0
	.end_amdhsa_kernel
	.section	.text._ZN7rocprim17ROCPRIM_400000_NS6detail17trampoline_kernelINS0_14default_configENS1_20scan_config_selectorIsEEZZNS1_9scan_implILNS1_25lookback_scan_determinismE0ELb0ELb0ES3_N6thrust23THRUST_200600_302600_NS6detail15normal_iteratorINS9_10device_ptrIsEEEESE_s9plus_mod3IsEsEEDaPvRmT3_T4_T5_mT6_P12ihipStream_tbENKUlT_T0_E_clISt17integral_constantIbLb1EESU_EEDaSP_SQ_EUlSP_E_NS1_11comp_targetILNS1_3genE9ELNS1_11target_archE1100ELNS1_3gpuE3ELNS1_3repE0EEENS1_30default_config_static_selectorELNS0_4arch9wavefront6targetE1EEEvT1_,"axG",@progbits,_ZN7rocprim17ROCPRIM_400000_NS6detail17trampoline_kernelINS0_14default_configENS1_20scan_config_selectorIsEEZZNS1_9scan_implILNS1_25lookback_scan_determinismE0ELb0ELb0ES3_N6thrust23THRUST_200600_302600_NS6detail15normal_iteratorINS9_10device_ptrIsEEEESE_s9plus_mod3IsEsEEDaPvRmT3_T4_T5_mT6_P12ihipStream_tbENKUlT_T0_E_clISt17integral_constantIbLb1EESU_EEDaSP_SQ_EUlSP_E_NS1_11comp_targetILNS1_3genE9ELNS1_11target_archE1100ELNS1_3gpuE3ELNS1_3repE0EEENS1_30default_config_static_selectorELNS0_4arch9wavefront6targetE1EEEvT1_,comdat
.Lfunc_end6703:
	.size	_ZN7rocprim17ROCPRIM_400000_NS6detail17trampoline_kernelINS0_14default_configENS1_20scan_config_selectorIsEEZZNS1_9scan_implILNS1_25lookback_scan_determinismE0ELb0ELb0ES3_N6thrust23THRUST_200600_302600_NS6detail15normal_iteratorINS9_10device_ptrIsEEEESE_s9plus_mod3IsEsEEDaPvRmT3_T4_T5_mT6_P12ihipStream_tbENKUlT_T0_E_clISt17integral_constantIbLb1EESU_EEDaSP_SQ_EUlSP_E_NS1_11comp_targetILNS1_3genE9ELNS1_11target_archE1100ELNS1_3gpuE3ELNS1_3repE0EEENS1_30default_config_static_selectorELNS0_4arch9wavefront6targetE1EEEvT1_, .Lfunc_end6703-_ZN7rocprim17ROCPRIM_400000_NS6detail17trampoline_kernelINS0_14default_configENS1_20scan_config_selectorIsEEZZNS1_9scan_implILNS1_25lookback_scan_determinismE0ELb0ELb0ES3_N6thrust23THRUST_200600_302600_NS6detail15normal_iteratorINS9_10device_ptrIsEEEESE_s9plus_mod3IsEsEEDaPvRmT3_T4_T5_mT6_P12ihipStream_tbENKUlT_T0_E_clISt17integral_constantIbLb1EESU_EEDaSP_SQ_EUlSP_E_NS1_11comp_targetILNS1_3genE9ELNS1_11target_archE1100ELNS1_3gpuE3ELNS1_3repE0EEENS1_30default_config_static_selectorELNS0_4arch9wavefront6targetE1EEEvT1_
                                        ; -- End function
	.section	.AMDGPU.csdata,"",@progbits
; Kernel info:
; codeLenInByte = 0
; NumSgprs: 4
; NumVgprs: 0
; NumAgprs: 0
; TotalNumVgprs: 0
; ScratchSize: 0
; MemoryBound: 0
; FloatMode: 240
; IeeeMode: 1
; LDSByteSize: 0 bytes/workgroup (compile time only)
; SGPRBlocks: 0
; VGPRBlocks: 0
; NumSGPRsForWavesPerEU: 4
; NumVGPRsForWavesPerEU: 1
; AccumOffset: 4
; Occupancy: 8
; WaveLimiterHint : 0
; COMPUTE_PGM_RSRC2:SCRATCH_EN: 0
; COMPUTE_PGM_RSRC2:USER_SGPR: 6
; COMPUTE_PGM_RSRC2:TRAP_HANDLER: 0
; COMPUTE_PGM_RSRC2:TGID_X_EN: 1
; COMPUTE_PGM_RSRC2:TGID_Y_EN: 0
; COMPUTE_PGM_RSRC2:TGID_Z_EN: 0
; COMPUTE_PGM_RSRC2:TIDIG_COMP_CNT: 0
; COMPUTE_PGM_RSRC3_GFX90A:ACCUM_OFFSET: 0
; COMPUTE_PGM_RSRC3_GFX90A:TG_SPLIT: 0
	.section	.text._ZN7rocprim17ROCPRIM_400000_NS6detail17trampoline_kernelINS0_14default_configENS1_20scan_config_selectorIsEEZZNS1_9scan_implILNS1_25lookback_scan_determinismE0ELb0ELb0ES3_N6thrust23THRUST_200600_302600_NS6detail15normal_iteratorINS9_10device_ptrIsEEEESE_s9plus_mod3IsEsEEDaPvRmT3_T4_T5_mT6_P12ihipStream_tbENKUlT_T0_E_clISt17integral_constantIbLb1EESU_EEDaSP_SQ_EUlSP_E_NS1_11comp_targetILNS1_3genE8ELNS1_11target_archE1030ELNS1_3gpuE2ELNS1_3repE0EEENS1_30default_config_static_selectorELNS0_4arch9wavefront6targetE1EEEvT1_,"axG",@progbits,_ZN7rocprim17ROCPRIM_400000_NS6detail17trampoline_kernelINS0_14default_configENS1_20scan_config_selectorIsEEZZNS1_9scan_implILNS1_25lookback_scan_determinismE0ELb0ELb0ES3_N6thrust23THRUST_200600_302600_NS6detail15normal_iteratorINS9_10device_ptrIsEEEESE_s9plus_mod3IsEsEEDaPvRmT3_T4_T5_mT6_P12ihipStream_tbENKUlT_T0_E_clISt17integral_constantIbLb1EESU_EEDaSP_SQ_EUlSP_E_NS1_11comp_targetILNS1_3genE8ELNS1_11target_archE1030ELNS1_3gpuE2ELNS1_3repE0EEENS1_30default_config_static_selectorELNS0_4arch9wavefront6targetE1EEEvT1_,comdat
	.protected	_ZN7rocprim17ROCPRIM_400000_NS6detail17trampoline_kernelINS0_14default_configENS1_20scan_config_selectorIsEEZZNS1_9scan_implILNS1_25lookback_scan_determinismE0ELb0ELb0ES3_N6thrust23THRUST_200600_302600_NS6detail15normal_iteratorINS9_10device_ptrIsEEEESE_s9plus_mod3IsEsEEDaPvRmT3_T4_T5_mT6_P12ihipStream_tbENKUlT_T0_E_clISt17integral_constantIbLb1EESU_EEDaSP_SQ_EUlSP_E_NS1_11comp_targetILNS1_3genE8ELNS1_11target_archE1030ELNS1_3gpuE2ELNS1_3repE0EEENS1_30default_config_static_selectorELNS0_4arch9wavefront6targetE1EEEvT1_ ; -- Begin function _ZN7rocprim17ROCPRIM_400000_NS6detail17trampoline_kernelINS0_14default_configENS1_20scan_config_selectorIsEEZZNS1_9scan_implILNS1_25lookback_scan_determinismE0ELb0ELb0ES3_N6thrust23THRUST_200600_302600_NS6detail15normal_iteratorINS9_10device_ptrIsEEEESE_s9plus_mod3IsEsEEDaPvRmT3_T4_T5_mT6_P12ihipStream_tbENKUlT_T0_E_clISt17integral_constantIbLb1EESU_EEDaSP_SQ_EUlSP_E_NS1_11comp_targetILNS1_3genE8ELNS1_11target_archE1030ELNS1_3gpuE2ELNS1_3repE0EEENS1_30default_config_static_selectorELNS0_4arch9wavefront6targetE1EEEvT1_
	.globl	_ZN7rocprim17ROCPRIM_400000_NS6detail17trampoline_kernelINS0_14default_configENS1_20scan_config_selectorIsEEZZNS1_9scan_implILNS1_25lookback_scan_determinismE0ELb0ELb0ES3_N6thrust23THRUST_200600_302600_NS6detail15normal_iteratorINS9_10device_ptrIsEEEESE_s9plus_mod3IsEsEEDaPvRmT3_T4_T5_mT6_P12ihipStream_tbENKUlT_T0_E_clISt17integral_constantIbLb1EESU_EEDaSP_SQ_EUlSP_E_NS1_11comp_targetILNS1_3genE8ELNS1_11target_archE1030ELNS1_3gpuE2ELNS1_3repE0EEENS1_30default_config_static_selectorELNS0_4arch9wavefront6targetE1EEEvT1_
	.p2align	8
	.type	_ZN7rocprim17ROCPRIM_400000_NS6detail17trampoline_kernelINS0_14default_configENS1_20scan_config_selectorIsEEZZNS1_9scan_implILNS1_25lookback_scan_determinismE0ELb0ELb0ES3_N6thrust23THRUST_200600_302600_NS6detail15normal_iteratorINS9_10device_ptrIsEEEESE_s9plus_mod3IsEsEEDaPvRmT3_T4_T5_mT6_P12ihipStream_tbENKUlT_T0_E_clISt17integral_constantIbLb1EESU_EEDaSP_SQ_EUlSP_E_NS1_11comp_targetILNS1_3genE8ELNS1_11target_archE1030ELNS1_3gpuE2ELNS1_3repE0EEENS1_30default_config_static_selectorELNS0_4arch9wavefront6targetE1EEEvT1_,@function
_ZN7rocprim17ROCPRIM_400000_NS6detail17trampoline_kernelINS0_14default_configENS1_20scan_config_selectorIsEEZZNS1_9scan_implILNS1_25lookback_scan_determinismE0ELb0ELb0ES3_N6thrust23THRUST_200600_302600_NS6detail15normal_iteratorINS9_10device_ptrIsEEEESE_s9plus_mod3IsEsEEDaPvRmT3_T4_T5_mT6_P12ihipStream_tbENKUlT_T0_E_clISt17integral_constantIbLb1EESU_EEDaSP_SQ_EUlSP_E_NS1_11comp_targetILNS1_3genE8ELNS1_11target_archE1030ELNS1_3gpuE2ELNS1_3repE0EEENS1_30default_config_static_selectorELNS0_4arch9wavefront6targetE1EEEvT1_: ; @_ZN7rocprim17ROCPRIM_400000_NS6detail17trampoline_kernelINS0_14default_configENS1_20scan_config_selectorIsEEZZNS1_9scan_implILNS1_25lookback_scan_determinismE0ELb0ELb0ES3_N6thrust23THRUST_200600_302600_NS6detail15normal_iteratorINS9_10device_ptrIsEEEESE_s9plus_mod3IsEsEEDaPvRmT3_T4_T5_mT6_P12ihipStream_tbENKUlT_T0_E_clISt17integral_constantIbLb1EESU_EEDaSP_SQ_EUlSP_E_NS1_11comp_targetILNS1_3genE8ELNS1_11target_archE1030ELNS1_3gpuE2ELNS1_3repE0EEENS1_30default_config_static_selectorELNS0_4arch9wavefront6targetE1EEEvT1_
; %bb.0:
	.section	.rodata,"a",@progbits
	.p2align	6, 0x0
	.amdhsa_kernel _ZN7rocprim17ROCPRIM_400000_NS6detail17trampoline_kernelINS0_14default_configENS1_20scan_config_selectorIsEEZZNS1_9scan_implILNS1_25lookback_scan_determinismE0ELb0ELb0ES3_N6thrust23THRUST_200600_302600_NS6detail15normal_iteratorINS9_10device_ptrIsEEEESE_s9plus_mod3IsEsEEDaPvRmT3_T4_T5_mT6_P12ihipStream_tbENKUlT_T0_E_clISt17integral_constantIbLb1EESU_EEDaSP_SQ_EUlSP_E_NS1_11comp_targetILNS1_3genE8ELNS1_11target_archE1030ELNS1_3gpuE2ELNS1_3repE0EEENS1_30default_config_static_selectorELNS0_4arch9wavefront6targetE1EEEvT1_
		.amdhsa_group_segment_fixed_size 0
		.amdhsa_private_segment_fixed_size 0
		.amdhsa_kernarg_size 104
		.amdhsa_user_sgpr_count 6
		.amdhsa_user_sgpr_private_segment_buffer 1
		.amdhsa_user_sgpr_dispatch_ptr 0
		.amdhsa_user_sgpr_queue_ptr 0
		.amdhsa_user_sgpr_kernarg_segment_ptr 1
		.amdhsa_user_sgpr_dispatch_id 0
		.amdhsa_user_sgpr_flat_scratch_init 0
		.amdhsa_user_sgpr_kernarg_preload_length 0
		.amdhsa_user_sgpr_kernarg_preload_offset 0
		.amdhsa_user_sgpr_private_segment_size 0
		.amdhsa_uses_dynamic_stack 0
		.amdhsa_system_sgpr_private_segment_wavefront_offset 0
		.amdhsa_system_sgpr_workgroup_id_x 1
		.amdhsa_system_sgpr_workgroup_id_y 0
		.amdhsa_system_sgpr_workgroup_id_z 0
		.amdhsa_system_sgpr_workgroup_info 0
		.amdhsa_system_vgpr_workitem_id 0
		.amdhsa_next_free_vgpr 1
		.amdhsa_next_free_sgpr 0
		.amdhsa_accum_offset 4
		.amdhsa_reserve_vcc 0
		.amdhsa_reserve_flat_scratch 0
		.amdhsa_float_round_mode_32 0
		.amdhsa_float_round_mode_16_64 0
		.amdhsa_float_denorm_mode_32 3
		.amdhsa_float_denorm_mode_16_64 3
		.amdhsa_dx10_clamp 1
		.amdhsa_ieee_mode 1
		.amdhsa_fp16_overflow 0
		.amdhsa_tg_split 0
		.amdhsa_exception_fp_ieee_invalid_op 0
		.amdhsa_exception_fp_denorm_src 0
		.amdhsa_exception_fp_ieee_div_zero 0
		.amdhsa_exception_fp_ieee_overflow 0
		.amdhsa_exception_fp_ieee_underflow 0
		.amdhsa_exception_fp_ieee_inexact 0
		.amdhsa_exception_int_div_zero 0
	.end_amdhsa_kernel
	.section	.text._ZN7rocprim17ROCPRIM_400000_NS6detail17trampoline_kernelINS0_14default_configENS1_20scan_config_selectorIsEEZZNS1_9scan_implILNS1_25lookback_scan_determinismE0ELb0ELb0ES3_N6thrust23THRUST_200600_302600_NS6detail15normal_iteratorINS9_10device_ptrIsEEEESE_s9plus_mod3IsEsEEDaPvRmT3_T4_T5_mT6_P12ihipStream_tbENKUlT_T0_E_clISt17integral_constantIbLb1EESU_EEDaSP_SQ_EUlSP_E_NS1_11comp_targetILNS1_3genE8ELNS1_11target_archE1030ELNS1_3gpuE2ELNS1_3repE0EEENS1_30default_config_static_selectorELNS0_4arch9wavefront6targetE1EEEvT1_,"axG",@progbits,_ZN7rocprim17ROCPRIM_400000_NS6detail17trampoline_kernelINS0_14default_configENS1_20scan_config_selectorIsEEZZNS1_9scan_implILNS1_25lookback_scan_determinismE0ELb0ELb0ES3_N6thrust23THRUST_200600_302600_NS6detail15normal_iteratorINS9_10device_ptrIsEEEESE_s9plus_mod3IsEsEEDaPvRmT3_T4_T5_mT6_P12ihipStream_tbENKUlT_T0_E_clISt17integral_constantIbLb1EESU_EEDaSP_SQ_EUlSP_E_NS1_11comp_targetILNS1_3genE8ELNS1_11target_archE1030ELNS1_3gpuE2ELNS1_3repE0EEENS1_30default_config_static_selectorELNS0_4arch9wavefront6targetE1EEEvT1_,comdat
.Lfunc_end6704:
	.size	_ZN7rocprim17ROCPRIM_400000_NS6detail17trampoline_kernelINS0_14default_configENS1_20scan_config_selectorIsEEZZNS1_9scan_implILNS1_25lookback_scan_determinismE0ELb0ELb0ES3_N6thrust23THRUST_200600_302600_NS6detail15normal_iteratorINS9_10device_ptrIsEEEESE_s9plus_mod3IsEsEEDaPvRmT3_T4_T5_mT6_P12ihipStream_tbENKUlT_T0_E_clISt17integral_constantIbLb1EESU_EEDaSP_SQ_EUlSP_E_NS1_11comp_targetILNS1_3genE8ELNS1_11target_archE1030ELNS1_3gpuE2ELNS1_3repE0EEENS1_30default_config_static_selectorELNS0_4arch9wavefront6targetE1EEEvT1_, .Lfunc_end6704-_ZN7rocprim17ROCPRIM_400000_NS6detail17trampoline_kernelINS0_14default_configENS1_20scan_config_selectorIsEEZZNS1_9scan_implILNS1_25lookback_scan_determinismE0ELb0ELb0ES3_N6thrust23THRUST_200600_302600_NS6detail15normal_iteratorINS9_10device_ptrIsEEEESE_s9plus_mod3IsEsEEDaPvRmT3_T4_T5_mT6_P12ihipStream_tbENKUlT_T0_E_clISt17integral_constantIbLb1EESU_EEDaSP_SQ_EUlSP_E_NS1_11comp_targetILNS1_3genE8ELNS1_11target_archE1030ELNS1_3gpuE2ELNS1_3repE0EEENS1_30default_config_static_selectorELNS0_4arch9wavefront6targetE1EEEvT1_
                                        ; -- End function
	.section	.AMDGPU.csdata,"",@progbits
; Kernel info:
; codeLenInByte = 0
; NumSgprs: 4
; NumVgprs: 0
; NumAgprs: 0
; TotalNumVgprs: 0
; ScratchSize: 0
; MemoryBound: 0
; FloatMode: 240
; IeeeMode: 1
; LDSByteSize: 0 bytes/workgroup (compile time only)
; SGPRBlocks: 0
; VGPRBlocks: 0
; NumSGPRsForWavesPerEU: 4
; NumVGPRsForWavesPerEU: 1
; AccumOffset: 4
; Occupancy: 8
; WaveLimiterHint : 0
; COMPUTE_PGM_RSRC2:SCRATCH_EN: 0
; COMPUTE_PGM_RSRC2:USER_SGPR: 6
; COMPUTE_PGM_RSRC2:TRAP_HANDLER: 0
; COMPUTE_PGM_RSRC2:TGID_X_EN: 1
; COMPUTE_PGM_RSRC2:TGID_Y_EN: 0
; COMPUTE_PGM_RSRC2:TGID_Z_EN: 0
; COMPUTE_PGM_RSRC2:TIDIG_COMP_CNT: 0
; COMPUTE_PGM_RSRC3_GFX90A:ACCUM_OFFSET: 0
; COMPUTE_PGM_RSRC3_GFX90A:TG_SPLIT: 0
	.section	.text._ZN7rocprim17ROCPRIM_400000_NS6detail17trampoline_kernelINS0_14default_configENS1_20scan_config_selectorIsEEZZNS1_9scan_implILNS1_25lookback_scan_determinismE0ELb0ELb0ES3_N6thrust23THRUST_200600_302600_NS6detail15normal_iteratorINS9_10device_ptrIsEEEESE_s9plus_mod3IsEsEEDaPvRmT3_T4_T5_mT6_P12ihipStream_tbENKUlT_T0_E_clISt17integral_constantIbLb1EESU_EEDaSP_SQ_EUlSP_E0_NS1_11comp_targetILNS1_3genE0ELNS1_11target_archE4294967295ELNS1_3gpuE0ELNS1_3repE0EEENS1_30default_config_static_selectorELNS0_4arch9wavefront6targetE1EEEvT1_,"axG",@progbits,_ZN7rocprim17ROCPRIM_400000_NS6detail17trampoline_kernelINS0_14default_configENS1_20scan_config_selectorIsEEZZNS1_9scan_implILNS1_25lookback_scan_determinismE0ELb0ELb0ES3_N6thrust23THRUST_200600_302600_NS6detail15normal_iteratorINS9_10device_ptrIsEEEESE_s9plus_mod3IsEsEEDaPvRmT3_T4_T5_mT6_P12ihipStream_tbENKUlT_T0_E_clISt17integral_constantIbLb1EESU_EEDaSP_SQ_EUlSP_E0_NS1_11comp_targetILNS1_3genE0ELNS1_11target_archE4294967295ELNS1_3gpuE0ELNS1_3repE0EEENS1_30default_config_static_selectorELNS0_4arch9wavefront6targetE1EEEvT1_,comdat
	.protected	_ZN7rocprim17ROCPRIM_400000_NS6detail17trampoline_kernelINS0_14default_configENS1_20scan_config_selectorIsEEZZNS1_9scan_implILNS1_25lookback_scan_determinismE0ELb0ELb0ES3_N6thrust23THRUST_200600_302600_NS6detail15normal_iteratorINS9_10device_ptrIsEEEESE_s9plus_mod3IsEsEEDaPvRmT3_T4_T5_mT6_P12ihipStream_tbENKUlT_T0_E_clISt17integral_constantIbLb1EESU_EEDaSP_SQ_EUlSP_E0_NS1_11comp_targetILNS1_3genE0ELNS1_11target_archE4294967295ELNS1_3gpuE0ELNS1_3repE0EEENS1_30default_config_static_selectorELNS0_4arch9wavefront6targetE1EEEvT1_ ; -- Begin function _ZN7rocprim17ROCPRIM_400000_NS6detail17trampoline_kernelINS0_14default_configENS1_20scan_config_selectorIsEEZZNS1_9scan_implILNS1_25lookback_scan_determinismE0ELb0ELb0ES3_N6thrust23THRUST_200600_302600_NS6detail15normal_iteratorINS9_10device_ptrIsEEEESE_s9plus_mod3IsEsEEDaPvRmT3_T4_T5_mT6_P12ihipStream_tbENKUlT_T0_E_clISt17integral_constantIbLb1EESU_EEDaSP_SQ_EUlSP_E0_NS1_11comp_targetILNS1_3genE0ELNS1_11target_archE4294967295ELNS1_3gpuE0ELNS1_3repE0EEENS1_30default_config_static_selectorELNS0_4arch9wavefront6targetE1EEEvT1_
	.globl	_ZN7rocprim17ROCPRIM_400000_NS6detail17trampoline_kernelINS0_14default_configENS1_20scan_config_selectorIsEEZZNS1_9scan_implILNS1_25lookback_scan_determinismE0ELb0ELb0ES3_N6thrust23THRUST_200600_302600_NS6detail15normal_iteratorINS9_10device_ptrIsEEEESE_s9plus_mod3IsEsEEDaPvRmT3_T4_T5_mT6_P12ihipStream_tbENKUlT_T0_E_clISt17integral_constantIbLb1EESU_EEDaSP_SQ_EUlSP_E0_NS1_11comp_targetILNS1_3genE0ELNS1_11target_archE4294967295ELNS1_3gpuE0ELNS1_3repE0EEENS1_30default_config_static_selectorELNS0_4arch9wavefront6targetE1EEEvT1_
	.p2align	8
	.type	_ZN7rocprim17ROCPRIM_400000_NS6detail17trampoline_kernelINS0_14default_configENS1_20scan_config_selectorIsEEZZNS1_9scan_implILNS1_25lookback_scan_determinismE0ELb0ELb0ES3_N6thrust23THRUST_200600_302600_NS6detail15normal_iteratorINS9_10device_ptrIsEEEESE_s9plus_mod3IsEsEEDaPvRmT3_T4_T5_mT6_P12ihipStream_tbENKUlT_T0_E_clISt17integral_constantIbLb1EESU_EEDaSP_SQ_EUlSP_E0_NS1_11comp_targetILNS1_3genE0ELNS1_11target_archE4294967295ELNS1_3gpuE0ELNS1_3repE0EEENS1_30default_config_static_selectorELNS0_4arch9wavefront6targetE1EEEvT1_,@function
_ZN7rocprim17ROCPRIM_400000_NS6detail17trampoline_kernelINS0_14default_configENS1_20scan_config_selectorIsEEZZNS1_9scan_implILNS1_25lookback_scan_determinismE0ELb0ELb0ES3_N6thrust23THRUST_200600_302600_NS6detail15normal_iteratorINS9_10device_ptrIsEEEESE_s9plus_mod3IsEsEEDaPvRmT3_T4_T5_mT6_P12ihipStream_tbENKUlT_T0_E_clISt17integral_constantIbLb1EESU_EEDaSP_SQ_EUlSP_E0_NS1_11comp_targetILNS1_3genE0ELNS1_11target_archE4294967295ELNS1_3gpuE0ELNS1_3repE0EEENS1_30default_config_static_selectorELNS0_4arch9wavefront6targetE1EEEvT1_: ; @_ZN7rocprim17ROCPRIM_400000_NS6detail17trampoline_kernelINS0_14default_configENS1_20scan_config_selectorIsEEZZNS1_9scan_implILNS1_25lookback_scan_determinismE0ELb0ELb0ES3_N6thrust23THRUST_200600_302600_NS6detail15normal_iteratorINS9_10device_ptrIsEEEESE_s9plus_mod3IsEsEEDaPvRmT3_T4_T5_mT6_P12ihipStream_tbENKUlT_T0_E_clISt17integral_constantIbLb1EESU_EEDaSP_SQ_EUlSP_E0_NS1_11comp_targetILNS1_3genE0ELNS1_11target_archE4294967295ELNS1_3gpuE0ELNS1_3repE0EEENS1_30default_config_static_selectorELNS0_4arch9wavefront6targetE1EEEvT1_
; %bb.0:
	.section	.rodata,"a",@progbits
	.p2align	6, 0x0
	.amdhsa_kernel _ZN7rocprim17ROCPRIM_400000_NS6detail17trampoline_kernelINS0_14default_configENS1_20scan_config_selectorIsEEZZNS1_9scan_implILNS1_25lookback_scan_determinismE0ELb0ELb0ES3_N6thrust23THRUST_200600_302600_NS6detail15normal_iteratorINS9_10device_ptrIsEEEESE_s9plus_mod3IsEsEEDaPvRmT3_T4_T5_mT6_P12ihipStream_tbENKUlT_T0_E_clISt17integral_constantIbLb1EESU_EEDaSP_SQ_EUlSP_E0_NS1_11comp_targetILNS1_3genE0ELNS1_11target_archE4294967295ELNS1_3gpuE0ELNS1_3repE0EEENS1_30default_config_static_selectorELNS0_4arch9wavefront6targetE1EEEvT1_
		.amdhsa_group_segment_fixed_size 0
		.amdhsa_private_segment_fixed_size 0
		.amdhsa_kernarg_size 40
		.amdhsa_user_sgpr_count 6
		.amdhsa_user_sgpr_private_segment_buffer 1
		.amdhsa_user_sgpr_dispatch_ptr 0
		.amdhsa_user_sgpr_queue_ptr 0
		.amdhsa_user_sgpr_kernarg_segment_ptr 1
		.amdhsa_user_sgpr_dispatch_id 0
		.amdhsa_user_sgpr_flat_scratch_init 0
		.amdhsa_user_sgpr_kernarg_preload_length 0
		.amdhsa_user_sgpr_kernarg_preload_offset 0
		.amdhsa_user_sgpr_private_segment_size 0
		.amdhsa_uses_dynamic_stack 0
		.amdhsa_system_sgpr_private_segment_wavefront_offset 0
		.amdhsa_system_sgpr_workgroup_id_x 1
		.amdhsa_system_sgpr_workgroup_id_y 0
		.amdhsa_system_sgpr_workgroup_id_z 0
		.amdhsa_system_sgpr_workgroup_info 0
		.amdhsa_system_vgpr_workitem_id 0
		.amdhsa_next_free_vgpr 1
		.amdhsa_next_free_sgpr 0
		.amdhsa_accum_offset 4
		.amdhsa_reserve_vcc 0
		.amdhsa_reserve_flat_scratch 0
		.amdhsa_float_round_mode_32 0
		.amdhsa_float_round_mode_16_64 0
		.amdhsa_float_denorm_mode_32 3
		.amdhsa_float_denorm_mode_16_64 3
		.amdhsa_dx10_clamp 1
		.amdhsa_ieee_mode 1
		.amdhsa_fp16_overflow 0
		.amdhsa_tg_split 0
		.amdhsa_exception_fp_ieee_invalid_op 0
		.amdhsa_exception_fp_denorm_src 0
		.amdhsa_exception_fp_ieee_div_zero 0
		.amdhsa_exception_fp_ieee_overflow 0
		.amdhsa_exception_fp_ieee_underflow 0
		.amdhsa_exception_fp_ieee_inexact 0
		.amdhsa_exception_int_div_zero 0
	.end_amdhsa_kernel
	.section	.text._ZN7rocprim17ROCPRIM_400000_NS6detail17trampoline_kernelINS0_14default_configENS1_20scan_config_selectorIsEEZZNS1_9scan_implILNS1_25lookback_scan_determinismE0ELb0ELb0ES3_N6thrust23THRUST_200600_302600_NS6detail15normal_iteratorINS9_10device_ptrIsEEEESE_s9plus_mod3IsEsEEDaPvRmT3_T4_T5_mT6_P12ihipStream_tbENKUlT_T0_E_clISt17integral_constantIbLb1EESU_EEDaSP_SQ_EUlSP_E0_NS1_11comp_targetILNS1_3genE0ELNS1_11target_archE4294967295ELNS1_3gpuE0ELNS1_3repE0EEENS1_30default_config_static_selectorELNS0_4arch9wavefront6targetE1EEEvT1_,"axG",@progbits,_ZN7rocprim17ROCPRIM_400000_NS6detail17trampoline_kernelINS0_14default_configENS1_20scan_config_selectorIsEEZZNS1_9scan_implILNS1_25lookback_scan_determinismE0ELb0ELb0ES3_N6thrust23THRUST_200600_302600_NS6detail15normal_iteratorINS9_10device_ptrIsEEEESE_s9plus_mod3IsEsEEDaPvRmT3_T4_T5_mT6_P12ihipStream_tbENKUlT_T0_E_clISt17integral_constantIbLb1EESU_EEDaSP_SQ_EUlSP_E0_NS1_11comp_targetILNS1_3genE0ELNS1_11target_archE4294967295ELNS1_3gpuE0ELNS1_3repE0EEENS1_30default_config_static_selectorELNS0_4arch9wavefront6targetE1EEEvT1_,comdat
.Lfunc_end6705:
	.size	_ZN7rocprim17ROCPRIM_400000_NS6detail17trampoline_kernelINS0_14default_configENS1_20scan_config_selectorIsEEZZNS1_9scan_implILNS1_25lookback_scan_determinismE0ELb0ELb0ES3_N6thrust23THRUST_200600_302600_NS6detail15normal_iteratorINS9_10device_ptrIsEEEESE_s9plus_mod3IsEsEEDaPvRmT3_T4_T5_mT6_P12ihipStream_tbENKUlT_T0_E_clISt17integral_constantIbLb1EESU_EEDaSP_SQ_EUlSP_E0_NS1_11comp_targetILNS1_3genE0ELNS1_11target_archE4294967295ELNS1_3gpuE0ELNS1_3repE0EEENS1_30default_config_static_selectorELNS0_4arch9wavefront6targetE1EEEvT1_, .Lfunc_end6705-_ZN7rocprim17ROCPRIM_400000_NS6detail17trampoline_kernelINS0_14default_configENS1_20scan_config_selectorIsEEZZNS1_9scan_implILNS1_25lookback_scan_determinismE0ELb0ELb0ES3_N6thrust23THRUST_200600_302600_NS6detail15normal_iteratorINS9_10device_ptrIsEEEESE_s9plus_mod3IsEsEEDaPvRmT3_T4_T5_mT6_P12ihipStream_tbENKUlT_T0_E_clISt17integral_constantIbLb1EESU_EEDaSP_SQ_EUlSP_E0_NS1_11comp_targetILNS1_3genE0ELNS1_11target_archE4294967295ELNS1_3gpuE0ELNS1_3repE0EEENS1_30default_config_static_selectorELNS0_4arch9wavefront6targetE1EEEvT1_
                                        ; -- End function
	.section	.AMDGPU.csdata,"",@progbits
; Kernel info:
; codeLenInByte = 0
; NumSgprs: 4
; NumVgprs: 0
; NumAgprs: 0
; TotalNumVgprs: 0
; ScratchSize: 0
; MemoryBound: 0
; FloatMode: 240
; IeeeMode: 1
; LDSByteSize: 0 bytes/workgroup (compile time only)
; SGPRBlocks: 0
; VGPRBlocks: 0
; NumSGPRsForWavesPerEU: 4
; NumVGPRsForWavesPerEU: 1
; AccumOffset: 4
; Occupancy: 8
; WaveLimiterHint : 0
; COMPUTE_PGM_RSRC2:SCRATCH_EN: 0
; COMPUTE_PGM_RSRC2:USER_SGPR: 6
; COMPUTE_PGM_RSRC2:TRAP_HANDLER: 0
; COMPUTE_PGM_RSRC2:TGID_X_EN: 1
; COMPUTE_PGM_RSRC2:TGID_Y_EN: 0
; COMPUTE_PGM_RSRC2:TGID_Z_EN: 0
; COMPUTE_PGM_RSRC2:TIDIG_COMP_CNT: 0
; COMPUTE_PGM_RSRC3_GFX90A:ACCUM_OFFSET: 0
; COMPUTE_PGM_RSRC3_GFX90A:TG_SPLIT: 0
	.section	.text._ZN7rocprim17ROCPRIM_400000_NS6detail17trampoline_kernelINS0_14default_configENS1_20scan_config_selectorIsEEZZNS1_9scan_implILNS1_25lookback_scan_determinismE0ELb0ELb0ES3_N6thrust23THRUST_200600_302600_NS6detail15normal_iteratorINS9_10device_ptrIsEEEESE_s9plus_mod3IsEsEEDaPvRmT3_T4_T5_mT6_P12ihipStream_tbENKUlT_T0_E_clISt17integral_constantIbLb1EESU_EEDaSP_SQ_EUlSP_E0_NS1_11comp_targetILNS1_3genE5ELNS1_11target_archE942ELNS1_3gpuE9ELNS1_3repE0EEENS1_30default_config_static_selectorELNS0_4arch9wavefront6targetE1EEEvT1_,"axG",@progbits,_ZN7rocprim17ROCPRIM_400000_NS6detail17trampoline_kernelINS0_14default_configENS1_20scan_config_selectorIsEEZZNS1_9scan_implILNS1_25lookback_scan_determinismE0ELb0ELb0ES3_N6thrust23THRUST_200600_302600_NS6detail15normal_iteratorINS9_10device_ptrIsEEEESE_s9plus_mod3IsEsEEDaPvRmT3_T4_T5_mT6_P12ihipStream_tbENKUlT_T0_E_clISt17integral_constantIbLb1EESU_EEDaSP_SQ_EUlSP_E0_NS1_11comp_targetILNS1_3genE5ELNS1_11target_archE942ELNS1_3gpuE9ELNS1_3repE0EEENS1_30default_config_static_selectorELNS0_4arch9wavefront6targetE1EEEvT1_,comdat
	.protected	_ZN7rocprim17ROCPRIM_400000_NS6detail17trampoline_kernelINS0_14default_configENS1_20scan_config_selectorIsEEZZNS1_9scan_implILNS1_25lookback_scan_determinismE0ELb0ELb0ES3_N6thrust23THRUST_200600_302600_NS6detail15normal_iteratorINS9_10device_ptrIsEEEESE_s9plus_mod3IsEsEEDaPvRmT3_T4_T5_mT6_P12ihipStream_tbENKUlT_T0_E_clISt17integral_constantIbLb1EESU_EEDaSP_SQ_EUlSP_E0_NS1_11comp_targetILNS1_3genE5ELNS1_11target_archE942ELNS1_3gpuE9ELNS1_3repE0EEENS1_30default_config_static_selectorELNS0_4arch9wavefront6targetE1EEEvT1_ ; -- Begin function _ZN7rocprim17ROCPRIM_400000_NS6detail17trampoline_kernelINS0_14default_configENS1_20scan_config_selectorIsEEZZNS1_9scan_implILNS1_25lookback_scan_determinismE0ELb0ELb0ES3_N6thrust23THRUST_200600_302600_NS6detail15normal_iteratorINS9_10device_ptrIsEEEESE_s9plus_mod3IsEsEEDaPvRmT3_T4_T5_mT6_P12ihipStream_tbENKUlT_T0_E_clISt17integral_constantIbLb1EESU_EEDaSP_SQ_EUlSP_E0_NS1_11comp_targetILNS1_3genE5ELNS1_11target_archE942ELNS1_3gpuE9ELNS1_3repE0EEENS1_30default_config_static_selectorELNS0_4arch9wavefront6targetE1EEEvT1_
	.globl	_ZN7rocprim17ROCPRIM_400000_NS6detail17trampoline_kernelINS0_14default_configENS1_20scan_config_selectorIsEEZZNS1_9scan_implILNS1_25lookback_scan_determinismE0ELb0ELb0ES3_N6thrust23THRUST_200600_302600_NS6detail15normal_iteratorINS9_10device_ptrIsEEEESE_s9plus_mod3IsEsEEDaPvRmT3_T4_T5_mT6_P12ihipStream_tbENKUlT_T0_E_clISt17integral_constantIbLb1EESU_EEDaSP_SQ_EUlSP_E0_NS1_11comp_targetILNS1_3genE5ELNS1_11target_archE942ELNS1_3gpuE9ELNS1_3repE0EEENS1_30default_config_static_selectorELNS0_4arch9wavefront6targetE1EEEvT1_
	.p2align	8
	.type	_ZN7rocprim17ROCPRIM_400000_NS6detail17trampoline_kernelINS0_14default_configENS1_20scan_config_selectorIsEEZZNS1_9scan_implILNS1_25lookback_scan_determinismE0ELb0ELb0ES3_N6thrust23THRUST_200600_302600_NS6detail15normal_iteratorINS9_10device_ptrIsEEEESE_s9plus_mod3IsEsEEDaPvRmT3_T4_T5_mT6_P12ihipStream_tbENKUlT_T0_E_clISt17integral_constantIbLb1EESU_EEDaSP_SQ_EUlSP_E0_NS1_11comp_targetILNS1_3genE5ELNS1_11target_archE942ELNS1_3gpuE9ELNS1_3repE0EEENS1_30default_config_static_selectorELNS0_4arch9wavefront6targetE1EEEvT1_,@function
_ZN7rocprim17ROCPRIM_400000_NS6detail17trampoline_kernelINS0_14default_configENS1_20scan_config_selectorIsEEZZNS1_9scan_implILNS1_25lookback_scan_determinismE0ELb0ELb0ES3_N6thrust23THRUST_200600_302600_NS6detail15normal_iteratorINS9_10device_ptrIsEEEESE_s9plus_mod3IsEsEEDaPvRmT3_T4_T5_mT6_P12ihipStream_tbENKUlT_T0_E_clISt17integral_constantIbLb1EESU_EEDaSP_SQ_EUlSP_E0_NS1_11comp_targetILNS1_3genE5ELNS1_11target_archE942ELNS1_3gpuE9ELNS1_3repE0EEENS1_30default_config_static_selectorELNS0_4arch9wavefront6targetE1EEEvT1_: ; @_ZN7rocprim17ROCPRIM_400000_NS6detail17trampoline_kernelINS0_14default_configENS1_20scan_config_selectorIsEEZZNS1_9scan_implILNS1_25lookback_scan_determinismE0ELb0ELb0ES3_N6thrust23THRUST_200600_302600_NS6detail15normal_iteratorINS9_10device_ptrIsEEEESE_s9plus_mod3IsEsEEDaPvRmT3_T4_T5_mT6_P12ihipStream_tbENKUlT_T0_E_clISt17integral_constantIbLb1EESU_EEDaSP_SQ_EUlSP_E0_NS1_11comp_targetILNS1_3genE5ELNS1_11target_archE942ELNS1_3gpuE9ELNS1_3repE0EEENS1_30default_config_static_selectorELNS0_4arch9wavefront6targetE1EEEvT1_
; %bb.0:
	.section	.rodata,"a",@progbits
	.p2align	6, 0x0
	.amdhsa_kernel _ZN7rocprim17ROCPRIM_400000_NS6detail17trampoline_kernelINS0_14default_configENS1_20scan_config_selectorIsEEZZNS1_9scan_implILNS1_25lookback_scan_determinismE0ELb0ELb0ES3_N6thrust23THRUST_200600_302600_NS6detail15normal_iteratorINS9_10device_ptrIsEEEESE_s9plus_mod3IsEsEEDaPvRmT3_T4_T5_mT6_P12ihipStream_tbENKUlT_T0_E_clISt17integral_constantIbLb1EESU_EEDaSP_SQ_EUlSP_E0_NS1_11comp_targetILNS1_3genE5ELNS1_11target_archE942ELNS1_3gpuE9ELNS1_3repE0EEENS1_30default_config_static_selectorELNS0_4arch9wavefront6targetE1EEEvT1_
		.amdhsa_group_segment_fixed_size 0
		.amdhsa_private_segment_fixed_size 0
		.amdhsa_kernarg_size 40
		.amdhsa_user_sgpr_count 6
		.amdhsa_user_sgpr_private_segment_buffer 1
		.amdhsa_user_sgpr_dispatch_ptr 0
		.amdhsa_user_sgpr_queue_ptr 0
		.amdhsa_user_sgpr_kernarg_segment_ptr 1
		.amdhsa_user_sgpr_dispatch_id 0
		.amdhsa_user_sgpr_flat_scratch_init 0
		.amdhsa_user_sgpr_kernarg_preload_length 0
		.amdhsa_user_sgpr_kernarg_preload_offset 0
		.amdhsa_user_sgpr_private_segment_size 0
		.amdhsa_uses_dynamic_stack 0
		.amdhsa_system_sgpr_private_segment_wavefront_offset 0
		.amdhsa_system_sgpr_workgroup_id_x 1
		.amdhsa_system_sgpr_workgroup_id_y 0
		.amdhsa_system_sgpr_workgroup_id_z 0
		.amdhsa_system_sgpr_workgroup_info 0
		.amdhsa_system_vgpr_workitem_id 0
		.amdhsa_next_free_vgpr 1
		.amdhsa_next_free_sgpr 0
		.amdhsa_accum_offset 4
		.amdhsa_reserve_vcc 0
		.amdhsa_reserve_flat_scratch 0
		.amdhsa_float_round_mode_32 0
		.amdhsa_float_round_mode_16_64 0
		.amdhsa_float_denorm_mode_32 3
		.amdhsa_float_denorm_mode_16_64 3
		.amdhsa_dx10_clamp 1
		.amdhsa_ieee_mode 1
		.amdhsa_fp16_overflow 0
		.amdhsa_tg_split 0
		.amdhsa_exception_fp_ieee_invalid_op 0
		.amdhsa_exception_fp_denorm_src 0
		.amdhsa_exception_fp_ieee_div_zero 0
		.amdhsa_exception_fp_ieee_overflow 0
		.amdhsa_exception_fp_ieee_underflow 0
		.amdhsa_exception_fp_ieee_inexact 0
		.amdhsa_exception_int_div_zero 0
	.end_amdhsa_kernel
	.section	.text._ZN7rocprim17ROCPRIM_400000_NS6detail17trampoline_kernelINS0_14default_configENS1_20scan_config_selectorIsEEZZNS1_9scan_implILNS1_25lookback_scan_determinismE0ELb0ELb0ES3_N6thrust23THRUST_200600_302600_NS6detail15normal_iteratorINS9_10device_ptrIsEEEESE_s9plus_mod3IsEsEEDaPvRmT3_T4_T5_mT6_P12ihipStream_tbENKUlT_T0_E_clISt17integral_constantIbLb1EESU_EEDaSP_SQ_EUlSP_E0_NS1_11comp_targetILNS1_3genE5ELNS1_11target_archE942ELNS1_3gpuE9ELNS1_3repE0EEENS1_30default_config_static_selectorELNS0_4arch9wavefront6targetE1EEEvT1_,"axG",@progbits,_ZN7rocprim17ROCPRIM_400000_NS6detail17trampoline_kernelINS0_14default_configENS1_20scan_config_selectorIsEEZZNS1_9scan_implILNS1_25lookback_scan_determinismE0ELb0ELb0ES3_N6thrust23THRUST_200600_302600_NS6detail15normal_iteratorINS9_10device_ptrIsEEEESE_s9plus_mod3IsEsEEDaPvRmT3_T4_T5_mT6_P12ihipStream_tbENKUlT_T0_E_clISt17integral_constantIbLb1EESU_EEDaSP_SQ_EUlSP_E0_NS1_11comp_targetILNS1_3genE5ELNS1_11target_archE942ELNS1_3gpuE9ELNS1_3repE0EEENS1_30default_config_static_selectorELNS0_4arch9wavefront6targetE1EEEvT1_,comdat
.Lfunc_end6706:
	.size	_ZN7rocprim17ROCPRIM_400000_NS6detail17trampoline_kernelINS0_14default_configENS1_20scan_config_selectorIsEEZZNS1_9scan_implILNS1_25lookback_scan_determinismE0ELb0ELb0ES3_N6thrust23THRUST_200600_302600_NS6detail15normal_iteratorINS9_10device_ptrIsEEEESE_s9plus_mod3IsEsEEDaPvRmT3_T4_T5_mT6_P12ihipStream_tbENKUlT_T0_E_clISt17integral_constantIbLb1EESU_EEDaSP_SQ_EUlSP_E0_NS1_11comp_targetILNS1_3genE5ELNS1_11target_archE942ELNS1_3gpuE9ELNS1_3repE0EEENS1_30default_config_static_selectorELNS0_4arch9wavefront6targetE1EEEvT1_, .Lfunc_end6706-_ZN7rocprim17ROCPRIM_400000_NS6detail17trampoline_kernelINS0_14default_configENS1_20scan_config_selectorIsEEZZNS1_9scan_implILNS1_25lookback_scan_determinismE0ELb0ELb0ES3_N6thrust23THRUST_200600_302600_NS6detail15normal_iteratorINS9_10device_ptrIsEEEESE_s9plus_mod3IsEsEEDaPvRmT3_T4_T5_mT6_P12ihipStream_tbENKUlT_T0_E_clISt17integral_constantIbLb1EESU_EEDaSP_SQ_EUlSP_E0_NS1_11comp_targetILNS1_3genE5ELNS1_11target_archE942ELNS1_3gpuE9ELNS1_3repE0EEENS1_30default_config_static_selectorELNS0_4arch9wavefront6targetE1EEEvT1_
                                        ; -- End function
	.section	.AMDGPU.csdata,"",@progbits
; Kernel info:
; codeLenInByte = 0
; NumSgprs: 4
; NumVgprs: 0
; NumAgprs: 0
; TotalNumVgprs: 0
; ScratchSize: 0
; MemoryBound: 0
; FloatMode: 240
; IeeeMode: 1
; LDSByteSize: 0 bytes/workgroup (compile time only)
; SGPRBlocks: 0
; VGPRBlocks: 0
; NumSGPRsForWavesPerEU: 4
; NumVGPRsForWavesPerEU: 1
; AccumOffset: 4
; Occupancy: 8
; WaveLimiterHint : 0
; COMPUTE_PGM_RSRC2:SCRATCH_EN: 0
; COMPUTE_PGM_RSRC2:USER_SGPR: 6
; COMPUTE_PGM_RSRC2:TRAP_HANDLER: 0
; COMPUTE_PGM_RSRC2:TGID_X_EN: 1
; COMPUTE_PGM_RSRC2:TGID_Y_EN: 0
; COMPUTE_PGM_RSRC2:TGID_Z_EN: 0
; COMPUTE_PGM_RSRC2:TIDIG_COMP_CNT: 0
; COMPUTE_PGM_RSRC3_GFX90A:ACCUM_OFFSET: 0
; COMPUTE_PGM_RSRC3_GFX90A:TG_SPLIT: 0
	.section	.text._ZN7rocprim17ROCPRIM_400000_NS6detail17trampoline_kernelINS0_14default_configENS1_20scan_config_selectorIsEEZZNS1_9scan_implILNS1_25lookback_scan_determinismE0ELb0ELb0ES3_N6thrust23THRUST_200600_302600_NS6detail15normal_iteratorINS9_10device_ptrIsEEEESE_s9plus_mod3IsEsEEDaPvRmT3_T4_T5_mT6_P12ihipStream_tbENKUlT_T0_E_clISt17integral_constantIbLb1EESU_EEDaSP_SQ_EUlSP_E0_NS1_11comp_targetILNS1_3genE4ELNS1_11target_archE910ELNS1_3gpuE8ELNS1_3repE0EEENS1_30default_config_static_selectorELNS0_4arch9wavefront6targetE1EEEvT1_,"axG",@progbits,_ZN7rocprim17ROCPRIM_400000_NS6detail17trampoline_kernelINS0_14default_configENS1_20scan_config_selectorIsEEZZNS1_9scan_implILNS1_25lookback_scan_determinismE0ELb0ELb0ES3_N6thrust23THRUST_200600_302600_NS6detail15normal_iteratorINS9_10device_ptrIsEEEESE_s9plus_mod3IsEsEEDaPvRmT3_T4_T5_mT6_P12ihipStream_tbENKUlT_T0_E_clISt17integral_constantIbLb1EESU_EEDaSP_SQ_EUlSP_E0_NS1_11comp_targetILNS1_3genE4ELNS1_11target_archE910ELNS1_3gpuE8ELNS1_3repE0EEENS1_30default_config_static_selectorELNS0_4arch9wavefront6targetE1EEEvT1_,comdat
	.protected	_ZN7rocprim17ROCPRIM_400000_NS6detail17trampoline_kernelINS0_14default_configENS1_20scan_config_selectorIsEEZZNS1_9scan_implILNS1_25lookback_scan_determinismE0ELb0ELb0ES3_N6thrust23THRUST_200600_302600_NS6detail15normal_iteratorINS9_10device_ptrIsEEEESE_s9plus_mod3IsEsEEDaPvRmT3_T4_T5_mT6_P12ihipStream_tbENKUlT_T0_E_clISt17integral_constantIbLb1EESU_EEDaSP_SQ_EUlSP_E0_NS1_11comp_targetILNS1_3genE4ELNS1_11target_archE910ELNS1_3gpuE8ELNS1_3repE0EEENS1_30default_config_static_selectorELNS0_4arch9wavefront6targetE1EEEvT1_ ; -- Begin function _ZN7rocprim17ROCPRIM_400000_NS6detail17trampoline_kernelINS0_14default_configENS1_20scan_config_selectorIsEEZZNS1_9scan_implILNS1_25lookback_scan_determinismE0ELb0ELb0ES3_N6thrust23THRUST_200600_302600_NS6detail15normal_iteratorINS9_10device_ptrIsEEEESE_s9plus_mod3IsEsEEDaPvRmT3_T4_T5_mT6_P12ihipStream_tbENKUlT_T0_E_clISt17integral_constantIbLb1EESU_EEDaSP_SQ_EUlSP_E0_NS1_11comp_targetILNS1_3genE4ELNS1_11target_archE910ELNS1_3gpuE8ELNS1_3repE0EEENS1_30default_config_static_selectorELNS0_4arch9wavefront6targetE1EEEvT1_
	.globl	_ZN7rocprim17ROCPRIM_400000_NS6detail17trampoline_kernelINS0_14default_configENS1_20scan_config_selectorIsEEZZNS1_9scan_implILNS1_25lookback_scan_determinismE0ELb0ELb0ES3_N6thrust23THRUST_200600_302600_NS6detail15normal_iteratorINS9_10device_ptrIsEEEESE_s9plus_mod3IsEsEEDaPvRmT3_T4_T5_mT6_P12ihipStream_tbENKUlT_T0_E_clISt17integral_constantIbLb1EESU_EEDaSP_SQ_EUlSP_E0_NS1_11comp_targetILNS1_3genE4ELNS1_11target_archE910ELNS1_3gpuE8ELNS1_3repE0EEENS1_30default_config_static_selectorELNS0_4arch9wavefront6targetE1EEEvT1_
	.p2align	8
	.type	_ZN7rocprim17ROCPRIM_400000_NS6detail17trampoline_kernelINS0_14default_configENS1_20scan_config_selectorIsEEZZNS1_9scan_implILNS1_25lookback_scan_determinismE0ELb0ELb0ES3_N6thrust23THRUST_200600_302600_NS6detail15normal_iteratorINS9_10device_ptrIsEEEESE_s9plus_mod3IsEsEEDaPvRmT3_T4_T5_mT6_P12ihipStream_tbENKUlT_T0_E_clISt17integral_constantIbLb1EESU_EEDaSP_SQ_EUlSP_E0_NS1_11comp_targetILNS1_3genE4ELNS1_11target_archE910ELNS1_3gpuE8ELNS1_3repE0EEENS1_30default_config_static_selectorELNS0_4arch9wavefront6targetE1EEEvT1_,@function
_ZN7rocprim17ROCPRIM_400000_NS6detail17trampoline_kernelINS0_14default_configENS1_20scan_config_selectorIsEEZZNS1_9scan_implILNS1_25lookback_scan_determinismE0ELb0ELb0ES3_N6thrust23THRUST_200600_302600_NS6detail15normal_iteratorINS9_10device_ptrIsEEEESE_s9plus_mod3IsEsEEDaPvRmT3_T4_T5_mT6_P12ihipStream_tbENKUlT_T0_E_clISt17integral_constantIbLb1EESU_EEDaSP_SQ_EUlSP_E0_NS1_11comp_targetILNS1_3genE4ELNS1_11target_archE910ELNS1_3gpuE8ELNS1_3repE0EEENS1_30default_config_static_selectorELNS0_4arch9wavefront6targetE1EEEvT1_: ; @_ZN7rocprim17ROCPRIM_400000_NS6detail17trampoline_kernelINS0_14default_configENS1_20scan_config_selectorIsEEZZNS1_9scan_implILNS1_25lookback_scan_determinismE0ELb0ELb0ES3_N6thrust23THRUST_200600_302600_NS6detail15normal_iteratorINS9_10device_ptrIsEEEESE_s9plus_mod3IsEsEEDaPvRmT3_T4_T5_mT6_P12ihipStream_tbENKUlT_T0_E_clISt17integral_constantIbLb1EESU_EEDaSP_SQ_EUlSP_E0_NS1_11comp_targetILNS1_3genE4ELNS1_11target_archE910ELNS1_3gpuE8ELNS1_3repE0EEENS1_30default_config_static_selectorELNS0_4arch9wavefront6targetE1EEEvT1_
; %bb.0:
	s_load_dwordx4 s[56:59], s[4:5], 0x0
	v_mov_b32_e32 v1, 0
	v_lshlrev_b32_e32 v54, 1, v0
	s_waitcnt lgkmcnt(0)
	global_load_ushort v2, v1, s[56:57]
	v_cmp_gt_u32_e32 vcc, s58, v0
	s_waitcnt vmcnt(0)
	v_mov_b32_e32 v3, v2
	s_and_saveexec_b64 s[0:1], vcc
	s_cbranch_execz .LBB6707_2
; %bb.1:
	global_load_ushort v3, v54, s[56:57]
.LBB6707_2:
	s_or_b64 exec, exec, s[0:1]
	v_or_b32_e32 v1, 64, v0
	v_cmp_gt_u32_e64 s[0:1], s58, v1
	v_mov_b32_e32 v4, v2
	s_and_saveexec_b64 s[2:3], s[0:1]
	s_cbranch_execz .LBB6707_4
; %bb.3:
	global_load_ushort v4, v54, s[56:57] offset:128
.LBB6707_4:
	s_or_b64 exec, exec, s[2:3]
	v_or_b32_e32 v1, 0x80, v0
	v_cmp_gt_u32_e64 s[2:3], s58, v1
	v_mov_b32_e32 v5, v2
	s_and_saveexec_b64 s[6:7], s[2:3]
	s_cbranch_execz .LBB6707_6
; %bb.5:
	global_load_ushort v5, v54, s[56:57] offset:256
.LBB6707_6:
	;; [unrolled: 9-line block ×22, first 2 shown]
	s_or_b64 exec, exec, s[46:47]
	v_or_b32_e32 v1, 0x5c0, v0
	v_cmp_gt_u32_e64 s[46:47], s58, v1
	v_cmp_le_u32_e64 s[50:51], s58, v1
	s_and_saveexec_b64 s[52:53], s[50:51]
	s_xor_b64 s[50:51], exec, s[52:53]
; %bb.47:
	v_mov_b32_e32 v1, 0
; %bb.48:
	s_or_saveexec_b64 s[50:51], s[50:51]
	s_load_dwordx4 s[52:55], s[4:5], 0x18
	s_xor_b64 exec, exec, s[50:51]
	s_cbranch_execz .LBB6707_50
; %bb.49:
	global_load_ushort v2, v54, s[56:57] offset:2944
	v_mov_b32_e32 v1, 0
.LBB6707_50:
	s_or_b64 exec, exec, s[50:51]
	s_waitcnt vmcnt(0)
	ds_write_b16 v54, v3
	ds_write_b16 v54, v4 offset:128
	ds_write_b16 v54, v5 offset:256
	;; [unrolled: 1-line block ×23, first 2 shown]
	v_mad_u32_u24 v6, v0, 46, v54
	s_waitcnt lgkmcnt(0)
	; wave barrier
	s_waitcnt lgkmcnt(0)
	ds_read_b128 v[2:5], v6
	ds_read_b128 v[10:13], v6 offset:16
	ds_read_b128 v[6:9], v6 offset:32
	v_mov_b32_e32 v16, s53
	s_waitcnt lgkmcnt(0)
	v_bfe_i32 v18, v2, 0, 16
	v_lshrrev_b32_e32 v14, 16, v2
	v_ashrrev_i32_e32 v19, 31, v18
	v_bfe_i32 v14, v14, 0, 16
	v_lshlrev_b64 v[20:21], 1, v[18:19]
	v_ashrrev_i32_e32 v15, 31, v14
	v_add_co_u32_e64 v17, s[4:5], s52, v20
	v_addc_co_u32_e64 v22, s[4:5], v16, v21, s[4:5]
	v_lshlrev_b64 v[14:15], 1, v[14:15]
	v_add_co_u32_e64 v16, s[4:5], v17, v14
	v_addc_co_u32_e64 v17, s[4:5], v22, v15, s[4:5]
	; wave barrier
	global_load_ushort v22, v[16:17], off
	v_bfe_i32 v16, v3, 0, 16
	v_mov_b32_e32 v24, s53
	v_ashrrev_i32_e32 v17, 31, v16
	v_lshlrev_b64 v[16:17], 1, v[16:17]
	v_lshrrev_b32_e32 v3, 16, v3
	v_mov_b32_e32 v26, s53
	v_mov_b32_e32 v28, s53
	;; [unrolled: 1-line block ×15, first 2 shown]
	s_waitcnt vmcnt(0)
	v_bfe_i32 v22, v22, 0, 16
	v_ashrrev_i32_e32 v23, 31, v22
	v_lshlrev_b64 v[22:23], 1, v[22:23]
	v_add_co_u32_e64 v22, s[4:5], s52, v22
	v_addc_co_u32_e64 v23, s[4:5], v24, v23, s[4:5]
	v_add_co_u32_e64 v22, s[4:5], v22, v16
	v_addc_co_u32_e64 v23, s[4:5], v23, v17, s[4:5]
	global_load_ushort v24, v[22:23], off
	v_bfe_i32 v22, v3, 0, 16
	v_ashrrev_i32_e32 v23, 31, v22
	v_lshlrev_b64 v[22:23], 1, v[22:23]
	s_waitcnt vmcnt(0)
	v_bfe_i32 v24, v24, 0, 16
	v_ashrrev_i32_e32 v25, 31, v24
	v_lshlrev_b64 v[24:25], 1, v[24:25]
	v_add_co_u32_e64 v3, s[4:5], s52, v24
	v_addc_co_u32_e64 v25, s[4:5], v26, v25, s[4:5]
	v_add_co_u32_e64 v24, s[4:5], v3, v22
	v_addc_co_u32_e64 v25, s[4:5], v25, v23, s[4:5]
	global_load_ushort v3, v[24:25], off
	v_bfe_i32 v24, v4, 0, 16
	v_ashrrev_i32_e32 v25, 31, v24
	v_lshlrev_b64 v[24:25], 1, v[24:25]
	v_lshrrev_b32_e32 v4, 16, v4
	s_waitcnt vmcnt(0)
	v_bfe_i32 v26, v3, 0, 16
	v_ashrrev_i32_e32 v27, 31, v26
	v_lshlrev_b64 v[26:27], 1, v[26:27]
	v_add_co_u32_e64 v3, s[4:5], s52, v26
	v_addc_co_u32_e64 v27, s[4:5], v28, v27, s[4:5]
	v_add_co_u32_e64 v26, s[4:5], v3, v24
	v_addc_co_u32_e64 v27, s[4:5], v27, v25, s[4:5]
	global_load_ushort v3, v[26:27], off
	v_bfe_i32 v26, v4, 0, 16
	v_ashrrev_i32_e32 v27, 31, v26
	v_lshlrev_b64 v[26:27], 1, v[26:27]
	s_waitcnt vmcnt(0)
	v_bfe_i32 v28, v3, 0, 16
	v_ashrrev_i32_e32 v29, 31, v28
	v_lshlrev_b64 v[28:29], 1, v[28:29]
	v_add_co_u32_e64 v3, s[4:5], s52, v28
	v_addc_co_u32_e64 v4, s[4:5], v30, v29, s[4:5]
	v_add_co_u32_e64 v28, s[4:5], v3, v26
	v_addc_co_u32_e64 v29, s[4:5], v4, v27, s[4:5]
	global_load_ushort v3, v[28:29], off
	v_bfe_i32 v28, v5, 0, 16
	v_mov_b32_e32 v4, s53
	v_ashrrev_i32_e32 v29, 31, v28
	v_lshlrev_b64 v[28:29], 1, v[28:29]
	s_waitcnt vmcnt(0)
	v_bfe_i32 v30, v3, 0, 16
	v_ashrrev_i32_e32 v31, 31, v30
	v_lshlrev_b64 v[30:31], 1, v[30:31]
	v_add_co_u32_e64 v3, s[4:5], s52, v30
	v_addc_co_u32_e64 v4, s[4:5], v4, v31, s[4:5]
	v_add_co_u32_e64 v30, s[4:5], v3, v28
	v_addc_co_u32_e64 v31, s[4:5], v4, v29, s[4:5]
	global_load_ushort v3, v[30:31], off
	v_lshrrev_b32_e32 v4, 16, v5
	v_bfe_i32 v4, v4, 0, 16
	v_ashrrev_i32_e32 v5, 31, v4
	v_lshlrev_b64 v[4:5], 1, v[4:5]
	s_waitcnt vmcnt(0)
	v_bfe_i32 v30, v3, 0, 16
	v_ashrrev_i32_e32 v31, 31, v30
	v_lshlrev_b64 v[30:31], 1, v[30:31]
	v_add_co_u32_e64 v3, s[4:5], s52, v30
	v_addc_co_u32_e64 v31, s[4:5], v32, v31, s[4:5]
	v_add_co_u32_e64 v30, s[4:5], v3, v4
	v_addc_co_u32_e64 v31, s[4:5], v31, v5, s[4:5]
	global_load_ushort v3, v[30:31], off
	v_bfe_i32 v30, v10, 0, 16
	v_ashrrev_i32_e32 v31, 31, v30
	v_lshlrev_b64 v[30:31], 1, v[30:31]
	v_lshrrev_b32_e32 v10, 16, v10
	s_waitcnt vmcnt(0)
	v_bfe_i32 v32, v3, 0, 16
	v_ashrrev_i32_e32 v33, 31, v32
	v_lshlrev_b64 v[32:33], 1, v[32:33]
	v_add_co_u32_e64 v3, s[4:5], s52, v32
	v_addc_co_u32_e64 v33, s[4:5], v34, v33, s[4:5]
	v_add_co_u32_e64 v32, s[4:5], v3, v30
	v_addc_co_u32_e64 v33, s[4:5], v33, v31, s[4:5]
	global_load_ushort v3, v[32:33], off
	v_bfe_i32 v32, v10, 0, 16
	v_ashrrev_i32_e32 v33, 31, v32
	v_lshlrev_b64 v[32:33], 1, v[32:33]
	s_waitcnt vmcnt(0)
	v_bfe_i32 v34, v3, 0, 16
	v_ashrrev_i32_e32 v35, 31, v34
	v_lshlrev_b64 v[34:35], 1, v[34:35]
	v_add_co_u32_e64 v3, s[4:5], s52, v34
	v_addc_co_u32_e64 v10, s[4:5], v36, v35, s[4:5]
	v_add_co_u32_e64 v34, s[4:5], v3, v32
	v_addc_co_u32_e64 v35, s[4:5], v10, v33, s[4:5]
	global_load_ushort v3, v[34:35], off
	v_bfe_i32 v34, v11, 0, 16
	v_mov_b32_e32 v10, s53
	v_ashrrev_i32_e32 v35, 31, v34
	v_lshlrev_b64 v[34:35], 1, v[34:35]
	s_waitcnt vmcnt(0)
	v_bfe_i32 v36, v3, 0, 16
	v_ashrrev_i32_e32 v37, 31, v36
	v_lshlrev_b64 v[36:37], 1, v[36:37]
	v_add_co_u32_e64 v3, s[4:5], s52, v36
	v_addc_co_u32_e64 v10, s[4:5], v10, v37, s[4:5]
	v_add_co_u32_e64 v36, s[4:5], v3, v34
	v_addc_co_u32_e64 v37, s[4:5], v10, v35, s[4:5]
	global_load_ushort v3, v[36:37], off
	v_lshrrev_b32_e32 v10, 16, v11
	;; [unrolled: 51-line block ×5, first 2 shown]
	v_bfe_i32 v8, v8, 0, 16
	v_ashrrev_i32_e32 v9, 31, v8
	v_lshlrev_b64 v[8:9], 1, v[8:9]
	s_waitcnt vmcnt(0)
	v_bfe_i32 v56, v3, 0, 16
	v_ashrrev_i32_e32 v57, 31, v56
	v_lshlrev_b64 v[56:57], 1, v[56:57]
	v_add_co_u32_e64 v3, s[4:5], s52, v56
	v_addc_co_u32_e64 v55, s[4:5], v55, v57, s[4:5]
	v_add_co_u32_e64 v56, s[4:5], v3, v8
	v_addc_co_u32_e64 v57, s[4:5], v55, v9, s[4:5]
	global_load_ushort v55, v[56:57], off
	v_mbcnt_lo_u32_b32 v3, -1, 0
	v_mbcnt_hi_u32_b32 v3, -1, v3
	v_and_b32_e32 v56, 15, v3
	v_cmp_ne_u32_e64 s[4:5], 0, v56
	s_waitcnt vmcnt(0)
	v_and_b32_e32 v57, 0xffff, v55
	s_nop 1
	v_mov_b32_dpp v58, v57 row_shr:1 row_mask:0xf bank_mask:0xf
	s_and_saveexec_b64 s[50:51], s[4:5]
	s_cbranch_execz .LBB6707_52
; %bb.51:
	v_lshlrev_b32_e32 v59, 16, v58
	v_mov_b32_e32 v58, 0
	v_ashrrev_i64 v[58:59], 47, v[58:59]
	v_mov_b32_e32 v57, s53
	v_add_co_u32_e64 v60, s[4:5], s52, v58
	v_bfe_i32 v58, v55, 0, 16
	v_addc_co_u32_e64 v57, s[4:5], v57, v59, s[4:5]
	v_ashrrev_i32_e32 v59, 31, v58
	v_lshlrev_b64 v[58:59], 1, v[58:59]
	v_add_co_u32_e64 v58, s[4:5], v60, v58
	v_addc_co_u32_e64 v59, s[4:5], v57, v59, s[4:5]
	global_load_ushort v55, v[58:59], off
	s_waitcnt vmcnt(0)
	v_and_b32_e32 v57, 0xffff, v55
.LBB6707_52:
	s_or_b64 exec, exec, s[50:51]
	s_nop 0
	v_mov_b32_dpp v58, v57 row_shr:2 row_mask:0xf bank_mask:0xf
	v_cmp_lt_u32_e64 s[4:5], 1, v56
	s_and_saveexec_b64 s[50:51], s[4:5]
	s_cbranch_execz .LBB6707_54
; %bb.53:
	v_lshlrev_b32_e32 v59, 16, v58
	v_mov_b32_e32 v58, 0
	v_ashrrev_i64 v[58:59], 47, v[58:59]
	v_mov_b32_e32 v57, s53
	v_add_co_u32_e64 v60, s[4:5], s52, v58
	v_bfe_i32 v58, v55, 0, 16
	v_addc_co_u32_e64 v57, s[4:5], v57, v59, s[4:5]
	v_ashrrev_i32_e32 v59, 31, v58
	v_lshlrev_b64 v[58:59], 1, v[58:59]
	v_add_co_u32_e64 v58, s[4:5], v60, v58
	v_addc_co_u32_e64 v59, s[4:5], v57, v59, s[4:5]
	global_load_ushort v55, v[58:59], off
	s_waitcnt vmcnt(0)
	v_and_b32_e32 v57, 0xffff, v55
.LBB6707_54:
	s_or_b64 exec, exec, s[50:51]
	s_nop 0
	v_mov_b32_dpp v58, v57 row_shr:4 row_mask:0xf bank_mask:0xf
	v_cmp_lt_u32_e64 s[4:5], 3, v56
	;; [unrolled: 22-line block ×3, first 2 shown]
	s_and_saveexec_b64 s[50:51], s[4:5]
	s_cbranch_execz .LBB6707_58
; %bb.57:
	v_lshlrev_b32_e32 v57, 16, v58
	v_mov_b32_e32 v56, 0
	v_ashrrev_i64 v[56:57], 47, v[56:57]
	v_mov_b32_e32 v58, s53
	v_add_co_u32_e64 v59, s[4:5], s52, v56
	v_bfe_i32 v56, v55, 0, 16
	v_addc_co_u32_e64 v58, s[4:5], v58, v57, s[4:5]
	v_ashrrev_i32_e32 v57, 31, v56
	v_lshlrev_b64 v[56:57], 1, v[56:57]
	v_add_co_u32_e64 v56, s[4:5], v59, v56
	v_addc_co_u32_e64 v57, s[4:5], v58, v57, s[4:5]
	global_load_ushort v55, v[56:57], off
	s_waitcnt vmcnt(0)
	v_and_b32_e32 v57, 0xffff, v55
.LBB6707_58:
	s_or_b64 exec, exec, s[50:51]
	v_and_b32_e32 v58, 16, v3
	v_mov_b32_dpp v56, v57 row_bcast:15 row_mask:0xf bank_mask:0xf
	v_cmp_ne_u32_e64 s[4:5], 0, v58
	s_and_saveexec_b64 s[50:51], s[4:5]
	s_cbranch_execz .LBB6707_60
; %bb.59:
	v_lshlrev_b32_e32 v57, 16, v56
	v_mov_b32_e32 v56, 0
	v_ashrrev_i64 v[56:57], 47, v[56:57]
	v_mov_b32_e32 v58, s53
	v_add_co_u32_e64 v59, s[4:5], s52, v56
	v_bfe_i32 v56, v55, 0, 16
	v_addc_co_u32_e64 v58, s[4:5], v58, v57, s[4:5]
	v_ashrrev_i32_e32 v57, 31, v56
	v_lshlrev_b64 v[56:57], 1, v[56:57]
	v_add_co_u32_e64 v56, s[4:5], v59, v56
	v_addc_co_u32_e64 v57, s[4:5], v58, v57, s[4:5]
	global_load_ushort v55, v[56:57], off
	s_waitcnt vmcnt(0)
	v_and_b32_e32 v57, 0xffff, v55
.LBB6707_60:
	s_or_b64 exec, exec, s[50:51]
	s_nop 0
	v_mov_b32_dpp v56, v57 row_bcast:31 row_mask:0xf bank_mask:0xf
	v_cmp_lt_u32_e64 s[4:5], 31, v3
	s_and_saveexec_b64 s[50:51], s[4:5]
	s_cbranch_execz .LBB6707_62
; %bb.61:
	v_lshlrev_b32_e32 v57, 16, v56
	v_mov_b32_e32 v56, 0
	v_ashrrev_i64 v[56:57], 47, v[56:57]
	v_mov_b32_e32 v58, s53
	v_add_co_u32_e64 v59, s[4:5], s52, v56
	v_bfe_i32 v56, v55, 0, 16
	v_addc_co_u32_e64 v58, s[4:5], v58, v57, s[4:5]
	v_ashrrev_i32_e32 v57, 31, v56
	v_lshlrev_b64 v[56:57], 1, v[56:57]
	v_add_co_u32_e64 v56, s[4:5], v59, v56
	v_addc_co_u32_e64 v57, s[4:5], v58, v57, s[4:5]
	global_load_ushort v55, v[56:57], off
.LBB6707_62:
	s_or_b64 exec, exec, s[50:51]
	v_cmp_eq_u32_e64 s[4:5], 63, v0
	s_and_saveexec_b64 s[50:51], s[4:5]
	s_cbranch_execz .LBB6707_64
; %bb.63:
	v_mov_b32_e32 v56, 0
	s_waitcnt vmcnt(0)
	ds_write_b16 v56, v55
.LBB6707_64:
	s_or_b64 exec, exec, s[50:51]
	v_add_u32_e32 v56, -1, v3
	v_and_b32_e32 v57, 64, v3
	v_cmp_lt_i32_e64 s[4:5], v56, v57
	v_cndmask_b32_e64 v3, v56, v3, s[4:5]
	s_waitcnt vmcnt(0)
	v_and_b32_e32 v55, 0xffff, v55
	v_lshlrev_b32_e32 v3, 2, v3
	ds_bpermute_b32 v55, v3, v55
	v_mul_u32_u24_e32 v3, 46, v0
	v_cmp_ne_u32_e64 s[4:5], 0, v0
	s_waitcnt lgkmcnt(0)
	; wave barrier
	s_waitcnt lgkmcnt(0)
	s_and_saveexec_b64 s[50:51], s[4:5]
	s_cbranch_execz .LBB6707_66
; %bb.65:
	v_lshlrev_b32_e32 v19, 16, v55
	v_mov_b32_e32 v18, 0
	v_ashrrev_i64 v[18:19], 47, v[18:19]
	v_mov_b32_e32 v2, s53
	v_add_co_u32_e64 v18, s[4:5], s52, v18
	v_addc_co_u32_e64 v2, s[4:5], v2, v19, s[4:5]
	v_add_co_u32_e64 v18, s[4:5], v18, v20
	v_addc_co_u32_e64 v19, s[4:5], v2, v21, s[4:5]
	global_load_ushort v2, v[18:19], off
	;;#ASMSTART
	;;#ASMEND
	s_waitcnt vmcnt(0)
	v_bfe_i32 v18, v2, 0, 16
	v_ashrrev_i32_e32 v19, 31, v18
.LBB6707_66:
	s_or_b64 exec, exec, s[50:51]
	v_lshlrev_b64 v[18:19], 1, v[18:19]
	v_mov_b32_e32 v20, s53
	v_add_co_u32_e64 v18, s[4:5], s52, v18
	v_addc_co_u32_e64 v19, s[4:5], v20, v19, s[4:5]
	v_add_co_u32_e64 v14, s[4:5], v18, v14
	v_addc_co_u32_e64 v15, s[4:5], v19, v15, s[4:5]
	global_load_ushort v18, v[14:15], off
	s_waitcnt vmcnt(0)
	v_bfe_i32 v14, v18, 0, 16
	v_ashrrev_i32_e32 v15, 31, v14
	v_lshlrev_b64 v[14:15], 1, v[14:15]
	v_add_co_u32_e64 v14, s[4:5], s52, v14
	v_addc_co_u32_e64 v15, s[4:5], v20, v15, s[4:5]
	v_add_co_u32_e64 v14, s[4:5], v14, v16
	v_addc_co_u32_e64 v15, s[4:5], v15, v17, s[4:5]
	global_load_ushort v16, v[14:15], off
	s_waitcnt vmcnt(0)
	v_bfe_i32 v14, v16, 0, 16
	v_ashrrev_i32_e32 v15, 31, v14
	v_lshlrev_b64 v[14:15], 1, v[14:15]
	;; [unrolled: 9-line block ×4, first 2 shown]
	v_add_co_u32_e64 v14, s[4:5], s52, v14
	v_addc_co_u32_e64 v15, s[4:5], v20, v15, s[4:5]
	v_add_co_u32_e64 v14, s[4:5], v14, v26
	v_addc_co_u32_e64 v15, s[4:5], v15, v27, s[4:5]
	global_load_ushort v21, v[14:15], off
	v_lshlrev_b64 v[26:27], 1, v[0:1]
	s_waitcnt vmcnt(0)
	v_bfe_i32 v14, v21, 0, 16
	v_ashrrev_i32_e32 v15, 31, v14
	v_lshlrev_b64 v[14:15], 1, v[14:15]
	v_add_co_u32_e64 v14, s[4:5], s52, v14
	v_addc_co_u32_e64 v15, s[4:5], v20, v15, s[4:5]
	v_add_co_u32_e64 v14, s[4:5], v14, v28
	v_addc_co_u32_e64 v15, s[4:5], v15, v29, s[4:5]
	global_load_ushort v22, v[14:15], off
	s_waitcnt vmcnt(0)
	v_bfe_i32 v14, v22, 0, 16
	v_ashrrev_i32_e32 v15, 31, v14
	v_lshlrev_b64 v[14:15], 1, v[14:15]
	v_add_co_u32_e64 v14, s[4:5], s52, v14
	v_addc_co_u32_e64 v15, s[4:5], v20, v15, s[4:5]
	v_add_co_u32_e64 v4, s[4:5], v14, v4
	v_addc_co_u32_e64 v5, s[4:5], v15, v5, s[4:5]
	global_load_ushort v14, v[4:5], off
	;; [unrolled: 9-line block ×5, first 2 shown]
	v_add_u32_e32 v35, v54, v3
	s_waitcnt vmcnt(0)
	v_bfe_i32 v4, v24, 0, 16
	v_ashrrev_i32_e32 v5, 31, v4
	v_lshlrev_b64 v[4:5], 1, v[4:5]
	v_add_co_u32_e64 v4, s[4:5], s52, v4
	v_addc_co_u32_e64 v5, s[4:5], v20, v5, s[4:5]
	v_add_co_u32_e64 v4, s[4:5], v4, v10
	v_addc_co_u32_e64 v5, s[4:5], v5, v11, s[4:5]
	global_load_ushort v10, v[4:5], off
	s_waitcnt vmcnt(0)
	v_bfe_i32 v4, v10, 0, 16
	v_ashrrev_i32_e32 v5, 31, v4
	v_lshlrev_b64 v[4:5], 1, v[4:5]
	v_add_co_u32_e64 v4, s[4:5], s52, v4
	v_addc_co_u32_e64 v5, s[4:5], v20, v5, s[4:5]
	v_add_co_u32_e64 v4, s[4:5], v4, v36
	v_addc_co_u32_e64 v5, s[4:5], v5, v37, s[4:5]
	global_load_ushort v11, v[4:5], off
	;; [unrolled: 9-line block ×13, first 2 shown]
	s_mov_b32 s4, 0x5040100
	v_perm_b32 v0, v18, v2, s4
	v_perm_b32 v1, v17, v16, s4
	;; [unrolled: 1-line block ×11, first 2 shown]
	s_waitcnt lgkmcnt(0)
	; wave barrier
	ds_write_b128 v35, v[0:3]
	ds_write_b128 v35, v[4:7] offset:16
	v_mov_b32_e32 v1, s55
	s_waitcnt vmcnt(0)
	v_perm_b32 v11, v20, v34, s4
	ds_write_b128 v35, v[8:11] offset:32
	s_waitcnt lgkmcnt(0)
	; wave barrier
	s_waitcnt lgkmcnt(0)
	ds_read_u16 v24, v54 offset:128
	ds_read_u16 v23, v54 offset:256
	;; [unrolled: 1-line block ×23, first 2 shown]
	v_add_co_u32_e64 v0, s[4:5], s54, v26
	v_addc_co_u32_e64 v1, s[4:5], v1, v27, s[4:5]
	s_and_saveexec_b64 s[4:5], vcc
	s_cbranch_execnz .LBB6707_91
; %bb.67:
	s_or_b64 exec, exec, s[4:5]
	s_and_saveexec_b64 s[4:5], s[0:1]
	s_cbranch_execnz .LBB6707_92
.LBB6707_68:
	s_or_b64 exec, exec, s[4:5]
	s_and_saveexec_b64 s[0:1], s[2:3]
	s_cbranch_execnz .LBB6707_93
.LBB6707_69:
	s_or_b64 exec, exec, s[0:1]
	s_and_saveexec_b64 s[0:1], s[48:49]
	s_cbranch_execnz .LBB6707_94
.LBB6707_70:
	s_or_b64 exec, exec, s[0:1]
	s_and_saveexec_b64 s[0:1], s[6:7]
	s_cbranch_execnz .LBB6707_95
.LBB6707_71:
	s_or_b64 exec, exec, s[0:1]
	s_and_saveexec_b64 s[0:1], s[8:9]
	s_cbranch_execnz .LBB6707_96
.LBB6707_72:
	s_or_b64 exec, exec, s[0:1]
	s_and_saveexec_b64 s[0:1], s[10:11]
	s_cbranch_execnz .LBB6707_97
.LBB6707_73:
	s_or_b64 exec, exec, s[0:1]
	s_and_saveexec_b64 s[0:1], s[12:13]
	s_cbranch_execnz .LBB6707_98
.LBB6707_74:
	s_or_b64 exec, exec, s[0:1]
	s_and_saveexec_b64 s[0:1], s[14:15]
	s_cbranch_execnz .LBB6707_99
.LBB6707_75:
	s_or_b64 exec, exec, s[0:1]
	s_and_saveexec_b64 s[0:1], s[16:17]
	s_cbranch_execnz .LBB6707_100
.LBB6707_76:
	s_or_b64 exec, exec, s[0:1]
	s_and_saveexec_b64 s[0:1], s[18:19]
	s_cbranch_execnz .LBB6707_101
.LBB6707_77:
	s_or_b64 exec, exec, s[0:1]
	s_and_saveexec_b64 s[0:1], s[20:21]
	s_cbranch_execnz .LBB6707_102
.LBB6707_78:
	s_or_b64 exec, exec, s[0:1]
	s_and_saveexec_b64 s[0:1], s[22:23]
	s_cbranch_execnz .LBB6707_103
.LBB6707_79:
	s_or_b64 exec, exec, s[0:1]
	s_and_saveexec_b64 s[0:1], s[24:25]
	s_cbranch_execnz .LBB6707_104
.LBB6707_80:
	s_or_b64 exec, exec, s[0:1]
	s_and_saveexec_b64 s[0:1], s[26:27]
	s_cbranch_execnz .LBB6707_105
.LBB6707_81:
	s_or_b64 exec, exec, s[0:1]
	s_and_saveexec_b64 s[0:1], s[28:29]
	s_cbranch_execnz .LBB6707_106
.LBB6707_82:
	s_or_b64 exec, exec, s[0:1]
	s_and_saveexec_b64 s[0:1], s[30:31]
	s_cbranch_execnz .LBB6707_107
.LBB6707_83:
	s_or_b64 exec, exec, s[0:1]
	s_and_saveexec_b64 s[0:1], s[34:35]
	s_cbranch_execnz .LBB6707_108
.LBB6707_84:
	s_or_b64 exec, exec, s[0:1]
	s_and_saveexec_b64 s[0:1], s[36:37]
	s_cbranch_execnz .LBB6707_109
.LBB6707_85:
	s_or_b64 exec, exec, s[0:1]
	s_and_saveexec_b64 s[0:1], s[38:39]
	s_cbranch_execnz .LBB6707_110
.LBB6707_86:
	s_or_b64 exec, exec, s[0:1]
	s_and_saveexec_b64 s[0:1], s[40:41]
	s_cbranch_execnz .LBB6707_111
.LBB6707_87:
	s_or_b64 exec, exec, s[0:1]
	s_and_saveexec_b64 s[0:1], s[42:43]
	s_cbranch_execnz .LBB6707_112
.LBB6707_88:
	s_or_b64 exec, exec, s[0:1]
	s_and_saveexec_b64 s[0:1], s[44:45]
	s_cbranch_execnz .LBB6707_113
.LBB6707_89:
	s_or_b64 exec, exec, s[0:1]
	s_and_saveexec_b64 s[0:1], s[46:47]
	s_cbranch_execnz .LBB6707_114
.LBB6707_90:
	s_endpgm
.LBB6707_91:
	ds_read_u16 v25, v54
	s_waitcnt lgkmcnt(0)
	global_store_short v[0:1], v25, off
	s_or_b64 exec, exec, s[4:5]
	s_and_saveexec_b64 s[4:5], s[0:1]
	s_cbranch_execz .LBB6707_68
.LBB6707_92:
	s_waitcnt lgkmcnt(14)
	global_store_short v[0:1], v24, off offset:128
	s_or_b64 exec, exec, s[4:5]
	s_and_saveexec_b64 s[0:1], s[2:3]
	s_cbranch_execz .LBB6707_69
.LBB6707_93:
	s_waitcnt lgkmcnt(14)
	global_store_short v[0:1], v23, off offset:256
	s_or_b64 exec, exec, s[0:1]
	s_and_saveexec_b64 s[0:1], s[48:49]
	s_cbranch_execz .LBB6707_70
.LBB6707_94:
	s_waitcnt lgkmcnt(14)
	global_store_short v[0:1], v22, off offset:384
	s_or_b64 exec, exec, s[0:1]
	s_and_saveexec_b64 s[0:1], s[6:7]
	s_cbranch_execz .LBB6707_71
.LBB6707_95:
	s_waitcnt lgkmcnt(14)
	global_store_short v[0:1], v21, off offset:512
	s_or_b64 exec, exec, s[0:1]
	s_and_saveexec_b64 s[0:1], s[8:9]
	s_cbranch_execz .LBB6707_72
.LBB6707_96:
	s_waitcnt lgkmcnt(14)
	global_store_short v[0:1], v20, off offset:640
	s_or_b64 exec, exec, s[0:1]
	s_and_saveexec_b64 s[0:1], s[10:11]
	s_cbranch_execz .LBB6707_73
.LBB6707_97:
	s_waitcnt lgkmcnt(14)
	global_store_short v[0:1], v19, off offset:768
	s_or_b64 exec, exec, s[0:1]
	s_and_saveexec_b64 s[0:1], s[12:13]
	s_cbranch_execz .LBB6707_74
.LBB6707_98:
	s_waitcnt lgkmcnt(14)
	global_store_short v[0:1], v18, off offset:896
	s_or_b64 exec, exec, s[0:1]
	s_and_saveexec_b64 s[0:1], s[14:15]
	s_cbranch_execz .LBB6707_75
.LBB6707_99:
	s_waitcnt lgkmcnt(14)
	global_store_short v[0:1], v17, off offset:1024
	s_or_b64 exec, exec, s[0:1]
	s_and_saveexec_b64 s[0:1], s[16:17]
	s_cbranch_execz .LBB6707_76
.LBB6707_100:
	s_waitcnt lgkmcnt(14)
	global_store_short v[0:1], v16, off offset:1152
	s_or_b64 exec, exec, s[0:1]
	s_and_saveexec_b64 s[0:1], s[18:19]
	s_cbranch_execz .LBB6707_77
.LBB6707_101:
	s_waitcnt lgkmcnt(13)
	global_store_short v[0:1], v15, off offset:1280
	s_or_b64 exec, exec, s[0:1]
	s_and_saveexec_b64 s[0:1], s[20:21]
	s_cbranch_execz .LBB6707_78
.LBB6707_102:
	s_waitcnt lgkmcnt(12)
	global_store_short v[0:1], v14, off offset:1408
	s_or_b64 exec, exec, s[0:1]
	s_and_saveexec_b64 s[0:1], s[22:23]
	s_cbranch_execz .LBB6707_79
.LBB6707_103:
	s_waitcnt lgkmcnt(11)
	global_store_short v[0:1], v13, off offset:1536
	s_or_b64 exec, exec, s[0:1]
	s_and_saveexec_b64 s[0:1], s[24:25]
	s_cbranch_execz .LBB6707_80
.LBB6707_104:
	s_waitcnt lgkmcnt(10)
	global_store_short v[0:1], v12, off offset:1664
	s_or_b64 exec, exec, s[0:1]
	s_and_saveexec_b64 s[0:1], s[26:27]
	s_cbranch_execz .LBB6707_81
.LBB6707_105:
	s_waitcnt lgkmcnt(9)
	global_store_short v[0:1], v11, off offset:1792
	s_or_b64 exec, exec, s[0:1]
	s_and_saveexec_b64 s[0:1], s[28:29]
	s_cbranch_execz .LBB6707_82
.LBB6707_106:
	s_waitcnt lgkmcnt(8)
	global_store_short v[0:1], v10, off offset:1920
	s_or_b64 exec, exec, s[0:1]
	s_and_saveexec_b64 s[0:1], s[30:31]
	s_cbranch_execz .LBB6707_83
.LBB6707_107:
	s_waitcnt lgkmcnt(7)
	global_store_short v[0:1], v9, off offset:2048
	s_or_b64 exec, exec, s[0:1]
	s_and_saveexec_b64 s[0:1], s[34:35]
	s_cbranch_execz .LBB6707_84
.LBB6707_108:
	s_waitcnt lgkmcnt(6)
	global_store_short v[0:1], v8, off offset:2176
	s_or_b64 exec, exec, s[0:1]
	s_and_saveexec_b64 s[0:1], s[36:37]
	s_cbranch_execz .LBB6707_85
.LBB6707_109:
	s_waitcnt lgkmcnt(5)
	global_store_short v[0:1], v7, off offset:2304
	s_or_b64 exec, exec, s[0:1]
	s_and_saveexec_b64 s[0:1], s[38:39]
	s_cbranch_execz .LBB6707_86
.LBB6707_110:
	s_waitcnt lgkmcnt(4)
	global_store_short v[0:1], v6, off offset:2432
	s_or_b64 exec, exec, s[0:1]
	s_and_saveexec_b64 s[0:1], s[40:41]
	s_cbranch_execz .LBB6707_87
.LBB6707_111:
	s_waitcnt lgkmcnt(3)
	global_store_short v[0:1], v5, off offset:2560
	s_or_b64 exec, exec, s[0:1]
	s_and_saveexec_b64 s[0:1], s[42:43]
	s_cbranch_execz .LBB6707_88
.LBB6707_112:
	s_waitcnt lgkmcnt(2)
	global_store_short v[0:1], v4, off offset:2688
	s_or_b64 exec, exec, s[0:1]
	s_and_saveexec_b64 s[0:1], s[44:45]
	s_cbranch_execz .LBB6707_89
.LBB6707_113:
	s_waitcnt lgkmcnt(1)
	global_store_short v[0:1], v3, off offset:2816
	s_or_b64 exec, exec, s[0:1]
	s_and_saveexec_b64 s[0:1], s[46:47]
	s_cbranch_execz .LBB6707_90
.LBB6707_114:
	s_waitcnt lgkmcnt(0)
	global_store_short v[0:1], v2, off offset:2944
	s_endpgm
	.section	.rodata,"a",@progbits
	.p2align	6, 0x0
	.amdhsa_kernel _ZN7rocprim17ROCPRIM_400000_NS6detail17trampoline_kernelINS0_14default_configENS1_20scan_config_selectorIsEEZZNS1_9scan_implILNS1_25lookback_scan_determinismE0ELb0ELb0ES3_N6thrust23THRUST_200600_302600_NS6detail15normal_iteratorINS9_10device_ptrIsEEEESE_s9plus_mod3IsEsEEDaPvRmT3_T4_T5_mT6_P12ihipStream_tbENKUlT_T0_E_clISt17integral_constantIbLb1EESU_EEDaSP_SQ_EUlSP_E0_NS1_11comp_targetILNS1_3genE4ELNS1_11target_archE910ELNS1_3gpuE8ELNS1_3repE0EEENS1_30default_config_static_selectorELNS0_4arch9wavefront6targetE1EEEvT1_
		.amdhsa_group_segment_fixed_size 3072
		.amdhsa_private_segment_fixed_size 0
		.amdhsa_kernarg_size 40
		.amdhsa_user_sgpr_count 6
		.amdhsa_user_sgpr_private_segment_buffer 1
		.amdhsa_user_sgpr_dispatch_ptr 0
		.amdhsa_user_sgpr_queue_ptr 0
		.amdhsa_user_sgpr_kernarg_segment_ptr 1
		.amdhsa_user_sgpr_dispatch_id 0
		.amdhsa_user_sgpr_flat_scratch_init 0
		.amdhsa_user_sgpr_kernarg_preload_length 0
		.amdhsa_user_sgpr_kernarg_preload_offset 0
		.amdhsa_user_sgpr_private_segment_size 0
		.amdhsa_uses_dynamic_stack 0
		.amdhsa_system_sgpr_private_segment_wavefront_offset 0
		.amdhsa_system_sgpr_workgroup_id_x 1
		.amdhsa_system_sgpr_workgroup_id_y 0
		.amdhsa_system_sgpr_workgroup_id_z 0
		.amdhsa_system_sgpr_workgroup_info 0
		.amdhsa_system_vgpr_workitem_id 0
		.amdhsa_next_free_vgpr 61
		.amdhsa_next_free_sgpr 60
		.amdhsa_accum_offset 64
		.amdhsa_reserve_vcc 1
		.amdhsa_reserve_flat_scratch 0
		.amdhsa_float_round_mode_32 0
		.amdhsa_float_round_mode_16_64 0
		.amdhsa_float_denorm_mode_32 3
		.amdhsa_float_denorm_mode_16_64 3
		.amdhsa_dx10_clamp 1
		.amdhsa_ieee_mode 1
		.amdhsa_fp16_overflow 0
		.amdhsa_tg_split 0
		.amdhsa_exception_fp_ieee_invalid_op 0
		.amdhsa_exception_fp_denorm_src 0
		.amdhsa_exception_fp_ieee_div_zero 0
		.amdhsa_exception_fp_ieee_overflow 0
		.amdhsa_exception_fp_ieee_underflow 0
		.amdhsa_exception_fp_ieee_inexact 0
		.amdhsa_exception_int_div_zero 0
	.end_amdhsa_kernel
	.section	.text._ZN7rocprim17ROCPRIM_400000_NS6detail17trampoline_kernelINS0_14default_configENS1_20scan_config_selectorIsEEZZNS1_9scan_implILNS1_25lookback_scan_determinismE0ELb0ELb0ES3_N6thrust23THRUST_200600_302600_NS6detail15normal_iteratorINS9_10device_ptrIsEEEESE_s9plus_mod3IsEsEEDaPvRmT3_T4_T5_mT6_P12ihipStream_tbENKUlT_T0_E_clISt17integral_constantIbLb1EESU_EEDaSP_SQ_EUlSP_E0_NS1_11comp_targetILNS1_3genE4ELNS1_11target_archE910ELNS1_3gpuE8ELNS1_3repE0EEENS1_30default_config_static_selectorELNS0_4arch9wavefront6targetE1EEEvT1_,"axG",@progbits,_ZN7rocprim17ROCPRIM_400000_NS6detail17trampoline_kernelINS0_14default_configENS1_20scan_config_selectorIsEEZZNS1_9scan_implILNS1_25lookback_scan_determinismE0ELb0ELb0ES3_N6thrust23THRUST_200600_302600_NS6detail15normal_iteratorINS9_10device_ptrIsEEEESE_s9plus_mod3IsEsEEDaPvRmT3_T4_T5_mT6_P12ihipStream_tbENKUlT_T0_E_clISt17integral_constantIbLb1EESU_EEDaSP_SQ_EUlSP_E0_NS1_11comp_targetILNS1_3genE4ELNS1_11target_archE910ELNS1_3gpuE8ELNS1_3repE0EEENS1_30default_config_static_selectorELNS0_4arch9wavefront6targetE1EEEvT1_,comdat
.Lfunc_end6707:
	.size	_ZN7rocprim17ROCPRIM_400000_NS6detail17trampoline_kernelINS0_14default_configENS1_20scan_config_selectorIsEEZZNS1_9scan_implILNS1_25lookback_scan_determinismE0ELb0ELb0ES3_N6thrust23THRUST_200600_302600_NS6detail15normal_iteratorINS9_10device_ptrIsEEEESE_s9plus_mod3IsEsEEDaPvRmT3_T4_T5_mT6_P12ihipStream_tbENKUlT_T0_E_clISt17integral_constantIbLb1EESU_EEDaSP_SQ_EUlSP_E0_NS1_11comp_targetILNS1_3genE4ELNS1_11target_archE910ELNS1_3gpuE8ELNS1_3repE0EEENS1_30default_config_static_selectorELNS0_4arch9wavefront6targetE1EEEvT1_, .Lfunc_end6707-_ZN7rocprim17ROCPRIM_400000_NS6detail17trampoline_kernelINS0_14default_configENS1_20scan_config_selectorIsEEZZNS1_9scan_implILNS1_25lookback_scan_determinismE0ELb0ELb0ES3_N6thrust23THRUST_200600_302600_NS6detail15normal_iteratorINS9_10device_ptrIsEEEESE_s9plus_mod3IsEsEEDaPvRmT3_T4_T5_mT6_P12ihipStream_tbENKUlT_T0_E_clISt17integral_constantIbLb1EESU_EEDaSP_SQ_EUlSP_E0_NS1_11comp_targetILNS1_3genE4ELNS1_11target_archE910ELNS1_3gpuE8ELNS1_3repE0EEENS1_30default_config_static_selectorELNS0_4arch9wavefront6targetE1EEEvT1_
                                        ; -- End function
	.section	.AMDGPU.csdata,"",@progbits
; Kernel info:
; codeLenInByte = 6952
; NumSgprs: 64
; NumVgprs: 61
; NumAgprs: 0
; TotalNumVgprs: 61
; ScratchSize: 0
; MemoryBound: 0
; FloatMode: 240
; IeeeMode: 1
; LDSByteSize: 3072 bytes/workgroup (compile time only)
; SGPRBlocks: 7
; VGPRBlocks: 7
; NumSGPRsForWavesPerEU: 64
; NumVGPRsForWavesPerEU: 61
; AccumOffset: 64
; Occupancy: 6
; WaveLimiterHint : 1
; COMPUTE_PGM_RSRC2:SCRATCH_EN: 0
; COMPUTE_PGM_RSRC2:USER_SGPR: 6
; COMPUTE_PGM_RSRC2:TRAP_HANDLER: 0
; COMPUTE_PGM_RSRC2:TGID_X_EN: 1
; COMPUTE_PGM_RSRC2:TGID_Y_EN: 0
; COMPUTE_PGM_RSRC2:TGID_Z_EN: 0
; COMPUTE_PGM_RSRC2:TIDIG_COMP_CNT: 0
; COMPUTE_PGM_RSRC3_GFX90A:ACCUM_OFFSET: 15
; COMPUTE_PGM_RSRC3_GFX90A:TG_SPLIT: 0
	.section	.text._ZN7rocprim17ROCPRIM_400000_NS6detail17trampoline_kernelINS0_14default_configENS1_20scan_config_selectorIsEEZZNS1_9scan_implILNS1_25lookback_scan_determinismE0ELb0ELb0ES3_N6thrust23THRUST_200600_302600_NS6detail15normal_iteratorINS9_10device_ptrIsEEEESE_s9plus_mod3IsEsEEDaPvRmT3_T4_T5_mT6_P12ihipStream_tbENKUlT_T0_E_clISt17integral_constantIbLb1EESU_EEDaSP_SQ_EUlSP_E0_NS1_11comp_targetILNS1_3genE3ELNS1_11target_archE908ELNS1_3gpuE7ELNS1_3repE0EEENS1_30default_config_static_selectorELNS0_4arch9wavefront6targetE1EEEvT1_,"axG",@progbits,_ZN7rocprim17ROCPRIM_400000_NS6detail17trampoline_kernelINS0_14default_configENS1_20scan_config_selectorIsEEZZNS1_9scan_implILNS1_25lookback_scan_determinismE0ELb0ELb0ES3_N6thrust23THRUST_200600_302600_NS6detail15normal_iteratorINS9_10device_ptrIsEEEESE_s9plus_mod3IsEsEEDaPvRmT3_T4_T5_mT6_P12ihipStream_tbENKUlT_T0_E_clISt17integral_constantIbLb1EESU_EEDaSP_SQ_EUlSP_E0_NS1_11comp_targetILNS1_3genE3ELNS1_11target_archE908ELNS1_3gpuE7ELNS1_3repE0EEENS1_30default_config_static_selectorELNS0_4arch9wavefront6targetE1EEEvT1_,comdat
	.protected	_ZN7rocprim17ROCPRIM_400000_NS6detail17trampoline_kernelINS0_14default_configENS1_20scan_config_selectorIsEEZZNS1_9scan_implILNS1_25lookback_scan_determinismE0ELb0ELb0ES3_N6thrust23THRUST_200600_302600_NS6detail15normal_iteratorINS9_10device_ptrIsEEEESE_s9plus_mod3IsEsEEDaPvRmT3_T4_T5_mT6_P12ihipStream_tbENKUlT_T0_E_clISt17integral_constantIbLb1EESU_EEDaSP_SQ_EUlSP_E0_NS1_11comp_targetILNS1_3genE3ELNS1_11target_archE908ELNS1_3gpuE7ELNS1_3repE0EEENS1_30default_config_static_selectorELNS0_4arch9wavefront6targetE1EEEvT1_ ; -- Begin function _ZN7rocprim17ROCPRIM_400000_NS6detail17trampoline_kernelINS0_14default_configENS1_20scan_config_selectorIsEEZZNS1_9scan_implILNS1_25lookback_scan_determinismE0ELb0ELb0ES3_N6thrust23THRUST_200600_302600_NS6detail15normal_iteratorINS9_10device_ptrIsEEEESE_s9plus_mod3IsEsEEDaPvRmT3_T4_T5_mT6_P12ihipStream_tbENKUlT_T0_E_clISt17integral_constantIbLb1EESU_EEDaSP_SQ_EUlSP_E0_NS1_11comp_targetILNS1_3genE3ELNS1_11target_archE908ELNS1_3gpuE7ELNS1_3repE0EEENS1_30default_config_static_selectorELNS0_4arch9wavefront6targetE1EEEvT1_
	.globl	_ZN7rocprim17ROCPRIM_400000_NS6detail17trampoline_kernelINS0_14default_configENS1_20scan_config_selectorIsEEZZNS1_9scan_implILNS1_25lookback_scan_determinismE0ELb0ELb0ES3_N6thrust23THRUST_200600_302600_NS6detail15normal_iteratorINS9_10device_ptrIsEEEESE_s9plus_mod3IsEsEEDaPvRmT3_T4_T5_mT6_P12ihipStream_tbENKUlT_T0_E_clISt17integral_constantIbLb1EESU_EEDaSP_SQ_EUlSP_E0_NS1_11comp_targetILNS1_3genE3ELNS1_11target_archE908ELNS1_3gpuE7ELNS1_3repE0EEENS1_30default_config_static_selectorELNS0_4arch9wavefront6targetE1EEEvT1_
	.p2align	8
	.type	_ZN7rocprim17ROCPRIM_400000_NS6detail17trampoline_kernelINS0_14default_configENS1_20scan_config_selectorIsEEZZNS1_9scan_implILNS1_25lookback_scan_determinismE0ELb0ELb0ES3_N6thrust23THRUST_200600_302600_NS6detail15normal_iteratorINS9_10device_ptrIsEEEESE_s9plus_mod3IsEsEEDaPvRmT3_T4_T5_mT6_P12ihipStream_tbENKUlT_T0_E_clISt17integral_constantIbLb1EESU_EEDaSP_SQ_EUlSP_E0_NS1_11comp_targetILNS1_3genE3ELNS1_11target_archE908ELNS1_3gpuE7ELNS1_3repE0EEENS1_30default_config_static_selectorELNS0_4arch9wavefront6targetE1EEEvT1_,@function
_ZN7rocprim17ROCPRIM_400000_NS6detail17trampoline_kernelINS0_14default_configENS1_20scan_config_selectorIsEEZZNS1_9scan_implILNS1_25lookback_scan_determinismE0ELb0ELb0ES3_N6thrust23THRUST_200600_302600_NS6detail15normal_iteratorINS9_10device_ptrIsEEEESE_s9plus_mod3IsEsEEDaPvRmT3_T4_T5_mT6_P12ihipStream_tbENKUlT_T0_E_clISt17integral_constantIbLb1EESU_EEDaSP_SQ_EUlSP_E0_NS1_11comp_targetILNS1_3genE3ELNS1_11target_archE908ELNS1_3gpuE7ELNS1_3repE0EEENS1_30default_config_static_selectorELNS0_4arch9wavefront6targetE1EEEvT1_: ; @_ZN7rocprim17ROCPRIM_400000_NS6detail17trampoline_kernelINS0_14default_configENS1_20scan_config_selectorIsEEZZNS1_9scan_implILNS1_25lookback_scan_determinismE0ELb0ELb0ES3_N6thrust23THRUST_200600_302600_NS6detail15normal_iteratorINS9_10device_ptrIsEEEESE_s9plus_mod3IsEsEEDaPvRmT3_T4_T5_mT6_P12ihipStream_tbENKUlT_T0_E_clISt17integral_constantIbLb1EESU_EEDaSP_SQ_EUlSP_E0_NS1_11comp_targetILNS1_3genE3ELNS1_11target_archE908ELNS1_3gpuE7ELNS1_3repE0EEENS1_30default_config_static_selectorELNS0_4arch9wavefront6targetE1EEEvT1_
; %bb.0:
	.section	.rodata,"a",@progbits
	.p2align	6, 0x0
	.amdhsa_kernel _ZN7rocprim17ROCPRIM_400000_NS6detail17trampoline_kernelINS0_14default_configENS1_20scan_config_selectorIsEEZZNS1_9scan_implILNS1_25lookback_scan_determinismE0ELb0ELb0ES3_N6thrust23THRUST_200600_302600_NS6detail15normal_iteratorINS9_10device_ptrIsEEEESE_s9plus_mod3IsEsEEDaPvRmT3_T4_T5_mT6_P12ihipStream_tbENKUlT_T0_E_clISt17integral_constantIbLb1EESU_EEDaSP_SQ_EUlSP_E0_NS1_11comp_targetILNS1_3genE3ELNS1_11target_archE908ELNS1_3gpuE7ELNS1_3repE0EEENS1_30default_config_static_selectorELNS0_4arch9wavefront6targetE1EEEvT1_
		.amdhsa_group_segment_fixed_size 0
		.amdhsa_private_segment_fixed_size 0
		.amdhsa_kernarg_size 40
		.amdhsa_user_sgpr_count 6
		.amdhsa_user_sgpr_private_segment_buffer 1
		.amdhsa_user_sgpr_dispatch_ptr 0
		.amdhsa_user_sgpr_queue_ptr 0
		.amdhsa_user_sgpr_kernarg_segment_ptr 1
		.amdhsa_user_sgpr_dispatch_id 0
		.amdhsa_user_sgpr_flat_scratch_init 0
		.amdhsa_user_sgpr_kernarg_preload_length 0
		.amdhsa_user_sgpr_kernarg_preload_offset 0
		.amdhsa_user_sgpr_private_segment_size 0
		.amdhsa_uses_dynamic_stack 0
		.amdhsa_system_sgpr_private_segment_wavefront_offset 0
		.amdhsa_system_sgpr_workgroup_id_x 1
		.amdhsa_system_sgpr_workgroup_id_y 0
		.amdhsa_system_sgpr_workgroup_id_z 0
		.amdhsa_system_sgpr_workgroup_info 0
		.amdhsa_system_vgpr_workitem_id 0
		.amdhsa_next_free_vgpr 1
		.amdhsa_next_free_sgpr 0
		.amdhsa_accum_offset 4
		.amdhsa_reserve_vcc 0
		.amdhsa_reserve_flat_scratch 0
		.amdhsa_float_round_mode_32 0
		.amdhsa_float_round_mode_16_64 0
		.amdhsa_float_denorm_mode_32 3
		.amdhsa_float_denorm_mode_16_64 3
		.amdhsa_dx10_clamp 1
		.amdhsa_ieee_mode 1
		.amdhsa_fp16_overflow 0
		.amdhsa_tg_split 0
		.amdhsa_exception_fp_ieee_invalid_op 0
		.amdhsa_exception_fp_denorm_src 0
		.amdhsa_exception_fp_ieee_div_zero 0
		.amdhsa_exception_fp_ieee_overflow 0
		.amdhsa_exception_fp_ieee_underflow 0
		.amdhsa_exception_fp_ieee_inexact 0
		.amdhsa_exception_int_div_zero 0
	.end_amdhsa_kernel
	.section	.text._ZN7rocprim17ROCPRIM_400000_NS6detail17trampoline_kernelINS0_14default_configENS1_20scan_config_selectorIsEEZZNS1_9scan_implILNS1_25lookback_scan_determinismE0ELb0ELb0ES3_N6thrust23THRUST_200600_302600_NS6detail15normal_iteratorINS9_10device_ptrIsEEEESE_s9plus_mod3IsEsEEDaPvRmT3_T4_T5_mT6_P12ihipStream_tbENKUlT_T0_E_clISt17integral_constantIbLb1EESU_EEDaSP_SQ_EUlSP_E0_NS1_11comp_targetILNS1_3genE3ELNS1_11target_archE908ELNS1_3gpuE7ELNS1_3repE0EEENS1_30default_config_static_selectorELNS0_4arch9wavefront6targetE1EEEvT1_,"axG",@progbits,_ZN7rocprim17ROCPRIM_400000_NS6detail17trampoline_kernelINS0_14default_configENS1_20scan_config_selectorIsEEZZNS1_9scan_implILNS1_25lookback_scan_determinismE0ELb0ELb0ES3_N6thrust23THRUST_200600_302600_NS6detail15normal_iteratorINS9_10device_ptrIsEEEESE_s9plus_mod3IsEsEEDaPvRmT3_T4_T5_mT6_P12ihipStream_tbENKUlT_T0_E_clISt17integral_constantIbLb1EESU_EEDaSP_SQ_EUlSP_E0_NS1_11comp_targetILNS1_3genE3ELNS1_11target_archE908ELNS1_3gpuE7ELNS1_3repE0EEENS1_30default_config_static_selectorELNS0_4arch9wavefront6targetE1EEEvT1_,comdat
.Lfunc_end6708:
	.size	_ZN7rocprim17ROCPRIM_400000_NS6detail17trampoline_kernelINS0_14default_configENS1_20scan_config_selectorIsEEZZNS1_9scan_implILNS1_25lookback_scan_determinismE0ELb0ELb0ES3_N6thrust23THRUST_200600_302600_NS6detail15normal_iteratorINS9_10device_ptrIsEEEESE_s9plus_mod3IsEsEEDaPvRmT3_T4_T5_mT6_P12ihipStream_tbENKUlT_T0_E_clISt17integral_constantIbLb1EESU_EEDaSP_SQ_EUlSP_E0_NS1_11comp_targetILNS1_3genE3ELNS1_11target_archE908ELNS1_3gpuE7ELNS1_3repE0EEENS1_30default_config_static_selectorELNS0_4arch9wavefront6targetE1EEEvT1_, .Lfunc_end6708-_ZN7rocprim17ROCPRIM_400000_NS6detail17trampoline_kernelINS0_14default_configENS1_20scan_config_selectorIsEEZZNS1_9scan_implILNS1_25lookback_scan_determinismE0ELb0ELb0ES3_N6thrust23THRUST_200600_302600_NS6detail15normal_iteratorINS9_10device_ptrIsEEEESE_s9plus_mod3IsEsEEDaPvRmT3_T4_T5_mT6_P12ihipStream_tbENKUlT_T0_E_clISt17integral_constantIbLb1EESU_EEDaSP_SQ_EUlSP_E0_NS1_11comp_targetILNS1_3genE3ELNS1_11target_archE908ELNS1_3gpuE7ELNS1_3repE0EEENS1_30default_config_static_selectorELNS0_4arch9wavefront6targetE1EEEvT1_
                                        ; -- End function
	.section	.AMDGPU.csdata,"",@progbits
; Kernel info:
; codeLenInByte = 0
; NumSgprs: 4
; NumVgprs: 0
; NumAgprs: 0
; TotalNumVgprs: 0
; ScratchSize: 0
; MemoryBound: 0
; FloatMode: 240
; IeeeMode: 1
; LDSByteSize: 0 bytes/workgroup (compile time only)
; SGPRBlocks: 0
; VGPRBlocks: 0
; NumSGPRsForWavesPerEU: 4
; NumVGPRsForWavesPerEU: 1
; AccumOffset: 4
; Occupancy: 8
; WaveLimiterHint : 0
; COMPUTE_PGM_RSRC2:SCRATCH_EN: 0
; COMPUTE_PGM_RSRC2:USER_SGPR: 6
; COMPUTE_PGM_RSRC2:TRAP_HANDLER: 0
; COMPUTE_PGM_RSRC2:TGID_X_EN: 1
; COMPUTE_PGM_RSRC2:TGID_Y_EN: 0
; COMPUTE_PGM_RSRC2:TGID_Z_EN: 0
; COMPUTE_PGM_RSRC2:TIDIG_COMP_CNT: 0
; COMPUTE_PGM_RSRC3_GFX90A:ACCUM_OFFSET: 0
; COMPUTE_PGM_RSRC3_GFX90A:TG_SPLIT: 0
	.section	.text._ZN7rocprim17ROCPRIM_400000_NS6detail17trampoline_kernelINS0_14default_configENS1_20scan_config_selectorIsEEZZNS1_9scan_implILNS1_25lookback_scan_determinismE0ELb0ELb0ES3_N6thrust23THRUST_200600_302600_NS6detail15normal_iteratorINS9_10device_ptrIsEEEESE_s9plus_mod3IsEsEEDaPvRmT3_T4_T5_mT6_P12ihipStream_tbENKUlT_T0_E_clISt17integral_constantIbLb1EESU_EEDaSP_SQ_EUlSP_E0_NS1_11comp_targetILNS1_3genE2ELNS1_11target_archE906ELNS1_3gpuE6ELNS1_3repE0EEENS1_30default_config_static_selectorELNS0_4arch9wavefront6targetE1EEEvT1_,"axG",@progbits,_ZN7rocprim17ROCPRIM_400000_NS6detail17trampoline_kernelINS0_14default_configENS1_20scan_config_selectorIsEEZZNS1_9scan_implILNS1_25lookback_scan_determinismE0ELb0ELb0ES3_N6thrust23THRUST_200600_302600_NS6detail15normal_iteratorINS9_10device_ptrIsEEEESE_s9plus_mod3IsEsEEDaPvRmT3_T4_T5_mT6_P12ihipStream_tbENKUlT_T0_E_clISt17integral_constantIbLb1EESU_EEDaSP_SQ_EUlSP_E0_NS1_11comp_targetILNS1_3genE2ELNS1_11target_archE906ELNS1_3gpuE6ELNS1_3repE0EEENS1_30default_config_static_selectorELNS0_4arch9wavefront6targetE1EEEvT1_,comdat
	.protected	_ZN7rocprim17ROCPRIM_400000_NS6detail17trampoline_kernelINS0_14default_configENS1_20scan_config_selectorIsEEZZNS1_9scan_implILNS1_25lookback_scan_determinismE0ELb0ELb0ES3_N6thrust23THRUST_200600_302600_NS6detail15normal_iteratorINS9_10device_ptrIsEEEESE_s9plus_mod3IsEsEEDaPvRmT3_T4_T5_mT6_P12ihipStream_tbENKUlT_T0_E_clISt17integral_constantIbLb1EESU_EEDaSP_SQ_EUlSP_E0_NS1_11comp_targetILNS1_3genE2ELNS1_11target_archE906ELNS1_3gpuE6ELNS1_3repE0EEENS1_30default_config_static_selectorELNS0_4arch9wavefront6targetE1EEEvT1_ ; -- Begin function _ZN7rocprim17ROCPRIM_400000_NS6detail17trampoline_kernelINS0_14default_configENS1_20scan_config_selectorIsEEZZNS1_9scan_implILNS1_25lookback_scan_determinismE0ELb0ELb0ES3_N6thrust23THRUST_200600_302600_NS6detail15normal_iteratorINS9_10device_ptrIsEEEESE_s9plus_mod3IsEsEEDaPvRmT3_T4_T5_mT6_P12ihipStream_tbENKUlT_T0_E_clISt17integral_constantIbLb1EESU_EEDaSP_SQ_EUlSP_E0_NS1_11comp_targetILNS1_3genE2ELNS1_11target_archE906ELNS1_3gpuE6ELNS1_3repE0EEENS1_30default_config_static_selectorELNS0_4arch9wavefront6targetE1EEEvT1_
	.globl	_ZN7rocprim17ROCPRIM_400000_NS6detail17trampoline_kernelINS0_14default_configENS1_20scan_config_selectorIsEEZZNS1_9scan_implILNS1_25lookback_scan_determinismE0ELb0ELb0ES3_N6thrust23THRUST_200600_302600_NS6detail15normal_iteratorINS9_10device_ptrIsEEEESE_s9plus_mod3IsEsEEDaPvRmT3_T4_T5_mT6_P12ihipStream_tbENKUlT_T0_E_clISt17integral_constantIbLb1EESU_EEDaSP_SQ_EUlSP_E0_NS1_11comp_targetILNS1_3genE2ELNS1_11target_archE906ELNS1_3gpuE6ELNS1_3repE0EEENS1_30default_config_static_selectorELNS0_4arch9wavefront6targetE1EEEvT1_
	.p2align	8
	.type	_ZN7rocprim17ROCPRIM_400000_NS6detail17trampoline_kernelINS0_14default_configENS1_20scan_config_selectorIsEEZZNS1_9scan_implILNS1_25lookback_scan_determinismE0ELb0ELb0ES3_N6thrust23THRUST_200600_302600_NS6detail15normal_iteratorINS9_10device_ptrIsEEEESE_s9plus_mod3IsEsEEDaPvRmT3_T4_T5_mT6_P12ihipStream_tbENKUlT_T0_E_clISt17integral_constantIbLb1EESU_EEDaSP_SQ_EUlSP_E0_NS1_11comp_targetILNS1_3genE2ELNS1_11target_archE906ELNS1_3gpuE6ELNS1_3repE0EEENS1_30default_config_static_selectorELNS0_4arch9wavefront6targetE1EEEvT1_,@function
_ZN7rocprim17ROCPRIM_400000_NS6detail17trampoline_kernelINS0_14default_configENS1_20scan_config_selectorIsEEZZNS1_9scan_implILNS1_25lookback_scan_determinismE0ELb0ELb0ES3_N6thrust23THRUST_200600_302600_NS6detail15normal_iteratorINS9_10device_ptrIsEEEESE_s9plus_mod3IsEsEEDaPvRmT3_T4_T5_mT6_P12ihipStream_tbENKUlT_T0_E_clISt17integral_constantIbLb1EESU_EEDaSP_SQ_EUlSP_E0_NS1_11comp_targetILNS1_3genE2ELNS1_11target_archE906ELNS1_3gpuE6ELNS1_3repE0EEENS1_30default_config_static_selectorELNS0_4arch9wavefront6targetE1EEEvT1_: ; @_ZN7rocprim17ROCPRIM_400000_NS6detail17trampoline_kernelINS0_14default_configENS1_20scan_config_selectorIsEEZZNS1_9scan_implILNS1_25lookback_scan_determinismE0ELb0ELb0ES3_N6thrust23THRUST_200600_302600_NS6detail15normal_iteratorINS9_10device_ptrIsEEEESE_s9plus_mod3IsEsEEDaPvRmT3_T4_T5_mT6_P12ihipStream_tbENKUlT_T0_E_clISt17integral_constantIbLb1EESU_EEDaSP_SQ_EUlSP_E0_NS1_11comp_targetILNS1_3genE2ELNS1_11target_archE906ELNS1_3gpuE6ELNS1_3repE0EEENS1_30default_config_static_selectorELNS0_4arch9wavefront6targetE1EEEvT1_
; %bb.0:
	.section	.rodata,"a",@progbits
	.p2align	6, 0x0
	.amdhsa_kernel _ZN7rocprim17ROCPRIM_400000_NS6detail17trampoline_kernelINS0_14default_configENS1_20scan_config_selectorIsEEZZNS1_9scan_implILNS1_25lookback_scan_determinismE0ELb0ELb0ES3_N6thrust23THRUST_200600_302600_NS6detail15normal_iteratorINS9_10device_ptrIsEEEESE_s9plus_mod3IsEsEEDaPvRmT3_T4_T5_mT6_P12ihipStream_tbENKUlT_T0_E_clISt17integral_constantIbLb1EESU_EEDaSP_SQ_EUlSP_E0_NS1_11comp_targetILNS1_3genE2ELNS1_11target_archE906ELNS1_3gpuE6ELNS1_3repE0EEENS1_30default_config_static_selectorELNS0_4arch9wavefront6targetE1EEEvT1_
		.amdhsa_group_segment_fixed_size 0
		.amdhsa_private_segment_fixed_size 0
		.amdhsa_kernarg_size 40
		.amdhsa_user_sgpr_count 6
		.amdhsa_user_sgpr_private_segment_buffer 1
		.amdhsa_user_sgpr_dispatch_ptr 0
		.amdhsa_user_sgpr_queue_ptr 0
		.amdhsa_user_sgpr_kernarg_segment_ptr 1
		.amdhsa_user_sgpr_dispatch_id 0
		.amdhsa_user_sgpr_flat_scratch_init 0
		.amdhsa_user_sgpr_kernarg_preload_length 0
		.amdhsa_user_sgpr_kernarg_preload_offset 0
		.amdhsa_user_sgpr_private_segment_size 0
		.amdhsa_uses_dynamic_stack 0
		.amdhsa_system_sgpr_private_segment_wavefront_offset 0
		.amdhsa_system_sgpr_workgroup_id_x 1
		.amdhsa_system_sgpr_workgroup_id_y 0
		.amdhsa_system_sgpr_workgroup_id_z 0
		.amdhsa_system_sgpr_workgroup_info 0
		.amdhsa_system_vgpr_workitem_id 0
		.amdhsa_next_free_vgpr 1
		.amdhsa_next_free_sgpr 0
		.amdhsa_accum_offset 4
		.amdhsa_reserve_vcc 0
		.amdhsa_reserve_flat_scratch 0
		.amdhsa_float_round_mode_32 0
		.amdhsa_float_round_mode_16_64 0
		.amdhsa_float_denorm_mode_32 3
		.amdhsa_float_denorm_mode_16_64 3
		.amdhsa_dx10_clamp 1
		.amdhsa_ieee_mode 1
		.amdhsa_fp16_overflow 0
		.amdhsa_tg_split 0
		.amdhsa_exception_fp_ieee_invalid_op 0
		.amdhsa_exception_fp_denorm_src 0
		.amdhsa_exception_fp_ieee_div_zero 0
		.amdhsa_exception_fp_ieee_overflow 0
		.amdhsa_exception_fp_ieee_underflow 0
		.amdhsa_exception_fp_ieee_inexact 0
		.amdhsa_exception_int_div_zero 0
	.end_amdhsa_kernel
	.section	.text._ZN7rocprim17ROCPRIM_400000_NS6detail17trampoline_kernelINS0_14default_configENS1_20scan_config_selectorIsEEZZNS1_9scan_implILNS1_25lookback_scan_determinismE0ELb0ELb0ES3_N6thrust23THRUST_200600_302600_NS6detail15normal_iteratorINS9_10device_ptrIsEEEESE_s9plus_mod3IsEsEEDaPvRmT3_T4_T5_mT6_P12ihipStream_tbENKUlT_T0_E_clISt17integral_constantIbLb1EESU_EEDaSP_SQ_EUlSP_E0_NS1_11comp_targetILNS1_3genE2ELNS1_11target_archE906ELNS1_3gpuE6ELNS1_3repE0EEENS1_30default_config_static_selectorELNS0_4arch9wavefront6targetE1EEEvT1_,"axG",@progbits,_ZN7rocprim17ROCPRIM_400000_NS6detail17trampoline_kernelINS0_14default_configENS1_20scan_config_selectorIsEEZZNS1_9scan_implILNS1_25lookback_scan_determinismE0ELb0ELb0ES3_N6thrust23THRUST_200600_302600_NS6detail15normal_iteratorINS9_10device_ptrIsEEEESE_s9plus_mod3IsEsEEDaPvRmT3_T4_T5_mT6_P12ihipStream_tbENKUlT_T0_E_clISt17integral_constantIbLb1EESU_EEDaSP_SQ_EUlSP_E0_NS1_11comp_targetILNS1_3genE2ELNS1_11target_archE906ELNS1_3gpuE6ELNS1_3repE0EEENS1_30default_config_static_selectorELNS0_4arch9wavefront6targetE1EEEvT1_,comdat
.Lfunc_end6709:
	.size	_ZN7rocprim17ROCPRIM_400000_NS6detail17trampoline_kernelINS0_14default_configENS1_20scan_config_selectorIsEEZZNS1_9scan_implILNS1_25lookback_scan_determinismE0ELb0ELb0ES3_N6thrust23THRUST_200600_302600_NS6detail15normal_iteratorINS9_10device_ptrIsEEEESE_s9plus_mod3IsEsEEDaPvRmT3_T4_T5_mT6_P12ihipStream_tbENKUlT_T0_E_clISt17integral_constantIbLb1EESU_EEDaSP_SQ_EUlSP_E0_NS1_11comp_targetILNS1_3genE2ELNS1_11target_archE906ELNS1_3gpuE6ELNS1_3repE0EEENS1_30default_config_static_selectorELNS0_4arch9wavefront6targetE1EEEvT1_, .Lfunc_end6709-_ZN7rocprim17ROCPRIM_400000_NS6detail17trampoline_kernelINS0_14default_configENS1_20scan_config_selectorIsEEZZNS1_9scan_implILNS1_25lookback_scan_determinismE0ELb0ELb0ES3_N6thrust23THRUST_200600_302600_NS6detail15normal_iteratorINS9_10device_ptrIsEEEESE_s9plus_mod3IsEsEEDaPvRmT3_T4_T5_mT6_P12ihipStream_tbENKUlT_T0_E_clISt17integral_constantIbLb1EESU_EEDaSP_SQ_EUlSP_E0_NS1_11comp_targetILNS1_3genE2ELNS1_11target_archE906ELNS1_3gpuE6ELNS1_3repE0EEENS1_30default_config_static_selectorELNS0_4arch9wavefront6targetE1EEEvT1_
                                        ; -- End function
	.section	.AMDGPU.csdata,"",@progbits
; Kernel info:
; codeLenInByte = 0
; NumSgprs: 4
; NumVgprs: 0
; NumAgprs: 0
; TotalNumVgprs: 0
; ScratchSize: 0
; MemoryBound: 0
; FloatMode: 240
; IeeeMode: 1
; LDSByteSize: 0 bytes/workgroup (compile time only)
; SGPRBlocks: 0
; VGPRBlocks: 0
; NumSGPRsForWavesPerEU: 4
; NumVGPRsForWavesPerEU: 1
; AccumOffset: 4
; Occupancy: 8
; WaveLimiterHint : 0
; COMPUTE_PGM_RSRC2:SCRATCH_EN: 0
; COMPUTE_PGM_RSRC2:USER_SGPR: 6
; COMPUTE_PGM_RSRC2:TRAP_HANDLER: 0
; COMPUTE_PGM_RSRC2:TGID_X_EN: 1
; COMPUTE_PGM_RSRC2:TGID_Y_EN: 0
; COMPUTE_PGM_RSRC2:TGID_Z_EN: 0
; COMPUTE_PGM_RSRC2:TIDIG_COMP_CNT: 0
; COMPUTE_PGM_RSRC3_GFX90A:ACCUM_OFFSET: 0
; COMPUTE_PGM_RSRC3_GFX90A:TG_SPLIT: 0
	.section	.text._ZN7rocprim17ROCPRIM_400000_NS6detail17trampoline_kernelINS0_14default_configENS1_20scan_config_selectorIsEEZZNS1_9scan_implILNS1_25lookback_scan_determinismE0ELb0ELb0ES3_N6thrust23THRUST_200600_302600_NS6detail15normal_iteratorINS9_10device_ptrIsEEEESE_s9plus_mod3IsEsEEDaPvRmT3_T4_T5_mT6_P12ihipStream_tbENKUlT_T0_E_clISt17integral_constantIbLb1EESU_EEDaSP_SQ_EUlSP_E0_NS1_11comp_targetILNS1_3genE10ELNS1_11target_archE1201ELNS1_3gpuE5ELNS1_3repE0EEENS1_30default_config_static_selectorELNS0_4arch9wavefront6targetE1EEEvT1_,"axG",@progbits,_ZN7rocprim17ROCPRIM_400000_NS6detail17trampoline_kernelINS0_14default_configENS1_20scan_config_selectorIsEEZZNS1_9scan_implILNS1_25lookback_scan_determinismE0ELb0ELb0ES3_N6thrust23THRUST_200600_302600_NS6detail15normal_iteratorINS9_10device_ptrIsEEEESE_s9plus_mod3IsEsEEDaPvRmT3_T4_T5_mT6_P12ihipStream_tbENKUlT_T0_E_clISt17integral_constantIbLb1EESU_EEDaSP_SQ_EUlSP_E0_NS1_11comp_targetILNS1_3genE10ELNS1_11target_archE1201ELNS1_3gpuE5ELNS1_3repE0EEENS1_30default_config_static_selectorELNS0_4arch9wavefront6targetE1EEEvT1_,comdat
	.protected	_ZN7rocprim17ROCPRIM_400000_NS6detail17trampoline_kernelINS0_14default_configENS1_20scan_config_selectorIsEEZZNS1_9scan_implILNS1_25lookback_scan_determinismE0ELb0ELb0ES3_N6thrust23THRUST_200600_302600_NS6detail15normal_iteratorINS9_10device_ptrIsEEEESE_s9plus_mod3IsEsEEDaPvRmT3_T4_T5_mT6_P12ihipStream_tbENKUlT_T0_E_clISt17integral_constantIbLb1EESU_EEDaSP_SQ_EUlSP_E0_NS1_11comp_targetILNS1_3genE10ELNS1_11target_archE1201ELNS1_3gpuE5ELNS1_3repE0EEENS1_30default_config_static_selectorELNS0_4arch9wavefront6targetE1EEEvT1_ ; -- Begin function _ZN7rocprim17ROCPRIM_400000_NS6detail17trampoline_kernelINS0_14default_configENS1_20scan_config_selectorIsEEZZNS1_9scan_implILNS1_25lookback_scan_determinismE0ELb0ELb0ES3_N6thrust23THRUST_200600_302600_NS6detail15normal_iteratorINS9_10device_ptrIsEEEESE_s9plus_mod3IsEsEEDaPvRmT3_T4_T5_mT6_P12ihipStream_tbENKUlT_T0_E_clISt17integral_constantIbLb1EESU_EEDaSP_SQ_EUlSP_E0_NS1_11comp_targetILNS1_3genE10ELNS1_11target_archE1201ELNS1_3gpuE5ELNS1_3repE0EEENS1_30default_config_static_selectorELNS0_4arch9wavefront6targetE1EEEvT1_
	.globl	_ZN7rocprim17ROCPRIM_400000_NS6detail17trampoline_kernelINS0_14default_configENS1_20scan_config_selectorIsEEZZNS1_9scan_implILNS1_25lookback_scan_determinismE0ELb0ELb0ES3_N6thrust23THRUST_200600_302600_NS6detail15normal_iteratorINS9_10device_ptrIsEEEESE_s9plus_mod3IsEsEEDaPvRmT3_T4_T5_mT6_P12ihipStream_tbENKUlT_T0_E_clISt17integral_constantIbLb1EESU_EEDaSP_SQ_EUlSP_E0_NS1_11comp_targetILNS1_3genE10ELNS1_11target_archE1201ELNS1_3gpuE5ELNS1_3repE0EEENS1_30default_config_static_selectorELNS0_4arch9wavefront6targetE1EEEvT1_
	.p2align	8
	.type	_ZN7rocprim17ROCPRIM_400000_NS6detail17trampoline_kernelINS0_14default_configENS1_20scan_config_selectorIsEEZZNS1_9scan_implILNS1_25lookback_scan_determinismE0ELb0ELb0ES3_N6thrust23THRUST_200600_302600_NS6detail15normal_iteratorINS9_10device_ptrIsEEEESE_s9plus_mod3IsEsEEDaPvRmT3_T4_T5_mT6_P12ihipStream_tbENKUlT_T0_E_clISt17integral_constantIbLb1EESU_EEDaSP_SQ_EUlSP_E0_NS1_11comp_targetILNS1_3genE10ELNS1_11target_archE1201ELNS1_3gpuE5ELNS1_3repE0EEENS1_30default_config_static_selectorELNS0_4arch9wavefront6targetE1EEEvT1_,@function
_ZN7rocprim17ROCPRIM_400000_NS6detail17trampoline_kernelINS0_14default_configENS1_20scan_config_selectorIsEEZZNS1_9scan_implILNS1_25lookback_scan_determinismE0ELb0ELb0ES3_N6thrust23THRUST_200600_302600_NS6detail15normal_iteratorINS9_10device_ptrIsEEEESE_s9plus_mod3IsEsEEDaPvRmT3_T4_T5_mT6_P12ihipStream_tbENKUlT_T0_E_clISt17integral_constantIbLb1EESU_EEDaSP_SQ_EUlSP_E0_NS1_11comp_targetILNS1_3genE10ELNS1_11target_archE1201ELNS1_3gpuE5ELNS1_3repE0EEENS1_30default_config_static_selectorELNS0_4arch9wavefront6targetE1EEEvT1_: ; @_ZN7rocprim17ROCPRIM_400000_NS6detail17trampoline_kernelINS0_14default_configENS1_20scan_config_selectorIsEEZZNS1_9scan_implILNS1_25lookback_scan_determinismE0ELb0ELb0ES3_N6thrust23THRUST_200600_302600_NS6detail15normal_iteratorINS9_10device_ptrIsEEEESE_s9plus_mod3IsEsEEDaPvRmT3_T4_T5_mT6_P12ihipStream_tbENKUlT_T0_E_clISt17integral_constantIbLb1EESU_EEDaSP_SQ_EUlSP_E0_NS1_11comp_targetILNS1_3genE10ELNS1_11target_archE1201ELNS1_3gpuE5ELNS1_3repE0EEENS1_30default_config_static_selectorELNS0_4arch9wavefront6targetE1EEEvT1_
; %bb.0:
	.section	.rodata,"a",@progbits
	.p2align	6, 0x0
	.amdhsa_kernel _ZN7rocprim17ROCPRIM_400000_NS6detail17trampoline_kernelINS0_14default_configENS1_20scan_config_selectorIsEEZZNS1_9scan_implILNS1_25lookback_scan_determinismE0ELb0ELb0ES3_N6thrust23THRUST_200600_302600_NS6detail15normal_iteratorINS9_10device_ptrIsEEEESE_s9plus_mod3IsEsEEDaPvRmT3_T4_T5_mT6_P12ihipStream_tbENKUlT_T0_E_clISt17integral_constantIbLb1EESU_EEDaSP_SQ_EUlSP_E0_NS1_11comp_targetILNS1_3genE10ELNS1_11target_archE1201ELNS1_3gpuE5ELNS1_3repE0EEENS1_30default_config_static_selectorELNS0_4arch9wavefront6targetE1EEEvT1_
		.amdhsa_group_segment_fixed_size 0
		.amdhsa_private_segment_fixed_size 0
		.amdhsa_kernarg_size 40
		.amdhsa_user_sgpr_count 6
		.amdhsa_user_sgpr_private_segment_buffer 1
		.amdhsa_user_sgpr_dispatch_ptr 0
		.amdhsa_user_sgpr_queue_ptr 0
		.amdhsa_user_sgpr_kernarg_segment_ptr 1
		.amdhsa_user_sgpr_dispatch_id 0
		.amdhsa_user_sgpr_flat_scratch_init 0
		.amdhsa_user_sgpr_kernarg_preload_length 0
		.amdhsa_user_sgpr_kernarg_preload_offset 0
		.amdhsa_user_sgpr_private_segment_size 0
		.amdhsa_uses_dynamic_stack 0
		.amdhsa_system_sgpr_private_segment_wavefront_offset 0
		.amdhsa_system_sgpr_workgroup_id_x 1
		.amdhsa_system_sgpr_workgroup_id_y 0
		.amdhsa_system_sgpr_workgroup_id_z 0
		.amdhsa_system_sgpr_workgroup_info 0
		.amdhsa_system_vgpr_workitem_id 0
		.amdhsa_next_free_vgpr 1
		.amdhsa_next_free_sgpr 0
		.amdhsa_accum_offset 4
		.amdhsa_reserve_vcc 0
		.amdhsa_reserve_flat_scratch 0
		.amdhsa_float_round_mode_32 0
		.amdhsa_float_round_mode_16_64 0
		.amdhsa_float_denorm_mode_32 3
		.amdhsa_float_denorm_mode_16_64 3
		.amdhsa_dx10_clamp 1
		.amdhsa_ieee_mode 1
		.amdhsa_fp16_overflow 0
		.amdhsa_tg_split 0
		.amdhsa_exception_fp_ieee_invalid_op 0
		.amdhsa_exception_fp_denorm_src 0
		.amdhsa_exception_fp_ieee_div_zero 0
		.amdhsa_exception_fp_ieee_overflow 0
		.amdhsa_exception_fp_ieee_underflow 0
		.amdhsa_exception_fp_ieee_inexact 0
		.amdhsa_exception_int_div_zero 0
	.end_amdhsa_kernel
	.section	.text._ZN7rocprim17ROCPRIM_400000_NS6detail17trampoline_kernelINS0_14default_configENS1_20scan_config_selectorIsEEZZNS1_9scan_implILNS1_25lookback_scan_determinismE0ELb0ELb0ES3_N6thrust23THRUST_200600_302600_NS6detail15normal_iteratorINS9_10device_ptrIsEEEESE_s9plus_mod3IsEsEEDaPvRmT3_T4_T5_mT6_P12ihipStream_tbENKUlT_T0_E_clISt17integral_constantIbLb1EESU_EEDaSP_SQ_EUlSP_E0_NS1_11comp_targetILNS1_3genE10ELNS1_11target_archE1201ELNS1_3gpuE5ELNS1_3repE0EEENS1_30default_config_static_selectorELNS0_4arch9wavefront6targetE1EEEvT1_,"axG",@progbits,_ZN7rocprim17ROCPRIM_400000_NS6detail17trampoline_kernelINS0_14default_configENS1_20scan_config_selectorIsEEZZNS1_9scan_implILNS1_25lookback_scan_determinismE0ELb0ELb0ES3_N6thrust23THRUST_200600_302600_NS6detail15normal_iteratorINS9_10device_ptrIsEEEESE_s9plus_mod3IsEsEEDaPvRmT3_T4_T5_mT6_P12ihipStream_tbENKUlT_T0_E_clISt17integral_constantIbLb1EESU_EEDaSP_SQ_EUlSP_E0_NS1_11comp_targetILNS1_3genE10ELNS1_11target_archE1201ELNS1_3gpuE5ELNS1_3repE0EEENS1_30default_config_static_selectorELNS0_4arch9wavefront6targetE1EEEvT1_,comdat
.Lfunc_end6710:
	.size	_ZN7rocprim17ROCPRIM_400000_NS6detail17trampoline_kernelINS0_14default_configENS1_20scan_config_selectorIsEEZZNS1_9scan_implILNS1_25lookback_scan_determinismE0ELb0ELb0ES3_N6thrust23THRUST_200600_302600_NS6detail15normal_iteratorINS9_10device_ptrIsEEEESE_s9plus_mod3IsEsEEDaPvRmT3_T4_T5_mT6_P12ihipStream_tbENKUlT_T0_E_clISt17integral_constantIbLb1EESU_EEDaSP_SQ_EUlSP_E0_NS1_11comp_targetILNS1_3genE10ELNS1_11target_archE1201ELNS1_3gpuE5ELNS1_3repE0EEENS1_30default_config_static_selectorELNS0_4arch9wavefront6targetE1EEEvT1_, .Lfunc_end6710-_ZN7rocprim17ROCPRIM_400000_NS6detail17trampoline_kernelINS0_14default_configENS1_20scan_config_selectorIsEEZZNS1_9scan_implILNS1_25lookback_scan_determinismE0ELb0ELb0ES3_N6thrust23THRUST_200600_302600_NS6detail15normal_iteratorINS9_10device_ptrIsEEEESE_s9plus_mod3IsEsEEDaPvRmT3_T4_T5_mT6_P12ihipStream_tbENKUlT_T0_E_clISt17integral_constantIbLb1EESU_EEDaSP_SQ_EUlSP_E0_NS1_11comp_targetILNS1_3genE10ELNS1_11target_archE1201ELNS1_3gpuE5ELNS1_3repE0EEENS1_30default_config_static_selectorELNS0_4arch9wavefront6targetE1EEEvT1_
                                        ; -- End function
	.section	.AMDGPU.csdata,"",@progbits
; Kernel info:
; codeLenInByte = 0
; NumSgprs: 4
; NumVgprs: 0
; NumAgprs: 0
; TotalNumVgprs: 0
; ScratchSize: 0
; MemoryBound: 0
; FloatMode: 240
; IeeeMode: 1
; LDSByteSize: 0 bytes/workgroup (compile time only)
; SGPRBlocks: 0
; VGPRBlocks: 0
; NumSGPRsForWavesPerEU: 4
; NumVGPRsForWavesPerEU: 1
; AccumOffset: 4
; Occupancy: 8
; WaveLimiterHint : 0
; COMPUTE_PGM_RSRC2:SCRATCH_EN: 0
; COMPUTE_PGM_RSRC2:USER_SGPR: 6
; COMPUTE_PGM_RSRC2:TRAP_HANDLER: 0
; COMPUTE_PGM_RSRC2:TGID_X_EN: 1
; COMPUTE_PGM_RSRC2:TGID_Y_EN: 0
; COMPUTE_PGM_RSRC2:TGID_Z_EN: 0
; COMPUTE_PGM_RSRC2:TIDIG_COMP_CNT: 0
; COMPUTE_PGM_RSRC3_GFX90A:ACCUM_OFFSET: 0
; COMPUTE_PGM_RSRC3_GFX90A:TG_SPLIT: 0
	.section	.text._ZN7rocprim17ROCPRIM_400000_NS6detail17trampoline_kernelINS0_14default_configENS1_20scan_config_selectorIsEEZZNS1_9scan_implILNS1_25lookback_scan_determinismE0ELb0ELb0ES3_N6thrust23THRUST_200600_302600_NS6detail15normal_iteratorINS9_10device_ptrIsEEEESE_s9plus_mod3IsEsEEDaPvRmT3_T4_T5_mT6_P12ihipStream_tbENKUlT_T0_E_clISt17integral_constantIbLb1EESU_EEDaSP_SQ_EUlSP_E0_NS1_11comp_targetILNS1_3genE10ELNS1_11target_archE1200ELNS1_3gpuE4ELNS1_3repE0EEENS1_30default_config_static_selectorELNS0_4arch9wavefront6targetE1EEEvT1_,"axG",@progbits,_ZN7rocprim17ROCPRIM_400000_NS6detail17trampoline_kernelINS0_14default_configENS1_20scan_config_selectorIsEEZZNS1_9scan_implILNS1_25lookback_scan_determinismE0ELb0ELb0ES3_N6thrust23THRUST_200600_302600_NS6detail15normal_iteratorINS9_10device_ptrIsEEEESE_s9plus_mod3IsEsEEDaPvRmT3_T4_T5_mT6_P12ihipStream_tbENKUlT_T0_E_clISt17integral_constantIbLb1EESU_EEDaSP_SQ_EUlSP_E0_NS1_11comp_targetILNS1_3genE10ELNS1_11target_archE1200ELNS1_3gpuE4ELNS1_3repE0EEENS1_30default_config_static_selectorELNS0_4arch9wavefront6targetE1EEEvT1_,comdat
	.protected	_ZN7rocprim17ROCPRIM_400000_NS6detail17trampoline_kernelINS0_14default_configENS1_20scan_config_selectorIsEEZZNS1_9scan_implILNS1_25lookback_scan_determinismE0ELb0ELb0ES3_N6thrust23THRUST_200600_302600_NS6detail15normal_iteratorINS9_10device_ptrIsEEEESE_s9plus_mod3IsEsEEDaPvRmT3_T4_T5_mT6_P12ihipStream_tbENKUlT_T0_E_clISt17integral_constantIbLb1EESU_EEDaSP_SQ_EUlSP_E0_NS1_11comp_targetILNS1_3genE10ELNS1_11target_archE1200ELNS1_3gpuE4ELNS1_3repE0EEENS1_30default_config_static_selectorELNS0_4arch9wavefront6targetE1EEEvT1_ ; -- Begin function _ZN7rocprim17ROCPRIM_400000_NS6detail17trampoline_kernelINS0_14default_configENS1_20scan_config_selectorIsEEZZNS1_9scan_implILNS1_25lookback_scan_determinismE0ELb0ELb0ES3_N6thrust23THRUST_200600_302600_NS6detail15normal_iteratorINS9_10device_ptrIsEEEESE_s9plus_mod3IsEsEEDaPvRmT3_T4_T5_mT6_P12ihipStream_tbENKUlT_T0_E_clISt17integral_constantIbLb1EESU_EEDaSP_SQ_EUlSP_E0_NS1_11comp_targetILNS1_3genE10ELNS1_11target_archE1200ELNS1_3gpuE4ELNS1_3repE0EEENS1_30default_config_static_selectorELNS0_4arch9wavefront6targetE1EEEvT1_
	.globl	_ZN7rocprim17ROCPRIM_400000_NS6detail17trampoline_kernelINS0_14default_configENS1_20scan_config_selectorIsEEZZNS1_9scan_implILNS1_25lookback_scan_determinismE0ELb0ELb0ES3_N6thrust23THRUST_200600_302600_NS6detail15normal_iteratorINS9_10device_ptrIsEEEESE_s9plus_mod3IsEsEEDaPvRmT3_T4_T5_mT6_P12ihipStream_tbENKUlT_T0_E_clISt17integral_constantIbLb1EESU_EEDaSP_SQ_EUlSP_E0_NS1_11comp_targetILNS1_3genE10ELNS1_11target_archE1200ELNS1_3gpuE4ELNS1_3repE0EEENS1_30default_config_static_selectorELNS0_4arch9wavefront6targetE1EEEvT1_
	.p2align	8
	.type	_ZN7rocprim17ROCPRIM_400000_NS6detail17trampoline_kernelINS0_14default_configENS1_20scan_config_selectorIsEEZZNS1_9scan_implILNS1_25lookback_scan_determinismE0ELb0ELb0ES3_N6thrust23THRUST_200600_302600_NS6detail15normal_iteratorINS9_10device_ptrIsEEEESE_s9plus_mod3IsEsEEDaPvRmT3_T4_T5_mT6_P12ihipStream_tbENKUlT_T0_E_clISt17integral_constantIbLb1EESU_EEDaSP_SQ_EUlSP_E0_NS1_11comp_targetILNS1_3genE10ELNS1_11target_archE1200ELNS1_3gpuE4ELNS1_3repE0EEENS1_30default_config_static_selectorELNS0_4arch9wavefront6targetE1EEEvT1_,@function
_ZN7rocprim17ROCPRIM_400000_NS6detail17trampoline_kernelINS0_14default_configENS1_20scan_config_selectorIsEEZZNS1_9scan_implILNS1_25lookback_scan_determinismE0ELb0ELb0ES3_N6thrust23THRUST_200600_302600_NS6detail15normal_iteratorINS9_10device_ptrIsEEEESE_s9plus_mod3IsEsEEDaPvRmT3_T4_T5_mT6_P12ihipStream_tbENKUlT_T0_E_clISt17integral_constantIbLb1EESU_EEDaSP_SQ_EUlSP_E0_NS1_11comp_targetILNS1_3genE10ELNS1_11target_archE1200ELNS1_3gpuE4ELNS1_3repE0EEENS1_30default_config_static_selectorELNS0_4arch9wavefront6targetE1EEEvT1_: ; @_ZN7rocprim17ROCPRIM_400000_NS6detail17trampoline_kernelINS0_14default_configENS1_20scan_config_selectorIsEEZZNS1_9scan_implILNS1_25lookback_scan_determinismE0ELb0ELb0ES3_N6thrust23THRUST_200600_302600_NS6detail15normal_iteratorINS9_10device_ptrIsEEEESE_s9plus_mod3IsEsEEDaPvRmT3_T4_T5_mT6_P12ihipStream_tbENKUlT_T0_E_clISt17integral_constantIbLb1EESU_EEDaSP_SQ_EUlSP_E0_NS1_11comp_targetILNS1_3genE10ELNS1_11target_archE1200ELNS1_3gpuE4ELNS1_3repE0EEENS1_30default_config_static_selectorELNS0_4arch9wavefront6targetE1EEEvT1_
; %bb.0:
	.section	.rodata,"a",@progbits
	.p2align	6, 0x0
	.amdhsa_kernel _ZN7rocprim17ROCPRIM_400000_NS6detail17trampoline_kernelINS0_14default_configENS1_20scan_config_selectorIsEEZZNS1_9scan_implILNS1_25lookback_scan_determinismE0ELb0ELb0ES3_N6thrust23THRUST_200600_302600_NS6detail15normal_iteratorINS9_10device_ptrIsEEEESE_s9plus_mod3IsEsEEDaPvRmT3_T4_T5_mT6_P12ihipStream_tbENKUlT_T0_E_clISt17integral_constantIbLb1EESU_EEDaSP_SQ_EUlSP_E0_NS1_11comp_targetILNS1_3genE10ELNS1_11target_archE1200ELNS1_3gpuE4ELNS1_3repE0EEENS1_30default_config_static_selectorELNS0_4arch9wavefront6targetE1EEEvT1_
		.amdhsa_group_segment_fixed_size 0
		.amdhsa_private_segment_fixed_size 0
		.amdhsa_kernarg_size 40
		.amdhsa_user_sgpr_count 6
		.amdhsa_user_sgpr_private_segment_buffer 1
		.amdhsa_user_sgpr_dispatch_ptr 0
		.amdhsa_user_sgpr_queue_ptr 0
		.amdhsa_user_sgpr_kernarg_segment_ptr 1
		.amdhsa_user_sgpr_dispatch_id 0
		.amdhsa_user_sgpr_flat_scratch_init 0
		.amdhsa_user_sgpr_kernarg_preload_length 0
		.amdhsa_user_sgpr_kernarg_preload_offset 0
		.amdhsa_user_sgpr_private_segment_size 0
		.amdhsa_uses_dynamic_stack 0
		.amdhsa_system_sgpr_private_segment_wavefront_offset 0
		.amdhsa_system_sgpr_workgroup_id_x 1
		.amdhsa_system_sgpr_workgroup_id_y 0
		.amdhsa_system_sgpr_workgroup_id_z 0
		.amdhsa_system_sgpr_workgroup_info 0
		.amdhsa_system_vgpr_workitem_id 0
		.amdhsa_next_free_vgpr 1
		.amdhsa_next_free_sgpr 0
		.amdhsa_accum_offset 4
		.amdhsa_reserve_vcc 0
		.amdhsa_reserve_flat_scratch 0
		.amdhsa_float_round_mode_32 0
		.amdhsa_float_round_mode_16_64 0
		.amdhsa_float_denorm_mode_32 3
		.amdhsa_float_denorm_mode_16_64 3
		.amdhsa_dx10_clamp 1
		.amdhsa_ieee_mode 1
		.amdhsa_fp16_overflow 0
		.amdhsa_tg_split 0
		.amdhsa_exception_fp_ieee_invalid_op 0
		.amdhsa_exception_fp_denorm_src 0
		.amdhsa_exception_fp_ieee_div_zero 0
		.amdhsa_exception_fp_ieee_overflow 0
		.amdhsa_exception_fp_ieee_underflow 0
		.amdhsa_exception_fp_ieee_inexact 0
		.amdhsa_exception_int_div_zero 0
	.end_amdhsa_kernel
	.section	.text._ZN7rocprim17ROCPRIM_400000_NS6detail17trampoline_kernelINS0_14default_configENS1_20scan_config_selectorIsEEZZNS1_9scan_implILNS1_25lookback_scan_determinismE0ELb0ELb0ES3_N6thrust23THRUST_200600_302600_NS6detail15normal_iteratorINS9_10device_ptrIsEEEESE_s9plus_mod3IsEsEEDaPvRmT3_T4_T5_mT6_P12ihipStream_tbENKUlT_T0_E_clISt17integral_constantIbLb1EESU_EEDaSP_SQ_EUlSP_E0_NS1_11comp_targetILNS1_3genE10ELNS1_11target_archE1200ELNS1_3gpuE4ELNS1_3repE0EEENS1_30default_config_static_selectorELNS0_4arch9wavefront6targetE1EEEvT1_,"axG",@progbits,_ZN7rocprim17ROCPRIM_400000_NS6detail17trampoline_kernelINS0_14default_configENS1_20scan_config_selectorIsEEZZNS1_9scan_implILNS1_25lookback_scan_determinismE0ELb0ELb0ES3_N6thrust23THRUST_200600_302600_NS6detail15normal_iteratorINS9_10device_ptrIsEEEESE_s9plus_mod3IsEsEEDaPvRmT3_T4_T5_mT6_P12ihipStream_tbENKUlT_T0_E_clISt17integral_constantIbLb1EESU_EEDaSP_SQ_EUlSP_E0_NS1_11comp_targetILNS1_3genE10ELNS1_11target_archE1200ELNS1_3gpuE4ELNS1_3repE0EEENS1_30default_config_static_selectorELNS0_4arch9wavefront6targetE1EEEvT1_,comdat
.Lfunc_end6711:
	.size	_ZN7rocprim17ROCPRIM_400000_NS6detail17trampoline_kernelINS0_14default_configENS1_20scan_config_selectorIsEEZZNS1_9scan_implILNS1_25lookback_scan_determinismE0ELb0ELb0ES3_N6thrust23THRUST_200600_302600_NS6detail15normal_iteratorINS9_10device_ptrIsEEEESE_s9plus_mod3IsEsEEDaPvRmT3_T4_T5_mT6_P12ihipStream_tbENKUlT_T0_E_clISt17integral_constantIbLb1EESU_EEDaSP_SQ_EUlSP_E0_NS1_11comp_targetILNS1_3genE10ELNS1_11target_archE1200ELNS1_3gpuE4ELNS1_3repE0EEENS1_30default_config_static_selectorELNS0_4arch9wavefront6targetE1EEEvT1_, .Lfunc_end6711-_ZN7rocprim17ROCPRIM_400000_NS6detail17trampoline_kernelINS0_14default_configENS1_20scan_config_selectorIsEEZZNS1_9scan_implILNS1_25lookback_scan_determinismE0ELb0ELb0ES3_N6thrust23THRUST_200600_302600_NS6detail15normal_iteratorINS9_10device_ptrIsEEEESE_s9plus_mod3IsEsEEDaPvRmT3_T4_T5_mT6_P12ihipStream_tbENKUlT_T0_E_clISt17integral_constantIbLb1EESU_EEDaSP_SQ_EUlSP_E0_NS1_11comp_targetILNS1_3genE10ELNS1_11target_archE1200ELNS1_3gpuE4ELNS1_3repE0EEENS1_30default_config_static_selectorELNS0_4arch9wavefront6targetE1EEEvT1_
                                        ; -- End function
	.section	.AMDGPU.csdata,"",@progbits
; Kernel info:
; codeLenInByte = 0
; NumSgprs: 4
; NumVgprs: 0
; NumAgprs: 0
; TotalNumVgprs: 0
; ScratchSize: 0
; MemoryBound: 0
; FloatMode: 240
; IeeeMode: 1
; LDSByteSize: 0 bytes/workgroup (compile time only)
; SGPRBlocks: 0
; VGPRBlocks: 0
; NumSGPRsForWavesPerEU: 4
; NumVGPRsForWavesPerEU: 1
; AccumOffset: 4
; Occupancy: 8
; WaveLimiterHint : 0
; COMPUTE_PGM_RSRC2:SCRATCH_EN: 0
; COMPUTE_PGM_RSRC2:USER_SGPR: 6
; COMPUTE_PGM_RSRC2:TRAP_HANDLER: 0
; COMPUTE_PGM_RSRC2:TGID_X_EN: 1
; COMPUTE_PGM_RSRC2:TGID_Y_EN: 0
; COMPUTE_PGM_RSRC2:TGID_Z_EN: 0
; COMPUTE_PGM_RSRC2:TIDIG_COMP_CNT: 0
; COMPUTE_PGM_RSRC3_GFX90A:ACCUM_OFFSET: 0
; COMPUTE_PGM_RSRC3_GFX90A:TG_SPLIT: 0
	.section	.text._ZN7rocprim17ROCPRIM_400000_NS6detail17trampoline_kernelINS0_14default_configENS1_20scan_config_selectorIsEEZZNS1_9scan_implILNS1_25lookback_scan_determinismE0ELb0ELb0ES3_N6thrust23THRUST_200600_302600_NS6detail15normal_iteratorINS9_10device_ptrIsEEEESE_s9plus_mod3IsEsEEDaPvRmT3_T4_T5_mT6_P12ihipStream_tbENKUlT_T0_E_clISt17integral_constantIbLb1EESU_EEDaSP_SQ_EUlSP_E0_NS1_11comp_targetILNS1_3genE9ELNS1_11target_archE1100ELNS1_3gpuE3ELNS1_3repE0EEENS1_30default_config_static_selectorELNS0_4arch9wavefront6targetE1EEEvT1_,"axG",@progbits,_ZN7rocprim17ROCPRIM_400000_NS6detail17trampoline_kernelINS0_14default_configENS1_20scan_config_selectorIsEEZZNS1_9scan_implILNS1_25lookback_scan_determinismE0ELb0ELb0ES3_N6thrust23THRUST_200600_302600_NS6detail15normal_iteratorINS9_10device_ptrIsEEEESE_s9plus_mod3IsEsEEDaPvRmT3_T4_T5_mT6_P12ihipStream_tbENKUlT_T0_E_clISt17integral_constantIbLb1EESU_EEDaSP_SQ_EUlSP_E0_NS1_11comp_targetILNS1_3genE9ELNS1_11target_archE1100ELNS1_3gpuE3ELNS1_3repE0EEENS1_30default_config_static_selectorELNS0_4arch9wavefront6targetE1EEEvT1_,comdat
	.protected	_ZN7rocprim17ROCPRIM_400000_NS6detail17trampoline_kernelINS0_14default_configENS1_20scan_config_selectorIsEEZZNS1_9scan_implILNS1_25lookback_scan_determinismE0ELb0ELb0ES3_N6thrust23THRUST_200600_302600_NS6detail15normal_iteratorINS9_10device_ptrIsEEEESE_s9plus_mod3IsEsEEDaPvRmT3_T4_T5_mT6_P12ihipStream_tbENKUlT_T0_E_clISt17integral_constantIbLb1EESU_EEDaSP_SQ_EUlSP_E0_NS1_11comp_targetILNS1_3genE9ELNS1_11target_archE1100ELNS1_3gpuE3ELNS1_3repE0EEENS1_30default_config_static_selectorELNS0_4arch9wavefront6targetE1EEEvT1_ ; -- Begin function _ZN7rocprim17ROCPRIM_400000_NS6detail17trampoline_kernelINS0_14default_configENS1_20scan_config_selectorIsEEZZNS1_9scan_implILNS1_25lookback_scan_determinismE0ELb0ELb0ES3_N6thrust23THRUST_200600_302600_NS6detail15normal_iteratorINS9_10device_ptrIsEEEESE_s9plus_mod3IsEsEEDaPvRmT3_T4_T5_mT6_P12ihipStream_tbENKUlT_T0_E_clISt17integral_constantIbLb1EESU_EEDaSP_SQ_EUlSP_E0_NS1_11comp_targetILNS1_3genE9ELNS1_11target_archE1100ELNS1_3gpuE3ELNS1_3repE0EEENS1_30default_config_static_selectorELNS0_4arch9wavefront6targetE1EEEvT1_
	.globl	_ZN7rocprim17ROCPRIM_400000_NS6detail17trampoline_kernelINS0_14default_configENS1_20scan_config_selectorIsEEZZNS1_9scan_implILNS1_25lookback_scan_determinismE0ELb0ELb0ES3_N6thrust23THRUST_200600_302600_NS6detail15normal_iteratorINS9_10device_ptrIsEEEESE_s9plus_mod3IsEsEEDaPvRmT3_T4_T5_mT6_P12ihipStream_tbENKUlT_T0_E_clISt17integral_constantIbLb1EESU_EEDaSP_SQ_EUlSP_E0_NS1_11comp_targetILNS1_3genE9ELNS1_11target_archE1100ELNS1_3gpuE3ELNS1_3repE0EEENS1_30default_config_static_selectorELNS0_4arch9wavefront6targetE1EEEvT1_
	.p2align	8
	.type	_ZN7rocprim17ROCPRIM_400000_NS6detail17trampoline_kernelINS0_14default_configENS1_20scan_config_selectorIsEEZZNS1_9scan_implILNS1_25lookback_scan_determinismE0ELb0ELb0ES3_N6thrust23THRUST_200600_302600_NS6detail15normal_iteratorINS9_10device_ptrIsEEEESE_s9plus_mod3IsEsEEDaPvRmT3_T4_T5_mT6_P12ihipStream_tbENKUlT_T0_E_clISt17integral_constantIbLb1EESU_EEDaSP_SQ_EUlSP_E0_NS1_11comp_targetILNS1_3genE9ELNS1_11target_archE1100ELNS1_3gpuE3ELNS1_3repE0EEENS1_30default_config_static_selectorELNS0_4arch9wavefront6targetE1EEEvT1_,@function
_ZN7rocprim17ROCPRIM_400000_NS6detail17trampoline_kernelINS0_14default_configENS1_20scan_config_selectorIsEEZZNS1_9scan_implILNS1_25lookback_scan_determinismE0ELb0ELb0ES3_N6thrust23THRUST_200600_302600_NS6detail15normal_iteratorINS9_10device_ptrIsEEEESE_s9plus_mod3IsEsEEDaPvRmT3_T4_T5_mT6_P12ihipStream_tbENKUlT_T0_E_clISt17integral_constantIbLb1EESU_EEDaSP_SQ_EUlSP_E0_NS1_11comp_targetILNS1_3genE9ELNS1_11target_archE1100ELNS1_3gpuE3ELNS1_3repE0EEENS1_30default_config_static_selectorELNS0_4arch9wavefront6targetE1EEEvT1_: ; @_ZN7rocprim17ROCPRIM_400000_NS6detail17trampoline_kernelINS0_14default_configENS1_20scan_config_selectorIsEEZZNS1_9scan_implILNS1_25lookback_scan_determinismE0ELb0ELb0ES3_N6thrust23THRUST_200600_302600_NS6detail15normal_iteratorINS9_10device_ptrIsEEEESE_s9plus_mod3IsEsEEDaPvRmT3_T4_T5_mT6_P12ihipStream_tbENKUlT_T0_E_clISt17integral_constantIbLb1EESU_EEDaSP_SQ_EUlSP_E0_NS1_11comp_targetILNS1_3genE9ELNS1_11target_archE1100ELNS1_3gpuE3ELNS1_3repE0EEENS1_30default_config_static_selectorELNS0_4arch9wavefront6targetE1EEEvT1_
; %bb.0:
	.section	.rodata,"a",@progbits
	.p2align	6, 0x0
	.amdhsa_kernel _ZN7rocprim17ROCPRIM_400000_NS6detail17trampoline_kernelINS0_14default_configENS1_20scan_config_selectorIsEEZZNS1_9scan_implILNS1_25lookback_scan_determinismE0ELb0ELb0ES3_N6thrust23THRUST_200600_302600_NS6detail15normal_iteratorINS9_10device_ptrIsEEEESE_s9plus_mod3IsEsEEDaPvRmT3_T4_T5_mT6_P12ihipStream_tbENKUlT_T0_E_clISt17integral_constantIbLb1EESU_EEDaSP_SQ_EUlSP_E0_NS1_11comp_targetILNS1_3genE9ELNS1_11target_archE1100ELNS1_3gpuE3ELNS1_3repE0EEENS1_30default_config_static_selectorELNS0_4arch9wavefront6targetE1EEEvT1_
		.amdhsa_group_segment_fixed_size 0
		.amdhsa_private_segment_fixed_size 0
		.amdhsa_kernarg_size 40
		.amdhsa_user_sgpr_count 6
		.amdhsa_user_sgpr_private_segment_buffer 1
		.amdhsa_user_sgpr_dispatch_ptr 0
		.amdhsa_user_sgpr_queue_ptr 0
		.amdhsa_user_sgpr_kernarg_segment_ptr 1
		.amdhsa_user_sgpr_dispatch_id 0
		.amdhsa_user_sgpr_flat_scratch_init 0
		.amdhsa_user_sgpr_kernarg_preload_length 0
		.amdhsa_user_sgpr_kernarg_preload_offset 0
		.amdhsa_user_sgpr_private_segment_size 0
		.amdhsa_uses_dynamic_stack 0
		.amdhsa_system_sgpr_private_segment_wavefront_offset 0
		.amdhsa_system_sgpr_workgroup_id_x 1
		.amdhsa_system_sgpr_workgroup_id_y 0
		.amdhsa_system_sgpr_workgroup_id_z 0
		.amdhsa_system_sgpr_workgroup_info 0
		.amdhsa_system_vgpr_workitem_id 0
		.amdhsa_next_free_vgpr 1
		.amdhsa_next_free_sgpr 0
		.amdhsa_accum_offset 4
		.amdhsa_reserve_vcc 0
		.amdhsa_reserve_flat_scratch 0
		.amdhsa_float_round_mode_32 0
		.amdhsa_float_round_mode_16_64 0
		.amdhsa_float_denorm_mode_32 3
		.amdhsa_float_denorm_mode_16_64 3
		.amdhsa_dx10_clamp 1
		.amdhsa_ieee_mode 1
		.amdhsa_fp16_overflow 0
		.amdhsa_tg_split 0
		.amdhsa_exception_fp_ieee_invalid_op 0
		.amdhsa_exception_fp_denorm_src 0
		.amdhsa_exception_fp_ieee_div_zero 0
		.amdhsa_exception_fp_ieee_overflow 0
		.amdhsa_exception_fp_ieee_underflow 0
		.amdhsa_exception_fp_ieee_inexact 0
		.amdhsa_exception_int_div_zero 0
	.end_amdhsa_kernel
	.section	.text._ZN7rocprim17ROCPRIM_400000_NS6detail17trampoline_kernelINS0_14default_configENS1_20scan_config_selectorIsEEZZNS1_9scan_implILNS1_25lookback_scan_determinismE0ELb0ELb0ES3_N6thrust23THRUST_200600_302600_NS6detail15normal_iteratorINS9_10device_ptrIsEEEESE_s9plus_mod3IsEsEEDaPvRmT3_T4_T5_mT6_P12ihipStream_tbENKUlT_T0_E_clISt17integral_constantIbLb1EESU_EEDaSP_SQ_EUlSP_E0_NS1_11comp_targetILNS1_3genE9ELNS1_11target_archE1100ELNS1_3gpuE3ELNS1_3repE0EEENS1_30default_config_static_selectorELNS0_4arch9wavefront6targetE1EEEvT1_,"axG",@progbits,_ZN7rocprim17ROCPRIM_400000_NS6detail17trampoline_kernelINS0_14default_configENS1_20scan_config_selectorIsEEZZNS1_9scan_implILNS1_25lookback_scan_determinismE0ELb0ELb0ES3_N6thrust23THRUST_200600_302600_NS6detail15normal_iteratorINS9_10device_ptrIsEEEESE_s9plus_mod3IsEsEEDaPvRmT3_T4_T5_mT6_P12ihipStream_tbENKUlT_T0_E_clISt17integral_constantIbLb1EESU_EEDaSP_SQ_EUlSP_E0_NS1_11comp_targetILNS1_3genE9ELNS1_11target_archE1100ELNS1_3gpuE3ELNS1_3repE0EEENS1_30default_config_static_selectorELNS0_4arch9wavefront6targetE1EEEvT1_,comdat
.Lfunc_end6712:
	.size	_ZN7rocprim17ROCPRIM_400000_NS6detail17trampoline_kernelINS0_14default_configENS1_20scan_config_selectorIsEEZZNS1_9scan_implILNS1_25lookback_scan_determinismE0ELb0ELb0ES3_N6thrust23THRUST_200600_302600_NS6detail15normal_iteratorINS9_10device_ptrIsEEEESE_s9plus_mod3IsEsEEDaPvRmT3_T4_T5_mT6_P12ihipStream_tbENKUlT_T0_E_clISt17integral_constantIbLb1EESU_EEDaSP_SQ_EUlSP_E0_NS1_11comp_targetILNS1_3genE9ELNS1_11target_archE1100ELNS1_3gpuE3ELNS1_3repE0EEENS1_30default_config_static_selectorELNS0_4arch9wavefront6targetE1EEEvT1_, .Lfunc_end6712-_ZN7rocprim17ROCPRIM_400000_NS6detail17trampoline_kernelINS0_14default_configENS1_20scan_config_selectorIsEEZZNS1_9scan_implILNS1_25lookback_scan_determinismE0ELb0ELb0ES3_N6thrust23THRUST_200600_302600_NS6detail15normal_iteratorINS9_10device_ptrIsEEEESE_s9plus_mod3IsEsEEDaPvRmT3_T4_T5_mT6_P12ihipStream_tbENKUlT_T0_E_clISt17integral_constantIbLb1EESU_EEDaSP_SQ_EUlSP_E0_NS1_11comp_targetILNS1_3genE9ELNS1_11target_archE1100ELNS1_3gpuE3ELNS1_3repE0EEENS1_30default_config_static_selectorELNS0_4arch9wavefront6targetE1EEEvT1_
                                        ; -- End function
	.section	.AMDGPU.csdata,"",@progbits
; Kernel info:
; codeLenInByte = 0
; NumSgprs: 4
; NumVgprs: 0
; NumAgprs: 0
; TotalNumVgprs: 0
; ScratchSize: 0
; MemoryBound: 0
; FloatMode: 240
; IeeeMode: 1
; LDSByteSize: 0 bytes/workgroup (compile time only)
; SGPRBlocks: 0
; VGPRBlocks: 0
; NumSGPRsForWavesPerEU: 4
; NumVGPRsForWavesPerEU: 1
; AccumOffset: 4
; Occupancy: 8
; WaveLimiterHint : 0
; COMPUTE_PGM_RSRC2:SCRATCH_EN: 0
; COMPUTE_PGM_RSRC2:USER_SGPR: 6
; COMPUTE_PGM_RSRC2:TRAP_HANDLER: 0
; COMPUTE_PGM_RSRC2:TGID_X_EN: 1
; COMPUTE_PGM_RSRC2:TGID_Y_EN: 0
; COMPUTE_PGM_RSRC2:TGID_Z_EN: 0
; COMPUTE_PGM_RSRC2:TIDIG_COMP_CNT: 0
; COMPUTE_PGM_RSRC3_GFX90A:ACCUM_OFFSET: 0
; COMPUTE_PGM_RSRC3_GFX90A:TG_SPLIT: 0
	.section	.text._ZN7rocprim17ROCPRIM_400000_NS6detail17trampoline_kernelINS0_14default_configENS1_20scan_config_selectorIsEEZZNS1_9scan_implILNS1_25lookback_scan_determinismE0ELb0ELb0ES3_N6thrust23THRUST_200600_302600_NS6detail15normal_iteratorINS9_10device_ptrIsEEEESE_s9plus_mod3IsEsEEDaPvRmT3_T4_T5_mT6_P12ihipStream_tbENKUlT_T0_E_clISt17integral_constantIbLb1EESU_EEDaSP_SQ_EUlSP_E0_NS1_11comp_targetILNS1_3genE8ELNS1_11target_archE1030ELNS1_3gpuE2ELNS1_3repE0EEENS1_30default_config_static_selectorELNS0_4arch9wavefront6targetE1EEEvT1_,"axG",@progbits,_ZN7rocprim17ROCPRIM_400000_NS6detail17trampoline_kernelINS0_14default_configENS1_20scan_config_selectorIsEEZZNS1_9scan_implILNS1_25lookback_scan_determinismE0ELb0ELb0ES3_N6thrust23THRUST_200600_302600_NS6detail15normal_iteratorINS9_10device_ptrIsEEEESE_s9plus_mod3IsEsEEDaPvRmT3_T4_T5_mT6_P12ihipStream_tbENKUlT_T0_E_clISt17integral_constantIbLb1EESU_EEDaSP_SQ_EUlSP_E0_NS1_11comp_targetILNS1_3genE8ELNS1_11target_archE1030ELNS1_3gpuE2ELNS1_3repE0EEENS1_30default_config_static_selectorELNS0_4arch9wavefront6targetE1EEEvT1_,comdat
	.protected	_ZN7rocprim17ROCPRIM_400000_NS6detail17trampoline_kernelINS0_14default_configENS1_20scan_config_selectorIsEEZZNS1_9scan_implILNS1_25lookback_scan_determinismE0ELb0ELb0ES3_N6thrust23THRUST_200600_302600_NS6detail15normal_iteratorINS9_10device_ptrIsEEEESE_s9plus_mod3IsEsEEDaPvRmT3_T4_T5_mT6_P12ihipStream_tbENKUlT_T0_E_clISt17integral_constantIbLb1EESU_EEDaSP_SQ_EUlSP_E0_NS1_11comp_targetILNS1_3genE8ELNS1_11target_archE1030ELNS1_3gpuE2ELNS1_3repE0EEENS1_30default_config_static_selectorELNS0_4arch9wavefront6targetE1EEEvT1_ ; -- Begin function _ZN7rocprim17ROCPRIM_400000_NS6detail17trampoline_kernelINS0_14default_configENS1_20scan_config_selectorIsEEZZNS1_9scan_implILNS1_25lookback_scan_determinismE0ELb0ELb0ES3_N6thrust23THRUST_200600_302600_NS6detail15normal_iteratorINS9_10device_ptrIsEEEESE_s9plus_mod3IsEsEEDaPvRmT3_T4_T5_mT6_P12ihipStream_tbENKUlT_T0_E_clISt17integral_constantIbLb1EESU_EEDaSP_SQ_EUlSP_E0_NS1_11comp_targetILNS1_3genE8ELNS1_11target_archE1030ELNS1_3gpuE2ELNS1_3repE0EEENS1_30default_config_static_selectorELNS0_4arch9wavefront6targetE1EEEvT1_
	.globl	_ZN7rocprim17ROCPRIM_400000_NS6detail17trampoline_kernelINS0_14default_configENS1_20scan_config_selectorIsEEZZNS1_9scan_implILNS1_25lookback_scan_determinismE0ELb0ELb0ES3_N6thrust23THRUST_200600_302600_NS6detail15normal_iteratorINS9_10device_ptrIsEEEESE_s9plus_mod3IsEsEEDaPvRmT3_T4_T5_mT6_P12ihipStream_tbENKUlT_T0_E_clISt17integral_constantIbLb1EESU_EEDaSP_SQ_EUlSP_E0_NS1_11comp_targetILNS1_3genE8ELNS1_11target_archE1030ELNS1_3gpuE2ELNS1_3repE0EEENS1_30default_config_static_selectorELNS0_4arch9wavefront6targetE1EEEvT1_
	.p2align	8
	.type	_ZN7rocprim17ROCPRIM_400000_NS6detail17trampoline_kernelINS0_14default_configENS1_20scan_config_selectorIsEEZZNS1_9scan_implILNS1_25lookback_scan_determinismE0ELb0ELb0ES3_N6thrust23THRUST_200600_302600_NS6detail15normal_iteratorINS9_10device_ptrIsEEEESE_s9plus_mod3IsEsEEDaPvRmT3_T4_T5_mT6_P12ihipStream_tbENKUlT_T0_E_clISt17integral_constantIbLb1EESU_EEDaSP_SQ_EUlSP_E0_NS1_11comp_targetILNS1_3genE8ELNS1_11target_archE1030ELNS1_3gpuE2ELNS1_3repE0EEENS1_30default_config_static_selectorELNS0_4arch9wavefront6targetE1EEEvT1_,@function
_ZN7rocprim17ROCPRIM_400000_NS6detail17trampoline_kernelINS0_14default_configENS1_20scan_config_selectorIsEEZZNS1_9scan_implILNS1_25lookback_scan_determinismE0ELb0ELb0ES3_N6thrust23THRUST_200600_302600_NS6detail15normal_iteratorINS9_10device_ptrIsEEEESE_s9plus_mod3IsEsEEDaPvRmT3_T4_T5_mT6_P12ihipStream_tbENKUlT_T0_E_clISt17integral_constantIbLb1EESU_EEDaSP_SQ_EUlSP_E0_NS1_11comp_targetILNS1_3genE8ELNS1_11target_archE1030ELNS1_3gpuE2ELNS1_3repE0EEENS1_30default_config_static_selectorELNS0_4arch9wavefront6targetE1EEEvT1_: ; @_ZN7rocprim17ROCPRIM_400000_NS6detail17trampoline_kernelINS0_14default_configENS1_20scan_config_selectorIsEEZZNS1_9scan_implILNS1_25lookback_scan_determinismE0ELb0ELb0ES3_N6thrust23THRUST_200600_302600_NS6detail15normal_iteratorINS9_10device_ptrIsEEEESE_s9plus_mod3IsEsEEDaPvRmT3_T4_T5_mT6_P12ihipStream_tbENKUlT_T0_E_clISt17integral_constantIbLb1EESU_EEDaSP_SQ_EUlSP_E0_NS1_11comp_targetILNS1_3genE8ELNS1_11target_archE1030ELNS1_3gpuE2ELNS1_3repE0EEENS1_30default_config_static_selectorELNS0_4arch9wavefront6targetE1EEEvT1_
; %bb.0:
	.section	.rodata,"a",@progbits
	.p2align	6, 0x0
	.amdhsa_kernel _ZN7rocprim17ROCPRIM_400000_NS6detail17trampoline_kernelINS0_14default_configENS1_20scan_config_selectorIsEEZZNS1_9scan_implILNS1_25lookback_scan_determinismE0ELb0ELb0ES3_N6thrust23THRUST_200600_302600_NS6detail15normal_iteratorINS9_10device_ptrIsEEEESE_s9plus_mod3IsEsEEDaPvRmT3_T4_T5_mT6_P12ihipStream_tbENKUlT_T0_E_clISt17integral_constantIbLb1EESU_EEDaSP_SQ_EUlSP_E0_NS1_11comp_targetILNS1_3genE8ELNS1_11target_archE1030ELNS1_3gpuE2ELNS1_3repE0EEENS1_30default_config_static_selectorELNS0_4arch9wavefront6targetE1EEEvT1_
		.amdhsa_group_segment_fixed_size 0
		.amdhsa_private_segment_fixed_size 0
		.amdhsa_kernarg_size 40
		.amdhsa_user_sgpr_count 6
		.amdhsa_user_sgpr_private_segment_buffer 1
		.amdhsa_user_sgpr_dispatch_ptr 0
		.amdhsa_user_sgpr_queue_ptr 0
		.amdhsa_user_sgpr_kernarg_segment_ptr 1
		.amdhsa_user_sgpr_dispatch_id 0
		.amdhsa_user_sgpr_flat_scratch_init 0
		.amdhsa_user_sgpr_kernarg_preload_length 0
		.amdhsa_user_sgpr_kernarg_preload_offset 0
		.amdhsa_user_sgpr_private_segment_size 0
		.amdhsa_uses_dynamic_stack 0
		.amdhsa_system_sgpr_private_segment_wavefront_offset 0
		.amdhsa_system_sgpr_workgroup_id_x 1
		.amdhsa_system_sgpr_workgroup_id_y 0
		.amdhsa_system_sgpr_workgroup_id_z 0
		.amdhsa_system_sgpr_workgroup_info 0
		.amdhsa_system_vgpr_workitem_id 0
		.amdhsa_next_free_vgpr 1
		.amdhsa_next_free_sgpr 0
		.amdhsa_accum_offset 4
		.amdhsa_reserve_vcc 0
		.amdhsa_reserve_flat_scratch 0
		.amdhsa_float_round_mode_32 0
		.amdhsa_float_round_mode_16_64 0
		.amdhsa_float_denorm_mode_32 3
		.amdhsa_float_denorm_mode_16_64 3
		.amdhsa_dx10_clamp 1
		.amdhsa_ieee_mode 1
		.amdhsa_fp16_overflow 0
		.amdhsa_tg_split 0
		.amdhsa_exception_fp_ieee_invalid_op 0
		.amdhsa_exception_fp_denorm_src 0
		.amdhsa_exception_fp_ieee_div_zero 0
		.amdhsa_exception_fp_ieee_overflow 0
		.amdhsa_exception_fp_ieee_underflow 0
		.amdhsa_exception_fp_ieee_inexact 0
		.amdhsa_exception_int_div_zero 0
	.end_amdhsa_kernel
	.section	.text._ZN7rocprim17ROCPRIM_400000_NS6detail17trampoline_kernelINS0_14default_configENS1_20scan_config_selectorIsEEZZNS1_9scan_implILNS1_25lookback_scan_determinismE0ELb0ELb0ES3_N6thrust23THRUST_200600_302600_NS6detail15normal_iteratorINS9_10device_ptrIsEEEESE_s9plus_mod3IsEsEEDaPvRmT3_T4_T5_mT6_P12ihipStream_tbENKUlT_T0_E_clISt17integral_constantIbLb1EESU_EEDaSP_SQ_EUlSP_E0_NS1_11comp_targetILNS1_3genE8ELNS1_11target_archE1030ELNS1_3gpuE2ELNS1_3repE0EEENS1_30default_config_static_selectorELNS0_4arch9wavefront6targetE1EEEvT1_,"axG",@progbits,_ZN7rocprim17ROCPRIM_400000_NS6detail17trampoline_kernelINS0_14default_configENS1_20scan_config_selectorIsEEZZNS1_9scan_implILNS1_25lookback_scan_determinismE0ELb0ELb0ES3_N6thrust23THRUST_200600_302600_NS6detail15normal_iteratorINS9_10device_ptrIsEEEESE_s9plus_mod3IsEsEEDaPvRmT3_T4_T5_mT6_P12ihipStream_tbENKUlT_T0_E_clISt17integral_constantIbLb1EESU_EEDaSP_SQ_EUlSP_E0_NS1_11comp_targetILNS1_3genE8ELNS1_11target_archE1030ELNS1_3gpuE2ELNS1_3repE0EEENS1_30default_config_static_selectorELNS0_4arch9wavefront6targetE1EEEvT1_,comdat
.Lfunc_end6713:
	.size	_ZN7rocprim17ROCPRIM_400000_NS6detail17trampoline_kernelINS0_14default_configENS1_20scan_config_selectorIsEEZZNS1_9scan_implILNS1_25lookback_scan_determinismE0ELb0ELb0ES3_N6thrust23THRUST_200600_302600_NS6detail15normal_iteratorINS9_10device_ptrIsEEEESE_s9plus_mod3IsEsEEDaPvRmT3_T4_T5_mT6_P12ihipStream_tbENKUlT_T0_E_clISt17integral_constantIbLb1EESU_EEDaSP_SQ_EUlSP_E0_NS1_11comp_targetILNS1_3genE8ELNS1_11target_archE1030ELNS1_3gpuE2ELNS1_3repE0EEENS1_30default_config_static_selectorELNS0_4arch9wavefront6targetE1EEEvT1_, .Lfunc_end6713-_ZN7rocprim17ROCPRIM_400000_NS6detail17trampoline_kernelINS0_14default_configENS1_20scan_config_selectorIsEEZZNS1_9scan_implILNS1_25lookback_scan_determinismE0ELb0ELb0ES3_N6thrust23THRUST_200600_302600_NS6detail15normal_iteratorINS9_10device_ptrIsEEEESE_s9plus_mod3IsEsEEDaPvRmT3_T4_T5_mT6_P12ihipStream_tbENKUlT_T0_E_clISt17integral_constantIbLb1EESU_EEDaSP_SQ_EUlSP_E0_NS1_11comp_targetILNS1_3genE8ELNS1_11target_archE1030ELNS1_3gpuE2ELNS1_3repE0EEENS1_30default_config_static_selectorELNS0_4arch9wavefront6targetE1EEEvT1_
                                        ; -- End function
	.section	.AMDGPU.csdata,"",@progbits
; Kernel info:
; codeLenInByte = 0
; NumSgprs: 4
; NumVgprs: 0
; NumAgprs: 0
; TotalNumVgprs: 0
; ScratchSize: 0
; MemoryBound: 0
; FloatMode: 240
; IeeeMode: 1
; LDSByteSize: 0 bytes/workgroup (compile time only)
; SGPRBlocks: 0
; VGPRBlocks: 0
; NumSGPRsForWavesPerEU: 4
; NumVGPRsForWavesPerEU: 1
; AccumOffset: 4
; Occupancy: 8
; WaveLimiterHint : 0
; COMPUTE_PGM_RSRC2:SCRATCH_EN: 0
; COMPUTE_PGM_RSRC2:USER_SGPR: 6
; COMPUTE_PGM_RSRC2:TRAP_HANDLER: 0
; COMPUTE_PGM_RSRC2:TGID_X_EN: 1
; COMPUTE_PGM_RSRC2:TGID_Y_EN: 0
; COMPUTE_PGM_RSRC2:TGID_Z_EN: 0
; COMPUTE_PGM_RSRC2:TIDIG_COMP_CNT: 0
; COMPUTE_PGM_RSRC3_GFX90A:ACCUM_OFFSET: 0
; COMPUTE_PGM_RSRC3_GFX90A:TG_SPLIT: 0
	.section	.text._ZN7rocprim17ROCPRIM_400000_NS6detail17trampoline_kernelINS0_14default_configENS1_20scan_config_selectorIsEEZZNS1_9scan_implILNS1_25lookback_scan_determinismE0ELb0ELb0ES3_N6thrust23THRUST_200600_302600_NS6detail15normal_iteratorINS9_10device_ptrIsEEEESE_s9plus_mod3IsEsEEDaPvRmT3_T4_T5_mT6_P12ihipStream_tbENKUlT_T0_E_clISt17integral_constantIbLb1EEST_IbLb0EEEEDaSP_SQ_EUlSP_E_NS1_11comp_targetILNS1_3genE0ELNS1_11target_archE4294967295ELNS1_3gpuE0ELNS1_3repE0EEENS1_30default_config_static_selectorELNS0_4arch9wavefront6targetE1EEEvT1_,"axG",@progbits,_ZN7rocprim17ROCPRIM_400000_NS6detail17trampoline_kernelINS0_14default_configENS1_20scan_config_selectorIsEEZZNS1_9scan_implILNS1_25lookback_scan_determinismE0ELb0ELb0ES3_N6thrust23THRUST_200600_302600_NS6detail15normal_iteratorINS9_10device_ptrIsEEEESE_s9plus_mod3IsEsEEDaPvRmT3_T4_T5_mT6_P12ihipStream_tbENKUlT_T0_E_clISt17integral_constantIbLb1EEST_IbLb0EEEEDaSP_SQ_EUlSP_E_NS1_11comp_targetILNS1_3genE0ELNS1_11target_archE4294967295ELNS1_3gpuE0ELNS1_3repE0EEENS1_30default_config_static_selectorELNS0_4arch9wavefront6targetE1EEEvT1_,comdat
	.protected	_ZN7rocprim17ROCPRIM_400000_NS6detail17trampoline_kernelINS0_14default_configENS1_20scan_config_selectorIsEEZZNS1_9scan_implILNS1_25lookback_scan_determinismE0ELb0ELb0ES3_N6thrust23THRUST_200600_302600_NS6detail15normal_iteratorINS9_10device_ptrIsEEEESE_s9plus_mod3IsEsEEDaPvRmT3_T4_T5_mT6_P12ihipStream_tbENKUlT_T0_E_clISt17integral_constantIbLb1EEST_IbLb0EEEEDaSP_SQ_EUlSP_E_NS1_11comp_targetILNS1_3genE0ELNS1_11target_archE4294967295ELNS1_3gpuE0ELNS1_3repE0EEENS1_30default_config_static_selectorELNS0_4arch9wavefront6targetE1EEEvT1_ ; -- Begin function _ZN7rocprim17ROCPRIM_400000_NS6detail17trampoline_kernelINS0_14default_configENS1_20scan_config_selectorIsEEZZNS1_9scan_implILNS1_25lookback_scan_determinismE0ELb0ELb0ES3_N6thrust23THRUST_200600_302600_NS6detail15normal_iteratorINS9_10device_ptrIsEEEESE_s9plus_mod3IsEsEEDaPvRmT3_T4_T5_mT6_P12ihipStream_tbENKUlT_T0_E_clISt17integral_constantIbLb1EEST_IbLb0EEEEDaSP_SQ_EUlSP_E_NS1_11comp_targetILNS1_3genE0ELNS1_11target_archE4294967295ELNS1_3gpuE0ELNS1_3repE0EEENS1_30default_config_static_selectorELNS0_4arch9wavefront6targetE1EEEvT1_
	.globl	_ZN7rocprim17ROCPRIM_400000_NS6detail17trampoline_kernelINS0_14default_configENS1_20scan_config_selectorIsEEZZNS1_9scan_implILNS1_25lookback_scan_determinismE0ELb0ELb0ES3_N6thrust23THRUST_200600_302600_NS6detail15normal_iteratorINS9_10device_ptrIsEEEESE_s9plus_mod3IsEsEEDaPvRmT3_T4_T5_mT6_P12ihipStream_tbENKUlT_T0_E_clISt17integral_constantIbLb1EEST_IbLb0EEEEDaSP_SQ_EUlSP_E_NS1_11comp_targetILNS1_3genE0ELNS1_11target_archE4294967295ELNS1_3gpuE0ELNS1_3repE0EEENS1_30default_config_static_selectorELNS0_4arch9wavefront6targetE1EEEvT1_
	.p2align	8
	.type	_ZN7rocprim17ROCPRIM_400000_NS6detail17trampoline_kernelINS0_14default_configENS1_20scan_config_selectorIsEEZZNS1_9scan_implILNS1_25lookback_scan_determinismE0ELb0ELb0ES3_N6thrust23THRUST_200600_302600_NS6detail15normal_iteratorINS9_10device_ptrIsEEEESE_s9plus_mod3IsEsEEDaPvRmT3_T4_T5_mT6_P12ihipStream_tbENKUlT_T0_E_clISt17integral_constantIbLb1EEST_IbLb0EEEEDaSP_SQ_EUlSP_E_NS1_11comp_targetILNS1_3genE0ELNS1_11target_archE4294967295ELNS1_3gpuE0ELNS1_3repE0EEENS1_30default_config_static_selectorELNS0_4arch9wavefront6targetE1EEEvT1_,@function
_ZN7rocprim17ROCPRIM_400000_NS6detail17trampoline_kernelINS0_14default_configENS1_20scan_config_selectorIsEEZZNS1_9scan_implILNS1_25lookback_scan_determinismE0ELb0ELb0ES3_N6thrust23THRUST_200600_302600_NS6detail15normal_iteratorINS9_10device_ptrIsEEEESE_s9plus_mod3IsEsEEDaPvRmT3_T4_T5_mT6_P12ihipStream_tbENKUlT_T0_E_clISt17integral_constantIbLb1EEST_IbLb0EEEEDaSP_SQ_EUlSP_E_NS1_11comp_targetILNS1_3genE0ELNS1_11target_archE4294967295ELNS1_3gpuE0ELNS1_3repE0EEENS1_30default_config_static_selectorELNS0_4arch9wavefront6targetE1EEEvT1_: ; @_ZN7rocprim17ROCPRIM_400000_NS6detail17trampoline_kernelINS0_14default_configENS1_20scan_config_selectorIsEEZZNS1_9scan_implILNS1_25lookback_scan_determinismE0ELb0ELb0ES3_N6thrust23THRUST_200600_302600_NS6detail15normal_iteratorINS9_10device_ptrIsEEEESE_s9plus_mod3IsEsEEDaPvRmT3_T4_T5_mT6_P12ihipStream_tbENKUlT_T0_E_clISt17integral_constantIbLb1EEST_IbLb0EEEEDaSP_SQ_EUlSP_E_NS1_11comp_targetILNS1_3genE0ELNS1_11target_archE4294967295ELNS1_3gpuE0ELNS1_3repE0EEENS1_30default_config_static_selectorELNS0_4arch9wavefront6targetE1EEEvT1_
; %bb.0:
	.section	.rodata,"a",@progbits
	.p2align	6, 0x0
	.amdhsa_kernel _ZN7rocprim17ROCPRIM_400000_NS6detail17trampoline_kernelINS0_14default_configENS1_20scan_config_selectorIsEEZZNS1_9scan_implILNS1_25lookback_scan_determinismE0ELb0ELb0ES3_N6thrust23THRUST_200600_302600_NS6detail15normal_iteratorINS9_10device_ptrIsEEEESE_s9plus_mod3IsEsEEDaPvRmT3_T4_T5_mT6_P12ihipStream_tbENKUlT_T0_E_clISt17integral_constantIbLb1EEST_IbLb0EEEEDaSP_SQ_EUlSP_E_NS1_11comp_targetILNS1_3genE0ELNS1_11target_archE4294967295ELNS1_3gpuE0ELNS1_3repE0EEENS1_30default_config_static_selectorELNS0_4arch9wavefront6targetE1EEEvT1_
		.amdhsa_group_segment_fixed_size 0
		.amdhsa_private_segment_fixed_size 0
		.amdhsa_kernarg_size 104
		.amdhsa_user_sgpr_count 6
		.amdhsa_user_sgpr_private_segment_buffer 1
		.amdhsa_user_sgpr_dispatch_ptr 0
		.amdhsa_user_sgpr_queue_ptr 0
		.amdhsa_user_sgpr_kernarg_segment_ptr 1
		.amdhsa_user_sgpr_dispatch_id 0
		.amdhsa_user_sgpr_flat_scratch_init 0
		.amdhsa_user_sgpr_kernarg_preload_length 0
		.amdhsa_user_sgpr_kernarg_preload_offset 0
		.amdhsa_user_sgpr_private_segment_size 0
		.amdhsa_uses_dynamic_stack 0
		.amdhsa_system_sgpr_private_segment_wavefront_offset 0
		.amdhsa_system_sgpr_workgroup_id_x 1
		.amdhsa_system_sgpr_workgroup_id_y 0
		.amdhsa_system_sgpr_workgroup_id_z 0
		.amdhsa_system_sgpr_workgroup_info 0
		.amdhsa_system_vgpr_workitem_id 0
		.amdhsa_next_free_vgpr 1
		.amdhsa_next_free_sgpr 0
		.amdhsa_accum_offset 4
		.amdhsa_reserve_vcc 0
		.amdhsa_reserve_flat_scratch 0
		.amdhsa_float_round_mode_32 0
		.amdhsa_float_round_mode_16_64 0
		.amdhsa_float_denorm_mode_32 3
		.amdhsa_float_denorm_mode_16_64 3
		.amdhsa_dx10_clamp 1
		.amdhsa_ieee_mode 1
		.amdhsa_fp16_overflow 0
		.amdhsa_tg_split 0
		.amdhsa_exception_fp_ieee_invalid_op 0
		.amdhsa_exception_fp_denorm_src 0
		.amdhsa_exception_fp_ieee_div_zero 0
		.amdhsa_exception_fp_ieee_overflow 0
		.amdhsa_exception_fp_ieee_underflow 0
		.amdhsa_exception_fp_ieee_inexact 0
		.amdhsa_exception_int_div_zero 0
	.end_amdhsa_kernel
	.section	.text._ZN7rocprim17ROCPRIM_400000_NS6detail17trampoline_kernelINS0_14default_configENS1_20scan_config_selectorIsEEZZNS1_9scan_implILNS1_25lookback_scan_determinismE0ELb0ELb0ES3_N6thrust23THRUST_200600_302600_NS6detail15normal_iteratorINS9_10device_ptrIsEEEESE_s9plus_mod3IsEsEEDaPvRmT3_T4_T5_mT6_P12ihipStream_tbENKUlT_T0_E_clISt17integral_constantIbLb1EEST_IbLb0EEEEDaSP_SQ_EUlSP_E_NS1_11comp_targetILNS1_3genE0ELNS1_11target_archE4294967295ELNS1_3gpuE0ELNS1_3repE0EEENS1_30default_config_static_selectorELNS0_4arch9wavefront6targetE1EEEvT1_,"axG",@progbits,_ZN7rocprim17ROCPRIM_400000_NS6detail17trampoline_kernelINS0_14default_configENS1_20scan_config_selectorIsEEZZNS1_9scan_implILNS1_25lookback_scan_determinismE0ELb0ELb0ES3_N6thrust23THRUST_200600_302600_NS6detail15normal_iteratorINS9_10device_ptrIsEEEESE_s9plus_mod3IsEsEEDaPvRmT3_T4_T5_mT6_P12ihipStream_tbENKUlT_T0_E_clISt17integral_constantIbLb1EEST_IbLb0EEEEDaSP_SQ_EUlSP_E_NS1_11comp_targetILNS1_3genE0ELNS1_11target_archE4294967295ELNS1_3gpuE0ELNS1_3repE0EEENS1_30default_config_static_selectorELNS0_4arch9wavefront6targetE1EEEvT1_,comdat
.Lfunc_end6714:
	.size	_ZN7rocprim17ROCPRIM_400000_NS6detail17trampoline_kernelINS0_14default_configENS1_20scan_config_selectorIsEEZZNS1_9scan_implILNS1_25lookback_scan_determinismE0ELb0ELb0ES3_N6thrust23THRUST_200600_302600_NS6detail15normal_iteratorINS9_10device_ptrIsEEEESE_s9plus_mod3IsEsEEDaPvRmT3_T4_T5_mT6_P12ihipStream_tbENKUlT_T0_E_clISt17integral_constantIbLb1EEST_IbLb0EEEEDaSP_SQ_EUlSP_E_NS1_11comp_targetILNS1_3genE0ELNS1_11target_archE4294967295ELNS1_3gpuE0ELNS1_3repE0EEENS1_30default_config_static_selectorELNS0_4arch9wavefront6targetE1EEEvT1_, .Lfunc_end6714-_ZN7rocprim17ROCPRIM_400000_NS6detail17trampoline_kernelINS0_14default_configENS1_20scan_config_selectorIsEEZZNS1_9scan_implILNS1_25lookback_scan_determinismE0ELb0ELb0ES3_N6thrust23THRUST_200600_302600_NS6detail15normal_iteratorINS9_10device_ptrIsEEEESE_s9plus_mod3IsEsEEDaPvRmT3_T4_T5_mT6_P12ihipStream_tbENKUlT_T0_E_clISt17integral_constantIbLb1EEST_IbLb0EEEEDaSP_SQ_EUlSP_E_NS1_11comp_targetILNS1_3genE0ELNS1_11target_archE4294967295ELNS1_3gpuE0ELNS1_3repE0EEENS1_30default_config_static_selectorELNS0_4arch9wavefront6targetE1EEEvT1_
                                        ; -- End function
	.section	.AMDGPU.csdata,"",@progbits
; Kernel info:
; codeLenInByte = 0
; NumSgprs: 4
; NumVgprs: 0
; NumAgprs: 0
; TotalNumVgprs: 0
; ScratchSize: 0
; MemoryBound: 0
; FloatMode: 240
; IeeeMode: 1
; LDSByteSize: 0 bytes/workgroup (compile time only)
; SGPRBlocks: 0
; VGPRBlocks: 0
; NumSGPRsForWavesPerEU: 4
; NumVGPRsForWavesPerEU: 1
; AccumOffset: 4
; Occupancy: 8
; WaveLimiterHint : 0
; COMPUTE_PGM_RSRC2:SCRATCH_EN: 0
; COMPUTE_PGM_RSRC2:USER_SGPR: 6
; COMPUTE_PGM_RSRC2:TRAP_HANDLER: 0
; COMPUTE_PGM_RSRC2:TGID_X_EN: 1
; COMPUTE_PGM_RSRC2:TGID_Y_EN: 0
; COMPUTE_PGM_RSRC2:TGID_Z_EN: 0
; COMPUTE_PGM_RSRC2:TIDIG_COMP_CNT: 0
; COMPUTE_PGM_RSRC3_GFX90A:ACCUM_OFFSET: 0
; COMPUTE_PGM_RSRC3_GFX90A:TG_SPLIT: 0
	.section	.text._ZN7rocprim17ROCPRIM_400000_NS6detail17trampoline_kernelINS0_14default_configENS1_20scan_config_selectorIsEEZZNS1_9scan_implILNS1_25lookback_scan_determinismE0ELb0ELb0ES3_N6thrust23THRUST_200600_302600_NS6detail15normal_iteratorINS9_10device_ptrIsEEEESE_s9plus_mod3IsEsEEDaPvRmT3_T4_T5_mT6_P12ihipStream_tbENKUlT_T0_E_clISt17integral_constantIbLb1EEST_IbLb0EEEEDaSP_SQ_EUlSP_E_NS1_11comp_targetILNS1_3genE5ELNS1_11target_archE942ELNS1_3gpuE9ELNS1_3repE0EEENS1_30default_config_static_selectorELNS0_4arch9wavefront6targetE1EEEvT1_,"axG",@progbits,_ZN7rocprim17ROCPRIM_400000_NS6detail17trampoline_kernelINS0_14default_configENS1_20scan_config_selectorIsEEZZNS1_9scan_implILNS1_25lookback_scan_determinismE0ELb0ELb0ES3_N6thrust23THRUST_200600_302600_NS6detail15normal_iteratorINS9_10device_ptrIsEEEESE_s9plus_mod3IsEsEEDaPvRmT3_T4_T5_mT6_P12ihipStream_tbENKUlT_T0_E_clISt17integral_constantIbLb1EEST_IbLb0EEEEDaSP_SQ_EUlSP_E_NS1_11comp_targetILNS1_3genE5ELNS1_11target_archE942ELNS1_3gpuE9ELNS1_3repE0EEENS1_30default_config_static_selectorELNS0_4arch9wavefront6targetE1EEEvT1_,comdat
	.protected	_ZN7rocprim17ROCPRIM_400000_NS6detail17trampoline_kernelINS0_14default_configENS1_20scan_config_selectorIsEEZZNS1_9scan_implILNS1_25lookback_scan_determinismE0ELb0ELb0ES3_N6thrust23THRUST_200600_302600_NS6detail15normal_iteratorINS9_10device_ptrIsEEEESE_s9plus_mod3IsEsEEDaPvRmT3_T4_T5_mT6_P12ihipStream_tbENKUlT_T0_E_clISt17integral_constantIbLb1EEST_IbLb0EEEEDaSP_SQ_EUlSP_E_NS1_11comp_targetILNS1_3genE5ELNS1_11target_archE942ELNS1_3gpuE9ELNS1_3repE0EEENS1_30default_config_static_selectorELNS0_4arch9wavefront6targetE1EEEvT1_ ; -- Begin function _ZN7rocprim17ROCPRIM_400000_NS6detail17trampoline_kernelINS0_14default_configENS1_20scan_config_selectorIsEEZZNS1_9scan_implILNS1_25lookback_scan_determinismE0ELb0ELb0ES3_N6thrust23THRUST_200600_302600_NS6detail15normal_iteratorINS9_10device_ptrIsEEEESE_s9plus_mod3IsEsEEDaPvRmT3_T4_T5_mT6_P12ihipStream_tbENKUlT_T0_E_clISt17integral_constantIbLb1EEST_IbLb0EEEEDaSP_SQ_EUlSP_E_NS1_11comp_targetILNS1_3genE5ELNS1_11target_archE942ELNS1_3gpuE9ELNS1_3repE0EEENS1_30default_config_static_selectorELNS0_4arch9wavefront6targetE1EEEvT1_
	.globl	_ZN7rocprim17ROCPRIM_400000_NS6detail17trampoline_kernelINS0_14default_configENS1_20scan_config_selectorIsEEZZNS1_9scan_implILNS1_25lookback_scan_determinismE0ELb0ELb0ES3_N6thrust23THRUST_200600_302600_NS6detail15normal_iteratorINS9_10device_ptrIsEEEESE_s9plus_mod3IsEsEEDaPvRmT3_T4_T5_mT6_P12ihipStream_tbENKUlT_T0_E_clISt17integral_constantIbLb1EEST_IbLb0EEEEDaSP_SQ_EUlSP_E_NS1_11comp_targetILNS1_3genE5ELNS1_11target_archE942ELNS1_3gpuE9ELNS1_3repE0EEENS1_30default_config_static_selectorELNS0_4arch9wavefront6targetE1EEEvT1_
	.p2align	8
	.type	_ZN7rocprim17ROCPRIM_400000_NS6detail17trampoline_kernelINS0_14default_configENS1_20scan_config_selectorIsEEZZNS1_9scan_implILNS1_25lookback_scan_determinismE0ELb0ELb0ES3_N6thrust23THRUST_200600_302600_NS6detail15normal_iteratorINS9_10device_ptrIsEEEESE_s9plus_mod3IsEsEEDaPvRmT3_T4_T5_mT6_P12ihipStream_tbENKUlT_T0_E_clISt17integral_constantIbLb1EEST_IbLb0EEEEDaSP_SQ_EUlSP_E_NS1_11comp_targetILNS1_3genE5ELNS1_11target_archE942ELNS1_3gpuE9ELNS1_3repE0EEENS1_30default_config_static_selectorELNS0_4arch9wavefront6targetE1EEEvT1_,@function
_ZN7rocprim17ROCPRIM_400000_NS6detail17trampoline_kernelINS0_14default_configENS1_20scan_config_selectorIsEEZZNS1_9scan_implILNS1_25lookback_scan_determinismE0ELb0ELb0ES3_N6thrust23THRUST_200600_302600_NS6detail15normal_iteratorINS9_10device_ptrIsEEEESE_s9plus_mod3IsEsEEDaPvRmT3_T4_T5_mT6_P12ihipStream_tbENKUlT_T0_E_clISt17integral_constantIbLb1EEST_IbLb0EEEEDaSP_SQ_EUlSP_E_NS1_11comp_targetILNS1_3genE5ELNS1_11target_archE942ELNS1_3gpuE9ELNS1_3repE0EEENS1_30default_config_static_selectorELNS0_4arch9wavefront6targetE1EEEvT1_: ; @_ZN7rocprim17ROCPRIM_400000_NS6detail17trampoline_kernelINS0_14default_configENS1_20scan_config_selectorIsEEZZNS1_9scan_implILNS1_25lookback_scan_determinismE0ELb0ELb0ES3_N6thrust23THRUST_200600_302600_NS6detail15normal_iteratorINS9_10device_ptrIsEEEESE_s9plus_mod3IsEsEEDaPvRmT3_T4_T5_mT6_P12ihipStream_tbENKUlT_T0_E_clISt17integral_constantIbLb1EEST_IbLb0EEEEDaSP_SQ_EUlSP_E_NS1_11comp_targetILNS1_3genE5ELNS1_11target_archE942ELNS1_3gpuE9ELNS1_3repE0EEENS1_30default_config_static_selectorELNS0_4arch9wavefront6targetE1EEEvT1_
; %bb.0:
	.section	.rodata,"a",@progbits
	.p2align	6, 0x0
	.amdhsa_kernel _ZN7rocprim17ROCPRIM_400000_NS6detail17trampoline_kernelINS0_14default_configENS1_20scan_config_selectorIsEEZZNS1_9scan_implILNS1_25lookback_scan_determinismE0ELb0ELb0ES3_N6thrust23THRUST_200600_302600_NS6detail15normal_iteratorINS9_10device_ptrIsEEEESE_s9plus_mod3IsEsEEDaPvRmT3_T4_T5_mT6_P12ihipStream_tbENKUlT_T0_E_clISt17integral_constantIbLb1EEST_IbLb0EEEEDaSP_SQ_EUlSP_E_NS1_11comp_targetILNS1_3genE5ELNS1_11target_archE942ELNS1_3gpuE9ELNS1_3repE0EEENS1_30default_config_static_selectorELNS0_4arch9wavefront6targetE1EEEvT1_
		.amdhsa_group_segment_fixed_size 0
		.amdhsa_private_segment_fixed_size 0
		.amdhsa_kernarg_size 104
		.amdhsa_user_sgpr_count 6
		.amdhsa_user_sgpr_private_segment_buffer 1
		.amdhsa_user_sgpr_dispatch_ptr 0
		.amdhsa_user_sgpr_queue_ptr 0
		.amdhsa_user_sgpr_kernarg_segment_ptr 1
		.amdhsa_user_sgpr_dispatch_id 0
		.amdhsa_user_sgpr_flat_scratch_init 0
		.amdhsa_user_sgpr_kernarg_preload_length 0
		.amdhsa_user_sgpr_kernarg_preload_offset 0
		.amdhsa_user_sgpr_private_segment_size 0
		.amdhsa_uses_dynamic_stack 0
		.amdhsa_system_sgpr_private_segment_wavefront_offset 0
		.amdhsa_system_sgpr_workgroup_id_x 1
		.amdhsa_system_sgpr_workgroup_id_y 0
		.amdhsa_system_sgpr_workgroup_id_z 0
		.amdhsa_system_sgpr_workgroup_info 0
		.amdhsa_system_vgpr_workitem_id 0
		.amdhsa_next_free_vgpr 1
		.amdhsa_next_free_sgpr 0
		.amdhsa_accum_offset 4
		.amdhsa_reserve_vcc 0
		.amdhsa_reserve_flat_scratch 0
		.amdhsa_float_round_mode_32 0
		.amdhsa_float_round_mode_16_64 0
		.amdhsa_float_denorm_mode_32 3
		.amdhsa_float_denorm_mode_16_64 3
		.amdhsa_dx10_clamp 1
		.amdhsa_ieee_mode 1
		.amdhsa_fp16_overflow 0
		.amdhsa_tg_split 0
		.amdhsa_exception_fp_ieee_invalid_op 0
		.amdhsa_exception_fp_denorm_src 0
		.amdhsa_exception_fp_ieee_div_zero 0
		.amdhsa_exception_fp_ieee_overflow 0
		.amdhsa_exception_fp_ieee_underflow 0
		.amdhsa_exception_fp_ieee_inexact 0
		.amdhsa_exception_int_div_zero 0
	.end_amdhsa_kernel
	.section	.text._ZN7rocprim17ROCPRIM_400000_NS6detail17trampoline_kernelINS0_14default_configENS1_20scan_config_selectorIsEEZZNS1_9scan_implILNS1_25lookback_scan_determinismE0ELb0ELb0ES3_N6thrust23THRUST_200600_302600_NS6detail15normal_iteratorINS9_10device_ptrIsEEEESE_s9plus_mod3IsEsEEDaPvRmT3_T4_T5_mT6_P12ihipStream_tbENKUlT_T0_E_clISt17integral_constantIbLb1EEST_IbLb0EEEEDaSP_SQ_EUlSP_E_NS1_11comp_targetILNS1_3genE5ELNS1_11target_archE942ELNS1_3gpuE9ELNS1_3repE0EEENS1_30default_config_static_selectorELNS0_4arch9wavefront6targetE1EEEvT1_,"axG",@progbits,_ZN7rocprim17ROCPRIM_400000_NS6detail17trampoline_kernelINS0_14default_configENS1_20scan_config_selectorIsEEZZNS1_9scan_implILNS1_25lookback_scan_determinismE0ELb0ELb0ES3_N6thrust23THRUST_200600_302600_NS6detail15normal_iteratorINS9_10device_ptrIsEEEESE_s9plus_mod3IsEsEEDaPvRmT3_T4_T5_mT6_P12ihipStream_tbENKUlT_T0_E_clISt17integral_constantIbLb1EEST_IbLb0EEEEDaSP_SQ_EUlSP_E_NS1_11comp_targetILNS1_3genE5ELNS1_11target_archE942ELNS1_3gpuE9ELNS1_3repE0EEENS1_30default_config_static_selectorELNS0_4arch9wavefront6targetE1EEEvT1_,comdat
.Lfunc_end6715:
	.size	_ZN7rocprim17ROCPRIM_400000_NS6detail17trampoline_kernelINS0_14default_configENS1_20scan_config_selectorIsEEZZNS1_9scan_implILNS1_25lookback_scan_determinismE0ELb0ELb0ES3_N6thrust23THRUST_200600_302600_NS6detail15normal_iteratorINS9_10device_ptrIsEEEESE_s9plus_mod3IsEsEEDaPvRmT3_T4_T5_mT6_P12ihipStream_tbENKUlT_T0_E_clISt17integral_constantIbLb1EEST_IbLb0EEEEDaSP_SQ_EUlSP_E_NS1_11comp_targetILNS1_3genE5ELNS1_11target_archE942ELNS1_3gpuE9ELNS1_3repE0EEENS1_30default_config_static_selectorELNS0_4arch9wavefront6targetE1EEEvT1_, .Lfunc_end6715-_ZN7rocprim17ROCPRIM_400000_NS6detail17trampoline_kernelINS0_14default_configENS1_20scan_config_selectorIsEEZZNS1_9scan_implILNS1_25lookback_scan_determinismE0ELb0ELb0ES3_N6thrust23THRUST_200600_302600_NS6detail15normal_iteratorINS9_10device_ptrIsEEEESE_s9plus_mod3IsEsEEDaPvRmT3_T4_T5_mT6_P12ihipStream_tbENKUlT_T0_E_clISt17integral_constantIbLb1EEST_IbLb0EEEEDaSP_SQ_EUlSP_E_NS1_11comp_targetILNS1_3genE5ELNS1_11target_archE942ELNS1_3gpuE9ELNS1_3repE0EEENS1_30default_config_static_selectorELNS0_4arch9wavefront6targetE1EEEvT1_
                                        ; -- End function
	.section	.AMDGPU.csdata,"",@progbits
; Kernel info:
; codeLenInByte = 0
; NumSgprs: 4
; NumVgprs: 0
; NumAgprs: 0
; TotalNumVgprs: 0
; ScratchSize: 0
; MemoryBound: 0
; FloatMode: 240
; IeeeMode: 1
; LDSByteSize: 0 bytes/workgroup (compile time only)
; SGPRBlocks: 0
; VGPRBlocks: 0
; NumSGPRsForWavesPerEU: 4
; NumVGPRsForWavesPerEU: 1
; AccumOffset: 4
; Occupancy: 8
; WaveLimiterHint : 0
; COMPUTE_PGM_RSRC2:SCRATCH_EN: 0
; COMPUTE_PGM_RSRC2:USER_SGPR: 6
; COMPUTE_PGM_RSRC2:TRAP_HANDLER: 0
; COMPUTE_PGM_RSRC2:TGID_X_EN: 1
; COMPUTE_PGM_RSRC2:TGID_Y_EN: 0
; COMPUTE_PGM_RSRC2:TGID_Z_EN: 0
; COMPUTE_PGM_RSRC2:TIDIG_COMP_CNT: 0
; COMPUTE_PGM_RSRC3_GFX90A:ACCUM_OFFSET: 0
; COMPUTE_PGM_RSRC3_GFX90A:TG_SPLIT: 0
	.section	.text._ZN7rocprim17ROCPRIM_400000_NS6detail17trampoline_kernelINS0_14default_configENS1_20scan_config_selectorIsEEZZNS1_9scan_implILNS1_25lookback_scan_determinismE0ELb0ELb0ES3_N6thrust23THRUST_200600_302600_NS6detail15normal_iteratorINS9_10device_ptrIsEEEESE_s9plus_mod3IsEsEEDaPvRmT3_T4_T5_mT6_P12ihipStream_tbENKUlT_T0_E_clISt17integral_constantIbLb1EEST_IbLb0EEEEDaSP_SQ_EUlSP_E_NS1_11comp_targetILNS1_3genE4ELNS1_11target_archE910ELNS1_3gpuE8ELNS1_3repE0EEENS1_30default_config_static_selectorELNS0_4arch9wavefront6targetE1EEEvT1_,"axG",@progbits,_ZN7rocprim17ROCPRIM_400000_NS6detail17trampoline_kernelINS0_14default_configENS1_20scan_config_selectorIsEEZZNS1_9scan_implILNS1_25lookback_scan_determinismE0ELb0ELb0ES3_N6thrust23THRUST_200600_302600_NS6detail15normal_iteratorINS9_10device_ptrIsEEEESE_s9plus_mod3IsEsEEDaPvRmT3_T4_T5_mT6_P12ihipStream_tbENKUlT_T0_E_clISt17integral_constantIbLb1EEST_IbLb0EEEEDaSP_SQ_EUlSP_E_NS1_11comp_targetILNS1_3genE4ELNS1_11target_archE910ELNS1_3gpuE8ELNS1_3repE0EEENS1_30default_config_static_selectorELNS0_4arch9wavefront6targetE1EEEvT1_,comdat
	.protected	_ZN7rocprim17ROCPRIM_400000_NS6detail17trampoline_kernelINS0_14default_configENS1_20scan_config_selectorIsEEZZNS1_9scan_implILNS1_25lookback_scan_determinismE0ELb0ELb0ES3_N6thrust23THRUST_200600_302600_NS6detail15normal_iteratorINS9_10device_ptrIsEEEESE_s9plus_mod3IsEsEEDaPvRmT3_T4_T5_mT6_P12ihipStream_tbENKUlT_T0_E_clISt17integral_constantIbLb1EEST_IbLb0EEEEDaSP_SQ_EUlSP_E_NS1_11comp_targetILNS1_3genE4ELNS1_11target_archE910ELNS1_3gpuE8ELNS1_3repE0EEENS1_30default_config_static_selectorELNS0_4arch9wavefront6targetE1EEEvT1_ ; -- Begin function _ZN7rocprim17ROCPRIM_400000_NS6detail17trampoline_kernelINS0_14default_configENS1_20scan_config_selectorIsEEZZNS1_9scan_implILNS1_25lookback_scan_determinismE0ELb0ELb0ES3_N6thrust23THRUST_200600_302600_NS6detail15normal_iteratorINS9_10device_ptrIsEEEESE_s9plus_mod3IsEsEEDaPvRmT3_T4_T5_mT6_P12ihipStream_tbENKUlT_T0_E_clISt17integral_constantIbLb1EEST_IbLb0EEEEDaSP_SQ_EUlSP_E_NS1_11comp_targetILNS1_3genE4ELNS1_11target_archE910ELNS1_3gpuE8ELNS1_3repE0EEENS1_30default_config_static_selectorELNS0_4arch9wavefront6targetE1EEEvT1_
	.globl	_ZN7rocprim17ROCPRIM_400000_NS6detail17trampoline_kernelINS0_14default_configENS1_20scan_config_selectorIsEEZZNS1_9scan_implILNS1_25lookback_scan_determinismE0ELb0ELb0ES3_N6thrust23THRUST_200600_302600_NS6detail15normal_iteratorINS9_10device_ptrIsEEEESE_s9plus_mod3IsEsEEDaPvRmT3_T4_T5_mT6_P12ihipStream_tbENKUlT_T0_E_clISt17integral_constantIbLb1EEST_IbLb0EEEEDaSP_SQ_EUlSP_E_NS1_11comp_targetILNS1_3genE4ELNS1_11target_archE910ELNS1_3gpuE8ELNS1_3repE0EEENS1_30default_config_static_selectorELNS0_4arch9wavefront6targetE1EEEvT1_
	.p2align	8
	.type	_ZN7rocprim17ROCPRIM_400000_NS6detail17trampoline_kernelINS0_14default_configENS1_20scan_config_selectorIsEEZZNS1_9scan_implILNS1_25lookback_scan_determinismE0ELb0ELb0ES3_N6thrust23THRUST_200600_302600_NS6detail15normal_iteratorINS9_10device_ptrIsEEEESE_s9plus_mod3IsEsEEDaPvRmT3_T4_T5_mT6_P12ihipStream_tbENKUlT_T0_E_clISt17integral_constantIbLb1EEST_IbLb0EEEEDaSP_SQ_EUlSP_E_NS1_11comp_targetILNS1_3genE4ELNS1_11target_archE910ELNS1_3gpuE8ELNS1_3repE0EEENS1_30default_config_static_selectorELNS0_4arch9wavefront6targetE1EEEvT1_,@function
_ZN7rocprim17ROCPRIM_400000_NS6detail17trampoline_kernelINS0_14default_configENS1_20scan_config_selectorIsEEZZNS1_9scan_implILNS1_25lookback_scan_determinismE0ELb0ELb0ES3_N6thrust23THRUST_200600_302600_NS6detail15normal_iteratorINS9_10device_ptrIsEEEESE_s9plus_mod3IsEsEEDaPvRmT3_T4_T5_mT6_P12ihipStream_tbENKUlT_T0_E_clISt17integral_constantIbLb1EEST_IbLb0EEEEDaSP_SQ_EUlSP_E_NS1_11comp_targetILNS1_3genE4ELNS1_11target_archE910ELNS1_3gpuE8ELNS1_3repE0EEENS1_30default_config_static_selectorELNS0_4arch9wavefront6targetE1EEEvT1_: ; @_ZN7rocprim17ROCPRIM_400000_NS6detail17trampoline_kernelINS0_14default_configENS1_20scan_config_selectorIsEEZZNS1_9scan_implILNS1_25lookback_scan_determinismE0ELb0ELb0ES3_N6thrust23THRUST_200600_302600_NS6detail15normal_iteratorINS9_10device_ptrIsEEEESE_s9plus_mod3IsEsEEDaPvRmT3_T4_T5_mT6_P12ihipStream_tbENKUlT_T0_E_clISt17integral_constantIbLb1EEST_IbLb0EEEEDaSP_SQ_EUlSP_E_NS1_11comp_targetILNS1_3genE4ELNS1_11target_archE910ELNS1_3gpuE8ELNS1_3repE0EEENS1_30default_config_static_selectorELNS0_4arch9wavefront6targetE1EEEvT1_
; %bb.0:
	s_load_dwordx8 s[8:15], s[4:5], 0x0
	s_load_dword s1, s[4:5], 0x38
	s_mul_i32 s0, s6, 0x600
	v_lshlrev_b32_e32 v108, 1, v0
	s_waitcnt lgkmcnt(0)
	s_lshl_b64 s[20:21], s[10:11], 1
	s_add_u32 s2, s8, s20
	s_addc_u32 s3, s9, s21
	s_add_i32 s7, s1, -1
	s_mul_i32 s8, s7, 0x600
	s_sub_u32 s30, s14, s8
	s_subb_u32 s31, s15, 0
	s_mov_b32 s1, 0
	s_cmp_lg_u32 s6, s7
	s_cselect_b64 s[14:15], -1, 0
	s_lshl_b64 s[22:23], s[0:1], 1
	s_add_u32 s2, s2, s22
	s_addc_u32 s3, s3, s23
	s_mov_b64 s[0:1], -1
	s_and_b64 vcc, exec, s[14:15]
	s_cbranch_vccz .LBB6716_2
; %bb.1:
	v_mov_b32_e32 v1, s3
	v_add_co_u32_e32 v2, vcc, s2, v108
	v_addc_co_u32_e32 v3, vcc, 0, v1, vcc
	flat_load_ushort v1, v[2:3]
	flat_load_ushort v4, v[2:3] offset:128
	flat_load_ushort v5, v[2:3] offset:256
	;; [unrolled: 1-line block ×23, first 2 shown]
	s_mov_b64 s[0:1], 0
	s_waitcnt vmcnt(0) lgkmcnt(0)
	ds_write_b16 v108, v1
	ds_write_b16 v108, v4 offset:128
	ds_write_b16 v108, v5 offset:256
	;; [unrolled: 1-line block ×23, first 2 shown]
	s_waitcnt lgkmcnt(0)
	; wave barrier
.LBB6716_2:
	s_load_dwordx4 s[16:19], s[4:5], 0x28
	s_andn2_b64 vcc, exec, s[0:1]
	v_cmp_gt_u32_e64 s[0:1], s30, v0
	s_cbranch_vccnz .LBB6716_52
; %bb.3:
	v_pk_mov_b32 v[2:3], s[2:3], s[2:3] op_sel:[0,1]
	flat_load_ushort v1, v[2:3]
	s_waitcnt vmcnt(0) lgkmcnt(0)
	v_mov_b32_e32 v2, v1
	s_and_saveexec_b64 s[8:9], s[0:1]
	s_cbranch_execz .LBB6716_5
; %bb.4:
	v_mov_b32_e32 v3, s3
	v_add_co_u32_e32 v2, vcc, s2, v108
	v_addc_co_u32_e32 v3, vcc, 0, v3, vcc
	flat_load_ushort v2, v[2:3]
.LBB6716_5:
	s_or_b64 exec, exec, s[8:9]
	v_or_b32_e32 v3, 64, v0
	v_cmp_gt_u32_e32 vcc, s30, v3
	v_mov_b32_e32 v3, v1
	s_and_saveexec_b64 s[0:1], vcc
	s_cbranch_execz .LBB6716_7
; %bb.6:
	v_mov_b32_e32 v3, s3
	v_add_co_u32_e32 v4, vcc, s2, v108
	v_addc_co_u32_e32 v5, vcc, 0, v3, vcc
	flat_load_ushort v3, v[4:5] offset:128
.LBB6716_7:
	s_or_b64 exec, exec, s[0:1]
	v_or_b32_e32 v4, 0x80, v0
	v_cmp_gt_u32_e32 vcc, s30, v4
	v_mov_b32_e32 v4, v1
	s_and_saveexec_b64 s[0:1], vcc
	s_cbranch_execz .LBB6716_9
; %bb.8:
	v_mov_b32_e32 v5, s3
	v_add_co_u32_e32 v4, vcc, s2, v108
	v_addc_co_u32_e32 v5, vcc, 0, v5, vcc
	flat_load_ushort v4, v[4:5] offset:256
.LBB6716_9:
	;; [unrolled: 12-line block ×22, first 2 shown]
	s_or_b64 exec, exec, s[0:1]
	v_or_b32_e32 v25, 0x5c0, v0
	v_cmp_gt_u32_e32 vcc, s30, v25
	s_and_saveexec_b64 s[0:1], vcc
	s_cbranch_execz .LBB6716_51
; %bb.50:
	v_mov_b32_e32 v1, s3
	v_add_co_u32_e32 v26, vcc, s2, v108
	v_addc_co_u32_e32 v27, vcc, 0, v1, vcc
	flat_load_ushort v1, v[26:27] offset:2944
.LBB6716_51:
	s_or_b64 exec, exec, s[0:1]
	s_waitcnt vmcnt(0) lgkmcnt(0)
	ds_write_b16 v108, v2
	ds_write_b16 v108, v3 offset:128
	ds_write_b16 v108, v4 offset:256
	;; [unrolled: 1-line block ×23, first 2 shown]
	s_waitcnt lgkmcnt(0)
	; wave barrier
.LBB6716_52:
	v_mul_u32_u24_e32 v109, 24, v0
	v_lshlrev_b32_e32 v1, 1, v109
	s_waitcnt lgkmcnt(0)
	ds_read_b128 v[2:5], v1
	ds_read_b128 v[6:9], v1 offset:16
	ds_read_b128 v[50:53], v1 offset:32
	s_cmp_lg_u32 s6, 0
	v_mbcnt_lo_u32_b32 v110, -1, 0
	s_waitcnt lgkmcnt(2)
	v_lshrrev_b32_e32 v10, 16, v2
	v_lshrrev_b32_e32 v11, 16, v3
	v_lshrrev_b32_e32 v12, 16, v4
	v_lshrrev_b32_e32 v13, 16, v5
	s_waitcnt lgkmcnt(1)
	v_lshrrev_b32_e32 v14, 16, v6
	v_lshrrev_b32_e32 v15, 16, v7
	v_lshrrev_b32_e32 v16, 16, v8
	v_lshrrev_b32_e32 v17, 16, v9
	;; [unrolled: 5-line block ×3, first 2 shown]
	v_bfe_i32 v48, v10, 0, 16
	v_bfe_i32 v46, v3, 0, 16
	;; [unrolled: 1-line block ×23, first 2 shown]
	s_waitcnt lgkmcnt(0)
	; wave barrier
	s_cbranch_scc0 .LBB6716_120
; %bb.53:
	v_bfe_i32 v62, v2, 0, 16
	v_ashrrev_i32_e32 v63, 31, v62
	v_lshlrev_b64 v[68:69], 1, v[62:63]
	v_ashrrev_i32_e32 v49, 31, v48
	v_mov_b32_e32 v3, s17
	v_add_co_u32_e32 v5, vcc, s16, v68
	v_addc_co_u32_e32 v3, vcc, v3, v69, vcc
	v_lshlrev_b64 v[50:51], 1, v[48:49]
	v_add_co_u32_e32 v52, vcc, v5, v50
	v_addc_co_u32_e32 v53, vcc, v3, v51, vcc
	global_load_ushort v3, v[52:53], off
	v_ashrrev_i32_e32 v47, 31, v46
	v_mov_b32_e32 v5, s17
	v_lshlrev_b64 v[52:53], 1, v[46:47]
	v_ashrrev_i32_e32 v45, 31, v44
	v_ashrrev_i32_e32 v43, 31, v42
	;; [unrolled: 1-line block ×20, first 2 shown]
	s_waitcnt vmcnt(0)
	v_bfe_i32 v54, v3, 0, 16
	v_ashrrev_i32_e32 v55, 31, v54
	v_lshlrev_b64 v[54:55], 1, v[54:55]
	v_add_co_u32_e32 v3, vcc, s16, v54
	v_addc_co_u32_e32 v5, vcc, v5, v55, vcc
	v_add_co_u32_e32 v54, vcc, v3, v52
	v_addc_co_u32_e32 v55, vcc, v5, v53, vcc
	global_load_ushort v3, v[54:55], off
	v_mov_b32_e32 v5, s17
	v_lshlrev_b64 v[54:55], 1, v[44:45]
	s_waitcnt vmcnt(0)
	v_bfe_i32 v56, v3, 0, 16
	v_ashrrev_i32_e32 v57, 31, v56
	v_lshlrev_b64 v[56:57], 1, v[56:57]
	v_add_co_u32_e32 v3, vcc, s16, v56
	v_addc_co_u32_e32 v5, vcc, v5, v57, vcc
	v_add_co_u32_e32 v56, vcc, v3, v54
	v_addc_co_u32_e32 v57, vcc, v5, v55, vcc
	global_load_ushort v3, v[56:57], off
	v_mov_b32_e32 v5, s17
	v_lshlrev_b64 v[56:57], 1, v[42:43]
	s_waitcnt vmcnt(0)
	v_bfe_i32 v58, v3, 0, 16
	v_ashrrev_i32_e32 v59, 31, v58
	v_lshlrev_b64 v[58:59], 1, v[58:59]
	v_add_co_u32_e32 v3, vcc, s16, v58
	v_addc_co_u32_e32 v5, vcc, v5, v59, vcc
	v_add_co_u32_e32 v58, vcc, v3, v56
	v_addc_co_u32_e32 v59, vcc, v5, v57, vcc
	global_load_ushort v3, v[58:59], off
	v_mov_b32_e32 v5, s17
	v_lshlrev_b64 v[58:59], 1, v[40:41]
	s_waitcnt vmcnt(0)
	v_bfe_i32 v60, v3, 0, 16
	v_ashrrev_i32_e32 v61, 31, v60
	v_lshlrev_b64 v[60:61], 1, v[60:61]
	v_add_co_u32_e32 v3, vcc, s16, v60
	v_addc_co_u32_e32 v5, vcc, v5, v61, vcc
	v_add_co_u32_e32 v60, vcc, v3, v58
	v_addc_co_u32_e32 v61, vcc, v5, v59, vcc
	global_load_ushort v3, v[60:61], off
	v_mov_b32_e32 v5, s17
	v_lshlrev_b64 v[60:61], 1, v[38:39]
	s_waitcnt vmcnt(0)
	v_bfe_i32 v64, v3, 0, 16
	v_ashrrev_i32_e32 v65, 31, v64
	v_lshlrev_b64 v[64:65], 1, v[64:65]
	v_add_co_u32_e32 v3, vcc, s16, v64
	v_addc_co_u32_e32 v5, vcc, v5, v65, vcc
	v_add_co_u32_e32 v64, vcc, v3, v60
	v_addc_co_u32_e32 v65, vcc, v5, v61, vcc
	global_load_ushort v3, v[64:65], off
	v_mov_b32_e32 v5, s17
	v_lshlrev_b64 v[64:65], 1, v[36:37]
	s_waitcnt vmcnt(0)
	v_bfe_i32 v66, v3, 0, 16
	v_ashrrev_i32_e32 v67, 31, v66
	v_lshlrev_b64 v[66:67], 1, v[66:67]
	v_add_co_u32_e32 v3, vcc, s16, v66
	v_addc_co_u32_e32 v5, vcc, v5, v67, vcc
	v_add_co_u32_e32 v66, vcc, v3, v64
	v_addc_co_u32_e32 v67, vcc, v5, v65, vcc
	global_load_ushort v3, v[66:67], off
	v_mov_b32_e32 v5, s17
	v_lshlrev_b64 v[66:67], 1, v[34:35]
	s_waitcnt vmcnt(0)
	v_bfe_i32 v70, v3, 0, 16
	v_ashrrev_i32_e32 v71, 31, v70
	v_lshlrev_b64 v[70:71], 1, v[70:71]
	v_add_co_u32_e32 v3, vcc, s16, v70
	v_addc_co_u32_e32 v5, vcc, v5, v71, vcc
	v_add_co_u32_e32 v70, vcc, v3, v66
	v_addc_co_u32_e32 v71, vcc, v5, v67, vcc
	global_load_ushort v3, v[70:71], off
	v_mov_b32_e32 v5, s17
	v_lshlrev_b64 v[70:71], 1, v[32:33]
	s_waitcnt vmcnt(0)
	v_bfe_i32 v72, v3, 0, 16
	v_ashrrev_i32_e32 v73, 31, v72
	v_lshlrev_b64 v[72:73], 1, v[72:73]
	v_add_co_u32_e32 v3, vcc, s16, v72
	v_addc_co_u32_e32 v5, vcc, v5, v73, vcc
	v_add_co_u32_e32 v72, vcc, v3, v70
	v_addc_co_u32_e32 v73, vcc, v5, v71, vcc
	global_load_ushort v3, v[72:73], off
	v_mov_b32_e32 v5, s17
	v_lshlrev_b64 v[72:73], 1, v[30:31]
	s_waitcnt vmcnt(0)
	v_bfe_i32 v74, v3, 0, 16
	v_ashrrev_i32_e32 v75, 31, v74
	v_lshlrev_b64 v[74:75], 1, v[74:75]
	v_add_co_u32_e32 v3, vcc, s16, v74
	v_addc_co_u32_e32 v5, vcc, v5, v75, vcc
	v_add_co_u32_e32 v74, vcc, v3, v72
	v_addc_co_u32_e32 v75, vcc, v5, v73, vcc
	global_load_ushort v3, v[74:75], off
	v_mov_b32_e32 v5, s17
	v_lshlrev_b64 v[74:75], 1, v[28:29]
	s_waitcnt vmcnt(0)
	v_bfe_i32 v76, v3, 0, 16
	v_ashrrev_i32_e32 v77, 31, v76
	v_lshlrev_b64 v[76:77], 1, v[76:77]
	v_add_co_u32_e32 v3, vcc, s16, v76
	v_addc_co_u32_e32 v5, vcc, v5, v77, vcc
	v_add_co_u32_e32 v76, vcc, v3, v74
	v_addc_co_u32_e32 v77, vcc, v5, v75, vcc
	global_load_ushort v3, v[76:77], off
	v_mov_b32_e32 v5, s17
	v_lshlrev_b64 v[76:77], 1, v[26:27]
	s_waitcnt vmcnt(0)
	v_bfe_i32 v78, v3, 0, 16
	v_ashrrev_i32_e32 v79, 31, v78
	v_lshlrev_b64 v[78:79], 1, v[78:79]
	v_add_co_u32_e32 v3, vcc, s16, v78
	v_addc_co_u32_e32 v5, vcc, v5, v79, vcc
	v_add_co_u32_e32 v78, vcc, v3, v76
	v_addc_co_u32_e32 v79, vcc, v5, v77, vcc
	global_load_ushort v3, v[78:79], off
	v_mov_b32_e32 v5, s17
	v_lshlrev_b64 v[78:79], 1, v[24:25]
	s_waitcnt vmcnt(0)
	v_bfe_i32 v80, v3, 0, 16
	v_ashrrev_i32_e32 v81, 31, v80
	v_lshlrev_b64 v[80:81], 1, v[80:81]
	v_add_co_u32_e32 v3, vcc, s16, v80
	v_addc_co_u32_e32 v5, vcc, v5, v81, vcc
	v_add_co_u32_e32 v80, vcc, v3, v78
	v_addc_co_u32_e32 v81, vcc, v5, v79, vcc
	global_load_ushort v3, v[80:81], off
	v_mov_b32_e32 v5, s17
	v_lshlrev_b64 v[80:81], 1, v[22:23]
	s_waitcnt vmcnt(0)
	v_bfe_i32 v82, v3, 0, 16
	v_ashrrev_i32_e32 v83, 31, v82
	v_lshlrev_b64 v[82:83], 1, v[82:83]
	v_add_co_u32_e32 v3, vcc, s16, v82
	v_addc_co_u32_e32 v5, vcc, v5, v83, vcc
	v_add_co_u32_e32 v82, vcc, v3, v80
	v_addc_co_u32_e32 v83, vcc, v5, v81, vcc
	global_load_ushort v3, v[82:83], off
	v_mov_b32_e32 v5, s17
	v_lshlrev_b64 v[82:83], 1, v[20:21]
	s_waitcnt vmcnt(0)
	v_bfe_i32 v84, v3, 0, 16
	v_ashrrev_i32_e32 v85, 31, v84
	v_lshlrev_b64 v[84:85], 1, v[84:85]
	v_add_co_u32_e32 v3, vcc, s16, v84
	v_addc_co_u32_e32 v5, vcc, v5, v85, vcc
	v_add_co_u32_e32 v84, vcc, v3, v82
	v_addc_co_u32_e32 v85, vcc, v5, v83, vcc
	global_load_ushort v3, v[84:85], off
	v_mov_b32_e32 v5, s17
	v_lshlrev_b64 v[84:85], 1, v[18:19]
	v_mbcnt_hi_u32_b32 v19, -1, v110
	s_waitcnt vmcnt(0)
	v_bfe_i32 v86, v3, 0, 16
	v_ashrrev_i32_e32 v87, 31, v86
	v_lshlrev_b64 v[86:87], 1, v[86:87]
	v_add_co_u32_e32 v3, vcc, s16, v86
	v_addc_co_u32_e32 v5, vcc, v5, v87, vcc
	v_add_co_u32_e32 v86, vcc, v3, v84
	v_addc_co_u32_e32 v87, vcc, v5, v85, vcc
	global_load_ushort v3, v[86:87], off
	v_mov_b32_e32 v5, s17
	v_lshlrev_b64 v[86:87], 1, v[16:17]
	s_waitcnt vmcnt(0)
	v_bfe_i32 v88, v3, 0, 16
	v_ashrrev_i32_e32 v89, 31, v88
	v_lshlrev_b64 v[88:89], 1, v[88:89]
	v_add_co_u32_e32 v3, vcc, s16, v88
	v_addc_co_u32_e32 v5, vcc, v5, v89, vcc
	v_add_co_u32_e32 v88, vcc, v3, v86
	v_addc_co_u32_e32 v89, vcc, v5, v87, vcc
	global_load_ushort v3, v[88:89], off
	v_mov_b32_e32 v5, s17
	v_lshlrev_b64 v[88:89], 1, v[14:15]
	;; [unrolled: 11-line block ×6, first 2 shown]
	v_mov_b32_e32 v7, s17
	s_waitcnt vmcnt(0)
	v_bfe_i32 v98, v3, 0, 16
	v_ashrrev_i32_e32 v99, 31, v98
	v_lshlrev_b64 v[98:99], 1, v[98:99]
	v_add_co_u32_e32 v3, vcc, s16, v98
	v_addc_co_u32_e32 v5, vcc, v5, v99, vcc
	v_add_co_u32_e32 v98, vcc, v3, v96
	v_addc_co_u32_e32 v99, vcc, v5, v97, vcc
	global_load_ushort v3, v[98:99], off
	v_ashrrev_i32_e32 v5, 31, v4
	v_lshlrev_b64 v[98:99], 1, v[4:5]
	s_waitcnt vmcnt(0)
	v_bfe_i32 v100, v3, 0, 16
	v_ashrrev_i32_e32 v101, 31, v100
	v_lshlrev_b64 v[100:101], 1, v[100:101]
	v_add_co_u32_e32 v3, vcc, s16, v100
	v_addc_co_u32_e32 v5, vcc, v7, v101, vcc
	v_add_co_u32_e32 v100, vcc, v3, v98
	v_addc_co_u32_e32 v101, vcc, v5, v99, vcc
	global_load_ushort v3, v[100:101], off
	v_and_b32_e32 v5, 15, v19
	v_cmp_ne_u32_e32 vcc, 0, v5
	s_waitcnt vmcnt(0)
	v_and_b32_e32 v7, 0xffff, v3
	s_nop 1
	v_mov_b32_dpp v9, v7 row_shr:1 row_mask:0xf bank_mask:0xf
	s_and_saveexec_b64 s[0:1], vcc
	s_cbranch_execz .LBB6716_55
; %bb.54:
	v_lshlrev_b32_e32 v101, 16, v9
	v_mov_b32_e32 v100, 0
	v_ashrrev_i64 v[100:101], 47, v[100:101]
	v_mov_b32_e32 v7, s17
	v_add_co_u32_e32 v9, vcc, s16, v100
	v_bfe_i32 v100, v3, 0, 16
	v_addc_co_u32_e32 v7, vcc, v7, v101, vcc
	v_ashrrev_i32_e32 v101, 31, v100
	v_lshlrev_b64 v[100:101], 1, v[100:101]
	v_add_co_u32_e32 v100, vcc, v9, v100
	v_addc_co_u32_e32 v101, vcc, v7, v101, vcc
	global_load_ushort v3, v[100:101], off
	s_waitcnt vmcnt(0)
	v_and_b32_e32 v7, 0xffff, v3
.LBB6716_55:
	s_or_b64 exec, exec, s[0:1]
	s_nop 0
	v_mov_b32_dpp v9, v7 row_shr:2 row_mask:0xf bank_mask:0xf
	v_cmp_lt_u32_e32 vcc, 1, v5
	s_and_saveexec_b64 s[0:1], vcc
	s_cbranch_execz .LBB6716_57
; %bb.56:
	v_lshlrev_b32_e32 v101, 16, v9
	v_mov_b32_e32 v100, 0
	v_ashrrev_i64 v[100:101], 47, v[100:101]
	v_mov_b32_e32 v7, s17
	v_add_co_u32_e32 v9, vcc, s16, v100
	v_bfe_i32 v100, v3, 0, 16
	v_addc_co_u32_e32 v7, vcc, v7, v101, vcc
	v_ashrrev_i32_e32 v101, 31, v100
	v_lshlrev_b64 v[100:101], 1, v[100:101]
	v_add_co_u32_e32 v100, vcc, v9, v100
	v_addc_co_u32_e32 v101, vcc, v7, v101, vcc
	global_load_ushort v3, v[100:101], off
	s_waitcnt vmcnt(0)
	v_and_b32_e32 v7, 0xffff, v3
.LBB6716_57:
	s_or_b64 exec, exec, s[0:1]
	s_nop 0
	v_mov_b32_dpp v9, v7 row_shr:4 row_mask:0xf bank_mask:0xf
	v_cmp_lt_u32_e32 vcc, 3, v5
	;; [unrolled: 22-line block ×3, first 2 shown]
	s_and_saveexec_b64 s[0:1], vcc
	s_cbranch_execz .LBB6716_61
; %bb.60:
	v_lshlrev_b32_e32 v101, 16, v9
	v_mov_b32_e32 v100, 0
	v_ashrrev_i64 v[100:101], 47, v[100:101]
	v_mov_b32_e32 v5, s17
	v_add_co_u32_e32 v7, vcc, s16, v100
	v_bfe_i32 v100, v3, 0, 16
	v_addc_co_u32_e32 v5, vcc, v5, v101, vcc
	v_ashrrev_i32_e32 v101, 31, v100
	v_lshlrev_b64 v[100:101], 1, v[100:101]
	v_add_co_u32_e32 v100, vcc, v7, v100
	v_addc_co_u32_e32 v101, vcc, v5, v101, vcc
	global_load_ushort v3, v[100:101], off
	s_waitcnt vmcnt(0)
	v_and_b32_e32 v7, 0xffff, v3
.LBB6716_61:
	s_or_b64 exec, exec, s[0:1]
	v_and_b32_e32 v9, 16, v19
	v_mov_b32_dpp v5, v7 row_bcast:15 row_mask:0xf bank_mask:0xf
	v_cmp_ne_u32_e32 vcc, 0, v9
	s_and_saveexec_b64 s[0:1], vcc
	s_cbranch_execz .LBB6716_63
; %bb.62:
	v_lshlrev_b32_e32 v101, 16, v5
	v_mov_b32_e32 v100, 0
	v_ashrrev_i64 v[100:101], 47, v[100:101]
	v_mov_b32_e32 v5, s17
	v_add_co_u32_e32 v7, vcc, s16, v100
	v_bfe_i32 v100, v3, 0, 16
	v_addc_co_u32_e32 v5, vcc, v5, v101, vcc
	v_ashrrev_i32_e32 v101, 31, v100
	v_lshlrev_b64 v[100:101], 1, v[100:101]
	v_add_co_u32_e32 v100, vcc, v7, v100
	v_addc_co_u32_e32 v101, vcc, v5, v101, vcc
	global_load_ushort v3, v[100:101], off
	s_waitcnt vmcnt(0)
	v_and_b32_e32 v7, 0xffff, v3
.LBB6716_63:
	s_or_b64 exec, exec, s[0:1]
	s_nop 0
	v_mov_b32_dpp v5, v7 row_bcast:31 row_mask:0xf bank_mask:0xf
	v_cmp_lt_u32_e32 vcc, 31, v19
	s_and_saveexec_b64 s[0:1], vcc
	s_cbranch_execz .LBB6716_65
; %bb.64:
	v_lshlrev_b32_e32 v101, 16, v5
	v_mov_b32_e32 v100, 0
	v_ashrrev_i64 v[100:101], 47, v[100:101]
	v_mov_b32_e32 v5, s17
	v_add_co_u32_e32 v7, vcc, s16, v100
	v_bfe_i32 v100, v3, 0, 16
	v_addc_co_u32_e32 v5, vcc, v5, v101, vcc
	v_ashrrev_i32_e32 v101, 31, v100
	v_lshlrev_b64 v[100:101], 1, v[100:101]
	v_add_co_u32_e32 v100, vcc, v7, v100
	v_addc_co_u32_e32 v101, vcc, v5, v101, vcc
	global_load_ushort v3, v[100:101], off
.LBB6716_65:
	s_or_b64 exec, exec, s[0:1]
	v_cmp_eq_u32_e32 vcc, 63, v0
	s_and_saveexec_b64 s[0:1], vcc
	s_cbranch_execz .LBB6716_67
; %bb.66:
	v_mov_b32_e32 v5, 0
	s_waitcnt vmcnt(0)
	ds_write_b16 v5, v3
.LBB6716_67:
	s_or_b64 exec, exec, s[0:1]
	v_add_u32_e32 v5, -1, v19
	v_and_b32_e32 v7, 64, v19
	v_cmp_lt_i32_e32 vcc, v5, v7
	v_cndmask_b32_e32 v5, v5, v19, vcc
	s_waitcnt vmcnt(0)
	v_and_b32_e32 v3, 0xffff, v3
	v_lshlrev_b32_e32 v5, 2, v5
	ds_bpermute_b32 v3, v5, v3
	v_cmp_gt_u32_e32 vcc, 64, v0
	s_waitcnt lgkmcnt(0)
	; wave barrier
	s_waitcnt lgkmcnt(0)
	s_and_saveexec_b64 s[2:3], vcc
	s_cbranch_execz .LBB6716_117
; %bb.68:
	v_mov_b32_e32 v107, 0
	ds_read_u16 v100, v107
	s_mov_b32 s11, 0
	v_cmp_eq_u32_e64 s[0:1], 0, v19
	s_and_saveexec_b64 s[8:9], s[0:1]
	s_cbranch_execz .LBB6716_70
; %bb.69:
	s_add_i32 s10, s6, 64
	s_lshl_b64 s[10:11], s[10:11], 2
	s_add_u32 s10, s18, s10
	s_waitcnt lgkmcnt(0)
	v_or_b32_e32 v5, 0x10000, v100
	s_addc_u32 s11, s19, s11
	global_store_dword v107, v5, s[10:11]
.LBB6716_70:
	s_or_b64 exec, exec, s[8:9]
	v_xad_u32 v102, v19, -1, s6
	v_add_u32_e32 v106, 64, v102
	v_lshlrev_b64 v[104:105], 2, v[106:107]
	v_mov_b32_e32 v5, s19
	v_add_co_u32_e32 v104, vcc, s18, v104
	v_addc_co_u32_e32 v105, vcc, v5, v105, vcc
	global_load_dword v35, v[104:105], off glc
	s_waitcnt vmcnt(0)
	v_lshrrev_b32_e32 v9, 16, v35
	v_cmp_eq_u16_sdwa s[10:11], v9, v107 src0_sel:BYTE_0 src1_sel:DWORD
	s_and_saveexec_b64 s[8:9], s[10:11]
	s_cbranch_execz .LBB6716_76
; %bb.71:
	s_mov_b32 s7, 1
	s_mov_b64 s[10:11], 0
	v_mov_b32_e32 v5, 0
.LBB6716_72:                            ; =>This Loop Header: Depth=1
                                        ;     Child Loop BB6716_73 Depth 2
	s_max_u32 s24, s7, 1
.LBB6716_73:                            ;   Parent Loop BB6716_72 Depth=1
                                        ; =>  This Inner Loop Header: Depth=2
	s_add_i32 s24, s24, -1
	s_cmp_eq_u32 s24, 0
	s_sleep 1
	s_cbranch_scc0 .LBB6716_73
; %bb.74:                               ;   in Loop: Header=BB6716_72 Depth=1
	global_load_dword v35, v[104:105], off glc
	s_cmp_lt_u32 s7, 32
	s_cselect_b64 s[24:25], -1, 0
	s_cmp_lg_u64 s[24:25], 0
	s_addc_u32 s7, s7, 0
	s_waitcnt vmcnt(0)
	v_lshrrev_b32_e32 v9, 16, v35
	v_cmp_ne_u16_sdwa s[24:25], v9, v5 src0_sel:BYTE_0 src1_sel:DWORD
	s_or_b64 s[10:11], s[24:25], s[10:11]
	s_andn2_b64 exec, exec, s[10:11]
	s_cbranch_execnz .LBB6716_72
; %bb.75:
	s_or_b64 exec, exec, s[10:11]
.LBB6716_76:
	s_or_b64 exec, exec, s[8:9]
	v_mov_b32_e32 v5, 2
	v_cmp_eq_u16_sdwa s[8:9], v9, v5 src0_sel:BYTE_0 src1_sel:DWORD
	v_lshlrev_b64 v[104:105], v19, -1
	v_and_b32_e32 v5, s9, v105
	v_or_b32_e32 v5, 0x80000000, v5
	v_ffbl_b32_e32 v15, v5
	v_and_b32_e32 v5, 63, v19
	v_cmp_ne_u32_e32 vcc, 63, v5
	v_addc_co_u32_e32 v7, vcc, 0, v19, vcc
	v_and_b32_e32 v29, 0xffff, v35
	v_lshlrev_b32_e32 v7, 2, v7
	ds_bpermute_b32 v11, v7, v29
	v_and_b32_e32 v13, s8, v104
	v_add_u32_e32 v15, 32, v15
	v_ffbl_b32_e32 v13, v13
	v_min_u32_e32 v31, v13, v15
	v_cmp_lt_u32_e32 vcc, v5, v31
	s_and_saveexec_b64 s[8:9], vcc
	s_cbranch_execz .LBB6716_78
; %bb.77:
	s_waitcnt lgkmcnt(0)
	v_lshlrev_b32_e32 v107, 16, v11
	v_mov_b32_e32 v106, 0
	v_ashrrev_i64 v[106:107], 47, v[106:107]
	v_mov_b32_e32 v11, s17
	v_add_co_u32_e32 v13, vcc, s16, v106
	v_bfe_i32 v106, v35, 0, 16
	v_addc_co_u32_e32 v11, vcc, v11, v107, vcc
	v_ashrrev_i32_e32 v107, 31, v106
	v_lshlrev_b64 v[106:107], 1, v[106:107]
	v_add_co_u32_e32 v106, vcc, v13, v106
	v_addc_co_u32_e32 v107, vcc, v11, v107, vcc
	global_load_ushort v35, v[106:107], off
	s_waitcnt vmcnt(0)
	v_and_b32_e32 v29, 0xffff, v35
.LBB6716_78:
	s_or_b64 exec, exec, s[8:9]
	v_cmp_gt_u32_e32 vcc, 62, v5
	s_waitcnt lgkmcnt(0)
	v_cndmask_b32_e64 v11, 0, 1, vcc
	v_lshlrev_b32_e32 v11, 1, v11
	v_add_lshl_u32 v11, v11, v19, 2
	ds_bpermute_b32 v15, v11, v29
	v_add_u32_e32 v13, 2, v5
	v_cmp_le_u32_e32 vcc, v13, v31
	s_and_saveexec_b64 s[8:9], vcc
	s_cbranch_execz .LBB6716_80
; %bb.79:
	s_waitcnt lgkmcnt(0)
	v_lshlrev_b32_e32 v107, 16, v15
	v_mov_b32_e32 v106, 0
	v_ashrrev_i64 v[106:107], 47, v[106:107]
	v_mov_b32_e32 v15, s17
	v_add_co_u32_e32 v17, vcc, s16, v106
	v_bfe_i32 v106, v35, 0, 16
	v_addc_co_u32_e32 v15, vcc, v15, v107, vcc
	v_ashrrev_i32_e32 v107, 31, v106
	v_lshlrev_b64 v[106:107], 1, v[106:107]
	v_add_co_u32_e32 v106, vcc, v17, v106
	v_addc_co_u32_e32 v107, vcc, v15, v107, vcc
	global_load_ushort v35, v[106:107], off
	s_waitcnt vmcnt(0)
	v_and_b32_e32 v29, 0xffff, v35
.LBB6716_80:
	s_or_b64 exec, exec, s[8:9]
	v_cmp_gt_u32_e32 vcc, 60, v5
	s_waitcnt lgkmcnt(0)
	v_cndmask_b32_e64 v15, 0, 1, vcc
	v_lshlrev_b32_e32 v15, 2, v15
	v_add_lshl_u32 v15, v15, v19, 2
	ds_bpermute_b32 v21, v15, v29
	v_add_u32_e32 v17, 4, v5
	v_cmp_le_u32_e32 vcc, v17, v31
	;; [unrolled: 28-line block ×5, first 2 shown]
	s_mov_b64 s[8:9], -1
                                        ; implicit-def: $vgpr106_vgpr107
	s_and_saveexec_b64 s[10:11], vcc
	s_cbranch_execz .LBB6716_88
; %bb.87:
	s_waitcnt lgkmcnt(0)
	v_lshlrev_b32_e32 v107, 16, v33
	v_mov_b32_e32 v106, 0
	v_ashrrev_i64 v[106:107], 47, v[106:107]
	v_mov_b32_e32 v31, s17
	v_add_co_u32_e32 v33, vcc, s16, v106
	v_bfe_i32 v106, v35, 0, 16
	v_addc_co_u32_e32 v31, vcc, v31, v107, vcc
	v_ashrrev_i32_e32 v107, 31, v106
	v_lshlrev_b64 v[106:107], 1, v[106:107]
	v_add_co_u32_e32 v106, vcc, v33, v106
	v_addc_co_u32_e32 v107, vcc, v31, v107, vcc
	s_xor_b64 s[8:9], exec, -1
                                        ; implicit-def: $vgpr35
.LBB6716_88:
	s_or_b64 exec, exec, s[10:11]
	s_mov_b64 s[10:11], 0
	v_mov_b32_e32 v103, 0
	s_waitcnt lgkmcnt(0)
	v_mov_b32_e32 v33, 2
                                        ; implicit-def: $sgpr24_sgpr25
	s_branch .LBB6716_90
.LBB6716_89:                            ;   in Loop: Header=BB6716_90 Depth=1
	s_or_b64 exec, exec, s[8:9]
	s_waitcnt vmcnt(0)
	v_bfe_i32 v106, v35, 0, 16
	v_ashrrev_i32_e32 v107, 31, v106
	v_bfe_i32 v112, v31, 0, 16
	v_lshlrev_b64 v[106:107], 1, v[106:107]
	v_ashrrev_i32_e32 v113, 31, v112
	v_mov_b32_e32 v35, s17
	v_add_co_u32_e32 v37, vcc, s16, v106
	v_addc_co_u32_e32 v35, vcc, v35, v107, vcc
	v_lshlrev_b64 v[106:107], 1, v[112:113]
	v_add_co_u32_e32 v106, vcc, v37, v106
	v_subrev_u32_e32 v102, 64, v102
	v_addc_co_u32_e32 v107, vcc, v35, v107, vcc
	s_mov_b64 s[8:9], 0
	s_mov_b64 s[10:11], 0
                                        ; implicit-def: $sgpr24_sgpr25
                                        ; implicit-def: $vgpr35
.LBB6716_90:                            ; =>This Loop Header: Depth=1
                                        ;     Child Loop BB6716_96 Depth 2
                                        ;       Child Loop BB6716_97 Depth 3
	s_waitcnt vmcnt(0)
	v_mov_b32_e32 v31, v35
	s_xor_b64 s[28:29], s[8:9], -1
	s_or_b64 s[24:25], s[24:25], exec
                                        ; implicit-def: $sgpr26_sgpr27
                                        ; implicit-def: $vgpr35
	s_and_saveexec_b64 s[34:35], s[28:29]
	s_xor_b64 s[28:29], exec, s[34:35]
	s_cbranch_execz .LBB6716_92
; %bb.91:                               ;   in Loop: Header=BB6716_90 Depth=1
	global_load_ushort v35, v[106:107], off
	s_mov_b64 s[26:27], -1
	s_andn2_b64 s[24:25], s[24:25], exec
                                        ; implicit-def: $sgpr8_sgpr9
.LBB6716_92:                            ;   in Loop: Header=BB6716_90 Depth=1
	s_or_b64 exec, exec, s[28:29]
	s_and_b64 s[28:29], exec, s[24:25]
	s_or_b64 s[10:11], s[28:29], s[10:11]
	s_andn2_b64 s[8:9], s[8:9], exec
	s_and_b64 s[26:27], s[26:27], exec
	s_or_b64 s[8:9], s[8:9], s[26:27]
	s_andn2_b64 exec, exec, s[10:11]
	s_cbranch_execnz .LBB6716_90
; %bb.93:                               ;   in Loop: Header=BB6716_90 Depth=1
	s_or_b64 exec, exec, s[10:11]
	v_cmp_ne_u16_sdwa s[8:9], v9, v33 src0_sel:BYTE_0 src1_sel:DWORD
	v_cndmask_b32_e64 v9, 0, 1, s[8:9]
	;;#ASMSTART
	;;#ASMEND
	v_cmp_ne_u32_e32 vcc, 0, v9
	s_cmp_lg_u64 vcc, exec
	s_cbranch_scc1 .LBB6716_112
; %bb.94:                               ;   in Loop: Header=BB6716_90 Depth=1
	v_lshlrev_b64 v[106:107], 2, v[102:103]
	v_mov_b32_e32 v9, s19
	v_add_co_u32_e32 v106, vcc, s18, v106
	v_addc_co_u32_e32 v107, vcc, v9, v107, vcc
	global_load_dword v35, v[106:107], off glc
	s_waitcnt vmcnt(0)
	v_lshrrev_b32_e32 v9, 16, v35
	v_cmp_eq_u16_sdwa s[10:11], v9, v103 src0_sel:BYTE_0 src1_sel:DWORD
	s_and_saveexec_b64 s[8:9], s[10:11]
	s_cbranch_execz .LBB6716_100
; %bb.95:                               ;   in Loop: Header=BB6716_90 Depth=1
	s_mov_b32 s7, 1
	s_mov_b64 s[10:11], 0
.LBB6716_96:                            ;   Parent Loop BB6716_90 Depth=1
                                        ; =>  This Loop Header: Depth=2
                                        ;       Child Loop BB6716_97 Depth 3
	s_max_u32 s24, s7, 1
.LBB6716_97:                            ;   Parent Loop BB6716_90 Depth=1
                                        ;     Parent Loop BB6716_96 Depth=2
                                        ; =>    This Inner Loop Header: Depth=3
	s_add_i32 s24, s24, -1
	s_cmp_eq_u32 s24, 0
	s_sleep 1
	s_cbranch_scc0 .LBB6716_97
; %bb.98:                               ;   in Loop: Header=BB6716_96 Depth=2
	global_load_dword v35, v[106:107], off glc
	s_cmp_lt_u32 s7, 32
	s_cselect_b64 s[24:25], -1, 0
	s_cmp_lg_u64 s[24:25], 0
	s_addc_u32 s7, s7, 0
	s_waitcnt vmcnt(0)
	v_lshrrev_b32_e32 v9, 16, v35
	v_cmp_ne_u16_sdwa s[24:25], v9, v103 src0_sel:BYTE_0 src1_sel:DWORD
	s_or_b64 s[10:11], s[24:25], s[10:11]
	s_andn2_b64 exec, exec, s[10:11]
	s_cbranch_execnz .LBB6716_96
; %bb.99:                               ;   in Loop: Header=BB6716_90 Depth=1
	s_or_b64 exec, exec, s[10:11]
.LBB6716_100:                           ;   in Loop: Header=BB6716_90 Depth=1
	s_or_b64 exec, exec, s[8:9]
	v_cmp_eq_u16_sdwa s[8:9], v9, v33 src0_sel:BYTE_0 src1_sel:DWORD
	v_and_b32_e32 v37, s9, v105
	s_waitcnt lgkmcnt(0)
	v_and_b32_e32 v39, 0xffff, v35
	v_or_b32_e32 v37, 0x80000000, v37
	ds_bpermute_b32 v41, v7, v39
	v_and_b32_e32 v43, s8, v104
	v_ffbl_b32_e32 v37, v37
	v_add_u32_e32 v37, 32, v37
	v_ffbl_b32_e32 v43, v43
	v_min_u32_e32 v37, v43, v37
	v_cmp_lt_u32_e32 vcc, v5, v37
	s_and_saveexec_b64 s[8:9], vcc
	s_cbranch_execz .LBB6716_102
; %bb.101:                              ;   in Loop: Header=BB6716_90 Depth=1
	s_waitcnt lgkmcnt(0)
	v_lshlrev_b32_e32 v107, 16, v41
	v_mov_b32_e32 v106, v103
	v_ashrrev_i64 v[106:107], 47, v[106:107]
	v_mov_b32_e32 v39, s17
	v_add_co_u32_e32 v41, vcc, s16, v106
	v_bfe_i32 v106, v35, 0, 16
	v_addc_co_u32_e32 v39, vcc, v39, v107, vcc
	v_ashrrev_i32_e32 v107, 31, v106
	v_lshlrev_b64 v[106:107], 1, v[106:107]
	v_add_co_u32_e32 v106, vcc, v41, v106
	v_addc_co_u32_e32 v107, vcc, v39, v107, vcc
	global_load_ushort v35, v[106:107], off
	s_waitcnt vmcnt(0)
	v_and_b32_e32 v39, 0xffff, v35
.LBB6716_102:                           ;   in Loop: Header=BB6716_90 Depth=1
	s_or_b64 exec, exec, s[8:9]
	s_waitcnt lgkmcnt(0)
	ds_bpermute_b32 v41, v11, v39
	v_cmp_le_u32_e32 vcc, v13, v37
	s_and_saveexec_b64 s[8:9], vcc
	s_cbranch_execz .LBB6716_104
; %bb.103:                              ;   in Loop: Header=BB6716_90 Depth=1
	s_waitcnt lgkmcnt(0)
	v_lshlrev_b32_e32 v107, 16, v41
	v_mov_b32_e32 v106, v103
	v_ashrrev_i64 v[106:107], 47, v[106:107]
	v_mov_b32_e32 v39, s17
	v_add_co_u32_e32 v41, vcc, s16, v106
	v_bfe_i32 v106, v35, 0, 16
	v_addc_co_u32_e32 v39, vcc, v39, v107, vcc
	v_ashrrev_i32_e32 v107, 31, v106
	v_lshlrev_b64 v[106:107], 1, v[106:107]
	v_add_co_u32_e32 v106, vcc, v41, v106
	v_addc_co_u32_e32 v107, vcc, v39, v107, vcc
	global_load_ushort v35, v[106:107], off
	s_waitcnt vmcnt(0)
	v_and_b32_e32 v39, 0xffff, v35
.LBB6716_104:                           ;   in Loop: Header=BB6716_90 Depth=1
	s_or_b64 exec, exec, s[8:9]
	s_waitcnt lgkmcnt(0)
	ds_bpermute_b32 v41, v15, v39
	v_cmp_le_u32_e32 vcc, v17, v37
	;; [unrolled: 23-line block ×4, first 2 shown]
	s_and_saveexec_b64 s[8:9], vcc
	s_cbranch_execz .LBB6716_110
; %bb.109:                              ;   in Loop: Header=BB6716_90 Depth=1
	s_waitcnt lgkmcnt(0)
	v_lshlrev_b32_e32 v107, 16, v41
	v_mov_b32_e32 v106, v103
	v_ashrrev_i64 v[106:107], 47, v[106:107]
	v_mov_b32_e32 v39, s17
	v_add_co_u32_e32 v41, vcc, s16, v106
	v_bfe_i32 v106, v35, 0, 16
	v_addc_co_u32_e32 v39, vcc, v39, v107, vcc
	v_ashrrev_i32_e32 v107, 31, v106
	v_lshlrev_b64 v[106:107], 1, v[106:107]
	v_add_co_u32_e32 v106, vcc, v41, v106
	v_addc_co_u32_e32 v107, vcc, v39, v107, vcc
	global_load_ushort v35, v[106:107], off
	s_waitcnt vmcnt(0)
	v_and_b32_e32 v39, 0xffff, v35
.LBB6716_110:                           ;   in Loop: Header=BB6716_90 Depth=1
	s_or_b64 exec, exec, s[8:9]
	ds_bpermute_b32 v39, v19, v39
	v_cmp_le_u32_e32 vcc, v29, v37
	s_and_saveexec_b64 s[8:9], vcc
	s_cbranch_execz .LBB6716_89
; %bb.111:                              ;   in Loop: Header=BB6716_90 Depth=1
	s_waitcnt lgkmcnt(0)
	v_lshlrev_b32_e32 v107, 16, v39
	v_mov_b32_e32 v106, v103
	v_ashrrev_i64 v[106:107], 47, v[106:107]
	v_mov_b32_e32 v37, s17
	v_add_co_u32_e32 v39, vcc, s16, v106
	v_bfe_i32 v106, v35, 0, 16
	v_addc_co_u32_e32 v37, vcc, v37, v107, vcc
	v_ashrrev_i32_e32 v107, 31, v106
	v_lshlrev_b64 v[106:107], 1, v[106:107]
	v_add_co_u32_e32 v106, vcc, v39, v106
	v_addc_co_u32_e32 v107, vcc, v37, v107, vcc
	global_load_ushort v35, v[106:107], off
	s_branch .LBB6716_89
.LBB6716_112:                           ;   in Loop: Header=BB6716_90 Depth=1
	s_mov_b64 s[8:9], -1
                                        ; implicit-def: $vgpr106_vgpr107
                                        ; implicit-def: $vgpr9
	s_mov_b64 s[10:11], 0
                                        ; implicit-def: $sgpr24_sgpr25
                                        ; implicit-def: $vgpr35
	s_cbranch_execz .LBB6716_90
; %bb.113:
	s_and_saveexec_b64 s[8:9], s[0:1]
	s_cbranch_execz .LBB6716_115
; %bb.114:
	v_bfe_i32 v100, v100, 0, 16
	v_ashrrev_i32_e32 v101, 31, v100
	v_bfe_i32 v102, v31, 0, 16
	v_lshlrev_b64 v[100:101], 1, v[100:101]
	v_ashrrev_i32_e32 v103, 31, v102
	v_mov_b32_e32 v5, s17
	v_add_co_u32_e32 v7, vcc, s16, v100
	v_lshlrev_b64 v[102:103], 1, v[102:103]
	v_addc_co_u32_e32 v5, vcc, v101, v5, vcc
	v_add_co_u32_e32 v100, vcc, v7, v102
	v_addc_co_u32_e32 v101, vcc, v5, v103, vcc
	global_load_ushort v5, v[100:101], off
	s_add_i32 s0, s6, 64
	s_mov_b32 s1, 0
	s_lshl_b64 s[0:1], s[0:1], 2
	s_add_u32 s0, s18, s0
	s_addc_u32 s1, s19, s1
	v_mov_b32_e32 v7, 0
	s_waitcnt vmcnt(0)
	v_or_b32_e32 v5, 0x20000, v5
	global_store_dword v7, v5, s[0:1]
.LBB6716_115:
	s_or_b64 exec, exec, s[8:9]
	v_cmp_eq_u32_e32 vcc, 0, v0
	s_and_b64 exec, exec, vcc
	s_cbranch_execz .LBB6716_117
; %bb.116:
	v_mov_b32_e32 v5, 0
	ds_write_b16 v5, v31
.LBB6716_117:
	s_or_b64 exec, exec, s[2:3]
	v_mov_b32_e32 v100, 0
	s_waitcnt lgkmcnt(0)
	; wave barrier
	s_waitcnt lgkmcnt(0)
	ds_read_u16 v5, v100
	v_cmp_ne_u32_e32 vcc, 0, v0
	s_waitcnt lgkmcnt(0)
	v_readfirstlane_b32 s2, v5
	s_and_saveexec_b64 s[0:1], vcc
	s_cbranch_execz .LBB6716_119
; %bb.118:
	v_lshlrev_b32_e32 v101, 16, v3
	v_ashrrev_i64 v[62:63], 47, v[100:101]
	v_mov_b32_e32 v3, s17
	v_add_co_u32_e32 v5, vcc, s16, v62
	v_addc_co_u32_e32 v3, vcc, v3, v63, vcc
	v_add_co_u32_e32 v62, vcc, v5, v68
	v_addc_co_u32_e32 v63, vcc, v3, v69, vcc
	global_load_ushort v3, v[62:63], off
	s_waitcnt vmcnt(0)
	v_bfe_i32 v62, v3, 0, 16
	v_ashrrev_i32_e32 v63, 31, v62
.LBB6716_119:
	s_or_b64 exec, exec, s[0:1]
	s_sext_i32_i16 s0, s2
	s_ashr_i32 s1, s0, 31
	s_lshl_b64 s[0:1], s[0:1], 1
	s_add_u32 s0, s16, s0
	s_addc_u32 s1, s17, s1
	v_lshlrev_b64 v[62:63], 1, v[62:63]
	v_mov_b32_e32 v3, s1
	v_add_co_u32_e32 v62, vcc, s0, v62
	v_addc_co_u32_e32 v63, vcc, v3, v63, vcc
	global_load_ushort v62, v[62:63], off
	v_mov_b32_e32 v3, s17
	s_waitcnt vmcnt(0)
	v_bfe_i32 v68, v62, 0, 16
	v_ashrrev_i32_e32 v69, 31, v68
	v_lshlrev_b64 v[68:69], 1, v[68:69]
	v_add_co_u32_e32 v5, vcc, s16, v68
	v_addc_co_u32_e32 v3, vcc, v3, v69, vcc
	v_add_co_u32_e32 v50, vcc, v5, v50
	v_addc_co_u32_e32 v51, vcc, v3, v51, vcc
	global_load_ushort v3, v[50:51], off
	v_mov_b32_e32 v5, s17
	s_waitcnt vmcnt(0)
	v_bfe_i32 v50, v3, 0, 16
	v_ashrrev_i32_e32 v51, 31, v50
	v_lshlrev_b64 v[50:51], 1, v[50:51]
	v_add_co_u32_e32 v7, vcc, s16, v50
	v_addc_co_u32_e32 v5, vcc, v5, v51, vcc
	v_add_co_u32_e32 v50, vcc, v7, v52
	v_addc_co_u32_e32 v51, vcc, v5, v53, vcc
	global_load_ushort v47, v[50:51], off
	v_mov_b32_e32 v5, s17
	s_waitcnt vmcnt(0)
	v_bfe_i32 v50, v47, 0, 16
	v_ashrrev_i32_e32 v51, 31, v50
	v_lshlrev_b64 v[50:51], 1, v[50:51]
	v_add_co_u32_e32 v7, vcc, s16, v50
	v_addc_co_u32_e32 v5, vcc, v5, v51, vcc
	v_add_co_u32_e32 v50, vcc, v7, v54
	v_addc_co_u32_e32 v51, vcc, v5, v55, vcc
	global_load_ushort v45, v[50:51], off
	v_mov_b32_e32 v5, s17
	s_waitcnt vmcnt(0)
	v_bfe_i32 v50, v45, 0, 16
	v_ashrrev_i32_e32 v51, 31, v50
	v_lshlrev_b64 v[50:51], 1, v[50:51]
	v_add_co_u32_e32 v7, vcc, s16, v50
	v_addc_co_u32_e32 v5, vcc, v5, v51, vcc
	v_add_co_u32_e32 v50, vcc, v7, v56
	v_addc_co_u32_e32 v51, vcc, v5, v57, vcc
	global_load_ushort v43, v[50:51], off
	v_mov_b32_e32 v5, s17
	s_waitcnt vmcnt(0)
	v_bfe_i32 v50, v43, 0, 16
	v_ashrrev_i32_e32 v51, 31, v50
	v_lshlrev_b64 v[50:51], 1, v[50:51]
	v_add_co_u32_e32 v7, vcc, s16, v50
	v_addc_co_u32_e32 v5, vcc, v5, v51, vcc
	v_add_co_u32_e32 v50, vcc, v7, v58
	v_addc_co_u32_e32 v51, vcc, v5, v59, vcc
	global_load_ushort v41, v[50:51], off
	v_mov_b32_e32 v5, s17
	s_waitcnt vmcnt(0)
	v_bfe_i32 v50, v41, 0, 16
	v_ashrrev_i32_e32 v51, 31, v50
	v_lshlrev_b64 v[50:51], 1, v[50:51]
	v_add_co_u32_e32 v7, vcc, s16, v50
	v_addc_co_u32_e32 v5, vcc, v5, v51, vcc
	v_add_co_u32_e32 v50, vcc, v7, v60
	v_addc_co_u32_e32 v51, vcc, v5, v61, vcc
	global_load_ushort v39, v[50:51], off
	v_mov_b32_e32 v5, s17
	s_waitcnt vmcnt(0)
	v_bfe_i32 v50, v39, 0, 16
	v_ashrrev_i32_e32 v51, 31, v50
	v_lshlrev_b64 v[50:51], 1, v[50:51]
	v_add_co_u32_e32 v7, vcc, s16, v50
	v_addc_co_u32_e32 v5, vcc, v5, v51, vcc
	v_add_co_u32_e32 v50, vcc, v7, v64
	v_addc_co_u32_e32 v51, vcc, v5, v65, vcc
	global_load_ushort v37, v[50:51], off
	v_mov_b32_e32 v5, s17
	s_waitcnt vmcnt(0)
	v_bfe_i32 v50, v37, 0, 16
	v_ashrrev_i32_e32 v51, 31, v50
	v_lshlrev_b64 v[50:51], 1, v[50:51]
	v_add_co_u32_e32 v7, vcc, s16, v50
	v_addc_co_u32_e32 v5, vcc, v5, v51, vcc
	v_add_co_u32_e32 v50, vcc, v7, v66
	v_addc_co_u32_e32 v51, vcc, v5, v67, vcc
	global_load_ushort v35, v[50:51], off
	v_mov_b32_e32 v5, s17
	s_waitcnt vmcnt(0)
	v_bfe_i32 v50, v35, 0, 16
	v_ashrrev_i32_e32 v51, 31, v50
	v_lshlrev_b64 v[50:51], 1, v[50:51]
	v_add_co_u32_e32 v7, vcc, s16, v50
	v_addc_co_u32_e32 v5, vcc, v5, v51, vcc
	v_add_co_u32_e32 v50, vcc, v7, v70
	v_addc_co_u32_e32 v51, vcc, v5, v71, vcc
	global_load_ushort v33, v[50:51], off
	v_mov_b32_e32 v5, s17
	s_waitcnt vmcnt(0)
	v_bfe_i32 v50, v33, 0, 16
	v_ashrrev_i32_e32 v51, 31, v50
	v_lshlrev_b64 v[50:51], 1, v[50:51]
	v_add_co_u32_e32 v7, vcc, s16, v50
	v_addc_co_u32_e32 v5, vcc, v5, v51, vcc
	v_add_co_u32_e32 v50, vcc, v7, v72
	v_addc_co_u32_e32 v51, vcc, v5, v73, vcc
	global_load_ushort v31, v[50:51], off
	v_mov_b32_e32 v5, s17
	s_waitcnt vmcnt(0)
	v_bfe_i32 v50, v31, 0, 16
	v_ashrrev_i32_e32 v51, 31, v50
	v_lshlrev_b64 v[50:51], 1, v[50:51]
	v_add_co_u32_e32 v7, vcc, s16, v50
	v_addc_co_u32_e32 v5, vcc, v5, v51, vcc
	v_add_co_u32_e32 v50, vcc, v7, v74
	v_addc_co_u32_e32 v51, vcc, v5, v75, vcc
	global_load_ushort v29, v[50:51], off
	v_mov_b32_e32 v5, s17
	s_waitcnt vmcnt(0)
	v_bfe_i32 v50, v29, 0, 16
	v_ashrrev_i32_e32 v51, 31, v50
	v_lshlrev_b64 v[50:51], 1, v[50:51]
	v_add_co_u32_e32 v7, vcc, s16, v50
	v_addc_co_u32_e32 v5, vcc, v5, v51, vcc
	v_add_co_u32_e32 v50, vcc, v7, v76
	v_addc_co_u32_e32 v51, vcc, v5, v77, vcc
	global_load_ushort v27, v[50:51], off
	v_mov_b32_e32 v5, s17
	s_waitcnt vmcnt(0)
	v_bfe_i32 v50, v27, 0, 16
	v_ashrrev_i32_e32 v51, 31, v50
	v_lshlrev_b64 v[50:51], 1, v[50:51]
	v_add_co_u32_e32 v7, vcc, s16, v50
	v_addc_co_u32_e32 v5, vcc, v5, v51, vcc
	v_add_co_u32_e32 v50, vcc, v7, v78
	v_addc_co_u32_e32 v51, vcc, v5, v79, vcc
	global_load_ushort v25, v[50:51], off
	v_mov_b32_e32 v5, s17
	s_waitcnt vmcnt(0)
	v_bfe_i32 v50, v25, 0, 16
	v_ashrrev_i32_e32 v51, 31, v50
	v_lshlrev_b64 v[50:51], 1, v[50:51]
	v_add_co_u32_e32 v7, vcc, s16, v50
	v_addc_co_u32_e32 v5, vcc, v5, v51, vcc
	v_add_co_u32_e32 v50, vcc, v7, v80
	v_addc_co_u32_e32 v51, vcc, v5, v81, vcc
	global_load_ushort v23, v[50:51], off
	v_mov_b32_e32 v5, s17
	s_waitcnt vmcnt(0)
	v_bfe_i32 v50, v23, 0, 16
	v_ashrrev_i32_e32 v51, 31, v50
	v_lshlrev_b64 v[50:51], 1, v[50:51]
	v_add_co_u32_e32 v7, vcc, s16, v50
	v_addc_co_u32_e32 v5, vcc, v5, v51, vcc
	v_add_co_u32_e32 v50, vcc, v7, v82
	v_addc_co_u32_e32 v51, vcc, v5, v83, vcc
	global_load_ushort v21, v[50:51], off
	v_mov_b32_e32 v5, s17
	s_waitcnt vmcnt(0)
	v_bfe_i32 v50, v21, 0, 16
	v_ashrrev_i32_e32 v51, 31, v50
	v_lshlrev_b64 v[50:51], 1, v[50:51]
	v_add_co_u32_e32 v7, vcc, s16, v50
	v_addc_co_u32_e32 v5, vcc, v5, v51, vcc
	v_add_co_u32_e32 v50, vcc, v7, v84
	v_addc_co_u32_e32 v51, vcc, v5, v85, vcc
	global_load_ushort v19, v[50:51], off
	v_mov_b32_e32 v5, s17
	s_waitcnt vmcnt(0)
	v_bfe_i32 v50, v19, 0, 16
	v_ashrrev_i32_e32 v51, 31, v50
	v_lshlrev_b64 v[50:51], 1, v[50:51]
	v_add_co_u32_e32 v7, vcc, s16, v50
	v_addc_co_u32_e32 v5, vcc, v5, v51, vcc
	v_add_co_u32_e32 v50, vcc, v7, v86
	v_addc_co_u32_e32 v51, vcc, v5, v87, vcc
	global_load_ushort v17, v[50:51], off
	v_mov_b32_e32 v5, s17
	s_waitcnt vmcnt(0)
	v_bfe_i32 v50, v17, 0, 16
	v_ashrrev_i32_e32 v51, 31, v50
	v_lshlrev_b64 v[50:51], 1, v[50:51]
	v_add_co_u32_e32 v7, vcc, s16, v50
	v_addc_co_u32_e32 v5, vcc, v5, v51, vcc
	v_add_co_u32_e32 v50, vcc, v7, v88
	v_addc_co_u32_e32 v51, vcc, v5, v89, vcc
	global_load_ushort v15, v[50:51], off
	v_mov_b32_e32 v5, s17
	s_waitcnt vmcnt(0)
	v_bfe_i32 v50, v15, 0, 16
	v_ashrrev_i32_e32 v51, 31, v50
	v_lshlrev_b64 v[50:51], 1, v[50:51]
	v_add_co_u32_e32 v7, vcc, s16, v50
	v_addc_co_u32_e32 v5, vcc, v5, v51, vcc
	v_add_co_u32_e32 v50, vcc, v7, v90
	v_addc_co_u32_e32 v51, vcc, v5, v91, vcc
	global_load_ushort v13, v[50:51], off
	v_mov_b32_e32 v5, s17
	s_waitcnt vmcnt(0)
	v_bfe_i32 v50, v13, 0, 16
	v_ashrrev_i32_e32 v51, 31, v50
	v_lshlrev_b64 v[50:51], 1, v[50:51]
	v_add_co_u32_e32 v7, vcc, s16, v50
	v_addc_co_u32_e32 v5, vcc, v5, v51, vcc
	v_add_co_u32_e32 v50, vcc, v7, v92
	v_addc_co_u32_e32 v51, vcc, v5, v93, vcc
	global_load_ushort v11, v[50:51], off
	v_mov_b32_e32 v5, s17
	s_waitcnt vmcnt(0)
	v_bfe_i32 v50, v11, 0, 16
	v_ashrrev_i32_e32 v51, 31, v50
	v_lshlrev_b64 v[50:51], 1, v[50:51]
	v_add_co_u32_e32 v7, vcc, s16, v50
	v_addc_co_u32_e32 v5, vcc, v5, v51, vcc
	v_add_co_u32_e32 v50, vcc, v7, v94
	v_addc_co_u32_e32 v51, vcc, v5, v95, vcc
	global_load_ushort v9, v[50:51], off
	v_mov_b32_e32 v5, s17
	s_waitcnt vmcnt(0)
	v_bfe_i32 v50, v9, 0, 16
	v_ashrrev_i32_e32 v51, 31, v50
	v_lshlrev_b64 v[50:51], 1, v[50:51]
	v_add_co_u32_e32 v7, vcc, s16, v50
	v_addc_co_u32_e32 v5, vcc, v5, v51, vcc
	v_add_co_u32_e32 v50, vcc, v7, v96
	v_addc_co_u32_e32 v51, vcc, v5, v97, vcc
	global_load_ushort v7, v[50:51], off
	v_mov_b32_e32 v5, s17
	s_waitcnt vmcnt(0)
	v_bfe_i32 v50, v7, 0, 16
	v_ashrrev_i32_e32 v51, 31, v50
	v_lshlrev_b64 v[50:51], 1, v[50:51]
	v_add_co_u32_e32 v49, vcc, s16, v50
	v_addc_co_u32_e32 v5, vcc, v5, v51, vcc
	v_add_co_u32_e32 v50, vcc, v49, v98
	v_addc_co_u32_e32 v51, vcc, v5, v99, vcc
	global_load_ushort v5, v[50:51], off
	s_load_dwordx8 s[4:11], s[4:5], 0x40
	s_branch .LBB6716_142
.LBB6716_120:
                                        ; implicit-def: $vgpr62
                                        ; implicit-def: $vgpr3
                                        ; implicit-def: $vgpr47
                                        ; implicit-def: $vgpr45
                                        ; implicit-def: $vgpr43
                                        ; implicit-def: $vgpr41
                                        ; implicit-def: $vgpr39
                                        ; implicit-def: $vgpr37
                                        ; implicit-def: $vgpr35
                                        ; implicit-def: $vgpr33
                                        ; implicit-def: $vgpr31
                                        ; implicit-def: $vgpr29
                                        ; implicit-def: $vgpr27
                                        ; implicit-def: $vgpr25
                                        ; implicit-def: $vgpr23
                                        ; implicit-def: $vgpr21
                                        ; implicit-def: $vgpr19
                                        ; implicit-def: $vgpr17
                                        ; implicit-def: $vgpr15
                                        ; implicit-def: $vgpr13
                                        ; implicit-def: $vgpr11
                                        ; implicit-def: $vgpr9
                                        ; implicit-def: $vgpr7
                                        ; implicit-def: $vgpr5
	s_load_dwordx8 s[4:11], s[4:5], 0x40
	s_cbranch_execz .LBB6716_142
; %bb.121:
	s_waitcnt lgkmcnt(0)
	s_cmp_lg_u64 s[8:9], 0
	s_cselect_b64 s[2:3], -1, 0
	v_cmp_eq_u32_e64 s[0:1], 0, v0
	v_cmp_ne_u32_e32 vcc, 0, v0
	s_and_b64 s[0:1], s[0:1], s[2:3]
	v_mov_b32_e32 v62, v2
	s_and_saveexec_b64 s[2:3], s[0:1]
	s_cbranch_execz .LBB6716_123
; %bb.122:
	v_mov_b32_e32 v3, 0
	global_load_ushort v5, v3, s[4:5]
	v_bfe_i32 v2, v2, 0, 16
	v_ashrrev_i32_e32 v3, 31, v2
	v_lshlrev_b64 v[2:3], 1, v[2:3]
	s_waitcnt vmcnt(0)
	v_readfirstlane_b32 s0, v5
	s_sext_i32_i16 s0, s0
	s_ashr_i32 s1, s0, 31
	s_lshl_b64 s[0:1], s[0:1], 1
	s_add_u32 s0, s16, s0
	s_addc_u32 s1, s17, s1
	v_mov_b32_e32 v5, s1
	v_add_co_u32_e64 v2, s[0:1], s0, v2
	v_addc_co_u32_e64 v3, s[0:1], v5, v3, s[0:1]
	global_load_ushort v62, v[2:3], off
.LBB6716_123:
	s_or_b64 exec, exec, s[2:3]
	s_waitcnt vmcnt(0)
	v_bfe_i32 v50, v62, 0, 16
	v_ashrrev_i32_e32 v51, 31, v50
	v_lshlrev_b64 v[52:53], 1, v[50:51]
	v_ashrrev_i32_e32 v49, 31, v48
	v_mov_b32_e32 v2, s17
	v_add_co_u32_e64 v5, s[0:1], s16, v52
	v_addc_co_u32_e64 v7, s[0:1], v2, v53, s[0:1]
	v_lshlrev_b64 v[2:3], 1, v[48:49]
	v_add_co_u32_e64 v48, s[0:1], v5, v2
	v_addc_co_u32_e64 v49, s[0:1], v7, v3, s[0:1]
	global_load_ushort v5, v[48:49], off
	v_ashrrev_i32_e32 v47, 31, v46
	v_mov_b32_e32 v7, s17
	v_lshlrev_b64 v[46:47], 1, v[46:47]
	v_ashrrev_i32_e32 v45, 31, v44
	v_lshlrev_b64 v[44:45], 1, v[44:45]
	v_ashrrev_i32_e32 v43, 31, v42
	;; [unrolled: 2-line block ×19, first 2 shown]
	v_lshlrev_b64 v[8:9], 1, v[8:9]
	v_mov_b32_e32 v54, s17
	s_waitcnt vmcnt(0)
	v_bfe_i32 v48, v5, 0, 16
	v_ashrrev_i32_e32 v49, 31, v48
	v_lshlrev_b64 v[48:49], 1, v[48:49]
	v_add_co_u32_e64 v5, s[0:1], s16, v48
	v_addc_co_u32_e64 v7, s[0:1], v7, v49, s[0:1]
	v_add_co_u32_e64 v48, s[0:1], v5, v46
	v_addc_co_u32_e64 v49, s[0:1], v7, v47, s[0:1]
	global_load_ushort v5, v[48:49], off
	v_mov_b32_e32 v7, s17
	s_waitcnt vmcnt(0)
	v_bfe_i32 v48, v5, 0, 16
	v_ashrrev_i32_e32 v49, 31, v48
	v_lshlrev_b64 v[48:49], 1, v[48:49]
	v_add_co_u32_e64 v5, s[0:1], s16, v48
	v_addc_co_u32_e64 v7, s[0:1], v7, v49, s[0:1]
	v_add_co_u32_e64 v48, s[0:1], v5, v44
	v_addc_co_u32_e64 v49, s[0:1], v7, v45, s[0:1]
	global_load_ushort v5, v[48:49], off
	;; [unrolled: 10-line block ×20, first 2 shown]
	v_ashrrev_i32_e32 v7, 31, v6
	v_lshlrev_b64 v[6:7], 1, v[6:7]
	s_waitcnt vmcnt(0)
	v_bfe_i32 v48, v5, 0, 16
	v_ashrrev_i32_e32 v49, 31, v48
	v_lshlrev_b64 v[48:49], 1, v[48:49]
	v_add_co_u32_e64 v5, s[0:1], s16, v48
	v_addc_co_u32_e64 v49, s[0:1], v54, v49, s[0:1]
	v_add_co_u32_e64 v48, s[0:1], v5, v6
	v_addc_co_u32_e64 v49, s[0:1], v49, v7, s[0:1]
	global_load_ushort v48, v[48:49], off
	v_ashrrev_i32_e32 v5, 31, v4
	v_lshlrev_b64 v[4:5], 1, v[4:5]
	s_waitcnt vmcnt(0)
	v_bfe_i32 v48, v48, 0, 16
	v_ashrrev_i32_e32 v49, 31, v48
	v_lshlrev_b64 v[48:49], 1, v[48:49]
	v_add_co_u32_e64 v48, s[0:1], s16, v48
	v_addc_co_u32_e64 v49, s[0:1], v54, v49, s[0:1]
	v_add_co_u32_e64 v48, s[0:1], v48, v4
	v_addc_co_u32_e64 v49, s[0:1], v49, v5, s[0:1]
	global_load_ushort v49, v[48:49], off
	v_mbcnt_hi_u32_b32 v48, -1, v110
	v_and_b32_e32 v54, 15, v48
	v_cmp_ne_u32_e64 s[0:1], 0, v54
	s_waitcnt vmcnt(0)
	v_and_b32_e32 v55, 0xffff, v49
	s_nop 1
	v_mov_b32_dpp v56, v55 row_shr:1 row_mask:0xf bank_mask:0xf
	s_and_saveexec_b64 s[2:3], s[0:1]
	s_cbranch_execz .LBB6716_125
; %bb.124:
	v_lshlrev_b32_e32 v57, 16, v56
	v_mov_b32_e32 v56, 0
	v_ashrrev_i64 v[56:57], 47, v[56:57]
	v_mov_b32_e32 v55, s17
	v_add_co_u32_e64 v58, s[0:1], s16, v56
	v_bfe_i32 v56, v49, 0, 16
	v_addc_co_u32_e64 v55, s[0:1], v55, v57, s[0:1]
	v_ashrrev_i32_e32 v57, 31, v56
	v_lshlrev_b64 v[56:57], 1, v[56:57]
	v_add_co_u32_e64 v56, s[0:1], v58, v56
	v_addc_co_u32_e64 v57, s[0:1], v55, v57, s[0:1]
	global_load_ushort v49, v[56:57], off
	s_waitcnt vmcnt(0)
	v_and_b32_e32 v55, 0xffff, v49
.LBB6716_125:
	s_or_b64 exec, exec, s[2:3]
	s_nop 0
	v_mov_b32_dpp v56, v55 row_shr:2 row_mask:0xf bank_mask:0xf
	v_cmp_lt_u32_e64 s[0:1], 1, v54
	s_and_saveexec_b64 s[2:3], s[0:1]
	s_cbranch_execz .LBB6716_127
; %bb.126:
	v_lshlrev_b32_e32 v57, 16, v56
	v_mov_b32_e32 v56, 0
	v_ashrrev_i64 v[56:57], 47, v[56:57]
	v_mov_b32_e32 v55, s17
	v_add_co_u32_e64 v58, s[0:1], s16, v56
	v_bfe_i32 v56, v49, 0, 16
	v_addc_co_u32_e64 v55, s[0:1], v55, v57, s[0:1]
	v_ashrrev_i32_e32 v57, 31, v56
	v_lshlrev_b64 v[56:57], 1, v[56:57]
	v_add_co_u32_e64 v56, s[0:1], v58, v56
	v_addc_co_u32_e64 v57, s[0:1], v55, v57, s[0:1]
	global_load_ushort v49, v[56:57], off
	s_waitcnt vmcnt(0)
	v_and_b32_e32 v55, 0xffff, v49
.LBB6716_127:
	s_or_b64 exec, exec, s[2:3]
	s_nop 0
	v_mov_b32_dpp v56, v55 row_shr:4 row_mask:0xf bank_mask:0xf
	v_cmp_lt_u32_e64 s[0:1], 3, v54
	;; [unrolled: 22-line block ×3, first 2 shown]
	s_and_saveexec_b64 s[2:3], s[0:1]
	s_cbranch_execz .LBB6716_131
; %bb.130:
	v_lshlrev_b32_e32 v55, 16, v56
	v_mov_b32_e32 v54, 0
	v_ashrrev_i64 v[54:55], 47, v[54:55]
	v_mov_b32_e32 v56, s17
	v_add_co_u32_e64 v57, s[0:1], s16, v54
	v_bfe_i32 v54, v49, 0, 16
	v_addc_co_u32_e64 v56, s[0:1], v56, v55, s[0:1]
	v_ashrrev_i32_e32 v55, 31, v54
	v_lshlrev_b64 v[54:55], 1, v[54:55]
	v_add_co_u32_e64 v54, s[0:1], v57, v54
	v_addc_co_u32_e64 v55, s[0:1], v56, v55, s[0:1]
	global_load_ushort v49, v[54:55], off
	s_waitcnt vmcnt(0)
	v_and_b32_e32 v55, 0xffff, v49
.LBB6716_131:
	s_or_b64 exec, exec, s[2:3]
	v_and_b32_e32 v56, 16, v48
	v_mov_b32_dpp v54, v55 row_bcast:15 row_mask:0xf bank_mask:0xf
	v_cmp_ne_u32_e64 s[0:1], 0, v56
	s_and_saveexec_b64 s[2:3], s[0:1]
	s_cbranch_execz .LBB6716_133
; %bb.132:
	v_lshlrev_b32_e32 v55, 16, v54
	v_mov_b32_e32 v54, 0
	v_ashrrev_i64 v[54:55], 47, v[54:55]
	v_mov_b32_e32 v56, s17
	v_add_co_u32_e64 v57, s[0:1], s16, v54
	v_bfe_i32 v54, v49, 0, 16
	v_addc_co_u32_e64 v56, s[0:1], v56, v55, s[0:1]
	v_ashrrev_i32_e32 v55, 31, v54
	v_lshlrev_b64 v[54:55], 1, v[54:55]
	v_add_co_u32_e64 v54, s[0:1], v57, v54
	v_addc_co_u32_e64 v55, s[0:1], v56, v55, s[0:1]
	global_load_ushort v49, v[54:55], off
	s_waitcnt vmcnt(0)
	v_and_b32_e32 v55, 0xffff, v49
.LBB6716_133:
	s_or_b64 exec, exec, s[2:3]
	s_nop 0
	v_mov_b32_dpp v54, v55 row_bcast:31 row_mask:0xf bank_mask:0xf
	v_cmp_lt_u32_e64 s[0:1], 31, v48
	s_and_saveexec_b64 s[2:3], s[0:1]
	s_cbranch_execz .LBB6716_135
; %bb.134:
	v_lshlrev_b32_e32 v55, 16, v54
	v_mov_b32_e32 v54, 0
	v_ashrrev_i64 v[54:55], 47, v[54:55]
	v_mov_b32_e32 v56, s17
	v_add_co_u32_e64 v57, s[0:1], s16, v54
	v_bfe_i32 v54, v49, 0, 16
	v_addc_co_u32_e64 v56, s[0:1], v56, v55, s[0:1]
	v_ashrrev_i32_e32 v55, 31, v54
	v_lshlrev_b64 v[54:55], 1, v[54:55]
	v_add_co_u32_e64 v54, s[0:1], v57, v54
	v_addc_co_u32_e64 v55, s[0:1], v56, v55, s[0:1]
	global_load_ushort v49, v[54:55], off
.LBB6716_135:
	s_or_b64 exec, exec, s[2:3]
	v_cmp_eq_u32_e64 s[0:1], 63, v0
	s_and_saveexec_b64 s[2:3], s[0:1]
	s_cbranch_execz .LBB6716_137
; %bb.136:
	v_mov_b32_e32 v54, 0
	s_waitcnt vmcnt(0)
	ds_write_b16 v54, v49
.LBB6716_137:
	s_or_b64 exec, exec, s[2:3]
	v_add_u32_e32 v54, -1, v48
	v_and_b32_e32 v55, 64, v48
	v_cmp_lt_i32_e64 s[2:3], v54, v55
	v_cndmask_b32_e64 v48, v54, v48, s[2:3]
	s_waitcnt vmcnt(0)
	v_and_b32_e32 v49, 0xffff, v49
	v_lshlrev_b32_e32 v48, 2, v48
	ds_bpermute_b32 v48, v48, v49
	s_waitcnt lgkmcnt(0)
	; wave barrier
	s_waitcnt lgkmcnt(0)
	s_and_saveexec_b64 s[2:3], vcc
	s_cbranch_execz .LBB6716_139
; %bb.138:
	v_lshlrev_b32_e32 v49, 16, v48
	v_mov_b32_e32 v48, 0
	v_ashrrev_i64 v[48:49], 47, v[48:49]
	v_mov_b32_e32 v50, s17
	v_add_co_u32_e32 v48, vcc, s16, v48
	v_addc_co_u32_e32 v49, vcc, v50, v49, vcc
	v_add_co_u32_e32 v48, vcc, v48, v52
	v_addc_co_u32_e32 v49, vcc, v49, v53, vcc
	global_load_ushort v62, v[48:49], off
	;;#ASMSTART
	;;#ASMEND
	s_waitcnt vmcnt(0)
	v_bfe_i32 v50, v62, 0, 16
	v_ashrrev_i32_e32 v51, 31, v50
.LBB6716_139:
	s_or_b64 exec, exec, s[2:3]
	v_lshlrev_b64 v[48:49], 1, v[50:51]
	v_mov_b32_e32 v50, s17
	v_add_co_u32_e32 v48, vcc, s16, v48
	v_addc_co_u32_e32 v49, vcc, v50, v49, vcc
	v_add_co_u32_e32 v2, vcc, v48, v2
	v_addc_co_u32_e32 v3, vcc, v49, v3, vcc
	global_load_ushort v3, v[2:3], off
	v_mov_b32_e32 v2, s17
	s_waitcnt vmcnt(0)
	v_bfe_i32 v48, v3, 0, 16
	v_ashrrev_i32_e32 v49, 31, v48
	v_lshlrev_b64 v[48:49], 1, v[48:49]
	v_add_co_u32_e32 v48, vcc, s16, v48
	v_addc_co_u32_e32 v2, vcc, v2, v49, vcc
	v_add_co_u32_e32 v46, vcc, v48, v46
	v_addc_co_u32_e32 v47, vcc, v2, v47, vcc
	global_load_ushort v47, v[46:47], off
	v_mov_b32_e32 v2, s17
	s_waitcnt vmcnt(0)
	v_bfe_i32 v48, v47, 0, 16
	v_ashrrev_i32_e32 v49, 31, v48
	v_lshlrev_b64 v[48:49], 1, v[48:49]
	;; [unrolled: 10-line block ×22, first 2 shown]
	v_add_co_u32_e32 v6, vcc, s16, v48
	v_addc_co_u32_e32 v2, vcc, v2, v49, vcc
	v_add_co_u32_e32 v4, vcc, v6, v4
	v_addc_co_u32_e32 v5, vcc, v2, v5, vcc
	global_load_ushort v5, v[4:5], off
	s_and_saveexec_b64 s[2:3], s[0:1]
	s_cbranch_execz .LBB6716_141
; %bb.140:
	s_mov_b32 s0, 0x20000
	v_mov_b32_e32 v2, 0
	s_waitcnt vmcnt(0)
	v_or_b32_sdwa v4, v5, s0 dst_sel:DWORD dst_unused:UNUSED_PAD src0_sel:WORD_0 src1_sel:DWORD
	global_store_dword v2, v4, s[18:19] offset:256
.LBB6716_141:
	s_or_b64 exec, exec, s[2:3]
.LBB6716_142:
	s_add_u32 s0, s12, s20
	s_addc_u32 s1, s13, s21
	s_add_u32 s2, s0, s22
	s_addc_u32 s3, s1, s23
	s_mov_b64 s[0:1], -1
	s_and_b64 vcc, exec, s[14:15]
	s_waitcnt lgkmcnt(0)
	; wave barrier
	s_waitcnt lgkmcnt(0)
	s_cbranch_vccz .LBB6716_144
; %bb.143:
	s_mov_b32 s0, 0x5040100
	v_perm_b32 v51, v37, v39, s0
	v_perm_b32 v50, v41, v43, s0
	;; [unrolled: 1-line block ×4, first 2 shown]
	ds_write_b128 v1, v[48:51]
	v_perm_b32 v51, v21, v23, s0
	v_perm_b32 v50, v25, v27, s0
	;; [unrolled: 1-line block ×4, first 2 shown]
	ds_write_b128 v1, v[48:51] offset:16
	s_waitcnt vmcnt(0)
	v_perm_b32 v51, v5, v7, s0
	v_perm_b32 v50, v9, v11, s0
	;; [unrolled: 1-line block ×4, first 2 shown]
	ds_write_b128 v1, v[48:51] offset:32
	s_waitcnt lgkmcnt(0)
	; wave barrier
	s_waitcnt lgkmcnt(0)
	ds_read_u16 v2, v108
	ds_read_u16 v4, v108 offset:128
	ds_read_u16 v6, v108 offset:256
	;; [unrolled: 1-line block ×23, first 2 shown]
	v_mov_b32_e32 v49, s3
	v_add_co_u32_e32 v48, vcc, s2, v108
	v_addc_co_u32_e32 v49, vcc, 0, v49, vcc
	s_waitcnt lgkmcnt(14)
	flat_store_short v[48:49], v2
	flat_store_short v[48:49], v4 offset:128
	flat_store_short v[48:49], v6 offset:256
	;; [unrolled: 1-line block ×9, first 2 shown]
	s_waitcnt lgkmcnt(0)
	flat_store_short v[48:49], v22 offset:1280
	flat_store_short v[48:49], v24 offset:1408
	;; [unrolled: 1-line block ×14, first 2 shown]
	s_mov_b64 s[0:1], 0
.LBB6716_144:
	s_andn2_b64 vcc, exec, s[0:1]
	s_cbranch_vccnz .LBB6716_201
; %bb.145:
	s_mov_b32 s0, 0x5040100
	v_perm_b32 v39, v37, v39, s0
	v_perm_b32 v38, v41, v43, s0
	;; [unrolled: 1-line block ×8, first 2 shown]
	s_waitcnt vmcnt(0)
	v_perm_b32 v5, v5, v7, s0
	v_perm_b32 v4, v9, v11, s0
	;; [unrolled: 1-line block ×4, first 2 shown]
	ds_write_b128 v1, v[36:39]
	ds_write_b128 v1, v[20:23] offset:16
	ds_write_b128 v1, v[2:5] offset:32
	s_waitcnt lgkmcnt(0)
	; wave barrier
	s_waitcnt lgkmcnt(0)
	ds_read_u16 v5, v108
	ds_read_u16 v4, v108 offset:128
	ds_read_u16 v7, v108 offset:256
	ds_read_u16 v8, v108 offset:384
	ds_read_u16 v6, v108 offset:512
	ds_read_u16 v9, v108 offset:640
	ds_read_u16 v17, v108 offset:768
	ds_read_u16 v15, v108 offset:896
	ds_read_u16 v16, v108 offset:1024
	ds_read_u16 v23, v108 offset:1152
	ds_read_u16 v20, v108 offset:1280
	ds_read_u16 v19, v108 offset:1408
	ds_read_u16 v18, v108 offset:1536
	ds_read_u16 v13, v108 offset:1664
	ds_read_u16 v14, v108 offset:1792
	ds_read_u16 v10, v108 offset:1920
	ds_read_u16 v22, v108 offset:2048
	ds_read_u16 v25, v108 offset:2176
	ds_read_u16 v24, v108 offset:2304
	ds_read_u16 v21, v108 offset:2432
	ds_read_u16 v12, v108 offset:2560
	ds_read_u16 v11, v108 offset:2688
	ds_read_u16 v26, v108 offset:2816
	ds_read_u16 v27, v108 offset:2944
	v_mov_b32_e32 v3, s3
	v_add_co_u32_e32 v2, vcc, s2, v108
	v_addc_co_u32_e32 v3, vcc, 0, v3, vcc
	v_mov_b32_e32 v1, 0
	v_cmp_gt_u32_e32 vcc, s30, v0
	s_and_saveexec_b64 s[0:1], vcc
	s_cbranch_execz .LBB6716_147
; %bb.146:
	s_waitcnt lgkmcnt(14)
	flat_store_short v[2:3], v5
.LBB6716_147:
	s_or_b64 exec, exec, s[0:1]
	v_or_b32_e32 v28, 64, v0
	v_cmp_gt_u32_e32 vcc, s30, v28
	s_and_saveexec_b64 s[0:1], vcc
	s_cbranch_execz .LBB6716_149
; %bb.148:
	s_waitcnt lgkmcnt(0)
	flat_store_short v[2:3], v4 offset:128
.LBB6716_149:
	s_or_b64 exec, exec, s[0:1]
	v_or_b32_e32 v28, 0x80, v0
	v_cmp_gt_u32_e32 vcc, s30, v28
	s_and_saveexec_b64 s[0:1], vcc
	s_cbranch_execz .LBB6716_151
; %bb.150:
	s_waitcnt lgkmcnt(0)
	flat_store_short v[2:3], v7 offset:256
.LBB6716_151:
	;; [unrolled: 9-line block ×23, first 2 shown]
	s_or_b64 exec, exec, s[0:1]
	v_cmp_lt_u64_e64 s[0:1], s[10:11], 2
	s_and_b64 vcc, exec, s[0:1]
	s_cbranch_vccnz .LBB6716_201
; %bb.194:
	s_add_u32 s0, s30, -1
	s_addc_u32 s1, s31, -1
	s_add_u32 s2, 0, 0xaaaa0000
	s_addc_u32 s3, 0, 42
	s_add_i32 s3, s3, 0xaaaaa80
	s_mul_hi_u32 s9, s2, 0xffffffe8
	s_sub_i32 s9, s9, s2
	s_mul_i32 s10, s3, 0xffffffe8
	s_mul_i32 s4, s2, 0xffffffe8
	s_add_i32 s9, s9, s10
	s_mul_hi_u32 s5, s3, s4
	s_mul_i32 s8, s3, s4
	s_mul_i32 s11, s2, s9
	s_mul_hi_u32 s4, s2, s4
	s_mul_hi_u32 s10, s2, s9
	s_add_u32 s4, s4, s11
	s_addc_u32 s10, 0, s10
	s_add_u32 s4, s4, s8
	s_mul_hi_u32 s11, s3, s9
	s_addc_u32 s4, s10, s5
	s_addc_u32 s5, s11, 0
	s_mul_i32 s8, s3, s9
	s_add_u32 s4, s4, s8
	v_mov_b32_e32 v2, s4
	s_addc_u32 s5, 0, s5
	v_add_co_u32_e32 v2, vcc, s2, v2
	s_cmp_lg_u64 vcc, 0
	s_addc_u32 s2, s3, s5
	v_readfirstlane_b32 s5, v2
	s_mul_i32 s4, s0, s2
	s_mul_hi_u32 s8, s0, s5
	s_mul_hi_u32 s3, s0, s2
	s_add_u32 s4, s8, s4
	s_addc_u32 s3, 0, s3
	s_mul_hi_u32 s9, s1, s5
	s_mul_i32 s5, s1, s5
	s_add_u32 s4, s4, s5
	s_mul_hi_u32 s8, s1, s2
	s_addc_u32 s3, s3, s9
	s_addc_u32 s4, s8, 0
	s_mul_i32 s2, s1, s2
	s_add_u32 s2, s3, s2
	s_addc_u32 s3, 0, s4
	s_add_u32 s4, s2, 1
	s_addc_u32 s5, s3, 0
	s_add_u32 s8, s2, 2
	s_mul_i32 s10, s3, 24
	s_mul_hi_u32 s11, s2, 24
	s_addc_u32 s9, s3, 0
	s_add_i32 s11, s11, s10
	s_mul_i32 s10, s2, 24
	v_mov_b32_e32 v2, s10
	v_sub_co_u32_e32 v2, vcc, s0, v2
	s_cmp_lg_u64 vcc, 0
	s_subb_u32 s10, s1, s11
	v_subrev_co_u32_e32 v3, vcc, 24, v2
	s_cmp_lg_u64 vcc, 0
	s_subb_u32 s11, s10, 0
	v_readfirstlane_b32 s12, v3
	s_cmp_gt_u32 s12, 23
	s_cselect_b32 s12, -1, 0
	s_cmp_eq_u32 s11, 0
	s_cselect_b32 s11, s12, -1
	s_cmp_lg_u32 s11, 0
	s_cselect_b32 s4, s8, s4
	v_readfirstlane_b32 s8, v2
	s_cselect_b32 s5, s9, s5
	s_cmp_gt_u32 s8, 23
	s_cselect_b32 s8, -1, 0
	s_cmp_eq_u32 s10, 0
	s_cselect_b32 s8, s8, -1
	s_cmp_lg_u32 s8, 0
	s_cselect_b32 s3, s5, s3
	s_cselect_b32 s2, s4, s2
	v_cmp_eq_u64_e32 vcc, s[2:3], v[0:1]
	s_and_saveexec_b64 s[2:3], vcc
	s_cbranch_execz .LBB6716_201
; %bb.195:
	v_mul_hi_u32_u24_e32 v1, 24, v0
	v_mov_b32_e32 v2, s1
	v_sub_co_u32_e32 v0, vcc, s0, v109
	v_subb_co_u32_e32 v1, vcc, v2, v1, vcc
	v_cmp_lt_i64_e32 vcc, 11, v[0:1]
	s_mov_b64 s[0:1], 0
	s_mov_b64 s[10:11], 0
	;; [unrolled: 1-line block ×4, first 2 shown]
	s_and_saveexec_b64 s[2:3], vcc
	s_xor_b64 s[2:3], exec, s[2:3]
	s_cbranch_execnz .LBB6716_202
; %bb.196:
	s_andn2_saveexec_b64 s[2:3], s[2:3]
	s_cbranch_execnz .LBB6716_247
.LBB6716_197:
	s_or_b64 exec, exec, s[2:3]
	s_and_saveexec_b64 s[2:3], s[10:11]
	s_cbranch_execnz .LBB6716_264
.LBB6716_198:
	s_or_b64 exec, exec, s[2:3]
	s_and_saveexec_b64 s[2:3], s[8:9]
	s_cbranch_execnz .LBB6716_265
.LBB6716_199:
	s_or_b64 exec, exec, s[2:3]
	s_and_saveexec_b64 s[2:3], s[4:5]
	s_xor_b64 s[2:3], exec, s[2:3]
	s_cbranch_execnz .LBB6716_266
.LBB6716_200:
	s_or_b64 exec, exec, s[2:3]
	s_and_b64 exec, exec, s[0:1]
	s_cbranch_execnz .LBB6716_267
.LBB6716_201:
	s_endpgm
.LBB6716_202:
	v_cmp_lt_i64_e32 vcc, 17, v[0:1]
	s_and_saveexec_b64 s[12:13], vcc
	s_xor_b64 s[12:13], exec, s[12:13]
	s_cbranch_execz .LBB6716_224
; %bb.203:
	v_cmp_lt_i64_e32 vcc, 20, v[0:1]
                                        ; implicit-def: $vgpr10
	s_and_saveexec_b64 s[14:15], vcc
	s_xor_b64 s[14:15], exec, s[14:15]
	s_cbranch_execz .LBB6716_213
; %bb.204:
	v_cmp_lt_i64_e32 vcc, 21, v[0:1]
	s_mov_b64 s[16:17], 0
                                        ; implicit-def: $vgpr10
	s_and_saveexec_b64 s[4:5], vcc
	s_xor_b64 s[4:5], exec, s[4:5]
	s_cbranch_execz .LBB6716_210
; %bb.205:
	v_cmp_lt_i64_e32 vcc, 22, v[0:1]
	s_and_saveexec_b64 s[16:17], vcc
	s_xor_b64 s[16:17], exec, s[16:17]
	s_cbranch_execz .LBB6716_207
; %bb.206:
	v_mov_b32_e32 v2, 0
	s_waitcnt lgkmcnt(0)
	global_store_short v2, v27, s[6:7]
                                        ; implicit-def: $vgpr26
.LBB6716_207:
	s_or_saveexec_b64 s[16:17], s[16:17]
	s_mov_b64 s[18:19], 0
	s_xor_b64 exec, exec, s[16:17]
; %bb.208:
	s_mov_b64 s[18:19], exec
; %bb.209:
	s_or_b64 exec, exec, s[16:17]
	s_and_b64 s[16:17], s[18:19], exec
	s_waitcnt lgkmcnt(0)
	v_mov_b32_e32 v10, v26
                                        ; implicit-def: $vgpr11
.LBB6716_210:
	s_andn2_saveexec_b64 s[4:5], s[4:5]
; %bb.211:
	s_mov_b64 s[8:9], exec
                                        ; implicit-def: $vgpr10
; %bb.212:
	s_or_b64 exec, exec, s[4:5]
	s_and_b64 s[4:5], s[16:17], exec
	s_and_b64 s[8:9], s[8:9], exec
                                        ; implicit-def: $vgpr24
                                        ; implicit-def: $vgpr12
                                        ; implicit-def: $vgpr21
.LBB6716_213:
	s_andn2_saveexec_b64 s[14:15], s[14:15]
	s_cbranch_execz .LBB6716_223
; %bb.214:
	v_cmp_lt_i64_e32 vcc, 18, v[0:1]
	s_mov_b64 s[16:17], 0
	s_and_saveexec_b64 s[10:11], vcc
	s_xor_b64 s[10:11], exec, s[10:11]
	s_cbranch_execz .LBB6716_220
; %bb.215:
	v_cmp_lt_i64_e32 vcc, 19, v[0:1]
	s_and_saveexec_b64 s[18:19], vcc
	s_xor_b64 s[18:19], exec, s[18:19]
; %bb.216:
	s_mov_b64 s[16:17], exec
                                        ; implicit-def: $vgpr21
; %bb.217:
	s_andn2_saveexec_b64 s[18:19], s[18:19]
	s_cbranch_execz .LBB6716_219
; %bb.218:
	v_mov_b32_e32 v2, 0
	s_waitcnt lgkmcnt(0)
	global_store_short v2, v21, s[6:7]
                                        ; implicit-def: $vgpr12
.LBB6716_219:
	s_or_b64 exec, exec, s[18:19]
	s_and_b64 s[16:17], s[16:17], exec
                                        ; implicit-def: $vgpr24
.LBB6716_220:
	s_andn2_saveexec_b64 s[10:11], s[10:11]
	s_cbranch_execz .LBB6716_222
; %bb.221:
	v_mov_b32_e32 v2, 0
	s_waitcnt lgkmcnt(0)
	global_store_short v2, v24, s[6:7]
                                        ; implicit-def: $vgpr12
.LBB6716_222:
	s_or_b64 exec, exec, s[10:11]
	s_and_b64 s[10:11], s[16:17], exec
                                        ; implicit-def: $vgpr10
                                        ; implicit-def: $vgpr11
.LBB6716_223:
	s_or_b64 exec, exec, s[14:15]
	s_and_b64 s[4:5], s[4:5], exec
	s_and_b64 s[8:9], s[8:9], exec
	;; [unrolled: 1-line block ×3, first 2 shown]
                                        ; implicit-def: $vgpr18
                                        ; implicit-def: $vgpr13
                                        ; implicit-def: $vgpr14
                                        ; implicit-def: $vgpr22
                                        ; implicit-def: $vgpr25
.LBB6716_224:
	s_andn2_saveexec_b64 s[12:13], s[12:13]
	s_cbranch_execz .LBB6716_246
; %bb.225:
	v_cmp_lt_i64_e32 vcc, 14, v[0:1]
	s_mov_b64 s[14:15], s[4:5]
	s_and_saveexec_b64 s[16:17], vcc
	s_xor_b64 s[16:17], exec, s[16:17]
	s_cbranch_execz .LBB6716_235
; %bb.226:
	v_cmp_lt_i64_e32 vcc, 15, v[0:1]
	s_and_saveexec_b64 s[14:15], vcc
	s_xor_b64 s[14:15], exec, s[14:15]
	s_cbranch_execz .LBB6716_232
; %bb.227:
	v_cmp_lt_i64_e32 vcc, 16, v[0:1]
	s_and_saveexec_b64 s[18:19], vcc
	s_xor_b64 s[18:19], exec, s[18:19]
	s_cbranch_execz .LBB6716_229
; %bb.228:
	v_mov_b32_e32 v2, 0
	s_waitcnt lgkmcnt(0)
	global_store_short v2, v25, s[6:7]
                                        ; implicit-def: $vgpr22
.LBB6716_229:
	s_andn2_saveexec_b64 s[18:19], s[18:19]
	s_cbranch_execz .LBB6716_231
; %bb.230:
	v_mov_b32_e32 v2, 0
	s_waitcnt lgkmcnt(0)
	global_store_short v2, v22, s[6:7]
.LBB6716_231:
	s_or_b64 exec, exec, s[18:19]
                                        ; implicit-def: $vgpr10
.LBB6716_232:
	s_or_saveexec_b64 s[14:15], s[14:15]
	s_mov_b64 s[18:19], s[4:5]
	s_xor_b64 exec, exec, s[14:15]
; %bb.233:
	s_or_b64 s[18:19], s[4:5], exec
; %bb.234:
	s_or_b64 exec, exec, s[14:15]
	s_andn2_b64 s[14:15], s[4:5], exec
	s_and_b64 s[18:19], s[18:19], exec
	s_or_b64 s[14:15], s[14:15], s[18:19]
                                        ; implicit-def: $vgpr18
                                        ; implicit-def: $vgpr13
                                        ; implicit-def: $vgpr14
.LBB6716_235:
	s_or_saveexec_b64 s[16:17], s[16:17]
	s_mov_b64 s[18:19], s[8:9]
                                        ; implicit-def: $vgpr11
	s_xor_b64 exec, exec, s[16:17]
	s_cbranch_execz .LBB6716_245
; %bb.236:
	v_cmp_lt_i64_e32 vcc, 12, v[0:1]
	s_mov_b64 s[20:21], s[8:9]
	s_mov_b64 s[22:23], s[14:15]
                                        ; implicit-def: $vgpr10
                                        ; implicit-def: $vgpr11
	s_and_saveexec_b64 s[18:19], vcc
	s_xor_b64 s[18:19], exec, s[18:19]
	s_cbranch_execz .LBB6716_242
; %bb.237:
	v_cmp_lt_i64_e32 vcc, 13, v[0:1]
	s_mov_b64 s[20:21], s[14:15]
	s_and_saveexec_b64 s[22:23], vcc
	s_xor_b64 s[22:23], exec, s[22:23]
; %bb.238:
	s_or_b64 s[20:21], s[14:15], exec
                                        ; implicit-def: $vgpr13
; %bb.239:
	s_or_saveexec_b64 s[22:23], s[22:23]
	s_mov_b64 s[24:25], s[8:9]
	s_xor_b64 exec, exec, s[22:23]
; %bb.240:
	s_or_b64 s[24:25], s[8:9], exec
                                        ; implicit-def: $vgpr14
; %bb.241:
	s_or_b64 exec, exec, s[22:23]
	s_andn2_b64 s[22:23], s[14:15], exec
	s_and_b64 s[20:21], s[20:21], exec
	s_or_b64 s[22:23], s[22:23], s[20:21]
	s_andn2_b64 s[20:21], s[8:9], exec
	s_and_b64 s[24:25], s[24:25], exec
	s_or_b64 s[20:21], s[20:21], s[24:25]
	s_waitcnt lgkmcnt(0)
	v_mov_b32_e32 v10, v14
	v_mov_b32_e32 v11, v13
                                        ; implicit-def: $vgpr18
.LBB6716_242:
	s_andn2_saveexec_b64 s[18:19], s[18:19]
	s_cbranch_execz .LBB6716_244
; %bb.243:
	s_or_b64 s[20:21], s[20:21], exec
                                        ; implicit-def: $vgpr10
	s_waitcnt lgkmcnt(0)
	v_mov_b32_e32 v11, v18
.LBB6716_244:
	s_or_b64 exec, exec, s[18:19]
	s_andn2_b64 s[14:15], s[14:15], exec
	s_and_b64 s[18:19], s[22:23], exec
	s_or_b64 s[14:15], s[14:15], s[18:19]
	s_andn2_b64 s[18:19], s[8:9], exec
	s_and_b64 s[20:21], s[20:21], exec
	s_or_b64 s[18:19], s[18:19], s[20:21]
.LBB6716_245:
	s_or_b64 exec, exec, s[16:17]
	s_andn2_b64 s[4:5], s[4:5], exec
	s_and_b64 s[14:15], s[14:15], exec
	s_or_b64 s[4:5], s[4:5], s[14:15]
	s_andn2_b64 s[8:9], s[8:9], exec
	s_and_b64 s[14:15], s[18:19], exec
	s_or_b64 s[8:9], s[8:9], s[14:15]
                                        ; implicit-def: $vgpr12
.LBB6716_246:
	s_or_b64 exec, exec, s[12:13]
	s_and_b64 s[4:5], s[4:5], exec
	s_and_b64 s[8:9], s[8:9], exec
	;; [unrolled: 1-line block ×3, first 2 shown]
                                        ; implicit-def: $vgpr17
                                        ; implicit-def: $vgpr15
                                        ; implicit-def: $vgpr16
                                        ; implicit-def: $vgpr23
                                        ; implicit-def: $vgpr20
                                        ; implicit-def: $vgpr19
	s_andn2_saveexec_b64 s[2:3], s[2:3]
	s_cbranch_execz .LBB6716_197
.LBB6716_247:
	v_cmp_lt_i64_e32 vcc, 5, v[0:1]
	s_mov_b64 s[14:15], -1
	s_mov_b64 s[12:13], s[10:11]
	s_mov_b64 s[16:17], s[8:9]
	;; [unrolled: 1-line block ×3, first 2 shown]
                                        ; implicit-def: $vgpr10
                                        ; implicit-def: $vgpr11
                                        ; implicit-def: $vgpr12
	s_and_saveexec_b64 s[0:1], vcc
	s_cbranch_execz .LBB6716_263
; %bb.248:
	v_cmp_lt_i64_e32 vcc, 8, v[0:1]
	s_mov_b64 s[12:13], s[10:11]
                                        ; implicit-def: $vgpr12
	s_and_saveexec_b64 s[14:15], vcc
	s_xor_b64 s[14:15], exec, s[14:15]
	s_cbranch_execz .LBB6716_258
; %bb.249:
	v_cmp_lt_i64_e32 vcc, 9, v[0:1]
	s_and_saveexec_b64 s[12:13], vcc
	s_xor_b64 s[12:13], exec, s[12:13]
	s_cbranch_execz .LBB6716_255
; %bb.250:
	v_cmp_lt_i64_e32 vcc, 10, v[0:1]
	s_and_saveexec_b64 s[16:17], vcc
	s_xor_b64 s[16:17], exec, s[16:17]
; %bb.251:
                                        ; implicit-def: $vgpr20
; %bb.252:
	s_andn2_saveexec_b64 s[16:17], s[16:17]
	s_cbranch_execz .LBB6716_254
; %bb.253:
	s_waitcnt lgkmcnt(0)
	v_mov_b32_e32 v19, v20
.LBB6716_254:
	s_or_b64 exec, exec, s[16:17]
                                        ; implicit-def: $vgpr23
.LBB6716_255:
	s_andn2_saveexec_b64 s[12:13], s[12:13]
	s_cbranch_execz .LBB6716_257
; %bb.256:
	s_waitcnt lgkmcnt(0)
	v_mov_b32_e32 v19, v23
.LBB6716_257:
	s_or_b64 exec, exec, s[12:13]
	s_or_b64 s[12:13], s[10:11], exec
	s_waitcnt lgkmcnt(0)
	v_mov_b32_e32 v12, v19
                                        ; implicit-def: $vgpr17
                                        ; implicit-def: $vgpr15
                                        ; implicit-def: $vgpr16
.LBB6716_258:
	s_or_saveexec_b64 s[14:15], s[14:15]
	s_mov_b64 s[16:17], s[8:9]
	s_mov_b64 s[20:21], s[4:5]
                                        ; implicit-def: $vgpr10
                                        ; implicit-def: $vgpr11
	s_xor_b64 exec, exec, s[14:15]
	s_cbranch_execz .LBB6716_262
; %bb.259:
	v_cmp_lt_i64_e32 vcc, 6, v[0:1]
	s_mov_b64 s[20:21], -1
	s_mov_b64 s[18:19], s[12:13]
	s_mov_b64 s[16:17], s[8:9]
	s_and_saveexec_b64 s[22:23], vcc
; %bb.260:
	v_cmp_lt_i64_e32 vcc, 7, v[0:1]
	s_andn2_b64 s[18:19], s[12:13], exec
	s_and_b64 s[24:25], vcc, exec
	s_xor_b64 s[20:21], exec, -1
	s_or_b64 s[16:17], s[8:9], exec
	s_or_b64 s[18:19], s[18:19], s[24:25]
                                        ; implicit-def: $vgpr17
; %bb.261:
	s_or_b64 exec, exec, s[22:23]
	s_andn2_b64 s[22:23], s[4:5], exec
	s_and_b64 s[20:21], s[20:21], exec
	s_or_b64 s[20:21], s[22:23], s[20:21]
	s_andn2_b64 s[22:23], s[8:9], exec
	s_and_b64 s[16:17], s[16:17], exec
	s_andn2_b64 s[12:13], s[12:13], exec
	s_and_b64 s[18:19], s[18:19], exec
	s_or_b64 s[16:17], s[22:23], s[16:17]
	s_or_b64 s[12:13], s[12:13], s[18:19]
	s_waitcnt lgkmcnt(0)
	v_mov_b32_e32 v10, v17
	v_mov_b32_e32 v11, v15
	;; [unrolled: 1-line block ×3, first 2 shown]
.LBB6716_262:
	s_or_b64 exec, exec, s[14:15]
	s_andn2_b64 s[18:19], s[4:5], exec
	s_and_b64 s[20:21], s[20:21], exec
	s_or_b64 s[18:19], s[18:19], s[20:21]
	s_andn2_b64 s[20:21], s[8:9], exec
	s_and_b64 s[16:17], s[16:17], exec
	s_or_b64 s[16:17], s[20:21], s[16:17]
	s_andn2_b64 s[20:21], s[10:11], exec
	s_and_b64 s[12:13], s[12:13], exec
	s_xor_b64 s[14:15], exec, -1
	s_or_b64 s[12:13], s[20:21], s[12:13]
.LBB6716_263:
	s_or_b64 exec, exec, s[0:1]
	s_and_b64 s[0:1], s[14:15], exec
	s_andn2_b64 s[4:5], s[4:5], exec
	s_and_b64 s[14:15], s[18:19], exec
	s_or_b64 s[4:5], s[4:5], s[14:15]
	s_andn2_b64 s[8:9], s[8:9], exec
	s_and_b64 s[14:15], s[16:17], exec
	s_andn2_b64 s[10:11], s[10:11], exec
	s_and_b64 s[12:13], s[12:13], exec
	s_or_b64 s[8:9], s[8:9], s[14:15]
	s_or_b64 s[10:11], s[10:11], s[12:13]
	s_or_b64 exec, exec, s[2:3]
	s_and_saveexec_b64 s[2:3], s[10:11]
	s_cbranch_execz .LBB6716_198
.LBB6716_264:
	v_mov_b32_e32 v2, 0
	s_andn2_b64 s[8:9], s[8:9], exec
	s_waitcnt lgkmcnt(0)
	global_store_short v2, v12, s[6:7]
                                        ; implicit-def: $vgpr10
                                        ; implicit-def: $vgpr11
	s_or_b64 exec, exec, s[2:3]
	s_and_saveexec_b64 s[2:3], s[8:9]
	s_cbranch_execz .LBB6716_199
.LBB6716_265:
	v_mov_b32_e32 v2, 0
	s_waitcnt lgkmcnt(0)
	global_store_short v2, v11, s[6:7]
                                        ; implicit-def: $vgpr10
	s_or_b64 exec, exec, s[2:3]
	s_and_saveexec_b64 s[2:3], s[4:5]
	s_xor_b64 s[2:3], exec, s[2:3]
	s_cbranch_execz .LBB6716_200
.LBB6716_266:
	v_mov_b32_e32 v2, 0
	s_waitcnt lgkmcnt(0)
	global_store_short v2, v10, s[6:7]
	s_or_b64 exec, exec, s[2:3]
	s_and_b64 exec, exec, s[0:1]
	s_cbranch_execz .LBB6716_201
.LBB6716_267:
	v_cmp_lt_i64_e32 vcc, 2, v[0:1]
	s_and_saveexec_b64 s[0:1], vcc
	s_xor_b64 s[0:1], exec, s[0:1]
	s_cbranch_execz .LBB6716_277
; %bb.268:
	v_cmp_lt_i64_e32 vcc, 3, v[0:1]
	s_and_saveexec_b64 s[2:3], vcc
	s_xor_b64 s[2:3], exec, s[2:3]
	s_cbranch_execz .LBB6716_274
; %bb.269:
	v_cmp_lt_i64_e32 vcc, 4, v[0:1]
	s_and_saveexec_b64 s[4:5], vcc
	s_xor_b64 s[4:5], exec, s[4:5]
	s_cbranch_execz .LBB6716_271
; %bb.270:
	v_mov_b32_e32 v0, 0
	s_waitcnt lgkmcnt(0)
	global_store_short v0, v9, s[6:7]
                                        ; implicit-def: $vgpr6
.LBB6716_271:
	s_andn2_saveexec_b64 s[4:5], s[4:5]
	s_cbranch_execz .LBB6716_273
; %bb.272:
	v_mov_b32_e32 v0, 0
	s_waitcnt lgkmcnt(0)
	global_store_short v0, v6, s[6:7]
.LBB6716_273:
	s_or_b64 exec, exec, s[4:5]
                                        ; implicit-def: $vgpr8
.LBB6716_274:
	s_andn2_saveexec_b64 s[2:3], s[2:3]
	s_cbranch_execz .LBB6716_276
; %bb.275:
	v_mov_b32_e32 v0, 0
	s_waitcnt lgkmcnt(0)
	global_store_short v0, v8, s[6:7]
.LBB6716_276:
	s_or_b64 exec, exec, s[2:3]
                                        ; implicit-def: $vgpr0_vgpr1
                                        ; implicit-def: $vgpr7
                                        ; implicit-def: $vgpr4
                                        ; implicit-def: $vgpr5
.LBB6716_277:
	s_andn2_saveexec_b64 s[0:1], s[0:1]
	s_cbranch_execz .LBB6716_201
; %bb.278:
	v_cmp_lt_i64_e32 vcc, 1, v[0:1]
	s_and_saveexec_b64 s[0:1], vcc
	s_xor_b64 s[0:1], exec, s[0:1]
	s_cbranch_execz .LBB6716_280
; %bb.279:
	v_mov_b32_e32 v0, 0
	s_waitcnt lgkmcnt(0)
	global_store_short v0, v7, s[6:7]
                                        ; implicit-def: $vgpr4
                                        ; implicit-def: $vgpr0_vgpr1
                                        ; implicit-def: $vgpr5
.LBB6716_280:
	s_andn2_saveexec_b64 s[0:1], s[0:1]
	s_cbranch_execz .LBB6716_201
; %bb.281:
	v_cmp_ne_u64_e32 vcc, 1, v[0:1]
	s_and_saveexec_b64 s[0:1], vcc
	s_xor_b64 s[0:1], exec, s[0:1]
	s_cbranch_execz .LBB6716_283
; %bb.282:
	v_mov_b32_e32 v0, 0
	s_waitcnt lgkmcnt(0)
	global_store_short v0, v5, s[6:7]
                                        ; implicit-def: $vgpr4
.LBB6716_283:
	s_andn2_saveexec_b64 s[0:1], s[0:1]
	s_cbranch_execz .LBB6716_201
; %bb.284:
	v_mov_b32_e32 v0, 0
	s_waitcnt lgkmcnt(0)
	global_store_short v0, v4, s[6:7]
	s_endpgm
	.section	.rodata,"a",@progbits
	.p2align	6, 0x0
	.amdhsa_kernel _ZN7rocprim17ROCPRIM_400000_NS6detail17trampoline_kernelINS0_14default_configENS1_20scan_config_selectorIsEEZZNS1_9scan_implILNS1_25lookback_scan_determinismE0ELb0ELb0ES3_N6thrust23THRUST_200600_302600_NS6detail15normal_iteratorINS9_10device_ptrIsEEEESE_s9plus_mod3IsEsEEDaPvRmT3_T4_T5_mT6_P12ihipStream_tbENKUlT_T0_E_clISt17integral_constantIbLb1EEST_IbLb0EEEEDaSP_SQ_EUlSP_E_NS1_11comp_targetILNS1_3genE4ELNS1_11target_archE910ELNS1_3gpuE8ELNS1_3repE0EEENS1_30default_config_static_selectorELNS0_4arch9wavefront6targetE1EEEvT1_
		.amdhsa_group_segment_fixed_size 3072
		.amdhsa_private_segment_fixed_size 0
		.amdhsa_kernarg_size 104
		.amdhsa_user_sgpr_count 6
		.amdhsa_user_sgpr_private_segment_buffer 1
		.amdhsa_user_sgpr_dispatch_ptr 0
		.amdhsa_user_sgpr_queue_ptr 0
		.amdhsa_user_sgpr_kernarg_segment_ptr 1
		.amdhsa_user_sgpr_dispatch_id 0
		.amdhsa_user_sgpr_flat_scratch_init 0
		.amdhsa_user_sgpr_kernarg_preload_length 0
		.amdhsa_user_sgpr_kernarg_preload_offset 0
		.amdhsa_user_sgpr_private_segment_size 0
		.amdhsa_uses_dynamic_stack 0
		.amdhsa_system_sgpr_private_segment_wavefront_offset 0
		.amdhsa_system_sgpr_workgroup_id_x 1
		.amdhsa_system_sgpr_workgroup_id_y 0
		.amdhsa_system_sgpr_workgroup_id_z 0
		.amdhsa_system_sgpr_workgroup_info 0
		.amdhsa_system_vgpr_workitem_id 0
		.amdhsa_next_free_vgpr 114
		.amdhsa_next_free_sgpr 36
		.amdhsa_accum_offset 116
		.amdhsa_reserve_vcc 1
		.amdhsa_reserve_flat_scratch 0
		.amdhsa_float_round_mode_32 0
		.amdhsa_float_round_mode_16_64 0
		.amdhsa_float_denorm_mode_32 3
		.amdhsa_float_denorm_mode_16_64 3
		.amdhsa_dx10_clamp 1
		.amdhsa_ieee_mode 1
		.amdhsa_fp16_overflow 0
		.amdhsa_tg_split 0
		.amdhsa_exception_fp_ieee_invalid_op 0
		.amdhsa_exception_fp_denorm_src 0
		.amdhsa_exception_fp_ieee_div_zero 0
		.amdhsa_exception_fp_ieee_overflow 0
		.amdhsa_exception_fp_ieee_underflow 0
		.amdhsa_exception_fp_ieee_inexact 0
		.amdhsa_exception_int_div_zero 0
	.end_amdhsa_kernel
	.section	.text._ZN7rocprim17ROCPRIM_400000_NS6detail17trampoline_kernelINS0_14default_configENS1_20scan_config_selectorIsEEZZNS1_9scan_implILNS1_25lookback_scan_determinismE0ELb0ELb0ES3_N6thrust23THRUST_200600_302600_NS6detail15normal_iteratorINS9_10device_ptrIsEEEESE_s9plus_mod3IsEsEEDaPvRmT3_T4_T5_mT6_P12ihipStream_tbENKUlT_T0_E_clISt17integral_constantIbLb1EEST_IbLb0EEEEDaSP_SQ_EUlSP_E_NS1_11comp_targetILNS1_3genE4ELNS1_11target_archE910ELNS1_3gpuE8ELNS1_3repE0EEENS1_30default_config_static_selectorELNS0_4arch9wavefront6targetE1EEEvT1_,"axG",@progbits,_ZN7rocprim17ROCPRIM_400000_NS6detail17trampoline_kernelINS0_14default_configENS1_20scan_config_selectorIsEEZZNS1_9scan_implILNS1_25lookback_scan_determinismE0ELb0ELb0ES3_N6thrust23THRUST_200600_302600_NS6detail15normal_iteratorINS9_10device_ptrIsEEEESE_s9plus_mod3IsEsEEDaPvRmT3_T4_T5_mT6_P12ihipStream_tbENKUlT_T0_E_clISt17integral_constantIbLb1EEST_IbLb0EEEEDaSP_SQ_EUlSP_E_NS1_11comp_targetILNS1_3genE4ELNS1_11target_archE910ELNS1_3gpuE8ELNS1_3repE0EEENS1_30default_config_static_selectorELNS0_4arch9wavefront6targetE1EEEvT1_,comdat
.Lfunc_end6716:
	.size	_ZN7rocprim17ROCPRIM_400000_NS6detail17trampoline_kernelINS0_14default_configENS1_20scan_config_selectorIsEEZZNS1_9scan_implILNS1_25lookback_scan_determinismE0ELb0ELb0ES3_N6thrust23THRUST_200600_302600_NS6detail15normal_iteratorINS9_10device_ptrIsEEEESE_s9plus_mod3IsEsEEDaPvRmT3_T4_T5_mT6_P12ihipStream_tbENKUlT_T0_E_clISt17integral_constantIbLb1EEST_IbLb0EEEEDaSP_SQ_EUlSP_E_NS1_11comp_targetILNS1_3genE4ELNS1_11target_archE910ELNS1_3gpuE8ELNS1_3repE0EEENS1_30default_config_static_selectorELNS0_4arch9wavefront6targetE1EEEvT1_, .Lfunc_end6716-_ZN7rocprim17ROCPRIM_400000_NS6detail17trampoline_kernelINS0_14default_configENS1_20scan_config_selectorIsEEZZNS1_9scan_implILNS1_25lookback_scan_determinismE0ELb0ELb0ES3_N6thrust23THRUST_200600_302600_NS6detail15normal_iteratorINS9_10device_ptrIsEEEESE_s9plus_mod3IsEsEEDaPvRmT3_T4_T5_mT6_P12ihipStream_tbENKUlT_T0_E_clISt17integral_constantIbLb1EEST_IbLb0EEEEDaSP_SQ_EUlSP_E_NS1_11comp_targetILNS1_3genE4ELNS1_11target_archE910ELNS1_3gpuE8ELNS1_3repE0EEENS1_30default_config_static_selectorELNS0_4arch9wavefront6targetE1EEEvT1_
                                        ; -- End function
	.section	.AMDGPU.csdata,"",@progbits
; Kernel info:
; codeLenInByte = 15656
; NumSgprs: 40
; NumVgprs: 114
; NumAgprs: 0
; TotalNumVgprs: 114
; ScratchSize: 0
; MemoryBound: 0
; FloatMode: 240
; IeeeMode: 1
; LDSByteSize: 3072 bytes/workgroup (compile time only)
; SGPRBlocks: 4
; VGPRBlocks: 14
; NumSGPRsForWavesPerEU: 40
; NumVGPRsForWavesPerEU: 114
; AccumOffset: 116
; Occupancy: 4
; WaveLimiterHint : 1
; COMPUTE_PGM_RSRC2:SCRATCH_EN: 0
; COMPUTE_PGM_RSRC2:USER_SGPR: 6
; COMPUTE_PGM_RSRC2:TRAP_HANDLER: 0
; COMPUTE_PGM_RSRC2:TGID_X_EN: 1
; COMPUTE_PGM_RSRC2:TGID_Y_EN: 0
; COMPUTE_PGM_RSRC2:TGID_Z_EN: 0
; COMPUTE_PGM_RSRC2:TIDIG_COMP_CNT: 0
; COMPUTE_PGM_RSRC3_GFX90A:ACCUM_OFFSET: 28
; COMPUTE_PGM_RSRC3_GFX90A:TG_SPLIT: 0
	.section	.text._ZN7rocprim17ROCPRIM_400000_NS6detail17trampoline_kernelINS0_14default_configENS1_20scan_config_selectorIsEEZZNS1_9scan_implILNS1_25lookback_scan_determinismE0ELb0ELb0ES3_N6thrust23THRUST_200600_302600_NS6detail15normal_iteratorINS9_10device_ptrIsEEEESE_s9plus_mod3IsEsEEDaPvRmT3_T4_T5_mT6_P12ihipStream_tbENKUlT_T0_E_clISt17integral_constantIbLb1EEST_IbLb0EEEEDaSP_SQ_EUlSP_E_NS1_11comp_targetILNS1_3genE3ELNS1_11target_archE908ELNS1_3gpuE7ELNS1_3repE0EEENS1_30default_config_static_selectorELNS0_4arch9wavefront6targetE1EEEvT1_,"axG",@progbits,_ZN7rocprim17ROCPRIM_400000_NS6detail17trampoline_kernelINS0_14default_configENS1_20scan_config_selectorIsEEZZNS1_9scan_implILNS1_25lookback_scan_determinismE0ELb0ELb0ES3_N6thrust23THRUST_200600_302600_NS6detail15normal_iteratorINS9_10device_ptrIsEEEESE_s9plus_mod3IsEsEEDaPvRmT3_T4_T5_mT6_P12ihipStream_tbENKUlT_T0_E_clISt17integral_constantIbLb1EEST_IbLb0EEEEDaSP_SQ_EUlSP_E_NS1_11comp_targetILNS1_3genE3ELNS1_11target_archE908ELNS1_3gpuE7ELNS1_3repE0EEENS1_30default_config_static_selectorELNS0_4arch9wavefront6targetE1EEEvT1_,comdat
	.protected	_ZN7rocprim17ROCPRIM_400000_NS6detail17trampoline_kernelINS0_14default_configENS1_20scan_config_selectorIsEEZZNS1_9scan_implILNS1_25lookback_scan_determinismE0ELb0ELb0ES3_N6thrust23THRUST_200600_302600_NS6detail15normal_iteratorINS9_10device_ptrIsEEEESE_s9plus_mod3IsEsEEDaPvRmT3_T4_T5_mT6_P12ihipStream_tbENKUlT_T0_E_clISt17integral_constantIbLb1EEST_IbLb0EEEEDaSP_SQ_EUlSP_E_NS1_11comp_targetILNS1_3genE3ELNS1_11target_archE908ELNS1_3gpuE7ELNS1_3repE0EEENS1_30default_config_static_selectorELNS0_4arch9wavefront6targetE1EEEvT1_ ; -- Begin function _ZN7rocprim17ROCPRIM_400000_NS6detail17trampoline_kernelINS0_14default_configENS1_20scan_config_selectorIsEEZZNS1_9scan_implILNS1_25lookback_scan_determinismE0ELb0ELb0ES3_N6thrust23THRUST_200600_302600_NS6detail15normal_iteratorINS9_10device_ptrIsEEEESE_s9plus_mod3IsEsEEDaPvRmT3_T4_T5_mT6_P12ihipStream_tbENKUlT_T0_E_clISt17integral_constantIbLb1EEST_IbLb0EEEEDaSP_SQ_EUlSP_E_NS1_11comp_targetILNS1_3genE3ELNS1_11target_archE908ELNS1_3gpuE7ELNS1_3repE0EEENS1_30default_config_static_selectorELNS0_4arch9wavefront6targetE1EEEvT1_
	.globl	_ZN7rocprim17ROCPRIM_400000_NS6detail17trampoline_kernelINS0_14default_configENS1_20scan_config_selectorIsEEZZNS1_9scan_implILNS1_25lookback_scan_determinismE0ELb0ELb0ES3_N6thrust23THRUST_200600_302600_NS6detail15normal_iteratorINS9_10device_ptrIsEEEESE_s9plus_mod3IsEsEEDaPvRmT3_T4_T5_mT6_P12ihipStream_tbENKUlT_T0_E_clISt17integral_constantIbLb1EEST_IbLb0EEEEDaSP_SQ_EUlSP_E_NS1_11comp_targetILNS1_3genE3ELNS1_11target_archE908ELNS1_3gpuE7ELNS1_3repE0EEENS1_30default_config_static_selectorELNS0_4arch9wavefront6targetE1EEEvT1_
	.p2align	8
	.type	_ZN7rocprim17ROCPRIM_400000_NS6detail17trampoline_kernelINS0_14default_configENS1_20scan_config_selectorIsEEZZNS1_9scan_implILNS1_25lookback_scan_determinismE0ELb0ELb0ES3_N6thrust23THRUST_200600_302600_NS6detail15normal_iteratorINS9_10device_ptrIsEEEESE_s9plus_mod3IsEsEEDaPvRmT3_T4_T5_mT6_P12ihipStream_tbENKUlT_T0_E_clISt17integral_constantIbLb1EEST_IbLb0EEEEDaSP_SQ_EUlSP_E_NS1_11comp_targetILNS1_3genE3ELNS1_11target_archE908ELNS1_3gpuE7ELNS1_3repE0EEENS1_30default_config_static_selectorELNS0_4arch9wavefront6targetE1EEEvT1_,@function
_ZN7rocprim17ROCPRIM_400000_NS6detail17trampoline_kernelINS0_14default_configENS1_20scan_config_selectorIsEEZZNS1_9scan_implILNS1_25lookback_scan_determinismE0ELb0ELb0ES3_N6thrust23THRUST_200600_302600_NS6detail15normal_iteratorINS9_10device_ptrIsEEEESE_s9plus_mod3IsEsEEDaPvRmT3_T4_T5_mT6_P12ihipStream_tbENKUlT_T0_E_clISt17integral_constantIbLb1EEST_IbLb0EEEEDaSP_SQ_EUlSP_E_NS1_11comp_targetILNS1_3genE3ELNS1_11target_archE908ELNS1_3gpuE7ELNS1_3repE0EEENS1_30default_config_static_selectorELNS0_4arch9wavefront6targetE1EEEvT1_: ; @_ZN7rocprim17ROCPRIM_400000_NS6detail17trampoline_kernelINS0_14default_configENS1_20scan_config_selectorIsEEZZNS1_9scan_implILNS1_25lookback_scan_determinismE0ELb0ELb0ES3_N6thrust23THRUST_200600_302600_NS6detail15normal_iteratorINS9_10device_ptrIsEEEESE_s9plus_mod3IsEsEEDaPvRmT3_T4_T5_mT6_P12ihipStream_tbENKUlT_T0_E_clISt17integral_constantIbLb1EEST_IbLb0EEEEDaSP_SQ_EUlSP_E_NS1_11comp_targetILNS1_3genE3ELNS1_11target_archE908ELNS1_3gpuE7ELNS1_3repE0EEENS1_30default_config_static_selectorELNS0_4arch9wavefront6targetE1EEEvT1_
; %bb.0:
	.section	.rodata,"a",@progbits
	.p2align	6, 0x0
	.amdhsa_kernel _ZN7rocprim17ROCPRIM_400000_NS6detail17trampoline_kernelINS0_14default_configENS1_20scan_config_selectorIsEEZZNS1_9scan_implILNS1_25lookback_scan_determinismE0ELb0ELb0ES3_N6thrust23THRUST_200600_302600_NS6detail15normal_iteratorINS9_10device_ptrIsEEEESE_s9plus_mod3IsEsEEDaPvRmT3_T4_T5_mT6_P12ihipStream_tbENKUlT_T0_E_clISt17integral_constantIbLb1EEST_IbLb0EEEEDaSP_SQ_EUlSP_E_NS1_11comp_targetILNS1_3genE3ELNS1_11target_archE908ELNS1_3gpuE7ELNS1_3repE0EEENS1_30default_config_static_selectorELNS0_4arch9wavefront6targetE1EEEvT1_
		.amdhsa_group_segment_fixed_size 0
		.amdhsa_private_segment_fixed_size 0
		.amdhsa_kernarg_size 104
		.amdhsa_user_sgpr_count 6
		.amdhsa_user_sgpr_private_segment_buffer 1
		.amdhsa_user_sgpr_dispatch_ptr 0
		.amdhsa_user_sgpr_queue_ptr 0
		.amdhsa_user_sgpr_kernarg_segment_ptr 1
		.amdhsa_user_sgpr_dispatch_id 0
		.amdhsa_user_sgpr_flat_scratch_init 0
		.amdhsa_user_sgpr_kernarg_preload_length 0
		.amdhsa_user_sgpr_kernarg_preload_offset 0
		.amdhsa_user_sgpr_private_segment_size 0
		.amdhsa_uses_dynamic_stack 0
		.amdhsa_system_sgpr_private_segment_wavefront_offset 0
		.amdhsa_system_sgpr_workgroup_id_x 1
		.amdhsa_system_sgpr_workgroup_id_y 0
		.amdhsa_system_sgpr_workgroup_id_z 0
		.amdhsa_system_sgpr_workgroup_info 0
		.amdhsa_system_vgpr_workitem_id 0
		.amdhsa_next_free_vgpr 1
		.amdhsa_next_free_sgpr 0
		.amdhsa_accum_offset 4
		.amdhsa_reserve_vcc 0
		.amdhsa_reserve_flat_scratch 0
		.amdhsa_float_round_mode_32 0
		.amdhsa_float_round_mode_16_64 0
		.amdhsa_float_denorm_mode_32 3
		.amdhsa_float_denorm_mode_16_64 3
		.amdhsa_dx10_clamp 1
		.amdhsa_ieee_mode 1
		.amdhsa_fp16_overflow 0
		.amdhsa_tg_split 0
		.amdhsa_exception_fp_ieee_invalid_op 0
		.amdhsa_exception_fp_denorm_src 0
		.amdhsa_exception_fp_ieee_div_zero 0
		.amdhsa_exception_fp_ieee_overflow 0
		.amdhsa_exception_fp_ieee_underflow 0
		.amdhsa_exception_fp_ieee_inexact 0
		.amdhsa_exception_int_div_zero 0
	.end_amdhsa_kernel
	.section	.text._ZN7rocprim17ROCPRIM_400000_NS6detail17trampoline_kernelINS0_14default_configENS1_20scan_config_selectorIsEEZZNS1_9scan_implILNS1_25lookback_scan_determinismE0ELb0ELb0ES3_N6thrust23THRUST_200600_302600_NS6detail15normal_iteratorINS9_10device_ptrIsEEEESE_s9plus_mod3IsEsEEDaPvRmT3_T4_T5_mT6_P12ihipStream_tbENKUlT_T0_E_clISt17integral_constantIbLb1EEST_IbLb0EEEEDaSP_SQ_EUlSP_E_NS1_11comp_targetILNS1_3genE3ELNS1_11target_archE908ELNS1_3gpuE7ELNS1_3repE0EEENS1_30default_config_static_selectorELNS0_4arch9wavefront6targetE1EEEvT1_,"axG",@progbits,_ZN7rocprim17ROCPRIM_400000_NS6detail17trampoline_kernelINS0_14default_configENS1_20scan_config_selectorIsEEZZNS1_9scan_implILNS1_25lookback_scan_determinismE0ELb0ELb0ES3_N6thrust23THRUST_200600_302600_NS6detail15normal_iteratorINS9_10device_ptrIsEEEESE_s9plus_mod3IsEsEEDaPvRmT3_T4_T5_mT6_P12ihipStream_tbENKUlT_T0_E_clISt17integral_constantIbLb1EEST_IbLb0EEEEDaSP_SQ_EUlSP_E_NS1_11comp_targetILNS1_3genE3ELNS1_11target_archE908ELNS1_3gpuE7ELNS1_3repE0EEENS1_30default_config_static_selectorELNS0_4arch9wavefront6targetE1EEEvT1_,comdat
.Lfunc_end6717:
	.size	_ZN7rocprim17ROCPRIM_400000_NS6detail17trampoline_kernelINS0_14default_configENS1_20scan_config_selectorIsEEZZNS1_9scan_implILNS1_25lookback_scan_determinismE0ELb0ELb0ES3_N6thrust23THRUST_200600_302600_NS6detail15normal_iteratorINS9_10device_ptrIsEEEESE_s9plus_mod3IsEsEEDaPvRmT3_T4_T5_mT6_P12ihipStream_tbENKUlT_T0_E_clISt17integral_constantIbLb1EEST_IbLb0EEEEDaSP_SQ_EUlSP_E_NS1_11comp_targetILNS1_3genE3ELNS1_11target_archE908ELNS1_3gpuE7ELNS1_3repE0EEENS1_30default_config_static_selectorELNS0_4arch9wavefront6targetE1EEEvT1_, .Lfunc_end6717-_ZN7rocprim17ROCPRIM_400000_NS6detail17trampoline_kernelINS0_14default_configENS1_20scan_config_selectorIsEEZZNS1_9scan_implILNS1_25lookback_scan_determinismE0ELb0ELb0ES3_N6thrust23THRUST_200600_302600_NS6detail15normal_iteratorINS9_10device_ptrIsEEEESE_s9plus_mod3IsEsEEDaPvRmT3_T4_T5_mT6_P12ihipStream_tbENKUlT_T0_E_clISt17integral_constantIbLb1EEST_IbLb0EEEEDaSP_SQ_EUlSP_E_NS1_11comp_targetILNS1_3genE3ELNS1_11target_archE908ELNS1_3gpuE7ELNS1_3repE0EEENS1_30default_config_static_selectorELNS0_4arch9wavefront6targetE1EEEvT1_
                                        ; -- End function
	.section	.AMDGPU.csdata,"",@progbits
; Kernel info:
; codeLenInByte = 0
; NumSgprs: 4
; NumVgprs: 0
; NumAgprs: 0
; TotalNumVgprs: 0
; ScratchSize: 0
; MemoryBound: 0
; FloatMode: 240
; IeeeMode: 1
; LDSByteSize: 0 bytes/workgroup (compile time only)
; SGPRBlocks: 0
; VGPRBlocks: 0
; NumSGPRsForWavesPerEU: 4
; NumVGPRsForWavesPerEU: 1
; AccumOffset: 4
; Occupancy: 8
; WaveLimiterHint : 0
; COMPUTE_PGM_RSRC2:SCRATCH_EN: 0
; COMPUTE_PGM_RSRC2:USER_SGPR: 6
; COMPUTE_PGM_RSRC2:TRAP_HANDLER: 0
; COMPUTE_PGM_RSRC2:TGID_X_EN: 1
; COMPUTE_PGM_RSRC2:TGID_Y_EN: 0
; COMPUTE_PGM_RSRC2:TGID_Z_EN: 0
; COMPUTE_PGM_RSRC2:TIDIG_COMP_CNT: 0
; COMPUTE_PGM_RSRC3_GFX90A:ACCUM_OFFSET: 0
; COMPUTE_PGM_RSRC3_GFX90A:TG_SPLIT: 0
	.section	.text._ZN7rocprim17ROCPRIM_400000_NS6detail17trampoline_kernelINS0_14default_configENS1_20scan_config_selectorIsEEZZNS1_9scan_implILNS1_25lookback_scan_determinismE0ELb0ELb0ES3_N6thrust23THRUST_200600_302600_NS6detail15normal_iteratorINS9_10device_ptrIsEEEESE_s9plus_mod3IsEsEEDaPvRmT3_T4_T5_mT6_P12ihipStream_tbENKUlT_T0_E_clISt17integral_constantIbLb1EEST_IbLb0EEEEDaSP_SQ_EUlSP_E_NS1_11comp_targetILNS1_3genE2ELNS1_11target_archE906ELNS1_3gpuE6ELNS1_3repE0EEENS1_30default_config_static_selectorELNS0_4arch9wavefront6targetE1EEEvT1_,"axG",@progbits,_ZN7rocprim17ROCPRIM_400000_NS6detail17trampoline_kernelINS0_14default_configENS1_20scan_config_selectorIsEEZZNS1_9scan_implILNS1_25lookback_scan_determinismE0ELb0ELb0ES3_N6thrust23THRUST_200600_302600_NS6detail15normal_iteratorINS9_10device_ptrIsEEEESE_s9plus_mod3IsEsEEDaPvRmT3_T4_T5_mT6_P12ihipStream_tbENKUlT_T0_E_clISt17integral_constantIbLb1EEST_IbLb0EEEEDaSP_SQ_EUlSP_E_NS1_11comp_targetILNS1_3genE2ELNS1_11target_archE906ELNS1_3gpuE6ELNS1_3repE0EEENS1_30default_config_static_selectorELNS0_4arch9wavefront6targetE1EEEvT1_,comdat
	.protected	_ZN7rocprim17ROCPRIM_400000_NS6detail17trampoline_kernelINS0_14default_configENS1_20scan_config_selectorIsEEZZNS1_9scan_implILNS1_25lookback_scan_determinismE0ELb0ELb0ES3_N6thrust23THRUST_200600_302600_NS6detail15normal_iteratorINS9_10device_ptrIsEEEESE_s9plus_mod3IsEsEEDaPvRmT3_T4_T5_mT6_P12ihipStream_tbENKUlT_T0_E_clISt17integral_constantIbLb1EEST_IbLb0EEEEDaSP_SQ_EUlSP_E_NS1_11comp_targetILNS1_3genE2ELNS1_11target_archE906ELNS1_3gpuE6ELNS1_3repE0EEENS1_30default_config_static_selectorELNS0_4arch9wavefront6targetE1EEEvT1_ ; -- Begin function _ZN7rocprim17ROCPRIM_400000_NS6detail17trampoline_kernelINS0_14default_configENS1_20scan_config_selectorIsEEZZNS1_9scan_implILNS1_25lookback_scan_determinismE0ELb0ELb0ES3_N6thrust23THRUST_200600_302600_NS6detail15normal_iteratorINS9_10device_ptrIsEEEESE_s9plus_mod3IsEsEEDaPvRmT3_T4_T5_mT6_P12ihipStream_tbENKUlT_T0_E_clISt17integral_constantIbLb1EEST_IbLb0EEEEDaSP_SQ_EUlSP_E_NS1_11comp_targetILNS1_3genE2ELNS1_11target_archE906ELNS1_3gpuE6ELNS1_3repE0EEENS1_30default_config_static_selectorELNS0_4arch9wavefront6targetE1EEEvT1_
	.globl	_ZN7rocprim17ROCPRIM_400000_NS6detail17trampoline_kernelINS0_14default_configENS1_20scan_config_selectorIsEEZZNS1_9scan_implILNS1_25lookback_scan_determinismE0ELb0ELb0ES3_N6thrust23THRUST_200600_302600_NS6detail15normal_iteratorINS9_10device_ptrIsEEEESE_s9plus_mod3IsEsEEDaPvRmT3_T4_T5_mT6_P12ihipStream_tbENKUlT_T0_E_clISt17integral_constantIbLb1EEST_IbLb0EEEEDaSP_SQ_EUlSP_E_NS1_11comp_targetILNS1_3genE2ELNS1_11target_archE906ELNS1_3gpuE6ELNS1_3repE0EEENS1_30default_config_static_selectorELNS0_4arch9wavefront6targetE1EEEvT1_
	.p2align	8
	.type	_ZN7rocprim17ROCPRIM_400000_NS6detail17trampoline_kernelINS0_14default_configENS1_20scan_config_selectorIsEEZZNS1_9scan_implILNS1_25lookback_scan_determinismE0ELb0ELb0ES3_N6thrust23THRUST_200600_302600_NS6detail15normal_iteratorINS9_10device_ptrIsEEEESE_s9plus_mod3IsEsEEDaPvRmT3_T4_T5_mT6_P12ihipStream_tbENKUlT_T0_E_clISt17integral_constantIbLb1EEST_IbLb0EEEEDaSP_SQ_EUlSP_E_NS1_11comp_targetILNS1_3genE2ELNS1_11target_archE906ELNS1_3gpuE6ELNS1_3repE0EEENS1_30default_config_static_selectorELNS0_4arch9wavefront6targetE1EEEvT1_,@function
_ZN7rocprim17ROCPRIM_400000_NS6detail17trampoline_kernelINS0_14default_configENS1_20scan_config_selectorIsEEZZNS1_9scan_implILNS1_25lookback_scan_determinismE0ELb0ELb0ES3_N6thrust23THRUST_200600_302600_NS6detail15normal_iteratorINS9_10device_ptrIsEEEESE_s9plus_mod3IsEsEEDaPvRmT3_T4_T5_mT6_P12ihipStream_tbENKUlT_T0_E_clISt17integral_constantIbLb1EEST_IbLb0EEEEDaSP_SQ_EUlSP_E_NS1_11comp_targetILNS1_3genE2ELNS1_11target_archE906ELNS1_3gpuE6ELNS1_3repE0EEENS1_30default_config_static_selectorELNS0_4arch9wavefront6targetE1EEEvT1_: ; @_ZN7rocprim17ROCPRIM_400000_NS6detail17trampoline_kernelINS0_14default_configENS1_20scan_config_selectorIsEEZZNS1_9scan_implILNS1_25lookback_scan_determinismE0ELb0ELb0ES3_N6thrust23THRUST_200600_302600_NS6detail15normal_iteratorINS9_10device_ptrIsEEEESE_s9plus_mod3IsEsEEDaPvRmT3_T4_T5_mT6_P12ihipStream_tbENKUlT_T0_E_clISt17integral_constantIbLb1EEST_IbLb0EEEEDaSP_SQ_EUlSP_E_NS1_11comp_targetILNS1_3genE2ELNS1_11target_archE906ELNS1_3gpuE6ELNS1_3repE0EEENS1_30default_config_static_selectorELNS0_4arch9wavefront6targetE1EEEvT1_
; %bb.0:
	.section	.rodata,"a",@progbits
	.p2align	6, 0x0
	.amdhsa_kernel _ZN7rocprim17ROCPRIM_400000_NS6detail17trampoline_kernelINS0_14default_configENS1_20scan_config_selectorIsEEZZNS1_9scan_implILNS1_25lookback_scan_determinismE0ELb0ELb0ES3_N6thrust23THRUST_200600_302600_NS6detail15normal_iteratorINS9_10device_ptrIsEEEESE_s9plus_mod3IsEsEEDaPvRmT3_T4_T5_mT6_P12ihipStream_tbENKUlT_T0_E_clISt17integral_constantIbLb1EEST_IbLb0EEEEDaSP_SQ_EUlSP_E_NS1_11comp_targetILNS1_3genE2ELNS1_11target_archE906ELNS1_3gpuE6ELNS1_3repE0EEENS1_30default_config_static_selectorELNS0_4arch9wavefront6targetE1EEEvT1_
		.amdhsa_group_segment_fixed_size 0
		.amdhsa_private_segment_fixed_size 0
		.amdhsa_kernarg_size 104
		.amdhsa_user_sgpr_count 6
		.amdhsa_user_sgpr_private_segment_buffer 1
		.amdhsa_user_sgpr_dispatch_ptr 0
		.amdhsa_user_sgpr_queue_ptr 0
		.amdhsa_user_sgpr_kernarg_segment_ptr 1
		.amdhsa_user_sgpr_dispatch_id 0
		.amdhsa_user_sgpr_flat_scratch_init 0
		.amdhsa_user_sgpr_kernarg_preload_length 0
		.amdhsa_user_sgpr_kernarg_preload_offset 0
		.amdhsa_user_sgpr_private_segment_size 0
		.amdhsa_uses_dynamic_stack 0
		.amdhsa_system_sgpr_private_segment_wavefront_offset 0
		.amdhsa_system_sgpr_workgroup_id_x 1
		.amdhsa_system_sgpr_workgroup_id_y 0
		.amdhsa_system_sgpr_workgroup_id_z 0
		.amdhsa_system_sgpr_workgroup_info 0
		.amdhsa_system_vgpr_workitem_id 0
		.amdhsa_next_free_vgpr 1
		.amdhsa_next_free_sgpr 0
		.amdhsa_accum_offset 4
		.amdhsa_reserve_vcc 0
		.amdhsa_reserve_flat_scratch 0
		.amdhsa_float_round_mode_32 0
		.amdhsa_float_round_mode_16_64 0
		.amdhsa_float_denorm_mode_32 3
		.amdhsa_float_denorm_mode_16_64 3
		.amdhsa_dx10_clamp 1
		.amdhsa_ieee_mode 1
		.amdhsa_fp16_overflow 0
		.amdhsa_tg_split 0
		.amdhsa_exception_fp_ieee_invalid_op 0
		.amdhsa_exception_fp_denorm_src 0
		.amdhsa_exception_fp_ieee_div_zero 0
		.amdhsa_exception_fp_ieee_overflow 0
		.amdhsa_exception_fp_ieee_underflow 0
		.amdhsa_exception_fp_ieee_inexact 0
		.amdhsa_exception_int_div_zero 0
	.end_amdhsa_kernel
	.section	.text._ZN7rocprim17ROCPRIM_400000_NS6detail17trampoline_kernelINS0_14default_configENS1_20scan_config_selectorIsEEZZNS1_9scan_implILNS1_25lookback_scan_determinismE0ELb0ELb0ES3_N6thrust23THRUST_200600_302600_NS6detail15normal_iteratorINS9_10device_ptrIsEEEESE_s9plus_mod3IsEsEEDaPvRmT3_T4_T5_mT6_P12ihipStream_tbENKUlT_T0_E_clISt17integral_constantIbLb1EEST_IbLb0EEEEDaSP_SQ_EUlSP_E_NS1_11comp_targetILNS1_3genE2ELNS1_11target_archE906ELNS1_3gpuE6ELNS1_3repE0EEENS1_30default_config_static_selectorELNS0_4arch9wavefront6targetE1EEEvT1_,"axG",@progbits,_ZN7rocprim17ROCPRIM_400000_NS6detail17trampoline_kernelINS0_14default_configENS1_20scan_config_selectorIsEEZZNS1_9scan_implILNS1_25lookback_scan_determinismE0ELb0ELb0ES3_N6thrust23THRUST_200600_302600_NS6detail15normal_iteratorINS9_10device_ptrIsEEEESE_s9plus_mod3IsEsEEDaPvRmT3_T4_T5_mT6_P12ihipStream_tbENKUlT_T0_E_clISt17integral_constantIbLb1EEST_IbLb0EEEEDaSP_SQ_EUlSP_E_NS1_11comp_targetILNS1_3genE2ELNS1_11target_archE906ELNS1_3gpuE6ELNS1_3repE0EEENS1_30default_config_static_selectorELNS0_4arch9wavefront6targetE1EEEvT1_,comdat
.Lfunc_end6718:
	.size	_ZN7rocprim17ROCPRIM_400000_NS6detail17trampoline_kernelINS0_14default_configENS1_20scan_config_selectorIsEEZZNS1_9scan_implILNS1_25lookback_scan_determinismE0ELb0ELb0ES3_N6thrust23THRUST_200600_302600_NS6detail15normal_iteratorINS9_10device_ptrIsEEEESE_s9plus_mod3IsEsEEDaPvRmT3_T4_T5_mT6_P12ihipStream_tbENKUlT_T0_E_clISt17integral_constantIbLb1EEST_IbLb0EEEEDaSP_SQ_EUlSP_E_NS1_11comp_targetILNS1_3genE2ELNS1_11target_archE906ELNS1_3gpuE6ELNS1_3repE0EEENS1_30default_config_static_selectorELNS0_4arch9wavefront6targetE1EEEvT1_, .Lfunc_end6718-_ZN7rocprim17ROCPRIM_400000_NS6detail17trampoline_kernelINS0_14default_configENS1_20scan_config_selectorIsEEZZNS1_9scan_implILNS1_25lookback_scan_determinismE0ELb0ELb0ES3_N6thrust23THRUST_200600_302600_NS6detail15normal_iteratorINS9_10device_ptrIsEEEESE_s9plus_mod3IsEsEEDaPvRmT3_T4_T5_mT6_P12ihipStream_tbENKUlT_T0_E_clISt17integral_constantIbLb1EEST_IbLb0EEEEDaSP_SQ_EUlSP_E_NS1_11comp_targetILNS1_3genE2ELNS1_11target_archE906ELNS1_3gpuE6ELNS1_3repE0EEENS1_30default_config_static_selectorELNS0_4arch9wavefront6targetE1EEEvT1_
                                        ; -- End function
	.section	.AMDGPU.csdata,"",@progbits
; Kernel info:
; codeLenInByte = 0
; NumSgprs: 4
; NumVgprs: 0
; NumAgprs: 0
; TotalNumVgprs: 0
; ScratchSize: 0
; MemoryBound: 0
; FloatMode: 240
; IeeeMode: 1
; LDSByteSize: 0 bytes/workgroup (compile time only)
; SGPRBlocks: 0
; VGPRBlocks: 0
; NumSGPRsForWavesPerEU: 4
; NumVGPRsForWavesPerEU: 1
; AccumOffset: 4
; Occupancy: 8
; WaveLimiterHint : 0
; COMPUTE_PGM_RSRC2:SCRATCH_EN: 0
; COMPUTE_PGM_RSRC2:USER_SGPR: 6
; COMPUTE_PGM_RSRC2:TRAP_HANDLER: 0
; COMPUTE_PGM_RSRC2:TGID_X_EN: 1
; COMPUTE_PGM_RSRC2:TGID_Y_EN: 0
; COMPUTE_PGM_RSRC2:TGID_Z_EN: 0
; COMPUTE_PGM_RSRC2:TIDIG_COMP_CNT: 0
; COMPUTE_PGM_RSRC3_GFX90A:ACCUM_OFFSET: 0
; COMPUTE_PGM_RSRC3_GFX90A:TG_SPLIT: 0
	.section	.text._ZN7rocprim17ROCPRIM_400000_NS6detail17trampoline_kernelINS0_14default_configENS1_20scan_config_selectorIsEEZZNS1_9scan_implILNS1_25lookback_scan_determinismE0ELb0ELb0ES3_N6thrust23THRUST_200600_302600_NS6detail15normal_iteratorINS9_10device_ptrIsEEEESE_s9plus_mod3IsEsEEDaPvRmT3_T4_T5_mT6_P12ihipStream_tbENKUlT_T0_E_clISt17integral_constantIbLb1EEST_IbLb0EEEEDaSP_SQ_EUlSP_E_NS1_11comp_targetILNS1_3genE10ELNS1_11target_archE1201ELNS1_3gpuE5ELNS1_3repE0EEENS1_30default_config_static_selectorELNS0_4arch9wavefront6targetE1EEEvT1_,"axG",@progbits,_ZN7rocprim17ROCPRIM_400000_NS6detail17trampoline_kernelINS0_14default_configENS1_20scan_config_selectorIsEEZZNS1_9scan_implILNS1_25lookback_scan_determinismE0ELb0ELb0ES3_N6thrust23THRUST_200600_302600_NS6detail15normal_iteratorINS9_10device_ptrIsEEEESE_s9plus_mod3IsEsEEDaPvRmT3_T4_T5_mT6_P12ihipStream_tbENKUlT_T0_E_clISt17integral_constantIbLb1EEST_IbLb0EEEEDaSP_SQ_EUlSP_E_NS1_11comp_targetILNS1_3genE10ELNS1_11target_archE1201ELNS1_3gpuE5ELNS1_3repE0EEENS1_30default_config_static_selectorELNS0_4arch9wavefront6targetE1EEEvT1_,comdat
	.protected	_ZN7rocprim17ROCPRIM_400000_NS6detail17trampoline_kernelINS0_14default_configENS1_20scan_config_selectorIsEEZZNS1_9scan_implILNS1_25lookback_scan_determinismE0ELb0ELb0ES3_N6thrust23THRUST_200600_302600_NS6detail15normal_iteratorINS9_10device_ptrIsEEEESE_s9plus_mod3IsEsEEDaPvRmT3_T4_T5_mT6_P12ihipStream_tbENKUlT_T0_E_clISt17integral_constantIbLb1EEST_IbLb0EEEEDaSP_SQ_EUlSP_E_NS1_11comp_targetILNS1_3genE10ELNS1_11target_archE1201ELNS1_3gpuE5ELNS1_3repE0EEENS1_30default_config_static_selectorELNS0_4arch9wavefront6targetE1EEEvT1_ ; -- Begin function _ZN7rocprim17ROCPRIM_400000_NS6detail17trampoline_kernelINS0_14default_configENS1_20scan_config_selectorIsEEZZNS1_9scan_implILNS1_25lookback_scan_determinismE0ELb0ELb0ES3_N6thrust23THRUST_200600_302600_NS6detail15normal_iteratorINS9_10device_ptrIsEEEESE_s9plus_mod3IsEsEEDaPvRmT3_T4_T5_mT6_P12ihipStream_tbENKUlT_T0_E_clISt17integral_constantIbLb1EEST_IbLb0EEEEDaSP_SQ_EUlSP_E_NS1_11comp_targetILNS1_3genE10ELNS1_11target_archE1201ELNS1_3gpuE5ELNS1_3repE0EEENS1_30default_config_static_selectorELNS0_4arch9wavefront6targetE1EEEvT1_
	.globl	_ZN7rocprim17ROCPRIM_400000_NS6detail17trampoline_kernelINS0_14default_configENS1_20scan_config_selectorIsEEZZNS1_9scan_implILNS1_25lookback_scan_determinismE0ELb0ELb0ES3_N6thrust23THRUST_200600_302600_NS6detail15normal_iteratorINS9_10device_ptrIsEEEESE_s9plus_mod3IsEsEEDaPvRmT3_T4_T5_mT6_P12ihipStream_tbENKUlT_T0_E_clISt17integral_constantIbLb1EEST_IbLb0EEEEDaSP_SQ_EUlSP_E_NS1_11comp_targetILNS1_3genE10ELNS1_11target_archE1201ELNS1_3gpuE5ELNS1_3repE0EEENS1_30default_config_static_selectorELNS0_4arch9wavefront6targetE1EEEvT1_
	.p2align	8
	.type	_ZN7rocprim17ROCPRIM_400000_NS6detail17trampoline_kernelINS0_14default_configENS1_20scan_config_selectorIsEEZZNS1_9scan_implILNS1_25lookback_scan_determinismE0ELb0ELb0ES3_N6thrust23THRUST_200600_302600_NS6detail15normal_iteratorINS9_10device_ptrIsEEEESE_s9plus_mod3IsEsEEDaPvRmT3_T4_T5_mT6_P12ihipStream_tbENKUlT_T0_E_clISt17integral_constantIbLb1EEST_IbLb0EEEEDaSP_SQ_EUlSP_E_NS1_11comp_targetILNS1_3genE10ELNS1_11target_archE1201ELNS1_3gpuE5ELNS1_3repE0EEENS1_30default_config_static_selectorELNS0_4arch9wavefront6targetE1EEEvT1_,@function
_ZN7rocprim17ROCPRIM_400000_NS6detail17trampoline_kernelINS0_14default_configENS1_20scan_config_selectorIsEEZZNS1_9scan_implILNS1_25lookback_scan_determinismE0ELb0ELb0ES3_N6thrust23THRUST_200600_302600_NS6detail15normal_iteratorINS9_10device_ptrIsEEEESE_s9plus_mod3IsEsEEDaPvRmT3_T4_T5_mT6_P12ihipStream_tbENKUlT_T0_E_clISt17integral_constantIbLb1EEST_IbLb0EEEEDaSP_SQ_EUlSP_E_NS1_11comp_targetILNS1_3genE10ELNS1_11target_archE1201ELNS1_3gpuE5ELNS1_3repE0EEENS1_30default_config_static_selectorELNS0_4arch9wavefront6targetE1EEEvT1_: ; @_ZN7rocprim17ROCPRIM_400000_NS6detail17trampoline_kernelINS0_14default_configENS1_20scan_config_selectorIsEEZZNS1_9scan_implILNS1_25lookback_scan_determinismE0ELb0ELb0ES3_N6thrust23THRUST_200600_302600_NS6detail15normal_iteratorINS9_10device_ptrIsEEEESE_s9plus_mod3IsEsEEDaPvRmT3_T4_T5_mT6_P12ihipStream_tbENKUlT_T0_E_clISt17integral_constantIbLb1EEST_IbLb0EEEEDaSP_SQ_EUlSP_E_NS1_11comp_targetILNS1_3genE10ELNS1_11target_archE1201ELNS1_3gpuE5ELNS1_3repE0EEENS1_30default_config_static_selectorELNS0_4arch9wavefront6targetE1EEEvT1_
; %bb.0:
	.section	.rodata,"a",@progbits
	.p2align	6, 0x0
	.amdhsa_kernel _ZN7rocprim17ROCPRIM_400000_NS6detail17trampoline_kernelINS0_14default_configENS1_20scan_config_selectorIsEEZZNS1_9scan_implILNS1_25lookback_scan_determinismE0ELb0ELb0ES3_N6thrust23THRUST_200600_302600_NS6detail15normal_iteratorINS9_10device_ptrIsEEEESE_s9plus_mod3IsEsEEDaPvRmT3_T4_T5_mT6_P12ihipStream_tbENKUlT_T0_E_clISt17integral_constantIbLb1EEST_IbLb0EEEEDaSP_SQ_EUlSP_E_NS1_11comp_targetILNS1_3genE10ELNS1_11target_archE1201ELNS1_3gpuE5ELNS1_3repE0EEENS1_30default_config_static_selectorELNS0_4arch9wavefront6targetE1EEEvT1_
		.amdhsa_group_segment_fixed_size 0
		.amdhsa_private_segment_fixed_size 0
		.amdhsa_kernarg_size 104
		.amdhsa_user_sgpr_count 6
		.amdhsa_user_sgpr_private_segment_buffer 1
		.amdhsa_user_sgpr_dispatch_ptr 0
		.amdhsa_user_sgpr_queue_ptr 0
		.amdhsa_user_sgpr_kernarg_segment_ptr 1
		.amdhsa_user_sgpr_dispatch_id 0
		.amdhsa_user_sgpr_flat_scratch_init 0
		.amdhsa_user_sgpr_kernarg_preload_length 0
		.amdhsa_user_sgpr_kernarg_preload_offset 0
		.amdhsa_user_sgpr_private_segment_size 0
		.amdhsa_uses_dynamic_stack 0
		.amdhsa_system_sgpr_private_segment_wavefront_offset 0
		.amdhsa_system_sgpr_workgroup_id_x 1
		.amdhsa_system_sgpr_workgroup_id_y 0
		.amdhsa_system_sgpr_workgroup_id_z 0
		.amdhsa_system_sgpr_workgroup_info 0
		.amdhsa_system_vgpr_workitem_id 0
		.amdhsa_next_free_vgpr 1
		.amdhsa_next_free_sgpr 0
		.amdhsa_accum_offset 4
		.amdhsa_reserve_vcc 0
		.amdhsa_reserve_flat_scratch 0
		.amdhsa_float_round_mode_32 0
		.amdhsa_float_round_mode_16_64 0
		.amdhsa_float_denorm_mode_32 3
		.amdhsa_float_denorm_mode_16_64 3
		.amdhsa_dx10_clamp 1
		.amdhsa_ieee_mode 1
		.amdhsa_fp16_overflow 0
		.amdhsa_tg_split 0
		.amdhsa_exception_fp_ieee_invalid_op 0
		.amdhsa_exception_fp_denorm_src 0
		.amdhsa_exception_fp_ieee_div_zero 0
		.amdhsa_exception_fp_ieee_overflow 0
		.amdhsa_exception_fp_ieee_underflow 0
		.amdhsa_exception_fp_ieee_inexact 0
		.amdhsa_exception_int_div_zero 0
	.end_amdhsa_kernel
	.section	.text._ZN7rocprim17ROCPRIM_400000_NS6detail17trampoline_kernelINS0_14default_configENS1_20scan_config_selectorIsEEZZNS1_9scan_implILNS1_25lookback_scan_determinismE0ELb0ELb0ES3_N6thrust23THRUST_200600_302600_NS6detail15normal_iteratorINS9_10device_ptrIsEEEESE_s9plus_mod3IsEsEEDaPvRmT3_T4_T5_mT6_P12ihipStream_tbENKUlT_T0_E_clISt17integral_constantIbLb1EEST_IbLb0EEEEDaSP_SQ_EUlSP_E_NS1_11comp_targetILNS1_3genE10ELNS1_11target_archE1201ELNS1_3gpuE5ELNS1_3repE0EEENS1_30default_config_static_selectorELNS0_4arch9wavefront6targetE1EEEvT1_,"axG",@progbits,_ZN7rocprim17ROCPRIM_400000_NS6detail17trampoline_kernelINS0_14default_configENS1_20scan_config_selectorIsEEZZNS1_9scan_implILNS1_25lookback_scan_determinismE0ELb0ELb0ES3_N6thrust23THRUST_200600_302600_NS6detail15normal_iteratorINS9_10device_ptrIsEEEESE_s9plus_mod3IsEsEEDaPvRmT3_T4_T5_mT6_P12ihipStream_tbENKUlT_T0_E_clISt17integral_constantIbLb1EEST_IbLb0EEEEDaSP_SQ_EUlSP_E_NS1_11comp_targetILNS1_3genE10ELNS1_11target_archE1201ELNS1_3gpuE5ELNS1_3repE0EEENS1_30default_config_static_selectorELNS0_4arch9wavefront6targetE1EEEvT1_,comdat
.Lfunc_end6719:
	.size	_ZN7rocprim17ROCPRIM_400000_NS6detail17trampoline_kernelINS0_14default_configENS1_20scan_config_selectorIsEEZZNS1_9scan_implILNS1_25lookback_scan_determinismE0ELb0ELb0ES3_N6thrust23THRUST_200600_302600_NS6detail15normal_iteratorINS9_10device_ptrIsEEEESE_s9plus_mod3IsEsEEDaPvRmT3_T4_T5_mT6_P12ihipStream_tbENKUlT_T0_E_clISt17integral_constantIbLb1EEST_IbLb0EEEEDaSP_SQ_EUlSP_E_NS1_11comp_targetILNS1_3genE10ELNS1_11target_archE1201ELNS1_3gpuE5ELNS1_3repE0EEENS1_30default_config_static_selectorELNS0_4arch9wavefront6targetE1EEEvT1_, .Lfunc_end6719-_ZN7rocprim17ROCPRIM_400000_NS6detail17trampoline_kernelINS0_14default_configENS1_20scan_config_selectorIsEEZZNS1_9scan_implILNS1_25lookback_scan_determinismE0ELb0ELb0ES3_N6thrust23THRUST_200600_302600_NS6detail15normal_iteratorINS9_10device_ptrIsEEEESE_s9plus_mod3IsEsEEDaPvRmT3_T4_T5_mT6_P12ihipStream_tbENKUlT_T0_E_clISt17integral_constantIbLb1EEST_IbLb0EEEEDaSP_SQ_EUlSP_E_NS1_11comp_targetILNS1_3genE10ELNS1_11target_archE1201ELNS1_3gpuE5ELNS1_3repE0EEENS1_30default_config_static_selectorELNS0_4arch9wavefront6targetE1EEEvT1_
                                        ; -- End function
	.section	.AMDGPU.csdata,"",@progbits
; Kernel info:
; codeLenInByte = 0
; NumSgprs: 4
; NumVgprs: 0
; NumAgprs: 0
; TotalNumVgprs: 0
; ScratchSize: 0
; MemoryBound: 0
; FloatMode: 240
; IeeeMode: 1
; LDSByteSize: 0 bytes/workgroup (compile time only)
; SGPRBlocks: 0
; VGPRBlocks: 0
; NumSGPRsForWavesPerEU: 4
; NumVGPRsForWavesPerEU: 1
; AccumOffset: 4
; Occupancy: 8
; WaveLimiterHint : 0
; COMPUTE_PGM_RSRC2:SCRATCH_EN: 0
; COMPUTE_PGM_RSRC2:USER_SGPR: 6
; COMPUTE_PGM_RSRC2:TRAP_HANDLER: 0
; COMPUTE_PGM_RSRC2:TGID_X_EN: 1
; COMPUTE_PGM_RSRC2:TGID_Y_EN: 0
; COMPUTE_PGM_RSRC2:TGID_Z_EN: 0
; COMPUTE_PGM_RSRC2:TIDIG_COMP_CNT: 0
; COMPUTE_PGM_RSRC3_GFX90A:ACCUM_OFFSET: 0
; COMPUTE_PGM_RSRC3_GFX90A:TG_SPLIT: 0
	.section	.text._ZN7rocprim17ROCPRIM_400000_NS6detail17trampoline_kernelINS0_14default_configENS1_20scan_config_selectorIsEEZZNS1_9scan_implILNS1_25lookback_scan_determinismE0ELb0ELb0ES3_N6thrust23THRUST_200600_302600_NS6detail15normal_iteratorINS9_10device_ptrIsEEEESE_s9plus_mod3IsEsEEDaPvRmT3_T4_T5_mT6_P12ihipStream_tbENKUlT_T0_E_clISt17integral_constantIbLb1EEST_IbLb0EEEEDaSP_SQ_EUlSP_E_NS1_11comp_targetILNS1_3genE10ELNS1_11target_archE1200ELNS1_3gpuE4ELNS1_3repE0EEENS1_30default_config_static_selectorELNS0_4arch9wavefront6targetE1EEEvT1_,"axG",@progbits,_ZN7rocprim17ROCPRIM_400000_NS6detail17trampoline_kernelINS0_14default_configENS1_20scan_config_selectorIsEEZZNS1_9scan_implILNS1_25lookback_scan_determinismE0ELb0ELb0ES3_N6thrust23THRUST_200600_302600_NS6detail15normal_iteratorINS9_10device_ptrIsEEEESE_s9plus_mod3IsEsEEDaPvRmT3_T4_T5_mT6_P12ihipStream_tbENKUlT_T0_E_clISt17integral_constantIbLb1EEST_IbLb0EEEEDaSP_SQ_EUlSP_E_NS1_11comp_targetILNS1_3genE10ELNS1_11target_archE1200ELNS1_3gpuE4ELNS1_3repE0EEENS1_30default_config_static_selectorELNS0_4arch9wavefront6targetE1EEEvT1_,comdat
	.protected	_ZN7rocprim17ROCPRIM_400000_NS6detail17trampoline_kernelINS0_14default_configENS1_20scan_config_selectorIsEEZZNS1_9scan_implILNS1_25lookback_scan_determinismE0ELb0ELb0ES3_N6thrust23THRUST_200600_302600_NS6detail15normal_iteratorINS9_10device_ptrIsEEEESE_s9plus_mod3IsEsEEDaPvRmT3_T4_T5_mT6_P12ihipStream_tbENKUlT_T0_E_clISt17integral_constantIbLb1EEST_IbLb0EEEEDaSP_SQ_EUlSP_E_NS1_11comp_targetILNS1_3genE10ELNS1_11target_archE1200ELNS1_3gpuE4ELNS1_3repE0EEENS1_30default_config_static_selectorELNS0_4arch9wavefront6targetE1EEEvT1_ ; -- Begin function _ZN7rocprim17ROCPRIM_400000_NS6detail17trampoline_kernelINS0_14default_configENS1_20scan_config_selectorIsEEZZNS1_9scan_implILNS1_25lookback_scan_determinismE0ELb0ELb0ES3_N6thrust23THRUST_200600_302600_NS6detail15normal_iteratorINS9_10device_ptrIsEEEESE_s9plus_mod3IsEsEEDaPvRmT3_T4_T5_mT6_P12ihipStream_tbENKUlT_T0_E_clISt17integral_constantIbLb1EEST_IbLb0EEEEDaSP_SQ_EUlSP_E_NS1_11comp_targetILNS1_3genE10ELNS1_11target_archE1200ELNS1_3gpuE4ELNS1_3repE0EEENS1_30default_config_static_selectorELNS0_4arch9wavefront6targetE1EEEvT1_
	.globl	_ZN7rocprim17ROCPRIM_400000_NS6detail17trampoline_kernelINS0_14default_configENS1_20scan_config_selectorIsEEZZNS1_9scan_implILNS1_25lookback_scan_determinismE0ELb0ELb0ES3_N6thrust23THRUST_200600_302600_NS6detail15normal_iteratorINS9_10device_ptrIsEEEESE_s9plus_mod3IsEsEEDaPvRmT3_T4_T5_mT6_P12ihipStream_tbENKUlT_T0_E_clISt17integral_constantIbLb1EEST_IbLb0EEEEDaSP_SQ_EUlSP_E_NS1_11comp_targetILNS1_3genE10ELNS1_11target_archE1200ELNS1_3gpuE4ELNS1_3repE0EEENS1_30default_config_static_selectorELNS0_4arch9wavefront6targetE1EEEvT1_
	.p2align	8
	.type	_ZN7rocprim17ROCPRIM_400000_NS6detail17trampoline_kernelINS0_14default_configENS1_20scan_config_selectorIsEEZZNS1_9scan_implILNS1_25lookback_scan_determinismE0ELb0ELb0ES3_N6thrust23THRUST_200600_302600_NS6detail15normal_iteratorINS9_10device_ptrIsEEEESE_s9plus_mod3IsEsEEDaPvRmT3_T4_T5_mT6_P12ihipStream_tbENKUlT_T0_E_clISt17integral_constantIbLb1EEST_IbLb0EEEEDaSP_SQ_EUlSP_E_NS1_11comp_targetILNS1_3genE10ELNS1_11target_archE1200ELNS1_3gpuE4ELNS1_3repE0EEENS1_30default_config_static_selectorELNS0_4arch9wavefront6targetE1EEEvT1_,@function
_ZN7rocprim17ROCPRIM_400000_NS6detail17trampoline_kernelINS0_14default_configENS1_20scan_config_selectorIsEEZZNS1_9scan_implILNS1_25lookback_scan_determinismE0ELb0ELb0ES3_N6thrust23THRUST_200600_302600_NS6detail15normal_iteratorINS9_10device_ptrIsEEEESE_s9plus_mod3IsEsEEDaPvRmT3_T4_T5_mT6_P12ihipStream_tbENKUlT_T0_E_clISt17integral_constantIbLb1EEST_IbLb0EEEEDaSP_SQ_EUlSP_E_NS1_11comp_targetILNS1_3genE10ELNS1_11target_archE1200ELNS1_3gpuE4ELNS1_3repE0EEENS1_30default_config_static_selectorELNS0_4arch9wavefront6targetE1EEEvT1_: ; @_ZN7rocprim17ROCPRIM_400000_NS6detail17trampoline_kernelINS0_14default_configENS1_20scan_config_selectorIsEEZZNS1_9scan_implILNS1_25lookback_scan_determinismE0ELb0ELb0ES3_N6thrust23THRUST_200600_302600_NS6detail15normal_iteratorINS9_10device_ptrIsEEEESE_s9plus_mod3IsEsEEDaPvRmT3_T4_T5_mT6_P12ihipStream_tbENKUlT_T0_E_clISt17integral_constantIbLb1EEST_IbLb0EEEEDaSP_SQ_EUlSP_E_NS1_11comp_targetILNS1_3genE10ELNS1_11target_archE1200ELNS1_3gpuE4ELNS1_3repE0EEENS1_30default_config_static_selectorELNS0_4arch9wavefront6targetE1EEEvT1_
; %bb.0:
	.section	.rodata,"a",@progbits
	.p2align	6, 0x0
	.amdhsa_kernel _ZN7rocprim17ROCPRIM_400000_NS6detail17trampoline_kernelINS0_14default_configENS1_20scan_config_selectorIsEEZZNS1_9scan_implILNS1_25lookback_scan_determinismE0ELb0ELb0ES3_N6thrust23THRUST_200600_302600_NS6detail15normal_iteratorINS9_10device_ptrIsEEEESE_s9plus_mod3IsEsEEDaPvRmT3_T4_T5_mT6_P12ihipStream_tbENKUlT_T0_E_clISt17integral_constantIbLb1EEST_IbLb0EEEEDaSP_SQ_EUlSP_E_NS1_11comp_targetILNS1_3genE10ELNS1_11target_archE1200ELNS1_3gpuE4ELNS1_3repE0EEENS1_30default_config_static_selectorELNS0_4arch9wavefront6targetE1EEEvT1_
		.amdhsa_group_segment_fixed_size 0
		.amdhsa_private_segment_fixed_size 0
		.amdhsa_kernarg_size 104
		.amdhsa_user_sgpr_count 6
		.amdhsa_user_sgpr_private_segment_buffer 1
		.amdhsa_user_sgpr_dispatch_ptr 0
		.amdhsa_user_sgpr_queue_ptr 0
		.amdhsa_user_sgpr_kernarg_segment_ptr 1
		.amdhsa_user_sgpr_dispatch_id 0
		.amdhsa_user_sgpr_flat_scratch_init 0
		.amdhsa_user_sgpr_kernarg_preload_length 0
		.amdhsa_user_sgpr_kernarg_preload_offset 0
		.amdhsa_user_sgpr_private_segment_size 0
		.amdhsa_uses_dynamic_stack 0
		.amdhsa_system_sgpr_private_segment_wavefront_offset 0
		.amdhsa_system_sgpr_workgroup_id_x 1
		.amdhsa_system_sgpr_workgroup_id_y 0
		.amdhsa_system_sgpr_workgroup_id_z 0
		.amdhsa_system_sgpr_workgroup_info 0
		.amdhsa_system_vgpr_workitem_id 0
		.amdhsa_next_free_vgpr 1
		.amdhsa_next_free_sgpr 0
		.amdhsa_accum_offset 4
		.amdhsa_reserve_vcc 0
		.amdhsa_reserve_flat_scratch 0
		.amdhsa_float_round_mode_32 0
		.amdhsa_float_round_mode_16_64 0
		.amdhsa_float_denorm_mode_32 3
		.amdhsa_float_denorm_mode_16_64 3
		.amdhsa_dx10_clamp 1
		.amdhsa_ieee_mode 1
		.amdhsa_fp16_overflow 0
		.amdhsa_tg_split 0
		.amdhsa_exception_fp_ieee_invalid_op 0
		.amdhsa_exception_fp_denorm_src 0
		.amdhsa_exception_fp_ieee_div_zero 0
		.amdhsa_exception_fp_ieee_overflow 0
		.amdhsa_exception_fp_ieee_underflow 0
		.amdhsa_exception_fp_ieee_inexact 0
		.amdhsa_exception_int_div_zero 0
	.end_amdhsa_kernel
	.section	.text._ZN7rocprim17ROCPRIM_400000_NS6detail17trampoline_kernelINS0_14default_configENS1_20scan_config_selectorIsEEZZNS1_9scan_implILNS1_25lookback_scan_determinismE0ELb0ELb0ES3_N6thrust23THRUST_200600_302600_NS6detail15normal_iteratorINS9_10device_ptrIsEEEESE_s9plus_mod3IsEsEEDaPvRmT3_T4_T5_mT6_P12ihipStream_tbENKUlT_T0_E_clISt17integral_constantIbLb1EEST_IbLb0EEEEDaSP_SQ_EUlSP_E_NS1_11comp_targetILNS1_3genE10ELNS1_11target_archE1200ELNS1_3gpuE4ELNS1_3repE0EEENS1_30default_config_static_selectorELNS0_4arch9wavefront6targetE1EEEvT1_,"axG",@progbits,_ZN7rocprim17ROCPRIM_400000_NS6detail17trampoline_kernelINS0_14default_configENS1_20scan_config_selectorIsEEZZNS1_9scan_implILNS1_25lookback_scan_determinismE0ELb0ELb0ES3_N6thrust23THRUST_200600_302600_NS6detail15normal_iteratorINS9_10device_ptrIsEEEESE_s9plus_mod3IsEsEEDaPvRmT3_T4_T5_mT6_P12ihipStream_tbENKUlT_T0_E_clISt17integral_constantIbLb1EEST_IbLb0EEEEDaSP_SQ_EUlSP_E_NS1_11comp_targetILNS1_3genE10ELNS1_11target_archE1200ELNS1_3gpuE4ELNS1_3repE0EEENS1_30default_config_static_selectorELNS0_4arch9wavefront6targetE1EEEvT1_,comdat
.Lfunc_end6720:
	.size	_ZN7rocprim17ROCPRIM_400000_NS6detail17trampoline_kernelINS0_14default_configENS1_20scan_config_selectorIsEEZZNS1_9scan_implILNS1_25lookback_scan_determinismE0ELb0ELb0ES3_N6thrust23THRUST_200600_302600_NS6detail15normal_iteratorINS9_10device_ptrIsEEEESE_s9plus_mod3IsEsEEDaPvRmT3_T4_T5_mT6_P12ihipStream_tbENKUlT_T0_E_clISt17integral_constantIbLb1EEST_IbLb0EEEEDaSP_SQ_EUlSP_E_NS1_11comp_targetILNS1_3genE10ELNS1_11target_archE1200ELNS1_3gpuE4ELNS1_3repE0EEENS1_30default_config_static_selectorELNS0_4arch9wavefront6targetE1EEEvT1_, .Lfunc_end6720-_ZN7rocprim17ROCPRIM_400000_NS6detail17trampoline_kernelINS0_14default_configENS1_20scan_config_selectorIsEEZZNS1_9scan_implILNS1_25lookback_scan_determinismE0ELb0ELb0ES3_N6thrust23THRUST_200600_302600_NS6detail15normal_iteratorINS9_10device_ptrIsEEEESE_s9plus_mod3IsEsEEDaPvRmT3_T4_T5_mT6_P12ihipStream_tbENKUlT_T0_E_clISt17integral_constantIbLb1EEST_IbLb0EEEEDaSP_SQ_EUlSP_E_NS1_11comp_targetILNS1_3genE10ELNS1_11target_archE1200ELNS1_3gpuE4ELNS1_3repE0EEENS1_30default_config_static_selectorELNS0_4arch9wavefront6targetE1EEEvT1_
                                        ; -- End function
	.section	.AMDGPU.csdata,"",@progbits
; Kernel info:
; codeLenInByte = 0
; NumSgprs: 4
; NumVgprs: 0
; NumAgprs: 0
; TotalNumVgprs: 0
; ScratchSize: 0
; MemoryBound: 0
; FloatMode: 240
; IeeeMode: 1
; LDSByteSize: 0 bytes/workgroup (compile time only)
; SGPRBlocks: 0
; VGPRBlocks: 0
; NumSGPRsForWavesPerEU: 4
; NumVGPRsForWavesPerEU: 1
; AccumOffset: 4
; Occupancy: 8
; WaveLimiterHint : 0
; COMPUTE_PGM_RSRC2:SCRATCH_EN: 0
; COMPUTE_PGM_RSRC2:USER_SGPR: 6
; COMPUTE_PGM_RSRC2:TRAP_HANDLER: 0
; COMPUTE_PGM_RSRC2:TGID_X_EN: 1
; COMPUTE_PGM_RSRC2:TGID_Y_EN: 0
; COMPUTE_PGM_RSRC2:TGID_Z_EN: 0
; COMPUTE_PGM_RSRC2:TIDIG_COMP_CNT: 0
; COMPUTE_PGM_RSRC3_GFX90A:ACCUM_OFFSET: 0
; COMPUTE_PGM_RSRC3_GFX90A:TG_SPLIT: 0
	.section	.text._ZN7rocprim17ROCPRIM_400000_NS6detail17trampoline_kernelINS0_14default_configENS1_20scan_config_selectorIsEEZZNS1_9scan_implILNS1_25lookback_scan_determinismE0ELb0ELb0ES3_N6thrust23THRUST_200600_302600_NS6detail15normal_iteratorINS9_10device_ptrIsEEEESE_s9plus_mod3IsEsEEDaPvRmT3_T4_T5_mT6_P12ihipStream_tbENKUlT_T0_E_clISt17integral_constantIbLb1EEST_IbLb0EEEEDaSP_SQ_EUlSP_E_NS1_11comp_targetILNS1_3genE9ELNS1_11target_archE1100ELNS1_3gpuE3ELNS1_3repE0EEENS1_30default_config_static_selectorELNS0_4arch9wavefront6targetE1EEEvT1_,"axG",@progbits,_ZN7rocprim17ROCPRIM_400000_NS6detail17trampoline_kernelINS0_14default_configENS1_20scan_config_selectorIsEEZZNS1_9scan_implILNS1_25lookback_scan_determinismE0ELb0ELb0ES3_N6thrust23THRUST_200600_302600_NS6detail15normal_iteratorINS9_10device_ptrIsEEEESE_s9plus_mod3IsEsEEDaPvRmT3_T4_T5_mT6_P12ihipStream_tbENKUlT_T0_E_clISt17integral_constantIbLb1EEST_IbLb0EEEEDaSP_SQ_EUlSP_E_NS1_11comp_targetILNS1_3genE9ELNS1_11target_archE1100ELNS1_3gpuE3ELNS1_3repE0EEENS1_30default_config_static_selectorELNS0_4arch9wavefront6targetE1EEEvT1_,comdat
	.protected	_ZN7rocprim17ROCPRIM_400000_NS6detail17trampoline_kernelINS0_14default_configENS1_20scan_config_selectorIsEEZZNS1_9scan_implILNS1_25lookback_scan_determinismE0ELb0ELb0ES3_N6thrust23THRUST_200600_302600_NS6detail15normal_iteratorINS9_10device_ptrIsEEEESE_s9plus_mod3IsEsEEDaPvRmT3_T4_T5_mT6_P12ihipStream_tbENKUlT_T0_E_clISt17integral_constantIbLb1EEST_IbLb0EEEEDaSP_SQ_EUlSP_E_NS1_11comp_targetILNS1_3genE9ELNS1_11target_archE1100ELNS1_3gpuE3ELNS1_3repE0EEENS1_30default_config_static_selectorELNS0_4arch9wavefront6targetE1EEEvT1_ ; -- Begin function _ZN7rocprim17ROCPRIM_400000_NS6detail17trampoline_kernelINS0_14default_configENS1_20scan_config_selectorIsEEZZNS1_9scan_implILNS1_25lookback_scan_determinismE0ELb0ELb0ES3_N6thrust23THRUST_200600_302600_NS6detail15normal_iteratorINS9_10device_ptrIsEEEESE_s9plus_mod3IsEsEEDaPvRmT3_T4_T5_mT6_P12ihipStream_tbENKUlT_T0_E_clISt17integral_constantIbLb1EEST_IbLb0EEEEDaSP_SQ_EUlSP_E_NS1_11comp_targetILNS1_3genE9ELNS1_11target_archE1100ELNS1_3gpuE3ELNS1_3repE0EEENS1_30default_config_static_selectorELNS0_4arch9wavefront6targetE1EEEvT1_
	.globl	_ZN7rocprim17ROCPRIM_400000_NS6detail17trampoline_kernelINS0_14default_configENS1_20scan_config_selectorIsEEZZNS1_9scan_implILNS1_25lookback_scan_determinismE0ELb0ELb0ES3_N6thrust23THRUST_200600_302600_NS6detail15normal_iteratorINS9_10device_ptrIsEEEESE_s9plus_mod3IsEsEEDaPvRmT3_T4_T5_mT6_P12ihipStream_tbENKUlT_T0_E_clISt17integral_constantIbLb1EEST_IbLb0EEEEDaSP_SQ_EUlSP_E_NS1_11comp_targetILNS1_3genE9ELNS1_11target_archE1100ELNS1_3gpuE3ELNS1_3repE0EEENS1_30default_config_static_selectorELNS0_4arch9wavefront6targetE1EEEvT1_
	.p2align	8
	.type	_ZN7rocprim17ROCPRIM_400000_NS6detail17trampoline_kernelINS0_14default_configENS1_20scan_config_selectorIsEEZZNS1_9scan_implILNS1_25lookback_scan_determinismE0ELb0ELb0ES3_N6thrust23THRUST_200600_302600_NS6detail15normal_iteratorINS9_10device_ptrIsEEEESE_s9plus_mod3IsEsEEDaPvRmT3_T4_T5_mT6_P12ihipStream_tbENKUlT_T0_E_clISt17integral_constantIbLb1EEST_IbLb0EEEEDaSP_SQ_EUlSP_E_NS1_11comp_targetILNS1_3genE9ELNS1_11target_archE1100ELNS1_3gpuE3ELNS1_3repE0EEENS1_30default_config_static_selectorELNS0_4arch9wavefront6targetE1EEEvT1_,@function
_ZN7rocprim17ROCPRIM_400000_NS6detail17trampoline_kernelINS0_14default_configENS1_20scan_config_selectorIsEEZZNS1_9scan_implILNS1_25lookback_scan_determinismE0ELb0ELb0ES3_N6thrust23THRUST_200600_302600_NS6detail15normal_iteratorINS9_10device_ptrIsEEEESE_s9plus_mod3IsEsEEDaPvRmT3_T4_T5_mT6_P12ihipStream_tbENKUlT_T0_E_clISt17integral_constantIbLb1EEST_IbLb0EEEEDaSP_SQ_EUlSP_E_NS1_11comp_targetILNS1_3genE9ELNS1_11target_archE1100ELNS1_3gpuE3ELNS1_3repE0EEENS1_30default_config_static_selectorELNS0_4arch9wavefront6targetE1EEEvT1_: ; @_ZN7rocprim17ROCPRIM_400000_NS6detail17trampoline_kernelINS0_14default_configENS1_20scan_config_selectorIsEEZZNS1_9scan_implILNS1_25lookback_scan_determinismE0ELb0ELb0ES3_N6thrust23THRUST_200600_302600_NS6detail15normal_iteratorINS9_10device_ptrIsEEEESE_s9plus_mod3IsEsEEDaPvRmT3_T4_T5_mT6_P12ihipStream_tbENKUlT_T0_E_clISt17integral_constantIbLb1EEST_IbLb0EEEEDaSP_SQ_EUlSP_E_NS1_11comp_targetILNS1_3genE9ELNS1_11target_archE1100ELNS1_3gpuE3ELNS1_3repE0EEENS1_30default_config_static_selectorELNS0_4arch9wavefront6targetE1EEEvT1_
; %bb.0:
	.section	.rodata,"a",@progbits
	.p2align	6, 0x0
	.amdhsa_kernel _ZN7rocprim17ROCPRIM_400000_NS6detail17trampoline_kernelINS0_14default_configENS1_20scan_config_selectorIsEEZZNS1_9scan_implILNS1_25lookback_scan_determinismE0ELb0ELb0ES3_N6thrust23THRUST_200600_302600_NS6detail15normal_iteratorINS9_10device_ptrIsEEEESE_s9plus_mod3IsEsEEDaPvRmT3_T4_T5_mT6_P12ihipStream_tbENKUlT_T0_E_clISt17integral_constantIbLb1EEST_IbLb0EEEEDaSP_SQ_EUlSP_E_NS1_11comp_targetILNS1_3genE9ELNS1_11target_archE1100ELNS1_3gpuE3ELNS1_3repE0EEENS1_30default_config_static_selectorELNS0_4arch9wavefront6targetE1EEEvT1_
		.amdhsa_group_segment_fixed_size 0
		.amdhsa_private_segment_fixed_size 0
		.amdhsa_kernarg_size 104
		.amdhsa_user_sgpr_count 6
		.amdhsa_user_sgpr_private_segment_buffer 1
		.amdhsa_user_sgpr_dispatch_ptr 0
		.amdhsa_user_sgpr_queue_ptr 0
		.amdhsa_user_sgpr_kernarg_segment_ptr 1
		.amdhsa_user_sgpr_dispatch_id 0
		.amdhsa_user_sgpr_flat_scratch_init 0
		.amdhsa_user_sgpr_kernarg_preload_length 0
		.amdhsa_user_sgpr_kernarg_preload_offset 0
		.amdhsa_user_sgpr_private_segment_size 0
		.amdhsa_uses_dynamic_stack 0
		.amdhsa_system_sgpr_private_segment_wavefront_offset 0
		.amdhsa_system_sgpr_workgroup_id_x 1
		.amdhsa_system_sgpr_workgroup_id_y 0
		.amdhsa_system_sgpr_workgroup_id_z 0
		.amdhsa_system_sgpr_workgroup_info 0
		.amdhsa_system_vgpr_workitem_id 0
		.amdhsa_next_free_vgpr 1
		.amdhsa_next_free_sgpr 0
		.amdhsa_accum_offset 4
		.amdhsa_reserve_vcc 0
		.amdhsa_reserve_flat_scratch 0
		.amdhsa_float_round_mode_32 0
		.amdhsa_float_round_mode_16_64 0
		.amdhsa_float_denorm_mode_32 3
		.amdhsa_float_denorm_mode_16_64 3
		.amdhsa_dx10_clamp 1
		.amdhsa_ieee_mode 1
		.amdhsa_fp16_overflow 0
		.amdhsa_tg_split 0
		.amdhsa_exception_fp_ieee_invalid_op 0
		.amdhsa_exception_fp_denorm_src 0
		.amdhsa_exception_fp_ieee_div_zero 0
		.amdhsa_exception_fp_ieee_overflow 0
		.amdhsa_exception_fp_ieee_underflow 0
		.amdhsa_exception_fp_ieee_inexact 0
		.amdhsa_exception_int_div_zero 0
	.end_amdhsa_kernel
	.section	.text._ZN7rocprim17ROCPRIM_400000_NS6detail17trampoline_kernelINS0_14default_configENS1_20scan_config_selectorIsEEZZNS1_9scan_implILNS1_25lookback_scan_determinismE0ELb0ELb0ES3_N6thrust23THRUST_200600_302600_NS6detail15normal_iteratorINS9_10device_ptrIsEEEESE_s9plus_mod3IsEsEEDaPvRmT3_T4_T5_mT6_P12ihipStream_tbENKUlT_T0_E_clISt17integral_constantIbLb1EEST_IbLb0EEEEDaSP_SQ_EUlSP_E_NS1_11comp_targetILNS1_3genE9ELNS1_11target_archE1100ELNS1_3gpuE3ELNS1_3repE0EEENS1_30default_config_static_selectorELNS0_4arch9wavefront6targetE1EEEvT1_,"axG",@progbits,_ZN7rocprim17ROCPRIM_400000_NS6detail17trampoline_kernelINS0_14default_configENS1_20scan_config_selectorIsEEZZNS1_9scan_implILNS1_25lookback_scan_determinismE0ELb0ELb0ES3_N6thrust23THRUST_200600_302600_NS6detail15normal_iteratorINS9_10device_ptrIsEEEESE_s9plus_mod3IsEsEEDaPvRmT3_T4_T5_mT6_P12ihipStream_tbENKUlT_T0_E_clISt17integral_constantIbLb1EEST_IbLb0EEEEDaSP_SQ_EUlSP_E_NS1_11comp_targetILNS1_3genE9ELNS1_11target_archE1100ELNS1_3gpuE3ELNS1_3repE0EEENS1_30default_config_static_selectorELNS0_4arch9wavefront6targetE1EEEvT1_,comdat
.Lfunc_end6721:
	.size	_ZN7rocprim17ROCPRIM_400000_NS6detail17trampoline_kernelINS0_14default_configENS1_20scan_config_selectorIsEEZZNS1_9scan_implILNS1_25lookback_scan_determinismE0ELb0ELb0ES3_N6thrust23THRUST_200600_302600_NS6detail15normal_iteratorINS9_10device_ptrIsEEEESE_s9plus_mod3IsEsEEDaPvRmT3_T4_T5_mT6_P12ihipStream_tbENKUlT_T0_E_clISt17integral_constantIbLb1EEST_IbLb0EEEEDaSP_SQ_EUlSP_E_NS1_11comp_targetILNS1_3genE9ELNS1_11target_archE1100ELNS1_3gpuE3ELNS1_3repE0EEENS1_30default_config_static_selectorELNS0_4arch9wavefront6targetE1EEEvT1_, .Lfunc_end6721-_ZN7rocprim17ROCPRIM_400000_NS6detail17trampoline_kernelINS0_14default_configENS1_20scan_config_selectorIsEEZZNS1_9scan_implILNS1_25lookback_scan_determinismE0ELb0ELb0ES3_N6thrust23THRUST_200600_302600_NS6detail15normal_iteratorINS9_10device_ptrIsEEEESE_s9plus_mod3IsEsEEDaPvRmT3_T4_T5_mT6_P12ihipStream_tbENKUlT_T0_E_clISt17integral_constantIbLb1EEST_IbLb0EEEEDaSP_SQ_EUlSP_E_NS1_11comp_targetILNS1_3genE9ELNS1_11target_archE1100ELNS1_3gpuE3ELNS1_3repE0EEENS1_30default_config_static_selectorELNS0_4arch9wavefront6targetE1EEEvT1_
                                        ; -- End function
	.section	.AMDGPU.csdata,"",@progbits
; Kernel info:
; codeLenInByte = 0
; NumSgprs: 4
; NumVgprs: 0
; NumAgprs: 0
; TotalNumVgprs: 0
; ScratchSize: 0
; MemoryBound: 0
; FloatMode: 240
; IeeeMode: 1
; LDSByteSize: 0 bytes/workgroup (compile time only)
; SGPRBlocks: 0
; VGPRBlocks: 0
; NumSGPRsForWavesPerEU: 4
; NumVGPRsForWavesPerEU: 1
; AccumOffset: 4
; Occupancy: 8
; WaveLimiterHint : 0
; COMPUTE_PGM_RSRC2:SCRATCH_EN: 0
; COMPUTE_PGM_RSRC2:USER_SGPR: 6
; COMPUTE_PGM_RSRC2:TRAP_HANDLER: 0
; COMPUTE_PGM_RSRC2:TGID_X_EN: 1
; COMPUTE_PGM_RSRC2:TGID_Y_EN: 0
; COMPUTE_PGM_RSRC2:TGID_Z_EN: 0
; COMPUTE_PGM_RSRC2:TIDIG_COMP_CNT: 0
; COMPUTE_PGM_RSRC3_GFX90A:ACCUM_OFFSET: 0
; COMPUTE_PGM_RSRC3_GFX90A:TG_SPLIT: 0
	.section	.text._ZN7rocprim17ROCPRIM_400000_NS6detail17trampoline_kernelINS0_14default_configENS1_20scan_config_selectorIsEEZZNS1_9scan_implILNS1_25lookback_scan_determinismE0ELb0ELb0ES3_N6thrust23THRUST_200600_302600_NS6detail15normal_iteratorINS9_10device_ptrIsEEEESE_s9plus_mod3IsEsEEDaPvRmT3_T4_T5_mT6_P12ihipStream_tbENKUlT_T0_E_clISt17integral_constantIbLb1EEST_IbLb0EEEEDaSP_SQ_EUlSP_E_NS1_11comp_targetILNS1_3genE8ELNS1_11target_archE1030ELNS1_3gpuE2ELNS1_3repE0EEENS1_30default_config_static_selectorELNS0_4arch9wavefront6targetE1EEEvT1_,"axG",@progbits,_ZN7rocprim17ROCPRIM_400000_NS6detail17trampoline_kernelINS0_14default_configENS1_20scan_config_selectorIsEEZZNS1_9scan_implILNS1_25lookback_scan_determinismE0ELb0ELb0ES3_N6thrust23THRUST_200600_302600_NS6detail15normal_iteratorINS9_10device_ptrIsEEEESE_s9plus_mod3IsEsEEDaPvRmT3_T4_T5_mT6_P12ihipStream_tbENKUlT_T0_E_clISt17integral_constantIbLb1EEST_IbLb0EEEEDaSP_SQ_EUlSP_E_NS1_11comp_targetILNS1_3genE8ELNS1_11target_archE1030ELNS1_3gpuE2ELNS1_3repE0EEENS1_30default_config_static_selectorELNS0_4arch9wavefront6targetE1EEEvT1_,comdat
	.protected	_ZN7rocprim17ROCPRIM_400000_NS6detail17trampoline_kernelINS0_14default_configENS1_20scan_config_selectorIsEEZZNS1_9scan_implILNS1_25lookback_scan_determinismE0ELb0ELb0ES3_N6thrust23THRUST_200600_302600_NS6detail15normal_iteratorINS9_10device_ptrIsEEEESE_s9plus_mod3IsEsEEDaPvRmT3_T4_T5_mT6_P12ihipStream_tbENKUlT_T0_E_clISt17integral_constantIbLb1EEST_IbLb0EEEEDaSP_SQ_EUlSP_E_NS1_11comp_targetILNS1_3genE8ELNS1_11target_archE1030ELNS1_3gpuE2ELNS1_3repE0EEENS1_30default_config_static_selectorELNS0_4arch9wavefront6targetE1EEEvT1_ ; -- Begin function _ZN7rocprim17ROCPRIM_400000_NS6detail17trampoline_kernelINS0_14default_configENS1_20scan_config_selectorIsEEZZNS1_9scan_implILNS1_25lookback_scan_determinismE0ELb0ELb0ES3_N6thrust23THRUST_200600_302600_NS6detail15normal_iteratorINS9_10device_ptrIsEEEESE_s9plus_mod3IsEsEEDaPvRmT3_T4_T5_mT6_P12ihipStream_tbENKUlT_T0_E_clISt17integral_constantIbLb1EEST_IbLb0EEEEDaSP_SQ_EUlSP_E_NS1_11comp_targetILNS1_3genE8ELNS1_11target_archE1030ELNS1_3gpuE2ELNS1_3repE0EEENS1_30default_config_static_selectorELNS0_4arch9wavefront6targetE1EEEvT1_
	.globl	_ZN7rocprim17ROCPRIM_400000_NS6detail17trampoline_kernelINS0_14default_configENS1_20scan_config_selectorIsEEZZNS1_9scan_implILNS1_25lookback_scan_determinismE0ELb0ELb0ES3_N6thrust23THRUST_200600_302600_NS6detail15normal_iteratorINS9_10device_ptrIsEEEESE_s9plus_mod3IsEsEEDaPvRmT3_T4_T5_mT6_P12ihipStream_tbENKUlT_T0_E_clISt17integral_constantIbLb1EEST_IbLb0EEEEDaSP_SQ_EUlSP_E_NS1_11comp_targetILNS1_3genE8ELNS1_11target_archE1030ELNS1_3gpuE2ELNS1_3repE0EEENS1_30default_config_static_selectorELNS0_4arch9wavefront6targetE1EEEvT1_
	.p2align	8
	.type	_ZN7rocprim17ROCPRIM_400000_NS6detail17trampoline_kernelINS0_14default_configENS1_20scan_config_selectorIsEEZZNS1_9scan_implILNS1_25lookback_scan_determinismE0ELb0ELb0ES3_N6thrust23THRUST_200600_302600_NS6detail15normal_iteratorINS9_10device_ptrIsEEEESE_s9plus_mod3IsEsEEDaPvRmT3_T4_T5_mT6_P12ihipStream_tbENKUlT_T0_E_clISt17integral_constantIbLb1EEST_IbLb0EEEEDaSP_SQ_EUlSP_E_NS1_11comp_targetILNS1_3genE8ELNS1_11target_archE1030ELNS1_3gpuE2ELNS1_3repE0EEENS1_30default_config_static_selectorELNS0_4arch9wavefront6targetE1EEEvT1_,@function
_ZN7rocprim17ROCPRIM_400000_NS6detail17trampoline_kernelINS0_14default_configENS1_20scan_config_selectorIsEEZZNS1_9scan_implILNS1_25lookback_scan_determinismE0ELb0ELb0ES3_N6thrust23THRUST_200600_302600_NS6detail15normal_iteratorINS9_10device_ptrIsEEEESE_s9plus_mod3IsEsEEDaPvRmT3_T4_T5_mT6_P12ihipStream_tbENKUlT_T0_E_clISt17integral_constantIbLb1EEST_IbLb0EEEEDaSP_SQ_EUlSP_E_NS1_11comp_targetILNS1_3genE8ELNS1_11target_archE1030ELNS1_3gpuE2ELNS1_3repE0EEENS1_30default_config_static_selectorELNS0_4arch9wavefront6targetE1EEEvT1_: ; @_ZN7rocprim17ROCPRIM_400000_NS6detail17trampoline_kernelINS0_14default_configENS1_20scan_config_selectorIsEEZZNS1_9scan_implILNS1_25lookback_scan_determinismE0ELb0ELb0ES3_N6thrust23THRUST_200600_302600_NS6detail15normal_iteratorINS9_10device_ptrIsEEEESE_s9plus_mod3IsEsEEDaPvRmT3_T4_T5_mT6_P12ihipStream_tbENKUlT_T0_E_clISt17integral_constantIbLb1EEST_IbLb0EEEEDaSP_SQ_EUlSP_E_NS1_11comp_targetILNS1_3genE8ELNS1_11target_archE1030ELNS1_3gpuE2ELNS1_3repE0EEENS1_30default_config_static_selectorELNS0_4arch9wavefront6targetE1EEEvT1_
; %bb.0:
	.section	.rodata,"a",@progbits
	.p2align	6, 0x0
	.amdhsa_kernel _ZN7rocprim17ROCPRIM_400000_NS6detail17trampoline_kernelINS0_14default_configENS1_20scan_config_selectorIsEEZZNS1_9scan_implILNS1_25lookback_scan_determinismE0ELb0ELb0ES3_N6thrust23THRUST_200600_302600_NS6detail15normal_iteratorINS9_10device_ptrIsEEEESE_s9plus_mod3IsEsEEDaPvRmT3_T4_T5_mT6_P12ihipStream_tbENKUlT_T0_E_clISt17integral_constantIbLb1EEST_IbLb0EEEEDaSP_SQ_EUlSP_E_NS1_11comp_targetILNS1_3genE8ELNS1_11target_archE1030ELNS1_3gpuE2ELNS1_3repE0EEENS1_30default_config_static_selectorELNS0_4arch9wavefront6targetE1EEEvT1_
		.amdhsa_group_segment_fixed_size 0
		.amdhsa_private_segment_fixed_size 0
		.amdhsa_kernarg_size 104
		.amdhsa_user_sgpr_count 6
		.amdhsa_user_sgpr_private_segment_buffer 1
		.amdhsa_user_sgpr_dispatch_ptr 0
		.amdhsa_user_sgpr_queue_ptr 0
		.amdhsa_user_sgpr_kernarg_segment_ptr 1
		.amdhsa_user_sgpr_dispatch_id 0
		.amdhsa_user_sgpr_flat_scratch_init 0
		.amdhsa_user_sgpr_kernarg_preload_length 0
		.amdhsa_user_sgpr_kernarg_preload_offset 0
		.amdhsa_user_sgpr_private_segment_size 0
		.amdhsa_uses_dynamic_stack 0
		.amdhsa_system_sgpr_private_segment_wavefront_offset 0
		.amdhsa_system_sgpr_workgroup_id_x 1
		.amdhsa_system_sgpr_workgroup_id_y 0
		.amdhsa_system_sgpr_workgroup_id_z 0
		.amdhsa_system_sgpr_workgroup_info 0
		.amdhsa_system_vgpr_workitem_id 0
		.amdhsa_next_free_vgpr 1
		.amdhsa_next_free_sgpr 0
		.amdhsa_accum_offset 4
		.amdhsa_reserve_vcc 0
		.amdhsa_reserve_flat_scratch 0
		.amdhsa_float_round_mode_32 0
		.amdhsa_float_round_mode_16_64 0
		.amdhsa_float_denorm_mode_32 3
		.amdhsa_float_denorm_mode_16_64 3
		.amdhsa_dx10_clamp 1
		.amdhsa_ieee_mode 1
		.amdhsa_fp16_overflow 0
		.amdhsa_tg_split 0
		.amdhsa_exception_fp_ieee_invalid_op 0
		.amdhsa_exception_fp_denorm_src 0
		.amdhsa_exception_fp_ieee_div_zero 0
		.amdhsa_exception_fp_ieee_overflow 0
		.amdhsa_exception_fp_ieee_underflow 0
		.amdhsa_exception_fp_ieee_inexact 0
		.amdhsa_exception_int_div_zero 0
	.end_amdhsa_kernel
	.section	.text._ZN7rocprim17ROCPRIM_400000_NS6detail17trampoline_kernelINS0_14default_configENS1_20scan_config_selectorIsEEZZNS1_9scan_implILNS1_25lookback_scan_determinismE0ELb0ELb0ES3_N6thrust23THRUST_200600_302600_NS6detail15normal_iteratorINS9_10device_ptrIsEEEESE_s9plus_mod3IsEsEEDaPvRmT3_T4_T5_mT6_P12ihipStream_tbENKUlT_T0_E_clISt17integral_constantIbLb1EEST_IbLb0EEEEDaSP_SQ_EUlSP_E_NS1_11comp_targetILNS1_3genE8ELNS1_11target_archE1030ELNS1_3gpuE2ELNS1_3repE0EEENS1_30default_config_static_selectorELNS0_4arch9wavefront6targetE1EEEvT1_,"axG",@progbits,_ZN7rocprim17ROCPRIM_400000_NS6detail17trampoline_kernelINS0_14default_configENS1_20scan_config_selectorIsEEZZNS1_9scan_implILNS1_25lookback_scan_determinismE0ELb0ELb0ES3_N6thrust23THRUST_200600_302600_NS6detail15normal_iteratorINS9_10device_ptrIsEEEESE_s9plus_mod3IsEsEEDaPvRmT3_T4_T5_mT6_P12ihipStream_tbENKUlT_T0_E_clISt17integral_constantIbLb1EEST_IbLb0EEEEDaSP_SQ_EUlSP_E_NS1_11comp_targetILNS1_3genE8ELNS1_11target_archE1030ELNS1_3gpuE2ELNS1_3repE0EEENS1_30default_config_static_selectorELNS0_4arch9wavefront6targetE1EEEvT1_,comdat
.Lfunc_end6722:
	.size	_ZN7rocprim17ROCPRIM_400000_NS6detail17trampoline_kernelINS0_14default_configENS1_20scan_config_selectorIsEEZZNS1_9scan_implILNS1_25lookback_scan_determinismE0ELb0ELb0ES3_N6thrust23THRUST_200600_302600_NS6detail15normal_iteratorINS9_10device_ptrIsEEEESE_s9plus_mod3IsEsEEDaPvRmT3_T4_T5_mT6_P12ihipStream_tbENKUlT_T0_E_clISt17integral_constantIbLb1EEST_IbLb0EEEEDaSP_SQ_EUlSP_E_NS1_11comp_targetILNS1_3genE8ELNS1_11target_archE1030ELNS1_3gpuE2ELNS1_3repE0EEENS1_30default_config_static_selectorELNS0_4arch9wavefront6targetE1EEEvT1_, .Lfunc_end6722-_ZN7rocprim17ROCPRIM_400000_NS6detail17trampoline_kernelINS0_14default_configENS1_20scan_config_selectorIsEEZZNS1_9scan_implILNS1_25lookback_scan_determinismE0ELb0ELb0ES3_N6thrust23THRUST_200600_302600_NS6detail15normal_iteratorINS9_10device_ptrIsEEEESE_s9plus_mod3IsEsEEDaPvRmT3_T4_T5_mT6_P12ihipStream_tbENKUlT_T0_E_clISt17integral_constantIbLb1EEST_IbLb0EEEEDaSP_SQ_EUlSP_E_NS1_11comp_targetILNS1_3genE8ELNS1_11target_archE1030ELNS1_3gpuE2ELNS1_3repE0EEENS1_30default_config_static_selectorELNS0_4arch9wavefront6targetE1EEEvT1_
                                        ; -- End function
	.section	.AMDGPU.csdata,"",@progbits
; Kernel info:
; codeLenInByte = 0
; NumSgprs: 4
; NumVgprs: 0
; NumAgprs: 0
; TotalNumVgprs: 0
; ScratchSize: 0
; MemoryBound: 0
; FloatMode: 240
; IeeeMode: 1
; LDSByteSize: 0 bytes/workgroup (compile time only)
; SGPRBlocks: 0
; VGPRBlocks: 0
; NumSGPRsForWavesPerEU: 4
; NumVGPRsForWavesPerEU: 1
; AccumOffset: 4
; Occupancy: 8
; WaveLimiterHint : 0
; COMPUTE_PGM_RSRC2:SCRATCH_EN: 0
; COMPUTE_PGM_RSRC2:USER_SGPR: 6
; COMPUTE_PGM_RSRC2:TRAP_HANDLER: 0
; COMPUTE_PGM_RSRC2:TGID_X_EN: 1
; COMPUTE_PGM_RSRC2:TGID_Y_EN: 0
; COMPUTE_PGM_RSRC2:TGID_Z_EN: 0
; COMPUTE_PGM_RSRC2:TIDIG_COMP_CNT: 0
; COMPUTE_PGM_RSRC3_GFX90A:ACCUM_OFFSET: 0
; COMPUTE_PGM_RSRC3_GFX90A:TG_SPLIT: 0
	.section	.text._ZN7rocprim17ROCPRIM_400000_NS6detail17trampoline_kernelINS0_14default_configENS1_20scan_config_selectorIsEEZZNS1_9scan_implILNS1_25lookback_scan_determinismE0ELb0ELb0ES3_N6thrust23THRUST_200600_302600_NS6detail15normal_iteratorINS9_10device_ptrIsEEEESE_s9plus_mod3IsEsEEDaPvRmT3_T4_T5_mT6_P12ihipStream_tbENKUlT_T0_E_clISt17integral_constantIbLb1EEST_IbLb0EEEEDaSP_SQ_EUlSP_E0_NS1_11comp_targetILNS1_3genE0ELNS1_11target_archE4294967295ELNS1_3gpuE0ELNS1_3repE0EEENS1_30default_config_static_selectorELNS0_4arch9wavefront6targetE1EEEvT1_,"axG",@progbits,_ZN7rocprim17ROCPRIM_400000_NS6detail17trampoline_kernelINS0_14default_configENS1_20scan_config_selectorIsEEZZNS1_9scan_implILNS1_25lookback_scan_determinismE0ELb0ELb0ES3_N6thrust23THRUST_200600_302600_NS6detail15normal_iteratorINS9_10device_ptrIsEEEESE_s9plus_mod3IsEsEEDaPvRmT3_T4_T5_mT6_P12ihipStream_tbENKUlT_T0_E_clISt17integral_constantIbLb1EEST_IbLb0EEEEDaSP_SQ_EUlSP_E0_NS1_11comp_targetILNS1_3genE0ELNS1_11target_archE4294967295ELNS1_3gpuE0ELNS1_3repE0EEENS1_30default_config_static_selectorELNS0_4arch9wavefront6targetE1EEEvT1_,comdat
	.protected	_ZN7rocprim17ROCPRIM_400000_NS6detail17trampoline_kernelINS0_14default_configENS1_20scan_config_selectorIsEEZZNS1_9scan_implILNS1_25lookback_scan_determinismE0ELb0ELb0ES3_N6thrust23THRUST_200600_302600_NS6detail15normal_iteratorINS9_10device_ptrIsEEEESE_s9plus_mod3IsEsEEDaPvRmT3_T4_T5_mT6_P12ihipStream_tbENKUlT_T0_E_clISt17integral_constantIbLb1EEST_IbLb0EEEEDaSP_SQ_EUlSP_E0_NS1_11comp_targetILNS1_3genE0ELNS1_11target_archE4294967295ELNS1_3gpuE0ELNS1_3repE0EEENS1_30default_config_static_selectorELNS0_4arch9wavefront6targetE1EEEvT1_ ; -- Begin function _ZN7rocprim17ROCPRIM_400000_NS6detail17trampoline_kernelINS0_14default_configENS1_20scan_config_selectorIsEEZZNS1_9scan_implILNS1_25lookback_scan_determinismE0ELb0ELb0ES3_N6thrust23THRUST_200600_302600_NS6detail15normal_iteratorINS9_10device_ptrIsEEEESE_s9plus_mod3IsEsEEDaPvRmT3_T4_T5_mT6_P12ihipStream_tbENKUlT_T0_E_clISt17integral_constantIbLb1EEST_IbLb0EEEEDaSP_SQ_EUlSP_E0_NS1_11comp_targetILNS1_3genE0ELNS1_11target_archE4294967295ELNS1_3gpuE0ELNS1_3repE0EEENS1_30default_config_static_selectorELNS0_4arch9wavefront6targetE1EEEvT1_
	.globl	_ZN7rocprim17ROCPRIM_400000_NS6detail17trampoline_kernelINS0_14default_configENS1_20scan_config_selectorIsEEZZNS1_9scan_implILNS1_25lookback_scan_determinismE0ELb0ELb0ES3_N6thrust23THRUST_200600_302600_NS6detail15normal_iteratorINS9_10device_ptrIsEEEESE_s9plus_mod3IsEsEEDaPvRmT3_T4_T5_mT6_P12ihipStream_tbENKUlT_T0_E_clISt17integral_constantIbLb1EEST_IbLb0EEEEDaSP_SQ_EUlSP_E0_NS1_11comp_targetILNS1_3genE0ELNS1_11target_archE4294967295ELNS1_3gpuE0ELNS1_3repE0EEENS1_30default_config_static_selectorELNS0_4arch9wavefront6targetE1EEEvT1_
	.p2align	8
	.type	_ZN7rocprim17ROCPRIM_400000_NS6detail17trampoline_kernelINS0_14default_configENS1_20scan_config_selectorIsEEZZNS1_9scan_implILNS1_25lookback_scan_determinismE0ELb0ELb0ES3_N6thrust23THRUST_200600_302600_NS6detail15normal_iteratorINS9_10device_ptrIsEEEESE_s9plus_mod3IsEsEEDaPvRmT3_T4_T5_mT6_P12ihipStream_tbENKUlT_T0_E_clISt17integral_constantIbLb1EEST_IbLb0EEEEDaSP_SQ_EUlSP_E0_NS1_11comp_targetILNS1_3genE0ELNS1_11target_archE4294967295ELNS1_3gpuE0ELNS1_3repE0EEENS1_30default_config_static_selectorELNS0_4arch9wavefront6targetE1EEEvT1_,@function
_ZN7rocprim17ROCPRIM_400000_NS6detail17trampoline_kernelINS0_14default_configENS1_20scan_config_selectorIsEEZZNS1_9scan_implILNS1_25lookback_scan_determinismE0ELb0ELb0ES3_N6thrust23THRUST_200600_302600_NS6detail15normal_iteratorINS9_10device_ptrIsEEEESE_s9plus_mod3IsEsEEDaPvRmT3_T4_T5_mT6_P12ihipStream_tbENKUlT_T0_E_clISt17integral_constantIbLb1EEST_IbLb0EEEEDaSP_SQ_EUlSP_E0_NS1_11comp_targetILNS1_3genE0ELNS1_11target_archE4294967295ELNS1_3gpuE0ELNS1_3repE0EEENS1_30default_config_static_selectorELNS0_4arch9wavefront6targetE1EEEvT1_: ; @_ZN7rocprim17ROCPRIM_400000_NS6detail17trampoline_kernelINS0_14default_configENS1_20scan_config_selectorIsEEZZNS1_9scan_implILNS1_25lookback_scan_determinismE0ELb0ELb0ES3_N6thrust23THRUST_200600_302600_NS6detail15normal_iteratorINS9_10device_ptrIsEEEESE_s9plus_mod3IsEsEEDaPvRmT3_T4_T5_mT6_P12ihipStream_tbENKUlT_T0_E_clISt17integral_constantIbLb1EEST_IbLb0EEEEDaSP_SQ_EUlSP_E0_NS1_11comp_targetILNS1_3genE0ELNS1_11target_archE4294967295ELNS1_3gpuE0ELNS1_3repE0EEENS1_30default_config_static_selectorELNS0_4arch9wavefront6targetE1EEEvT1_
; %bb.0:
	.section	.rodata,"a",@progbits
	.p2align	6, 0x0
	.amdhsa_kernel _ZN7rocprim17ROCPRIM_400000_NS6detail17trampoline_kernelINS0_14default_configENS1_20scan_config_selectorIsEEZZNS1_9scan_implILNS1_25lookback_scan_determinismE0ELb0ELb0ES3_N6thrust23THRUST_200600_302600_NS6detail15normal_iteratorINS9_10device_ptrIsEEEESE_s9plus_mod3IsEsEEDaPvRmT3_T4_T5_mT6_P12ihipStream_tbENKUlT_T0_E_clISt17integral_constantIbLb1EEST_IbLb0EEEEDaSP_SQ_EUlSP_E0_NS1_11comp_targetILNS1_3genE0ELNS1_11target_archE4294967295ELNS1_3gpuE0ELNS1_3repE0EEENS1_30default_config_static_selectorELNS0_4arch9wavefront6targetE1EEEvT1_
		.amdhsa_group_segment_fixed_size 0
		.amdhsa_private_segment_fixed_size 0
		.amdhsa_kernarg_size 40
		.amdhsa_user_sgpr_count 6
		.amdhsa_user_sgpr_private_segment_buffer 1
		.amdhsa_user_sgpr_dispatch_ptr 0
		.amdhsa_user_sgpr_queue_ptr 0
		.amdhsa_user_sgpr_kernarg_segment_ptr 1
		.amdhsa_user_sgpr_dispatch_id 0
		.amdhsa_user_sgpr_flat_scratch_init 0
		.amdhsa_user_sgpr_kernarg_preload_length 0
		.amdhsa_user_sgpr_kernarg_preload_offset 0
		.amdhsa_user_sgpr_private_segment_size 0
		.amdhsa_uses_dynamic_stack 0
		.amdhsa_system_sgpr_private_segment_wavefront_offset 0
		.amdhsa_system_sgpr_workgroup_id_x 1
		.amdhsa_system_sgpr_workgroup_id_y 0
		.amdhsa_system_sgpr_workgroup_id_z 0
		.amdhsa_system_sgpr_workgroup_info 0
		.amdhsa_system_vgpr_workitem_id 0
		.amdhsa_next_free_vgpr 1
		.amdhsa_next_free_sgpr 0
		.amdhsa_accum_offset 4
		.amdhsa_reserve_vcc 0
		.amdhsa_reserve_flat_scratch 0
		.amdhsa_float_round_mode_32 0
		.amdhsa_float_round_mode_16_64 0
		.amdhsa_float_denorm_mode_32 3
		.amdhsa_float_denorm_mode_16_64 3
		.amdhsa_dx10_clamp 1
		.amdhsa_ieee_mode 1
		.amdhsa_fp16_overflow 0
		.amdhsa_tg_split 0
		.amdhsa_exception_fp_ieee_invalid_op 0
		.amdhsa_exception_fp_denorm_src 0
		.amdhsa_exception_fp_ieee_div_zero 0
		.amdhsa_exception_fp_ieee_overflow 0
		.amdhsa_exception_fp_ieee_underflow 0
		.amdhsa_exception_fp_ieee_inexact 0
		.amdhsa_exception_int_div_zero 0
	.end_amdhsa_kernel
	.section	.text._ZN7rocprim17ROCPRIM_400000_NS6detail17trampoline_kernelINS0_14default_configENS1_20scan_config_selectorIsEEZZNS1_9scan_implILNS1_25lookback_scan_determinismE0ELb0ELb0ES3_N6thrust23THRUST_200600_302600_NS6detail15normal_iteratorINS9_10device_ptrIsEEEESE_s9plus_mod3IsEsEEDaPvRmT3_T4_T5_mT6_P12ihipStream_tbENKUlT_T0_E_clISt17integral_constantIbLb1EEST_IbLb0EEEEDaSP_SQ_EUlSP_E0_NS1_11comp_targetILNS1_3genE0ELNS1_11target_archE4294967295ELNS1_3gpuE0ELNS1_3repE0EEENS1_30default_config_static_selectorELNS0_4arch9wavefront6targetE1EEEvT1_,"axG",@progbits,_ZN7rocprim17ROCPRIM_400000_NS6detail17trampoline_kernelINS0_14default_configENS1_20scan_config_selectorIsEEZZNS1_9scan_implILNS1_25lookback_scan_determinismE0ELb0ELb0ES3_N6thrust23THRUST_200600_302600_NS6detail15normal_iteratorINS9_10device_ptrIsEEEESE_s9plus_mod3IsEsEEDaPvRmT3_T4_T5_mT6_P12ihipStream_tbENKUlT_T0_E_clISt17integral_constantIbLb1EEST_IbLb0EEEEDaSP_SQ_EUlSP_E0_NS1_11comp_targetILNS1_3genE0ELNS1_11target_archE4294967295ELNS1_3gpuE0ELNS1_3repE0EEENS1_30default_config_static_selectorELNS0_4arch9wavefront6targetE1EEEvT1_,comdat
.Lfunc_end6723:
	.size	_ZN7rocprim17ROCPRIM_400000_NS6detail17trampoline_kernelINS0_14default_configENS1_20scan_config_selectorIsEEZZNS1_9scan_implILNS1_25lookback_scan_determinismE0ELb0ELb0ES3_N6thrust23THRUST_200600_302600_NS6detail15normal_iteratorINS9_10device_ptrIsEEEESE_s9plus_mod3IsEsEEDaPvRmT3_T4_T5_mT6_P12ihipStream_tbENKUlT_T0_E_clISt17integral_constantIbLb1EEST_IbLb0EEEEDaSP_SQ_EUlSP_E0_NS1_11comp_targetILNS1_3genE0ELNS1_11target_archE4294967295ELNS1_3gpuE0ELNS1_3repE0EEENS1_30default_config_static_selectorELNS0_4arch9wavefront6targetE1EEEvT1_, .Lfunc_end6723-_ZN7rocprim17ROCPRIM_400000_NS6detail17trampoline_kernelINS0_14default_configENS1_20scan_config_selectorIsEEZZNS1_9scan_implILNS1_25lookback_scan_determinismE0ELb0ELb0ES3_N6thrust23THRUST_200600_302600_NS6detail15normal_iteratorINS9_10device_ptrIsEEEESE_s9plus_mod3IsEsEEDaPvRmT3_T4_T5_mT6_P12ihipStream_tbENKUlT_T0_E_clISt17integral_constantIbLb1EEST_IbLb0EEEEDaSP_SQ_EUlSP_E0_NS1_11comp_targetILNS1_3genE0ELNS1_11target_archE4294967295ELNS1_3gpuE0ELNS1_3repE0EEENS1_30default_config_static_selectorELNS0_4arch9wavefront6targetE1EEEvT1_
                                        ; -- End function
	.section	.AMDGPU.csdata,"",@progbits
; Kernel info:
; codeLenInByte = 0
; NumSgprs: 4
; NumVgprs: 0
; NumAgprs: 0
; TotalNumVgprs: 0
; ScratchSize: 0
; MemoryBound: 0
; FloatMode: 240
; IeeeMode: 1
; LDSByteSize: 0 bytes/workgroup (compile time only)
; SGPRBlocks: 0
; VGPRBlocks: 0
; NumSGPRsForWavesPerEU: 4
; NumVGPRsForWavesPerEU: 1
; AccumOffset: 4
; Occupancy: 8
; WaveLimiterHint : 0
; COMPUTE_PGM_RSRC2:SCRATCH_EN: 0
; COMPUTE_PGM_RSRC2:USER_SGPR: 6
; COMPUTE_PGM_RSRC2:TRAP_HANDLER: 0
; COMPUTE_PGM_RSRC2:TGID_X_EN: 1
; COMPUTE_PGM_RSRC2:TGID_Y_EN: 0
; COMPUTE_PGM_RSRC2:TGID_Z_EN: 0
; COMPUTE_PGM_RSRC2:TIDIG_COMP_CNT: 0
; COMPUTE_PGM_RSRC3_GFX90A:ACCUM_OFFSET: 0
; COMPUTE_PGM_RSRC3_GFX90A:TG_SPLIT: 0
	.section	.text._ZN7rocprim17ROCPRIM_400000_NS6detail17trampoline_kernelINS0_14default_configENS1_20scan_config_selectorIsEEZZNS1_9scan_implILNS1_25lookback_scan_determinismE0ELb0ELb0ES3_N6thrust23THRUST_200600_302600_NS6detail15normal_iteratorINS9_10device_ptrIsEEEESE_s9plus_mod3IsEsEEDaPvRmT3_T4_T5_mT6_P12ihipStream_tbENKUlT_T0_E_clISt17integral_constantIbLb1EEST_IbLb0EEEEDaSP_SQ_EUlSP_E0_NS1_11comp_targetILNS1_3genE5ELNS1_11target_archE942ELNS1_3gpuE9ELNS1_3repE0EEENS1_30default_config_static_selectorELNS0_4arch9wavefront6targetE1EEEvT1_,"axG",@progbits,_ZN7rocprim17ROCPRIM_400000_NS6detail17trampoline_kernelINS0_14default_configENS1_20scan_config_selectorIsEEZZNS1_9scan_implILNS1_25lookback_scan_determinismE0ELb0ELb0ES3_N6thrust23THRUST_200600_302600_NS6detail15normal_iteratorINS9_10device_ptrIsEEEESE_s9plus_mod3IsEsEEDaPvRmT3_T4_T5_mT6_P12ihipStream_tbENKUlT_T0_E_clISt17integral_constantIbLb1EEST_IbLb0EEEEDaSP_SQ_EUlSP_E0_NS1_11comp_targetILNS1_3genE5ELNS1_11target_archE942ELNS1_3gpuE9ELNS1_3repE0EEENS1_30default_config_static_selectorELNS0_4arch9wavefront6targetE1EEEvT1_,comdat
	.protected	_ZN7rocprim17ROCPRIM_400000_NS6detail17trampoline_kernelINS0_14default_configENS1_20scan_config_selectorIsEEZZNS1_9scan_implILNS1_25lookback_scan_determinismE0ELb0ELb0ES3_N6thrust23THRUST_200600_302600_NS6detail15normal_iteratorINS9_10device_ptrIsEEEESE_s9plus_mod3IsEsEEDaPvRmT3_T4_T5_mT6_P12ihipStream_tbENKUlT_T0_E_clISt17integral_constantIbLb1EEST_IbLb0EEEEDaSP_SQ_EUlSP_E0_NS1_11comp_targetILNS1_3genE5ELNS1_11target_archE942ELNS1_3gpuE9ELNS1_3repE0EEENS1_30default_config_static_selectorELNS0_4arch9wavefront6targetE1EEEvT1_ ; -- Begin function _ZN7rocprim17ROCPRIM_400000_NS6detail17trampoline_kernelINS0_14default_configENS1_20scan_config_selectorIsEEZZNS1_9scan_implILNS1_25lookback_scan_determinismE0ELb0ELb0ES3_N6thrust23THRUST_200600_302600_NS6detail15normal_iteratorINS9_10device_ptrIsEEEESE_s9plus_mod3IsEsEEDaPvRmT3_T4_T5_mT6_P12ihipStream_tbENKUlT_T0_E_clISt17integral_constantIbLb1EEST_IbLb0EEEEDaSP_SQ_EUlSP_E0_NS1_11comp_targetILNS1_3genE5ELNS1_11target_archE942ELNS1_3gpuE9ELNS1_3repE0EEENS1_30default_config_static_selectorELNS0_4arch9wavefront6targetE1EEEvT1_
	.globl	_ZN7rocprim17ROCPRIM_400000_NS6detail17trampoline_kernelINS0_14default_configENS1_20scan_config_selectorIsEEZZNS1_9scan_implILNS1_25lookback_scan_determinismE0ELb0ELb0ES3_N6thrust23THRUST_200600_302600_NS6detail15normal_iteratorINS9_10device_ptrIsEEEESE_s9plus_mod3IsEsEEDaPvRmT3_T4_T5_mT6_P12ihipStream_tbENKUlT_T0_E_clISt17integral_constantIbLb1EEST_IbLb0EEEEDaSP_SQ_EUlSP_E0_NS1_11comp_targetILNS1_3genE5ELNS1_11target_archE942ELNS1_3gpuE9ELNS1_3repE0EEENS1_30default_config_static_selectorELNS0_4arch9wavefront6targetE1EEEvT1_
	.p2align	8
	.type	_ZN7rocprim17ROCPRIM_400000_NS6detail17trampoline_kernelINS0_14default_configENS1_20scan_config_selectorIsEEZZNS1_9scan_implILNS1_25lookback_scan_determinismE0ELb0ELb0ES3_N6thrust23THRUST_200600_302600_NS6detail15normal_iteratorINS9_10device_ptrIsEEEESE_s9plus_mod3IsEsEEDaPvRmT3_T4_T5_mT6_P12ihipStream_tbENKUlT_T0_E_clISt17integral_constantIbLb1EEST_IbLb0EEEEDaSP_SQ_EUlSP_E0_NS1_11comp_targetILNS1_3genE5ELNS1_11target_archE942ELNS1_3gpuE9ELNS1_3repE0EEENS1_30default_config_static_selectorELNS0_4arch9wavefront6targetE1EEEvT1_,@function
_ZN7rocprim17ROCPRIM_400000_NS6detail17trampoline_kernelINS0_14default_configENS1_20scan_config_selectorIsEEZZNS1_9scan_implILNS1_25lookback_scan_determinismE0ELb0ELb0ES3_N6thrust23THRUST_200600_302600_NS6detail15normal_iteratorINS9_10device_ptrIsEEEESE_s9plus_mod3IsEsEEDaPvRmT3_T4_T5_mT6_P12ihipStream_tbENKUlT_T0_E_clISt17integral_constantIbLb1EEST_IbLb0EEEEDaSP_SQ_EUlSP_E0_NS1_11comp_targetILNS1_3genE5ELNS1_11target_archE942ELNS1_3gpuE9ELNS1_3repE0EEENS1_30default_config_static_selectorELNS0_4arch9wavefront6targetE1EEEvT1_: ; @_ZN7rocprim17ROCPRIM_400000_NS6detail17trampoline_kernelINS0_14default_configENS1_20scan_config_selectorIsEEZZNS1_9scan_implILNS1_25lookback_scan_determinismE0ELb0ELb0ES3_N6thrust23THRUST_200600_302600_NS6detail15normal_iteratorINS9_10device_ptrIsEEEESE_s9plus_mod3IsEsEEDaPvRmT3_T4_T5_mT6_P12ihipStream_tbENKUlT_T0_E_clISt17integral_constantIbLb1EEST_IbLb0EEEEDaSP_SQ_EUlSP_E0_NS1_11comp_targetILNS1_3genE5ELNS1_11target_archE942ELNS1_3gpuE9ELNS1_3repE0EEENS1_30default_config_static_selectorELNS0_4arch9wavefront6targetE1EEEvT1_
; %bb.0:
	.section	.rodata,"a",@progbits
	.p2align	6, 0x0
	.amdhsa_kernel _ZN7rocprim17ROCPRIM_400000_NS6detail17trampoline_kernelINS0_14default_configENS1_20scan_config_selectorIsEEZZNS1_9scan_implILNS1_25lookback_scan_determinismE0ELb0ELb0ES3_N6thrust23THRUST_200600_302600_NS6detail15normal_iteratorINS9_10device_ptrIsEEEESE_s9plus_mod3IsEsEEDaPvRmT3_T4_T5_mT6_P12ihipStream_tbENKUlT_T0_E_clISt17integral_constantIbLb1EEST_IbLb0EEEEDaSP_SQ_EUlSP_E0_NS1_11comp_targetILNS1_3genE5ELNS1_11target_archE942ELNS1_3gpuE9ELNS1_3repE0EEENS1_30default_config_static_selectorELNS0_4arch9wavefront6targetE1EEEvT1_
		.amdhsa_group_segment_fixed_size 0
		.amdhsa_private_segment_fixed_size 0
		.amdhsa_kernarg_size 40
		.amdhsa_user_sgpr_count 6
		.amdhsa_user_sgpr_private_segment_buffer 1
		.amdhsa_user_sgpr_dispatch_ptr 0
		.amdhsa_user_sgpr_queue_ptr 0
		.amdhsa_user_sgpr_kernarg_segment_ptr 1
		.amdhsa_user_sgpr_dispatch_id 0
		.amdhsa_user_sgpr_flat_scratch_init 0
		.amdhsa_user_sgpr_kernarg_preload_length 0
		.amdhsa_user_sgpr_kernarg_preload_offset 0
		.amdhsa_user_sgpr_private_segment_size 0
		.amdhsa_uses_dynamic_stack 0
		.amdhsa_system_sgpr_private_segment_wavefront_offset 0
		.amdhsa_system_sgpr_workgroup_id_x 1
		.amdhsa_system_sgpr_workgroup_id_y 0
		.amdhsa_system_sgpr_workgroup_id_z 0
		.amdhsa_system_sgpr_workgroup_info 0
		.amdhsa_system_vgpr_workitem_id 0
		.amdhsa_next_free_vgpr 1
		.amdhsa_next_free_sgpr 0
		.amdhsa_accum_offset 4
		.amdhsa_reserve_vcc 0
		.amdhsa_reserve_flat_scratch 0
		.amdhsa_float_round_mode_32 0
		.amdhsa_float_round_mode_16_64 0
		.amdhsa_float_denorm_mode_32 3
		.amdhsa_float_denorm_mode_16_64 3
		.amdhsa_dx10_clamp 1
		.amdhsa_ieee_mode 1
		.amdhsa_fp16_overflow 0
		.amdhsa_tg_split 0
		.amdhsa_exception_fp_ieee_invalid_op 0
		.amdhsa_exception_fp_denorm_src 0
		.amdhsa_exception_fp_ieee_div_zero 0
		.amdhsa_exception_fp_ieee_overflow 0
		.amdhsa_exception_fp_ieee_underflow 0
		.amdhsa_exception_fp_ieee_inexact 0
		.amdhsa_exception_int_div_zero 0
	.end_amdhsa_kernel
	.section	.text._ZN7rocprim17ROCPRIM_400000_NS6detail17trampoline_kernelINS0_14default_configENS1_20scan_config_selectorIsEEZZNS1_9scan_implILNS1_25lookback_scan_determinismE0ELb0ELb0ES3_N6thrust23THRUST_200600_302600_NS6detail15normal_iteratorINS9_10device_ptrIsEEEESE_s9plus_mod3IsEsEEDaPvRmT3_T4_T5_mT6_P12ihipStream_tbENKUlT_T0_E_clISt17integral_constantIbLb1EEST_IbLb0EEEEDaSP_SQ_EUlSP_E0_NS1_11comp_targetILNS1_3genE5ELNS1_11target_archE942ELNS1_3gpuE9ELNS1_3repE0EEENS1_30default_config_static_selectorELNS0_4arch9wavefront6targetE1EEEvT1_,"axG",@progbits,_ZN7rocprim17ROCPRIM_400000_NS6detail17trampoline_kernelINS0_14default_configENS1_20scan_config_selectorIsEEZZNS1_9scan_implILNS1_25lookback_scan_determinismE0ELb0ELb0ES3_N6thrust23THRUST_200600_302600_NS6detail15normal_iteratorINS9_10device_ptrIsEEEESE_s9plus_mod3IsEsEEDaPvRmT3_T4_T5_mT6_P12ihipStream_tbENKUlT_T0_E_clISt17integral_constantIbLb1EEST_IbLb0EEEEDaSP_SQ_EUlSP_E0_NS1_11comp_targetILNS1_3genE5ELNS1_11target_archE942ELNS1_3gpuE9ELNS1_3repE0EEENS1_30default_config_static_selectorELNS0_4arch9wavefront6targetE1EEEvT1_,comdat
.Lfunc_end6724:
	.size	_ZN7rocprim17ROCPRIM_400000_NS6detail17trampoline_kernelINS0_14default_configENS1_20scan_config_selectorIsEEZZNS1_9scan_implILNS1_25lookback_scan_determinismE0ELb0ELb0ES3_N6thrust23THRUST_200600_302600_NS6detail15normal_iteratorINS9_10device_ptrIsEEEESE_s9plus_mod3IsEsEEDaPvRmT3_T4_T5_mT6_P12ihipStream_tbENKUlT_T0_E_clISt17integral_constantIbLb1EEST_IbLb0EEEEDaSP_SQ_EUlSP_E0_NS1_11comp_targetILNS1_3genE5ELNS1_11target_archE942ELNS1_3gpuE9ELNS1_3repE0EEENS1_30default_config_static_selectorELNS0_4arch9wavefront6targetE1EEEvT1_, .Lfunc_end6724-_ZN7rocprim17ROCPRIM_400000_NS6detail17trampoline_kernelINS0_14default_configENS1_20scan_config_selectorIsEEZZNS1_9scan_implILNS1_25lookback_scan_determinismE0ELb0ELb0ES3_N6thrust23THRUST_200600_302600_NS6detail15normal_iteratorINS9_10device_ptrIsEEEESE_s9plus_mod3IsEsEEDaPvRmT3_T4_T5_mT6_P12ihipStream_tbENKUlT_T0_E_clISt17integral_constantIbLb1EEST_IbLb0EEEEDaSP_SQ_EUlSP_E0_NS1_11comp_targetILNS1_3genE5ELNS1_11target_archE942ELNS1_3gpuE9ELNS1_3repE0EEENS1_30default_config_static_selectorELNS0_4arch9wavefront6targetE1EEEvT1_
                                        ; -- End function
	.section	.AMDGPU.csdata,"",@progbits
; Kernel info:
; codeLenInByte = 0
; NumSgprs: 4
; NumVgprs: 0
; NumAgprs: 0
; TotalNumVgprs: 0
; ScratchSize: 0
; MemoryBound: 0
; FloatMode: 240
; IeeeMode: 1
; LDSByteSize: 0 bytes/workgroup (compile time only)
; SGPRBlocks: 0
; VGPRBlocks: 0
; NumSGPRsForWavesPerEU: 4
; NumVGPRsForWavesPerEU: 1
; AccumOffset: 4
; Occupancy: 8
; WaveLimiterHint : 0
; COMPUTE_PGM_RSRC2:SCRATCH_EN: 0
; COMPUTE_PGM_RSRC2:USER_SGPR: 6
; COMPUTE_PGM_RSRC2:TRAP_HANDLER: 0
; COMPUTE_PGM_RSRC2:TGID_X_EN: 1
; COMPUTE_PGM_RSRC2:TGID_Y_EN: 0
; COMPUTE_PGM_RSRC2:TGID_Z_EN: 0
; COMPUTE_PGM_RSRC2:TIDIG_COMP_CNT: 0
; COMPUTE_PGM_RSRC3_GFX90A:ACCUM_OFFSET: 0
; COMPUTE_PGM_RSRC3_GFX90A:TG_SPLIT: 0
	.section	.text._ZN7rocprim17ROCPRIM_400000_NS6detail17trampoline_kernelINS0_14default_configENS1_20scan_config_selectorIsEEZZNS1_9scan_implILNS1_25lookback_scan_determinismE0ELb0ELb0ES3_N6thrust23THRUST_200600_302600_NS6detail15normal_iteratorINS9_10device_ptrIsEEEESE_s9plus_mod3IsEsEEDaPvRmT3_T4_T5_mT6_P12ihipStream_tbENKUlT_T0_E_clISt17integral_constantIbLb1EEST_IbLb0EEEEDaSP_SQ_EUlSP_E0_NS1_11comp_targetILNS1_3genE4ELNS1_11target_archE910ELNS1_3gpuE8ELNS1_3repE0EEENS1_30default_config_static_selectorELNS0_4arch9wavefront6targetE1EEEvT1_,"axG",@progbits,_ZN7rocprim17ROCPRIM_400000_NS6detail17trampoline_kernelINS0_14default_configENS1_20scan_config_selectorIsEEZZNS1_9scan_implILNS1_25lookback_scan_determinismE0ELb0ELb0ES3_N6thrust23THRUST_200600_302600_NS6detail15normal_iteratorINS9_10device_ptrIsEEEESE_s9plus_mod3IsEsEEDaPvRmT3_T4_T5_mT6_P12ihipStream_tbENKUlT_T0_E_clISt17integral_constantIbLb1EEST_IbLb0EEEEDaSP_SQ_EUlSP_E0_NS1_11comp_targetILNS1_3genE4ELNS1_11target_archE910ELNS1_3gpuE8ELNS1_3repE0EEENS1_30default_config_static_selectorELNS0_4arch9wavefront6targetE1EEEvT1_,comdat
	.protected	_ZN7rocprim17ROCPRIM_400000_NS6detail17trampoline_kernelINS0_14default_configENS1_20scan_config_selectorIsEEZZNS1_9scan_implILNS1_25lookback_scan_determinismE0ELb0ELb0ES3_N6thrust23THRUST_200600_302600_NS6detail15normal_iteratorINS9_10device_ptrIsEEEESE_s9plus_mod3IsEsEEDaPvRmT3_T4_T5_mT6_P12ihipStream_tbENKUlT_T0_E_clISt17integral_constantIbLb1EEST_IbLb0EEEEDaSP_SQ_EUlSP_E0_NS1_11comp_targetILNS1_3genE4ELNS1_11target_archE910ELNS1_3gpuE8ELNS1_3repE0EEENS1_30default_config_static_selectorELNS0_4arch9wavefront6targetE1EEEvT1_ ; -- Begin function _ZN7rocprim17ROCPRIM_400000_NS6detail17trampoline_kernelINS0_14default_configENS1_20scan_config_selectorIsEEZZNS1_9scan_implILNS1_25lookback_scan_determinismE0ELb0ELb0ES3_N6thrust23THRUST_200600_302600_NS6detail15normal_iteratorINS9_10device_ptrIsEEEESE_s9plus_mod3IsEsEEDaPvRmT3_T4_T5_mT6_P12ihipStream_tbENKUlT_T0_E_clISt17integral_constantIbLb1EEST_IbLb0EEEEDaSP_SQ_EUlSP_E0_NS1_11comp_targetILNS1_3genE4ELNS1_11target_archE910ELNS1_3gpuE8ELNS1_3repE0EEENS1_30default_config_static_selectorELNS0_4arch9wavefront6targetE1EEEvT1_
	.globl	_ZN7rocprim17ROCPRIM_400000_NS6detail17trampoline_kernelINS0_14default_configENS1_20scan_config_selectorIsEEZZNS1_9scan_implILNS1_25lookback_scan_determinismE0ELb0ELb0ES3_N6thrust23THRUST_200600_302600_NS6detail15normal_iteratorINS9_10device_ptrIsEEEESE_s9plus_mod3IsEsEEDaPvRmT3_T4_T5_mT6_P12ihipStream_tbENKUlT_T0_E_clISt17integral_constantIbLb1EEST_IbLb0EEEEDaSP_SQ_EUlSP_E0_NS1_11comp_targetILNS1_3genE4ELNS1_11target_archE910ELNS1_3gpuE8ELNS1_3repE0EEENS1_30default_config_static_selectorELNS0_4arch9wavefront6targetE1EEEvT1_
	.p2align	8
	.type	_ZN7rocprim17ROCPRIM_400000_NS6detail17trampoline_kernelINS0_14default_configENS1_20scan_config_selectorIsEEZZNS1_9scan_implILNS1_25lookback_scan_determinismE0ELb0ELb0ES3_N6thrust23THRUST_200600_302600_NS6detail15normal_iteratorINS9_10device_ptrIsEEEESE_s9plus_mod3IsEsEEDaPvRmT3_T4_T5_mT6_P12ihipStream_tbENKUlT_T0_E_clISt17integral_constantIbLb1EEST_IbLb0EEEEDaSP_SQ_EUlSP_E0_NS1_11comp_targetILNS1_3genE4ELNS1_11target_archE910ELNS1_3gpuE8ELNS1_3repE0EEENS1_30default_config_static_selectorELNS0_4arch9wavefront6targetE1EEEvT1_,@function
_ZN7rocprim17ROCPRIM_400000_NS6detail17trampoline_kernelINS0_14default_configENS1_20scan_config_selectorIsEEZZNS1_9scan_implILNS1_25lookback_scan_determinismE0ELb0ELb0ES3_N6thrust23THRUST_200600_302600_NS6detail15normal_iteratorINS9_10device_ptrIsEEEESE_s9plus_mod3IsEsEEDaPvRmT3_T4_T5_mT6_P12ihipStream_tbENKUlT_T0_E_clISt17integral_constantIbLb1EEST_IbLb0EEEEDaSP_SQ_EUlSP_E0_NS1_11comp_targetILNS1_3genE4ELNS1_11target_archE910ELNS1_3gpuE8ELNS1_3repE0EEENS1_30default_config_static_selectorELNS0_4arch9wavefront6targetE1EEEvT1_: ; @_ZN7rocprim17ROCPRIM_400000_NS6detail17trampoline_kernelINS0_14default_configENS1_20scan_config_selectorIsEEZZNS1_9scan_implILNS1_25lookback_scan_determinismE0ELb0ELb0ES3_N6thrust23THRUST_200600_302600_NS6detail15normal_iteratorINS9_10device_ptrIsEEEESE_s9plus_mod3IsEsEEDaPvRmT3_T4_T5_mT6_P12ihipStream_tbENKUlT_T0_E_clISt17integral_constantIbLb1EEST_IbLb0EEEEDaSP_SQ_EUlSP_E0_NS1_11comp_targetILNS1_3genE4ELNS1_11target_archE910ELNS1_3gpuE8ELNS1_3repE0EEENS1_30default_config_static_selectorELNS0_4arch9wavefront6targetE1EEEvT1_
; %bb.0:
	s_load_dwordx4 s[56:59], s[4:5], 0x0
	v_mov_b32_e32 v1, 0
	v_lshlrev_b32_e32 v54, 1, v0
	s_waitcnt lgkmcnt(0)
	global_load_ushort v2, v1, s[56:57]
	v_cmp_gt_u32_e32 vcc, s58, v0
	s_waitcnt vmcnt(0)
	v_mov_b32_e32 v3, v2
	s_and_saveexec_b64 s[0:1], vcc
	s_cbranch_execz .LBB6725_2
; %bb.1:
	global_load_ushort v3, v54, s[56:57]
.LBB6725_2:
	s_or_b64 exec, exec, s[0:1]
	v_or_b32_e32 v1, 64, v0
	v_cmp_gt_u32_e64 s[0:1], s58, v1
	v_mov_b32_e32 v4, v2
	s_and_saveexec_b64 s[2:3], s[0:1]
	s_cbranch_execz .LBB6725_4
; %bb.3:
	global_load_ushort v4, v54, s[56:57] offset:128
.LBB6725_4:
	s_or_b64 exec, exec, s[2:3]
	v_or_b32_e32 v1, 0x80, v0
	v_cmp_gt_u32_e64 s[2:3], s58, v1
	v_mov_b32_e32 v5, v2
	s_and_saveexec_b64 s[6:7], s[2:3]
	s_cbranch_execz .LBB6725_6
; %bb.5:
	global_load_ushort v5, v54, s[56:57] offset:256
.LBB6725_6:
	;; [unrolled: 9-line block ×22, first 2 shown]
	s_or_b64 exec, exec, s[46:47]
	v_or_b32_e32 v1, 0x5c0, v0
	v_cmp_gt_u32_e64 s[46:47], s58, v1
	v_cmp_le_u32_e64 s[50:51], s58, v1
	s_and_saveexec_b64 s[52:53], s[50:51]
	s_xor_b64 s[50:51], exec, s[52:53]
; %bb.47:
	v_mov_b32_e32 v1, 0
; %bb.48:
	s_or_saveexec_b64 s[50:51], s[50:51]
	s_load_dwordx4 s[52:55], s[4:5], 0x18
	s_xor_b64 exec, exec, s[50:51]
	s_cbranch_execz .LBB6725_50
; %bb.49:
	global_load_ushort v2, v54, s[56:57] offset:2944
	v_mov_b32_e32 v1, 0
.LBB6725_50:
	s_or_b64 exec, exec, s[50:51]
	s_waitcnt vmcnt(0)
	ds_write_b16 v54, v3
	ds_write_b16 v54, v4 offset:128
	ds_write_b16 v54, v5 offset:256
	;; [unrolled: 1-line block ×23, first 2 shown]
	v_mad_u32_u24 v6, v0, 46, v54
	s_waitcnt lgkmcnt(0)
	; wave barrier
	s_waitcnt lgkmcnt(0)
	ds_read_b128 v[2:5], v6
	ds_read_b128 v[10:13], v6 offset:16
	ds_read_b128 v[6:9], v6 offset:32
	v_mov_b32_e32 v16, s53
	s_waitcnt lgkmcnt(0)
	v_bfe_i32 v18, v2, 0, 16
	v_lshrrev_b32_e32 v14, 16, v2
	v_ashrrev_i32_e32 v19, 31, v18
	v_bfe_i32 v14, v14, 0, 16
	v_lshlrev_b64 v[20:21], 1, v[18:19]
	v_ashrrev_i32_e32 v15, 31, v14
	v_add_co_u32_e64 v17, s[4:5], s52, v20
	v_addc_co_u32_e64 v22, s[4:5], v16, v21, s[4:5]
	v_lshlrev_b64 v[14:15], 1, v[14:15]
	v_add_co_u32_e64 v16, s[4:5], v17, v14
	v_addc_co_u32_e64 v17, s[4:5], v22, v15, s[4:5]
	; wave barrier
	global_load_ushort v22, v[16:17], off
	v_bfe_i32 v16, v3, 0, 16
	v_mov_b32_e32 v24, s53
	v_ashrrev_i32_e32 v17, 31, v16
	v_lshlrev_b64 v[16:17], 1, v[16:17]
	v_lshrrev_b32_e32 v3, 16, v3
	v_mov_b32_e32 v26, s53
	v_mov_b32_e32 v28, s53
	;; [unrolled: 1-line block ×15, first 2 shown]
	s_waitcnt vmcnt(0)
	v_bfe_i32 v22, v22, 0, 16
	v_ashrrev_i32_e32 v23, 31, v22
	v_lshlrev_b64 v[22:23], 1, v[22:23]
	v_add_co_u32_e64 v22, s[4:5], s52, v22
	v_addc_co_u32_e64 v23, s[4:5], v24, v23, s[4:5]
	v_add_co_u32_e64 v22, s[4:5], v22, v16
	v_addc_co_u32_e64 v23, s[4:5], v23, v17, s[4:5]
	global_load_ushort v24, v[22:23], off
	v_bfe_i32 v22, v3, 0, 16
	v_ashrrev_i32_e32 v23, 31, v22
	v_lshlrev_b64 v[22:23], 1, v[22:23]
	s_waitcnt vmcnt(0)
	v_bfe_i32 v24, v24, 0, 16
	v_ashrrev_i32_e32 v25, 31, v24
	v_lshlrev_b64 v[24:25], 1, v[24:25]
	v_add_co_u32_e64 v3, s[4:5], s52, v24
	v_addc_co_u32_e64 v25, s[4:5], v26, v25, s[4:5]
	v_add_co_u32_e64 v24, s[4:5], v3, v22
	v_addc_co_u32_e64 v25, s[4:5], v25, v23, s[4:5]
	global_load_ushort v3, v[24:25], off
	v_bfe_i32 v24, v4, 0, 16
	v_ashrrev_i32_e32 v25, 31, v24
	v_lshlrev_b64 v[24:25], 1, v[24:25]
	v_lshrrev_b32_e32 v4, 16, v4
	s_waitcnt vmcnt(0)
	v_bfe_i32 v26, v3, 0, 16
	v_ashrrev_i32_e32 v27, 31, v26
	v_lshlrev_b64 v[26:27], 1, v[26:27]
	v_add_co_u32_e64 v3, s[4:5], s52, v26
	v_addc_co_u32_e64 v27, s[4:5], v28, v27, s[4:5]
	v_add_co_u32_e64 v26, s[4:5], v3, v24
	v_addc_co_u32_e64 v27, s[4:5], v27, v25, s[4:5]
	global_load_ushort v3, v[26:27], off
	v_bfe_i32 v26, v4, 0, 16
	v_ashrrev_i32_e32 v27, 31, v26
	v_lshlrev_b64 v[26:27], 1, v[26:27]
	s_waitcnt vmcnt(0)
	v_bfe_i32 v28, v3, 0, 16
	v_ashrrev_i32_e32 v29, 31, v28
	v_lshlrev_b64 v[28:29], 1, v[28:29]
	v_add_co_u32_e64 v3, s[4:5], s52, v28
	v_addc_co_u32_e64 v4, s[4:5], v30, v29, s[4:5]
	v_add_co_u32_e64 v28, s[4:5], v3, v26
	v_addc_co_u32_e64 v29, s[4:5], v4, v27, s[4:5]
	global_load_ushort v3, v[28:29], off
	v_bfe_i32 v28, v5, 0, 16
	v_mov_b32_e32 v4, s53
	v_ashrrev_i32_e32 v29, 31, v28
	v_lshlrev_b64 v[28:29], 1, v[28:29]
	s_waitcnt vmcnt(0)
	v_bfe_i32 v30, v3, 0, 16
	v_ashrrev_i32_e32 v31, 31, v30
	v_lshlrev_b64 v[30:31], 1, v[30:31]
	v_add_co_u32_e64 v3, s[4:5], s52, v30
	v_addc_co_u32_e64 v4, s[4:5], v4, v31, s[4:5]
	v_add_co_u32_e64 v30, s[4:5], v3, v28
	v_addc_co_u32_e64 v31, s[4:5], v4, v29, s[4:5]
	global_load_ushort v3, v[30:31], off
	v_lshrrev_b32_e32 v4, 16, v5
	v_bfe_i32 v4, v4, 0, 16
	v_ashrrev_i32_e32 v5, 31, v4
	v_lshlrev_b64 v[4:5], 1, v[4:5]
	s_waitcnt vmcnt(0)
	v_bfe_i32 v30, v3, 0, 16
	v_ashrrev_i32_e32 v31, 31, v30
	v_lshlrev_b64 v[30:31], 1, v[30:31]
	v_add_co_u32_e64 v3, s[4:5], s52, v30
	v_addc_co_u32_e64 v31, s[4:5], v32, v31, s[4:5]
	v_add_co_u32_e64 v30, s[4:5], v3, v4
	v_addc_co_u32_e64 v31, s[4:5], v31, v5, s[4:5]
	global_load_ushort v3, v[30:31], off
	v_bfe_i32 v30, v10, 0, 16
	v_ashrrev_i32_e32 v31, 31, v30
	v_lshlrev_b64 v[30:31], 1, v[30:31]
	v_lshrrev_b32_e32 v10, 16, v10
	s_waitcnt vmcnt(0)
	v_bfe_i32 v32, v3, 0, 16
	v_ashrrev_i32_e32 v33, 31, v32
	v_lshlrev_b64 v[32:33], 1, v[32:33]
	v_add_co_u32_e64 v3, s[4:5], s52, v32
	v_addc_co_u32_e64 v33, s[4:5], v34, v33, s[4:5]
	v_add_co_u32_e64 v32, s[4:5], v3, v30
	v_addc_co_u32_e64 v33, s[4:5], v33, v31, s[4:5]
	global_load_ushort v3, v[32:33], off
	v_bfe_i32 v32, v10, 0, 16
	v_ashrrev_i32_e32 v33, 31, v32
	v_lshlrev_b64 v[32:33], 1, v[32:33]
	s_waitcnt vmcnt(0)
	v_bfe_i32 v34, v3, 0, 16
	v_ashrrev_i32_e32 v35, 31, v34
	v_lshlrev_b64 v[34:35], 1, v[34:35]
	v_add_co_u32_e64 v3, s[4:5], s52, v34
	v_addc_co_u32_e64 v10, s[4:5], v36, v35, s[4:5]
	v_add_co_u32_e64 v34, s[4:5], v3, v32
	v_addc_co_u32_e64 v35, s[4:5], v10, v33, s[4:5]
	global_load_ushort v3, v[34:35], off
	v_bfe_i32 v34, v11, 0, 16
	v_mov_b32_e32 v10, s53
	v_ashrrev_i32_e32 v35, 31, v34
	v_lshlrev_b64 v[34:35], 1, v[34:35]
	s_waitcnt vmcnt(0)
	v_bfe_i32 v36, v3, 0, 16
	v_ashrrev_i32_e32 v37, 31, v36
	v_lshlrev_b64 v[36:37], 1, v[36:37]
	v_add_co_u32_e64 v3, s[4:5], s52, v36
	v_addc_co_u32_e64 v10, s[4:5], v10, v37, s[4:5]
	v_add_co_u32_e64 v36, s[4:5], v3, v34
	v_addc_co_u32_e64 v37, s[4:5], v10, v35, s[4:5]
	global_load_ushort v3, v[36:37], off
	v_lshrrev_b32_e32 v10, 16, v11
	;; [unrolled: 51-line block ×5, first 2 shown]
	v_bfe_i32 v8, v8, 0, 16
	v_ashrrev_i32_e32 v9, 31, v8
	v_lshlrev_b64 v[8:9], 1, v[8:9]
	s_waitcnt vmcnt(0)
	v_bfe_i32 v56, v3, 0, 16
	v_ashrrev_i32_e32 v57, 31, v56
	v_lshlrev_b64 v[56:57], 1, v[56:57]
	v_add_co_u32_e64 v3, s[4:5], s52, v56
	v_addc_co_u32_e64 v55, s[4:5], v55, v57, s[4:5]
	v_add_co_u32_e64 v56, s[4:5], v3, v8
	v_addc_co_u32_e64 v57, s[4:5], v55, v9, s[4:5]
	global_load_ushort v55, v[56:57], off
	v_mbcnt_lo_u32_b32 v3, -1, 0
	v_mbcnt_hi_u32_b32 v3, -1, v3
	v_and_b32_e32 v56, 15, v3
	v_cmp_ne_u32_e64 s[4:5], 0, v56
	s_waitcnt vmcnt(0)
	v_and_b32_e32 v57, 0xffff, v55
	s_nop 1
	v_mov_b32_dpp v58, v57 row_shr:1 row_mask:0xf bank_mask:0xf
	s_and_saveexec_b64 s[50:51], s[4:5]
	s_cbranch_execz .LBB6725_52
; %bb.51:
	v_lshlrev_b32_e32 v59, 16, v58
	v_mov_b32_e32 v58, 0
	v_ashrrev_i64 v[58:59], 47, v[58:59]
	v_mov_b32_e32 v57, s53
	v_add_co_u32_e64 v60, s[4:5], s52, v58
	v_bfe_i32 v58, v55, 0, 16
	v_addc_co_u32_e64 v57, s[4:5], v57, v59, s[4:5]
	v_ashrrev_i32_e32 v59, 31, v58
	v_lshlrev_b64 v[58:59], 1, v[58:59]
	v_add_co_u32_e64 v58, s[4:5], v60, v58
	v_addc_co_u32_e64 v59, s[4:5], v57, v59, s[4:5]
	global_load_ushort v55, v[58:59], off
	s_waitcnt vmcnt(0)
	v_and_b32_e32 v57, 0xffff, v55
.LBB6725_52:
	s_or_b64 exec, exec, s[50:51]
	s_nop 0
	v_mov_b32_dpp v58, v57 row_shr:2 row_mask:0xf bank_mask:0xf
	v_cmp_lt_u32_e64 s[4:5], 1, v56
	s_and_saveexec_b64 s[50:51], s[4:5]
	s_cbranch_execz .LBB6725_54
; %bb.53:
	v_lshlrev_b32_e32 v59, 16, v58
	v_mov_b32_e32 v58, 0
	v_ashrrev_i64 v[58:59], 47, v[58:59]
	v_mov_b32_e32 v57, s53
	v_add_co_u32_e64 v60, s[4:5], s52, v58
	v_bfe_i32 v58, v55, 0, 16
	v_addc_co_u32_e64 v57, s[4:5], v57, v59, s[4:5]
	v_ashrrev_i32_e32 v59, 31, v58
	v_lshlrev_b64 v[58:59], 1, v[58:59]
	v_add_co_u32_e64 v58, s[4:5], v60, v58
	v_addc_co_u32_e64 v59, s[4:5], v57, v59, s[4:5]
	global_load_ushort v55, v[58:59], off
	s_waitcnt vmcnt(0)
	v_and_b32_e32 v57, 0xffff, v55
.LBB6725_54:
	s_or_b64 exec, exec, s[50:51]
	s_nop 0
	v_mov_b32_dpp v58, v57 row_shr:4 row_mask:0xf bank_mask:0xf
	v_cmp_lt_u32_e64 s[4:5], 3, v56
	;; [unrolled: 22-line block ×3, first 2 shown]
	s_and_saveexec_b64 s[50:51], s[4:5]
	s_cbranch_execz .LBB6725_58
; %bb.57:
	v_lshlrev_b32_e32 v57, 16, v58
	v_mov_b32_e32 v56, 0
	v_ashrrev_i64 v[56:57], 47, v[56:57]
	v_mov_b32_e32 v58, s53
	v_add_co_u32_e64 v59, s[4:5], s52, v56
	v_bfe_i32 v56, v55, 0, 16
	v_addc_co_u32_e64 v58, s[4:5], v58, v57, s[4:5]
	v_ashrrev_i32_e32 v57, 31, v56
	v_lshlrev_b64 v[56:57], 1, v[56:57]
	v_add_co_u32_e64 v56, s[4:5], v59, v56
	v_addc_co_u32_e64 v57, s[4:5], v58, v57, s[4:5]
	global_load_ushort v55, v[56:57], off
	s_waitcnt vmcnt(0)
	v_and_b32_e32 v57, 0xffff, v55
.LBB6725_58:
	s_or_b64 exec, exec, s[50:51]
	v_and_b32_e32 v58, 16, v3
	v_mov_b32_dpp v56, v57 row_bcast:15 row_mask:0xf bank_mask:0xf
	v_cmp_ne_u32_e64 s[4:5], 0, v58
	s_and_saveexec_b64 s[50:51], s[4:5]
	s_cbranch_execz .LBB6725_60
; %bb.59:
	v_lshlrev_b32_e32 v57, 16, v56
	v_mov_b32_e32 v56, 0
	v_ashrrev_i64 v[56:57], 47, v[56:57]
	v_mov_b32_e32 v58, s53
	v_add_co_u32_e64 v59, s[4:5], s52, v56
	v_bfe_i32 v56, v55, 0, 16
	v_addc_co_u32_e64 v58, s[4:5], v58, v57, s[4:5]
	v_ashrrev_i32_e32 v57, 31, v56
	v_lshlrev_b64 v[56:57], 1, v[56:57]
	v_add_co_u32_e64 v56, s[4:5], v59, v56
	v_addc_co_u32_e64 v57, s[4:5], v58, v57, s[4:5]
	global_load_ushort v55, v[56:57], off
	s_waitcnt vmcnt(0)
	v_and_b32_e32 v57, 0xffff, v55
.LBB6725_60:
	s_or_b64 exec, exec, s[50:51]
	s_nop 0
	v_mov_b32_dpp v56, v57 row_bcast:31 row_mask:0xf bank_mask:0xf
	v_cmp_lt_u32_e64 s[4:5], 31, v3
	s_and_saveexec_b64 s[50:51], s[4:5]
	s_cbranch_execz .LBB6725_62
; %bb.61:
	v_lshlrev_b32_e32 v57, 16, v56
	v_mov_b32_e32 v56, 0
	v_ashrrev_i64 v[56:57], 47, v[56:57]
	v_mov_b32_e32 v58, s53
	v_add_co_u32_e64 v59, s[4:5], s52, v56
	v_bfe_i32 v56, v55, 0, 16
	v_addc_co_u32_e64 v58, s[4:5], v58, v57, s[4:5]
	v_ashrrev_i32_e32 v57, 31, v56
	v_lshlrev_b64 v[56:57], 1, v[56:57]
	v_add_co_u32_e64 v56, s[4:5], v59, v56
	v_addc_co_u32_e64 v57, s[4:5], v58, v57, s[4:5]
	global_load_ushort v55, v[56:57], off
.LBB6725_62:
	s_or_b64 exec, exec, s[50:51]
	v_cmp_eq_u32_e64 s[4:5], 63, v0
	s_and_saveexec_b64 s[50:51], s[4:5]
	s_cbranch_execz .LBB6725_64
; %bb.63:
	v_mov_b32_e32 v56, 0
	s_waitcnt vmcnt(0)
	ds_write_b16 v56, v55
.LBB6725_64:
	s_or_b64 exec, exec, s[50:51]
	v_add_u32_e32 v56, -1, v3
	v_and_b32_e32 v57, 64, v3
	v_cmp_lt_i32_e64 s[4:5], v56, v57
	v_cndmask_b32_e64 v3, v56, v3, s[4:5]
	s_waitcnt vmcnt(0)
	v_and_b32_e32 v55, 0xffff, v55
	v_lshlrev_b32_e32 v3, 2, v3
	ds_bpermute_b32 v55, v3, v55
	v_mul_u32_u24_e32 v3, 46, v0
	v_cmp_ne_u32_e64 s[4:5], 0, v0
	s_waitcnt lgkmcnt(0)
	; wave barrier
	s_waitcnt lgkmcnt(0)
	s_and_saveexec_b64 s[50:51], s[4:5]
	s_cbranch_execz .LBB6725_66
; %bb.65:
	v_lshlrev_b32_e32 v19, 16, v55
	v_mov_b32_e32 v18, 0
	v_ashrrev_i64 v[18:19], 47, v[18:19]
	v_mov_b32_e32 v2, s53
	v_add_co_u32_e64 v18, s[4:5], s52, v18
	v_addc_co_u32_e64 v2, s[4:5], v2, v19, s[4:5]
	v_add_co_u32_e64 v18, s[4:5], v18, v20
	v_addc_co_u32_e64 v19, s[4:5], v2, v21, s[4:5]
	global_load_ushort v2, v[18:19], off
	;;#ASMSTART
	;;#ASMEND
	s_waitcnt vmcnt(0)
	v_bfe_i32 v18, v2, 0, 16
	v_ashrrev_i32_e32 v19, 31, v18
.LBB6725_66:
	s_or_b64 exec, exec, s[50:51]
	v_lshlrev_b64 v[18:19], 1, v[18:19]
	v_mov_b32_e32 v20, s53
	v_add_co_u32_e64 v18, s[4:5], s52, v18
	v_addc_co_u32_e64 v19, s[4:5], v20, v19, s[4:5]
	v_add_co_u32_e64 v14, s[4:5], v18, v14
	v_addc_co_u32_e64 v15, s[4:5], v19, v15, s[4:5]
	global_load_ushort v18, v[14:15], off
	s_waitcnt vmcnt(0)
	v_bfe_i32 v14, v18, 0, 16
	v_ashrrev_i32_e32 v15, 31, v14
	v_lshlrev_b64 v[14:15], 1, v[14:15]
	v_add_co_u32_e64 v14, s[4:5], s52, v14
	v_addc_co_u32_e64 v15, s[4:5], v20, v15, s[4:5]
	v_add_co_u32_e64 v14, s[4:5], v14, v16
	v_addc_co_u32_e64 v15, s[4:5], v15, v17, s[4:5]
	global_load_ushort v16, v[14:15], off
	s_waitcnt vmcnt(0)
	v_bfe_i32 v14, v16, 0, 16
	v_ashrrev_i32_e32 v15, 31, v14
	v_lshlrev_b64 v[14:15], 1, v[14:15]
	;; [unrolled: 9-line block ×4, first 2 shown]
	v_add_co_u32_e64 v14, s[4:5], s52, v14
	v_addc_co_u32_e64 v15, s[4:5], v20, v15, s[4:5]
	v_add_co_u32_e64 v14, s[4:5], v14, v26
	v_addc_co_u32_e64 v15, s[4:5], v15, v27, s[4:5]
	global_load_ushort v21, v[14:15], off
	v_lshlrev_b64 v[26:27], 1, v[0:1]
	s_waitcnt vmcnt(0)
	v_bfe_i32 v14, v21, 0, 16
	v_ashrrev_i32_e32 v15, 31, v14
	v_lshlrev_b64 v[14:15], 1, v[14:15]
	v_add_co_u32_e64 v14, s[4:5], s52, v14
	v_addc_co_u32_e64 v15, s[4:5], v20, v15, s[4:5]
	v_add_co_u32_e64 v14, s[4:5], v14, v28
	v_addc_co_u32_e64 v15, s[4:5], v15, v29, s[4:5]
	global_load_ushort v22, v[14:15], off
	s_waitcnt vmcnt(0)
	v_bfe_i32 v14, v22, 0, 16
	v_ashrrev_i32_e32 v15, 31, v14
	v_lshlrev_b64 v[14:15], 1, v[14:15]
	v_add_co_u32_e64 v14, s[4:5], s52, v14
	v_addc_co_u32_e64 v15, s[4:5], v20, v15, s[4:5]
	v_add_co_u32_e64 v4, s[4:5], v14, v4
	v_addc_co_u32_e64 v5, s[4:5], v15, v5, s[4:5]
	global_load_ushort v14, v[4:5], off
	;; [unrolled: 9-line block ×5, first 2 shown]
	v_add_u32_e32 v35, v54, v3
	s_waitcnt vmcnt(0)
	v_bfe_i32 v4, v24, 0, 16
	v_ashrrev_i32_e32 v5, 31, v4
	v_lshlrev_b64 v[4:5], 1, v[4:5]
	v_add_co_u32_e64 v4, s[4:5], s52, v4
	v_addc_co_u32_e64 v5, s[4:5], v20, v5, s[4:5]
	v_add_co_u32_e64 v4, s[4:5], v4, v10
	v_addc_co_u32_e64 v5, s[4:5], v5, v11, s[4:5]
	global_load_ushort v10, v[4:5], off
	s_waitcnt vmcnt(0)
	v_bfe_i32 v4, v10, 0, 16
	v_ashrrev_i32_e32 v5, 31, v4
	v_lshlrev_b64 v[4:5], 1, v[4:5]
	v_add_co_u32_e64 v4, s[4:5], s52, v4
	v_addc_co_u32_e64 v5, s[4:5], v20, v5, s[4:5]
	v_add_co_u32_e64 v4, s[4:5], v4, v36
	v_addc_co_u32_e64 v5, s[4:5], v5, v37, s[4:5]
	global_load_ushort v11, v[4:5], off
	;; [unrolled: 9-line block ×13, first 2 shown]
	s_mov_b32 s4, 0x5040100
	v_perm_b32 v0, v18, v2, s4
	v_perm_b32 v1, v17, v16, s4
	;; [unrolled: 1-line block ×11, first 2 shown]
	s_waitcnt lgkmcnt(0)
	; wave barrier
	ds_write_b128 v35, v[0:3]
	ds_write_b128 v35, v[4:7] offset:16
	v_mov_b32_e32 v1, s55
	s_waitcnt vmcnt(0)
	v_perm_b32 v11, v20, v34, s4
	ds_write_b128 v35, v[8:11] offset:32
	s_waitcnt lgkmcnt(0)
	; wave barrier
	s_waitcnt lgkmcnt(0)
	ds_read_u16 v24, v54 offset:128
	ds_read_u16 v23, v54 offset:256
	ds_read_u16 v22, v54 offset:384
	ds_read_u16 v21, v54 offset:512
	ds_read_u16 v20, v54 offset:640
	ds_read_u16 v19, v54 offset:768
	ds_read_u16 v18, v54 offset:896
	ds_read_u16 v17, v54 offset:1024
	ds_read_u16 v16, v54 offset:1152
	ds_read_u16 v15, v54 offset:1280
	ds_read_u16 v14, v54 offset:1408
	ds_read_u16 v13, v54 offset:1536
	ds_read_u16 v12, v54 offset:1664
	ds_read_u16 v11, v54 offset:1792
	ds_read_u16 v10, v54 offset:1920
	ds_read_u16 v9, v54 offset:2048
	ds_read_u16 v8, v54 offset:2176
	ds_read_u16 v7, v54 offset:2304
	ds_read_u16 v6, v54 offset:2432
	ds_read_u16 v5, v54 offset:2560
	ds_read_u16 v4, v54 offset:2688
	ds_read_u16 v3, v54 offset:2816
	ds_read_u16 v2, v54 offset:2944
	v_add_co_u32_e64 v0, s[4:5], s54, v26
	v_addc_co_u32_e64 v1, s[4:5], v1, v27, s[4:5]
	s_and_saveexec_b64 s[4:5], vcc
	s_cbranch_execnz .LBB6725_91
; %bb.67:
	s_or_b64 exec, exec, s[4:5]
	s_and_saveexec_b64 s[4:5], s[0:1]
	s_cbranch_execnz .LBB6725_92
.LBB6725_68:
	s_or_b64 exec, exec, s[4:5]
	s_and_saveexec_b64 s[0:1], s[2:3]
	s_cbranch_execnz .LBB6725_93
.LBB6725_69:
	s_or_b64 exec, exec, s[0:1]
	s_and_saveexec_b64 s[0:1], s[48:49]
	s_cbranch_execnz .LBB6725_94
.LBB6725_70:
	s_or_b64 exec, exec, s[0:1]
	s_and_saveexec_b64 s[0:1], s[6:7]
	s_cbranch_execnz .LBB6725_95
.LBB6725_71:
	s_or_b64 exec, exec, s[0:1]
	s_and_saveexec_b64 s[0:1], s[8:9]
	s_cbranch_execnz .LBB6725_96
.LBB6725_72:
	s_or_b64 exec, exec, s[0:1]
	s_and_saveexec_b64 s[0:1], s[10:11]
	s_cbranch_execnz .LBB6725_97
.LBB6725_73:
	s_or_b64 exec, exec, s[0:1]
	s_and_saveexec_b64 s[0:1], s[12:13]
	s_cbranch_execnz .LBB6725_98
.LBB6725_74:
	s_or_b64 exec, exec, s[0:1]
	s_and_saveexec_b64 s[0:1], s[14:15]
	s_cbranch_execnz .LBB6725_99
.LBB6725_75:
	s_or_b64 exec, exec, s[0:1]
	s_and_saveexec_b64 s[0:1], s[16:17]
	s_cbranch_execnz .LBB6725_100
.LBB6725_76:
	s_or_b64 exec, exec, s[0:1]
	s_and_saveexec_b64 s[0:1], s[18:19]
	s_cbranch_execnz .LBB6725_101
.LBB6725_77:
	s_or_b64 exec, exec, s[0:1]
	s_and_saveexec_b64 s[0:1], s[20:21]
	s_cbranch_execnz .LBB6725_102
.LBB6725_78:
	s_or_b64 exec, exec, s[0:1]
	s_and_saveexec_b64 s[0:1], s[22:23]
	s_cbranch_execnz .LBB6725_103
.LBB6725_79:
	s_or_b64 exec, exec, s[0:1]
	s_and_saveexec_b64 s[0:1], s[24:25]
	s_cbranch_execnz .LBB6725_104
.LBB6725_80:
	s_or_b64 exec, exec, s[0:1]
	s_and_saveexec_b64 s[0:1], s[26:27]
	s_cbranch_execnz .LBB6725_105
.LBB6725_81:
	s_or_b64 exec, exec, s[0:1]
	s_and_saveexec_b64 s[0:1], s[28:29]
	s_cbranch_execnz .LBB6725_106
.LBB6725_82:
	s_or_b64 exec, exec, s[0:1]
	s_and_saveexec_b64 s[0:1], s[30:31]
	s_cbranch_execnz .LBB6725_107
.LBB6725_83:
	s_or_b64 exec, exec, s[0:1]
	s_and_saveexec_b64 s[0:1], s[34:35]
	s_cbranch_execnz .LBB6725_108
.LBB6725_84:
	s_or_b64 exec, exec, s[0:1]
	s_and_saveexec_b64 s[0:1], s[36:37]
	s_cbranch_execnz .LBB6725_109
.LBB6725_85:
	s_or_b64 exec, exec, s[0:1]
	s_and_saveexec_b64 s[0:1], s[38:39]
	s_cbranch_execnz .LBB6725_110
.LBB6725_86:
	s_or_b64 exec, exec, s[0:1]
	s_and_saveexec_b64 s[0:1], s[40:41]
	s_cbranch_execnz .LBB6725_111
.LBB6725_87:
	s_or_b64 exec, exec, s[0:1]
	s_and_saveexec_b64 s[0:1], s[42:43]
	s_cbranch_execnz .LBB6725_112
.LBB6725_88:
	s_or_b64 exec, exec, s[0:1]
	s_and_saveexec_b64 s[0:1], s[44:45]
	s_cbranch_execnz .LBB6725_113
.LBB6725_89:
	s_or_b64 exec, exec, s[0:1]
	s_and_saveexec_b64 s[0:1], s[46:47]
	s_cbranch_execnz .LBB6725_114
.LBB6725_90:
	s_endpgm
.LBB6725_91:
	ds_read_u16 v25, v54
	s_waitcnt lgkmcnt(0)
	global_store_short v[0:1], v25, off
	s_or_b64 exec, exec, s[4:5]
	s_and_saveexec_b64 s[4:5], s[0:1]
	s_cbranch_execz .LBB6725_68
.LBB6725_92:
	s_waitcnt lgkmcnt(14)
	global_store_short v[0:1], v24, off offset:128
	s_or_b64 exec, exec, s[4:5]
	s_and_saveexec_b64 s[0:1], s[2:3]
	s_cbranch_execz .LBB6725_69
.LBB6725_93:
	s_waitcnt lgkmcnt(14)
	global_store_short v[0:1], v23, off offset:256
	s_or_b64 exec, exec, s[0:1]
	s_and_saveexec_b64 s[0:1], s[48:49]
	s_cbranch_execz .LBB6725_70
.LBB6725_94:
	s_waitcnt lgkmcnt(14)
	global_store_short v[0:1], v22, off offset:384
	s_or_b64 exec, exec, s[0:1]
	s_and_saveexec_b64 s[0:1], s[6:7]
	s_cbranch_execz .LBB6725_71
.LBB6725_95:
	s_waitcnt lgkmcnt(14)
	global_store_short v[0:1], v21, off offset:512
	s_or_b64 exec, exec, s[0:1]
	s_and_saveexec_b64 s[0:1], s[8:9]
	s_cbranch_execz .LBB6725_72
.LBB6725_96:
	s_waitcnt lgkmcnt(14)
	global_store_short v[0:1], v20, off offset:640
	s_or_b64 exec, exec, s[0:1]
	s_and_saveexec_b64 s[0:1], s[10:11]
	s_cbranch_execz .LBB6725_73
.LBB6725_97:
	s_waitcnt lgkmcnt(14)
	global_store_short v[0:1], v19, off offset:768
	s_or_b64 exec, exec, s[0:1]
	s_and_saveexec_b64 s[0:1], s[12:13]
	s_cbranch_execz .LBB6725_74
.LBB6725_98:
	s_waitcnt lgkmcnt(14)
	global_store_short v[0:1], v18, off offset:896
	s_or_b64 exec, exec, s[0:1]
	s_and_saveexec_b64 s[0:1], s[14:15]
	s_cbranch_execz .LBB6725_75
.LBB6725_99:
	s_waitcnt lgkmcnt(14)
	global_store_short v[0:1], v17, off offset:1024
	s_or_b64 exec, exec, s[0:1]
	s_and_saveexec_b64 s[0:1], s[16:17]
	s_cbranch_execz .LBB6725_76
.LBB6725_100:
	s_waitcnt lgkmcnt(14)
	global_store_short v[0:1], v16, off offset:1152
	s_or_b64 exec, exec, s[0:1]
	s_and_saveexec_b64 s[0:1], s[18:19]
	s_cbranch_execz .LBB6725_77
.LBB6725_101:
	s_waitcnt lgkmcnt(13)
	global_store_short v[0:1], v15, off offset:1280
	s_or_b64 exec, exec, s[0:1]
	s_and_saveexec_b64 s[0:1], s[20:21]
	s_cbranch_execz .LBB6725_78
.LBB6725_102:
	s_waitcnt lgkmcnt(12)
	global_store_short v[0:1], v14, off offset:1408
	s_or_b64 exec, exec, s[0:1]
	s_and_saveexec_b64 s[0:1], s[22:23]
	s_cbranch_execz .LBB6725_79
.LBB6725_103:
	s_waitcnt lgkmcnt(11)
	global_store_short v[0:1], v13, off offset:1536
	s_or_b64 exec, exec, s[0:1]
	s_and_saveexec_b64 s[0:1], s[24:25]
	s_cbranch_execz .LBB6725_80
.LBB6725_104:
	s_waitcnt lgkmcnt(10)
	global_store_short v[0:1], v12, off offset:1664
	s_or_b64 exec, exec, s[0:1]
	s_and_saveexec_b64 s[0:1], s[26:27]
	s_cbranch_execz .LBB6725_81
.LBB6725_105:
	s_waitcnt lgkmcnt(9)
	global_store_short v[0:1], v11, off offset:1792
	s_or_b64 exec, exec, s[0:1]
	s_and_saveexec_b64 s[0:1], s[28:29]
	s_cbranch_execz .LBB6725_82
.LBB6725_106:
	s_waitcnt lgkmcnt(8)
	global_store_short v[0:1], v10, off offset:1920
	s_or_b64 exec, exec, s[0:1]
	s_and_saveexec_b64 s[0:1], s[30:31]
	s_cbranch_execz .LBB6725_83
.LBB6725_107:
	s_waitcnt lgkmcnt(7)
	global_store_short v[0:1], v9, off offset:2048
	s_or_b64 exec, exec, s[0:1]
	s_and_saveexec_b64 s[0:1], s[34:35]
	s_cbranch_execz .LBB6725_84
.LBB6725_108:
	s_waitcnt lgkmcnt(6)
	global_store_short v[0:1], v8, off offset:2176
	s_or_b64 exec, exec, s[0:1]
	s_and_saveexec_b64 s[0:1], s[36:37]
	s_cbranch_execz .LBB6725_85
.LBB6725_109:
	s_waitcnt lgkmcnt(5)
	global_store_short v[0:1], v7, off offset:2304
	s_or_b64 exec, exec, s[0:1]
	s_and_saveexec_b64 s[0:1], s[38:39]
	s_cbranch_execz .LBB6725_86
.LBB6725_110:
	s_waitcnt lgkmcnt(4)
	global_store_short v[0:1], v6, off offset:2432
	s_or_b64 exec, exec, s[0:1]
	s_and_saveexec_b64 s[0:1], s[40:41]
	s_cbranch_execz .LBB6725_87
.LBB6725_111:
	s_waitcnt lgkmcnt(3)
	global_store_short v[0:1], v5, off offset:2560
	s_or_b64 exec, exec, s[0:1]
	s_and_saveexec_b64 s[0:1], s[42:43]
	s_cbranch_execz .LBB6725_88
.LBB6725_112:
	s_waitcnt lgkmcnt(2)
	global_store_short v[0:1], v4, off offset:2688
	s_or_b64 exec, exec, s[0:1]
	s_and_saveexec_b64 s[0:1], s[44:45]
	s_cbranch_execz .LBB6725_89
.LBB6725_113:
	s_waitcnt lgkmcnt(1)
	global_store_short v[0:1], v3, off offset:2816
	s_or_b64 exec, exec, s[0:1]
	s_and_saveexec_b64 s[0:1], s[46:47]
	s_cbranch_execz .LBB6725_90
.LBB6725_114:
	s_waitcnt lgkmcnt(0)
	global_store_short v[0:1], v2, off offset:2944
	s_endpgm
	.section	.rodata,"a",@progbits
	.p2align	6, 0x0
	.amdhsa_kernel _ZN7rocprim17ROCPRIM_400000_NS6detail17trampoline_kernelINS0_14default_configENS1_20scan_config_selectorIsEEZZNS1_9scan_implILNS1_25lookback_scan_determinismE0ELb0ELb0ES3_N6thrust23THRUST_200600_302600_NS6detail15normal_iteratorINS9_10device_ptrIsEEEESE_s9plus_mod3IsEsEEDaPvRmT3_T4_T5_mT6_P12ihipStream_tbENKUlT_T0_E_clISt17integral_constantIbLb1EEST_IbLb0EEEEDaSP_SQ_EUlSP_E0_NS1_11comp_targetILNS1_3genE4ELNS1_11target_archE910ELNS1_3gpuE8ELNS1_3repE0EEENS1_30default_config_static_selectorELNS0_4arch9wavefront6targetE1EEEvT1_
		.amdhsa_group_segment_fixed_size 3072
		.amdhsa_private_segment_fixed_size 0
		.amdhsa_kernarg_size 40
		.amdhsa_user_sgpr_count 6
		.amdhsa_user_sgpr_private_segment_buffer 1
		.amdhsa_user_sgpr_dispatch_ptr 0
		.amdhsa_user_sgpr_queue_ptr 0
		.amdhsa_user_sgpr_kernarg_segment_ptr 1
		.amdhsa_user_sgpr_dispatch_id 0
		.amdhsa_user_sgpr_flat_scratch_init 0
		.amdhsa_user_sgpr_kernarg_preload_length 0
		.amdhsa_user_sgpr_kernarg_preload_offset 0
		.amdhsa_user_sgpr_private_segment_size 0
		.amdhsa_uses_dynamic_stack 0
		.amdhsa_system_sgpr_private_segment_wavefront_offset 0
		.amdhsa_system_sgpr_workgroup_id_x 1
		.amdhsa_system_sgpr_workgroup_id_y 0
		.amdhsa_system_sgpr_workgroup_id_z 0
		.amdhsa_system_sgpr_workgroup_info 0
		.amdhsa_system_vgpr_workitem_id 0
		.amdhsa_next_free_vgpr 61
		.amdhsa_next_free_sgpr 60
		.amdhsa_accum_offset 64
		.amdhsa_reserve_vcc 1
		.amdhsa_reserve_flat_scratch 0
		.amdhsa_float_round_mode_32 0
		.amdhsa_float_round_mode_16_64 0
		.amdhsa_float_denorm_mode_32 3
		.amdhsa_float_denorm_mode_16_64 3
		.amdhsa_dx10_clamp 1
		.amdhsa_ieee_mode 1
		.amdhsa_fp16_overflow 0
		.amdhsa_tg_split 0
		.amdhsa_exception_fp_ieee_invalid_op 0
		.amdhsa_exception_fp_denorm_src 0
		.amdhsa_exception_fp_ieee_div_zero 0
		.amdhsa_exception_fp_ieee_overflow 0
		.amdhsa_exception_fp_ieee_underflow 0
		.amdhsa_exception_fp_ieee_inexact 0
		.amdhsa_exception_int_div_zero 0
	.end_amdhsa_kernel
	.section	.text._ZN7rocprim17ROCPRIM_400000_NS6detail17trampoline_kernelINS0_14default_configENS1_20scan_config_selectorIsEEZZNS1_9scan_implILNS1_25lookback_scan_determinismE0ELb0ELb0ES3_N6thrust23THRUST_200600_302600_NS6detail15normal_iteratorINS9_10device_ptrIsEEEESE_s9plus_mod3IsEsEEDaPvRmT3_T4_T5_mT6_P12ihipStream_tbENKUlT_T0_E_clISt17integral_constantIbLb1EEST_IbLb0EEEEDaSP_SQ_EUlSP_E0_NS1_11comp_targetILNS1_3genE4ELNS1_11target_archE910ELNS1_3gpuE8ELNS1_3repE0EEENS1_30default_config_static_selectorELNS0_4arch9wavefront6targetE1EEEvT1_,"axG",@progbits,_ZN7rocprim17ROCPRIM_400000_NS6detail17trampoline_kernelINS0_14default_configENS1_20scan_config_selectorIsEEZZNS1_9scan_implILNS1_25lookback_scan_determinismE0ELb0ELb0ES3_N6thrust23THRUST_200600_302600_NS6detail15normal_iteratorINS9_10device_ptrIsEEEESE_s9plus_mod3IsEsEEDaPvRmT3_T4_T5_mT6_P12ihipStream_tbENKUlT_T0_E_clISt17integral_constantIbLb1EEST_IbLb0EEEEDaSP_SQ_EUlSP_E0_NS1_11comp_targetILNS1_3genE4ELNS1_11target_archE910ELNS1_3gpuE8ELNS1_3repE0EEENS1_30default_config_static_selectorELNS0_4arch9wavefront6targetE1EEEvT1_,comdat
.Lfunc_end6725:
	.size	_ZN7rocprim17ROCPRIM_400000_NS6detail17trampoline_kernelINS0_14default_configENS1_20scan_config_selectorIsEEZZNS1_9scan_implILNS1_25lookback_scan_determinismE0ELb0ELb0ES3_N6thrust23THRUST_200600_302600_NS6detail15normal_iteratorINS9_10device_ptrIsEEEESE_s9plus_mod3IsEsEEDaPvRmT3_T4_T5_mT6_P12ihipStream_tbENKUlT_T0_E_clISt17integral_constantIbLb1EEST_IbLb0EEEEDaSP_SQ_EUlSP_E0_NS1_11comp_targetILNS1_3genE4ELNS1_11target_archE910ELNS1_3gpuE8ELNS1_3repE0EEENS1_30default_config_static_selectorELNS0_4arch9wavefront6targetE1EEEvT1_, .Lfunc_end6725-_ZN7rocprim17ROCPRIM_400000_NS6detail17trampoline_kernelINS0_14default_configENS1_20scan_config_selectorIsEEZZNS1_9scan_implILNS1_25lookback_scan_determinismE0ELb0ELb0ES3_N6thrust23THRUST_200600_302600_NS6detail15normal_iteratorINS9_10device_ptrIsEEEESE_s9plus_mod3IsEsEEDaPvRmT3_T4_T5_mT6_P12ihipStream_tbENKUlT_T0_E_clISt17integral_constantIbLb1EEST_IbLb0EEEEDaSP_SQ_EUlSP_E0_NS1_11comp_targetILNS1_3genE4ELNS1_11target_archE910ELNS1_3gpuE8ELNS1_3repE0EEENS1_30default_config_static_selectorELNS0_4arch9wavefront6targetE1EEEvT1_
                                        ; -- End function
	.section	.AMDGPU.csdata,"",@progbits
; Kernel info:
; codeLenInByte = 6952
; NumSgprs: 64
; NumVgprs: 61
; NumAgprs: 0
; TotalNumVgprs: 61
; ScratchSize: 0
; MemoryBound: 0
; FloatMode: 240
; IeeeMode: 1
; LDSByteSize: 3072 bytes/workgroup (compile time only)
; SGPRBlocks: 7
; VGPRBlocks: 7
; NumSGPRsForWavesPerEU: 64
; NumVGPRsForWavesPerEU: 61
; AccumOffset: 64
; Occupancy: 6
; WaveLimiterHint : 1
; COMPUTE_PGM_RSRC2:SCRATCH_EN: 0
; COMPUTE_PGM_RSRC2:USER_SGPR: 6
; COMPUTE_PGM_RSRC2:TRAP_HANDLER: 0
; COMPUTE_PGM_RSRC2:TGID_X_EN: 1
; COMPUTE_PGM_RSRC2:TGID_Y_EN: 0
; COMPUTE_PGM_RSRC2:TGID_Z_EN: 0
; COMPUTE_PGM_RSRC2:TIDIG_COMP_CNT: 0
; COMPUTE_PGM_RSRC3_GFX90A:ACCUM_OFFSET: 15
; COMPUTE_PGM_RSRC3_GFX90A:TG_SPLIT: 0
	.section	.text._ZN7rocprim17ROCPRIM_400000_NS6detail17trampoline_kernelINS0_14default_configENS1_20scan_config_selectorIsEEZZNS1_9scan_implILNS1_25lookback_scan_determinismE0ELb0ELb0ES3_N6thrust23THRUST_200600_302600_NS6detail15normal_iteratorINS9_10device_ptrIsEEEESE_s9plus_mod3IsEsEEDaPvRmT3_T4_T5_mT6_P12ihipStream_tbENKUlT_T0_E_clISt17integral_constantIbLb1EEST_IbLb0EEEEDaSP_SQ_EUlSP_E0_NS1_11comp_targetILNS1_3genE3ELNS1_11target_archE908ELNS1_3gpuE7ELNS1_3repE0EEENS1_30default_config_static_selectorELNS0_4arch9wavefront6targetE1EEEvT1_,"axG",@progbits,_ZN7rocprim17ROCPRIM_400000_NS6detail17trampoline_kernelINS0_14default_configENS1_20scan_config_selectorIsEEZZNS1_9scan_implILNS1_25lookback_scan_determinismE0ELb0ELb0ES3_N6thrust23THRUST_200600_302600_NS6detail15normal_iteratorINS9_10device_ptrIsEEEESE_s9plus_mod3IsEsEEDaPvRmT3_T4_T5_mT6_P12ihipStream_tbENKUlT_T0_E_clISt17integral_constantIbLb1EEST_IbLb0EEEEDaSP_SQ_EUlSP_E0_NS1_11comp_targetILNS1_3genE3ELNS1_11target_archE908ELNS1_3gpuE7ELNS1_3repE0EEENS1_30default_config_static_selectorELNS0_4arch9wavefront6targetE1EEEvT1_,comdat
	.protected	_ZN7rocprim17ROCPRIM_400000_NS6detail17trampoline_kernelINS0_14default_configENS1_20scan_config_selectorIsEEZZNS1_9scan_implILNS1_25lookback_scan_determinismE0ELb0ELb0ES3_N6thrust23THRUST_200600_302600_NS6detail15normal_iteratorINS9_10device_ptrIsEEEESE_s9plus_mod3IsEsEEDaPvRmT3_T4_T5_mT6_P12ihipStream_tbENKUlT_T0_E_clISt17integral_constantIbLb1EEST_IbLb0EEEEDaSP_SQ_EUlSP_E0_NS1_11comp_targetILNS1_3genE3ELNS1_11target_archE908ELNS1_3gpuE7ELNS1_3repE0EEENS1_30default_config_static_selectorELNS0_4arch9wavefront6targetE1EEEvT1_ ; -- Begin function _ZN7rocprim17ROCPRIM_400000_NS6detail17trampoline_kernelINS0_14default_configENS1_20scan_config_selectorIsEEZZNS1_9scan_implILNS1_25lookback_scan_determinismE0ELb0ELb0ES3_N6thrust23THRUST_200600_302600_NS6detail15normal_iteratorINS9_10device_ptrIsEEEESE_s9plus_mod3IsEsEEDaPvRmT3_T4_T5_mT6_P12ihipStream_tbENKUlT_T0_E_clISt17integral_constantIbLb1EEST_IbLb0EEEEDaSP_SQ_EUlSP_E0_NS1_11comp_targetILNS1_3genE3ELNS1_11target_archE908ELNS1_3gpuE7ELNS1_3repE0EEENS1_30default_config_static_selectorELNS0_4arch9wavefront6targetE1EEEvT1_
	.globl	_ZN7rocprim17ROCPRIM_400000_NS6detail17trampoline_kernelINS0_14default_configENS1_20scan_config_selectorIsEEZZNS1_9scan_implILNS1_25lookback_scan_determinismE0ELb0ELb0ES3_N6thrust23THRUST_200600_302600_NS6detail15normal_iteratorINS9_10device_ptrIsEEEESE_s9plus_mod3IsEsEEDaPvRmT3_T4_T5_mT6_P12ihipStream_tbENKUlT_T0_E_clISt17integral_constantIbLb1EEST_IbLb0EEEEDaSP_SQ_EUlSP_E0_NS1_11comp_targetILNS1_3genE3ELNS1_11target_archE908ELNS1_3gpuE7ELNS1_3repE0EEENS1_30default_config_static_selectorELNS0_4arch9wavefront6targetE1EEEvT1_
	.p2align	8
	.type	_ZN7rocprim17ROCPRIM_400000_NS6detail17trampoline_kernelINS0_14default_configENS1_20scan_config_selectorIsEEZZNS1_9scan_implILNS1_25lookback_scan_determinismE0ELb0ELb0ES3_N6thrust23THRUST_200600_302600_NS6detail15normal_iteratorINS9_10device_ptrIsEEEESE_s9plus_mod3IsEsEEDaPvRmT3_T4_T5_mT6_P12ihipStream_tbENKUlT_T0_E_clISt17integral_constantIbLb1EEST_IbLb0EEEEDaSP_SQ_EUlSP_E0_NS1_11comp_targetILNS1_3genE3ELNS1_11target_archE908ELNS1_3gpuE7ELNS1_3repE0EEENS1_30default_config_static_selectorELNS0_4arch9wavefront6targetE1EEEvT1_,@function
_ZN7rocprim17ROCPRIM_400000_NS6detail17trampoline_kernelINS0_14default_configENS1_20scan_config_selectorIsEEZZNS1_9scan_implILNS1_25lookback_scan_determinismE0ELb0ELb0ES3_N6thrust23THRUST_200600_302600_NS6detail15normal_iteratorINS9_10device_ptrIsEEEESE_s9plus_mod3IsEsEEDaPvRmT3_T4_T5_mT6_P12ihipStream_tbENKUlT_T0_E_clISt17integral_constantIbLb1EEST_IbLb0EEEEDaSP_SQ_EUlSP_E0_NS1_11comp_targetILNS1_3genE3ELNS1_11target_archE908ELNS1_3gpuE7ELNS1_3repE0EEENS1_30default_config_static_selectorELNS0_4arch9wavefront6targetE1EEEvT1_: ; @_ZN7rocprim17ROCPRIM_400000_NS6detail17trampoline_kernelINS0_14default_configENS1_20scan_config_selectorIsEEZZNS1_9scan_implILNS1_25lookback_scan_determinismE0ELb0ELb0ES3_N6thrust23THRUST_200600_302600_NS6detail15normal_iteratorINS9_10device_ptrIsEEEESE_s9plus_mod3IsEsEEDaPvRmT3_T4_T5_mT6_P12ihipStream_tbENKUlT_T0_E_clISt17integral_constantIbLb1EEST_IbLb0EEEEDaSP_SQ_EUlSP_E0_NS1_11comp_targetILNS1_3genE3ELNS1_11target_archE908ELNS1_3gpuE7ELNS1_3repE0EEENS1_30default_config_static_selectorELNS0_4arch9wavefront6targetE1EEEvT1_
; %bb.0:
	.section	.rodata,"a",@progbits
	.p2align	6, 0x0
	.amdhsa_kernel _ZN7rocprim17ROCPRIM_400000_NS6detail17trampoline_kernelINS0_14default_configENS1_20scan_config_selectorIsEEZZNS1_9scan_implILNS1_25lookback_scan_determinismE0ELb0ELb0ES3_N6thrust23THRUST_200600_302600_NS6detail15normal_iteratorINS9_10device_ptrIsEEEESE_s9plus_mod3IsEsEEDaPvRmT3_T4_T5_mT6_P12ihipStream_tbENKUlT_T0_E_clISt17integral_constantIbLb1EEST_IbLb0EEEEDaSP_SQ_EUlSP_E0_NS1_11comp_targetILNS1_3genE3ELNS1_11target_archE908ELNS1_3gpuE7ELNS1_3repE0EEENS1_30default_config_static_selectorELNS0_4arch9wavefront6targetE1EEEvT1_
		.amdhsa_group_segment_fixed_size 0
		.amdhsa_private_segment_fixed_size 0
		.amdhsa_kernarg_size 40
		.amdhsa_user_sgpr_count 6
		.amdhsa_user_sgpr_private_segment_buffer 1
		.amdhsa_user_sgpr_dispatch_ptr 0
		.amdhsa_user_sgpr_queue_ptr 0
		.amdhsa_user_sgpr_kernarg_segment_ptr 1
		.amdhsa_user_sgpr_dispatch_id 0
		.amdhsa_user_sgpr_flat_scratch_init 0
		.amdhsa_user_sgpr_kernarg_preload_length 0
		.amdhsa_user_sgpr_kernarg_preload_offset 0
		.amdhsa_user_sgpr_private_segment_size 0
		.amdhsa_uses_dynamic_stack 0
		.amdhsa_system_sgpr_private_segment_wavefront_offset 0
		.amdhsa_system_sgpr_workgroup_id_x 1
		.amdhsa_system_sgpr_workgroup_id_y 0
		.amdhsa_system_sgpr_workgroup_id_z 0
		.amdhsa_system_sgpr_workgroup_info 0
		.amdhsa_system_vgpr_workitem_id 0
		.amdhsa_next_free_vgpr 1
		.amdhsa_next_free_sgpr 0
		.amdhsa_accum_offset 4
		.amdhsa_reserve_vcc 0
		.amdhsa_reserve_flat_scratch 0
		.amdhsa_float_round_mode_32 0
		.amdhsa_float_round_mode_16_64 0
		.amdhsa_float_denorm_mode_32 3
		.amdhsa_float_denorm_mode_16_64 3
		.amdhsa_dx10_clamp 1
		.amdhsa_ieee_mode 1
		.amdhsa_fp16_overflow 0
		.amdhsa_tg_split 0
		.amdhsa_exception_fp_ieee_invalid_op 0
		.amdhsa_exception_fp_denorm_src 0
		.amdhsa_exception_fp_ieee_div_zero 0
		.amdhsa_exception_fp_ieee_overflow 0
		.amdhsa_exception_fp_ieee_underflow 0
		.amdhsa_exception_fp_ieee_inexact 0
		.amdhsa_exception_int_div_zero 0
	.end_amdhsa_kernel
	.section	.text._ZN7rocprim17ROCPRIM_400000_NS6detail17trampoline_kernelINS0_14default_configENS1_20scan_config_selectorIsEEZZNS1_9scan_implILNS1_25lookback_scan_determinismE0ELb0ELb0ES3_N6thrust23THRUST_200600_302600_NS6detail15normal_iteratorINS9_10device_ptrIsEEEESE_s9plus_mod3IsEsEEDaPvRmT3_T4_T5_mT6_P12ihipStream_tbENKUlT_T0_E_clISt17integral_constantIbLb1EEST_IbLb0EEEEDaSP_SQ_EUlSP_E0_NS1_11comp_targetILNS1_3genE3ELNS1_11target_archE908ELNS1_3gpuE7ELNS1_3repE0EEENS1_30default_config_static_selectorELNS0_4arch9wavefront6targetE1EEEvT1_,"axG",@progbits,_ZN7rocprim17ROCPRIM_400000_NS6detail17trampoline_kernelINS0_14default_configENS1_20scan_config_selectorIsEEZZNS1_9scan_implILNS1_25lookback_scan_determinismE0ELb0ELb0ES3_N6thrust23THRUST_200600_302600_NS6detail15normal_iteratorINS9_10device_ptrIsEEEESE_s9plus_mod3IsEsEEDaPvRmT3_T4_T5_mT6_P12ihipStream_tbENKUlT_T0_E_clISt17integral_constantIbLb1EEST_IbLb0EEEEDaSP_SQ_EUlSP_E0_NS1_11comp_targetILNS1_3genE3ELNS1_11target_archE908ELNS1_3gpuE7ELNS1_3repE0EEENS1_30default_config_static_selectorELNS0_4arch9wavefront6targetE1EEEvT1_,comdat
.Lfunc_end6726:
	.size	_ZN7rocprim17ROCPRIM_400000_NS6detail17trampoline_kernelINS0_14default_configENS1_20scan_config_selectorIsEEZZNS1_9scan_implILNS1_25lookback_scan_determinismE0ELb0ELb0ES3_N6thrust23THRUST_200600_302600_NS6detail15normal_iteratorINS9_10device_ptrIsEEEESE_s9plus_mod3IsEsEEDaPvRmT3_T4_T5_mT6_P12ihipStream_tbENKUlT_T0_E_clISt17integral_constantIbLb1EEST_IbLb0EEEEDaSP_SQ_EUlSP_E0_NS1_11comp_targetILNS1_3genE3ELNS1_11target_archE908ELNS1_3gpuE7ELNS1_3repE0EEENS1_30default_config_static_selectorELNS0_4arch9wavefront6targetE1EEEvT1_, .Lfunc_end6726-_ZN7rocprim17ROCPRIM_400000_NS6detail17trampoline_kernelINS0_14default_configENS1_20scan_config_selectorIsEEZZNS1_9scan_implILNS1_25lookback_scan_determinismE0ELb0ELb0ES3_N6thrust23THRUST_200600_302600_NS6detail15normal_iteratorINS9_10device_ptrIsEEEESE_s9plus_mod3IsEsEEDaPvRmT3_T4_T5_mT6_P12ihipStream_tbENKUlT_T0_E_clISt17integral_constantIbLb1EEST_IbLb0EEEEDaSP_SQ_EUlSP_E0_NS1_11comp_targetILNS1_3genE3ELNS1_11target_archE908ELNS1_3gpuE7ELNS1_3repE0EEENS1_30default_config_static_selectorELNS0_4arch9wavefront6targetE1EEEvT1_
                                        ; -- End function
	.section	.AMDGPU.csdata,"",@progbits
; Kernel info:
; codeLenInByte = 0
; NumSgprs: 4
; NumVgprs: 0
; NumAgprs: 0
; TotalNumVgprs: 0
; ScratchSize: 0
; MemoryBound: 0
; FloatMode: 240
; IeeeMode: 1
; LDSByteSize: 0 bytes/workgroup (compile time only)
; SGPRBlocks: 0
; VGPRBlocks: 0
; NumSGPRsForWavesPerEU: 4
; NumVGPRsForWavesPerEU: 1
; AccumOffset: 4
; Occupancy: 8
; WaveLimiterHint : 0
; COMPUTE_PGM_RSRC2:SCRATCH_EN: 0
; COMPUTE_PGM_RSRC2:USER_SGPR: 6
; COMPUTE_PGM_RSRC2:TRAP_HANDLER: 0
; COMPUTE_PGM_RSRC2:TGID_X_EN: 1
; COMPUTE_PGM_RSRC2:TGID_Y_EN: 0
; COMPUTE_PGM_RSRC2:TGID_Z_EN: 0
; COMPUTE_PGM_RSRC2:TIDIG_COMP_CNT: 0
; COMPUTE_PGM_RSRC3_GFX90A:ACCUM_OFFSET: 0
; COMPUTE_PGM_RSRC3_GFX90A:TG_SPLIT: 0
	.section	.text._ZN7rocprim17ROCPRIM_400000_NS6detail17trampoline_kernelINS0_14default_configENS1_20scan_config_selectorIsEEZZNS1_9scan_implILNS1_25lookback_scan_determinismE0ELb0ELb0ES3_N6thrust23THRUST_200600_302600_NS6detail15normal_iteratorINS9_10device_ptrIsEEEESE_s9plus_mod3IsEsEEDaPvRmT3_T4_T5_mT6_P12ihipStream_tbENKUlT_T0_E_clISt17integral_constantIbLb1EEST_IbLb0EEEEDaSP_SQ_EUlSP_E0_NS1_11comp_targetILNS1_3genE2ELNS1_11target_archE906ELNS1_3gpuE6ELNS1_3repE0EEENS1_30default_config_static_selectorELNS0_4arch9wavefront6targetE1EEEvT1_,"axG",@progbits,_ZN7rocprim17ROCPRIM_400000_NS6detail17trampoline_kernelINS0_14default_configENS1_20scan_config_selectorIsEEZZNS1_9scan_implILNS1_25lookback_scan_determinismE0ELb0ELb0ES3_N6thrust23THRUST_200600_302600_NS6detail15normal_iteratorINS9_10device_ptrIsEEEESE_s9plus_mod3IsEsEEDaPvRmT3_T4_T5_mT6_P12ihipStream_tbENKUlT_T0_E_clISt17integral_constantIbLb1EEST_IbLb0EEEEDaSP_SQ_EUlSP_E0_NS1_11comp_targetILNS1_3genE2ELNS1_11target_archE906ELNS1_3gpuE6ELNS1_3repE0EEENS1_30default_config_static_selectorELNS0_4arch9wavefront6targetE1EEEvT1_,comdat
	.protected	_ZN7rocprim17ROCPRIM_400000_NS6detail17trampoline_kernelINS0_14default_configENS1_20scan_config_selectorIsEEZZNS1_9scan_implILNS1_25lookback_scan_determinismE0ELb0ELb0ES3_N6thrust23THRUST_200600_302600_NS6detail15normal_iteratorINS9_10device_ptrIsEEEESE_s9plus_mod3IsEsEEDaPvRmT3_T4_T5_mT6_P12ihipStream_tbENKUlT_T0_E_clISt17integral_constantIbLb1EEST_IbLb0EEEEDaSP_SQ_EUlSP_E0_NS1_11comp_targetILNS1_3genE2ELNS1_11target_archE906ELNS1_3gpuE6ELNS1_3repE0EEENS1_30default_config_static_selectorELNS0_4arch9wavefront6targetE1EEEvT1_ ; -- Begin function _ZN7rocprim17ROCPRIM_400000_NS6detail17trampoline_kernelINS0_14default_configENS1_20scan_config_selectorIsEEZZNS1_9scan_implILNS1_25lookback_scan_determinismE0ELb0ELb0ES3_N6thrust23THRUST_200600_302600_NS6detail15normal_iteratorINS9_10device_ptrIsEEEESE_s9plus_mod3IsEsEEDaPvRmT3_T4_T5_mT6_P12ihipStream_tbENKUlT_T0_E_clISt17integral_constantIbLb1EEST_IbLb0EEEEDaSP_SQ_EUlSP_E0_NS1_11comp_targetILNS1_3genE2ELNS1_11target_archE906ELNS1_3gpuE6ELNS1_3repE0EEENS1_30default_config_static_selectorELNS0_4arch9wavefront6targetE1EEEvT1_
	.globl	_ZN7rocprim17ROCPRIM_400000_NS6detail17trampoline_kernelINS0_14default_configENS1_20scan_config_selectorIsEEZZNS1_9scan_implILNS1_25lookback_scan_determinismE0ELb0ELb0ES3_N6thrust23THRUST_200600_302600_NS6detail15normal_iteratorINS9_10device_ptrIsEEEESE_s9plus_mod3IsEsEEDaPvRmT3_T4_T5_mT6_P12ihipStream_tbENKUlT_T0_E_clISt17integral_constantIbLb1EEST_IbLb0EEEEDaSP_SQ_EUlSP_E0_NS1_11comp_targetILNS1_3genE2ELNS1_11target_archE906ELNS1_3gpuE6ELNS1_3repE0EEENS1_30default_config_static_selectorELNS0_4arch9wavefront6targetE1EEEvT1_
	.p2align	8
	.type	_ZN7rocprim17ROCPRIM_400000_NS6detail17trampoline_kernelINS0_14default_configENS1_20scan_config_selectorIsEEZZNS1_9scan_implILNS1_25lookback_scan_determinismE0ELb0ELb0ES3_N6thrust23THRUST_200600_302600_NS6detail15normal_iteratorINS9_10device_ptrIsEEEESE_s9plus_mod3IsEsEEDaPvRmT3_T4_T5_mT6_P12ihipStream_tbENKUlT_T0_E_clISt17integral_constantIbLb1EEST_IbLb0EEEEDaSP_SQ_EUlSP_E0_NS1_11comp_targetILNS1_3genE2ELNS1_11target_archE906ELNS1_3gpuE6ELNS1_3repE0EEENS1_30default_config_static_selectorELNS0_4arch9wavefront6targetE1EEEvT1_,@function
_ZN7rocprim17ROCPRIM_400000_NS6detail17trampoline_kernelINS0_14default_configENS1_20scan_config_selectorIsEEZZNS1_9scan_implILNS1_25lookback_scan_determinismE0ELb0ELb0ES3_N6thrust23THRUST_200600_302600_NS6detail15normal_iteratorINS9_10device_ptrIsEEEESE_s9plus_mod3IsEsEEDaPvRmT3_T4_T5_mT6_P12ihipStream_tbENKUlT_T0_E_clISt17integral_constantIbLb1EEST_IbLb0EEEEDaSP_SQ_EUlSP_E0_NS1_11comp_targetILNS1_3genE2ELNS1_11target_archE906ELNS1_3gpuE6ELNS1_3repE0EEENS1_30default_config_static_selectorELNS0_4arch9wavefront6targetE1EEEvT1_: ; @_ZN7rocprim17ROCPRIM_400000_NS6detail17trampoline_kernelINS0_14default_configENS1_20scan_config_selectorIsEEZZNS1_9scan_implILNS1_25lookback_scan_determinismE0ELb0ELb0ES3_N6thrust23THRUST_200600_302600_NS6detail15normal_iteratorINS9_10device_ptrIsEEEESE_s9plus_mod3IsEsEEDaPvRmT3_T4_T5_mT6_P12ihipStream_tbENKUlT_T0_E_clISt17integral_constantIbLb1EEST_IbLb0EEEEDaSP_SQ_EUlSP_E0_NS1_11comp_targetILNS1_3genE2ELNS1_11target_archE906ELNS1_3gpuE6ELNS1_3repE0EEENS1_30default_config_static_selectorELNS0_4arch9wavefront6targetE1EEEvT1_
; %bb.0:
	.section	.rodata,"a",@progbits
	.p2align	6, 0x0
	.amdhsa_kernel _ZN7rocprim17ROCPRIM_400000_NS6detail17trampoline_kernelINS0_14default_configENS1_20scan_config_selectorIsEEZZNS1_9scan_implILNS1_25lookback_scan_determinismE0ELb0ELb0ES3_N6thrust23THRUST_200600_302600_NS6detail15normal_iteratorINS9_10device_ptrIsEEEESE_s9plus_mod3IsEsEEDaPvRmT3_T4_T5_mT6_P12ihipStream_tbENKUlT_T0_E_clISt17integral_constantIbLb1EEST_IbLb0EEEEDaSP_SQ_EUlSP_E0_NS1_11comp_targetILNS1_3genE2ELNS1_11target_archE906ELNS1_3gpuE6ELNS1_3repE0EEENS1_30default_config_static_selectorELNS0_4arch9wavefront6targetE1EEEvT1_
		.amdhsa_group_segment_fixed_size 0
		.amdhsa_private_segment_fixed_size 0
		.amdhsa_kernarg_size 40
		.amdhsa_user_sgpr_count 6
		.amdhsa_user_sgpr_private_segment_buffer 1
		.amdhsa_user_sgpr_dispatch_ptr 0
		.amdhsa_user_sgpr_queue_ptr 0
		.amdhsa_user_sgpr_kernarg_segment_ptr 1
		.amdhsa_user_sgpr_dispatch_id 0
		.amdhsa_user_sgpr_flat_scratch_init 0
		.amdhsa_user_sgpr_kernarg_preload_length 0
		.amdhsa_user_sgpr_kernarg_preload_offset 0
		.amdhsa_user_sgpr_private_segment_size 0
		.amdhsa_uses_dynamic_stack 0
		.amdhsa_system_sgpr_private_segment_wavefront_offset 0
		.amdhsa_system_sgpr_workgroup_id_x 1
		.amdhsa_system_sgpr_workgroup_id_y 0
		.amdhsa_system_sgpr_workgroup_id_z 0
		.amdhsa_system_sgpr_workgroup_info 0
		.amdhsa_system_vgpr_workitem_id 0
		.amdhsa_next_free_vgpr 1
		.amdhsa_next_free_sgpr 0
		.amdhsa_accum_offset 4
		.amdhsa_reserve_vcc 0
		.amdhsa_reserve_flat_scratch 0
		.amdhsa_float_round_mode_32 0
		.amdhsa_float_round_mode_16_64 0
		.amdhsa_float_denorm_mode_32 3
		.amdhsa_float_denorm_mode_16_64 3
		.amdhsa_dx10_clamp 1
		.amdhsa_ieee_mode 1
		.amdhsa_fp16_overflow 0
		.amdhsa_tg_split 0
		.amdhsa_exception_fp_ieee_invalid_op 0
		.amdhsa_exception_fp_denorm_src 0
		.amdhsa_exception_fp_ieee_div_zero 0
		.amdhsa_exception_fp_ieee_overflow 0
		.amdhsa_exception_fp_ieee_underflow 0
		.amdhsa_exception_fp_ieee_inexact 0
		.amdhsa_exception_int_div_zero 0
	.end_amdhsa_kernel
	.section	.text._ZN7rocprim17ROCPRIM_400000_NS6detail17trampoline_kernelINS0_14default_configENS1_20scan_config_selectorIsEEZZNS1_9scan_implILNS1_25lookback_scan_determinismE0ELb0ELb0ES3_N6thrust23THRUST_200600_302600_NS6detail15normal_iteratorINS9_10device_ptrIsEEEESE_s9plus_mod3IsEsEEDaPvRmT3_T4_T5_mT6_P12ihipStream_tbENKUlT_T0_E_clISt17integral_constantIbLb1EEST_IbLb0EEEEDaSP_SQ_EUlSP_E0_NS1_11comp_targetILNS1_3genE2ELNS1_11target_archE906ELNS1_3gpuE6ELNS1_3repE0EEENS1_30default_config_static_selectorELNS0_4arch9wavefront6targetE1EEEvT1_,"axG",@progbits,_ZN7rocprim17ROCPRIM_400000_NS6detail17trampoline_kernelINS0_14default_configENS1_20scan_config_selectorIsEEZZNS1_9scan_implILNS1_25lookback_scan_determinismE0ELb0ELb0ES3_N6thrust23THRUST_200600_302600_NS6detail15normal_iteratorINS9_10device_ptrIsEEEESE_s9plus_mod3IsEsEEDaPvRmT3_T4_T5_mT6_P12ihipStream_tbENKUlT_T0_E_clISt17integral_constantIbLb1EEST_IbLb0EEEEDaSP_SQ_EUlSP_E0_NS1_11comp_targetILNS1_3genE2ELNS1_11target_archE906ELNS1_3gpuE6ELNS1_3repE0EEENS1_30default_config_static_selectorELNS0_4arch9wavefront6targetE1EEEvT1_,comdat
.Lfunc_end6727:
	.size	_ZN7rocprim17ROCPRIM_400000_NS6detail17trampoline_kernelINS0_14default_configENS1_20scan_config_selectorIsEEZZNS1_9scan_implILNS1_25lookback_scan_determinismE0ELb0ELb0ES3_N6thrust23THRUST_200600_302600_NS6detail15normal_iteratorINS9_10device_ptrIsEEEESE_s9plus_mod3IsEsEEDaPvRmT3_T4_T5_mT6_P12ihipStream_tbENKUlT_T0_E_clISt17integral_constantIbLb1EEST_IbLb0EEEEDaSP_SQ_EUlSP_E0_NS1_11comp_targetILNS1_3genE2ELNS1_11target_archE906ELNS1_3gpuE6ELNS1_3repE0EEENS1_30default_config_static_selectorELNS0_4arch9wavefront6targetE1EEEvT1_, .Lfunc_end6727-_ZN7rocprim17ROCPRIM_400000_NS6detail17trampoline_kernelINS0_14default_configENS1_20scan_config_selectorIsEEZZNS1_9scan_implILNS1_25lookback_scan_determinismE0ELb0ELb0ES3_N6thrust23THRUST_200600_302600_NS6detail15normal_iteratorINS9_10device_ptrIsEEEESE_s9plus_mod3IsEsEEDaPvRmT3_T4_T5_mT6_P12ihipStream_tbENKUlT_T0_E_clISt17integral_constantIbLb1EEST_IbLb0EEEEDaSP_SQ_EUlSP_E0_NS1_11comp_targetILNS1_3genE2ELNS1_11target_archE906ELNS1_3gpuE6ELNS1_3repE0EEENS1_30default_config_static_selectorELNS0_4arch9wavefront6targetE1EEEvT1_
                                        ; -- End function
	.section	.AMDGPU.csdata,"",@progbits
; Kernel info:
; codeLenInByte = 0
; NumSgprs: 4
; NumVgprs: 0
; NumAgprs: 0
; TotalNumVgprs: 0
; ScratchSize: 0
; MemoryBound: 0
; FloatMode: 240
; IeeeMode: 1
; LDSByteSize: 0 bytes/workgroup (compile time only)
; SGPRBlocks: 0
; VGPRBlocks: 0
; NumSGPRsForWavesPerEU: 4
; NumVGPRsForWavesPerEU: 1
; AccumOffset: 4
; Occupancy: 8
; WaveLimiterHint : 0
; COMPUTE_PGM_RSRC2:SCRATCH_EN: 0
; COMPUTE_PGM_RSRC2:USER_SGPR: 6
; COMPUTE_PGM_RSRC2:TRAP_HANDLER: 0
; COMPUTE_PGM_RSRC2:TGID_X_EN: 1
; COMPUTE_PGM_RSRC2:TGID_Y_EN: 0
; COMPUTE_PGM_RSRC2:TGID_Z_EN: 0
; COMPUTE_PGM_RSRC2:TIDIG_COMP_CNT: 0
; COMPUTE_PGM_RSRC3_GFX90A:ACCUM_OFFSET: 0
; COMPUTE_PGM_RSRC3_GFX90A:TG_SPLIT: 0
	.section	.text._ZN7rocprim17ROCPRIM_400000_NS6detail17trampoline_kernelINS0_14default_configENS1_20scan_config_selectorIsEEZZNS1_9scan_implILNS1_25lookback_scan_determinismE0ELb0ELb0ES3_N6thrust23THRUST_200600_302600_NS6detail15normal_iteratorINS9_10device_ptrIsEEEESE_s9plus_mod3IsEsEEDaPvRmT3_T4_T5_mT6_P12ihipStream_tbENKUlT_T0_E_clISt17integral_constantIbLb1EEST_IbLb0EEEEDaSP_SQ_EUlSP_E0_NS1_11comp_targetILNS1_3genE10ELNS1_11target_archE1201ELNS1_3gpuE5ELNS1_3repE0EEENS1_30default_config_static_selectorELNS0_4arch9wavefront6targetE1EEEvT1_,"axG",@progbits,_ZN7rocprim17ROCPRIM_400000_NS6detail17trampoline_kernelINS0_14default_configENS1_20scan_config_selectorIsEEZZNS1_9scan_implILNS1_25lookback_scan_determinismE0ELb0ELb0ES3_N6thrust23THRUST_200600_302600_NS6detail15normal_iteratorINS9_10device_ptrIsEEEESE_s9plus_mod3IsEsEEDaPvRmT3_T4_T5_mT6_P12ihipStream_tbENKUlT_T0_E_clISt17integral_constantIbLb1EEST_IbLb0EEEEDaSP_SQ_EUlSP_E0_NS1_11comp_targetILNS1_3genE10ELNS1_11target_archE1201ELNS1_3gpuE5ELNS1_3repE0EEENS1_30default_config_static_selectorELNS0_4arch9wavefront6targetE1EEEvT1_,comdat
	.protected	_ZN7rocprim17ROCPRIM_400000_NS6detail17trampoline_kernelINS0_14default_configENS1_20scan_config_selectorIsEEZZNS1_9scan_implILNS1_25lookback_scan_determinismE0ELb0ELb0ES3_N6thrust23THRUST_200600_302600_NS6detail15normal_iteratorINS9_10device_ptrIsEEEESE_s9plus_mod3IsEsEEDaPvRmT3_T4_T5_mT6_P12ihipStream_tbENKUlT_T0_E_clISt17integral_constantIbLb1EEST_IbLb0EEEEDaSP_SQ_EUlSP_E0_NS1_11comp_targetILNS1_3genE10ELNS1_11target_archE1201ELNS1_3gpuE5ELNS1_3repE0EEENS1_30default_config_static_selectorELNS0_4arch9wavefront6targetE1EEEvT1_ ; -- Begin function _ZN7rocprim17ROCPRIM_400000_NS6detail17trampoline_kernelINS0_14default_configENS1_20scan_config_selectorIsEEZZNS1_9scan_implILNS1_25lookback_scan_determinismE0ELb0ELb0ES3_N6thrust23THRUST_200600_302600_NS6detail15normal_iteratorINS9_10device_ptrIsEEEESE_s9plus_mod3IsEsEEDaPvRmT3_T4_T5_mT6_P12ihipStream_tbENKUlT_T0_E_clISt17integral_constantIbLb1EEST_IbLb0EEEEDaSP_SQ_EUlSP_E0_NS1_11comp_targetILNS1_3genE10ELNS1_11target_archE1201ELNS1_3gpuE5ELNS1_3repE0EEENS1_30default_config_static_selectorELNS0_4arch9wavefront6targetE1EEEvT1_
	.globl	_ZN7rocprim17ROCPRIM_400000_NS6detail17trampoline_kernelINS0_14default_configENS1_20scan_config_selectorIsEEZZNS1_9scan_implILNS1_25lookback_scan_determinismE0ELb0ELb0ES3_N6thrust23THRUST_200600_302600_NS6detail15normal_iteratorINS9_10device_ptrIsEEEESE_s9plus_mod3IsEsEEDaPvRmT3_T4_T5_mT6_P12ihipStream_tbENKUlT_T0_E_clISt17integral_constantIbLb1EEST_IbLb0EEEEDaSP_SQ_EUlSP_E0_NS1_11comp_targetILNS1_3genE10ELNS1_11target_archE1201ELNS1_3gpuE5ELNS1_3repE0EEENS1_30default_config_static_selectorELNS0_4arch9wavefront6targetE1EEEvT1_
	.p2align	8
	.type	_ZN7rocprim17ROCPRIM_400000_NS6detail17trampoline_kernelINS0_14default_configENS1_20scan_config_selectorIsEEZZNS1_9scan_implILNS1_25lookback_scan_determinismE0ELb0ELb0ES3_N6thrust23THRUST_200600_302600_NS6detail15normal_iteratorINS9_10device_ptrIsEEEESE_s9plus_mod3IsEsEEDaPvRmT3_T4_T5_mT6_P12ihipStream_tbENKUlT_T0_E_clISt17integral_constantIbLb1EEST_IbLb0EEEEDaSP_SQ_EUlSP_E0_NS1_11comp_targetILNS1_3genE10ELNS1_11target_archE1201ELNS1_3gpuE5ELNS1_3repE0EEENS1_30default_config_static_selectorELNS0_4arch9wavefront6targetE1EEEvT1_,@function
_ZN7rocprim17ROCPRIM_400000_NS6detail17trampoline_kernelINS0_14default_configENS1_20scan_config_selectorIsEEZZNS1_9scan_implILNS1_25lookback_scan_determinismE0ELb0ELb0ES3_N6thrust23THRUST_200600_302600_NS6detail15normal_iteratorINS9_10device_ptrIsEEEESE_s9plus_mod3IsEsEEDaPvRmT3_T4_T5_mT6_P12ihipStream_tbENKUlT_T0_E_clISt17integral_constantIbLb1EEST_IbLb0EEEEDaSP_SQ_EUlSP_E0_NS1_11comp_targetILNS1_3genE10ELNS1_11target_archE1201ELNS1_3gpuE5ELNS1_3repE0EEENS1_30default_config_static_selectorELNS0_4arch9wavefront6targetE1EEEvT1_: ; @_ZN7rocprim17ROCPRIM_400000_NS6detail17trampoline_kernelINS0_14default_configENS1_20scan_config_selectorIsEEZZNS1_9scan_implILNS1_25lookback_scan_determinismE0ELb0ELb0ES3_N6thrust23THRUST_200600_302600_NS6detail15normal_iteratorINS9_10device_ptrIsEEEESE_s9plus_mod3IsEsEEDaPvRmT3_T4_T5_mT6_P12ihipStream_tbENKUlT_T0_E_clISt17integral_constantIbLb1EEST_IbLb0EEEEDaSP_SQ_EUlSP_E0_NS1_11comp_targetILNS1_3genE10ELNS1_11target_archE1201ELNS1_3gpuE5ELNS1_3repE0EEENS1_30default_config_static_selectorELNS0_4arch9wavefront6targetE1EEEvT1_
; %bb.0:
	.section	.rodata,"a",@progbits
	.p2align	6, 0x0
	.amdhsa_kernel _ZN7rocprim17ROCPRIM_400000_NS6detail17trampoline_kernelINS0_14default_configENS1_20scan_config_selectorIsEEZZNS1_9scan_implILNS1_25lookback_scan_determinismE0ELb0ELb0ES3_N6thrust23THRUST_200600_302600_NS6detail15normal_iteratorINS9_10device_ptrIsEEEESE_s9plus_mod3IsEsEEDaPvRmT3_T4_T5_mT6_P12ihipStream_tbENKUlT_T0_E_clISt17integral_constantIbLb1EEST_IbLb0EEEEDaSP_SQ_EUlSP_E0_NS1_11comp_targetILNS1_3genE10ELNS1_11target_archE1201ELNS1_3gpuE5ELNS1_3repE0EEENS1_30default_config_static_selectorELNS0_4arch9wavefront6targetE1EEEvT1_
		.amdhsa_group_segment_fixed_size 0
		.amdhsa_private_segment_fixed_size 0
		.amdhsa_kernarg_size 40
		.amdhsa_user_sgpr_count 6
		.amdhsa_user_sgpr_private_segment_buffer 1
		.amdhsa_user_sgpr_dispatch_ptr 0
		.amdhsa_user_sgpr_queue_ptr 0
		.amdhsa_user_sgpr_kernarg_segment_ptr 1
		.amdhsa_user_sgpr_dispatch_id 0
		.amdhsa_user_sgpr_flat_scratch_init 0
		.amdhsa_user_sgpr_kernarg_preload_length 0
		.amdhsa_user_sgpr_kernarg_preload_offset 0
		.amdhsa_user_sgpr_private_segment_size 0
		.amdhsa_uses_dynamic_stack 0
		.amdhsa_system_sgpr_private_segment_wavefront_offset 0
		.amdhsa_system_sgpr_workgroup_id_x 1
		.amdhsa_system_sgpr_workgroup_id_y 0
		.amdhsa_system_sgpr_workgroup_id_z 0
		.amdhsa_system_sgpr_workgroup_info 0
		.amdhsa_system_vgpr_workitem_id 0
		.amdhsa_next_free_vgpr 1
		.amdhsa_next_free_sgpr 0
		.amdhsa_accum_offset 4
		.amdhsa_reserve_vcc 0
		.amdhsa_reserve_flat_scratch 0
		.amdhsa_float_round_mode_32 0
		.amdhsa_float_round_mode_16_64 0
		.amdhsa_float_denorm_mode_32 3
		.amdhsa_float_denorm_mode_16_64 3
		.amdhsa_dx10_clamp 1
		.amdhsa_ieee_mode 1
		.amdhsa_fp16_overflow 0
		.amdhsa_tg_split 0
		.amdhsa_exception_fp_ieee_invalid_op 0
		.amdhsa_exception_fp_denorm_src 0
		.amdhsa_exception_fp_ieee_div_zero 0
		.amdhsa_exception_fp_ieee_overflow 0
		.amdhsa_exception_fp_ieee_underflow 0
		.amdhsa_exception_fp_ieee_inexact 0
		.amdhsa_exception_int_div_zero 0
	.end_amdhsa_kernel
	.section	.text._ZN7rocprim17ROCPRIM_400000_NS6detail17trampoline_kernelINS0_14default_configENS1_20scan_config_selectorIsEEZZNS1_9scan_implILNS1_25lookback_scan_determinismE0ELb0ELb0ES3_N6thrust23THRUST_200600_302600_NS6detail15normal_iteratorINS9_10device_ptrIsEEEESE_s9plus_mod3IsEsEEDaPvRmT3_T4_T5_mT6_P12ihipStream_tbENKUlT_T0_E_clISt17integral_constantIbLb1EEST_IbLb0EEEEDaSP_SQ_EUlSP_E0_NS1_11comp_targetILNS1_3genE10ELNS1_11target_archE1201ELNS1_3gpuE5ELNS1_3repE0EEENS1_30default_config_static_selectorELNS0_4arch9wavefront6targetE1EEEvT1_,"axG",@progbits,_ZN7rocprim17ROCPRIM_400000_NS6detail17trampoline_kernelINS0_14default_configENS1_20scan_config_selectorIsEEZZNS1_9scan_implILNS1_25lookback_scan_determinismE0ELb0ELb0ES3_N6thrust23THRUST_200600_302600_NS6detail15normal_iteratorINS9_10device_ptrIsEEEESE_s9plus_mod3IsEsEEDaPvRmT3_T4_T5_mT6_P12ihipStream_tbENKUlT_T0_E_clISt17integral_constantIbLb1EEST_IbLb0EEEEDaSP_SQ_EUlSP_E0_NS1_11comp_targetILNS1_3genE10ELNS1_11target_archE1201ELNS1_3gpuE5ELNS1_3repE0EEENS1_30default_config_static_selectorELNS0_4arch9wavefront6targetE1EEEvT1_,comdat
.Lfunc_end6728:
	.size	_ZN7rocprim17ROCPRIM_400000_NS6detail17trampoline_kernelINS0_14default_configENS1_20scan_config_selectorIsEEZZNS1_9scan_implILNS1_25lookback_scan_determinismE0ELb0ELb0ES3_N6thrust23THRUST_200600_302600_NS6detail15normal_iteratorINS9_10device_ptrIsEEEESE_s9plus_mod3IsEsEEDaPvRmT3_T4_T5_mT6_P12ihipStream_tbENKUlT_T0_E_clISt17integral_constantIbLb1EEST_IbLb0EEEEDaSP_SQ_EUlSP_E0_NS1_11comp_targetILNS1_3genE10ELNS1_11target_archE1201ELNS1_3gpuE5ELNS1_3repE0EEENS1_30default_config_static_selectorELNS0_4arch9wavefront6targetE1EEEvT1_, .Lfunc_end6728-_ZN7rocprim17ROCPRIM_400000_NS6detail17trampoline_kernelINS0_14default_configENS1_20scan_config_selectorIsEEZZNS1_9scan_implILNS1_25lookback_scan_determinismE0ELb0ELb0ES3_N6thrust23THRUST_200600_302600_NS6detail15normal_iteratorINS9_10device_ptrIsEEEESE_s9plus_mod3IsEsEEDaPvRmT3_T4_T5_mT6_P12ihipStream_tbENKUlT_T0_E_clISt17integral_constantIbLb1EEST_IbLb0EEEEDaSP_SQ_EUlSP_E0_NS1_11comp_targetILNS1_3genE10ELNS1_11target_archE1201ELNS1_3gpuE5ELNS1_3repE0EEENS1_30default_config_static_selectorELNS0_4arch9wavefront6targetE1EEEvT1_
                                        ; -- End function
	.section	.AMDGPU.csdata,"",@progbits
; Kernel info:
; codeLenInByte = 0
; NumSgprs: 4
; NumVgprs: 0
; NumAgprs: 0
; TotalNumVgprs: 0
; ScratchSize: 0
; MemoryBound: 0
; FloatMode: 240
; IeeeMode: 1
; LDSByteSize: 0 bytes/workgroup (compile time only)
; SGPRBlocks: 0
; VGPRBlocks: 0
; NumSGPRsForWavesPerEU: 4
; NumVGPRsForWavesPerEU: 1
; AccumOffset: 4
; Occupancy: 8
; WaveLimiterHint : 0
; COMPUTE_PGM_RSRC2:SCRATCH_EN: 0
; COMPUTE_PGM_RSRC2:USER_SGPR: 6
; COMPUTE_PGM_RSRC2:TRAP_HANDLER: 0
; COMPUTE_PGM_RSRC2:TGID_X_EN: 1
; COMPUTE_PGM_RSRC2:TGID_Y_EN: 0
; COMPUTE_PGM_RSRC2:TGID_Z_EN: 0
; COMPUTE_PGM_RSRC2:TIDIG_COMP_CNT: 0
; COMPUTE_PGM_RSRC3_GFX90A:ACCUM_OFFSET: 0
; COMPUTE_PGM_RSRC3_GFX90A:TG_SPLIT: 0
	.section	.text._ZN7rocprim17ROCPRIM_400000_NS6detail17trampoline_kernelINS0_14default_configENS1_20scan_config_selectorIsEEZZNS1_9scan_implILNS1_25lookback_scan_determinismE0ELb0ELb0ES3_N6thrust23THRUST_200600_302600_NS6detail15normal_iteratorINS9_10device_ptrIsEEEESE_s9plus_mod3IsEsEEDaPvRmT3_T4_T5_mT6_P12ihipStream_tbENKUlT_T0_E_clISt17integral_constantIbLb1EEST_IbLb0EEEEDaSP_SQ_EUlSP_E0_NS1_11comp_targetILNS1_3genE10ELNS1_11target_archE1200ELNS1_3gpuE4ELNS1_3repE0EEENS1_30default_config_static_selectorELNS0_4arch9wavefront6targetE1EEEvT1_,"axG",@progbits,_ZN7rocprim17ROCPRIM_400000_NS6detail17trampoline_kernelINS0_14default_configENS1_20scan_config_selectorIsEEZZNS1_9scan_implILNS1_25lookback_scan_determinismE0ELb0ELb0ES3_N6thrust23THRUST_200600_302600_NS6detail15normal_iteratorINS9_10device_ptrIsEEEESE_s9plus_mod3IsEsEEDaPvRmT3_T4_T5_mT6_P12ihipStream_tbENKUlT_T0_E_clISt17integral_constantIbLb1EEST_IbLb0EEEEDaSP_SQ_EUlSP_E0_NS1_11comp_targetILNS1_3genE10ELNS1_11target_archE1200ELNS1_3gpuE4ELNS1_3repE0EEENS1_30default_config_static_selectorELNS0_4arch9wavefront6targetE1EEEvT1_,comdat
	.protected	_ZN7rocprim17ROCPRIM_400000_NS6detail17trampoline_kernelINS0_14default_configENS1_20scan_config_selectorIsEEZZNS1_9scan_implILNS1_25lookback_scan_determinismE0ELb0ELb0ES3_N6thrust23THRUST_200600_302600_NS6detail15normal_iteratorINS9_10device_ptrIsEEEESE_s9plus_mod3IsEsEEDaPvRmT3_T4_T5_mT6_P12ihipStream_tbENKUlT_T0_E_clISt17integral_constantIbLb1EEST_IbLb0EEEEDaSP_SQ_EUlSP_E0_NS1_11comp_targetILNS1_3genE10ELNS1_11target_archE1200ELNS1_3gpuE4ELNS1_3repE0EEENS1_30default_config_static_selectorELNS0_4arch9wavefront6targetE1EEEvT1_ ; -- Begin function _ZN7rocprim17ROCPRIM_400000_NS6detail17trampoline_kernelINS0_14default_configENS1_20scan_config_selectorIsEEZZNS1_9scan_implILNS1_25lookback_scan_determinismE0ELb0ELb0ES3_N6thrust23THRUST_200600_302600_NS6detail15normal_iteratorINS9_10device_ptrIsEEEESE_s9plus_mod3IsEsEEDaPvRmT3_T4_T5_mT6_P12ihipStream_tbENKUlT_T0_E_clISt17integral_constantIbLb1EEST_IbLb0EEEEDaSP_SQ_EUlSP_E0_NS1_11comp_targetILNS1_3genE10ELNS1_11target_archE1200ELNS1_3gpuE4ELNS1_3repE0EEENS1_30default_config_static_selectorELNS0_4arch9wavefront6targetE1EEEvT1_
	.globl	_ZN7rocprim17ROCPRIM_400000_NS6detail17trampoline_kernelINS0_14default_configENS1_20scan_config_selectorIsEEZZNS1_9scan_implILNS1_25lookback_scan_determinismE0ELb0ELb0ES3_N6thrust23THRUST_200600_302600_NS6detail15normal_iteratorINS9_10device_ptrIsEEEESE_s9plus_mod3IsEsEEDaPvRmT3_T4_T5_mT6_P12ihipStream_tbENKUlT_T0_E_clISt17integral_constantIbLb1EEST_IbLb0EEEEDaSP_SQ_EUlSP_E0_NS1_11comp_targetILNS1_3genE10ELNS1_11target_archE1200ELNS1_3gpuE4ELNS1_3repE0EEENS1_30default_config_static_selectorELNS0_4arch9wavefront6targetE1EEEvT1_
	.p2align	8
	.type	_ZN7rocprim17ROCPRIM_400000_NS6detail17trampoline_kernelINS0_14default_configENS1_20scan_config_selectorIsEEZZNS1_9scan_implILNS1_25lookback_scan_determinismE0ELb0ELb0ES3_N6thrust23THRUST_200600_302600_NS6detail15normal_iteratorINS9_10device_ptrIsEEEESE_s9plus_mod3IsEsEEDaPvRmT3_T4_T5_mT6_P12ihipStream_tbENKUlT_T0_E_clISt17integral_constantIbLb1EEST_IbLb0EEEEDaSP_SQ_EUlSP_E0_NS1_11comp_targetILNS1_3genE10ELNS1_11target_archE1200ELNS1_3gpuE4ELNS1_3repE0EEENS1_30default_config_static_selectorELNS0_4arch9wavefront6targetE1EEEvT1_,@function
_ZN7rocprim17ROCPRIM_400000_NS6detail17trampoline_kernelINS0_14default_configENS1_20scan_config_selectorIsEEZZNS1_9scan_implILNS1_25lookback_scan_determinismE0ELb0ELb0ES3_N6thrust23THRUST_200600_302600_NS6detail15normal_iteratorINS9_10device_ptrIsEEEESE_s9plus_mod3IsEsEEDaPvRmT3_T4_T5_mT6_P12ihipStream_tbENKUlT_T0_E_clISt17integral_constantIbLb1EEST_IbLb0EEEEDaSP_SQ_EUlSP_E0_NS1_11comp_targetILNS1_3genE10ELNS1_11target_archE1200ELNS1_3gpuE4ELNS1_3repE0EEENS1_30default_config_static_selectorELNS0_4arch9wavefront6targetE1EEEvT1_: ; @_ZN7rocprim17ROCPRIM_400000_NS6detail17trampoline_kernelINS0_14default_configENS1_20scan_config_selectorIsEEZZNS1_9scan_implILNS1_25lookback_scan_determinismE0ELb0ELb0ES3_N6thrust23THRUST_200600_302600_NS6detail15normal_iteratorINS9_10device_ptrIsEEEESE_s9plus_mod3IsEsEEDaPvRmT3_T4_T5_mT6_P12ihipStream_tbENKUlT_T0_E_clISt17integral_constantIbLb1EEST_IbLb0EEEEDaSP_SQ_EUlSP_E0_NS1_11comp_targetILNS1_3genE10ELNS1_11target_archE1200ELNS1_3gpuE4ELNS1_3repE0EEENS1_30default_config_static_selectorELNS0_4arch9wavefront6targetE1EEEvT1_
; %bb.0:
	.section	.rodata,"a",@progbits
	.p2align	6, 0x0
	.amdhsa_kernel _ZN7rocprim17ROCPRIM_400000_NS6detail17trampoline_kernelINS0_14default_configENS1_20scan_config_selectorIsEEZZNS1_9scan_implILNS1_25lookback_scan_determinismE0ELb0ELb0ES3_N6thrust23THRUST_200600_302600_NS6detail15normal_iteratorINS9_10device_ptrIsEEEESE_s9plus_mod3IsEsEEDaPvRmT3_T4_T5_mT6_P12ihipStream_tbENKUlT_T0_E_clISt17integral_constantIbLb1EEST_IbLb0EEEEDaSP_SQ_EUlSP_E0_NS1_11comp_targetILNS1_3genE10ELNS1_11target_archE1200ELNS1_3gpuE4ELNS1_3repE0EEENS1_30default_config_static_selectorELNS0_4arch9wavefront6targetE1EEEvT1_
		.amdhsa_group_segment_fixed_size 0
		.amdhsa_private_segment_fixed_size 0
		.amdhsa_kernarg_size 40
		.amdhsa_user_sgpr_count 6
		.amdhsa_user_sgpr_private_segment_buffer 1
		.amdhsa_user_sgpr_dispatch_ptr 0
		.amdhsa_user_sgpr_queue_ptr 0
		.amdhsa_user_sgpr_kernarg_segment_ptr 1
		.amdhsa_user_sgpr_dispatch_id 0
		.amdhsa_user_sgpr_flat_scratch_init 0
		.amdhsa_user_sgpr_kernarg_preload_length 0
		.amdhsa_user_sgpr_kernarg_preload_offset 0
		.amdhsa_user_sgpr_private_segment_size 0
		.amdhsa_uses_dynamic_stack 0
		.amdhsa_system_sgpr_private_segment_wavefront_offset 0
		.amdhsa_system_sgpr_workgroup_id_x 1
		.amdhsa_system_sgpr_workgroup_id_y 0
		.amdhsa_system_sgpr_workgroup_id_z 0
		.amdhsa_system_sgpr_workgroup_info 0
		.amdhsa_system_vgpr_workitem_id 0
		.amdhsa_next_free_vgpr 1
		.amdhsa_next_free_sgpr 0
		.amdhsa_accum_offset 4
		.amdhsa_reserve_vcc 0
		.amdhsa_reserve_flat_scratch 0
		.amdhsa_float_round_mode_32 0
		.amdhsa_float_round_mode_16_64 0
		.amdhsa_float_denorm_mode_32 3
		.amdhsa_float_denorm_mode_16_64 3
		.amdhsa_dx10_clamp 1
		.amdhsa_ieee_mode 1
		.amdhsa_fp16_overflow 0
		.amdhsa_tg_split 0
		.amdhsa_exception_fp_ieee_invalid_op 0
		.amdhsa_exception_fp_denorm_src 0
		.amdhsa_exception_fp_ieee_div_zero 0
		.amdhsa_exception_fp_ieee_overflow 0
		.amdhsa_exception_fp_ieee_underflow 0
		.amdhsa_exception_fp_ieee_inexact 0
		.amdhsa_exception_int_div_zero 0
	.end_amdhsa_kernel
	.section	.text._ZN7rocprim17ROCPRIM_400000_NS6detail17trampoline_kernelINS0_14default_configENS1_20scan_config_selectorIsEEZZNS1_9scan_implILNS1_25lookback_scan_determinismE0ELb0ELb0ES3_N6thrust23THRUST_200600_302600_NS6detail15normal_iteratorINS9_10device_ptrIsEEEESE_s9plus_mod3IsEsEEDaPvRmT3_T4_T5_mT6_P12ihipStream_tbENKUlT_T0_E_clISt17integral_constantIbLb1EEST_IbLb0EEEEDaSP_SQ_EUlSP_E0_NS1_11comp_targetILNS1_3genE10ELNS1_11target_archE1200ELNS1_3gpuE4ELNS1_3repE0EEENS1_30default_config_static_selectorELNS0_4arch9wavefront6targetE1EEEvT1_,"axG",@progbits,_ZN7rocprim17ROCPRIM_400000_NS6detail17trampoline_kernelINS0_14default_configENS1_20scan_config_selectorIsEEZZNS1_9scan_implILNS1_25lookback_scan_determinismE0ELb0ELb0ES3_N6thrust23THRUST_200600_302600_NS6detail15normal_iteratorINS9_10device_ptrIsEEEESE_s9plus_mod3IsEsEEDaPvRmT3_T4_T5_mT6_P12ihipStream_tbENKUlT_T0_E_clISt17integral_constantIbLb1EEST_IbLb0EEEEDaSP_SQ_EUlSP_E0_NS1_11comp_targetILNS1_3genE10ELNS1_11target_archE1200ELNS1_3gpuE4ELNS1_3repE0EEENS1_30default_config_static_selectorELNS0_4arch9wavefront6targetE1EEEvT1_,comdat
.Lfunc_end6729:
	.size	_ZN7rocprim17ROCPRIM_400000_NS6detail17trampoline_kernelINS0_14default_configENS1_20scan_config_selectorIsEEZZNS1_9scan_implILNS1_25lookback_scan_determinismE0ELb0ELb0ES3_N6thrust23THRUST_200600_302600_NS6detail15normal_iteratorINS9_10device_ptrIsEEEESE_s9plus_mod3IsEsEEDaPvRmT3_T4_T5_mT6_P12ihipStream_tbENKUlT_T0_E_clISt17integral_constantIbLb1EEST_IbLb0EEEEDaSP_SQ_EUlSP_E0_NS1_11comp_targetILNS1_3genE10ELNS1_11target_archE1200ELNS1_3gpuE4ELNS1_3repE0EEENS1_30default_config_static_selectorELNS0_4arch9wavefront6targetE1EEEvT1_, .Lfunc_end6729-_ZN7rocprim17ROCPRIM_400000_NS6detail17trampoline_kernelINS0_14default_configENS1_20scan_config_selectorIsEEZZNS1_9scan_implILNS1_25lookback_scan_determinismE0ELb0ELb0ES3_N6thrust23THRUST_200600_302600_NS6detail15normal_iteratorINS9_10device_ptrIsEEEESE_s9plus_mod3IsEsEEDaPvRmT3_T4_T5_mT6_P12ihipStream_tbENKUlT_T0_E_clISt17integral_constantIbLb1EEST_IbLb0EEEEDaSP_SQ_EUlSP_E0_NS1_11comp_targetILNS1_3genE10ELNS1_11target_archE1200ELNS1_3gpuE4ELNS1_3repE0EEENS1_30default_config_static_selectorELNS0_4arch9wavefront6targetE1EEEvT1_
                                        ; -- End function
	.section	.AMDGPU.csdata,"",@progbits
; Kernel info:
; codeLenInByte = 0
; NumSgprs: 4
; NumVgprs: 0
; NumAgprs: 0
; TotalNumVgprs: 0
; ScratchSize: 0
; MemoryBound: 0
; FloatMode: 240
; IeeeMode: 1
; LDSByteSize: 0 bytes/workgroup (compile time only)
; SGPRBlocks: 0
; VGPRBlocks: 0
; NumSGPRsForWavesPerEU: 4
; NumVGPRsForWavesPerEU: 1
; AccumOffset: 4
; Occupancy: 8
; WaveLimiterHint : 0
; COMPUTE_PGM_RSRC2:SCRATCH_EN: 0
; COMPUTE_PGM_RSRC2:USER_SGPR: 6
; COMPUTE_PGM_RSRC2:TRAP_HANDLER: 0
; COMPUTE_PGM_RSRC2:TGID_X_EN: 1
; COMPUTE_PGM_RSRC2:TGID_Y_EN: 0
; COMPUTE_PGM_RSRC2:TGID_Z_EN: 0
; COMPUTE_PGM_RSRC2:TIDIG_COMP_CNT: 0
; COMPUTE_PGM_RSRC3_GFX90A:ACCUM_OFFSET: 0
; COMPUTE_PGM_RSRC3_GFX90A:TG_SPLIT: 0
	.section	.text._ZN7rocprim17ROCPRIM_400000_NS6detail17trampoline_kernelINS0_14default_configENS1_20scan_config_selectorIsEEZZNS1_9scan_implILNS1_25lookback_scan_determinismE0ELb0ELb0ES3_N6thrust23THRUST_200600_302600_NS6detail15normal_iteratorINS9_10device_ptrIsEEEESE_s9plus_mod3IsEsEEDaPvRmT3_T4_T5_mT6_P12ihipStream_tbENKUlT_T0_E_clISt17integral_constantIbLb1EEST_IbLb0EEEEDaSP_SQ_EUlSP_E0_NS1_11comp_targetILNS1_3genE9ELNS1_11target_archE1100ELNS1_3gpuE3ELNS1_3repE0EEENS1_30default_config_static_selectorELNS0_4arch9wavefront6targetE1EEEvT1_,"axG",@progbits,_ZN7rocprim17ROCPRIM_400000_NS6detail17trampoline_kernelINS0_14default_configENS1_20scan_config_selectorIsEEZZNS1_9scan_implILNS1_25lookback_scan_determinismE0ELb0ELb0ES3_N6thrust23THRUST_200600_302600_NS6detail15normal_iteratorINS9_10device_ptrIsEEEESE_s9plus_mod3IsEsEEDaPvRmT3_T4_T5_mT6_P12ihipStream_tbENKUlT_T0_E_clISt17integral_constantIbLb1EEST_IbLb0EEEEDaSP_SQ_EUlSP_E0_NS1_11comp_targetILNS1_3genE9ELNS1_11target_archE1100ELNS1_3gpuE3ELNS1_3repE0EEENS1_30default_config_static_selectorELNS0_4arch9wavefront6targetE1EEEvT1_,comdat
	.protected	_ZN7rocprim17ROCPRIM_400000_NS6detail17trampoline_kernelINS0_14default_configENS1_20scan_config_selectorIsEEZZNS1_9scan_implILNS1_25lookback_scan_determinismE0ELb0ELb0ES3_N6thrust23THRUST_200600_302600_NS6detail15normal_iteratorINS9_10device_ptrIsEEEESE_s9plus_mod3IsEsEEDaPvRmT3_T4_T5_mT6_P12ihipStream_tbENKUlT_T0_E_clISt17integral_constantIbLb1EEST_IbLb0EEEEDaSP_SQ_EUlSP_E0_NS1_11comp_targetILNS1_3genE9ELNS1_11target_archE1100ELNS1_3gpuE3ELNS1_3repE0EEENS1_30default_config_static_selectorELNS0_4arch9wavefront6targetE1EEEvT1_ ; -- Begin function _ZN7rocprim17ROCPRIM_400000_NS6detail17trampoline_kernelINS0_14default_configENS1_20scan_config_selectorIsEEZZNS1_9scan_implILNS1_25lookback_scan_determinismE0ELb0ELb0ES3_N6thrust23THRUST_200600_302600_NS6detail15normal_iteratorINS9_10device_ptrIsEEEESE_s9plus_mod3IsEsEEDaPvRmT3_T4_T5_mT6_P12ihipStream_tbENKUlT_T0_E_clISt17integral_constantIbLb1EEST_IbLb0EEEEDaSP_SQ_EUlSP_E0_NS1_11comp_targetILNS1_3genE9ELNS1_11target_archE1100ELNS1_3gpuE3ELNS1_3repE0EEENS1_30default_config_static_selectorELNS0_4arch9wavefront6targetE1EEEvT1_
	.globl	_ZN7rocprim17ROCPRIM_400000_NS6detail17trampoline_kernelINS0_14default_configENS1_20scan_config_selectorIsEEZZNS1_9scan_implILNS1_25lookback_scan_determinismE0ELb0ELb0ES3_N6thrust23THRUST_200600_302600_NS6detail15normal_iteratorINS9_10device_ptrIsEEEESE_s9plus_mod3IsEsEEDaPvRmT3_T4_T5_mT6_P12ihipStream_tbENKUlT_T0_E_clISt17integral_constantIbLb1EEST_IbLb0EEEEDaSP_SQ_EUlSP_E0_NS1_11comp_targetILNS1_3genE9ELNS1_11target_archE1100ELNS1_3gpuE3ELNS1_3repE0EEENS1_30default_config_static_selectorELNS0_4arch9wavefront6targetE1EEEvT1_
	.p2align	8
	.type	_ZN7rocprim17ROCPRIM_400000_NS6detail17trampoline_kernelINS0_14default_configENS1_20scan_config_selectorIsEEZZNS1_9scan_implILNS1_25lookback_scan_determinismE0ELb0ELb0ES3_N6thrust23THRUST_200600_302600_NS6detail15normal_iteratorINS9_10device_ptrIsEEEESE_s9plus_mod3IsEsEEDaPvRmT3_T4_T5_mT6_P12ihipStream_tbENKUlT_T0_E_clISt17integral_constantIbLb1EEST_IbLb0EEEEDaSP_SQ_EUlSP_E0_NS1_11comp_targetILNS1_3genE9ELNS1_11target_archE1100ELNS1_3gpuE3ELNS1_3repE0EEENS1_30default_config_static_selectorELNS0_4arch9wavefront6targetE1EEEvT1_,@function
_ZN7rocprim17ROCPRIM_400000_NS6detail17trampoline_kernelINS0_14default_configENS1_20scan_config_selectorIsEEZZNS1_9scan_implILNS1_25lookback_scan_determinismE0ELb0ELb0ES3_N6thrust23THRUST_200600_302600_NS6detail15normal_iteratorINS9_10device_ptrIsEEEESE_s9plus_mod3IsEsEEDaPvRmT3_T4_T5_mT6_P12ihipStream_tbENKUlT_T0_E_clISt17integral_constantIbLb1EEST_IbLb0EEEEDaSP_SQ_EUlSP_E0_NS1_11comp_targetILNS1_3genE9ELNS1_11target_archE1100ELNS1_3gpuE3ELNS1_3repE0EEENS1_30default_config_static_selectorELNS0_4arch9wavefront6targetE1EEEvT1_: ; @_ZN7rocprim17ROCPRIM_400000_NS6detail17trampoline_kernelINS0_14default_configENS1_20scan_config_selectorIsEEZZNS1_9scan_implILNS1_25lookback_scan_determinismE0ELb0ELb0ES3_N6thrust23THRUST_200600_302600_NS6detail15normal_iteratorINS9_10device_ptrIsEEEESE_s9plus_mod3IsEsEEDaPvRmT3_T4_T5_mT6_P12ihipStream_tbENKUlT_T0_E_clISt17integral_constantIbLb1EEST_IbLb0EEEEDaSP_SQ_EUlSP_E0_NS1_11comp_targetILNS1_3genE9ELNS1_11target_archE1100ELNS1_3gpuE3ELNS1_3repE0EEENS1_30default_config_static_selectorELNS0_4arch9wavefront6targetE1EEEvT1_
; %bb.0:
	.section	.rodata,"a",@progbits
	.p2align	6, 0x0
	.amdhsa_kernel _ZN7rocprim17ROCPRIM_400000_NS6detail17trampoline_kernelINS0_14default_configENS1_20scan_config_selectorIsEEZZNS1_9scan_implILNS1_25lookback_scan_determinismE0ELb0ELb0ES3_N6thrust23THRUST_200600_302600_NS6detail15normal_iteratorINS9_10device_ptrIsEEEESE_s9plus_mod3IsEsEEDaPvRmT3_T4_T5_mT6_P12ihipStream_tbENKUlT_T0_E_clISt17integral_constantIbLb1EEST_IbLb0EEEEDaSP_SQ_EUlSP_E0_NS1_11comp_targetILNS1_3genE9ELNS1_11target_archE1100ELNS1_3gpuE3ELNS1_3repE0EEENS1_30default_config_static_selectorELNS0_4arch9wavefront6targetE1EEEvT1_
		.amdhsa_group_segment_fixed_size 0
		.amdhsa_private_segment_fixed_size 0
		.amdhsa_kernarg_size 40
		.amdhsa_user_sgpr_count 6
		.amdhsa_user_sgpr_private_segment_buffer 1
		.amdhsa_user_sgpr_dispatch_ptr 0
		.amdhsa_user_sgpr_queue_ptr 0
		.amdhsa_user_sgpr_kernarg_segment_ptr 1
		.amdhsa_user_sgpr_dispatch_id 0
		.amdhsa_user_sgpr_flat_scratch_init 0
		.amdhsa_user_sgpr_kernarg_preload_length 0
		.amdhsa_user_sgpr_kernarg_preload_offset 0
		.amdhsa_user_sgpr_private_segment_size 0
		.amdhsa_uses_dynamic_stack 0
		.amdhsa_system_sgpr_private_segment_wavefront_offset 0
		.amdhsa_system_sgpr_workgroup_id_x 1
		.amdhsa_system_sgpr_workgroup_id_y 0
		.amdhsa_system_sgpr_workgroup_id_z 0
		.amdhsa_system_sgpr_workgroup_info 0
		.amdhsa_system_vgpr_workitem_id 0
		.amdhsa_next_free_vgpr 1
		.amdhsa_next_free_sgpr 0
		.amdhsa_accum_offset 4
		.amdhsa_reserve_vcc 0
		.amdhsa_reserve_flat_scratch 0
		.amdhsa_float_round_mode_32 0
		.amdhsa_float_round_mode_16_64 0
		.amdhsa_float_denorm_mode_32 3
		.amdhsa_float_denorm_mode_16_64 3
		.amdhsa_dx10_clamp 1
		.amdhsa_ieee_mode 1
		.amdhsa_fp16_overflow 0
		.amdhsa_tg_split 0
		.amdhsa_exception_fp_ieee_invalid_op 0
		.amdhsa_exception_fp_denorm_src 0
		.amdhsa_exception_fp_ieee_div_zero 0
		.amdhsa_exception_fp_ieee_overflow 0
		.amdhsa_exception_fp_ieee_underflow 0
		.amdhsa_exception_fp_ieee_inexact 0
		.amdhsa_exception_int_div_zero 0
	.end_amdhsa_kernel
	.section	.text._ZN7rocprim17ROCPRIM_400000_NS6detail17trampoline_kernelINS0_14default_configENS1_20scan_config_selectorIsEEZZNS1_9scan_implILNS1_25lookback_scan_determinismE0ELb0ELb0ES3_N6thrust23THRUST_200600_302600_NS6detail15normal_iteratorINS9_10device_ptrIsEEEESE_s9plus_mod3IsEsEEDaPvRmT3_T4_T5_mT6_P12ihipStream_tbENKUlT_T0_E_clISt17integral_constantIbLb1EEST_IbLb0EEEEDaSP_SQ_EUlSP_E0_NS1_11comp_targetILNS1_3genE9ELNS1_11target_archE1100ELNS1_3gpuE3ELNS1_3repE0EEENS1_30default_config_static_selectorELNS0_4arch9wavefront6targetE1EEEvT1_,"axG",@progbits,_ZN7rocprim17ROCPRIM_400000_NS6detail17trampoline_kernelINS0_14default_configENS1_20scan_config_selectorIsEEZZNS1_9scan_implILNS1_25lookback_scan_determinismE0ELb0ELb0ES3_N6thrust23THRUST_200600_302600_NS6detail15normal_iteratorINS9_10device_ptrIsEEEESE_s9plus_mod3IsEsEEDaPvRmT3_T4_T5_mT6_P12ihipStream_tbENKUlT_T0_E_clISt17integral_constantIbLb1EEST_IbLb0EEEEDaSP_SQ_EUlSP_E0_NS1_11comp_targetILNS1_3genE9ELNS1_11target_archE1100ELNS1_3gpuE3ELNS1_3repE0EEENS1_30default_config_static_selectorELNS0_4arch9wavefront6targetE1EEEvT1_,comdat
.Lfunc_end6730:
	.size	_ZN7rocprim17ROCPRIM_400000_NS6detail17trampoline_kernelINS0_14default_configENS1_20scan_config_selectorIsEEZZNS1_9scan_implILNS1_25lookback_scan_determinismE0ELb0ELb0ES3_N6thrust23THRUST_200600_302600_NS6detail15normal_iteratorINS9_10device_ptrIsEEEESE_s9plus_mod3IsEsEEDaPvRmT3_T4_T5_mT6_P12ihipStream_tbENKUlT_T0_E_clISt17integral_constantIbLb1EEST_IbLb0EEEEDaSP_SQ_EUlSP_E0_NS1_11comp_targetILNS1_3genE9ELNS1_11target_archE1100ELNS1_3gpuE3ELNS1_3repE0EEENS1_30default_config_static_selectorELNS0_4arch9wavefront6targetE1EEEvT1_, .Lfunc_end6730-_ZN7rocprim17ROCPRIM_400000_NS6detail17trampoline_kernelINS0_14default_configENS1_20scan_config_selectorIsEEZZNS1_9scan_implILNS1_25lookback_scan_determinismE0ELb0ELb0ES3_N6thrust23THRUST_200600_302600_NS6detail15normal_iteratorINS9_10device_ptrIsEEEESE_s9plus_mod3IsEsEEDaPvRmT3_T4_T5_mT6_P12ihipStream_tbENKUlT_T0_E_clISt17integral_constantIbLb1EEST_IbLb0EEEEDaSP_SQ_EUlSP_E0_NS1_11comp_targetILNS1_3genE9ELNS1_11target_archE1100ELNS1_3gpuE3ELNS1_3repE0EEENS1_30default_config_static_selectorELNS0_4arch9wavefront6targetE1EEEvT1_
                                        ; -- End function
	.section	.AMDGPU.csdata,"",@progbits
; Kernel info:
; codeLenInByte = 0
; NumSgprs: 4
; NumVgprs: 0
; NumAgprs: 0
; TotalNumVgprs: 0
; ScratchSize: 0
; MemoryBound: 0
; FloatMode: 240
; IeeeMode: 1
; LDSByteSize: 0 bytes/workgroup (compile time only)
; SGPRBlocks: 0
; VGPRBlocks: 0
; NumSGPRsForWavesPerEU: 4
; NumVGPRsForWavesPerEU: 1
; AccumOffset: 4
; Occupancy: 8
; WaveLimiterHint : 0
; COMPUTE_PGM_RSRC2:SCRATCH_EN: 0
; COMPUTE_PGM_RSRC2:USER_SGPR: 6
; COMPUTE_PGM_RSRC2:TRAP_HANDLER: 0
; COMPUTE_PGM_RSRC2:TGID_X_EN: 1
; COMPUTE_PGM_RSRC2:TGID_Y_EN: 0
; COMPUTE_PGM_RSRC2:TGID_Z_EN: 0
; COMPUTE_PGM_RSRC2:TIDIG_COMP_CNT: 0
; COMPUTE_PGM_RSRC3_GFX90A:ACCUM_OFFSET: 0
; COMPUTE_PGM_RSRC3_GFX90A:TG_SPLIT: 0
	.section	.text._ZN7rocprim17ROCPRIM_400000_NS6detail17trampoline_kernelINS0_14default_configENS1_20scan_config_selectorIsEEZZNS1_9scan_implILNS1_25lookback_scan_determinismE0ELb0ELb0ES3_N6thrust23THRUST_200600_302600_NS6detail15normal_iteratorINS9_10device_ptrIsEEEESE_s9plus_mod3IsEsEEDaPvRmT3_T4_T5_mT6_P12ihipStream_tbENKUlT_T0_E_clISt17integral_constantIbLb1EEST_IbLb0EEEEDaSP_SQ_EUlSP_E0_NS1_11comp_targetILNS1_3genE8ELNS1_11target_archE1030ELNS1_3gpuE2ELNS1_3repE0EEENS1_30default_config_static_selectorELNS0_4arch9wavefront6targetE1EEEvT1_,"axG",@progbits,_ZN7rocprim17ROCPRIM_400000_NS6detail17trampoline_kernelINS0_14default_configENS1_20scan_config_selectorIsEEZZNS1_9scan_implILNS1_25lookback_scan_determinismE0ELb0ELb0ES3_N6thrust23THRUST_200600_302600_NS6detail15normal_iteratorINS9_10device_ptrIsEEEESE_s9plus_mod3IsEsEEDaPvRmT3_T4_T5_mT6_P12ihipStream_tbENKUlT_T0_E_clISt17integral_constantIbLb1EEST_IbLb0EEEEDaSP_SQ_EUlSP_E0_NS1_11comp_targetILNS1_3genE8ELNS1_11target_archE1030ELNS1_3gpuE2ELNS1_3repE0EEENS1_30default_config_static_selectorELNS0_4arch9wavefront6targetE1EEEvT1_,comdat
	.protected	_ZN7rocprim17ROCPRIM_400000_NS6detail17trampoline_kernelINS0_14default_configENS1_20scan_config_selectorIsEEZZNS1_9scan_implILNS1_25lookback_scan_determinismE0ELb0ELb0ES3_N6thrust23THRUST_200600_302600_NS6detail15normal_iteratorINS9_10device_ptrIsEEEESE_s9plus_mod3IsEsEEDaPvRmT3_T4_T5_mT6_P12ihipStream_tbENKUlT_T0_E_clISt17integral_constantIbLb1EEST_IbLb0EEEEDaSP_SQ_EUlSP_E0_NS1_11comp_targetILNS1_3genE8ELNS1_11target_archE1030ELNS1_3gpuE2ELNS1_3repE0EEENS1_30default_config_static_selectorELNS0_4arch9wavefront6targetE1EEEvT1_ ; -- Begin function _ZN7rocprim17ROCPRIM_400000_NS6detail17trampoline_kernelINS0_14default_configENS1_20scan_config_selectorIsEEZZNS1_9scan_implILNS1_25lookback_scan_determinismE0ELb0ELb0ES3_N6thrust23THRUST_200600_302600_NS6detail15normal_iteratorINS9_10device_ptrIsEEEESE_s9plus_mod3IsEsEEDaPvRmT3_T4_T5_mT6_P12ihipStream_tbENKUlT_T0_E_clISt17integral_constantIbLb1EEST_IbLb0EEEEDaSP_SQ_EUlSP_E0_NS1_11comp_targetILNS1_3genE8ELNS1_11target_archE1030ELNS1_3gpuE2ELNS1_3repE0EEENS1_30default_config_static_selectorELNS0_4arch9wavefront6targetE1EEEvT1_
	.globl	_ZN7rocprim17ROCPRIM_400000_NS6detail17trampoline_kernelINS0_14default_configENS1_20scan_config_selectorIsEEZZNS1_9scan_implILNS1_25lookback_scan_determinismE0ELb0ELb0ES3_N6thrust23THRUST_200600_302600_NS6detail15normal_iteratorINS9_10device_ptrIsEEEESE_s9plus_mod3IsEsEEDaPvRmT3_T4_T5_mT6_P12ihipStream_tbENKUlT_T0_E_clISt17integral_constantIbLb1EEST_IbLb0EEEEDaSP_SQ_EUlSP_E0_NS1_11comp_targetILNS1_3genE8ELNS1_11target_archE1030ELNS1_3gpuE2ELNS1_3repE0EEENS1_30default_config_static_selectorELNS0_4arch9wavefront6targetE1EEEvT1_
	.p2align	8
	.type	_ZN7rocprim17ROCPRIM_400000_NS6detail17trampoline_kernelINS0_14default_configENS1_20scan_config_selectorIsEEZZNS1_9scan_implILNS1_25lookback_scan_determinismE0ELb0ELb0ES3_N6thrust23THRUST_200600_302600_NS6detail15normal_iteratorINS9_10device_ptrIsEEEESE_s9plus_mod3IsEsEEDaPvRmT3_T4_T5_mT6_P12ihipStream_tbENKUlT_T0_E_clISt17integral_constantIbLb1EEST_IbLb0EEEEDaSP_SQ_EUlSP_E0_NS1_11comp_targetILNS1_3genE8ELNS1_11target_archE1030ELNS1_3gpuE2ELNS1_3repE0EEENS1_30default_config_static_selectorELNS0_4arch9wavefront6targetE1EEEvT1_,@function
_ZN7rocprim17ROCPRIM_400000_NS6detail17trampoline_kernelINS0_14default_configENS1_20scan_config_selectorIsEEZZNS1_9scan_implILNS1_25lookback_scan_determinismE0ELb0ELb0ES3_N6thrust23THRUST_200600_302600_NS6detail15normal_iteratorINS9_10device_ptrIsEEEESE_s9plus_mod3IsEsEEDaPvRmT3_T4_T5_mT6_P12ihipStream_tbENKUlT_T0_E_clISt17integral_constantIbLb1EEST_IbLb0EEEEDaSP_SQ_EUlSP_E0_NS1_11comp_targetILNS1_3genE8ELNS1_11target_archE1030ELNS1_3gpuE2ELNS1_3repE0EEENS1_30default_config_static_selectorELNS0_4arch9wavefront6targetE1EEEvT1_: ; @_ZN7rocprim17ROCPRIM_400000_NS6detail17trampoline_kernelINS0_14default_configENS1_20scan_config_selectorIsEEZZNS1_9scan_implILNS1_25lookback_scan_determinismE0ELb0ELb0ES3_N6thrust23THRUST_200600_302600_NS6detail15normal_iteratorINS9_10device_ptrIsEEEESE_s9plus_mod3IsEsEEDaPvRmT3_T4_T5_mT6_P12ihipStream_tbENKUlT_T0_E_clISt17integral_constantIbLb1EEST_IbLb0EEEEDaSP_SQ_EUlSP_E0_NS1_11comp_targetILNS1_3genE8ELNS1_11target_archE1030ELNS1_3gpuE2ELNS1_3repE0EEENS1_30default_config_static_selectorELNS0_4arch9wavefront6targetE1EEEvT1_
; %bb.0:
	.section	.rodata,"a",@progbits
	.p2align	6, 0x0
	.amdhsa_kernel _ZN7rocprim17ROCPRIM_400000_NS6detail17trampoline_kernelINS0_14default_configENS1_20scan_config_selectorIsEEZZNS1_9scan_implILNS1_25lookback_scan_determinismE0ELb0ELb0ES3_N6thrust23THRUST_200600_302600_NS6detail15normal_iteratorINS9_10device_ptrIsEEEESE_s9plus_mod3IsEsEEDaPvRmT3_T4_T5_mT6_P12ihipStream_tbENKUlT_T0_E_clISt17integral_constantIbLb1EEST_IbLb0EEEEDaSP_SQ_EUlSP_E0_NS1_11comp_targetILNS1_3genE8ELNS1_11target_archE1030ELNS1_3gpuE2ELNS1_3repE0EEENS1_30default_config_static_selectorELNS0_4arch9wavefront6targetE1EEEvT1_
		.amdhsa_group_segment_fixed_size 0
		.amdhsa_private_segment_fixed_size 0
		.amdhsa_kernarg_size 40
		.amdhsa_user_sgpr_count 6
		.amdhsa_user_sgpr_private_segment_buffer 1
		.amdhsa_user_sgpr_dispatch_ptr 0
		.amdhsa_user_sgpr_queue_ptr 0
		.amdhsa_user_sgpr_kernarg_segment_ptr 1
		.amdhsa_user_sgpr_dispatch_id 0
		.amdhsa_user_sgpr_flat_scratch_init 0
		.amdhsa_user_sgpr_kernarg_preload_length 0
		.amdhsa_user_sgpr_kernarg_preload_offset 0
		.amdhsa_user_sgpr_private_segment_size 0
		.amdhsa_uses_dynamic_stack 0
		.amdhsa_system_sgpr_private_segment_wavefront_offset 0
		.amdhsa_system_sgpr_workgroup_id_x 1
		.amdhsa_system_sgpr_workgroup_id_y 0
		.amdhsa_system_sgpr_workgroup_id_z 0
		.amdhsa_system_sgpr_workgroup_info 0
		.amdhsa_system_vgpr_workitem_id 0
		.amdhsa_next_free_vgpr 1
		.amdhsa_next_free_sgpr 0
		.amdhsa_accum_offset 4
		.amdhsa_reserve_vcc 0
		.amdhsa_reserve_flat_scratch 0
		.amdhsa_float_round_mode_32 0
		.amdhsa_float_round_mode_16_64 0
		.amdhsa_float_denorm_mode_32 3
		.amdhsa_float_denorm_mode_16_64 3
		.amdhsa_dx10_clamp 1
		.amdhsa_ieee_mode 1
		.amdhsa_fp16_overflow 0
		.amdhsa_tg_split 0
		.amdhsa_exception_fp_ieee_invalid_op 0
		.amdhsa_exception_fp_denorm_src 0
		.amdhsa_exception_fp_ieee_div_zero 0
		.amdhsa_exception_fp_ieee_overflow 0
		.amdhsa_exception_fp_ieee_underflow 0
		.amdhsa_exception_fp_ieee_inexact 0
		.amdhsa_exception_int_div_zero 0
	.end_amdhsa_kernel
	.section	.text._ZN7rocprim17ROCPRIM_400000_NS6detail17trampoline_kernelINS0_14default_configENS1_20scan_config_selectorIsEEZZNS1_9scan_implILNS1_25lookback_scan_determinismE0ELb0ELb0ES3_N6thrust23THRUST_200600_302600_NS6detail15normal_iteratorINS9_10device_ptrIsEEEESE_s9plus_mod3IsEsEEDaPvRmT3_T4_T5_mT6_P12ihipStream_tbENKUlT_T0_E_clISt17integral_constantIbLb1EEST_IbLb0EEEEDaSP_SQ_EUlSP_E0_NS1_11comp_targetILNS1_3genE8ELNS1_11target_archE1030ELNS1_3gpuE2ELNS1_3repE0EEENS1_30default_config_static_selectorELNS0_4arch9wavefront6targetE1EEEvT1_,"axG",@progbits,_ZN7rocprim17ROCPRIM_400000_NS6detail17trampoline_kernelINS0_14default_configENS1_20scan_config_selectorIsEEZZNS1_9scan_implILNS1_25lookback_scan_determinismE0ELb0ELb0ES3_N6thrust23THRUST_200600_302600_NS6detail15normal_iteratorINS9_10device_ptrIsEEEESE_s9plus_mod3IsEsEEDaPvRmT3_T4_T5_mT6_P12ihipStream_tbENKUlT_T0_E_clISt17integral_constantIbLb1EEST_IbLb0EEEEDaSP_SQ_EUlSP_E0_NS1_11comp_targetILNS1_3genE8ELNS1_11target_archE1030ELNS1_3gpuE2ELNS1_3repE0EEENS1_30default_config_static_selectorELNS0_4arch9wavefront6targetE1EEEvT1_,comdat
.Lfunc_end6731:
	.size	_ZN7rocprim17ROCPRIM_400000_NS6detail17trampoline_kernelINS0_14default_configENS1_20scan_config_selectorIsEEZZNS1_9scan_implILNS1_25lookback_scan_determinismE0ELb0ELb0ES3_N6thrust23THRUST_200600_302600_NS6detail15normal_iteratorINS9_10device_ptrIsEEEESE_s9plus_mod3IsEsEEDaPvRmT3_T4_T5_mT6_P12ihipStream_tbENKUlT_T0_E_clISt17integral_constantIbLb1EEST_IbLb0EEEEDaSP_SQ_EUlSP_E0_NS1_11comp_targetILNS1_3genE8ELNS1_11target_archE1030ELNS1_3gpuE2ELNS1_3repE0EEENS1_30default_config_static_selectorELNS0_4arch9wavefront6targetE1EEEvT1_, .Lfunc_end6731-_ZN7rocprim17ROCPRIM_400000_NS6detail17trampoline_kernelINS0_14default_configENS1_20scan_config_selectorIsEEZZNS1_9scan_implILNS1_25lookback_scan_determinismE0ELb0ELb0ES3_N6thrust23THRUST_200600_302600_NS6detail15normal_iteratorINS9_10device_ptrIsEEEESE_s9plus_mod3IsEsEEDaPvRmT3_T4_T5_mT6_P12ihipStream_tbENKUlT_T0_E_clISt17integral_constantIbLb1EEST_IbLb0EEEEDaSP_SQ_EUlSP_E0_NS1_11comp_targetILNS1_3genE8ELNS1_11target_archE1030ELNS1_3gpuE2ELNS1_3repE0EEENS1_30default_config_static_selectorELNS0_4arch9wavefront6targetE1EEEvT1_
                                        ; -- End function
	.section	.AMDGPU.csdata,"",@progbits
; Kernel info:
; codeLenInByte = 0
; NumSgprs: 4
; NumVgprs: 0
; NumAgprs: 0
; TotalNumVgprs: 0
; ScratchSize: 0
; MemoryBound: 0
; FloatMode: 240
; IeeeMode: 1
; LDSByteSize: 0 bytes/workgroup (compile time only)
; SGPRBlocks: 0
; VGPRBlocks: 0
; NumSGPRsForWavesPerEU: 4
; NumVGPRsForWavesPerEU: 1
; AccumOffset: 4
; Occupancy: 8
; WaveLimiterHint : 0
; COMPUTE_PGM_RSRC2:SCRATCH_EN: 0
; COMPUTE_PGM_RSRC2:USER_SGPR: 6
; COMPUTE_PGM_RSRC2:TRAP_HANDLER: 0
; COMPUTE_PGM_RSRC2:TGID_X_EN: 1
; COMPUTE_PGM_RSRC2:TGID_Y_EN: 0
; COMPUTE_PGM_RSRC2:TGID_Z_EN: 0
; COMPUTE_PGM_RSRC2:TIDIG_COMP_CNT: 0
; COMPUTE_PGM_RSRC3_GFX90A:ACCUM_OFFSET: 0
; COMPUTE_PGM_RSRC3_GFX90A:TG_SPLIT: 0
	.section	.text._ZN7rocprim17ROCPRIM_400000_NS6detail17trampoline_kernelINS0_14default_configENS1_20scan_config_selectorIsEEZZNS1_9scan_implILNS1_25lookback_scan_determinismE0ELb0ELb0ES3_N6thrust23THRUST_200600_302600_NS6detail15normal_iteratorINS9_10device_ptrIsEEEESE_s9plus_mod3IsEsEEDaPvRmT3_T4_T5_mT6_P12ihipStream_tbENKUlT_T0_E_clISt17integral_constantIbLb0EEST_IbLb1EEEEDaSP_SQ_EUlSP_E_NS1_11comp_targetILNS1_3genE0ELNS1_11target_archE4294967295ELNS1_3gpuE0ELNS1_3repE0EEENS1_30default_config_static_selectorELNS0_4arch9wavefront6targetE1EEEvT1_,"axG",@progbits,_ZN7rocprim17ROCPRIM_400000_NS6detail17trampoline_kernelINS0_14default_configENS1_20scan_config_selectorIsEEZZNS1_9scan_implILNS1_25lookback_scan_determinismE0ELb0ELb0ES3_N6thrust23THRUST_200600_302600_NS6detail15normal_iteratorINS9_10device_ptrIsEEEESE_s9plus_mod3IsEsEEDaPvRmT3_T4_T5_mT6_P12ihipStream_tbENKUlT_T0_E_clISt17integral_constantIbLb0EEST_IbLb1EEEEDaSP_SQ_EUlSP_E_NS1_11comp_targetILNS1_3genE0ELNS1_11target_archE4294967295ELNS1_3gpuE0ELNS1_3repE0EEENS1_30default_config_static_selectorELNS0_4arch9wavefront6targetE1EEEvT1_,comdat
	.protected	_ZN7rocprim17ROCPRIM_400000_NS6detail17trampoline_kernelINS0_14default_configENS1_20scan_config_selectorIsEEZZNS1_9scan_implILNS1_25lookback_scan_determinismE0ELb0ELb0ES3_N6thrust23THRUST_200600_302600_NS6detail15normal_iteratorINS9_10device_ptrIsEEEESE_s9plus_mod3IsEsEEDaPvRmT3_T4_T5_mT6_P12ihipStream_tbENKUlT_T0_E_clISt17integral_constantIbLb0EEST_IbLb1EEEEDaSP_SQ_EUlSP_E_NS1_11comp_targetILNS1_3genE0ELNS1_11target_archE4294967295ELNS1_3gpuE0ELNS1_3repE0EEENS1_30default_config_static_selectorELNS0_4arch9wavefront6targetE1EEEvT1_ ; -- Begin function _ZN7rocprim17ROCPRIM_400000_NS6detail17trampoline_kernelINS0_14default_configENS1_20scan_config_selectorIsEEZZNS1_9scan_implILNS1_25lookback_scan_determinismE0ELb0ELb0ES3_N6thrust23THRUST_200600_302600_NS6detail15normal_iteratorINS9_10device_ptrIsEEEESE_s9plus_mod3IsEsEEDaPvRmT3_T4_T5_mT6_P12ihipStream_tbENKUlT_T0_E_clISt17integral_constantIbLb0EEST_IbLb1EEEEDaSP_SQ_EUlSP_E_NS1_11comp_targetILNS1_3genE0ELNS1_11target_archE4294967295ELNS1_3gpuE0ELNS1_3repE0EEENS1_30default_config_static_selectorELNS0_4arch9wavefront6targetE1EEEvT1_
	.globl	_ZN7rocprim17ROCPRIM_400000_NS6detail17trampoline_kernelINS0_14default_configENS1_20scan_config_selectorIsEEZZNS1_9scan_implILNS1_25lookback_scan_determinismE0ELb0ELb0ES3_N6thrust23THRUST_200600_302600_NS6detail15normal_iteratorINS9_10device_ptrIsEEEESE_s9plus_mod3IsEsEEDaPvRmT3_T4_T5_mT6_P12ihipStream_tbENKUlT_T0_E_clISt17integral_constantIbLb0EEST_IbLb1EEEEDaSP_SQ_EUlSP_E_NS1_11comp_targetILNS1_3genE0ELNS1_11target_archE4294967295ELNS1_3gpuE0ELNS1_3repE0EEENS1_30default_config_static_selectorELNS0_4arch9wavefront6targetE1EEEvT1_
	.p2align	8
	.type	_ZN7rocprim17ROCPRIM_400000_NS6detail17trampoline_kernelINS0_14default_configENS1_20scan_config_selectorIsEEZZNS1_9scan_implILNS1_25lookback_scan_determinismE0ELb0ELb0ES3_N6thrust23THRUST_200600_302600_NS6detail15normal_iteratorINS9_10device_ptrIsEEEESE_s9plus_mod3IsEsEEDaPvRmT3_T4_T5_mT6_P12ihipStream_tbENKUlT_T0_E_clISt17integral_constantIbLb0EEST_IbLb1EEEEDaSP_SQ_EUlSP_E_NS1_11comp_targetILNS1_3genE0ELNS1_11target_archE4294967295ELNS1_3gpuE0ELNS1_3repE0EEENS1_30default_config_static_selectorELNS0_4arch9wavefront6targetE1EEEvT1_,@function
_ZN7rocprim17ROCPRIM_400000_NS6detail17trampoline_kernelINS0_14default_configENS1_20scan_config_selectorIsEEZZNS1_9scan_implILNS1_25lookback_scan_determinismE0ELb0ELb0ES3_N6thrust23THRUST_200600_302600_NS6detail15normal_iteratorINS9_10device_ptrIsEEEESE_s9plus_mod3IsEsEEDaPvRmT3_T4_T5_mT6_P12ihipStream_tbENKUlT_T0_E_clISt17integral_constantIbLb0EEST_IbLb1EEEEDaSP_SQ_EUlSP_E_NS1_11comp_targetILNS1_3genE0ELNS1_11target_archE4294967295ELNS1_3gpuE0ELNS1_3repE0EEENS1_30default_config_static_selectorELNS0_4arch9wavefront6targetE1EEEvT1_: ; @_ZN7rocprim17ROCPRIM_400000_NS6detail17trampoline_kernelINS0_14default_configENS1_20scan_config_selectorIsEEZZNS1_9scan_implILNS1_25lookback_scan_determinismE0ELb0ELb0ES3_N6thrust23THRUST_200600_302600_NS6detail15normal_iteratorINS9_10device_ptrIsEEEESE_s9plus_mod3IsEsEEDaPvRmT3_T4_T5_mT6_P12ihipStream_tbENKUlT_T0_E_clISt17integral_constantIbLb0EEST_IbLb1EEEEDaSP_SQ_EUlSP_E_NS1_11comp_targetILNS1_3genE0ELNS1_11target_archE4294967295ELNS1_3gpuE0ELNS1_3repE0EEENS1_30default_config_static_selectorELNS0_4arch9wavefront6targetE1EEEvT1_
; %bb.0:
	.section	.rodata,"a",@progbits
	.p2align	6, 0x0
	.amdhsa_kernel _ZN7rocprim17ROCPRIM_400000_NS6detail17trampoline_kernelINS0_14default_configENS1_20scan_config_selectorIsEEZZNS1_9scan_implILNS1_25lookback_scan_determinismE0ELb0ELb0ES3_N6thrust23THRUST_200600_302600_NS6detail15normal_iteratorINS9_10device_ptrIsEEEESE_s9plus_mod3IsEsEEDaPvRmT3_T4_T5_mT6_P12ihipStream_tbENKUlT_T0_E_clISt17integral_constantIbLb0EEST_IbLb1EEEEDaSP_SQ_EUlSP_E_NS1_11comp_targetILNS1_3genE0ELNS1_11target_archE4294967295ELNS1_3gpuE0ELNS1_3repE0EEENS1_30default_config_static_selectorELNS0_4arch9wavefront6targetE1EEEvT1_
		.amdhsa_group_segment_fixed_size 0
		.amdhsa_private_segment_fixed_size 0
		.amdhsa_kernarg_size 104
		.amdhsa_user_sgpr_count 6
		.amdhsa_user_sgpr_private_segment_buffer 1
		.amdhsa_user_sgpr_dispatch_ptr 0
		.amdhsa_user_sgpr_queue_ptr 0
		.amdhsa_user_sgpr_kernarg_segment_ptr 1
		.amdhsa_user_sgpr_dispatch_id 0
		.amdhsa_user_sgpr_flat_scratch_init 0
		.amdhsa_user_sgpr_kernarg_preload_length 0
		.amdhsa_user_sgpr_kernarg_preload_offset 0
		.amdhsa_user_sgpr_private_segment_size 0
		.amdhsa_uses_dynamic_stack 0
		.amdhsa_system_sgpr_private_segment_wavefront_offset 0
		.amdhsa_system_sgpr_workgroup_id_x 1
		.amdhsa_system_sgpr_workgroup_id_y 0
		.amdhsa_system_sgpr_workgroup_id_z 0
		.amdhsa_system_sgpr_workgroup_info 0
		.amdhsa_system_vgpr_workitem_id 0
		.amdhsa_next_free_vgpr 1
		.amdhsa_next_free_sgpr 0
		.amdhsa_accum_offset 4
		.amdhsa_reserve_vcc 0
		.amdhsa_reserve_flat_scratch 0
		.amdhsa_float_round_mode_32 0
		.amdhsa_float_round_mode_16_64 0
		.amdhsa_float_denorm_mode_32 3
		.amdhsa_float_denorm_mode_16_64 3
		.amdhsa_dx10_clamp 1
		.amdhsa_ieee_mode 1
		.amdhsa_fp16_overflow 0
		.amdhsa_tg_split 0
		.amdhsa_exception_fp_ieee_invalid_op 0
		.amdhsa_exception_fp_denorm_src 0
		.amdhsa_exception_fp_ieee_div_zero 0
		.amdhsa_exception_fp_ieee_overflow 0
		.amdhsa_exception_fp_ieee_underflow 0
		.amdhsa_exception_fp_ieee_inexact 0
		.amdhsa_exception_int_div_zero 0
	.end_amdhsa_kernel
	.section	.text._ZN7rocprim17ROCPRIM_400000_NS6detail17trampoline_kernelINS0_14default_configENS1_20scan_config_selectorIsEEZZNS1_9scan_implILNS1_25lookback_scan_determinismE0ELb0ELb0ES3_N6thrust23THRUST_200600_302600_NS6detail15normal_iteratorINS9_10device_ptrIsEEEESE_s9plus_mod3IsEsEEDaPvRmT3_T4_T5_mT6_P12ihipStream_tbENKUlT_T0_E_clISt17integral_constantIbLb0EEST_IbLb1EEEEDaSP_SQ_EUlSP_E_NS1_11comp_targetILNS1_3genE0ELNS1_11target_archE4294967295ELNS1_3gpuE0ELNS1_3repE0EEENS1_30default_config_static_selectorELNS0_4arch9wavefront6targetE1EEEvT1_,"axG",@progbits,_ZN7rocprim17ROCPRIM_400000_NS6detail17trampoline_kernelINS0_14default_configENS1_20scan_config_selectorIsEEZZNS1_9scan_implILNS1_25lookback_scan_determinismE0ELb0ELb0ES3_N6thrust23THRUST_200600_302600_NS6detail15normal_iteratorINS9_10device_ptrIsEEEESE_s9plus_mod3IsEsEEDaPvRmT3_T4_T5_mT6_P12ihipStream_tbENKUlT_T0_E_clISt17integral_constantIbLb0EEST_IbLb1EEEEDaSP_SQ_EUlSP_E_NS1_11comp_targetILNS1_3genE0ELNS1_11target_archE4294967295ELNS1_3gpuE0ELNS1_3repE0EEENS1_30default_config_static_selectorELNS0_4arch9wavefront6targetE1EEEvT1_,comdat
.Lfunc_end6732:
	.size	_ZN7rocprim17ROCPRIM_400000_NS6detail17trampoline_kernelINS0_14default_configENS1_20scan_config_selectorIsEEZZNS1_9scan_implILNS1_25lookback_scan_determinismE0ELb0ELb0ES3_N6thrust23THRUST_200600_302600_NS6detail15normal_iteratorINS9_10device_ptrIsEEEESE_s9plus_mod3IsEsEEDaPvRmT3_T4_T5_mT6_P12ihipStream_tbENKUlT_T0_E_clISt17integral_constantIbLb0EEST_IbLb1EEEEDaSP_SQ_EUlSP_E_NS1_11comp_targetILNS1_3genE0ELNS1_11target_archE4294967295ELNS1_3gpuE0ELNS1_3repE0EEENS1_30default_config_static_selectorELNS0_4arch9wavefront6targetE1EEEvT1_, .Lfunc_end6732-_ZN7rocprim17ROCPRIM_400000_NS6detail17trampoline_kernelINS0_14default_configENS1_20scan_config_selectorIsEEZZNS1_9scan_implILNS1_25lookback_scan_determinismE0ELb0ELb0ES3_N6thrust23THRUST_200600_302600_NS6detail15normal_iteratorINS9_10device_ptrIsEEEESE_s9plus_mod3IsEsEEDaPvRmT3_T4_T5_mT6_P12ihipStream_tbENKUlT_T0_E_clISt17integral_constantIbLb0EEST_IbLb1EEEEDaSP_SQ_EUlSP_E_NS1_11comp_targetILNS1_3genE0ELNS1_11target_archE4294967295ELNS1_3gpuE0ELNS1_3repE0EEENS1_30default_config_static_selectorELNS0_4arch9wavefront6targetE1EEEvT1_
                                        ; -- End function
	.section	.AMDGPU.csdata,"",@progbits
; Kernel info:
; codeLenInByte = 0
; NumSgprs: 4
; NumVgprs: 0
; NumAgprs: 0
; TotalNumVgprs: 0
; ScratchSize: 0
; MemoryBound: 0
; FloatMode: 240
; IeeeMode: 1
; LDSByteSize: 0 bytes/workgroup (compile time only)
; SGPRBlocks: 0
; VGPRBlocks: 0
; NumSGPRsForWavesPerEU: 4
; NumVGPRsForWavesPerEU: 1
; AccumOffset: 4
; Occupancy: 8
; WaveLimiterHint : 0
; COMPUTE_PGM_RSRC2:SCRATCH_EN: 0
; COMPUTE_PGM_RSRC2:USER_SGPR: 6
; COMPUTE_PGM_RSRC2:TRAP_HANDLER: 0
; COMPUTE_PGM_RSRC2:TGID_X_EN: 1
; COMPUTE_PGM_RSRC2:TGID_Y_EN: 0
; COMPUTE_PGM_RSRC2:TGID_Z_EN: 0
; COMPUTE_PGM_RSRC2:TIDIG_COMP_CNT: 0
; COMPUTE_PGM_RSRC3_GFX90A:ACCUM_OFFSET: 0
; COMPUTE_PGM_RSRC3_GFX90A:TG_SPLIT: 0
	.section	.text._ZN7rocprim17ROCPRIM_400000_NS6detail17trampoline_kernelINS0_14default_configENS1_20scan_config_selectorIsEEZZNS1_9scan_implILNS1_25lookback_scan_determinismE0ELb0ELb0ES3_N6thrust23THRUST_200600_302600_NS6detail15normal_iteratorINS9_10device_ptrIsEEEESE_s9plus_mod3IsEsEEDaPvRmT3_T4_T5_mT6_P12ihipStream_tbENKUlT_T0_E_clISt17integral_constantIbLb0EEST_IbLb1EEEEDaSP_SQ_EUlSP_E_NS1_11comp_targetILNS1_3genE5ELNS1_11target_archE942ELNS1_3gpuE9ELNS1_3repE0EEENS1_30default_config_static_selectorELNS0_4arch9wavefront6targetE1EEEvT1_,"axG",@progbits,_ZN7rocprim17ROCPRIM_400000_NS6detail17trampoline_kernelINS0_14default_configENS1_20scan_config_selectorIsEEZZNS1_9scan_implILNS1_25lookback_scan_determinismE0ELb0ELb0ES3_N6thrust23THRUST_200600_302600_NS6detail15normal_iteratorINS9_10device_ptrIsEEEESE_s9plus_mod3IsEsEEDaPvRmT3_T4_T5_mT6_P12ihipStream_tbENKUlT_T0_E_clISt17integral_constantIbLb0EEST_IbLb1EEEEDaSP_SQ_EUlSP_E_NS1_11comp_targetILNS1_3genE5ELNS1_11target_archE942ELNS1_3gpuE9ELNS1_3repE0EEENS1_30default_config_static_selectorELNS0_4arch9wavefront6targetE1EEEvT1_,comdat
	.protected	_ZN7rocprim17ROCPRIM_400000_NS6detail17trampoline_kernelINS0_14default_configENS1_20scan_config_selectorIsEEZZNS1_9scan_implILNS1_25lookback_scan_determinismE0ELb0ELb0ES3_N6thrust23THRUST_200600_302600_NS6detail15normal_iteratorINS9_10device_ptrIsEEEESE_s9plus_mod3IsEsEEDaPvRmT3_T4_T5_mT6_P12ihipStream_tbENKUlT_T0_E_clISt17integral_constantIbLb0EEST_IbLb1EEEEDaSP_SQ_EUlSP_E_NS1_11comp_targetILNS1_3genE5ELNS1_11target_archE942ELNS1_3gpuE9ELNS1_3repE0EEENS1_30default_config_static_selectorELNS0_4arch9wavefront6targetE1EEEvT1_ ; -- Begin function _ZN7rocprim17ROCPRIM_400000_NS6detail17trampoline_kernelINS0_14default_configENS1_20scan_config_selectorIsEEZZNS1_9scan_implILNS1_25lookback_scan_determinismE0ELb0ELb0ES3_N6thrust23THRUST_200600_302600_NS6detail15normal_iteratorINS9_10device_ptrIsEEEESE_s9plus_mod3IsEsEEDaPvRmT3_T4_T5_mT6_P12ihipStream_tbENKUlT_T0_E_clISt17integral_constantIbLb0EEST_IbLb1EEEEDaSP_SQ_EUlSP_E_NS1_11comp_targetILNS1_3genE5ELNS1_11target_archE942ELNS1_3gpuE9ELNS1_3repE0EEENS1_30default_config_static_selectorELNS0_4arch9wavefront6targetE1EEEvT1_
	.globl	_ZN7rocprim17ROCPRIM_400000_NS6detail17trampoline_kernelINS0_14default_configENS1_20scan_config_selectorIsEEZZNS1_9scan_implILNS1_25lookback_scan_determinismE0ELb0ELb0ES3_N6thrust23THRUST_200600_302600_NS6detail15normal_iteratorINS9_10device_ptrIsEEEESE_s9plus_mod3IsEsEEDaPvRmT3_T4_T5_mT6_P12ihipStream_tbENKUlT_T0_E_clISt17integral_constantIbLb0EEST_IbLb1EEEEDaSP_SQ_EUlSP_E_NS1_11comp_targetILNS1_3genE5ELNS1_11target_archE942ELNS1_3gpuE9ELNS1_3repE0EEENS1_30default_config_static_selectorELNS0_4arch9wavefront6targetE1EEEvT1_
	.p2align	8
	.type	_ZN7rocprim17ROCPRIM_400000_NS6detail17trampoline_kernelINS0_14default_configENS1_20scan_config_selectorIsEEZZNS1_9scan_implILNS1_25lookback_scan_determinismE0ELb0ELb0ES3_N6thrust23THRUST_200600_302600_NS6detail15normal_iteratorINS9_10device_ptrIsEEEESE_s9plus_mod3IsEsEEDaPvRmT3_T4_T5_mT6_P12ihipStream_tbENKUlT_T0_E_clISt17integral_constantIbLb0EEST_IbLb1EEEEDaSP_SQ_EUlSP_E_NS1_11comp_targetILNS1_3genE5ELNS1_11target_archE942ELNS1_3gpuE9ELNS1_3repE0EEENS1_30default_config_static_selectorELNS0_4arch9wavefront6targetE1EEEvT1_,@function
_ZN7rocprim17ROCPRIM_400000_NS6detail17trampoline_kernelINS0_14default_configENS1_20scan_config_selectorIsEEZZNS1_9scan_implILNS1_25lookback_scan_determinismE0ELb0ELb0ES3_N6thrust23THRUST_200600_302600_NS6detail15normal_iteratorINS9_10device_ptrIsEEEESE_s9plus_mod3IsEsEEDaPvRmT3_T4_T5_mT6_P12ihipStream_tbENKUlT_T0_E_clISt17integral_constantIbLb0EEST_IbLb1EEEEDaSP_SQ_EUlSP_E_NS1_11comp_targetILNS1_3genE5ELNS1_11target_archE942ELNS1_3gpuE9ELNS1_3repE0EEENS1_30default_config_static_selectorELNS0_4arch9wavefront6targetE1EEEvT1_: ; @_ZN7rocprim17ROCPRIM_400000_NS6detail17trampoline_kernelINS0_14default_configENS1_20scan_config_selectorIsEEZZNS1_9scan_implILNS1_25lookback_scan_determinismE0ELb0ELb0ES3_N6thrust23THRUST_200600_302600_NS6detail15normal_iteratorINS9_10device_ptrIsEEEESE_s9plus_mod3IsEsEEDaPvRmT3_T4_T5_mT6_P12ihipStream_tbENKUlT_T0_E_clISt17integral_constantIbLb0EEST_IbLb1EEEEDaSP_SQ_EUlSP_E_NS1_11comp_targetILNS1_3genE5ELNS1_11target_archE942ELNS1_3gpuE9ELNS1_3repE0EEENS1_30default_config_static_selectorELNS0_4arch9wavefront6targetE1EEEvT1_
; %bb.0:
	.section	.rodata,"a",@progbits
	.p2align	6, 0x0
	.amdhsa_kernel _ZN7rocprim17ROCPRIM_400000_NS6detail17trampoline_kernelINS0_14default_configENS1_20scan_config_selectorIsEEZZNS1_9scan_implILNS1_25lookback_scan_determinismE0ELb0ELb0ES3_N6thrust23THRUST_200600_302600_NS6detail15normal_iteratorINS9_10device_ptrIsEEEESE_s9plus_mod3IsEsEEDaPvRmT3_T4_T5_mT6_P12ihipStream_tbENKUlT_T0_E_clISt17integral_constantIbLb0EEST_IbLb1EEEEDaSP_SQ_EUlSP_E_NS1_11comp_targetILNS1_3genE5ELNS1_11target_archE942ELNS1_3gpuE9ELNS1_3repE0EEENS1_30default_config_static_selectorELNS0_4arch9wavefront6targetE1EEEvT1_
		.amdhsa_group_segment_fixed_size 0
		.amdhsa_private_segment_fixed_size 0
		.amdhsa_kernarg_size 104
		.amdhsa_user_sgpr_count 6
		.amdhsa_user_sgpr_private_segment_buffer 1
		.amdhsa_user_sgpr_dispatch_ptr 0
		.amdhsa_user_sgpr_queue_ptr 0
		.amdhsa_user_sgpr_kernarg_segment_ptr 1
		.amdhsa_user_sgpr_dispatch_id 0
		.amdhsa_user_sgpr_flat_scratch_init 0
		.amdhsa_user_sgpr_kernarg_preload_length 0
		.amdhsa_user_sgpr_kernarg_preload_offset 0
		.amdhsa_user_sgpr_private_segment_size 0
		.amdhsa_uses_dynamic_stack 0
		.amdhsa_system_sgpr_private_segment_wavefront_offset 0
		.amdhsa_system_sgpr_workgroup_id_x 1
		.amdhsa_system_sgpr_workgroup_id_y 0
		.amdhsa_system_sgpr_workgroup_id_z 0
		.amdhsa_system_sgpr_workgroup_info 0
		.amdhsa_system_vgpr_workitem_id 0
		.amdhsa_next_free_vgpr 1
		.amdhsa_next_free_sgpr 0
		.amdhsa_accum_offset 4
		.amdhsa_reserve_vcc 0
		.amdhsa_reserve_flat_scratch 0
		.amdhsa_float_round_mode_32 0
		.amdhsa_float_round_mode_16_64 0
		.amdhsa_float_denorm_mode_32 3
		.amdhsa_float_denorm_mode_16_64 3
		.amdhsa_dx10_clamp 1
		.amdhsa_ieee_mode 1
		.amdhsa_fp16_overflow 0
		.amdhsa_tg_split 0
		.amdhsa_exception_fp_ieee_invalid_op 0
		.amdhsa_exception_fp_denorm_src 0
		.amdhsa_exception_fp_ieee_div_zero 0
		.amdhsa_exception_fp_ieee_overflow 0
		.amdhsa_exception_fp_ieee_underflow 0
		.amdhsa_exception_fp_ieee_inexact 0
		.amdhsa_exception_int_div_zero 0
	.end_amdhsa_kernel
	.section	.text._ZN7rocprim17ROCPRIM_400000_NS6detail17trampoline_kernelINS0_14default_configENS1_20scan_config_selectorIsEEZZNS1_9scan_implILNS1_25lookback_scan_determinismE0ELb0ELb0ES3_N6thrust23THRUST_200600_302600_NS6detail15normal_iteratorINS9_10device_ptrIsEEEESE_s9plus_mod3IsEsEEDaPvRmT3_T4_T5_mT6_P12ihipStream_tbENKUlT_T0_E_clISt17integral_constantIbLb0EEST_IbLb1EEEEDaSP_SQ_EUlSP_E_NS1_11comp_targetILNS1_3genE5ELNS1_11target_archE942ELNS1_3gpuE9ELNS1_3repE0EEENS1_30default_config_static_selectorELNS0_4arch9wavefront6targetE1EEEvT1_,"axG",@progbits,_ZN7rocprim17ROCPRIM_400000_NS6detail17trampoline_kernelINS0_14default_configENS1_20scan_config_selectorIsEEZZNS1_9scan_implILNS1_25lookback_scan_determinismE0ELb0ELb0ES3_N6thrust23THRUST_200600_302600_NS6detail15normal_iteratorINS9_10device_ptrIsEEEESE_s9plus_mod3IsEsEEDaPvRmT3_T4_T5_mT6_P12ihipStream_tbENKUlT_T0_E_clISt17integral_constantIbLb0EEST_IbLb1EEEEDaSP_SQ_EUlSP_E_NS1_11comp_targetILNS1_3genE5ELNS1_11target_archE942ELNS1_3gpuE9ELNS1_3repE0EEENS1_30default_config_static_selectorELNS0_4arch9wavefront6targetE1EEEvT1_,comdat
.Lfunc_end6733:
	.size	_ZN7rocprim17ROCPRIM_400000_NS6detail17trampoline_kernelINS0_14default_configENS1_20scan_config_selectorIsEEZZNS1_9scan_implILNS1_25lookback_scan_determinismE0ELb0ELb0ES3_N6thrust23THRUST_200600_302600_NS6detail15normal_iteratorINS9_10device_ptrIsEEEESE_s9plus_mod3IsEsEEDaPvRmT3_T4_T5_mT6_P12ihipStream_tbENKUlT_T0_E_clISt17integral_constantIbLb0EEST_IbLb1EEEEDaSP_SQ_EUlSP_E_NS1_11comp_targetILNS1_3genE5ELNS1_11target_archE942ELNS1_3gpuE9ELNS1_3repE0EEENS1_30default_config_static_selectorELNS0_4arch9wavefront6targetE1EEEvT1_, .Lfunc_end6733-_ZN7rocprim17ROCPRIM_400000_NS6detail17trampoline_kernelINS0_14default_configENS1_20scan_config_selectorIsEEZZNS1_9scan_implILNS1_25lookback_scan_determinismE0ELb0ELb0ES3_N6thrust23THRUST_200600_302600_NS6detail15normal_iteratorINS9_10device_ptrIsEEEESE_s9plus_mod3IsEsEEDaPvRmT3_T4_T5_mT6_P12ihipStream_tbENKUlT_T0_E_clISt17integral_constantIbLb0EEST_IbLb1EEEEDaSP_SQ_EUlSP_E_NS1_11comp_targetILNS1_3genE5ELNS1_11target_archE942ELNS1_3gpuE9ELNS1_3repE0EEENS1_30default_config_static_selectorELNS0_4arch9wavefront6targetE1EEEvT1_
                                        ; -- End function
	.section	.AMDGPU.csdata,"",@progbits
; Kernel info:
; codeLenInByte = 0
; NumSgprs: 4
; NumVgprs: 0
; NumAgprs: 0
; TotalNumVgprs: 0
; ScratchSize: 0
; MemoryBound: 0
; FloatMode: 240
; IeeeMode: 1
; LDSByteSize: 0 bytes/workgroup (compile time only)
; SGPRBlocks: 0
; VGPRBlocks: 0
; NumSGPRsForWavesPerEU: 4
; NumVGPRsForWavesPerEU: 1
; AccumOffset: 4
; Occupancy: 8
; WaveLimiterHint : 0
; COMPUTE_PGM_RSRC2:SCRATCH_EN: 0
; COMPUTE_PGM_RSRC2:USER_SGPR: 6
; COMPUTE_PGM_RSRC2:TRAP_HANDLER: 0
; COMPUTE_PGM_RSRC2:TGID_X_EN: 1
; COMPUTE_PGM_RSRC2:TGID_Y_EN: 0
; COMPUTE_PGM_RSRC2:TGID_Z_EN: 0
; COMPUTE_PGM_RSRC2:TIDIG_COMP_CNT: 0
; COMPUTE_PGM_RSRC3_GFX90A:ACCUM_OFFSET: 0
; COMPUTE_PGM_RSRC3_GFX90A:TG_SPLIT: 0
	.section	.text._ZN7rocprim17ROCPRIM_400000_NS6detail17trampoline_kernelINS0_14default_configENS1_20scan_config_selectorIsEEZZNS1_9scan_implILNS1_25lookback_scan_determinismE0ELb0ELb0ES3_N6thrust23THRUST_200600_302600_NS6detail15normal_iteratorINS9_10device_ptrIsEEEESE_s9plus_mod3IsEsEEDaPvRmT3_T4_T5_mT6_P12ihipStream_tbENKUlT_T0_E_clISt17integral_constantIbLb0EEST_IbLb1EEEEDaSP_SQ_EUlSP_E_NS1_11comp_targetILNS1_3genE4ELNS1_11target_archE910ELNS1_3gpuE8ELNS1_3repE0EEENS1_30default_config_static_selectorELNS0_4arch9wavefront6targetE1EEEvT1_,"axG",@progbits,_ZN7rocprim17ROCPRIM_400000_NS6detail17trampoline_kernelINS0_14default_configENS1_20scan_config_selectorIsEEZZNS1_9scan_implILNS1_25lookback_scan_determinismE0ELb0ELb0ES3_N6thrust23THRUST_200600_302600_NS6detail15normal_iteratorINS9_10device_ptrIsEEEESE_s9plus_mod3IsEsEEDaPvRmT3_T4_T5_mT6_P12ihipStream_tbENKUlT_T0_E_clISt17integral_constantIbLb0EEST_IbLb1EEEEDaSP_SQ_EUlSP_E_NS1_11comp_targetILNS1_3genE4ELNS1_11target_archE910ELNS1_3gpuE8ELNS1_3repE0EEENS1_30default_config_static_selectorELNS0_4arch9wavefront6targetE1EEEvT1_,comdat
	.protected	_ZN7rocprim17ROCPRIM_400000_NS6detail17trampoline_kernelINS0_14default_configENS1_20scan_config_selectorIsEEZZNS1_9scan_implILNS1_25lookback_scan_determinismE0ELb0ELb0ES3_N6thrust23THRUST_200600_302600_NS6detail15normal_iteratorINS9_10device_ptrIsEEEESE_s9plus_mod3IsEsEEDaPvRmT3_T4_T5_mT6_P12ihipStream_tbENKUlT_T0_E_clISt17integral_constantIbLb0EEST_IbLb1EEEEDaSP_SQ_EUlSP_E_NS1_11comp_targetILNS1_3genE4ELNS1_11target_archE910ELNS1_3gpuE8ELNS1_3repE0EEENS1_30default_config_static_selectorELNS0_4arch9wavefront6targetE1EEEvT1_ ; -- Begin function _ZN7rocprim17ROCPRIM_400000_NS6detail17trampoline_kernelINS0_14default_configENS1_20scan_config_selectorIsEEZZNS1_9scan_implILNS1_25lookback_scan_determinismE0ELb0ELb0ES3_N6thrust23THRUST_200600_302600_NS6detail15normal_iteratorINS9_10device_ptrIsEEEESE_s9plus_mod3IsEsEEDaPvRmT3_T4_T5_mT6_P12ihipStream_tbENKUlT_T0_E_clISt17integral_constantIbLb0EEST_IbLb1EEEEDaSP_SQ_EUlSP_E_NS1_11comp_targetILNS1_3genE4ELNS1_11target_archE910ELNS1_3gpuE8ELNS1_3repE0EEENS1_30default_config_static_selectorELNS0_4arch9wavefront6targetE1EEEvT1_
	.globl	_ZN7rocprim17ROCPRIM_400000_NS6detail17trampoline_kernelINS0_14default_configENS1_20scan_config_selectorIsEEZZNS1_9scan_implILNS1_25lookback_scan_determinismE0ELb0ELb0ES3_N6thrust23THRUST_200600_302600_NS6detail15normal_iteratorINS9_10device_ptrIsEEEESE_s9plus_mod3IsEsEEDaPvRmT3_T4_T5_mT6_P12ihipStream_tbENKUlT_T0_E_clISt17integral_constantIbLb0EEST_IbLb1EEEEDaSP_SQ_EUlSP_E_NS1_11comp_targetILNS1_3genE4ELNS1_11target_archE910ELNS1_3gpuE8ELNS1_3repE0EEENS1_30default_config_static_selectorELNS0_4arch9wavefront6targetE1EEEvT1_
	.p2align	8
	.type	_ZN7rocprim17ROCPRIM_400000_NS6detail17trampoline_kernelINS0_14default_configENS1_20scan_config_selectorIsEEZZNS1_9scan_implILNS1_25lookback_scan_determinismE0ELb0ELb0ES3_N6thrust23THRUST_200600_302600_NS6detail15normal_iteratorINS9_10device_ptrIsEEEESE_s9plus_mod3IsEsEEDaPvRmT3_T4_T5_mT6_P12ihipStream_tbENKUlT_T0_E_clISt17integral_constantIbLb0EEST_IbLb1EEEEDaSP_SQ_EUlSP_E_NS1_11comp_targetILNS1_3genE4ELNS1_11target_archE910ELNS1_3gpuE8ELNS1_3repE0EEENS1_30default_config_static_selectorELNS0_4arch9wavefront6targetE1EEEvT1_,@function
_ZN7rocprim17ROCPRIM_400000_NS6detail17trampoline_kernelINS0_14default_configENS1_20scan_config_selectorIsEEZZNS1_9scan_implILNS1_25lookback_scan_determinismE0ELb0ELb0ES3_N6thrust23THRUST_200600_302600_NS6detail15normal_iteratorINS9_10device_ptrIsEEEESE_s9plus_mod3IsEsEEDaPvRmT3_T4_T5_mT6_P12ihipStream_tbENKUlT_T0_E_clISt17integral_constantIbLb0EEST_IbLb1EEEEDaSP_SQ_EUlSP_E_NS1_11comp_targetILNS1_3genE4ELNS1_11target_archE910ELNS1_3gpuE8ELNS1_3repE0EEENS1_30default_config_static_selectorELNS0_4arch9wavefront6targetE1EEEvT1_: ; @_ZN7rocprim17ROCPRIM_400000_NS6detail17trampoline_kernelINS0_14default_configENS1_20scan_config_selectorIsEEZZNS1_9scan_implILNS1_25lookback_scan_determinismE0ELb0ELb0ES3_N6thrust23THRUST_200600_302600_NS6detail15normal_iteratorINS9_10device_ptrIsEEEESE_s9plus_mod3IsEsEEDaPvRmT3_T4_T5_mT6_P12ihipStream_tbENKUlT_T0_E_clISt17integral_constantIbLb0EEST_IbLb1EEEEDaSP_SQ_EUlSP_E_NS1_11comp_targetILNS1_3genE4ELNS1_11target_archE910ELNS1_3gpuE8ELNS1_3repE0EEENS1_30default_config_static_selectorELNS0_4arch9wavefront6targetE1EEEvT1_
; %bb.0:
	v_cmp_ne_u32_e64 s[0:1], 0, v0
	v_cmp_eq_u32_e64 s[2:3], 0, v0
	s_and_saveexec_b64 s[6:7], s[2:3]
	s_cbranch_execz .LBB6734_4
; %bb.1:
	s_mov_b64 s[10:11], exec
	v_mbcnt_lo_u32_b32 v1, s10, 0
	v_mbcnt_hi_u32_b32 v1, s11, v1
	v_cmp_eq_u32_e32 vcc, 0, v1
                                        ; implicit-def: $vgpr2
	s_and_saveexec_b64 s[8:9], vcc
	s_cbranch_execz .LBB6734_3
; %bb.2:
	s_load_dwordx2 s[12:13], s[4:5], 0x60
	s_bcnt1_i32_b64 s10, s[10:11]
	v_mov_b32_e32 v2, 0
	v_mov_b32_e32 v3, s10
	s_waitcnt lgkmcnt(0)
	global_atomic_add v2, v2, v3, s[12:13] glc
.LBB6734_3:
	s_or_b64 exec, exec, s[8:9]
	s_waitcnt vmcnt(0)
	v_readfirstlane_b32 s8, v2
	v_add_u32_e32 v1, s8, v1
	v_mov_b32_e32 v2, 0
	ds_write_b32 v2, v1
.LBB6734_4:
	s_or_b64 exec, exec, s[6:7]
	s_load_dwordx8 s[16:23], s[4:5], 0x0
	s_load_dwordx4 s[24:27], s[4:5], 0x28
	s_load_dword s28, s[4:5], 0x38
	s_load_dwordx8 s[8:15], s[4:5], 0x40
	v_mov_b32_e32 v1, 0
	s_waitcnt lgkmcnt(0)
	; wave barrier
	s_waitcnt lgkmcnt(0)
	ds_read_b32 v1, v1
	s_lshl_b64 s[6:7], s[18:19], 1
	s_add_u32 s29, s16, s6
	s_addc_u32 s30, s17, s7
	s_add_i32 s16, s28, -1
	s_mul_i32 s17, s16, 0x600
	s_sub_u32 s33, s22, s17
	s_waitcnt lgkmcnt(0)
	v_readfirstlane_b32 s41, v1
	s_subb_u32 s40, s23, 0
	s_mul_i32 s4, s41, 0x600
	s_mov_b32 s5, 0
	s_cmp_lg_u32 s41, s16
	s_cselect_b64 s[16:17], -1, 0
	s_lshl_b64 s[18:19], s[4:5], 1
	s_add_u32 s22, s29, s18
	s_addc_u32 s23, s30, s19
	s_mov_b64 s[4:5], -1
	s_and_b64 vcc, exec, s[16:17]
	v_lshlrev_b32_e32 v108, 1, v0
	s_waitcnt lgkmcnt(0)
	; wave barrier
	s_cbranch_vccz .LBB6734_6
; %bb.5:
	v_mov_b32_e32 v1, s23
	v_add_co_u32_e32 v2, vcc, s22, v108
	v_addc_co_u32_e32 v3, vcc, 0, v1, vcc
	flat_load_ushort v1, v[2:3]
	flat_load_ushort v4, v[2:3] offset:128
	flat_load_ushort v5, v[2:3] offset:256
	;; [unrolled: 1-line block ×23, first 2 shown]
	s_mov_b64 s[4:5], 0
	s_waitcnt vmcnt(0) lgkmcnt(0)
	ds_write_b16 v108, v1
	ds_write_b16 v108, v4 offset:128
	ds_write_b16 v108, v5 offset:256
	;; [unrolled: 1-line block ×23, first 2 shown]
	s_waitcnt lgkmcnt(0)
	; wave barrier
.LBB6734_6:
	s_andn2_b64 vcc, exec, s[4:5]
	v_cmp_gt_u32_e64 s[4:5], s33, v0
	s_cbranch_vccnz .LBB6734_56
; %bb.7:
	v_pk_mov_b32 v[2:3], s[22:23], s[22:23] op_sel:[0,1]
	flat_load_ushort v1, v[2:3]
	s_waitcnt vmcnt(0) lgkmcnt(0)
	v_mov_b32_e32 v2, v1
	s_and_saveexec_b64 s[28:29], s[4:5]
	s_cbranch_execz .LBB6734_9
; %bb.8:
	v_mov_b32_e32 v3, s23
	v_add_co_u32_e32 v2, vcc, s22, v108
	v_addc_co_u32_e32 v3, vcc, 0, v3, vcc
	flat_load_ushort v2, v[2:3]
.LBB6734_9:
	s_or_b64 exec, exec, s[28:29]
	v_or_b32_e32 v3, 64, v0
	v_cmp_gt_u32_e32 vcc, s33, v3
	v_mov_b32_e32 v3, v1
	s_and_saveexec_b64 s[4:5], vcc
	s_cbranch_execz .LBB6734_11
; %bb.10:
	v_mov_b32_e32 v3, s23
	v_add_co_u32_e32 v4, vcc, s22, v108
	v_addc_co_u32_e32 v5, vcc, 0, v3, vcc
	flat_load_ushort v3, v[4:5] offset:128
.LBB6734_11:
	s_or_b64 exec, exec, s[4:5]
	v_or_b32_e32 v4, 0x80, v0
	v_cmp_gt_u32_e32 vcc, s33, v4
	v_mov_b32_e32 v4, v1
	s_and_saveexec_b64 s[4:5], vcc
	s_cbranch_execz .LBB6734_13
; %bb.12:
	v_mov_b32_e32 v5, s23
	v_add_co_u32_e32 v4, vcc, s22, v108
	v_addc_co_u32_e32 v5, vcc, 0, v5, vcc
	flat_load_ushort v4, v[4:5] offset:256
.LBB6734_13:
	;; [unrolled: 12-line block ×22, first 2 shown]
	s_or_b64 exec, exec, s[4:5]
	v_or_b32_e32 v25, 0x5c0, v0
	v_cmp_gt_u32_e32 vcc, s33, v25
	s_and_saveexec_b64 s[4:5], vcc
	s_cbranch_execz .LBB6734_55
; %bb.54:
	v_mov_b32_e32 v1, s23
	v_add_co_u32_e32 v26, vcc, s22, v108
	v_addc_co_u32_e32 v27, vcc, 0, v1, vcc
	flat_load_ushort v1, v[26:27] offset:2944
.LBB6734_55:
	s_or_b64 exec, exec, s[4:5]
	s_waitcnt vmcnt(0) lgkmcnt(0)
	ds_write_b16 v108, v2
	ds_write_b16 v108, v3 offset:128
	ds_write_b16 v108, v4 offset:256
	;; [unrolled: 1-line block ×23, first 2 shown]
	s_waitcnt lgkmcnt(0)
	; wave barrier
.LBB6734_56:
	v_mul_u32_u24_e32 v109, 24, v0
	v_lshlrev_b32_e32 v1, 1, v109
	s_waitcnt lgkmcnt(0)
	ds_read_b128 v[2:5], v1
	ds_read_b128 v[6:9], v1 offset:16
	ds_read_b128 v[50:53], v1 offset:32
	s_cmp_lg_u32 s41, 0
	v_mbcnt_lo_u32_b32 v110, -1, 0
	s_waitcnt lgkmcnt(2)
	v_lshrrev_b32_e32 v10, 16, v2
	v_lshrrev_b32_e32 v11, 16, v3
	v_lshrrev_b32_e32 v12, 16, v4
	v_lshrrev_b32_e32 v13, 16, v5
	s_waitcnt lgkmcnt(1)
	v_lshrrev_b32_e32 v14, 16, v6
	v_lshrrev_b32_e32 v15, 16, v7
	v_lshrrev_b32_e32 v16, 16, v8
	v_lshrrev_b32_e32 v17, 16, v9
	;; [unrolled: 5-line block ×3, first 2 shown]
	v_bfe_i32 v48, v10, 0, 16
	v_bfe_i32 v46, v3, 0, 16
	;; [unrolled: 1-line block ×23, first 2 shown]
	s_waitcnt lgkmcnt(0)
	; wave barrier
	s_cbranch_scc0 .LBB6734_120
; %bb.57:
	v_bfe_i32 v62, v2, 0, 16
	v_ashrrev_i32_e32 v63, 31, v62
	v_lshlrev_b64 v[68:69], 1, v[62:63]
	v_ashrrev_i32_e32 v49, 31, v48
	v_mov_b32_e32 v3, s25
	v_add_co_u32_e32 v5, vcc, s24, v68
	v_addc_co_u32_e32 v3, vcc, v3, v69, vcc
	v_lshlrev_b64 v[50:51], 1, v[48:49]
	v_add_co_u32_e32 v52, vcc, v5, v50
	v_addc_co_u32_e32 v53, vcc, v3, v51, vcc
	global_load_ushort v3, v[52:53], off
	v_ashrrev_i32_e32 v47, 31, v46
	v_mov_b32_e32 v5, s25
	v_lshlrev_b64 v[52:53], 1, v[46:47]
	v_ashrrev_i32_e32 v45, 31, v44
	v_ashrrev_i32_e32 v43, 31, v42
	;; [unrolled: 1-line block ×20, first 2 shown]
	s_waitcnt vmcnt(0)
	v_bfe_i32 v54, v3, 0, 16
	v_ashrrev_i32_e32 v55, 31, v54
	v_lshlrev_b64 v[54:55], 1, v[54:55]
	v_add_co_u32_e32 v3, vcc, s24, v54
	v_addc_co_u32_e32 v5, vcc, v5, v55, vcc
	v_add_co_u32_e32 v54, vcc, v3, v52
	v_addc_co_u32_e32 v55, vcc, v5, v53, vcc
	global_load_ushort v3, v[54:55], off
	v_mov_b32_e32 v5, s25
	v_lshlrev_b64 v[54:55], 1, v[44:45]
	s_waitcnt vmcnt(0)
	v_bfe_i32 v56, v3, 0, 16
	v_ashrrev_i32_e32 v57, 31, v56
	v_lshlrev_b64 v[56:57], 1, v[56:57]
	v_add_co_u32_e32 v3, vcc, s24, v56
	v_addc_co_u32_e32 v5, vcc, v5, v57, vcc
	v_add_co_u32_e32 v56, vcc, v3, v54
	v_addc_co_u32_e32 v57, vcc, v5, v55, vcc
	global_load_ushort v3, v[56:57], off
	v_mov_b32_e32 v5, s25
	v_lshlrev_b64 v[56:57], 1, v[42:43]
	s_waitcnt vmcnt(0)
	v_bfe_i32 v58, v3, 0, 16
	v_ashrrev_i32_e32 v59, 31, v58
	v_lshlrev_b64 v[58:59], 1, v[58:59]
	v_add_co_u32_e32 v3, vcc, s24, v58
	v_addc_co_u32_e32 v5, vcc, v5, v59, vcc
	v_add_co_u32_e32 v58, vcc, v3, v56
	v_addc_co_u32_e32 v59, vcc, v5, v57, vcc
	global_load_ushort v3, v[58:59], off
	v_mov_b32_e32 v5, s25
	v_lshlrev_b64 v[58:59], 1, v[40:41]
	s_waitcnt vmcnt(0)
	v_bfe_i32 v60, v3, 0, 16
	v_ashrrev_i32_e32 v61, 31, v60
	v_lshlrev_b64 v[60:61], 1, v[60:61]
	v_add_co_u32_e32 v3, vcc, s24, v60
	v_addc_co_u32_e32 v5, vcc, v5, v61, vcc
	v_add_co_u32_e32 v60, vcc, v3, v58
	v_addc_co_u32_e32 v61, vcc, v5, v59, vcc
	global_load_ushort v3, v[60:61], off
	v_mov_b32_e32 v5, s25
	v_lshlrev_b64 v[60:61], 1, v[38:39]
	s_waitcnt vmcnt(0)
	v_bfe_i32 v64, v3, 0, 16
	v_ashrrev_i32_e32 v65, 31, v64
	v_lshlrev_b64 v[64:65], 1, v[64:65]
	v_add_co_u32_e32 v3, vcc, s24, v64
	v_addc_co_u32_e32 v5, vcc, v5, v65, vcc
	v_add_co_u32_e32 v64, vcc, v3, v60
	v_addc_co_u32_e32 v65, vcc, v5, v61, vcc
	global_load_ushort v3, v[64:65], off
	v_mov_b32_e32 v5, s25
	v_lshlrev_b64 v[64:65], 1, v[36:37]
	s_waitcnt vmcnt(0)
	v_bfe_i32 v66, v3, 0, 16
	v_ashrrev_i32_e32 v67, 31, v66
	v_lshlrev_b64 v[66:67], 1, v[66:67]
	v_add_co_u32_e32 v3, vcc, s24, v66
	v_addc_co_u32_e32 v5, vcc, v5, v67, vcc
	v_add_co_u32_e32 v66, vcc, v3, v64
	v_addc_co_u32_e32 v67, vcc, v5, v65, vcc
	global_load_ushort v3, v[66:67], off
	v_mov_b32_e32 v5, s25
	v_lshlrev_b64 v[66:67], 1, v[34:35]
	s_waitcnt vmcnt(0)
	v_bfe_i32 v70, v3, 0, 16
	v_ashrrev_i32_e32 v71, 31, v70
	v_lshlrev_b64 v[70:71], 1, v[70:71]
	v_add_co_u32_e32 v3, vcc, s24, v70
	v_addc_co_u32_e32 v5, vcc, v5, v71, vcc
	v_add_co_u32_e32 v70, vcc, v3, v66
	v_addc_co_u32_e32 v71, vcc, v5, v67, vcc
	global_load_ushort v3, v[70:71], off
	v_mov_b32_e32 v5, s25
	v_lshlrev_b64 v[70:71], 1, v[32:33]
	s_waitcnt vmcnt(0)
	v_bfe_i32 v72, v3, 0, 16
	v_ashrrev_i32_e32 v73, 31, v72
	v_lshlrev_b64 v[72:73], 1, v[72:73]
	v_add_co_u32_e32 v3, vcc, s24, v72
	v_addc_co_u32_e32 v5, vcc, v5, v73, vcc
	v_add_co_u32_e32 v72, vcc, v3, v70
	v_addc_co_u32_e32 v73, vcc, v5, v71, vcc
	global_load_ushort v3, v[72:73], off
	v_mov_b32_e32 v5, s25
	v_lshlrev_b64 v[72:73], 1, v[30:31]
	s_waitcnt vmcnt(0)
	v_bfe_i32 v74, v3, 0, 16
	v_ashrrev_i32_e32 v75, 31, v74
	v_lshlrev_b64 v[74:75], 1, v[74:75]
	v_add_co_u32_e32 v3, vcc, s24, v74
	v_addc_co_u32_e32 v5, vcc, v5, v75, vcc
	v_add_co_u32_e32 v74, vcc, v3, v72
	v_addc_co_u32_e32 v75, vcc, v5, v73, vcc
	global_load_ushort v3, v[74:75], off
	v_mov_b32_e32 v5, s25
	v_lshlrev_b64 v[74:75], 1, v[28:29]
	s_waitcnt vmcnt(0)
	v_bfe_i32 v76, v3, 0, 16
	v_ashrrev_i32_e32 v77, 31, v76
	v_lshlrev_b64 v[76:77], 1, v[76:77]
	v_add_co_u32_e32 v3, vcc, s24, v76
	v_addc_co_u32_e32 v5, vcc, v5, v77, vcc
	v_add_co_u32_e32 v76, vcc, v3, v74
	v_addc_co_u32_e32 v77, vcc, v5, v75, vcc
	global_load_ushort v3, v[76:77], off
	v_mov_b32_e32 v5, s25
	v_lshlrev_b64 v[76:77], 1, v[26:27]
	s_waitcnt vmcnt(0)
	v_bfe_i32 v78, v3, 0, 16
	v_ashrrev_i32_e32 v79, 31, v78
	v_lshlrev_b64 v[78:79], 1, v[78:79]
	v_add_co_u32_e32 v3, vcc, s24, v78
	v_addc_co_u32_e32 v5, vcc, v5, v79, vcc
	v_add_co_u32_e32 v78, vcc, v3, v76
	v_addc_co_u32_e32 v79, vcc, v5, v77, vcc
	global_load_ushort v3, v[78:79], off
	v_mov_b32_e32 v5, s25
	v_lshlrev_b64 v[78:79], 1, v[24:25]
	s_waitcnt vmcnt(0)
	v_bfe_i32 v80, v3, 0, 16
	v_ashrrev_i32_e32 v81, 31, v80
	v_lshlrev_b64 v[80:81], 1, v[80:81]
	v_add_co_u32_e32 v3, vcc, s24, v80
	v_addc_co_u32_e32 v5, vcc, v5, v81, vcc
	v_add_co_u32_e32 v80, vcc, v3, v78
	v_addc_co_u32_e32 v81, vcc, v5, v79, vcc
	global_load_ushort v3, v[80:81], off
	v_mov_b32_e32 v5, s25
	v_lshlrev_b64 v[80:81], 1, v[22:23]
	s_waitcnt vmcnt(0)
	v_bfe_i32 v82, v3, 0, 16
	v_ashrrev_i32_e32 v83, 31, v82
	v_lshlrev_b64 v[82:83], 1, v[82:83]
	v_add_co_u32_e32 v3, vcc, s24, v82
	v_addc_co_u32_e32 v5, vcc, v5, v83, vcc
	v_add_co_u32_e32 v82, vcc, v3, v80
	v_addc_co_u32_e32 v83, vcc, v5, v81, vcc
	global_load_ushort v3, v[82:83], off
	v_mov_b32_e32 v5, s25
	v_lshlrev_b64 v[82:83], 1, v[20:21]
	s_waitcnt vmcnt(0)
	v_bfe_i32 v84, v3, 0, 16
	v_ashrrev_i32_e32 v85, 31, v84
	v_lshlrev_b64 v[84:85], 1, v[84:85]
	v_add_co_u32_e32 v3, vcc, s24, v84
	v_addc_co_u32_e32 v5, vcc, v5, v85, vcc
	v_add_co_u32_e32 v84, vcc, v3, v82
	v_addc_co_u32_e32 v85, vcc, v5, v83, vcc
	global_load_ushort v3, v[84:85], off
	v_mov_b32_e32 v5, s25
	v_lshlrev_b64 v[84:85], 1, v[18:19]
	v_mbcnt_hi_u32_b32 v19, -1, v110
	s_waitcnt vmcnt(0)
	v_bfe_i32 v86, v3, 0, 16
	v_ashrrev_i32_e32 v87, 31, v86
	v_lshlrev_b64 v[86:87], 1, v[86:87]
	v_add_co_u32_e32 v3, vcc, s24, v86
	v_addc_co_u32_e32 v5, vcc, v5, v87, vcc
	v_add_co_u32_e32 v86, vcc, v3, v84
	v_addc_co_u32_e32 v87, vcc, v5, v85, vcc
	global_load_ushort v3, v[86:87], off
	v_mov_b32_e32 v5, s25
	v_lshlrev_b64 v[86:87], 1, v[16:17]
	s_waitcnt vmcnt(0)
	v_bfe_i32 v88, v3, 0, 16
	v_ashrrev_i32_e32 v89, 31, v88
	v_lshlrev_b64 v[88:89], 1, v[88:89]
	v_add_co_u32_e32 v3, vcc, s24, v88
	v_addc_co_u32_e32 v5, vcc, v5, v89, vcc
	v_add_co_u32_e32 v88, vcc, v3, v86
	v_addc_co_u32_e32 v89, vcc, v5, v87, vcc
	global_load_ushort v3, v[88:89], off
	v_mov_b32_e32 v5, s25
	v_lshlrev_b64 v[88:89], 1, v[14:15]
	;; [unrolled: 11-line block ×6, first 2 shown]
	v_mov_b32_e32 v7, s25
	s_waitcnt vmcnt(0)
	v_bfe_i32 v98, v3, 0, 16
	v_ashrrev_i32_e32 v99, 31, v98
	v_lshlrev_b64 v[98:99], 1, v[98:99]
	v_add_co_u32_e32 v3, vcc, s24, v98
	v_addc_co_u32_e32 v5, vcc, v5, v99, vcc
	v_add_co_u32_e32 v98, vcc, v3, v96
	v_addc_co_u32_e32 v99, vcc, v5, v97, vcc
	global_load_ushort v3, v[98:99], off
	v_ashrrev_i32_e32 v5, 31, v4
	v_lshlrev_b64 v[98:99], 1, v[4:5]
	s_waitcnt vmcnt(0)
	v_bfe_i32 v100, v3, 0, 16
	v_ashrrev_i32_e32 v101, 31, v100
	v_lshlrev_b64 v[100:101], 1, v[100:101]
	v_add_co_u32_e32 v3, vcc, s24, v100
	v_addc_co_u32_e32 v5, vcc, v7, v101, vcc
	v_add_co_u32_e32 v100, vcc, v3, v98
	v_addc_co_u32_e32 v101, vcc, v5, v99, vcc
	global_load_ushort v3, v[100:101], off
	v_and_b32_e32 v5, 15, v19
	v_cmp_ne_u32_e32 vcc, 0, v5
	s_waitcnt vmcnt(0)
	v_and_b32_e32 v7, 0xffff, v3
	s_nop 1
	v_mov_b32_dpp v9, v7 row_shr:1 row_mask:0xf bank_mask:0xf
	s_and_saveexec_b64 s[4:5], vcc
	s_cbranch_execz .LBB6734_59
; %bb.58:
	v_lshlrev_b32_e32 v101, 16, v9
	v_mov_b32_e32 v100, 0
	v_ashrrev_i64 v[100:101], 47, v[100:101]
	v_mov_b32_e32 v7, s25
	v_add_co_u32_e32 v9, vcc, s24, v100
	v_bfe_i32 v100, v3, 0, 16
	v_addc_co_u32_e32 v7, vcc, v7, v101, vcc
	v_ashrrev_i32_e32 v101, 31, v100
	v_lshlrev_b64 v[100:101], 1, v[100:101]
	v_add_co_u32_e32 v100, vcc, v9, v100
	v_addc_co_u32_e32 v101, vcc, v7, v101, vcc
	global_load_ushort v3, v[100:101], off
	s_waitcnt vmcnt(0)
	v_and_b32_e32 v7, 0xffff, v3
.LBB6734_59:
	s_or_b64 exec, exec, s[4:5]
	s_nop 0
	v_mov_b32_dpp v9, v7 row_shr:2 row_mask:0xf bank_mask:0xf
	v_cmp_lt_u32_e32 vcc, 1, v5
	s_and_saveexec_b64 s[4:5], vcc
	s_cbranch_execz .LBB6734_61
; %bb.60:
	v_lshlrev_b32_e32 v101, 16, v9
	v_mov_b32_e32 v100, 0
	v_ashrrev_i64 v[100:101], 47, v[100:101]
	v_mov_b32_e32 v7, s25
	v_add_co_u32_e32 v9, vcc, s24, v100
	v_bfe_i32 v100, v3, 0, 16
	v_addc_co_u32_e32 v7, vcc, v7, v101, vcc
	v_ashrrev_i32_e32 v101, 31, v100
	v_lshlrev_b64 v[100:101], 1, v[100:101]
	v_add_co_u32_e32 v100, vcc, v9, v100
	v_addc_co_u32_e32 v101, vcc, v7, v101, vcc
	global_load_ushort v3, v[100:101], off
	s_waitcnt vmcnt(0)
	v_and_b32_e32 v7, 0xffff, v3
.LBB6734_61:
	s_or_b64 exec, exec, s[4:5]
	s_nop 0
	v_mov_b32_dpp v9, v7 row_shr:4 row_mask:0xf bank_mask:0xf
	v_cmp_lt_u32_e32 vcc, 3, v5
	;; [unrolled: 22-line block ×3, first 2 shown]
	s_and_saveexec_b64 s[4:5], vcc
	s_cbranch_execz .LBB6734_65
; %bb.64:
	v_lshlrev_b32_e32 v101, 16, v9
	v_mov_b32_e32 v100, 0
	v_ashrrev_i64 v[100:101], 47, v[100:101]
	v_mov_b32_e32 v5, s25
	v_add_co_u32_e32 v7, vcc, s24, v100
	v_bfe_i32 v100, v3, 0, 16
	v_addc_co_u32_e32 v5, vcc, v5, v101, vcc
	v_ashrrev_i32_e32 v101, 31, v100
	v_lshlrev_b64 v[100:101], 1, v[100:101]
	v_add_co_u32_e32 v100, vcc, v7, v100
	v_addc_co_u32_e32 v101, vcc, v5, v101, vcc
	global_load_ushort v3, v[100:101], off
	s_waitcnt vmcnt(0)
	v_and_b32_e32 v7, 0xffff, v3
.LBB6734_65:
	s_or_b64 exec, exec, s[4:5]
	v_and_b32_e32 v9, 16, v19
	v_mov_b32_dpp v5, v7 row_bcast:15 row_mask:0xf bank_mask:0xf
	v_cmp_ne_u32_e32 vcc, 0, v9
	s_and_saveexec_b64 s[4:5], vcc
	s_cbranch_execz .LBB6734_67
; %bb.66:
	v_lshlrev_b32_e32 v101, 16, v5
	v_mov_b32_e32 v100, 0
	v_ashrrev_i64 v[100:101], 47, v[100:101]
	v_mov_b32_e32 v5, s25
	v_add_co_u32_e32 v7, vcc, s24, v100
	v_bfe_i32 v100, v3, 0, 16
	v_addc_co_u32_e32 v5, vcc, v5, v101, vcc
	v_ashrrev_i32_e32 v101, 31, v100
	v_lshlrev_b64 v[100:101], 1, v[100:101]
	v_add_co_u32_e32 v100, vcc, v7, v100
	v_addc_co_u32_e32 v101, vcc, v5, v101, vcc
	global_load_ushort v3, v[100:101], off
	s_waitcnt vmcnt(0)
	v_and_b32_e32 v7, 0xffff, v3
.LBB6734_67:
	s_or_b64 exec, exec, s[4:5]
	s_nop 0
	v_mov_b32_dpp v5, v7 row_bcast:31 row_mask:0xf bank_mask:0xf
	v_cmp_lt_u32_e32 vcc, 31, v19
	s_and_saveexec_b64 s[4:5], vcc
	s_cbranch_execz .LBB6734_69
; %bb.68:
	v_lshlrev_b32_e32 v101, 16, v5
	v_mov_b32_e32 v100, 0
	v_ashrrev_i64 v[100:101], 47, v[100:101]
	v_mov_b32_e32 v5, s25
	v_add_co_u32_e32 v7, vcc, s24, v100
	v_bfe_i32 v100, v3, 0, 16
	v_addc_co_u32_e32 v5, vcc, v5, v101, vcc
	v_ashrrev_i32_e32 v101, 31, v100
	v_lshlrev_b64 v[100:101], 1, v[100:101]
	v_add_co_u32_e32 v100, vcc, v7, v100
	v_addc_co_u32_e32 v101, vcc, v5, v101, vcc
	global_load_ushort v3, v[100:101], off
.LBB6734_69:
	s_or_b64 exec, exec, s[4:5]
	v_cmp_eq_u32_e32 vcc, 63, v0
	s_and_saveexec_b64 s[4:5], vcc
	s_cbranch_execz .LBB6734_71
; %bb.70:
	v_mov_b32_e32 v5, 0
	s_waitcnt vmcnt(0)
	ds_write_b16 v5, v3
.LBB6734_71:
	s_or_b64 exec, exec, s[4:5]
	v_add_u32_e32 v5, -1, v19
	v_and_b32_e32 v7, 64, v19
	v_cmp_lt_i32_e32 vcc, v5, v7
	v_cndmask_b32_e32 v5, v5, v19, vcc
	s_waitcnt vmcnt(0)
	v_and_b32_e32 v3, 0xffff, v3
	v_lshlrev_b32_e32 v5, 2, v5
	ds_bpermute_b32 v3, v5, v3
	v_cmp_gt_u32_e32 vcc, 64, v0
	s_waitcnt lgkmcnt(0)
	; wave barrier
	s_waitcnt lgkmcnt(0)
	s_and_saveexec_b64 s[22:23], vcc
	s_cbranch_execz .LBB6734_117
; %bb.72:
	v_mov_b32_e32 v105, 0
	ds_read_u16 v100, v105
	s_mov_b32 s31, 0
	v_cmp_eq_u32_e64 s[4:5], 0, v19
	s_and_saveexec_b64 s[28:29], s[4:5]
	s_cbranch_execz .LBB6734_74
; %bb.73:
	s_add_i32 s30, s41, 64
	s_lshl_b64 s[30:31], s[30:31], 2
	s_add_u32 s30, s26, s30
	s_waitcnt lgkmcnt(0)
	v_or_b32_e32 v5, 0x10000, v100
	s_addc_u32 s31, s27, s31
	global_store_dword v105, v5, s[30:31]
.LBB6734_74:
	s_or_b64 exec, exec, s[28:29]
	v_xad_u32 v102, v19, -1, s41
	v_add_u32_e32 v104, 64, v102
	v_lshlrev_b64 v[106:107], 2, v[104:105]
	v_mov_b32_e32 v5, s27
	v_add_co_u32_e32 v106, vcc, s26, v106
	v_addc_co_u32_e32 v107, vcc, v5, v107, vcc
	global_load_dword v35, v[106:107], off glc
	s_waitcnt vmcnt(0)
	v_lshrrev_b32_e32 v5, 16, v35
	v_cmp_eq_u16_sdwa s[30:31], v5, v105 src0_sel:BYTE_0 src1_sel:DWORD
	s_and_saveexec_b64 s[28:29], s[30:31]
	s_cbranch_execz .LBB6734_78
; %bb.75:
	s_mov_b64 s[30:31], 0
	v_mov_b32_e32 v7, 0
.LBB6734_76:                            ; =>This Inner Loop Header: Depth=1
	global_load_dword v35, v[106:107], off glc
	s_waitcnt vmcnt(0)
	v_lshrrev_b32_e32 v5, 16, v35
	v_cmp_ne_u16_sdwa s[34:35], v5, v7 src0_sel:BYTE_0 src1_sel:DWORD
	s_or_b64 s[30:31], s[34:35], s[30:31]
	s_andn2_b64 exec, exec, s[30:31]
	s_cbranch_execnz .LBB6734_76
; %bb.77:
	s_or_b64 exec, exec, s[30:31]
.LBB6734_78:
	s_or_b64 exec, exec, s[28:29]
	v_mov_b32_e32 v7, 2
	v_cmp_eq_u16_sdwa s[28:29], v5, v7 src0_sel:BYTE_0 src1_sel:DWORD
	v_lshlrev_b64 v[104:105], v19, -1
	v_and_b32_e32 v7, s29, v105
	v_or_b32_e32 v7, 0x80000000, v7
	v_ffbl_b32_e32 v15, v7
	v_and_b32_e32 v7, 63, v19
	v_cmp_ne_u32_e32 vcc, 63, v7
	v_addc_co_u32_e32 v9, vcc, 0, v19, vcc
	v_and_b32_e32 v29, 0xffff, v35
	v_lshlrev_b32_e32 v9, 2, v9
	ds_bpermute_b32 v11, v9, v29
	v_and_b32_e32 v13, s28, v104
	v_add_u32_e32 v15, 32, v15
	v_ffbl_b32_e32 v13, v13
	v_min_u32_e32 v31, v13, v15
	v_cmp_lt_u32_e32 vcc, v7, v31
	s_and_saveexec_b64 s[28:29], vcc
	s_cbranch_execz .LBB6734_80
; %bb.79:
	s_waitcnt lgkmcnt(0)
	v_lshlrev_b32_e32 v107, 16, v11
	v_mov_b32_e32 v106, 0
	v_ashrrev_i64 v[106:107], 47, v[106:107]
	v_mov_b32_e32 v11, s25
	v_add_co_u32_e32 v13, vcc, s24, v106
	v_bfe_i32 v106, v35, 0, 16
	v_addc_co_u32_e32 v11, vcc, v11, v107, vcc
	v_ashrrev_i32_e32 v107, 31, v106
	v_lshlrev_b64 v[106:107], 1, v[106:107]
	v_add_co_u32_e32 v106, vcc, v13, v106
	v_addc_co_u32_e32 v107, vcc, v11, v107, vcc
	global_load_ushort v35, v[106:107], off
	s_waitcnt vmcnt(0)
	v_and_b32_e32 v29, 0xffff, v35
.LBB6734_80:
	s_or_b64 exec, exec, s[28:29]
	v_cmp_gt_u32_e32 vcc, 62, v7
	s_waitcnt lgkmcnt(0)
	v_cndmask_b32_e64 v11, 0, 1, vcc
	v_lshlrev_b32_e32 v11, 1, v11
	v_add_lshl_u32 v11, v11, v19, 2
	ds_bpermute_b32 v15, v11, v29
	v_add_u32_e32 v13, 2, v7
	v_cmp_le_u32_e32 vcc, v13, v31
	s_and_saveexec_b64 s[28:29], vcc
	s_cbranch_execz .LBB6734_82
; %bb.81:
	s_waitcnt lgkmcnt(0)
	v_lshlrev_b32_e32 v107, 16, v15
	v_mov_b32_e32 v106, 0
	v_ashrrev_i64 v[106:107], 47, v[106:107]
	v_mov_b32_e32 v15, s25
	v_add_co_u32_e32 v17, vcc, s24, v106
	v_bfe_i32 v106, v35, 0, 16
	v_addc_co_u32_e32 v15, vcc, v15, v107, vcc
	v_ashrrev_i32_e32 v107, 31, v106
	v_lshlrev_b64 v[106:107], 1, v[106:107]
	v_add_co_u32_e32 v106, vcc, v17, v106
	v_addc_co_u32_e32 v107, vcc, v15, v107, vcc
	global_load_ushort v35, v[106:107], off
	s_waitcnt vmcnt(0)
	v_and_b32_e32 v29, 0xffff, v35
.LBB6734_82:
	s_or_b64 exec, exec, s[28:29]
	v_cmp_gt_u32_e32 vcc, 60, v7
	s_waitcnt lgkmcnt(0)
	v_cndmask_b32_e64 v15, 0, 1, vcc
	v_lshlrev_b32_e32 v15, 2, v15
	v_add_lshl_u32 v15, v15, v19, 2
	ds_bpermute_b32 v21, v15, v29
	v_add_u32_e32 v17, 4, v7
	v_cmp_le_u32_e32 vcc, v17, v31
	;; [unrolled: 28-line block ×5, first 2 shown]
	s_mov_b64 s[28:29], -1
                                        ; implicit-def: $vgpr106_vgpr107
	s_and_saveexec_b64 s[30:31], vcc
	s_cbranch_execz .LBB6734_90
; %bb.89:
	s_waitcnt lgkmcnt(0)
	v_lshlrev_b32_e32 v107, 16, v33
	v_mov_b32_e32 v106, 0
	v_ashrrev_i64 v[106:107], 47, v[106:107]
	v_mov_b32_e32 v31, s25
	v_add_co_u32_e32 v33, vcc, s24, v106
	v_bfe_i32 v106, v35, 0, 16
	v_addc_co_u32_e32 v31, vcc, v31, v107, vcc
	v_ashrrev_i32_e32 v107, 31, v106
	v_lshlrev_b64 v[106:107], 1, v[106:107]
	v_add_co_u32_e32 v106, vcc, v33, v106
	v_addc_co_u32_e32 v107, vcc, v31, v107, vcc
	s_xor_b64 s[28:29], exec, -1
                                        ; implicit-def: $vgpr35
.LBB6734_90:
	s_or_b64 exec, exec, s[30:31]
	s_mov_b64 s[30:31], 0
	v_mov_b32_e32 v103, 0
	s_waitcnt lgkmcnt(0)
	v_mov_b32_e32 v33, 2
                                        ; implicit-def: $sgpr34_sgpr35
	s_branch .LBB6734_92
.LBB6734_91:                            ;   in Loop: Header=BB6734_92 Depth=1
	s_or_b64 exec, exec, s[28:29]
	s_waitcnt vmcnt(0)
	v_bfe_i32 v106, v35, 0, 16
	v_ashrrev_i32_e32 v107, 31, v106
	v_bfe_i32 v112, v31, 0, 16
	v_lshlrev_b64 v[106:107], 1, v[106:107]
	v_ashrrev_i32_e32 v113, 31, v112
	v_mov_b32_e32 v35, s25
	v_add_co_u32_e32 v37, vcc, s24, v106
	v_addc_co_u32_e32 v35, vcc, v35, v107, vcc
	v_lshlrev_b64 v[106:107], 1, v[112:113]
	v_add_co_u32_e32 v106, vcc, v37, v106
	v_subrev_u32_e32 v102, 64, v102
	v_addc_co_u32_e32 v107, vcc, v35, v107, vcc
	s_mov_b64 s[28:29], 0
	s_mov_b64 s[30:31], 0
                                        ; implicit-def: $sgpr34_sgpr35
                                        ; implicit-def: $vgpr35
.LBB6734_92:                            ; =>This Loop Header: Depth=1
                                        ;     Child Loop BB6734_98 Depth 2
	s_waitcnt vmcnt(0)
	v_mov_b32_e32 v31, v35
	s_xor_b64 s[38:39], s[28:29], -1
	s_or_b64 s[34:35], s[34:35], exec
                                        ; implicit-def: $sgpr36_sgpr37
                                        ; implicit-def: $vgpr35
	s_and_saveexec_b64 s[42:43], s[38:39]
	s_xor_b64 s[38:39], exec, s[42:43]
	s_cbranch_execz .LBB6734_94
; %bb.93:                               ;   in Loop: Header=BB6734_92 Depth=1
	global_load_ushort v35, v[106:107], off
	s_mov_b64 s[36:37], -1
	s_andn2_b64 s[34:35], s[34:35], exec
                                        ; implicit-def: $sgpr28_sgpr29
.LBB6734_94:                            ;   in Loop: Header=BB6734_92 Depth=1
	s_or_b64 exec, exec, s[38:39]
	s_and_b64 s[38:39], exec, s[34:35]
	s_or_b64 s[30:31], s[38:39], s[30:31]
	s_andn2_b64 s[28:29], s[28:29], exec
	s_and_b64 s[36:37], s[36:37], exec
	s_or_b64 s[28:29], s[28:29], s[36:37]
	s_andn2_b64 exec, exec, s[30:31]
	s_cbranch_execnz .LBB6734_92
; %bb.95:                               ;   in Loop: Header=BB6734_92 Depth=1
	s_or_b64 exec, exec, s[30:31]
	v_cmp_ne_u16_sdwa s[28:29], v5, v33 src0_sel:BYTE_0 src1_sel:DWORD
	v_cndmask_b32_e64 v5, 0, 1, s[28:29]
	;;#ASMSTART
	;;#ASMEND
	v_cmp_ne_u32_e32 vcc, 0, v5
	s_cmp_lg_u64 vcc, exec
	s_cbranch_scc1 .LBB6734_112
; %bb.96:                               ;   in Loop: Header=BB6734_92 Depth=1
	v_lshlrev_b64 v[106:107], 2, v[102:103]
	v_mov_b32_e32 v5, s27
	v_add_co_u32_e32 v106, vcc, s26, v106
	v_addc_co_u32_e32 v107, vcc, v5, v107, vcc
	global_load_dword v35, v[106:107], off glc
	s_waitcnt vmcnt(0)
	v_lshrrev_b32_e32 v5, 16, v35
	v_cmp_eq_u16_sdwa s[30:31], v5, v103 src0_sel:BYTE_0 src1_sel:DWORD
	s_and_saveexec_b64 s[28:29], s[30:31]
	s_cbranch_execz .LBB6734_100
; %bb.97:                               ;   in Loop: Header=BB6734_92 Depth=1
	s_mov_b64 s[30:31], 0
.LBB6734_98:                            ;   Parent Loop BB6734_92 Depth=1
                                        ; =>  This Inner Loop Header: Depth=2
	global_load_dword v35, v[106:107], off glc
	s_waitcnt vmcnt(0)
	v_lshrrev_b32_e32 v5, 16, v35
	v_cmp_ne_u16_sdwa s[34:35], v5, v103 src0_sel:BYTE_0 src1_sel:DWORD
	s_or_b64 s[30:31], s[34:35], s[30:31]
	s_andn2_b64 exec, exec, s[30:31]
	s_cbranch_execnz .LBB6734_98
; %bb.99:                               ;   in Loop: Header=BB6734_92 Depth=1
	s_or_b64 exec, exec, s[30:31]
.LBB6734_100:                           ;   in Loop: Header=BB6734_92 Depth=1
	s_or_b64 exec, exec, s[28:29]
	v_cmp_eq_u16_sdwa s[28:29], v5, v33 src0_sel:BYTE_0 src1_sel:DWORD
	v_and_b32_e32 v37, s29, v105
	s_waitcnt lgkmcnt(0)
	v_and_b32_e32 v39, 0xffff, v35
	v_or_b32_e32 v37, 0x80000000, v37
	ds_bpermute_b32 v41, v9, v39
	v_and_b32_e32 v43, s28, v104
	v_ffbl_b32_e32 v37, v37
	v_add_u32_e32 v37, 32, v37
	v_ffbl_b32_e32 v43, v43
	v_min_u32_e32 v37, v43, v37
	v_cmp_lt_u32_e32 vcc, v7, v37
	s_and_saveexec_b64 s[28:29], vcc
	s_cbranch_execz .LBB6734_102
; %bb.101:                              ;   in Loop: Header=BB6734_92 Depth=1
	s_waitcnt lgkmcnt(0)
	v_lshlrev_b32_e32 v107, 16, v41
	v_mov_b32_e32 v106, v103
	v_ashrrev_i64 v[106:107], 47, v[106:107]
	v_mov_b32_e32 v39, s25
	v_add_co_u32_e32 v41, vcc, s24, v106
	v_bfe_i32 v106, v35, 0, 16
	v_addc_co_u32_e32 v39, vcc, v39, v107, vcc
	v_ashrrev_i32_e32 v107, 31, v106
	v_lshlrev_b64 v[106:107], 1, v[106:107]
	v_add_co_u32_e32 v106, vcc, v41, v106
	v_addc_co_u32_e32 v107, vcc, v39, v107, vcc
	global_load_ushort v35, v[106:107], off
	s_waitcnt vmcnt(0)
	v_and_b32_e32 v39, 0xffff, v35
.LBB6734_102:                           ;   in Loop: Header=BB6734_92 Depth=1
	s_or_b64 exec, exec, s[28:29]
	s_waitcnt lgkmcnt(0)
	ds_bpermute_b32 v41, v11, v39
	v_cmp_le_u32_e32 vcc, v13, v37
	s_and_saveexec_b64 s[28:29], vcc
	s_cbranch_execz .LBB6734_104
; %bb.103:                              ;   in Loop: Header=BB6734_92 Depth=1
	s_waitcnt lgkmcnt(0)
	v_lshlrev_b32_e32 v107, 16, v41
	v_mov_b32_e32 v106, v103
	v_ashrrev_i64 v[106:107], 47, v[106:107]
	v_mov_b32_e32 v39, s25
	v_add_co_u32_e32 v41, vcc, s24, v106
	v_bfe_i32 v106, v35, 0, 16
	v_addc_co_u32_e32 v39, vcc, v39, v107, vcc
	v_ashrrev_i32_e32 v107, 31, v106
	v_lshlrev_b64 v[106:107], 1, v[106:107]
	v_add_co_u32_e32 v106, vcc, v41, v106
	v_addc_co_u32_e32 v107, vcc, v39, v107, vcc
	global_load_ushort v35, v[106:107], off
	s_waitcnt vmcnt(0)
	v_and_b32_e32 v39, 0xffff, v35
.LBB6734_104:                           ;   in Loop: Header=BB6734_92 Depth=1
	s_or_b64 exec, exec, s[28:29]
	s_waitcnt lgkmcnt(0)
	ds_bpermute_b32 v41, v15, v39
	v_cmp_le_u32_e32 vcc, v17, v37
	;; [unrolled: 23-line block ×4, first 2 shown]
	s_and_saveexec_b64 s[28:29], vcc
	s_cbranch_execz .LBB6734_110
; %bb.109:                              ;   in Loop: Header=BB6734_92 Depth=1
	s_waitcnt lgkmcnt(0)
	v_lshlrev_b32_e32 v107, 16, v41
	v_mov_b32_e32 v106, v103
	v_ashrrev_i64 v[106:107], 47, v[106:107]
	v_mov_b32_e32 v39, s25
	v_add_co_u32_e32 v41, vcc, s24, v106
	v_bfe_i32 v106, v35, 0, 16
	v_addc_co_u32_e32 v39, vcc, v39, v107, vcc
	v_ashrrev_i32_e32 v107, 31, v106
	v_lshlrev_b64 v[106:107], 1, v[106:107]
	v_add_co_u32_e32 v106, vcc, v41, v106
	v_addc_co_u32_e32 v107, vcc, v39, v107, vcc
	global_load_ushort v35, v[106:107], off
	s_waitcnt vmcnt(0)
	v_and_b32_e32 v39, 0xffff, v35
.LBB6734_110:                           ;   in Loop: Header=BB6734_92 Depth=1
	s_or_b64 exec, exec, s[28:29]
	ds_bpermute_b32 v39, v19, v39
	v_cmp_le_u32_e32 vcc, v29, v37
	s_and_saveexec_b64 s[28:29], vcc
	s_cbranch_execz .LBB6734_91
; %bb.111:                              ;   in Loop: Header=BB6734_92 Depth=1
	s_waitcnt lgkmcnt(0)
	v_lshlrev_b32_e32 v107, 16, v39
	v_mov_b32_e32 v106, v103
	v_ashrrev_i64 v[106:107], 47, v[106:107]
	v_mov_b32_e32 v37, s25
	v_add_co_u32_e32 v39, vcc, s24, v106
	v_bfe_i32 v106, v35, 0, 16
	v_addc_co_u32_e32 v37, vcc, v37, v107, vcc
	v_ashrrev_i32_e32 v107, 31, v106
	v_lshlrev_b64 v[106:107], 1, v[106:107]
	v_add_co_u32_e32 v106, vcc, v39, v106
	v_addc_co_u32_e32 v107, vcc, v37, v107, vcc
	global_load_ushort v35, v[106:107], off
	s_branch .LBB6734_91
.LBB6734_112:                           ;   in Loop: Header=BB6734_92 Depth=1
	s_mov_b64 s[28:29], -1
                                        ; implicit-def: $vgpr106_vgpr107
                                        ; implicit-def: $vgpr5
	s_mov_b64 s[30:31], 0
                                        ; implicit-def: $sgpr34_sgpr35
                                        ; implicit-def: $vgpr35
	s_cbranch_execz .LBB6734_92
; %bb.113:
	s_and_saveexec_b64 s[28:29], s[4:5]
	s_cbranch_execz .LBB6734_115
; %bb.114:
	v_bfe_i32 v100, v100, 0, 16
	v_ashrrev_i32_e32 v101, 31, v100
	v_bfe_i32 v102, v31, 0, 16
	v_lshlrev_b64 v[100:101], 1, v[100:101]
	v_ashrrev_i32_e32 v103, 31, v102
	v_mov_b32_e32 v5, s25
	v_add_co_u32_e32 v7, vcc, s24, v100
	v_lshlrev_b64 v[102:103], 1, v[102:103]
	v_addc_co_u32_e32 v5, vcc, v101, v5, vcc
	v_add_co_u32_e32 v100, vcc, v7, v102
	v_addc_co_u32_e32 v101, vcc, v5, v103, vcc
	global_load_ushort v5, v[100:101], off
	s_add_i32 s4, s41, 64
	s_mov_b32 s5, 0
	s_lshl_b64 s[4:5], s[4:5], 2
	s_add_u32 s4, s26, s4
	s_addc_u32 s5, s27, s5
	v_mov_b32_e32 v7, 0
	s_waitcnt vmcnt(0)
	v_or_b32_e32 v5, 0x20000, v5
	global_store_dword v7, v5, s[4:5]
.LBB6734_115:
	s_or_b64 exec, exec, s[28:29]
	s_and_b64 exec, exec, s[2:3]
	s_cbranch_execz .LBB6734_117
; %bb.116:
	v_mov_b32_e32 v5, 0
	ds_write_b16 v5, v31
.LBB6734_117:
	s_or_b64 exec, exec, s[22:23]
	v_mov_b32_e32 v100, 0
	s_waitcnt lgkmcnt(0)
	; wave barrier
	s_waitcnt lgkmcnt(0)
	ds_read_u16 v5, v100
	s_waitcnt lgkmcnt(0)
	v_readfirstlane_b32 s22, v5
	s_and_saveexec_b64 s[4:5], s[0:1]
	s_cbranch_execz .LBB6734_119
; %bb.118:
	v_lshlrev_b32_e32 v101, 16, v3
	v_ashrrev_i64 v[62:63], 47, v[100:101]
	v_mov_b32_e32 v3, s25
	v_add_co_u32_e32 v5, vcc, s24, v62
	v_addc_co_u32_e32 v3, vcc, v3, v63, vcc
	v_add_co_u32_e32 v62, vcc, v5, v68
	v_addc_co_u32_e32 v63, vcc, v3, v69, vcc
	global_load_ushort v3, v[62:63], off
	s_waitcnt vmcnt(0)
	v_bfe_i32 v62, v3, 0, 16
	v_ashrrev_i32_e32 v63, 31, v62
.LBB6734_119:
	s_or_b64 exec, exec, s[4:5]
	s_sext_i32_i16 s4, s22
	s_ashr_i32 s5, s4, 31
	s_lshl_b64 s[4:5], s[4:5], 1
	s_add_u32 s4, s24, s4
	s_addc_u32 s5, s25, s5
	v_lshlrev_b64 v[62:63], 1, v[62:63]
	v_mov_b32_e32 v3, s5
	v_add_co_u32_e32 v62, vcc, s4, v62
	v_addc_co_u32_e32 v63, vcc, v3, v63, vcc
	global_load_ushort v62, v[62:63], off
	v_mov_b32_e32 v3, s25
	s_waitcnt vmcnt(0)
	v_bfe_i32 v68, v62, 0, 16
	v_ashrrev_i32_e32 v69, 31, v68
	v_lshlrev_b64 v[68:69], 1, v[68:69]
	v_add_co_u32_e32 v5, vcc, s24, v68
	v_addc_co_u32_e32 v3, vcc, v3, v69, vcc
	v_add_co_u32_e32 v50, vcc, v5, v50
	v_addc_co_u32_e32 v51, vcc, v3, v51, vcc
	global_load_ushort v3, v[50:51], off
	v_mov_b32_e32 v5, s25
	s_waitcnt vmcnt(0)
	v_bfe_i32 v50, v3, 0, 16
	v_ashrrev_i32_e32 v51, 31, v50
	v_lshlrev_b64 v[50:51], 1, v[50:51]
	v_add_co_u32_e32 v7, vcc, s24, v50
	v_addc_co_u32_e32 v5, vcc, v5, v51, vcc
	v_add_co_u32_e32 v50, vcc, v7, v52
	v_addc_co_u32_e32 v51, vcc, v5, v53, vcc
	global_load_ushort v47, v[50:51], off
	v_mov_b32_e32 v5, s25
	s_waitcnt vmcnt(0)
	v_bfe_i32 v50, v47, 0, 16
	v_ashrrev_i32_e32 v51, 31, v50
	v_lshlrev_b64 v[50:51], 1, v[50:51]
	v_add_co_u32_e32 v7, vcc, s24, v50
	v_addc_co_u32_e32 v5, vcc, v5, v51, vcc
	v_add_co_u32_e32 v50, vcc, v7, v54
	v_addc_co_u32_e32 v51, vcc, v5, v55, vcc
	global_load_ushort v45, v[50:51], off
	v_mov_b32_e32 v5, s25
	s_waitcnt vmcnt(0)
	v_bfe_i32 v50, v45, 0, 16
	v_ashrrev_i32_e32 v51, 31, v50
	v_lshlrev_b64 v[50:51], 1, v[50:51]
	v_add_co_u32_e32 v7, vcc, s24, v50
	v_addc_co_u32_e32 v5, vcc, v5, v51, vcc
	v_add_co_u32_e32 v50, vcc, v7, v56
	v_addc_co_u32_e32 v51, vcc, v5, v57, vcc
	global_load_ushort v43, v[50:51], off
	v_mov_b32_e32 v5, s25
	s_waitcnt vmcnt(0)
	v_bfe_i32 v50, v43, 0, 16
	v_ashrrev_i32_e32 v51, 31, v50
	v_lshlrev_b64 v[50:51], 1, v[50:51]
	v_add_co_u32_e32 v7, vcc, s24, v50
	v_addc_co_u32_e32 v5, vcc, v5, v51, vcc
	v_add_co_u32_e32 v50, vcc, v7, v58
	v_addc_co_u32_e32 v51, vcc, v5, v59, vcc
	global_load_ushort v41, v[50:51], off
	v_mov_b32_e32 v5, s25
	s_waitcnt vmcnt(0)
	v_bfe_i32 v50, v41, 0, 16
	v_ashrrev_i32_e32 v51, 31, v50
	v_lshlrev_b64 v[50:51], 1, v[50:51]
	v_add_co_u32_e32 v7, vcc, s24, v50
	v_addc_co_u32_e32 v5, vcc, v5, v51, vcc
	v_add_co_u32_e32 v50, vcc, v7, v60
	v_addc_co_u32_e32 v51, vcc, v5, v61, vcc
	global_load_ushort v39, v[50:51], off
	v_mov_b32_e32 v5, s25
	s_waitcnt vmcnt(0)
	v_bfe_i32 v50, v39, 0, 16
	v_ashrrev_i32_e32 v51, 31, v50
	v_lshlrev_b64 v[50:51], 1, v[50:51]
	v_add_co_u32_e32 v7, vcc, s24, v50
	v_addc_co_u32_e32 v5, vcc, v5, v51, vcc
	v_add_co_u32_e32 v50, vcc, v7, v64
	v_addc_co_u32_e32 v51, vcc, v5, v65, vcc
	global_load_ushort v37, v[50:51], off
	v_mov_b32_e32 v5, s25
	s_waitcnt vmcnt(0)
	v_bfe_i32 v50, v37, 0, 16
	v_ashrrev_i32_e32 v51, 31, v50
	v_lshlrev_b64 v[50:51], 1, v[50:51]
	v_add_co_u32_e32 v7, vcc, s24, v50
	v_addc_co_u32_e32 v5, vcc, v5, v51, vcc
	v_add_co_u32_e32 v50, vcc, v7, v66
	v_addc_co_u32_e32 v51, vcc, v5, v67, vcc
	global_load_ushort v35, v[50:51], off
	v_mov_b32_e32 v5, s25
	s_waitcnt vmcnt(0)
	v_bfe_i32 v50, v35, 0, 16
	v_ashrrev_i32_e32 v51, 31, v50
	v_lshlrev_b64 v[50:51], 1, v[50:51]
	v_add_co_u32_e32 v7, vcc, s24, v50
	v_addc_co_u32_e32 v5, vcc, v5, v51, vcc
	v_add_co_u32_e32 v50, vcc, v7, v70
	v_addc_co_u32_e32 v51, vcc, v5, v71, vcc
	global_load_ushort v33, v[50:51], off
	v_mov_b32_e32 v5, s25
	s_waitcnt vmcnt(0)
	v_bfe_i32 v50, v33, 0, 16
	v_ashrrev_i32_e32 v51, 31, v50
	v_lshlrev_b64 v[50:51], 1, v[50:51]
	v_add_co_u32_e32 v7, vcc, s24, v50
	v_addc_co_u32_e32 v5, vcc, v5, v51, vcc
	v_add_co_u32_e32 v50, vcc, v7, v72
	v_addc_co_u32_e32 v51, vcc, v5, v73, vcc
	global_load_ushort v31, v[50:51], off
	v_mov_b32_e32 v5, s25
	s_waitcnt vmcnt(0)
	v_bfe_i32 v50, v31, 0, 16
	v_ashrrev_i32_e32 v51, 31, v50
	v_lshlrev_b64 v[50:51], 1, v[50:51]
	v_add_co_u32_e32 v7, vcc, s24, v50
	v_addc_co_u32_e32 v5, vcc, v5, v51, vcc
	v_add_co_u32_e32 v50, vcc, v7, v74
	v_addc_co_u32_e32 v51, vcc, v5, v75, vcc
	global_load_ushort v29, v[50:51], off
	v_mov_b32_e32 v5, s25
	s_waitcnt vmcnt(0)
	v_bfe_i32 v50, v29, 0, 16
	v_ashrrev_i32_e32 v51, 31, v50
	v_lshlrev_b64 v[50:51], 1, v[50:51]
	v_add_co_u32_e32 v7, vcc, s24, v50
	v_addc_co_u32_e32 v5, vcc, v5, v51, vcc
	v_add_co_u32_e32 v50, vcc, v7, v76
	v_addc_co_u32_e32 v51, vcc, v5, v77, vcc
	global_load_ushort v27, v[50:51], off
	v_mov_b32_e32 v5, s25
	s_waitcnt vmcnt(0)
	v_bfe_i32 v50, v27, 0, 16
	v_ashrrev_i32_e32 v51, 31, v50
	v_lshlrev_b64 v[50:51], 1, v[50:51]
	v_add_co_u32_e32 v7, vcc, s24, v50
	v_addc_co_u32_e32 v5, vcc, v5, v51, vcc
	v_add_co_u32_e32 v50, vcc, v7, v78
	v_addc_co_u32_e32 v51, vcc, v5, v79, vcc
	global_load_ushort v25, v[50:51], off
	v_mov_b32_e32 v5, s25
	s_waitcnt vmcnt(0)
	v_bfe_i32 v50, v25, 0, 16
	v_ashrrev_i32_e32 v51, 31, v50
	v_lshlrev_b64 v[50:51], 1, v[50:51]
	v_add_co_u32_e32 v7, vcc, s24, v50
	v_addc_co_u32_e32 v5, vcc, v5, v51, vcc
	v_add_co_u32_e32 v50, vcc, v7, v80
	v_addc_co_u32_e32 v51, vcc, v5, v81, vcc
	global_load_ushort v23, v[50:51], off
	v_mov_b32_e32 v5, s25
	s_waitcnt vmcnt(0)
	v_bfe_i32 v50, v23, 0, 16
	v_ashrrev_i32_e32 v51, 31, v50
	v_lshlrev_b64 v[50:51], 1, v[50:51]
	v_add_co_u32_e32 v7, vcc, s24, v50
	v_addc_co_u32_e32 v5, vcc, v5, v51, vcc
	v_add_co_u32_e32 v50, vcc, v7, v82
	v_addc_co_u32_e32 v51, vcc, v5, v83, vcc
	global_load_ushort v21, v[50:51], off
	v_mov_b32_e32 v5, s25
	s_waitcnt vmcnt(0)
	v_bfe_i32 v50, v21, 0, 16
	v_ashrrev_i32_e32 v51, 31, v50
	v_lshlrev_b64 v[50:51], 1, v[50:51]
	v_add_co_u32_e32 v7, vcc, s24, v50
	v_addc_co_u32_e32 v5, vcc, v5, v51, vcc
	v_add_co_u32_e32 v50, vcc, v7, v84
	v_addc_co_u32_e32 v51, vcc, v5, v85, vcc
	global_load_ushort v19, v[50:51], off
	v_mov_b32_e32 v5, s25
	s_waitcnt vmcnt(0)
	v_bfe_i32 v50, v19, 0, 16
	v_ashrrev_i32_e32 v51, 31, v50
	v_lshlrev_b64 v[50:51], 1, v[50:51]
	v_add_co_u32_e32 v7, vcc, s24, v50
	v_addc_co_u32_e32 v5, vcc, v5, v51, vcc
	v_add_co_u32_e32 v50, vcc, v7, v86
	v_addc_co_u32_e32 v51, vcc, v5, v87, vcc
	global_load_ushort v17, v[50:51], off
	v_mov_b32_e32 v5, s25
	s_waitcnt vmcnt(0)
	v_bfe_i32 v50, v17, 0, 16
	v_ashrrev_i32_e32 v51, 31, v50
	v_lshlrev_b64 v[50:51], 1, v[50:51]
	v_add_co_u32_e32 v7, vcc, s24, v50
	v_addc_co_u32_e32 v5, vcc, v5, v51, vcc
	v_add_co_u32_e32 v50, vcc, v7, v88
	v_addc_co_u32_e32 v51, vcc, v5, v89, vcc
	global_load_ushort v15, v[50:51], off
	v_mov_b32_e32 v5, s25
	s_waitcnt vmcnt(0)
	v_bfe_i32 v50, v15, 0, 16
	v_ashrrev_i32_e32 v51, 31, v50
	v_lshlrev_b64 v[50:51], 1, v[50:51]
	v_add_co_u32_e32 v7, vcc, s24, v50
	v_addc_co_u32_e32 v5, vcc, v5, v51, vcc
	v_add_co_u32_e32 v50, vcc, v7, v90
	v_addc_co_u32_e32 v51, vcc, v5, v91, vcc
	global_load_ushort v13, v[50:51], off
	v_mov_b32_e32 v5, s25
	s_waitcnt vmcnt(0)
	v_bfe_i32 v50, v13, 0, 16
	v_ashrrev_i32_e32 v51, 31, v50
	v_lshlrev_b64 v[50:51], 1, v[50:51]
	v_add_co_u32_e32 v7, vcc, s24, v50
	v_addc_co_u32_e32 v5, vcc, v5, v51, vcc
	v_add_co_u32_e32 v50, vcc, v7, v92
	v_addc_co_u32_e32 v51, vcc, v5, v93, vcc
	global_load_ushort v11, v[50:51], off
	v_mov_b32_e32 v5, s25
	s_waitcnt vmcnt(0)
	v_bfe_i32 v50, v11, 0, 16
	v_ashrrev_i32_e32 v51, 31, v50
	v_lshlrev_b64 v[50:51], 1, v[50:51]
	v_add_co_u32_e32 v7, vcc, s24, v50
	v_addc_co_u32_e32 v5, vcc, v5, v51, vcc
	v_add_co_u32_e32 v50, vcc, v7, v94
	v_addc_co_u32_e32 v51, vcc, v5, v95, vcc
	global_load_ushort v9, v[50:51], off
	v_mov_b32_e32 v5, s25
	s_waitcnt vmcnt(0)
	v_bfe_i32 v50, v9, 0, 16
	v_ashrrev_i32_e32 v51, 31, v50
	v_lshlrev_b64 v[50:51], 1, v[50:51]
	v_add_co_u32_e32 v7, vcc, s24, v50
	v_addc_co_u32_e32 v5, vcc, v5, v51, vcc
	v_add_co_u32_e32 v50, vcc, v7, v96
	v_addc_co_u32_e32 v51, vcc, v5, v97, vcc
	global_load_ushort v7, v[50:51], off
	v_mov_b32_e32 v5, s25
	s_waitcnt vmcnt(0)
	v_bfe_i32 v50, v7, 0, 16
	v_ashrrev_i32_e32 v51, 31, v50
	v_lshlrev_b64 v[50:51], 1, v[50:51]
	v_add_co_u32_e32 v49, vcc, s24, v50
	v_addc_co_u32_e32 v5, vcc, v5, v51, vcc
	v_add_co_u32_e32 v50, vcc, v49, v98
	v_addc_co_u32_e32 v51, vcc, v5, v99, vcc
	global_load_ushort v5, v[50:51], off
	s_branch .LBB6734_142
.LBB6734_120:
                                        ; implicit-def: $vgpr62
                                        ; implicit-def: $vgpr3
                                        ; implicit-def: $vgpr47
                                        ; implicit-def: $vgpr45
                                        ; implicit-def: $vgpr43
                                        ; implicit-def: $vgpr41
                                        ; implicit-def: $vgpr39
                                        ; implicit-def: $vgpr37
                                        ; implicit-def: $vgpr35
                                        ; implicit-def: $vgpr33
                                        ; implicit-def: $vgpr31
                                        ; implicit-def: $vgpr29
                                        ; implicit-def: $vgpr27
                                        ; implicit-def: $vgpr25
                                        ; implicit-def: $vgpr23
                                        ; implicit-def: $vgpr21
                                        ; implicit-def: $vgpr19
                                        ; implicit-def: $vgpr17
                                        ; implicit-def: $vgpr15
                                        ; implicit-def: $vgpr13
                                        ; implicit-def: $vgpr11
                                        ; implicit-def: $vgpr9
                                        ; implicit-def: $vgpr7
                                        ; implicit-def: $vgpr5
	s_cbranch_execz .LBB6734_142
; %bb.121:
	s_cmp_lg_u64 s[12:13], 0
	s_cselect_b64 s[4:5], -1, 0
	s_and_b64 s[4:5], s[2:3], s[4:5]
	v_mov_b32_e32 v62, v2
	s_and_saveexec_b64 s[2:3], s[4:5]
	s_cbranch_execz .LBB6734_123
; %bb.122:
	v_mov_b32_e32 v3, 0
	global_load_ushort v5, v3, s[8:9]
	v_bfe_i32 v2, v2, 0, 16
	v_ashrrev_i32_e32 v3, 31, v2
	v_lshlrev_b64 v[2:3], 1, v[2:3]
	s_waitcnt vmcnt(0)
	v_readfirstlane_b32 s4, v5
	s_sext_i32_i16 s4, s4
	s_ashr_i32 s5, s4, 31
	s_lshl_b64 s[4:5], s[4:5], 1
	s_add_u32 s4, s24, s4
	s_addc_u32 s5, s25, s5
	v_mov_b32_e32 v5, s5
	v_add_co_u32_e32 v2, vcc, s4, v2
	v_addc_co_u32_e32 v3, vcc, v5, v3, vcc
	global_load_ushort v62, v[2:3], off
.LBB6734_123:
	s_or_b64 exec, exec, s[2:3]
	s_waitcnt vmcnt(0)
	v_bfe_i32 v50, v62, 0, 16
	v_ashrrev_i32_e32 v51, 31, v50
	v_lshlrev_b64 v[52:53], 1, v[50:51]
	v_ashrrev_i32_e32 v49, 31, v48
	v_mov_b32_e32 v2, s25
	v_add_co_u32_e32 v5, vcc, s24, v52
	v_addc_co_u32_e32 v7, vcc, v2, v53, vcc
	v_lshlrev_b64 v[2:3], 1, v[48:49]
	v_add_co_u32_e32 v48, vcc, v5, v2
	v_addc_co_u32_e32 v49, vcc, v7, v3, vcc
	global_load_ushort v5, v[48:49], off
	v_ashrrev_i32_e32 v47, 31, v46
	v_mov_b32_e32 v7, s25
	v_lshlrev_b64 v[46:47], 1, v[46:47]
	v_ashrrev_i32_e32 v45, 31, v44
	v_lshlrev_b64 v[44:45], 1, v[44:45]
	v_ashrrev_i32_e32 v43, 31, v42
	v_lshlrev_b64 v[42:43], 1, v[42:43]
	v_ashrrev_i32_e32 v41, 31, v40
	v_lshlrev_b64 v[40:41], 1, v[40:41]
	v_ashrrev_i32_e32 v39, 31, v38
	v_lshlrev_b64 v[38:39], 1, v[38:39]
	v_ashrrev_i32_e32 v37, 31, v36
	v_lshlrev_b64 v[36:37], 1, v[36:37]
	v_ashrrev_i32_e32 v35, 31, v34
	v_lshlrev_b64 v[34:35], 1, v[34:35]
	v_ashrrev_i32_e32 v33, 31, v32
	v_lshlrev_b64 v[32:33], 1, v[32:33]
	v_ashrrev_i32_e32 v31, 31, v30
	v_lshlrev_b64 v[30:31], 1, v[30:31]
	v_ashrrev_i32_e32 v29, 31, v28
	v_lshlrev_b64 v[28:29], 1, v[28:29]
	v_ashrrev_i32_e32 v27, 31, v26
	v_lshlrev_b64 v[26:27], 1, v[26:27]
	v_ashrrev_i32_e32 v25, 31, v24
	v_lshlrev_b64 v[24:25], 1, v[24:25]
	v_ashrrev_i32_e32 v23, 31, v22
	v_lshlrev_b64 v[22:23], 1, v[22:23]
	v_ashrrev_i32_e32 v21, 31, v20
	v_lshlrev_b64 v[20:21], 1, v[20:21]
	v_ashrrev_i32_e32 v19, 31, v18
	v_lshlrev_b64 v[18:19], 1, v[18:19]
	v_ashrrev_i32_e32 v17, 31, v16
	v_lshlrev_b64 v[16:17], 1, v[16:17]
	v_ashrrev_i32_e32 v15, 31, v14
	v_lshlrev_b64 v[14:15], 1, v[14:15]
	v_ashrrev_i32_e32 v13, 31, v12
	v_lshlrev_b64 v[12:13], 1, v[12:13]
	v_ashrrev_i32_e32 v11, 31, v10
	v_lshlrev_b64 v[10:11], 1, v[10:11]
	v_ashrrev_i32_e32 v9, 31, v8
	v_lshlrev_b64 v[8:9], 1, v[8:9]
	v_mov_b32_e32 v54, s25
	s_waitcnt vmcnt(0)
	v_bfe_i32 v48, v5, 0, 16
	v_ashrrev_i32_e32 v49, 31, v48
	v_lshlrev_b64 v[48:49], 1, v[48:49]
	v_add_co_u32_e32 v5, vcc, s24, v48
	v_addc_co_u32_e32 v7, vcc, v7, v49, vcc
	v_add_co_u32_e32 v48, vcc, v5, v46
	v_addc_co_u32_e32 v49, vcc, v7, v47, vcc
	global_load_ushort v5, v[48:49], off
	v_mov_b32_e32 v7, s25
	s_waitcnt vmcnt(0)
	v_bfe_i32 v48, v5, 0, 16
	v_ashrrev_i32_e32 v49, 31, v48
	v_lshlrev_b64 v[48:49], 1, v[48:49]
	v_add_co_u32_e32 v5, vcc, s24, v48
	v_addc_co_u32_e32 v7, vcc, v7, v49, vcc
	v_add_co_u32_e32 v48, vcc, v5, v44
	v_addc_co_u32_e32 v49, vcc, v7, v45, vcc
	global_load_ushort v5, v[48:49], off
	;; [unrolled: 10-line block ×20, first 2 shown]
	v_ashrrev_i32_e32 v7, 31, v6
	v_lshlrev_b64 v[6:7], 1, v[6:7]
	s_waitcnt vmcnt(0)
	v_bfe_i32 v48, v5, 0, 16
	v_ashrrev_i32_e32 v49, 31, v48
	v_lshlrev_b64 v[48:49], 1, v[48:49]
	v_add_co_u32_e32 v5, vcc, s24, v48
	v_addc_co_u32_e32 v49, vcc, v54, v49, vcc
	v_add_co_u32_e32 v48, vcc, v5, v6
	v_addc_co_u32_e32 v49, vcc, v49, v7, vcc
	global_load_ushort v48, v[48:49], off
	v_ashrrev_i32_e32 v5, 31, v4
	v_lshlrev_b64 v[4:5], 1, v[4:5]
	s_waitcnt vmcnt(0)
	v_bfe_i32 v48, v48, 0, 16
	v_ashrrev_i32_e32 v49, 31, v48
	v_lshlrev_b64 v[48:49], 1, v[48:49]
	v_add_co_u32_e32 v48, vcc, s24, v48
	v_addc_co_u32_e32 v49, vcc, v54, v49, vcc
	v_add_co_u32_e32 v48, vcc, v48, v4
	v_addc_co_u32_e32 v49, vcc, v49, v5, vcc
	global_load_ushort v49, v[48:49], off
	v_mbcnt_hi_u32_b32 v48, -1, v110
	v_and_b32_e32 v54, 15, v48
	v_cmp_ne_u32_e32 vcc, 0, v54
	s_waitcnt vmcnt(0)
	v_and_b32_e32 v55, 0xffff, v49
	s_nop 1
	v_mov_b32_dpp v56, v55 row_shr:1 row_mask:0xf bank_mask:0xf
	s_and_saveexec_b64 s[2:3], vcc
	s_cbranch_execz .LBB6734_125
; %bb.124:
	v_lshlrev_b32_e32 v57, 16, v56
	v_mov_b32_e32 v56, 0
	v_ashrrev_i64 v[56:57], 47, v[56:57]
	v_mov_b32_e32 v55, s25
	v_add_co_u32_e32 v58, vcc, s24, v56
	v_bfe_i32 v56, v49, 0, 16
	v_addc_co_u32_e32 v55, vcc, v55, v57, vcc
	v_ashrrev_i32_e32 v57, 31, v56
	v_lshlrev_b64 v[56:57], 1, v[56:57]
	v_add_co_u32_e32 v56, vcc, v58, v56
	v_addc_co_u32_e32 v57, vcc, v55, v57, vcc
	global_load_ushort v49, v[56:57], off
	s_waitcnt vmcnt(0)
	v_and_b32_e32 v55, 0xffff, v49
.LBB6734_125:
	s_or_b64 exec, exec, s[2:3]
	s_nop 0
	v_mov_b32_dpp v56, v55 row_shr:2 row_mask:0xf bank_mask:0xf
	v_cmp_lt_u32_e32 vcc, 1, v54
	s_and_saveexec_b64 s[2:3], vcc
	s_cbranch_execz .LBB6734_127
; %bb.126:
	v_lshlrev_b32_e32 v57, 16, v56
	v_mov_b32_e32 v56, 0
	v_ashrrev_i64 v[56:57], 47, v[56:57]
	v_mov_b32_e32 v55, s25
	v_add_co_u32_e32 v58, vcc, s24, v56
	v_bfe_i32 v56, v49, 0, 16
	v_addc_co_u32_e32 v55, vcc, v55, v57, vcc
	v_ashrrev_i32_e32 v57, 31, v56
	v_lshlrev_b64 v[56:57], 1, v[56:57]
	v_add_co_u32_e32 v56, vcc, v58, v56
	v_addc_co_u32_e32 v57, vcc, v55, v57, vcc
	global_load_ushort v49, v[56:57], off
	s_waitcnt vmcnt(0)
	v_and_b32_e32 v55, 0xffff, v49
.LBB6734_127:
	s_or_b64 exec, exec, s[2:3]
	s_nop 0
	v_mov_b32_dpp v56, v55 row_shr:4 row_mask:0xf bank_mask:0xf
	v_cmp_lt_u32_e32 vcc, 3, v54
	;; [unrolled: 22-line block ×3, first 2 shown]
	s_and_saveexec_b64 s[2:3], vcc
	s_cbranch_execz .LBB6734_131
; %bb.130:
	v_lshlrev_b32_e32 v55, 16, v56
	v_mov_b32_e32 v54, 0
	v_ashrrev_i64 v[54:55], 47, v[54:55]
	v_mov_b32_e32 v56, s25
	v_add_co_u32_e32 v57, vcc, s24, v54
	v_bfe_i32 v54, v49, 0, 16
	v_addc_co_u32_e32 v56, vcc, v56, v55, vcc
	v_ashrrev_i32_e32 v55, 31, v54
	v_lshlrev_b64 v[54:55], 1, v[54:55]
	v_add_co_u32_e32 v54, vcc, v57, v54
	v_addc_co_u32_e32 v55, vcc, v56, v55, vcc
	global_load_ushort v49, v[54:55], off
	s_waitcnt vmcnt(0)
	v_and_b32_e32 v55, 0xffff, v49
.LBB6734_131:
	s_or_b64 exec, exec, s[2:3]
	v_and_b32_e32 v56, 16, v48
	v_mov_b32_dpp v54, v55 row_bcast:15 row_mask:0xf bank_mask:0xf
	v_cmp_ne_u32_e32 vcc, 0, v56
	s_and_saveexec_b64 s[2:3], vcc
	s_cbranch_execz .LBB6734_133
; %bb.132:
	v_lshlrev_b32_e32 v55, 16, v54
	v_mov_b32_e32 v54, 0
	v_ashrrev_i64 v[54:55], 47, v[54:55]
	v_mov_b32_e32 v56, s25
	v_add_co_u32_e32 v57, vcc, s24, v54
	v_bfe_i32 v54, v49, 0, 16
	v_addc_co_u32_e32 v56, vcc, v56, v55, vcc
	v_ashrrev_i32_e32 v55, 31, v54
	v_lshlrev_b64 v[54:55], 1, v[54:55]
	v_add_co_u32_e32 v54, vcc, v57, v54
	v_addc_co_u32_e32 v55, vcc, v56, v55, vcc
	global_load_ushort v49, v[54:55], off
	s_waitcnt vmcnt(0)
	v_and_b32_e32 v55, 0xffff, v49
.LBB6734_133:
	s_or_b64 exec, exec, s[2:3]
	s_nop 0
	v_mov_b32_dpp v54, v55 row_bcast:31 row_mask:0xf bank_mask:0xf
	v_cmp_lt_u32_e32 vcc, 31, v48
	s_and_saveexec_b64 s[2:3], vcc
	s_cbranch_execz .LBB6734_135
; %bb.134:
	v_lshlrev_b32_e32 v55, 16, v54
	v_mov_b32_e32 v54, 0
	v_ashrrev_i64 v[54:55], 47, v[54:55]
	v_mov_b32_e32 v56, s25
	v_add_co_u32_e32 v57, vcc, s24, v54
	v_bfe_i32 v54, v49, 0, 16
	v_addc_co_u32_e32 v56, vcc, v56, v55, vcc
	v_ashrrev_i32_e32 v55, 31, v54
	v_lshlrev_b64 v[54:55], 1, v[54:55]
	v_add_co_u32_e32 v54, vcc, v57, v54
	v_addc_co_u32_e32 v55, vcc, v56, v55, vcc
	global_load_ushort v49, v[54:55], off
.LBB6734_135:
	s_or_b64 exec, exec, s[2:3]
	v_cmp_eq_u32_e32 vcc, 63, v0
	s_and_saveexec_b64 s[2:3], vcc
	s_cbranch_execz .LBB6734_137
; %bb.136:
	v_mov_b32_e32 v54, 0
	s_waitcnt vmcnt(0)
	ds_write_b16 v54, v49
.LBB6734_137:
	s_or_b64 exec, exec, s[2:3]
	v_add_u32_e32 v54, -1, v48
	v_and_b32_e32 v55, 64, v48
	v_cmp_lt_i32_e64 s[2:3], v54, v55
	v_cndmask_b32_e64 v48, v54, v48, s[2:3]
	s_waitcnt vmcnt(0)
	v_and_b32_e32 v49, 0xffff, v49
	v_lshlrev_b32_e32 v48, 2, v48
	ds_bpermute_b32 v48, v48, v49
	s_waitcnt lgkmcnt(0)
	; wave barrier
	s_waitcnt lgkmcnt(0)
	s_and_saveexec_b64 s[2:3], s[0:1]
	s_cbranch_execz .LBB6734_139
; %bb.138:
	v_lshlrev_b32_e32 v49, 16, v48
	v_mov_b32_e32 v48, 0
	v_ashrrev_i64 v[48:49], 47, v[48:49]
	v_mov_b32_e32 v50, s25
	v_add_co_u32_e64 v48, s[0:1], s24, v48
	v_addc_co_u32_e64 v49, s[0:1], v50, v49, s[0:1]
	v_add_co_u32_e64 v48, s[0:1], v48, v52
	v_addc_co_u32_e64 v49, s[0:1], v49, v53, s[0:1]
	global_load_ushort v62, v[48:49], off
	;;#ASMSTART
	;;#ASMEND
	s_waitcnt vmcnt(0)
	v_bfe_i32 v50, v62, 0, 16
	v_ashrrev_i32_e32 v51, 31, v50
.LBB6734_139:
	s_or_b64 exec, exec, s[2:3]
	v_lshlrev_b64 v[48:49], 1, v[50:51]
	v_mov_b32_e32 v50, s25
	v_add_co_u32_e64 v48, s[0:1], s24, v48
	v_addc_co_u32_e64 v49, s[0:1], v50, v49, s[0:1]
	v_add_co_u32_e64 v2, s[0:1], v48, v2
	v_addc_co_u32_e64 v3, s[0:1], v49, v3, s[0:1]
	global_load_ushort v3, v[2:3], off
	v_mov_b32_e32 v2, s25
	s_waitcnt vmcnt(0)
	v_bfe_i32 v48, v3, 0, 16
	v_ashrrev_i32_e32 v49, 31, v48
	v_lshlrev_b64 v[48:49], 1, v[48:49]
	v_add_co_u32_e64 v48, s[0:1], s24, v48
	v_addc_co_u32_e64 v2, s[0:1], v2, v49, s[0:1]
	v_add_co_u32_e64 v46, s[0:1], v48, v46
	v_addc_co_u32_e64 v47, s[0:1], v2, v47, s[0:1]
	global_load_ushort v47, v[46:47], off
	v_mov_b32_e32 v2, s25
	s_waitcnt vmcnt(0)
	v_bfe_i32 v48, v47, 0, 16
	v_ashrrev_i32_e32 v49, 31, v48
	v_lshlrev_b64 v[48:49], 1, v[48:49]
	;; [unrolled: 10-line block ×22, first 2 shown]
	v_add_co_u32_e64 v6, s[0:1], s24, v48
	v_addc_co_u32_e64 v2, s[0:1], v2, v49, s[0:1]
	v_add_co_u32_e64 v4, s[0:1], v6, v4
	v_addc_co_u32_e64 v5, s[0:1], v2, v5, s[0:1]
	global_load_ushort v5, v[4:5], off
	s_and_saveexec_b64 s[0:1], vcc
	s_cbranch_execz .LBB6734_141
; %bb.140:
	s_mov_b32 s2, 0x20000
	v_mov_b32_e32 v2, 0
	s_waitcnt vmcnt(0)
	v_or_b32_sdwa v4, v5, s2 dst_sel:DWORD dst_unused:UNUSED_PAD src0_sel:WORD_0 src1_sel:DWORD
	global_store_dword v2, v4, s[26:27] offset:256
.LBB6734_141:
	s_or_b64 exec, exec, s[0:1]
.LBB6734_142:
	s_add_u32 s0, s20, s6
	s_addc_u32 s1, s21, s7
	s_add_u32 s2, s0, s18
	s_addc_u32 s3, s1, s19
	s_mov_b64 s[0:1], -1
	s_and_b64 vcc, exec, s[16:17]
	s_waitcnt lgkmcnt(0)
	; wave barrier
	s_cbranch_vccz .LBB6734_144
; %bb.143:
	s_mov_b32 s0, 0x5040100
	v_perm_b32 v51, v37, v39, s0
	v_perm_b32 v50, v41, v43, s0
	;; [unrolled: 1-line block ×4, first 2 shown]
	ds_write_b128 v1, v[48:51]
	v_perm_b32 v51, v21, v23, s0
	v_perm_b32 v50, v25, v27, s0
	v_perm_b32 v49, v29, v31, s0
	v_perm_b32 v48, v33, v35, s0
	ds_write_b128 v1, v[48:51] offset:16
	s_waitcnt vmcnt(0)
	v_perm_b32 v51, v5, v7, s0
	v_perm_b32 v50, v9, v11, s0
	;; [unrolled: 1-line block ×4, first 2 shown]
	ds_write_b128 v1, v[48:51] offset:32
	s_waitcnt lgkmcnt(0)
	; wave barrier
	s_waitcnt lgkmcnt(0)
	ds_read_u16 v2, v108
	ds_read_u16 v4, v108 offset:128
	ds_read_u16 v6, v108 offset:256
	;; [unrolled: 1-line block ×23, first 2 shown]
	v_mov_b32_e32 v49, s3
	v_add_co_u32_e32 v48, vcc, s2, v108
	v_addc_co_u32_e32 v49, vcc, 0, v49, vcc
	s_waitcnt lgkmcnt(14)
	flat_store_short v[48:49], v2
	flat_store_short v[48:49], v4 offset:128
	flat_store_short v[48:49], v6 offset:256
	;; [unrolled: 1-line block ×9, first 2 shown]
	s_waitcnt lgkmcnt(0)
	flat_store_short v[48:49], v22 offset:1280
	flat_store_short v[48:49], v24 offset:1408
	flat_store_short v[48:49], v26 offset:1536
	flat_store_short v[48:49], v28 offset:1664
	flat_store_short v[48:49], v30 offset:1792
	flat_store_short v[48:49], v32 offset:1920
	flat_store_short v[48:49], v34 offset:2048
	flat_store_short v[48:49], v36 offset:2176
	flat_store_short v[48:49], v38 offset:2304
	flat_store_short v[48:49], v40 offset:2432
	flat_store_short v[48:49], v42 offset:2560
	flat_store_short v[48:49], v44 offset:2688
	flat_store_short v[48:49], v46 offset:2816
	flat_store_short v[48:49], v50 offset:2944
	s_mov_b64 s[0:1], 0
.LBB6734_144:
	s_andn2_b64 vcc, exec, s[0:1]
	s_cbranch_vccnz .LBB6734_201
; %bb.145:
	s_mov_b32 s0, 0x5040100
	v_perm_b32 v39, v37, v39, s0
	v_perm_b32 v38, v41, v43, s0
	;; [unrolled: 1-line block ×8, first 2 shown]
	s_waitcnt vmcnt(0)
	v_perm_b32 v5, v5, v7, s0
	v_perm_b32 v4, v9, v11, s0
	;; [unrolled: 1-line block ×4, first 2 shown]
	ds_write_b128 v1, v[36:39]
	ds_write_b128 v1, v[20:23] offset:16
	ds_write_b128 v1, v[2:5] offset:32
	s_waitcnt lgkmcnt(0)
	; wave barrier
	s_waitcnt lgkmcnt(0)
	ds_read_u16 v5, v108
	ds_read_u16 v4, v108 offset:128
	ds_read_u16 v7, v108 offset:256
	;; [unrolled: 1-line block ×23, first 2 shown]
	v_mov_b32_e32 v3, s3
	v_add_co_u32_e32 v2, vcc, s2, v108
	v_addc_co_u32_e32 v3, vcc, 0, v3, vcc
	v_mov_b32_e32 v1, 0
	v_cmp_gt_u32_e32 vcc, s33, v0
	s_and_saveexec_b64 s[0:1], vcc
	s_cbranch_execz .LBB6734_147
; %bb.146:
	s_waitcnt lgkmcnt(14)
	flat_store_short v[2:3], v5
.LBB6734_147:
	s_or_b64 exec, exec, s[0:1]
	v_or_b32_e32 v28, 64, v0
	v_cmp_gt_u32_e32 vcc, s33, v28
	s_and_saveexec_b64 s[0:1], vcc
	s_cbranch_execz .LBB6734_149
; %bb.148:
	s_waitcnt lgkmcnt(0)
	flat_store_short v[2:3], v4 offset:128
.LBB6734_149:
	s_or_b64 exec, exec, s[0:1]
	v_or_b32_e32 v28, 0x80, v0
	v_cmp_gt_u32_e32 vcc, s33, v28
	s_and_saveexec_b64 s[0:1], vcc
	s_cbranch_execz .LBB6734_151
; %bb.150:
	s_waitcnt lgkmcnt(0)
	flat_store_short v[2:3], v7 offset:256
.LBB6734_151:
	;; [unrolled: 9-line block ×23, first 2 shown]
	s_or_b64 exec, exec, s[0:1]
	v_cmp_lt_u64_e64 s[0:1], s[14:15], 2
	s_and_b64 vcc, exec, s[0:1]
	s_cbranch_vccnz .LBB6734_201
; %bb.194:
	s_add_u32 s0, s33, -1
	s_addc_u32 s1, s40, -1
	s_add_u32 s2, 0, 0xaaaa0000
	s_addc_u32 s3, 0, 42
	s_add_i32 s3, s3, 0xaaaaa80
	s_mul_hi_u32 s7, s2, 0xffffffe8
	s_sub_i32 s7, s7, s2
	s_mul_i32 s8, s3, 0xffffffe8
	s_mul_i32 s4, s2, 0xffffffe8
	s_add_i32 s7, s7, s8
	s_mul_hi_u32 s5, s3, s4
	s_mul_i32 s6, s3, s4
	s_mul_i32 s9, s2, s7
	s_mul_hi_u32 s4, s2, s4
	s_mul_hi_u32 s8, s2, s7
	s_add_u32 s4, s4, s9
	s_addc_u32 s8, 0, s8
	s_add_u32 s4, s4, s6
	s_mul_hi_u32 s9, s3, s7
	s_addc_u32 s4, s8, s5
	s_addc_u32 s5, s9, 0
	s_mul_i32 s6, s3, s7
	s_add_u32 s4, s4, s6
	v_mov_b32_e32 v2, s4
	s_addc_u32 s5, 0, s5
	v_add_co_u32_e32 v2, vcc, s2, v2
	s_cmp_lg_u64 vcc, 0
	s_addc_u32 s2, s3, s5
	v_readfirstlane_b32 s5, v2
	s_mul_i32 s4, s0, s2
	s_mul_hi_u32 s6, s0, s5
	s_mul_hi_u32 s3, s0, s2
	s_add_u32 s4, s6, s4
	s_addc_u32 s3, 0, s3
	s_mul_hi_u32 s7, s1, s5
	s_mul_i32 s5, s1, s5
	s_add_u32 s4, s4, s5
	s_mul_hi_u32 s6, s1, s2
	s_addc_u32 s3, s3, s7
	s_addc_u32 s4, s6, 0
	s_mul_i32 s2, s1, s2
	s_add_u32 s2, s3, s2
	s_addc_u32 s3, 0, s4
	s_add_u32 s4, s2, 1
	s_addc_u32 s5, s3, 0
	s_add_u32 s6, s2, 2
	s_mul_i32 s8, s3, 24
	s_mul_hi_u32 s9, s2, 24
	s_addc_u32 s7, s3, 0
	s_add_i32 s9, s9, s8
	s_mul_i32 s8, s2, 24
	v_mov_b32_e32 v2, s8
	v_sub_co_u32_e32 v2, vcc, s0, v2
	s_cmp_lg_u64 vcc, 0
	s_subb_u32 s8, s1, s9
	v_subrev_co_u32_e32 v3, vcc, 24, v2
	s_cmp_lg_u64 vcc, 0
	s_subb_u32 s9, s8, 0
	v_readfirstlane_b32 s12, v3
	s_cmp_gt_u32 s12, 23
	s_cselect_b32 s12, -1, 0
	s_cmp_eq_u32 s9, 0
	s_cselect_b32 s9, s12, -1
	s_cmp_lg_u32 s9, 0
	s_cselect_b32 s4, s6, s4
	v_readfirstlane_b32 s6, v2
	s_cselect_b32 s5, s7, s5
	s_cmp_gt_u32 s6, 23
	s_cselect_b32 s6, -1, 0
	s_cmp_eq_u32 s8, 0
	s_cselect_b32 s6, s6, -1
	s_cmp_lg_u32 s6, 0
	s_cselect_b32 s3, s5, s3
	s_cselect_b32 s2, s4, s2
	v_cmp_eq_u64_e32 vcc, s[2:3], v[0:1]
	s_and_saveexec_b64 s[2:3], vcc
	s_cbranch_execz .LBB6734_201
; %bb.195:
	v_mul_hi_u32_u24_e32 v1, 24, v0
	v_mov_b32_e32 v2, s1
	v_sub_co_u32_e32 v0, vcc, s0, v109
	v_subb_co_u32_e32 v1, vcc, v2, v1, vcc
	v_cmp_lt_i64_e32 vcc, 11, v[0:1]
	s_mov_b64 s[0:1], 0
	s_mov_b64 s[8:9], 0
	;; [unrolled: 1-line block ×4, first 2 shown]
	s_and_saveexec_b64 s[2:3], vcc
	s_xor_b64 s[2:3], exec, s[2:3]
	s_cbranch_execnz .LBB6734_202
; %bb.196:
	s_andn2_saveexec_b64 s[2:3], s[2:3]
	s_cbranch_execnz .LBB6734_247
.LBB6734_197:
	s_or_b64 exec, exec, s[2:3]
	s_and_saveexec_b64 s[2:3], s[8:9]
	s_cbranch_execnz .LBB6734_264
.LBB6734_198:
	s_or_b64 exec, exec, s[2:3]
	s_and_saveexec_b64 s[2:3], s[6:7]
	s_cbranch_execnz .LBB6734_265
.LBB6734_199:
	s_or_b64 exec, exec, s[2:3]
	s_and_saveexec_b64 s[2:3], s[4:5]
	s_xor_b64 s[2:3], exec, s[2:3]
	s_cbranch_execnz .LBB6734_266
.LBB6734_200:
	s_or_b64 exec, exec, s[2:3]
	s_and_b64 exec, exec, s[0:1]
	s_cbranch_execnz .LBB6734_267
.LBB6734_201:
	s_endpgm
.LBB6734_202:
	v_cmp_lt_i64_e32 vcc, 17, v[0:1]
	s_and_saveexec_b64 s[12:13], vcc
	s_xor_b64 s[12:13], exec, s[12:13]
	s_cbranch_execz .LBB6734_224
; %bb.203:
	v_cmp_lt_i64_e32 vcc, 20, v[0:1]
                                        ; implicit-def: $vgpr10
	s_and_saveexec_b64 s[14:15], vcc
	s_xor_b64 s[14:15], exec, s[14:15]
	s_cbranch_execz .LBB6734_213
; %bb.204:
	v_cmp_lt_i64_e32 vcc, 21, v[0:1]
	s_mov_b64 s[16:17], 0
                                        ; implicit-def: $vgpr10
	s_and_saveexec_b64 s[4:5], vcc
	s_xor_b64 s[4:5], exec, s[4:5]
	s_cbranch_execz .LBB6734_210
; %bb.205:
	v_cmp_lt_i64_e32 vcc, 22, v[0:1]
	s_and_saveexec_b64 s[16:17], vcc
	s_xor_b64 s[16:17], exec, s[16:17]
	s_cbranch_execz .LBB6734_207
; %bb.206:
	v_mov_b32_e32 v2, 0
	s_waitcnt lgkmcnt(0)
	global_store_short v2, v27, s[10:11]
                                        ; implicit-def: $vgpr26
.LBB6734_207:
	s_or_saveexec_b64 s[16:17], s[16:17]
	s_mov_b64 s[18:19], 0
	s_xor_b64 exec, exec, s[16:17]
; %bb.208:
	s_mov_b64 s[18:19], exec
; %bb.209:
	s_or_b64 exec, exec, s[16:17]
	s_and_b64 s[16:17], s[18:19], exec
	s_waitcnt lgkmcnt(0)
	v_mov_b32_e32 v10, v26
                                        ; implicit-def: $vgpr11
.LBB6734_210:
	s_andn2_saveexec_b64 s[4:5], s[4:5]
; %bb.211:
	s_mov_b64 s[6:7], exec
                                        ; implicit-def: $vgpr10
; %bb.212:
	s_or_b64 exec, exec, s[4:5]
	s_and_b64 s[4:5], s[16:17], exec
	s_and_b64 s[6:7], s[6:7], exec
                                        ; implicit-def: $vgpr24
                                        ; implicit-def: $vgpr12
                                        ; implicit-def: $vgpr21
.LBB6734_213:
	s_andn2_saveexec_b64 s[14:15], s[14:15]
	s_cbranch_execz .LBB6734_223
; %bb.214:
	v_cmp_lt_i64_e32 vcc, 18, v[0:1]
	s_mov_b64 s[16:17], 0
	s_and_saveexec_b64 s[8:9], vcc
	s_xor_b64 s[8:9], exec, s[8:9]
	s_cbranch_execz .LBB6734_220
; %bb.215:
	v_cmp_lt_i64_e32 vcc, 19, v[0:1]
	s_and_saveexec_b64 s[18:19], vcc
	s_xor_b64 s[18:19], exec, s[18:19]
; %bb.216:
	s_mov_b64 s[16:17], exec
                                        ; implicit-def: $vgpr21
; %bb.217:
	s_andn2_saveexec_b64 s[18:19], s[18:19]
	s_cbranch_execz .LBB6734_219
; %bb.218:
	v_mov_b32_e32 v2, 0
	s_waitcnt lgkmcnt(0)
	global_store_short v2, v21, s[10:11]
                                        ; implicit-def: $vgpr12
.LBB6734_219:
	s_or_b64 exec, exec, s[18:19]
	s_and_b64 s[16:17], s[16:17], exec
                                        ; implicit-def: $vgpr24
.LBB6734_220:
	s_andn2_saveexec_b64 s[8:9], s[8:9]
	s_cbranch_execz .LBB6734_222
; %bb.221:
	v_mov_b32_e32 v2, 0
	s_waitcnt lgkmcnt(0)
	global_store_short v2, v24, s[10:11]
                                        ; implicit-def: $vgpr12
.LBB6734_222:
	s_or_b64 exec, exec, s[8:9]
	s_and_b64 s[8:9], s[16:17], exec
                                        ; implicit-def: $vgpr10
                                        ; implicit-def: $vgpr11
.LBB6734_223:
	s_or_b64 exec, exec, s[14:15]
	s_and_b64 s[4:5], s[4:5], exec
	s_and_b64 s[6:7], s[6:7], exec
	;; [unrolled: 1-line block ×3, first 2 shown]
                                        ; implicit-def: $vgpr18
                                        ; implicit-def: $vgpr13
                                        ; implicit-def: $vgpr14
                                        ; implicit-def: $vgpr22
                                        ; implicit-def: $vgpr25
.LBB6734_224:
	s_andn2_saveexec_b64 s[12:13], s[12:13]
	s_cbranch_execz .LBB6734_246
; %bb.225:
	v_cmp_lt_i64_e32 vcc, 14, v[0:1]
	s_mov_b64 s[14:15], s[4:5]
	s_and_saveexec_b64 s[16:17], vcc
	s_xor_b64 s[16:17], exec, s[16:17]
	s_cbranch_execz .LBB6734_235
; %bb.226:
	v_cmp_lt_i64_e32 vcc, 15, v[0:1]
	s_and_saveexec_b64 s[14:15], vcc
	s_xor_b64 s[14:15], exec, s[14:15]
	s_cbranch_execz .LBB6734_232
; %bb.227:
	v_cmp_lt_i64_e32 vcc, 16, v[0:1]
	s_and_saveexec_b64 s[18:19], vcc
	s_xor_b64 s[18:19], exec, s[18:19]
	s_cbranch_execz .LBB6734_229
; %bb.228:
	v_mov_b32_e32 v2, 0
	s_waitcnt lgkmcnt(0)
	global_store_short v2, v25, s[10:11]
                                        ; implicit-def: $vgpr22
.LBB6734_229:
	s_andn2_saveexec_b64 s[18:19], s[18:19]
	s_cbranch_execz .LBB6734_231
; %bb.230:
	v_mov_b32_e32 v2, 0
	s_waitcnt lgkmcnt(0)
	global_store_short v2, v22, s[10:11]
.LBB6734_231:
	s_or_b64 exec, exec, s[18:19]
                                        ; implicit-def: $vgpr10
.LBB6734_232:
	s_or_saveexec_b64 s[14:15], s[14:15]
	s_mov_b64 s[18:19], s[4:5]
	s_xor_b64 exec, exec, s[14:15]
; %bb.233:
	s_or_b64 s[18:19], s[4:5], exec
; %bb.234:
	s_or_b64 exec, exec, s[14:15]
	s_andn2_b64 s[14:15], s[4:5], exec
	s_and_b64 s[18:19], s[18:19], exec
	s_or_b64 s[14:15], s[14:15], s[18:19]
                                        ; implicit-def: $vgpr18
                                        ; implicit-def: $vgpr13
                                        ; implicit-def: $vgpr14
.LBB6734_235:
	s_or_saveexec_b64 s[16:17], s[16:17]
	s_mov_b64 s[18:19], s[6:7]
                                        ; implicit-def: $vgpr11
	s_xor_b64 exec, exec, s[16:17]
	s_cbranch_execz .LBB6734_245
; %bb.236:
	v_cmp_lt_i64_e32 vcc, 12, v[0:1]
	s_mov_b64 s[20:21], s[6:7]
	s_mov_b64 s[22:23], s[14:15]
                                        ; implicit-def: $vgpr10
                                        ; implicit-def: $vgpr11
	s_and_saveexec_b64 s[18:19], vcc
	s_xor_b64 s[18:19], exec, s[18:19]
	s_cbranch_execz .LBB6734_242
; %bb.237:
	v_cmp_lt_i64_e32 vcc, 13, v[0:1]
	s_mov_b64 s[20:21], s[14:15]
	s_and_saveexec_b64 s[22:23], vcc
	s_xor_b64 s[22:23], exec, s[22:23]
; %bb.238:
	s_or_b64 s[20:21], s[14:15], exec
                                        ; implicit-def: $vgpr13
; %bb.239:
	s_or_saveexec_b64 s[22:23], s[22:23]
	s_mov_b64 s[24:25], s[6:7]
	s_xor_b64 exec, exec, s[22:23]
; %bb.240:
	s_or_b64 s[24:25], s[6:7], exec
                                        ; implicit-def: $vgpr14
; %bb.241:
	s_or_b64 exec, exec, s[22:23]
	s_andn2_b64 s[22:23], s[14:15], exec
	s_and_b64 s[20:21], s[20:21], exec
	s_or_b64 s[22:23], s[22:23], s[20:21]
	s_andn2_b64 s[20:21], s[6:7], exec
	s_and_b64 s[24:25], s[24:25], exec
	s_or_b64 s[20:21], s[20:21], s[24:25]
	s_waitcnt lgkmcnt(0)
	v_mov_b32_e32 v10, v14
	v_mov_b32_e32 v11, v13
                                        ; implicit-def: $vgpr18
.LBB6734_242:
	s_andn2_saveexec_b64 s[18:19], s[18:19]
	s_cbranch_execz .LBB6734_244
; %bb.243:
	s_or_b64 s[20:21], s[20:21], exec
                                        ; implicit-def: $vgpr10
	s_waitcnt lgkmcnt(0)
	v_mov_b32_e32 v11, v18
.LBB6734_244:
	s_or_b64 exec, exec, s[18:19]
	s_andn2_b64 s[14:15], s[14:15], exec
	s_and_b64 s[18:19], s[22:23], exec
	s_or_b64 s[14:15], s[14:15], s[18:19]
	s_andn2_b64 s[18:19], s[6:7], exec
	s_and_b64 s[20:21], s[20:21], exec
	s_or_b64 s[18:19], s[18:19], s[20:21]
.LBB6734_245:
	s_or_b64 exec, exec, s[16:17]
	s_andn2_b64 s[4:5], s[4:5], exec
	s_and_b64 s[14:15], s[14:15], exec
	s_or_b64 s[4:5], s[4:5], s[14:15]
	s_andn2_b64 s[6:7], s[6:7], exec
	s_and_b64 s[14:15], s[18:19], exec
	s_or_b64 s[6:7], s[6:7], s[14:15]
                                        ; implicit-def: $vgpr12
.LBB6734_246:
	s_or_b64 exec, exec, s[12:13]
	s_and_b64 s[4:5], s[4:5], exec
	s_and_b64 s[6:7], s[6:7], exec
	;; [unrolled: 1-line block ×3, first 2 shown]
                                        ; implicit-def: $vgpr17
                                        ; implicit-def: $vgpr15
                                        ; implicit-def: $vgpr16
                                        ; implicit-def: $vgpr23
                                        ; implicit-def: $vgpr20
                                        ; implicit-def: $vgpr19
	s_andn2_saveexec_b64 s[2:3], s[2:3]
	s_cbranch_execz .LBB6734_197
.LBB6734_247:
	v_cmp_lt_i64_e32 vcc, 5, v[0:1]
	s_mov_b64 s[14:15], -1
	s_mov_b64 s[12:13], s[8:9]
	s_mov_b64 s[16:17], s[6:7]
	;; [unrolled: 1-line block ×3, first 2 shown]
                                        ; implicit-def: $vgpr10
                                        ; implicit-def: $vgpr11
                                        ; implicit-def: $vgpr12
	s_and_saveexec_b64 s[0:1], vcc
	s_cbranch_execz .LBB6734_263
; %bb.248:
	v_cmp_lt_i64_e32 vcc, 8, v[0:1]
	s_mov_b64 s[12:13], s[8:9]
                                        ; implicit-def: $vgpr12
	s_and_saveexec_b64 s[14:15], vcc
	s_xor_b64 s[14:15], exec, s[14:15]
	s_cbranch_execz .LBB6734_258
; %bb.249:
	v_cmp_lt_i64_e32 vcc, 9, v[0:1]
	s_and_saveexec_b64 s[12:13], vcc
	s_xor_b64 s[12:13], exec, s[12:13]
	s_cbranch_execz .LBB6734_255
; %bb.250:
	v_cmp_lt_i64_e32 vcc, 10, v[0:1]
	s_and_saveexec_b64 s[16:17], vcc
	s_xor_b64 s[16:17], exec, s[16:17]
; %bb.251:
                                        ; implicit-def: $vgpr20
; %bb.252:
	s_andn2_saveexec_b64 s[16:17], s[16:17]
	s_cbranch_execz .LBB6734_254
; %bb.253:
	s_waitcnt lgkmcnt(0)
	v_mov_b32_e32 v19, v20
.LBB6734_254:
	s_or_b64 exec, exec, s[16:17]
                                        ; implicit-def: $vgpr23
.LBB6734_255:
	s_andn2_saveexec_b64 s[12:13], s[12:13]
	s_cbranch_execz .LBB6734_257
; %bb.256:
	s_waitcnt lgkmcnt(0)
	v_mov_b32_e32 v19, v23
.LBB6734_257:
	s_or_b64 exec, exec, s[12:13]
	s_or_b64 s[12:13], s[8:9], exec
	s_waitcnt lgkmcnt(0)
	v_mov_b32_e32 v12, v19
                                        ; implicit-def: $vgpr17
                                        ; implicit-def: $vgpr15
                                        ; implicit-def: $vgpr16
.LBB6734_258:
	s_or_saveexec_b64 s[14:15], s[14:15]
	s_mov_b64 s[16:17], s[6:7]
	s_mov_b64 s[20:21], s[4:5]
                                        ; implicit-def: $vgpr10
                                        ; implicit-def: $vgpr11
	s_xor_b64 exec, exec, s[14:15]
	s_cbranch_execz .LBB6734_262
; %bb.259:
	v_cmp_lt_i64_e32 vcc, 6, v[0:1]
	s_mov_b64 s[20:21], -1
	s_mov_b64 s[18:19], s[12:13]
	s_mov_b64 s[16:17], s[6:7]
	s_and_saveexec_b64 s[22:23], vcc
; %bb.260:
	v_cmp_lt_i64_e32 vcc, 7, v[0:1]
	s_andn2_b64 s[18:19], s[12:13], exec
	s_and_b64 s[24:25], vcc, exec
	s_xor_b64 s[20:21], exec, -1
	s_or_b64 s[16:17], s[6:7], exec
	s_or_b64 s[18:19], s[18:19], s[24:25]
                                        ; implicit-def: $vgpr17
; %bb.261:
	s_or_b64 exec, exec, s[22:23]
	s_andn2_b64 s[22:23], s[4:5], exec
	s_and_b64 s[20:21], s[20:21], exec
	s_or_b64 s[20:21], s[22:23], s[20:21]
	s_andn2_b64 s[22:23], s[6:7], exec
	s_and_b64 s[16:17], s[16:17], exec
	s_andn2_b64 s[12:13], s[12:13], exec
	s_and_b64 s[18:19], s[18:19], exec
	s_or_b64 s[16:17], s[22:23], s[16:17]
	s_or_b64 s[12:13], s[12:13], s[18:19]
	s_waitcnt lgkmcnt(0)
	v_mov_b32_e32 v10, v17
	v_mov_b32_e32 v11, v15
	v_mov_b32_e32 v12, v16
.LBB6734_262:
	s_or_b64 exec, exec, s[14:15]
	s_andn2_b64 s[18:19], s[4:5], exec
	s_and_b64 s[20:21], s[20:21], exec
	s_or_b64 s[18:19], s[18:19], s[20:21]
	s_andn2_b64 s[20:21], s[6:7], exec
	s_and_b64 s[16:17], s[16:17], exec
	s_or_b64 s[16:17], s[20:21], s[16:17]
	s_andn2_b64 s[20:21], s[8:9], exec
	s_and_b64 s[12:13], s[12:13], exec
	s_xor_b64 s[14:15], exec, -1
	s_or_b64 s[12:13], s[20:21], s[12:13]
.LBB6734_263:
	s_or_b64 exec, exec, s[0:1]
	s_and_b64 s[0:1], s[14:15], exec
	s_andn2_b64 s[4:5], s[4:5], exec
	s_and_b64 s[14:15], s[18:19], exec
	s_or_b64 s[4:5], s[4:5], s[14:15]
	s_andn2_b64 s[6:7], s[6:7], exec
	s_and_b64 s[14:15], s[16:17], exec
	s_andn2_b64 s[8:9], s[8:9], exec
	s_and_b64 s[12:13], s[12:13], exec
	s_or_b64 s[6:7], s[6:7], s[14:15]
	s_or_b64 s[8:9], s[8:9], s[12:13]
	s_or_b64 exec, exec, s[2:3]
	s_and_saveexec_b64 s[2:3], s[8:9]
	s_cbranch_execz .LBB6734_198
.LBB6734_264:
	v_mov_b32_e32 v2, 0
	s_andn2_b64 s[6:7], s[6:7], exec
	s_waitcnt lgkmcnt(0)
	global_store_short v2, v12, s[10:11]
                                        ; implicit-def: $vgpr10
                                        ; implicit-def: $vgpr11
	s_or_b64 exec, exec, s[2:3]
	s_and_saveexec_b64 s[2:3], s[6:7]
	s_cbranch_execz .LBB6734_199
.LBB6734_265:
	v_mov_b32_e32 v2, 0
	s_waitcnt lgkmcnt(0)
	global_store_short v2, v11, s[10:11]
                                        ; implicit-def: $vgpr10
	s_or_b64 exec, exec, s[2:3]
	s_and_saveexec_b64 s[2:3], s[4:5]
	s_xor_b64 s[2:3], exec, s[2:3]
	s_cbranch_execz .LBB6734_200
.LBB6734_266:
	v_mov_b32_e32 v2, 0
	s_waitcnt lgkmcnt(0)
	global_store_short v2, v10, s[10:11]
	s_or_b64 exec, exec, s[2:3]
	s_and_b64 exec, exec, s[0:1]
	s_cbranch_execz .LBB6734_201
.LBB6734_267:
	v_cmp_lt_i64_e32 vcc, 2, v[0:1]
	s_and_saveexec_b64 s[0:1], vcc
	s_xor_b64 s[0:1], exec, s[0:1]
	s_cbranch_execz .LBB6734_277
; %bb.268:
	v_cmp_lt_i64_e32 vcc, 3, v[0:1]
	s_and_saveexec_b64 s[2:3], vcc
	s_xor_b64 s[2:3], exec, s[2:3]
	s_cbranch_execz .LBB6734_274
; %bb.269:
	;; [unrolled: 5-line block ×3, first 2 shown]
	v_mov_b32_e32 v0, 0
	s_waitcnt lgkmcnt(0)
	global_store_short v0, v9, s[10:11]
                                        ; implicit-def: $vgpr6
.LBB6734_271:
	s_andn2_saveexec_b64 s[4:5], s[4:5]
	s_cbranch_execz .LBB6734_273
; %bb.272:
	v_mov_b32_e32 v0, 0
	s_waitcnt lgkmcnt(0)
	global_store_short v0, v6, s[10:11]
.LBB6734_273:
	s_or_b64 exec, exec, s[4:5]
                                        ; implicit-def: $vgpr8
.LBB6734_274:
	s_andn2_saveexec_b64 s[2:3], s[2:3]
	s_cbranch_execz .LBB6734_276
; %bb.275:
	v_mov_b32_e32 v0, 0
	s_waitcnt lgkmcnt(0)
	global_store_short v0, v8, s[10:11]
.LBB6734_276:
	s_or_b64 exec, exec, s[2:3]
                                        ; implicit-def: $vgpr0_vgpr1
                                        ; implicit-def: $vgpr7
                                        ; implicit-def: $vgpr4
                                        ; implicit-def: $vgpr5
.LBB6734_277:
	s_andn2_saveexec_b64 s[0:1], s[0:1]
	s_cbranch_execz .LBB6734_201
; %bb.278:
	v_cmp_lt_i64_e32 vcc, 1, v[0:1]
	s_and_saveexec_b64 s[0:1], vcc
	s_xor_b64 s[0:1], exec, s[0:1]
	s_cbranch_execz .LBB6734_280
; %bb.279:
	v_mov_b32_e32 v0, 0
	s_waitcnt lgkmcnt(0)
	global_store_short v0, v7, s[10:11]
                                        ; implicit-def: $vgpr4
                                        ; implicit-def: $vgpr0_vgpr1
                                        ; implicit-def: $vgpr5
.LBB6734_280:
	s_andn2_saveexec_b64 s[0:1], s[0:1]
	s_cbranch_execz .LBB6734_201
; %bb.281:
	v_cmp_ne_u64_e32 vcc, 1, v[0:1]
	s_and_saveexec_b64 s[0:1], vcc
	s_xor_b64 s[0:1], exec, s[0:1]
	s_cbranch_execz .LBB6734_283
; %bb.282:
	v_mov_b32_e32 v0, 0
	s_waitcnt lgkmcnt(0)
	global_store_short v0, v5, s[10:11]
                                        ; implicit-def: $vgpr4
.LBB6734_283:
	s_andn2_saveexec_b64 s[0:1], s[0:1]
	s_cbranch_execz .LBB6734_201
; %bb.284:
	v_mov_b32_e32 v0, 0
	s_waitcnt lgkmcnt(0)
	global_store_short v0, v4, s[10:11]
	s_endpgm
	.section	.rodata,"a",@progbits
	.p2align	6, 0x0
	.amdhsa_kernel _ZN7rocprim17ROCPRIM_400000_NS6detail17trampoline_kernelINS0_14default_configENS1_20scan_config_selectorIsEEZZNS1_9scan_implILNS1_25lookback_scan_determinismE0ELb0ELb0ES3_N6thrust23THRUST_200600_302600_NS6detail15normal_iteratorINS9_10device_ptrIsEEEESE_s9plus_mod3IsEsEEDaPvRmT3_T4_T5_mT6_P12ihipStream_tbENKUlT_T0_E_clISt17integral_constantIbLb0EEST_IbLb1EEEEDaSP_SQ_EUlSP_E_NS1_11comp_targetILNS1_3genE4ELNS1_11target_archE910ELNS1_3gpuE8ELNS1_3repE0EEENS1_30default_config_static_selectorELNS0_4arch9wavefront6targetE1EEEvT1_
		.amdhsa_group_segment_fixed_size 3072
		.amdhsa_private_segment_fixed_size 0
		.amdhsa_kernarg_size 104
		.amdhsa_user_sgpr_count 6
		.amdhsa_user_sgpr_private_segment_buffer 1
		.amdhsa_user_sgpr_dispatch_ptr 0
		.amdhsa_user_sgpr_queue_ptr 0
		.amdhsa_user_sgpr_kernarg_segment_ptr 1
		.amdhsa_user_sgpr_dispatch_id 0
		.amdhsa_user_sgpr_flat_scratch_init 0
		.amdhsa_user_sgpr_kernarg_preload_length 0
		.amdhsa_user_sgpr_kernarg_preload_offset 0
		.amdhsa_user_sgpr_private_segment_size 0
		.amdhsa_uses_dynamic_stack 0
		.amdhsa_system_sgpr_private_segment_wavefront_offset 0
		.amdhsa_system_sgpr_workgroup_id_x 1
		.amdhsa_system_sgpr_workgroup_id_y 0
		.amdhsa_system_sgpr_workgroup_id_z 0
		.amdhsa_system_sgpr_workgroup_info 0
		.amdhsa_system_vgpr_workitem_id 0
		.amdhsa_next_free_vgpr 114
		.amdhsa_next_free_sgpr 44
		.amdhsa_accum_offset 116
		.amdhsa_reserve_vcc 1
		.amdhsa_reserve_flat_scratch 0
		.amdhsa_float_round_mode_32 0
		.amdhsa_float_round_mode_16_64 0
		.amdhsa_float_denorm_mode_32 3
		.amdhsa_float_denorm_mode_16_64 3
		.amdhsa_dx10_clamp 1
		.amdhsa_ieee_mode 1
		.amdhsa_fp16_overflow 0
		.amdhsa_tg_split 0
		.amdhsa_exception_fp_ieee_invalid_op 0
		.amdhsa_exception_fp_denorm_src 0
		.amdhsa_exception_fp_ieee_div_zero 0
		.amdhsa_exception_fp_ieee_overflow 0
		.amdhsa_exception_fp_ieee_underflow 0
		.amdhsa_exception_fp_ieee_inexact 0
		.amdhsa_exception_int_div_zero 0
	.end_amdhsa_kernel
	.section	.text._ZN7rocprim17ROCPRIM_400000_NS6detail17trampoline_kernelINS0_14default_configENS1_20scan_config_selectorIsEEZZNS1_9scan_implILNS1_25lookback_scan_determinismE0ELb0ELb0ES3_N6thrust23THRUST_200600_302600_NS6detail15normal_iteratorINS9_10device_ptrIsEEEESE_s9plus_mod3IsEsEEDaPvRmT3_T4_T5_mT6_P12ihipStream_tbENKUlT_T0_E_clISt17integral_constantIbLb0EEST_IbLb1EEEEDaSP_SQ_EUlSP_E_NS1_11comp_targetILNS1_3genE4ELNS1_11target_archE910ELNS1_3gpuE8ELNS1_3repE0EEENS1_30default_config_static_selectorELNS0_4arch9wavefront6targetE1EEEvT1_,"axG",@progbits,_ZN7rocprim17ROCPRIM_400000_NS6detail17trampoline_kernelINS0_14default_configENS1_20scan_config_selectorIsEEZZNS1_9scan_implILNS1_25lookback_scan_determinismE0ELb0ELb0ES3_N6thrust23THRUST_200600_302600_NS6detail15normal_iteratorINS9_10device_ptrIsEEEESE_s9plus_mod3IsEsEEDaPvRmT3_T4_T5_mT6_P12ihipStream_tbENKUlT_T0_E_clISt17integral_constantIbLb0EEST_IbLb1EEEEDaSP_SQ_EUlSP_E_NS1_11comp_targetILNS1_3genE4ELNS1_11target_archE910ELNS1_3gpuE8ELNS1_3repE0EEENS1_30default_config_static_selectorELNS0_4arch9wavefront6targetE1EEEvT1_,comdat
.Lfunc_end6734:
	.size	_ZN7rocprim17ROCPRIM_400000_NS6detail17trampoline_kernelINS0_14default_configENS1_20scan_config_selectorIsEEZZNS1_9scan_implILNS1_25lookback_scan_determinismE0ELb0ELb0ES3_N6thrust23THRUST_200600_302600_NS6detail15normal_iteratorINS9_10device_ptrIsEEEESE_s9plus_mod3IsEsEEDaPvRmT3_T4_T5_mT6_P12ihipStream_tbENKUlT_T0_E_clISt17integral_constantIbLb0EEST_IbLb1EEEEDaSP_SQ_EUlSP_E_NS1_11comp_targetILNS1_3genE4ELNS1_11target_archE910ELNS1_3gpuE8ELNS1_3repE0EEENS1_30default_config_static_selectorELNS0_4arch9wavefront6targetE1EEEvT1_, .Lfunc_end6734-_ZN7rocprim17ROCPRIM_400000_NS6detail17trampoline_kernelINS0_14default_configENS1_20scan_config_selectorIsEEZZNS1_9scan_implILNS1_25lookback_scan_determinismE0ELb0ELb0ES3_N6thrust23THRUST_200600_302600_NS6detail15normal_iteratorINS9_10device_ptrIsEEEESE_s9plus_mod3IsEsEEDaPvRmT3_T4_T5_mT6_P12ihipStream_tbENKUlT_T0_E_clISt17integral_constantIbLb0EEST_IbLb1EEEEDaSP_SQ_EUlSP_E_NS1_11comp_targetILNS1_3genE4ELNS1_11target_archE910ELNS1_3gpuE8ELNS1_3repE0EEENS1_30default_config_static_selectorELNS0_4arch9wavefront6targetE1EEEvT1_
                                        ; -- End function
	.section	.AMDGPU.csdata,"",@progbits
; Kernel info:
; codeLenInByte = 15572
; NumSgprs: 48
; NumVgprs: 114
; NumAgprs: 0
; TotalNumVgprs: 114
; ScratchSize: 0
; MemoryBound: 0
; FloatMode: 240
; IeeeMode: 1
; LDSByteSize: 3072 bytes/workgroup (compile time only)
; SGPRBlocks: 5
; VGPRBlocks: 14
; NumSGPRsForWavesPerEU: 48
; NumVGPRsForWavesPerEU: 114
; AccumOffset: 116
; Occupancy: 4
; WaveLimiterHint : 1
; COMPUTE_PGM_RSRC2:SCRATCH_EN: 0
; COMPUTE_PGM_RSRC2:USER_SGPR: 6
; COMPUTE_PGM_RSRC2:TRAP_HANDLER: 0
; COMPUTE_PGM_RSRC2:TGID_X_EN: 1
; COMPUTE_PGM_RSRC2:TGID_Y_EN: 0
; COMPUTE_PGM_RSRC2:TGID_Z_EN: 0
; COMPUTE_PGM_RSRC2:TIDIG_COMP_CNT: 0
; COMPUTE_PGM_RSRC3_GFX90A:ACCUM_OFFSET: 28
; COMPUTE_PGM_RSRC3_GFX90A:TG_SPLIT: 0
	.section	.text._ZN7rocprim17ROCPRIM_400000_NS6detail17trampoline_kernelINS0_14default_configENS1_20scan_config_selectorIsEEZZNS1_9scan_implILNS1_25lookback_scan_determinismE0ELb0ELb0ES3_N6thrust23THRUST_200600_302600_NS6detail15normal_iteratorINS9_10device_ptrIsEEEESE_s9plus_mod3IsEsEEDaPvRmT3_T4_T5_mT6_P12ihipStream_tbENKUlT_T0_E_clISt17integral_constantIbLb0EEST_IbLb1EEEEDaSP_SQ_EUlSP_E_NS1_11comp_targetILNS1_3genE3ELNS1_11target_archE908ELNS1_3gpuE7ELNS1_3repE0EEENS1_30default_config_static_selectorELNS0_4arch9wavefront6targetE1EEEvT1_,"axG",@progbits,_ZN7rocprim17ROCPRIM_400000_NS6detail17trampoline_kernelINS0_14default_configENS1_20scan_config_selectorIsEEZZNS1_9scan_implILNS1_25lookback_scan_determinismE0ELb0ELb0ES3_N6thrust23THRUST_200600_302600_NS6detail15normal_iteratorINS9_10device_ptrIsEEEESE_s9plus_mod3IsEsEEDaPvRmT3_T4_T5_mT6_P12ihipStream_tbENKUlT_T0_E_clISt17integral_constantIbLb0EEST_IbLb1EEEEDaSP_SQ_EUlSP_E_NS1_11comp_targetILNS1_3genE3ELNS1_11target_archE908ELNS1_3gpuE7ELNS1_3repE0EEENS1_30default_config_static_selectorELNS0_4arch9wavefront6targetE1EEEvT1_,comdat
	.protected	_ZN7rocprim17ROCPRIM_400000_NS6detail17trampoline_kernelINS0_14default_configENS1_20scan_config_selectorIsEEZZNS1_9scan_implILNS1_25lookback_scan_determinismE0ELb0ELb0ES3_N6thrust23THRUST_200600_302600_NS6detail15normal_iteratorINS9_10device_ptrIsEEEESE_s9plus_mod3IsEsEEDaPvRmT3_T4_T5_mT6_P12ihipStream_tbENKUlT_T0_E_clISt17integral_constantIbLb0EEST_IbLb1EEEEDaSP_SQ_EUlSP_E_NS1_11comp_targetILNS1_3genE3ELNS1_11target_archE908ELNS1_3gpuE7ELNS1_3repE0EEENS1_30default_config_static_selectorELNS0_4arch9wavefront6targetE1EEEvT1_ ; -- Begin function _ZN7rocprim17ROCPRIM_400000_NS6detail17trampoline_kernelINS0_14default_configENS1_20scan_config_selectorIsEEZZNS1_9scan_implILNS1_25lookback_scan_determinismE0ELb0ELb0ES3_N6thrust23THRUST_200600_302600_NS6detail15normal_iteratorINS9_10device_ptrIsEEEESE_s9plus_mod3IsEsEEDaPvRmT3_T4_T5_mT6_P12ihipStream_tbENKUlT_T0_E_clISt17integral_constantIbLb0EEST_IbLb1EEEEDaSP_SQ_EUlSP_E_NS1_11comp_targetILNS1_3genE3ELNS1_11target_archE908ELNS1_3gpuE7ELNS1_3repE0EEENS1_30default_config_static_selectorELNS0_4arch9wavefront6targetE1EEEvT1_
	.globl	_ZN7rocprim17ROCPRIM_400000_NS6detail17trampoline_kernelINS0_14default_configENS1_20scan_config_selectorIsEEZZNS1_9scan_implILNS1_25lookback_scan_determinismE0ELb0ELb0ES3_N6thrust23THRUST_200600_302600_NS6detail15normal_iteratorINS9_10device_ptrIsEEEESE_s9plus_mod3IsEsEEDaPvRmT3_T4_T5_mT6_P12ihipStream_tbENKUlT_T0_E_clISt17integral_constantIbLb0EEST_IbLb1EEEEDaSP_SQ_EUlSP_E_NS1_11comp_targetILNS1_3genE3ELNS1_11target_archE908ELNS1_3gpuE7ELNS1_3repE0EEENS1_30default_config_static_selectorELNS0_4arch9wavefront6targetE1EEEvT1_
	.p2align	8
	.type	_ZN7rocprim17ROCPRIM_400000_NS6detail17trampoline_kernelINS0_14default_configENS1_20scan_config_selectorIsEEZZNS1_9scan_implILNS1_25lookback_scan_determinismE0ELb0ELb0ES3_N6thrust23THRUST_200600_302600_NS6detail15normal_iteratorINS9_10device_ptrIsEEEESE_s9plus_mod3IsEsEEDaPvRmT3_T4_T5_mT6_P12ihipStream_tbENKUlT_T0_E_clISt17integral_constantIbLb0EEST_IbLb1EEEEDaSP_SQ_EUlSP_E_NS1_11comp_targetILNS1_3genE3ELNS1_11target_archE908ELNS1_3gpuE7ELNS1_3repE0EEENS1_30default_config_static_selectorELNS0_4arch9wavefront6targetE1EEEvT1_,@function
_ZN7rocprim17ROCPRIM_400000_NS6detail17trampoline_kernelINS0_14default_configENS1_20scan_config_selectorIsEEZZNS1_9scan_implILNS1_25lookback_scan_determinismE0ELb0ELb0ES3_N6thrust23THRUST_200600_302600_NS6detail15normal_iteratorINS9_10device_ptrIsEEEESE_s9plus_mod3IsEsEEDaPvRmT3_T4_T5_mT6_P12ihipStream_tbENKUlT_T0_E_clISt17integral_constantIbLb0EEST_IbLb1EEEEDaSP_SQ_EUlSP_E_NS1_11comp_targetILNS1_3genE3ELNS1_11target_archE908ELNS1_3gpuE7ELNS1_3repE0EEENS1_30default_config_static_selectorELNS0_4arch9wavefront6targetE1EEEvT1_: ; @_ZN7rocprim17ROCPRIM_400000_NS6detail17trampoline_kernelINS0_14default_configENS1_20scan_config_selectorIsEEZZNS1_9scan_implILNS1_25lookback_scan_determinismE0ELb0ELb0ES3_N6thrust23THRUST_200600_302600_NS6detail15normal_iteratorINS9_10device_ptrIsEEEESE_s9plus_mod3IsEsEEDaPvRmT3_T4_T5_mT6_P12ihipStream_tbENKUlT_T0_E_clISt17integral_constantIbLb0EEST_IbLb1EEEEDaSP_SQ_EUlSP_E_NS1_11comp_targetILNS1_3genE3ELNS1_11target_archE908ELNS1_3gpuE7ELNS1_3repE0EEENS1_30default_config_static_selectorELNS0_4arch9wavefront6targetE1EEEvT1_
; %bb.0:
	.section	.rodata,"a",@progbits
	.p2align	6, 0x0
	.amdhsa_kernel _ZN7rocprim17ROCPRIM_400000_NS6detail17trampoline_kernelINS0_14default_configENS1_20scan_config_selectorIsEEZZNS1_9scan_implILNS1_25lookback_scan_determinismE0ELb0ELb0ES3_N6thrust23THRUST_200600_302600_NS6detail15normal_iteratorINS9_10device_ptrIsEEEESE_s9plus_mod3IsEsEEDaPvRmT3_T4_T5_mT6_P12ihipStream_tbENKUlT_T0_E_clISt17integral_constantIbLb0EEST_IbLb1EEEEDaSP_SQ_EUlSP_E_NS1_11comp_targetILNS1_3genE3ELNS1_11target_archE908ELNS1_3gpuE7ELNS1_3repE0EEENS1_30default_config_static_selectorELNS0_4arch9wavefront6targetE1EEEvT1_
		.amdhsa_group_segment_fixed_size 0
		.amdhsa_private_segment_fixed_size 0
		.amdhsa_kernarg_size 104
		.amdhsa_user_sgpr_count 6
		.amdhsa_user_sgpr_private_segment_buffer 1
		.amdhsa_user_sgpr_dispatch_ptr 0
		.amdhsa_user_sgpr_queue_ptr 0
		.amdhsa_user_sgpr_kernarg_segment_ptr 1
		.amdhsa_user_sgpr_dispatch_id 0
		.amdhsa_user_sgpr_flat_scratch_init 0
		.amdhsa_user_sgpr_kernarg_preload_length 0
		.amdhsa_user_sgpr_kernarg_preload_offset 0
		.amdhsa_user_sgpr_private_segment_size 0
		.amdhsa_uses_dynamic_stack 0
		.amdhsa_system_sgpr_private_segment_wavefront_offset 0
		.amdhsa_system_sgpr_workgroup_id_x 1
		.amdhsa_system_sgpr_workgroup_id_y 0
		.amdhsa_system_sgpr_workgroup_id_z 0
		.amdhsa_system_sgpr_workgroup_info 0
		.amdhsa_system_vgpr_workitem_id 0
		.amdhsa_next_free_vgpr 1
		.amdhsa_next_free_sgpr 0
		.amdhsa_accum_offset 4
		.amdhsa_reserve_vcc 0
		.amdhsa_reserve_flat_scratch 0
		.amdhsa_float_round_mode_32 0
		.amdhsa_float_round_mode_16_64 0
		.amdhsa_float_denorm_mode_32 3
		.amdhsa_float_denorm_mode_16_64 3
		.amdhsa_dx10_clamp 1
		.amdhsa_ieee_mode 1
		.amdhsa_fp16_overflow 0
		.amdhsa_tg_split 0
		.amdhsa_exception_fp_ieee_invalid_op 0
		.amdhsa_exception_fp_denorm_src 0
		.amdhsa_exception_fp_ieee_div_zero 0
		.amdhsa_exception_fp_ieee_overflow 0
		.amdhsa_exception_fp_ieee_underflow 0
		.amdhsa_exception_fp_ieee_inexact 0
		.amdhsa_exception_int_div_zero 0
	.end_amdhsa_kernel
	.section	.text._ZN7rocprim17ROCPRIM_400000_NS6detail17trampoline_kernelINS0_14default_configENS1_20scan_config_selectorIsEEZZNS1_9scan_implILNS1_25lookback_scan_determinismE0ELb0ELb0ES3_N6thrust23THRUST_200600_302600_NS6detail15normal_iteratorINS9_10device_ptrIsEEEESE_s9plus_mod3IsEsEEDaPvRmT3_T4_T5_mT6_P12ihipStream_tbENKUlT_T0_E_clISt17integral_constantIbLb0EEST_IbLb1EEEEDaSP_SQ_EUlSP_E_NS1_11comp_targetILNS1_3genE3ELNS1_11target_archE908ELNS1_3gpuE7ELNS1_3repE0EEENS1_30default_config_static_selectorELNS0_4arch9wavefront6targetE1EEEvT1_,"axG",@progbits,_ZN7rocprim17ROCPRIM_400000_NS6detail17trampoline_kernelINS0_14default_configENS1_20scan_config_selectorIsEEZZNS1_9scan_implILNS1_25lookback_scan_determinismE0ELb0ELb0ES3_N6thrust23THRUST_200600_302600_NS6detail15normal_iteratorINS9_10device_ptrIsEEEESE_s9plus_mod3IsEsEEDaPvRmT3_T4_T5_mT6_P12ihipStream_tbENKUlT_T0_E_clISt17integral_constantIbLb0EEST_IbLb1EEEEDaSP_SQ_EUlSP_E_NS1_11comp_targetILNS1_3genE3ELNS1_11target_archE908ELNS1_3gpuE7ELNS1_3repE0EEENS1_30default_config_static_selectorELNS0_4arch9wavefront6targetE1EEEvT1_,comdat
.Lfunc_end6735:
	.size	_ZN7rocprim17ROCPRIM_400000_NS6detail17trampoline_kernelINS0_14default_configENS1_20scan_config_selectorIsEEZZNS1_9scan_implILNS1_25lookback_scan_determinismE0ELb0ELb0ES3_N6thrust23THRUST_200600_302600_NS6detail15normal_iteratorINS9_10device_ptrIsEEEESE_s9plus_mod3IsEsEEDaPvRmT3_T4_T5_mT6_P12ihipStream_tbENKUlT_T0_E_clISt17integral_constantIbLb0EEST_IbLb1EEEEDaSP_SQ_EUlSP_E_NS1_11comp_targetILNS1_3genE3ELNS1_11target_archE908ELNS1_3gpuE7ELNS1_3repE0EEENS1_30default_config_static_selectorELNS0_4arch9wavefront6targetE1EEEvT1_, .Lfunc_end6735-_ZN7rocprim17ROCPRIM_400000_NS6detail17trampoline_kernelINS0_14default_configENS1_20scan_config_selectorIsEEZZNS1_9scan_implILNS1_25lookback_scan_determinismE0ELb0ELb0ES3_N6thrust23THRUST_200600_302600_NS6detail15normal_iteratorINS9_10device_ptrIsEEEESE_s9plus_mod3IsEsEEDaPvRmT3_T4_T5_mT6_P12ihipStream_tbENKUlT_T0_E_clISt17integral_constantIbLb0EEST_IbLb1EEEEDaSP_SQ_EUlSP_E_NS1_11comp_targetILNS1_3genE3ELNS1_11target_archE908ELNS1_3gpuE7ELNS1_3repE0EEENS1_30default_config_static_selectorELNS0_4arch9wavefront6targetE1EEEvT1_
                                        ; -- End function
	.section	.AMDGPU.csdata,"",@progbits
; Kernel info:
; codeLenInByte = 0
; NumSgprs: 4
; NumVgprs: 0
; NumAgprs: 0
; TotalNumVgprs: 0
; ScratchSize: 0
; MemoryBound: 0
; FloatMode: 240
; IeeeMode: 1
; LDSByteSize: 0 bytes/workgroup (compile time only)
; SGPRBlocks: 0
; VGPRBlocks: 0
; NumSGPRsForWavesPerEU: 4
; NumVGPRsForWavesPerEU: 1
; AccumOffset: 4
; Occupancy: 8
; WaveLimiterHint : 0
; COMPUTE_PGM_RSRC2:SCRATCH_EN: 0
; COMPUTE_PGM_RSRC2:USER_SGPR: 6
; COMPUTE_PGM_RSRC2:TRAP_HANDLER: 0
; COMPUTE_PGM_RSRC2:TGID_X_EN: 1
; COMPUTE_PGM_RSRC2:TGID_Y_EN: 0
; COMPUTE_PGM_RSRC2:TGID_Z_EN: 0
; COMPUTE_PGM_RSRC2:TIDIG_COMP_CNT: 0
; COMPUTE_PGM_RSRC3_GFX90A:ACCUM_OFFSET: 0
; COMPUTE_PGM_RSRC3_GFX90A:TG_SPLIT: 0
	.section	.text._ZN7rocprim17ROCPRIM_400000_NS6detail17trampoline_kernelINS0_14default_configENS1_20scan_config_selectorIsEEZZNS1_9scan_implILNS1_25lookback_scan_determinismE0ELb0ELb0ES3_N6thrust23THRUST_200600_302600_NS6detail15normal_iteratorINS9_10device_ptrIsEEEESE_s9plus_mod3IsEsEEDaPvRmT3_T4_T5_mT6_P12ihipStream_tbENKUlT_T0_E_clISt17integral_constantIbLb0EEST_IbLb1EEEEDaSP_SQ_EUlSP_E_NS1_11comp_targetILNS1_3genE2ELNS1_11target_archE906ELNS1_3gpuE6ELNS1_3repE0EEENS1_30default_config_static_selectorELNS0_4arch9wavefront6targetE1EEEvT1_,"axG",@progbits,_ZN7rocprim17ROCPRIM_400000_NS6detail17trampoline_kernelINS0_14default_configENS1_20scan_config_selectorIsEEZZNS1_9scan_implILNS1_25lookback_scan_determinismE0ELb0ELb0ES3_N6thrust23THRUST_200600_302600_NS6detail15normal_iteratorINS9_10device_ptrIsEEEESE_s9plus_mod3IsEsEEDaPvRmT3_T4_T5_mT6_P12ihipStream_tbENKUlT_T0_E_clISt17integral_constantIbLb0EEST_IbLb1EEEEDaSP_SQ_EUlSP_E_NS1_11comp_targetILNS1_3genE2ELNS1_11target_archE906ELNS1_3gpuE6ELNS1_3repE0EEENS1_30default_config_static_selectorELNS0_4arch9wavefront6targetE1EEEvT1_,comdat
	.protected	_ZN7rocprim17ROCPRIM_400000_NS6detail17trampoline_kernelINS0_14default_configENS1_20scan_config_selectorIsEEZZNS1_9scan_implILNS1_25lookback_scan_determinismE0ELb0ELb0ES3_N6thrust23THRUST_200600_302600_NS6detail15normal_iteratorINS9_10device_ptrIsEEEESE_s9plus_mod3IsEsEEDaPvRmT3_T4_T5_mT6_P12ihipStream_tbENKUlT_T0_E_clISt17integral_constantIbLb0EEST_IbLb1EEEEDaSP_SQ_EUlSP_E_NS1_11comp_targetILNS1_3genE2ELNS1_11target_archE906ELNS1_3gpuE6ELNS1_3repE0EEENS1_30default_config_static_selectorELNS0_4arch9wavefront6targetE1EEEvT1_ ; -- Begin function _ZN7rocprim17ROCPRIM_400000_NS6detail17trampoline_kernelINS0_14default_configENS1_20scan_config_selectorIsEEZZNS1_9scan_implILNS1_25lookback_scan_determinismE0ELb0ELb0ES3_N6thrust23THRUST_200600_302600_NS6detail15normal_iteratorINS9_10device_ptrIsEEEESE_s9plus_mod3IsEsEEDaPvRmT3_T4_T5_mT6_P12ihipStream_tbENKUlT_T0_E_clISt17integral_constantIbLb0EEST_IbLb1EEEEDaSP_SQ_EUlSP_E_NS1_11comp_targetILNS1_3genE2ELNS1_11target_archE906ELNS1_3gpuE6ELNS1_3repE0EEENS1_30default_config_static_selectorELNS0_4arch9wavefront6targetE1EEEvT1_
	.globl	_ZN7rocprim17ROCPRIM_400000_NS6detail17trampoline_kernelINS0_14default_configENS1_20scan_config_selectorIsEEZZNS1_9scan_implILNS1_25lookback_scan_determinismE0ELb0ELb0ES3_N6thrust23THRUST_200600_302600_NS6detail15normal_iteratorINS9_10device_ptrIsEEEESE_s9plus_mod3IsEsEEDaPvRmT3_T4_T5_mT6_P12ihipStream_tbENKUlT_T0_E_clISt17integral_constantIbLb0EEST_IbLb1EEEEDaSP_SQ_EUlSP_E_NS1_11comp_targetILNS1_3genE2ELNS1_11target_archE906ELNS1_3gpuE6ELNS1_3repE0EEENS1_30default_config_static_selectorELNS0_4arch9wavefront6targetE1EEEvT1_
	.p2align	8
	.type	_ZN7rocprim17ROCPRIM_400000_NS6detail17trampoline_kernelINS0_14default_configENS1_20scan_config_selectorIsEEZZNS1_9scan_implILNS1_25lookback_scan_determinismE0ELb0ELb0ES3_N6thrust23THRUST_200600_302600_NS6detail15normal_iteratorINS9_10device_ptrIsEEEESE_s9plus_mod3IsEsEEDaPvRmT3_T4_T5_mT6_P12ihipStream_tbENKUlT_T0_E_clISt17integral_constantIbLb0EEST_IbLb1EEEEDaSP_SQ_EUlSP_E_NS1_11comp_targetILNS1_3genE2ELNS1_11target_archE906ELNS1_3gpuE6ELNS1_3repE0EEENS1_30default_config_static_selectorELNS0_4arch9wavefront6targetE1EEEvT1_,@function
_ZN7rocprim17ROCPRIM_400000_NS6detail17trampoline_kernelINS0_14default_configENS1_20scan_config_selectorIsEEZZNS1_9scan_implILNS1_25lookback_scan_determinismE0ELb0ELb0ES3_N6thrust23THRUST_200600_302600_NS6detail15normal_iteratorINS9_10device_ptrIsEEEESE_s9plus_mod3IsEsEEDaPvRmT3_T4_T5_mT6_P12ihipStream_tbENKUlT_T0_E_clISt17integral_constantIbLb0EEST_IbLb1EEEEDaSP_SQ_EUlSP_E_NS1_11comp_targetILNS1_3genE2ELNS1_11target_archE906ELNS1_3gpuE6ELNS1_3repE0EEENS1_30default_config_static_selectorELNS0_4arch9wavefront6targetE1EEEvT1_: ; @_ZN7rocprim17ROCPRIM_400000_NS6detail17trampoline_kernelINS0_14default_configENS1_20scan_config_selectorIsEEZZNS1_9scan_implILNS1_25lookback_scan_determinismE0ELb0ELb0ES3_N6thrust23THRUST_200600_302600_NS6detail15normal_iteratorINS9_10device_ptrIsEEEESE_s9plus_mod3IsEsEEDaPvRmT3_T4_T5_mT6_P12ihipStream_tbENKUlT_T0_E_clISt17integral_constantIbLb0EEST_IbLb1EEEEDaSP_SQ_EUlSP_E_NS1_11comp_targetILNS1_3genE2ELNS1_11target_archE906ELNS1_3gpuE6ELNS1_3repE0EEENS1_30default_config_static_selectorELNS0_4arch9wavefront6targetE1EEEvT1_
; %bb.0:
	.section	.rodata,"a",@progbits
	.p2align	6, 0x0
	.amdhsa_kernel _ZN7rocprim17ROCPRIM_400000_NS6detail17trampoline_kernelINS0_14default_configENS1_20scan_config_selectorIsEEZZNS1_9scan_implILNS1_25lookback_scan_determinismE0ELb0ELb0ES3_N6thrust23THRUST_200600_302600_NS6detail15normal_iteratorINS9_10device_ptrIsEEEESE_s9plus_mod3IsEsEEDaPvRmT3_T4_T5_mT6_P12ihipStream_tbENKUlT_T0_E_clISt17integral_constantIbLb0EEST_IbLb1EEEEDaSP_SQ_EUlSP_E_NS1_11comp_targetILNS1_3genE2ELNS1_11target_archE906ELNS1_3gpuE6ELNS1_3repE0EEENS1_30default_config_static_selectorELNS0_4arch9wavefront6targetE1EEEvT1_
		.amdhsa_group_segment_fixed_size 0
		.amdhsa_private_segment_fixed_size 0
		.amdhsa_kernarg_size 104
		.amdhsa_user_sgpr_count 6
		.amdhsa_user_sgpr_private_segment_buffer 1
		.amdhsa_user_sgpr_dispatch_ptr 0
		.amdhsa_user_sgpr_queue_ptr 0
		.amdhsa_user_sgpr_kernarg_segment_ptr 1
		.amdhsa_user_sgpr_dispatch_id 0
		.amdhsa_user_sgpr_flat_scratch_init 0
		.amdhsa_user_sgpr_kernarg_preload_length 0
		.amdhsa_user_sgpr_kernarg_preload_offset 0
		.amdhsa_user_sgpr_private_segment_size 0
		.amdhsa_uses_dynamic_stack 0
		.amdhsa_system_sgpr_private_segment_wavefront_offset 0
		.amdhsa_system_sgpr_workgroup_id_x 1
		.amdhsa_system_sgpr_workgroup_id_y 0
		.amdhsa_system_sgpr_workgroup_id_z 0
		.amdhsa_system_sgpr_workgroup_info 0
		.amdhsa_system_vgpr_workitem_id 0
		.amdhsa_next_free_vgpr 1
		.amdhsa_next_free_sgpr 0
		.amdhsa_accum_offset 4
		.amdhsa_reserve_vcc 0
		.amdhsa_reserve_flat_scratch 0
		.amdhsa_float_round_mode_32 0
		.amdhsa_float_round_mode_16_64 0
		.amdhsa_float_denorm_mode_32 3
		.amdhsa_float_denorm_mode_16_64 3
		.amdhsa_dx10_clamp 1
		.amdhsa_ieee_mode 1
		.amdhsa_fp16_overflow 0
		.amdhsa_tg_split 0
		.amdhsa_exception_fp_ieee_invalid_op 0
		.amdhsa_exception_fp_denorm_src 0
		.amdhsa_exception_fp_ieee_div_zero 0
		.amdhsa_exception_fp_ieee_overflow 0
		.amdhsa_exception_fp_ieee_underflow 0
		.amdhsa_exception_fp_ieee_inexact 0
		.amdhsa_exception_int_div_zero 0
	.end_amdhsa_kernel
	.section	.text._ZN7rocprim17ROCPRIM_400000_NS6detail17trampoline_kernelINS0_14default_configENS1_20scan_config_selectorIsEEZZNS1_9scan_implILNS1_25lookback_scan_determinismE0ELb0ELb0ES3_N6thrust23THRUST_200600_302600_NS6detail15normal_iteratorINS9_10device_ptrIsEEEESE_s9plus_mod3IsEsEEDaPvRmT3_T4_T5_mT6_P12ihipStream_tbENKUlT_T0_E_clISt17integral_constantIbLb0EEST_IbLb1EEEEDaSP_SQ_EUlSP_E_NS1_11comp_targetILNS1_3genE2ELNS1_11target_archE906ELNS1_3gpuE6ELNS1_3repE0EEENS1_30default_config_static_selectorELNS0_4arch9wavefront6targetE1EEEvT1_,"axG",@progbits,_ZN7rocprim17ROCPRIM_400000_NS6detail17trampoline_kernelINS0_14default_configENS1_20scan_config_selectorIsEEZZNS1_9scan_implILNS1_25lookback_scan_determinismE0ELb0ELb0ES3_N6thrust23THRUST_200600_302600_NS6detail15normal_iteratorINS9_10device_ptrIsEEEESE_s9plus_mod3IsEsEEDaPvRmT3_T4_T5_mT6_P12ihipStream_tbENKUlT_T0_E_clISt17integral_constantIbLb0EEST_IbLb1EEEEDaSP_SQ_EUlSP_E_NS1_11comp_targetILNS1_3genE2ELNS1_11target_archE906ELNS1_3gpuE6ELNS1_3repE0EEENS1_30default_config_static_selectorELNS0_4arch9wavefront6targetE1EEEvT1_,comdat
.Lfunc_end6736:
	.size	_ZN7rocprim17ROCPRIM_400000_NS6detail17trampoline_kernelINS0_14default_configENS1_20scan_config_selectorIsEEZZNS1_9scan_implILNS1_25lookback_scan_determinismE0ELb0ELb0ES3_N6thrust23THRUST_200600_302600_NS6detail15normal_iteratorINS9_10device_ptrIsEEEESE_s9plus_mod3IsEsEEDaPvRmT3_T4_T5_mT6_P12ihipStream_tbENKUlT_T0_E_clISt17integral_constantIbLb0EEST_IbLb1EEEEDaSP_SQ_EUlSP_E_NS1_11comp_targetILNS1_3genE2ELNS1_11target_archE906ELNS1_3gpuE6ELNS1_3repE0EEENS1_30default_config_static_selectorELNS0_4arch9wavefront6targetE1EEEvT1_, .Lfunc_end6736-_ZN7rocprim17ROCPRIM_400000_NS6detail17trampoline_kernelINS0_14default_configENS1_20scan_config_selectorIsEEZZNS1_9scan_implILNS1_25lookback_scan_determinismE0ELb0ELb0ES3_N6thrust23THRUST_200600_302600_NS6detail15normal_iteratorINS9_10device_ptrIsEEEESE_s9plus_mod3IsEsEEDaPvRmT3_T4_T5_mT6_P12ihipStream_tbENKUlT_T0_E_clISt17integral_constantIbLb0EEST_IbLb1EEEEDaSP_SQ_EUlSP_E_NS1_11comp_targetILNS1_3genE2ELNS1_11target_archE906ELNS1_3gpuE6ELNS1_3repE0EEENS1_30default_config_static_selectorELNS0_4arch9wavefront6targetE1EEEvT1_
                                        ; -- End function
	.section	.AMDGPU.csdata,"",@progbits
; Kernel info:
; codeLenInByte = 0
; NumSgprs: 4
; NumVgprs: 0
; NumAgprs: 0
; TotalNumVgprs: 0
; ScratchSize: 0
; MemoryBound: 0
; FloatMode: 240
; IeeeMode: 1
; LDSByteSize: 0 bytes/workgroup (compile time only)
; SGPRBlocks: 0
; VGPRBlocks: 0
; NumSGPRsForWavesPerEU: 4
; NumVGPRsForWavesPerEU: 1
; AccumOffset: 4
; Occupancy: 8
; WaveLimiterHint : 0
; COMPUTE_PGM_RSRC2:SCRATCH_EN: 0
; COMPUTE_PGM_RSRC2:USER_SGPR: 6
; COMPUTE_PGM_RSRC2:TRAP_HANDLER: 0
; COMPUTE_PGM_RSRC2:TGID_X_EN: 1
; COMPUTE_PGM_RSRC2:TGID_Y_EN: 0
; COMPUTE_PGM_RSRC2:TGID_Z_EN: 0
; COMPUTE_PGM_RSRC2:TIDIG_COMP_CNT: 0
; COMPUTE_PGM_RSRC3_GFX90A:ACCUM_OFFSET: 0
; COMPUTE_PGM_RSRC3_GFX90A:TG_SPLIT: 0
	.section	.text._ZN7rocprim17ROCPRIM_400000_NS6detail17trampoline_kernelINS0_14default_configENS1_20scan_config_selectorIsEEZZNS1_9scan_implILNS1_25lookback_scan_determinismE0ELb0ELb0ES3_N6thrust23THRUST_200600_302600_NS6detail15normal_iteratorINS9_10device_ptrIsEEEESE_s9plus_mod3IsEsEEDaPvRmT3_T4_T5_mT6_P12ihipStream_tbENKUlT_T0_E_clISt17integral_constantIbLb0EEST_IbLb1EEEEDaSP_SQ_EUlSP_E_NS1_11comp_targetILNS1_3genE10ELNS1_11target_archE1201ELNS1_3gpuE5ELNS1_3repE0EEENS1_30default_config_static_selectorELNS0_4arch9wavefront6targetE1EEEvT1_,"axG",@progbits,_ZN7rocprim17ROCPRIM_400000_NS6detail17trampoline_kernelINS0_14default_configENS1_20scan_config_selectorIsEEZZNS1_9scan_implILNS1_25lookback_scan_determinismE0ELb0ELb0ES3_N6thrust23THRUST_200600_302600_NS6detail15normal_iteratorINS9_10device_ptrIsEEEESE_s9plus_mod3IsEsEEDaPvRmT3_T4_T5_mT6_P12ihipStream_tbENKUlT_T0_E_clISt17integral_constantIbLb0EEST_IbLb1EEEEDaSP_SQ_EUlSP_E_NS1_11comp_targetILNS1_3genE10ELNS1_11target_archE1201ELNS1_3gpuE5ELNS1_3repE0EEENS1_30default_config_static_selectorELNS0_4arch9wavefront6targetE1EEEvT1_,comdat
	.protected	_ZN7rocprim17ROCPRIM_400000_NS6detail17trampoline_kernelINS0_14default_configENS1_20scan_config_selectorIsEEZZNS1_9scan_implILNS1_25lookback_scan_determinismE0ELb0ELb0ES3_N6thrust23THRUST_200600_302600_NS6detail15normal_iteratorINS9_10device_ptrIsEEEESE_s9plus_mod3IsEsEEDaPvRmT3_T4_T5_mT6_P12ihipStream_tbENKUlT_T0_E_clISt17integral_constantIbLb0EEST_IbLb1EEEEDaSP_SQ_EUlSP_E_NS1_11comp_targetILNS1_3genE10ELNS1_11target_archE1201ELNS1_3gpuE5ELNS1_3repE0EEENS1_30default_config_static_selectorELNS0_4arch9wavefront6targetE1EEEvT1_ ; -- Begin function _ZN7rocprim17ROCPRIM_400000_NS6detail17trampoline_kernelINS0_14default_configENS1_20scan_config_selectorIsEEZZNS1_9scan_implILNS1_25lookback_scan_determinismE0ELb0ELb0ES3_N6thrust23THRUST_200600_302600_NS6detail15normal_iteratorINS9_10device_ptrIsEEEESE_s9plus_mod3IsEsEEDaPvRmT3_T4_T5_mT6_P12ihipStream_tbENKUlT_T0_E_clISt17integral_constantIbLb0EEST_IbLb1EEEEDaSP_SQ_EUlSP_E_NS1_11comp_targetILNS1_3genE10ELNS1_11target_archE1201ELNS1_3gpuE5ELNS1_3repE0EEENS1_30default_config_static_selectorELNS0_4arch9wavefront6targetE1EEEvT1_
	.globl	_ZN7rocprim17ROCPRIM_400000_NS6detail17trampoline_kernelINS0_14default_configENS1_20scan_config_selectorIsEEZZNS1_9scan_implILNS1_25lookback_scan_determinismE0ELb0ELb0ES3_N6thrust23THRUST_200600_302600_NS6detail15normal_iteratorINS9_10device_ptrIsEEEESE_s9plus_mod3IsEsEEDaPvRmT3_T4_T5_mT6_P12ihipStream_tbENKUlT_T0_E_clISt17integral_constantIbLb0EEST_IbLb1EEEEDaSP_SQ_EUlSP_E_NS1_11comp_targetILNS1_3genE10ELNS1_11target_archE1201ELNS1_3gpuE5ELNS1_3repE0EEENS1_30default_config_static_selectorELNS0_4arch9wavefront6targetE1EEEvT1_
	.p2align	8
	.type	_ZN7rocprim17ROCPRIM_400000_NS6detail17trampoline_kernelINS0_14default_configENS1_20scan_config_selectorIsEEZZNS1_9scan_implILNS1_25lookback_scan_determinismE0ELb0ELb0ES3_N6thrust23THRUST_200600_302600_NS6detail15normal_iteratorINS9_10device_ptrIsEEEESE_s9plus_mod3IsEsEEDaPvRmT3_T4_T5_mT6_P12ihipStream_tbENKUlT_T0_E_clISt17integral_constantIbLb0EEST_IbLb1EEEEDaSP_SQ_EUlSP_E_NS1_11comp_targetILNS1_3genE10ELNS1_11target_archE1201ELNS1_3gpuE5ELNS1_3repE0EEENS1_30default_config_static_selectorELNS0_4arch9wavefront6targetE1EEEvT1_,@function
_ZN7rocprim17ROCPRIM_400000_NS6detail17trampoline_kernelINS0_14default_configENS1_20scan_config_selectorIsEEZZNS1_9scan_implILNS1_25lookback_scan_determinismE0ELb0ELb0ES3_N6thrust23THRUST_200600_302600_NS6detail15normal_iteratorINS9_10device_ptrIsEEEESE_s9plus_mod3IsEsEEDaPvRmT3_T4_T5_mT6_P12ihipStream_tbENKUlT_T0_E_clISt17integral_constantIbLb0EEST_IbLb1EEEEDaSP_SQ_EUlSP_E_NS1_11comp_targetILNS1_3genE10ELNS1_11target_archE1201ELNS1_3gpuE5ELNS1_3repE0EEENS1_30default_config_static_selectorELNS0_4arch9wavefront6targetE1EEEvT1_: ; @_ZN7rocprim17ROCPRIM_400000_NS6detail17trampoline_kernelINS0_14default_configENS1_20scan_config_selectorIsEEZZNS1_9scan_implILNS1_25lookback_scan_determinismE0ELb0ELb0ES3_N6thrust23THRUST_200600_302600_NS6detail15normal_iteratorINS9_10device_ptrIsEEEESE_s9plus_mod3IsEsEEDaPvRmT3_T4_T5_mT6_P12ihipStream_tbENKUlT_T0_E_clISt17integral_constantIbLb0EEST_IbLb1EEEEDaSP_SQ_EUlSP_E_NS1_11comp_targetILNS1_3genE10ELNS1_11target_archE1201ELNS1_3gpuE5ELNS1_3repE0EEENS1_30default_config_static_selectorELNS0_4arch9wavefront6targetE1EEEvT1_
; %bb.0:
	.section	.rodata,"a",@progbits
	.p2align	6, 0x0
	.amdhsa_kernel _ZN7rocprim17ROCPRIM_400000_NS6detail17trampoline_kernelINS0_14default_configENS1_20scan_config_selectorIsEEZZNS1_9scan_implILNS1_25lookback_scan_determinismE0ELb0ELb0ES3_N6thrust23THRUST_200600_302600_NS6detail15normal_iteratorINS9_10device_ptrIsEEEESE_s9plus_mod3IsEsEEDaPvRmT3_T4_T5_mT6_P12ihipStream_tbENKUlT_T0_E_clISt17integral_constantIbLb0EEST_IbLb1EEEEDaSP_SQ_EUlSP_E_NS1_11comp_targetILNS1_3genE10ELNS1_11target_archE1201ELNS1_3gpuE5ELNS1_3repE0EEENS1_30default_config_static_selectorELNS0_4arch9wavefront6targetE1EEEvT1_
		.amdhsa_group_segment_fixed_size 0
		.amdhsa_private_segment_fixed_size 0
		.amdhsa_kernarg_size 104
		.amdhsa_user_sgpr_count 6
		.amdhsa_user_sgpr_private_segment_buffer 1
		.amdhsa_user_sgpr_dispatch_ptr 0
		.amdhsa_user_sgpr_queue_ptr 0
		.amdhsa_user_sgpr_kernarg_segment_ptr 1
		.amdhsa_user_sgpr_dispatch_id 0
		.amdhsa_user_sgpr_flat_scratch_init 0
		.amdhsa_user_sgpr_kernarg_preload_length 0
		.amdhsa_user_sgpr_kernarg_preload_offset 0
		.amdhsa_user_sgpr_private_segment_size 0
		.amdhsa_uses_dynamic_stack 0
		.amdhsa_system_sgpr_private_segment_wavefront_offset 0
		.amdhsa_system_sgpr_workgroup_id_x 1
		.amdhsa_system_sgpr_workgroup_id_y 0
		.amdhsa_system_sgpr_workgroup_id_z 0
		.amdhsa_system_sgpr_workgroup_info 0
		.amdhsa_system_vgpr_workitem_id 0
		.amdhsa_next_free_vgpr 1
		.amdhsa_next_free_sgpr 0
		.amdhsa_accum_offset 4
		.amdhsa_reserve_vcc 0
		.amdhsa_reserve_flat_scratch 0
		.amdhsa_float_round_mode_32 0
		.amdhsa_float_round_mode_16_64 0
		.amdhsa_float_denorm_mode_32 3
		.amdhsa_float_denorm_mode_16_64 3
		.amdhsa_dx10_clamp 1
		.amdhsa_ieee_mode 1
		.amdhsa_fp16_overflow 0
		.amdhsa_tg_split 0
		.amdhsa_exception_fp_ieee_invalid_op 0
		.amdhsa_exception_fp_denorm_src 0
		.amdhsa_exception_fp_ieee_div_zero 0
		.amdhsa_exception_fp_ieee_overflow 0
		.amdhsa_exception_fp_ieee_underflow 0
		.amdhsa_exception_fp_ieee_inexact 0
		.amdhsa_exception_int_div_zero 0
	.end_amdhsa_kernel
	.section	.text._ZN7rocprim17ROCPRIM_400000_NS6detail17trampoline_kernelINS0_14default_configENS1_20scan_config_selectorIsEEZZNS1_9scan_implILNS1_25lookback_scan_determinismE0ELb0ELb0ES3_N6thrust23THRUST_200600_302600_NS6detail15normal_iteratorINS9_10device_ptrIsEEEESE_s9plus_mod3IsEsEEDaPvRmT3_T4_T5_mT6_P12ihipStream_tbENKUlT_T0_E_clISt17integral_constantIbLb0EEST_IbLb1EEEEDaSP_SQ_EUlSP_E_NS1_11comp_targetILNS1_3genE10ELNS1_11target_archE1201ELNS1_3gpuE5ELNS1_3repE0EEENS1_30default_config_static_selectorELNS0_4arch9wavefront6targetE1EEEvT1_,"axG",@progbits,_ZN7rocprim17ROCPRIM_400000_NS6detail17trampoline_kernelINS0_14default_configENS1_20scan_config_selectorIsEEZZNS1_9scan_implILNS1_25lookback_scan_determinismE0ELb0ELb0ES3_N6thrust23THRUST_200600_302600_NS6detail15normal_iteratorINS9_10device_ptrIsEEEESE_s9plus_mod3IsEsEEDaPvRmT3_T4_T5_mT6_P12ihipStream_tbENKUlT_T0_E_clISt17integral_constantIbLb0EEST_IbLb1EEEEDaSP_SQ_EUlSP_E_NS1_11comp_targetILNS1_3genE10ELNS1_11target_archE1201ELNS1_3gpuE5ELNS1_3repE0EEENS1_30default_config_static_selectorELNS0_4arch9wavefront6targetE1EEEvT1_,comdat
.Lfunc_end6737:
	.size	_ZN7rocprim17ROCPRIM_400000_NS6detail17trampoline_kernelINS0_14default_configENS1_20scan_config_selectorIsEEZZNS1_9scan_implILNS1_25lookback_scan_determinismE0ELb0ELb0ES3_N6thrust23THRUST_200600_302600_NS6detail15normal_iteratorINS9_10device_ptrIsEEEESE_s9plus_mod3IsEsEEDaPvRmT3_T4_T5_mT6_P12ihipStream_tbENKUlT_T0_E_clISt17integral_constantIbLb0EEST_IbLb1EEEEDaSP_SQ_EUlSP_E_NS1_11comp_targetILNS1_3genE10ELNS1_11target_archE1201ELNS1_3gpuE5ELNS1_3repE0EEENS1_30default_config_static_selectorELNS0_4arch9wavefront6targetE1EEEvT1_, .Lfunc_end6737-_ZN7rocprim17ROCPRIM_400000_NS6detail17trampoline_kernelINS0_14default_configENS1_20scan_config_selectorIsEEZZNS1_9scan_implILNS1_25lookback_scan_determinismE0ELb0ELb0ES3_N6thrust23THRUST_200600_302600_NS6detail15normal_iteratorINS9_10device_ptrIsEEEESE_s9plus_mod3IsEsEEDaPvRmT3_T4_T5_mT6_P12ihipStream_tbENKUlT_T0_E_clISt17integral_constantIbLb0EEST_IbLb1EEEEDaSP_SQ_EUlSP_E_NS1_11comp_targetILNS1_3genE10ELNS1_11target_archE1201ELNS1_3gpuE5ELNS1_3repE0EEENS1_30default_config_static_selectorELNS0_4arch9wavefront6targetE1EEEvT1_
                                        ; -- End function
	.section	.AMDGPU.csdata,"",@progbits
; Kernel info:
; codeLenInByte = 0
; NumSgprs: 4
; NumVgprs: 0
; NumAgprs: 0
; TotalNumVgprs: 0
; ScratchSize: 0
; MemoryBound: 0
; FloatMode: 240
; IeeeMode: 1
; LDSByteSize: 0 bytes/workgroup (compile time only)
; SGPRBlocks: 0
; VGPRBlocks: 0
; NumSGPRsForWavesPerEU: 4
; NumVGPRsForWavesPerEU: 1
; AccumOffset: 4
; Occupancy: 8
; WaveLimiterHint : 0
; COMPUTE_PGM_RSRC2:SCRATCH_EN: 0
; COMPUTE_PGM_RSRC2:USER_SGPR: 6
; COMPUTE_PGM_RSRC2:TRAP_HANDLER: 0
; COMPUTE_PGM_RSRC2:TGID_X_EN: 1
; COMPUTE_PGM_RSRC2:TGID_Y_EN: 0
; COMPUTE_PGM_RSRC2:TGID_Z_EN: 0
; COMPUTE_PGM_RSRC2:TIDIG_COMP_CNT: 0
; COMPUTE_PGM_RSRC3_GFX90A:ACCUM_OFFSET: 0
; COMPUTE_PGM_RSRC3_GFX90A:TG_SPLIT: 0
	.section	.text._ZN7rocprim17ROCPRIM_400000_NS6detail17trampoline_kernelINS0_14default_configENS1_20scan_config_selectorIsEEZZNS1_9scan_implILNS1_25lookback_scan_determinismE0ELb0ELb0ES3_N6thrust23THRUST_200600_302600_NS6detail15normal_iteratorINS9_10device_ptrIsEEEESE_s9plus_mod3IsEsEEDaPvRmT3_T4_T5_mT6_P12ihipStream_tbENKUlT_T0_E_clISt17integral_constantIbLb0EEST_IbLb1EEEEDaSP_SQ_EUlSP_E_NS1_11comp_targetILNS1_3genE10ELNS1_11target_archE1200ELNS1_3gpuE4ELNS1_3repE0EEENS1_30default_config_static_selectorELNS0_4arch9wavefront6targetE1EEEvT1_,"axG",@progbits,_ZN7rocprim17ROCPRIM_400000_NS6detail17trampoline_kernelINS0_14default_configENS1_20scan_config_selectorIsEEZZNS1_9scan_implILNS1_25lookback_scan_determinismE0ELb0ELb0ES3_N6thrust23THRUST_200600_302600_NS6detail15normal_iteratorINS9_10device_ptrIsEEEESE_s9plus_mod3IsEsEEDaPvRmT3_T4_T5_mT6_P12ihipStream_tbENKUlT_T0_E_clISt17integral_constantIbLb0EEST_IbLb1EEEEDaSP_SQ_EUlSP_E_NS1_11comp_targetILNS1_3genE10ELNS1_11target_archE1200ELNS1_3gpuE4ELNS1_3repE0EEENS1_30default_config_static_selectorELNS0_4arch9wavefront6targetE1EEEvT1_,comdat
	.protected	_ZN7rocprim17ROCPRIM_400000_NS6detail17trampoline_kernelINS0_14default_configENS1_20scan_config_selectorIsEEZZNS1_9scan_implILNS1_25lookback_scan_determinismE0ELb0ELb0ES3_N6thrust23THRUST_200600_302600_NS6detail15normal_iteratorINS9_10device_ptrIsEEEESE_s9plus_mod3IsEsEEDaPvRmT3_T4_T5_mT6_P12ihipStream_tbENKUlT_T0_E_clISt17integral_constantIbLb0EEST_IbLb1EEEEDaSP_SQ_EUlSP_E_NS1_11comp_targetILNS1_3genE10ELNS1_11target_archE1200ELNS1_3gpuE4ELNS1_3repE0EEENS1_30default_config_static_selectorELNS0_4arch9wavefront6targetE1EEEvT1_ ; -- Begin function _ZN7rocprim17ROCPRIM_400000_NS6detail17trampoline_kernelINS0_14default_configENS1_20scan_config_selectorIsEEZZNS1_9scan_implILNS1_25lookback_scan_determinismE0ELb0ELb0ES3_N6thrust23THRUST_200600_302600_NS6detail15normal_iteratorINS9_10device_ptrIsEEEESE_s9plus_mod3IsEsEEDaPvRmT3_T4_T5_mT6_P12ihipStream_tbENKUlT_T0_E_clISt17integral_constantIbLb0EEST_IbLb1EEEEDaSP_SQ_EUlSP_E_NS1_11comp_targetILNS1_3genE10ELNS1_11target_archE1200ELNS1_3gpuE4ELNS1_3repE0EEENS1_30default_config_static_selectorELNS0_4arch9wavefront6targetE1EEEvT1_
	.globl	_ZN7rocprim17ROCPRIM_400000_NS6detail17trampoline_kernelINS0_14default_configENS1_20scan_config_selectorIsEEZZNS1_9scan_implILNS1_25lookback_scan_determinismE0ELb0ELb0ES3_N6thrust23THRUST_200600_302600_NS6detail15normal_iteratorINS9_10device_ptrIsEEEESE_s9plus_mod3IsEsEEDaPvRmT3_T4_T5_mT6_P12ihipStream_tbENKUlT_T0_E_clISt17integral_constantIbLb0EEST_IbLb1EEEEDaSP_SQ_EUlSP_E_NS1_11comp_targetILNS1_3genE10ELNS1_11target_archE1200ELNS1_3gpuE4ELNS1_3repE0EEENS1_30default_config_static_selectorELNS0_4arch9wavefront6targetE1EEEvT1_
	.p2align	8
	.type	_ZN7rocprim17ROCPRIM_400000_NS6detail17trampoline_kernelINS0_14default_configENS1_20scan_config_selectorIsEEZZNS1_9scan_implILNS1_25lookback_scan_determinismE0ELb0ELb0ES3_N6thrust23THRUST_200600_302600_NS6detail15normal_iteratorINS9_10device_ptrIsEEEESE_s9plus_mod3IsEsEEDaPvRmT3_T4_T5_mT6_P12ihipStream_tbENKUlT_T0_E_clISt17integral_constantIbLb0EEST_IbLb1EEEEDaSP_SQ_EUlSP_E_NS1_11comp_targetILNS1_3genE10ELNS1_11target_archE1200ELNS1_3gpuE4ELNS1_3repE0EEENS1_30default_config_static_selectorELNS0_4arch9wavefront6targetE1EEEvT1_,@function
_ZN7rocprim17ROCPRIM_400000_NS6detail17trampoline_kernelINS0_14default_configENS1_20scan_config_selectorIsEEZZNS1_9scan_implILNS1_25lookback_scan_determinismE0ELb0ELb0ES3_N6thrust23THRUST_200600_302600_NS6detail15normal_iteratorINS9_10device_ptrIsEEEESE_s9plus_mod3IsEsEEDaPvRmT3_T4_T5_mT6_P12ihipStream_tbENKUlT_T0_E_clISt17integral_constantIbLb0EEST_IbLb1EEEEDaSP_SQ_EUlSP_E_NS1_11comp_targetILNS1_3genE10ELNS1_11target_archE1200ELNS1_3gpuE4ELNS1_3repE0EEENS1_30default_config_static_selectorELNS0_4arch9wavefront6targetE1EEEvT1_: ; @_ZN7rocprim17ROCPRIM_400000_NS6detail17trampoline_kernelINS0_14default_configENS1_20scan_config_selectorIsEEZZNS1_9scan_implILNS1_25lookback_scan_determinismE0ELb0ELb0ES3_N6thrust23THRUST_200600_302600_NS6detail15normal_iteratorINS9_10device_ptrIsEEEESE_s9plus_mod3IsEsEEDaPvRmT3_T4_T5_mT6_P12ihipStream_tbENKUlT_T0_E_clISt17integral_constantIbLb0EEST_IbLb1EEEEDaSP_SQ_EUlSP_E_NS1_11comp_targetILNS1_3genE10ELNS1_11target_archE1200ELNS1_3gpuE4ELNS1_3repE0EEENS1_30default_config_static_selectorELNS0_4arch9wavefront6targetE1EEEvT1_
; %bb.0:
	.section	.rodata,"a",@progbits
	.p2align	6, 0x0
	.amdhsa_kernel _ZN7rocprim17ROCPRIM_400000_NS6detail17trampoline_kernelINS0_14default_configENS1_20scan_config_selectorIsEEZZNS1_9scan_implILNS1_25lookback_scan_determinismE0ELb0ELb0ES3_N6thrust23THRUST_200600_302600_NS6detail15normal_iteratorINS9_10device_ptrIsEEEESE_s9plus_mod3IsEsEEDaPvRmT3_T4_T5_mT6_P12ihipStream_tbENKUlT_T0_E_clISt17integral_constantIbLb0EEST_IbLb1EEEEDaSP_SQ_EUlSP_E_NS1_11comp_targetILNS1_3genE10ELNS1_11target_archE1200ELNS1_3gpuE4ELNS1_3repE0EEENS1_30default_config_static_selectorELNS0_4arch9wavefront6targetE1EEEvT1_
		.amdhsa_group_segment_fixed_size 0
		.amdhsa_private_segment_fixed_size 0
		.amdhsa_kernarg_size 104
		.amdhsa_user_sgpr_count 6
		.amdhsa_user_sgpr_private_segment_buffer 1
		.amdhsa_user_sgpr_dispatch_ptr 0
		.amdhsa_user_sgpr_queue_ptr 0
		.amdhsa_user_sgpr_kernarg_segment_ptr 1
		.amdhsa_user_sgpr_dispatch_id 0
		.amdhsa_user_sgpr_flat_scratch_init 0
		.amdhsa_user_sgpr_kernarg_preload_length 0
		.amdhsa_user_sgpr_kernarg_preload_offset 0
		.amdhsa_user_sgpr_private_segment_size 0
		.amdhsa_uses_dynamic_stack 0
		.amdhsa_system_sgpr_private_segment_wavefront_offset 0
		.amdhsa_system_sgpr_workgroup_id_x 1
		.amdhsa_system_sgpr_workgroup_id_y 0
		.amdhsa_system_sgpr_workgroup_id_z 0
		.amdhsa_system_sgpr_workgroup_info 0
		.amdhsa_system_vgpr_workitem_id 0
		.amdhsa_next_free_vgpr 1
		.amdhsa_next_free_sgpr 0
		.amdhsa_accum_offset 4
		.amdhsa_reserve_vcc 0
		.amdhsa_reserve_flat_scratch 0
		.amdhsa_float_round_mode_32 0
		.amdhsa_float_round_mode_16_64 0
		.amdhsa_float_denorm_mode_32 3
		.amdhsa_float_denorm_mode_16_64 3
		.amdhsa_dx10_clamp 1
		.amdhsa_ieee_mode 1
		.amdhsa_fp16_overflow 0
		.amdhsa_tg_split 0
		.amdhsa_exception_fp_ieee_invalid_op 0
		.amdhsa_exception_fp_denorm_src 0
		.amdhsa_exception_fp_ieee_div_zero 0
		.amdhsa_exception_fp_ieee_overflow 0
		.amdhsa_exception_fp_ieee_underflow 0
		.amdhsa_exception_fp_ieee_inexact 0
		.amdhsa_exception_int_div_zero 0
	.end_amdhsa_kernel
	.section	.text._ZN7rocprim17ROCPRIM_400000_NS6detail17trampoline_kernelINS0_14default_configENS1_20scan_config_selectorIsEEZZNS1_9scan_implILNS1_25lookback_scan_determinismE0ELb0ELb0ES3_N6thrust23THRUST_200600_302600_NS6detail15normal_iteratorINS9_10device_ptrIsEEEESE_s9plus_mod3IsEsEEDaPvRmT3_T4_T5_mT6_P12ihipStream_tbENKUlT_T0_E_clISt17integral_constantIbLb0EEST_IbLb1EEEEDaSP_SQ_EUlSP_E_NS1_11comp_targetILNS1_3genE10ELNS1_11target_archE1200ELNS1_3gpuE4ELNS1_3repE0EEENS1_30default_config_static_selectorELNS0_4arch9wavefront6targetE1EEEvT1_,"axG",@progbits,_ZN7rocprim17ROCPRIM_400000_NS6detail17trampoline_kernelINS0_14default_configENS1_20scan_config_selectorIsEEZZNS1_9scan_implILNS1_25lookback_scan_determinismE0ELb0ELb0ES3_N6thrust23THRUST_200600_302600_NS6detail15normal_iteratorINS9_10device_ptrIsEEEESE_s9plus_mod3IsEsEEDaPvRmT3_T4_T5_mT6_P12ihipStream_tbENKUlT_T0_E_clISt17integral_constantIbLb0EEST_IbLb1EEEEDaSP_SQ_EUlSP_E_NS1_11comp_targetILNS1_3genE10ELNS1_11target_archE1200ELNS1_3gpuE4ELNS1_3repE0EEENS1_30default_config_static_selectorELNS0_4arch9wavefront6targetE1EEEvT1_,comdat
.Lfunc_end6738:
	.size	_ZN7rocprim17ROCPRIM_400000_NS6detail17trampoline_kernelINS0_14default_configENS1_20scan_config_selectorIsEEZZNS1_9scan_implILNS1_25lookback_scan_determinismE0ELb0ELb0ES3_N6thrust23THRUST_200600_302600_NS6detail15normal_iteratorINS9_10device_ptrIsEEEESE_s9plus_mod3IsEsEEDaPvRmT3_T4_T5_mT6_P12ihipStream_tbENKUlT_T0_E_clISt17integral_constantIbLb0EEST_IbLb1EEEEDaSP_SQ_EUlSP_E_NS1_11comp_targetILNS1_3genE10ELNS1_11target_archE1200ELNS1_3gpuE4ELNS1_3repE0EEENS1_30default_config_static_selectorELNS0_4arch9wavefront6targetE1EEEvT1_, .Lfunc_end6738-_ZN7rocprim17ROCPRIM_400000_NS6detail17trampoline_kernelINS0_14default_configENS1_20scan_config_selectorIsEEZZNS1_9scan_implILNS1_25lookback_scan_determinismE0ELb0ELb0ES3_N6thrust23THRUST_200600_302600_NS6detail15normal_iteratorINS9_10device_ptrIsEEEESE_s9plus_mod3IsEsEEDaPvRmT3_T4_T5_mT6_P12ihipStream_tbENKUlT_T0_E_clISt17integral_constantIbLb0EEST_IbLb1EEEEDaSP_SQ_EUlSP_E_NS1_11comp_targetILNS1_3genE10ELNS1_11target_archE1200ELNS1_3gpuE4ELNS1_3repE0EEENS1_30default_config_static_selectorELNS0_4arch9wavefront6targetE1EEEvT1_
                                        ; -- End function
	.section	.AMDGPU.csdata,"",@progbits
; Kernel info:
; codeLenInByte = 0
; NumSgprs: 4
; NumVgprs: 0
; NumAgprs: 0
; TotalNumVgprs: 0
; ScratchSize: 0
; MemoryBound: 0
; FloatMode: 240
; IeeeMode: 1
; LDSByteSize: 0 bytes/workgroup (compile time only)
; SGPRBlocks: 0
; VGPRBlocks: 0
; NumSGPRsForWavesPerEU: 4
; NumVGPRsForWavesPerEU: 1
; AccumOffset: 4
; Occupancy: 8
; WaveLimiterHint : 0
; COMPUTE_PGM_RSRC2:SCRATCH_EN: 0
; COMPUTE_PGM_RSRC2:USER_SGPR: 6
; COMPUTE_PGM_RSRC2:TRAP_HANDLER: 0
; COMPUTE_PGM_RSRC2:TGID_X_EN: 1
; COMPUTE_PGM_RSRC2:TGID_Y_EN: 0
; COMPUTE_PGM_RSRC2:TGID_Z_EN: 0
; COMPUTE_PGM_RSRC2:TIDIG_COMP_CNT: 0
; COMPUTE_PGM_RSRC3_GFX90A:ACCUM_OFFSET: 0
; COMPUTE_PGM_RSRC3_GFX90A:TG_SPLIT: 0
	.section	.text._ZN7rocprim17ROCPRIM_400000_NS6detail17trampoline_kernelINS0_14default_configENS1_20scan_config_selectorIsEEZZNS1_9scan_implILNS1_25lookback_scan_determinismE0ELb0ELb0ES3_N6thrust23THRUST_200600_302600_NS6detail15normal_iteratorINS9_10device_ptrIsEEEESE_s9plus_mod3IsEsEEDaPvRmT3_T4_T5_mT6_P12ihipStream_tbENKUlT_T0_E_clISt17integral_constantIbLb0EEST_IbLb1EEEEDaSP_SQ_EUlSP_E_NS1_11comp_targetILNS1_3genE9ELNS1_11target_archE1100ELNS1_3gpuE3ELNS1_3repE0EEENS1_30default_config_static_selectorELNS0_4arch9wavefront6targetE1EEEvT1_,"axG",@progbits,_ZN7rocprim17ROCPRIM_400000_NS6detail17trampoline_kernelINS0_14default_configENS1_20scan_config_selectorIsEEZZNS1_9scan_implILNS1_25lookback_scan_determinismE0ELb0ELb0ES3_N6thrust23THRUST_200600_302600_NS6detail15normal_iteratorINS9_10device_ptrIsEEEESE_s9plus_mod3IsEsEEDaPvRmT3_T4_T5_mT6_P12ihipStream_tbENKUlT_T0_E_clISt17integral_constantIbLb0EEST_IbLb1EEEEDaSP_SQ_EUlSP_E_NS1_11comp_targetILNS1_3genE9ELNS1_11target_archE1100ELNS1_3gpuE3ELNS1_3repE0EEENS1_30default_config_static_selectorELNS0_4arch9wavefront6targetE1EEEvT1_,comdat
	.protected	_ZN7rocprim17ROCPRIM_400000_NS6detail17trampoline_kernelINS0_14default_configENS1_20scan_config_selectorIsEEZZNS1_9scan_implILNS1_25lookback_scan_determinismE0ELb0ELb0ES3_N6thrust23THRUST_200600_302600_NS6detail15normal_iteratorINS9_10device_ptrIsEEEESE_s9plus_mod3IsEsEEDaPvRmT3_T4_T5_mT6_P12ihipStream_tbENKUlT_T0_E_clISt17integral_constantIbLb0EEST_IbLb1EEEEDaSP_SQ_EUlSP_E_NS1_11comp_targetILNS1_3genE9ELNS1_11target_archE1100ELNS1_3gpuE3ELNS1_3repE0EEENS1_30default_config_static_selectorELNS0_4arch9wavefront6targetE1EEEvT1_ ; -- Begin function _ZN7rocprim17ROCPRIM_400000_NS6detail17trampoline_kernelINS0_14default_configENS1_20scan_config_selectorIsEEZZNS1_9scan_implILNS1_25lookback_scan_determinismE0ELb0ELb0ES3_N6thrust23THRUST_200600_302600_NS6detail15normal_iteratorINS9_10device_ptrIsEEEESE_s9plus_mod3IsEsEEDaPvRmT3_T4_T5_mT6_P12ihipStream_tbENKUlT_T0_E_clISt17integral_constantIbLb0EEST_IbLb1EEEEDaSP_SQ_EUlSP_E_NS1_11comp_targetILNS1_3genE9ELNS1_11target_archE1100ELNS1_3gpuE3ELNS1_3repE0EEENS1_30default_config_static_selectorELNS0_4arch9wavefront6targetE1EEEvT1_
	.globl	_ZN7rocprim17ROCPRIM_400000_NS6detail17trampoline_kernelINS0_14default_configENS1_20scan_config_selectorIsEEZZNS1_9scan_implILNS1_25lookback_scan_determinismE0ELb0ELb0ES3_N6thrust23THRUST_200600_302600_NS6detail15normal_iteratorINS9_10device_ptrIsEEEESE_s9plus_mod3IsEsEEDaPvRmT3_T4_T5_mT6_P12ihipStream_tbENKUlT_T0_E_clISt17integral_constantIbLb0EEST_IbLb1EEEEDaSP_SQ_EUlSP_E_NS1_11comp_targetILNS1_3genE9ELNS1_11target_archE1100ELNS1_3gpuE3ELNS1_3repE0EEENS1_30default_config_static_selectorELNS0_4arch9wavefront6targetE1EEEvT1_
	.p2align	8
	.type	_ZN7rocprim17ROCPRIM_400000_NS6detail17trampoline_kernelINS0_14default_configENS1_20scan_config_selectorIsEEZZNS1_9scan_implILNS1_25lookback_scan_determinismE0ELb0ELb0ES3_N6thrust23THRUST_200600_302600_NS6detail15normal_iteratorINS9_10device_ptrIsEEEESE_s9plus_mod3IsEsEEDaPvRmT3_T4_T5_mT6_P12ihipStream_tbENKUlT_T0_E_clISt17integral_constantIbLb0EEST_IbLb1EEEEDaSP_SQ_EUlSP_E_NS1_11comp_targetILNS1_3genE9ELNS1_11target_archE1100ELNS1_3gpuE3ELNS1_3repE0EEENS1_30default_config_static_selectorELNS0_4arch9wavefront6targetE1EEEvT1_,@function
_ZN7rocprim17ROCPRIM_400000_NS6detail17trampoline_kernelINS0_14default_configENS1_20scan_config_selectorIsEEZZNS1_9scan_implILNS1_25lookback_scan_determinismE0ELb0ELb0ES3_N6thrust23THRUST_200600_302600_NS6detail15normal_iteratorINS9_10device_ptrIsEEEESE_s9plus_mod3IsEsEEDaPvRmT3_T4_T5_mT6_P12ihipStream_tbENKUlT_T0_E_clISt17integral_constantIbLb0EEST_IbLb1EEEEDaSP_SQ_EUlSP_E_NS1_11comp_targetILNS1_3genE9ELNS1_11target_archE1100ELNS1_3gpuE3ELNS1_3repE0EEENS1_30default_config_static_selectorELNS0_4arch9wavefront6targetE1EEEvT1_: ; @_ZN7rocprim17ROCPRIM_400000_NS6detail17trampoline_kernelINS0_14default_configENS1_20scan_config_selectorIsEEZZNS1_9scan_implILNS1_25lookback_scan_determinismE0ELb0ELb0ES3_N6thrust23THRUST_200600_302600_NS6detail15normal_iteratorINS9_10device_ptrIsEEEESE_s9plus_mod3IsEsEEDaPvRmT3_T4_T5_mT6_P12ihipStream_tbENKUlT_T0_E_clISt17integral_constantIbLb0EEST_IbLb1EEEEDaSP_SQ_EUlSP_E_NS1_11comp_targetILNS1_3genE9ELNS1_11target_archE1100ELNS1_3gpuE3ELNS1_3repE0EEENS1_30default_config_static_selectorELNS0_4arch9wavefront6targetE1EEEvT1_
; %bb.0:
	.section	.rodata,"a",@progbits
	.p2align	6, 0x0
	.amdhsa_kernel _ZN7rocprim17ROCPRIM_400000_NS6detail17trampoline_kernelINS0_14default_configENS1_20scan_config_selectorIsEEZZNS1_9scan_implILNS1_25lookback_scan_determinismE0ELb0ELb0ES3_N6thrust23THRUST_200600_302600_NS6detail15normal_iteratorINS9_10device_ptrIsEEEESE_s9plus_mod3IsEsEEDaPvRmT3_T4_T5_mT6_P12ihipStream_tbENKUlT_T0_E_clISt17integral_constantIbLb0EEST_IbLb1EEEEDaSP_SQ_EUlSP_E_NS1_11comp_targetILNS1_3genE9ELNS1_11target_archE1100ELNS1_3gpuE3ELNS1_3repE0EEENS1_30default_config_static_selectorELNS0_4arch9wavefront6targetE1EEEvT1_
		.amdhsa_group_segment_fixed_size 0
		.amdhsa_private_segment_fixed_size 0
		.amdhsa_kernarg_size 104
		.amdhsa_user_sgpr_count 6
		.amdhsa_user_sgpr_private_segment_buffer 1
		.amdhsa_user_sgpr_dispatch_ptr 0
		.amdhsa_user_sgpr_queue_ptr 0
		.amdhsa_user_sgpr_kernarg_segment_ptr 1
		.amdhsa_user_sgpr_dispatch_id 0
		.amdhsa_user_sgpr_flat_scratch_init 0
		.amdhsa_user_sgpr_kernarg_preload_length 0
		.amdhsa_user_sgpr_kernarg_preload_offset 0
		.amdhsa_user_sgpr_private_segment_size 0
		.amdhsa_uses_dynamic_stack 0
		.amdhsa_system_sgpr_private_segment_wavefront_offset 0
		.amdhsa_system_sgpr_workgroup_id_x 1
		.amdhsa_system_sgpr_workgroup_id_y 0
		.amdhsa_system_sgpr_workgroup_id_z 0
		.amdhsa_system_sgpr_workgroup_info 0
		.amdhsa_system_vgpr_workitem_id 0
		.amdhsa_next_free_vgpr 1
		.amdhsa_next_free_sgpr 0
		.amdhsa_accum_offset 4
		.amdhsa_reserve_vcc 0
		.amdhsa_reserve_flat_scratch 0
		.amdhsa_float_round_mode_32 0
		.amdhsa_float_round_mode_16_64 0
		.amdhsa_float_denorm_mode_32 3
		.amdhsa_float_denorm_mode_16_64 3
		.amdhsa_dx10_clamp 1
		.amdhsa_ieee_mode 1
		.amdhsa_fp16_overflow 0
		.amdhsa_tg_split 0
		.amdhsa_exception_fp_ieee_invalid_op 0
		.amdhsa_exception_fp_denorm_src 0
		.amdhsa_exception_fp_ieee_div_zero 0
		.amdhsa_exception_fp_ieee_overflow 0
		.amdhsa_exception_fp_ieee_underflow 0
		.amdhsa_exception_fp_ieee_inexact 0
		.amdhsa_exception_int_div_zero 0
	.end_amdhsa_kernel
	.section	.text._ZN7rocprim17ROCPRIM_400000_NS6detail17trampoline_kernelINS0_14default_configENS1_20scan_config_selectorIsEEZZNS1_9scan_implILNS1_25lookback_scan_determinismE0ELb0ELb0ES3_N6thrust23THRUST_200600_302600_NS6detail15normal_iteratorINS9_10device_ptrIsEEEESE_s9plus_mod3IsEsEEDaPvRmT3_T4_T5_mT6_P12ihipStream_tbENKUlT_T0_E_clISt17integral_constantIbLb0EEST_IbLb1EEEEDaSP_SQ_EUlSP_E_NS1_11comp_targetILNS1_3genE9ELNS1_11target_archE1100ELNS1_3gpuE3ELNS1_3repE0EEENS1_30default_config_static_selectorELNS0_4arch9wavefront6targetE1EEEvT1_,"axG",@progbits,_ZN7rocprim17ROCPRIM_400000_NS6detail17trampoline_kernelINS0_14default_configENS1_20scan_config_selectorIsEEZZNS1_9scan_implILNS1_25lookback_scan_determinismE0ELb0ELb0ES3_N6thrust23THRUST_200600_302600_NS6detail15normal_iteratorINS9_10device_ptrIsEEEESE_s9plus_mod3IsEsEEDaPvRmT3_T4_T5_mT6_P12ihipStream_tbENKUlT_T0_E_clISt17integral_constantIbLb0EEST_IbLb1EEEEDaSP_SQ_EUlSP_E_NS1_11comp_targetILNS1_3genE9ELNS1_11target_archE1100ELNS1_3gpuE3ELNS1_3repE0EEENS1_30default_config_static_selectorELNS0_4arch9wavefront6targetE1EEEvT1_,comdat
.Lfunc_end6739:
	.size	_ZN7rocprim17ROCPRIM_400000_NS6detail17trampoline_kernelINS0_14default_configENS1_20scan_config_selectorIsEEZZNS1_9scan_implILNS1_25lookback_scan_determinismE0ELb0ELb0ES3_N6thrust23THRUST_200600_302600_NS6detail15normal_iteratorINS9_10device_ptrIsEEEESE_s9plus_mod3IsEsEEDaPvRmT3_T4_T5_mT6_P12ihipStream_tbENKUlT_T0_E_clISt17integral_constantIbLb0EEST_IbLb1EEEEDaSP_SQ_EUlSP_E_NS1_11comp_targetILNS1_3genE9ELNS1_11target_archE1100ELNS1_3gpuE3ELNS1_3repE0EEENS1_30default_config_static_selectorELNS0_4arch9wavefront6targetE1EEEvT1_, .Lfunc_end6739-_ZN7rocprim17ROCPRIM_400000_NS6detail17trampoline_kernelINS0_14default_configENS1_20scan_config_selectorIsEEZZNS1_9scan_implILNS1_25lookback_scan_determinismE0ELb0ELb0ES3_N6thrust23THRUST_200600_302600_NS6detail15normal_iteratorINS9_10device_ptrIsEEEESE_s9plus_mod3IsEsEEDaPvRmT3_T4_T5_mT6_P12ihipStream_tbENKUlT_T0_E_clISt17integral_constantIbLb0EEST_IbLb1EEEEDaSP_SQ_EUlSP_E_NS1_11comp_targetILNS1_3genE9ELNS1_11target_archE1100ELNS1_3gpuE3ELNS1_3repE0EEENS1_30default_config_static_selectorELNS0_4arch9wavefront6targetE1EEEvT1_
                                        ; -- End function
	.section	.AMDGPU.csdata,"",@progbits
; Kernel info:
; codeLenInByte = 0
; NumSgprs: 4
; NumVgprs: 0
; NumAgprs: 0
; TotalNumVgprs: 0
; ScratchSize: 0
; MemoryBound: 0
; FloatMode: 240
; IeeeMode: 1
; LDSByteSize: 0 bytes/workgroup (compile time only)
; SGPRBlocks: 0
; VGPRBlocks: 0
; NumSGPRsForWavesPerEU: 4
; NumVGPRsForWavesPerEU: 1
; AccumOffset: 4
; Occupancy: 8
; WaveLimiterHint : 0
; COMPUTE_PGM_RSRC2:SCRATCH_EN: 0
; COMPUTE_PGM_RSRC2:USER_SGPR: 6
; COMPUTE_PGM_RSRC2:TRAP_HANDLER: 0
; COMPUTE_PGM_RSRC2:TGID_X_EN: 1
; COMPUTE_PGM_RSRC2:TGID_Y_EN: 0
; COMPUTE_PGM_RSRC2:TGID_Z_EN: 0
; COMPUTE_PGM_RSRC2:TIDIG_COMP_CNT: 0
; COMPUTE_PGM_RSRC3_GFX90A:ACCUM_OFFSET: 0
; COMPUTE_PGM_RSRC3_GFX90A:TG_SPLIT: 0
	.section	.text._ZN7rocprim17ROCPRIM_400000_NS6detail17trampoline_kernelINS0_14default_configENS1_20scan_config_selectorIsEEZZNS1_9scan_implILNS1_25lookback_scan_determinismE0ELb0ELb0ES3_N6thrust23THRUST_200600_302600_NS6detail15normal_iteratorINS9_10device_ptrIsEEEESE_s9plus_mod3IsEsEEDaPvRmT3_T4_T5_mT6_P12ihipStream_tbENKUlT_T0_E_clISt17integral_constantIbLb0EEST_IbLb1EEEEDaSP_SQ_EUlSP_E_NS1_11comp_targetILNS1_3genE8ELNS1_11target_archE1030ELNS1_3gpuE2ELNS1_3repE0EEENS1_30default_config_static_selectorELNS0_4arch9wavefront6targetE1EEEvT1_,"axG",@progbits,_ZN7rocprim17ROCPRIM_400000_NS6detail17trampoline_kernelINS0_14default_configENS1_20scan_config_selectorIsEEZZNS1_9scan_implILNS1_25lookback_scan_determinismE0ELb0ELb0ES3_N6thrust23THRUST_200600_302600_NS6detail15normal_iteratorINS9_10device_ptrIsEEEESE_s9plus_mod3IsEsEEDaPvRmT3_T4_T5_mT6_P12ihipStream_tbENKUlT_T0_E_clISt17integral_constantIbLb0EEST_IbLb1EEEEDaSP_SQ_EUlSP_E_NS1_11comp_targetILNS1_3genE8ELNS1_11target_archE1030ELNS1_3gpuE2ELNS1_3repE0EEENS1_30default_config_static_selectorELNS0_4arch9wavefront6targetE1EEEvT1_,comdat
	.protected	_ZN7rocprim17ROCPRIM_400000_NS6detail17trampoline_kernelINS0_14default_configENS1_20scan_config_selectorIsEEZZNS1_9scan_implILNS1_25lookback_scan_determinismE0ELb0ELb0ES3_N6thrust23THRUST_200600_302600_NS6detail15normal_iteratorINS9_10device_ptrIsEEEESE_s9plus_mod3IsEsEEDaPvRmT3_T4_T5_mT6_P12ihipStream_tbENKUlT_T0_E_clISt17integral_constantIbLb0EEST_IbLb1EEEEDaSP_SQ_EUlSP_E_NS1_11comp_targetILNS1_3genE8ELNS1_11target_archE1030ELNS1_3gpuE2ELNS1_3repE0EEENS1_30default_config_static_selectorELNS0_4arch9wavefront6targetE1EEEvT1_ ; -- Begin function _ZN7rocprim17ROCPRIM_400000_NS6detail17trampoline_kernelINS0_14default_configENS1_20scan_config_selectorIsEEZZNS1_9scan_implILNS1_25lookback_scan_determinismE0ELb0ELb0ES3_N6thrust23THRUST_200600_302600_NS6detail15normal_iteratorINS9_10device_ptrIsEEEESE_s9plus_mod3IsEsEEDaPvRmT3_T4_T5_mT6_P12ihipStream_tbENKUlT_T0_E_clISt17integral_constantIbLb0EEST_IbLb1EEEEDaSP_SQ_EUlSP_E_NS1_11comp_targetILNS1_3genE8ELNS1_11target_archE1030ELNS1_3gpuE2ELNS1_3repE0EEENS1_30default_config_static_selectorELNS0_4arch9wavefront6targetE1EEEvT1_
	.globl	_ZN7rocprim17ROCPRIM_400000_NS6detail17trampoline_kernelINS0_14default_configENS1_20scan_config_selectorIsEEZZNS1_9scan_implILNS1_25lookback_scan_determinismE0ELb0ELb0ES3_N6thrust23THRUST_200600_302600_NS6detail15normal_iteratorINS9_10device_ptrIsEEEESE_s9plus_mod3IsEsEEDaPvRmT3_T4_T5_mT6_P12ihipStream_tbENKUlT_T0_E_clISt17integral_constantIbLb0EEST_IbLb1EEEEDaSP_SQ_EUlSP_E_NS1_11comp_targetILNS1_3genE8ELNS1_11target_archE1030ELNS1_3gpuE2ELNS1_3repE0EEENS1_30default_config_static_selectorELNS0_4arch9wavefront6targetE1EEEvT1_
	.p2align	8
	.type	_ZN7rocprim17ROCPRIM_400000_NS6detail17trampoline_kernelINS0_14default_configENS1_20scan_config_selectorIsEEZZNS1_9scan_implILNS1_25lookback_scan_determinismE0ELb0ELb0ES3_N6thrust23THRUST_200600_302600_NS6detail15normal_iteratorINS9_10device_ptrIsEEEESE_s9plus_mod3IsEsEEDaPvRmT3_T4_T5_mT6_P12ihipStream_tbENKUlT_T0_E_clISt17integral_constantIbLb0EEST_IbLb1EEEEDaSP_SQ_EUlSP_E_NS1_11comp_targetILNS1_3genE8ELNS1_11target_archE1030ELNS1_3gpuE2ELNS1_3repE0EEENS1_30default_config_static_selectorELNS0_4arch9wavefront6targetE1EEEvT1_,@function
_ZN7rocprim17ROCPRIM_400000_NS6detail17trampoline_kernelINS0_14default_configENS1_20scan_config_selectorIsEEZZNS1_9scan_implILNS1_25lookback_scan_determinismE0ELb0ELb0ES3_N6thrust23THRUST_200600_302600_NS6detail15normal_iteratorINS9_10device_ptrIsEEEESE_s9plus_mod3IsEsEEDaPvRmT3_T4_T5_mT6_P12ihipStream_tbENKUlT_T0_E_clISt17integral_constantIbLb0EEST_IbLb1EEEEDaSP_SQ_EUlSP_E_NS1_11comp_targetILNS1_3genE8ELNS1_11target_archE1030ELNS1_3gpuE2ELNS1_3repE0EEENS1_30default_config_static_selectorELNS0_4arch9wavefront6targetE1EEEvT1_: ; @_ZN7rocprim17ROCPRIM_400000_NS6detail17trampoline_kernelINS0_14default_configENS1_20scan_config_selectorIsEEZZNS1_9scan_implILNS1_25lookback_scan_determinismE0ELb0ELb0ES3_N6thrust23THRUST_200600_302600_NS6detail15normal_iteratorINS9_10device_ptrIsEEEESE_s9plus_mod3IsEsEEDaPvRmT3_T4_T5_mT6_P12ihipStream_tbENKUlT_T0_E_clISt17integral_constantIbLb0EEST_IbLb1EEEEDaSP_SQ_EUlSP_E_NS1_11comp_targetILNS1_3genE8ELNS1_11target_archE1030ELNS1_3gpuE2ELNS1_3repE0EEENS1_30default_config_static_selectorELNS0_4arch9wavefront6targetE1EEEvT1_
; %bb.0:
	.section	.rodata,"a",@progbits
	.p2align	6, 0x0
	.amdhsa_kernel _ZN7rocprim17ROCPRIM_400000_NS6detail17trampoline_kernelINS0_14default_configENS1_20scan_config_selectorIsEEZZNS1_9scan_implILNS1_25lookback_scan_determinismE0ELb0ELb0ES3_N6thrust23THRUST_200600_302600_NS6detail15normal_iteratorINS9_10device_ptrIsEEEESE_s9plus_mod3IsEsEEDaPvRmT3_T4_T5_mT6_P12ihipStream_tbENKUlT_T0_E_clISt17integral_constantIbLb0EEST_IbLb1EEEEDaSP_SQ_EUlSP_E_NS1_11comp_targetILNS1_3genE8ELNS1_11target_archE1030ELNS1_3gpuE2ELNS1_3repE0EEENS1_30default_config_static_selectorELNS0_4arch9wavefront6targetE1EEEvT1_
		.amdhsa_group_segment_fixed_size 0
		.amdhsa_private_segment_fixed_size 0
		.amdhsa_kernarg_size 104
		.amdhsa_user_sgpr_count 6
		.amdhsa_user_sgpr_private_segment_buffer 1
		.amdhsa_user_sgpr_dispatch_ptr 0
		.amdhsa_user_sgpr_queue_ptr 0
		.amdhsa_user_sgpr_kernarg_segment_ptr 1
		.amdhsa_user_sgpr_dispatch_id 0
		.amdhsa_user_sgpr_flat_scratch_init 0
		.amdhsa_user_sgpr_kernarg_preload_length 0
		.amdhsa_user_sgpr_kernarg_preload_offset 0
		.amdhsa_user_sgpr_private_segment_size 0
		.amdhsa_uses_dynamic_stack 0
		.amdhsa_system_sgpr_private_segment_wavefront_offset 0
		.amdhsa_system_sgpr_workgroup_id_x 1
		.amdhsa_system_sgpr_workgroup_id_y 0
		.amdhsa_system_sgpr_workgroup_id_z 0
		.amdhsa_system_sgpr_workgroup_info 0
		.amdhsa_system_vgpr_workitem_id 0
		.amdhsa_next_free_vgpr 1
		.amdhsa_next_free_sgpr 0
		.amdhsa_accum_offset 4
		.amdhsa_reserve_vcc 0
		.amdhsa_reserve_flat_scratch 0
		.amdhsa_float_round_mode_32 0
		.amdhsa_float_round_mode_16_64 0
		.amdhsa_float_denorm_mode_32 3
		.amdhsa_float_denorm_mode_16_64 3
		.amdhsa_dx10_clamp 1
		.amdhsa_ieee_mode 1
		.amdhsa_fp16_overflow 0
		.amdhsa_tg_split 0
		.amdhsa_exception_fp_ieee_invalid_op 0
		.amdhsa_exception_fp_denorm_src 0
		.amdhsa_exception_fp_ieee_div_zero 0
		.amdhsa_exception_fp_ieee_overflow 0
		.amdhsa_exception_fp_ieee_underflow 0
		.amdhsa_exception_fp_ieee_inexact 0
		.amdhsa_exception_int_div_zero 0
	.end_amdhsa_kernel
	.section	.text._ZN7rocprim17ROCPRIM_400000_NS6detail17trampoline_kernelINS0_14default_configENS1_20scan_config_selectorIsEEZZNS1_9scan_implILNS1_25lookback_scan_determinismE0ELb0ELb0ES3_N6thrust23THRUST_200600_302600_NS6detail15normal_iteratorINS9_10device_ptrIsEEEESE_s9plus_mod3IsEsEEDaPvRmT3_T4_T5_mT6_P12ihipStream_tbENKUlT_T0_E_clISt17integral_constantIbLb0EEST_IbLb1EEEEDaSP_SQ_EUlSP_E_NS1_11comp_targetILNS1_3genE8ELNS1_11target_archE1030ELNS1_3gpuE2ELNS1_3repE0EEENS1_30default_config_static_selectorELNS0_4arch9wavefront6targetE1EEEvT1_,"axG",@progbits,_ZN7rocprim17ROCPRIM_400000_NS6detail17trampoline_kernelINS0_14default_configENS1_20scan_config_selectorIsEEZZNS1_9scan_implILNS1_25lookback_scan_determinismE0ELb0ELb0ES3_N6thrust23THRUST_200600_302600_NS6detail15normal_iteratorINS9_10device_ptrIsEEEESE_s9plus_mod3IsEsEEDaPvRmT3_T4_T5_mT6_P12ihipStream_tbENKUlT_T0_E_clISt17integral_constantIbLb0EEST_IbLb1EEEEDaSP_SQ_EUlSP_E_NS1_11comp_targetILNS1_3genE8ELNS1_11target_archE1030ELNS1_3gpuE2ELNS1_3repE0EEENS1_30default_config_static_selectorELNS0_4arch9wavefront6targetE1EEEvT1_,comdat
.Lfunc_end6740:
	.size	_ZN7rocprim17ROCPRIM_400000_NS6detail17trampoline_kernelINS0_14default_configENS1_20scan_config_selectorIsEEZZNS1_9scan_implILNS1_25lookback_scan_determinismE0ELb0ELb0ES3_N6thrust23THRUST_200600_302600_NS6detail15normal_iteratorINS9_10device_ptrIsEEEESE_s9plus_mod3IsEsEEDaPvRmT3_T4_T5_mT6_P12ihipStream_tbENKUlT_T0_E_clISt17integral_constantIbLb0EEST_IbLb1EEEEDaSP_SQ_EUlSP_E_NS1_11comp_targetILNS1_3genE8ELNS1_11target_archE1030ELNS1_3gpuE2ELNS1_3repE0EEENS1_30default_config_static_selectorELNS0_4arch9wavefront6targetE1EEEvT1_, .Lfunc_end6740-_ZN7rocprim17ROCPRIM_400000_NS6detail17trampoline_kernelINS0_14default_configENS1_20scan_config_selectorIsEEZZNS1_9scan_implILNS1_25lookback_scan_determinismE0ELb0ELb0ES3_N6thrust23THRUST_200600_302600_NS6detail15normal_iteratorINS9_10device_ptrIsEEEESE_s9plus_mod3IsEsEEDaPvRmT3_T4_T5_mT6_P12ihipStream_tbENKUlT_T0_E_clISt17integral_constantIbLb0EEST_IbLb1EEEEDaSP_SQ_EUlSP_E_NS1_11comp_targetILNS1_3genE8ELNS1_11target_archE1030ELNS1_3gpuE2ELNS1_3repE0EEENS1_30default_config_static_selectorELNS0_4arch9wavefront6targetE1EEEvT1_
                                        ; -- End function
	.section	.AMDGPU.csdata,"",@progbits
; Kernel info:
; codeLenInByte = 0
; NumSgprs: 4
; NumVgprs: 0
; NumAgprs: 0
; TotalNumVgprs: 0
; ScratchSize: 0
; MemoryBound: 0
; FloatMode: 240
; IeeeMode: 1
; LDSByteSize: 0 bytes/workgroup (compile time only)
; SGPRBlocks: 0
; VGPRBlocks: 0
; NumSGPRsForWavesPerEU: 4
; NumVGPRsForWavesPerEU: 1
; AccumOffset: 4
; Occupancy: 8
; WaveLimiterHint : 0
; COMPUTE_PGM_RSRC2:SCRATCH_EN: 0
; COMPUTE_PGM_RSRC2:USER_SGPR: 6
; COMPUTE_PGM_RSRC2:TRAP_HANDLER: 0
; COMPUTE_PGM_RSRC2:TGID_X_EN: 1
; COMPUTE_PGM_RSRC2:TGID_Y_EN: 0
; COMPUTE_PGM_RSRC2:TGID_Z_EN: 0
; COMPUTE_PGM_RSRC2:TIDIG_COMP_CNT: 0
; COMPUTE_PGM_RSRC3_GFX90A:ACCUM_OFFSET: 0
; COMPUTE_PGM_RSRC3_GFX90A:TG_SPLIT: 0
	.section	.text._ZN7rocprim17ROCPRIM_400000_NS6detail17trampoline_kernelINS0_14default_configENS1_20scan_config_selectorIsEEZZNS1_9scan_implILNS1_25lookback_scan_determinismE0ELb0ELb0ES3_N6thrust23THRUST_200600_302600_NS6detail15normal_iteratorINS9_10device_ptrIsEEEESE_s9plus_mod3IsEsEEDaPvRmT3_T4_T5_mT6_P12ihipStream_tbENKUlT_T0_E_clISt17integral_constantIbLb0EEST_IbLb1EEEEDaSP_SQ_EUlSP_E0_NS1_11comp_targetILNS1_3genE0ELNS1_11target_archE4294967295ELNS1_3gpuE0ELNS1_3repE0EEENS1_30default_config_static_selectorELNS0_4arch9wavefront6targetE1EEEvT1_,"axG",@progbits,_ZN7rocprim17ROCPRIM_400000_NS6detail17trampoline_kernelINS0_14default_configENS1_20scan_config_selectorIsEEZZNS1_9scan_implILNS1_25lookback_scan_determinismE0ELb0ELb0ES3_N6thrust23THRUST_200600_302600_NS6detail15normal_iteratorINS9_10device_ptrIsEEEESE_s9plus_mod3IsEsEEDaPvRmT3_T4_T5_mT6_P12ihipStream_tbENKUlT_T0_E_clISt17integral_constantIbLb0EEST_IbLb1EEEEDaSP_SQ_EUlSP_E0_NS1_11comp_targetILNS1_3genE0ELNS1_11target_archE4294967295ELNS1_3gpuE0ELNS1_3repE0EEENS1_30default_config_static_selectorELNS0_4arch9wavefront6targetE1EEEvT1_,comdat
	.protected	_ZN7rocprim17ROCPRIM_400000_NS6detail17trampoline_kernelINS0_14default_configENS1_20scan_config_selectorIsEEZZNS1_9scan_implILNS1_25lookback_scan_determinismE0ELb0ELb0ES3_N6thrust23THRUST_200600_302600_NS6detail15normal_iteratorINS9_10device_ptrIsEEEESE_s9plus_mod3IsEsEEDaPvRmT3_T4_T5_mT6_P12ihipStream_tbENKUlT_T0_E_clISt17integral_constantIbLb0EEST_IbLb1EEEEDaSP_SQ_EUlSP_E0_NS1_11comp_targetILNS1_3genE0ELNS1_11target_archE4294967295ELNS1_3gpuE0ELNS1_3repE0EEENS1_30default_config_static_selectorELNS0_4arch9wavefront6targetE1EEEvT1_ ; -- Begin function _ZN7rocprim17ROCPRIM_400000_NS6detail17trampoline_kernelINS0_14default_configENS1_20scan_config_selectorIsEEZZNS1_9scan_implILNS1_25lookback_scan_determinismE0ELb0ELb0ES3_N6thrust23THRUST_200600_302600_NS6detail15normal_iteratorINS9_10device_ptrIsEEEESE_s9plus_mod3IsEsEEDaPvRmT3_T4_T5_mT6_P12ihipStream_tbENKUlT_T0_E_clISt17integral_constantIbLb0EEST_IbLb1EEEEDaSP_SQ_EUlSP_E0_NS1_11comp_targetILNS1_3genE0ELNS1_11target_archE4294967295ELNS1_3gpuE0ELNS1_3repE0EEENS1_30default_config_static_selectorELNS0_4arch9wavefront6targetE1EEEvT1_
	.globl	_ZN7rocprim17ROCPRIM_400000_NS6detail17trampoline_kernelINS0_14default_configENS1_20scan_config_selectorIsEEZZNS1_9scan_implILNS1_25lookback_scan_determinismE0ELb0ELb0ES3_N6thrust23THRUST_200600_302600_NS6detail15normal_iteratorINS9_10device_ptrIsEEEESE_s9plus_mod3IsEsEEDaPvRmT3_T4_T5_mT6_P12ihipStream_tbENKUlT_T0_E_clISt17integral_constantIbLb0EEST_IbLb1EEEEDaSP_SQ_EUlSP_E0_NS1_11comp_targetILNS1_3genE0ELNS1_11target_archE4294967295ELNS1_3gpuE0ELNS1_3repE0EEENS1_30default_config_static_selectorELNS0_4arch9wavefront6targetE1EEEvT1_
	.p2align	8
	.type	_ZN7rocprim17ROCPRIM_400000_NS6detail17trampoline_kernelINS0_14default_configENS1_20scan_config_selectorIsEEZZNS1_9scan_implILNS1_25lookback_scan_determinismE0ELb0ELb0ES3_N6thrust23THRUST_200600_302600_NS6detail15normal_iteratorINS9_10device_ptrIsEEEESE_s9plus_mod3IsEsEEDaPvRmT3_T4_T5_mT6_P12ihipStream_tbENKUlT_T0_E_clISt17integral_constantIbLb0EEST_IbLb1EEEEDaSP_SQ_EUlSP_E0_NS1_11comp_targetILNS1_3genE0ELNS1_11target_archE4294967295ELNS1_3gpuE0ELNS1_3repE0EEENS1_30default_config_static_selectorELNS0_4arch9wavefront6targetE1EEEvT1_,@function
_ZN7rocprim17ROCPRIM_400000_NS6detail17trampoline_kernelINS0_14default_configENS1_20scan_config_selectorIsEEZZNS1_9scan_implILNS1_25lookback_scan_determinismE0ELb0ELb0ES3_N6thrust23THRUST_200600_302600_NS6detail15normal_iteratorINS9_10device_ptrIsEEEESE_s9plus_mod3IsEsEEDaPvRmT3_T4_T5_mT6_P12ihipStream_tbENKUlT_T0_E_clISt17integral_constantIbLb0EEST_IbLb1EEEEDaSP_SQ_EUlSP_E0_NS1_11comp_targetILNS1_3genE0ELNS1_11target_archE4294967295ELNS1_3gpuE0ELNS1_3repE0EEENS1_30default_config_static_selectorELNS0_4arch9wavefront6targetE1EEEvT1_: ; @_ZN7rocprim17ROCPRIM_400000_NS6detail17trampoline_kernelINS0_14default_configENS1_20scan_config_selectorIsEEZZNS1_9scan_implILNS1_25lookback_scan_determinismE0ELb0ELb0ES3_N6thrust23THRUST_200600_302600_NS6detail15normal_iteratorINS9_10device_ptrIsEEEESE_s9plus_mod3IsEsEEDaPvRmT3_T4_T5_mT6_P12ihipStream_tbENKUlT_T0_E_clISt17integral_constantIbLb0EEST_IbLb1EEEEDaSP_SQ_EUlSP_E0_NS1_11comp_targetILNS1_3genE0ELNS1_11target_archE4294967295ELNS1_3gpuE0ELNS1_3repE0EEENS1_30default_config_static_selectorELNS0_4arch9wavefront6targetE1EEEvT1_
; %bb.0:
	.section	.rodata,"a",@progbits
	.p2align	6, 0x0
	.amdhsa_kernel _ZN7rocprim17ROCPRIM_400000_NS6detail17trampoline_kernelINS0_14default_configENS1_20scan_config_selectorIsEEZZNS1_9scan_implILNS1_25lookback_scan_determinismE0ELb0ELb0ES3_N6thrust23THRUST_200600_302600_NS6detail15normal_iteratorINS9_10device_ptrIsEEEESE_s9plus_mod3IsEsEEDaPvRmT3_T4_T5_mT6_P12ihipStream_tbENKUlT_T0_E_clISt17integral_constantIbLb0EEST_IbLb1EEEEDaSP_SQ_EUlSP_E0_NS1_11comp_targetILNS1_3genE0ELNS1_11target_archE4294967295ELNS1_3gpuE0ELNS1_3repE0EEENS1_30default_config_static_selectorELNS0_4arch9wavefront6targetE1EEEvT1_
		.amdhsa_group_segment_fixed_size 0
		.amdhsa_private_segment_fixed_size 0
		.amdhsa_kernarg_size 40
		.amdhsa_user_sgpr_count 6
		.amdhsa_user_sgpr_private_segment_buffer 1
		.amdhsa_user_sgpr_dispatch_ptr 0
		.amdhsa_user_sgpr_queue_ptr 0
		.amdhsa_user_sgpr_kernarg_segment_ptr 1
		.amdhsa_user_sgpr_dispatch_id 0
		.amdhsa_user_sgpr_flat_scratch_init 0
		.amdhsa_user_sgpr_kernarg_preload_length 0
		.amdhsa_user_sgpr_kernarg_preload_offset 0
		.amdhsa_user_sgpr_private_segment_size 0
		.amdhsa_uses_dynamic_stack 0
		.amdhsa_system_sgpr_private_segment_wavefront_offset 0
		.amdhsa_system_sgpr_workgroup_id_x 1
		.amdhsa_system_sgpr_workgroup_id_y 0
		.amdhsa_system_sgpr_workgroup_id_z 0
		.amdhsa_system_sgpr_workgroup_info 0
		.amdhsa_system_vgpr_workitem_id 0
		.amdhsa_next_free_vgpr 1
		.amdhsa_next_free_sgpr 0
		.amdhsa_accum_offset 4
		.amdhsa_reserve_vcc 0
		.amdhsa_reserve_flat_scratch 0
		.amdhsa_float_round_mode_32 0
		.amdhsa_float_round_mode_16_64 0
		.amdhsa_float_denorm_mode_32 3
		.amdhsa_float_denorm_mode_16_64 3
		.amdhsa_dx10_clamp 1
		.amdhsa_ieee_mode 1
		.amdhsa_fp16_overflow 0
		.amdhsa_tg_split 0
		.amdhsa_exception_fp_ieee_invalid_op 0
		.amdhsa_exception_fp_denorm_src 0
		.amdhsa_exception_fp_ieee_div_zero 0
		.amdhsa_exception_fp_ieee_overflow 0
		.amdhsa_exception_fp_ieee_underflow 0
		.amdhsa_exception_fp_ieee_inexact 0
		.amdhsa_exception_int_div_zero 0
	.end_amdhsa_kernel
	.section	.text._ZN7rocprim17ROCPRIM_400000_NS6detail17trampoline_kernelINS0_14default_configENS1_20scan_config_selectorIsEEZZNS1_9scan_implILNS1_25lookback_scan_determinismE0ELb0ELb0ES3_N6thrust23THRUST_200600_302600_NS6detail15normal_iteratorINS9_10device_ptrIsEEEESE_s9plus_mod3IsEsEEDaPvRmT3_T4_T5_mT6_P12ihipStream_tbENKUlT_T0_E_clISt17integral_constantIbLb0EEST_IbLb1EEEEDaSP_SQ_EUlSP_E0_NS1_11comp_targetILNS1_3genE0ELNS1_11target_archE4294967295ELNS1_3gpuE0ELNS1_3repE0EEENS1_30default_config_static_selectorELNS0_4arch9wavefront6targetE1EEEvT1_,"axG",@progbits,_ZN7rocprim17ROCPRIM_400000_NS6detail17trampoline_kernelINS0_14default_configENS1_20scan_config_selectorIsEEZZNS1_9scan_implILNS1_25lookback_scan_determinismE0ELb0ELb0ES3_N6thrust23THRUST_200600_302600_NS6detail15normal_iteratorINS9_10device_ptrIsEEEESE_s9plus_mod3IsEsEEDaPvRmT3_T4_T5_mT6_P12ihipStream_tbENKUlT_T0_E_clISt17integral_constantIbLb0EEST_IbLb1EEEEDaSP_SQ_EUlSP_E0_NS1_11comp_targetILNS1_3genE0ELNS1_11target_archE4294967295ELNS1_3gpuE0ELNS1_3repE0EEENS1_30default_config_static_selectorELNS0_4arch9wavefront6targetE1EEEvT1_,comdat
.Lfunc_end6741:
	.size	_ZN7rocprim17ROCPRIM_400000_NS6detail17trampoline_kernelINS0_14default_configENS1_20scan_config_selectorIsEEZZNS1_9scan_implILNS1_25lookback_scan_determinismE0ELb0ELb0ES3_N6thrust23THRUST_200600_302600_NS6detail15normal_iteratorINS9_10device_ptrIsEEEESE_s9plus_mod3IsEsEEDaPvRmT3_T4_T5_mT6_P12ihipStream_tbENKUlT_T0_E_clISt17integral_constantIbLb0EEST_IbLb1EEEEDaSP_SQ_EUlSP_E0_NS1_11comp_targetILNS1_3genE0ELNS1_11target_archE4294967295ELNS1_3gpuE0ELNS1_3repE0EEENS1_30default_config_static_selectorELNS0_4arch9wavefront6targetE1EEEvT1_, .Lfunc_end6741-_ZN7rocprim17ROCPRIM_400000_NS6detail17trampoline_kernelINS0_14default_configENS1_20scan_config_selectorIsEEZZNS1_9scan_implILNS1_25lookback_scan_determinismE0ELb0ELb0ES3_N6thrust23THRUST_200600_302600_NS6detail15normal_iteratorINS9_10device_ptrIsEEEESE_s9plus_mod3IsEsEEDaPvRmT3_T4_T5_mT6_P12ihipStream_tbENKUlT_T0_E_clISt17integral_constantIbLb0EEST_IbLb1EEEEDaSP_SQ_EUlSP_E0_NS1_11comp_targetILNS1_3genE0ELNS1_11target_archE4294967295ELNS1_3gpuE0ELNS1_3repE0EEENS1_30default_config_static_selectorELNS0_4arch9wavefront6targetE1EEEvT1_
                                        ; -- End function
	.section	.AMDGPU.csdata,"",@progbits
; Kernel info:
; codeLenInByte = 0
; NumSgprs: 4
; NumVgprs: 0
; NumAgprs: 0
; TotalNumVgprs: 0
; ScratchSize: 0
; MemoryBound: 0
; FloatMode: 240
; IeeeMode: 1
; LDSByteSize: 0 bytes/workgroup (compile time only)
; SGPRBlocks: 0
; VGPRBlocks: 0
; NumSGPRsForWavesPerEU: 4
; NumVGPRsForWavesPerEU: 1
; AccumOffset: 4
; Occupancy: 8
; WaveLimiterHint : 0
; COMPUTE_PGM_RSRC2:SCRATCH_EN: 0
; COMPUTE_PGM_RSRC2:USER_SGPR: 6
; COMPUTE_PGM_RSRC2:TRAP_HANDLER: 0
; COMPUTE_PGM_RSRC2:TGID_X_EN: 1
; COMPUTE_PGM_RSRC2:TGID_Y_EN: 0
; COMPUTE_PGM_RSRC2:TGID_Z_EN: 0
; COMPUTE_PGM_RSRC2:TIDIG_COMP_CNT: 0
; COMPUTE_PGM_RSRC3_GFX90A:ACCUM_OFFSET: 0
; COMPUTE_PGM_RSRC3_GFX90A:TG_SPLIT: 0
	.section	.text._ZN7rocprim17ROCPRIM_400000_NS6detail17trampoline_kernelINS0_14default_configENS1_20scan_config_selectorIsEEZZNS1_9scan_implILNS1_25lookback_scan_determinismE0ELb0ELb0ES3_N6thrust23THRUST_200600_302600_NS6detail15normal_iteratorINS9_10device_ptrIsEEEESE_s9plus_mod3IsEsEEDaPvRmT3_T4_T5_mT6_P12ihipStream_tbENKUlT_T0_E_clISt17integral_constantIbLb0EEST_IbLb1EEEEDaSP_SQ_EUlSP_E0_NS1_11comp_targetILNS1_3genE5ELNS1_11target_archE942ELNS1_3gpuE9ELNS1_3repE0EEENS1_30default_config_static_selectorELNS0_4arch9wavefront6targetE1EEEvT1_,"axG",@progbits,_ZN7rocprim17ROCPRIM_400000_NS6detail17trampoline_kernelINS0_14default_configENS1_20scan_config_selectorIsEEZZNS1_9scan_implILNS1_25lookback_scan_determinismE0ELb0ELb0ES3_N6thrust23THRUST_200600_302600_NS6detail15normal_iteratorINS9_10device_ptrIsEEEESE_s9plus_mod3IsEsEEDaPvRmT3_T4_T5_mT6_P12ihipStream_tbENKUlT_T0_E_clISt17integral_constantIbLb0EEST_IbLb1EEEEDaSP_SQ_EUlSP_E0_NS1_11comp_targetILNS1_3genE5ELNS1_11target_archE942ELNS1_3gpuE9ELNS1_3repE0EEENS1_30default_config_static_selectorELNS0_4arch9wavefront6targetE1EEEvT1_,comdat
	.protected	_ZN7rocprim17ROCPRIM_400000_NS6detail17trampoline_kernelINS0_14default_configENS1_20scan_config_selectorIsEEZZNS1_9scan_implILNS1_25lookback_scan_determinismE0ELb0ELb0ES3_N6thrust23THRUST_200600_302600_NS6detail15normal_iteratorINS9_10device_ptrIsEEEESE_s9plus_mod3IsEsEEDaPvRmT3_T4_T5_mT6_P12ihipStream_tbENKUlT_T0_E_clISt17integral_constantIbLb0EEST_IbLb1EEEEDaSP_SQ_EUlSP_E0_NS1_11comp_targetILNS1_3genE5ELNS1_11target_archE942ELNS1_3gpuE9ELNS1_3repE0EEENS1_30default_config_static_selectorELNS0_4arch9wavefront6targetE1EEEvT1_ ; -- Begin function _ZN7rocprim17ROCPRIM_400000_NS6detail17trampoline_kernelINS0_14default_configENS1_20scan_config_selectorIsEEZZNS1_9scan_implILNS1_25lookback_scan_determinismE0ELb0ELb0ES3_N6thrust23THRUST_200600_302600_NS6detail15normal_iteratorINS9_10device_ptrIsEEEESE_s9plus_mod3IsEsEEDaPvRmT3_T4_T5_mT6_P12ihipStream_tbENKUlT_T0_E_clISt17integral_constantIbLb0EEST_IbLb1EEEEDaSP_SQ_EUlSP_E0_NS1_11comp_targetILNS1_3genE5ELNS1_11target_archE942ELNS1_3gpuE9ELNS1_3repE0EEENS1_30default_config_static_selectorELNS0_4arch9wavefront6targetE1EEEvT1_
	.globl	_ZN7rocprim17ROCPRIM_400000_NS6detail17trampoline_kernelINS0_14default_configENS1_20scan_config_selectorIsEEZZNS1_9scan_implILNS1_25lookback_scan_determinismE0ELb0ELb0ES3_N6thrust23THRUST_200600_302600_NS6detail15normal_iteratorINS9_10device_ptrIsEEEESE_s9plus_mod3IsEsEEDaPvRmT3_T4_T5_mT6_P12ihipStream_tbENKUlT_T0_E_clISt17integral_constantIbLb0EEST_IbLb1EEEEDaSP_SQ_EUlSP_E0_NS1_11comp_targetILNS1_3genE5ELNS1_11target_archE942ELNS1_3gpuE9ELNS1_3repE0EEENS1_30default_config_static_selectorELNS0_4arch9wavefront6targetE1EEEvT1_
	.p2align	8
	.type	_ZN7rocprim17ROCPRIM_400000_NS6detail17trampoline_kernelINS0_14default_configENS1_20scan_config_selectorIsEEZZNS1_9scan_implILNS1_25lookback_scan_determinismE0ELb0ELb0ES3_N6thrust23THRUST_200600_302600_NS6detail15normal_iteratorINS9_10device_ptrIsEEEESE_s9plus_mod3IsEsEEDaPvRmT3_T4_T5_mT6_P12ihipStream_tbENKUlT_T0_E_clISt17integral_constantIbLb0EEST_IbLb1EEEEDaSP_SQ_EUlSP_E0_NS1_11comp_targetILNS1_3genE5ELNS1_11target_archE942ELNS1_3gpuE9ELNS1_3repE0EEENS1_30default_config_static_selectorELNS0_4arch9wavefront6targetE1EEEvT1_,@function
_ZN7rocprim17ROCPRIM_400000_NS6detail17trampoline_kernelINS0_14default_configENS1_20scan_config_selectorIsEEZZNS1_9scan_implILNS1_25lookback_scan_determinismE0ELb0ELb0ES3_N6thrust23THRUST_200600_302600_NS6detail15normal_iteratorINS9_10device_ptrIsEEEESE_s9plus_mod3IsEsEEDaPvRmT3_T4_T5_mT6_P12ihipStream_tbENKUlT_T0_E_clISt17integral_constantIbLb0EEST_IbLb1EEEEDaSP_SQ_EUlSP_E0_NS1_11comp_targetILNS1_3genE5ELNS1_11target_archE942ELNS1_3gpuE9ELNS1_3repE0EEENS1_30default_config_static_selectorELNS0_4arch9wavefront6targetE1EEEvT1_: ; @_ZN7rocprim17ROCPRIM_400000_NS6detail17trampoline_kernelINS0_14default_configENS1_20scan_config_selectorIsEEZZNS1_9scan_implILNS1_25lookback_scan_determinismE0ELb0ELb0ES3_N6thrust23THRUST_200600_302600_NS6detail15normal_iteratorINS9_10device_ptrIsEEEESE_s9plus_mod3IsEsEEDaPvRmT3_T4_T5_mT6_P12ihipStream_tbENKUlT_T0_E_clISt17integral_constantIbLb0EEST_IbLb1EEEEDaSP_SQ_EUlSP_E0_NS1_11comp_targetILNS1_3genE5ELNS1_11target_archE942ELNS1_3gpuE9ELNS1_3repE0EEENS1_30default_config_static_selectorELNS0_4arch9wavefront6targetE1EEEvT1_
; %bb.0:
	.section	.rodata,"a",@progbits
	.p2align	6, 0x0
	.amdhsa_kernel _ZN7rocprim17ROCPRIM_400000_NS6detail17trampoline_kernelINS0_14default_configENS1_20scan_config_selectorIsEEZZNS1_9scan_implILNS1_25lookback_scan_determinismE0ELb0ELb0ES3_N6thrust23THRUST_200600_302600_NS6detail15normal_iteratorINS9_10device_ptrIsEEEESE_s9plus_mod3IsEsEEDaPvRmT3_T4_T5_mT6_P12ihipStream_tbENKUlT_T0_E_clISt17integral_constantIbLb0EEST_IbLb1EEEEDaSP_SQ_EUlSP_E0_NS1_11comp_targetILNS1_3genE5ELNS1_11target_archE942ELNS1_3gpuE9ELNS1_3repE0EEENS1_30default_config_static_selectorELNS0_4arch9wavefront6targetE1EEEvT1_
		.amdhsa_group_segment_fixed_size 0
		.amdhsa_private_segment_fixed_size 0
		.amdhsa_kernarg_size 40
		.amdhsa_user_sgpr_count 6
		.amdhsa_user_sgpr_private_segment_buffer 1
		.amdhsa_user_sgpr_dispatch_ptr 0
		.amdhsa_user_sgpr_queue_ptr 0
		.amdhsa_user_sgpr_kernarg_segment_ptr 1
		.amdhsa_user_sgpr_dispatch_id 0
		.amdhsa_user_sgpr_flat_scratch_init 0
		.amdhsa_user_sgpr_kernarg_preload_length 0
		.amdhsa_user_sgpr_kernarg_preload_offset 0
		.amdhsa_user_sgpr_private_segment_size 0
		.amdhsa_uses_dynamic_stack 0
		.amdhsa_system_sgpr_private_segment_wavefront_offset 0
		.amdhsa_system_sgpr_workgroup_id_x 1
		.amdhsa_system_sgpr_workgroup_id_y 0
		.amdhsa_system_sgpr_workgroup_id_z 0
		.amdhsa_system_sgpr_workgroup_info 0
		.amdhsa_system_vgpr_workitem_id 0
		.amdhsa_next_free_vgpr 1
		.amdhsa_next_free_sgpr 0
		.amdhsa_accum_offset 4
		.amdhsa_reserve_vcc 0
		.amdhsa_reserve_flat_scratch 0
		.amdhsa_float_round_mode_32 0
		.amdhsa_float_round_mode_16_64 0
		.amdhsa_float_denorm_mode_32 3
		.amdhsa_float_denorm_mode_16_64 3
		.amdhsa_dx10_clamp 1
		.amdhsa_ieee_mode 1
		.amdhsa_fp16_overflow 0
		.amdhsa_tg_split 0
		.amdhsa_exception_fp_ieee_invalid_op 0
		.amdhsa_exception_fp_denorm_src 0
		.amdhsa_exception_fp_ieee_div_zero 0
		.amdhsa_exception_fp_ieee_overflow 0
		.amdhsa_exception_fp_ieee_underflow 0
		.amdhsa_exception_fp_ieee_inexact 0
		.amdhsa_exception_int_div_zero 0
	.end_amdhsa_kernel
	.section	.text._ZN7rocprim17ROCPRIM_400000_NS6detail17trampoline_kernelINS0_14default_configENS1_20scan_config_selectorIsEEZZNS1_9scan_implILNS1_25lookback_scan_determinismE0ELb0ELb0ES3_N6thrust23THRUST_200600_302600_NS6detail15normal_iteratorINS9_10device_ptrIsEEEESE_s9plus_mod3IsEsEEDaPvRmT3_T4_T5_mT6_P12ihipStream_tbENKUlT_T0_E_clISt17integral_constantIbLb0EEST_IbLb1EEEEDaSP_SQ_EUlSP_E0_NS1_11comp_targetILNS1_3genE5ELNS1_11target_archE942ELNS1_3gpuE9ELNS1_3repE0EEENS1_30default_config_static_selectorELNS0_4arch9wavefront6targetE1EEEvT1_,"axG",@progbits,_ZN7rocprim17ROCPRIM_400000_NS6detail17trampoline_kernelINS0_14default_configENS1_20scan_config_selectorIsEEZZNS1_9scan_implILNS1_25lookback_scan_determinismE0ELb0ELb0ES3_N6thrust23THRUST_200600_302600_NS6detail15normal_iteratorINS9_10device_ptrIsEEEESE_s9plus_mod3IsEsEEDaPvRmT3_T4_T5_mT6_P12ihipStream_tbENKUlT_T0_E_clISt17integral_constantIbLb0EEST_IbLb1EEEEDaSP_SQ_EUlSP_E0_NS1_11comp_targetILNS1_3genE5ELNS1_11target_archE942ELNS1_3gpuE9ELNS1_3repE0EEENS1_30default_config_static_selectorELNS0_4arch9wavefront6targetE1EEEvT1_,comdat
.Lfunc_end6742:
	.size	_ZN7rocprim17ROCPRIM_400000_NS6detail17trampoline_kernelINS0_14default_configENS1_20scan_config_selectorIsEEZZNS1_9scan_implILNS1_25lookback_scan_determinismE0ELb0ELb0ES3_N6thrust23THRUST_200600_302600_NS6detail15normal_iteratorINS9_10device_ptrIsEEEESE_s9plus_mod3IsEsEEDaPvRmT3_T4_T5_mT6_P12ihipStream_tbENKUlT_T0_E_clISt17integral_constantIbLb0EEST_IbLb1EEEEDaSP_SQ_EUlSP_E0_NS1_11comp_targetILNS1_3genE5ELNS1_11target_archE942ELNS1_3gpuE9ELNS1_3repE0EEENS1_30default_config_static_selectorELNS0_4arch9wavefront6targetE1EEEvT1_, .Lfunc_end6742-_ZN7rocprim17ROCPRIM_400000_NS6detail17trampoline_kernelINS0_14default_configENS1_20scan_config_selectorIsEEZZNS1_9scan_implILNS1_25lookback_scan_determinismE0ELb0ELb0ES3_N6thrust23THRUST_200600_302600_NS6detail15normal_iteratorINS9_10device_ptrIsEEEESE_s9plus_mod3IsEsEEDaPvRmT3_T4_T5_mT6_P12ihipStream_tbENKUlT_T0_E_clISt17integral_constantIbLb0EEST_IbLb1EEEEDaSP_SQ_EUlSP_E0_NS1_11comp_targetILNS1_3genE5ELNS1_11target_archE942ELNS1_3gpuE9ELNS1_3repE0EEENS1_30default_config_static_selectorELNS0_4arch9wavefront6targetE1EEEvT1_
                                        ; -- End function
	.section	.AMDGPU.csdata,"",@progbits
; Kernel info:
; codeLenInByte = 0
; NumSgprs: 4
; NumVgprs: 0
; NumAgprs: 0
; TotalNumVgprs: 0
; ScratchSize: 0
; MemoryBound: 0
; FloatMode: 240
; IeeeMode: 1
; LDSByteSize: 0 bytes/workgroup (compile time only)
; SGPRBlocks: 0
; VGPRBlocks: 0
; NumSGPRsForWavesPerEU: 4
; NumVGPRsForWavesPerEU: 1
; AccumOffset: 4
; Occupancy: 8
; WaveLimiterHint : 0
; COMPUTE_PGM_RSRC2:SCRATCH_EN: 0
; COMPUTE_PGM_RSRC2:USER_SGPR: 6
; COMPUTE_PGM_RSRC2:TRAP_HANDLER: 0
; COMPUTE_PGM_RSRC2:TGID_X_EN: 1
; COMPUTE_PGM_RSRC2:TGID_Y_EN: 0
; COMPUTE_PGM_RSRC2:TGID_Z_EN: 0
; COMPUTE_PGM_RSRC2:TIDIG_COMP_CNT: 0
; COMPUTE_PGM_RSRC3_GFX90A:ACCUM_OFFSET: 0
; COMPUTE_PGM_RSRC3_GFX90A:TG_SPLIT: 0
	.section	.text._ZN7rocprim17ROCPRIM_400000_NS6detail17trampoline_kernelINS0_14default_configENS1_20scan_config_selectorIsEEZZNS1_9scan_implILNS1_25lookback_scan_determinismE0ELb0ELb0ES3_N6thrust23THRUST_200600_302600_NS6detail15normal_iteratorINS9_10device_ptrIsEEEESE_s9plus_mod3IsEsEEDaPvRmT3_T4_T5_mT6_P12ihipStream_tbENKUlT_T0_E_clISt17integral_constantIbLb0EEST_IbLb1EEEEDaSP_SQ_EUlSP_E0_NS1_11comp_targetILNS1_3genE4ELNS1_11target_archE910ELNS1_3gpuE8ELNS1_3repE0EEENS1_30default_config_static_selectorELNS0_4arch9wavefront6targetE1EEEvT1_,"axG",@progbits,_ZN7rocprim17ROCPRIM_400000_NS6detail17trampoline_kernelINS0_14default_configENS1_20scan_config_selectorIsEEZZNS1_9scan_implILNS1_25lookback_scan_determinismE0ELb0ELb0ES3_N6thrust23THRUST_200600_302600_NS6detail15normal_iteratorINS9_10device_ptrIsEEEESE_s9plus_mod3IsEsEEDaPvRmT3_T4_T5_mT6_P12ihipStream_tbENKUlT_T0_E_clISt17integral_constantIbLb0EEST_IbLb1EEEEDaSP_SQ_EUlSP_E0_NS1_11comp_targetILNS1_3genE4ELNS1_11target_archE910ELNS1_3gpuE8ELNS1_3repE0EEENS1_30default_config_static_selectorELNS0_4arch9wavefront6targetE1EEEvT1_,comdat
	.protected	_ZN7rocprim17ROCPRIM_400000_NS6detail17trampoline_kernelINS0_14default_configENS1_20scan_config_selectorIsEEZZNS1_9scan_implILNS1_25lookback_scan_determinismE0ELb0ELb0ES3_N6thrust23THRUST_200600_302600_NS6detail15normal_iteratorINS9_10device_ptrIsEEEESE_s9plus_mod3IsEsEEDaPvRmT3_T4_T5_mT6_P12ihipStream_tbENKUlT_T0_E_clISt17integral_constantIbLb0EEST_IbLb1EEEEDaSP_SQ_EUlSP_E0_NS1_11comp_targetILNS1_3genE4ELNS1_11target_archE910ELNS1_3gpuE8ELNS1_3repE0EEENS1_30default_config_static_selectorELNS0_4arch9wavefront6targetE1EEEvT1_ ; -- Begin function _ZN7rocprim17ROCPRIM_400000_NS6detail17trampoline_kernelINS0_14default_configENS1_20scan_config_selectorIsEEZZNS1_9scan_implILNS1_25lookback_scan_determinismE0ELb0ELb0ES3_N6thrust23THRUST_200600_302600_NS6detail15normal_iteratorINS9_10device_ptrIsEEEESE_s9plus_mod3IsEsEEDaPvRmT3_T4_T5_mT6_P12ihipStream_tbENKUlT_T0_E_clISt17integral_constantIbLb0EEST_IbLb1EEEEDaSP_SQ_EUlSP_E0_NS1_11comp_targetILNS1_3genE4ELNS1_11target_archE910ELNS1_3gpuE8ELNS1_3repE0EEENS1_30default_config_static_selectorELNS0_4arch9wavefront6targetE1EEEvT1_
	.globl	_ZN7rocprim17ROCPRIM_400000_NS6detail17trampoline_kernelINS0_14default_configENS1_20scan_config_selectorIsEEZZNS1_9scan_implILNS1_25lookback_scan_determinismE0ELb0ELb0ES3_N6thrust23THRUST_200600_302600_NS6detail15normal_iteratorINS9_10device_ptrIsEEEESE_s9plus_mod3IsEsEEDaPvRmT3_T4_T5_mT6_P12ihipStream_tbENKUlT_T0_E_clISt17integral_constantIbLb0EEST_IbLb1EEEEDaSP_SQ_EUlSP_E0_NS1_11comp_targetILNS1_3genE4ELNS1_11target_archE910ELNS1_3gpuE8ELNS1_3repE0EEENS1_30default_config_static_selectorELNS0_4arch9wavefront6targetE1EEEvT1_
	.p2align	8
	.type	_ZN7rocprim17ROCPRIM_400000_NS6detail17trampoline_kernelINS0_14default_configENS1_20scan_config_selectorIsEEZZNS1_9scan_implILNS1_25lookback_scan_determinismE0ELb0ELb0ES3_N6thrust23THRUST_200600_302600_NS6detail15normal_iteratorINS9_10device_ptrIsEEEESE_s9plus_mod3IsEsEEDaPvRmT3_T4_T5_mT6_P12ihipStream_tbENKUlT_T0_E_clISt17integral_constantIbLb0EEST_IbLb1EEEEDaSP_SQ_EUlSP_E0_NS1_11comp_targetILNS1_3genE4ELNS1_11target_archE910ELNS1_3gpuE8ELNS1_3repE0EEENS1_30default_config_static_selectorELNS0_4arch9wavefront6targetE1EEEvT1_,@function
_ZN7rocprim17ROCPRIM_400000_NS6detail17trampoline_kernelINS0_14default_configENS1_20scan_config_selectorIsEEZZNS1_9scan_implILNS1_25lookback_scan_determinismE0ELb0ELb0ES3_N6thrust23THRUST_200600_302600_NS6detail15normal_iteratorINS9_10device_ptrIsEEEESE_s9plus_mod3IsEsEEDaPvRmT3_T4_T5_mT6_P12ihipStream_tbENKUlT_T0_E_clISt17integral_constantIbLb0EEST_IbLb1EEEEDaSP_SQ_EUlSP_E0_NS1_11comp_targetILNS1_3genE4ELNS1_11target_archE910ELNS1_3gpuE8ELNS1_3repE0EEENS1_30default_config_static_selectorELNS0_4arch9wavefront6targetE1EEEvT1_: ; @_ZN7rocprim17ROCPRIM_400000_NS6detail17trampoline_kernelINS0_14default_configENS1_20scan_config_selectorIsEEZZNS1_9scan_implILNS1_25lookback_scan_determinismE0ELb0ELb0ES3_N6thrust23THRUST_200600_302600_NS6detail15normal_iteratorINS9_10device_ptrIsEEEESE_s9plus_mod3IsEsEEDaPvRmT3_T4_T5_mT6_P12ihipStream_tbENKUlT_T0_E_clISt17integral_constantIbLb0EEST_IbLb1EEEEDaSP_SQ_EUlSP_E0_NS1_11comp_targetILNS1_3genE4ELNS1_11target_archE910ELNS1_3gpuE8ELNS1_3repE0EEENS1_30default_config_static_selectorELNS0_4arch9wavefront6targetE1EEEvT1_
; %bb.0:
	s_load_dwordx4 s[56:59], s[4:5], 0x0
	v_mov_b32_e32 v1, 0
	v_lshlrev_b32_e32 v54, 1, v0
	s_waitcnt lgkmcnt(0)
	global_load_ushort v2, v1, s[56:57]
	v_cmp_gt_u32_e32 vcc, s58, v0
	s_waitcnt vmcnt(0)
	v_mov_b32_e32 v3, v2
	s_and_saveexec_b64 s[0:1], vcc
	s_cbranch_execz .LBB6743_2
; %bb.1:
	global_load_ushort v3, v54, s[56:57]
.LBB6743_2:
	s_or_b64 exec, exec, s[0:1]
	v_or_b32_e32 v1, 64, v0
	v_cmp_gt_u32_e64 s[0:1], s58, v1
	v_mov_b32_e32 v4, v2
	s_and_saveexec_b64 s[2:3], s[0:1]
	s_cbranch_execz .LBB6743_4
; %bb.3:
	global_load_ushort v4, v54, s[56:57] offset:128
.LBB6743_4:
	s_or_b64 exec, exec, s[2:3]
	v_or_b32_e32 v1, 0x80, v0
	v_cmp_gt_u32_e64 s[2:3], s58, v1
	v_mov_b32_e32 v5, v2
	s_and_saveexec_b64 s[6:7], s[2:3]
	s_cbranch_execz .LBB6743_6
; %bb.5:
	global_load_ushort v5, v54, s[56:57] offset:256
.LBB6743_6:
	;; [unrolled: 9-line block ×22, first 2 shown]
	s_or_b64 exec, exec, s[46:47]
	v_or_b32_e32 v1, 0x5c0, v0
	v_cmp_gt_u32_e64 s[46:47], s58, v1
	v_cmp_le_u32_e64 s[50:51], s58, v1
	s_and_saveexec_b64 s[52:53], s[50:51]
	s_xor_b64 s[50:51], exec, s[52:53]
; %bb.47:
	v_mov_b32_e32 v1, 0
; %bb.48:
	s_or_saveexec_b64 s[50:51], s[50:51]
	s_load_dwordx4 s[52:55], s[4:5], 0x18
	s_xor_b64 exec, exec, s[50:51]
	s_cbranch_execz .LBB6743_50
; %bb.49:
	global_load_ushort v2, v54, s[56:57] offset:2944
	v_mov_b32_e32 v1, 0
.LBB6743_50:
	s_or_b64 exec, exec, s[50:51]
	s_waitcnt vmcnt(0)
	ds_write_b16 v54, v3
	ds_write_b16 v54, v4 offset:128
	ds_write_b16 v54, v5 offset:256
	;; [unrolled: 1-line block ×23, first 2 shown]
	v_mad_u32_u24 v6, v0, 46, v54
	s_waitcnt lgkmcnt(0)
	; wave barrier
	s_waitcnt lgkmcnt(0)
	ds_read_b128 v[2:5], v6
	ds_read_b128 v[10:13], v6 offset:16
	ds_read_b128 v[6:9], v6 offset:32
	v_mov_b32_e32 v16, s53
	s_waitcnt lgkmcnt(0)
	v_bfe_i32 v18, v2, 0, 16
	v_lshrrev_b32_e32 v14, 16, v2
	v_ashrrev_i32_e32 v19, 31, v18
	v_bfe_i32 v14, v14, 0, 16
	v_lshlrev_b64 v[20:21], 1, v[18:19]
	v_ashrrev_i32_e32 v15, 31, v14
	v_add_co_u32_e64 v17, s[4:5], s52, v20
	v_addc_co_u32_e64 v22, s[4:5], v16, v21, s[4:5]
	v_lshlrev_b64 v[14:15], 1, v[14:15]
	v_add_co_u32_e64 v16, s[4:5], v17, v14
	v_addc_co_u32_e64 v17, s[4:5], v22, v15, s[4:5]
	; wave barrier
	global_load_ushort v22, v[16:17], off
	v_bfe_i32 v16, v3, 0, 16
	v_mov_b32_e32 v24, s53
	v_ashrrev_i32_e32 v17, 31, v16
	v_lshlrev_b64 v[16:17], 1, v[16:17]
	v_lshrrev_b32_e32 v3, 16, v3
	v_mov_b32_e32 v26, s53
	v_mov_b32_e32 v28, s53
	v_mov_b32_e32 v30, s53
	v_mov_b32_e32 v32, s53
	v_mov_b32_e32 v34, s53
	v_mov_b32_e32 v36, s53
	v_mov_b32_e32 v38, s53
	v_mov_b32_e32 v40, s53
	v_mov_b32_e32 v42, s53
	v_mov_b32_e32 v44, s53
	v_mov_b32_e32 v46, s53
	v_mov_b32_e32 v48, s53
	v_mov_b32_e32 v50, s53
	v_mov_b32_e32 v52, s53
	v_mov_b32_e32 v55, s53
	s_waitcnt vmcnt(0)
	v_bfe_i32 v22, v22, 0, 16
	v_ashrrev_i32_e32 v23, 31, v22
	v_lshlrev_b64 v[22:23], 1, v[22:23]
	v_add_co_u32_e64 v22, s[4:5], s52, v22
	v_addc_co_u32_e64 v23, s[4:5], v24, v23, s[4:5]
	v_add_co_u32_e64 v22, s[4:5], v22, v16
	v_addc_co_u32_e64 v23, s[4:5], v23, v17, s[4:5]
	global_load_ushort v24, v[22:23], off
	v_bfe_i32 v22, v3, 0, 16
	v_ashrrev_i32_e32 v23, 31, v22
	v_lshlrev_b64 v[22:23], 1, v[22:23]
	s_waitcnt vmcnt(0)
	v_bfe_i32 v24, v24, 0, 16
	v_ashrrev_i32_e32 v25, 31, v24
	v_lshlrev_b64 v[24:25], 1, v[24:25]
	v_add_co_u32_e64 v3, s[4:5], s52, v24
	v_addc_co_u32_e64 v25, s[4:5], v26, v25, s[4:5]
	v_add_co_u32_e64 v24, s[4:5], v3, v22
	v_addc_co_u32_e64 v25, s[4:5], v25, v23, s[4:5]
	global_load_ushort v3, v[24:25], off
	v_bfe_i32 v24, v4, 0, 16
	v_ashrrev_i32_e32 v25, 31, v24
	v_lshlrev_b64 v[24:25], 1, v[24:25]
	v_lshrrev_b32_e32 v4, 16, v4
	s_waitcnt vmcnt(0)
	v_bfe_i32 v26, v3, 0, 16
	v_ashrrev_i32_e32 v27, 31, v26
	v_lshlrev_b64 v[26:27], 1, v[26:27]
	v_add_co_u32_e64 v3, s[4:5], s52, v26
	v_addc_co_u32_e64 v27, s[4:5], v28, v27, s[4:5]
	v_add_co_u32_e64 v26, s[4:5], v3, v24
	v_addc_co_u32_e64 v27, s[4:5], v27, v25, s[4:5]
	global_load_ushort v3, v[26:27], off
	v_bfe_i32 v26, v4, 0, 16
	v_ashrrev_i32_e32 v27, 31, v26
	v_lshlrev_b64 v[26:27], 1, v[26:27]
	s_waitcnt vmcnt(0)
	v_bfe_i32 v28, v3, 0, 16
	v_ashrrev_i32_e32 v29, 31, v28
	v_lshlrev_b64 v[28:29], 1, v[28:29]
	v_add_co_u32_e64 v3, s[4:5], s52, v28
	v_addc_co_u32_e64 v4, s[4:5], v30, v29, s[4:5]
	v_add_co_u32_e64 v28, s[4:5], v3, v26
	v_addc_co_u32_e64 v29, s[4:5], v4, v27, s[4:5]
	global_load_ushort v3, v[28:29], off
	v_bfe_i32 v28, v5, 0, 16
	v_mov_b32_e32 v4, s53
	v_ashrrev_i32_e32 v29, 31, v28
	v_lshlrev_b64 v[28:29], 1, v[28:29]
	s_waitcnt vmcnt(0)
	v_bfe_i32 v30, v3, 0, 16
	v_ashrrev_i32_e32 v31, 31, v30
	v_lshlrev_b64 v[30:31], 1, v[30:31]
	v_add_co_u32_e64 v3, s[4:5], s52, v30
	v_addc_co_u32_e64 v4, s[4:5], v4, v31, s[4:5]
	v_add_co_u32_e64 v30, s[4:5], v3, v28
	v_addc_co_u32_e64 v31, s[4:5], v4, v29, s[4:5]
	global_load_ushort v3, v[30:31], off
	v_lshrrev_b32_e32 v4, 16, v5
	v_bfe_i32 v4, v4, 0, 16
	v_ashrrev_i32_e32 v5, 31, v4
	v_lshlrev_b64 v[4:5], 1, v[4:5]
	s_waitcnt vmcnt(0)
	v_bfe_i32 v30, v3, 0, 16
	v_ashrrev_i32_e32 v31, 31, v30
	v_lshlrev_b64 v[30:31], 1, v[30:31]
	v_add_co_u32_e64 v3, s[4:5], s52, v30
	v_addc_co_u32_e64 v31, s[4:5], v32, v31, s[4:5]
	v_add_co_u32_e64 v30, s[4:5], v3, v4
	v_addc_co_u32_e64 v31, s[4:5], v31, v5, s[4:5]
	global_load_ushort v3, v[30:31], off
	v_bfe_i32 v30, v10, 0, 16
	v_ashrrev_i32_e32 v31, 31, v30
	v_lshlrev_b64 v[30:31], 1, v[30:31]
	v_lshrrev_b32_e32 v10, 16, v10
	s_waitcnt vmcnt(0)
	v_bfe_i32 v32, v3, 0, 16
	v_ashrrev_i32_e32 v33, 31, v32
	v_lshlrev_b64 v[32:33], 1, v[32:33]
	v_add_co_u32_e64 v3, s[4:5], s52, v32
	v_addc_co_u32_e64 v33, s[4:5], v34, v33, s[4:5]
	v_add_co_u32_e64 v32, s[4:5], v3, v30
	v_addc_co_u32_e64 v33, s[4:5], v33, v31, s[4:5]
	global_load_ushort v3, v[32:33], off
	v_bfe_i32 v32, v10, 0, 16
	v_ashrrev_i32_e32 v33, 31, v32
	v_lshlrev_b64 v[32:33], 1, v[32:33]
	s_waitcnt vmcnt(0)
	v_bfe_i32 v34, v3, 0, 16
	v_ashrrev_i32_e32 v35, 31, v34
	v_lshlrev_b64 v[34:35], 1, v[34:35]
	v_add_co_u32_e64 v3, s[4:5], s52, v34
	v_addc_co_u32_e64 v10, s[4:5], v36, v35, s[4:5]
	v_add_co_u32_e64 v34, s[4:5], v3, v32
	v_addc_co_u32_e64 v35, s[4:5], v10, v33, s[4:5]
	global_load_ushort v3, v[34:35], off
	v_bfe_i32 v34, v11, 0, 16
	v_mov_b32_e32 v10, s53
	v_ashrrev_i32_e32 v35, 31, v34
	v_lshlrev_b64 v[34:35], 1, v[34:35]
	s_waitcnt vmcnt(0)
	v_bfe_i32 v36, v3, 0, 16
	v_ashrrev_i32_e32 v37, 31, v36
	v_lshlrev_b64 v[36:37], 1, v[36:37]
	v_add_co_u32_e64 v3, s[4:5], s52, v36
	v_addc_co_u32_e64 v10, s[4:5], v10, v37, s[4:5]
	v_add_co_u32_e64 v36, s[4:5], v3, v34
	v_addc_co_u32_e64 v37, s[4:5], v10, v35, s[4:5]
	global_load_ushort v3, v[36:37], off
	v_lshrrev_b32_e32 v10, 16, v11
	;; [unrolled: 51-line block ×5, first 2 shown]
	v_bfe_i32 v8, v8, 0, 16
	v_ashrrev_i32_e32 v9, 31, v8
	v_lshlrev_b64 v[8:9], 1, v[8:9]
	s_waitcnt vmcnt(0)
	v_bfe_i32 v56, v3, 0, 16
	v_ashrrev_i32_e32 v57, 31, v56
	v_lshlrev_b64 v[56:57], 1, v[56:57]
	v_add_co_u32_e64 v3, s[4:5], s52, v56
	v_addc_co_u32_e64 v55, s[4:5], v55, v57, s[4:5]
	v_add_co_u32_e64 v56, s[4:5], v3, v8
	v_addc_co_u32_e64 v57, s[4:5], v55, v9, s[4:5]
	global_load_ushort v55, v[56:57], off
	v_mbcnt_lo_u32_b32 v3, -1, 0
	v_mbcnt_hi_u32_b32 v3, -1, v3
	v_and_b32_e32 v56, 15, v3
	v_cmp_ne_u32_e64 s[4:5], 0, v56
	s_waitcnt vmcnt(0)
	v_and_b32_e32 v57, 0xffff, v55
	s_nop 1
	v_mov_b32_dpp v58, v57 row_shr:1 row_mask:0xf bank_mask:0xf
	s_and_saveexec_b64 s[50:51], s[4:5]
	s_cbranch_execz .LBB6743_52
; %bb.51:
	v_lshlrev_b32_e32 v59, 16, v58
	v_mov_b32_e32 v58, 0
	v_ashrrev_i64 v[58:59], 47, v[58:59]
	v_mov_b32_e32 v57, s53
	v_add_co_u32_e64 v60, s[4:5], s52, v58
	v_bfe_i32 v58, v55, 0, 16
	v_addc_co_u32_e64 v57, s[4:5], v57, v59, s[4:5]
	v_ashrrev_i32_e32 v59, 31, v58
	v_lshlrev_b64 v[58:59], 1, v[58:59]
	v_add_co_u32_e64 v58, s[4:5], v60, v58
	v_addc_co_u32_e64 v59, s[4:5], v57, v59, s[4:5]
	global_load_ushort v55, v[58:59], off
	s_waitcnt vmcnt(0)
	v_and_b32_e32 v57, 0xffff, v55
.LBB6743_52:
	s_or_b64 exec, exec, s[50:51]
	s_nop 0
	v_mov_b32_dpp v58, v57 row_shr:2 row_mask:0xf bank_mask:0xf
	v_cmp_lt_u32_e64 s[4:5], 1, v56
	s_and_saveexec_b64 s[50:51], s[4:5]
	s_cbranch_execz .LBB6743_54
; %bb.53:
	v_lshlrev_b32_e32 v59, 16, v58
	v_mov_b32_e32 v58, 0
	v_ashrrev_i64 v[58:59], 47, v[58:59]
	v_mov_b32_e32 v57, s53
	v_add_co_u32_e64 v60, s[4:5], s52, v58
	v_bfe_i32 v58, v55, 0, 16
	v_addc_co_u32_e64 v57, s[4:5], v57, v59, s[4:5]
	v_ashrrev_i32_e32 v59, 31, v58
	v_lshlrev_b64 v[58:59], 1, v[58:59]
	v_add_co_u32_e64 v58, s[4:5], v60, v58
	v_addc_co_u32_e64 v59, s[4:5], v57, v59, s[4:5]
	global_load_ushort v55, v[58:59], off
	s_waitcnt vmcnt(0)
	v_and_b32_e32 v57, 0xffff, v55
.LBB6743_54:
	s_or_b64 exec, exec, s[50:51]
	s_nop 0
	v_mov_b32_dpp v58, v57 row_shr:4 row_mask:0xf bank_mask:0xf
	v_cmp_lt_u32_e64 s[4:5], 3, v56
	s_and_saveexec_b64 s[50:51], s[4:5]
	s_cbranch_execz .LBB6743_56
; %bb.55:
	v_lshlrev_b32_e32 v59, 16, v58
	v_mov_b32_e32 v58, 0
	v_ashrrev_i64 v[58:59], 47, v[58:59]
	v_mov_b32_e32 v57, s53
	v_add_co_u32_e64 v60, s[4:5], s52, v58
	v_bfe_i32 v58, v55, 0, 16
	v_addc_co_u32_e64 v57, s[4:5], v57, v59, s[4:5]
	v_ashrrev_i32_e32 v59, 31, v58
	v_lshlrev_b64 v[58:59], 1, v[58:59]
	v_add_co_u32_e64 v58, s[4:5], v60, v58
	v_addc_co_u32_e64 v59, s[4:5], v57, v59, s[4:5]
	global_load_ushort v55, v[58:59], off
	s_waitcnt vmcnt(0)
	v_and_b32_e32 v57, 0xffff, v55
.LBB6743_56:
	s_or_b64 exec, exec, s[50:51]
	s_nop 0
	v_mov_b32_dpp v58, v57 row_shr:8 row_mask:0xf bank_mask:0xf
	v_cmp_lt_u32_e64 s[4:5], 7, v56
	s_and_saveexec_b64 s[50:51], s[4:5]
	s_cbranch_execz .LBB6743_58
; %bb.57:
	v_lshlrev_b32_e32 v57, 16, v58
	v_mov_b32_e32 v56, 0
	v_ashrrev_i64 v[56:57], 47, v[56:57]
	v_mov_b32_e32 v58, s53
	v_add_co_u32_e64 v59, s[4:5], s52, v56
	v_bfe_i32 v56, v55, 0, 16
	v_addc_co_u32_e64 v58, s[4:5], v58, v57, s[4:5]
	v_ashrrev_i32_e32 v57, 31, v56
	v_lshlrev_b64 v[56:57], 1, v[56:57]
	v_add_co_u32_e64 v56, s[4:5], v59, v56
	v_addc_co_u32_e64 v57, s[4:5], v58, v57, s[4:5]
	global_load_ushort v55, v[56:57], off
	s_waitcnt vmcnt(0)
	v_and_b32_e32 v57, 0xffff, v55
.LBB6743_58:
	s_or_b64 exec, exec, s[50:51]
	v_and_b32_e32 v58, 16, v3
	v_mov_b32_dpp v56, v57 row_bcast:15 row_mask:0xf bank_mask:0xf
	v_cmp_ne_u32_e64 s[4:5], 0, v58
	s_and_saveexec_b64 s[50:51], s[4:5]
	s_cbranch_execz .LBB6743_60
; %bb.59:
	v_lshlrev_b32_e32 v57, 16, v56
	v_mov_b32_e32 v56, 0
	v_ashrrev_i64 v[56:57], 47, v[56:57]
	v_mov_b32_e32 v58, s53
	v_add_co_u32_e64 v59, s[4:5], s52, v56
	v_bfe_i32 v56, v55, 0, 16
	v_addc_co_u32_e64 v58, s[4:5], v58, v57, s[4:5]
	v_ashrrev_i32_e32 v57, 31, v56
	v_lshlrev_b64 v[56:57], 1, v[56:57]
	v_add_co_u32_e64 v56, s[4:5], v59, v56
	v_addc_co_u32_e64 v57, s[4:5], v58, v57, s[4:5]
	global_load_ushort v55, v[56:57], off
	s_waitcnt vmcnt(0)
	v_and_b32_e32 v57, 0xffff, v55
.LBB6743_60:
	s_or_b64 exec, exec, s[50:51]
	s_nop 0
	v_mov_b32_dpp v56, v57 row_bcast:31 row_mask:0xf bank_mask:0xf
	v_cmp_lt_u32_e64 s[4:5], 31, v3
	s_and_saveexec_b64 s[50:51], s[4:5]
	s_cbranch_execz .LBB6743_62
; %bb.61:
	v_lshlrev_b32_e32 v57, 16, v56
	v_mov_b32_e32 v56, 0
	v_ashrrev_i64 v[56:57], 47, v[56:57]
	v_mov_b32_e32 v58, s53
	v_add_co_u32_e64 v59, s[4:5], s52, v56
	v_bfe_i32 v56, v55, 0, 16
	v_addc_co_u32_e64 v58, s[4:5], v58, v57, s[4:5]
	v_ashrrev_i32_e32 v57, 31, v56
	v_lshlrev_b64 v[56:57], 1, v[56:57]
	v_add_co_u32_e64 v56, s[4:5], v59, v56
	v_addc_co_u32_e64 v57, s[4:5], v58, v57, s[4:5]
	global_load_ushort v55, v[56:57], off
.LBB6743_62:
	s_or_b64 exec, exec, s[50:51]
	v_cmp_eq_u32_e64 s[4:5], 63, v0
	s_and_saveexec_b64 s[50:51], s[4:5]
	s_cbranch_execz .LBB6743_64
; %bb.63:
	v_mov_b32_e32 v56, 0
	s_waitcnt vmcnt(0)
	ds_write_b16 v56, v55
.LBB6743_64:
	s_or_b64 exec, exec, s[50:51]
	v_add_u32_e32 v56, -1, v3
	v_and_b32_e32 v57, 64, v3
	v_cmp_lt_i32_e64 s[4:5], v56, v57
	v_cndmask_b32_e64 v3, v56, v3, s[4:5]
	s_waitcnt vmcnt(0)
	v_and_b32_e32 v55, 0xffff, v55
	v_lshlrev_b32_e32 v3, 2, v3
	ds_bpermute_b32 v55, v3, v55
	v_mul_u32_u24_e32 v3, 46, v0
	v_cmp_ne_u32_e64 s[4:5], 0, v0
	s_waitcnt lgkmcnt(0)
	; wave barrier
	s_waitcnt lgkmcnt(0)
	s_and_saveexec_b64 s[50:51], s[4:5]
	s_cbranch_execz .LBB6743_66
; %bb.65:
	v_lshlrev_b32_e32 v19, 16, v55
	v_mov_b32_e32 v18, 0
	v_ashrrev_i64 v[18:19], 47, v[18:19]
	v_mov_b32_e32 v2, s53
	v_add_co_u32_e64 v18, s[4:5], s52, v18
	v_addc_co_u32_e64 v2, s[4:5], v2, v19, s[4:5]
	v_add_co_u32_e64 v18, s[4:5], v18, v20
	v_addc_co_u32_e64 v19, s[4:5], v2, v21, s[4:5]
	global_load_ushort v2, v[18:19], off
	;;#ASMSTART
	;;#ASMEND
	s_waitcnt vmcnt(0)
	v_bfe_i32 v18, v2, 0, 16
	v_ashrrev_i32_e32 v19, 31, v18
.LBB6743_66:
	s_or_b64 exec, exec, s[50:51]
	v_lshlrev_b64 v[18:19], 1, v[18:19]
	v_mov_b32_e32 v20, s53
	v_add_co_u32_e64 v18, s[4:5], s52, v18
	v_addc_co_u32_e64 v19, s[4:5], v20, v19, s[4:5]
	v_add_co_u32_e64 v14, s[4:5], v18, v14
	v_addc_co_u32_e64 v15, s[4:5], v19, v15, s[4:5]
	global_load_ushort v18, v[14:15], off
	s_waitcnt vmcnt(0)
	v_bfe_i32 v14, v18, 0, 16
	v_ashrrev_i32_e32 v15, 31, v14
	v_lshlrev_b64 v[14:15], 1, v[14:15]
	v_add_co_u32_e64 v14, s[4:5], s52, v14
	v_addc_co_u32_e64 v15, s[4:5], v20, v15, s[4:5]
	v_add_co_u32_e64 v14, s[4:5], v14, v16
	v_addc_co_u32_e64 v15, s[4:5], v15, v17, s[4:5]
	global_load_ushort v16, v[14:15], off
	s_waitcnt vmcnt(0)
	v_bfe_i32 v14, v16, 0, 16
	v_ashrrev_i32_e32 v15, 31, v14
	v_lshlrev_b64 v[14:15], 1, v[14:15]
	;; [unrolled: 9-line block ×4, first 2 shown]
	v_add_co_u32_e64 v14, s[4:5], s52, v14
	v_addc_co_u32_e64 v15, s[4:5], v20, v15, s[4:5]
	v_add_co_u32_e64 v14, s[4:5], v14, v26
	v_addc_co_u32_e64 v15, s[4:5], v15, v27, s[4:5]
	global_load_ushort v21, v[14:15], off
	v_lshlrev_b64 v[26:27], 1, v[0:1]
	s_waitcnt vmcnt(0)
	v_bfe_i32 v14, v21, 0, 16
	v_ashrrev_i32_e32 v15, 31, v14
	v_lshlrev_b64 v[14:15], 1, v[14:15]
	v_add_co_u32_e64 v14, s[4:5], s52, v14
	v_addc_co_u32_e64 v15, s[4:5], v20, v15, s[4:5]
	v_add_co_u32_e64 v14, s[4:5], v14, v28
	v_addc_co_u32_e64 v15, s[4:5], v15, v29, s[4:5]
	global_load_ushort v22, v[14:15], off
	s_waitcnt vmcnt(0)
	v_bfe_i32 v14, v22, 0, 16
	v_ashrrev_i32_e32 v15, 31, v14
	v_lshlrev_b64 v[14:15], 1, v[14:15]
	v_add_co_u32_e64 v14, s[4:5], s52, v14
	v_addc_co_u32_e64 v15, s[4:5], v20, v15, s[4:5]
	v_add_co_u32_e64 v4, s[4:5], v14, v4
	v_addc_co_u32_e64 v5, s[4:5], v15, v5, s[4:5]
	global_load_ushort v14, v[4:5], off
	;; [unrolled: 9-line block ×5, first 2 shown]
	v_add_u32_e32 v35, v54, v3
	s_waitcnt vmcnt(0)
	v_bfe_i32 v4, v24, 0, 16
	v_ashrrev_i32_e32 v5, 31, v4
	v_lshlrev_b64 v[4:5], 1, v[4:5]
	v_add_co_u32_e64 v4, s[4:5], s52, v4
	v_addc_co_u32_e64 v5, s[4:5], v20, v5, s[4:5]
	v_add_co_u32_e64 v4, s[4:5], v4, v10
	v_addc_co_u32_e64 v5, s[4:5], v5, v11, s[4:5]
	global_load_ushort v10, v[4:5], off
	s_waitcnt vmcnt(0)
	v_bfe_i32 v4, v10, 0, 16
	v_ashrrev_i32_e32 v5, 31, v4
	v_lshlrev_b64 v[4:5], 1, v[4:5]
	v_add_co_u32_e64 v4, s[4:5], s52, v4
	v_addc_co_u32_e64 v5, s[4:5], v20, v5, s[4:5]
	v_add_co_u32_e64 v4, s[4:5], v4, v36
	v_addc_co_u32_e64 v5, s[4:5], v5, v37, s[4:5]
	global_load_ushort v11, v[4:5], off
	;; [unrolled: 9-line block ×13, first 2 shown]
	s_mov_b32 s4, 0x5040100
	v_perm_b32 v0, v18, v2, s4
	v_perm_b32 v1, v17, v16, s4
	;; [unrolled: 1-line block ×11, first 2 shown]
	s_waitcnt lgkmcnt(0)
	; wave barrier
	ds_write_b128 v35, v[0:3]
	ds_write_b128 v35, v[4:7] offset:16
	v_mov_b32_e32 v1, s55
	s_waitcnt vmcnt(0)
	v_perm_b32 v11, v20, v34, s4
	ds_write_b128 v35, v[8:11] offset:32
	s_waitcnt lgkmcnt(0)
	; wave barrier
	s_waitcnt lgkmcnt(0)
	ds_read_u16 v24, v54 offset:128
	ds_read_u16 v23, v54 offset:256
	;; [unrolled: 1-line block ×23, first 2 shown]
	v_add_co_u32_e64 v0, s[4:5], s54, v26
	v_addc_co_u32_e64 v1, s[4:5], v1, v27, s[4:5]
	s_and_saveexec_b64 s[4:5], vcc
	s_cbranch_execnz .LBB6743_91
; %bb.67:
	s_or_b64 exec, exec, s[4:5]
	s_and_saveexec_b64 s[4:5], s[0:1]
	s_cbranch_execnz .LBB6743_92
.LBB6743_68:
	s_or_b64 exec, exec, s[4:5]
	s_and_saveexec_b64 s[0:1], s[2:3]
	s_cbranch_execnz .LBB6743_93
.LBB6743_69:
	s_or_b64 exec, exec, s[0:1]
	s_and_saveexec_b64 s[0:1], s[48:49]
	s_cbranch_execnz .LBB6743_94
.LBB6743_70:
	s_or_b64 exec, exec, s[0:1]
	s_and_saveexec_b64 s[0:1], s[6:7]
	s_cbranch_execnz .LBB6743_95
.LBB6743_71:
	s_or_b64 exec, exec, s[0:1]
	s_and_saveexec_b64 s[0:1], s[8:9]
	s_cbranch_execnz .LBB6743_96
.LBB6743_72:
	s_or_b64 exec, exec, s[0:1]
	s_and_saveexec_b64 s[0:1], s[10:11]
	s_cbranch_execnz .LBB6743_97
.LBB6743_73:
	s_or_b64 exec, exec, s[0:1]
	s_and_saveexec_b64 s[0:1], s[12:13]
	s_cbranch_execnz .LBB6743_98
.LBB6743_74:
	s_or_b64 exec, exec, s[0:1]
	s_and_saveexec_b64 s[0:1], s[14:15]
	s_cbranch_execnz .LBB6743_99
.LBB6743_75:
	s_or_b64 exec, exec, s[0:1]
	s_and_saveexec_b64 s[0:1], s[16:17]
	s_cbranch_execnz .LBB6743_100
.LBB6743_76:
	s_or_b64 exec, exec, s[0:1]
	s_and_saveexec_b64 s[0:1], s[18:19]
	s_cbranch_execnz .LBB6743_101
.LBB6743_77:
	s_or_b64 exec, exec, s[0:1]
	s_and_saveexec_b64 s[0:1], s[20:21]
	s_cbranch_execnz .LBB6743_102
.LBB6743_78:
	s_or_b64 exec, exec, s[0:1]
	s_and_saveexec_b64 s[0:1], s[22:23]
	s_cbranch_execnz .LBB6743_103
.LBB6743_79:
	s_or_b64 exec, exec, s[0:1]
	s_and_saveexec_b64 s[0:1], s[24:25]
	s_cbranch_execnz .LBB6743_104
.LBB6743_80:
	s_or_b64 exec, exec, s[0:1]
	s_and_saveexec_b64 s[0:1], s[26:27]
	s_cbranch_execnz .LBB6743_105
.LBB6743_81:
	s_or_b64 exec, exec, s[0:1]
	s_and_saveexec_b64 s[0:1], s[28:29]
	s_cbranch_execnz .LBB6743_106
.LBB6743_82:
	s_or_b64 exec, exec, s[0:1]
	s_and_saveexec_b64 s[0:1], s[30:31]
	s_cbranch_execnz .LBB6743_107
.LBB6743_83:
	s_or_b64 exec, exec, s[0:1]
	s_and_saveexec_b64 s[0:1], s[34:35]
	s_cbranch_execnz .LBB6743_108
.LBB6743_84:
	s_or_b64 exec, exec, s[0:1]
	s_and_saveexec_b64 s[0:1], s[36:37]
	s_cbranch_execnz .LBB6743_109
.LBB6743_85:
	s_or_b64 exec, exec, s[0:1]
	s_and_saveexec_b64 s[0:1], s[38:39]
	s_cbranch_execnz .LBB6743_110
.LBB6743_86:
	s_or_b64 exec, exec, s[0:1]
	s_and_saveexec_b64 s[0:1], s[40:41]
	s_cbranch_execnz .LBB6743_111
.LBB6743_87:
	s_or_b64 exec, exec, s[0:1]
	s_and_saveexec_b64 s[0:1], s[42:43]
	s_cbranch_execnz .LBB6743_112
.LBB6743_88:
	s_or_b64 exec, exec, s[0:1]
	s_and_saveexec_b64 s[0:1], s[44:45]
	s_cbranch_execnz .LBB6743_113
.LBB6743_89:
	s_or_b64 exec, exec, s[0:1]
	s_and_saveexec_b64 s[0:1], s[46:47]
	s_cbranch_execnz .LBB6743_114
.LBB6743_90:
	s_endpgm
.LBB6743_91:
	ds_read_u16 v25, v54
	s_waitcnt lgkmcnt(0)
	global_store_short v[0:1], v25, off
	s_or_b64 exec, exec, s[4:5]
	s_and_saveexec_b64 s[4:5], s[0:1]
	s_cbranch_execz .LBB6743_68
.LBB6743_92:
	s_waitcnt lgkmcnt(14)
	global_store_short v[0:1], v24, off offset:128
	s_or_b64 exec, exec, s[4:5]
	s_and_saveexec_b64 s[0:1], s[2:3]
	s_cbranch_execz .LBB6743_69
.LBB6743_93:
	s_waitcnt lgkmcnt(14)
	global_store_short v[0:1], v23, off offset:256
	s_or_b64 exec, exec, s[0:1]
	s_and_saveexec_b64 s[0:1], s[48:49]
	s_cbranch_execz .LBB6743_70
.LBB6743_94:
	s_waitcnt lgkmcnt(14)
	global_store_short v[0:1], v22, off offset:384
	s_or_b64 exec, exec, s[0:1]
	s_and_saveexec_b64 s[0:1], s[6:7]
	s_cbranch_execz .LBB6743_71
.LBB6743_95:
	s_waitcnt lgkmcnt(14)
	global_store_short v[0:1], v21, off offset:512
	s_or_b64 exec, exec, s[0:1]
	s_and_saveexec_b64 s[0:1], s[8:9]
	s_cbranch_execz .LBB6743_72
.LBB6743_96:
	s_waitcnt lgkmcnt(14)
	global_store_short v[0:1], v20, off offset:640
	s_or_b64 exec, exec, s[0:1]
	s_and_saveexec_b64 s[0:1], s[10:11]
	s_cbranch_execz .LBB6743_73
.LBB6743_97:
	s_waitcnt lgkmcnt(14)
	global_store_short v[0:1], v19, off offset:768
	s_or_b64 exec, exec, s[0:1]
	s_and_saveexec_b64 s[0:1], s[12:13]
	s_cbranch_execz .LBB6743_74
.LBB6743_98:
	s_waitcnt lgkmcnt(14)
	global_store_short v[0:1], v18, off offset:896
	s_or_b64 exec, exec, s[0:1]
	s_and_saveexec_b64 s[0:1], s[14:15]
	s_cbranch_execz .LBB6743_75
.LBB6743_99:
	s_waitcnt lgkmcnt(14)
	global_store_short v[0:1], v17, off offset:1024
	s_or_b64 exec, exec, s[0:1]
	s_and_saveexec_b64 s[0:1], s[16:17]
	s_cbranch_execz .LBB6743_76
.LBB6743_100:
	s_waitcnt lgkmcnt(14)
	global_store_short v[0:1], v16, off offset:1152
	s_or_b64 exec, exec, s[0:1]
	s_and_saveexec_b64 s[0:1], s[18:19]
	s_cbranch_execz .LBB6743_77
.LBB6743_101:
	s_waitcnt lgkmcnt(13)
	global_store_short v[0:1], v15, off offset:1280
	s_or_b64 exec, exec, s[0:1]
	s_and_saveexec_b64 s[0:1], s[20:21]
	s_cbranch_execz .LBB6743_78
.LBB6743_102:
	s_waitcnt lgkmcnt(12)
	global_store_short v[0:1], v14, off offset:1408
	s_or_b64 exec, exec, s[0:1]
	s_and_saveexec_b64 s[0:1], s[22:23]
	s_cbranch_execz .LBB6743_79
.LBB6743_103:
	s_waitcnt lgkmcnt(11)
	global_store_short v[0:1], v13, off offset:1536
	s_or_b64 exec, exec, s[0:1]
	s_and_saveexec_b64 s[0:1], s[24:25]
	s_cbranch_execz .LBB6743_80
.LBB6743_104:
	s_waitcnt lgkmcnt(10)
	global_store_short v[0:1], v12, off offset:1664
	s_or_b64 exec, exec, s[0:1]
	s_and_saveexec_b64 s[0:1], s[26:27]
	s_cbranch_execz .LBB6743_81
.LBB6743_105:
	s_waitcnt lgkmcnt(9)
	global_store_short v[0:1], v11, off offset:1792
	s_or_b64 exec, exec, s[0:1]
	s_and_saveexec_b64 s[0:1], s[28:29]
	s_cbranch_execz .LBB6743_82
.LBB6743_106:
	s_waitcnt lgkmcnt(8)
	global_store_short v[0:1], v10, off offset:1920
	s_or_b64 exec, exec, s[0:1]
	s_and_saveexec_b64 s[0:1], s[30:31]
	s_cbranch_execz .LBB6743_83
.LBB6743_107:
	s_waitcnt lgkmcnt(7)
	global_store_short v[0:1], v9, off offset:2048
	s_or_b64 exec, exec, s[0:1]
	s_and_saveexec_b64 s[0:1], s[34:35]
	s_cbranch_execz .LBB6743_84
.LBB6743_108:
	s_waitcnt lgkmcnt(6)
	global_store_short v[0:1], v8, off offset:2176
	s_or_b64 exec, exec, s[0:1]
	s_and_saveexec_b64 s[0:1], s[36:37]
	s_cbranch_execz .LBB6743_85
.LBB6743_109:
	s_waitcnt lgkmcnt(5)
	global_store_short v[0:1], v7, off offset:2304
	s_or_b64 exec, exec, s[0:1]
	s_and_saveexec_b64 s[0:1], s[38:39]
	s_cbranch_execz .LBB6743_86
.LBB6743_110:
	s_waitcnt lgkmcnt(4)
	global_store_short v[0:1], v6, off offset:2432
	s_or_b64 exec, exec, s[0:1]
	s_and_saveexec_b64 s[0:1], s[40:41]
	s_cbranch_execz .LBB6743_87
.LBB6743_111:
	s_waitcnt lgkmcnt(3)
	global_store_short v[0:1], v5, off offset:2560
	s_or_b64 exec, exec, s[0:1]
	s_and_saveexec_b64 s[0:1], s[42:43]
	s_cbranch_execz .LBB6743_88
.LBB6743_112:
	s_waitcnt lgkmcnt(2)
	global_store_short v[0:1], v4, off offset:2688
	s_or_b64 exec, exec, s[0:1]
	s_and_saveexec_b64 s[0:1], s[44:45]
	s_cbranch_execz .LBB6743_89
.LBB6743_113:
	s_waitcnt lgkmcnt(1)
	global_store_short v[0:1], v3, off offset:2816
	s_or_b64 exec, exec, s[0:1]
	s_and_saveexec_b64 s[0:1], s[46:47]
	s_cbranch_execz .LBB6743_90
.LBB6743_114:
	s_waitcnt lgkmcnt(0)
	global_store_short v[0:1], v2, off offset:2944
	s_endpgm
	.section	.rodata,"a",@progbits
	.p2align	6, 0x0
	.amdhsa_kernel _ZN7rocprim17ROCPRIM_400000_NS6detail17trampoline_kernelINS0_14default_configENS1_20scan_config_selectorIsEEZZNS1_9scan_implILNS1_25lookback_scan_determinismE0ELb0ELb0ES3_N6thrust23THRUST_200600_302600_NS6detail15normal_iteratorINS9_10device_ptrIsEEEESE_s9plus_mod3IsEsEEDaPvRmT3_T4_T5_mT6_P12ihipStream_tbENKUlT_T0_E_clISt17integral_constantIbLb0EEST_IbLb1EEEEDaSP_SQ_EUlSP_E0_NS1_11comp_targetILNS1_3genE4ELNS1_11target_archE910ELNS1_3gpuE8ELNS1_3repE0EEENS1_30default_config_static_selectorELNS0_4arch9wavefront6targetE1EEEvT1_
		.amdhsa_group_segment_fixed_size 3072
		.amdhsa_private_segment_fixed_size 0
		.amdhsa_kernarg_size 40
		.amdhsa_user_sgpr_count 6
		.amdhsa_user_sgpr_private_segment_buffer 1
		.amdhsa_user_sgpr_dispatch_ptr 0
		.amdhsa_user_sgpr_queue_ptr 0
		.amdhsa_user_sgpr_kernarg_segment_ptr 1
		.amdhsa_user_sgpr_dispatch_id 0
		.amdhsa_user_sgpr_flat_scratch_init 0
		.amdhsa_user_sgpr_kernarg_preload_length 0
		.amdhsa_user_sgpr_kernarg_preload_offset 0
		.amdhsa_user_sgpr_private_segment_size 0
		.amdhsa_uses_dynamic_stack 0
		.amdhsa_system_sgpr_private_segment_wavefront_offset 0
		.amdhsa_system_sgpr_workgroup_id_x 1
		.amdhsa_system_sgpr_workgroup_id_y 0
		.amdhsa_system_sgpr_workgroup_id_z 0
		.amdhsa_system_sgpr_workgroup_info 0
		.amdhsa_system_vgpr_workitem_id 0
		.amdhsa_next_free_vgpr 61
		.amdhsa_next_free_sgpr 60
		.amdhsa_accum_offset 64
		.amdhsa_reserve_vcc 1
		.amdhsa_reserve_flat_scratch 0
		.amdhsa_float_round_mode_32 0
		.amdhsa_float_round_mode_16_64 0
		.amdhsa_float_denorm_mode_32 3
		.amdhsa_float_denorm_mode_16_64 3
		.amdhsa_dx10_clamp 1
		.amdhsa_ieee_mode 1
		.amdhsa_fp16_overflow 0
		.amdhsa_tg_split 0
		.amdhsa_exception_fp_ieee_invalid_op 0
		.amdhsa_exception_fp_denorm_src 0
		.amdhsa_exception_fp_ieee_div_zero 0
		.amdhsa_exception_fp_ieee_overflow 0
		.amdhsa_exception_fp_ieee_underflow 0
		.amdhsa_exception_fp_ieee_inexact 0
		.amdhsa_exception_int_div_zero 0
	.end_amdhsa_kernel
	.section	.text._ZN7rocprim17ROCPRIM_400000_NS6detail17trampoline_kernelINS0_14default_configENS1_20scan_config_selectorIsEEZZNS1_9scan_implILNS1_25lookback_scan_determinismE0ELb0ELb0ES3_N6thrust23THRUST_200600_302600_NS6detail15normal_iteratorINS9_10device_ptrIsEEEESE_s9plus_mod3IsEsEEDaPvRmT3_T4_T5_mT6_P12ihipStream_tbENKUlT_T0_E_clISt17integral_constantIbLb0EEST_IbLb1EEEEDaSP_SQ_EUlSP_E0_NS1_11comp_targetILNS1_3genE4ELNS1_11target_archE910ELNS1_3gpuE8ELNS1_3repE0EEENS1_30default_config_static_selectorELNS0_4arch9wavefront6targetE1EEEvT1_,"axG",@progbits,_ZN7rocprim17ROCPRIM_400000_NS6detail17trampoline_kernelINS0_14default_configENS1_20scan_config_selectorIsEEZZNS1_9scan_implILNS1_25lookback_scan_determinismE0ELb0ELb0ES3_N6thrust23THRUST_200600_302600_NS6detail15normal_iteratorINS9_10device_ptrIsEEEESE_s9plus_mod3IsEsEEDaPvRmT3_T4_T5_mT6_P12ihipStream_tbENKUlT_T0_E_clISt17integral_constantIbLb0EEST_IbLb1EEEEDaSP_SQ_EUlSP_E0_NS1_11comp_targetILNS1_3genE4ELNS1_11target_archE910ELNS1_3gpuE8ELNS1_3repE0EEENS1_30default_config_static_selectorELNS0_4arch9wavefront6targetE1EEEvT1_,comdat
.Lfunc_end6743:
	.size	_ZN7rocprim17ROCPRIM_400000_NS6detail17trampoline_kernelINS0_14default_configENS1_20scan_config_selectorIsEEZZNS1_9scan_implILNS1_25lookback_scan_determinismE0ELb0ELb0ES3_N6thrust23THRUST_200600_302600_NS6detail15normal_iteratorINS9_10device_ptrIsEEEESE_s9plus_mod3IsEsEEDaPvRmT3_T4_T5_mT6_P12ihipStream_tbENKUlT_T0_E_clISt17integral_constantIbLb0EEST_IbLb1EEEEDaSP_SQ_EUlSP_E0_NS1_11comp_targetILNS1_3genE4ELNS1_11target_archE910ELNS1_3gpuE8ELNS1_3repE0EEENS1_30default_config_static_selectorELNS0_4arch9wavefront6targetE1EEEvT1_, .Lfunc_end6743-_ZN7rocprim17ROCPRIM_400000_NS6detail17trampoline_kernelINS0_14default_configENS1_20scan_config_selectorIsEEZZNS1_9scan_implILNS1_25lookback_scan_determinismE0ELb0ELb0ES3_N6thrust23THRUST_200600_302600_NS6detail15normal_iteratorINS9_10device_ptrIsEEEESE_s9plus_mod3IsEsEEDaPvRmT3_T4_T5_mT6_P12ihipStream_tbENKUlT_T0_E_clISt17integral_constantIbLb0EEST_IbLb1EEEEDaSP_SQ_EUlSP_E0_NS1_11comp_targetILNS1_3genE4ELNS1_11target_archE910ELNS1_3gpuE8ELNS1_3repE0EEENS1_30default_config_static_selectorELNS0_4arch9wavefront6targetE1EEEvT1_
                                        ; -- End function
	.section	.AMDGPU.csdata,"",@progbits
; Kernel info:
; codeLenInByte = 6952
; NumSgprs: 64
; NumVgprs: 61
; NumAgprs: 0
; TotalNumVgprs: 61
; ScratchSize: 0
; MemoryBound: 0
; FloatMode: 240
; IeeeMode: 1
; LDSByteSize: 3072 bytes/workgroup (compile time only)
; SGPRBlocks: 7
; VGPRBlocks: 7
; NumSGPRsForWavesPerEU: 64
; NumVGPRsForWavesPerEU: 61
; AccumOffset: 64
; Occupancy: 6
; WaveLimiterHint : 1
; COMPUTE_PGM_RSRC2:SCRATCH_EN: 0
; COMPUTE_PGM_RSRC2:USER_SGPR: 6
; COMPUTE_PGM_RSRC2:TRAP_HANDLER: 0
; COMPUTE_PGM_RSRC2:TGID_X_EN: 1
; COMPUTE_PGM_RSRC2:TGID_Y_EN: 0
; COMPUTE_PGM_RSRC2:TGID_Z_EN: 0
; COMPUTE_PGM_RSRC2:TIDIG_COMP_CNT: 0
; COMPUTE_PGM_RSRC3_GFX90A:ACCUM_OFFSET: 15
; COMPUTE_PGM_RSRC3_GFX90A:TG_SPLIT: 0
	.section	.text._ZN7rocprim17ROCPRIM_400000_NS6detail17trampoline_kernelINS0_14default_configENS1_20scan_config_selectorIsEEZZNS1_9scan_implILNS1_25lookback_scan_determinismE0ELb0ELb0ES3_N6thrust23THRUST_200600_302600_NS6detail15normal_iteratorINS9_10device_ptrIsEEEESE_s9plus_mod3IsEsEEDaPvRmT3_T4_T5_mT6_P12ihipStream_tbENKUlT_T0_E_clISt17integral_constantIbLb0EEST_IbLb1EEEEDaSP_SQ_EUlSP_E0_NS1_11comp_targetILNS1_3genE3ELNS1_11target_archE908ELNS1_3gpuE7ELNS1_3repE0EEENS1_30default_config_static_selectorELNS0_4arch9wavefront6targetE1EEEvT1_,"axG",@progbits,_ZN7rocprim17ROCPRIM_400000_NS6detail17trampoline_kernelINS0_14default_configENS1_20scan_config_selectorIsEEZZNS1_9scan_implILNS1_25lookback_scan_determinismE0ELb0ELb0ES3_N6thrust23THRUST_200600_302600_NS6detail15normal_iteratorINS9_10device_ptrIsEEEESE_s9plus_mod3IsEsEEDaPvRmT3_T4_T5_mT6_P12ihipStream_tbENKUlT_T0_E_clISt17integral_constantIbLb0EEST_IbLb1EEEEDaSP_SQ_EUlSP_E0_NS1_11comp_targetILNS1_3genE3ELNS1_11target_archE908ELNS1_3gpuE7ELNS1_3repE0EEENS1_30default_config_static_selectorELNS0_4arch9wavefront6targetE1EEEvT1_,comdat
	.protected	_ZN7rocprim17ROCPRIM_400000_NS6detail17trampoline_kernelINS0_14default_configENS1_20scan_config_selectorIsEEZZNS1_9scan_implILNS1_25lookback_scan_determinismE0ELb0ELb0ES3_N6thrust23THRUST_200600_302600_NS6detail15normal_iteratorINS9_10device_ptrIsEEEESE_s9plus_mod3IsEsEEDaPvRmT3_T4_T5_mT6_P12ihipStream_tbENKUlT_T0_E_clISt17integral_constantIbLb0EEST_IbLb1EEEEDaSP_SQ_EUlSP_E0_NS1_11comp_targetILNS1_3genE3ELNS1_11target_archE908ELNS1_3gpuE7ELNS1_3repE0EEENS1_30default_config_static_selectorELNS0_4arch9wavefront6targetE1EEEvT1_ ; -- Begin function _ZN7rocprim17ROCPRIM_400000_NS6detail17trampoline_kernelINS0_14default_configENS1_20scan_config_selectorIsEEZZNS1_9scan_implILNS1_25lookback_scan_determinismE0ELb0ELb0ES3_N6thrust23THRUST_200600_302600_NS6detail15normal_iteratorINS9_10device_ptrIsEEEESE_s9plus_mod3IsEsEEDaPvRmT3_T4_T5_mT6_P12ihipStream_tbENKUlT_T0_E_clISt17integral_constantIbLb0EEST_IbLb1EEEEDaSP_SQ_EUlSP_E0_NS1_11comp_targetILNS1_3genE3ELNS1_11target_archE908ELNS1_3gpuE7ELNS1_3repE0EEENS1_30default_config_static_selectorELNS0_4arch9wavefront6targetE1EEEvT1_
	.globl	_ZN7rocprim17ROCPRIM_400000_NS6detail17trampoline_kernelINS0_14default_configENS1_20scan_config_selectorIsEEZZNS1_9scan_implILNS1_25lookback_scan_determinismE0ELb0ELb0ES3_N6thrust23THRUST_200600_302600_NS6detail15normal_iteratorINS9_10device_ptrIsEEEESE_s9plus_mod3IsEsEEDaPvRmT3_T4_T5_mT6_P12ihipStream_tbENKUlT_T0_E_clISt17integral_constantIbLb0EEST_IbLb1EEEEDaSP_SQ_EUlSP_E0_NS1_11comp_targetILNS1_3genE3ELNS1_11target_archE908ELNS1_3gpuE7ELNS1_3repE0EEENS1_30default_config_static_selectorELNS0_4arch9wavefront6targetE1EEEvT1_
	.p2align	8
	.type	_ZN7rocprim17ROCPRIM_400000_NS6detail17trampoline_kernelINS0_14default_configENS1_20scan_config_selectorIsEEZZNS1_9scan_implILNS1_25lookback_scan_determinismE0ELb0ELb0ES3_N6thrust23THRUST_200600_302600_NS6detail15normal_iteratorINS9_10device_ptrIsEEEESE_s9plus_mod3IsEsEEDaPvRmT3_T4_T5_mT6_P12ihipStream_tbENKUlT_T0_E_clISt17integral_constantIbLb0EEST_IbLb1EEEEDaSP_SQ_EUlSP_E0_NS1_11comp_targetILNS1_3genE3ELNS1_11target_archE908ELNS1_3gpuE7ELNS1_3repE0EEENS1_30default_config_static_selectorELNS0_4arch9wavefront6targetE1EEEvT1_,@function
_ZN7rocprim17ROCPRIM_400000_NS6detail17trampoline_kernelINS0_14default_configENS1_20scan_config_selectorIsEEZZNS1_9scan_implILNS1_25lookback_scan_determinismE0ELb0ELb0ES3_N6thrust23THRUST_200600_302600_NS6detail15normal_iteratorINS9_10device_ptrIsEEEESE_s9plus_mod3IsEsEEDaPvRmT3_T4_T5_mT6_P12ihipStream_tbENKUlT_T0_E_clISt17integral_constantIbLb0EEST_IbLb1EEEEDaSP_SQ_EUlSP_E0_NS1_11comp_targetILNS1_3genE3ELNS1_11target_archE908ELNS1_3gpuE7ELNS1_3repE0EEENS1_30default_config_static_selectorELNS0_4arch9wavefront6targetE1EEEvT1_: ; @_ZN7rocprim17ROCPRIM_400000_NS6detail17trampoline_kernelINS0_14default_configENS1_20scan_config_selectorIsEEZZNS1_9scan_implILNS1_25lookback_scan_determinismE0ELb0ELb0ES3_N6thrust23THRUST_200600_302600_NS6detail15normal_iteratorINS9_10device_ptrIsEEEESE_s9plus_mod3IsEsEEDaPvRmT3_T4_T5_mT6_P12ihipStream_tbENKUlT_T0_E_clISt17integral_constantIbLb0EEST_IbLb1EEEEDaSP_SQ_EUlSP_E0_NS1_11comp_targetILNS1_3genE3ELNS1_11target_archE908ELNS1_3gpuE7ELNS1_3repE0EEENS1_30default_config_static_selectorELNS0_4arch9wavefront6targetE1EEEvT1_
; %bb.0:
	.section	.rodata,"a",@progbits
	.p2align	6, 0x0
	.amdhsa_kernel _ZN7rocprim17ROCPRIM_400000_NS6detail17trampoline_kernelINS0_14default_configENS1_20scan_config_selectorIsEEZZNS1_9scan_implILNS1_25lookback_scan_determinismE0ELb0ELb0ES3_N6thrust23THRUST_200600_302600_NS6detail15normal_iteratorINS9_10device_ptrIsEEEESE_s9plus_mod3IsEsEEDaPvRmT3_T4_T5_mT6_P12ihipStream_tbENKUlT_T0_E_clISt17integral_constantIbLb0EEST_IbLb1EEEEDaSP_SQ_EUlSP_E0_NS1_11comp_targetILNS1_3genE3ELNS1_11target_archE908ELNS1_3gpuE7ELNS1_3repE0EEENS1_30default_config_static_selectorELNS0_4arch9wavefront6targetE1EEEvT1_
		.amdhsa_group_segment_fixed_size 0
		.amdhsa_private_segment_fixed_size 0
		.amdhsa_kernarg_size 40
		.amdhsa_user_sgpr_count 6
		.amdhsa_user_sgpr_private_segment_buffer 1
		.amdhsa_user_sgpr_dispatch_ptr 0
		.amdhsa_user_sgpr_queue_ptr 0
		.amdhsa_user_sgpr_kernarg_segment_ptr 1
		.amdhsa_user_sgpr_dispatch_id 0
		.amdhsa_user_sgpr_flat_scratch_init 0
		.amdhsa_user_sgpr_kernarg_preload_length 0
		.amdhsa_user_sgpr_kernarg_preload_offset 0
		.amdhsa_user_sgpr_private_segment_size 0
		.amdhsa_uses_dynamic_stack 0
		.amdhsa_system_sgpr_private_segment_wavefront_offset 0
		.amdhsa_system_sgpr_workgroup_id_x 1
		.amdhsa_system_sgpr_workgroup_id_y 0
		.amdhsa_system_sgpr_workgroup_id_z 0
		.amdhsa_system_sgpr_workgroup_info 0
		.amdhsa_system_vgpr_workitem_id 0
		.amdhsa_next_free_vgpr 1
		.amdhsa_next_free_sgpr 0
		.amdhsa_accum_offset 4
		.amdhsa_reserve_vcc 0
		.amdhsa_reserve_flat_scratch 0
		.amdhsa_float_round_mode_32 0
		.amdhsa_float_round_mode_16_64 0
		.amdhsa_float_denorm_mode_32 3
		.amdhsa_float_denorm_mode_16_64 3
		.amdhsa_dx10_clamp 1
		.amdhsa_ieee_mode 1
		.amdhsa_fp16_overflow 0
		.amdhsa_tg_split 0
		.amdhsa_exception_fp_ieee_invalid_op 0
		.amdhsa_exception_fp_denorm_src 0
		.amdhsa_exception_fp_ieee_div_zero 0
		.amdhsa_exception_fp_ieee_overflow 0
		.amdhsa_exception_fp_ieee_underflow 0
		.amdhsa_exception_fp_ieee_inexact 0
		.amdhsa_exception_int_div_zero 0
	.end_amdhsa_kernel
	.section	.text._ZN7rocprim17ROCPRIM_400000_NS6detail17trampoline_kernelINS0_14default_configENS1_20scan_config_selectorIsEEZZNS1_9scan_implILNS1_25lookback_scan_determinismE0ELb0ELb0ES3_N6thrust23THRUST_200600_302600_NS6detail15normal_iteratorINS9_10device_ptrIsEEEESE_s9plus_mod3IsEsEEDaPvRmT3_T4_T5_mT6_P12ihipStream_tbENKUlT_T0_E_clISt17integral_constantIbLb0EEST_IbLb1EEEEDaSP_SQ_EUlSP_E0_NS1_11comp_targetILNS1_3genE3ELNS1_11target_archE908ELNS1_3gpuE7ELNS1_3repE0EEENS1_30default_config_static_selectorELNS0_4arch9wavefront6targetE1EEEvT1_,"axG",@progbits,_ZN7rocprim17ROCPRIM_400000_NS6detail17trampoline_kernelINS0_14default_configENS1_20scan_config_selectorIsEEZZNS1_9scan_implILNS1_25lookback_scan_determinismE0ELb0ELb0ES3_N6thrust23THRUST_200600_302600_NS6detail15normal_iteratorINS9_10device_ptrIsEEEESE_s9plus_mod3IsEsEEDaPvRmT3_T4_T5_mT6_P12ihipStream_tbENKUlT_T0_E_clISt17integral_constantIbLb0EEST_IbLb1EEEEDaSP_SQ_EUlSP_E0_NS1_11comp_targetILNS1_3genE3ELNS1_11target_archE908ELNS1_3gpuE7ELNS1_3repE0EEENS1_30default_config_static_selectorELNS0_4arch9wavefront6targetE1EEEvT1_,comdat
.Lfunc_end6744:
	.size	_ZN7rocprim17ROCPRIM_400000_NS6detail17trampoline_kernelINS0_14default_configENS1_20scan_config_selectorIsEEZZNS1_9scan_implILNS1_25lookback_scan_determinismE0ELb0ELb0ES3_N6thrust23THRUST_200600_302600_NS6detail15normal_iteratorINS9_10device_ptrIsEEEESE_s9plus_mod3IsEsEEDaPvRmT3_T4_T5_mT6_P12ihipStream_tbENKUlT_T0_E_clISt17integral_constantIbLb0EEST_IbLb1EEEEDaSP_SQ_EUlSP_E0_NS1_11comp_targetILNS1_3genE3ELNS1_11target_archE908ELNS1_3gpuE7ELNS1_3repE0EEENS1_30default_config_static_selectorELNS0_4arch9wavefront6targetE1EEEvT1_, .Lfunc_end6744-_ZN7rocprim17ROCPRIM_400000_NS6detail17trampoline_kernelINS0_14default_configENS1_20scan_config_selectorIsEEZZNS1_9scan_implILNS1_25lookback_scan_determinismE0ELb0ELb0ES3_N6thrust23THRUST_200600_302600_NS6detail15normal_iteratorINS9_10device_ptrIsEEEESE_s9plus_mod3IsEsEEDaPvRmT3_T4_T5_mT6_P12ihipStream_tbENKUlT_T0_E_clISt17integral_constantIbLb0EEST_IbLb1EEEEDaSP_SQ_EUlSP_E0_NS1_11comp_targetILNS1_3genE3ELNS1_11target_archE908ELNS1_3gpuE7ELNS1_3repE0EEENS1_30default_config_static_selectorELNS0_4arch9wavefront6targetE1EEEvT1_
                                        ; -- End function
	.section	.AMDGPU.csdata,"",@progbits
; Kernel info:
; codeLenInByte = 0
; NumSgprs: 4
; NumVgprs: 0
; NumAgprs: 0
; TotalNumVgprs: 0
; ScratchSize: 0
; MemoryBound: 0
; FloatMode: 240
; IeeeMode: 1
; LDSByteSize: 0 bytes/workgroup (compile time only)
; SGPRBlocks: 0
; VGPRBlocks: 0
; NumSGPRsForWavesPerEU: 4
; NumVGPRsForWavesPerEU: 1
; AccumOffset: 4
; Occupancy: 8
; WaveLimiterHint : 0
; COMPUTE_PGM_RSRC2:SCRATCH_EN: 0
; COMPUTE_PGM_RSRC2:USER_SGPR: 6
; COMPUTE_PGM_RSRC2:TRAP_HANDLER: 0
; COMPUTE_PGM_RSRC2:TGID_X_EN: 1
; COMPUTE_PGM_RSRC2:TGID_Y_EN: 0
; COMPUTE_PGM_RSRC2:TGID_Z_EN: 0
; COMPUTE_PGM_RSRC2:TIDIG_COMP_CNT: 0
; COMPUTE_PGM_RSRC3_GFX90A:ACCUM_OFFSET: 0
; COMPUTE_PGM_RSRC3_GFX90A:TG_SPLIT: 0
	.section	.text._ZN7rocprim17ROCPRIM_400000_NS6detail17trampoline_kernelINS0_14default_configENS1_20scan_config_selectorIsEEZZNS1_9scan_implILNS1_25lookback_scan_determinismE0ELb0ELb0ES3_N6thrust23THRUST_200600_302600_NS6detail15normal_iteratorINS9_10device_ptrIsEEEESE_s9plus_mod3IsEsEEDaPvRmT3_T4_T5_mT6_P12ihipStream_tbENKUlT_T0_E_clISt17integral_constantIbLb0EEST_IbLb1EEEEDaSP_SQ_EUlSP_E0_NS1_11comp_targetILNS1_3genE2ELNS1_11target_archE906ELNS1_3gpuE6ELNS1_3repE0EEENS1_30default_config_static_selectorELNS0_4arch9wavefront6targetE1EEEvT1_,"axG",@progbits,_ZN7rocprim17ROCPRIM_400000_NS6detail17trampoline_kernelINS0_14default_configENS1_20scan_config_selectorIsEEZZNS1_9scan_implILNS1_25lookback_scan_determinismE0ELb0ELb0ES3_N6thrust23THRUST_200600_302600_NS6detail15normal_iteratorINS9_10device_ptrIsEEEESE_s9plus_mod3IsEsEEDaPvRmT3_T4_T5_mT6_P12ihipStream_tbENKUlT_T0_E_clISt17integral_constantIbLb0EEST_IbLb1EEEEDaSP_SQ_EUlSP_E0_NS1_11comp_targetILNS1_3genE2ELNS1_11target_archE906ELNS1_3gpuE6ELNS1_3repE0EEENS1_30default_config_static_selectorELNS0_4arch9wavefront6targetE1EEEvT1_,comdat
	.protected	_ZN7rocprim17ROCPRIM_400000_NS6detail17trampoline_kernelINS0_14default_configENS1_20scan_config_selectorIsEEZZNS1_9scan_implILNS1_25lookback_scan_determinismE0ELb0ELb0ES3_N6thrust23THRUST_200600_302600_NS6detail15normal_iteratorINS9_10device_ptrIsEEEESE_s9plus_mod3IsEsEEDaPvRmT3_T4_T5_mT6_P12ihipStream_tbENKUlT_T0_E_clISt17integral_constantIbLb0EEST_IbLb1EEEEDaSP_SQ_EUlSP_E0_NS1_11comp_targetILNS1_3genE2ELNS1_11target_archE906ELNS1_3gpuE6ELNS1_3repE0EEENS1_30default_config_static_selectorELNS0_4arch9wavefront6targetE1EEEvT1_ ; -- Begin function _ZN7rocprim17ROCPRIM_400000_NS6detail17trampoline_kernelINS0_14default_configENS1_20scan_config_selectorIsEEZZNS1_9scan_implILNS1_25lookback_scan_determinismE0ELb0ELb0ES3_N6thrust23THRUST_200600_302600_NS6detail15normal_iteratorINS9_10device_ptrIsEEEESE_s9plus_mod3IsEsEEDaPvRmT3_T4_T5_mT6_P12ihipStream_tbENKUlT_T0_E_clISt17integral_constantIbLb0EEST_IbLb1EEEEDaSP_SQ_EUlSP_E0_NS1_11comp_targetILNS1_3genE2ELNS1_11target_archE906ELNS1_3gpuE6ELNS1_3repE0EEENS1_30default_config_static_selectorELNS0_4arch9wavefront6targetE1EEEvT1_
	.globl	_ZN7rocprim17ROCPRIM_400000_NS6detail17trampoline_kernelINS0_14default_configENS1_20scan_config_selectorIsEEZZNS1_9scan_implILNS1_25lookback_scan_determinismE0ELb0ELb0ES3_N6thrust23THRUST_200600_302600_NS6detail15normal_iteratorINS9_10device_ptrIsEEEESE_s9plus_mod3IsEsEEDaPvRmT3_T4_T5_mT6_P12ihipStream_tbENKUlT_T0_E_clISt17integral_constantIbLb0EEST_IbLb1EEEEDaSP_SQ_EUlSP_E0_NS1_11comp_targetILNS1_3genE2ELNS1_11target_archE906ELNS1_3gpuE6ELNS1_3repE0EEENS1_30default_config_static_selectorELNS0_4arch9wavefront6targetE1EEEvT1_
	.p2align	8
	.type	_ZN7rocprim17ROCPRIM_400000_NS6detail17trampoline_kernelINS0_14default_configENS1_20scan_config_selectorIsEEZZNS1_9scan_implILNS1_25lookback_scan_determinismE0ELb0ELb0ES3_N6thrust23THRUST_200600_302600_NS6detail15normal_iteratorINS9_10device_ptrIsEEEESE_s9plus_mod3IsEsEEDaPvRmT3_T4_T5_mT6_P12ihipStream_tbENKUlT_T0_E_clISt17integral_constantIbLb0EEST_IbLb1EEEEDaSP_SQ_EUlSP_E0_NS1_11comp_targetILNS1_3genE2ELNS1_11target_archE906ELNS1_3gpuE6ELNS1_3repE0EEENS1_30default_config_static_selectorELNS0_4arch9wavefront6targetE1EEEvT1_,@function
_ZN7rocprim17ROCPRIM_400000_NS6detail17trampoline_kernelINS0_14default_configENS1_20scan_config_selectorIsEEZZNS1_9scan_implILNS1_25lookback_scan_determinismE0ELb0ELb0ES3_N6thrust23THRUST_200600_302600_NS6detail15normal_iteratorINS9_10device_ptrIsEEEESE_s9plus_mod3IsEsEEDaPvRmT3_T4_T5_mT6_P12ihipStream_tbENKUlT_T0_E_clISt17integral_constantIbLb0EEST_IbLb1EEEEDaSP_SQ_EUlSP_E0_NS1_11comp_targetILNS1_3genE2ELNS1_11target_archE906ELNS1_3gpuE6ELNS1_3repE0EEENS1_30default_config_static_selectorELNS0_4arch9wavefront6targetE1EEEvT1_: ; @_ZN7rocprim17ROCPRIM_400000_NS6detail17trampoline_kernelINS0_14default_configENS1_20scan_config_selectorIsEEZZNS1_9scan_implILNS1_25lookback_scan_determinismE0ELb0ELb0ES3_N6thrust23THRUST_200600_302600_NS6detail15normal_iteratorINS9_10device_ptrIsEEEESE_s9plus_mod3IsEsEEDaPvRmT3_T4_T5_mT6_P12ihipStream_tbENKUlT_T0_E_clISt17integral_constantIbLb0EEST_IbLb1EEEEDaSP_SQ_EUlSP_E0_NS1_11comp_targetILNS1_3genE2ELNS1_11target_archE906ELNS1_3gpuE6ELNS1_3repE0EEENS1_30default_config_static_selectorELNS0_4arch9wavefront6targetE1EEEvT1_
; %bb.0:
	.section	.rodata,"a",@progbits
	.p2align	6, 0x0
	.amdhsa_kernel _ZN7rocprim17ROCPRIM_400000_NS6detail17trampoline_kernelINS0_14default_configENS1_20scan_config_selectorIsEEZZNS1_9scan_implILNS1_25lookback_scan_determinismE0ELb0ELb0ES3_N6thrust23THRUST_200600_302600_NS6detail15normal_iteratorINS9_10device_ptrIsEEEESE_s9plus_mod3IsEsEEDaPvRmT3_T4_T5_mT6_P12ihipStream_tbENKUlT_T0_E_clISt17integral_constantIbLb0EEST_IbLb1EEEEDaSP_SQ_EUlSP_E0_NS1_11comp_targetILNS1_3genE2ELNS1_11target_archE906ELNS1_3gpuE6ELNS1_3repE0EEENS1_30default_config_static_selectorELNS0_4arch9wavefront6targetE1EEEvT1_
		.amdhsa_group_segment_fixed_size 0
		.amdhsa_private_segment_fixed_size 0
		.amdhsa_kernarg_size 40
		.amdhsa_user_sgpr_count 6
		.amdhsa_user_sgpr_private_segment_buffer 1
		.amdhsa_user_sgpr_dispatch_ptr 0
		.amdhsa_user_sgpr_queue_ptr 0
		.amdhsa_user_sgpr_kernarg_segment_ptr 1
		.amdhsa_user_sgpr_dispatch_id 0
		.amdhsa_user_sgpr_flat_scratch_init 0
		.amdhsa_user_sgpr_kernarg_preload_length 0
		.amdhsa_user_sgpr_kernarg_preload_offset 0
		.amdhsa_user_sgpr_private_segment_size 0
		.amdhsa_uses_dynamic_stack 0
		.amdhsa_system_sgpr_private_segment_wavefront_offset 0
		.amdhsa_system_sgpr_workgroup_id_x 1
		.amdhsa_system_sgpr_workgroup_id_y 0
		.amdhsa_system_sgpr_workgroup_id_z 0
		.amdhsa_system_sgpr_workgroup_info 0
		.amdhsa_system_vgpr_workitem_id 0
		.amdhsa_next_free_vgpr 1
		.amdhsa_next_free_sgpr 0
		.amdhsa_accum_offset 4
		.amdhsa_reserve_vcc 0
		.amdhsa_reserve_flat_scratch 0
		.amdhsa_float_round_mode_32 0
		.amdhsa_float_round_mode_16_64 0
		.amdhsa_float_denorm_mode_32 3
		.amdhsa_float_denorm_mode_16_64 3
		.amdhsa_dx10_clamp 1
		.amdhsa_ieee_mode 1
		.amdhsa_fp16_overflow 0
		.amdhsa_tg_split 0
		.amdhsa_exception_fp_ieee_invalid_op 0
		.amdhsa_exception_fp_denorm_src 0
		.amdhsa_exception_fp_ieee_div_zero 0
		.amdhsa_exception_fp_ieee_overflow 0
		.amdhsa_exception_fp_ieee_underflow 0
		.amdhsa_exception_fp_ieee_inexact 0
		.amdhsa_exception_int_div_zero 0
	.end_amdhsa_kernel
	.section	.text._ZN7rocprim17ROCPRIM_400000_NS6detail17trampoline_kernelINS0_14default_configENS1_20scan_config_selectorIsEEZZNS1_9scan_implILNS1_25lookback_scan_determinismE0ELb0ELb0ES3_N6thrust23THRUST_200600_302600_NS6detail15normal_iteratorINS9_10device_ptrIsEEEESE_s9plus_mod3IsEsEEDaPvRmT3_T4_T5_mT6_P12ihipStream_tbENKUlT_T0_E_clISt17integral_constantIbLb0EEST_IbLb1EEEEDaSP_SQ_EUlSP_E0_NS1_11comp_targetILNS1_3genE2ELNS1_11target_archE906ELNS1_3gpuE6ELNS1_3repE0EEENS1_30default_config_static_selectorELNS0_4arch9wavefront6targetE1EEEvT1_,"axG",@progbits,_ZN7rocprim17ROCPRIM_400000_NS6detail17trampoline_kernelINS0_14default_configENS1_20scan_config_selectorIsEEZZNS1_9scan_implILNS1_25lookback_scan_determinismE0ELb0ELb0ES3_N6thrust23THRUST_200600_302600_NS6detail15normal_iteratorINS9_10device_ptrIsEEEESE_s9plus_mod3IsEsEEDaPvRmT3_T4_T5_mT6_P12ihipStream_tbENKUlT_T0_E_clISt17integral_constantIbLb0EEST_IbLb1EEEEDaSP_SQ_EUlSP_E0_NS1_11comp_targetILNS1_3genE2ELNS1_11target_archE906ELNS1_3gpuE6ELNS1_3repE0EEENS1_30default_config_static_selectorELNS0_4arch9wavefront6targetE1EEEvT1_,comdat
.Lfunc_end6745:
	.size	_ZN7rocprim17ROCPRIM_400000_NS6detail17trampoline_kernelINS0_14default_configENS1_20scan_config_selectorIsEEZZNS1_9scan_implILNS1_25lookback_scan_determinismE0ELb0ELb0ES3_N6thrust23THRUST_200600_302600_NS6detail15normal_iteratorINS9_10device_ptrIsEEEESE_s9plus_mod3IsEsEEDaPvRmT3_T4_T5_mT6_P12ihipStream_tbENKUlT_T0_E_clISt17integral_constantIbLb0EEST_IbLb1EEEEDaSP_SQ_EUlSP_E0_NS1_11comp_targetILNS1_3genE2ELNS1_11target_archE906ELNS1_3gpuE6ELNS1_3repE0EEENS1_30default_config_static_selectorELNS0_4arch9wavefront6targetE1EEEvT1_, .Lfunc_end6745-_ZN7rocprim17ROCPRIM_400000_NS6detail17trampoline_kernelINS0_14default_configENS1_20scan_config_selectorIsEEZZNS1_9scan_implILNS1_25lookback_scan_determinismE0ELb0ELb0ES3_N6thrust23THRUST_200600_302600_NS6detail15normal_iteratorINS9_10device_ptrIsEEEESE_s9plus_mod3IsEsEEDaPvRmT3_T4_T5_mT6_P12ihipStream_tbENKUlT_T0_E_clISt17integral_constantIbLb0EEST_IbLb1EEEEDaSP_SQ_EUlSP_E0_NS1_11comp_targetILNS1_3genE2ELNS1_11target_archE906ELNS1_3gpuE6ELNS1_3repE0EEENS1_30default_config_static_selectorELNS0_4arch9wavefront6targetE1EEEvT1_
                                        ; -- End function
	.section	.AMDGPU.csdata,"",@progbits
; Kernel info:
; codeLenInByte = 0
; NumSgprs: 4
; NumVgprs: 0
; NumAgprs: 0
; TotalNumVgprs: 0
; ScratchSize: 0
; MemoryBound: 0
; FloatMode: 240
; IeeeMode: 1
; LDSByteSize: 0 bytes/workgroup (compile time only)
; SGPRBlocks: 0
; VGPRBlocks: 0
; NumSGPRsForWavesPerEU: 4
; NumVGPRsForWavesPerEU: 1
; AccumOffset: 4
; Occupancy: 8
; WaveLimiterHint : 0
; COMPUTE_PGM_RSRC2:SCRATCH_EN: 0
; COMPUTE_PGM_RSRC2:USER_SGPR: 6
; COMPUTE_PGM_RSRC2:TRAP_HANDLER: 0
; COMPUTE_PGM_RSRC2:TGID_X_EN: 1
; COMPUTE_PGM_RSRC2:TGID_Y_EN: 0
; COMPUTE_PGM_RSRC2:TGID_Z_EN: 0
; COMPUTE_PGM_RSRC2:TIDIG_COMP_CNT: 0
; COMPUTE_PGM_RSRC3_GFX90A:ACCUM_OFFSET: 0
; COMPUTE_PGM_RSRC3_GFX90A:TG_SPLIT: 0
	.section	.text._ZN7rocprim17ROCPRIM_400000_NS6detail17trampoline_kernelINS0_14default_configENS1_20scan_config_selectorIsEEZZNS1_9scan_implILNS1_25lookback_scan_determinismE0ELb0ELb0ES3_N6thrust23THRUST_200600_302600_NS6detail15normal_iteratorINS9_10device_ptrIsEEEESE_s9plus_mod3IsEsEEDaPvRmT3_T4_T5_mT6_P12ihipStream_tbENKUlT_T0_E_clISt17integral_constantIbLb0EEST_IbLb1EEEEDaSP_SQ_EUlSP_E0_NS1_11comp_targetILNS1_3genE10ELNS1_11target_archE1201ELNS1_3gpuE5ELNS1_3repE0EEENS1_30default_config_static_selectorELNS0_4arch9wavefront6targetE1EEEvT1_,"axG",@progbits,_ZN7rocprim17ROCPRIM_400000_NS6detail17trampoline_kernelINS0_14default_configENS1_20scan_config_selectorIsEEZZNS1_9scan_implILNS1_25lookback_scan_determinismE0ELb0ELb0ES3_N6thrust23THRUST_200600_302600_NS6detail15normal_iteratorINS9_10device_ptrIsEEEESE_s9plus_mod3IsEsEEDaPvRmT3_T4_T5_mT6_P12ihipStream_tbENKUlT_T0_E_clISt17integral_constantIbLb0EEST_IbLb1EEEEDaSP_SQ_EUlSP_E0_NS1_11comp_targetILNS1_3genE10ELNS1_11target_archE1201ELNS1_3gpuE5ELNS1_3repE0EEENS1_30default_config_static_selectorELNS0_4arch9wavefront6targetE1EEEvT1_,comdat
	.protected	_ZN7rocprim17ROCPRIM_400000_NS6detail17trampoline_kernelINS0_14default_configENS1_20scan_config_selectorIsEEZZNS1_9scan_implILNS1_25lookback_scan_determinismE0ELb0ELb0ES3_N6thrust23THRUST_200600_302600_NS6detail15normal_iteratorINS9_10device_ptrIsEEEESE_s9plus_mod3IsEsEEDaPvRmT3_T4_T5_mT6_P12ihipStream_tbENKUlT_T0_E_clISt17integral_constantIbLb0EEST_IbLb1EEEEDaSP_SQ_EUlSP_E0_NS1_11comp_targetILNS1_3genE10ELNS1_11target_archE1201ELNS1_3gpuE5ELNS1_3repE0EEENS1_30default_config_static_selectorELNS0_4arch9wavefront6targetE1EEEvT1_ ; -- Begin function _ZN7rocprim17ROCPRIM_400000_NS6detail17trampoline_kernelINS0_14default_configENS1_20scan_config_selectorIsEEZZNS1_9scan_implILNS1_25lookback_scan_determinismE0ELb0ELb0ES3_N6thrust23THRUST_200600_302600_NS6detail15normal_iteratorINS9_10device_ptrIsEEEESE_s9plus_mod3IsEsEEDaPvRmT3_T4_T5_mT6_P12ihipStream_tbENKUlT_T0_E_clISt17integral_constantIbLb0EEST_IbLb1EEEEDaSP_SQ_EUlSP_E0_NS1_11comp_targetILNS1_3genE10ELNS1_11target_archE1201ELNS1_3gpuE5ELNS1_3repE0EEENS1_30default_config_static_selectorELNS0_4arch9wavefront6targetE1EEEvT1_
	.globl	_ZN7rocprim17ROCPRIM_400000_NS6detail17trampoline_kernelINS0_14default_configENS1_20scan_config_selectorIsEEZZNS1_9scan_implILNS1_25lookback_scan_determinismE0ELb0ELb0ES3_N6thrust23THRUST_200600_302600_NS6detail15normal_iteratorINS9_10device_ptrIsEEEESE_s9plus_mod3IsEsEEDaPvRmT3_T4_T5_mT6_P12ihipStream_tbENKUlT_T0_E_clISt17integral_constantIbLb0EEST_IbLb1EEEEDaSP_SQ_EUlSP_E0_NS1_11comp_targetILNS1_3genE10ELNS1_11target_archE1201ELNS1_3gpuE5ELNS1_3repE0EEENS1_30default_config_static_selectorELNS0_4arch9wavefront6targetE1EEEvT1_
	.p2align	8
	.type	_ZN7rocprim17ROCPRIM_400000_NS6detail17trampoline_kernelINS0_14default_configENS1_20scan_config_selectorIsEEZZNS1_9scan_implILNS1_25lookback_scan_determinismE0ELb0ELb0ES3_N6thrust23THRUST_200600_302600_NS6detail15normal_iteratorINS9_10device_ptrIsEEEESE_s9plus_mod3IsEsEEDaPvRmT3_T4_T5_mT6_P12ihipStream_tbENKUlT_T0_E_clISt17integral_constantIbLb0EEST_IbLb1EEEEDaSP_SQ_EUlSP_E0_NS1_11comp_targetILNS1_3genE10ELNS1_11target_archE1201ELNS1_3gpuE5ELNS1_3repE0EEENS1_30default_config_static_selectorELNS0_4arch9wavefront6targetE1EEEvT1_,@function
_ZN7rocprim17ROCPRIM_400000_NS6detail17trampoline_kernelINS0_14default_configENS1_20scan_config_selectorIsEEZZNS1_9scan_implILNS1_25lookback_scan_determinismE0ELb0ELb0ES3_N6thrust23THRUST_200600_302600_NS6detail15normal_iteratorINS9_10device_ptrIsEEEESE_s9plus_mod3IsEsEEDaPvRmT3_T4_T5_mT6_P12ihipStream_tbENKUlT_T0_E_clISt17integral_constantIbLb0EEST_IbLb1EEEEDaSP_SQ_EUlSP_E0_NS1_11comp_targetILNS1_3genE10ELNS1_11target_archE1201ELNS1_3gpuE5ELNS1_3repE0EEENS1_30default_config_static_selectorELNS0_4arch9wavefront6targetE1EEEvT1_: ; @_ZN7rocprim17ROCPRIM_400000_NS6detail17trampoline_kernelINS0_14default_configENS1_20scan_config_selectorIsEEZZNS1_9scan_implILNS1_25lookback_scan_determinismE0ELb0ELb0ES3_N6thrust23THRUST_200600_302600_NS6detail15normal_iteratorINS9_10device_ptrIsEEEESE_s9plus_mod3IsEsEEDaPvRmT3_T4_T5_mT6_P12ihipStream_tbENKUlT_T0_E_clISt17integral_constantIbLb0EEST_IbLb1EEEEDaSP_SQ_EUlSP_E0_NS1_11comp_targetILNS1_3genE10ELNS1_11target_archE1201ELNS1_3gpuE5ELNS1_3repE0EEENS1_30default_config_static_selectorELNS0_4arch9wavefront6targetE1EEEvT1_
; %bb.0:
	.section	.rodata,"a",@progbits
	.p2align	6, 0x0
	.amdhsa_kernel _ZN7rocprim17ROCPRIM_400000_NS6detail17trampoline_kernelINS0_14default_configENS1_20scan_config_selectorIsEEZZNS1_9scan_implILNS1_25lookback_scan_determinismE0ELb0ELb0ES3_N6thrust23THRUST_200600_302600_NS6detail15normal_iteratorINS9_10device_ptrIsEEEESE_s9plus_mod3IsEsEEDaPvRmT3_T4_T5_mT6_P12ihipStream_tbENKUlT_T0_E_clISt17integral_constantIbLb0EEST_IbLb1EEEEDaSP_SQ_EUlSP_E0_NS1_11comp_targetILNS1_3genE10ELNS1_11target_archE1201ELNS1_3gpuE5ELNS1_3repE0EEENS1_30default_config_static_selectorELNS0_4arch9wavefront6targetE1EEEvT1_
		.amdhsa_group_segment_fixed_size 0
		.amdhsa_private_segment_fixed_size 0
		.amdhsa_kernarg_size 40
		.amdhsa_user_sgpr_count 6
		.amdhsa_user_sgpr_private_segment_buffer 1
		.amdhsa_user_sgpr_dispatch_ptr 0
		.amdhsa_user_sgpr_queue_ptr 0
		.amdhsa_user_sgpr_kernarg_segment_ptr 1
		.amdhsa_user_sgpr_dispatch_id 0
		.amdhsa_user_sgpr_flat_scratch_init 0
		.amdhsa_user_sgpr_kernarg_preload_length 0
		.amdhsa_user_sgpr_kernarg_preload_offset 0
		.amdhsa_user_sgpr_private_segment_size 0
		.amdhsa_uses_dynamic_stack 0
		.amdhsa_system_sgpr_private_segment_wavefront_offset 0
		.amdhsa_system_sgpr_workgroup_id_x 1
		.amdhsa_system_sgpr_workgroup_id_y 0
		.amdhsa_system_sgpr_workgroup_id_z 0
		.amdhsa_system_sgpr_workgroup_info 0
		.amdhsa_system_vgpr_workitem_id 0
		.amdhsa_next_free_vgpr 1
		.amdhsa_next_free_sgpr 0
		.amdhsa_accum_offset 4
		.amdhsa_reserve_vcc 0
		.amdhsa_reserve_flat_scratch 0
		.amdhsa_float_round_mode_32 0
		.amdhsa_float_round_mode_16_64 0
		.amdhsa_float_denorm_mode_32 3
		.amdhsa_float_denorm_mode_16_64 3
		.amdhsa_dx10_clamp 1
		.amdhsa_ieee_mode 1
		.amdhsa_fp16_overflow 0
		.amdhsa_tg_split 0
		.amdhsa_exception_fp_ieee_invalid_op 0
		.amdhsa_exception_fp_denorm_src 0
		.amdhsa_exception_fp_ieee_div_zero 0
		.amdhsa_exception_fp_ieee_overflow 0
		.amdhsa_exception_fp_ieee_underflow 0
		.amdhsa_exception_fp_ieee_inexact 0
		.amdhsa_exception_int_div_zero 0
	.end_amdhsa_kernel
	.section	.text._ZN7rocprim17ROCPRIM_400000_NS6detail17trampoline_kernelINS0_14default_configENS1_20scan_config_selectorIsEEZZNS1_9scan_implILNS1_25lookback_scan_determinismE0ELb0ELb0ES3_N6thrust23THRUST_200600_302600_NS6detail15normal_iteratorINS9_10device_ptrIsEEEESE_s9plus_mod3IsEsEEDaPvRmT3_T4_T5_mT6_P12ihipStream_tbENKUlT_T0_E_clISt17integral_constantIbLb0EEST_IbLb1EEEEDaSP_SQ_EUlSP_E0_NS1_11comp_targetILNS1_3genE10ELNS1_11target_archE1201ELNS1_3gpuE5ELNS1_3repE0EEENS1_30default_config_static_selectorELNS0_4arch9wavefront6targetE1EEEvT1_,"axG",@progbits,_ZN7rocprim17ROCPRIM_400000_NS6detail17trampoline_kernelINS0_14default_configENS1_20scan_config_selectorIsEEZZNS1_9scan_implILNS1_25lookback_scan_determinismE0ELb0ELb0ES3_N6thrust23THRUST_200600_302600_NS6detail15normal_iteratorINS9_10device_ptrIsEEEESE_s9plus_mod3IsEsEEDaPvRmT3_T4_T5_mT6_P12ihipStream_tbENKUlT_T0_E_clISt17integral_constantIbLb0EEST_IbLb1EEEEDaSP_SQ_EUlSP_E0_NS1_11comp_targetILNS1_3genE10ELNS1_11target_archE1201ELNS1_3gpuE5ELNS1_3repE0EEENS1_30default_config_static_selectorELNS0_4arch9wavefront6targetE1EEEvT1_,comdat
.Lfunc_end6746:
	.size	_ZN7rocprim17ROCPRIM_400000_NS6detail17trampoline_kernelINS0_14default_configENS1_20scan_config_selectorIsEEZZNS1_9scan_implILNS1_25lookback_scan_determinismE0ELb0ELb0ES3_N6thrust23THRUST_200600_302600_NS6detail15normal_iteratorINS9_10device_ptrIsEEEESE_s9plus_mod3IsEsEEDaPvRmT3_T4_T5_mT6_P12ihipStream_tbENKUlT_T0_E_clISt17integral_constantIbLb0EEST_IbLb1EEEEDaSP_SQ_EUlSP_E0_NS1_11comp_targetILNS1_3genE10ELNS1_11target_archE1201ELNS1_3gpuE5ELNS1_3repE0EEENS1_30default_config_static_selectorELNS0_4arch9wavefront6targetE1EEEvT1_, .Lfunc_end6746-_ZN7rocprim17ROCPRIM_400000_NS6detail17trampoline_kernelINS0_14default_configENS1_20scan_config_selectorIsEEZZNS1_9scan_implILNS1_25lookback_scan_determinismE0ELb0ELb0ES3_N6thrust23THRUST_200600_302600_NS6detail15normal_iteratorINS9_10device_ptrIsEEEESE_s9plus_mod3IsEsEEDaPvRmT3_T4_T5_mT6_P12ihipStream_tbENKUlT_T0_E_clISt17integral_constantIbLb0EEST_IbLb1EEEEDaSP_SQ_EUlSP_E0_NS1_11comp_targetILNS1_3genE10ELNS1_11target_archE1201ELNS1_3gpuE5ELNS1_3repE0EEENS1_30default_config_static_selectorELNS0_4arch9wavefront6targetE1EEEvT1_
                                        ; -- End function
	.section	.AMDGPU.csdata,"",@progbits
; Kernel info:
; codeLenInByte = 0
; NumSgprs: 4
; NumVgprs: 0
; NumAgprs: 0
; TotalNumVgprs: 0
; ScratchSize: 0
; MemoryBound: 0
; FloatMode: 240
; IeeeMode: 1
; LDSByteSize: 0 bytes/workgroup (compile time only)
; SGPRBlocks: 0
; VGPRBlocks: 0
; NumSGPRsForWavesPerEU: 4
; NumVGPRsForWavesPerEU: 1
; AccumOffset: 4
; Occupancy: 8
; WaveLimiterHint : 0
; COMPUTE_PGM_RSRC2:SCRATCH_EN: 0
; COMPUTE_PGM_RSRC2:USER_SGPR: 6
; COMPUTE_PGM_RSRC2:TRAP_HANDLER: 0
; COMPUTE_PGM_RSRC2:TGID_X_EN: 1
; COMPUTE_PGM_RSRC2:TGID_Y_EN: 0
; COMPUTE_PGM_RSRC2:TGID_Z_EN: 0
; COMPUTE_PGM_RSRC2:TIDIG_COMP_CNT: 0
; COMPUTE_PGM_RSRC3_GFX90A:ACCUM_OFFSET: 0
; COMPUTE_PGM_RSRC3_GFX90A:TG_SPLIT: 0
	.section	.text._ZN7rocprim17ROCPRIM_400000_NS6detail17trampoline_kernelINS0_14default_configENS1_20scan_config_selectorIsEEZZNS1_9scan_implILNS1_25lookback_scan_determinismE0ELb0ELb0ES3_N6thrust23THRUST_200600_302600_NS6detail15normal_iteratorINS9_10device_ptrIsEEEESE_s9plus_mod3IsEsEEDaPvRmT3_T4_T5_mT6_P12ihipStream_tbENKUlT_T0_E_clISt17integral_constantIbLb0EEST_IbLb1EEEEDaSP_SQ_EUlSP_E0_NS1_11comp_targetILNS1_3genE10ELNS1_11target_archE1200ELNS1_3gpuE4ELNS1_3repE0EEENS1_30default_config_static_selectorELNS0_4arch9wavefront6targetE1EEEvT1_,"axG",@progbits,_ZN7rocprim17ROCPRIM_400000_NS6detail17trampoline_kernelINS0_14default_configENS1_20scan_config_selectorIsEEZZNS1_9scan_implILNS1_25lookback_scan_determinismE0ELb0ELb0ES3_N6thrust23THRUST_200600_302600_NS6detail15normal_iteratorINS9_10device_ptrIsEEEESE_s9plus_mod3IsEsEEDaPvRmT3_T4_T5_mT6_P12ihipStream_tbENKUlT_T0_E_clISt17integral_constantIbLb0EEST_IbLb1EEEEDaSP_SQ_EUlSP_E0_NS1_11comp_targetILNS1_3genE10ELNS1_11target_archE1200ELNS1_3gpuE4ELNS1_3repE0EEENS1_30default_config_static_selectorELNS0_4arch9wavefront6targetE1EEEvT1_,comdat
	.protected	_ZN7rocprim17ROCPRIM_400000_NS6detail17trampoline_kernelINS0_14default_configENS1_20scan_config_selectorIsEEZZNS1_9scan_implILNS1_25lookback_scan_determinismE0ELb0ELb0ES3_N6thrust23THRUST_200600_302600_NS6detail15normal_iteratorINS9_10device_ptrIsEEEESE_s9plus_mod3IsEsEEDaPvRmT3_T4_T5_mT6_P12ihipStream_tbENKUlT_T0_E_clISt17integral_constantIbLb0EEST_IbLb1EEEEDaSP_SQ_EUlSP_E0_NS1_11comp_targetILNS1_3genE10ELNS1_11target_archE1200ELNS1_3gpuE4ELNS1_3repE0EEENS1_30default_config_static_selectorELNS0_4arch9wavefront6targetE1EEEvT1_ ; -- Begin function _ZN7rocprim17ROCPRIM_400000_NS6detail17trampoline_kernelINS0_14default_configENS1_20scan_config_selectorIsEEZZNS1_9scan_implILNS1_25lookback_scan_determinismE0ELb0ELb0ES3_N6thrust23THRUST_200600_302600_NS6detail15normal_iteratorINS9_10device_ptrIsEEEESE_s9plus_mod3IsEsEEDaPvRmT3_T4_T5_mT6_P12ihipStream_tbENKUlT_T0_E_clISt17integral_constantIbLb0EEST_IbLb1EEEEDaSP_SQ_EUlSP_E0_NS1_11comp_targetILNS1_3genE10ELNS1_11target_archE1200ELNS1_3gpuE4ELNS1_3repE0EEENS1_30default_config_static_selectorELNS0_4arch9wavefront6targetE1EEEvT1_
	.globl	_ZN7rocprim17ROCPRIM_400000_NS6detail17trampoline_kernelINS0_14default_configENS1_20scan_config_selectorIsEEZZNS1_9scan_implILNS1_25lookback_scan_determinismE0ELb0ELb0ES3_N6thrust23THRUST_200600_302600_NS6detail15normal_iteratorINS9_10device_ptrIsEEEESE_s9plus_mod3IsEsEEDaPvRmT3_T4_T5_mT6_P12ihipStream_tbENKUlT_T0_E_clISt17integral_constantIbLb0EEST_IbLb1EEEEDaSP_SQ_EUlSP_E0_NS1_11comp_targetILNS1_3genE10ELNS1_11target_archE1200ELNS1_3gpuE4ELNS1_3repE0EEENS1_30default_config_static_selectorELNS0_4arch9wavefront6targetE1EEEvT1_
	.p2align	8
	.type	_ZN7rocprim17ROCPRIM_400000_NS6detail17trampoline_kernelINS0_14default_configENS1_20scan_config_selectorIsEEZZNS1_9scan_implILNS1_25lookback_scan_determinismE0ELb0ELb0ES3_N6thrust23THRUST_200600_302600_NS6detail15normal_iteratorINS9_10device_ptrIsEEEESE_s9plus_mod3IsEsEEDaPvRmT3_T4_T5_mT6_P12ihipStream_tbENKUlT_T0_E_clISt17integral_constantIbLb0EEST_IbLb1EEEEDaSP_SQ_EUlSP_E0_NS1_11comp_targetILNS1_3genE10ELNS1_11target_archE1200ELNS1_3gpuE4ELNS1_3repE0EEENS1_30default_config_static_selectorELNS0_4arch9wavefront6targetE1EEEvT1_,@function
_ZN7rocprim17ROCPRIM_400000_NS6detail17trampoline_kernelINS0_14default_configENS1_20scan_config_selectorIsEEZZNS1_9scan_implILNS1_25lookback_scan_determinismE0ELb0ELb0ES3_N6thrust23THRUST_200600_302600_NS6detail15normal_iteratorINS9_10device_ptrIsEEEESE_s9plus_mod3IsEsEEDaPvRmT3_T4_T5_mT6_P12ihipStream_tbENKUlT_T0_E_clISt17integral_constantIbLb0EEST_IbLb1EEEEDaSP_SQ_EUlSP_E0_NS1_11comp_targetILNS1_3genE10ELNS1_11target_archE1200ELNS1_3gpuE4ELNS1_3repE0EEENS1_30default_config_static_selectorELNS0_4arch9wavefront6targetE1EEEvT1_: ; @_ZN7rocprim17ROCPRIM_400000_NS6detail17trampoline_kernelINS0_14default_configENS1_20scan_config_selectorIsEEZZNS1_9scan_implILNS1_25lookback_scan_determinismE0ELb0ELb0ES3_N6thrust23THRUST_200600_302600_NS6detail15normal_iteratorINS9_10device_ptrIsEEEESE_s9plus_mod3IsEsEEDaPvRmT3_T4_T5_mT6_P12ihipStream_tbENKUlT_T0_E_clISt17integral_constantIbLb0EEST_IbLb1EEEEDaSP_SQ_EUlSP_E0_NS1_11comp_targetILNS1_3genE10ELNS1_11target_archE1200ELNS1_3gpuE4ELNS1_3repE0EEENS1_30default_config_static_selectorELNS0_4arch9wavefront6targetE1EEEvT1_
; %bb.0:
	.section	.rodata,"a",@progbits
	.p2align	6, 0x0
	.amdhsa_kernel _ZN7rocprim17ROCPRIM_400000_NS6detail17trampoline_kernelINS0_14default_configENS1_20scan_config_selectorIsEEZZNS1_9scan_implILNS1_25lookback_scan_determinismE0ELb0ELb0ES3_N6thrust23THRUST_200600_302600_NS6detail15normal_iteratorINS9_10device_ptrIsEEEESE_s9plus_mod3IsEsEEDaPvRmT3_T4_T5_mT6_P12ihipStream_tbENKUlT_T0_E_clISt17integral_constantIbLb0EEST_IbLb1EEEEDaSP_SQ_EUlSP_E0_NS1_11comp_targetILNS1_3genE10ELNS1_11target_archE1200ELNS1_3gpuE4ELNS1_3repE0EEENS1_30default_config_static_selectorELNS0_4arch9wavefront6targetE1EEEvT1_
		.amdhsa_group_segment_fixed_size 0
		.amdhsa_private_segment_fixed_size 0
		.amdhsa_kernarg_size 40
		.amdhsa_user_sgpr_count 6
		.amdhsa_user_sgpr_private_segment_buffer 1
		.amdhsa_user_sgpr_dispatch_ptr 0
		.amdhsa_user_sgpr_queue_ptr 0
		.amdhsa_user_sgpr_kernarg_segment_ptr 1
		.amdhsa_user_sgpr_dispatch_id 0
		.amdhsa_user_sgpr_flat_scratch_init 0
		.amdhsa_user_sgpr_kernarg_preload_length 0
		.amdhsa_user_sgpr_kernarg_preload_offset 0
		.amdhsa_user_sgpr_private_segment_size 0
		.amdhsa_uses_dynamic_stack 0
		.amdhsa_system_sgpr_private_segment_wavefront_offset 0
		.amdhsa_system_sgpr_workgroup_id_x 1
		.amdhsa_system_sgpr_workgroup_id_y 0
		.amdhsa_system_sgpr_workgroup_id_z 0
		.amdhsa_system_sgpr_workgroup_info 0
		.amdhsa_system_vgpr_workitem_id 0
		.amdhsa_next_free_vgpr 1
		.amdhsa_next_free_sgpr 0
		.amdhsa_accum_offset 4
		.amdhsa_reserve_vcc 0
		.amdhsa_reserve_flat_scratch 0
		.amdhsa_float_round_mode_32 0
		.amdhsa_float_round_mode_16_64 0
		.amdhsa_float_denorm_mode_32 3
		.amdhsa_float_denorm_mode_16_64 3
		.amdhsa_dx10_clamp 1
		.amdhsa_ieee_mode 1
		.amdhsa_fp16_overflow 0
		.amdhsa_tg_split 0
		.amdhsa_exception_fp_ieee_invalid_op 0
		.amdhsa_exception_fp_denorm_src 0
		.amdhsa_exception_fp_ieee_div_zero 0
		.amdhsa_exception_fp_ieee_overflow 0
		.amdhsa_exception_fp_ieee_underflow 0
		.amdhsa_exception_fp_ieee_inexact 0
		.amdhsa_exception_int_div_zero 0
	.end_amdhsa_kernel
	.section	.text._ZN7rocprim17ROCPRIM_400000_NS6detail17trampoline_kernelINS0_14default_configENS1_20scan_config_selectorIsEEZZNS1_9scan_implILNS1_25lookback_scan_determinismE0ELb0ELb0ES3_N6thrust23THRUST_200600_302600_NS6detail15normal_iteratorINS9_10device_ptrIsEEEESE_s9plus_mod3IsEsEEDaPvRmT3_T4_T5_mT6_P12ihipStream_tbENKUlT_T0_E_clISt17integral_constantIbLb0EEST_IbLb1EEEEDaSP_SQ_EUlSP_E0_NS1_11comp_targetILNS1_3genE10ELNS1_11target_archE1200ELNS1_3gpuE4ELNS1_3repE0EEENS1_30default_config_static_selectorELNS0_4arch9wavefront6targetE1EEEvT1_,"axG",@progbits,_ZN7rocprim17ROCPRIM_400000_NS6detail17trampoline_kernelINS0_14default_configENS1_20scan_config_selectorIsEEZZNS1_9scan_implILNS1_25lookback_scan_determinismE0ELb0ELb0ES3_N6thrust23THRUST_200600_302600_NS6detail15normal_iteratorINS9_10device_ptrIsEEEESE_s9plus_mod3IsEsEEDaPvRmT3_T4_T5_mT6_P12ihipStream_tbENKUlT_T0_E_clISt17integral_constantIbLb0EEST_IbLb1EEEEDaSP_SQ_EUlSP_E0_NS1_11comp_targetILNS1_3genE10ELNS1_11target_archE1200ELNS1_3gpuE4ELNS1_3repE0EEENS1_30default_config_static_selectorELNS0_4arch9wavefront6targetE1EEEvT1_,comdat
.Lfunc_end6747:
	.size	_ZN7rocprim17ROCPRIM_400000_NS6detail17trampoline_kernelINS0_14default_configENS1_20scan_config_selectorIsEEZZNS1_9scan_implILNS1_25lookback_scan_determinismE0ELb0ELb0ES3_N6thrust23THRUST_200600_302600_NS6detail15normal_iteratorINS9_10device_ptrIsEEEESE_s9plus_mod3IsEsEEDaPvRmT3_T4_T5_mT6_P12ihipStream_tbENKUlT_T0_E_clISt17integral_constantIbLb0EEST_IbLb1EEEEDaSP_SQ_EUlSP_E0_NS1_11comp_targetILNS1_3genE10ELNS1_11target_archE1200ELNS1_3gpuE4ELNS1_3repE0EEENS1_30default_config_static_selectorELNS0_4arch9wavefront6targetE1EEEvT1_, .Lfunc_end6747-_ZN7rocprim17ROCPRIM_400000_NS6detail17trampoline_kernelINS0_14default_configENS1_20scan_config_selectorIsEEZZNS1_9scan_implILNS1_25lookback_scan_determinismE0ELb0ELb0ES3_N6thrust23THRUST_200600_302600_NS6detail15normal_iteratorINS9_10device_ptrIsEEEESE_s9plus_mod3IsEsEEDaPvRmT3_T4_T5_mT6_P12ihipStream_tbENKUlT_T0_E_clISt17integral_constantIbLb0EEST_IbLb1EEEEDaSP_SQ_EUlSP_E0_NS1_11comp_targetILNS1_3genE10ELNS1_11target_archE1200ELNS1_3gpuE4ELNS1_3repE0EEENS1_30default_config_static_selectorELNS0_4arch9wavefront6targetE1EEEvT1_
                                        ; -- End function
	.section	.AMDGPU.csdata,"",@progbits
; Kernel info:
; codeLenInByte = 0
; NumSgprs: 4
; NumVgprs: 0
; NumAgprs: 0
; TotalNumVgprs: 0
; ScratchSize: 0
; MemoryBound: 0
; FloatMode: 240
; IeeeMode: 1
; LDSByteSize: 0 bytes/workgroup (compile time only)
; SGPRBlocks: 0
; VGPRBlocks: 0
; NumSGPRsForWavesPerEU: 4
; NumVGPRsForWavesPerEU: 1
; AccumOffset: 4
; Occupancy: 8
; WaveLimiterHint : 0
; COMPUTE_PGM_RSRC2:SCRATCH_EN: 0
; COMPUTE_PGM_RSRC2:USER_SGPR: 6
; COMPUTE_PGM_RSRC2:TRAP_HANDLER: 0
; COMPUTE_PGM_RSRC2:TGID_X_EN: 1
; COMPUTE_PGM_RSRC2:TGID_Y_EN: 0
; COMPUTE_PGM_RSRC2:TGID_Z_EN: 0
; COMPUTE_PGM_RSRC2:TIDIG_COMP_CNT: 0
; COMPUTE_PGM_RSRC3_GFX90A:ACCUM_OFFSET: 0
; COMPUTE_PGM_RSRC3_GFX90A:TG_SPLIT: 0
	.section	.text._ZN7rocprim17ROCPRIM_400000_NS6detail17trampoline_kernelINS0_14default_configENS1_20scan_config_selectorIsEEZZNS1_9scan_implILNS1_25lookback_scan_determinismE0ELb0ELb0ES3_N6thrust23THRUST_200600_302600_NS6detail15normal_iteratorINS9_10device_ptrIsEEEESE_s9plus_mod3IsEsEEDaPvRmT3_T4_T5_mT6_P12ihipStream_tbENKUlT_T0_E_clISt17integral_constantIbLb0EEST_IbLb1EEEEDaSP_SQ_EUlSP_E0_NS1_11comp_targetILNS1_3genE9ELNS1_11target_archE1100ELNS1_3gpuE3ELNS1_3repE0EEENS1_30default_config_static_selectorELNS0_4arch9wavefront6targetE1EEEvT1_,"axG",@progbits,_ZN7rocprim17ROCPRIM_400000_NS6detail17trampoline_kernelINS0_14default_configENS1_20scan_config_selectorIsEEZZNS1_9scan_implILNS1_25lookback_scan_determinismE0ELb0ELb0ES3_N6thrust23THRUST_200600_302600_NS6detail15normal_iteratorINS9_10device_ptrIsEEEESE_s9plus_mod3IsEsEEDaPvRmT3_T4_T5_mT6_P12ihipStream_tbENKUlT_T0_E_clISt17integral_constantIbLb0EEST_IbLb1EEEEDaSP_SQ_EUlSP_E0_NS1_11comp_targetILNS1_3genE9ELNS1_11target_archE1100ELNS1_3gpuE3ELNS1_3repE0EEENS1_30default_config_static_selectorELNS0_4arch9wavefront6targetE1EEEvT1_,comdat
	.protected	_ZN7rocprim17ROCPRIM_400000_NS6detail17trampoline_kernelINS0_14default_configENS1_20scan_config_selectorIsEEZZNS1_9scan_implILNS1_25lookback_scan_determinismE0ELb0ELb0ES3_N6thrust23THRUST_200600_302600_NS6detail15normal_iteratorINS9_10device_ptrIsEEEESE_s9plus_mod3IsEsEEDaPvRmT3_T4_T5_mT6_P12ihipStream_tbENKUlT_T0_E_clISt17integral_constantIbLb0EEST_IbLb1EEEEDaSP_SQ_EUlSP_E0_NS1_11comp_targetILNS1_3genE9ELNS1_11target_archE1100ELNS1_3gpuE3ELNS1_3repE0EEENS1_30default_config_static_selectorELNS0_4arch9wavefront6targetE1EEEvT1_ ; -- Begin function _ZN7rocprim17ROCPRIM_400000_NS6detail17trampoline_kernelINS0_14default_configENS1_20scan_config_selectorIsEEZZNS1_9scan_implILNS1_25lookback_scan_determinismE0ELb0ELb0ES3_N6thrust23THRUST_200600_302600_NS6detail15normal_iteratorINS9_10device_ptrIsEEEESE_s9plus_mod3IsEsEEDaPvRmT3_T4_T5_mT6_P12ihipStream_tbENKUlT_T0_E_clISt17integral_constantIbLb0EEST_IbLb1EEEEDaSP_SQ_EUlSP_E0_NS1_11comp_targetILNS1_3genE9ELNS1_11target_archE1100ELNS1_3gpuE3ELNS1_3repE0EEENS1_30default_config_static_selectorELNS0_4arch9wavefront6targetE1EEEvT1_
	.globl	_ZN7rocprim17ROCPRIM_400000_NS6detail17trampoline_kernelINS0_14default_configENS1_20scan_config_selectorIsEEZZNS1_9scan_implILNS1_25lookback_scan_determinismE0ELb0ELb0ES3_N6thrust23THRUST_200600_302600_NS6detail15normal_iteratorINS9_10device_ptrIsEEEESE_s9plus_mod3IsEsEEDaPvRmT3_T4_T5_mT6_P12ihipStream_tbENKUlT_T0_E_clISt17integral_constantIbLb0EEST_IbLb1EEEEDaSP_SQ_EUlSP_E0_NS1_11comp_targetILNS1_3genE9ELNS1_11target_archE1100ELNS1_3gpuE3ELNS1_3repE0EEENS1_30default_config_static_selectorELNS0_4arch9wavefront6targetE1EEEvT1_
	.p2align	8
	.type	_ZN7rocprim17ROCPRIM_400000_NS6detail17trampoline_kernelINS0_14default_configENS1_20scan_config_selectorIsEEZZNS1_9scan_implILNS1_25lookback_scan_determinismE0ELb0ELb0ES3_N6thrust23THRUST_200600_302600_NS6detail15normal_iteratorINS9_10device_ptrIsEEEESE_s9plus_mod3IsEsEEDaPvRmT3_T4_T5_mT6_P12ihipStream_tbENKUlT_T0_E_clISt17integral_constantIbLb0EEST_IbLb1EEEEDaSP_SQ_EUlSP_E0_NS1_11comp_targetILNS1_3genE9ELNS1_11target_archE1100ELNS1_3gpuE3ELNS1_3repE0EEENS1_30default_config_static_selectorELNS0_4arch9wavefront6targetE1EEEvT1_,@function
_ZN7rocprim17ROCPRIM_400000_NS6detail17trampoline_kernelINS0_14default_configENS1_20scan_config_selectorIsEEZZNS1_9scan_implILNS1_25lookback_scan_determinismE0ELb0ELb0ES3_N6thrust23THRUST_200600_302600_NS6detail15normal_iteratorINS9_10device_ptrIsEEEESE_s9plus_mod3IsEsEEDaPvRmT3_T4_T5_mT6_P12ihipStream_tbENKUlT_T0_E_clISt17integral_constantIbLb0EEST_IbLb1EEEEDaSP_SQ_EUlSP_E0_NS1_11comp_targetILNS1_3genE9ELNS1_11target_archE1100ELNS1_3gpuE3ELNS1_3repE0EEENS1_30default_config_static_selectorELNS0_4arch9wavefront6targetE1EEEvT1_: ; @_ZN7rocprim17ROCPRIM_400000_NS6detail17trampoline_kernelINS0_14default_configENS1_20scan_config_selectorIsEEZZNS1_9scan_implILNS1_25lookback_scan_determinismE0ELb0ELb0ES3_N6thrust23THRUST_200600_302600_NS6detail15normal_iteratorINS9_10device_ptrIsEEEESE_s9plus_mod3IsEsEEDaPvRmT3_T4_T5_mT6_P12ihipStream_tbENKUlT_T0_E_clISt17integral_constantIbLb0EEST_IbLb1EEEEDaSP_SQ_EUlSP_E0_NS1_11comp_targetILNS1_3genE9ELNS1_11target_archE1100ELNS1_3gpuE3ELNS1_3repE0EEENS1_30default_config_static_selectorELNS0_4arch9wavefront6targetE1EEEvT1_
; %bb.0:
	.section	.rodata,"a",@progbits
	.p2align	6, 0x0
	.amdhsa_kernel _ZN7rocprim17ROCPRIM_400000_NS6detail17trampoline_kernelINS0_14default_configENS1_20scan_config_selectorIsEEZZNS1_9scan_implILNS1_25lookback_scan_determinismE0ELb0ELb0ES3_N6thrust23THRUST_200600_302600_NS6detail15normal_iteratorINS9_10device_ptrIsEEEESE_s9plus_mod3IsEsEEDaPvRmT3_T4_T5_mT6_P12ihipStream_tbENKUlT_T0_E_clISt17integral_constantIbLb0EEST_IbLb1EEEEDaSP_SQ_EUlSP_E0_NS1_11comp_targetILNS1_3genE9ELNS1_11target_archE1100ELNS1_3gpuE3ELNS1_3repE0EEENS1_30default_config_static_selectorELNS0_4arch9wavefront6targetE1EEEvT1_
		.amdhsa_group_segment_fixed_size 0
		.amdhsa_private_segment_fixed_size 0
		.amdhsa_kernarg_size 40
		.amdhsa_user_sgpr_count 6
		.amdhsa_user_sgpr_private_segment_buffer 1
		.amdhsa_user_sgpr_dispatch_ptr 0
		.amdhsa_user_sgpr_queue_ptr 0
		.amdhsa_user_sgpr_kernarg_segment_ptr 1
		.amdhsa_user_sgpr_dispatch_id 0
		.amdhsa_user_sgpr_flat_scratch_init 0
		.amdhsa_user_sgpr_kernarg_preload_length 0
		.amdhsa_user_sgpr_kernarg_preload_offset 0
		.amdhsa_user_sgpr_private_segment_size 0
		.amdhsa_uses_dynamic_stack 0
		.amdhsa_system_sgpr_private_segment_wavefront_offset 0
		.amdhsa_system_sgpr_workgroup_id_x 1
		.amdhsa_system_sgpr_workgroup_id_y 0
		.amdhsa_system_sgpr_workgroup_id_z 0
		.amdhsa_system_sgpr_workgroup_info 0
		.amdhsa_system_vgpr_workitem_id 0
		.amdhsa_next_free_vgpr 1
		.amdhsa_next_free_sgpr 0
		.amdhsa_accum_offset 4
		.amdhsa_reserve_vcc 0
		.amdhsa_reserve_flat_scratch 0
		.amdhsa_float_round_mode_32 0
		.amdhsa_float_round_mode_16_64 0
		.amdhsa_float_denorm_mode_32 3
		.amdhsa_float_denorm_mode_16_64 3
		.amdhsa_dx10_clamp 1
		.amdhsa_ieee_mode 1
		.amdhsa_fp16_overflow 0
		.amdhsa_tg_split 0
		.amdhsa_exception_fp_ieee_invalid_op 0
		.amdhsa_exception_fp_denorm_src 0
		.amdhsa_exception_fp_ieee_div_zero 0
		.amdhsa_exception_fp_ieee_overflow 0
		.amdhsa_exception_fp_ieee_underflow 0
		.amdhsa_exception_fp_ieee_inexact 0
		.amdhsa_exception_int_div_zero 0
	.end_amdhsa_kernel
	.section	.text._ZN7rocprim17ROCPRIM_400000_NS6detail17trampoline_kernelINS0_14default_configENS1_20scan_config_selectorIsEEZZNS1_9scan_implILNS1_25lookback_scan_determinismE0ELb0ELb0ES3_N6thrust23THRUST_200600_302600_NS6detail15normal_iteratorINS9_10device_ptrIsEEEESE_s9plus_mod3IsEsEEDaPvRmT3_T4_T5_mT6_P12ihipStream_tbENKUlT_T0_E_clISt17integral_constantIbLb0EEST_IbLb1EEEEDaSP_SQ_EUlSP_E0_NS1_11comp_targetILNS1_3genE9ELNS1_11target_archE1100ELNS1_3gpuE3ELNS1_3repE0EEENS1_30default_config_static_selectorELNS0_4arch9wavefront6targetE1EEEvT1_,"axG",@progbits,_ZN7rocprim17ROCPRIM_400000_NS6detail17trampoline_kernelINS0_14default_configENS1_20scan_config_selectorIsEEZZNS1_9scan_implILNS1_25lookback_scan_determinismE0ELb0ELb0ES3_N6thrust23THRUST_200600_302600_NS6detail15normal_iteratorINS9_10device_ptrIsEEEESE_s9plus_mod3IsEsEEDaPvRmT3_T4_T5_mT6_P12ihipStream_tbENKUlT_T0_E_clISt17integral_constantIbLb0EEST_IbLb1EEEEDaSP_SQ_EUlSP_E0_NS1_11comp_targetILNS1_3genE9ELNS1_11target_archE1100ELNS1_3gpuE3ELNS1_3repE0EEENS1_30default_config_static_selectorELNS0_4arch9wavefront6targetE1EEEvT1_,comdat
.Lfunc_end6748:
	.size	_ZN7rocprim17ROCPRIM_400000_NS6detail17trampoline_kernelINS0_14default_configENS1_20scan_config_selectorIsEEZZNS1_9scan_implILNS1_25lookback_scan_determinismE0ELb0ELb0ES3_N6thrust23THRUST_200600_302600_NS6detail15normal_iteratorINS9_10device_ptrIsEEEESE_s9plus_mod3IsEsEEDaPvRmT3_T4_T5_mT6_P12ihipStream_tbENKUlT_T0_E_clISt17integral_constantIbLb0EEST_IbLb1EEEEDaSP_SQ_EUlSP_E0_NS1_11comp_targetILNS1_3genE9ELNS1_11target_archE1100ELNS1_3gpuE3ELNS1_3repE0EEENS1_30default_config_static_selectorELNS0_4arch9wavefront6targetE1EEEvT1_, .Lfunc_end6748-_ZN7rocprim17ROCPRIM_400000_NS6detail17trampoline_kernelINS0_14default_configENS1_20scan_config_selectorIsEEZZNS1_9scan_implILNS1_25lookback_scan_determinismE0ELb0ELb0ES3_N6thrust23THRUST_200600_302600_NS6detail15normal_iteratorINS9_10device_ptrIsEEEESE_s9plus_mod3IsEsEEDaPvRmT3_T4_T5_mT6_P12ihipStream_tbENKUlT_T0_E_clISt17integral_constantIbLb0EEST_IbLb1EEEEDaSP_SQ_EUlSP_E0_NS1_11comp_targetILNS1_3genE9ELNS1_11target_archE1100ELNS1_3gpuE3ELNS1_3repE0EEENS1_30default_config_static_selectorELNS0_4arch9wavefront6targetE1EEEvT1_
                                        ; -- End function
	.section	.AMDGPU.csdata,"",@progbits
; Kernel info:
; codeLenInByte = 0
; NumSgprs: 4
; NumVgprs: 0
; NumAgprs: 0
; TotalNumVgprs: 0
; ScratchSize: 0
; MemoryBound: 0
; FloatMode: 240
; IeeeMode: 1
; LDSByteSize: 0 bytes/workgroup (compile time only)
; SGPRBlocks: 0
; VGPRBlocks: 0
; NumSGPRsForWavesPerEU: 4
; NumVGPRsForWavesPerEU: 1
; AccumOffset: 4
; Occupancy: 8
; WaveLimiterHint : 0
; COMPUTE_PGM_RSRC2:SCRATCH_EN: 0
; COMPUTE_PGM_RSRC2:USER_SGPR: 6
; COMPUTE_PGM_RSRC2:TRAP_HANDLER: 0
; COMPUTE_PGM_RSRC2:TGID_X_EN: 1
; COMPUTE_PGM_RSRC2:TGID_Y_EN: 0
; COMPUTE_PGM_RSRC2:TGID_Z_EN: 0
; COMPUTE_PGM_RSRC2:TIDIG_COMP_CNT: 0
; COMPUTE_PGM_RSRC3_GFX90A:ACCUM_OFFSET: 0
; COMPUTE_PGM_RSRC3_GFX90A:TG_SPLIT: 0
	.section	.text._ZN7rocprim17ROCPRIM_400000_NS6detail17trampoline_kernelINS0_14default_configENS1_20scan_config_selectorIsEEZZNS1_9scan_implILNS1_25lookback_scan_determinismE0ELb0ELb0ES3_N6thrust23THRUST_200600_302600_NS6detail15normal_iteratorINS9_10device_ptrIsEEEESE_s9plus_mod3IsEsEEDaPvRmT3_T4_T5_mT6_P12ihipStream_tbENKUlT_T0_E_clISt17integral_constantIbLb0EEST_IbLb1EEEEDaSP_SQ_EUlSP_E0_NS1_11comp_targetILNS1_3genE8ELNS1_11target_archE1030ELNS1_3gpuE2ELNS1_3repE0EEENS1_30default_config_static_selectorELNS0_4arch9wavefront6targetE1EEEvT1_,"axG",@progbits,_ZN7rocprim17ROCPRIM_400000_NS6detail17trampoline_kernelINS0_14default_configENS1_20scan_config_selectorIsEEZZNS1_9scan_implILNS1_25lookback_scan_determinismE0ELb0ELb0ES3_N6thrust23THRUST_200600_302600_NS6detail15normal_iteratorINS9_10device_ptrIsEEEESE_s9plus_mod3IsEsEEDaPvRmT3_T4_T5_mT6_P12ihipStream_tbENKUlT_T0_E_clISt17integral_constantIbLb0EEST_IbLb1EEEEDaSP_SQ_EUlSP_E0_NS1_11comp_targetILNS1_3genE8ELNS1_11target_archE1030ELNS1_3gpuE2ELNS1_3repE0EEENS1_30default_config_static_selectorELNS0_4arch9wavefront6targetE1EEEvT1_,comdat
	.protected	_ZN7rocprim17ROCPRIM_400000_NS6detail17trampoline_kernelINS0_14default_configENS1_20scan_config_selectorIsEEZZNS1_9scan_implILNS1_25lookback_scan_determinismE0ELb0ELb0ES3_N6thrust23THRUST_200600_302600_NS6detail15normal_iteratorINS9_10device_ptrIsEEEESE_s9plus_mod3IsEsEEDaPvRmT3_T4_T5_mT6_P12ihipStream_tbENKUlT_T0_E_clISt17integral_constantIbLb0EEST_IbLb1EEEEDaSP_SQ_EUlSP_E0_NS1_11comp_targetILNS1_3genE8ELNS1_11target_archE1030ELNS1_3gpuE2ELNS1_3repE0EEENS1_30default_config_static_selectorELNS0_4arch9wavefront6targetE1EEEvT1_ ; -- Begin function _ZN7rocprim17ROCPRIM_400000_NS6detail17trampoline_kernelINS0_14default_configENS1_20scan_config_selectorIsEEZZNS1_9scan_implILNS1_25lookback_scan_determinismE0ELb0ELb0ES3_N6thrust23THRUST_200600_302600_NS6detail15normal_iteratorINS9_10device_ptrIsEEEESE_s9plus_mod3IsEsEEDaPvRmT3_T4_T5_mT6_P12ihipStream_tbENKUlT_T0_E_clISt17integral_constantIbLb0EEST_IbLb1EEEEDaSP_SQ_EUlSP_E0_NS1_11comp_targetILNS1_3genE8ELNS1_11target_archE1030ELNS1_3gpuE2ELNS1_3repE0EEENS1_30default_config_static_selectorELNS0_4arch9wavefront6targetE1EEEvT1_
	.globl	_ZN7rocprim17ROCPRIM_400000_NS6detail17trampoline_kernelINS0_14default_configENS1_20scan_config_selectorIsEEZZNS1_9scan_implILNS1_25lookback_scan_determinismE0ELb0ELb0ES3_N6thrust23THRUST_200600_302600_NS6detail15normal_iteratorINS9_10device_ptrIsEEEESE_s9plus_mod3IsEsEEDaPvRmT3_T4_T5_mT6_P12ihipStream_tbENKUlT_T0_E_clISt17integral_constantIbLb0EEST_IbLb1EEEEDaSP_SQ_EUlSP_E0_NS1_11comp_targetILNS1_3genE8ELNS1_11target_archE1030ELNS1_3gpuE2ELNS1_3repE0EEENS1_30default_config_static_selectorELNS0_4arch9wavefront6targetE1EEEvT1_
	.p2align	8
	.type	_ZN7rocprim17ROCPRIM_400000_NS6detail17trampoline_kernelINS0_14default_configENS1_20scan_config_selectorIsEEZZNS1_9scan_implILNS1_25lookback_scan_determinismE0ELb0ELb0ES3_N6thrust23THRUST_200600_302600_NS6detail15normal_iteratorINS9_10device_ptrIsEEEESE_s9plus_mod3IsEsEEDaPvRmT3_T4_T5_mT6_P12ihipStream_tbENKUlT_T0_E_clISt17integral_constantIbLb0EEST_IbLb1EEEEDaSP_SQ_EUlSP_E0_NS1_11comp_targetILNS1_3genE8ELNS1_11target_archE1030ELNS1_3gpuE2ELNS1_3repE0EEENS1_30default_config_static_selectorELNS0_4arch9wavefront6targetE1EEEvT1_,@function
_ZN7rocprim17ROCPRIM_400000_NS6detail17trampoline_kernelINS0_14default_configENS1_20scan_config_selectorIsEEZZNS1_9scan_implILNS1_25lookback_scan_determinismE0ELb0ELb0ES3_N6thrust23THRUST_200600_302600_NS6detail15normal_iteratorINS9_10device_ptrIsEEEESE_s9plus_mod3IsEsEEDaPvRmT3_T4_T5_mT6_P12ihipStream_tbENKUlT_T0_E_clISt17integral_constantIbLb0EEST_IbLb1EEEEDaSP_SQ_EUlSP_E0_NS1_11comp_targetILNS1_3genE8ELNS1_11target_archE1030ELNS1_3gpuE2ELNS1_3repE0EEENS1_30default_config_static_selectorELNS0_4arch9wavefront6targetE1EEEvT1_: ; @_ZN7rocprim17ROCPRIM_400000_NS6detail17trampoline_kernelINS0_14default_configENS1_20scan_config_selectorIsEEZZNS1_9scan_implILNS1_25lookback_scan_determinismE0ELb0ELb0ES3_N6thrust23THRUST_200600_302600_NS6detail15normal_iteratorINS9_10device_ptrIsEEEESE_s9plus_mod3IsEsEEDaPvRmT3_T4_T5_mT6_P12ihipStream_tbENKUlT_T0_E_clISt17integral_constantIbLb0EEST_IbLb1EEEEDaSP_SQ_EUlSP_E0_NS1_11comp_targetILNS1_3genE8ELNS1_11target_archE1030ELNS1_3gpuE2ELNS1_3repE0EEENS1_30default_config_static_selectorELNS0_4arch9wavefront6targetE1EEEvT1_
; %bb.0:
	.section	.rodata,"a",@progbits
	.p2align	6, 0x0
	.amdhsa_kernel _ZN7rocprim17ROCPRIM_400000_NS6detail17trampoline_kernelINS0_14default_configENS1_20scan_config_selectorIsEEZZNS1_9scan_implILNS1_25lookback_scan_determinismE0ELb0ELb0ES3_N6thrust23THRUST_200600_302600_NS6detail15normal_iteratorINS9_10device_ptrIsEEEESE_s9plus_mod3IsEsEEDaPvRmT3_T4_T5_mT6_P12ihipStream_tbENKUlT_T0_E_clISt17integral_constantIbLb0EEST_IbLb1EEEEDaSP_SQ_EUlSP_E0_NS1_11comp_targetILNS1_3genE8ELNS1_11target_archE1030ELNS1_3gpuE2ELNS1_3repE0EEENS1_30default_config_static_selectorELNS0_4arch9wavefront6targetE1EEEvT1_
		.amdhsa_group_segment_fixed_size 0
		.amdhsa_private_segment_fixed_size 0
		.amdhsa_kernarg_size 40
		.amdhsa_user_sgpr_count 6
		.amdhsa_user_sgpr_private_segment_buffer 1
		.amdhsa_user_sgpr_dispatch_ptr 0
		.amdhsa_user_sgpr_queue_ptr 0
		.amdhsa_user_sgpr_kernarg_segment_ptr 1
		.amdhsa_user_sgpr_dispatch_id 0
		.amdhsa_user_sgpr_flat_scratch_init 0
		.amdhsa_user_sgpr_kernarg_preload_length 0
		.amdhsa_user_sgpr_kernarg_preload_offset 0
		.amdhsa_user_sgpr_private_segment_size 0
		.amdhsa_uses_dynamic_stack 0
		.amdhsa_system_sgpr_private_segment_wavefront_offset 0
		.amdhsa_system_sgpr_workgroup_id_x 1
		.amdhsa_system_sgpr_workgroup_id_y 0
		.amdhsa_system_sgpr_workgroup_id_z 0
		.amdhsa_system_sgpr_workgroup_info 0
		.amdhsa_system_vgpr_workitem_id 0
		.amdhsa_next_free_vgpr 1
		.amdhsa_next_free_sgpr 0
		.amdhsa_accum_offset 4
		.amdhsa_reserve_vcc 0
		.amdhsa_reserve_flat_scratch 0
		.amdhsa_float_round_mode_32 0
		.amdhsa_float_round_mode_16_64 0
		.amdhsa_float_denorm_mode_32 3
		.amdhsa_float_denorm_mode_16_64 3
		.amdhsa_dx10_clamp 1
		.amdhsa_ieee_mode 1
		.amdhsa_fp16_overflow 0
		.amdhsa_tg_split 0
		.amdhsa_exception_fp_ieee_invalid_op 0
		.amdhsa_exception_fp_denorm_src 0
		.amdhsa_exception_fp_ieee_div_zero 0
		.amdhsa_exception_fp_ieee_overflow 0
		.amdhsa_exception_fp_ieee_underflow 0
		.amdhsa_exception_fp_ieee_inexact 0
		.amdhsa_exception_int_div_zero 0
	.end_amdhsa_kernel
	.section	.text._ZN7rocprim17ROCPRIM_400000_NS6detail17trampoline_kernelINS0_14default_configENS1_20scan_config_selectorIsEEZZNS1_9scan_implILNS1_25lookback_scan_determinismE0ELb0ELb0ES3_N6thrust23THRUST_200600_302600_NS6detail15normal_iteratorINS9_10device_ptrIsEEEESE_s9plus_mod3IsEsEEDaPvRmT3_T4_T5_mT6_P12ihipStream_tbENKUlT_T0_E_clISt17integral_constantIbLb0EEST_IbLb1EEEEDaSP_SQ_EUlSP_E0_NS1_11comp_targetILNS1_3genE8ELNS1_11target_archE1030ELNS1_3gpuE2ELNS1_3repE0EEENS1_30default_config_static_selectorELNS0_4arch9wavefront6targetE1EEEvT1_,"axG",@progbits,_ZN7rocprim17ROCPRIM_400000_NS6detail17trampoline_kernelINS0_14default_configENS1_20scan_config_selectorIsEEZZNS1_9scan_implILNS1_25lookback_scan_determinismE0ELb0ELb0ES3_N6thrust23THRUST_200600_302600_NS6detail15normal_iteratorINS9_10device_ptrIsEEEESE_s9plus_mod3IsEsEEDaPvRmT3_T4_T5_mT6_P12ihipStream_tbENKUlT_T0_E_clISt17integral_constantIbLb0EEST_IbLb1EEEEDaSP_SQ_EUlSP_E0_NS1_11comp_targetILNS1_3genE8ELNS1_11target_archE1030ELNS1_3gpuE2ELNS1_3repE0EEENS1_30default_config_static_selectorELNS0_4arch9wavefront6targetE1EEEvT1_,comdat
.Lfunc_end6749:
	.size	_ZN7rocprim17ROCPRIM_400000_NS6detail17trampoline_kernelINS0_14default_configENS1_20scan_config_selectorIsEEZZNS1_9scan_implILNS1_25lookback_scan_determinismE0ELb0ELb0ES3_N6thrust23THRUST_200600_302600_NS6detail15normal_iteratorINS9_10device_ptrIsEEEESE_s9plus_mod3IsEsEEDaPvRmT3_T4_T5_mT6_P12ihipStream_tbENKUlT_T0_E_clISt17integral_constantIbLb0EEST_IbLb1EEEEDaSP_SQ_EUlSP_E0_NS1_11comp_targetILNS1_3genE8ELNS1_11target_archE1030ELNS1_3gpuE2ELNS1_3repE0EEENS1_30default_config_static_selectorELNS0_4arch9wavefront6targetE1EEEvT1_, .Lfunc_end6749-_ZN7rocprim17ROCPRIM_400000_NS6detail17trampoline_kernelINS0_14default_configENS1_20scan_config_selectorIsEEZZNS1_9scan_implILNS1_25lookback_scan_determinismE0ELb0ELb0ES3_N6thrust23THRUST_200600_302600_NS6detail15normal_iteratorINS9_10device_ptrIsEEEESE_s9plus_mod3IsEsEEDaPvRmT3_T4_T5_mT6_P12ihipStream_tbENKUlT_T0_E_clISt17integral_constantIbLb0EEST_IbLb1EEEEDaSP_SQ_EUlSP_E0_NS1_11comp_targetILNS1_3genE8ELNS1_11target_archE1030ELNS1_3gpuE2ELNS1_3repE0EEENS1_30default_config_static_selectorELNS0_4arch9wavefront6targetE1EEEvT1_
                                        ; -- End function
	.section	.AMDGPU.csdata,"",@progbits
; Kernel info:
; codeLenInByte = 0
; NumSgprs: 4
; NumVgprs: 0
; NumAgprs: 0
; TotalNumVgprs: 0
; ScratchSize: 0
; MemoryBound: 0
; FloatMode: 240
; IeeeMode: 1
; LDSByteSize: 0 bytes/workgroup (compile time only)
; SGPRBlocks: 0
; VGPRBlocks: 0
; NumSGPRsForWavesPerEU: 4
; NumVGPRsForWavesPerEU: 1
; AccumOffset: 4
; Occupancy: 8
; WaveLimiterHint : 0
; COMPUTE_PGM_RSRC2:SCRATCH_EN: 0
; COMPUTE_PGM_RSRC2:USER_SGPR: 6
; COMPUTE_PGM_RSRC2:TRAP_HANDLER: 0
; COMPUTE_PGM_RSRC2:TGID_X_EN: 1
; COMPUTE_PGM_RSRC2:TGID_Y_EN: 0
; COMPUTE_PGM_RSRC2:TGID_Z_EN: 0
; COMPUTE_PGM_RSRC2:TIDIG_COMP_CNT: 0
; COMPUTE_PGM_RSRC3_GFX90A:ACCUM_OFFSET: 0
; COMPUTE_PGM_RSRC3_GFX90A:TG_SPLIT: 0
	.section	.text._ZN7rocprim17ROCPRIM_400000_NS6detail17trampoline_kernelINS0_14default_configENS1_20scan_config_selectorIiEEZZNS1_9scan_implILNS1_25lookback_scan_determinismE0ELb0ELb0ES3_N6thrust23THRUST_200600_302600_NS10device_ptrIiEESB_iNS9_4plusIvEEiEEDaPvRmT3_T4_T5_mT6_P12ihipStream_tbENKUlT_T0_E_clISt17integral_constantIbLb0EESR_EEDaSM_SN_EUlSM_E_NS1_11comp_targetILNS1_3genE0ELNS1_11target_archE4294967295ELNS1_3gpuE0ELNS1_3repE0EEENS1_30default_config_static_selectorELNS0_4arch9wavefront6targetE1EEEvT1_,"axG",@progbits,_ZN7rocprim17ROCPRIM_400000_NS6detail17trampoline_kernelINS0_14default_configENS1_20scan_config_selectorIiEEZZNS1_9scan_implILNS1_25lookback_scan_determinismE0ELb0ELb0ES3_N6thrust23THRUST_200600_302600_NS10device_ptrIiEESB_iNS9_4plusIvEEiEEDaPvRmT3_T4_T5_mT6_P12ihipStream_tbENKUlT_T0_E_clISt17integral_constantIbLb0EESR_EEDaSM_SN_EUlSM_E_NS1_11comp_targetILNS1_3genE0ELNS1_11target_archE4294967295ELNS1_3gpuE0ELNS1_3repE0EEENS1_30default_config_static_selectorELNS0_4arch9wavefront6targetE1EEEvT1_,comdat
	.protected	_ZN7rocprim17ROCPRIM_400000_NS6detail17trampoline_kernelINS0_14default_configENS1_20scan_config_selectorIiEEZZNS1_9scan_implILNS1_25lookback_scan_determinismE0ELb0ELb0ES3_N6thrust23THRUST_200600_302600_NS10device_ptrIiEESB_iNS9_4plusIvEEiEEDaPvRmT3_T4_T5_mT6_P12ihipStream_tbENKUlT_T0_E_clISt17integral_constantIbLb0EESR_EEDaSM_SN_EUlSM_E_NS1_11comp_targetILNS1_3genE0ELNS1_11target_archE4294967295ELNS1_3gpuE0ELNS1_3repE0EEENS1_30default_config_static_selectorELNS0_4arch9wavefront6targetE1EEEvT1_ ; -- Begin function _ZN7rocprim17ROCPRIM_400000_NS6detail17trampoline_kernelINS0_14default_configENS1_20scan_config_selectorIiEEZZNS1_9scan_implILNS1_25lookback_scan_determinismE0ELb0ELb0ES3_N6thrust23THRUST_200600_302600_NS10device_ptrIiEESB_iNS9_4plusIvEEiEEDaPvRmT3_T4_T5_mT6_P12ihipStream_tbENKUlT_T0_E_clISt17integral_constantIbLb0EESR_EEDaSM_SN_EUlSM_E_NS1_11comp_targetILNS1_3genE0ELNS1_11target_archE4294967295ELNS1_3gpuE0ELNS1_3repE0EEENS1_30default_config_static_selectorELNS0_4arch9wavefront6targetE1EEEvT1_
	.globl	_ZN7rocprim17ROCPRIM_400000_NS6detail17trampoline_kernelINS0_14default_configENS1_20scan_config_selectorIiEEZZNS1_9scan_implILNS1_25lookback_scan_determinismE0ELb0ELb0ES3_N6thrust23THRUST_200600_302600_NS10device_ptrIiEESB_iNS9_4plusIvEEiEEDaPvRmT3_T4_T5_mT6_P12ihipStream_tbENKUlT_T0_E_clISt17integral_constantIbLb0EESR_EEDaSM_SN_EUlSM_E_NS1_11comp_targetILNS1_3genE0ELNS1_11target_archE4294967295ELNS1_3gpuE0ELNS1_3repE0EEENS1_30default_config_static_selectorELNS0_4arch9wavefront6targetE1EEEvT1_
	.p2align	8
	.type	_ZN7rocprim17ROCPRIM_400000_NS6detail17trampoline_kernelINS0_14default_configENS1_20scan_config_selectorIiEEZZNS1_9scan_implILNS1_25lookback_scan_determinismE0ELb0ELb0ES3_N6thrust23THRUST_200600_302600_NS10device_ptrIiEESB_iNS9_4plusIvEEiEEDaPvRmT3_T4_T5_mT6_P12ihipStream_tbENKUlT_T0_E_clISt17integral_constantIbLb0EESR_EEDaSM_SN_EUlSM_E_NS1_11comp_targetILNS1_3genE0ELNS1_11target_archE4294967295ELNS1_3gpuE0ELNS1_3repE0EEENS1_30default_config_static_selectorELNS0_4arch9wavefront6targetE1EEEvT1_,@function
_ZN7rocprim17ROCPRIM_400000_NS6detail17trampoline_kernelINS0_14default_configENS1_20scan_config_selectorIiEEZZNS1_9scan_implILNS1_25lookback_scan_determinismE0ELb0ELb0ES3_N6thrust23THRUST_200600_302600_NS10device_ptrIiEESB_iNS9_4plusIvEEiEEDaPvRmT3_T4_T5_mT6_P12ihipStream_tbENKUlT_T0_E_clISt17integral_constantIbLb0EESR_EEDaSM_SN_EUlSM_E_NS1_11comp_targetILNS1_3genE0ELNS1_11target_archE4294967295ELNS1_3gpuE0ELNS1_3repE0EEENS1_30default_config_static_selectorELNS0_4arch9wavefront6targetE1EEEvT1_: ; @_ZN7rocprim17ROCPRIM_400000_NS6detail17trampoline_kernelINS0_14default_configENS1_20scan_config_selectorIiEEZZNS1_9scan_implILNS1_25lookback_scan_determinismE0ELb0ELb0ES3_N6thrust23THRUST_200600_302600_NS10device_ptrIiEESB_iNS9_4plusIvEEiEEDaPvRmT3_T4_T5_mT6_P12ihipStream_tbENKUlT_T0_E_clISt17integral_constantIbLb0EESR_EEDaSM_SN_EUlSM_E_NS1_11comp_targetILNS1_3genE0ELNS1_11target_archE4294967295ELNS1_3gpuE0ELNS1_3repE0EEENS1_30default_config_static_selectorELNS0_4arch9wavefront6targetE1EEEvT1_
; %bb.0:
	.section	.rodata,"a",@progbits
	.p2align	6, 0x0
	.amdhsa_kernel _ZN7rocprim17ROCPRIM_400000_NS6detail17trampoline_kernelINS0_14default_configENS1_20scan_config_selectorIiEEZZNS1_9scan_implILNS1_25lookback_scan_determinismE0ELb0ELb0ES3_N6thrust23THRUST_200600_302600_NS10device_ptrIiEESB_iNS9_4plusIvEEiEEDaPvRmT3_T4_T5_mT6_P12ihipStream_tbENKUlT_T0_E_clISt17integral_constantIbLb0EESR_EEDaSM_SN_EUlSM_E_NS1_11comp_targetILNS1_3genE0ELNS1_11target_archE4294967295ELNS1_3gpuE0ELNS1_3repE0EEENS1_30default_config_static_selectorELNS0_4arch9wavefront6targetE1EEEvT1_
		.amdhsa_group_segment_fixed_size 0
		.amdhsa_private_segment_fixed_size 0
		.amdhsa_kernarg_size 96
		.amdhsa_user_sgpr_count 6
		.amdhsa_user_sgpr_private_segment_buffer 1
		.amdhsa_user_sgpr_dispatch_ptr 0
		.amdhsa_user_sgpr_queue_ptr 0
		.amdhsa_user_sgpr_kernarg_segment_ptr 1
		.amdhsa_user_sgpr_dispatch_id 0
		.amdhsa_user_sgpr_flat_scratch_init 0
		.amdhsa_user_sgpr_kernarg_preload_length 0
		.amdhsa_user_sgpr_kernarg_preload_offset 0
		.amdhsa_user_sgpr_private_segment_size 0
		.amdhsa_uses_dynamic_stack 0
		.amdhsa_system_sgpr_private_segment_wavefront_offset 0
		.amdhsa_system_sgpr_workgroup_id_x 1
		.amdhsa_system_sgpr_workgroup_id_y 0
		.amdhsa_system_sgpr_workgroup_id_z 0
		.amdhsa_system_sgpr_workgroup_info 0
		.amdhsa_system_vgpr_workitem_id 0
		.amdhsa_next_free_vgpr 1
		.amdhsa_next_free_sgpr 0
		.amdhsa_accum_offset 4
		.amdhsa_reserve_vcc 0
		.amdhsa_reserve_flat_scratch 0
		.amdhsa_float_round_mode_32 0
		.amdhsa_float_round_mode_16_64 0
		.amdhsa_float_denorm_mode_32 3
		.amdhsa_float_denorm_mode_16_64 3
		.amdhsa_dx10_clamp 1
		.amdhsa_ieee_mode 1
		.amdhsa_fp16_overflow 0
		.amdhsa_tg_split 0
		.amdhsa_exception_fp_ieee_invalid_op 0
		.amdhsa_exception_fp_denorm_src 0
		.amdhsa_exception_fp_ieee_div_zero 0
		.amdhsa_exception_fp_ieee_overflow 0
		.amdhsa_exception_fp_ieee_underflow 0
		.amdhsa_exception_fp_ieee_inexact 0
		.amdhsa_exception_int_div_zero 0
	.end_amdhsa_kernel
	.section	.text._ZN7rocprim17ROCPRIM_400000_NS6detail17trampoline_kernelINS0_14default_configENS1_20scan_config_selectorIiEEZZNS1_9scan_implILNS1_25lookback_scan_determinismE0ELb0ELb0ES3_N6thrust23THRUST_200600_302600_NS10device_ptrIiEESB_iNS9_4plusIvEEiEEDaPvRmT3_T4_T5_mT6_P12ihipStream_tbENKUlT_T0_E_clISt17integral_constantIbLb0EESR_EEDaSM_SN_EUlSM_E_NS1_11comp_targetILNS1_3genE0ELNS1_11target_archE4294967295ELNS1_3gpuE0ELNS1_3repE0EEENS1_30default_config_static_selectorELNS0_4arch9wavefront6targetE1EEEvT1_,"axG",@progbits,_ZN7rocprim17ROCPRIM_400000_NS6detail17trampoline_kernelINS0_14default_configENS1_20scan_config_selectorIiEEZZNS1_9scan_implILNS1_25lookback_scan_determinismE0ELb0ELb0ES3_N6thrust23THRUST_200600_302600_NS10device_ptrIiEESB_iNS9_4plusIvEEiEEDaPvRmT3_T4_T5_mT6_P12ihipStream_tbENKUlT_T0_E_clISt17integral_constantIbLb0EESR_EEDaSM_SN_EUlSM_E_NS1_11comp_targetILNS1_3genE0ELNS1_11target_archE4294967295ELNS1_3gpuE0ELNS1_3repE0EEENS1_30default_config_static_selectorELNS0_4arch9wavefront6targetE1EEEvT1_,comdat
.Lfunc_end6750:
	.size	_ZN7rocprim17ROCPRIM_400000_NS6detail17trampoline_kernelINS0_14default_configENS1_20scan_config_selectorIiEEZZNS1_9scan_implILNS1_25lookback_scan_determinismE0ELb0ELb0ES3_N6thrust23THRUST_200600_302600_NS10device_ptrIiEESB_iNS9_4plusIvEEiEEDaPvRmT3_T4_T5_mT6_P12ihipStream_tbENKUlT_T0_E_clISt17integral_constantIbLb0EESR_EEDaSM_SN_EUlSM_E_NS1_11comp_targetILNS1_3genE0ELNS1_11target_archE4294967295ELNS1_3gpuE0ELNS1_3repE0EEENS1_30default_config_static_selectorELNS0_4arch9wavefront6targetE1EEEvT1_, .Lfunc_end6750-_ZN7rocprim17ROCPRIM_400000_NS6detail17trampoline_kernelINS0_14default_configENS1_20scan_config_selectorIiEEZZNS1_9scan_implILNS1_25lookback_scan_determinismE0ELb0ELb0ES3_N6thrust23THRUST_200600_302600_NS10device_ptrIiEESB_iNS9_4plusIvEEiEEDaPvRmT3_T4_T5_mT6_P12ihipStream_tbENKUlT_T0_E_clISt17integral_constantIbLb0EESR_EEDaSM_SN_EUlSM_E_NS1_11comp_targetILNS1_3genE0ELNS1_11target_archE4294967295ELNS1_3gpuE0ELNS1_3repE0EEENS1_30default_config_static_selectorELNS0_4arch9wavefront6targetE1EEEvT1_
                                        ; -- End function
	.section	.AMDGPU.csdata,"",@progbits
; Kernel info:
; codeLenInByte = 0
; NumSgprs: 4
; NumVgprs: 0
; NumAgprs: 0
; TotalNumVgprs: 0
; ScratchSize: 0
; MemoryBound: 0
; FloatMode: 240
; IeeeMode: 1
; LDSByteSize: 0 bytes/workgroup (compile time only)
; SGPRBlocks: 0
; VGPRBlocks: 0
; NumSGPRsForWavesPerEU: 4
; NumVGPRsForWavesPerEU: 1
; AccumOffset: 4
; Occupancy: 8
; WaveLimiterHint : 0
; COMPUTE_PGM_RSRC2:SCRATCH_EN: 0
; COMPUTE_PGM_RSRC2:USER_SGPR: 6
; COMPUTE_PGM_RSRC2:TRAP_HANDLER: 0
; COMPUTE_PGM_RSRC2:TGID_X_EN: 1
; COMPUTE_PGM_RSRC2:TGID_Y_EN: 0
; COMPUTE_PGM_RSRC2:TGID_Z_EN: 0
; COMPUTE_PGM_RSRC2:TIDIG_COMP_CNT: 0
; COMPUTE_PGM_RSRC3_GFX90A:ACCUM_OFFSET: 0
; COMPUTE_PGM_RSRC3_GFX90A:TG_SPLIT: 0
	.section	.text._ZN7rocprim17ROCPRIM_400000_NS6detail17trampoline_kernelINS0_14default_configENS1_20scan_config_selectorIiEEZZNS1_9scan_implILNS1_25lookback_scan_determinismE0ELb0ELb0ES3_N6thrust23THRUST_200600_302600_NS10device_ptrIiEESB_iNS9_4plusIvEEiEEDaPvRmT3_T4_T5_mT6_P12ihipStream_tbENKUlT_T0_E_clISt17integral_constantIbLb0EESR_EEDaSM_SN_EUlSM_E_NS1_11comp_targetILNS1_3genE5ELNS1_11target_archE942ELNS1_3gpuE9ELNS1_3repE0EEENS1_30default_config_static_selectorELNS0_4arch9wavefront6targetE1EEEvT1_,"axG",@progbits,_ZN7rocprim17ROCPRIM_400000_NS6detail17trampoline_kernelINS0_14default_configENS1_20scan_config_selectorIiEEZZNS1_9scan_implILNS1_25lookback_scan_determinismE0ELb0ELb0ES3_N6thrust23THRUST_200600_302600_NS10device_ptrIiEESB_iNS9_4plusIvEEiEEDaPvRmT3_T4_T5_mT6_P12ihipStream_tbENKUlT_T0_E_clISt17integral_constantIbLb0EESR_EEDaSM_SN_EUlSM_E_NS1_11comp_targetILNS1_3genE5ELNS1_11target_archE942ELNS1_3gpuE9ELNS1_3repE0EEENS1_30default_config_static_selectorELNS0_4arch9wavefront6targetE1EEEvT1_,comdat
	.protected	_ZN7rocprim17ROCPRIM_400000_NS6detail17trampoline_kernelINS0_14default_configENS1_20scan_config_selectorIiEEZZNS1_9scan_implILNS1_25lookback_scan_determinismE0ELb0ELb0ES3_N6thrust23THRUST_200600_302600_NS10device_ptrIiEESB_iNS9_4plusIvEEiEEDaPvRmT3_T4_T5_mT6_P12ihipStream_tbENKUlT_T0_E_clISt17integral_constantIbLb0EESR_EEDaSM_SN_EUlSM_E_NS1_11comp_targetILNS1_3genE5ELNS1_11target_archE942ELNS1_3gpuE9ELNS1_3repE0EEENS1_30default_config_static_selectorELNS0_4arch9wavefront6targetE1EEEvT1_ ; -- Begin function _ZN7rocprim17ROCPRIM_400000_NS6detail17trampoline_kernelINS0_14default_configENS1_20scan_config_selectorIiEEZZNS1_9scan_implILNS1_25lookback_scan_determinismE0ELb0ELb0ES3_N6thrust23THRUST_200600_302600_NS10device_ptrIiEESB_iNS9_4plusIvEEiEEDaPvRmT3_T4_T5_mT6_P12ihipStream_tbENKUlT_T0_E_clISt17integral_constantIbLb0EESR_EEDaSM_SN_EUlSM_E_NS1_11comp_targetILNS1_3genE5ELNS1_11target_archE942ELNS1_3gpuE9ELNS1_3repE0EEENS1_30default_config_static_selectorELNS0_4arch9wavefront6targetE1EEEvT1_
	.globl	_ZN7rocprim17ROCPRIM_400000_NS6detail17trampoline_kernelINS0_14default_configENS1_20scan_config_selectorIiEEZZNS1_9scan_implILNS1_25lookback_scan_determinismE0ELb0ELb0ES3_N6thrust23THRUST_200600_302600_NS10device_ptrIiEESB_iNS9_4plusIvEEiEEDaPvRmT3_T4_T5_mT6_P12ihipStream_tbENKUlT_T0_E_clISt17integral_constantIbLb0EESR_EEDaSM_SN_EUlSM_E_NS1_11comp_targetILNS1_3genE5ELNS1_11target_archE942ELNS1_3gpuE9ELNS1_3repE0EEENS1_30default_config_static_selectorELNS0_4arch9wavefront6targetE1EEEvT1_
	.p2align	8
	.type	_ZN7rocprim17ROCPRIM_400000_NS6detail17trampoline_kernelINS0_14default_configENS1_20scan_config_selectorIiEEZZNS1_9scan_implILNS1_25lookback_scan_determinismE0ELb0ELb0ES3_N6thrust23THRUST_200600_302600_NS10device_ptrIiEESB_iNS9_4plusIvEEiEEDaPvRmT3_T4_T5_mT6_P12ihipStream_tbENKUlT_T0_E_clISt17integral_constantIbLb0EESR_EEDaSM_SN_EUlSM_E_NS1_11comp_targetILNS1_3genE5ELNS1_11target_archE942ELNS1_3gpuE9ELNS1_3repE0EEENS1_30default_config_static_selectorELNS0_4arch9wavefront6targetE1EEEvT1_,@function
_ZN7rocprim17ROCPRIM_400000_NS6detail17trampoline_kernelINS0_14default_configENS1_20scan_config_selectorIiEEZZNS1_9scan_implILNS1_25lookback_scan_determinismE0ELb0ELb0ES3_N6thrust23THRUST_200600_302600_NS10device_ptrIiEESB_iNS9_4plusIvEEiEEDaPvRmT3_T4_T5_mT6_P12ihipStream_tbENKUlT_T0_E_clISt17integral_constantIbLb0EESR_EEDaSM_SN_EUlSM_E_NS1_11comp_targetILNS1_3genE5ELNS1_11target_archE942ELNS1_3gpuE9ELNS1_3repE0EEENS1_30default_config_static_selectorELNS0_4arch9wavefront6targetE1EEEvT1_: ; @_ZN7rocprim17ROCPRIM_400000_NS6detail17trampoline_kernelINS0_14default_configENS1_20scan_config_selectorIiEEZZNS1_9scan_implILNS1_25lookback_scan_determinismE0ELb0ELb0ES3_N6thrust23THRUST_200600_302600_NS10device_ptrIiEESB_iNS9_4plusIvEEiEEDaPvRmT3_T4_T5_mT6_P12ihipStream_tbENKUlT_T0_E_clISt17integral_constantIbLb0EESR_EEDaSM_SN_EUlSM_E_NS1_11comp_targetILNS1_3genE5ELNS1_11target_archE942ELNS1_3gpuE9ELNS1_3repE0EEENS1_30default_config_static_selectorELNS0_4arch9wavefront6targetE1EEEvT1_
; %bb.0:
	.section	.rodata,"a",@progbits
	.p2align	6, 0x0
	.amdhsa_kernel _ZN7rocprim17ROCPRIM_400000_NS6detail17trampoline_kernelINS0_14default_configENS1_20scan_config_selectorIiEEZZNS1_9scan_implILNS1_25lookback_scan_determinismE0ELb0ELb0ES3_N6thrust23THRUST_200600_302600_NS10device_ptrIiEESB_iNS9_4plusIvEEiEEDaPvRmT3_T4_T5_mT6_P12ihipStream_tbENKUlT_T0_E_clISt17integral_constantIbLb0EESR_EEDaSM_SN_EUlSM_E_NS1_11comp_targetILNS1_3genE5ELNS1_11target_archE942ELNS1_3gpuE9ELNS1_3repE0EEENS1_30default_config_static_selectorELNS0_4arch9wavefront6targetE1EEEvT1_
		.amdhsa_group_segment_fixed_size 0
		.amdhsa_private_segment_fixed_size 0
		.amdhsa_kernarg_size 96
		.amdhsa_user_sgpr_count 6
		.amdhsa_user_sgpr_private_segment_buffer 1
		.amdhsa_user_sgpr_dispatch_ptr 0
		.amdhsa_user_sgpr_queue_ptr 0
		.amdhsa_user_sgpr_kernarg_segment_ptr 1
		.amdhsa_user_sgpr_dispatch_id 0
		.amdhsa_user_sgpr_flat_scratch_init 0
		.amdhsa_user_sgpr_kernarg_preload_length 0
		.amdhsa_user_sgpr_kernarg_preload_offset 0
		.amdhsa_user_sgpr_private_segment_size 0
		.amdhsa_uses_dynamic_stack 0
		.amdhsa_system_sgpr_private_segment_wavefront_offset 0
		.amdhsa_system_sgpr_workgroup_id_x 1
		.amdhsa_system_sgpr_workgroup_id_y 0
		.amdhsa_system_sgpr_workgroup_id_z 0
		.amdhsa_system_sgpr_workgroup_info 0
		.amdhsa_system_vgpr_workitem_id 0
		.amdhsa_next_free_vgpr 1
		.amdhsa_next_free_sgpr 0
		.amdhsa_accum_offset 4
		.amdhsa_reserve_vcc 0
		.amdhsa_reserve_flat_scratch 0
		.amdhsa_float_round_mode_32 0
		.amdhsa_float_round_mode_16_64 0
		.amdhsa_float_denorm_mode_32 3
		.amdhsa_float_denorm_mode_16_64 3
		.amdhsa_dx10_clamp 1
		.amdhsa_ieee_mode 1
		.amdhsa_fp16_overflow 0
		.amdhsa_tg_split 0
		.amdhsa_exception_fp_ieee_invalid_op 0
		.amdhsa_exception_fp_denorm_src 0
		.amdhsa_exception_fp_ieee_div_zero 0
		.amdhsa_exception_fp_ieee_overflow 0
		.amdhsa_exception_fp_ieee_underflow 0
		.amdhsa_exception_fp_ieee_inexact 0
		.amdhsa_exception_int_div_zero 0
	.end_amdhsa_kernel
	.section	.text._ZN7rocprim17ROCPRIM_400000_NS6detail17trampoline_kernelINS0_14default_configENS1_20scan_config_selectorIiEEZZNS1_9scan_implILNS1_25lookback_scan_determinismE0ELb0ELb0ES3_N6thrust23THRUST_200600_302600_NS10device_ptrIiEESB_iNS9_4plusIvEEiEEDaPvRmT3_T4_T5_mT6_P12ihipStream_tbENKUlT_T0_E_clISt17integral_constantIbLb0EESR_EEDaSM_SN_EUlSM_E_NS1_11comp_targetILNS1_3genE5ELNS1_11target_archE942ELNS1_3gpuE9ELNS1_3repE0EEENS1_30default_config_static_selectorELNS0_4arch9wavefront6targetE1EEEvT1_,"axG",@progbits,_ZN7rocprim17ROCPRIM_400000_NS6detail17trampoline_kernelINS0_14default_configENS1_20scan_config_selectorIiEEZZNS1_9scan_implILNS1_25lookback_scan_determinismE0ELb0ELb0ES3_N6thrust23THRUST_200600_302600_NS10device_ptrIiEESB_iNS9_4plusIvEEiEEDaPvRmT3_T4_T5_mT6_P12ihipStream_tbENKUlT_T0_E_clISt17integral_constantIbLb0EESR_EEDaSM_SN_EUlSM_E_NS1_11comp_targetILNS1_3genE5ELNS1_11target_archE942ELNS1_3gpuE9ELNS1_3repE0EEENS1_30default_config_static_selectorELNS0_4arch9wavefront6targetE1EEEvT1_,comdat
.Lfunc_end6751:
	.size	_ZN7rocprim17ROCPRIM_400000_NS6detail17trampoline_kernelINS0_14default_configENS1_20scan_config_selectorIiEEZZNS1_9scan_implILNS1_25lookback_scan_determinismE0ELb0ELb0ES3_N6thrust23THRUST_200600_302600_NS10device_ptrIiEESB_iNS9_4plusIvEEiEEDaPvRmT3_T4_T5_mT6_P12ihipStream_tbENKUlT_T0_E_clISt17integral_constantIbLb0EESR_EEDaSM_SN_EUlSM_E_NS1_11comp_targetILNS1_3genE5ELNS1_11target_archE942ELNS1_3gpuE9ELNS1_3repE0EEENS1_30default_config_static_selectorELNS0_4arch9wavefront6targetE1EEEvT1_, .Lfunc_end6751-_ZN7rocprim17ROCPRIM_400000_NS6detail17trampoline_kernelINS0_14default_configENS1_20scan_config_selectorIiEEZZNS1_9scan_implILNS1_25lookback_scan_determinismE0ELb0ELb0ES3_N6thrust23THRUST_200600_302600_NS10device_ptrIiEESB_iNS9_4plusIvEEiEEDaPvRmT3_T4_T5_mT6_P12ihipStream_tbENKUlT_T0_E_clISt17integral_constantIbLb0EESR_EEDaSM_SN_EUlSM_E_NS1_11comp_targetILNS1_3genE5ELNS1_11target_archE942ELNS1_3gpuE9ELNS1_3repE0EEENS1_30default_config_static_selectorELNS0_4arch9wavefront6targetE1EEEvT1_
                                        ; -- End function
	.section	.AMDGPU.csdata,"",@progbits
; Kernel info:
; codeLenInByte = 0
; NumSgprs: 4
; NumVgprs: 0
; NumAgprs: 0
; TotalNumVgprs: 0
; ScratchSize: 0
; MemoryBound: 0
; FloatMode: 240
; IeeeMode: 1
; LDSByteSize: 0 bytes/workgroup (compile time only)
; SGPRBlocks: 0
; VGPRBlocks: 0
; NumSGPRsForWavesPerEU: 4
; NumVGPRsForWavesPerEU: 1
; AccumOffset: 4
; Occupancy: 8
; WaveLimiterHint : 0
; COMPUTE_PGM_RSRC2:SCRATCH_EN: 0
; COMPUTE_PGM_RSRC2:USER_SGPR: 6
; COMPUTE_PGM_RSRC2:TRAP_HANDLER: 0
; COMPUTE_PGM_RSRC2:TGID_X_EN: 1
; COMPUTE_PGM_RSRC2:TGID_Y_EN: 0
; COMPUTE_PGM_RSRC2:TGID_Z_EN: 0
; COMPUTE_PGM_RSRC2:TIDIG_COMP_CNT: 0
; COMPUTE_PGM_RSRC3_GFX90A:ACCUM_OFFSET: 0
; COMPUTE_PGM_RSRC3_GFX90A:TG_SPLIT: 0
	.section	.text._ZN7rocprim17ROCPRIM_400000_NS6detail17trampoline_kernelINS0_14default_configENS1_20scan_config_selectorIiEEZZNS1_9scan_implILNS1_25lookback_scan_determinismE0ELb0ELb0ES3_N6thrust23THRUST_200600_302600_NS10device_ptrIiEESB_iNS9_4plusIvEEiEEDaPvRmT3_T4_T5_mT6_P12ihipStream_tbENKUlT_T0_E_clISt17integral_constantIbLb0EESR_EEDaSM_SN_EUlSM_E_NS1_11comp_targetILNS1_3genE4ELNS1_11target_archE910ELNS1_3gpuE8ELNS1_3repE0EEENS1_30default_config_static_selectorELNS0_4arch9wavefront6targetE1EEEvT1_,"axG",@progbits,_ZN7rocprim17ROCPRIM_400000_NS6detail17trampoline_kernelINS0_14default_configENS1_20scan_config_selectorIiEEZZNS1_9scan_implILNS1_25lookback_scan_determinismE0ELb0ELb0ES3_N6thrust23THRUST_200600_302600_NS10device_ptrIiEESB_iNS9_4plusIvEEiEEDaPvRmT3_T4_T5_mT6_P12ihipStream_tbENKUlT_T0_E_clISt17integral_constantIbLb0EESR_EEDaSM_SN_EUlSM_E_NS1_11comp_targetILNS1_3genE4ELNS1_11target_archE910ELNS1_3gpuE8ELNS1_3repE0EEENS1_30default_config_static_selectorELNS0_4arch9wavefront6targetE1EEEvT1_,comdat
	.protected	_ZN7rocprim17ROCPRIM_400000_NS6detail17trampoline_kernelINS0_14default_configENS1_20scan_config_selectorIiEEZZNS1_9scan_implILNS1_25lookback_scan_determinismE0ELb0ELb0ES3_N6thrust23THRUST_200600_302600_NS10device_ptrIiEESB_iNS9_4plusIvEEiEEDaPvRmT3_T4_T5_mT6_P12ihipStream_tbENKUlT_T0_E_clISt17integral_constantIbLb0EESR_EEDaSM_SN_EUlSM_E_NS1_11comp_targetILNS1_3genE4ELNS1_11target_archE910ELNS1_3gpuE8ELNS1_3repE0EEENS1_30default_config_static_selectorELNS0_4arch9wavefront6targetE1EEEvT1_ ; -- Begin function _ZN7rocprim17ROCPRIM_400000_NS6detail17trampoline_kernelINS0_14default_configENS1_20scan_config_selectorIiEEZZNS1_9scan_implILNS1_25lookback_scan_determinismE0ELb0ELb0ES3_N6thrust23THRUST_200600_302600_NS10device_ptrIiEESB_iNS9_4plusIvEEiEEDaPvRmT3_T4_T5_mT6_P12ihipStream_tbENKUlT_T0_E_clISt17integral_constantIbLb0EESR_EEDaSM_SN_EUlSM_E_NS1_11comp_targetILNS1_3genE4ELNS1_11target_archE910ELNS1_3gpuE8ELNS1_3repE0EEENS1_30default_config_static_selectorELNS0_4arch9wavefront6targetE1EEEvT1_
	.globl	_ZN7rocprim17ROCPRIM_400000_NS6detail17trampoline_kernelINS0_14default_configENS1_20scan_config_selectorIiEEZZNS1_9scan_implILNS1_25lookback_scan_determinismE0ELb0ELb0ES3_N6thrust23THRUST_200600_302600_NS10device_ptrIiEESB_iNS9_4plusIvEEiEEDaPvRmT3_T4_T5_mT6_P12ihipStream_tbENKUlT_T0_E_clISt17integral_constantIbLb0EESR_EEDaSM_SN_EUlSM_E_NS1_11comp_targetILNS1_3genE4ELNS1_11target_archE910ELNS1_3gpuE8ELNS1_3repE0EEENS1_30default_config_static_selectorELNS0_4arch9wavefront6targetE1EEEvT1_
	.p2align	8
	.type	_ZN7rocprim17ROCPRIM_400000_NS6detail17trampoline_kernelINS0_14default_configENS1_20scan_config_selectorIiEEZZNS1_9scan_implILNS1_25lookback_scan_determinismE0ELb0ELb0ES3_N6thrust23THRUST_200600_302600_NS10device_ptrIiEESB_iNS9_4plusIvEEiEEDaPvRmT3_T4_T5_mT6_P12ihipStream_tbENKUlT_T0_E_clISt17integral_constantIbLb0EESR_EEDaSM_SN_EUlSM_E_NS1_11comp_targetILNS1_3genE4ELNS1_11target_archE910ELNS1_3gpuE8ELNS1_3repE0EEENS1_30default_config_static_selectorELNS0_4arch9wavefront6targetE1EEEvT1_,@function
_ZN7rocprim17ROCPRIM_400000_NS6detail17trampoline_kernelINS0_14default_configENS1_20scan_config_selectorIiEEZZNS1_9scan_implILNS1_25lookback_scan_determinismE0ELb0ELb0ES3_N6thrust23THRUST_200600_302600_NS10device_ptrIiEESB_iNS9_4plusIvEEiEEDaPvRmT3_T4_T5_mT6_P12ihipStream_tbENKUlT_T0_E_clISt17integral_constantIbLb0EESR_EEDaSM_SN_EUlSM_E_NS1_11comp_targetILNS1_3genE4ELNS1_11target_archE910ELNS1_3gpuE8ELNS1_3repE0EEENS1_30default_config_static_selectorELNS0_4arch9wavefront6targetE1EEEvT1_: ; @_ZN7rocprim17ROCPRIM_400000_NS6detail17trampoline_kernelINS0_14default_configENS1_20scan_config_selectorIiEEZZNS1_9scan_implILNS1_25lookback_scan_determinismE0ELb0ELb0ES3_N6thrust23THRUST_200600_302600_NS10device_ptrIiEESB_iNS9_4plusIvEEiEEDaPvRmT3_T4_T5_mT6_P12ihipStream_tbENKUlT_T0_E_clISt17integral_constantIbLb0EESR_EEDaSM_SN_EUlSM_E_NS1_11comp_targetILNS1_3genE4ELNS1_11target_archE910ELNS1_3gpuE8ELNS1_3repE0EEENS1_30default_config_static_selectorELNS0_4arch9wavefront6targetE1EEEvT1_
; %bb.0:
	s_load_dwordx8 s[8:15], s[4:5], 0x0
	s_load_dword s1, s[4:5], 0x30
	s_mul_i32 s0, s6, 0x500
	v_lshlrev_b32_e32 v22, 2, v0
	s_waitcnt lgkmcnt(0)
	s_lshl_b64 s[16:17], s[10:11], 2
	s_add_u32 s2, s8, s16
	s_addc_u32 s3, s9, s17
	s_add_i32 s7, s1, -1
	s_mul_i32 s8, s7, 0x500
	s_sub_u32 s24, s14, s8
	s_subb_u32 s25, s15, 0
	s_mov_b32 s1, 0
	s_cmp_lg_u32 s6, s7
	s_cselect_b64 s[14:15], -1, 0
	s_lshl_b64 s[18:19], s[0:1], 2
	s_add_u32 s2, s2, s18
	s_addc_u32 s3, s3, s19
	s_mov_b64 s[0:1], -1
	s_and_b64 vcc, exec, s[14:15]
	s_cbranch_vccz .LBB6752_2
; %bb.1:
	v_mov_b32_e32 v1, s3
	v_add_co_u32_e32 v2, vcc, s2, v22
	v_addc_co_u32_e32 v3, vcc, 0, v1, vcc
	flat_load_dword v1, v[2:3]
	flat_load_dword v4, v[2:3] offset:512
	flat_load_dword v5, v[2:3] offset:1024
	;; [unrolled: 1-line block ×7, first 2 shown]
	v_add_co_u32_e32 v2, vcc, 0x1000, v2
	v_addc_co_u32_e32 v3, vcc, 0, v3, vcc
	flat_load_dword v11, v[2:3]
	flat_load_dword v12, v[2:3] offset:512
	s_mov_b64 s[0:1], 0
	s_waitcnt vmcnt(0) lgkmcnt(0)
	ds_write2st64_b32 v22, v1, v4 offset1:2
	ds_write2st64_b32 v22, v5, v6 offset0:4 offset1:6
	ds_write2st64_b32 v22, v7, v8 offset0:8 offset1:10
	;; [unrolled: 1-line block ×4, first 2 shown]
	s_waitcnt lgkmcnt(0)
	s_barrier
.LBB6752_2:
	s_load_dwordx2 s[20:21], s[4:5], 0x28
	s_andn2_b64 vcc, exec, s[0:1]
	v_cmp_gt_u32_e64 s[0:1], s24, v0
	s_cbranch_vccnz .LBB6752_24
; %bb.3:
	v_pk_mov_b32 v[2:3], s[2:3], s[2:3] op_sel:[0,1]
	flat_load_dword v1, v[2:3]
	s_waitcnt vmcnt(0) lgkmcnt(0)
	v_mov_b32_e32 v2, v1
	v_mov_b32_e32 v3, v1
	;; [unrolled: 1-line block ×9, first 2 shown]
	s_and_saveexec_b64 s[8:9], s[0:1]
	s_cbranch_execz .LBB6752_5
; %bb.4:
	v_mov_b32_e32 v11, s3
	v_add_co_u32_e32 v10, vcc, s2, v22
	v_addc_co_u32_e32 v11, vcc, 0, v11, vcc
	flat_load_dword v10, v[10:11]
.LBB6752_5:
	s_or_b64 exec, exec, s[8:9]
	v_or_b32_e32 v11, 0x80, v0
	v_cmp_gt_u32_e32 vcc, s24, v11
	s_and_saveexec_b64 s[0:1], vcc
	s_cbranch_execz .LBB6752_7
; %bb.6:
	v_mov_b32_e32 v1, s3
	v_add_co_u32_e32 v12, vcc, s2, v22
	v_addc_co_u32_e32 v13, vcc, 0, v1, vcc
	flat_load_dword v1, v[12:13] offset:512
.LBB6752_7:
	s_or_b64 exec, exec, s[0:1]
	v_or_b32_e32 v11, 0x100, v0
	v_cmp_gt_u32_e32 vcc, s24, v11
	s_and_saveexec_b64 s[0:1], vcc
	s_cbranch_execz .LBB6752_9
; %bb.8:
	v_mov_b32_e32 v2, s3
	v_add_co_u32_e32 v12, vcc, s2, v22
	v_addc_co_u32_e32 v13, vcc, 0, v2, vcc
	flat_load_dword v2, v[12:13] offset:1024
.LBB6752_9:
	;; [unrolled: 11-line block ×7, first 2 shown]
	s_or_b64 exec, exec, s[0:1]
	v_or_b32_e32 v11, 0x400, v0
	v_cmp_gt_u32_e32 vcc, s24, v11
	s_and_saveexec_b64 s[0:1], vcc
	s_cbranch_execz .LBB6752_21
; %bb.20:
	v_lshlrev_b32_e32 v8, 2, v11
	v_mov_b32_e32 v11, s3
	v_add_co_u32_e32 v12, vcc, s2, v8
	v_addc_co_u32_e32 v13, vcc, 0, v11, vcc
	flat_load_dword v8, v[12:13]
.LBB6752_21:
	s_or_b64 exec, exec, s[0:1]
	v_or_b32_e32 v11, 0x480, v0
	v_cmp_gt_u32_e32 vcc, s24, v11
	s_and_saveexec_b64 s[0:1], vcc
	s_cbranch_execz .LBB6752_23
; %bb.22:
	v_lshlrev_b32_e32 v9, 2, v11
	v_mov_b32_e32 v11, s3
	v_add_co_u32_e32 v12, vcc, s2, v9
	v_addc_co_u32_e32 v13, vcc, 0, v11, vcc
	flat_load_dword v9, v[12:13]
.LBB6752_23:
	s_or_b64 exec, exec, s[0:1]
	s_waitcnt vmcnt(0) lgkmcnt(0)
	ds_write2st64_b32 v22, v10, v1 offset1:2
	ds_write2st64_b32 v22, v2, v3 offset0:4 offset1:6
	ds_write2st64_b32 v22, v4, v5 offset0:8 offset1:10
	;; [unrolled: 1-line block ×4, first 2 shown]
	s_waitcnt lgkmcnt(0)
	s_barrier
.LBB6752_24:
	v_mul_u32_u24_e32 v23, 10, v0
	v_lshlrev_b32_e32 v1, 2, v23
	s_waitcnt lgkmcnt(0)
	ds_read2_b64 v[2:5], v1 offset1:1
	ds_read2_b64 v[16:19], v1 offset0:2 offset1:3
	ds_read_b64 v[20:21], v1 offset:32
	s_cmp_lg_u32 s6, 0
	v_lshrrev_b32_e32 v24, 5, v0
	v_cmp_gt_u32_e32 vcc, 64, v0
	s_waitcnt lgkmcnt(0)
	s_barrier
	s_cbranch_scc0 .LBB6752_49
; %bb.25:
	v_add_u32_e32 v6, v3, v2
	v_add3_u32 v6, v6, v4, v5
	v_add3_u32 v6, v6, v16, v17
	;; [unrolled: 1-line block ×4, first 2 shown]
	v_add_lshl_u32 v7, v24, v0, 2
	ds_write_b32 v7, v6
	s_waitcnt lgkmcnt(0)
	s_barrier
	s_and_saveexec_b64 s[2:3], vcc
	s_cbranch_execz .LBB6752_27
; %bb.26:
	v_lshlrev_b32_e32 v7, 1, v0
	v_lshrrev_b32_e32 v8, 4, v0
	v_add_lshl_u32 v7, v8, v7, 2
	ds_read2_b32 v[8:9], v7 offset1:1
	v_mbcnt_lo_u32_b32 v10, -1, 0
	v_mbcnt_hi_u32_b32 v10, -1, v10
	v_and_b32_e32 v11, 15, v10
	v_cmp_ne_u32_e64 s[0:1], 0, v11
	s_waitcnt lgkmcnt(0)
	v_add_u32_e32 v9, v9, v8
	; wave barrier
	s_nop 1
	v_mov_b32_dpp v12, v9 row_shr:1 row_mask:0xf bank_mask:0xf
	v_cndmask_b32_e64 v12, 0, v12, s[0:1]
	v_add_u32_e32 v9, v12, v9
	v_cmp_lt_u32_e64 s[0:1], 1, v11
	s_nop 0
	v_mov_b32_dpp v12, v9 row_shr:2 row_mask:0xf bank_mask:0xf
	v_cndmask_b32_e64 v12, 0, v12, s[0:1]
	v_add_u32_e32 v9, v9, v12
	v_cmp_lt_u32_e64 s[0:1], 3, v11
	;; [unrolled: 5-line block ×3, first 2 shown]
	s_nop 0
	v_mov_b32_dpp v12, v9 row_shr:8 row_mask:0xf bank_mask:0xf
	v_cndmask_b32_e64 v11, 0, v12, s[0:1]
	v_add_u32_e32 v9, v9, v11
	v_bfe_i32 v12, v10, 4, 1
	v_cmp_lt_u32_e64 s[0:1], 31, v10
	v_mov_b32_dpp v11, v9 row_bcast:15 row_mask:0xf bank_mask:0xf
	v_and_b32_e32 v11, v12, v11
	v_add_u32_e32 v9, v9, v11
	v_and_b32_e32 v12, 64, v10
	s_nop 0
	v_mov_b32_dpp v11, v9 row_bcast:31 row_mask:0xf bank_mask:0xf
	v_cndmask_b32_e64 v11, 0, v11, s[0:1]
	v_add_u32_e32 v9, v9, v11
	v_add_u32_e32 v11, -1, v10
	v_cmp_lt_i32_e64 s[0:1], v11, v12
	v_cndmask_b32_e64 v10, v11, v10, s[0:1]
	v_lshlrev_b32_e32 v10, 2, v10
	ds_bpermute_b32 v9, v10, v9
	v_cmp_eq_u32_e64 s[0:1], 0, v0
	s_waitcnt lgkmcnt(0)
	v_add_u32_e32 v8, v9, v8
	v_cndmask_b32_e64 v6, v8, v6, s[0:1]
	ds_write_b32 v7, v6
	; wave barrier
	ds_read_b32 v8, v7 offset:4
	s_waitcnt lgkmcnt(0)
	v_add_u32_e32 v6, v8, v6
	ds_write_b32 v7, v6 offset:4
.LBB6752_27:
	s_or_b64 exec, exec, s[2:3]
	v_cmp_eq_u32_e64 s[0:1], 0, v0
	v_cmp_ne_u32_e64 s[2:3], 0, v0
	v_mov_b32_e32 v25, 0
	s_waitcnt lgkmcnt(0)
	s_barrier
	s_and_saveexec_b64 s[8:9], s[2:3]
	s_cbranch_execz .LBB6752_29
; %bb.28:
	v_add_u32_e32 v6, -1, v0
	v_lshrrev_b32_e32 v7, 5, v6
	v_add_lshl_u32 v6, v7, v6, 2
	ds_read_b32 v25, v6
.LBB6752_29:
	s_or_b64 exec, exec, s[8:9]
	s_and_saveexec_b64 s[8:9], vcc
	s_cbranch_execz .LBB6752_48
; %bb.30:
	v_mov_b32_e32 v13, 0
	ds_read_b32 v6, v13 offset:520
	v_mbcnt_lo_u32_b32 v7, -1, 0
	v_mbcnt_hi_u32_b32 v9, -1, v7
	s_mov_b32 s23, 0
	v_cmp_eq_u32_e64 s[2:3], 0, v9
	s_and_saveexec_b64 s[10:11], s[2:3]
	s_cbranch_execz .LBB6752_32
; %bb.31:
	s_add_i32 s22, s6, 64
	s_lshl_b64 s[22:23], s[22:23], 3
	s_add_u32 s22, s20, s22
	v_mov_b32_e32 v7, 1
	s_addc_u32 s23, s21, s23
	s_waitcnt lgkmcnt(0)
	global_store_dwordx2 v13, v[6:7], s[22:23]
.LBB6752_32:
	s_or_b64 exec, exec, s[10:11]
	v_xad_u32 v8, v9, -1, s6
	v_add_u32_e32 v12, 64, v8
	v_lshlrev_b64 v[10:11], 3, v[12:13]
	v_mov_b32_e32 v7, s21
	v_add_co_u32_e32 v14, vcc, s20, v10
	v_addc_co_u32_e32 v15, vcc, v7, v11, vcc
	global_load_dwordx2 v[10:11], v[14:15], off glc
	s_waitcnt vmcnt(0)
	v_cmp_eq_u16_sdwa s[22:23], v11, v13 src0_sel:BYTE_0 src1_sel:DWORD
	s_and_saveexec_b64 s[10:11], s[22:23]
	s_cbranch_execz .LBB6752_36
; %bb.33:
	s_mov_b64 s[22:23], 0
	v_mov_b32_e32 v7, 0
.LBB6752_34:                            ; =>This Inner Loop Header: Depth=1
	global_load_dwordx2 v[10:11], v[14:15], off glc
	s_waitcnt vmcnt(0)
	v_cmp_ne_u16_sdwa s[26:27], v11, v7 src0_sel:BYTE_0 src1_sel:DWORD
	s_or_b64 s[22:23], s[26:27], s[22:23]
	s_andn2_b64 exec, exec, s[22:23]
	s_cbranch_execnz .LBB6752_34
; %bb.35:
	s_or_b64 exec, exec, s[22:23]
.LBB6752_36:
	s_or_b64 exec, exec, s[10:11]
	v_and_b32_e32 v26, 63, v9
	v_mov_b32_e32 v7, 2
	v_cmp_ne_u32_e32 vcc, 63, v26
	v_cmp_eq_u16_sdwa s[10:11], v11, v7 src0_sel:BYTE_0 src1_sel:DWORD
	v_lshlrev_b64 v[12:13], v9, -1
	v_addc_co_u32_e32 v27, vcc, 0, v9, vcc
	v_and_b32_e32 v14, s11, v13
	v_lshlrev_b32_e32 v27, 2, v27
	v_or_b32_e32 v14, 0x80000000, v14
	ds_bpermute_b32 v28, v27, v10
	v_and_b32_e32 v15, s10, v12
	v_ffbl_b32_e32 v14, v14
	v_add_u32_e32 v14, 32, v14
	v_ffbl_b32_e32 v15, v15
	v_min_u32_e32 v14, v15, v14
	v_cmp_lt_u32_e32 vcc, v26, v14
	s_waitcnt lgkmcnt(0)
	v_cndmask_b32_e32 v15, 0, v28, vcc
	v_cmp_gt_u32_e32 vcc, 62, v26
	v_add_u32_e32 v10, v15, v10
	v_cndmask_b32_e64 v15, 0, 1, vcc
	v_lshlrev_b32_e32 v15, 1, v15
	v_add_lshl_u32 v28, v15, v9, 2
	ds_bpermute_b32 v15, v28, v10
	v_add_u32_e32 v29, 2, v26
	v_cmp_le_u32_e32 vcc, v29, v14
	v_add_u32_e32 v31, 4, v26
	v_add_u32_e32 v33, 8, v26
	s_waitcnt lgkmcnt(0)
	v_cndmask_b32_e32 v15, 0, v15, vcc
	v_cmp_gt_u32_e32 vcc, 60, v26
	v_add_u32_e32 v10, v10, v15
	v_cndmask_b32_e64 v15, 0, 1, vcc
	v_lshlrev_b32_e32 v15, 2, v15
	v_add_lshl_u32 v30, v15, v9, 2
	ds_bpermute_b32 v15, v30, v10
	v_cmp_le_u32_e32 vcc, v31, v14
	v_add_u32_e32 v36, 16, v26
	v_add_u32_e32 v38, 32, v26
	s_waitcnt lgkmcnt(0)
	v_cndmask_b32_e32 v15, 0, v15, vcc
	v_cmp_gt_u32_e32 vcc, 56, v26
	v_add_u32_e32 v10, v10, v15
	v_cndmask_b32_e64 v15, 0, 1, vcc
	v_lshlrev_b32_e32 v15, 3, v15
	v_add_lshl_u32 v32, v15, v9, 2
	ds_bpermute_b32 v15, v32, v10
	v_cmp_le_u32_e32 vcc, v33, v14
	s_waitcnt lgkmcnt(0)
	v_cndmask_b32_e32 v15, 0, v15, vcc
	v_cmp_gt_u32_e32 vcc, 48, v26
	v_add_u32_e32 v10, v10, v15
	v_cndmask_b32_e64 v15, 0, 1, vcc
	v_lshlrev_b32_e32 v15, 4, v15
	v_add_lshl_u32 v35, v15, v9, 2
	ds_bpermute_b32 v15, v35, v10
	v_cmp_le_u32_e32 vcc, v36, v14
	;; [unrolled: 9-line block ×3, first 2 shown]
	s_waitcnt lgkmcnt(0)
	v_cndmask_b32_e32 v9, 0, v9, vcc
	v_add_u32_e32 v10, v10, v9
	v_mov_b32_e32 v9, 0
	s_branch .LBB6752_38
.LBB6752_37:                            ;   in Loop: Header=BB6752_38 Depth=1
	s_or_b64 exec, exec, s[10:11]
	v_cmp_eq_u16_sdwa s[10:11], v11, v7 src0_sel:BYTE_0 src1_sel:DWORD
	v_and_b32_e32 v14, s11, v13
	v_or_b32_e32 v14, 0x80000000, v14
	ds_bpermute_b32 v39, v27, v10
	v_and_b32_e32 v15, s10, v12
	v_ffbl_b32_e32 v14, v14
	v_add_u32_e32 v14, 32, v14
	v_ffbl_b32_e32 v15, v15
	v_min_u32_e32 v14, v15, v14
	v_cmp_lt_u32_e32 vcc, v26, v14
	s_waitcnt lgkmcnt(0)
	v_cndmask_b32_e32 v15, 0, v39, vcc
	v_add_u32_e32 v10, v15, v10
	ds_bpermute_b32 v15, v28, v10
	v_cmp_le_u32_e32 vcc, v29, v14
	v_subrev_u32_e32 v8, 64, v8
	s_waitcnt lgkmcnt(0)
	v_cndmask_b32_e32 v15, 0, v15, vcc
	v_add_u32_e32 v10, v10, v15
	ds_bpermute_b32 v15, v30, v10
	v_cmp_le_u32_e32 vcc, v31, v14
	s_waitcnt lgkmcnt(0)
	v_cndmask_b32_e32 v15, 0, v15, vcc
	v_add_u32_e32 v10, v10, v15
	ds_bpermute_b32 v15, v32, v10
	v_cmp_le_u32_e32 vcc, v33, v14
	;; [unrolled: 5-line block ×4, first 2 shown]
	s_waitcnt lgkmcnt(0)
	v_cndmask_b32_e32 v14, 0, v15, vcc
	v_add3_u32 v10, v14, v34, v10
.LBB6752_38:                            ; =>This Loop Header: Depth=1
                                        ;     Child Loop BB6752_41 Depth 2
	v_cmp_ne_u16_sdwa s[10:11], v11, v7 src0_sel:BYTE_0 src1_sel:DWORD
	v_cndmask_b32_e64 v11, 0, 1, s[10:11]
	;;#ASMSTART
	;;#ASMEND
	v_cmp_ne_u32_e32 vcc, 0, v11
	s_cmp_lg_u64 vcc, exec
	v_mov_b32_e32 v34, v10
	s_cbranch_scc1 .LBB6752_43
; %bb.39:                               ;   in Loop: Header=BB6752_38 Depth=1
	v_lshlrev_b64 v[10:11], 3, v[8:9]
	v_mov_b32_e32 v15, s21
	v_add_co_u32_e32 v14, vcc, s20, v10
	v_addc_co_u32_e32 v15, vcc, v15, v11, vcc
	global_load_dwordx2 v[10:11], v[14:15], off glc
	s_waitcnt vmcnt(0)
	v_cmp_eq_u16_sdwa s[22:23], v11, v9 src0_sel:BYTE_0 src1_sel:DWORD
	s_and_saveexec_b64 s[10:11], s[22:23]
	s_cbranch_execz .LBB6752_37
; %bb.40:                               ;   in Loop: Header=BB6752_38 Depth=1
	s_mov_b64 s[22:23], 0
.LBB6752_41:                            ;   Parent Loop BB6752_38 Depth=1
                                        ; =>  This Inner Loop Header: Depth=2
	global_load_dwordx2 v[10:11], v[14:15], off glc
	s_waitcnt vmcnt(0)
	v_cmp_ne_u16_sdwa s[26:27], v11, v9 src0_sel:BYTE_0 src1_sel:DWORD
	s_or_b64 s[22:23], s[26:27], s[22:23]
	s_andn2_b64 exec, exec, s[22:23]
	s_cbranch_execnz .LBB6752_41
; %bb.42:                               ;   in Loop: Header=BB6752_38 Depth=1
	s_or_b64 exec, exec, s[22:23]
	s_branch .LBB6752_37
.LBB6752_43:                            ;   in Loop: Header=BB6752_38 Depth=1
                                        ; implicit-def: $vgpr10
                                        ; implicit-def: $vgpr11
	s_cbranch_execz .LBB6752_38
; %bb.44:
	s_and_saveexec_b64 s[10:11], s[2:3]
	s_cbranch_execz .LBB6752_46
; %bb.45:
	s_add_i32 s2, s6, 64
	s_mov_b32 s3, 0
	s_lshl_b64 s[2:3], s[2:3], 3
	s_add_u32 s2, s20, s2
	v_add_u32_e32 v6, v34, v6
	v_mov_b32_e32 v7, 2
	s_addc_u32 s3, s21, s3
	v_mov_b32_e32 v8, 0
	global_store_dwordx2 v8, v[6:7], s[2:3]
.LBB6752_46:
	s_or_b64 exec, exec, s[10:11]
	s_and_b64 exec, exec, s[0:1]
	s_cbranch_execz .LBB6752_48
; %bb.47:
	v_mov_b32_e32 v6, 0
	ds_write_b32 v6, v34
.LBB6752_48:
	s_or_b64 exec, exec, s[8:9]
	v_mov_b32_e32 v6, 0
	s_waitcnt lgkmcnt(0)
	s_barrier
	ds_read_b32 v6, v6
	s_waitcnt lgkmcnt(0)
	v_add3_u32 v6, v25, v2, v6
	v_add_u32_e32 v7, v6, v3
	v_add_u32_e32 v8, v7, v4
	;; [unrolled: 1-line block ×9, first 2 shown]
	s_load_dwordx8 s[4:11], s[4:5], 0x38
	s_branch .LBB6752_61
.LBB6752_49:
                                        ; implicit-def: $vgpr6_vgpr7_vgpr8_vgpr9_vgpr10_vgpr11_vgpr12_vgpr13_vgpr14_vgpr15
	s_load_dwordx8 s[4:11], s[4:5], 0x38
	s_cbranch_execz .LBB6752_61
; %bb.50:
	s_waitcnt lgkmcnt(0)
	s_cmp_lg_u64 s[8:9], 0
	s_cselect_b64 s[2:3], -1, 0
	v_cmp_eq_u32_e64 s[0:1], 0, v0
	v_cmp_ne_u32_e32 vcc, 0, v0
	s_and_b64 s[8:9], s[0:1], s[2:3]
	v_mov_b32_e32 v12, v3
	v_mov_b32_e32 v13, v4
	;; [unrolled: 1-line block ×3, first 2 shown]
	s_and_saveexec_b64 s[2:3], s[8:9]
	s_cbranch_execz .LBB6752_52
; %bb.51:
	v_mov_b32_e32 v6, 0
	global_load_dword v6, v6, s[4:5]
	v_mov_b32_e32 v12, v3
	v_mov_b32_e32 v13, v4
	v_mov_b32_e32 v14, v5
	s_waitcnt vmcnt(0)
	v_add_u32_e32 v2, v6, v2
.LBB6752_52:
	s_or_b64 exec, exec, s[2:3]
	v_add_u32_e32 v3, v12, v2
	v_add_u32_e32 v4, v3, v13
	;; [unrolled: 1-line block ×9, first 2 shown]
	v_add_lshl_u32 v15, v24, v0, 2
	v_cmp_gt_u32_e64 s[2:3], 64, v0
	ds_write_b32 v15, v11
	s_waitcnt lgkmcnt(0)
	s_barrier
	s_and_saveexec_b64 s[4:5], s[2:3]
	s_cbranch_execz .LBB6752_54
; %bb.53:
	v_lshlrev_b32_e32 v15, 1, v0
	v_lshrrev_b32_e32 v24, 4, v0
	v_add_lshl_u32 v15, v24, v15, 2
	ds_read2_b32 v[24:25], v15 offset1:1
	v_mbcnt_lo_u32_b32 v26, -1, 0
	v_mbcnt_hi_u32_b32 v26, -1, v26
	v_and_b32_e32 v27, 15, v26
	v_cmp_ne_u32_e64 s[2:3], 0, v27
	s_waitcnt lgkmcnt(0)
	v_add_u32_e32 v25, v25, v24
	; wave barrier
	s_nop 1
	v_mov_b32_dpp v28, v25 row_shr:1 row_mask:0xf bank_mask:0xf
	v_cndmask_b32_e64 v28, 0, v28, s[2:3]
	v_add_u32_e32 v25, v28, v25
	v_cmp_lt_u32_e64 s[2:3], 1, v27
	s_nop 0
	v_mov_b32_dpp v28, v25 row_shr:2 row_mask:0xf bank_mask:0xf
	v_cndmask_b32_e64 v28, 0, v28, s[2:3]
	v_add_u32_e32 v25, v25, v28
	v_cmp_lt_u32_e64 s[2:3], 3, v27
	;; [unrolled: 5-line block ×3, first 2 shown]
	s_nop 0
	v_mov_b32_dpp v28, v25 row_shr:8 row_mask:0xf bank_mask:0xf
	v_cndmask_b32_e64 v27, 0, v28, s[2:3]
	v_add_u32_e32 v25, v25, v27
	v_bfe_i32 v28, v26, 4, 1
	v_cmp_lt_u32_e64 s[2:3], 31, v26
	v_mov_b32_dpp v27, v25 row_bcast:15 row_mask:0xf bank_mask:0xf
	v_and_b32_e32 v27, v28, v27
	v_add_u32_e32 v25, v25, v27
	v_and_b32_e32 v28, 64, v26
	s_nop 0
	v_mov_b32_dpp v27, v25 row_bcast:31 row_mask:0xf bank_mask:0xf
	v_cndmask_b32_e64 v27, 0, v27, s[2:3]
	v_add_u32_e32 v25, v25, v27
	v_add_u32_e32 v27, -1, v26
	v_cmp_lt_i32_e64 s[2:3], v27, v28
	v_cndmask_b32_e64 v26, v27, v26, s[2:3]
	v_lshlrev_b32_e32 v26, 2, v26
	ds_bpermute_b32 v25, v26, v25
	s_waitcnt lgkmcnt(0)
	v_add_u32_e32 v24, v25, v24
	v_cndmask_b32_e64 v24, v24, v11, s[0:1]
	ds_write_b32 v15, v24
	; wave barrier
	ds_read_b32 v25, v15 offset:4
	s_waitcnt lgkmcnt(0)
	v_add_u32_e32 v24, v25, v24
	ds_write_b32 v15, v24 offset:4
.LBB6752_54:
	s_or_b64 exec, exec, s[4:5]
	v_mov_b32_e32 v15, v11
	s_waitcnt lgkmcnt(0)
	s_barrier
	s_and_saveexec_b64 s[0:1], vcc
	s_cbranch_execz .LBB6752_56
; %bb.55:
	v_add_u32_e32 v15, -1, v0
	v_lshrrev_b32_e32 v24, 5, v15
	v_add_lshl_u32 v15, v24, v15, 2
	ds_read_b32 v15, v15
.LBB6752_56:
	s_or_b64 exec, exec, s[0:1]
	s_and_saveexec_b64 s[0:1], vcc
	s_cbranch_execz .LBB6752_58
; %bb.57:
	s_waitcnt lgkmcnt(0)
	v_add_u32_e32 v2, v15, v2
	v_add_u32_e32 v3, v2, v12
	;; [unrolled: 1-line block ×10, first 2 shown]
	;;#ASMSTART
	;;#ASMEND
.LBB6752_58:
	s_or_b64 exec, exec, s[0:1]
	s_movk_i32 s0, 0x7f
	v_cmp_eq_u32_e32 vcc, s0, v0
	s_and_saveexec_b64 s[0:1], vcc
	s_cbranch_execz .LBB6752_60
; %bb.59:
	v_mov_b32_e32 v14, 0
	v_mov_b32_e32 v13, 2
	v_mov_b32_e32 v12, v11
	global_store_dwordx2 v14, v[12:13], s[20:21] offset:512
.LBB6752_60:
	s_or_b64 exec, exec, s[0:1]
	s_waitcnt lgkmcnt(0)
	v_pk_mov_b32 v[14:15], v[10:11], v[10:11] op_sel:[0,1]
	v_pk_mov_b32 v[12:13], v[8:9], v[8:9] op_sel:[0,1]
	;; [unrolled: 1-line block ×5, first 2 shown]
.LBB6752_61:
	s_add_u32 s0, s12, s16
	s_addc_u32 s1, s13, s17
	s_add_u32 s2, s0, s18
	s_addc_u32 s3, s1, s19
	s_mov_b64 s[0:1], -1
	s_and_b64 vcc, exec, s[14:15]
	s_waitcnt lgkmcnt(0)
	s_barrier
	s_cbranch_vccz .LBB6752_63
; %bb.62:
	ds_write2_b64 v1, v[6:7], v[8:9] offset1:1
	ds_write2_b64 v1, v[10:11], v[12:13] offset0:2 offset1:3
	ds_write_b64 v1, v[14:15] offset:32
	s_waitcnt lgkmcnt(0)
	s_barrier
	ds_read2st64_b32 v[2:3], v22 offset1:2
	ds_read2st64_b32 v[4:5], v22 offset0:4 offset1:6
	ds_read2st64_b32 v[16:17], v22 offset0:8 offset1:10
	;; [unrolled: 1-line block ×4, first 2 shown]
	v_mov_b32_e32 v25, s3
	v_add_co_u32_e32 v24, vcc, s2, v22
	v_addc_co_u32_e32 v25, vcc, 0, v25, vcc
	s_waitcnt lgkmcnt(4)
	flat_store_dword v[24:25], v2
	flat_store_dword v[24:25], v3 offset:512
	s_waitcnt lgkmcnt(0)
	flat_store_dword v[24:25], v4 offset:1024
	flat_store_dword v[24:25], v5 offset:1536
	;; [unrolled: 1-line block ×6, first 2 shown]
	v_add_co_u32_e32 v2, vcc, 0x1000, v24
	v_addc_co_u32_e32 v3, vcc, 0, v25, vcc
	flat_store_dword v[2:3], v20
	flat_store_dword v[2:3], v21 offset:512
	s_mov_b64 s[0:1], 0
.LBB6752_63:
	s_andn2_b64 vcc, exec, s[0:1]
	s_cbranch_vccnz .LBB6752_119
; %bb.64:
	ds_write2_b64 v1, v[6:7], v[8:9] offset1:1
	ds_write2_b64 v1, v[10:11], v[12:13] offset0:2 offset1:3
	ds_write_b64 v1, v[14:15] offset:32
	s_waitcnt lgkmcnt(0)
	s_barrier
	ds_read2st64_b32 v[2:3], v22 offset1:2
	ds_read2st64_b32 v[6:7], v22 offset0:4 offset1:6
	ds_read2st64_b32 v[4:5], v22 offset0:8 offset1:10
	;; [unrolled: 1-line block ×4, first 2 shown]
	v_mov_b32_e32 v13, s3
	v_add_co_u32_e32 v12, vcc, s2, v22
	v_addc_co_u32_e32 v13, vcc, 0, v13, vcc
	v_mov_b32_e32 v1, 0
	v_cmp_gt_u32_e32 vcc, s24, v0
	s_and_saveexec_b64 s[0:1], vcc
	s_cbranch_execz .LBB6752_66
; %bb.65:
	s_waitcnt lgkmcnt(0)
	flat_store_dword v[12:13], v2
.LBB6752_66:
	s_or_b64 exec, exec, s[0:1]
	v_or_b32_e32 v14, 0x80, v0
	v_cmp_gt_u32_e32 vcc, s24, v14
	s_and_saveexec_b64 s[0:1], vcc
	s_cbranch_execz .LBB6752_68
; %bb.67:
	s_waitcnt lgkmcnt(0)
	flat_store_dword v[12:13], v3 offset:512
.LBB6752_68:
	s_or_b64 exec, exec, s[0:1]
	v_or_b32_e32 v14, 0x100, v0
	v_cmp_gt_u32_e32 vcc, s24, v14
	s_and_saveexec_b64 s[0:1], vcc
	s_cbranch_execz .LBB6752_70
; %bb.69:
	s_waitcnt lgkmcnt(0)
	flat_store_dword v[12:13], v6 offset:1024
.LBB6752_70:
	;; [unrolled: 9-line block ×7, first 2 shown]
	s_or_b64 exec, exec, s[0:1]
	v_or_b32_e32 v14, 0x400, v0
	v_cmp_gt_u32_e32 vcc, s24, v14
	s_and_saveexec_b64 s[0:1], vcc
	s_cbranch_execz .LBB6752_82
; %bb.81:
	v_add_co_u32_e32 v14, vcc, 0x1000, v12
	v_addc_co_u32_e32 v15, vcc, 0, v13, vcc
	s_waitcnt lgkmcnt(0)
	flat_store_dword v[14:15], v10
.LBB6752_82:
	s_or_b64 exec, exec, s[0:1]
	v_or_b32_e32 v14, 0x480, v0
	v_cmp_gt_u32_e32 vcc, s24, v14
	s_and_saveexec_b64 s[0:1], vcc
	s_cbranch_execz .LBB6752_84
; %bb.83:
	v_add_co_u32_e32 v12, vcc, 0x1000, v12
	v_addc_co_u32_e32 v13, vcc, 0, v13, vcc
	s_waitcnt lgkmcnt(0)
	flat_store_dword v[12:13], v11 offset:512
.LBB6752_84:
	s_or_b64 exec, exec, s[0:1]
	v_cmp_lt_u64_e64 s[0:1], s[10:11], 2
	s_and_b64 vcc, exec, s[0:1]
	s_cbranch_vccnz .LBB6752_119
; %bb.85:
	s_add_u32 s0, s24, -1
	s_addc_u32 s1, s25, -1
	s_add_u32 s2, 0, 0x99986000
	s_addc_u32 s3, 0, 0x59
	s_add_i32 s3, s3, 0x19999940
	s_mul_hi_u32 s9, s2, -10
	s_sub_i32 s9, s9, s2
	s_mul_i32 s10, s3, -10
	s_mul_i32 s4, s2, -10
	s_add_i32 s9, s9, s10
	s_mul_hi_u32 s5, s3, s4
	s_mul_i32 s8, s3, s4
	s_mul_i32 s11, s2, s9
	s_mul_hi_u32 s4, s2, s4
	s_mul_hi_u32 s10, s2, s9
	s_add_u32 s4, s4, s11
	s_addc_u32 s10, 0, s10
	s_add_u32 s4, s4, s8
	s_mul_hi_u32 s11, s3, s9
	s_addc_u32 s4, s10, s5
	s_addc_u32 s5, s11, 0
	s_mul_i32 s8, s3, s9
	s_add_u32 s4, s4, s8
	v_mov_b32_e32 v12, s4
	s_addc_u32 s5, 0, s5
	v_add_co_u32_e32 v12, vcc, s2, v12
	s_cmp_lg_u64 vcc, 0
	s_addc_u32 s2, s3, s5
	v_readfirstlane_b32 s5, v12
	s_mul_i32 s4, s0, s2
	s_mul_hi_u32 s8, s0, s5
	s_mul_hi_u32 s3, s0, s2
	s_add_u32 s4, s8, s4
	s_addc_u32 s3, 0, s3
	s_mul_hi_u32 s9, s1, s5
	s_mul_i32 s5, s1, s5
	s_add_u32 s4, s4, s5
	s_mul_hi_u32 s8, s1, s2
	s_addc_u32 s3, s3, s9
	s_addc_u32 s4, s8, 0
	s_mul_i32 s2, s1, s2
	s_add_u32 s2, s3, s2
	s_addc_u32 s3, 0, s4
	s_add_u32 s4, s2, 1
	s_addc_u32 s5, s3, 0
	s_add_u32 s8, s2, 2
	s_mul_i32 s10, s3, 10
	s_mul_hi_u32 s11, s2, 10
	s_addc_u32 s9, s3, 0
	s_add_i32 s11, s11, s10
	s_mul_i32 s10, s2, 10
	v_mov_b32_e32 v12, s10
	v_sub_co_u32_e32 v12, vcc, s0, v12
	s_cmp_lg_u64 vcc, 0
	s_subb_u32 s10, s1, s11
	v_subrev_co_u32_e32 v13, vcc, 10, v12
	s_cmp_lg_u64 vcc, 0
	s_subb_u32 s11, s10, 0
	v_readfirstlane_b32 s12, v13
	s_cmp_gt_u32 s12, 9
	s_cselect_b32 s12, -1, 0
	s_cmp_eq_u32 s11, 0
	s_cselect_b32 s11, s12, -1
	s_cmp_lg_u32 s11, 0
	s_cselect_b32 s4, s8, s4
	v_readfirstlane_b32 s8, v12
	s_cselect_b32 s5, s9, s5
	s_cmp_gt_u32 s8, 9
	s_cselect_b32 s8, -1, 0
	s_cmp_eq_u32 s10, 0
	s_cselect_b32 s8, s8, -1
	s_cmp_lg_u32 s8, 0
	s_cselect_b32 s3, s5, s3
	s_cselect_b32 s2, s4, s2
	v_cmp_eq_u64_e32 vcc, s[2:3], v[0:1]
	s_and_saveexec_b64 s[2:3], vcc
	s_cbranch_execz .LBB6752_119
; %bb.86:
	v_mul_hi_u32_u24_e32 v1, 10, v0
	v_mov_b32_e32 v12, s1
	v_sub_co_u32_e32 v0, vcc, s0, v23
	v_subb_co_u32_e32 v1, vcc, v12, v1, vcc
	v_cmp_lt_i64_e32 vcc, 4, v[0:1]
	s_and_saveexec_b64 s[0:1], vcc
	s_xor_b64 s[0:1], exec, s[0:1]
	s_cbranch_execz .LBB6752_104
; %bb.87:
	v_cmp_lt_i64_e32 vcc, 6, v[0:1]
	s_and_saveexec_b64 s[2:3], vcc
	s_xor_b64 s[2:3], exec, s[2:3]
	s_cbranch_execz .LBB6752_97
; %bb.88:
	;; [unrolled: 5-line block ×4, first 2 shown]
	v_mov_b32_e32 v0, 0
	s_waitcnt lgkmcnt(0)
	global_store_dword v0, v11, s[6:7]
                                        ; implicit-def: $vgpr10_vgpr11
.LBB6752_91:
	s_andn2_saveexec_b64 s[8:9], s[8:9]
	s_cbranch_execz .LBB6752_93
; %bb.92:
	v_mov_b32_e32 v0, 0
	s_waitcnt lgkmcnt(0)
	global_store_dword v0, v10, s[6:7]
.LBB6752_93:
	s_or_b64 exec, exec, s[8:9]
                                        ; implicit-def: $vgpr8_vgpr9
.LBB6752_94:
	s_andn2_saveexec_b64 s[4:5], s[4:5]
	s_cbranch_execz .LBB6752_96
; %bb.95:
	v_mov_b32_e32 v0, 0
	s_waitcnt lgkmcnt(0)
	global_store_dword v0, v9, s[6:7]
.LBB6752_96:
	s_or_b64 exec, exec, s[4:5]
                                        ; implicit-def: $vgpr4_vgpr5
                                        ; implicit-def: $vgpr0_vgpr1
                                        ; implicit-def: $vgpr8_vgpr9
.LBB6752_97:
	s_andn2_saveexec_b64 s[2:3], s[2:3]
	s_cbranch_execz .LBB6752_103
; %bb.98:
	v_cmp_lt_i64_e32 vcc, 5, v[0:1]
	s_and_saveexec_b64 s[4:5], vcc
	s_xor_b64 s[4:5], exec, s[4:5]
	s_cbranch_execz .LBB6752_100
; %bb.99:
	v_mov_b32_e32 v0, 0
	s_waitcnt lgkmcnt(0)
	global_store_dword v0, v8, s[6:7]
                                        ; implicit-def: $vgpr4_vgpr5
.LBB6752_100:
	s_andn2_saveexec_b64 s[4:5], s[4:5]
	s_cbranch_execz .LBB6752_102
; %bb.101:
	v_mov_b32_e32 v0, 0
	s_waitcnt lgkmcnt(0)
	global_store_dword v0, v5, s[6:7]
.LBB6752_102:
	s_or_b64 exec, exec, s[4:5]
.LBB6752_103:
	s_or_b64 exec, exec, s[2:3]
                                        ; implicit-def: $vgpr0_vgpr1
                                        ; implicit-def: $vgpr6_vgpr7
                                        ; implicit-def: $vgpr2_vgpr3
                                        ; implicit-def: $vgpr4_vgpr5
.LBB6752_104:
	s_andn2_saveexec_b64 s[0:1], s[0:1]
	s_cbranch_execz .LBB6752_119
; %bb.105:
	v_cmp_lt_i64_e32 vcc, 2, v[0:1]
	s_and_saveexec_b64 s[0:1], vcc
	s_xor_b64 s[0:1], exec, s[0:1]
	s_cbranch_execz .LBB6752_111
; %bb.106:
	v_cmp_lt_i64_e32 vcc, 3, v[0:1]
	s_and_saveexec_b64 s[2:3], vcc
	s_xor_b64 s[2:3], exec, s[2:3]
	s_cbranch_execz .LBB6752_108
; %bb.107:
	v_mov_b32_e32 v0, 0
	s_waitcnt lgkmcnt(0)
	global_store_dword v0, v4, s[6:7]
                                        ; implicit-def: $vgpr6_vgpr7
.LBB6752_108:
	s_andn2_saveexec_b64 s[2:3], s[2:3]
	s_cbranch_execz .LBB6752_110
; %bb.109:
	v_mov_b32_e32 v0, 0
	s_waitcnt lgkmcnt(0)
	global_store_dword v0, v7, s[6:7]
.LBB6752_110:
	s_or_b64 exec, exec, s[2:3]
                                        ; implicit-def: $vgpr0_vgpr1
                                        ; implicit-def: $vgpr6_vgpr7
                                        ; implicit-def: $vgpr2_vgpr3
.LBB6752_111:
	s_andn2_saveexec_b64 s[0:1], s[0:1]
	s_cbranch_execz .LBB6752_119
; %bb.112:
	v_cmp_lt_i64_e32 vcc, 1, v[0:1]
	s_and_saveexec_b64 s[0:1], vcc
	s_xor_b64 s[0:1], exec, s[0:1]
	s_cbranch_execz .LBB6752_114
; %bb.113:
	v_mov_b32_e32 v0, 0
	s_waitcnt lgkmcnt(0)
	global_store_dword v0, v6, s[6:7]
                                        ; implicit-def: $vgpr2_vgpr3
                                        ; implicit-def: $vgpr0_vgpr1
.LBB6752_114:
	s_andn2_saveexec_b64 s[0:1], s[0:1]
	s_cbranch_execz .LBB6752_119
; %bb.115:
	v_cmp_ne_u64_e32 vcc, 1, v[0:1]
	s_and_saveexec_b64 s[0:1], vcc
	s_xor_b64 s[0:1], exec, s[0:1]
	s_cbranch_execz .LBB6752_117
; %bb.116:
	v_mov_b32_e32 v0, 0
	s_waitcnt lgkmcnt(0)
	global_store_dword v0, v2, s[6:7]
                                        ; implicit-def: $vgpr2_vgpr3
.LBB6752_117:
	s_andn2_saveexec_b64 s[0:1], s[0:1]
	s_cbranch_execz .LBB6752_119
; %bb.118:
	v_mov_b32_e32 v0, 0
	s_waitcnt lgkmcnt(0)
	global_store_dword v0, v3, s[6:7]
.LBB6752_119:
	s_endpgm
	.section	.rodata,"a",@progbits
	.p2align	6, 0x0
	.amdhsa_kernel _ZN7rocprim17ROCPRIM_400000_NS6detail17trampoline_kernelINS0_14default_configENS1_20scan_config_selectorIiEEZZNS1_9scan_implILNS1_25lookback_scan_determinismE0ELb0ELb0ES3_N6thrust23THRUST_200600_302600_NS10device_ptrIiEESB_iNS9_4plusIvEEiEEDaPvRmT3_T4_T5_mT6_P12ihipStream_tbENKUlT_T0_E_clISt17integral_constantIbLb0EESR_EEDaSM_SN_EUlSM_E_NS1_11comp_targetILNS1_3genE4ELNS1_11target_archE910ELNS1_3gpuE8ELNS1_3repE0EEENS1_30default_config_static_selectorELNS0_4arch9wavefront6targetE1EEEvT1_
		.amdhsa_group_segment_fixed_size 5120
		.amdhsa_private_segment_fixed_size 0
		.amdhsa_kernarg_size 96
		.amdhsa_user_sgpr_count 6
		.amdhsa_user_sgpr_private_segment_buffer 1
		.amdhsa_user_sgpr_dispatch_ptr 0
		.amdhsa_user_sgpr_queue_ptr 0
		.amdhsa_user_sgpr_kernarg_segment_ptr 1
		.amdhsa_user_sgpr_dispatch_id 0
		.amdhsa_user_sgpr_flat_scratch_init 0
		.amdhsa_user_sgpr_kernarg_preload_length 0
		.amdhsa_user_sgpr_kernarg_preload_offset 0
		.amdhsa_user_sgpr_private_segment_size 0
		.amdhsa_uses_dynamic_stack 0
		.amdhsa_system_sgpr_private_segment_wavefront_offset 0
		.amdhsa_system_sgpr_workgroup_id_x 1
		.amdhsa_system_sgpr_workgroup_id_y 0
		.amdhsa_system_sgpr_workgroup_id_z 0
		.amdhsa_system_sgpr_workgroup_info 0
		.amdhsa_system_vgpr_workitem_id 0
		.amdhsa_next_free_vgpr 40
		.amdhsa_next_free_sgpr 28
		.amdhsa_accum_offset 40
		.amdhsa_reserve_vcc 1
		.amdhsa_reserve_flat_scratch 0
		.amdhsa_float_round_mode_32 0
		.amdhsa_float_round_mode_16_64 0
		.amdhsa_float_denorm_mode_32 3
		.amdhsa_float_denorm_mode_16_64 3
		.amdhsa_dx10_clamp 1
		.amdhsa_ieee_mode 1
		.amdhsa_fp16_overflow 0
		.amdhsa_tg_split 0
		.amdhsa_exception_fp_ieee_invalid_op 0
		.amdhsa_exception_fp_denorm_src 0
		.amdhsa_exception_fp_ieee_div_zero 0
		.amdhsa_exception_fp_ieee_overflow 0
		.amdhsa_exception_fp_ieee_underflow 0
		.amdhsa_exception_fp_ieee_inexact 0
		.amdhsa_exception_int_div_zero 0
	.end_amdhsa_kernel
	.section	.text._ZN7rocprim17ROCPRIM_400000_NS6detail17trampoline_kernelINS0_14default_configENS1_20scan_config_selectorIiEEZZNS1_9scan_implILNS1_25lookback_scan_determinismE0ELb0ELb0ES3_N6thrust23THRUST_200600_302600_NS10device_ptrIiEESB_iNS9_4plusIvEEiEEDaPvRmT3_T4_T5_mT6_P12ihipStream_tbENKUlT_T0_E_clISt17integral_constantIbLb0EESR_EEDaSM_SN_EUlSM_E_NS1_11comp_targetILNS1_3genE4ELNS1_11target_archE910ELNS1_3gpuE8ELNS1_3repE0EEENS1_30default_config_static_selectorELNS0_4arch9wavefront6targetE1EEEvT1_,"axG",@progbits,_ZN7rocprim17ROCPRIM_400000_NS6detail17trampoline_kernelINS0_14default_configENS1_20scan_config_selectorIiEEZZNS1_9scan_implILNS1_25lookback_scan_determinismE0ELb0ELb0ES3_N6thrust23THRUST_200600_302600_NS10device_ptrIiEESB_iNS9_4plusIvEEiEEDaPvRmT3_T4_T5_mT6_P12ihipStream_tbENKUlT_T0_E_clISt17integral_constantIbLb0EESR_EEDaSM_SN_EUlSM_E_NS1_11comp_targetILNS1_3genE4ELNS1_11target_archE910ELNS1_3gpuE8ELNS1_3repE0EEENS1_30default_config_static_selectorELNS0_4arch9wavefront6targetE1EEEvT1_,comdat
.Lfunc_end6752:
	.size	_ZN7rocprim17ROCPRIM_400000_NS6detail17trampoline_kernelINS0_14default_configENS1_20scan_config_selectorIiEEZZNS1_9scan_implILNS1_25lookback_scan_determinismE0ELb0ELb0ES3_N6thrust23THRUST_200600_302600_NS10device_ptrIiEESB_iNS9_4plusIvEEiEEDaPvRmT3_T4_T5_mT6_P12ihipStream_tbENKUlT_T0_E_clISt17integral_constantIbLb0EESR_EEDaSM_SN_EUlSM_E_NS1_11comp_targetILNS1_3genE4ELNS1_11target_archE910ELNS1_3gpuE8ELNS1_3repE0EEENS1_30default_config_static_selectorELNS0_4arch9wavefront6targetE1EEEvT1_, .Lfunc_end6752-_ZN7rocprim17ROCPRIM_400000_NS6detail17trampoline_kernelINS0_14default_configENS1_20scan_config_selectorIiEEZZNS1_9scan_implILNS1_25lookback_scan_determinismE0ELb0ELb0ES3_N6thrust23THRUST_200600_302600_NS10device_ptrIiEESB_iNS9_4plusIvEEiEEDaPvRmT3_T4_T5_mT6_P12ihipStream_tbENKUlT_T0_E_clISt17integral_constantIbLb0EESR_EEDaSM_SN_EUlSM_E_NS1_11comp_targetILNS1_3genE4ELNS1_11target_archE910ELNS1_3gpuE8ELNS1_3repE0EEENS1_30default_config_static_selectorELNS0_4arch9wavefront6targetE1EEEvT1_
                                        ; -- End function
	.section	.AMDGPU.csdata,"",@progbits
; Kernel info:
; codeLenInByte = 4524
; NumSgprs: 32
; NumVgprs: 40
; NumAgprs: 0
; TotalNumVgprs: 40
; ScratchSize: 0
; MemoryBound: 0
; FloatMode: 240
; IeeeMode: 1
; LDSByteSize: 5120 bytes/workgroup (compile time only)
; SGPRBlocks: 3
; VGPRBlocks: 4
; NumSGPRsForWavesPerEU: 32
; NumVGPRsForWavesPerEU: 40
; AccumOffset: 40
; Occupancy: 6
; WaveLimiterHint : 1
; COMPUTE_PGM_RSRC2:SCRATCH_EN: 0
; COMPUTE_PGM_RSRC2:USER_SGPR: 6
; COMPUTE_PGM_RSRC2:TRAP_HANDLER: 0
; COMPUTE_PGM_RSRC2:TGID_X_EN: 1
; COMPUTE_PGM_RSRC2:TGID_Y_EN: 0
; COMPUTE_PGM_RSRC2:TGID_Z_EN: 0
; COMPUTE_PGM_RSRC2:TIDIG_COMP_CNT: 0
; COMPUTE_PGM_RSRC3_GFX90A:ACCUM_OFFSET: 9
; COMPUTE_PGM_RSRC3_GFX90A:TG_SPLIT: 0
	.section	.text._ZN7rocprim17ROCPRIM_400000_NS6detail17trampoline_kernelINS0_14default_configENS1_20scan_config_selectorIiEEZZNS1_9scan_implILNS1_25lookback_scan_determinismE0ELb0ELb0ES3_N6thrust23THRUST_200600_302600_NS10device_ptrIiEESB_iNS9_4plusIvEEiEEDaPvRmT3_T4_T5_mT6_P12ihipStream_tbENKUlT_T0_E_clISt17integral_constantIbLb0EESR_EEDaSM_SN_EUlSM_E_NS1_11comp_targetILNS1_3genE3ELNS1_11target_archE908ELNS1_3gpuE7ELNS1_3repE0EEENS1_30default_config_static_selectorELNS0_4arch9wavefront6targetE1EEEvT1_,"axG",@progbits,_ZN7rocprim17ROCPRIM_400000_NS6detail17trampoline_kernelINS0_14default_configENS1_20scan_config_selectorIiEEZZNS1_9scan_implILNS1_25lookback_scan_determinismE0ELb0ELb0ES3_N6thrust23THRUST_200600_302600_NS10device_ptrIiEESB_iNS9_4plusIvEEiEEDaPvRmT3_T4_T5_mT6_P12ihipStream_tbENKUlT_T0_E_clISt17integral_constantIbLb0EESR_EEDaSM_SN_EUlSM_E_NS1_11comp_targetILNS1_3genE3ELNS1_11target_archE908ELNS1_3gpuE7ELNS1_3repE0EEENS1_30default_config_static_selectorELNS0_4arch9wavefront6targetE1EEEvT1_,comdat
	.protected	_ZN7rocprim17ROCPRIM_400000_NS6detail17trampoline_kernelINS0_14default_configENS1_20scan_config_selectorIiEEZZNS1_9scan_implILNS1_25lookback_scan_determinismE0ELb0ELb0ES3_N6thrust23THRUST_200600_302600_NS10device_ptrIiEESB_iNS9_4plusIvEEiEEDaPvRmT3_T4_T5_mT6_P12ihipStream_tbENKUlT_T0_E_clISt17integral_constantIbLb0EESR_EEDaSM_SN_EUlSM_E_NS1_11comp_targetILNS1_3genE3ELNS1_11target_archE908ELNS1_3gpuE7ELNS1_3repE0EEENS1_30default_config_static_selectorELNS0_4arch9wavefront6targetE1EEEvT1_ ; -- Begin function _ZN7rocprim17ROCPRIM_400000_NS6detail17trampoline_kernelINS0_14default_configENS1_20scan_config_selectorIiEEZZNS1_9scan_implILNS1_25lookback_scan_determinismE0ELb0ELb0ES3_N6thrust23THRUST_200600_302600_NS10device_ptrIiEESB_iNS9_4plusIvEEiEEDaPvRmT3_T4_T5_mT6_P12ihipStream_tbENKUlT_T0_E_clISt17integral_constantIbLb0EESR_EEDaSM_SN_EUlSM_E_NS1_11comp_targetILNS1_3genE3ELNS1_11target_archE908ELNS1_3gpuE7ELNS1_3repE0EEENS1_30default_config_static_selectorELNS0_4arch9wavefront6targetE1EEEvT1_
	.globl	_ZN7rocprim17ROCPRIM_400000_NS6detail17trampoline_kernelINS0_14default_configENS1_20scan_config_selectorIiEEZZNS1_9scan_implILNS1_25lookback_scan_determinismE0ELb0ELb0ES3_N6thrust23THRUST_200600_302600_NS10device_ptrIiEESB_iNS9_4plusIvEEiEEDaPvRmT3_T4_T5_mT6_P12ihipStream_tbENKUlT_T0_E_clISt17integral_constantIbLb0EESR_EEDaSM_SN_EUlSM_E_NS1_11comp_targetILNS1_3genE3ELNS1_11target_archE908ELNS1_3gpuE7ELNS1_3repE0EEENS1_30default_config_static_selectorELNS0_4arch9wavefront6targetE1EEEvT1_
	.p2align	8
	.type	_ZN7rocprim17ROCPRIM_400000_NS6detail17trampoline_kernelINS0_14default_configENS1_20scan_config_selectorIiEEZZNS1_9scan_implILNS1_25lookback_scan_determinismE0ELb0ELb0ES3_N6thrust23THRUST_200600_302600_NS10device_ptrIiEESB_iNS9_4plusIvEEiEEDaPvRmT3_T4_T5_mT6_P12ihipStream_tbENKUlT_T0_E_clISt17integral_constantIbLb0EESR_EEDaSM_SN_EUlSM_E_NS1_11comp_targetILNS1_3genE3ELNS1_11target_archE908ELNS1_3gpuE7ELNS1_3repE0EEENS1_30default_config_static_selectorELNS0_4arch9wavefront6targetE1EEEvT1_,@function
_ZN7rocprim17ROCPRIM_400000_NS6detail17trampoline_kernelINS0_14default_configENS1_20scan_config_selectorIiEEZZNS1_9scan_implILNS1_25lookback_scan_determinismE0ELb0ELb0ES3_N6thrust23THRUST_200600_302600_NS10device_ptrIiEESB_iNS9_4plusIvEEiEEDaPvRmT3_T4_T5_mT6_P12ihipStream_tbENKUlT_T0_E_clISt17integral_constantIbLb0EESR_EEDaSM_SN_EUlSM_E_NS1_11comp_targetILNS1_3genE3ELNS1_11target_archE908ELNS1_3gpuE7ELNS1_3repE0EEENS1_30default_config_static_selectorELNS0_4arch9wavefront6targetE1EEEvT1_: ; @_ZN7rocprim17ROCPRIM_400000_NS6detail17trampoline_kernelINS0_14default_configENS1_20scan_config_selectorIiEEZZNS1_9scan_implILNS1_25lookback_scan_determinismE0ELb0ELb0ES3_N6thrust23THRUST_200600_302600_NS10device_ptrIiEESB_iNS9_4plusIvEEiEEDaPvRmT3_T4_T5_mT6_P12ihipStream_tbENKUlT_T0_E_clISt17integral_constantIbLb0EESR_EEDaSM_SN_EUlSM_E_NS1_11comp_targetILNS1_3genE3ELNS1_11target_archE908ELNS1_3gpuE7ELNS1_3repE0EEENS1_30default_config_static_selectorELNS0_4arch9wavefront6targetE1EEEvT1_
; %bb.0:
	.section	.rodata,"a",@progbits
	.p2align	6, 0x0
	.amdhsa_kernel _ZN7rocprim17ROCPRIM_400000_NS6detail17trampoline_kernelINS0_14default_configENS1_20scan_config_selectorIiEEZZNS1_9scan_implILNS1_25lookback_scan_determinismE0ELb0ELb0ES3_N6thrust23THRUST_200600_302600_NS10device_ptrIiEESB_iNS9_4plusIvEEiEEDaPvRmT3_T4_T5_mT6_P12ihipStream_tbENKUlT_T0_E_clISt17integral_constantIbLb0EESR_EEDaSM_SN_EUlSM_E_NS1_11comp_targetILNS1_3genE3ELNS1_11target_archE908ELNS1_3gpuE7ELNS1_3repE0EEENS1_30default_config_static_selectorELNS0_4arch9wavefront6targetE1EEEvT1_
		.amdhsa_group_segment_fixed_size 0
		.amdhsa_private_segment_fixed_size 0
		.amdhsa_kernarg_size 96
		.amdhsa_user_sgpr_count 6
		.amdhsa_user_sgpr_private_segment_buffer 1
		.amdhsa_user_sgpr_dispatch_ptr 0
		.amdhsa_user_sgpr_queue_ptr 0
		.amdhsa_user_sgpr_kernarg_segment_ptr 1
		.amdhsa_user_sgpr_dispatch_id 0
		.amdhsa_user_sgpr_flat_scratch_init 0
		.amdhsa_user_sgpr_kernarg_preload_length 0
		.amdhsa_user_sgpr_kernarg_preload_offset 0
		.amdhsa_user_sgpr_private_segment_size 0
		.amdhsa_uses_dynamic_stack 0
		.amdhsa_system_sgpr_private_segment_wavefront_offset 0
		.amdhsa_system_sgpr_workgroup_id_x 1
		.amdhsa_system_sgpr_workgroup_id_y 0
		.amdhsa_system_sgpr_workgroup_id_z 0
		.amdhsa_system_sgpr_workgroup_info 0
		.amdhsa_system_vgpr_workitem_id 0
		.amdhsa_next_free_vgpr 1
		.amdhsa_next_free_sgpr 0
		.amdhsa_accum_offset 4
		.amdhsa_reserve_vcc 0
		.amdhsa_reserve_flat_scratch 0
		.amdhsa_float_round_mode_32 0
		.amdhsa_float_round_mode_16_64 0
		.amdhsa_float_denorm_mode_32 3
		.amdhsa_float_denorm_mode_16_64 3
		.amdhsa_dx10_clamp 1
		.amdhsa_ieee_mode 1
		.amdhsa_fp16_overflow 0
		.amdhsa_tg_split 0
		.amdhsa_exception_fp_ieee_invalid_op 0
		.amdhsa_exception_fp_denorm_src 0
		.amdhsa_exception_fp_ieee_div_zero 0
		.amdhsa_exception_fp_ieee_overflow 0
		.amdhsa_exception_fp_ieee_underflow 0
		.amdhsa_exception_fp_ieee_inexact 0
		.amdhsa_exception_int_div_zero 0
	.end_amdhsa_kernel
	.section	.text._ZN7rocprim17ROCPRIM_400000_NS6detail17trampoline_kernelINS0_14default_configENS1_20scan_config_selectorIiEEZZNS1_9scan_implILNS1_25lookback_scan_determinismE0ELb0ELb0ES3_N6thrust23THRUST_200600_302600_NS10device_ptrIiEESB_iNS9_4plusIvEEiEEDaPvRmT3_T4_T5_mT6_P12ihipStream_tbENKUlT_T0_E_clISt17integral_constantIbLb0EESR_EEDaSM_SN_EUlSM_E_NS1_11comp_targetILNS1_3genE3ELNS1_11target_archE908ELNS1_3gpuE7ELNS1_3repE0EEENS1_30default_config_static_selectorELNS0_4arch9wavefront6targetE1EEEvT1_,"axG",@progbits,_ZN7rocprim17ROCPRIM_400000_NS6detail17trampoline_kernelINS0_14default_configENS1_20scan_config_selectorIiEEZZNS1_9scan_implILNS1_25lookback_scan_determinismE0ELb0ELb0ES3_N6thrust23THRUST_200600_302600_NS10device_ptrIiEESB_iNS9_4plusIvEEiEEDaPvRmT3_T4_T5_mT6_P12ihipStream_tbENKUlT_T0_E_clISt17integral_constantIbLb0EESR_EEDaSM_SN_EUlSM_E_NS1_11comp_targetILNS1_3genE3ELNS1_11target_archE908ELNS1_3gpuE7ELNS1_3repE0EEENS1_30default_config_static_selectorELNS0_4arch9wavefront6targetE1EEEvT1_,comdat
.Lfunc_end6753:
	.size	_ZN7rocprim17ROCPRIM_400000_NS6detail17trampoline_kernelINS0_14default_configENS1_20scan_config_selectorIiEEZZNS1_9scan_implILNS1_25lookback_scan_determinismE0ELb0ELb0ES3_N6thrust23THRUST_200600_302600_NS10device_ptrIiEESB_iNS9_4plusIvEEiEEDaPvRmT3_T4_T5_mT6_P12ihipStream_tbENKUlT_T0_E_clISt17integral_constantIbLb0EESR_EEDaSM_SN_EUlSM_E_NS1_11comp_targetILNS1_3genE3ELNS1_11target_archE908ELNS1_3gpuE7ELNS1_3repE0EEENS1_30default_config_static_selectorELNS0_4arch9wavefront6targetE1EEEvT1_, .Lfunc_end6753-_ZN7rocprim17ROCPRIM_400000_NS6detail17trampoline_kernelINS0_14default_configENS1_20scan_config_selectorIiEEZZNS1_9scan_implILNS1_25lookback_scan_determinismE0ELb0ELb0ES3_N6thrust23THRUST_200600_302600_NS10device_ptrIiEESB_iNS9_4plusIvEEiEEDaPvRmT3_T4_T5_mT6_P12ihipStream_tbENKUlT_T0_E_clISt17integral_constantIbLb0EESR_EEDaSM_SN_EUlSM_E_NS1_11comp_targetILNS1_3genE3ELNS1_11target_archE908ELNS1_3gpuE7ELNS1_3repE0EEENS1_30default_config_static_selectorELNS0_4arch9wavefront6targetE1EEEvT1_
                                        ; -- End function
	.section	.AMDGPU.csdata,"",@progbits
; Kernel info:
; codeLenInByte = 0
; NumSgprs: 4
; NumVgprs: 0
; NumAgprs: 0
; TotalNumVgprs: 0
; ScratchSize: 0
; MemoryBound: 0
; FloatMode: 240
; IeeeMode: 1
; LDSByteSize: 0 bytes/workgroup (compile time only)
; SGPRBlocks: 0
; VGPRBlocks: 0
; NumSGPRsForWavesPerEU: 4
; NumVGPRsForWavesPerEU: 1
; AccumOffset: 4
; Occupancy: 8
; WaveLimiterHint : 0
; COMPUTE_PGM_RSRC2:SCRATCH_EN: 0
; COMPUTE_PGM_RSRC2:USER_SGPR: 6
; COMPUTE_PGM_RSRC2:TRAP_HANDLER: 0
; COMPUTE_PGM_RSRC2:TGID_X_EN: 1
; COMPUTE_PGM_RSRC2:TGID_Y_EN: 0
; COMPUTE_PGM_RSRC2:TGID_Z_EN: 0
; COMPUTE_PGM_RSRC2:TIDIG_COMP_CNT: 0
; COMPUTE_PGM_RSRC3_GFX90A:ACCUM_OFFSET: 0
; COMPUTE_PGM_RSRC3_GFX90A:TG_SPLIT: 0
	.section	.text._ZN7rocprim17ROCPRIM_400000_NS6detail17trampoline_kernelINS0_14default_configENS1_20scan_config_selectorIiEEZZNS1_9scan_implILNS1_25lookback_scan_determinismE0ELb0ELb0ES3_N6thrust23THRUST_200600_302600_NS10device_ptrIiEESB_iNS9_4plusIvEEiEEDaPvRmT3_T4_T5_mT6_P12ihipStream_tbENKUlT_T0_E_clISt17integral_constantIbLb0EESR_EEDaSM_SN_EUlSM_E_NS1_11comp_targetILNS1_3genE2ELNS1_11target_archE906ELNS1_3gpuE6ELNS1_3repE0EEENS1_30default_config_static_selectorELNS0_4arch9wavefront6targetE1EEEvT1_,"axG",@progbits,_ZN7rocprim17ROCPRIM_400000_NS6detail17trampoline_kernelINS0_14default_configENS1_20scan_config_selectorIiEEZZNS1_9scan_implILNS1_25lookback_scan_determinismE0ELb0ELb0ES3_N6thrust23THRUST_200600_302600_NS10device_ptrIiEESB_iNS9_4plusIvEEiEEDaPvRmT3_T4_T5_mT6_P12ihipStream_tbENKUlT_T0_E_clISt17integral_constantIbLb0EESR_EEDaSM_SN_EUlSM_E_NS1_11comp_targetILNS1_3genE2ELNS1_11target_archE906ELNS1_3gpuE6ELNS1_3repE0EEENS1_30default_config_static_selectorELNS0_4arch9wavefront6targetE1EEEvT1_,comdat
	.protected	_ZN7rocprim17ROCPRIM_400000_NS6detail17trampoline_kernelINS0_14default_configENS1_20scan_config_selectorIiEEZZNS1_9scan_implILNS1_25lookback_scan_determinismE0ELb0ELb0ES3_N6thrust23THRUST_200600_302600_NS10device_ptrIiEESB_iNS9_4plusIvEEiEEDaPvRmT3_T4_T5_mT6_P12ihipStream_tbENKUlT_T0_E_clISt17integral_constantIbLb0EESR_EEDaSM_SN_EUlSM_E_NS1_11comp_targetILNS1_3genE2ELNS1_11target_archE906ELNS1_3gpuE6ELNS1_3repE0EEENS1_30default_config_static_selectorELNS0_4arch9wavefront6targetE1EEEvT1_ ; -- Begin function _ZN7rocprim17ROCPRIM_400000_NS6detail17trampoline_kernelINS0_14default_configENS1_20scan_config_selectorIiEEZZNS1_9scan_implILNS1_25lookback_scan_determinismE0ELb0ELb0ES3_N6thrust23THRUST_200600_302600_NS10device_ptrIiEESB_iNS9_4plusIvEEiEEDaPvRmT3_T4_T5_mT6_P12ihipStream_tbENKUlT_T0_E_clISt17integral_constantIbLb0EESR_EEDaSM_SN_EUlSM_E_NS1_11comp_targetILNS1_3genE2ELNS1_11target_archE906ELNS1_3gpuE6ELNS1_3repE0EEENS1_30default_config_static_selectorELNS0_4arch9wavefront6targetE1EEEvT1_
	.globl	_ZN7rocprim17ROCPRIM_400000_NS6detail17trampoline_kernelINS0_14default_configENS1_20scan_config_selectorIiEEZZNS1_9scan_implILNS1_25lookback_scan_determinismE0ELb0ELb0ES3_N6thrust23THRUST_200600_302600_NS10device_ptrIiEESB_iNS9_4plusIvEEiEEDaPvRmT3_T4_T5_mT6_P12ihipStream_tbENKUlT_T0_E_clISt17integral_constantIbLb0EESR_EEDaSM_SN_EUlSM_E_NS1_11comp_targetILNS1_3genE2ELNS1_11target_archE906ELNS1_3gpuE6ELNS1_3repE0EEENS1_30default_config_static_selectorELNS0_4arch9wavefront6targetE1EEEvT1_
	.p2align	8
	.type	_ZN7rocprim17ROCPRIM_400000_NS6detail17trampoline_kernelINS0_14default_configENS1_20scan_config_selectorIiEEZZNS1_9scan_implILNS1_25lookback_scan_determinismE0ELb0ELb0ES3_N6thrust23THRUST_200600_302600_NS10device_ptrIiEESB_iNS9_4plusIvEEiEEDaPvRmT3_T4_T5_mT6_P12ihipStream_tbENKUlT_T0_E_clISt17integral_constantIbLb0EESR_EEDaSM_SN_EUlSM_E_NS1_11comp_targetILNS1_3genE2ELNS1_11target_archE906ELNS1_3gpuE6ELNS1_3repE0EEENS1_30default_config_static_selectorELNS0_4arch9wavefront6targetE1EEEvT1_,@function
_ZN7rocprim17ROCPRIM_400000_NS6detail17trampoline_kernelINS0_14default_configENS1_20scan_config_selectorIiEEZZNS1_9scan_implILNS1_25lookback_scan_determinismE0ELb0ELb0ES3_N6thrust23THRUST_200600_302600_NS10device_ptrIiEESB_iNS9_4plusIvEEiEEDaPvRmT3_T4_T5_mT6_P12ihipStream_tbENKUlT_T0_E_clISt17integral_constantIbLb0EESR_EEDaSM_SN_EUlSM_E_NS1_11comp_targetILNS1_3genE2ELNS1_11target_archE906ELNS1_3gpuE6ELNS1_3repE0EEENS1_30default_config_static_selectorELNS0_4arch9wavefront6targetE1EEEvT1_: ; @_ZN7rocprim17ROCPRIM_400000_NS6detail17trampoline_kernelINS0_14default_configENS1_20scan_config_selectorIiEEZZNS1_9scan_implILNS1_25lookback_scan_determinismE0ELb0ELb0ES3_N6thrust23THRUST_200600_302600_NS10device_ptrIiEESB_iNS9_4plusIvEEiEEDaPvRmT3_T4_T5_mT6_P12ihipStream_tbENKUlT_T0_E_clISt17integral_constantIbLb0EESR_EEDaSM_SN_EUlSM_E_NS1_11comp_targetILNS1_3genE2ELNS1_11target_archE906ELNS1_3gpuE6ELNS1_3repE0EEENS1_30default_config_static_selectorELNS0_4arch9wavefront6targetE1EEEvT1_
; %bb.0:
	.section	.rodata,"a",@progbits
	.p2align	6, 0x0
	.amdhsa_kernel _ZN7rocprim17ROCPRIM_400000_NS6detail17trampoline_kernelINS0_14default_configENS1_20scan_config_selectorIiEEZZNS1_9scan_implILNS1_25lookback_scan_determinismE0ELb0ELb0ES3_N6thrust23THRUST_200600_302600_NS10device_ptrIiEESB_iNS9_4plusIvEEiEEDaPvRmT3_T4_T5_mT6_P12ihipStream_tbENKUlT_T0_E_clISt17integral_constantIbLb0EESR_EEDaSM_SN_EUlSM_E_NS1_11comp_targetILNS1_3genE2ELNS1_11target_archE906ELNS1_3gpuE6ELNS1_3repE0EEENS1_30default_config_static_selectorELNS0_4arch9wavefront6targetE1EEEvT1_
		.amdhsa_group_segment_fixed_size 0
		.amdhsa_private_segment_fixed_size 0
		.amdhsa_kernarg_size 96
		.amdhsa_user_sgpr_count 6
		.amdhsa_user_sgpr_private_segment_buffer 1
		.amdhsa_user_sgpr_dispatch_ptr 0
		.amdhsa_user_sgpr_queue_ptr 0
		.amdhsa_user_sgpr_kernarg_segment_ptr 1
		.amdhsa_user_sgpr_dispatch_id 0
		.amdhsa_user_sgpr_flat_scratch_init 0
		.amdhsa_user_sgpr_kernarg_preload_length 0
		.amdhsa_user_sgpr_kernarg_preload_offset 0
		.amdhsa_user_sgpr_private_segment_size 0
		.amdhsa_uses_dynamic_stack 0
		.amdhsa_system_sgpr_private_segment_wavefront_offset 0
		.amdhsa_system_sgpr_workgroup_id_x 1
		.amdhsa_system_sgpr_workgroup_id_y 0
		.amdhsa_system_sgpr_workgroup_id_z 0
		.amdhsa_system_sgpr_workgroup_info 0
		.amdhsa_system_vgpr_workitem_id 0
		.amdhsa_next_free_vgpr 1
		.amdhsa_next_free_sgpr 0
		.amdhsa_accum_offset 4
		.amdhsa_reserve_vcc 0
		.amdhsa_reserve_flat_scratch 0
		.amdhsa_float_round_mode_32 0
		.amdhsa_float_round_mode_16_64 0
		.amdhsa_float_denorm_mode_32 3
		.amdhsa_float_denorm_mode_16_64 3
		.amdhsa_dx10_clamp 1
		.amdhsa_ieee_mode 1
		.amdhsa_fp16_overflow 0
		.amdhsa_tg_split 0
		.amdhsa_exception_fp_ieee_invalid_op 0
		.amdhsa_exception_fp_denorm_src 0
		.amdhsa_exception_fp_ieee_div_zero 0
		.amdhsa_exception_fp_ieee_overflow 0
		.amdhsa_exception_fp_ieee_underflow 0
		.amdhsa_exception_fp_ieee_inexact 0
		.amdhsa_exception_int_div_zero 0
	.end_amdhsa_kernel
	.section	.text._ZN7rocprim17ROCPRIM_400000_NS6detail17trampoline_kernelINS0_14default_configENS1_20scan_config_selectorIiEEZZNS1_9scan_implILNS1_25lookback_scan_determinismE0ELb0ELb0ES3_N6thrust23THRUST_200600_302600_NS10device_ptrIiEESB_iNS9_4plusIvEEiEEDaPvRmT3_T4_T5_mT6_P12ihipStream_tbENKUlT_T0_E_clISt17integral_constantIbLb0EESR_EEDaSM_SN_EUlSM_E_NS1_11comp_targetILNS1_3genE2ELNS1_11target_archE906ELNS1_3gpuE6ELNS1_3repE0EEENS1_30default_config_static_selectorELNS0_4arch9wavefront6targetE1EEEvT1_,"axG",@progbits,_ZN7rocprim17ROCPRIM_400000_NS6detail17trampoline_kernelINS0_14default_configENS1_20scan_config_selectorIiEEZZNS1_9scan_implILNS1_25lookback_scan_determinismE0ELb0ELb0ES3_N6thrust23THRUST_200600_302600_NS10device_ptrIiEESB_iNS9_4plusIvEEiEEDaPvRmT3_T4_T5_mT6_P12ihipStream_tbENKUlT_T0_E_clISt17integral_constantIbLb0EESR_EEDaSM_SN_EUlSM_E_NS1_11comp_targetILNS1_3genE2ELNS1_11target_archE906ELNS1_3gpuE6ELNS1_3repE0EEENS1_30default_config_static_selectorELNS0_4arch9wavefront6targetE1EEEvT1_,comdat
.Lfunc_end6754:
	.size	_ZN7rocprim17ROCPRIM_400000_NS6detail17trampoline_kernelINS0_14default_configENS1_20scan_config_selectorIiEEZZNS1_9scan_implILNS1_25lookback_scan_determinismE0ELb0ELb0ES3_N6thrust23THRUST_200600_302600_NS10device_ptrIiEESB_iNS9_4plusIvEEiEEDaPvRmT3_T4_T5_mT6_P12ihipStream_tbENKUlT_T0_E_clISt17integral_constantIbLb0EESR_EEDaSM_SN_EUlSM_E_NS1_11comp_targetILNS1_3genE2ELNS1_11target_archE906ELNS1_3gpuE6ELNS1_3repE0EEENS1_30default_config_static_selectorELNS0_4arch9wavefront6targetE1EEEvT1_, .Lfunc_end6754-_ZN7rocprim17ROCPRIM_400000_NS6detail17trampoline_kernelINS0_14default_configENS1_20scan_config_selectorIiEEZZNS1_9scan_implILNS1_25lookback_scan_determinismE0ELb0ELb0ES3_N6thrust23THRUST_200600_302600_NS10device_ptrIiEESB_iNS9_4plusIvEEiEEDaPvRmT3_T4_T5_mT6_P12ihipStream_tbENKUlT_T0_E_clISt17integral_constantIbLb0EESR_EEDaSM_SN_EUlSM_E_NS1_11comp_targetILNS1_3genE2ELNS1_11target_archE906ELNS1_3gpuE6ELNS1_3repE0EEENS1_30default_config_static_selectorELNS0_4arch9wavefront6targetE1EEEvT1_
                                        ; -- End function
	.section	.AMDGPU.csdata,"",@progbits
; Kernel info:
; codeLenInByte = 0
; NumSgprs: 4
; NumVgprs: 0
; NumAgprs: 0
; TotalNumVgprs: 0
; ScratchSize: 0
; MemoryBound: 0
; FloatMode: 240
; IeeeMode: 1
; LDSByteSize: 0 bytes/workgroup (compile time only)
; SGPRBlocks: 0
; VGPRBlocks: 0
; NumSGPRsForWavesPerEU: 4
; NumVGPRsForWavesPerEU: 1
; AccumOffset: 4
; Occupancy: 8
; WaveLimiterHint : 0
; COMPUTE_PGM_RSRC2:SCRATCH_EN: 0
; COMPUTE_PGM_RSRC2:USER_SGPR: 6
; COMPUTE_PGM_RSRC2:TRAP_HANDLER: 0
; COMPUTE_PGM_RSRC2:TGID_X_EN: 1
; COMPUTE_PGM_RSRC2:TGID_Y_EN: 0
; COMPUTE_PGM_RSRC2:TGID_Z_EN: 0
; COMPUTE_PGM_RSRC2:TIDIG_COMP_CNT: 0
; COMPUTE_PGM_RSRC3_GFX90A:ACCUM_OFFSET: 0
; COMPUTE_PGM_RSRC3_GFX90A:TG_SPLIT: 0
	.section	.text._ZN7rocprim17ROCPRIM_400000_NS6detail17trampoline_kernelINS0_14default_configENS1_20scan_config_selectorIiEEZZNS1_9scan_implILNS1_25lookback_scan_determinismE0ELb0ELb0ES3_N6thrust23THRUST_200600_302600_NS10device_ptrIiEESB_iNS9_4plusIvEEiEEDaPvRmT3_T4_T5_mT6_P12ihipStream_tbENKUlT_T0_E_clISt17integral_constantIbLb0EESR_EEDaSM_SN_EUlSM_E_NS1_11comp_targetILNS1_3genE10ELNS1_11target_archE1201ELNS1_3gpuE5ELNS1_3repE0EEENS1_30default_config_static_selectorELNS0_4arch9wavefront6targetE1EEEvT1_,"axG",@progbits,_ZN7rocprim17ROCPRIM_400000_NS6detail17trampoline_kernelINS0_14default_configENS1_20scan_config_selectorIiEEZZNS1_9scan_implILNS1_25lookback_scan_determinismE0ELb0ELb0ES3_N6thrust23THRUST_200600_302600_NS10device_ptrIiEESB_iNS9_4plusIvEEiEEDaPvRmT3_T4_T5_mT6_P12ihipStream_tbENKUlT_T0_E_clISt17integral_constantIbLb0EESR_EEDaSM_SN_EUlSM_E_NS1_11comp_targetILNS1_3genE10ELNS1_11target_archE1201ELNS1_3gpuE5ELNS1_3repE0EEENS1_30default_config_static_selectorELNS0_4arch9wavefront6targetE1EEEvT1_,comdat
	.protected	_ZN7rocprim17ROCPRIM_400000_NS6detail17trampoline_kernelINS0_14default_configENS1_20scan_config_selectorIiEEZZNS1_9scan_implILNS1_25lookback_scan_determinismE0ELb0ELb0ES3_N6thrust23THRUST_200600_302600_NS10device_ptrIiEESB_iNS9_4plusIvEEiEEDaPvRmT3_T4_T5_mT6_P12ihipStream_tbENKUlT_T0_E_clISt17integral_constantIbLb0EESR_EEDaSM_SN_EUlSM_E_NS1_11comp_targetILNS1_3genE10ELNS1_11target_archE1201ELNS1_3gpuE5ELNS1_3repE0EEENS1_30default_config_static_selectorELNS0_4arch9wavefront6targetE1EEEvT1_ ; -- Begin function _ZN7rocprim17ROCPRIM_400000_NS6detail17trampoline_kernelINS0_14default_configENS1_20scan_config_selectorIiEEZZNS1_9scan_implILNS1_25lookback_scan_determinismE0ELb0ELb0ES3_N6thrust23THRUST_200600_302600_NS10device_ptrIiEESB_iNS9_4plusIvEEiEEDaPvRmT3_T4_T5_mT6_P12ihipStream_tbENKUlT_T0_E_clISt17integral_constantIbLb0EESR_EEDaSM_SN_EUlSM_E_NS1_11comp_targetILNS1_3genE10ELNS1_11target_archE1201ELNS1_3gpuE5ELNS1_3repE0EEENS1_30default_config_static_selectorELNS0_4arch9wavefront6targetE1EEEvT1_
	.globl	_ZN7rocprim17ROCPRIM_400000_NS6detail17trampoline_kernelINS0_14default_configENS1_20scan_config_selectorIiEEZZNS1_9scan_implILNS1_25lookback_scan_determinismE0ELb0ELb0ES3_N6thrust23THRUST_200600_302600_NS10device_ptrIiEESB_iNS9_4plusIvEEiEEDaPvRmT3_T4_T5_mT6_P12ihipStream_tbENKUlT_T0_E_clISt17integral_constantIbLb0EESR_EEDaSM_SN_EUlSM_E_NS1_11comp_targetILNS1_3genE10ELNS1_11target_archE1201ELNS1_3gpuE5ELNS1_3repE0EEENS1_30default_config_static_selectorELNS0_4arch9wavefront6targetE1EEEvT1_
	.p2align	8
	.type	_ZN7rocprim17ROCPRIM_400000_NS6detail17trampoline_kernelINS0_14default_configENS1_20scan_config_selectorIiEEZZNS1_9scan_implILNS1_25lookback_scan_determinismE0ELb0ELb0ES3_N6thrust23THRUST_200600_302600_NS10device_ptrIiEESB_iNS9_4plusIvEEiEEDaPvRmT3_T4_T5_mT6_P12ihipStream_tbENKUlT_T0_E_clISt17integral_constantIbLb0EESR_EEDaSM_SN_EUlSM_E_NS1_11comp_targetILNS1_3genE10ELNS1_11target_archE1201ELNS1_3gpuE5ELNS1_3repE0EEENS1_30default_config_static_selectorELNS0_4arch9wavefront6targetE1EEEvT1_,@function
_ZN7rocprim17ROCPRIM_400000_NS6detail17trampoline_kernelINS0_14default_configENS1_20scan_config_selectorIiEEZZNS1_9scan_implILNS1_25lookback_scan_determinismE0ELb0ELb0ES3_N6thrust23THRUST_200600_302600_NS10device_ptrIiEESB_iNS9_4plusIvEEiEEDaPvRmT3_T4_T5_mT6_P12ihipStream_tbENKUlT_T0_E_clISt17integral_constantIbLb0EESR_EEDaSM_SN_EUlSM_E_NS1_11comp_targetILNS1_3genE10ELNS1_11target_archE1201ELNS1_3gpuE5ELNS1_3repE0EEENS1_30default_config_static_selectorELNS0_4arch9wavefront6targetE1EEEvT1_: ; @_ZN7rocprim17ROCPRIM_400000_NS6detail17trampoline_kernelINS0_14default_configENS1_20scan_config_selectorIiEEZZNS1_9scan_implILNS1_25lookback_scan_determinismE0ELb0ELb0ES3_N6thrust23THRUST_200600_302600_NS10device_ptrIiEESB_iNS9_4plusIvEEiEEDaPvRmT3_T4_T5_mT6_P12ihipStream_tbENKUlT_T0_E_clISt17integral_constantIbLb0EESR_EEDaSM_SN_EUlSM_E_NS1_11comp_targetILNS1_3genE10ELNS1_11target_archE1201ELNS1_3gpuE5ELNS1_3repE0EEENS1_30default_config_static_selectorELNS0_4arch9wavefront6targetE1EEEvT1_
; %bb.0:
	.section	.rodata,"a",@progbits
	.p2align	6, 0x0
	.amdhsa_kernel _ZN7rocprim17ROCPRIM_400000_NS6detail17trampoline_kernelINS0_14default_configENS1_20scan_config_selectorIiEEZZNS1_9scan_implILNS1_25lookback_scan_determinismE0ELb0ELb0ES3_N6thrust23THRUST_200600_302600_NS10device_ptrIiEESB_iNS9_4plusIvEEiEEDaPvRmT3_T4_T5_mT6_P12ihipStream_tbENKUlT_T0_E_clISt17integral_constantIbLb0EESR_EEDaSM_SN_EUlSM_E_NS1_11comp_targetILNS1_3genE10ELNS1_11target_archE1201ELNS1_3gpuE5ELNS1_3repE0EEENS1_30default_config_static_selectorELNS0_4arch9wavefront6targetE1EEEvT1_
		.amdhsa_group_segment_fixed_size 0
		.amdhsa_private_segment_fixed_size 0
		.amdhsa_kernarg_size 96
		.amdhsa_user_sgpr_count 6
		.amdhsa_user_sgpr_private_segment_buffer 1
		.amdhsa_user_sgpr_dispatch_ptr 0
		.amdhsa_user_sgpr_queue_ptr 0
		.amdhsa_user_sgpr_kernarg_segment_ptr 1
		.amdhsa_user_sgpr_dispatch_id 0
		.amdhsa_user_sgpr_flat_scratch_init 0
		.amdhsa_user_sgpr_kernarg_preload_length 0
		.amdhsa_user_sgpr_kernarg_preload_offset 0
		.amdhsa_user_sgpr_private_segment_size 0
		.amdhsa_uses_dynamic_stack 0
		.amdhsa_system_sgpr_private_segment_wavefront_offset 0
		.amdhsa_system_sgpr_workgroup_id_x 1
		.amdhsa_system_sgpr_workgroup_id_y 0
		.amdhsa_system_sgpr_workgroup_id_z 0
		.amdhsa_system_sgpr_workgroup_info 0
		.amdhsa_system_vgpr_workitem_id 0
		.amdhsa_next_free_vgpr 1
		.amdhsa_next_free_sgpr 0
		.amdhsa_accum_offset 4
		.amdhsa_reserve_vcc 0
		.amdhsa_reserve_flat_scratch 0
		.amdhsa_float_round_mode_32 0
		.amdhsa_float_round_mode_16_64 0
		.amdhsa_float_denorm_mode_32 3
		.amdhsa_float_denorm_mode_16_64 3
		.amdhsa_dx10_clamp 1
		.amdhsa_ieee_mode 1
		.amdhsa_fp16_overflow 0
		.amdhsa_tg_split 0
		.amdhsa_exception_fp_ieee_invalid_op 0
		.amdhsa_exception_fp_denorm_src 0
		.amdhsa_exception_fp_ieee_div_zero 0
		.amdhsa_exception_fp_ieee_overflow 0
		.amdhsa_exception_fp_ieee_underflow 0
		.amdhsa_exception_fp_ieee_inexact 0
		.amdhsa_exception_int_div_zero 0
	.end_amdhsa_kernel
	.section	.text._ZN7rocprim17ROCPRIM_400000_NS6detail17trampoline_kernelINS0_14default_configENS1_20scan_config_selectorIiEEZZNS1_9scan_implILNS1_25lookback_scan_determinismE0ELb0ELb0ES3_N6thrust23THRUST_200600_302600_NS10device_ptrIiEESB_iNS9_4plusIvEEiEEDaPvRmT3_T4_T5_mT6_P12ihipStream_tbENKUlT_T0_E_clISt17integral_constantIbLb0EESR_EEDaSM_SN_EUlSM_E_NS1_11comp_targetILNS1_3genE10ELNS1_11target_archE1201ELNS1_3gpuE5ELNS1_3repE0EEENS1_30default_config_static_selectorELNS0_4arch9wavefront6targetE1EEEvT1_,"axG",@progbits,_ZN7rocprim17ROCPRIM_400000_NS6detail17trampoline_kernelINS0_14default_configENS1_20scan_config_selectorIiEEZZNS1_9scan_implILNS1_25lookback_scan_determinismE0ELb0ELb0ES3_N6thrust23THRUST_200600_302600_NS10device_ptrIiEESB_iNS9_4plusIvEEiEEDaPvRmT3_T4_T5_mT6_P12ihipStream_tbENKUlT_T0_E_clISt17integral_constantIbLb0EESR_EEDaSM_SN_EUlSM_E_NS1_11comp_targetILNS1_3genE10ELNS1_11target_archE1201ELNS1_3gpuE5ELNS1_3repE0EEENS1_30default_config_static_selectorELNS0_4arch9wavefront6targetE1EEEvT1_,comdat
.Lfunc_end6755:
	.size	_ZN7rocprim17ROCPRIM_400000_NS6detail17trampoline_kernelINS0_14default_configENS1_20scan_config_selectorIiEEZZNS1_9scan_implILNS1_25lookback_scan_determinismE0ELb0ELb0ES3_N6thrust23THRUST_200600_302600_NS10device_ptrIiEESB_iNS9_4plusIvEEiEEDaPvRmT3_T4_T5_mT6_P12ihipStream_tbENKUlT_T0_E_clISt17integral_constantIbLb0EESR_EEDaSM_SN_EUlSM_E_NS1_11comp_targetILNS1_3genE10ELNS1_11target_archE1201ELNS1_3gpuE5ELNS1_3repE0EEENS1_30default_config_static_selectorELNS0_4arch9wavefront6targetE1EEEvT1_, .Lfunc_end6755-_ZN7rocprim17ROCPRIM_400000_NS6detail17trampoline_kernelINS0_14default_configENS1_20scan_config_selectorIiEEZZNS1_9scan_implILNS1_25lookback_scan_determinismE0ELb0ELb0ES3_N6thrust23THRUST_200600_302600_NS10device_ptrIiEESB_iNS9_4plusIvEEiEEDaPvRmT3_T4_T5_mT6_P12ihipStream_tbENKUlT_T0_E_clISt17integral_constantIbLb0EESR_EEDaSM_SN_EUlSM_E_NS1_11comp_targetILNS1_3genE10ELNS1_11target_archE1201ELNS1_3gpuE5ELNS1_3repE0EEENS1_30default_config_static_selectorELNS0_4arch9wavefront6targetE1EEEvT1_
                                        ; -- End function
	.section	.AMDGPU.csdata,"",@progbits
; Kernel info:
; codeLenInByte = 0
; NumSgprs: 4
; NumVgprs: 0
; NumAgprs: 0
; TotalNumVgprs: 0
; ScratchSize: 0
; MemoryBound: 0
; FloatMode: 240
; IeeeMode: 1
; LDSByteSize: 0 bytes/workgroup (compile time only)
; SGPRBlocks: 0
; VGPRBlocks: 0
; NumSGPRsForWavesPerEU: 4
; NumVGPRsForWavesPerEU: 1
; AccumOffset: 4
; Occupancy: 8
; WaveLimiterHint : 0
; COMPUTE_PGM_RSRC2:SCRATCH_EN: 0
; COMPUTE_PGM_RSRC2:USER_SGPR: 6
; COMPUTE_PGM_RSRC2:TRAP_HANDLER: 0
; COMPUTE_PGM_RSRC2:TGID_X_EN: 1
; COMPUTE_PGM_RSRC2:TGID_Y_EN: 0
; COMPUTE_PGM_RSRC2:TGID_Z_EN: 0
; COMPUTE_PGM_RSRC2:TIDIG_COMP_CNT: 0
; COMPUTE_PGM_RSRC3_GFX90A:ACCUM_OFFSET: 0
; COMPUTE_PGM_RSRC3_GFX90A:TG_SPLIT: 0
	.section	.text._ZN7rocprim17ROCPRIM_400000_NS6detail17trampoline_kernelINS0_14default_configENS1_20scan_config_selectorIiEEZZNS1_9scan_implILNS1_25lookback_scan_determinismE0ELb0ELb0ES3_N6thrust23THRUST_200600_302600_NS10device_ptrIiEESB_iNS9_4plusIvEEiEEDaPvRmT3_T4_T5_mT6_P12ihipStream_tbENKUlT_T0_E_clISt17integral_constantIbLb0EESR_EEDaSM_SN_EUlSM_E_NS1_11comp_targetILNS1_3genE10ELNS1_11target_archE1200ELNS1_3gpuE4ELNS1_3repE0EEENS1_30default_config_static_selectorELNS0_4arch9wavefront6targetE1EEEvT1_,"axG",@progbits,_ZN7rocprim17ROCPRIM_400000_NS6detail17trampoline_kernelINS0_14default_configENS1_20scan_config_selectorIiEEZZNS1_9scan_implILNS1_25lookback_scan_determinismE0ELb0ELb0ES3_N6thrust23THRUST_200600_302600_NS10device_ptrIiEESB_iNS9_4plusIvEEiEEDaPvRmT3_T4_T5_mT6_P12ihipStream_tbENKUlT_T0_E_clISt17integral_constantIbLb0EESR_EEDaSM_SN_EUlSM_E_NS1_11comp_targetILNS1_3genE10ELNS1_11target_archE1200ELNS1_3gpuE4ELNS1_3repE0EEENS1_30default_config_static_selectorELNS0_4arch9wavefront6targetE1EEEvT1_,comdat
	.protected	_ZN7rocprim17ROCPRIM_400000_NS6detail17trampoline_kernelINS0_14default_configENS1_20scan_config_selectorIiEEZZNS1_9scan_implILNS1_25lookback_scan_determinismE0ELb0ELb0ES3_N6thrust23THRUST_200600_302600_NS10device_ptrIiEESB_iNS9_4plusIvEEiEEDaPvRmT3_T4_T5_mT6_P12ihipStream_tbENKUlT_T0_E_clISt17integral_constantIbLb0EESR_EEDaSM_SN_EUlSM_E_NS1_11comp_targetILNS1_3genE10ELNS1_11target_archE1200ELNS1_3gpuE4ELNS1_3repE0EEENS1_30default_config_static_selectorELNS0_4arch9wavefront6targetE1EEEvT1_ ; -- Begin function _ZN7rocprim17ROCPRIM_400000_NS6detail17trampoline_kernelINS0_14default_configENS1_20scan_config_selectorIiEEZZNS1_9scan_implILNS1_25lookback_scan_determinismE0ELb0ELb0ES3_N6thrust23THRUST_200600_302600_NS10device_ptrIiEESB_iNS9_4plusIvEEiEEDaPvRmT3_T4_T5_mT6_P12ihipStream_tbENKUlT_T0_E_clISt17integral_constantIbLb0EESR_EEDaSM_SN_EUlSM_E_NS1_11comp_targetILNS1_3genE10ELNS1_11target_archE1200ELNS1_3gpuE4ELNS1_3repE0EEENS1_30default_config_static_selectorELNS0_4arch9wavefront6targetE1EEEvT1_
	.globl	_ZN7rocprim17ROCPRIM_400000_NS6detail17trampoline_kernelINS0_14default_configENS1_20scan_config_selectorIiEEZZNS1_9scan_implILNS1_25lookback_scan_determinismE0ELb0ELb0ES3_N6thrust23THRUST_200600_302600_NS10device_ptrIiEESB_iNS9_4plusIvEEiEEDaPvRmT3_T4_T5_mT6_P12ihipStream_tbENKUlT_T0_E_clISt17integral_constantIbLb0EESR_EEDaSM_SN_EUlSM_E_NS1_11comp_targetILNS1_3genE10ELNS1_11target_archE1200ELNS1_3gpuE4ELNS1_3repE0EEENS1_30default_config_static_selectorELNS0_4arch9wavefront6targetE1EEEvT1_
	.p2align	8
	.type	_ZN7rocprim17ROCPRIM_400000_NS6detail17trampoline_kernelINS0_14default_configENS1_20scan_config_selectorIiEEZZNS1_9scan_implILNS1_25lookback_scan_determinismE0ELb0ELb0ES3_N6thrust23THRUST_200600_302600_NS10device_ptrIiEESB_iNS9_4plusIvEEiEEDaPvRmT3_T4_T5_mT6_P12ihipStream_tbENKUlT_T0_E_clISt17integral_constantIbLb0EESR_EEDaSM_SN_EUlSM_E_NS1_11comp_targetILNS1_3genE10ELNS1_11target_archE1200ELNS1_3gpuE4ELNS1_3repE0EEENS1_30default_config_static_selectorELNS0_4arch9wavefront6targetE1EEEvT1_,@function
_ZN7rocprim17ROCPRIM_400000_NS6detail17trampoline_kernelINS0_14default_configENS1_20scan_config_selectorIiEEZZNS1_9scan_implILNS1_25lookback_scan_determinismE0ELb0ELb0ES3_N6thrust23THRUST_200600_302600_NS10device_ptrIiEESB_iNS9_4plusIvEEiEEDaPvRmT3_T4_T5_mT6_P12ihipStream_tbENKUlT_T0_E_clISt17integral_constantIbLb0EESR_EEDaSM_SN_EUlSM_E_NS1_11comp_targetILNS1_3genE10ELNS1_11target_archE1200ELNS1_3gpuE4ELNS1_3repE0EEENS1_30default_config_static_selectorELNS0_4arch9wavefront6targetE1EEEvT1_: ; @_ZN7rocprim17ROCPRIM_400000_NS6detail17trampoline_kernelINS0_14default_configENS1_20scan_config_selectorIiEEZZNS1_9scan_implILNS1_25lookback_scan_determinismE0ELb0ELb0ES3_N6thrust23THRUST_200600_302600_NS10device_ptrIiEESB_iNS9_4plusIvEEiEEDaPvRmT3_T4_T5_mT6_P12ihipStream_tbENKUlT_T0_E_clISt17integral_constantIbLb0EESR_EEDaSM_SN_EUlSM_E_NS1_11comp_targetILNS1_3genE10ELNS1_11target_archE1200ELNS1_3gpuE4ELNS1_3repE0EEENS1_30default_config_static_selectorELNS0_4arch9wavefront6targetE1EEEvT1_
; %bb.0:
	.section	.rodata,"a",@progbits
	.p2align	6, 0x0
	.amdhsa_kernel _ZN7rocprim17ROCPRIM_400000_NS6detail17trampoline_kernelINS0_14default_configENS1_20scan_config_selectorIiEEZZNS1_9scan_implILNS1_25lookback_scan_determinismE0ELb0ELb0ES3_N6thrust23THRUST_200600_302600_NS10device_ptrIiEESB_iNS9_4plusIvEEiEEDaPvRmT3_T4_T5_mT6_P12ihipStream_tbENKUlT_T0_E_clISt17integral_constantIbLb0EESR_EEDaSM_SN_EUlSM_E_NS1_11comp_targetILNS1_3genE10ELNS1_11target_archE1200ELNS1_3gpuE4ELNS1_3repE0EEENS1_30default_config_static_selectorELNS0_4arch9wavefront6targetE1EEEvT1_
		.amdhsa_group_segment_fixed_size 0
		.amdhsa_private_segment_fixed_size 0
		.amdhsa_kernarg_size 96
		.amdhsa_user_sgpr_count 6
		.amdhsa_user_sgpr_private_segment_buffer 1
		.amdhsa_user_sgpr_dispatch_ptr 0
		.amdhsa_user_sgpr_queue_ptr 0
		.amdhsa_user_sgpr_kernarg_segment_ptr 1
		.amdhsa_user_sgpr_dispatch_id 0
		.amdhsa_user_sgpr_flat_scratch_init 0
		.amdhsa_user_sgpr_kernarg_preload_length 0
		.amdhsa_user_sgpr_kernarg_preload_offset 0
		.amdhsa_user_sgpr_private_segment_size 0
		.amdhsa_uses_dynamic_stack 0
		.amdhsa_system_sgpr_private_segment_wavefront_offset 0
		.amdhsa_system_sgpr_workgroup_id_x 1
		.amdhsa_system_sgpr_workgroup_id_y 0
		.amdhsa_system_sgpr_workgroup_id_z 0
		.amdhsa_system_sgpr_workgroup_info 0
		.amdhsa_system_vgpr_workitem_id 0
		.amdhsa_next_free_vgpr 1
		.amdhsa_next_free_sgpr 0
		.amdhsa_accum_offset 4
		.amdhsa_reserve_vcc 0
		.amdhsa_reserve_flat_scratch 0
		.amdhsa_float_round_mode_32 0
		.amdhsa_float_round_mode_16_64 0
		.amdhsa_float_denorm_mode_32 3
		.amdhsa_float_denorm_mode_16_64 3
		.amdhsa_dx10_clamp 1
		.amdhsa_ieee_mode 1
		.amdhsa_fp16_overflow 0
		.amdhsa_tg_split 0
		.amdhsa_exception_fp_ieee_invalid_op 0
		.amdhsa_exception_fp_denorm_src 0
		.amdhsa_exception_fp_ieee_div_zero 0
		.amdhsa_exception_fp_ieee_overflow 0
		.amdhsa_exception_fp_ieee_underflow 0
		.amdhsa_exception_fp_ieee_inexact 0
		.amdhsa_exception_int_div_zero 0
	.end_amdhsa_kernel
	.section	.text._ZN7rocprim17ROCPRIM_400000_NS6detail17trampoline_kernelINS0_14default_configENS1_20scan_config_selectorIiEEZZNS1_9scan_implILNS1_25lookback_scan_determinismE0ELb0ELb0ES3_N6thrust23THRUST_200600_302600_NS10device_ptrIiEESB_iNS9_4plusIvEEiEEDaPvRmT3_T4_T5_mT6_P12ihipStream_tbENKUlT_T0_E_clISt17integral_constantIbLb0EESR_EEDaSM_SN_EUlSM_E_NS1_11comp_targetILNS1_3genE10ELNS1_11target_archE1200ELNS1_3gpuE4ELNS1_3repE0EEENS1_30default_config_static_selectorELNS0_4arch9wavefront6targetE1EEEvT1_,"axG",@progbits,_ZN7rocprim17ROCPRIM_400000_NS6detail17trampoline_kernelINS0_14default_configENS1_20scan_config_selectorIiEEZZNS1_9scan_implILNS1_25lookback_scan_determinismE0ELb0ELb0ES3_N6thrust23THRUST_200600_302600_NS10device_ptrIiEESB_iNS9_4plusIvEEiEEDaPvRmT3_T4_T5_mT6_P12ihipStream_tbENKUlT_T0_E_clISt17integral_constantIbLb0EESR_EEDaSM_SN_EUlSM_E_NS1_11comp_targetILNS1_3genE10ELNS1_11target_archE1200ELNS1_3gpuE4ELNS1_3repE0EEENS1_30default_config_static_selectorELNS0_4arch9wavefront6targetE1EEEvT1_,comdat
.Lfunc_end6756:
	.size	_ZN7rocprim17ROCPRIM_400000_NS6detail17trampoline_kernelINS0_14default_configENS1_20scan_config_selectorIiEEZZNS1_9scan_implILNS1_25lookback_scan_determinismE0ELb0ELb0ES3_N6thrust23THRUST_200600_302600_NS10device_ptrIiEESB_iNS9_4plusIvEEiEEDaPvRmT3_T4_T5_mT6_P12ihipStream_tbENKUlT_T0_E_clISt17integral_constantIbLb0EESR_EEDaSM_SN_EUlSM_E_NS1_11comp_targetILNS1_3genE10ELNS1_11target_archE1200ELNS1_3gpuE4ELNS1_3repE0EEENS1_30default_config_static_selectorELNS0_4arch9wavefront6targetE1EEEvT1_, .Lfunc_end6756-_ZN7rocprim17ROCPRIM_400000_NS6detail17trampoline_kernelINS0_14default_configENS1_20scan_config_selectorIiEEZZNS1_9scan_implILNS1_25lookback_scan_determinismE0ELb0ELb0ES3_N6thrust23THRUST_200600_302600_NS10device_ptrIiEESB_iNS9_4plusIvEEiEEDaPvRmT3_T4_T5_mT6_P12ihipStream_tbENKUlT_T0_E_clISt17integral_constantIbLb0EESR_EEDaSM_SN_EUlSM_E_NS1_11comp_targetILNS1_3genE10ELNS1_11target_archE1200ELNS1_3gpuE4ELNS1_3repE0EEENS1_30default_config_static_selectorELNS0_4arch9wavefront6targetE1EEEvT1_
                                        ; -- End function
	.section	.AMDGPU.csdata,"",@progbits
; Kernel info:
; codeLenInByte = 0
; NumSgprs: 4
; NumVgprs: 0
; NumAgprs: 0
; TotalNumVgprs: 0
; ScratchSize: 0
; MemoryBound: 0
; FloatMode: 240
; IeeeMode: 1
; LDSByteSize: 0 bytes/workgroup (compile time only)
; SGPRBlocks: 0
; VGPRBlocks: 0
; NumSGPRsForWavesPerEU: 4
; NumVGPRsForWavesPerEU: 1
; AccumOffset: 4
; Occupancy: 8
; WaveLimiterHint : 0
; COMPUTE_PGM_RSRC2:SCRATCH_EN: 0
; COMPUTE_PGM_RSRC2:USER_SGPR: 6
; COMPUTE_PGM_RSRC2:TRAP_HANDLER: 0
; COMPUTE_PGM_RSRC2:TGID_X_EN: 1
; COMPUTE_PGM_RSRC2:TGID_Y_EN: 0
; COMPUTE_PGM_RSRC2:TGID_Z_EN: 0
; COMPUTE_PGM_RSRC2:TIDIG_COMP_CNT: 0
; COMPUTE_PGM_RSRC3_GFX90A:ACCUM_OFFSET: 0
; COMPUTE_PGM_RSRC3_GFX90A:TG_SPLIT: 0
	.section	.text._ZN7rocprim17ROCPRIM_400000_NS6detail17trampoline_kernelINS0_14default_configENS1_20scan_config_selectorIiEEZZNS1_9scan_implILNS1_25lookback_scan_determinismE0ELb0ELb0ES3_N6thrust23THRUST_200600_302600_NS10device_ptrIiEESB_iNS9_4plusIvEEiEEDaPvRmT3_T4_T5_mT6_P12ihipStream_tbENKUlT_T0_E_clISt17integral_constantIbLb0EESR_EEDaSM_SN_EUlSM_E_NS1_11comp_targetILNS1_3genE9ELNS1_11target_archE1100ELNS1_3gpuE3ELNS1_3repE0EEENS1_30default_config_static_selectorELNS0_4arch9wavefront6targetE1EEEvT1_,"axG",@progbits,_ZN7rocprim17ROCPRIM_400000_NS6detail17trampoline_kernelINS0_14default_configENS1_20scan_config_selectorIiEEZZNS1_9scan_implILNS1_25lookback_scan_determinismE0ELb0ELb0ES3_N6thrust23THRUST_200600_302600_NS10device_ptrIiEESB_iNS9_4plusIvEEiEEDaPvRmT3_T4_T5_mT6_P12ihipStream_tbENKUlT_T0_E_clISt17integral_constantIbLb0EESR_EEDaSM_SN_EUlSM_E_NS1_11comp_targetILNS1_3genE9ELNS1_11target_archE1100ELNS1_3gpuE3ELNS1_3repE0EEENS1_30default_config_static_selectorELNS0_4arch9wavefront6targetE1EEEvT1_,comdat
	.protected	_ZN7rocprim17ROCPRIM_400000_NS6detail17trampoline_kernelINS0_14default_configENS1_20scan_config_selectorIiEEZZNS1_9scan_implILNS1_25lookback_scan_determinismE0ELb0ELb0ES3_N6thrust23THRUST_200600_302600_NS10device_ptrIiEESB_iNS9_4plusIvEEiEEDaPvRmT3_T4_T5_mT6_P12ihipStream_tbENKUlT_T0_E_clISt17integral_constantIbLb0EESR_EEDaSM_SN_EUlSM_E_NS1_11comp_targetILNS1_3genE9ELNS1_11target_archE1100ELNS1_3gpuE3ELNS1_3repE0EEENS1_30default_config_static_selectorELNS0_4arch9wavefront6targetE1EEEvT1_ ; -- Begin function _ZN7rocprim17ROCPRIM_400000_NS6detail17trampoline_kernelINS0_14default_configENS1_20scan_config_selectorIiEEZZNS1_9scan_implILNS1_25lookback_scan_determinismE0ELb0ELb0ES3_N6thrust23THRUST_200600_302600_NS10device_ptrIiEESB_iNS9_4plusIvEEiEEDaPvRmT3_T4_T5_mT6_P12ihipStream_tbENKUlT_T0_E_clISt17integral_constantIbLb0EESR_EEDaSM_SN_EUlSM_E_NS1_11comp_targetILNS1_3genE9ELNS1_11target_archE1100ELNS1_3gpuE3ELNS1_3repE0EEENS1_30default_config_static_selectorELNS0_4arch9wavefront6targetE1EEEvT1_
	.globl	_ZN7rocprim17ROCPRIM_400000_NS6detail17trampoline_kernelINS0_14default_configENS1_20scan_config_selectorIiEEZZNS1_9scan_implILNS1_25lookback_scan_determinismE0ELb0ELb0ES3_N6thrust23THRUST_200600_302600_NS10device_ptrIiEESB_iNS9_4plusIvEEiEEDaPvRmT3_T4_T5_mT6_P12ihipStream_tbENKUlT_T0_E_clISt17integral_constantIbLb0EESR_EEDaSM_SN_EUlSM_E_NS1_11comp_targetILNS1_3genE9ELNS1_11target_archE1100ELNS1_3gpuE3ELNS1_3repE0EEENS1_30default_config_static_selectorELNS0_4arch9wavefront6targetE1EEEvT1_
	.p2align	8
	.type	_ZN7rocprim17ROCPRIM_400000_NS6detail17trampoline_kernelINS0_14default_configENS1_20scan_config_selectorIiEEZZNS1_9scan_implILNS1_25lookback_scan_determinismE0ELb0ELb0ES3_N6thrust23THRUST_200600_302600_NS10device_ptrIiEESB_iNS9_4plusIvEEiEEDaPvRmT3_T4_T5_mT6_P12ihipStream_tbENKUlT_T0_E_clISt17integral_constantIbLb0EESR_EEDaSM_SN_EUlSM_E_NS1_11comp_targetILNS1_3genE9ELNS1_11target_archE1100ELNS1_3gpuE3ELNS1_3repE0EEENS1_30default_config_static_selectorELNS0_4arch9wavefront6targetE1EEEvT1_,@function
_ZN7rocprim17ROCPRIM_400000_NS6detail17trampoline_kernelINS0_14default_configENS1_20scan_config_selectorIiEEZZNS1_9scan_implILNS1_25lookback_scan_determinismE0ELb0ELb0ES3_N6thrust23THRUST_200600_302600_NS10device_ptrIiEESB_iNS9_4plusIvEEiEEDaPvRmT3_T4_T5_mT6_P12ihipStream_tbENKUlT_T0_E_clISt17integral_constantIbLb0EESR_EEDaSM_SN_EUlSM_E_NS1_11comp_targetILNS1_3genE9ELNS1_11target_archE1100ELNS1_3gpuE3ELNS1_3repE0EEENS1_30default_config_static_selectorELNS0_4arch9wavefront6targetE1EEEvT1_: ; @_ZN7rocprim17ROCPRIM_400000_NS6detail17trampoline_kernelINS0_14default_configENS1_20scan_config_selectorIiEEZZNS1_9scan_implILNS1_25lookback_scan_determinismE0ELb0ELb0ES3_N6thrust23THRUST_200600_302600_NS10device_ptrIiEESB_iNS9_4plusIvEEiEEDaPvRmT3_T4_T5_mT6_P12ihipStream_tbENKUlT_T0_E_clISt17integral_constantIbLb0EESR_EEDaSM_SN_EUlSM_E_NS1_11comp_targetILNS1_3genE9ELNS1_11target_archE1100ELNS1_3gpuE3ELNS1_3repE0EEENS1_30default_config_static_selectorELNS0_4arch9wavefront6targetE1EEEvT1_
; %bb.0:
	.section	.rodata,"a",@progbits
	.p2align	6, 0x0
	.amdhsa_kernel _ZN7rocprim17ROCPRIM_400000_NS6detail17trampoline_kernelINS0_14default_configENS1_20scan_config_selectorIiEEZZNS1_9scan_implILNS1_25lookback_scan_determinismE0ELb0ELb0ES3_N6thrust23THRUST_200600_302600_NS10device_ptrIiEESB_iNS9_4plusIvEEiEEDaPvRmT3_T4_T5_mT6_P12ihipStream_tbENKUlT_T0_E_clISt17integral_constantIbLb0EESR_EEDaSM_SN_EUlSM_E_NS1_11comp_targetILNS1_3genE9ELNS1_11target_archE1100ELNS1_3gpuE3ELNS1_3repE0EEENS1_30default_config_static_selectorELNS0_4arch9wavefront6targetE1EEEvT1_
		.amdhsa_group_segment_fixed_size 0
		.amdhsa_private_segment_fixed_size 0
		.amdhsa_kernarg_size 96
		.amdhsa_user_sgpr_count 6
		.amdhsa_user_sgpr_private_segment_buffer 1
		.amdhsa_user_sgpr_dispatch_ptr 0
		.amdhsa_user_sgpr_queue_ptr 0
		.amdhsa_user_sgpr_kernarg_segment_ptr 1
		.amdhsa_user_sgpr_dispatch_id 0
		.amdhsa_user_sgpr_flat_scratch_init 0
		.amdhsa_user_sgpr_kernarg_preload_length 0
		.amdhsa_user_sgpr_kernarg_preload_offset 0
		.amdhsa_user_sgpr_private_segment_size 0
		.amdhsa_uses_dynamic_stack 0
		.amdhsa_system_sgpr_private_segment_wavefront_offset 0
		.amdhsa_system_sgpr_workgroup_id_x 1
		.amdhsa_system_sgpr_workgroup_id_y 0
		.amdhsa_system_sgpr_workgroup_id_z 0
		.amdhsa_system_sgpr_workgroup_info 0
		.amdhsa_system_vgpr_workitem_id 0
		.amdhsa_next_free_vgpr 1
		.amdhsa_next_free_sgpr 0
		.amdhsa_accum_offset 4
		.amdhsa_reserve_vcc 0
		.amdhsa_reserve_flat_scratch 0
		.amdhsa_float_round_mode_32 0
		.amdhsa_float_round_mode_16_64 0
		.amdhsa_float_denorm_mode_32 3
		.amdhsa_float_denorm_mode_16_64 3
		.amdhsa_dx10_clamp 1
		.amdhsa_ieee_mode 1
		.amdhsa_fp16_overflow 0
		.amdhsa_tg_split 0
		.amdhsa_exception_fp_ieee_invalid_op 0
		.amdhsa_exception_fp_denorm_src 0
		.amdhsa_exception_fp_ieee_div_zero 0
		.amdhsa_exception_fp_ieee_overflow 0
		.amdhsa_exception_fp_ieee_underflow 0
		.amdhsa_exception_fp_ieee_inexact 0
		.amdhsa_exception_int_div_zero 0
	.end_amdhsa_kernel
	.section	.text._ZN7rocprim17ROCPRIM_400000_NS6detail17trampoline_kernelINS0_14default_configENS1_20scan_config_selectorIiEEZZNS1_9scan_implILNS1_25lookback_scan_determinismE0ELb0ELb0ES3_N6thrust23THRUST_200600_302600_NS10device_ptrIiEESB_iNS9_4plusIvEEiEEDaPvRmT3_T4_T5_mT6_P12ihipStream_tbENKUlT_T0_E_clISt17integral_constantIbLb0EESR_EEDaSM_SN_EUlSM_E_NS1_11comp_targetILNS1_3genE9ELNS1_11target_archE1100ELNS1_3gpuE3ELNS1_3repE0EEENS1_30default_config_static_selectorELNS0_4arch9wavefront6targetE1EEEvT1_,"axG",@progbits,_ZN7rocprim17ROCPRIM_400000_NS6detail17trampoline_kernelINS0_14default_configENS1_20scan_config_selectorIiEEZZNS1_9scan_implILNS1_25lookback_scan_determinismE0ELb0ELb0ES3_N6thrust23THRUST_200600_302600_NS10device_ptrIiEESB_iNS9_4plusIvEEiEEDaPvRmT3_T4_T5_mT6_P12ihipStream_tbENKUlT_T0_E_clISt17integral_constantIbLb0EESR_EEDaSM_SN_EUlSM_E_NS1_11comp_targetILNS1_3genE9ELNS1_11target_archE1100ELNS1_3gpuE3ELNS1_3repE0EEENS1_30default_config_static_selectorELNS0_4arch9wavefront6targetE1EEEvT1_,comdat
.Lfunc_end6757:
	.size	_ZN7rocprim17ROCPRIM_400000_NS6detail17trampoline_kernelINS0_14default_configENS1_20scan_config_selectorIiEEZZNS1_9scan_implILNS1_25lookback_scan_determinismE0ELb0ELb0ES3_N6thrust23THRUST_200600_302600_NS10device_ptrIiEESB_iNS9_4plusIvEEiEEDaPvRmT3_T4_T5_mT6_P12ihipStream_tbENKUlT_T0_E_clISt17integral_constantIbLb0EESR_EEDaSM_SN_EUlSM_E_NS1_11comp_targetILNS1_3genE9ELNS1_11target_archE1100ELNS1_3gpuE3ELNS1_3repE0EEENS1_30default_config_static_selectorELNS0_4arch9wavefront6targetE1EEEvT1_, .Lfunc_end6757-_ZN7rocprim17ROCPRIM_400000_NS6detail17trampoline_kernelINS0_14default_configENS1_20scan_config_selectorIiEEZZNS1_9scan_implILNS1_25lookback_scan_determinismE0ELb0ELb0ES3_N6thrust23THRUST_200600_302600_NS10device_ptrIiEESB_iNS9_4plusIvEEiEEDaPvRmT3_T4_T5_mT6_P12ihipStream_tbENKUlT_T0_E_clISt17integral_constantIbLb0EESR_EEDaSM_SN_EUlSM_E_NS1_11comp_targetILNS1_3genE9ELNS1_11target_archE1100ELNS1_3gpuE3ELNS1_3repE0EEENS1_30default_config_static_selectorELNS0_4arch9wavefront6targetE1EEEvT1_
                                        ; -- End function
	.section	.AMDGPU.csdata,"",@progbits
; Kernel info:
; codeLenInByte = 0
; NumSgprs: 4
; NumVgprs: 0
; NumAgprs: 0
; TotalNumVgprs: 0
; ScratchSize: 0
; MemoryBound: 0
; FloatMode: 240
; IeeeMode: 1
; LDSByteSize: 0 bytes/workgroup (compile time only)
; SGPRBlocks: 0
; VGPRBlocks: 0
; NumSGPRsForWavesPerEU: 4
; NumVGPRsForWavesPerEU: 1
; AccumOffset: 4
; Occupancy: 8
; WaveLimiterHint : 0
; COMPUTE_PGM_RSRC2:SCRATCH_EN: 0
; COMPUTE_PGM_RSRC2:USER_SGPR: 6
; COMPUTE_PGM_RSRC2:TRAP_HANDLER: 0
; COMPUTE_PGM_RSRC2:TGID_X_EN: 1
; COMPUTE_PGM_RSRC2:TGID_Y_EN: 0
; COMPUTE_PGM_RSRC2:TGID_Z_EN: 0
; COMPUTE_PGM_RSRC2:TIDIG_COMP_CNT: 0
; COMPUTE_PGM_RSRC3_GFX90A:ACCUM_OFFSET: 0
; COMPUTE_PGM_RSRC3_GFX90A:TG_SPLIT: 0
	.section	.text._ZN7rocprim17ROCPRIM_400000_NS6detail17trampoline_kernelINS0_14default_configENS1_20scan_config_selectorIiEEZZNS1_9scan_implILNS1_25lookback_scan_determinismE0ELb0ELb0ES3_N6thrust23THRUST_200600_302600_NS10device_ptrIiEESB_iNS9_4plusIvEEiEEDaPvRmT3_T4_T5_mT6_P12ihipStream_tbENKUlT_T0_E_clISt17integral_constantIbLb0EESR_EEDaSM_SN_EUlSM_E_NS1_11comp_targetILNS1_3genE8ELNS1_11target_archE1030ELNS1_3gpuE2ELNS1_3repE0EEENS1_30default_config_static_selectorELNS0_4arch9wavefront6targetE1EEEvT1_,"axG",@progbits,_ZN7rocprim17ROCPRIM_400000_NS6detail17trampoline_kernelINS0_14default_configENS1_20scan_config_selectorIiEEZZNS1_9scan_implILNS1_25lookback_scan_determinismE0ELb0ELb0ES3_N6thrust23THRUST_200600_302600_NS10device_ptrIiEESB_iNS9_4plusIvEEiEEDaPvRmT3_T4_T5_mT6_P12ihipStream_tbENKUlT_T0_E_clISt17integral_constantIbLb0EESR_EEDaSM_SN_EUlSM_E_NS1_11comp_targetILNS1_3genE8ELNS1_11target_archE1030ELNS1_3gpuE2ELNS1_3repE0EEENS1_30default_config_static_selectorELNS0_4arch9wavefront6targetE1EEEvT1_,comdat
	.protected	_ZN7rocprim17ROCPRIM_400000_NS6detail17trampoline_kernelINS0_14default_configENS1_20scan_config_selectorIiEEZZNS1_9scan_implILNS1_25lookback_scan_determinismE0ELb0ELb0ES3_N6thrust23THRUST_200600_302600_NS10device_ptrIiEESB_iNS9_4plusIvEEiEEDaPvRmT3_T4_T5_mT6_P12ihipStream_tbENKUlT_T0_E_clISt17integral_constantIbLb0EESR_EEDaSM_SN_EUlSM_E_NS1_11comp_targetILNS1_3genE8ELNS1_11target_archE1030ELNS1_3gpuE2ELNS1_3repE0EEENS1_30default_config_static_selectorELNS0_4arch9wavefront6targetE1EEEvT1_ ; -- Begin function _ZN7rocprim17ROCPRIM_400000_NS6detail17trampoline_kernelINS0_14default_configENS1_20scan_config_selectorIiEEZZNS1_9scan_implILNS1_25lookback_scan_determinismE0ELb0ELb0ES3_N6thrust23THRUST_200600_302600_NS10device_ptrIiEESB_iNS9_4plusIvEEiEEDaPvRmT3_T4_T5_mT6_P12ihipStream_tbENKUlT_T0_E_clISt17integral_constantIbLb0EESR_EEDaSM_SN_EUlSM_E_NS1_11comp_targetILNS1_3genE8ELNS1_11target_archE1030ELNS1_3gpuE2ELNS1_3repE0EEENS1_30default_config_static_selectorELNS0_4arch9wavefront6targetE1EEEvT1_
	.globl	_ZN7rocprim17ROCPRIM_400000_NS6detail17trampoline_kernelINS0_14default_configENS1_20scan_config_selectorIiEEZZNS1_9scan_implILNS1_25lookback_scan_determinismE0ELb0ELb0ES3_N6thrust23THRUST_200600_302600_NS10device_ptrIiEESB_iNS9_4plusIvEEiEEDaPvRmT3_T4_T5_mT6_P12ihipStream_tbENKUlT_T0_E_clISt17integral_constantIbLb0EESR_EEDaSM_SN_EUlSM_E_NS1_11comp_targetILNS1_3genE8ELNS1_11target_archE1030ELNS1_3gpuE2ELNS1_3repE0EEENS1_30default_config_static_selectorELNS0_4arch9wavefront6targetE1EEEvT1_
	.p2align	8
	.type	_ZN7rocprim17ROCPRIM_400000_NS6detail17trampoline_kernelINS0_14default_configENS1_20scan_config_selectorIiEEZZNS1_9scan_implILNS1_25lookback_scan_determinismE0ELb0ELb0ES3_N6thrust23THRUST_200600_302600_NS10device_ptrIiEESB_iNS9_4plusIvEEiEEDaPvRmT3_T4_T5_mT6_P12ihipStream_tbENKUlT_T0_E_clISt17integral_constantIbLb0EESR_EEDaSM_SN_EUlSM_E_NS1_11comp_targetILNS1_3genE8ELNS1_11target_archE1030ELNS1_3gpuE2ELNS1_3repE0EEENS1_30default_config_static_selectorELNS0_4arch9wavefront6targetE1EEEvT1_,@function
_ZN7rocprim17ROCPRIM_400000_NS6detail17trampoline_kernelINS0_14default_configENS1_20scan_config_selectorIiEEZZNS1_9scan_implILNS1_25lookback_scan_determinismE0ELb0ELb0ES3_N6thrust23THRUST_200600_302600_NS10device_ptrIiEESB_iNS9_4plusIvEEiEEDaPvRmT3_T4_T5_mT6_P12ihipStream_tbENKUlT_T0_E_clISt17integral_constantIbLb0EESR_EEDaSM_SN_EUlSM_E_NS1_11comp_targetILNS1_3genE8ELNS1_11target_archE1030ELNS1_3gpuE2ELNS1_3repE0EEENS1_30default_config_static_selectorELNS0_4arch9wavefront6targetE1EEEvT1_: ; @_ZN7rocprim17ROCPRIM_400000_NS6detail17trampoline_kernelINS0_14default_configENS1_20scan_config_selectorIiEEZZNS1_9scan_implILNS1_25lookback_scan_determinismE0ELb0ELb0ES3_N6thrust23THRUST_200600_302600_NS10device_ptrIiEESB_iNS9_4plusIvEEiEEDaPvRmT3_T4_T5_mT6_P12ihipStream_tbENKUlT_T0_E_clISt17integral_constantIbLb0EESR_EEDaSM_SN_EUlSM_E_NS1_11comp_targetILNS1_3genE8ELNS1_11target_archE1030ELNS1_3gpuE2ELNS1_3repE0EEENS1_30default_config_static_selectorELNS0_4arch9wavefront6targetE1EEEvT1_
; %bb.0:
	.section	.rodata,"a",@progbits
	.p2align	6, 0x0
	.amdhsa_kernel _ZN7rocprim17ROCPRIM_400000_NS6detail17trampoline_kernelINS0_14default_configENS1_20scan_config_selectorIiEEZZNS1_9scan_implILNS1_25lookback_scan_determinismE0ELb0ELb0ES3_N6thrust23THRUST_200600_302600_NS10device_ptrIiEESB_iNS9_4plusIvEEiEEDaPvRmT3_T4_T5_mT6_P12ihipStream_tbENKUlT_T0_E_clISt17integral_constantIbLb0EESR_EEDaSM_SN_EUlSM_E_NS1_11comp_targetILNS1_3genE8ELNS1_11target_archE1030ELNS1_3gpuE2ELNS1_3repE0EEENS1_30default_config_static_selectorELNS0_4arch9wavefront6targetE1EEEvT1_
		.amdhsa_group_segment_fixed_size 0
		.amdhsa_private_segment_fixed_size 0
		.amdhsa_kernarg_size 96
		.amdhsa_user_sgpr_count 6
		.amdhsa_user_sgpr_private_segment_buffer 1
		.amdhsa_user_sgpr_dispatch_ptr 0
		.amdhsa_user_sgpr_queue_ptr 0
		.amdhsa_user_sgpr_kernarg_segment_ptr 1
		.amdhsa_user_sgpr_dispatch_id 0
		.amdhsa_user_sgpr_flat_scratch_init 0
		.amdhsa_user_sgpr_kernarg_preload_length 0
		.amdhsa_user_sgpr_kernarg_preload_offset 0
		.amdhsa_user_sgpr_private_segment_size 0
		.amdhsa_uses_dynamic_stack 0
		.amdhsa_system_sgpr_private_segment_wavefront_offset 0
		.amdhsa_system_sgpr_workgroup_id_x 1
		.amdhsa_system_sgpr_workgroup_id_y 0
		.amdhsa_system_sgpr_workgroup_id_z 0
		.amdhsa_system_sgpr_workgroup_info 0
		.amdhsa_system_vgpr_workitem_id 0
		.amdhsa_next_free_vgpr 1
		.amdhsa_next_free_sgpr 0
		.amdhsa_accum_offset 4
		.amdhsa_reserve_vcc 0
		.amdhsa_reserve_flat_scratch 0
		.amdhsa_float_round_mode_32 0
		.amdhsa_float_round_mode_16_64 0
		.amdhsa_float_denorm_mode_32 3
		.amdhsa_float_denorm_mode_16_64 3
		.amdhsa_dx10_clamp 1
		.amdhsa_ieee_mode 1
		.amdhsa_fp16_overflow 0
		.amdhsa_tg_split 0
		.amdhsa_exception_fp_ieee_invalid_op 0
		.amdhsa_exception_fp_denorm_src 0
		.amdhsa_exception_fp_ieee_div_zero 0
		.amdhsa_exception_fp_ieee_overflow 0
		.amdhsa_exception_fp_ieee_underflow 0
		.amdhsa_exception_fp_ieee_inexact 0
		.amdhsa_exception_int_div_zero 0
	.end_amdhsa_kernel
	.section	.text._ZN7rocprim17ROCPRIM_400000_NS6detail17trampoline_kernelINS0_14default_configENS1_20scan_config_selectorIiEEZZNS1_9scan_implILNS1_25lookback_scan_determinismE0ELb0ELb0ES3_N6thrust23THRUST_200600_302600_NS10device_ptrIiEESB_iNS9_4plusIvEEiEEDaPvRmT3_T4_T5_mT6_P12ihipStream_tbENKUlT_T0_E_clISt17integral_constantIbLb0EESR_EEDaSM_SN_EUlSM_E_NS1_11comp_targetILNS1_3genE8ELNS1_11target_archE1030ELNS1_3gpuE2ELNS1_3repE0EEENS1_30default_config_static_selectorELNS0_4arch9wavefront6targetE1EEEvT1_,"axG",@progbits,_ZN7rocprim17ROCPRIM_400000_NS6detail17trampoline_kernelINS0_14default_configENS1_20scan_config_selectorIiEEZZNS1_9scan_implILNS1_25lookback_scan_determinismE0ELb0ELb0ES3_N6thrust23THRUST_200600_302600_NS10device_ptrIiEESB_iNS9_4plusIvEEiEEDaPvRmT3_T4_T5_mT6_P12ihipStream_tbENKUlT_T0_E_clISt17integral_constantIbLb0EESR_EEDaSM_SN_EUlSM_E_NS1_11comp_targetILNS1_3genE8ELNS1_11target_archE1030ELNS1_3gpuE2ELNS1_3repE0EEENS1_30default_config_static_selectorELNS0_4arch9wavefront6targetE1EEEvT1_,comdat
.Lfunc_end6758:
	.size	_ZN7rocprim17ROCPRIM_400000_NS6detail17trampoline_kernelINS0_14default_configENS1_20scan_config_selectorIiEEZZNS1_9scan_implILNS1_25lookback_scan_determinismE0ELb0ELb0ES3_N6thrust23THRUST_200600_302600_NS10device_ptrIiEESB_iNS9_4plusIvEEiEEDaPvRmT3_T4_T5_mT6_P12ihipStream_tbENKUlT_T0_E_clISt17integral_constantIbLb0EESR_EEDaSM_SN_EUlSM_E_NS1_11comp_targetILNS1_3genE8ELNS1_11target_archE1030ELNS1_3gpuE2ELNS1_3repE0EEENS1_30default_config_static_selectorELNS0_4arch9wavefront6targetE1EEEvT1_, .Lfunc_end6758-_ZN7rocprim17ROCPRIM_400000_NS6detail17trampoline_kernelINS0_14default_configENS1_20scan_config_selectorIiEEZZNS1_9scan_implILNS1_25lookback_scan_determinismE0ELb0ELb0ES3_N6thrust23THRUST_200600_302600_NS10device_ptrIiEESB_iNS9_4plusIvEEiEEDaPvRmT3_T4_T5_mT6_P12ihipStream_tbENKUlT_T0_E_clISt17integral_constantIbLb0EESR_EEDaSM_SN_EUlSM_E_NS1_11comp_targetILNS1_3genE8ELNS1_11target_archE1030ELNS1_3gpuE2ELNS1_3repE0EEENS1_30default_config_static_selectorELNS0_4arch9wavefront6targetE1EEEvT1_
                                        ; -- End function
	.section	.AMDGPU.csdata,"",@progbits
; Kernel info:
; codeLenInByte = 0
; NumSgprs: 4
; NumVgprs: 0
; NumAgprs: 0
; TotalNumVgprs: 0
; ScratchSize: 0
; MemoryBound: 0
; FloatMode: 240
; IeeeMode: 1
; LDSByteSize: 0 bytes/workgroup (compile time only)
; SGPRBlocks: 0
; VGPRBlocks: 0
; NumSGPRsForWavesPerEU: 4
; NumVGPRsForWavesPerEU: 1
; AccumOffset: 4
; Occupancy: 8
; WaveLimiterHint : 0
; COMPUTE_PGM_RSRC2:SCRATCH_EN: 0
; COMPUTE_PGM_RSRC2:USER_SGPR: 6
; COMPUTE_PGM_RSRC2:TRAP_HANDLER: 0
; COMPUTE_PGM_RSRC2:TGID_X_EN: 1
; COMPUTE_PGM_RSRC2:TGID_Y_EN: 0
; COMPUTE_PGM_RSRC2:TGID_Z_EN: 0
; COMPUTE_PGM_RSRC2:TIDIG_COMP_CNT: 0
; COMPUTE_PGM_RSRC3_GFX90A:ACCUM_OFFSET: 0
; COMPUTE_PGM_RSRC3_GFX90A:TG_SPLIT: 0
	.section	.text._ZN7rocprim17ROCPRIM_400000_NS6detail17trampoline_kernelINS0_14default_configENS1_20scan_config_selectorIiEEZZNS1_9scan_implILNS1_25lookback_scan_determinismE0ELb0ELb0ES3_N6thrust23THRUST_200600_302600_NS10device_ptrIiEESB_iNS9_4plusIvEEiEEDaPvRmT3_T4_T5_mT6_P12ihipStream_tbENKUlT_T0_E_clISt17integral_constantIbLb0EESR_EEDaSM_SN_EUlSM_E0_NS1_11comp_targetILNS1_3genE0ELNS1_11target_archE4294967295ELNS1_3gpuE0ELNS1_3repE0EEENS1_30default_config_static_selectorELNS0_4arch9wavefront6targetE1EEEvT1_,"axG",@progbits,_ZN7rocprim17ROCPRIM_400000_NS6detail17trampoline_kernelINS0_14default_configENS1_20scan_config_selectorIiEEZZNS1_9scan_implILNS1_25lookback_scan_determinismE0ELb0ELb0ES3_N6thrust23THRUST_200600_302600_NS10device_ptrIiEESB_iNS9_4plusIvEEiEEDaPvRmT3_T4_T5_mT6_P12ihipStream_tbENKUlT_T0_E_clISt17integral_constantIbLb0EESR_EEDaSM_SN_EUlSM_E0_NS1_11comp_targetILNS1_3genE0ELNS1_11target_archE4294967295ELNS1_3gpuE0ELNS1_3repE0EEENS1_30default_config_static_selectorELNS0_4arch9wavefront6targetE1EEEvT1_,comdat
	.protected	_ZN7rocprim17ROCPRIM_400000_NS6detail17trampoline_kernelINS0_14default_configENS1_20scan_config_selectorIiEEZZNS1_9scan_implILNS1_25lookback_scan_determinismE0ELb0ELb0ES3_N6thrust23THRUST_200600_302600_NS10device_ptrIiEESB_iNS9_4plusIvEEiEEDaPvRmT3_T4_T5_mT6_P12ihipStream_tbENKUlT_T0_E_clISt17integral_constantIbLb0EESR_EEDaSM_SN_EUlSM_E0_NS1_11comp_targetILNS1_3genE0ELNS1_11target_archE4294967295ELNS1_3gpuE0ELNS1_3repE0EEENS1_30default_config_static_selectorELNS0_4arch9wavefront6targetE1EEEvT1_ ; -- Begin function _ZN7rocprim17ROCPRIM_400000_NS6detail17trampoline_kernelINS0_14default_configENS1_20scan_config_selectorIiEEZZNS1_9scan_implILNS1_25lookback_scan_determinismE0ELb0ELb0ES3_N6thrust23THRUST_200600_302600_NS10device_ptrIiEESB_iNS9_4plusIvEEiEEDaPvRmT3_T4_T5_mT6_P12ihipStream_tbENKUlT_T0_E_clISt17integral_constantIbLb0EESR_EEDaSM_SN_EUlSM_E0_NS1_11comp_targetILNS1_3genE0ELNS1_11target_archE4294967295ELNS1_3gpuE0ELNS1_3repE0EEENS1_30default_config_static_selectorELNS0_4arch9wavefront6targetE1EEEvT1_
	.globl	_ZN7rocprim17ROCPRIM_400000_NS6detail17trampoline_kernelINS0_14default_configENS1_20scan_config_selectorIiEEZZNS1_9scan_implILNS1_25lookback_scan_determinismE0ELb0ELb0ES3_N6thrust23THRUST_200600_302600_NS10device_ptrIiEESB_iNS9_4plusIvEEiEEDaPvRmT3_T4_T5_mT6_P12ihipStream_tbENKUlT_T0_E_clISt17integral_constantIbLb0EESR_EEDaSM_SN_EUlSM_E0_NS1_11comp_targetILNS1_3genE0ELNS1_11target_archE4294967295ELNS1_3gpuE0ELNS1_3repE0EEENS1_30default_config_static_selectorELNS0_4arch9wavefront6targetE1EEEvT1_
	.p2align	8
	.type	_ZN7rocprim17ROCPRIM_400000_NS6detail17trampoline_kernelINS0_14default_configENS1_20scan_config_selectorIiEEZZNS1_9scan_implILNS1_25lookback_scan_determinismE0ELb0ELb0ES3_N6thrust23THRUST_200600_302600_NS10device_ptrIiEESB_iNS9_4plusIvEEiEEDaPvRmT3_T4_T5_mT6_P12ihipStream_tbENKUlT_T0_E_clISt17integral_constantIbLb0EESR_EEDaSM_SN_EUlSM_E0_NS1_11comp_targetILNS1_3genE0ELNS1_11target_archE4294967295ELNS1_3gpuE0ELNS1_3repE0EEENS1_30default_config_static_selectorELNS0_4arch9wavefront6targetE1EEEvT1_,@function
_ZN7rocprim17ROCPRIM_400000_NS6detail17trampoline_kernelINS0_14default_configENS1_20scan_config_selectorIiEEZZNS1_9scan_implILNS1_25lookback_scan_determinismE0ELb0ELb0ES3_N6thrust23THRUST_200600_302600_NS10device_ptrIiEESB_iNS9_4plusIvEEiEEDaPvRmT3_T4_T5_mT6_P12ihipStream_tbENKUlT_T0_E_clISt17integral_constantIbLb0EESR_EEDaSM_SN_EUlSM_E0_NS1_11comp_targetILNS1_3genE0ELNS1_11target_archE4294967295ELNS1_3gpuE0ELNS1_3repE0EEENS1_30default_config_static_selectorELNS0_4arch9wavefront6targetE1EEEvT1_: ; @_ZN7rocprim17ROCPRIM_400000_NS6detail17trampoline_kernelINS0_14default_configENS1_20scan_config_selectorIiEEZZNS1_9scan_implILNS1_25lookback_scan_determinismE0ELb0ELb0ES3_N6thrust23THRUST_200600_302600_NS10device_ptrIiEESB_iNS9_4plusIvEEiEEDaPvRmT3_T4_T5_mT6_P12ihipStream_tbENKUlT_T0_E_clISt17integral_constantIbLb0EESR_EEDaSM_SN_EUlSM_E0_NS1_11comp_targetILNS1_3genE0ELNS1_11target_archE4294967295ELNS1_3gpuE0ELNS1_3repE0EEENS1_30default_config_static_selectorELNS0_4arch9wavefront6targetE1EEEvT1_
; %bb.0:
	.section	.rodata,"a",@progbits
	.p2align	6, 0x0
	.amdhsa_kernel _ZN7rocprim17ROCPRIM_400000_NS6detail17trampoline_kernelINS0_14default_configENS1_20scan_config_selectorIiEEZZNS1_9scan_implILNS1_25lookback_scan_determinismE0ELb0ELb0ES3_N6thrust23THRUST_200600_302600_NS10device_ptrIiEESB_iNS9_4plusIvEEiEEDaPvRmT3_T4_T5_mT6_P12ihipStream_tbENKUlT_T0_E_clISt17integral_constantIbLb0EESR_EEDaSM_SN_EUlSM_E0_NS1_11comp_targetILNS1_3genE0ELNS1_11target_archE4294967295ELNS1_3gpuE0ELNS1_3repE0EEENS1_30default_config_static_selectorELNS0_4arch9wavefront6targetE1EEEvT1_
		.amdhsa_group_segment_fixed_size 0
		.amdhsa_private_segment_fixed_size 0
		.amdhsa_kernarg_size 32
		.amdhsa_user_sgpr_count 6
		.amdhsa_user_sgpr_private_segment_buffer 1
		.amdhsa_user_sgpr_dispatch_ptr 0
		.amdhsa_user_sgpr_queue_ptr 0
		.amdhsa_user_sgpr_kernarg_segment_ptr 1
		.amdhsa_user_sgpr_dispatch_id 0
		.amdhsa_user_sgpr_flat_scratch_init 0
		.amdhsa_user_sgpr_kernarg_preload_length 0
		.amdhsa_user_sgpr_kernarg_preload_offset 0
		.amdhsa_user_sgpr_private_segment_size 0
		.amdhsa_uses_dynamic_stack 0
		.amdhsa_system_sgpr_private_segment_wavefront_offset 0
		.amdhsa_system_sgpr_workgroup_id_x 1
		.amdhsa_system_sgpr_workgroup_id_y 0
		.amdhsa_system_sgpr_workgroup_id_z 0
		.amdhsa_system_sgpr_workgroup_info 0
		.amdhsa_system_vgpr_workitem_id 0
		.amdhsa_next_free_vgpr 1
		.amdhsa_next_free_sgpr 0
		.amdhsa_accum_offset 4
		.amdhsa_reserve_vcc 0
		.amdhsa_reserve_flat_scratch 0
		.amdhsa_float_round_mode_32 0
		.amdhsa_float_round_mode_16_64 0
		.amdhsa_float_denorm_mode_32 3
		.amdhsa_float_denorm_mode_16_64 3
		.amdhsa_dx10_clamp 1
		.amdhsa_ieee_mode 1
		.amdhsa_fp16_overflow 0
		.amdhsa_tg_split 0
		.amdhsa_exception_fp_ieee_invalid_op 0
		.amdhsa_exception_fp_denorm_src 0
		.amdhsa_exception_fp_ieee_div_zero 0
		.amdhsa_exception_fp_ieee_overflow 0
		.amdhsa_exception_fp_ieee_underflow 0
		.amdhsa_exception_fp_ieee_inexact 0
		.amdhsa_exception_int_div_zero 0
	.end_amdhsa_kernel
	.section	.text._ZN7rocprim17ROCPRIM_400000_NS6detail17trampoline_kernelINS0_14default_configENS1_20scan_config_selectorIiEEZZNS1_9scan_implILNS1_25lookback_scan_determinismE0ELb0ELb0ES3_N6thrust23THRUST_200600_302600_NS10device_ptrIiEESB_iNS9_4plusIvEEiEEDaPvRmT3_T4_T5_mT6_P12ihipStream_tbENKUlT_T0_E_clISt17integral_constantIbLb0EESR_EEDaSM_SN_EUlSM_E0_NS1_11comp_targetILNS1_3genE0ELNS1_11target_archE4294967295ELNS1_3gpuE0ELNS1_3repE0EEENS1_30default_config_static_selectorELNS0_4arch9wavefront6targetE1EEEvT1_,"axG",@progbits,_ZN7rocprim17ROCPRIM_400000_NS6detail17trampoline_kernelINS0_14default_configENS1_20scan_config_selectorIiEEZZNS1_9scan_implILNS1_25lookback_scan_determinismE0ELb0ELb0ES3_N6thrust23THRUST_200600_302600_NS10device_ptrIiEESB_iNS9_4plusIvEEiEEDaPvRmT3_T4_T5_mT6_P12ihipStream_tbENKUlT_T0_E_clISt17integral_constantIbLb0EESR_EEDaSM_SN_EUlSM_E0_NS1_11comp_targetILNS1_3genE0ELNS1_11target_archE4294967295ELNS1_3gpuE0ELNS1_3repE0EEENS1_30default_config_static_selectorELNS0_4arch9wavefront6targetE1EEEvT1_,comdat
.Lfunc_end6759:
	.size	_ZN7rocprim17ROCPRIM_400000_NS6detail17trampoline_kernelINS0_14default_configENS1_20scan_config_selectorIiEEZZNS1_9scan_implILNS1_25lookback_scan_determinismE0ELb0ELb0ES3_N6thrust23THRUST_200600_302600_NS10device_ptrIiEESB_iNS9_4plusIvEEiEEDaPvRmT3_T4_T5_mT6_P12ihipStream_tbENKUlT_T0_E_clISt17integral_constantIbLb0EESR_EEDaSM_SN_EUlSM_E0_NS1_11comp_targetILNS1_3genE0ELNS1_11target_archE4294967295ELNS1_3gpuE0ELNS1_3repE0EEENS1_30default_config_static_selectorELNS0_4arch9wavefront6targetE1EEEvT1_, .Lfunc_end6759-_ZN7rocprim17ROCPRIM_400000_NS6detail17trampoline_kernelINS0_14default_configENS1_20scan_config_selectorIiEEZZNS1_9scan_implILNS1_25lookback_scan_determinismE0ELb0ELb0ES3_N6thrust23THRUST_200600_302600_NS10device_ptrIiEESB_iNS9_4plusIvEEiEEDaPvRmT3_T4_T5_mT6_P12ihipStream_tbENKUlT_T0_E_clISt17integral_constantIbLb0EESR_EEDaSM_SN_EUlSM_E0_NS1_11comp_targetILNS1_3genE0ELNS1_11target_archE4294967295ELNS1_3gpuE0ELNS1_3repE0EEENS1_30default_config_static_selectorELNS0_4arch9wavefront6targetE1EEEvT1_
                                        ; -- End function
	.section	.AMDGPU.csdata,"",@progbits
; Kernel info:
; codeLenInByte = 0
; NumSgprs: 4
; NumVgprs: 0
; NumAgprs: 0
; TotalNumVgprs: 0
; ScratchSize: 0
; MemoryBound: 0
; FloatMode: 240
; IeeeMode: 1
; LDSByteSize: 0 bytes/workgroup (compile time only)
; SGPRBlocks: 0
; VGPRBlocks: 0
; NumSGPRsForWavesPerEU: 4
; NumVGPRsForWavesPerEU: 1
; AccumOffset: 4
; Occupancy: 8
; WaveLimiterHint : 0
; COMPUTE_PGM_RSRC2:SCRATCH_EN: 0
; COMPUTE_PGM_RSRC2:USER_SGPR: 6
; COMPUTE_PGM_RSRC2:TRAP_HANDLER: 0
; COMPUTE_PGM_RSRC2:TGID_X_EN: 1
; COMPUTE_PGM_RSRC2:TGID_Y_EN: 0
; COMPUTE_PGM_RSRC2:TGID_Z_EN: 0
; COMPUTE_PGM_RSRC2:TIDIG_COMP_CNT: 0
; COMPUTE_PGM_RSRC3_GFX90A:ACCUM_OFFSET: 0
; COMPUTE_PGM_RSRC3_GFX90A:TG_SPLIT: 0
	.section	.text._ZN7rocprim17ROCPRIM_400000_NS6detail17trampoline_kernelINS0_14default_configENS1_20scan_config_selectorIiEEZZNS1_9scan_implILNS1_25lookback_scan_determinismE0ELb0ELb0ES3_N6thrust23THRUST_200600_302600_NS10device_ptrIiEESB_iNS9_4plusIvEEiEEDaPvRmT3_T4_T5_mT6_P12ihipStream_tbENKUlT_T0_E_clISt17integral_constantIbLb0EESR_EEDaSM_SN_EUlSM_E0_NS1_11comp_targetILNS1_3genE5ELNS1_11target_archE942ELNS1_3gpuE9ELNS1_3repE0EEENS1_30default_config_static_selectorELNS0_4arch9wavefront6targetE1EEEvT1_,"axG",@progbits,_ZN7rocprim17ROCPRIM_400000_NS6detail17trampoline_kernelINS0_14default_configENS1_20scan_config_selectorIiEEZZNS1_9scan_implILNS1_25lookback_scan_determinismE0ELb0ELb0ES3_N6thrust23THRUST_200600_302600_NS10device_ptrIiEESB_iNS9_4plusIvEEiEEDaPvRmT3_T4_T5_mT6_P12ihipStream_tbENKUlT_T0_E_clISt17integral_constantIbLb0EESR_EEDaSM_SN_EUlSM_E0_NS1_11comp_targetILNS1_3genE5ELNS1_11target_archE942ELNS1_3gpuE9ELNS1_3repE0EEENS1_30default_config_static_selectorELNS0_4arch9wavefront6targetE1EEEvT1_,comdat
	.protected	_ZN7rocprim17ROCPRIM_400000_NS6detail17trampoline_kernelINS0_14default_configENS1_20scan_config_selectorIiEEZZNS1_9scan_implILNS1_25lookback_scan_determinismE0ELb0ELb0ES3_N6thrust23THRUST_200600_302600_NS10device_ptrIiEESB_iNS9_4plusIvEEiEEDaPvRmT3_T4_T5_mT6_P12ihipStream_tbENKUlT_T0_E_clISt17integral_constantIbLb0EESR_EEDaSM_SN_EUlSM_E0_NS1_11comp_targetILNS1_3genE5ELNS1_11target_archE942ELNS1_3gpuE9ELNS1_3repE0EEENS1_30default_config_static_selectorELNS0_4arch9wavefront6targetE1EEEvT1_ ; -- Begin function _ZN7rocprim17ROCPRIM_400000_NS6detail17trampoline_kernelINS0_14default_configENS1_20scan_config_selectorIiEEZZNS1_9scan_implILNS1_25lookback_scan_determinismE0ELb0ELb0ES3_N6thrust23THRUST_200600_302600_NS10device_ptrIiEESB_iNS9_4plusIvEEiEEDaPvRmT3_T4_T5_mT6_P12ihipStream_tbENKUlT_T0_E_clISt17integral_constantIbLb0EESR_EEDaSM_SN_EUlSM_E0_NS1_11comp_targetILNS1_3genE5ELNS1_11target_archE942ELNS1_3gpuE9ELNS1_3repE0EEENS1_30default_config_static_selectorELNS0_4arch9wavefront6targetE1EEEvT1_
	.globl	_ZN7rocprim17ROCPRIM_400000_NS6detail17trampoline_kernelINS0_14default_configENS1_20scan_config_selectorIiEEZZNS1_9scan_implILNS1_25lookback_scan_determinismE0ELb0ELb0ES3_N6thrust23THRUST_200600_302600_NS10device_ptrIiEESB_iNS9_4plusIvEEiEEDaPvRmT3_T4_T5_mT6_P12ihipStream_tbENKUlT_T0_E_clISt17integral_constantIbLb0EESR_EEDaSM_SN_EUlSM_E0_NS1_11comp_targetILNS1_3genE5ELNS1_11target_archE942ELNS1_3gpuE9ELNS1_3repE0EEENS1_30default_config_static_selectorELNS0_4arch9wavefront6targetE1EEEvT1_
	.p2align	8
	.type	_ZN7rocprim17ROCPRIM_400000_NS6detail17trampoline_kernelINS0_14default_configENS1_20scan_config_selectorIiEEZZNS1_9scan_implILNS1_25lookback_scan_determinismE0ELb0ELb0ES3_N6thrust23THRUST_200600_302600_NS10device_ptrIiEESB_iNS9_4plusIvEEiEEDaPvRmT3_T4_T5_mT6_P12ihipStream_tbENKUlT_T0_E_clISt17integral_constantIbLb0EESR_EEDaSM_SN_EUlSM_E0_NS1_11comp_targetILNS1_3genE5ELNS1_11target_archE942ELNS1_3gpuE9ELNS1_3repE0EEENS1_30default_config_static_selectorELNS0_4arch9wavefront6targetE1EEEvT1_,@function
_ZN7rocprim17ROCPRIM_400000_NS6detail17trampoline_kernelINS0_14default_configENS1_20scan_config_selectorIiEEZZNS1_9scan_implILNS1_25lookback_scan_determinismE0ELb0ELb0ES3_N6thrust23THRUST_200600_302600_NS10device_ptrIiEESB_iNS9_4plusIvEEiEEDaPvRmT3_T4_T5_mT6_P12ihipStream_tbENKUlT_T0_E_clISt17integral_constantIbLb0EESR_EEDaSM_SN_EUlSM_E0_NS1_11comp_targetILNS1_3genE5ELNS1_11target_archE942ELNS1_3gpuE9ELNS1_3repE0EEENS1_30default_config_static_selectorELNS0_4arch9wavefront6targetE1EEEvT1_: ; @_ZN7rocprim17ROCPRIM_400000_NS6detail17trampoline_kernelINS0_14default_configENS1_20scan_config_selectorIiEEZZNS1_9scan_implILNS1_25lookback_scan_determinismE0ELb0ELb0ES3_N6thrust23THRUST_200600_302600_NS10device_ptrIiEESB_iNS9_4plusIvEEiEEDaPvRmT3_T4_T5_mT6_P12ihipStream_tbENKUlT_T0_E_clISt17integral_constantIbLb0EESR_EEDaSM_SN_EUlSM_E0_NS1_11comp_targetILNS1_3genE5ELNS1_11target_archE942ELNS1_3gpuE9ELNS1_3repE0EEENS1_30default_config_static_selectorELNS0_4arch9wavefront6targetE1EEEvT1_
; %bb.0:
	.section	.rodata,"a",@progbits
	.p2align	6, 0x0
	.amdhsa_kernel _ZN7rocprim17ROCPRIM_400000_NS6detail17trampoline_kernelINS0_14default_configENS1_20scan_config_selectorIiEEZZNS1_9scan_implILNS1_25lookback_scan_determinismE0ELb0ELb0ES3_N6thrust23THRUST_200600_302600_NS10device_ptrIiEESB_iNS9_4plusIvEEiEEDaPvRmT3_T4_T5_mT6_P12ihipStream_tbENKUlT_T0_E_clISt17integral_constantIbLb0EESR_EEDaSM_SN_EUlSM_E0_NS1_11comp_targetILNS1_3genE5ELNS1_11target_archE942ELNS1_3gpuE9ELNS1_3repE0EEENS1_30default_config_static_selectorELNS0_4arch9wavefront6targetE1EEEvT1_
		.amdhsa_group_segment_fixed_size 0
		.amdhsa_private_segment_fixed_size 0
		.amdhsa_kernarg_size 32
		.amdhsa_user_sgpr_count 6
		.amdhsa_user_sgpr_private_segment_buffer 1
		.amdhsa_user_sgpr_dispatch_ptr 0
		.amdhsa_user_sgpr_queue_ptr 0
		.amdhsa_user_sgpr_kernarg_segment_ptr 1
		.amdhsa_user_sgpr_dispatch_id 0
		.amdhsa_user_sgpr_flat_scratch_init 0
		.amdhsa_user_sgpr_kernarg_preload_length 0
		.amdhsa_user_sgpr_kernarg_preload_offset 0
		.amdhsa_user_sgpr_private_segment_size 0
		.amdhsa_uses_dynamic_stack 0
		.amdhsa_system_sgpr_private_segment_wavefront_offset 0
		.amdhsa_system_sgpr_workgroup_id_x 1
		.amdhsa_system_sgpr_workgroup_id_y 0
		.amdhsa_system_sgpr_workgroup_id_z 0
		.amdhsa_system_sgpr_workgroup_info 0
		.amdhsa_system_vgpr_workitem_id 0
		.amdhsa_next_free_vgpr 1
		.amdhsa_next_free_sgpr 0
		.amdhsa_accum_offset 4
		.amdhsa_reserve_vcc 0
		.amdhsa_reserve_flat_scratch 0
		.amdhsa_float_round_mode_32 0
		.amdhsa_float_round_mode_16_64 0
		.amdhsa_float_denorm_mode_32 3
		.amdhsa_float_denorm_mode_16_64 3
		.amdhsa_dx10_clamp 1
		.amdhsa_ieee_mode 1
		.amdhsa_fp16_overflow 0
		.amdhsa_tg_split 0
		.amdhsa_exception_fp_ieee_invalid_op 0
		.amdhsa_exception_fp_denorm_src 0
		.amdhsa_exception_fp_ieee_div_zero 0
		.amdhsa_exception_fp_ieee_overflow 0
		.amdhsa_exception_fp_ieee_underflow 0
		.amdhsa_exception_fp_ieee_inexact 0
		.amdhsa_exception_int_div_zero 0
	.end_amdhsa_kernel
	.section	.text._ZN7rocprim17ROCPRIM_400000_NS6detail17trampoline_kernelINS0_14default_configENS1_20scan_config_selectorIiEEZZNS1_9scan_implILNS1_25lookback_scan_determinismE0ELb0ELb0ES3_N6thrust23THRUST_200600_302600_NS10device_ptrIiEESB_iNS9_4plusIvEEiEEDaPvRmT3_T4_T5_mT6_P12ihipStream_tbENKUlT_T0_E_clISt17integral_constantIbLb0EESR_EEDaSM_SN_EUlSM_E0_NS1_11comp_targetILNS1_3genE5ELNS1_11target_archE942ELNS1_3gpuE9ELNS1_3repE0EEENS1_30default_config_static_selectorELNS0_4arch9wavefront6targetE1EEEvT1_,"axG",@progbits,_ZN7rocprim17ROCPRIM_400000_NS6detail17trampoline_kernelINS0_14default_configENS1_20scan_config_selectorIiEEZZNS1_9scan_implILNS1_25lookback_scan_determinismE0ELb0ELb0ES3_N6thrust23THRUST_200600_302600_NS10device_ptrIiEESB_iNS9_4plusIvEEiEEDaPvRmT3_T4_T5_mT6_P12ihipStream_tbENKUlT_T0_E_clISt17integral_constantIbLb0EESR_EEDaSM_SN_EUlSM_E0_NS1_11comp_targetILNS1_3genE5ELNS1_11target_archE942ELNS1_3gpuE9ELNS1_3repE0EEENS1_30default_config_static_selectorELNS0_4arch9wavefront6targetE1EEEvT1_,comdat
.Lfunc_end6760:
	.size	_ZN7rocprim17ROCPRIM_400000_NS6detail17trampoline_kernelINS0_14default_configENS1_20scan_config_selectorIiEEZZNS1_9scan_implILNS1_25lookback_scan_determinismE0ELb0ELb0ES3_N6thrust23THRUST_200600_302600_NS10device_ptrIiEESB_iNS9_4plusIvEEiEEDaPvRmT3_T4_T5_mT6_P12ihipStream_tbENKUlT_T0_E_clISt17integral_constantIbLb0EESR_EEDaSM_SN_EUlSM_E0_NS1_11comp_targetILNS1_3genE5ELNS1_11target_archE942ELNS1_3gpuE9ELNS1_3repE0EEENS1_30default_config_static_selectorELNS0_4arch9wavefront6targetE1EEEvT1_, .Lfunc_end6760-_ZN7rocprim17ROCPRIM_400000_NS6detail17trampoline_kernelINS0_14default_configENS1_20scan_config_selectorIiEEZZNS1_9scan_implILNS1_25lookback_scan_determinismE0ELb0ELb0ES3_N6thrust23THRUST_200600_302600_NS10device_ptrIiEESB_iNS9_4plusIvEEiEEDaPvRmT3_T4_T5_mT6_P12ihipStream_tbENKUlT_T0_E_clISt17integral_constantIbLb0EESR_EEDaSM_SN_EUlSM_E0_NS1_11comp_targetILNS1_3genE5ELNS1_11target_archE942ELNS1_3gpuE9ELNS1_3repE0EEENS1_30default_config_static_selectorELNS0_4arch9wavefront6targetE1EEEvT1_
                                        ; -- End function
	.section	.AMDGPU.csdata,"",@progbits
; Kernel info:
; codeLenInByte = 0
; NumSgprs: 4
; NumVgprs: 0
; NumAgprs: 0
; TotalNumVgprs: 0
; ScratchSize: 0
; MemoryBound: 0
; FloatMode: 240
; IeeeMode: 1
; LDSByteSize: 0 bytes/workgroup (compile time only)
; SGPRBlocks: 0
; VGPRBlocks: 0
; NumSGPRsForWavesPerEU: 4
; NumVGPRsForWavesPerEU: 1
; AccumOffset: 4
; Occupancy: 8
; WaveLimiterHint : 0
; COMPUTE_PGM_RSRC2:SCRATCH_EN: 0
; COMPUTE_PGM_RSRC2:USER_SGPR: 6
; COMPUTE_PGM_RSRC2:TRAP_HANDLER: 0
; COMPUTE_PGM_RSRC2:TGID_X_EN: 1
; COMPUTE_PGM_RSRC2:TGID_Y_EN: 0
; COMPUTE_PGM_RSRC2:TGID_Z_EN: 0
; COMPUTE_PGM_RSRC2:TIDIG_COMP_CNT: 0
; COMPUTE_PGM_RSRC3_GFX90A:ACCUM_OFFSET: 0
; COMPUTE_PGM_RSRC3_GFX90A:TG_SPLIT: 0
	.section	.text._ZN7rocprim17ROCPRIM_400000_NS6detail17trampoline_kernelINS0_14default_configENS1_20scan_config_selectorIiEEZZNS1_9scan_implILNS1_25lookback_scan_determinismE0ELb0ELb0ES3_N6thrust23THRUST_200600_302600_NS10device_ptrIiEESB_iNS9_4plusIvEEiEEDaPvRmT3_T4_T5_mT6_P12ihipStream_tbENKUlT_T0_E_clISt17integral_constantIbLb0EESR_EEDaSM_SN_EUlSM_E0_NS1_11comp_targetILNS1_3genE4ELNS1_11target_archE910ELNS1_3gpuE8ELNS1_3repE0EEENS1_30default_config_static_selectorELNS0_4arch9wavefront6targetE1EEEvT1_,"axG",@progbits,_ZN7rocprim17ROCPRIM_400000_NS6detail17trampoline_kernelINS0_14default_configENS1_20scan_config_selectorIiEEZZNS1_9scan_implILNS1_25lookback_scan_determinismE0ELb0ELb0ES3_N6thrust23THRUST_200600_302600_NS10device_ptrIiEESB_iNS9_4plusIvEEiEEDaPvRmT3_T4_T5_mT6_P12ihipStream_tbENKUlT_T0_E_clISt17integral_constantIbLb0EESR_EEDaSM_SN_EUlSM_E0_NS1_11comp_targetILNS1_3genE4ELNS1_11target_archE910ELNS1_3gpuE8ELNS1_3repE0EEENS1_30default_config_static_selectorELNS0_4arch9wavefront6targetE1EEEvT1_,comdat
	.protected	_ZN7rocprim17ROCPRIM_400000_NS6detail17trampoline_kernelINS0_14default_configENS1_20scan_config_selectorIiEEZZNS1_9scan_implILNS1_25lookback_scan_determinismE0ELb0ELb0ES3_N6thrust23THRUST_200600_302600_NS10device_ptrIiEESB_iNS9_4plusIvEEiEEDaPvRmT3_T4_T5_mT6_P12ihipStream_tbENKUlT_T0_E_clISt17integral_constantIbLb0EESR_EEDaSM_SN_EUlSM_E0_NS1_11comp_targetILNS1_3genE4ELNS1_11target_archE910ELNS1_3gpuE8ELNS1_3repE0EEENS1_30default_config_static_selectorELNS0_4arch9wavefront6targetE1EEEvT1_ ; -- Begin function _ZN7rocprim17ROCPRIM_400000_NS6detail17trampoline_kernelINS0_14default_configENS1_20scan_config_selectorIiEEZZNS1_9scan_implILNS1_25lookback_scan_determinismE0ELb0ELb0ES3_N6thrust23THRUST_200600_302600_NS10device_ptrIiEESB_iNS9_4plusIvEEiEEDaPvRmT3_T4_T5_mT6_P12ihipStream_tbENKUlT_T0_E_clISt17integral_constantIbLb0EESR_EEDaSM_SN_EUlSM_E0_NS1_11comp_targetILNS1_3genE4ELNS1_11target_archE910ELNS1_3gpuE8ELNS1_3repE0EEENS1_30default_config_static_selectorELNS0_4arch9wavefront6targetE1EEEvT1_
	.globl	_ZN7rocprim17ROCPRIM_400000_NS6detail17trampoline_kernelINS0_14default_configENS1_20scan_config_selectorIiEEZZNS1_9scan_implILNS1_25lookback_scan_determinismE0ELb0ELb0ES3_N6thrust23THRUST_200600_302600_NS10device_ptrIiEESB_iNS9_4plusIvEEiEEDaPvRmT3_T4_T5_mT6_P12ihipStream_tbENKUlT_T0_E_clISt17integral_constantIbLb0EESR_EEDaSM_SN_EUlSM_E0_NS1_11comp_targetILNS1_3genE4ELNS1_11target_archE910ELNS1_3gpuE8ELNS1_3repE0EEENS1_30default_config_static_selectorELNS0_4arch9wavefront6targetE1EEEvT1_
	.p2align	8
	.type	_ZN7rocprim17ROCPRIM_400000_NS6detail17trampoline_kernelINS0_14default_configENS1_20scan_config_selectorIiEEZZNS1_9scan_implILNS1_25lookback_scan_determinismE0ELb0ELb0ES3_N6thrust23THRUST_200600_302600_NS10device_ptrIiEESB_iNS9_4plusIvEEiEEDaPvRmT3_T4_T5_mT6_P12ihipStream_tbENKUlT_T0_E_clISt17integral_constantIbLb0EESR_EEDaSM_SN_EUlSM_E0_NS1_11comp_targetILNS1_3genE4ELNS1_11target_archE910ELNS1_3gpuE8ELNS1_3repE0EEENS1_30default_config_static_selectorELNS0_4arch9wavefront6targetE1EEEvT1_,@function
_ZN7rocprim17ROCPRIM_400000_NS6detail17trampoline_kernelINS0_14default_configENS1_20scan_config_selectorIiEEZZNS1_9scan_implILNS1_25lookback_scan_determinismE0ELb0ELb0ES3_N6thrust23THRUST_200600_302600_NS10device_ptrIiEESB_iNS9_4plusIvEEiEEDaPvRmT3_T4_T5_mT6_P12ihipStream_tbENKUlT_T0_E_clISt17integral_constantIbLb0EESR_EEDaSM_SN_EUlSM_E0_NS1_11comp_targetILNS1_3genE4ELNS1_11target_archE910ELNS1_3gpuE8ELNS1_3repE0EEENS1_30default_config_static_selectorELNS0_4arch9wavefront6targetE1EEEvT1_: ; @_ZN7rocprim17ROCPRIM_400000_NS6detail17trampoline_kernelINS0_14default_configENS1_20scan_config_selectorIiEEZZNS1_9scan_implILNS1_25lookback_scan_determinismE0ELb0ELb0ES3_N6thrust23THRUST_200600_302600_NS10device_ptrIiEESB_iNS9_4plusIvEEiEEDaPvRmT3_T4_T5_mT6_P12ihipStream_tbENKUlT_T0_E_clISt17integral_constantIbLb0EESR_EEDaSM_SN_EUlSM_E0_NS1_11comp_targetILNS1_3genE4ELNS1_11target_archE910ELNS1_3gpuE8ELNS1_3repE0EEENS1_30default_config_static_selectorELNS0_4arch9wavefront6targetE1EEEvT1_
; %bb.0:
	s_load_dwordx4 s[20:23], s[4:5], 0x0
	v_lshlrev_b32_e32 v20, 2, v0
	s_waitcnt lgkmcnt(0)
	s_load_dword s23, s[20:21], 0x0
	v_cmp_gt_u32_e32 vcc, s22, v0
	s_waitcnt lgkmcnt(0)
	v_mov_b32_e32 v1, s23
	s_and_saveexec_b64 s[0:1], vcc
	s_cbranch_execz .LBB6761_2
; %bb.1:
	global_load_dword v1, v20, s[20:21]
.LBB6761_2:
	s_or_b64 exec, exec, s[0:1]
	v_or_b32_e32 v2, 0x80, v0
	v_cmp_gt_u32_e64 s[0:1], s22, v2
	v_mov_b32_e32 v2, s23
	s_and_saveexec_b64 s[2:3], s[0:1]
	s_cbranch_execz .LBB6761_4
; %bb.3:
	global_load_dword v2, v20, s[20:21] offset:512
.LBB6761_4:
	s_or_b64 exec, exec, s[2:3]
	v_or_b32_e32 v3, 0x100, v0
	v_cmp_gt_u32_e64 s[2:3], s22, v3
	v_mov_b32_e32 v3, s23
	s_and_saveexec_b64 s[6:7], s[2:3]
	s_cbranch_execz .LBB6761_6
; %bb.5:
	global_load_dword v3, v20, s[20:21] offset:1024
.LBB6761_6:
	;; [unrolled: 9-line block ×7, first 2 shown]
	s_or_b64 exec, exec, s[14:15]
	v_or_b32_e32 v10, 0x400, v0
	v_cmp_gt_u32_e64 s[14:15], s22, v10
	v_mov_b32_e32 v9, s23
	s_and_saveexec_b64 s[16:17], s[14:15]
	s_cbranch_execz .LBB6761_18
; %bb.17:
	v_lshlrev_b32_e32 v9, 2, v10
	global_load_dword v9, v9, s[20:21]
.LBB6761_18:
	s_or_b64 exec, exec, s[16:17]
	v_or_b32_e32 v11, 0x480, v0
	v_cmp_gt_u32_e64 s[16:17], s22, v11
	v_mov_b32_e32 v10, s23
	s_and_saveexec_b64 s[22:23], s[16:17]
	s_cbranch_execz .LBB6761_20
; %bb.19:
	v_lshlrev_b32_e32 v10, 2, v11
	global_load_dword v10, v10, s[20:21]
.LBB6761_20:
	s_or_b64 exec, exec, s[22:23]
	s_waitcnt vmcnt(0)
	ds_write2st64_b32 v20, v1, v2 offset1:2
	ds_write2st64_b32 v20, v3, v4 offset0:4 offset1:6
	ds_write2st64_b32 v20, v5, v6 offset0:8 offset1:10
	;; [unrolled: 1-line block ×4, first 2 shown]
	v_mad_u32_u24 v1, v0, 36, v20
	s_waitcnt lgkmcnt(0)
	s_barrier
	ds_read2_b64 v[6:9], v1 offset1:1
	ds_read2_b64 v[2:5], v1 offset0:2 offset1:3
	ds_read_b64 v[18:19], v1 offset:32
	v_lshrrev_b32_e32 v21, 3, v0
	v_and_b32_e32 v21, 12, v21
	s_waitcnt lgkmcnt(2)
	v_add_u32_e32 v1, v7, v6
	v_add_u32_e32 v14, v1, v8
	;; [unrolled: 1-line block ×3, first 2 shown]
	s_waitcnt lgkmcnt(1)
	v_add_u32_e32 v10, v15, v2
	v_add_u32_e32 v11, v10, v3
	;; [unrolled: 1-line block ×4, first 2 shown]
	s_waitcnt lgkmcnt(0)
	v_add_u32_e32 v16, v13, v18
	v_add_u32_e32 v17, v16, v19
	v_add_u32_e32 v21, v20, v21
	v_cmp_gt_u32_e64 s[20:21], 64, v0
	s_barrier
	ds_write_b32 v21, v17
	s_waitcnt lgkmcnt(0)
	s_barrier
	s_and_saveexec_b64 s[22:23], s[20:21]
	s_cbranch_execz .LBB6761_22
; %bb.21:
	v_lshlrev_b32_e32 v21, 1, v0
	v_lshrrev_b32_e32 v22, 4, v0
	v_add_lshl_u32 v21, v22, v21, 2
	ds_read2_b32 v[22:23], v21 offset1:1
	v_mbcnt_lo_u32_b32 v24, -1, 0
	v_mbcnt_hi_u32_b32 v24, -1, v24
	v_and_b32_e32 v25, 15, v24
	v_cmp_ne_u32_e64 s[20:21], 0, v25
	s_waitcnt lgkmcnt(0)
	v_add_u32_e32 v23, v23, v22
	; wave barrier
	s_nop 1
	v_mov_b32_dpp v26, v23 row_shr:1 row_mask:0xf bank_mask:0xf
	v_cndmask_b32_e64 v26, 0, v26, s[20:21]
	v_add_u32_e32 v23, v26, v23
	v_cmp_lt_u32_e64 s[20:21], 1, v25
	s_nop 0
	v_mov_b32_dpp v26, v23 row_shr:2 row_mask:0xf bank_mask:0xf
	v_cndmask_b32_e64 v26, 0, v26, s[20:21]
	v_add_u32_e32 v23, v23, v26
	v_cmp_lt_u32_e64 s[20:21], 3, v25
	;; [unrolled: 5-line block ×3, first 2 shown]
	s_nop 0
	v_mov_b32_dpp v26, v23 row_shr:8 row_mask:0xf bank_mask:0xf
	v_cndmask_b32_e64 v25, 0, v26, s[20:21]
	v_add_u32_e32 v23, v23, v25
	v_bfe_i32 v26, v24, 4, 1
	v_cmp_lt_u32_e64 s[20:21], 31, v24
	v_mov_b32_dpp v25, v23 row_bcast:15 row_mask:0xf bank_mask:0xf
	v_and_b32_e32 v25, v26, v25
	v_add_u32_e32 v23, v23, v25
	v_and_b32_e32 v26, 64, v24
	s_nop 0
	v_mov_b32_dpp v25, v23 row_bcast:31 row_mask:0xf bank_mask:0xf
	v_cndmask_b32_e64 v25, 0, v25, s[20:21]
	v_add_u32_e32 v23, v23, v25
	v_add_u32_e32 v25, -1, v24
	v_cmp_lt_i32_e64 s[20:21], v25, v26
	v_cndmask_b32_e64 v24, v25, v24, s[20:21]
	v_lshlrev_b32_e32 v24, 2, v24
	ds_bpermute_b32 v23, v24, v23
	v_cmp_eq_u32_e64 s[20:21], 0, v0
	s_waitcnt lgkmcnt(0)
	v_add_u32_e32 v22, v23, v22
	v_cndmask_b32_e64 v22, v22, v17, s[20:21]
	ds_write_b32 v21, v22
	; wave barrier
	ds_read_b32 v23, v21 offset:4
	s_waitcnt lgkmcnt(0)
	v_add_u32_e32 v22, v23, v22
	ds_write_b32 v21, v22 offset:4
.LBB6761_22:
	s_or_b64 exec, exec, s[22:23]
	s_load_dwordx2 s[20:21], s[4:5], 0x18
	v_cmp_ne_u32_e64 s[4:5], 0, v0
	v_mov_b32_e32 v22, v17
	s_waitcnt lgkmcnt(0)
	s_barrier
	s_and_saveexec_b64 s[22:23], s[4:5]
	s_cbranch_execz .LBB6761_24
; %bb.23:
	v_add_u32_e32 v21, -1, v0
	v_lshrrev_b32_e32 v22, 5, v21
	v_add_lshl_u32 v21, v22, v21, 2
	ds_read_b32 v22, v21
.LBB6761_24:
	s_or_b64 exec, exec, s[22:23]
	v_mul_u32_u24_e32 v21, 36, v0
	v_mov_b32_e32 v0, v6
	s_and_saveexec_b64 s[22:23], s[4:5]
	s_cbranch_execz .LBB6761_26
; %bb.25:
	s_waitcnt lgkmcnt(0)
	v_add_u32_e32 v0, v22, v6
	v_add_u32_e32 v1, v0, v7
	;; [unrolled: 1-line block ×10, first 2 shown]
	;;#ASMSTART
	;;#ASMEND
.LBB6761_26:
	s_or_b64 exec, exec, s[22:23]
	v_add_u32_e32 v2, v20, v21
	s_waitcnt lgkmcnt(0)
	s_barrier
	ds_write2_b64 v2, v[0:1], v[14:15] offset1:1
	ds_write2_b64 v2, v[10:11], v[12:13] offset0:2 offset1:3
	ds_write_b64 v2, v[16:17] offset:32
	s_waitcnt lgkmcnt(0)
	s_barrier
	ds_read2st64_b32 v[8:9], v20 offset0:2 offset1:4
	ds_read2st64_b32 v[6:7], v20 offset0:6 offset1:8
	;; [unrolled: 1-line block ×4, first 2 shown]
	ds_read_b32 v10, v20 offset:4608
	v_mov_b32_e32 v1, s21
	v_add_co_u32_e64 v0, s[4:5], s20, v20
	v_addc_co_u32_e64 v1, s[4:5], 0, v1, s[4:5]
	s_and_saveexec_b64 s[4:5], vcc
	s_cbranch_execnz .LBB6761_37
; %bb.27:
	s_or_b64 exec, exec, s[4:5]
	s_and_saveexec_b64 s[4:5], s[0:1]
	s_cbranch_execnz .LBB6761_38
.LBB6761_28:
	s_or_b64 exec, exec, s[4:5]
	s_and_saveexec_b64 s[0:1], s[2:3]
	s_cbranch_execnz .LBB6761_39
.LBB6761_29:
	s_or_b64 exec, exec, s[0:1]
	s_and_saveexec_b64 s[0:1], s[18:19]
	s_cbranch_execnz .LBB6761_40
.LBB6761_30:
	s_or_b64 exec, exec, s[0:1]
	s_and_saveexec_b64 s[0:1], s[6:7]
	s_cbranch_execnz .LBB6761_41
.LBB6761_31:
	s_or_b64 exec, exec, s[0:1]
	s_and_saveexec_b64 s[0:1], s[8:9]
	s_cbranch_execnz .LBB6761_42
.LBB6761_32:
	s_or_b64 exec, exec, s[0:1]
	s_and_saveexec_b64 s[0:1], s[10:11]
	s_cbranch_execnz .LBB6761_43
.LBB6761_33:
	s_or_b64 exec, exec, s[0:1]
	s_and_saveexec_b64 s[0:1], s[12:13]
	s_cbranch_execnz .LBB6761_44
.LBB6761_34:
	s_or_b64 exec, exec, s[0:1]
	s_and_saveexec_b64 s[0:1], s[14:15]
	s_cbranch_execnz .LBB6761_45
.LBB6761_35:
	s_or_b64 exec, exec, s[0:1]
	s_and_saveexec_b64 s[0:1], s[16:17]
	s_cbranch_execnz .LBB6761_46
.LBB6761_36:
	s_endpgm
.LBB6761_37:
	ds_read_b32 v11, v20
	s_waitcnt lgkmcnt(0)
	global_store_dword v[0:1], v11, off
	s_or_b64 exec, exec, s[4:5]
	s_and_saveexec_b64 s[4:5], s[0:1]
	s_cbranch_execz .LBB6761_28
.LBB6761_38:
	s_waitcnt lgkmcnt(4)
	global_store_dword v[0:1], v8, off offset:512
	s_or_b64 exec, exec, s[4:5]
	s_and_saveexec_b64 s[0:1], s[2:3]
	s_cbranch_execz .LBB6761_29
.LBB6761_39:
	s_waitcnt lgkmcnt(4)
	global_store_dword v[0:1], v9, off offset:1024
	s_or_b64 exec, exec, s[0:1]
	s_and_saveexec_b64 s[0:1], s[18:19]
	s_cbranch_execz .LBB6761_30
.LBB6761_40:
	s_waitcnt lgkmcnt(3)
	global_store_dword v[0:1], v6, off offset:1536
	s_or_b64 exec, exec, s[0:1]
	s_and_saveexec_b64 s[0:1], s[6:7]
	s_cbranch_execz .LBB6761_31
.LBB6761_41:
	s_waitcnt lgkmcnt(3)
	global_store_dword v[0:1], v7, off offset:2048
	s_or_b64 exec, exec, s[0:1]
	s_and_saveexec_b64 s[0:1], s[8:9]
	s_cbranch_execz .LBB6761_32
.LBB6761_42:
	s_waitcnt lgkmcnt(2)
	global_store_dword v[0:1], v4, off offset:2560
	s_or_b64 exec, exec, s[0:1]
	s_and_saveexec_b64 s[0:1], s[10:11]
	s_cbranch_execz .LBB6761_33
.LBB6761_43:
	s_waitcnt lgkmcnt(2)
	global_store_dword v[0:1], v5, off offset:3072
	s_or_b64 exec, exec, s[0:1]
	s_and_saveexec_b64 s[0:1], s[12:13]
	s_cbranch_execz .LBB6761_34
.LBB6761_44:
	s_waitcnt lgkmcnt(1)
	global_store_dword v[0:1], v2, off offset:3584
	s_or_b64 exec, exec, s[0:1]
	s_and_saveexec_b64 s[0:1], s[14:15]
	s_cbranch_execz .LBB6761_35
.LBB6761_45:
	s_waitcnt lgkmcnt(2)
	v_add_co_u32_e32 v4, vcc, 0x1000, v0
	v_addc_co_u32_e32 v5, vcc, 0, v1, vcc
	s_waitcnt lgkmcnt(1)
	global_store_dword v[4:5], v3, off
	s_or_b64 exec, exec, s[0:1]
	s_and_saveexec_b64 s[0:1], s[16:17]
	s_cbranch_execz .LBB6761_36
.LBB6761_46:
	v_add_co_u32_e32 v0, vcc, 0x1000, v0
	v_addc_co_u32_e32 v1, vcc, 0, v1, vcc
	s_waitcnt lgkmcnt(0)
	global_store_dword v[0:1], v10, off offset:512
	s_endpgm
	.section	.rodata,"a",@progbits
	.p2align	6, 0x0
	.amdhsa_kernel _ZN7rocprim17ROCPRIM_400000_NS6detail17trampoline_kernelINS0_14default_configENS1_20scan_config_selectorIiEEZZNS1_9scan_implILNS1_25lookback_scan_determinismE0ELb0ELb0ES3_N6thrust23THRUST_200600_302600_NS10device_ptrIiEESB_iNS9_4plusIvEEiEEDaPvRmT3_T4_T5_mT6_P12ihipStream_tbENKUlT_T0_E_clISt17integral_constantIbLb0EESR_EEDaSM_SN_EUlSM_E0_NS1_11comp_targetILNS1_3genE4ELNS1_11target_archE910ELNS1_3gpuE8ELNS1_3repE0EEENS1_30default_config_static_selectorELNS0_4arch9wavefront6targetE1EEEvT1_
		.amdhsa_group_segment_fixed_size 5120
		.amdhsa_private_segment_fixed_size 0
		.amdhsa_kernarg_size 32
		.amdhsa_user_sgpr_count 6
		.amdhsa_user_sgpr_private_segment_buffer 1
		.amdhsa_user_sgpr_dispatch_ptr 0
		.amdhsa_user_sgpr_queue_ptr 0
		.amdhsa_user_sgpr_kernarg_segment_ptr 1
		.amdhsa_user_sgpr_dispatch_id 0
		.amdhsa_user_sgpr_flat_scratch_init 0
		.amdhsa_user_sgpr_kernarg_preload_length 0
		.amdhsa_user_sgpr_kernarg_preload_offset 0
		.amdhsa_user_sgpr_private_segment_size 0
		.amdhsa_uses_dynamic_stack 0
		.amdhsa_system_sgpr_private_segment_wavefront_offset 0
		.amdhsa_system_sgpr_workgroup_id_x 1
		.amdhsa_system_sgpr_workgroup_id_y 0
		.amdhsa_system_sgpr_workgroup_id_z 0
		.amdhsa_system_sgpr_workgroup_info 0
		.amdhsa_system_vgpr_workitem_id 0
		.amdhsa_next_free_vgpr 27
		.amdhsa_next_free_sgpr 24
		.amdhsa_accum_offset 28
		.amdhsa_reserve_vcc 1
		.amdhsa_reserve_flat_scratch 0
		.amdhsa_float_round_mode_32 0
		.amdhsa_float_round_mode_16_64 0
		.amdhsa_float_denorm_mode_32 3
		.amdhsa_float_denorm_mode_16_64 3
		.amdhsa_dx10_clamp 1
		.amdhsa_ieee_mode 1
		.amdhsa_fp16_overflow 0
		.amdhsa_tg_split 0
		.amdhsa_exception_fp_ieee_invalid_op 0
		.amdhsa_exception_fp_denorm_src 0
		.amdhsa_exception_fp_ieee_div_zero 0
		.amdhsa_exception_fp_ieee_overflow 0
		.amdhsa_exception_fp_ieee_underflow 0
		.amdhsa_exception_fp_ieee_inexact 0
		.amdhsa_exception_int_div_zero 0
	.end_amdhsa_kernel
	.section	.text._ZN7rocprim17ROCPRIM_400000_NS6detail17trampoline_kernelINS0_14default_configENS1_20scan_config_selectorIiEEZZNS1_9scan_implILNS1_25lookback_scan_determinismE0ELb0ELb0ES3_N6thrust23THRUST_200600_302600_NS10device_ptrIiEESB_iNS9_4plusIvEEiEEDaPvRmT3_T4_T5_mT6_P12ihipStream_tbENKUlT_T0_E_clISt17integral_constantIbLb0EESR_EEDaSM_SN_EUlSM_E0_NS1_11comp_targetILNS1_3genE4ELNS1_11target_archE910ELNS1_3gpuE8ELNS1_3repE0EEENS1_30default_config_static_selectorELNS0_4arch9wavefront6targetE1EEEvT1_,"axG",@progbits,_ZN7rocprim17ROCPRIM_400000_NS6detail17trampoline_kernelINS0_14default_configENS1_20scan_config_selectorIiEEZZNS1_9scan_implILNS1_25lookback_scan_determinismE0ELb0ELb0ES3_N6thrust23THRUST_200600_302600_NS10device_ptrIiEESB_iNS9_4plusIvEEiEEDaPvRmT3_T4_T5_mT6_P12ihipStream_tbENKUlT_T0_E_clISt17integral_constantIbLb0EESR_EEDaSM_SN_EUlSM_E0_NS1_11comp_targetILNS1_3genE4ELNS1_11target_archE910ELNS1_3gpuE8ELNS1_3repE0EEENS1_30default_config_static_selectorELNS0_4arch9wavefront6targetE1EEEvT1_,comdat
.Lfunc_end6761:
	.size	_ZN7rocprim17ROCPRIM_400000_NS6detail17trampoline_kernelINS0_14default_configENS1_20scan_config_selectorIiEEZZNS1_9scan_implILNS1_25lookback_scan_determinismE0ELb0ELb0ES3_N6thrust23THRUST_200600_302600_NS10device_ptrIiEESB_iNS9_4plusIvEEiEEDaPvRmT3_T4_T5_mT6_P12ihipStream_tbENKUlT_T0_E_clISt17integral_constantIbLb0EESR_EEDaSM_SN_EUlSM_E0_NS1_11comp_targetILNS1_3genE4ELNS1_11target_archE910ELNS1_3gpuE8ELNS1_3repE0EEENS1_30default_config_static_selectorELNS0_4arch9wavefront6targetE1EEEvT1_, .Lfunc_end6761-_ZN7rocprim17ROCPRIM_400000_NS6detail17trampoline_kernelINS0_14default_configENS1_20scan_config_selectorIiEEZZNS1_9scan_implILNS1_25lookback_scan_determinismE0ELb0ELb0ES3_N6thrust23THRUST_200600_302600_NS10device_ptrIiEESB_iNS9_4plusIvEEiEEDaPvRmT3_T4_T5_mT6_P12ihipStream_tbENKUlT_T0_E_clISt17integral_constantIbLb0EESR_EEDaSM_SN_EUlSM_E0_NS1_11comp_targetILNS1_3genE4ELNS1_11target_archE910ELNS1_3gpuE8ELNS1_3repE0EEENS1_30default_config_static_selectorELNS0_4arch9wavefront6targetE1EEEvT1_
                                        ; -- End function
	.section	.AMDGPU.csdata,"",@progbits
; Kernel info:
; codeLenInByte = 1556
; NumSgprs: 28
; NumVgprs: 27
; NumAgprs: 0
; TotalNumVgprs: 27
; ScratchSize: 0
; MemoryBound: 0
; FloatMode: 240
; IeeeMode: 1
; LDSByteSize: 5120 bytes/workgroup (compile time only)
; SGPRBlocks: 3
; VGPRBlocks: 3
; NumSGPRsForWavesPerEU: 28
; NumVGPRsForWavesPerEU: 27
; AccumOffset: 28
; Occupancy: 6
; WaveLimiterHint : 0
; COMPUTE_PGM_RSRC2:SCRATCH_EN: 0
; COMPUTE_PGM_RSRC2:USER_SGPR: 6
; COMPUTE_PGM_RSRC2:TRAP_HANDLER: 0
; COMPUTE_PGM_RSRC2:TGID_X_EN: 1
; COMPUTE_PGM_RSRC2:TGID_Y_EN: 0
; COMPUTE_PGM_RSRC2:TGID_Z_EN: 0
; COMPUTE_PGM_RSRC2:TIDIG_COMP_CNT: 0
; COMPUTE_PGM_RSRC3_GFX90A:ACCUM_OFFSET: 6
; COMPUTE_PGM_RSRC3_GFX90A:TG_SPLIT: 0
	.section	.text._ZN7rocprim17ROCPRIM_400000_NS6detail17trampoline_kernelINS0_14default_configENS1_20scan_config_selectorIiEEZZNS1_9scan_implILNS1_25lookback_scan_determinismE0ELb0ELb0ES3_N6thrust23THRUST_200600_302600_NS10device_ptrIiEESB_iNS9_4plusIvEEiEEDaPvRmT3_T4_T5_mT6_P12ihipStream_tbENKUlT_T0_E_clISt17integral_constantIbLb0EESR_EEDaSM_SN_EUlSM_E0_NS1_11comp_targetILNS1_3genE3ELNS1_11target_archE908ELNS1_3gpuE7ELNS1_3repE0EEENS1_30default_config_static_selectorELNS0_4arch9wavefront6targetE1EEEvT1_,"axG",@progbits,_ZN7rocprim17ROCPRIM_400000_NS6detail17trampoline_kernelINS0_14default_configENS1_20scan_config_selectorIiEEZZNS1_9scan_implILNS1_25lookback_scan_determinismE0ELb0ELb0ES3_N6thrust23THRUST_200600_302600_NS10device_ptrIiEESB_iNS9_4plusIvEEiEEDaPvRmT3_T4_T5_mT6_P12ihipStream_tbENKUlT_T0_E_clISt17integral_constantIbLb0EESR_EEDaSM_SN_EUlSM_E0_NS1_11comp_targetILNS1_3genE3ELNS1_11target_archE908ELNS1_3gpuE7ELNS1_3repE0EEENS1_30default_config_static_selectorELNS0_4arch9wavefront6targetE1EEEvT1_,comdat
	.protected	_ZN7rocprim17ROCPRIM_400000_NS6detail17trampoline_kernelINS0_14default_configENS1_20scan_config_selectorIiEEZZNS1_9scan_implILNS1_25lookback_scan_determinismE0ELb0ELb0ES3_N6thrust23THRUST_200600_302600_NS10device_ptrIiEESB_iNS9_4plusIvEEiEEDaPvRmT3_T4_T5_mT6_P12ihipStream_tbENKUlT_T0_E_clISt17integral_constantIbLb0EESR_EEDaSM_SN_EUlSM_E0_NS1_11comp_targetILNS1_3genE3ELNS1_11target_archE908ELNS1_3gpuE7ELNS1_3repE0EEENS1_30default_config_static_selectorELNS0_4arch9wavefront6targetE1EEEvT1_ ; -- Begin function _ZN7rocprim17ROCPRIM_400000_NS6detail17trampoline_kernelINS0_14default_configENS1_20scan_config_selectorIiEEZZNS1_9scan_implILNS1_25lookback_scan_determinismE0ELb0ELb0ES3_N6thrust23THRUST_200600_302600_NS10device_ptrIiEESB_iNS9_4plusIvEEiEEDaPvRmT3_T4_T5_mT6_P12ihipStream_tbENKUlT_T0_E_clISt17integral_constantIbLb0EESR_EEDaSM_SN_EUlSM_E0_NS1_11comp_targetILNS1_3genE3ELNS1_11target_archE908ELNS1_3gpuE7ELNS1_3repE0EEENS1_30default_config_static_selectorELNS0_4arch9wavefront6targetE1EEEvT1_
	.globl	_ZN7rocprim17ROCPRIM_400000_NS6detail17trampoline_kernelINS0_14default_configENS1_20scan_config_selectorIiEEZZNS1_9scan_implILNS1_25lookback_scan_determinismE0ELb0ELb0ES3_N6thrust23THRUST_200600_302600_NS10device_ptrIiEESB_iNS9_4plusIvEEiEEDaPvRmT3_T4_T5_mT6_P12ihipStream_tbENKUlT_T0_E_clISt17integral_constantIbLb0EESR_EEDaSM_SN_EUlSM_E0_NS1_11comp_targetILNS1_3genE3ELNS1_11target_archE908ELNS1_3gpuE7ELNS1_3repE0EEENS1_30default_config_static_selectorELNS0_4arch9wavefront6targetE1EEEvT1_
	.p2align	8
	.type	_ZN7rocprim17ROCPRIM_400000_NS6detail17trampoline_kernelINS0_14default_configENS1_20scan_config_selectorIiEEZZNS1_9scan_implILNS1_25lookback_scan_determinismE0ELb0ELb0ES3_N6thrust23THRUST_200600_302600_NS10device_ptrIiEESB_iNS9_4plusIvEEiEEDaPvRmT3_T4_T5_mT6_P12ihipStream_tbENKUlT_T0_E_clISt17integral_constantIbLb0EESR_EEDaSM_SN_EUlSM_E0_NS1_11comp_targetILNS1_3genE3ELNS1_11target_archE908ELNS1_3gpuE7ELNS1_3repE0EEENS1_30default_config_static_selectorELNS0_4arch9wavefront6targetE1EEEvT1_,@function
_ZN7rocprim17ROCPRIM_400000_NS6detail17trampoline_kernelINS0_14default_configENS1_20scan_config_selectorIiEEZZNS1_9scan_implILNS1_25lookback_scan_determinismE0ELb0ELb0ES3_N6thrust23THRUST_200600_302600_NS10device_ptrIiEESB_iNS9_4plusIvEEiEEDaPvRmT3_T4_T5_mT6_P12ihipStream_tbENKUlT_T0_E_clISt17integral_constantIbLb0EESR_EEDaSM_SN_EUlSM_E0_NS1_11comp_targetILNS1_3genE3ELNS1_11target_archE908ELNS1_3gpuE7ELNS1_3repE0EEENS1_30default_config_static_selectorELNS0_4arch9wavefront6targetE1EEEvT1_: ; @_ZN7rocprim17ROCPRIM_400000_NS6detail17trampoline_kernelINS0_14default_configENS1_20scan_config_selectorIiEEZZNS1_9scan_implILNS1_25lookback_scan_determinismE0ELb0ELb0ES3_N6thrust23THRUST_200600_302600_NS10device_ptrIiEESB_iNS9_4plusIvEEiEEDaPvRmT3_T4_T5_mT6_P12ihipStream_tbENKUlT_T0_E_clISt17integral_constantIbLb0EESR_EEDaSM_SN_EUlSM_E0_NS1_11comp_targetILNS1_3genE3ELNS1_11target_archE908ELNS1_3gpuE7ELNS1_3repE0EEENS1_30default_config_static_selectorELNS0_4arch9wavefront6targetE1EEEvT1_
; %bb.0:
	.section	.rodata,"a",@progbits
	.p2align	6, 0x0
	.amdhsa_kernel _ZN7rocprim17ROCPRIM_400000_NS6detail17trampoline_kernelINS0_14default_configENS1_20scan_config_selectorIiEEZZNS1_9scan_implILNS1_25lookback_scan_determinismE0ELb0ELb0ES3_N6thrust23THRUST_200600_302600_NS10device_ptrIiEESB_iNS9_4plusIvEEiEEDaPvRmT3_T4_T5_mT6_P12ihipStream_tbENKUlT_T0_E_clISt17integral_constantIbLb0EESR_EEDaSM_SN_EUlSM_E0_NS1_11comp_targetILNS1_3genE3ELNS1_11target_archE908ELNS1_3gpuE7ELNS1_3repE0EEENS1_30default_config_static_selectorELNS0_4arch9wavefront6targetE1EEEvT1_
		.amdhsa_group_segment_fixed_size 0
		.amdhsa_private_segment_fixed_size 0
		.amdhsa_kernarg_size 32
		.amdhsa_user_sgpr_count 6
		.amdhsa_user_sgpr_private_segment_buffer 1
		.amdhsa_user_sgpr_dispatch_ptr 0
		.amdhsa_user_sgpr_queue_ptr 0
		.amdhsa_user_sgpr_kernarg_segment_ptr 1
		.amdhsa_user_sgpr_dispatch_id 0
		.amdhsa_user_sgpr_flat_scratch_init 0
		.amdhsa_user_sgpr_kernarg_preload_length 0
		.amdhsa_user_sgpr_kernarg_preload_offset 0
		.amdhsa_user_sgpr_private_segment_size 0
		.amdhsa_uses_dynamic_stack 0
		.amdhsa_system_sgpr_private_segment_wavefront_offset 0
		.amdhsa_system_sgpr_workgroup_id_x 1
		.amdhsa_system_sgpr_workgroup_id_y 0
		.amdhsa_system_sgpr_workgroup_id_z 0
		.amdhsa_system_sgpr_workgroup_info 0
		.amdhsa_system_vgpr_workitem_id 0
		.amdhsa_next_free_vgpr 1
		.amdhsa_next_free_sgpr 0
		.amdhsa_accum_offset 4
		.amdhsa_reserve_vcc 0
		.amdhsa_reserve_flat_scratch 0
		.amdhsa_float_round_mode_32 0
		.amdhsa_float_round_mode_16_64 0
		.amdhsa_float_denorm_mode_32 3
		.amdhsa_float_denorm_mode_16_64 3
		.amdhsa_dx10_clamp 1
		.amdhsa_ieee_mode 1
		.amdhsa_fp16_overflow 0
		.amdhsa_tg_split 0
		.amdhsa_exception_fp_ieee_invalid_op 0
		.amdhsa_exception_fp_denorm_src 0
		.amdhsa_exception_fp_ieee_div_zero 0
		.amdhsa_exception_fp_ieee_overflow 0
		.amdhsa_exception_fp_ieee_underflow 0
		.amdhsa_exception_fp_ieee_inexact 0
		.amdhsa_exception_int_div_zero 0
	.end_amdhsa_kernel
	.section	.text._ZN7rocprim17ROCPRIM_400000_NS6detail17trampoline_kernelINS0_14default_configENS1_20scan_config_selectorIiEEZZNS1_9scan_implILNS1_25lookback_scan_determinismE0ELb0ELb0ES3_N6thrust23THRUST_200600_302600_NS10device_ptrIiEESB_iNS9_4plusIvEEiEEDaPvRmT3_T4_T5_mT6_P12ihipStream_tbENKUlT_T0_E_clISt17integral_constantIbLb0EESR_EEDaSM_SN_EUlSM_E0_NS1_11comp_targetILNS1_3genE3ELNS1_11target_archE908ELNS1_3gpuE7ELNS1_3repE0EEENS1_30default_config_static_selectorELNS0_4arch9wavefront6targetE1EEEvT1_,"axG",@progbits,_ZN7rocprim17ROCPRIM_400000_NS6detail17trampoline_kernelINS0_14default_configENS1_20scan_config_selectorIiEEZZNS1_9scan_implILNS1_25lookback_scan_determinismE0ELb0ELb0ES3_N6thrust23THRUST_200600_302600_NS10device_ptrIiEESB_iNS9_4plusIvEEiEEDaPvRmT3_T4_T5_mT6_P12ihipStream_tbENKUlT_T0_E_clISt17integral_constantIbLb0EESR_EEDaSM_SN_EUlSM_E0_NS1_11comp_targetILNS1_3genE3ELNS1_11target_archE908ELNS1_3gpuE7ELNS1_3repE0EEENS1_30default_config_static_selectorELNS0_4arch9wavefront6targetE1EEEvT1_,comdat
.Lfunc_end6762:
	.size	_ZN7rocprim17ROCPRIM_400000_NS6detail17trampoline_kernelINS0_14default_configENS1_20scan_config_selectorIiEEZZNS1_9scan_implILNS1_25lookback_scan_determinismE0ELb0ELb0ES3_N6thrust23THRUST_200600_302600_NS10device_ptrIiEESB_iNS9_4plusIvEEiEEDaPvRmT3_T4_T5_mT6_P12ihipStream_tbENKUlT_T0_E_clISt17integral_constantIbLb0EESR_EEDaSM_SN_EUlSM_E0_NS1_11comp_targetILNS1_3genE3ELNS1_11target_archE908ELNS1_3gpuE7ELNS1_3repE0EEENS1_30default_config_static_selectorELNS0_4arch9wavefront6targetE1EEEvT1_, .Lfunc_end6762-_ZN7rocprim17ROCPRIM_400000_NS6detail17trampoline_kernelINS0_14default_configENS1_20scan_config_selectorIiEEZZNS1_9scan_implILNS1_25lookback_scan_determinismE0ELb0ELb0ES3_N6thrust23THRUST_200600_302600_NS10device_ptrIiEESB_iNS9_4plusIvEEiEEDaPvRmT3_T4_T5_mT6_P12ihipStream_tbENKUlT_T0_E_clISt17integral_constantIbLb0EESR_EEDaSM_SN_EUlSM_E0_NS1_11comp_targetILNS1_3genE3ELNS1_11target_archE908ELNS1_3gpuE7ELNS1_3repE0EEENS1_30default_config_static_selectorELNS0_4arch9wavefront6targetE1EEEvT1_
                                        ; -- End function
	.section	.AMDGPU.csdata,"",@progbits
; Kernel info:
; codeLenInByte = 0
; NumSgprs: 4
; NumVgprs: 0
; NumAgprs: 0
; TotalNumVgprs: 0
; ScratchSize: 0
; MemoryBound: 0
; FloatMode: 240
; IeeeMode: 1
; LDSByteSize: 0 bytes/workgroup (compile time only)
; SGPRBlocks: 0
; VGPRBlocks: 0
; NumSGPRsForWavesPerEU: 4
; NumVGPRsForWavesPerEU: 1
; AccumOffset: 4
; Occupancy: 8
; WaveLimiterHint : 0
; COMPUTE_PGM_RSRC2:SCRATCH_EN: 0
; COMPUTE_PGM_RSRC2:USER_SGPR: 6
; COMPUTE_PGM_RSRC2:TRAP_HANDLER: 0
; COMPUTE_PGM_RSRC2:TGID_X_EN: 1
; COMPUTE_PGM_RSRC2:TGID_Y_EN: 0
; COMPUTE_PGM_RSRC2:TGID_Z_EN: 0
; COMPUTE_PGM_RSRC2:TIDIG_COMP_CNT: 0
; COMPUTE_PGM_RSRC3_GFX90A:ACCUM_OFFSET: 0
; COMPUTE_PGM_RSRC3_GFX90A:TG_SPLIT: 0
	.section	.text._ZN7rocprim17ROCPRIM_400000_NS6detail17trampoline_kernelINS0_14default_configENS1_20scan_config_selectorIiEEZZNS1_9scan_implILNS1_25lookback_scan_determinismE0ELb0ELb0ES3_N6thrust23THRUST_200600_302600_NS10device_ptrIiEESB_iNS9_4plusIvEEiEEDaPvRmT3_T4_T5_mT6_P12ihipStream_tbENKUlT_T0_E_clISt17integral_constantIbLb0EESR_EEDaSM_SN_EUlSM_E0_NS1_11comp_targetILNS1_3genE2ELNS1_11target_archE906ELNS1_3gpuE6ELNS1_3repE0EEENS1_30default_config_static_selectorELNS0_4arch9wavefront6targetE1EEEvT1_,"axG",@progbits,_ZN7rocprim17ROCPRIM_400000_NS6detail17trampoline_kernelINS0_14default_configENS1_20scan_config_selectorIiEEZZNS1_9scan_implILNS1_25lookback_scan_determinismE0ELb0ELb0ES3_N6thrust23THRUST_200600_302600_NS10device_ptrIiEESB_iNS9_4plusIvEEiEEDaPvRmT3_T4_T5_mT6_P12ihipStream_tbENKUlT_T0_E_clISt17integral_constantIbLb0EESR_EEDaSM_SN_EUlSM_E0_NS1_11comp_targetILNS1_3genE2ELNS1_11target_archE906ELNS1_3gpuE6ELNS1_3repE0EEENS1_30default_config_static_selectorELNS0_4arch9wavefront6targetE1EEEvT1_,comdat
	.protected	_ZN7rocprim17ROCPRIM_400000_NS6detail17trampoline_kernelINS0_14default_configENS1_20scan_config_selectorIiEEZZNS1_9scan_implILNS1_25lookback_scan_determinismE0ELb0ELb0ES3_N6thrust23THRUST_200600_302600_NS10device_ptrIiEESB_iNS9_4plusIvEEiEEDaPvRmT3_T4_T5_mT6_P12ihipStream_tbENKUlT_T0_E_clISt17integral_constantIbLb0EESR_EEDaSM_SN_EUlSM_E0_NS1_11comp_targetILNS1_3genE2ELNS1_11target_archE906ELNS1_3gpuE6ELNS1_3repE0EEENS1_30default_config_static_selectorELNS0_4arch9wavefront6targetE1EEEvT1_ ; -- Begin function _ZN7rocprim17ROCPRIM_400000_NS6detail17trampoline_kernelINS0_14default_configENS1_20scan_config_selectorIiEEZZNS1_9scan_implILNS1_25lookback_scan_determinismE0ELb0ELb0ES3_N6thrust23THRUST_200600_302600_NS10device_ptrIiEESB_iNS9_4plusIvEEiEEDaPvRmT3_T4_T5_mT6_P12ihipStream_tbENKUlT_T0_E_clISt17integral_constantIbLb0EESR_EEDaSM_SN_EUlSM_E0_NS1_11comp_targetILNS1_3genE2ELNS1_11target_archE906ELNS1_3gpuE6ELNS1_3repE0EEENS1_30default_config_static_selectorELNS0_4arch9wavefront6targetE1EEEvT1_
	.globl	_ZN7rocprim17ROCPRIM_400000_NS6detail17trampoline_kernelINS0_14default_configENS1_20scan_config_selectorIiEEZZNS1_9scan_implILNS1_25lookback_scan_determinismE0ELb0ELb0ES3_N6thrust23THRUST_200600_302600_NS10device_ptrIiEESB_iNS9_4plusIvEEiEEDaPvRmT3_T4_T5_mT6_P12ihipStream_tbENKUlT_T0_E_clISt17integral_constantIbLb0EESR_EEDaSM_SN_EUlSM_E0_NS1_11comp_targetILNS1_3genE2ELNS1_11target_archE906ELNS1_3gpuE6ELNS1_3repE0EEENS1_30default_config_static_selectorELNS0_4arch9wavefront6targetE1EEEvT1_
	.p2align	8
	.type	_ZN7rocprim17ROCPRIM_400000_NS6detail17trampoline_kernelINS0_14default_configENS1_20scan_config_selectorIiEEZZNS1_9scan_implILNS1_25lookback_scan_determinismE0ELb0ELb0ES3_N6thrust23THRUST_200600_302600_NS10device_ptrIiEESB_iNS9_4plusIvEEiEEDaPvRmT3_T4_T5_mT6_P12ihipStream_tbENKUlT_T0_E_clISt17integral_constantIbLb0EESR_EEDaSM_SN_EUlSM_E0_NS1_11comp_targetILNS1_3genE2ELNS1_11target_archE906ELNS1_3gpuE6ELNS1_3repE0EEENS1_30default_config_static_selectorELNS0_4arch9wavefront6targetE1EEEvT1_,@function
_ZN7rocprim17ROCPRIM_400000_NS6detail17trampoline_kernelINS0_14default_configENS1_20scan_config_selectorIiEEZZNS1_9scan_implILNS1_25lookback_scan_determinismE0ELb0ELb0ES3_N6thrust23THRUST_200600_302600_NS10device_ptrIiEESB_iNS9_4plusIvEEiEEDaPvRmT3_T4_T5_mT6_P12ihipStream_tbENKUlT_T0_E_clISt17integral_constantIbLb0EESR_EEDaSM_SN_EUlSM_E0_NS1_11comp_targetILNS1_3genE2ELNS1_11target_archE906ELNS1_3gpuE6ELNS1_3repE0EEENS1_30default_config_static_selectorELNS0_4arch9wavefront6targetE1EEEvT1_: ; @_ZN7rocprim17ROCPRIM_400000_NS6detail17trampoline_kernelINS0_14default_configENS1_20scan_config_selectorIiEEZZNS1_9scan_implILNS1_25lookback_scan_determinismE0ELb0ELb0ES3_N6thrust23THRUST_200600_302600_NS10device_ptrIiEESB_iNS9_4plusIvEEiEEDaPvRmT3_T4_T5_mT6_P12ihipStream_tbENKUlT_T0_E_clISt17integral_constantIbLb0EESR_EEDaSM_SN_EUlSM_E0_NS1_11comp_targetILNS1_3genE2ELNS1_11target_archE906ELNS1_3gpuE6ELNS1_3repE0EEENS1_30default_config_static_selectorELNS0_4arch9wavefront6targetE1EEEvT1_
; %bb.0:
	.section	.rodata,"a",@progbits
	.p2align	6, 0x0
	.amdhsa_kernel _ZN7rocprim17ROCPRIM_400000_NS6detail17trampoline_kernelINS0_14default_configENS1_20scan_config_selectorIiEEZZNS1_9scan_implILNS1_25lookback_scan_determinismE0ELb0ELb0ES3_N6thrust23THRUST_200600_302600_NS10device_ptrIiEESB_iNS9_4plusIvEEiEEDaPvRmT3_T4_T5_mT6_P12ihipStream_tbENKUlT_T0_E_clISt17integral_constantIbLb0EESR_EEDaSM_SN_EUlSM_E0_NS1_11comp_targetILNS1_3genE2ELNS1_11target_archE906ELNS1_3gpuE6ELNS1_3repE0EEENS1_30default_config_static_selectorELNS0_4arch9wavefront6targetE1EEEvT1_
		.amdhsa_group_segment_fixed_size 0
		.amdhsa_private_segment_fixed_size 0
		.amdhsa_kernarg_size 32
		.amdhsa_user_sgpr_count 6
		.amdhsa_user_sgpr_private_segment_buffer 1
		.amdhsa_user_sgpr_dispatch_ptr 0
		.amdhsa_user_sgpr_queue_ptr 0
		.amdhsa_user_sgpr_kernarg_segment_ptr 1
		.amdhsa_user_sgpr_dispatch_id 0
		.amdhsa_user_sgpr_flat_scratch_init 0
		.amdhsa_user_sgpr_kernarg_preload_length 0
		.amdhsa_user_sgpr_kernarg_preload_offset 0
		.amdhsa_user_sgpr_private_segment_size 0
		.amdhsa_uses_dynamic_stack 0
		.amdhsa_system_sgpr_private_segment_wavefront_offset 0
		.amdhsa_system_sgpr_workgroup_id_x 1
		.amdhsa_system_sgpr_workgroup_id_y 0
		.amdhsa_system_sgpr_workgroup_id_z 0
		.amdhsa_system_sgpr_workgroup_info 0
		.amdhsa_system_vgpr_workitem_id 0
		.amdhsa_next_free_vgpr 1
		.amdhsa_next_free_sgpr 0
		.amdhsa_accum_offset 4
		.amdhsa_reserve_vcc 0
		.amdhsa_reserve_flat_scratch 0
		.amdhsa_float_round_mode_32 0
		.amdhsa_float_round_mode_16_64 0
		.amdhsa_float_denorm_mode_32 3
		.amdhsa_float_denorm_mode_16_64 3
		.amdhsa_dx10_clamp 1
		.amdhsa_ieee_mode 1
		.amdhsa_fp16_overflow 0
		.amdhsa_tg_split 0
		.amdhsa_exception_fp_ieee_invalid_op 0
		.amdhsa_exception_fp_denorm_src 0
		.amdhsa_exception_fp_ieee_div_zero 0
		.amdhsa_exception_fp_ieee_overflow 0
		.amdhsa_exception_fp_ieee_underflow 0
		.amdhsa_exception_fp_ieee_inexact 0
		.amdhsa_exception_int_div_zero 0
	.end_amdhsa_kernel
	.section	.text._ZN7rocprim17ROCPRIM_400000_NS6detail17trampoline_kernelINS0_14default_configENS1_20scan_config_selectorIiEEZZNS1_9scan_implILNS1_25lookback_scan_determinismE0ELb0ELb0ES3_N6thrust23THRUST_200600_302600_NS10device_ptrIiEESB_iNS9_4plusIvEEiEEDaPvRmT3_T4_T5_mT6_P12ihipStream_tbENKUlT_T0_E_clISt17integral_constantIbLb0EESR_EEDaSM_SN_EUlSM_E0_NS1_11comp_targetILNS1_3genE2ELNS1_11target_archE906ELNS1_3gpuE6ELNS1_3repE0EEENS1_30default_config_static_selectorELNS0_4arch9wavefront6targetE1EEEvT1_,"axG",@progbits,_ZN7rocprim17ROCPRIM_400000_NS6detail17trampoline_kernelINS0_14default_configENS1_20scan_config_selectorIiEEZZNS1_9scan_implILNS1_25lookback_scan_determinismE0ELb0ELb0ES3_N6thrust23THRUST_200600_302600_NS10device_ptrIiEESB_iNS9_4plusIvEEiEEDaPvRmT3_T4_T5_mT6_P12ihipStream_tbENKUlT_T0_E_clISt17integral_constantIbLb0EESR_EEDaSM_SN_EUlSM_E0_NS1_11comp_targetILNS1_3genE2ELNS1_11target_archE906ELNS1_3gpuE6ELNS1_3repE0EEENS1_30default_config_static_selectorELNS0_4arch9wavefront6targetE1EEEvT1_,comdat
.Lfunc_end6763:
	.size	_ZN7rocprim17ROCPRIM_400000_NS6detail17trampoline_kernelINS0_14default_configENS1_20scan_config_selectorIiEEZZNS1_9scan_implILNS1_25lookback_scan_determinismE0ELb0ELb0ES3_N6thrust23THRUST_200600_302600_NS10device_ptrIiEESB_iNS9_4plusIvEEiEEDaPvRmT3_T4_T5_mT6_P12ihipStream_tbENKUlT_T0_E_clISt17integral_constantIbLb0EESR_EEDaSM_SN_EUlSM_E0_NS1_11comp_targetILNS1_3genE2ELNS1_11target_archE906ELNS1_3gpuE6ELNS1_3repE0EEENS1_30default_config_static_selectorELNS0_4arch9wavefront6targetE1EEEvT1_, .Lfunc_end6763-_ZN7rocprim17ROCPRIM_400000_NS6detail17trampoline_kernelINS0_14default_configENS1_20scan_config_selectorIiEEZZNS1_9scan_implILNS1_25lookback_scan_determinismE0ELb0ELb0ES3_N6thrust23THRUST_200600_302600_NS10device_ptrIiEESB_iNS9_4plusIvEEiEEDaPvRmT3_T4_T5_mT6_P12ihipStream_tbENKUlT_T0_E_clISt17integral_constantIbLb0EESR_EEDaSM_SN_EUlSM_E0_NS1_11comp_targetILNS1_3genE2ELNS1_11target_archE906ELNS1_3gpuE6ELNS1_3repE0EEENS1_30default_config_static_selectorELNS0_4arch9wavefront6targetE1EEEvT1_
                                        ; -- End function
	.section	.AMDGPU.csdata,"",@progbits
; Kernel info:
; codeLenInByte = 0
; NumSgprs: 4
; NumVgprs: 0
; NumAgprs: 0
; TotalNumVgprs: 0
; ScratchSize: 0
; MemoryBound: 0
; FloatMode: 240
; IeeeMode: 1
; LDSByteSize: 0 bytes/workgroup (compile time only)
; SGPRBlocks: 0
; VGPRBlocks: 0
; NumSGPRsForWavesPerEU: 4
; NumVGPRsForWavesPerEU: 1
; AccumOffset: 4
; Occupancy: 8
; WaveLimiterHint : 0
; COMPUTE_PGM_RSRC2:SCRATCH_EN: 0
; COMPUTE_PGM_RSRC2:USER_SGPR: 6
; COMPUTE_PGM_RSRC2:TRAP_HANDLER: 0
; COMPUTE_PGM_RSRC2:TGID_X_EN: 1
; COMPUTE_PGM_RSRC2:TGID_Y_EN: 0
; COMPUTE_PGM_RSRC2:TGID_Z_EN: 0
; COMPUTE_PGM_RSRC2:TIDIG_COMP_CNT: 0
; COMPUTE_PGM_RSRC3_GFX90A:ACCUM_OFFSET: 0
; COMPUTE_PGM_RSRC3_GFX90A:TG_SPLIT: 0
	.section	.text._ZN7rocprim17ROCPRIM_400000_NS6detail17trampoline_kernelINS0_14default_configENS1_20scan_config_selectorIiEEZZNS1_9scan_implILNS1_25lookback_scan_determinismE0ELb0ELb0ES3_N6thrust23THRUST_200600_302600_NS10device_ptrIiEESB_iNS9_4plusIvEEiEEDaPvRmT3_T4_T5_mT6_P12ihipStream_tbENKUlT_T0_E_clISt17integral_constantIbLb0EESR_EEDaSM_SN_EUlSM_E0_NS1_11comp_targetILNS1_3genE10ELNS1_11target_archE1201ELNS1_3gpuE5ELNS1_3repE0EEENS1_30default_config_static_selectorELNS0_4arch9wavefront6targetE1EEEvT1_,"axG",@progbits,_ZN7rocprim17ROCPRIM_400000_NS6detail17trampoline_kernelINS0_14default_configENS1_20scan_config_selectorIiEEZZNS1_9scan_implILNS1_25lookback_scan_determinismE0ELb0ELb0ES3_N6thrust23THRUST_200600_302600_NS10device_ptrIiEESB_iNS9_4plusIvEEiEEDaPvRmT3_T4_T5_mT6_P12ihipStream_tbENKUlT_T0_E_clISt17integral_constantIbLb0EESR_EEDaSM_SN_EUlSM_E0_NS1_11comp_targetILNS1_3genE10ELNS1_11target_archE1201ELNS1_3gpuE5ELNS1_3repE0EEENS1_30default_config_static_selectorELNS0_4arch9wavefront6targetE1EEEvT1_,comdat
	.protected	_ZN7rocprim17ROCPRIM_400000_NS6detail17trampoline_kernelINS0_14default_configENS1_20scan_config_selectorIiEEZZNS1_9scan_implILNS1_25lookback_scan_determinismE0ELb0ELb0ES3_N6thrust23THRUST_200600_302600_NS10device_ptrIiEESB_iNS9_4plusIvEEiEEDaPvRmT3_T4_T5_mT6_P12ihipStream_tbENKUlT_T0_E_clISt17integral_constantIbLb0EESR_EEDaSM_SN_EUlSM_E0_NS1_11comp_targetILNS1_3genE10ELNS1_11target_archE1201ELNS1_3gpuE5ELNS1_3repE0EEENS1_30default_config_static_selectorELNS0_4arch9wavefront6targetE1EEEvT1_ ; -- Begin function _ZN7rocprim17ROCPRIM_400000_NS6detail17trampoline_kernelINS0_14default_configENS1_20scan_config_selectorIiEEZZNS1_9scan_implILNS1_25lookback_scan_determinismE0ELb0ELb0ES3_N6thrust23THRUST_200600_302600_NS10device_ptrIiEESB_iNS9_4plusIvEEiEEDaPvRmT3_T4_T5_mT6_P12ihipStream_tbENKUlT_T0_E_clISt17integral_constantIbLb0EESR_EEDaSM_SN_EUlSM_E0_NS1_11comp_targetILNS1_3genE10ELNS1_11target_archE1201ELNS1_3gpuE5ELNS1_3repE0EEENS1_30default_config_static_selectorELNS0_4arch9wavefront6targetE1EEEvT1_
	.globl	_ZN7rocprim17ROCPRIM_400000_NS6detail17trampoline_kernelINS0_14default_configENS1_20scan_config_selectorIiEEZZNS1_9scan_implILNS1_25lookback_scan_determinismE0ELb0ELb0ES3_N6thrust23THRUST_200600_302600_NS10device_ptrIiEESB_iNS9_4plusIvEEiEEDaPvRmT3_T4_T5_mT6_P12ihipStream_tbENKUlT_T0_E_clISt17integral_constantIbLb0EESR_EEDaSM_SN_EUlSM_E0_NS1_11comp_targetILNS1_3genE10ELNS1_11target_archE1201ELNS1_3gpuE5ELNS1_3repE0EEENS1_30default_config_static_selectorELNS0_4arch9wavefront6targetE1EEEvT1_
	.p2align	8
	.type	_ZN7rocprim17ROCPRIM_400000_NS6detail17trampoline_kernelINS0_14default_configENS1_20scan_config_selectorIiEEZZNS1_9scan_implILNS1_25lookback_scan_determinismE0ELb0ELb0ES3_N6thrust23THRUST_200600_302600_NS10device_ptrIiEESB_iNS9_4plusIvEEiEEDaPvRmT3_T4_T5_mT6_P12ihipStream_tbENKUlT_T0_E_clISt17integral_constantIbLb0EESR_EEDaSM_SN_EUlSM_E0_NS1_11comp_targetILNS1_3genE10ELNS1_11target_archE1201ELNS1_3gpuE5ELNS1_3repE0EEENS1_30default_config_static_selectorELNS0_4arch9wavefront6targetE1EEEvT1_,@function
_ZN7rocprim17ROCPRIM_400000_NS6detail17trampoline_kernelINS0_14default_configENS1_20scan_config_selectorIiEEZZNS1_9scan_implILNS1_25lookback_scan_determinismE0ELb0ELb0ES3_N6thrust23THRUST_200600_302600_NS10device_ptrIiEESB_iNS9_4plusIvEEiEEDaPvRmT3_T4_T5_mT6_P12ihipStream_tbENKUlT_T0_E_clISt17integral_constantIbLb0EESR_EEDaSM_SN_EUlSM_E0_NS1_11comp_targetILNS1_3genE10ELNS1_11target_archE1201ELNS1_3gpuE5ELNS1_3repE0EEENS1_30default_config_static_selectorELNS0_4arch9wavefront6targetE1EEEvT1_: ; @_ZN7rocprim17ROCPRIM_400000_NS6detail17trampoline_kernelINS0_14default_configENS1_20scan_config_selectorIiEEZZNS1_9scan_implILNS1_25lookback_scan_determinismE0ELb0ELb0ES3_N6thrust23THRUST_200600_302600_NS10device_ptrIiEESB_iNS9_4plusIvEEiEEDaPvRmT3_T4_T5_mT6_P12ihipStream_tbENKUlT_T0_E_clISt17integral_constantIbLb0EESR_EEDaSM_SN_EUlSM_E0_NS1_11comp_targetILNS1_3genE10ELNS1_11target_archE1201ELNS1_3gpuE5ELNS1_3repE0EEENS1_30default_config_static_selectorELNS0_4arch9wavefront6targetE1EEEvT1_
; %bb.0:
	.section	.rodata,"a",@progbits
	.p2align	6, 0x0
	.amdhsa_kernel _ZN7rocprim17ROCPRIM_400000_NS6detail17trampoline_kernelINS0_14default_configENS1_20scan_config_selectorIiEEZZNS1_9scan_implILNS1_25lookback_scan_determinismE0ELb0ELb0ES3_N6thrust23THRUST_200600_302600_NS10device_ptrIiEESB_iNS9_4plusIvEEiEEDaPvRmT3_T4_T5_mT6_P12ihipStream_tbENKUlT_T0_E_clISt17integral_constantIbLb0EESR_EEDaSM_SN_EUlSM_E0_NS1_11comp_targetILNS1_3genE10ELNS1_11target_archE1201ELNS1_3gpuE5ELNS1_3repE0EEENS1_30default_config_static_selectorELNS0_4arch9wavefront6targetE1EEEvT1_
		.amdhsa_group_segment_fixed_size 0
		.amdhsa_private_segment_fixed_size 0
		.amdhsa_kernarg_size 32
		.amdhsa_user_sgpr_count 6
		.amdhsa_user_sgpr_private_segment_buffer 1
		.amdhsa_user_sgpr_dispatch_ptr 0
		.amdhsa_user_sgpr_queue_ptr 0
		.amdhsa_user_sgpr_kernarg_segment_ptr 1
		.amdhsa_user_sgpr_dispatch_id 0
		.amdhsa_user_sgpr_flat_scratch_init 0
		.amdhsa_user_sgpr_kernarg_preload_length 0
		.amdhsa_user_sgpr_kernarg_preload_offset 0
		.amdhsa_user_sgpr_private_segment_size 0
		.amdhsa_uses_dynamic_stack 0
		.amdhsa_system_sgpr_private_segment_wavefront_offset 0
		.amdhsa_system_sgpr_workgroup_id_x 1
		.amdhsa_system_sgpr_workgroup_id_y 0
		.amdhsa_system_sgpr_workgroup_id_z 0
		.amdhsa_system_sgpr_workgroup_info 0
		.amdhsa_system_vgpr_workitem_id 0
		.amdhsa_next_free_vgpr 1
		.amdhsa_next_free_sgpr 0
		.amdhsa_accum_offset 4
		.amdhsa_reserve_vcc 0
		.amdhsa_reserve_flat_scratch 0
		.amdhsa_float_round_mode_32 0
		.amdhsa_float_round_mode_16_64 0
		.amdhsa_float_denorm_mode_32 3
		.amdhsa_float_denorm_mode_16_64 3
		.amdhsa_dx10_clamp 1
		.amdhsa_ieee_mode 1
		.amdhsa_fp16_overflow 0
		.amdhsa_tg_split 0
		.amdhsa_exception_fp_ieee_invalid_op 0
		.amdhsa_exception_fp_denorm_src 0
		.amdhsa_exception_fp_ieee_div_zero 0
		.amdhsa_exception_fp_ieee_overflow 0
		.amdhsa_exception_fp_ieee_underflow 0
		.amdhsa_exception_fp_ieee_inexact 0
		.amdhsa_exception_int_div_zero 0
	.end_amdhsa_kernel
	.section	.text._ZN7rocprim17ROCPRIM_400000_NS6detail17trampoline_kernelINS0_14default_configENS1_20scan_config_selectorIiEEZZNS1_9scan_implILNS1_25lookback_scan_determinismE0ELb0ELb0ES3_N6thrust23THRUST_200600_302600_NS10device_ptrIiEESB_iNS9_4plusIvEEiEEDaPvRmT3_T4_T5_mT6_P12ihipStream_tbENKUlT_T0_E_clISt17integral_constantIbLb0EESR_EEDaSM_SN_EUlSM_E0_NS1_11comp_targetILNS1_3genE10ELNS1_11target_archE1201ELNS1_3gpuE5ELNS1_3repE0EEENS1_30default_config_static_selectorELNS0_4arch9wavefront6targetE1EEEvT1_,"axG",@progbits,_ZN7rocprim17ROCPRIM_400000_NS6detail17trampoline_kernelINS0_14default_configENS1_20scan_config_selectorIiEEZZNS1_9scan_implILNS1_25lookback_scan_determinismE0ELb0ELb0ES3_N6thrust23THRUST_200600_302600_NS10device_ptrIiEESB_iNS9_4plusIvEEiEEDaPvRmT3_T4_T5_mT6_P12ihipStream_tbENKUlT_T0_E_clISt17integral_constantIbLb0EESR_EEDaSM_SN_EUlSM_E0_NS1_11comp_targetILNS1_3genE10ELNS1_11target_archE1201ELNS1_3gpuE5ELNS1_3repE0EEENS1_30default_config_static_selectorELNS0_4arch9wavefront6targetE1EEEvT1_,comdat
.Lfunc_end6764:
	.size	_ZN7rocprim17ROCPRIM_400000_NS6detail17trampoline_kernelINS0_14default_configENS1_20scan_config_selectorIiEEZZNS1_9scan_implILNS1_25lookback_scan_determinismE0ELb0ELb0ES3_N6thrust23THRUST_200600_302600_NS10device_ptrIiEESB_iNS9_4plusIvEEiEEDaPvRmT3_T4_T5_mT6_P12ihipStream_tbENKUlT_T0_E_clISt17integral_constantIbLb0EESR_EEDaSM_SN_EUlSM_E0_NS1_11comp_targetILNS1_3genE10ELNS1_11target_archE1201ELNS1_3gpuE5ELNS1_3repE0EEENS1_30default_config_static_selectorELNS0_4arch9wavefront6targetE1EEEvT1_, .Lfunc_end6764-_ZN7rocprim17ROCPRIM_400000_NS6detail17trampoline_kernelINS0_14default_configENS1_20scan_config_selectorIiEEZZNS1_9scan_implILNS1_25lookback_scan_determinismE0ELb0ELb0ES3_N6thrust23THRUST_200600_302600_NS10device_ptrIiEESB_iNS9_4plusIvEEiEEDaPvRmT3_T4_T5_mT6_P12ihipStream_tbENKUlT_T0_E_clISt17integral_constantIbLb0EESR_EEDaSM_SN_EUlSM_E0_NS1_11comp_targetILNS1_3genE10ELNS1_11target_archE1201ELNS1_3gpuE5ELNS1_3repE0EEENS1_30default_config_static_selectorELNS0_4arch9wavefront6targetE1EEEvT1_
                                        ; -- End function
	.section	.AMDGPU.csdata,"",@progbits
; Kernel info:
; codeLenInByte = 0
; NumSgprs: 4
; NumVgprs: 0
; NumAgprs: 0
; TotalNumVgprs: 0
; ScratchSize: 0
; MemoryBound: 0
; FloatMode: 240
; IeeeMode: 1
; LDSByteSize: 0 bytes/workgroup (compile time only)
; SGPRBlocks: 0
; VGPRBlocks: 0
; NumSGPRsForWavesPerEU: 4
; NumVGPRsForWavesPerEU: 1
; AccumOffset: 4
; Occupancy: 8
; WaveLimiterHint : 0
; COMPUTE_PGM_RSRC2:SCRATCH_EN: 0
; COMPUTE_PGM_RSRC2:USER_SGPR: 6
; COMPUTE_PGM_RSRC2:TRAP_HANDLER: 0
; COMPUTE_PGM_RSRC2:TGID_X_EN: 1
; COMPUTE_PGM_RSRC2:TGID_Y_EN: 0
; COMPUTE_PGM_RSRC2:TGID_Z_EN: 0
; COMPUTE_PGM_RSRC2:TIDIG_COMP_CNT: 0
; COMPUTE_PGM_RSRC3_GFX90A:ACCUM_OFFSET: 0
; COMPUTE_PGM_RSRC3_GFX90A:TG_SPLIT: 0
	.section	.text._ZN7rocprim17ROCPRIM_400000_NS6detail17trampoline_kernelINS0_14default_configENS1_20scan_config_selectorIiEEZZNS1_9scan_implILNS1_25lookback_scan_determinismE0ELb0ELb0ES3_N6thrust23THRUST_200600_302600_NS10device_ptrIiEESB_iNS9_4plusIvEEiEEDaPvRmT3_T4_T5_mT6_P12ihipStream_tbENKUlT_T0_E_clISt17integral_constantIbLb0EESR_EEDaSM_SN_EUlSM_E0_NS1_11comp_targetILNS1_3genE10ELNS1_11target_archE1200ELNS1_3gpuE4ELNS1_3repE0EEENS1_30default_config_static_selectorELNS0_4arch9wavefront6targetE1EEEvT1_,"axG",@progbits,_ZN7rocprim17ROCPRIM_400000_NS6detail17trampoline_kernelINS0_14default_configENS1_20scan_config_selectorIiEEZZNS1_9scan_implILNS1_25lookback_scan_determinismE0ELb0ELb0ES3_N6thrust23THRUST_200600_302600_NS10device_ptrIiEESB_iNS9_4plusIvEEiEEDaPvRmT3_T4_T5_mT6_P12ihipStream_tbENKUlT_T0_E_clISt17integral_constantIbLb0EESR_EEDaSM_SN_EUlSM_E0_NS1_11comp_targetILNS1_3genE10ELNS1_11target_archE1200ELNS1_3gpuE4ELNS1_3repE0EEENS1_30default_config_static_selectorELNS0_4arch9wavefront6targetE1EEEvT1_,comdat
	.protected	_ZN7rocprim17ROCPRIM_400000_NS6detail17trampoline_kernelINS0_14default_configENS1_20scan_config_selectorIiEEZZNS1_9scan_implILNS1_25lookback_scan_determinismE0ELb0ELb0ES3_N6thrust23THRUST_200600_302600_NS10device_ptrIiEESB_iNS9_4plusIvEEiEEDaPvRmT3_T4_T5_mT6_P12ihipStream_tbENKUlT_T0_E_clISt17integral_constantIbLb0EESR_EEDaSM_SN_EUlSM_E0_NS1_11comp_targetILNS1_3genE10ELNS1_11target_archE1200ELNS1_3gpuE4ELNS1_3repE0EEENS1_30default_config_static_selectorELNS0_4arch9wavefront6targetE1EEEvT1_ ; -- Begin function _ZN7rocprim17ROCPRIM_400000_NS6detail17trampoline_kernelINS0_14default_configENS1_20scan_config_selectorIiEEZZNS1_9scan_implILNS1_25lookback_scan_determinismE0ELb0ELb0ES3_N6thrust23THRUST_200600_302600_NS10device_ptrIiEESB_iNS9_4plusIvEEiEEDaPvRmT3_T4_T5_mT6_P12ihipStream_tbENKUlT_T0_E_clISt17integral_constantIbLb0EESR_EEDaSM_SN_EUlSM_E0_NS1_11comp_targetILNS1_3genE10ELNS1_11target_archE1200ELNS1_3gpuE4ELNS1_3repE0EEENS1_30default_config_static_selectorELNS0_4arch9wavefront6targetE1EEEvT1_
	.globl	_ZN7rocprim17ROCPRIM_400000_NS6detail17trampoline_kernelINS0_14default_configENS1_20scan_config_selectorIiEEZZNS1_9scan_implILNS1_25lookback_scan_determinismE0ELb0ELb0ES3_N6thrust23THRUST_200600_302600_NS10device_ptrIiEESB_iNS9_4plusIvEEiEEDaPvRmT3_T4_T5_mT6_P12ihipStream_tbENKUlT_T0_E_clISt17integral_constantIbLb0EESR_EEDaSM_SN_EUlSM_E0_NS1_11comp_targetILNS1_3genE10ELNS1_11target_archE1200ELNS1_3gpuE4ELNS1_3repE0EEENS1_30default_config_static_selectorELNS0_4arch9wavefront6targetE1EEEvT1_
	.p2align	8
	.type	_ZN7rocprim17ROCPRIM_400000_NS6detail17trampoline_kernelINS0_14default_configENS1_20scan_config_selectorIiEEZZNS1_9scan_implILNS1_25lookback_scan_determinismE0ELb0ELb0ES3_N6thrust23THRUST_200600_302600_NS10device_ptrIiEESB_iNS9_4plusIvEEiEEDaPvRmT3_T4_T5_mT6_P12ihipStream_tbENKUlT_T0_E_clISt17integral_constantIbLb0EESR_EEDaSM_SN_EUlSM_E0_NS1_11comp_targetILNS1_3genE10ELNS1_11target_archE1200ELNS1_3gpuE4ELNS1_3repE0EEENS1_30default_config_static_selectorELNS0_4arch9wavefront6targetE1EEEvT1_,@function
_ZN7rocprim17ROCPRIM_400000_NS6detail17trampoline_kernelINS0_14default_configENS1_20scan_config_selectorIiEEZZNS1_9scan_implILNS1_25lookback_scan_determinismE0ELb0ELb0ES3_N6thrust23THRUST_200600_302600_NS10device_ptrIiEESB_iNS9_4plusIvEEiEEDaPvRmT3_T4_T5_mT6_P12ihipStream_tbENKUlT_T0_E_clISt17integral_constantIbLb0EESR_EEDaSM_SN_EUlSM_E0_NS1_11comp_targetILNS1_3genE10ELNS1_11target_archE1200ELNS1_3gpuE4ELNS1_3repE0EEENS1_30default_config_static_selectorELNS0_4arch9wavefront6targetE1EEEvT1_: ; @_ZN7rocprim17ROCPRIM_400000_NS6detail17trampoline_kernelINS0_14default_configENS1_20scan_config_selectorIiEEZZNS1_9scan_implILNS1_25lookback_scan_determinismE0ELb0ELb0ES3_N6thrust23THRUST_200600_302600_NS10device_ptrIiEESB_iNS9_4plusIvEEiEEDaPvRmT3_T4_T5_mT6_P12ihipStream_tbENKUlT_T0_E_clISt17integral_constantIbLb0EESR_EEDaSM_SN_EUlSM_E0_NS1_11comp_targetILNS1_3genE10ELNS1_11target_archE1200ELNS1_3gpuE4ELNS1_3repE0EEENS1_30default_config_static_selectorELNS0_4arch9wavefront6targetE1EEEvT1_
; %bb.0:
	.section	.rodata,"a",@progbits
	.p2align	6, 0x0
	.amdhsa_kernel _ZN7rocprim17ROCPRIM_400000_NS6detail17trampoline_kernelINS0_14default_configENS1_20scan_config_selectorIiEEZZNS1_9scan_implILNS1_25lookback_scan_determinismE0ELb0ELb0ES3_N6thrust23THRUST_200600_302600_NS10device_ptrIiEESB_iNS9_4plusIvEEiEEDaPvRmT3_T4_T5_mT6_P12ihipStream_tbENKUlT_T0_E_clISt17integral_constantIbLb0EESR_EEDaSM_SN_EUlSM_E0_NS1_11comp_targetILNS1_3genE10ELNS1_11target_archE1200ELNS1_3gpuE4ELNS1_3repE0EEENS1_30default_config_static_selectorELNS0_4arch9wavefront6targetE1EEEvT1_
		.amdhsa_group_segment_fixed_size 0
		.amdhsa_private_segment_fixed_size 0
		.amdhsa_kernarg_size 32
		.amdhsa_user_sgpr_count 6
		.amdhsa_user_sgpr_private_segment_buffer 1
		.amdhsa_user_sgpr_dispatch_ptr 0
		.amdhsa_user_sgpr_queue_ptr 0
		.amdhsa_user_sgpr_kernarg_segment_ptr 1
		.amdhsa_user_sgpr_dispatch_id 0
		.amdhsa_user_sgpr_flat_scratch_init 0
		.amdhsa_user_sgpr_kernarg_preload_length 0
		.amdhsa_user_sgpr_kernarg_preload_offset 0
		.amdhsa_user_sgpr_private_segment_size 0
		.amdhsa_uses_dynamic_stack 0
		.amdhsa_system_sgpr_private_segment_wavefront_offset 0
		.amdhsa_system_sgpr_workgroup_id_x 1
		.amdhsa_system_sgpr_workgroup_id_y 0
		.amdhsa_system_sgpr_workgroup_id_z 0
		.amdhsa_system_sgpr_workgroup_info 0
		.amdhsa_system_vgpr_workitem_id 0
		.amdhsa_next_free_vgpr 1
		.amdhsa_next_free_sgpr 0
		.amdhsa_accum_offset 4
		.amdhsa_reserve_vcc 0
		.amdhsa_reserve_flat_scratch 0
		.amdhsa_float_round_mode_32 0
		.amdhsa_float_round_mode_16_64 0
		.amdhsa_float_denorm_mode_32 3
		.amdhsa_float_denorm_mode_16_64 3
		.amdhsa_dx10_clamp 1
		.amdhsa_ieee_mode 1
		.amdhsa_fp16_overflow 0
		.amdhsa_tg_split 0
		.amdhsa_exception_fp_ieee_invalid_op 0
		.amdhsa_exception_fp_denorm_src 0
		.amdhsa_exception_fp_ieee_div_zero 0
		.amdhsa_exception_fp_ieee_overflow 0
		.amdhsa_exception_fp_ieee_underflow 0
		.amdhsa_exception_fp_ieee_inexact 0
		.amdhsa_exception_int_div_zero 0
	.end_amdhsa_kernel
	.section	.text._ZN7rocprim17ROCPRIM_400000_NS6detail17trampoline_kernelINS0_14default_configENS1_20scan_config_selectorIiEEZZNS1_9scan_implILNS1_25lookback_scan_determinismE0ELb0ELb0ES3_N6thrust23THRUST_200600_302600_NS10device_ptrIiEESB_iNS9_4plusIvEEiEEDaPvRmT3_T4_T5_mT6_P12ihipStream_tbENKUlT_T0_E_clISt17integral_constantIbLb0EESR_EEDaSM_SN_EUlSM_E0_NS1_11comp_targetILNS1_3genE10ELNS1_11target_archE1200ELNS1_3gpuE4ELNS1_3repE0EEENS1_30default_config_static_selectorELNS0_4arch9wavefront6targetE1EEEvT1_,"axG",@progbits,_ZN7rocprim17ROCPRIM_400000_NS6detail17trampoline_kernelINS0_14default_configENS1_20scan_config_selectorIiEEZZNS1_9scan_implILNS1_25lookback_scan_determinismE0ELb0ELb0ES3_N6thrust23THRUST_200600_302600_NS10device_ptrIiEESB_iNS9_4plusIvEEiEEDaPvRmT3_T4_T5_mT6_P12ihipStream_tbENKUlT_T0_E_clISt17integral_constantIbLb0EESR_EEDaSM_SN_EUlSM_E0_NS1_11comp_targetILNS1_3genE10ELNS1_11target_archE1200ELNS1_3gpuE4ELNS1_3repE0EEENS1_30default_config_static_selectorELNS0_4arch9wavefront6targetE1EEEvT1_,comdat
.Lfunc_end6765:
	.size	_ZN7rocprim17ROCPRIM_400000_NS6detail17trampoline_kernelINS0_14default_configENS1_20scan_config_selectorIiEEZZNS1_9scan_implILNS1_25lookback_scan_determinismE0ELb0ELb0ES3_N6thrust23THRUST_200600_302600_NS10device_ptrIiEESB_iNS9_4plusIvEEiEEDaPvRmT3_T4_T5_mT6_P12ihipStream_tbENKUlT_T0_E_clISt17integral_constantIbLb0EESR_EEDaSM_SN_EUlSM_E0_NS1_11comp_targetILNS1_3genE10ELNS1_11target_archE1200ELNS1_3gpuE4ELNS1_3repE0EEENS1_30default_config_static_selectorELNS0_4arch9wavefront6targetE1EEEvT1_, .Lfunc_end6765-_ZN7rocprim17ROCPRIM_400000_NS6detail17trampoline_kernelINS0_14default_configENS1_20scan_config_selectorIiEEZZNS1_9scan_implILNS1_25lookback_scan_determinismE0ELb0ELb0ES3_N6thrust23THRUST_200600_302600_NS10device_ptrIiEESB_iNS9_4plusIvEEiEEDaPvRmT3_T4_T5_mT6_P12ihipStream_tbENKUlT_T0_E_clISt17integral_constantIbLb0EESR_EEDaSM_SN_EUlSM_E0_NS1_11comp_targetILNS1_3genE10ELNS1_11target_archE1200ELNS1_3gpuE4ELNS1_3repE0EEENS1_30default_config_static_selectorELNS0_4arch9wavefront6targetE1EEEvT1_
                                        ; -- End function
	.section	.AMDGPU.csdata,"",@progbits
; Kernel info:
; codeLenInByte = 0
; NumSgprs: 4
; NumVgprs: 0
; NumAgprs: 0
; TotalNumVgprs: 0
; ScratchSize: 0
; MemoryBound: 0
; FloatMode: 240
; IeeeMode: 1
; LDSByteSize: 0 bytes/workgroup (compile time only)
; SGPRBlocks: 0
; VGPRBlocks: 0
; NumSGPRsForWavesPerEU: 4
; NumVGPRsForWavesPerEU: 1
; AccumOffset: 4
; Occupancy: 8
; WaveLimiterHint : 0
; COMPUTE_PGM_RSRC2:SCRATCH_EN: 0
; COMPUTE_PGM_RSRC2:USER_SGPR: 6
; COMPUTE_PGM_RSRC2:TRAP_HANDLER: 0
; COMPUTE_PGM_RSRC2:TGID_X_EN: 1
; COMPUTE_PGM_RSRC2:TGID_Y_EN: 0
; COMPUTE_PGM_RSRC2:TGID_Z_EN: 0
; COMPUTE_PGM_RSRC2:TIDIG_COMP_CNT: 0
; COMPUTE_PGM_RSRC3_GFX90A:ACCUM_OFFSET: 0
; COMPUTE_PGM_RSRC3_GFX90A:TG_SPLIT: 0
	.section	.text._ZN7rocprim17ROCPRIM_400000_NS6detail17trampoline_kernelINS0_14default_configENS1_20scan_config_selectorIiEEZZNS1_9scan_implILNS1_25lookback_scan_determinismE0ELb0ELb0ES3_N6thrust23THRUST_200600_302600_NS10device_ptrIiEESB_iNS9_4plusIvEEiEEDaPvRmT3_T4_T5_mT6_P12ihipStream_tbENKUlT_T0_E_clISt17integral_constantIbLb0EESR_EEDaSM_SN_EUlSM_E0_NS1_11comp_targetILNS1_3genE9ELNS1_11target_archE1100ELNS1_3gpuE3ELNS1_3repE0EEENS1_30default_config_static_selectorELNS0_4arch9wavefront6targetE1EEEvT1_,"axG",@progbits,_ZN7rocprim17ROCPRIM_400000_NS6detail17trampoline_kernelINS0_14default_configENS1_20scan_config_selectorIiEEZZNS1_9scan_implILNS1_25lookback_scan_determinismE0ELb0ELb0ES3_N6thrust23THRUST_200600_302600_NS10device_ptrIiEESB_iNS9_4plusIvEEiEEDaPvRmT3_T4_T5_mT6_P12ihipStream_tbENKUlT_T0_E_clISt17integral_constantIbLb0EESR_EEDaSM_SN_EUlSM_E0_NS1_11comp_targetILNS1_3genE9ELNS1_11target_archE1100ELNS1_3gpuE3ELNS1_3repE0EEENS1_30default_config_static_selectorELNS0_4arch9wavefront6targetE1EEEvT1_,comdat
	.protected	_ZN7rocprim17ROCPRIM_400000_NS6detail17trampoline_kernelINS0_14default_configENS1_20scan_config_selectorIiEEZZNS1_9scan_implILNS1_25lookback_scan_determinismE0ELb0ELb0ES3_N6thrust23THRUST_200600_302600_NS10device_ptrIiEESB_iNS9_4plusIvEEiEEDaPvRmT3_T4_T5_mT6_P12ihipStream_tbENKUlT_T0_E_clISt17integral_constantIbLb0EESR_EEDaSM_SN_EUlSM_E0_NS1_11comp_targetILNS1_3genE9ELNS1_11target_archE1100ELNS1_3gpuE3ELNS1_3repE0EEENS1_30default_config_static_selectorELNS0_4arch9wavefront6targetE1EEEvT1_ ; -- Begin function _ZN7rocprim17ROCPRIM_400000_NS6detail17trampoline_kernelINS0_14default_configENS1_20scan_config_selectorIiEEZZNS1_9scan_implILNS1_25lookback_scan_determinismE0ELb0ELb0ES3_N6thrust23THRUST_200600_302600_NS10device_ptrIiEESB_iNS9_4plusIvEEiEEDaPvRmT3_T4_T5_mT6_P12ihipStream_tbENKUlT_T0_E_clISt17integral_constantIbLb0EESR_EEDaSM_SN_EUlSM_E0_NS1_11comp_targetILNS1_3genE9ELNS1_11target_archE1100ELNS1_3gpuE3ELNS1_3repE0EEENS1_30default_config_static_selectorELNS0_4arch9wavefront6targetE1EEEvT1_
	.globl	_ZN7rocprim17ROCPRIM_400000_NS6detail17trampoline_kernelINS0_14default_configENS1_20scan_config_selectorIiEEZZNS1_9scan_implILNS1_25lookback_scan_determinismE0ELb0ELb0ES3_N6thrust23THRUST_200600_302600_NS10device_ptrIiEESB_iNS9_4plusIvEEiEEDaPvRmT3_T4_T5_mT6_P12ihipStream_tbENKUlT_T0_E_clISt17integral_constantIbLb0EESR_EEDaSM_SN_EUlSM_E0_NS1_11comp_targetILNS1_3genE9ELNS1_11target_archE1100ELNS1_3gpuE3ELNS1_3repE0EEENS1_30default_config_static_selectorELNS0_4arch9wavefront6targetE1EEEvT1_
	.p2align	8
	.type	_ZN7rocprim17ROCPRIM_400000_NS6detail17trampoline_kernelINS0_14default_configENS1_20scan_config_selectorIiEEZZNS1_9scan_implILNS1_25lookback_scan_determinismE0ELb0ELb0ES3_N6thrust23THRUST_200600_302600_NS10device_ptrIiEESB_iNS9_4plusIvEEiEEDaPvRmT3_T4_T5_mT6_P12ihipStream_tbENKUlT_T0_E_clISt17integral_constantIbLb0EESR_EEDaSM_SN_EUlSM_E0_NS1_11comp_targetILNS1_3genE9ELNS1_11target_archE1100ELNS1_3gpuE3ELNS1_3repE0EEENS1_30default_config_static_selectorELNS0_4arch9wavefront6targetE1EEEvT1_,@function
_ZN7rocprim17ROCPRIM_400000_NS6detail17trampoline_kernelINS0_14default_configENS1_20scan_config_selectorIiEEZZNS1_9scan_implILNS1_25lookback_scan_determinismE0ELb0ELb0ES3_N6thrust23THRUST_200600_302600_NS10device_ptrIiEESB_iNS9_4plusIvEEiEEDaPvRmT3_T4_T5_mT6_P12ihipStream_tbENKUlT_T0_E_clISt17integral_constantIbLb0EESR_EEDaSM_SN_EUlSM_E0_NS1_11comp_targetILNS1_3genE9ELNS1_11target_archE1100ELNS1_3gpuE3ELNS1_3repE0EEENS1_30default_config_static_selectorELNS0_4arch9wavefront6targetE1EEEvT1_: ; @_ZN7rocprim17ROCPRIM_400000_NS6detail17trampoline_kernelINS0_14default_configENS1_20scan_config_selectorIiEEZZNS1_9scan_implILNS1_25lookback_scan_determinismE0ELb0ELb0ES3_N6thrust23THRUST_200600_302600_NS10device_ptrIiEESB_iNS9_4plusIvEEiEEDaPvRmT3_T4_T5_mT6_P12ihipStream_tbENKUlT_T0_E_clISt17integral_constantIbLb0EESR_EEDaSM_SN_EUlSM_E0_NS1_11comp_targetILNS1_3genE9ELNS1_11target_archE1100ELNS1_3gpuE3ELNS1_3repE0EEENS1_30default_config_static_selectorELNS0_4arch9wavefront6targetE1EEEvT1_
; %bb.0:
	.section	.rodata,"a",@progbits
	.p2align	6, 0x0
	.amdhsa_kernel _ZN7rocprim17ROCPRIM_400000_NS6detail17trampoline_kernelINS0_14default_configENS1_20scan_config_selectorIiEEZZNS1_9scan_implILNS1_25lookback_scan_determinismE0ELb0ELb0ES3_N6thrust23THRUST_200600_302600_NS10device_ptrIiEESB_iNS9_4plusIvEEiEEDaPvRmT3_T4_T5_mT6_P12ihipStream_tbENKUlT_T0_E_clISt17integral_constantIbLb0EESR_EEDaSM_SN_EUlSM_E0_NS1_11comp_targetILNS1_3genE9ELNS1_11target_archE1100ELNS1_3gpuE3ELNS1_3repE0EEENS1_30default_config_static_selectorELNS0_4arch9wavefront6targetE1EEEvT1_
		.amdhsa_group_segment_fixed_size 0
		.amdhsa_private_segment_fixed_size 0
		.amdhsa_kernarg_size 32
		.amdhsa_user_sgpr_count 6
		.amdhsa_user_sgpr_private_segment_buffer 1
		.amdhsa_user_sgpr_dispatch_ptr 0
		.amdhsa_user_sgpr_queue_ptr 0
		.amdhsa_user_sgpr_kernarg_segment_ptr 1
		.amdhsa_user_sgpr_dispatch_id 0
		.amdhsa_user_sgpr_flat_scratch_init 0
		.amdhsa_user_sgpr_kernarg_preload_length 0
		.amdhsa_user_sgpr_kernarg_preload_offset 0
		.amdhsa_user_sgpr_private_segment_size 0
		.amdhsa_uses_dynamic_stack 0
		.amdhsa_system_sgpr_private_segment_wavefront_offset 0
		.amdhsa_system_sgpr_workgroup_id_x 1
		.amdhsa_system_sgpr_workgroup_id_y 0
		.amdhsa_system_sgpr_workgroup_id_z 0
		.amdhsa_system_sgpr_workgroup_info 0
		.amdhsa_system_vgpr_workitem_id 0
		.amdhsa_next_free_vgpr 1
		.amdhsa_next_free_sgpr 0
		.amdhsa_accum_offset 4
		.amdhsa_reserve_vcc 0
		.amdhsa_reserve_flat_scratch 0
		.amdhsa_float_round_mode_32 0
		.amdhsa_float_round_mode_16_64 0
		.amdhsa_float_denorm_mode_32 3
		.amdhsa_float_denorm_mode_16_64 3
		.amdhsa_dx10_clamp 1
		.amdhsa_ieee_mode 1
		.amdhsa_fp16_overflow 0
		.amdhsa_tg_split 0
		.amdhsa_exception_fp_ieee_invalid_op 0
		.amdhsa_exception_fp_denorm_src 0
		.amdhsa_exception_fp_ieee_div_zero 0
		.amdhsa_exception_fp_ieee_overflow 0
		.amdhsa_exception_fp_ieee_underflow 0
		.amdhsa_exception_fp_ieee_inexact 0
		.amdhsa_exception_int_div_zero 0
	.end_amdhsa_kernel
	.section	.text._ZN7rocprim17ROCPRIM_400000_NS6detail17trampoline_kernelINS0_14default_configENS1_20scan_config_selectorIiEEZZNS1_9scan_implILNS1_25lookback_scan_determinismE0ELb0ELb0ES3_N6thrust23THRUST_200600_302600_NS10device_ptrIiEESB_iNS9_4plusIvEEiEEDaPvRmT3_T4_T5_mT6_P12ihipStream_tbENKUlT_T0_E_clISt17integral_constantIbLb0EESR_EEDaSM_SN_EUlSM_E0_NS1_11comp_targetILNS1_3genE9ELNS1_11target_archE1100ELNS1_3gpuE3ELNS1_3repE0EEENS1_30default_config_static_selectorELNS0_4arch9wavefront6targetE1EEEvT1_,"axG",@progbits,_ZN7rocprim17ROCPRIM_400000_NS6detail17trampoline_kernelINS0_14default_configENS1_20scan_config_selectorIiEEZZNS1_9scan_implILNS1_25lookback_scan_determinismE0ELb0ELb0ES3_N6thrust23THRUST_200600_302600_NS10device_ptrIiEESB_iNS9_4plusIvEEiEEDaPvRmT3_T4_T5_mT6_P12ihipStream_tbENKUlT_T0_E_clISt17integral_constantIbLb0EESR_EEDaSM_SN_EUlSM_E0_NS1_11comp_targetILNS1_3genE9ELNS1_11target_archE1100ELNS1_3gpuE3ELNS1_3repE0EEENS1_30default_config_static_selectorELNS0_4arch9wavefront6targetE1EEEvT1_,comdat
.Lfunc_end6766:
	.size	_ZN7rocprim17ROCPRIM_400000_NS6detail17trampoline_kernelINS0_14default_configENS1_20scan_config_selectorIiEEZZNS1_9scan_implILNS1_25lookback_scan_determinismE0ELb0ELb0ES3_N6thrust23THRUST_200600_302600_NS10device_ptrIiEESB_iNS9_4plusIvEEiEEDaPvRmT3_T4_T5_mT6_P12ihipStream_tbENKUlT_T0_E_clISt17integral_constantIbLb0EESR_EEDaSM_SN_EUlSM_E0_NS1_11comp_targetILNS1_3genE9ELNS1_11target_archE1100ELNS1_3gpuE3ELNS1_3repE0EEENS1_30default_config_static_selectorELNS0_4arch9wavefront6targetE1EEEvT1_, .Lfunc_end6766-_ZN7rocprim17ROCPRIM_400000_NS6detail17trampoline_kernelINS0_14default_configENS1_20scan_config_selectorIiEEZZNS1_9scan_implILNS1_25lookback_scan_determinismE0ELb0ELb0ES3_N6thrust23THRUST_200600_302600_NS10device_ptrIiEESB_iNS9_4plusIvEEiEEDaPvRmT3_T4_T5_mT6_P12ihipStream_tbENKUlT_T0_E_clISt17integral_constantIbLb0EESR_EEDaSM_SN_EUlSM_E0_NS1_11comp_targetILNS1_3genE9ELNS1_11target_archE1100ELNS1_3gpuE3ELNS1_3repE0EEENS1_30default_config_static_selectorELNS0_4arch9wavefront6targetE1EEEvT1_
                                        ; -- End function
	.section	.AMDGPU.csdata,"",@progbits
; Kernel info:
; codeLenInByte = 0
; NumSgprs: 4
; NumVgprs: 0
; NumAgprs: 0
; TotalNumVgprs: 0
; ScratchSize: 0
; MemoryBound: 0
; FloatMode: 240
; IeeeMode: 1
; LDSByteSize: 0 bytes/workgroup (compile time only)
; SGPRBlocks: 0
; VGPRBlocks: 0
; NumSGPRsForWavesPerEU: 4
; NumVGPRsForWavesPerEU: 1
; AccumOffset: 4
; Occupancy: 8
; WaveLimiterHint : 0
; COMPUTE_PGM_RSRC2:SCRATCH_EN: 0
; COMPUTE_PGM_RSRC2:USER_SGPR: 6
; COMPUTE_PGM_RSRC2:TRAP_HANDLER: 0
; COMPUTE_PGM_RSRC2:TGID_X_EN: 1
; COMPUTE_PGM_RSRC2:TGID_Y_EN: 0
; COMPUTE_PGM_RSRC2:TGID_Z_EN: 0
; COMPUTE_PGM_RSRC2:TIDIG_COMP_CNT: 0
; COMPUTE_PGM_RSRC3_GFX90A:ACCUM_OFFSET: 0
; COMPUTE_PGM_RSRC3_GFX90A:TG_SPLIT: 0
	.section	.text._ZN7rocprim17ROCPRIM_400000_NS6detail17trampoline_kernelINS0_14default_configENS1_20scan_config_selectorIiEEZZNS1_9scan_implILNS1_25lookback_scan_determinismE0ELb0ELb0ES3_N6thrust23THRUST_200600_302600_NS10device_ptrIiEESB_iNS9_4plusIvEEiEEDaPvRmT3_T4_T5_mT6_P12ihipStream_tbENKUlT_T0_E_clISt17integral_constantIbLb0EESR_EEDaSM_SN_EUlSM_E0_NS1_11comp_targetILNS1_3genE8ELNS1_11target_archE1030ELNS1_3gpuE2ELNS1_3repE0EEENS1_30default_config_static_selectorELNS0_4arch9wavefront6targetE1EEEvT1_,"axG",@progbits,_ZN7rocprim17ROCPRIM_400000_NS6detail17trampoline_kernelINS0_14default_configENS1_20scan_config_selectorIiEEZZNS1_9scan_implILNS1_25lookback_scan_determinismE0ELb0ELb0ES3_N6thrust23THRUST_200600_302600_NS10device_ptrIiEESB_iNS9_4plusIvEEiEEDaPvRmT3_T4_T5_mT6_P12ihipStream_tbENKUlT_T0_E_clISt17integral_constantIbLb0EESR_EEDaSM_SN_EUlSM_E0_NS1_11comp_targetILNS1_3genE8ELNS1_11target_archE1030ELNS1_3gpuE2ELNS1_3repE0EEENS1_30default_config_static_selectorELNS0_4arch9wavefront6targetE1EEEvT1_,comdat
	.protected	_ZN7rocprim17ROCPRIM_400000_NS6detail17trampoline_kernelINS0_14default_configENS1_20scan_config_selectorIiEEZZNS1_9scan_implILNS1_25lookback_scan_determinismE0ELb0ELb0ES3_N6thrust23THRUST_200600_302600_NS10device_ptrIiEESB_iNS9_4plusIvEEiEEDaPvRmT3_T4_T5_mT6_P12ihipStream_tbENKUlT_T0_E_clISt17integral_constantIbLb0EESR_EEDaSM_SN_EUlSM_E0_NS1_11comp_targetILNS1_3genE8ELNS1_11target_archE1030ELNS1_3gpuE2ELNS1_3repE0EEENS1_30default_config_static_selectorELNS0_4arch9wavefront6targetE1EEEvT1_ ; -- Begin function _ZN7rocprim17ROCPRIM_400000_NS6detail17trampoline_kernelINS0_14default_configENS1_20scan_config_selectorIiEEZZNS1_9scan_implILNS1_25lookback_scan_determinismE0ELb0ELb0ES3_N6thrust23THRUST_200600_302600_NS10device_ptrIiEESB_iNS9_4plusIvEEiEEDaPvRmT3_T4_T5_mT6_P12ihipStream_tbENKUlT_T0_E_clISt17integral_constantIbLb0EESR_EEDaSM_SN_EUlSM_E0_NS1_11comp_targetILNS1_3genE8ELNS1_11target_archE1030ELNS1_3gpuE2ELNS1_3repE0EEENS1_30default_config_static_selectorELNS0_4arch9wavefront6targetE1EEEvT1_
	.globl	_ZN7rocprim17ROCPRIM_400000_NS6detail17trampoline_kernelINS0_14default_configENS1_20scan_config_selectorIiEEZZNS1_9scan_implILNS1_25lookback_scan_determinismE0ELb0ELb0ES3_N6thrust23THRUST_200600_302600_NS10device_ptrIiEESB_iNS9_4plusIvEEiEEDaPvRmT3_T4_T5_mT6_P12ihipStream_tbENKUlT_T0_E_clISt17integral_constantIbLb0EESR_EEDaSM_SN_EUlSM_E0_NS1_11comp_targetILNS1_3genE8ELNS1_11target_archE1030ELNS1_3gpuE2ELNS1_3repE0EEENS1_30default_config_static_selectorELNS0_4arch9wavefront6targetE1EEEvT1_
	.p2align	8
	.type	_ZN7rocprim17ROCPRIM_400000_NS6detail17trampoline_kernelINS0_14default_configENS1_20scan_config_selectorIiEEZZNS1_9scan_implILNS1_25lookback_scan_determinismE0ELb0ELb0ES3_N6thrust23THRUST_200600_302600_NS10device_ptrIiEESB_iNS9_4plusIvEEiEEDaPvRmT3_T4_T5_mT6_P12ihipStream_tbENKUlT_T0_E_clISt17integral_constantIbLb0EESR_EEDaSM_SN_EUlSM_E0_NS1_11comp_targetILNS1_3genE8ELNS1_11target_archE1030ELNS1_3gpuE2ELNS1_3repE0EEENS1_30default_config_static_selectorELNS0_4arch9wavefront6targetE1EEEvT1_,@function
_ZN7rocprim17ROCPRIM_400000_NS6detail17trampoline_kernelINS0_14default_configENS1_20scan_config_selectorIiEEZZNS1_9scan_implILNS1_25lookback_scan_determinismE0ELb0ELb0ES3_N6thrust23THRUST_200600_302600_NS10device_ptrIiEESB_iNS9_4plusIvEEiEEDaPvRmT3_T4_T5_mT6_P12ihipStream_tbENKUlT_T0_E_clISt17integral_constantIbLb0EESR_EEDaSM_SN_EUlSM_E0_NS1_11comp_targetILNS1_3genE8ELNS1_11target_archE1030ELNS1_3gpuE2ELNS1_3repE0EEENS1_30default_config_static_selectorELNS0_4arch9wavefront6targetE1EEEvT1_: ; @_ZN7rocprim17ROCPRIM_400000_NS6detail17trampoline_kernelINS0_14default_configENS1_20scan_config_selectorIiEEZZNS1_9scan_implILNS1_25lookback_scan_determinismE0ELb0ELb0ES3_N6thrust23THRUST_200600_302600_NS10device_ptrIiEESB_iNS9_4plusIvEEiEEDaPvRmT3_T4_T5_mT6_P12ihipStream_tbENKUlT_T0_E_clISt17integral_constantIbLb0EESR_EEDaSM_SN_EUlSM_E0_NS1_11comp_targetILNS1_3genE8ELNS1_11target_archE1030ELNS1_3gpuE2ELNS1_3repE0EEENS1_30default_config_static_selectorELNS0_4arch9wavefront6targetE1EEEvT1_
; %bb.0:
	.section	.rodata,"a",@progbits
	.p2align	6, 0x0
	.amdhsa_kernel _ZN7rocprim17ROCPRIM_400000_NS6detail17trampoline_kernelINS0_14default_configENS1_20scan_config_selectorIiEEZZNS1_9scan_implILNS1_25lookback_scan_determinismE0ELb0ELb0ES3_N6thrust23THRUST_200600_302600_NS10device_ptrIiEESB_iNS9_4plusIvEEiEEDaPvRmT3_T4_T5_mT6_P12ihipStream_tbENKUlT_T0_E_clISt17integral_constantIbLb0EESR_EEDaSM_SN_EUlSM_E0_NS1_11comp_targetILNS1_3genE8ELNS1_11target_archE1030ELNS1_3gpuE2ELNS1_3repE0EEENS1_30default_config_static_selectorELNS0_4arch9wavefront6targetE1EEEvT1_
		.amdhsa_group_segment_fixed_size 0
		.amdhsa_private_segment_fixed_size 0
		.amdhsa_kernarg_size 32
		.amdhsa_user_sgpr_count 6
		.amdhsa_user_sgpr_private_segment_buffer 1
		.amdhsa_user_sgpr_dispatch_ptr 0
		.amdhsa_user_sgpr_queue_ptr 0
		.amdhsa_user_sgpr_kernarg_segment_ptr 1
		.amdhsa_user_sgpr_dispatch_id 0
		.amdhsa_user_sgpr_flat_scratch_init 0
		.amdhsa_user_sgpr_kernarg_preload_length 0
		.amdhsa_user_sgpr_kernarg_preload_offset 0
		.amdhsa_user_sgpr_private_segment_size 0
		.amdhsa_uses_dynamic_stack 0
		.amdhsa_system_sgpr_private_segment_wavefront_offset 0
		.amdhsa_system_sgpr_workgroup_id_x 1
		.amdhsa_system_sgpr_workgroup_id_y 0
		.amdhsa_system_sgpr_workgroup_id_z 0
		.amdhsa_system_sgpr_workgroup_info 0
		.amdhsa_system_vgpr_workitem_id 0
		.amdhsa_next_free_vgpr 1
		.amdhsa_next_free_sgpr 0
		.amdhsa_accum_offset 4
		.amdhsa_reserve_vcc 0
		.amdhsa_reserve_flat_scratch 0
		.amdhsa_float_round_mode_32 0
		.amdhsa_float_round_mode_16_64 0
		.amdhsa_float_denorm_mode_32 3
		.amdhsa_float_denorm_mode_16_64 3
		.amdhsa_dx10_clamp 1
		.amdhsa_ieee_mode 1
		.amdhsa_fp16_overflow 0
		.amdhsa_tg_split 0
		.amdhsa_exception_fp_ieee_invalid_op 0
		.amdhsa_exception_fp_denorm_src 0
		.amdhsa_exception_fp_ieee_div_zero 0
		.amdhsa_exception_fp_ieee_overflow 0
		.amdhsa_exception_fp_ieee_underflow 0
		.amdhsa_exception_fp_ieee_inexact 0
		.amdhsa_exception_int_div_zero 0
	.end_amdhsa_kernel
	.section	.text._ZN7rocprim17ROCPRIM_400000_NS6detail17trampoline_kernelINS0_14default_configENS1_20scan_config_selectorIiEEZZNS1_9scan_implILNS1_25lookback_scan_determinismE0ELb0ELb0ES3_N6thrust23THRUST_200600_302600_NS10device_ptrIiEESB_iNS9_4plusIvEEiEEDaPvRmT3_T4_T5_mT6_P12ihipStream_tbENKUlT_T0_E_clISt17integral_constantIbLb0EESR_EEDaSM_SN_EUlSM_E0_NS1_11comp_targetILNS1_3genE8ELNS1_11target_archE1030ELNS1_3gpuE2ELNS1_3repE0EEENS1_30default_config_static_selectorELNS0_4arch9wavefront6targetE1EEEvT1_,"axG",@progbits,_ZN7rocprim17ROCPRIM_400000_NS6detail17trampoline_kernelINS0_14default_configENS1_20scan_config_selectorIiEEZZNS1_9scan_implILNS1_25lookback_scan_determinismE0ELb0ELb0ES3_N6thrust23THRUST_200600_302600_NS10device_ptrIiEESB_iNS9_4plusIvEEiEEDaPvRmT3_T4_T5_mT6_P12ihipStream_tbENKUlT_T0_E_clISt17integral_constantIbLb0EESR_EEDaSM_SN_EUlSM_E0_NS1_11comp_targetILNS1_3genE8ELNS1_11target_archE1030ELNS1_3gpuE2ELNS1_3repE0EEENS1_30default_config_static_selectorELNS0_4arch9wavefront6targetE1EEEvT1_,comdat
.Lfunc_end6767:
	.size	_ZN7rocprim17ROCPRIM_400000_NS6detail17trampoline_kernelINS0_14default_configENS1_20scan_config_selectorIiEEZZNS1_9scan_implILNS1_25lookback_scan_determinismE0ELb0ELb0ES3_N6thrust23THRUST_200600_302600_NS10device_ptrIiEESB_iNS9_4plusIvEEiEEDaPvRmT3_T4_T5_mT6_P12ihipStream_tbENKUlT_T0_E_clISt17integral_constantIbLb0EESR_EEDaSM_SN_EUlSM_E0_NS1_11comp_targetILNS1_3genE8ELNS1_11target_archE1030ELNS1_3gpuE2ELNS1_3repE0EEENS1_30default_config_static_selectorELNS0_4arch9wavefront6targetE1EEEvT1_, .Lfunc_end6767-_ZN7rocprim17ROCPRIM_400000_NS6detail17trampoline_kernelINS0_14default_configENS1_20scan_config_selectorIiEEZZNS1_9scan_implILNS1_25lookback_scan_determinismE0ELb0ELb0ES3_N6thrust23THRUST_200600_302600_NS10device_ptrIiEESB_iNS9_4plusIvEEiEEDaPvRmT3_T4_T5_mT6_P12ihipStream_tbENKUlT_T0_E_clISt17integral_constantIbLb0EESR_EEDaSM_SN_EUlSM_E0_NS1_11comp_targetILNS1_3genE8ELNS1_11target_archE1030ELNS1_3gpuE2ELNS1_3repE0EEENS1_30default_config_static_selectorELNS0_4arch9wavefront6targetE1EEEvT1_
                                        ; -- End function
	.section	.AMDGPU.csdata,"",@progbits
; Kernel info:
; codeLenInByte = 0
; NumSgprs: 4
; NumVgprs: 0
; NumAgprs: 0
; TotalNumVgprs: 0
; ScratchSize: 0
; MemoryBound: 0
; FloatMode: 240
; IeeeMode: 1
; LDSByteSize: 0 bytes/workgroup (compile time only)
; SGPRBlocks: 0
; VGPRBlocks: 0
; NumSGPRsForWavesPerEU: 4
; NumVGPRsForWavesPerEU: 1
; AccumOffset: 4
; Occupancy: 8
; WaveLimiterHint : 0
; COMPUTE_PGM_RSRC2:SCRATCH_EN: 0
; COMPUTE_PGM_RSRC2:USER_SGPR: 6
; COMPUTE_PGM_RSRC2:TRAP_HANDLER: 0
; COMPUTE_PGM_RSRC2:TGID_X_EN: 1
; COMPUTE_PGM_RSRC2:TGID_Y_EN: 0
; COMPUTE_PGM_RSRC2:TGID_Z_EN: 0
; COMPUTE_PGM_RSRC2:TIDIG_COMP_CNT: 0
; COMPUTE_PGM_RSRC3_GFX90A:ACCUM_OFFSET: 0
; COMPUTE_PGM_RSRC3_GFX90A:TG_SPLIT: 0
	.section	.text._ZN7rocprim17ROCPRIM_400000_NS6detail17trampoline_kernelINS0_14default_configENS1_20scan_config_selectorIiEEZZNS1_9scan_implILNS1_25lookback_scan_determinismE0ELb0ELb0ES3_N6thrust23THRUST_200600_302600_NS10device_ptrIiEESB_iNS9_4plusIvEEiEEDaPvRmT3_T4_T5_mT6_P12ihipStream_tbENKUlT_T0_E_clISt17integral_constantIbLb1EESR_EEDaSM_SN_EUlSM_E_NS1_11comp_targetILNS1_3genE0ELNS1_11target_archE4294967295ELNS1_3gpuE0ELNS1_3repE0EEENS1_30default_config_static_selectorELNS0_4arch9wavefront6targetE1EEEvT1_,"axG",@progbits,_ZN7rocprim17ROCPRIM_400000_NS6detail17trampoline_kernelINS0_14default_configENS1_20scan_config_selectorIiEEZZNS1_9scan_implILNS1_25lookback_scan_determinismE0ELb0ELb0ES3_N6thrust23THRUST_200600_302600_NS10device_ptrIiEESB_iNS9_4plusIvEEiEEDaPvRmT3_T4_T5_mT6_P12ihipStream_tbENKUlT_T0_E_clISt17integral_constantIbLb1EESR_EEDaSM_SN_EUlSM_E_NS1_11comp_targetILNS1_3genE0ELNS1_11target_archE4294967295ELNS1_3gpuE0ELNS1_3repE0EEENS1_30default_config_static_selectorELNS0_4arch9wavefront6targetE1EEEvT1_,comdat
	.protected	_ZN7rocprim17ROCPRIM_400000_NS6detail17trampoline_kernelINS0_14default_configENS1_20scan_config_selectorIiEEZZNS1_9scan_implILNS1_25lookback_scan_determinismE0ELb0ELb0ES3_N6thrust23THRUST_200600_302600_NS10device_ptrIiEESB_iNS9_4plusIvEEiEEDaPvRmT3_T4_T5_mT6_P12ihipStream_tbENKUlT_T0_E_clISt17integral_constantIbLb1EESR_EEDaSM_SN_EUlSM_E_NS1_11comp_targetILNS1_3genE0ELNS1_11target_archE4294967295ELNS1_3gpuE0ELNS1_3repE0EEENS1_30default_config_static_selectorELNS0_4arch9wavefront6targetE1EEEvT1_ ; -- Begin function _ZN7rocprim17ROCPRIM_400000_NS6detail17trampoline_kernelINS0_14default_configENS1_20scan_config_selectorIiEEZZNS1_9scan_implILNS1_25lookback_scan_determinismE0ELb0ELb0ES3_N6thrust23THRUST_200600_302600_NS10device_ptrIiEESB_iNS9_4plusIvEEiEEDaPvRmT3_T4_T5_mT6_P12ihipStream_tbENKUlT_T0_E_clISt17integral_constantIbLb1EESR_EEDaSM_SN_EUlSM_E_NS1_11comp_targetILNS1_3genE0ELNS1_11target_archE4294967295ELNS1_3gpuE0ELNS1_3repE0EEENS1_30default_config_static_selectorELNS0_4arch9wavefront6targetE1EEEvT1_
	.globl	_ZN7rocprim17ROCPRIM_400000_NS6detail17trampoline_kernelINS0_14default_configENS1_20scan_config_selectorIiEEZZNS1_9scan_implILNS1_25lookback_scan_determinismE0ELb0ELb0ES3_N6thrust23THRUST_200600_302600_NS10device_ptrIiEESB_iNS9_4plusIvEEiEEDaPvRmT3_T4_T5_mT6_P12ihipStream_tbENKUlT_T0_E_clISt17integral_constantIbLb1EESR_EEDaSM_SN_EUlSM_E_NS1_11comp_targetILNS1_3genE0ELNS1_11target_archE4294967295ELNS1_3gpuE0ELNS1_3repE0EEENS1_30default_config_static_selectorELNS0_4arch9wavefront6targetE1EEEvT1_
	.p2align	8
	.type	_ZN7rocprim17ROCPRIM_400000_NS6detail17trampoline_kernelINS0_14default_configENS1_20scan_config_selectorIiEEZZNS1_9scan_implILNS1_25lookback_scan_determinismE0ELb0ELb0ES3_N6thrust23THRUST_200600_302600_NS10device_ptrIiEESB_iNS9_4plusIvEEiEEDaPvRmT3_T4_T5_mT6_P12ihipStream_tbENKUlT_T0_E_clISt17integral_constantIbLb1EESR_EEDaSM_SN_EUlSM_E_NS1_11comp_targetILNS1_3genE0ELNS1_11target_archE4294967295ELNS1_3gpuE0ELNS1_3repE0EEENS1_30default_config_static_selectorELNS0_4arch9wavefront6targetE1EEEvT1_,@function
_ZN7rocprim17ROCPRIM_400000_NS6detail17trampoline_kernelINS0_14default_configENS1_20scan_config_selectorIiEEZZNS1_9scan_implILNS1_25lookback_scan_determinismE0ELb0ELb0ES3_N6thrust23THRUST_200600_302600_NS10device_ptrIiEESB_iNS9_4plusIvEEiEEDaPvRmT3_T4_T5_mT6_P12ihipStream_tbENKUlT_T0_E_clISt17integral_constantIbLb1EESR_EEDaSM_SN_EUlSM_E_NS1_11comp_targetILNS1_3genE0ELNS1_11target_archE4294967295ELNS1_3gpuE0ELNS1_3repE0EEENS1_30default_config_static_selectorELNS0_4arch9wavefront6targetE1EEEvT1_: ; @_ZN7rocprim17ROCPRIM_400000_NS6detail17trampoline_kernelINS0_14default_configENS1_20scan_config_selectorIiEEZZNS1_9scan_implILNS1_25lookback_scan_determinismE0ELb0ELb0ES3_N6thrust23THRUST_200600_302600_NS10device_ptrIiEESB_iNS9_4plusIvEEiEEDaPvRmT3_T4_T5_mT6_P12ihipStream_tbENKUlT_T0_E_clISt17integral_constantIbLb1EESR_EEDaSM_SN_EUlSM_E_NS1_11comp_targetILNS1_3genE0ELNS1_11target_archE4294967295ELNS1_3gpuE0ELNS1_3repE0EEENS1_30default_config_static_selectorELNS0_4arch9wavefront6targetE1EEEvT1_
; %bb.0:
	.section	.rodata,"a",@progbits
	.p2align	6, 0x0
	.amdhsa_kernel _ZN7rocprim17ROCPRIM_400000_NS6detail17trampoline_kernelINS0_14default_configENS1_20scan_config_selectorIiEEZZNS1_9scan_implILNS1_25lookback_scan_determinismE0ELb0ELb0ES3_N6thrust23THRUST_200600_302600_NS10device_ptrIiEESB_iNS9_4plusIvEEiEEDaPvRmT3_T4_T5_mT6_P12ihipStream_tbENKUlT_T0_E_clISt17integral_constantIbLb1EESR_EEDaSM_SN_EUlSM_E_NS1_11comp_targetILNS1_3genE0ELNS1_11target_archE4294967295ELNS1_3gpuE0ELNS1_3repE0EEENS1_30default_config_static_selectorELNS0_4arch9wavefront6targetE1EEEvT1_
		.amdhsa_group_segment_fixed_size 0
		.amdhsa_private_segment_fixed_size 0
		.amdhsa_kernarg_size 96
		.amdhsa_user_sgpr_count 6
		.amdhsa_user_sgpr_private_segment_buffer 1
		.amdhsa_user_sgpr_dispatch_ptr 0
		.amdhsa_user_sgpr_queue_ptr 0
		.amdhsa_user_sgpr_kernarg_segment_ptr 1
		.amdhsa_user_sgpr_dispatch_id 0
		.amdhsa_user_sgpr_flat_scratch_init 0
		.amdhsa_user_sgpr_kernarg_preload_length 0
		.amdhsa_user_sgpr_kernarg_preload_offset 0
		.amdhsa_user_sgpr_private_segment_size 0
		.amdhsa_uses_dynamic_stack 0
		.amdhsa_system_sgpr_private_segment_wavefront_offset 0
		.amdhsa_system_sgpr_workgroup_id_x 1
		.amdhsa_system_sgpr_workgroup_id_y 0
		.amdhsa_system_sgpr_workgroup_id_z 0
		.amdhsa_system_sgpr_workgroup_info 0
		.amdhsa_system_vgpr_workitem_id 0
		.amdhsa_next_free_vgpr 1
		.amdhsa_next_free_sgpr 0
		.amdhsa_accum_offset 4
		.amdhsa_reserve_vcc 0
		.amdhsa_reserve_flat_scratch 0
		.amdhsa_float_round_mode_32 0
		.amdhsa_float_round_mode_16_64 0
		.amdhsa_float_denorm_mode_32 3
		.amdhsa_float_denorm_mode_16_64 3
		.amdhsa_dx10_clamp 1
		.amdhsa_ieee_mode 1
		.amdhsa_fp16_overflow 0
		.amdhsa_tg_split 0
		.amdhsa_exception_fp_ieee_invalid_op 0
		.amdhsa_exception_fp_denorm_src 0
		.amdhsa_exception_fp_ieee_div_zero 0
		.amdhsa_exception_fp_ieee_overflow 0
		.amdhsa_exception_fp_ieee_underflow 0
		.amdhsa_exception_fp_ieee_inexact 0
		.amdhsa_exception_int_div_zero 0
	.end_amdhsa_kernel
	.section	.text._ZN7rocprim17ROCPRIM_400000_NS6detail17trampoline_kernelINS0_14default_configENS1_20scan_config_selectorIiEEZZNS1_9scan_implILNS1_25lookback_scan_determinismE0ELb0ELb0ES3_N6thrust23THRUST_200600_302600_NS10device_ptrIiEESB_iNS9_4plusIvEEiEEDaPvRmT3_T4_T5_mT6_P12ihipStream_tbENKUlT_T0_E_clISt17integral_constantIbLb1EESR_EEDaSM_SN_EUlSM_E_NS1_11comp_targetILNS1_3genE0ELNS1_11target_archE4294967295ELNS1_3gpuE0ELNS1_3repE0EEENS1_30default_config_static_selectorELNS0_4arch9wavefront6targetE1EEEvT1_,"axG",@progbits,_ZN7rocprim17ROCPRIM_400000_NS6detail17trampoline_kernelINS0_14default_configENS1_20scan_config_selectorIiEEZZNS1_9scan_implILNS1_25lookback_scan_determinismE0ELb0ELb0ES3_N6thrust23THRUST_200600_302600_NS10device_ptrIiEESB_iNS9_4plusIvEEiEEDaPvRmT3_T4_T5_mT6_P12ihipStream_tbENKUlT_T0_E_clISt17integral_constantIbLb1EESR_EEDaSM_SN_EUlSM_E_NS1_11comp_targetILNS1_3genE0ELNS1_11target_archE4294967295ELNS1_3gpuE0ELNS1_3repE0EEENS1_30default_config_static_selectorELNS0_4arch9wavefront6targetE1EEEvT1_,comdat
.Lfunc_end6768:
	.size	_ZN7rocprim17ROCPRIM_400000_NS6detail17trampoline_kernelINS0_14default_configENS1_20scan_config_selectorIiEEZZNS1_9scan_implILNS1_25lookback_scan_determinismE0ELb0ELb0ES3_N6thrust23THRUST_200600_302600_NS10device_ptrIiEESB_iNS9_4plusIvEEiEEDaPvRmT3_T4_T5_mT6_P12ihipStream_tbENKUlT_T0_E_clISt17integral_constantIbLb1EESR_EEDaSM_SN_EUlSM_E_NS1_11comp_targetILNS1_3genE0ELNS1_11target_archE4294967295ELNS1_3gpuE0ELNS1_3repE0EEENS1_30default_config_static_selectorELNS0_4arch9wavefront6targetE1EEEvT1_, .Lfunc_end6768-_ZN7rocprim17ROCPRIM_400000_NS6detail17trampoline_kernelINS0_14default_configENS1_20scan_config_selectorIiEEZZNS1_9scan_implILNS1_25lookback_scan_determinismE0ELb0ELb0ES3_N6thrust23THRUST_200600_302600_NS10device_ptrIiEESB_iNS9_4plusIvEEiEEDaPvRmT3_T4_T5_mT6_P12ihipStream_tbENKUlT_T0_E_clISt17integral_constantIbLb1EESR_EEDaSM_SN_EUlSM_E_NS1_11comp_targetILNS1_3genE0ELNS1_11target_archE4294967295ELNS1_3gpuE0ELNS1_3repE0EEENS1_30default_config_static_selectorELNS0_4arch9wavefront6targetE1EEEvT1_
                                        ; -- End function
	.section	.AMDGPU.csdata,"",@progbits
; Kernel info:
; codeLenInByte = 0
; NumSgprs: 4
; NumVgprs: 0
; NumAgprs: 0
; TotalNumVgprs: 0
; ScratchSize: 0
; MemoryBound: 0
; FloatMode: 240
; IeeeMode: 1
; LDSByteSize: 0 bytes/workgroup (compile time only)
; SGPRBlocks: 0
; VGPRBlocks: 0
; NumSGPRsForWavesPerEU: 4
; NumVGPRsForWavesPerEU: 1
; AccumOffset: 4
; Occupancy: 8
; WaveLimiterHint : 0
; COMPUTE_PGM_RSRC2:SCRATCH_EN: 0
; COMPUTE_PGM_RSRC2:USER_SGPR: 6
; COMPUTE_PGM_RSRC2:TRAP_HANDLER: 0
; COMPUTE_PGM_RSRC2:TGID_X_EN: 1
; COMPUTE_PGM_RSRC2:TGID_Y_EN: 0
; COMPUTE_PGM_RSRC2:TGID_Z_EN: 0
; COMPUTE_PGM_RSRC2:TIDIG_COMP_CNT: 0
; COMPUTE_PGM_RSRC3_GFX90A:ACCUM_OFFSET: 0
; COMPUTE_PGM_RSRC3_GFX90A:TG_SPLIT: 0
	.section	.text._ZN7rocprim17ROCPRIM_400000_NS6detail17trampoline_kernelINS0_14default_configENS1_20scan_config_selectorIiEEZZNS1_9scan_implILNS1_25lookback_scan_determinismE0ELb0ELb0ES3_N6thrust23THRUST_200600_302600_NS10device_ptrIiEESB_iNS9_4plusIvEEiEEDaPvRmT3_T4_T5_mT6_P12ihipStream_tbENKUlT_T0_E_clISt17integral_constantIbLb1EESR_EEDaSM_SN_EUlSM_E_NS1_11comp_targetILNS1_3genE5ELNS1_11target_archE942ELNS1_3gpuE9ELNS1_3repE0EEENS1_30default_config_static_selectorELNS0_4arch9wavefront6targetE1EEEvT1_,"axG",@progbits,_ZN7rocprim17ROCPRIM_400000_NS6detail17trampoline_kernelINS0_14default_configENS1_20scan_config_selectorIiEEZZNS1_9scan_implILNS1_25lookback_scan_determinismE0ELb0ELb0ES3_N6thrust23THRUST_200600_302600_NS10device_ptrIiEESB_iNS9_4plusIvEEiEEDaPvRmT3_T4_T5_mT6_P12ihipStream_tbENKUlT_T0_E_clISt17integral_constantIbLb1EESR_EEDaSM_SN_EUlSM_E_NS1_11comp_targetILNS1_3genE5ELNS1_11target_archE942ELNS1_3gpuE9ELNS1_3repE0EEENS1_30default_config_static_selectorELNS0_4arch9wavefront6targetE1EEEvT1_,comdat
	.protected	_ZN7rocprim17ROCPRIM_400000_NS6detail17trampoline_kernelINS0_14default_configENS1_20scan_config_selectorIiEEZZNS1_9scan_implILNS1_25lookback_scan_determinismE0ELb0ELb0ES3_N6thrust23THRUST_200600_302600_NS10device_ptrIiEESB_iNS9_4plusIvEEiEEDaPvRmT3_T4_T5_mT6_P12ihipStream_tbENKUlT_T0_E_clISt17integral_constantIbLb1EESR_EEDaSM_SN_EUlSM_E_NS1_11comp_targetILNS1_3genE5ELNS1_11target_archE942ELNS1_3gpuE9ELNS1_3repE0EEENS1_30default_config_static_selectorELNS0_4arch9wavefront6targetE1EEEvT1_ ; -- Begin function _ZN7rocprim17ROCPRIM_400000_NS6detail17trampoline_kernelINS0_14default_configENS1_20scan_config_selectorIiEEZZNS1_9scan_implILNS1_25lookback_scan_determinismE0ELb0ELb0ES3_N6thrust23THRUST_200600_302600_NS10device_ptrIiEESB_iNS9_4plusIvEEiEEDaPvRmT3_T4_T5_mT6_P12ihipStream_tbENKUlT_T0_E_clISt17integral_constantIbLb1EESR_EEDaSM_SN_EUlSM_E_NS1_11comp_targetILNS1_3genE5ELNS1_11target_archE942ELNS1_3gpuE9ELNS1_3repE0EEENS1_30default_config_static_selectorELNS0_4arch9wavefront6targetE1EEEvT1_
	.globl	_ZN7rocprim17ROCPRIM_400000_NS6detail17trampoline_kernelINS0_14default_configENS1_20scan_config_selectorIiEEZZNS1_9scan_implILNS1_25lookback_scan_determinismE0ELb0ELb0ES3_N6thrust23THRUST_200600_302600_NS10device_ptrIiEESB_iNS9_4plusIvEEiEEDaPvRmT3_T4_T5_mT6_P12ihipStream_tbENKUlT_T0_E_clISt17integral_constantIbLb1EESR_EEDaSM_SN_EUlSM_E_NS1_11comp_targetILNS1_3genE5ELNS1_11target_archE942ELNS1_3gpuE9ELNS1_3repE0EEENS1_30default_config_static_selectorELNS0_4arch9wavefront6targetE1EEEvT1_
	.p2align	8
	.type	_ZN7rocprim17ROCPRIM_400000_NS6detail17trampoline_kernelINS0_14default_configENS1_20scan_config_selectorIiEEZZNS1_9scan_implILNS1_25lookback_scan_determinismE0ELb0ELb0ES3_N6thrust23THRUST_200600_302600_NS10device_ptrIiEESB_iNS9_4plusIvEEiEEDaPvRmT3_T4_T5_mT6_P12ihipStream_tbENKUlT_T0_E_clISt17integral_constantIbLb1EESR_EEDaSM_SN_EUlSM_E_NS1_11comp_targetILNS1_3genE5ELNS1_11target_archE942ELNS1_3gpuE9ELNS1_3repE0EEENS1_30default_config_static_selectorELNS0_4arch9wavefront6targetE1EEEvT1_,@function
_ZN7rocprim17ROCPRIM_400000_NS6detail17trampoline_kernelINS0_14default_configENS1_20scan_config_selectorIiEEZZNS1_9scan_implILNS1_25lookback_scan_determinismE0ELb0ELb0ES3_N6thrust23THRUST_200600_302600_NS10device_ptrIiEESB_iNS9_4plusIvEEiEEDaPvRmT3_T4_T5_mT6_P12ihipStream_tbENKUlT_T0_E_clISt17integral_constantIbLb1EESR_EEDaSM_SN_EUlSM_E_NS1_11comp_targetILNS1_3genE5ELNS1_11target_archE942ELNS1_3gpuE9ELNS1_3repE0EEENS1_30default_config_static_selectorELNS0_4arch9wavefront6targetE1EEEvT1_: ; @_ZN7rocprim17ROCPRIM_400000_NS6detail17trampoline_kernelINS0_14default_configENS1_20scan_config_selectorIiEEZZNS1_9scan_implILNS1_25lookback_scan_determinismE0ELb0ELb0ES3_N6thrust23THRUST_200600_302600_NS10device_ptrIiEESB_iNS9_4plusIvEEiEEDaPvRmT3_T4_T5_mT6_P12ihipStream_tbENKUlT_T0_E_clISt17integral_constantIbLb1EESR_EEDaSM_SN_EUlSM_E_NS1_11comp_targetILNS1_3genE5ELNS1_11target_archE942ELNS1_3gpuE9ELNS1_3repE0EEENS1_30default_config_static_selectorELNS0_4arch9wavefront6targetE1EEEvT1_
; %bb.0:
	.section	.rodata,"a",@progbits
	.p2align	6, 0x0
	.amdhsa_kernel _ZN7rocprim17ROCPRIM_400000_NS6detail17trampoline_kernelINS0_14default_configENS1_20scan_config_selectorIiEEZZNS1_9scan_implILNS1_25lookback_scan_determinismE0ELb0ELb0ES3_N6thrust23THRUST_200600_302600_NS10device_ptrIiEESB_iNS9_4plusIvEEiEEDaPvRmT3_T4_T5_mT6_P12ihipStream_tbENKUlT_T0_E_clISt17integral_constantIbLb1EESR_EEDaSM_SN_EUlSM_E_NS1_11comp_targetILNS1_3genE5ELNS1_11target_archE942ELNS1_3gpuE9ELNS1_3repE0EEENS1_30default_config_static_selectorELNS0_4arch9wavefront6targetE1EEEvT1_
		.amdhsa_group_segment_fixed_size 0
		.amdhsa_private_segment_fixed_size 0
		.amdhsa_kernarg_size 96
		.amdhsa_user_sgpr_count 6
		.amdhsa_user_sgpr_private_segment_buffer 1
		.amdhsa_user_sgpr_dispatch_ptr 0
		.amdhsa_user_sgpr_queue_ptr 0
		.amdhsa_user_sgpr_kernarg_segment_ptr 1
		.amdhsa_user_sgpr_dispatch_id 0
		.amdhsa_user_sgpr_flat_scratch_init 0
		.amdhsa_user_sgpr_kernarg_preload_length 0
		.amdhsa_user_sgpr_kernarg_preload_offset 0
		.amdhsa_user_sgpr_private_segment_size 0
		.amdhsa_uses_dynamic_stack 0
		.amdhsa_system_sgpr_private_segment_wavefront_offset 0
		.amdhsa_system_sgpr_workgroup_id_x 1
		.amdhsa_system_sgpr_workgroup_id_y 0
		.amdhsa_system_sgpr_workgroup_id_z 0
		.amdhsa_system_sgpr_workgroup_info 0
		.amdhsa_system_vgpr_workitem_id 0
		.amdhsa_next_free_vgpr 1
		.amdhsa_next_free_sgpr 0
		.amdhsa_accum_offset 4
		.amdhsa_reserve_vcc 0
		.amdhsa_reserve_flat_scratch 0
		.amdhsa_float_round_mode_32 0
		.amdhsa_float_round_mode_16_64 0
		.amdhsa_float_denorm_mode_32 3
		.amdhsa_float_denorm_mode_16_64 3
		.amdhsa_dx10_clamp 1
		.amdhsa_ieee_mode 1
		.amdhsa_fp16_overflow 0
		.amdhsa_tg_split 0
		.amdhsa_exception_fp_ieee_invalid_op 0
		.amdhsa_exception_fp_denorm_src 0
		.amdhsa_exception_fp_ieee_div_zero 0
		.amdhsa_exception_fp_ieee_overflow 0
		.amdhsa_exception_fp_ieee_underflow 0
		.amdhsa_exception_fp_ieee_inexact 0
		.amdhsa_exception_int_div_zero 0
	.end_amdhsa_kernel
	.section	.text._ZN7rocprim17ROCPRIM_400000_NS6detail17trampoline_kernelINS0_14default_configENS1_20scan_config_selectorIiEEZZNS1_9scan_implILNS1_25lookback_scan_determinismE0ELb0ELb0ES3_N6thrust23THRUST_200600_302600_NS10device_ptrIiEESB_iNS9_4plusIvEEiEEDaPvRmT3_T4_T5_mT6_P12ihipStream_tbENKUlT_T0_E_clISt17integral_constantIbLb1EESR_EEDaSM_SN_EUlSM_E_NS1_11comp_targetILNS1_3genE5ELNS1_11target_archE942ELNS1_3gpuE9ELNS1_3repE0EEENS1_30default_config_static_selectorELNS0_4arch9wavefront6targetE1EEEvT1_,"axG",@progbits,_ZN7rocprim17ROCPRIM_400000_NS6detail17trampoline_kernelINS0_14default_configENS1_20scan_config_selectorIiEEZZNS1_9scan_implILNS1_25lookback_scan_determinismE0ELb0ELb0ES3_N6thrust23THRUST_200600_302600_NS10device_ptrIiEESB_iNS9_4plusIvEEiEEDaPvRmT3_T4_T5_mT6_P12ihipStream_tbENKUlT_T0_E_clISt17integral_constantIbLb1EESR_EEDaSM_SN_EUlSM_E_NS1_11comp_targetILNS1_3genE5ELNS1_11target_archE942ELNS1_3gpuE9ELNS1_3repE0EEENS1_30default_config_static_selectorELNS0_4arch9wavefront6targetE1EEEvT1_,comdat
.Lfunc_end6769:
	.size	_ZN7rocprim17ROCPRIM_400000_NS6detail17trampoline_kernelINS0_14default_configENS1_20scan_config_selectorIiEEZZNS1_9scan_implILNS1_25lookback_scan_determinismE0ELb0ELb0ES3_N6thrust23THRUST_200600_302600_NS10device_ptrIiEESB_iNS9_4plusIvEEiEEDaPvRmT3_T4_T5_mT6_P12ihipStream_tbENKUlT_T0_E_clISt17integral_constantIbLb1EESR_EEDaSM_SN_EUlSM_E_NS1_11comp_targetILNS1_3genE5ELNS1_11target_archE942ELNS1_3gpuE9ELNS1_3repE0EEENS1_30default_config_static_selectorELNS0_4arch9wavefront6targetE1EEEvT1_, .Lfunc_end6769-_ZN7rocprim17ROCPRIM_400000_NS6detail17trampoline_kernelINS0_14default_configENS1_20scan_config_selectorIiEEZZNS1_9scan_implILNS1_25lookback_scan_determinismE0ELb0ELb0ES3_N6thrust23THRUST_200600_302600_NS10device_ptrIiEESB_iNS9_4plusIvEEiEEDaPvRmT3_T4_T5_mT6_P12ihipStream_tbENKUlT_T0_E_clISt17integral_constantIbLb1EESR_EEDaSM_SN_EUlSM_E_NS1_11comp_targetILNS1_3genE5ELNS1_11target_archE942ELNS1_3gpuE9ELNS1_3repE0EEENS1_30default_config_static_selectorELNS0_4arch9wavefront6targetE1EEEvT1_
                                        ; -- End function
	.section	.AMDGPU.csdata,"",@progbits
; Kernel info:
; codeLenInByte = 0
; NumSgprs: 4
; NumVgprs: 0
; NumAgprs: 0
; TotalNumVgprs: 0
; ScratchSize: 0
; MemoryBound: 0
; FloatMode: 240
; IeeeMode: 1
; LDSByteSize: 0 bytes/workgroup (compile time only)
; SGPRBlocks: 0
; VGPRBlocks: 0
; NumSGPRsForWavesPerEU: 4
; NumVGPRsForWavesPerEU: 1
; AccumOffset: 4
; Occupancy: 8
; WaveLimiterHint : 0
; COMPUTE_PGM_RSRC2:SCRATCH_EN: 0
; COMPUTE_PGM_RSRC2:USER_SGPR: 6
; COMPUTE_PGM_RSRC2:TRAP_HANDLER: 0
; COMPUTE_PGM_RSRC2:TGID_X_EN: 1
; COMPUTE_PGM_RSRC2:TGID_Y_EN: 0
; COMPUTE_PGM_RSRC2:TGID_Z_EN: 0
; COMPUTE_PGM_RSRC2:TIDIG_COMP_CNT: 0
; COMPUTE_PGM_RSRC3_GFX90A:ACCUM_OFFSET: 0
; COMPUTE_PGM_RSRC3_GFX90A:TG_SPLIT: 0
	.section	.text._ZN7rocprim17ROCPRIM_400000_NS6detail17trampoline_kernelINS0_14default_configENS1_20scan_config_selectorIiEEZZNS1_9scan_implILNS1_25lookback_scan_determinismE0ELb0ELb0ES3_N6thrust23THRUST_200600_302600_NS10device_ptrIiEESB_iNS9_4plusIvEEiEEDaPvRmT3_T4_T5_mT6_P12ihipStream_tbENKUlT_T0_E_clISt17integral_constantIbLb1EESR_EEDaSM_SN_EUlSM_E_NS1_11comp_targetILNS1_3genE4ELNS1_11target_archE910ELNS1_3gpuE8ELNS1_3repE0EEENS1_30default_config_static_selectorELNS0_4arch9wavefront6targetE1EEEvT1_,"axG",@progbits,_ZN7rocprim17ROCPRIM_400000_NS6detail17trampoline_kernelINS0_14default_configENS1_20scan_config_selectorIiEEZZNS1_9scan_implILNS1_25lookback_scan_determinismE0ELb0ELb0ES3_N6thrust23THRUST_200600_302600_NS10device_ptrIiEESB_iNS9_4plusIvEEiEEDaPvRmT3_T4_T5_mT6_P12ihipStream_tbENKUlT_T0_E_clISt17integral_constantIbLb1EESR_EEDaSM_SN_EUlSM_E_NS1_11comp_targetILNS1_3genE4ELNS1_11target_archE910ELNS1_3gpuE8ELNS1_3repE0EEENS1_30default_config_static_selectorELNS0_4arch9wavefront6targetE1EEEvT1_,comdat
	.protected	_ZN7rocprim17ROCPRIM_400000_NS6detail17trampoline_kernelINS0_14default_configENS1_20scan_config_selectorIiEEZZNS1_9scan_implILNS1_25lookback_scan_determinismE0ELb0ELb0ES3_N6thrust23THRUST_200600_302600_NS10device_ptrIiEESB_iNS9_4plusIvEEiEEDaPvRmT3_T4_T5_mT6_P12ihipStream_tbENKUlT_T0_E_clISt17integral_constantIbLb1EESR_EEDaSM_SN_EUlSM_E_NS1_11comp_targetILNS1_3genE4ELNS1_11target_archE910ELNS1_3gpuE8ELNS1_3repE0EEENS1_30default_config_static_selectorELNS0_4arch9wavefront6targetE1EEEvT1_ ; -- Begin function _ZN7rocprim17ROCPRIM_400000_NS6detail17trampoline_kernelINS0_14default_configENS1_20scan_config_selectorIiEEZZNS1_9scan_implILNS1_25lookback_scan_determinismE0ELb0ELb0ES3_N6thrust23THRUST_200600_302600_NS10device_ptrIiEESB_iNS9_4plusIvEEiEEDaPvRmT3_T4_T5_mT6_P12ihipStream_tbENKUlT_T0_E_clISt17integral_constantIbLb1EESR_EEDaSM_SN_EUlSM_E_NS1_11comp_targetILNS1_3genE4ELNS1_11target_archE910ELNS1_3gpuE8ELNS1_3repE0EEENS1_30default_config_static_selectorELNS0_4arch9wavefront6targetE1EEEvT1_
	.globl	_ZN7rocprim17ROCPRIM_400000_NS6detail17trampoline_kernelINS0_14default_configENS1_20scan_config_selectorIiEEZZNS1_9scan_implILNS1_25lookback_scan_determinismE0ELb0ELb0ES3_N6thrust23THRUST_200600_302600_NS10device_ptrIiEESB_iNS9_4plusIvEEiEEDaPvRmT3_T4_T5_mT6_P12ihipStream_tbENKUlT_T0_E_clISt17integral_constantIbLb1EESR_EEDaSM_SN_EUlSM_E_NS1_11comp_targetILNS1_3genE4ELNS1_11target_archE910ELNS1_3gpuE8ELNS1_3repE0EEENS1_30default_config_static_selectorELNS0_4arch9wavefront6targetE1EEEvT1_
	.p2align	8
	.type	_ZN7rocprim17ROCPRIM_400000_NS6detail17trampoline_kernelINS0_14default_configENS1_20scan_config_selectorIiEEZZNS1_9scan_implILNS1_25lookback_scan_determinismE0ELb0ELb0ES3_N6thrust23THRUST_200600_302600_NS10device_ptrIiEESB_iNS9_4plusIvEEiEEDaPvRmT3_T4_T5_mT6_P12ihipStream_tbENKUlT_T0_E_clISt17integral_constantIbLb1EESR_EEDaSM_SN_EUlSM_E_NS1_11comp_targetILNS1_3genE4ELNS1_11target_archE910ELNS1_3gpuE8ELNS1_3repE0EEENS1_30default_config_static_selectorELNS0_4arch9wavefront6targetE1EEEvT1_,@function
_ZN7rocprim17ROCPRIM_400000_NS6detail17trampoline_kernelINS0_14default_configENS1_20scan_config_selectorIiEEZZNS1_9scan_implILNS1_25lookback_scan_determinismE0ELb0ELb0ES3_N6thrust23THRUST_200600_302600_NS10device_ptrIiEESB_iNS9_4plusIvEEiEEDaPvRmT3_T4_T5_mT6_P12ihipStream_tbENKUlT_T0_E_clISt17integral_constantIbLb1EESR_EEDaSM_SN_EUlSM_E_NS1_11comp_targetILNS1_3genE4ELNS1_11target_archE910ELNS1_3gpuE8ELNS1_3repE0EEENS1_30default_config_static_selectorELNS0_4arch9wavefront6targetE1EEEvT1_: ; @_ZN7rocprim17ROCPRIM_400000_NS6detail17trampoline_kernelINS0_14default_configENS1_20scan_config_selectorIiEEZZNS1_9scan_implILNS1_25lookback_scan_determinismE0ELb0ELb0ES3_N6thrust23THRUST_200600_302600_NS10device_ptrIiEESB_iNS9_4plusIvEEiEEDaPvRmT3_T4_T5_mT6_P12ihipStream_tbENKUlT_T0_E_clISt17integral_constantIbLb1EESR_EEDaSM_SN_EUlSM_E_NS1_11comp_targetILNS1_3genE4ELNS1_11target_archE910ELNS1_3gpuE8ELNS1_3repE0EEENS1_30default_config_static_selectorELNS0_4arch9wavefront6targetE1EEEvT1_
; %bb.0:
	s_load_dwordx2 s[6:7], s[4:5], 0x28
	v_cmp_ne_u32_e64 s[0:1], 0, v0
	v_cmp_eq_u32_e64 s[2:3], 0, v0
	s_and_saveexec_b64 s[8:9], s[2:3]
	s_cbranch_execz .LBB6770_4
; %bb.1:
	s_mov_b64 s[12:13], exec
	v_mbcnt_lo_u32_b32 v1, s12, 0
	v_mbcnt_hi_u32_b32 v1, s13, v1
	v_cmp_eq_u32_e32 vcc, 0, v1
                                        ; implicit-def: $vgpr2
	s_and_saveexec_b64 s[10:11], vcc
	s_cbranch_execz .LBB6770_3
; %bb.2:
	s_load_dwordx2 s[14:15], s[4:5], 0x58
	s_bcnt1_i32_b64 s12, s[12:13]
	v_mov_b32_e32 v2, 0
	v_mov_b32_e32 v3, s12
	s_waitcnt lgkmcnt(0)
	global_atomic_add v2, v2, v3, s[14:15] glc
.LBB6770_3:
	s_or_b64 exec, exec, s[10:11]
	s_waitcnt vmcnt(0)
	v_readfirstlane_b32 s10, v2
	v_add_u32_e32 v1, s10, v1
	v_mov_b32_e32 v2, 0
	ds_write_b32 v2, v1
.LBB6770_4:
	s_or_b64 exec, exec, s[8:9]
	s_load_dwordx8 s[16:23], s[4:5], 0x0
	s_load_dword s24, s[4:5], 0x30
	s_load_dwordx8 s[8:15], s[4:5], 0x38
	v_mov_b32_e32 v1, 0
	s_waitcnt lgkmcnt(0)
	s_barrier
	ds_read_b32 v1, v1
	s_lshl_b64 s[18:19], s[18:19], 2
	s_add_u32 s25, s16, s18
	s_addc_u32 s26, s17, s19
	s_add_i32 s16, s24, -1
	s_mul_i32 s17, s16, 0x500
	s_sub_u32 s30, s22, s17
	s_waitcnt lgkmcnt(0)
	v_readfirstlane_b32 s33, v1
	s_subb_u32 s31, s23, 0
	s_mul_i32 s4, s33, 0x500
	s_mov_b32 s5, 0
	s_cmp_lg_u32 s33, s16
	s_cselect_b64 s[16:17], -1, 0
	s_lshl_b64 s[22:23], s[4:5], 2
	s_add_u32 s24, s25, s22
	s_addc_u32 s25, s26, s23
	s_mov_b64 s[4:5], -1
	s_and_b64 vcc, exec, s[16:17]
	v_lshlrev_b32_e32 v22, 2, v0
	s_barrier
	s_cbranch_vccz .LBB6770_6
; %bb.5:
	v_mov_b32_e32 v1, s25
	v_add_co_u32_e32 v2, vcc, s24, v22
	v_addc_co_u32_e32 v3, vcc, 0, v1, vcc
	flat_load_dword v1, v[2:3]
	flat_load_dword v4, v[2:3] offset:512
	flat_load_dword v5, v[2:3] offset:1024
	;; [unrolled: 1-line block ×7, first 2 shown]
	v_add_co_u32_e32 v2, vcc, 0x1000, v2
	v_addc_co_u32_e32 v3, vcc, 0, v3, vcc
	flat_load_dword v11, v[2:3]
	flat_load_dword v12, v[2:3] offset:512
	s_mov_b64 s[4:5], 0
	s_waitcnt vmcnt(0) lgkmcnt(0)
	ds_write2st64_b32 v22, v1, v4 offset1:2
	ds_write2st64_b32 v22, v5, v6 offset0:4 offset1:6
	ds_write2st64_b32 v22, v7, v8 offset0:8 offset1:10
	;; [unrolled: 1-line block ×4, first 2 shown]
	s_waitcnt lgkmcnt(0)
	s_barrier
.LBB6770_6:
	s_andn2_b64 vcc, exec, s[4:5]
	v_cmp_gt_u32_e64 s[4:5], s30, v0
	s_cbranch_vccnz .LBB6770_28
; %bb.7:
	v_pk_mov_b32 v[2:3], s[24:25], s[24:25] op_sel:[0,1]
	flat_load_dword v1, v[2:3]
	s_waitcnt vmcnt(0) lgkmcnt(0)
	v_mov_b32_e32 v2, v1
	v_mov_b32_e32 v3, v1
	;; [unrolled: 1-line block ×9, first 2 shown]
	s_and_saveexec_b64 s[26:27], s[4:5]
	s_cbranch_execz .LBB6770_9
; %bb.8:
	v_mov_b32_e32 v11, s25
	v_add_co_u32_e32 v10, vcc, s24, v22
	v_addc_co_u32_e32 v11, vcc, 0, v11, vcc
	flat_load_dword v10, v[10:11]
.LBB6770_9:
	s_or_b64 exec, exec, s[26:27]
	v_or_b32_e32 v11, 0x80, v0
	v_cmp_gt_u32_e32 vcc, s30, v11
	s_and_saveexec_b64 s[4:5], vcc
	s_cbranch_execz .LBB6770_11
; %bb.10:
	v_mov_b32_e32 v1, s25
	v_add_co_u32_e32 v12, vcc, s24, v22
	v_addc_co_u32_e32 v13, vcc, 0, v1, vcc
	flat_load_dword v1, v[12:13] offset:512
.LBB6770_11:
	s_or_b64 exec, exec, s[4:5]
	v_or_b32_e32 v11, 0x100, v0
	v_cmp_gt_u32_e32 vcc, s30, v11
	s_and_saveexec_b64 s[4:5], vcc
	s_cbranch_execz .LBB6770_13
; %bb.12:
	v_mov_b32_e32 v2, s25
	v_add_co_u32_e32 v12, vcc, s24, v22
	v_addc_co_u32_e32 v13, vcc, 0, v2, vcc
	flat_load_dword v2, v[12:13] offset:1024
.LBB6770_13:
	;; [unrolled: 11-line block ×7, first 2 shown]
	s_or_b64 exec, exec, s[4:5]
	v_or_b32_e32 v11, 0x400, v0
	v_cmp_gt_u32_e32 vcc, s30, v11
	s_and_saveexec_b64 s[4:5], vcc
	s_cbranch_execz .LBB6770_25
; %bb.24:
	v_lshlrev_b32_e32 v8, 2, v11
	v_mov_b32_e32 v11, s25
	v_add_co_u32_e32 v12, vcc, s24, v8
	v_addc_co_u32_e32 v13, vcc, 0, v11, vcc
	flat_load_dword v8, v[12:13]
.LBB6770_25:
	s_or_b64 exec, exec, s[4:5]
	v_or_b32_e32 v11, 0x480, v0
	v_cmp_gt_u32_e32 vcc, s30, v11
	s_and_saveexec_b64 s[4:5], vcc
	s_cbranch_execz .LBB6770_27
; %bb.26:
	v_lshlrev_b32_e32 v9, 2, v11
	v_mov_b32_e32 v11, s25
	v_add_co_u32_e32 v12, vcc, s24, v9
	v_addc_co_u32_e32 v13, vcc, 0, v11, vcc
	flat_load_dword v9, v[12:13]
.LBB6770_27:
	s_or_b64 exec, exec, s[4:5]
	s_waitcnt vmcnt(0) lgkmcnt(0)
	ds_write2st64_b32 v22, v10, v1 offset1:2
	ds_write2st64_b32 v22, v2, v3 offset0:4 offset1:6
	ds_write2st64_b32 v22, v4, v5 offset0:8 offset1:10
	;; [unrolled: 1-line block ×4, first 2 shown]
	s_waitcnt lgkmcnt(0)
	s_barrier
.LBB6770_28:
	v_mul_u32_u24_e32 v23, 10, v0
	v_lshlrev_b32_e32 v1, 2, v23
	ds_read2_b64 v[2:5], v1 offset1:1
	ds_read2_b64 v[16:19], v1 offset0:2 offset1:3
	ds_read_b64 v[20:21], v1 offset:32
	s_cmp_lg_u32 s33, 0
	v_lshrrev_b32_e32 v24, 5, v0
	v_cmp_gt_u32_e32 vcc, 64, v0
	s_waitcnt lgkmcnt(0)
	s_barrier
	s_cbranch_scc0 .LBB6770_57
; %bb.29:
	v_add_u32_e32 v6, v3, v2
	v_add3_u32 v6, v6, v4, v5
	v_add3_u32 v6, v6, v16, v17
	;; [unrolled: 1-line block ×4, first 2 shown]
	v_add_lshl_u32 v7, v24, v0, 2
	ds_write_b32 v7, v6
	s_waitcnt lgkmcnt(0)
	s_barrier
	s_and_saveexec_b64 s[24:25], vcc
	s_cbranch_execz .LBB6770_31
; %bb.30:
	v_lshlrev_b32_e32 v7, 1, v0
	v_lshrrev_b32_e32 v8, 4, v0
	v_add_lshl_u32 v7, v8, v7, 2
	ds_read2_b32 v[8:9], v7 offset1:1
	v_mbcnt_lo_u32_b32 v10, -1, 0
	v_mbcnt_hi_u32_b32 v10, -1, v10
	v_and_b32_e32 v11, 15, v10
	v_cmp_ne_u32_e64 s[4:5], 0, v11
	s_waitcnt lgkmcnt(0)
	v_add_u32_e32 v9, v9, v8
	; wave barrier
	s_nop 1
	v_mov_b32_dpp v12, v9 row_shr:1 row_mask:0xf bank_mask:0xf
	v_cndmask_b32_e64 v12, 0, v12, s[4:5]
	v_add_u32_e32 v9, v12, v9
	v_cmp_lt_u32_e64 s[4:5], 1, v11
	s_nop 0
	v_mov_b32_dpp v12, v9 row_shr:2 row_mask:0xf bank_mask:0xf
	v_cndmask_b32_e64 v12, 0, v12, s[4:5]
	v_add_u32_e32 v9, v9, v12
	v_cmp_lt_u32_e64 s[4:5], 3, v11
	;; [unrolled: 5-line block ×3, first 2 shown]
	s_nop 0
	v_mov_b32_dpp v12, v9 row_shr:8 row_mask:0xf bank_mask:0xf
	v_cndmask_b32_e64 v11, 0, v12, s[4:5]
	v_add_u32_e32 v9, v9, v11
	v_bfe_i32 v12, v10, 4, 1
	v_cmp_lt_u32_e64 s[4:5], 31, v10
	v_mov_b32_dpp v11, v9 row_bcast:15 row_mask:0xf bank_mask:0xf
	v_and_b32_e32 v11, v12, v11
	v_add_u32_e32 v9, v9, v11
	v_and_b32_e32 v12, 64, v10
	s_nop 0
	v_mov_b32_dpp v11, v9 row_bcast:31 row_mask:0xf bank_mask:0xf
	v_cndmask_b32_e64 v11, 0, v11, s[4:5]
	v_add_u32_e32 v9, v9, v11
	v_add_u32_e32 v11, -1, v10
	v_cmp_lt_i32_e64 s[4:5], v11, v12
	v_cndmask_b32_e64 v10, v11, v10, s[4:5]
	v_lshlrev_b32_e32 v10, 2, v10
	ds_bpermute_b32 v9, v10, v9
	s_waitcnt lgkmcnt(0)
	v_add_u32_e32 v8, v9, v8
	v_cndmask_b32_e64 v6, v8, v6, s[2:3]
	ds_write_b32 v7, v6
	; wave barrier
	ds_read_b32 v8, v7 offset:4
	s_waitcnt lgkmcnt(0)
	v_add_u32_e32 v6, v8, v6
	ds_write_b32 v7, v6 offset:4
.LBB6770_31:
	s_or_b64 exec, exec, s[24:25]
	v_mov_b32_e32 v25, 0
	s_waitcnt lgkmcnt(0)
	s_barrier
	s_and_saveexec_b64 s[4:5], s[0:1]
	s_cbranch_execz .LBB6770_33
; %bb.32:
	v_add_u32_e32 v6, -1, v0
	v_lshrrev_b32_e32 v7, 5, v6
	v_add_lshl_u32 v6, v7, v6, 2
	ds_read_b32 v25, v6
.LBB6770_33:
	s_or_b64 exec, exec, s[4:5]
	s_and_saveexec_b64 s[24:25], vcc
	s_cbranch_execz .LBB6770_56
; %bb.34:
	v_mov_b32_e32 v15, 0
	ds_read_b32 v6, v15 offset:520
	v_mbcnt_lo_u32_b32 v7, -1, 0
	v_mbcnt_hi_u32_b32 v9, -1, v7
	s_mov_b32 s29, 0
	v_cmp_eq_u32_e64 s[4:5], 0, v9
	s_and_saveexec_b64 s[26:27], s[4:5]
	s_cbranch_execz .LBB6770_36
; %bb.35:
	s_add_i32 s28, s33, 64
	s_lshl_b64 s[28:29], s[28:29], 3
	s_add_u32 s28, s6, s28
	v_mov_b32_e32 v7, 1
	s_addc_u32 s29, s7, s29
	s_waitcnt lgkmcnt(0)
	global_store_dwordx2 v15, v[6:7], s[28:29]
.LBB6770_36:
	s_or_b64 exec, exec, s[26:27]
	v_xad_u32 v8, v9, -1, s33
	v_add_u32_e32 v14, 64, v8
	v_lshlrev_b64 v[10:11], 3, v[14:15]
	v_mov_b32_e32 v7, s7
	v_add_co_u32_e32 v10, vcc, s6, v10
	v_addc_co_u32_e32 v11, vcc, v7, v11, vcc
	global_load_dwordx2 v[12:13], v[10:11], off glc
	s_waitcnt vmcnt(0)
	v_cmp_eq_u16_sdwa s[28:29], v13, v15 src0_sel:BYTE_0 src1_sel:DWORD
	s_and_saveexec_b64 s[26:27], s[28:29]
	s_cbranch_execz .LBB6770_42
; %bb.37:
	s_mov_b32 s34, 1
	s_mov_b64 s[28:29], 0
	v_mov_b32_e32 v7, 0
.LBB6770_38:                            ; =>This Loop Header: Depth=1
                                        ;     Child Loop BB6770_39 Depth 2
	s_max_u32 s35, s34, 1
.LBB6770_39:                            ;   Parent Loop BB6770_38 Depth=1
                                        ; =>  This Inner Loop Header: Depth=2
	s_add_i32 s35, s35, -1
	s_cmp_eq_u32 s35, 0
	s_sleep 1
	s_cbranch_scc0 .LBB6770_39
; %bb.40:                               ;   in Loop: Header=BB6770_38 Depth=1
	global_load_dwordx2 v[12:13], v[10:11], off glc
	s_cmp_lt_u32 s34, 32
	s_cselect_b64 s[36:37], -1, 0
	s_cmp_lg_u64 s[36:37], 0
	s_addc_u32 s34, s34, 0
	s_waitcnt vmcnt(0)
	v_cmp_ne_u16_sdwa s[36:37], v13, v7 src0_sel:BYTE_0 src1_sel:DWORD
	s_or_b64 s[28:29], s[36:37], s[28:29]
	s_andn2_b64 exec, exec, s[28:29]
	s_cbranch_execnz .LBB6770_38
; %bb.41:
	s_or_b64 exec, exec, s[28:29]
.LBB6770_42:
	s_or_b64 exec, exec, s[26:27]
	v_and_b32_e32 v26, 63, v9
	v_mov_b32_e32 v7, 2
	v_cmp_ne_u32_e32 vcc, 63, v26
	v_cmp_eq_u16_sdwa s[26:27], v13, v7 src0_sel:BYTE_0 src1_sel:DWORD
	v_lshlrev_b64 v[10:11], v9, -1
	v_addc_co_u32_e32 v27, vcc, 0, v9, vcc
	v_and_b32_e32 v14, s27, v11
	v_lshlrev_b32_e32 v27, 2, v27
	v_or_b32_e32 v14, 0x80000000, v14
	ds_bpermute_b32 v28, v27, v12
	v_and_b32_e32 v15, s26, v10
	v_ffbl_b32_e32 v14, v14
	v_add_u32_e32 v14, 32, v14
	v_ffbl_b32_e32 v15, v15
	v_min_u32_e32 v14, v15, v14
	v_cmp_lt_u32_e32 vcc, v26, v14
	s_waitcnt lgkmcnt(0)
	v_cndmask_b32_e32 v15, 0, v28, vcc
	v_cmp_gt_u32_e32 vcc, 62, v26
	v_add_u32_e32 v12, v15, v12
	v_cndmask_b32_e64 v15, 0, 1, vcc
	v_lshlrev_b32_e32 v15, 1, v15
	v_add_lshl_u32 v28, v15, v9, 2
	ds_bpermute_b32 v15, v28, v12
	v_add_u32_e32 v29, 2, v26
	v_cmp_le_u32_e32 vcc, v29, v14
	v_add_u32_e32 v31, 4, v26
	v_add_u32_e32 v33, 8, v26
	s_waitcnt lgkmcnt(0)
	v_cndmask_b32_e32 v15, 0, v15, vcc
	v_cmp_gt_u32_e32 vcc, 60, v26
	v_add_u32_e32 v12, v12, v15
	v_cndmask_b32_e64 v15, 0, 1, vcc
	v_lshlrev_b32_e32 v15, 2, v15
	v_add_lshl_u32 v30, v15, v9, 2
	ds_bpermute_b32 v15, v30, v12
	v_cmp_le_u32_e32 vcc, v31, v14
	v_add_u32_e32 v36, 16, v26
	v_add_u32_e32 v38, 32, v26
	s_waitcnt lgkmcnt(0)
	v_cndmask_b32_e32 v15, 0, v15, vcc
	v_cmp_gt_u32_e32 vcc, 56, v26
	v_add_u32_e32 v12, v12, v15
	v_cndmask_b32_e64 v15, 0, 1, vcc
	v_lshlrev_b32_e32 v15, 3, v15
	v_add_lshl_u32 v32, v15, v9, 2
	ds_bpermute_b32 v15, v32, v12
	v_cmp_le_u32_e32 vcc, v33, v14
	s_waitcnt lgkmcnt(0)
	v_cndmask_b32_e32 v15, 0, v15, vcc
	v_cmp_gt_u32_e32 vcc, 48, v26
	v_add_u32_e32 v12, v12, v15
	v_cndmask_b32_e64 v15, 0, 1, vcc
	v_lshlrev_b32_e32 v15, 4, v15
	v_add_lshl_u32 v35, v15, v9, 2
	ds_bpermute_b32 v15, v35, v12
	v_cmp_le_u32_e32 vcc, v36, v14
	;; [unrolled: 9-line block ×3, first 2 shown]
	s_waitcnt lgkmcnt(0)
	v_cndmask_b32_e32 v9, 0, v9, vcc
	v_add_u32_e32 v12, v12, v9
	v_mov_b32_e32 v9, 0
	s_branch .LBB6770_44
.LBB6770_43:                            ;   in Loop: Header=BB6770_44 Depth=1
	s_or_b64 exec, exec, s[26:27]
	v_cmp_eq_u16_sdwa s[26:27], v13, v7 src0_sel:BYTE_0 src1_sel:DWORD
	v_and_b32_e32 v14, s27, v11
	v_or_b32_e32 v14, 0x80000000, v14
	ds_bpermute_b32 v39, v27, v12
	v_and_b32_e32 v15, s26, v10
	v_ffbl_b32_e32 v14, v14
	v_add_u32_e32 v14, 32, v14
	v_ffbl_b32_e32 v15, v15
	v_min_u32_e32 v14, v15, v14
	v_cmp_lt_u32_e32 vcc, v26, v14
	s_waitcnt lgkmcnt(0)
	v_cndmask_b32_e32 v15, 0, v39, vcc
	v_add_u32_e32 v12, v15, v12
	ds_bpermute_b32 v15, v28, v12
	v_cmp_le_u32_e32 vcc, v29, v14
	v_subrev_u32_e32 v8, 64, v8
	s_waitcnt lgkmcnt(0)
	v_cndmask_b32_e32 v15, 0, v15, vcc
	v_add_u32_e32 v12, v12, v15
	ds_bpermute_b32 v15, v30, v12
	v_cmp_le_u32_e32 vcc, v31, v14
	s_waitcnt lgkmcnt(0)
	v_cndmask_b32_e32 v15, 0, v15, vcc
	v_add_u32_e32 v12, v12, v15
	ds_bpermute_b32 v15, v32, v12
	v_cmp_le_u32_e32 vcc, v33, v14
	;; [unrolled: 5-line block ×4, first 2 shown]
	s_waitcnt lgkmcnt(0)
	v_cndmask_b32_e32 v14, 0, v15, vcc
	v_add3_u32 v12, v14, v34, v12
.LBB6770_44:                            ; =>This Loop Header: Depth=1
                                        ;     Child Loop BB6770_47 Depth 2
                                        ;       Child Loop BB6770_48 Depth 3
	v_cmp_ne_u16_sdwa s[26:27], v13, v7 src0_sel:BYTE_0 src1_sel:DWORD
	v_cndmask_b32_e64 v13, 0, 1, s[26:27]
	;;#ASMSTART
	;;#ASMEND
	v_cmp_ne_u32_e32 vcc, 0, v13
	s_cmp_lg_u64 vcc, exec
	v_mov_b32_e32 v34, v12
	s_cbranch_scc1 .LBB6770_51
; %bb.45:                               ;   in Loop: Header=BB6770_44 Depth=1
	v_lshlrev_b64 v[12:13], 3, v[8:9]
	v_mov_b32_e32 v15, s7
	v_add_co_u32_e32 v14, vcc, s6, v12
	v_addc_co_u32_e32 v15, vcc, v15, v13, vcc
	global_load_dwordx2 v[12:13], v[14:15], off glc
	s_waitcnt vmcnt(0)
	v_cmp_eq_u16_sdwa s[28:29], v13, v9 src0_sel:BYTE_0 src1_sel:DWORD
	s_and_saveexec_b64 s[26:27], s[28:29]
	s_cbranch_execz .LBB6770_43
; %bb.46:                               ;   in Loop: Header=BB6770_44 Depth=1
	s_mov_b32 s34, 1
	s_mov_b64 s[28:29], 0
.LBB6770_47:                            ;   Parent Loop BB6770_44 Depth=1
                                        ; =>  This Loop Header: Depth=2
                                        ;       Child Loop BB6770_48 Depth 3
	s_max_u32 s35, s34, 1
.LBB6770_48:                            ;   Parent Loop BB6770_44 Depth=1
                                        ;     Parent Loop BB6770_47 Depth=2
                                        ; =>    This Inner Loop Header: Depth=3
	s_add_i32 s35, s35, -1
	s_cmp_eq_u32 s35, 0
	s_sleep 1
	s_cbranch_scc0 .LBB6770_48
; %bb.49:                               ;   in Loop: Header=BB6770_47 Depth=2
	global_load_dwordx2 v[12:13], v[14:15], off glc
	s_cmp_lt_u32 s34, 32
	s_cselect_b64 s[36:37], -1, 0
	s_cmp_lg_u64 s[36:37], 0
	s_addc_u32 s34, s34, 0
	s_waitcnt vmcnt(0)
	v_cmp_ne_u16_sdwa s[36:37], v13, v9 src0_sel:BYTE_0 src1_sel:DWORD
	s_or_b64 s[28:29], s[36:37], s[28:29]
	s_andn2_b64 exec, exec, s[28:29]
	s_cbranch_execnz .LBB6770_47
; %bb.50:                               ;   in Loop: Header=BB6770_44 Depth=1
	s_or_b64 exec, exec, s[28:29]
	s_branch .LBB6770_43
.LBB6770_51:                            ;   in Loop: Header=BB6770_44 Depth=1
                                        ; implicit-def: $vgpr12
                                        ; implicit-def: $vgpr13
	s_cbranch_execz .LBB6770_44
; %bb.52:
	s_and_saveexec_b64 s[26:27], s[4:5]
	s_cbranch_execz .LBB6770_54
; %bb.53:
	s_add_i32 s4, s33, 64
	s_mov_b32 s5, 0
	s_lshl_b64 s[4:5], s[4:5], 3
	s_add_u32 s4, s6, s4
	v_add_u32_e32 v6, v34, v6
	v_mov_b32_e32 v7, 2
	s_addc_u32 s5, s7, s5
	v_mov_b32_e32 v8, 0
	global_store_dwordx2 v8, v[6:7], s[4:5]
.LBB6770_54:
	s_or_b64 exec, exec, s[26:27]
	s_and_b64 exec, exec, s[2:3]
	s_cbranch_execz .LBB6770_56
; %bb.55:
	v_mov_b32_e32 v6, 0
	ds_write_b32 v6, v34
.LBB6770_56:
	s_or_b64 exec, exec, s[24:25]
	v_mov_b32_e32 v6, 0
	s_waitcnt lgkmcnt(0)
	s_barrier
	ds_read_b32 v6, v6
	s_waitcnt lgkmcnt(0)
	v_add3_u32 v6, v25, v2, v6
	v_add_u32_e32 v7, v6, v3
	v_add_u32_e32 v8, v7, v4
	v_add_u32_e32 v9, v8, v5
	v_add_u32_e32 v10, v9, v16
	v_add_u32_e32 v11, v10, v17
	v_add_u32_e32 v12, v11, v18
	v_add_u32_e32 v13, v12, v19
	v_add_u32_e32 v14, v13, v20
	v_add_u32_e32 v15, v14, v21
	s_branch .LBB6770_69
.LBB6770_57:
                                        ; implicit-def: $vgpr6_vgpr7_vgpr8_vgpr9_vgpr10_vgpr11_vgpr12_vgpr13_vgpr14_vgpr15
	s_cbranch_execz .LBB6770_69
; %bb.58:
	s_cmp_lg_u64 s[12:13], 0
	s_cselect_b64 s[4:5], -1, 0
	s_and_b64 s[12:13], s[2:3], s[4:5]
	v_mov_b32_e32 v12, v3
	v_mov_b32_e32 v13, v4
	;; [unrolled: 1-line block ×3, first 2 shown]
	s_and_saveexec_b64 s[4:5], s[12:13]
	s_cbranch_execz .LBB6770_60
; %bb.59:
	v_mov_b32_e32 v6, 0
	global_load_dword v6, v6, s[8:9]
	v_mov_b32_e32 v12, v3
	v_mov_b32_e32 v13, v4
	;; [unrolled: 1-line block ×3, first 2 shown]
	s_waitcnt vmcnt(0)
	v_add_u32_e32 v2, v6, v2
.LBB6770_60:
	s_or_b64 exec, exec, s[4:5]
	v_add_u32_e32 v3, v12, v2
	v_add_u32_e32 v4, v3, v13
	;; [unrolled: 1-line block ×9, first 2 shown]
	v_add_lshl_u32 v15, v24, v0, 2
	v_cmp_gt_u32_e32 vcc, 64, v0
	ds_write_b32 v15, v11
	s_waitcnt lgkmcnt(0)
	s_barrier
	s_and_saveexec_b64 s[4:5], vcc
	s_cbranch_execz .LBB6770_62
; %bb.61:
	v_lshlrev_b32_e32 v15, 1, v0
	v_lshrrev_b32_e32 v24, 4, v0
	v_add_lshl_u32 v15, v24, v15, 2
	ds_read2_b32 v[24:25], v15 offset1:1
	v_mbcnt_lo_u32_b32 v26, -1, 0
	v_mbcnt_hi_u32_b32 v26, -1, v26
	v_and_b32_e32 v27, 15, v26
	v_cmp_ne_u32_e32 vcc, 0, v27
	s_waitcnt lgkmcnt(0)
	v_add_u32_e32 v25, v25, v24
	; wave barrier
	s_nop 1
	v_mov_b32_dpp v28, v25 row_shr:1 row_mask:0xf bank_mask:0xf
	v_cndmask_b32_e32 v28, 0, v28, vcc
	v_add_u32_e32 v25, v28, v25
	v_cmp_lt_u32_e32 vcc, 1, v27
	s_nop 0
	v_mov_b32_dpp v28, v25 row_shr:2 row_mask:0xf bank_mask:0xf
	v_cndmask_b32_e32 v28, 0, v28, vcc
	v_add_u32_e32 v25, v25, v28
	v_cmp_lt_u32_e32 vcc, 3, v27
	;; [unrolled: 5-line block ×3, first 2 shown]
	s_nop 0
	v_mov_b32_dpp v28, v25 row_shr:8 row_mask:0xf bank_mask:0xf
	v_cndmask_b32_e32 v27, 0, v28, vcc
	v_add_u32_e32 v25, v25, v27
	v_bfe_i32 v28, v26, 4, 1
	v_cmp_lt_u32_e32 vcc, 31, v26
	v_mov_b32_dpp v27, v25 row_bcast:15 row_mask:0xf bank_mask:0xf
	v_and_b32_e32 v27, v28, v27
	v_add_u32_e32 v25, v25, v27
	v_and_b32_e32 v28, 64, v26
	s_nop 0
	v_mov_b32_dpp v27, v25 row_bcast:31 row_mask:0xf bank_mask:0xf
	v_cndmask_b32_e32 v27, 0, v27, vcc
	v_add_u32_e32 v25, v25, v27
	v_add_u32_e32 v27, -1, v26
	v_cmp_lt_i32_e32 vcc, v27, v28
	v_cndmask_b32_e32 v26, v27, v26, vcc
	v_lshlrev_b32_e32 v26, 2, v26
	ds_bpermute_b32 v25, v26, v25
	s_waitcnt lgkmcnt(0)
	v_add_u32_e32 v24, v25, v24
	v_cndmask_b32_e64 v24, v24, v11, s[2:3]
	ds_write_b32 v15, v24
	; wave barrier
	ds_read_b32 v25, v15 offset:4
	s_waitcnt lgkmcnt(0)
	v_add_u32_e32 v24, v25, v24
	ds_write_b32 v15, v24 offset:4
.LBB6770_62:
	s_or_b64 exec, exec, s[4:5]
	v_mov_b32_e32 v15, v11
	s_waitcnt lgkmcnt(0)
	s_barrier
	s_and_saveexec_b64 s[2:3], s[0:1]
	s_cbranch_execz .LBB6770_64
; %bb.63:
	v_add_u32_e32 v15, -1, v0
	v_lshrrev_b32_e32 v24, 5, v15
	v_add_lshl_u32 v15, v24, v15, 2
	ds_read_b32 v15, v15
.LBB6770_64:
	s_or_b64 exec, exec, s[2:3]
	s_and_saveexec_b64 s[2:3], s[0:1]
	s_cbranch_execz .LBB6770_66
; %bb.65:
	s_waitcnt lgkmcnt(0)
	v_add_u32_e32 v2, v15, v2
	v_add_u32_e32 v3, v2, v12
	;; [unrolled: 1-line block ×10, first 2 shown]
	;;#ASMSTART
	;;#ASMEND
.LBB6770_66:
	s_or_b64 exec, exec, s[2:3]
	s_movk_i32 s0, 0x7f
	v_cmp_eq_u32_e32 vcc, s0, v0
	s_and_saveexec_b64 s[0:1], vcc
	s_cbranch_execz .LBB6770_68
; %bb.67:
	v_mov_b32_e32 v14, 0
	v_mov_b32_e32 v13, 2
	;; [unrolled: 1-line block ×3, first 2 shown]
	global_store_dwordx2 v14, v[12:13], s[6:7] offset:512
.LBB6770_68:
	s_or_b64 exec, exec, s[0:1]
	s_waitcnt lgkmcnt(0)
	v_pk_mov_b32 v[14:15], v[10:11], v[10:11] op_sel:[0,1]
	v_pk_mov_b32 v[12:13], v[8:9], v[8:9] op_sel:[0,1]
	;; [unrolled: 1-line block ×5, first 2 shown]
.LBB6770_69:
	s_add_u32 s0, s20, s18
	s_addc_u32 s1, s21, s19
	s_add_u32 s2, s0, s22
	s_addc_u32 s3, s1, s23
	s_mov_b64 s[0:1], -1
	s_and_b64 vcc, exec, s[16:17]
	s_barrier
	s_cbranch_vccz .LBB6770_71
; %bb.70:
	ds_write2_b64 v1, v[6:7], v[8:9] offset1:1
	ds_write2_b64 v1, v[10:11], v[12:13] offset0:2 offset1:3
	ds_write_b64 v1, v[14:15] offset:32
	s_waitcnt lgkmcnt(0)
	s_barrier
	ds_read2st64_b32 v[2:3], v22 offset1:2
	ds_read2st64_b32 v[4:5], v22 offset0:4 offset1:6
	ds_read2st64_b32 v[16:17], v22 offset0:8 offset1:10
	;; [unrolled: 1-line block ×4, first 2 shown]
	v_mov_b32_e32 v25, s3
	v_add_co_u32_e32 v24, vcc, s2, v22
	v_addc_co_u32_e32 v25, vcc, 0, v25, vcc
	s_waitcnt lgkmcnt(4)
	flat_store_dword v[24:25], v2
	flat_store_dword v[24:25], v3 offset:512
	s_waitcnt lgkmcnt(0)
	flat_store_dword v[24:25], v4 offset:1024
	flat_store_dword v[24:25], v5 offset:1536
	;; [unrolled: 1-line block ×6, first 2 shown]
	v_add_co_u32_e32 v2, vcc, 0x1000, v24
	v_addc_co_u32_e32 v3, vcc, 0, v25, vcc
	flat_store_dword v[2:3], v20
	flat_store_dword v[2:3], v21 offset:512
	s_mov_b64 s[0:1], 0
.LBB6770_71:
	s_andn2_b64 vcc, exec, s[0:1]
	s_cbranch_vccnz .LBB6770_127
; %bb.72:
	ds_write2_b64 v1, v[6:7], v[8:9] offset1:1
	ds_write2_b64 v1, v[10:11], v[12:13] offset0:2 offset1:3
	ds_write_b64 v1, v[14:15] offset:32
	s_waitcnt lgkmcnt(0)
	s_barrier
	ds_read2st64_b32 v[2:3], v22 offset1:2
	ds_read2st64_b32 v[6:7], v22 offset0:4 offset1:6
	ds_read2st64_b32 v[4:5], v22 offset0:8 offset1:10
	;; [unrolled: 1-line block ×4, first 2 shown]
	v_mov_b32_e32 v13, s3
	v_add_co_u32_e32 v12, vcc, s2, v22
	v_addc_co_u32_e32 v13, vcc, 0, v13, vcc
	v_mov_b32_e32 v1, 0
	v_cmp_gt_u32_e32 vcc, s30, v0
	s_and_saveexec_b64 s[0:1], vcc
	s_cbranch_execz .LBB6770_74
; %bb.73:
	s_waitcnt lgkmcnt(0)
	flat_store_dword v[12:13], v2
.LBB6770_74:
	s_or_b64 exec, exec, s[0:1]
	v_or_b32_e32 v14, 0x80, v0
	v_cmp_gt_u32_e32 vcc, s30, v14
	s_and_saveexec_b64 s[0:1], vcc
	s_cbranch_execz .LBB6770_76
; %bb.75:
	s_waitcnt lgkmcnt(0)
	flat_store_dword v[12:13], v3 offset:512
.LBB6770_76:
	s_or_b64 exec, exec, s[0:1]
	v_or_b32_e32 v14, 0x100, v0
	v_cmp_gt_u32_e32 vcc, s30, v14
	s_and_saveexec_b64 s[0:1], vcc
	s_cbranch_execz .LBB6770_78
; %bb.77:
	s_waitcnt lgkmcnt(0)
	flat_store_dword v[12:13], v6 offset:1024
.LBB6770_78:
	;; [unrolled: 9-line block ×7, first 2 shown]
	s_or_b64 exec, exec, s[0:1]
	v_or_b32_e32 v14, 0x400, v0
	v_cmp_gt_u32_e32 vcc, s30, v14
	s_and_saveexec_b64 s[0:1], vcc
	s_cbranch_execz .LBB6770_90
; %bb.89:
	v_add_co_u32_e32 v14, vcc, 0x1000, v12
	v_addc_co_u32_e32 v15, vcc, 0, v13, vcc
	s_waitcnt lgkmcnt(0)
	flat_store_dword v[14:15], v10
.LBB6770_90:
	s_or_b64 exec, exec, s[0:1]
	v_or_b32_e32 v14, 0x480, v0
	v_cmp_gt_u32_e32 vcc, s30, v14
	s_and_saveexec_b64 s[0:1], vcc
	s_cbranch_execz .LBB6770_92
; %bb.91:
	v_add_co_u32_e32 v12, vcc, 0x1000, v12
	v_addc_co_u32_e32 v13, vcc, 0, v13, vcc
	s_waitcnt lgkmcnt(0)
	flat_store_dword v[12:13], v11 offset:512
.LBB6770_92:
	s_or_b64 exec, exec, s[0:1]
	v_cmp_lt_u64_e64 s[0:1], s[14:15], 2
	s_and_b64 vcc, exec, s[0:1]
	s_cbranch_vccnz .LBB6770_127
; %bb.93:
	s_add_u32 s0, s30, -1
	s_addc_u32 s1, s31, -1
	s_add_u32 s2, 0, 0x99986000
	s_addc_u32 s3, 0, 0x59
	s_add_i32 s3, s3, 0x19999940
	s_mul_hi_u32 s7, s2, -10
	s_sub_i32 s7, s7, s2
	s_mul_i32 s8, s3, -10
	s_mul_i32 s4, s2, -10
	s_add_i32 s7, s7, s8
	s_mul_hi_u32 s5, s3, s4
	s_mul_i32 s6, s3, s4
	s_mul_i32 s9, s2, s7
	s_mul_hi_u32 s4, s2, s4
	s_mul_hi_u32 s8, s2, s7
	s_add_u32 s4, s4, s9
	s_addc_u32 s8, 0, s8
	s_add_u32 s4, s4, s6
	s_mul_hi_u32 s9, s3, s7
	s_addc_u32 s4, s8, s5
	s_addc_u32 s5, s9, 0
	s_mul_i32 s6, s3, s7
	s_add_u32 s4, s4, s6
	v_mov_b32_e32 v12, s4
	s_addc_u32 s5, 0, s5
	v_add_co_u32_e32 v12, vcc, s2, v12
	s_cmp_lg_u64 vcc, 0
	s_addc_u32 s2, s3, s5
	v_readfirstlane_b32 s5, v12
	s_mul_i32 s4, s0, s2
	s_mul_hi_u32 s6, s0, s5
	s_mul_hi_u32 s3, s0, s2
	s_add_u32 s4, s6, s4
	s_addc_u32 s3, 0, s3
	s_mul_hi_u32 s7, s1, s5
	s_mul_i32 s5, s1, s5
	s_add_u32 s4, s4, s5
	s_mul_hi_u32 s6, s1, s2
	s_addc_u32 s3, s3, s7
	s_addc_u32 s4, s6, 0
	s_mul_i32 s2, s1, s2
	s_add_u32 s2, s3, s2
	s_addc_u32 s3, 0, s4
	s_add_u32 s4, s2, 1
	s_addc_u32 s5, s3, 0
	s_add_u32 s6, s2, 2
	s_mul_i32 s8, s3, 10
	s_mul_hi_u32 s9, s2, 10
	s_addc_u32 s7, s3, 0
	s_add_i32 s9, s9, s8
	s_mul_i32 s8, s2, 10
	v_mov_b32_e32 v12, s8
	v_sub_co_u32_e32 v12, vcc, s0, v12
	s_cmp_lg_u64 vcc, 0
	s_subb_u32 s8, s1, s9
	v_subrev_co_u32_e32 v13, vcc, 10, v12
	s_cmp_lg_u64 vcc, 0
	s_subb_u32 s9, s8, 0
	v_readfirstlane_b32 s12, v13
	s_cmp_gt_u32 s12, 9
	s_cselect_b32 s12, -1, 0
	s_cmp_eq_u32 s9, 0
	s_cselect_b32 s9, s12, -1
	s_cmp_lg_u32 s9, 0
	s_cselect_b32 s4, s6, s4
	v_readfirstlane_b32 s6, v12
	s_cselect_b32 s5, s7, s5
	s_cmp_gt_u32 s6, 9
	s_cselect_b32 s6, -1, 0
	s_cmp_eq_u32 s8, 0
	s_cselect_b32 s6, s6, -1
	s_cmp_lg_u32 s6, 0
	s_cselect_b32 s3, s5, s3
	s_cselect_b32 s2, s4, s2
	v_cmp_eq_u64_e32 vcc, s[2:3], v[0:1]
	s_and_saveexec_b64 s[2:3], vcc
	s_cbranch_execz .LBB6770_127
; %bb.94:
	v_mul_hi_u32_u24_e32 v1, 10, v0
	v_mov_b32_e32 v12, s1
	v_sub_co_u32_e32 v0, vcc, s0, v23
	v_subb_co_u32_e32 v1, vcc, v12, v1, vcc
	v_cmp_lt_i64_e32 vcc, 4, v[0:1]
	s_and_saveexec_b64 s[0:1], vcc
	s_xor_b64 s[0:1], exec, s[0:1]
	s_cbranch_execz .LBB6770_112
; %bb.95:
	v_cmp_lt_i64_e32 vcc, 6, v[0:1]
	s_and_saveexec_b64 s[2:3], vcc
	s_xor_b64 s[2:3], exec, s[2:3]
	s_cbranch_execz .LBB6770_105
; %bb.96:
	v_cmp_lt_i64_e32 vcc, 7, v[0:1]
	s_and_saveexec_b64 s[4:5], vcc
	s_xor_b64 s[4:5], exec, s[4:5]
	s_cbranch_execz .LBB6770_102
; %bb.97:
	v_cmp_lt_i64_e32 vcc, 8, v[0:1]
	s_and_saveexec_b64 s[6:7], vcc
	s_xor_b64 s[6:7], exec, s[6:7]
	s_cbranch_execz .LBB6770_99
; %bb.98:
	v_mov_b32_e32 v0, 0
	s_waitcnt lgkmcnt(0)
	global_store_dword v0, v11, s[10:11]
                                        ; implicit-def: $vgpr10_vgpr11
.LBB6770_99:
	s_andn2_saveexec_b64 s[6:7], s[6:7]
	s_cbranch_execz .LBB6770_101
; %bb.100:
	v_mov_b32_e32 v0, 0
	s_waitcnt lgkmcnt(0)
	global_store_dword v0, v10, s[10:11]
.LBB6770_101:
	s_or_b64 exec, exec, s[6:7]
                                        ; implicit-def: $vgpr8_vgpr9
.LBB6770_102:
	s_andn2_saveexec_b64 s[4:5], s[4:5]
	s_cbranch_execz .LBB6770_104
; %bb.103:
	v_mov_b32_e32 v0, 0
	s_waitcnt lgkmcnt(0)
	global_store_dword v0, v9, s[10:11]
.LBB6770_104:
	s_or_b64 exec, exec, s[4:5]
                                        ; implicit-def: $vgpr4_vgpr5
                                        ; implicit-def: $vgpr0_vgpr1
                                        ; implicit-def: $vgpr8_vgpr9
.LBB6770_105:
	s_andn2_saveexec_b64 s[2:3], s[2:3]
	s_cbranch_execz .LBB6770_111
; %bb.106:
	v_cmp_lt_i64_e32 vcc, 5, v[0:1]
	s_and_saveexec_b64 s[4:5], vcc
	s_xor_b64 s[4:5], exec, s[4:5]
	s_cbranch_execz .LBB6770_108
; %bb.107:
	v_mov_b32_e32 v0, 0
	s_waitcnt lgkmcnt(0)
	global_store_dword v0, v8, s[10:11]
                                        ; implicit-def: $vgpr4_vgpr5
.LBB6770_108:
	s_andn2_saveexec_b64 s[4:5], s[4:5]
	s_cbranch_execz .LBB6770_110
; %bb.109:
	v_mov_b32_e32 v0, 0
	s_waitcnt lgkmcnt(0)
	global_store_dword v0, v5, s[10:11]
.LBB6770_110:
	s_or_b64 exec, exec, s[4:5]
.LBB6770_111:
	s_or_b64 exec, exec, s[2:3]
                                        ; implicit-def: $vgpr0_vgpr1
                                        ; implicit-def: $vgpr6_vgpr7
                                        ; implicit-def: $vgpr2_vgpr3
                                        ; implicit-def: $vgpr4_vgpr5
.LBB6770_112:
	s_andn2_saveexec_b64 s[0:1], s[0:1]
	s_cbranch_execz .LBB6770_127
; %bb.113:
	v_cmp_lt_i64_e32 vcc, 2, v[0:1]
	s_and_saveexec_b64 s[0:1], vcc
	s_xor_b64 s[0:1], exec, s[0:1]
	s_cbranch_execz .LBB6770_119
; %bb.114:
	v_cmp_lt_i64_e32 vcc, 3, v[0:1]
	s_and_saveexec_b64 s[2:3], vcc
	s_xor_b64 s[2:3], exec, s[2:3]
	s_cbranch_execz .LBB6770_116
; %bb.115:
	v_mov_b32_e32 v0, 0
	s_waitcnt lgkmcnt(0)
	global_store_dword v0, v4, s[10:11]
                                        ; implicit-def: $vgpr6_vgpr7
.LBB6770_116:
	s_andn2_saveexec_b64 s[2:3], s[2:3]
	s_cbranch_execz .LBB6770_118
; %bb.117:
	v_mov_b32_e32 v0, 0
	s_waitcnt lgkmcnt(0)
	global_store_dword v0, v7, s[10:11]
.LBB6770_118:
	s_or_b64 exec, exec, s[2:3]
                                        ; implicit-def: $vgpr0_vgpr1
                                        ; implicit-def: $vgpr6_vgpr7
                                        ; implicit-def: $vgpr2_vgpr3
.LBB6770_119:
	s_andn2_saveexec_b64 s[0:1], s[0:1]
	s_cbranch_execz .LBB6770_127
; %bb.120:
	v_cmp_lt_i64_e32 vcc, 1, v[0:1]
	s_and_saveexec_b64 s[0:1], vcc
	s_xor_b64 s[0:1], exec, s[0:1]
	s_cbranch_execz .LBB6770_122
; %bb.121:
	v_mov_b32_e32 v0, 0
	s_waitcnt lgkmcnt(0)
	global_store_dword v0, v6, s[10:11]
                                        ; implicit-def: $vgpr2_vgpr3
                                        ; implicit-def: $vgpr0_vgpr1
.LBB6770_122:
	s_andn2_saveexec_b64 s[0:1], s[0:1]
	s_cbranch_execz .LBB6770_127
; %bb.123:
	v_cmp_ne_u64_e32 vcc, 1, v[0:1]
	s_and_saveexec_b64 s[0:1], vcc
	s_xor_b64 s[0:1], exec, s[0:1]
	s_cbranch_execz .LBB6770_125
; %bb.124:
	v_mov_b32_e32 v0, 0
	s_waitcnt lgkmcnt(0)
	global_store_dword v0, v2, s[10:11]
                                        ; implicit-def: $vgpr2_vgpr3
.LBB6770_125:
	s_andn2_saveexec_b64 s[0:1], s[0:1]
	s_cbranch_execz .LBB6770_127
; %bb.126:
	v_mov_b32_e32 v0, 0
	s_waitcnt lgkmcnt(0)
	global_store_dword v0, v3, s[10:11]
.LBB6770_127:
	s_endpgm
	.section	.rodata,"a",@progbits
	.p2align	6, 0x0
	.amdhsa_kernel _ZN7rocprim17ROCPRIM_400000_NS6detail17trampoline_kernelINS0_14default_configENS1_20scan_config_selectorIiEEZZNS1_9scan_implILNS1_25lookback_scan_determinismE0ELb0ELb0ES3_N6thrust23THRUST_200600_302600_NS10device_ptrIiEESB_iNS9_4plusIvEEiEEDaPvRmT3_T4_T5_mT6_P12ihipStream_tbENKUlT_T0_E_clISt17integral_constantIbLb1EESR_EEDaSM_SN_EUlSM_E_NS1_11comp_targetILNS1_3genE4ELNS1_11target_archE910ELNS1_3gpuE8ELNS1_3repE0EEENS1_30default_config_static_selectorELNS0_4arch9wavefront6targetE1EEEvT1_
		.amdhsa_group_segment_fixed_size 5120
		.amdhsa_private_segment_fixed_size 0
		.amdhsa_kernarg_size 96
		.amdhsa_user_sgpr_count 6
		.amdhsa_user_sgpr_private_segment_buffer 1
		.amdhsa_user_sgpr_dispatch_ptr 0
		.amdhsa_user_sgpr_queue_ptr 0
		.amdhsa_user_sgpr_kernarg_segment_ptr 1
		.amdhsa_user_sgpr_dispatch_id 0
		.amdhsa_user_sgpr_flat_scratch_init 0
		.amdhsa_user_sgpr_kernarg_preload_length 0
		.amdhsa_user_sgpr_kernarg_preload_offset 0
		.amdhsa_user_sgpr_private_segment_size 0
		.amdhsa_uses_dynamic_stack 0
		.amdhsa_system_sgpr_private_segment_wavefront_offset 0
		.amdhsa_system_sgpr_workgroup_id_x 1
		.amdhsa_system_sgpr_workgroup_id_y 0
		.amdhsa_system_sgpr_workgroup_id_z 0
		.amdhsa_system_sgpr_workgroup_info 0
		.amdhsa_system_vgpr_workitem_id 0
		.amdhsa_next_free_vgpr 40
		.amdhsa_next_free_sgpr 38
		.amdhsa_accum_offset 40
		.amdhsa_reserve_vcc 1
		.amdhsa_reserve_flat_scratch 0
		.amdhsa_float_round_mode_32 0
		.amdhsa_float_round_mode_16_64 0
		.amdhsa_float_denorm_mode_32 3
		.amdhsa_float_denorm_mode_16_64 3
		.amdhsa_dx10_clamp 1
		.amdhsa_ieee_mode 1
		.amdhsa_fp16_overflow 0
		.amdhsa_tg_split 0
		.amdhsa_exception_fp_ieee_invalid_op 0
		.amdhsa_exception_fp_denorm_src 0
		.amdhsa_exception_fp_ieee_div_zero 0
		.amdhsa_exception_fp_ieee_overflow 0
		.amdhsa_exception_fp_ieee_underflow 0
		.amdhsa_exception_fp_ieee_inexact 0
		.amdhsa_exception_int_div_zero 0
	.end_amdhsa_kernel
	.section	.text._ZN7rocprim17ROCPRIM_400000_NS6detail17trampoline_kernelINS0_14default_configENS1_20scan_config_selectorIiEEZZNS1_9scan_implILNS1_25lookback_scan_determinismE0ELb0ELb0ES3_N6thrust23THRUST_200600_302600_NS10device_ptrIiEESB_iNS9_4plusIvEEiEEDaPvRmT3_T4_T5_mT6_P12ihipStream_tbENKUlT_T0_E_clISt17integral_constantIbLb1EESR_EEDaSM_SN_EUlSM_E_NS1_11comp_targetILNS1_3genE4ELNS1_11target_archE910ELNS1_3gpuE8ELNS1_3repE0EEENS1_30default_config_static_selectorELNS0_4arch9wavefront6targetE1EEEvT1_,"axG",@progbits,_ZN7rocprim17ROCPRIM_400000_NS6detail17trampoline_kernelINS0_14default_configENS1_20scan_config_selectorIiEEZZNS1_9scan_implILNS1_25lookback_scan_determinismE0ELb0ELb0ES3_N6thrust23THRUST_200600_302600_NS10device_ptrIiEESB_iNS9_4plusIvEEiEEDaPvRmT3_T4_T5_mT6_P12ihipStream_tbENKUlT_T0_E_clISt17integral_constantIbLb1EESR_EEDaSM_SN_EUlSM_E_NS1_11comp_targetILNS1_3genE4ELNS1_11target_archE910ELNS1_3gpuE8ELNS1_3repE0EEENS1_30default_config_static_selectorELNS0_4arch9wavefront6targetE1EEEvT1_,comdat
.Lfunc_end6770:
	.size	_ZN7rocprim17ROCPRIM_400000_NS6detail17trampoline_kernelINS0_14default_configENS1_20scan_config_selectorIiEEZZNS1_9scan_implILNS1_25lookback_scan_determinismE0ELb0ELb0ES3_N6thrust23THRUST_200600_302600_NS10device_ptrIiEESB_iNS9_4plusIvEEiEEDaPvRmT3_T4_T5_mT6_P12ihipStream_tbENKUlT_T0_E_clISt17integral_constantIbLb1EESR_EEDaSM_SN_EUlSM_E_NS1_11comp_targetILNS1_3genE4ELNS1_11target_archE910ELNS1_3gpuE8ELNS1_3repE0EEENS1_30default_config_static_selectorELNS0_4arch9wavefront6targetE1EEEvT1_, .Lfunc_end6770-_ZN7rocprim17ROCPRIM_400000_NS6detail17trampoline_kernelINS0_14default_configENS1_20scan_config_selectorIiEEZZNS1_9scan_implILNS1_25lookback_scan_determinismE0ELb0ELb0ES3_N6thrust23THRUST_200600_302600_NS10device_ptrIiEESB_iNS9_4plusIvEEiEEDaPvRmT3_T4_T5_mT6_P12ihipStream_tbENKUlT_T0_E_clISt17integral_constantIbLb1EESR_EEDaSM_SN_EUlSM_E_NS1_11comp_targetILNS1_3genE4ELNS1_11target_archE910ELNS1_3gpuE8ELNS1_3repE0EEENS1_30default_config_static_selectorELNS0_4arch9wavefront6targetE1EEEvT1_
                                        ; -- End function
	.section	.AMDGPU.csdata,"",@progbits
; Kernel info:
; codeLenInByte = 4644
; NumSgprs: 42
; NumVgprs: 40
; NumAgprs: 0
; TotalNumVgprs: 40
; ScratchSize: 0
; MemoryBound: 0
; FloatMode: 240
; IeeeMode: 1
; LDSByteSize: 5120 bytes/workgroup (compile time only)
; SGPRBlocks: 5
; VGPRBlocks: 4
; NumSGPRsForWavesPerEU: 42
; NumVGPRsForWavesPerEU: 40
; AccumOffset: 40
; Occupancy: 6
; WaveLimiterHint : 1
; COMPUTE_PGM_RSRC2:SCRATCH_EN: 0
; COMPUTE_PGM_RSRC2:USER_SGPR: 6
; COMPUTE_PGM_RSRC2:TRAP_HANDLER: 0
; COMPUTE_PGM_RSRC2:TGID_X_EN: 1
; COMPUTE_PGM_RSRC2:TGID_Y_EN: 0
; COMPUTE_PGM_RSRC2:TGID_Z_EN: 0
; COMPUTE_PGM_RSRC2:TIDIG_COMP_CNT: 0
; COMPUTE_PGM_RSRC3_GFX90A:ACCUM_OFFSET: 9
; COMPUTE_PGM_RSRC3_GFX90A:TG_SPLIT: 0
	.section	.text._ZN7rocprim17ROCPRIM_400000_NS6detail17trampoline_kernelINS0_14default_configENS1_20scan_config_selectorIiEEZZNS1_9scan_implILNS1_25lookback_scan_determinismE0ELb0ELb0ES3_N6thrust23THRUST_200600_302600_NS10device_ptrIiEESB_iNS9_4plusIvEEiEEDaPvRmT3_T4_T5_mT6_P12ihipStream_tbENKUlT_T0_E_clISt17integral_constantIbLb1EESR_EEDaSM_SN_EUlSM_E_NS1_11comp_targetILNS1_3genE3ELNS1_11target_archE908ELNS1_3gpuE7ELNS1_3repE0EEENS1_30default_config_static_selectorELNS0_4arch9wavefront6targetE1EEEvT1_,"axG",@progbits,_ZN7rocprim17ROCPRIM_400000_NS6detail17trampoline_kernelINS0_14default_configENS1_20scan_config_selectorIiEEZZNS1_9scan_implILNS1_25lookback_scan_determinismE0ELb0ELb0ES3_N6thrust23THRUST_200600_302600_NS10device_ptrIiEESB_iNS9_4plusIvEEiEEDaPvRmT3_T4_T5_mT6_P12ihipStream_tbENKUlT_T0_E_clISt17integral_constantIbLb1EESR_EEDaSM_SN_EUlSM_E_NS1_11comp_targetILNS1_3genE3ELNS1_11target_archE908ELNS1_3gpuE7ELNS1_3repE0EEENS1_30default_config_static_selectorELNS0_4arch9wavefront6targetE1EEEvT1_,comdat
	.protected	_ZN7rocprim17ROCPRIM_400000_NS6detail17trampoline_kernelINS0_14default_configENS1_20scan_config_selectorIiEEZZNS1_9scan_implILNS1_25lookback_scan_determinismE0ELb0ELb0ES3_N6thrust23THRUST_200600_302600_NS10device_ptrIiEESB_iNS9_4plusIvEEiEEDaPvRmT3_T4_T5_mT6_P12ihipStream_tbENKUlT_T0_E_clISt17integral_constantIbLb1EESR_EEDaSM_SN_EUlSM_E_NS1_11comp_targetILNS1_3genE3ELNS1_11target_archE908ELNS1_3gpuE7ELNS1_3repE0EEENS1_30default_config_static_selectorELNS0_4arch9wavefront6targetE1EEEvT1_ ; -- Begin function _ZN7rocprim17ROCPRIM_400000_NS6detail17trampoline_kernelINS0_14default_configENS1_20scan_config_selectorIiEEZZNS1_9scan_implILNS1_25lookback_scan_determinismE0ELb0ELb0ES3_N6thrust23THRUST_200600_302600_NS10device_ptrIiEESB_iNS9_4plusIvEEiEEDaPvRmT3_T4_T5_mT6_P12ihipStream_tbENKUlT_T0_E_clISt17integral_constantIbLb1EESR_EEDaSM_SN_EUlSM_E_NS1_11comp_targetILNS1_3genE3ELNS1_11target_archE908ELNS1_3gpuE7ELNS1_3repE0EEENS1_30default_config_static_selectorELNS0_4arch9wavefront6targetE1EEEvT1_
	.globl	_ZN7rocprim17ROCPRIM_400000_NS6detail17trampoline_kernelINS0_14default_configENS1_20scan_config_selectorIiEEZZNS1_9scan_implILNS1_25lookback_scan_determinismE0ELb0ELb0ES3_N6thrust23THRUST_200600_302600_NS10device_ptrIiEESB_iNS9_4plusIvEEiEEDaPvRmT3_T4_T5_mT6_P12ihipStream_tbENKUlT_T0_E_clISt17integral_constantIbLb1EESR_EEDaSM_SN_EUlSM_E_NS1_11comp_targetILNS1_3genE3ELNS1_11target_archE908ELNS1_3gpuE7ELNS1_3repE0EEENS1_30default_config_static_selectorELNS0_4arch9wavefront6targetE1EEEvT1_
	.p2align	8
	.type	_ZN7rocprim17ROCPRIM_400000_NS6detail17trampoline_kernelINS0_14default_configENS1_20scan_config_selectorIiEEZZNS1_9scan_implILNS1_25lookback_scan_determinismE0ELb0ELb0ES3_N6thrust23THRUST_200600_302600_NS10device_ptrIiEESB_iNS9_4plusIvEEiEEDaPvRmT3_T4_T5_mT6_P12ihipStream_tbENKUlT_T0_E_clISt17integral_constantIbLb1EESR_EEDaSM_SN_EUlSM_E_NS1_11comp_targetILNS1_3genE3ELNS1_11target_archE908ELNS1_3gpuE7ELNS1_3repE0EEENS1_30default_config_static_selectorELNS0_4arch9wavefront6targetE1EEEvT1_,@function
_ZN7rocprim17ROCPRIM_400000_NS6detail17trampoline_kernelINS0_14default_configENS1_20scan_config_selectorIiEEZZNS1_9scan_implILNS1_25lookback_scan_determinismE0ELb0ELb0ES3_N6thrust23THRUST_200600_302600_NS10device_ptrIiEESB_iNS9_4plusIvEEiEEDaPvRmT3_T4_T5_mT6_P12ihipStream_tbENKUlT_T0_E_clISt17integral_constantIbLb1EESR_EEDaSM_SN_EUlSM_E_NS1_11comp_targetILNS1_3genE3ELNS1_11target_archE908ELNS1_3gpuE7ELNS1_3repE0EEENS1_30default_config_static_selectorELNS0_4arch9wavefront6targetE1EEEvT1_: ; @_ZN7rocprim17ROCPRIM_400000_NS6detail17trampoline_kernelINS0_14default_configENS1_20scan_config_selectorIiEEZZNS1_9scan_implILNS1_25lookback_scan_determinismE0ELb0ELb0ES3_N6thrust23THRUST_200600_302600_NS10device_ptrIiEESB_iNS9_4plusIvEEiEEDaPvRmT3_T4_T5_mT6_P12ihipStream_tbENKUlT_T0_E_clISt17integral_constantIbLb1EESR_EEDaSM_SN_EUlSM_E_NS1_11comp_targetILNS1_3genE3ELNS1_11target_archE908ELNS1_3gpuE7ELNS1_3repE0EEENS1_30default_config_static_selectorELNS0_4arch9wavefront6targetE1EEEvT1_
; %bb.0:
	.section	.rodata,"a",@progbits
	.p2align	6, 0x0
	.amdhsa_kernel _ZN7rocprim17ROCPRIM_400000_NS6detail17trampoline_kernelINS0_14default_configENS1_20scan_config_selectorIiEEZZNS1_9scan_implILNS1_25lookback_scan_determinismE0ELb0ELb0ES3_N6thrust23THRUST_200600_302600_NS10device_ptrIiEESB_iNS9_4plusIvEEiEEDaPvRmT3_T4_T5_mT6_P12ihipStream_tbENKUlT_T0_E_clISt17integral_constantIbLb1EESR_EEDaSM_SN_EUlSM_E_NS1_11comp_targetILNS1_3genE3ELNS1_11target_archE908ELNS1_3gpuE7ELNS1_3repE0EEENS1_30default_config_static_selectorELNS0_4arch9wavefront6targetE1EEEvT1_
		.amdhsa_group_segment_fixed_size 0
		.amdhsa_private_segment_fixed_size 0
		.amdhsa_kernarg_size 96
		.amdhsa_user_sgpr_count 6
		.amdhsa_user_sgpr_private_segment_buffer 1
		.amdhsa_user_sgpr_dispatch_ptr 0
		.amdhsa_user_sgpr_queue_ptr 0
		.amdhsa_user_sgpr_kernarg_segment_ptr 1
		.amdhsa_user_sgpr_dispatch_id 0
		.amdhsa_user_sgpr_flat_scratch_init 0
		.amdhsa_user_sgpr_kernarg_preload_length 0
		.amdhsa_user_sgpr_kernarg_preload_offset 0
		.amdhsa_user_sgpr_private_segment_size 0
		.amdhsa_uses_dynamic_stack 0
		.amdhsa_system_sgpr_private_segment_wavefront_offset 0
		.amdhsa_system_sgpr_workgroup_id_x 1
		.amdhsa_system_sgpr_workgroup_id_y 0
		.amdhsa_system_sgpr_workgroup_id_z 0
		.amdhsa_system_sgpr_workgroup_info 0
		.amdhsa_system_vgpr_workitem_id 0
		.amdhsa_next_free_vgpr 1
		.amdhsa_next_free_sgpr 0
		.amdhsa_accum_offset 4
		.amdhsa_reserve_vcc 0
		.amdhsa_reserve_flat_scratch 0
		.amdhsa_float_round_mode_32 0
		.amdhsa_float_round_mode_16_64 0
		.amdhsa_float_denorm_mode_32 3
		.amdhsa_float_denorm_mode_16_64 3
		.amdhsa_dx10_clamp 1
		.amdhsa_ieee_mode 1
		.amdhsa_fp16_overflow 0
		.amdhsa_tg_split 0
		.amdhsa_exception_fp_ieee_invalid_op 0
		.amdhsa_exception_fp_denorm_src 0
		.amdhsa_exception_fp_ieee_div_zero 0
		.amdhsa_exception_fp_ieee_overflow 0
		.amdhsa_exception_fp_ieee_underflow 0
		.amdhsa_exception_fp_ieee_inexact 0
		.amdhsa_exception_int_div_zero 0
	.end_amdhsa_kernel
	.section	.text._ZN7rocprim17ROCPRIM_400000_NS6detail17trampoline_kernelINS0_14default_configENS1_20scan_config_selectorIiEEZZNS1_9scan_implILNS1_25lookback_scan_determinismE0ELb0ELb0ES3_N6thrust23THRUST_200600_302600_NS10device_ptrIiEESB_iNS9_4plusIvEEiEEDaPvRmT3_T4_T5_mT6_P12ihipStream_tbENKUlT_T0_E_clISt17integral_constantIbLb1EESR_EEDaSM_SN_EUlSM_E_NS1_11comp_targetILNS1_3genE3ELNS1_11target_archE908ELNS1_3gpuE7ELNS1_3repE0EEENS1_30default_config_static_selectorELNS0_4arch9wavefront6targetE1EEEvT1_,"axG",@progbits,_ZN7rocprim17ROCPRIM_400000_NS6detail17trampoline_kernelINS0_14default_configENS1_20scan_config_selectorIiEEZZNS1_9scan_implILNS1_25lookback_scan_determinismE0ELb0ELb0ES3_N6thrust23THRUST_200600_302600_NS10device_ptrIiEESB_iNS9_4plusIvEEiEEDaPvRmT3_T4_T5_mT6_P12ihipStream_tbENKUlT_T0_E_clISt17integral_constantIbLb1EESR_EEDaSM_SN_EUlSM_E_NS1_11comp_targetILNS1_3genE3ELNS1_11target_archE908ELNS1_3gpuE7ELNS1_3repE0EEENS1_30default_config_static_selectorELNS0_4arch9wavefront6targetE1EEEvT1_,comdat
.Lfunc_end6771:
	.size	_ZN7rocprim17ROCPRIM_400000_NS6detail17trampoline_kernelINS0_14default_configENS1_20scan_config_selectorIiEEZZNS1_9scan_implILNS1_25lookback_scan_determinismE0ELb0ELb0ES3_N6thrust23THRUST_200600_302600_NS10device_ptrIiEESB_iNS9_4plusIvEEiEEDaPvRmT3_T4_T5_mT6_P12ihipStream_tbENKUlT_T0_E_clISt17integral_constantIbLb1EESR_EEDaSM_SN_EUlSM_E_NS1_11comp_targetILNS1_3genE3ELNS1_11target_archE908ELNS1_3gpuE7ELNS1_3repE0EEENS1_30default_config_static_selectorELNS0_4arch9wavefront6targetE1EEEvT1_, .Lfunc_end6771-_ZN7rocprim17ROCPRIM_400000_NS6detail17trampoline_kernelINS0_14default_configENS1_20scan_config_selectorIiEEZZNS1_9scan_implILNS1_25lookback_scan_determinismE0ELb0ELb0ES3_N6thrust23THRUST_200600_302600_NS10device_ptrIiEESB_iNS9_4plusIvEEiEEDaPvRmT3_T4_T5_mT6_P12ihipStream_tbENKUlT_T0_E_clISt17integral_constantIbLb1EESR_EEDaSM_SN_EUlSM_E_NS1_11comp_targetILNS1_3genE3ELNS1_11target_archE908ELNS1_3gpuE7ELNS1_3repE0EEENS1_30default_config_static_selectorELNS0_4arch9wavefront6targetE1EEEvT1_
                                        ; -- End function
	.section	.AMDGPU.csdata,"",@progbits
; Kernel info:
; codeLenInByte = 0
; NumSgprs: 4
; NumVgprs: 0
; NumAgprs: 0
; TotalNumVgprs: 0
; ScratchSize: 0
; MemoryBound: 0
; FloatMode: 240
; IeeeMode: 1
; LDSByteSize: 0 bytes/workgroup (compile time only)
; SGPRBlocks: 0
; VGPRBlocks: 0
; NumSGPRsForWavesPerEU: 4
; NumVGPRsForWavesPerEU: 1
; AccumOffset: 4
; Occupancy: 8
; WaveLimiterHint : 0
; COMPUTE_PGM_RSRC2:SCRATCH_EN: 0
; COMPUTE_PGM_RSRC2:USER_SGPR: 6
; COMPUTE_PGM_RSRC2:TRAP_HANDLER: 0
; COMPUTE_PGM_RSRC2:TGID_X_EN: 1
; COMPUTE_PGM_RSRC2:TGID_Y_EN: 0
; COMPUTE_PGM_RSRC2:TGID_Z_EN: 0
; COMPUTE_PGM_RSRC2:TIDIG_COMP_CNT: 0
; COMPUTE_PGM_RSRC3_GFX90A:ACCUM_OFFSET: 0
; COMPUTE_PGM_RSRC3_GFX90A:TG_SPLIT: 0
	.section	.text._ZN7rocprim17ROCPRIM_400000_NS6detail17trampoline_kernelINS0_14default_configENS1_20scan_config_selectorIiEEZZNS1_9scan_implILNS1_25lookback_scan_determinismE0ELb0ELb0ES3_N6thrust23THRUST_200600_302600_NS10device_ptrIiEESB_iNS9_4plusIvEEiEEDaPvRmT3_T4_T5_mT6_P12ihipStream_tbENKUlT_T0_E_clISt17integral_constantIbLb1EESR_EEDaSM_SN_EUlSM_E_NS1_11comp_targetILNS1_3genE2ELNS1_11target_archE906ELNS1_3gpuE6ELNS1_3repE0EEENS1_30default_config_static_selectorELNS0_4arch9wavefront6targetE1EEEvT1_,"axG",@progbits,_ZN7rocprim17ROCPRIM_400000_NS6detail17trampoline_kernelINS0_14default_configENS1_20scan_config_selectorIiEEZZNS1_9scan_implILNS1_25lookback_scan_determinismE0ELb0ELb0ES3_N6thrust23THRUST_200600_302600_NS10device_ptrIiEESB_iNS9_4plusIvEEiEEDaPvRmT3_T4_T5_mT6_P12ihipStream_tbENKUlT_T0_E_clISt17integral_constantIbLb1EESR_EEDaSM_SN_EUlSM_E_NS1_11comp_targetILNS1_3genE2ELNS1_11target_archE906ELNS1_3gpuE6ELNS1_3repE0EEENS1_30default_config_static_selectorELNS0_4arch9wavefront6targetE1EEEvT1_,comdat
	.protected	_ZN7rocprim17ROCPRIM_400000_NS6detail17trampoline_kernelINS0_14default_configENS1_20scan_config_selectorIiEEZZNS1_9scan_implILNS1_25lookback_scan_determinismE0ELb0ELb0ES3_N6thrust23THRUST_200600_302600_NS10device_ptrIiEESB_iNS9_4plusIvEEiEEDaPvRmT3_T4_T5_mT6_P12ihipStream_tbENKUlT_T0_E_clISt17integral_constantIbLb1EESR_EEDaSM_SN_EUlSM_E_NS1_11comp_targetILNS1_3genE2ELNS1_11target_archE906ELNS1_3gpuE6ELNS1_3repE0EEENS1_30default_config_static_selectorELNS0_4arch9wavefront6targetE1EEEvT1_ ; -- Begin function _ZN7rocprim17ROCPRIM_400000_NS6detail17trampoline_kernelINS0_14default_configENS1_20scan_config_selectorIiEEZZNS1_9scan_implILNS1_25lookback_scan_determinismE0ELb0ELb0ES3_N6thrust23THRUST_200600_302600_NS10device_ptrIiEESB_iNS9_4plusIvEEiEEDaPvRmT3_T4_T5_mT6_P12ihipStream_tbENKUlT_T0_E_clISt17integral_constantIbLb1EESR_EEDaSM_SN_EUlSM_E_NS1_11comp_targetILNS1_3genE2ELNS1_11target_archE906ELNS1_3gpuE6ELNS1_3repE0EEENS1_30default_config_static_selectorELNS0_4arch9wavefront6targetE1EEEvT1_
	.globl	_ZN7rocprim17ROCPRIM_400000_NS6detail17trampoline_kernelINS0_14default_configENS1_20scan_config_selectorIiEEZZNS1_9scan_implILNS1_25lookback_scan_determinismE0ELb0ELb0ES3_N6thrust23THRUST_200600_302600_NS10device_ptrIiEESB_iNS9_4plusIvEEiEEDaPvRmT3_T4_T5_mT6_P12ihipStream_tbENKUlT_T0_E_clISt17integral_constantIbLb1EESR_EEDaSM_SN_EUlSM_E_NS1_11comp_targetILNS1_3genE2ELNS1_11target_archE906ELNS1_3gpuE6ELNS1_3repE0EEENS1_30default_config_static_selectorELNS0_4arch9wavefront6targetE1EEEvT1_
	.p2align	8
	.type	_ZN7rocprim17ROCPRIM_400000_NS6detail17trampoline_kernelINS0_14default_configENS1_20scan_config_selectorIiEEZZNS1_9scan_implILNS1_25lookback_scan_determinismE0ELb0ELb0ES3_N6thrust23THRUST_200600_302600_NS10device_ptrIiEESB_iNS9_4plusIvEEiEEDaPvRmT3_T4_T5_mT6_P12ihipStream_tbENKUlT_T0_E_clISt17integral_constantIbLb1EESR_EEDaSM_SN_EUlSM_E_NS1_11comp_targetILNS1_3genE2ELNS1_11target_archE906ELNS1_3gpuE6ELNS1_3repE0EEENS1_30default_config_static_selectorELNS0_4arch9wavefront6targetE1EEEvT1_,@function
_ZN7rocprim17ROCPRIM_400000_NS6detail17trampoline_kernelINS0_14default_configENS1_20scan_config_selectorIiEEZZNS1_9scan_implILNS1_25lookback_scan_determinismE0ELb0ELb0ES3_N6thrust23THRUST_200600_302600_NS10device_ptrIiEESB_iNS9_4plusIvEEiEEDaPvRmT3_T4_T5_mT6_P12ihipStream_tbENKUlT_T0_E_clISt17integral_constantIbLb1EESR_EEDaSM_SN_EUlSM_E_NS1_11comp_targetILNS1_3genE2ELNS1_11target_archE906ELNS1_3gpuE6ELNS1_3repE0EEENS1_30default_config_static_selectorELNS0_4arch9wavefront6targetE1EEEvT1_: ; @_ZN7rocprim17ROCPRIM_400000_NS6detail17trampoline_kernelINS0_14default_configENS1_20scan_config_selectorIiEEZZNS1_9scan_implILNS1_25lookback_scan_determinismE0ELb0ELb0ES3_N6thrust23THRUST_200600_302600_NS10device_ptrIiEESB_iNS9_4plusIvEEiEEDaPvRmT3_T4_T5_mT6_P12ihipStream_tbENKUlT_T0_E_clISt17integral_constantIbLb1EESR_EEDaSM_SN_EUlSM_E_NS1_11comp_targetILNS1_3genE2ELNS1_11target_archE906ELNS1_3gpuE6ELNS1_3repE0EEENS1_30default_config_static_selectorELNS0_4arch9wavefront6targetE1EEEvT1_
; %bb.0:
	.section	.rodata,"a",@progbits
	.p2align	6, 0x0
	.amdhsa_kernel _ZN7rocprim17ROCPRIM_400000_NS6detail17trampoline_kernelINS0_14default_configENS1_20scan_config_selectorIiEEZZNS1_9scan_implILNS1_25lookback_scan_determinismE0ELb0ELb0ES3_N6thrust23THRUST_200600_302600_NS10device_ptrIiEESB_iNS9_4plusIvEEiEEDaPvRmT3_T4_T5_mT6_P12ihipStream_tbENKUlT_T0_E_clISt17integral_constantIbLb1EESR_EEDaSM_SN_EUlSM_E_NS1_11comp_targetILNS1_3genE2ELNS1_11target_archE906ELNS1_3gpuE6ELNS1_3repE0EEENS1_30default_config_static_selectorELNS0_4arch9wavefront6targetE1EEEvT1_
		.amdhsa_group_segment_fixed_size 0
		.amdhsa_private_segment_fixed_size 0
		.amdhsa_kernarg_size 96
		.amdhsa_user_sgpr_count 6
		.amdhsa_user_sgpr_private_segment_buffer 1
		.amdhsa_user_sgpr_dispatch_ptr 0
		.amdhsa_user_sgpr_queue_ptr 0
		.amdhsa_user_sgpr_kernarg_segment_ptr 1
		.amdhsa_user_sgpr_dispatch_id 0
		.amdhsa_user_sgpr_flat_scratch_init 0
		.amdhsa_user_sgpr_kernarg_preload_length 0
		.amdhsa_user_sgpr_kernarg_preload_offset 0
		.amdhsa_user_sgpr_private_segment_size 0
		.amdhsa_uses_dynamic_stack 0
		.amdhsa_system_sgpr_private_segment_wavefront_offset 0
		.amdhsa_system_sgpr_workgroup_id_x 1
		.amdhsa_system_sgpr_workgroup_id_y 0
		.amdhsa_system_sgpr_workgroup_id_z 0
		.amdhsa_system_sgpr_workgroup_info 0
		.amdhsa_system_vgpr_workitem_id 0
		.amdhsa_next_free_vgpr 1
		.amdhsa_next_free_sgpr 0
		.amdhsa_accum_offset 4
		.amdhsa_reserve_vcc 0
		.amdhsa_reserve_flat_scratch 0
		.amdhsa_float_round_mode_32 0
		.amdhsa_float_round_mode_16_64 0
		.amdhsa_float_denorm_mode_32 3
		.amdhsa_float_denorm_mode_16_64 3
		.amdhsa_dx10_clamp 1
		.amdhsa_ieee_mode 1
		.amdhsa_fp16_overflow 0
		.amdhsa_tg_split 0
		.amdhsa_exception_fp_ieee_invalid_op 0
		.amdhsa_exception_fp_denorm_src 0
		.amdhsa_exception_fp_ieee_div_zero 0
		.amdhsa_exception_fp_ieee_overflow 0
		.amdhsa_exception_fp_ieee_underflow 0
		.amdhsa_exception_fp_ieee_inexact 0
		.amdhsa_exception_int_div_zero 0
	.end_amdhsa_kernel
	.section	.text._ZN7rocprim17ROCPRIM_400000_NS6detail17trampoline_kernelINS0_14default_configENS1_20scan_config_selectorIiEEZZNS1_9scan_implILNS1_25lookback_scan_determinismE0ELb0ELb0ES3_N6thrust23THRUST_200600_302600_NS10device_ptrIiEESB_iNS9_4plusIvEEiEEDaPvRmT3_T4_T5_mT6_P12ihipStream_tbENKUlT_T0_E_clISt17integral_constantIbLb1EESR_EEDaSM_SN_EUlSM_E_NS1_11comp_targetILNS1_3genE2ELNS1_11target_archE906ELNS1_3gpuE6ELNS1_3repE0EEENS1_30default_config_static_selectorELNS0_4arch9wavefront6targetE1EEEvT1_,"axG",@progbits,_ZN7rocprim17ROCPRIM_400000_NS6detail17trampoline_kernelINS0_14default_configENS1_20scan_config_selectorIiEEZZNS1_9scan_implILNS1_25lookback_scan_determinismE0ELb0ELb0ES3_N6thrust23THRUST_200600_302600_NS10device_ptrIiEESB_iNS9_4plusIvEEiEEDaPvRmT3_T4_T5_mT6_P12ihipStream_tbENKUlT_T0_E_clISt17integral_constantIbLb1EESR_EEDaSM_SN_EUlSM_E_NS1_11comp_targetILNS1_3genE2ELNS1_11target_archE906ELNS1_3gpuE6ELNS1_3repE0EEENS1_30default_config_static_selectorELNS0_4arch9wavefront6targetE1EEEvT1_,comdat
.Lfunc_end6772:
	.size	_ZN7rocprim17ROCPRIM_400000_NS6detail17trampoline_kernelINS0_14default_configENS1_20scan_config_selectorIiEEZZNS1_9scan_implILNS1_25lookback_scan_determinismE0ELb0ELb0ES3_N6thrust23THRUST_200600_302600_NS10device_ptrIiEESB_iNS9_4plusIvEEiEEDaPvRmT3_T4_T5_mT6_P12ihipStream_tbENKUlT_T0_E_clISt17integral_constantIbLb1EESR_EEDaSM_SN_EUlSM_E_NS1_11comp_targetILNS1_3genE2ELNS1_11target_archE906ELNS1_3gpuE6ELNS1_3repE0EEENS1_30default_config_static_selectorELNS0_4arch9wavefront6targetE1EEEvT1_, .Lfunc_end6772-_ZN7rocprim17ROCPRIM_400000_NS6detail17trampoline_kernelINS0_14default_configENS1_20scan_config_selectorIiEEZZNS1_9scan_implILNS1_25lookback_scan_determinismE0ELb0ELb0ES3_N6thrust23THRUST_200600_302600_NS10device_ptrIiEESB_iNS9_4plusIvEEiEEDaPvRmT3_T4_T5_mT6_P12ihipStream_tbENKUlT_T0_E_clISt17integral_constantIbLb1EESR_EEDaSM_SN_EUlSM_E_NS1_11comp_targetILNS1_3genE2ELNS1_11target_archE906ELNS1_3gpuE6ELNS1_3repE0EEENS1_30default_config_static_selectorELNS0_4arch9wavefront6targetE1EEEvT1_
                                        ; -- End function
	.section	.AMDGPU.csdata,"",@progbits
; Kernel info:
; codeLenInByte = 0
; NumSgprs: 4
; NumVgprs: 0
; NumAgprs: 0
; TotalNumVgprs: 0
; ScratchSize: 0
; MemoryBound: 0
; FloatMode: 240
; IeeeMode: 1
; LDSByteSize: 0 bytes/workgroup (compile time only)
; SGPRBlocks: 0
; VGPRBlocks: 0
; NumSGPRsForWavesPerEU: 4
; NumVGPRsForWavesPerEU: 1
; AccumOffset: 4
; Occupancy: 8
; WaveLimiterHint : 0
; COMPUTE_PGM_RSRC2:SCRATCH_EN: 0
; COMPUTE_PGM_RSRC2:USER_SGPR: 6
; COMPUTE_PGM_RSRC2:TRAP_HANDLER: 0
; COMPUTE_PGM_RSRC2:TGID_X_EN: 1
; COMPUTE_PGM_RSRC2:TGID_Y_EN: 0
; COMPUTE_PGM_RSRC2:TGID_Z_EN: 0
; COMPUTE_PGM_RSRC2:TIDIG_COMP_CNT: 0
; COMPUTE_PGM_RSRC3_GFX90A:ACCUM_OFFSET: 0
; COMPUTE_PGM_RSRC3_GFX90A:TG_SPLIT: 0
	.section	.text._ZN7rocprim17ROCPRIM_400000_NS6detail17trampoline_kernelINS0_14default_configENS1_20scan_config_selectorIiEEZZNS1_9scan_implILNS1_25lookback_scan_determinismE0ELb0ELb0ES3_N6thrust23THRUST_200600_302600_NS10device_ptrIiEESB_iNS9_4plusIvEEiEEDaPvRmT3_T4_T5_mT6_P12ihipStream_tbENKUlT_T0_E_clISt17integral_constantIbLb1EESR_EEDaSM_SN_EUlSM_E_NS1_11comp_targetILNS1_3genE10ELNS1_11target_archE1201ELNS1_3gpuE5ELNS1_3repE0EEENS1_30default_config_static_selectorELNS0_4arch9wavefront6targetE1EEEvT1_,"axG",@progbits,_ZN7rocprim17ROCPRIM_400000_NS6detail17trampoline_kernelINS0_14default_configENS1_20scan_config_selectorIiEEZZNS1_9scan_implILNS1_25lookback_scan_determinismE0ELb0ELb0ES3_N6thrust23THRUST_200600_302600_NS10device_ptrIiEESB_iNS9_4plusIvEEiEEDaPvRmT3_T4_T5_mT6_P12ihipStream_tbENKUlT_T0_E_clISt17integral_constantIbLb1EESR_EEDaSM_SN_EUlSM_E_NS1_11comp_targetILNS1_3genE10ELNS1_11target_archE1201ELNS1_3gpuE5ELNS1_3repE0EEENS1_30default_config_static_selectorELNS0_4arch9wavefront6targetE1EEEvT1_,comdat
	.protected	_ZN7rocprim17ROCPRIM_400000_NS6detail17trampoline_kernelINS0_14default_configENS1_20scan_config_selectorIiEEZZNS1_9scan_implILNS1_25lookback_scan_determinismE0ELb0ELb0ES3_N6thrust23THRUST_200600_302600_NS10device_ptrIiEESB_iNS9_4plusIvEEiEEDaPvRmT3_T4_T5_mT6_P12ihipStream_tbENKUlT_T0_E_clISt17integral_constantIbLb1EESR_EEDaSM_SN_EUlSM_E_NS1_11comp_targetILNS1_3genE10ELNS1_11target_archE1201ELNS1_3gpuE5ELNS1_3repE0EEENS1_30default_config_static_selectorELNS0_4arch9wavefront6targetE1EEEvT1_ ; -- Begin function _ZN7rocprim17ROCPRIM_400000_NS6detail17trampoline_kernelINS0_14default_configENS1_20scan_config_selectorIiEEZZNS1_9scan_implILNS1_25lookback_scan_determinismE0ELb0ELb0ES3_N6thrust23THRUST_200600_302600_NS10device_ptrIiEESB_iNS9_4plusIvEEiEEDaPvRmT3_T4_T5_mT6_P12ihipStream_tbENKUlT_T0_E_clISt17integral_constantIbLb1EESR_EEDaSM_SN_EUlSM_E_NS1_11comp_targetILNS1_3genE10ELNS1_11target_archE1201ELNS1_3gpuE5ELNS1_3repE0EEENS1_30default_config_static_selectorELNS0_4arch9wavefront6targetE1EEEvT1_
	.globl	_ZN7rocprim17ROCPRIM_400000_NS6detail17trampoline_kernelINS0_14default_configENS1_20scan_config_selectorIiEEZZNS1_9scan_implILNS1_25lookback_scan_determinismE0ELb0ELb0ES3_N6thrust23THRUST_200600_302600_NS10device_ptrIiEESB_iNS9_4plusIvEEiEEDaPvRmT3_T4_T5_mT6_P12ihipStream_tbENKUlT_T0_E_clISt17integral_constantIbLb1EESR_EEDaSM_SN_EUlSM_E_NS1_11comp_targetILNS1_3genE10ELNS1_11target_archE1201ELNS1_3gpuE5ELNS1_3repE0EEENS1_30default_config_static_selectorELNS0_4arch9wavefront6targetE1EEEvT1_
	.p2align	8
	.type	_ZN7rocprim17ROCPRIM_400000_NS6detail17trampoline_kernelINS0_14default_configENS1_20scan_config_selectorIiEEZZNS1_9scan_implILNS1_25lookback_scan_determinismE0ELb0ELb0ES3_N6thrust23THRUST_200600_302600_NS10device_ptrIiEESB_iNS9_4plusIvEEiEEDaPvRmT3_T4_T5_mT6_P12ihipStream_tbENKUlT_T0_E_clISt17integral_constantIbLb1EESR_EEDaSM_SN_EUlSM_E_NS1_11comp_targetILNS1_3genE10ELNS1_11target_archE1201ELNS1_3gpuE5ELNS1_3repE0EEENS1_30default_config_static_selectorELNS0_4arch9wavefront6targetE1EEEvT1_,@function
_ZN7rocprim17ROCPRIM_400000_NS6detail17trampoline_kernelINS0_14default_configENS1_20scan_config_selectorIiEEZZNS1_9scan_implILNS1_25lookback_scan_determinismE0ELb0ELb0ES3_N6thrust23THRUST_200600_302600_NS10device_ptrIiEESB_iNS9_4plusIvEEiEEDaPvRmT3_T4_T5_mT6_P12ihipStream_tbENKUlT_T0_E_clISt17integral_constantIbLb1EESR_EEDaSM_SN_EUlSM_E_NS1_11comp_targetILNS1_3genE10ELNS1_11target_archE1201ELNS1_3gpuE5ELNS1_3repE0EEENS1_30default_config_static_selectorELNS0_4arch9wavefront6targetE1EEEvT1_: ; @_ZN7rocprim17ROCPRIM_400000_NS6detail17trampoline_kernelINS0_14default_configENS1_20scan_config_selectorIiEEZZNS1_9scan_implILNS1_25lookback_scan_determinismE0ELb0ELb0ES3_N6thrust23THRUST_200600_302600_NS10device_ptrIiEESB_iNS9_4plusIvEEiEEDaPvRmT3_T4_T5_mT6_P12ihipStream_tbENKUlT_T0_E_clISt17integral_constantIbLb1EESR_EEDaSM_SN_EUlSM_E_NS1_11comp_targetILNS1_3genE10ELNS1_11target_archE1201ELNS1_3gpuE5ELNS1_3repE0EEENS1_30default_config_static_selectorELNS0_4arch9wavefront6targetE1EEEvT1_
; %bb.0:
	.section	.rodata,"a",@progbits
	.p2align	6, 0x0
	.amdhsa_kernel _ZN7rocprim17ROCPRIM_400000_NS6detail17trampoline_kernelINS0_14default_configENS1_20scan_config_selectorIiEEZZNS1_9scan_implILNS1_25lookback_scan_determinismE0ELb0ELb0ES3_N6thrust23THRUST_200600_302600_NS10device_ptrIiEESB_iNS9_4plusIvEEiEEDaPvRmT3_T4_T5_mT6_P12ihipStream_tbENKUlT_T0_E_clISt17integral_constantIbLb1EESR_EEDaSM_SN_EUlSM_E_NS1_11comp_targetILNS1_3genE10ELNS1_11target_archE1201ELNS1_3gpuE5ELNS1_3repE0EEENS1_30default_config_static_selectorELNS0_4arch9wavefront6targetE1EEEvT1_
		.amdhsa_group_segment_fixed_size 0
		.amdhsa_private_segment_fixed_size 0
		.amdhsa_kernarg_size 96
		.amdhsa_user_sgpr_count 6
		.amdhsa_user_sgpr_private_segment_buffer 1
		.amdhsa_user_sgpr_dispatch_ptr 0
		.amdhsa_user_sgpr_queue_ptr 0
		.amdhsa_user_sgpr_kernarg_segment_ptr 1
		.amdhsa_user_sgpr_dispatch_id 0
		.amdhsa_user_sgpr_flat_scratch_init 0
		.amdhsa_user_sgpr_kernarg_preload_length 0
		.amdhsa_user_sgpr_kernarg_preload_offset 0
		.amdhsa_user_sgpr_private_segment_size 0
		.amdhsa_uses_dynamic_stack 0
		.amdhsa_system_sgpr_private_segment_wavefront_offset 0
		.amdhsa_system_sgpr_workgroup_id_x 1
		.amdhsa_system_sgpr_workgroup_id_y 0
		.amdhsa_system_sgpr_workgroup_id_z 0
		.amdhsa_system_sgpr_workgroup_info 0
		.amdhsa_system_vgpr_workitem_id 0
		.amdhsa_next_free_vgpr 1
		.amdhsa_next_free_sgpr 0
		.amdhsa_accum_offset 4
		.amdhsa_reserve_vcc 0
		.amdhsa_reserve_flat_scratch 0
		.amdhsa_float_round_mode_32 0
		.amdhsa_float_round_mode_16_64 0
		.amdhsa_float_denorm_mode_32 3
		.amdhsa_float_denorm_mode_16_64 3
		.amdhsa_dx10_clamp 1
		.amdhsa_ieee_mode 1
		.amdhsa_fp16_overflow 0
		.amdhsa_tg_split 0
		.amdhsa_exception_fp_ieee_invalid_op 0
		.amdhsa_exception_fp_denorm_src 0
		.amdhsa_exception_fp_ieee_div_zero 0
		.amdhsa_exception_fp_ieee_overflow 0
		.amdhsa_exception_fp_ieee_underflow 0
		.amdhsa_exception_fp_ieee_inexact 0
		.amdhsa_exception_int_div_zero 0
	.end_amdhsa_kernel
	.section	.text._ZN7rocprim17ROCPRIM_400000_NS6detail17trampoline_kernelINS0_14default_configENS1_20scan_config_selectorIiEEZZNS1_9scan_implILNS1_25lookback_scan_determinismE0ELb0ELb0ES3_N6thrust23THRUST_200600_302600_NS10device_ptrIiEESB_iNS9_4plusIvEEiEEDaPvRmT3_T4_T5_mT6_P12ihipStream_tbENKUlT_T0_E_clISt17integral_constantIbLb1EESR_EEDaSM_SN_EUlSM_E_NS1_11comp_targetILNS1_3genE10ELNS1_11target_archE1201ELNS1_3gpuE5ELNS1_3repE0EEENS1_30default_config_static_selectorELNS0_4arch9wavefront6targetE1EEEvT1_,"axG",@progbits,_ZN7rocprim17ROCPRIM_400000_NS6detail17trampoline_kernelINS0_14default_configENS1_20scan_config_selectorIiEEZZNS1_9scan_implILNS1_25lookback_scan_determinismE0ELb0ELb0ES3_N6thrust23THRUST_200600_302600_NS10device_ptrIiEESB_iNS9_4plusIvEEiEEDaPvRmT3_T4_T5_mT6_P12ihipStream_tbENKUlT_T0_E_clISt17integral_constantIbLb1EESR_EEDaSM_SN_EUlSM_E_NS1_11comp_targetILNS1_3genE10ELNS1_11target_archE1201ELNS1_3gpuE5ELNS1_3repE0EEENS1_30default_config_static_selectorELNS0_4arch9wavefront6targetE1EEEvT1_,comdat
.Lfunc_end6773:
	.size	_ZN7rocprim17ROCPRIM_400000_NS6detail17trampoline_kernelINS0_14default_configENS1_20scan_config_selectorIiEEZZNS1_9scan_implILNS1_25lookback_scan_determinismE0ELb0ELb0ES3_N6thrust23THRUST_200600_302600_NS10device_ptrIiEESB_iNS9_4plusIvEEiEEDaPvRmT3_T4_T5_mT6_P12ihipStream_tbENKUlT_T0_E_clISt17integral_constantIbLb1EESR_EEDaSM_SN_EUlSM_E_NS1_11comp_targetILNS1_3genE10ELNS1_11target_archE1201ELNS1_3gpuE5ELNS1_3repE0EEENS1_30default_config_static_selectorELNS0_4arch9wavefront6targetE1EEEvT1_, .Lfunc_end6773-_ZN7rocprim17ROCPRIM_400000_NS6detail17trampoline_kernelINS0_14default_configENS1_20scan_config_selectorIiEEZZNS1_9scan_implILNS1_25lookback_scan_determinismE0ELb0ELb0ES3_N6thrust23THRUST_200600_302600_NS10device_ptrIiEESB_iNS9_4plusIvEEiEEDaPvRmT3_T4_T5_mT6_P12ihipStream_tbENKUlT_T0_E_clISt17integral_constantIbLb1EESR_EEDaSM_SN_EUlSM_E_NS1_11comp_targetILNS1_3genE10ELNS1_11target_archE1201ELNS1_3gpuE5ELNS1_3repE0EEENS1_30default_config_static_selectorELNS0_4arch9wavefront6targetE1EEEvT1_
                                        ; -- End function
	.section	.AMDGPU.csdata,"",@progbits
; Kernel info:
; codeLenInByte = 0
; NumSgprs: 4
; NumVgprs: 0
; NumAgprs: 0
; TotalNumVgprs: 0
; ScratchSize: 0
; MemoryBound: 0
; FloatMode: 240
; IeeeMode: 1
; LDSByteSize: 0 bytes/workgroup (compile time only)
; SGPRBlocks: 0
; VGPRBlocks: 0
; NumSGPRsForWavesPerEU: 4
; NumVGPRsForWavesPerEU: 1
; AccumOffset: 4
; Occupancy: 8
; WaveLimiterHint : 0
; COMPUTE_PGM_RSRC2:SCRATCH_EN: 0
; COMPUTE_PGM_RSRC2:USER_SGPR: 6
; COMPUTE_PGM_RSRC2:TRAP_HANDLER: 0
; COMPUTE_PGM_RSRC2:TGID_X_EN: 1
; COMPUTE_PGM_RSRC2:TGID_Y_EN: 0
; COMPUTE_PGM_RSRC2:TGID_Z_EN: 0
; COMPUTE_PGM_RSRC2:TIDIG_COMP_CNT: 0
; COMPUTE_PGM_RSRC3_GFX90A:ACCUM_OFFSET: 0
; COMPUTE_PGM_RSRC3_GFX90A:TG_SPLIT: 0
	.section	.text._ZN7rocprim17ROCPRIM_400000_NS6detail17trampoline_kernelINS0_14default_configENS1_20scan_config_selectorIiEEZZNS1_9scan_implILNS1_25lookback_scan_determinismE0ELb0ELb0ES3_N6thrust23THRUST_200600_302600_NS10device_ptrIiEESB_iNS9_4plusIvEEiEEDaPvRmT3_T4_T5_mT6_P12ihipStream_tbENKUlT_T0_E_clISt17integral_constantIbLb1EESR_EEDaSM_SN_EUlSM_E_NS1_11comp_targetILNS1_3genE10ELNS1_11target_archE1200ELNS1_3gpuE4ELNS1_3repE0EEENS1_30default_config_static_selectorELNS0_4arch9wavefront6targetE1EEEvT1_,"axG",@progbits,_ZN7rocprim17ROCPRIM_400000_NS6detail17trampoline_kernelINS0_14default_configENS1_20scan_config_selectorIiEEZZNS1_9scan_implILNS1_25lookback_scan_determinismE0ELb0ELb0ES3_N6thrust23THRUST_200600_302600_NS10device_ptrIiEESB_iNS9_4plusIvEEiEEDaPvRmT3_T4_T5_mT6_P12ihipStream_tbENKUlT_T0_E_clISt17integral_constantIbLb1EESR_EEDaSM_SN_EUlSM_E_NS1_11comp_targetILNS1_3genE10ELNS1_11target_archE1200ELNS1_3gpuE4ELNS1_3repE0EEENS1_30default_config_static_selectorELNS0_4arch9wavefront6targetE1EEEvT1_,comdat
	.protected	_ZN7rocprim17ROCPRIM_400000_NS6detail17trampoline_kernelINS0_14default_configENS1_20scan_config_selectorIiEEZZNS1_9scan_implILNS1_25lookback_scan_determinismE0ELb0ELb0ES3_N6thrust23THRUST_200600_302600_NS10device_ptrIiEESB_iNS9_4plusIvEEiEEDaPvRmT3_T4_T5_mT6_P12ihipStream_tbENKUlT_T0_E_clISt17integral_constantIbLb1EESR_EEDaSM_SN_EUlSM_E_NS1_11comp_targetILNS1_3genE10ELNS1_11target_archE1200ELNS1_3gpuE4ELNS1_3repE0EEENS1_30default_config_static_selectorELNS0_4arch9wavefront6targetE1EEEvT1_ ; -- Begin function _ZN7rocprim17ROCPRIM_400000_NS6detail17trampoline_kernelINS0_14default_configENS1_20scan_config_selectorIiEEZZNS1_9scan_implILNS1_25lookback_scan_determinismE0ELb0ELb0ES3_N6thrust23THRUST_200600_302600_NS10device_ptrIiEESB_iNS9_4plusIvEEiEEDaPvRmT3_T4_T5_mT6_P12ihipStream_tbENKUlT_T0_E_clISt17integral_constantIbLb1EESR_EEDaSM_SN_EUlSM_E_NS1_11comp_targetILNS1_3genE10ELNS1_11target_archE1200ELNS1_3gpuE4ELNS1_3repE0EEENS1_30default_config_static_selectorELNS0_4arch9wavefront6targetE1EEEvT1_
	.globl	_ZN7rocprim17ROCPRIM_400000_NS6detail17trampoline_kernelINS0_14default_configENS1_20scan_config_selectorIiEEZZNS1_9scan_implILNS1_25lookback_scan_determinismE0ELb0ELb0ES3_N6thrust23THRUST_200600_302600_NS10device_ptrIiEESB_iNS9_4plusIvEEiEEDaPvRmT3_T4_T5_mT6_P12ihipStream_tbENKUlT_T0_E_clISt17integral_constantIbLb1EESR_EEDaSM_SN_EUlSM_E_NS1_11comp_targetILNS1_3genE10ELNS1_11target_archE1200ELNS1_3gpuE4ELNS1_3repE0EEENS1_30default_config_static_selectorELNS0_4arch9wavefront6targetE1EEEvT1_
	.p2align	8
	.type	_ZN7rocprim17ROCPRIM_400000_NS6detail17trampoline_kernelINS0_14default_configENS1_20scan_config_selectorIiEEZZNS1_9scan_implILNS1_25lookback_scan_determinismE0ELb0ELb0ES3_N6thrust23THRUST_200600_302600_NS10device_ptrIiEESB_iNS9_4plusIvEEiEEDaPvRmT3_T4_T5_mT6_P12ihipStream_tbENKUlT_T0_E_clISt17integral_constantIbLb1EESR_EEDaSM_SN_EUlSM_E_NS1_11comp_targetILNS1_3genE10ELNS1_11target_archE1200ELNS1_3gpuE4ELNS1_3repE0EEENS1_30default_config_static_selectorELNS0_4arch9wavefront6targetE1EEEvT1_,@function
_ZN7rocprim17ROCPRIM_400000_NS6detail17trampoline_kernelINS0_14default_configENS1_20scan_config_selectorIiEEZZNS1_9scan_implILNS1_25lookback_scan_determinismE0ELb0ELb0ES3_N6thrust23THRUST_200600_302600_NS10device_ptrIiEESB_iNS9_4plusIvEEiEEDaPvRmT3_T4_T5_mT6_P12ihipStream_tbENKUlT_T0_E_clISt17integral_constantIbLb1EESR_EEDaSM_SN_EUlSM_E_NS1_11comp_targetILNS1_3genE10ELNS1_11target_archE1200ELNS1_3gpuE4ELNS1_3repE0EEENS1_30default_config_static_selectorELNS0_4arch9wavefront6targetE1EEEvT1_: ; @_ZN7rocprim17ROCPRIM_400000_NS6detail17trampoline_kernelINS0_14default_configENS1_20scan_config_selectorIiEEZZNS1_9scan_implILNS1_25lookback_scan_determinismE0ELb0ELb0ES3_N6thrust23THRUST_200600_302600_NS10device_ptrIiEESB_iNS9_4plusIvEEiEEDaPvRmT3_T4_T5_mT6_P12ihipStream_tbENKUlT_T0_E_clISt17integral_constantIbLb1EESR_EEDaSM_SN_EUlSM_E_NS1_11comp_targetILNS1_3genE10ELNS1_11target_archE1200ELNS1_3gpuE4ELNS1_3repE0EEENS1_30default_config_static_selectorELNS0_4arch9wavefront6targetE1EEEvT1_
; %bb.0:
	.section	.rodata,"a",@progbits
	.p2align	6, 0x0
	.amdhsa_kernel _ZN7rocprim17ROCPRIM_400000_NS6detail17trampoline_kernelINS0_14default_configENS1_20scan_config_selectorIiEEZZNS1_9scan_implILNS1_25lookback_scan_determinismE0ELb0ELb0ES3_N6thrust23THRUST_200600_302600_NS10device_ptrIiEESB_iNS9_4plusIvEEiEEDaPvRmT3_T4_T5_mT6_P12ihipStream_tbENKUlT_T0_E_clISt17integral_constantIbLb1EESR_EEDaSM_SN_EUlSM_E_NS1_11comp_targetILNS1_3genE10ELNS1_11target_archE1200ELNS1_3gpuE4ELNS1_3repE0EEENS1_30default_config_static_selectorELNS0_4arch9wavefront6targetE1EEEvT1_
		.amdhsa_group_segment_fixed_size 0
		.amdhsa_private_segment_fixed_size 0
		.amdhsa_kernarg_size 96
		.amdhsa_user_sgpr_count 6
		.amdhsa_user_sgpr_private_segment_buffer 1
		.amdhsa_user_sgpr_dispatch_ptr 0
		.amdhsa_user_sgpr_queue_ptr 0
		.amdhsa_user_sgpr_kernarg_segment_ptr 1
		.amdhsa_user_sgpr_dispatch_id 0
		.amdhsa_user_sgpr_flat_scratch_init 0
		.amdhsa_user_sgpr_kernarg_preload_length 0
		.amdhsa_user_sgpr_kernarg_preload_offset 0
		.amdhsa_user_sgpr_private_segment_size 0
		.amdhsa_uses_dynamic_stack 0
		.amdhsa_system_sgpr_private_segment_wavefront_offset 0
		.amdhsa_system_sgpr_workgroup_id_x 1
		.amdhsa_system_sgpr_workgroup_id_y 0
		.amdhsa_system_sgpr_workgroup_id_z 0
		.amdhsa_system_sgpr_workgroup_info 0
		.amdhsa_system_vgpr_workitem_id 0
		.amdhsa_next_free_vgpr 1
		.amdhsa_next_free_sgpr 0
		.amdhsa_accum_offset 4
		.amdhsa_reserve_vcc 0
		.amdhsa_reserve_flat_scratch 0
		.amdhsa_float_round_mode_32 0
		.amdhsa_float_round_mode_16_64 0
		.amdhsa_float_denorm_mode_32 3
		.amdhsa_float_denorm_mode_16_64 3
		.amdhsa_dx10_clamp 1
		.amdhsa_ieee_mode 1
		.amdhsa_fp16_overflow 0
		.amdhsa_tg_split 0
		.amdhsa_exception_fp_ieee_invalid_op 0
		.amdhsa_exception_fp_denorm_src 0
		.amdhsa_exception_fp_ieee_div_zero 0
		.amdhsa_exception_fp_ieee_overflow 0
		.amdhsa_exception_fp_ieee_underflow 0
		.amdhsa_exception_fp_ieee_inexact 0
		.amdhsa_exception_int_div_zero 0
	.end_amdhsa_kernel
	.section	.text._ZN7rocprim17ROCPRIM_400000_NS6detail17trampoline_kernelINS0_14default_configENS1_20scan_config_selectorIiEEZZNS1_9scan_implILNS1_25lookback_scan_determinismE0ELb0ELb0ES3_N6thrust23THRUST_200600_302600_NS10device_ptrIiEESB_iNS9_4plusIvEEiEEDaPvRmT3_T4_T5_mT6_P12ihipStream_tbENKUlT_T0_E_clISt17integral_constantIbLb1EESR_EEDaSM_SN_EUlSM_E_NS1_11comp_targetILNS1_3genE10ELNS1_11target_archE1200ELNS1_3gpuE4ELNS1_3repE0EEENS1_30default_config_static_selectorELNS0_4arch9wavefront6targetE1EEEvT1_,"axG",@progbits,_ZN7rocprim17ROCPRIM_400000_NS6detail17trampoline_kernelINS0_14default_configENS1_20scan_config_selectorIiEEZZNS1_9scan_implILNS1_25lookback_scan_determinismE0ELb0ELb0ES3_N6thrust23THRUST_200600_302600_NS10device_ptrIiEESB_iNS9_4plusIvEEiEEDaPvRmT3_T4_T5_mT6_P12ihipStream_tbENKUlT_T0_E_clISt17integral_constantIbLb1EESR_EEDaSM_SN_EUlSM_E_NS1_11comp_targetILNS1_3genE10ELNS1_11target_archE1200ELNS1_3gpuE4ELNS1_3repE0EEENS1_30default_config_static_selectorELNS0_4arch9wavefront6targetE1EEEvT1_,comdat
.Lfunc_end6774:
	.size	_ZN7rocprim17ROCPRIM_400000_NS6detail17trampoline_kernelINS0_14default_configENS1_20scan_config_selectorIiEEZZNS1_9scan_implILNS1_25lookback_scan_determinismE0ELb0ELb0ES3_N6thrust23THRUST_200600_302600_NS10device_ptrIiEESB_iNS9_4plusIvEEiEEDaPvRmT3_T4_T5_mT6_P12ihipStream_tbENKUlT_T0_E_clISt17integral_constantIbLb1EESR_EEDaSM_SN_EUlSM_E_NS1_11comp_targetILNS1_3genE10ELNS1_11target_archE1200ELNS1_3gpuE4ELNS1_3repE0EEENS1_30default_config_static_selectorELNS0_4arch9wavefront6targetE1EEEvT1_, .Lfunc_end6774-_ZN7rocprim17ROCPRIM_400000_NS6detail17trampoline_kernelINS0_14default_configENS1_20scan_config_selectorIiEEZZNS1_9scan_implILNS1_25lookback_scan_determinismE0ELb0ELb0ES3_N6thrust23THRUST_200600_302600_NS10device_ptrIiEESB_iNS9_4plusIvEEiEEDaPvRmT3_T4_T5_mT6_P12ihipStream_tbENKUlT_T0_E_clISt17integral_constantIbLb1EESR_EEDaSM_SN_EUlSM_E_NS1_11comp_targetILNS1_3genE10ELNS1_11target_archE1200ELNS1_3gpuE4ELNS1_3repE0EEENS1_30default_config_static_selectorELNS0_4arch9wavefront6targetE1EEEvT1_
                                        ; -- End function
	.section	.AMDGPU.csdata,"",@progbits
; Kernel info:
; codeLenInByte = 0
; NumSgprs: 4
; NumVgprs: 0
; NumAgprs: 0
; TotalNumVgprs: 0
; ScratchSize: 0
; MemoryBound: 0
; FloatMode: 240
; IeeeMode: 1
; LDSByteSize: 0 bytes/workgroup (compile time only)
; SGPRBlocks: 0
; VGPRBlocks: 0
; NumSGPRsForWavesPerEU: 4
; NumVGPRsForWavesPerEU: 1
; AccumOffset: 4
; Occupancy: 8
; WaveLimiterHint : 0
; COMPUTE_PGM_RSRC2:SCRATCH_EN: 0
; COMPUTE_PGM_RSRC2:USER_SGPR: 6
; COMPUTE_PGM_RSRC2:TRAP_HANDLER: 0
; COMPUTE_PGM_RSRC2:TGID_X_EN: 1
; COMPUTE_PGM_RSRC2:TGID_Y_EN: 0
; COMPUTE_PGM_RSRC2:TGID_Z_EN: 0
; COMPUTE_PGM_RSRC2:TIDIG_COMP_CNT: 0
; COMPUTE_PGM_RSRC3_GFX90A:ACCUM_OFFSET: 0
; COMPUTE_PGM_RSRC3_GFX90A:TG_SPLIT: 0
	.section	.text._ZN7rocprim17ROCPRIM_400000_NS6detail17trampoline_kernelINS0_14default_configENS1_20scan_config_selectorIiEEZZNS1_9scan_implILNS1_25lookback_scan_determinismE0ELb0ELb0ES3_N6thrust23THRUST_200600_302600_NS10device_ptrIiEESB_iNS9_4plusIvEEiEEDaPvRmT3_T4_T5_mT6_P12ihipStream_tbENKUlT_T0_E_clISt17integral_constantIbLb1EESR_EEDaSM_SN_EUlSM_E_NS1_11comp_targetILNS1_3genE9ELNS1_11target_archE1100ELNS1_3gpuE3ELNS1_3repE0EEENS1_30default_config_static_selectorELNS0_4arch9wavefront6targetE1EEEvT1_,"axG",@progbits,_ZN7rocprim17ROCPRIM_400000_NS6detail17trampoline_kernelINS0_14default_configENS1_20scan_config_selectorIiEEZZNS1_9scan_implILNS1_25lookback_scan_determinismE0ELb0ELb0ES3_N6thrust23THRUST_200600_302600_NS10device_ptrIiEESB_iNS9_4plusIvEEiEEDaPvRmT3_T4_T5_mT6_P12ihipStream_tbENKUlT_T0_E_clISt17integral_constantIbLb1EESR_EEDaSM_SN_EUlSM_E_NS1_11comp_targetILNS1_3genE9ELNS1_11target_archE1100ELNS1_3gpuE3ELNS1_3repE0EEENS1_30default_config_static_selectorELNS0_4arch9wavefront6targetE1EEEvT1_,comdat
	.protected	_ZN7rocprim17ROCPRIM_400000_NS6detail17trampoline_kernelINS0_14default_configENS1_20scan_config_selectorIiEEZZNS1_9scan_implILNS1_25lookback_scan_determinismE0ELb0ELb0ES3_N6thrust23THRUST_200600_302600_NS10device_ptrIiEESB_iNS9_4plusIvEEiEEDaPvRmT3_T4_T5_mT6_P12ihipStream_tbENKUlT_T0_E_clISt17integral_constantIbLb1EESR_EEDaSM_SN_EUlSM_E_NS1_11comp_targetILNS1_3genE9ELNS1_11target_archE1100ELNS1_3gpuE3ELNS1_3repE0EEENS1_30default_config_static_selectorELNS0_4arch9wavefront6targetE1EEEvT1_ ; -- Begin function _ZN7rocprim17ROCPRIM_400000_NS6detail17trampoline_kernelINS0_14default_configENS1_20scan_config_selectorIiEEZZNS1_9scan_implILNS1_25lookback_scan_determinismE0ELb0ELb0ES3_N6thrust23THRUST_200600_302600_NS10device_ptrIiEESB_iNS9_4plusIvEEiEEDaPvRmT3_T4_T5_mT6_P12ihipStream_tbENKUlT_T0_E_clISt17integral_constantIbLb1EESR_EEDaSM_SN_EUlSM_E_NS1_11comp_targetILNS1_3genE9ELNS1_11target_archE1100ELNS1_3gpuE3ELNS1_3repE0EEENS1_30default_config_static_selectorELNS0_4arch9wavefront6targetE1EEEvT1_
	.globl	_ZN7rocprim17ROCPRIM_400000_NS6detail17trampoline_kernelINS0_14default_configENS1_20scan_config_selectorIiEEZZNS1_9scan_implILNS1_25lookback_scan_determinismE0ELb0ELb0ES3_N6thrust23THRUST_200600_302600_NS10device_ptrIiEESB_iNS9_4plusIvEEiEEDaPvRmT3_T4_T5_mT6_P12ihipStream_tbENKUlT_T0_E_clISt17integral_constantIbLb1EESR_EEDaSM_SN_EUlSM_E_NS1_11comp_targetILNS1_3genE9ELNS1_11target_archE1100ELNS1_3gpuE3ELNS1_3repE0EEENS1_30default_config_static_selectorELNS0_4arch9wavefront6targetE1EEEvT1_
	.p2align	8
	.type	_ZN7rocprim17ROCPRIM_400000_NS6detail17trampoline_kernelINS0_14default_configENS1_20scan_config_selectorIiEEZZNS1_9scan_implILNS1_25lookback_scan_determinismE0ELb0ELb0ES3_N6thrust23THRUST_200600_302600_NS10device_ptrIiEESB_iNS9_4plusIvEEiEEDaPvRmT3_T4_T5_mT6_P12ihipStream_tbENKUlT_T0_E_clISt17integral_constantIbLb1EESR_EEDaSM_SN_EUlSM_E_NS1_11comp_targetILNS1_3genE9ELNS1_11target_archE1100ELNS1_3gpuE3ELNS1_3repE0EEENS1_30default_config_static_selectorELNS0_4arch9wavefront6targetE1EEEvT1_,@function
_ZN7rocprim17ROCPRIM_400000_NS6detail17trampoline_kernelINS0_14default_configENS1_20scan_config_selectorIiEEZZNS1_9scan_implILNS1_25lookback_scan_determinismE0ELb0ELb0ES3_N6thrust23THRUST_200600_302600_NS10device_ptrIiEESB_iNS9_4plusIvEEiEEDaPvRmT3_T4_T5_mT6_P12ihipStream_tbENKUlT_T0_E_clISt17integral_constantIbLb1EESR_EEDaSM_SN_EUlSM_E_NS1_11comp_targetILNS1_3genE9ELNS1_11target_archE1100ELNS1_3gpuE3ELNS1_3repE0EEENS1_30default_config_static_selectorELNS0_4arch9wavefront6targetE1EEEvT1_: ; @_ZN7rocprim17ROCPRIM_400000_NS6detail17trampoline_kernelINS0_14default_configENS1_20scan_config_selectorIiEEZZNS1_9scan_implILNS1_25lookback_scan_determinismE0ELb0ELb0ES3_N6thrust23THRUST_200600_302600_NS10device_ptrIiEESB_iNS9_4plusIvEEiEEDaPvRmT3_T4_T5_mT6_P12ihipStream_tbENKUlT_T0_E_clISt17integral_constantIbLb1EESR_EEDaSM_SN_EUlSM_E_NS1_11comp_targetILNS1_3genE9ELNS1_11target_archE1100ELNS1_3gpuE3ELNS1_3repE0EEENS1_30default_config_static_selectorELNS0_4arch9wavefront6targetE1EEEvT1_
; %bb.0:
	.section	.rodata,"a",@progbits
	.p2align	6, 0x0
	.amdhsa_kernel _ZN7rocprim17ROCPRIM_400000_NS6detail17trampoline_kernelINS0_14default_configENS1_20scan_config_selectorIiEEZZNS1_9scan_implILNS1_25lookback_scan_determinismE0ELb0ELb0ES3_N6thrust23THRUST_200600_302600_NS10device_ptrIiEESB_iNS9_4plusIvEEiEEDaPvRmT3_T4_T5_mT6_P12ihipStream_tbENKUlT_T0_E_clISt17integral_constantIbLb1EESR_EEDaSM_SN_EUlSM_E_NS1_11comp_targetILNS1_3genE9ELNS1_11target_archE1100ELNS1_3gpuE3ELNS1_3repE0EEENS1_30default_config_static_selectorELNS0_4arch9wavefront6targetE1EEEvT1_
		.amdhsa_group_segment_fixed_size 0
		.amdhsa_private_segment_fixed_size 0
		.amdhsa_kernarg_size 96
		.amdhsa_user_sgpr_count 6
		.amdhsa_user_sgpr_private_segment_buffer 1
		.amdhsa_user_sgpr_dispatch_ptr 0
		.amdhsa_user_sgpr_queue_ptr 0
		.amdhsa_user_sgpr_kernarg_segment_ptr 1
		.amdhsa_user_sgpr_dispatch_id 0
		.amdhsa_user_sgpr_flat_scratch_init 0
		.amdhsa_user_sgpr_kernarg_preload_length 0
		.amdhsa_user_sgpr_kernarg_preload_offset 0
		.amdhsa_user_sgpr_private_segment_size 0
		.amdhsa_uses_dynamic_stack 0
		.amdhsa_system_sgpr_private_segment_wavefront_offset 0
		.amdhsa_system_sgpr_workgroup_id_x 1
		.amdhsa_system_sgpr_workgroup_id_y 0
		.amdhsa_system_sgpr_workgroup_id_z 0
		.amdhsa_system_sgpr_workgroup_info 0
		.amdhsa_system_vgpr_workitem_id 0
		.amdhsa_next_free_vgpr 1
		.amdhsa_next_free_sgpr 0
		.amdhsa_accum_offset 4
		.amdhsa_reserve_vcc 0
		.amdhsa_reserve_flat_scratch 0
		.amdhsa_float_round_mode_32 0
		.amdhsa_float_round_mode_16_64 0
		.amdhsa_float_denorm_mode_32 3
		.amdhsa_float_denorm_mode_16_64 3
		.amdhsa_dx10_clamp 1
		.amdhsa_ieee_mode 1
		.amdhsa_fp16_overflow 0
		.amdhsa_tg_split 0
		.amdhsa_exception_fp_ieee_invalid_op 0
		.amdhsa_exception_fp_denorm_src 0
		.amdhsa_exception_fp_ieee_div_zero 0
		.amdhsa_exception_fp_ieee_overflow 0
		.amdhsa_exception_fp_ieee_underflow 0
		.amdhsa_exception_fp_ieee_inexact 0
		.amdhsa_exception_int_div_zero 0
	.end_amdhsa_kernel
	.section	.text._ZN7rocprim17ROCPRIM_400000_NS6detail17trampoline_kernelINS0_14default_configENS1_20scan_config_selectorIiEEZZNS1_9scan_implILNS1_25lookback_scan_determinismE0ELb0ELb0ES3_N6thrust23THRUST_200600_302600_NS10device_ptrIiEESB_iNS9_4plusIvEEiEEDaPvRmT3_T4_T5_mT6_P12ihipStream_tbENKUlT_T0_E_clISt17integral_constantIbLb1EESR_EEDaSM_SN_EUlSM_E_NS1_11comp_targetILNS1_3genE9ELNS1_11target_archE1100ELNS1_3gpuE3ELNS1_3repE0EEENS1_30default_config_static_selectorELNS0_4arch9wavefront6targetE1EEEvT1_,"axG",@progbits,_ZN7rocprim17ROCPRIM_400000_NS6detail17trampoline_kernelINS0_14default_configENS1_20scan_config_selectorIiEEZZNS1_9scan_implILNS1_25lookback_scan_determinismE0ELb0ELb0ES3_N6thrust23THRUST_200600_302600_NS10device_ptrIiEESB_iNS9_4plusIvEEiEEDaPvRmT3_T4_T5_mT6_P12ihipStream_tbENKUlT_T0_E_clISt17integral_constantIbLb1EESR_EEDaSM_SN_EUlSM_E_NS1_11comp_targetILNS1_3genE9ELNS1_11target_archE1100ELNS1_3gpuE3ELNS1_3repE0EEENS1_30default_config_static_selectorELNS0_4arch9wavefront6targetE1EEEvT1_,comdat
.Lfunc_end6775:
	.size	_ZN7rocprim17ROCPRIM_400000_NS6detail17trampoline_kernelINS0_14default_configENS1_20scan_config_selectorIiEEZZNS1_9scan_implILNS1_25lookback_scan_determinismE0ELb0ELb0ES3_N6thrust23THRUST_200600_302600_NS10device_ptrIiEESB_iNS9_4plusIvEEiEEDaPvRmT3_T4_T5_mT6_P12ihipStream_tbENKUlT_T0_E_clISt17integral_constantIbLb1EESR_EEDaSM_SN_EUlSM_E_NS1_11comp_targetILNS1_3genE9ELNS1_11target_archE1100ELNS1_3gpuE3ELNS1_3repE0EEENS1_30default_config_static_selectorELNS0_4arch9wavefront6targetE1EEEvT1_, .Lfunc_end6775-_ZN7rocprim17ROCPRIM_400000_NS6detail17trampoline_kernelINS0_14default_configENS1_20scan_config_selectorIiEEZZNS1_9scan_implILNS1_25lookback_scan_determinismE0ELb0ELb0ES3_N6thrust23THRUST_200600_302600_NS10device_ptrIiEESB_iNS9_4plusIvEEiEEDaPvRmT3_T4_T5_mT6_P12ihipStream_tbENKUlT_T0_E_clISt17integral_constantIbLb1EESR_EEDaSM_SN_EUlSM_E_NS1_11comp_targetILNS1_3genE9ELNS1_11target_archE1100ELNS1_3gpuE3ELNS1_3repE0EEENS1_30default_config_static_selectorELNS0_4arch9wavefront6targetE1EEEvT1_
                                        ; -- End function
	.section	.AMDGPU.csdata,"",@progbits
; Kernel info:
; codeLenInByte = 0
; NumSgprs: 4
; NumVgprs: 0
; NumAgprs: 0
; TotalNumVgprs: 0
; ScratchSize: 0
; MemoryBound: 0
; FloatMode: 240
; IeeeMode: 1
; LDSByteSize: 0 bytes/workgroup (compile time only)
; SGPRBlocks: 0
; VGPRBlocks: 0
; NumSGPRsForWavesPerEU: 4
; NumVGPRsForWavesPerEU: 1
; AccumOffset: 4
; Occupancy: 8
; WaveLimiterHint : 0
; COMPUTE_PGM_RSRC2:SCRATCH_EN: 0
; COMPUTE_PGM_RSRC2:USER_SGPR: 6
; COMPUTE_PGM_RSRC2:TRAP_HANDLER: 0
; COMPUTE_PGM_RSRC2:TGID_X_EN: 1
; COMPUTE_PGM_RSRC2:TGID_Y_EN: 0
; COMPUTE_PGM_RSRC2:TGID_Z_EN: 0
; COMPUTE_PGM_RSRC2:TIDIG_COMP_CNT: 0
; COMPUTE_PGM_RSRC3_GFX90A:ACCUM_OFFSET: 0
; COMPUTE_PGM_RSRC3_GFX90A:TG_SPLIT: 0
	.section	.text._ZN7rocprim17ROCPRIM_400000_NS6detail17trampoline_kernelINS0_14default_configENS1_20scan_config_selectorIiEEZZNS1_9scan_implILNS1_25lookback_scan_determinismE0ELb0ELb0ES3_N6thrust23THRUST_200600_302600_NS10device_ptrIiEESB_iNS9_4plusIvEEiEEDaPvRmT3_T4_T5_mT6_P12ihipStream_tbENKUlT_T0_E_clISt17integral_constantIbLb1EESR_EEDaSM_SN_EUlSM_E_NS1_11comp_targetILNS1_3genE8ELNS1_11target_archE1030ELNS1_3gpuE2ELNS1_3repE0EEENS1_30default_config_static_selectorELNS0_4arch9wavefront6targetE1EEEvT1_,"axG",@progbits,_ZN7rocprim17ROCPRIM_400000_NS6detail17trampoline_kernelINS0_14default_configENS1_20scan_config_selectorIiEEZZNS1_9scan_implILNS1_25lookback_scan_determinismE0ELb0ELb0ES3_N6thrust23THRUST_200600_302600_NS10device_ptrIiEESB_iNS9_4plusIvEEiEEDaPvRmT3_T4_T5_mT6_P12ihipStream_tbENKUlT_T0_E_clISt17integral_constantIbLb1EESR_EEDaSM_SN_EUlSM_E_NS1_11comp_targetILNS1_3genE8ELNS1_11target_archE1030ELNS1_3gpuE2ELNS1_3repE0EEENS1_30default_config_static_selectorELNS0_4arch9wavefront6targetE1EEEvT1_,comdat
	.protected	_ZN7rocprim17ROCPRIM_400000_NS6detail17trampoline_kernelINS0_14default_configENS1_20scan_config_selectorIiEEZZNS1_9scan_implILNS1_25lookback_scan_determinismE0ELb0ELb0ES3_N6thrust23THRUST_200600_302600_NS10device_ptrIiEESB_iNS9_4plusIvEEiEEDaPvRmT3_T4_T5_mT6_P12ihipStream_tbENKUlT_T0_E_clISt17integral_constantIbLb1EESR_EEDaSM_SN_EUlSM_E_NS1_11comp_targetILNS1_3genE8ELNS1_11target_archE1030ELNS1_3gpuE2ELNS1_3repE0EEENS1_30default_config_static_selectorELNS0_4arch9wavefront6targetE1EEEvT1_ ; -- Begin function _ZN7rocprim17ROCPRIM_400000_NS6detail17trampoline_kernelINS0_14default_configENS1_20scan_config_selectorIiEEZZNS1_9scan_implILNS1_25lookback_scan_determinismE0ELb0ELb0ES3_N6thrust23THRUST_200600_302600_NS10device_ptrIiEESB_iNS9_4plusIvEEiEEDaPvRmT3_T4_T5_mT6_P12ihipStream_tbENKUlT_T0_E_clISt17integral_constantIbLb1EESR_EEDaSM_SN_EUlSM_E_NS1_11comp_targetILNS1_3genE8ELNS1_11target_archE1030ELNS1_3gpuE2ELNS1_3repE0EEENS1_30default_config_static_selectorELNS0_4arch9wavefront6targetE1EEEvT1_
	.globl	_ZN7rocprim17ROCPRIM_400000_NS6detail17trampoline_kernelINS0_14default_configENS1_20scan_config_selectorIiEEZZNS1_9scan_implILNS1_25lookback_scan_determinismE0ELb0ELb0ES3_N6thrust23THRUST_200600_302600_NS10device_ptrIiEESB_iNS9_4plusIvEEiEEDaPvRmT3_T4_T5_mT6_P12ihipStream_tbENKUlT_T0_E_clISt17integral_constantIbLb1EESR_EEDaSM_SN_EUlSM_E_NS1_11comp_targetILNS1_3genE8ELNS1_11target_archE1030ELNS1_3gpuE2ELNS1_3repE0EEENS1_30default_config_static_selectorELNS0_4arch9wavefront6targetE1EEEvT1_
	.p2align	8
	.type	_ZN7rocprim17ROCPRIM_400000_NS6detail17trampoline_kernelINS0_14default_configENS1_20scan_config_selectorIiEEZZNS1_9scan_implILNS1_25lookback_scan_determinismE0ELb0ELb0ES3_N6thrust23THRUST_200600_302600_NS10device_ptrIiEESB_iNS9_4plusIvEEiEEDaPvRmT3_T4_T5_mT6_P12ihipStream_tbENKUlT_T0_E_clISt17integral_constantIbLb1EESR_EEDaSM_SN_EUlSM_E_NS1_11comp_targetILNS1_3genE8ELNS1_11target_archE1030ELNS1_3gpuE2ELNS1_3repE0EEENS1_30default_config_static_selectorELNS0_4arch9wavefront6targetE1EEEvT1_,@function
_ZN7rocprim17ROCPRIM_400000_NS6detail17trampoline_kernelINS0_14default_configENS1_20scan_config_selectorIiEEZZNS1_9scan_implILNS1_25lookback_scan_determinismE0ELb0ELb0ES3_N6thrust23THRUST_200600_302600_NS10device_ptrIiEESB_iNS9_4plusIvEEiEEDaPvRmT3_T4_T5_mT6_P12ihipStream_tbENKUlT_T0_E_clISt17integral_constantIbLb1EESR_EEDaSM_SN_EUlSM_E_NS1_11comp_targetILNS1_3genE8ELNS1_11target_archE1030ELNS1_3gpuE2ELNS1_3repE0EEENS1_30default_config_static_selectorELNS0_4arch9wavefront6targetE1EEEvT1_: ; @_ZN7rocprim17ROCPRIM_400000_NS6detail17trampoline_kernelINS0_14default_configENS1_20scan_config_selectorIiEEZZNS1_9scan_implILNS1_25lookback_scan_determinismE0ELb0ELb0ES3_N6thrust23THRUST_200600_302600_NS10device_ptrIiEESB_iNS9_4plusIvEEiEEDaPvRmT3_T4_T5_mT6_P12ihipStream_tbENKUlT_T0_E_clISt17integral_constantIbLb1EESR_EEDaSM_SN_EUlSM_E_NS1_11comp_targetILNS1_3genE8ELNS1_11target_archE1030ELNS1_3gpuE2ELNS1_3repE0EEENS1_30default_config_static_selectorELNS0_4arch9wavefront6targetE1EEEvT1_
; %bb.0:
	.section	.rodata,"a",@progbits
	.p2align	6, 0x0
	.amdhsa_kernel _ZN7rocprim17ROCPRIM_400000_NS6detail17trampoline_kernelINS0_14default_configENS1_20scan_config_selectorIiEEZZNS1_9scan_implILNS1_25lookback_scan_determinismE0ELb0ELb0ES3_N6thrust23THRUST_200600_302600_NS10device_ptrIiEESB_iNS9_4plusIvEEiEEDaPvRmT3_T4_T5_mT6_P12ihipStream_tbENKUlT_T0_E_clISt17integral_constantIbLb1EESR_EEDaSM_SN_EUlSM_E_NS1_11comp_targetILNS1_3genE8ELNS1_11target_archE1030ELNS1_3gpuE2ELNS1_3repE0EEENS1_30default_config_static_selectorELNS0_4arch9wavefront6targetE1EEEvT1_
		.amdhsa_group_segment_fixed_size 0
		.amdhsa_private_segment_fixed_size 0
		.amdhsa_kernarg_size 96
		.amdhsa_user_sgpr_count 6
		.amdhsa_user_sgpr_private_segment_buffer 1
		.amdhsa_user_sgpr_dispatch_ptr 0
		.amdhsa_user_sgpr_queue_ptr 0
		.amdhsa_user_sgpr_kernarg_segment_ptr 1
		.amdhsa_user_sgpr_dispatch_id 0
		.amdhsa_user_sgpr_flat_scratch_init 0
		.amdhsa_user_sgpr_kernarg_preload_length 0
		.amdhsa_user_sgpr_kernarg_preload_offset 0
		.amdhsa_user_sgpr_private_segment_size 0
		.amdhsa_uses_dynamic_stack 0
		.amdhsa_system_sgpr_private_segment_wavefront_offset 0
		.amdhsa_system_sgpr_workgroup_id_x 1
		.amdhsa_system_sgpr_workgroup_id_y 0
		.amdhsa_system_sgpr_workgroup_id_z 0
		.amdhsa_system_sgpr_workgroup_info 0
		.amdhsa_system_vgpr_workitem_id 0
		.amdhsa_next_free_vgpr 1
		.amdhsa_next_free_sgpr 0
		.amdhsa_accum_offset 4
		.amdhsa_reserve_vcc 0
		.amdhsa_reserve_flat_scratch 0
		.amdhsa_float_round_mode_32 0
		.amdhsa_float_round_mode_16_64 0
		.amdhsa_float_denorm_mode_32 3
		.amdhsa_float_denorm_mode_16_64 3
		.amdhsa_dx10_clamp 1
		.amdhsa_ieee_mode 1
		.amdhsa_fp16_overflow 0
		.amdhsa_tg_split 0
		.amdhsa_exception_fp_ieee_invalid_op 0
		.amdhsa_exception_fp_denorm_src 0
		.amdhsa_exception_fp_ieee_div_zero 0
		.amdhsa_exception_fp_ieee_overflow 0
		.amdhsa_exception_fp_ieee_underflow 0
		.amdhsa_exception_fp_ieee_inexact 0
		.amdhsa_exception_int_div_zero 0
	.end_amdhsa_kernel
	.section	.text._ZN7rocprim17ROCPRIM_400000_NS6detail17trampoline_kernelINS0_14default_configENS1_20scan_config_selectorIiEEZZNS1_9scan_implILNS1_25lookback_scan_determinismE0ELb0ELb0ES3_N6thrust23THRUST_200600_302600_NS10device_ptrIiEESB_iNS9_4plusIvEEiEEDaPvRmT3_T4_T5_mT6_P12ihipStream_tbENKUlT_T0_E_clISt17integral_constantIbLb1EESR_EEDaSM_SN_EUlSM_E_NS1_11comp_targetILNS1_3genE8ELNS1_11target_archE1030ELNS1_3gpuE2ELNS1_3repE0EEENS1_30default_config_static_selectorELNS0_4arch9wavefront6targetE1EEEvT1_,"axG",@progbits,_ZN7rocprim17ROCPRIM_400000_NS6detail17trampoline_kernelINS0_14default_configENS1_20scan_config_selectorIiEEZZNS1_9scan_implILNS1_25lookback_scan_determinismE0ELb0ELb0ES3_N6thrust23THRUST_200600_302600_NS10device_ptrIiEESB_iNS9_4plusIvEEiEEDaPvRmT3_T4_T5_mT6_P12ihipStream_tbENKUlT_T0_E_clISt17integral_constantIbLb1EESR_EEDaSM_SN_EUlSM_E_NS1_11comp_targetILNS1_3genE8ELNS1_11target_archE1030ELNS1_3gpuE2ELNS1_3repE0EEENS1_30default_config_static_selectorELNS0_4arch9wavefront6targetE1EEEvT1_,comdat
.Lfunc_end6776:
	.size	_ZN7rocprim17ROCPRIM_400000_NS6detail17trampoline_kernelINS0_14default_configENS1_20scan_config_selectorIiEEZZNS1_9scan_implILNS1_25lookback_scan_determinismE0ELb0ELb0ES3_N6thrust23THRUST_200600_302600_NS10device_ptrIiEESB_iNS9_4plusIvEEiEEDaPvRmT3_T4_T5_mT6_P12ihipStream_tbENKUlT_T0_E_clISt17integral_constantIbLb1EESR_EEDaSM_SN_EUlSM_E_NS1_11comp_targetILNS1_3genE8ELNS1_11target_archE1030ELNS1_3gpuE2ELNS1_3repE0EEENS1_30default_config_static_selectorELNS0_4arch9wavefront6targetE1EEEvT1_, .Lfunc_end6776-_ZN7rocprim17ROCPRIM_400000_NS6detail17trampoline_kernelINS0_14default_configENS1_20scan_config_selectorIiEEZZNS1_9scan_implILNS1_25lookback_scan_determinismE0ELb0ELb0ES3_N6thrust23THRUST_200600_302600_NS10device_ptrIiEESB_iNS9_4plusIvEEiEEDaPvRmT3_T4_T5_mT6_P12ihipStream_tbENKUlT_T0_E_clISt17integral_constantIbLb1EESR_EEDaSM_SN_EUlSM_E_NS1_11comp_targetILNS1_3genE8ELNS1_11target_archE1030ELNS1_3gpuE2ELNS1_3repE0EEENS1_30default_config_static_selectorELNS0_4arch9wavefront6targetE1EEEvT1_
                                        ; -- End function
	.section	.AMDGPU.csdata,"",@progbits
; Kernel info:
; codeLenInByte = 0
; NumSgprs: 4
; NumVgprs: 0
; NumAgprs: 0
; TotalNumVgprs: 0
; ScratchSize: 0
; MemoryBound: 0
; FloatMode: 240
; IeeeMode: 1
; LDSByteSize: 0 bytes/workgroup (compile time only)
; SGPRBlocks: 0
; VGPRBlocks: 0
; NumSGPRsForWavesPerEU: 4
; NumVGPRsForWavesPerEU: 1
; AccumOffset: 4
; Occupancy: 8
; WaveLimiterHint : 0
; COMPUTE_PGM_RSRC2:SCRATCH_EN: 0
; COMPUTE_PGM_RSRC2:USER_SGPR: 6
; COMPUTE_PGM_RSRC2:TRAP_HANDLER: 0
; COMPUTE_PGM_RSRC2:TGID_X_EN: 1
; COMPUTE_PGM_RSRC2:TGID_Y_EN: 0
; COMPUTE_PGM_RSRC2:TGID_Z_EN: 0
; COMPUTE_PGM_RSRC2:TIDIG_COMP_CNT: 0
; COMPUTE_PGM_RSRC3_GFX90A:ACCUM_OFFSET: 0
; COMPUTE_PGM_RSRC3_GFX90A:TG_SPLIT: 0
	.section	.text._ZN7rocprim17ROCPRIM_400000_NS6detail17trampoline_kernelINS0_14default_configENS1_20scan_config_selectorIiEEZZNS1_9scan_implILNS1_25lookback_scan_determinismE0ELb0ELb0ES3_N6thrust23THRUST_200600_302600_NS10device_ptrIiEESB_iNS9_4plusIvEEiEEDaPvRmT3_T4_T5_mT6_P12ihipStream_tbENKUlT_T0_E_clISt17integral_constantIbLb1EESR_EEDaSM_SN_EUlSM_E0_NS1_11comp_targetILNS1_3genE0ELNS1_11target_archE4294967295ELNS1_3gpuE0ELNS1_3repE0EEENS1_30default_config_static_selectorELNS0_4arch9wavefront6targetE1EEEvT1_,"axG",@progbits,_ZN7rocprim17ROCPRIM_400000_NS6detail17trampoline_kernelINS0_14default_configENS1_20scan_config_selectorIiEEZZNS1_9scan_implILNS1_25lookback_scan_determinismE0ELb0ELb0ES3_N6thrust23THRUST_200600_302600_NS10device_ptrIiEESB_iNS9_4plusIvEEiEEDaPvRmT3_T4_T5_mT6_P12ihipStream_tbENKUlT_T0_E_clISt17integral_constantIbLb1EESR_EEDaSM_SN_EUlSM_E0_NS1_11comp_targetILNS1_3genE0ELNS1_11target_archE4294967295ELNS1_3gpuE0ELNS1_3repE0EEENS1_30default_config_static_selectorELNS0_4arch9wavefront6targetE1EEEvT1_,comdat
	.protected	_ZN7rocprim17ROCPRIM_400000_NS6detail17trampoline_kernelINS0_14default_configENS1_20scan_config_selectorIiEEZZNS1_9scan_implILNS1_25lookback_scan_determinismE0ELb0ELb0ES3_N6thrust23THRUST_200600_302600_NS10device_ptrIiEESB_iNS9_4plusIvEEiEEDaPvRmT3_T4_T5_mT6_P12ihipStream_tbENKUlT_T0_E_clISt17integral_constantIbLb1EESR_EEDaSM_SN_EUlSM_E0_NS1_11comp_targetILNS1_3genE0ELNS1_11target_archE4294967295ELNS1_3gpuE0ELNS1_3repE0EEENS1_30default_config_static_selectorELNS0_4arch9wavefront6targetE1EEEvT1_ ; -- Begin function _ZN7rocprim17ROCPRIM_400000_NS6detail17trampoline_kernelINS0_14default_configENS1_20scan_config_selectorIiEEZZNS1_9scan_implILNS1_25lookback_scan_determinismE0ELb0ELb0ES3_N6thrust23THRUST_200600_302600_NS10device_ptrIiEESB_iNS9_4plusIvEEiEEDaPvRmT3_T4_T5_mT6_P12ihipStream_tbENKUlT_T0_E_clISt17integral_constantIbLb1EESR_EEDaSM_SN_EUlSM_E0_NS1_11comp_targetILNS1_3genE0ELNS1_11target_archE4294967295ELNS1_3gpuE0ELNS1_3repE0EEENS1_30default_config_static_selectorELNS0_4arch9wavefront6targetE1EEEvT1_
	.globl	_ZN7rocprim17ROCPRIM_400000_NS6detail17trampoline_kernelINS0_14default_configENS1_20scan_config_selectorIiEEZZNS1_9scan_implILNS1_25lookback_scan_determinismE0ELb0ELb0ES3_N6thrust23THRUST_200600_302600_NS10device_ptrIiEESB_iNS9_4plusIvEEiEEDaPvRmT3_T4_T5_mT6_P12ihipStream_tbENKUlT_T0_E_clISt17integral_constantIbLb1EESR_EEDaSM_SN_EUlSM_E0_NS1_11comp_targetILNS1_3genE0ELNS1_11target_archE4294967295ELNS1_3gpuE0ELNS1_3repE0EEENS1_30default_config_static_selectorELNS0_4arch9wavefront6targetE1EEEvT1_
	.p2align	8
	.type	_ZN7rocprim17ROCPRIM_400000_NS6detail17trampoline_kernelINS0_14default_configENS1_20scan_config_selectorIiEEZZNS1_9scan_implILNS1_25lookback_scan_determinismE0ELb0ELb0ES3_N6thrust23THRUST_200600_302600_NS10device_ptrIiEESB_iNS9_4plusIvEEiEEDaPvRmT3_T4_T5_mT6_P12ihipStream_tbENKUlT_T0_E_clISt17integral_constantIbLb1EESR_EEDaSM_SN_EUlSM_E0_NS1_11comp_targetILNS1_3genE0ELNS1_11target_archE4294967295ELNS1_3gpuE0ELNS1_3repE0EEENS1_30default_config_static_selectorELNS0_4arch9wavefront6targetE1EEEvT1_,@function
_ZN7rocprim17ROCPRIM_400000_NS6detail17trampoline_kernelINS0_14default_configENS1_20scan_config_selectorIiEEZZNS1_9scan_implILNS1_25lookback_scan_determinismE0ELb0ELb0ES3_N6thrust23THRUST_200600_302600_NS10device_ptrIiEESB_iNS9_4plusIvEEiEEDaPvRmT3_T4_T5_mT6_P12ihipStream_tbENKUlT_T0_E_clISt17integral_constantIbLb1EESR_EEDaSM_SN_EUlSM_E0_NS1_11comp_targetILNS1_3genE0ELNS1_11target_archE4294967295ELNS1_3gpuE0ELNS1_3repE0EEENS1_30default_config_static_selectorELNS0_4arch9wavefront6targetE1EEEvT1_: ; @_ZN7rocprim17ROCPRIM_400000_NS6detail17trampoline_kernelINS0_14default_configENS1_20scan_config_selectorIiEEZZNS1_9scan_implILNS1_25lookback_scan_determinismE0ELb0ELb0ES3_N6thrust23THRUST_200600_302600_NS10device_ptrIiEESB_iNS9_4plusIvEEiEEDaPvRmT3_T4_T5_mT6_P12ihipStream_tbENKUlT_T0_E_clISt17integral_constantIbLb1EESR_EEDaSM_SN_EUlSM_E0_NS1_11comp_targetILNS1_3genE0ELNS1_11target_archE4294967295ELNS1_3gpuE0ELNS1_3repE0EEENS1_30default_config_static_selectorELNS0_4arch9wavefront6targetE1EEEvT1_
; %bb.0:
	.section	.rodata,"a",@progbits
	.p2align	6, 0x0
	.amdhsa_kernel _ZN7rocprim17ROCPRIM_400000_NS6detail17trampoline_kernelINS0_14default_configENS1_20scan_config_selectorIiEEZZNS1_9scan_implILNS1_25lookback_scan_determinismE0ELb0ELb0ES3_N6thrust23THRUST_200600_302600_NS10device_ptrIiEESB_iNS9_4plusIvEEiEEDaPvRmT3_T4_T5_mT6_P12ihipStream_tbENKUlT_T0_E_clISt17integral_constantIbLb1EESR_EEDaSM_SN_EUlSM_E0_NS1_11comp_targetILNS1_3genE0ELNS1_11target_archE4294967295ELNS1_3gpuE0ELNS1_3repE0EEENS1_30default_config_static_selectorELNS0_4arch9wavefront6targetE1EEEvT1_
		.amdhsa_group_segment_fixed_size 0
		.amdhsa_private_segment_fixed_size 0
		.amdhsa_kernarg_size 32
		.amdhsa_user_sgpr_count 6
		.amdhsa_user_sgpr_private_segment_buffer 1
		.amdhsa_user_sgpr_dispatch_ptr 0
		.amdhsa_user_sgpr_queue_ptr 0
		.amdhsa_user_sgpr_kernarg_segment_ptr 1
		.amdhsa_user_sgpr_dispatch_id 0
		.amdhsa_user_sgpr_flat_scratch_init 0
		.amdhsa_user_sgpr_kernarg_preload_length 0
		.amdhsa_user_sgpr_kernarg_preload_offset 0
		.amdhsa_user_sgpr_private_segment_size 0
		.amdhsa_uses_dynamic_stack 0
		.amdhsa_system_sgpr_private_segment_wavefront_offset 0
		.amdhsa_system_sgpr_workgroup_id_x 1
		.amdhsa_system_sgpr_workgroup_id_y 0
		.amdhsa_system_sgpr_workgroup_id_z 0
		.amdhsa_system_sgpr_workgroup_info 0
		.amdhsa_system_vgpr_workitem_id 0
		.amdhsa_next_free_vgpr 1
		.amdhsa_next_free_sgpr 0
		.amdhsa_accum_offset 4
		.amdhsa_reserve_vcc 0
		.amdhsa_reserve_flat_scratch 0
		.amdhsa_float_round_mode_32 0
		.amdhsa_float_round_mode_16_64 0
		.amdhsa_float_denorm_mode_32 3
		.amdhsa_float_denorm_mode_16_64 3
		.amdhsa_dx10_clamp 1
		.amdhsa_ieee_mode 1
		.amdhsa_fp16_overflow 0
		.amdhsa_tg_split 0
		.amdhsa_exception_fp_ieee_invalid_op 0
		.amdhsa_exception_fp_denorm_src 0
		.amdhsa_exception_fp_ieee_div_zero 0
		.amdhsa_exception_fp_ieee_overflow 0
		.amdhsa_exception_fp_ieee_underflow 0
		.amdhsa_exception_fp_ieee_inexact 0
		.amdhsa_exception_int_div_zero 0
	.end_amdhsa_kernel
	.section	.text._ZN7rocprim17ROCPRIM_400000_NS6detail17trampoline_kernelINS0_14default_configENS1_20scan_config_selectorIiEEZZNS1_9scan_implILNS1_25lookback_scan_determinismE0ELb0ELb0ES3_N6thrust23THRUST_200600_302600_NS10device_ptrIiEESB_iNS9_4plusIvEEiEEDaPvRmT3_T4_T5_mT6_P12ihipStream_tbENKUlT_T0_E_clISt17integral_constantIbLb1EESR_EEDaSM_SN_EUlSM_E0_NS1_11comp_targetILNS1_3genE0ELNS1_11target_archE4294967295ELNS1_3gpuE0ELNS1_3repE0EEENS1_30default_config_static_selectorELNS0_4arch9wavefront6targetE1EEEvT1_,"axG",@progbits,_ZN7rocprim17ROCPRIM_400000_NS6detail17trampoline_kernelINS0_14default_configENS1_20scan_config_selectorIiEEZZNS1_9scan_implILNS1_25lookback_scan_determinismE0ELb0ELb0ES3_N6thrust23THRUST_200600_302600_NS10device_ptrIiEESB_iNS9_4plusIvEEiEEDaPvRmT3_T4_T5_mT6_P12ihipStream_tbENKUlT_T0_E_clISt17integral_constantIbLb1EESR_EEDaSM_SN_EUlSM_E0_NS1_11comp_targetILNS1_3genE0ELNS1_11target_archE4294967295ELNS1_3gpuE0ELNS1_3repE0EEENS1_30default_config_static_selectorELNS0_4arch9wavefront6targetE1EEEvT1_,comdat
.Lfunc_end6777:
	.size	_ZN7rocprim17ROCPRIM_400000_NS6detail17trampoline_kernelINS0_14default_configENS1_20scan_config_selectorIiEEZZNS1_9scan_implILNS1_25lookback_scan_determinismE0ELb0ELb0ES3_N6thrust23THRUST_200600_302600_NS10device_ptrIiEESB_iNS9_4plusIvEEiEEDaPvRmT3_T4_T5_mT6_P12ihipStream_tbENKUlT_T0_E_clISt17integral_constantIbLb1EESR_EEDaSM_SN_EUlSM_E0_NS1_11comp_targetILNS1_3genE0ELNS1_11target_archE4294967295ELNS1_3gpuE0ELNS1_3repE0EEENS1_30default_config_static_selectorELNS0_4arch9wavefront6targetE1EEEvT1_, .Lfunc_end6777-_ZN7rocprim17ROCPRIM_400000_NS6detail17trampoline_kernelINS0_14default_configENS1_20scan_config_selectorIiEEZZNS1_9scan_implILNS1_25lookback_scan_determinismE0ELb0ELb0ES3_N6thrust23THRUST_200600_302600_NS10device_ptrIiEESB_iNS9_4plusIvEEiEEDaPvRmT3_T4_T5_mT6_P12ihipStream_tbENKUlT_T0_E_clISt17integral_constantIbLb1EESR_EEDaSM_SN_EUlSM_E0_NS1_11comp_targetILNS1_3genE0ELNS1_11target_archE4294967295ELNS1_3gpuE0ELNS1_3repE0EEENS1_30default_config_static_selectorELNS0_4arch9wavefront6targetE1EEEvT1_
                                        ; -- End function
	.section	.AMDGPU.csdata,"",@progbits
; Kernel info:
; codeLenInByte = 0
; NumSgprs: 4
; NumVgprs: 0
; NumAgprs: 0
; TotalNumVgprs: 0
; ScratchSize: 0
; MemoryBound: 0
; FloatMode: 240
; IeeeMode: 1
; LDSByteSize: 0 bytes/workgroup (compile time only)
; SGPRBlocks: 0
; VGPRBlocks: 0
; NumSGPRsForWavesPerEU: 4
; NumVGPRsForWavesPerEU: 1
; AccumOffset: 4
; Occupancy: 8
; WaveLimiterHint : 0
; COMPUTE_PGM_RSRC2:SCRATCH_EN: 0
; COMPUTE_PGM_RSRC2:USER_SGPR: 6
; COMPUTE_PGM_RSRC2:TRAP_HANDLER: 0
; COMPUTE_PGM_RSRC2:TGID_X_EN: 1
; COMPUTE_PGM_RSRC2:TGID_Y_EN: 0
; COMPUTE_PGM_RSRC2:TGID_Z_EN: 0
; COMPUTE_PGM_RSRC2:TIDIG_COMP_CNT: 0
; COMPUTE_PGM_RSRC3_GFX90A:ACCUM_OFFSET: 0
; COMPUTE_PGM_RSRC3_GFX90A:TG_SPLIT: 0
	.section	.text._ZN7rocprim17ROCPRIM_400000_NS6detail17trampoline_kernelINS0_14default_configENS1_20scan_config_selectorIiEEZZNS1_9scan_implILNS1_25lookback_scan_determinismE0ELb0ELb0ES3_N6thrust23THRUST_200600_302600_NS10device_ptrIiEESB_iNS9_4plusIvEEiEEDaPvRmT3_T4_T5_mT6_P12ihipStream_tbENKUlT_T0_E_clISt17integral_constantIbLb1EESR_EEDaSM_SN_EUlSM_E0_NS1_11comp_targetILNS1_3genE5ELNS1_11target_archE942ELNS1_3gpuE9ELNS1_3repE0EEENS1_30default_config_static_selectorELNS0_4arch9wavefront6targetE1EEEvT1_,"axG",@progbits,_ZN7rocprim17ROCPRIM_400000_NS6detail17trampoline_kernelINS0_14default_configENS1_20scan_config_selectorIiEEZZNS1_9scan_implILNS1_25lookback_scan_determinismE0ELb0ELb0ES3_N6thrust23THRUST_200600_302600_NS10device_ptrIiEESB_iNS9_4plusIvEEiEEDaPvRmT3_T4_T5_mT6_P12ihipStream_tbENKUlT_T0_E_clISt17integral_constantIbLb1EESR_EEDaSM_SN_EUlSM_E0_NS1_11comp_targetILNS1_3genE5ELNS1_11target_archE942ELNS1_3gpuE9ELNS1_3repE0EEENS1_30default_config_static_selectorELNS0_4arch9wavefront6targetE1EEEvT1_,comdat
	.protected	_ZN7rocprim17ROCPRIM_400000_NS6detail17trampoline_kernelINS0_14default_configENS1_20scan_config_selectorIiEEZZNS1_9scan_implILNS1_25lookback_scan_determinismE0ELb0ELb0ES3_N6thrust23THRUST_200600_302600_NS10device_ptrIiEESB_iNS9_4plusIvEEiEEDaPvRmT3_T4_T5_mT6_P12ihipStream_tbENKUlT_T0_E_clISt17integral_constantIbLb1EESR_EEDaSM_SN_EUlSM_E0_NS1_11comp_targetILNS1_3genE5ELNS1_11target_archE942ELNS1_3gpuE9ELNS1_3repE0EEENS1_30default_config_static_selectorELNS0_4arch9wavefront6targetE1EEEvT1_ ; -- Begin function _ZN7rocprim17ROCPRIM_400000_NS6detail17trampoline_kernelINS0_14default_configENS1_20scan_config_selectorIiEEZZNS1_9scan_implILNS1_25lookback_scan_determinismE0ELb0ELb0ES3_N6thrust23THRUST_200600_302600_NS10device_ptrIiEESB_iNS9_4plusIvEEiEEDaPvRmT3_T4_T5_mT6_P12ihipStream_tbENKUlT_T0_E_clISt17integral_constantIbLb1EESR_EEDaSM_SN_EUlSM_E0_NS1_11comp_targetILNS1_3genE5ELNS1_11target_archE942ELNS1_3gpuE9ELNS1_3repE0EEENS1_30default_config_static_selectorELNS0_4arch9wavefront6targetE1EEEvT1_
	.globl	_ZN7rocprim17ROCPRIM_400000_NS6detail17trampoline_kernelINS0_14default_configENS1_20scan_config_selectorIiEEZZNS1_9scan_implILNS1_25lookback_scan_determinismE0ELb0ELb0ES3_N6thrust23THRUST_200600_302600_NS10device_ptrIiEESB_iNS9_4plusIvEEiEEDaPvRmT3_T4_T5_mT6_P12ihipStream_tbENKUlT_T0_E_clISt17integral_constantIbLb1EESR_EEDaSM_SN_EUlSM_E0_NS1_11comp_targetILNS1_3genE5ELNS1_11target_archE942ELNS1_3gpuE9ELNS1_3repE0EEENS1_30default_config_static_selectorELNS0_4arch9wavefront6targetE1EEEvT1_
	.p2align	8
	.type	_ZN7rocprim17ROCPRIM_400000_NS6detail17trampoline_kernelINS0_14default_configENS1_20scan_config_selectorIiEEZZNS1_9scan_implILNS1_25lookback_scan_determinismE0ELb0ELb0ES3_N6thrust23THRUST_200600_302600_NS10device_ptrIiEESB_iNS9_4plusIvEEiEEDaPvRmT3_T4_T5_mT6_P12ihipStream_tbENKUlT_T0_E_clISt17integral_constantIbLb1EESR_EEDaSM_SN_EUlSM_E0_NS1_11comp_targetILNS1_3genE5ELNS1_11target_archE942ELNS1_3gpuE9ELNS1_3repE0EEENS1_30default_config_static_selectorELNS0_4arch9wavefront6targetE1EEEvT1_,@function
_ZN7rocprim17ROCPRIM_400000_NS6detail17trampoline_kernelINS0_14default_configENS1_20scan_config_selectorIiEEZZNS1_9scan_implILNS1_25lookback_scan_determinismE0ELb0ELb0ES3_N6thrust23THRUST_200600_302600_NS10device_ptrIiEESB_iNS9_4plusIvEEiEEDaPvRmT3_T4_T5_mT6_P12ihipStream_tbENKUlT_T0_E_clISt17integral_constantIbLb1EESR_EEDaSM_SN_EUlSM_E0_NS1_11comp_targetILNS1_3genE5ELNS1_11target_archE942ELNS1_3gpuE9ELNS1_3repE0EEENS1_30default_config_static_selectorELNS0_4arch9wavefront6targetE1EEEvT1_: ; @_ZN7rocprim17ROCPRIM_400000_NS6detail17trampoline_kernelINS0_14default_configENS1_20scan_config_selectorIiEEZZNS1_9scan_implILNS1_25lookback_scan_determinismE0ELb0ELb0ES3_N6thrust23THRUST_200600_302600_NS10device_ptrIiEESB_iNS9_4plusIvEEiEEDaPvRmT3_T4_T5_mT6_P12ihipStream_tbENKUlT_T0_E_clISt17integral_constantIbLb1EESR_EEDaSM_SN_EUlSM_E0_NS1_11comp_targetILNS1_3genE5ELNS1_11target_archE942ELNS1_3gpuE9ELNS1_3repE0EEENS1_30default_config_static_selectorELNS0_4arch9wavefront6targetE1EEEvT1_
; %bb.0:
	.section	.rodata,"a",@progbits
	.p2align	6, 0x0
	.amdhsa_kernel _ZN7rocprim17ROCPRIM_400000_NS6detail17trampoline_kernelINS0_14default_configENS1_20scan_config_selectorIiEEZZNS1_9scan_implILNS1_25lookback_scan_determinismE0ELb0ELb0ES3_N6thrust23THRUST_200600_302600_NS10device_ptrIiEESB_iNS9_4plusIvEEiEEDaPvRmT3_T4_T5_mT6_P12ihipStream_tbENKUlT_T0_E_clISt17integral_constantIbLb1EESR_EEDaSM_SN_EUlSM_E0_NS1_11comp_targetILNS1_3genE5ELNS1_11target_archE942ELNS1_3gpuE9ELNS1_3repE0EEENS1_30default_config_static_selectorELNS0_4arch9wavefront6targetE1EEEvT1_
		.amdhsa_group_segment_fixed_size 0
		.amdhsa_private_segment_fixed_size 0
		.amdhsa_kernarg_size 32
		.amdhsa_user_sgpr_count 6
		.amdhsa_user_sgpr_private_segment_buffer 1
		.amdhsa_user_sgpr_dispatch_ptr 0
		.amdhsa_user_sgpr_queue_ptr 0
		.amdhsa_user_sgpr_kernarg_segment_ptr 1
		.amdhsa_user_sgpr_dispatch_id 0
		.amdhsa_user_sgpr_flat_scratch_init 0
		.amdhsa_user_sgpr_kernarg_preload_length 0
		.amdhsa_user_sgpr_kernarg_preload_offset 0
		.amdhsa_user_sgpr_private_segment_size 0
		.amdhsa_uses_dynamic_stack 0
		.amdhsa_system_sgpr_private_segment_wavefront_offset 0
		.amdhsa_system_sgpr_workgroup_id_x 1
		.amdhsa_system_sgpr_workgroup_id_y 0
		.amdhsa_system_sgpr_workgroup_id_z 0
		.amdhsa_system_sgpr_workgroup_info 0
		.amdhsa_system_vgpr_workitem_id 0
		.amdhsa_next_free_vgpr 1
		.amdhsa_next_free_sgpr 0
		.amdhsa_accum_offset 4
		.amdhsa_reserve_vcc 0
		.amdhsa_reserve_flat_scratch 0
		.amdhsa_float_round_mode_32 0
		.amdhsa_float_round_mode_16_64 0
		.amdhsa_float_denorm_mode_32 3
		.amdhsa_float_denorm_mode_16_64 3
		.amdhsa_dx10_clamp 1
		.amdhsa_ieee_mode 1
		.amdhsa_fp16_overflow 0
		.amdhsa_tg_split 0
		.amdhsa_exception_fp_ieee_invalid_op 0
		.amdhsa_exception_fp_denorm_src 0
		.amdhsa_exception_fp_ieee_div_zero 0
		.amdhsa_exception_fp_ieee_overflow 0
		.amdhsa_exception_fp_ieee_underflow 0
		.amdhsa_exception_fp_ieee_inexact 0
		.amdhsa_exception_int_div_zero 0
	.end_amdhsa_kernel
	.section	.text._ZN7rocprim17ROCPRIM_400000_NS6detail17trampoline_kernelINS0_14default_configENS1_20scan_config_selectorIiEEZZNS1_9scan_implILNS1_25lookback_scan_determinismE0ELb0ELb0ES3_N6thrust23THRUST_200600_302600_NS10device_ptrIiEESB_iNS9_4plusIvEEiEEDaPvRmT3_T4_T5_mT6_P12ihipStream_tbENKUlT_T0_E_clISt17integral_constantIbLb1EESR_EEDaSM_SN_EUlSM_E0_NS1_11comp_targetILNS1_3genE5ELNS1_11target_archE942ELNS1_3gpuE9ELNS1_3repE0EEENS1_30default_config_static_selectorELNS0_4arch9wavefront6targetE1EEEvT1_,"axG",@progbits,_ZN7rocprim17ROCPRIM_400000_NS6detail17trampoline_kernelINS0_14default_configENS1_20scan_config_selectorIiEEZZNS1_9scan_implILNS1_25lookback_scan_determinismE0ELb0ELb0ES3_N6thrust23THRUST_200600_302600_NS10device_ptrIiEESB_iNS9_4plusIvEEiEEDaPvRmT3_T4_T5_mT6_P12ihipStream_tbENKUlT_T0_E_clISt17integral_constantIbLb1EESR_EEDaSM_SN_EUlSM_E0_NS1_11comp_targetILNS1_3genE5ELNS1_11target_archE942ELNS1_3gpuE9ELNS1_3repE0EEENS1_30default_config_static_selectorELNS0_4arch9wavefront6targetE1EEEvT1_,comdat
.Lfunc_end6778:
	.size	_ZN7rocprim17ROCPRIM_400000_NS6detail17trampoline_kernelINS0_14default_configENS1_20scan_config_selectorIiEEZZNS1_9scan_implILNS1_25lookback_scan_determinismE0ELb0ELb0ES3_N6thrust23THRUST_200600_302600_NS10device_ptrIiEESB_iNS9_4plusIvEEiEEDaPvRmT3_T4_T5_mT6_P12ihipStream_tbENKUlT_T0_E_clISt17integral_constantIbLb1EESR_EEDaSM_SN_EUlSM_E0_NS1_11comp_targetILNS1_3genE5ELNS1_11target_archE942ELNS1_3gpuE9ELNS1_3repE0EEENS1_30default_config_static_selectorELNS0_4arch9wavefront6targetE1EEEvT1_, .Lfunc_end6778-_ZN7rocprim17ROCPRIM_400000_NS6detail17trampoline_kernelINS0_14default_configENS1_20scan_config_selectorIiEEZZNS1_9scan_implILNS1_25lookback_scan_determinismE0ELb0ELb0ES3_N6thrust23THRUST_200600_302600_NS10device_ptrIiEESB_iNS9_4plusIvEEiEEDaPvRmT3_T4_T5_mT6_P12ihipStream_tbENKUlT_T0_E_clISt17integral_constantIbLb1EESR_EEDaSM_SN_EUlSM_E0_NS1_11comp_targetILNS1_3genE5ELNS1_11target_archE942ELNS1_3gpuE9ELNS1_3repE0EEENS1_30default_config_static_selectorELNS0_4arch9wavefront6targetE1EEEvT1_
                                        ; -- End function
	.section	.AMDGPU.csdata,"",@progbits
; Kernel info:
; codeLenInByte = 0
; NumSgprs: 4
; NumVgprs: 0
; NumAgprs: 0
; TotalNumVgprs: 0
; ScratchSize: 0
; MemoryBound: 0
; FloatMode: 240
; IeeeMode: 1
; LDSByteSize: 0 bytes/workgroup (compile time only)
; SGPRBlocks: 0
; VGPRBlocks: 0
; NumSGPRsForWavesPerEU: 4
; NumVGPRsForWavesPerEU: 1
; AccumOffset: 4
; Occupancy: 8
; WaveLimiterHint : 0
; COMPUTE_PGM_RSRC2:SCRATCH_EN: 0
; COMPUTE_PGM_RSRC2:USER_SGPR: 6
; COMPUTE_PGM_RSRC2:TRAP_HANDLER: 0
; COMPUTE_PGM_RSRC2:TGID_X_EN: 1
; COMPUTE_PGM_RSRC2:TGID_Y_EN: 0
; COMPUTE_PGM_RSRC2:TGID_Z_EN: 0
; COMPUTE_PGM_RSRC2:TIDIG_COMP_CNT: 0
; COMPUTE_PGM_RSRC3_GFX90A:ACCUM_OFFSET: 0
; COMPUTE_PGM_RSRC3_GFX90A:TG_SPLIT: 0
	.section	.text._ZN7rocprim17ROCPRIM_400000_NS6detail17trampoline_kernelINS0_14default_configENS1_20scan_config_selectorIiEEZZNS1_9scan_implILNS1_25lookback_scan_determinismE0ELb0ELb0ES3_N6thrust23THRUST_200600_302600_NS10device_ptrIiEESB_iNS9_4plusIvEEiEEDaPvRmT3_T4_T5_mT6_P12ihipStream_tbENKUlT_T0_E_clISt17integral_constantIbLb1EESR_EEDaSM_SN_EUlSM_E0_NS1_11comp_targetILNS1_3genE4ELNS1_11target_archE910ELNS1_3gpuE8ELNS1_3repE0EEENS1_30default_config_static_selectorELNS0_4arch9wavefront6targetE1EEEvT1_,"axG",@progbits,_ZN7rocprim17ROCPRIM_400000_NS6detail17trampoline_kernelINS0_14default_configENS1_20scan_config_selectorIiEEZZNS1_9scan_implILNS1_25lookback_scan_determinismE0ELb0ELb0ES3_N6thrust23THRUST_200600_302600_NS10device_ptrIiEESB_iNS9_4plusIvEEiEEDaPvRmT3_T4_T5_mT6_P12ihipStream_tbENKUlT_T0_E_clISt17integral_constantIbLb1EESR_EEDaSM_SN_EUlSM_E0_NS1_11comp_targetILNS1_3genE4ELNS1_11target_archE910ELNS1_3gpuE8ELNS1_3repE0EEENS1_30default_config_static_selectorELNS0_4arch9wavefront6targetE1EEEvT1_,comdat
	.protected	_ZN7rocprim17ROCPRIM_400000_NS6detail17trampoline_kernelINS0_14default_configENS1_20scan_config_selectorIiEEZZNS1_9scan_implILNS1_25lookback_scan_determinismE0ELb0ELb0ES3_N6thrust23THRUST_200600_302600_NS10device_ptrIiEESB_iNS9_4plusIvEEiEEDaPvRmT3_T4_T5_mT6_P12ihipStream_tbENKUlT_T0_E_clISt17integral_constantIbLb1EESR_EEDaSM_SN_EUlSM_E0_NS1_11comp_targetILNS1_3genE4ELNS1_11target_archE910ELNS1_3gpuE8ELNS1_3repE0EEENS1_30default_config_static_selectorELNS0_4arch9wavefront6targetE1EEEvT1_ ; -- Begin function _ZN7rocprim17ROCPRIM_400000_NS6detail17trampoline_kernelINS0_14default_configENS1_20scan_config_selectorIiEEZZNS1_9scan_implILNS1_25lookback_scan_determinismE0ELb0ELb0ES3_N6thrust23THRUST_200600_302600_NS10device_ptrIiEESB_iNS9_4plusIvEEiEEDaPvRmT3_T4_T5_mT6_P12ihipStream_tbENKUlT_T0_E_clISt17integral_constantIbLb1EESR_EEDaSM_SN_EUlSM_E0_NS1_11comp_targetILNS1_3genE4ELNS1_11target_archE910ELNS1_3gpuE8ELNS1_3repE0EEENS1_30default_config_static_selectorELNS0_4arch9wavefront6targetE1EEEvT1_
	.globl	_ZN7rocprim17ROCPRIM_400000_NS6detail17trampoline_kernelINS0_14default_configENS1_20scan_config_selectorIiEEZZNS1_9scan_implILNS1_25lookback_scan_determinismE0ELb0ELb0ES3_N6thrust23THRUST_200600_302600_NS10device_ptrIiEESB_iNS9_4plusIvEEiEEDaPvRmT3_T4_T5_mT6_P12ihipStream_tbENKUlT_T0_E_clISt17integral_constantIbLb1EESR_EEDaSM_SN_EUlSM_E0_NS1_11comp_targetILNS1_3genE4ELNS1_11target_archE910ELNS1_3gpuE8ELNS1_3repE0EEENS1_30default_config_static_selectorELNS0_4arch9wavefront6targetE1EEEvT1_
	.p2align	8
	.type	_ZN7rocprim17ROCPRIM_400000_NS6detail17trampoline_kernelINS0_14default_configENS1_20scan_config_selectorIiEEZZNS1_9scan_implILNS1_25lookback_scan_determinismE0ELb0ELb0ES3_N6thrust23THRUST_200600_302600_NS10device_ptrIiEESB_iNS9_4plusIvEEiEEDaPvRmT3_T4_T5_mT6_P12ihipStream_tbENKUlT_T0_E_clISt17integral_constantIbLb1EESR_EEDaSM_SN_EUlSM_E0_NS1_11comp_targetILNS1_3genE4ELNS1_11target_archE910ELNS1_3gpuE8ELNS1_3repE0EEENS1_30default_config_static_selectorELNS0_4arch9wavefront6targetE1EEEvT1_,@function
_ZN7rocprim17ROCPRIM_400000_NS6detail17trampoline_kernelINS0_14default_configENS1_20scan_config_selectorIiEEZZNS1_9scan_implILNS1_25lookback_scan_determinismE0ELb0ELb0ES3_N6thrust23THRUST_200600_302600_NS10device_ptrIiEESB_iNS9_4plusIvEEiEEDaPvRmT3_T4_T5_mT6_P12ihipStream_tbENKUlT_T0_E_clISt17integral_constantIbLb1EESR_EEDaSM_SN_EUlSM_E0_NS1_11comp_targetILNS1_3genE4ELNS1_11target_archE910ELNS1_3gpuE8ELNS1_3repE0EEENS1_30default_config_static_selectorELNS0_4arch9wavefront6targetE1EEEvT1_: ; @_ZN7rocprim17ROCPRIM_400000_NS6detail17trampoline_kernelINS0_14default_configENS1_20scan_config_selectorIiEEZZNS1_9scan_implILNS1_25lookback_scan_determinismE0ELb0ELb0ES3_N6thrust23THRUST_200600_302600_NS10device_ptrIiEESB_iNS9_4plusIvEEiEEDaPvRmT3_T4_T5_mT6_P12ihipStream_tbENKUlT_T0_E_clISt17integral_constantIbLb1EESR_EEDaSM_SN_EUlSM_E0_NS1_11comp_targetILNS1_3genE4ELNS1_11target_archE910ELNS1_3gpuE8ELNS1_3repE0EEENS1_30default_config_static_selectorELNS0_4arch9wavefront6targetE1EEEvT1_
; %bb.0:
	s_load_dwordx4 s[20:23], s[4:5], 0x0
	v_lshlrev_b32_e32 v20, 2, v0
	s_waitcnt lgkmcnt(0)
	s_load_dword s23, s[20:21], 0x0
	v_cmp_gt_u32_e32 vcc, s22, v0
	s_waitcnt lgkmcnt(0)
	v_mov_b32_e32 v1, s23
	s_and_saveexec_b64 s[0:1], vcc
	s_cbranch_execz .LBB6779_2
; %bb.1:
	global_load_dword v1, v20, s[20:21]
.LBB6779_2:
	s_or_b64 exec, exec, s[0:1]
	v_or_b32_e32 v2, 0x80, v0
	v_cmp_gt_u32_e64 s[0:1], s22, v2
	v_mov_b32_e32 v2, s23
	s_and_saveexec_b64 s[2:3], s[0:1]
	s_cbranch_execz .LBB6779_4
; %bb.3:
	global_load_dword v2, v20, s[20:21] offset:512
.LBB6779_4:
	s_or_b64 exec, exec, s[2:3]
	v_or_b32_e32 v3, 0x100, v0
	v_cmp_gt_u32_e64 s[2:3], s22, v3
	v_mov_b32_e32 v3, s23
	s_and_saveexec_b64 s[6:7], s[2:3]
	s_cbranch_execz .LBB6779_6
; %bb.5:
	global_load_dword v3, v20, s[20:21] offset:1024
.LBB6779_6:
	;; [unrolled: 9-line block ×7, first 2 shown]
	s_or_b64 exec, exec, s[14:15]
	v_or_b32_e32 v10, 0x400, v0
	v_cmp_gt_u32_e64 s[14:15], s22, v10
	v_mov_b32_e32 v9, s23
	s_and_saveexec_b64 s[16:17], s[14:15]
	s_cbranch_execz .LBB6779_18
; %bb.17:
	v_lshlrev_b32_e32 v9, 2, v10
	global_load_dword v9, v9, s[20:21]
.LBB6779_18:
	s_or_b64 exec, exec, s[16:17]
	v_or_b32_e32 v11, 0x480, v0
	v_cmp_gt_u32_e64 s[16:17], s22, v11
	v_mov_b32_e32 v10, s23
	s_and_saveexec_b64 s[22:23], s[16:17]
	s_cbranch_execz .LBB6779_20
; %bb.19:
	v_lshlrev_b32_e32 v10, 2, v11
	global_load_dword v10, v10, s[20:21]
.LBB6779_20:
	s_or_b64 exec, exec, s[22:23]
	s_waitcnt vmcnt(0)
	ds_write2st64_b32 v20, v1, v2 offset1:2
	ds_write2st64_b32 v20, v3, v4 offset0:4 offset1:6
	ds_write2st64_b32 v20, v5, v6 offset0:8 offset1:10
	;; [unrolled: 1-line block ×4, first 2 shown]
	v_mad_u32_u24 v1, v0, 36, v20
	s_waitcnt lgkmcnt(0)
	s_barrier
	ds_read2_b64 v[6:9], v1 offset1:1
	ds_read2_b64 v[2:5], v1 offset0:2 offset1:3
	ds_read_b64 v[18:19], v1 offset:32
	v_lshrrev_b32_e32 v21, 3, v0
	v_and_b32_e32 v21, 12, v21
	s_waitcnt lgkmcnt(2)
	v_add_u32_e32 v1, v7, v6
	v_add_u32_e32 v14, v1, v8
	v_add_u32_e32 v15, v14, v9
	s_waitcnt lgkmcnt(1)
	v_add_u32_e32 v10, v15, v2
	v_add_u32_e32 v11, v10, v3
	;; [unrolled: 1-line block ×4, first 2 shown]
	s_waitcnt lgkmcnt(0)
	v_add_u32_e32 v16, v13, v18
	v_add_u32_e32 v17, v16, v19
	;; [unrolled: 1-line block ×3, first 2 shown]
	v_cmp_gt_u32_e64 s[20:21], 64, v0
	s_barrier
	ds_write_b32 v21, v17
	s_waitcnt lgkmcnt(0)
	s_barrier
	s_and_saveexec_b64 s[22:23], s[20:21]
	s_cbranch_execz .LBB6779_22
; %bb.21:
	v_lshlrev_b32_e32 v21, 1, v0
	v_lshrrev_b32_e32 v22, 4, v0
	v_add_lshl_u32 v21, v22, v21, 2
	ds_read2_b32 v[22:23], v21 offset1:1
	v_mbcnt_lo_u32_b32 v24, -1, 0
	v_mbcnt_hi_u32_b32 v24, -1, v24
	v_and_b32_e32 v25, 15, v24
	v_cmp_ne_u32_e64 s[20:21], 0, v25
	s_waitcnt lgkmcnt(0)
	v_add_u32_e32 v23, v23, v22
	; wave barrier
	s_nop 1
	v_mov_b32_dpp v26, v23 row_shr:1 row_mask:0xf bank_mask:0xf
	v_cndmask_b32_e64 v26, 0, v26, s[20:21]
	v_add_u32_e32 v23, v26, v23
	v_cmp_lt_u32_e64 s[20:21], 1, v25
	s_nop 0
	v_mov_b32_dpp v26, v23 row_shr:2 row_mask:0xf bank_mask:0xf
	v_cndmask_b32_e64 v26, 0, v26, s[20:21]
	v_add_u32_e32 v23, v23, v26
	v_cmp_lt_u32_e64 s[20:21], 3, v25
	;; [unrolled: 5-line block ×3, first 2 shown]
	s_nop 0
	v_mov_b32_dpp v26, v23 row_shr:8 row_mask:0xf bank_mask:0xf
	v_cndmask_b32_e64 v25, 0, v26, s[20:21]
	v_add_u32_e32 v23, v23, v25
	v_bfe_i32 v26, v24, 4, 1
	v_cmp_lt_u32_e64 s[20:21], 31, v24
	v_mov_b32_dpp v25, v23 row_bcast:15 row_mask:0xf bank_mask:0xf
	v_and_b32_e32 v25, v26, v25
	v_add_u32_e32 v23, v23, v25
	v_and_b32_e32 v26, 64, v24
	s_nop 0
	v_mov_b32_dpp v25, v23 row_bcast:31 row_mask:0xf bank_mask:0xf
	v_cndmask_b32_e64 v25, 0, v25, s[20:21]
	v_add_u32_e32 v23, v23, v25
	v_add_u32_e32 v25, -1, v24
	v_cmp_lt_i32_e64 s[20:21], v25, v26
	v_cndmask_b32_e64 v24, v25, v24, s[20:21]
	v_lshlrev_b32_e32 v24, 2, v24
	ds_bpermute_b32 v23, v24, v23
	v_cmp_eq_u32_e64 s[20:21], 0, v0
	s_waitcnt lgkmcnt(0)
	v_add_u32_e32 v22, v23, v22
	v_cndmask_b32_e64 v22, v22, v17, s[20:21]
	ds_write_b32 v21, v22
	; wave barrier
	ds_read_b32 v23, v21 offset:4
	s_waitcnt lgkmcnt(0)
	v_add_u32_e32 v22, v23, v22
	ds_write_b32 v21, v22 offset:4
.LBB6779_22:
	s_or_b64 exec, exec, s[22:23]
	s_load_dwordx2 s[20:21], s[4:5], 0x18
	v_cmp_ne_u32_e64 s[4:5], 0, v0
	v_mov_b32_e32 v22, v17
	s_waitcnt lgkmcnt(0)
	s_barrier
	s_and_saveexec_b64 s[22:23], s[4:5]
	s_cbranch_execz .LBB6779_24
; %bb.23:
	v_add_u32_e32 v21, -1, v0
	v_lshrrev_b32_e32 v22, 5, v21
	v_add_lshl_u32 v21, v22, v21, 2
	ds_read_b32 v22, v21
.LBB6779_24:
	s_or_b64 exec, exec, s[22:23]
	v_mul_u32_u24_e32 v21, 36, v0
	v_mov_b32_e32 v0, v6
	s_and_saveexec_b64 s[22:23], s[4:5]
	s_cbranch_execz .LBB6779_26
; %bb.25:
	s_waitcnt lgkmcnt(0)
	v_add_u32_e32 v0, v22, v6
	v_add_u32_e32 v1, v0, v7
	;; [unrolled: 1-line block ×10, first 2 shown]
	;;#ASMSTART
	;;#ASMEND
.LBB6779_26:
	s_or_b64 exec, exec, s[22:23]
	v_add_u32_e32 v2, v20, v21
	s_waitcnt lgkmcnt(0)
	s_barrier
	ds_write2_b64 v2, v[0:1], v[14:15] offset1:1
	ds_write2_b64 v2, v[10:11], v[12:13] offset0:2 offset1:3
	ds_write_b64 v2, v[16:17] offset:32
	s_waitcnt lgkmcnt(0)
	s_barrier
	ds_read2st64_b32 v[8:9], v20 offset0:2 offset1:4
	ds_read2st64_b32 v[6:7], v20 offset0:6 offset1:8
	;; [unrolled: 1-line block ×4, first 2 shown]
	ds_read_b32 v10, v20 offset:4608
	v_mov_b32_e32 v1, s21
	v_add_co_u32_e64 v0, s[4:5], s20, v20
	v_addc_co_u32_e64 v1, s[4:5], 0, v1, s[4:5]
	s_and_saveexec_b64 s[4:5], vcc
	s_cbranch_execnz .LBB6779_37
; %bb.27:
	s_or_b64 exec, exec, s[4:5]
	s_and_saveexec_b64 s[4:5], s[0:1]
	s_cbranch_execnz .LBB6779_38
.LBB6779_28:
	s_or_b64 exec, exec, s[4:5]
	s_and_saveexec_b64 s[0:1], s[2:3]
	s_cbranch_execnz .LBB6779_39
.LBB6779_29:
	s_or_b64 exec, exec, s[0:1]
	s_and_saveexec_b64 s[0:1], s[18:19]
	s_cbranch_execnz .LBB6779_40
.LBB6779_30:
	s_or_b64 exec, exec, s[0:1]
	s_and_saveexec_b64 s[0:1], s[6:7]
	s_cbranch_execnz .LBB6779_41
.LBB6779_31:
	s_or_b64 exec, exec, s[0:1]
	s_and_saveexec_b64 s[0:1], s[8:9]
	s_cbranch_execnz .LBB6779_42
.LBB6779_32:
	s_or_b64 exec, exec, s[0:1]
	s_and_saveexec_b64 s[0:1], s[10:11]
	s_cbranch_execnz .LBB6779_43
.LBB6779_33:
	s_or_b64 exec, exec, s[0:1]
	s_and_saveexec_b64 s[0:1], s[12:13]
	s_cbranch_execnz .LBB6779_44
.LBB6779_34:
	s_or_b64 exec, exec, s[0:1]
	s_and_saveexec_b64 s[0:1], s[14:15]
	s_cbranch_execnz .LBB6779_45
.LBB6779_35:
	s_or_b64 exec, exec, s[0:1]
	s_and_saveexec_b64 s[0:1], s[16:17]
	s_cbranch_execnz .LBB6779_46
.LBB6779_36:
	s_endpgm
.LBB6779_37:
	ds_read_b32 v11, v20
	s_waitcnt lgkmcnt(0)
	global_store_dword v[0:1], v11, off
	s_or_b64 exec, exec, s[4:5]
	s_and_saveexec_b64 s[4:5], s[0:1]
	s_cbranch_execz .LBB6779_28
.LBB6779_38:
	s_waitcnt lgkmcnt(4)
	global_store_dword v[0:1], v8, off offset:512
	s_or_b64 exec, exec, s[4:5]
	s_and_saveexec_b64 s[0:1], s[2:3]
	s_cbranch_execz .LBB6779_29
.LBB6779_39:
	s_waitcnt lgkmcnt(4)
	global_store_dword v[0:1], v9, off offset:1024
	s_or_b64 exec, exec, s[0:1]
	s_and_saveexec_b64 s[0:1], s[18:19]
	s_cbranch_execz .LBB6779_30
.LBB6779_40:
	s_waitcnt lgkmcnt(3)
	global_store_dword v[0:1], v6, off offset:1536
	s_or_b64 exec, exec, s[0:1]
	s_and_saveexec_b64 s[0:1], s[6:7]
	s_cbranch_execz .LBB6779_31
.LBB6779_41:
	s_waitcnt lgkmcnt(3)
	global_store_dword v[0:1], v7, off offset:2048
	s_or_b64 exec, exec, s[0:1]
	s_and_saveexec_b64 s[0:1], s[8:9]
	s_cbranch_execz .LBB6779_32
.LBB6779_42:
	s_waitcnt lgkmcnt(2)
	global_store_dword v[0:1], v4, off offset:2560
	s_or_b64 exec, exec, s[0:1]
	s_and_saveexec_b64 s[0:1], s[10:11]
	s_cbranch_execz .LBB6779_33
.LBB6779_43:
	s_waitcnt lgkmcnt(2)
	global_store_dword v[0:1], v5, off offset:3072
	s_or_b64 exec, exec, s[0:1]
	s_and_saveexec_b64 s[0:1], s[12:13]
	s_cbranch_execz .LBB6779_34
.LBB6779_44:
	s_waitcnt lgkmcnt(1)
	global_store_dword v[0:1], v2, off offset:3584
	s_or_b64 exec, exec, s[0:1]
	s_and_saveexec_b64 s[0:1], s[14:15]
	s_cbranch_execz .LBB6779_35
.LBB6779_45:
	s_waitcnt lgkmcnt(2)
	v_add_co_u32_e32 v4, vcc, 0x1000, v0
	v_addc_co_u32_e32 v5, vcc, 0, v1, vcc
	s_waitcnt lgkmcnt(1)
	global_store_dword v[4:5], v3, off
	s_or_b64 exec, exec, s[0:1]
	s_and_saveexec_b64 s[0:1], s[16:17]
	s_cbranch_execz .LBB6779_36
.LBB6779_46:
	v_add_co_u32_e32 v0, vcc, 0x1000, v0
	v_addc_co_u32_e32 v1, vcc, 0, v1, vcc
	s_waitcnt lgkmcnt(0)
	global_store_dword v[0:1], v10, off offset:512
	s_endpgm
	.section	.rodata,"a",@progbits
	.p2align	6, 0x0
	.amdhsa_kernel _ZN7rocprim17ROCPRIM_400000_NS6detail17trampoline_kernelINS0_14default_configENS1_20scan_config_selectorIiEEZZNS1_9scan_implILNS1_25lookback_scan_determinismE0ELb0ELb0ES3_N6thrust23THRUST_200600_302600_NS10device_ptrIiEESB_iNS9_4plusIvEEiEEDaPvRmT3_T4_T5_mT6_P12ihipStream_tbENKUlT_T0_E_clISt17integral_constantIbLb1EESR_EEDaSM_SN_EUlSM_E0_NS1_11comp_targetILNS1_3genE4ELNS1_11target_archE910ELNS1_3gpuE8ELNS1_3repE0EEENS1_30default_config_static_selectorELNS0_4arch9wavefront6targetE1EEEvT1_
		.amdhsa_group_segment_fixed_size 5120
		.amdhsa_private_segment_fixed_size 0
		.amdhsa_kernarg_size 32
		.amdhsa_user_sgpr_count 6
		.amdhsa_user_sgpr_private_segment_buffer 1
		.amdhsa_user_sgpr_dispatch_ptr 0
		.amdhsa_user_sgpr_queue_ptr 0
		.amdhsa_user_sgpr_kernarg_segment_ptr 1
		.amdhsa_user_sgpr_dispatch_id 0
		.amdhsa_user_sgpr_flat_scratch_init 0
		.amdhsa_user_sgpr_kernarg_preload_length 0
		.amdhsa_user_sgpr_kernarg_preload_offset 0
		.amdhsa_user_sgpr_private_segment_size 0
		.amdhsa_uses_dynamic_stack 0
		.amdhsa_system_sgpr_private_segment_wavefront_offset 0
		.amdhsa_system_sgpr_workgroup_id_x 1
		.amdhsa_system_sgpr_workgroup_id_y 0
		.amdhsa_system_sgpr_workgroup_id_z 0
		.amdhsa_system_sgpr_workgroup_info 0
		.amdhsa_system_vgpr_workitem_id 0
		.amdhsa_next_free_vgpr 27
		.amdhsa_next_free_sgpr 24
		.amdhsa_accum_offset 28
		.amdhsa_reserve_vcc 1
		.amdhsa_reserve_flat_scratch 0
		.amdhsa_float_round_mode_32 0
		.amdhsa_float_round_mode_16_64 0
		.amdhsa_float_denorm_mode_32 3
		.amdhsa_float_denorm_mode_16_64 3
		.amdhsa_dx10_clamp 1
		.amdhsa_ieee_mode 1
		.amdhsa_fp16_overflow 0
		.amdhsa_tg_split 0
		.amdhsa_exception_fp_ieee_invalid_op 0
		.amdhsa_exception_fp_denorm_src 0
		.amdhsa_exception_fp_ieee_div_zero 0
		.amdhsa_exception_fp_ieee_overflow 0
		.amdhsa_exception_fp_ieee_underflow 0
		.amdhsa_exception_fp_ieee_inexact 0
		.amdhsa_exception_int_div_zero 0
	.end_amdhsa_kernel
	.section	.text._ZN7rocprim17ROCPRIM_400000_NS6detail17trampoline_kernelINS0_14default_configENS1_20scan_config_selectorIiEEZZNS1_9scan_implILNS1_25lookback_scan_determinismE0ELb0ELb0ES3_N6thrust23THRUST_200600_302600_NS10device_ptrIiEESB_iNS9_4plusIvEEiEEDaPvRmT3_T4_T5_mT6_P12ihipStream_tbENKUlT_T0_E_clISt17integral_constantIbLb1EESR_EEDaSM_SN_EUlSM_E0_NS1_11comp_targetILNS1_3genE4ELNS1_11target_archE910ELNS1_3gpuE8ELNS1_3repE0EEENS1_30default_config_static_selectorELNS0_4arch9wavefront6targetE1EEEvT1_,"axG",@progbits,_ZN7rocprim17ROCPRIM_400000_NS6detail17trampoline_kernelINS0_14default_configENS1_20scan_config_selectorIiEEZZNS1_9scan_implILNS1_25lookback_scan_determinismE0ELb0ELb0ES3_N6thrust23THRUST_200600_302600_NS10device_ptrIiEESB_iNS9_4plusIvEEiEEDaPvRmT3_T4_T5_mT6_P12ihipStream_tbENKUlT_T0_E_clISt17integral_constantIbLb1EESR_EEDaSM_SN_EUlSM_E0_NS1_11comp_targetILNS1_3genE4ELNS1_11target_archE910ELNS1_3gpuE8ELNS1_3repE0EEENS1_30default_config_static_selectorELNS0_4arch9wavefront6targetE1EEEvT1_,comdat
.Lfunc_end6779:
	.size	_ZN7rocprim17ROCPRIM_400000_NS6detail17trampoline_kernelINS0_14default_configENS1_20scan_config_selectorIiEEZZNS1_9scan_implILNS1_25lookback_scan_determinismE0ELb0ELb0ES3_N6thrust23THRUST_200600_302600_NS10device_ptrIiEESB_iNS9_4plusIvEEiEEDaPvRmT3_T4_T5_mT6_P12ihipStream_tbENKUlT_T0_E_clISt17integral_constantIbLb1EESR_EEDaSM_SN_EUlSM_E0_NS1_11comp_targetILNS1_3genE4ELNS1_11target_archE910ELNS1_3gpuE8ELNS1_3repE0EEENS1_30default_config_static_selectorELNS0_4arch9wavefront6targetE1EEEvT1_, .Lfunc_end6779-_ZN7rocprim17ROCPRIM_400000_NS6detail17trampoline_kernelINS0_14default_configENS1_20scan_config_selectorIiEEZZNS1_9scan_implILNS1_25lookback_scan_determinismE0ELb0ELb0ES3_N6thrust23THRUST_200600_302600_NS10device_ptrIiEESB_iNS9_4plusIvEEiEEDaPvRmT3_T4_T5_mT6_P12ihipStream_tbENKUlT_T0_E_clISt17integral_constantIbLb1EESR_EEDaSM_SN_EUlSM_E0_NS1_11comp_targetILNS1_3genE4ELNS1_11target_archE910ELNS1_3gpuE8ELNS1_3repE0EEENS1_30default_config_static_selectorELNS0_4arch9wavefront6targetE1EEEvT1_
                                        ; -- End function
	.section	.AMDGPU.csdata,"",@progbits
; Kernel info:
; codeLenInByte = 1556
; NumSgprs: 28
; NumVgprs: 27
; NumAgprs: 0
; TotalNumVgprs: 27
; ScratchSize: 0
; MemoryBound: 0
; FloatMode: 240
; IeeeMode: 1
; LDSByteSize: 5120 bytes/workgroup (compile time only)
; SGPRBlocks: 3
; VGPRBlocks: 3
; NumSGPRsForWavesPerEU: 28
; NumVGPRsForWavesPerEU: 27
; AccumOffset: 28
; Occupancy: 6
; WaveLimiterHint : 0
; COMPUTE_PGM_RSRC2:SCRATCH_EN: 0
; COMPUTE_PGM_RSRC2:USER_SGPR: 6
; COMPUTE_PGM_RSRC2:TRAP_HANDLER: 0
; COMPUTE_PGM_RSRC2:TGID_X_EN: 1
; COMPUTE_PGM_RSRC2:TGID_Y_EN: 0
; COMPUTE_PGM_RSRC2:TGID_Z_EN: 0
; COMPUTE_PGM_RSRC2:TIDIG_COMP_CNT: 0
; COMPUTE_PGM_RSRC3_GFX90A:ACCUM_OFFSET: 6
; COMPUTE_PGM_RSRC3_GFX90A:TG_SPLIT: 0
	.section	.text._ZN7rocprim17ROCPRIM_400000_NS6detail17trampoline_kernelINS0_14default_configENS1_20scan_config_selectorIiEEZZNS1_9scan_implILNS1_25lookback_scan_determinismE0ELb0ELb0ES3_N6thrust23THRUST_200600_302600_NS10device_ptrIiEESB_iNS9_4plusIvEEiEEDaPvRmT3_T4_T5_mT6_P12ihipStream_tbENKUlT_T0_E_clISt17integral_constantIbLb1EESR_EEDaSM_SN_EUlSM_E0_NS1_11comp_targetILNS1_3genE3ELNS1_11target_archE908ELNS1_3gpuE7ELNS1_3repE0EEENS1_30default_config_static_selectorELNS0_4arch9wavefront6targetE1EEEvT1_,"axG",@progbits,_ZN7rocprim17ROCPRIM_400000_NS6detail17trampoline_kernelINS0_14default_configENS1_20scan_config_selectorIiEEZZNS1_9scan_implILNS1_25lookback_scan_determinismE0ELb0ELb0ES3_N6thrust23THRUST_200600_302600_NS10device_ptrIiEESB_iNS9_4plusIvEEiEEDaPvRmT3_T4_T5_mT6_P12ihipStream_tbENKUlT_T0_E_clISt17integral_constantIbLb1EESR_EEDaSM_SN_EUlSM_E0_NS1_11comp_targetILNS1_3genE3ELNS1_11target_archE908ELNS1_3gpuE7ELNS1_3repE0EEENS1_30default_config_static_selectorELNS0_4arch9wavefront6targetE1EEEvT1_,comdat
	.protected	_ZN7rocprim17ROCPRIM_400000_NS6detail17trampoline_kernelINS0_14default_configENS1_20scan_config_selectorIiEEZZNS1_9scan_implILNS1_25lookback_scan_determinismE0ELb0ELb0ES3_N6thrust23THRUST_200600_302600_NS10device_ptrIiEESB_iNS9_4plusIvEEiEEDaPvRmT3_T4_T5_mT6_P12ihipStream_tbENKUlT_T0_E_clISt17integral_constantIbLb1EESR_EEDaSM_SN_EUlSM_E0_NS1_11comp_targetILNS1_3genE3ELNS1_11target_archE908ELNS1_3gpuE7ELNS1_3repE0EEENS1_30default_config_static_selectorELNS0_4arch9wavefront6targetE1EEEvT1_ ; -- Begin function _ZN7rocprim17ROCPRIM_400000_NS6detail17trampoline_kernelINS0_14default_configENS1_20scan_config_selectorIiEEZZNS1_9scan_implILNS1_25lookback_scan_determinismE0ELb0ELb0ES3_N6thrust23THRUST_200600_302600_NS10device_ptrIiEESB_iNS9_4plusIvEEiEEDaPvRmT3_T4_T5_mT6_P12ihipStream_tbENKUlT_T0_E_clISt17integral_constantIbLb1EESR_EEDaSM_SN_EUlSM_E0_NS1_11comp_targetILNS1_3genE3ELNS1_11target_archE908ELNS1_3gpuE7ELNS1_3repE0EEENS1_30default_config_static_selectorELNS0_4arch9wavefront6targetE1EEEvT1_
	.globl	_ZN7rocprim17ROCPRIM_400000_NS6detail17trampoline_kernelINS0_14default_configENS1_20scan_config_selectorIiEEZZNS1_9scan_implILNS1_25lookback_scan_determinismE0ELb0ELb0ES3_N6thrust23THRUST_200600_302600_NS10device_ptrIiEESB_iNS9_4plusIvEEiEEDaPvRmT3_T4_T5_mT6_P12ihipStream_tbENKUlT_T0_E_clISt17integral_constantIbLb1EESR_EEDaSM_SN_EUlSM_E0_NS1_11comp_targetILNS1_3genE3ELNS1_11target_archE908ELNS1_3gpuE7ELNS1_3repE0EEENS1_30default_config_static_selectorELNS0_4arch9wavefront6targetE1EEEvT1_
	.p2align	8
	.type	_ZN7rocprim17ROCPRIM_400000_NS6detail17trampoline_kernelINS0_14default_configENS1_20scan_config_selectorIiEEZZNS1_9scan_implILNS1_25lookback_scan_determinismE0ELb0ELb0ES3_N6thrust23THRUST_200600_302600_NS10device_ptrIiEESB_iNS9_4plusIvEEiEEDaPvRmT3_T4_T5_mT6_P12ihipStream_tbENKUlT_T0_E_clISt17integral_constantIbLb1EESR_EEDaSM_SN_EUlSM_E0_NS1_11comp_targetILNS1_3genE3ELNS1_11target_archE908ELNS1_3gpuE7ELNS1_3repE0EEENS1_30default_config_static_selectorELNS0_4arch9wavefront6targetE1EEEvT1_,@function
_ZN7rocprim17ROCPRIM_400000_NS6detail17trampoline_kernelINS0_14default_configENS1_20scan_config_selectorIiEEZZNS1_9scan_implILNS1_25lookback_scan_determinismE0ELb0ELb0ES3_N6thrust23THRUST_200600_302600_NS10device_ptrIiEESB_iNS9_4plusIvEEiEEDaPvRmT3_T4_T5_mT6_P12ihipStream_tbENKUlT_T0_E_clISt17integral_constantIbLb1EESR_EEDaSM_SN_EUlSM_E0_NS1_11comp_targetILNS1_3genE3ELNS1_11target_archE908ELNS1_3gpuE7ELNS1_3repE0EEENS1_30default_config_static_selectorELNS0_4arch9wavefront6targetE1EEEvT1_: ; @_ZN7rocprim17ROCPRIM_400000_NS6detail17trampoline_kernelINS0_14default_configENS1_20scan_config_selectorIiEEZZNS1_9scan_implILNS1_25lookback_scan_determinismE0ELb0ELb0ES3_N6thrust23THRUST_200600_302600_NS10device_ptrIiEESB_iNS9_4plusIvEEiEEDaPvRmT3_T4_T5_mT6_P12ihipStream_tbENKUlT_T0_E_clISt17integral_constantIbLb1EESR_EEDaSM_SN_EUlSM_E0_NS1_11comp_targetILNS1_3genE3ELNS1_11target_archE908ELNS1_3gpuE7ELNS1_3repE0EEENS1_30default_config_static_selectorELNS0_4arch9wavefront6targetE1EEEvT1_
; %bb.0:
	.section	.rodata,"a",@progbits
	.p2align	6, 0x0
	.amdhsa_kernel _ZN7rocprim17ROCPRIM_400000_NS6detail17trampoline_kernelINS0_14default_configENS1_20scan_config_selectorIiEEZZNS1_9scan_implILNS1_25lookback_scan_determinismE0ELb0ELb0ES3_N6thrust23THRUST_200600_302600_NS10device_ptrIiEESB_iNS9_4plusIvEEiEEDaPvRmT3_T4_T5_mT6_P12ihipStream_tbENKUlT_T0_E_clISt17integral_constantIbLb1EESR_EEDaSM_SN_EUlSM_E0_NS1_11comp_targetILNS1_3genE3ELNS1_11target_archE908ELNS1_3gpuE7ELNS1_3repE0EEENS1_30default_config_static_selectorELNS0_4arch9wavefront6targetE1EEEvT1_
		.amdhsa_group_segment_fixed_size 0
		.amdhsa_private_segment_fixed_size 0
		.amdhsa_kernarg_size 32
		.amdhsa_user_sgpr_count 6
		.amdhsa_user_sgpr_private_segment_buffer 1
		.amdhsa_user_sgpr_dispatch_ptr 0
		.amdhsa_user_sgpr_queue_ptr 0
		.amdhsa_user_sgpr_kernarg_segment_ptr 1
		.amdhsa_user_sgpr_dispatch_id 0
		.amdhsa_user_sgpr_flat_scratch_init 0
		.amdhsa_user_sgpr_kernarg_preload_length 0
		.amdhsa_user_sgpr_kernarg_preload_offset 0
		.amdhsa_user_sgpr_private_segment_size 0
		.amdhsa_uses_dynamic_stack 0
		.amdhsa_system_sgpr_private_segment_wavefront_offset 0
		.amdhsa_system_sgpr_workgroup_id_x 1
		.amdhsa_system_sgpr_workgroup_id_y 0
		.amdhsa_system_sgpr_workgroup_id_z 0
		.amdhsa_system_sgpr_workgroup_info 0
		.amdhsa_system_vgpr_workitem_id 0
		.amdhsa_next_free_vgpr 1
		.amdhsa_next_free_sgpr 0
		.amdhsa_accum_offset 4
		.amdhsa_reserve_vcc 0
		.amdhsa_reserve_flat_scratch 0
		.amdhsa_float_round_mode_32 0
		.amdhsa_float_round_mode_16_64 0
		.amdhsa_float_denorm_mode_32 3
		.amdhsa_float_denorm_mode_16_64 3
		.amdhsa_dx10_clamp 1
		.amdhsa_ieee_mode 1
		.amdhsa_fp16_overflow 0
		.amdhsa_tg_split 0
		.amdhsa_exception_fp_ieee_invalid_op 0
		.amdhsa_exception_fp_denorm_src 0
		.amdhsa_exception_fp_ieee_div_zero 0
		.amdhsa_exception_fp_ieee_overflow 0
		.amdhsa_exception_fp_ieee_underflow 0
		.amdhsa_exception_fp_ieee_inexact 0
		.amdhsa_exception_int_div_zero 0
	.end_amdhsa_kernel
	.section	.text._ZN7rocprim17ROCPRIM_400000_NS6detail17trampoline_kernelINS0_14default_configENS1_20scan_config_selectorIiEEZZNS1_9scan_implILNS1_25lookback_scan_determinismE0ELb0ELb0ES3_N6thrust23THRUST_200600_302600_NS10device_ptrIiEESB_iNS9_4plusIvEEiEEDaPvRmT3_T4_T5_mT6_P12ihipStream_tbENKUlT_T0_E_clISt17integral_constantIbLb1EESR_EEDaSM_SN_EUlSM_E0_NS1_11comp_targetILNS1_3genE3ELNS1_11target_archE908ELNS1_3gpuE7ELNS1_3repE0EEENS1_30default_config_static_selectorELNS0_4arch9wavefront6targetE1EEEvT1_,"axG",@progbits,_ZN7rocprim17ROCPRIM_400000_NS6detail17trampoline_kernelINS0_14default_configENS1_20scan_config_selectorIiEEZZNS1_9scan_implILNS1_25lookback_scan_determinismE0ELb0ELb0ES3_N6thrust23THRUST_200600_302600_NS10device_ptrIiEESB_iNS9_4plusIvEEiEEDaPvRmT3_T4_T5_mT6_P12ihipStream_tbENKUlT_T0_E_clISt17integral_constantIbLb1EESR_EEDaSM_SN_EUlSM_E0_NS1_11comp_targetILNS1_3genE3ELNS1_11target_archE908ELNS1_3gpuE7ELNS1_3repE0EEENS1_30default_config_static_selectorELNS0_4arch9wavefront6targetE1EEEvT1_,comdat
.Lfunc_end6780:
	.size	_ZN7rocprim17ROCPRIM_400000_NS6detail17trampoline_kernelINS0_14default_configENS1_20scan_config_selectorIiEEZZNS1_9scan_implILNS1_25lookback_scan_determinismE0ELb0ELb0ES3_N6thrust23THRUST_200600_302600_NS10device_ptrIiEESB_iNS9_4plusIvEEiEEDaPvRmT3_T4_T5_mT6_P12ihipStream_tbENKUlT_T0_E_clISt17integral_constantIbLb1EESR_EEDaSM_SN_EUlSM_E0_NS1_11comp_targetILNS1_3genE3ELNS1_11target_archE908ELNS1_3gpuE7ELNS1_3repE0EEENS1_30default_config_static_selectorELNS0_4arch9wavefront6targetE1EEEvT1_, .Lfunc_end6780-_ZN7rocprim17ROCPRIM_400000_NS6detail17trampoline_kernelINS0_14default_configENS1_20scan_config_selectorIiEEZZNS1_9scan_implILNS1_25lookback_scan_determinismE0ELb0ELb0ES3_N6thrust23THRUST_200600_302600_NS10device_ptrIiEESB_iNS9_4plusIvEEiEEDaPvRmT3_T4_T5_mT6_P12ihipStream_tbENKUlT_T0_E_clISt17integral_constantIbLb1EESR_EEDaSM_SN_EUlSM_E0_NS1_11comp_targetILNS1_3genE3ELNS1_11target_archE908ELNS1_3gpuE7ELNS1_3repE0EEENS1_30default_config_static_selectorELNS0_4arch9wavefront6targetE1EEEvT1_
                                        ; -- End function
	.section	.AMDGPU.csdata,"",@progbits
; Kernel info:
; codeLenInByte = 0
; NumSgprs: 4
; NumVgprs: 0
; NumAgprs: 0
; TotalNumVgprs: 0
; ScratchSize: 0
; MemoryBound: 0
; FloatMode: 240
; IeeeMode: 1
; LDSByteSize: 0 bytes/workgroup (compile time only)
; SGPRBlocks: 0
; VGPRBlocks: 0
; NumSGPRsForWavesPerEU: 4
; NumVGPRsForWavesPerEU: 1
; AccumOffset: 4
; Occupancy: 8
; WaveLimiterHint : 0
; COMPUTE_PGM_RSRC2:SCRATCH_EN: 0
; COMPUTE_PGM_RSRC2:USER_SGPR: 6
; COMPUTE_PGM_RSRC2:TRAP_HANDLER: 0
; COMPUTE_PGM_RSRC2:TGID_X_EN: 1
; COMPUTE_PGM_RSRC2:TGID_Y_EN: 0
; COMPUTE_PGM_RSRC2:TGID_Z_EN: 0
; COMPUTE_PGM_RSRC2:TIDIG_COMP_CNT: 0
; COMPUTE_PGM_RSRC3_GFX90A:ACCUM_OFFSET: 0
; COMPUTE_PGM_RSRC3_GFX90A:TG_SPLIT: 0
	.section	.text._ZN7rocprim17ROCPRIM_400000_NS6detail17trampoline_kernelINS0_14default_configENS1_20scan_config_selectorIiEEZZNS1_9scan_implILNS1_25lookback_scan_determinismE0ELb0ELb0ES3_N6thrust23THRUST_200600_302600_NS10device_ptrIiEESB_iNS9_4plusIvEEiEEDaPvRmT3_T4_T5_mT6_P12ihipStream_tbENKUlT_T0_E_clISt17integral_constantIbLb1EESR_EEDaSM_SN_EUlSM_E0_NS1_11comp_targetILNS1_3genE2ELNS1_11target_archE906ELNS1_3gpuE6ELNS1_3repE0EEENS1_30default_config_static_selectorELNS0_4arch9wavefront6targetE1EEEvT1_,"axG",@progbits,_ZN7rocprim17ROCPRIM_400000_NS6detail17trampoline_kernelINS0_14default_configENS1_20scan_config_selectorIiEEZZNS1_9scan_implILNS1_25lookback_scan_determinismE0ELb0ELb0ES3_N6thrust23THRUST_200600_302600_NS10device_ptrIiEESB_iNS9_4plusIvEEiEEDaPvRmT3_T4_T5_mT6_P12ihipStream_tbENKUlT_T0_E_clISt17integral_constantIbLb1EESR_EEDaSM_SN_EUlSM_E0_NS1_11comp_targetILNS1_3genE2ELNS1_11target_archE906ELNS1_3gpuE6ELNS1_3repE0EEENS1_30default_config_static_selectorELNS0_4arch9wavefront6targetE1EEEvT1_,comdat
	.protected	_ZN7rocprim17ROCPRIM_400000_NS6detail17trampoline_kernelINS0_14default_configENS1_20scan_config_selectorIiEEZZNS1_9scan_implILNS1_25lookback_scan_determinismE0ELb0ELb0ES3_N6thrust23THRUST_200600_302600_NS10device_ptrIiEESB_iNS9_4plusIvEEiEEDaPvRmT3_T4_T5_mT6_P12ihipStream_tbENKUlT_T0_E_clISt17integral_constantIbLb1EESR_EEDaSM_SN_EUlSM_E0_NS1_11comp_targetILNS1_3genE2ELNS1_11target_archE906ELNS1_3gpuE6ELNS1_3repE0EEENS1_30default_config_static_selectorELNS0_4arch9wavefront6targetE1EEEvT1_ ; -- Begin function _ZN7rocprim17ROCPRIM_400000_NS6detail17trampoline_kernelINS0_14default_configENS1_20scan_config_selectorIiEEZZNS1_9scan_implILNS1_25lookback_scan_determinismE0ELb0ELb0ES3_N6thrust23THRUST_200600_302600_NS10device_ptrIiEESB_iNS9_4plusIvEEiEEDaPvRmT3_T4_T5_mT6_P12ihipStream_tbENKUlT_T0_E_clISt17integral_constantIbLb1EESR_EEDaSM_SN_EUlSM_E0_NS1_11comp_targetILNS1_3genE2ELNS1_11target_archE906ELNS1_3gpuE6ELNS1_3repE0EEENS1_30default_config_static_selectorELNS0_4arch9wavefront6targetE1EEEvT1_
	.globl	_ZN7rocprim17ROCPRIM_400000_NS6detail17trampoline_kernelINS0_14default_configENS1_20scan_config_selectorIiEEZZNS1_9scan_implILNS1_25lookback_scan_determinismE0ELb0ELb0ES3_N6thrust23THRUST_200600_302600_NS10device_ptrIiEESB_iNS9_4plusIvEEiEEDaPvRmT3_T4_T5_mT6_P12ihipStream_tbENKUlT_T0_E_clISt17integral_constantIbLb1EESR_EEDaSM_SN_EUlSM_E0_NS1_11comp_targetILNS1_3genE2ELNS1_11target_archE906ELNS1_3gpuE6ELNS1_3repE0EEENS1_30default_config_static_selectorELNS0_4arch9wavefront6targetE1EEEvT1_
	.p2align	8
	.type	_ZN7rocprim17ROCPRIM_400000_NS6detail17trampoline_kernelINS0_14default_configENS1_20scan_config_selectorIiEEZZNS1_9scan_implILNS1_25lookback_scan_determinismE0ELb0ELb0ES3_N6thrust23THRUST_200600_302600_NS10device_ptrIiEESB_iNS9_4plusIvEEiEEDaPvRmT3_T4_T5_mT6_P12ihipStream_tbENKUlT_T0_E_clISt17integral_constantIbLb1EESR_EEDaSM_SN_EUlSM_E0_NS1_11comp_targetILNS1_3genE2ELNS1_11target_archE906ELNS1_3gpuE6ELNS1_3repE0EEENS1_30default_config_static_selectorELNS0_4arch9wavefront6targetE1EEEvT1_,@function
_ZN7rocprim17ROCPRIM_400000_NS6detail17trampoline_kernelINS0_14default_configENS1_20scan_config_selectorIiEEZZNS1_9scan_implILNS1_25lookback_scan_determinismE0ELb0ELb0ES3_N6thrust23THRUST_200600_302600_NS10device_ptrIiEESB_iNS9_4plusIvEEiEEDaPvRmT3_T4_T5_mT6_P12ihipStream_tbENKUlT_T0_E_clISt17integral_constantIbLb1EESR_EEDaSM_SN_EUlSM_E0_NS1_11comp_targetILNS1_3genE2ELNS1_11target_archE906ELNS1_3gpuE6ELNS1_3repE0EEENS1_30default_config_static_selectorELNS0_4arch9wavefront6targetE1EEEvT1_: ; @_ZN7rocprim17ROCPRIM_400000_NS6detail17trampoline_kernelINS0_14default_configENS1_20scan_config_selectorIiEEZZNS1_9scan_implILNS1_25lookback_scan_determinismE0ELb0ELb0ES3_N6thrust23THRUST_200600_302600_NS10device_ptrIiEESB_iNS9_4plusIvEEiEEDaPvRmT3_T4_T5_mT6_P12ihipStream_tbENKUlT_T0_E_clISt17integral_constantIbLb1EESR_EEDaSM_SN_EUlSM_E0_NS1_11comp_targetILNS1_3genE2ELNS1_11target_archE906ELNS1_3gpuE6ELNS1_3repE0EEENS1_30default_config_static_selectorELNS0_4arch9wavefront6targetE1EEEvT1_
; %bb.0:
	.section	.rodata,"a",@progbits
	.p2align	6, 0x0
	.amdhsa_kernel _ZN7rocprim17ROCPRIM_400000_NS6detail17trampoline_kernelINS0_14default_configENS1_20scan_config_selectorIiEEZZNS1_9scan_implILNS1_25lookback_scan_determinismE0ELb0ELb0ES3_N6thrust23THRUST_200600_302600_NS10device_ptrIiEESB_iNS9_4plusIvEEiEEDaPvRmT3_T4_T5_mT6_P12ihipStream_tbENKUlT_T0_E_clISt17integral_constantIbLb1EESR_EEDaSM_SN_EUlSM_E0_NS1_11comp_targetILNS1_3genE2ELNS1_11target_archE906ELNS1_3gpuE6ELNS1_3repE0EEENS1_30default_config_static_selectorELNS0_4arch9wavefront6targetE1EEEvT1_
		.amdhsa_group_segment_fixed_size 0
		.amdhsa_private_segment_fixed_size 0
		.amdhsa_kernarg_size 32
		.amdhsa_user_sgpr_count 6
		.amdhsa_user_sgpr_private_segment_buffer 1
		.amdhsa_user_sgpr_dispatch_ptr 0
		.amdhsa_user_sgpr_queue_ptr 0
		.amdhsa_user_sgpr_kernarg_segment_ptr 1
		.amdhsa_user_sgpr_dispatch_id 0
		.amdhsa_user_sgpr_flat_scratch_init 0
		.amdhsa_user_sgpr_kernarg_preload_length 0
		.amdhsa_user_sgpr_kernarg_preload_offset 0
		.amdhsa_user_sgpr_private_segment_size 0
		.amdhsa_uses_dynamic_stack 0
		.amdhsa_system_sgpr_private_segment_wavefront_offset 0
		.amdhsa_system_sgpr_workgroup_id_x 1
		.amdhsa_system_sgpr_workgroup_id_y 0
		.amdhsa_system_sgpr_workgroup_id_z 0
		.amdhsa_system_sgpr_workgroup_info 0
		.amdhsa_system_vgpr_workitem_id 0
		.amdhsa_next_free_vgpr 1
		.amdhsa_next_free_sgpr 0
		.amdhsa_accum_offset 4
		.amdhsa_reserve_vcc 0
		.amdhsa_reserve_flat_scratch 0
		.amdhsa_float_round_mode_32 0
		.amdhsa_float_round_mode_16_64 0
		.amdhsa_float_denorm_mode_32 3
		.amdhsa_float_denorm_mode_16_64 3
		.amdhsa_dx10_clamp 1
		.amdhsa_ieee_mode 1
		.amdhsa_fp16_overflow 0
		.amdhsa_tg_split 0
		.amdhsa_exception_fp_ieee_invalid_op 0
		.amdhsa_exception_fp_denorm_src 0
		.amdhsa_exception_fp_ieee_div_zero 0
		.amdhsa_exception_fp_ieee_overflow 0
		.amdhsa_exception_fp_ieee_underflow 0
		.amdhsa_exception_fp_ieee_inexact 0
		.amdhsa_exception_int_div_zero 0
	.end_amdhsa_kernel
	.section	.text._ZN7rocprim17ROCPRIM_400000_NS6detail17trampoline_kernelINS0_14default_configENS1_20scan_config_selectorIiEEZZNS1_9scan_implILNS1_25lookback_scan_determinismE0ELb0ELb0ES3_N6thrust23THRUST_200600_302600_NS10device_ptrIiEESB_iNS9_4plusIvEEiEEDaPvRmT3_T4_T5_mT6_P12ihipStream_tbENKUlT_T0_E_clISt17integral_constantIbLb1EESR_EEDaSM_SN_EUlSM_E0_NS1_11comp_targetILNS1_3genE2ELNS1_11target_archE906ELNS1_3gpuE6ELNS1_3repE0EEENS1_30default_config_static_selectorELNS0_4arch9wavefront6targetE1EEEvT1_,"axG",@progbits,_ZN7rocprim17ROCPRIM_400000_NS6detail17trampoline_kernelINS0_14default_configENS1_20scan_config_selectorIiEEZZNS1_9scan_implILNS1_25lookback_scan_determinismE0ELb0ELb0ES3_N6thrust23THRUST_200600_302600_NS10device_ptrIiEESB_iNS9_4plusIvEEiEEDaPvRmT3_T4_T5_mT6_P12ihipStream_tbENKUlT_T0_E_clISt17integral_constantIbLb1EESR_EEDaSM_SN_EUlSM_E0_NS1_11comp_targetILNS1_3genE2ELNS1_11target_archE906ELNS1_3gpuE6ELNS1_3repE0EEENS1_30default_config_static_selectorELNS0_4arch9wavefront6targetE1EEEvT1_,comdat
.Lfunc_end6781:
	.size	_ZN7rocprim17ROCPRIM_400000_NS6detail17trampoline_kernelINS0_14default_configENS1_20scan_config_selectorIiEEZZNS1_9scan_implILNS1_25lookback_scan_determinismE0ELb0ELb0ES3_N6thrust23THRUST_200600_302600_NS10device_ptrIiEESB_iNS9_4plusIvEEiEEDaPvRmT3_T4_T5_mT6_P12ihipStream_tbENKUlT_T0_E_clISt17integral_constantIbLb1EESR_EEDaSM_SN_EUlSM_E0_NS1_11comp_targetILNS1_3genE2ELNS1_11target_archE906ELNS1_3gpuE6ELNS1_3repE0EEENS1_30default_config_static_selectorELNS0_4arch9wavefront6targetE1EEEvT1_, .Lfunc_end6781-_ZN7rocprim17ROCPRIM_400000_NS6detail17trampoline_kernelINS0_14default_configENS1_20scan_config_selectorIiEEZZNS1_9scan_implILNS1_25lookback_scan_determinismE0ELb0ELb0ES3_N6thrust23THRUST_200600_302600_NS10device_ptrIiEESB_iNS9_4plusIvEEiEEDaPvRmT3_T4_T5_mT6_P12ihipStream_tbENKUlT_T0_E_clISt17integral_constantIbLb1EESR_EEDaSM_SN_EUlSM_E0_NS1_11comp_targetILNS1_3genE2ELNS1_11target_archE906ELNS1_3gpuE6ELNS1_3repE0EEENS1_30default_config_static_selectorELNS0_4arch9wavefront6targetE1EEEvT1_
                                        ; -- End function
	.section	.AMDGPU.csdata,"",@progbits
; Kernel info:
; codeLenInByte = 0
; NumSgprs: 4
; NumVgprs: 0
; NumAgprs: 0
; TotalNumVgprs: 0
; ScratchSize: 0
; MemoryBound: 0
; FloatMode: 240
; IeeeMode: 1
; LDSByteSize: 0 bytes/workgroup (compile time only)
; SGPRBlocks: 0
; VGPRBlocks: 0
; NumSGPRsForWavesPerEU: 4
; NumVGPRsForWavesPerEU: 1
; AccumOffset: 4
; Occupancy: 8
; WaveLimiterHint : 0
; COMPUTE_PGM_RSRC2:SCRATCH_EN: 0
; COMPUTE_PGM_RSRC2:USER_SGPR: 6
; COMPUTE_PGM_RSRC2:TRAP_HANDLER: 0
; COMPUTE_PGM_RSRC2:TGID_X_EN: 1
; COMPUTE_PGM_RSRC2:TGID_Y_EN: 0
; COMPUTE_PGM_RSRC2:TGID_Z_EN: 0
; COMPUTE_PGM_RSRC2:TIDIG_COMP_CNT: 0
; COMPUTE_PGM_RSRC3_GFX90A:ACCUM_OFFSET: 0
; COMPUTE_PGM_RSRC3_GFX90A:TG_SPLIT: 0
	.section	.text._ZN7rocprim17ROCPRIM_400000_NS6detail17trampoline_kernelINS0_14default_configENS1_20scan_config_selectorIiEEZZNS1_9scan_implILNS1_25lookback_scan_determinismE0ELb0ELb0ES3_N6thrust23THRUST_200600_302600_NS10device_ptrIiEESB_iNS9_4plusIvEEiEEDaPvRmT3_T4_T5_mT6_P12ihipStream_tbENKUlT_T0_E_clISt17integral_constantIbLb1EESR_EEDaSM_SN_EUlSM_E0_NS1_11comp_targetILNS1_3genE10ELNS1_11target_archE1201ELNS1_3gpuE5ELNS1_3repE0EEENS1_30default_config_static_selectorELNS0_4arch9wavefront6targetE1EEEvT1_,"axG",@progbits,_ZN7rocprim17ROCPRIM_400000_NS6detail17trampoline_kernelINS0_14default_configENS1_20scan_config_selectorIiEEZZNS1_9scan_implILNS1_25lookback_scan_determinismE0ELb0ELb0ES3_N6thrust23THRUST_200600_302600_NS10device_ptrIiEESB_iNS9_4plusIvEEiEEDaPvRmT3_T4_T5_mT6_P12ihipStream_tbENKUlT_T0_E_clISt17integral_constantIbLb1EESR_EEDaSM_SN_EUlSM_E0_NS1_11comp_targetILNS1_3genE10ELNS1_11target_archE1201ELNS1_3gpuE5ELNS1_3repE0EEENS1_30default_config_static_selectorELNS0_4arch9wavefront6targetE1EEEvT1_,comdat
	.protected	_ZN7rocprim17ROCPRIM_400000_NS6detail17trampoline_kernelINS0_14default_configENS1_20scan_config_selectorIiEEZZNS1_9scan_implILNS1_25lookback_scan_determinismE0ELb0ELb0ES3_N6thrust23THRUST_200600_302600_NS10device_ptrIiEESB_iNS9_4plusIvEEiEEDaPvRmT3_T4_T5_mT6_P12ihipStream_tbENKUlT_T0_E_clISt17integral_constantIbLb1EESR_EEDaSM_SN_EUlSM_E0_NS1_11comp_targetILNS1_3genE10ELNS1_11target_archE1201ELNS1_3gpuE5ELNS1_3repE0EEENS1_30default_config_static_selectorELNS0_4arch9wavefront6targetE1EEEvT1_ ; -- Begin function _ZN7rocprim17ROCPRIM_400000_NS6detail17trampoline_kernelINS0_14default_configENS1_20scan_config_selectorIiEEZZNS1_9scan_implILNS1_25lookback_scan_determinismE0ELb0ELb0ES3_N6thrust23THRUST_200600_302600_NS10device_ptrIiEESB_iNS9_4plusIvEEiEEDaPvRmT3_T4_T5_mT6_P12ihipStream_tbENKUlT_T0_E_clISt17integral_constantIbLb1EESR_EEDaSM_SN_EUlSM_E0_NS1_11comp_targetILNS1_3genE10ELNS1_11target_archE1201ELNS1_3gpuE5ELNS1_3repE0EEENS1_30default_config_static_selectorELNS0_4arch9wavefront6targetE1EEEvT1_
	.globl	_ZN7rocprim17ROCPRIM_400000_NS6detail17trampoline_kernelINS0_14default_configENS1_20scan_config_selectorIiEEZZNS1_9scan_implILNS1_25lookback_scan_determinismE0ELb0ELb0ES3_N6thrust23THRUST_200600_302600_NS10device_ptrIiEESB_iNS9_4plusIvEEiEEDaPvRmT3_T4_T5_mT6_P12ihipStream_tbENKUlT_T0_E_clISt17integral_constantIbLb1EESR_EEDaSM_SN_EUlSM_E0_NS1_11comp_targetILNS1_3genE10ELNS1_11target_archE1201ELNS1_3gpuE5ELNS1_3repE0EEENS1_30default_config_static_selectorELNS0_4arch9wavefront6targetE1EEEvT1_
	.p2align	8
	.type	_ZN7rocprim17ROCPRIM_400000_NS6detail17trampoline_kernelINS0_14default_configENS1_20scan_config_selectorIiEEZZNS1_9scan_implILNS1_25lookback_scan_determinismE0ELb0ELb0ES3_N6thrust23THRUST_200600_302600_NS10device_ptrIiEESB_iNS9_4plusIvEEiEEDaPvRmT3_T4_T5_mT6_P12ihipStream_tbENKUlT_T0_E_clISt17integral_constantIbLb1EESR_EEDaSM_SN_EUlSM_E0_NS1_11comp_targetILNS1_3genE10ELNS1_11target_archE1201ELNS1_3gpuE5ELNS1_3repE0EEENS1_30default_config_static_selectorELNS0_4arch9wavefront6targetE1EEEvT1_,@function
_ZN7rocprim17ROCPRIM_400000_NS6detail17trampoline_kernelINS0_14default_configENS1_20scan_config_selectorIiEEZZNS1_9scan_implILNS1_25lookback_scan_determinismE0ELb0ELb0ES3_N6thrust23THRUST_200600_302600_NS10device_ptrIiEESB_iNS9_4plusIvEEiEEDaPvRmT3_T4_T5_mT6_P12ihipStream_tbENKUlT_T0_E_clISt17integral_constantIbLb1EESR_EEDaSM_SN_EUlSM_E0_NS1_11comp_targetILNS1_3genE10ELNS1_11target_archE1201ELNS1_3gpuE5ELNS1_3repE0EEENS1_30default_config_static_selectorELNS0_4arch9wavefront6targetE1EEEvT1_: ; @_ZN7rocprim17ROCPRIM_400000_NS6detail17trampoline_kernelINS0_14default_configENS1_20scan_config_selectorIiEEZZNS1_9scan_implILNS1_25lookback_scan_determinismE0ELb0ELb0ES3_N6thrust23THRUST_200600_302600_NS10device_ptrIiEESB_iNS9_4plusIvEEiEEDaPvRmT3_T4_T5_mT6_P12ihipStream_tbENKUlT_T0_E_clISt17integral_constantIbLb1EESR_EEDaSM_SN_EUlSM_E0_NS1_11comp_targetILNS1_3genE10ELNS1_11target_archE1201ELNS1_3gpuE5ELNS1_3repE0EEENS1_30default_config_static_selectorELNS0_4arch9wavefront6targetE1EEEvT1_
; %bb.0:
	.section	.rodata,"a",@progbits
	.p2align	6, 0x0
	.amdhsa_kernel _ZN7rocprim17ROCPRIM_400000_NS6detail17trampoline_kernelINS0_14default_configENS1_20scan_config_selectorIiEEZZNS1_9scan_implILNS1_25lookback_scan_determinismE0ELb0ELb0ES3_N6thrust23THRUST_200600_302600_NS10device_ptrIiEESB_iNS9_4plusIvEEiEEDaPvRmT3_T4_T5_mT6_P12ihipStream_tbENKUlT_T0_E_clISt17integral_constantIbLb1EESR_EEDaSM_SN_EUlSM_E0_NS1_11comp_targetILNS1_3genE10ELNS1_11target_archE1201ELNS1_3gpuE5ELNS1_3repE0EEENS1_30default_config_static_selectorELNS0_4arch9wavefront6targetE1EEEvT1_
		.amdhsa_group_segment_fixed_size 0
		.amdhsa_private_segment_fixed_size 0
		.amdhsa_kernarg_size 32
		.amdhsa_user_sgpr_count 6
		.amdhsa_user_sgpr_private_segment_buffer 1
		.amdhsa_user_sgpr_dispatch_ptr 0
		.amdhsa_user_sgpr_queue_ptr 0
		.amdhsa_user_sgpr_kernarg_segment_ptr 1
		.amdhsa_user_sgpr_dispatch_id 0
		.amdhsa_user_sgpr_flat_scratch_init 0
		.amdhsa_user_sgpr_kernarg_preload_length 0
		.amdhsa_user_sgpr_kernarg_preload_offset 0
		.amdhsa_user_sgpr_private_segment_size 0
		.amdhsa_uses_dynamic_stack 0
		.amdhsa_system_sgpr_private_segment_wavefront_offset 0
		.amdhsa_system_sgpr_workgroup_id_x 1
		.amdhsa_system_sgpr_workgroup_id_y 0
		.amdhsa_system_sgpr_workgroup_id_z 0
		.amdhsa_system_sgpr_workgroup_info 0
		.amdhsa_system_vgpr_workitem_id 0
		.amdhsa_next_free_vgpr 1
		.amdhsa_next_free_sgpr 0
		.amdhsa_accum_offset 4
		.amdhsa_reserve_vcc 0
		.amdhsa_reserve_flat_scratch 0
		.amdhsa_float_round_mode_32 0
		.amdhsa_float_round_mode_16_64 0
		.amdhsa_float_denorm_mode_32 3
		.amdhsa_float_denorm_mode_16_64 3
		.amdhsa_dx10_clamp 1
		.amdhsa_ieee_mode 1
		.amdhsa_fp16_overflow 0
		.amdhsa_tg_split 0
		.amdhsa_exception_fp_ieee_invalid_op 0
		.amdhsa_exception_fp_denorm_src 0
		.amdhsa_exception_fp_ieee_div_zero 0
		.amdhsa_exception_fp_ieee_overflow 0
		.amdhsa_exception_fp_ieee_underflow 0
		.amdhsa_exception_fp_ieee_inexact 0
		.amdhsa_exception_int_div_zero 0
	.end_amdhsa_kernel
	.section	.text._ZN7rocprim17ROCPRIM_400000_NS6detail17trampoline_kernelINS0_14default_configENS1_20scan_config_selectorIiEEZZNS1_9scan_implILNS1_25lookback_scan_determinismE0ELb0ELb0ES3_N6thrust23THRUST_200600_302600_NS10device_ptrIiEESB_iNS9_4plusIvEEiEEDaPvRmT3_T4_T5_mT6_P12ihipStream_tbENKUlT_T0_E_clISt17integral_constantIbLb1EESR_EEDaSM_SN_EUlSM_E0_NS1_11comp_targetILNS1_3genE10ELNS1_11target_archE1201ELNS1_3gpuE5ELNS1_3repE0EEENS1_30default_config_static_selectorELNS0_4arch9wavefront6targetE1EEEvT1_,"axG",@progbits,_ZN7rocprim17ROCPRIM_400000_NS6detail17trampoline_kernelINS0_14default_configENS1_20scan_config_selectorIiEEZZNS1_9scan_implILNS1_25lookback_scan_determinismE0ELb0ELb0ES3_N6thrust23THRUST_200600_302600_NS10device_ptrIiEESB_iNS9_4plusIvEEiEEDaPvRmT3_T4_T5_mT6_P12ihipStream_tbENKUlT_T0_E_clISt17integral_constantIbLb1EESR_EEDaSM_SN_EUlSM_E0_NS1_11comp_targetILNS1_3genE10ELNS1_11target_archE1201ELNS1_3gpuE5ELNS1_3repE0EEENS1_30default_config_static_selectorELNS0_4arch9wavefront6targetE1EEEvT1_,comdat
.Lfunc_end6782:
	.size	_ZN7rocprim17ROCPRIM_400000_NS6detail17trampoline_kernelINS0_14default_configENS1_20scan_config_selectorIiEEZZNS1_9scan_implILNS1_25lookback_scan_determinismE0ELb0ELb0ES3_N6thrust23THRUST_200600_302600_NS10device_ptrIiEESB_iNS9_4plusIvEEiEEDaPvRmT3_T4_T5_mT6_P12ihipStream_tbENKUlT_T0_E_clISt17integral_constantIbLb1EESR_EEDaSM_SN_EUlSM_E0_NS1_11comp_targetILNS1_3genE10ELNS1_11target_archE1201ELNS1_3gpuE5ELNS1_3repE0EEENS1_30default_config_static_selectorELNS0_4arch9wavefront6targetE1EEEvT1_, .Lfunc_end6782-_ZN7rocprim17ROCPRIM_400000_NS6detail17trampoline_kernelINS0_14default_configENS1_20scan_config_selectorIiEEZZNS1_9scan_implILNS1_25lookback_scan_determinismE0ELb0ELb0ES3_N6thrust23THRUST_200600_302600_NS10device_ptrIiEESB_iNS9_4plusIvEEiEEDaPvRmT3_T4_T5_mT6_P12ihipStream_tbENKUlT_T0_E_clISt17integral_constantIbLb1EESR_EEDaSM_SN_EUlSM_E0_NS1_11comp_targetILNS1_3genE10ELNS1_11target_archE1201ELNS1_3gpuE5ELNS1_3repE0EEENS1_30default_config_static_selectorELNS0_4arch9wavefront6targetE1EEEvT1_
                                        ; -- End function
	.section	.AMDGPU.csdata,"",@progbits
; Kernel info:
; codeLenInByte = 0
; NumSgprs: 4
; NumVgprs: 0
; NumAgprs: 0
; TotalNumVgprs: 0
; ScratchSize: 0
; MemoryBound: 0
; FloatMode: 240
; IeeeMode: 1
; LDSByteSize: 0 bytes/workgroup (compile time only)
; SGPRBlocks: 0
; VGPRBlocks: 0
; NumSGPRsForWavesPerEU: 4
; NumVGPRsForWavesPerEU: 1
; AccumOffset: 4
; Occupancy: 8
; WaveLimiterHint : 0
; COMPUTE_PGM_RSRC2:SCRATCH_EN: 0
; COMPUTE_PGM_RSRC2:USER_SGPR: 6
; COMPUTE_PGM_RSRC2:TRAP_HANDLER: 0
; COMPUTE_PGM_RSRC2:TGID_X_EN: 1
; COMPUTE_PGM_RSRC2:TGID_Y_EN: 0
; COMPUTE_PGM_RSRC2:TGID_Z_EN: 0
; COMPUTE_PGM_RSRC2:TIDIG_COMP_CNT: 0
; COMPUTE_PGM_RSRC3_GFX90A:ACCUM_OFFSET: 0
; COMPUTE_PGM_RSRC3_GFX90A:TG_SPLIT: 0
	.section	.text._ZN7rocprim17ROCPRIM_400000_NS6detail17trampoline_kernelINS0_14default_configENS1_20scan_config_selectorIiEEZZNS1_9scan_implILNS1_25lookback_scan_determinismE0ELb0ELb0ES3_N6thrust23THRUST_200600_302600_NS10device_ptrIiEESB_iNS9_4plusIvEEiEEDaPvRmT3_T4_T5_mT6_P12ihipStream_tbENKUlT_T0_E_clISt17integral_constantIbLb1EESR_EEDaSM_SN_EUlSM_E0_NS1_11comp_targetILNS1_3genE10ELNS1_11target_archE1200ELNS1_3gpuE4ELNS1_3repE0EEENS1_30default_config_static_selectorELNS0_4arch9wavefront6targetE1EEEvT1_,"axG",@progbits,_ZN7rocprim17ROCPRIM_400000_NS6detail17trampoline_kernelINS0_14default_configENS1_20scan_config_selectorIiEEZZNS1_9scan_implILNS1_25lookback_scan_determinismE0ELb0ELb0ES3_N6thrust23THRUST_200600_302600_NS10device_ptrIiEESB_iNS9_4plusIvEEiEEDaPvRmT3_T4_T5_mT6_P12ihipStream_tbENKUlT_T0_E_clISt17integral_constantIbLb1EESR_EEDaSM_SN_EUlSM_E0_NS1_11comp_targetILNS1_3genE10ELNS1_11target_archE1200ELNS1_3gpuE4ELNS1_3repE0EEENS1_30default_config_static_selectorELNS0_4arch9wavefront6targetE1EEEvT1_,comdat
	.protected	_ZN7rocprim17ROCPRIM_400000_NS6detail17trampoline_kernelINS0_14default_configENS1_20scan_config_selectorIiEEZZNS1_9scan_implILNS1_25lookback_scan_determinismE0ELb0ELb0ES3_N6thrust23THRUST_200600_302600_NS10device_ptrIiEESB_iNS9_4plusIvEEiEEDaPvRmT3_T4_T5_mT6_P12ihipStream_tbENKUlT_T0_E_clISt17integral_constantIbLb1EESR_EEDaSM_SN_EUlSM_E0_NS1_11comp_targetILNS1_3genE10ELNS1_11target_archE1200ELNS1_3gpuE4ELNS1_3repE0EEENS1_30default_config_static_selectorELNS0_4arch9wavefront6targetE1EEEvT1_ ; -- Begin function _ZN7rocprim17ROCPRIM_400000_NS6detail17trampoline_kernelINS0_14default_configENS1_20scan_config_selectorIiEEZZNS1_9scan_implILNS1_25lookback_scan_determinismE0ELb0ELb0ES3_N6thrust23THRUST_200600_302600_NS10device_ptrIiEESB_iNS9_4plusIvEEiEEDaPvRmT3_T4_T5_mT6_P12ihipStream_tbENKUlT_T0_E_clISt17integral_constantIbLb1EESR_EEDaSM_SN_EUlSM_E0_NS1_11comp_targetILNS1_3genE10ELNS1_11target_archE1200ELNS1_3gpuE4ELNS1_3repE0EEENS1_30default_config_static_selectorELNS0_4arch9wavefront6targetE1EEEvT1_
	.globl	_ZN7rocprim17ROCPRIM_400000_NS6detail17trampoline_kernelINS0_14default_configENS1_20scan_config_selectorIiEEZZNS1_9scan_implILNS1_25lookback_scan_determinismE0ELb0ELb0ES3_N6thrust23THRUST_200600_302600_NS10device_ptrIiEESB_iNS9_4plusIvEEiEEDaPvRmT3_T4_T5_mT6_P12ihipStream_tbENKUlT_T0_E_clISt17integral_constantIbLb1EESR_EEDaSM_SN_EUlSM_E0_NS1_11comp_targetILNS1_3genE10ELNS1_11target_archE1200ELNS1_3gpuE4ELNS1_3repE0EEENS1_30default_config_static_selectorELNS0_4arch9wavefront6targetE1EEEvT1_
	.p2align	8
	.type	_ZN7rocprim17ROCPRIM_400000_NS6detail17trampoline_kernelINS0_14default_configENS1_20scan_config_selectorIiEEZZNS1_9scan_implILNS1_25lookback_scan_determinismE0ELb0ELb0ES3_N6thrust23THRUST_200600_302600_NS10device_ptrIiEESB_iNS9_4plusIvEEiEEDaPvRmT3_T4_T5_mT6_P12ihipStream_tbENKUlT_T0_E_clISt17integral_constantIbLb1EESR_EEDaSM_SN_EUlSM_E0_NS1_11comp_targetILNS1_3genE10ELNS1_11target_archE1200ELNS1_3gpuE4ELNS1_3repE0EEENS1_30default_config_static_selectorELNS0_4arch9wavefront6targetE1EEEvT1_,@function
_ZN7rocprim17ROCPRIM_400000_NS6detail17trampoline_kernelINS0_14default_configENS1_20scan_config_selectorIiEEZZNS1_9scan_implILNS1_25lookback_scan_determinismE0ELb0ELb0ES3_N6thrust23THRUST_200600_302600_NS10device_ptrIiEESB_iNS9_4plusIvEEiEEDaPvRmT3_T4_T5_mT6_P12ihipStream_tbENKUlT_T0_E_clISt17integral_constantIbLb1EESR_EEDaSM_SN_EUlSM_E0_NS1_11comp_targetILNS1_3genE10ELNS1_11target_archE1200ELNS1_3gpuE4ELNS1_3repE0EEENS1_30default_config_static_selectorELNS0_4arch9wavefront6targetE1EEEvT1_: ; @_ZN7rocprim17ROCPRIM_400000_NS6detail17trampoline_kernelINS0_14default_configENS1_20scan_config_selectorIiEEZZNS1_9scan_implILNS1_25lookback_scan_determinismE0ELb0ELb0ES3_N6thrust23THRUST_200600_302600_NS10device_ptrIiEESB_iNS9_4plusIvEEiEEDaPvRmT3_T4_T5_mT6_P12ihipStream_tbENKUlT_T0_E_clISt17integral_constantIbLb1EESR_EEDaSM_SN_EUlSM_E0_NS1_11comp_targetILNS1_3genE10ELNS1_11target_archE1200ELNS1_3gpuE4ELNS1_3repE0EEENS1_30default_config_static_selectorELNS0_4arch9wavefront6targetE1EEEvT1_
; %bb.0:
	.section	.rodata,"a",@progbits
	.p2align	6, 0x0
	.amdhsa_kernel _ZN7rocprim17ROCPRIM_400000_NS6detail17trampoline_kernelINS0_14default_configENS1_20scan_config_selectorIiEEZZNS1_9scan_implILNS1_25lookback_scan_determinismE0ELb0ELb0ES3_N6thrust23THRUST_200600_302600_NS10device_ptrIiEESB_iNS9_4plusIvEEiEEDaPvRmT3_T4_T5_mT6_P12ihipStream_tbENKUlT_T0_E_clISt17integral_constantIbLb1EESR_EEDaSM_SN_EUlSM_E0_NS1_11comp_targetILNS1_3genE10ELNS1_11target_archE1200ELNS1_3gpuE4ELNS1_3repE0EEENS1_30default_config_static_selectorELNS0_4arch9wavefront6targetE1EEEvT1_
		.amdhsa_group_segment_fixed_size 0
		.amdhsa_private_segment_fixed_size 0
		.amdhsa_kernarg_size 32
		.amdhsa_user_sgpr_count 6
		.amdhsa_user_sgpr_private_segment_buffer 1
		.amdhsa_user_sgpr_dispatch_ptr 0
		.amdhsa_user_sgpr_queue_ptr 0
		.amdhsa_user_sgpr_kernarg_segment_ptr 1
		.amdhsa_user_sgpr_dispatch_id 0
		.amdhsa_user_sgpr_flat_scratch_init 0
		.amdhsa_user_sgpr_kernarg_preload_length 0
		.amdhsa_user_sgpr_kernarg_preload_offset 0
		.amdhsa_user_sgpr_private_segment_size 0
		.amdhsa_uses_dynamic_stack 0
		.amdhsa_system_sgpr_private_segment_wavefront_offset 0
		.amdhsa_system_sgpr_workgroup_id_x 1
		.amdhsa_system_sgpr_workgroup_id_y 0
		.amdhsa_system_sgpr_workgroup_id_z 0
		.amdhsa_system_sgpr_workgroup_info 0
		.amdhsa_system_vgpr_workitem_id 0
		.amdhsa_next_free_vgpr 1
		.amdhsa_next_free_sgpr 0
		.amdhsa_accum_offset 4
		.amdhsa_reserve_vcc 0
		.amdhsa_reserve_flat_scratch 0
		.amdhsa_float_round_mode_32 0
		.amdhsa_float_round_mode_16_64 0
		.amdhsa_float_denorm_mode_32 3
		.amdhsa_float_denorm_mode_16_64 3
		.amdhsa_dx10_clamp 1
		.amdhsa_ieee_mode 1
		.amdhsa_fp16_overflow 0
		.amdhsa_tg_split 0
		.amdhsa_exception_fp_ieee_invalid_op 0
		.amdhsa_exception_fp_denorm_src 0
		.amdhsa_exception_fp_ieee_div_zero 0
		.amdhsa_exception_fp_ieee_overflow 0
		.amdhsa_exception_fp_ieee_underflow 0
		.amdhsa_exception_fp_ieee_inexact 0
		.amdhsa_exception_int_div_zero 0
	.end_amdhsa_kernel
	.section	.text._ZN7rocprim17ROCPRIM_400000_NS6detail17trampoline_kernelINS0_14default_configENS1_20scan_config_selectorIiEEZZNS1_9scan_implILNS1_25lookback_scan_determinismE0ELb0ELb0ES3_N6thrust23THRUST_200600_302600_NS10device_ptrIiEESB_iNS9_4plusIvEEiEEDaPvRmT3_T4_T5_mT6_P12ihipStream_tbENKUlT_T0_E_clISt17integral_constantIbLb1EESR_EEDaSM_SN_EUlSM_E0_NS1_11comp_targetILNS1_3genE10ELNS1_11target_archE1200ELNS1_3gpuE4ELNS1_3repE0EEENS1_30default_config_static_selectorELNS0_4arch9wavefront6targetE1EEEvT1_,"axG",@progbits,_ZN7rocprim17ROCPRIM_400000_NS6detail17trampoline_kernelINS0_14default_configENS1_20scan_config_selectorIiEEZZNS1_9scan_implILNS1_25lookback_scan_determinismE0ELb0ELb0ES3_N6thrust23THRUST_200600_302600_NS10device_ptrIiEESB_iNS9_4plusIvEEiEEDaPvRmT3_T4_T5_mT6_P12ihipStream_tbENKUlT_T0_E_clISt17integral_constantIbLb1EESR_EEDaSM_SN_EUlSM_E0_NS1_11comp_targetILNS1_3genE10ELNS1_11target_archE1200ELNS1_3gpuE4ELNS1_3repE0EEENS1_30default_config_static_selectorELNS0_4arch9wavefront6targetE1EEEvT1_,comdat
.Lfunc_end6783:
	.size	_ZN7rocprim17ROCPRIM_400000_NS6detail17trampoline_kernelINS0_14default_configENS1_20scan_config_selectorIiEEZZNS1_9scan_implILNS1_25lookback_scan_determinismE0ELb0ELb0ES3_N6thrust23THRUST_200600_302600_NS10device_ptrIiEESB_iNS9_4plusIvEEiEEDaPvRmT3_T4_T5_mT6_P12ihipStream_tbENKUlT_T0_E_clISt17integral_constantIbLb1EESR_EEDaSM_SN_EUlSM_E0_NS1_11comp_targetILNS1_3genE10ELNS1_11target_archE1200ELNS1_3gpuE4ELNS1_3repE0EEENS1_30default_config_static_selectorELNS0_4arch9wavefront6targetE1EEEvT1_, .Lfunc_end6783-_ZN7rocprim17ROCPRIM_400000_NS6detail17trampoline_kernelINS0_14default_configENS1_20scan_config_selectorIiEEZZNS1_9scan_implILNS1_25lookback_scan_determinismE0ELb0ELb0ES3_N6thrust23THRUST_200600_302600_NS10device_ptrIiEESB_iNS9_4plusIvEEiEEDaPvRmT3_T4_T5_mT6_P12ihipStream_tbENKUlT_T0_E_clISt17integral_constantIbLb1EESR_EEDaSM_SN_EUlSM_E0_NS1_11comp_targetILNS1_3genE10ELNS1_11target_archE1200ELNS1_3gpuE4ELNS1_3repE0EEENS1_30default_config_static_selectorELNS0_4arch9wavefront6targetE1EEEvT1_
                                        ; -- End function
	.section	.AMDGPU.csdata,"",@progbits
; Kernel info:
; codeLenInByte = 0
; NumSgprs: 4
; NumVgprs: 0
; NumAgprs: 0
; TotalNumVgprs: 0
; ScratchSize: 0
; MemoryBound: 0
; FloatMode: 240
; IeeeMode: 1
; LDSByteSize: 0 bytes/workgroup (compile time only)
; SGPRBlocks: 0
; VGPRBlocks: 0
; NumSGPRsForWavesPerEU: 4
; NumVGPRsForWavesPerEU: 1
; AccumOffset: 4
; Occupancy: 8
; WaveLimiterHint : 0
; COMPUTE_PGM_RSRC2:SCRATCH_EN: 0
; COMPUTE_PGM_RSRC2:USER_SGPR: 6
; COMPUTE_PGM_RSRC2:TRAP_HANDLER: 0
; COMPUTE_PGM_RSRC2:TGID_X_EN: 1
; COMPUTE_PGM_RSRC2:TGID_Y_EN: 0
; COMPUTE_PGM_RSRC2:TGID_Z_EN: 0
; COMPUTE_PGM_RSRC2:TIDIG_COMP_CNT: 0
; COMPUTE_PGM_RSRC3_GFX90A:ACCUM_OFFSET: 0
; COMPUTE_PGM_RSRC3_GFX90A:TG_SPLIT: 0
	.section	.text._ZN7rocprim17ROCPRIM_400000_NS6detail17trampoline_kernelINS0_14default_configENS1_20scan_config_selectorIiEEZZNS1_9scan_implILNS1_25lookback_scan_determinismE0ELb0ELb0ES3_N6thrust23THRUST_200600_302600_NS10device_ptrIiEESB_iNS9_4plusIvEEiEEDaPvRmT3_T4_T5_mT6_P12ihipStream_tbENKUlT_T0_E_clISt17integral_constantIbLb1EESR_EEDaSM_SN_EUlSM_E0_NS1_11comp_targetILNS1_3genE9ELNS1_11target_archE1100ELNS1_3gpuE3ELNS1_3repE0EEENS1_30default_config_static_selectorELNS0_4arch9wavefront6targetE1EEEvT1_,"axG",@progbits,_ZN7rocprim17ROCPRIM_400000_NS6detail17trampoline_kernelINS0_14default_configENS1_20scan_config_selectorIiEEZZNS1_9scan_implILNS1_25lookback_scan_determinismE0ELb0ELb0ES3_N6thrust23THRUST_200600_302600_NS10device_ptrIiEESB_iNS9_4plusIvEEiEEDaPvRmT3_T4_T5_mT6_P12ihipStream_tbENKUlT_T0_E_clISt17integral_constantIbLb1EESR_EEDaSM_SN_EUlSM_E0_NS1_11comp_targetILNS1_3genE9ELNS1_11target_archE1100ELNS1_3gpuE3ELNS1_3repE0EEENS1_30default_config_static_selectorELNS0_4arch9wavefront6targetE1EEEvT1_,comdat
	.protected	_ZN7rocprim17ROCPRIM_400000_NS6detail17trampoline_kernelINS0_14default_configENS1_20scan_config_selectorIiEEZZNS1_9scan_implILNS1_25lookback_scan_determinismE0ELb0ELb0ES3_N6thrust23THRUST_200600_302600_NS10device_ptrIiEESB_iNS9_4plusIvEEiEEDaPvRmT3_T4_T5_mT6_P12ihipStream_tbENKUlT_T0_E_clISt17integral_constantIbLb1EESR_EEDaSM_SN_EUlSM_E0_NS1_11comp_targetILNS1_3genE9ELNS1_11target_archE1100ELNS1_3gpuE3ELNS1_3repE0EEENS1_30default_config_static_selectorELNS0_4arch9wavefront6targetE1EEEvT1_ ; -- Begin function _ZN7rocprim17ROCPRIM_400000_NS6detail17trampoline_kernelINS0_14default_configENS1_20scan_config_selectorIiEEZZNS1_9scan_implILNS1_25lookback_scan_determinismE0ELb0ELb0ES3_N6thrust23THRUST_200600_302600_NS10device_ptrIiEESB_iNS9_4plusIvEEiEEDaPvRmT3_T4_T5_mT6_P12ihipStream_tbENKUlT_T0_E_clISt17integral_constantIbLb1EESR_EEDaSM_SN_EUlSM_E0_NS1_11comp_targetILNS1_3genE9ELNS1_11target_archE1100ELNS1_3gpuE3ELNS1_3repE0EEENS1_30default_config_static_selectorELNS0_4arch9wavefront6targetE1EEEvT1_
	.globl	_ZN7rocprim17ROCPRIM_400000_NS6detail17trampoline_kernelINS0_14default_configENS1_20scan_config_selectorIiEEZZNS1_9scan_implILNS1_25lookback_scan_determinismE0ELb0ELb0ES3_N6thrust23THRUST_200600_302600_NS10device_ptrIiEESB_iNS9_4plusIvEEiEEDaPvRmT3_T4_T5_mT6_P12ihipStream_tbENKUlT_T0_E_clISt17integral_constantIbLb1EESR_EEDaSM_SN_EUlSM_E0_NS1_11comp_targetILNS1_3genE9ELNS1_11target_archE1100ELNS1_3gpuE3ELNS1_3repE0EEENS1_30default_config_static_selectorELNS0_4arch9wavefront6targetE1EEEvT1_
	.p2align	8
	.type	_ZN7rocprim17ROCPRIM_400000_NS6detail17trampoline_kernelINS0_14default_configENS1_20scan_config_selectorIiEEZZNS1_9scan_implILNS1_25lookback_scan_determinismE0ELb0ELb0ES3_N6thrust23THRUST_200600_302600_NS10device_ptrIiEESB_iNS9_4plusIvEEiEEDaPvRmT3_T4_T5_mT6_P12ihipStream_tbENKUlT_T0_E_clISt17integral_constantIbLb1EESR_EEDaSM_SN_EUlSM_E0_NS1_11comp_targetILNS1_3genE9ELNS1_11target_archE1100ELNS1_3gpuE3ELNS1_3repE0EEENS1_30default_config_static_selectorELNS0_4arch9wavefront6targetE1EEEvT1_,@function
_ZN7rocprim17ROCPRIM_400000_NS6detail17trampoline_kernelINS0_14default_configENS1_20scan_config_selectorIiEEZZNS1_9scan_implILNS1_25lookback_scan_determinismE0ELb0ELb0ES3_N6thrust23THRUST_200600_302600_NS10device_ptrIiEESB_iNS9_4plusIvEEiEEDaPvRmT3_T4_T5_mT6_P12ihipStream_tbENKUlT_T0_E_clISt17integral_constantIbLb1EESR_EEDaSM_SN_EUlSM_E0_NS1_11comp_targetILNS1_3genE9ELNS1_11target_archE1100ELNS1_3gpuE3ELNS1_3repE0EEENS1_30default_config_static_selectorELNS0_4arch9wavefront6targetE1EEEvT1_: ; @_ZN7rocprim17ROCPRIM_400000_NS6detail17trampoline_kernelINS0_14default_configENS1_20scan_config_selectorIiEEZZNS1_9scan_implILNS1_25lookback_scan_determinismE0ELb0ELb0ES3_N6thrust23THRUST_200600_302600_NS10device_ptrIiEESB_iNS9_4plusIvEEiEEDaPvRmT3_T4_T5_mT6_P12ihipStream_tbENKUlT_T0_E_clISt17integral_constantIbLb1EESR_EEDaSM_SN_EUlSM_E0_NS1_11comp_targetILNS1_3genE9ELNS1_11target_archE1100ELNS1_3gpuE3ELNS1_3repE0EEENS1_30default_config_static_selectorELNS0_4arch9wavefront6targetE1EEEvT1_
; %bb.0:
	.section	.rodata,"a",@progbits
	.p2align	6, 0x0
	.amdhsa_kernel _ZN7rocprim17ROCPRIM_400000_NS6detail17trampoline_kernelINS0_14default_configENS1_20scan_config_selectorIiEEZZNS1_9scan_implILNS1_25lookback_scan_determinismE0ELb0ELb0ES3_N6thrust23THRUST_200600_302600_NS10device_ptrIiEESB_iNS9_4plusIvEEiEEDaPvRmT3_T4_T5_mT6_P12ihipStream_tbENKUlT_T0_E_clISt17integral_constantIbLb1EESR_EEDaSM_SN_EUlSM_E0_NS1_11comp_targetILNS1_3genE9ELNS1_11target_archE1100ELNS1_3gpuE3ELNS1_3repE0EEENS1_30default_config_static_selectorELNS0_4arch9wavefront6targetE1EEEvT1_
		.amdhsa_group_segment_fixed_size 0
		.amdhsa_private_segment_fixed_size 0
		.amdhsa_kernarg_size 32
		.amdhsa_user_sgpr_count 6
		.amdhsa_user_sgpr_private_segment_buffer 1
		.amdhsa_user_sgpr_dispatch_ptr 0
		.amdhsa_user_sgpr_queue_ptr 0
		.amdhsa_user_sgpr_kernarg_segment_ptr 1
		.amdhsa_user_sgpr_dispatch_id 0
		.amdhsa_user_sgpr_flat_scratch_init 0
		.amdhsa_user_sgpr_kernarg_preload_length 0
		.amdhsa_user_sgpr_kernarg_preload_offset 0
		.amdhsa_user_sgpr_private_segment_size 0
		.amdhsa_uses_dynamic_stack 0
		.amdhsa_system_sgpr_private_segment_wavefront_offset 0
		.amdhsa_system_sgpr_workgroup_id_x 1
		.amdhsa_system_sgpr_workgroup_id_y 0
		.amdhsa_system_sgpr_workgroup_id_z 0
		.amdhsa_system_sgpr_workgroup_info 0
		.amdhsa_system_vgpr_workitem_id 0
		.amdhsa_next_free_vgpr 1
		.amdhsa_next_free_sgpr 0
		.amdhsa_accum_offset 4
		.amdhsa_reserve_vcc 0
		.amdhsa_reserve_flat_scratch 0
		.amdhsa_float_round_mode_32 0
		.amdhsa_float_round_mode_16_64 0
		.amdhsa_float_denorm_mode_32 3
		.amdhsa_float_denorm_mode_16_64 3
		.amdhsa_dx10_clamp 1
		.amdhsa_ieee_mode 1
		.amdhsa_fp16_overflow 0
		.amdhsa_tg_split 0
		.amdhsa_exception_fp_ieee_invalid_op 0
		.amdhsa_exception_fp_denorm_src 0
		.amdhsa_exception_fp_ieee_div_zero 0
		.amdhsa_exception_fp_ieee_overflow 0
		.amdhsa_exception_fp_ieee_underflow 0
		.amdhsa_exception_fp_ieee_inexact 0
		.amdhsa_exception_int_div_zero 0
	.end_amdhsa_kernel
	.section	.text._ZN7rocprim17ROCPRIM_400000_NS6detail17trampoline_kernelINS0_14default_configENS1_20scan_config_selectorIiEEZZNS1_9scan_implILNS1_25lookback_scan_determinismE0ELb0ELb0ES3_N6thrust23THRUST_200600_302600_NS10device_ptrIiEESB_iNS9_4plusIvEEiEEDaPvRmT3_T4_T5_mT6_P12ihipStream_tbENKUlT_T0_E_clISt17integral_constantIbLb1EESR_EEDaSM_SN_EUlSM_E0_NS1_11comp_targetILNS1_3genE9ELNS1_11target_archE1100ELNS1_3gpuE3ELNS1_3repE0EEENS1_30default_config_static_selectorELNS0_4arch9wavefront6targetE1EEEvT1_,"axG",@progbits,_ZN7rocprim17ROCPRIM_400000_NS6detail17trampoline_kernelINS0_14default_configENS1_20scan_config_selectorIiEEZZNS1_9scan_implILNS1_25lookback_scan_determinismE0ELb0ELb0ES3_N6thrust23THRUST_200600_302600_NS10device_ptrIiEESB_iNS9_4plusIvEEiEEDaPvRmT3_T4_T5_mT6_P12ihipStream_tbENKUlT_T0_E_clISt17integral_constantIbLb1EESR_EEDaSM_SN_EUlSM_E0_NS1_11comp_targetILNS1_3genE9ELNS1_11target_archE1100ELNS1_3gpuE3ELNS1_3repE0EEENS1_30default_config_static_selectorELNS0_4arch9wavefront6targetE1EEEvT1_,comdat
.Lfunc_end6784:
	.size	_ZN7rocprim17ROCPRIM_400000_NS6detail17trampoline_kernelINS0_14default_configENS1_20scan_config_selectorIiEEZZNS1_9scan_implILNS1_25lookback_scan_determinismE0ELb0ELb0ES3_N6thrust23THRUST_200600_302600_NS10device_ptrIiEESB_iNS9_4plusIvEEiEEDaPvRmT3_T4_T5_mT6_P12ihipStream_tbENKUlT_T0_E_clISt17integral_constantIbLb1EESR_EEDaSM_SN_EUlSM_E0_NS1_11comp_targetILNS1_3genE9ELNS1_11target_archE1100ELNS1_3gpuE3ELNS1_3repE0EEENS1_30default_config_static_selectorELNS0_4arch9wavefront6targetE1EEEvT1_, .Lfunc_end6784-_ZN7rocprim17ROCPRIM_400000_NS6detail17trampoline_kernelINS0_14default_configENS1_20scan_config_selectorIiEEZZNS1_9scan_implILNS1_25lookback_scan_determinismE0ELb0ELb0ES3_N6thrust23THRUST_200600_302600_NS10device_ptrIiEESB_iNS9_4plusIvEEiEEDaPvRmT3_T4_T5_mT6_P12ihipStream_tbENKUlT_T0_E_clISt17integral_constantIbLb1EESR_EEDaSM_SN_EUlSM_E0_NS1_11comp_targetILNS1_3genE9ELNS1_11target_archE1100ELNS1_3gpuE3ELNS1_3repE0EEENS1_30default_config_static_selectorELNS0_4arch9wavefront6targetE1EEEvT1_
                                        ; -- End function
	.section	.AMDGPU.csdata,"",@progbits
; Kernel info:
; codeLenInByte = 0
; NumSgprs: 4
; NumVgprs: 0
; NumAgprs: 0
; TotalNumVgprs: 0
; ScratchSize: 0
; MemoryBound: 0
; FloatMode: 240
; IeeeMode: 1
; LDSByteSize: 0 bytes/workgroup (compile time only)
; SGPRBlocks: 0
; VGPRBlocks: 0
; NumSGPRsForWavesPerEU: 4
; NumVGPRsForWavesPerEU: 1
; AccumOffset: 4
; Occupancy: 8
; WaveLimiterHint : 0
; COMPUTE_PGM_RSRC2:SCRATCH_EN: 0
; COMPUTE_PGM_RSRC2:USER_SGPR: 6
; COMPUTE_PGM_RSRC2:TRAP_HANDLER: 0
; COMPUTE_PGM_RSRC2:TGID_X_EN: 1
; COMPUTE_PGM_RSRC2:TGID_Y_EN: 0
; COMPUTE_PGM_RSRC2:TGID_Z_EN: 0
; COMPUTE_PGM_RSRC2:TIDIG_COMP_CNT: 0
; COMPUTE_PGM_RSRC3_GFX90A:ACCUM_OFFSET: 0
; COMPUTE_PGM_RSRC3_GFX90A:TG_SPLIT: 0
	.section	.text._ZN7rocprim17ROCPRIM_400000_NS6detail17trampoline_kernelINS0_14default_configENS1_20scan_config_selectorIiEEZZNS1_9scan_implILNS1_25lookback_scan_determinismE0ELb0ELb0ES3_N6thrust23THRUST_200600_302600_NS10device_ptrIiEESB_iNS9_4plusIvEEiEEDaPvRmT3_T4_T5_mT6_P12ihipStream_tbENKUlT_T0_E_clISt17integral_constantIbLb1EESR_EEDaSM_SN_EUlSM_E0_NS1_11comp_targetILNS1_3genE8ELNS1_11target_archE1030ELNS1_3gpuE2ELNS1_3repE0EEENS1_30default_config_static_selectorELNS0_4arch9wavefront6targetE1EEEvT1_,"axG",@progbits,_ZN7rocprim17ROCPRIM_400000_NS6detail17trampoline_kernelINS0_14default_configENS1_20scan_config_selectorIiEEZZNS1_9scan_implILNS1_25lookback_scan_determinismE0ELb0ELb0ES3_N6thrust23THRUST_200600_302600_NS10device_ptrIiEESB_iNS9_4plusIvEEiEEDaPvRmT3_T4_T5_mT6_P12ihipStream_tbENKUlT_T0_E_clISt17integral_constantIbLb1EESR_EEDaSM_SN_EUlSM_E0_NS1_11comp_targetILNS1_3genE8ELNS1_11target_archE1030ELNS1_3gpuE2ELNS1_3repE0EEENS1_30default_config_static_selectorELNS0_4arch9wavefront6targetE1EEEvT1_,comdat
	.protected	_ZN7rocprim17ROCPRIM_400000_NS6detail17trampoline_kernelINS0_14default_configENS1_20scan_config_selectorIiEEZZNS1_9scan_implILNS1_25lookback_scan_determinismE0ELb0ELb0ES3_N6thrust23THRUST_200600_302600_NS10device_ptrIiEESB_iNS9_4plusIvEEiEEDaPvRmT3_T4_T5_mT6_P12ihipStream_tbENKUlT_T0_E_clISt17integral_constantIbLb1EESR_EEDaSM_SN_EUlSM_E0_NS1_11comp_targetILNS1_3genE8ELNS1_11target_archE1030ELNS1_3gpuE2ELNS1_3repE0EEENS1_30default_config_static_selectorELNS0_4arch9wavefront6targetE1EEEvT1_ ; -- Begin function _ZN7rocprim17ROCPRIM_400000_NS6detail17trampoline_kernelINS0_14default_configENS1_20scan_config_selectorIiEEZZNS1_9scan_implILNS1_25lookback_scan_determinismE0ELb0ELb0ES3_N6thrust23THRUST_200600_302600_NS10device_ptrIiEESB_iNS9_4plusIvEEiEEDaPvRmT3_T4_T5_mT6_P12ihipStream_tbENKUlT_T0_E_clISt17integral_constantIbLb1EESR_EEDaSM_SN_EUlSM_E0_NS1_11comp_targetILNS1_3genE8ELNS1_11target_archE1030ELNS1_3gpuE2ELNS1_3repE0EEENS1_30default_config_static_selectorELNS0_4arch9wavefront6targetE1EEEvT1_
	.globl	_ZN7rocprim17ROCPRIM_400000_NS6detail17trampoline_kernelINS0_14default_configENS1_20scan_config_selectorIiEEZZNS1_9scan_implILNS1_25lookback_scan_determinismE0ELb0ELb0ES3_N6thrust23THRUST_200600_302600_NS10device_ptrIiEESB_iNS9_4plusIvEEiEEDaPvRmT3_T4_T5_mT6_P12ihipStream_tbENKUlT_T0_E_clISt17integral_constantIbLb1EESR_EEDaSM_SN_EUlSM_E0_NS1_11comp_targetILNS1_3genE8ELNS1_11target_archE1030ELNS1_3gpuE2ELNS1_3repE0EEENS1_30default_config_static_selectorELNS0_4arch9wavefront6targetE1EEEvT1_
	.p2align	8
	.type	_ZN7rocprim17ROCPRIM_400000_NS6detail17trampoline_kernelINS0_14default_configENS1_20scan_config_selectorIiEEZZNS1_9scan_implILNS1_25lookback_scan_determinismE0ELb0ELb0ES3_N6thrust23THRUST_200600_302600_NS10device_ptrIiEESB_iNS9_4plusIvEEiEEDaPvRmT3_T4_T5_mT6_P12ihipStream_tbENKUlT_T0_E_clISt17integral_constantIbLb1EESR_EEDaSM_SN_EUlSM_E0_NS1_11comp_targetILNS1_3genE8ELNS1_11target_archE1030ELNS1_3gpuE2ELNS1_3repE0EEENS1_30default_config_static_selectorELNS0_4arch9wavefront6targetE1EEEvT1_,@function
_ZN7rocprim17ROCPRIM_400000_NS6detail17trampoline_kernelINS0_14default_configENS1_20scan_config_selectorIiEEZZNS1_9scan_implILNS1_25lookback_scan_determinismE0ELb0ELb0ES3_N6thrust23THRUST_200600_302600_NS10device_ptrIiEESB_iNS9_4plusIvEEiEEDaPvRmT3_T4_T5_mT6_P12ihipStream_tbENKUlT_T0_E_clISt17integral_constantIbLb1EESR_EEDaSM_SN_EUlSM_E0_NS1_11comp_targetILNS1_3genE8ELNS1_11target_archE1030ELNS1_3gpuE2ELNS1_3repE0EEENS1_30default_config_static_selectorELNS0_4arch9wavefront6targetE1EEEvT1_: ; @_ZN7rocprim17ROCPRIM_400000_NS6detail17trampoline_kernelINS0_14default_configENS1_20scan_config_selectorIiEEZZNS1_9scan_implILNS1_25lookback_scan_determinismE0ELb0ELb0ES3_N6thrust23THRUST_200600_302600_NS10device_ptrIiEESB_iNS9_4plusIvEEiEEDaPvRmT3_T4_T5_mT6_P12ihipStream_tbENKUlT_T0_E_clISt17integral_constantIbLb1EESR_EEDaSM_SN_EUlSM_E0_NS1_11comp_targetILNS1_3genE8ELNS1_11target_archE1030ELNS1_3gpuE2ELNS1_3repE0EEENS1_30default_config_static_selectorELNS0_4arch9wavefront6targetE1EEEvT1_
; %bb.0:
	.section	.rodata,"a",@progbits
	.p2align	6, 0x0
	.amdhsa_kernel _ZN7rocprim17ROCPRIM_400000_NS6detail17trampoline_kernelINS0_14default_configENS1_20scan_config_selectorIiEEZZNS1_9scan_implILNS1_25lookback_scan_determinismE0ELb0ELb0ES3_N6thrust23THRUST_200600_302600_NS10device_ptrIiEESB_iNS9_4plusIvEEiEEDaPvRmT3_T4_T5_mT6_P12ihipStream_tbENKUlT_T0_E_clISt17integral_constantIbLb1EESR_EEDaSM_SN_EUlSM_E0_NS1_11comp_targetILNS1_3genE8ELNS1_11target_archE1030ELNS1_3gpuE2ELNS1_3repE0EEENS1_30default_config_static_selectorELNS0_4arch9wavefront6targetE1EEEvT1_
		.amdhsa_group_segment_fixed_size 0
		.amdhsa_private_segment_fixed_size 0
		.amdhsa_kernarg_size 32
		.amdhsa_user_sgpr_count 6
		.amdhsa_user_sgpr_private_segment_buffer 1
		.amdhsa_user_sgpr_dispatch_ptr 0
		.amdhsa_user_sgpr_queue_ptr 0
		.amdhsa_user_sgpr_kernarg_segment_ptr 1
		.amdhsa_user_sgpr_dispatch_id 0
		.amdhsa_user_sgpr_flat_scratch_init 0
		.amdhsa_user_sgpr_kernarg_preload_length 0
		.amdhsa_user_sgpr_kernarg_preload_offset 0
		.amdhsa_user_sgpr_private_segment_size 0
		.amdhsa_uses_dynamic_stack 0
		.amdhsa_system_sgpr_private_segment_wavefront_offset 0
		.amdhsa_system_sgpr_workgroup_id_x 1
		.amdhsa_system_sgpr_workgroup_id_y 0
		.amdhsa_system_sgpr_workgroup_id_z 0
		.amdhsa_system_sgpr_workgroup_info 0
		.amdhsa_system_vgpr_workitem_id 0
		.amdhsa_next_free_vgpr 1
		.amdhsa_next_free_sgpr 0
		.amdhsa_accum_offset 4
		.amdhsa_reserve_vcc 0
		.amdhsa_reserve_flat_scratch 0
		.amdhsa_float_round_mode_32 0
		.amdhsa_float_round_mode_16_64 0
		.amdhsa_float_denorm_mode_32 3
		.amdhsa_float_denorm_mode_16_64 3
		.amdhsa_dx10_clamp 1
		.amdhsa_ieee_mode 1
		.amdhsa_fp16_overflow 0
		.amdhsa_tg_split 0
		.amdhsa_exception_fp_ieee_invalid_op 0
		.amdhsa_exception_fp_denorm_src 0
		.amdhsa_exception_fp_ieee_div_zero 0
		.amdhsa_exception_fp_ieee_overflow 0
		.amdhsa_exception_fp_ieee_underflow 0
		.amdhsa_exception_fp_ieee_inexact 0
		.amdhsa_exception_int_div_zero 0
	.end_amdhsa_kernel
	.section	.text._ZN7rocprim17ROCPRIM_400000_NS6detail17trampoline_kernelINS0_14default_configENS1_20scan_config_selectorIiEEZZNS1_9scan_implILNS1_25lookback_scan_determinismE0ELb0ELb0ES3_N6thrust23THRUST_200600_302600_NS10device_ptrIiEESB_iNS9_4plusIvEEiEEDaPvRmT3_T4_T5_mT6_P12ihipStream_tbENKUlT_T0_E_clISt17integral_constantIbLb1EESR_EEDaSM_SN_EUlSM_E0_NS1_11comp_targetILNS1_3genE8ELNS1_11target_archE1030ELNS1_3gpuE2ELNS1_3repE0EEENS1_30default_config_static_selectorELNS0_4arch9wavefront6targetE1EEEvT1_,"axG",@progbits,_ZN7rocprim17ROCPRIM_400000_NS6detail17trampoline_kernelINS0_14default_configENS1_20scan_config_selectorIiEEZZNS1_9scan_implILNS1_25lookback_scan_determinismE0ELb0ELb0ES3_N6thrust23THRUST_200600_302600_NS10device_ptrIiEESB_iNS9_4plusIvEEiEEDaPvRmT3_T4_T5_mT6_P12ihipStream_tbENKUlT_T0_E_clISt17integral_constantIbLb1EESR_EEDaSM_SN_EUlSM_E0_NS1_11comp_targetILNS1_3genE8ELNS1_11target_archE1030ELNS1_3gpuE2ELNS1_3repE0EEENS1_30default_config_static_selectorELNS0_4arch9wavefront6targetE1EEEvT1_,comdat
.Lfunc_end6785:
	.size	_ZN7rocprim17ROCPRIM_400000_NS6detail17trampoline_kernelINS0_14default_configENS1_20scan_config_selectorIiEEZZNS1_9scan_implILNS1_25lookback_scan_determinismE0ELb0ELb0ES3_N6thrust23THRUST_200600_302600_NS10device_ptrIiEESB_iNS9_4plusIvEEiEEDaPvRmT3_T4_T5_mT6_P12ihipStream_tbENKUlT_T0_E_clISt17integral_constantIbLb1EESR_EEDaSM_SN_EUlSM_E0_NS1_11comp_targetILNS1_3genE8ELNS1_11target_archE1030ELNS1_3gpuE2ELNS1_3repE0EEENS1_30default_config_static_selectorELNS0_4arch9wavefront6targetE1EEEvT1_, .Lfunc_end6785-_ZN7rocprim17ROCPRIM_400000_NS6detail17trampoline_kernelINS0_14default_configENS1_20scan_config_selectorIiEEZZNS1_9scan_implILNS1_25lookback_scan_determinismE0ELb0ELb0ES3_N6thrust23THRUST_200600_302600_NS10device_ptrIiEESB_iNS9_4plusIvEEiEEDaPvRmT3_T4_T5_mT6_P12ihipStream_tbENKUlT_T0_E_clISt17integral_constantIbLb1EESR_EEDaSM_SN_EUlSM_E0_NS1_11comp_targetILNS1_3genE8ELNS1_11target_archE1030ELNS1_3gpuE2ELNS1_3repE0EEENS1_30default_config_static_selectorELNS0_4arch9wavefront6targetE1EEEvT1_
                                        ; -- End function
	.section	.AMDGPU.csdata,"",@progbits
; Kernel info:
; codeLenInByte = 0
; NumSgprs: 4
; NumVgprs: 0
; NumAgprs: 0
; TotalNumVgprs: 0
; ScratchSize: 0
; MemoryBound: 0
; FloatMode: 240
; IeeeMode: 1
; LDSByteSize: 0 bytes/workgroup (compile time only)
; SGPRBlocks: 0
; VGPRBlocks: 0
; NumSGPRsForWavesPerEU: 4
; NumVGPRsForWavesPerEU: 1
; AccumOffset: 4
; Occupancy: 8
; WaveLimiterHint : 0
; COMPUTE_PGM_RSRC2:SCRATCH_EN: 0
; COMPUTE_PGM_RSRC2:USER_SGPR: 6
; COMPUTE_PGM_RSRC2:TRAP_HANDLER: 0
; COMPUTE_PGM_RSRC2:TGID_X_EN: 1
; COMPUTE_PGM_RSRC2:TGID_Y_EN: 0
; COMPUTE_PGM_RSRC2:TGID_Z_EN: 0
; COMPUTE_PGM_RSRC2:TIDIG_COMP_CNT: 0
; COMPUTE_PGM_RSRC3_GFX90A:ACCUM_OFFSET: 0
; COMPUTE_PGM_RSRC3_GFX90A:TG_SPLIT: 0
	.section	.text._ZN7rocprim17ROCPRIM_400000_NS6detail17trampoline_kernelINS0_14default_configENS1_20scan_config_selectorIiEEZZNS1_9scan_implILNS1_25lookback_scan_determinismE0ELb0ELb0ES3_N6thrust23THRUST_200600_302600_NS10device_ptrIiEESB_iNS9_4plusIvEEiEEDaPvRmT3_T4_T5_mT6_P12ihipStream_tbENKUlT_T0_E_clISt17integral_constantIbLb1EESQ_IbLb0EEEEDaSM_SN_EUlSM_E_NS1_11comp_targetILNS1_3genE0ELNS1_11target_archE4294967295ELNS1_3gpuE0ELNS1_3repE0EEENS1_30default_config_static_selectorELNS0_4arch9wavefront6targetE1EEEvT1_,"axG",@progbits,_ZN7rocprim17ROCPRIM_400000_NS6detail17trampoline_kernelINS0_14default_configENS1_20scan_config_selectorIiEEZZNS1_9scan_implILNS1_25lookback_scan_determinismE0ELb0ELb0ES3_N6thrust23THRUST_200600_302600_NS10device_ptrIiEESB_iNS9_4plusIvEEiEEDaPvRmT3_T4_T5_mT6_P12ihipStream_tbENKUlT_T0_E_clISt17integral_constantIbLb1EESQ_IbLb0EEEEDaSM_SN_EUlSM_E_NS1_11comp_targetILNS1_3genE0ELNS1_11target_archE4294967295ELNS1_3gpuE0ELNS1_3repE0EEENS1_30default_config_static_selectorELNS0_4arch9wavefront6targetE1EEEvT1_,comdat
	.protected	_ZN7rocprim17ROCPRIM_400000_NS6detail17trampoline_kernelINS0_14default_configENS1_20scan_config_selectorIiEEZZNS1_9scan_implILNS1_25lookback_scan_determinismE0ELb0ELb0ES3_N6thrust23THRUST_200600_302600_NS10device_ptrIiEESB_iNS9_4plusIvEEiEEDaPvRmT3_T4_T5_mT6_P12ihipStream_tbENKUlT_T0_E_clISt17integral_constantIbLb1EESQ_IbLb0EEEEDaSM_SN_EUlSM_E_NS1_11comp_targetILNS1_3genE0ELNS1_11target_archE4294967295ELNS1_3gpuE0ELNS1_3repE0EEENS1_30default_config_static_selectorELNS0_4arch9wavefront6targetE1EEEvT1_ ; -- Begin function _ZN7rocprim17ROCPRIM_400000_NS6detail17trampoline_kernelINS0_14default_configENS1_20scan_config_selectorIiEEZZNS1_9scan_implILNS1_25lookback_scan_determinismE0ELb0ELb0ES3_N6thrust23THRUST_200600_302600_NS10device_ptrIiEESB_iNS9_4plusIvEEiEEDaPvRmT3_T4_T5_mT6_P12ihipStream_tbENKUlT_T0_E_clISt17integral_constantIbLb1EESQ_IbLb0EEEEDaSM_SN_EUlSM_E_NS1_11comp_targetILNS1_3genE0ELNS1_11target_archE4294967295ELNS1_3gpuE0ELNS1_3repE0EEENS1_30default_config_static_selectorELNS0_4arch9wavefront6targetE1EEEvT1_
	.globl	_ZN7rocprim17ROCPRIM_400000_NS6detail17trampoline_kernelINS0_14default_configENS1_20scan_config_selectorIiEEZZNS1_9scan_implILNS1_25lookback_scan_determinismE0ELb0ELb0ES3_N6thrust23THRUST_200600_302600_NS10device_ptrIiEESB_iNS9_4plusIvEEiEEDaPvRmT3_T4_T5_mT6_P12ihipStream_tbENKUlT_T0_E_clISt17integral_constantIbLb1EESQ_IbLb0EEEEDaSM_SN_EUlSM_E_NS1_11comp_targetILNS1_3genE0ELNS1_11target_archE4294967295ELNS1_3gpuE0ELNS1_3repE0EEENS1_30default_config_static_selectorELNS0_4arch9wavefront6targetE1EEEvT1_
	.p2align	8
	.type	_ZN7rocprim17ROCPRIM_400000_NS6detail17trampoline_kernelINS0_14default_configENS1_20scan_config_selectorIiEEZZNS1_9scan_implILNS1_25lookback_scan_determinismE0ELb0ELb0ES3_N6thrust23THRUST_200600_302600_NS10device_ptrIiEESB_iNS9_4plusIvEEiEEDaPvRmT3_T4_T5_mT6_P12ihipStream_tbENKUlT_T0_E_clISt17integral_constantIbLb1EESQ_IbLb0EEEEDaSM_SN_EUlSM_E_NS1_11comp_targetILNS1_3genE0ELNS1_11target_archE4294967295ELNS1_3gpuE0ELNS1_3repE0EEENS1_30default_config_static_selectorELNS0_4arch9wavefront6targetE1EEEvT1_,@function
_ZN7rocprim17ROCPRIM_400000_NS6detail17trampoline_kernelINS0_14default_configENS1_20scan_config_selectorIiEEZZNS1_9scan_implILNS1_25lookback_scan_determinismE0ELb0ELb0ES3_N6thrust23THRUST_200600_302600_NS10device_ptrIiEESB_iNS9_4plusIvEEiEEDaPvRmT3_T4_T5_mT6_P12ihipStream_tbENKUlT_T0_E_clISt17integral_constantIbLb1EESQ_IbLb0EEEEDaSM_SN_EUlSM_E_NS1_11comp_targetILNS1_3genE0ELNS1_11target_archE4294967295ELNS1_3gpuE0ELNS1_3repE0EEENS1_30default_config_static_selectorELNS0_4arch9wavefront6targetE1EEEvT1_: ; @_ZN7rocprim17ROCPRIM_400000_NS6detail17trampoline_kernelINS0_14default_configENS1_20scan_config_selectorIiEEZZNS1_9scan_implILNS1_25lookback_scan_determinismE0ELb0ELb0ES3_N6thrust23THRUST_200600_302600_NS10device_ptrIiEESB_iNS9_4plusIvEEiEEDaPvRmT3_T4_T5_mT6_P12ihipStream_tbENKUlT_T0_E_clISt17integral_constantIbLb1EESQ_IbLb0EEEEDaSM_SN_EUlSM_E_NS1_11comp_targetILNS1_3genE0ELNS1_11target_archE4294967295ELNS1_3gpuE0ELNS1_3repE0EEENS1_30default_config_static_selectorELNS0_4arch9wavefront6targetE1EEEvT1_
; %bb.0:
	.section	.rodata,"a",@progbits
	.p2align	6, 0x0
	.amdhsa_kernel _ZN7rocprim17ROCPRIM_400000_NS6detail17trampoline_kernelINS0_14default_configENS1_20scan_config_selectorIiEEZZNS1_9scan_implILNS1_25lookback_scan_determinismE0ELb0ELb0ES3_N6thrust23THRUST_200600_302600_NS10device_ptrIiEESB_iNS9_4plusIvEEiEEDaPvRmT3_T4_T5_mT6_P12ihipStream_tbENKUlT_T0_E_clISt17integral_constantIbLb1EESQ_IbLb0EEEEDaSM_SN_EUlSM_E_NS1_11comp_targetILNS1_3genE0ELNS1_11target_archE4294967295ELNS1_3gpuE0ELNS1_3repE0EEENS1_30default_config_static_selectorELNS0_4arch9wavefront6targetE1EEEvT1_
		.amdhsa_group_segment_fixed_size 0
		.amdhsa_private_segment_fixed_size 0
		.amdhsa_kernarg_size 96
		.amdhsa_user_sgpr_count 6
		.amdhsa_user_sgpr_private_segment_buffer 1
		.amdhsa_user_sgpr_dispatch_ptr 0
		.amdhsa_user_sgpr_queue_ptr 0
		.amdhsa_user_sgpr_kernarg_segment_ptr 1
		.amdhsa_user_sgpr_dispatch_id 0
		.amdhsa_user_sgpr_flat_scratch_init 0
		.amdhsa_user_sgpr_kernarg_preload_length 0
		.amdhsa_user_sgpr_kernarg_preload_offset 0
		.amdhsa_user_sgpr_private_segment_size 0
		.amdhsa_uses_dynamic_stack 0
		.amdhsa_system_sgpr_private_segment_wavefront_offset 0
		.amdhsa_system_sgpr_workgroup_id_x 1
		.amdhsa_system_sgpr_workgroup_id_y 0
		.amdhsa_system_sgpr_workgroup_id_z 0
		.amdhsa_system_sgpr_workgroup_info 0
		.amdhsa_system_vgpr_workitem_id 0
		.amdhsa_next_free_vgpr 1
		.amdhsa_next_free_sgpr 0
		.amdhsa_accum_offset 4
		.amdhsa_reserve_vcc 0
		.amdhsa_reserve_flat_scratch 0
		.amdhsa_float_round_mode_32 0
		.amdhsa_float_round_mode_16_64 0
		.amdhsa_float_denorm_mode_32 3
		.amdhsa_float_denorm_mode_16_64 3
		.amdhsa_dx10_clamp 1
		.amdhsa_ieee_mode 1
		.amdhsa_fp16_overflow 0
		.amdhsa_tg_split 0
		.amdhsa_exception_fp_ieee_invalid_op 0
		.amdhsa_exception_fp_denorm_src 0
		.amdhsa_exception_fp_ieee_div_zero 0
		.amdhsa_exception_fp_ieee_overflow 0
		.amdhsa_exception_fp_ieee_underflow 0
		.amdhsa_exception_fp_ieee_inexact 0
		.amdhsa_exception_int_div_zero 0
	.end_amdhsa_kernel
	.section	.text._ZN7rocprim17ROCPRIM_400000_NS6detail17trampoline_kernelINS0_14default_configENS1_20scan_config_selectorIiEEZZNS1_9scan_implILNS1_25lookback_scan_determinismE0ELb0ELb0ES3_N6thrust23THRUST_200600_302600_NS10device_ptrIiEESB_iNS9_4plusIvEEiEEDaPvRmT3_T4_T5_mT6_P12ihipStream_tbENKUlT_T0_E_clISt17integral_constantIbLb1EESQ_IbLb0EEEEDaSM_SN_EUlSM_E_NS1_11comp_targetILNS1_3genE0ELNS1_11target_archE4294967295ELNS1_3gpuE0ELNS1_3repE0EEENS1_30default_config_static_selectorELNS0_4arch9wavefront6targetE1EEEvT1_,"axG",@progbits,_ZN7rocprim17ROCPRIM_400000_NS6detail17trampoline_kernelINS0_14default_configENS1_20scan_config_selectorIiEEZZNS1_9scan_implILNS1_25lookback_scan_determinismE0ELb0ELb0ES3_N6thrust23THRUST_200600_302600_NS10device_ptrIiEESB_iNS9_4plusIvEEiEEDaPvRmT3_T4_T5_mT6_P12ihipStream_tbENKUlT_T0_E_clISt17integral_constantIbLb1EESQ_IbLb0EEEEDaSM_SN_EUlSM_E_NS1_11comp_targetILNS1_3genE0ELNS1_11target_archE4294967295ELNS1_3gpuE0ELNS1_3repE0EEENS1_30default_config_static_selectorELNS0_4arch9wavefront6targetE1EEEvT1_,comdat
.Lfunc_end6786:
	.size	_ZN7rocprim17ROCPRIM_400000_NS6detail17trampoline_kernelINS0_14default_configENS1_20scan_config_selectorIiEEZZNS1_9scan_implILNS1_25lookback_scan_determinismE0ELb0ELb0ES3_N6thrust23THRUST_200600_302600_NS10device_ptrIiEESB_iNS9_4plusIvEEiEEDaPvRmT3_T4_T5_mT6_P12ihipStream_tbENKUlT_T0_E_clISt17integral_constantIbLb1EESQ_IbLb0EEEEDaSM_SN_EUlSM_E_NS1_11comp_targetILNS1_3genE0ELNS1_11target_archE4294967295ELNS1_3gpuE0ELNS1_3repE0EEENS1_30default_config_static_selectorELNS0_4arch9wavefront6targetE1EEEvT1_, .Lfunc_end6786-_ZN7rocprim17ROCPRIM_400000_NS6detail17trampoline_kernelINS0_14default_configENS1_20scan_config_selectorIiEEZZNS1_9scan_implILNS1_25lookback_scan_determinismE0ELb0ELb0ES3_N6thrust23THRUST_200600_302600_NS10device_ptrIiEESB_iNS9_4plusIvEEiEEDaPvRmT3_T4_T5_mT6_P12ihipStream_tbENKUlT_T0_E_clISt17integral_constantIbLb1EESQ_IbLb0EEEEDaSM_SN_EUlSM_E_NS1_11comp_targetILNS1_3genE0ELNS1_11target_archE4294967295ELNS1_3gpuE0ELNS1_3repE0EEENS1_30default_config_static_selectorELNS0_4arch9wavefront6targetE1EEEvT1_
                                        ; -- End function
	.section	.AMDGPU.csdata,"",@progbits
; Kernel info:
; codeLenInByte = 0
; NumSgprs: 4
; NumVgprs: 0
; NumAgprs: 0
; TotalNumVgprs: 0
; ScratchSize: 0
; MemoryBound: 0
; FloatMode: 240
; IeeeMode: 1
; LDSByteSize: 0 bytes/workgroup (compile time only)
; SGPRBlocks: 0
; VGPRBlocks: 0
; NumSGPRsForWavesPerEU: 4
; NumVGPRsForWavesPerEU: 1
; AccumOffset: 4
; Occupancy: 8
; WaveLimiterHint : 0
; COMPUTE_PGM_RSRC2:SCRATCH_EN: 0
; COMPUTE_PGM_RSRC2:USER_SGPR: 6
; COMPUTE_PGM_RSRC2:TRAP_HANDLER: 0
; COMPUTE_PGM_RSRC2:TGID_X_EN: 1
; COMPUTE_PGM_RSRC2:TGID_Y_EN: 0
; COMPUTE_PGM_RSRC2:TGID_Z_EN: 0
; COMPUTE_PGM_RSRC2:TIDIG_COMP_CNT: 0
; COMPUTE_PGM_RSRC3_GFX90A:ACCUM_OFFSET: 0
; COMPUTE_PGM_RSRC3_GFX90A:TG_SPLIT: 0
	.section	.text._ZN7rocprim17ROCPRIM_400000_NS6detail17trampoline_kernelINS0_14default_configENS1_20scan_config_selectorIiEEZZNS1_9scan_implILNS1_25lookback_scan_determinismE0ELb0ELb0ES3_N6thrust23THRUST_200600_302600_NS10device_ptrIiEESB_iNS9_4plusIvEEiEEDaPvRmT3_T4_T5_mT6_P12ihipStream_tbENKUlT_T0_E_clISt17integral_constantIbLb1EESQ_IbLb0EEEEDaSM_SN_EUlSM_E_NS1_11comp_targetILNS1_3genE5ELNS1_11target_archE942ELNS1_3gpuE9ELNS1_3repE0EEENS1_30default_config_static_selectorELNS0_4arch9wavefront6targetE1EEEvT1_,"axG",@progbits,_ZN7rocprim17ROCPRIM_400000_NS6detail17trampoline_kernelINS0_14default_configENS1_20scan_config_selectorIiEEZZNS1_9scan_implILNS1_25lookback_scan_determinismE0ELb0ELb0ES3_N6thrust23THRUST_200600_302600_NS10device_ptrIiEESB_iNS9_4plusIvEEiEEDaPvRmT3_T4_T5_mT6_P12ihipStream_tbENKUlT_T0_E_clISt17integral_constantIbLb1EESQ_IbLb0EEEEDaSM_SN_EUlSM_E_NS1_11comp_targetILNS1_3genE5ELNS1_11target_archE942ELNS1_3gpuE9ELNS1_3repE0EEENS1_30default_config_static_selectorELNS0_4arch9wavefront6targetE1EEEvT1_,comdat
	.protected	_ZN7rocprim17ROCPRIM_400000_NS6detail17trampoline_kernelINS0_14default_configENS1_20scan_config_selectorIiEEZZNS1_9scan_implILNS1_25lookback_scan_determinismE0ELb0ELb0ES3_N6thrust23THRUST_200600_302600_NS10device_ptrIiEESB_iNS9_4plusIvEEiEEDaPvRmT3_T4_T5_mT6_P12ihipStream_tbENKUlT_T0_E_clISt17integral_constantIbLb1EESQ_IbLb0EEEEDaSM_SN_EUlSM_E_NS1_11comp_targetILNS1_3genE5ELNS1_11target_archE942ELNS1_3gpuE9ELNS1_3repE0EEENS1_30default_config_static_selectorELNS0_4arch9wavefront6targetE1EEEvT1_ ; -- Begin function _ZN7rocprim17ROCPRIM_400000_NS6detail17trampoline_kernelINS0_14default_configENS1_20scan_config_selectorIiEEZZNS1_9scan_implILNS1_25lookback_scan_determinismE0ELb0ELb0ES3_N6thrust23THRUST_200600_302600_NS10device_ptrIiEESB_iNS9_4plusIvEEiEEDaPvRmT3_T4_T5_mT6_P12ihipStream_tbENKUlT_T0_E_clISt17integral_constantIbLb1EESQ_IbLb0EEEEDaSM_SN_EUlSM_E_NS1_11comp_targetILNS1_3genE5ELNS1_11target_archE942ELNS1_3gpuE9ELNS1_3repE0EEENS1_30default_config_static_selectorELNS0_4arch9wavefront6targetE1EEEvT1_
	.globl	_ZN7rocprim17ROCPRIM_400000_NS6detail17trampoline_kernelINS0_14default_configENS1_20scan_config_selectorIiEEZZNS1_9scan_implILNS1_25lookback_scan_determinismE0ELb0ELb0ES3_N6thrust23THRUST_200600_302600_NS10device_ptrIiEESB_iNS9_4plusIvEEiEEDaPvRmT3_T4_T5_mT6_P12ihipStream_tbENKUlT_T0_E_clISt17integral_constantIbLb1EESQ_IbLb0EEEEDaSM_SN_EUlSM_E_NS1_11comp_targetILNS1_3genE5ELNS1_11target_archE942ELNS1_3gpuE9ELNS1_3repE0EEENS1_30default_config_static_selectorELNS0_4arch9wavefront6targetE1EEEvT1_
	.p2align	8
	.type	_ZN7rocprim17ROCPRIM_400000_NS6detail17trampoline_kernelINS0_14default_configENS1_20scan_config_selectorIiEEZZNS1_9scan_implILNS1_25lookback_scan_determinismE0ELb0ELb0ES3_N6thrust23THRUST_200600_302600_NS10device_ptrIiEESB_iNS9_4plusIvEEiEEDaPvRmT3_T4_T5_mT6_P12ihipStream_tbENKUlT_T0_E_clISt17integral_constantIbLb1EESQ_IbLb0EEEEDaSM_SN_EUlSM_E_NS1_11comp_targetILNS1_3genE5ELNS1_11target_archE942ELNS1_3gpuE9ELNS1_3repE0EEENS1_30default_config_static_selectorELNS0_4arch9wavefront6targetE1EEEvT1_,@function
_ZN7rocprim17ROCPRIM_400000_NS6detail17trampoline_kernelINS0_14default_configENS1_20scan_config_selectorIiEEZZNS1_9scan_implILNS1_25lookback_scan_determinismE0ELb0ELb0ES3_N6thrust23THRUST_200600_302600_NS10device_ptrIiEESB_iNS9_4plusIvEEiEEDaPvRmT3_T4_T5_mT6_P12ihipStream_tbENKUlT_T0_E_clISt17integral_constantIbLb1EESQ_IbLb0EEEEDaSM_SN_EUlSM_E_NS1_11comp_targetILNS1_3genE5ELNS1_11target_archE942ELNS1_3gpuE9ELNS1_3repE0EEENS1_30default_config_static_selectorELNS0_4arch9wavefront6targetE1EEEvT1_: ; @_ZN7rocprim17ROCPRIM_400000_NS6detail17trampoline_kernelINS0_14default_configENS1_20scan_config_selectorIiEEZZNS1_9scan_implILNS1_25lookback_scan_determinismE0ELb0ELb0ES3_N6thrust23THRUST_200600_302600_NS10device_ptrIiEESB_iNS9_4plusIvEEiEEDaPvRmT3_T4_T5_mT6_P12ihipStream_tbENKUlT_T0_E_clISt17integral_constantIbLb1EESQ_IbLb0EEEEDaSM_SN_EUlSM_E_NS1_11comp_targetILNS1_3genE5ELNS1_11target_archE942ELNS1_3gpuE9ELNS1_3repE0EEENS1_30default_config_static_selectorELNS0_4arch9wavefront6targetE1EEEvT1_
; %bb.0:
	.section	.rodata,"a",@progbits
	.p2align	6, 0x0
	.amdhsa_kernel _ZN7rocprim17ROCPRIM_400000_NS6detail17trampoline_kernelINS0_14default_configENS1_20scan_config_selectorIiEEZZNS1_9scan_implILNS1_25lookback_scan_determinismE0ELb0ELb0ES3_N6thrust23THRUST_200600_302600_NS10device_ptrIiEESB_iNS9_4plusIvEEiEEDaPvRmT3_T4_T5_mT6_P12ihipStream_tbENKUlT_T0_E_clISt17integral_constantIbLb1EESQ_IbLb0EEEEDaSM_SN_EUlSM_E_NS1_11comp_targetILNS1_3genE5ELNS1_11target_archE942ELNS1_3gpuE9ELNS1_3repE0EEENS1_30default_config_static_selectorELNS0_4arch9wavefront6targetE1EEEvT1_
		.amdhsa_group_segment_fixed_size 0
		.amdhsa_private_segment_fixed_size 0
		.amdhsa_kernarg_size 96
		.amdhsa_user_sgpr_count 6
		.amdhsa_user_sgpr_private_segment_buffer 1
		.amdhsa_user_sgpr_dispatch_ptr 0
		.amdhsa_user_sgpr_queue_ptr 0
		.amdhsa_user_sgpr_kernarg_segment_ptr 1
		.amdhsa_user_sgpr_dispatch_id 0
		.amdhsa_user_sgpr_flat_scratch_init 0
		.amdhsa_user_sgpr_kernarg_preload_length 0
		.amdhsa_user_sgpr_kernarg_preload_offset 0
		.amdhsa_user_sgpr_private_segment_size 0
		.amdhsa_uses_dynamic_stack 0
		.amdhsa_system_sgpr_private_segment_wavefront_offset 0
		.amdhsa_system_sgpr_workgroup_id_x 1
		.amdhsa_system_sgpr_workgroup_id_y 0
		.amdhsa_system_sgpr_workgroup_id_z 0
		.amdhsa_system_sgpr_workgroup_info 0
		.amdhsa_system_vgpr_workitem_id 0
		.amdhsa_next_free_vgpr 1
		.amdhsa_next_free_sgpr 0
		.amdhsa_accum_offset 4
		.amdhsa_reserve_vcc 0
		.amdhsa_reserve_flat_scratch 0
		.amdhsa_float_round_mode_32 0
		.amdhsa_float_round_mode_16_64 0
		.amdhsa_float_denorm_mode_32 3
		.amdhsa_float_denorm_mode_16_64 3
		.amdhsa_dx10_clamp 1
		.amdhsa_ieee_mode 1
		.amdhsa_fp16_overflow 0
		.amdhsa_tg_split 0
		.amdhsa_exception_fp_ieee_invalid_op 0
		.amdhsa_exception_fp_denorm_src 0
		.amdhsa_exception_fp_ieee_div_zero 0
		.amdhsa_exception_fp_ieee_overflow 0
		.amdhsa_exception_fp_ieee_underflow 0
		.amdhsa_exception_fp_ieee_inexact 0
		.amdhsa_exception_int_div_zero 0
	.end_amdhsa_kernel
	.section	.text._ZN7rocprim17ROCPRIM_400000_NS6detail17trampoline_kernelINS0_14default_configENS1_20scan_config_selectorIiEEZZNS1_9scan_implILNS1_25lookback_scan_determinismE0ELb0ELb0ES3_N6thrust23THRUST_200600_302600_NS10device_ptrIiEESB_iNS9_4plusIvEEiEEDaPvRmT3_T4_T5_mT6_P12ihipStream_tbENKUlT_T0_E_clISt17integral_constantIbLb1EESQ_IbLb0EEEEDaSM_SN_EUlSM_E_NS1_11comp_targetILNS1_3genE5ELNS1_11target_archE942ELNS1_3gpuE9ELNS1_3repE0EEENS1_30default_config_static_selectorELNS0_4arch9wavefront6targetE1EEEvT1_,"axG",@progbits,_ZN7rocprim17ROCPRIM_400000_NS6detail17trampoline_kernelINS0_14default_configENS1_20scan_config_selectorIiEEZZNS1_9scan_implILNS1_25lookback_scan_determinismE0ELb0ELb0ES3_N6thrust23THRUST_200600_302600_NS10device_ptrIiEESB_iNS9_4plusIvEEiEEDaPvRmT3_T4_T5_mT6_P12ihipStream_tbENKUlT_T0_E_clISt17integral_constantIbLb1EESQ_IbLb0EEEEDaSM_SN_EUlSM_E_NS1_11comp_targetILNS1_3genE5ELNS1_11target_archE942ELNS1_3gpuE9ELNS1_3repE0EEENS1_30default_config_static_selectorELNS0_4arch9wavefront6targetE1EEEvT1_,comdat
.Lfunc_end6787:
	.size	_ZN7rocprim17ROCPRIM_400000_NS6detail17trampoline_kernelINS0_14default_configENS1_20scan_config_selectorIiEEZZNS1_9scan_implILNS1_25lookback_scan_determinismE0ELb0ELb0ES3_N6thrust23THRUST_200600_302600_NS10device_ptrIiEESB_iNS9_4plusIvEEiEEDaPvRmT3_T4_T5_mT6_P12ihipStream_tbENKUlT_T0_E_clISt17integral_constantIbLb1EESQ_IbLb0EEEEDaSM_SN_EUlSM_E_NS1_11comp_targetILNS1_3genE5ELNS1_11target_archE942ELNS1_3gpuE9ELNS1_3repE0EEENS1_30default_config_static_selectorELNS0_4arch9wavefront6targetE1EEEvT1_, .Lfunc_end6787-_ZN7rocprim17ROCPRIM_400000_NS6detail17trampoline_kernelINS0_14default_configENS1_20scan_config_selectorIiEEZZNS1_9scan_implILNS1_25lookback_scan_determinismE0ELb0ELb0ES3_N6thrust23THRUST_200600_302600_NS10device_ptrIiEESB_iNS9_4plusIvEEiEEDaPvRmT3_T4_T5_mT6_P12ihipStream_tbENKUlT_T0_E_clISt17integral_constantIbLb1EESQ_IbLb0EEEEDaSM_SN_EUlSM_E_NS1_11comp_targetILNS1_3genE5ELNS1_11target_archE942ELNS1_3gpuE9ELNS1_3repE0EEENS1_30default_config_static_selectorELNS0_4arch9wavefront6targetE1EEEvT1_
                                        ; -- End function
	.section	.AMDGPU.csdata,"",@progbits
; Kernel info:
; codeLenInByte = 0
; NumSgprs: 4
; NumVgprs: 0
; NumAgprs: 0
; TotalNumVgprs: 0
; ScratchSize: 0
; MemoryBound: 0
; FloatMode: 240
; IeeeMode: 1
; LDSByteSize: 0 bytes/workgroup (compile time only)
; SGPRBlocks: 0
; VGPRBlocks: 0
; NumSGPRsForWavesPerEU: 4
; NumVGPRsForWavesPerEU: 1
; AccumOffset: 4
; Occupancy: 8
; WaveLimiterHint : 0
; COMPUTE_PGM_RSRC2:SCRATCH_EN: 0
; COMPUTE_PGM_RSRC2:USER_SGPR: 6
; COMPUTE_PGM_RSRC2:TRAP_HANDLER: 0
; COMPUTE_PGM_RSRC2:TGID_X_EN: 1
; COMPUTE_PGM_RSRC2:TGID_Y_EN: 0
; COMPUTE_PGM_RSRC2:TGID_Z_EN: 0
; COMPUTE_PGM_RSRC2:TIDIG_COMP_CNT: 0
; COMPUTE_PGM_RSRC3_GFX90A:ACCUM_OFFSET: 0
; COMPUTE_PGM_RSRC3_GFX90A:TG_SPLIT: 0
	.section	.text._ZN7rocprim17ROCPRIM_400000_NS6detail17trampoline_kernelINS0_14default_configENS1_20scan_config_selectorIiEEZZNS1_9scan_implILNS1_25lookback_scan_determinismE0ELb0ELb0ES3_N6thrust23THRUST_200600_302600_NS10device_ptrIiEESB_iNS9_4plusIvEEiEEDaPvRmT3_T4_T5_mT6_P12ihipStream_tbENKUlT_T0_E_clISt17integral_constantIbLb1EESQ_IbLb0EEEEDaSM_SN_EUlSM_E_NS1_11comp_targetILNS1_3genE4ELNS1_11target_archE910ELNS1_3gpuE8ELNS1_3repE0EEENS1_30default_config_static_selectorELNS0_4arch9wavefront6targetE1EEEvT1_,"axG",@progbits,_ZN7rocprim17ROCPRIM_400000_NS6detail17trampoline_kernelINS0_14default_configENS1_20scan_config_selectorIiEEZZNS1_9scan_implILNS1_25lookback_scan_determinismE0ELb0ELb0ES3_N6thrust23THRUST_200600_302600_NS10device_ptrIiEESB_iNS9_4plusIvEEiEEDaPvRmT3_T4_T5_mT6_P12ihipStream_tbENKUlT_T0_E_clISt17integral_constantIbLb1EESQ_IbLb0EEEEDaSM_SN_EUlSM_E_NS1_11comp_targetILNS1_3genE4ELNS1_11target_archE910ELNS1_3gpuE8ELNS1_3repE0EEENS1_30default_config_static_selectorELNS0_4arch9wavefront6targetE1EEEvT1_,comdat
	.protected	_ZN7rocprim17ROCPRIM_400000_NS6detail17trampoline_kernelINS0_14default_configENS1_20scan_config_selectorIiEEZZNS1_9scan_implILNS1_25lookback_scan_determinismE0ELb0ELb0ES3_N6thrust23THRUST_200600_302600_NS10device_ptrIiEESB_iNS9_4plusIvEEiEEDaPvRmT3_T4_T5_mT6_P12ihipStream_tbENKUlT_T0_E_clISt17integral_constantIbLb1EESQ_IbLb0EEEEDaSM_SN_EUlSM_E_NS1_11comp_targetILNS1_3genE4ELNS1_11target_archE910ELNS1_3gpuE8ELNS1_3repE0EEENS1_30default_config_static_selectorELNS0_4arch9wavefront6targetE1EEEvT1_ ; -- Begin function _ZN7rocprim17ROCPRIM_400000_NS6detail17trampoline_kernelINS0_14default_configENS1_20scan_config_selectorIiEEZZNS1_9scan_implILNS1_25lookback_scan_determinismE0ELb0ELb0ES3_N6thrust23THRUST_200600_302600_NS10device_ptrIiEESB_iNS9_4plusIvEEiEEDaPvRmT3_T4_T5_mT6_P12ihipStream_tbENKUlT_T0_E_clISt17integral_constantIbLb1EESQ_IbLb0EEEEDaSM_SN_EUlSM_E_NS1_11comp_targetILNS1_3genE4ELNS1_11target_archE910ELNS1_3gpuE8ELNS1_3repE0EEENS1_30default_config_static_selectorELNS0_4arch9wavefront6targetE1EEEvT1_
	.globl	_ZN7rocprim17ROCPRIM_400000_NS6detail17trampoline_kernelINS0_14default_configENS1_20scan_config_selectorIiEEZZNS1_9scan_implILNS1_25lookback_scan_determinismE0ELb0ELb0ES3_N6thrust23THRUST_200600_302600_NS10device_ptrIiEESB_iNS9_4plusIvEEiEEDaPvRmT3_T4_T5_mT6_P12ihipStream_tbENKUlT_T0_E_clISt17integral_constantIbLb1EESQ_IbLb0EEEEDaSM_SN_EUlSM_E_NS1_11comp_targetILNS1_3genE4ELNS1_11target_archE910ELNS1_3gpuE8ELNS1_3repE0EEENS1_30default_config_static_selectorELNS0_4arch9wavefront6targetE1EEEvT1_
	.p2align	8
	.type	_ZN7rocprim17ROCPRIM_400000_NS6detail17trampoline_kernelINS0_14default_configENS1_20scan_config_selectorIiEEZZNS1_9scan_implILNS1_25lookback_scan_determinismE0ELb0ELb0ES3_N6thrust23THRUST_200600_302600_NS10device_ptrIiEESB_iNS9_4plusIvEEiEEDaPvRmT3_T4_T5_mT6_P12ihipStream_tbENKUlT_T0_E_clISt17integral_constantIbLb1EESQ_IbLb0EEEEDaSM_SN_EUlSM_E_NS1_11comp_targetILNS1_3genE4ELNS1_11target_archE910ELNS1_3gpuE8ELNS1_3repE0EEENS1_30default_config_static_selectorELNS0_4arch9wavefront6targetE1EEEvT1_,@function
_ZN7rocprim17ROCPRIM_400000_NS6detail17trampoline_kernelINS0_14default_configENS1_20scan_config_selectorIiEEZZNS1_9scan_implILNS1_25lookback_scan_determinismE0ELb0ELb0ES3_N6thrust23THRUST_200600_302600_NS10device_ptrIiEESB_iNS9_4plusIvEEiEEDaPvRmT3_T4_T5_mT6_P12ihipStream_tbENKUlT_T0_E_clISt17integral_constantIbLb1EESQ_IbLb0EEEEDaSM_SN_EUlSM_E_NS1_11comp_targetILNS1_3genE4ELNS1_11target_archE910ELNS1_3gpuE8ELNS1_3repE0EEENS1_30default_config_static_selectorELNS0_4arch9wavefront6targetE1EEEvT1_: ; @_ZN7rocprim17ROCPRIM_400000_NS6detail17trampoline_kernelINS0_14default_configENS1_20scan_config_selectorIiEEZZNS1_9scan_implILNS1_25lookback_scan_determinismE0ELb0ELb0ES3_N6thrust23THRUST_200600_302600_NS10device_ptrIiEESB_iNS9_4plusIvEEiEEDaPvRmT3_T4_T5_mT6_P12ihipStream_tbENKUlT_T0_E_clISt17integral_constantIbLb1EESQ_IbLb0EEEEDaSM_SN_EUlSM_E_NS1_11comp_targetILNS1_3genE4ELNS1_11target_archE910ELNS1_3gpuE8ELNS1_3repE0EEENS1_30default_config_static_selectorELNS0_4arch9wavefront6targetE1EEEvT1_
; %bb.0:
	s_load_dwordx8 s[8:15], s[4:5], 0x0
	s_load_dword s1, s[4:5], 0x30
	s_mul_i32 s0, s6, 0x500
	v_lshlrev_b32_e32 v22, 2, v0
	s_waitcnt lgkmcnt(0)
	s_lshl_b64 s[16:17], s[10:11], 2
	s_add_u32 s2, s8, s16
	s_addc_u32 s3, s9, s17
	s_add_i32 s7, s1, -1
	s_mul_i32 s8, s7, 0x500
	s_sub_u32 s24, s14, s8
	s_subb_u32 s25, s15, 0
	s_mov_b32 s1, 0
	s_cmp_lg_u32 s6, s7
	s_cselect_b64 s[14:15], -1, 0
	s_lshl_b64 s[18:19], s[0:1], 2
	s_add_u32 s2, s2, s18
	s_addc_u32 s3, s3, s19
	s_mov_b64 s[0:1], -1
	s_and_b64 vcc, exec, s[14:15]
	s_cbranch_vccz .LBB6788_2
; %bb.1:
	v_mov_b32_e32 v1, s3
	v_add_co_u32_e32 v2, vcc, s2, v22
	v_addc_co_u32_e32 v3, vcc, 0, v1, vcc
	flat_load_dword v1, v[2:3]
	flat_load_dword v4, v[2:3] offset:512
	flat_load_dword v5, v[2:3] offset:1024
	;; [unrolled: 1-line block ×7, first 2 shown]
	v_add_co_u32_e32 v2, vcc, 0x1000, v2
	v_addc_co_u32_e32 v3, vcc, 0, v3, vcc
	flat_load_dword v11, v[2:3]
	flat_load_dword v12, v[2:3] offset:512
	s_mov_b64 s[0:1], 0
	s_waitcnt vmcnt(0) lgkmcnt(0)
	ds_write2st64_b32 v22, v1, v4 offset1:2
	ds_write2st64_b32 v22, v5, v6 offset0:4 offset1:6
	ds_write2st64_b32 v22, v7, v8 offset0:8 offset1:10
	;; [unrolled: 1-line block ×4, first 2 shown]
	s_waitcnt lgkmcnt(0)
	s_barrier
.LBB6788_2:
	s_load_dwordx2 s[20:21], s[4:5], 0x28
	s_andn2_b64 vcc, exec, s[0:1]
	v_cmp_gt_u32_e64 s[0:1], s24, v0
	s_cbranch_vccnz .LBB6788_24
; %bb.3:
	v_pk_mov_b32 v[2:3], s[2:3], s[2:3] op_sel:[0,1]
	flat_load_dword v1, v[2:3]
	s_waitcnt vmcnt(0) lgkmcnt(0)
	v_mov_b32_e32 v2, v1
	v_mov_b32_e32 v3, v1
	;; [unrolled: 1-line block ×9, first 2 shown]
	s_and_saveexec_b64 s[8:9], s[0:1]
	s_cbranch_execz .LBB6788_5
; %bb.4:
	v_mov_b32_e32 v11, s3
	v_add_co_u32_e32 v10, vcc, s2, v22
	v_addc_co_u32_e32 v11, vcc, 0, v11, vcc
	flat_load_dword v10, v[10:11]
.LBB6788_5:
	s_or_b64 exec, exec, s[8:9]
	v_or_b32_e32 v11, 0x80, v0
	v_cmp_gt_u32_e32 vcc, s24, v11
	s_and_saveexec_b64 s[0:1], vcc
	s_cbranch_execz .LBB6788_7
; %bb.6:
	v_mov_b32_e32 v1, s3
	v_add_co_u32_e32 v12, vcc, s2, v22
	v_addc_co_u32_e32 v13, vcc, 0, v1, vcc
	flat_load_dword v1, v[12:13] offset:512
.LBB6788_7:
	s_or_b64 exec, exec, s[0:1]
	v_or_b32_e32 v11, 0x100, v0
	v_cmp_gt_u32_e32 vcc, s24, v11
	s_and_saveexec_b64 s[0:1], vcc
	s_cbranch_execz .LBB6788_9
; %bb.8:
	v_mov_b32_e32 v2, s3
	v_add_co_u32_e32 v12, vcc, s2, v22
	v_addc_co_u32_e32 v13, vcc, 0, v2, vcc
	flat_load_dword v2, v[12:13] offset:1024
.LBB6788_9:
	;; [unrolled: 11-line block ×7, first 2 shown]
	s_or_b64 exec, exec, s[0:1]
	v_or_b32_e32 v11, 0x400, v0
	v_cmp_gt_u32_e32 vcc, s24, v11
	s_and_saveexec_b64 s[0:1], vcc
	s_cbranch_execz .LBB6788_21
; %bb.20:
	v_lshlrev_b32_e32 v8, 2, v11
	v_mov_b32_e32 v11, s3
	v_add_co_u32_e32 v12, vcc, s2, v8
	v_addc_co_u32_e32 v13, vcc, 0, v11, vcc
	flat_load_dword v8, v[12:13]
.LBB6788_21:
	s_or_b64 exec, exec, s[0:1]
	v_or_b32_e32 v11, 0x480, v0
	v_cmp_gt_u32_e32 vcc, s24, v11
	s_and_saveexec_b64 s[0:1], vcc
	s_cbranch_execz .LBB6788_23
; %bb.22:
	v_lshlrev_b32_e32 v9, 2, v11
	v_mov_b32_e32 v11, s3
	v_add_co_u32_e32 v12, vcc, s2, v9
	v_addc_co_u32_e32 v13, vcc, 0, v11, vcc
	flat_load_dword v9, v[12:13]
.LBB6788_23:
	s_or_b64 exec, exec, s[0:1]
	s_waitcnt vmcnt(0) lgkmcnt(0)
	ds_write2st64_b32 v22, v10, v1 offset1:2
	ds_write2st64_b32 v22, v2, v3 offset0:4 offset1:6
	ds_write2st64_b32 v22, v4, v5 offset0:8 offset1:10
	;; [unrolled: 1-line block ×4, first 2 shown]
	s_waitcnt lgkmcnt(0)
	s_barrier
.LBB6788_24:
	v_mul_u32_u24_e32 v23, 10, v0
	v_lshlrev_b32_e32 v1, 2, v23
	s_waitcnt lgkmcnt(0)
	ds_read2_b64 v[2:5], v1 offset1:1
	ds_read2_b64 v[16:19], v1 offset0:2 offset1:3
	ds_read_b64 v[20:21], v1 offset:32
	s_cmp_lg_u32 s6, 0
	v_lshrrev_b32_e32 v24, 5, v0
	v_cmp_gt_u32_e32 vcc, 64, v0
	s_waitcnt lgkmcnt(0)
	s_barrier
	s_cbranch_scc0 .LBB6788_53
; %bb.25:
	v_add_u32_e32 v6, v3, v2
	v_add3_u32 v6, v6, v4, v5
	v_add3_u32 v6, v6, v16, v17
	;; [unrolled: 1-line block ×4, first 2 shown]
	v_add_lshl_u32 v7, v24, v0, 2
	ds_write_b32 v7, v6
	s_waitcnt lgkmcnt(0)
	s_barrier
	s_and_saveexec_b64 s[2:3], vcc
	s_cbranch_execz .LBB6788_27
; %bb.26:
	v_lshlrev_b32_e32 v7, 1, v0
	v_lshrrev_b32_e32 v8, 4, v0
	v_add_lshl_u32 v7, v8, v7, 2
	ds_read2_b32 v[8:9], v7 offset1:1
	v_mbcnt_lo_u32_b32 v10, -1, 0
	v_mbcnt_hi_u32_b32 v10, -1, v10
	v_and_b32_e32 v11, 15, v10
	v_cmp_ne_u32_e64 s[0:1], 0, v11
	s_waitcnt lgkmcnt(0)
	v_add_u32_e32 v9, v9, v8
	; wave barrier
	s_nop 1
	v_mov_b32_dpp v12, v9 row_shr:1 row_mask:0xf bank_mask:0xf
	v_cndmask_b32_e64 v12, 0, v12, s[0:1]
	v_add_u32_e32 v9, v12, v9
	v_cmp_lt_u32_e64 s[0:1], 1, v11
	s_nop 0
	v_mov_b32_dpp v12, v9 row_shr:2 row_mask:0xf bank_mask:0xf
	v_cndmask_b32_e64 v12, 0, v12, s[0:1]
	v_add_u32_e32 v9, v9, v12
	v_cmp_lt_u32_e64 s[0:1], 3, v11
	;; [unrolled: 5-line block ×3, first 2 shown]
	s_nop 0
	v_mov_b32_dpp v12, v9 row_shr:8 row_mask:0xf bank_mask:0xf
	v_cndmask_b32_e64 v11, 0, v12, s[0:1]
	v_add_u32_e32 v9, v9, v11
	v_bfe_i32 v12, v10, 4, 1
	v_cmp_lt_u32_e64 s[0:1], 31, v10
	v_mov_b32_dpp v11, v9 row_bcast:15 row_mask:0xf bank_mask:0xf
	v_and_b32_e32 v11, v12, v11
	v_add_u32_e32 v9, v9, v11
	v_and_b32_e32 v12, 64, v10
	s_nop 0
	v_mov_b32_dpp v11, v9 row_bcast:31 row_mask:0xf bank_mask:0xf
	v_cndmask_b32_e64 v11, 0, v11, s[0:1]
	v_add_u32_e32 v9, v9, v11
	v_add_u32_e32 v11, -1, v10
	v_cmp_lt_i32_e64 s[0:1], v11, v12
	v_cndmask_b32_e64 v10, v11, v10, s[0:1]
	v_lshlrev_b32_e32 v10, 2, v10
	ds_bpermute_b32 v9, v10, v9
	v_cmp_eq_u32_e64 s[0:1], 0, v0
	s_waitcnt lgkmcnt(0)
	v_add_u32_e32 v8, v9, v8
	v_cndmask_b32_e64 v6, v8, v6, s[0:1]
	ds_write_b32 v7, v6
	; wave barrier
	ds_read_b32 v8, v7 offset:4
	s_waitcnt lgkmcnt(0)
	v_add_u32_e32 v6, v8, v6
	ds_write_b32 v7, v6 offset:4
.LBB6788_27:
	s_or_b64 exec, exec, s[2:3]
	v_cmp_eq_u32_e64 s[0:1], 0, v0
	v_cmp_ne_u32_e64 s[2:3], 0, v0
	v_mov_b32_e32 v25, 0
	s_waitcnt lgkmcnt(0)
	s_barrier
	s_and_saveexec_b64 s[8:9], s[2:3]
	s_cbranch_execz .LBB6788_29
; %bb.28:
	v_add_u32_e32 v6, -1, v0
	v_lshrrev_b32_e32 v7, 5, v6
	v_add_lshl_u32 v6, v7, v6, 2
	ds_read_b32 v25, v6
.LBB6788_29:
	s_or_b64 exec, exec, s[8:9]
	s_and_saveexec_b64 s[8:9], vcc
	s_cbranch_execz .LBB6788_52
; %bb.30:
	v_mov_b32_e32 v15, 0
	ds_read_b32 v6, v15 offset:520
	v_mbcnt_lo_u32_b32 v7, -1, 0
	v_mbcnt_hi_u32_b32 v9, -1, v7
	s_mov_b32 s23, 0
	v_cmp_eq_u32_e64 s[2:3], 0, v9
	s_and_saveexec_b64 s[10:11], s[2:3]
	s_cbranch_execz .LBB6788_32
; %bb.31:
	s_add_i32 s22, s6, 64
	s_lshl_b64 s[22:23], s[22:23], 3
	s_add_u32 s22, s20, s22
	v_mov_b32_e32 v7, 1
	s_addc_u32 s23, s21, s23
	s_waitcnt lgkmcnt(0)
	global_store_dwordx2 v15, v[6:7], s[22:23]
.LBB6788_32:
	s_or_b64 exec, exec, s[10:11]
	v_xad_u32 v8, v9, -1, s6
	v_add_u32_e32 v14, 64, v8
	v_lshlrev_b64 v[10:11], 3, v[14:15]
	v_mov_b32_e32 v7, s21
	v_add_co_u32_e32 v10, vcc, s20, v10
	v_addc_co_u32_e32 v11, vcc, v7, v11, vcc
	global_load_dwordx2 v[12:13], v[10:11], off glc
	s_waitcnt vmcnt(0)
	v_cmp_eq_u16_sdwa s[22:23], v13, v15 src0_sel:BYTE_0 src1_sel:DWORD
	s_and_saveexec_b64 s[10:11], s[22:23]
	s_cbranch_execz .LBB6788_38
; %bb.33:
	s_mov_b32 s7, 1
	s_mov_b64 s[22:23], 0
	v_mov_b32_e32 v7, 0
.LBB6788_34:                            ; =>This Loop Header: Depth=1
                                        ;     Child Loop BB6788_35 Depth 2
	s_max_u32 s26, s7, 1
.LBB6788_35:                            ;   Parent Loop BB6788_34 Depth=1
                                        ; =>  This Inner Loop Header: Depth=2
	s_add_i32 s26, s26, -1
	s_cmp_eq_u32 s26, 0
	s_sleep 1
	s_cbranch_scc0 .LBB6788_35
; %bb.36:                               ;   in Loop: Header=BB6788_34 Depth=1
	global_load_dwordx2 v[12:13], v[10:11], off glc
	s_cmp_lt_u32 s7, 32
	s_cselect_b64 s[26:27], -1, 0
	s_cmp_lg_u64 s[26:27], 0
	s_addc_u32 s7, s7, 0
	s_waitcnt vmcnt(0)
	v_cmp_ne_u16_sdwa s[26:27], v13, v7 src0_sel:BYTE_0 src1_sel:DWORD
	s_or_b64 s[22:23], s[26:27], s[22:23]
	s_andn2_b64 exec, exec, s[22:23]
	s_cbranch_execnz .LBB6788_34
; %bb.37:
	s_or_b64 exec, exec, s[22:23]
.LBB6788_38:
	s_or_b64 exec, exec, s[10:11]
	v_and_b32_e32 v26, 63, v9
	v_mov_b32_e32 v7, 2
	v_cmp_ne_u32_e32 vcc, 63, v26
	v_cmp_eq_u16_sdwa s[10:11], v13, v7 src0_sel:BYTE_0 src1_sel:DWORD
	v_lshlrev_b64 v[10:11], v9, -1
	v_addc_co_u32_e32 v27, vcc, 0, v9, vcc
	v_and_b32_e32 v14, s11, v11
	v_lshlrev_b32_e32 v27, 2, v27
	v_or_b32_e32 v14, 0x80000000, v14
	ds_bpermute_b32 v28, v27, v12
	v_and_b32_e32 v15, s10, v10
	v_ffbl_b32_e32 v14, v14
	v_add_u32_e32 v14, 32, v14
	v_ffbl_b32_e32 v15, v15
	v_min_u32_e32 v14, v15, v14
	v_cmp_lt_u32_e32 vcc, v26, v14
	s_waitcnt lgkmcnt(0)
	v_cndmask_b32_e32 v15, 0, v28, vcc
	v_cmp_gt_u32_e32 vcc, 62, v26
	v_add_u32_e32 v12, v15, v12
	v_cndmask_b32_e64 v15, 0, 1, vcc
	v_lshlrev_b32_e32 v15, 1, v15
	v_add_lshl_u32 v28, v15, v9, 2
	ds_bpermute_b32 v15, v28, v12
	v_add_u32_e32 v29, 2, v26
	v_cmp_le_u32_e32 vcc, v29, v14
	v_add_u32_e32 v31, 4, v26
	v_add_u32_e32 v33, 8, v26
	s_waitcnt lgkmcnt(0)
	v_cndmask_b32_e32 v15, 0, v15, vcc
	v_cmp_gt_u32_e32 vcc, 60, v26
	v_add_u32_e32 v12, v12, v15
	v_cndmask_b32_e64 v15, 0, 1, vcc
	v_lshlrev_b32_e32 v15, 2, v15
	v_add_lshl_u32 v30, v15, v9, 2
	ds_bpermute_b32 v15, v30, v12
	v_cmp_le_u32_e32 vcc, v31, v14
	v_add_u32_e32 v36, 16, v26
	v_add_u32_e32 v38, 32, v26
	s_waitcnt lgkmcnt(0)
	v_cndmask_b32_e32 v15, 0, v15, vcc
	v_cmp_gt_u32_e32 vcc, 56, v26
	v_add_u32_e32 v12, v12, v15
	v_cndmask_b32_e64 v15, 0, 1, vcc
	v_lshlrev_b32_e32 v15, 3, v15
	v_add_lshl_u32 v32, v15, v9, 2
	ds_bpermute_b32 v15, v32, v12
	v_cmp_le_u32_e32 vcc, v33, v14
	s_waitcnt lgkmcnt(0)
	v_cndmask_b32_e32 v15, 0, v15, vcc
	v_cmp_gt_u32_e32 vcc, 48, v26
	v_add_u32_e32 v12, v12, v15
	v_cndmask_b32_e64 v15, 0, 1, vcc
	v_lshlrev_b32_e32 v15, 4, v15
	v_add_lshl_u32 v35, v15, v9, 2
	ds_bpermute_b32 v15, v35, v12
	v_cmp_le_u32_e32 vcc, v36, v14
	;; [unrolled: 9-line block ×3, first 2 shown]
	s_waitcnt lgkmcnt(0)
	v_cndmask_b32_e32 v9, 0, v9, vcc
	v_add_u32_e32 v12, v12, v9
	v_mov_b32_e32 v9, 0
	s_branch .LBB6788_40
.LBB6788_39:                            ;   in Loop: Header=BB6788_40 Depth=1
	s_or_b64 exec, exec, s[10:11]
	v_cmp_eq_u16_sdwa s[10:11], v13, v7 src0_sel:BYTE_0 src1_sel:DWORD
	v_and_b32_e32 v14, s11, v11
	v_or_b32_e32 v14, 0x80000000, v14
	ds_bpermute_b32 v39, v27, v12
	v_and_b32_e32 v15, s10, v10
	v_ffbl_b32_e32 v14, v14
	v_add_u32_e32 v14, 32, v14
	v_ffbl_b32_e32 v15, v15
	v_min_u32_e32 v14, v15, v14
	v_cmp_lt_u32_e32 vcc, v26, v14
	s_waitcnt lgkmcnt(0)
	v_cndmask_b32_e32 v15, 0, v39, vcc
	v_add_u32_e32 v12, v15, v12
	ds_bpermute_b32 v15, v28, v12
	v_cmp_le_u32_e32 vcc, v29, v14
	v_subrev_u32_e32 v8, 64, v8
	s_waitcnt lgkmcnt(0)
	v_cndmask_b32_e32 v15, 0, v15, vcc
	v_add_u32_e32 v12, v12, v15
	ds_bpermute_b32 v15, v30, v12
	v_cmp_le_u32_e32 vcc, v31, v14
	s_waitcnt lgkmcnt(0)
	v_cndmask_b32_e32 v15, 0, v15, vcc
	v_add_u32_e32 v12, v12, v15
	ds_bpermute_b32 v15, v32, v12
	v_cmp_le_u32_e32 vcc, v33, v14
	;; [unrolled: 5-line block ×4, first 2 shown]
	s_waitcnt lgkmcnt(0)
	v_cndmask_b32_e32 v14, 0, v15, vcc
	v_add3_u32 v12, v14, v34, v12
.LBB6788_40:                            ; =>This Loop Header: Depth=1
                                        ;     Child Loop BB6788_43 Depth 2
                                        ;       Child Loop BB6788_44 Depth 3
	v_cmp_ne_u16_sdwa s[10:11], v13, v7 src0_sel:BYTE_0 src1_sel:DWORD
	v_cndmask_b32_e64 v13, 0, 1, s[10:11]
	;;#ASMSTART
	;;#ASMEND
	v_cmp_ne_u32_e32 vcc, 0, v13
	s_cmp_lg_u64 vcc, exec
	v_mov_b32_e32 v34, v12
	s_cbranch_scc1 .LBB6788_47
; %bb.41:                               ;   in Loop: Header=BB6788_40 Depth=1
	v_lshlrev_b64 v[12:13], 3, v[8:9]
	v_mov_b32_e32 v15, s21
	v_add_co_u32_e32 v14, vcc, s20, v12
	v_addc_co_u32_e32 v15, vcc, v15, v13, vcc
	global_load_dwordx2 v[12:13], v[14:15], off glc
	s_waitcnt vmcnt(0)
	v_cmp_eq_u16_sdwa s[22:23], v13, v9 src0_sel:BYTE_0 src1_sel:DWORD
	s_and_saveexec_b64 s[10:11], s[22:23]
	s_cbranch_execz .LBB6788_39
; %bb.42:                               ;   in Loop: Header=BB6788_40 Depth=1
	s_mov_b32 s7, 1
	s_mov_b64 s[22:23], 0
.LBB6788_43:                            ;   Parent Loop BB6788_40 Depth=1
                                        ; =>  This Loop Header: Depth=2
                                        ;       Child Loop BB6788_44 Depth 3
	s_max_u32 s26, s7, 1
.LBB6788_44:                            ;   Parent Loop BB6788_40 Depth=1
                                        ;     Parent Loop BB6788_43 Depth=2
                                        ; =>    This Inner Loop Header: Depth=3
	s_add_i32 s26, s26, -1
	s_cmp_eq_u32 s26, 0
	s_sleep 1
	s_cbranch_scc0 .LBB6788_44
; %bb.45:                               ;   in Loop: Header=BB6788_43 Depth=2
	global_load_dwordx2 v[12:13], v[14:15], off glc
	s_cmp_lt_u32 s7, 32
	s_cselect_b64 s[26:27], -1, 0
	s_cmp_lg_u64 s[26:27], 0
	s_addc_u32 s7, s7, 0
	s_waitcnt vmcnt(0)
	v_cmp_ne_u16_sdwa s[26:27], v13, v9 src0_sel:BYTE_0 src1_sel:DWORD
	s_or_b64 s[22:23], s[26:27], s[22:23]
	s_andn2_b64 exec, exec, s[22:23]
	s_cbranch_execnz .LBB6788_43
; %bb.46:                               ;   in Loop: Header=BB6788_40 Depth=1
	s_or_b64 exec, exec, s[22:23]
	s_branch .LBB6788_39
.LBB6788_47:                            ;   in Loop: Header=BB6788_40 Depth=1
                                        ; implicit-def: $vgpr12
                                        ; implicit-def: $vgpr13
	s_cbranch_execz .LBB6788_40
; %bb.48:
	s_and_saveexec_b64 s[10:11], s[2:3]
	s_cbranch_execz .LBB6788_50
; %bb.49:
	s_add_i32 s2, s6, 64
	s_mov_b32 s3, 0
	s_lshl_b64 s[2:3], s[2:3], 3
	s_add_u32 s2, s20, s2
	v_add_u32_e32 v6, v34, v6
	v_mov_b32_e32 v7, 2
	s_addc_u32 s3, s21, s3
	v_mov_b32_e32 v8, 0
	global_store_dwordx2 v8, v[6:7], s[2:3]
.LBB6788_50:
	s_or_b64 exec, exec, s[10:11]
	s_and_b64 exec, exec, s[0:1]
	s_cbranch_execz .LBB6788_52
; %bb.51:
	v_mov_b32_e32 v6, 0
	ds_write_b32 v6, v34
.LBB6788_52:
	s_or_b64 exec, exec, s[8:9]
	v_mov_b32_e32 v6, 0
	s_waitcnt lgkmcnt(0)
	s_barrier
	ds_read_b32 v6, v6
	s_waitcnt lgkmcnt(0)
	v_add3_u32 v6, v25, v2, v6
	v_add_u32_e32 v7, v6, v3
	v_add_u32_e32 v8, v7, v4
	v_add_u32_e32 v9, v8, v5
	v_add_u32_e32 v10, v9, v16
	v_add_u32_e32 v11, v10, v17
	v_add_u32_e32 v12, v11, v18
	v_add_u32_e32 v13, v12, v19
	v_add_u32_e32 v14, v13, v20
	v_add_u32_e32 v15, v14, v21
	s_load_dwordx8 s[4:11], s[4:5], 0x38
	s_branch .LBB6788_65
.LBB6788_53:
                                        ; implicit-def: $vgpr6_vgpr7_vgpr8_vgpr9_vgpr10_vgpr11_vgpr12_vgpr13_vgpr14_vgpr15
	s_load_dwordx8 s[4:11], s[4:5], 0x38
	s_cbranch_execz .LBB6788_65
; %bb.54:
	s_waitcnt lgkmcnt(0)
	s_cmp_lg_u64 s[8:9], 0
	s_cselect_b64 s[2:3], -1, 0
	v_cmp_eq_u32_e64 s[0:1], 0, v0
	v_cmp_ne_u32_e32 vcc, 0, v0
	s_and_b64 s[8:9], s[0:1], s[2:3]
	v_mov_b32_e32 v12, v3
	v_mov_b32_e32 v13, v4
	;; [unrolled: 1-line block ×3, first 2 shown]
	s_and_saveexec_b64 s[2:3], s[8:9]
	s_cbranch_execz .LBB6788_56
; %bb.55:
	v_mov_b32_e32 v6, 0
	global_load_dword v6, v6, s[4:5]
	v_mov_b32_e32 v12, v3
	v_mov_b32_e32 v13, v4
	;; [unrolled: 1-line block ×3, first 2 shown]
	s_waitcnt vmcnt(0)
	v_add_u32_e32 v2, v6, v2
.LBB6788_56:
	s_or_b64 exec, exec, s[2:3]
	v_add_u32_e32 v3, v12, v2
	v_add_u32_e32 v4, v3, v13
	;; [unrolled: 1-line block ×9, first 2 shown]
	v_add_lshl_u32 v15, v24, v0, 2
	v_cmp_gt_u32_e64 s[2:3], 64, v0
	ds_write_b32 v15, v11
	s_waitcnt lgkmcnt(0)
	s_barrier
	s_and_saveexec_b64 s[4:5], s[2:3]
	s_cbranch_execz .LBB6788_58
; %bb.57:
	v_lshlrev_b32_e32 v15, 1, v0
	v_lshrrev_b32_e32 v24, 4, v0
	v_add_lshl_u32 v15, v24, v15, 2
	ds_read2_b32 v[24:25], v15 offset1:1
	v_mbcnt_lo_u32_b32 v26, -1, 0
	v_mbcnt_hi_u32_b32 v26, -1, v26
	v_and_b32_e32 v27, 15, v26
	v_cmp_ne_u32_e64 s[2:3], 0, v27
	s_waitcnt lgkmcnt(0)
	v_add_u32_e32 v25, v25, v24
	; wave barrier
	s_nop 1
	v_mov_b32_dpp v28, v25 row_shr:1 row_mask:0xf bank_mask:0xf
	v_cndmask_b32_e64 v28, 0, v28, s[2:3]
	v_add_u32_e32 v25, v28, v25
	v_cmp_lt_u32_e64 s[2:3], 1, v27
	s_nop 0
	v_mov_b32_dpp v28, v25 row_shr:2 row_mask:0xf bank_mask:0xf
	v_cndmask_b32_e64 v28, 0, v28, s[2:3]
	v_add_u32_e32 v25, v25, v28
	v_cmp_lt_u32_e64 s[2:3], 3, v27
	;; [unrolled: 5-line block ×3, first 2 shown]
	s_nop 0
	v_mov_b32_dpp v28, v25 row_shr:8 row_mask:0xf bank_mask:0xf
	v_cndmask_b32_e64 v27, 0, v28, s[2:3]
	v_add_u32_e32 v25, v25, v27
	v_bfe_i32 v28, v26, 4, 1
	v_cmp_lt_u32_e64 s[2:3], 31, v26
	v_mov_b32_dpp v27, v25 row_bcast:15 row_mask:0xf bank_mask:0xf
	v_and_b32_e32 v27, v28, v27
	v_add_u32_e32 v25, v25, v27
	v_and_b32_e32 v28, 64, v26
	s_nop 0
	v_mov_b32_dpp v27, v25 row_bcast:31 row_mask:0xf bank_mask:0xf
	v_cndmask_b32_e64 v27, 0, v27, s[2:3]
	v_add_u32_e32 v25, v25, v27
	v_add_u32_e32 v27, -1, v26
	v_cmp_lt_i32_e64 s[2:3], v27, v28
	v_cndmask_b32_e64 v26, v27, v26, s[2:3]
	v_lshlrev_b32_e32 v26, 2, v26
	ds_bpermute_b32 v25, v26, v25
	s_waitcnt lgkmcnt(0)
	v_add_u32_e32 v24, v25, v24
	v_cndmask_b32_e64 v24, v24, v11, s[0:1]
	ds_write_b32 v15, v24
	; wave barrier
	ds_read_b32 v25, v15 offset:4
	s_waitcnt lgkmcnt(0)
	v_add_u32_e32 v24, v25, v24
	ds_write_b32 v15, v24 offset:4
.LBB6788_58:
	s_or_b64 exec, exec, s[4:5]
	v_mov_b32_e32 v15, v11
	s_waitcnt lgkmcnt(0)
	s_barrier
	s_and_saveexec_b64 s[0:1], vcc
	s_cbranch_execz .LBB6788_60
; %bb.59:
	v_add_u32_e32 v15, -1, v0
	v_lshrrev_b32_e32 v24, 5, v15
	v_add_lshl_u32 v15, v24, v15, 2
	ds_read_b32 v15, v15
.LBB6788_60:
	s_or_b64 exec, exec, s[0:1]
	s_and_saveexec_b64 s[0:1], vcc
	s_cbranch_execz .LBB6788_62
; %bb.61:
	s_waitcnt lgkmcnt(0)
	v_add_u32_e32 v2, v15, v2
	v_add_u32_e32 v3, v2, v12
	;; [unrolled: 1-line block ×10, first 2 shown]
	;;#ASMSTART
	;;#ASMEND
.LBB6788_62:
	s_or_b64 exec, exec, s[0:1]
	s_movk_i32 s0, 0x7f
	v_cmp_eq_u32_e32 vcc, s0, v0
	s_and_saveexec_b64 s[0:1], vcc
	s_cbranch_execz .LBB6788_64
; %bb.63:
	v_mov_b32_e32 v14, 0
	v_mov_b32_e32 v13, 2
	;; [unrolled: 1-line block ×3, first 2 shown]
	global_store_dwordx2 v14, v[12:13], s[20:21] offset:512
.LBB6788_64:
	s_or_b64 exec, exec, s[0:1]
	s_waitcnt lgkmcnt(0)
	v_pk_mov_b32 v[14:15], v[10:11], v[10:11] op_sel:[0,1]
	v_pk_mov_b32 v[12:13], v[8:9], v[8:9] op_sel:[0,1]
	;; [unrolled: 1-line block ×5, first 2 shown]
.LBB6788_65:
	s_add_u32 s0, s12, s16
	s_addc_u32 s1, s13, s17
	s_add_u32 s2, s0, s18
	s_addc_u32 s3, s1, s19
	s_mov_b64 s[0:1], -1
	s_and_b64 vcc, exec, s[14:15]
	s_waitcnt lgkmcnt(0)
	s_barrier
	s_cbranch_vccz .LBB6788_67
; %bb.66:
	ds_write2_b64 v1, v[6:7], v[8:9] offset1:1
	ds_write2_b64 v1, v[10:11], v[12:13] offset0:2 offset1:3
	ds_write_b64 v1, v[14:15] offset:32
	s_waitcnt lgkmcnt(0)
	s_barrier
	ds_read2st64_b32 v[2:3], v22 offset1:2
	ds_read2st64_b32 v[4:5], v22 offset0:4 offset1:6
	ds_read2st64_b32 v[16:17], v22 offset0:8 offset1:10
	;; [unrolled: 1-line block ×4, first 2 shown]
	v_mov_b32_e32 v25, s3
	v_add_co_u32_e32 v24, vcc, s2, v22
	v_addc_co_u32_e32 v25, vcc, 0, v25, vcc
	s_waitcnt lgkmcnt(4)
	flat_store_dword v[24:25], v2
	flat_store_dword v[24:25], v3 offset:512
	s_waitcnt lgkmcnt(0)
	flat_store_dword v[24:25], v4 offset:1024
	flat_store_dword v[24:25], v5 offset:1536
	;; [unrolled: 1-line block ×6, first 2 shown]
	v_add_co_u32_e32 v2, vcc, 0x1000, v24
	v_addc_co_u32_e32 v3, vcc, 0, v25, vcc
	flat_store_dword v[2:3], v20
	flat_store_dword v[2:3], v21 offset:512
	s_mov_b64 s[0:1], 0
.LBB6788_67:
	s_andn2_b64 vcc, exec, s[0:1]
	s_cbranch_vccnz .LBB6788_123
; %bb.68:
	ds_write2_b64 v1, v[6:7], v[8:9] offset1:1
	ds_write2_b64 v1, v[10:11], v[12:13] offset0:2 offset1:3
	ds_write_b64 v1, v[14:15] offset:32
	s_waitcnt lgkmcnt(0)
	s_barrier
	ds_read2st64_b32 v[2:3], v22 offset1:2
	ds_read2st64_b32 v[6:7], v22 offset0:4 offset1:6
	ds_read2st64_b32 v[4:5], v22 offset0:8 offset1:10
	;; [unrolled: 1-line block ×4, first 2 shown]
	v_mov_b32_e32 v13, s3
	v_add_co_u32_e32 v12, vcc, s2, v22
	v_addc_co_u32_e32 v13, vcc, 0, v13, vcc
	v_mov_b32_e32 v1, 0
	v_cmp_gt_u32_e32 vcc, s24, v0
	s_and_saveexec_b64 s[0:1], vcc
	s_cbranch_execz .LBB6788_70
; %bb.69:
	s_waitcnt lgkmcnt(0)
	flat_store_dword v[12:13], v2
.LBB6788_70:
	s_or_b64 exec, exec, s[0:1]
	v_or_b32_e32 v14, 0x80, v0
	v_cmp_gt_u32_e32 vcc, s24, v14
	s_and_saveexec_b64 s[0:1], vcc
	s_cbranch_execz .LBB6788_72
; %bb.71:
	s_waitcnt lgkmcnt(0)
	flat_store_dword v[12:13], v3 offset:512
.LBB6788_72:
	s_or_b64 exec, exec, s[0:1]
	v_or_b32_e32 v14, 0x100, v0
	v_cmp_gt_u32_e32 vcc, s24, v14
	s_and_saveexec_b64 s[0:1], vcc
	s_cbranch_execz .LBB6788_74
; %bb.73:
	s_waitcnt lgkmcnt(0)
	flat_store_dword v[12:13], v6 offset:1024
.LBB6788_74:
	s_or_b64 exec, exec, s[0:1]
	v_or_b32_e32 v14, 0x180, v0
	v_cmp_gt_u32_e32 vcc, s24, v14
	s_and_saveexec_b64 s[0:1], vcc
	s_cbranch_execz .LBB6788_76
; %bb.75:
	s_waitcnt lgkmcnt(0)
	flat_store_dword v[12:13], v7 offset:1536
.LBB6788_76:
	s_or_b64 exec, exec, s[0:1]
	v_or_b32_e32 v14, 0x200, v0
	v_cmp_gt_u32_e32 vcc, s24, v14
	s_and_saveexec_b64 s[0:1], vcc
	s_cbranch_execz .LBB6788_78
; %bb.77:
	s_waitcnt lgkmcnt(0)
	flat_store_dword v[12:13], v4 offset:2048
.LBB6788_78:
	s_or_b64 exec, exec, s[0:1]
	v_or_b32_e32 v14, 0x280, v0
	v_cmp_gt_u32_e32 vcc, s24, v14
	s_and_saveexec_b64 s[0:1], vcc
	s_cbranch_execz .LBB6788_80
; %bb.79:
	s_waitcnt lgkmcnt(0)
	flat_store_dword v[12:13], v5 offset:2560
.LBB6788_80:
	s_or_b64 exec, exec, s[0:1]
	v_or_b32_e32 v14, 0x300, v0
	v_cmp_gt_u32_e32 vcc, s24, v14
	s_and_saveexec_b64 s[0:1], vcc
	s_cbranch_execz .LBB6788_82
; %bb.81:
	s_waitcnt lgkmcnt(0)
	flat_store_dword v[12:13], v8 offset:3072
.LBB6788_82:
	s_or_b64 exec, exec, s[0:1]
	v_or_b32_e32 v14, 0x380, v0
	v_cmp_gt_u32_e32 vcc, s24, v14
	s_and_saveexec_b64 s[0:1], vcc
	s_cbranch_execz .LBB6788_84
; %bb.83:
	s_waitcnt lgkmcnt(0)
	flat_store_dword v[12:13], v9 offset:3584
.LBB6788_84:
	s_or_b64 exec, exec, s[0:1]
	v_or_b32_e32 v14, 0x400, v0
	v_cmp_gt_u32_e32 vcc, s24, v14
	s_and_saveexec_b64 s[0:1], vcc
	s_cbranch_execz .LBB6788_86
; %bb.85:
	v_add_co_u32_e32 v14, vcc, 0x1000, v12
	v_addc_co_u32_e32 v15, vcc, 0, v13, vcc
	s_waitcnt lgkmcnt(0)
	flat_store_dword v[14:15], v10
.LBB6788_86:
	s_or_b64 exec, exec, s[0:1]
	v_or_b32_e32 v14, 0x480, v0
	v_cmp_gt_u32_e32 vcc, s24, v14
	s_and_saveexec_b64 s[0:1], vcc
	s_cbranch_execz .LBB6788_88
; %bb.87:
	v_add_co_u32_e32 v12, vcc, 0x1000, v12
	v_addc_co_u32_e32 v13, vcc, 0, v13, vcc
	s_waitcnt lgkmcnt(0)
	flat_store_dword v[12:13], v11 offset:512
.LBB6788_88:
	s_or_b64 exec, exec, s[0:1]
	v_cmp_lt_u64_e64 s[0:1], s[10:11], 2
	s_and_b64 vcc, exec, s[0:1]
	s_cbranch_vccnz .LBB6788_123
; %bb.89:
	s_add_u32 s0, s24, -1
	s_addc_u32 s1, s25, -1
	s_add_u32 s2, 0, 0x99986000
	s_addc_u32 s3, 0, 0x59
	s_add_i32 s3, s3, 0x19999940
	s_mul_hi_u32 s9, s2, -10
	s_sub_i32 s9, s9, s2
	s_mul_i32 s10, s3, -10
	s_mul_i32 s4, s2, -10
	s_add_i32 s9, s9, s10
	s_mul_hi_u32 s5, s3, s4
	s_mul_i32 s8, s3, s4
	s_mul_i32 s11, s2, s9
	s_mul_hi_u32 s4, s2, s4
	s_mul_hi_u32 s10, s2, s9
	s_add_u32 s4, s4, s11
	s_addc_u32 s10, 0, s10
	s_add_u32 s4, s4, s8
	s_mul_hi_u32 s11, s3, s9
	s_addc_u32 s4, s10, s5
	s_addc_u32 s5, s11, 0
	s_mul_i32 s8, s3, s9
	s_add_u32 s4, s4, s8
	v_mov_b32_e32 v12, s4
	s_addc_u32 s5, 0, s5
	v_add_co_u32_e32 v12, vcc, s2, v12
	s_cmp_lg_u64 vcc, 0
	s_addc_u32 s2, s3, s5
	v_readfirstlane_b32 s5, v12
	s_mul_i32 s4, s0, s2
	s_mul_hi_u32 s8, s0, s5
	s_mul_hi_u32 s3, s0, s2
	s_add_u32 s4, s8, s4
	s_addc_u32 s3, 0, s3
	s_mul_hi_u32 s9, s1, s5
	s_mul_i32 s5, s1, s5
	s_add_u32 s4, s4, s5
	s_mul_hi_u32 s8, s1, s2
	s_addc_u32 s3, s3, s9
	s_addc_u32 s4, s8, 0
	s_mul_i32 s2, s1, s2
	s_add_u32 s2, s3, s2
	s_addc_u32 s3, 0, s4
	s_add_u32 s4, s2, 1
	s_addc_u32 s5, s3, 0
	s_add_u32 s8, s2, 2
	s_mul_i32 s10, s3, 10
	s_mul_hi_u32 s11, s2, 10
	s_addc_u32 s9, s3, 0
	s_add_i32 s11, s11, s10
	s_mul_i32 s10, s2, 10
	v_mov_b32_e32 v12, s10
	v_sub_co_u32_e32 v12, vcc, s0, v12
	s_cmp_lg_u64 vcc, 0
	s_subb_u32 s10, s1, s11
	v_subrev_co_u32_e32 v13, vcc, 10, v12
	s_cmp_lg_u64 vcc, 0
	s_subb_u32 s11, s10, 0
	v_readfirstlane_b32 s12, v13
	s_cmp_gt_u32 s12, 9
	s_cselect_b32 s12, -1, 0
	s_cmp_eq_u32 s11, 0
	s_cselect_b32 s11, s12, -1
	s_cmp_lg_u32 s11, 0
	s_cselect_b32 s4, s8, s4
	v_readfirstlane_b32 s8, v12
	s_cselect_b32 s5, s9, s5
	s_cmp_gt_u32 s8, 9
	s_cselect_b32 s8, -1, 0
	s_cmp_eq_u32 s10, 0
	s_cselect_b32 s8, s8, -1
	s_cmp_lg_u32 s8, 0
	s_cselect_b32 s3, s5, s3
	s_cselect_b32 s2, s4, s2
	v_cmp_eq_u64_e32 vcc, s[2:3], v[0:1]
	s_and_saveexec_b64 s[2:3], vcc
	s_cbranch_execz .LBB6788_123
; %bb.90:
	v_mul_hi_u32_u24_e32 v1, 10, v0
	v_mov_b32_e32 v12, s1
	v_sub_co_u32_e32 v0, vcc, s0, v23
	v_subb_co_u32_e32 v1, vcc, v12, v1, vcc
	v_cmp_lt_i64_e32 vcc, 4, v[0:1]
	s_and_saveexec_b64 s[0:1], vcc
	s_xor_b64 s[0:1], exec, s[0:1]
	s_cbranch_execz .LBB6788_108
; %bb.91:
	v_cmp_lt_i64_e32 vcc, 6, v[0:1]
	s_and_saveexec_b64 s[2:3], vcc
	s_xor_b64 s[2:3], exec, s[2:3]
	s_cbranch_execz .LBB6788_101
; %bb.92:
	;; [unrolled: 5-line block ×4, first 2 shown]
	v_mov_b32_e32 v0, 0
	s_waitcnt lgkmcnt(0)
	global_store_dword v0, v11, s[6:7]
                                        ; implicit-def: $vgpr10_vgpr11
.LBB6788_95:
	s_andn2_saveexec_b64 s[8:9], s[8:9]
	s_cbranch_execz .LBB6788_97
; %bb.96:
	v_mov_b32_e32 v0, 0
	s_waitcnt lgkmcnt(0)
	global_store_dword v0, v10, s[6:7]
.LBB6788_97:
	s_or_b64 exec, exec, s[8:9]
                                        ; implicit-def: $vgpr8_vgpr9
.LBB6788_98:
	s_andn2_saveexec_b64 s[4:5], s[4:5]
	s_cbranch_execz .LBB6788_100
; %bb.99:
	v_mov_b32_e32 v0, 0
	s_waitcnt lgkmcnt(0)
	global_store_dword v0, v9, s[6:7]
.LBB6788_100:
	s_or_b64 exec, exec, s[4:5]
                                        ; implicit-def: $vgpr4_vgpr5
                                        ; implicit-def: $vgpr0_vgpr1
                                        ; implicit-def: $vgpr8_vgpr9
.LBB6788_101:
	s_andn2_saveexec_b64 s[2:3], s[2:3]
	s_cbranch_execz .LBB6788_107
; %bb.102:
	v_cmp_lt_i64_e32 vcc, 5, v[0:1]
	s_and_saveexec_b64 s[4:5], vcc
	s_xor_b64 s[4:5], exec, s[4:5]
	s_cbranch_execz .LBB6788_104
; %bb.103:
	v_mov_b32_e32 v0, 0
	s_waitcnt lgkmcnt(0)
	global_store_dword v0, v8, s[6:7]
                                        ; implicit-def: $vgpr4_vgpr5
.LBB6788_104:
	s_andn2_saveexec_b64 s[4:5], s[4:5]
	s_cbranch_execz .LBB6788_106
; %bb.105:
	v_mov_b32_e32 v0, 0
	s_waitcnt lgkmcnt(0)
	global_store_dword v0, v5, s[6:7]
.LBB6788_106:
	s_or_b64 exec, exec, s[4:5]
.LBB6788_107:
	s_or_b64 exec, exec, s[2:3]
                                        ; implicit-def: $vgpr0_vgpr1
                                        ; implicit-def: $vgpr6_vgpr7
                                        ; implicit-def: $vgpr2_vgpr3
                                        ; implicit-def: $vgpr4_vgpr5
.LBB6788_108:
	s_andn2_saveexec_b64 s[0:1], s[0:1]
	s_cbranch_execz .LBB6788_123
; %bb.109:
	v_cmp_lt_i64_e32 vcc, 2, v[0:1]
	s_and_saveexec_b64 s[0:1], vcc
	s_xor_b64 s[0:1], exec, s[0:1]
	s_cbranch_execz .LBB6788_115
; %bb.110:
	v_cmp_lt_i64_e32 vcc, 3, v[0:1]
	s_and_saveexec_b64 s[2:3], vcc
	s_xor_b64 s[2:3], exec, s[2:3]
	s_cbranch_execz .LBB6788_112
; %bb.111:
	v_mov_b32_e32 v0, 0
	s_waitcnt lgkmcnt(0)
	global_store_dword v0, v4, s[6:7]
                                        ; implicit-def: $vgpr6_vgpr7
.LBB6788_112:
	s_andn2_saveexec_b64 s[2:3], s[2:3]
	s_cbranch_execz .LBB6788_114
; %bb.113:
	v_mov_b32_e32 v0, 0
	s_waitcnt lgkmcnt(0)
	global_store_dword v0, v7, s[6:7]
.LBB6788_114:
	s_or_b64 exec, exec, s[2:3]
                                        ; implicit-def: $vgpr0_vgpr1
                                        ; implicit-def: $vgpr6_vgpr7
                                        ; implicit-def: $vgpr2_vgpr3
.LBB6788_115:
	s_andn2_saveexec_b64 s[0:1], s[0:1]
	s_cbranch_execz .LBB6788_123
; %bb.116:
	v_cmp_lt_i64_e32 vcc, 1, v[0:1]
	s_and_saveexec_b64 s[0:1], vcc
	s_xor_b64 s[0:1], exec, s[0:1]
	s_cbranch_execz .LBB6788_118
; %bb.117:
	v_mov_b32_e32 v0, 0
	s_waitcnt lgkmcnt(0)
	global_store_dword v0, v6, s[6:7]
                                        ; implicit-def: $vgpr2_vgpr3
                                        ; implicit-def: $vgpr0_vgpr1
.LBB6788_118:
	s_andn2_saveexec_b64 s[0:1], s[0:1]
	s_cbranch_execz .LBB6788_123
; %bb.119:
	v_cmp_ne_u64_e32 vcc, 1, v[0:1]
	s_and_saveexec_b64 s[0:1], vcc
	s_xor_b64 s[0:1], exec, s[0:1]
	s_cbranch_execz .LBB6788_121
; %bb.120:
	v_mov_b32_e32 v0, 0
	s_waitcnt lgkmcnt(0)
	global_store_dword v0, v2, s[6:7]
                                        ; implicit-def: $vgpr2_vgpr3
.LBB6788_121:
	s_andn2_saveexec_b64 s[0:1], s[0:1]
	s_cbranch_execz .LBB6788_123
; %bb.122:
	v_mov_b32_e32 v0, 0
	s_waitcnt lgkmcnt(0)
	global_store_dword v0, v3, s[6:7]
.LBB6788_123:
	s_endpgm
	.section	.rodata,"a",@progbits
	.p2align	6, 0x0
	.amdhsa_kernel _ZN7rocprim17ROCPRIM_400000_NS6detail17trampoline_kernelINS0_14default_configENS1_20scan_config_selectorIiEEZZNS1_9scan_implILNS1_25lookback_scan_determinismE0ELb0ELb0ES3_N6thrust23THRUST_200600_302600_NS10device_ptrIiEESB_iNS9_4plusIvEEiEEDaPvRmT3_T4_T5_mT6_P12ihipStream_tbENKUlT_T0_E_clISt17integral_constantIbLb1EESQ_IbLb0EEEEDaSM_SN_EUlSM_E_NS1_11comp_targetILNS1_3genE4ELNS1_11target_archE910ELNS1_3gpuE8ELNS1_3repE0EEENS1_30default_config_static_selectorELNS0_4arch9wavefront6targetE1EEEvT1_
		.amdhsa_group_segment_fixed_size 5120
		.amdhsa_private_segment_fixed_size 0
		.amdhsa_kernarg_size 96
		.amdhsa_user_sgpr_count 6
		.amdhsa_user_sgpr_private_segment_buffer 1
		.amdhsa_user_sgpr_dispatch_ptr 0
		.amdhsa_user_sgpr_queue_ptr 0
		.amdhsa_user_sgpr_kernarg_segment_ptr 1
		.amdhsa_user_sgpr_dispatch_id 0
		.amdhsa_user_sgpr_flat_scratch_init 0
		.amdhsa_user_sgpr_kernarg_preload_length 0
		.amdhsa_user_sgpr_kernarg_preload_offset 0
		.amdhsa_user_sgpr_private_segment_size 0
		.amdhsa_uses_dynamic_stack 0
		.amdhsa_system_sgpr_private_segment_wavefront_offset 0
		.amdhsa_system_sgpr_workgroup_id_x 1
		.amdhsa_system_sgpr_workgroup_id_y 0
		.amdhsa_system_sgpr_workgroup_id_z 0
		.amdhsa_system_sgpr_workgroup_info 0
		.amdhsa_system_vgpr_workitem_id 0
		.amdhsa_next_free_vgpr 40
		.amdhsa_next_free_sgpr 28
		.amdhsa_accum_offset 40
		.amdhsa_reserve_vcc 1
		.amdhsa_reserve_flat_scratch 0
		.amdhsa_float_round_mode_32 0
		.amdhsa_float_round_mode_16_64 0
		.amdhsa_float_denorm_mode_32 3
		.amdhsa_float_denorm_mode_16_64 3
		.amdhsa_dx10_clamp 1
		.amdhsa_ieee_mode 1
		.amdhsa_fp16_overflow 0
		.amdhsa_tg_split 0
		.amdhsa_exception_fp_ieee_invalid_op 0
		.amdhsa_exception_fp_denorm_src 0
		.amdhsa_exception_fp_ieee_div_zero 0
		.amdhsa_exception_fp_ieee_overflow 0
		.amdhsa_exception_fp_ieee_underflow 0
		.amdhsa_exception_fp_ieee_inexact 0
		.amdhsa_exception_int_div_zero 0
	.end_amdhsa_kernel
	.section	.text._ZN7rocprim17ROCPRIM_400000_NS6detail17trampoline_kernelINS0_14default_configENS1_20scan_config_selectorIiEEZZNS1_9scan_implILNS1_25lookback_scan_determinismE0ELb0ELb0ES3_N6thrust23THRUST_200600_302600_NS10device_ptrIiEESB_iNS9_4plusIvEEiEEDaPvRmT3_T4_T5_mT6_P12ihipStream_tbENKUlT_T0_E_clISt17integral_constantIbLb1EESQ_IbLb0EEEEDaSM_SN_EUlSM_E_NS1_11comp_targetILNS1_3genE4ELNS1_11target_archE910ELNS1_3gpuE8ELNS1_3repE0EEENS1_30default_config_static_selectorELNS0_4arch9wavefront6targetE1EEEvT1_,"axG",@progbits,_ZN7rocprim17ROCPRIM_400000_NS6detail17trampoline_kernelINS0_14default_configENS1_20scan_config_selectorIiEEZZNS1_9scan_implILNS1_25lookback_scan_determinismE0ELb0ELb0ES3_N6thrust23THRUST_200600_302600_NS10device_ptrIiEESB_iNS9_4plusIvEEiEEDaPvRmT3_T4_T5_mT6_P12ihipStream_tbENKUlT_T0_E_clISt17integral_constantIbLb1EESQ_IbLb0EEEEDaSM_SN_EUlSM_E_NS1_11comp_targetILNS1_3genE4ELNS1_11target_archE910ELNS1_3gpuE8ELNS1_3repE0EEENS1_30default_config_static_selectorELNS0_4arch9wavefront6targetE1EEEvT1_,comdat
.Lfunc_end6788:
	.size	_ZN7rocprim17ROCPRIM_400000_NS6detail17trampoline_kernelINS0_14default_configENS1_20scan_config_selectorIiEEZZNS1_9scan_implILNS1_25lookback_scan_determinismE0ELb0ELb0ES3_N6thrust23THRUST_200600_302600_NS10device_ptrIiEESB_iNS9_4plusIvEEiEEDaPvRmT3_T4_T5_mT6_P12ihipStream_tbENKUlT_T0_E_clISt17integral_constantIbLb1EESQ_IbLb0EEEEDaSM_SN_EUlSM_E_NS1_11comp_targetILNS1_3genE4ELNS1_11target_archE910ELNS1_3gpuE8ELNS1_3repE0EEENS1_30default_config_static_selectorELNS0_4arch9wavefront6targetE1EEEvT1_, .Lfunc_end6788-_ZN7rocprim17ROCPRIM_400000_NS6detail17trampoline_kernelINS0_14default_configENS1_20scan_config_selectorIiEEZZNS1_9scan_implILNS1_25lookback_scan_determinismE0ELb0ELb0ES3_N6thrust23THRUST_200600_302600_NS10device_ptrIiEESB_iNS9_4plusIvEEiEEDaPvRmT3_T4_T5_mT6_P12ihipStream_tbENKUlT_T0_E_clISt17integral_constantIbLb1EESQ_IbLb0EEEEDaSM_SN_EUlSM_E_NS1_11comp_targetILNS1_3genE4ELNS1_11target_archE910ELNS1_3gpuE8ELNS1_3repE0EEENS1_30default_config_static_selectorELNS0_4arch9wavefront6targetE1EEEvT1_
                                        ; -- End function
	.section	.AMDGPU.csdata,"",@progbits
; Kernel info:
; codeLenInByte = 4604
; NumSgprs: 32
; NumVgprs: 40
; NumAgprs: 0
; TotalNumVgprs: 40
; ScratchSize: 0
; MemoryBound: 0
; FloatMode: 240
; IeeeMode: 1
; LDSByteSize: 5120 bytes/workgroup (compile time only)
; SGPRBlocks: 3
; VGPRBlocks: 4
; NumSGPRsForWavesPerEU: 32
; NumVGPRsForWavesPerEU: 40
; AccumOffset: 40
; Occupancy: 6
; WaveLimiterHint : 1
; COMPUTE_PGM_RSRC2:SCRATCH_EN: 0
; COMPUTE_PGM_RSRC2:USER_SGPR: 6
; COMPUTE_PGM_RSRC2:TRAP_HANDLER: 0
; COMPUTE_PGM_RSRC2:TGID_X_EN: 1
; COMPUTE_PGM_RSRC2:TGID_Y_EN: 0
; COMPUTE_PGM_RSRC2:TGID_Z_EN: 0
; COMPUTE_PGM_RSRC2:TIDIG_COMP_CNT: 0
; COMPUTE_PGM_RSRC3_GFX90A:ACCUM_OFFSET: 9
; COMPUTE_PGM_RSRC3_GFX90A:TG_SPLIT: 0
	.section	.text._ZN7rocprim17ROCPRIM_400000_NS6detail17trampoline_kernelINS0_14default_configENS1_20scan_config_selectorIiEEZZNS1_9scan_implILNS1_25lookback_scan_determinismE0ELb0ELb0ES3_N6thrust23THRUST_200600_302600_NS10device_ptrIiEESB_iNS9_4plusIvEEiEEDaPvRmT3_T4_T5_mT6_P12ihipStream_tbENKUlT_T0_E_clISt17integral_constantIbLb1EESQ_IbLb0EEEEDaSM_SN_EUlSM_E_NS1_11comp_targetILNS1_3genE3ELNS1_11target_archE908ELNS1_3gpuE7ELNS1_3repE0EEENS1_30default_config_static_selectorELNS0_4arch9wavefront6targetE1EEEvT1_,"axG",@progbits,_ZN7rocprim17ROCPRIM_400000_NS6detail17trampoline_kernelINS0_14default_configENS1_20scan_config_selectorIiEEZZNS1_9scan_implILNS1_25lookback_scan_determinismE0ELb0ELb0ES3_N6thrust23THRUST_200600_302600_NS10device_ptrIiEESB_iNS9_4plusIvEEiEEDaPvRmT3_T4_T5_mT6_P12ihipStream_tbENKUlT_T0_E_clISt17integral_constantIbLb1EESQ_IbLb0EEEEDaSM_SN_EUlSM_E_NS1_11comp_targetILNS1_3genE3ELNS1_11target_archE908ELNS1_3gpuE7ELNS1_3repE0EEENS1_30default_config_static_selectorELNS0_4arch9wavefront6targetE1EEEvT1_,comdat
	.protected	_ZN7rocprim17ROCPRIM_400000_NS6detail17trampoline_kernelINS0_14default_configENS1_20scan_config_selectorIiEEZZNS1_9scan_implILNS1_25lookback_scan_determinismE0ELb0ELb0ES3_N6thrust23THRUST_200600_302600_NS10device_ptrIiEESB_iNS9_4plusIvEEiEEDaPvRmT3_T4_T5_mT6_P12ihipStream_tbENKUlT_T0_E_clISt17integral_constantIbLb1EESQ_IbLb0EEEEDaSM_SN_EUlSM_E_NS1_11comp_targetILNS1_3genE3ELNS1_11target_archE908ELNS1_3gpuE7ELNS1_3repE0EEENS1_30default_config_static_selectorELNS0_4arch9wavefront6targetE1EEEvT1_ ; -- Begin function _ZN7rocprim17ROCPRIM_400000_NS6detail17trampoline_kernelINS0_14default_configENS1_20scan_config_selectorIiEEZZNS1_9scan_implILNS1_25lookback_scan_determinismE0ELb0ELb0ES3_N6thrust23THRUST_200600_302600_NS10device_ptrIiEESB_iNS9_4plusIvEEiEEDaPvRmT3_T4_T5_mT6_P12ihipStream_tbENKUlT_T0_E_clISt17integral_constantIbLb1EESQ_IbLb0EEEEDaSM_SN_EUlSM_E_NS1_11comp_targetILNS1_3genE3ELNS1_11target_archE908ELNS1_3gpuE7ELNS1_3repE0EEENS1_30default_config_static_selectorELNS0_4arch9wavefront6targetE1EEEvT1_
	.globl	_ZN7rocprim17ROCPRIM_400000_NS6detail17trampoline_kernelINS0_14default_configENS1_20scan_config_selectorIiEEZZNS1_9scan_implILNS1_25lookback_scan_determinismE0ELb0ELb0ES3_N6thrust23THRUST_200600_302600_NS10device_ptrIiEESB_iNS9_4plusIvEEiEEDaPvRmT3_T4_T5_mT6_P12ihipStream_tbENKUlT_T0_E_clISt17integral_constantIbLb1EESQ_IbLb0EEEEDaSM_SN_EUlSM_E_NS1_11comp_targetILNS1_3genE3ELNS1_11target_archE908ELNS1_3gpuE7ELNS1_3repE0EEENS1_30default_config_static_selectorELNS0_4arch9wavefront6targetE1EEEvT1_
	.p2align	8
	.type	_ZN7rocprim17ROCPRIM_400000_NS6detail17trampoline_kernelINS0_14default_configENS1_20scan_config_selectorIiEEZZNS1_9scan_implILNS1_25lookback_scan_determinismE0ELb0ELb0ES3_N6thrust23THRUST_200600_302600_NS10device_ptrIiEESB_iNS9_4plusIvEEiEEDaPvRmT3_T4_T5_mT6_P12ihipStream_tbENKUlT_T0_E_clISt17integral_constantIbLb1EESQ_IbLb0EEEEDaSM_SN_EUlSM_E_NS1_11comp_targetILNS1_3genE3ELNS1_11target_archE908ELNS1_3gpuE7ELNS1_3repE0EEENS1_30default_config_static_selectorELNS0_4arch9wavefront6targetE1EEEvT1_,@function
_ZN7rocprim17ROCPRIM_400000_NS6detail17trampoline_kernelINS0_14default_configENS1_20scan_config_selectorIiEEZZNS1_9scan_implILNS1_25lookback_scan_determinismE0ELb0ELb0ES3_N6thrust23THRUST_200600_302600_NS10device_ptrIiEESB_iNS9_4plusIvEEiEEDaPvRmT3_T4_T5_mT6_P12ihipStream_tbENKUlT_T0_E_clISt17integral_constantIbLb1EESQ_IbLb0EEEEDaSM_SN_EUlSM_E_NS1_11comp_targetILNS1_3genE3ELNS1_11target_archE908ELNS1_3gpuE7ELNS1_3repE0EEENS1_30default_config_static_selectorELNS0_4arch9wavefront6targetE1EEEvT1_: ; @_ZN7rocprim17ROCPRIM_400000_NS6detail17trampoline_kernelINS0_14default_configENS1_20scan_config_selectorIiEEZZNS1_9scan_implILNS1_25lookback_scan_determinismE0ELb0ELb0ES3_N6thrust23THRUST_200600_302600_NS10device_ptrIiEESB_iNS9_4plusIvEEiEEDaPvRmT3_T4_T5_mT6_P12ihipStream_tbENKUlT_T0_E_clISt17integral_constantIbLb1EESQ_IbLb0EEEEDaSM_SN_EUlSM_E_NS1_11comp_targetILNS1_3genE3ELNS1_11target_archE908ELNS1_3gpuE7ELNS1_3repE0EEENS1_30default_config_static_selectorELNS0_4arch9wavefront6targetE1EEEvT1_
; %bb.0:
	.section	.rodata,"a",@progbits
	.p2align	6, 0x0
	.amdhsa_kernel _ZN7rocprim17ROCPRIM_400000_NS6detail17trampoline_kernelINS0_14default_configENS1_20scan_config_selectorIiEEZZNS1_9scan_implILNS1_25lookback_scan_determinismE0ELb0ELb0ES3_N6thrust23THRUST_200600_302600_NS10device_ptrIiEESB_iNS9_4plusIvEEiEEDaPvRmT3_T4_T5_mT6_P12ihipStream_tbENKUlT_T0_E_clISt17integral_constantIbLb1EESQ_IbLb0EEEEDaSM_SN_EUlSM_E_NS1_11comp_targetILNS1_3genE3ELNS1_11target_archE908ELNS1_3gpuE7ELNS1_3repE0EEENS1_30default_config_static_selectorELNS0_4arch9wavefront6targetE1EEEvT1_
		.amdhsa_group_segment_fixed_size 0
		.amdhsa_private_segment_fixed_size 0
		.amdhsa_kernarg_size 96
		.amdhsa_user_sgpr_count 6
		.amdhsa_user_sgpr_private_segment_buffer 1
		.amdhsa_user_sgpr_dispatch_ptr 0
		.amdhsa_user_sgpr_queue_ptr 0
		.amdhsa_user_sgpr_kernarg_segment_ptr 1
		.amdhsa_user_sgpr_dispatch_id 0
		.amdhsa_user_sgpr_flat_scratch_init 0
		.amdhsa_user_sgpr_kernarg_preload_length 0
		.amdhsa_user_sgpr_kernarg_preload_offset 0
		.amdhsa_user_sgpr_private_segment_size 0
		.amdhsa_uses_dynamic_stack 0
		.amdhsa_system_sgpr_private_segment_wavefront_offset 0
		.amdhsa_system_sgpr_workgroup_id_x 1
		.amdhsa_system_sgpr_workgroup_id_y 0
		.amdhsa_system_sgpr_workgroup_id_z 0
		.amdhsa_system_sgpr_workgroup_info 0
		.amdhsa_system_vgpr_workitem_id 0
		.amdhsa_next_free_vgpr 1
		.amdhsa_next_free_sgpr 0
		.amdhsa_accum_offset 4
		.amdhsa_reserve_vcc 0
		.amdhsa_reserve_flat_scratch 0
		.amdhsa_float_round_mode_32 0
		.amdhsa_float_round_mode_16_64 0
		.amdhsa_float_denorm_mode_32 3
		.amdhsa_float_denorm_mode_16_64 3
		.amdhsa_dx10_clamp 1
		.amdhsa_ieee_mode 1
		.amdhsa_fp16_overflow 0
		.amdhsa_tg_split 0
		.amdhsa_exception_fp_ieee_invalid_op 0
		.amdhsa_exception_fp_denorm_src 0
		.amdhsa_exception_fp_ieee_div_zero 0
		.amdhsa_exception_fp_ieee_overflow 0
		.amdhsa_exception_fp_ieee_underflow 0
		.amdhsa_exception_fp_ieee_inexact 0
		.amdhsa_exception_int_div_zero 0
	.end_amdhsa_kernel
	.section	.text._ZN7rocprim17ROCPRIM_400000_NS6detail17trampoline_kernelINS0_14default_configENS1_20scan_config_selectorIiEEZZNS1_9scan_implILNS1_25lookback_scan_determinismE0ELb0ELb0ES3_N6thrust23THRUST_200600_302600_NS10device_ptrIiEESB_iNS9_4plusIvEEiEEDaPvRmT3_T4_T5_mT6_P12ihipStream_tbENKUlT_T0_E_clISt17integral_constantIbLb1EESQ_IbLb0EEEEDaSM_SN_EUlSM_E_NS1_11comp_targetILNS1_3genE3ELNS1_11target_archE908ELNS1_3gpuE7ELNS1_3repE0EEENS1_30default_config_static_selectorELNS0_4arch9wavefront6targetE1EEEvT1_,"axG",@progbits,_ZN7rocprim17ROCPRIM_400000_NS6detail17trampoline_kernelINS0_14default_configENS1_20scan_config_selectorIiEEZZNS1_9scan_implILNS1_25lookback_scan_determinismE0ELb0ELb0ES3_N6thrust23THRUST_200600_302600_NS10device_ptrIiEESB_iNS9_4plusIvEEiEEDaPvRmT3_T4_T5_mT6_P12ihipStream_tbENKUlT_T0_E_clISt17integral_constantIbLb1EESQ_IbLb0EEEEDaSM_SN_EUlSM_E_NS1_11comp_targetILNS1_3genE3ELNS1_11target_archE908ELNS1_3gpuE7ELNS1_3repE0EEENS1_30default_config_static_selectorELNS0_4arch9wavefront6targetE1EEEvT1_,comdat
.Lfunc_end6789:
	.size	_ZN7rocprim17ROCPRIM_400000_NS6detail17trampoline_kernelINS0_14default_configENS1_20scan_config_selectorIiEEZZNS1_9scan_implILNS1_25lookback_scan_determinismE0ELb0ELb0ES3_N6thrust23THRUST_200600_302600_NS10device_ptrIiEESB_iNS9_4plusIvEEiEEDaPvRmT3_T4_T5_mT6_P12ihipStream_tbENKUlT_T0_E_clISt17integral_constantIbLb1EESQ_IbLb0EEEEDaSM_SN_EUlSM_E_NS1_11comp_targetILNS1_3genE3ELNS1_11target_archE908ELNS1_3gpuE7ELNS1_3repE0EEENS1_30default_config_static_selectorELNS0_4arch9wavefront6targetE1EEEvT1_, .Lfunc_end6789-_ZN7rocprim17ROCPRIM_400000_NS6detail17trampoline_kernelINS0_14default_configENS1_20scan_config_selectorIiEEZZNS1_9scan_implILNS1_25lookback_scan_determinismE0ELb0ELb0ES3_N6thrust23THRUST_200600_302600_NS10device_ptrIiEESB_iNS9_4plusIvEEiEEDaPvRmT3_T4_T5_mT6_P12ihipStream_tbENKUlT_T0_E_clISt17integral_constantIbLb1EESQ_IbLb0EEEEDaSM_SN_EUlSM_E_NS1_11comp_targetILNS1_3genE3ELNS1_11target_archE908ELNS1_3gpuE7ELNS1_3repE0EEENS1_30default_config_static_selectorELNS0_4arch9wavefront6targetE1EEEvT1_
                                        ; -- End function
	.section	.AMDGPU.csdata,"",@progbits
; Kernel info:
; codeLenInByte = 0
; NumSgprs: 4
; NumVgprs: 0
; NumAgprs: 0
; TotalNumVgprs: 0
; ScratchSize: 0
; MemoryBound: 0
; FloatMode: 240
; IeeeMode: 1
; LDSByteSize: 0 bytes/workgroup (compile time only)
; SGPRBlocks: 0
; VGPRBlocks: 0
; NumSGPRsForWavesPerEU: 4
; NumVGPRsForWavesPerEU: 1
; AccumOffset: 4
; Occupancy: 8
; WaveLimiterHint : 0
; COMPUTE_PGM_RSRC2:SCRATCH_EN: 0
; COMPUTE_PGM_RSRC2:USER_SGPR: 6
; COMPUTE_PGM_RSRC2:TRAP_HANDLER: 0
; COMPUTE_PGM_RSRC2:TGID_X_EN: 1
; COMPUTE_PGM_RSRC2:TGID_Y_EN: 0
; COMPUTE_PGM_RSRC2:TGID_Z_EN: 0
; COMPUTE_PGM_RSRC2:TIDIG_COMP_CNT: 0
; COMPUTE_PGM_RSRC3_GFX90A:ACCUM_OFFSET: 0
; COMPUTE_PGM_RSRC3_GFX90A:TG_SPLIT: 0
	.section	.text._ZN7rocprim17ROCPRIM_400000_NS6detail17trampoline_kernelINS0_14default_configENS1_20scan_config_selectorIiEEZZNS1_9scan_implILNS1_25lookback_scan_determinismE0ELb0ELb0ES3_N6thrust23THRUST_200600_302600_NS10device_ptrIiEESB_iNS9_4plusIvEEiEEDaPvRmT3_T4_T5_mT6_P12ihipStream_tbENKUlT_T0_E_clISt17integral_constantIbLb1EESQ_IbLb0EEEEDaSM_SN_EUlSM_E_NS1_11comp_targetILNS1_3genE2ELNS1_11target_archE906ELNS1_3gpuE6ELNS1_3repE0EEENS1_30default_config_static_selectorELNS0_4arch9wavefront6targetE1EEEvT1_,"axG",@progbits,_ZN7rocprim17ROCPRIM_400000_NS6detail17trampoline_kernelINS0_14default_configENS1_20scan_config_selectorIiEEZZNS1_9scan_implILNS1_25lookback_scan_determinismE0ELb0ELb0ES3_N6thrust23THRUST_200600_302600_NS10device_ptrIiEESB_iNS9_4plusIvEEiEEDaPvRmT3_T4_T5_mT6_P12ihipStream_tbENKUlT_T0_E_clISt17integral_constantIbLb1EESQ_IbLb0EEEEDaSM_SN_EUlSM_E_NS1_11comp_targetILNS1_3genE2ELNS1_11target_archE906ELNS1_3gpuE6ELNS1_3repE0EEENS1_30default_config_static_selectorELNS0_4arch9wavefront6targetE1EEEvT1_,comdat
	.protected	_ZN7rocprim17ROCPRIM_400000_NS6detail17trampoline_kernelINS0_14default_configENS1_20scan_config_selectorIiEEZZNS1_9scan_implILNS1_25lookback_scan_determinismE0ELb0ELb0ES3_N6thrust23THRUST_200600_302600_NS10device_ptrIiEESB_iNS9_4plusIvEEiEEDaPvRmT3_T4_T5_mT6_P12ihipStream_tbENKUlT_T0_E_clISt17integral_constantIbLb1EESQ_IbLb0EEEEDaSM_SN_EUlSM_E_NS1_11comp_targetILNS1_3genE2ELNS1_11target_archE906ELNS1_3gpuE6ELNS1_3repE0EEENS1_30default_config_static_selectorELNS0_4arch9wavefront6targetE1EEEvT1_ ; -- Begin function _ZN7rocprim17ROCPRIM_400000_NS6detail17trampoline_kernelINS0_14default_configENS1_20scan_config_selectorIiEEZZNS1_9scan_implILNS1_25lookback_scan_determinismE0ELb0ELb0ES3_N6thrust23THRUST_200600_302600_NS10device_ptrIiEESB_iNS9_4plusIvEEiEEDaPvRmT3_T4_T5_mT6_P12ihipStream_tbENKUlT_T0_E_clISt17integral_constantIbLb1EESQ_IbLb0EEEEDaSM_SN_EUlSM_E_NS1_11comp_targetILNS1_3genE2ELNS1_11target_archE906ELNS1_3gpuE6ELNS1_3repE0EEENS1_30default_config_static_selectorELNS0_4arch9wavefront6targetE1EEEvT1_
	.globl	_ZN7rocprim17ROCPRIM_400000_NS6detail17trampoline_kernelINS0_14default_configENS1_20scan_config_selectorIiEEZZNS1_9scan_implILNS1_25lookback_scan_determinismE0ELb0ELb0ES3_N6thrust23THRUST_200600_302600_NS10device_ptrIiEESB_iNS9_4plusIvEEiEEDaPvRmT3_T4_T5_mT6_P12ihipStream_tbENKUlT_T0_E_clISt17integral_constantIbLb1EESQ_IbLb0EEEEDaSM_SN_EUlSM_E_NS1_11comp_targetILNS1_3genE2ELNS1_11target_archE906ELNS1_3gpuE6ELNS1_3repE0EEENS1_30default_config_static_selectorELNS0_4arch9wavefront6targetE1EEEvT1_
	.p2align	8
	.type	_ZN7rocprim17ROCPRIM_400000_NS6detail17trampoline_kernelINS0_14default_configENS1_20scan_config_selectorIiEEZZNS1_9scan_implILNS1_25lookback_scan_determinismE0ELb0ELb0ES3_N6thrust23THRUST_200600_302600_NS10device_ptrIiEESB_iNS9_4plusIvEEiEEDaPvRmT3_T4_T5_mT6_P12ihipStream_tbENKUlT_T0_E_clISt17integral_constantIbLb1EESQ_IbLb0EEEEDaSM_SN_EUlSM_E_NS1_11comp_targetILNS1_3genE2ELNS1_11target_archE906ELNS1_3gpuE6ELNS1_3repE0EEENS1_30default_config_static_selectorELNS0_4arch9wavefront6targetE1EEEvT1_,@function
_ZN7rocprim17ROCPRIM_400000_NS6detail17trampoline_kernelINS0_14default_configENS1_20scan_config_selectorIiEEZZNS1_9scan_implILNS1_25lookback_scan_determinismE0ELb0ELb0ES3_N6thrust23THRUST_200600_302600_NS10device_ptrIiEESB_iNS9_4plusIvEEiEEDaPvRmT3_T4_T5_mT6_P12ihipStream_tbENKUlT_T0_E_clISt17integral_constantIbLb1EESQ_IbLb0EEEEDaSM_SN_EUlSM_E_NS1_11comp_targetILNS1_3genE2ELNS1_11target_archE906ELNS1_3gpuE6ELNS1_3repE0EEENS1_30default_config_static_selectorELNS0_4arch9wavefront6targetE1EEEvT1_: ; @_ZN7rocprim17ROCPRIM_400000_NS6detail17trampoline_kernelINS0_14default_configENS1_20scan_config_selectorIiEEZZNS1_9scan_implILNS1_25lookback_scan_determinismE0ELb0ELb0ES3_N6thrust23THRUST_200600_302600_NS10device_ptrIiEESB_iNS9_4plusIvEEiEEDaPvRmT3_T4_T5_mT6_P12ihipStream_tbENKUlT_T0_E_clISt17integral_constantIbLb1EESQ_IbLb0EEEEDaSM_SN_EUlSM_E_NS1_11comp_targetILNS1_3genE2ELNS1_11target_archE906ELNS1_3gpuE6ELNS1_3repE0EEENS1_30default_config_static_selectorELNS0_4arch9wavefront6targetE1EEEvT1_
; %bb.0:
	.section	.rodata,"a",@progbits
	.p2align	6, 0x0
	.amdhsa_kernel _ZN7rocprim17ROCPRIM_400000_NS6detail17trampoline_kernelINS0_14default_configENS1_20scan_config_selectorIiEEZZNS1_9scan_implILNS1_25lookback_scan_determinismE0ELb0ELb0ES3_N6thrust23THRUST_200600_302600_NS10device_ptrIiEESB_iNS9_4plusIvEEiEEDaPvRmT3_T4_T5_mT6_P12ihipStream_tbENKUlT_T0_E_clISt17integral_constantIbLb1EESQ_IbLb0EEEEDaSM_SN_EUlSM_E_NS1_11comp_targetILNS1_3genE2ELNS1_11target_archE906ELNS1_3gpuE6ELNS1_3repE0EEENS1_30default_config_static_selectorELNS0_4arch9wavefront6targetE1EEEvT1_
		.amdhsa_group_segment_fixed_size 0
		.amdhsa_private_segment_fixed_size 0
		.amdhsa_kernarg_size 96
		.amdhsa_user_sgpr_count 6
		.amdhsa_user_sgpr_private_segment_buffer 1
		.amdhsa_user_sgpr_dispatch_ptr 0
		.amdhsa_user_sgpr_queue_ptr 0
		.amdhsa_user_sgpr_kernarg_segment_ptr 1
		.amdhsa_user_sgpr_dispatch_id 0
		.amdhsa_user_sgpr_flat_scratch_init 0
		.amdhsa_user_sgpr_kernarg_preload_length 0
		.amdhsa_user_sgpr_kernarg_preload_offset 0
		.amdhsa_user_sgpr_private_segment_size 0
		.amdhsa_uses_dynamic_stack 0
		.amdhsa_system_sgpr_private_segment_wavefront_offset 0
		.amdhsa_system_sgpr_workgroup_id_x 1
		.amdhsa_system_sgpr_workgroup_id_y 0
		.amdhsa_system_sgpr_workgroup_id_z 0
		.amdhsa_system_sgpr_workgroup_info 0
		.amdhsa_system_vgpr_workitem_id 0
		.amdhsa_next_free_vgpr 1
		.amdhsa_next_free_sgpr 0
		.amdhsa_accum_offset 4
		.amdhsa_reserve_vcc 0
		.amdhsa_reserve_flat_scratch 0
		.amdhsa_float_round_mode_32 0
		.amdhsa_float_round_mode_16_64 0
		.amdhsa_float_denorm_mode_32 3
		.amdhsa_float_denorm_mode_16_64 3
		.amdhsa_dx10_clamp 1
		.amdhsa_ieee_mode 1
		.amdhsa_fp16_overflow 0
		.amdhsa_tg_split 0
		.amdhsa_exception_fp_ieee_invalid_op 0
		.amdhsa_exception_fp_denorm_src 0
		.amdhsa_exception_fp_ieee_div_zero 0
		.amdhsa_exception_fp_ieee_overflow 0
		.amdhsa_exception_fp_ieee_underflow 0
		.amdhsa_exception_fp_ieee_inexact 0
		.amdhsa_exception_int_div_zero 0
	.end_amdhsa_kernel
	.section	.text._ZN7rocprim17ROCPRIM_400000_NS6detail17trampoline_kernelINS0_14default_configENS1_20scan_config_selectorIiEEZZNS1_9scan_implILNS1_25lookback_scan_determinismE0ELb0ELb0ES3_N6thrust23THRUST_200600_302600_NS10device_ptrIiEESB_iNS9_4plusIvEEiEEDaPvRmT3_T4_T5_mT6_P12ihipStream_tbENKUlT_T0_E_clISt17integral_constantIbLb1EESQ_IbLb0EEEEDaSM_SN_EUlSM_E_NS1_11comp_targetILNS1_3genE2ELNS1_11target_archE906ELNS1_3gpuE6ELNS1_3repE0EEENS1_30default_config_static_selectorELNS0_4arch9wavefront6targetE1EEEvT1_,"axG",@progbits,_ZN7rocprim17ROCPRIM_400000_NS6detail17trampoline_kernelINS0_14default_configENS1_20scan_config_selectorIiEEZZNS1_9scan_implILNS1_25lookback_scan_determinismE0ELb0ELb0ES3_N6thrust23THRUST_200600_302600_NS10device_ptrIiEESB_iNS9_4plusIvEEiEEDaPvRmT3_T4_T5_mT6_P12ihipStream_tbENKUlT_T0_E_clISt17integral_constantIbLb1EESQ_IbLb0EEEEDaSM_SN_EUlSM_E_NS1_11comp_targetILNS1_3genE2ELNS1_11target_archE906ELNS1_3gpuE6ELNS1_3repE0EEENS1_30default_config_static_selectorELNS0_4arch9wavefront6targetE1EEEvT1_,comdat
.Lfunc_end6790:
	.size	_ZN7rocprim17ROCPRIM_400000_NS6detail17trampoline_kernelINS0_14default_configENS1_20scan_config_selectorIiEEZZNS1_9scan_implILNS1_25lookback_scan_determinismE0ELb0ELb0ES3_N6thrust23THRUST_200600_302600_NS10device_ptrIiEESB_iNS9_4plusIvEEiEEDaPvRmT3_T4_T5_mT6_P12ihipStream_tbENKUlT_T0_E_clISt17integral_constantIbLb1EESQ_IbLb0EEEEDaSM_SN_EUlSM_E_NS1_11comp_targetILNS1_3genE2ELNS1_11target_archE906ELNS1_3gpuE6ELNS1_3repE0EEENS1_30default_config_static_selectorELNS0_4arch9wavefront6targetE1EEEvT1_, .Lfunc_end6790-_ZN7rocprim17ROCPRIM_400000_NS6detail17trampoline_kernelINS0_14default_configENS1_20scan_config_selectorIiEEZZNS1_9scan_implILNS1_25lookback_scan_determinismE0ELb0ELb0ES3_N6thrust23THRUST_200600_302600_NS10device_ptrIiEESB_iNS9_4plusIvEEiEEDaPvRmT3_T4_T5_mT6_P12ihipStream_tbENKUlT_T0_E_clISt17integral_constantIbLb1EESQ_IbLb0EEEEDaSM_SN_EUlSM_E_NS1_11comp_targetILNS1_3genE2ELNS1_11target_archE906ELNS1_3gpuE6ELNS1_3repE0EEENS1_30default_config_static_selectorELNS0_4arch9wavefront6targetE1EEEvT1_
                                        ; -- End function
	.section	.AMDGPU.csdata,"",@progbits
; Kernel info:
; codeLenInByte = 0
; NumSgprs: 4
; NumVgprs: 0
; NumAgprs: 0
; TotalNumVgprs: 0
; ScratchSize: 0
; MemoryBound: 0
; FloatMode: 240
; IeeeMode: 1
; LDSByteSize: 0 bytes/workgroup (compile time only)
; SGPRBlocks: 0
; VGPRBlocks: 0
; NumSGPRsForWavesPerEU: 4
; NumVGPRsForWavesPerEU: 1
; AccumOffset: 4
; Occupancy: 8
; WaveLimiterHint : 0
; COMPUTE_PGM_RSRC2:SCRATCH_EN: 0
; COMPUTE_PGM_RSRC2:USER_SGPR: 6
; COMPUTE_PGM_RSRC2:TRAP_HANDLER: 0
; COMPUTE_PGM_RSRC2:TGID_X_EN: 1
; COMPUTE_PGM_RSRC2:TGID_Y_EN: 0
; COMPUTE_PGM_RSRC2:TGID_Z_EN: 0
; COMPUTE_PGM_RSRC2:TIDIG_COMP_CNT: 0
; COMPUTE_PGM_RSRC3_GFX90A:ACCUM_OFFSET: 0
; COMPUTE_PGM_RSRC3_GFX90A:TG_SPLIT: 0
	.section	.text._ZN7rocprim17ROCPRIM_400000_NS6detail17trampoline_kernelINS0_14default_configENS1_20scan_config_selectorIiEEZZNS1_9scan_implILNS1_25lookback_scan_determinismE0ELb0ELb0ES3_N6thrust23THRUST_200600_302600_NS10device_ptrIiEESB_iNS9_4plusIvEEiEEDaPvRmT3_T4_T5_mT6_P12ihipStream_tbENKUlT_T0_E_clISt17integral_constantIbLb1EESQ_IbLb0EEEEDaSM_SN_EUlSM_E_NS1_11comp_targetILNS1_3genE10ELNS1_11target_archE1201ELNS1_3gpuE5ELNS1_3repE0EEENS1_30default_config_static_selectorELNS0_4arch9wavefront6targetE1EEEvT1_,"axG",@progbits,_ZN7rocprim17ROCPRIM_400000_NS6detail17trampoline_kernelINS0_14default_configENS1_20scan_config_selectorIiEEZZNS1_9scan_implILNS1_25lookback_scan_determinismE0ELb0ELb0ES3_N6thrust23THRUST_200600_302600_NS10device_ptrIiEESB_iNS9_4plusIvEEiEEDaPvRmT3_T4_T5_mT6_P12ihipStream_tbENKUlT_T0_E_clISt17integral_constantIbLb1EESQ_IbLb0EEEEDaSM_SN_EUlSM_E_NS1_11comp_targetILNS1_3genE10ELNS1_11target_archE1201ELNS1_3gpuE5ELNS1_3repE0EEENS1_30default_config_static_selectorELNS0_4arch9wavefront6targetE1EEEvT1_,comdat
	.protected	_ZN7rocprim17ROCPRIM_400000_NS6detail17trampoline_kernelINS0_14default_configENS1_20scan_config_selectorIiEEZZNS1_9scan_implILNS1_25lookback_scan_determinismE0ELb0ELb0ES3_N6thrust23THRUST_200600_302600_NS10device_ptrIiEESB_iNS9_4plusIvEEiEEDaPvRmT3_T4_T5_mT6_P12ihipStream_tbENKUlT_T0_E_clISt17integral_constantIbLb1EESQ_IbLb0EEEEDaSM_SN_EUlSM_E_NS1_11comp_targetILNS1_3genE10ELNS1_11target_archE1201ELNS1_3gpuE5ELNS1_3repE0EEENS1_30default_config_static_selectorELNS0_4arch9wavefront6targetE1EEEvT1_ ; -- Begin function _ZN7rocprim17ROCPRIM_400000_NS6detail17trampoline_kernelINS0_14default_configENS1_20scan_config_selectorIiEEZZNS1_9scan_implILNS1_25lookback_scan_determinismE0ELb0ELb0ES3_N6thrust23THRUST_200600_302600_NS10device_ptrIiEESB_iNS9_4plusIvEEiEEDaPvRmT3_T4_T5_mT6_P12ihipStream_tbENKUlT_T0_E_clISt17integral_constantIbLb1EESQ_IbLb0EEEEDaSM_SN_EUlSM_E_NS1_11comp_targetILNS1_3genE10ELNS1_11target_archE1201ELNS1_3gpuE5ELNS1_3repE0EEENS1_30default_config_static_selectorELNS0_4arch9wavefront6targetE1EEEvT1_
	.globl	_ZN7rocprim17ROCPRIM_400000_NS6detail17trampoline_kernelINS0_14default_configENS1_20scan_config_selectorIiEEZZNS1_9scan_implILNS1_25lookback_scan_determinismE0ELb0ELb0ES3_N6thrust23THRUST_200600_302600_NS10device_ptrIiEESB_iNS9_4plusIvEEiEEDaPvRmT3_T4_T5_mT6_P12ihipStream_tbENKUlT_T0_E_clISt17integral_constantIbLb1EESQ_IbLb0EEEEDaSM_SN_EUlSM_E_NS1_11comp_targetILNS1_3genE10ELNS1_11target_archE1201ELNS1_3gpuE5ELNS1_3repE0EEENS1_30default_config_static_selectorELNS0_4arch9wavefront6targetE1EEEvT1_
	.p2align	8
	.type	_ZN7rocprim17ROCPRIM_400000_NS6detail17trampoline_kernelINS0_14default_configENS1_20scan_config_selectorIiEEZZNS1_9scan_implILNS1_25lookback_scan_determinismE0ELb0ELb0ES3_N6thrust23THRUST_200600_302600_NS10device_ptrIiEESB_iNS9_4plusIvEEiEEDaPvRmT3_T4_T5_mT6_P12ihipStream_tbENKUlT_T0_E_clISt17integral_constantIbLb1EESQ_IbLb0EEEEDaSM_SN_EUlSM_E_NS1_11comp_targetILNS1_3genE10ELNS1_11target_archE1201ELNS1_3gpuE5ELNS1_3repE0EEENS1_30default_config_static_selectorELNS0_4arch9wavefront6targetE1EEEvT1_,@function
_ZN7rocprim17ROCPRIM_400000_NS6detail17trampoline_kernelINS0_14default_configENS1_20scan_config_selectorIiEEZZNS1_9scan_implILNS1_25lookback_scan_determinismE0ELb0ELb0ES3_N6thrust23THRUST_200600_302600_NS10device_ptrIiEESB_iNS9_4plusIvEEiEEDaPvRmT3_T4_T5_mT6_P12ihipStream_tbENKUlT_T0_E_clISt17integral_constantIbLb1EESQ_IbLb0EEEEDaSM_SN_EUlSM_E_NS1_11comp_targetILNS1_3genE10ELNS1_11target_archE1201ELNS1_3gpuE5ELNS1_3repE0EEENS1_30default_config_static_selectorELNS0_4arch9wavefront6targetE1EEEvT1_: ; @_ZN7rocprim17ROCPRIM_400000_NS6detail17trampoline_kernelINS0_14default_configENS1_20scan_config_selectorIiEEZZNS1_9scan_implILNS1_25lookback_scan_determinismE0ELb0ELb0ES3_N6thrust23THRUST_200600_302600_NS10device_ptrIiEESB_iNS9_4plusIvEEiEEDaPvRmT3_T4_T5_mT6_P12ihipStream_tbENKUlT_T0_E_clISt17integral_constantIbLb1EESQ_IbLb0EEEEDaSM_SN_EUlSM_E_NS1_11comp_targetILNS1_3genE10ELNS1_11target_archE1201ELNS1_3gpuE5ELNS1_3repE0EEENS1_30default_config_static_selectorELNS0_4arch9wavefront6targetE1EEEvT1_
; %bb.0:
	.section	.rodata,"a",@progbits
	.p2align	6, 0x0
	.amdhsa_kernel _ZN7rocprim17ROCPRIM_400000_NS6detail17trampoline_kernelINS0_14default_configENS1_20scan_config_selectorIiEEZZNS1_9scan_implILNS1_25lookback_scan_determinismE0ELb0ELb0ES3_N6thrust23THRUST_200600_302600_NS10device_ptrIiEESB_iNS9_4plusIvEEiEEDaPvRmT3_T4_T5_mT6_P12ihipStream_tbENKUlT_T0_E_clISt17integral_constantIbLb1EESQ_IbLb0EEEEDaSM_SN_EUlSM_E_NS1_11comp_targetILNS1_3genE10ELNS1_11target_archE1201ELNS1_3gpuE5ELNS1_3repE0EEENS1_30default_config_static_selectorELNS0_4arch9wavefront6targetE1EEEvT1_
		.amdhsa_group_segment_fixed_size 0
		.amdhsa_private_segment_fixed_size 0
		.amdhsa_kernarg_size 96
		.amdhsa_user_sgpr_count 6
		.amdhsa_user_sgpr_private_segment_buffer 1
		.amdhsa_user_sgpr_dispatch_ptr 0
		.amdhsa_user_sgpr_queue_ptr 0
		.amdhsa_user_sgpr_kernarg_segment_ptr 1
		.amdhsa_user_sgpr_dispatch_id 0
		.amdhsa_user_sgpr_flat_scratch_init 0
		.amdhsa_user_sgpr_kernarg_preload_length 0
		.amdhsa_user_sgpr_kernarg_preload_offset 0
		.amdhsa_user_sgpr_private_segment_size 0
		.amdhsa_uses_dynamic_stack 0
		.amdhsa_system_sgpr_private_segment_wavefront_offset 0
		.amdhsa_system_sgpr_workgroup_id_x 1
		.amdhsa_system_sgpr_workgroup_id_y 0
		.amdhsa_system_sgpr_workgroup_id_z 0
		.amdhsa_system_sgpr_workgroup_info 0
		.amdhsa_system_vgpr_workitem_id 0
		.amdhsa_next_free_vgpr 1
		.amdhsa_next_free_sgpr 0
		.amdhsa_accum_offset 4
		.amdhsa_reserve_vcc 0
		.amdhsa_reserve_flat_scratch 0
		.amdhsa_float_round_mode_32 0
		.amdhsa_float_round_mode_16_64 0
		.amdhsa_float_denorm_mode_32 3
		.amdhsa_float_denorm_mode_16_64 3
		.amdhsa_dx10_clamp 1
		.amdhsa_ieee_mode 1
		.amdhsa_fp16_overflow 0
		.amdhsa_tg_split 0
		.amdhsa_exception_fp_ieee_invalid_op 0
		.amdhsa_exception_fp_denorm_src 0
		.amdhsa_exception_fp_ieee_div_zero 0
		.amdhsa_exception_fp_ieee_overflow 0
		.amdhsa_exception_fp_ieee_underflow 0
		.amdhsa_exception_fp_ieee_inexact 0
		.amdhsa_exception_int_div_zero 0
	.end_amdhsa_kernel
	.section	.text._ZN7rocprim17ROCPRIM_400000_NS6detail17trampoline_kernelINS0_14default_configENS1_20scan_config_selectorIiEEZZNS1_9scan_implILNS1_25lookback_scan_determinismE0ELb0ELb0ES3_N6thrust23THRUST_200600_302600_NS10device_ptrIiEESB_iNS9_4plusIvEEiEEDaPvRmT3_T4_T5_mT6_P12ihipStream_tbENKUlT_T0_E_clISt17integral_constantIbLb1EESQ_IbLb0EEEEDaSM_SN_EUlSM_E_NS1_11comp_targetILNS1_3genE10ELNS1_11target_archE1201ELNS1_3gpuE5ELNS1_3repE0EEENS1_30default_config_static_selectorELNS0_4arch9wavefront6targetE1EEEvT1_,"axG",@progbits,_ZN7rocprim17ROCPRIM_400000_NS6detail17trampoline_kernelINS0_14default_configENS1_20scan_config_selectorIiEEZZNS1_9scan_implILNS1_25lookback_scan_determinismE0ELb0ELb0ES3_N6thrust23THRUST_200600_302600_NS10device_ptrIiEESB_iNS9_4plusIvEEiEEDaPvRmT3_T4_T5_mT6_P12ihipStream_tbENKUlT_T0_E_clISt17integral_constantIbLb1EESQ_IbLb0EEEEDaSM_SN_EUlSM_E_NS1_11comp_targetILNS1_3genE10ELNS1_11target_archE1201ELNS1_3gpuE5ELNS1_3repE0EEENS1_30default_config_static_selectorELNS0_4arch9wavefront6targetE1EEEvT1_,comdat
.Lfunc_end6791:
	.size	_ZN7rocprim17ROCPRIM_400000_NS6detail17trampoline_kernelINS0_14default_configENS1_20scan_config_selectorIiEEZZNS1_9scan_implILNS1_25lookback_scan_determinismE0ELb0ELb0ES3_N6thrust23THRUST_200600_302600_NS10device_ptrIiEESB_iNS9_4plusIvEEiEEDaPvRmT3_T4_T5_mT6_P12ihipStream_tbENKUlT_T0_E_clISt17integral_constantIbLb1EESQ_IbLb0EEEEDaSM_SN_EUlSM_E_NS1_11comp_targetILNS1_3genE10ELNS1_11target_archE1201ELNS1_3gpuE5ELNS1_3repE0EEENS1_30default_config_static_selectorELNS0_4arch9wavefront6targetE1EEEvT1_, .Lfunc_end6791-_ZN7rocprim17ROCPRIM_400000_NS6detail17trampoline_kernelINS0_14default_configENS1_20scan_config_selectorIiEEZZNS1_9scan_implILNS1_25lookback_scan_determinismE0ELb0ELb0ES3_N6thrust23THRUST_200600_302600_NS10device_ptrIiEESB_iNS9_4plusIvEEiEEDaPvRmT3_T4_T5_mT6_P12ihipStream_tbENKUlT_T0_E_clISt17integral_constantIbLb1EESQ_IbLb0EEEEDaSM_SN_EUlSM_E_NS1_11comp_targetILNS1_3genE10ELNS1_11target_archE1201ELNS1_3gpuE5ELNS1_3repE0EEENS1_30default_config_static_selectorELNS0_4arch9wavefront6targetE1EEEvT1_
                                        ; -- End function
	.section	.AMDGPU.csdata,"",@progbits
; Kernel info:
; codeLenInByte = 0
; NumSgprs: 4
; NumVgprs: 0
; NumAgprs: 0
; TotalNumVgprs: 0
; ScratchSize: 0
; MemoryBound: 0
; FloatMode: 240
; IeeeMode: 1
; LDSByteSize: 0 bytes/workgroup (compile time only)
; SGPRBlocks: 0
; VGPRBlocks: 0
; NumSGPRsForWavesPerEU: 4
; NumVGPRsForWavesPerEU: 1
; AccumOffset: 4
; Occupancy: 8
; WaveLimiterHint : 0
; COMPUTE_PGM_RSRC2:SCRATCH_EN: 0
; COMPUTE_PGM_RSRC2:USER_SGPR: 6
; COMPUTE_PGM_RSRC2:TRAP_HANDLER: 0
; COMPUTE_PGM_RSRC2:TGID_X_EN: 1
; COMPUTE_PGM_RSRC2:TGID_Y_EN: 0
; COMPUTE_PGM_RSRC2:TGID_Z_EN: 0
; COMPUTE_PGM_RSRC2:TIDIG_COMP_CNT: 0
; COMPUTE_PGM_RSRC3_GFX90A:ACCUM_OFFSET: 0
; COMPUTE_PGM_RSRC3_GFX90A:TG_SPLIT: 0
	.section	.text._ZN7rocprim17ROCPRIM_400000_NS6detail17trampoline_kernelINS0_14default_configENS1_20scan_config_selectorIiEEZZNS1_9scan_implILNS1_25lookback_scan_determinismE0ELb0ELb0ES3_N6thrust23THRUST_200600_302600_NS10device_ptrIiEESB_iNS9_4plusIvEEiEEDaPvRmT3_T4_T5_mT6_P12ihipStream_tbENKUlT_T0_E_clISt17integral_constantIbLb1EESQ_IbLb0EEEEDaSM_SN_EUlSM_E_NS1_11comp_targetILNS1_3genE10ELNS1_11target_archE1200ELNS1_3gpuE4ELNS1_3repE0EEENS1_30default_config_static_selectorELNS0_4arch9wavefront6targetE1EEEvT1_,"axG",@progbits,_ZN7rocprim17ROCPRIM_400000_NS6detail17trampoline_kernelINS0_14default_configENS1_20scan_config_selectorIiEEZZNS1_9scan_implILNS1_25lookback_scan_determinismE0ELb0ELb0ES3_N6thrust23THRUST_200600_302600_NS10device_ptrIiEESB_iNS9_4plusIvEEiEEDaPvRmT3_T4_T5_mT6_P12ihipStream_tbENKUlT_T0_E_clISt17integral_constantIbLb1EESQ_IbLb0EEEEDaSM_SN_EUlSM_E_NS1_11comp_targetILNS1_3genE10ELNS1_11target_archE1200ELNS1_3gpuE4ELNS1_3repE0EEENS1_30default_config_static_selectorELNS0_4arch9wavefront6targetE1EEEvT1_,comdat
	.protected	_ZN7rocprim17ROCPRIM_400000_NS6detail17trampoline_kernelINS0_14default_configENS1_20scan_config_selectorIiEEZZNS1_9scan_implILNS1_25lookback_scan_determinismE0ELb0ELb0ES3_N6thrust23THRUST_200600_302600_NS10device_ptrIiEESB_iNS9_4plusIvEEiEEDaPvRmT3_T4_T5_mT6_P12ihipStream_tbENKUlT_T0_E_clISt17integral_constantIbLb1EESQ_IbLb0EEEEDaSM_SN_EUlSM_E_NS1_11comp_targetILNS1_3genE10ELNS1_11target_archE1200ELNS1_3gpuE4ELNS1_3repE0EEENS1_30default_config_static_selectorELNS0_4arch9wavefront6targetE1EEEvT1_ ; -- Begin function _ZN7rocprim17ROCPRIM_400000_NS6detail17trampoline_kernelINS0_14default_configENS1_20scan_config_selectorIiEEZZNS1_9scan_implILNS1_25lookback_scan_determinismE0ELb0ELb0ES3_N6thrust23THRUST_200600_302600_NS10device_ptrIiEESB_iNS9_4plusIvEEiEEDaPvRmT3_T4_T5_mT6_P12ihipStream_tbENKUlT_T0_E_clISt17integral_constantIbLb1EESQ_IbLb0EEEEDaSM_SN_EUlSM_E_NS1_11comp_targetILNS1_3genE10ELNS1_11target_archE1200ELNS1_3gpuE4ELNS1_3repE0EEENS1_30default_config_static_selectorELNS0_4arch9wavefront6targetE1EEEvT1_
	.globl	_ZN7rocprim17ROCPRIM_400000_NS6detail17trampoline_kernelINS0_14default_configENS1_20scan_config_selectorIiEEZZNS1_9scan_implILNS1_25lookback_scan_determinismE0ELb0ELb0ES3_N6thrust23THRUST_200600_302600_NS10device_ptrIiEESB_iNS9_4plusIvEEiEEDaPvRmT3_T4_T5_mT6_P12ihipStream_tbENKUlT_T0_E_clISt17integral_constantIbLb1EESQ_IbLb0EEEEDaSM_SN_EUlSM_E_NS1_11comp_targetILNS1_3genE10ELNS1_11target_archE1200ELNS1_3gpuE4ELNS1_3repE0EEENS1_30default_config_static_selectorELNS0_4arch9wavefront6targetE1EEEvT1_
	.p2align	8
	.type	_ZN7rocprim17ROCPRIM_400000_NS6detail17trampoline_kernelINS0_14default_configENS1_20scan_config_selectorIiEEZZNS1_9scan_implILNS1_25lookback_scan_determinismE0ELb0ELb0ES3_N6thrust23THRUST_200600_302600_NS10device_ptrIiEESB_iNS9_4plusIvEEiEEDaPvRmT3_T4_T5_mT6_P12ihipStream_tbENKUlT_T0_E_clISt17integral_constantIbLb1EESQ_IbLb0EEEEDaSM_SN_EUlSM_E_NS1_11comp_targetILNS1_3genE10ELNS1_11target_archE1200ELNS1_3gpuE4ELNS1_3repE0EEENS1_30default_config_static_selectorELNS0_4arch9wavefront6targetE1EEEvT1_,@function
_ZN7rocprim17ROCPRIM_400000_NS6detail17trampoline_kernelINS0_14default_configENS1_20scan_config_selectorIiEEZZNS1_9scan_implILNS1_25lookback_scan_determinismE0ELb0ELb0ES3_N6thrust23THRUST_200600_302600_NS10device_ptrIiEESB_iNS9_4plusIvEEiEEDaPvRmT3_T4_T5_mT6_P12ihipStream_tbENKUlT_T0_E_clISt17integral_constantIbLb1EESQ_IbLb0EEEEDaSM_SN_EUlSM_E_NS1_11comp_targetILNS1_3genE10ELNS1_11target_archE1200ELNS1_3gpuE4ELNS1_3repE0EEENS1_30default_config_static_selectorELNS0_4arch9wavefront6targetE1EEEvT1_: ; @_ZN7rocprim17ROCPRIM_400000_NS6detail17trampoline_kernelINS0_14default_configENS1_20scan_config_selectorIiEEZZNS1_9scan_implILNS1_25lookback_scan_determinismE0ELb0ELb0ES3_N6thrust23THRUST_200600_302600_NS10device_ptrIiEESB_iNS9_4plusIvEEiEEDaPvRmT3_T4_T5_mT6_P12ihipStream_tbENKUlT_T0_E_clISt17integral_constantIbLb1EESQ_IbLb0EEEEDaSM_SN_EUlSM_E_NS1_11comp_targetILNS1_3genE10ELNS1_11target_archE1200ELNS1_3gpuE4ELNS1_3repE0EEENS1_30default_config_static_selectorELNS0_4arch9wavefront6targetE1EEEvT1_
; %bb.0:
	.section	.rodata,"a",@progbits
	.p2align	6, 0x0
	.amdhsa_kernel _ZN7rocprim17ROCPRIM_400000_NS6detail17trampoline_kernelINS0_14default_configENS1_20scan_config_selectorIiEEZZNS1_9scan_implILNS1_25lookback_scan_determinismE0ELb0ELb0ES3_N6thrust23THRUST_200600_302600_NS10device_ptrIiEESB_iNS9_4plusIvEEiEEDaPvRmT3_T4_T5_mT6_P12ihipStream_tbENKUlT_T0_E_clISt17integral_constantIbLb1EESQ_IbLb0EEEEDaSM_SN_EUlSM_E_NS1_11comp_targetILNS1_3genE10ELNS1_11target_archE1200ELNS1_3gpuE4ELNS1_3repE0EEENS1_30default_config_static_selectorELNS0_4arch9wavefront6targetE1EEEvT1_
		.amdhsa_group_segment_fixed_size 0
		.amdhsa_private_segment_fixed_size 0
		.amdhsa_kernarg_size 96
		.amdhsa_user_sgpr_count 6
		.amdhsa_user_sgpr_private_segment_buffer 1
		.amdhsa_user_sgpr_dispatch_ptr 0
		.amdhsa_user_sgpr_queue_ptr 0
		.amdhsa_user_sgpr_kernarg_segment_ptr 1
		.amdhsa_user_sgpr_dispatch_id 0
		.amdhsa_user_sgpr_flat_scratch_init 0
		.amdhsa_user_sgpr_kernarg_preload_length 0
		.amdhsa_user_sgpr_kernarg_preload_offset 0
		.amdhsa_user_sgpr_private_segment_size 0
		.amdhsa_uses_dynamic_stack 0
		.amdhsa_system_sgpr_private_segment_wavefront_offset 0
		.amdhsa_system_sgpr_workgroup_id_x 1
		.amdhsa_system_sgpr_workgroup_id_y 0
		.amdhsa_system_sgpr_workgroup_id_z 0
		.amdhsa_system_sgpr_workgroup_info 0
		.amdhsa_system_vgpr_workitem_id 0
		.amdhsa_next_free_vgpr 1
		.amdhsa_next_free_sgpr 0
		.amdhsa_accum_offset 4
		.amdhsa_reserve_vcc 0
		.amdhsa_reserve_flat_scratch 0
		.amdhsa_float_round_mode_32 0
		.amdhsa_float_round_mode_16_64 0
		.amdhsa_float_denorm_mode_32 3
		.amdhsa_float_denorm_mode_16_64 3
		.amdhsa_dx10_clamp 1
		.amdhsa_ieee_mode 1
		.amdhsa_fp16_overflow 0
		.amdhsa_tg_split 0
		.amdhsa_exception_fp_ieee_invalid_op 0
		.amdhsa_exception_fp_denorm_src 0
		.amdhsa_exception_fp_ieee_div_zero 0
		.amdhsa_exception_fp_ieee_overflow 0
		.amdhsa_exception_fp_ieee_underflow 0
		.amdhsa_exception_fp_ieee_inexact 0
		.amdhsa_exception_int_div_zero 0
	.end_amdhsa_kernel
	.section	.text._ZN7rocprim17ROCPRIM_400000_NS6detail17trampoline_kernelINS0_14default_configENS1_20scan_config_selectorIiEEZZNS1_9scan_implILNS1_25lookback_scan_determinismE0ELb0ELb0ES3_N6thrust23THRUST_200600_302600_NS10device_ptrIiEESB_iNS9_4plusIvEEiEEDaPvRmT3_T4_T5_mT6_P12ihipStream_tbENKUlT_T0_E_clISt17integral_constantIbLb1EESQ_IbLb0EEEEDaSM_SN_EUlSM_E_NS1_11comp_targetILNS1_3genE10ELNS1_11target_archE1200ELNS1_3gpuE4ELNS1_3repE0EEENS1_30default_config_static_selectorELNS0_4arch9wavefront6targetE1EEEvT1_,"axG",@progbits,_ZN7rocprim17ROCPRIM_400000_NS6detail17trampoline_kernelINS0_14default_configENS1_20scan_config_selectorIiEEZZNS1_9scan_implILNS1_25lookback_scan_determinismE0ELb0ELb0ES3_N6thrust23THRUST_200600_302600_NS10device_ptrIiEESB_iNS9_4plusIvEEiEEDaPvRmT3_T4_T5_mT6_P12ihipStream_tbENKUlT_T0_E_clISt17integral_constantIbLb1EESQ_IbLb0EEEEDaSM_SN_EUlSM_E_NS1_11comp_targetILNS1_3genE10ELNS1_11target_archE1200ELNS1_3gpuE4ELNS1_3repE0EEENS1_30default_config_static_selectorELNS0_4arch9wavefront6targetE1EEEvT1_,comdat
.Lfunc_end6792:
	.size	_ZN7rocprim17ROCPRIM_400000_NS6detail17trampoline_kernelINS0_14default_configENS1_20scan_config_selectorIiEEZZNS1_9scan_implILNS1_25lookback_scan_determinismE0ELb0ELb0ES3_N6thrust23THRUST_200600_302600_NS10device_ptrIiEESB_iNS9_4plusIvEEiEEDaPvRmT3_T4_T5_mT6_P12ihipStream_tbENKUlT_T0_E_clISt17integral_constantIbLb1EESQ_IbLb0EEEEDaSM_SN_EUlSM_E_NS1_11comp_targetILNS1_3genE10ELNS1_11target_archE1200ELNS1_3gpuE4ELNS1_3repE0EEENS1_30default_config_static_selectorELNS0_4arch9wavefront6targetE1EEEvT1_, .Lfunc_end6792-_ZN7rocprim17ROCPRIM_400000_NS6detail17trampoline_kernelINS0_14default_configENS1_20scan_config_selectorIiEEZZNS1_9scan_implILNS1_25lookback_scan_determinismE0ELb0ELb0ES3_N6thrust23THRUST_200600_302600_NS10device_ptrIiEESB_iNS9_4plusIvEEiEEDaPvRmT3_T4_T5_mT6_P12ihipStream_tbENKUlT_T0_E_clISt17integral_constantIbLb1EESQ_IbLb0EEEEDaSM_SN_EUlSM_E_NS1_11comp_targetILNS1_3genE10ELNS1_11target_archE1200ELNS1_3gpuE4ELNS1_3repE0EEENS1_30default_config_static_selectorELNS0_4arch9wavefront6targetE1EEEvT1_
                                        ; -- End function
	.section	.AMDGPU.csdata,"",@progbits
; Kernel info:
; codeLenInByte = 0
; NumSgprs: 4
; NumVgprs: 0
; NumAgprs: 0
; TotalNumVgprs: 0
; ScratchSize: 0
; MemoryBound: 0
; FloatMode: 240
; IeeeMode: 1
; LDSByteSize: 0 bytes/workgroup (compile time only)
; SGPRBlocks: 0
; VGPRBlocks: 0
; NumSGPRsForWavesPerEU: 4
; NumVGPRsForWavesPerEU: 1
; AccumOffset: 4
; Occupancy: 8
; WaveLimiterHint : 0
; COMPUTE_PGM_RSRC2:SCRATCH_EN: 0
; COMPUTE_PGM_RSRC2:USER_SGPR: 6
; COMPUTE_PGM_RSRC2:TRAP_HANDLER: 0
; COMPUTE_PGM_RSRC2:TGID_X_EN: 1
; COMPUTE_PGM_RSRC2:TGID_Y_EN: 0
; COMPUTE_PGM_RSRC2:TGID_Z_EN: 0
; COMPUTE_PGM_RSRC2:TIDIG_COMP_CNT: 0
; COMPUTE_PGM_RSRC3_GFX90A:ACCUM_OFFSET: 0
; COMPUTE_PGM_RSRC3_GFX90A:TG_SPLIT: 0
	.section	.text._ZN7rocprim17ROCPRIM_400000_NS6detail17trampoline_kernelINS0_14default_configENS1_20scan_config_selectorIiEEZZNS1_9scan_implILNS1_25lookback_scan_determinismE0ELb0ELb0ES3_N6thrust23THRUST_200600_302600_NS10device_ptrIiEESB_iNS9_4plusIvEEiEEDaPvRmT3_T4_T5_mT6_P12ihipStream_tbENKUlT_T0_E_clISt17integral_constantIbLb1EESQ_IbLb0EEEEDaSM_SN_EUlSM_E_NS1_11comp_targetILNS1_3genE9ELNS1_11target_archE1100ELNS1_3gpuE3ELNS1_3repE0EEENS1_30default_config_static_selectorELNS0_4arch9wavefront6targetE1EEEvT1_,"axG",@progbits,_ZN7rocprim17ROCPRIM_400000_NS6detail17trampoline_kernelINS0_14default_configENS1_20scan_config_selectorIiEEZZNS1_9scan_implILNS1_25lookback_scan_determinismE0ELb0ELb0ES3_N6thrust23THRUST_200600_302600_NS10device_ptrIiEESB_iNS9_4plusIvEEiEEDaPvRmT3_T4_T5_mT6_P12ihipStream_tbENKUlT_T0_E_clISt17integral_constantIbLb1EESQ_IbLb0EEEEDaSM_SN_EUlSM_E_NS1_11comp_targetILNS1_3genE9ELNS1_11target_archE1100ELNS1_3gpuE3ELNS1_3repE0EEENS1_30default_config_static_selectorELNS0_4arch9wavefront6targetE1EEEvT1_,comdat
	.protected	_ZN7rocprim17ROCPRIM_400000_NS6detail17trampoline_kernelINS0_14default_configENS1_20scan_config_selectorIiEEZZNS1_9scan_implILNS1_25lookback_scan_determinismE0ELb0ELb0ES3_N6thrust23THRUST_200600_302600_NS10device_ptrIiEESB_iNS9_4plusIvEEiEEDaPvRmT3_T4_T5_mT6_P12ihipStream_tbENKUlT_T0_E_clISt17integral_constantIbLb1EESQ_IbLb0EEEEDaSM_SN_EUlSM_E_NS1_11comp_targetILNS1_3genE9ELNS1_11target_archE1100ELNS1_3gpuE3ELNS1_3repE0EEENS1_30default_config_static_selectorELNS0_4arch9wavefront6targetE1EEEvT1_ ; -- Begin function _ZN7rocprim17ROCPRIM_400000_NS6detail17trampoline_kernelINS0_14default_configENS1_20scan_config_selectorIiEEZZNS1_9scan_implILNS1_25lookback_scan_determinismE0ELb0ELb0ES3_N6thrust23THRUST_200600_302600_NS10device_ptrIiEESB_iNS9_4plusIvEEiEEDaPvRmT3_T4_T5_mT6_P12ihipStream_tbENKUlT_T0_E_clISt17integral_constantIbLb1EESQ_IbLb0EEEEDaSM_SN_EUlSM_E_NS1_11comp_targetILNS1_3genE9ELNS1_11target_archE1100ELNS1_3gpuE3ELNS1_3repE0EEENS1_30default_config_static_selectorELNS0_4arch9wavefront6targetE1EEEvT1_
	.globl	_ZN7rocprim17ROCPRIM_400000_NS6detail17trampoline_kernelINS0_14default_configENS1_20scan_config_selectorIiEEZZNS1_9scan_implILNS1_25lookback_scan_determinismE0ELb0ELb0ES3_N6thrust23THRUST_200600_302600_NS10device_ptrIiEESB_iNS9_4plusIvEEiEEDaPvRmT3_T4_T5_mT6_P12ihipStream_tbENKUlT_T0_E_clISt17integral_constantIbLb1EESQ_IbLb0EEEEDaSM_SN_EUlSM_E_NS1_11comp_targetILNS1_3genE9ELNS1_11target_archE1100ELNS1_3gpuE3ELNS1_3repE0EEENS1_30default_config_static_selectorELNS0_4arch9wavefront6targetE1EEEvT1_
	.p2align	8
	.type	_ZN7rocprim17ROCPRIM_400000_NS6detail17trampoline_kernelINS0_14default_configENS1_20scan_config_selectorIiEEZZNS1_9scan_implILNS1_25lookback_scan_determinismE0ELb0ELb0ES3_N6thrust23THRUST_200600_302600_NS10device_ptrIiEESB_iNS9_4plusIvEEiEEDaPvRmT3_T4_T5_mT6_P12ihipStream_tbENKUlT_T0_E_clISt17integral_constantIbLb1EESQ_IbLb0EEEEDaSM_SN_EUlSM_E_NS1_11comp_targetILNS1_3genE9ELNS1_11target_archE1100ELNS1_3gpuE3ELNS1_3repE0EEENS1_30default_config_static_selectorELNS0_4arch9wavefront6targetE1EEEvT1_,@function
_ZN7rocprim17ROCPRIM_400000_NS6detail17trampoline_kernelINS0_14default_configENS1_20scan_config_selectorIiEEZZNS1_9scan_implILNS1_25lookback_scan_determinismE0ELb0ELb0ES3_N6thrust23THRUST_200600_302600_NS10device_ptrIiEESB_iNS9_4plusIvEEiEEDaPvRmT3_T4_T5_mT6_P12ihipStream_tbENKUlT_T0_E_clISt17integral_constantIbLb1EESQ_IbLb0EEEEDaSM_SN_EUlSM_E_NS1_11comp_targetILNS1_3genE9ELNS1_11target_archE1100ELNS1_3gpuE3ELNS1_3repE0EEENS1_30default_config_static_selectorELNS0_4arch9wavefront6targetE1EEEvT1_: ; @_ZN7rocprim17ROCPRIM_400000_NS6detail17trampoline_kernelINS0_14default_configENS1_20scan_config_selectorIiEEZZNS1_9scan_implILNS1_25lookback_scan_determinismE0ELb0ELb0ES3_N6thrust23THRUST_200600_302600_NS10device_ptrIiEESB_iNS9_4plusIvEEiEEDaPvRmT3_T4_T5_mT6_P12ihipStream_tbENKUlT_T0_E_clISt17integral_constantIbLb1EESQ_IbLb0EEEEDaSM_SN_EUlSM_E_NS1_11comp_targetILNS1_3genE9ELNS1_11target_archE1100ELNS1_3gpuE3ELNS1_3repE0EEENS1_30default_config_static_selectorELNS0_4arch9wavefront6targetE1EEEvT1_
; %bb.0:
	.section	.rodata,"a",@progbits
	.p2align	6, 0x0
	.amdhsa_kernel _ZN7rocprim17ROCPRIM_400000_NS6detail17trampoline_kernelINS0_14default_configENS1_20scan_config_selectorIiEEZZNS1_9scan_implILNS1_25lookback_scan_determinismE0ELb0ELb0ES3_N6thrust23THRUST_200600_302600_NS10device_ptrIiEESB_iNS9_4plusIvEEiEEDaPvRmT3_T4_T5_mT6_P12ihipStream_tbENKUlT_T0_E_clISt17integral_constantIbLb1EESQ_IbLb0EEEEDaSM_SN_EUlSM_E_NS1_11comp_targetILNS1_3genE9ELNS1_11target_archE1100ELNS1_3gpuE3ELNS1_3repE0EEENS1_30default_config_static_selectorELNS0_4arch9wavefront6targetE1EEEvT1_
		.amdhsa_group_segment_fixed_size 0
		.amdhsa_private_segment_fixed_size 0
		.amdhsa_kernarg_size 96
		.amdhsa_user_sgpr_count 6
		.amdhsa_user_sgpr_private_segment_buffer 1
		.amdhsa_user_sgpr_dispatch_ptr 0
		.amdhsa_user_sgpr_queue_ptr 0
		.amdhsa_user_sgpr_kernarg_segment_ptr 1
		.amdhsa_user_sgpr_dispatch_id 0
		.amdhsa_user_sgpr_flat_scratch_init 0
		.amdhsa_user_sgpr_kernarg_preload_length 0
		.amdhsa_user_sgpr_kernarg_preload_offset 0
		.amdhsa_user_sgpr_private_segment_size 0
		.amdhsa_uses_dynamic_stack 0
		.amdhsa_system_sgpr_private_segment_wavefront_offset 0
		.amdhsa_system_sgpr_workgroup_id_x 1
		.amdhsa_system_sgpr_workgroup_id_y 0
		.amdhsa_system_sgpr_workgroup_id_z 0
		.amdhsa_system_sgpr_workgroup_info 0
		.amdhsa_system_vgpr_workitem_id 0
		.amdhsa_next_free_vgpr 1
		.amdhsa_next_free_sgpr 0
		.amdhsa_accum_offset 4
		.amdhsa_reserve_vcc 0
		.amdhsa_reserve_flat_scratch 0
		.amdhsa_float_round_mode_32 0
		.amdhsa_float_round_mode_16_64 0
		.amdhsa_float_denorm_mode_32 3
		.amdhsa_float_denorm_mode_16_64 3
		.amdhsa_dx10_clamp 1
		.amdhsa_ieee_mode 1
		.amdhsa_fp16_overflow 0
		.amdhsa_tg_split 0
		.amdhsa_exception_fp_ieee_invalid_op 0
		.amdhsa_exception_fp_denorm_src 0
		.amdhsa_exception_fp_ieee_div_zero 0
		.amdhsa_exception_fp_ieee_overflow 0
		.amdhsa_exception_fp_ieee_underflow 0
		.amdhsa_exception_fp_ieee_inexact 0
		.amdhsa_exception_int_div_zero 0
	.end_amdhsa_kernel
	.section	.text._ZN7rocprim17ROCPRIM_400000_NS6detail17trampoline_kernelINS0_14default_configENS1_20scan_config_selectorIiEEZZNS1_9scan_implILNS1_25lookback_scan_determinismE0ELb0ELb0ES3_N6thrust23THRUST_200600_302600_NS10device_ptrIiEESB_iNS9_4plusIvEEiEEDaPvRmT3_T4_T5_mT6_P12ihipStream_tbENKUlT_T0_E_clISt17integral_constantIbLb1EESQ_IbLb0EEEEDaSM_SN_EUlSM_E_NS1_11comp_targetILNS1_3genE9ELNS1_11target_archE1100ELNS1_3gpuE3ELNS1_3repE0EEENS1_30default_config_static_selectorELNS0_4arch9wavefront6targetE1EEEvT1_,"axG",@progbits,_ZN7rocprim17ROCPRIM_400000_NS6detail17trampoline_kernelINS0_14default_configENS1_20scan_config_selectorIiEEZZNS1_9scan_implILNS1_25lookback_scan_determinismE0ELb0ELb0ES3_N6thrust23THRUST_200600_302600_NS10device_ptrIiEESB_iNS9_4plusIvEEiEEDaPvRmT3_T4_T5_mT6_P12ihipStream_tbENKUlT_T0_E_clISt17integral_constantIbLb1EESQ_IbLb0EEEEDaSM_SN_EUlSM_E_NS1_11comp_targetILNS1_3genE9ELNS1_11target_archE1100ELNS1_3gpuE3ELNS1_3repE0EEENS1_30default_config_static_selectorELNS0_4arch9wavefront6targetE1EEEvT1_,comdat
.Lfunc_end6793:
	.size	_ZN7rocprim17ROCPRIM_400000_NS6detail17trampoline_kernelINS0_14default_configENS1_20scan_config_selectorIiEEZZNS1_9scan_implILNS1_25lookback_scan_determinismE0ELb0ELb0ES3_N6thrust23THRUST_200600_302600_NS10device_ptrIiEESB_iNS9_4plusIvEEiEEDaPvRmT3_T4_T5_mT6_P12ihipStream_tbENKUlT_T0_E_clISt17integral_constantIbLb1EESQ_IbLb0EEEEDaSM_SN_EUlSM_E_NS1_11comp_targetILNS1_3genE9ELNS1_11target_archE1100ELNS1_3gpuE3ELNS1_3repE0EEENS1_30default_config_static_selectorELNS0_4arch9wavefront6targetE1EEEvT1_, .Lfunc_end6793-_ZN7rocprim17ROCPRIM_400000_NS6detail17trampoline_kernelINS0_14default_configENS1_20scan_config_selectorIiEEZZNS1_9scan_implILNS1_25lookback_scan_determinismE0ELb0ELb0ES3_N6thrust23THRUST_200600_302600_NS10device_ptrIiEESB_iNS9_4plusIvEEiEEDaPvRmT3_T4_T5_mT6_P12ihipStream_tbENKUlT_T0_E_clISt17integral_constantIbLb1EESQ_IbLb0EEEEDaSM_SN_EUlSM_E_NS1_11comp_targetILNS1_3genE9ELNS1_11target_archE1100ELNS1_3gpuE3ELNS1_3repE0EEENS1_30default_config_static_selectorELNS0_4arch9wavefront6targetE1EEEvT1_
                                        ; -- End function
	.section	.AMDGPU.csdata,"",@progbits
; Kernel info:
; codeLenInByte = 0
; NumSgprs: 4
; NumVgprs: 0
; NumAgprs: 0
; TotalNumVgprs: 0
; ScratchSize: 0
; MemoryBound: 0
; FloatMode: 240
; IeeeMode: 1
; LDSByteSize: 0 bytes/workgroup (compile time only)
; SGPRBlocks: 0
; VGPRBlocks: 0
; NumSGPRsForWavesPerEU: 4
; NumVGPRsForWavesPerEU: 1
; AccumOffset: 4
; Occupancy: 8
; WaveLimiterHint : 0
; COMPUTE_PGM_RSRC2:SCRATCH_EN: 0
; COMPUTE_PGM_RSRC2:USER_SGPR: 6
; COMPUTE_PGM_RSRC2:TRAP_HANDLER: 0
; COMPUTE_PGM_RSRC2:TGID_X_EN: 1
; COMPUTE_PGM_RSRC2:TGID_Y_EN: 0
; COMPUTE_PGM_RSRC2:TGID_Z_EN: 0
; COMPUTE_PGM_RSRC2:TIDIG_COMP_CNT: 0
; COMPUTE_PGM_RSRC3_GFX90A:ACCUM_OFFSET: 0
; COMPUTE_PGM_RSRC3_GFX90A:TG_SPLIT: 0
	.section	.text._ZN7rocprim17ROCPRIM_400000_NS6detail17trampoline_kernelINS0_14default_configENS1_20scan_config_selectorIiEEZZNS1_9scan_implILNS1_25lookback_scan_determinismE0ELb0ELb0ES3_N6thrust23THRUST_200600_302600_NS10device_ptrIiEESB_iNS9_4plusIvEEiEEDaPvRmT3_T4_T5_mT6_P12ihipStream_tbENKUlT_T0_E_clISt17integral_constantIbLb1EESQ_IbLb0EEEEDaSM_SN_EUlSM_E_NS1_11comp_targetILNS1_3genE8ELNS1_11target_archE1030ELNS1_3gpuE2ELNS1_3repE0EEENS1_30default_config_static_selectorELNS0_4arch9wavefront6targetE1EEEvT1_,"axG",@progbits,_ZN7rocprim17ROCPRIM_400000_NS6detail17trampoline_kernelINS0_14default_configENS1_20scan_config_selectorIiEEZZNS1_9scan_implILNS1_25lookback_scan_determinismE0ELb0ELb0ES3_N6thrust23THRUST_200600_302600_NS10device_ptrIiEESB_iNS9_4plusIvEEiEEDaPvRmT3_T4_T5_mT6_P12ihipStream_tbENKUlT_T0_E_clISt17integral_constantIbLb1EESQ_IbLb0EEEEDaSM_SN_EUlSM_E_NS1_11comp_targetILNS1_3genE8ELNS1_11target_archE1030ELNS1_3gpuE2ELNS1_3repE0EEENS1_30default_config_static_selectorELNS0_4arch9wavefront6targetE1EEEvT1_,comdat
	.protected	_ZN7rocprim17ROCPRIM_400000_NS6detail17trampoline_kernelINS0_14default_configENS1_20scan_config_selectorIiEEZZNS1_9scan_implILNS1_25lookback_scan_determinismE0ELb0ELb0ES3_N6thrust23THRUST_200600_302600_NS10device_ptrIiEESB_iNS9_4plusIvEEiEEDaPvRmT3_T4_T5_mT6_P12ihipStream_tbENKUlT_T0_E_clISt17integral_constantIbLb1EESQ_IbLb0EEEEDaSM_SN_EUlSM_E_NS1_11comp_targetILNS1_3genE8ELNS1_11target_archE1030ELNS1_3gpuE2ELNS1_3repE0EEENS1_30default_config_static_selectorELNS0_4arch9wavefront6targetE1EEEvT1_ ; -- Begin function _ZN7rocprim17ROCPRIM_400000_NS6detail17trampoline_kernelINS0_14default_configENS1_20scan_config_selectorIiEEZZNS1_9scan_implILNS1_25lookback_scan_determinismE0ELb0ELb0ES3_N6thrust23THRUST_200600_302600_NS10device_ptrIiEESB_iNS9_4plusIvEEiEEDaPvRmT3_T4_T5_mT6_P12ihipStream_tbENKUlT_T0_E_clISt17integral_constantIbLb1EESQ_IbLb0EEEEDaSM_SN_EUlSM_E_NS1_11comp_targetILNS1_3genE8ELNS1_11target_archE1030ELNS1_3gpuE2ELNS1_3repE0EEENS1_30default_config_static_selectorELNS0_4arch9wavefront6targetE1EEEvT1_
	.globl	_ZN7rocprim17ROCPRIM_400000_NS6detail17trampoline_kernelINS0_14default_configENS1_20scan_config_selectorIiEEZZNS1_9scan_implILNS1_25lookback_scan_determinismE0ELb0ELb0ES3_N6thrust23THRUST_200600_302600_NS10device_ptrIiEESB_iNS9_4plusIvEEiEEDaPvRmT3_T4_T5_mT6_P12ihipStream_tbENKUlT_T0_E_clISt17integral_constantIbLb1EESQ_IbLb0EEEEDaSM_SN_EUlSM_E_NS1_11comp_targetILNS1_3genE8ELNS1_11target_archE1030ELNS1_3gpuE2ELNS1_3repE0EEENS1_30default_config_static_selectorELNS0_4arch9wavefront6targetE1EEEvT1_
	.p2align	8
	.type	_ZN7rocprim17ROCPRIM_400000_NS6detail17trampoline_kernelINS0_14default_configENS1_20scan_config_selectorIiEEZZNS1_9scan_implILNS1_25lookback_scan_determinismE0ELb0ELb0ES3_N6thrust23THRUST_200600_302600_NS10device_ptrIiEESB_iNS9_4plusIvEEiEEDaPvRmT3_T4_T5_mT6_P12ihipStream_tbENKUlT_T0_E_clISt17integral_constantIbLb1EESQ_IbLb0EEEEDaSM_SN_EUlSM_E_NS1_11comp_targetILNS1_3genE8ELNS1_11target_archE1030ELNS1_3gpuE2ELNS1_3repE0EEENS1_30default_config_static_selectorELNS0_4arch9wavefront6targetE1EEEvT1_,@function
_ZN7rocprim17ROCPRIM_400000_NS6detail17trampoline_kernelINS0_14default_configENS1_20scan_config_selectorIiEEZZNS1_9scan_implILNS1_25lookback_scan_determinismE0ELb0ELb0ES3_N6thrust23THRUST_200600_302600_NS10device_ptrIiEESB_iNS9_4plusIvEEiEEDaPvRmT3_T4_T5_mT6_P12ihipStream_tbENKUlT_T0_E_clISt17integral_constantIbLb1EESQ_IbLb0EEEEDaSM_SN_EUlSM_E_NS1_11comp_targetILNS1_3genE8ELNS1_11target_archE1030ELNS1_3gpuE2ELNS1_3repE0EEENS1_30default_config_static_selectorELNS0_4arch9wavefront6targetE1EEEvT1_: ; @_ZN7rocprim17ROCPRIM_400000_NS6detail17trampoline_kernelINS0_14default_configENS1_20scan_config_selectorIiEEZZNS1_9scan_implILNS1_25lookback_scan_determinismE0ELb0ELb0ES3_N6thrust23THRUST_200600_302600_NS10device_ptrIiEESB_iNS9_4plusIvEEiEEDaPvRmT3_T4_T5_mT6_P12ihipStream_tbENKUlT_T0_E_clISt17integral_constantIbLb1EESQ_IbLb0EEEEDaSM_SN_EUlSM_E_NS1_11comp_targetILNS1_3genE8ELNS1_11target_archE1030ELNS1_3gpuE2ELNS1_3repE0EEENS1_30default_config_static_selectorELNS0_4arch9wavefront6targetE1EEEvT1_
; %bb.0:
	.section	.rodata,"a",@progbits
	.p2align	6, 0x0
	.amdhsa_kernel _ZN7rocprim17ROCPRIM_400000_NS6detail17trampoline_kernelINS0_14default_configENS1_20scan_config_selectorIiEEZZNS1_9scan_implILNS1_25lookback_scan_determinismE0ELb0ELb0ES3_N6thrust23THRUST_200600_302600_NS10device_ptrIiEESB_iNS9_4plusIvEEiEEDaPvRmT3_T4_T5_mT6_P12ihipStream_tbENKUlT_T0_E_clISt17integral_constantIbLb1EESQ_IbLb0EEEEDaSM_SN_EUlSM_E_NS1_11comp_targetILNS1_3genE8ELNS1_11target_archE1030ELNS1_3gpuE2ELNS1_3repE0EEENS1_30default_config_static_selectorELNS0_4arch9wavefront6targetE1EEEvT1_
		.amdhsa_group_segment_fixed_size 0
		.amdhsa_private_segment_fixed_size 0
		.amdhsa_kernarg_size 96
		.amdhsa_user_sgpr_count 6
		.amdhsa_user_sgpr_private_segment_buffer 1
		.amdhsa_user_sgpr_dispatch_ptr 0
		.amdhsa_user_sgpr_queue_ptr 0
		.amdhsa_user_sgpr_kernarg_segment_ptr 1
		.amdhsa_user_sgpr_dispatch_id 0
		.amdhsa_user_sgpr_flat_scratch_init 0
		.amdhsa_user_sgpr_kernarg_preload_length 0
		.amdhsa_user_sgpr_kernarg_preload_offset 0
		.amdhsa_user_sgpr_private_segment_size 0
		.amdhsa_uses_dynamic_stack 0
		.amdhsa_system_sgpr_private_segment_wavefront_offset 0
		.amdhsa_system_sgpr_workgroup_id_x 1
		.amdhsa_system_sgpr_workgroup_id_y 0
		.amdhsa_system_sgpr_workgroup_id_z 0
		.amdhsa_system_sgpr_workgroup_info 0
		.amdhsa_system_vgpr_workitem_id 0
		.amdhsa_next_free_vgpr 1
		.amdhsa_next_free_sgpr 0
		.amdhsa_accum_offset 4
		.amdhsa_reserve_vcc 0
		.amdhsa_reserve_flat_scratch 0
		.amdhsa_float_round_mode_32 0
		.amdhsa_float_round_mode_16_64 0
		.amdhsa_float_denorm_mode_32 3
		.amdhsa_float_denorm_mode_16_64 3
		.amdhsa_dx10_clamp 1
		.amdhsa_ieee_mode 1
		.amdhsa_fp16_overflow 0
		.amdhsa_tg_split 0
		.amdhsa_exception_fp_ieee_invalid_op 0
		.amdhsa_exception_fp_denorm_src 0
		.amdhsa_exception_fp_ieee_div_zero 0
		.amdhsa_exception_fp_ieee_overflow 0
		.amdhsa_exception_fp_ieee_underflow 0
		.amdhsa_exception_fp_ieee_inexact 0
		.amdhsa_exception_int_div_zero 0
	.end_amdhsa_kernel
	.section	.text._ZN7rocprim17ROCPRIM_400000_NS6detail17trampoline_kernelINS0_14default_configENS1_20scan_config_selectorIiEEZZNS1_9scan_implILNS1_25lookback_scan_determinismE0ELb0ELb0ES3_N6thrust23THRUST_200600_302600_NS10device_ptrIiEESB_iNS9_4plusIvEEiEEDaPvRmT3_T4_T5_mT6_P12ihipStream_tbENKUlT_T0_E_clISt17integral_constantIbLb1EESQ_IbLb0EEEEDaSM_SN_EUlSM_E_NS1_11comp_targetILNS1_3genE8ELNS1_11target_archE1030ELNS1_3gpuE2ELNS1_3repE0EEENS1_30default_config_static_selectorELNS0_4arch9wavefront6targetE1EEEvT1_,"axG",@progbits,_ZN7rocprim17ROCPRIM_400000_NS6detail17trampoline_kernelINS0_14default_configENS1_20scan_config_selectorIiEEZZNS1_9scan_implILNS1_25lookback_scan_determinismE0ELb0ELb0ES3_N6thrust23THRUST_200600_302600_NS10device_ptrIiEESB_iNS9_4plusIvEEiEEDaPvRmT3_T4_T5_mT6_P12ihipStream_tbENKUlT_T0_E_clISt17integral_constantIbLb1EESQ_IbLb0EEEEDaSM_SN_EUlSM_E_NS1_11comp_targetILNS1_3genE8ELNS1_11target_archE1030ELNS1_3gpuE2ELNS1_3repE0EEENS1_30default_config_static_selectorELNS0_4arch9wavefront6targetE1EEEvT1_,comdat
.Lfunc_end6794:
	.size	_ZN7rocprim17ROCPRIM_400000_NS6detail17trampoline_kernelINS0_14default_configENS1_20scan_config_selectorIiEEZZNS1_9scan_implILNS1_25lookback_scan_determinismE0ELb0ELb0ES3_N6thrust23THRUST_200600_302600_NS10device_ptrIiEESB_iNS9_4plusIvEEiEEDaPvRmT3_T4_T5_mT6_P12ihipStream_tbENKUlT_T0_E_clISt17integral_constantIbLb1EESQ_IbLb0EEEEDaSM_SN_EUlSM_E_NS1_11comp_targetILNS1_3genE8ELNS1_11target_archE1030ELNS1_3gpuE2ELNS1_3repE0EEENS1_30default_config_static_selectorELNS0_4arch9wavefront6targetE1EEEvT1_, .Lfunc_end6794-_ZN7rocprim17ROCPRIM_400000_NS6detail17trampoline_kernelINS0_14default_configENS1_20scan_config_selectorIiEEZZNS1_9scan_implILNS1_25lookback_scan_determinismE0ELb0ELb0ES3_N6thrust23THRUST_200600_302600_NS10device_ptrIiEESB_iNS9_4plusIvEEiEEDaPvRmT3_T4_T5_mT6_P12ihipStream_tbENKUlT_T0_E_clISt17integral_constantIbLb1EESQ_IbLb0EEEEDaSM_SN_EUlSM_E_NS1_11comp_targetILNS1_3genE8ELNS1_11target_archE1030ELNS1_3gpuE2ELNS1_3repE0EEENS1_30default_config_static_selectorELNS0_4arch9wavefront6targetE1EEEvT1_
                                        ; -- End function
	.section	.AMDGPU.csdata,"",@progbits
; Kernel info:
; codeLenInByte = 0
; NumSgprs: 4
; NumVgprs: 0
; NumAgprs: 0
; TotalNumVgprs: 0
; ScratchSize: 0
; MemoryBound: 0
; FloatMode: 240
; IeeeMode: 1
; LDSByteSize: 0 bytes/workgroup (compile time only)
; SGPRBlocks: 0
; VGPRBlocks: 0
; NumSGPRsForWavesPerEU: 4
; NumVGPRsForWavesPerEU: 1
; AccumOffset: 4
; Occupancy: 8
; WaveLimiterHint : 0
; COMPUTE_PGM_RSRC2:SCRATCH_EN: 0
; COMPUTE_PGM_RSRC2:USER_SGPR: 6
; COMPUTE_PGM_RSRC2:TRAP_HANDLER: 0
; COMPUTE_PGM_RSRC2:TGID_X_EN: 1
; COMPUTE_PGM_RSRC2:TGID_Y_EN: 0
; COMPUTE_PGM_RSRC2:TGID_Z_EN: 0
; COMPUTE_PGM_RSRC2:TIDIG_COMP_CNT: 0
; COMPUTE_PGM_RSRC3_GFX90A:ACCUM_OFFSET: 0
; COMPUTE_PGM_RSRC3_GFX90A:TG_SPLIT: 0
	.section	.text._ZN7rocprim17ROCPRIM_400000_NS6detail17trampoline_kernelINS0_14default_configENS1_20scan_config_selectorIiEEZZNS1_9scan_implILNS1_25lookback_scan_determinismE0ELb0ELb0ES3_N6thrust23THRUST_200600_302600_NS10device_ptrIiEESB_iNS9_4plusIvEEiEEDaPvRmT3_T4_T5_mT6_P12ihipStream_tbENKUlT_T0_E_clISt17integral_constantIbLb1EESQ_IbLb0EEEEDaSM_SN_EUlSM_E0_NS1_11comp_targetILNS1_3genE0ELNS1_11target_archE4294967295ELNS1_3gpuE0ELNS1_3repE0EEENS1_30default_config_static_selectorELNS0_4arch9wavefront6targetE1EEEvT1_,"axG",@progbits,_ZN7rocprim17ROCPRIM_400000_NS6detail17trampoline_kernelINS0_14default_configENS1_20scan_config_selectorIiEEZZNS1_9scan_implILNS1_25lookback_scan_determinismE0ELb0ELb0ES3_N6thrust23THRUST_200600_302600_NS10device_ptrIiEESB_iNS9_4plusIvEEiEEDaPvRmT3_T4_T5_mT6_P12ihipStream_tbENKUlT_T0_E_clISt17integral_constantIbLb1EESQ_IbLb0EEEEDaSM_SN_EUlSM_E0_NS1_11comp_targetILNS1_3genE0ELNS1_11target_archE4294967295ELNS1_3gpuE0ELNS1_3repE0EEENS1_30default_config_static_selectorELNS0_4arch9wavefront6targetE1EEEvT1_,comdat
	.protected	_ZN7rocprim17ROCPRIM_400000_NS6detail17trampoline_kernelINS0_14default_configENS1_20scan_config_selectorIiEEZZNS1_9scan_implILNS1_25lookback_scan_determinismE0ELb0ELb0ES3_N6thrust23THRUST_200600_302600_NS10device_ptrIiEESB_iNS9_4plusIvEEiEEDaPvRmT3_T4_T5_mT6_P12ihipStream_tbENKUlT_T0_E_clISt17integral_constantIbLb1EESQ_IbLb0EEEEDaSM_SN_EUlSM_E0_NS1_11comp_targetILNS1_3genE0ELNS1_11target_archE4294967295ELNS1_3gpuE0ELNS1_3repE0EEENS1_30default_config_static_selectorELNS0_4arch9wavefront6targetE1EEEvT1_ ; -- Begin function _ZN7rocprim17ROCPRIM_400000_NS6detail17trampoline_kernelINS0_14default_configENS1_20scan_config_selectorIiEEZZNS1_9scan_implILNS1_25lookback_scan_determinismE0ELb0ELb0ES3_N6thrust23THRUST_200600_302600_NS10device_ptrIiEESB_iNS9_4plusIvEEiEEDaPvRmT3_T4_T5_mT6_P12ihipStream_tbENKUlT_T0_E_clISt17integral_constantIbLb1EESQ_IbLb0EEEEDaSM_SN_EUlSM_E0_NS1_11comp_targetILNS1_3genE0ELNS1_11target_archE4294967295ELNS1_3gpuE0ELNS1_3repE0EEENS1_30default_config_static_selectorELNS0_4arch9wavefront6targetE1EEEvT1_
	.globl	_ZN7rocprim17ROCPRIM_400000_NS6detail17trampoline_kernelINS0_14default_configENS1_20scan_config_selectorIiEEZZNS1_9scan_implILNS1_25lookback_scan_determinismE0ELb0ELb0ES3_N6thrust23THRUST_200600_302600_NS10device_ptrIiEESB_iNS9_4plusIvEEiEEDaPvRmT3_T4_T5_mT6_P12ihipStream_tbENKUlT_T0_E_clISt17integral_constantIbLb1EESQ_IbLb0EEEEDaSM_SN_EUlSM_E0_NS1_11comp_targetILNS1_3genE0ELNS1_11target_archE4294967295ELNS1_3gpuE0ELNS1_3repE0EEENS1_30default_config_static_selectorELNS0_4arch9wavefront6targetE1EEEvT1_
	.p2align	8
	.type	_ZN7rocprim17ROCPRIM_400000_NS6detail17trampoline_kernelINS0_14default_configENS1_20scan_config_selectorIiEEZZNS1_9scan_implILNS1_25lookback_scan_determinismE0ELb0ELb0ES3_N6thrust23THRUST_200600_302600_NS10device_ptrIiEESB_iNS9_4plusIvEEiEEDaPvRmT3_T4_T5_mT6_P12ihipStream_tbENKUlT_T0_E_clISt17integral_constantIbLb1EESQ_IbLb0EEEEDaSM_SN_EUlSM_E0_NS1_11comp_targetILNS1_3genE0ELNS1_11target_archE4294967295ELNS1_3gpuE0ELNS1_3repE0EEENS1_30default_config_static_selectorELNS0_4arch9wavefront6targetE1EEEvT1_,@function
_ZN7rocprim17ROCPRIM_400000_NS6detail17trampoline_kernelINS0_14default_configENS1_20scan_config_selectorIiEEZZNS1_9scan_implILNS1_25lookback_scan_determinismE0ELb0ELb0ES3_N6thrust23THRUST_200600_302600_NS10device_ptrIiEESB_iNS9_4plusIvEEiEEDaPvRmT3_T4_T5_mT6_P12ihipStream_tbENKUlT_T0_E_clISt17integral_constantIbLb1EESQ_IbLb0EEEEDaSM_SN_EUlSM_E0_NS1_11comp_targetILNS1_3genE0ELNS1_11target_archE4294967295ELNS1_3gpuE0ELNS1_3repE0EEENS1_30default_config_static_selectorELNS0_4arch9wavefront6targetE1EEEvT1_: ; @_ZN7rocprim17ROCPRIM_400000_NS6detail17trampoline_kernelINS0_14default_configENS1_20scan_config_selectorIiEEZZNS1_9scan_implILNS1_25lookback_scan_determinismE0ELb0ELb0ES3_N6thrust23THRUST_200600_302600_NS10device_ptrIiEESB_iNS9_4plusIvEEiEEDaPvRmT3_T4_T5_mT6_P12ihipStream_tbENKUlT_T0_E_clISt17integral_constantIbLb1EESQ_IbLb0EEEEDaSM_SN_EUlSM_E0_NS1_11comp_targetILNS1_3genE0ELNS1_11target_archE4294967295ELNS1_3gpuE0ELNS1_3repE0EEENS1_30default_config_static_selectorELNS0_4arch9wavefront6targetE1EEEvT1_
; %bb.0:
	.section	.rodata,"a",@progbits
	.p2align	6, 0x0
	.amdhsa_kernel _ZN7rocprim17ROCPRIM_400000_NS6detail17trampoline_kernelINS0_14default_configENS1_20scan_config_selectorIiEEZZNS1_9scan_implILNS1_25lookback_scan_determinismE0ELb0ELb0ES3_N6thrust23THRUST_200600_302600_NS10device_ptrIiEESB_iNS9_4plusIvEEiEEDaPvRmT3_T4_T5_mT6_P12ihipStream_tbENKUlT_T0_E_clISt17integral_constantIbLb1EESQ_IbLb0EEEEDaSM_SN_EUlSM_E0_NS1_11comp_targetILNS1_3genE0ELNS1_11target_archE4294967295ELNS1_3gpuE0ELNS1_3repE0EEENS1_30default_config_static_selectorELNS0_4arch9wavefront6targetE1EEEvT1_
		.amdhsa_group_segment_fixed_size 0
		.amdhsa_private_segment_fixed_size 0
		.amdhsa_kernarg_size 32
		.amdhsa_user_sgpr_count 6
		.amdhsa_user_sgpr_private_segment_buffer 1
		.amdhsa_user_sgpr_dispatch_ptr 0
		.amdhsa_user_sgpr_queue_ptr 0
		.amdhsa_user_sgpr_kernarg_segment_ptr 1
		.amdhsa_user_sgpr_dispatch_id 0
		.amdhsa_user_sgpr_flat_scratch_init 0
		.amdhsa_user_sgpr_kernarg_preload_length 0
		.amdhsa_user_sgpr_kernarg_preload_offset 0
		.amdhsa_user_sgpr_private_segment_size 0
		.amdhsa_uses_dynamic_stack 0
		.amdhsa_system_sgpr_private_segment_wavefront_offset 0
		.amdhsa_system_sgpr_workgroup_id_x 1
		.amdhsa_system_sgpr_workgroup_id_y 0
		.amdhsa_system_sgpr_workgroup_id_z 0
		.amdhsa_system_sgpr_workgroup_info 0
		.amdhsa_system_vgpr_workitem_id 0
		.amdhsa_next_free_vgpr 1
		.amdhsa_next_free_sgpr 0
		.amdhsa_accum_offset 4
		.amdhsa_reserve_vcc 0
		.amdhsa_reserve_flat_scratch 0
		.amdhsa_float_round_mode_32 0
		.amdhsa_float_round_mode_16_64 0
		.amdhsa_float_denorm_mode_32 3
		.amdhsa_float_denorm_mode_16_64 3
		.amdhsa_dx10_clamp 1
		.amdhsa_ieee_mode 1
		.amdhsa_fp16_overflow 0
		.amdhsa_tg_split 0
		.amdhsa_exception_fp_ieee_invalid_op 0
		.amdhsa_exception_fp_denorm_src 0
		.amdhsa_exception_fp_ieee_div_zero 0
		.amdhsa_exception_fp_ieee_overflow 0
		.amdhsa_exception_fp_ieee_underflow 0
		.amdhsa_exception_fp_ieee_inexact 0
		.amdhsa_exception_int_div_zero 0
	.end_amdhsa_kernel
	.section	.text._ZN7rocprim17ROCPRIM_400000_NS6detail17trampoline_kernelINS0_14default_configENS1_20scan_config_selectorIiEEZZNS1_9scan_implILNS1_25lookback_scan_determinismE0ELb0ELb0ES3_N6thrust23THRUST_200600_302600_NS10device_ptrIiEESB_iNS9_4plusIvEEiEEDaPvRmT3_T4_T5_mT6_P12ihipStream_tbENKUlT_T0_E_clISt17integral_constantIbLb1EESQ_IbLb0EEEEDaSM_SN_EUlSM_E0_NS1_11comp_targetILNS1_3genE0ELNS1_11target_archE4294967295ELNS1_3gpuE0ELNS1_3repE0EEENS1_30default_config_static_selectorELNS0_4arch9wavefront6targetE1EEEvT1_,"axG",@progbits,_ZN7rocprim17ROCPRIM_400000_NS6detail17trampoline_kernelINS0_14default_configENS1_20scan_config_selectorIiEEZZNS1_9scan_implILNS1_25lookback_scan_determinismE0ELb0ELb0ES3_N6thrust23THRUST_200600_302600_NS10device_ptrIiEESB_iNS9_4plusIvEEiEEDaPvRmT3_T4_T5_mT6_P12ihipStream_tbENKUlT_T0_E_clISt17integral_constantIbLb1EESQ_IbLb0EEEEDaSM_SN_EUlSM_E0_NS1_11comp_targetILNS1_3genE0ELNS1_11target_archE4294967295ELNS1_3gpuE0ELNS1_3repE0EEENS1_30default_config_static_selectorELNS0_4arch9wavefront6targetE1EEEvT1_,comdat
.Lfunc_end6795:
	.size	_ZN7rocprim17ROCPRIM_400000_NS6detail17trampoline_kernelINS0_14default_configENS1_20scan_config_selectorIiEEZZNS1_9scan_implILNS1_25lookback_scan_determinismE0ELb0ELb0ES3_N6thrust23THRUST_200600_302600_NS10device_ptrIiEESB_iNS9_4plusIvEEiEEDaPvRmT3_T4_T5_mT6_P12ihipStream_tbENKUlT_T0_E_clISt17integral_constantIbLb1EESQ_IbLb0EEEEDaSM_SN_EUlSM_E0_NS1_11comp_targetILNS1_3genE0ELNS1_11target_archE4294967295ELNS1_3gpuE0ELNS1_3repE0EEENS1_30default_config_static_selectorELNS0_4arch9wavefront6targetE1EEEvT1_, .Lfunc_end6795-_ZN7rocprim17ROCPRIM_400000_NS6detail17trampoline_kernelINS0_14default_configENS1_20scan_config_selectorIiEEZZNS1_9scan_implILNS1_25lookback_scan_determinismE0ELb0ELb0ES3_N6thrust23THRUST_200600_302600_NS10device_ptrIiEESB_iNS9_4plusIvEEiEEDaPvRmT3_T4_T5_mT6_P12ihipStream_tbENKUlT_T0_E_clISt17integral_constantIbLb1EESQ_IbLb0EEEEDaSM_SN_EUlSM_E0_NS1_11comp_targetILNS1_3genE0ELNS1_11target_archE4294967295ELNS1_3gpuE0ELNS1_3repE0EEENS1_30default_config_static_selectorELNS0_4arch9wavefront6targetE1EEEvT1_
                                        ; -- End function
	.section	.AMDGPU.csdata,"",@progbits
; Kernel info:
; codeLenInByte = 0
; NumSgprs: 4
; NumVgprs: 0
; NumAgprs: 0
; TotalNumVgprs: 0
; ScratchSize: 0
; MemoryBound: 0
; FloatMode: 240
; IeeeMode: 1
; LDSByteSize: 0 bytes/workgroup (compile time only)
; SGPRBlocks: 0
; VGPRBlocks: 0
; NumSGPRsForWavesPerEU: 4
; NumVGPRsForWavesPerEU: 1
; AccumOffset: 4
; Occupancy: 8
; WaveLimiterHint : 0
; COMPUTE_PGM_RSRC2:SCRATCH_EN: 0
; COMPUTE_PGM_RSRC2:USER_SGPR: 6
; COMPUTE_PGM_RSRC2:TRAP_HANDLER: 0
; COMPUTE_PGM_RSRC2:TGID_X_EN: 1
; COMPUTE_PGM_RSRC2:TGID_Y_EN: 0
; COMPUTE_PGM_RSRC2:TGID_Z_EN: 0
; COMPUTE_PGM_RSRC2:TIDIG_COMP_CNT: 0
; COMPUTE_PGM_RSRC3_GFX90A:ACCUM_OFFSET: 0
; COMPUTE_PGM_RSRC3_GFX90A:TG_SPLIT: 0
	.section	.text._ZN7rocprim17ROCPRIM_400000_NS6detail17trampoline_kernelINS0_14default_configENS1_20scan_config_selectorIiEEZZNS1_9scan_implILNS1_25lookback_scan_determinismE0ELb0ELb0ES3_N6thrust23THRUST_200600_302600_NS10device_ptrIiEESB_iNS9_4plusIvEEiEEDaPvRmT3_T4_T5_mT6_P12ihipStream_tbENKUlT_T0_E_clISt17integral_constantIbLb1EESQ_IbLb0EEEEDaSM_SN_EUlSM_E0_NS1_11comp_targetILNS1_3genE5ELNS1_11target_archE942ELNS1_3gpuE9ELNS1_3repE0EEENS1_30default_config_static_selectorELNS0_4arch9wavefront6targetE1EEEvT1_,"axG",@progbits,_ZN7rocprim17ROCPRIM_400000_NS6detail17trampoline_kernelINS0_14default_configENS1_20scan_config_selectorIiEEZZNS1_9scan_implILNS1_25lookback_scan_determinismE0ELb0ELb0ES3_N6thrust23THRUST_200600_302600_NS10device_ptrIiEESB_iNS9_4plusIvEEiEEDaPvRmT3_T4_T5_mT6_P12ihipStream_tbENKUlT_T0_E_clISt17integral_constantIbLb1EESQ_IbLb0EEEEDaSM_SN_EUlSM_E0_NS1_11comp_targetILNS1_3genE5ELNS1_11target_archE942ELNS1_3gpuE9ELNS1_3repE0EEENS1_30default_config_static_selectorELNS0_4arch9wavefront6targetE1EEEvT1_,comdat
	.protected	_ZN7rocprim17ROCPRIM_400000_NS6detail17trampoline_kernelINS0_14default_configENS1_20scan_config_selectorIiEEZZNS1_9scan_implILNS1_25lookback_scan_determinismE0ELb0ELb0ES3_N6thrust23THRUST_200600_302600_NS10device_ptrIiEESB_iNS9_4plusIvEEiEEDaPvRmT3_T4_T5_mT6_P12ihipStream_tbENKUlT_T0_E_clISt17integral_constantIbLb1EESQ_IbLb0EEEEDaSM_SN_EUlSM_E0_NS1_11comp_targetILNS1_3genE5ELNS1_11target_archE942ELNS1_3gpuE9ELNS1_3repE0EEENS1_30default_config_static_selectorELNS0_4arch9wavefront6targetE1EEEvT1_ ; -- Begin function _ZN7rocprim17ROCPRIM_400000_NS6detail17trampoline_kernelINS0_14default_configENS1_20scan_config_selectorIiEEZZNS1_9scan_implILNS1_25lookback_scan_determinismE0ELb0ELb0ES3_N6thrust23THRUST_200600_302600_NS10device_ptrIiEESB_iNS9_4plusIvEEiEEDaPvRmT3_T4_T5_mT6_P12ihipStream_tbENKUlT_T0_E_clISt17integral_constantIbLb1EESQ_IbLb0EEEEDaSM_SN_EUlSM_E0_NS1_11comp_targetILNS1_3genE5ELNS1_11target_archE942ELNS1_3gpuE9ELNS1_3repE0EEENS1_30default_config_static_selectorELNS0_4arch9wavefront6targetE1EEEvT1_
	.globl	_ZN7rocprim17ROCPRIM_400000_NS6detail17trampoline_kernelINS0_14default_configENS1_20scan_config_selectorIiEEZZNS1_9scan_implILNS1_25lookback_scan_determinismE0ELb0ELb0ES3_N6thrust23THRUST_200600_302600_NS10device_ptrIiEESB_iNS9_4plusIvEEiEEDaPvRmT3_T4_T5_mT6_P12ihipStream_tbENKUlT_T0_E_clISt17integral_constantIbLb1EESQ_IbLb0EEEEDaSM_SN_EUlSM_E0_NS1_11comp_targetILNS1_3genE5ELNS1_11target_archE942ELNS1_3gpuE9ELNS1_3repE0EEENS1_30default_config_static_selectorELNS0_4arch9wavefront6targetE1EEEvT1_
	.p2align	8
	.type	_ZN7rocprim17ROCPRIM_400000_NS6detail17trampoline_kernelINS0_14default_configENS1_20scan_config_selectorIiEEZZNS1_9scan_implILNS1_25lookback_scan_determinismE0ELb0ELb0ES3_N6thrust23THRUST_200600_302600_NS10device_ptrIiEESB_iNS9_4plusIvEEiEEDaPvRmT3_T4_T5_mT6_P12ihipStream_tbENKUlT_T0_E_clISt17integral_constantIbLb1EESQ_IbLb0EEEEDaSM_SN_EUlSM_E0_NS1_11comp_targetILNS1_3genE5ELNS1_11target_archE942ELNS1_3gpuE9ELNS1_3repE0EEENS1_30default_config_static_selectorELNS0_4arch9wavefront6targetE1EEEvT1_,@function
_ZN7rocprim17ROCPRIM_400000_NS6detail17trampoline_kernelINS0_14default_configENS1_20scan_config_selectorIiEEZZNS1_9scan_implILNS1_25lookback_scan_determinismE0ELb0ELb0ES3_N6thrust23THRUST_200600_302600_NS10device_ptrIiEESB_iNS9_4plusIvEEiEEDaPvRmT3_T4_T5_mT6_P12ihipStream_tbENKUlT_T0_E_clISt17integral_constantIbLb1EESQ_IbLb0EEEEDaSM_SN_EUlSM_E0_NS1_11comp_targetILNS1_3genE5ELNS1_11target_archE942ELNS1_3gpuE9ELNS1_3repE0EEENS1_30default_config_static_selectorELNS0_4arch9wavefront6targetE1EEEvT1_: ; @_ZN7rocprim17ROCPRIM_400000_NS6detail17trampoline_kernelINS0_14default_configENS1_20scan_config_selectorIiEEZZNS1_9scan_implILNS1_25lookback_scan_determinismE0ELb0ELb0ES3_N6thrust23THRUST_200600_302600_NS10device_ptrIiEESB_iNS9_4plusIvEEiEEDaPvRmT3_T4_T5_mT6_P12ihipStream_tbENKUlT_T0_E_clISt17integral_constantIbLb1EESQ_IbLb0EEEEDaSM_SN_EUlSM_E0_NS1_11comp_targetILNS1_3genE5ELNS1_11target_archE942ELNS1_3gpuE9ELNS1_3repE0EEENS1_30default_config_static_selectorELNS0_4arch9wavefront6targetE1EEEvT1_
; %bb.0:
	.section	.rodata,"a",@progbits
	.p2align	6, 0x0
	.amdhsa_kernel _ZN7rocprim17ROCPRIM_400000_NS6detail17trampoline_kernelINS0_14default_configENS1_20scan_config_selectorIiEEZZNS1_9scan_implILNS1_25lookback_scan_determinismE0ELb0ELb0ES3_N6thrust23THRUST_200600_302600_NS10device_ptrIiEESB_iNS9_4plusIvEEiEEDaPvRmT3_T4_T5_mT6_P12ihipStream_tbENKUlT_T0_E_clISt17integral_constantIbLb1EESQ_IbLb0EEEEDaSM_SN_EUlSM_E0_NS1_11comp_targetILNS1_3genE5ELNS1_11target_archE942ELNS1_3gpuE9ELNS1_3repE0EEENS1_30default_config_static_selectorELNS0_4arch9wavefront6targetE1EEEvT1_
		.amdhsa_group_segment_fixed_size 0
		.amdhsa_private_segment_fixed_size 0
		.amdhsa_kernarg_size 32
		.amdhsa_user_sgpr_count 6
		.amdhsa_user_sgpr_private_segment_buffer 1
		.amdhsa_user_sgpr_dispatch_ptr 0
		.amdhsa_user_sgpr_queue_ptr 0
		.amdhsa_user_sgpr_kernarg_segment_ptr 1
		.amdhsa_user_sgpr_dispatch_id 0
		.amdhsa_user_sgpr_flat_scratch_init 0
		.amdhsa_user_sgpr_kernarg_preload_length 0
		.amdhsa_user_sgpr_kernarg_preload_offset 0
		.amdhsa_user_sgpr_private_segment_size 0
		.amdhsa_uses_dynamic_stack 0
		.amdhsa_system_sgpr_private_segment_wavefront_offset 0
		.amdhsa_system_sgpr_workgroup_id_x 1
		.amdhsa_system_sgpr_workgroup_id_y 0
		.amdhsa_system_sgpr_workgroup_id_z 0
		.amdhsa_system_sgpr_workgroup_info 0
		.amdhsa_system_vgpr_workitem_id 0
		.amdhsa_next_free_vgpr 1
		.amdhsa_next_free_sgpr 0
		.amdhsa_accum_offset 4
		.amdhsa_reserve_vcc 0
		.amdhsa_reserve_flat_scratch 0
		.amdhsa_float_round_mode_32 0
		.amdhsa_float_round_mode_16_64 0
		.amdhsa_float_denorm_mode_32 3
		.amdhsa_float_denorm_mode_16_64 3
		.amdhsa_dx10_clamp 1
		.amdhsa_ieee_mode 1
		.amdhsa_fp16_overflow 0
		.amdhsa_tg_split 0
		.amdhsa_exception_fp_ieee_invalid_op 0
		.amdhsa_exception_fp_denorm_src 0
		.amdhsa_exception_fp_ieee_div_zero 0
		.amdhsa_exception_fp_ieee_overflow 0
		.amdhsa_exception_fp_ieee_underflow 0
		.amdhsa_exception_fp_ieee_inexact 0
		.amdhsa_exception_int_div_zero 0
	.end_amdhsa_kernel
	.section	.text._ZN7rocprim17ROCPRIM_400000_NS6detail17trampoline_kernelINS0_14default_configENS1_20scan_config_selectorIiEEZZNS1_9scan_implILNS1_25lookback_scan_determinismE0ELb0ELb0ES3_N6thrust23THRUST_200600_302600_NS10device_ptrIiEESB_iNS9_4plusIvEEiEEDaPvRmT3_T4_T5_mT6_P12ihipStream_tbENKUlT_T0_E_clISt17integral_constantIbLb1EESQ_IbLb0EEEEDaSM_SN_EUlSM_E0_NS1_11comp_targetILNS1_3genE5ELNS1_11target_archE942ELNS1_3gpuE9ELNS1_3repE0EEENS1_30default_config_static_selectorELNS0_4arch9wavefront6targetE1EEEvT1_,"axG",@progbits,_ZN7rocprim17ROCPRIM_400000_NS6detail17trampoline_kernelINS0_14default_configENS1_20scan_config_selectorIiEEZZNS1_9scan_implILNS1_25lookback_scan_determinismE0ELb0ELb0ES3_N6thrust23THRUST_200600_302600_NS10device_ptrIiEESB_iNS9_4plusIvEEiEEDaPvRmT3_T4_T5_mT6_P12ihipStream_tbENKUlT_T0_E_clISt17integral_constantIbLb1EESQ_IbLb0EEEEDaSM_SN_EUlSM_E0_NS1_11comp_targetILNS1_3genE5ELNS1_11target_archE942ELNS1_3gpuE9ELNS1_3repE0EEENS1_30default_config_static_selectorELNS0_4arch9wavefront6targetE1EEEvT1_,comdat
.Lfunc_end6796:
	.size	_ZN7rocprim17ROCPRIM_400000_NS6detail17trampoline_kernelINS0_14default_configENS1_20scan_config_selectorIiEEZZNS1_9scan_implILNS1_25lookback_scan_determinismE0ELb0ELb0ES3_N6thrust23THRUST_200600_302600_NS10device_ptrIiEESB_iNS9_4plusIvEEiEEDaPvRmT3_T4_T5_mT6_P12ihipStream_tbENKUlT_T0_E_clISt17integral_constantIbLb1EESQ_IbLb0EEEEDaSM_SN_EUlSM_E0_NS1_11comp_targetILNS1_3genE5ELNS1_11target_archE942ELNS1_3gpuE9ELNS1_3repE0EEENS1_30default_config_static_selectorELNS0_4arch9wavefront6targetE1EEEvT1_, .Lfunc_end6796-_ZN7rocprim17ROCPRIM_400000_NS6detail17trampoline_kernelINS0_14default_configENS1_20scan_config_selectorIiEEZZNS1_9scan_implILNS1_25lookback_scan_determinismE0ELb0ELb0ES3_N6thrust23THRUST_200600_302600_NS10device_ptrIiEESB_iNS9_4plusIvEEiEEDaPvRmT3_T4_T5_mT6_P12ihipStream_tbENKUlT_T0_E_clISt17integral_constantIbLb1EESQ_IbLb0EEEEDaSM_SN_EUlSM_E0_NS1_11comp_targetILNS1_3genE5ELNS1_11target_archE942ELNS1_3gpuE9ELNS1_3repE0EEENS1_30default_config_static_selectorELNS0_4arch9wavefront6targetE1EEEvT1_
                                        ; -- End function
	.section	.AMDGPU.csdata,"",@progbits
; Kernel info:
; codeLenInByte = 0
; NumSgprs: 4
; NumVgprs: 0
; NumAgprs: 0
; TotalNumVgprs: 0
; ScratchSize: 0
; MemoryBound: 0
; FloatMode: 240
; IeeeMode: 1
; LDSByteSize: 0 bytes/workgroup (compile time only)
; SGPRBlocks: 0
; VGPRBlocks: 0
; NumSGPRsForWavesPerEU: 4
; NumVGPRsForWavesPerEU: 1
; AccumOffset: 4
; Occupancy: 8
; WaveLimiterHint : 0
; COMPUTE_PGM_RSRC2:SCRATCH_EN: 0
; COMPUTE_PGM_RSRC2:USER_SGPR: 6
; COMPUTE_PGM_RSRC2:TRAP_HANDLER: 0
; COMPUTE_PGM_RSRC2:TGID_X_EN: 1
; COMPUTE_PGM_RSRC2:TGID_Y_EN: 0
; COMPUTE_PGM_RSRC2:TGID_Z_EN: 0
; COMPUTE_PGM_RSRC2:TIDIG_COMP_CNT: 0
; COMPUTE_PGM_RSRC3_GFX90A:ACCUM_OFFSET: 0
; COMPUTE_PGM_RSRC3_GFX90A:TG_SPLIT: 0
	.section	.text._ZN7rocprim17ROCPRIM_400000_NS6detail17trampoline_kernelINS0_14default_configENS1_20scan_config_selectorIiEEZZNS1_9scan_implILNS1_25lookback_scan_determinismE0ELb0ELb0ES3_N6thrust23THRUST_200600_302600_NS10device_ptrIiEESB_iNS9_4plusIvEEiEEDaPvRmT3_T4_T5_mT6_P12ihipStream_tbENKUlT_T0_E_clISt17integral_constantIbLb1EESQ_IbLb0EEEEDaSM_SN_EUlSM_E0_NS1_11comp_targetILNS1_3genE4ELNS1_11target_archE910ELNS1_3gpuE8ELNS1_3repE0EEENS1_30default_config_static_selectorELNS0_4arch9wavefront6targetE1EEEvT1_,"axG",@progbits,_ZN7rocprim17ROCPRIM_400000_NS6detail17trampoline_kernelINS0_14default_configENS1_20scan_config_selectorIiEEZZNS1_9scan_implILNS1_25lookback_scan_determinismE0ELb0ELb0ES3_N6thrust23THRUST_200600_302600_NS10device_ptrIiEESB_iNS9_4plusIvEEiEEDaPvRmT3_T4_T5_mT6_P12ihipStream_tbENKUlT_T0_E_clISt17integral_constantIbLb1EESQ_IbLb0EEEEDaSM_SN_EUlSM_E0_NS1_11comp_targetILNS1_3genE4ELNS1_11target_archE910ELNS1_3gpuE8ELNS1_3repE0EEENS1_30default_config_static_selectorELNS0_4arch9wavefront6targetE1EEEvT1_,comdat
	.protected	_ZN7rocprim17ROCPRIM_400000_NS6detail17trampoline_kernelINS0_14default_configENS1_20scan_config_selectorIiEEZZNS1_9scan_implILNS1_25lookback_scan_determinismE0ELb0ELb0ES3_N6thrust23THRUST_200600_302600_NS10device_ptrIiEESB_iNS9_4plusIvEEiEEDaPvRmT3_T4_T5_mT6_P12ihipStream_tbENKUlT_T0_E_clISt17integral_constantIbLb1EESQ_IbLb0EEEEDaSM_SN_EUlSM_E0_NS1_11comp_targetILNS1_3genE4ELNS1_11target_archE910ELNS1_3gpuE8ELNS1_3repE0EEENS1_30default_config_static_selectorELNS0_4arch9wavefront6targetE1EEEvT1_ ; -- Begin function _ZN7rocprim17ROCPRIM_400000_NS6detail17trampoline_kernelINS0_14default_configENS1_20scan_config_selectorIiEEZZNS1_9scan_implILNS1_25lookback_scan_determinismE0ELb0ELb0ES3_N6thrust23THRUST_200600_302600_NS10device_ptrIiEESB_iNS9_4plusIvEEiEEDaPvRmT3_T4_T5_mT6_P12ihipStream_tbENKUlT_T0_E_clISt17integral_constantIbLb1EESQ_IbLb0EEEEDaSM_SN_EUlSM_E0_NS1_11comp_targetILNS1_3genE4ELNS1_11target_archE910ELNS1_3gpuE8ELNS1_3repE0EEENS1_30default_config_static_selectorELNS0_4arch9wavefront6targetE1EEEvT1_
	.globl	_ZN7rocprim17ROCPRIM_400000_NS6detail17trampoline_kernelINS0_14default_configENS1_20scan_config_selectorIiEEZZNS1_9scan_implILNS1_25lookback_scan_determinismE0ELb0ELb0ES3_N6thrust23THRUST_200600_302600_NS10device_ptrIiEESB_iNS9_4plusIvEEiEEDaPvRmT3_T4_T5_mT6_P12ihipStream_tbENKUlT_T0_E_clISt17integral_constantIbLb1EESQ_IbLb0EEEEDaSM_SN_EUlSM_E0_NS1_11comp_targetILNS1_3genE4ELNS1_11target_archE910ELNS1_3gpuE8ELNS1_3repE0EEENS1_30default_config_static_selectorELNS0_4arch9wavefront6targetE1EEEvT1_
	.p2align	8
	.type	_ZN7rocprim17ROCPRIM_400000_NS6detail17trampoline_kernelINS0_14default_configENS1_20scan_config_selectorIiEEZZNS1_9scan_implILNS1_25lookback_scan_determinismE0ELb0ELb0ES3_N6thrust23THRUST_200600_302600_NS10device_ptrIiEESB_iNS9_4plusIvEEiEEDaPvRmT3_T4_T5_mT6_P12ihipStream_tbENKUlT_T0_E_clISt17integral_constantIbLb1EESQ_IbLb0EEEEDaSM_SN_EUlSM_E0_NS1_11comp_targetILNS1_3genE4ELNS1_11target_archE910ELNS1_3gpuE8ELNS1_3repE0EEENS1_30default_config_static_selectorELNS0_4arch9wavefront6targetE1EEEvT1_,@function
_ZN7rocprim17ROCPRIM_400000_NS6detail17trampoline_kernelINS0_14default_configENS1_20scan_config_selectorIiEEZZNS1_9scan_implILNS1_25lookback_scan_determinismE0ELb0ELb0ES3_N6thrust23THRUST_200600_302600_NS10device_ptrIiEESB_iNS9_4plusIvEEiEEDaPvRmT3_T4_T5_mT6_P12ihipStream_tbENKUlT_T0_E_clISt17integral_constantIbLb1EESQ_IbLb0EEEEDaSM_SN_EUlSM_E0_NS1_11comp_targetILNS1_3genE4ELNS1_11target_archE910ELNS1_3gpuE8ELNS1_3repE0EEENS1_30default_config_static_selectorELNS0_4arch9wavefront6targetE1EEEvT1_: ; @_ZN7rocprim17ROCPRIM_400000_NS6detail17trampoline_kernelINS0_14default_configENS1_20scan_config_selectorIiEEZZNS1_9scan_implILNS1_25lookback_scan_determinismE0ELb0ELb0ES3_N6thrust23THRUST_200600_302600_NS10device_ptrIiEESB_iNS9_4plusIvEEiEEDaPvRmT3_T4_T5_mT6_P12ihipStream_tbENKUlT_T0_E_clISt17integral_constantIbLb1EESQ_IbLb0EEEEDaSM_SN_EUlSM_E0_NS1_11comp_targetILNS1_3genE4ELNS1_11target_archE910ELNS1_3gpuE8ELNS1_3repE0EEENS1_30default_config_static_selectorELNS0_4arch9wavefront6targetE1EEEvT1_
; %bb.0:
	s_load_dwordx4 s[20:23], s[4:5], 0x0
	v_lshlrev_b32_e32 v20, 2, v0
	s_waitcnt lgkmcnt(0)
	s_load_dword s23, s[20:21], 0x0
	v_cmp_gt_u32_e32 vcc, s22, v0
	s_waitcnt lgkmcnt(0)
	v_mov_b32_e32 v1, s23
	s_and_saveexec_b64 s[0:1], vcc
	s_cbranch_execz .LBB6797_2
; %bb.1:
	global_load_dword v1, v20, s[20:21]
.LBB6797_2:
	s_or_b64 exec, exec, s[0:1]
	v_or_b32_e32 v2, 0x80, v0
	v_cmp_gt_u32_e64 s[0:1], s22, v2
	v_mov_b32_e32 v2, s23
	s_and_saveexec_b64 s[2:3], s[0:1]
	s_cbranch_execz .LBB6797_4
; %bb.3:
	global_load_dword v2, v20, s[20:21] offset:512
.LBB6797_4:
	s_or_b64 exec, exec, s[2:3]
	v_or_b32_e32 v3, 0x100, v0
	v_cmp_gt_u32_e64 s[2:3], s22, v3
	v_mov_b32_e32 v3, s23
	s_and_saveexec_b64 s[6:7], s[2:3]
	s_cbranch_execz .LBB6797_6
; %bb.5:
	global_load_dword v3, v20, s[20:21] offset:1024
.LBB6797_6:
	;; [unrolled: 9-line block ×7, first 2 shown]
	s_or_b64 exec, exec, s[14:15]
	v_or_b32_e32 v10, 0x400, v0
	v_cmp_gt_u32_e64 s[14:15], s22, v10
	v_mov_b32_e32 v9, s23
	s_and_saveexec_b64 s[16:17], s[14:15]
	s_cbranch_execz .LBB6797_18
; %bb.17:
	v_lshlrev_b32_e32 v9, 2, v10
	global_load_dword v9, v9, s[20:21]
.LBB6797_18:
	s_or_b64 exec, exec, s[16:17]
	v_or_b32_e32 v11, 0x480, v0
	v_cmp_gt_u32_e64 s[16:17], s22, v11
	v_mov_b32_e32 v10, s23
	s_and_saveexec_b64 s[22:23], s[16:17]
	s_cbranch_execz .LBB6797_20
; %bb.19:
	v_lshlrev_b32_e32 v10, 2, v11
	global_load_dword v10, v10, s[20:21]
.LBB6797_20:
	s_or_b64 exec, exec, s[22:23]
	s_waitcnt vmcnt(0)
	ds_write2st64_b32 v20, v1, v2 offset1:2
	ds_write2st64_b32 v20, v3, v4 offset0:4 offset1:6
	ds_write2st64_b32 v20, v5, v6 offset0:8 offset1:10
	;; [unrolled: 1-line block ×4, first 2 shown]
	v_mad_u32_u24 v1, v0, 36, v20
	s_waitcnt lgkmcnt(0)
	s_barrier
	ds_read2_b64 v[6:9], v1 offset1:1
	ds_read2_b64 v[2:5], v1 offset0:2 offset1:3
	ds_read_b64 v[18:19], v1 offset:32
	v_lshrrev_b32_e32 v21, 3, v0
	v_and_b32_e32 v21, 12, v21
	s_waitcnt lgkmcnt(2)
	v_add_u32_e32 v1, v7, v6
	v_add_u32_e32 v14, v1, v8
	;; [unrolled: 1-line block ×3, first 2 shown]
	s_waitcnt lgkmcnt(1)
	v_add_u32_e32 v10, v15, v2
	v_add_u32_e32 v11, v10, v3
	;; [unrolled: 1-line block ×4, first 2 shown]
	s_waitcnt lgkmcnt(0)
	v_add_u32_e32 v16, v13, v18
	v_add_u32_e32 v17, v16, v19
	;; [unrolled: 1-line block ×3, first 2 shown]
	v_cmp_gt_u32_e64 s[20:21], 64, v0
	s_barrier
	ds_write_b32 v21, v17
	s_waitcnt lgkmcnt(0)
	s_barrier
	s_and_saveexec_b64 s[22:23], s[20:21]
	s_cbranch_execz .LBB6797_22
; %bb.21:
	v_lshlrev_b32_e32 v21, 1, v0
	v_lshrrev_b32_e32 v22, 4, v0
	v_add_lshl_u32 v21, v22, v21, 2
	ds_read2_b32 v[22:23], v21 offset1:1
	v_mbcnt_lo_u32_b32 v24, -1, 0
	v_mbcnt_hi_u32_b32 v24, -1, v24
	v_and_b32_e32 v25, 15, v24
	v_cmp_ne_u32_e64 s[20:21], 0, v25
	s_waitcnt lgkmcnt(0)
	v_add_u32_e32 v23, v23, v22
	; wave barrier
	s_nop 1
	v_mov_b32_dpp v26, v23 row_shr:1 row_mask:0xf bank_mask:0xf
	v_cndmask_b32_e64 v26, 0, v26, s[20:21]
	v_add_u32_e32 v23, v26, v23
	v_cmp_lt_u32_e64 s[20:21], 1, v25
	s_nop 0
	v_mov_b32_dpp v26, v23 row_shr:2 row_mask:0xf bank_mask:0xf
	v_cndmask_b32_e64 v26, 0, v26, s[20:21]
	v_add_u32_e32 v23, v23, v26
	v_cmp_lt_u32_e64 s[20:21], 3, v25
	;; [unrolled: 5-line block ×3, first 2 shown]
	s_nop 0
	v_mov_b32_dpp v26, v23 row_shr:8 row_mask:0xf bank_mask:0xf
	v_cndmask_b32_e64 v25, 0, v26, s[20:21]
	v_add_u32_e32 v23, v23, v25
	v_bfe_i32 v26, v24, 4, 1
	v_cmp_lt_u32_e64 s[20:21], 31, v24
	v_mov_b32_dpp v25, v23 row_bcast:15 row_mask:0xf bank_mask:0xf
	v_and_b32_e32 v25, v26, v25
	v_add_u32_e32 v23, v23, v25
	v_and_b32_e32 v26, 64, v24
	s_nop 0
	v_mov_b32_dpp v25, v23 row_bcast:31 row_mask:0xf bank_mask:0xf
	v_cndmask_b32_e64 v25, 0, v25, s[20:21]
	v_add_u32_e32 v23, v23, v25
	v_add_u32_e32 v25, -1, v24
	v_cmp_lt_i32_e64 s[20:21], v25, v26
	v_cndmask_b32_e64 v24, v25, v24, s[20:21]
	v_lshlrev_b32_e32 v24, 2, v24
	ds_bpermute_b32 v23, v24, v23
	v_cmp_eq_u32_e64 s[20:21], 0, v0
	s_waitcnt lgkmcnt(0)
	v_add_u32_e32 v22, v23, v22
	v_cndmask_b32_e64 v22, v22, v17, s[20:21]
	ds_write_b32 v21, v22
	; wave barrier
	ds_read_b32 v23, v21 offset:4
	s_waitcnt lgkmcnt(0)
	v_add_u32_e32 v22, v23, v22
	ds_write_b32 v21, v22 offset:4
.LBB6797_22:
	s_or_b64 exec, exec, s[22:23]
	s_load_dwordx2 s[20:21], s[4:5], 0x18
	v_cmp_ne_u32_e64 s[4:5], 0, v0
	v_mov_b32_e32 v22, v17
	s_waitcnt lgkmcnt(0)
	s_barrier
	s_and_saveexec_b64 s[22:23], s[4:5]
	s_cbranch_execz .LBB6797_24
; %bb.23:
	v_add_u32_e32 v21, -1, v0
	v_lshrrev_b32_e32 v22, 5, v21
	v_add_lshl_u32 v21, v22, v21, 2
	ds_read_b32 v22, v21
.LBB6797_24:
	s_or_b64 exec, exec, s[22:23]
	v_mul_u32_u24_e32 v21, 36, v0
	v_mov_b32_e32 v0, v6
	s_and_saveexec_b64 s[22:23], s[4:5]
	s_cbranch_execz .LBB6797_26
; %bb.25:
	s_waitcnt lgkmcnt(0)
	v_add_u32_e32 v0, v22, v6
	v_add_u32_e32 v1, v0, v7
	;; [unrolled: 1-line block ×10, first 2 shown]
	;;#ASMSTART
	;;#ASMEND
.LBB6797_26:
	s_or_b64 exec, exec, s[22:23]
	v_add_u32_e32 v2, v20, v21
	s_waitcnt lgkmcnt(0)
	s_barrier
	ds_write2_b64 v2, v[0:1], v[14:15] offset1:1
	ds_write2_b64 v2, v[10:11], v[12:13] offset0:2 offset1:3
	ds_write_b64 v2, v[16:17] offset:32
	s_waitcnt lgkmcnt(0)
	s_barrier
	ds_read2st64_b32 v[8:9], v20 offset0:2 offset1:4
	ds_read2st64_b32 v[6:7], v20 offset0:6 offset1:8
	;; [unrolled: 1-line block ×4, first 2 shown]
	ds_read_b32 v10, v20 offset:4608
	v_mov_b32_e32 v1, s21
	v_add_co_u32_e64 v0, s[4:5], s20, v20
	v_addc_co_u32_e64 v1, s[4:5], 0, v1, s[4:5]
	s_and_saveexec_b64 s[4:5], vcc
	s_cbranch_execnz .LBB6797_37
; %bb.27:
	s_or_b64 exec, exec, s[4:5]
	s_and_saveexec_b64 s[4:5], s[0:1]
	s_cbranch_execnz .LBB6797_38
.LBB6797_28:
	s_or_b64 exec, exec, s[4:5]
	s_and_saveexec_b64 s[0:1], s[2:3]
	s_cbranch_execnz .LBB6797_39
.LBB6797_29:
	s_or_b64 exec, exec, s[0:1]
	s_and_saveexec_b64 s[0:1], s[18:19]
	s_cbranch_execnz .LBB6797_40
.LBB6797_30:
	s_or_b64 exec, exec, s[0:1]
	s_and_saveexec_b64 s[0:1], s[6:7]
	s_cbranch_execnz .LBB6797_41
.LBB6797_31:
	s_or_b64 exec, exec, s[0:1]
	s_and_saveexec_b64 s[0:1], s[8:9]
	s_cbranch_execnz .LBB6797_42
.LBB6797_32:
	s_or_b64 exec, exec, s[0:1]
	s_and_saveexec_b64 s[0:1], s[10:11]
	s_cbranch_execnz .LBB6797_43
.LBB6797_33:
	s_or_b64 exec, exec, s[0:1]
	s_and_saveexec_b64 s[0:1], s[12:13]
	s_cbranch_execnz .LBB6797_44
.LBB6797_34:
	s_or_b64 exec, exec, s[0:1]
	s_and_saveexec_b64 s[0:1], s[14:15]
	s_cbranch_execnz .LBB6797_45
.LBB6797_35:
	s_or_b64 exec, exec, s[0:1]
	s_and_saveexec_b64 s[0:1], s[16:17]
	s_cbranch_execnz .LBB6797_46
.LBB6797_36:
	s_endpgm
.LBB6797_37:
	ds_read_b32 v11, v20
	s_waitcnt lgkmcnt(0)
	global_store_dword v[0:1], v11, off
	s_or_b64 exec, exec, s[4:5]
	s_and_saveexec_b64 s[4:5], s[0:1]
	s_cbranch_execz .LBB6797_28
.LBB6797_38:
	s_waitcnt lgkmcnt(4)
	global_store_dword v[0:1], v8, off offset:512
	s_or_b64 exec, exec, s[4:5]
	s_and_saveexec_b64 s[0:1], s[2:3]
	s_cbranch_execz .LBB6797_29
.LBB6797_39:
	s_waitcnt lgkmcnt(4)
	global_store_dword v[0:1], v9, off offset:1024
	s_or_b64 exec, exec, s[0:1]
	s_and_saveexec_b64 s[0:1], s[18:19]
	s_cbranch_execz .LBB6797_30
.LBB6797_40:
	s_waitcnt lgkmcnt(3)
	global_store_dword v[0:1], v6, off offset:1536
	s_or_b64 exec, exec, s[0:1]
	s_and_saveexec_b64 s[0:1], s[6:7]
	s_cbranch_execz .LBB6797_31
.LBB6797_41:
	s_waitcnt lgkmcnt(3)
	global_store_dword v[0:1], v7, off offset:2048
	s_or_b64 exec, exec, s[0:1]
	s_and_saveexec_b64 s[0:1], s[8:9]
	s_cbranch_execz .LBB6797_32
.LBB6797_42:
	s_waitcnt lgkmcnt(2)
	global_store_dword v[0:1], v4, off offset:2560
	s_or_b64 exec, exec, s[0:1]
	s_and_saveexec_b64 s[0:1], s[10:11]
	s_cbranch_execz .LBB6797_33
.LBB6797_43:
	s_waitcnt lgkmcnt(2)
	global_store_dword v[0:1], v5, off offset:3072
	s_or_b64 exec, exec, s[0:1]
	s_and_saveexec_b64 s[0:1], s[12:13]
	s_cbranch_execz .LBB6797_34
.LBB6797_44:
	s_waitcnt lgkmcnt(1)
	global_store_dword v[0:1], v2, off offset:3584
	s_or_b64 exec, exec, s[0:1]
	s_and_saveexec_b64 s[0:1], s[14:15]
	s_cbranch_execz .LBB6797_35
.LBB6797_45:
	s_waitcnt lgkmcnt(2)
	v_add_co_u32_e32 v4, vcc, 0x1000, v0
	v_addc_co_u32_e32 v5, vcc, 0, v1, vcc
	s_waitcnt lgkmcnt(1)
	global_store_dword v[4:5], v3, off
	s_or_b64 exec, exec, s[0:1]
	s_and_saveexec_b64 s[0:1], s[16:17]
	s_cbranch_execz .LBB6797_36
.LBB6797_46:
	v_add_co_u32_e32 v0, vcc, 0x1000, v0
	v_addc_co_u32_e32 v1, vcc, 0, v1, vcc
	s_waitcnt lgkmcnt(0)
	global_store_dword v[0:1], v10, off offset:512
	s_endpgm
	.section	.rodata,"a",@progbits
	.p2align	6, 0x0
	.amdhsa_kernel _ZN7rocprim17ROCPRIM_400000_NS6detail17trampoline_kernelINS0_14default_configENS1_20scan_config_selectorIiEEZZNS1_9scan_implILNS1_25lookback_scan_determinismE0ELb0ELb0ES3_N6thrust23THRUST_200600_302600_NS10device_ptrIiEESB_iNS9_4plusIvEEiEEDaPvRmT3_T4_T5_mT6_P12ihipStream_tbENKUlT_T0_E_clISt17integral_constantIbLb1EESQ_IbLb0EEEEDaSM_SN_EUlSM_E0_NS1_11comp_targetILNS1_3genE4ELNS1_11target_archE910ELNS1_3gpuE8ELNS1_3repE0EEENS1_30default_config_static_selectorELNS0_4arch9wavefront6targetE1EEEvT1_
		.amdhsa_group_segment_fixed_size 5120
		.amdhsa_private_segment_fixed_size 0
		.amdhsa_kernarg_size 32
		.amdhsa_user_sgpr_count 6
		.amdhsa_user_sgpr_private_segment_buffer 1
		.amdhsa_user_sgpr_dispatch_ptr 0
		.amdhsa_user_sgpr_queue_ptr 0
		.amdhsa_user_sgpr_kernarg_segment_ptr 1
		.amdhsa_user_sgpr_dispatch_id 0
		.amdhsa_user_sgpr_flat_scratch_init 0
		.amdhsa_user_sgpr_kernarg_preload_length 0
		.amdhsa_user_sgpr_kernarg_preload_offset 0
		.amdhsa_user_sgpr_private_segment_size 0
		.amdhsa_uses_dynamic_stack 0
		.amdhsa_system_sgpr_private_segment_wavefront_offset 0
		.amdhsa_system_sgpr_workgroup_id_x 1
		.amdhsa_system_sgpr_workgroup_id_y 0
		.amdhsa_system_sgpr_workgroup_id_z 0
		.amdhsa_system_sgpr_workgroup_info 0
		.amdhsa_system_vgpr_workitem_id 0
		.amdhsa_next_free_vgpr 27
		.amdhsa_next_free_sgpr 24
		.amdhsa_accum_offset 28
		.amdhsa_reserve_vcc 1
		.amdhsa_reserve_flat_scratch 0
		.amdhsa_float_round_mode_32 0
		.amdhsa_float_round_mode_16_64 0
		.amdhsa_float_denorm_mode_32 3
		.amdhsa_float_denorm_mode_16_64 3
		.amdhsa_dx10_clamp 1
		.amdhsa_ieee_mode 1
		.amdhsa_fp16_overflow 0
		.amdhsa_tg_split 0
		.amdhsa_exception_fp_ieee_invalid_op 0
		.amdhsa_exception_fp_denorm_src 0
		.amdhsa_exception_fp_ieee_div_zero 0
		.amdhsa_exception_fp_ieee_overflow 0
		.amdhsa_exception_fp_ieee_underflow 0
		.amdhsa_exception_fp_ieee_inexact 0
		.amdhsa_exception_int_div_zero 0
	.end_amdhsa_kernel
	.section	.text._ZN7rocprim17ROCPRIM_400000_NS6detail17trampoline_kernelINS0_14default_configENS1_20scan_config_selectorIiEEZZNS1_9scan_implILNS1_25lookback_scan_determinismE0ELb0ELb0ES3_N6thrust23THRUST_200600_302600_NS10device_ptrIiEESB_iNS9_4plusIvEEiEEDaPvRmT3_T4_T5_mT6_P12ihipStream_tbENKUlT_T0_E_clISt17integral_constantIbLb1EESQ_IbLb0EEEEDaSM_SN_EUlSM_E0_NS1_11comp_targetILNS1_3genE4ELNS1_11target_archE910ELNS1_3gpuE8ELNS1_3repE0EEENS1_30default_config_static_selectorELNS0_4arch9wavefront6targetE1EEEvT1_,"axG",@progbits,_ZN7rocprim17ROCPRIM_400000_NS6detail17trampoline_kernelINS0_14default_configENS1_20scan_config_selectorIiEEZZNS1_9scan_implILNS1_25lookback_scan_determinismE0ELb0ELb0ES3_N6thrust23THRUST_200600_302600_NS10device_ptrIiEESB_iNS9_4plusIvEEiEEDaPvRmT3_T4_T5_mT6_P12ihipStream_tbENKUlT_T0_E_clISt17integral_constantIbLb1EESQ_IbLb0EEEEDaSM_SN_EUlSM_E0_NS1_11comp_targetILNS1_3genE4ELNS1_11target_archE910ELNS1_3gpuE8ELNS1_3repE0EEENS1_30default_config_static_selectorELNS0_4arch9wavefront6targetE1EEEvT1_,comdat
.Lfunc_end6797:
	.size	_ZN7rocprim17ROCPRIM_400000_NS6detail17trampoline_kernelINS0_14default_configENS1_20scan_config_selectorIiEEZZNS1_9scan_implILNS1_25lookback_scan_determinismE0ELb0ELb0ES3_N6thrust23THRUST_200600_302600_NS10device_ptrIiEESB_iNS9_4plusIvEEiEEDaPvRmT3_T4_T5_mT6_P12ihipStream_tbENKUlT_T0_E_clISt17integral_constantIbLb1EESQ_IbLb0EEEEDaSM_SN_EUlSM_E0_NS1_11comp_targetILNS1_3genE4ELNS1_11target_archE910ELNS1_3gpuE8ELNS1_3repE0EEENS1_30default_config_static_selectorELNS0_4arch9wavefront6targetE1EEEvT1_, .Lfunc_end6797-_ZN7rocprim17ROCPRIM_400000_NS6detail17trampoline_kernelINS0_14default_configENS1_20scan_config_selectorIiEEZZNS1_9scan_implILNS1_25lookback_scan_determinismE0ELb0ELb0ES3_N6thrust23THRUST_200600_302600_NS10device_ptrIiEESB_iNS9_4plusIvEEiEEDaPvRmT3_T4_T5_mT6_P12ihipStream_tbENKUlT_T0_E_clISt17integral_constantIbLb1EESQ_IbLb0EEEEDaSM_SN_EUlSM_E0_NS1_11comp_targetILNS1_3genE4ELNS1_11target_archE910ELNS1_3gpuE8ELNS1_3repE0EEENS1_30default_config_static_selectorELNS0_4arch9wavefront6targetE1EEEvT1_
                                        ; -- End function
	.section	.AMDGPU.csdata,"",@progbits
; Kernel info:
; codeLenInByte = 1556
; NumSgprs: 28
; NumVgprs: 27
; NumAgprs: 0
; TotalNumVgprs: 27
; ScratchSize: 0
; MemoryBound: 0
; FloatMode: 240
; IeeeMode: 1
; LDSByteSize: 5120 bytes/workgroup (compile time only)
; SGPRBlocks: 3
; VGPRBlocks: 3
; NumSGPRsForWavesPerEU: 28
; NumVGPRsForWavesPerEU: 27
; AccumOffset: 28
; Occupancy: 6
; WaveLimiterHint : 0
; COMPUTE_PGM_RSRC2:SCRATCH_EN: 0
; COMPUTE_PGM_RSRC2:USER_SGPR: 6
; COMPUTE_PGM_RSRC2:TRAP_HANDLER: 0
; COMPUTE_PGM_RSRC2:TGID_X_EN: 1
; COMPUTE_PGM_RSRC2:TGID_Y_EN: 0
; COMPUTE_PGM_RSRC2:TGID_Z_EN: 0
; COMPUTE_PGM_RSRC2:TIDIG_COMP_CNT: 0
; COMPUTE_PGM_RSRC3_GFX90A:ACCUM_OFFSET: 6
; COMPUTE_PGM_RSRC3_GFX90A:TG_SPLIT: 0
	.section	.text._ZN7rocprim17ROCPRIM_400000_NS6detail17trampoline_kernelINS0_14default_configENS1_20scan_config_selectorIiEEZZNS1_9scan_implILNS1_25lookback_scan_determinismE0ELb0ELb0ES3_N6thrust23THRUST_200600_302600_NS10device_ptrIiEESB_iNS9_4plusIvEEiEEDaPvRmT3_T4_T5_mT6_P12ihipStream_tbENKUlT_T0_E_clISt17integral_constantIbLb1EESQ_IbLb0EEEEDaSM_SN_EUlSM_E0_NS1_11comp_targetILNS1_3genE3ELNS1_11target_archE908ELNS1_3gpuE7ELNS1_3repE0EEENS1_30default_config_static_selectorELNS0_4arch9wavefront6targetE1EEEvT1_,"axG",@progbits,_ZN7rocprim17ROCPRIM_400000_NS6detail17trampoline_kernelINS0_14default_configENS1_20scan_config_selectorIiEEZZNS1_9scan_implILNS1_25lookback_scan_determinismE0ELb0ELb0ES3_N6thrust23THRUST_200600_302600_NS10device_ptrIiEESB_iNS9_4plusIvEEiEEDaPvRmT3_T4_T5_mT6_P12ihipStream_tbENKUlT_T0_E_clISt17integral_constantIbLb1EESQ_IbLb0EEEEDaSM_SN_EUlSM_E0_NS1_11comp_targetILNS1_3genE3ELNS1_11target_archE908ELNS1_3gpuE7ELNS1_3repE0EEENS1_30default_config_static_selectorELNS0_4arch9wavefront6targetE1EEEvT1_,comdat
	.protected	_ZN7rocprim17ROCPRIM_400000_NS6detail17trampoline_kernelINS0_14default_configENS1_20scan_config_selectorIiEEZZNS1_9scan_implILNS1_25lookback_scan_determinismE0ELb0ELb0ES3_N6thrust23THRUST_200600_302600_NS10device_ptrIiEESB_iNS9_4plusIvEEiEEDaPvRmT3_T4_T5_mT6_P12ihipStream_tbENKUlT_T0_E_clISt17integral_constantIbLb1EESQ_IbLb0EEEEDaSM_SN_EUlSM_E0_NS1_11comp_targetILNS1_3genE3ELNS1_11target_archE908ELNS1_3gpuE7ELNS1_3repE0EEENS1_30default_config_static_selectorELNS0_4arch9wavefront6targetE1EEEvT1_ ; -- Begin function _ZN7rocprim17ROCPRIM_400000_NS6detail17trampoline_kernelINS0_14default_configENS1_20scan_config_selectorIiEEZZNS1_9scan_implILNS1_25lookback_scan_determinismE0ELb0ELb0ES3_N6thrust23THRUST_200600_302600_NS10device_ptrIiEESB_iNS9_4plusIvEEiEEDaPvRmT3_T4_T5_mT6_P12ihipStream_tbENKUlT_T0_E_clISt17integral_constantIbLb1EESQ_IbLb0EEEEDaSM_SN_EUlSM_E0_NS1_11comp_targetILNS1_3genE3ELNS1_11target_archE908ELNS1_3gpuE7ELNS1_3repE0EEENS1_30default_config_static_selectorELNS0_4arch9wavefront6targetE1EEEvT1_
	.globl	_ZN7rocprim17ROCPRIM_400000_NS6detail17trampoline_kernelINS0_14default_configENS1_20scan_config_selectorIiEEZZNS1_9scan_implILNS1_25lookback_scan_determinismE0ELb0ELb0ES3_N6thrust23THRUST_200600_302600_NS10device_ptrIiEESB_iNS9_4plusIvEEiEEDaPvRmT3_T4_T5_mT6_P12ihipStream_tbENKUlT_T0_E_clISt17integral_constantIbLb1EESQ_IbLb0EEEEDaSM_SN_EUlSM_E0_NS1_11comp_targetILNS1_3genE3ELNS1_11target_archE908ELNS1_3gpuE7ELNS1_3repE0EEENS1_30default_config_static_selectorELNS0_4arch9wavefront6targetE1EEEvT1_
	.p2align	8
	.type	_ZN7rocprim17ROCPRIM_400000_NS6detail17trampoline_kernelINS0_14default_configENS1_20scan_config_selectorIiEEZZNS1_9scan_implILNS1_25lookback_scan_determinismE0ELb0ELb0ES3_N6thrust23THRUST_200600_302600_NS10device_ptrIiEESB_iNS9_4plusIvEEiEEDaPvRmT3_T4_T5_mT6_P12ihipStream_tbENKUlT_T0_E_clISt17integral_constantIbLb1EESQ_IbLb0EEEEDaSM_SN_EUlSM_E0_NS1_11comp_targetILNS1_3genE3ELNS1_11target_archE908ELNS1_3gpuE7ELNS1_3repE0EEENS1_30default_config_static_selectorELNS0_4arch9wavefront6targetE1EEEvT1_,@function
_ZN7rocprim17ROCPRIM_400000_NS6detail17trampoline_kernelINS0_14default_configENS1_20scan_config_selectorIiEEZZNS1_9scan_implILNS1_25lookback_scan_determinismE0ELb0ELb0ES3_N6thrust23THRUST_200600_302600_NS10device_ptrIiEESB_iNS9_4plusIvEEiEEDaPvRmT3_T4_T5_mT6_P12ihipStream_tbENKUlT_T0_E_clISt17integral_constantIbLb1EESQ_IbLb0EEEEDaSM_SN_EUlSM_E0_NS1_11comp_targetILNS1_3genE3ELNS1_11target_archE908ELNS1_3gpuE7ELNS1_3repE0EEENS1_30default_config_static_selectorELNS0_4arch9wavefront6targetE1EEEvT1_: ; @_ZN7rocprim17ROCPRIM_400000_NS6detail17trampoline_kernelINS0_14default_configENS1_20scan_config_selectorIiEEZZNS1_9scan_implILNS1_25lookback_scan_determinismE0ELb0ELb0ES3_N6thrust23THRUST_200600_302600_NS10device_ptrIiEESB_iNS9_4plusIvEEiEEDaPvRmT3_T4_T5_mT6_P12ihipStream_tbENKUlT_T0_E_clISt17integral_constantIbLb1EESQ_IbLb0EEEEDaSM_SN_EUlSM_E0_NS1_11comp_targetILNS1_3genE3ELNS1_11target_archE908ELNS1_3gpuE7ELNS1_3repE0EEENS1_30default_config_static_selectorELNS0_4arch9wavefront6targetE1EEEvT1_
; %bb.0:
	.section	.rodata,"a",@progbits
	.p2align	6, 0x0
	.amdhsa_kernel _ZN7rocprim17ROCPRIM_400000_NS6detail17trampoline_kernelINS0_14default_configENS1_20scan_config_selectorIiEEZZNS1_9scan_implILNS1_25lookback_scan_determinismE0ELb0ELb0ES3_N6thrust23THRUST_200600_302600_NS10device_ptrIiEESB_iNS9_4plusIvEEiEEDaPvRmT3_T4_T5_mT6_P12ihipStream_tbENKUlT_T0_E_clISt17integral_constantIbLb1EESQ_IbLb0EEEEDaSM_SN_EUlSM_E0_NS1_11comp_targetILNS1_3genE3ELNS1_11target_archE908ELNS1_3gpuE7ELNS1_3repE0EEENS1_30default_config_static_selectorELNS0_4arch9wavefront6targetE1EEEvT1_
		.amdhsa_group_segment_fixed_size 0
		.amdhsa_private_segment_fixed_size 0
		.amdhsa_kernarg_size 32
		.amdhsa_user_sgpr_count 6
		.amdhsa_user_sgpr_private_segment_buffer 1
		.amdhsa_user_sgpr_dispatch_ptr 0
		.amdhsa_user_sgpr_queue_ptr 0
		.amdhsa_user_sgpr_kernarg_segment_ptr 1
		.amdhsa_user_sgpr_dispatch_id 0
		.amdhsa_user_sgpr_flat_scratch_init 0
		.amdhsa_user_sgpr_kernarg_preload_length 0
		.amdhsa_user_sgpr_kernarg_preload_offset 0
		.amdhsa_user_sgpr_private_segment_size 0
		.amdhsa_uses_dynamic_stack 0
		.amdhsa_system_sgpr_private_segment_wavefront_offset 0
		.amdhsa_system_sgpr_workgroup_id_x 1
		.amdhsa_system_sgpr_workgroup_id_y 0
		.amdhsa_system_sgpr_workgroup_id_z 0
		.amdhsa_system_sgpr_workgroup_info 0
		.amdhsa_system_vgpr_workitem_id 0
		.amdhsa_next_free_vgpr 1
		.amdhsa_next_free_sgpr 0
		.amdhsa_accum_offset 4
		.amdhsa_reserve_vcc 0
		.amdhsa_reserve_flat_scratch 0
		.amdhsa_float_round_mode_32 0
		.amdhsa_float_round_mode_16_64 0
		.amdhsa_float_denorm_mode_32 3
		.amdhsa_float_denorm_mode_16_64 3
		.amdhsa_dx10_clamp 1
		.amdhsa_ieee_mode 1
		.amdhsa_fp16_overflow 0
		.amdhsa_tg_split 0
		.amdhsa_exception_fp_ieee_invalid_op 0
		.amdhsa_exception_fp_denorm_src 0
		.amdhsa_exception_fp_ieee_div_zero 0
		.amdhsa_exception_fp_ieee_overflow 0
		.amdhsa_exception_fp_ieee_underflow 0
		.amdhsa_exception_fp_ieee_inexact 0
		.amdhsa_exception_int_div_zero 0
	.end_amdhsa_kernel
	.section	.text._ZN7rocprim17ROCPRIM_400000_NS6detail17trampoline_kernelINS0_14default_configENS1_20scan_config_selectorIiEEZZNS1_9scan_implILNS1_25lookback_scan_determinismE0ELb0ELb0ES3_N6thrust23THRUST_200600_302600_NS10device_ptrIiEESB_iNS9_4plusIvEEiEEDaPvRmT3_T4_T5_mT6_P12ihipStream_tbENKUlT_T0_E_clISt17integral_constantIbLb1EESQ_IbLb0EEEEDaSM_SN_EUlSM_E0_NS1_11comp_targetILNS1_3genE3ELNS1_11target_archE908ELNS1_3gpuE7ELNS1_3repE0EEENS1_30default_config_static_selectorELNS0_4arch9wavefront6targetE1EEEvT1_,"axG",@progbits,_ZN7rocprim17ROCPRIM_400000_NS6detail17trampoline_kernelINS0_14default_configENS1_20scan_config_selectorIiEEZZNS1_9scan_implILNS1_25lookback_scan_determinismE0ELb0ELb0ES3_N6thrust23THRUST_200600_302600_NS10device_ptrIiEESB_iNS9_4plusIvEEiEEDaPvRmT3_T4_T5_mT6_P12ihipStream_tbENKUlT_T0_E_clISt17integral_constantIbLb1EESQ_IbLb0EEEEDaSM_SN_EUlSM_E0_NS1_11comp_targetILNS1_3genE3ELNS1_11target_archE908ELNS1_3gpuE7ELNS1_3repE0EEENS1_30default_config_static_selectorELNS0_4arch9wavefront6targetE1EEEvT1_,comdat
.Lfunc_end6798:
	.size	_ZN7rocprim17ROCPRIM_400000_NS6detail17trampoline_kernelINS0_14default_configENS1_20scan_config_selectorIiEEZZNS1_9scan_implILNS1_25lookback_scan_determinismE0ELb0ELb0ES3_N6thrust23THRUST_200600_302600_NS10device_ptrIiEESB_iNS9_4plusIvEEiEEDaPvRmT3_T4_T5_mT6_P12ihipStream_tbENKUlT_T0_E_clISt17integral_constantIbLb1EESQ_IbLb0EEEEDaSM_SN_EUlSM_E0_NS1_11comp_targetILNS1_3genE3ELNS1_11target_archE908ELNS1_3gpuE7ELNS1_3repE0EEENS1_30default_config_static_selectorELNS0_4arch9wavefront6targetE1EEEvT1_, .Lfunc_end6798-_ZN7rocprim17ROCPRIM_400000_NS6detail17trampoline_kernelINS0_14default_configENS1_20scan_config_selectorIiEEZZNS1_9scan_implILNS1_25lookback_scan_determinismE0ELb0ELb0ES3_N6thrust23THRUST_200600_302600_NS10device_ptrIiEESB_iNS9_4plusIvEEiEEDaPvRmT3_T4_T5_mT6_P12ihipStream_tbENKUlT_T0_E_clISt17integral_constantIbLb1EESQ_IbLb0EEEEDaSM_SN_EUlSM_E0_NS1_11comp_targetILNS1_3genE3ELNS1_11target_archE908ELNS1_3gpuE7ELNS1_3repE0EEENS1_30default_config_static_selectorELNS0_4arch9wavefront6targetE1EEEvT1_
                                        ; -- End function
	.section	.AMDGPU.csdata,"",@progbits
; Kernel info:
; codeLenInByte = 0
; NumSgprs: 4
; NumVgprs: 0
; NumAgprs: 0
; TotalNumVgprs: 0
; ScratchSize: 0
; MemoryBound: 0
; FloatMode: 240
; IeeeMode: 1
; LDSByteSize: 0 bytes/workgroup (compile time only)
; SGPRBlocks: 0
; VGPRBlocks: 0
; NumSGPRsForWavesPerEU: 4
; NumVGPRsForWavesPerEU: 1
; AccumOffset: 4
; Occupancy: 8
; WaveLimiterHint : 0
; COMPUTE_PGM_RSRC2:SCRATCH_EN: 0
; COMPUTE_PGM_RSRC2:USER_SGPR: 6
; COMPUTE_PGM_RSRC2:TRAP_HANDLER: 0
; COMPUTE_PGM_RSRC2:TGID_X_EN: 1
; COMPUTE_PGM_RSRC2:TGID_Y_EN: 0
; COMPUTE_PGM_RSRC2:TGID_Z_EN: 0
; COMPUTE_PGM_RSRC2:TIDIG_COMP_CNT: 0
; COMPUTE_PGM_RSRC3_GFX90A:ACCUM_OFFSET: 0
; COMPUTE_PGM_RSRC3_GFX90A:TG_SPLIT: 0
	.section	.text._ZN7rocprim17ROCPRIM_400000_NS6detail17trampoline_kernelINS0_14default_configENS1_20scan_config_selectorIiEEZZNS1_9scan_implILNS1_25lookback_scan_determinismE0ELb0ELb0ES3_N6thrust23THRUST_200600_302600_NS10device_ptrIiEESB_iNS9_4plusIvEEiEEDaPvRmT3_T4_T5_mT6_P12ihipStream_tbENKUlT_T0_E_clISt17integral_constantIbLb1EESQ_IbLb0EEEEDaSM_SN_EUlSM_E0_NS1_11comp_targetILNS1_3genE2ELNS1_11target_archE906ELNS1_3gpuE6ELNS1_3repE0EEENS1_30default_config_static_selectorELNS0_4arch9wavefront6targetE1EEEvT1_,"axG",@progbits,_ZN7rocprim17ROCPRIM_400000_NS6detail17trampoline_kernelINS0_14default_configENS1_20scan_config_selectorIiEEZZNS1_9scan_implILNS1_25lookback_scan_determinismE0ELb0ELb0ES3_N6thrust23THRUST_200600_302600_NS10device_ptrIiEESB_iNS9_4plusIvEEiEEDaPvRmT3_T4_T5_mT6_P12ihipStream_tbENKUlT_T0_E_clISt17integral_constantIbLb1EESQ_IbLb0EEEEDaSM_SN_EUlSM_E0_NS1_11comp_targetILNS1_3genE2ELNS1_11target_archE906ELNS1_3gpuE6ELNS1_3repE0EEENS1_30default_config_static_selectorELNS0_4arch9wavefront6targetE1EEEvT1_,comdat
	.protected	_ZN7rocprim17ROCPRIM_400000_NS6detail17trampoline_kernelINS0_14default_configENS1_20scan_config_selectorIiEEZZNS1_9scan_implILNS1_25lookback_scan_determinismE0ELb0ELb0ES3_N6thrust23THRUST_200600_302600_NS10device_ptrIiEESB_iNS9_4plusIvEEiEEDaPvRmT3_T4_T5_mT6_P12ihipStream_tbENKUlT_T0_E_clISt17integral_constantIbLb1EESQ_IbLb0EEEEDaSM_SN_EUlSM_E0_NS1_11comp_targetILNS1_3genE2ELNS1_11target_archE906ELNS1_3gpuE6ELNS1_3repE0EEENS1_30default_config_static_selectorELNS0_4arch9wavefront6targetE1EEEvT1_ ; -- Begin function _ZN7rocprim17ROCPRIM_400000_NS6detail17trampoline_kernelINS0_14default_configENS1_20scan_config_selectorIiEEZZNS1_9scan_implILNS1_25lookback_scan_determinismE0ELb0ELb0ES3_N6thrust23THRUST_200600_302600_NS10device_ptrIiEESB_iNS9_4plusIvEEiEEDaPvRmT3_T4_T5_mT6_P12ihipStream_tbENKUlT_T0_E_clISt17integral_constantIbLb1EESQ_IbLb0EEEEDaSM_SN_EUlSM_E0_NS1_11comp_targetILNS1_3genE2ELNS1_11target_archE906ELNS1_3gpuE6ELNS1_3repE0EEENS1_30default_config_static_selectorELNS0_4arch9wavefront6targetE1EEEvT1_
	.globl	_ZN7rocprim17ROCPRIM_400000_NS6detail17trampoline_kernelINS0_14default_configENS1_20scan_config_selectorIiEEZZNS1_9scan_implILNS1_25lookback_scan_determinismE0ELb0ELb0ES3_N6thrust23THRUST_200600_302600_NS10device_ptrIiEESB_iNS9_4plusIvEEiEEDaPvRmT3_T4_T5_mT6_P12ihipStream_tbENKUlT_T0_E_clISt17integral_constantIbLb1EESQ_IbLb0EEEEDaSM_SN_EUlSM_E0_NS1_11comp_targetILNS1_3genE2ELNS1_11target_archE906ELNS1_3gpuE6ELNS1_3repE0EEENS1_30default_config_static_selectorELNS0_4arch9wavefront6targetE1EEEvT1_
	.p2align	8
	.type	_ZN7rocprim17ROCPRIM_400000_NS6detail17trampoline_kernelINS0_14default_configENS1_20scan_config_selectorIiEEZZNS1_9scan_implILNS1_25lookback_scan_determinismE0ELb0ELb0ES3_N6thrust23THRUST_200600_302600_NS10device_ptrIiEESB_iNS9_4plusIvEEiEEDaPvRmT3_T4_T5_mT6_P12ihipStream_tbENKUlT_T0_E_clISt17integral_constantIbLb1EESQ_IbLb0EEEEDaSM_SN_EUlSM_E0_NS1_11comp_targetILNS1_3genE2ELNS1_11target_archE906ELNS1_3gpuE6ELNS1_3repE0EEENS1_30default_config_static_selectorELNS0_4arch9wavefront6targetE1EEEvT1_,@function
_ZN7rocprim17ROCPRIM_400000_NS6detail17trampoline_kernelINS0_14default_configENS1_20scan_config_selectorIiEEZZNS1_9scan_implILNS1_25lookback_scan_determinismE0ELb0ELb0ES3_N6thrust23THRUST_200600_302600_NS10device_ptrIiEESB_iNS9_4plusIvEEiEEDaPvRmT3_T4_T5_mT6_P12ihipStream_tbENKUlT_T0_E_clISt17integral_constantIbLb1EESQ_IbLb0EEEEDaSM_SN_EUlSM_E0_NS1_11comp_targetILNS1_3genE2ELNS1_11target_archE906ELNS1_3gpuE6ELNS1_3repE0EEENS1_30default_config_static_selectorELNS0_4arch9wavefront6targetE1EEEvT1_: ; @_ZN7rocprim17ROCPRIM_400000_NS6detail17trampoline_kernelINS0_14default_configENS1_20scan_config_selectorIiEEZZNS1_9scan_implILNS1_25lookback_scan_determinismE0ELb0ELb0ES3_N6thrust23THRUST_200600_302600_NS10device_ptrIiEESB_iNS9_4plusIvEEiEEDaPvRmT3_T4_T5_mT6_P12ihipStream_tbENKUlT_T0_E_clISt17integral_constantIbLb1EESQ_IbLb0EEEEDaSM_SN_EUlSM_E0_NS1_11comp_targetILNS1_3genE2ELNS1_11target_archE906ELNS1_3gpuE6ELNS1_3repE0EEENS1_30default_config_static_selectorELNS0_4arch9wavefront6targetE1EEEvT1_
; %bb.0:
	.section	.rodata,"a",@progbits
	.p2align	6, 0x0
	.amdhsa_kernel _ZN7rocprim17ROCPRIM_400000_NS6detail17trampoline_kernelINS0_14default_configENS1_20scan_config_selectorIiEEZZNS1_9scan_implILNS1_25lookback_scan_determinismE0ELb0ELb0ES3_N6thrust23THRUST_200600_302600_NS10device_ptrIiEESB_iNS9_4plusIvEEiEEDaPvRmT3_T4_T5_mT6_P12ihipStream_tbENKUlT_T0_E_clISt17integral_constantIbLb1EESQ_IbLb0EEEEDaSM_SN_EUlSM_E0_NS1_11comp_targetILNS1_3genE2ELNS1_11target_archE906ELNS1_3gpuE6ELNS1_3repE0EEENS1_30default_config_static_selectorELNS0_4arch9wavefront6targetE1EEEvT1_
		.amdhsa_group_segment_fixed_size 0
		.amdhsa_private_segment_fixed_size 0
		.amdhsa_kernarg_size 32
		.amdhsa_user_sgpr_count 6
		.amdhsa_user_sgpr_private_segment_buffer 1
		.amdhsa_user_sgpr_dispatch_ptr 0
		.amdhsa_user_sgpr_queue_ptr 0
		.amdhsa_user_sgpr_kernarg_segment_ptr 1
		.amdhsa_user_sgpr_dispatch_id 0
		.amdhsa_user_sgpr_flat_scratch_init 0
		.amdhsa_user_sgpr_kernarg_preload_length 0
		.amdhsa_user_sgpr_kernarg_preload_offset 0
		.amdhsa_user_sgpr_private_segment_size 0
		.amdhsa_uses_dynamic_stack 0
		.amdhsa_system_sgpr_private_segment_wavefront_offset 0
		.amdhsa_system_sgpr_workgroup_id_x 1
		.amdhsa_system_sgpr_workgroup_id_y 0
		.amdhsa_system_sgpr_workgroup_id_z 0
		.amdhsa_system_sgpr_workgroup_info 0
		.amdhsa_system_vgpr_workitem_id 0
		.amdhsa_next_free_vgpr 1
		.amdhsa_next_free_sgpr 0
		.amdhsa_accum_offset 4
		.amdhsa_reserve_vcc 0
		.amdhsa_reserve_flat_scratch 0
		.amdhsa_float_round_mode_32 0
		.amdhsa_float_round_mode_16_64 0
		.amdhsa_float_denorm_mode_32 3
		.amdhsa_float_denorm_mode_16_64 3
		.amdhsa_dx10_clamp 1
		.amdhsa_ieee_mode 1
		.amdhsa_fp16_overflow 0
		.amdhsa_tg_split 0
		.amdhsa_exception_fp_ieee_invalid_op 0
		.amdhsa_exception_fp_denorm_src 0
		.amdhsa_exception_fp_ieee_div_zero 0
		.amdhsa_exception_fp_ieee_overflow 0
		.amdhsa_exception_fp_ieee_underflow 0
		.amdhsa_exception_fp_ieee_inexact 0
		.amdhsa_exception_int_div_zero 0
	.end_amdhsa_kernel
	.section	.text._ZN7rocprim17ROCPRIM_400000_NS6detail17trampoline_kernelINS0_14default_configENS1_20scan_config_selectorIiEEZZNS1_9scan_implILNS1_25lookback_scan_determinismE0ELb0ELb0ES3_N6thrust23THRUST_200600_302600_NS10device_ptrIiEESB_iNS9_4plusIvEEiEEDaPvRmT3_T4_T5_mT6_P12ihipStream_tbENKUlT_T0_E_clISt17integral_constantIbLb1EESQ_IbLb0EEEEDaSM_SN_EUlSM_E0_NS1_11comp_targetILNS1_3genE2ELNS1_11target_archE906ELNS1_3gpuE6ELNS1_3repE0EEENS1_30default_config_static_selectorELNS0_4arch9wavefront6targetE1EEEvT1_,"axG",@progbits,_ZN7rocprim17ROCPRIM_400000_NS6detail17trampoline_kernelINS0_14default_configENS1_20scan_config_selectorIiEEZZNS1_9scan_implILNS1_25lookback_scan_determinismE0ELb0ELb0ES3_N6thrust23THRUST_200600_302600_NS10device_ptrIiEESB_iNS9_4plusIvEEiEEDaPvRmT3_T4_T5_mT6_P12ihipStream_tbENKUlT_T0_E_clISt17integral_constantIbLb1EESQ_IbLb0EEEEDaSM_SN_EUlSM_E0_NS1_11comp_targetILNS1_3genE2ELNS1_11target_archE906ELNS1_3gpuE6ELNS1_3repE0EEENS1_30default_config_static_selectorELNS0_4arch9wavefront6targetE1EEEvT1_,comdat
.Lfunc_end6799:
	.size	_ZN7rocprim17ROCPRIM_400000_NS6detail17trampoline_kernelINS0_14default_configENS1_20scan_config_selectorIiEEZZNS1_9scan_implILNS1_25lookback_scan_determinismE0ELb0ELb0ES3_N6thrust23THRUST_200600_302600_NS10device_ptrIiEESB_iNS9_4plusIvEEiEEDaPvRmT3_T4_T5_mT6_P12ihipStream_tbENKUlT_T0_E_clISt17integral_constantIbLb1EESQ_IbLb0EEEEDaSM_SN_EUlSM_E0_NS1_11comp_targetILNS1_3genE2ELNS1_11target_archE906ELNS1_3gpuE6ELNS1_3repE0EEENS1_30default_config_static_selectorELNS0_4arch9wavefront6targetE1EEEvT1_, .Lfunc_end6799-_ZN7rocprim17ROCPRIM_400000_NS6detail17trampoline_kernelINS0_14default_configENS1_20scan_config_selectorIiEEZZNS1_9scan_implILNS1_25lookback_scan_determinismE0ELb0ELb0ES3_N6thrust23THRUST_200600_302600_NS10device_ptrIiEESB_iNS9_4plusIvEEiEEDaPvRmT3_T4_T5_mT6_P12ihipStream_tbENKUlT_T0_E_clISt17integral_constantIbLb1EESQ_IbLb0EEEEDaSM_SN_EUlSM_E0_NS1_11comp_targetILNS1_3genE2ELNS1_11target_archE906ELNS1_3gpuE6ELNS1_3repE0EEENS1_30default_config_static_selectorELNS0_4arch9wavefront6targetE1EEEvT1_
                                        ; -- End function
	.section	.AMDGPU.csdata,"",@progbits
; Kernel info:
; codeLenInByte = 0
; NumSgprs: 4
; NumVgprs: 0
; NumAgprs: 0
; TotalNumVgprs: 0
; ScratchSize: 0
; MemoryBound: 0
; FloatMode: 240
; IeeeMode: 1
; LDSByteSize: 0 bytes/workgroup (compile time only)
; SGPRBlocks: 0
; VGPRBlocks: 0
; NumSGPRsForWavesPerEU: 4
; NumVGPRsForWavesPerEU: 1
; AccumOffset: 4
; Occupancy: 8
; WaveLimiterHint : 0
; COMPUTE_PGM_RSRC2:SCRATCH_EN: 0
; COMPUTE_PGM_RSRC2:USER_SGPR: 6
; COMPUTE_PGM_RSRC2:TRAP_HANDLER: 0
; COMPUTE_PGM_RSRC2:TGID_X_EN: 1
; COMPUTE_PGM_RSRC2:TGID_Y_EN: 0
; COMPUTE_PGM_RSRC2:TGID_Z_EN: 0
; COMPUTE_PGM_RSRC2:TIDIG_COMP_CNT: 0
; COMPUTE_PGM_RSRC3_GFX90A:ACCUM_OFFSET: 0
; COMPUTE_PGM_RSRC3_GFX90A:TG_SPLIT: 0
	.section	.text._ZN7rocprim17ROCPRIM_400000_NS6detail17trampoline_kernelINS0_14default_configENS1_20scan_config_selectorIiEEZZNS1_9scan_implILNS1_25lookback_scan_determinismE0ELb0ELb0ES3_N6thrust23THRUST_200600_302600_NS10device_ptrIiEESB_iNS9_4plusIvEEiEEDaPvRmT3_T4_T5_mT6_P12ihipStream_tbENKUlT_T0_E_clISt17integral_constantIbLb1EESQ_IbLb0EEEEDaSM_SN_EUlSM_E0_NS1_11comp_targetILNS1_3genE10ELNS1_11target_archE1201ELNS1_3gpuE5ELNS1_3repE0EEENS1_30default_config_static_selectorELNS0_4arch9wavefront6targetE1EEEvT1_,"axG",@progbits,_ZN7rocprim17ROCPRIM_400000_NS6detail17trampoline_kernelINS0_14default_configENS1_20scan_config_selectorIiEEZZNS1_9scan_implILNS1_25lookback_scan_determinismE0ELb0ELb0ES3_N6thrust23THRUST_200600_302600_NS10device_ptrIiEESB_iNS9_4plusIvEEiEEDaPvRmT3_T4_T5_mT6_P12ihipStream_tbENKUlT_T0_E_clISt17integral_constantIbLb1EESQ_IbLb0EEEEDaSM_SN_EUlSM_E0_NS1_11comp_targetILNS1_3genE10ELNS1_11target_archE1201ELNS1_3gpuE5ELNS1_3repE0EEENS1_30default_config_static_selectorELNS0_4arch9wavefront6targetE1EEEvT1_,comdat
	.protected	_ZN7rocprim17ROCPRIM_400000_NS6detail17trampoline_kernelINS0_14default_configENS1_20scan_config_selectorIiEEZZNS1_9scan_implILNS1_25lookback_scan_determinismE0ELb0ELb0ES3_N6thrust23THRUST_200600_302600_NS10device_ptrIiEESB_iNS9_4plusIvEEiEEDaPvRmT3_T4_T5_mT6_P12ihipStream_tbENKUlT_T0_E_clISt17integral_constantIbLb1EESQ_IbLb0EEEEDaSM_SN_EUlSM_E0_NS1_11comp_targetILNS1_3genE10ELNS1_11target_archE1201ELNS1_3gpuE5ELNS1_3repE0EEENS1_30default_config_static_selectorELNS0_4arch9wavefront6targetE1EEEvT1_ ; -- Begin function _ZN7rocprim17ROCPRIM_400000_NS6detail17trampoline_kernelINS0_14default_configENS1_20scan_config_selectorIiEEZZNS1_9scan_implILNS1_25lookback_scan_determinismE0ELb0ELb0ES3_N6thrust23THRUST_200600_302600_NS10device_ptrIiEESB_iNS9_4plusIvEEiEEDaPvRmT3_T4_T5_mT6_P12ihipStream_tbENKUlT_T0_E_clISt17integral_constantIbLb1EESQ_IbLb0EEEEDaSM_SN_EUlSM_E0_NS1_11comp_targetILNS1_3genE10ELNS1_11target_archE1201ELNS1_3gpuE5ELNS1_3repE0EEENS1_30default_config_static_selectorELNS0_4arch9wavefront6targetE1EEEvT1_
	.globl	_ZN7rocprim17ROCPRIM_400000_NS6detail17trampoline_kernelINS0_14default_configENS1_20scan_config_selectorIiEEZZNS1_9scan_implILNS1_25lookback_scan_determinismE0ELb0ELb0ES3_N6thrust23THRUST_200600_302600_NS10device_ptrIiEESB_iNS9_4plusIvEEiEEDaPvRmT3_T4_T5_mT6_P12ihipStream_tbENKUlT_T0_E_clISt17integral_constantIbLb1EESQ_IbLb0EEEEDaSM_SN_EUlSM_E0_NS1_11comp_targetILNS1_3genE10ELNS1_11target_archE1201ELNS1_3gpuE5ELNS1_3repE0EEENS1_30default_config_static_selectorELNS0_4arch9wavefront6targetE1EEEvT1_
	.p2align	8
	.type	_ZN7rocprim17ROCPRIM_400000_NS6detail17trampoline_kernelINS0_14default_configENS1_20scan_config_selectorIiEEZZNS1_9scan_implILNS1_25lookback_scan_determinismE0ELb0ELb0ES3_N6thrust23THRUST_200600_302600_NS10device_ptrIiEESB_iNS9_4plusIvEEiEEDaPvRmT3_T4_T5_mT6_P12ihipStream_tbENKUlT_T0_E_clISt17integral_constantIbLb1EESQ_IbLb0EEEEDaSM_SN_EUlSM_E0_NS1_11comp_targetILNS1_3genE10ELNS1_11target_archE1201ELNS1_3gpuE5ELNS1_3repE0EEENS1_30default_config_static_selectorELNS0_4arch9wavefront6targetE1EEEvT1_,@function
_ZN7rocprim17ROCPRIM_400000_NS6detail17trampoline_kernelINS0_14default_configENS1_20scan_config_selectorIiEEZZNS1_9scan_implILNS1_25lookback_scan_determinismE0ELb0ELb0ES3_N6thrust23THRUST_200600_302600_NS10device_ptrIiEESB_iNS9_4plusIvEEiEEDaPvRmT3_T4_T5_mT6_P12ihipStream_tbENKUlT_T0_E_clISt17integral_constantIbLb1EESQ_IbLb0EEEEDaSM_SN_EUlSM_E0_NS1_11comp_targetILNS1_3genE10ELNS1_11target_archE1201ELNS1_3gpuE5ELNS1_3repE0EEENS1_30default_config_static_selectorELNS0_4arch9wavefront6targetE1EEEvT1_: ; @_ZN7rocprim17ROCPRIM_400000_NS6detail17trampoline_kernelINS0_14default_configENS1_20scan_config_selectorIiEEZZNS1_9scan_implILNS1_25lookback_scan_determinismE0ELb0ELb0ES3_N6thrust23THRUST_200600_302600_NS10device_ptrIiEESB_iNS9_4plusIvEEiEEDaPvRmT3_T4_T5_mT6_P12ihipStream_tbENKUlT_T0_E_clISt17integral_constantIbLb1EESQ_IbLb0EEEEDaSM_SN_EUlSM_E0_NS1_11comp_targetILNS1_3genE10ELNS1_11target_archE1201ELNS1_3gpuE5ELNS1_3repE0EEENS1_30default_config_static_selectorELNS0_4arch9wavefront6targetE1EEEvT1_
; %bb.0:
	.section	.rodata,"a",@progbits
	.p2align	6, 0x0
	.amdhsa_kernel _ZN7rocprim17ROCPRIM_400000_NS6detail17trampoline_kernelINS0_14default_configENS1_20scan_config_selectorIiEEZZNS1_9scan_implILNS1_25lookback_scan_determinismE0ELb0ELb0ES3_N6thrust23THRUST_200600_302600_NS10device_ptrIiEESB_iNS9_4plusIvEEiEEDaPvRmT3_T4_T5_mT6_P12ihipStream_tbENKUlT_T0_E_clISt17integral_constantIbLb1EESQ_IbLb0EEEEDaSM_SN_EUlSM_E0_NS1_11comp_targetILNS1_3genE10ELNS1_11target_archE1201ELNS1_3gpuE5ELNS1_3repE0EEENS1_30default_config_static_selectorELNS0_4arch9wavefront6targetE1EEEvT1_
		.amdhsa_group_segment_fixed_size 0
		.amdhsa_private_segment_fixed_size 0
		.amdhsa_kernarg_size 32
		.amdhsa_user_sgpr_count 6
		.amdhsa_user_sgpr_private_segment_buffer 1
		.amdhsa_user_sgpr_dispatch_ptr 0
		.amdhsa_user_sgpr_queue_ptr 0
		.amdhsa_user_sgpr_kernarg_segment_ptr 1
		.amdhsa_user_sgpr_dispatch_id 0
		.amdhsa_user_sgpr_flat_scratch_init 0
		.amdhsa_user_sgpr_kernarg_preload_length 0
		.amdhsa_user_sgpr_kernarg_preload_offset 0
		.amdhsa_user_sgpr_private_segment_size 0
		.amdhsa_uses_dynamic_stack 0
		.amdhsa_system_sgpr_private_segment_wavefront_offset 0
		.amdhsa_system_sgpr_workgroup_id_x 1
		.amdhsa_system_sgpr_workgroup_id_y 0
		.amdhsa_system_sgpr_workgroup_id_z 0
		.amdhsa_system_sgpr_workgroup_info 0
		.amdhsa_system_vgpr_workitem_id 0
		.amdhsa_next_free_vgpr 1
		.amdhsa_next_free_sgpr 0
		.amdhsa_accum_offset 4
		.amdhsa_reserve_vcc 0
		.amdhsa_reserve_flat_scratch 0
		.amdhsa_float_round_mode_32 0
		.amdhsa_float_round_mode_16_64 0
		.amdhsa_float_denorm_mode_32 3
		.amdhsa_float_denorm_mode_16_64 3
		.amdhsa_dx10_clamp 1
		.amdhsa_ieee_mode 1
		.amdhsa_fp16_overflow 0
		.amdhsa_tg_split 0
		.amdhsa_exception_fp_ieee_invalid_op 0
		.amdhsa_exception_fp_denorm_src 0
		.amdhsa_exception_fp_ieee_div_zero 0
		.amdhsa_exception_fp_ieee_overflow 0
		.amdhsa_exception_fp_ieee_underflow 0
		.amdhsa_exception_fp_ieee_inexact 0
		.amdhsa_exception_int_div_zero 0
	.end_amdhsa_kernel
	.section	.text._ZN7rocprim17ROCPRIM_400000_NS6detail17trampoline_kernelINS0_14default_configENS1_20scan_config_selectorIiEEZZNS1_9scan_implILNS1_25lookback_scan_determinismE0ELb0ELb0ES3_N6thrust23THRUST_200600_302600_NS10device_ptrIiEESB_iNS9_4plusIvEEiEEDaPvRmT3_T4_T5_mT6_P12ihipStream_tbENKUlT_T0_E_clISt17integral_constantIbLb1EESQ_IbLb0EEEEDaSM_SN_EUlSM_E0_NS1_11comp_targetILNS1_3genE10ELNS1_11target_archE1201ELNS1_3gpuE5ELNS1_3repE0EEENS1_30default_config_static_selectorELNS0_4arch9wavefront6targetE1EEEvT1_,"axG",@progbits,_ZN7rocprim17ROCPRIM_400000_NS6detail17trampoline_kernelINS0_14default_configENS1_20scan_config_selectorIiEEZZNS1_9scan_implILNS1_25lookback_scan_determinismE0ELb0ELb0ES3_N6thrust23THRUST_200600_302600_NS10device_ptrIiEESB_iNS9_4plusIvEEiEEDaPvRmT3_T4_T5_mT6_P12ihipStream_tbENKUlT_T0_E_clISt17integral_constantIbLb1EESQ_IbLb0EEEEDaSM_SN_EUlSM_E0_NS1_11comp_targetILNS1_3genE10ELNS1_11target_archE1201ELNS1_3gpuE5ELNS1_3repE0EEENS1_30default_config_static_selectorELNS0_4arch9wavefront6targetE1EEEvT1_,comdat
.Lfunc_end6800:
	.size	_ZN7rocprim17ROCPRIM_400000_NS6detail17trampoline_kernelINS0_14default_configENS1_20scan_config_selectorIiEEZZNS1_9scan_implILNS1_25lookback_scan_determinismE0ELb0ELb0ES3_N6thrust23THRUST_200600_302600_NS10device_ptrIiEESB_iNS9_4plusIvEEiEEDaPvRmT3_T4_T5_mT6_P12ihipStream_tbENKUlT_T0_E_clISt17integral_constantIbLb1EESQ_IbLb0EEEEDaSM_SN_EUlSM_E0_NS1_11comp_targetILNS1_3genE10ELNS1_11target_archE1201ELNS1_3gpuE5ELNS1_3repE0EEENS1_30default_config_static_selectorELNS0_4arch9wavefront6targetE1EEEvT1_, .Lfunc_end6800-_ZN7rocprim17ROCPRIM_400000_NS6detail17trampoline_kernelINS0_14default_configENS1_20scan_config_selectorIiEEZZNS1_9scan_implILNS1_25lookback_scan_determinismE0ELb0ELb0ES3_N6thrust23THRUST_200600_302600_NS10device_ptrIiEESB_iNS9_4plusIvEEiEEDaPvRmT3_T4_T5_mT6_P12ihipStream_tbENKUlT_T0_E_clISt17integral_constantIbLb1EESQ_IbLb0EEEEDaSM_SN_EUlSM_E0_NS1_11comp_targetILNS1_3genE10ELNS1_11target_archE1201ELNS1_3gpuE5ELNS1_3repE0EEENS1_30default_config_static_selectorELNS0_4arch9wavefront6targetE1EEEvT1_
                                        ; -- End function
	.section	.AMDGPU.csdata,"",@progbits
; Kernel info:
; codeLenInByte = 0
; NumSgprs: 4
; NumVgprs: 0
; NumAgprs: 0
; TotalNumVgprs: 0
; ScratchSize: 0
; MemoryBound: 0
; FloatMode: 240
; IeeeMode: 1
; LDSByteSize: 0 bytes/workgroup (compile time only)
; SGPRBlocks: 0
; VGPRBlocks: 0
; NumSGPRsForWavesPerEU: 4
; NumVGPRsForWavesPerEU: 1
; AccumOffset: 4
; Occupancy: 8
; WaveLimiterHint : 0
; COMPUTE_PGM_RSRC2:SCRATCH_EN: 0
; COMPUTE_PGM_RSRC2:USER_SGPR: 6
; COMPUTE_PGM_RSRC2:TRAP_HANDLER: 0
; COMPUTE_PGM_RSRC2:TGID_X_EN: 1
; COMPUTE_PGM_RSRC2:TGID_Y_EN: 0
; COMPUTE_PGM_RSRC2:TGID_Z_EN: 0
; COMPUTE_PGM_RSRC2:TIDIG_COMP_CNT: 0
; COMPUTE_PGM_RSRC3_GFX90A:ACCUM_OFFSET: 0
; COMPUTE_PGM_RSRC3_GFX90A:TG_SPLIT: 0
	.section	.text._ZN7rocprim17ROCPRIM_400000_NS6detail17trampoline_kernelINS0_14default_configENS1_20scan_config_selectorIiEEZZNS1_9scan_implILNS1_25lookback_scan_determinismE0ELb0ELb0ES3_N6thrust23THRUST_200600_302600_NS10device_ptrIiEESB_iNS9_4plusIvEEiEEDaPvRmT3_T4_T5_mT6_P12ihipStream_tbENKUlT_T0_E_clISt17integral_constantIbLb1EESQ_IbLb0EEEEDaSM_SN_EUlSM_E0_NS1_11comp_targetILNS1_3genE10ELNS1_11target_archE1200ELNS1_3gpuE4ELNS1_3repE0EEENS1_30default_config_static_selectorELNS0_4arch9wavefront6targetE1EEEvT1_,"axG",@progbits,_ZN7rocprim17ROCPRIM_400000_NS6detail17trampoline_kernelINS0_14default_configENS1_20scan_config_selectorIiEEZZNS1_9scan_implILNS1_25lookback_scan_determinismE0ELb0ELb0ES3_N6thrust23THRUST_200600_302600_NS10device_ptrIiEESB_iNS9_4plusIvEEiEEDaPvRmT3_T4_T5_mT6_P12ihipStream_tbENKUlT_T0_E_clISt17integral_constantIbLb1EESQ_IbLb0EEEEDaSM_SN_EUlSM_E0_NS1_11comp_targetILNS1_3genE10ELNS1_11target_archE1200ELNS1_3gpuE4ELNS1_3repE0EEENS1_30default_config_static_selectorELNS0_4arch9wavefront6targetE1EEEvT1_,comdat
	.protected	_ZN7rocprim17ROCPRIM_400000_NS6detail17trampoline_kernelINS0_14default_configENS1_20scan_config_selectorIiEEZZNS1_9scan_implILNS1_25lookback_scan_determinismE0ELb0ELb0ES3_N6thrust23THRUST_200600_302600_NS10device_ptrIiEESB_iNS9_4plusIvEEiEEDaPvRmT3_T4_T5_mT6_P12ihipStream_tbENKUlT_T0_E_clISt17integral_constantIbLb1EESQ_IbLb0EEEEDaSM_SN_EUlSM_E0_NS1_11comp_targetILNS1_3genE10ELNS1_11target_archE1200ELNS1_3gpuE4ELNS1_3repE0EEENS1_30default_config_static_selectorELNS0_4arch9wavefront6targetE1EEEvT1_ ; -- Begin function _ZN7rocprim17ROCPRIM_400000_NS6detail17trampoline_kernelINS0_14default_configENS1_20scan_config_selectorIiEEZZNS1_9scan_implILNS1_25lookback_scan_determinismE0ELb0ELb0ES3_N6thrust23THRUST_200600_302600_NS10device_ptrIiEESB_iNS9_4plusIvEEiEEDaPvRmT3_T4_T5_mT6_P12ihipStream_tbENKUlT_T0_E_clISt17integral_constantIbLb1EESQ_IbLb0EEEEDaSM_SN_EUlSM_E0_NS1_11comp_targetILNS1_3genE10ELNS1_11target_archE1200ELNS1_3gpuE4ELNS1_3repE0EEENS1_30default_config_static_selectorELNS0_4arch9wavefront6targetE1EEEvT1_
	.globl	_ZN7rocprim17ROCPRIM_400000_NS6detail17trampoline_kernelINS0_14default_configENS1_20scan_config_selectorIiEEZZNS1_9scan_implILNS1_25lookback_scan_determinismE0ELb0ELb0ES3_N6thrust23THRUST_200600_302600_NS10device_ptrIiEESB_iNS9_4plusIvEEiEEDaPvRmT3_T4_T5_mT6_P12ihipStream_tbENKUlT_T0_E_clISt17integral_constantIbLb1EESQ_IbLb0EEEEDaSM_SN_EUlSM_E0_NS1_11comp_targetILNS1_3genE10ELNS1_11target_archE1200ELNS1_3gpuE4ELNS1_3repE0EEENS1_30default_config_static_selectorELNS0_4arch9wavefront6targetE1EEEvT1_
	.p2align	8
	.type	_ZN7rocprim17ROCPRIM_400000_NS6detail17trampoline_kernelINS0_14default_configENS1_20scan_config_selectorIiEEZZNS1_9scan_implILNS1_25lookback_scan_determinismE0ELb0ELb0ES3_N6thrust23THRUST_200600_302600_NS10device_ptrIiEESB_iNS9_4plusIvEEiEEDaPvRmT3_T4_T5_mT6_P12ihipStream_tbENKUlT_T0_E_clISt17integral_constantIbLb1EESQ_IbLb0EEEEDaSM_SN_EUlSM_E0_NS1_11comp_targetILNS1_3genE10ELNS1_11target_archE1200ELNS1_3gpuE4ELNS1_3repE0EEENS1_30default_config_static_selectorELNS0_4arch9wavefront6targetE1EEEvT1_,@function
_ZN7rocprim17ROCPRIM_400000_NS6detail17trampoline_kernelINS0_14default_configENS1_20scan_config_selectorIiEEZZNS1_9scan_implILNS1_25lookback_scan_determinismE0ELb0ELb0ES3_N6thrust23THRUST_200600_302600_NS10device_ptrIiEESB_iNS9_4plusIvEEiEEDaPvRmT3_T4_T5_mT6_P12ihipStream_tbENKUlT_T0_E_clISt17integral_constantIbLb1EESQ_IbLb0EEEEDaSM_SN_EUlSM_E0_NS1_11comp_targetILNS1_3genE10ELNS1_11target_archE1200ELNS1_3gpuE4ELNS1_3repE0EEENS1_30default_config_static_selectorELNS0_4arch9wavefront6targetE1EEEvT1_: ; @_ZN7rocprim17ROCPRIM_400000_NS6detail17trampoline_kernelINS0_14default_configENS1_20scan_config_selectorIiEEZZNS1_9scan_implILNS1_25lookback_scan_determinismE0ELb0ELb0ES3_N6thrust23THRUST_200600_302600_NS10device_ptrIiEESB_iNS9_4plusIvEEiEEDaPvRmT3_T4_T5_mT6_P12ihipStream_tbENKUlT_T0_E_clISt17integral_constantIbLb1EESQ_IbLb0EEEEDaSM_SN_EUlSM_E0_NS1_11comp_targetILNS1_3genE10ELNS1_11target_archE1200ELNS1_3gpuE4ELNS1_3repE0EEENS1_30default_config_static_selectorELNS0_4arch9wavefront6targetE1EEEvT1_
; %bb.0:
	.section	.rodata,"a",@progbits
	.p2align	6, 0x0
	.amdhsa_kernel _ZN7rocprim17ROCPRIM_400000_NS6detail17trampoline_kernelINS0_14default_configENS1_20scan_config_selectorIiEEZZNS1_9scan_implILNS1_25lookback_scan_determinismE0ELb0ELb0ES3_N6thrust23THRUST_200600_302600_NS10device_ptrIiEESB_iNS9_4plusIvEEiEEDaPvRmT3_T4_T5_mT6_P12ihipStream_tbENKUlT_T0_E_clISt17integral_constantIbLb1EESQ_IbLb0EEEEDaSM_SN_EUlSM_E0_NS1_11comp_targetILNS1_3genE10ELNS1_11target_archE1200ELNS1_3gpuE4ELNS1_3repE0EEENS1_30default_config_static_selectorELNS0_4arch9wavefront6targetE1EEEvT1_
		.amdhsa_group_segment_fixed_size 0
		.amdhsa_private_segment_fixed_size 0
		.amdhsa_kernarg_size 32
		.amdhsa_user_sgpr_count 6
		.amdhsa_user_sgpr_private_segment_buffer 1
		.amdhsa_user_sgpr_dispatch_ptr 0
		.amdhsa_user_sgpr_queue_ptr 0
		.amdhsa_user_sgpr_kernarg_segment_ptr 1
		.amdhsa_user_sgpr_dispatch_id 0
		.amdhsa_user_sgpr_flat_scratch_init 0
		.amdhsa_user_sgpr_kernarg_preload_length 0
		.amdhsa_user_sgpr_kernarg_preload_offset 0
		.amdhsa_user_sgpr_private_segment_size 0
		.amdhsa_uses_dynamic_stack 0
		.amdhsa_system_sgpr_private_segment_wavefront_offset 0
		.amdhsa_system_sgpr_workgroup_id_x 1
		.amdhsa_system_sgpr_workgroup_id_y 0
		.amdhsa_system_sgpr_workgroup_id_z 0
		.amdhsa_system_sgpr_workgroup_info 0
		.amdhsa_system_vgpr_workitem_id 0
		.amdhsa_next_free_vgpr 1
		.amdhsa_next_free_sgpr 0
		.amdhsa_accum_offset 4
		.amdhsa_reserve_vcc 0
		.amdhsa_reserve_flat_scratch 0
		.amdhsa_float_round_mode_32 0
		.amdhsa_float_round_mode_16_64 0
		.amdhsa_float_denorm_mode_32 3
		.amdhsa_float_denorm_mode_16_64 3
		.amdhsa_dx10_clamp 1
		.amdhsa_ieee_mode 1
		.amdhsa_fp16_overflow 0
		.amdhsa_tg_split 0
		.amdhsa_exception_fp_ieee_invalid_op 0
		.amdhsa_exception_fp_denorm_src 0
		.amdhsa_exception_fp_ieee_div_zero 0
		.amdhsa_exception_fp_ieee_overflow 0
		.amdhsa_exception_fp_ieee_underflow 0
		.amdhsa_exception_fp_ieee_inexact 0
		.amdhsa_exception_int_div_zero 0
	.end_amdhsa_kernel
	.section	.text._ZN7rocprim17ROCPRIM_400000_NS6detail17trampoline_kernelINS0_14default_configENS1_20scan_config_selectorIiEEZZNS1_9scan_implILNS1_25lookback_scan_determinismE0ELb0ELb0ES3_N6thrust23THRUST_200600_302600_NS10device_ptrIiEESB_iNS9_4plusIvEEiEEDaPvRmT3_T4_T5_mT6_P12ihipStream_tbENKUlT_T0_E_clISt17integral_constantIbLb1EESQ_IbLb0EEEEDaSM_SN_EUlSM_E0_NS1_11comp_targetILNS1_3genE10ELNS1_11target_archE1200ELNS1_3gpuE4ELNS1_3repE0EEENS1_30default_config_static_selectorELNS0_4arch9wavefront6targetE1EEEvT1_,"axG",@progbits,_ZN7rocprim17ROCPRIM_400000_NS6detail17trampoline_kernelINS0_14default_configENS1_20scan_config_selectorIiEEZZNS1_9scan_implILNS1_25lookback_scan_determinismE0ELb0ELb0ES3_N6thrust23THRUST_200600_302600_NS10device_ptrIiEESB_iNS9_4plusIvEEiEEDaPvRmT3_T4_T5_mT6_P12ihipStream_tbENKUlT_T0_E_clISt17integral_constantIbLb1EESQ_IbLb0EEEEDaSM_SN_EUlSM_E0_NS1_11comp_targetILNS1_3genE10ELNS1_11target_archE1200ELNS1_3gpuE4ELNS1_3repE0EEENS1_30default_config_static_selectorELNS0_4arch9wavefront6targetE1EEEvT1_,comdat
.Lfunc_end6801:
	.size	_ZN7rocprim17ROCPRIM_400000_NS6detail17trampoline_kernelINS0_14default_configENS1_20scan_config_selectorIiEEZZNS1_9scan_implILNS1_25lookback_scan_determinismE0ELb0ELb0ES3_N6thrust23THRUST_200600_302600_NS10device_ptrIiEESB_iNS9_4plusIvEEiEEDaPvRmT3_T4_T5_mT6_P12ihipStream_tbENKUlT_T0_E_clISt17integral_constantIbLb1EESQ_IbLb0EEEEDaSM_SN_EUlSM_E0_NS1_11comp_targetILNS1_3genE10ELNS1_11target_archE1200ELNS1_3gpuE4ELNS1_3repE0EEENS1_30default_config_static_selectorELNS0_4arch9wavefront6targetE1EEEvT1_, .Lfunc_end6801-_ZN7rocprim17ROCPRIM_400000_NS6detail17trampoline_kernelINS0_14default_configENS1_20scan_config_selectorIiEEZZNS1_9scan_implILNS1_25lookback_scan_determinismE0ELb0ELb0ES3_N6thrust23THRUST_200600_302600_NS10device_ptrIiEESB_iNS9_4plusIvEEiEEDaPvRmT3_T4_T5_mT6_P12ihipStream_tbENKUlT_T0_E_clISt17integral_constantIbLb1EESQ_IbLb0EEEEDaSM_SN_EUlSM_E0_NS1_11comp_targetILNS1_3genE10ELNS1_11target_archE1200ELNS1_3gpuE4ELNS1_3repE0EEENS1_30default_config_static_selectorELNS0_4arch9wavefront6targetE1EEEvT1_
                                        ; -- End function
	.section	.AMDGPU.csdata,"",@progbits
; Kernel info:
; codeLenInByte = 0
; NumSgprs: 4
; NumVgprs: 0
; NumAgprs: 0
; TotalNumVgprs: 0
; ScratchSize: 0
; MemoryBound: 0
; FloatMode: 240
; IeeeMode: 1
; LDSByteSize: 0 bytes/workgroup (compile time only)
; SGPRBlocks: 0
; VGPRBlocks: 0
; NumSGPRsForWavesPerEU: 4
; NumVGPRsForWavesPerEU: 1
; AccumOffset: 4
; Occupancy: 8
; WaveLimiterHint : 0
; COMPUTE_PGM_RSRC2:SCRATCH_EN: 0
; COMPUTE_PGM_RSRC2:USER_SGPR: 6
; COMPUTE_PGM_RSRC2:TRAP_HANDLER: 0
; COMPUTE_PGM_RSRC2:TGID_X_EN: 1
; COMPUTE_PGM_RSRC2:TGID_Y_EN: 0
; COMPUTE_PGM_RSRC2:TGID_Z_EN: 0
; COMPUTE_PGM_RSRC2:TIDIG_COMP_CNT: 0
; COMPUTE_PGM_RSRC3_GFX90A:ACCUM_OFFSET: 0
; COMPUTE_PGM_RSRC3_GFX90A:TG_SPLIT: 0
	.section	.text._ZN7rocprim17ROCPRIM_400000_NS6detail17trampoline_kernelINS0_14default_configENS1_20scan_config_selectorIiEEZZNS1_9scan_implILNS1_25lookback_scan_determinismE0ELb0ELb0ES3_N6thrust23THRUST_200600_302600_NS10device_ptrIiEESB_iNS9_4plusIvEEiEEDaPvRmT3_T4_T5_mT6_P12ihipStream_tbENKUlT_T0_E_clISt17integral_constantIbLb1EESQ_IbLb0EEEEDaSM_SN_EUlSM_E0_NS1_11comp_targetILNS1_3genE9ELNS1_11target_archE1100ELNS1_3gpuE3ELNS1_3repE0EEENS1_30default_config_static_selectorELNS0_4arch9wavefront6targetE1EEEvT1_,"axG",@progbits,_ZN7rocprim17ROCPRIM_400000_NS6detail17trampoline_kernelINS0_14default_configENS1_20scan_config_selectorIiEEZZNS1_9scan_implILNS1_25lookback_scan_determinismE0ELb0ELb0ES3_N6thrust23THRUST_200600_302600_NS10device_ptrIiEESB_iNS9_4plusIvEEiEEDaPvRmT3_T4_T5_mT6_P12ihipStream_tbENKUlT_T0_E_clISt17integral_constantIbLb1EESQ_IbLb0EEEEDaSM_SN_EUlSM_E0_NS1_11comp_targetILNS1_3genE9ELNS1_11target_archE1100ELNS1_3gpuE3ELNS1_3repE0EEENS1_30default_config_static_selectorELNS0_4arch9wavefront6targetE1EEEvT1_,comdat
	.protected	_ZN7rocprim17ROCPRIM_400000_NS6detail17trampoline_kernelINS0_14default_configENS1_20scan_config_selectorIiEEZZNS1_9scan_implILNS1_25lookback_scan_determinismE0ELb0ELb0ES3_N6thrust23THRUST_200600_302600_NS10device_ptrIiEESB_iNS9_4plusIvEEiEEDaPvRmT3_T4_T5_mT6_P12ihipStream_tbENKUlT_T0_E_clISt17integral_constantIbLb1EESQ_IbLb0EEEEDaSM_SN_EUlSM_E0_NS1_11comp_targetILNS1_3genE9ELNS1_11target_archE1100ELNS1_3gpuE3ELNS1_3repE0EEENS1_30default_config_static_selectorELNS0_4arch9wavefront6targetE1EEEvT1_ ; -- Begin function _ZN7rocprim17ROCPRIM_400000_NS6detail17trampoline_kernelINS0_14default_configENS1_20scan_config_selectorIiEEZZNS1_9scan_implILNS1_25lookback_scan_determinismE0ELb0ELb0ES3_N6thrust23THRUST_200600_302600_NS10device_ptrIiEESB_iNS9_4plusIvEEiEEDaPvRmT3_T4_T5_mT6_P12ihipStream_tbENKUlT_T0_E_clISt17integral_constantIbLb1EESQ_IbLb0EEEEDaSM_SN_EUlSM_E0_NS1_11comp_targetILNS1_3genE9ELNS1_11target_archE1100ELNS1_3gpuE3ELNS1_3repE0EEENS1_30default_config_static_selectorELNS0_4arch9wavefront6targetE1EEEvT1_
	.globl	_ZN7rocprim17ROCPRIM_400000_NS6detail17trampoline_kernelINS0_14default_configENS1_20scan_config_selectorIiEEZZNS1_9scan_implILNS1_25lookback_scan_determinismE0ELb0ELb0ES3_N6thrust23THRUST_200600_302600_NS10device_ptrIiEESB_iNS9_4plusIvEEiEEDaPvRmT3_T4_T5_mT6_P12ihipStream_tbENKUlT_T0_E_clISt17integral_constantIbLb1EESQ_IbLb0EEEEDaSM_SN_EUlSM_E0_NS1_11comp_targetILNS1_3genE9ELNS1_11target_archE1100ELNS1_3gpuE3ELNS1_3repE0EEENS1_30default_config_static_selectorELNS0_4arch9wavefront6targetE1EEEvT1_
	.p2align	8
	.type	_ZN7rocprim17ROCPRIM_400000_NS6detail17trampoline_kernelINS0_14default_configENS1_20scan_config_selectorIiEEZZNS1_9scan_implILNS1_25lookback_scan_determinismE0ELb0ELb0ES3_N6thrust23THRUST_200600_302600_NS10device_ptrIiEESB_iNS9_4plusIvEEiEEDaPvRmT3_T4_T5_mT6_P12ihipStream_tbENKUlT_T0_E_clISt17integral_constantIbLb1EESQ_IbLb0EEEEDaSM_SN_EUlSM_E0_NS1_11comp_targetILNS1_3genE9ELNS1_11target_archE1100ELNS1_3gpuE3ELNS1_3repE0EEENS1_30default_config_static_selectorELNS0_4arch9wavefront6targetE1EEEvT1_,@function
_ZN7rocprim17ROCPRIM_400000_NS6detail17trampoline_kernelINS0_14default_configENS1_20scan_config_selectorIiEEZZNS1_9scan_implILNS1_25lookback_scan_determinismE0ELb0ELb0ES3_N6thrust23THRUST_200600_302600_NS10device_ptrIiEESB_iNS9_4plusIvEEiEEDaPvRmT3_T4_T5_mT6_P12ihipStream_tbENKUlT_T0_E_clISt17integral_constantIbLb1EESQ_IbLb0EEEEDaSM_SN_EUlSM_E0_NS1_11comp_targetILNS1_3genE9ELNS1_11target_archE1100ELNS1_3gpuE3ELNS1_3repE0EEENS1_30default_config_static_selectorELNS0_4arch9wavefront6targetE1EEEvT1_: ; @_ZN7rocprim17ROCPRIM_400000_NS6detail17trampoline_kernelINS0_14default_configENS1_20scan_config_selectorIiEEZZNS1_9scan_implILNS1_25lookback_scan_determinismE0ELb0ELb0ES3_N6thrust23THRUST_200600_302600_NS10device_ptrIiEESB_iNS9_4plusIvEEiEEDaPvRmT3_T4_T5_mT6_P12ihipStream_tbENKUlT_T0_E_clISt17integral_constantIbLb1EESQ_IbLb0EEEEDaSM_SN_EUlSM_E0_NS1_11comp_targetILNS1_3genE9ELNS1_11target_archE1100ELNS1_3gpuE3ELNS1_3repE0EEENS1_30default_config_static_selectorELNS0_4arch9wavefront6targetE1EEEvT1_
; %bb.0:
	.section	.rodata,"a",@progbits
	.p2align	6, 0x0
	.amdhsa_kernel _ZN7rocprim17ROCPRIM_400000_NS6detail17trampoline_kernelINS0_14default_configENS1_20scan_config_selectorIiEEZZNS1_9scan_implILNS1_25lookback_scan_determinismE0ELb0ELb0ES3_N6thrust23THRUST_200600_302600_NS10device_ptrIiEESB_iNS9_4plusIvEEiEEDaPvRmT3_T4_T5_mT6_P12ihipStream_tbENKUlT_T0_E_clISt17integral_constantIbLb1EESQ_IbLb0EEEEDaSM_SN_EUlSM_E0_NS1_11comp_targetILNS1_3genE9ELNS1_11target_archE1100ELNS1_3gpuE3ELNS1_3repE0EEENS1_30default_config_static_selectorELNS0_4arch9wavefront6targetE1EEEvT1_
		.amdhsa_group_segment_fixed_size 0
		.amdhsa_private_segment_fixed_size 0
		.amdhsa_kernarg_size 32
		.amdhsa_user_sgpr_count 6
		.amdhsa_user_sgpr_private_segment_buffer 1
		.amdhsa_user_sgpr_dispatch_ptr 0
		.amdhsa_user_sgpr_queue_ptr 0
		.amdhsa_user_sgpr_kernarg_segment_ptr 1
		.amdhsa_user_sgpr_dispatch_id 0
		.amdhsa_user_sgpr_flat_scratch_init 0
		.amdhsa_user_sgpr_kernarg_preload_length 0
		.amdhsa_user_sgpr_kernarg_preload_offset 0
		.amdhsa_user_sgpr_private_segment_size 0
		.amdhsa_uses_dynamic_stack 0
		.amdhsa_system_sgpr_private_segment_wavefront_offset 0
		.amdhsa_system_sgpr_workgroup_id_x 1
		.amdhsa_system_sgpr_workgroup_id_y 0
		.amdhsa_system_sgpr_workgroup_id_z 0
		.amdhsa_system_sgpr_workgroup_info 0
		.amdhsa_system_vgpr_workitem_id 0
		.amdhsa_next_free_vgpr 1
		.amdhsa_next_free_sgpr 0
		.amdhsa_accum_offset 4
		.amdhsa_reserve_vcc 0
		.amdhsa_reserve_flat_scratch 0
		.amdhsa_float_round_mode_32 0
		.amdhsa_float_round_mode_16_64 0
		.amdhsa_float_denorm_mode_32 3
		.amdhsa_float_denorm_mode_16_64 3
		.amdhsa_dx10_clamp 1
		.amdhsa_ieee_mode 1
		.amdhsa_fp16_overflow 0
		.amdhsa_tg_split 0
		.amdhsa_exception_fp_ieee_invalid_op 0
		.amdhsa_exception_fp_denorm_src 0
		.amdhsa_exception_fp_ieee_div_zero 0
		.amdhsa_exception_fp_ieee_overflow 0
		.amdhsa_exception_fp_ieee_underflow 0
		.amdhsa_exception_fp_ieee_inexact 0
		.amdhsa_exception_int_div_zero 0
	.end_amdhsa_kernel
	.section	.text._ZN7rocprim17ROCPRIM_400000_NS6detail17trampoline_kernelINS0_14default_configENS1_20scan_config_selectorIiEEZZNS1_9scan_implILNS1_25lookback_scan_determinismE0ELb0ELb0ES3_N6thrust23THRUST_200600_302600_NS10device_ptrIiEESB_iNS9_4plusIvEEiEEDaPvRmT3_T4_T5_mT6_P12ihipStream_tbENKUlT_T0_E_clISt17integral_constantIbLb1EESQ_IbLb0EEEEDaSM_SN_EUlSM_E0_NS1_11comp_targetILNS1_3genE9ELNS1_11target_archE1100ELNS1_3gpuE3ELNS1_3repE0EEENS1_30default_config_static_selectorELNS0_4arch9wavefront6targetE1EEEvT1_,"axG",@progbits,_ZN7rocprim17ROCPRIM_400000_NS6detail17trampoline_kernelINS0_14default_configENS1_20scan_config_selectorIiEEZZNS1_9scan_implILNS1_25lookback_scan_determinismE0ELb0ELb0ES3_N6thrust23THRUST_200600_302600_NS10device_ptrIiEESB_iNS9_4plusIvEEiEEDaPvRmT3_T4_T5_mT6_P12ihipStream_tbENKUlT_T0_E_clISt17integral_constantIbLb1EESQ_IbLb0EEEEDaSM_SN_EUlSM_E0_NS1_11comp_targetILNS1_3genE9ELNS1_11target_archE1100ELNS1_3gpuE3ELNS1_3repE0EEENS1_30default_config_static_selectorELNS0_4arch9wavefront6targetE1EEEvT1_,comdat
.Lfunc_end6802:
	.size	_ZN7rocprim17ROCPRIM_400000_NS6detail17trampoline_kernelINS0_14default_configENS1_20scan_config_selectorIiEEZZNS1_9scan_implILNS1_25lookback_scan_determinismE0ELb0ELb0ES3_N6thrust23THRUST_200600_302600_NS10device_ptrIiEESB_iNS9_4plusIvEEiEEDaPvRmT3_T4_T5_mT6_P12ihipStream_tbENKUlT_T0_E_clISt17integral_constantIbLb1EESQ_IbLb0EEEEDaSM_SN_EUlSM_E0_NS1_11comp_targetILNS1_3genE9ELNS1_11target_archE1100ELNS1_3gpuE3ELNS1_3repE0EEENS1_30default_config_static_selectorELNS0_4arch9wavefront6targetE1EEEvT1_, .Lfunc_end6802-_ZN7rocprim17ROCPRIM_400000_NS6detail17trampoline_kernelINS0_14default_configENS1_20scan_config_selectorIiEEZZNS1_9scan_implILNS1_25lookback_scan_determinismE0ELb0ELb0ES3_N6thrust23THRUST_200600_302600_NS10device_ptrIiEESB_iNS9_4plusIvEEiEEDaPvRmT3_T4_T5_mT6_P12ihipStream_tbENKUlT_T0_E_clISt17integral_constantIbLb1EESQ_IbLb0EEEEDaSM_SN_EUlSM_E0_NS1_11comp_targetILNS1_3genE9ELNS1_11target_archE1100ELNS1_3gpuE3ELNS1_3repE0EEENS1_30default_config_static_selectorELNS0_4arch9wavefront6targetE1EEEvT1_
                                        ; -- End function
	.section	.AMDGPU.csdata,"",@progbits
; Kernel info:
; codeLenInByte = 0
; NumSgprs: 4
; NumVgprs: 0
; NumAgprs: 0
; TotalNumVgprs: 0
; ScratchSize: 0
; MemoryBound: 0
; FloatMode: 240
; IeeeMode: 1
; LDSByteSize: 0 bytes/workgroup (compile time only)
; SGPRBlocks: 0
; VGPRBlocks: 0
; NumSGPRsForWavesPerEU: 4
; NumVGPRsForWavesPerEU: 1
; AccumOffset: 4
; Occupancy: 8
; WaveLimiterHint : 0
; COMPUTE_PGM_RSRC2:SCRATCH_EN: 0
; COMPUTE_PGM_RSRC2:USER_SGPR: 6
; COMPUTE_PGM_RSRC2:TRAP_HANDLER: 0
; COMPUTE_PGM_RSRC2:TGID_X_EN: 1
; COMPUTE_PGM_RSRC2:TGID_Y_EN: 0
; COMPUTE_PGM_RSRC2:TGID_Z_EN: 0
; COMPUTE_PGM_RSRC2:TIDIG_COMP_CNT: 0
; COMPUTE_PGM_RSRC3_GFX90A:ACCUM_OFFSET: 0
; COMPUTE_PGM_RSRC3_GFX90A:TG_SPLIT: 0
	.section	.text._ZN7rocprim17ROCPRIM_400000_NS6detail17trampoline_kernelINS0_14default_configENS1_20scan_config_selectorIiEEZZNS1_9scan_implILNS1_25lookback_scan_determinismE0ELb0ELb0ES3_N6thrust23THRUST_200600_302600_NS10device_ptrIiEESB_iNS9_4plusIvEEiEEDaPvRmT3_T4_T5_mT6_P12ihipStream_tbENKUlT_T0_E_clISt17integral_constantIbLb1EESQ_IbLb0EEEEDaSM_SN_EUlSM_E0_NS1_11comp_targetILNS1_3genE8ELNS1_11target_archE1030ELNS1_3gpuE2ELNS1_3repE0EEENS1_30default_config_static_selectorELNS0_4arch9wavefront6targetE1EEEvT1_,"axG",@progbits,_ZN7rocprim17ROCPRIM_400000_NS6detail17trampoline_kernelINS0_14default_configENS1_20scan_config_selectorIiEEZZNS1_9scan_implILNS1_25lookback_scan_determinismE0ELb0ELb0ES3_N6thrust23THRUST_200600_302600_NS10device_ptrIiEESB_iNS9_4plusIvEEiEEDaPvRmT3_T4_T5_mT6_P12ihipStream_tbENKUlT_T0_E_clISt17integral_constantIbLb1EESQ_IbLb0EEEEDaSM_SN_EUlSM_E0_NS1_11comp_targetILNS1_3genE8ELNS1_11target_archE1030ELNS1_3gpuE2ELNS1_3repE0EEENS1_30default_config_static_selectorELNS0_4arch9wavefront6targetE1EEEvT1_,comdat
	.protected	_ZN7rocprim17ROCPRIM_400000_NS6detail17trampoline_kernelINS0_14default_configENS1_20scan_config_selectorIiEEZZNS1_9scan_implILNS1_25lookback_scan_determinismE0ELb0ELb0ES3_N6thrust23THRUST_200600_302600_NS10device_ptrIiEESB_iNS9_4plusIvEEiEEDaPvRmT3_T4_T5_mT6_P12ihipStream_tbENKUlT_T0_E_clISt17integral_constantIbLb1EESQ_IbLb0EEEEDaSM_SN_EUlSM_E0_NS1_11comp_targetILNS1_3genE8ELNS1_11target_archE1030ELNS1_3gpuE2ELNS1_3repE0EEENS1_30default_config_static_selectorELNS0_4arch9wavefront6targetE1EEEvT1_ ; -- Begin function _ZN7rocprim17ROCPRIM_400000_NS6detail17trampoline_kernelINS0_14default_configENS1_20scan_config_selectorIiEEZZNS1_9scan_implILNS1_25lookback_scan_determinismE0ELb0ELb0ES3_N6thrust23THRUST_200600_302600_NS10device_ptrIiEESB_iNS9_4plusIvEEiEEDaPvRmT3_T4_T5_mT6_P12ihipStream_tbENKUlT_T0_E_clISt17integral_constantIbLb1EESQ_IbLb0EEEEDaSM_SN_EUlSM_E0_NS1_11comp_targetILNS1_3genE8ELNS1_11target_archE1030ELNS1_3gpuE2ELNS1_3repE0EEENS1_30default_config_static_selectorELNS0_4arch9wavefront6targetE1EEEvT1_
	.globl	_ZN7rocprim17ROCPRIM_400000_NS6detail17trampoline_kernelINS0_14default_configENS1_20scan_config_selectorIiEEZZNS1_9scan_implILNS1_25lookback_scan_determinismE0ELb0ELb0ES3_N6thrust23THRUST_200600_302600_NS10device_ptrIiEESB_iNS9_4plusIvEEiEEDaPvRmT3_T4_T5_mT6_P12ihipStream_tbENKUlT_T0_E_clISt17integral_constantIbLb1EESQ_IbLb0EEEEDaSM_SN_EUlSM_E0_NS1_11comp_targetILNS1_3genE8ELNS1_11target_archE1030ELNS1_3gpuE2ELNS1_3repE0EEENS1_30default_config_static_selectorELNS0_4arch9wavefront6targetE1EEEvT1_
	.p2align	8
	.type	_ZN7rocprim17ROCPRIM_400000_NS6detail17trampoline_kernelINS0_14default_configENS1_20scan_config_selectorIiEEZZNS1_9scan_implILNS1_25lookback_scan_determinismE0ELb0ELb0ES3_N6thrust23THRUST_200600_302600_NS10device_ptrIiEESB_iNS9_4plusIvEEiEEDaPvRmT3_T4_T5_mT6_P12ihipStream_tbENKUlT_T0_E_clISt17integral_constantIbLb1EESQ_IbLb0EEEEDaSM_SN_EUlSM_E0_NS1_11comp_targetILNS1_3genE8ELNS1_11target_archE1030ELNS1_3gpuE2ELNS1_3repE0EEENS1_30default_config_static_selectorELNS0_4arch9wavefront6targetE1EEEvT1_,@function
_ZN7rocprim17ROCPRIM_400000_NS6detail17trampoline_kernelINS0_14default_configENS1_20scan_config_selectorIiEEZZNS1_9scan_implILNS1_25lookback_scan_determinismE0ELb0ELb0ES3_N6thrust23THRUST_200600_302600_NS10device_ptrIiEESB_iNS9_4plusIvEEiEEDaPvRmT3_T4_T5_mT6_P12ihipStream_tbENKUlT_T0_E_clISt17integral_constantIbLb1EESQ_IbLb0EEEEDaSM_SN_EUlSM_E0_NS1_11comp_targetILNS1_3genE8ELNS1_11target_archE1030ELNS1_3gpuE2ELNS1_3repE0EEENS1_30default_config_static_selectorELNS0_4arch9wavefront6targetE1EEEvT1_: ; @_ZN7rocprim17ROCPRIM_400000_NS6detail17trampoline_kernelINS0_14default_configENS1_20scan_config_selectorIiEEZZNS1_9scan_implILNS1_25lookback_scan_determinismE0ELb0ELb0ES3_N6thrust23THRUST_200600_302600_NS10device_ptrIiEESB_iNS9_4plusIvEEiEEDaPvRmT3_T4_T5_mT6_P12ihipStream_tbENKUlT_T0_E_clISt17integral_constantIbLb1EESQ_IbLb0EEEEDaSM_SN_EUlSM_E0_NS1_11comp_targetILNS1_3genE8ELNS1_11target_archE1030ELNS1_3gpuE2ELNS1_3repE0EEENS1_30default_config_static_selectorELNS0_4arch9wavefront6targetE1EEEvT1_
; %bb.0:
	.section	.rodata,"a",@progbits
	.p2align	6, 0x0
	.amdhsa_kernel _ZN7rocprim17ROCPRIM_400000_NS6detail17trampoline_kernelINS0_14default_configENS1_20scan_config_selectorIiEEZZNS1_9scan_implILNS1_25lookback_scan_determinismE0ELb0ELb0ES3_N6thrust23THRUST_200600_302600_NS10device_ptrIiEESB_iNS9_4plusIvEEiEEDaPvRmT3_T4_T5_mT6_P12ihipStream_tbENKUlT_T0_E_clISt17integral_constantIbLb1EESQ_IbLb0EEEEDaSM_SN_EUlSM_E0_NS1_11comp_targetILNS1_3genE8ELNS1_11target_archE1030ELNS1_3gpuE2ELNS1_3repE0EEENS1_30default_config_static_selectorELNS0_4arch9wavefront6targetE1EEEvT1_
		.amdhsa_group_segment_fixed_size 0
		.amdhsa_private_segment_fixed_size 0
		.amdhsa_kernarg_size 32
		.amdhsa_user_sgpr_count 6
		.amdhsa_user_sgpr_private_segment_buffer 1
		.amdhsa_user_sgpr_dispatch_ptr 0
		.amdhsa_user_sgpr_queue_ptr 0
		.amdhsa_user_sgpr_kernarg_segment_ptr 1
		.amdhsa_user_sgpr_dispatch_id 0
		.amdhsa_user_sgpr_flat_scratch_init 0
		.amdhsa_user_sgpr_kernarg_preload_length 0
		.amdhsa_user_sgpr_kernarg_preload_offset 0
		.amdhsa_user_sgpr_private_segment_size 0
		.amdhsa_uses_dynamic_stack 0
		.amdhsa_system_sgpr_private_segment_wavefront_offset 0
		.amdhsa_system_sgpr_workgroup_id_x 1
		.amdhsa_system_sgpr_workgroup_id_y 0
		.amdhsa_system_sgpr_workgroup_id_z 0
		.amdhsa_system_sgpr_workgroup_info 0
		.amdhsa_system_vgpr_workitem_id 0
		.amdhsa_next_free_vgpr 1
		.amdhsa_next_free_sgpr 0
		.amdhsa_accum_offset 4
		.amdhsa_reserve_vcc 0
		.amdhsa_reserve_flat_scratch 0
		.amdhsa_float_round_mode_32 0
		.amdhsa_float_round_mode_16_64 0
		.amdhsa_float_denorm_mode_32 3
		.amdhsa_float_denorm_mode_16_64 3
		.amdhsa_dx10_clamp 1
		.amdhsa_ieee_mode 1
		.amdhsa_fp16_overflow 0
		.amdhsa_tg_split 0
		.amdhsa_exception_fp_ieee_invalid_op 0
		.amdhsa_exception_fp_denorm_src 0
		.amdhsa_exception_fp_ieee_div_zero 0
		.amdhsa_exception_fp_ieee_overflow 0
		.amdhsa_exception_fp_ieee_underflow 0
		.amdhsa_exception_fp_ieee_inexact 0
		.amdhsa_exception_int_div_zero 0
	.end_amdhsa_kernel
	.section	.text._ZN7rocprim17ROCPRIM_400000_NS6detail17trampoline_kernelINS0_14default_configENS1_20scan_config_selectorIiEEZZNS1_9scan_implILNS1_25lookback_scan_determinismE0ELb0ELb0ES3_N6thrust23THRUST_200600_302600_NS10device_ptrIiEESB_iNS9_4plusIvEEiEEDaPvRmT3_T4_T5_mT6_P12ihipStream_tbENKUlT_T0_E_clISt17integral_constantIbLb1EESQ_IbLb0EEEEDaSM_SN_EUlSM_E0_NS1_11comp_targetILNS1_3genE8ELNS1_11target_archE1030ELNS1_3gpuE2ELNS1_3repE0EEENS1_30default_config_static_selectorELNS0_4arch9wavefront6targetE1EEEvT1_,"axG",@progbits,_ZN7rocprim17ROCPRIM_400000_NS6detail17trampoline_kernelINS0_14default_configENS1_20scan_config_selectorIiEEZZNS1_9scan_implILNS1_25lookback_scan_determinismE0ELb0ELb0ES3_N6thrust23THRUST_200600_302600_NS10device_ptrIiEESB_iNS9_4plusIvEEiEEDaPvRmT3_T4_T5_mT6_P12ihipStream_tbENKUlT_T0_E_clISt17integral_constantIbLb1EESQ_IbLb0EEEEDaSM_SN_EUlSM_E0_NS1_11comp_targetILNS1_3genE8ELNS1_11target_archE1030ELNS1_3gpuE2ELNS1_3repE0EEENS1_30default_config_static_selectorELNS0_4arch9wavefront6targetE1EEEvT1_,comdat
.Lfunc_end6803:
	.size	_ZN7rocprim17ROCPRIM_400000_NS6detail17trampoline_kernelINS0_14default_configENS1_20scan_config_selectorIiEEZZNS1_9scan_implILNS1_25lookback_scan_determinismE0ELb0ELb0ES3_N6thrust23THRUST_200600_302600_NS10device_ptrIiEESB_iNS9_4plusIvEEiEEDaPvRmT3_T4_T5_mT6_P12ihipStream_tbENKUlT_T0_E_clISt17integral_constantIbLb1EESQ_IbLb0EEEEDaSM_SN_EUlSM_E0_NS1_11comp_targetILNS1_3genE8ELNS1_11target_archE1030ELNS1_3gpuE2ELNS1_3repE0EEENS1_30default_config_static_selectorELNS0_4arch9wavefront6targetE1EEEvT1_, .Lfunc_end6803-_ZN7rocprim17ROCPRIM_400000_NS6detail17trampoline_kernelINS0_14default_configENS1_20scan_config_selectorIiEEZZNS1_9scan_implILNS1_25lookback_scan_determinismE0ELb0ELb0ES3_N6thrust23THRUST_200600_302600_NS10device_ptrIiEESB_iNS9_4plusIvEEiEEDaPvRmT3_T4_T5_mT6_P12ihipStream_tbENKUlT_T0_E_clISt17integral_constantIbLb1EESQ_IbLb0EEEEDaSM_SN_EUlSM_E0_NS1_11comp_targetILNS1_3genE8ELNS1_11target_archE1030ELNS1_3gpuE2ELNS1_3repE0EEENS1_30default_config_static_selectorELNS0_4arch9wavefront6targetE1EEEvT1_
                                        ; -- End function
	.section	.AMDGPU.csdata,"",@progbits
; Kernel info:
; codeLenInByte = 0
; NumSgprs: 4
; NumVgprs: 0
; NumAgprs: 0
; TotalNumVgprs: 0
; ScratchSize: 0
; MemoryBound: 0
; FloatMode: 240
; IeeeMode: 1
; LDSByteSize: 0 bytes/workgroup (compile time only)
; SGPRBlocks: 0
; VGPRBlocks: 0
; NumSGPRsForWavesPerEU: 4
; NumVGPRsForWavesPerEU: 1
; AccumOffset: 4
; Occupancy: 8
; WaveLimiterHint : 0
; COMPUTE_PGM_RSRC2:SCRATCH_EN: 0
; COMPUTE_PGM_RSRC2:USER_SGPR: 6
; COMPUTE_PGM_RSRC2:TRAP_HANDLER: 0
; COMPUTE_PGM_RSRC2:TGID_X_EN: 1
; COMPUTE_PGM_RSRC2:TGID_Y_EN: 0
; COMPUTE_PGM_RSRC2:TGID_Z_EN: 0
; COMPUTE_PGM_RSRC2:TIDIG_COMP_CNT: 0
; COMPUTE_PGM_RSRC3_GFX90A:ACCUM_OFFSET: 0
; COMPUTE_PGM_RSRC3_GFX90A:TG_SPLIT: 0
	.section	.text._ZN7rocprim17ROCPRIM_400000_NS6detail17trampoline_kernelINS0_14default_configENS1_20scan_config_selectorIiEEZZNS1_9scan_implILNS1_25lookback_scan_determinismE0ELb0ELb0ES3_N6thrust23THRUST_200600_302600_NS10device_ptrIiEESB_iNS9_4plusIvEEiEEDaPvRmT3_T4_T5_mT6_P12ihipStream_tbENKUlT_T0_E_clISt17integral_constantIbLb0EESQ_IbLb1EEEEDaSM_SN_EUlSM_E_NS1_11comp_targetILNS1_3genE0ELNS1_11target_archE4294967295ELNS1_3gpuE0ELNS1_3repE0EEENS1_30default_config_static_selectorELNS0_4arch9wavefront6targetE1EEEvT1_,"axG",@progbits,_ZN7rocprim17ROCPRIM_400000_NS6detail17trampoline_kernelINS0_14default_configENS1_20scan_config_selectorIiEEZZNS1_9scan_implILNS1_25lookback_scan_determinismE0ELb0ELb0ES3_N6thrust23THRUST_200600_302600_NS10device_ptrIiEESB_iNS9_4plusIvEEiEEDaPvRmT3_T4_T5_mT6_P12ihipStream_tbENKUlT_T0_E_clISt17integral_constantIbLb0EESQ_IbLb1EEEEDaSM_SN_EUlSM_E_NS1_11comp_targetILNS1_3genE0ELNS1_11target_archE4294967295ELNS1_3gpuE0ELNS1_3repE0EEENS1_30default_config_static_selectorELNS0_4arch9wavefront6targetE1EEEvT1_,comdat
	.protected	_ZN7rocprim17ROCPRIM_400000_NS6detail17trampoline_kernelINS0_14default_configENS1_20scan_config_selectorIiEEZZNS1_9scan_implILNS1_25lookback_scan_determinismE0ELb0ELb0ES3_N6thrust23THRUST_200600_302600_NS10device_ptrIiEESB_iNS9_4plusIvEEiEEDaPvRmT3_T4_T5_mT6_P12ihipStream_tbENKUlT_T0_E_clISt17integral_constantIbLb0EESQ_IbLb1EEEEDaSM_SN_EUlSM_E_NS1_11comp_targetILNS1_3genE0ELNS1_11target_archE4294967295ELNS1_3gpuE0ELNS1_3repE0EEENS1_30default_config_static_selectorELNS0_4arch9wavefront6targetE1EEEvT1_ ; -- Begin function _ZN7rocprim17ROCPRIM_400000_NS6detail17trampoline_kernelINS0_14default_configENS1_20scan_config_selectorIiEEZZNS1_9scan_implILNS1_25lookback_scan_determinismE0ELb0ELb0ES3_N6thrust23THRUST_200600_302600_NS10device_ptrIiEESB_iNS9_4plusIvEEiEEDaPvRmT3_T4_T5_mT6_P12ihipStream_tbENKUlT_T0_E_clISt17integral_constantIbLb0EESQ_IbLb1EEEEDaSM_SN_EUlSM_E_NS1_11comp_targetILNS1_3genE0ELNS1_11target_archE4294967295ELNS1_3gpuE0ELNS1_3repE0EEENS1_30default_config_static_selectorELNS0_4arch9wavefront6targetE1EEEvT1_
	.globl	_ZN7rocprim17ROCPRIM_400000_NS6detail17trampoline_kernelINS0_14default_configENS1_20scan_config_selectorIiEEZZNS1_9scan_implILNS1_25lookback_scan_determinismE0ELb0ELb0ES3_N6thrust23THRUST_200600_302600_NS10device_ptrIiEESB_iNS9_4plusIvEEiEEDaPvRmT3_T4_T5_mT6_P12ihipStream_tbENKUlT_T0_E_clISt17integral_constantIbLb0EESQ_IbLb1EEEEDaSM_SN_EUlSM_E_NS1_11comp_targetILNS1_3genE0ELNS1_11target_archE4294967295ELNS1_3gpuE0ELNS1_3repE0EEENS1_30default_config_static_selectorELNS0_4arch9wavefront6targetE1EEEvT1_
	.p2align	8
	.type	_ZN7rocprim17ROCPRIM_400000_NS6detail17trampoline_kernelINS0_14default_configENS1_20scan_config_selectorIiEEZZNS1_9scan_implILNS1_25lookback_scan_determinismE0ELb0ELb0ES3_N6thrust23THRUST_200600_302600_NS10device_ptrIiEESB_iNS9_4plusIvEEiEEDaPvRmT3_T4_T5_mT6_P12ihipStream_tbENKUlT_T0_E_clISt17integral_constantIbLb0EESQ_IbLb1EEEEDaSM_SN_EUlSM_E_NS1_11comp_targetILNS1_3genE0ELNS1_11target_archE4294967295ELNS1_3gpuE0ELNS1_3repE0EEENS1_30default_config_static_selectorELNS0_4arch9wavefront6targetE1EEEvT1_,@function
_ZN7rocprim17ROCPRIM_400000_NS6detail17trampoline_kernelINS0_14default_configENS1_20scan_config_selectorIiEEZZNS1_9scan_implILNS1_25lookback_scan_determinismE0ELb0ELb0ES3_N6thrust23THRUST_200600_302600_NS10device_ptrIiEESB_iNS9_4plusIvEEiEEDaPvRmT3_T4_T5_mT6_P12ihipStream_tbENKUlT_T0_E_clISt17integral_constantIbLb0EESQ_IbLb1EEEEDaSM_SN_EUlSM_E_NS1_11comp_targetILNS1_3genE0ELNS1_11target_archE4294967295ELNS1_3gpuE0ELNS1_3repE0EEENS1_30default_config_static_selectorELNS0_4arch9wavefront6targetE1EEEvT1_: ; @_ZN7rocprim17ROCPRIM_400000_NS6detail17trampoline_kernelINS0_14default_configENS1_20scan_config_selectorIiEEZZNS1_9scan_implILNS1_25lookback_scan_determinismE0ELb0ELb0ES3_N6thrust23THRUST_200600_302600_NS10device_ptrIiEESB_iNS9_4plusIvEEiEEDaPvRmT3_T4_T5_mT6_P12ihipStream_tbENKUlT_T0_E_clISt17integral_constantIbLb0EESQ_IbLb1EEEEDaSM_SN_EUlSM_E_NS1_11comp_targetILNS1_3genE0ELNS1_11target_archE4294967295ELNS1_3gpuE0ELNS1_3repE0EEENS1_30default_config_static_selectorELNS0_4arch9wavefront6targetE1EEEvT1_
; %bb.0:
	.section	.rodata,"a",@progbits
	.p2align	6, 0x0
	.amdhsa_kernel _ZN7rocprim17ROCPRIM_400000_NS6detail17trampoline_kernelINS0_14default_configENS1_20scan_config_selectorIiEEZZNS1_9scan_implILNS1_25lookback_scan_determinismE0ELb0ELb0ES3_N6thrust23THRUST_200600_302600_NS10device_ptrIiEESB_iNS9_4plusIvEEiEEDaPvRmT3_T4_T5_mT6_P12ihipStream_tbENKUlT_T0_E_clISt17integral_constantIbLb0EESQ_IbLb1EEEEDaSM_SN_EUlSM_E_NS1_11comp_targetILNS1_3genE0ELNS1_11target_archE4294967295ELNS1_3gpuE0ELNS1_3repE0EEENS1_30default_config_static_selectorELNS0_4arch9wavefront6targetE1EEEvT1_
		.amdhsa_group_segment_fixed_size 0
		.amdhsa_private_segment_fixed_size 0
		.amdhsa_kernarg_size 96
		.amdhsa_user_sgpr_count 6
		.amdhsa_user_sgpr_private_segment_buffer 1
		.amdhsa_user_sgpr_dispatch_ptr 0
		.amdhsa_user_sgpr_queue_ptr 0
		.amdhsa_user_sgpr_kernarg_segment_ptr 1
		.amdhsa_user_sgpr_dispatch_id 0
		.amdhsa_user_sgpr_flat_scratch_init 0
		.amdhsa_user_sgpr_kernarg_preload_length 0
		.amdhsa_user_sgpr_kernarg_preload_offset 0
		.amdhsa_user_sgpr_private_segment_size 0
		.amdhsa_uses_dynamic_stack 0
		.amdhsa_system_sgpr_private_segment_wavefront_offset 0
		.amdhsa_system_sgpr_workgroup_id_x 1
		.amdhsa_system_sgpr_workgroup_id_y 0
		.amdhsa_system_sgpr_workgroup_id_z 0
		.amdhsa_system_sgpr_workgroup_info 0
		.amdhsa_system_vgpr_workitem_id 0
		.amdhsa_next_free_vgpr 1
		.amdhsa_next_free_sgpr 0
		.amdhsa_accum_offset 4
		.amdhsa_reserve_vcc 0
		.amdhsa_reserve_flat_scratch 0
		.amdhsa_float_round_mode_32 0
		.amdhsa_float_round_mode_16_64 0
		.amdhsa_float_denorm_mode_32 3
		.amdhsa_float_denorm_mode_16_64 3
		.amdhsa_dx10_clamp 1
		.amdhsa_ieee_mode 1
		.amdhsa_fp16_overflow 0
		.amdhsa_tg_split 0
		.amdhsa_exception_fp_ieee_invalid_op 0
		.amdhsa_exception_fp_denorm_src 0
		.amdhsa_exception_fp_ieee_div_zero 0
		.amdhsa_exception_fp_ieee_overflow 0
		.amdhsa_exception_fp_ieee_underflow 0
		.amdhsa_exception_fp_ieee_inexact 0
		.amdhsa_exception_int_div_zero 0
	.end_amdhsa_kernel
	.section	.text._ZN7rocprim17ROCPRIM_400000_NS6detail17trampoline_kernelINS0_14default_configENS1_20scan_config_selectorIiEEZZNS1_9scan_implILNS1_25lookback_scan_determinismE0ELb0ELb0ES3_N6thrust23THRUST_200600_302600_NS10device_ptrIiEESB_iNS9_4plusIvEEiEEDaPvRmT3_T4_T5_mT6_P12ihipStream_tbENKUlT_T0_E_clISt17integral_constantIbLb0EESQ_IbLb1EEEEDaSM_SN_EUlSM_E_NS1_11comp_targetILNS1_3genE0ELNS1_11target_archE4294967295ELNS1_3gpuE0ELNS1_3repE0EEENS1_30default_config_static_selectorELNS0_4arch9wavefront6targetE1EEEvT1_,"axG",@progbits,_ZN7rocprim17ROCPRIM_400000_NS6detail17trampoline_kernelINS0_14default_configENS1_20scan_config_selectorIiEEZZNS1_9scan_implILNS1_25lookback_scan_determinismE0ELb0ELb0ES3_N6thrust23THRUST_200600_302600_NS10device_ptrIiEESB_iNS9_4plusIvEEiEEDaPvRmT3_T4_T5_mT6_P12ihipStream_tbENKUlT_T0_E_clISt17integral_constantIbLb0EESQ_IbLb1EEEEDaSM_SN_EUlSM_E_NS1_11comp_targetILNS1_3genE0ELNS1_11target_archE4294967295ELNS1_3gpuE0ELNS1_3repE0EEENS1_30default_config_static_selectorELNS0_4arch9wavefront6targetE1EEEvT1_,comdat
.Lfunc_end6804:
	.size	_ZN7rocprim17ROCPRIM_400000_NS6detail17trampoline_kernelINS0_14default_configENS1_20scan_config_selectorIiEEZZNS1_9scan_implILNS1_25lookback_scan_determinismE0ELb0ELb0ES3_N6thrust23THRUST_200600_302600_NS10device_ptrIiEESB_iNS9_4plusIvEEiEEDaPvRmT3_T4_T5_mT6_P12ihipStream_tbENKUlT_T0_E_clISt17integral_constantIbLb0EESQ_IbLb1EEEEDaSM_SN_EUlSM_E_NS1_11comp_targetILNS1_3genE0ELNS1_11target_archE4294967295ELNS1_3gpuE0ELNS1_3repE0EEENS1_30default_config_static_selectorELNS0_4arch9wavefront6targetE1EEEvT1_, .Lfunc_end6804-_ZN7rocprim17ROCPRIM_400000_NS6detail17trampoline_kernelINS0_14default_configENS1_20scan_config_selectorIiEEZZNS1_9scan_implILNS1_25lookback_scan_determinismE0ELb0ELb0ES3_N6thrust23THRUST_200600_302600_NS10device_ptrIiEESB_iNS9_4plusIvEEiEEDaPvRmT3_T4_T5_mT6_P12ihipStream_tbENKUlT_T0_E_clISt17integral_constantIbLb0EESQ_IbLb1EEEEDaSM_SN_EUlSM_E_NS1_11comp_targetILNS1_3genE0ELNS1_11target_archE4294967295ELNS1_3gpuE0ELNS1_3repE0EEENS1_30default_config_static_selectorELNS0_4arch9wavefront6targetE1EEEvT1_
                                        ; -- End function
	.section	.AMDGPU.csdata,"",@progbits
; Kernel info:
; codeLenInByte = 0
; NumSgprs: 4
; NumVgprs: 0
; NumAgprs: 0
; TotalNumVgprs: 0
; ScratchSize: 0
; MemoryBound: 0
; FloatMode: 240
; IeeeMode: 1
; LDSByteSize: 0 bytes/workgroup (compile time only)
; SGPRBlocks: 0
; VGPRBlocks: 0
; NumSGPRsForWavesPerEU: 4
; NumVGPRsForWavesPerEU: 1
; AccumOffset: 4
; Occupancy: 8
; WaveLimiterHint : 0
; COMPUTE_PGM_RSRC2:SCRATCH_EN: 0
; COMPUTE_PGM_RSRC2:USER_SGPR: 6
; COMPUTE_PGM_RSRC2:TRAP_HANDLER: 0
; COMPUTE_PGM_RSRC2:TGID_X_EN: 1
; COMPUTE_PGM_RSRC2:TGID_Y_EN: 0
; COMPUTE_PGM_RSRC2:TGID_Z_EN: 0
; COMPUTE_PGM_RSRC2:TIDIG_COMP_CNT: 0
; COMPUTE_PGM_RSRC3_GFX90A:ACCUM_OFFSET: 0
; COMPUTE_PGM_RSRC3_GFX90A:TG_SPLIT: 0
	.section	.text._ZN7rocprim17ROCPRIM_400000_NS6detail17trampoline_kernelINS0_14default_configENS1_20scan_config_selectorIiEEZZNS1_9scan_implILNS1_25lookback_scan_determinismE0ELb0ELb0ES3_N6thrust23THRUST_200600_302600_NS10device_ptrIiEESB_iNS9_4plusIvEEiEEDaPvRmT3_T4_T5_mT6_P12ihipStream_tbENKUlT_T0_E_clISt17integral_constantIbLb0EESQ_IbLb1EEEEDaSM_SN_EUlSM_E_NS1_11comp_targetILNS1_3genE5ELNS1_11target_archE942ELNS1_3gpuE9ELNS1_3repE0EEENS1_30default_config_static_selectorELNS0_4arch9wavefront6targetE1EEEvT1_,"axG",@progbits,_ZN7rocprim17ROCPRIM_400000_NS6detail17trampoline_kernelINS0_14default_configENS1_20scan_config_selectorIiEEZZNS1_9scan_implILNS1_25lookback_scan_determinismE0ELb0ELb0ES3_N6thrust23THRUST_200600_302600_NS10device_ptrIiEESB_iNS9_4plusIvEEiEEDaPvRmT3_T4_T5_mT6_P12ihipStream_tbENKUlT_T0_E_clISt17integral_constantIbLb0EESQ_IbLb1EEEEDaSM_SN_EUlSM_E_NS1_11comp_targetILNS1_3genE5ELNS1_11target_archE942ELNS1_3gpuE9ELNS1_3repE0EEENS1_30default_config_static_selectorELNS0_4arch9wavefront6targetE1EEEvT1_,comdat
	.protected	_ZN7rocprim17ROCPRIM_400000_NS6detail17trampoline_kernelINS0_14default_configENS1_20scan_config_selectorIiEEZZNS1_9scan_implILNS1_25lookback_scan_determinismE0ELb0ELb0ES3_N6thrust23THRUST_200600_302600_NS10device_ptrIiEESB_iNS9_4plusIvEEiEEDaPvRmT3_T4_T5_mT6_P12ihipStream_tbENKUlT_T0_E_clISt17integral_constantIbLb0EESQ_IbLb1EEEEDaSM_SN_EUlSM_E_NS1_11comp_targetILNS1_3genE5ELNS1_11target_archE942ELNS1_3gpuE9ELNS1_3repE0EEENS1_30default_config_static_selectorELNS0_4arch9wavefront6targetE1EEEvT1_ ; -- Begin function _ZN7rocprim17ROCPRIM_400000_NS6detail17trampoline_kernelINS0_14default_configENS1_20scan_config_selectorIiEEZZNS1_9scan_implILNS1_25lookback_scan_determinismE0ELb0ELb0ES3_N6thrust23THRUST_200600_302600_NS10device_ptrIiEESB_iNS9_4plusIvEEiEEDaPvRmT3_T4_T5_mT6_P12ihipStream_tbENKUlT_T0_E_clISt17integral_constantIbLb0EESQ_IbLb1EEEEDaSM_SN_EUlSM_E_NS1_11comp_targetILNS1_3genE5ELNS1_11target_archE942ELNS1_3gpuE9ELNS1_3repE0EEENS1_30default_config_static_selectorELNS0_4arch9wavefront6targetE1EEEvT1_
	.globl	_ZN7rocprim17ROCPRIM_400000_NS6detail17trampoline_kernelINS0_14default_configENS1_20scan_config_selectorIiEEZZNS1_9scan_implILNS1_25lookback_scan_determinismE0ELb0ELb0ES3_N6thrust23THRUST_200600_302600_NS10device_ptrIiEESB_iNS9_4plusIvEEiEEDaPvRmT3_T4_T5_mT6_P12ihipStream_tbENKUlT_T0_E_clISt17integral_constantIbLb0EESQ_IbLb1EEEEDaSM_SN_EUlSM_E_NS1_11comp_targetILNS1_3genE5ELNS1_11target_archE942ELNS1_3gpuE9ELNS1_3repE0EEENS1_30default_config_static_selectorELNS0_4arch9wavefront6targetE1EEEvT1_
	.p2align	8
	.type	_ZN7rocprim17ROCPRIM_400000_NS6detail17trampoline_kernelINS0_14default_configENS1_20scan_config_selectorIiEEZZNS1_9scan_implILNS1_25lookback_scan_determinismE0ELb0ELb0ES3_N6thrust23THRUST_200600_302600_NS10device_ptrIiEESB_iNS9_4plusIvEEiEEDaPvRmT3_T4_T5_mT6_P12ihipStream_tbENKUlT_T0_E_clISt17integral_constantIbLb0EESQ_IbLb1EEEEDaSM_SN_EUlSM_E_NS1_11comp_targetILNS1_3genE5ELNS1_11target_archE942ELNS1_3gpuE9ELNS1_3repE0EEENS1_30default_config_static_selectorELNS0_4arch9wavefront6targetE1EEEvT1_,@function
_ZN7rocprim17ROCPRIM_400000_NS6detail17trampoline_kernelINS0_14default_configENS1_20scan_config_selectorIiEEZZNS1_9scan_implILNS1_25lookback_scan_determinismE0ELb0ELb0ES3_N6thrust23THRUST_200600_302600_NS10device_ptrIiEESB_iNS9_4plusIvEEiEEDaPvRmT3_T4_T5_mT6_P12ihipStream_tbENKUlT_T0_E_clISt17integral_constantIbLb0EESQ_IbLb1EEEEDaSM_SN_EUlSM_E_NS1_11comp_targetILNS1_3genE5ELNS1_11target_archE942ELNS1_3gpuE9ELNS1_3repE0EEENS1_30default_config_static_selectorELNS0_4arch9wavefront6targetE1EEEvT1_: ; @_ZN7rocprim17ROCPRIM_400000_NS6detail17trampoline_kernelINS0_14default_configENS1_20scan_config_selectorIiEEZZNS1_9scan_implILNS1_25lookback_scan_determinismE0ELb0ELb0ES3_N6thrust23THRUST_200600_302600_NS10device_ptrIiEESB_iNS9_4plusIvEEiEEDaPvRmT3_T4_T5_mT6_P12ihipStream_tbENKUlT_T0_E_clISt17integral_constantIbLb0EESQ_IbLb1EEEEDaSM_SN_EUlSM_E_NS1_11comp_targetILNS1_3genE5ELNS1_11target_archE942ELNS1_3gpuE9ELNS1_3repE0EEENS1_30default_config_static_selectorELNS0_4arch9wavefront6targetE1EEEvT1_
; %bb.0:
	.section	.rodata,"a",@progbits
	.p2align	6, 0x0
	.amdhsa_kernel _ZN7rocprim17ROCPRIM_400000_NS6detail17trampoline_kernelINS0_14default_configENS1_20scan_config_selectorIiEEZZNS1_9scan_implILNS1_25lookback_scan_determinismE0ELb0ELb0ES3_N6thrust23THRUST_200600_302600_NS10device_ptrIiEESB_iNS9_4plusIvEEiEEDaPvRmT3_T4_T5_mT6_P12ihipStream_tbENKUlT_T0_E_clISt17integral_constantIbLb0EESQ_IbLb1EEEEDaSM_SN_EUlSM_E_NS1_11comp_targetILNS1_3genE5ELNS1_11target_archE942ELNS1_3gpuE9ELNS1_3repE0EEENS1_30default_config_static_selectorELNS0_4arch9wavefront6targetE1EEEvT1_
		.amdhsa_group_segment_fixed_size 0
		.amdhsa_private_segment_fixed_size 0
		.amdhsa_kernarg_size 96
		.amdhsa_user_sgpr_count 6
		.amdhsa_user_sgpr_private_segment_buffer 1
		.amdhsa_user_sgpr_dispatch_ptr 0
		.amdhsa_user_sgpr_queue_ptr 0
		.amdhsa_user_sgpr_kernarg_segment_ptr 1
		.amdhsa_user_sgpr_dispatch_id 0
		.amdhsa_user_sgpr_flat_scratch_init 0
		.amdhsa_user_sgpr_kernarg_preload_length 0
		.amdhsa_user_sgpr_kernarg_preload_offset 0
		.amdhsa_user_sgpr_private_segment_size 0
		.amdhsa_uses_dynamic_stack 0
		.amdhsa_system_sgpr_private_segment_wavefront_offset 0
		.amdhsa_system_sgpr_workgroup_id_x 1
		.amdhsa_system_sgpr_workgroup_id_y 0
		.amdhsa_system_sgpr_workgroup_id_z 0
		.amdhsa_system_sgpr_workgroup_info 0
		.amdhsa_system_vgpr_workitem_id 0
		.amdhsa_next_free_vgpr 1
		.amdhsa_next_free_sgpr 0
		.amdhsa_accum_offset 4
		.amdhsa_reserve_vcc 0
		.amdhsa_reserve_flat_scratch 0
		.amdhsa_float_round_mode_32 0
		.amdhsa_float_round_mode_16_64 0
		.amdhsa_float_denorm_mode_32 3
		.amdhsa_float_denorm_mode_16_64 3
		.amdhsa_dx10_clamp 1
		.amdhsa_ieee_mode 1
		.amdhsa_fp16_overflow 0
		.amdhsa_tg_split 0
		.amdhsa_exception_fp_ieee_invalid_op 0
		.amdhsa_exception_fp_denorm_src 0
		.amdhsa_exception_fp_ieee_div_zero 0
		.amdhsa_exception_fp_ieee_overflow 0
		.amdhsa_exception_fp_ieee_underflow 0
		.amdhsa_exception_fp_ieee_inexact 0
		.amdhsa_exception_int_div_zero 0
	.end_amdhsa_kernel
	.section	.text._ZN7rocprim17ROCPRIM_400000_NS6detail17trampoline_kernelINS0_14default_configENS1_20scan_config_selectorIiEEZZNS1_9scan_implILNS1_25lookback_scan_determinismE0ELb0ELb0ES3_N6thrust23THRUST_200600_302600_NS10device_ptrIiEESB_iNS9_4plusIvEEiEEDaPvRmT3_T4_T5_mT6_P12ihipStream_tbENKUlT_T0_E_clISt17integral_constantIbLb0EESQ_IbLb1EEEEDaSM_SN_EUlSM_E_NS1_11comp_targetILNS1_3genE5ELNS1_11target_archE942ELNS1_3gpuE9ELNS1_3repE0EEENS1_30default_config_static_selectorELNS0_4arch9wavefront6targetE1EEEvT1_,"axG",@progbits,_ZN7rocprim17ROCPRIM_400000_NS6detail17trampoline_kernelINS0_14default_configENS1_20scan_config_selectorIiEEZZNS1_9scan_implILNS1_25lookback_scan_determinismE0ELb0ELb0ES3_N6thrust23THRUST_200600_302600_NS10device_ptrIiEESB_iNS9_4plusIvEEiEEDaPvRmT3_T4_T5_mT6_P12ihipStream_tbENKUlT_T0_E_clISt17integral_constantIbLb0EESQ_IbLb1EEEEDaSM_SN_EUlSM_E_NS1_11comp_targetILNS1_3genE5ELNS1_11target_archE942ELNS1_3gpuE9ELNS1_3repE0EEENS1_30default_config_static_selectorELNS0_4arch9wavefront6targetE1EEEvT1_,comdat
.Lfunc_end6805:
	.size	_ZN7rocprim17ROCPRIM_400000_NS6detail17trampoline_kernelINS0_14default_configENS1_20scan_config_selectorIiEEZZNS1_9scan_implILNS1_25lookback_scan_determinismE0ELb0ELb0ES3_N6thrust23THRUST_200600_302600_NS10device_ptrIiEESB_iNS9_4plusIvEEiEEDaPvRmT3_T4_T5_mT6_P12ihipStream_tbENKUlT_T0_E_clISt17integral_constantIbLb0EESQ_IbLb1EEEEDaSM_SN_EUlSM_E_NS1_11comp_targetILNS1_3genE5ELNS1_11target_archE942ELNS1_3gpuE9ELNS1_3repE0EEENS1_30default_config_static_selectorELNS0_4arch9wavefront6targetE1EEEvT1_, .Lfunc_end6805-_ZN7rocprim17ROCPRIM_400000_NS6detail17trampoline_kernelINS0_14default_configENS1_20scan_config_selectorIiEEZZNS1_9scan_implILNS1_25lookback_scan_determinismE0ELb0ELb0ES3_N6thrust23THRUST_200600_302600_NS10device_ptrIiEESB_iNS9_4plusIvEEiEEDaPvRmT3_T4_T5_mT6_P12ihipStream_tbENKUlT_T0_E_clISt17integral_constantIbLb0EESQ_IbLb1EEEEDaSM_SN_EUlSM_E_NS1_11comp_targetILNS1_3genE5ELNS1_11target_archE942ELNS1_3gpuE9ELNS1_3repE0EEENS1_30default_config_static_selectorELNS0_4arch9wavefront6targetE1EEEvT1_
                                        ; -- End function
	.section	.AMDGPU.csdata,"",@progbits
; Kernel info:
; codeLenInByte = 0
; NumSgprs: 4
; NumVgprs: 0
; NumAgprs: 0
; TotalNumVgprs: 0
; ScratchSize: 0
; MemoryBound: 0
; FloatMode: 240
; IeeeMode: 1
; LDSByteSize: 0 bytes/workgroup (compile time only)
; SGPRBlocks: 0
; VGPRBlocks: 0
; NumSGPRsForWavesPerEU: 4
; NumVGPRsForWavesPerEU: 1
; AccumOffset: 4
; Occupancy: 8
; WaveLimiterHint : 0
; COMPUTE_PGM_RSRC2:SCRATCH_EN: 0
; COMPUTE_PGM_RSRC2:USER_SGPR: 6
; COMPUTE_PGM_RSRC2:TRAP_HANDLER: 0
; COMPUTE_PGM_RSRC2:TGID_X_EN: 1
; COMPUTE_PGM_RSRC2:TGID_Y_EN: 0
; COMPUTE_PGM_RSRC2:TGID_Z_EN: 0
; COMPUTE_PGM_RSRC2:TIDIG_COMP_CNT: 0
; COMPUTE_PGM_RSRC3_GFX90A:ACCUM_OFFSET: 0
; COMPUTE_PGM_RSRC3_GFX90A:TG_SPLIT: 0
	.section	.text._ZN7rocprim17ROCPRIM_400000_NS6detail17trampoline_kernelINS0_14default_configENS1_20scan_config_selectorIiEEZZNS1_9scan_implILNS1_25lookback_scan_determinismE0ELb0ELb0ES3_N6thrust23THRUST_200600_302600_NS10device_ptrIiEESB_iNS9_4plusIvEEiEEDaPvRmT3_T4_T5_mT6_P12ihipStream_tbENKUlT_T0_E_clISt17integral_constantIbLb0EESQ_IbLb1EEEEDaSM_SN_EUlSM_E_NS1_11comp_targetILNS1_3genE4ELNS1_11target_archE910ELNS1_3gpuE8ELNS1_3repE0EEENS1_30default_config_static_selectorELNS0_4arch9wavefront6targetE1EEEvT1_,"axG",@progbits,_ZN7rocprim17ROCPRIM_400000_NS6detail17trampoline_kernelINS0_14default_configENS1_20scan_config_selectorIiEEZZNS1_9scan_implILNS1_25lookback_scan_determinismE0ELb0ELb0ES3_N6thrust23THRUST_200600_302600_NS10device_ptrIiEESB_iNS9_4plusIvEEiEEDaPvRmT3_T4_T5_mT6_P12ihipStream_tbENKUlT_T0_E_clISt17integral_constantIbLb0EESQ_IbLb1EEEEDaSM_SN_EUlSM_E_NS1_11comp_targetILNS1_3genE4ELNS1_11target_archE910ELNS1_3gpuE8ELNS1_3repE0EEENS1_30default_config_static_selectorELNS0_4arch9wavefront6targetE1EEEvT1_,comdat
	.protected	_ZN7rocprim17ROCPRIM_400000_NS6detail17trampoline_kernelINS0_14default_configENS1_20scan_config_selectorIiEEZZNS1_9scan_implILNS1_25lookback_scan_determinismE0ELb0ELb0ES3_N6thrust23THRUST_200600_302600_NS10device_ptrIiEESB_iNS9_4plusIvEEiEEDaPvRmT3_T4_T5_mT6_P12ihipStream_tbENKUlT_T0_E_clISt17integral_constantIbLb0EESQ_IbLb1EEEEDaSM_SN_EUlSM_E_NS1_11comp_targetILNS1_3genE4ELNS1_11target_archE910ELNS1_3gpuE8ELNS1_3repE0EEENS1_30default_config_static_selectorELNS0_4arch9wavefront6targetE1EEEvT1_ ; -- Begin function _ZN7rocprim17ROCPRIM_400000_NS6detail17trampoline_kernelINS0_14default_configENS1_20scan_config_selectorIiEEZZNS1_9scan_implILNS1_25lookback_scan_determinismE0ELb0ELb0ES3_N6thrust23THRUST_200600_302600_NS10device_ptrIiEESB_iNS9_4plusIvEEiEEDaPvRmT3_T4_T5_mT6_P12ihipStream_tbENKUlT_T0_E_clISt17integral_constantIbLb0EESQ_IbLb1EEEEDaSM_SN_EUlSM_E_NS1_11comp_targetILNS1_3genE4ELNS1_11target_archE910ELNS1_3gpuE8ELNS1_3repE0EEENS1_30default_config_static_selectorELNS0_4arch9wavefront6targetE1EEEvT1_
	.globl	_ZN7rocprim17ROCPRIM_400000_NS6detail17trampoline_kernelINS0_14default_configENS1_20scan_config_selectorIiEEZZNS1_9scan_implILNS1_25lookback_scan_determinismE0ELb0ELb0ES3_N6thrust23THRUST_200600_302600_NS10device_ptrIiEESB_iNS9_4plusIvEEiEEDaPvRmT3_T4_T5_mT6_P12ihipStream_tbENKUlT_T0_E_clISt17integral_constantIbLb0EESQ_IbLb1EEEEDaSM_SN_EUlSM_E_NS1_11comp_targetILNS1_3genE4ELNS1_11target_archE910ELNS1_3gpuE8ELNS1_3repE0EEENS1_30default_config_static_selectorELNS0_4arch9wavefront6targetE1EEEvT1_
	.p2align	8
	.type	_ZN7rocprim17ROCPRIM_400000_NS6detail17trampoline_kernelINS0_14default_configENS1_20scan_config_selectorIiEEZZNS1_9scan_implILNS1_25lookback_scan_determinismE0ELb0ELb0ES3_N6thrust23THRUST_200600_302600_NS10device_ptrIiEESB_iNS9_4plusIvEEiEEDaPvRmT3_T4_T5_mT6_P12ihipStream_tbENKUlT_T0_E_clISt17integral_constantIbLb0EESQ_IbLb1EEEEDaSM_SN_EUlSM_E_NS1_11comp_targetILNS1_3genE4ELNS1_11target_archE910ELNS1_3gpuE8ELNS1_3repE0EEENS1_30default_config_static_selectorELNS0_4arch9wavefront6targetE1EEEvT1_,@function
_ZN7rocprim17ROCPRIM_400000_NS6detail17trampoline_kernelINS0_14default_configENS1_20scan_config_selectorIiEEZZNS1_9scan_implILNS1_25lookback_scan_determinismE0ELb0ELb0ES3_N6thrust23THRUST_200600_302600_NS10device_ptrIiEESB_iNS9_4plusIvEEiEEDaPvRmT3_T4_T5_mT6_P12ihipStream_tbENKUlT_T0_E_clISt17integral_constantIbLb0EESQ_IbLb1EEEEDaSM_SN_EUlSM_E_NS1_11comp_targetILNS1_3genE4ELNS1_11target_archE910ELNS1_3gpuE8ELNS1_3repE0EEENS1_30default_config_static_selectorELNS0_4arch9wavefront6targetE1EEEvT1_: ; @_ZN7rocprim17ROCPRIM_400000_NS6detail17trampoline_kernelINS0_14default_configENS1_20scan_config_selectorIiEEZZNS1_9scan_implILNS1_25lookback_scan_determinismE0ELb0ELb0ES3_N6thrust23THRUST_200600_302600_NS10device_ptrIiEESB_iNS9_4plusIvEEiEEDaPvRmT3_T4_T5_mT6_P12ihipStream_tbENKUlT_T0_E_clISt17integral_constantIbLb0EESQ_IbLb1EEEEDaSM_SN_EUlSM_E_NS1_11comp_targetILNS1_3genE4ELNS1_11target_archE910ELNS1_3gpuE8ELNS1_3repE0EEENS1_30default_config_static_selectorELNS0_4arch9wavefront6targetE1EEEvT1_
; %bb.0:
	s_load_dwordx2 s[6:7], s[4:5], 0x28
	v_cmp_ne_u32_e64 s[0:1], 0, v0
	v_cmp_eq_u32_e64 s[2:3], 0, v0
	s_and_saveexec_b64 s[8:9], s[2:3]
	s_cbranch_execz .LBB6806_4
; %bb.1:
	s_mov_b64 s[12:13], exec
	v_mbcnt_lo_u32_b32 v1, s12, 0
	v_mbcnt_hi_u32_b32 v1, s13, v1
	v_cmp_eq_u32_e32 vcc, 0, v1
                                        ; implicit-def: $vgpr2
	s_and_saveexec_b64 s[10:11], vcc
	s_cbranch_execz .LBB6806_3
; %bb.2:
	s_load_dwordx2 s[14:15], s[4:5], 0x58
	s_bcnt1_i32_b64 s12, s[12:13]
	v_mov_b32_e32 v2, 0
	v_mov_b32_e32 v3, s12
	s_waitcnt lgkmcnt(0)
	global_atomic_add v2, v2, v3, s[14:15] glc
.LBB6806_3:
	s_or_b64 exec, exec, s[10:11]
	s_waitcnt vmcnt(0)
	v_readfirstlane_b32 s10, v2
	v_add_u32_e32 v1, s10, v1
	v_mov_b32_e32 v2, 0
	ds_write_b32 v2, v1
.LBB6806_4:
	s_or_b64 exec, exec, s[8:9]
	s_load_dwordx8 s[16:23], s[4:5], 0x0
	s_load_dword s24, s[4:5], 0x30
	s_load_dwordx8 s[8:15], s[4:5], 0x38
	v_mov_b32_e32 v1, 0
	s_waitcnt lgkmcnt(0)
	s_barrier
	ds_read_b32 v1, v1
	s_lshl_b64 s[18:19], s[18:19], 2
	s_add_u32 s25, s16, s18
	s_addc_u32 s26, s17, s19
	s_add_i32 s16, s24, -1
	s_mul_i32 s17, s16, 0x500
	s_sub_u32 s30, s22, s17
	s_waitcnt lgkmcnt(0)
	v_readfirstlane_b32 s33, v1
	s_subb_u32 s31, s23, 0
	s_mul_i32 s4, s33, 0x500
	s_mov_b32 s5, 0
	s_cmp_lg_u32 s33, s16
	s_cselect_b64 s[16:17], -1, 0
	s_lshl_b64 s[22:23], s[4:5], 2
	s_add_u32 s24, s25, s22
	s_addc_u32 s25, s26, s23
	s_mov_b64 s[4:5], -1
	s_and_b64 vcc, exec, s[16:17]
	v_lshlrev_b32_e32 v22, 2, v0
	s_barrier
	s_cbranch_vccz .LBB6806_6
; %bb.5:
	v_mov_b32_e32 v1, s25
	v_add_co_u32_e32 v2, vcc, s24, v22
	v_addc_co_u32_e32 v3, vcc, 0, v1, vcc
	flat_load_dword v1, v[2:3]
	flat_load_dword v4, v[2:3] offset:512
	flat_load_dword v5, v[2:3] offset:1024
	;; [unrolled: 1-line block ×7, first 2 shown]
	v_add_co_u32_e32 v2, vcc, 0x1000, v2
	v_addc_co_u32_e32 v3, vcc, 0, v3, vcc
	flat_load_dword v11, v[2:3]
	flat_load_dword v12, v[2:3] offset:512
	s_mov_b64 s[4:5], 0
	s_waitcnt vmcnt(0) lgkmcnt(0)
	ds_write2st64_b32 v22, v1, v4 offset1:2
	ds_write2st64_b32 v22, v5, v6 offset0:4 offset1:6
	ds_write2st64_b32 v22, v7, v8 offset0:8 offset1:10
	;; [unrolled: 1-line block ×4, first 2 shown]
	s_waitcnt lgkmcnt(0)
	s_barrier
.LBB6806_6:
	s_andn2_b64 vcc, exec, s[4:5]
	v_cmp_gt_u32_e64 s[4:5], s30, v0
	s_cbranch_vccnz .LBB6806_28
; %bb.7:
	v_pk_mov_b32 v[2:3], s[24:25], s[24:25] op_sel:[0,1]
	flat_load_dword v1, v[2:3]
	s_waitcnt vmcnt(0) lgkmcnt(0)
	v_mov_b32_e32 v2, v1
	v_mov_b32_e32 v3, v1
	;; [unrolled: 1-line block ×9, first 2 shown]
	s_and_saveexec_b64 s[26:27], s[4:5]
	s_cbranch_execz .LBB6806_9
; %bb.8:
	v_mov_b32_e32 v11, s25
	v_add_co_u32_e32 v10, vcc, s24, v22
	v_addc_co_u32_e32 v11, vcc, 0, v11, vcc
	flat_load_dword v10, v[10:11]
.LBB6806_9:
	s_or_b64 exec, exec, s[26:27]
	v_or_b32_e32 v11, 0x80, v0
	v_cmp_gt_u32_e32 vcc, s30, v11
	s_and_saveexec_b64 s[4:5], vcc
	s_cbranch_execz .LBB6806_11
; %bb.10:
	v_mov_b32_e32 v1, s25
	v_add_co_u32_e32 v12, vcc, s24, v22
	v_addc_co_u32_e32 v13, vcc, 0, v1, vcc
	flat_load_dword v1, v[12:13] offset:512
.LBB6806_11:
	s_or_b64 exec, exec, s[4:5]
	v_or_b32_e32 v11, 0x100, v0
	v_cmp_gt_u32_e32 vcc, s30, v11
	s_and_saveexec_b64 s[4:5], vcc
	s_cbranch_execz .LBB6806_13
; %bb.12:
	v_mov_b32_e32 v2, s25
	v_add_co_u32_e32 v12, vcc, s24, v22
	v_addc_co_u32_e32 v13, vcc, 0, v2, vcc
	flat_load_dword v2, v[12:13] offset:1024
.LBB6806_13:
	s_or_b64 exec, exec, s[4:5]
	v_or_b32_e32 v11, 0x180, v0
	v_cmp_gt_u32_e32 vcc, s30, v11
	s_and_saveexec_b64 s[4:5], vcc
	s_cbranch_execz .LBB6806_15
; %bb.14:
	v_mov_b32_e32 v3, s25
	v_add_co_u32_e32 v12, vcc, s24, v22
	v_addc_co_u32_e32 v13, vcc, 0, v3, vcc
	flat_load_dword v3, v[12:13] offset:1536
.LBB6806_15:
	s_or_b64 exec, exec, s[4:5]
	v_or_b32_e32 v11, 0x200, v0
	v_cmp_gt_u32_e32 vcc, s30, v11
	s_and_saveexec_b64 s[4:5], vcc
	s_cbranch_execz .LBB6806_17
; %bb.16:
	v_mov_b32_e32 v4, s25
	v_add_co_u32_e32 v12, vcc, s24, v22
	v_addc_co_u32_e32 v13, vcc, 0, v4, vcc
	flat_load_dword v4, v[12:13] offset:2048
.LBB6806_17:
	s_or_b64 exec, exec, s[4:5]
	v_or_b32_e32 v11, 0x280, v0
	v_cmp_gt_u32_e32 vcc, s30, v11
	s_and_saveexec_b64 s[4:5], vcc
	s_cbranch_execz .LBB6806_19
; %bb.18:
	v_mov_b32_e32 v5, s25
	v_add_co_u32_e32 v12, vcc, s24, v22
	v_addc_co_u32_e32 v13, vcc, 0, v5, vcc
	flat_load_dword v5, v[12:13] offset:2560
.LBB6806_19:
	s_or_b64 exec, exec, s[4:5]
	v_or_b32_e32 v11, 0x300, v0
	v_cmp_gt_u32_e32 vcc, s30, v11
	s_and_saveexec_b64 s[4:5], vcc
	s_cbranch_execz .LBB6806_21
; %bb.20:
	v_mov_b32_e32 v6, s25
	v_add_co_u32_e32 v12, vcc, s24, v22
	v_addc_co_u32_e32 v13, vcc, 0, v6, vcc
	flat_load_dword v6, v[12:13] offset:3072
.LBB6806_21:
	s_or_b64 exec, exec, s[4:5]
	v_or_b32_e32 v11, 0x380, v0
	v_cmp_gt_u32_e32 vcc, s30, v11
	s_and_saveexec_b64 s[4:5], vcc
	s_cbranch_execz .LBB6806_23
; %bb.22:
	v_mov_b32_e32 v7, s25
	v_add_co_u32_e32 v12, vcc, s24, v22
	v_addc_co_u32_e32 v13, vcc, 0, v7, vcc
	flat_load_dword v7, v[12:13] offset:3584
.LBB6806_23:
	s_or_b64 exec, exec, s[4:5]
	v_or_b32_e32 v11, 0x400, v0
	v_cmp_gt_u32_e32 vcc, s30, v11
	s_and_saveexec_b64 s[4:5], vcc
	s_cbranch_execz .LBB6806_25
; %bb.24:
	v_lshlrev_b32_e32 v8, 2, v11
	v_mov_b32_e32 v11, s25
	v_add_co_u32_e32 v12, vcc, s24, v8
	v_addc_co_u32_e32 v13, vcc, 0, v11, vcc
	flat_load_dword v8, v[12:13]
.LBB6806_25:
	s_or_b64 exec, exec, s[4:5]
	v_or_b32_e32 v11, 0x480, v0
	v_cmp_gt_u32_e32 vcc, s30, v11
	s_and_saveexec_b64 s[4:5], vcc
	s_cbranch_execz .LBB6806_27
; %bb.26:
	v_lshlrev_b32_e32 v9, 2, v11
	v_mov_b32_e32 v11, s25
	v_add_co_u32_e32 v12, vcc, s24, v9
	v_addc_co_u32_e32 v13, vcc, 0, v11, vcc
	flat_load_dword v9, v[12:13]
.LBB6806_27:
	s_or_b64 exec, exec, s[4:5]
	s_waitcnt vmcnt(0) lgkmcnt(0)
	ds_write2st64_b32 v22, v10, v1 offset1:2
	ds_write2st64_b32 v22, v2, v3 offset0:4 offset1:6
	ds_write2st64_b32 v22, v4, v5 offset0:8 offset1:10
	;; [unrolled: 1-line block ×4, first 2 shown]
	s_waitcnt lgkmcnt(0)
	s_barrier
.LBB6806_28:
	v_mul_u32_u24_e32 v23, 10, v0
	v_lshlrev_b32_e32 v1, 2, v23
	ds_read2_b64 v[2:5], v1 offset1:1
	ds_read2_b64 v[16:19], v1 offset0:2 offset1:3
	ds_read_b64 v[20:21], v1 offset:32
	s_cmp_lg_u32 s33, 0
	v_lshrrev_b32_e32 v24, 5, v0
	v_cmp_gt_u32_e32 vcc, 64, v0
	s_waitcnt lgkmcnt(0)
	s_barrier
	s_cbranch_scc0 .LBB6806_53
; %bb.29:
	v_add_u32_e32 v6, v3, v2
	v_add3_u32 v6, v6, v4, v5
	v_add3_u32 v6, v6, v16, v17
	;; [unrolled: 1-line block ×4, first 2 shown]
	v_add_lshl_u32 v7, v24, v0, 2
	ds_write_b32 v7, v6
	s_waitcnt lgkmcnt(0)
	s_barrier
	s_and_saveexec_b64 s[24:25], vcc
	s_cbranch_execz .LBB6806_31
; %bb.30:
	v_lshlrev_b32_e32 v7, 1, v0
	v_lshrrev_b32_e32 v8, 4, v0
	v_add_lshl_u32 v7, v8, v7, 2
	ds_read2_b32 v[8:9], v7 offset1:1
	v_mbcnt_lo_u32_b32 v10, -1, 0
	v_mbcnt_hi_u32_b32 v10, -1, v10
	v_and_b32_e32 v11, 15, v10
	v_cmp_ne_u32_e64 s[4:5], 0, v11
	s_waitcnt lgkmcnt(0)
	v_add_u32_e32 v9, v9, v8
	; wave barrier
	s_nop 1
	v_mov_b32_dpp v12, v9 row_shr:1 row_mask:0xf bank_mask:0xf
	v_cndmask_b32_e64 v12, 0, v12, s[4:5]
	v_add_u32_e32 v9, v12, v9
	v_cmp_lt_u32_e64 s[4:5], 1, v11
	s_nop 0
	v_mov_b32_dpp v12, v9 row_shr:2 row_mask:0xf bank_mask:0xf
	v_cndmask_b32_e64 v12, 0, v12, s[4:5]
	v_add_u32_e32 v9, v9, v12
	v_cmp_lt_u32_e64 s[4:5], 3, v11
	s_nop 0
	v_mov_b32_dpp v12, v9 row_shr:4 row_mask:0xf bank_mask:0xf
	v_cndmask_b32_e64 v12, 0, v12, s[4:5]
	v_add_u32_e32 v9, v9, v12
	v_cmp_lt_u32_e64 s[4:5], 7, v11
	s_nop 0
	v_mov_b32_dpp v12, v9 row_shr:8 row_mask:0xf bank_mask:0xf
	v_cndmask_b32_e64 v11, 0, v12, s[4:5]
	v_add_u32_e32 v9, v9, v11
	v_bfe_i32 v12, v10, 4, 1
	v_cmp_lt_u32_e64 s[4:5], 31, v10
	v_mov_b32_dpp v11, v9 row_bcast:15 row_mask:0xf bank_mask:0xf
	v_and_b32_e32 v11, v12, v11
	v_add_u32_e32 v9, v9, v11
	v_and_b32_e32 v12, 64, v10
	s_nop 0
	v_mov_b32_dpp v11, v9 row_bcast:31 row_mask:0xf bank_mask:0xf
	v_cndmask_b32_e64 v11, 0, v11, s[4:5]
	v_add_u32_e32 v9, v9, v11
	v_add_u32_e32 v11, -1, v10
	v_cmp_lt_i32_e64 s[4:5], v11, v12
	v_cndmask_b32_e64 v10, v11, v10, s[4:5]
	v_lshlrev_b32_e32 v10, 2, v10
	ds_bpermute_b32 v9, v10, v9
	s_waitcnt lgkmcnt(0)
	v_add_u32_e32 v8, v9, v8
	v_cndmask_b32_e64 v6, v8, v6, s[2:3]
	ds_write_b32 v7, v6
	; wave barrier
	ds_read_b32 v8, v7 offset:4
	s_waitcnt lgkmcnt(0)
	v_add_u32_e32 v6, v8, v6
	ds_write_b32 v7, v6 offset:4
.LBB6806_31:
	s_or_b64 exec, exec, s[24:25]
	v_mov_b32_e32 v25, 0
	s_waitcnt lgkmcnt(0)
	s_barrier
	s_and_saveexec_b64 s[4:5], s[0:1]
	s_cbranch_execz .LBB6806_33
; %bb.32:
	v_add_u32_e32 v6, -1, v0
	v_lshrrev_b32_e32 v7, 5, v6
	v_add_lshl_u32 v6, v7, v6, 2
	ds_read_b32 v25, v6
.LBB6806_33:
	s_or_b64 exec, exec, s[4:5]
	s_and_saveexec_b64 s[24:25], vcc
	s_cbranch_execz .LBB6806_52
; %bb.34:
	v_mov_b32_e32 v13, 0
	ds_read_b32 v6, v13 offset:520
	v_mbcnt_lo_u32_b32 v7, -1, 0
	v_mbcnt_hi_u32_b32 v9, -1, v7
	s_mov_b32 s29, 0
	v_cmp_eq_u32_e64 s[4:5], 0, v9
	s_and_saveexec_b64 s[26:27], s[4:5]
	s_cbranch_execz .LBB6806_36
; %bb.35:
	s_add_i32 s28, s33, 64
	s_lshl_b64 s[28:29], s[28:29], 3
	s_add_u32 s28, s6, s28
	v_mov_b32_e32 v7, 1
	s_addc_u32 s29, s7, s29
	s_waitcnt lgkmcnt(0)
	global_store_dwordx2 v13, v[6:7], s[28:29]
.LBB6806_36:
	s_or_b64 exec, exec, s[26:27]
	v_xad_u32 v8, v9, -1, s33
	v_add_u32_e32 v12, 64, v8
	v_lshlrev_b64 v[10:11], 3, v[12:13]
	v_mov_b32_e32 v7, s7
	v_add_co_u32_e32 v14, vcc, s6, v10
	v_addc_co_u32_e32 v15, vcc, v7, v11, vcc
	global_load_dwordx2 v[10:11], v[14:15], off glc
	s_waitcnt vmcnt(0)
	v_cmp_eq_u16_sdwa s[28:29], v11, v13 src0_sel:BYTE_0 src1_sel:DWORD
	s_and_saveexec_b64 s[26:27], s[28:29]
	s_cbranch_execz .LBB6806_40
; %bb.37:
	s_mov_b64 s[28:29], 0
	v_mov_b32_e32 v7, 0
.LBB6806_38:                            ; =>This Inner Loop Header: Depth=1
	global_load_dwordx2 v[10:11], v[14:15], off glc
	s_waitcnt vmcnt(0)
	v_cmp_ne_u16_sdwa s[34:35], v11, v7 src0_sel:BYTE_0 src1_sel:DWORD
	s_or_b64 s[28:29], s[34:35], s[28:29]
	s_andn2_b64 exec, exec, s[28:29]
	s_cbranch_execnz .LBB6806_38
; %bb.39:
	s_or_b64 exec, exec, s[28:29]
.LBB6806_40:
	s_or_b64 exec, exec, s[26:27]
	v_and_b32_e32 v26, 63, v9
	v_mov_b32_e32 v7, 2
	v_cmp_ne_u32_e32 vcc, 63, v26
	v_cmp_eq_u16_sdwa s[26:27], v11, v7 src0_sel:BYTE_0 src1_sel:DWORD
	v_lshlrev_b64 v[12:13], v9, -1
	v_addc_co_u32_e32 v27, vcc, 0, v9, vcc
	v_and_b32_e32 v14, s27, v13
	v_lshlrev_b32_e32 v27, 2, v27
	v_or_b32_e32 v14, 0x80000000, v14
	ds_bpermute_b32 v28, v27, v10
	v_and_b32_e32 v15, s26, v12
	v_ffbl_b32_e32 v14, v14
	v_add_u32_e32 v14, 32, v14
	v_ffbl_b32_e32 v15, v15
	v_min_u32_e32 v14, v15, v14
	v_cmp_lt_u32_e32 vcc, v26, v14
	s_waitcnt lgkmcnt(0)
	v_cndmask_b32_e32 v15, 0, v28, vcc
	v_cmp_gt_u32_e32 vcc, 62, v26
	v_add_u32_e32 v10, v15, v10
	v_cndmask_b32_e64 v15, 0, 1, vcc
	v_lshlrev_b32_e32 v15, 1, v15
	v_add_lshl_u32 v28, v15, v9, 2
	ds_bpermute_b32 v15, v28, v10
	v_add_u32_e32 v29, 2, v26
	v_cmp_le_u32_e32 vcc, v29, v14
	v_add_u32_e32 v31, 4, v26
	v_add_u32_e32 v33, 8, v26
	s_waitcnt lgkmcnt(0)
	v_cndmask_b32_e32 v15, 0, v15, vcc
	v_cmp_gt_u32_e32 vcc, 60, v26
	v_add_u32_e32 v10, v10, v15
	v_cndmask_b32_e64 v15, 0, 1, vcc
	v_lshlrev_b32_e32 v15, 2, v15
	v_add_lshl_u32 v30, v15, v9, 2
	ds_bpermute_b32 v15, v30, v10
	v_cmp_le_u32_e32 vcc, v31, v14
	v_add_u32_e32 v36, 16, v26
	v_add_u32_e32 v38, 32, v26
	s_waitcnt lgkmcnt(0)
	v_cndmask_b32_e32 v15, 0, v15, vcc
	v_cmp_gt_u32_e32 vcc, 56, v26
	v_add_u32_e32 v10, v10, v15
	v_cndmask_b32_e64 v15, 0, 1, vcc
	v_lshlrev_b32_e32 v15, 3, v15
	v_add_lshl_u32 v32, v15, v9, 2
	ds_bpermute_b32 v15, v32, v10
	v_cmp_le_u32_e32 vcc, v33, v14
	s_waitcnt lgkmcnt(0)
	v_cndmask_b32_e32 v15, 0, v15, vcc
	v_cmp_gt_u32_e32 vcc, 48, v26
	v_add_u32_e32 v10, v10, v15
	v_cndmask_b32_e64 v15, 0, 1, vcc
	v_lshlrev_b32_e32 v15, 4, v15
	v_add_lshl_u32 v35, v15, v9, 2
	ds_bpermute_b32 v15, v35, v10
	v_cmp_le_u32_e32 vcc, v36, v14
	;; [unrolled: 9-line block ×3, first 2 shown]
	s_waitcnt lgkmcnt(0)
	v_cndmask_b32_e32 v9, 0, v9, vcc
	v_add_u32_e32 v10, v10, v9
	v_mov_b32_e32 v9, 0
	s_branch .LBB6806_42
.LBB6806_41:                            ;   in Loop: Header=BB6806_42 Depth=1
	s_or_b64 exec, exec, s[26:27]
	v_cmp_eq_u16_sdwa s[26:27], v11, v7 src0_sel:BYTE_0 src1_sel:DWORD
	v_and_b32_e32 v14, s27, v13
	v_or_b32_e32 v14, 0x80000000, v14
	ds_bpermute_b32 v39, v27, v10
	v_and_b32_e32 v15, s26, v12
	v_ffbl_b32_e32 v14, v14
	v_add_u32_e32 v14, 32, v14
	v_ffbl_b32_e32 v15, v15
	v_min_u32_e32 v14, v15, v14
	v_cmp_lt_u32_e32 vcc, v26, v14
	s_waitcnt lgkmcnt(0)
	v_cndmask_b32_e32 v15, 0, v39, vcc
	v_add_u32_e32 v10, v15, v10
	ds_bpermute_b32 v15, v28, v10
	v_cmp_le_u32_e32 vcc, v29, v14
	v_subrev_u32_e32 v8, 64, v8
	s_waitcnt lgkmcnt(0)
	v_cndmask_b32_e32 v15, 0, v15, vcc
	v_add_u32_e32 v10, v10, v15
	ds_bpermute_b32 v15, v30, v10
	v_cmp_le_u32_e32 vcc, v31, v14
	s_waitcnt lgkmcnt(0)
	v_cndmask_b32_e32 v15, 0, v15, vcc
	v_add_u32_e32 v10, v10, v15
	ds_bpermute_b32 v15, v32, v10
	v_cmp_le_u32_e32 vcc, v33, v14
	;; [unrolled: 5-line block ×4, first 2 shown]
	s_waitcnt lgkmcnt(0)
	v_cndmask_b32_e32 v14, 0, v15, vcc
	v_add3_u32 v10, v14, v34, v10
.LBB6806_42:                            ; =>This Loop Header: Depth=1
                                        ;     Child Loop BB6806_45 Depth 2
	v_cmp_ne_u16_sdwa s[26:27], v11, v7 src0_sel:BYTE_0 src1_sel:DWORD
	v_cndmask_b32_e64 v11, 0, 1, s[26:27]
	;;#ASMSTART
	;;#ASMEND
	v_cmp_ne_u32_e32 vcc, 0, v11
	s_cmp_lg_u64 vcc, exec
	v_mov_b32_e32 v34, v10
	s_cbranch_scc1 .LBB6806_47
; %bb.43:                               ;   in Loop: Header=BB6806_42 Depth=1
	v_lshlrev_b64 v[10:11], 3, v[8:9]
	v_mov_b32_e32 v15, s7
	v_add_co_u32_e32 v14, vcc, s6, v10
	v_addc_co_u32_e32 v15, vcc, v15, v11, vcc
	global_load_dwordx2 v[10:11], v[14:15], off glc
	s_waitcnt vmcnt(0)
	v_cmp_eq_u16_sdwa s[28:29], v11, v9 src0_sel:BYTE_0 src1_sel:DWORD
	s_and_saveexec_b64 s[26:27], s[28:29]
	s_cbranch_execz .LBB6806_41
; %bb.44:                               ;   in Loop: Header=BB6806_42 Depth=1
	s_mov_b64 s[28:29], 0
.LBB6806_45:                            ;   Parent Loop BB6806_42 Depth=1
                                        ; =>  This Inner Loop Header: Depth=2
	global_load_dwordx2 v[10:11], v[14:15], off glc
	s_waitcnt vmcnt(0)
	v_cmp_ne_u16_sdwa s[34:35], v11, v9 src0_sel:BYTE_0 src1_sel:DWORD
	s_or_b64 s[28:29], s[34:35], s[28:29]
	s_andn2_b64 exec, exec, s[28:29]
	s_cbranch_execnz .LBB6806_45
; %bb.46:                               ;   in Loop: Header=BB6806_42 Depth=1
	s_or_b64 exec, exec, s[28:29]
	s_branch .LBB6806_41
.LBB6806_47:                            ;   in Loop: Header=BB6806_42 Depth=1
                                        ; implicit-def: $vgpr10
                                        ; implicit-def: $vgpr11
	s_cbranch_execz .LBB6806_42
; %bb.48:
	s_and_saveexec_b64 s[26:27], s[4:5]
	s_cbranch_execz .LBB6806_50
; %bb.49:
	s_add_i32 s4, s33, 64
	s_mov_b32 s5, 0
	s_lshl_b64 s[4:5], s[4:5], 3
	s_add_u32 s4, s6, s4
	v_add_u32_e32 v6, v34, v6
	v_mov_b32_e32 v7, 2
	s_addc_u32 s5, s7, s5
	v_mov_b32_e32 v8, 0
	global_store_dwordx2 v8, v[6:7], s[4:5]
.LBB6806_50:
	s_or_b64 exec, exec, s[26:27]
	s_and_b64 exec, exec, s[2:3]
	s_cbranch_execz .LBB6806_52
; %bb.51:
	v_mov_b32_e32 v6, 0
	ds_write_b32 v6, v34
.LBB6806_52:
	s_or_b64 exec, exec, s[24:25]
	v_mov_b32_e32 v6, 0
	s_waitcnt lgkmcnt(0)
	s_barrier
	ds_read_b32 v6, v6
	s_waitcnt lgkmcnt(0)
	v_add3_u32 v6, v25, v2, v6
	v_add_u32_e32 v7, v6, v3
	v_add_u32_e32 v8, v7, v4
	;; [unrolled: 1-line block ×9, first 2 shown]
	s_branch .LBB6806_65
.LBB6806_53:
                                        ; implicit-def: $vgpr6_vgpr7_vgpr8_vgpr9_vgpr10_vgpr11_vgpr12_vgpr13_vgpr14_vgpr15
	s_cbranch_execz .LBB6806_65
; %bb.54:
	s_cmp_lg_u64 s[12:13], 0
	s_cselect_b64 s[4:5], -1, 0
	s_and_b64 s[12:13], s[2:3], s[4:5]
	v_mov_b32_e32 v12, v3
	v_mov_b32_e32 v13, v4
	;; [unrolled: 1-line block ×3, first 2 shown]
	s_and_saveexec_b64 s[4:5], s[12:13]
	s_cbranch_execz .LBB6806_56
; %bb.55:
	v_mov_b32_e32 v6, 0
	global_load_dword v6, v6, s[8:9]
	v_mov_b32_e32 v12, v3
	v_mov_b32_e32 v13, v4
	v_mov_b32_e32 v14, v5
	s_waitcnt vmcnt(0)
	v_add_u32_e32 v2, v6, v2
.LBB6806_56:
	s_or_b64 exec, exec, s[4:5]
	v_add_u32_e32 v3, v12, v2
	v_add_u32_e32 v4, v3, v13
	;; [unrolled: 1-line block ×9, first 2 shown]
	v_add_lshl_u32 v15, v24, v0, 2
	v_cmp_gt_u32_e32 vcc, 64, v0
	ds_write_b32 v15, v11
	s_waitcnt lgkmcnt(0)
	s_barrier
	s_and_saveexec_b64 s[4:5], vcc
	s_cbranch_execz .LBB6806_58
; %bb.57:
	v_lshlrev_b32_e32 v15, 1, v0
	v_lshrrev_b32_e32 v24, 4, v0
	v_add_lshl_u32 v15, v24, v15, 2
	ds_read2_b32 v[24:25], v15 offset1:1
	v_mbcnt_lo_u32_b32 v26, -1, 0
	v_mbcnt_hi_u32_b32 v26, -1, v26
	v_and_b32_e32 v27, 15, v26
	v_cmp_ne_u32_e32 vcc, 0, v27
	s_waitcnt lgkmcnt(0)
	v_add_u32_e32 v25, v25, v24
	; wave barrier
	s_nop 1
	v_mov_b32_dpp v28, v25 row_shr:1 row_mask:0xf bank_mask:0xf
	v_cndmask_b32_e32 v28, 0, v28, vcc
	v_add_u32_e32 v25, v28, v25
	v_cmp_lt_u32_e32 vcc, 1, v27
	s_nop 0
	v_mov_b32_dpp v28, v25 row_shr:2 row_mask:0xf bank_mask:0xf
	v_cndmask_b32_e32 v28, 0, v28, vcc
	v_add_u32_e32 v25, v25, v28
	v_cmp_lt_u32_e32 vcc, 3, v27
	;; [unrolled: 5-line block ×3, first 2 shown]
	s_nop 0
	v_mov_b32_dpp v28, v25 row_shr:8 row_mask:0xf bank_mask:0xf
	v_cndmask_b32_e32 v27, 0, v28, vcc
	v_add_u32_e32 v25, v25, v27
	v_bfe_i32 v28, v26, 4, 1
	v_cmp_lt_u32_e32 vcc, 31, v26
	v_mov_b32_dpp v27, v25 row_bcast:15 row_mask:0xf bank_mask:0xf
	v_and_b32_e32 v27, v28, v27
	v_add_u32_e32 v25, v25, v27
	v_and_b32_e32 v28, 64, v26
	s_nop 0
	v_mov_b32_dpp v27, v25 row_bcast:31 row_mask:0xf bank_mask:0xf
	v_cndmask_b32_e32 v27, 0, v27, vcc
	v_add_u32_e32 v25, v25, v27
	v_add_u32_e32 v27, -1, v26
	v_cmp_lt_i32_e32 vcc, v27, v28
	v_cndmask_b32_e32 v26, v27, v26, vcc
	v_lshlrev_b32_e32 v26, 2, v26
	ds_bpermute_b32 v25, v26, v25
	s_waitcnt lgkmcnt(0)
	v_add_u32_e32 v24, v25, v24
	v_cndmask_b32_e64 v24, v24, v11, s[2:3]
	ds_write_b32 v15, v24
	; wave barrier
	ds_read_b32 v25, v15 offset:4
	s_waitcnt lgkmcnt(0)
	v_add_u32_e32 v24, v25, v24
	ds_write_b32 v15, v24 offset:4
.LBB6806_58:
	s_or_b64 exec, exec, s[4:5]
	v_mov_b32_e32 v15, v11
	s_waitcnt lgkmcnt(0)
	s_barrier
	s_and_saveexec_b64 s[2:3], s[0:1]
	s_cbranch_execz .LBB6806_60
; %bb.59:
	v_add_u32_e32 v15, -1, v0
	v_lshrrev_b32_e32 v24, 5, v15
	v_add_lshl_u32 v15, v24, v15, 2
	ds_read_b32 v15, v15
.LBB6806_60:
	s_or_b64 exec, exec, s[2:3]
	s_and_saveexec_b64 s[2:3], s[0:1]
	s_cbranch_execz .LBB6806_62
; %bb.61:
	s_waitcnt lgkmcnt(0)
	v_add_u32_e32 v2, v15, v2
	v_add_u32_e32 v3, v2, v12
	;; [unrolled: 1-line block ×10, first 2 shown]
	;;#ASMSTART
	;;#ASMEND
.LBB6806_62:
	s_or_b64 exec, exec, s[2:3]
	s_movk_i32 s0, 0x7f
	v_cmp_eq_u32_e32 vcc, s0, v0
	s_and_saveexec_b64 s[0:1], vcc
	s_cbranch_execz .LBB6806_64
; %bb.63:
	v_mov_b32_e32 v14, 0
	v_mov_b32_e32 v13, 2
	;; [unrolled: 1-line block ×3, first 2 shown]
	global_store_dwordx2 v14, v[12:13], s[6:7] offset:512
.LBB6806_64:
	s_or_b64 exec, exec, s[0:1]
	s_waitcnt lgkmcnt(0)
	v_pk_mov_b32 v[14:15], v[10:11], v[10:11] op_sel:[0,1]
	v_pk_mov_b32 v[12:13], v[8:9], v[8:9] op_sel:[0,1]
	;; [unrolled: 1-line block ×5, first 2 shown]
.LBB6806_65:
	s_add_u32 s0, s20, s18
	s_addc_u32 s1, s21, s19
	s_add_u32 s2, s0, s22
	s_addc_u32 s3, s1, s23
	s_mov_b64 s[0:1], -1
	s_and_b64 vcc, exec, s[16:17]
	s_barrier
	s_cbranch_vccz .LBB6806_67
; %bb.66:
	ds_write2_b64 v1, v[6:7], v[8:9] offset1:1
	ds_write2_b64 v1, v[10:11], v[12:13] offset0:2 offset1:3
	ds_write_b64 v1, v[14:15] offset:32
	s_waitcnt lgkmcnt(0)
	s_barrier
	ds_read2st64_b32 v[2:3], v22 offset1:2
	ds_read2st64_b32 v[4:5], v22 offset0:4 offset1:6
	ds_read2st64_b32 v[16:17], v22 offset0:8 offset1:10
	;; [unrolled: 1-line block ×4, first 2 shown]
	v_mov_b32_e32 v25, s3
	v_add_co_u32_e32 v24, vcc, s2, v22
	v_addc_co_u32_e32 v25, vcc, 0, v25, vcc
	s_waitcnt lgkmcnt(4)
	flat_store_dword v[24:25], v2
	flat_store_dword v[24:25], v3 offset:512
	s_waitcnt lgkmcnt(0)
	flat_store_dword v[24:25], v4 offset:1024
	flat_store_dword v[24:25], v5 offset:1536
	;; [unrolled: 1-line block ×6, first 2 shown]
	v_add_co_u32_e32 v2, vcc, 0x1000, v24
	v_addc_co_u32_e32 v3, vcc, 0, v25, vcc
	flat_store_dword v[2:3], v20
	flat_store_dword v[2:3], v21 offset:512
	s_mov_b64 s[0:1], 0
.LBB6806_67:
	s_andn2_b64 vcc, exec, s[0:1]
	s_cbranch_vccnz .LBB6806_123
; %bb.68:
	ds_write2_b64 v1, v[6:7], v[8:9] offset1:1
	ds_write2_b64 v1, v[10:11], v[12:13] offset0:2 offset1:3
	ds_write_b64 v1, v[14:15] offset:32
	s_waitcnt lgkmcnt(0)
	s_barrier
	ds_read2st64_b32 v[2:3], v22 offset1:2
	ds_read2st64_b32 v[6:7], v22 offset0:4 offset1:6
	ds_read2st64_b32 v[4:5], v22 offset0:8 offset1:10
	;; [unrolled: 1-line block ×4, first 2 shown]
	v_mov_b32_e32 v13, s3
	v_add_co_u32_e32 v12, vcc, s2, v22
	v_addc_co_u32_e32 v13, vcc, 0, v13, vcc
	v_mov_b32_e32 v1, 0
	v_cmp_gt_u32_e32 vcc, s30, v0
	s_and_saveexec_b64 s[0:1], vcc
	s_cbranch_execz .LBB6806_70
; %bb.69:
	s_waitcnt lgkmcnt(0)
	flat_store_dword v[12:13], v2
.LBB6806_70:
	s_or_b64 exec, exec, s[0:1]
	v_or_b32_e32 v14, 0x80, v0
	v_cmp_gt_u32_e32 vcc, s30, v14
	s_and_saveexec_b64 s[0:1], vcc
	s_cbranch_execz .LBB6806_72
; %bb.71:
	s_waitcnt lgkmcnt(0)
	flat_store_dword v[12:13], v3 offset:512
.LBB6806_72:
	s_or_b64 exec, exec, s[0:1]
	v_or_b32_e32 v14, 0x100, v0
	v_cmp_gt_u32_e32 vcc, s30, v14
	s_and_saveexec_b64 s[0:1], vcc
	s_cbranch_execz .LBB6806_74
; %bb.73:
	s_waitcnt lgkmcnt(0)
	flat_store_dword v[12:13], v6 offset:1024
.LBB6806_74:
	;; [unrolled: 9-line block ×7, first 2 shown]
	s_or_b64 exec, exec, s[0:1]
	v_or_b32_e32 v14, 0x400, v0
	v_cmp_gt_u32_e32 vcc, s30, v14
	s_and_saveexec_b64 s[0:1], vcc
	s_cbranch_execz .LBB6806_86
; %bb.85:
	v_add_co_u32_e32 v14, vcc, 0x1000, v12
	v_addc_co_u32_e32 v15, vcc, 0, v13, vcc
	s_waitcnt lgkmcnt(0)
	flat_store_dword v[14:15], v10
.LBB6806_86:
	s_or_b64 exec, exec, s[0:1]
	v_or_b32_e32 v14, 0x480, v0
	v_cmp_gt_u32_e32 vcc, s30, v14
	s_and_saveexec_b64 s[0:1], vcc
	s_cbranch_execz .LBB6806_88
; %bb.87:
	v_add_co_u32_e32 v12, vcc, 0x1000, v12
	v_addc_co_u32_e32 v13, vcc, 0, v13, vcc
	s_waitcnt lgkmcnt(0)
	flat_store_dword v[12:13], v11 offset:512
.LBB6806_88:
	s_or_b64 exec, exec, s[0:1]
	v_cmp_lt_u64_e64 s[0:1], s[14:15], 2
	s_and_b64 vcc, exec, s[0:1]
	s_cbranch_vccnz .LBB6806_123
; %bb.89:
	s_add_u32 s0, s30, -1
	s_addc_u32 s1, s31, -1
	s_add_u32 s2, 0, 0x99986000
	s_addc_u32 s3, 0, 0x59
	s_add_i32 s3, s3, 0x19999940
	s_mul_hi_u32 s7, s2, -10
	s_sub_i32 s7, s7, s2
	s_mul_i32 s8, s3, -10
	s_mul_i32 s4, s2, -10
	s_add_i32 s7, s7, s8
	s_mul_hi_u32 s5, s3, s4
	s_mul_i32 s6, s3, s4
	s_mul_i32 s9, s2, s7
	s_mul_hi_u32 s4, s2, s4
	s_mul_hi_u32 s8, s2, s7
	s_add_u32 s4, s4, s9
	s_addc_u32 s8, 0, s8
	s_add_u32 s4, s4, s6
	s_mul_hi_u32 s9, s3, s7
	s_addc_u32 s4, s8, s5
	s_addc_u32 s5, s9, 0
	s_mul_i32 s6, s3, s7
	s_add_u32 s4, s4, s6
	v_mov_b32_e32 v12, s4
	s_addc_u32 s5, 0, s5
	v_add_co_u32_e32 v12, vcc, s2, v12
	s_cmp_lg_u64 vcc, 0
	s_addc_u32 s2, s3, s5
	v_readfirstlane_b32 s5, v12
	s_mul_i32 s4, s0, s2
	s_mul_hi_u32 s6, s0, s5
	s_mul_hi_u32 s3, s0, s2
	s_add_u32 s4, s6, s4
	s_addc_u32 s3, 0, s3
	s_mul_hi_u32 s7, s1, s5
	s_mul_i32 s5, s1, s5
	s_add_u32 s4, s4, s5
	s_mul_hi_u32 s6, s1, s2
	s_addc_u32 s3, s3, s7
	s_addc_u32 s4, s6, 0
	s_mul_i32 s2, s1, s2
	s_add_u32 s2, s3, s2
	s_addc_u32 s3, 0, s4
	s_add_u32 s4, s2, 1
	s_addc_u32 s5, s3, 0
	s_add_u32 s6, s2, 2
	s_mul_i32 s8, s3, 10
	s_mul_hi_u32 s9, s2, 10
	s_addc_u32 s7, s3, 0
	s_add_i32 s9, s9, s8
	s_mul_i32 s8, s2, 10
	v_mov_b32_e32 v12, s8
	v_sub_co_u32_e32 v12, vcc, s0, v12
	s_cmp_lg_u64 vcc, 0
	s_subb_u32 s8, s1, s9
	v_subrev_co_u32_e32 v13, vcc, 10, v12
	s_cmp_lg_u64 vcc, 0
	s_subb_u32 s9, s8, 0
	v_readfirstlane_b32 s12, v13
	s_cmp_gt_u32 s12, 9
	s_cselect_b32 s12, -1, 0
	s_cmp_eq_u32 s9, 0
	s_cselect_b32 s9, s12, -1
	s_cmp_lg_u32 s9, 0
	s_cselect_b32 s4, s6, s4
	v_readfirstlane_b32 s6, v12
	s_cselect_b32 s5, s7, s5
	s_cmp_gt_u32 s6, 9
	s_cselect_b32 s6, -1, 0
	s_cmp_eq_u32 s8, 0
	s_cselect_b32 s6, s6, -1
	s_cmp_lg_u32 s6, 0
	s_cselect_b32 s3, s5, s3
	s_cselect_b32 s2, s4, s2
	v_cmp_eq_u64_e32 vcc, s[2:3], v[0:1]
	s_and_saveexec_b64 s[2:3], vcc
	s_cbranch_execz .LBB6806_123
; %bb.90:
	v_mul_hi_u32_u24_e32 v1, 10, v0
	v_mov_b32_e32 v12, s1
	v_sub_co_u32_e32 v0, vcc, s0, v23
	v_subb_co_u32_e32 v1, vcc, v12, v1, vcc
	v_cmp_lt_i64_e32 vcc, 4, v[0:1]
	s_and_saveexec_b64 s[0:1], vcc
	s_xor_b64 s[0:1], exec, s[0:1]
	s_cbranch_execz .LBB6806_108
; %bb.91:
	v_cmp_lt_i64_e32 vcc, 6, v[0:1]
	s_and_saveexec_b64 s[2:3], vcc
	s_xor_b64 s[2:3], exec, s[2:3]
	s_cbranch_execz .LBB6806_101
; %bb.92:
	;; [unrolled: 5-line block ×4, first 2 shown]
	v_mov_b32_e32 v0, 0
	s_waitcnt lgkmcnt(0)
	global_store_dword v0, v11, s[10:11]
                                        ; implicit-def: $vgpr10_vgpr11
.LBB6806_95:
	s_andn2_saveexec_b64 s[6:7], s[6:7]
	s_cbranch_execz .LBB6806_97
; %bb.96:
	v_mov_b32_e32 v0, 0
	s_waitcnt lgkmcnt(0)
	global_store_dword v0, v10, s[10:11]
.LBB6806_97:
	s_or_b64 exec, exec, s[6:7]
                                        ; implicit-def: $vgpr8_vgpr9
.LBB6806_98:
	s_andn2_saveexec_b64 s[4:5], s[4:5]
	s_cbranch_execz .LBB6806_100
; %bb.99:
	v_mov_b32_e32 v0, 0
	s_waitcnt lgkmcnt(0)
	global_store_dword v0, v9, s[10:11]
.LBB6806_100:
	s_or_b64 exec, exec, s[4:5]
                                        ; implicit-def: $vgpr4_vgpr5
                                        ; implicit-def: $vgpr0_vgpr1
                                        ; implicit-def: $vgpr8_vgpr9
.LBB6806_101:
	s_andn2_saveexec_b64 s[2:3], s[2:3]
	s_cbranch_execz .LBB6806_107
; %bb.102:
	v_cmp_lt_i64_e32 vcc, 5, v[0:1]
	s_and_saveexec_b64 s[4:5], vcc
	s_xor_b64 s[4:5], exec, s[4:5]
	s_cbranch_execz .LBB6806_104
; %bb.103:
	v_mov_b32_e32 v0, 0
	s_waitcnt lgkmcnt(0)
	global_store_dword v0, v8, s[10:11]
                                        ; implicit-def: $vgpr4_vgpr5
.LBB6806_104:
	s_andn2_saveexec_b64 s[4:5], s[4:5]
	s_cbranch_execz .LBB6806_106
; %bb.105:
	v_mov_b32_e32 v0, 0
	s_waitcnt lgkmcnt(0)
	global_store_dword v0, v5, s[10:11]
.LBB6806_106:
	s_or_b64 exec, exec, s[4:5]
.LBB6806_107:
	s_or_b64 exec, exec, s[2:3]
                                        ; implicit-def: $vgpr0_vgpr1
                                        ; implicit-def: $vgpr6_vgpr7
                                        ; implicit-def: $vgpr2_vgpr3
                                        ; implicit-def: $vgpr4_vgpr5
.LBB6806_108:
	s_andn2_saveexec_b64 s[0:1], s[0:1]
	s_cbranch_execz .LBB6806_123
; %bb.109:
	v_cmp_lt_i64_e32 vcc, 2, v[0:1]
	s_and_saveexec_b64 s[0:1], vcc
	s_xor_b64 s[0:1], exec, s[0:1]
	s_cbranch_execz .LBB6806_115
; %bb.110:
	v_cmp_lt_i64_e32 vcc, 3, v[0:1]
	s_and_saveexec_b64 s[2:3], vcc
	s_xor_b64 s[2:3], exec, s[2:3]
	s_cbranch_execz .LBB6806_112
; %bb.111:
	v_mov_b32_e32 v0, 0
	s_waitcnt lgkmcnt(0)
	global_store_dword v0, v4, s[10:11]
                                        ; implicit-def: $vgpr6_vgpr7
.LBB6806_112:
	s_andn2_saveexec_b64 s[2:3], s[2:3]
	s_cbranch_execz .LBB6806_114
; %bb.113:
	v_mov_b32_e32 v0, 0
	s_waitcnt lgkmcnt(0)
	global_store_dword v0, v7, s[10:11]
.LBB6806_114:
	s_or_b64 exec, exec, s[2:3]
                                        ; implicit-def: $vgpr0_vgpr1
                                        ; implicit-def: $vgpr6_vgpr7
                                        ; implicit-def: $vgpr2_vgpr3
.LBB6806_115:
	s_andn2_saveexec_b64 s[0:1], s[0:1]
	s_cbranch_execz .LBB6806_123
; %bb.116:
	v_cmp_lt_i64_e32 vcc, 1, v[0:1]
	s_and_saveexec_b64 s[0:1], vcc
	s_xor_b64 s[0:1], exec, s[0:1]
	s_cbranch_execz .LBB6806_118
; %bb.117:
	v_mov_b32_e32 v0, 0
	s_waitcnt lgkmcnt(0)
	global_store_dword v0, v6, s[10:11]
                                        ; implicit-def: $vgpr2_vgpr3
                                        ; implicit-def: $vgpr0_vgpr1
.LBB6806_118:
	s_andn2_saveexec_b64 s[0:1], s[0:1]
	s_cbranch_execz .LBB6806_123
; %bb.119:
	v_cmp_ne_u64_e32 vcc, 1, v[0:1]
	s_and_saveexec_b64 s[0:1], vcc
	s_xor_b64 s[0:1], exec, s[0:1]
	s_cbranch_execz .LBB6806_121
; %bb.120:
	v_mov_b32_e32 v0, 0
	s_waitcnt lgkmcnt(0)
	global_store_dword v0, v2, s[10:11]
                                        ; implicit-def: $vgpr2_vgpr3
.LBB6806_121:
	s_andn2_saveexec_b64 s[0:1], s[0:1]
	s_cbranch_execz .LBB6806_123
; %bb.122:
	v_mov_b32_e32 v0, 0
	s_waitcnt lgkmcnt(0)
	global_store_dword v0, v3, s[10:11]
.LBB6806_123:
	s_endpgm
	.section	.rodata,"a",@progbits
	.p2align	6, 0x0
	.amdhsa_kernel _ZN7rocprim17ROCPRIM_400000_NS6detail17trampoline_kernelINS0_14default_configENS1_20scan_config_selectorIiEEZZNS1_9scan_implILNS1_25lookback_scan_determinismE0ELb0ELb0ES3_N6thrust23THRUST_200600_302600_NS10device_ptrIiEESB_iNS9_4plusIvEEiEEDaPvRmT3_T4_T5_mT6_P12ihipStream_tbENKUlT_T0_E_clISt17integral_constantIbLb0EESQ_IbLb1EEEEDaSM_SN_EUlSM_E_NS1_11comp_targetILNS1_3genE4ELNS1_11target_archE910ELNS1_3gpuE8ELNS1_3repE0EEENS1_30default_config_static_selectorELNS0_4arch9wavefront6targetE1EEEvT1_
		.amdhsa_group_segment_fixed_size 5120
		.amdhsa_private_segment_fixed_size 0
		.amdhsa_kernarg_size 96
		.amdhsa_user_sgpr_count 6
		.amdhsa_user_sgpr_private_segment_buffer 1
		.amdhsa_user_sgpr_dispatch_ptr 0
		.amdhsa_user_sgpr_queue_ptr 0
		.amdhsa_user_sgpr_kernarg_segment_ptr 1
		.amdhsa_user_sgpr_dispatch_id 0
		.amdhsa_user_sgpr_flat_scratch_init 0
		.amdhsa_user_sgpr_kernarg_preload_length 0
		.amdhsa_user_sgpr_kernarg_preload_offset 0
		.amdhsa_user_sgpr_private_segment_size 0
		.amdhsa_uses_dynamic_stack 0
		.amdhsa_system_sgpr_private_segment_wavefront_offset 0
		.amdhsa_system_sgpr_workgroup_id_x 1
		.amdhsa_system_sgpr_workgroup_id_y 0
		.amdhsa_system_sgpr_workgroup_id_z 0
		.amdhsa_system_sgpr_workgroup_info 0
		.amdhsa_system_vgpr_workitem_id 0
		.amdhsa_next_free_vgpr 40
		.amdhsa_next_free_sgpr 36
		.amdhsa_accum_offset 40
		.amdhsa_reserve_vcc 1
		.amdhsa_reserve_flat_scratch 0
		.amdhsa_float_round_mode_32 0
		.amdhsa_float_round_mode_16_64 0
		.amdhsa_float_denorm_mode_32 3
		.amdhsa_float_denorm_mode_16_64 3
		.amdhsa_dx10_clamp 1
		.amdhsa_ieee_mode 1
		.amdhsa_fp16_overflow 0
		.amdhsa_tg_split 0
		.amdhsa_exception_fp_ieee_invalid_op 0
		.amdhsa_exception_fp_denorm_src 0
		.amdhsa_exception_fp_ieee_div_zero 0
		.amdhsa_exception_fp_ieee_overflow 0
		.amdhsa_exception_fp_ieee_underflow 0
		.amdhsa_exception_fp_ieee_inexact 0
		.amdhsa_exception_int_div_zero 0
	.end_amdhsa_kernel
	.section	.text._ZN7rocprim17ROCPRIM_400000_NS6detail17trampoline_kernelINS0_14default_configENS1_20scan_config_selectorIiEEZZNS1_9scan_implILNS1_25lookback_scan_determinismE0ELb0ELb0ES3_N6thrust23THRUST_200600_302600_NS10device_ptrIiEESB_iNS9_4plusIvEEiEEDaPvRmT3_T4_T5_mT6_P12ihipStream_tbENKUlT_T0_E_clISt17integral_constantIbLb0EESQ_IbLb1EEEEDaSM_SN_EUlSM_E_NS1_11comp_targetILNS1_3genE4ELNS1_11target_archE910ELNS1_3gpuE8ELNS1_3repE0EEENS1_30default_config_static_selectorELNS0_4arch9wavefront6targetE1EEEvT1_,"axG",@progbits,_ZN7rocprim17ROCPRIM_400000_NS6detail17trampoline_kernelINS0_14default_configENS1_20scan_config_selectorIiEEZZNS1_9scan_implILNS1_25lookback_scan_determinismE0ELb0ELb0ES3_N6thrust23THRUST_200600_302600_NS10device_ptrIiEESB_iNS9_4plusIvEEiEEDaPvRmT3_T4_T5_mT6_P12ihipStream_tbENKUlT_T0_E_clISt17integral_constantIbLb0EESQ_IbLb1EEEEDaSM_SN_EUlSM_E_NS1_11comp_targetILNS1_3genE4ELNS1_11target_archE910ELNS1_3gpuE8ELNS1_3repE0EEENS1_30default_config_static_selectorELNS0_4arch9wavefront6targetE1EEEvT1_,comdat
.Lfunc_end6806:
	.size	_ZN7rocprim17ROCPRIM_400000_NS6detail17trampoline_kernelINS0_14default_configENS1_20scan_config_selectorIiEEZZNS1_9scan_implILNS1_25lookback_scan_determinismE0ELb0ELb0ES3_N6thrust23THRUST_200600_302600_NS10device_ptrIiEESB_iNS9_4plusIvEEiEEDaPvRmT3_T4_T5_mT6_P12ihipStream_tbENKUlT_T0_E_clISt17integral_constantIbLb0EESQ_IbLb1EEEEDaSM_SN_EUlSM_E_NS1_11comp_targetILNS1_3genE4ELNS1_11target_archE910ELNS1_3gpuE8ELNS1_3repE0EEENS1_30default_config_static_selectorELNS0_4arch9wavefront6targetE1EEEvT1_, .Lfunc_end6806-_ZN7rocprim17ROCPRIM_400000_NS6detail17trampoline_kernelINS0_14default_configENS1_20scan_config_selectorIiEEZZNS1_9scan_implILNS1_25lookback_scan_determinismE0ELb0ELb0ES3_N6thrust23THRUST_200600_302600_NS10device_ptrIiEESB_iNS9_4plusIvEEiEEDaPvRmT3_T4_T5_mT6_P12ihipStream_tbENKUlT_T0_E_clISt17integral_constantIbLb0EESQ_IbLb1EEEEDaSM_SN_EUlSM_E_NS1_11comp_targetILNS1_3genE4ELNS1_11target_archE910ELNS1_3gpuE8ELNS1_3repE0EEENS1_30default_config_static_selectorELNS0_4arch9wavefront6targetE1EEEvT1_
                                        ; -- End function
	.section	.AMDGPU.csdata,"",@progbits
; Kernel info:
; codeLenInByte = 4564
; NumSgprs: 40
; NumVgprs: 40
; NumAgprs: 0
; TotalNumVgprs: 40
; ScratchSize: 0
; MemoryBound: 0
; FloatMode: 240
; IeeeMode: 1
; LDSByteSize: 5120 bytes/workgroup (compile time only)
; SGPRBlocks: 4
; VGPRBlocks: 4
; NumSGPRsForWavesPerEU: 40
; NumVGPRsForWavesPerEU: 40
; AccumOffset: 40
; Occupancy: 6
; WaveLimiterHint : 1
; COMPUTE_PGM_RSRC2:SCRATCH_EN: 0
; COMPUTE_PGM_RSRC2:USER_SGPR: 6
; COMPUTE_PGM_RSRC2:TRAP_HANDLER: 0
; COMPUTE_PGM_RSRC2:TGID_X_EN: 1
; COMPUTE_PGM_RSRC2:TGID_Y_EN: 0
; COMPUTE_PGM_RSRC2:TGID_Z_EN: 0
; COMPUTE_PGM_RSRC2:TIDIG_COMP_CNT: 0
; COMPUTE_PGM_RSRC3_GFX90A:ACCUM_OFFSET: 9
; COMPUTE_PGM_RSRC3_GFX90A:TG_SPLIT: 0
	.section	.text._ZN7rocprim17ROCPRIM_400000_NS6detail17trampoline_kernelINS0_14default_configENS1_20scan_config_selectorIiEEZZNS1_9scan_implILNS1_25lookback_scan_determinismE0ELb0ELb0ES3_N6thrust23THRUST_200600_302600_NS10device_ptrIiEESB_iNS9_4plusIvEEiEEDaPvRmT3_T4_T5_mT6_P12ihipStream_tbENKUlT_T0_E_clISt17integral_constantIbLb0EESQ_IbLb1EEEEDaSM_SN_EUlSM_E_NS1_11comp_targetILNS1_3genE3ELNS1_11target_archE908ELNS1_3gpuE7ELNS1_3repE0EEENS1_30default_config_static_selectorELNS0_4arch9wavefront6targetE1EEEvT1_,"axG",@progbits,_ZN7rocprim17ROCPRIM_400000_NS6detail17trampoline_kernelINS0_14default_configENS1_20scan_config_selectorIiEEZZNS1_9scan_implILNS1_25lookback_scan_determinismE0ELb0ELb0ES3_N6thrust23THRUST_200600_302600_NS10device_ptrIiEESB_iNS9_4plusIvEEiEEDaPvRmT3_T4_T5_mT6_P12ihipStream_tbENKUlT_T0_E_clISt17integral_constantIbLb0EESQ_IbLb1EEEEDaSM_SN_EUlSM_E_NS1_11comp_targetILNS1_3genE3ELNS1_11target_archE908ELNS1_3gpuE7ELNS1_3repE0EEENS1_30default_config_static_selectorELNS0_4arch9wavefront6targetE1EEEvT1_,comdat
	.protected	_ZN7rocprim17ROCPRIM_400000_NS6detail17trampoline_kernelINS0_14default_configENS1_20scan_config_selectorIiEEZZNS1_9scan_implILNS1_25lookback_scan_determinismE0ELb0ELb0ES3_N6thrust23THRUST_200600_302600_NS10device_ptrIiEESB_iNS9_4plusIvEEiEEDaPvRmT3_T4_T5_mT6_P12ihipStream_tbENKUlT_T0_E_clISt17integral_constantIbLb0EESQ_IbLb1EEEEDaSM_SN_EUlSM_E_NS1_11comp_targetILNS1_3genE3ELNS1_11target_archE908ELNS1_3gpuE7ELNS1_3repE0EEENS1_30default_config_static_selectorELNS0_4arch9wavefront6targetE1EEEvT1_ ; -- Begin function _ZN7rocprim17ROCPRIM_400000_NS6detail17trampoline_kernelINS0_14default_configENS1_20scan_config_selectorIiEEZZNS1_9scan_implILNS1_25lookback_scan_determinismE0ELb0ELb0ES3_N6thrust23THRUST_200600_302600_NS10device_ptrIiEESB_iNS9_4plusIvEEiEEDaPvRmT3_T4_T5_mT6_P12ihipStream_tbENKUlT_T0_E_clISt17integral_constantIbLb0EESQ_IbLb1EEEEDaSM_SN_EUlSM_E_NS1_11comp_targetILNS1_3genE3ELNS1_11target_archE908ELNS1_3gpuE7ELNS1_3repE0EEENS1_30default_config_static_selectorELNS0_4arch9wavefront6targetE1EEEvT1_
	.globl	_ZN7rocprim17ROCPRIM_400000_NS6detail17trampoline_kernelINS0_14default_configENS1_20scan_config_selectorIiEEZZNS1_9scan_implILNS1_25lookback_scan_determinismE0ELb0ELb0ES3_N6thrust23THRUST_200600_302600_NS10device_ptrIiEESB_iNS9_4plusIvEEiEEDaPvRmT3_T4_T5_mT6_P12ihipStream_tbENKUlT_T0_E_clISt17integral_constantIbLb0EESQ_IbLb1EEEEDaSM_SN_EUlSM_E_NS1_11comp_targetILNS1_3genE3ELNS1_11target_archE908ELNS1_3gpuE7ELNS1_3repE0EEENS1_30default_config_static_selectorELNS0_4arch9wavefront6targetE1EEEvT1_
	.p2align	8
	.type	_ZN7rocprim17ROCPRIM_400000_NS6detail17trampoline_kernelINS0_14default_configENS1_20scan_config_selectorIiEEZZNS1_9scan_implILNS1_25lookback_scan_determinismE0ELb0ELb0ES3_N6thrust23THRUST_200600_302600_NS10device_ptrIiEESB_iNS9_4plusIvEEiEEDaPvRmT3_T4_T5_mT6_P12ihipStream_tbENKUlT_T0_E_clISt17integral_constantIbLb0EESQ_IbLb1EEEEDaSM_SN_EUlSM_E_NS1_11comp_targetILNS1_3genE3ELNS1_11target_archE908ELNS1_3gpuE7ELNS1_3repE0EEENS1_30default_config_static_selectorELNS0_4arch9wavefront6targetE1EEEvT1_,@function
_ZN7rocprim17ROCPRIM_400000_NS6detail17trampoline_kernelINS0_14default_configENS1_20scan_config_selectorIiEEZZNS1_9scan_implILNS1_25lookback_scan_determinismE0ELb0ELb0ES3_N6thrust23THRUST_200600_302600_NS10device_ptrIiEESB_iNS9_4plusIvEEiEEDaPvRmT3_T4_T5_mT6_P12ihipStream_tbENKUlT_T0_E_clISt17integral_constantIbLb0EESQ_IbLb1EEEEDaSM_SN_EUlSM_E_NS1_11comp_targetILNS1_3genE3ELNS1_11target_archE908ELNS1_3gpuE7ELNS1_3repE0EEENS1_30default_config_static_selectorELNS0_4arch9wavefront6targetE1EEEvT1_: ; @_ZN7rocprim17ROCPRIM_400000_NS6detail17trampoline_kernelINS0_14default_configENS1_20scan_config_selectorIiEEZZNS1_9scan_implILNS1_25lookback_scan_determinismE0ELb0ELb0ES3_N6thrust23THRUST_200600_302600_NS10device_ptrIiEESB_iNS9_4plusIvEEiEEDaPvRmT3_T4_T5_mT6_P12ihipStream_tbENKUlT_T0_E_clISt17integral_constantIbLb0EESQ_IbLb1EEEEDaSM_SN_EUlSM_E_NS1_11comp_targetILNS1_3genE3ELNS1_11target_archE908ELNS1_3gpuE7ELNS1_3repE0EEENS1_30default_config_static_selectorELNS0_4arch9wavefront6targetE1EEEvT1_
; %bb.0:
	.section	.rodata,"a",@progbits
	.p2align	6, 0x0
	.amdhsa_kernel _ZN7rocprim17ROCPRIM_400000_NS6detail17trampoline_kernelINS0_14default_configENS1_20scan_config_selectorIiEEZZNS1_9scan_implILNS1_25lookback_scan_determinismE0ELb0ELb0ES3_N6thrust23THRUST_200600_302600_NS10device_ptrIiEESB_iNS9_4plusIvEEiEEDaPvRmT3_T4_T5_mT6_P12ihipStream_tbENKUlT_T0_E_clISt17integral_constantIbLb0EESQ_IbLb1EEEEDaSM_SN_EUlSM_E_NS1_11comp_targetILNS1_3genE3ELNS1_11target_archE908ELNS1_3gpuE7ELNS1_3repE0EEENS1_30default_config_static_selectorELNS0_4arch9wavefront6targetE1EEEvT1_
		.amdhsa_group_segment_fixed_size 0
		.amdhsa_private_segment_fixed_size 0
		.amdhsa_kernarg_size 96
		.amdhsa_user_sgpr_count 6
		.amdhsa_user_sgpr_private_segment_buffer 1
		.amdhsa_user_sgpr_dispatch_ptr 0
		.amdhsa_user_sgpr_queue_ptr 0
		.amdhsa_user_sgpr_kernarg_segment_ptr 1
		.amdhsa_user_sgpr_dispatch_id 0
		.amdhsa_user_sgpr_flat_scratch_init 0
		.amdhsa_user_sgpr_kernarg_preload_length 0
		.amdhsa_user_sgpr_kernarg_preload_offset 0
		.amdhsa_user_sgpr_private_segment_size 0
		.amdhsa_uses_dynamic_stack 0
		.amdhsa_system_sgpr_private_segment_wavefront_offset 0
		.amdhsa_system_sgpr_workgroup_id_x 1
		.amdhsa_system_sgpr_workgroup_id_y 0
		.amdhsa_system_sgpr_workgroup_id_z 0
		.amdhsa_system_sgpr_workgroup_info 0
		.amdhsa_system_vgpr_workitem_id 0
		.amdhsa_next_free_vgpr 1
		.amdhsa_next_free_sgpr 0
		.amdhsa_accum_offset 4
		.amdhsa_reserve_vcc 0
		.amdhsa_reserve_flat_scratch 0
		.amdhsa_float_round_mode_32 0
		.amdhsa_float_round_mode_16_64 0
		.amdhsa_float_denorm_mode_32 3
		.amdhsa_float_denorm_mode_16_64 3
		.amdhsa_dx10_clamp 1
		.amdhsa_ieee_mode 1
		.amdhsa_fp16_overflow 0
		.amdhsa_tg_split 0
		.amdhsa_exception_fp_ieee_invalid_op 0
		.amdhsa_exception_fp_denorm_src 0
		.amdhsa_exception_fp_ieee_div_zero 0
		.amdhsa_exception_fp_ieee_overflow 0
		.amdhsa_exception_fp_ieee_underflow 0
		.amdhsa_exception_fp_ieee_inexact 0
		.amdhsa_exception_int_div_zero 0
	.end_amdhsa_kernel
	.section	.text._ZN7rocprim17ROCPRIM_400000_NS6detail17trampoline_kernelINS0_14default_configENS1_20scan_config_selectorIiEEZZNS1_9scan_implILNS1_25lookback_scan_determinismE0ELb0ELb0ES3_N6thrust23THRUST_200600_302600_NS10device_ptrIiEESB_iNS9_4plusIvEEiEEDaPvRmT3_T4_T5_mT6_P12ihipStream_tbENKUlT_T0_E_clISt17integral_constantIbLb0EESQ_IbLb1EEEEDaSM_SN_EUlSM_E_NS1_11comp_targetILNS1_3genE3ELNS1_11target_archE908ELNS1_3gpuE7ELNS1_3repE0EEENS1_30default_config_static_selectorELNS0_4arch9wavefront6targetE1EEEvT1_,"axG",@progbits,_ZN7rocprim17ROCPRIM_400000_NS6detail17trampoline_kernelINS0_14default_configENS1_20scan_config_selectorIiEEZZNS1_9scan_implILNS1_25lookback_scan_determinismE0ELb0ELb0ES3_N6thrust23THRUST_200600_302600_NS10device_ptrIiEESB_iNS9_4plusIvEEiEEDaPvRmT3_T4_T5_mT6_P12ihipStream_tbENKUlT_T0_E_clISt17integral_constantIbLb0EESQ_IbLb1EEEEDaSM_SN_EUlSM_E_NS1_11comp_targetILNS1_3genE3ELNS1_11target_archE908ELNS1_3gpuE7ELNS1_3repE0EEENS1_30default_config_static_selectorELNS0_4arch9wavefront6targetE1EEEvT1_,comdat
.Lfunc_end6807:
	.size	_ZN7rocprim17ROCPRIM_400000_NS6detail17trampoline_kernelINS0_14default_configENS1_20scan_config_selectorIiEEZZNS1_9scan_implILNS1_25lookback_scan_determinismE0ELb0ELb0ES3_N6thrust23THRUST_200600_302600_NS10device_ptrIiEESB_iNS9_4plusIvEEiEEDaPvRmT3_T4_T5_mT6_P12ihipStream_tbENKUlT_T0_E_clISt17integral_constantIbLb0EESQ_IbLb1EEEEDaSM_SN_EUlSM_E_NS1_11comp_targetILNS1_3genE3ELNS1_11target_archE908ELNS1_3gpuE7ELNS1_3repE0EEENS1_30default_config_static_selectorELNS0_4arch9wavefront6targetE1EEEvT1_, .Lfunc_end6807-_ZN7rocprim17ROCPRIM_400000_NS6detail17trampoline_kernelINS0_14default_configENS1_20scan_config_selectorIiEEZZNS1_9scan_implILNS1_25lookback_scan_determinismE0ELb0ELb0ES3_N6thrust23THRUST_200600_302600_NS10device_ptrIiEESB_iNS9_4plusIvEEiEEDaPvRmT3_T4_T5_mT6_P12ihipStream_tbENKUlT_T0_E_clISt17integral_constantIbLb0EESQ_IbLb1EEEEDaSM_SN_EUlSM_E_NS1_11comp_targetILNS1_3genE3ELNS1_11target_archE908ELNS1_3gpuE7ELNS1_3repE0EEENS1_30default_config_static_selectorELNS0_4arch9wavefront6targetE1EEEvT1_
                                        ; -- End function
	.section	.AMDGPU.csdata,"",@progbits
; Kernel info:
; codeLenInByte = 0
; NumSgprs: 4
; NumVgprs: 0
; NumAgprs: 0
; TotalNumVgprs: 0
; ScratchSize: 0
; MemoryBound: 0
; FloatMode: 240
; IeeeMode: 1
; LDSByteSize: 0 bytes/workgroup (compile time only)
; SGPRBlocks: 0
; VGPRBlocks: 0
; NumSGPRsForWavesPerEU: 4
; NumVGPRsForWavesPerEU: 1
; AccumOffset: 4
; Occupancy: 8
; WaveLimiterHint : 0
; COMPUTE_PGM_RSRC2:SCRATCH_EN: 0
; COMPUTE_PGM_RSRC2:USER_SGPR: 6
; COMPUTE_PGM_RSRC2:TRAP_HANDLER: 0
; COMPUTE_PGM_RSRC2:TGID_X_EN: 1
; COMPUTE_PGM_RSRC2:TGID_Y_EN: 0
; COMPUTE_PGM_RSRC2:TGID_Z_EN: 0
; COMPUTE_PGM_RSRC2:TIDIG_COMP_CNT: 0
; COMPUTE_PGM_RSRC3_GFX90A:ACCUM_OFFSET: 0
; COMPUTE_PGM_RSRC3_GFX90A:TG_SPLIT: 0
	.section	.text._ZN7rocprim17ROCPRIM_400000_NS6detail17trampoline_kernelINS0_14default_configENS1_20scan_config_selectorIiEEZZNS1_9scan_implILNS1_25lookback_scan_determinismE0ELb0ELb0ES3_N6thrust23THRUST_200600_302600_NS10device_ptrIiEESB_iNS9_4plusIvEEiEEDaPvRmT3_T4_T5_mT6_P12ihipStream_tbENKUlT_T0_E_clISt17integral_constantIbLb0EESQ_IbLb1EEEEDaSM_SN_EUlSM_E_NS1_11comp_targetILNS1_3genE2ELNS1_11target_archE906ELNS1_3gpuE6ELNS1_3repE0EEENS1_30default_config_static_selectorELNS0_4arch9wavefront6targetE1EEEvT1_,"axG",@progbits,_ZN7rocprim17ROCPRIM_400000_NS6detail17trampoline_kernelINS0_14default_configENS1_20scan_config_selectorIiEEZZNS1_9scan_implILNS1_25lookback_scan_determinismE0ELb0ELb0ES3_N6thrust23THRUST_200600_302600_NS10device_ptrIiEESB_iNS9_4plusIvEEiEEDaPvRmT3_T4_T5_mT6_P12ihipStream_tbENKUlT_T0_E_clISt17integral_constantIbLb0EESQ_IbLb1EEEEDaSM_SN_EUlSM_E_NS1_11comp_targetILNS1_3genE2ELNS1_11target_archE906ELNS1_3gpuE6ELNS1_3repE0EEENS1_30default_config_static_selectorELNS0_4arch9wavefront6targetE1EEEvT1_,comdat
	.protected	_ZN7rocprim17ROCPRIM_400000_NS6detail17trampoline_kernelINS0_14default_configENS1_20scan_config_selectorIiEEZZNS1_9scan_implILNS1_25lookback_scan_determinismE0ELb0ELb0ES3_N6thrust23THRUST_200600_302600_NS10device_ptrIiEESB_iNS9_4plusIvEEiEEDaPvRmT3_T4_T5_mT6_P12ihipStream_tbENKUlT_T0_E_clISt17integral_constantIbLb0EESQ_IbLb1EEEEDaSM_SN_EUlSM_E_NS1_11comp_targetILNS1_3genE2ELNS1_11target_archE906ELNS1_3gpuE6ELNS1_3repE0EEENS1_30default_config_static_selectorELNS0_4arch9wavefront6targetE1EEEvT1_ ; -- Begin function _ZN7rocprim17ROCPRIM_400000_NS6detail17trampoline_kernelINS0_14default_configENS1_20scan_config_selectorIiEEZZNS1_9scan_implILNS1_25lookback_scan_determinismE0ELb0ELb0ES3_N6thrust23THRUST_200600_302600_NS10device_ptrIiEESB_iNS9_4plusIvEEiEEDaPvRmT3_T4_T5_mT6_P12ihipStream_tbENKUlT_T0_E_clISt17integral_constantIbLb0EESQ_IbLb1EEEEDaSM_SN_EUlSM_E_NS1_11comp_targetILNS1_3genE2ELNS1_11target_archE906ELNS1_3gpuE6ELNS1_3repE0EEENS1_30default_config_static_selectorELNS0_4arch9wavefront6targetE1EEEvT1_
	.globl	_ZN7rocprim17ROCPRIM_400000_NS6detail17trampoline_kernelINS0_14default_configENS1_20scan_config_selectorIiEEZZNS1_9scan_implILNS1_25lookback_scan_determinismE0ELb0ELb0ES3_N6thrust23THRUST_200600_302600_NS10device_ptrIiEESB_iNS9_4plusIvEEiEEDaPvRmT3_T4_T5_mT6_P12ihipStream_tbENKUlT_T0_E_clISt17integral_constantIbLb0EESQ_IbLb1EEEEDaSM_SN_EUlSM_E_NS1_11comp_targetILNS1_3genE2ELNS1_11target_archE906ELNS1_3gpuE6ELNS1_3repE0EEENS1_30default_config_static_selectorELNS0_4arch9wavefront6targetE1EEEvT1_
	.p2align	8
	.type	_ZN7rocprim17ROCPRIM_400000_NS6detail17trampoline_kernelINS0_14default_configENS1_20scan_config_selectorIiEEZZNS1_9scan_implILNS1_25lookback_scan_determinismE0ELb0ELb0ES3_N6thrust23THRUST_200600_302600_NS10device_ptrIiEESB_iNS9_4plusIvEEiEEDaPvRmT3_T4_T5_mT6_P12ihipStream_tbENKUlT_T0_E_clISt17integral_constantIbLb0EESQ_IbLb1EEEEDaSM_SN_EUlSM_E_NS1_11comp_targetILNS1_3genE2ELNS1_11target_archE906ELNS1_3gpuE6ELNS1_3repE0EEENS1_30default_config_static_selectorELNS0_4arch9wavefront6targetE1EEEvT1_,@function
_ZN7rocprim17ROCPRIM_400000_NS6detail17trampoline_kernelINS0_14default_configENS1_20scan_config_selectorIiEEZZNS1_9scan_implILNS1_25lookback_scan_determinismE0ELb0ELb0ES3_N6thrust23THRUST_200600_302600_NS10device_ptrIiEESB_iNS9_4plusIvEEiEEDaPvRmT3_T4_T5_mT6_P12ihipStream_tbENKUlT_T0_E_clISt17integral_constantIbLb0EESQ_IbLb1EEEEDaSM_SN_EUlSM_E_NS1_11comp_targetILNS1_3genE2ELNS1_11target_archE906ELNS1_3gpuE6ELNS1_3repE0EEENS1_30default_config_static_selectorELNS0_4arch9wavefront6targetE1EEEvT1_: ; @_ZN7rocprim17ROCPRIM_400000_NS6detail17trampoline_kernelINS0_14default_configENS1_20scan_config_selectorIiEEZZNS1_9scan_implILNS1_25lookback_scan_determinismE0ELb0ELb0ES3_N6thrust23THRUST_200600_302600_NS10device_ptrIiEESB_iNS9_4plusIvEEiEEDaPvRmT3_T4_T5_mT6_P12ihipStream_tbENKUlT_T0_E_clISt17integral_constantIbLb0EESQ_IbLb1EEEEDaSM_SN_EUlSM_E_NS1_11comp_targetILNS1_3genE2ELNS1_11target_archE906ELNS1_3gpuE6ELNS1_3repE0EEENS1_30default_config_static_selectorELNS0_4arch9wavefront6targetE1EEEvT1_
; %bb.0:
	.section	.rodata,"a",@progbits
	.p2align	6, 0x0
	.amdhsa_kernel _ZN7rocprim17ROCPRIM_400000_NS6detail17trampoline_kernelINS0_14default_configENS1_20scan_config_selectorIiEEZZNS1_9scan_implILNS1_25lookback_scan_determinismE0ELb0ELb0ES3_N6thrust23THRUST_200600_302600_NS10device_ptrIiEESB_iNS9_4plusIvEEiEEDaPvRmT3_T4_T5_mT6_P12ihipStream_tbENKUlT_T0_E_clISt17integral_constantIbLb0EESQ_IbLb1EEEEDaSM_SN_EUlSM_E_NS1_11comp_targetILNS1_3genE2ELNS1_11target_archE906ELNS1_3gpuE6ELNS1_3repE0EEENS1_30default_config_static_selectorELNS0_4arch9wavefront6targetE1EEEvT1_
		.amdhsa_group_segment_fixed_size 0
		.amdhsa_private_segment_fixed_size 0
		.amdhsa_kernarg_size 96
		.amdhsa_user_sgpr_count 6
		.amdhsa_user_sgpr_private_segment_buffer 1
		.amdhsa_user_sgpr_dispatch_ptr 0
		.amdhsa_user_sgpr_queue_ptr 0
		.amdhsa_user_sgpr_kernarg_segment_ptr 1
		.amdhsa_user_sgpr_dispatch_id 0
		.amdhsa_user_sgpr_flat_scratch_init 0
		.amdhsa_user_sgpr_kernarg_preload_length 0
		.amdhsa_user_sgpr_kernarg_preload_offset 0
		.amdhsa_user_sgpr_private_segment_size 0
		.amdhsa_uses_dynamic_stack 0
		.amdhsa_system_sgpr_private_segment_wavefront_offset 0
		.amdhsa_system_sgpr_workgroup_id_x 1
		.amdhsa_system_sgpr_workgroup_id_y 0
		.amdhsa_system_sgpr_workgroup_id_z 0
		.amdhsa_system_sgpr_workgroup_info 0
		.amdhsa_system_vgpr_workitem_id 0
		.amdhsa_next_free_vgpr 1
		.amdhsa_next_free_sgpr 0
		.amdhsa_accum_offset 4
		.amdhsa_reserve_vcc 0
		.amdhsa_reserve_flat_scratch 0
		.amdhsa_float_round_mode_32 0
		.amdhsa_float_round_mode_16_64 0
		.amdhsa_float_denorm_mode_32 3
		.amdhsa_float_denorm_mode_16_64 3
		.amdhsa_dx10_clamp 1
		.amdhsa_ieee_mode 1
		.amdhsa_fp16_overflow 0
		.amdhsa_tg_split 0
		.amdhsa_exception_fp_ieee_invalid_op 0
		.amdhsa_exception_fp_denorm_src 0
		.amdhsa_exception_fp_ieee_div_zero 0
		.amdhsa_exception_fp_ieee_overflow 0
		.amdhsa_exception_fp_ieee_underflow 0
		.amdhsa_exception_fp_ieee_inexact 0
		.amdhsa_exception_int_div_zero 0
	.end_amdhsa_kernel
	.section	.text._ZN7rocprim17ROCPRIM_400000_NS6detail17trampoline_kernelINS0_14default_configENS1_20scan_config_selectorIiEEZZNS1_9scan_implILNS1_25lookback_scan_determinismE0ELb0ELb0ES3_N6thrust23THRUST_200600_302600_NS10device_ptrIiEESB_iNS9_4plusIvEEiEEDaPvRmT3_T4_T5_mT6_P12ihipStream_tbENKUlT_T0_E_clISt17integral_constantIbLb0EESQ_IbLb1EEEEDaSM_SN_EUlSM_E_NS1_11comp_targetILNS1_3genE2ELNS1_11target_archE906ELNS1_3gpuE6ELNS1_3repE0EEENS1_30default_config_static_selectorELNS0_4arch9wavefront6targetE1EEEvT1_,"axG",@progbits,_ZN7rocprim17ROCPRIM_400000_NS6detail17trampoline_kernelINS0_14default_configENS1_20scan_config_selectorIiEEZZNS1_9scan_implILNS1_25lookback_scan_determinismE0ELb0ELb0ES3_N6thrust23THRUST_200600_302600_NS10device_ptrIiEESB_iNS9_4plusIvEEiEEDaPvRmT3_T4_T5_mT6_P12ihipStream_tbENKUlT_T0_E_clISt17integral_constantIbLb0EESQ_IbLb1EEEEDaSM_SN_EUlSM_E_NS1_11comp_targetILNS1_3genE2ELNS1_11target_archE906ELNS1_3gpuE6ELNS1_3repE0EEENS1_30default_config_static_selectorELNS0_4arch9wavefront6targetE1EEEvT1_,comdat
.Lfunc_end6808:
	.size	_ZN7rocprim17ROCPRIM_400000_NS6detail17trampoline_kernelINS0_14default_configENS1_20scan_config_selectorIiEEZZNS1_9scan_implILNS1_25lookback_scan_determinismE0ELb0ELb0ES3_N6thrust23THRUST_200600_302600_NS10device_ptrIiEESB_iNS9_4plusIvEEiEEDaPvRmT3_T4_T5_mT6_P12ihipStream_tbENKUlT_T0_E_clISt17integral_constantIbLb0EESQ_IbLb1EEEEDaSM_SN_EUlSM_E_NS1_11comp_targetILNS1_3genE2ELNS1_11target_archE906ELNS1_3gpuE6ELNS1_3repE0EEENS1_30default_config_static_selectorELNS0_4arch9wavefront6targetE1EEEvT1_, .Lfunc_end6808-_ZN7rocprim17ROCPRIM_400000_NS6detail17trampoline_kernelINS0_14default_configENS1_20scan_config_selectorIiEEZZNS1_9scan_implILNS1_25lookback_scan_determinismE0ELb0ELb0ES3_N6thrust23THRUST_200600_302600_NS10device_ptrIiEESB_iNS9_4plusIvEEiEEDaPvRmT3_T4_T5_mT6_P12ihipStream_tbENKUlT_T0_E_clISt17integral_constantIbLb0EESQ_IbLb1EEEEDaSM_SN_EUlSM_E_NS1_11comp_targetILNS1_3genE2ELNS1_11target_archE906ELNS1_3gpuE6ELNS1_3repE0EEENS1_30default_config_static_selectorELNS0_4arch9wavefront6targetE1EEEvT1_
                                        ; -- End function
	.section	.AMDGPU.csdata,"",@progbits
; Kernel info:
; codeLenInByte = 0
; NumSgprs: 4
; NumVgprs: 0
; NumAgprs: 0
; TotalNumVgprs: 0
; ScratchSize: 0
; MemoryBound: 0
; FloatMode: 240
; IeeeMode: 1
; LDSByteSize: 0 bytes/workgroup (compile time only)
; SGPRBlocks: 0
; VGPRBlocks: 0
; NumSGPRsForWavesPerEU: 4
; NumVGPRsForWavesPerEU: 1
; AccumOffset: 4
; Occupancy: 8
; WaveLimiterHint : 0
; COMPUTE_PGM_RSRC2:SCRATCH_EN: 0
; COMPUTE_PGM_RSRC2:USER_SGPR: 6
; COMPUTE_PGM_RSRC2:TRAP_HANDLER: 0
; COMPUTE_PGM_RSRC2:TGID_X_EN: 1
; COMPUTE_PGM_RSRC2:TGID_Y_EN: 0
; COMPUTE_PGM_RSRC2:TGID_Z_EN: 0
; COMPUTE_PGM_RSRC2:TIDIG_COMP_CNT: 0
; COMPUTE_PGM_RSRC3_GFX90A:ACCUM_OFFSET: 0
; COMPUTE_PGM_RSRC3_GFX90A:TG_SPLIT: 0
	.section	.text._ZN7rocprim17ROCPRIM_400000_NS6detail17trampoline_kernelINS0_14default_configENS1_20scan_config_selectorIiEEZZNS1_9scan_implILNS1_25lookback_scan_determinismE0ELb0ELb0ES3_N6thrust23THRUST_200600_302600_NS10device_ptrIiEESB_iNS9_4plusIvEEiEEDaPvRmT3_T4_T5_mT6_P12ihipStream_tbENKUlT_T0_E_clISt17integral_constantIbLb0EESQ_IbLb1EEEEDaSM_SN_EUlSM_E_NS1_11comp_targetILNS1_3genE10ELNS1_11target_archE1201ELNS1_3gpuE5ELNS1_3repE0EEENS1_30default_config_static_selectorELNS0_4arch9wavefront6targetE1EEEvT1_,"axG",@progbits,_ZN7rocprim17ROCPRIM_400000_NS6detail17trampoline_kernelINS0_14default_configENS1_20scan_config_selectorIiEEZZNS1_9scan_implILNS1_25lookback_scan_determinismE0ELb0ELb0ES3_N6thrust23THRUST_200600_302600_NS10device_ptrIiEESB_iNS9_4plusIvEEiEEDaPvRmT3_T4_T5_mT6_P12ihipStream_tbENKUlT_T0_E_clISt17integral_constantIbLb0EESQ_IbLb1EEEEDaSM_SN_EUlSM_E_NS1_11comp_targetILNS1_3genE10ELNS1_11target_archE1201ELNS1_3gpuE5ELNS1_3repE0EEENS1_30default_config_static_selectorELNS0_4arch9wavefront6targetE1EEEvT1_,comdat
	.protected	_ZN7rocprim17ROCPRIM_400000_NS6detail17trampoline_kernelINS0_14default_configENS1_20scan_config_selectorIiEEZZNS1_9scan_implILNS1_25lookback_scan_determinismE0ELb0ELb0ES3_N6thrust23THRUST_200600_302600_NS10device_ptrIiEESB_iNS9_4plusIvEEiEEDaPvRmT3_T4_T5_mT6_P12ihipStream_tbENKUlT_T0_E_clISt17integral_constantIbLb0EESQ_IbLb1EEEEDaSM_SN_EUlSM_E_NS1_11comp_targetILNS1_3genE10ELNS1_11target_archE1201ELNS1_3gpuE5ELNS1_3repE0EEENS1_30default_config_static_selectorELNS0_4arch9wavefront6targetE1EEEvT1_ ; -- Begin function _ZN7rocprim17ROCPRIM_400000_NS6detail17trampoline_kernelINS0_14default_configENS1_20scan_config_selectorIiEEZZNS1_9scan_implILNS1_25lookback_scan_determinismE0ELb0ELb0ES3_N6thrust23THRUST_200600_302600_NS10device_ptrIiEESB_iNS9_4plusIvEEiEEDaPvRmT3_T4_T5_mT6_P12ihipStream_tbENKUlT_T0_E_clISt17integral_constantIbLb0EESQ_IbLb1EEEEDaSM_SN_EUlSM_E_NS1_11comp_targetILNS1_3genE10ELNS1_11target_archE1201ELNS1_3gpuE5ELNS1_3repE0EEENS1_30default_config_static_selectorELNS0_4arch9wavefront6targetE1EEEvT1_
	.globl	_ZN7rocprim17ROCPRIM_400000_NS6detail17trampoline_kernelINS0_14default_configENS1_20scan_config_selectorIiEEZZNS1_9scan_implILNS1_25lookback_scan_determinismE0ELb0ELb0ES3_N6thrust23THRUST_200600_302600_NS10device_ptrIiEESB_iNS9_4plusIvEEiEEDaPvRmT3_T4_T5_mT6_P12ihipStream_tbENKUlT_T0_E_clISt17integral_constantIbLb0EESQ_IbLb1EEEEDaSM_SN_EUlSM_E_NS1_11comp_targetILNS1_3genE10ELNS1_11target_archE1201ELNS1_3gpuE5ELNS1_3repE0EEENS1_30default_config_static_selectorELNS0_4arch9wavefront6targetE1EEEvT1_
	.p2align	8
	.type	_ZN7rocprim17ROCPRIM_400000_NS6detail17trampoline_kernelINS0_14default_configENS1_20scan_config_selectorIiEEZZNS1_9scan_implILNS1_25lookback_scan_determinismE0ELb0ELb0ES3_N6thrust23THRUST_200600_302600_NS10device_ptrIiEESB_iNS9_4plusIvEEiEEDaPvRmT3_T4_T5_mT6_P12ihipStream_tbENKUlT_T0_E_clISt17integral_constantIbLb0EESQ_IbLb1EEEEDaSM_SN_EUlSM_E_NS1_11comp_targetILNS1_3genE10ELNS1_11target_archE1201ELNS1_3gpuE5ELNS1_3repE0EEENS1_30default_config_static_selectorELNS0_4arch9wavefront6targetE1EEEvT1_,@function
_ZN7rocprim17ROCPRIM_400000_NS6detail17trampoline_kernelINS0_14default_configENS1_20scan_config_selectorIiEEZZNS1_9scan_implILNS1_25lookback_scan_determinismE0ELb0ELb0ES3_N6thrust23THRUST_200600_302600_NS10device_ptrIiEESB_iNS9_4plusIvEEiEEDaPvRmT3_T4_T5_mT6_P12ihipStream_tbENKUlT_T0_E_clISt17integral_constantIbLb0EESQ_IbLb1EEEEDaSM_SN_EUlSM_E_NS1_11comp_targetILNS1_3genE10ELNS1_11target_archE1201ELNS1_3gpuE5ELNS1_3repE0EEENS1_30default_config_static_selectorELNS0_4arch9wavefront6targetE1EEEvT1_: ; @_ZN7rocprim17ROCPRIM_400000_NS6detail17trampoline_kernelINS0_14default_configENS1_20scan_config_selectorIiEEZZNS1_9scan_implILNS1_25lookback_scan_determinismE0ELb0ELb0ES3_N6thrust23THRUST_200600_302600_NS10device_ptrIiEESB_iNS9_4plusIvEEiEEDaPvRmT3_T4_T5_mT6_P12ihipStream_tbENKUlT_T0_E_clISt17integral_constantIbLb0EESQ_IbLb1EEEEDaSM_SN_EUlSM_E_NS1_11comp_targetILNS1_3genE10ELNS1_11target_archE1201ELNS1_3gpuE5ELNS1_3repE0EEENS1_30default_config_static_selectorELNS0_4arch9wavefront6targetE1EEEvT1_
; %bb.0:
	.section	.rodata,"a",@progbits
	.p2align	6, 0x0
	.amdhsa_kernel _ZN7rocprim17ROCPRIM_400000_NS6detail17trampoline_kernelINS0_14default_configENS1_20scan_config_selectorIiEEZZNS1_9scan_implILNS1_25lookback_scan_determinismE0ELb0ELb0ES3_N6thrust23THRUST_200600_302600_NS10device_ptrIiEESB_iNS9_4plusIvEEiEEDaPvRmT3_T4_T5_mT6_P12ihipStream_tbENKUlT_T0_E_clISt17integral_constantIbLb0EESQ_IbLb1EEEEDaSM_SN_EUlSM_E_NS1_11comp_targetILNS1_3genE10ELNS1_11target_archE1201ELNS1_3gpuE5ELNS1_3repE0EEENS1_30default_config_static_selectorELNS0_4arch9wavefront6targetE1EEEvT1_
		.amdhsa_group_segment_fixed_size 0
		.amdhsa_private_segment_fixed_size 0
		.amdhsa_kernarg_size 96
		.amdhsa_user_sgpr_count 6
		.amdhsa_user_sgpr_private_segment_buffer 1
		.amdhsa_user_sgpr_dispatch_ptr 0
		.amdhsa_user_sgpr_queue_ptr 0
		.amdhsa_user_sgpr_kernarg_segment_ptr 1
		.amdhsa_user_sgpr_dispatch_id 0
		.amdhsa_user_sgpr_flat_scratch_init 0
		.amdhsa_user_sgpr_kernarg_preload_length 0
		.amdhsa_user_sgpr_kernarg_preload_offset 0
		.amdhsa_user_sgpr_private_segment_size 0
		.amdhsa_uses_dynamic_stack 0
		.amdhsa_system_sgpr_private_segment_wavefront_offset 0
		.amdhsa_system_sgpr_workgroup_id_x 1
		.amdhsa_system_sgpr_workgroup_id_y 0
		.amdhsa_system_sgpr_workgroup_id_z 0
		.amdhsa_system_sgpr_workgroup_info 0
		.amdhsa_system_vgpr_workitem_id 0
		.amdhsa_next_free_vgpr 1
		.amdhsa_next_free_sgpr 0
		.amdhsa_accum_offset 4
		.amdhsa_reserve_vcc 0
		.amdhsa_reserve_flat_scratch 0
		.amdhsa_float_round_mode_32 0
		.amdhsa_float_round_mode_16_64 0
		.amdhsa_float_denorm_mode_32 3
		.amdhsa_float_denorm_mode_16_64 3
		.amdhsa_dx10_clamp 1
		.amdhsa_ieee_mode 1
		.amdhsa_fp16_overflow 0
		.amdhsa_tg_split 0
		.amdhsa_exception_fp_ieee_invalid_op 0
		.amdhsa_exception_fp_denorm_src 0
		.amdhsa_exception_fp_ieee_div_zero 0
		.amdhsa_exception_fp_ieee_overflow 0
		.amdhsa_exception_fp_ieee_underflow 0
		.amdhsa_exception_fp_ieee_inexact 0
		.amdhsa_exception_int_div_zero 0
	.end_amdhsa_kernel
	.section	.text._ZN7rocprim17ROCPRIM_400000_NS6detail17trampoline_kernelINS0_14default_configENS1_20scan_config_selectorIiEEZZNS1_9scan_implILNS1_25lookback_scan_determinismE0ELb0ELb0ES3_N6thrust23THRUST_200600_302600_NS10device_ptrIiEESB_iNS9_4plusIvEEiEEDaPvRmT3_T4_T5_mT6_P12ihipStream_tbENKUlT_T0_E_clISt17integral_constantIbLb0EESQ_IbLb1EEEEDaSM_SN_EUlSM_E_NS1_11comp_targetILNS1_3genE10ELNS1_11target_archE1201ELNS1_3gpuE5ELNS1_3repE0EEENS1_30default_config_static_selectorELNS0_4arch9wavefront6targetE1EEEvT1_,"axG",@progbits,_ZN7rocprim17ROCPRIM_400000_NS6detail17trampoline_kernelINS0_14default_configENS1_20scan_config_selectorIiEEZZNS1_9scan_implILNS1_25lookback_scan_determinismE0ELb0ELb0ES3_N6thrust23THRUST_200600_302600_NS10device_ptrIiEESB_iNS9_4plusIvEEiEEDaPvRmT3_T4_T5_mT6_P12ihipStream_tbENKUlT_T0_E_clISt17integral_constantIbLb0EESQ_IbLb1EEEEDaSM_SN_EUlSM_E_NS1_11comp_targetILNS1_3genE10ELNS1_11target_archE1201ELNS1_3gpuE5ELNS1_3repE0EEENS1_30default_config_static_selectorELNS0_4arch9wavefront6targetE1EEEvT1_,comdat
.Lfunc_end6809:
	.size	_ZN7rocprim17ROCPRIM_400000_NS6detail17trampoline_kernelINS0_14default_configENS1_20scan_config_selectorIiEEZZNS1_9scan_implILNS1_25lookback_scan_determinismE0ELb0ELb0ES3_N6thrust23THRUST_200600_302600_NS10device_ptrIiEESB_iNS9_4plusIvEEiEEDaPvRmT3_T4_T5_mT6_P12ihipStream_tbENKUlT_T0_E_clISt17integral_constantIbLb0EESQ_IbLb1EEEEDaSM_SN_EUlSM_E_NS1_11comp_targetILNS1_3genE10ELNS1_11target_archE1201ELNS1_3gpuE5ELNS1_3repE0EEENS1_30default_config_static_selectorELNS0_4arch9wavefront6targetE1EEEvT1_, .Lfunc_end6809-_ZN7rocprim17ROCPRIM_400000_NS6detail17trampoline_kernelINS0_14default_configENS1_20scan_config_selectorIiEEZZNS1_9scan_implILNS1_25lookback_scan_determinismE0ELb0ELb0ES3_N6thrust23THRUST_200600_302600_NS10device_ptrIiEESB_iNS9_4plusIvEEiEEDaPvRmT3_T4_T5_mT6_P12ihipStream_tbENKUlT_T0_E_clISt17integral_constantIbLb0EESQ_IbLb1EEEEDaSM_SN_EUlSM_E_NS1_11comp_targetILNS1_3genE10ELNS1_11target_archE1201ELNS1_3gpuE5ELNS1_3repE0EEENS1_30default_config_static_selectorELNS0_4arch9wavefront6targetE1EEEvT1_
                                        ; -- End function
	.section	.AMDGPU.csdata,"",@progbits
; Kernel info:
; codeLenInByte = 0
; NumSgprs: 4
; NumVgprs: 0
; NumAgprs: 0
; TotalNumVgprs: 0
; ScratchSize: 0
; MemoryBound: 0
; FloatMode: 240
; IeeeMode: 1
; LDSByteSize: 0 bytes/workgroup (compile time only)
; SGPRBlocks: 0
; VGPRBlocks: 0
; NumSGPRsForWavesPerEU: 4
; NumVGPRsForWavesPerEU: 1
; AccumOffset: 4
; Occupancy: 8
; WaveLimiterHint : 0
; COMPUTE_PGM_RSRC2:SCRATCH_EN: 0
; COMPUTE_PGM_RSRC2:USER_SGPR: 6
; COMPUTE_PGM_RSRC2:TRAP_HANDLER: 0
; COMPUTE_PGM_RSRC2:TGID_X_EN: 1
; COMPUTE_PGM_RSRC2:TGID_Y_EN: 0
; COMPUTE_PGM_RSRC2:TGID_Z_EN: 0
; COMPUTE_PGM_RSRC2:TIDIG_COMP_CNT: 0
; COMPUTE_PGM_RSRC3_GFX90A:ACCUM_OFFSET: 0
; COMPUTE_PGM_RSRC3_GFX90A:TG_SPLIT: 0
	.section	.text._ZN7rocprim17ROCPRIM_400000_NS6detail17trampoline_kernelINS0_14default_configENS1_20scan_config_selectorIiEEZZNS1_9scan_implILNS1_25lookback_scan_determinismE0ELb0ELb0ES3_N6thrust23THRUST_200600_302600_NS10device_ptrIiEESB_iNS9_4plusIvEEiEEDaPvRmT3_T4_T5_mT6_P12ihipStream_tbENKUlT_T0_E_clISt17integral_constantIbLb0EESQ_IbLb1EEEEDaSM_SN_EUlSM_E_NS1_11comp_targetILNS1_3genE10ELNS1_11target_archE1200ELNS1_3gpuE4ELNS1_3repE0EEENS1_30default_config_static_selectorELNS0_4arch9wavefront6targetE1EEEvT1_,"axG",@progbits,_ZN7rocprim17ROCPRIM_400000_NS6detail17trampoline_kernelINS0_14default_configENS1_20scan_config_selectorIiEEZZNS1_9scan_implILNS1_25lookback_scan_determinismE0ELb0ELb0ES3_N6thrust23THRUST_200600_302600_NS10device_ptrIiEESB_iNS9_4plusIvEEiEEDaPvRmT3_T4_T5_mT6_P12ihipStream_tbENKUlT_T0_E_clISt17integral_constantIbLb0EESQ_IbLb1EEEEDaSM_SN_EUlSM_E_NS1_11comp_targetILNS1_3genE10ELNS1_11target_archE1200ELNS1_3gpuE4ELNS1_3repE0EEENS1_30default_config_static_selectorELNS0_4arch9wavefront6targetE1EEEvT1_,comdat
	.protected	_ZN7rocprim17ROCPRIM_400000_NS6detail17trampoline_kernelINS0_14default_configENS1_20scan_config_selectorIiEEZZNS1_9scan_implILNS1_25lookback_scan_determinismE0ELb0ELb0ES3_N6thrust23THRUST_200600_302600_NS10device_ptrIiEESB_iNS9_4plusIvEEiEEDaPvRmT3_T4_T5_mT6_P12ihipStream_tbENKUlT_T0_E_clISt17integral_constantIbLb0EESQ_IbLb1EEEEDaSM_SN_EUlSM_E_NS1_11comp_targetILNS1_3genE10ELNS1_11target_archE1200ELNS1_3gpuE4ELNS1_3repE0EEENS1_30default_config_static_selectorELNS0_4arch9wavefront6targetE1EEEvT1_ ; -- Begin function _ZN7rocprim17ROCPRIM_400000_NS6detail17trampoline_kernelINS0_14default_configENS1_20scan_config_selectorIiEEZZNS1_9scan_implILNS1_25lookback_scan_determinismE0ELb0ELb0ES3_N6thrust23THRUST_200600_302600_NS10device_ptrIiEESB_iNS9_4plusIvEEiEEDaPvRmT3_T4_T5_mT6_P12ihipStream_tbENKUlT_T0_E_clISt17integral_constantIbLb0EESQ_IbLb1EEEEDaSM_SN_EUlSM_E_NS1_11comp_targetILNS1_3genE10ELNS1_11target_archE1200ELNS1_3gpuE4ELNS1_3repE0EEENS1_30default_config_static_selectorELNS0_4arch9wavefront6targetE1EEEvT1_
	.globl	_ZN7rocprim17ROCPRIM_400000_NS6detail17trampoline_kernelINS0_14default_configENS1_20scan_config_selectorIiEEZZNS1_9scan_implILNS1_25lookback_scan_determinismE0ELb0ELb0ES3_N6thrust23THRUST_200600_302600_NS10device_ptrIiEESB_iNS9_4plusIvEEiEEDaPvRmT3_T4_T5_mT6_P12ihipStream_tbENKUlT_T0_E_clISt17integral_constantIbLb0EESQ_IbLb1EEEEDaSM_SN_EUlSM_E_NS1_11comp_targetILNS1_3genE10ELNS1_11target_archE1200ELNS1_3gpuE4ELNS1_3repE0EEENS1_30default_config_static_selectorELNS0_4arch9wavefront6targetE1EEEvT1_
	.p2align	8
	.type	_ZN7rocprim17ROCPRIM_400000_NS6detail17trampoline_kernelINS0_14default_configENS1_20scan_config_selectorIiEEZZNS1_9scan_implILNS1_25lookback_scan_determinismE0ELb0ELb0ES3_N6thrust23THRUST_200600_302600_NS10device_ptrIiEESB_iNS9_4plusIvEEiEEDaPvRmT3_T4_T5_mT6_P12ihipStream_tbENKUlT_T0_E_clISt17integral_constantIbLb0EESQ_IbLb1EEEEDaSM_SN_EUlSM_E_NS1_11comp_targetILNS1_3genE10ELNS1_11target_archE1200ELNS1_3gpuE4ELNS1_3repE0EEENS1_30default_config_static_selectorELNS0_4arch9wavefront6targetE1EEEvT1_,@function
_ZN7rocprim17ROCPRIM_400000_NS6detail17trampoline_kernelINS0_14default_configENS1_20scan_config_selectorIiEEZZNS1_9scan_implILNS1_25lookback_scan_determinismE0ELb0ELb0ES3_N6thrust23THRUST_200600_302600_NS10device_ptrIiEESB_iNS9_4plusIvEEiEEDaPvRmT3_T4_T5_mT6_P12ihipStream_tbENKUlT_T0_E_clISt17integral_constantIbLb0EESQ_IbLb1EEEEDaSM_SN_EUlSM_E_NS1_11comp_targetILNS1_3genE10ELNS1_11target_archE1200ELNS1_3gpuE4ELNS1_3repE0EEENS1_30default_config_static_selectorELNS0_4arch9wavefront6targetE1EEEvT1_: ; @_ZN7rocprim17ROCPRIM_400000_NS6detail17trampoline_kernelINS0_14default_configENS1_20scan_config_selectorIiEEZZNS1_9scan_implILNS1_25lookback_scan_determinismE0ELb0ELb0ES3_N6thrust23THRUST_200600_302600_NS10device_ptrIiEESB_iNS9_4plusIvEEiEEDaPvRmT3_T4_T5_mT6_P12ihipStream_tbENKUlT_T0_E_clISt17integral_constantIbLb0EESQ_IbLb1EEEEDaSM_SN_EUlSM_E_NS1_11comp_targetILNS1_3genE10ELNS1_11target_archE1200ELNS1_3gpuE4ELNS1_3repE0EEENS1_30default_config_static_selectorELNS0_4arch9wavefront6targetE1EEEvT1_
; %bb.0:
	.section	.rodata,"a",@progbits
	.p2align	6, 0x0
	.amdhsa_kernel _ZN7rocprim17ROCPRIM_400000_NS6detail17trampoline_kernelINS0_14default_configENS1_20scan_config_selectorIiEEZZNS1_9scan_implILNS1_25lookback_scan_determinismE0ELb0ELb0ES3_N6thrust23THRUST_200600_302600_NS10device_ptrIiEESB_iNS9_4plusIvEEiEEDaPvRmT3_T4_T5_mT6_P12ihipStream_tbENKUlT_T0_E_clISt17integral_constantIbLb0EESQ_IbLb1EEEEDaSM_SN_EUlSM_E_NS1_11comp_targetILNS1_3genE10ELNS1_11target_archE1200ELNS1_3gpuE4ELNS1_3repE0EEENS1_30default_config_static_selectorELNS0_4arch9wavefront6targetE1EEEvT1_
		.amdhsa_group_segment_fixed_size 0
		.amdhsa_private_segment_fixed_size 0
		.amdhsa_kernarg_size 96
		.amdhsa_user_sgpr_count 6
		.amdhsa_user_sgpr_private_segment_buffer 1
		.amdhsa_user_sgpr_dispatch_ptr 0
		.amdhsa_user_sgpr_queue_ptr 0
		.amdhsa_user_sgpr_kernarg_segment_ptr 1
		.amdhsa_user_sgpr_dispatch_id 0
		.amdhsa_user_sgpr_flat_scratch_init 0
		.amdhsa_user_sgpr_kernarg_preload_length 0
		.amdhsa_user_sgpr_kernarg_preload_offset 0
		.amdhsa_user_sgpr_private_segment_size 0
		.amdhsa_uses_dynamic_stack 0
		.amdhsa_system_sgpr_private_segment_wavefront_offset 0
		.amdhsa_system_sgpr_workgroup_id_x 1
		.amdhsa_system_sgpr_workgroup_id_y 0
		.amdhsa_system_sgpr_workgroup_id_z 0
		.amdhsa_system_sgpr_workgroup_info 0
		.amdhsa_system_vgpr_workitem_id 0
		.amdhsa_next_free_vgpr 1
		.amdhsa_next_free_sgpr 0
		.amdhsa_accum_offset 4
		.amdhsa_reserve_vcc 0
		.amdhsa_reserve_flat_scratch 0
		.amdhsa_float_round_mode_32 0
		.amdhsa_float_round_mode_16_64 0
		.amdhsa_float_denorm_mode_32 3
		.amdhsa_float_denorm_mode_16_64 3
		.amdhsa_dx10_clamp 1
		.amdhsa_ieee_mode 1
		.amdhsa_fp16_overflow 0
		.amdhsa_tg_split 0
		.amdhsa_exception_fp_ieee_invalid_op 0
		.amdhsa_exception_fp_denorm_src 0
		.amdhsa_exception_fp_ieee_div_zero 0
		.amdhsa_exception_fp_ieee_overflow 0
		.amdhsa_exception_fp_ieee_underflow 0
		.amdhsa_exception_fp_ieee_inexact 0
		.amdhsa_exception_int_div_zero 0
	.end_amdhsa_kernel
	.section	.text._ZN7rocprim17ROCPRIM_400000_NS6detail17trampoline_kernelINS0_14default_configENS1_20scan_config_selectorIiEEZZNS1_9scan_implILNS1_25lookback_scan_determinismE0ELb0ELb0ES3_N6thrust23THRUST_200600_302600_NS10device_ptrIiEESB_iNS9_4plusIvEEiEEDaPvRmT3_T4_T5_mT6_P12ihipStream_tbENKUlT_T0_E_clISt17integral_constantIbLb0EESQ_IbLb1EEEEDaSM_SN_EUlSM_E_NS1_11comp_targetILNS1_3genE10ELNS1_11target_archE1200ELNS1_3gpuE4ELNS1_3repE0EEENS1_30default_config_static_selectorELNS0_4arch9wavefront6targetE1EEEvT1_,"axG",@progbits,_ZN7rocprim17ROCPRIM_400000_NS6detail17trampoline_kernelINS0_14default_configENS1_20scan_config_selectorIiEEZZNS1_9scan_implILNS1_25lookback_scan_determinismE0ELb0ELb0ES3_N6thrust23THRUST_200600_302600_NS10device_ptrIiEESB_iNS9_4plusIvEEiEEDaPvRmT3_T4_T5_mT6_P12ihipStream_tbENKUlT_T0_E_clISt17integral_constantIbLb0EESQ_IbLb1EEEEDaSM_SN_EUlSM_E_NS1_11comp_targetILNS1_3genE10ELNS1_11target_archE1200ELNS1_3gpuE4ELNS1_3repE0EEENS1_30default_config_static_selectorELNS0_4arch9wavefront6targetE1EEEvT1_,comdat
.Lfunc_end6810:
	.size	_ZN7rocprim17ROCPRIM_400000_NS6detail17trampoline_kernelINS0_14default_configENS1_20scan_config_selectorIiEEZZNS1_9scan_implILNS1_25lookback_scan_determinismE0ELb0ELb0ES3_N6thrust23THRUST_200600_302600_NS10device_ptrIiEESB_iNS9_4plusIvEEiEEDaPvRmT3_T4_T5_mT6_P12ihipStream_tbENKUlT_T0_E_clISt17integral_constantIbLb0EESQ_IbLb1EEEEDaSM_SN_EUlSM_E_NS1_11comp_targetILNS1_3genE10ELNS1_11target_archE1200ELNS1_3gpuE4ELNS1_3repE0EEENS1_30default_config_static_selectorELNS0_4arch9wavefront6targetE1EEEvT1_, .Lfunc_end6810-_ZN7rocprim17ROCPRIM_400000_NS6detail17trampoline_kernelINS0_14default_configENS1_20scan_config_selectorIiEEZZNS1_9scan_implILNS1_25lookback_scan_determinismE0ELb0ELb0ES3_N6thrust23THRUST_200600_302600_NS10device_ptrIiEESB_iNS9_4plusIvEEiEEDaPvRmT3_T4_T5_mT6_P12ihipStream_tbENKUlT_T0_E_clISt17integral_constantIbLb0EESQ_IbLb1EEEEDaSM_SN_EUlSM_E_NS1_11comp_targetILNS1_3genE10ELNS1_11target_archE1200ELNS1_3gpuE4ELNS1_3repE0EEENS1_30default_config_static_selectorELNS0_4arch9wavefront6targetE1EEEvT1_
                                        ; -- End function
	.section	.AMDGPU.csdata,"",@progbits
; Kernel info:
; codeLenInByte = 0
; NumSgprs: 4
; NumVgprs: 0
; NumAgprs: 0
; TotalNumVgprs: 0
; ScratchSize: 0
; MemoryBound: 0
; FloatMode: 240
; IeeeMode: 1
; LDSByteSize: 0 bytes/workgroup (compile time only)
; SGPRBlocks: 0
; VGPRBlocks: 0
; NumSGPRsForWavesPerEU: 4
; NumVGPRsForWavesPerEU: 1
; AccumOffset: 4
; Occupancy: 8
; WaveLimiterHint : 0
; COMPUTE_PGM_RSRC2:SCRATCH_EN: 0
; COMPUTE_PGM_RSRC2:USER_SGPR: 6
; COMPUTE_PGM_RSRC2:TRAP_HANDLER: 0
; COMPUTE_PGM_RSRC2:TGID_X_EN: 1
; COMPUTE_PGM_RSRC2:TGID_Y_EN: 0
; COMPUTE_PGM_RSRC2:TGID_Z_EN: 0
; COMPUTE_PGM_RSRC2:TIDIG_COMP_CNT: 0
; COMPUTE_PGM_RSRC3_GFX90A:ACCUM_OFFSET: 0
; COMPUTE_PGM_RSRC3_GFX90A:TG_SPLIT: 0
	.section	.text._ZN7rocprim17ROCPRIM_400000_NS6detail17trampoline_kernelINS0_14default_configENS1_20scan_config_selectorIiEEZZNS1_9scan_implILNS1_25lookback_scan_determinismE0ELb0ELb0ES3_N6thrust23THRUST_200600_302600_NS10device_ptrIiEESB_iNS9_4plusIvEEiEEDaPvRmT3_T4_T5_mT6_P12ihipStream_tbENKUlT_T0_E_clISt17integral_constantIbLb0EESQ_IbLb1EEEEDaSM_SN_EUlSM_E_NS1_11comp_targetILNS1_3genE9ELNS1_11target_archE1100ELNS1_3gpuE3ELNS1_3repE0EEENS1_30default_config_static_selectorELNS0_4arch9wavefront6targetE1EEEvT1_,"axG",@progbits,_ZN7rocprim17ROCPRIM_400000_NS6detail17trampoline_kernelINS0_14default_configENS1_20scan_config_selectorIiEEZZNS1_9scan_implILNS1_25lookback_scan_determinismE0ELb0ELb0ES3_N6thrust23THRUST_200600_302600_NS10device_ptrIiEESB_iNS9_4plusIvEEiEEDaPvRmT3_T4_T5_mT6_P12ihipStream_tbENKUlT_T0_E_clISt17integral_constantIbLb0EESQ_IbLb1EEEEDaSM_SN_EUlSM_E_NS1_11comp_targetILNS1_3genE9ELNS1_11target_archE1100ELNS1_3gpuE3ELNS1_3repE0EEENS1_30default_config_static_selectorELNS0_4arch9wavefront6targetE1EEEvT1_,comdat
	.protected	_ZN7rocprim17ROCPRIM_400000_NS6detail17trampoline_kernelINS0_14default_configENS1_20scan_config_selectorIiEEZZNS1_9scan_implILNS1_25lookback_scan_determinismE0ELb0ELb0ES3_N6thrust23THRUST_200600_302600_NS10device_ptrIiEESB_iNS9_4plusIvEEiEEDaPvRmT3_T4_T5_mT6_P12ihipStream_tbENKUlT_T0_E_clISt17integral_constantIbLb0EESQ_IbLb1EEEEDaSM_SN_EUlSM_E_NS1_11comp_targetILNS1_3genE9ELNS1_11target_archE1100ELNS1_3gpuE3ELNS1_3repE0EEENS1_30default_config_static_selectorELNS0_4arch9wavefront6targetE1EEEvT1_ ; -- Begin function _ZN7rocprim17ROCPRIM_400000_NS6detail17trampoline_kernelINS0_14default_configENS1_20scan_config_selectorIiEEZZNS1_9scan_implILNS1_25lookback_scan_determinismE0ELb0ELb0ES3_N6thrust23THRUST_200600_302600_NS10device_ptrIiEESB_iNS9_4plusIvEEiEEDaPvRmT3_T4_T5_mT6_P12ihipStream_tbENKUlT_T0_E_clISt17integral_constantIbLb0EESQ_IbLb1EEEEDaSM_SN_EUlSM_E_NS1_11comp_targetILNS1_3genE9ELNS1_11target_archE1100ELNS1_3gpuE3ELNS1_3repE0EEENS1_30default_config_static_selectorELNS0_4arch9wavefront6targetE1EEEvT1_
	.globl	_ZN7rocprim17ROCPRIM_400000_NS6detail17trampoline_kernelINS0_14default_configENS1_20scan_config_selectorIiEEZZNS1_9scan_implILNS1_25lookback_scan_determinismE0ELb0ELb0ES3_N6thrust23THRUST_200600_302600_NS10device_ptrIiEESB_iNS9_4plusIvEEiEEDaPvRmT3_T4_T5_mT6_P12ihipStream_tbENKUlT_T0_E_clISt17integral_constantIbLb0EESQ_IbLb1EEEEDaSM_SN_EUlSM_E_NS1_11comp_targetILNS1_3genE9ELNS1_11target_archE1100ELNS1_3gpuE3ELNS1_3repE0EEENS1_30default_config_static_selectorELNS0_4arch9wavefront6targetE1EEEvT1_
	.p2align	8
	.type	_ZN7rocprim17ROCPRIM_400000_NS6detail17trampoline_kernelINS0_14default_configENS1_20scan_config_selectorIiEEZZNS1_9scan_implILNS1_25lookback_scan_determinismE0ELb0ELb0ES3_N6thrust23THRUST_200600_302600_NS10device_ptrIiEESB_iNS9_4plusIvEEiEEDaPvRmT3_T4_T5_mT6_P12ihipStream_tbENKUlT_T0_E_clISt17integral_constantIbLb0EESQ_IbLb1EEEEDaSM_SN_EUlSM_E_NS1_11comp_targetILNS1_3genE9ELNS1_11target_archE1100ELNS1_3gpuE3ELNS1_3repE0EEENS1_30default_config_static_selectorELNS0_4arch9wavefront6targetE1EEEvT1_,@function
_ZN7rocprim17ROCPRIM_400000_NS6detail17trampoline_kernelINS0_14default_configENS1_20scan_config_selectorIiEEZZNS1_9scan_implILNS1_25lookback_scan_determinismE0ELb0ELb0ES3_N6thrust23THRUST_200600_302600_NS10device_ptrIiEESB_iNS9_4plusIvEEiEEDaPvRmT3_T4_T5_mT6_P12ihipStream_tbENKUlT_T0_E_clISt17integral_constantIbLb0EESQ_IbLb1EEEEDaSM_SN_EUlSM_E_NS1_11comp_targetILNS1_3genE9ELNS1_11target_archE1100ELNS1_3gpuE3ELNS1_3repE0EEENS1_30default_config_static_selectorELNS0_4arch9wavefront6targetE1EEEvT1_: ; @_ZN7rocprim17ROCPRIM_400000_NS6detail17trampoline_kernelINS0_14default_configENS1_20scan_config_selectorIiEEZZNS1_9scan_implILNS1_25lookback_scan_determinismE0ELb0ELb0ES3_N6thrust23THRUST_200600_302600_NS10device_ptrIiEESB_iNS9_4plusIvEEiEEDaPvRmT3_T4_T5_mT6_P12ihipStream_tbENKUlT_T0_E_clISt17integral_constantIbLb0EESQ_IbLb1EEEEDaSM_SN_EUlSM_E_NS1_11comp_targetILNS1_3genE9ELNS1_11target_archE1100ELNS1_3gpuE3ELNS1_3repE0EEENS1_30default_config_static_selectorELNS0_4arch9wavefront6targetE1EEEvT1_
; %bb.0:
	.section	.rodata,"a",@progbits
	.p2align	6, 0x0
	.amdhsa_kernel _ZN7rocprim17ROCPRIM_400000_NS6detail17trampoline_kernelINS0_14default_configENS1_20scan_config_selectorIiEEZZNS1_9scan_implILNS1_25lookback_scan_determinismE0ELb0ELb0ES3_N6thrust23THRUST_200600_302600_NS10device_ptrIiEESB_iNS9_4plusIvEEiEEDaPvRmT3_T4_T5_mT6_P12ihipStream_tbENKUlT_T0_E_clISt17integral_constantIbLb0EESQ_IbLb1EEEEDaSM_SN_EUlSM_E_NS1_11comp_targetILNS1_3genE9ELNS1_11target_archE1100ELNS1_3gpuE3ELNS1_3repE0EEENS1_30default_config_static_selectorELNS0_4arch9wavefront6targetE1EEEvT1_
		.amdhsa_group_segment_fixed_size 0
		.amdhsa_private_segment_fixed_size 0
		.amdhsa_kernarg_size 96
		.amdhsa_user_sgpr_count 6
		.amdhsa_user_sgpr_private_segment_buffer 1
		.amdhsa_user_sgpr_dispatch_ptr 0
		.amdhsa_user_sgpr_queue_ptr 0
		.amdhsa_user_sgpr_kernarg_segment_ptr 1
		.amdhsa_user_sgpr_dispatch_id 0
		.amdhsa_user_sgpr_flat_scratch_init 0
		.amdhsa_user_sgpr_kernarg_preload_length 0
		.amdhsa_user_sgpr_kernarg_preload_offset 0
		.amdhsa_user_sgpr_private_segment_size 0
		.amdhsa_uses_dynamic_stack 0
		.amdhsa_system_sgpr_private_segment_wavefront_offset 0
		.amdhsa_system_sgpr_workgroup_id_x 1
		.amdhsa_system_sgpr_workgroup_id_y 0
		.amdhsa_system_sgpr_workgroup_id_z 0
		.amdhsa_system_sgpr_workgroup_info 0
		.amdhsa_system_vgpr_workitem_id 0
		.amdhsa_next_free_vgpr 1
		.amdhsa_next_free_sgpr 0
		.amdhsa_accum_offset 4
		.amdhsa_reserve_vcc 0
		.amdhsa_reserve_flat_scratch 0
		.amdhsa_float_round_mode_32 0
		.amdhsa_float_round_mode_16_64 0
		.amdhsa_float_denorm_mode_32 3
		.amdhsa_float_denorm_mode_16_64 3
		.amdhsa_dx10_clamp 1
		.amdhsa_ieee_mode 1
		.amdhsa_fp16_overflow 0
		.amdhsa_tg_split 0
		.amdhsa_exception_fp_ieee_invalid_op 0
		.amdhsa_exception_fp_denorm_src 0
		.amdhsa_exception_fp_ieee_div_zero 0
		.amdhsa_exception_fp_ieee_overflow 0
		.amdhsa_exception_fp_ieee_underflow 0
		.amdhsa_exception_fp_ieee_inexact 0
		.amdhsa_exception_int_div_zero 0
	.end_amdhsa_kernel
	.section	.text._ZN7rocprim17ROCPRIM_400000_NS6detail17trampoline_kernelINS0_14default_configENS1_20scan_config_selectorIiEEZZNS1_9scan_implILNS1_25lookback_scan_determinismE0ELb0ELb0ES3_N6thrust23THRUST_200600_302600_NS10device_ptrIiEESB_iNS9_4plusIvEEiEEDaPvRmT3_T4_T5_mT6_P12ihipStream_tbENKUlT_T0_E_clISt17integral_constantIbLb0EESQ_IbLb1EEEEDaSM_SN_EUlSM_E_NS1_11comp_targetILNS1_3genE9ELNS1_11target_archE1100ELNS1_3gpuE3ELNS1_3repE0EEENS1_30default_config_static_selectorELNS0_4arch9wavefront6targetE1EEEvT1_,"axG",@progbits,_ZN7rocprim17ROCPRIM_400000_NS6detail17trampoline_kernelINS0_14default_configENS1_20scan_config_selectorIiEEZZNS1_9scan_implILNS1_25lookback_scan_determinismE0ELb0ELb0ES3_N6thrust23THRUST_200600_302600_NS10device_ptrIiEESB_iNS9_4plusIvEEiEEDaPvRmT3_T4_T5_mT6_P12ihipStream_tbENKUlT_T0_E_clISt17integral_constantIbLb0EESQ_IbLb1EEEEDaSM_SN_EUlSM_E_NS1_11comp_targetILNS1_3genE9ELNS1_11target_archE1100ELNS1_3gpuE3ELNS1_3repE0EEENS1_30default_config_static_selectorELNS0_4arch9wavefront6targetE1EEEvT1_,comdat
.Lfunc_end6811:
	.size	_ZN7rocprim17ROCPRIM_400000_NS6detail17trampoline_kernelINS0_14default_configENS1_20scan_config_selectorIiEEZZNS1_9scan_implILNS1_25lookback_scan_determinismE0ELb0ELb0ES3_N6thrust23THRUST_200600_302600_NS10device_ptrIiEESB_iNS9_4plusIvEEiEEDaPvRmT3_T4_T5_mT6_P12ihipStream_tbENKUlT_T0_E_clISt17integral_constantIbLb0EESQ_IbLb1EEEEDaSM_SN_EUlSM_E_NS1_11comp_targetILNS1_3genE9ELNS1_11target_archE1100ELNS1_3gpuE3ELNS1_3repE0EEENS1_30default_config_static_selectorELNS0_4arch9wavefront6targetE1EEEvT1_, .Lfunc_end6811-_ZN7rocprim17ROCPRIM_400000_NS6detail17trampoline_kernelINS0_14default_configENS1_20scan_config_selectorIiEEZZNS1_9scan_implILNS1_25lookback_scan_determinismE0ELb0ELb0ES3_N6thrust23THRUST_200600_302600_NS10device_ptrIiEESB_iNS9_4plusIvEEiEEDaPvRmT3_T4_T5_mT6_P12ihipStream_tbENKUlT_T0_E_clISt17integral_constantIbLb0EESQ_IbLb1EEEEDaSM_SN_EUlSM_E_NS1_11comp_targetILNS1_3genE9ELNS1_11target_archE1100ELNS1_3gpuE3ELNS1_3repE0EEENS1_30default_config_static_selectorELNS0_4arch9wavefront6targetE1EEEvT1_
                                        ; -- End function
	.section	.AMDGPU.csdata,"",@progbits
; Kernel info:
; codeLenInByte = 0
; NumSgprs: 4
; NumVgprs: 0
; NumAgprs: 0
; TotalNumVgprs: 0
; ScratchSize: 0
; MemoryBound: 0
; FloatMode: 240
; IeeeMode: 1
; LDSByteSize: 0 bytes/workgroup (compile time only)
; SGPRBlocks: 0
; VGPRBlocks: 0
; NumSGPRsForWavesPerEU: 4
; NumVGPRsForWavesPerEU: 1
; AccumOffset: 4
; Occupancy: 8
; WaveLimiterHint : 0
; COMPUTE_PGM_RSRC2:SCRATCH_EN: 0
; COMPUTE_PGM_RSRC2:USER_SGPR: 6
; COMPUTE_PGM_RSRC2:TRAP_HANDLER: 0
; COMPUTE_PGM_RSRC2:TGID_X_EN: 1
; COMPUTE_PGM_RSRC2:TGID_Y_EN: 0
; COMPUTE_PGM_RSRC2:TGID_Z_EN: 0
; COMPUTE_PGM_RSRC2:TIDIG_COMP_CNT: 0
; COMPUTE_PGM_RSRC3_GFX90A:ACCUM_OFFSET: 0
; COMPUTE_PGM_RSRC3_GFX90A:TG_SPLIT: 0
	.section	.text._ZN7rocprim17ROCPRIM_400000_NS6detail17trampoline_kernelINS0_14default_configENS1_20scan_config_selectorIiEEZZNS1_9scan_implILNS1_25lookback_scan_determinismE0ELb0ELb0ES3_N6thrust23THRUST_200600_302600_NS10device_ptrIiEESB_iNS9_4plusIvEEiEEDaPvRmT3_T4_T5_mT6_P12ihipStream_tbENKUlT_T0_E_clISt17integral_constantIbLb0EESQ_IbLb1EEEEDaSM_SN_EUlSM_E_NS1_11comp_targetILNS1_3genE8ELNS1_11target_archE1030ELNS1_3gpuE2ELNS1_3repE0EEENS1_30default_config_static_selectorELNS0_4arch9wavefront6targetE1EEEvT1_,"axG",@progbits,_ZN7rocprim17ROCPRIM_400000_NS6detail17trampoline_kernelINS0_14default_configENS1_20scan_config_selectorIiEEZZNS1_9scan_implILNS1_25lookback_scan_determinismE0ELb0ELb0ES3_N6thrust23THRUST_200600_302600_NS10device_ptrIiEESB_iNS9_4plusIvEEiEEDaPvRmT3_T4_T5_mT6_P12ihipStream_tbENKUlT_T0_E_clISt17integral_constantIbLb0EESQ_IbLb1EEEEDaSM_SN_EUlSM_E_NS1_11comp_targetILNS1_3genE8ELNS1_11target_archE1030ELNS1_3gpuE2ELNS1_3repE0EEENS1_30default_config_static_selectorELNS0_4arch9wavefront6targetE1EEEvT1_,comdat
	.protected	_ZN7rocprim17ROCPRIM_400000_NS6detail17trampoline_kernelINS0_14default_configENS1_20scan_config_selectorIiEEZZNS1_9scan_implILNS1_25lookback_scan_determinismE0ELb0ELb0ES3_N6thrust23THRUST_200600_302600_NS10device_ptrIiEESB_iNS9_4plusIvEEiEEDaPvRmT3_T4_T5_mT6_P12ihipStream_tbENKUlT_T0_E_clISt17integral_constantIbLb0EESQ_IbLb1EEEEDaSM_SN_EUlSM_E_NS1_11comp_targetILNS1_3genE8ELNS1_11target_archE1030ELNS1_3gpuE2ELNS1_3repE0EEENS1_30default_config_static_selectorELNS0_4arch9wavefront6targetE1EEEvT1_ ; -- Begin function _ZN7rocprim17ROCPRIM_400000_NS6detail17trampoline_kernelINS0_14default_configENS1_20scan_config_selectorIiEEZZNS1_9scan_implILNS1_25lookback_scan_determinismE0ELb0ELb0ES3_N6thrust23THRUST_200600_302600_NS10device_ptrIiEESB_iNS9_4plusIvEEiEEDaPvRmT3_T4_T5_mT6_P12ihipStream_tbENKUlT_T0_E_clISt17integral_constantIbLb0EESQ_IbLb1EEEEDaSM_SN_EUlSM_E_NS1_11comp_targetILNS1_3genE8ELNS1_11target_archE1030ELNS1_3gpuE2ELNS1_3repE0EEENS1_30default_config_static_selectorELNS0_4arch9wavefront6targetE1EEEvT1_
	.globl	_ZN7rocprim17ROCPRIM_400000_NS6detail17trampoline_kernelINS0_14default_configENS1_20scan_config_selectorIiEEZZNS1_9scan_implILNS1_25lookback_scan_determinismE0ELb0ELb0ES3_N6thrust23THRUST_200600_302600_NS10device_ptrIiEESB_iNS9_4plusIvEEiEEDaPvRmT3_T4_T5_mT6_P12ihipStream_tbENKUlT_T0_E_clISt17integral_constantIbLb0EESQ_IbLb1EEEEDaSM_SN_EUlSM_E_NS1_11comp_targetILNS1_3genE8ELNS1_11target_archE1030ELNS1_3gpuE2ELNS1_3repE0EEENS1_30default_config_static_selectorELNS0_4arch9wavefront6targetE1EEEvT1_
	.p2align	8
	.type	_ZN7rocprim17ROCPRIM_400000_NS6detail17trampoline_kernelINS0_14default_configENS1_20scan_config_selectorIiEEZZNS1_9scan_implILNS1_25lookback_scan_determinismE0ELb0ELb0ES3_N6thrust23THRUST_200600_302600_NS10device_ptrIiEESB_iNS9_4plusIvEEiEEDaPvRmT3_T4_T5_mT6_P12ihipStream_tbENKUlT_T0_E_clISt17integral_constantIbLb0EESQ_IbLb1EEEEDaSM_SN_EUlSM_E_NS1_11comp_targetILNS1_3genE8ELNS1_11target_archE1030ELNS1_3gpuE2ELNS1_3repE0EEENS1_30default_config_static_selectorELNS0_4arch9wavefront6targetE1EEEvT1_,@function
_ZN7rocprim17ROCPRIM_400000_NS6detail17trampoline_kernelINS0_14default_configENS1_20scan_config_selectorIiEEZZNS1_9scan_implILNS1_25lookback_scan_determinismE0ELb0ELb0ES3_N6thrust23THRUST_200600_302600_NS10device_ptrIiEESB_iNS9_4plusIvEEiEEDaPvRmT3_T4_T5_mT6_P12ihipStream_tbENKUlT_T0_E_clISt17integral_constantIbLb0EESQ_IbLb1EEEEDaSM_SN_EUlSM_E_NS1_11comp_targetILNS1_3genE8ELNS1_11target_archE1030ELNS1_3gpuE2ELNS1_3repE0EEENS1_30default_config_static_selectorELNS0_4arch9wavefront6targetE1EEEvT1_: ; @_ZN7rocprim17ROCPRIM_400000_NS6detail17trampoline_kernelINS0_14default_configENS1_20scan_config_selectorIiEEZZNS1_9scan_implILNS1_25lookback_scan_determinismE0ELb0ELb0ES3_N6thrust23THRUST_200600_302600_NS10device_ptrIiEESB_iNS9_4plusIvEEiEEDaPvRmT3_T4_T5_mT6_P12ihipStream_tbENKUlT_T0_E_clISt17integral_constantIbLb0EESQ_IbLb1EEEEDaSM_SN_EUlSM_E_NS1_11comp_targetILNS1_3genE8ELNS1_11target_archE1030ELNS1_3gpuE2ELNS1_3repE0EEENS1_30default_config_static_selectorELNS0_4arch9wavefront6targetE1EEEvT1_
; %bb.0:
	.section	.rodata,"a",@progbits
	.p2align	6, 0x0
	.amdhsa_kernel _ZN7rocprim17ROCPRIM_400000_NS6detail17trampoline_kernelINS0_14default_configENS1_20scan_config_selectorIiEEZZNS1_9scan_implILNS1_25lookback_scan_determinismE0ELb0ELb0ES3_N6thrust23THRUST_200600_302600_NS10device_ptrIiEESB_iNS9_4plusIvEEiEEDaPvRmT3_T4_T5_mT6_P12ihipStream_tbENKUlT_T0_E_clISt17integral_constantIbLb0EESQ_IbLb1EEEEDaSM_SN_EUlSM_E_NS1_11comp_targetILNS1_3genE8ELNS1_11target_archE1030ELNS1_3gpuE2ELNS1_3repE0EEENS1_30default_config_static_selectorELNS0_4arch9wavefront6targetE1EEEvT1_
		.amdhsa_group_segment_fixed_size 0
		.amdhsa_private_segment_fixed_size 0
		.amdhsa_kernarg_size 96
		.amdhsa_user_sgpr_count 6
		.amdhsa_user_sgpr_private_segment_buffer 1
		.amdhsa_user_sgpr_dispatch_ptr 0
		.amdhsa_user_sgpr_queue_ptr 0
		.amdhsa_user_sgpr_kernarg_segment_ptr 1
		.amdhsa_user_sgpr_dispatch_id 0
		.amdhsa_user_sgpr_flat_scratch_init 0
		.amdhsa_user_sgpr_kernarg_preload_length 0
		.amdhsa_user_sgpr_kernarg_preload_offset 0
		.amdhsa_user_sgpr_private_segment_size 0
		.amdhsa_uses_dynamic_stack 0
		.amdhsa_system_sgpr_private_segment_wavefront_offset 0
		.amdhsa_system_sgpr_workgroup_id_x 1
		.amdhsa_system_sgpr_workgroup_id_y 0
		.amdhsa_system_sgpr_workgroup_id_z 0
		.amdhsa_system_sgpr_workgroup_info 0
		.amdhsa_system_vgpr_workitem_id 0
		.amdhsa_next_free_vgpr 1
		.amdhsa_next_free_sgpr 0
		.amdhsa_accum_offset 4
		.amdhsa_reserve_vcc 0
		.amdhsa_reserve_flat_scratch 0
		.amdhsa_float_round_mode_32 0
		.amdhsa_float_round_mode_16_64 0
		.amdhsa_float_denorm_mode_32 3
		.amdhsa_float_denorm_mode_16_64 3
		.amdhsa_dx10_clamp 1
		.amdhsa_ieee_mode 1
		.amdhsa_fp16_overflow 0
		.amdhsa_tg_split 0
		.amdhsa_exception_fp_ieee_invalid_op 0
		.amdhsa_exception_fp_denorm_src 0
		.amdhsa_exception_fp_ieee_div_zero 0
		.amdhsa_exception_fp_ieee_overflow 0
		.amdhsa_exception_fp_ieee_underflow 0
		.amdhsa_exception_fp_ieee_inexact 0
		.amdhsa_exception_int_div_zero 0
	.end_amdhsa_kernel
	.section	.text._ZN7rocprim17ROCPRIM_400000_NS6detail17trampoline_kernelINS0_14default_configENS1_20scan_config_selectorIiEEZZNS1_9scan_implILNS1_25lookback_scan_determinismE0ELb0ELb0ES3_N6thrust23THRUST_200600_302600_NS10device_ptrIiEESB_iNS9_4plusIvEEiEEDaPvRmT3_T4_T5_mT6_P12ihipStream_tbENKUlT_T0_E_clISt17integral_constantIbLb0EESQ_IbLb1EEEEDaSM_SN_EUlSM_E_NS1_11comp_targetILNS1_3genE8ELNS1_11target_archE1030ELNS1_3gpuE2ELNS1_3repE0EEENS1_30default_config_static_selectorELNS0_4arch9wavefront6targetE1EEEvT1_,"axG",@progbits,_ZN7rocprim17ROCPRIM_400000_NS6detail17trampoline_kernelINS0_14default_configENS1_20scan_config_selectorIiEEZZNS1_9scan_implILNS1_25lookback_scan_determinismE0ELb0ELb0ES3_N6thrust23THRUST_200600_302600_NS10device_ptrIiEESB_iNS9_4plusIvEEiEEDaPvRmT3_T4_T5_mT6_P12ihipStream_tbENKUlT_T0_E_clISt17integral_constantIbLb0EESQ_IbLb1EEEEDaSM_SN_EUlSM_E_NS1_11comp_targetILNS1_3genE8ELNS1_11target_archE1030ELNS1_3gpuE2ELNS1_3repE0EEENS1_30default_config_static_selectorELNS0_4arch9wavefront6targetE1EEEvT1_,comdat
.Lfunc_end6812:
	.size	_ZN7rocprim17ROCPRIM_400000_NS6detail17trampoline_kernelINS0_14default_configENS1_20scan_config_selectorIiEEZZNS1_9scan_implILNS1_25lookback_scan_determinismE0ELb0ELb0ES3_N6thrust23THRUST_200600_302600_NS10device_ptrIiEESB_iNS9_4plusIvEEiEEDaPvRmT3_T4_T5_mT6_P12ihipStream_tbENKUlT_T0_E_clISt17integral_constantIbLb0EESQ_IbLb1EEEEDaSM_SN_EUlSM_E_NS1_11comp_targetILNS1_3genE8ELNS1_11target_archE1030ELNS1_3gpuE2ELNS1_3repE0EEENS1_30default_config_static_selectorELNS0_4arch9wavefront6targetE1EEEvT1_, .Lfunc_end6812-_ZN7rocprim17ROCPRIM_400000_NS6detail17trampoline_kernelINS0_14default_configENS1_20scan_config_selectorIiEEZZNS1_9scan_implILNS1_25lookback_scan_determinismE0ELb0ELb0ES3_N6thrust23THRUST_200600_302600_NS10device_ptrIiEESB_iNS9_4plusIvEEiEEDaPvRmT3_T4_T5_mT6_P12ihipStream_tbENKUlT_T0_E_clISt17integral_constantIbLb0EESQ_IbLb1EEEEDaSM_SN_EUlSM_E_NS1_11comp_targetILNS1_3genE8ELNS1_11target_archE1030ELNS1_3gpuE2ELNS1_3repE0EEENS1_30default_config_static_selectorELNS0_4arch9wavefront6targetE1EEEvT1_
                                        ; -- End function
	.section	.AMDGPU.csdata,"",@progbits
; Kernel info:
; codeLenInByte = 0
; NumSgprs: 4
; NumVgprs: 0
; NumAgprs: 0
; TotalNumVgprs: 0
; ScratchSize: 0
; MemoryBound: 0
; FloatMode: 240
; IeeeMode: 1
; LDSByteSize: 0 bytes/workgroup (compile time only)
; SGPRBlocks: 0
; VGPRBlocks: 0
; NumSGPRsForWavesPerEU: 4
; NumVGPRsForWavesPerEU: 1
; AccumOffset: 4
; Occupancy: 8
; WaveLimiterHint : 0
; COMPUTE_PGM_RSRC2:SCRATCH_EN: 0
; COMPUTE_PGM_RSRC2:USER_SGPR: 6
; COMPUTE_PGM_RSRC2:TRAP_HANDLER: 0
; COMPUTE_PGM_RSRC2:TGID_X_EN: 1
; COMPUTE_PGM_RSRC2:TGID_Y_EN: 0
; COMPUTE_PGM_RSRC2:TGID_Z_EN: 0
; COMPUTE_PGM_RSRC2:TIDIG_COMP_CNT: 0
; COMPUTE_PGM_RSRC3_GFX90A:ACCUM_OFFSET: 0
; COMPUTE_PGM_RSRC3_GFX90A:TG_SPLIT: 0
	.section	.text._ZN7rocprim17ROCPRIM_400000_NS6detail17trampoline_kernelINS0_14default_configENS1_20scan_config_selectorIiEEZZNS1_9scan_implILNS1_25lookback_scan_determinismE0ELb0ELb0ES3_N6thrust23THRUST_200600_302600_NS10device_ptrIiEESB_iNS9_4plusIvEEiEEDaPvRmT3_T4_T5_mT6_P12ihipStream_tbENKUlT_T0_E_clISt17integral_constantIbLb0EESQ_IbLb1EEEEDaSM_SN_EUlSM_E0_NS1_11comp_targetILNS1_3genE0ELNS1_11target_archE4294967295ELNS1_3gpuE0ELNS1_3repE0EEENS1_30default_config_static_selectorELNS0_4arch9wavefront6targetE1EEEvT1_,"axG",@progbits,_ZN7rocprim17ROCPRIM_400000_NS6detail17trampoline_kernelINS0_14default_configENS1_20scan_config_selectorIiEEZZNS1_9scan_implILNS1_25lookback_scan_determinismE0ELb0ELb0ES3_N6thrust23THRUST_200600_302600_NS10device_ptrIiEESB_iNS9_4plusIvEEiEEDaPvRmT3_T4_T5_mT6_P12ihipStream_tbENKUlT_T0_E_clISt17integral_constantIbLb0EESQ_IbLb1EEEEDaSM_SN_EUlSM_E0_NS1_11comp_targetILNS1_3genE0ELNS1_11target_archE4294967295ELNS1_3gpuE0ELNS1_3repE0EEENS1_30default_config_static_selectorELNS0_4arch9wavefront6targetE1EEEvT1_,comdat
	.protected	_ZN7rocprim17ROCPRIM_400000_NS6detail17trampoline_kernelINS0_14default_configENS1_20scan_config_selectorIiEEZZNS1_9scan_implILNS1_25lookback_scan_determinismE0ELb0ELb0ES3_N6thrust23THRUST_200600_302600_NS10device_ptrIiEESB_iNS9_4plusIvEEiEEDaPvRmT3_T4_T5_mT6_P12ihipStream_tbENKUlT_T0_E_clISt17integral_constantIbLb0EESQ_IbLb1EEEEDaSM_SN_EUlSM_E0_NS1_11comp_targetILNS1_3genE0ELNS1_11target_archE4294967295ELNS1_3gpuE0ELNS1_3repE0EEENS1_30default_config_static_selectorELNS0_4arch9wavefront6targetE1EEEvT1_ ; -- Begin function _ZN7rocprim17ROCPRIM_400000_NS6detail17trampoline_kernelINS0_14default_configENS1_20scan_config_selectorIiEEZZNS1_9scan_implILNS1_25lookback_scan_determinismE0ELb0ELb0ES3_N6thrust23THRUST_200600_302600_NS10device_ptrIiEESB_iNS9_4plusIvEEiEEDaPvRmT3_T4_T5_mT6_P12ihipStream_tbENKUlT_T0_E_clISt17integral_constantIbLb0EESQ_IbLb1EEEEDaSM_SN_EUlSM_E0_NS1_11comp_targetILNS1_3genE0ELNS1_11target_archE4294967295ELNS1_3gpuE0ELNS1_3repE0EEENS1_30default_config_static_selectorELNS0_4arch9wavefront6targetE1EEEvT1_
	.globl	_ZN7rocprim17ROCPRIM_400000_NS6detail17trampoline_kernelINS0_14default_configENS1_20scan_config_selectorIiEEZZNS1_9scan_implILNS1_25lookback_scan_determinismE0ELb0ELb0ES3_N6thrust23THRUST_200600_302600_NS10device_ptrIiEESB_iNS9_4plusIvEEiEEDaPvRmT3_T4_T5_mT6_P12ihipStream_tbENKUlT_T0_E_clISt17integral_constantIbLb0EESQ_IbLb1EEEEDaSM_SN_EUlSM_E0_NS1_11comp_targetILNS1_3genE0ELNS1_11target_archE4294967295ELNS1_3gpuE0ELNS1_3repE0EEENS1_30default_config_static_selectorELNS0_4arch9wavefront6targetE1EEEvT1_
	.p2align	8
	.type	_ZN7rocprim17ROCPRIM_400000_NS6detail17trampoline_kernelINS0_14default_configENS1_20scan_config_selectorIiEEZZNS1_9scan_implILNS1_25lookback_scan_determinismE0ELb0ELb0ES3_N6thrust23THRUST_200600_302600_NS10device_ptrIiEESB_iNS9_4plusIvEEiEEDaPvRmT3_T4_T5_mT6_P12ihipStream_tbENKUlT_T0_E_clISt17integral_constantIbLb0EESQ_IbLb1EEEEDaSM_SN_EUlSM_E0_NS1_11comp_targetILNS1_3genE0ELNS1_11target_archE4294967295ELNS1_3gpuE0ELNS1_3repE0EEENS1_30default_config_static_selectorELNS0_4arch9wavefront6targetE1EEEvT1_,@function
_ZN7rocprim17ROCPRIM_400000_NS6detail17trampoline_kernelINS0_14default_configENS1_20scan_config_selectorIiEEZZNS1_9scan_implILNS1_25lookback_scan_determinismE0ELb0ELb0ES3_N6thrust23THRUST_200600_302600_NS10device_ptrIiEESB_iNS9_4plusIvEEiEEDaPvRmT3_T4_T5_mT6_P12ihipStream_tbENKUlT_T0_E_clISt17integral_constantIbLb0EESQ_IbLb1EEEEDaSM_SN_EUlSM_E0_NS1_11comp_targetILNS1_3genE0ELNS1_11target_archE4294967295ELNS1_3gpuE0ELNS1_3repE0EEENS1_30default_config_static_selectorELNS0_4arch9wavefront6targetE1EEEvT1_: ; @_ZN7rocprim17ROCPRIM_400000_NS6detail17trampoline_kernelINS0_14default_configENS1_20scan_config_selectorIiEEZZNS1_9scan_implILNS1_25lookback_scan_determinismE0ELb0ELb0ES3_N6thrust23THRUST_200600_302600_NS10device_ptrIiEESB_iNS9_4plusIvEEiEEDaPvRmT3_T4_T5_mT6_P12ihipStream_tbENKUlT_T0_E_clISt17integral_constantIbLb0EESQ_IbLb1EEEEDaSM_SN_EUlSM_E0_NS1_11comp_targetILNS1_3genE0ELNS1_11target_archE4294967295ELNS1_3gpuE0ELNS1_3repE0EEENS1_30default_config_static_selectorELNS0_4arch9wavefront6targetE1EEEvT1_
; %bb.0:
	.section	.rodata,"a",@progbits
	.p2align	6, 0x0
	.amdhsa_kernel _ZN7rocprim17ROCPRIM_400000_NS6detail17trampoline_kernelINS0_14default_configENS1_20scan_config_selectorIiEEZZNS1_9scan_implILNS1_25lookback_scan_determinismE0ELb0ELb0ES3_N6thrust23THRUST_200600_302600_NS10device_ptrIiEESB_iNS9_4plusIvEEiEEDaPvRmT3_T4_T5_mT6_P12ihipStream_tbENKUlT_T0_E_clISt17integral_constantIbLb0EESQ_IbLb1EEEEDaSM_SN_EUlSM_E0_NS1_11comp_targetILNS1_3genE0ELNS1_11target_archE4294967295ELNS1_3gpuE0ELNS1_3repE0EEENS1_30default_config_static_selectorELNS0_4arch9wavefront6targetE1EEEvT1_
		.amdhsa_group_segment_fixed_size 0
		.amdhsa_private_segment_fixed_size 0
		.amdhsa_kernarg_size 32
		.amdhsa_user_sgpr_count 6
		.amdhsa_user_sgpr_private_segment_buffer 1
		.amdhsa_user_sgpr_dispatch_ptr 0
		.amdhsa_user_sgpr_queue_ptr 0
		.amdhsa_user_sgpr_kernarg_segment_ptr 1
		.amdhsa_user_sgpr_dispatch_id 0
		.amdhsa_user_sgpr_flat_scratch_init 0
		.amdhsa_user_sgpr_kernarg_preload_length 0
		.amdhsa_user_sgpr_kernarg_preload_offset 0
		.amdhsa_user_sgpr_private_segment_size 0
		.amdhsa_uses_dynamic_stack 0
		.amdhsa_system_sgpr_private_segment_wavefront_offset 0
		.amdhsa_system_sgpr_workgroup_id_x 1
		.amdhsa_system_sgpr_workgroup_id_y 0
		.amdhsa_system_sgpr_workgroup_id_z 0
		.amdhsa_system_sgpr_workgroup_info 0
		.amdhsa_system_vgpr_workitem_id 0
		.amdhsa_next_free_vgpr 1
		.amdhsa_next_free_sgpr 0
		.amdhsa_accum_offset 4
		.amdhsa_reserve_vcc 0
		.amdhsa_reserve_flat_scratch 0
		.amdhsa_float_round_mode_32 0
		.amdhsa_float_round_mode_16_64 0
		.amdhsa_float_denorm_mode_32 3
		.amdhsa_float_denorm_mode_16_64 3
		.amdhsa_dx10_clamp 1
		.amdhsa_ieee_mode 1
		.amdhsa_fp16_overflow 0
		.amdhsa_tg_split 0
		.amdhsa_exception_fp_ieee_invalid_op 0
		.amdhsa_exception_fp_denorm_src 0
		.amdhsa_exception_fp_ieee_div_zero 0
		.amdhsa_exception_fp_ieee_overflow 0
		.amdhsa_exception_fp_ieee_underflow 0
		.amdhsa_exception_fp_ieee_inexact 0
		.amdhsa_exception_int_div_zero 0
	.end_amdhsa_kernel
	.section	.text._ZN7rocprim17ROCPRIM_400000_NS6detail17trampoline_kernelINS0_14default_configENS1_20scan_config_selectorIiEEZZNS1_9scan_implILNS1_25lookback_scan_determinismE0ELb0ELb0ES3_N6thrust23THRUST_200600_302600_NS10device_ptrIiEESB_iNS9_4plusIvEEiEEDaPvRmT3_T4_T5_mT6_P12ihipStream_tbENKUlT_T0_E_clISt17integral_constantIbLb0EESQ_IbLb1EEEEDaSM_SN_EUlSM_E0_NS1_11comp_targetILNS1_3genE0ELNS1_11target_archE4294967295ELNS1_3gpuE0ELNS1_3repE0EEENS1_30default_config_static_selectorELNS0_4arch9wavefront6targetE1EEEvT1_,"axG",@progbits,_ZN7rocprim17ROCPRIM_400000_NS6detail17trampoline_kernelINS0_14default_configENS1_20scan_config_selectorIiEEZZNS1_9scan_implILNS1_25lookback_scan_determinismE0ELb0ELb0ES3_N6thrust23THRUST_200600_302600_NS10device_ptrIiEESB_iNS9_4plusIvEEiEEDaPvRmT3_T4_T5_mT6_P12ihipStream_tbENKUlT_T0_E_clISt17integral_constantIbLb0EESQ_IbLb1EEEEDaSM_SN_EUlSM_E0_NS1_11comp_targetILNS1_3genE0ELNS1_11target_archE4294967295ELNS1_3gpuE0ELNS1_3repE0EEENS1_30default_config_static_selectorELNS0_4arch9wavefront6targetE1EEEvT1_,comdat
.Lfunc_end6813:
	.size	_ZN7rocprim17ROCPRIM_400000_NS6detail17trampoline_kernelINS0_14default_configENS1_20scan_config_selectorIiEEZZNS1_9scan_implILNS1_25lookback_scan_determinismE0ELb0ELb0ES3_N6thrust23THRUST_200600_302600_NS10device_ptrIiEESB_iNS9_4plusIvEEiEEDaPvRmT3_T4_T5_mT6_P12ihipStream_tbENKUlT_T0_E_clISt17integral_constantIbLb0EESQ_IbLb1EEEEDaSM_SN_EUlSM_E0_NS1_11comp_targetILNS1_3genE0ELNS1_11target_archE4294967295ELNS1_3gpuE0ELNS1_3repE0EEENS1_30default_config_static_selectorELNS0_4arch9wavefront6targetE1EEEvT1_, .Lfunc_end6813-_ZN7rocprim17ROCPRIM_400000_NS6detail17trampoline_kernelINS0_14default_configENS1_20scan_config_selectorIiEEZZNS1_9scan_implILNS1_25lookback_scan_determinismE0ELb0ELb0ES3_N6thrust23THRUST_200600_302600_NS10device_ptrIiEESB_iNS9_4plusIvEEiEEDaPvRmT3_T4_T5_mT6_P12ihipStream_tbENKUlT_T0_E_clISt17integral_constantIbLb0EESQ_IbLb1EEEEDaSM_SN_EUlSM_E0_NS1_11comp_targetILNS1_3genE0ELNS1_11target_archE4294967295ELNS1_3gpuE0ELNS1_3repE0EEENS1_30default_config_static_selectorELNS0_4arch9wavefront6targetE1EEEvT1_
                                        ; -- End function
	.section	.AMDGPU.csdata,"",@progbits
; Kernel info:
; codeLenInByte = 0
; NumSgprs: 4
; NumVgprs: 0
; NumAgprs: 0
; TotalNumVgprs: 0
; ScratchSize: 0
; MemoryBound: 0
; FloatMode: 240
; IeeeMode: 1
; LDSByteSize: 0 bytes/workgroup (compile time only)
; SGPRBlocks: 0
; VGPRBlocks: 0
; NumSGPRsForWavesPerEU: 4
; NumVGPRsForWavesPerEU: 1
; AccumOffset: 4
; Occupancy: 8
; WaveLimiterHint : 0
; COMPUTE_PGM_RSRC2:SCRATCH_EN: 0
; COMPUTE_PGM_RSRC2:USER_SGPR: 6
; COMPUTE_PGM_RSRC2:TRAP_HANDLER: 0
; COMPUTE_PGM_RSRC2:TGID_X_EN: 1
; COMPUTE_PGM_RSRC2:TGID_Y_EN: 0
; COMPUTE_PGM_RSRC2:TGID_Z_EN: 0
; COMPUTE_PGM_RSRC2:TIDIG_COMP_CNT: 0
; COMPUTE_PGM_RSRC3_GFX90A:ACCUM_OFFSET: 0
; COMPUTE_PGM_RSRC3_GFX90A:TG_SPLIT: 0
	.section	.text._ZN7rocprim17ROCPRIM_400000_NS6detail17trampoline_kernelINS0_14default_configENS1_20scan_config_selectorIiEEZZNS1_9scan_implILNS1_25lookback_scan_determinismE0ELb0ELb0ES3_N6thrust23THRUST_200600_302600_NS10device_ptrIiEESB_iNS9_4plusIvEEiEEDaPvRmT3_T4_T5_mT6_P12ihipStream_tbENKUlT_T0_E_clISt17integral_constantIbLb0EESQ_IbLb1EEEEDaSM_SN_EUlSM_E0_NS1_11comp_targetILNS1_3genE5ELNS1_11target_archE942ELNS1_3gpuE9ELNS1_3repE0EEENS1_30default_config_static_selectorELNS0_4arch9wavefront6targetE1EEEvT1_,"axG",@progbits,_ZN7rocprim17ROCPRIM_400000_NS6detail17trampoline_kernelINS0_14default_configENS1_20scan_config_selectorIiEEZZNS1_9scan_implILNS1_25lookback_scan_determinismE0ELb0ELb0ES3_N6thrust23THRUST_200600_302600_NS10device_ptrIiEESB_iNS9_4plusIvEEiEEDaPvRmT3_T4_T5_mT6_P12ihipStream_tbENKUlT_T0_E_clISt17integral_constantIbLb0EESQ_IbLb1EEEEDaSM_SN_EUlSM_E0_NS1_11comp_targetILNS1_3genE5ELNS1_11target_archE942ELNS1_3gpuE9ELNS1_3repE0EEENS1_30default_config_static_selectorELNS0_4arch9wavefront6targetE1EEEvT1_,comdat
	.protected	_ZN7rocprim17ROCPRIM_400000_NS6detail17trampoline_kernelINS0_14default_configENS1_20scan_config_selectorIiEEZZNS1_9scan_implILNS1_25lookback_scan_determinismE0ELb0ELb0ES3_N6thrust23THRUST_200600_302600_NS10device_ptrIiEESB_iNS9_4plusIvEEiEEDaPvRmT3_T4_T5_mT6_P12ihipStream_tbENKUlT_T0_E_clISt17integral_constantIbLb0EESQ_IbLb1EEEEDaSM_SN_EUlSM_E0_NS1_11comp_targetILNS1_3genE5ELNS1_11target_archE942ELNS1_3gpuE9ELNS1_3repE0EEENS1_30default_config_static_selectorELNS0_4arch9wavefront6targetE1EEEvT1_ ; -- Begin function _ZN7rocprim17ROCPRIM_400000_NS6detail17trampoline_kernelINS0_14default_configENS1_20scan_config_selectorIiEEZZNS1_9scan_implILNS1_25lookback_scan_determinismE0ELb0ELb0ES3_N6thrust23THRUST_200600_302600_NS10device_ptrIiEESB_iNS9_4plusIvEEiEEDaPvRmT3_T4_T5_mT6_P12ihipStream_tbENKUlT_T0_E_clISt17integral_constantIbLb0EESQ_IbLb1EEEEDaSM_SN_EUlSM_E0_NS1_11comp_targetILNS1_3genE5ELNS1_11target_archE942ELNS1_3gpuE9ELNS1_3repE0EEENS1_30default_config_static_selectorELNS0_4arch9wavefront6targetE1EEEvT1_
	.globl	_ZN7rocprim17ROCPRIM_400000_NS6detail17trampoline_kernelINS0_14default_configENS1_20scan_config_selectorIiEEZZNS1_9scan_implILNS1_25lookback_scan_determinismE0ELb0ELb0ES3_N6thrust23THRUST_200600_302600_NS10device_ptrIiEESB_iNS9_4plusIvEEiEEDaPvRmT3_T4_T5_mT6_P12ihipStream_tbENKUlT_T0_E_clISt17integral_constantIbLb0EESQ_IbLb1EEEEDaSM_SN_EUlSM_E0_NS1_11comp_targetILNS1_3genE5ELNS1_11target_archE942ELNS1_3gpuE9ELNS1_3repE0EEENS1_30default_config_static_selectorELNS0_4arch9wavefront6targetE1EEEvT1_
	.p2align	8
	.type	_ZN7rocprim17ROCPRIM_400000_NS6detail17trampoline_kernelINS0_14default_configENS1_20scan_config_selectorIiEEZZNS1_9scan_implILNS1_25lookback_scan_determinismE0ELb0ELb0ES3_N6thrust23THRUST_200600_302600_NS10device_ptrIiEESB_iNS9_4plusIvEEiEEDaPvRmT3_T4_T5_mT6_P12ihipStream_tbENKUlT_T0_E_clISt17integral_constantIbLb0EESQ_IbLb1EEEEDaSM_SN_EUlSM_E0_NS1_11comp_targetILNS1_3genE5ELNS1_11target_archE942ELNS1_3gpuE9ELNS1_3repE0EEENS1_30default_config_static_selectorELNS0_4arch9wavefront6targetE1EEEvT1_,@function
_ZN7rocprim17ROCPRIM_400000_NS6detail17trampoline_kernelINS0_14default_configENS1_20scan_config_selectorIiEEZZNS1_9scan_implILNS1_25lookback_scan_determinismE0ELb0ELb0ES3_N6thrust23THRUST_200600_302600_NS10device_ptrIiEESB_iNS9_4plusIvEEiEEDaPvRmT3_T4_T5_mT6_P12ihipStream_tbENKUlT_T0_E_clISt17integral_constantIbLb0EESQ_IbLb1EEEEDaSM_SN_EUlSM_E0_NS1_11comp_targetILNS1_3genE5ELNS1_11target_archE942ELNS1_3gpuE9ELNS1_3repE0EEENS1_30default_config_static_selectorELNS0_4arch9wavefront6targetE1EEEvT1_: ; @_ZN7rocprim17ROCPRIM_400000_NS6detail17trampoline_kernelINS0_14default_configENS1_20scan_config_selectorIiEEZZNS1_9scan_implILNS1_25lookback_scan_determinismE0ELb0ELb0ES3_N6thrust23THRUST_200600_302600_NS10device_ptrIiEESB_iNS9_4plusIvEEiEEDaPvRmT3_T4_T5_mT6_P12ihipStream_tbENKUlT_T0_E_clISt17integral_constantIbLb0EESQ_IbLb1EEEEDaSM_SN_EUlSM_E0_NS1_11comp_targetILNS1_3genE5ELNS1_11target_archE942ELNS1_3gpuE9ELNS1_3repE0EEENS1_30default_config_static_selectorELNS0_4arch9wavefront6targetE1EEEvT1_
; %bb.0:
	.section	.rodata,"a",@progbits
	.p2align	6, 0x0
	.amdhsa_kernel _ZN7rocprim17ROCPRIM_400000_NS6detail17trampoline_kernelINS0_14default_configENS1_20scan_config_selectorIiEEZZNS1_9scan_implILNS1_25lookback_scan_determinismE0ELb0ELb0ES3_N6thrust23THRUST_200600_302600_NS10device_ptrIiEESB_iNS9_4plusIvEEiEEDaPvRmT3_T4_T5_mT6_P12ihipStream_tbENKUlT_T0_E_clISt17integral_constantIbLb0EESQ_IbLb1EEEEDaSM_SN_EUlSM_E0_NS1_11comp_targetILNS1_3genE5ELNS1_11target_archE942ELNS1_3gpuE9ELNS1_3repE0EEENS1_30default_config_static_selectorELNS0_4arch9wavefront6targetE1EEEvT1_
		.amdhsa_group_segment_fixed_size 0
		.amdhsa_private_segment_fixed_size 0
		.amdhsa_kernarg_size 32
		.amdhsa_user_sgpr_count 6
		.amdhsa_user_sgpr_private_segment_buffer 1
		.amdhsa_user_sgpr_dispatch_ptr 0
		.amdhsa_user_sgpr_queue_ptr 0
		.amdhsa_user_sgpr_kernarg_segment_ptr 1
		.amdhsa_user_sgpr_dispatch_id 0
		.amdhsa_user_sgpr_flat_scratch_init 0
		.amdhsa_user_sgpr_kernarg_preload_length 0
		.amdhsa_user_sgpr_kernarg_preload_offset 0
		.amdhsa_user_sgpr_private_segment_size 0
		.amdhsa_uses_dynamic_stack 0
		.amdhsa_system_sgpr_private_segment_wavefront_offset 0
		.amdhsa_system_sgpr_workgroup_id_x 1
		.amdhsa_system_sgpr_workgroup_id_y 0
		.amdhsa_system_sgpr_workgroup_id_z 0
		.amdhsa_system_sgpr_workgroup_info 0
		.amdhsa_system_vgpr_workitem_id 0
		.amdhsa_next_free_vgpr 1
		.amdhsa_next_free_sgpr 0
		.amdhsa_accum_offset 4
		.amdhsa_reserve_vcc 0
		.amdhsa_reserve_flat_scratch 0
		.amdhsa_float_round_mode_32 0
		.amdhsa_float_round_mode_16_64 0
		.amdhsa_float_denorm_mode_32 3
		.amdhsa_float_denorm_mode_16_64 3
		.amdhsa_dx10_clamp 1
		.amdhsa_ieee_mode 1
		.amdhsa_fp16_overflow 0
		.amdhsa_tg_split 0
		.amdhsa_exception_fp_ieee_invalid_op 0
		.amdhsa_exception_fp_denorm_src 0
		.amdhsa_exception_fp_ieee_div_zero 0
		.amdhsa_exception_fp_ieee_overflow 0
		.amdhsa_exception_fp_ieee_underflow 0
		.amdhsa_exception_fp_ieee_inexact 0
		.amdhsa_exception_int_div_zero 0
	.end_amdhsa_kernel
	.section	.text._ZN7rocprim17ROCPRIM_400000_NS6detail17trampoline_kernelINS0_14default_configENS1_20scan_config_selectorIiEEZZNS1_9scan_implILNS1_25lookback_scan_determinismE0ELb0ELb0ES3_N6thrust23THRUST_200600_302600_NS10device_ptrIiEESB_iNS9_4plusIvEEiEEDaPvRmT3_T4_T5_mT6_P12ihipStream_tbENKUlT_T0_E_clISt17integral_constantIbLb0EESQ_IbLb1EEEEDaSM_SN_EUlSM_E0_NS1_11comp_targetILNS1_3genE5ELNS1_11target_archE942ELNS1_3gpuE9ELNS1_3repE0EEENS1_30default_config_static_selectorELNS0_4arch9wavefront6targetE1EEEvT1_,"axG",@progbits,_ZN7rocprim17ROCPRIM_400000_NS6detail17trampoline_kernelINS0_14default_configENS1_20scan_config_selectorIiEEZZNS1_9scan_implILNS1_25lookback_scan_determinismE0ELb0ELb0ES3_N6thrust23THRUST_200600_302600_NS10device_ptrIiEESB_iNS9_4plusIvEEiEEDaPvRmT3_T4_T5_mT6_P12ihipStream_tbENKUlT_T0_E_clISt17integral_constantIbLb0EESQ_IbLb1EEEEDaSM_SN_EUlSM_E0_NS1_11comp_targetILNS1_3genE5ELNS1_11target_archE942ELNS1_3gpuE9ELNS1_3repE0EEENS1_30default_config_static_selectorELNS0_4arch9wavefront6targetE1EEEvT1_,comdat
.Lfunc_end6814:
	.size	_ZN7rocprim17ROCPRIM_400000_NS6detail17trampoline_kernelINS0_14default_configENS1_20scan_config_selectorIiEEZZNS1_9scan_implILNS1_25lookback_scan_determinismE0ELb0ELb0ES3_N6thrust23THRUST_200600_302600_NS10device_ptrIiEESB_iNS9_4plusIvEEiEEDaPvRmT3_T4_T5_mT6_P12ihipStream_tbENKUlT_T0_E_clISt17integral_constantIbLb0EESQ_IbLb1EEEEDaSM_SN_EUlSM_E0_NS1_11comp_targetILNS1_3genE5ELNS1_11target_archE942ELNS1_3gpuE9ELNS1_3repE0EEENS1_30default_config_static_selectorELNS0_4arch9wavefront6targetE1EEEvT1_, .Lfunc_end6814-_ZN7rocprim17ROCPRIM_400000_NS6detail17trampoline_kernelINS0_14default_configENS1_20scan_config_selectorIiEEZZNS1_9scan_implILNS1_25lookback_scan_determinismE0ELb0ELb0ES3_N6thrust23THRUST_200600_302600_NS10device_ptrIiEESB_iNS9_4plusIvEEiEEDaPvRmT3_T4_T5_mT6_P12ihipStream_tbENKUlT_T0_E_clISt17integral_constantIbLb0EESQ_IbLb1EEEEDaSM_SN_EUlSM_E0_NS1_11comp_targetILNS1_3genE5ELNS1_11target_archE942ELNS1_3gpuE9ELNS1_3repE0EEENS1_30default_config_static_selectorELNS0_4arch9wavefront6targetE1EEEvT1_
                                        ; -- End function
	.section	.AMDGPU.csdata,"",@progbits
; Kernel info:
; codeLenInByte = 0
; NumSgprs: 4
; NumVgprs: 0
; NumAgprs: 0
; TotalNumVgprs: 0
; ScratchSize: 0
; MemoryBound: 0
; FloatMode: 240
; IeeeMode: 1
; LDSByteSize: 0 bytes/workgroup (compile time only)
; SGPRBlocks: 0
; VGPRBlocks: 0
; NumSGPRsForWavesPerEU: 4
; NumVGPRsForWavesPerEU: 1
; AccumOffset: 4
; Occupancy: 8
; WaveLimiterHint : 0
; COMPUTE_PGM_RSRC2:SCRATCH_EN: 0
; COMPUTE_PGM_RSRC2:USER_SGPR: 6
; COMPUTE_PGM_RSRC2:TRAP_HANDLER: 0
; COMPUTE_PGM_RSRC2:TGID_X_EN: 1
; COMPUTE_PGM_RSRC2:TGID_Y_EN: 0
; COMPUTE_PGM_RSRC2:TGID_Z_EN: 0
; COMPUTE_PGM_RSRC2:TIDIG_COMP_CNT: 0
; COMPUTE_PGM_RSRC3_GFX90A:ACCUM_OFFSET: 0
; COMPUTE_PGM_RSRC3_GFX90A:TG_SPLIT: 0
	.section	.text._ZN7rocprim17ROCPRIM_400000_NS6detail17trampoline_kernelINS0_14default_configENS1_20scan_config_selectorIiEEZZNS1_9scan_implILNS1_25lookback_scan_determinismE0ELb0ELb0ES3_N6thrust23THRUST_200600_302600_NS10device_ptrIiEESB_iNS9_4plusIvEEiEEDaPvRmT3_T4_T5_mT6_P12ihipStream_tbENKUlT_T0_E_clISt17integral_constantIbLb0EESQ_IbLb1EEEEDaSM_SN_EUlSM_E0_NS1_11comp_targetILNS1_3genE4ELNS1_11target_archE910ELNS1_3gpuE8ELNS1_3repE0EEENS1_30default_config_static_selectorELNS0_4arch9wavefront6targetE1EEEvT1_,"axG",@progbits,_ZN7rocprim17ROCPRIM_400000_NS6detail17trampoline_kernelINS0_14default_configENS1_20scan_config_selectorIiEEZZNS1_9scan_implILNS1_25lookback_scan_determinismE0ELb0ELb0ES3_N6thrust23THRUST_200600_302600_NS10device_ptrIiEESB_iNS9_4plusIvEEiEEDaPvRmT3_T4_T5_mT6_P12ihipStream_tbENKUlT_T0_E_clISt17integral_constantIbLb0EESQ_IbLb1EEEEDaSM_SN_EUlSM_E0_NS1_11comp_targetILNS1_3genE4ELNS1_11target_archE910ELNS1_3gpuE8ELNS1_3repE0EEENS1_30default_config_static_selectorELNS0_4arch9wavefront6targetE1EEEvT1_,comdat
	.protected	_ZN7rocprim17ROCPRIM_400000_NS6detail17trampoline_kernelINS0_14default_configENS1_20scan_config_selectorIiEEZZNS1_9scan_implILNS1_25lookback_scan_determinismE0ELb0ELb0ES3_N6thrust23THRUST_200600_302600_NS10device_ptrIiEESB_iNS9_4plusIvEEiEEDaPvRmT3_T4_T5_mT6_P12ihipStream_tbENKUlT_T0_E_clISt17integral_constantIbLb0EESQ_IbLb1EEEEDaSM_SN_EUlSM_E0_NS1_11comp_targetILNS1_3genE4ELNS1_11target_archE910ELNS1_3gpuE8ELNS1_3repE0EEENS1_30default_config_static_selectorELNS0_4arch9wavefront6targetE1EEEvT1_ ; -- Begin function _ZN7rocprim17ROCPRIM_400000_NS6detail17trampoline_kernelINS0_14default_configENS1_20scan_config_selectorIiEEZZNS1_9scan_implILNS1_25lookback_scan_determinismE0ELb0ELb0ES3_N6thrust23THRUST_200600_302600_NS10device_ptrIiEESB_iNS9_4plusIvEEiEEDaPvRmT3_T4_T5_mT6_P12ihipStream_tbENKUlT_T0_E_clISt17integral_constantIbLb0EESQ_IbLb1EEEEDaSM_SN_EUlSM_E0_NS1_11comp_targetILNS1_3genE4ELNS1_11target_archE910ELNS1_3gpuE8ELNS1_3repE0EEENS1_30default_config_static_selectorELNS0_4arch9wavefront6targetE1EEEvT1_
	.globl	_ZN7rocprim17ROCPRIM_400000_NS6detail17trampoline_kernelINS0_14default_configENS1_20scan_config_selectorIiEEZZNS1_9scan_implILNS1_25lookback_scan_determinismE0ELb0ELb0ES3_N6thrust23THRUST_200600_302600_NS10device_ptrIiEESB_iNS9_4plusIvEEiEEDaPvRmT3_T4_T5_mT6_P12ihipStream_tbENKUlT_T0_E_clISt17integral_constantIbLb0EESQ_IbLb1EEEEDaSM_SN_EUlSM_E0_NS1_11comp_targetILNS1_3genE4ELNS1_11target_archE910ELNS1_3gpuE8ELNS1_3repE0EEENS1_30default_config_static_selectorELNS0_4arch9wavefront6targetE1EEEvT1_
	.p2align	8
	.type	_ZN7rocprim17ROCPRIM_400000_NS6detail17trampoline_kernelINS0_14default_configENS1_20scan_config_selectorIiEEZZNS1_9scan_implILNS1_25lookback_scan_determinismE0ELb0ELb0ES3_N6thrust23THRUST_200600_302600_NS10device_ptrIiEESB_iNS9_4plusIvEEiEEDaPvRmT3_T4_T5_mT6_P12ihipStream_tbENKUlT_T0_E_clISt17integral_constantIbLb0EESQ_IbLb1EEEEDaSM_SN_EUlSM_E0_NS1_11comp_targetILNS1_3genE4ELNS1_11target_archE910ELNS1_3gpuE8ELNS1_3repE0EEENS1_30default_config_static_selectorELNS0_4arch9wavefront6targetE1EEEvT1_,@function
_ZN7rocprim17ROCPRIM_400000_NS6detail17trampoline_kernelINS0_14default_configENS1_20scan_config_selectorIiEEZZNS1_9scan_implILNS1_25lookback_scan_determinismE0ELb0ELb0ES3_N6thrust23THRUST_200600_302600_NS10device_ptrIiEESB_iNS9_4plusIvEEiEEDaPvRmT3_T4_T5_mT6_P12ihipStream_tbENKUlT_T0_E_clISt17integral_constantIbLb0EESQ_IbLb1EEEEDaSM_SN_EUlSM_E0_NS1_11comp_targetILNS1_3genE4ELNS1_11target_archE910ELNS1_3gpuE8ELNS1_3repE0EEENS1_30default_config_static_selectorELNS0_4arch9wavefront6targetE1EEEvT1_: ; @_ZN7rocprim17ROCPRIM_400000_NS6detail17trampoline_kernelINS0_14default_configENS1_20scan_config_selectorIiEEZZNS1_9scan_implILNS1_25lookback_scan_determinismE0ELb0ELb0ES3_N6thrust23THRUST_200600_302600_NS10device_ptrIiEESB_iNS9_4plusIvEEiEEDaPvRmT3_T4_T5_mT6_P12ihipStream_tbENKUlT_T0_E_clISt17integral_constantIbLb0EESQ_IbLb1EEEEDaSM_SN_EUlSM_E0_NS1_11comp_targetILNS1_3genE4ELNS1_11target_archE910ELNS1_3gpuE8ELNS1_3repE0EEENS1_30default_config_static_selectorELNS0_4arch9wavefront6targetE1EEEvT1_
; %bb.0:
	s_load_dwordx4 s[20:23], s[4:5], 0x0
	v_lshlrev_b32_e32 v20, 2, v0
	s_waitcnt lgkmcnt(0)
	s_load_dword s23, s[20:21], 0x0
	v_cmp_gt_u32_e32 vcc, s22, v0
	s_waitcnt lgkmcnt(0)
	v_mov_b32_e32 v1, s23
	s_and_saveexec_b64 s[0:1], vcc
	s_cbranch_execz .LBB6815_2
; %bb.1:
	global_load_dword v1, v20, s[20:21]
.LBB6815_2:
	s_or_b64 exec, exec, s[0:1]
	v_or_b32_e32 v2, 0x80, v0
	v_cmp_gt_u32_e64 s[0:1], s22, v2
	v_mov_b32_e32 v2, s23
	s_and_saveexec_b64 s[2:3], s[0:1]
	s_cbranch_execz .LBB6815_4
; %bb.3:
	global_load_dword v2, v20, s[20:21] offset:512
.LBB6815_4:
	s_or_b64 exec, exec, s[2:3]
	v_or_b32_e32 v3, 0x100, v0
	v_cmp_gt_u32_e64 s[2:3], s22, v3
	v_mov_b32_e32 v3, s23
	s_and_saveexec_b64 s[6:7], s[2:3]
	s_cbranch_execz .LBB6815_6
; %bb.5:
	global_load_dword v3, v20, s[20:21] offset:1024
.LBB6815_6:
	;; [unrolled: 9-line block ×7, first 2 shown]
	s_or_b64 exec, exec, s[14:15]
	v_or_b32_e32 v10, 0x400, v0
	v_cmp_gt_u32_e64 s[14:15], s22, v10
	v_mov_b32_e32 v9, s23
	s_and_saveexec_b64 s[16:17], s[14:15]
	s_cbranch_execz .LBB6815_18
; %bb.17:
	v_lshlrev_b32_e32 v9, 2, v10
	global_load_dword v9, v9, s[20:21]
.LBB6815_18:
	s_or_b64 exec, exec, s[16:17]
	v_or_b32_e32 v11, 0x480, v0
	v_cmp_gt_u32_e64 s[16:17], s22, v11
	v_mov_b32_e32 v10, s23
	s_and_saveexec_b64 s[22:23], s[16:17]
	s_cbranch_execz .LBB6815_20
; %bb.19:
	v_lshlrev_b32_e32 v10, 2, v11
	global_load_dword v10, v10, s[20:21]
.LBB6815_20:
	s_or_b64 exec, exec, s[22:23]
	s_waitcnt vmcnt(0)
	ds_write2st64_b32 v20, v1, v2 offset1:2
	ds_write2st64_b32 v20, v3, v4 offset0:4 offset1:6
	ds_write2st64_b32 v20, v5, v6 offset0:8 offset1:10
	;; [unrolled: 1-line block ×4, first 2 shown]
	v_mad_u32_u24 v1, v0, 36, v20
	s_waitcnt lgkmcnt(0)
	s_barrier
	ds_read2_b64 v[6:9], v1 offset1:1
	ds_read2_b64 v[2:5], v1 offset0:2 offset1:3
	ds_read_b64 v[18:19], v1 offset:32
	v_lshrrev_b32_e32 v21, 3, v0
	v_and_b32_e32 v21, 12, v21
	s_waitcnt lgkmcnt(2)
	v_add_u32_e32 v1, v7, v6
	v_add_u32_e32 v14, v1, v8
	;; [unrolled: 1-line block ×3, first 2 shown]
	s_waitcnt lgkmcnt(1)
	v_add_u32_e32 v10, v15, v2
	v_add_u32_e32 v11, v10, v3
	;; [unrolled: 1-line block ×4, first 2 shown]
	s_waitcnt lgkmcnt(0)
	v_add_u32_e32 v16, v13, v18
	v_add_u32_e32 v17, v16, v19
	;; [unrolled: 1-line block ×3, first 2 shown]
	v_cmp_gt_u32_e64 s[20:21], 64, v0
	s_barrier
	ds_write_b32 v21, v17
	s_waitcnt lgkmcnt(0)
	s_barrier
	s_and_saveexec_b64 s[22:23], s[20:21]
	s_cbranch_execz .LBB6815_22
; %bb.21:
	v_lshlrev_b32_e32 v21, 1, v0
	v_lshrrev_b32_e32 v22, 4, v0
	v_add_lshl_u32 v21, v22, v21, 2
	ds_read2_b32 v[22:23], v21 offset1:1
	v_mbcnt_lo_u32_b32 v24, -1, 0
	v_mbcnt_hi_u32_b32 v24, -1, v24
	v_and_b32_e32 v25, 15, v24
	v_cmp_ne_u32_e64 s[20:21], 0, v25
	s_waitcnt lgkmcnt(0)
	v_add_u32_e32 v23, v23, v22
	; wave barrier
	s_nop 1
	v_mov_b32_dpp v26, v23 row_shr:1 row_mask:0xf bank_mask:0xf
	v_cndmask_b32_e64 v26, 0, v26, s[20:21]
	v_add_u32_e32 v23, v26, v23
	v_cmp_lt_u32_e64 s[20:21], 1, v25
	s_nop 0
	v_mov_b32_dpp v26, v23 row_shr:2 row_mask:0xf bank_mask:0xf
	v_cndmask_b32_e64 v26, 0, v26, s[20:21]
	v_add_u32_e32 v23, v23, v26
	v_cmp_lt_u32_e64 s[20:21], 3, v25
	;; [unrolled: 5-line block ×3, first 2 shown]
	s_nop 0
	v_mov_b32_dpp v26, v23 row_shr:8 row_mask:0xf bank_mask:0xf
	v_cndmask_b32_e64 v25, 0, v26, s[20:21]
	v_add_u32_e32 v23, v23, v25
	v_bfe_i32 v26, v24, 4, 1
	v_cmp_lt_u32_e64 s[20:21], 31, v24
	v_mov_b32_dpp v25, v23 row_bcast:15 row_mask:0xf bank_mask:0xf
	v_and_b32_e32 v25, v26, v25
	v_add_u32_e32 v23, v23, v25
	v_and_b32_e32 v26, 64, v24
	s_nop 0
	v_mov_b32_dpp v25, v23 row_bcast:31 row_mask:0xf bank_mask:0xf
	v_cndmask_b32_e64 v25, 0, v25, s[20:21]
	v_add_u32_e32 v23, v23, v25
	v_add_u32_e32 v25, -1, v24
	v_cmp_lt_i32_e64 s[20:21], v25, v26
	v_cndmask_b32_e64 v24, v25, v24, s[20:21]
	v_lshlrev_b32_e32 v24, 2, v24
	ds_bpermute_b32 v23, v24, v23
	v_cmp_eq_u32_e64 s[20:21], 0, v0
	s_waitcnt lgkmcnt(0)
	v_add_u32_e32 v22, v23, v22
	v_cndmask_b32_e64 v22, v22, v17, s[20:21]
	ds_write_b32 v21, v22
	; wave barrier
	ds_read_b32 v23, v21 offset:4
	s_waitcnt lgkmcnt(0)
	v_add_u32_e32 v22, v23, v22
	ds_write_b32 v21, v22 offset:4
.LBB6815_22:
	s_or_b64 exec, exec, s[22:23]
	s_load_dwordx2 s[20:21], s[4:5], 0x18
	v_cmp_ne_u32_e64 s[4:5], 0, v0
	v_mov_b32_e32 v22, v17
	s_waitcnt lgkmcnt(0)
	s_barrier
	s_and_saveexec_b64 s[22:23], s[4:5]
	s_cbranch_execz .LBB6815_24
; %bb.23:
	v_add_u32_e32 v21, -1, v0
	v_lshrrev_b32_e32 v22, 5, v21
	v_add_lshl_u32 v21, v22, v21, 2
	ds_read_b32 v22, v21
.LBB6815_24:
	s_or_b64 exec, exec, s[22:23]
	v_mul_u32_u24_e32 v21, 36, v0
	v_mov_b32_e32 v0, v6
	s_and_saveexec_b64 s[22:23], s[4:5]
	s_cbranch_execz .LBB6815_26
; %bb.25:
	s_waitcnt lgkmcnt(0)
	v_add_u32_e32 v0, v22, v6
	v_add_u32_e32 v1, v0, v7
	;; [unrolled: 1-line block ×10, first 2 shown]
	;;#ASMSTART
	;;#ASMEND
.LBB6815_26:
	s_or_b64 exec, exec, s[22:23]
	v_add_u32_e32 v2, v20, v21
	s_waitcnt lgkmcnt(0)
	s_barrier
	ds_write2_b64 v2, v[0:1], v[14:15] offset1:1
	ds_write2_b64 v2, v[10:11], v[12:13] offset0:2 offset1:3
	ds_write_b64 v2, v[16:17] offset:32
	s_waitcnt lgkmcnt(0)
	s_barrier
	ds_read2st64_b32 v[8:9], v20 offset0:2 offset1:4
	ds_read2st64_b32 v[6:7], v20 offset0:6 offset1:8
	;; [unrolled: 1-line block ×4, first 2 shown]
	ds_read_b32 v10, v20 offset:4608
	v_mov_b32_e32 v1, s21
	v_add_co_u32_e64 v0, s[4:5], s20, v20
	v_addc_co_u32_e64 v1, s[4:5], 0, v1, s[4:5]
	s_and_saveexec_b64 s[4:5], vcc
	s_cbranch_execnz .LBB6815_37
; %bb.27:
	s_or_b64 exec, exec, s[4:5]
	s_and_saveexec_b64 s[4:5], s[0:1]
	s_cbranch_execnz .LBB6815_38
.LBB6815_28:
	s_or_b64 exec, exec, s[4:5]
	s_and_saveexec_b64 s[0:1], s[2:3]
	s_cbranch_execnz .LBB6815_39
.LBB6815_29:
	s_or_b64 exec, exec, s[0:1]
	s_and_saveexec_b64 s[0:1], s[18:19]
	s_cbranch_execnz .LBB6815_40
.LBB6815_30:
	s_or_b64 exec, exec, s[0:1]
	s_and_saveexec_b64 s[0:1], s[6:7]
	s_cbranch_execnz .LBB6815_41
.LBB6815_31:
	s_or_b64 exec, exec, s[0:1]
	s_and_saveexec_b64 s[0:1], s[8:9]
	s_cbranch_execnz .LBB6815_42
.LBB6815_32:
	s_or_b64 exec, exec, s[0:1]
	s_and_saveexec_b64 s[0:1], s[10:11]
	s_cbranch_execnz .LBB6815_43
.LBB6815_33:
	s_or_b64 exec, exec, s[0:1]
	s_and_saveexec_b64 s[0:1], s[12:13]
	s_cbranch_execnz .LBB6815_44
.LBB6815_34:
	s_or_b64 exec, exec, s[0:1]
	s_and_saveexec_b64 s[0:1], s[14:15]
	s_cbranch_execnz .LBB6815_45
.LBB6815_35:
	s_or_b64 exec, exec, s[0:1]
	s_and_saveexec_b64 s[0:1], s[16:17]
	s_cbranch_execnz .LBB6815_46
.LBB6815_36:
	s_endpgm
.LBB6815_37:
	ds_read_b32 v11, v20
	s_waitcnt lgkmcnt(0)
	global_store_dword v[0:1], v11, off
	s_or_b64 exec, exec, s[4:5]
	s_and_saveexec_b64 s[4:5], s[0:1]
	s_cbranch_execz .LBB6815_28
.LBB6815_38:
	s_waitcnt lgkmcnt(4)
	global_store_dword v[0:1], v8, off offset:512
	s_or_b64 exec, exec, s[4:5]
	s_and_saveexec_b64 s[0:1], s[2:3]
	s_cbranch_execz .LBB6815_29
.LBB6815_39:
	s_waitcnt lgkmcnt(4)
	global_store_dword v[0:1], v9, off offset:1024
	s_or_b64 exec, exec, s[0:1]
	s_and_saveexec_b64 s[0:1], s[18:19]
	s_cbranch_execz .LBB6815_30
.LBB6815_40:
	s_waitcnt lgkmcnt(3)
	global_store_dword v[0:1], v6, off offset:1536
	s_or_b64 exec, exec, s[0:1]
	s_and_saveexec_b64 s[0:1], s[6:7]
	s_cbranch_execz .LBB6815_31
.LBB6815_41:
	s_waitcnt lgkmcnt(3)
	global_store_dword v[0:1], v7, off offset:2048
	s_or_b64 exec, exec, s[0:1]
	s_and_saveexec_b64 s[0:1], s[8:9]
	s_cbranch_execz .LBB6815_32
.LBB6815_42:
	s_waitcnt lgkmcnt(2)
	global_store_dword v[0:1], v4, off offset:2560
	s_or_b64 exec, exec, s[0:1]
	s_and_saveexec_b64 s[0:1], s[10:11]
	s_cbranch_execz .LBB6815_33
.LBB6815_43:
	s_waitcnt lgkmcnt(2)
	global_store_dword v[0:1], v5, off offset:3072
	s_or_b64 exec, exec, s[0:1]
	s_and_saveexec_b64 s[0:1], s[12:13]
	s_cbranch_execz .LBB6815_34
.LBB6815_44:
	s_waitcnt lgkmcnt(1)
	global_store_dword v[0:1], v2, off offset:3584
	s_or_b64 exec, exec, s[0:1]
	s_and_saveexec_b64 s[0:1], s[14:15]
	s_cbranch_execz .LBB6815_35
.LBB6815_45:
	s_waitcnt lgkmcnt(2)
	v_add_co_u32_e32 v4, vcc, 0x1000, v0
	v_addc_co_u32_e32 v5, vcc, 0, v1, vcc
	s_waitcnt lgkmcnt(1)
	global_store_dword v[4:5], v3, off
	s_or_b64 exec, exec, s[0:1]
	s_and_saveexec_b64 s[0:1], s[16:17]
	s_cbranch_execz .LBB6815_36
.LBB6815_46:
	v_add_co_u32_e32 v0, vcc, 0x1000, v0
	v_addc_co_u32_e32 v1, vcc, 0, v1, vcc
	s_waitcnt lgkmcnt(0)
	global_store_dword v[0:1], v10, off offset:512
	s_endpgm
	.section	.rodata,"a",@progbits
	.p2align	6, 0x0
	.amdhsa_kernel _ZN7rocprim17ROCPRIM_400000_NS6detail17trampoline_kernelINS0_14default_configENS1_20scan_config_selectorIiEEZZNS1_9scan_implILNS1_25lookback_scan_determinismE0ELb0ELb0ES3_N6thrust23THRUST_200600_302600_NS10device_ptrIiEESB_iNS9_4plusIvEEiEEDaPvRmT3_T4_T5_mT6_P12ihipStream_tbENKUlT_T0_E_clISt17integral_constantIbLb0EESQ_IbLb1EEEEDaSM_SN_EUlSM_E0_NS1_11comp_targetILNS1_3genE4ELNS1_11target_archE910ELNS1_3gpuE8ELNS1_3repE0EEENS1_30default_config_static_selectorELNS0_4arch9wavefront6targetE1EEEvT1_
		.amdhsa_group_segment_fixed_size 5120
		.amdhsa_private_segment_fixed_size 0
		.amdhsa_kernarg_size 32
		.amdhsa_user_sgpr_count 6
		.amdhsa_user_sgpr_private_segment_buffer 1
		.amdhsa_user_sgpr_dispatch_ptr 0
		.amdhsa_user_sgpr_queue_ptr 0
		.amdhsa_user_sgpr_kernarg_segment_ptr 1
		.amdhsa_user_sgpr_dispatch_id 0
		.amdhsa_user_sgpr_flat_scratch_init 0
		.amdhsa_user_sgpr_kernarg_preload_length 0
		.amdhsa_user_sgpr_kernarg_preload_offset 0
		.amdhsa_user_sgpr_private_segment_size 0
		.amdhsa_uses_dynamic_stack 0
		.amdhsa_system_sgpr_private_segment_wavefront_offset 0
		.amdhsa_system_sgpr_workgroup_id_x 1
		.amdhsa_system_sgpr_workgroup_id_y 0
		.amdhsa_system_sgpr_workgroup_id_z 0
		.amdhsa_system_sgpr_workgroup_info 0
		.amdhsa_system_vgpr_workitem_id 0
		.amdhsa_next_free_vgpr 27
		.amdhsa_next_free_sgpr 24
		.amdhsa_accum_offset 28
		.amdhsa_reserve_vcc 1
		.amdhsa_reserve_flat_scratch 0
		.amdhsa_float_round_mode_32 0
		.amdhsa_float_round_mode_16_64 0
		.amdhsa_float_denorm_mode_32 3
		.amdhsa_float_denorm_mode_16_64 3
		.amdhsa_dx10_clamp 1
		.amdhsa_ieee_mode 1
		.amdhsa_fp16_overflow 0
		.amdhsa_tg_split 0
		.amdhsa_exception_fp_ieee_invalid_op 0
		.amdhsa_exception_fp_denorm_src 0
		.amdhsa_exception_fp_ieee_div_zero 0
		.amdhsa_exception_fp_ieee_overflow 0
		.amdhsa_exception_fp_ieee_underflow 0
		.amdhsa_exception_fp_ieee_inexact 0
		.amdhsa_exception_int_div_zero 0
	.end_amdhsa_kernel
	.section	.text._ZN7rocprim17ROCPRIM_400000_NS6detail17trampoline_kernelINS0_14default_configENS1_20scan_config_selectorIiEEZZNS1_9scan_implILNS1_25lookback_scan_determinismE0ELb0ELb0ES3_N6thrust23THRUST_200600_302600_NS10device_ptrIiEESB_iNS9_4plusIvEEiEEDaPvRmT3_T4_T5_mT6_P12ihipStream_tbENKUlT_T0_E_clISt17integral_constantIbLb0EESQ_IbLb1EEEEDaSM_SN_EUlSM_E0_NS1_11comp_targetILNS1_3genE4ELNS1_11target_archE910ELNS1_3gpuE8ELNS1_3repE0EEENS1_30default_config_static_selectorELNS0_4arch9wavefront6targetE1EEEvT1_,"axG",@progbits,_ZN7rocprim17ROCPRIM_400000_NS6detail17trampoline_kernelINS0_14default_configENS1_20scan_config_selectorIiEEZZNS1_9scan_implILNS1_25lookback_scan_determinismE0ELb0ELb0ES3_N6thrust23THRUST_200600_302600_NS10device_ptrIiEESB_iNS9_4plusIvEEiEEDaPvRmT3_T4_T5_mT6_P12ihipStream_tbENKUlT_T0_E_clISt17integral_constantIbLb0EESQ_IbLb1EEEEDaSM_SN_EUlSM_E0_NS1_11comp_targetILNS1_3genE4ELNS1_11target_archE910ELNS1_3gpuE8ELNS1_3repE0EEENS1_30default_config_static_selectorELNS0_4arch9wavefront6targetE1EEEvT1_,comdat
.Lfunc_end6815:
	.size	_ZN7rocprim17ROCPRIM_400000_NS6detail17trampoline_kernelINS0_14default_configENS1_20scan_config_selectorIiEEZZNS1_9scan_implILNS1_25lookback_scan_determinismE0ELb0ELb0ES3_N6thrust23THRUST_200600_302600_NS10device_ptrIiEESB_iNS9_4plusIvEEiEEDaPvRmT3_T4_T5_mT6_P12ihipStream_tbENKUlT_T0_E_clISt17integral_constantIbLb0EESQ_IbLb1EEEEDaSM_SN_EUlSM_E0_NS1_11comp_targetILNS1_3genE4ELNS1_11target_archE910ELNS1_3gpuE8ELNS1_3repE0EEENS1_30default_config_static_selectorELNS0_4arch9wavefront6targetE1EEEvT1_, .Lfunc_end6815-_ZN7rocprim17ROCPRIM_400000_NS6detail17trampoline_kernelINS0_14default_configENS1_20scan_config_selectorIiEEZZNS1_9scan_implILNS1_25lookback_scan_determinismE0ELb0ELb0ES3_N6thrust23THRUST_200600_302600_NS10device_ptrIiEESB_iNS9_4plusIvEEiEEDaPvRmT3_T4_T5_mT6_P12ihipStream_tbENKUlT_T0_E_clISt17integral_constantIbLb0EESQ_IbLb1EEEEDaSM_SN_EUlSM_E0_NS1_11comp_targetILNS1_3genE4ELNS1_11target_archE910ELNS1_3gpuE8ELNS1_3repE0EEENS1_30default_config_static_selectorELNS0_4arch9wavefront6targetE1EEEvT1_
                                        ; -- End function
	.section	.AMDGPU.csdata,"",@progbits
; Kernel info:
; codeLenInByte = 1556
; NumSgprs: 28
; NumVgprs: 27
; NumAgprs: 0
; TotalNumVgprs: 27
; ScratchSize: 0
; MemoryBound: 0
; FloatMode: 240
; IeeeMode: 1
; LDSByteSize: 5120 bytes/workgroup (compile time only)
; SGPRBlocks: 3
; VGPRBlocks: 3
; NumSGPRsForWavesPerEU: 28
; NumVGPRsForWavesPerEU: 27
; AccumOffset: 28
; Occupancy: 6
; WaveLimiterHint : 0
; COMPUTE_PGM_RSRC2:SCRATCH_EN: 0
; COMPUTE_PGM_RSRC2:USER_SGPR: 6
; COMPUTE_PGM_RSRC2:TRAP_HANDLER: 0
; COMPUTE_PGM_RSRC2:TGID_X_EN: 1
; COMPUTE_PGM_RSRC2:TGID_Y_EN: 0
; COMPUTE_PGM_RSRC2:TGID_Z_EN: 0
; COMPUTE_PGM_RSRC2:TIDIG_COMP_CNT: 0
; COMPUTE_PGM_RSRC3_GFX90A:ACCUM_OFFSET: 6
; COMPUTE_PGM_RSRC3_GFX90A:TG_SPLIT: 0
	.section	.text._ZN7rocprim17ROCPRIM_400000_NS6detail17trampoline_kernelINS0_14default_configENS1_20scan_config_selectorIiEEZZNS1_9scan_implILNS1_25lookback_scan_determinismE0ELb0ELb0ES3_N6thrust23THRUST_200600_302600_NS10device_ptrIiEESB_iNS9_4plusIvEEiEEDaPvRmT3_T4_T5_mT6_P12ihipStream_tbENKUlT_T0_E_clISt17integral_constantIbLb0EESQ_IbLb1EEEEDaSM_SN_EUlSM_E0_NS1_11comp_targetILNS1_3genE3ELNS1_11target_archE908ELNS1_3gpuE7ELNS1_3repE0EEENS1_30default_config_static_selectorELNS0_4arch9wavefront6targetE1EEEvT1_,"axG",@progbits,_ZN7rocprim17ROCPRIM_400000_NS6detail17trampoline_kernelINS0_14default_configENS1_20scan_config_selectorIiEEZZNS1_9scan_implILNS1_25lookback_scan_determinismE0ELb0ELb0ES3_N6thrust23THRUST_200600_302600_NS10device_ptrIiEESB_iNS9_4plusIvEEiEEDaPvRmT3_T4_T5_mT6_P12ihipStream_tbENKUlT_T0_E_clISt17integral_constantIbLb0EESQ_IbLb1EEEEDaSM_SN_EUlSM_E0_NS1_11comp_targetILNS1_3genE3ELNS1_11target_archE908ELNS1_3gpuE7ELNS1_3repE0EEENS1_30default_config_static_selectorELNS0_4arch9wavefront6targetE1EEEvT1_,comdat
	.protected	_ZN7rocprim17ROCPRIM_400000_NS6detail17trampoline_kernelINS0_14default_configENS1_20scan_config_selectorIiEEZZNS1_9scan_implILNS1_25lookback_scan_determinismE0ELb0ELb0ES3_N6thrust23THRUST_200600_302600_NS10device_ptrIiEESB_iNS9_4plusIvEEiEEDaPvRmT3_T4_T5_mT6_P12ihipStream_tbENKUlT_T0_E_clISt17integral_constantIbLb0EESQ_IbLb1EEEEDaSM_SN_EUlSM_E0_NS1_11comp_targetILNS1_3genE3ELNS1_11target_archE908ELNS1_3gpuE7ELNS1_3repE0EEENS1_30default_config_static_selectorELNS0_4arch9wavefront6targetE1EEEvT1_ ; -- Begin function _ZN7rocprim17ROCPRIM_400000_NS6detail17trampoline_kernelINS0_14default_configENS1_20scan_config_selectorIiEEZZNS1_9scan_implILNS1_25lookback_scan_determinismE0ELb0ELb0ES3_N6thrust23THRUST_200600_302600_NS10device_ptrIiEESB_iNS9_4plusIvEEiEEDaPvRmT3_T4_T5_mT6_P12ihipStream_tbENKUlT_T0_E_clISt17integral_constantIbLb0EESQ_IbLb1EEEEDaSM_SN_EUlSM_E0_NS1_11comp_targetILNS1_3genE3ELNS1_11target_archE908ELNS1_3gpuE7ELNS1_3repE0EEENS1_30default_config_static_selectorELNS0_4arch9wavefront6targetE1EEEvT1_
	.globl	_ZN7rocprim17ROCPRIM_400000_NS6detail17trampoline_kernelINS0_14default_configENS1_20scan_config_selectorIiEEZZNS1_9scan_implILNS1_25lookback_scan_determinismE0ELb0ELb0ES3_N6thrust23THRUST_200600_302600_NS10device_ptrIiEESB_iNS9_4plusIvEEiEEDaPvRmT3_T4_T5_mT6_P12ihipStream_tbENKUlT_T0_E_clISt17integral_constantIbLb0EESQ_IbLb1EEEEDaSM_SN_EUlSM_E0_NS1_11comp_targetILNS1_3genE3ELNS1_11target_archE908ELNS1_3gpuE7ELNS1_3repE0EEENS1_30default_config_static_selectorELNS0_4arch9wavefront6targetE1EEEvT1_
	.p2align	8
	.type	_ZN7rocprim17ROCPRIM_400000_NS6detail17trampoline_kernelINS0_14default_configENS1_20scan_config_selectorIiEEZZNS1_9scan_implILNS1_25lookback_scan_determinismE0ELb0ELb0ES3_N6thrust23THRUST_200600_302600_NS10device_ptrIiEESB_iNS9_4plusIvEEiEEDaPvRmT3_T4_T5_mT6_P12ihipStream_tbENKUlT_T0_E_clISt17integral_constantIbLb0EESQ_IbLb1EEEEDaSM_SN_EUlSM_E0_NS1_11comp_targetILNS1_3genE3ELNS1_11target_archE908ELNS1_3gpuE7ELNS1_3repE0EEENS1_30default_config_static_selectorELNS0_4arch9wavefront6targetE1EEEvT1_,@function
_ZN7rocprim17ROCPRIM_400000_NS6detail17trampoline_kernelINS0_14default_configENS1_20scan_config_selectorIiEEZZNS1_9scan_implILNS1_25lookback_scan_determinismE0ELb0ELb0ES3_N6thrust23THRUST_200600_302600_NS10device_ptrIiEESB_iNS9_4plusIvEEiEEDaPvRmT3_T4_T5_mT6_P12ihipStream_tbENKUlT_T0_E_clISt17integral_constantIbLb0EESQ_IbLb1EEEEDaSM_SN_EUlSM_E0_NS1_11comp_targetILNS1_3genE3ELNS1_11target_archE908ELNS1_3gpuE7ELNS1_3repE0EEENS1_30default_config_static_selectorELNS0_4arch9wavefront6targetE1EEEvT1_: ; @_ZN7rocprim17ROCPRIM_400000_NS6detail17trampoline_kernelINS0_14default_configENS1_20scan_config_selectorIiEEZZNS1_9scan_implILNS1_25lookback_scan_determinismE0ELb0ELb0ES3_N6thrust23THRUST_200600_302600_NS10device_ptrIiEESB_iNS9_4plusIvEEiEEDaPvRmT3_T4_T5_mT6_P12ihipStream_tbENKUlT_T0_E_clISt17integral_constantIbLb0EESQ_IbLb1EEEEDaSM_SN_EUlSM_E0_NS1_11comp_targetILNS1_3genE3ELNS1_11target_archE908ELNS1_3gpuE7ELNS1_3repE0EEENS1_30default_config_static_selectorELNS0_4arch9wavefront6targetE1EEEvT1_
; %bb.0:
	.section	.rodata,"a",@progbits
	.p2align	6, 0x0
	.amdhsa_kernel _ZN7rocprim17ROCPRIM_400000_NS6detail17trampoline_kernelINS0_14default_configENS1_20scan_config_selectorIiEEZZNS1_9scan_implILNS1_25lookback_scan_determinismE0ELb0ELb0ES3_N6thrust23THRUST_200600_302600_NS10device_ptrIiEESB_iNS9_4plusIvEEiEEDaPvRmT3_T4_T5_mT6_P12ihipStream_tbENKUlT_T0_E_clISt17integral_constantIbLb0EESQ_IbLb1EEEEDaSM_SN_EUlSM_E0_NS1_11comp_targetILNS1_3genE3ELNS1_11target_archE908ELNS1_3gpuE7ELNS1_3repE0EEENS1_30default_config_static_selectorELNS0_4arch9wavefront6targetE1EEEvT1_
		.amdhsa_group_segment_fixed_size 0
		.amdhsa_private_segment_fixed_size 0
		.amdhsa_kernarg_size 32
		.amdhsa_user_sgpr_count 6
		.amdhsa_user_sgpr_private_segment_buffer 1
		.amdhsa_user_sgpr_dispatch_ptr 0
		.amdhsa_user_sgpr_queue_ptr 0
		.amdhsa_user_sgpr_kernarg_segment_ptr 1
		.amdhsa_user_sgpr_dispatch_id 0
		.amdhsa_user_sgpr_flat_scratch_init 0
		.amdhsa_user_sgpr_kernarg_preload_length 0
		.amdhsa_user_sgpr_kernarg_preload_offset 0
		.amdhsa_user_sgpr_private_segment_size 0
		.amdhsa_uses_dynamic_stack 0
		.amdhsa_system_sgpr_private_segment_wavefront_offset 0
		.amdhsa_system_sgpr_workgroup_id_x 1
		.amdhsa_system_sgpr_workgroup_id_y 0
		.amdhsa_system_sgpr_workgroup_id_z 0
		.amdhsa_system_sgpr_workgroup_info 0
		.amdhsa_system_vgpr_workitem_id 0
		.amdhsa_next_free_vgpr 1
		.amdhsa_next_free_sgpr 0
		.amdhsa_accum_offset 4
		.amdhsa_reserve_vcc 0
		.amdhsa_reserve_flat_scratch 0
		.amdhsa_float_round_mode_32 0
		.amdhsa_float_round_mode_16_64 0
		.amdhsa_float_denorm_mode_32 3
		.amdhsa_float_denorm_mode_16_64 3
		.amdhsa_dx10_clamp 1
		.amdhsa_ieee_mode 1
		.amdhsa_fp16_overflow 0
		.amdhsa_tg_split 0
		.amdhsa_exception_fp_ieee_invalid_op 0
		.amdhsa_exception_fp_denorm_src 0
		.amdhsa_exception_fp_ieee_div_zero 0
		.amdhsa_exception_fp_ieee_overflow 0
		.amdhsa_exception_fp_ieee_underflow 0
		.amdhsa_exception_fp_ieee_inexact 0
		.amdhsa_exception_int_div_zero 0
	.end_amdhsa_kernel
	.section	.text._ZN7rocprim17ROCPRIM_400000_NS6detail17trampoline_kernelINS0_14default_configENS1_20scan_config_selectorIiEEZZNS1_9scan_implILNS1_25lookback_scan_determinismE0ELb0ELb0ES3_N6thrust23THRUST_200600_302600_NS10device_ptrIiEESB_iNS9_4plusIvEEiEEDaPvRmT3_T4_T5_mT6_P12ihipStream_tbENKUlT_T0_E_clISt17integral_constantIbLb0EESQ_IbLb1EEEEDaSM_SN_EUlSM_E0_NS1_11comp_targetILNS1_3genE3ELNS1_11target_archE908ELNS1_3gpuE7ELNS1_3repE0EEENS1_30default_config_static_selectorELNS0_4arch9wavefront6targetE1EEEvT1_,"axG",@progbits,_ZN7rocprim17ROCPRIM_400000_NS6detail17trampoline_kernelINS0_14default_configENS1_20scan_config_selectorIiEEZZNS1_9scan_implILNS1_25lookback_scan_determinismE0ELb0ELb0ES3_N6thrust23THRUST_200600_302600_NS10device_ptrIiEESB_iNS9_4plusIvEEiEEDaPvRmT3_T4_T5_mT6_P12ihipStream_tbENKUlT_T0_E_clISt17integral_constantIbLb0EESQ_IbLb1EEEEDaSM_SN_EUlSM_E0_NS1_11comp_targetILNS1_3genE3ELNS1_11target_archE908ELNS1_3gpuE7ELNS1_3repE0EEENS1_30default_config_static_selectorELNS0_4arch9wavefront6targetE1EEEvT1_,comdat
.Lfunc_end6816:
	.size	_ZN7rocprim17ROCPRIM_400000_NS6detail17trampoline_kernelINS0_14default_configENS1_20scan_config_selectorIiEEZZNS1_9scan_implILNS1_25lookback_scan_determinismE0ELb0ELb0ES3_N6thrust23THRUST_200600_302600_NS10device_ptrIiEESB_iNS9_4plusIvEEiEEDaPvRmT3_T4_T5_mT6_P12ihipStream_tbENKUlT_T0_E_clISt17integral_constantIbLb0EESQ_IbLb1EEEEDaSM_SN_EUlSM_E0_NS1_11comp_targetILNS1_3genE3ELNS1_11target_archE908ELNS1_3gpuE7ELNS1_3repE0EEENS1_30default_config_static_selectorELNS0_4arch9wavefront6targetE1EEEvT1_, .Lfunc_end6816-_ZN7rocprim17ROCPRIM_400000_NS6detail17trampoline_kernelINS0_14default_configENS1_20scan_config_selectorIiEEZZNS1_9scan_implILNS1_25lookback_scan_determinismE0ELb0ELb0ES3_N6thrust23THRUST_200600_302600_NS10device_ptrIiEESB_iNS9_4plusIvEEiEEDaPvRmT3_T4_T5_mT6_P12ihipStream_tbENKUlT_T0_E_clISt17integral_constantIbLb0EESQ_IbLb1EEEEDaSM_SN_EUlSM_E0_NS1_11comp_targetILNS1_3genE3ELNS1_11target_archE908ELNS1_3gpuE7ELNS1_3repE0EEENS1_30default_config_static_selectorELNS0_4arch9wavefront6targetE1EEEvT1_
                                        ; -- End function
	.section	.AMDGPU.csdata,"",@progbits
; Kernel info:
; codeLenInByte = 0
; NumSgprs: 4
; NumVgprs: 0
; NumAgprs: 0
; TotalNumVgprs: 0
; ScratchSize: 0
; MemoryBound: 0
; FloatMode: 240
; IeeeMode: 1
; LDSByteSize: 0 bytes/workgroup (compile time only)
; SGPRBlocks: 0
; VGPRBlocks: 0
; NumSGPRsForWavesPerEU: 4
; NumVGPRsForWavesPerEU: 1
; AccumOffset: 4
; Occupancy: 8
; WaveLimiterHint : 0
; COMPUTE_PGM_RSRC2:SCRATCH_EN: 0
; COMPUTE_PGM_RSRC2:USER_SGPR: 6
; COMPUTE_PGM_RSRC2:TRAP_HANDLER: 0
; COMPUTE_PGM_RSRC2:TGID_X_EN: 1
; COMPUTE_PGM_RSRC2:TGID_Y_EN: 0
; COMPUTE_PGM_RSRC2:TGID_Z_EN: 0
; COMPUTE_PGM_RSRC2:TIDIG_COMP_CNT: 0
; COMPUTE_PGM_RSRC3_GFX90A:ACCUM_OFFSET: 0
; COMPUTE_PGM_RSRC3_GFX90A:TG_SPLIT: 0
	.section	.text._ZN7rocprim17ROCPRIM_400000_NS6detail17trampoline_kernelINS0_14default_configENS1_20scan_config_selectorIiEEZZNS1_9scan_implILNS1_25lookback_scan_determinismE0ELb0ELb0ES3_N6thrust23THRUST_200600_302600_NS10device_ptrIiEESB_iNS9_4plusIvEEiEEDaPvRmT3_T4_T5_mT6_P12ihipStream_tbENKUlT_T0_E_clISt17integral_constantIbLb0EESQ_IbLb1EEEEDaSM_SN_EUlSM_E0_NS1_11comp_targetILNS1_3genE2ELNS1_11target_archE906ELNS1_3gpuE6ELNS1_3repE0EEENS1_30default_config_static_selectorELNS0_4arch9wavefront6targetE1EEEvT1_,"axG",@progbits,_ZN7rocprim17ROCPRIM_400000_NS6detail17trampoline_kernelINS0_14default_configENS1_20scan_config_selectorIiEEZZNS1_9scan_implILNS1_25lookback_scan_determinismE0ELb0ELb0ES3_N6thrust23THRUST_200600_302600_NS10device_ptrIiEESB_iNS9_4plusIvEEiEEDaPvRmT3_T4_T5_mT6_P12ihipStream_tbENKUlT_T0_E_clISt17integral_constantIbLb0EESQ_IbLb1EEEEDaSM_SN_EUlSM_E0_NS1_11comp_targetILNS1_3genE2ELNS1_11target_archE906ELNS1_3gpuE6ELNS1_3repE0EEENS1_30default_config_static_selectorELNS0_4arch9wavefront6targetE1EEEvT1_,comdat
	.protected	_ZN7rocprim17ROCPRIM_400000_NS6detail17trampoline_kernelINS0_14default_configENS1_20scan_config_selectorIiEEZZNS1_9scan_implILNS1_25lookback_scan_determinismE0ELb0ELb0ES3_N6thrust23THRUST_200600_302600_NS10device_ptrIiEESB_iNS9_4plusIvEEiEEDaPvRmT3_T4_T5_mT6_P12ihipStream_tbENKUlT_T0_E_clISt17integral_constantIbLb0EESQ_IbLb1EEEEDaSM_SN_EUlSM_E0_NS1_11comp_targetILNS1_3genE2ELNS1_11target_archE906ELNS1_3gpuE6ELNS1_3repE0EEENS1_30default_config_static_selectorELNS0_4arch9wavefront6targetE1EEEvT1_ ; -- Begin function _ZN7rocprim17ROCPRIM_400000_NS6detail17trampoline_kernelINS0_14default_configENS1_20scan_config_selectorIiEEZZNS1_9scan_implILNS1_25lookback_scan_determinismE0ELb0ELb0ES3_N6thrust23THRUST_200600_302600_NS10device_ptrIiEESB_iNS9_4plusIvEEiEEDaPvRmT3_T4_T5_mT6_P12ihipStream_tbENKUlT_T0_E_clISt17integral_constantIbLb0EESQ_IbLb1EEEEDaSM_SN_EUlSM_E0_NS1_11comp_targetILNS1_3genE2ELNS1_11target_archE906ELNS1_3gpuE6ELNS1_3repE0EEENS1_30default_config_static_selectorELNS0_4arch9wavefront6targetE1EEEvT1_
	.globl	_ZN7rocprim17ROCPRIM_400000_NS6detail17trampoline_kernelINS0_14default_configENS1_20scan_config_selectorIiEEZZNS1_9scan_implILNS1_25lookback_scan_determinismE0ELb0ELb0ES3_N6thrust23THRUST_200600_302600_NS10device_ptrIiEESB_iNS9_4plusIvEEiEEDaPvRmT3_T4_T5_mT6_P12ihipStream_tbENKUlT_T0_E_clISt17integral_constantIbLb0EESQ_IbLb1EEEEDaSM_SN_EUlSM_E0_NS1_11comp_targetILNS1_3genE2ELNS1_11target_archE906ELNS1_3gpuE6ELNS1_3repE0EEENS1_30default_config_static_selectorELNS0_4arch9wavefront6targetE1EEEvT1_
	.p2align	8
	.type	_ZN7rocprim17ROCPRIM_400000_NS6detail17trampoline_kernelINS0_14default_configENS1_20scan_config_selectorIiEEZZNS1_9scan_implILNS1_25lookback_scan_determinismE0ELb0ELb0ES3_N6thrust23THRUST_200600_302600_NS10device_ptrIiEESB_iNS9_4plusIvEEiEEDaPvRmT3_T4_T5_mT6_P12ihipStream_tbENKUlT_T0_E_clISt17integral_constantIbLb0EESQ_IbLb1EEEEDaSM_SN_EUlSM_E0_NS1_11comp_targetILNS1_3genE2ELNS1_11target_archE906ELNS1_3gpuE6ELNS1_3repE0EEENS1_30default_config_static_selectorELNS0_4arch9wavefront6targetE1EEEvT1_,@function
_ZN7rocprim17ROCPRIM_400000_NS6detail17trampoline_kernelINS0_14default_configENS1_20scan_config_selectorIiEEZZNS1_9scan_implILNS1_25lookback_scan_determinismE0ELb0ELb0ES3_N6thrust23THRUST_200600_302600_NS10device_ptrIiEESB_iNS9_4plusIvEEiEEDaPvRmT3_T4_T5_mT6_P12ihipStream_tbENKUlT_T0_E_clISt17integral_constantIbLb0EESQ_IbLb1EEEEDaSM_SN_EUlSM_E0_NS1_11comp_targetILNS1_3genE2ELNS1_11target_archE906ELNS1_3gpuE6ELNS1_3repE0EEENS1_30default_config_static_selectorELNS0_4arch9wavefront6targetE1EEEvT1_: ; @_ZN7rocprim17ROCPRIM_400000_NS6detail17trampoline_kernelINS0_14default_configENS1_20scan_config_selectorIiEEZZNS1_9scan_implILNS1_25lookback_scan_determinismE0ELb0ELb0ES3_N6thrust23THRUST_200600_302600_NS10device_ptrIiEESB_iNS9_4plusIvEEiEEDaPvRmT3_T4_T5_mT6_P12ihipStream_tbENKUlT_T0_E_clISt17integral_constantIbLb0EESQ_IbLb1EEEEDaSM_SN_EUlSM_E0_NS1_11comp_targetILNS1_3genE2ELNS1_11target_archE906ELNS1_3gpuE6ELNS1_3repE0EEENS1_30default_config_static_selectorELNS0_4arch9wavefront6targetE1EEEvT1_
; %bb.0:
	.section	.rodata,"a",@progbits
	.p2align	6, 0x0
	.amdhsa_kernel _ZN7rocprim17ROCPRIM_400000_NS6detail17trampoline_kernelINS0_14default_configENS1_20scan_config_selectorIiEEZZNS1_9scan_implILNS1_25lookback_scan_determinismE0ELb0ELb0ES3_N6thrust23THRUST_200600_302600_NS10device_ptrIiEESB_iNS9_4plusIvEEiEEDaPvRmT3_T4_T5_mT6_P12ihipStream_tbENKUlT_T0_E_clISt17integral_constantIbLb0EESQ_IbLb1EEEEDaSM_SN_EUlSM_E0_NS1_11comp_targetILNS1_3genE2ELNS1_11target_archE906ELNS1_3gpuE6ELNS1_3repE0EEENS1_30default_config_static_selectorELNS0_4arch9wavefront6targetE1EEEvT1_
		.amdhsa_group_segment_fixed_size 0
		.amdhsa_private_segment_fixed_size 0
		.amdhsa_kernarg_size 32
		.amdhsa_user_sgpr_count 6
		.amdhsa_user_sgpr_private_segment_buffer 1
		.amdhsa_user_sgpr_dispatch_ptr 0
		.amdhsa_user_sgpr_queue_ptr 0
		.amdhsa_user_sgpr_kernarg_segment_ptr 1
		.amdhsa_user_sgpr_dispatch_id 0
		.amdhsa_user_sgpr_flat_scratch_init 0
		.amdhsa_user_sgpr_kernarg_preload_length 0
		.amdhsa_user_sgpr_kernarg_preload_offset 0
		.amdhsa_user_sgpr_private_segment_size 0
		.amdhsa_uses_dynamic_stack 0
		.amdhsa_system_sgpr_private_segment_wavefront_offset 0
		.amdhsa_system_sgpr_workgroup_id_x 1
		.amdhsa_system_sgpr_workgroup_id_y 0
		.amdhsa_system_sgpr_workgroup_id_z 0
		.amdhsa_system_sgpr_workgroup_info 0
		.amdhsa_system_vgpr_workitem_id 0
		.amdhsa_next_free_vgpr 1
		.amdhsa_next_free_sgpr 0
		.amdhsa_accum_offset 4
		.amdhsa_reserve_vcc 0
		.amdhsa_reserve_flat_scratch 0
		.amdhsa_float_round_mode_32 0
		.amdhsa_float_round_mode_16_64 0
		.amdhsa_float_denorm_mode_32 3
		.amdhsa_float_denorm_mode_16_64 3
		.amdhsa_dx10_clamp 1
		.amdhsa_ieee_mode 1
		.amdhsa_fp16_overflow 0
		.amdhsa_tg_split 0
		.amdhsa_exception_fp_ieee_invalid_op 0
		.amdhsa_exception_fp_denorm_src 0
		.amdhsa_exception_fp_ieee_div_zero 0
		.amdhsa_exception_fp_ieee_overflow 0
		.amdhsa_exception_fp_ieee_underflow 0
		.amdhsa_exception_fp_ieee_inexact 0
		.amdhsa_exception_int_div_zero 0
	.end_amdhsa_kernel
	.section	.text._ZN7rocprim17ROCPRIM_400000_NS6detail17trampoline_kernelINS0_14default_configENS1_20scan_config_selectorIiEEZZNS1_9scan_implILNS1_25lookback_scan_determinismE0ELb0ELb0ES3_N6thrust23THRUST_200600_302600_NS10device_ptrIiEESB_iNS9_4plusIvEEiEEDaPvRmT3_T4_T5_mT6_P12ihipStream_tbENKUlT_T0_E_clISt17integral_constantIbLb0EESQ_IbLb1EEEEDaSM_SN_EUlSM_E0_NS1_11comp_targetILNS1_3genE2ELNS1_11target_archE906ELNS1_3gpuE6ELNS1_3repE0EEENS1_30default_config_static_selectorELNS0_4arch9wavefront6targetE1EEEvT1_,"axG",@progbits,_ZN7rocprim17ROCPRIM_400000_NS6detail17trampoline_kernelINS0_14default_configENS1_20scan_config_selectorIiEEZZNS1_9scan_implILNS1_25lookback_scan_determinismE0ELb0ELb0ES3_N6thrust23THRUST_200600_302600_NS10device_ptrIiEESB_iNS9_4plusIvEEiEEDaPvRmT3_T4_T5_mT6_P12ihipStream_tbENKUlT_T0_E_clISt17integral_constantIbLb0EESQ_IbLb1EEEEDaSM_SN_EUlSM_E0_NS1_11comp_targetILNS1_3genE2ELNS1_11target_archE906ELNS1_3gpuE6ELNS1_3repE0EEENS1_30default_config_static_selectorELNS0_4arch9wavefront6targetE1EEEvT1_,comdat
.Lfunc_end6817:
	.size	_ZN7rocprim17ROCPRIM_400000_NS6detail17trampoline_kernelINS0_14default_configENS1_20scan_config_selectorIiEEZZNS1_9scan_implILNS1_25lookback_scan_determinismE0ELb0ELb0ES3_N6thrust23THRUST_200600_302600_NS10device_ptrIiEESB_iNS9_4plusIvEEiEEDaPvRmT3_T4_T5_mT6_P12ihipStream_tbENKUlT_T0_E_clISt17integral_constantIbLb0EESQ_IbLb1EEEEDaSM_SN_EUlSM_E0_NS1_11comp_targetILNS1_3genE2ELNS1_11target_archE906ELNS1_3gpuE6ELNS1_3repE0EEENS1_30default_config_static_selectorELNS0_4arch9wavefront6targetE1EEEvT1_, .Lfunc_end6817-_ZN7rocprim17ROCPRIM_400000_NS6detail17trampoline_kernelINS0_14default_configENS1_20scan_config_selectorIiEEZZNS1_9scan_implILNS1_25lookback_scan_determinismE0ELb0ELb0ES3_N6thrust23THRUST_200600_302600_NS10device_ptrIiEESB_iNS9_4plusIvEEiEEDaPvRmT3_T4_T5_mT6_P12ihipStream_tbENKUlT_T0_E_clISt17integral_constantIbLb0EESQ_IbLb1EEEEDaSM_SN_EUlSM_E0_NS1_11comp_targetILNS1_3genE2ELNS1_11target_archE906ELNS1_3gpuE6ELNS1_3repE0EEENS1_30default_config_static_selectorELNS0_4arch9wavefront6targetE1EEEvT1_
                                        ; -- End function
	.section	.AMDGPU.csdata,"",@progbits
; Kernel info:
; codeLenInByte = 0
; NumSgprs: 4
; NumVgprs: 0
; NumAgprs: 0
; TotalNumVgprs: 0
; ScratchSize: 0
; MemoryBound: 0
; FloatMode: 240
; IeeeMode: 1
; LDSByteSize: 0 bytes/workgroup (compile time only)
; SGPRBlocks: 0
; VGPRBlocks: 0
; NumSGPRsForWavesPerEU: 4
; NumVGPRsForWavesPerEU: 1
; AccumOffset: 4
; Occupancy: 8
; WaveLimiterHint : 0
; COMPUTE_PGM_RSRC2:SCRATCH_EN: 0
; COMPUTE_PGM_RSRC2:USER_SGPR: 6
; COMPUTE_PGM_RSRC2:TRAP_HANDLER: 0
; COMPUTE_PGM_RSRC2:TGID_X_EN: 1
; COMPUTE_PGM_RSRC2:TGID_Y_EN: 0
; COMPUTE_PGM_RSRC2:TGID_Z_EN: 0
; COMPUTE_PGM_RSRC2:TIDIG_COMP_CNT: 0
; COMPUTE_PGM_RSRC3_GFX90A:ACCUM_OFFSET: 0
; COMPUTE_PGM_RSRC3_GFX90A:TG_SPLIT: 0
	.section	.text._ZN7rocprim17ROCPRIM_400000_NS6detail17trampoline_kernelINS0_14default_configENS1_20scan_config_selectorIiEEZZNS1_9scan_implILNS1_25lookback_scan_determinismE0ELb0ELb0ES3_N6thrust23THRUST_200600_302600_NS10device_ptrIiEESB_iNS9_4plusIvEEiEEDaPvRmT3_T4_T5_mT6_P12ihipStream_tbENKUlT_T0_E_clISt17integral_constantIbLb0EESQ_IbLb1EEEEDaSM_SN_EUlSM_E0_NS1_11comp_targetILNS1_3genE10ELNS1_11target_archE1201ELNS1_3gpuE5ELNS1_3repE0EEENS1_30default_config_static_selectorELNS0_4arch9wavefront6targetE1EEEvT1_,"axG",@progbits,_ZN7rocprim17ROCPRIM_400000_NS6detail17trampoline_kernelINS0_14default_configENS1_20scan_config_selectorIiEEZZNS1_9scan_implILNS1_25lookback_scan_determinismE0ELb0ELb0ES3_N6thrust23THRUST_200600_302600_NS10device_ptrIiEESB_iNS9_4plusIvEEiEEDaPvRmT3_T4_T5_mT6_P12ihipStream_tbENKUlT_T0_E_clISt17integral_constantIbLb0EESQ_IbLb1EEEEDaSM_SN_EUlSM_E0_NS1_11comp_targetILNS1_3genE10ELNS1_11target_archE1201ELNS1_3gpuE5ELNS1_3repE0EEENS1_30default_config_static_selectorELNS0_4arch9wavefront6targetE1EEEvT1_,comdat
	.protected	_ZN7rocprim17ROCPRIM_400000_NS6detail17trampoline_kernelINS0_14default_configENS1_20scan_config_selectorIiEEZZNS1_9scan_implILNS1_25lookback_scan_determinismE0ELb0ELb0ES3_N6thrust23THRUST_200600_302600_NS10device_ptrIiEESB_iNS9_4plusIvEEiEEDaPvRmT3_T4_T5_mT6_P12ihipStream_tbENKUlT_T0_E_clISt17integral_constantIbLb0EESQ_IbLb1EEEEDaSM_SN_EUlSM_E0_NS1_11comp_targetILNS1_3genE10ELNS1_11target_archE1201ELNS1_3gpuE5ELNS1_3repE0EEENS1_30default_config_static_selectorELNS0_4arch9wavefront6targetE1EEEvT1_ ; -- Begin function _ZN7rocprim17ROCPRIM_400000_NS6detail17trampoline_kernelINS0_14default_configENS1_20scan_config_selectorIiEEZZNS1_9scan_implILNS1_25lookback_scan_determinismE0ELb0ELb0ES3_N6thrust23THRUST_200600_302600_NS10device_ptrIiEESB_iNS9_4plusIvEEiEEDaPvRmT3_T4_T5_mT6_P12ihipStream_tbENKUlT_T0_E_clISt17integral_constantIbLb0EESQ_IbLb1EEEEDaSM_SN_EUlSM_E0_NS1_11comp_targetILNS1_3genE10ELNS1_11target_archE1201ELNS1_3gpuE5ELNS1_3repE0EEENS1_30default_config_static_selectorELNS0_4arch9wavefront6targetE1EEEvT1_
	.globl	_ZN7rocprim17ROCPRIM_400000_NS6detail17trampoline_kernelINS0_14default_configENS1_20scan_config_selectorIiEEZZNS1_9scan_implILNS1_25lookback_scan_determinismE0ELb0ELb0ES3_N6thrust23THRUST_200600_302600_NS10device_ptrIiEESB_iNS9_4plusIvEEiEEDaPvRmT3_T4_T5_mT6_P12ihipStream_tbENKUlT_T0_E_clISt17integral_constantIbLb0EESQ_IbLb1EEEEDaSM_SN_EUlSM_E0_NS1_11comp_targetILNS1_3genE10ELNS1_11target_archE1201ELNS1_3gpuE5ELNS1_3repE0EEENS1_30default_config_static_selectorELNS0_4arch9wavefront6targetE1EEEvT1_
	.p2align	8
	.type	_ZN7rocprim17ROCPRIM_400000_NS6detail17trampoline_kernelINS0_14default_configENS1_20scan_config_selectorIiEEZZNS1_9scan_implILNS1_25lookback_scan_determinismE0ELb0ELb0ES3_N6thrust23THRUST_200600_302600_NS10device_ptrIiEESB_iNS9_4plusIvEEiEEDaPvRmT3_T4_T5_mT6_P12ihipStream_tbENKUlT_T0_E_clISt17integral_constantIbLb0EESQ_IbLb1EEEEDaSM_SN_EUlSM_E0_NS1_11comp_targetILNS1_3genE10ELNS1_11target_archE1201ELNS1_3gpuE5ELNS1_3repE0EEENS1_30default_config_static_selectorELNS0_4arch9wavefront6targetE1EEEvT1_,@function
_ZN7rocprim17ROCPRIM_400000_NS6detail17trampoline_kernelINS0_14default_configENS1_20scan_config_selectorIiEEZZNS1_9scan_implILNS1_25lookback_scan_determinismE0ELb0ELb0ES3_N6thrust23THRUST_200600_302600_NS10device_ptrIiEESB_iNS9_4plusIvEEiEEDaPvRmT3_T4_T5_mT6_P12ihipStream_tbENKUlT_T0_E_clISt17integral_constantIbLb0EESQ_IbLb1EEEEDaSM_SN_EUlSM_E0_NS1_11comp_targetILNS1_3genE10ELNS1_11target_archE1201ELNS1_3gpuE5ELNS1_3repE0EEENS1_30default_config_static_selectorELNS0_4arch9wavefront6targetE1EEEvT1_: ; @_ZN7rocprim17ROCPRIM_400000_NS6detail17trampoline_kernelINS0_14default_configENS1_20scan_config_selectorIiEEZZNS1_9scan_implILNS1_25lookback_scan_determinismE0ELb0ELb0ES3_N6thrust23THRUST_200600_302600_NS10device_ptrIiEESB_iNS9_4plusIvEEiEEDaPvRmT3_T4_T5_mT6_P12ihipStream_tbENKUlT_T0_E_clISt17integral_constantIbLb0EESQ_IbLb1EEEEDaSM_SN_EUlSM_E0_NS1_11comp_targetILNS1_3genE10ELNS1_11target_archE1201ELNS1_3gpuE5ELNS1_3repE0EEENS1_30default_config_static_selectorELNS0_4arch9wavefront6targetE1EEEvT1_
; %bb.0:
	.section	.rodata,"a",@progbits
	.p2align	6, 0x0
	.amdhsa_kernel _ZN7rocprim17ROCPRIM_400000_NS6detail17trampoline_kernelINS0_14default_configENS1_20scan_config_selectorIiEEZZNS1_9scan_implILNS1_25lookback_scan_determinismE0ELb0ELb0ES3_N6thrust23THRUST_200600_302600_NS10device_ptrIiEESB_iNS9_4plusIvEEiEEDaPvRmT3_T4_T5_mT6_P12ihipStream_tbENKUlT_T0_E_clISt17integral_constantIbLb0EESQ_IbLb1EEEEDaSM_SN_EUlSM_E0_NS1_11comp_targetILNS1_3genE10ELNS1_11target_archE1201ELNS1_3gpuE5ELNS1_3repE0EEENS1_30default_config_static_selectorELNS0_4arch9wavefront6targetE1EEEvT1_
		.amdhsa_group_segment_fixed_size 0
		.amdhsa_private_segment_fixed_size 0
		.amdhsa_kernarg_size 32
		.amdhsa_user_sgpr_count 6
		.amdhsa_user_sgpr_private_segment_buffer 1
		.amdhsa_user_sgpr_dispatch_ptr 0
		.amdhsa_user_sgpr_queue_ptr 0
		.amdhsa_user_sgpr_kernarg_segment_ptr 1
		.amdhsa_user_sgpr_dispatch_id 0
		.amdhsa_user_sgpr_flat_scratch_init 0
		.amdhsa_user_sgpr_kernarg_preload_length 0
		.amdhsa_user_sgpr_kernarg_preload_offset 0
		.amdhsa_user_sgpr_private_segment_size 0
		.amdhsa_uses_dynamic_stack 0
		.amdhsa_system_sgpr_private_segment_wavefront_offset 0
		.amdhsa_system_sgpr_workgroup_id_x 1
		.amdhsa_system_sgpr_workgroup_id_y 0
		.amdhsa_system_sgpr_workgroup_id_z 0
		.amdhsa_system_sgpr_workgroup_info 0
		.amdhsa_system_vgpr_workitem_id 0
		.amdhsa_next_free_vgpr 1
		.amdhsa_next_free_sgpr 0
		.amdhsa_accum_offset 4
		.amdhsa_reserve_vcc 0
		.amdhsa_reserve_flat_scratch 0
		.amdhsa_float_round_mode_32 0
		.amdhsa_float_round_mode_16_64 0
		.amdhsa_float_denorm_mode_32 3
		.amdhsa_float_denorm_mode_16_64 3
		.amdhsa_dx10_clamp 1
		.amdhsa_ieee_mode 1
		.amdhsa_fp16_overflow 0
		.amdhsa_tg_split 0
		.amdhsa_exception_fp_ieee_invalid_op 0
		.amdhsa_exception_fp_denorm_src 0
		.amdhsa_exception_fp_ieee_div_zero 0
		.amdhsa_exception_fp_ieee_overflow 0
		.amdhsa_exception_fp_ieee_underflow 0
		.amdhsa_exception_fp_ieee_inexact 0
		.amdhsa_exception_int_div_zero 0
	.end_amdhsa_kernel
	.section	.text._ZN7rocprim17ROCPRIM_400000_NS6detail17trampoline_kernelINS0_14default_configENS1_20scan_config_selectorIiEEZZNS1_9scan_implILNS1_25lookback_scan_determinismE0ELb0ELb0ES3_N6thrust23THRUST_200600_302600_NS10device_ptrIiEESB_iNS9_4plusIvEEiEEDaPvRmT3_T4_T5_mT6_P12ihipStream_tbENKUlT_T0_E_clISt17integral_constantIbLb0EESQ_IbLb1EEEEDaSM_SN_EUlSM_E0_NS1_11comp_targetILNS1_3genE10ELNS1_11target_archE1201ELNS1_3gpuE5ELNS1_3repE0EEENS1_30default_config_static_selectorELNS0_4arch9wavefront6targetE1EEEvT1_,"axG",@progbits,_ZN7rocprim17ROCPRIM_400000_NS6detail17trampoline_kernelINS0_14default_configENS1_20scan_config_selectorIiEEZZNS1_9scan_implILNS1_25lookback_scan_determinismE0ELb0ELb0ES3_N6thrust23THRUST_200600_302600_NS10device_ptrIiEESB_iNS9_4plusIvEEiEEDaPvRmT3_T4_T5_mT6_P12ihipStream_tbENKUlT_T0_E_clISt17integral_constantIbLb0EESQ_IbLb1EEEEDaSM_SN_EUlSM_E0_NS1_11comp_targetILNS1_3genE10ELNS1_11target_archE1201ELNS1_3gpuE5ELNS1_3repE0EEENS1_30default_config_static_selectorELNS0_4arch9wavefront6targetE1EEEvT1_,comdat
.Lfunc_end6818:
	.size	_ZN7rocprim17ROCPRIM_400000_NS6detail17trampoline_kernelINS0_14default_configENS1_20scan_config_selectorIiEEZZNS1_9scan_implILNS1_25lookback_scan_determinismE0ELb0ELb0ES3_N6thrust23THRUST_200600_302600_NS10device_ptrIiEESB_iNS9_4plusIvEEiEEDaPvRmT3_T4_T5_mT6_P12ihipStream_tbENKUlT_T0_E_clISt17integral_constantIbLb0EESQ_IbLb1EEEEDaSM_SN_EUlSM_E0_NS1_11comp_targetILNS1_3genE10ELNS1_11target_archE1201ELNS1_3gpuE5ELNS1_3repE0EEENS1_30default_config_static_selectorELNS0_4arch9wavefront6targetE1EEEvT1_, .Lfunc_end6818-_ZN7rocprim17ROCPRIM_400000_NS6detail17trampoline_kernelINS0_14default_configENS1_20scan_config_selectorIiEEZZNS1_9scan_implILNS1_25lookback_scan_determinismE0ELb0ELb0ES3_N6thrust23THRUST_200600_302600_NS10device_ptrIiEESB_iNS9_4plusIvEEiEEDaPvRmT3_T4_T5_mT6_P12ihipStream_tbENKUlT_T0_E_clISt17integral_constantIbLb0EESQ_IbLb1EEEEDaSM_SN_EUlSM_E0_NS1_11comp_targetILNS1_3genE10ELNS1_11target_archE1201ELNS1_3gpuE5ELNS1_3repE0EEENS1_30default_config_static_selectorELNS0_4arch9wavefront6targetE1EEEvT1_
                                        ; -- End function
	.section	.AMDGPU.csdata,"",@progbits
; Kernel info:
; codeLenInByte = 0
; NumSgprs: 4
; NumVgprs: 0
; NumAgprs: 0
; TotalNumVgprs: 0
; ScratchSize: 0
; MemoryBound: 0
; FloatMode: 240
; IeeeMode: 1
; LDSByteSize: 0 bytes/workgroup (compile time only)
; SGPRBlocks: 0
; VGPRBlocks: 0
; NumSGPRsForWavesPerEU: 4
; NumVGPRsForWavesPerEU: 1
; AccumOffset: 4
; Occupancy: 8
; WaveLimiterHint : 0
; COMPUTE_PGM_RSRC2:SCRATCH_EN: 0
; COMPUTE_PGM_RSRC2:USER_SGPR: 6
; COMPUTE_PGM_RSRC2:TRAP_HANDLER: 0
; COMPUTE_PGM_RSRC2:TGID_X_EN: 1
; COMPUTE_PGM_RSRC2:TGID_Y_EN: 0
; COMPUTE_PGM_RSRC2:TGID_Z_EN: 0
; COMPUTE_PGM_RSRC2:TIDIG_COMP_CNT: 0
; COMPUTE_PGM_RSRC3_GFX90A:ACCUM_OFFSET: 0
; COMPUTE_PGM_RSRC3_GFX90A:TG_SPLIT: 0
	.section	.text._ZN7rocprim17ROCPRIM_400000_NS6detail17trampoline_kernelINS0_14default_configENS1_20scan_config_selectorIiEEZZNS1_9scan_implILNS1_25lookback_scan_determinismE0ELb0ELb0ES3_N6thrust23THRUST_200600_302600_NS10device_ptrIiEESB_iNS9_4plusIvEEiEEDaPvRmT3_T4_T5_mT6_P12ihipStream_tbENKUlT_T0_E_clISt17integral_constantIbLb0EESQ_IbLb1EEEEDaSM_SN_EUlSM_E0_NS1_11comp_targetILNS1_3genE10ELNS1_11target_archE1200ELNS1_3gpuE4ELNS1_3repE0EEENS1_30default_config_static_selectorELNS0_4arch9wavefront6targetE1EEEvT1_,"axG",@progbits,_ZN7rocprim17ROCPRIM_400000_NS6detail17trampoline_kernelINS0_14default_configENS1_20scan_config_selectorIiEEZZNS1_9scan_implILNS1_25lookback_scan_determinismE0ELb0ELb0ES3_N6thrust23THRUST_200600_302600_NS10device_ptrIiEESB_iNS9_4plusIvEEiEEDaPvRmT3_T4_T5_mT6_P12ihipStream_tbENKUlT_T0_E_clISt17integral_constantIbLb0EESQ_IbLb1EEEEDaSM_SN_EUlSM_E0_NS1_11comp_targetILNS1_3genE10ELNS1_11target_archE1200ELNS1_3gpuE4ELNS1_3repE0EEENS1_30default_config_static_selectorELNS0_4arch9wavefront6targetE1EEEvT1_,comdat
	.protected	_ZN7rocprim17ROCPRIM_400000_NS6detail17trampoline_kernelINS0_14default_configENS1_20scan_config_selectorIiEEZZNS1_9scan_implILNS1_25lookback_scan_determinismE0ELb0ELb0ES3_N6thrust23THRUST_200600_302600_NS10device_ptrIiEESB_iNS9_4plusIvEEiEEDaPvRmT3_T4_T5_mT6_P12ihipStream_tbENKUlT_T0_E_clISt17integral_constantIbLb0EESQ_IbLb1EEEEDaSM_SN_EUlSM_E0_NS1_11comp_targetILNS1_3genE10ELNS1_11target_archE1200ELNS1_3gpuE4ELNS1_3repE0EEENS1_30default_config_static_selectorELNS0_4arch9wavefront6targetE1EEEvT1_ ; -- Begin function _ZN7rocprim17ROCPRIM_400000_NS6detail17trampoline_kernelINS0_14default_configENS1_20scan_config_selectorIiEEZZNS1_9scan_implILNS1_25lookback_scan_determinismE0ELb0ELb0ES3_N6thrust23THRUST_200600_302600_NS10device_ptrIiEESB_iNS9_4plusIvEEiEEDaPvRmT3_T4_T5_mT6_P12ihipStream_tbENKUlT_T0_E_clISt17integral_constantIbLb0EESQ_IbLb1EEEEDaSM_SN_EUlSM_E0_NS1_11comp_targetILNS1_3genE10ELNS1_11target_archE1200ELNS1_3gpuE4ELNS1_3repE0EEENS1_30default_config_static_selectorELNS0_4arch9wavefront6targetE1EEEvT1_
	.globl	_ZN7rocprim17ROCPRIM_400000_NS6detail17trampoline_kernelINS0_14default_configENS1_20scan_config_selectorIiEEZZNS1_9scan_implILNS1_25lookback_scan_determinismE0ELb0ELb0ES3_N6thrust23THRUST_200600_302600_NS10device_ptrIiEESB_iNS9_4plusIvEEiEEDaPvRmT3_T4_T5_mT6_P12ihipStream_tbENKUlT_T0_E_clISt17integral_constantIbLb0EESQ_IbLb1EEEEDaSM_SN_EUlSM_E0_NS1_11comp_targetILNS1_3genE10ELNS1_11target_archE1200ELNS1_3gpuE4ELNS1_3repE0EEENS1_30default_config_static_selectorELNS0_4arch9wavefront6targetE1EEEvT1_
	.p2align	8
	.type	_ZN7rocprim17ROCPRIM_400000_NS6detail17trampoline_kernelINS0_14default_configENS1_20scan_config_selectorIiEEZZNS1_9scan_implILNS1_25lookback_scan_determinismE0ELb0ELb0ES3_N6thrust23THRUST_200600_302600_NS10device_ptrIiEESB_iNS9_4plusIvEEiEEDaPvRmT3_T4_T5_mT6_P12ihipStream_tbENKUlT_T0_E_clISt17integral_constantIbLb0EESQ_IbLb1EEEEDaSM_SN_EUlSM_E0_NS1_11comp_targetILNS1_3genE10ELNS1_11target_archE1200ELNS1_3gpuE4ELNS1_3repE0EEENS1_30default_config_static_selectorELNS0_4arch9wavefront6targetE1EEEvT1_,@function
_ZN7rocprim17ROCPRIM_400000_NS6detail17trampoline_kernelINS0_14default_configENS1_20scan_config_selectorIiEEZZNS1_9scan_implILNS1_25lookback_scan_determinismE0ELb0ELb0ES3_N6thrust23THRUST_200600_302600_NS10device_ptrIiEESB_iNS9_4plusIvEEiEEDaPvRmT3_T4_T5_mT6_P12ihipStream_tbENKUlT_T0_E_clISt17integral_constantIbLb0EESQ_IbLb1EEEEDaSM_SN_EUlSM_E0_NS1_11comp_targetILNS1_3genE10ELNS1_11target_archE1200ELNS1_3gpuE4ELNS1_3repE0EEENS1_30default_config_static_selectorELNS0_4arch9wavefront6targetE1EEEvT1_: ; @_ZN7rocprim17ROCPRIM_400000_NS6detail17trampoline_kernelINS0_14default_configENS1_20scan_config_selectorIiEEZZNS1_9scan_implILNS1_25lookback_scan_determinismE0ELb0ELb0ES3_N6thrust23THRUST_200600_302600_NS10device_ptrIiEESB_iNS9_4plusIvEEiEEDaPvRmT3_T4_T5_mT6_P12ihipStream_tbENKUlT_T0_E_clISt17integral_constantIbLb0EESQ_IbLb1EEEEDaSM_SN_EUlSM_E0_NS1_11comp_targetILNS1_3genE10ELNS1_11target_archE1200ELNS1_3gpuE4ELNS1_3repE0EEENS1_30default_config_static_selectorELNS0_4arch9wavefront6targetE1EEEvT1_
; %bb.0:
	.section	.rodata,"a",@progbits
	.p2align	6, 0x0
	.amdhsa_kernel _ZN7rocprim17ROCPRIM_400000_NS6detail17trampoline_kernelINS0_14default_configENS1_20scan_config_selectorIiEEZZNS1_9scan_implILNS1_25lookback_scan_determinismE0ELb0ELb0ES3_N6thrust23THRUST_200600_302600_NS10device_ptrIiEESB_iNS9_4plusIvEEiEEDaPvRmT3_T4_T5_mT6_P12ihipStream_tbENKUlT_T0_E_clISt17integral_constantIbLb0EESQ_IbLb1EEEEDaSM_SN_EUlSM_E0_NS1_11comp_targetILNS1_3genE10ELNS1_11target_archE1200ELNS1_3gpuE4ELNS1_3repE0EEENS1_30default_config_static_selectorELNS0_4arch9wavefront6targetE1EEEvT1_
		.amdhsa_group_segment_fixed_size 0
		.amdhsa_private_segment_fixed_size 0
		.amdhsa_kernarg_size 32
		.amdhsa_user_sgpr_count 6
		.amdhsa_user_sgpr_private_segment_buffer 1
		.amdhsa_user_sgpr_dispatch_ptr 0
		.amdhsa_user_sgpr_queue_ptr 0
		.amdhsa_user_sgpr_kernarg_segment_ptr 1
		.amdhsa_user_sgpr_dispatch_id 0
		.amdhsa_user_sgpr_flat_scratch_init 0
		.amdhsa_user_sgpr_kernarg_preload_length 0
		.amdhsa_user_sgpr_kernarg_preload_offset 0
		.amdhsa_user_sgpr_private_segment_size 0
		.amdhsa_uses_dynamic_stack 0
		.amdhsa_system_sgpr_private_segment_wavefront_offset 0
		.amdhsa_system_sgpr_workgroup_id_x 1
		.amdhsa_system_sgpr_workgroup_id_y 0
		.amdhsa_system_sgpr_workgroup_id_z 0
		.amdhsa_system_sgpr_workgroup_info 0
		.amdhsa_system_vgpr_workitem_id 0
		.amdhsa_next_free_vgpr 1
		.amdhsa_next_free_sgpr 0
		.amdhsa_accum_offset 4
		.amdhsa_reserve_vcc 0
		.amdhsa_reserve_flat_scratch 0
		.amdhsa_float_round_mode_32 0
		.amdhsa_float_round_mode_16_64 0
		.amdhsa_float_denorm_mode_32 3
		.amdhsa_float_denorm_mode_16_64 3
		.amdhsa_dx10_clamp 1
		.amdhsa_ieee_mode 1
		.amdhsa_fp16_overflow 0
		.amdhsa_tg_split 0
		.amdhsa_exception_fp_ieee_invalid_op 0
		.amdhsa_exception_fp_denorm_src 0
		.amdhsa_exception_fp_ieee_div_zero 0
		.amdhsa_exception_fp_ieee_overflow 0
		.amdhsa_exception_fp_ieee_underflow 0
		.amdhsa_exception_fp_ieee_inexact 0
		.amdhsa_exception_int_div_zero 0
	.end_amdhsa_kernel
	.section	.text._ZN7rocprim17ROCPRIM_400000_NS6detail17trampoline_kernelINS0_14default_configENS1_20scan_config_selectorIiEEZZNS1_9scan_implILNS1_25lookback_scan_determinismE0ELb0ELb0ES3_N6thrust23THRUST_200600_302600_NS10device_ptrIiEESB_iNS9_4plusIvEEiEEDaPvRmT3_T4_T5_mT6_P12ihipStream_tbENKUlT_T0_E_clISt17integral_constantIbLb0EESQ_IbLb1EEEEDaSM_SN_EUlSM_E0_NS1_11comp_targetILNS1_3genE10ELNS1_11target_archE1200ELNS1_3gpuE4ELNS1_3repE0EEENS1_30default_config_static_selectorELNS0_4arch9wavefront6targetE1EEEvT1_,"axG",@progbits,_ZN7rocprim17ROCPRIM_400000_NS6detail17trampoline_kernelINS0_14default_configENS1_20scan_config_selectorIiEEZZNS1_9scan_implILNS1_25lookback_scan_determinismE0ELb0ELb0ES3_N6thrust23THRUST_200600_302600_NS10device_ptrIiEESB_iNS9_4plusIvEEiEEDaPvRmT3_T4_T5_mT6_P12ihipStream_tbENKUlT_T0_E_clISt17integral_constantIbLb0EESQ_IbLb1EEEEDaSM_SN_EUlSM_E0_NS1_11comp_targetILNS1_3genE10ELNS1_11target_archE1200ELNS1_3gpuE4ELNS1_3repE0EEENS1_30default_config_static_selectorELNS0_4arch9wavefront6targetE1EEEvT1_,comdat
.Lfunc_end6819:
	.size	_ZN7rocprim17ROCPRIM_400000_NS6detail17trampoline_kernelINS0_14default_configENS1_20scan_config_selectorIiEEZZNS1_9scan_implILNS1_25lookback_scan_determinismE0ELb0ELb0ES3_N6thrust23THRUST_200600_302600_NS10device_ptrIiEESB_iNS9_4plusIvEEiEEDaPvRmT3_T4_T5_mT6_P12ihipStream_tbENKUlT_T0_E_clISt17integral_constantIbLb0EESQ_IbLb1EEEEDaSM_SN_EUlSM_E0_NS1_11comp_targetILNS1_3genE10ELNS1_11target_archE1200ELNS1_3gpuE4ELNS1_3repE0EEENS1_30default_config_static_selectorELNS0_4arch9wavefront6targetE1EEEvT1_, .Lfunc_end6819-_ZN7rocprim17ROCPRIM_400000_NS6detail17trampoline_kernelINS0_14default_configENS1_20scan_config_selectorIiEEZZNS1_9scan_implILNS1_25lookback_scan_determinismE0ELb0ELb0ES3_N6thrust23THRUST_200600_302600_NS10device_ptrIiEESB_iNS9_4plusIvEEiEEDaPvRmT3_T4_T5_mT6_P12ihipStream_tbENKUlT_T0_E_clISt17integral_constantIbLb0EESQ_IbLb1EEEEDaSM_SN_EUlSM_E0_NS1_11comp_targetILNS1_3genE10ELNS1_11target_archE1200ELNS1_3gpuE4ELNS1_3repE0EEENS1_30default_config_static_selectorELNS0_4arch9wavefront6targetE1EEEvT1_
                                        ; -- End function
	.section	.AMDGPU.csdata,"",@progbits
; Kernel info:
; codeLenInByte = 0
; NumSgprs: 4
; NumVgprs: 0
; NumAgprs: 0
; TotalNumVgprs: 0
; ScratchSize: 0
; MemoryBound: 0
; FloatMode: 240
; IeeeMode: 1
; LDSByteSize: 0 bytes/workgroup (compile time only)
; SGPRBlocks: 0
; VGPRBlocks: 0
; NumSGPRsForWavesPerEU: 4
; NumVGPRsForWavesPerEU: 1
; AccumOffset: 4
; Occupancy: 8
; WaveLimiterHint : 0
; COMPUTE_PGM_RSRC2:SCRATCH_EN: 0
; COMPUTE_PGM_RSRC2:USER_SGPR: 6
; COMPUTE_PGM_RSRC2:TRAP_HANDLER: 0
; COMPUTE_PGM_RSRC2:TGID_X_EN: 1
; COMPUTE_PGM_RSRC2:TGID_Y_EN: 0
; COMPUTE_PGM_RSRC2:TGID_Z_EN: 0
; COMPUTE_PGM_RSRC2:TIDIG_COMP_CNT: 0
; COMPUTE_PGM_RSRC3_GFX90A:ACCUM_OFFSET: 0
; COMPUTE_PGM_RSRC3_GFX90A:TG_SPLIT: 0
	.section	.text._ZN7rocprim17ROCPRIM_400000_NS6detail17trampoline_kernelINS0_14default_configENS1_20scan_config_selectorIiEEZZNS1_9scan_implILNS1_25lookback_scan_determinismE0ELb0ELb0ES3_N6thrust23THRUST_200600_302600_NS10device_ptrIiEESB_iNS9_4plusIvEEiEEDaPvRmT3_T4_T5_mT6_P12ihipStream_tbENKUlT_T0_E_clISt17integral_constantIbLb0EESQ_IbLb1EEEEDaSM_SN_EUlSM_E0_NS1_11comp_targetILNS1_3genE9ELNS1_11target_archE1100ELNS1_3gpuE3ELNS1_3repE0EEENS1_30default_config_static_selectorELNS0_4arch9wavefront6targetE1EEEvT1_,"axG",@progbits,_ZN7rocprim17ROCPRIM_400000_NS6detail17trampoline_kernelINS0_14default_configENS1_20scan_config_selectorIiEEZZNS1_9scan_implILNS1_25lookback_scan_determinismE0ELb0ELb0ES3_N6thrust23THRUST_200600_302600_NS10device_ptrIiEESB_iNS9_4plusIvEEiEEDaPvRmT3_T4_T5_mT6_P12ihipStream_tbENKUlT_T0_E_clISt17integral_constantIbLb0EESQ_IbLb1EEEEDaSM_SN_EUlSM_E0_NS1_11comp_targetILNS1_3genE9ELNS1_11target_archE1100ELNS1_3gpuE3ELNS1_3repE0EEENS1_30default_config_static_selectorELNS0_4arch9wavefront6targetE1EEEvT1_,comdat
	.protected	_ZN7rocprim17ROCPRIM_400000_NS6detail17trampoline_kernelINS0_14default_configENS1_20scan_config_selectorIiEEZZNS1_9scan_implILNS1_25lookback_scan_determinismE0ELb0ELb0ES3_N6thrust23THRUST_200600_302600_NS10device_ptrIiEESB_iNS9_4plusIvEEiEEDaPvRmT3_T4_T5_mT6_P12ihipStream_tbENKUlT_T0_E_clISt17integral_constantIbLb0EESQ_IbLb1EEEEDaSM_SN_EUlSM_E0_NS1_11comp_targetILNS1_3genE9ELNS1_11target_archE1100ELNS1_3gpuE3ELNS1_3repE0EEENS1_30default_config_static_selectorELNS0_4arch9wavefront6targetE1EEEvT1_ ; -- Begin function _ZN7rocprim17ROCPRIM_400000_NS6detail17trampoline_kernelINS0_14default_configENS1_20scan_config_selectorIiEEZZNS1_9scan_implILNS1_25lookback_scan_determinismE0ELb0ELb0ES3_N6thrust23THRUST_200600_302600_NS10device_ptrIiEESB_iNS9_4plusIvEEiEEDaPvRmT3_T4_T5_mT6_P12ihipStream_tbENKUlT_T0_E_clISt17integral_constantIbLb0EESQ_IbLb1EEEEDaSM_SN_EUlSM_E0_NS1_11comp_targetILNS1_3genE9ELNS1_11target_archE1100ELNS1_3gpuE3ELNS1_3repE0EEENS1_30default_config_static_selectorELNS0_4arch9wavefront6targetE1EEEvT1_
	.globl	_ZN7rocprim17ROCPRIM_400000_NS6detail17trampoline_kernelINS0_14default_configENS1_20scan_config_selectorIiEEZZNS1_9scan_implILNS1_25lookback_scan_determinismE0ELb0ELb0ES3_N6thrust23THRUST_200600_302600_NS10device_ptrIiEESB_iNS9_4plusIvEEiEEDaPvRmT3_T4_T5_mT6_P12ihipStream_tbENKUlT_T0_E_clISt17integral_constantIbLb0EESQ_IbLb1EEEEDaSM_SN_EUlSM_E0_NS1_11comp_targetILNS1_3genE9ELNS1_11target_archE1100ELNS1_3gpuE3ELNS1_3repE0EEENS1_30default_config_static_selectorELNS0_4arch9wavefront6targetE1EEEvT1_
	.p2align	8
	.type	_ZN7rocprim17ROCPRIM_400000_NS6detail17trampoline_kernelINS0_14default_configENS1_20scan_config_selectorIiEEZZNS1_9scan_implILNS1_25lookback_scan_determinismE0ELb0ELb0ES3_N6thrust23THRUST_200600_302600_NS10device_ptrIiEESB_iNS9_4plusIvEEiEEDaPvRmT3_T4_T5_mT6_P12ihipStream_tbENKUlT_T0_E_clISt17integral_constantIbLb0EESQ_IbLb1EEEEDaSM_SN_EUlSM_E0_NS1_11comp_targetILNS1_3genE9ELNS1_11target_archE1100ELNS1_3gpuE3ELNS1_3repE0EEENS1_30default_config_static_selectorELNS0_4arch9wavefront6targetE1EEEvT1_,@function
_ZN7rocprim17ROCPRIM_400000_NS6detail17trampoline_kernelINS0_14default_configENS1_20scan_config_selectorIiEEZZNS1_9scan_implILNS1_25lookback_scan_determinismE0ELb0ELb0ES3_N6thrust23THRUST_200600_302600_NS10device_ptrIiEESB_iNS9_4plusIvEEiEEDaPvRmT3_T4_T5_mT6_P12ihipStream_tbENKUlT_T0_E_clISt17integral_constantIbLb0EESQ_IbLb1EEEEDaSM_SN_EUlSM_E0_NS1_11comp_targetILNS1_3genE9ELNS1_11target_archE1100ELNS1_3gpuE3ELNS1_3repE0EEENS1_30default_config_static_selectorELNS0_4arch9wavefront6targetE1EEEvT1_: ; @_ZN7rocprim17ROCPRIM_400000_NS6detail17trampoline_kernelINS0_14default_configENS1_20scan_config_selectorIiEEZZNS1_9scan_implILNS1_25lookback_scan_determinismE0ELb0ELb0ES3_N6thrust23THRUST_200600_302600_NS10device_ptrIiEESB_iNS9_4plusIvEEiEEDaPvRmT3_T4_T5_mT6_P12ihipStream_tbENKUlT_T0_E_clISt17integral_constantIbLb0EESQ_IbLb1EEEEDaSM_SN_EUlSM_E0_NS1_11comp_targetILNS1_3genE9ELNS1_11target_archE1100ELNS1_3gpuE3ELNS1_3repE0EEENS1_30default_config_static_selectorELNS0_4arch9wavefront6targetE1EEEvT1_
; %bb.0:
	.section	.rodata,"a",@progbits
	.p2align	6, 0x0
	.amdhsa_kernel _ZN7rocprim17ROCPRIM_400000_NS6detail17trampoline_kernelINS0_14default_configENS1_20scan_config_selectorIiEEZZNS1_9scan_implILNS1_25lookback_scan_determinismE0ELb0ELb0ES3_N6thrust23THRUST_200600_302600_NS10device_ptrIiEESB_iNS9_4plusIvEEiEEDaPvRmT3_T4_T5_mT6_P12ihipStream_tbENKUlT_T0_E_clISt17integral_constantIbLb0EESQ_IbLb1EEEEDaSM_SN_EUlSM_E0_NS1_11comp_targetILNS1_3genE9ELNS1_11target_archE1100ELNS1_3gpuE3ELNS1_3repE0EEENS1_30default_config_static_selectorELNS0_4arch9wavefront6targetE1EEEvT1_
		.amdhsa_group_segment_fixed_size 0
		.amdhsa_private_segment_fixed_size 0
		.amdhsa_kernarg_size 32
		.amdhsa_user_sgpr_count 6
		.amdhsa_user_sgpr_private_segment_buffer 1
		.amdhsa_user_sgpr_dispatch_ptr 0
		.amdhsa_user_sgpr_queue_ptr 0
		.amdhsa_user_sgpr_kernarg_segment_ptr 1
		.amdhsa_user_sgpr_dispatch_id 0
		.amdhsa_user_sgpr_flat_scratch_init 0
		.amdhsa_user_sgpr_kernarg_preload_length 0
		.amdhsa_user_sgpr_kernarg_preload_offset 0
		.amdhsa_user_sgpr_private_segment_size 0
		.amdhsa_uses_dynamic_stack 0
		.amdhsa_system_sgpr_private_segment_wavefront_offset 0
		.amdhsa_system_sgpr_workgroup_id_x 1
		.amdhsa_system_sgpr_workgroup_id_y 0
		.amdhsa_system_sgpr_workgroup_id_z 0
		.amdhsa_system_sgpr_workgroup_info 0
		.amdhsa_system_vgpr_workitem_id 0
		.amdhsa_next_free_vgpr 1
		.amdhsa_next_free_sgpr 0
		.amdhsa_accum_offset 4
		.amdhsa_reserve_vcc 0
		.amdhsa_reserve_flat_scratch 0
		.amdhsa_float_round_mode_32 0
		.amdhsa_float_round_mode_16_64 0
		.amdhsa_float_denorm_mode_32 3
		.amdhsa_float_denorm_mode_16_64 3
		.amdhsa_dx10_clamp 1
		.amdhsa_ieee_mode 1
		.amdhsa_fp16_overflow 0
		.amdhsa_tg_split 0
		.amdhsa_exception_fp_ieee_invalid_op 0
		.amdhsa_exception_fp_denorm_src 0
		.amdhsa_exception_fp_ieee_div_zero 0
		.amdhsa_exception_fp_ieee_overflow 0
		.amdhsa_exception_fp_ieee_underflow 0
		.amdhsa_exception_fp_ieee_inexact 0
		.amdhsa_exception_int_div_zero 0
	.end_amdhsa_kernel
	.section	.text._ZN7rocprim17ROCPRIM_400000_NS6detail17trampoline_kernelINS0_14default_configENS1_20scan_config_selectorIiEEZZNS1_9scan_implILNS1_25lookback_scan_determinismE0ELb0ELb0ES3_N6thrust23THRUST_200600_302600_NS10device_ptrIiEESB_iNS9_4plusIvEEiEEDaPvRmT3_T4_T5_mT6_P12ihipStream_tbENKUlT_T0_E_clISt17integral_constantIbLb0EESQ_IbLb1EEEEDaSM_SN_EUlSM_E0_NS1_11comp_targetILNS1_3genE9ELNS1_11target_archE1100ELNS1_3gpuE3ELNS1_3repE0EEENS1_30default_config_static_selectorELNS0_4arch9wavefront6targetE1EEEvT1_,"axG",@progbits,_ZN7rocprim17ROCPRIM_400000_NS6detail17trampoline_kernelINS0_14default_configENS1_20scan_config_selectorIiEEZZNS1_9scan_implILNS1_25lookback_scan_determinismE0ELb0ELb0ES3_N6thrust23THRUST_200600_302600_NS10device_ptrIiEESB_iNS9_4plusIvEEiEEDaPvRmT3_T4_T5_mT6_P12ihipStream_tbENKUlT_T0_E_clISt17integral_constantIbLb0EESQ_IbLb1EEEEDaSM_SN_EUlSM_E0_NS1_11comp_targetILNS1_3genE9ELNS1_11target_archE1100ELNS1_3gpuE3ELNS1_3repE0EEENS1_30default_config_static_selectorELNS0_4arch9wavefront6targetE1EEEvT1_,comdat
.Lfunc_end6820:
	.size	_ZN7rocprim17ROCPRIM_400000_NS6detail17trampoline_kernelINS0_14default_configENS1_20scan_config_selectorIiEEZZNS1_9scan_implILNS1_25lookback_scan_determinismE0ELb0ELb0ES3_N6thrust23THRUST_200600_302600_NS10device_ptrIiEESB_iNS9_4plusIvEEiEEDaPvRmT3_T4_T5_mT6_P12ihipStream_tbENKUlT_T0_E_clISt17integral_constantIbLb0EESQ_IbLb1EEEEDaSM_SN_EUlSM_E0_NS1_11comp_targetILNS1_3genE9ELNS1_11target_archE1100ELNS1_3gpuE3ELNS1_3repE0EEENS1_30default_config_static_selectorELNS0_4arch9wavefront6targetE1EEEvT1_, .Lfunc_end6820-_ZN7rocprim17ROCPRIM_400000_NS6detail17trampoline_kernelINS0_14default_configENS1_20scan_config_selectorIiEEZZNS1_9scan_implILNS1_25lookback_scan_determinismE0ELb0ELb0ES3_N6thrust23THRUST_200600_302600_NS10device_ptrIiEESB_iNS9_4plusIvEEiEEDaPvRmT3_T4_T5_mT6_P12ihipStream_tbENKUlT_T0_E_clISt17integral_constantIbLb0EESQ_IbLb1EEEEDaSM_SN_EUlSM_E0_NS1_11comp_targetILNS1_3genE9ELNS1_11target_archE1100ELNS1_3gpuE3ELNS1_3repE0EEENS1_30default_config_static_selectorELNS0_4arch9wavefront6targetE1EEEvT1_
                                        ; -- End function
	.section	.AMDGPU.csdata,"",@progbits
; Kernel info:
; codeLenInByte = 0
; NumSgprs: 4
; NumVgprs: 0
; NumAgprs: 0
; TotalNumVgprs: 0
; ScratchSize: 0
; MemoryBound: 0
; FloatMode: 240
; IeeeMode: 1
; LDSByteSize: 0 bytes/workgroup (compile time only)
; SGPRBlocks: 0
; VGPRBlocks: 0
; NumSGPRsForWavesPerEU: 4
; NumVGPRsForWavesPerEU: 1
; AccumOffset: 4
; Occupancy: 8
; WaveLimiterHint : 0
; COMPUTE_PGM_RSRC2:SCRATCH_EN: 0
; COMPUTE_PGM_RSRC2:USER_SGPR: 6
; COMPUTE_PGM_RSRC2:TRAP_HANDLER: 0
; COMPUTE_PGM_RSRC2:TGID_X_EN: 1
; COMPUTE_PGM_RSRC2:TGID_Y_EN: 0
; COMPUTE_PGM_RSRC2:TGID_Z_EN: 0
; COMPUTE_PGM_RSRC2:TIDIG_COMP_CNT: 0
; COMPUTE_PGM_RSRC3_GFX90A:ACCUM_OFFSET: 0
; COMPUTE_PGM_RSRC3_GFX90A:TG_SPLIT: 0
	.section	.text._ZN7rocprim17ROCPRIM_400000_NS6detail17trampoline_kernelINS0_14default_configENS1_20scan_config_selectorIiEEZZNS1_9scan_implILNS1_25lookback_scan_determinismE0ELb0ELb0ES3_N6thrust23THRUST_200600_302600_NS10device_ptrIiEESB_iNS9_4plusIvEEiEEDaPvRmT3_T4_T5_mT6_P12ihipStream_tbENKUlT_T0_E_clISt17integral_constantIbLb0EESQ_IbLb1EEEEDaSM_SN_EUlSM_E0_NS1_11comp_targetILNS1_3genE8ELNS1_11target_archE1030ELNS1_3gpuE2ELNS1_3repE0EEENS1_30default_config_static_selectorELNS0_4arch9wavefront6targetE1EEEvT1_,"axG",@progbits,_ZN7rocprim17ROCPRIM_400000_NS6detail17trampoline_kernelINS0_14default_configENS1_20scan_config_selectorIiEEZZNS1_9scan_implILNS1_25lookback_scan_determinismE0ELb0ELb0ES3_N6thrust23THRUST_200600_302600_NS10device_ptrIiEESB_iNS9_4plusIvEEiEEDaPvRmT3_T4_T5_mT6_P12ihipStream_tbENKUlT_T0_E_clISt17integral_constantIbLb0EESQ_IbLb1EEEEDaSM_SN_EUlSM_E0_NS1_11comp_targetILNS1_3genE8ELNS1_11target_archE1030ELNS1_3gpuE2ELNS1_3repE0EEENS1_30default_config_static_selectorELNS0_4arch9wavefront6targetE1EEEvT1_,comdat
	.protected	_ZN7rocprim17ROCPRIM_400000_NS6detail17trampoline_kernelINS0_14default_configENS1_20scan_config_selectorIiEEZZNS1_9scan_implILNS1_25lookback_scan_determinismE0ELb0ELb0ES3_N6thrust23THRUST_200600_302600_NS10device_ptrIiEESB_iNS9_4plusIvEEiEEDaPvRmT3_T4_T5_mT6_P12ihipStream_tbENKUlT_T0_E_clISt17integral_constantIbLb0EESQ_IbLb1EEEEDaSM_SN_EUlSM_E0_NS1_11comp_targetILNS1_3genE8ELNS1_11target_archE1030ELNS1_3gpuE2ELNS1_3repE0EEENS1_30default_config_static_selectorELNS0_4arch9wavefront6targetE1EEEvT1_ ; -- Begin function _ZN7rocprim17ROCPRIM_400000_NS6detail17trampoline_kernelINS0_14default_configENS1_20scan_config_selectorIiEEZZNS1_9scan_implILNS1_25lookback_scan_determinismE0ELb0ELb0ES3_N6thrust23THRUST_200600_302600_NS10device_ptrIiEESB_iNS9_4plusIvEEiEEDaPvRmT3_T4_T5_mT6_P12ihipStream_tbENKUlT_T0_E_clISt17integral_constantIbLb0EESQ_IbLb1EEEEDaSM_SN_EUlSM_E0_NS1_11comp_targetILNS1_3genE8ELNS1_11target_archE1030ELNS1_3gpuE2ELNS1_3repE0EEENS1_30default_config_static_selectorELNS0_4arch9wavefront6targetE1EEEvT1_
	.globl	_ZN7rocprim17ROCPRIM_400000_NS6detail17trampoline_kernelINS0_14default_configENS1_20scan_config_selectorIiEEZZNS1_9scan_implILNS1_25lookback_scan_determinismE0ELb0ELb0ES3_N6thrust23THRUST_200600_302600_NS10device_ptrIiEESB_iNS9_4plusIvEEiEEDaPvRmT3_T4_T5_mT6_P12ihipStream_tbENKUlT_T0_E_clISt17integral_constantIbLb0EESQ_IbLb1EEEEDaSM_SN_EUlSM_E0_NS1_11comp_targetILNS1_3genE8ELNS1_11target_archE1030ELNS1_3gpuE2ELNS1_3repE0EEENS1_30default_config_static_selectorELNS0_4arch9wavefront6targetE1EEEvT1_
	.p2align	8
	.type	_ZN7rocprim17ROCPRIM_400000_NS6detail17trampoline_kernelINS0_14default_configENS1_20scan_config_selectorIiEEZZNS1_9scan_implILNS1_25lookback_scan_determinismE0ELb0ELb0ES3_N6thrust23THRUST_200600_302600_NS10device_ptrIiEESB_iNS9_4plusIvEEiEEDaPvRmT3_T4_T5_mT6_P12ihipStream_tbENKUlT_T0_E_clISt17integral_constantIbLb0EESQ_IbLb1EEEEDaSM_SN_EUlSM_E0_NS1_11comp_targetILNS1_3genE8ELNS1_11target_archE1030ELNS1_3gpuE2ELNS1_3repE0EEENS1_30default_config_static_selectorELNS0_4arch9wavefront6targetE1EEEvT1_,@function
_ZN7rocprim17ROCPRIM_400000_NS6detail17trampoline_kernelINS0_14default_configENS1_20scan_config_selectorIiEEZZNS1_9scan_implILNS1_25lookback_scan_determinismE0ELb0ELb0ES3_N6thrust23THRUST_200600_302600_NS10device_ptrIiEESB_iNS9_4plusIvEEiEEDaPvRmT3_T4_T5_mT6_P12ihipStream_tbENKUlT_T0_E_clISt17integral_constantIbLb0EESQ_IbLb1EEEEDaSM_SN_EUlSM_E0_NS1_11comp_targetILNS1_3genE8ELNS1_11target_archE1030ELNS1_3gpuE2ELNS1_3repE0EEENS1_30default_config_static_selectorELNS0_4arch9wavefront6targetE1EEEvT1_: ; @_ZN7rocprim17ROCPRIM_400000_NS6detail17trampoline_kernelINS0_14default_configENS1_20scan_config_selectorIiEEZZNS1_9scan_implILNS1_25lookback_scan_determinismE0ELb0ELb0ES3_N6thrust23THRUST_200600_302600_NS10device_ptrIiEESB_iNS9_4plusIvEEiEEDaPvRmT3_T4_T5_mT6_P12ihipStream_tbENKUlT_T0_E_clISt17integral_constantIbLb0EESQ_IbLb1EEEEDaSM_SN_EUlSM_E0_NS1_11comp_targetILNS1_3genE8ELNS1_11target_archE1030ELNS1_3gpuE2ELNS1_3repE0EEENS1_30default_config_static_selectorELNS0_4arch9wavefront6targetE1EEEvT1_
; %bb.0:
	.section	.rodata,"a",@progbits
	.p2align	6, 0x0
	.amdhsa_kernel _ZN7rocprim17ROCPRIM_400000_NS6detail17trampoline_kernelINS0_14default_configENS1_20scan_config_selectorIiEEZZNS1_9scan_implILNS1_25lookback_scan_determinismE0ELb0ELb0ES3_N6thrust23THRUST_200600_302600_NS10device_ptrIiEESB_iNS9_4plusIvEEiEEDaPvRmT3_T4_T5_mT6_P12ihipStream_tbENKUlT_T0_E_clISt17integral_constantIbLb0EESQ_IbLb1EEEEDaSM_SN_EUlSM_E0_NS1_11comp_targetILNS1_3genE8ELNS1_11target_archE1030ELNS1_3gpuE2ELNS1_3repE0EEENS1_30default_config_static_selectorELNS0_4arch9wavefront6targetE1EEEvT1_
		.amdhsa_group_segment_fixed_size 0
		.amdhsa_private_segment_fixed_size 0
		.amdhsa_kernarg_size 32
		.amdhsa_user_sgpr_count 6
		.amdhsa_user_sgpr_private_segment_buffer 1
		.amdhsa_user_sgpr_dispatch_ptr 0
		.amdhsa_user_sgpr_queue_ptr 0
		.amdhsa_user_sgpr_kernarg_segment_ptr 1
		.amdhsa_user_sgpr_dispatch_id 0
		.amdhsa_user_sgpr_flat_scratch_init 0
		.amdhsa_user_sgpr_kernarg_preload_length 0
		.amdhsa_user_sgpr_kernarg_preload_offset 0
		.amdhsa_user_sgpr_private_segment_size 0
		.amdhsa_uses_dynamic_stack 0
		.amdhsa_system_sgpr_private_segment_wavefront_offset 0
		.amdhsa_system_sgpr_workgroup_id_x 1
		.amdhsa_system_sgpr_workgroup_id_y 0
		.amdhsa_system_sgpr_workgroup_id_z 0
		.amdhsa_system_sgpr_workgroup_info 0
		.amdhsa_system_vgpr_workitem_id 0
		.amdhsa_next_free_vgpr 1
		.amdhsa_next_free_sgpr 0
		.amdhsa_accum_offset 4
		.amdhsa_reserve_vcc 0
		.amdhsa_reserve_flat_scratch 0
		.amdhsa_float_round_mode_32 0
		.amdhsa_float_round_mode_16_64 0
		.amdhsa_float_denorm_mode_32 3
		.amdhsa_float_denorm_mode_16_64 3
		.amdhsa_dx10_clamp 1
		.amdhsa_ieee_mode 1
		.amdhsa_fp16_overflow 0
		.amdhsa_tg_split 0
		.amdhsa_exception_fp_ieee_invalid_op 0
		.amdhsa_exception_fp_denorm_src 0
		.amdhsa_exception_fp_ieee_div_zero 0
		.amdhsa_exception_fp_ieee_overflow 0
		.amdhsa_exception_fp_ieee_underflow 0
		.amdhsa_exception_fp_ieee_inexact 0
		.amdhsa_exception_int_div_zero 0
	.end_amdhsa_kernel
	.section	.text._ZN7rocprim17ROCPRIM_400000_NS6detail17trampoline_kernelINS0_14default_configENS1_20scan_config_selectorIiEEZZNS1_9scan_implILNS1_25lookback_scan_determinismE0ELb0ELb0ES3_N6thrust23THRUST_200600_302600_NS10device_ptrIiEESB_iNS9_4plusIvEEiEEDaPvRmT3_T4_T5_mT6_P12ihipStream_tbENKUlT_T0_E_clISt17integral_constantIbLb0EESQ_IbLb1EEEEDaSM_SN_EUlSM_E0_NS1_11comp_targetILNS1_3genE8ELNS1_11target_archE1030ELNS1_3gpuE2ELNS1_3repE0EEENS1_30default_config_static_selectorELNS0_4arch9wavefront6targetE1EEEvT1_,"axG",@progbits,_ZN7rocprim17ROCPRIM_400000_NS6detail17trampoline_kernelINS0_14default_configENS1_20scan_config_selectorIiEEZZNS1_9scan_implILNS1_25lookback_scan_determinismE0ELb0ELb0ES3_N6thrust23THRUST_200600_302600_NS10device_ptrIiEESB_iNS9_4plusIvEEiEEDaPvRmT3_T4_T5_mT6_P12ihipStream_tbENKUlT_T0_E_clISt17integral_constantIbLb0EESQ_IbLb1EEEEDaSM_SN_EUlSM_E0_NS1_11comp_targetILNS1_3genE8ELNS1_11target_archE1030ELNS1_3gpuE2ELNS1_3repE0EEENS1_30default_config_static_selectorELNS0_4arch9wavefront6targetE1EEEvT1_,comdat
.Lfunc_end6821:
	.size	_ZN7rocprim17ROCPRIM_400000_NS6detail17trampoline_kernelINS0_14default_configENS1_20scan_config_selectorIiEEZZNS1_9scan_implILNS1_25lookback_scan_determinismE0ELb0ELb0ES3_N6thrust23THRUST_200600_302600_NS10device_ptrIiEESB_iNS9_4plusIvEEiEEDaPvRmT3_T4_T5_mT6_P12ihipStream_tbENKUlT_T0_E_clISt17integral_constantIbLb0EESQ_IbLb1EEEEDaSM_SN_EUlSM_E0_NS1_11comp_targetILNS1_3genE8ELNS1_11target_archE1030ELNS1_3gpuE2ELNS1_3repE0EEENS1_30default_config_static_selectorELNS0_4arch9wavefront6targetE1EEEvT1_, .Lfunc_end6821-_ZN7rocprim17ROCPRIM_400000_NS6detail17trampoline_kernelINS0_14default_configENS1_20scan_config_selectorIiEEZZNS1_9scan_implILNS1_25lookback_scan_determinismE0ELb0ELb0ES3_N6thrust23THRUST_200600_302600_NS10device_ptrIiEESB_iNS9_4plusIvEEiEEDaPvRmT3_T4_T5_mT6_P12ihipStream_tbENKUlT_T0_E_clISt17integral_constantIbLb0EESQ_IbLb1EEEEDaSM_SN_EUlSM_E0_NS1_11comp_targetILNS1_3genE8ELNS1_11target_archE1030ELNS1_3gpuE2ELNS1_3repE0EEENS1_30default_config_static_selectorELNS0_4arch9wavefront6targetE1EEEvT1_
                                        ; -- End function
	.section	.AMDGPU.csdata,"",@progbits
; Kernel info:
; codeLenInByte = 0
; NumSgprs: 4
; NumVgprs: 0
; NumAgprs: 0
; TotalNumVgprs: 0
; ScratchSize: 0
; MemoryBound: 0
; FloatMode: 240
; IeeeMode: 1
; LDSByteSize: 0 bytes/workgroup (compile time only)
; SGPRBlocks: 0
; VGPRBlocks: 0
; NumSGPRsForWavesPerEU: 4
; NumVGPRsForWavesPerEU: 1
; AccumOffset: 4
; Occupancy: 8
; WaveLimiterHint : 0
; COMPUTE_PGM_RSRC2:SCRATCH_EN: 0
; COMPUTE_PGM_RSRC2:USER_SGPR: 6
; COMPUTE_PGM_RSRC2:TRAP_HANDLER: 0
; COMPUTE_PGM_RSRC2:TGID_X_EN: 1
; COMPUTE_PGM_RSRC2:TGID_Y_EN: 0
; COMPUTE_PGM_RSRC2:TGID_Z_EN: 0
; COMPUTE_PGM_RSRC2:TIDIG_COMP_CNT: 0
; COMPUTE_PGM_RSRC3_GFX90A:ACCUM_OFFSET: 0
; COMPUTE_PGM_RSRC3_GFX90A:TG_SPLIT: 0
	.section	.text._ZN7rocprim17ROCPRIM_400000_NS6detail17trampoline_kernelINS0_14default_configENS1_20scan_config_selectorIiEEZZNS1_9scan_implILNS1_25lookback_scan_determinismE0ELb1ELb1ES3_N6thrust23THRUST_200600_302600_NS10device_ptrIiEESB_iNS9_4plusIvEEiEEDaPvRmT3_T4_T5_mT6_P12ihipStream_tbENKUlT_T0_E_clISt17integral_constantIbLb0EESR_EEDaSM_SN_EUlSM_E_NS1_11comp_targetILNS1_3genE0ELNS1_11target_archE4294967295ELNS1_3gpuE0ELNS1_3repE0EEENS1_30default_config_static_selectorELNS0_4arch9wavefront6targetE1EEEvT1_,"axG",@progbits,_ZN7rocprim17ROCPRIM_400000_NS6detail17trampoline_kernelINS0_14default_configENS1_20scan_config_selectorIiEEZZNS1_9scan_implILNS1_25lookback_scan_determinismE0ELb1ELb1ES3_N6thrust23THRUST_200600_302600_NS10device_ptrIiEESB_iNS9_4plusIvEEiEEDaPvRmT3_T4_T5_mT6_P12ihipStream_tbENKUlT_T0_E_clISt17integral_constantIbLb0EESR_EEDaSM_SN_EUlSM_E_NS1_11comp_targetILNS1_3genE0ELNS1_11target_archE4294967295ELNS1_3gpuE0ELNS1_3repE0EEENS1_30default_config_static_selectorELNS0_4arch9wavefront6targetE1EEEvT1_,comdat
	.protected	_ZN7rocprim17ROCPRIM_400000_NS6detail17trampoline_kernelINS0_14default_configENS1_20scan_config_selectorIiEEZZNS1_9scan_implILNS1_25lookback_scan_determinismE0ELb1ELb1ES3_N6thrust23THRUST_200600_302600_NS10device_ptrIiEESB_iNS9_4plusIvEEiEEDaPvRmT3_T4_T5_mT6_P12ihipStream_tbENKUlT_T0_E_clISt17integral_constantIbLb0EESR_EEDaSM_SN_EUlSM_E_NS1_11comp_targetILNS1_3genE0ELNS1_11target_archE4294967295ELNS1_3gpuE0ELNS1_3repE0EEENS1_30default_config_static_selectorELNS0_4arch9wavefront6targetE1EEEvT1_ ; -- Begin function _ZN7rocprim17ROCPRIM_400000_NS6detail17trampoline_kernelINS0_14default_configENS1_20scan_config_selectorIiEEZZNS1_9scan_implILNS1_25lookback_scan_determinismE0ELb1ELb1ES3_N6thrust23THRUST_200600_302600_NS10device_ptrIiEESB_iNS9_4plusIvEEiEEDaPvRmT3_T4_T5_mT6_P12ihipStream_tbENKUlT_T0_E_clISt17integral_constantIbLb0EESR_EEDaSM_SN_EUlSM_E_NS1_11comp_targetILNS1_3genE0ELNS1_11target_archE4294967295ELNS1_3gpuE0ELNS1_3repE0EEENS1_30default_config_static_selectorELNS0_4arch9wavefront6targetE1EEEvT1_
	.globl	_ZN7rocprim17ROCPRIM_400000_NS6detail17trampoline_kernelINS0_14default_configENS1_20scan_config_selectorIiEEZZNS1_9scan_implILNS1_25lookback_scan_determinismE0ELb1ELb1ES3_N6thrust23THRUST_200600_302600_NS10device_ptrIiEESB_iNS9_4plusIvEEiEEDaPvRmT3_T4_T5_mT6_P12ihipStream_tbENKUlT_T0_E_clISt17integral_constantIbLb0EESR_EEDaSM_SN_EUlSM_E_NS1_11comp_targetILNS1_3genE0ELNS1_11target_archE4294967295ELNS1_3gpuE0ELNS1_3repE0EEENS1_30default_config_static_selectorELNS0_4arch9wavefront6targetE1EEEvT1_
	.p2align	8
	.type	_ZN7rocprim17ROCPRIM_400000_NS6detail17trampoline_kernelINS0_14default_configENS1_20scan_config_selectorIiEEZZNS1_9scan_implILNS1_25lookback_scan_determinismE0ELb1ELb1ES3_N6thrust23THRUST_200600_302600_NS10device_ptrIiEESB_iNS9_4plusIvEEiEEDaPvRmT3_T4_T5_mT6_P12ihipStream_tbENKUlT_T0_E_clISt17integral_constantIbLb0EESR_EEDaSM_SN_EUlSM_E_NS1_11comp_targetILNS1_3genE0ELNS1_11target_archE4294967295ELNS1_3gpuE0ELNS1_3repE0EEENS1_30default_config_static_selectorELNS0_4arch9wavefront6targetE1EEEvT1_,@function
_ZN7rocprim17ROCPRIM_400000_NS6detail17trampoline_kernelINS0_14default_configENS1_20scan_config_selectorIiEEZZNS1_9scan_implILNS1_25lookback_scan_determinismE0ELb1ELb1ES3_N6thrust23THRUST_200600_302600_NS10device_ptrIiEESB_iNS9_4plusIvEEiEEDaPvRmT3_T4_T5_mT6_P12ihipStream_tbENKUlT_T0_E_clISt17integral_constantIbLb0EESR_EEDaSM_SN_EUlSM_E_NS1_11comp_targetILNS1_3genE0ELNS1_11target_archE4294967295ELNS1_3gpuE0ELNS1_3repE0EEENS1_30default_config_static_selectorELNS0_4arch9wavefront6targetE1EEEvT1_: ; @_ZN7rocprim17ROCPRIM_400000_NS6detail17trampoline_kernelINS0_14default_configENS1_20scan_config_selectorIiEEZZNS1_9scan_implILNS1_25lookback_scan_determinismE0ELb1ELb1ES3_N6thrust23THRUST_200600_302600_NS10device_ptrIiEESB_iNS9_4plusIvEEiEEDaPvRmT3_T4_T5_mT6_P12ihipStream_tbENKUlT_T0_E_clISt17integral_constantIbLb0EESR_EEDaSM_SN_EUlSM_E_NS1_11comp_targetILNS1_3genE0ELNS1_11target_archE4294967295ELNS1_3gpuE0ELNS1_3repE0EEENS1_30default_config_static_selectorELNS0_4arch9wavefront6targetE1EEEvT1_
; %bb.0:
	.section	.rodata,"a",@progbits
	.p2align	6, 0x0
	.amdhsa_kernel _ZN7rocprim17ROCPRIM_400000_NS6detail17trampoline_kernelINS0_14default_configENS1_20scan_config_selectorIiEEZZNS1_9scan_implILNS1_25lookback_scan_determinismE0ELb1ELb1ES3_N6thrust23THRUST_200600_302600_NS10device_ptrIiEESB_iNS9_4plusIvEEiEEDaPvRmT3_T4_T5_mT6_P12ihipStream_tbENKUlT_T0_E_clISt17integral_constantIbLb0EESR_EEDaSM_SN_EUlSM_E_NS1_11comp_targetILNS1_3genE0ELNS1_11target_archE4294967295ELNS1_3gpuE0ELNS1_3repE0EEENS1_30default_config_static_selectorELNS0_4arch9wavefront6targetE1EEEvT1_
		.amdhsa_group_segment_fixed_size 0
		.amdhsa_private_segment_fixed_size 0
		.amdhsa_kernarg_size 96
		.amdhsa_user_sgpr_count 6
		.amdhsa_user_sgpr_private_segment_buffer 1
		.amdhsa_user_sgpr_dispatch_ptr 0
		.amdhsa_user_sgpr_queue_ptr 0
		.amdhsa_user_sgpr_kernarg_segment_ptr 1
		.amdhsa_user_sgpr_dispatch_id 0
		.amdhsa_user_sgpr_flat_scratch_init 0
		.amdhsa_user_sgpr_kernarg_preload_length 0
		.amdhsa_user_sgpr_kernarg_preload_offset 0
		.amdhsa_user_sgpr_private_segment_size 0
		.amdhsa_uses_dynamic_stack 0
		.amdhsa_system_sgpr_private_segment_wavefront_offset 0
		.amdhsa_system_sgpr_workgroup_id_x 1
		.amdhsa_system_sgpr_workgroup_id_y 0
		.amdhsa_system_sgpr_workgroup_id_z 0
		.amdhsa_system_sgpr_workgroup_info 0
		.amdhsa_system_vgpr_workitem_id 0
		.amdhsa_next_free_vgpr 1
		.amdhsa_next_free_sgpr 0
		.amdhsa_accum_offset 4
		.amdhsa_reserve_vcc 0
		.amdhsa_reserve_flat_scratch 0
		.amdhsa_float_round_mode_32 0
		.amdhsa_float_round_mode_16_64 0
		.amdhsa_float_denorm_mode_32 3
		.amdhsa_float_denorm_mode_16_64 3
		.amdhsa_dx10_clamp 1
		.amdhsa_ieee_mode 1
		.amdhsa_fp16_overflow 0
		.amdhsa_tg_split 0
		.amdhsa_exception_fp_ieee_invalid_op 0
		.amdhsa_exception_fp_denorm_src 0
		.amdhsa_exception_fp_ieee_div_zero 0
		.amdhsa_exception_fp_ieee_overflow 0
		.amdhsa_exception_fp_ieee_underflow 0
		.amdhsa_exception_fp_ieee_inexact 0
		.amdhsa_exception_int_div_zero 0
	.end_amdhsa_kernel
	.section	.text._ZN7rocprim17ROCPRIM_400000_NS6detail17trampoline_kernelINS0_14default_configENS1_20scan_config_selectorIiEEZZNS1_9scan_implILNS1_25lookback_scan_determinismE0ELb1ELb1ES3_N6thrust23THRUST_200600_302600_NS10device_ptrIiEESB_iNS9_4plusIvEEiEEDaPvRmT3_T4_T5_mT6_P12ihipStream_tbENKUlT_T0_E_clISt17integral_constantIbLb0EESR_EEDaSM_SN_EUlSM_E_NS1_11comp_targetILNS1_3genE0ELNS1_11target_archE4294967295ELNS1_3gpuE0ELNS1_3repE0EEENS1_30default_config_static_selectorELNS0_4arch9wavefront6targetE1EEEvT1_,"axG",@progbits,_ZN7rocprim17ROCPRIM_400000_NS6detail17trampoline_kernelINS0_14default_configENS1_20scan_config_selectorIiEEZZNS1_9scan_implILNS1_25lookback_scan_determinismE0ELb1ELb1ES3_N6thrust23THRUST_200600_302600_NS10device_ptrIiEESB_iNS9_4plusIvEEiEEDaPvRmT3_T4_T5_mT6_P12ihipStream_tbENKUlT_T0_E_clISt17integral_constantIbLb0EESR_EEDaSM_SN_EUlSM_E_NS1_11comp_targetILNS1_3genE0ELNS1_11target_archE4294967295ELNS1_3gpuE0ELNS1_3repE0EEENS1_30default_config_static_selectorELNS0_4arch9wavefront6targetE1EEEvT1_,comdat
.Lfunc_end6822:
	.size	_ZN7rocprim17ROCPRIM_400000_NS6detail17trampoline_kernelINS0_14default_configENS1_20scan_config_selectorIiEEZZNS1_9scan_implILNS1_25lookback_scan_determinismE0ELb1ELb1ES3_N6thrust23THRUST_200600_302600_NS10device_ptrIiEESB_iNS9_4plusIvEEiEEDaPvRmT3_T4_T5_mT6_P12ihipStream_tbENKUlT_T0_E_clISt17integral_constantIbLb0EESR_EEDaSM_SN_EUlSM_E_NS1_11comp_targetILNS1_3genE0ELNS1_11target_archE4294967295ELNS1_3gpuE0ELNS1_3repE0EEENS1_30default_config_static_selectorELNS0_4arch9wavefront6targetE1EEEvT1_, .Lfunc_end6822-_ZN7rocprim17ROCPRIM_400000_NS6detail17trampoline_kernelINS0_14default_configENS1_20scan_config_selectorIiEEZZNS1_9scan_implILNS1_25lookback_scan_determinismE0ELb1ELb1ES3_N6thrust23THRUST_200600_302600_NS10device_ptrIiEESB_iNS9_4plusIvEEiEEDaPvRmT3_T4_T5_mT6_P12ihipStream_tbENKUlT_T0_E_clISt17integral_constantIbLb0EESR_EEDaSM_SN_EUlSM_E_NS1_11comp_targetILNS1_3genE0ELNS1_11target_archE4294967295ELNS1_3gpuE0ELNS1_3repE0EEENS1_30default_config_static_selectorELNS0_4arch9wavefront6targetE1EEEvT1_
                                        ; -- End function
	.section	.AMDGPU.csdata,"",@progbits
; Kernel info:
; codeLenInByte = 0
; NumSgprs: 4
; NumVgprs: 0
; NumAgprs: 0
; TotalNumVgprs: 0
; ScratchSize: 0
; MemoryBound: 0
; FloatMode: 240
; IeeeMode: 1
; LDSByteSize: 0 bytes/workgroup (compile time only)
; SGPRBlocks: 0
; VGPRBlocks: 0
; NumSGPRsForWavesPerEU: 4
; NumVGPRsForWavesPerEU: 1
; AccumOffset: 4
; Occupancy: 8
; WaveLimiterHint : 0
; COMPUTE_PGM_RSRC2:SCRATCH_EN: 0
; COMPUTE_PGM_RSRC2:USER_SGPR: 6
; COMPUTE_PGM_RSRC2:TRAP_HANDLER: 0
; COMPUTE_PGM_RSRC2:TGID_X_EN: 1
; COMPUTE_PGM_RSRC2:TGID_Y_EN: 0
; COMPUTE_PGM_RSRC2:TGID_Z_EN: 0
; COMPUTE_PGM_RSRC2:TIDIG_COMP_CNT: 0
; COMPUTE_PGM_RSRC3_GFX90A:ACCUM_OFFSET: 0
; COMPUTE_PGM_RSRC3_GFX90A:TG_SPLIT: 0
	.section	.text._ZN7rocprim17ROCPRIM_400000_NS6detail17trampoline_kernelINS0_14default_configENS1_20scan_config_selectorIiEEZZNS1_9scan_implILNS1_25lookback_scan_determinismE0ELb1ELb1ES3_N6thrust23THRUST_200600_302600_NS10device_ptrIiEESB_iNS9_4plusIvEEiEEDaPvRmT3_T4_T5_mT6_P12ihipStream_tbENKUlT_T0_E_clISt17integral_constantIbLb0EESR_EEDaSM_SN_EUlSM_E_NS1_11comp_targetILNS1_3genE5ELNS1_11target_archE942ELNS1_3gpuE9ELNS1_3repE0EEENS1_30default_config_static_selectorELNS0_4arch9wavefront6targetE1EEEvT1_,"axG",@progbits,_ZN7rocprim17ROCPRIM_400000_NS6detail17trampoline_kernelINS0_14default_configENS1_20scan_config_selectorIiEEZZNS1_9scan_implILNS1_25lookback_scan_determinismE0ELb1ELb1ES3_N6thrust23THRUST_200600_302600_NS10device_ptrIiEESB_iNS9_4plusIvEEiEEDaPvRmT3_T4_T5_mT6_P12ihipStream_tbENKUlT_T0_E_clISt17integral_constantIbLb0EESR_EEDaSM_SN_EUlSM_E_NS1_11comp_targetILNS1_3genE5ELNS1_11target_archE942ELNS1_3gpuE9ELNS1_3repE0EEENS1_30default_config_static_selectorELNS0_4arch9wavefront6targetE1EEEvT1_,comdat
	.protected	_ZN7rocprim17ROCPRIM_400000_NS6detail17trampoline_kernelINS0_14default_configENS1_20scan_config_selectorIiEEZZNS1_9scan_implILNS1_25lookback_scan_determinismE0ELb1ELb1ES3_N6thrust23THRUST_200600_302600_NS10device_ptrIiEESB_iNS9_4plusIvEEiEEDaPvRmT3_T4_T5_mT6_P12ihipStream_tbENKUlT_T0_E_clISt17integral_constantIbLb0EESR_EEDaSM_SN_EUlSM_E_NS1_11comp_targetILNS1_3genE5ELNS1_11target_archE942ELNS1_3gpuE9ELNS1_3repE0EEENS1_30default_config_static_selectorELNS0_4arch9wavefront6targetE1EEEvT1_ ; -- Begin function _ZN7rocprim17ROCPRIM_400000_NS6detail17trampoline_kernelINS0_14default_configENS1_20scan_config_selectorIiEEZZNS1_9scan_implILNS1_25lookback_scan_determinismE0ELb1ELb1ES3_N6thrust23THRUST_200600_302600_NS10device_ptrIiEESB_iNS9_4plusIvEEiEEDaPvRmT3_T4_T5_mT6_P12ihipStream_tbENKUlT_T0_E_clISt17integral_constantIbLb0EESR_EEDaSM_SN_EUlSM_E_NS1_11comp_targetILNS1_3genE5ELNS1_11target_archE942ELNS1_3gpuE9ELNS1_3repE0EEENS1_30default_config_static_selectorELNS0_4arch9wavefront6targetE1EEEvT1_
	.globl	_ZN7rocprim17ROCPRIM_400000_NS6detail17trampoline_kernelINS0_14default_configENS1_20scan_config_selectorIiEEZZNS1_9scan_implILNS1_25lookback_scan_determinismE0ELb1ELb1ES3_N6thrust23THRUST_200600_302600_NS10device_ptrIiEESB_iNS9_4plusIvEEiEEDaPvRmT3_T4_T5_mT6_P12ihipStream_tbENKUlT_T0_E_clISt17integral_constantIbLb0EESR_EEDaSM_SN_EUlSM_E_NS1_11comp_targetILNS1_3genE5ELNS1_11target_archE942ELNS1_3gpuE9ELNS1_3repE0EEENS1_30default_config_static_selectorELNS0_4arch9wavefront6targetE1EEEvT1_
	.p2align	8
	.type	_ZN7rocprim17ROCPRIM_400000_NS6detail17trampoline_kernelINS0_14default_configENS1_20scan_config_selectorIiEEZZNS1_9scan_implILNS1_25lookback_scan_determinismE0ELb1ELb1ES3_N6thrust23THRUST_200600_302600_NS10device_ptrIiEESB_iNS9_4plusIvEEiEEDaPvRmT3_T4_T5_mT6_P12ihipStream_tbENKUlT_T0_E_clISt17integral_constantIbLb0EESR_EEDaSM_SN_EUlSM_E_NS1_11comp_targetILNS1_3genE5ELNS1_11target_archE942ELNS1_3gpuE9ELNS1_3repE0EEENS1_30default_config_static_selectorELNS0_4arch9wavefront6targetE1EEEvT1_,@function
_ZN7rocprim17ROCPRIM_400000_NS6detail17trampoline_kernelINS0_14default_configENS1_20scan_config_selectorIiEEZZNS1_9scan_implILNS1_25lookback_scan_determinismE0ELb1ELb1ES3_N6thrust23THRUST_200600_302600_NS10device_ptrIiEESB_iNS9_4plusIvEEiEEDaPvRmT3_T4_T5_mT6_P12ihipStream_tbENKUlT_T0_E_clISt17integral_constantIbLb0EESR_EEDaSM_SN_EUlSM_E_NS1_11comp_targetILNS1_3genE5ELNS1_11target_archE942ELNS1_3gpuE9ELNS1_3repE0EEENS1_30default_config_static_selectorELNS0_4arch9wavefront6targetE1EEEvT1_: ; @_ZN7rocprim17ROCPRIM_400000_NS6detail17trampoline_kernelINS0_14default_configENS1_20scan_config_selectorIiEEZZNS1_9scan_implILNS1_25lookback_scan_determinismE0ELb1ELb1ES3_N6thrust23THRUST_200600_302600_NS10device_ptrIiEESB_iNS9_4plusIvEEiEEDaPvRmT3_T4_T5_mT6_P12ihipStream_tbENKUlT_T0_E_clISt17integral_constantIbLb0EESR_EEDaSM_SN_EUlSM_E_NS1_11comp_targetILNS1_3genE5ELNS1_11target_archE942ELNS1_3gpuE9ELNS1_3repE0EEENS1_30default_config_static_selectorELNS0_4arch9wavefront6targetE1EEEvT1_
; %bb.0:
	.section	.rodata,"a",@progbits
	.p2align	6, 0x0
	.amdhsa_kernel _ZN7rocprim17ROCPRIM_400000_NS6detail17trampoline_kernelINS0_14default_configENS1_20scan_config_selectorIiEEZZNS1_9scan_implILNS1_25lookback_scan_determinismE0ELb1ELb1ES3_N6thrust23THRUST_200600_302600_NS10device_ptrIiEESB_iNS9_4plusIvEEiEEDaPvRmT3_T4_T5_mT6_P12ihipStream_tbENKUlT_T0_E_clISt17integral_constantIbLb0EESR_EEDaSM_SN_EUlSM_E_NS1_11comp_targetILNS1_3genE5ELNS1_11target_archE942ELNS1_3gpuE9ELNS1_3repE0EEENS1_30default_config_static_selectorELNS0_4arch9wavefront6targetE1EEEvT1_
		.amdhsa_group_segment_fixed_size 0
		.amdhsa_private_segment_fixed_size 0
		.amdhsa_kernarg_size 96
		.amdhsa_user_sgpr_count 6
		.amdhsa_user_sgpr_private_segment_buffer 1
		.amdhsa_user_sgpr_dispatch_ptr 0
		.amdhsa_user_sgpr_queue_ptr 0
		.amdhsa_user_sgpr_kernarg_segment_ptr 1
		.amdhsa_user_sgpr_dispatch_id 0
		.amdhsa_user_sgpr_flat_scratch_init 0
		.amdhsa_user_sgpr_kernarg_preload_length 0
		.amdhsa_user_sgpr_kernarg_preload_offset 0
		.amdhsa_user_sgpr_private_segment_size 0
		.amdhsa_uses_dynamic_stack 0
		.amdhsa_system_sgpr_private_segment_wavefront_offset 0
		.amdhsa_system_sgpr_workgroup_id_x 1
		.amdhsa_system_sgpr_workgroup_id_y 0
		.amdhsa_system_sgpr_workgroup_id_z 0
		.amdhsa_system_sgpr_workgroup_info 0
		.amdhsa_system_vgpr_workitem_id 0
		.amdhsa_next_free_vgpr 1
		.amdhsa_next_free_sgpr 0
		.amdhsa_accum_offset 4
		.amdhsa_reserve_vcc 0
		.amdhsa_reserve_flat_scratch 0
		.amdhsa_float_round_mode_32 0
		.amdhsa_float_round_mode_16_64 0
		.amdhsa_float_denorm_mode_32 3
		.amdhsa_float_denorm_mode_16_64 3
		.amdhsa_dx10_clamp 1
		.amdhsa_ieee_mode 1
		.amdhsa_fp16_overflow 0
		.amdhsa_tg_split 0
		.amdhsa_exception_fp_ieee_invalid_op 0
		.amdhsa_exception_fp_denorm_src 0
		.amdhsa_exception_fp_ieee_div_zero 0
		.amdhsa_exception_fp_ieee_overflow 0
		.amdhsa_exception_fp_ieee_underflow 0
		.amdhsa_exception_fp_ieee_inexact 0
		.amdhsa_exception_int_div_zero 0
	.end_amdhsa_kernel
	.section	.text._ZN7rocprim17ROCPRIM_400000_NS6detail17trampoline_kernelINS0_14default_configENS1_20scan_config_selectorIiEEZZNS1_9scan_implILNS1_25lookback_scan_determinismE0ELb1ELb1ES3_N6thrust23THRUST_200600_302600_NS10device_ptrIiEESB_iNS9_4plusIvEEiEEDaPvRmT3_T4_T5_mT6_P12ihipStream_tbENKUlT_T0_E_clISt17integral_constantIbLb0EESR_EEDaSM_SN_EUlSM_E_NS1_11comp_targetILNS1_3genE5ELNS1_11target_archE942ELNS1_3gpuE9ELNS1_3repE0EEENS1_30default_config_static_selectorELNS0_4arch9wavefront6targetE1EEEvT1_,"axG",@progbits,_ZN7rocprim17ROCPRIM_400000_NS6detail17trampoline_kernelINS0_14default_configENS1_20scan_config_selectorIiEEZZNS1_9scan_implILNS1_25lookback_scan_determinismE0ELb1ELb1ES3_N6thrust23THRUST_200600_302600_NS10device_ptrIiEESB_iNS9_4plusIvEEiEEDaPvRmT3_T4_T5_mT6_P12ihipStream_tbENKUlT_T0_E_clISt17integral_constantIbLb0EESR_EEDaSM_SN_EUlSM_E_NS1_11comp_targetILNS1_3genE5ELNS1_11target_archE942ELNS1_3gpuE9ELNS1_3repE0EEENS1_30default_config_static_selectorELNS0_4arch9wavefront6targetE1EEEvT1_,comdat
.Lfunc_end6823:
	.size	_ZN7rocprim17ROCPRIM_400000_NS6detail17trampoline_kernelINS0_14default_configENS1_20scan_config_selectorIiEEZZNS1_9scan_implILNS1_25lookback_scan_determinismE0ELb1ELb1ES3_N6thrust23THRUST_200600_302600_NS10device_ptrIiEESB_iNS9_4plusIvEEiEEDaPvRmT3_T4_T5_mT6_P12ihipStream_tbENKUlT_T0_E_clISt17integral_constantIbLb0EESR_EEDaSM_SN_EUlSM_E_NS1_11comp_targetILNS1_3genE5ELNS1_11target_archE942ELNS1_3gpuE9ELNS1_3repE0EEENS1_30default_config_static_selectorELNS0_4arch9wavefront6targetE1EEEvT1_, .Lfunc_end6823-_ZN7rocprim17ROCPRIM_400000_NS6detail17trampoline_kernelINS0_14default_configENS1_20scan_config_selectorIiEEZZNS1_9scan_implILNS1_25lookback_scan_determinismE0ELb1ELb1ES3_N6thrust23THRUST_200600_302600_NS10device_ptrIiEESB_iNS9_4plusIvEEiEEDaPvRmT3_T4_T5_mT6_P12ihipStream_tbENKUlT_T0_E_clISt17integral_constantIbLb0EESR_EEDaSM_SN_EUlSM_E_NS1_11comp_targetILNS1_3genE5ELNS1_11target_archE942ELNS1_3gpuE9ELNS1_3repE0EEENS1_30default_config_static_selectorELNS0_4arch9wavefront6targetE1EEEvT1_
                                        ; -- End function
	.section	.AMDGPU.csdata,"",@progbits
; Kernel info:
; codeLenInByte = 0
; NumSgprs: 4
; NumVgprs: 0
; NumAgprs: 0
; TotalNumVgprs: 0
; ScratchSize: 0
; MemoryBound: 0
; FloatMode: 240
; IeeeMode: 1
; LDSByteSize: 0 bytes/workgroup (compile time only)
; SGPRBlocks: 0
; VGPRBlocks: 0
; NumSGPRsForWavesPerEU: 4
; NumVGPRsForWavesPerEU: 1
; AccumOffset: 4
; Occupancy: 8
; WaveLimiterHint : 0
; COMPUTE_PGM_RSRC2:SCRATCH_EN: 0
; COMPUTE_PGM_RSRC2:USER_SGPR: 6
; COMPUTE_PGM_RSRC2:TRAP_HANDLER: 0
; COMPUTE_PGM_RSRC2:TGID_X_EN: 1
; COMPUTE_PGM_RSRC2:TGID_Y_EN: 0
; COMPUTE_PGM_RSRC2:TGID_Z_EN: 0
; COMPUTE_PGM_RSRC2:TIDIG_COMP_CNT: 0
; COMPUTE_PGM_RSRC3_GFX90A:ACCUM_OFFSET: 0
; COMPUTE_PGM_RSRC3_GFX90A:TG_SPLIT: 0
	.section	.text._ZN7rocprim17ROCPRIM_400000_NS6detail17trampoline_kernelINS0_14default_configENS1_20scan_config_selectorIiEEZZNS1_9scan_implILNS1_25lookback_scan_determinismE0ELb1ELb1ES3_N6thrust23THRUST_200600_302600_NS10device_ptrIiEESB_iNS9_4plusIvEEiEEDaPvRmT3_T4_T5_mT6_P12ihipStream_tbENKUlT_T0_E_clISt17integral_constantIbLb0EESR_EEDaSM_SN_EUlSM_E_NS1_11comp_targetILNS1_3genE4ELNS1_11target_archE910ELNS1_3gpuE8ELNS1_3repE0EEENS1_30default_config_static_selectorELNS0_4arch9wavefront6targetE1EEEvT1_,"axG",@progbits,_ZN7rocprim17ROCPRIM_400000_NS6detail17trampoline_kernelINS0_14default_configENS1_20scan_config_selectorIiEEZZNS1_9scan_implILNS1_25lookback_scan_determinismE0ELb1ELb1ES3_N6thrust23THRUST_200600_302600_NS10device_ptrIiEESB_iNS9_4plusIvEEiEEDaPvRmT3_T4_T5_mT6_P12ihipStream_tbENKUlT_T0_E_clISt17integral_constantIbLb0EESR_EEDaSM_SN_EUlSM_E_NS1_11comp_targetILNS1_3genE4ELNS1_11target_archE910ELNS1_3gpuE8ELNS1_3repE0EEENS1_30default_config_static_selectorELNS0_4arch9wavefront6targetE1EEEvT1_,comdat
	.protected	_ZN7rocprim17ROCPRIM_400000_NS6detail17trampoline_kernelINS0_14default_configENS1_20scan_config_selectorIiEEZZNS1_9scan_implILNS1_25lookback_scan_determinismE0ELb1ELb1ES3_N6thrust23THRUST_200600_302600_NS10device_ptrIiEESB_iNS9_4plusIvEEiEEDaPvRmT3_T4_T5_mT6_P12ihipStream_tbENKUlT_T0_E_clISt17integral_constantIbLb0EESR_EEDaSM_SN_EUlSM_E_NS1_11comp_targetILNS1_3genE4ELNS1_11target_archE910ELNS1_3gpuE8ELNS1_3repE0EEENS1_30default_config_static_selectorELNS0_4arch9wavefront6targetE1EEEvT1_ ; -- Begin function _ZN7rocprim17ROCPRIM_400000_NS6detail17trampoline_kernelINS0_14default_configENS1_20scan_config_selectorIiEEZZNS1_9scan_implILNS1_25lookback_scan_determinismE0ELb1ELb1ES3_N6thrust23THRUST_200600_302600_NS10device_ptrIiEESB_iNS9_4plusIvEEiEEDaPvRmT3_T4_T5_mT6_P12ihipStream_tbENKUlT_T0_E_clISt17integral_constantIbLb0EESR_EEDaSM_SN_EUlSM_E_NS1_11comp_targetILNS1_3genE4ELNS1_11target_archE910ELNS1_3gpuE8ELNS1_3repE0EEENS1_30default_config_static_selectorELNS0_4arch9wavefront6targetE1EEEvT1_
	.globl	_ZN7rocprim17ROCPRIM_400000_NS6detail17trampoline_kernelINS0_14default_configENS1_20scan_config_selectorIiEEZZNS1_9scan_implILNS1_25lookback_scan_determinismE0ELb1ELb1ES3_N6thrust23THRUST_200600_302600_NS10device_ptrIiEESB_iNS9_4plusIvEEiEEDaPvRmT3_T4_T5_mT6_P12ihipStream_tbENKUlT_T0_E_clISt17integral_constantIbLb0EESR_EEDaSM_SN_EUlSM_E_NS1_11comp_targetILNS1_3genE4ELNS1_11target_archE910ELNS1_3gpuE8ELNS1_3repE0EEENS1_30default_config_static_selectorELNS0_4arch9wavefront6targetE1EEEvT1_
	.p2align	8
	.type	_ZN7rocprim17ROCPRIM_400000_NS6detail17trampoline_kernelINS0_14default_configENS1_20scan_config_selectorIiEEZZNS1_9scan_implILNS1_25lookback_scan_determinismE0ELb1ELb1ES3_N6thrust23THRUST_200600_302600_NS10device_ptrIiEESB_iNS9_4plusIvEEiEEDaPvRmT3_T4_T5_mT6_P12ihipStream_tbENKUlT_T0_E_clISt17integral_constantIbLb0EESR_EEDaSM_SN_EUlSM_E_NS1_11comp_targetILNS1_3genE4ELNS1_11target_archE910ELNS1_3gpuE8ELNS1_3repE0EEENS1_30default_config_static_selectorELNS0_4arch9wavefront6targetE1EEEvT1_,@function
_ZN7rocprim17ROCPRIM_400000_NS6detail17trampoline_kernelINS0_14default_configENS1_20scan_config_selectorIiEEZZNS1_9scan_implILNS1_25lookback_scan_determinismE0ELb1ELb1ES3_N6thrust23THRUST_200600_302600_NS10device_ptrIiEESB_iNS9_4plusIvEEiEEDaPvRmT3_T4_T5_mT6_P12ihipStream_tbENKUlT_T0_E_clISt17integral_constantIbLb0EESR_EEDaSM_SN_EUlSM_E_NS1_11comp_targetILNS1_3genE4ELNS1_11target_archE910ELNS1_3gpuE8ELNS1_3repE0EEENS1_30default_config_static_selectorELNS0_4arch9wavefront6targetE1EEEvT1_: ; @_ZN7rocprim17ROCPRIM_400000_NS6detail17trampoline_kernelINS0_14default_configENS1_20scan_config_selectorIiEEZZNS1_9scan_implILNS1_25lookback_scan_determinismE0ELb1ELb1ES3_N6thrust23THRUST_200600_302600_NS10device_ptrIiEESB_iNS9_4plusIvEEiEEDaPvRmT3_T4_T5_mT6_P12ihipStream_tbENKUlT_T0_E_clISt17integral_constantIbLb0EESR_EEDaSM_SN_EUlSM_E_NS1_11comp_targetILNS1_3genE4ELNS1_11target_archE910ELNS1_3gpuE8ELNS1_3repE0EEENS1_30default_config_static_selectorELNS0_4arch9wavefront6targetE1EEEvT1_
; %bb.0:
	s_load_dwordx8 s[8:15], s[4:5], 0x0
	s_load_dword s1, s[4:5], 0x30
	s_mul_i32 s0, s6, 0x500
	v_lshlrev_b32_e32 v22, 2, v0
	s_waitcnt lgkmcnt(0)
	s_lshl_b64 s[10:11], s[10:11], 2
	s_add_u32 s27, s8, s10
	s_addc_u32 s28, s9, s11
	s_add_i32 s2, s1, -1
	s_mul_i32 s3, s2, 0x500
	s_sub_u32 s7, s14, s3
	s_subb_u32 s26, s15, 0
	s_mov_b32 s1, 0
	s_cmp_lg_u32 s6, s2
	s_cselect_b64 s[8:9], -1, 0
	s_lshl_b64 s[14:15], s[0:1], 2
	s_add_u32 s2, s27, s14
	s_addc_u32 s3, s28, s15
	s_mov_b64 s[0:1], -1
	s_and_b64 vcc, exec, s[8:9]
	s_cbranch_vccz .LBB6824_2
; %bb.1:
	v_mov_b32_e32 v1, s3
	v_add_co_u32_e32 v2, vcc, s2, v22
	v_addc_co_u32_e32 v3, vcc, 0, v1, vcc
	flat_load_dword v1, v[2:3]
	flat_load_dword v4, v[2:3] offset:512
	flat_load_dword v5, v[2:3] offset:1024
	;; [unrolled: 1-line block ×7, first 2 shown]
	v_add_co_u32_e32 v2, vcc, 0x1000, v2
	v_addc_co_u32_e32 v3, vcc, 0, v3, vcc
	flat_load_dword v11, v[2:3]
	flat_load_dword v12, v[2:3] offset:512
	s_mov_b64 s[0:1], 0
	s_waitcnt vmcnt(0) lgkmcnt(0)
	ds_write2st64_b32 v22, v1, v4 offset1:2
	ds_write2st64_b32 v22, v5, v6 offset0:4 offset1:6
	ds_write2st64_b32 v22, v7, v8 offset0:8 offset1:10
	ds_write2st64_b32 v22, v9, v10 offset0:12 offset1:14
	ds_write2st64_b32 v22, v11, v12 offset0:16 offset1:18
	s_waitcnt lgkmcnt(0)
	s_barrier
.LBB6824_2:
	s_load_dwordx2 s[24:25], s[4:5], 0x28
	s_andn2_b64 vcc, exec, s[0:1]
	v_cmp_gt_u32_e64 s[0:1], s7, v0
	s_cbranch_vccnz .LBB6824_24
; %bb.3:
	v_pk_mov_b32 v[2:3], s[2:3], s[2:3] op_sel:[0,1]
	flat_load_dword v1, v[2:3]
	s_waitcnt vmcnt(0) lgkmcnt(0)
	v_mov_b32_e32 v2, v1
	v_mov_b32_e32 v3, v1
	v_mov_b32_e32 v4, v1
	v_mov_b32_e32 v5, v1
	v_mov_b32_e32 v6, v1
	v_mov_b32_e32 v7, v1
	v_mov_b32_e32 v8, v1
	v_mov_b32_e32 v9, v1
	v_mov_b32_e32 v10, v1
	s_and_saveexec_b64 s[16:17], s[0:1]
	s_cbranch_execz .LBB6824_5
; %bb.4:
	v_mov_b32_e32 v11, s3
	v_add_co_u32_e32 v10, vcc, s2, v22
	v_addc_co_u32_e32 v11, vcc, 0, v11, vcc
	flat_load_dword v10, v[10:11]
.LBB6824_5:
	s_or_b64 exec, exec, s[16:17]
	v_or_b32_e32 v11, 0x80, v0
	v_cmp_gt_u32_e32 vcc, s7, v11
	s_and_saveexec_b64 s[0:1], vcc
	s_cbranch_execz .LBB6824_7
; %bb.6:
	v_mov_b32_e32 v1, s3
	v_add_co_u32_e32 v12, vcc, s2, v22
	v_addc_co_u32_e32 v13, vcc, 0, v1, vcc
	flat_load_dword v1, v[12:13] offset:512
.LBB6824_7:
	s_or_b64 exec, exec, s[0:1]
	v_or_b32_e32 v11, 0x100, v0
	v_cmp_gt_u32_e32 vcc, s7, v11
	s_and_saveexec_b64 s[0:1], vcc
	s_cbranch_execz .LBB6824_9
; %bb.8:
	v_mov_b32_e32 v2, s3
	v_add_co_u32_e32 v12, vcc, s2, v22
	v_addc_co_u32_e32 v13, vcc, 0, v2, vcc
	flat_load_dword v2, v[12:13] offset:1024
.LBB6824_9:
	;; [unrolled: 11-line block ×7, first 2 shown]
	s_or_b64 exec, exec, s[0:1]
	v_or_b32_e32 v11, 0x400, v0
	v_cmp_gt_u32_e32 vcc, s7, v11
	s_and_saveexec_b64 s[0:1], vcc
	s_cbranch_execz .LBB6824_21
; %bb.20:
	v_lshlrev_b32_e32 v8, 2, v11
	v_mov_b32_e32 v11, s3
	v_add_co_u32_e32 v12, vcc, s2, v8
	v_addc_co_u32_e32 v13, vcc, 0, v11, vcc
	flat_load_dword v8, v[12:13]
.LBB6824_21:
	s_or_b64 exec, exec, s[0:1]
	v_or_b32_e32 v11, 0x480, v0
	v_cmp_gt_u32_e32 vcc, s7, v11
	s_and_saveexec_b64 s[0:1], vcc
	s_cbranch_execz .LBB6824_23
; %bb.22:
	v_lshlrev_b32_e32 v9, 2, v11
	v_mov_b32_e32 v11, s3
	v_add_co_u32_e32 v12, vcc, s2, v9
	v_addc_co_u32_e32 v13, vcc, 0, v11, vcc
	flat_load_dword v9, v[12:13]
.LBB6824_23:
	s_or_b64 exec, exec, s[0:1]
	s_waitcnt vmcnt(0) lgkmcnt(0)
	ds_write2st64_b32 v22, v10, v1 offset1:2
	ds_write2st64_b32 v22, v2, v3 offset0:4 offset1:6
	ds_write2st64_b32 v22, v4, v5 offset0:8 offset1:10
	;; [unrolled: 1-line block ×4, first 2 shown]
	s_waitcnt lgkmcnt(0)
	s_barrier
.LBB6824_24:
	v_mul_u32_u24_e32 v23, 10, v0
	v_lshlrev_b32_e32 v1, 2, v23
	s_waitcnt lgkmcnt(0)
	ds_read2_b64 v[16:19], v1 offset1:1
	ds_read2_b64 v[12:15], v1 offset0:2 offset1:3
	ds_read_b64 v[20:21], v1 offset:32
	s_cmp_lg_u32 s6, 0
	v_lshrrev_b32_e32 v24, 5, v0
	s_waitcnt lgkmcnt(2)
	v_add_u32_e32 v2, v17, v16
	v_add3_u32 v25, v2, v18, v19
	v_cmp_gt_u32_e32 vcc, 64, v0
	s_waitcnt lgkmcnt(0)
	s_barrier
	s_cbranch_scc0 .LBB6824_49
; %bb.25:
	v_add3_u32 v2, v25, v12, v13
	v_add3_u32 v2, v2, v14, v15
	;; [unrolled: 1-line block ×3, first 2 shown]
	v_add_lshl_u32 v3, v24, v0, 2
	ds_write_b32 v3, v2
	s_waitcnt lgkmcnt(0)
	s_barrier
	s_and_saveexec_b64 s[2:3], vcc
	s_cbranch_execz .LBB6824_27
; %bb.26:
	v_lshlrev_b32_e32 v3, 1, v0
	v_lshrrev_b32_e32 v4, 4, v0
	v_add_lshl_u32 v3, v4, v3, 2
	ds_read2_b32 v[4:5], v3 offset1:1
	v_mbcnt_lo_u32_b32 v6, -1, 0
	v_mbcnt_hi_u32_b32 v6, -1, v6
	v_and_b32_e32 v7, 15, v6
	v_cmp_ne_u32_e64 s[0:1], 0, v7
	s_waitcnt lgkmcnt(0)
	v_add_u32_e32 v5, v5, v4
	; wave barrier
	s_nop 1
	v_mov_b32_dpp v8, v5 row_shr:1 row_mask:0xf bank_mask:0xf
	v_cndmask_b32_e64 v8, 0, v8, s[0:1]
	v_add_u32_e32 v5, v8, v5
	v_cmp_lt_u32_e64 s[0:1], 1, v7
	s_nop 0
	v_mov_b32_dpp v8, v5 row_shr:2 row_mask:0xf bank_mask:0xf
	v_cndmask_b32_e64 v8, 0, v8, s[0:1]
	v_add_u32_e32 v5, v5, v8
	v_cmp_lt_u32_e64 s[0:1], 3, v7
	;; [unrolled: 5-line block ×3, first 2 shown]
	s_nop 0
	v_mov_b32_dpp v8, v5 row_shr:8 row_mask:0xf bank_mask:0xf
	v_cndmask_b32_e64 v7, 0, v8, s[0:1]
	v_add_u32_e32 v5, v5, v7
	v_bfe_i32 v8, v6, 4, 1
	v_cmp_lt_u32_e64 s[0:1], 31, v6
	v_mov_b32_dpp v7, v5 row_bcast:15 row_mask:0xf bank_mask:0xf
	v_and_b32_e32 v7, v8, v7
	v_add_u32_e32 v5, v5, v7
	v_and_b32_e32 v8, 64, v6
	s_nop 0
	v_mov_b32_dpp v7, v5 row_bcast:31 row_mask:0xf bank_mask:0xf
	v_cndmask_b32_e64 v7, 0, v7, s[0:1]
	v_add_u32_e32 v5, v5, v7
	v_add_u32_e32 v7, -1, v6
	v_cmp_lt_i32_e64 s[0:1], v7, v8
	v_cndmask_b32_e64 v6, v7, v6, s[0:1]
	v_lshlrev_b32_e32 v6, 2, v6
	ds_bpermute_b32 v5, v6, v5
	v_cmp_eq_u32_e64 s[0:1], 0, v0
	s_waitcnt lgkmcnt(0)
	v_add_u32_e32 v4, v5, v4
	v_cndmask_b32_e64 v2, v4, v2, s[0:1]
	ds_write_b32 v3, v2
	; wave barrier
	ds_read_b32 v4, v3 offset:4
	s_waitcnt lgkmcnt(0)
	v_add_u32_e32 v2, v4, v2
	ds_write_b32 v3, v2 offset:4
.LBB6824_27:
	s_or_b64 exec, exec, s[2:3]
	v_cmp_eq_u32_e64 s[0:1], 0, v0
	v_cmp_ne_u32_e64 s[2:3], 0, v0
	v_mov_b32_e32 v26, 0
	s_waitcnt lgkmcnt(0)
	s_barrier
	s_and_saveexec_b64 s[16:17], s[2:3]
	s_cbranch_execz .LBB6824_29
; %bb.28:
	v_add_u32_e32 v2, -1, v0
	v_lshrrev_b32_e32 v3, 5, v2
	v_add_lshl_u32 v2, v3, v2, 2
	ds_read_b32 v26, v2
.LBB6824_29:
	s_or_b64 exec, exec, s[16:17]
	s_and_saveexec_b64 s[16:17], vcc
	s_cbranch_execz .LBB6824_48
; %bb.30:
	v_mov_b32_e32 v9, 0
	ds_read_b32 v2, v9 offset:520
	v_mbcnt_lo_u32_b32 v3, -1, 0
	v_mbcnt_hi_u32_b32 v5, -1, v3
	s_mov_b32 s21, 0
	v_cmp_eq_u32_e64 s[2:3], 0, v5
	s_and_saveexec_b64 s[18:19], s[2:3]
	s_cbranch_execz .LBB6824_32
; %bb.31:
	s_add_i32 s20, s6, 64
	s_lshl_b64 s[20:21], s[20:21], 3
	s_add_u32 s20, s24, s20
	v_mov_b32_e32 v3, 1
	s_addc_u32 s21, s25, s21
	s_waitcnt lgkmcnt(0)
	global_store_dwordx2 v9, v[2:3], s[20:21]
.LBB6824_32:
	s_or_b64 exec, exec, s[18:19]
	v_xad_u32 v4, v5, -1, s6
	v_add_u32_e32 v8, 64, v4
	v_lshlrev_b64 v[6:7], 3, v[8:9]
	v_mov_b32_e32 v3, s25
	v_add_co_u32_e32 v10, vcc, s24, v6
	v_addc_co_u32_e32 v11, vcc, v3, v7, vcc
	global_load_dwordx2 v[6:7], v[10:11], off glc
	s_waitcnt vmcnt(0)
	v_cmp_eq_u16_sdwa s[20:21], v7, v9 src0_sel:BYTE_0 src1_sel:DWORD
	s_and_saveexec_b64 s[18:19], s[20:21]
	s_cbranch_execz .LBB6824_36
; %bb.33:
	s_mov_b64 s[20:21], 0
	v_mov_b32_e32 v3, 0
.LBB6824_34:                            ; =>This Inner Loop Header: Depth=1
	global_load_dwordx2 v[6:7], v[10:11], off glc
	s_waitcnt vmcnt(0)
	v_cmp_ne_u16_sdwa s[22:23], v7, v3 src0_sel:BYTE_0 src1_sel:DWORD
	s_or_b64 s[20:21], s[22:23], s[20:21]
	s_andn2_b64 exec, exec, s[20:21]
	s_cbranch_execnz .LBB6824_34
; %bb.35:
	s_or_b64 exec, exec, s[20:21]
.LBB6824_36:
	s_or_b64 exec, exec, s[18:19]
	v_and_b32_e32 v27, 63, v5
	v_mov_b32_e32 v3, 2
	v_cmp_ne_u32_e32 vcc, 63, v27
	v_cmp_eq_u16_sdwa s[18:19], v7, v3 src0_sel:BYTE_0 src1_sel:DWORD
	v_lshlrev_b64 v[8:9], v5, -1
	v_addc_co_u32_e32 v28, vcc, 0, v5, vcc
	v_and_b32_e32 v10, s19, v9
	v_lshlrev_b32_e32 v28, 2, v28
	v_or_b32_e32 v10, 0x80000000, v10
	ds_bpermute_b32 v29, v28, v6
	v_and_b32_e32 v11, s18, v8
	v_ffbl_b32_e32 v10, v10
	v_add_u32_e32 v10, 32, v10
	v_ffbl_b32_e32 v11, v11
	v_min_u32_e32 v10, v11, v10
	v_cmp_lt_u32_e32 vcc, v27, v10
	s_waitcnt lgkmcnt(0)
	v_cndmask_b32_e32 v11, 0, v29, vcc
	v_cmp_gt_u32_e32 vcc, 62, v27
	v_add_u32_e32 v6, v11, v6
	v_cndmask_b32_e64 v11, 0, 1, vcc
	v_lshlrev_b32_e32 v11, 1, v11
	v_add_lshl_u32 v29, v11, v5, 2
	ds_bpermute_b32 v11, v29, v6
	v_add_u32_e32 v30, 2, v27
	v_cmp_le_u32_e32 vcc, v30, v10
	v_add_u32_e32 v32, 4, v27
	v_add_u32_e32 v34, 8, v27
	s_waitcnt lgkmcnt(0)
	v_cndmask_b32_e32 v11, 0, v11, vcc
	v_cmp_gt_u32_e32 vcc, 60, v27
	v_add_u32_e32 v6, v6, v11
	v_cndmask_b32_e64 v11, 0, 1, vcc
	v_lshlrev_b32_e32 v11, 2, v11
	v_add_lshl_u32 v31, v11, v5, 2
	ds_bpermute_b32 v11, v31, v6
	v_cmp_le_u32_e32 vcc, v32, v10
	v_add_u32_e32 v37, 16, v27
	v_add_u32_e32 v39, 32, v27
	s_waitcnt lgkmcnt(0)
	v_cndmask_b32_e32 v11, 0, v11, vcc
	v_cmp_gt_u32_e32 vcc, 56, v27
	v_add_u32_e32 v6, v6, v11
	v_cndmask_b32_e64 v11, 0, 1, vcc
	v_lshlrev_b32_e32 v11, 3, v11
	v_add_lshl_u32 v33, v11, v5, 2
	ds_bpermute_b32 v11, v33, v6
	v_cmp_le_u32_e32 vcc, v34, v10
	s_waitcnt lgkmcnt(0)
	v_cndmask_b32_e32 v11, 0, v11, vcc
	v_cmp_gt_u32_e32 vcc, 48, v27
	v_add_u32_e32 v6, v6, v11
	v_cndmask_b32_e64 v11, 0, 1, vcc
	v_lshlrev_b32_e32 v11, 4, v11
	v_add_lshl_u32 v36, v11, v5, 2
	ds_bpermute_b32 v11, v36, v6
	v_cmp_le_u32_e32 vcc, v37, v10
	;; [unrolled: 9-line block ×3, first 2 shown]
	s_waitcnt lgkmcnt(0)
	v_cndmask_b32_e32 v5, 0, v5, vcc
	v_add_u32_e32 v6, v6, v5
	v_mov_b32_e32 v5, 0
	s_branch .LBB6824_38
.LBB6824_37:                            ;   in Loop: Header=BB6824_38 Depth=1
	s_or_b64 exec, exec, s[18:19]
	v_cmp_eq_u16_sdwa s[18:19], v7, v3 src0_sel:BYTE_0 src1_sel:DWORD
	v_and_b32_e32 v10, s19, v9
	v_or_b32_e32 v10, 0x80000000, v10
	ds_bpermute_b32 v40, v28, v6
	v_and_b32_e32 v11, s18, v8
	v_ffbl_b32_e32 v10, v10
	v_add_u32_e32 v10, 32, v10
	v_ffbl_b32_e32 v11, v11
	v_min_u32_e32 v10, v11, v10
	v_cmp_lt_u32_e32 vcc, v27, v10
	s_waitcnt lgkmcnt(0)
	v_cndmask_b32_e32 v11, 0, v40, vcc
	v_add_u32_e32 v6, v11, v6
	ds_bpermute_b32 v11, v29, v6
	v_cmp_le_u32_e32 vcc, v30, v10
	v_subrev_u32_e32 v4, 64, v4
	s_waitcnt lgkmcnt(0)
	v_cndmask_b32_e32 v11, 0, v11, vcc
	v_add_u32_e32 v6, v6, v11
	ds_bpermute_b32 v11, v31, v6
	v_cmp_le_u32_e32 vcc, v32, v10
	s_waitcnt lgkmcnt(0)
	v_cndmask_b32_e32 v11, 0, v11, vcc
	v_add_u32_e32 v6, v6, v11
	ds_bpermute_b32 v11, v33, v6
	v_cmp_le_u32_e32 vcc, v34, v10
	;; [unrolled: 5-line block ×4, first 2 shown]
	s_waitcnt lgkmcnt(0)
	v_cndmask_b32_e32 v10, 0, v11, vcc
	v_add3_u32 v6, v10, v35, v6
.LBB6824_38:                            ; =>This Loop Header: Depth=1
                                        ;     Child Loop BB6824_41 Depth 2
	v_cmp_ne_u16_sdwa s[18:19], v7, v3 src0_sel:BYTE_0 src1_sel:DWORD
	v_cndmask_b32_e64 v7, 0, 1, s[18:19]
	;;#ASMSTART
	;;#ASMEND
	v_cmp_ne_u32_e32 vcc, 0, v7
	s_cmp_lg_u64 vcc, exec
	v_mov_b32_e32 v35, v6
	s_cbranch_scc1 .LBB6824_43
; %bb.39:                               ;   in Loop: Header=BB6824_38 Depth=1
	v_lshlrev_b64 v[6:7], 3, v[4:5]
	v_mov_b32_e32 v11, s25
	v_add_co_u32_e32 v10, vcc, s24, v6
	v_addc_co_u32_e32 v11, vcc, v11, v7, vcc
	global_load_dwordx2 v[6:7], v[10:11], off glc
	s_waitcnt vmcnt(0)
	v_cmp_eq_u16_sdwa s[20:21], v7, v5 src0_sel:BYTE_0 src1_sel:DWORD
	s_and_saveexec_b64 s[18:19], s[20:21]
	s_cbranch_execz .LBB6824_37
; %bb.40:                               ;   in Loop: Header=BB6824_38 Depth=1
	s_mov_b64 s[20:21], 0
.LBB6824_41:                            ;   Parent Loop BB6824_38 Depth=1
                                        ; =>  This Inner Loop Header: Depth=2
	global_load_dwordx2 v[6:7], v[10:11], off glc
	s_waitcnt vmcnt(0)
	v_cmp_ne_u16_sdwa s[22:23], v7, v5 src0_sel:BYTE_0 src1_sel:DWORD
	s_or_b64 s[20:21], s[22:23], s[20:21]
	s_andn2_b64 exec, exec, s[20:21]
	s_cbranch_execnz .LBB6824_41
; %bb.42:                               ;   in Loop: Header=BB6824_38 Depth=1
	s_or_b64 exec, exec, s[20:21]
	s_branch .LBB6824_37
.LBB6824_43:                            ;   in Loop: Header=BB6824_38 Depth=1
                                        ; implicit-def: $vgpr6
                                        ; implicit-def: $vgpr7
	s_cbranch_execz .LBB6824_38
; %bb.44:
	s_and_saveexec_b64 s[18:19], s[2:3]
	s_cbranch_execz .LBB6824_46
; %bb.45:
	s_add_i32 s2, s6, 64
	s_mov_b32 s3, 0
	s_lshl_b64 s[2:3], s[2:3], 3
	s_add_u32 s2, s24, s2
	v_add_u32_e32 v2, v35, v2
	v_mov_b32_e32 v3, 2
	s_addc_u32 s3, s25, s3
	v_mov_b32_e32 v4, 0
	global_store_dwordx2 v4, v[2:3], s[2:3]
.LBB6824_46:
	s_or_b64 exec, exec, s[18:19]
	s_and_b64 exec, exec, s[0:1]
	s_cbranch_execz .LBB6824_48
; %bb.47:
	v_mov_b32_e32 v2, 0
	ds_write_b32 v2, v35
.LBB6824_48:
	s_or_b64 exec, exec, s[16:17]
	v_mov_b32_e32 v2, 0
	s_waitcnt lgkmcnt(0)
	s_barrier
	ds_read_b32 v2, v2
	s_waitcnt lgkmcnt(0)
	v_add_u32_e32 v2, v2, v26
	v_add_u32_e32 v3, v2, v16
	;; [unrolled: 1-line block ×10, first 2 shown]
	s_load_dwordx8 s[16:23], s[4:5], 0x38
	s_branch .LBB6824_59
.LBB6824_49:
                                        ; implicit-def: $vgpr2_vgpr3_vgpr4_vgpr5_vgpr6_vgpr7_vgpr8_vgpr9_vgpr10_vgpr11
	s_load_dwordx8 s[16:23], s[4:5], 0x38
	s_cbranch_execz .LBB6824_59
; %bb.50:
	s_load_dword s0, s[4:5], 0x20
	s_waitcnt lgkmcnt(0)
	s_cmp_eq_u64 s[20:21], 0
	v_mov_b32_e32 v26, s0
	s_cbranch_scc1 .LBB6824_52
; %bb.51:
	v_mov_b32_e32 v3, s28
	v_add_co_u32_e64 v2, vcc, -4, s27
	v_addc_co_u32_e32 v3, vcc, -1, v3, vcc
	v_mov_b32_e32 v4, 0
	flat_load_dword v5, v[2:3]
	global_load_dword v6, v4, s[16:17]
	s_waitcnt vmcnt(0) lgkmcnt(0)
	v_add_u32_e32 v26, v6, v5
.LBB6824_52:
	v_add3_u32 v2, v25, v12, v13
	v_add3_u32 v2, v2, v14, v15
	;; [unrolled: 1-line block ×3, first 2 shown]
	v_add_lshl_u32 v3, v24, v0, 2
	v_cmp_gt_u32_e32 vcc, 64, v0
	ds_write_b32 v3, v2
	s_waitcnt lgkmcnt(0)
	s_barrier
	s_and_saveexec_b64 s[0:1], vcc
	s_cbranch_execz .LBB6824_54
; %bb.53:
	v_lshlrev_b32_e32 v3, 1, v0
	v_lshrrev_b32_e32 v4, 4, v0
	v_add_lshl_u32 v3, v4, v3, 2
	ds_read2_b32 v[4:5], v3 offset1:1
	v_mbcnt_lo_u32_b32 v6, -1, 0
	v_mbcnt_hi_u32_b32 v6, -1, v6
	v_and_b32_e32 v7, 15, v6
	v_cmp_ne_u32_e32 vcc, 0, v7
	s_waitcnt lgkmcnt(0)
	v_add_u32_e32 v5, v5, v4
	; wave barrier
	s_nop 1
	v_mov_b32_dpp v8, v5 row_shr:1 row_mask:0xf bank_mask:0xf
	v_cndmask_b32_e32 v8, 0, v8, vcc
	v_add_u32_e32 v5, v8, v5
	v_cmp_lt_u32_e32 vcc, 1, v7
	s_nop 0
	v_mov_b32_dpp v8, v5 row_shr:2 row_mask:0xf bank_mask:0xf
	v_cndmask_b32_e32 v8, 0, v8, vcc
	v_add_u32_e32 v5, v5, v8
	v_cmp_lt_u32_e32 vcc, 3, v7
	;; [unrolled: 5-line block ×3, first 2 shown]
	s_nop 0
	v_mov_b32_dpp v8, v5 row_shr:8 row_mask:0xf bank_mask:0xf
	v_cndmask_b32_e32 v7, 0, v8, vcc
	v_add_u32_e32 v5, v5, v7
	v_bfe_i32 v8, v6, 4, 1
	v_cmp_lt_u32_e32 vcc, 31, v6
	v_mov_b32_dpp v7, v5 row_bcast:15 row_mask:0xf bank_mask:0xf
	v_and_b32_e32 v7, v8, v7
	v_add_u32_e32 v5, v5, v7
	v_and_b32_e32 v8, 64, v6
	s_nop 0
	v_mov_b32_dpp v7, v5 row_bcast:31 row_mask:0xf bank_mask:0xf
	v_cndmask_b32_e32 v7, 0, v7, vcc
	v_add_u32_e32 v5, v5, v7
	v_add_u32_e32 v7, -1, v6
	v_cmp_lt_i32_e32 vcc, v7, v8
	v_cndmask_b32_e32 v6, v7, v6, vcc
	v_lshlrev_b32_e32 v6, 2, v6
	ds_bpermute_b32 v5, v6, v5
	v_cmp_eq_u32_e32 vcc, 0, v0
	s_waitcnt lgkmcnt(0)
	v_add_u32_e32 v4, v5, v4
	v_cndmask_b32_e32 v2, v4, v2, vcc
	ds_write_b32 v3, v2
	; wave barrier
	ds_read_b32 v4, v3 offset:4
	s_waitcnt lgkmcnt(0)
	v_add_u32_e32 v2, v4, v2
	ds_write_b32 v3, v2 offset:4
.LBB6824_54:
	s_or_b64 exec, exec, s[0:1]
	v_cmp_eq_u32_e32 vcc, 0, v0
	v_cmp_ne_u32_e64 s[0:1], 0, v0
	v_mov_b32_e32 v2, v26
	s_waitcnt lgkmcnt(0)
	s_barrier
	s_and_saveexec_b64 s[2:3], s[0:1]
	s_cbranch_execz .LBB6824_56
; %bb.55:
	v_add_u32_e32 v2, -1, v0
	v_lshrrev_b32_e32 v3, 5, v2
	v_add_lshl_u32 v2, v3, v2, 2
	ds_read_b32 v2, v2
	s_waitcnt lgkmcnt(0)
	v_add_u32_e32 v2, v2, v26
.LBB6824_56:
	s_or_b64 exec, exec, s[2:3]
	v_add_u32_e32 v3, v2, v16
	v_add_u32_e32 v4, v3, v17
	;; [unrolled: 1-line block ×9, first 2 shown]
	s_and_saveexec_b64 s[0:1], vcc
	s_cbranch_execz .LBB6824_58
; %bb.57:
	v_mov_b32_e32 v14, 0
	ds_read_b32 v12, v14 offset:520
	v_mov_b32_e32 v13, 2
	s_waitcnt lgkmcnt(0)
	v_add_u32_e32 v12, v12, v26
	global_store_dwordx2 v14, v[12:13], s[24:25] offset:512
.LBB6824_58:
	s_or_b64 exec, exec, s[0:1]
.LBB6824_59:
	s_add_u32 s0, s12, s10
	s_addc_u32 s1, s13, s11
	s_add_u32 s2, s0, s14
	s_addc_u32 s3, s1, s15
	s_mov_b64 s[0:1], -1
	s_and_b64 vcc, exec, s[8:9]
	s_waitcnt lgkmcnt(0)
	s_barrier
	s_cbranch_vccz .LBB6824_61
; %bb.60:
	ds_write2_b64 v1, v[2:3], v[4:5] offset1:1
	ds_write2_b64 v1, v[6:7], v[8:9] offset0:2 offset1:3
	ds_write_b64 v1, v[10:11] offset:32
	s_waitcnt lgkmcnt(0)
	s_barrier
	ds_read2st64_b32 v[12:13], v22 offset1:2
	ds_read2st64_b32 v[14:15], v22 offset0:4 offset1:6
	ds_read2st64_b32 v[16:17], v22 offset0:8 offset1:10
	;; [unrolled: 1-line block ×4, first 2 shown]
	v_mov_b32_e32 v25, s3
	v_add_co_u32_e32 v24, vcc, s2, v22
	v_addc_co_u32_e32 v25, vcc, 0, v25, vcc
	s_waitcnt lgkmcnt(4)
	flat_store_dword v[24:25], v12
	flat_store_dword v[24:25], v13 offset:512
	s_waitcnt lgkmcnt(0)
	flat_store_dword v[24:25], v14 offset:1024
	flat_store_dword v[24:25], v15 offset:1536
	;; [unrolled: 1-line block ×6, first 2 shown]
	v_add_co_u32_e32 v12, vcc, 0x1000, v24
	v_addc_co_u32_e32 v13, vcc, 0, v25, vcc
	flat_store_dword v[12:13], v20
	flat_store_dword v[12:13], v21 offset:512
	s_mov_b64 s[0:1], 0
.LBB6824_61:
	s_andn2_b64 vcc, exec, s[0:1]
	s_cbranch_vccnz .LBB6824_117
; %bb.62:
	ds_write2_b64 v1, v[2:3], v[4:5] offset1:1
	ds_write2_b64 v1, v[6:7], v[8:9] offset0:2 offset1:3
	ds_write_b64 v1, v[10:11] offset:32
	s_waitcnt lgkmcnt(0)
	s_barrier
	ds_read2st64_b32 v[2:3], v22 offset1:2
	ds_read2st64_b32 v[6:7], v22 offset0:4 offset1:6
	ds_read2st64_b32 v[4:5], v22 offset0:8 offset1:10
	;; [unrolled: 1-line block ×4, first 2 shown]
	v_mov_b32_e32 v13, s3
	v_add_co_u32_e32 v12, vcc, s2, v22
	v_addc_co_u32_e32 v13, vcc, 0, v13, vcc
	v_mov_b32_e32 v1, 0
	v_cmp_gt_u32_e32 vcc, s7, v0
	s_and_saveexec_b64 s[0:1], vcc
	s_cbranch_execz .LBB6824_64
; %bb.63:
	s_waitcnt lgkmcnt(0)
	flat_store_dword v[12:13], v2
.LBB6824_64:
	s_or_b64 exec, exec, s[0:1]
	v_or_b32_e32 v14, 0x80, v0
	v_cmp_gt_u32_e32 vcc, s7, v14
	s_and_saveexec_b64 s[0:1], vcc
	s_cbranch_execz .LBB6824_66
; %bb.65:
	s_waitcnt lgkmcnt(0)
	flat_store_dword v[12:13], v3 offset:512
.LBB6824_66:
	s_or_b64 exec, exec, s[0:1]
	v_or_b32_e32 v14, 0x100, v0
	v_cmp_gt_u32_e32 vcc, s7, v14
	s_and_saveexec_b64 s[0:1], vcc
	s_cbranch_execz .LBB6824_68
; %bb.67:
	s_waitcnt lgkmcnt(0)
	flat_store_dword v[12:13], v6 offset:1024
.LBB6824_68:
	;; [unrolled: 9-line block ×7, first 2 shown]
	s_or_b64 exec, exec, s[0:1]
	v_or_b32_e32 v14, 0x400, v0
	v_cmp_gt_u32_e32 vcc, s7, v14
	s_and_saveexec_b64 s[0:1], vcc
	s_cbranch_execz .LBB6824_80
; %bb.79:
	v_add_co_u32_e32 v14, vcc, 0x1000, v12
	v_addc_co_u32_e32 v15, vcc, 0, v13, vcc
	s_waitcnt lgkmcnt(0)
	flat_store_dword v[14:15], v10
.LBB6824_80:
	s_or_b64 exec, exec, s[0:1]
	v_or_b32_e32 v14, 0x480, v0
	v_cmp_gt_u32_e32 vcc, s7, v14
	s_and_saveexec_b64 s[0:1], vcc
	s_cbranch_execz .LBB6824_82
; %bb.81:
	v_add_co_u32_e32 v12, vcc, 0x1000, v12
	v_addc_co_u32_e32 v13, vcc, 0, v13, vcc
	s_waitcnt lgkmcnt(0)
	flat_store_dword v[12:13], v11 offset:512
.LBB6824_82:
	s_or_b64 exec, exec, s[0:1]
	v_cmp_lt_u64_e64 s[0:1], s[22:23], 2
	s_and_b64 vcc, exec, s[0:1]
	s_cbranch_vccnz .LBB6824_117
; %bb.83:
	s_add_u32 s0, s7, -1
	s_addc_u32 s1, s26, -1
	s_add_u32 s2, 0, 0x99986000
	s_addc_u32 s3, 0, 0x59
	s_add_i32 s3, s3, 0x19999940
	s_mul_hi_u32 s7, s2, -10
	s_sub_i32 s7, s7, s2
	s_mul_i32 s8, s3, -10
	s_mul_i32 s4, s2, -10
	s_add_i32 s7, s7, s8
	s_mul_hi_u32 s5, s3, s4
	s_mul_i32 s6, s3, s4
	s_mul_i32 s9, s2, s7
	s_mul_hi_u32 s4, s2, s4
	s_mul_hi_u32 s8, s2, s7
	s_add_u32 s4, s4, s9
	s_addc_u32 s8, 0, s8
	s_add_u32 s4, s4, s6
	s_mul_hi_u32 s9, s3, s7
	s_addc_u32 s4, s8, s5
	s_addc_u32 s5, s9, 0
	s_mul_i32 s6, s3, s7
	s_add_u32 s4, s4, s6
	v_mov_b32_e32 v12, s4
	s_addc_u32 s5, 0, s5
	v_add_co_u32_e32 v12, vcc, s2, v12
	s_cmp_lg_u64 vcc, 0
	s_addc_u32 s2, s3, s5
	v_readfirstlane_b32 s5, v12
	s_mul_i32 s4, s0, s2
	s_mul_hi_u32 s6, s0, s5
	s_mul_hi_u32 s3, s0, s2
	s_add_u32 s4, s6, s4
	s_addc_u32 s3, 0, s3
	s_mul_hi_u32 s7, s1, s5
	s_mul_i32 s5, s1, s5
	s_add_u32 s4, s4, s5
	s_mul_hi_u32 s6, s1, s2
	s_addc_u32 s3, s3, s7
	s_addc_u32 s4, s6, 0
	s_mul_i32 s2, s1, s2
	s_add_u32 s2, s3, s2
	s_addc_u32 s3, 0, s4
	s_add_u32 s4, s2, 1
	s_addc_u32 s5, s3, 0
	s_add_u32 s6, s2, 2
	s_mul_i32 s8, s3, 10
	s_mul_hi_u32 s9, s2, 10
	s_addc_u32 s7, s3, 0
	s_add_i32 s9, s9, s8
	s_mul_i32 s8, s2, 10
	v_mov_b32_e32 v12, s8
	v_sub_co_u32_e32 v12, vcc, s0, v12
	s_cmp_lg_u64 vcc, 0
	s_subb_u32 s8, s1, s9
	v_subrev_co_u32_e32 v13, vcc, 10, v12
	s_cmp_lg_u64 vcc, 0
	s_subb_u32 s9, s8, 0
	v_readfirstlane_b32 s10, v13
	s_cmp_gt_u32 s10, 9
	s_cselect_b32 s10, -1, 0
	s_cmp_eq_u32 s9, 0
	s_cselect_b32 s9, s10, -1
	s_cmp_lg_u32 s9, 0
	s_cselect_b32 s4, s6, s4
	v_readfirstlane_b32 s6, v12
	s_cselect_b32 s5, s7, s5
	s_cmp_gt_u32 s6, 9
	s_cselect_b32 s6, -1, 0
	s_cmp_eq_u32 s8, 0
	s_cselect_b32 s6, s6, -1
	s_cmp_lg_u32 s6, 0
	s_cselect_b32 s3, s5, s3
	s_cselect_b32 s2, s4, s2
	v_cmp_eq_u64_e32 vcc, s[2:3], v[0:1]
	s_and_saveexec_b64 s[2:3], vcc
	s_cbranch_execz .LBB6824_117
; %bb.84:
	v_mul_hi_u32_u24_e32 v1, 10, v0
	v_mov_b32_e32 v12, s1
	v_sub_co_u32_e32 v0, vcc, s0, v23
	v_subb_co_u32_e32 v1, vcc, v12, v1, vcc
	v_cmp_lt_i64_e32 vcc, 4, v[0:1]
	s_and_saveexec_b64 s[0:1], vcc
	s_xor_b64 s[0:1], exec, s[0:1]
	s_cbranch_execz .LBB6824_102
; %bb.85:
	v_cmp_lt_i64_e32 vcc, 6, v[0:1]
	s_and_saveexec_b64 s[2:3], vcc
	s_xor_b64 s[2:3], exec, s[2:3]
	s_cbranch_execz .LBB6824_95
; %bb.86:
	;; [unrolled: 5-line block ×4, first 2 shown]
	v_mov_b32_e32 v0, 0
	s_waitcnt lgkmcnt(0)
	global_store_dword v0, v11, s[18:19]
                                        ; implicit-def: $vgpr10_vgpr11
.LBB6824_89:
	s_andn2_saveexec_b64 s[6:7], s[6:7]
	s_cbranch_execz .LBB6824_91
; %bb.90:
	v_mov_b32_e32 v0, 0
	s_waitcnt lgkmcnt(0)
	global_store_dword v0, v10, s[18:19]
.LBB6824_91:
	s_or_b64 exec, exec, s[6:7]
                                        ; implicit-def: $vgpr8_vgpr9
.LBB6824_92:
	s_andn2_saveexec_b64 s[4:5], s[4:5]
	s_cbranch_execz .LBB6824_94
; %bb.93:
	v_mov_b32_e32 v0, 0
	s_waitcnt lgkmcnt(0)
	global_store_dword v0, v9, s[18:19]
.LBB6824_94:
	s_or_b64 exec, exec, s[4:5]
                                        ; implicit-def: $vgpr4_vgpr5
                                        ; implicit-def: $vgpr0_vgpr1
                                        ; implicit-def: $vgpr8_vgpr9
.LBB6824_95:
	s_andn2_saveexec_b64 s[2:3], s[2:3]
	s_cbranch_execz .LBB6824_101
; %bb.96:
	v_cmp_lt_i64_e32 vcc, 5, v[0:1]
	s_and_saveexec_b64 s[4:5], vcc
	s_xor_b64 s[4:5], exec, s[4:5]
	s_cbranch_execz .LBB6824_98
; %bb.97:
	v_mov_b32_e32 v0, 0
	s_waitcnt lgkmcnt(0)
	global_store_dword v0, v8, s[18:19]
                                        ; implicit-def: $vgpr4_vgpr5
.LBB6824_98:
	s_andn2_saveexec_b64 s[4:5], s[4:5]
	s_cbranch_execz .LBB6824_100
; %bb.99:
	v_mov_b32_e32 v0, 0
	s_waitcnt lgkmcnt(0)
	global_store_dword v0, v5, s[18:19]
.LBB6824_100:
	s_or_b64 exec, exec, s[4:5]
.LBB6824_101:
	s_or_b64 exec, exec, s[2:3]
                                        ; implicit-def: $vgpr0_vgpr1
                                        ; implicit-def: $vgpr6_vgpr7
                                        ; implicit-def: $vgpr2_vgpr3
                                        ; implicit-def: $vgpr4_vgpr5
.LBB6824_102:
	s_andn2_saveexec_b64 s[0:1], s[0:1]
	s_cbranch_execz .LBB6824_117
; %bb.103:
	v_cmp_lt_i64_e32 vcc, 2, v[0:1]
	s_and_saveexec_b64 s[0:1], vcc
	s_xor_b64 s[0:1], exec, s[0:1]
	s_cbranch_execz .LBB6824_109
; %bb.104:
	v_cmp_lt_i64_e32 vcc, 3, v[0:1]
	s_and_saveexec_b64 s[2:3], vcc
	s_xor_b64 s[2:3], exec, s[2:3]
	s_cbranch_execz .LBB6824_106
; %bb.105:
	v_mov_b32_e32 v0, 0
	s_waitcnt lgkmcnt(0)
	global_store_dword v0, v4, s[18:19]
                                        ; implicit-def: $vgpr6_vgpr7
.LBB6824_106:
	s_andn2_saveexec_b64 s[2:3], s[2:3]
	s_cbranch_execz .LBB6824_108
; %bb.107:
	v_mov_b32_e32 v0, 0
	s_waitcnt lgkmcnt(0)
	global_store_dword v0, v7, s[18:19]
.LBB6824_108:
	s_or_b64 exec, exec, s[2:3]
                                        ; implicit-def: $vgpr0_vgpr1
                                        ; implicit-def: $vgpr6_vgpr7
                                        ; implicit-def: $vgpr2_vgpr3
.LBB6824_109:
	s_andn2_saveexec_b64 s[0:1], s[0:1]
	s_cbranch_execz .LBB6824_117
; %bb.110:
	v_cmp_lt_i64_e32 vcc, 1, v[0:1]
	s_and_saveexec_b64 s[0:1], vcc
	s_xor_b64 s[0:1], exec, s[0:1]
	s_cbranch_execz .LBB6824_112
; %bb.111:
	v_mov_b32_e32 v0, 0
	s_waitcnt lgkmcnt(0)
	global_store_dword v0, v6, s[18:19]
                                        ; implicit-def: $vgpr2_vgpr3
                                        ; implicit-def: $vgpr0_vgpr1
.LBB6824_112:
	s_andn2_saveexec_b64 s[0:1], s[0:1]
	s_cbranch_execz .LBB6824_117
; %bb.113:
	v_cmp_ne_u64_e32 vcc, 1, v[0:1]
	s_and_saveexec_b64 s[0:1], vcc
	s_xor_b64 s[0:1], exec, s[0:1]
	s_cbranch_execz .LBB6824_115
; %bb.114:
	v_mov_b32_e32 v0, 0
	s_waitcnt lgkmcnt(0)
	global_store_dword v0, v2, s[18:19]
                                        ; implicit-def: $vgpr2_vgpr3
.LBB6824_115:
	s_andn2_saveexec_b64 s[0:1], s[0:1]
	s_cbranch_execz .LBB6824_117
; %bb.116:
	v_mov_b32_e32 v0, 0
	s_waitcnt lgkmcnt(0)
	global_store_dword v0, v3, s[18:19]
.LBB6824_117:
	s_endpgm
	.section	.rodata,"a",@progbits
	.p2align	6, 0x0
	.amdhsa_kernel _ZN7rocprim17ROCPRIM_400000_NS6detail17trampoline_kernelINS0_14default_configENS1_20scan_config_selectorIiEEZZNS1_9scan_implILNS1_25lookback_scan_determinismE0ELb1ELb1ES3_N6thrust23THRUST_200600_302600_NS10device_ptrIiEESB_iNS9_4plusIvEEiEEDaPvRmT3_T4_T5_mT6_P12ihipStream_tbENKUlT_T0_E_clISt17integral_constantIbLb0EESR_EEDaSM_SN_EUlSM_E_NS1_11comp_targetILNS1_3genE4ELNS1_11target_archE910ELNS1_3gpuE8ELNS1_3repE0EEENS1_30default_config_static_selectorELNS0_4arch9wavefront6targetE1EEEvT1_
		.amdhsa_group_segment_fixed_size 5120
		.amdhsa_private_segment_fixed_size 0
		.amdhsa_kernarg_size 96
		.amdhsa_user_sgpr_count 6
		.amdhsa_user_sgpr_private_segment_buffer 1
		.amdhsa_user_sgpr_dispatch_ptr 0
		.amdhsa_user_sgpr_queue_ptr 0
		.amdhsa_user_sgpr_kernarg_segment_ptr 1
		.amdhsa_user_sgpr_dispatch_id 0
		.amdhsa_user_sgpr_flat_scratch_init 0
		.amdhsa_user_sgpr_kernarg_preload_length 0
		.amdhsa_user_sgpr_kernarg_preload_offset 0
		.amdhsa_user_sgpr_private_segment_size 0
		.amdhsa_uses_dynamic_stack 0
		.amdhsa_system_sgpr_private_segment_wavefront_offset 0
		.amdhsa_system_sgpr_workgroup_id_x 1
		.amdhsa_system_sgpr_workgroup_id_y 0
		.amdhsa_system_sgpr_workgroup_id_z 0
		.amdhsa_system_sgpr_workgroup_info 0
		.amdhsa_system_vgpr_workitem_id 0
		.amdhsa_next_free_vgpr 41
		.amdhsa_next_free_sgpr 29
		.amdhsa_accum_offset 44
		.amdhsa_reserve_vcc 1
		.amdhsa_reserve_flat_scratch 0
		.amdhsa_float_round_mode_32 0
		.amdhsa_float_round_mode_16_64 0
		.amdhsa_float_denorm_mode_32 3
		.amdhsa_float_denorm_mode_16_64 3
		.amdhsa_dx10_clamp 1
		.amdhsa_ieee_mode 1
		.amdhsa_fp16_overflow 0
		.amdhsa_tg_split 0
		.amdhsa_exception_fp_ieee_invalid_op 0
		.amdhsa_exception_fp_denorm_src 0
		.amdhsa_exception_fp_ieee_div_zero 0
		.amdhsa_exception_fp_ieee_overflow 0
		.amdhsa_exception_fp_ieee_underflow 0
		.amdhsa_exception_fp_ieee_inexact 0
		.amdhsa_exception_int_div_zero 0
	.end_amdhsa_kernel
	.section	.text._ZN7rocprim17ROCPRIM_400000_NS6detail17trampoline_kernelINS0_14default_configENS1_20scan_config_selectorIiEEZZNS1_9scan_implILNS1_25lookback_scan_determinismE0ELb1ELb1ES3_N6thrust23THRUST_200600_302600_NS10device_ptrIiEESB_iNS9_4plusIvEEiEEDaPvRmT3_T4_T5_mT6_P12ihipStream_tbENKUlT_T0_E_clISt17integral_constantIbLb0EESR_EEDaSM_SN_EUlSM_E_NS1_11comp_targetILNS1_3genE4ELNS1_11target_archE910ELNS1_3gpuE8ELNS1_3repE0EEENS1_30default_config_static_selectorELNS0_4arch9wavefront6targetE1EEEvT1_,"axG",@progbits,_ZN7rocprim17ROCPRIM_400000_NS6detail17trampoline_kernelINS0_14default_configENS1_20scan_config_selectorIiEEZZNS1_9scan_implILNS1_25lookback_scan_determinismE0ELb1ELb1ES3_N6thrust23THRUST_200600_302600_NS10device_ptrIiEESB_iNS9_4plusIvEEiEEDaPvRmT3_T4_T5_mT6_P12ihipStream_tbENKUlT_T0_E_clISt17integral_constantIbLb0EESR_EEDaSM_SN_EUlSM_E_NS1_11comp_targetILNS1_3genE4ELNS1_11target_archE910ELNS1_3gpuE8ELNS1_3repE0EEENS1_30default_config_static_selectorELNS0_4arch9wavefront6targetE1EEEvT1_,comdat
.Lfunc_end6824:
	.size	_ZN7rocprim17ROCPRIM_400000_NS6detail17trampoline_kernelINS0_14default_configENS1_20scan_config_selectorIiEEZZNS1_9scan_implILNS1_25lookback_scan_determinismE0ELb1ELb1ES3_N6thrust23THRUST_200600_302600_NS10device_ptrIiEESB_iNS9_4plusIvEEiEEDaPvRmT3_T4_T5_mT6_P12ihipStream_tbENKUlT_T0_E_clISt17integral_constantIbLb0EESR_EEDaSM_SN_EUlSM_E_NS1_11comp_targetILNS1_3genE4ELNS1_11target_archE910ELNS1_3gpuE8ELNS1_3repE0EEENS1_30default_config_static_selectorELNS0_4arch9wavefront6targetE1EEEvT1_, .Lfunc_end6824-_ZN7rocprim17ROCPRIM_400000_NS6detail17trampoline_kernelINS0_14default_configENS1_20scan_config_selectorIiEEZZNS1_9scan_implILNS1_25lookback_scan_determinismE0ELb1ELb1ES3_N6thrust23THRUST_200600_302600_NS10device_ptrIiEESB_iNS9_4plusIvEEiEEDaPvRmT3_T4_T5_mT6_P12ihipStream_tbENKUlT_T0_E_clISt17integral_constantIbLb0EESR_EEDaSM_SN_EUlSM_E_NS1_11comp_targetILNS1_3genE4ELNS1_11target_archE910ELNS1_3gpuE8ELNS1_3repE0EEENS1_30default_config_static_selectorELNS0_4arch9wavefront6targetE1EEEvT1_
                                        ; -- End function
	.section	.AMDGPU.csdata,"",@progbits
; Kernel info:
; codeLenInByte = 4404
; NumSgprs: 33
; NumVgprs: 41
; NumAgprs: 0
; TotalNumVgprs: 41
; ScratchSize: 0
; MemoryBound: 0
; FloatMode: 240
; IeeeMode: 1
; LDSByteSize: 5120 bytes/workgroup (compile time only)
; SGPRBlocks: 4
; VGPRBlocks: 5
; NumSGPRsForWavesPerEU: 33
; NumVGPRsForWavesPerEU: 41
; AccumOffset: 44
; Occupancy: 6
; WaveLimiterHint : 1
; COMPUTE_PGM_RSRC2:SCRATCH_EN: 0
; COMPUTE_PGM_RSRC2:USER_SGPR: 6
; COMPUTE_PGM_RSRC2:TRAP_HANDLER: 0
; COMPUTE_PGM_RSRC2:TGID_X_EN: 1
; COMPUTE_PGM_RSRC2:TGID_Y_EN: 0
; COMPUTE_PGM_RSRC2:TGID_Z_EN: 0
; COMPUTE_PGM_RSRC2:TIDIG_COMP_CNT: 0
; COMPUTE_PGM_RSRC3_GFX90A:ACCUM_OFFSET: 10
; COMPUTE_PGM_RSRC3_GFX90A:TG_SPLIT: 0
	.section	.text._ZN7rocprim17ROCPRIM_400000_NS6detail17trampoline_kernelINS0_14default_configENS1_20scan_config_selectorIiEEZZNS1_9scan_implILNS1_25lookback_scan_determinismE0ELb1ELb1ES3_N6thrust23THRUST_200600_302600_NS10device_ptrIiEESB_iNS9_4plusIvEEiEEDaPvRmT3_T4_T5_mT6_P12ihipStream_tbENKUlT_T0_E_clISt17integral_constantIbLb0EESR_EEDaSM_SN_EUlSM_E_NS1_11comp_targetILNS1_3genE3ELNS1_11target_archE908ELNS1_3gpuE7ELNS1_3repE0EEENS1_30default_config_static_selectorELNS0_4arch9wavefront6targetE1EEEvT1_,"axG",@progbits,_ZN7rocprim17ROCPRIM_400000_NS6detail17trampoline_kernelINS0_14default_configENS1_20scan_config_selectorIiEEZZNS1_9scan_implILNS1_25lookback_scan_determinismE0ELb1ELb1ES3_N6thrust23THRUST_200600_302600_NS10device_ptrIiEESB_iNS9_4plusIvEEiEEDaPvRmT3_T4_T5_mT6_P12ihipStream_tbENKUlT_T0_E_clISt17integral_constantIbLb0EESR_EEDaSM_SN_EUlSM_E_NS1_11comp_targetILNS1_3genE3ELNS1_11target_archE908ELNS1_3gpuE7ELNS1_3repE0EEENS1_30default_config_static_selectorELNS0_4arch9wavefront6targetE1EEEvT1_,comdat
	.protected	_ZN7rocprim17ROCPRIM_400000_NS6detail17trampoline_kernelINS0_14default_configENS1_20scan_config_selectorIiEEZZNS1_9scan_implILNS1_25lookback_scan_determinismE0ELb1ELb1ES3_N6thrust23THRUST_200600_302600_NS10device_ptrIiEESB_iNS9_4plusIvEEiEEDaPvRmT3_T4_T5_mT6_P12ihipStream_tbENKUlT_T0_E_clISt17integral_constantIbLb0EESR_EEDaSM_SN_EUlSM_E_NS1_11comp_targetILNS1_3genE3ELNS1_11target_archE908ELNS1_3gpuE7ELNS1_3repE0EEENS1_30default_config_static_selectorELNS0_4arch9wavefront6targetE1EEEvT1_ ; -- Begin function _ZN7rocprim17ROCPRIM_400000_NS6detail17trampoline_kernelINS0_14default_configENS1_20scan_config_selectorIiEEZZNS1_9scan_implILNS1_25lookback_scan_determinismE0ELb1ELb1ES3_N6thrust23THRUST_200600_302600_NS10device_ptrIiEESB_iNS9_4plusIvEEiEEDaPvRmT3_T4_T5_mT6_P12ihipStream_tbENKUlT_T0_E_clISt17integral_constantIbLb0EESR_EEDaSM_SN_EUlSM_E_NS1_11comp_targetILNS1_3genE3ELNS1_11target_archE908ELNS1_3gpuE7ELNS1_3repE0EEENS1_30default_config_static_selectorELNS0_4arch9wavefront6targetE1EEEvT1_
	.globl	_ZN7rocprim17ROCPRIM_400000_NS6detail17trampoline_kernelINS0_14default_configENS1_20scan_config_selectorIiEEZZNS1_9scan_implILNS1_25lookback_scan_determinismE0ELb1ELb1ES3_N6thrust23THRUST_200600_302600_NS10device_ptrIiEESB_iNS9_4plusIvEEiEEDaPvRmT3_T4_T5_mT6_P12ihipStream_tbENKUlT_T0_E_clISt17integral_constantIbLb0EESR_EEDaSM_SN_EUlSM_E_NS1_11comp_targetILNS1_3genE3ELNS1_11target_archE908ELNS1_3gpuE7ELNS1_3repE0EEENS1_30default_config_static_selectorELNS0_4arch9wavefront6targetE1EEEvT1_
	.p2align	8
	.type	_ZN7rocprim17ROCPRIM_400000_NS6detail17trampoline_kernelINS0_14default_configENS1_20scan_config_selectorIiEEZZNS1_9scan_implILNS1_25lookback_scan_determinismE0ELb1ELb1ES3_N6thrust23THRUST_200600_302600_NS10device_ptrIiEESB_iNS9_4plusIvEEiEEDaPvRmT3_T4_T5_mT6_P12ihipStream_tbENKUlT_T0_E_clISt17integral_constantIbLb0EESR_EEDaSM_SN_EUlSM_E_NS1_11comp_targetILNS1_3genE3ELNS1_11target_archE908ELNS1_3gpuE7ELNS1_3repE0EEENS1_30default_config_static_selectorELNS0_4arch9wavefront6targetE1EEEvT1_,@function
_ZN7rocprim17ROCPRIM_400000_NS6detail17trampoline_kernelINS0_14default_configENS1_20scan_config_selectorIiEEZZNS1_9scan_implILNS1_25lookback_scan_determinismE0ELb1ELb1ES3_N6thrust23THRUST_200600_302600_NS10device_ptrIiEESB_iNS9_4plusIvEEiEEDaPvRmT3_T4_T5_mT6_P12ihipStream_tbENKUlT_T0_E_clISt17integral_constantIbLb0EESR_EEDaSM_SN_EUlSM_E_NS1_11comp_targetILNS1_3genE3ELNS1_11target_archE908ELNS1_3gpuE7ELNS1_3repE0EEENS1_30default_config_static_selectorELNS0_4arch9wavefront6targetE1EEEvT1_: ; @_ZN7rocprim17ROCPRIM_400000_NS6detail17trampoline_kernelINS0_14default_configENS1_20scan_config_selectorIiEEZZNS1_9scan_implILNS1_25lookback_scan_determinismE0ELb1ELb1ES3_N6thrust23THRUST_200600_302600_NS10device_ptrIiEESB_iNS9_4plusIvEEiEEDaPvRmT3_T4_T5_mT6_P12ihipStream_tbENKUlT_T0_E_clISt17integral_constantIbLb0EESR_EEDaSM_SN_EUlSM_E_NS1_11comp_targetILNS1_3genE3ELNS1_11target_archE908ELNS1_3gpuE7ELNS1_3repE0EEENS1_30default_config_static_selectorELNS0_4arch9wavefront6targetE1EEEvT1_
; %bb.0:
	.section	.rodata,"a",@progbits
	.p2align	6, 0x0
	.amdhsa_kernel _ZN7rocprim17ROCPRIM_400000_NS6detail17trampoline_kernelINS0_14default_configENS1_20scan_config_selectorIiEEZZNS1_9scan_implILNS1_25lookback_scan_determinismE0ELb1ELb1ES3_N6thrust23THRUST_200600_302600_NS10device_ptrIiEESB_iNS9_4plusIvEEiEEDaPvRmT3_T4_T5_mT6_P12ihipStream_tbENKUlT_T0_E_clISt17integral_constantIbLb0EESR_EEDaSM_SN_EUlSM_E_NS1_11comp_targetILNS1_3genE3ELNS1_11target_archE908ELNS1_3gpuE7ELNS1_3repE0EEENS1_30default_config_static_selectorELNS0_4arch9wavefront6targetE1EEEvT1_
		.amdhsa_group_segment_fixed_size 0
		.amdhsa_private_segment_fixed_size 0
		.amdhsa_kernarg_size 96
		.amdhsa_user_sgpr_count 6
		.amdhsa_user_sgpr_private_segment_buffer 1
		.amdhsa_user_sgpr_dispatch_ptr 0
		.amdhsa_user_sgpr_queue_ptr 0
		.amdhsa_user_sgpr_kernarg_segment_ptr 1
		.amdhsa_user_sgpr_dispatch_id 0
		.amdhsa_user_sgpr_flat_scratch_init 0
		.amdhsa_user_sgpr_kernarg_preload_length 0
		.amdhsa_user_sgpr_kernarg_preload_offset 0
		.amdhsa_user_sgpr_private_segment_size 0
		.amdhsa_uses_dynamic_stack 0
		.amdhsa_system_sgpr_private_segment_wavefront_offset 0
		.amdhsa_system_sgpr_workgroup_id_x 1
		.amdhsa_system_sgpr_workgroup_id_y 0
		.amdhsa_system_sgpr_workgroup_id_z 0
		.amdhsa_system_sgpr_workgroup_info 0
		.amdhsa_system_vgpr_workitem_id 0
		.amdhsa_next_free_vgpr 1
		.amdhsa_next_free_sgpr 0
		.amdhsa_accum_offset 4
		.amdhsa_reserve_vcc 0
		.amdhsa_reserve_flat_scratch 0
		.amdhsa_float_round_mode_32 0
		.amdhsa_float_round_mode_16_64 0
		.amdhsa_float_denorm_mode_32 3
		.amdhsa_float_denorm_mode_16_64 3
		.amdhsa_dx10_clamp 1
		.amdhsa_ieee_mode 1
		.amdhsa_fp16_overflow 0
		.amdhsa_tg_split 0
		.amdhsa_exception_fp_ieee_invalid_op 0
		.amdhsa_exception_fp_denorm_src 0
		.amdhsa_exception_fp_ieee_div_zero 0
		.amdhsa_exception_fp_ieee_overflow 0
		.amdhsa_exception_fp_ieee_underflow 0
		.amdhsa_exception_fp_ieee_inexact 0
		.amdhsa_exception_int_div_zero 0
	.end_amdhsa_kernel
	.section	.text._ZN7rocprim17ROCPRIM_400000_NS6detail17trampoline_kernelINS0_14default_configENS1_20scan_config_selectorIiEEZZNS1_9scan_implILNS1_25lookback_scan_determinismE0ELb1ELb1ES3_N6thrust23THRUST_200600_302600_NS10device_ptrIiEESB_iNS9_4plusIvEEiEEDaPvRmT3_T4_T5_mT6_P12ihipStream_tbENKUlT_T0_E_clISt17integral_constantIbLb0EESR_EEDaSM_SN_EUlSM_E_NS1_11comp_targetILNS1_3genE3ELNS1_11target_archE908ELNS1_3gpuE7ELNS1_3repE0EEENS1_30default_config_static_selectorELNS0_4arch9wavefront6targetE1EEEvT1_,"axG",@progbits,_ZN7rocprim17ROCPRIM_400000_NS6detail17trampoline_kernelINS0_14default_configENS1_20scan_config_selectorIiEEZZNS1_9scan_implILNS1_25lookback_scan_determinismE0ELb1ELb1ES3_N6thrust23THRUST_200600_302600_NS10device_ptrIiEESB_iNS9_4plusIvEEiEEDaPvRmT3_T4_T5_mT6_P12ihipStream_tbENKUlT_T0_E_clISt17integral_constantIbLb0EESR_EEDaSM_SN_EUlSM_E_NS1_11comp_targetILNS1_3genE3ELNS1_11target_archE908ELNS1_3gpuE7ELNS1_3repE0EEENS1_30default_config_static_selectorELNS0_4arch9wavefront6targetE1EEEvT1_,comdat
.Lfunc_end6825:
	.size	_ZN7rocprim17ROCPRIM_400000_NS6detail17trampoline_kernelINS0_14default_configENS1_20scan_config_selectorIiEEZZNS1_9scan_implILNS1_25lookback_scan_determinismE0ELb1ELb1ES3_N6thrust23THRUST_200600_302600_NS10device_ptrIiEESB_iNS9_4plusIvEEiEEDaPvRmT3_T4_T5_mT6_P12ihipStream_tbENKUlT_T0_E_clISt17integral_constantIbLb0EESR_EEDaSM_SN_EUlSM_E_NS1_11comp_targetILNS1_3genE3ELNS1_11target_archE908ELNS1_3gpuE7ELNS1_3repE0EEENS1_30default_config_static_selectorELNS0_4arch9wavefront6targetE1EEEvT1_, .Lfunc_end6825-_ZN7rocprim17ROCPRIM_400000_NS6detail17trampoline_kernelINS0_14default_configENS1_20scan_config_selectorIiEEZZNS1_9scan_implILNS1_25lookback_scan_determinismE0ELb1ELb1ES3_N6thrust23THRUST_200600_302600_NS10device_ptrIiEESB_iNS9_4plusIvEEiEEDaPvRmT3_T4_T5_mT6_P12ihipStream_tbENKUlT_T0_E_clISt17integral_constantIbLb0EESR_EEDaSM_SN_EUlSM_E_NS1_11comp_targetILNS1_3genE3ELNS1_11target_archE908ELNS1_3gpuE7ELNS1_3repE0EEENS1_30default_config_static_selectorELNS0_4arch9wavefront6targetE1EEEvT1_
                                        ; -- End function
	.section	.AMDGPU.csdata,"",@progbits
; Kernel info:
; codeLenInByte = 0
; NumSgprs: 4
; NumVgprs: 0
; NumAgprs: 0
; TotalNumVgprs: 0
; ScratchSize: 0
; MemoryBound: 0
; FloatMode: 240
; IeeeMode: 1
; LDSByteSize: 0 bytes/workgroup (compile time only)
; SGPRBlocks: 0
; VGPRBlocks: 0
; NumSGPRsForWavesPerEU: 4
; NumVGPRsForWavesPerEU: 1
; AccumOffset: 4
; Occupancy: 8
; WaveLimiterHint : 0
; COMPUTE_PGM_RSRC2:SCRATCH_EN: 0
; COMPUTE_PGM_RSRC2:USER_SGPR: 6
; COMPUTE_PGM_RSRC2:TRAP_HANDLER: 0
; COMPUTE_PGM_RSRC2:TGID_X_EN: 1
; COMPUTE_PGM_RSRC2:TGID_Y_EN: 0
; COMPUTE_PGM_RSRC2:TGID_Z_EN: 0
; COMPUTE_PGM_RSRC2:TIDIG_COMP_CNT: 0
; COMPUTE_PGM_RSRC3_GFX90A:ACCUM_OFFSET: 0
; COMPUTE_PGM_RSRC3_GFX90A:TG_SPLIT: 0
	.section	.text._ZN7rocprim17ROCPRIM_400000_NS6detail17trampoline_kernelINS0_14default_configENS1_20scan_config_selectorIiEEZZNS1_9scan_implILNS1_25lookback_scan_determinismE0ELb1ELb1ES3_N6thrust23THRUST_200600_302600_NS10device_ptrIiEESB_iNS9_4plusIvEEiEEDaPvRmT3_T4_T5_mT6_P12ihipStream_tbENKUlT_T0_E_clISt17integral_constantIbLb0EESR_EEDaSM_SN_EUlSM_E_NS1_11comp_targetILNS1_3genE2ELNS1_11target_archE906ELNS1_3gpuE6ELNS1_3repE0EEENS1_30default_config_static_selectorELNS0_4arch9wavefront6targetE1EEEvT1_,"axG",@progbits,_ZN7rocprim17ROCPRIM_400000_NS6detail17trampoline_kernelINS0_14default_configENS1_20scan_config_selectorIiEEZZNS1_9scan_implILNS1_25lookback_scan_determinismE0ELb1ELb1ES3_N6thrust23THRUST_200600_302600_NS10device_ptrIiEESB_iNS9_4plusIvEEiEEDaPvRmT3_T4_T5_mT6_P12ihipStream_tbENKUlT_T0_E_clISt17integral_constantIbLb0EESR_EEDaSM_SN_EUlSM_E_NS1_11comp_targetILNS1_3genE2ELNS1_11target_archE906ELNS1_3gpuE6ELNS1_3repE0EEENS1_30default_config_static_selectorELNS0_4arch9wavefront6targetE1EEEvT1_,comdat
	.protected	_ZN7rocprim17ROCPRIM_400000_NS6detail17trampoline_kernelINS0_14default_configENS1_20scan_config_selectorIiEEZZNS1_9scan_implILNS1_25lookback_scan_determinismE0ELb1ELb1ES3_N6thrust23THRUST_200600_302600_NS10device_ptrIiEESB_iNS9_4plusIvEEiEEDaPvRmT3_T4_T5_mT6_P12ihipStream_tbENKUlT_T0_E_clISt17integral_constantIbLb0EESR_EEDaSM_SN_EUlSM_E_NS1_11comp_targetILNS1_3genE2ELNS1_11target_archE906ELNS1_3gpuE6ELNS1_3repE0EEENS1_30default_config_static_selectorELNS0_4arch9wavefront6targetE1EEEvT1_ ; -- Begin function _ZN7rocprim17ROCPRIM_400000_NS6detail17trampoline_kernelINS0_14default_configENS1_20scan_config_selectorIiEEZZNS1_9scan_implILNS1_25lookback_scan_determinismE0ELb1ELb1ES3_N6thrust23THRUST_200600_302600_NS10device_ptrIiEESB_iNS9_4plusIvEEiEEDaPvRmT3_T4_T5_mT6_P12ihipStream_tbENKUlT_T0_E_clISt17integral_constantIbLb0EESR_EEDaSM_SN_EUlSM_E_NS1_11comp_targetILNS1_3genE2ELNS1_11target_archE906ELNS1_3gpuE6ELNS1_3repE0EEENS1_30default_config_static_selectorELNS0_4arch9wavefront6targetE1EEEvT1_
	.globl	_ZN7rocprim17ROCPRIM_400000_NS6detail17trampoline_kernelINS0_14default_configENS1_20scan_config_selectorIiEEZZNS1_9scan_implILNS1_25lookback_scan_determinismE0ELb1ELb1ES3_N6thrust23THRUST_200600_302600_NS10device_ptrIiEESB_iNS9_4plusIvEEiEEDaPvRmT3_T4_T5_mT6_P12ihipStream_tbENKUlT_T0_E_clISt17integral_constantIbLb0EESR_EEDaSM_SN_EUlSM_E_NS1_11comp_targetILNS1_3genE2ELNS1_11target_archE906ELNS1_3gpuE6ELNS1_3repE0EEENS1_30default_config_static_selectorELNS0_4arch9wavefront6targetE1EEEvT1_
	.p2align	8
	.type	_ZN7rocprim17ROCPRIM_400000_NS6detail17trampoline_kernelINS0_14default_configENS1_20scan_config_selectorIiEEZZNS1_9scan_implILNS1_25lookback_scan_determinismE0ELb1ELb1ES3_N6thrust23THRUST_200600_302600_NS10device_ptrIiEESB_iNS9_4plusIvEEiEEDaPvRmT3_T4_T5_mT6_P12ihipStream_tbENKUlT_T0_E_clISt17integral_constantIbLb0EESR_EEDaSM_SN_EUlSM_E_NS1_11comp_targetILNS1_3genE2ELNS1_11target_archE906ELNS1_3gpuE6ELNS1_3repE0EEENS1_30default_config_static_selectorELNS0_4arch9wavefront6targetE1EEEvT1_,@function
_ZN7rocprim17ROCPRIM_400000_NS6detail17trampoline_kernelINS0_14default_configENS1_20scan_config_selectorIiEEZZNS1_9scan_implILNS1_25lookback_scan_determinismE0ELb1ELb1ES3_N6thrust23THRUST_200600_302600_NS10device_ptrIiEESB_iNS9_4plusIvEEiEEDaPvRmT3_T4_T5_mT6_P12ihipStream_tbENKUlT_T0_E_clISt17integral_constantIbLb0EESR_EEDaSM_SN_EUlSM_E_NS1_11comp_targetILNS1_3genE2ELNS1_11target_archE906ELNS1_3gpuE6ELNS1_3repE0EEENS1_30default_config_static_selectorELNS0_4arch9wavefront6targetE1EEEvT1_: ; @_ZN7rocprim17ROCPRIM_400000_NS6detail17trampoline_kernelINS0_14default_configENS1_20scan_config_selectorIiEEZZNS1_9scan_implILNS1_25lookback_scan_determinismE0ELb1ELb1ES3_N6thrust23THRUST_200600_302600_NS10device_ptrIiEESB_iNS9_4plusIvEEiEEDaPvRmT3_T4_T5_mT6_P12ihipStream_tbENKUlT_T0_E_clISt17integral_constantIbLb0EESR_EEDaSM_SN_EUlSM_E_NS1_11comp_targetILNS1_3genE2ELNS1_11target_archE906ELNS1_3gpuE6ELNS1_3repE0EEENS1_30default_config_static_selectorELNS0_4arch9wavefront6targetE1EEEvT1_
; %bb.0:
	.section	.rodata,"a",@progbits
	.p2align	6, 0x0
	.amdhsa_kernel _ZN7rocprim17ROCPRIM_400000_NS6detail17trampoline_kernelINS0_14default_configENS1_20scan_config_selectorIiEEZZNS1_9scan_implILNS1_25lookback_scan_determinismE0ELb1ELb1ES3_N6thrust23THRUST_200600_302600_NS10device_ptrIiEESB_iNS9_4plusIvEEiEEDaPvRmT3_T4_T5_mT6_P12ihipStream_tbENKUlT_T0_E_clISt17integral_constantIbLb0EESR_EEDaSM_SN_EUlSM_E_NS1_11comp_targetILNS1_3genE2ELNS1_11target_archE906ELNS1_3gpuE6ELNS1_3repE0EEENS1_30default_config_static_selectorELNS0_4arch9wavefront6targetE1EEEvT1_
		.amdhsa_group_segment_fixed_size 0
		.amdhsa_private_segment_fixed_size 0
		.amdhsa_kernarg_size 96
		.amdhsa_user_sgpr_count 6
		.amdhsa_user_sgpr_private_segment_buffer 1
		.amdhsa_user_sgpr_dispatch_ptr 0
		.amdhsa_user_sgpr_queue_ptr 0
		.amdhsa_user_sgpr_kernarg_segment_ptr 1
		.amdhsa_user_sgpr_dispatch_id 0
		.amdhsa_user_sgpr_flat_scratch_init 0
		.amdhsa_user_sgpr_kernarg_preload_length 0
		.amdhsa_user_sgpr_kernarg_preload_offset 0
		.amdhsa_user_sgpr_private_segment_size 0
		.amdhsa_uses_dynamic_stack 0
		.amdhsa_system_sgpr_private_segment_wavefront_offset 0
		.amdhsa_system_sgpr_workgroup_id_x 1
		.amdhsa_system_sgpr_workgroup_id_y 0
		.amdhsa_system_sgpr_workgroup_id_z 0
		.amdhsa_system_sgpr_workgroup_info 0
		.amdhsa_system_vgpr_workitem_id 0
		.amdhsa_next_free_vgpr 1
		.amdhsa_next_free_sgpr 0
		.amdhsa_accum_offset 4
		.amdhsa_reserve_vcc 0
		.amdhsa_reserve_flat_scratch 0
		.amdhsa_float_round_mode_32 0
		.amdhsa_float_round_mode_16_64 0
		.amdhsa_float_denorm_mode_32 3
		.amdhsa_float_denorm_mode_16_64 3
		.amdhsa_dx10_clamp 1
		.amdhsa_ieee_mode 1
		.amdhsa_fp16_overflow 0
		.amdhsa_tg_split 0
		.amdhsa_exception_fp_ieee_invalid_op 0
		.amdhsa_exception_fp_denorm_src 0
		.amdhsa_exception_fp_ieee_div_zero 0
		.amdhsa_exception_fp_ieee_overflow 0
		.amdhsa_exception_fp_ieee_underflow 0
		.amdhsa_exception_fp_ieee_inexact 0
		.amdhsa_exception_int_div_zero 0
	.end_amdhsa_kernel
	.section	.text._ZN7rocprim17ROCPRIM_400000_NS6detail17trampoline_kernelINS0_14default_configENS1_20scan_config_selectorIiEEZZNS1_9scan_implILNS1_25lookback_scan_determinismE0ELb1ELb1ES3_N6thrust23THRUST_200600_302600_NS10device_ptrIiEESB_iNS9_4plusIvEEiEEDaPvRmT3_T4_T5_mT6_P12ihipStream_tbENKUlT_T0_E_clISt17integral_constantIbLb0EESR_EEDaSM_SN_EUlSM_E_NS1_11comp_targetILNS1_3genE2ELNS1_11target_archE906ELNS1_3gpuE6ELNS1_3repE0EEENS1_30default_config_static_selectorELNS0_4arch9wavefront6targetE1EEEvT1_,"axG",@progbits,_ZN7rocprim17ROCPRIM_400000_NS6detail17trampoline_kernelINS0_14default_configENS1_20scan_config_selectorIiEEZZNS1_9scan_implILNS1_25lookback_scan_determinismE0ELb1ELb1ES3_N6thrust23THRUST_200600_302600_NS10device_ptrIiEESB_iNS9_4plusIvEEiEEDaPvRmT3_T4_T5_mT6_P12ihipStream_tbENKUlT_T0_E_clISt17integral_constantIbLb0EESR_EEDaSM_SN_EUlSM_E_NS1_11comp_targetILNS1_3genE2ELNS1_11target_archE906ELNS1_3gpuE6ELNS1_3repE0EEENS1_30default_config_static_selectorELNS0_4arch9wavefront6targetE1EEEvT1_,comdat
.Lfunc_end6826:
	.size	_ZN7rocprim17ROCPRIM_400000_NS6detail17trampoline_kernelINS0_14default_configENS1_20scan_config_selectorIiEEZZNS1_9scan_implILNS1_25lookback_scan_determinismE0ELb1ELb1ES3_N6thrust23THRUST_200600_302600_NS10device_ptrIiEESB_iNS9_4plusIvEEiEEDaPvRmT3_T4_T5_mT6_P12ihipStream_tbENKUlT_T0_E_clISt17integral_constantIbLb0EESR_EEDaSM_SN_EUlSM_E_NS1_11comp_targetILNS1_3genE2ELNS1_11target_archE906ELNS1_3gpuE6ELNS1_3repE0EEENS1_30default_config_static_selectorELNS0_4arch9wavefront6targetE1EEEvT1_, .Lfunc_end6826-_ZN7rocprim17ROCPRIM_400000_NS6detail17trampoline_kernelINS0_14default_configENS1_20scan_config_selectorIiEEZZNS1_9scan_implILNS1_25lookback_scan_determinismE0ELb1ELb1ES3_N6thrust23THRUST_200600_302600_NS10device_ptrIiEESB_iNS9_4plusIvEEiEEDaPvRmT3_T4_T5_mT6_P12ihipStream_tbENKUlT_T0_E_clISt17integral_constantIbLb0EESR_EEDaSM_SN_EUlSM_E_NS1_11comp_targetILNS1_3genE2ELNS1_11target_archE906ELNS1_3gpuE6ELNS1_3repE0EEENS1_30default_config_static_selectorELNS0_4arch9wavefront6targetE1EEEvT1_
                                        ; -- End function
	.section	.AMDGPU.csdata,"",@progbits
; Kernel info:
; codeLenInByte = 0
; NumSgprs: 4
; NumVgprs: 0
; NumAgprs: 0
; TotalNumVgprs: 0
; ScratchSize: 0
; MemoryBound: 0
; FloatMode: 240
; IeeeMode: 1
; LDSByteSize: 0 bytes/workgroup (compile time only)
; SGPRBlocks: 0
; VGPRBlocks: 0
; NumSGPRsForWavesPerEU: 4
; NumVGPRsForWavesPerEU: 1
; AccumOffset: 4
; Occupancy: 8
; WaveLimiterHint : 0
; COMPUTE_PGM_RSRC2:SCRATCH_EN: 0
; COMPUTE_PGM_RSRC2:USER_SGPR: 6
; COMPUTE_PGM_RSRC2:TRAP_HANDLER: 0
; COMPUTE_PGM_RSRC2:TGID_X_EN: 1
; COMPUTE_PGM_RSRC2:TGID_Y_EN: 0
; COMPUTE_PGM_RSRC2:TGID_Z_EN: 0
; COMPUTE_PGM_RSRC2:TIDIG_COMP_CNT: 0
; COMPUTE_PGM_RSRC3_GFX90A:ACCUM_OFFSET: 0
; COMPUTE_PGM_RSRC3_GFX90A:TG_SPLIT: 0
	.section	.text._ZN7rocprim17ROCPRIM_400000_NS6detail17trampoline_kernelINS0_14default_configENS1_20scan_config_selectorIiEEZZNS1_9scan_implILNS1_25lookback_scan_determinismE0ELb1ELb1ES3_N6thrust23THRUST_200600_302600_NS10device_ptrIiEESB_iNS9_4plusIvEEiEEDaPvRmT3_T4_T5_mT6_P12ihipStream_tbENKUlT_T0_E_clISt17integral_constantIbLb0EESR_EEDaSM_SN_EUlSM_E_NS1_11comp_targetILNS1_3genE10ELNS1_11target_archE1201ELNS1_3gpuE5ELNS1_3repE0EEENS1_30default_config_static_selectorELNS0_4arch9wavefront6targetE1EEEvT1_,"axG",@progbits,_ZN7rocprim17ROCPRIM_400000_NS6detail17trampoline_kernelINS0_14default_configENS1_20scan_config_selectorIiEEZZNS1_9scan_implILNS1_25lookback_scan_determinismE0ELb1ELb1ES3_N6thrust23THRUST_200600_302600_NS10device_ptrIiEESB_iNS9_4plusIvEEiEEDaPvRmT3_T4_T5_mT6_P12ihipStream_tbENKUlT_T0_E_clISt17integral_constantIbLb0EESR_EEDaSM_SN_EUlSM_E_NS1_11comp_targetILNS1_3genE10ELNS1_11target_archE1201ELNS1_3gpuE5ELNS1_3repE0EEENS1_30default_config_static_selectorELNS0_4arch9wavefront6targetE1EEEvT1_,comdat
	.protected	_ZN7rocprim17ROCPRIM_400000_NS6detail17trampoline_kernelINS0_14default_configENS1_20scan_config_selectorIiEEZZNS1_9scan_implILNS1_25lookback_scan_determinismE0ELb1ELb1ES3_N6thrust23THRUST_200600_302600_NS10device_ptrIiEESB_iNS9_4plusIvEEiEEDaPvRmT3_T4_T5_mT6_P12ihipStream_tbENKUlT_T0_E_clISt17integral_constantIbLb0EESR_EEDaSM_SN_EUlSM_E_NS1_11comp_targetILNS1_3genE10ELNS1_11target_archE1201ELNS1_3gpuE5ELNS1_3repE0EEENS1_30default_config_static_selectorELNS0_4arch9wavefront6targetE1EEEvT1_ ; -- Begin function _ZN7rocprim17ROCPRIM_400000_NS6detail17trampoline_kernelINS0_14default_configENS1_20scan_config_selectorIiEEZZNS1_9scan_implILNS1_25lookback_scan_determinismE0ELb1ELb1ES3_N6thrust23THRUST_200600_302600_NS10device_ptrIiEESB_iNS9_4plusIvEEiEEDaPvRmT3_T4_T5_mT6_P12ihipStream_tbENKUlT_T0_E_clISt17integral_constantIbLb0EESR_EEDaSM_SN_EUlSM_E_NS1_11comp_targetILNS1_3genE10ELNS1_11target_archE1201ELNS1_3gpuE5ELNS1_3repE0EEENS1_30default_config_static_selectorELNS0_4arch9wavefront6targetE1EEEvT1_
	.globl	_ZN7rocprim17ROCPRIM_400000_NS6detail17trampoline_kernelINS0_14default_configENS1_20scan_config_selectorIiEEZZNS1_9scan_implILNS1_25lookback_scan_determinismE0ELb1ELb1ES3_N6thrust23THRUST_200600_302600_NS10device_ptrIiEESB_iNS9_4plusIvEEiEEDaPvRmT3_T4_T5_mT6_P12ihipStream_tbENKUlT_T0_E_clISt17integral_constantIbLb0EESR_EEDaSM_SN_EUlSM_E_NS1_11comp_targetILNS1_3genE10ELNS1_11target_archE1201ELNS1_3gpuE5ELNS1_3repE0EEENS1_30default_config_static_selectorELNS0_4arch9wavefront6targetE1EEEvT1_
	.p2align	8
	.type	_ZN7rocprim17ROCPRIM_400000_NS6detail17trampoline_kernelINS0_14default_configENS1_20scan_config_selectorIiEEZZNS1_9scan_implILNS1_25lookback_scan_determinismE0ELb1ELb1ES3_N6thrust23THRUST_200600_302600_NS10device_ptrIiEESB_iNS9_4plusIvEEiEEDaPvRmT3_T4_T5_mT6_P12ihipStream_tbENKUlT_T0_E_clISt17integral_constantIbLb0EESR_EEDaSM_SN_EUlSM_E_NS1_11comp_targetILNS1_3genE10ELNS1_11target_archE1201ELNS1_3gpuE5ELNS1_3repE0EEENS1_30default_config_static_selectorELNS0_4arch9wavefront6targetE1EEEvT1_,@function
_ZN7rocprim17ROCPRIM_400000_NS6detail17trampoline_kernelINS0_14default_configENS1_20scan_config_selectorIiEEZZNS1_9scan_implILNS1_25lookback_scan_determinismE0ELb1ELb1ES3_N6thrust23THRUST_200600_302600_NS10device_ptrIiEESB_iNS9_4plusIvEEiEEDaPvRmT3_T4_T5_mT6_P12ihipStream_tbENKUlT_T0_E_clISt17integral_constantIbLb0EESR_EEDaSM_SN_EUlSM_E_NS1_11comp_targetILNS1_3genE10ELNS1_11target_archE1201ELNS1_3gpuE5ELNS1_3repE0EEENS1_30default_config_static_selectorELNS0_4arch9wavefront6targetE1EEEvT1_: ; @_ZN7rocprim17ROCPRIM_400000_NS6detail17trampoline_kernelINS0_14default_configENS1_20scan_config_selectorIiEEZZNS1_9scan_implILNS1_25lookback_scan_determinismE0ELb1ELb1ES3_N6thrust23THRUST_200600_302600_NS10device_ptrIiEESB_iNS9_4plusIvEEiEEDaPvRmT3_T4_T5_mT6_P12ihipStream_tbENKUlT_T0_E_clISt17integral_constantIbLb0EESR_EEDaSM_SN_EUlSM_E_NS1_11comp_targetILNS1_3genE10ELNS1_11target_archE1201ELNS1_3gpuE5ELNS1_3repE0EEENS1_30default_config_static_selectorELNS0_4arch9wavefront6targetE1EEEvT1_
; %bb.0:
	.section	.rodata,"a",@progbits
	.p2align	6, 0x0
	.amdhsa_kernel _ZN7rocprim17ROCPRIM_400000_NS6detail17trampoline_kernelINS0_14default_configENS1_20scan_config_selectorIiEEZZNS1_9scan_implILNS1_25lookback_scan_determinismE0ELb1ELb1ES3_N6thrust23THRUST_200600_302600_NS10device_ptrIiEESB_iNS9_4plusIvEEiEEDaPvRmT3_T4_T5_mT6_P12ihipStream_tbENKUlT_T0_E_clISt17integral_constantIbLb0EESR_EEDaSM_SN_EUlSM_E_NS1_11comp_targetILNS1_3genE10ELNS1_11target_archE1201ELNS1_3gpuE5ELNS1_3repE0EEENS1_30default_config_static_selectorELNS0_4arch9wavefront6targetE1EEEvT1_
		.amdhsa_group_segment_fixed_size 0
		.amdhsa_private_segment_fixed_size 0
		.amdhsa_kernarg_size 96
		.amdhsa_user_sgpr_count 6
		.amdhsa_user_sgpr_private_segment_buffer 1
		.amdhsa_user_sgpr_dispatch_ptr 0
		.amdhsa_user_sgpr_queue_ptr 0
		.amdhsa_user_sgpr_kernarg_segment_ptr 1
		.amdhsa_user_sgpr_dispatch_id 0
		.amdhsa_user_sgpr_flat_scratch_init 0
		.amdhsa_user_sgpr_kernarg_preload_length 0
		.amdhsa_user_sgpr_kernarg_preload_offset 0
		.amdhsa_user_sgpr_private_segment_size 0
		.amdhsa_uses_dynamic_stack 0
		.amdhsa_system_sgpr_private_segment_wavefront_offset 0
		.amdhsa_system_sgpr_workgroup_id_x 1
		.amdhsa_system_sgpr_workgroup_id_y 0
		.amdhsa_system_sgpr_workgroup_id_z 0
		.amdhsa_system_sgpr_workgroup_info 0
		.amdhsa_system_vgpr_workitem_id 0
		.amdhsa_next_free_vgpr 1
		.amdhsa_next_free_sgpr 0
		.amdhsa_accum_offset 4
		.amdhsa_reserve_vcc 0
		.amdhsa_reserve_flat_scratch 0
		.amdhsa_float_round_mode_32 0
		.amdhsa_float_round_mode_16_64 0
		.amdhsa_float_denorm_mode_32 3
		.amdhsa_float_denorm_mode_16_64 3
		.amdhsa_dx10_clamp 1
		.amdhsa_ieee_mode 1
		.amdhsa_fp16_overflow 0
		.amdhsa_tg_split 0
		.amdhsa_exception_fp_ieee_invalid_op 0
		.amdhsa_exception_fp_denorm_src 0
		.amdhsa_exception_fp_ieee_div_zero 0
		.amdhsa_exception_fp_ieee_overflow 0
		.amdhsa_exception_fp_ieee_underflow 0
		.amdhsa_exception_fp_ieee_inexact 0
		.amdhsa_exception_int_div_zero 0
	.end_amdhsa_kernel
	.section	.text._ZN7rocprim17ROCPRIM_400000_NS6detail17trampoline_kernelINS0_14default_configENS1_20scan_config_selectorIiEEZZNS1_9scan_implILNS1_25lookback_scan_determinismE0ELb1ELb1ES3_N6thrust23THRUST_200600_302600_NS10device_ptrIiEESB_iNS9_4plusIvEEiEEDaPvRmT3_T4_T5_mT6_P12ihipStream_tbENKUlT_T0_E_clISt17integral_constantIbLb0EESR_EEDaSM_SN_EUlSM_E_NS1_11comp_targetILNS1_3genE10ELNS1_11target_archE1201ELNS1_3gpuE5ELNS1_3repE0EEENS1_30default_config_static_selectorELNS0_4arch9wavefront6targetE1EEEvT1_,"axG",@progbits,_ZN7rocprim17ROCPRIM_400000_NS6detail17trampoline_kernelINS0_14default_configENS1_20scan_config_selectorIiEEZZNS1_9scan_implILNS1_25lookback_scan_determinismE0ELb1ELb1ES3_N6thrust23THRUST_200600_302600_NS10device_ptrIiEESB_iNS9_4plusIvEEiEEDaPvRmT3_T4_T5_mT6_P12ihipStream_tbENKUlT_T0_E_clISt17integral_constantIbLb0EESR_EEDaSM_SN_EUlSM_E_NS1_11comp_targetILNS1_3genE10ELNS1_11target_archE1201ELNS1_3gpuE5ELNS1_3repE0EEENS1_30default_config_static_selectorELNS0_4arch9wavefront6targetE1EEEvT1_,comdat
.Lfunc_end6827:
	.size	_ZN7rocprim17ROCPRIM_400000_NS6detail17trampoline_kernelINS0_14default_configENS1_20scan_config_selectorIiEEZZNS1_9scan_implILNS1_25lookback_scan_determinismE0ELb1ELb1ES3_N6thrust23THRUST_200600_302600_NS10device_ptrIiEESB_iNS9_4plusIvEEiEEDaPvRmT3_T4_T5_mT6_P12ihipStream_tbENKUlT_T0_E_clISt17integral_constantIbLb0EESR_EEDaSM_SN_EUlSM_E_NS1_11comp_targetILNS1_3genE10ELNS1_11target_archE1201ELNS1_3gpuE5ELNS1_3repE0EEENS1_30default_config_static_selectorELNS0_4arch9wavefront6targetE1EEEvT1_, .Lfunc_end6827-_ZN7rocprim17ROCPRIM_400000_NS6detail17trampoline_kernelINS0_14default_configENS1_20scan_config_selectorIiEEZZNS1_9scan_implILNS1_25lookback_scan_determinismE0ELb1ELb1ES3_N6thrust23THRUST_200600_302600_NS10device_ptrIiEESB_iNS9_4plusIvEEiEEDaPvRmT3_T4_T5_mT6_P12ihipStream_tbENKUlT_T0_E_clISt17integral_constantIbLb0EESR_EEDaSM_SN_EUlSM_E_NS1_11comp_targetILNS1_3genE10ELNS1_11target_archE1201ELNS1_3gpuE5ELNS1_3repE0EEENS1_30default_config_static_selectorELNS0_4arch9wavefront6targetE1EEEvT1_
                                        ; -- End function
	.section	.AMDGPU.csdata,"",@progbits
; Kernel info:
; codeLenInByte = 0
; NumSgprs: 4
; NumVgprs: 0
; NumAgprs: 0
; TotalNumVgprs: 0
; ScratchSize: 0
; MemoryBound: 0
; FloatMode: 240
; IeeeMode: 1
; LDSByteSize: 0 bytes/workgroup (compile time only)
; SGPRBlocks: 0
; VGPRBlocks: 0
; NumSGPRsForWavesPerEU: 4
; NumVGPRsForWavesPerEU: 1
; AccumOffset: 4
; Occupancy: 8
; WaveLimiterHint : 0
; COMPUTE_PGM_RSRC2:SCRATCH_EN: 0
; COMPUTE_PGM_RSRC2:USER_SGPR: 6
; COMPUTE_PGM_RSRC2:TRAP_HANDLER: 0
; COMPUTE_PGM_RSRC2:TGID_X_EN: 1
; COMPUTE_PGM_RSRC2:TGID_Y_EN: 0
; COMPUTE_PGM_RSRC2:TGID_Z_EN: 0
; COMPUTE_PGM_RSRC2:TIDIG_COMP_CNT: 0
; COMPUTE_PGM_RSRC3_GFX90A:ACCUM_OFFSET: 0
; COMPUTE_PGM_RSRC3_GFX90A:TG_SPLIT: 0
	.section	.text._ZN7rocprim17ROCPRIM_400000_NS6detail17trampoline_kernelINS0_14default_configENS1_20scan_config_selectorIiEEZZNS1_9scan_implILNS1_25lookback_scan_determinismE0ELb1ELb1ES3_N6thrust23THRUST_200600_302600_NS10device_ptrIiEESB_iNS9_4plusIvEEiEEDaPvRmT3_T4_T5_mT6_P12ihipStream_tbENKUlT_T0_E_clISt17integral_constantIbLb0EESR_EEDaSM_SN_EUlSM_E_NS1_11comp_targetILNS1_3genE10ELNS1_11target_archE1200ELNS1_3gpuE4ELNS1_3repE0EEENS1_30default_config_static_selectorELNS0_4arch9wavefront6targetE1EEEvT1_,"axG",@progbits,_ZN7rocprim17ROCPRIM_400000_NS6detail17trampoline_kernelINS0_14default_configENS1_20scan_config_selectorIiEEZZNS1_9scan_implILNS1_25lookback_scan_determinismE0ELb1ELb1ES3_N6thrust23THRUST_200600_302600_NS10device_ptrIiEESB_iNS9_4plusIvEEiEEDaPvRmT3_T4_T5_mT6_P12ihipStream_tbENKUlT_T0_E_clISt17integral_constantIbLb0EESR_EEDaSM_SN_EUlSM_E_NS1_11comp_targetILNS1_3genE10ELNS1_11target_archE1200ELNS1_3gpuE4ELNS1_3repE0EEENS1_30default_config_static_selectorELNS0_4arch9wavefront6targetE1EEEvT1_,comdat
	.protected	_ZN7rocprim17ROCPRIM_400000_NS6detail17trampoline_kernelINS0_14default_configENS1_20scan_config_selectorIiEEZZNS1_9scan_implILNS1_25lookback_scan_determinismE0ELb1ELb1ES3_N6thrust23THRUST_200600_302600_NS10device_ptrIiEESB_iNS9_4plusIvEEiEEDaPvRmT3_T4_T5_mT6_P12ihipStream_tbENKUlT_T0_E_clISt17integral_constantIbLb0EESR_EEDaSM_SN_EUlSM_E_NS1_11comp_targetILNS1_3genE10ELNS1_11target_archE1200ELNS1_3gpuE4ELNS1_3repE0EEENS1_30default_config_static_selectorELNS0_4arch9wavefront6targetE1EEEvT1_ ; -- Begin function _ZN7rocprim17ROCPRIM_400000_NS6detail17trampoline_kernelINS0_14default_configENS1_20scan_config_selectorIiEEZZNS1_9scan_implILNS1_25lookback_scan_determinismE0ELb1ELb1ES3_N6thrust23THRUST_200600_302600_NS10device_ptrIiEESB_iNS9_4plusIvEEiEEDaPvRmT3_T4_T5_mT6_P12ihipStream_tbENKUlT_T0_E_clISt17integral_constantIbLb0EESR_EEDaSM_SN_EUlSM_E_NS1_11comp_targetILNS1_3genE10ELNS1_11target_archE1200ELNS1_3gpuE4ELNS1_3repE0EEENS1_30default_config_static_selectorELNS0_4arch9wavefront6targetE1EEEvT1_
	.globl	_ZN7rocprim17ROCPRIM_400000_NS6detail17trampoline_kernelINS0_14default_configENS1_20scan_config_selectorIiEEZZNS1_9scan_implILNS1_25lookback_scan_determinismE0ELb1ELb1ES3_N6thrust23THRUST_200600_302600_NS10device_ptrIiEESB_iNS9_4plusIvEEiEEDaPvRmT3_T4_T5_mT6_P12ihipStream_tbENKUlT_T0_E_clISt17integral_constantIbLb0EESR_EEDaSM_SN_EUlSM_E_NS1_11comp_targetILNS1_3genE10ELNS1_11target_archE1200ELNS1_3gpuE4ELNS1_3repE0EEENS1_30default_config_static_selectorELNS0_4arch9wavefront6targetE1EEEvT1_
	.p2align	8
	.type	_ZN7rocprim17ROCPRIM_400000_NS6detail17trampoline_kernelINS0_14default_configENS1_20scan_config_selectorIiEEZZNS1_9scan_implILNS1_25lookback_scan_determinismE0ELb1ELb1ES3_N6thrust23THRUST_200600_302600_NS10device_ptrIiEESB_iNS9_4plusIvEEiEEDaPvRmT3_T4_T5_mT6_P12ihipStream_tbENKUlT_T0_E_clISt17integral_constantIbLb0EESR_EEDaSM_SN_EUlSM_E_NS1_11comp_targetILNS1_3genE10ELNS1_11target_archE1200ELNS1_3gpuE4ELNS1_3repE0EEENS1_30default_config_static_selectorELNS0_4arch9wavefront6targetE1EEEvT1_,@function
_ZN7rocprim17ROCPRIM_400000_NS6detail17trampoline_kernelINS0_14default_configENS1_20scan_config_selectorIiEEZZNS1_9scan_implILNS1_25lookback_scan_determinismE0ELb1ELb1ES3_N6thrust23THRUST_200600_302600_NS10device_ptrIiEESB_iNS9_4plusIvEEiEEDaPvRmT3_T4_T5_mT6_P12ihipStream_tbENKUlT_T0_E_clISt17integral_constantIbLb0EESR_EEDaSM_SN_EUlSM_E_NS1_11comp_targetILNS1_3genE10ELNS1_11target_archE1200ELNS1_3gpuE4ELNS1_3repE0EEENS1_30default_config_static_selectorELNS0_4arch9wavefront6targetE1EEEvT1_: ; @_ZN7rocprim17ROCPRIM_400000_NS6detail17trampoline_kernelINS0_14default_configENS1_20scan_config_selectorIiEEZZNS1_9scan_implILNS1_25lookback_scan_determinismE0ELb1ELb1ES3_N6thrust23THRUST_200600_302600_NS10device_ptrIiEESB_iNS9_4plusIvEEiEEDaPvRmT3_T4_T5_mT6_P12ihipStream_tbENKUlT_T0_E_clISt17integral_constantIbLb0EESR_EEDaSM_SN_EUlSM_E_NS1_11comp_targetILNS1_3genE10ELNS1_11target_archE1200ELNS1_3gpuE4ELNS1_3repE0EEENS1_30default_config_static_selectorELNS0_4arch9wavefront6targetE1EEEvT1_
; %bb.0:
	.section	.rodata,"a",@progbits
	.p2align	6, 0x0
	.amdhsa_kernel _ZN7rocprim17ROCPRIM_400000_NS6detail17trampoline_kernelINS0_14default_configENS1_20scan_config_selectorIiEEZZNS1_9scan_implILNS1_25lookback_scan_determinismE0ELb1ELb1ES3_N6thrust23THRUST_200600_302600_NS10device_ptrIiEESB_iNS9_4plusIvEEiEEDaPvRmT3_T4_T5_mT6_P12ihipStream_tbENKUlT_T0_E_clISt17integral_constantIbLb0EESR_EEDaSM_SN_EUlSM_E_NS1_11comp_targetILNS1_3genE10ELNS1_11target_archE1200ELNS1_3gpuE4ELNS1_3repE0EEENS1_30default_config_static_selectorELNS0_4arch9wavefront6targetE1EEEvT1_
		.amdhsa_group_segment_fixed_size 0
		.amdhsa_private_segment_fixed_size 0
		.amdhsa_kernarg_size 96
		.amdhsa_user_sgpr_count 6
		.amdhsa_user_sgpr_private_segment_buffer 1
		.amdhsa_user_sgpr_dispatch_ptr 0
		.amdhsa_user_sgpr_queue_ptr 0
		.amdhsa_user_sgpr_kernarg_segment_ptr 1
		.amdhsa_user_sgpr_dispatch_id 0
		.amdhsa_user_sgpr_flat_scratch_init 0
		.amdhsa_user_sgpr_kernarg_preload_length 0
		.amdhsa_user_sgpr_kernarg_preload_offset 0
		.amdhsa_user_sgpr_private_segment_size 0
		.amdhsa_uses_dynamic_stack 0
		.amdhsa_system_sgpr_private_segment_wavefront_offset 0
		.amdhsa_system_sgpr_workgroup_id_x 1
		.amdhsa_system_sgpr_workgroup_id_y 0
		.amdhsa_system_sgpr_workgroup_id_z 0
		.amdhsa_system_sgpr_workgroup_info 0
		.amdhsa_system_vgpr_workitem_id 0
		.amdhsa_next_free_vgpr 1
		.amdhsa_next_free_sgpr 0
		.amdhsa_accum_offset 4
		.amdhsa_reserve_vcc 0
		.amdhsa_reserve_flat_scratch 0
		.amdhsa_float_round_mode_32 0
		.amdhsa_float_round_mode_16_64 0
		.amdhsa_float_denorm_mode_32 3
		.amdhsa_float_denorm_mode_16_64 3
		.amdhsa_dx10_clamp 1
		.amdhsa_ieee_mode 1
		.amdhsa_fp16_overflow 0
		.amdhsa_tg_split 0
		.amdhsa_exception_fp_ieee_invalid_op 0
		.amdhsa_exception_fp_denorm_src 0
		.amdhsa_exception_fp_ieee_div_zero 0
		.amdhsa_exception_fp_ieee_overflow 0
		.amdhsa_exception_fp_ieee_underflow 0
		.amdhsa_exception_fp_ieee_inexact 0
		.amdhsa_exception_int_div_zero 0
	.end_amdhsa_kernel
	.section	.text._ZN7rocprim17ROCPRIM_400000_NS6detail17trampoline_kernelINS0_14default_configENS1_20scan_config_selectorIiEEZZNS1_9scan_implILNS1_25lookback_scan_determinismE0ELb1ELb1ES3_N6thrust23THRUST_200600_302600_NS10device_ptrIiEESB_iNS9_4plusIvEEiEEDaPvRmT3_T4_T5_mT6_P12ihipStream_tbENKUlT_T0_E_clISt17integral_constantIbLb0EESR_EEDaSM_SN_EUlSM_E_NS1_11comp_targetILNS1_3genE10ELNS1_11target_archE1200ELNS1_3gpuE4ELNS1_3repE0EEENS1_30default_config_static_selectorELNS0_4arch9wavefront6targetE1EEEvT1_,"axG",@progbits,_ZN7rocprim17ROCPRIM_400000_NS6detail17trampoline_kernelINS0_14default_configENS1_20scan_config_selectorIiEEZZNS1_9scan_implILNS1_25lookback_scan_determinismE0ELb1ELb1ES3_N6thrust23THRUST_200600_302600_NS10device_ptrIiEESB_iNS9_4plusIvEEiEEDaPvRmT3_T4_T5_mT6_P12ihipStream_tbENKUlT_T0_E_clISt17integral_constantIbLb0EESR_EEDaSM_SN_EUlSM_E_NS1_11comp_targetILNS1_3genE10ELNS1_11target_archE1200ELNS1_3gpuE4ELNS1_3repE0EEENS1_30default_config_static_selectorELNS0_4arch9wavefront6targetE1EEEvT1_,comdat
.Lfunc_end6828:
	.size	_ZN7rocprim17ROCPRIM_400000_NS6detail17trampoline_kernelINS0_14default_configENS1_20scan_config_selectorIiEEZZNS1_9scan_implILNS1_25lookback_scan_determinismE0ELb1ELb1ES3_N6thrust23THRUST_200600_302600_NS10device_ptrIiEESB_iNS9_4plusIvEEiEEDaPvRmT3_T4_T5_mT6_P12ihipStream_tbENKUlT_T0_E_clISt17integral_constantIbLb0EESR_EEDaSM_SN_EUlSM_E_NS1_11comp_targetILNS1_3genE10ELNS1_11target_archE1200ELNS1_3gpuE4ELNS1_3repE0EEENS1_30default_config_static_selectorELNS0_4arch9wavefront6targetE1EEEvT1_, .Lfunc_end6828-_ZN7rocprim17ROCPRIM_400000_NS6detail17trampoline_kernelINS0_14default_configENS1_20scan_config_selectorIiEEZZNS1_9scan_implILNS1_25lookback_scan_determinismE0ELb1ELb1ES3_N6thrust23THRUST_200600_302600_NS10device_ptrIiEESB_iNS9_4plusIvEEiEEDaPvRmT3_T4_T5_mT6_P12ihipStream_tbENKUlT_T0_E_clISt17integral_constantIbLb0EESR_EEDaSM_SN_EUlSM_E_NS1_11comp_targetILNS1_3genE10ELNS1_11target_archE1200ELNS1_3gpuE4ELNS1_3repE0EEENS1_30default_config_static_selectorELNS0_4arch9wavefront6targetE1EEEvT1_
                                        ; -- End function
	.section	.AMDGPU.csdata,"",@progbits
; Kernel info:
; codeLenInByte = 0
; NumSgprs: 4
; NumVgprs: 0
; NumAgprs: 0
; TotalNumVgprs: 0
; ScratchSize: 0
; MemoryBound: 0
; FloatMode: 240
; IeeeMode: 1
; LDSByteSize: 0 bytes/workgroup (compile time only)
; SGPRBlocks: 0
; VGPRBlocks: 0
; NumSGPRsForWavesPerEU: 4
; NumVGPRsForWavesPerEU: 1
; AccumOffset: 4
; Occupancy: 8
; WaveLimiterHint : 0
; COMPUTE_PGM_RSRC2:SCRATCH_EN: 0
; COMPUTE_PGM_RSRC2:USER_SGPR: 6
; COMPUTE_PGM_RSRC2:TRAP_HANDLER: 0
; COMPUTE_PGM_RSRC2:TGID_X_EN: 1
; COMPUTE_PGM_RSRC2:TGID_Y_EN: 0
; COMPUTE_PGM_RSRC2:TGID_Z_EN: 0
; COMPUTE_PGM_RSRC2:TIDIG_COMP_CNT: 0
; COMPUTE_PGM_RSRC3_GFX90A:ACCUM_OFFSET: 0
; COMPUTE_PGM_RSRC3_GFX90A:TG_SPLIT: 0
	.section	.text._ZN7rocprim17ROCPRIM_400000_NS6detail17trampoline_kernelINS0_14default_configENS1_20scan_config_selectorIiEEZZNS1_9scan_implILNS1_25lookback_scan_determinismE0ELb1ELb1ES3_N6thrust23THRUST_200600_302600_NS10device_ptrIiEESB_iNS9_4plusIvEEiEEDaPvRmT3_T4_T5_mT6_P12ihipStream_tbENKUlT_T0_E_clISt17integral_constantIbLb0EESR_EEDaSM_SN_EUlSM_E_NS1_11comp_targetILNS1_3genE9ELNS1_11target_archE1100ELNS1_3gpuE3ELNS1_3repE0EEENS1_30default_config_static_selectorELNS0_4arch9wavefront6targetE1EEEvT1_,"axG",@progbits,_ZN7rocprim17ROCPRIM_400000_NS6detail17trampoline_kernelINS0_14default_configENS1_20scan_config_selectorIiEEZZNS1_9scan_implILNS1_25lookback_scan_determinismE0ELb1ELb1ES3_N6thrust23THRUST_200600_302600_NS10device_ptrIiEESB_iNS9_4plusIvEEiEEDaPvRmT3_T4_T5_mT6_P12ihipStream_tbENKUlT_T0_E_clISt17integral_constantIbLb0EESR_EEDaSM_SN_EUlSM_E_NS1_11comp_targetILNS1_3genE9ELNS1_11target_archE1100ELNS1_3gpuE3ELNS1_3repE0EEENS1_30default_config_static_selectorELNS0_4arch9wavefront6targetE1EEEvT1_,comdat
	.protected	_ZN7rocprim17ROCPRIM_400000_NS6detail17trampoline_kernelINS0_14default_configENS1_20scan_config_selectorIiEEZZNS1_9scan_implILNS1_25lookback_scan_determinismE0ELb1ELb1ES3_N6thrust23THRUST_200600_302600_NS10device_ptrIiEESB_iNS9_4plusIvEEiEEDaPvRmT3_T4_T5_mT6_P12ihipStream_tbENKUlT_T0_E_clISt17integral_constantIbLb0EESR_EEDaSM_SN_EUlSM_E_NS1_11comp_targetILNS1_3genE9ELNS1_11target_archE1100ELNS1_3gpuE3ELNS1_3repE0EEENS1_30default_config_static_selectorELNS0_4arch9wavefront6targetE1EEEvT1_ ; -- Begin function _ZN7rocprim17ROCPRIM_400000_NS6detail17trampoline_kernelINS0_14default_configENS1_20scan_config_selectorIiEEZZNS1_9scan_implILNS1_25lookback_scan_determinismE0ELb1ELb1ES3_N6thrust23THRUST_200600_302600_NS10device_ptrIiEESB_iNS9_4plusIvEEiEEDaPvRmT3_T4_T5_mT6_P12ihipStream_tbENKUlT_T0_E_clISt17integral_constantIbLb0EESR_EEDaSM_SN_EUlSM_E_NS1_11comp_targetILNS1_3genE9ELNS1_11target_archE1100ELNS1_3gpuE3ELNS1_3repE0EEENS1_30default_config_static_selectorELNS0_4arch9wavefront6targetE1EEEvT1_
	.globl	_ZN7rocprim17ROCPRIM_400000_NS6detail17trampoline_kernelINS0_14default_configENS1_20scan_config_selectorIiEEZZNS1_9scan_implILNS1_25lookback_scan_determinismE0ELb1ELb1ES3_N6thrust23THRUST_200600_302600_NS10device_ptrIiEESB_iNS9_4plusIvEEiEEDaPvRmT3_T4_T5_mT6_P12ihipStream_tbENKUlT_T0_E_clISt17integral_constantIbLb0EESR_EEDaSM_SN_EUlSM_E_NS1_11comp_targetILNS1_3genE9ELNS1_11target_archE1100ELNS1_3gpuE3ELNS1_3repE0EEENS1_30default_config_static_selectorELNS0_4arch9wavefront6targetE1EEEvT1_
	.p2align	8
	.type	_ZN7rocprim17ROCPRIM_400000_NS6detail17trampoline_kernelINS0_14default_configENS1_20scan_config_selectorIiEEZZNS1_9scan_implILNS1_25lookback_scan_determinismE0ELb1ELb1ES3_N6thrust23THRUST_200600_302600_NS10device_ptrIiEESB_iNS9_4plusIvEEiEEDaPvRmT3_T4_T5_mT6_P12ihipStream_tbENKUlT_T0_E_clISt17integral_constantIbLb0EESR_EEDaSM_SN_EUlSM_E_NS1_11comp_targetILNS1_3genE9ELNS1_11target_archE1100ELNS1_3gpuE3ELNS1_3repE0EEENS1_30default_config_static_selectorELNS0_4arch9wavefront6targetE1EEEvT1_,@function
_ZN7rocprim17ROCPRIM_400000_NS6detail17trampoline_kernelINS0_14default_configENS1_20scan_config_selectorIiEEZZNS1_9scan_implILNS1_25lookback_scan_determinismE0ELb1ELb1ES3_N6thrust23THRUST_200600_302600_NS10device_ptrIiEESB_iNS9_4plusIvEEiEEDaPvRmT3_T4_T5_mT6_P12ihipStream_tbENKUlT_T0_E_clISt17integral_constantIbLb0EESR_EEDaSM_SN_EUlSM_E_NS1_11comp_targetILNS1_3genE9ELNS1_11target_archE1100ELNS1_3gpuE3ELNS1_3repE0EEENS1_30default_config_static_selectorELNS0_4arch9wavefront6targetE1EEEvT1_: ; @_ZN7rocprim17ROCPRIM_400000_NS6detail17trampoline_kernelINS0_14default_configENS1_20scan_config_selectorIiEEZZNS1_9scan_implILNS1_25lookback_scan_determinismE0ELb1ELb1ES3_N6thrust23THRUST_200600_302600_NS10device_ptrIiEESB_iNS9_4plusIvEEiEEDaPvRmT3_T4_T5_mT6_P12ihipStream_tbENKUlT_T0_E_clISt17integral_constantIbLb0EESR_EEDaSM_SN_EUlSM_E_NS1_11comp_targetILNS1_3genE9ELNS1_11target_archE1100ELNS1_3gpuE3ELNS1_3repE0EEENS1_30default_config_static_selectorELNS0_4arch9wavefront6targetE1EEEvT1_
; %bb.0:
	.section	.rodata,"a",@progbits
	.p2align	6, 0x0
	.amdhsa_kernel _ZN7rocprim17ROCPRIM_400000_NS6detail17trampoline_kernelINS0_14default_configENS1_20scan_config_selectorIiEEZZNS1_9scan_implILNS1_25lookback_scan_determinismE0ELb1ELb1ES3_N6thrust23THRUST_200600_302600_NS10device_ptrIiEESB_iNS9_4plusIvEEiEEDaPvRmT3_T4_T5_mT6_P12ihipStream_tbENKUlT_T0_E_clISt17integral_constantIbLb0EESR_EEDaSM_SN_EUlSM_E_NS1_11comp_targetILNS1_3genE9ELNS1_11target_archE1100ELNS1_3gpuE3ELNS1_3repE0EEENS1_30default_config_static_selectorELNS0_4arch9wavefront6targetE1EEEvT1_
		.amdhsa_group_segment_fixed_size 0
		.amdhsa_private_segment_fixed_size 0
		.amdhsa_kernarg_size 96
		.amdhsa_user_sgpr_count 6
		.amdhsa_user_sgpr_private_segment_buffer 1
		.amdhsa_user_sgpr_dispatch_ptr 0
		.amdhsa_user_sgpr_queue_ptr 0
		.amdhsa_user_sgpr_kernarg_segment_ptr 1
		.amdhsa_user_sgpr_dispatch_id 0
		.amdhsa_user_sgpr_flat_scratch_init 0
		.amdhsa_user_sgpr_kernarg_preload_length 0
		.amdhsa_user_sgpr_kernarg_preload_offset 0
		.amdhsa_user_sgpr_private_segment_size 0
		.amdhsa_uses_dynamic_stack 0
		.amdhsa_system_sgpr_private_segment_wavefront_offset 0
		.amdhsa_system_sgpr_workgroup_id_x 1
		.amdhsa_system_sgpr_workgroup_id_y 0
		.amdhsa_system_sgpr_workgroup_id_z 0
		.amdhsa_system_sgpr_workgroup_info 0
		.amdhsa_system_vgpr_workitem_id 0
		.amdhsa_next_free_vgpr 1
		.amdhsa_next_free_sgpr 0
		.amdhsa_accum_offset 4
		.amdhsa_reserve_vcc 0
		.amdhsa_reserve_flat_scratch 0
		.amdhsa_float_round_mode_32 0
		.amdhsa_float_round_mode_16_64 0
		.amdhsa_float_denorm_mode_32 3
		.amdhsa_float_denorm_mode_16_64 3
		.amdhsa_dx10_clamp 1
		.amdhsa_ieee_mode 1
		.amdhsa_fp16_overflow 0
		.amdhsa_tg_split 0
		.amdhsa_exception_fp_ieee_invalid_op 0
		.amdhsa_exception_fp_denorm_src 0
		.amdhsa_exception_fp_ieee_div_zero 0
		.amdhsa_exception_fp_ieee_overflow 0
		.amdhsa_exception_fp_ieee_underflow 0
		.amdhsa_exception_fp_ieee_inexact 0
		.amdhsa_exception_int_div_zero 0
	.end_amdhsa_kernel
	.section	.text._ZN7rocprim17ROCPRIM_400000_NS6detail17trampoline_kernelINS0_14default_configENS1_20scan_config_selectorIiEEZZNS1_9scan_implILNS1_25lookback_scan_determinismE0ELb1ELb1ES3_N6thrust23THRUST_200600_302600_NS10device_ptrIiEESB_iNS9_4plusIvEEiEEDaPvRmT3_T4_T5_mT6_P12ihipStream_tbENKUlT_T0_E_clISt17integral_constantIbLb0EESR_EEDaSM_SN_EUlSM_E_NS1_11comp_targetILNS1_3genE9ELNS1_11target_archE1100ELNS1_3gpuE3ELNS1_3repE0EEENS1_30default_config_static_selectorELNS0_4arch9wavefront6targetE1EEEvT1_,"axG",@progbits,_ZN7rocprim17ROCPRIM_400000_NS6detail17trampoline_kernelINS0_14default_configENS1_20scan_config_selectorIiEEZZNS1_9scan_implILNS1_25lookback_scan_determinismE0ELb1ELb1ES3_N6thrust23THRUST_200600_302600_NS10device_ptrIiEESB_iNS9_4plusIvEEiEEDaPvRmT3_T4_T5_mT6_P12ihipStream_tbENKUlT_T0_E_clISt17integral_constantIbLb0EESR_EEDaSM_SN_EUlSM_E_NS1_11comp_targetILNS1_3genE9ELNS1_11target_archE1100ELNS1_3gpuE3ELNS1_3repE0EEENS1_30default_config_static_selectorELNS0_4arch9wavefront6targetE1EEEvT1_,comdat
.Lfunc_end6829:
	.size	_ZN7rocprim17ROCPRIM_400000_NS6detail17trampoline_kernelINS0_14default_configENS1_20scan_config_selectorIiEEZZNS1_9scan_implILNS1_25lookback_scan_determinismE0ELb1ELb1ES3_N6thrust23THRUST_200600_302600_NS10device_ptrIiEESB_iNS9_4plusIvEEiEEDaPvRmT3_T4_T5_mT6_P12ihipStream_tbENKUlT_T0_E_clISt17integral_constantIbLb0EESR_EEDaSM_SN_EUlSM_E_NS1_11comp_targetILNS1_3genE9ELNS1_11target_archE1100ELNS1_3gpuE3ELNS1_3repE0EEENS1_30default_config_static_selectorELNS0_4arch9wavefront6targetE1EEEvT1_, .Lfunc_end6829-_ZN7rocprim17ROCPRIM_400000_NS6detail17trampoline_kernelINS0_14default_configENS1_20scan_config_selectorIiEEZZNS1_9scan_implILNS1_25lookback_scan_determinismE0ELb1ELb1ES3_N6thrust23THRUST_200600_302600_NS10device_ptrIiEESB_iNS9_4plusIvEEiEEDaPvRmT3_T4_T5_mT6_P12ihipStream_tbENKUlT_T0_E_clISt17integral_constantIbLb0EESR_EEDaSM_SN_EUlSM_E_NS1_11comp_targetILNS1_3genE9ELNS1_11target_archE1100ELNS1_3gpuE3ELNS1_3repE0EEENS1_30default_config_static_selectorELNS0_4arch9wavefront6targetE1EEEvT1_
                                        ; -- End function
	.section	.AMDGPU.csdata,"",@progbits
; Kernel info:
; codeLenInByte = 0
; NumSgprs: 4
; NumVgprs: 0
; NumAgprs: 0
; TotalNumVgprs: 0
; ScratchSize: 0
; MemoryBound: 0
; FloatMode: 240
; IeeeMode: 1
; LDSByteSize: 0 bytes/workgroup (compile time only)
; SGPRBlocks: 0
; VGPRBlocks: 0
; NumSGPRsForWavesPerEU: 4
; NumVGPRsForWavesPerEU: 1
; AccumOffset: 4
; Occupancy: 8
; WaveLimiterHint : 0
; COMPUTE_PGM_RSRC2:SCRATCH_EN: 0
; COMPUTE_PGM_RSRC2:USER_SGPR: 6
; COMPUTE_PGM_RSRC2:TRAP_HANDLER: 0
; COMPUTE_PGM_RSRC2:TGID_X_EN: 1
; COMPUTE_PGM_RSRC2:TGID_Y_EN: 0
; COMPUTE_PGM_RSRC2:TGID_Z_EN: 0
; COMPUTE_PGM_RSRC2:TIDIG_COMP_CNT: 0
; COMPUTE_PGM_RSRC3_GFX90A:ACCUM_OFFSET: 0
; COMPUTE_PGM_RSRC3_GFX90A:TG_SPLIT: 0
	.section	.text._ZN7rocprim17ROCPRIM_400000_NS6detail17trampoline_kernelINS0_14default_configENS1_20scan_config_selectorIiEEZZNS1_9scan_implILNS1_25lookback_scan_determinismE0ELb1ELb1ES3_N6thrust23THRUST_200600_302600_NS10device_ptrIiEESB_iNS9_4plusIvEEiEEDaPvRmT3_T4_T5_mT6_P12ihipStream_tbENKUlT_T0_E_clISt17integral_constantIbLb0EESR_EEDaSM_SN_EUlSM_E_NS1_11comp_targetILNS1_3genE8ELNS1_11target_archE1030ELNS1_3gpuE2ELNS1_3repE0EEENS1_30default_config_static_selectorELNS0_4arch9wavefront6targetE1EEEvT1_,"axG",@progbits,_ZN7rocprim17ROCPRIM_400000_NS6detail17trampoline_kernelINS0_14default_configENS1_20scan_config_selectorIiEEZZNS1_9scan_implILNS1_25lookback_scan_determinismE0ELb1ELb1ES3_N6thrust23THRUST_200600_302600_NS10device_ptrIiEESB_iNS9_4plusIvEEiEEDaPvRmT3_T4_T5_mT6_P12ihipStream_tbENKUlT_T0_E_clISt17integral_constantIbLb0EESR_EEDaSM_SN_EUlSM_E_NS1_11comp_targetILNS1_3genE8ELNS1_11target_archE1030ELNS1_3gpuE2ELNS1_3repE0EEENS1_30default_config_static_selectorELNS0_4arch9wavefront6targetE1EEEvT1_,comdat
	.protected	_ZN7rocprim17ROCPRIM_400000_NS6detail17trampoline_kernelINS0_14default_configENS1_20scan_config_selectorIiEEZZNS1_9scan_implILNS1_25lookback_scan_determinismE0ELb1ELb1ES3_N6thrust23THRUST_200600_302600_NS10device_ptrIiEESB_iNS9_4plusIvEEiEEDaPvRmT3_T4_T5_mT6_P12ihipStream_tbENKUlT_T0_E_clISt17integral_constantIbLb0EESR_EEDaSM_SN_EUlSM_E_NS1_11comp_targetILNS1_3genE8ELNS1_11target_archE1030ELNS1_3gpuE2ELNS1_3repE0EEENS1_30default_config_static_selectorELNS0_4arch9wavefront6targetE1EEEvT1_ ; -- Begin function _ZN7rocprim17ROCPRIM_400000_NS6detail17trampoline_kernelINS0_14default_configENS1_20scan_config_selectorIiEEZZNS1_9scan_implILNS1_25lookback_scan_determinismE0ELb1ELb1ES3_N6thrust23THRUST_200600_302600_NS10device_ptrIiEESB_iNS9_4plusIvEEiEEDaPvRmT3_T4_T5_mT6_P12ihipStream_tbENKUlT_T0_E_clISt17integral_constantIbLb0EESR_EEDaSM_SN_EUlSM_E_NS1_11comp_targetILNS1_3genE8ELNS1_11target_archE1030ELNS1_3gpuE2ELNS1_3repE0EEENS1_30default_config_static_selectorELNS0_4arch9wavefront6targetE1EEEvT1_
	.globl	_ZN7rocprim17ROCPRIM_400000_NS6detail17trampoline_kernelINS0_14default_configENS1_20scan_config_selectorIiEEZZNS1_9scan_implILNS1_25lookback_scan_determinismE0ELb1ELb1ES3_N6thrust23THRUST_200600_302600_NS10device_ptrIiEESB_iNS9_4plusIvEEiEEDaPvRmT3_T4_T5_mT6_P12ihipStream_tbENKUlT_T0_E_clISt17integral_constantIbLb0EESR_EEDaSM_SN_EUlSM_E_NS1_11comp_targetILNS1_3genE8ELNS1_11target_archE1030ELNS1_3gpuE2ELNS1_3repE0EEENS1_30default_config_static_selectorELNS0_4arch9wavefront6targetE1EEEvT1_
	.p2align	8
	.type	_ZN7rocprim17ROCPRIM_400000_NS6detail17trampoline_kernelINS0_14default_configENS1_20scan_config_selectorIiEEZZNS1_9scan_implILNS1_25lookback_scan_determinismE0ELb1ELb1ES3_N6thrust23THRUST_200600_302600_NS10device_ptrIiEESB_iNS9_4plusIvEEiEEDaPvRmT3_T4_T5_mT6_P12ihipStream_tbENKUlT_T0_E_clISt17integral_constantIbLb0EESR_EEDaSM_SN_EUlSM_E_NS1_11comp_targetILNS1_3genE8ELNS1_11target_archE1030ELNS1_3gpuE2ELNS1_3repE0EEENS1_30default_config_static_selectorELNS0_4arch9wavefront6targetE1EEEvT1_,@function
_ZN7rocprim17ROCPRIM_400000_NS6detail17trampoline_kernelINS0_14default_configENS1_20scan_config_selectorIiEEZZNS1_9scan_implILNS1_25lookback_scan_determinismE0ELb1ELb1ES3_N6thrust23THRUST_200600_302600_NS10device_ptrIiEESB_iNS9_4plusIvEEiEEDaPvRmT3_T4_T5_mT6_P12ihipStream_tbENKUlT_T0_E_clISt17integral_constantIbLb0EESR_EEDaSM_SN_EUlSM_E_NS1_11comp_targetILNS1_3genE8ELNS1_11target_archE1030ELNS1_3gpuE2ELNS1_3repE0EEENS1_30default_config_static_selectorELNS0_4arch9wavefront6targetE1EEEvT1_: ; @_ZN7rocprim17ROCPRIM_400000_NS6detail17trampoline_kernelINS0_14default_configENS1_20scan_config_selectorIiEEZZNS1_9scan_implILNS1_25lookback_scan_determinismE0ELb1ELb1ES3_N6thrust23THRUST_200600_302600_NS10device_ptrIiEESB_iNS9_4plusIvEEiEEDaPvRmT3_T4_T5_mT6_P12ihipStream_tbENKUlT_T0_E_clISt17integral_constantIbLb0EESR_EEDaSM_SN_EUlSM_E_NS1_11comp_targetILNS1_3genE8ELNS1_11target_archE1030ELNS1_3gpuE2ELNS1_3repE0EEENS1_30default_config_static_selectorELNS0_4arch9wavefront6targetE1EEEvT1_
; %bb.0:
	.section	.rodata,"a",@progbits
	.p2align	6, 0x0
	.amdhsa_kernel _ZN7rocprim17ROCPRIM_400000_NS6detail17trampoline_kernelINS0_14default_configENS1_20scan_config_selectorIiEEZZNS1_9scan_implILNS1_25lookback_scan_determinismE0ELb1ELb1ES3_N6thrust23THRUST_200600_302600_NS10device_ptrIiEESB_iNS9_4plusIvEEiEEDaPvRmT3_T4_T5_mT6_P12ihipStream_tbENKUlT_T0_E_clISt17integral_constantIbLb0EESR_EEDaSM_SN_EUlSM_E_NS1_11comp_targetILNS1_3genE8ELNS1_11target_archE1030ELNS1_3gpuE2ELNS1_3repE0EEENS1_30default_config_static_selectorELNS0_4arch9wavefront6targetE1EEEvT1_
		.amdhsa_group_segment_fixed_size 0
		.amdhsa_private_segment_fixed_size 0
		.amdhsa_kernarg_size 96
		.amdhsa_user_sgpr_count 6
		.amdhsa_user_sgpr_private_segment_buffer 1
		.amdhsa_user_sgpr_dispatch_ptr 0
		.amdhsa_user_sgpr_queue_ptr 0
		.amdhsa_user_sgpr_kernarg_segment_ptr 1
		.amdhsa_user_sgpr_dispatch_id 0
		.amdhsa_user_sgpr_flat_scratch_init 0
		.amdhsa_user_sgpr_kernarg_preload_length 0
		.amdhsa_user_sgpr_kernarg_preload_offset 0
		.amdhsa_user_sgpr_private_segment_size 0
		.amdhsa_uses_dynamic_stack 0
		.amdhsa_system_sgpr_private_segment_wavefront_offset 0
		.amdhsa_system_sgpr_workgroup_id_x 1
		.amdhsa_system_sgpr_workgroup_id_y 0
		.amdhsa_system_sgpr_workgroup_id_z 0
		.amdhsa_system_sgpr_workgroup_info 0
		.amdhsa_system_vgpr_workitem_id 0
		.amdhsa_next_free_vgpr 1
		.amdhsa_next_free_sgpr 0
		.amdhsa_accum_offset 4
		.amdhsa_reserve_vcc 0
		.amdhsa_reserve_flat_scratch 0
		.amdhsa_float_round_mode_32 0
		.amdhsa_float_round_mode_16_64 0
		.amdhsa_float_denorm_mode_32 3
		.amdhsa_float_denorm_mode_16_64 3
		.amdhsa_dx10_clamp 1
		.amdhsa_ieee_mode 1
		.amdhsa_fp16_overflow 0
		.amdhsa_tg_split 0
		.amdhsa_exception_fp_ieee_invalid_op 0
		.amdhsa_exception_fp_denorm_src 0
		.amdhsa_exception_fp_ieee_div_zero 0
		.amdhsa_exception_fp_ieee_overflow 0
		.amdhsa_exception_fp_ieee_underflow 0
		.amdhsa_exception_fp_ieee_inexact 0
		.amdhsa_exception_int_div_zero 0
	.end_amdhsa_kernel
	.section	.text._ZN7rocprim17ROCPRIM_400000_NS6detail17trampoline_kernelINS0_14default_configENS1_20scan_config_selectorIiEEZZNS1_9scan_implILNS1_25lookback_scan_determinismE0ELb1ELb1ES3_N6thrust23THRUST_200600_302600_NS10device_ptrIiEESB_iNS9_4plusIvEEiEEDaPvRmT3_T4_T5_mT6_P12ihipStream_tbENKUlT_T0_E_clISt17integral_constantIbLb0EESR_EEDaSM_SN_EUlSM_E_NS1_11comp_targetILNS1_3genE8ELNS1_11target_archE1030ELNS1_3gpuE2ELNS1_3repE0EEENS1_30default_config_static_selectorELNS0_4arch9wavefront6targetE1EEEvT1_,"axG",@progbits,_ZN7rocprim17ROCPRIM_400000_NS6detail17trampoline_kernelINS0_14default_configENS1_20scan_config_selectorIiEEZZNS1_9scan_implILNS1_25lookback_scan_determinismE0ELb1ELb1ES3_N6thrust23THRUST_200600_302600_NS10device_ptrIiEESB_iNS9_4plusIvEEiEEDaPvRmT3_T4_T5_mT6_P12ihipStream_tbENKUlT_T0_E_clISt17integral_constantIbLb0EESR_EEDaSM_SN_EUlSM_E_NS1_11comp_targetILNS1_3genE8ELNS1_11target_archE1030ELNS1_3gpuE2ELNS1_3repE0EEENS1_30default_config_static_selectorELNS0_4arch9wavefront6targetE1EEEvT1_,comdat
.Lfunc_end6830:
	.size	_ZN7rocprim17ROCPRIM_400000_NS6detail17trampoline_kernelINS0_14default_configENS1_20scan_config_selectorIiEEZZNS1_9scan_implILNS1_25lookback_scan_determinismE0ELb1ELb1ES3_N6thrust23THRUST_200600_302600_NS10device_ptrIiEESB_iNS9_4plusIvEEiEEDaPvRmT3_T4_T5_mT6_P12ihipStream_tbENKUlT_T0_E_clISt17integral_constantIbLb0EESR_EEDaSM_SN_EUlSM_E_NS1_11comp_targetILNS1_3genE8ELNS1_11target_archE1030ELNS1_3gpuE2ELNS1_3repE0EEENS1_30default_config_static_selectorELNS0_4arch9wavefront6targetE1EEEvT1_, .Lfunc_end6830-_ZN7rocprim17ROCPRIM_400000_NS6detail17trampoline_kernelINS0_14default_configENS1_20scan_config_selectorIiEEZZNS1_9scan_implILNS1_25lookback_scan_determinismE0ELb1ELb1ES3_N6thrust23THRUST_200600_302600_NS10device_ptrIiEESB_iNS9_4plusIvEEiEEDaPvRmT3_T4_T5_mT6_P12ihipStream_tbENKUlT_T0_E_clISt17integral_constantIbLb0EESR_EEDaSM_SN_EUlSM_E_NS1_11comp_targetILNS1_3genE8ELNS1_11target_archE1030ELNS1_3gpuE2ELNS1_3repE0EEENS1_30default_config_static_selectorELNS0_4arch9wavefront6targetE1EEEvT1_
                                        ; -- End function
	.section	.AMDGPU.csdata,"",@progbits
; Kernel info:
; codeLenInByte = 0
; NumSgprs: 4
; NumVgprs: 0
; NumAgprs: 0
; TotalNumVgprs: 0
; ScratchSize: 0
; MemoryBound: 0
; FloatMode: 240
; IeeeMode: 1
; LDSByteSize: 0 bytes/workgroup (compile time only)
; SGPRBlocks: 0
; VGPRBlocks: 0
; NumSGPRsForWavesPerEU: 4
; NumVGPRsForWavesPerEU: 1
; AccumOffset: 4
; Occupancy: 8
; WaveLimiterHint : 0
; COMPUTE_PGM_RSRC2:SCRATCH_EN: 0
; COMPUTE_PGM_RSRC2:USER_SGPR: 6
; COMPUTE_PGM_RSRC2:TRAP_HANDLER: 0
; COMPUTE_PGM_RSRC2:TGID_X_EN: 1
; COMPUTE_PGM_RSRC2:TGID_Y_EN: 0
; COMPUTE_PGM_RSRC2:TGID_Z_EN: 0
; COMPUTE_PGM_RSRC2:TIDIG_COMP_CNT: 0
; COMPUTE_PGM_RSRC3_GFX90A:ACCUM_OFFSET: 0
; COMPUTE_PGM_RSRC3_GFX90A:TG_SPLIT: 0
	.section	.text._ZN7rocprim17ROCPRIM_400000_NS6detail17trampoline_kernelINS0_14default_configENS1_20scan_config_selectorIiEEZZNS1_9scan_implILNS1_25lookback_scan_determinismE0ELb1ELb1ES3_N6thrust23THRUST_200600_302600_NS10device_ptrIiEESB_iNS9_4plusIvEEiEEDaPvRmT3_T4_T5_mT6_P12ihipStream_tbENKUlT_T0_E_clISt17integral_constantIbLb0EESR_EEDaSM_SN_EUlSM_E0_NS1_11comp_targetILNS1_3genE0ELNS1_11target_archE4294967295ELNS1_3gpuE0ELNS1_3repE0EEENS1_30default_config_static_selectorELNS0_4arch9wavefront6targetE1EEEvT1_,"axG",@progbits,_ZN7rocprim17ROCPRIM_400000_NS6detail17trampoline_kernelINS0_14default_configENS1_20scan_config_selectorIiEEZZNS1_9scan_implILNS1_25lookback_scan_determinismE0ELb1ELb1ES3_N6thrust23THRUST_200600_302600_NS10device_ptrIiEESB_iNS9_4plusIvEEiEEDaPvRmT3_T4_T5_mT6_P12ihipStream_tbENKUlT_T0_E_clISt17integral_constantIbLb0EESR_EEDaSM_SN_EUlSM_E0_NS1_11comp_targetILNS1_3genE0ELNS1_11target_archE4294967295ELNS1_3gpuE0ELNS1_3repE0EEENS1_30default_config_static_selectorELNS0_4arch9wavefront6targetE1EEEvT1_,comdat
	.protected	_ZN7rocprim17ROCPRIM_400000_NS6detail17trampoline_kernelINS0_14default_configENS1_20scan_config_selectorIiEEZZNS1_9scan_implILNS1_25lookback_scan_determinismE0ELb1ELb1ES3_N6thrust23THRUST_200600_302600_NS10device_ptrIiEESB_iNS9_4plusIvEEiEEDaPvRmT3_T4_T5_mT6_P12ihipStream_tbENKUlT_T0_E_clISt17integral_constantIbLb0EESR_EEDaSM_SN_EUlSM_E0_NS1_11comp_targetILNS1_3genE0ELNS1_11target_archE4294967295ELNS1_3gpuE0ELNS1_3repE0EEENS1_30default_config_static_selectorELNS0_4arch9wavefront6targetE1EEEvT1_ ; -- Begin function _ZN7rocprim17ROCPRIM_400000_NS6detail17trampoline_kernelINS0_14default_configENS1_20scan_config_selectorIiEEZZNS1_9scan_implILNS1_25lookback_scan_determinismE0ELb1ELb1ES3_N6thrust23THRUST_200600_302600_NS10device_ptrIiEESB_iNS9_4plusIvEEiEEDaPvRmT3_T4_T5_mT6_P12ihipStream_tbENKUlT_T0_E_clISt17integral_constantIbLb0EESR_EEDaSM_SN_EUlSM_E0_NS1_11comp_targetILNS1_3genE0ELNS1_11target_archE4294967295ELNS1_3gpuE0ELNS1_3repE0EEENS1_30default_config_static_selectorELNS0_4arch9wavefront6targetE1EEEvT1_
	.globl	_ZN7rocprim17ROCPRIM_400000_NS6detail17trampoline_kernelINS0_14default_configENS1_20scan_config_selectorIiEEZZNS1_9scan_implILNS1_25lookback_scan_determinismE0ELb1ELb1ES3_N6thrust23THRUST_200600_302600_NS10device_ptrIiEESB_iNS9_4plusIvEEiEEDaPvRmT3_T4_T5_mT6_P12ihipStream_tbENKUlT_T0_E_clISt17integral_constantIbLb0EESR_EEDaSM_SN_EUlSM_E0_NS1_11comp_targetILNS1_3genE0ELNS1_11target_archE4294967295ELNS1_3gpuE0ELNS1_3repE0EEENS1_30default_config_static_selectorELNS0_4arch9wavefront6targetE1EEEvT1_
	.p2align	8
	.type	_ZN7rocprim17ROCPRIM_400000_NS6detail17trampoline_kernelINS0_14default_configENS1_20scan_config_selectorIiEEZZNS1_9scan_implILNS1_25lookback_scan_determinismE0ELb1ELb1ES3_N6thrust23THRUST_200600_302600_NS10device_ptrIiEESB_iNS9_4plusIvEEiEEDaPvRmT3_T4_T5_mT6_P12ihipStream_tbENKUlT_T0_E_clISt17integral_constantIbLb0EESR_EEDaSM_SN_EUlSM_E0_NS1_11comp_targetILNS1_3genE0ELNS1_11target_archE4294967295ELNS1_3gpuE0ELNS1_3repE0EEENS1_30default_config_static_selectorELNS0_4arch9wavefront6targetE1EEEvT1_,@function
_ZN7rocprim17ROCPRIM_400000_NS6detail17trampoline_kernelINS0_14default_configENS1_20scan_config_selectorIiEEZZNS1_9scan_implILNS1_25lookback_scan_determinismE0ELb1ELb1ES3_N6thrust23THRUST_200600_302600_NS10device_ptrIiEESB_iNS9_4plusIvEEiEEDaPvRmT3_T4_T5_mT6_P12ihipStream_tbENKUlT_T0_E_clISt17integral_constantIbLb0EESR_EEDaSM_SN_EUlSM_E0_NS1_11comp_targetILNS1_3genE0ELNS1_11target_archE4294967295ELNS1_3gpuE0ELNS1_3repE0EEENS1_30default_config_static_selectorELNS0_4arch9wavefront6targetE1EEEvT1_: ; @_ZN7rocprim17ROCPRIM_400000_NS6detail17trampoline_kernelINS0_14default_configENS1_20scan_config_selectorIiEEZZNS1_9scan_implILNS1_25lookback_scan_determinismE0ELb1ELb1ES3_N6thrust23THRUST_200600_302600_NS10device_ptrIiEESB_iNS9_4plusIvEEiEEDaPvRmT3_T4_T5_mT6_P12ihipStream_tbENKUlT_T0_E_clISt17integral_constantIbLb0EESR_EEDaSM_SN_EUlSM_E0_NS1_11comp_targetILNS1_3genE0ELNS1_11target_archE4294967295ELNS1_3gpuE0ELNS1_3repE0EEENS1_30default_config_static_selectorELNS0_4arch9wavefront6targetE1EEEvT1_
; %bb.0:
	.section	.rodata,"a",@progbits
	.p2align	6, 0x0
	.amdhsa_kernel _ZN7rocprim17ROCPRIM_400000_NS6detail17trampoline_kernelINS0_14default_configENS1_20scan_config_selectorIiEEZZNS1_9scan_implILNS1_25lookback_scan_determinismE0ELb1ELb1ES3_N6thrust23THRUST_200600_302600_NS10device_ptrIiEESB_iNS9_4plusIvEEiEEDaPvRmT3_T4_T5_mT6_P12ihipStream_tbENKUlT_T0_E_clISt17integral_constantIbLb0EESR_EEDaSM_SN_EUlSM_E0_NS1_11comp_targetILNS1_3genE0ELNS1_11target_archE4294967295ELNS1_3gpuE0ELNS1_3repE0EEENS1_30default_config_static_selectorELNS0_4arch9wavefront6targetE1EEEvT1_
		.amdhsa_group_segment_fixed_size 0
		.amdhsa_private_segment_fixed_size 0
		.amdhsa_kernarg_size 32
		.amdhsa_user_sgpr_count 6
		.amdhsa_user_sgpr_private_segment_buffer 1
		.amdhsa_user_sgpr_dispatch_ptr 0
		.amdhsa_user_sgpr_queue_ptr 0
		.amdhsa_user_sgpr_kernarg_segment_ptr 1
		.amdhsa_user_sgpr_dispatch_id 0
		.amdhsa_user_sgpr_flat_scratch_init 0
		.amdhsa_user_sgpr_kernarg_preload_length 0
		.amdhsa_user_sgpr_kernarg_preload_offset 0
		.amdhsa_user_sgpr_private_segment_size 0
		.amdhsa_uses_dynamic_stack 0
		.amdhsa_system_sgpr_private_segment_wavefront_offset 0
		.amdhsa_system_sgpr_workgroup_id_x 1
		.amdhsa_system_sgpr_workgroup_id_y 0
		.amdhsa_system_sgpr_workgroup_id_z 0
		.amdhsa_system_sgpr_workgroup_info 0
		.amdhsa_system_vgpr_workitem_id 0
		.amdhsa_next_free_vgpr 1
		.amdhsa_next_free_sgpr 0
		.amdhsa_accum_offset 4
		.amdhsa_reserve_vcc 0
		.amdhsa_reserve_flat_scratch 0
		.amdhsa_float_round_mode_32 0
		.amdhsa_float_round_mode_16_64 0
		.amdhsa_float_denorm_mode_32 3
		.amdhsa_float_denorm_mode_16_64 3
		.amdhsa_dx10_clamp 1
		.amdhsa_ieee_mode 1
		.amdhsa_fp16_overflow 0
		.amdhsa_tg_split 0
		.amdhsa_exception_fp_ieee_invalid_op 0
		.amdhsa_exception_fp_denorm_src 0
		.amdhsa_exception_fp_ieee_div_zero 0
		.amdhsa_exception_fp_ieee_overflow 0
		.amdhsa_exception_fp_ieee_underflow 0
		.amdhsa_exception_fp_ieee_inexact 0
		.amdhsa_exception_int_div_zero 0
	.end_amdhsa_kernel
	.section	.text._ZN7rocprim17ROCPRIM_400000_NS6detail17trampoline_kernelINS0_14default_configENS1_20scan_config_selectorIiEEZZNS1_9scan_implILNS1_25lookback_scan_determinismE0ELb1ELb1ES3_N6thrust23THRUST_200600_302600_NS10device_ptrIiEESB_iNS9_4plusIvEEiEEDaPvRmT3_T4_T5_mT6_P12ihipStream_tbENKUlT_T0_E_clISt17integral_constantIbLb0EESR_EEDaSM_SN_EUlSM_E0_NS1_11comp_targetILNS1_3genE0ELNS1_11target_archE4294967295ELNS1_3gpuE0ELNS1_3repE0EEENS1_30default_config_static_selectorELNS0_4arch9wavefront6targetE1EEEvT1_,"axG",@progbits,_ZN7rocprim17ROCPRIM_400000_NS6detail17trampoline_kernelINS0_14default_configENS1_20scan_config_selectorIiEEZZNS1_9scan_implILNS1_25lookback_scan_determinismE0ELb1ELb1ES3_N6thrust23THRUST_200600_302600_NS10device_ptrIiEESB_iNS9_4plusIvEEiEEDaPvRmT3_T4_T5_mT6_P12ihipStream_tbENKUlT_T0_E_clISt17integral_constantIbLb0EESR_EEDaSM_SN_EUlSM_E0_NS1_11comp_targetILNS1_3genE0ELNS1_11target_archE4294967295ELNS1_3gpuE0ELNS1_3repE0EEENS1_30default_config_static_selectorELNS0_4arch9wavefront6targetE1EEEvT1_,comdat
.Lfunc_end6831:
	.size	_ZN7rocprim17ROCPRIM_400000_NS6detail17trampoline_kernelINS0_14default_configENS1_20scan_config_selectorIiEEZZNS1_9scan_implILNS1_25lookback_scan_determinismE0ELb1ELb1ES3_N6thrust23THRUST_200600_302600_NS10device_ptrIiEESB_iNS9_4plusIvEEiEEDaPvRmT3_T4_T5_mT6_P12ihipStream_tbENKUlT_T0_E_clISt17integral_constantIbLb0EESR_EEDaSM_SN_EUlSM_E0_NS1_11comp_targetILNS1_3genE0ELNS1_11target_archE4294967295ELNS1_3gpuE0ELNS1_3repE0EEENS1_30default_config_static_selectorELNS0_4arch9wavefront6targetE1EEEvT1_, .Lfunc_end6831-_ZN7rocprim17ROCPRIM_400000_NS6detail17trampoline_kernelINS0_14default_configENS1_20scan_config_selectorIiEEZZNS1_9scan_implILNS1_25lookback_scan_determinismE0ELb1ELb1ES3_N6thrust23THRUST_200600_302600_NS10device_ptrIiEESB_iNS9_4plusIvEEiEEDaPvRmT3_T4_T5_mT6_P12ihipStream_tbENKUlT_T0_E_clISt17integral_constantIbLb0EESR_EEDaSM_SN_EUlSM_E0_NS1_11comp_targetILNS1_3genE0ELNS1_11target_archE4294967295ELNS1_3gpuE0ELNS1_3repE0EEENS1_30default_config_static_selectorELNS0_4arch9wavefront6targetE1EEEvT1_
                                        ; -- End function
	.section	.AMDGPU.csdata,"",@progbits
; Kernel info:
; codeLenInByte = 0
; NumSgprs: 4
; NumVgprs: 0
; NumAgprs: 0
; TotalNumVgprs: 0
; ScratchSize: 0
; MemoryBound: 0
; FloatMode: 240
; IeeeMode: 1
; LDSByteSize: 0 bytes/workgroup (compile time only)
; SGPRBlocks: 0
; VGPRBlocks: 0
; NumSGPRsForWavesPerEU: 4
; NumVGPRsForWavesPerEU: 1
; AccumOffset: 4
; Occupancy: 8
; WaveLimiterHint : 0
; COMPUTE_PGM_RSRC2:SCRATCH_EN: 0
; COMPUTE_PGM_RSRC2:USER_SGPR: 6
; COMPUTE_PGM_RSRC2:TRAP_HANDLER: 0
; COMPUTE_PGM_RSRC2:TGID_X_EN: 1
; COMPUTE_PGM_RSRC2:TGID_Y_EN: 0
; COMPUTE_PGM_RSRC2:TGID_Z_EN: 0
; COMPUTE_PGM_RSRC2:TIDIG_COMP_CNT: 0
; COMPUTE_PGM_RSRC3_GFX90A:ACCUM_OFFSET: 0
; COMPUTE_PGM_RSRC3_GFX90A:TG_SPLIT: 0
	.section	.text._ZN7rocprim17ROCPRIM_400000_NS6detail17trampoline_kernelINS0_14default_configENS1_20scan_config_selectorIiEEZZNS1_9scan_implILNS1_25lookback_scan_determinismE0ELb1ELb1ES3_N6thrust23THRUST_200600_302600_NS10device_ptrIiEESB_iNS9_4plusIvEEiEEDaPvRmT3_T4_T5_mT6_P12ihipStream_tbENKUlT_T0_E_clISt17integral_constantIbLb0EESR_EEDaSM_SN_EUlSM_E0_NS1_11comp_targetILNS1_3genE5ELNS1_11target_archE942ELNS1_3gpuE9ELNS1_3repE0EEENS1_30default_config_static_selectorELNS0_4arch9wavefront6targetE1EEEvT1_,"axG",@progbits,_ZN7rocprim17ROCPRIM_400000_NS6detail17trampoline_kernelINS0_14default_configENS1_20scan_config_selectorIiEEZZNS1_9scan_implILNS1_25lookback_scan_determinismE0ELb1ELb1ES3_N6thrust23THRUST_200600_302600_NS10device_ptrIiEESB_iNS9_4plusIvEEiEEDaPvRmT3_T4_T5_mT6_P12ihipStream_tbENKUlT_T0_E_clISt17integral_constantIbLb0EESR_EEDaSM_SN_EUlSM_E0_NS1_11comp_targetILNS1_3genE5ELNS1_11target_archE942ELNS1_3gpuE9ELNS1_3repE0EEENS1_30default_config_static_selectorELNS0_4arch9wavefront6targetE1EEEvT1_,comdat
	.protected	_ZN7rocprim17ROCPRIM_400000_NS6detail17trampoline_kernelINS0_14default_configENS1_20scan_config_selectorIiEEZZNS1_9scan_implILNS1_25lookback_scan_determinismE0ELb1ELb1ES3_N6thrust23THRUST_200600_302600_NS10device_ptrIiEESB_iNS9_4plusIvEEiEEDaPvRmT3_T4_T5_mT6_P12ihipStream_tbENKUlT_T0_E_clISt17integral_constantIbLb0EESR_EEDaSM_SN_EUlSM_E0_NS1_11comp_targetILNS1_3genE5ELNS1_11target_archE942ELNS1_3gpuE9ELNS1_3repE0EEENS1_30default_config_static_selectorELNS0_4arch9wavefront6targetE1EEEvT1_ ; -- Begin function _ZN7rocprim17ROCPRIM_400000_NS6detail17trampoline_kernelINS0_14default_configENS1_20scan_config_selectorIiEEZZNS1_9scan_implILNS1_25lookback_scan_determinismE0ELb1ELb1ES3_N6thrust23THRUST_200600_302600_NS10device_ptrIiEESB_iNS9_4plusIvEEiEEDaPvRmT3_T4_T5_mT6_P12ihipStream_tbENKUlT_T0_E_clISt17integral_constantIbLb0EESR_EEDaSM_SN_EUlSM_E0_NS1_11comp_targetILNS1_3genE5ELNS1_11target_archE942ELNS1_3gpuE9ELNS1_3repE0EEENS1_30default_config_static_selectorELNS0_4arch9wavefront6targetE1EEEvT1_
	.globl	_ZN7rocprim17ROCPRIM_400000_NS6detail17trampoline_kernelINS0_14default_configENS1_20scan_config_selectorIiEEZZNS1_9scan_implILNS1_25lookback_scan_determinismE0ELb1ELb1ES3_N6thrust23THRUST_200600_302600_NS10device_ptrIiEESB_iNS9_4plusIvEEiEEDaPvRmT3_T4_T5_mT6_P12ihipStream_tbENKUlT_T0_E_clISt17integral_constantIbLb0EESR_EEDaSM_SN_EUlSM_E0_NS1_11comp_targetILNS1_3genE5ELNS1_11target_archE942ELNS1_3gpuE9ELNS1_3repE0EEENS1_30default_config_static_selectorELNS0_4arch9wavefront6targetE1EEEvT1_
	.p2align	8
	.type	_ZN7rocprim17ROCPRIM_400000_NS6detail17trampoline_kernelINS0_14default_configENS1_20scan_config_selectorIiEEZZNS1_9scan_implILNS1_25lookback_scan_determinismE0ELb1ELb1ES3_N6thrust23THRUST_200600_302600_NS10device_ptrIiEESB_iNS9_4plusIvEEiEEDaPvRmT3_T4_T5_mT6_P12ihipStream_tbENKUlT_T0_E_clISt17integral_constantIbLb0EESR_EEDaSM_SN_EUlSM_E0_NS1_11comp_targetILNS1_3genE5ELNS1_11target_archE942ELNS1_3gpuE9ELNS1_3repE0EEENS1_30default_config_static_selectorELNS0_4arch9wavefront6targetE1EEEvT1_,@function
_ZN7rocprim17ROCPRIM_400000_NS6detail17trampoline_kernelINS0_14default_configENS1_20scan_config_selectorIiEEZZNS1_9scan_implILNS1_25lookback_scan_determinismE0ELb1ELb1ES3_N6thrust23THRUST_200600_302600_NS10device_ptrIiEESB_iNS9_4plusIvEEiEEDaPvRmT3_T4_T5_mT6_P12ihipStream_tbENKUlT_T0_E_clISt17integral_constantIbLb0EESR_EEDaSM_SN_EUlSM_E0_NS1_11comp_targetILNS1_3genE5ELNS1_11target_archE942ELNS1_3gpuE9ELNS1_3repE0EEENS1_30default_config_static_selectorELNS0_4arch9wavefront6targetE1EEEvT1_: ; @_ZN7rocprim17ROCPRIM_400000_NS6detail17trampoline_kernelINS0_14default_configENS1_20scan_config_selectorIiEEZZNS1_9scan_implILNS1_25lookback_scan_determinismE0ELb1ELb1ES3_N6thrust23THRUST_200600_302600_NS10device_ptrIiEESB_iNS9_4plusIvEEiEEDaPvRmT3_T4_T5_mT6_P12ihipStream_tbENKUlT_T0_E_clISt17integral_constantIbLb0EESR_EEDaSM_SN_EUlSM_E0_NS1_11comp_targetILNS1_3genE5ELNS1_11target_archE942ELNS1_3gpuE9ELNS1_3repE0EEENS1_30default_config_static_selectorELNS0_4arch9wavefront6targetE1EEEvT1_
; %bb.0:
	.section	.rodata,"a",@progbits
	.p2align	6, 0x0
	.amdhsa_kernel _ZN7rocprim17ROCPRIM_400000_NS6detail17trampoline_kernelINS0_14default_configENS1_20scan_config_selectorIiEEZZNS1_9scan_implILNS1_25lookback_scan_determinismE0ELb1ELb1ES3_N6thrust23THRUST_200600_302600_NS10device_ptrIiEESB_iNS9_4plusIvEEiEEDaPvRmT3_T4_T5_mT6_P12ihipStream_tbENKUlT_T0_E_clISt17integral_constantIbLb0EESR_EEDaSM_SN_EUlSM_E0_NS1_11comp_targetILNS1_3genE5ELNS1_11target_archE942ELNS1_3gpuE9ELNS1_3repE0EEENS1_30default_config_static_selectorELNS0_4arch9wavefront6targetE1EEEvT1_
		.amdhsa_group_segment_fixed_size 0
		.amdhsa_private_segment_fixed_size 0
		.amdhsa_kernarg_size 32
		.amdhsa_user_sgpr_count 6
		.amdhsa_user_sgpr_private_segment_buffer 1
		.amdhsa_user_sgpr_dispatch_ptr 0
		.amdhsa_user_sgpr_queue_ptr 0
		.amdhsa_user_sgpr_kernarg_segment_ptr 1
		.amdhsa_user_sgpr_dispatch_id 0
		.amdhsa_user_sgpr_flat_scratch_init 0
		.amdhsa_user_sgpr_kernarg_preload_length 0
		.amdhsa_user_sgpr_kernarg_preload_offset 0
		.amdhsa_user_sgpr_private_segment_size 0
		.amdhsa_uses_dynamic_stack 0
		.amdhsa_system_sgpr_private_segment_wavefront_offset 0
		.amdhsa_system_sgpr_workgroup_id_x 1
		.amdhsa_system_sgpr_workgroup_id_y 0
		.amdhsa_system_sgpr_workgroup_id_z 0
		.amdhsa_system_sgpr_workgroup_info 0
		.amdhsa_system_vgpr_workitem_id 0
		.amdhsa_next_free_vgpr 1
		.amdhsa_next_free_sgpr 0
		.amdhsa_accum_offset 4
		.amdhsa_reserve_vcc 0
		.amdhsa_reserve_flat_scratch 0
		.amdhsa_float_round_mode_32 0
		.amdhsa_float_round_mode_16_64 0
		.amdhsa_float_denorm_mode_32 3
		.amdhsa_float_denorm_mode_16_64 3
		.amdhsa_dx10_clamp 1
		.amdhsa_ieee_mode 1
		.amdhsa_fp16_overflow 0
		.amdhsa_tg_split 0
		.amdhsa_exception_fp_ieee_invalid_op 0
		.amdhsa_exception_fp_denorm_src 0
		.amdhsa_exception_fp_ieee_div_zero 0
		.amdhsa_exception_fp_ieee_overflow 0
		.amdhsa_exception_fp_ieee_underflow 0
		.amdhsa_exception_fp_ieee_inexact 0
		.amdhsa_exception_int_div_zero 0
	.end_amdhsa_kernel
	.section	.text._ZN7rocprim17ROCPRIM_400000_NS6detail17trampoline_kernelINS0_14default_configENS1_20scan_config_selectorIiEEZZNS1_9scan_implILNS1_25lookback_scan_determinismE0ELb1ELb1ES3_N6thrust23THRUST_200600_302600_NS10device_ptrIiEESB_iNS9_4plusIvEEiEEDaPvRmT3_T4_T5_mT6_P12ihipStream_tbENKUlT_T0_E_clISt17integral_constantIbLb0EESR_EEDaSM_SN_EUlSM_E0_NS1_11comp_targetILNS1_3genE5ELNS1_11target_archE942ELNS1_3gpuE9ELNS1_3repE0EEENS1_30default_config_static_selectorELNS0_4arch9wavefront6targetE1EEEvT1_,"axG",@progbits,_ZN7rocprim17ROCPRIM_400000_NS6detail17trampoline_kernelINS0_14default_configENS1_20scan_config_selectorIiEEZZNS1_9scan_implILNS1_25lookback_scan_determinismE0ELb1ELb1ES3_N6thrust23THRUST_200600_302600_NS10device_ptrIiEESB_iNS9_4plusIvEEiEEDaPvRmT3_T4_T5_mT6_P12ihipStream_tbENKUlT_T0_E_clISt17integral_constantIbLb0EESR_EEDaSM_SN_EUlSM_E0_NS1_11comp_targetILNS1_3genE5ELNS1_11target_archE942ELNS1_3gpuE9ELNS1_3repE0EEENS1_30default_config_static_selectorELNS0_4arch9wavefront6targetE1EEEvT1_,comdat
.Lfunc_end6832:
	.size	_ZN7rocprim17ROCPRIM_400000_NS6detail17trampoline_kernelINS0_14default_configENS1_20scan_config_selectorIiEEZZNS1_9scan_implILNS1_25lookback_scan_determinismE0ELb1ELb1ES3_N6thrust23THRUST_200600_302600_NS10device_ptrIiEESB_iNS9_4plusIvEEiEEDaPvRmT3_T4_T5_mT6_P12ihipStream_tbENKUlT_T0_E_clISt17integral_constantIbLb0EESR_EEDaSM_SN_EUlSM_E0_NS1_11comp_targetILNS1_3genE5ELNS1_11target_archE942ELNS1_3gpuE9ELNS1_3repE0EEENS1_30default_config_static_selectorELNS0_4arch9wavefront6targetE1EEEvT1_, .Lfunc_end6832-_ZN7rocprim17ROCPRIM_400000_NS6detail17trampoline_kernelINS0_14default_configENS1_20scan_config_selectorIiEEZZNS1_9scan_implILNS1_25lookback_scan_determinismE0ELb1ELb1ES3_N6thrust23THRUST_200600_302600_NS10device_ptrIiEESB_iNS9_4plusIvEEiEEDaPvRmT3_T4_T5_mT6_P12ihipStream_tbENKUlT_T0_E_clISt17integral_constantIbLb0EESR_EEDaSM_SN_EUlSM_E0_NS1_11comp_targetILNS1_3genE5ELNS1_11target_archE942ELNS1_3gpuE9ELNS1_3repE0EEENS1_30default_config_static_selectorELNS0_4arch9wavefront6targetE1EEEvT1_
                                        ; -- End function
	.section	.AMDGPU.csdata,"",@progbits
; Kernel info:
; codeLenInByte = 0
; NumSgprs: 4
; NumVgprs: 0
; NumAgprs: 0
; TotalNumVgprs: 0
; ScratchSize: 0
; MemoryBound: 0
; FloatMode: 240
; IeeeMode: 1
; LDSByteSize: 0 bytes/workgroup (compile time only)
; SGPRBlocks: 0
; VGPRBlocks: 0
; NumSGPRsForWavesPerEU: 4
; NumVGPRsForWavesPerEU: 1
; AccumOffset: 4
; Occupancy: 8
; WaveLimiterHint : 0
; COMPUTE_PGM_RSRC2:SCRATCH_EN: 0
; COMPUTE_PGM_RSRC2:USER_SGPR: 6
; COMPUTE_PGM_RSRC2:TRAP_HANDLER: 0
; COMPUTE_PGM_RSRC2:TGID_X_EN: 1
; COMPUTE_PGM_RSRC2:TGID_Y_EN: 0
; COMPUTE_PGM_RSRC2:TGID_Z_EN: 0
; COMPUTE_PGM_RSRC2:TIDIG_COMP_CNT: 0
; COMPUTE_PGM_RSRC3_GFX90A:ACCUM_OFFSET: 0
; COMPUTE_PGM_RSRC3_GFX90A:TG_SPLIT: 0
	.section	.text._ZN7rocprim17ROCPRIM_400000_NS6detail17trampoline_kernelINS0_14default_configENS1_20scan_config_selectorIiEEZZNS1_9scan_implILNS1_25lookback_scan_determinismE0ELb1ELb1ES3_N6thrust23THRUST_200600_302600_NS10device_ptrIiEESB_iNS9_4plusIvEEiEEDaPvRmT3_T4_T5_mT6_P12ihipStream_tbENKUlT_T0_E_clISt17integral_constantIbLb0EESR_EEDaSM_SN_EUlSM_E0_NS1_11comp_targetILNS1_3genE4ELNS1_11target_archE910ELNS1_3gpuE8ELNS1_3repE0EEENS1_30default_config_static_selectorELNS0_4arch9wavefront6targetE1EEEvT1_,"axG",@progbits,_ZN7rocprim17ROCPRIM_400000_NS6detail17trampoline_kernelINS0_14default_configENS1_20scan_config_selectorIiEEZZNS1_9scan_implILNS1_25lookback_scan_determinismE0ELb1ELb1ES3_N6thrust23THRUST_200600_302600_NS10device_ptrIiEESB_iNS9_4plusIvEEiEEDaPvRmT3_T4_T5_mT6_P12ihipStream_tbENKUlT_T0_E_clISt17integral_constantIbLb0EESR_EEDaSM_SN_EUlSM_E0_NS1_11comp_targetILNS1_3genE4ELNS1_11target_archE910ELNS1_3gpuE8ELNS1_3repE0EEENS1_30default_config_static_selectorELNS0_4arch9wavefront6targetE1EEEvT1_,comdat
	.protected	_ZN7rocprim17ROCPRIM_400000_NS6detail17trampoline_kernelINS0_14default_configENS1_20scan_config_selectorIiEEZZNS1_9scan_implILNS1_25lookback_scan_determinismE0ELb1ELb1ES3_N6thrust23THRUST_200600_302600_NS10device_ptrIiEESB_iNS9_4plusIvEEiEEDaPvRmT3_T4_T5_mT6_P12ihipStream_tbENKUlT_T0_E_clISt17integral_constantIbLb0EESR_EEDaSM_SN_EUlSM_E0_NS1_11comp_targetILNS1_3genE4ELNS1_11target_archE910ELNS1_3gpuE8ELNS1_3repE0EEENS1_30default_config_static_selectorELNS0_4arch9wavefront6targetE1EEEvT1_ ; -- Begin function _ZN7rocprim17ROCPRIM_400000_NS6detail17trampoline_kernelINS0_14default_configENS1_20scan_config_selectorIiEEZZNS1_9scan_implILNS1_25lookback_scan_determinismE0ELb1ELb1ES3_N6thrust23THRUST_200600_302600_NS10device_ptrIiEESB_iNS9_4plusIvEEiEEDaPvRmT3_T4_T5_mT6_P12ihipStream_tbENKUlT_T0_E_clISt17integral_constantIbLb0EESR_EEDaSM_SN_EUlSM_E0_NS1_11comp_targetILNS1_3genE4ELNS1_11target_archE910ELNS1_3gpuE8ELNS1_3repE0EEENS1_30default_config_static_selectorELNS0_4arch9wavefront6targetE1EEEvT1_
	.globl	_ZN7rocprim17ROCPRIM_400000_NS6detail17trampoline_kernelINS0_14default_configENS1_20scan_config_selectorIiEEZZNS1_9scan_implILNS1_25lookback_scan_determinismE0ELb1ELb1ES3_N6thrust23THRUST_200600_302600_NS10device_ptrIiEESB_iNS9_4plusIvEEiEEDaPvRmT3_T4_T5_mT6_P12ihipStream_tbENKUlT_T0_E_clISt17integral_constantIbLb0EESR_EEDaSM_SN_EUlSM_E0_NS1_11comp_targetILNS1_3genE4ELNS1_11target_archE910ELNS1_3gpuE8ELNS1_3repE0EEENS1_30default_config_static_selectorELNS0_4arch9wavefront6targetE1EEEvT1_
	.p2align	8
	.type	_ZN7rocprim17ROCPRIM_400000_NS6detail17trampoline_kernelINS0_14default_configENS1_20scan_config_selectorIiEEZZNS1_9scan_implILNS1_25lookback_scan_determinismE0ELb1ELb1ES3_N6thrust23THRUST_200600_302600_NS10device_ptrIiEESB_iNS9_4plusIvEEiEEDaPvRmT3_T4_T5_mT6_P12ihipStream_tbENKUlT_T0_E_clISt17integral_constantIbLb0EESR_EEDaSM_SN_EUlSM_E0_NS1_11comp_targetILNS1_3genE4ELNS1_11target_archE910ELNS1_3gpuE8ELNS1_3repE0EEENS1_30default_config_static_selectorELNS0_4arch9wavefront6targetE1EEEvT1_,@function
_ZN7rocprim17ROCPRIM_400000_NS6detail17trampoline_kernelINS0_14default_configENS1_20scan_config_selectorIiEEZZNS1_9scan_implILNS1_25lookback_scan_determinismE0ELb1ELb1ES3_N6thrust23THRUST_200600_302600_NS10device_ptrIiEESB_iNS9_4plusIvEEiEEDaPvRmT3_T4_T5_mT6_P12ihipStream_tbENKUlT_T0_E_clISt17integral_constantIbLb0EESR_EEDaSM_SN_EUlSM_E0_NS1_11comp_targetILNS1_3genE4ELNS1_11target_archE910ELNS1_3gpuE8ELNS1_3repE0EEENS1_30default_config_static_selectorELNS0_4arch9wavefront6targetE1EEEvT1_: ; @_ZN7rocprim17ROCPRIM_400000_NS6detail17trampoline_kernelINS0_14default_configENS1_20scan_config_selectorIiEEZZNS1_9scan_implILNS1_25lookback_scan_determinismE0ELb1ELb1ES3_N6thrust23THRUST_200600_302600_NS10device_ptrIiEESB_iNS9_4plusIvEEiEEDaPvRmT3_T4_T5_mT6_P12ihipStream_tbENKUlT_T0_E_clISt17integral_constantIbLb0EESR_EEDaSM_SN_EUlSM_E0_NS1_11comp_targetILNS1_3genE4ELNS1_11target_archE910ELNS1_3gpuE8ELNS1_3repE0EEENS1_30default_config_static_selectorELNS0_4arch9wavefront6targetE1EEEvT1_
; %bb.0:
	s_load_dwordx4 s[20:23], s[4:5], 0x0
	v_lshlrev_b32_e32 v14, 2, v0
	s_waitcnt lgkmcnt(0)
	s_load_dword s23, s[20:21], 0x0
	v_cmp_gt_u32_e32 vcc, s22, v0
	s_waitcnt lgkmcnt(0)
	v_mov_b32_e32 v1, s23
	s_and_saveexec_b64 s[0:1], vcc
	s_cbranch_execz .LBB6833_2
; %bb.1:
	global_load_dword v1, v14, s[20:21]
.LBB6833_2:
	s_or_b64 exec, exec, s[0:1]
	v_or_b32_e32 v2, 0x80, v0
	v_cmp_gt_u32_e64 s[0:1], s22, v2
	v_mov_b32_e32 v2, s23
	s_and_saveexec_b64 s[2:3], s[0:1]
	s_cbranch_execz .LBB6833_4
; %bb.3:
	global_load_dword v2, v14, s[20:21] offset:512
.LBB6833_4:
	s_or_b64 exec, exec, s[2:3]
	v_or_b32_e32 v3, 0x100, v0
	v_cmp_gt_u32_e64 s[2:3], s22, v3
	v_mov_b32_e32 v3, s23
	s_and_saveexec_b64 s[6:7], s[2:3]
	s_cbranch_execz .LBB6833_6
; %bb.5:
	global_load_dword v3, v14, s[20:21] offset:1024
.LBB6833_6:
	;; [unrolled: 9-line block ×7, first 2 shown]
	s_or_b64 exec, exec, s[14:15]
	v_or_b32_e32 v10, 0x400, v0
	v_cmp_gt_u32_e64 s[14:15], s22, v10
	v_mov_b32_e32 v9, s23
	s_and_saveexec_b64 s[16:17], s[14:15]
	s_cbranch_execz .LBB6833_18
; %bb.17:
	v_lshlrev_b32_e32 v9, 2, v10
	global_load_dword v9, v9, s[20:21]
.LBB6833_18:
	s_or_b64 exec, exec, s[16:17]
	s_load_dword s24, s[4:5], 0x10
	v_or_b32_e32 v11, 0x480, v0
	v_cmp_gt_u32_e64 s[16:17], s22, v11
	v_mov_b32_e32 v10, s23
	s_and_saveexec_b64 s[22:23], s[16:17]
	s_cbranch_execz .LBB6833_20
; %bb.19:
	v_lshlrev_b32_e32 v10, 2, v11
	global_load_dword v10, v10, s[20:21]
.LBB6833_20:
	s_or_b64 exec, exec, s[22:23]
	s_waitcnt vmcnt(0)
	ds_write2st64_b32 v14, v1, v2 offset1:2
	ds_write2st64_b32 v14, v3, v4 offset0:4 offset1:6
	ds_write2st64_b32 v14, v5, v6 offset0:8 offset1:10
	;; [unrolled: 1-line block ×4, first 2 shown]
	v_mad_u32_u24 v1, v0, 36, v14
	s_waitcnt lgkmcnt(0)
	s_barrier
	ds_read2_b64 v[6:9], v1 offset1:1
	ds_read2_b64 v[2:5], v1 offset0:2 offset1:3
	ds_read_b64 v[10:11], v1 offset:32
	s_load_dwordx2 s[20:21], s[4:5], 0x18
	v_cmp_gt_u32_e64 s[4:5], 64, v0
	s_waitcnt lgkmcnt(0)
	v_add_u32_e32 v1, v7, v6
	v_add3_u32 v1, v1, v8, v9
	v_add3_u32 v1, v1, v2, v3
	;; [unrolled: 1-line block ×4, first 2 shown]
	v_lshrrev_b32_e32 v11, 3, v0
	v_and_b32_e32 v11, 12, v11
	v_add_u32_e32 v11, v14, v11
	s_barrier
	ds_write_b32 v11, v1
	s_waitcnt lgkmcnt(0)
	s_barrier
	s_and_saveexec_b64 s[22:23], s[4:5]
	s_cbranch_execz .LBB6833_22
; %bb.21:
	v_lshlrev_b32_e32 v11, 1, v0
	v_lshrrev_b32_e32 v12, 4, v0
	v_add_lshl_u32 v11, v12, v11, 2
	ds_read2_b32 v[12:13], v11 offset1:1
	v_mbcnt_lo_u32_b32 v15, -1, 0
	v_mbcnt_hi_u32_b32 v15, -1, v15
	v_and_b32_e32 v16, 15, v15
	v_cmp_ne_u32_e64 s[4:5], 0, v16
	s_waitcnt lgkmcnt(0)
	v_add_u32_e32 v13, v13, v12
	; wave barrier
	s_nop 1
	v_mov_b32_dpp v17, v13 row_shr:1 row_mask:0xf bank_mask:0xf
	v_cndmask_b32_e64 v17, 0, v17, s[4:5]
	v_add_u32_e32 v13, v17, v13
	v_cmp_lt_u32_e64 s[4:5], 1, v16
	s_nop 0
	v_mov_b32_dpp v17, v13 row_shr:2 row_mask:0xf bank_mask:0xf
	v_cndmask_b32_e64 v17, 0, v17, s[4:5]
	v_add_u32_e32 v13, v13, v17
	v_cmp_lt_u32_e64 s[4:5], 3, v16
	;; [unrolled: 5-line block ×3, first 2 shown]
	s_nop 0
	v_mov_b32_dpp v17, v13 row_shr:8 row_mask:0xf bank_mask:0xf
	v_cndmask_b32_e64 v16, 0, v17, s[4:5]
	v_add_u32_e32 v13, v13, v16
	v_bfe_i32 v17, v15, 4, 1
	v_cmp_lt_u32_e64 s[4:5], 31, v15
	v_mov_b32_dpp v16, v13 row_bcast:15 row_mask:0xf bank_mask:0xf
	v_and_b32_e32 v16, v17, v16
	v_add_u32_e32 v13, v13, v16
	v_and_b32_e32 v17, 64, v15
	s_nop 0
	v_mov_b32_dpp v16, v13 row_bcast:31 row_mask:0xf bank_mask:0xf
	v_cndmask_b32_e64 v16, 0, v16, s[4:5]
	v_add_u32_e32 v13, v13, v16
	v_add_u32_e32 v16, -1, v15
	v_cmp_lt_i32_e64 s[4:5], v16, v17
	v_cndmask_b32_e64 v15, v16, v15, s[4:5]
	v_lshlrev_b32_e32 v15, 2, v15
	ds_bpermute_b32 v13, v15, v13
	v_cmp_eq_u32_e64 s[4:5], 0, v0
	s_waitcnt lgkmcnt(0)
	v_add_u32_e32 v12, v13, v12
	v_cndmask_b32_e64 v1, v12, v1, s[4:5]
	ds_write_b32 v11, v1
	; wave barrier
	ds_read_b32 v12, v11 offset:4
	s_waitcnt lgkmcnt(0)
	v_add_u32_e32 v1, v12, v1
	ds_write_b32 v11, v1 offset:4
.LBB6833_22:
	s_or_b64 exec, exec, s[22:23]
	v_mul_u32_u24_e32 v1, 36, v0
	v_cmp_ne_u32_e64 s[4:5], 0, v0
	v_mov_b32_e32 v12, s24
	s_waitcnt lgkmcnt(0)
	s_barrier
	s_and_saveexec_b64 s[22:23], s[4:5]
	s_cbranch_execz .LBB6833_24
; %bb.23:
	v_add_u32_e32 v0, -1, v0
	v_lshrrev_b32_e32 v11, 5, v0
	v_add_lshl_u32 v0, v11, v0, 2
	ds_read_b32 v0, v0
	s_waitcnt lgkmcnt(0)
	v_add_u32_e32 v12, s24, v0
.LBB6833_24:
	s_or_b64 exec, exec, s[22:23]
	v_add_u32_e32 v13, v12, v6
	v_add_u32_e32 v6, v13, v7
	;; [unrolled: 1-line block ×10, first 2 shown]
	s_barrier
	ds_write2_b64 v0, v[12:13], v[6:7] offset1:1
	ds_write2_b64 v0, v[8:9], v[2:3] offset0:2 offset1:3
	ds_write_b64 v0, v[4:5] offset:32
	s_waitcnt lgkmcnt(0)
	s_barrier
	ds_read2st64_b32 v[8:9], v14 offset0:2 offset1:4
	ds_read2st64_b32 v[6:7], v14 offset0:6 offset1:8
	;; [unrolled: 1-line block ×4, first 2 shown]
	ds_read_b32 v10, v14 offset:4608
	v_mov_b32_e32 v1, s21
	v_add_co_u32_e64 v0, s[4:5], s20, v14
	v_addc_co_u32_e64 v1, s[4:5], 0, v1, s[4:5]
	s_and_saveexec_b64 s[4:5], vcc
	s_cbranch_execnz .LBB6833_35
; %bb.25:
	s_or_b64 exec, exec, s[4:5]
	s_and_saveexec_b64 s[4:5], s[0:1]
	s_cbranch_execnz .LBB6833_36
.LBB6833_26:
	s_or_b64 exec, exec, s[4:5]
	s_and_saveexec_b64 s[0:1], s[2:3]
	s_cbranch_execnz .LBB6833_37
.LBB6833_27:
	s_or_b64 exec, exec, s[0:1]
	s_and_saveexec_b64 s[0:1], s[18:19]
	s_cbranch_execnz .LBB6833_38
.LBB6833_28:
	s_or_b64 exec, exec, s[0:1]
	s_and_saveexec_b64 s[0:1], s[6:7]
	s_cbranch_execnz .LBB6833_39
.LBB6833_29:
	s_or_b64 exec, exec, s[0:1]
	s_and_saveexec_b64 s[0:1], s[8:9]
	s_cbranch_execnz .LBB6833_40
.LBB6833_30:
	s_or_b64 exec, exec, s[0:1]
	s_and_saveexec_b64 s[0:1], s[10:11]
	s_cbranch_execnz .LBB6833_41
.LBB6833_31:
	s_or_b64 exec, exec, s[0:1]
	s_and_saveexec_b64 s[0:1], s[12:13]
	s_cbranch_execnz .LBB6833_42
.LBB6833_32:
	s_or_b64 exec, exec, s[0:1]
	s_and_saveexec_b64 s[0:1], s[14:15]
	s_cbranch_execnz .LBB6833_43
.LBB6833_33:
	s_or_b64 exec, exec, s[0:1]
	s_and_saveexec_b64 s[0:1], s[16:17]
	s_cbranch_execnz .LBB6833_44
.LBB6833_34:
	s_endpgm
.LBB6833_35:
	ds_read_b32 v11, v14
	s_waitcnt lgkmcnt(0)
	global_store_dword v[0:1], v11, off
	s_or_b64 exec, exec, s[4:5]
	s_and_saveexec_b64 s[4:5], s[0:1]
	s_cbranch_execz .LBB6833_26
.LBB6833_36:
	s_waitcnt lgkmcnt(4)
	global_store_dword v[0:1], v8, off offset:512
	s_or_b64 exec, exec, s[4:5]
	s_and_saveexec_b64 s[0:1], s[2:3]
	s_cbranch_execz .LBB6833_27
.LBB6833_37:
	s_waitcnt lgkmcnt(4)
	global_store_dword v[0:1], v9, off offset:1024
	s_or_b64 exec, exec, s[0:1]
	s_and_saveexec_b64 s[0:1], s[18:19]
	s_cbranch_execz .LBB6833_28
.LBB6833_38:
	s_waitcnt lgkmcnt(3)
	global_store_dword v[0:1], v6, off offset:1536
	s_or_b64 exec, exec, s[0:1]
	s_and_saveexec_b64 s[0:1], s[6:7]
	s_cbranch_execz .LBB6833_29
.LBB6833_39:
	s_waitcnt lgkmcnt(3)
	global_store_dword v[0:1], v7, off offset:2048
	s_or_b64 exec, exec, s[0:1]
	s_and_saveexec_b64 s[0:1], s[8:9]
	s_cbranch_execz .LBB6833_30
.LBB6833_40:
	s_waitcnt lgkmcnt(2)
	global_store_dword v[0:1], v4, off offset:2560
	s_or_b64 exec, exec, s[0:1]
	s_and_saveexec_b64 s[0:1], s[10:11]
	s_cbranch_execz .LBB6833_31
.LBB6833_41:
	s_waitcnt lgkmcnt(2)
	global_store_dword v[0:1], v5, off offset:3072
	s_or_b64 exec, exec, s[0:1]
	s_and_saveexec_b64 s[0:1], s[12:13]
	s_cbranch_execz .LBB6833_32
.LBB6833_42:
	s_waitcnt lgkmcnt(1)
	global_store_dword v[0:1], v2, off offset:3584
	s_or_b64 exec, exec, s[0:1]
	s_and_saveexec_b64 s[0:1], s[14:15]
	s_cbranch_execz .LBB6833_33
.LBB6833_43:
	s_waitcnt lgkmcnt(2)
	v_add_co_u32_e32 v4, vcc, 0x1000, v0
	v_addc_co_u32_e32 v5, vcc, 0, v1, vcc
	s_waitcnt lgkmcnt(1)
	global_store_dword v[4:5], v3, off
	s_or_b64 exec, exec, s[0:1]
	s_and_saveexec_b64 s[0:1], s[16:17]
	s_cbranch_execz .LBB6833_34
.LBB6833_44:
	v_add_co_u32_e32 v0, vcc, 0x1000, v0
	v_addc_co_u32_e32 v1, vcc, 0, v1, vcc
	s_waitcnt lgkmcnt(0)
	global_store_dword v[0:1], v10, off offset:512
	s_endpgm
	.section	.rodata,"a",@progbits
	.p2align	6, 0x0
	.amdhsa_kernel _ZN7rocprim17ROCPRIM_400000_NS6detail17trampoline_kernelINS0_14default_configENS1_20scan_config_selectorIiEEZZNS1_9scan_implILNS1_25lookback_scan_determinismE0ELb1ELb1ES3_N6thrust23THRUST_200600_302600_NS10device_ptrIiEESB_iNS9_4plusIvEEiEEDaPvRmT3_T4_T5_mT6_P12ihipStream_tbENKUlT_T0_E_clISt17integral_constantIbLb0EESR_EEDaSM_SN_EUlSM_E0_NS1_11comp_targetILNS1_3genE4ELNS1_11target_archE910ELNS1_3gpuE8ELNS1_3repE0EEENS1_30default_config_static_selectorELNS0_4arch9wavefront6targetE1EEEvT1_
		.amdhsa_group_segment_fixed_size 5120
		.amdhsa_private_segment_fixed_size 0
		.amdhsa_kernarg_size 32
		.amdhsa_user_sgpr_count 6
		.amdhsa_user_sgpr_private_segment_buffer 1
		.amdhsa_user_sgpr_dispatch_ptr 0
		.amdhsa_user_sgpr_queue_ptr 0
		.amdhsa_user_sgpr_kernarg_segment_ptr 1
		.amdhsa_user_sgpr_dispatch_id 0
		.amdhsa_user_sgpr_flat_scratch_init 0
		.amdhsa_user_sgpr_kernarg_preload_length 0
		.amdhsa_user_sgpr_kernarg_preload_offset 0
		.amdhsa_user_sgpr_private_segment_size 0
		.amdhsa_uses_dynamic_stack 0
		.amdhsa_system_sgpr_private_segment_wavefront_offset 0
		.amdhsa_system_sgpr_workgroup_id_x 1
		.amdhsa_system_sgpr_workgroup_id_y 0
		.amdhsa_system_sgpr_workgroup_id_z 0
		.amdhsa_system_sgpr_workgroup_info 0
		.amdhsa_system_vgpr_workitem_id 0
		.amdhsa_next_free_vgpr 18
		.amdhsa_next_free_sgpr 25
		.amdhsa_accum_offset 20
		.amdhsa_reserve_vcc 1
		.amdhsa_reserve_flat_scratch 0
		.amdhsa_float_round_mode_32 0
		.amdhsa_float_round_mode_16_64 0
		.amdhsa_float_denorm_mode_32 3
		.amdhsa_float_denorm_mode_16_64 3
		.amdhsa_dx10_clamp 1
		.amdhsa_ieee_mode 1
		.amdhsa_fp16_overflow 0
		.amdhsa_tg_split 0
		.amdhsa_exception_fp_ieee_invalid_op 0
		.amdhsa_exception_fp_denorm_src 0
		.amdhsa_exception_fp_ieee_div_zero 0
		.amdhsa_exception_fp_ieee_overflow 0
		.amdhsa_exception_fp_ieee_underflow 0
		.amdhsa_exception_fp_ieee_inexact 0
		.amdhsa_exception_int_div_zero 0
	.end_amdhsa_kernel
	.section	.text._ZN7rocprim17ROCPRIM_400000_NS6detail17trampoline_kernelINS0_14default_configENS1_20scan_config_selectorIiEEZZNS1_9scan_implILNS1_25lookback_scan_determinismE0ELb1ELb1ES3_N6thrust23THRUST_200600_302600_NS10device_ptrIiEESB_iNS9_4plusIvEEiEEDaPvRmT3_T4_T5_mT6_P12ihipStream_tbENKUlT_T0_E_clISt17integral_constantIbLb0EESR_EEDaSM_SN_EUlSM_E0_NS1_11comp_targetILNS1_3genE4ELNS1_11target_archE910ELNS1_3gpuE8ELNS1_3repE0EEENS1_30default_config_static_selectorELNS0_4arch9wavefront6targetE1EEEvT1_,"axG",@progbits,_ZN7rocprim17ROCPRIM_400000_NS6detail17trampoline_kernelINS0_14default_configENS1_20scan_config_selectorIiEEZZNS1_9scan_implILNS1_25lookback_scan_determinismE0ELb1ELb1ES3_N6thrust23THRUST_200600_302600_NS10device_ptrIiEESB_iNS9_4plusIvEEiEEDaPvRmT3_T4_T5_mT6_P12ihipStream_tbENKUlT_T0_E_clISt17integral_constantIbLb0EESR_EEDaSM_SN_EUlSM_E0_NS1_11comp_targetILNS1_3genE4ELNS1_11target_archE910ELNS1_3gpuE8ELNS1_3repE0EEENS1_30default_config_static_selectorELNS0_4arch9wavefront6targetE1EEEvT1_,comdat
.Lfunc_end6833:
	.size	_ZN7rocprim17ROCPRIM_400000_NS6detail17trampoline_kernelINS0_14default_configENS1_20scan_config_selectorIiEEZZNS1_9scan_implILNS1_25lookback_scan_determinismE0ELb1ELb1ES3_N6thrust23THRUST_200600_302600_NS10device_ptrIiEESB_iNS9_4plusIvEEiEEDaPvRmT3_T4_T5_mT6_P12ihipStream_tbENKUlT_T0_E_clISt17integral_constantIbLb0EESR_EEDaSM_SN_EUlSM_E0_NS1_11comp_targetILNS1_3genE4ELNS1_11target_archE910ELNS1_3gpuE8ELNS1_3repE0EEENS1_30default_config_static_selectorELNS0_4arch9wavefront6targetE1EEEvT1_, .Lfunc_end6833-_ZN7rocprim17ROCPRIM_400000_NS6detail17trampoline_kernelINS0_14default_configENS1_20scan_config_selectorIiEEZZNS1_9scan_implILNS1_25lookback_scan_determinismE0ELb1ELb1ES3_N6thrust23THRUST_200600_302600_NS10device_ptrIiEESB_iNS9_4plusIvEEiEEDaPvRmT3_T4_T5_mT6_P12ihipStream_tbENKUlT_T0_E_clISt17integral_constantIbLb0EESR_EEDaSM_SN_EUlSM_E0_NS1_11comp_targetILNS1_3genE4ELNS1_11target_archE910ELNS1_3gpuE8ELNS1_3repE0EEENS1_30default_config_static_selectorELNS0_4arch9wavefront6targetE1EEEvT1_
                                        ; -- End function
	.section	.AMDGPU.csdata,"",@progbits
; Kernel info:
; codeLenInByte = 1536
; NumSgprs: 29
; NumVgprs: 18
; NumAgprs: 0
; TotalNumVgprs: 18
; ScratchSize: 0
; MemoryBound: 0
; FloatMode: 240
; IeeeMode: 1
; LDSByteSize: 5120 bytes/workgroup (compile time only)
; SGPRBlocks: 3
; VGPRBlocks: 2
; NumSGPRsForWavesPerEU: 29
; NumVGPRsForWavesPerEU: 18
; AccumOffset: 20
; Occupancy: 6
; WaveLimiterHint : 0
; COMPUTE_PGM_RSRC2:SCRATCH_EN: 0
; COMPUTE_PGM_RSRC2:USER_SGPR: 6
; COMPUTE_PGM_RSRC2:TRAP_HANDLER: 0
; COMPUTE_PGM_RSRC2:TGID_X_EN: 1
; COMPUTE_PGM_RSRC2:TGID_Y_EN: 0
; COMPUTE_PGM_RSRC2:TGID_Z_EN: 0
; COMPUTE_PGM_RSRC2:TIDIG_COMP_CNT: 0
; COMPUTE_PGM_RSRC3_GFX90A:ACCUM_OFFSET: 4
; COMPUTE_PGM_RSRC3_GFX90A:TG_SPLIT: 0
	.section	.text._ZN7rocprim17ROCPRIM_400000_NS6detail17trampoline_kernelINS0_14default_configENS1_20scan_config_selectorIiEEZZNS1_9scan_implILNS1_25lookback_scan_determinismE0ELb1ELb1ES3_N6thrust23THRUST_200600_302600_NS10device_ptrIiEESB_iNS9_4plusIvEEiEEDaPvRmT3_T4_T5_mT6_P12ihipStream_tbENKUlT_T0_E_clISt17integral_constantIbLb0EESR_EEDaSM_SN_EUlSM_E0_NS1_11comp_targetILNS1_3genE3ELNS1_11target_archE908ELNS1_3gpuE7ELNS1_3repE0EEENS1_30default_config_static_selectorELNS0_4arch9wavefront6targetE1EEEvT1_,"axG",@progbits,_ZN7rocprim17ROCPRIM_400000_NS6detail17trampoline_kernelINS0_14default_configENS1_20scan_config_selectorIiEEZZNS1_9scan_implILNS1_25lookback_scan_determinismE0ELb1ELb1ES3_N6thrust23THRUST_200600_302600_NS10device_ptrIiEESB_iNS9_4plusIvEEiEEDaPvRmT3_T4_T5_mT6_P12ihipStream_tbENKUlT_T0_E_clISt17integral_constantIbLb0EESR_EEDaSM_SN_EUlSM_E0_NS1_11comp_targetILNS1_3genE3ELNS1_11target_archE908ELNS1_3gpuE7ELNS1_3repE0EEENS1_30default_config_static_selectorELNS0_4arch9wavefront6targetE1EEEvT1_,comdat
	.protected	_ZN7rocprim17ROCPRIM_400000_NS6detail17trampoline_kernelINS0_14default_configENS1_20scan_config_selectorIiEEZZNS1_9scan_implILNS1_25lookback_scan_determinismE0ELb1ELb1ES3_N6thrust23THRUST_200600_302600_NS10device_ptrIiEESB_iNS9_4plusIvEEiEEDaPvRmT3_T4_T5_mT6_P12ihipStream_tbENKUlT_T0_E_clISt17integral_constantIbLb0EESR_EEDaSM_SN_EUlSM_E0_NS1_11comp_targetILNS1_3genE3ELNS1_11target_archE908ELNS1_3gpuE7ELNS1_3repE0EEENS1_30default_config_static_selectorELNS0_4arch9wavefront6targetE1EEEvT1_ ; -- Begin function _ZN7rocprim17ROCPRIM_400000_NS6detail17trampoline_kernelINS0_14default_configENS1_20scan_config_selectorIiEEZZNS1_9scan_implILNS1_25lookback_scan_determinismE0ELb1ELb1ES3_N6thrust23THRUST_200600_302600_NS10device_ptrIiEESB_iNS9_4plusIvEEiEEDaPvRmT3_T4_T5_mT6_P12ihipStream_tbENKUlT_T0_E_clISt17integral_constantIbLb0EESR_EEDaSM_SN_EUlSM_E0_NS1_11comp_targetILNS1_3genE3ELNS1_11target_archE908ELNS1_3gpuE7ELNS1_3repE0EEENS1_30default_config_static_selectorELNS0_4arch9wavefront6targetE1EEEvT1_
	.globl	_ZN7rocprim17ROCPRIM_400000_NS6detail17trampoline_kernelINS0_14default_configENS1_20scan_config_selectorIiEEZZNS1_9scan_implILNS1_25lookback_scan_determinismE0ELb1ELb1ES3_N6thrust23THRUST_200600_302600_NS10device_ptrIiEESB_iNS9_4plusIvEEiEEDaPvRmT3_T4_T5_mT6_P12ihipStream_tbENKUlT_T0_E_clISt17integral_constantIbLb0EESR_EEDaSM_SN_EUlSM_E0_NS1_11comp_targetILNS1_3genE3ELNS1_11target_archE908ELNS1_3gpuE7ELNS1_3repE0EEENS1_30default_config_static_selectorELNS0_4arch9wavefront6targetE1EEEvT1_
	.p2align	8
	.type	_ZN7rocprim17ROCPRIM_400000_NS6detail17trampoline_kernelINS0_14default_configENS1_20scan_config_selectorIiEEZZNS1_9scan_implILNS1_25lookback_scan_determinismE0ELb1ELb1ES3_N6thrust23THRUST_200600_302600_NS10device_ptrIiEESB_iNS9_4plusIvEEiEEDaPvRmT3_T4_T5_mT6_P12ihipStream_tbENKUlT_T0_E_clISt17integral_constantIbLb0EESR_EEDaSM_SN_EUlSM_E0_NS1_11comp_targetILNS1_3genE3ELNS1_11target_archE908ELNS1_3gpuE7ELNS1_3repE0EEENS1_30default_config_static_selectorELNS0_4arch9wavefront6targetE1EEEvT1_,@function
_ZN7rocprim17ROCPRIM_400000_NS6detail17trampoline_kernelINS0_14default_configENS1_20scan_config_selectorIiEEZZNS1_9scan_implILNS1_25lookback_scan_determinismE0ELb1ELb1ES3_N6thrust23THRUST_200600_302600_NS10device_ptrIiEESB_iNS9_4plusIvEEiEEDaPvRmT3_T4_T5_mT6_P12ihipStream_tbENKUlT_T0_E_clISt17integral_constantIbLb0EESR_EEDaSM_SN_EUlSM_E0_NS1_11comp_targetILNS1_3genE3ELNS1_11target_archE908ELNS1_3gpuE7ELNS1_3repE0EEENS1_30default_config_static_selectorELNS0_4arch9wavefront6targetE1EEEvT1_: ; @_ZN7rocprim17ROCPRIM_400000_NS6detail17trampoline_kernelINS0_14default_configENS1_20scan_config_selectorIiEEZZNS1_9scan_implILNS1_25lookback_scan_determinismE0ELb1ELb1ES3_N6thrust23THRUST_200600_302600_NS10device_ptrIiEESB_iNS9_4plusIvEEiEEDaPvRmT3_T4_T5_mT6_P12ihipStream_tbENKUlT_T0_E_clISt17integral_constantIbLb0EESR_EEDaSM_SN_EUlSM_E0_NS1_11comp_targetILNS1_3genE3ELNS1_11target_archE908ELNS1_3gpuE7ELNS1_3repE0EEENS1_30default_config_static_selectorELNS0_4arch9wavefront6targetE1EEEvT1_
; %bb.0:
	.section	.rodata,"a",@progbits
	.p2align	6, 0x0
	.amdhsa_kernel _ZN7rocprim17ROCPRIM_400000_NS6detail17trampoline_kernelINS0_14default_configENS1_20scan_config_selectorIiEEZZNS1_9scan_implILNS1_25lookback_scan_determinismE0ELb1ELb1ES3_N6thrust23THRUST_200600_302600_NS10device_ptrIiEESB_iNS9_4plusIvEEiEEDaPvRmT3_T4_T5_mT6_P12ihipStream_tbENKUlT_T0_E_clISt17integral_constantIbLb0EESR_EEDaSM_SN_EUlSM_E0_NS1_11comp_targetILNS1_3genE3ELNS1_11target_archE908ELNS1_3gpuE7ELNS1_3repE0EEENS1_30default_config_static_selectorELNS0_4arch9wavefront6targetE1EEEvT1_
		.amdhsa_group_segment_fixed_size 0
		.amdhsa_private_segment_fixed_size 0
		.amdhsa_kernarg_size 32
		.amdhsa_user_sgpr_count 6
		.amdhsa_user_sgpr_private_segment_buffer 1
		.amdhsa_user_sgpr_dispatch_ptr 0
		.amdhsa_user_sgpr_queue_ptr 0
		.amdhsa_user_sgpr_kernarg_segment_ptr 1
		.amdhsa_user_sgpr_dispatch_id 0
		.amdhsa_user_sgpr_flat_scratch_init 0
		.amdhsa_user_sgpr_kernarg_preload_length 0
		.amdhsa_user_sgpr_kernarg_preload_offset 0
		.amdhsa_user_sgpr_private_segment_size 0
		.amdhsa_uses_dynamic_stack 0
		.amdhsa_system_sgpr_private_segment_wavefront_offset 0
		.amdhsa_system_sgpr_workgroup_id_x 1
		.amdhsa_system_sgpr_workgroup_id_y 0
		.amdhsa_system_sgpr_workgroup_id_z 0
		.amdhsa_system_sgpr_workgroup_info 0
		.amdhsa_system_vgpr_workitem_id 0
		.amdhsa_next_free_vgpr 1
		.amdhsa_next_free_sgpr 0
		.amdhsa_accum_offset 4
		.amdhsa_reserve_vcc 0
		.amdhsa_reserve_flat_scratch 0
		.amdhsa_float_round_mode_32 0
		.amdhsa_float_round_mode_16_64 0
		.amdhsa_float_denorm_mode_32 3
		.amdhsa_float_denorm_mode_16_64 3
		.amdhsa_dx10_clamp 1
		.amdhsa_ieee_mode 1
		.amdhsa_fp16_overflow 0
		.amdhsa_tg_split 0
		.amdhsa_exception_fp_ieee_invalid_op 0
		.amdhsa_exception_fp_denorm_src 0
		.amdhsa_exception_fp_ieee_div_zero 0
		.amdhsa_exception_fp_ieee_overflow 0
		.amdhsa_exception_fp_ieee_underflow 0
		.amdhsa_exception_fp_ieee_inexact 0
		.amdhsa_exception_int_div_zero 0
	.end_amdhsa_kernel
	.section	.text._ZN7rocprim17ROCPRIM_400000_NS6detail17trampoline_kernelINS0_14default_configENS1_20scan_config_selectorIiEEZZNS1_9scan_implILNS1_25lookback_scan_determinismE0ELb1ELb1ES3_N6thrust23THRUST_200600_302600_NS10device_ptrIiEESB_iNS9_4plusIvEEiEEDaPvRmT3_T4_T5_mT6_P12ihipStream_tbENKUlT_T0_E_clISt17integral_constantIbLb0EESR_EEDaSM_SN_EUlSM_E0_NS1_11comp_targetILNS1_3genE3ELNS1_11target_archE908ELNS1_3gpuE7ELNS1_3repE0EEENS1_30default_config_static_selectorELNS0_4arch9wavefront6targetE1EEEvT1_,"axG",@progbits,_ZN7rocprim17ROCPRIM_400000_NS6detail17trampoline_kernelINS0_14default_configENS1_20scan_config_selectorIiEEZZNS1_9scan_implILNS1_25lookback_scan_determinismE0ELb1ELb1ES3_N6thrust23THRUST_200600_302600_NS10device_ptrIiEESB_iNS9_4plusIvEEiEEDaPvRmT3_T4_T5_mT6_P12ihipStream_tbENKUlT_T0_E_clISt17integral_constantIbLb0EESR_EEDaSM_SN_EUlSM_E0_NS1_11comp_targetILNS1_3genE3ELNS1_11target_archE908ELNS1_3gpuE7ELNS1_3repE0EEENS1_30default_config_static_selectorELNS0_4arch9wavefront6targetE1EEEvT1_,comdat
.Lfunc_end6834:
	.size	_ZN7rocprim17ROCPRIM_400000_NS6detail17trampoline_kernelINS0_14default_configENS1_20scan_config_selectorIiEEZZNS1_9scan_implILNS1_25lookback_scan_determinismE0ELb1ELb1ES3_N6thrust23THRUST_200600_302600_NS10device_ptrIiEESB_iNS9_4plusIvEEiEEDaPvRmT3_T4_T5_mT6_P12ihipStream_tbENKUlT_T0_E_clISt17integral_constantIbLb0EESR_EEDaSM_SN_EUlSM_E0_NS1_11comp_targetILNS1_3genE3ELNS1_11target_archE908ELNS1_3gpuE7ELNS1_3repE0EEENS1_30default_config_static_selectorELNS0_4arch9wavefront6targetE1EEEvT1_, .Lfunc_end6834-_ZN7rocprim17ROCPRIM_400000_NS6detail17trampoline_kernelINS0_14default_configENS1_20scan_config_selectorIiEEZZNS1_9scan_implILNS1_25lookback_scan_determinismE0ELb1ELb1ES3_N6thrust23THRUST_200600_302600_NS10device_ptrIiEESB_iNS9_4plusIvEEiEEDaPvRmT3_T4_T5_mT6_P12ihipStream_tbENKUlT_T0_E_clISt17integral_constantIbLb0EESR_EEDaSM_SN_EUlSM_E0_NS1_11comp_targetILNS1_3genE3ELNS1_11target_archE908ELNS1_3gpuE7ELNS1_3repE0EEENS1_30default_config_static_selectorELNS0_4arch9wavefront6targetE1EEEvT1_
                                        ; -- End function
	.section	.AMDGPU.csdata,"",@progbits
; Kernel info:
; codeLenInByte = 0
; NumSgprs: 4
; NumVgprs: 0
; NumAgprs: 0
; TotalNumVgprs: 0
; ScratchSize: 0
; MemoryBound: 0
; FloatMode: 240
; IeeeMode: 1
; LDSByteSize: 0 bytes/workgroup (compile time only)
; SGPRBlocks: 0
; VGPRBlocks: 0
; NumSGPRsForWavesPerEU: 4
; NumVGPRsForWavesPerEU: 1
; AccumOffset: 4
; Occupancy: 8
; WaveLimiterHint : 0
; COMPUTE_PGM_RSRC2:SCRATCH_EN: 0
; COMPUTE_PGM_RSRC2:USER_SGPR: 6
; COMPUTE_PGM_RSRC2:TRAP_HANDLER: 0
; COMPUTE_PGM_RSRC2:TGID_X_EN: 1
; COMPUTE_PGM_RSRC2:TGID_Y_EN: 0
; COMPUTE_PGM_RSRC2:TGID_Z_EN: 0
; COMPUTE_PGM_RSRC2:TIDIG_COMP_CNT: 0
; COMPUTE_PGM_RSRC3_GFX90A:ACCUM_OFFSET: 0
; COMPUTE_PGM_RSRC3_GFX90A:TG_SPLIT: 0
	.section	.text._ZN7rocprim17ROCPRIM_400000_NS6detail17trampoline_kernelINS0_14default_configENS1_20scan_config_selectorIiEEZZNS1_9scan_implILNS1_25lookback_scan_determinismE0ELb1ELb1ES3_N6thrust23THRUST_200600_302600_NS10device_ptrIiEESB_iNS9_4plusIvEEiEEDaPvRmT3_T4_T5_mT6_P12ihipStream_tbENKUlT_T0_E_clISt17integral_constantIbLb0EESR_EEDaSM_SN_EUlSM_E0_NS1_11comp_targetILNS1_3genE2ELNS1_11target_archE906ELNS1_3gpuE6ELNS1_3repE0EEENS1_30default_config_static_selectorELNS0_4arch9wavefront6targetE1EEEvT1_,"axG",@progbits,_ZN7rocprim17ROCPRIM_400000_NS6detail17trampoline_kernelINS0_14default_configENS1_20scan_config_selectorIiEEZZNS1_9scan_implILNS1_25lookback_scan_determinismE0ELb1ELb1ES3_N6thrust23THRUST_200600_302600_NS10device_ptrIiEESB_iNS9_4plusIvEEiEEDaPvRmT3_T4_T5_mT6_P12ihipStream_tbENKUlT_T0_E_clISt17integral_constantIbLb0EESR_EEDaSM_SN_EUlSM_E0_NS1_11comp_targetILNS1_3genE2ELNS1_11target_archE906ELNS1_3gpuE6ELNS1_3repE0EEENS1_30default_config_static_selectorELNS0_4arch9wavefront6targetE1EEEvT1_,comdat
	.protected	_ZN7rocprim17ROCPRIM_400000_NS6detail17trampoline_kernelINS0_14default_configENS1_20scan_config_selectorIiEEZZNS1_9scan_implILNS1_25lookback_scan_determinismE0ELb1ELb1ES3_N6thrust23THRUST_200600_302600_NS10device_ptrIiEESB_iNS9_4plusIvEEiEEDaPvRmT3_T4_T5_mT6_P12ihipStream_tbENKUlT_T0_E_clISt17integral_constantIbLb0EESR_EEDaSM_SN_EUlSM_E0_NS1_11comp_targetILNS1_3genE2ELNS1_11target_archE906ELNS1_3gpuE6ELNS1_3repE0EEENS1_30default_config_static_selectorELNS0_4arch9wavefront6targetE1EEEvT1_ ; -- Begin function _ZN7rocprim17ROCPRIM_400000_NS6detail17trampoline_kernelINS0_14default_configENS1_20scan_config_selectorIiEEZZNS1_9scan_implILNS1_25lookback_scan_determinismE0ELb1ELb1ES3_N6thrust23THRUST_200600_302600_NS10device_ptrIiEESB_iNS9_4plusIvEEiEEDaPvRmT3_T4_T5_mT6_P12ihipStream_tbENKUlT_T0_E_clISt17integral_constantIbLb0EESR_EEDaSM_SN_EUlSM_E0_NS1_11comp_targetILNS1_3genE2ELNS1_11target_archE906ELNS1_3gpuE6ELNS1_3repE0EEENS1_30default_config_static_selectorELNS0_4arch9wavefront6targetE1EEEvT1_
	.globl	_ZN7rocprim17ROCPRIM_400000_NS6detail17trampoline_kernelINS0_14default_configENS1_20scan_config_selectorIiEEZZNS1_9scan_implILNS1_25lookback_scan_determinismE0ELb1ELb1ES3_N6thrust23THRUST_200600_302600_NS10device_ptrIiEESB_iNS9_4plusIvEEiEEDaPvRmT3_T4_T5_mT6_P12ihipStream_tbENKUlT_T0_E_clISt17integral_constantIbLb0EESR_EEDaSM_SN_EUlSM_E0_NS1_11comp_targetILNS1_3genE2ELNS1_11target_archE906ELNS1_3gpuE6ELNS1_3repE0EEENS1_30default_config_static_selectorELNS0_4arch9wavefront6targetE1EEEvT1_
	.p2align	8
	.type	_ZN7rocprim17ROCPRIM_400000_NS6detail17trampoline_kernelINS0_14default_configENS1_20scan_config_selectorIiEEZZNS1_9scan_implILNS1_25lookback_scan_determinismE0ELb1ELb1ES3_N6thrust23THRUST_200600_302600_NS10device_ptrIiEESB_iNS9_4plusIvEEiEEDaPvRmT3_T4_T5_mT6_P12ihipStream_tbENKUlT_T0_E_clISt17integral_constantIbLb0EESR_EEDaSM_SN_EUlSM_E0_NS1_11comp_targetILNS1_3genE2ELNS1_11target_archE906ELNS1_3gpuE6ELNS1_3repE0EEENS1_30default_config_static_selectorELNS0_4arch9wavefront6targetE1EEEvT1_,@function
_ZN7rocprim17ROCPRIM_400000_NS6detail17trampoline_kernelINS0_14default_configENS1_20scan_config_selectorIiEEZZNS1_9scan_implILNS1_25lookback_scan_determinismE0ELb1ELb1ES3_N6thrust23THRUST_200600_302600_NS10device_ptrIiEESB_iNS9_4plusIvEEiEEDaPvRmT3_T4_T5_mT6_P12ihipStream_tbENKUlT_T0_E_clISt17integral_constantIbLb0EESR_EEDaSM_SN_EUlSM_E0_NS1_11comp_targetILNS1_3genE2ELNS1_11target_archE906ELNS1_3gpuE6ELNS1_3repE0EEENS1_30default_config_static_selectorELNS0_4arch9wavefront6targetE1EEEvT1_: ; @_ZN7rocprim17ROCPRIM_400000_NS6detail17trampoline_kernelINS0_14default_configENS1_20scan_config_selectorIiEEZZNS1_9scan_implILNS1_25lookback_scan_determinismE0ELb1ELb1ES3_N6thrust23THRUST_200600_302600_NS10device_ptrIiEESB_iNS9_4plusIvEEiEEDaPvRmT3_T4_T5_mT6_P12ihipStream_tbENKUlT_T0_E_clISt17integral_constantIbLb0EESR_EEDaSM_SN_EUlSM_E0_NS1_11comp_targetILNS1_3genE2ELNS1_11target_archE906ELNS1_3gpuE6ELNS1_3repE0EEENS1_30default_config_static_selectorELNS0_4arch9wavefront6targetE1EEEvT1_
; %bb.0:
	.section	.rodata,"a",@progbits
	.p2align	6, 0x0
	.amdhsa_kernel _ZN7rocprim17ROCPRIM_400000_NS6detail17trampoline_kernelINS0_14default_configENS1_20scan_config_selectorIiEEZZNS1_9scan_implILNS1_25lookback_scan_determinismE0ELb1ELb1ES3_N6thrust23THRUST_200600_302600_NS10device_ptrIiEESB_iNS9_4plusIvEEiEEDaPvRmT3_T4_T5_mT6_P12ihipStream_tbENKUlT_T0_E_clISt17integral_constantIbLb0EESR_EEDaSM_SN_EUlSM_E0_NS1_11comp_targetILNS1_3genE2ELNS1_11target_archE906ELNS1_3gpuE6ELNS1_3repE0EEENS1_30default_config_static_selectorELNS0_4arch9wavefront6targetE1EEEvT1_
		.amdhsa_group_segment_fixed_size 0
		.amdhsa_private_segment_fixed_size 0
		.amdhsa_kernarg_size 32
		.amdhsa_user_sgpr_count 6
		.amdhsa_user_sgpr_private_segment_buffer 1
		.amdhsa_user_sgpr_dispatch_ptr 0
		.amdhsa_user_sgpr_queue_ptr 0
		.amdhsa_user_sgpr_kernarg_segment_ptr 1
		.amdhsa_user_sgpr_dispatch_id 0
		.amdhsa_user_sgpr_flat_scratch_init 0
		.amdhsa_user_sgpr_kernarg_preload_length 0
		.amdhsa_user_sgpr_kernarg_preload_offset 0
		.amdhsa_user_sgpr_private_segment_size 0
		.amdhsa_uses_dynamic_stack 0
		.amdhsa_system_sgpr_private_segment_wavefront_offset 0
		.amdhsa_system_sgpr_workgroup_id_x 1
		.amdhsa_system_sgpr_workgroup_id_y 0
		.amdhsa_system_sgpr_workgroup_id_z 0
		.amdhsa_system_sgpr_workgroup_info 0
		.amdhsa_system_vgpr_workitem_id 0
		.amdhsa_next_free_vgpr 1
		.amdhsa_next_free_sgpr 0
		.amdhsa_accum_offset 4
		.amdhsa_reserve_vcc 0
		.amdhsa_reserve_flat_scratch 0
		.amdhsa_float_round_mode_32 0
		.amdhsa_float_round_mode_16_64 0
		.amdhsa_float_denorm_mode_32 3
		.amdhsa_float_denorm_mode_16_64 3
		.amdhsa_dx10_clamp 1
		.amdhsa_ieee_mode 1
		.amdhsa_fp16_overflow 0
		.amdhsa_tg_split 0
		.amdhsa_exception_fp_ieee_invalid_op 0
		.amdhsa_exception_fp_denorm_src 0
		.amdhsa_exception_fp_ieee_div_zero 0
		.amdhsa_exception_fp_ieee_overflow 0
		.amdhsa_exception_fp_ieee_underflow 0
		.amdhsa_exception_fp_ieee_inexact 0
		.amdhsa_exception_int_div_zero 0
	.end_amdhsa_kernel
	.section	.text._ZN7rocprim17ROCPRIM_400000_NS6detail17trampoline_kernelINS0_14default_configENS1_20scan_config_selectorIiEEZZNS1_9scan_implILNS1_25lookback_scan_determinismE0ELb1ELb1ES3_N6thrust23THRUST_200600_302600_NS10device_ptrIiEESB_iNS9_4plusIvEEiEEDaPvRmT3_T4_T5_mT6_P12ihipStream_tbENKUlT_T0_E_clISt17integral_constantIbLb0EESR_EEDaSM_SN_EUlSM_E0_NS1_11comp_targetILNS1_3genE2ELNS1_11target_archE906ELNS1_3gpuE6ELNS1_3repE0EEENS1_30default_config_static_selectorELNS0_4arch9wavefront6targetE1EEEvT1_,"axG",@progbits,_ZN7rocprim17ROCPRIM_400000_NS6detail17trampoline_kernelINS0_14default_configENS1_20scan_config_selectorIiEEZZNS1_9scan_implILNS1_25lookback_scan_determinismE0ELb1ELb1ES3_N6thrust23THRUST_200600_302600_NS10device_ptrIiEESB_iNS9_4plusIvEEiEEDaPvRmT3_T4_T5_mT6_P12ihipStream_tbENKUlT_T0_E_clISt17integral_constantIbLb0EESR_EEDaSM_SN_EUlSM_E0_NS1_11comp_targetILNS1_3genE2ELNS1_11target_archE906ELNS1_3gpuE6ELNS1_3repE0EEENS1_30default_config_static_selectorELNS0_4arch9wavefront6targetE1EEEvT1_,comdat
.Lfunc_end6835:
	.size	_ZN7rocprim17ROCPRIM_400000_NS6detail17trampoline_kernelINS0_14default_configENS1_20scan_config_selectorIiEEZZNS1_9scan_implILNS1_25lookback_scan_determinismE0ELb1ELb1ES3_N6thrust23THRUST_200600_302600_NS10device_ptrIiEESB_iNS9_4plusIvEEiEEDaPvRmT3_T4_T5_mT6_P12ihipStream_tbENKUlT_T0_E_clISt17integral_constantIbLb0EESR_EEDaSM_SN_EUlSM_E0_NS1_11comp_targetILNS1_3genE2ELNS1_11target_archE906ELNS1_3gpuE6ELNS1_3repE0EEENS1_30default_config_static_selectorELNS0_4arch9wavefront6targetE1EEEvT1_, .Lfunc_end6835-_ZN7rocprim17ROCPRIM_400000_NS6detail17trampoline_kernelINS0_14default_configENS1_20scan_config_selectorIiEEZZNS1_9scan_implILNS1_25lookback_scan_determinismE0ELb1ELb1ES3_N6thrust23THRUST_200600_302600_NS10device_ptrIiEESB_iNS9_4plusIvEEiEEDaPvRmT3_T4_T5_mT6_P12ihipStream_tbENKUlT_T0_E_clISt17integral_constantIbLb0EESR_EEDaSM_SN_EUlSM_E0_NS1_11comp_targetILNS1_3genE2ELNS1_11target_archE906ELNS1_3gpuE6ELNS1_3repE0EEENS1_30default_config_static_selectorELNS0_4arch9wavefront6targetE1EEEvT1_
                                        ; -- End function
	.section	.AMDGPU.csdata,"",@progbits
; Kernel info:
; codeLenInByte = 0
; NumSgprs: 4
; NumVgprs: 0
; NumAgprs: 0
; TotalNumVgprs: 0
; ScratchSize: 0
; MemoryBound: 0
; FloatMode: 240
; IeeeMode: 1
; LDSByteSize: 0 bytes/workgroup (compile time only)
; SGPRBlocks: 0
; VGPRBlocks: 0
; NumSGPRsForWavesPerEU: 4
; NumVGPRsForWavesPerEU: 1
; AccumOffset: 4
; Occupancy: 8
; WaveLimiterHint : 0
; COMPUTE_PGM_RSRC2:SCRATCH_EN: 0
; COMPUTE_PGM_RSRC2:USER_SGPR: 6
; COMPUTE_PGM_RSRC2:TRAP_HANDLER: 0
; COMPUTE_PGM_RSRC2:TGID_X_EN: 1
; COMPUTE_PGM_RSRC2:TGID_Y_EN: 0
; COMPUTE_PGM_RSRC2:TGID_Z_EN: 0
; COMPUTE_PGM_RSRC2:TIDIG_COMP_CNT: 0
; COMPUTE_PGM_RSRC3_GFX90A:ACCUM_OFFSET: 0
; COMPUTE_PGM_RSRC3_GFX90A:TG_SPLIT: 0
	.section	.text._ZN7rocprim17ROCPRIM_400000_NS6detail17trampoline_kernelINS0_14default_configENS1_20scan_config_selectorIiEEZZNS1_9scan_implILNS1_25lookback_scan_determinismE0ELb1ELb1ES3_N6thrust23THRUST_200600_302600_NS10device_ptrIiEESB_iNS9_4plusIvEEiEEDaPvRmT3_T4_T5_mT6_P12ihipStream_tbENKUlT_T0_E_clISt17integral_constantIbLb0EESR_EEDaSM_SN_EUlSM_E0_NS1_11comp_targetILNS1_3genE10ELNS1_11target_archE1201ELNS1_3gpuE5ELNS1_3repE0EEENS1_30default_config_static_selectorELNS0_4arch9wavefront6targetE1EEEvT1_,"axG",@progbits,_ZN7rocprim17ROCPRIM_400000_NS6detail17trampoline_kernelINS0_14default_configENS1_20scan_config_selectorIiEEZZNS1_9scan_implILNS1_25lookback_scan_determinismE0ELb1ELb1ES3_N6thrust23THRUST_200600_302600_NS10device_ptrIiEESB_iNS9_4plusIvEEiEEDaPvRmT3_T4_T5_mT6_P12ihipStream_tbENKUlT_T0_E_clISt17integral_constantIbLb0EESR_EEDaSM_SN_EUlSM_E0_NS1_11comp_targetILNS1_3genE10ELNS1_11target_archE1201ELNS1_3gpuE5ELNS1_3repE0EEENS1_30default_config_static_selectorELNS0_4arch9wavefront6targetE1EEEvT1_,comdat
	.protected	_ZN7rocprim17ROCPRIM_400000_NS6detail17trampoline_kernelINS0_14default_configENS1_20scan_config_selectorIiEEZZNS1_9scan_implILNS1_25lookback_scan_determinismE0ELb1ELb1ES3_N6thrust23THRUST_200600_302600_NS10device_ptrIiEESB_iNS9_4plusIvEEiEEDaPvRmT3_T4_T5_mT6_P12ihipStream_tbENKUlT_T0_E_clISt17integral_constantIbLb0EESR_EEDaSM_SN_EUlSM_E0_NS1_11comp_targetILNS1_3genE10ELNS1_11target_archE1201ELNS1_3gpuE5ELNS1_3repE0EEENS1_30default_config_static_selectorELNS0_4arch9wavefront6targetE1EEEvT1_ ; -- Begin function _ZN7rocprim17ROCPRIM_400000_NS6detail17trampoline_kernelINS0_14default_configENS1_20scan_config_selectorIiEEZZNS1_9scan_implILNS1_25lookback_scan_determinismE0ELb1ELb1ES3_N6thrust23THRUST_200600_302600_NS10device_ptrIiEESB_iNS9_4plusIvEEiEEDaPvRmT3_T4_T5_mT6_P12ihipStream_tbENKUlT_T0_E_clISt17integral_constantIbLb0EESR_EEDaSM_SN_EUlSM_E0_NS1_11comp_targetILNS1_3genE10ELNS1_11target_archE1201ELNS1_3gpuE5ELNS1_3repE0EEENS1_30default_config_static_selectorELNS0_4arch9wavefront6targetE1EEEvT1_
	.globl	_ZN7rocprim17ROCPRIM_400000_NS6detail17trampoline_kernelINS0_14default_configENS1_20scan_config_selectorIiEEZZNS1_9scan_implILNS1_25lookback_scan_determinismE0ELb1ELb1ES3_N6thrust23THRUST_200600_302600_NS10device_ptrIiEESB_iNS9_4plusIvEEiEEDaPvRmT3_T4_T5_mT6_P12ihipStream_tbENKUlT_T0_E_clISt17integral_constantIbLb0EESR_EEDaSM_SN_EUlSM_E0_NS1_11comp_targetILNS1_3genE10ELNS1_11target_archE1201ELNS1_3gpuE5ELNS1_3repE0EEENS1_30default_config_static_selectorELNS0_4arch9wavefront6targetE1EEEvT1_
	.p2align	8
	.type	_ZN7rocprim17ROCPRIM_400000_NS6detail17trampoline_kernelINS0_14default_configENS1_20scan_config_selectorIiEEZZNS1_9scan_implILNS1_25lookback_scan_determinismE0ELb1ELb1ES3_N6thrust23THRUST_200600_302600_NS10device_ptrIiEESB_iNS9_4plusIvEEiEEDaPvRmT3_T4_T5_mT6_P12ihipStream_tbENKUlT_T0_E_clISt17integral_constantIbLb0EESR_EEDaSM_SN_EUlSM_E0_NS1_11comp_targetILNS1_3genE10ELNS1_11target_archE1201ELNS1_3gpuE5ELNS1_3repE0EEENS1_30default_config_static_selectorELNS0_4arch9wavefront6targetE1EEEvT1_,@function
_ZN7rocprim17ROCPRIM_400000_NS6detail17trampoline_kernelINS0_14default_configENS1_20scan_config_selectorIiEEZZNS1_9scan_implILNS1_25lookback_scan_determinismE0ELb1ELb1ES3_N6thrust23THRUST_200600_302600_NS10device_ptrIiEESB_iNS9_4plusIvEEiEEDaPvRmT3_T4_T5_mT6_P12ihipStream_tbENKUlT_T0_E_clISt17integral_constantIbLb0EESR_EEDaSM_SN_EUlSM_E0_NS1_11comp_targetILNS1_3genE10ELNS1_11target_archE1201ELNS1_3gpuE5ELNS1_3repE0EEENS1_30default_config_static_selectorELNS0_4arch9wavefront6targetE1EEEvT1_: ; @_ZN7rocprim17ROCPRIM_400000_NS6detail17trampoline_kernelINS0_14default_configENS1_20scan_config_selectorIiEEZZNS1_9scan_implILNS1_25lookback_scan_determinismE0ELb1ELb1ES3_N6thrust23THRUST_200600_302600_NS10device_ptrIiEESB_iNS9_4plusIvEEiEEDaPvRmT3_T4_T5_mT6_P12ihipStream_tbENKUlT_T0_E_clISt17integral_constantIbLb0EESR_EEDaSM_SN_EUlSM_E0_NS1_11comp_targetILNS1_3genE10ELNS1_11target_archE1201ELNS1_3gpuE5ELNS1_3repE0EEENS1_30default_config_static_selectorELNS0_4arch9wavefront6targetE1EEEvT1_
; %bb.0:
	.section	.rodata,"a",@progbits
	.p2align	6, 0x0
	.amdhsa_kernel _ZN7rocprim17ROCPRIM_400000_NS6detail17trampoline_kernelINS0_14default_configENS1_20scan_config_selectorIiEEZZNS1_9scan_implILNS1_25lookback_scan_determinismE0ELb1ELb1ES3_N6thrust23THRUST_200600_302600_NS10device_ptrIiEESB_iNS9_4plusIvEEiEEDaPvRmT3_T4_T5_mT6_P12ihipStream_tbENKUlT_T0_E_clISt17integral_constantIbLb0EESR_EEDaSM_SN_EUlSM_E0_NS1_11comp_targetILNS1_3genE10ELNS1_11target_archE1201ELNS1_3gpuE5ELNS1_3repE0EEENS1_30default_config_static_selectorELNS0_4arch9wavefront6targetE1EEEvT1_
		.amdhsa_group_segment_fixed_size 0
		.amdhsa_private_segment_fixed_size 0
		.amdhsa_kernarg_size 32
		.amdhsa_user_sgpr_count 6
		.amdhsa_user_sgpr_private_segment_buffer 1
		.amdhsa_user_sgpr_dispatch_ptr 0
		.amdhsa_user_sgpr_queue_ptr 0
		.amdhsa_user_sgpr_kernarg_segment_ptr 1
		.amdhsa_user_sgpr_dispatch_id 0
		.amdhsa_user_sgpr_flat_scratch_init 0
		.amdhsa_user_sgpr_kernarg_preload_length 0
		.amdhsa_user_sgpr_kernarg_preload_offset 0
		.amdhsa_user_sgpr_private_segment_size 0
		.amdhsa_uses_dynamic_stack 0
		.amdhsa_system_sgpr_private_segment_wavefront_offset 0
		.amdhsa_system_sgpr_workgroup_id_x 1
		.amdhsa_system_sgpr_workgroup_id_y 0
		.amdhsa_system_sgpr_workgroup_id_z 0
		.amdhsa_system_sgpr_workgroup_info 0
		.amdhsa_system_vgpr_workitem_id 0
		.amdhsa_next_free_vgpr 1
		.amdhsa_next_free_sgpr 0
		.amdhsa_accum_offset 4
		.amdhsa_reserve_vcc 0
		.amdhsa_reserve_flat_scratch 0
		.amdhsa_float_round_mode_32 0
		.amdhsa_float_round_mode_16_64 0
		.amdhsa_float_denorm_mode_32 3
		.amdhsa_float_denorm_mode_16_64 3
		.amdhsa_dx10_clamp 1
		.amdhsa_ieee_mode 1
		.amdhsa_fp16_overflow 0
		.amdhsa_tg_split 0
		.amdhsa_exception_fp_ieee_invalid_op 0
		.amdhsa_exception_fp_denorm_src 0
		.amdhsa_exception_fp_ieee_div_zero 0
		.amdhsa_exception_fp_ieee_overflow 0
		.amdhsa_exception_fp_ieee_underflow 0
		.amdhsa_exception_fp_ieee_inexact 0
		.amdhsa_exception_int_div_zero 0
	.end_amdhsa_kernel
	.section	.text._ZN7rocprim17ROCPRIM_400000_NS6detail17trampoline_kernelINS0_14default_configENS1_20scan_config_selectorIiEEZZNS1_9scan_implILNS1_25lookback_scan_determinismE0ELb1ELb1ES3_N6thrust23THRUST_200600_302600_NS10device_ptrIiEESB_iNS9_4plusIvEEiEEDaPvRmT3_T4_T5_mT6_P12ihipStream_tbENKUlT_T0_E_clISt17integral_constantIbLb0EESR_EEDaSM_SN_EUlSM_E0_NS1_11comp_targetILNS1_3genE10ELNS1_11target_archE1201ELNS1_3gpuE5ELNS1_3repE0EEENS1_30default_config_static_selectorELNS0_4arch9wavefront6targetE1EEEvT1_,"axG",@progbits,_ZN7rocprim17ROCPRIM_400000_NS6detail17trampoline_kernelINS0_14default_configENS1_20scan_config_selectorIiEEZZNS1_9scan_implILNS1_25lookback_scan_determinismE0ELb1ELb1ES3_N6thrust23THRUST_200600_302600_NS10device_ptrIiEESB_iNS9_4plusIvEEiEEDaPvRmT3_T4_T5_mT6_P12ihipStream_tbENKUlT_T0_E_clISt17integral_constantIbLb0EESR_EEDaSM_SN_EUlSM_E0_NS1_11comp_targetILNS1_3genE10ELNS1_11target_archE1201ELNS1_3gpuE5ELNS1_3repE0EEENS1_30default_config_static_selectorELNS0_4arch9wavefront6targetE1EEEvT1_,comdat
.Lfunc_end6836:
	.size	_ZN7rocprim17ROCPRIM_400000_NS6detail17trampoline_kernelINS0_14default_configENS1_20scan_config_selectorIiEEZZNS1_9scan_implILNS1_25lookback_scan_determinismE0ELb1ELb1ES3_N6thrust23THRUST_200600_302600_NS10device_ptrIiEESB_iNS9_4plusIvEEiEEDaPvRmT3_T4_T5_mT6_P12ihipStream_tbENKUlT_T0_E_clISt17integral_constantIbLb0EESR_EEDaSM_SN_EUlSM_E0_NS1_11comp_targetILNS1_3genE10ELNS1_11target_archE1201ELNS1_3gpuE5ELNS1_3repE0EEENS1_30default_config_static_selectorELNS0_4arch9wavefront6targetE1EEEvT1_, .Lfunc_end6836-_ZN7rocprim17ROCPRIM_400000_NS6detail17trampoline_kernelINS0_14default_configENS1_20scan_config_selectorIiEEZZNS1_9scan_implILNS1_25lookback_scan_determinismE0ELb1ELb1ES3_N6thrust23THRUST_200600_302600_NS10device_ptrIiEESB_iNS9_4plusIvEEiEEDaPvRmT3_T4_T5_mT6_P12ihipStream_tbENKUlT_T0_E_clISt17integral_constantIbLb0EESR_EEDaSM_SN_EUlSM_E0_NS1_11comp_targetILNS1_3genE10ELNS1_11target_archE1201ELNS1_3gpuE5ELNS1_3repE0EEENS1_30default_config_static_selectorELNS0_4arch9wavefront6targetE1EEEvT1_
                                        ; -- End function
	.section	.AMDGPU.csdata,"",@progbits
; Kernel info:
; codeLenInByte = 0
; NumSgprs: 4
; NumVgprs: 0
; NumAgprs: 0
; TotalNumVgprs: 0
; ScratchSize: 0
; MemoryBound: 0
; FloatMode: 240
; IeeeMode: 1
; LDSByteSize: 0 bytes/workgroup (compile time only)
; SGPRBlocks: 0
; VGPRBlocks: 0
; NumSGPRsForWavesPerEU: 4
; NumVGPRsForWavesPerEU: 1
; AccumOffset: 4
; Occupancy: 8
; WaveLimiterHint : 0
; COMPUTE_PGM_RSRC2:SCRATCH_EN: 0
; COMPUTE_PGM_RSRC2:USER_SGPR: 6
; COMPUTE_PGM_RSRC2:TRAP_HANDLER: 0
; COMPUTE_PGM_RSRC2:TGID_X_EN: 1
; COMPUTE_PGM_RSRC2:TGID_Y_EN: 0
; COMPUTE_PGM_RSRC2:TGID_Z_EN: 0
; COMPUTE_PGM_RSRC2:TIDIG_COMP_CNT: 0
; COMPUTE_PGM_RSRC3_GFX90A:ACCUM_OFFSET: 0
; COMPUTE_PGM_RSRC3_GFX90A:TG_SPLIT: 0
	.section	.text._ZN7rocprim17ROCPRIM_400000_NS6detail17trampoline_kernelINS0_14default_configENS1_20scan_config_selectorIiEEZZNS1_9scan_implILNS1_25lookback_scan_determinismE0ELb1ELb1ES3_N6thrust23THRUST_200600_302600_NS10device_ptrIiEESB_iNS9_4plusIvEEiEEDaPvRmT3_T4_T5_mT6_P12ihipStream_tbENKUlT_T0_E_clISt17integral_constantIbLb0EESR_EEDaSM_SN_EUlSM_E0_NS1_11comp_targetILNS1_3genE10ELNS1_11target_archE1200ELNS1_3gpuE4ELNS1_3repE0EEENS1_30default_config_static_selectorELNS0_4arch9wavefront6targetE1EEEvT1_,"axG",@progbits,_ZN7rocprim17ROCPRIM_400000_NS6detail17trampoline_kernelINS0_14default_configENS1_20scan_config_selectorIiEEZZNS1_9scan_implILNS1_25lookback_scan_determinismE0ELb1ELb1ES3_N6thrust23THRUST_200600_302600_NS10device_ptrIiEESB_iNS9_4plusIvEEiEEDaPvRmT3_T4_T5_mT6_P12ihipStream_tbENKUlT_T0_E_clISt17integral_constantIbLb0EESR_EEDaSM_SN_EUlSM_E0_NS1_11comp_targetILNS1_3genE10ELNS1_11target_archE1200ELNS1_3gpuE4ELNS1_3repE0EEENS1_30default_config_static_selectorELNS0_4arch9wavefront6targetE1EEEvT1_,comdat
	.protected	_ZN7rocprim17ROCPRIM_400000_NS6detail17trampoline_kernelINS0_14default_configENS1_20scan_config_selectorIiEEZZNS1_9scan_implILNS1_25lookback_scan_determinismE0ELb1ELb1ES3_N6thrust23THRUST_200600_302600_NS10device_ptrIiEESB_iNS9_4plusIvEEiEEDaPvRmT3_T4_T5_mT6_P12ihipStream_tbENKUlT_T0_E_clISt17integral_constantIbLb0EESR_EEDaSM_SN_EUlSM_E0_NS1_11comp_targetILNS1_3genE10ELNS1_11target_archE1200ELNS1_3gpuE4ELNS1_3repE0EEENS1_30default_config_static_selectorELNS0_4arch9wavefront6targetE1EEEvT1_ ; -- Begin function _ZN7rocprim17ROCPRIM_400000_NS6detail17trampoline_kernelINS0_14default_configENS1_20scan_config_selectorIiEEZZNS1_9scan_implILNS1_25lookback_scan_determinismE0ELb1ELb1ES3_N6thrust23THRUST_200600_302600_NS10device_ptrIiEESB_iNS9_4plusIvEEiEEDaPvRmT3_T4_T5_mT6_P12ihipStream_tbENKUlT_T0_E_clISt17integral_constantIbLb0EESR_EEDaSM_SN_EUlSM_E0_NS1_11comp_targetILNS1_3genE10ELNS1_11target_archE1200ELNS1_3gpuE4ELNS1_3repE0EEENS1_30default_config_static_selectorELNS0_4arch9wavefront6targetE1EEEvT1_
	.globl	_ZN7rocprim17ROCPRIM_400000_NS6detail17trampoline_kernelINS0_14default_configENS1_20scan_config_selectorIiEEZZNS1_9scan_implILNS1_25lookback_scan_determinismE0ELb1ELb1ES3_N6thrust23THRUST_200600_302600_NS10device_ptrIiEESB_iNS9_4plusIvEEiEEDaPvRmT3_T4_T5_mT6_P12ihipStream_tbENKUlT_T0_E_clISt17integral_constantIbLb0EESR_EEDaSM_SN_EUlSM_E0_NS1_11comp_targetILNS1_3genE10ELNS1_11target_archE1200ELNS1_3gpuE4ELNS1_3repE0EEENS1_30default_config_static_selectorELNS0_4arch9wavefront6targetE1EEEvT1_
	.p2align	8
	.type	_ZN7rocprim17ROCPRIM_400000_NS6detail17trampoline_kernelINS0_14default_configENS1_20scan_config_selectorIiEEZZNS1_9scan_implILNS1_25lookback_scan_determinismE0ELb1ELb1ES3_N6thrust23THRUST_200600_302600_NS10device_ptrIiEESB_iNS9_4plusIvEEiEEDaPvRmT3_T4_T5_mT6_P12ihipStream_tbENKUlT_T0_E_clISt17integral_constantIbLb0EESR_EEDaSM_SN_EUlSM_E0_NS1_11comp_targetILNS1_3genE10ELNS1_11target_archE1200ELNS1_3gpuE4ELNS1_3repE0EEENS1_30default_config_static_selectorELNS0_4arch9wavefront6targetE1EEEvT1_,@function
_ZN7rocprim17ROCPRIM_400000_NS6detail17trampoline_kernelINS0_14default_configENS1_20scan_config_selectorIiEEZZNS1_9scan_implILNS1_25lookback_scan_determinismE0ELb1ELb1ES3_N6thrust23THRUST_200600_302600_NS10device_ptrIiEESB_iNS9_4plusIvEEiEEDaPvRmT3_T4_T5_mT6_P12ihipStream_tbENKUlT_T0_E_clISt17integral_constantIbLb0EESR_EEDaSM_SN_EUlSM_E0_NS1_11comp_targetILNS1_3genE10ELNS1_11target_archE1200ELNS1_3gpuE4ELNS1_3repE0EEENS1_30default_config_static_selectorELNS0_4arch9wavefront6targetE1EEEvT1_: ; @_ZN7rocprim17ROCPRIM_400000_NS6detail17trampoline_kernelINS0_14default_configENS1_20scan_config_selectorIiEEZZNS1_9scan_implILNS1_25lookback_scan_determinismE0ELb1ELb1ES3_N6thrust23THRUST_200600_302600_NS10device_ptrIiEESB_iNS9_4plusIvEEiEEDaPvRmT3_T4_T5_mT6_P12ihipStream_tbENKUlT_T0_E_clISt17integral_constantIbLb0EESR_EEDaSM_SN_EUlSM_E0_NS1_11comp_targetILNS1_3genE10ELNS1_11target_archE1200ELNS1_3gpuE4ELNS1_3repE0EEENS1_30default_config_static_selectorELNS0_4arch9wavefront6targetE1EEEvT1_
; %bb.0:
	.section	.rodata,"a",@progbits
	.p2align	6, 0x0
	.amdhsa_kernel _ZN7rocprim17ROCPRIM_400000_NS6detail17trampoline_kernelINS0_14default_configENS1_20scan_config_selectorIiEEZZNS1_9scan_implILNS1_25lookback_scan_determinismE0ELb1ELb1ES3_N6thrust23THRUST_200600_302600_NS10device_ptrIiEESB_iNS9_4plusIvEEiEEDaPvRmT3_T4_T5_mT6_P12ihipStream_tbENKUlT_T0_E_clISt17integral_constantIbLb0EESR_EEDaSM_SN_EUlSM_E0_NS1_11comp_targetILNS1_3genE10ELNS1_11target_archE1200ELNS1_3gpuE4ELNS1_3repE0EEENS1_30default_config_static_selectorELNS0_4arch9wavefront6targetE1EEEvT1_
		.amdhsa_group_segment_fixed_size 0
		.amdhsa_private_segment_fixed_size 0
		.amdhsa_kernarg_size 32
		.amdhsa_user_sgpr_count 6
		.amdhsa_user_sgpr_private_segment_buffer 1
		.amdhsa_user_sgpr_dispatch_ptr 0
		.amdhsa_user_sgpr_queue_ptr 0
		.amdhsa_user_sgpr_kernarg_segment_ptr 1
		.amdhsa_user_sgpr_dispatch_id 0
		.amdhsa_user_sgpr_flat_scratch_init 0
		.amdhsa_user_sgpr_kernarg_preload_length 0
		.amdhsa_user_sgpr_kernarg_preload_offset 0
		.amdhsa_user_sgpr_private_segment_size 0
		.amdhsa_uses_dynamic_stack 0
		.amdhsa_system_sgpr_private_segment_wavefront_offset 0
		.amdhsa_system_sgpr_workgroup_id_x 1
		.amdhsa_system_sgpr_workgroup_id_y 0
		.amdhsa_system_sgpr_workgroup_id_z 0
		.amdhsa_system_sgpr_workgroup_info 0
		.amdhsa_system_vgpr_workitem_id 0
		.amdhsa_next_free_vgpr 1
		.amdhsa_next_free_sgpr 0
		.amdhsa_accum_offset 4
		.amdhsa_reserve_vcc 0
		.amdhsa_reserve_flat_scratch 0
		.amdhsa_float_round_mode_32 0
		.amdhsa_float_round_mode_16_64 0
		.amdhsa_float_denorm_mode_32 3
		.amdhsa_float_denorm_mode_16_64 3
		.amdhsa_dx10_clamp 1
		.amdhsa_ieee_mode 1
		.amdhsa_fp16_overflow 0
		.amdhsa_tg_split 0
		.amdhsa_exception_fp_ieee_invalid_op 0
		.amdhsa_exception_fp_denorm_src 0
		.amdhsa_exception_fp_ieee_div_zero 0
		.amdhsa_exception_fp_ieee_overflow 0
		.amdhsa_exception_fp_ieee_underflow 0
		.amdhsa_exception_fp_ieee_inexact 0
		.amdhsa_exception_int_div_zero 0
	.end_amdhsa_kernel
	.section	.text._ZN7rocprim17ROCPRIM_400000_NS6detail17trampoline_kernelINS0_14default_configENS1_20scan_config_selectorIiEEZZNS1_9scan_implILNS1_25lookback_scan_determinismE0ELb1ELb1ES3_N6thrust23THRUST_200600_302600_NS10device_ptrIiEESB_iNS9_4plusIvEEiEEDaPvRmT3_T4_T5_mT6_P12ihipStream_tbENKUlT_T0_E_clISt17integral_constantIbLb0EESR_EEDaSM_SN_EUlSM_E0_NS1_11comp_targetILNS1_3genE10ELNS1_11target_archE1200ELNS1_3gpuE4ELNS1_3repE0EEENS1_30default_config_static_selectorELNS0_4arch9wavefront6targetE1EEEvT1_,"axG",@progbits,_ZN7rocprim17ROCPRIM_400000_NS6detail17trampoline_kernelINS0_14default_configENS1_20scan_config_selectorIiEEZZNS1_9scan_implILNS1_25lookback_scan_determinismE0ELb1ELb1ES3_N6thrust23THRUST_200600_302600_NS10device_ptrIiEESB_iNS9_4plusIvEEiEEDaPvRmT3_T4_T5_mT6_P12ihipStream_tbENKUlT_T0_E_clISt17integral_constantIbLb0EESR_EEDaSM_SN_EUlSM_E0_NS1_11comp_targetILNS1_3genE10ELNS1_11target_archE1200ELNS1_3gpuE4ELNS1_3repE0EEENS1_30default_config_static_selectorELNS0_4arch9wavefront6targetE1EEEvT1_,comdat
.Lfunc_end6837:
	.size	_ZN7rocprim17ROCPRIM_400000_NS6detail17trampoline_kernelINS0_14default_configENS1_20scan_config_selectorIiEEZZNS1_9scan_implILNS1_25lookback_scan_determinismE0ELb1ELb1ES3_N6thrust23THRUST_200600_302600_NS10device_ptrIiEESB_iNS9_4plusIvEEiEEDaPvRmT3_T4_T5_mT6_P12ihipStream_tbENKUlT_T0_E_clISt17integral_constantIbLb0EESR_EEDaSM_SN_EUlSM_E0_NS1_11comp_targetILNS1_3genE10ELNS1_11target_archE1200ELNS1_3gpuE4ELNS1_3repE0EEENS1_30default_config_static_selectorELNS0_4arch9wavefront6targetE1EEEvT1_, .Lfunc_end6837-_ZN7rocprim17ROCPRIM_400000_NS6detail17trampoline_kernelINS0_14default_configENS1_20scan_config_selectorIiEEZZNS1_9scan_implILNS1_25lookback_scan_determinismE0ELb1ELb1ES3_N6thrust23THRUST_200600_302600_NS10device_ptrIiEESB_iNS9_4plusIvEEiEEDaPvRmT3_T4_T5_mT6_P12ihipStream_tbENKUlT_T0_E_clISt17integral_constantIbLb0EESR_EEDaSM_SN_EUlSM_E0_NS1_11comp_targetILNS1_3genE10ELNS1_11target_archE1200ELNS1_3gpuE4ELNS1_3repE0EEENS1_30default_config_static_selectorELNS0_4arch9wavefront6targetE1EEEvT1_
                                        ; -- End function
	.section	.AMDGPU.csdata,"",@progbits
; Kernel info:
; codeLenInByte = 0
; NumSgprs: 4
; NumVgprs: 0
; NumAgprs: 0
; TotalNumVgprs: 0
; ScratchSize: 0
; MemoryBound: 0
; FloatMode: 240
; IeeeMode: 1
; LDSByteSize: 0 bytes/workgroup (compile time only)
; SGPRBlocks: 0
; VGPRBlocks: 0
; NumSGPRsForWavesPerEU: 4
; NumVGPRsForWavesPerEU: 1
; AccumOffset: 4
; Occupancy: 8
; WaveLimiterHint : 0
; COMPUTE_PGM_RSRC2:SCRATCH_EN: 0
; COMPUTE_PGM_RSRC2:USER_SGPR: 6
; COMPUTE_PGM_RSRC2:TRAP_HANDLER: 0
; COMPUTE_PGM_RSRC2:TGID_X_EN: 1
; COMPUTE_PGM_RSRC2:TGID_Y_EN: 0
; COMPUTE_PGM_RSRC2:TGID_Z_EN: 0
; COMPUTE_PGM_RSRC2:TIDIG_COMP_CNT: 0
; COMPUTE_PGM_RSRC3_GFX90A:ACCUM_OFFSET: 0
; COMPUTE_PGM_RSRC3_GFX90A:TG_SPLIT: 0
	.section	.text._ZN7rocprim17ROCPRIM_400000_NS6detail17trampoline_kernelINS0_14default_configENS1_20scan_config_selectorIiEEZZNS1_9scan_implILNS1_25lookback_scan_determinismE0ELb1ELb1ES3_N6thrust23THRUST_200600_302600_NS10device_ptrIiEESB_iNS9_4plusIvEEiEEDaPvRmT3_T4_T5_mT6_P12ihipStream_tbENKUlT_T0_E_clISt17integral_constantIbLb0EESR_EEDaSM_SN_EUlSM_E0_NS1_11comp_targetILNS1_3genE9ELNS1_11target_archE1100ELNS1_3gpuE3ELNS1_3repE0EEENS1_30default_config_static_selectorELNS0_4arch9wavefront6targetE1EEEvT1_,"axG",@progbits,_ZN7rocprim17ROCPRIM_400000_NS6detail17trampoline_kernelINS0_14default_configENS1_20scan_config_selectorIiEEZZNS1_9scan_implILNS1_25lookback_scan_determinismE0ELb1ELb1ES3_N6thrust23THRUST_200600_302600_NS10device_ptrIiEESB_iNS9_4plusIvEEiEEDaPvRmT3_T4_T5_mT6_P12ihipStream_tbENKUlT_T0_E_clISt17integral_constantIbLb0EESR_EEDaSM_SN_EUlSM_E0_NS1_11comp_targetILNS1_3genE9ELNS1_11target_archE1100ELNS1_3gpuE3ELNS1_3repE0EEENS1_30default_config_static_selectorELNS0_4arch9wavefront6targetE1EEEvT1_,comdat
	.protected	_ZN7rocprim17ROCPRIM_400000_NS6detail17trampoline_kernelINS0_14default_configENS1_20scan_config_selectorIiEEZZNS1_9scan_implILNS1_25lookback_scan_determinismE0ELb1ELb1ES3_N6thrust23THRUST_200600_302600_NS10device_ptrIiEESB_iNS9_4plusIvEEiEEDaPvRmT3_T4_T5_mT6_P12ihipStream_tbENKUlT_T0_E_clISt17integral_constantIbLb0EESR_EEDaSM_SN_EUlSM_E0_NS1_11comp_targetILNS1_3genE9ELNS1_11target_archE1100ELNS1_3gpuE3ELNS1_3repE0EEENS1_30default_config_static_selectorELNS0_4arch9wavefront6targetE1EEEvT1_ ; -- Begin function _ZN7rocprim17ROCPRIM_400000_NS6detail17trampoline_kernelINS0_14default_configENS1_20scan_config_selectorIiEEZZNS1_9scan_implILNS1_25lookback_scan_determinismE0ELb1ELb1ES3_N6thrust23THRUST_200600_302600_NS10device_ptrIiEESB_iNS9_4plusIvEEiEEDaPvRmT3_T4_T5_mT6_P12ihipStream_tbENKUlT_T0_E_clISt17integral_constantIbLb0EESR_EEDaSM_SN_EUlSM_E0_NS1_11comp_targetILNS1_3genE9ELNS1_11target_archE1100ELNS1_3gpuE3ELNS1_3repE0EEENS1_30default_config_static_selectorELNS0_4arch9wavefront6targetE1EEEvT1_
	.globl	_ZN7rocprim17ROCPRIM_400000_NS6detail17trampoline_kernelINS0_14default_configENS1_20scan_config_selectorIiEEZZNS1_9scan_implILNS1_25lookback_scan_determinismE0ELb1ELb1ES3_N6thrust23THRUST_200600_302600_NS10device_ptrIiEESB_iNS9_4plusIvEEiEEDaPvRmT3_T4_T5_mT6_P12ihipStream_tbENKUlT_T0_E_clISt17integral_constantIbLb0EESR_EEDaSM_SN_EUlSM_E0_NS1_11comp_targetILNS1_3genE9ELNS1_11target_archE1100ELNS1_3gpuE3ELNS1_3repE0EEENS1_30default_config_static_selectorELNS0_4arch9wavefront6targetE1EEEvT1_
	.p2align	8
	.type	_ZN7rocprim17ROCPRIM_400000_NS6detail17trampoline_kernelINS0_14default_configENS1_20scan_config_selectorIiEEZZNS1_9scan_implILNS1_25lookback_scan_determinismE0ELb1ELb1ES3_N6thrust23THRUST_200600_302600_NS10device_ptrIiEESB_iNS9_4plusIvEEiEEDaPvRmT3_T4_T5_mT6_P12ihipStream_tbENKUlT_T0_E_clISt17integral_constantIbLb0EESR_EEDaSM_SN_EUlSM_E0_NS1_11comp_targetILNS1_3genE9ELNS1_11target_archE1100ELNS1_3gpuE3ELNS1_3repE0EEENS1_30default_config_static_selectorELNS0_4arch9wavefront6targetE1EEEvT1_,@function
_ZN7rocprim17ROCPRIM_400000_NS6detail17trampoline_kernelINS0_14default_configENS1_20scan_config_selectorIiEEZZNS1_9scan_implILNS1_25lookback_scan_determinismE0ELb1ELb1ES3_N6thrust23THRUST_200600_302600_NS10device_ptrIiEESB_iNS9_4plusIvEEiEEDaPvRmT3_T4_T5_mT6_P12ihipStream_tbENKUlT_T0_E_clISt17integral_constantIbLb0EESR_EEDaSM_SN_EUlSM_E0_NS1_11comp_targetILNS1_3genE9ELNS1_11target_archE1100ELNS1_3gpuE3ELNS1_3repE0EEENS1_30default_config_static_selectorELNS0_4arch9wavefront6targetE1EEEvT1_: ; @_ZN7rocprim17ROCPRIM_400000_NS6detail17trampoline_kernelINS0_14default_configENS1_20scan_config_selectorIiEEZZNS1_9scan_implILNS1_25lookback_scan_determinismE0ELb1ELb1ES3_N6thrust23THRUST_200600_302600_NS10device_ptrIiEESB_iNS9_4plusIvEEiEEDaPvRmT3_T4_T5_mT6_P12ihipStream_tbENKUlT_T0_E_clISt17integral_constantIbLb0EESR_EEDaSM_SN_EUlSM_E0_NS1_11comp_targetILNS1_3genE9ELNS1_11target_archE1100ELNS1_3gpuE3ELNS1_3repE0EEENS1_30default_config_static_selectorELNS0_4arch9wavefront6targetE1EEEvT1_
; %bb.0:
	.section	.rodata,"a",@progbits
	.p2align	6, 0x0
	.amdhsa_kernel _ZN7rocprim17ROCPRIM_400000_NS6detail17trampoline_kernelINS0_14default_configENS1_20scan_config_selectorIiEEZZNS1_9scan_implILNS1_25lookback_scan_determinismE0ELb1ELb1ES3_N6thrust23THRUST_200600_302600_NS10device_ptrIiEESB_iNS9_4plusIvEEiEEDaPvRmT3_T4_T5_mT6_P12ihipStream_tbENKUlT_T0_E_clISt17integral_constantIbLb0EESR_EEDaSM_SN_EUlSM_E0_NS1_11comp_targetILNS1_3genE9ELNS1_11target_archE1100ELNS1_3gpuE3ELNS1_3repE0EEENS1_30default_config_static_selectorELNS0_4arch9wavefront6targetE1EEEvT1_
		.amdhsa_group_segment_fixed_size 0
		.amdhsa_private_segment_fixed_size 0
		.amdhsa_kernarg_size 32
		.amdhsa_user_sgpr_count 6
		.amdhsa_user_sgpr_private_segment_buffer 1
		.amdhsa_user_sgpr_dispatch_ptr 0
		.amdhsa_user_sgpr_queue_ptr 0
		.amdhsa_user_sgpr_kernarg_segment_ptr 1
		.amdhsa_user_sgpr_dispatch_id 0
		.amdhsa_user_sgpr_flat_scratch_init 0
		.amdhsa_user_sgpr_kernarg_preload_length 0
		.amdhsa_user_sgpr_kernarg_preload_offset 0
		.amdhsa_user_sgpr_private_segment_size 0
		.amdhsa_uses_dynamic_stack 0
		.amdhsa_system_sgpr_private_segment_wavefront_offset 0
		.amdhsa_system_sgpr_workgroup_id_x 1
		.amdhsa_system_sgpr_workgroup_id_y 0
		.amdhsa_system_sgpr_workgroup_id_z 0
		.amdhsa_system_sgpr_workgroup_info 0
		.amdhsa_system_vgpr_workitem_id 0
		.amdhsa_next_free_vgpr 1
		.amdhsa_next_free_sgpr 0
		.amdhsa_accum_offset 4
		.amdhsa_reserve_vcc 0
		.amdhsa_reserve_flat_scratch 0
		.amdhsa_float_round_mode_32 0
		.amdhsa_float_round_mode_16_64 0
		.amdhsa_float_denorm_mode_32 3
		.amdhsa_float_denorm_mode_16_64 3
		.amdhsa_dx10_clamp 1
		.amdhsa_ieee_mode 1
		.amdhsa_fp16_overflow 0
		.amdhsa_tg_split 0
		.amdhsa_exception_fp_ieee_invalid_op 0
		.amdhsa_exception_fp_denorm_src 0
		.amdhsa_exception_fp_ieee_div_zero 0
		.amdhsa_exception_fp_ieee_overflow 0
		.amdhsa_exception_fp_ieee_underflow 0
		.amdhsa_exception_fp_ieee_inexact 0
		.amdhsa_exception_int_div_zero 0
	.end_amdhsa_kernel
	.section	.text._ZN7rocprim17ROCPRIM_400000_NS6detail17trampoline_kernelINS0_14default_configENS1_20scan_config_selectorIiEEZZNS1_9scan_implILNS1_25lookback_scan_determinismE0ELb1ELb1ES3_N6thrust23THRUST_200600_302600_NS10device_ptrIiEESB_iNS9_4plusIvEEiEEDaPvRmT3_T4_T5_mT6_P12ihipStream_tbENKUlT_T0_E_clISt17integral_constantIbLb0EESR_EEDaSM_SN_EUlSM_E0_NS1_11comp_targetILNS1_3genE9ELNS1_11target_archE1100ELNS1_3gpuE3ELNS1_3repE0EEENS1_30default_config_static_selectorELNS0_4arch9wavefront6targetE1EEEvT1_,"axG",@progbits,_ZN7rocprim17ROCPRIM_400000_NS6detail17trampoline_kernelINS0_14default_configENS1_20scan_config_selectorIiEEZZNS1_9scan_implILNS1_25lookback_scan_determinismE0ELb1ELb1ES3_N6thrust23THRUST_200600_302600_NS10device_ptrIiEESB_iNS9_4plusIvEEiEEDaPvRmT3_T4_T5_mT6_P12ihipStream_tbENKUlT_T0_E_clISt17integral_constantIbLb0EESR_EEDaSM_SN_EUlSM_E0_NS1_11comp_targetILNS1_3genE9ELNS1_11target_archE1100ELNS1_3gpuE3ELNS1_3repE0EEENS1_30default_config_static_selectorELNS0_4arch9wavefront6targetE1EEEvT1_,comdat
.Lfunc_end6838:
	.size	_ZN7rocprim17ROCPRIM_400000_NS6detail17trampoline_kernelINS0_14default_configENS1_20scan_config_selectorIiEEZZNS1_9scan_implILNS1_25lookback_scan_determinismE0ELb1ELb1ES3_N6thrust23THRUST_200600_302600_NS10device_ptrIiEESB_iNS9_4plusIvEEiEEDaPvRmT3_T4_T5_mT6_P12ihipStream_tbENKUlT_T0_E_clISt17integral_constantIbLb0EESR_EEDaSM_SN_EUlSM_E0_NS1_11comp_targetILNS1_3genE9ELNS1_11target_archE1100ELNS1_3gpuE3ELNS1_3repE0EEENS1_30default_config_static_selectorELNS0_4arch9wavefront6targetE1EEEvT1_, .Lfunc_end6838-_ZN7rocprim17ROCPRIM_400000_NS6detail17trampoline_kernelINS0_14default_configENS1_20scan_config_selectorIiEEZZNS1_9scan_implILNS1_25lookback_scan_determinismE0ELb1ELb1ES3_N6thrust23THRUST_200600_302600_NS10device_ptrIiEESB_iNS9_4plusIvEEiEEDaPvRmT3_T4_T5_mT6_P12ihipStream_tbENKUlT_T0_E_clISt17integral_constantIbLb0EESR_EEDaSM_SN_EUlSM_E0_NS1_11comp_targetILNS1_3genE9ELNS1_11target_archE1100ELNS1_3gpuE3ELNS1_3repE0EEENS1_30default_config_static_selectorELNS0_4arch9wavefront6targetE1EEEvT1_
                                        ; -- End function
	.section	.AMDGPU.csdata,"",@progbits
; Kernel info:
; codeLenInByte = 0
; NumSgprs: 4
; NumVgprs: 0
; NumAgprs: 0
; TotalNumVgprs: 0
; ScratchSize: 0
; MemoryBound: 0
; FloatMode: 240
; IeeeMode: 1
; LDSByteSize: 0 bytes/workgroup (compile time only)
; SGPRBlocks: 0
; VGPRBlocks: 0
; NumSGPRsForWavesPerEU: 4
; NumVGPRsForWavesPerEU: 1
; AccumOffset: 4
; Occupancy: 8
; WaveLimiterHint : 0
; COMPUTE_PGM_RSRC2:SCRATCH_EN: 0
; COMPUTE_PGM_RSRC2:USER_SGPR: 6
; COMPUTE_PGM_RSRC2:TRAP_HANDLER: 0
; COMPUTE_PGM_RSRC2:TGID_X_EN: 1
; COMPUTE_PGM_RSRC2:TGID_Y_EN: 0
; COMPUTE_PGM_RSRC2:TGID_Z_EN: 0
; COMPUTE_PGM_RSRC2:TIDIG_COMP_CNT: 0
; COMPUTE_PGM_RSRC3_GFX90A:ACCUM_OFFSET: 0
; COMPUTE_PGM_RSRC3_GFX90A:TG_SPLIT: 0
	.section	.text._ZN7rocprim17ROCPRIM_400000_NS6detail17trampoline_kernelINS0_14default_configENS1_20scan_config_selectorIiEEZZNS1_9scan_implILNS1_25lookback_scan_determinismE0ELb1ELb1ES3_N6thrust23THRUST_200600_302600_NS10device_ptrIiEESB_iNS9_4plusIvEEiEEDaPvRmT3_T4_T5_mT6_P12ihipStream_tbENKUlT_T0_E_clISt17integral_constantIbLb0EESR_EEDaSM_SN_EUlSM_E0_NS1_11comp_targetILNS1_3genE8ELNS1_11target_archE1030ELNS1_3gpuE2ELNS1_3repE0EEENS1_30default_config_static_selectorELNS0_4arch9wavefront6targetE1EEEvT1_,"axG",@progbits,_ZN7rocprim17ROCPRIM_400000_NS6detail17trampoline_kernelINS0_14default_configENS1_20scan_config_selectorIiEEZZNS1_9scan_implILNS1_25lookback_scan_determinismE0ELb1ELb1ES3_N6thrust23THRUST_200600_302600_NS10device_ptrIiEESB_iNS9_4plusIvEEiEEDaPvRmT3_T4_T5_mT6_P12ihipStream_tbENKUlT_T0_E_clISt17integral_constantIbLb0EESR_EEDaSM_SN_EUlSM_E0_NS1_11comp_targetILNS1_3genE8ELNS1_11target_archE1030ELNS1_3gpuE2ELNS1_3repE0EEENS1_30default_config_static_selectorELNS0_4arch9wavefront6targetE1EEEvT1_,comdat
	.protected	_ZN7rocprim17ROCPRIM_400000_NS6detail17trampoline_kernelINS0_14default_configENS1_20scan_config_selectorIiEEZZNS1_9scan_implILNS1_25lookback_scan_determinismE0ELb1ELb1ES3_N6thrust23THRUST_200600_302600_NS10device_ptrIiEESB_iNS9_4plusIvEEiEEDaPvRmT3_T4_T5_mT6_P12ihipStream_tbENKUlT_T0_E_clISt17integral_constantIbLb0EESR_EEDaSM_SN_EUlSM_E0_NS1_11comp_targetILNS1_3genE8ELNS1_11target_archE1030ELNS1_3gpuE2ELNS1_3repE0EEENS1_30default_config_static_selectorELNS0_4arch9wavefront6targetE1EEEvT1_ ; -- Begin function _ZN7rocprim17ROCPRIM_400000_NS6detail17trampoline_kernelINS0_14default_configENS1_20scan_config_selectorIiEEZZNS1_9scan_implILNS1_25lookback_scan_determinismE0ELb1ELb1ES3_N6thrust23THRUST_200600_302600_NS10device_ptrIiEESB_iNS9_4plusIvEEiEEDaPvRmT3_T4_T5_mT6_P12ihipStream_tbENKUlT_T0_E_clISt17integral_constantIbLb0EESR_EEDaSM_SN_EUlSM_E0_NS1_11comp_targetILNS1_3genE8ELNS1_11target_archE1030ELNS1_3gpuE2ELNS1_3repE0EEENS1_30default_config_static_selectorELNS0_4arch9wavefront6targetE1EEEvT1_
	.globl	_ZN7rocprim17ROCPRIM_400000_NS6detail17trampoline_kernelINS0_14default_configENS1_20scan_config_selectorIiEEZZNS1_9scan_implILNS1_25lookback_scan_determinismE0ELb1ELb1ES3_N6thrust23THRUST_200600_302600_NS10device_ptrIiEESB_iNS9_4plusIvEEiEEDaPvRmT3_T4_T5_mT6_P12ihipStream_tbENKUlT_T0_E_clISt17integral_constantIbLb0EESR_EEDaSM_SN_EUlSM_E0_NS1_11comp_targetILNS1_3genE8ELNS1_11target_archE1030ELNS1_3gpuE2ELNS1_3repE0EEENS1_30default_config_static_selectorELNS0_4arch9wavefront6targetE1EEEvT1_
	.p2align	8
	.type	_ZN7rocprim17ROCPRIM_400000_NS6detail17trampoline_kernelINS0_14default_configENS1_20scan_config_selectorIiEEZZNS1_9scan_implILNS1_25lookback_scan_determinismE0ELb1ELb1ES3_N6thrust23THRUST_200600_302600_NS10device_ptrIiEESB_iNS9_4plusIvEEiEEDaPvRmT3_T4_T5_mT6_P12ihipStream_tbENKUlT_T0_E_clISt17integral_constantIbLb0EESR_EEDaSM_SN_EUlSM_E0_NS1_11comp_targetILNS1_3genE8ELNS1_11target_archE1030ELNS1_3gpuE2ELNS1_3repE0EEENS1_30default_config_static_selectorELNS0_4arch9wavefront6targetE1EEEvT1_,@function
_ZN7rocprim17ROCPRIM_400000_NS6detail17trampoline_kernelINS0_14default_configENS1_20scan_config_selectorIiEEZZNS1_9scan_implILNS1_25lookback_scan_determinismE0ELb1ELb1ES3_N6thrust23THRUST_200600_302600_NS10device_ptrIiEESB_iNS9_4plusIvEEiEEDaPvRmT3_T4_T5_mT6_P12ihipStream_tbENKUlT_T0_E_clISt17integral_constantIbLb0EESR_EEDaSM_SN_EUlSM_E0_NS1_11comp_targetILNS1_3genE8ELNS1_11target_archE1030ELNS1_3gpuE2ELNS1_3repE0EEENS1_30default_config_static_selectorELNS0_4arch9wavefront6targetE1EEEvT1_: ; @_ZN7rocprim17ROCPRIM_400000_NS6detail17trampoline_kernelINS0_14default_configENS1_20scan_config_selectorIiEEZZNS1_9scan_implILNS1_25lookback_scan_determinismE0ELb1ELb1ES3_N6thrust23THRUST_200600_302600_NS10device_ptrIiEESB_iNS9_4plusIvEEiEEDaPvRmT3_T4_T5_mT6_P12ihipStream_tbENKUlT_T0_E_clISt17integral_constantIbLb0EESR_EEDaSM_SN_EUlSM_E0_NS1_11comp_targetILNS1_3genE8ELNS1_11target_archE1030ELNS1_3gpuE2ELNS1_3repE0EEENS1_30default_config_static_selectorELNS0_4arch9wavefront6targetE1EEEvT1_
; %bb.0:
	.section	.rodata,"a",@progbits
	.p2align	6, 0x0
	.amdhsa_kernel _ZN7rocprim17ROCPRIM_400000_NS6detail17trampoline_kernelINS0_14default_configENS1_20scan_config_selectorIiEEZZNS1_9scan_implILNS1_25lookback_scan_determinismE0ELb1ELb1ES3_N6thrust23THRUST_200600_302600_NS10device_ptrIiEESB_iNS9_4plusIvEEiEEDaPvRmT3_T4_T5_mT6_P12ihipStream_tbENKUlT_T0_E_clISt17integral_constantIbLb0EESR_EEDaSM_SN_EUlSM_E0_NS1_11comp_targetILNS1_3genE8ELNS1_11target_archE1030ELNS1_3gpuE2ELNS1_3repE0EEENS1_30default_config_static_selectorELNS0_4arch9wavefront6targetE1EEEvT1_
		.amdhsa_group_segment_fixed_size 0
		.amdhsa_private_segment_fixed_size 0
		.amdhsa_kernarg_size 32
		.amdhsa_user_sgpr_count 6
		.amdhsa_user_sgpr_private_segment_buffer 1
		.amdhsa_user_sgpr_dispatch_ptr 0
		.amdhsa_user_sgpr_queue_ptr 0
		.amdhsa_user_sgpr_kernarg_segment_ptr 1
		.amdhsa_user_sgpr_dispatch_id 0
		.amdhsa_user_sgpr_flat_scratch_init 0
		.amdhsa_user_sgpr_kernarg_preload_length 0
		.amdhsa_user_sgpr_kernarg_preload_offset 0
		.amdhsa_user_sgpr_private_segment_size 0
		.amdhsa_uses_dynamic_stack 0
		.amdhsa_system_sgpr_private_segment_wavefront_offset 0
		.amdhsa_system_sgpr_workgroup_id_x 1
		.amdhsa_system_sgpr_workgroup_id_y 0
		.amdhsa_system_sgpr_workgroup_id_z 0
		.amdhsa_system_sgpr_workgroup_info 0
		.amdhsa_system_vgpr_workitem_id 0
		.amdhsa_next_free_vgpr 1
		.amdhsa_next_free_sgpr 0
		.amdhsa_accum_offset 4
		.amdhsa_reserve_vcc 0
		.amdhsa_reserve_flat_scratch 0
		.amdhsa_float_round_mode_32 0
		.amdhsa_float_round_mode_16_64 0
		.amdhsa_float_denorm_mode_32 3
		.amdhsa_float_denorm_mode_16_64 3
		.amdhsa_dx10_clamp 1
		.amdhsa_ieee_mode 1
		.amdhsa_fp16_overflow 0
		.amdhsa_tg_split 0
		.amdhsa_exception_fp_ieee_invalid_op 0
		.amdhsa_exception_fp_denorm_src 0
		.amdhsa_exception_fp_ieee_div_zero 0
		.amdhsa_exception_fp_ieee_overflow 0
		.amdhsa_exception_fp_ieee_underflow 0
		.amdhsa_exception_fp_ieee_inexact 0
		.amdhsa_exception_int_div_zero 0
	.end_amdhsa_kernel
	.section	.text._ZN7rocprim17ROCPRIM_400000_NS6detail17trampoline_kernelINS0_14default_configENS1_20scan_config_selectorIiEEZZNS1_9scan_implILNS1_25lookback_scan_determinismE0ELb1ELb1ES3_N6thrust23THRUST_200600_302600_NS10device_ptrIiEESB_iNS9_4plusIvEEiEEDaPvRmT3_T4_T5_mT6_P12ihipStream_tbENKUlT_T0_E_clISt17integral_constantIbLb0EESR_EEDaSM_SN_EUlSM_E0_NS1_11comp_targetILNS1_3genE8ELNS1_11target_archE1030ELNS1_3gpuE2ELNS1_3repE0EEENS1_30default_config_static_selectorELNS0_4arch9wavefront6targetE1EEEvT1_,"axG",@progbits,_ZN7rocprim17ROCPRIM_400000_NS6detail17trampoline_kernelINS0_14default_configENS1_20scan_config_selectorIiEEZZNS1_9scan_implILNS1_25lookback_scan_determinismE0ELb1ELb1ES3_N6thrust23THRUST_200600_302600_NS10device_ptrIiEESB_iNS9_4plusIvEEiEEDaPvRmT3_T4_T5_mT6_P12ihipStream_tbENKUlT_T0_E_clISt17integral_constantIbLb0EESR_EEDaSM_SN_EUlSM_E0_NS1_11comp_targetILNS1_3genE8ELNS1_11target_archE1030ELNS1_3gpuE2ELNS1_3repE0EEENS1_30default_config_static_selectorELNS0_4arch9wavefront6targetE1EEEvT1_,comdat
.Lfunc_end6839:
	.size	_ZN7rocprim17ROCPRIM_400000_NS6detail17trampoline_kernelINS0_14default_configENS1_20scan_config_selectorIiEEZZNS1_9scan_implILNS1_25lookback_scan_determinismE0ELb1ELb1ES3_N6thrust23THRUST_200600_302600_NS10device_ptrIiEESB_iNS9_4plusIvEEiEEDaPvRmT3_T4_T5_mT6_P12ihipStream_tbENKUlT_T0_E_clISt17integral_constantIbLb0EESR_EEDaSM_SN_EUlSM_E0_NS1_11comp_targetILNS1_3genE8ELNS1_11target_archE1030ELNS1_3gpuE2ELNS1_3repE0EEENS1_30default_config_static_selectorELNS0_4arch9wavefront6targetE1EEEvT1_, .Lfunc_end6839-_ZN7rocprim17ROCPRIM_400000_NS6detail17trampoline_kernelINS0_14default_configENS1_20scan_config_selectorIiEEZZNS1_9scan_implILNS1_25lookback_scan_determinismE0ELb1ELb1ES3_N6thrust23THRUST_200600_302600_NS10device_ptrIiEESB_iNS9_4plusIvEEiEEDaPvRmT3_T4_T5_mT6_P12ihipStream_tbENKUlT_T0_E_clISt17integral_constantIbLb0EESR_EEDaSM_SN_EUlSM_E0_NS1_11comp_targetILNS1_3genE8ELNS1_11target_archE1030ELNS1_3gpuE2ELNS1_3repE0EEENS1_30default_config_static_selectorELNS0_4arch9wavefront6targetE1EEEvT1_
                                        ; -- End function
	.section	.AMDGPU.csdata,"",@progbits
; Kernel info:
; codeLenInByte = 0
; NumSgprs: 4
; NumVgprs: 0
; NumAgprs: 0
; TotalNumVgprs: 0
; ScratchSize: 0
; MemoryBound: 0
; FloatMode: 240
; IeeeMode: 1
; LDSByteSize: 0 bytes/workgroup (compile time only)
; SGPRBlocks: 0
; VGPRBlocks: 0
; NumSGPRsForWavesPerEU: 4
; NumVGPRsForWavesPerEU: 1
; AccumOffset: 4
; Occupancy: 8
; WaveLimiterHint : 0
; COMPUTE_PGM_RSRC2:SCRATCH_EN: 0
; COMPUTE_PGM_RSRC2:USER_SGPR: 6
; COMPUTE_PGM_RSRC2:TRAP_HANDLER: 0
; COMPUTE_PGM_RSRC2:TGID_X_EN: 1
; COMPUTE_PGM_RSRC2:TGID_Y_EN: 0
; COMPUTE_PGM_RSRC2:TGID_Z_EN: 0
; COMPUTE_PGM_RSRC2:TIDIG_COMP_CNT: 0
; COMPUTE_PGM_RSRC3_GFX90A:ACCUM_OFFSET: 0
; COMPUTE_PGM_RSRC3_GFX90A:TG_SPLIT: 0
	.section	.text._ZN7rocprim17ROCPRIM_400000_NS6detail17trampoline_kernelINS0_14default_configENS1_20scan_config_selectorIiEEZZNS1_9scan_implILNS1_25lookback_scan_determinismE0ELb1ELb1ES3_N6thrust23THRUST_200600_302600_NS10device_ptrIiEESB_iNS9_4plusIvEEiEEDaPvRmT3_T4_T5_mT6_P12ihipStream_tbENKUlT_T0_E_clISt17integral_constantIbLb1EESR_EEDaSM_SN_EUlSM_E_NS1_11comp_targetILNS1_3genE0ELNS1_11target_archE4294967295ELNS1_3gpuE0ELNS1_3repE0EEENS1_30default_config_static_selectorELNS0_4arch9wavefront6targetE1EEEvT1_,"axG",@progbits,_ZN7rocprim17ROCPRIM_400000_NS6detail17trampoline_kernelINS0_14default_configENS1_20scan_config_selectorIiEEZZNS1_9scan_implILNS1_25lookback_scan_determinismE0ELb1ELb1ES3_N6thrust23THRUST_200600_302600_NS10device_ptrIiEESB_iNS9_4plusIvEEiEEDaPvRmT3_T4_T5_mT6_P12ihipStream_tbENKUlT_T0_E_clISt17integral_constantIbLb1EESR_EEDaSM_SN_EUlSM_E_NS1_11comp_targetILNS1_3genE0ELNS1_11target_archE4294967295ELNS1_3gpuE0ELNS1_3repE0EEENS1_30default_config_static_selectorELNS0_4arch9wavefront6targetE1EEEvT1_,comdat
	.protected	_ZN7rocprim17ROCPRIM_400000_NS6detail17trampoline_kernelINS0_14default_configENS1_20scan_config_selectorIiEEZZNS1_9scan_implILNS1_25lookback_scan_determinismE0ELb1ELb1ES3_N6thrust23THRUST_200600_302600_NS10device_ptrIiEESB_iNS9_4plusIvEEiEEDaPvRmT3_T4_T5_mT6_P12ihipStream_tbENKUlT_T0_E_clISt17integral_constantIbLb1EESR_EEDaSM_SN_EUlSM_E_NS1_11comp_targetILNS1_3genE0ELNS1_11target_archE4294967295ELNS1_3gpuE0ELNS1_3repE0EEENS1_30default_config_static_selectorELNS0_4arch9wavefront6targetE1EEEvT1_ ; -- Begin function _ZN7rocprim17ROCPRIM_400000_NS6detail17trampoline_kernelINS0_14default_configENS1_20scan_config_selectorIiEEZZNS1_9scan_implILNS1_25lookback_scan_determinismE0ELb1ELb1ES3_N6thrust23THRUST_200600_302600_NS10device_ptrIiEESB_iNS9_4plusIvEEiEEDaPvRmT3_T4_T5_mT6_P12ihipStream_tbENKUlT_T0_E_clISt17integral_constantIbLb1EESR_EEDaSM_SN_EUlSM_E_NS1_11comp_targetILNS1_3genE0ELNS1_11target_archE4294967295ELNS1_3gpuE0ELNS1_3repE0EEENS1_30default_config_static_selectorELNS0_4arch9wavefront6targetE1EEEvT1_
	.globl	_ZN7rocprim17ROCPRIM_400000_NS6detail17trampoline_kernelINS0_14default_configENS1_20scan_config_selectorIiEEZZNS1_9scan_implILNS1_25lookback_scan_determinismE0ELb1ELb1ES3_N6thrust23THRUST_200600_302600_NS10device_ptrIiEESB_iNS9_4plusIvEEiEEDaPvRmT3_T4_T5_mT6_P12ihipStream_tbENKUlT_T0_E_clISt17integral_constantIbLb1EESR_EEDaSM_SN_EUlSM_E_NS1_11comp_targetILNS1_3genE0ELNS1_11target_archE4294967295ELNS1_3gpuE0ELNS1_3repE0EEENS1_30default_config_static_selectorELNS0_4arch9wavefront6targetE1EEEvT1_
	.p2align	8
	.type	_ZN7rocprim17ROCPRIM_400000_NS6detail17trampoline_kernelINS0_14default_configENS1_20scan_config_selectorIiEEZZNS1_9scan_implILNS1_25lookback_scan_determinismE0ELb1ELb1ES3_N6thrust23THRUST_200600_302600_NS10device_ptrIiEESB_iNS9_4plusIvEEiEEDaPvRmT3_T4_T5_mT6_P12ihipStream_tbENKUlT_T0_E_clISt17integral_constantIbLb1EESR_EEDaSM_SN_EUlSM_E_NS1_11comp_targetILNS1_3genE0ELNS1_11target_archE4294967295ELNS1_3gpuE0ELNS1_3repE0EEENS1_30default_config_static_selectorELNS0_4arch9wavefront6targetE1EEEvT1_,@function
_ZN7rocprim17ROCPRIM_400000_NS6detail17trampoline_kernelINS0_14default_configENS1_20scan_config_selectorIiEEZZNS1_9scan_implILNS1_25lookback_scan_determinismE0ELb1ELb1ES3_N6thrust23THRUST_200600_302600_NS10device_ptrIiEESB_iNS9_4plusIvEEiEEDaPvRmT3_T4_T5_mT6_P12ihipStream_tbENKUlT_T0_E_clISt17integral_constantIbLb1EESR_EEDaSM_SN_EUlSM_E_NS1_11comp_targetILNS1_3genE0ELNS1_11target_archE4294967295ELNS1_3gpuE0ELNS1_3repE0EEENS1_30default_config_static_selectorELNS0_4arch9wavefront6targetE1EEEvT1_: ; @_ZN7rocprim17ROCPRIM_400000_NS6detail17trampoline_kernelINS0_14default_configENS1_20scan_config_selectorIiEEZZNS1_9scan_implILNS1_25lookback_scan_determinismE0ELb1ELb1ES3_N6thrust23THRUST_200600_302600_NS10device_ptrIiEESB_iNS9_4plusIvEEiEEDaPvRmT3_T4_T5_mT6_P12ihipStream_tbENKUlT_T0_E_clISt17integral_constantIbLb1EESR_EEDaSM_SN_EUlSM_E_NS1_11comp_targetILNS1_3genE0ELNS1_11target_archE4294967295ELNS1_3gpuE0ELNS1_3repE0EEENS1_30default_config_static_selectorELNS0_4arch9wavefront6targetE1EEEvT1_
; %bb.0:
	.section	.rodata,"a",@progbits
	.p2align	6, 0x0
	.amdhsa_kernel _ZN7rocprim17ROCPRIM_400000_NS6detail17trampoline_kernelINS0_14default_configENS1_20scan_config_selectorIiEEZZNS1_9scan_implILNS1_25lookback_scan_determinismE0ELb1ELb1ES3_N6thrust23THRUST_200600_302600_NS10device_ptrIiEESB_iNS9_4plusIvEEiEEDaPvRmT3_T4_T5_mT6_P12ihipStream_tbENKUlT_T0_E_clISt17integral_constantIbLb1EESR_EEDaSM_SN_EUlSM_E_NS1_11comp_targetILNS1_3genE0ELNS1_11target_archE4294967295ELNS1_3gpuE0ELNS1_3repE0EEENS1_30default_config_static_selectorELNS0_4arch9wavefront6targetE1EEEvT1_
		.amdhsa_group_segment_fixed_size 0
		.amdhsa_private_segment_fixed_size 0
		.amdhsa_kernarg_size 96
		.amdhsa_user_sgpr_count 6
		.amdhsa_user_sgpr_private_segment_buffer 1
		.amdhsa_user_sgpr_dispatch_ptr 0
		.amdhsa_user_sgpr_queue_ptr 0
		.amdhsa_user_sgpr_kernarg_segment_ptr 1
		.amdhsa_user_sgpr_dispatch_id 0
		.amdhsa_user_sgpr_flat_scratch_init 0
		.amdhsa_user_sgpr_kernarg_preload_length 0
		.amdhsa_user_sgpr_kernarg_preload_offset 0
		.amdhsa_user_sgpr_private_segment_size 0
		.amdhsa_uses_dynamic_stack 0
		.amdhsa_system_sgpr_private_segment_wavefront_offset 0
		.amdhsa_system_sgpr_workgroup_id_x 1
		.amdhsa_system_sgpr_workgroup_id_y 0
		.amdhsa_system_sgpr_workgroup_id_z 0
		.amdhsa_system_sgpr_workgroup_info 0
		.amdhsa_system_vgpr_workitem_id 0
		.amdhsa_next_free_vgpr 1
		.amdhsa_next_free_sgpr 0
		.amdhsa_accum_offset 4
		.amdhsa_reserve_vcc 0
		.amdhsa_reserve_flat_scratch 0
		.amdhsa_float_round_mode_32 0
		.amdhsa_float_round_mode_16_64 0
		.amdhsa_float_denorm_mode_32 3
		.amdhsa_float_denorm_mode_16_64 3
		.amdhsa_dx10_clamp 1
		.amdhsa_ieee_mode 1
		.amdhsa_fp16_overflow 0
		.amdhsa_tg_split 0
		.amdhsa_exception_fp_ieee_invalid_op 0
		.amdhsa_exception_fp_denorm_src 0
		.amdhsa_exception_fp_ieee_div_zero 0
		.amdhsa_exception_fp_ieee_overflow 0
		.amdhsa_exception_fp_ieee_underflow 0
		.amdhsa_exception_fp_ieee_inexact 0
		.amdhsa_exception_int_div_zero 0
	.end_amdhsa_kernel
	.section	.text._ZN7rocprim17ROCPRIM_400000_NS6detail17trampoline_kernelINS0_14default_configENS1_20scan_config_selectorIiEEZZNS1_9scan_implILNS1_25lookback_scan_determinismE0ELb1ELb1ES3_N6thrust23THRUST_200600_302600_NS10device_ptrIiEESB_iNS9_4plusIvEEiEEDaPvRmT3_T4_T5_mT6_P12ihipStream_tbENKUlT_T0_E_clISt17integral_constantIbLb1EESR_EEDaSM_SN_EUlSM_E_NS1_11comp_targetILNS1_3genE0ELNS1_11target_archE4294967295ELNS1_3gpuE0ELNS1_3repE0EEENS1_30default_config_static_selectorELNS0_4arch9wavefront6targetE1EEEvT1_,"axG",@progbits,_ZN7rocprim17ROCPRIM_400000_NS6detail17trampoline_kernelINS0_14default_configENS1_20scan_config_selectorIiEEZZNS1_9scan_implILNS1_25lookback_scan_determinismE0ELb1ELb1ES3_N6thrust23THRUST_200600_302600_NS10device_ptrIiEESB_iNS9_4plusIvEEiEEDaPvRmT3_T4_T5_mT6_P12ihipStream_tbENKUlT_T0_E_clISt17integral_constantIbLb1EESR_EEDaSM_SN_EUlSM_E_NS1_11comp_targetILNS1_3genE0ELNS1_11target_archE4294967295ELNS1_3gpuE0ELNS1_3repE0EEENS1_30default_config_static_selectorELNS0_4arch9wavefront6targetE1EEEvT1_,comdat
.Lfunc_end6840:
	.size	_ZN7rocprim17ROCPRIM_400000_NS6detail17trampoline_kernelINS0_14default_configENS1_20scan_config_selectorIiEEZZNS1_9scan_implILNS1_25lookback_scan_determinismE0ELb1ELb1ES3_N6thrust23THRUST_200600_302600_NS10device_ptrIiEESB_iNS9_4plusIvEEiEEDaPvRmT3_T4_T5_mT6_P12ihipStream_tbENKUlT_T0_E_clISt17integral_constantIbLb1EESR_EEDaSM_SN_EUlSM_E_NS1_11comp_targetILNS1_3genE0ELNS1_11target_archE4294967295ELNS1_3gpuE0ELNS1_3repE0EEENS1_30default_config_static_selectorELNS0_4arch9wavefront6targetE1EEEvT1_, .Lfunc_end6840-_ZN7rocprim17ROCPRIM_400000_NS6detail17trampoline_kernelINS0_14default_configENS1_20scan_config_selectorIiEEZZNS1_9scan_implILNS1_25lookback_scan_determinismE0ELb1ELb1ES3_N6thrust23THRUST_200600_302600_NS10device_ptrIiEESB_iNS9_4plusIvEEiEEDaPvRmT3_T4_T5_mT6_P12ihipStream_tbENKUlT_T0_E_clISt17integral_constantIbLb1EESR_EEDaSM_SN_EUlSM_E_NS1_11comp_targetILNS1_3genE0ELNS1_11target_archE4294967295ELNS1_3gpuE0ELNS1_3repE0EEENS1_30default_config_static_selectorELNS0_4arch9wavefront6targetE1EEEvT1_
                                        ; -- End function
	.section	.AMDGPU.csdata,"",@progbits
; Kernel info:
; codeLenInByte = 0
; NumSgprs: 4
; NumVgprs: 0
; NumAgprs: 0
; TotalNumVgprs: 0
; ScratchSize: 0
; MemoryBound: 0
; FloatMode: 240
; IeeeMode: 1
; LDSByteSize: 0 bytes/workgroup (compile time only)
; SGPRBlocks: 0
; VGPRBlocks: 0
; NumSGPRsForWavesPerEU: 4
; NumVGPRsForWavesPerEU: 1
; AccumOffset: 4
; Occupancy: 8
; WaveLimiterHint : 0
; COMPUTE_PGM_RSRC2:SCRATCH_EN: 0
; COMPUTE_PGM_RSRC2:USER_SGPR: 6
; COMPUTE_PGM_RSRC2:TRAP_HANDLER: 0
; COMPUTE_PGM_RSRC2:TGID_X_EN: 1
; COMPUTE_PGM_RSRC2:TGID_Y_EN: 0
; COMPUTE_PGM_RSRC2:TGID_Z_EN: 0
; COMPUTE_PGM_RSRC2:TIDIG_COMP_CNT: 0
; COMPUTE_PGM_RSRC3_GFX90A:ACCUM_OFFSET: 0
; COMPUTE_PGM_RSRC3_GFX90A:TG_SPLIT: 0
	.section	.text._ZN7rocprim17ROCPRIM_400000_NS6detail17trampoline_kernelINS0_14default_configENS1_20scan_config_selectorIiEEZZNS1_9scan_implILNS1_25lookback_scan_determinismE0ELb1ELb1ES3_N6thrust23THRUST_200600_302600_NS10device_ptrIiEESB_iNS9_4plusIvEEiEEDaPvRmT3_T4_T5_mT6_P12ihipStream_tbENKUlT_T0_E_clISt17integral_constantIbLb1EESR_EEDaSM_SN_EUlSM_E_NS1_11comp_targetILNS1_3genE5ELNS1_11target_archE942ELNS1_3gpuE9ELNS1_3repE0EEENS1_30default_config_static_selectorELNS0_4arch9wavefront6targetE1EEEvT1_,"axG",@progbits,_ZN7rocprim17ROCPRIM_400000_NS6detail17trampoline_kernelINS0_14default_configENS1_20scan_config_selectorIiEEZZNS1_9scan_implILNS1_25lookback_scan_determinismE0ELb1ELb1ES3_N6thrust23THRUST_200600_302600_NS10device_ptrIiEESB_iNS9_4plusIvEEiEEDaPvRmT3_T4_T5_mT6_P12ihipStream_tbENKUlT_T0_E_clISt17integral_constantIbLb1EESR_EEDaSM_SN_EUlSM_E_NS1_11comp_targetILNS1_3genE5ELNS1_11target_archE942ELNS1_3gpuE9ELNS1_3repE0EEENS1_30default_config_static_selectorELNS0_4arch9wavefront6targetE1EEEvT1_,comdat
	.protected	_ZN7rocprim17ROCPRIM_400000_NS6detail17trampoline_kernelINS0_14default_configENS1_20scan_config_selectorIiEEZZNS1_9scan_implILNS1_25lookback_scan_determinismE0ELb1ELb1ES3_N6thrust23THRUST_200600_302600_NS10device_ptrIiEESB_iNS9_4plusIvEEiEEDaPvRmT3_T4_T5_mT6_P12ihipStream_tbENKUlT_T0_E_clISt17integral_constantIbLb1EESR_EEDaSM_SN_EUlSM_E_NS1_11comp_targetILNS1_3genE5ELNS1_11target_archE942ELNS1_3gpuE9ELNS1_3repE0EEENS1_30default_config_static_selectorELNS0_4arch9wavefront6targetE1EEEvT1_ ; -- Begin function _ZN7rocprim17ROCPRIM_400000_NS6detail17trampoline_kernelINS0_14default_configENS1_20scan_config_selectorIiEEZZNS1_9scan_implILNS1_25lookback_scan_determinismE0ELb1ELb1ES3_N6thrust23THRUST_200600_302600_NS10device_ptrIiEESB_iNS9_4plusIvEEiEEDaPvRmT3_T4_T5_mT6_P12ihipStream_tbENKUlT_T0_E_clISt17integral_constantIbLb1EESR_EEDaSM_SN_EUlSM_E_NS1_11comp_targetILNS1_3genE5ELNS1_11target_archE942ELNS1_3gpuE9ELNS1_3repE0EEENS1_30default_config_static_selectorELNS0_4arch9wavefront6targetE1EEEvT1_
	.globl	_ZN7rocprim17ROCPRIM_400000_NS6detail17trampoline_kernelINS0_14default_configENS1_20scan_config_selectorIiEEZZNS1_9scan_implILNS1_25lookback_scan_determinismE0ELb1ELb1ES3_N6thrust23THRUST_200600_302600_NS10device_ptrIiEESB_iNS9_4plusIvEEiEEDaPvRmT3_T4_T5_mT6_P12ihipStream_tbENKUlT_T0_E_clISt17integral_constantIbLb1EESR_EEDaSM_SN_EUlSM_E_NS1_11comp_targetILNS1_3genE5ELNS1_11target_archE942ELNS1_3gpuE9ELNS1_3repE0EEENS1_30default_config_static_selectorELNS0_4arch9wavefront6targetE1EEEvT1_
	.p2align	8
	.type	_ZN7rocprim17ROCPRIM_400000_NS6detail17trampoline_kernelINS0_14default_configENS1_20scan_config_selectorIiEEZZNS1_9scan_implILNS1_25lookback_scan_determinismE0ELb1ELb1ES3_N6thrust23THRUST_200600_302600_NS10device_ptrIiEESB_iNS9_4plusIvEEiEEDaPvRmT3_T4_T5_mT6_P12ihipStream_tbENKUlT_T0_E_clISt17integral_constantIbLb1EESR_EEDaSM_SN_EUlSM_E_NS1_11comp_targetILNS1_3genE5ELNS1_11target_archE942ELNS1_3gpuE9ELNS1_3repE0EEENS1_30default_config_static_selectorELNS0_4arch9wavefront6targetE1EEEvT1_,@function
_ZN7rocprim17ROCPRIM_400000_NS6detail17trampoline_kernelINS0_14default_configENS1_20scan_config_selectorIiEEZZNS1_9scan_implILNS1_25lookback_scan_determinismE0ELb1ELb1ES3_N6thrust23THRUST_200600_302600_NS10device_ptrIiEESB_iNS9_4plusIvEEiEEDaPvRmT3_T4_T5_mT6_P12ihipStream_tbENKUlT_T0_E_clISt17integral_constantIbLb1EESR_EEDaSM_SN_EUlSM_E_NS1_11comp_targetILNS1_3genE5ELNS1_11target_archE942ELNS1_3gpuE9ELNS1_3repE0EEENS1_30default_config_static_selectorELNS0_4arch9wavefront6targetE1EEEvT1_: ; @_ZN7rocprim17ROCPRIM_400000_NS6detail17trampoline_kernelINS0_14default_configENS1_20scan_config_selectorIiEEZZNS1_9scan_implILNS1_25lookback_scan_determinismE0ELb1ELb1ES3_N6thrust23THRUST_200600_302600_NS10device_ptrIiEESB_iNS9_4plusIvEEiEEDaPvRmT3_T4_T5_mT6_P12ihipStream_tbENKUlT_T0_E_clISt17integral_constantIbLb1EESR_EEDaSM_SN_EUlSM_E_NS1_11comp_targetILNS1_3genE5ELNS1_11target_archE942ELNS1_3gpuE9ELNS1_3repE0EEENS1_30default_config_static_selectorELNS0_4arch9wavefront6targetE1EEEvT1_
; %bb.0:
	.section	.rodata,"a",@progbits
	.p2align	6, 0x0
	.amdhsa_kernel _ZN7rocprim17ROCPRIM_400000_NS6detail17trampoline_kernelINS0_14default_configENS1_20scan_config_selectorIiEEZZNS1_9scan_implILNS1_25lookback_scan_determinismE0ELb1ELb1ES3_N6thrust23THRUST_200600_302600_NS10device_ptrIiEESB_iNS9_4plusIvEEiEEDaPvRmT3_T4_T5_mT6_P12ihipStream_tbENKUlT_T0_E_clISt17integral_constantIbLb1EESR_EEDaSM_SN_EUlSM_E_NS1_11comp_targetILNS1_3genE5ELNS1_11target_archE942ELNS1_3gpuE9ELNS1_3repE0EEENS1_30default_config_static_selectorELNS0_4arch9wavefront6targetE1EEEvT1_
		.amdhsa_group_segment_fixed_size 0
		.amdhsa_private_segment_fixed_size 0
		.amdhsa_kernarg_size 96
		.amdhsa_user_sgpr_count 6
		.amdhsa_user_sgpr_private_segment_buffer 1
		.amdhsa_user_sgpr_dispatch_ptr 0
		.amdhsa_user_sgpr_queue_ptr 0
		.amdhsa_user_sgpr_kernarg_segment_ptr 1
		.amdhsa_user_sgpr_dispatch_id 0
		.amdhsa_user_sgpr_flat_scratch_init 0
		.amdhsa_user_sgpr_kernarg_preload_length 0
		.amdhsa_user_sgpr_kernarg_preload_offset 0
		.amdhsa_user_sgpr_private_segment_size 0
		.amdhsa_uses_dynamic_stack 0
		.amdhsa_system_sgpr_private_segment_wavefront_offset 0
		.amdhsa_system_sgpr_workgroup_id_x 1
		.amdhsa_system_sgpr_workgroup_id_y 0
		.amdhsa_system_sgpr_workgroup_id_z 0
		.amdhsa_system_sgpr_workgroup_info 0
		.amdhsa_system_vgpr_workitem_id 0
		.amdhsa_next_free_vgpr 1
		.amdhsa_next_free_sgpr 0
		.amdhsa_accum_offset 4
		.amdhsa_reserve_vcc 0
		.amdhsa_reserve_flat_scratch 0
		.amdhsa_float_round_mode_32 0
		.amdhsa_float_round_mode_16_64 0
		.amdhsa_float_denorm_mode_32 3
		.amdhsa_float_denorm_mode_16_64 3
		.amdhsa_dx10_clamp 1
		.amdhsa_ieee_mode 1
		.amdhsa_fp16_overflow 0
		.amdhsa_tg_split 0
		.amdhsa_exception_fp_ieee_invalid_op 0
		.amdhsa_exception_fp_denorm_src 0
		.amdhsa_exception_fp_ieee_div_zero 0
		.amdhsa_exception_fp_ieee_overflow 0
		.amdhsa_exception_fp_ieee_underflow 0
		.amdhsa_exception_fp_ieee_inexact 0
		.amdhsa_exception_int_div_zero 0
	.end_amdhsa_kernel
	.section	.text._ZN7rocprim17ROCPRIM_400000_NS6detail17trampoline_kernelINS0_14default_configENS1_20scan_config_selectorIiEEZZNS1_9scan_implILNS1_25lookback_scan_determinismE0ELb1ELb1ES3_N6thrust23THRUST_200600_302600_NS10device_ptrIiEESB_iNS9_4plusIvEEiEEDaPvRmT3_T4_T5_mT6_P12ihipStream_tbENKUlT_T0_E_clISt17integral_constantIbLb1EESR_EEDaSM_SN_EUlSM_E_NS1_11comp_targetILNS1_3genE5ELNS1_11target_archE942ELNS1_3gpuE9ELNS1_3repE0EEENS1_30default_config_static_selectorELNS0_4arch9wavefront6targetE1EEEvT1_,"axG",@progbits,_ZN7rocprim17ROCPRIM_400000_NS6detail17trampoline_kernelINS0_14default_configENS1_20scan_config_selectorIiEEZZNS1_9scan_implILNS1_25lookback_scan_determinismE0ELb1ELb1ES3_N6thrust23THRUST_200600_302600_NS10device_ptrIiEESB_iNS9_4plusIvEEiEEDaPvRmT3_T4_T5_mT6_P12ihipStream_tbENKUlT_T0_E_clISt17integral_constantIbLb1EESR_EEDaSM_SN_EUlSM_E_NS1_11comp_targetILNS1_3genE5ELNS1_11target_archE942ELNS1_3gpuE9ELNS1_3repE0EEENS1_30default_config_static_selectorELNS0_4arch9wavefront6targetE1EEEvT1_,comdat
.Lfunc_end6841:
	.size	_ZN7rocprim17ROCPRIM_400000_NS6detail17trampoline_kernelINS0_14default_configENS1_20scan_config_selectorIiEEZZNS1_9scan_implILNS1_25lookback_scan_determinismE0ELb1ELb1ES3_N6thrust23THRUST_200600_302600_NS10device_ptrIiEESB_iNS9_4plusIvEEiEEDaPvRmT3_T4_T5_mT6_P12ihipStream_tbENKUlT_T0_E_clISt17integral_constantIbLb1EESR_EEDaSM_SN_EUlSM_E_NS1_11comp_targetILNS1_3genE5ELNS1_11target_archE942ELNS1_3gpuE9ELNS1_3repE0EEENS1_30default_config_static_selectorELNS0_4arch9wavefront6targetE1EEEvT1_, .Lfunc_end6841-_ZN7rocprim17ROCPRIM_400000_NS6detail17trampoline_kernelINS0_14default_configENS1_20scan_config_selectorIiEEZZNS1_9scan_implILNS1_25lookback_scan_determinismE0ELb1ELb1ES3_N6thrust23THRUST_200600_302600_NS10device_ptrIiEESB_iNS9_4plusIvEEiEEDaPvRmT3_T4_T5_mT6_P12ihipStream_tbENKUlT_T0_E_clISt17integral_constantIbLb1EESR_EEDaSM_SN_EUlSM_E_NS1_11comp_targetILNS1_3genE5ELNS1_11target_archE942ELNS1_3gpuE9ELNS1_3repE0EEENS1_30default_config_static_selectorELNS0_4arch9wavefront6targetE1EEEvT1_
                                        ; -- End function
	.section	.AMDGPU.csdata,"",@progbits
; Kernel info:
; codeLenInByte = 0
; NumSgprs: 4
; NumVgprs: 0
; NumAgprs: 0
; TotalNumVgprs: 0
; ScratchSize: 0
; MemoryBound: 0
; FloatMode: 240
; IeeeMode: 1
; LDSByteSize: 0 bytes/workgroup (compile time only)
; SGPRBlocks: 0
; VGPRBlocks: 0
; NumSGPRsForWavesPerEU: 4
; NumVGPRsForWavesPerEU: 1
; AccumOffset: 4
; Occupancy: 8
; WaveLimiterHint : 0
; COMPUTE_PGM_RSRC2:SCRATCH_EN: 0
; COMPUTE_PGM_RSRC2:USER_SGPR: 6
; COMPUTE_PGM_RSRC2:TRAP_HANDLER: 0
; COMPUTE_PGM_RSRC2:TGID_X_EN: 1
; COMPUTE_PGM_RSRC2:TGID_Y_EN: 0
; COMPUTE_PGM_RSRC2:TGID_Z_EN: 0
; COMPUTE_PGM_RSRC2:TIDIG_COMP_CNT: 0
; COMPUTE_PGM_RSRC3_GFX90A:ACCUM_OFFSET: 0
; COMPUTE_PGM_RSRC3_GFX90A:TG_SPLIT: 0
	.section	.text._ZN7rocprim17ROCPRIM_400000_NS6detail17trampoline_kernelINS0_14default_configENS1_20scan_config_selectorIiEEZZNS1_9scan_implILNS1_25lookback_scan_determinismE0ELb1ELb1ES3_N6thrust23THRUST_200600_302600_NS10device_ptrIiEESB_iNS9_4plusIvEEiEEDaPvRmT3_T4_T5_mT6_P12ihipStream_tbENKUlT_T0_E_clISt17integral_constantIbLb1EESR_EEDaSM_SN_EUlSM_E_NS1_11comp_targetILNS1_3genE4ELNS1_11target_archE910ELNS1_3gpuE8ELNS1_3repE0EEENS1_30default_config_static_selectorELNS0_4arch9wavefront6targetE1EEEvT1_,"axG",@progbits,_ZN7rocprim17ROCPRIM_400000_NS6detail17trampoline_kernelINS0_14default_configENS1_20scan_config_selectorIiEEZZNS1_9scan_implILNS1_25lookback_scan_determinismE0ELb1ELb1ES3_N6thrust23THRUST_200600_302600_NS10device_ptrIiEESB_iNS9_4plusIvEEiEEDaPvRmT3_T4_T5_mT6_P12ihipStream_tbENKUlT_T0_E_clISt17integral_constantIbLb1EESR_EEDaSM_SN_EUlSM_E_NS1_11comp_targetILNS1_3genE4ELNS1_11target_archE910ELNS1_3gpuE8ELNS1_3repE0EEENS1_30default_config_static_selectorELNS0_4arch9wavefront6targetE1EEEvT1_,comdat
	.protected	_ZN7rocprim17ROCPRIM_400000_NS6detail17trampoline_kernelINS0_14default_configENS1_20scan_config_selectorIiEEZZNS1_9scan_implILNS1_25lookback_scan_determinismE0ELb1ELb1ES3_N6thrust23THRUST_200600_302600_NS10device_ptrIiEESB_iNS9_4plusIvEEiEEDaPvRmT3_T4_T5_mT6_P12ihipStream_tbENKUlT_T0_E_clISt17integral_constantIbLb1EESR_EEDaSM_SN_EUlSM_E_NS1_11comp_targetILNS1_3genE4ELNS1_11target_archE910ELNS1_3gpuE8ELNS1_3repE0EEENS1_30default_config_static_selectorELNS0_4arch9wavefront6targetE1EEEvT1_ ; -- Begin function _ZN7rocprim17ROCPRIM_400000_NS6detail17trampoline_kernelINS0_14default_configENS1_20scan_config_selectorIiEEZZNS1_9scan_implILNS1_25lookback_scan_determinismE0ELb1ELb1ES3_N6thrust23THRUST_200600_302600_NS10device_ptrIiEESB_iNS9_4plusIvEEiEEDaPvRmT3_T4_T5_mT6_P12ihipStream_tbENKUlT_T0_E_clISt17integral_constantIbLb1EESR_EEDaSM_SN_EUlSM_E_NS1_11comp_targetILNS1_3genE4ELNS1_11target_archE910ELNS1_3gpuE8ELNS1_3repE0EEENS1_30default_config_static_selectorELNS0_4arch9wavefront6targetE1EEEvT1_
	.globl	_ZN7rocprim17ROCPRIM_400000_NS6detail17trampoline_kernelINS0_14default_configENS1_20scan_config_selectorIiEEZZNS1_9scan_implILNS1_25lookback_scan_determinismE0ELb1ELb1ES3_N6thrust23THRUST_200600_302600_NS10device_ptrIiEESB_iNS9_4plusIvEEiEEDaPvRmT3_T4_T5_mT6_P12ihipStream_tbENKUlT_T0_E_clISt17integral_constantIbLb1EESR_EEDaSM_SN_EUlSM_E_NS1_11comp_targetILNS1_3genE4ELNS1_11target_archE910ELNS1_3gpuE8ELNS1_3repE0EEENS1_30default_config_static_selectorELNS0_4arch9wavefront6targetE1EEEvT1_
	.p2align	8
	.type	_ZN7rocprim17ROCPRIM_400000_NS6detail17trampoline_kernelINS0_14default_configENS1_20scan_config_selectorIiEEZZNS1_9scan_implILNS1_25lookback_scan_determinismE0ELb1ELb1ES3_N6thrust23THRUST_200600_302600_NS10device_ptrIiEESB_iNS9_4plusIvEEiEEDaPvRmT3_T4_T5_mT6_P12ihipStream_tbENKUlT_T0_E_clISt17integral_constantIbLb1EESR_EEDaSM_SN_EUlSM_E_NS1_11comp_targetILNS1_3genE4ELNS1_11target_archE910ELNS1_3gpuE8ELNS1_3repE0EEENS1_30default_config_static_selectorELNS0_4arch9wavefront6targetE1EEEvT1_,@function
_ZN7rocprim17ROCPRIM_400000_NS6detail17trampoline_kernelINS0_14default_configENS1_20scan_config_selectorIiEEZZNS1_9scan_implILNS1_25lookback_scan_determinismE0ELb1ELb1ES3_N6thrust23THRUST_200600_302600_NS10device_ptrIiEESB_iNS9_4plusIvEEiEEDaPvRmT3_T4_T5_mT6_P12ihipStream_tbENKUlT_T0_E_clISt17integral_constantIbLb1EESR_EEDaSM_SN_EUlSM_E_NS1_11comp_targetILNS1_3genE4ELNS1_11target_archE910ELNS1_3gpuE8ELNS1_3repE0EEENS1_30default_config_static_selectorELNS0_4arch9wavefront6targetE1EEEvT1_: ; @_ZN7rocprim17ROCPRIM_400000_NS6detail17trampoline_kernelINS0_14default_configENS1_20scan_config_selectorIiEEZZNS1_9scan_implILNS1_25lookback_scan_determinismE0ELb1ELb1ES3_N6thrust23THRUST_200600_302600_NS10device_ptrIiEESB_iNS9_4plusIvEEiEEDaPvRmT3_T4_T5_mT6_P12ihipStream_tbENKUlT_T0_E_clISt17integral_constantIbLb1EESR_EEDaSM_SN_EUlSM_E_NS1_11comp_targetILNS1_3genE4ELNS1_11target_archE910ELNS1_3gpuE8ELNS1_3repE0EEENS1_30default_config_static_selectorELNS0_4arch9wavefront6targetE1EEEvT1_
; %bb.0:
	s_load_dword s33, s[4:5], 0x20
	s_load_dwordx2 s[6:7], s[4:5], 0x28
	v_cmp_ne_u32_e64 s[2:3], 0, v0
	v_cmp_eq_u32_e64 s[0:1], 0, v0
	s_and_saveexec_b64 s[8:9], s[0:1]
	s_cbranch_execz .LBB6842_4
; %bb.1:
	s_mov_b64 s[12:13], exec
	v_mbcnt_lo_u32_b32 v1, s12, 0
	v_mbcnt_hi_u32_b32 v1, s13, v1
	v_cmp_eq_u32_e32 vcc, 0, v1
                                        ; implicit-def: $vgpr2
	s_and_saveexec_b64 s[10:11], vcc
	s_cbranch_execz .LBB6842_3
; %bb.2:
	s_load_dwordx2 s[14:15], s[4:5], 0x58
	s_bcnt1_i32_b64 s12, s[12:13]
	v_mov_b32_e32 v2, 0
	v_mov_b32_e32 v3, s12
	s_waitcnt lgkmcnt(0)
	global_atomic_add v2, v2, v3, s[14:15] glc
.LBB6842_3:
	s_or_b64 exec, exec, s[10:11]
	s_waitcnt vmcnt(0)
	v_readfirstlane_b32 s10, v2
	v_add_u32_e32 v1, s10, v1
	v_mov_b32_e32 v2, 0
	ds_write_b32 v2, v1
.LBB6842_4:
	s_or_b64 exec, exec, s[8:9]
	s_load_dwordx8 s[16:23], s[4:5], 0x0
	s_load_dword s24, s[4:5], 0x30
	s_load_dwordx8 s[8:15], s[4:5], 0x38
	v_mov_b32_e32 v1, 0
	s_waitcnt lgkmcnt(0)
	s_barrier
	ds_read_b32 v1, v1
	s_lshl_b64 s[18:19], s[18:19], 2
	s_add_u32 s34, s16, s18
	s_addc_u32 s35, s17, s19
	s_add_i32 s16, s24, -1
	s_mul_i32 s17, s16, 0x500
	s_sub_u32 s30, s22, s17
	s_waitcnt lgkmcnt(0)
	v_readfirstlane_b32 s36, v1
	s_subb_u32 s31, s23, 0
	s_mul_i32 s4, s36, 0x500
	s_mov_b32 s5, 0
	s_cmp_lg_u32 s36, s16
	s_cselect_b64 s[16:17], -1, 0
	s_lshl_b64 s[22:23], s[4:5], 2
	s_add_u32 s24, s34, s22
	s_addc_u32 s25, s35, s23
	s_mov_b64 s[4:5], -1
	s_and_b64 vcc, exec, s[16:17]
	v_lshlrev_b32_e32 v22, 2, v0
	s_barrier
	s_cbranch_vccz .LBB6842_6
; %bb.5:
	v_mov_b32_e32 v1, s25
	v_add_co_u32_e32 v2, vcc, s24, v22
	v_addc_co_u32_e32 v3, vcc, 0, v1, vcc
	flat_load_dword v1, v[2:3]
	flat_load_dword v4, v[2:3] offset:512
	flat_load_dword v5, v[2:3] offset:1024
	;; [unrolled: 1-line block ×7, first 2 shown]
	v_add_co_u32_e32 v2, vcc, 0x1000, v2
	v_addc_co_u32_e32 v3, vcc, 0, v3, vcc
	flat_load_dword v11, v[2:3]
	flat_load_dword v12, v[2:3] offset:512
	s_mov_b64 s[4:5], 0
	s_waitcnt vmcnt(0) lgkmcnt(0)
	ds_write2st64_b32 v22, v1, v4 offset1:2
	ds_write2st64_b32 v22, v5, v6 offset0:4 offset1:6
	ds_write2st64_b32 v22, v7, v8 offset0:8 offset1:10
	;; [unrolled: 1-line block ×4, first 2 shown]
	s_waitcnt lgkmcnt(0)
	s_barrier
.LBB6842_6:
	s_andn2_b64 vcc, exec, s[4:5]
	v_cmp_gt_u32_e64 s[4:5], s30, v0
	s_cbranch_vccnz .LBB6842_28
; %bb.7:
	v_pk_mov_b32 v[2:3], s[24:25], s[24:25] op_sel:[0,1]
	flat_load_dword v1, v[2:3]
	s_waitcnt vmcnt(0) lgkmcnt(0)
	v_mov_b32_e32 v2, v1
	v_mov_b32_e32 v3, v1
	;; [unrolled: 1-line block ×9, first 2 shown]
	s_and_saveexec_b64 s[26:27], s[4:5]
	s_cbranch_execz .LBB6842_9
; %bb.8:
	v_mov_b32_e32 v11, s25
	v_add_co_u32_e32 v10, vcc, s24, v22
	v_addc_co_u32_e32 v11, vcc, 0, v11, vcc
	flat_load_dword v10, v[10:11]
.LBB6842_9:
	s_or_b64 exec, exec, s[26:27]
	v_or_b32_e32 v11, 0x80, v0
	v_cmp_gt_u32_e32 vcc, s30, v11
	s_and_saveexec_b64 s[4:5], vcc
	s_cbranch_execz .LBB6842_11
; %bb.10:
	v_mov_b32_e32 v1, s25
	v_add_co_u32_e32 v12, vcc, s24, v22
	v_addc_co_u32_e32 v13, vcc, 0, v1, vcc
	flat_load_dword v1, v[12:13] offset:512
.LBB6842_11:
	s_or_b64 exec, exec, s[4:5]
	v_or_b32_e32 v11, 0x100, v0
	v_cmp_gt_u32_e32 vcc, s30, v11
	s_and_saveexec_b64 s[4:5], vcc
	s_cbranch_execz .LBB6842_13
; %bb.12:
	v_mov_b32_e32 v2, s25
	v_add_co_u32_e32 v12, vcc, s24, v22
	v_addc_co_u32_e32 v13, vcc, 0, v2, vcc
	flat_load_dword v2, v[12:13] offset:1024
.LBB6842_13:
	;; [unrolled: 11-line block ×7, first 2 shown]
	s_or_b64 exec, exec, s[4:5]
	v_or_b32_e32 v11, 0x400, v0
	v_cmp_gt_u32_e32 vcc, s30, v11
	s_and_saveexec_b64 s[4:5], vcc
	s_cbranch_execz .LBB6842_25
; %bb.24:
	v_lshlrev_b32_e32 v8, 2, v11
	v_mov_b32_e32 v11, s25
	v_add_co_u32_e32 v12, vcc, s24, v8
	v_addc_co_u32_e32 v13, vcc, 0, v11, vcc
	flat_load_dword v8, v[12:13]
.LBB6842_25:
	s_or_b64 exec, exec, s[4:5]
	v_or_b32_e32 v11, 0x480, v0
	v_cmp_gt_u32_e32 vcc, s30, v11
	s_and_saveexec_b64 s[4:5], vcc
	s_cbranch_execz .LBB6842_27
; %bb.26:
	v_lshlrev_b32_e32 v9, 2, v11
	v_mov_b32_e32 v11, s25
	v_add_co_u32_e32 v12, vcc, s24, v9
	v_addc_co_u32_e32 v13, vcc, 0, v11, vcc
	flat_load_dword v9, v[12:13]
.LBB6842_27:
	s_or_b64 exec, exec, s[4:5]
	s_waitcnt vmcnt(0) lgkmcnt(0)
	ds_write2st64_b32 v22, v10, v1 offset1:2
	ds_write2st64_b32 v22, v2, v3 offset0:4 offset1:6
	ds_write2st64_b32 v22, v4, v5 offset0:8 offset1:10
	ds_write2st64_b32 v22, v6, v7 offset0:12 offset1:14
	ds_write2st64_b32 v22, v8, v9 offset0:16 offset1:18
	s_waitcnt lgkmcnt(0)
	s_barrier
.LBB6842_28:
	v_mul_u32_u24_e32 v23, 10, v0
	v_lshlrev_b32_e32 v1, 2, v23
	ds_read2_b64 v[16:19], v1 offset1:1
	ds_read2_b64 v[12:15], v1 offset0:2 offset1:3
	ds_read_b64 v[20:21], v1 offset:32
	s_cmp_lg_u32 s36, 0
	v_lshrrev_b32_e32 v24, 5, v0
	s_waitcnt lgkmcnt(2)
	v_add_u32_e32 v2, v17, v16
	v_add3_u32 v25, v2, v18, v19
	v_cmp_gt_u32_e32 vcc, 64, v0
	s_waitcnt lgkmcnt(0)
	s_barrier
	s_cbranch_scc0 .LBB6842_57
; %bb.29:
	v_add3_u32 v2, v25, v12, v13
	v_add3_u32 v2, v2, v14, v15
	;; [unrolled: 1-line block ×3, first 2 shown]
	v_add_lshl_u32 v3, v24, v0, 2
	ds_write_b32 v3, v2
	s_waitcnt lgkmcnt(0)
	s_barrier
	s_and_saveexec_b64 s[24:25], vcc
	s_cbranch_execz .LBB6842_31
; %bb.30:
	v_lshlrev_b32_e32 v3, 1, v0
	v_lshrrev_b32_e32 v4, 4, v0
	v_add_lshl_u32 v3, v4, v3, 2
	ds_read2_b32 v[4:5], v3 offset1:1
	v_mbcnt_lo_u32_b32 v6, -1, 0
	v_mbcnt_hi_u32_b32 v6, -1, v6
	v_and_b32_e32 v7, 15, v6
	v_cmp_ne_u32_e64 s[4:5], 0, v7
	s_waitcnt lgkmcnt(0)
	v_add_u32_e32 v5, v5, v4
	; wave barrier
	s_nop 1
	v_mov_b32_dpp v8, v5 row_shr:1 row_mask:0xf bank_mask:0xf
	v_cndmask_b32_e64 v8, 0, v8, s[4:5]
	v_add_u32_e32 v5, v8, v5
	v_cmp_lt_u32_e64 s[4:5], 1, v7
	s_nop 0
	v_mov_b32_dpp v8, v5 row_shr:2 row_mask:0xf bank_mask:0xf
	v_cndmask_b32_e64 v8, 0, v8, s[4:5]
	v_add_u32_e32 v5, v5, v8
	v_cmp_lt_u32_e64 s[4:5], 3, v7
	;; [unrolled: 5-line block ×3, first 2 shown]
	s_nop 0
	v_mov_b32_dpp v8, v5 row_shr:8 row_mask:0xf bank_mask:0xf
	v_cndmask_b32_e64 v7, 0, v8, s[4:5]
	v_add_u32_e32 v5, v5, v7
	v_bfe_i32 v8, v6, 4, 1
	v_cmp_lt_u32_e64 s[4:5], 31, v6
	v_mov_b32_dpp v7, v5 row_bcast:15 row_mask:0xf bank_mask:0xf
	v_and_b32_e32 v7, v8, v7
	v_add_u32_e32 v5, v5, v7
	v_and_b32_e32 v8, 64, v6
	s_nop 0
	v_mov_b32_dpp v7, v5 row_bcast:31 row_mask:0xf bank_mask:0xf
	v_cndmask_b32_e64 v7, 0, v7, s[4:5]
	v_add_u32_e32 v5, v5, v7
	v_add_u32_e32 v7, -1, v6
	v_cmp_lt_i32_e64 s[4:5], v7, v8
	v_cndmask_b32_e64 v6, v7, v6, s[4:5]
	v_lshlrev_b32_e32 v6, 2, v6
	ds_bpermute_b32 v5, v6, v5
	s_waitcnt lgkmcnt(0)
	v_add_u32_e32 v4, v5, v4
	v_cndmask_b32_e64 v2, v4, v2, s[0:1]
	ds_write_b32 v3, v2
	; wave barrier
	ds_read_b32 v4, v3 offset:4
	s_waitcnt lgkmcnt(0)
	v_add_u32_e32 v2, v4, v2
	ds_write_b32 v3, v2 offset:4
.LBB6842_31:
	s_or_b64 exec, exec, s[24:25]
	v_mov_b32_e32 v26, 0
	s_waitcnt lgkmcnt(0)
	s_barrier
	s_and_saveexec_b64 s[4:5], s[2:3]
	s_cbranch_execz .LBB6842_33
; %bb.32:
	v_add_u32_e32 v2, -1, v0
	v_lshrrev_b32_e32 v3, 5, v2
	v_add_lshl_u32 v2, v3, v2, 2
	ds_read_b32 v26, v2
.LBB6842_33:
	s_or_b64 exec, exec, s[4:5]
	s_and_saveexec_b64 s[24:25], vcc
	s_cbranch_execz .LBB6842_56
; %bb.34:
	v_mov_b32_e32 v11, 0
	ds_read_b32 v2, v11 offset:520
	v_mbcnt_lo_u32_b32 v3, -1, 0
	v_mbcnt_hi_u32_b32 v5, -1, v3
	s_mov_b32 s29, 0
	v_cmp_eq_u32_e64 s[4:5], 0, v5
	s_and_saveexec_b64 s[26:27], s[4:5]
	s_cbranch_execz .LBB6842_36
; %bb.35:
	s_add_i32 s28, s36, 64
	s_lshl_b64 s[28:29], s[28:29], 3
	s_add_u32 s28, s6, s28
	v_mov_b32_e32 v3, 1
	s_addc_u32 s29, s7, s29
	s_waitcnt lgkmcnt(0)
	global_store_dwordx2 v11, v[2:3], s[28:29]
.LBB6842_36:
	s_or_b64 exec, exec, s[26:27]
	v_xad_u32 v4, v5, -1, s36
	v_add_u32_e32 v10, 64, v4
	v_lshlrev_b64 v[6:7], 3, v[10:11]
	v_mov_b32_e32 v3, s7
	v_add_co_u32_e32 v6, vcc, s6, v6
	v_addc_co_u32_e32 v7, vcc, v3, v7, vcc
	global_load_dwordx2 v[8:9], v[6:7], off glc
	s_waitcnt vmcnt(0)
	v_cmp_eq_u16_sdwa s[28:29], v9, v11 src0_sel:BYTE_0 src1_sel:DWORD
	s_and_saveexec_b64 s[26:27], s[28:29]
	s_cbranch_execz .LBB6842_42
; %bb.37:
	s_mov_b32 s37, 1
	s_mov_b64 s[28:29], 0
	v_mov_b32_e32 v3, 0
.LBB6842_38:                            ; =>This Loop Header: Depth=1
                                        ;     Child Loop BB6842_39 Depth 2
	s_max_u32 s38, s37, 1
.LBB6842_39:                            ;   Parent Loop BB6842_38 Depth=1
                                        ; =>  This Inner Loop Header: Depth=2
	s_add_i32 s38, s38, -1
	s_cmp_eq_u32 s38, 0
	s_sleep 1
	s_cbranch_scc0 .LBB6842_39
; %bb.40:                               ;   in Loop: Header=BB6842_38 Depth=1
	global_load_dwordx2 v[8:9], v[6:7], off glc
	s_cmp_lt_u32 s37, 32
	s_cselect_b64 s[38:39], -1, 0
	s_cmp_lg_u64 s[38:39], 0
	s_addc_u32 s37, s37, 0
	s_waitcnt vmcnt(0)
	v_cmp_ne_u16_sdwa s[38:39], v9, v3 src0_sel:BYTE_0 src1_sel:DWORD
	s_or_b64 s[28:29], s[38:39], s[28:29]
	s_andn2_b64 exec, exec, s[28:29]
	s_cbranch_execnz .LBB6842_38
; %bb.41:
	s_or_b64 exec, exec, s[28:29]
.LBB6842_42:
	s_or_b64 exec, exec, s[26:27]
	v_and_b32_e32 v27, 63, v5
	v_mov_b32_e32 v3, 2
	v_cmp_ne_u32_e32 vcc, 63, v27
	v_cmp_eq_u16_sdwa s[26:27], v9, v3 src0_sel:BYTE_0 src1_sel:DWORD
	v_lshlrev_b64 v[6:7], v5, -1
	v_addc_co_u32_e32 v28, vcc, 0, v5, vcc
	v_and_b32_e32 v10, s27, v7
	v_lshlrev_b32_e32 v28, 2, v28
	v_or_b32_e32 v10, 0x80000000, v10
	ds_bpermute_b32 v29, v28, v8
	v_and_b32_e32 v11, s26, v6
	v_ffbl_b32_e32 v10, v10
	v_add_u32_e32 v10, 32, v10
	v_ffbl_b32_e32 v11, v11
	v_min_u32_e32 v10, v11, v10
	v_cmp_lt_u32_e32 vcc, v27, v10
	s_waitcnt lgkmcnt(0)
	v_cndmask_b32_e32 v11, 0, v29, vcc
	v_cmp_gt_u32_e32 vcc, 62, v27
	v_add_u32_e32 v8, v11, v8
	v_cndmask_b32_e64 v11, 0, 1, vcc
	v_lshlrev_b32_e32 v11, 1, v11
	v_add_lshl_u32 v29, v11, v5, 2
	ds_bpermute_b32 v11, v29, v8
	v_add_u32_e32 v30, 2, v27
	v_cmp_le_u32_e32 vcc, v30, v10
	v_add_u32_e32 v32, 4, v27
	v_add_u32_e32 v34, 8, v27
	s_waitcnt lgkmcnt(0)
	v_cndmask_b32_e32 v11, 0, v11, vcc
	v_cmp_gt_u32_e32 vcc, 60, v27
	v_add_u32_e32 v8, v8, v11
	v_cndmask_b32_e64 v11, 0, 1, vcc
	v_lshlrev_b32_e32 v11, 2, v11
	v_add_lshl_u32 v31, v11, v5, 2
	ds_bpermute_b32 v11, v31, v8
	v_cmp_le_u32_e32 vcc, v32, v10
	v_add_u32_e32 v37, 16, v27
	v_add_u32_e32 v39, 32, v27
	s_waitcnt lgkmcnt(0)
	v_cndmask_b32_e32 v11, 0, v11, vcc
	v_cmp_gt_u32_e32 vcc, 56, v27
	v_add_u32_e32 v8, v8, v11
	v_cndmask_b32_e64 v11, 0, 1, vcc
	v_lshlrev_b32_e32 v11, 3, v11
	v_add_lshl_u32 v33, v11, v5, 2
	ds_bpermute_b32 v11, v33, v8
	v_cmp_le_u32_e32 vcc, v34, v10
	s_waitcnt lgkmcnt(0)
	v_cndmask_b32_e32 v11, 0, v11, vcc
	v_cmp_gt_u32_e32 vcc, 48, v27
	v_add_u32_e32 v8, v8, v11
	v_cndmask_b32_e64 v11, 0, 1, vcc
	v_lshlrev_b32_e32 v11, 4, v11
	v_add_lshl_u32 v36, v11, v5, 2
	ds_bpermute_b32 v11, v36, v8
	v_cmp_le_u32_e32 vcc, v37, v10
	;; [unrolled: 9-line block ×3, first 2 shown]
	s_waitcnt lgkmcnt(0)
	v_cndmask_b32_e32 v5, 0, v5, vcc
	v_add_u32_e32 v8, v8, v5
	v_mov_b32_e32 v5, 0
	s_branch .LBB6842_44
.LBB6842_43:                            ;   in Loop: Header=BB6842_44 Depth=1
	s_or_b64 exec, exec, s[26:27]
	v_cmp_eq_u16_sdwa s[26:27], v9, v3 src0_sel:BYTE_0 src1_sel:DWORD
	v_and_b32_e32 v10, s27, v7
	v_or_b32_e32 v10, 0x80000000, v10
	ds_bpermute_b32 v40, v28, v8
	v_and_b32_e32 v11, s26, v6
	v_ffbl_b32_e32 v10, v10
	v_add_u32_e32 v10, 32, v10
	v_ffbl_b32_e32 v11, v11
	v_min_u32_e32 v10, v11, v10
	v_cmp_lt_u32_e32 vcc, v27, v10
	s_waitcnt lgkmcnt(0)
	v_cndmask_b32_e32 v11, 0, v40, vcc
	v_add_u32_e32 v8, v11, v8
	ds_bpermute_b32 v11, v29, v8
	v_cmp_le_u32_e32 vcc, v30, v10
	v_subrev_u32_e32 v4, 64, v4
	s_waitcnt lgkmcnt(0)
	v_cndmask_b32_e32 v11, 0, v11, vcc
	v_add_u32_e32 v8, v8, v11
	ds_bpermute_b32 v11, v31, v8
	v_cmp_le_u32_e32 vcc, v32, v10
	s_waitcnt lgkmcnt(0)
	v_cndmask_b32_e32 v11, 0, v11, vcc
	v_add_u32_e32 v8, v8, v11
	ds_bpermute_b32 v11, v33, v8
	v_cmp_le_u32_e32 vcc, v34, v10
	s_waitcnt lgkmcnt(0)
	v_cndmask_b32_e32 v11, 0, v11, vcc
	v_add_u32_e32 v8, v8, v11
	ds_bpermute_b32 v11, v36, v8
	v_cmp_le_u32_e32 vcc, v37, v10
	s_waitcnt lgkmcnt(0)
	v_cndmask_b32_e32 v11, 0, v11, vcc
	v_add_u32_e32 v8, v8, v11
	ds_bpermute_b32 v11, v38, v8
	v_cmp_le_u32_e32 vcc, v39, v10
	s_waitcnt lgkmcnt(0)
	v_cndmask_b32_e32 v10, 0, v11, vcc
	v_add3_u32 v8, v10, v35, v8
.LBB6842_44:                            ; =>This Loop Header: Depth=1
                                        ;     Child Loop BB6842_47 Depth 2
                                        ;       Child Loop BB6842_48 Depth 3
	v_cmp_ne_u16_sdwa s[26:27], v9, v3 src0_sel:BYTE_0 src1_sel:DWORD
	v_cndmask_b32_e64 v9, 0, 1, s[26:27]
	;;#ASMSTART
	;;#ASMEND
	v_cmp_ne_u32_e32 vcc, 0, v9
	s_cmp_lg_u64 vcc, exec
	v_mov_b32_e32 v35, v8
	s_cbranch_scc1 .LBB6842_51
; %bb.45:                               ;   in Loop: Header=BB6842_44 Depth=1
	v_lshlrev_b64 v[8:9], 3, v[4:5]
	v_mov_b32_e32 v11, s7
	v_add_co_u32_e32 v10, vcc, s6, v8
	v_addc_co_u32_e32 v11, vcc, v11, v9, vcc
	global_load_dwordx2 v[8:9], v[10:11], off glc
	s_waitcnt vmcnt(0)
	v_cmp_eq_u16_sdwa s[28:29], v9, v5 src0_sel:BYTE_0 src1_sel:DWORD
	s_and_saveexec_b64 s[26:27], s[28:29]
	s_cbranch_execz .LBB6842_43
; %bb.46:                               ;   in Loop: Header=BB6842_44 Depth=1
	s_mov_b32 s37, 1
	s_mov_b64 s[28:29], 0
.LBB6842_47:                            ;   Parent Loop BB6842_44 Depth=1
                                        ; =>  This Loop Header: Depth=2
                                        ;       Child Loop BB6842_48 Depth 3
	s_max_u32 s38, s37, 1
.LBB6842_48:                            ;   Parent Loop BB6842_44 Depth=1
                                        ;     Parent Loop BB6842_47 Depth=2
                                        ; =>    This Inner Loop Header: Depth=3
	s_add_i32 s38, s38, -1
	s_cmp_eq_u32 s38, 0
	s_sleep 1
	s_cbranch_scc0 .LBB6842_48
; %bb.49:                               ;   in Loop: Header=BB6842_47 Depth=2
	global_load_dwordx2 v[8:9], v[10:11], off glc
	s_cmp_lt_u32 s37, 32
	s_cselect_b64 s[38:39], -1, 0
	s_cmp_lg_u64 s[38:39], 0
	s_addc_u32 s37, s37, 0
	s_waitcnt vmcnt(0)
	v_cmp_ne_u16_sdwa s[38:39], v9, v5 src0_sel:BYTE_0 src1_sel:DWORD
	s_or_b64 s[28:29], s[38:39], s[28:29]
	s_andn2_b64 exec, exec, s[28:29]
	s_cbranch_execnz .LBB6842_47
; %bb.50:                               ;   in Loop: Header=BB6842_44 Depth=1
	s_or_b64 exec, exec, s[28:29]
	s_branch .LBB6842_43
.LBB6842_51:                            ;   in Loop: Header=BB6842_44 Depth=1
                                        ; implicit-def: $vgpr8
                                        ; implicit-def: $vgpr9
	s_cbranch_execz .LBB6842_44
; %bb.52:
	s_and_saveexec_b64 s[26:27], s[4:5]
	s_cbranch_execz .LBB6842_54
; %bb.53:
	s_add_i32 s4, s36, 64
	s_mov_b32 s5, 0
	s_lshl_b64 s[4:5], s[4:5], 3
	s_add_u32 s4, s6, s4
	v_add_u32_e32 v2, v35, v2
	v_mov_b32_e32 v3, 2
	s_addc_u32 s5, s7, s5
	v_mov_b32_e32 v4, 0
	global_store_dwordx2 v4, v[2:3], s[4:5]
.LBB6842_54:
	s_or_b64 exec, exec, s[26:27]
	s_and_b64 exec, exec, s[0:1]
	s_cbranch_execz .LBB6842_56
; %bb.55:
	v_mov_b32_e32 v2, 0
	ds_write_b32 v2, v35
.LBB6842_56:
	s_or_b64 exec, exec, s[24:25]
	v_mov_b32_e32 v2, 0
	s_waitcnt lgkmcnt(0)
	s_barrier
	ds_read_b32 v2, v2
	s_waitcnt lgkmcnt(0)
	v_add_u32_e32 v2, v2, v26
	v_add_u32_e32 v3, v2, v16
	;; [unrolled: 1-line block ×10, first 2 shown]
	s_branch .LBB6842_67
.LBB6842_57:
                                        ; implicit-def: $vgpr2_vgpr3_vgpr4_vgpr5_vgpr6_vgpr7_vgpr8_vgpr9_vgpr10_vgpr11
	s_cbranch_execz .LBB6842_67
; %bb.58:
	s_cmp_eq_u64 s[12:13], 0
	v_mov_b32_e32 v26, s33
	s_cbranch_scc1 .LBB6842_60
; %bb.59:
	v_mov_b32_e32 v3, s35
	v_add_co_u32_e64 v2, vcc, -4, s34
	v_addc_co_u32_e32 v3, vcc, -1, v3, vcc
	v_mov_b32_e32 v4, 0
	flat_load_dword v5, v[2:3]
	global_load_dword v6, v4, s[8:9]
	s_waitcnt vmcnt(0) lgkmcnt(0)
	v_add_u32_e32 v26, v6, v5
.LBB6842_60:
	v_add3_u32 v2, v25, v12, v13
	v_add3_u32 v2, v2, v14, v15
	;; [unrolled: 1-line block ×3, first 2 shown]
	v_add_lshl_u32 v3, v24, v0, 2
	v_cmp_gt_u32_e32 vcc, 64, v0
	ds_write_b32 v3, v2
	s_waitcnt lgkmcnt(0)
	s_barrier
	s_and_saveexec_b64 s[4:5], vcc
	s_cbranch_execz .LBB6842_62
; %bb.61:
	v_lshlrev_b32_e32 v3, 1, v0
	v_lshrrev_b32_e32 v4, 4, v0
	v_add_lshl_u32 v3, v4, v3, 2
	ds_read2_b32 v[4:5], v3 offset1:1
	v_mbcnt_lo_u32_b32 v6, -1, 0
	v_mbcnt_hi_u32_b32 v6, -1, v6
	v_and_b32_e32 v7, 15, v6
	v_cmp_ne_u32_e32 vcc, 0, v7
	s_waitcnt lgkmcnt(0)
	v_add_u32_e32 v5, v5, v4
	; wave barrier
	s_nop 1
	v_mov_b32_dpp v8, v5 row_shr:1 row_mask:0xf bank_mask:0xf
	v_cndmask_b32_e32 v8, 0, v8, vcc
	v_add_u32_e32 v5, v8, v5
	v_cmp_lt_u32_e32 vcc, 1, v7
	s_nop 0
	v_mov_b32_dpp v8, v5 row_shr:2 row_mask:0xf bank_mask:0xf
	v_cndmask_b32_e32 v8, 0, v8, vcc
	v_add_u32_e32 v5, v5, v8
	v_cmp_lt_u32_e32 vcc, 3, v7
	;; [unrolled: 5-line block ×3, first 2 shown]
	s_nop 0
	v_mov_b32_dpp v8, v5 row_shr:8 row_mask:0xf bank_mask:0xf
	v_cndmask_b32_e32 v7, 0, v8, vcc
	v_add_u32_e32 v5, v5, v7
	v_bfe_i32 v8, v6, 4, 1
	v_cmp_lt_u32_e32 vcc, 31, v6
	v_mov_b32_dpp v7, v5 row_bcast:15 row_mask:0xf bank_mask:0xf
	v_and_b32_e32 v7, v8, v7
	v_add_u32_e32 v5, v5, v7
	v_and_b32_e32 v8, 64, v6
	s_nop 0
	v_mov_b32_dpp v7, v5 row_bcast:31 row_mask:0xf bank_mask:0xf
	v_cndmask_b32_e32 v7, 0, v7, vcc
	v_add_u32_e32 v5, v5, v7
	v_add_u32_e32 v7, -1, v6
	v_cmp_lt_i32_e32 vcc, v7, v8
	v_cndmask_b32_e32 v6, v7, v6, vcc
	v_lshlrev_b32_e32 v6, 2, v6
	ds_bpermute_b32 v5, v6, v5
	s_waitcnt lgkmcnt(0)
	v_add_u32_e32 v4, v5, v4
	v_cndmask_b32_e64 v2, v4, v2, s[0:1]
	ds_write_b32 v3, v2
	; wave barrier
	ds_read_b32 v4, v3 offset:4
	s_waitcnt lgkmcnt(0)
	v_add_u32_e32 v2, v4, v2
	ds_write_b32 v3, v2 offset:4
.LBB6842_62:
	s_or_b64 exec, exec, s[4:5]
	v_mov_b32_e32 v2, v26
	s_waitcnt lgkmcnt(0)
	s_barrier
	s_and_saveexec_b64 s[4:5], s[2:3]
	s_cbranch_execz .LBB6842_64
; %bb.63:
	v_add_u32_e32 v2, -1, v0
	v_lshrrev_b32_e32 v3, 5, v2
	v_add_lshl_u32 v2, v3, v2, 2
	ds_read_b32 v2, v2
	s_waitcnt lgkmcnt(0)
	v_add_u32_e32 v2, v2, v26
.LBB6842_64:
	s_or_b64 exec, exec, s[4:5]
	v_add_u32_e32 v3, v2, v16
	v_add_u32_e32 v4, v3, v17
	;; [unrolled: 1-line block ×9, first 2 shown]
	s_and_saveexec_b64 s[2:3], s[0:1]
	s_cbranch_execz .LBB6842_66
; %bb.65:
	v_mov_b32_e32 v14, 0
	ds_read_b32 v12, v14 offset:520
	v_mov_b32_e32 v13, 2
	s_waitcnt lgkmcnt(0)
	v_add_u32_e32 v12, v12, v26
	global_store_dwordx2 v14, v[12:13], s[6:7] offset:512
.LBB6842_66:
	s_or_b64 exec, exec, s[2:3]
.LBB6842_67:
	s_add_u32 s0, s20, s18
	s_addc_u32 s1, s21, s19
	s_add_u32 s2, s0, s22
	s_addc_u32 s3, s1, s23
	s_mov_b64 s[0:1], -1
	s_and_b64 vcc, exec, s[16:17]
	s_barrier
	s_cbranch_vccz .LBB6842_69
; %bb.68:
	ds_write2_b64 v1, v[2:3], v[4:5] offset1:1
	ds_write2_b64 v1, v[6:7], v[8:9] offset0:2 offset1:3
	ds_write_b64 v1, v[10:11] offset:32
	s_waitcnt lgkmcnt(0)
	s_barrier
	ds_read2st64_b32 v[12:13], v22 offset1:2
	ds_read2st64_b32 v[14:15], v22 offset0:4 offset1:6
	ds_read2st64_b32 v[16:17], v22 offset0:8 offset1:10
	;; [unrolled: 1-line block ×4, first 2 shown]
	v_mov_b32_e32 v25, s3
	v_add_co_u32_e32 v24, vcc, s2, v22
	v_addc_co_u32_e32 v25, vcc, 0, v25, vcc
	s_waitcnt lgkmcnt(4)
	flat_store_dword v[24:25], v12
	flat_store_dword v[24:25], v13 offset:512
	s_waitcnt lgkmcnt(0)
	flat_store_dword v[24:25], v14 offset:1024
	flat_store_dword v[24:25], v15 offset:1536
	;; [unrolled: 1-line block ×6, first 2 shown]
	v_add_co_u32_e32 v12, vcc, 0x1000, v24
	v_addc_co_u32_e32 v13, vcc, 0, v25, vcc
	flat_store_dword v[12:13], v20
	flat_store_dword v[12:13], v21 offset:512
	s_mov_b64 s[0:1], 0
.LBB6842_69:
	s_andn2_b64 vcc, exec, s[0:1]
	s_cbranch_vccnz .LBB6842_125
; %bb.70:
	ds_write2_b64 v1, v[2:3], v[4:5] offset1:1
	ds_write2_b64 v1, v[6:7], v[8:9] offset0:2 offset1:3
	ds_write_b64 v1, v[10:11] offset:32
	s_waitcnt lgkmcnt(0)
	s_barrier
	ds_read2st64_b32 v[2:3], v22 offset1:2
	ds_read2st64_b32 v[6:7], v22 offset0:4 offset1:6
	ds_read2st64_b32 v[4:5], v22 offset0:8 offset1:10
	;; [unrolled: 1-line block ×4, first 2 shown]
	v_mov_b32_e32 v13, s3
	v_add_co_u32_e32 v12, vcc, s2, v22
	v_addc_co_u32_e32 v13, vcc, 0, v13, vcc
	v_mov_b32_e32 v1, 0
	v_cmp_gt_u32_e32 vcc, s30, v0
	s_and_saveexec_b64 s[0:1], vcc
	s_cbranch_execz .LBB6842_72
; %bb.71:
	s_waitcnt lgkmcnt(0)
	flat_store_dword v[12:13], v2
.LBB6842_72:
	s_or_b64 exec, exec, s[0:1]
	v_or_b32_e32 v14, 0x80, v0
	v_cmp_gt_u32_e32 vcc, s30, v14
	s_and_saveexec_b64 s[0:1], vcc
	s_cbranch_execz .LBB6842_74
; %bb.73:
	s_waitcnt lgkmcnt(0)
	flat_store_dword v[12:13], v3 offset:512
.LBB6842_74:
	s_or_b64 exec, exec, s[0:1]
	v_or_b32_e32 v14, 0x100, v0
	v_cmp_gt_u32_e32 vcc, s30, v14
	s_and_saveexec_b64 s[0:1], vcc
	s_cbranch_execz .LBB6842_76
; %bb.75:
	s_waitcnt lgkmcnt(0)
	flat_store_dword v[12:13], v6 offset:1024
.LBB6842_76:
	;; [unrolled: 9-line block ×7, first 2 shown]
	s_or_b64 exec, exec, s[0:1]
	v_or_b32_e32 v14, 0x400, v0
	v_cmp_gt_u32_e32 vcc, s30, v14
	s_and_saveexec_b64 s[0:1], vcc
	s_cbranch_execz .LBB6842_88
; %bb.87:
	v_add_co_u32_e32 v14, vcc, 0x1000, v12
	v_addc_co_u32_e32 v15, vcc, 0, v13, vcc
	s_waitcnt lgkmcnt(0)
	flat_store_dword v[14:15], v10
.LBB6842_88:
	s_or_b64 exec, exec, s[0:1]
	v_or_b32_e32 v14, 0x480, v0
	v_cmp_gt_u32_e32 vcc, s30, v14
	s_and_saveexec_b64 s[0:1], vcc
	s_cbranch_execz .LBB6842_90
; %bb.89:
	v_add_co_u32_e32 v12, vcc, 0x1000, v12
	v_addc_co_u32_e32 v13, vcc, 0, v13, vcc
	s_waitcnt lgkmcnt(0)
	flat_store_dword v[12:13], v11 offset:512
.LBB6842_90:
	s_or_b64 exec, exec, s[0:1]
	v_cmp_lt_u64_e64 s[0:1], s[14:15], 2
	s_and_b64 vcc, exec, s[0:1]
	s_cbranch_vccnz .LBB6842_125
; %bb.91:
	s_add_u32 s0, s30, -1
	s_addc_u32 s1, s31, -1
	s_add_u32 s2, 0, 0x99986000
	s_addc_u32 s3, 0, 0x59
	s_add_i32 s3, s3, 0x19999940
	s_mul_hi_u32 s7, s2, -10
	s_sub_i32 s7, s7, s2
	s_mul_i32 s8, s3, -10
	s_mul_i32 s4, s2, -10
	s_add_i32 s7, s7, s8
	s_mul_hi_u32 s5, s3, s4
	s_mul_i32 s6, s3, s4
	s_mul_i32 s9, s2, s7
	s_mul_hi_u32 s4, s2, s4
	s_mul_hi_u32 s8, s2, s7
	s_add_u32 s4, s4, s9
	s_addc_u32 s8, 0, s8
	s_add_u32 s4, s4, s6
	s_mul_hi_u32 s9, s3, s7
	s_addc_u32 s4, s8, s5
	s_addc_u32 s5, s9, 0
	s_mul_i32 s6, s3, s7
	s_add_u32 s4, s4, s6
	v_mov_b32_e32 v12, s4
	s_addc_u32 s5, 0, s5
	v_add_co_u32_e32 v12, vcc, s2, v12
	s_cmp_lg_u64 vcc, 0
	s_addc_u32 s2, s3, s5
	v_readfirstlane_b32 s5, v12
	s_mul_i32 s4, s0, s2
	s_mul_hi_u32 s6, s0, s5
	s_mul_hi_u32 s3, s0, s2
	s_add_u32 s4, s6, s4
	s_addc_u32 s3, 0, s3
	s_mul_hi_u32 s7, s1, s5
	s_mul_i32 s5, s1, s5
	s_add_u32 s4, s4, s5
	s_mul_hi_u32 s6, s1, s2
	s_addc_u32 s3, s3, s7
	s_addc_u32 s4, s6, 0
	s_mul_i32 s2, s1, s2
	s_add_u32 s2, s3, s2
	s_addc_u32 s3, 0, s4
	s_add_u32 s4, s2, 1
	s_addc_u32 s5, s3, 0
	s_add_u32 s6, s2, 2
	s_mul_i32 s8, s3, 10
	s_mul_hi_u32 s9, s2, 10
	s_addc_u32 s7, s3, 0
	s_add_i32 s9, s9, s8
	s_mul_i32 s8, s2, 10
	v_mov_b32_e32 v12, s8
	v_sub_co_u32_e32 v12, vcc, s0, v12
	s_cmp_lg_u64 vcc, 0
	s_subb_u32 s8, s1, s9
	v_subrev_co_u32_e32 v13, vcc, 10, v12
	s_cmp_lg_u64 vcc, 0
	s_subb_u32 s9, s8, 0
	v_readfirstlane_b32 s12, v13
	s_cmp_gt_u32 s12, 9
	s_cselect_b32 s12, -1, 0
	s_cmp_eq_u32 s9, 0
	s_cselect_b32 s9, s12, -1
	s_cmp_lg_u32 s9, 0
	s_cselect_b32 s4, s6, s4
	v_readfirstlane_b32 s6, v12
	s_cselect_b32 s5, s7, s5
	s_cmp_gt_u32 s6, 9
	s_cselect_b32 s6, -1, 0
	s_cmp_eq_u32 s8, 0
	s_cselect_b32 s6, s6, -1
	s_cmp_lg_u32 s6, 0
	s_cselect_b32 s3, s5, s3
	s_cselect_b32 s2, s4, s2
	v_cmp_eq_u64_e32 vcc, s[2:3], v[0:1]
	s_and_saveexec_b64 s[2:3], vcc
	s_cbranch_execz .LBB6842_125
; %bb.92:
	v_mul_hi_u32_u24_e32 v1, 10, v0
	v_mov_b32_e32 v12, s1
	v_sub_co_u32_e32 v0, vcc, s0, v23
	v_subb_co_u32_e32 v1, vcc, v12, v1, vcc
	v_cmp_lt_i64_e32 vcc, 4, v[0:1]
	s_and_saveexec_b64 s[0:1], vcc
	s_xor_b64 s[0:1], exec, s[0:1]
	s_cbranch_execz .LBB6842_110
; %bb.93:
	v_cmp_lt_i64_e32 vcc, 6, v[0:1]
	s_and_saveexec_b64 s[2:3], vcc
	s_xor_b64 s[2:3], exec, s[2:3]
	s_cbranch_execz .LBB6842_103
; %bb.94:
	;; [unrolled: 5-line block ×4, first 2 shown]
	v_mov_b32_e32 v0, 0
	s_waitcnt lgkmcnt(0)
	global_store_dword v0, v11, s[10:11]
                                        ; implicit-def: $vgpr10_vgpr11
.LBB6842_97:
	s_andn2_saveexec_b64 s[6:7], s[6:7]
	s_cbranch_execz .LBB6842_99
; %bb.98:
	v_mov_b32_e32 v0, 0
	s_waitcnt lgkmcnt(0)
	global_store_dword v0, v10, s[10:11]
.LBB6842_99:
	s_or_b64 exec, exec, s[6:7]
                                        ; implicit-def: $vgpr8_vgpr9
.LBB6842_100:
	s_andn2_saveexec_b64 s[4:5], s[4:5]
	s_cbranch_execz .LBB6842_102
; %bb.101:
	v_mov_b32_e32 v0, 0
	s_waitcnt lgkmcnt(0)
	global_store_dword v0, v9, s[10:11]
.LBB6842_102:
	s_or_b64 exec, exec, s[4:5]
                                        ; implicit-def: $vgpr4_vgpr5
                                        ; implicit-def: $vgpr0_vgpr1
                                        ; implicit-def: $vgpr8_vgpr9
.LBB6842_103:
	s_andn2_saveexec_b64 s[2:3], s[2:3]
	s_cbranch_execz .LBB6842_109
; %bb.104:
	v_cmp_lt_i64_e32 vcc, 5, v[0:1]
	s_and_saveexec_b64 s[4:5], vcc
	s_xor_b64 s[4:5], exec, s[4:5]
	s_cbranch_execz .LBB6842_106
; %bb.105:
	v_mov_b32_e32 v0, 0
	s_waitcnt lgkmcnt(0)
	global_store_dword v0, v8, s[10:11]
                                        ; implicit-def: $vgpr4_vgpr5
.LBB6842_106:
	s_andn2_saveexec_b64 s[4:5], s[4:5]
	s_cbranch_execz .LBB6842_108
; %bb.107:
	v_mov_b32_e32 v0, 0
	s_waitcnt lgkmcnt(0)
	global_store_dword v0, v5, s[10:11]
.LBB6842_108:
	s_or_b64 exec, exec, s[4:5]
.LBB6842_109:
	s_or_b64 exec, exec, s[2:3]
                                        ; implicit-def: $vgpr0_vgpr1
                                        ; implicit-def: $vgpr6_vgpr7
                                        ; implicit-def: $vgpr2_vgpr3
                                        ; implicit-def: $vgpr4_vgpr5
.LBB6842_110:
	s_andn2_saveexec_b64 s[0:1], s[0:1]
	s_cbranch_execz .LBB6842_125
; %bb.111:
	v_cmp_lt_i64_e32 vcc, 2, v[0:1]
	s_and_saveexec_b64 s[0:1], vcc
	s_xor_b64 s[0:1], exec, s[0:1]
	s_cbranch_execz .LBB6842_117
; %bb.112:
	v_cmp_lt_i64_e32 vcc, 3, v[0:1]
	s_and_saveexec_b64 s[2:3], vcc
	s_xor_b64 s[2:3], exec, s[2:3]
	s_cbranch_execz .LBB6842_114
; %bb.113:
	v_mov_b32_e32 v0, 0
	s_waitcnt lgkmcnt(0)
	global_store_dword v0, v4, s[10:11]
                                        ; implicit-def: $vgpr6_vgpr7
.LBB6842_114:
	s_andn2_saveexec_b64 s[2:3], s[2:3]
	s_cbranch_execz .LBB6842_116
; %bb.115:
	v_mov_b32_e32 v0, 0
	s_waitcnt lgkmcnt(0)
	global_store_dword v0, v7, s[10:11]
.LBB6842_116:
	s_or_b64 exec, exec, s[2:3]
                                        ; implicit-def: $vgpr0_vgpr1
                                        ; implicit-def: $vgpr6_vgpr7
                                        ; implicit-def: $vgpr2_vgpr3
.LBB6842_117:
	s_andn2_saveexec_b64 s[0:1], s[0:1]
	s_cbranch_execz .LBB6842_125
; %bb.118:
	v_cmp_lt_i64_e32 vcc, 1, v[0:1]
	s_and_saveexec_b64 s[0:1], vcc
	s_xor_b64 s[0:1], exec, s[0:1]
	s_cbranch_execz .LBB6842_120
; %bb.119:
	v_mov_b32_e32 v0, 0
	s_waitcnt lgkmcnt(0)
	global_store_dword v0, v6, s[10:11]
                                        ; implicit-def: $vgpr2_vgpr3
                                        ; implicit-def: $vgpr0_vgpr1
.LBB6842_120:
	s_andn2_saveexec_b64 s[0:1], s[0:1]
	s_cbranch_execz .LBB6842_125
; %bb.121:
	v_cmp_ne_u64_e32 vcc, 1, v[0:1]
	s_and_saveexec_b64 s[0:1], vcc
	s_xor_b64 s[0:1], exec, s[0:1]
	s_cbranch_execz .LBB6842_123
; %bb.122:
	v_mov_b32_e32 v0, 0
	s_waitcnt lgkmcnt(0)
	global_store_dword v0, v2, s[10:11]
                                        ; implicit-def: $vgpr2_vgpr3
.LBB6842_123:
	s_andn2_saveexec_b64 s[0:1], s[0:1]
	s_cbranch_execz .LBB6842_125
; %bb.124:
	v_mov_b32_e32 v0, 0
	s_waitcnt lgkmcnt(0)
	global_store_dword v0, v3, s[10:11]
.LBB6842_125:
	s_endpgm
	.section	.rodata,"a",@progbits
	.p2align	6, 0x0
	.amdhsa_kernel _ZN7rocprim17ROCPRIM_400000_NS6detail17trampoline_kernelINS0_14default_configENS1_20scan_config_selectorIiEEZZNS1_9scan_implILNS1_25lookback_scan_determinismE0ELb1ELb1ES3_N6thrust23THRUST_200600_302600_NS10device_ptrIiEESB_iNS9_4plusIvEEiEEDaPvRmT3_T4_T5_mT6_P12ihipStream_tbENKUlT_T0_E_clISt17integral_constantIbLb1EESR_EEDaSM_SN_EUlSM_E_NS1_11comp_targetILNS1_3genE4ELNS1_11target_archE910ELNS1_3gpuE8ELNS1_3repE0EEENS1_30default_config_static_selectorELNS0_4arch9wavefront6targetE1EEEvT1_
		.amdhsa_group_segment_fixed_size 5120
		.amdhsa_private_segment_fixed_size 0
		.amdhsa_kernarg_size 96
		.amdhsa_user_sgpr_count 6
		.amdhsa_user_sgpr_private_segment_buffer 1
		.amdhsa_user_sgpr_dispatch_ptr 0
		.amdhsa_user_sgpr_queue_ptr 0
		.amdhsa_user_sgpr_kernarg_segment_ptr 1
		.amdhsa_user_sgpr_dispatch_id 0
		.amdhsa_user_sgpr_flat_scratch_init 0
		.amdhsa_user_sgpr_kernarg_preload_length 0
		.amdhsa_user_sgpr_kernarg_preload_offset 0
		.amdhsa_user_sgpr_private_segment_size 0
		.amdhsa_uses_dynamic_stack 0
		.amdhsa_system_sgpr_private_segment_wavefront_offset 0
		.amdhsa_system_sgpr_workgroup_id_x 1
		.amdhsa_system_sgpr_workgroup_id_y 0
		.amdhsa_system_sgpr_workgroup_id_z 0
		.amdhsa_system_sgpr_workgroup_info 0
		.amdhsa_system_vgpr_workitem_id 0
		.amdhsa_next_free_vgpr 41
		.amdhsa_next_free_sgpr 40
		.amdhsa_accum_offset 44
		.amdhsa_reserve_vcc 1
		.amdhsa_reserve_flat_scratch 0
		.amdhsa_float_round_mode_32 0
		.amdhsa_float_round_mode_16_64 0
		.amdhsa_float_denorm_mode_32 3
		.amdhsa_float_denorm_mode_16_64 3
		.amdhsa_dx10_clamp 1
		.amdhsa_ieee_mode 1
		.amdhsa_fp16_overflow 0
		.amdhsa_tg_split 0
		.amdhsa_exception_fp_ieee_invalid_op 0
		.amdhsa_exception_fp_denorm_src 0
		.amdhsa_exception_fp_ieee_div_zero 0
		.amdhsa_exception_fp_ieee_overflow 0
		.amdhsa_exception_fp_ieee_underflow 0
		.amdhsa_exception_fp_ieee_inexact 0
		.amdhsa_exception_int_div_zero 0
	.end_amdhsa_kernel
	.section	.text._ZN7rocprim17ROCPRIM_400000_NS6detail17trampoline_kernelINS0_14default_configENS1_20scan_config_selectorIiEEZZNS1_9scan_implILNS1_25lookback_scan_determinismE0ELb1ELb1ES3_N6thrust23THRUST_200600_302600_NS10device_ptrIiEESB_iNS9_4plusIvEEiEEDaPvRmT3_T4_T5_mT6_P12ihipStream_tbENKUlT_T0_E_clISt17integral_constantIbLb1EESR_EEDaSM_SN_EUlSM_E_NS1_11comp_targetILNS1_3genE4ELNS1_11target_archE910ELNS1_3gpuE8ELNS1_3repE0EEENS1_30default_config_static_selectorELNS0_4arch9wavefront6targetE1EEEvT1_,"axG",@progbits,_ZN7rocprim17ROCPRIM_400000_NS6detail17trampoline_kernelINS0_14default_configENS1_20scan_config_selectorIiEEZZNS1_9scan_implILNS1_25lookback_scan_determinismE0ELb1ELb1ES3_N6thrust23THRUST_200600_302600_NS10device_ptrIiEESB_iNS9_4plusIvEEiEEDaPvRmT3_T4_T5_mT6_P12ihipStream_tbENKUlT_T0_E_clISt17integral_constantIbLb1EESR_EEDaSM_SN_EUlSM_E_NS1_11comp_targetILNS1_3genE4ELNS1_11target_archE910ELNS1_3gpuE8ELNS1_3repE0EEENS1_30default_config_static_selectorELNS0_4arch9wavefront6targetE1EEEvT1_,comdat
.Lfunc_end6842:
	.size	_ZN7rocprim17ROCPRIM_400000_NS6detail17trampoline_kernelINS0_14default_configENS1_20scan_config_selectorIiEEZZNS1_9scan_implILNS1_25lookback_scan_determinismE0ELb1ELb1ES3_N6thrust23THRUST_200600_302600_NS10device_ptrIiEESB_iNS9_4plusIvEEiEEDaPvRmT3_T4_T5_mT6_P12ihipStream_tbENKUlT_T0_E_clISt17integral_constantIbLb1EESR_EEDaSM_SN_EUlSM_E_NS1_11comp_targetILNS1_3genE4ELNS1_11target_archE910ELNS1_3gpuE8ELNS1_3repE0EEENS1_30default_config_static_selectorELNS0_4arch9wavefront6targetE1EEEvT1_, .Lfunc_end6842-_ZN7rocprim17ROCPRIM_400000_NS6detail17trampoline_kernelINS0_14default_configENS1_20scan_config_selectorIiEEZZNS1_9scan_implILNS1_25lookback_scan_determinismE0ELb1ELb1ES3_N6thrust23THRUST_200600_302600_NS10device_ptrIiEESB_iNS9_4plusIvEEiEEDaPvRmT3_T4_T5_mT6_P12ihipStream_tbENKUlT_T0_E_clISt17integral_constantIbLb1EESR_EEDaSM_SN_EUlSM_E_NS1_11comp_targetILNS1_3genE4ELNS1_11target_archE910ELNS1_3gpuE8ELNS1_3repE0EEENS1_30default_config_static_selectorELNS0_4arch9wavefront6targetE1EEEvT1_
                                        ; -- End function
	.section	.AMDGPU.csdata,"",@progbits
; Kernel info:
; codeLenInByte = 4576
; NumSgprs: 44
; NumVgprs: 41
; NumAgprs: 0
; TotalNumVgprs: 41
; ScratchSize: 0
; MemoryBound: 0
; FloatMode: 240
; IeeeMode: 1
; LDSByteSize: 5120 bytes/workgroup (compile time only)
; SGPRBlocks: 5
; VGPRBlocks: 5
; NumSGPRsForWavesPerEU: 44
; NumVGPRsForWavesPerEU: 41
; AccumOffset: 44
; Occupancy: 6
; WaveLimiterHint : 1
; COMPUTE_PGM_RSRC2:SCRATCH_EN: 0
; COMPUTE_PGM_RSRC2:USER_SGPR: 6
; COMPUTE_PGM_RSRC2:TRAP_HANDLER: 0
; COMPUTE_PGM_RSRC2:TGID_X_EN: 1
; COMPUTE_PGM_RSRC2:TGID_Y_EN: 0
; COMPUTE_PGM_RSRC2:TGID_Z_EN: 0
; COMPUTE_PGM_RSRC2:TIDIG_COMP_CNT: 0
; COMPUTE_PGM_RSRC3_GFX90A:ACCUM_OFFSET: 10
; COMPUTE_PGM_RSRC3_GFX90A:TG_SPLIT: 0
	.section	.text._ZN7rocprim17ROCPRIM_400000_NS6detail17trampoline_kernelINS0_14default_configENS1_20scan_config_selectorIiEEZZNS1_9scan_implILNS1_25lookback_scan_determinismE0ELb1ELb1ES3_N6thrust23THRUST_200600_302600_NS10device_ptrIiEESB_iNS9_4plusIvEEiEEDaPvRmT3_T4_T5_mT6_P12ihipStream_tbENKUlT_T0_E_clISt17integral_constantIbLb1EESR_EEDaSM_SN_EUlSM_E_NS1_11comp_targetILNS1_3genE3ELNS1_11target_archE908ELNS1_3gpuE7ELNS1_3repE0EEENS1_30default_config_static_selectorELNS0_4arch9wavefront6targetE1EEEvT1_,"axG",@progbits,_ZN7rocprim17ROCPRIM_400000_NS6detail17trampoline_kernelINS0_14default_configENS1_20scan_config_selectorIiEEZZNS1_9scan_implILNS1_25lookback_scan_determinismE0ELb1ELb1ES3_N6thrust23THRUST_200600_302600_NS10device_ptrIiEESB_iNS9_4plusIvEEiEEDaPvRmT3_T4_T5_mT6_P12ihipStream_tbENKUlT_T0_E_clISt17integral_constantIbLb1EESR_EEDaSM_SN_EUlSM_E_NS1_11comp_targetILNS1_3genE3ELNS1_11target_archE908ELNS1_3gpuE7ELNS1_3repE0EEENS1_30default_config_static_selectorELNS0_4arch9wavefront6targetE1EEEvT1_,comdat
	.protected	_ZN7rocprim17ROCPRIM_400000_NS6detail17trampoline_kernelINS0_14default_configENS1_20scan_config_selectorIiEEZZNS1_9scan_implILNS1_25lookback_scan_determinismE0ELb1ELb1ES3_N6thrust23THRUST_200600_302600_NS10device_ptrIiEESB_iNS9_4plusIvEEiEEDaPvRmT3_T4_T5_mT6_P12ihipStream_tbENKUlT_T0_E_clISt17integral_constantIbLb1EESR_EEDaSM_SN_EUlSM_E_NS1_11comp_targetILNS1_3genE3ELNS1_11target_archE908ELNS1_3gpuE7ELNS1_3repE0EEENS1_30default_config_static_selectorELNS0_4arch9wavefront6targetE1EEEvT1_ ; -- Begin function _ZN7rocprim17ROCPRIM_400000_NS6detail17trampoline_kernelINS0_14default_configENS1_20scan_config_selectorIiEEZZNS1_9scan_implILNS1_25lookback_scan_determinismE0ELb1ELb1ES3_N6thrust23THRUST_200600_302600_NS10device_ptrIiEESB_iNS9_4plusIvEEiEEDaPvRmT3_T4_T5_mT6_P12ihipStream_tbENKUlT_T0_E_clISt17integral_constantIbLb1EESR_EEDaSM_SN_EUlSM_E_NS1_11comp_targetILNS1_3genE3ELNS1_11target_archE908ELNS1_3gpuE7ELNS1_3repE0EEENS1_30default_config_static_selectorELNS0_4arch9wavefront6targetE1EEEvT1_
	.globl	_ZN7rocprim17ROCPRIM_400000_NS6detail17trampoline_kernelINS0_14default_configENS1_20scan_config_selectorIiEEZZNS1_9scan_implILNS1_25lookback_scan_determinismE0ELb1ELb1ES3_N6thrust23THRUST_200600_302600_NS10device_ptrIiEESB_iNS9_4plusIvEEiEEDaPvRmT3_T4_T5_mT6_P12ihipStream_tbENKUlT_T0_E_clISt17integral_constantIbLb1EESR_EEDaSM_SN_EUlSM_E_NS1_11comp_targetILNS1_3genE3ELNS1_11target_archE908ELNS1_3gpuE7ELNS1_3repE0EEENS1_30default_config_static_selectorELNS0_4arch9wavefront6targetE1EEEvT1_
	.p2align	8
	.type	_ZN7rocprim17ROCPRIM_400000_NS6detail17trampoline_kernelINS0_14default_configENS1_20scan_config_selectorIiEEZZNS1_9scan_implILNS1_25lookback_scan_determinismE0ELb1ELb1ES3_N6thrust23THRUST_200600_302600_NS10device_ptrIiEESB_iNS9_4plusIvEEiEEDaPvRmT3_T4_T5_mT6_P12ihipStream_tbENKUlT_T0_E_clISt17integral_constantIbLb1EESR_EEDaSM_SN_EUlSM_E_NS1_11comp_targetILNS1_3genE3ELNS1_11target_archE908ELNS1_3gpuE7ELNS1_3repE0EEENS1_30default_config_static_selectorELNS0_4arch9wavefront6targetE1EEEvT1_,@function
_ZN7rocprim17ROCPRIM_400000_NS6detail17trampoline_kernelINS0_14default_configENS1_20scan_config_selectorIiEEZZNS1_9scan_implILNS1_25lookback_scan_determinismE0ELb1ELb1ES3_N6thrust23THRUST_200600_302600_NS10device_ptrIiEESB_iNS9_4plusIvEEiEEDaPvRmT3_T4_T5_mT6_P12ihipStream_tbENKUlT_T0_E_clISt17integral_constantIbLb1EESR_EEDaSM_SN_EUlSM_E_NS1_11comp_targetILNS1_3genE3ELNS1_11target_archE908ELNS1_3gpuE7ELNS1_3repE0EEENS1_30default_config_static_selectorELNS0_4arch9wavefront6targetE1EEEvT1_: ; @_ZN7rocprim17ROCPRIM_400000_NS6detail17trampoline_kernelINS0_14default_configENS1_20scan_config_selectorIiEEZZNS1_9scan_implILNS1_25lookback_scan_determinismE0ELb1ELb1ES3_N6thrust23THRUST_200600_302600_NS10device_ptrIiEESB_iNS9_4plusIvEEiEEDaPvRmT3_T4_T5_mT6_P12ihipStream_tbENKUlT_T0_E_clISt17integral_constantIbLb1EESR_EEDaSM_SN_EUlSM_E_NS1_11comp_targetILNS1_3genE3ELNS1_11target_archE908ELNS1_3gpuE7ELNS1_3repE0EEENS1_30default_config_static_selectorELNS0_4arch9wavefront6targetE1EEEvT1_
; %bb.0:
	.section	.rodata,"a",@progbits
	.p2align	6, 0x0
	.amdhsa_kernel _ZN7rocprim17ROCPRIM_400000_NS6detail17trampoline_kernelINS0_14default_configENS1_20scan_config_selectorIiEEZZNS1_9scan_implILNS1_25lookback_scan_determinismE0ELb1ELb1ES3_N6thrust23THRUST_200600_302600_NS10device_ptrIiEESB_iNS9_4plusIvEEiEEDaPvRmT3_T4_T5_mT6_P12ihipStream_tbENKUlT_T0_E_clISt17integral_constantIbLb1EESR_EEDaSM_SN_EUlSM_E_NS1_11comp_targetILNS1_3genE3ELNS1_11target_archE908ELNS1_3gpuE7ELNS1_3repE0EEENS1_30default_config_static_selectorELNS0_4arch9wavefront6targetE1EEEvT1_
		.amdhsa_group_segment_fixed_size 0
		.amdhsa_private_segment_fixed_size 0
		.amdhsa_kernarg_size 96
		.amdhsa_user_sgpr_count 6
		.amdhsa_user_sgpr_private_segment_buffer 1
		.amdhsa_user_sgpr_dispatch_ptr 0
		.amdhsa_user_sgpr_queue_ptr 0
		.amdhsa_user_sgpr_kernarg_segment_ptr 1
		.amdhsa_user_sgpr_dispatch_id 0
		.amdhsa_user_sgpr_flat_scratch_init 0
		.amdhsa_user_sgpr_kernarg_preload_length 0
		.amdhsa_user_sgpr_kernarg_preload_offset 0
		.amdhsa_user_sgpr_private_segment_size 0
		.amdhsa_uses_dynamic_stack 0
		.amdhsa_system_sgpr_private_segment_wavefront_offset 0
		.amdhsa_system_sgpr_workgroup_id_x 1
		.amdhsa_system_sgpr_workgroup_id_y 0
		.amdhsa_system_sgpr_workgroup_id_z 0
		.amdhsa_system_sgpr_workgroup_info 0
		.amdhsa_system_vgpr_workitem_id 0
		.amdhsa_next_free_vgpr 1
		.amdhsa_next_free_sgpr 0
		.amdhsa_accum_offset 4
		.amdhsa_reserve_vcc 0
		.amdhsa_reserve_flat_scratch 0
		.amdhsa_float_round_mode_32 0
		.amdhsa_float_round_mode_16_64 0
		.amdhsa_float_denorm_mode_32 3
		.amdhsa_float_denorm_mode_16_64 3
		.amdhsa_dx10_clamp 1
		.amdhsa_ieee_mode 1
		.amdhsa_fp16_overflow 0
		.amdhsa_tg_split 0
		.amdhsa_exception_fp_ieee_invalid_op 0
		.amdhsa_exception_fp_denorm_src 0
		.amdhsa_exception_fp_ieee_div_zero 0
		.amdhsa_exception_fp_ieee_overflow 0
		.amdhsa_exception_fp_ieee_underflow 0
		.amdhsa_exception_fp_ieee_inexact 0
		.amdhsa_exception_int_div_zero 0
	.end_amdhsa_kernel
	.section	.text._ZN7rocprim17ROCPRIM_400000_NS6detail17trampoline_kernelINS0_14default_configENS1_20scan_config_selectorIiEEZZNS1_9scan_implILNS1_25lookback_scan_determinismE0ELb1ELb1ES3_N6thrust23THRUST_200600_302600_NS10device_ptrIiEESB_iNS9_4plusIvEEiEEDaPvRmT3_T4_T5_mT6_P12ihipStream_tbENKUlT_T0_E_clISt17integral_constantIbLb1EESR_EEDaSM_SN_EUlSM_E_NS1_11comp_targetILNS1_3genE3ELNS1_11target_archE908ELNS1_3gpuE7ELNS1_3repE0EEENS1_30default_config_static_selectorELNS0_4arch9wavefront6targetE1EEEvT1_,"axG",@progbits,_ZN7rocprim17ROCPRIM_400000_NS6detail17trampoline_kernelINS0_14default_configENS1_20scan_config_selectorIiEEZZNS1_9scan_implILNS1_25lookback_scan_determinismE0ELb1ELb1ES3_N6thrust23THRUST_200600_302600_NS10device_ptrIiEESB_iNS9_4plusIvEEiEEDaPvRmT3_T4_T5_mT6_P12ihipStream_tbENKUlT_T0_E_clISt17integral_constantIbLb1EESR_EEDaSM_SN_EUlSM_E_NS1_11comp_targetILNS1_3genE3ELNS1_11target_archE908ELNS1_3gpuE7ELNS1_3repE0EEENS1_30default_config_static_selectorELNS0_4arch9wavefront6targetE1EEEvT1_,comdat
.Lfunc_end6843:
	.size	_ZN7rocprim17ROCPRIM_400000_NS6detail17trampoline_kernelINS0_14default_configENS1_20scan_config_selectorIiEEZZNS1_9scan_implILNS1_25lookback_scan_determinismE0ELb1ELb1ES3_N6thrust23THRUST_200600_302600_NS10device_ptrIiEESB_iNS9_4plusIvEEiEEDaPvRmT3_T4_T5_mT6_P12ihipStream_tbENKUlT_T0_E_clISt17integral_constantIbLb1EESR_EEDaSM_SN_EUlSM_E_NS1_11comp_targetILNS1_3genE3ELNS1_11target_archE908ELNS1_3gpuE7ELNS1_3repE0EEENS1_30default_config_static_selectorELNS0_4arch9wavefront6targetE1EEEvT1_, .Lfunc_end6843-_ZN7rocprim17ROCPRIM_400000_NS6detail17trampoline_kernelINS0_14default_configENS1_20scan_config_selectorIiEEZZNS1_9scan_implILNS1_25lookback_scan_determinismE0ELb1ELb1ES3_N6thrust23THRUST_200600_302600_NS10device_ptrIiEESB_iNS9_4plusIvEEiEEDaPvRmT3_T4_T5_mT6_P12ihipStream_tbENKUlT_T0_E_clISt17integral_constantIbLb1EESR_EEDaSM_SN_EUlSM_E_NS1_11comp_targetILNS1_3genE3ELNS1_11target_archE908ELNS1_3gpuE7ELNS1_3repE0EEENS1_30default_config_static_selectorELNS0_4arch9wavefront6targetE1EEEvT1_
                                        ; -- End function
	.section	.AMDGPU.csdata,"",@progbits
; Kernel info:
; codeLenInByte = 0
; NumSgprs: 4
; NumVgprs: 0
; NumAgprs: 0
; TotalNumVgprs: 0
; ScratchSize: 0
; MemoryBound: 0
; FloatMode: 240
; IeeeMode: 1
; LDSByteSize: 0 bytes/workgroup (compile time only)
; SGPRBlocks: 0
; VGPRBlocks: 0
; NumSGPRsForWavesPerEU: 4
; NumVGPRsForWavesPerEU: 1
; AccumOffset: 4
; Occupancy: 8
; WaveLimiterHint : 0
; COMPUTE_PGM_RSRC2:SCRATCH_EN: 0
; COMPUTE_PGM_RSRC2:USER_SGPR: 6
; COMPUTE_PGM_RSRC2:TRAP_HANDLER: 0
; COMPUTE_PGM_RSRC2:TGID_X_EN: 1
; COMPUTE_PGM_RSRC2:TGID_Y_EN: 0
; COMPUTE_PGM_RSRC2:TGID_Z_EN: 0
; COMPUTE_PGM_RSRC2:TIDIG_COMP_CNT: 0
; COMPUTE_PGM_RSRC3_GFX90A:ACCUM_OFFSET: 0
; COMPUTE_PGM_RSRC3_GFX90A:TG_SPLIT: 0
	.section	.text._ZN7rocprim17ROCPRIM_400000_NS6detail17trampoline_kernelINS0_14default_configENS1_20scan_config_selectorIiEEZZNS1_9scan_implILNS1_25lookback_scan_determinismE0ELb1ELb1ES3_N6thrust23THRUST_200600_302600_NS10device_ptrIiEESB_iNS9_4plusIvEEiEEDaPvRmT3_T4_T5_mT6_P12ihipStream_tbENKUlT_T0_E_clISt17integral_constantIbLb1EESR_EEDaSM_SN_EUlSM_E_NS1_11comp_targetILNS1_3genE2ELNS1_11target_archE906ELNS1_3gpuE6ELNS1_3repE0EEENS1_30default_config_static_selectorELNS0_4arch9wavefront6targetE1EEEvT1_,"axG",@progbits,_ZN7rocprim17ROCPRIM_400000_NS6detail17trampoline_kernelINS0_14default_configENS1_20scan_config_selectorIiEEZZNS1_9scan_implILNS1_25lookback_scan_determinismE0ELb1ELb1ES3_N6thrust23THRUST_200600_302600_NS10device_ptrIiEESB_iNS9_4plusIvEEiEEDaPvRmT3_T4_T5_mT6_P12ihipStream_tbENKUlT_T0_E_clISt17integral_constantIbLb1EESR_EEDaSM_SN_EUlSM_E_NS1_11comp_targetILNS1_3genE2ELNS1_11target_archE906ELNS1_3gpuE6ELNS1_3repE0EEENS1_30default_config_static_selectorELNS0_4arch9wavefront6targetE1EEEvT1_,comdat
	.protected	_ZN7rocprim17ROCPRIM_400000_NS6detail17trampoline_kernelINS0_14default_configENS1_20scan_config_selectorIiEEZZNS1_9scan_implILNS1_25lookback_scan_determinismE0ELb1ELb1ES3_N6thrust23THRUST_200600_302600_NS10device_ptrIiEESB_iNS9_4plusIvEEiEEDaPvRmT3_T4_T5_mT6_P12ihipStream_tbENKUlT_T0_E_clISt17integral_constantIbLb1EESR_EEDaSM_SN_EUlSM_E_NS1_11comp_targetILNS1_3genE2ELNS1_11target_archE906ELNS1_3gpuE6ELNS1_3repE0EEENS1_30default_config_static_selectorELNS0_4arch9wavefront6targetE1EEEvT1_ ; -- Begin function _ZN7rocprim17ROCPRIM_400000_NS6detail17trampoline_kernelINS0_14default_configENS1_20scan_config_selectorIiEEZZNS1_9scan_implILNS1_25lookback_scan_determinismE0ELb1ELb1ES3_N6thrust23THRUST_200600_302600_NS10device_ptrIiEESB_iNS9_4plusIvEEiEEDaPvRmT3_T4_T5_mT6_P12ihipStream_tbENKUlT_T0_E_clISt17integral_constantIbLb1EESR_EEDaSM_SN_EUlSM_E_NS1_11comp_targetILNS1_3genE2ELNS1_11target_archE906ELNS1_3gpuE6ELNS1_3repE0EEENS1_30default_config_static_selectorELNS0_4arch9wavefront6targetE1EEEvT1_
	.globl	_ZN7rocprim17ROCPRIM_400000_NS6detail17trampoline_kernelINS0_14default_configENS1_20scan_config_selectorIiEEZZNS1_9scan_implILNS1_25lookback_scan_determinismE0ELb1ELb1ES3_N6thrust23THRUST_200600_302600_NS10device_ptrIiEESB_iNS9_4plusIvEEiEEDaPvRmT3_T4_T5_mT6_P12ihipStream_tbENKUlT_T0_E_clISt17integral_constantIbLb1EESR_EEDaSM_SN_EUlSM_E_NS1_11comp_targetILNS1_3genE2ELNS1_11target_archE906ELNS1_3gpuE6ELNS1_3repE0EEENS1_30default_config_static_selectorELNS0_4arch9wavefront6targetE1EEEvT1_
	.p2align	8
	.type	_ZN7rocprim17ROCPRIM_400000_NS6detail17trampoline_kernelINS0_14default_configENS1_20scan_config_selectorIiEEZZNS1_9scan_implILNS1_25lookback_scan_determinismE0ELb1ELb1ES3_N6thrust23THRUST_200600_302600_NS10device_ptrIiEESB_iNS9_4plusIvEEiEEDaPvRmT3_T4_T5_mT6_P12ihipStream_tbENKUlT_T0_E_clISt17integral_constantIbLb1EESR_EEDaSM_SN_EUlSM_E_NS1_11comp_targetILNS1_3genE2ELNS1_11target_archE906ELNS1_3gpuE6ELNS1_3repE0EEENS1_30default_config_static_selectorELNS0_4arch9wavefront6targetE1EEEvT1_,@function
_ZN7rocprim17ROCPRIM_400000_NS6detail17trampoline_kernelINS0_14default_configENS1_20scan_config_selectorIiEEZZNS1_9scan_implILNS1_25lookback_scan_determinismE0ELb1ELb1ES3_N6thrust23THRUST_200600_302600_NS10device_ptrIiEESB_iNS9_4plusIvEEiEEDaPvRmT3_T4_T5_mT6_P12ihipStream_tbENKUlT_T0_E_clISt17integral_constantIbLb1EESR_EEDaSM_SN_EUlSM_E_NS1_11comp_targetILNS1_3genE2ELNS1_11target_archE906ELNS1_3gpuE6ELNS1_3repE0EEENS1_30default_config_static_selectorELNS0_4arch9wavefront6targetE1EEEvT1_: ; @_ZN7rocprim17ROCPRIM_400000_NS6detail17trampoline_kernelINS0_14default_configENS1_20scan_config_selectorIiEEZZNS1_9scan_implILNS1_25lookback_scan_determinismE0ELb1ELb1ES3_N6thrust23THRUST_200600_302600_NS10device_ptrIiEESB_iNS9_4plusIvEEiEEDaPvRmT3_T4_T5_mT6_P12ihipStream_tbENKUlT_T0_E_clISt17integral_constantIbLb1EESR_EEDaSM_SN_EUlSM_E_NS1_11comp_targetILNS1_3genE2ELNS1_11target_archE906ELNS1_3gpuE6ELNS1_3repE0EEENS1_30default_config_static_selectorELNS0_4arch9wavefront6targetE1EEEvT1_
; %bb.0:
	.section	.rodata,"a",@progbits
	.p2align	6, 0x0
	.amdhsa_kernel _ZN7rocprim17ROCPRIM_400000_NS6detail17trampoline_kernelINS0_14default_configENS1_20scan_config_selectorIiEEZZNS1_9scan_implILNS1_25lookback_scan_determinismE0ELb1ELb1ES3_N6thrust23THRUST_200600_302600_NS10device_ptrIiEESB_iNS9_4plusIvEEiEEDaPvRmT3_T4_T5_mT6_P12ihipStream_tbENKUlT_T0_E_clISt17integral_constantIbLb1EESR_EEDaSM_SN_EUlSM_E_NS1_11comp_targetILNS1_3genE2ELNS1_11target_archE906ELNS1_3gpuE6ELNS1_3repE0EEENS1_30default_config_static_selectorELNS0_4arch9wavefront6targetE1EEEvT1_
		.amdhsa_group_segment_fixed_size 0
		.amdhsa_private_segment_fixed_size 0
		.amdhsa_kernarg_size 96
		.amdhsa_user_sgpr_count 6
		.amdhsa_user_sgpr_private_segment_buffer 1
		.amdhsa_user_sgpr_dispatch_ptr 0
		.amdhsa_user_sgpr_queue_ptr 0
		.amdhsa_user_sgpr_kernarg_segment_ptr 1
		.amdhsa_user_sgpr_dispatch_id 0
		.amdhsa_user_sgpr_flat_scratch_init 0
		.amdhsa_user_sgpr_kernarg_preload_length 0
		.amdhsa_user_sgpr_kernarg_preload_offset 0
		.amdhsa_user_sgpr_private_segment_size 0
		.amdhsa_uses_dynamic_stack 0
		.amdhsa_system_sgpr_private_segment_wavefront_offset 0
		.amdhsa_system_sgpr_workgroup_id_x 1
		.amdhsa_system_sgpr_workgroup_id_y 0
		.amdhsa_system_sgpr_workgroup_id_z 0
		.amdhsa_system_sgpr_workgroup_info 0
		.amdhsa_system_vgpr_workitem_id 0
		.amdhsa_next_free_vgpr 1
		.amdhsa_next_free_sgpr 0
		.amdhsa_accum_offset 4
		.amdhsa_reserve_vcc 0
		.amdhsa_reserve_flat_scratch 0
		.amdhsa_float_round_mode_32 0
		.amdhsa_float_round_mode_16_64 0
		.amdhsa_float_denorm_mode_32 3
		.amdhsa_float_denorm_mode_16_64 3
		.amdhsa_dx10_clamp 1
		.amdhsa_ieee_mode 1
		.amdhsa_fp16_overflow 0
		.amdhsa_tg_split 0
		.amdhsa_exception_fp_ieee_invalid_op 0
		.amdhsa_exception_fp_denorm_src 0
		.amdhsa_exception_fp_ieee_div_zero 0
		.amdhsa_exception_fp_ieee_overflow 0
		.amdhsa_exception_fp_ieee_underflow 0
		.amdhsa_exception_fp_ieee_inexact 0
		.amdhsa_exception_int_div_zero 0
	.end_amdhsa_kernel
	.section	.text._ZN7rocprim17ROCPRIM_400000_NS6detail17trampoline_kernelINS0_14default_configENS1_20scan_config_selectorIiEEZZNS1_9scan_implILNS1_25lookback_scan_determinismE0ELb1ELb1ES3_N6thrust23THRUST_200600_302600_NS10device_ptrIiEESB_iNS9_4plusIvEEiEEDaPvRmT3_T4_T5_mT6_P12ihipStream_tbENKUlT_T0_E_clISt17integral_constantIbLb1EESR_EEDaSM_SN_EUlSM_E_NS1_11comp_targetILNS1_3genE2ELNS1_11target_archE906ELNS1_3gpuE6ELNS1_3repE0EEENS1_30default_config_static_selectorELNS0_4arch9wavefront6targetE1EEEvT1_,"axG",@progbits,_ZN7rocprim17ROCPRIM_400000_NS6detail17trampoline_kernelINS0_14default_configENS1_20scan_config_selectorIiEEZZNS1_9scan_implILNS1_25lookback_scan_determinismE0ELb1ELb1ES3_N6thrust23THRUST_200600_302600_NS10device_ptrIiEESB_iNS9_4plusIvEEiEEDaPvRmT3_T4_T5_mT6_P12ihipStream_tbENKUlT_T0_E_clISt17integral_constantIbLb1EESR_EEDaSM_SN_EUlSM_E_NS1_11comp_targetILNS1_3genE2ELNS1_11target_archE906ELNS1_3gpuE6ELNS1_3repE0EEENS1_30default_config_static_selectorELNS0_4arch9wavefront6targetE1EEEvT1_,comdat
.Lfunc_end6844:
	.size	_ZN7rocprim17ROCPRIM_400000_NS6detail17trampoline_kernelINS0_14default_configENS1_20scan_config_selectorIiEEZZNS1_9scan_implILNS1_25lookback_scan_determinismE0ELb1ELb1ES3_N6thrust23THRUST_200600_302600_NS10device_ptrIiEESB_iNS9_4plusIvEEiEEDaPvRmT3_T4_T5_mT6_P12ihipStream_tbENKUlT_T0_E_clISt17integral_constantIbLb1EESR_EEDaSM_SN_EUlSM_E_NS1_11comp_targetILNS1_3genE2ELNS1_11target_archE906ELNS1_3gpuE6ELNS1_3repE0EEENS1_30default_config_static_selectorELNS0_4arch9wavefront6targetE1EEEvT1_, .Lfunc_end6844-_ZN7rocprim17ROCPRIM_400000_NS6detail17trampoline_kernelINS0_14default_configENS1_20scan_config_selectorIiEEZZNS1_9scan_implILNS1_25lookback_scan_determinismE0ELb1ELb1ES3_N6thrust23THRUST_200600_302600_NS10device_ptrIiEESB_iNS9_4plusIvEEiEEDaPvRmT3_T4_T5_mT6_P12ihipStream_tbENKUlT_T0_E_clISt17integral_constantIbLb1EESR_EEDaSM_SN_EUlSM_E_NS1_11comp_targetILNS1_3genE2ELNS1_11target_archE906ELNS1_3gpuE6ELNS1_3repE0EEENS1_30default_config_static_selectorELNS0_4arch9wavefront6targetE1EEEvT1_
                                        ; -- End function
	.section	.AMDGPU.csdata,"",@progbits
; Kernel info:
; codeLenInByte = 0
; NumSgprs: 4
; NumVgprs: 0
; NumAgprs: 0
; TotalNumVgprs: 0
; ScratchSize: 0
; MemoryBound: 0
; FloatMode: 240
; IeeeMode: 1
; LDSByteSize: 0 bytes/workgroup (compile time only)
; SGPRBlocks: 0
; VGPRBlocks: 0
; NumSGPRsForWavesPerEU: 4
; NumVGPRsForWavesPerEU: 1
; AccumOffset: 4
; Occupancy: 8
; WaveLimiterHint : 0
; COMPUTE_PGM_RSRC2:SCRATCH_EN: 0
; COMPUTE_PGM_RSRC2:USER_SGPR: 6
; COMPUTE_PGM_RSRC2:TRAP_HANDLER: 0
; COMPUTE_PGM_RSRC2:TGID_X_EN: 1
; COMPUTE_PGM_RSRC2:TGID_Y_EN: 0
; COMPUTE_PGM_RSRC2:TGID_Z_EN: 0
; COMPUTE_PGM_RSRC2:TIDIG_COMP_CNT: 0
; COMPUTE_PGM_RSRC3_GFX90A:ACCUM_OFFSET: 0
; COMPUTE_PGM_RSRC3_GFX90A:TG_SPLIT: 0
	.section	.text._ZN7rocprim17ROCPRIM_400000_NS6detail17trampoline_kernelINS0_14default_configENS1_20scan_config_selectorIiEEZZNS1_9scan_implILNS1_25lookback_scan_determinismE0ELb1ELb1ES3_N6thrust23THRUST_200600_302600_NS10device_ptrIiEESB_iNS9_4plusIvEEiEEDaPvRmT3_T4_T5_mT6_P12ihipStream_tbENKUlT_T0_E_clISt17integral_constantIbLb1EESR_EEDaSM_SN_EUlSM_E_NS1_11comp_targetILNS1_3genE10ELNS1_11target_archE1201ELNS1_3gpuE5ELNS1_3repE0EEENS1_30default_config_static_selectorELNS0_4arch9wavefront6targetE1EEEvT1_,"axG",@progbits,_ZN7rocprim17ROCPRIM_400000_NS6detail17trampoline_kernelINS0_14default_configENS1_20scan_config_selectorIiEEZZNS1_9scan_implILNS1_25lookback_scan_determinismE0ELb1ELb1ES3_N6thrust23THRUST_200600_302600_NS10device_ptrIiEESB_iNS9_4plusIvEEiEEDaPvRmT3_T4_T5_mT6_P12ihipStream_tbENKUlT_T0_E_clISt17integral_constantIbLb1EESR_EEDaSM_SN_EUlSM_E_NS1_11comp_targetILNS1_3genE10ELNS1_11target_archE1201ELNS1_3gpuE5ELNS1_3repE0EEENS1_30default_config_static_selectorELNS0_4arch9wavefront6targetE1EEEvT1_,comdat
	.protected	_ZN7rocprim17ROCPRIM_400000_NS6detail17trampoline_kernelINS0_14default_configENS1_20scan_config_selectorIiEEZZNS1_9scan_implILNS1_25lookback_scan_determinismE0ELb1ELb1ES3_N6thrust23THRUST_200600_302600_NS10device_ptrIiEESB_iNS9_4plusIvEEiEEDaPvRmT3_T4_T5_mT6_P12ihipStream_tbENKUlT_T0_E_clISt17integral_constantIbLb1EESR_EEDaSM_SN_EUlSM_E_NS1_11comp_targetILNS1_3genE10ELNS1_11target_archE1201ELNS1_3gpuE5ELNS1_3repE0EEENS1_30default_config_static_selectorELNS0_4arch9wavefront6targetE1EEEvT1_ ; -- Begin function _ZN7rocprim17ROCPRIM_400000_NS6detail17trampoline_kernelINS0_14default_configENS1_20scan_config_selectorIiEEZZNS1_9scan_implILNS1_25lookback_scan_determinismE0ELb1ELb1ES3_N6thrust23THRUST_200600_302600_NS10device_ptrIiEESB_iNS9_4plusIvEEiEEDaPvRmT3_T4_T5_mT6_P12ihipStream_tbENKUlT_T0_E_clISt17integral_constantIbLb1EESR_EEDaSM_SN_EUlSM_E_NS1_11comp_targetILNS1_3genE10ELNS1_11target_archE1201ELNS1_3gpuE5ELNS1_3repE0EEENS1_30default_config_static_selectorELNS0_4arch9wavefront6targetE1EEEvT1_
	.globl	_ZN7rocprim17ROCPRIM_400000_NS6detail17trampoline_kernelINS0_14default_configENS1_20scan_config_selectorIiEEZZNS1_9scan_implILNS1_25lookback_scan_determinismE0ELb1ELb1ES3_N6thrust23THRUST_200600_302600_NS10device_ptrIiEESB_iNS9_4plusIvEEiEEDaPvRmT3_T4_T5_mT6_P12ihipStream_tbENKUlT_T0_E_clISt17integral_constantIbLb1EESR_EEDaSM_SN_EUlSM_E_NS1_11comp_targetILNS1_3genE10ELNS1_11target_archE1201ELNS1_3gpuE5ELNS1_3repE0EEENS1_30default_config_static_selectorELNS0_4arch9wavefront6targetE1EEEvT1_
	.p2align	8
	.type	_ZN7rocprim17ROCPRIM_400000_NS6detail17trampoline_kernelINS0_14default_configENS1_20scan_config_selectorIiEEZZNS1_9scan_implILNS1_25lookback_scan_determinismE0ELb1ELb1ES3_N6thrust23THRUST_200600_302600_NS10device_ptrIiEESB_iNS9_4plusIvEEiEEDaPvRmT3_T4_T5_mT6_P12ihipStream_tbENKUlT_T0_E_clISt17integral_constantIbLb1EESR_EEDaSM_SN_EUlSM_E_NS1_11comp_targetILNS1_3genE10ELNS1_11target_archE1201ELNS1_3gpuE5ELNS1_3repE0EEENS1_30default_config_static_selectorELNS0_4arch9wavefront6targetE1EEEvT1_,@function
_ZN7rocprim17ROCPRIM_400000_NS6detail17trampoline_kernelINS0_14default_configENS1_20scan_config_selectorIiEEZZNS1_9scan_implILNS1_25lookback_scan_determinismE0ELb1ELb1ES3_N6thrust23THRUST_200600_302600_NS10device_ptrIiEESB_iNS9_4plusIvEEiEEDaPvRmT3_T4_T5_mT6_P12ihipStream_tbENKUlT_T0_E_clISt17integral_constantIbLb1EESR_EEDaSM_SN_EUlSM_E_NS1_11comp_targetILNS1_3genE10ELNS1_11target_archE1201ELNS1_3gpuE5ELNS1_3repE0EEENS1_30default_config_static_selectorELNS0_4arch9wavefront6targetE1EEEvT1_: ; @_ZN7rocprim17ROCPRIM_400000_NS6detail17trampoline_kernelINS0_14default_configENS1_20scan_config_selectorIiEEZZNS1_9scan_implILNS1_25lookback_scan_determinismE0ELb1ELb1ES3_N6thrust23THRUST_200600_302600_NS10device_ptrIiEESB_iNS9_4plusIvEEiEEDaPvRmT3_T4_T5_mT6_P12ihipStream_tbENKUlT_T0_E_clISt17integral_constantIbLb1EESR_EEDaSM_SN_EUlSM_E_NS1_11comp_targetILNS1_3genE10ELNS1_11target_archE1201ELNS1_3gpuE5ELNS1_3repE0EEENS1_30default_config_static_selectorELNS0_4arch9wavefront6targetE1EEEvT1_
; %bb.0:
	.section	.rodata,"a",@progbits
	.p2align	6, 0x0
	.amdhsa_kernel _ZN7rocprim17ROCPRIM_400000_NS6detail17trampoline_kernelINS0_14default_configENS1_20scan_config_selectorIiEEZZNS1_9scan_implILNS1_25lookback_scan_determinismE0ELb1ELb1ES3_N6thrust23THRUST_200600_302600_NS10device_ptrIiEESB_iNS9_4plusIvEEiEEDaPvRmT3_T4_T5_mT6_P12ihipStream_tbENKUlT_T0_E_clISt17integral_constantIbLb1EESR_EEDaSM_SN_EUlSM_E_NS1_11comp_targetILNS1_3genE10ELNS1_11target_archE1201ELNS1_3gpuE5ELNS1_3repE0EEENS1_30default_config_static_selectorELNS0_4arch9wavefront6targetE1EEEvT1_
		.amdhsa_group_segment_fixed_size 0
		.amdhsa_private_segment_fixed_size 0
		.amdhsa_kernarg_size 96
		.amdhsa_user_sgpr_count 6
		.amdhsa_user_sgpr_private_segment_buffer 1
		.amdhsa_user_sgpr_dispatch_ptr 0
		.amdhsa_user_sgpr_queue_ptr 0
		.amdhsa_user_sgpr_kernarg_segment_ptr 1
		.amdhsa_user_sgpr_dispatch_id 0
		.amdhsa_user_sgpr_flat_scratch_init 0
		.amdhsa_user_sgpr_kernarg_preload_length 0
		.amdhsa_user_sgpr_kernarg_preload_offset 0
		.amdhsa_user_sgpr_private_segment_size 0
		.amdhsa_uses_dynamic_stack 0
		.amdhsa_system_sgpr_private_segment_wavefront_offset 0
		.amdhsa_system_sgpr_workgroup_id_x 1
		.amdhsa_system_sgpr_workgroup_id_y 0
		.amdhsa_system_sgpr_workgroup_id_z 0
		.amdhsa_system_sgpr_workgroup_info 0
		.amdhsa_system_vgpr_workitem_id 0
		.amdhsa_next_free_vgpr 1
		.amdhsa_next_free_sgpr 0
		.amdhsa_accum_offset 4
		.amdhsa_reserve_vcc 0
		.amdhsa_reserve_flat_scratch 0
		.amdhsa_float_round_mode_32 0
		.amdhsa_float_round_mode_16_64 0
		.amdhsa_float_denorm_mode_32 3
		.amdhsa_float_denorm_mode_16_64 3
		.amdhsa_dx10_clamp 1
		.amdhsa_ieee_mode 1
		.amdhsa_fp16_overflow 0
		.amdhsa_tg_split 0
		.amdhsa_exception_fp_ieee_invalid_op 0
		.amdhsa_exception_fp_denorm_src 0
		.amdhsa_exception_fp_ieee_div_zero 0
		.amdhsa_exception_fp_ieee_overflow 0
		.amdhsa_exception_fp_ieee_underflow 0
		.amdhsa_exception_fp_ieee_inexact 0
		.amdhsa_exception_int_div_zero 0
	.end_amdhsa_kernel
	.section	.text._ZN7rocprim17ROCPRIM_400000_NS6detail17trampoline_kernelINS0_14default_configENS1_20scan_config_selectorIiEEZZNS1_9scan_implILNS1_25lookback_scan_determinismE0ELb1ELb1ES3_N6thrust23THRUST_200600_302600_NS10device_ptrIiEESB_iNS9_4plusIvEEiEEDaPvRmT3_T4_T5_mT6_P12ihipStream_tbENKUlT_T0_E_clISt17integral_constantIbLb1EESR_EEDaSM_SN_EUlSM_E_NS1_11comp_targetILNS1_3genE10ELNS1_11target_archE1201ELNS1_3gpuE5ELNS1_3repE0EEENS1_30default_config_static_selectorELNS0_4arch9wavefront6targetE1EEEvT1_,"axG",@progbits,_ZN7rocprim17ROCPRIM_400000_NS6detail17trampoline_kernelINS0_14default_configENS1_20scan_config_selectorIiEEZZNS1_9scan_implILNS1_25lookback_scan_determinismE0ELb1ELb1ES3_N6thrust23THRUST_200600_302600_NS10device_ptrIiEESB_iNS9_4plusIvEEiEEDaPvRmT3_T4_T5_mT6_P12ihipStream_tbENKUlT_T0_E_clISt17integral_constantIbLb1EESR_EEDaSM_SN_EUlSM_E_NS1_11comp_targetILNS1_3genE10ELNS1_11target_archE1201ELNS1_3gpuE5ELNS1_3repE0EEENS1_30default_config_static_selectorELNS0_4arch9wavefront6targetE1EEEvT1_,comdat
.Lfunc_end6845:
	.size	_ZN7rocprim17ROCPRIM_400000_NS6detail17trampoline_kernelINS0_14default_configENS1_20scan_config_selectorIiEEZZNS1_9scan_implILNS1_25lookback_scan_determinismE0ELb1ELb1ES3_N6thrust23THRUST_200600_302600_NS10device_ptrIiEESB_iNS9_4plusIvEEiEEDaPvRmT3_T4_T5_mT6_P12ihipStream_tbENKUlT_T0_E_clISt17integral_constantIbLb1EESR_EEDaSM_SN_EUlSM_E_NS1_11comp_targetILNS1_3genE10ELNS1_11target_archE1201ELNS1_3gpuE5ELNS1_3repE0EEENS1_30default_config_static_selectorELNS0_4arch9wavefront6targetE1EEEvT1_, .Lfunc_end6845-_ZN7rocprim17ROCPRIM_400000_NS6detail17trampoline_kernelINS0_14default_configENS1_20scan_config_selectorIiEEZZNS1_9scan_implILNS1_25lookback_scan_determinismE0ELb1ELb1ES3_N6thrust23THRUST_200600_302600_NS10device_ptrIiEESB_iNS9_4plusIvEEiEEDaPvRmT3_T4_T5_mT6_P12ihipStream_tbENKUlT_T0_E_clISt17integral_constantIbLb1EESR_EEDaSM_SN_EUlSM_E_NS1_11comp_targetILNS1_3genE10ELNS1_11target_archE1201ELNS1_3gpuE5ELNS1_3repE0EEENS1_30default_config_static_selectorELNS0_4arch9wavefront6targetE1EEEvT1_
                                        ; -- End function
	.section	.AMDGPU.csdata,"",@progbits
; Kernel info:
; codeLenInByte = 0
; NumSgprs: 4
; NumVgprs: 0
; NumAgprs: 0
; TotalNumVgprs: 0
; ScratchSize: 0
; MemoryBound: 0
; FloatMode: 240
; IeeeMode: 1
; LDSByteSize: 0 bytes/workgroup (compile time only)
; SGPRBlocks: 0
; VGPRBlocks: 0
; NumSGPRsForWavesPerEU: 4
; NumVGPRsForWavesPerEU: 1
; AccumOffset: 4
; Occupancy: 8
; WaveLimiterHint : 0
; COMPUTE_PGM_RSRC2:SCRATCH_EN: 0
; COMPUTE_PGM_RSRC2:USER_SGPR: 6
; COMPUTE_PGM_RSRC2:TRAP_HANDLER: 0
; COMPUTE_PGM_RSRC2:TGID_X_EN: 1
; COMPUTE_PGM_RSRC2:TGID_Y_EN: 0
; COMPUTE_PGM_RSRC2:TGID_Z_EN: 0
; COMPUTE_PGM_RSRC2:TIDIG_COMP_CNT: 0
; COMPUTE_PGM_RSRC3_GFX90A:ACCUM_OFFSET: 0
; COMPUTE_PGM_RSRC3_GFX90A:TG_SPLIT: 0
	.section	.text._ZN7rocprim17ROCPRIM_400000_NS6detail17trampoline_kernelINS0_14default_configENS1_20scan_config_selectorIiEEZZNS1_9scan_implILNS1_25lookback_scan_determinismE0ELb1ELb1ES3_N6thrust23THRUST_200600_302600_NS10device_ptrIiEESB_iNS9_4plusIvEEiEEDaPvRmT3_T4_T5_mT6_P12ihipStream_tbENKUlT_T0_E_clISt17integral_constantIbLb1EESR_EEDaSM_SN_EUlSM_E_NS1_11comp_targetILNS1_3genE10ELNS1_11target_archE1200ELNS1_3gpuE4ELNS1_3repE0EEENS1_30default_config_static_selectorELNS0_4arch9wavefront6targetE1EEEvT1_,"axG",@progbits,_ZN7rocprim17ROCPRIM_400000_NS6detail17trampoline_kernelINS0_14default_configENS1_20scan_config_selectorIiEEZZNS1_9scan_implILNS1_25lookback_scan_determinismE0ELb1ELb1ES3_N6thrust23THRUST_200600_302600_NS10device_ptrIiEESB_iNS9_4plusIvEEiEEDaPvRmT3_T4_T5_mT6_P12ihipStream_tbENKUlT_T0_E_clISt17integral_constantIbLb1EESR_EEDaSM_SN_EUlSM_E_NS1_11comp_targetILNS1_3genE10ELNS1_11target_archE1200ELNS1_3gpuE4ELNS1_3repE0EEENS1_30default_config_static_selectorELNS0_4arch9wavefront6targetE1EEEvT1_,comdat
	.protected	_ZN7rocprim17ROCPRIM_400000_NS6detail17trampoline_kernelINS0_14default_configENS1_20scan_config_selectorIiEEZZNS1_9scan_implILNS1_25lookback_scan_determinismE0ELb1ELb1ES3_N6thrust23THRUST_200600_302600_NS10device_ptrIiEESB_iNS9_4plusIvEEiEEDaPvRmT3_T4_T5_mT6_P12ihipStream_tbENKUlT_T0_E_clISt17integral_constantIbLb1EESR_EEDaSM_SN_EUlSM_E_NS1_11comp_targetILNS1_3genE10ELNS1_11target_archE1200ELNS1_3gpuE4ELNS1_3repE0EEENS1_30default_config_static_selectorELNS0_4arch9wavefront6targetE1EEEvT1_ ; -- Begin function _ZN7rocprim17ROCPRIM_400000_NS6detail17trampoline_kernelINS0_14default_configENS1_20scan_config_selectorIiEEZZNS1_9scan_implILNS1_25lookback_scan_determinismE0ELb1ELb1ES3_N6thrust23THRUST_200600_302600_NS10device_ptrIiEESB_iNS9_4plusIvEEiEEDaPvRmT3_T4_T5_mT6_P12ihipStream_tbENKUlT_T0_E_clISt17integral_constantIbLb1EESR_EEDaSM_SN_EUlSM_E_NS1_11comp_targetILNS1_3genE10ELNS1_11target_archE1200ELNS1_3gpuE4ELNS1_3repE0EEENS1_30default_config_static_selectorELNS0_4arch9wavefront6targetE1EEEvT1_
	.globl	_ZN7rocprim17ROCPRIM_400000_NS6detail17trampoline_kernelINS0_14default_configENS1_20scan_config_selectorIiEEZZNS1_9scan_implILNS1_25lookback_scan_determinismE0ELb1ELb1ES3_N6thrust23THRUST_200600_302600_NS10device_ptrIiEESB_iNS9_4plusIvEEiEEDaPvRmT3_T4_T5_mT6_P12ihipStream_tbENKUlT_T0_E_clISt17integral_constantIbLb1EESR_EEDaSM_SN_EUlSM_E_NS1_11comp_targetILNS1_3genE10ELNS1_11target_archE1200ELNS1_3gpuE4ELNS1_3repE0EEENS1_30default_config_static_selectorELNS0_4arch9wavefront6targetE1EEEvT1_
	.p2align	8
	.type	_ZN7rocprim17ROCPRIM_400000_NS6detail17trampoline_kernelINS0_14default_configENS1_20scan_config_selectorIiEEZZNS1_9scan_implILNS1_25lookback_scan_determinismE0ELb1ELb1ES3_N6thrust23THRUST_200600_302600_NS10device_ptrIiEESB_iNS9_4plusIvEEiEEDaPvRmT3_T4_T5_mT6_P12ihipStream_tbENKUlT_T0_E_clISt17integral_constantIbLb1EESR_EEDaSM_SN_EUlSM_E_NS1_11comp_targetILNS1_3genE10ELNS1_11target_archE1200ELNS1_3gpuE4ELNS1_3repE0EEENS1_30default_config_static_selectorELNS0_4arch9wavefront6targetE1EEEvT1_,@function
_ZN7rocprim17ROCPRIM_400000_NS6detail17trampoline_kernelINS0_14default_configENS1_20scan_config_selectorIiEEZZNS1_9scan_implILNS1_25lookback_scan_determinismE0ELb1ELb1ES3_N6thrust23THRUST_200600_302600_NS10device_ptrIiEESB_iNS9_4plusIvEEiEEDaPvRmT3_T4_T5_mT6_P12ihipStream_tbENKUlT_T0_E_clISt17integral_constantIbLb1EESR_EEDaSM_SN_EUlSM_E_NS1_11comp_targetILNS1_3genE10ELNS1_11target_archE1200ELNS1_3gpuE4ELNS1_3repE0EEENS1_30default_config_static_selectorELNS0_4arch9wavefront6targetE1EEEvT1_: ; @_ZN7rocprim17ROCPRIM_400000_NS6detail17trampoline_kernelINS0_14default_configENS1_20scan_config_selectorIiEEZZNS1_9scan_implILNS1_25lookback_scan_determinismE0ELb1ELb1ES3_N6thrust23THRUST_200600_302600_NS10device_ptrIiEESB_iNS9_4plusIvEEiEEDaPvRmT3_T4_T5_mT6_P12ihipStream_tbENKUlT_T0_E_clISt17integral_constantIbLb1EESR_EEDaSM_SN_EUlSM_E_NS1_11comp_targetILNS1_3genE10ELNS1_11target_archE1200ELNS1_3gpuE4ELNS1_3repE0EEENS1_30default_config_static_selectorELNS0_4arch9wavefront6targetE1EEEvT1_
; %bb.0:
	.section	.rodata,"a",@progbits
	.p2align	6, 0x0
	.amdhsa_kernel _ZN7rocprim17ROCPRIM_400000_NS6detail17trampoline_kernelINS0_14default_configENS1_20scan_config_selectorIiEEZZNS1_9scan_implILNS1_25lookback_scan_determinismE0ELb1ELb1ES3_N6thrust23THRUST_200600_302600_NS10device_ptrIiEESB_iNS9_4plusIvEEiEEDaPvRmT3_T4_T5_mT6_P12ihipStream_tbENKUlT_T0_E_clISt17integral_constantIbLb1EESR_EEDaSM_SN_EUlSM_E_NS1_11comp_targetILNS1_3genE10ELNS1_11target_archE1200ELNS1_3gpuE4ELNS1_3repE0EEENS1_30default_config_static_selectorELNS0_4arch9wavefront6targetE1EEEvT1_
		.amdhsa_group_segment_fixed_size 0
		.amdhsa_private_segment_fixed_size 0
		.amdhsa_kernarg_size 96
		.amdhsa_user_sgpr_count 6
		.amdhsa_user_sgpr_private_segment_buffer 1
		.amdhsa_user_sgpr_dispatch_ptr 0
		.amdhsa_user_sgpr_queue_ptr 0
		.amdhsa_user_sgpr_kernarg_segment_ptr 1
		.amdhsa_user_sgpr_dispatch_id 0
		.amdhsa_user_sgpr_flat_scratch_init 0
		.amdhsa_user_sgpr_kernarg_preload_length 0
		.amdhsa_user_sgpr_kernarg_preload_offset 0
		.amdhsa_user_sgpr_private_segment_size 0
		.amdhsa_uses_dynamic_stack 0
		.amdhsa_system_sgpr_private_segment_wavefront_offset 0
		.amdhsa_system_sgpr_workgroup_id_x 1
		.amdhsa_system_sgpr_workgroup_id_y 0
		.amdhsa_system_sgpr_workgroup_id_z 0
		.amdhsa_system_sgpr_workgroup_info 0
		.amdhsa_system_vgpr_workitem_id 0
		.amdhsa_next_free_vgpr 1
		.amdhsa_next_free_sgpr 0
		.amdhsa_accum_offset 4
		.amdhsa_reserve_vcc 0
		.amdhsa_reserve_flat_scratch 0
		.amdhsa_float_round_mode_32 0
		.amdhsa_float_round_mode_16_64 0
		.amdhsa_float_denorm_mode_32 3
		.amdhsa_float_denorm_mode_16_64 3
		.amdhsa_dx10_clamp 1
		.amdhsa_ieee_mode 1
		.amdhsa_fp16_overflow 0
		.amdhsa_tg_split 0
		.amdhsa_exception_fp_ieee_invalid_op 0
		.amdhsa_exception_fp_denorm_src 0
		.amdhsa_exception_fp_ieee_div_zero 0
		.amdhsa_exception_fp_ieee_overflow 0
		.amdhsa_exception_fp_ieee_underflow 0
		.amdhsa_exception_fp_ieee_inexact 0
		.amdhsa_exception_int_div_zero 0
	.end_amdhsa_kernel
	.section	.text._ZN7rocprim17ROCPRIM_400000_NS6detail17trampoline_kernelINS0_14default_configENS1_20scan_config_selectorIiEEZZNS1_9scan_implILNS1_25lookback_scan_determinismE0ELb1ELb1ES3_N6thrust23THRUST_200600_302600_NS10device_ptrIiEESB_iNS9_4plusIvEEiEEDaPvRmT3_T4_T5_mT6_P12ihipStream_tbENKUlT_T0_E_clISt17integral_constantIbLb1EESR_EEDaSM_SN_EUlSM_E_NS1_11comp_targetILNS1_3genE10ELNS1_11target_archE1200ELNS1_3gpuE4ELNS1_3repE0EEENS1_30default_config_static_selectorELNS0_4arch9wavefront6targetE1EEEvT1_,"axG",@progbits,_ZN7rocprim17ROCPRIM_400000_NS6detail17trampoline_kernelINS0_14default_configENS1_20scan_config_selectorIiEEZZNS1_9scan_implILNS1_25lookback_scan_determinismE0ELb1ELb1ES3_N6thrust23THRUST_200600_302600_NS10device_ptrIiEESB_iNS9_4plusIvEEiEEDaPvRmT3_T4_T5_mT6_P12ihipStream_tbENKUlT_T0_E_clISt17integral_constantIbLb1EESR_EEDaSM_SN_EUlSM_E_NS1_11comp_targetILNS1_3genE10ELNS1_11target_archE1200ELNS1_3gpuE4ELNS1_3repE0EEENS1_30default_config_static_selectorELNS0_4arch9wavefront6targetE1EEEvT1_,comdat
.Lfunc_end6846:
	.size	_ZN7rocprim17ROCPRIM_400000_NS6detail17trampoline_kernelINS0_14default_configENS1_20scan_config_selectorIiEEZZNS1_9scan_implILNS1_25lookback_scan_determinismE0ELb1ELb1ES3_N6thrust23THRUST_200600_302600_NS10device_ptrIiEESB_iNS9_4plusIvEEiEEDaPvRmT3_T4_T5_mT6_P12ihipStream_tbENKUlT_T0_E_clISt17integral_constantIbLb1EESR_EEDaSM_SN_EUlSM_E_NS1_11comp_targetILNS1_3genE10ELNS1_11target_archE1200ELNS1_3gpuE4ELNS1_3repE0EEENS1_30default_config_static_selectorELNS0_4arch9wavefront6targetE1EEEvT1_, .Lfunc_end6846-_ZN7rocprim17ROCPRIM_400000_NS6detail17trampoline_kernelINS0_14default_configENS1_20scan_config_selectorIiEEZZNS1_9scan_implILNS1_25lookback_scan_determinismE0ELb1ELb1ES3_N6thrust23THRUST_200600_302600_NS10device_ptrIiEESB_iNS9_4plusIvEEiEEDaPvRmT3_T4_T5_mT6_P12ihipStream_tbENKUlT_T0_E_clISt17integral_constantIbLb1EESR_EEDaSM_SN_EUlSM_E_NS1_11comp_targetILNS1_3genE10ELNS1_11target_archE1200ELNS1_3gpuE4ELNS1_3repE0EEENS1_30default_config_static_selectorELNS0_4arch9wavefront6targetE1EEEvT1_
                                        ; -- End function
	.section	.AMDGPU.csdata,"",@progbits
; Kernel info:
; codeLenInByte = 0
; NumSgprs: 4
; NumVgprs: 0
; NumAgprs: 0
; TotalNumVgprs: 0
; ScratchSize: 0
; MemoryBound: 0
; FloatMode: 240
; IeeeMode: 1
; LDSByteSize: 0 bytes/workgroup (compile time only)
; SGPRBlocks: 0
; VGPRBlocks: 0
; NumSGPRsForWavesPerEU: 4
; NumVGPRsForWavesPerEU: 1
; AccumOffset: 4
; Occupancy: 8
; WaveLimiterHint : 0
; COMPUTE_PGM_RSRC2:SCRATCH_EN: 0
; COMPUTE_PGM_RSRC2:USER_SGPR: 6
; COMPUTE_PGM_RSRC2:TRAP_HANDLER: 0
; COMPUTE_PGM_RSRC2:TGID_X_EN: 1
; COMPUTE_PGM_RSRC2:TGID_Y_EN: 0
; COMPUTE_PGM_RSRC2:TGID_Z_EN: 0
; COMPUTE_PGM_RSRC2:TIDIG_COMP_CNT: 0
; COMPUTE_PGM_RSRC3_GFX90A:ACCUM_OFFSET: 0
; COMPUTE_PGM_RSRC3_GFX90A:TG_SPLIT: 0
	.section	.text._ZN7rocprim17ROCPRIM_400000_NS6detail17trampoline_kernelINS0_14default_configENS1_20scan_config_selectorIiEEZZNS1_9scan_implILNS1_25lookback_scan_determinismE0ELb1ELb1ES3_N6thrust23THRUST_200600_302600_NS10device_ptrIiEESB_iNS9_4plusIvEEiEEDaPvRmT3_T4_T5_mT6_P12ihipStream_tbENKUlT_T0_E_clISt17integral_constantIbLb1EESR_EEDaSM_SN_EUlSM_E_NS1_11comp_targetILNS1_3genE9ELNS1_11target_archE1100ELNS1_3gpuE3ELNS1_3repE0EEENS1_30default_config_static_selectorELNS0_4arch9wavefront6targetE1EEEvT1_,"axG",@progbits,_ZN7rocprim17ROCPRIM_400000_NS6detail17trampoline_kernelINS0_14default_configENS1_20scan_config_selectorIiEEZZNS1_9scan_implILNS1_25lookback_scan_determinismE0ELb1ELb1ES3_N6thrust23THRUST_200600_302600_NS10device_ptrIiEESB_iNS9_4plusIvEEiEEDaPvRmT3_T4_T5_mT6_P12ihipStream_tbENKUlT_T0_E_clISt17integral_constantIbLb1EESR_EEDaSM_SN_EUlSM_E_NS1_11comp_targetILNS1_3genE9ELNS1_11target_archE1100ELNS1_3gpuE3ELNS1_3repE0EEENS1_30default_config_static_selectorELNS0_4arch9wavefront6targetE1EEEvT1_,comdat
	.protected	_ZN7rocprim17ROCPRIM_400000_NS6detail17trampoline_kernelINS0_14default_configENS1_20scan_config_selectorIiEEZZNS1_9scan_implILNS1_25lookback_scan_determinismE0ELb1ELb1ES3_N6thrust23THRUST_200600_302600_NS10device_ptrIiEESB_iNS9_4plusIvEEiEEDaPvRmT3_T4_T5_mT6_P12ihipStream_tbENKUlT_T0_E_clISt17integral_constantIbLb1EESR_EEDaSM_SN_EUlSM_E_NS1_11comp_targetILNS1_3genE9ELNS1_11target_archE1100ELNS1_3gpuE3ELNS1_3repE0EEENS1_30default_config_static_selectorELNS0_4arch9wavefront6targetE1EEEvT1_ ; -- Begin function _ZN7rocprim17ROCPRIM_400000_NS6detail17trampoline_kernelINS0_14default_configENS1_20scan_config_selectorIiEEZZNS1_9scan_implILNS1_25lookback_scan_determinismE0ELb1ELb1ES3_N6thrust23THRUST_200600_302600_NS10device_ptrIiEESB_iNS9_4plusIvEEiEEDaPvRmT3_T4_T5_mT6_P12ihipStream_tbENKUlT_T0_E_clISt17integral_constantIbLb1EESR_EEDaSM_SN_EUlSM_E_NS1_11comp_targetILNS1_3genE9ELNS1_11target_archE1100ELNS1_3gpuE3ELNS1_3repE0EEENS1_30default_config_static_selectorELNS0_4arch9wavefront6targetE1EEEvT1_
	.globl	_ZN7rocprim17ROCPRIM_400000_NS6detail17trampoline_kernelINS0_14default_configENS1_20scan_config_selectorIiEEZZNS1_9scan_implILNS1_25lookback_scan_determinismE0ELb1ELb1ES3_N6thrust23THRUST_200600_302600_NS10device_ptrIiEESB_iNS9_4plusIvEEiEEDaPvRmT3_T4_T5_mT6_P12ihipStream_tbENKUlT_T0_E_clISt17integral_constantIbLb1EESR_EEDaSM_SN_EUlSM_E_NS1_11comp_targetILNS1_3genE9ELNS1_11target_archE1100ELNS1_3gpuE3ELNS1_3repE0EEENS1_30default_config_static_selectorELNS0_4arch9wavefront6targetE1EEEvT1_
	.p2align	8
	.type	_ZN7rocprim17ROCPRIM_400000_NS6detail17trampoline_kernelINS0_14default_configENS1_20scan_config_selectorIiEEZZNS1_9scan_implILNS1_25lookback_scan_determinismE0ELb1ELb1ES3_N6thrust23THRUST_200600_302600_NS10device_ptrIiEESB_iNS9_4plusIvEEiEEDaPvRmT3_T4_T5_mT6_P12ihipStream_tbENKUlT_T0_E_clISt17integral_constantIbLb1EESR_EEDaSM_SN_EUlSM_E_NS1_11comp_targetILNS1_3genE9ELNS1_11target_archE1100ELNS1_3gpuE3ELNS1_3repE0EEENS1_30default_config_static_selectorELNS0_4arch9wavefront6targetE1EEEvT1_,@function
_ZN7rocprim17ROCPRIM_400000_NS6detail17trampoline_kernelINS0_14default_configENS1_20scan_config_selectorIiEEZZNS1_9scan_implILNS1_25lookback_scan_determinismE0ELb1ELb1ES3_N6thrust23THRUST_200600_302600_NS10device_ptrIiEESB_iNS9_4plusIvEEiEEDaPvRmT3_T4_T5_mT6_P12ihipStream_tbENKUlT_T0_E_clISt17integral_constantIbLb1EESR_EEDaSM_SN_EUlSM_E_NS1_11comp_targetILNS1_3genE9ELNS1_11target_archE1100ELNS1_3gpuE3ELNS1_3repE0EEENS1_30default_config_static_selectorELNS0_4arch9wavefront6targetE1EEEvT1_: ; @_ZN7rocprim17ROCPRIM_400000_NS6detail17trampoline_kernelINS0_14default_configENS1_20scan_config_selectorIiEEZZNS1_9scan_implILNS1_25lookback_scan_determinismE0ELb1ELb1ES3_N6thrust23THRUST_200600_302600_NS10device_ptrIiEESB_iNS9_4plusIvEEiEEDaPvRmT3_T4_T5_mT6_P12ihipStream_tbENKUlT_T0_E_clISt17integral_constantIbLb1EESR_EEDaSM_SN_EUlSM_E_NS1_11comp_targetILNS1_3genE9ELNS1_11target_archE1100ELNS1_3gpuE3ELNS1_3repE0EEENS1_30default_config_static_selectorELNS0_4arch9wavefront6targetE1EEEvT1_
; %bb.0:
	.section	.rodata,"a",@progbits
	.p2align	6, 0x0
	.amdhsa_kernel _ZN7rocprim17ROCPRIM_400000_NS6detail17trampoline_kernelINS0_14default_configENS1_20scan_config_selectorIiEEZZNS1_9scan_implILNS1_25lookback_scan_determinismE0ELb1ELb1ES3_N6thrust23THRUST_200600_302600_NS10device_ptrIiEESB_iNS9_4plusIvEEiEEDaPvRmT3_T4_T5_mT6_P12ihipStream_tbENKUlT_T0_E_clISt17integral_constantIbLb1EESR_EEDaSM_SN_EUlSM_E_NS1_11comp_targetILNS1_3genE9ELNS1_11target_archE1100ELNS1_3gpuE3ELNS1_3repE0EEENS1_30default_config_static_selectorELNS0_4arch9wavefront6targetE1EEEvT1_
		.amdhsa_group_segment_fixed_size 0
		.amdhsa_private_segment_fixed_size 0
		.amdhsa_kernarg_size 96
		.amdhsa_user_sgpr_count 6
		.amdhsa_user_sgpr_private_segment_buffer 1
		.amdhsa_user_sgpr_dispatch_ptr 0
		.amdhsa_user_sgpr_queue_ptr 0
		.amdhsa_user_sgpr_kernarg_segment_ptr 1
		.amdhsa_user_sgpr_dispatch_id 0
		.amdhsa_user_sgpr_flat_scratch_init 0
		.amdhsa_user_sgpr_kernarg_preload_length 0
		.amdhsa_user_sgpr_kernarg_preload_offset 0
		.amdhsa_user_sgpr_private_segment_size 0
		.amdhsa_uses_dynamic_stack 0
		.amdhsa_system_sgpr_private_segment_wavefront_offset 0
		.amdhsa_system_sgpr_workgroup_id_x 1
		.amdhsa_system_sgpr_workgroup_id_y 0
		.amdhsa_system_sgpr_workgroup_id_z 0
		.amdhsa_system_sgpr_workgroup_info 0
		.amdhsa_system_vgpr_workitem_id 0
		.amdhsa_next_free_vgpr 1
		.amdhsa_next_free_sgpr 0
		.amdhsa_accum_offset 4
		.amdhsa_reserve_vcc 0
		.amdhsa_reserve_flat_scratch 0
		.amdhsa_float_round_mode_32 0
		.amdhsa_float_round_mode_16_64 0
		.amdhsa_float_denorm_mode_32 3
		.amdhsa_float_denorm_mode_16_64 3
		.amdhsa_dx10_clamp 1
		.amdhsa_ieee_mode 1
		.amdhsa_fp16_overflow 0
		.amdhsa_tg_split 0
		.amdhsa_exception_fp_ieee_invalid_op 0
		.amdhsa_exception_fp_denorm_src 0
		.amdhsa_exception_fp_ieee_div_zero 0
		.amdhsa_exception_fp_ieee_overflow 0
		.amdhsa_exception_fp_ieee_underflow 0
		.amdhsa_exception_fp_ieee_inexact 0
		.amdhsa_exception_int_div_zero 0
	.end_amdhsa_kernel
	.section	.text._ZN7rocprim17ROCPRIM_400000_NS6detail17trampoline_kernelINS0_14default_configENS1_20scan_config_selectorIiEEZZNS1_9scan_implILNS1_25lookback_scan_determinismE0ELb1ELb1ES3_N6thrust23THRUST_200600_302600_NS10device_ptrIiEESB_iNS9_4plusIvEEiEEDaPvRmT3_T4_T5_mT6_P12ihipStream_tbENKUlT_T0_E_clISt17integral_constantIbLb1EESR_EEDaSM_SN_EUlSM_E_NS1_11comp_targetILNS1_3genE9ELNS1_11target_archE1100ELNS1_3gpuE3ELNS1_3repE0EEENS1_30default_config_static_selectorELNS0_4arch9wavefront6targetE1EEEvT1_,"axG",@progbits,_ZN7rocprim17ROCPRIM_400000_NS6detail17trampoline_kernelINS0_14default_configENS1_20scan_config_selectorIiEEZZNS1_9scan_implILNS1_25lookback_scan_determinismE0ELb1ELb1ES3_N6thrust23THRUST_200600_302600_NS10device_ptrIiEESB_iNS9_4plusIvEEiEEDaPvRmT3_T4_T5_mT6_P12ihipStream_tbENKUlT_T0_E_clISt17integral_constantIbLb1EESR_EEDaSM_SN_EUlSM_E_NS1_11comp_targetILNS1_3genE9ELNS1_11target_archE1100ELNS1_3gpuE3ELNS1_3repE0EEENS1_30default_config_static_selectorELNS0_4arch9wavefront6targetE1EEEvT1_,comdat
.Lfunc_end6847:
	.size	_ZN7rocprim17ROCPRIM_400000_NS6detail17trampoline_kernelINS0_14default_configENS1_20scan_config_selectorIiEEZZNS1_9scan_implILNS1_25lookback_scan_determinismE0ELb1ELb1ES3_N6thrust23THRUST_200600_302600_NS10device_ptrIiEESB_iNS9_4plusIvEEiEEDaPvRmT3_T4_T5_mT6_P12ihipStream_tbENKUlT_T0_E_clISt17integral_constantIbLb1EESR_EEDaSM_SN_EUlSM_E_NS1_11comp_targetILNS1_3genE9ELNS1_11target_archE1100ELNS1_3gpuE3ELNS1_3repE0EEENS1_30default_config_static_selectorELNS0_4arch9wavefront6targetE1EEEvT1_, .Lfunc_end6847-_ZN7rocprim17ROCPRIM_400000_NS6detail17trampoline_kernelINS0_14default_configENS1_20scan_config_selectorIiEEZZNS1_9scan_implILNS1_25lookback_scan_determinismE0ELb1ELb1ES3_N6thrust23THRUST_200600_302600_NS10device_ptrIiEESB_iNS9_4plusIvEEiEEDaPvRmT3_T4_T5_mT6_P12ihipStream_tbENKUlT_T0_E_clISt17integral_constantIbLb1EESR_EEDaSM_SN_EUlSM_E_NS1_11comp_targetILNS1_3genE9ELNS1_11target_archE1100ELNS1_3gpuE3ELNS1_3repE0EEENS1_30default_config_static_selectorELNS0_4arch9wavefront6targetE1EEEvT1_
                                        ; -- End function
	.section	.AMDGPU.csdata,"",@progbits
; Kernel info:
; codeLenInByte = 0
; NumSgprs: 4
; NumVgprs: 0
; NumAgprs: 0
; TotalNumVgprs: 0
; ScratchSize: 0
; MemoryBound: 0
; FloatMode: 240
; IeeeMode: 1
; LDSByteSize: 0 bytes/workgroup (compile time only)
; SGPRBlocks: 0
; VGPRBlocks: 0
; NumSGPRsForWavesPerEU: 4
; NumVGPRsForWavesPerEU: 1
; AccumOffset: 4
; Occupancy: 8
; WaveLimiterHint : 0
; COMPUTE_PGM_RSRC2:SCRATCH_EN: 0
; COMPUTE_PGM_RSRC2:USER_SGPR: 6
; COMPUTE_PGM_RSRC2:TRAP_HANDLER: 0
; COMPUTE_PGM_RSRC2:TGID_X_EN: 1
; COMPUTE_PGM_RSRC2:TGID_Y_EN: 0
; COMPUTE_PGM_RSRC2:TGID_Z_EN: 0
; COMPUTE_PGM_RSRC2:TIDIG_COMP_CNT: 0
; COMPUTE_PGM_RSRC3_GFX90A:ACCUM_OFFSET: 0
; COMPUTE_PGM_RSRC3_GFX90A:TG_SPLIT: 0
	.section	.text._ZN7rocprim17ROCPRIM_400000_NS6detail17trampoline_kernelINS0_14default_configENS1_20scan_config_selectorIiEEZZNS1_9scan_implILNS1_25lookback_scan_determinismE0ELb1ELb1ES3_N6thrust23THRUST_200600_302600_NS10device_ptrIiEESB_iNS9_4plusIvEEiEEDaPvRmT3_T4_T5_mT6_P12ihipStream_tbENKUlT_T0_E_clISt17integral_constantIbLb1EESR_EEDaSM_SN_EUlSM_E_NS1_11comp_targetILNS1_3genE8ELNS1_11target_archE1030ELNS1_3gpuE2ELNS1_3repE0EEENS1_30default_config_static_selectorELNS0_4arch9wavefront6targetE1EEEvT1_,"axG",@progbits,_ZN7rocprim17ROCPRIM_400000_NS6detail17trampoline_kernelINS0_14default_configENS1_20scan_config_selectorIiEEZZNS1_9scan_implILNS1_25lookback_scan_determinismE0ELb1ELb1ES3_N6thrust23THRUST_200600_302600_NS10device_ptrIiEESB_iNS9_4plusIvEEiEEDaPvRmT3_T4_T5_mT6_P12ihipStream_tbENKUlT_T0_E_clISt17integral_constantIbLb1EESR_EEDaSM_SN_EUlSM_E_NS1_11comp_targetILNS1_3genE8ELNS1_11target_archE1030ELNS1_3gpuE2ELNS1_3repE0EEENS1_30default_config_static_selectorELNS0_4arch9wavefront6targetE1EEEvT1_,comdat
	.protected	_ZN7rocprim17ROCPRIM_400000_NS6detail17trampoline_kernelINS0_14default_configENS1_20scan_config_selectorIiEEZZNS1_9scan_implILNS1_25lookback_scan_determinismE0ELb1ELb1ES3_N6thrust23THRUST_200600_302600_NS10device_ptrIiEESB_iNS9_4plusIvEEiEEDaPvRmT3_T4_T5_mT6_P12ihipStream_tbENKUlT_T0_E_clISt17integral_constantIbLb1EESR_EEDaSM_SN_EUlSM_E_NS1_11comp_targetILNS1_3genE8ELNS1_11target_archE1030ELNS1_3gpuE2ELNS1_3repE0EEENS1_30default_config_static_selectorELNS0_4arch9wavefront6targetE1EEEvT1_ ; -- Begin function _ZN7rocprim17ROCPRIM_400000_NS6detail17trampoline_kernelINS0_14default_configENS1_20scan_config_selectorIiEEZZNS1_9scan_implILNS1_25lookback_scan_determinismE0ELb1ELb1ES3_N6thrust23THRUST_200600_302600_NS10device_ptrIiEESB_iNS9_4plusIvEEiEEDaPvRmT3_T4_T5_mT6_P12ihipStream_tbENKUlT_T0_E_clISt17integral_constantIbLb1EESR_EEDaSM_SN_EUlSM_E_NS1_11comp_targetILNS1_3genE8ELNS1_11target_archE1030ELNS1_3gpuE2ELNS1_3repE0EEENS1_30default_config_static_selectorELNS0_4arch9wavefront6targetE1EEEvT1_
	.globl	_ZN7rocprim17ROCPRIM_400000_NS6detail17trampoline_kernelINS0_14default_configENS1_20scan_config_selectorIiEEZZNS1_9scan_implILNS1_25lookback_scan_determinismE0ELb1ELb1ES3_N6thrust23THRUST_200600_302600_NS10device_ptrIiEESB_iNS9_4plusIvEEiEEDaPvRmT3_T4_T5_mT6_P12ihipStream_tbENKUlT_T0_E_clISt17integral_constantIbLb1EESR_EEDaSM_SN_EUlSM_E_NS1_11comp_targetILNS1_3genE8ELNS1_11target_archE1030ELNS1_3gpuE2ELNS1_3repE0EEENS1_30default_config_static_selectorELNS0_4arch9wavefront6targetE1EEEvT1_
	.p2align	8
	.type	_ZN7rocprim17ROCPRIM_400000_NS6detail17trampoline_kernelINS0_14default_configENS1_20scan_config_selectorIiEEZZNS1_9scan_implILNS1_25lookback_scan_determinismE0ELb1ELb1ES3_N6thrust23THRUST_200600_302600_NS10device_ptrIiEESB_iNS9_4plusIvEEiEEDaPvRmT3_T4_T5_mT6_P12ihipStream_tbENKUlT_T0_E_clISt17integral_constantIbLb1EESR_EEDaSM_SN_EUlSM_E_NS1_11comp_targetILNS1_3genE8ELNS1_11target_archE1030ELNS1_3gpuE2ELNS1_3repE0EEENS1_30default_config_static_selectorELNS0_4arch9wavefront6targetE1EEEvT1_,@function
_ZN7rocprim17ROCPRIM_400000_NS6detail17trampoline_kernelINS0_14default_configENS1_20scan_config_selectorIiEEZZNS1_9scan_implILNS1_25lookback_scan_determinismE0ELb1ELb1ES3_N6thrust23THRUST_200600_302600_NS10device_ptrIiEESB_iNS9_4plusIvEEiEEDaPvRmT3_T4_T5_mT6_P12ihipStream_tbENKUlT_T0_E_clISt17integral_constantIbLb1EESR_EEDaSM_SN_EUlSM_E_NS1_11comp_targetILNS1_3genE8ELNS1_11target_archE1030ELNS1_3gpuE2ELNS1_3repE0EEENS1_30default_config_static_selectorELNS0_4arch9wavefront6targetE1EEEvT1_: ; @_ZN7rocprim17ROCPRIM_400000_NS6detail17trampoline_kernelINS0_14default_configENS1_20scan_config_selectorIiEEZZNS1_9scan_implILNS1_25lookback_scan_determinismE0ELb1ELb1ES3_N6thrust23THRUST_200600_302600_NS10device_ptrIiEESB_iNS9_4plusIvEEiEEDaPvRmT3_T4_T5_mT6_P12ihipStream_tbENKUlT_T0_E_clISt17integral_constantIbLb1EESR_EEDaSM_SN_EUlSM_E_NS1_11comp_targetILNS1_3genE8ELNS1_11target_archE1030ELNS1_3gpuE2ELNS1_3repE0EEENS1_30default_config_static_selectorELNS0_4arch9wavefront6targetE1EEEvT1_
; %bb.0:
	.section	.rodata,"a",@progbits
	.p2align	6, 0x0
	.amdhsa_kernel _ZN7rocprim17ROCPRIM_400000_NS6detail17trampoline_kernelINS0_14default_configENS1_20scan_config_selectorIiEEZZNS1_9scan_implILNS1_25lookback_scan_determinismE0ELb1ELb1ES3_N6thrust23THRUST_200600_302600_NS10device_ptrIiEESB_iNS9_4plusIvEEiEEDaPvRmT3_T4_T5_mT6_P12ihipStream_tbENKUlT_T0_E_clISt17integral_constantIbLb1EESR_EEDaSM_SN_EUlSM_E_NS1_11comp_targetILNS1_3genE8ELNS1_11target_archE1030ELNS1_3gpuE2ELNS1_3repE0EEENS1_30default_config_static_selectorELNS0_4arch9wavefront6targetE1EEEvT1_
		.amdhsa_group_segment_fixed_size 0
		.amdhsa_private_segment_fixed_size 0
		.amdhsa_kernarg_size 96
		.amdhsa_user_sgpr_count 6
		.amdhsa_user_sgpr_private_segment_buffer 1
		.amdhsa_user_sgpr_dispatch_ptr 0
		.amdhsa_user_sgpr_queue_ptr 0
		.amdhsa_user_sgpr_kernarg_segment_ptr 1
		.amdhsa_user_sgpr_dispatch_id 0
		.amdhsa_user_sgpr_flat_scratch_init 0
		.amdhsa_user_sgpr_kernarg_preload_length 0
		.amdhsa_user_sgpr_kernarg_preload_offset 0
		.amdhsa_user_sgpr_private_segment_size 0
		.amdhsa_uses_dynamic_stack 0
		.amdhsa_system_sgpr_private_segment_wavefront_offset 0
		.amdhsa_system_sgpr_workgroup_id_x 1
		.amdhsa_system_sgpr_workgroup_id_y 0
		.amdhsa_system_sgpr_workgroup_id_z 0
		.amdhsa_system_sgpr_workgroup_info 0
		.amdhsa_system_vgpr_workitem_id 0
		.amdhsa_next_free_vgpr 1
		.amdhsa_next_free_sgpr 0
		.amdhsa_accum_offset 4
		.amdhsa_reserve_vcc 0
		.amdhsa_reserve_flat_scratch 0
		.amdhsa_float_round_mode_32 0
		.amdhsa_float_round_mode_16_64 0
		.amdhsa_float_denorm_mode_32 3
		.amdhsa_float_denorm_mode_16_64 3
		.amdhsa_dx10_clamp 1
		.amdhsa_ieee_mode 1
		.amdhsa_fp16_overflow 0
		.amdhsa_tg_split 0
		.amdhsa_exception_fp_ieee_invalid_op 0
		.amdhsa_exception_fp_denorm_src 0
		.amdhsa_exception_fp_ieee_div_zero 0
		.amdhsa_exception_fp_ieee_overflow 0
		.amdhsa_exception_fp_ieee_underflow 0
		.amdhsa_exception_fp_ieee_inexact 0
		.amdhsa_exception_int_div_zero 0
	.end_amdhsa_kernel
	.section	.text._ZN7rocprim17ROCPRIM_400000_NS6detail17trampoline_kernelINS0_14default_configENS1_20scan_config_selectorIiEEZZNS1_9scan_implILNS1_25lookback_scan_determinismE0ELb1ELb1ES3_N6thrust23THRUST_200600_302600_NS10device_ptrIiEESB_iNS9_4plusIvEEiEEDaPvRmT3_T4_T5_mT6_P12ihipStream_tbENKUlT_T0_E_clISt17integral_constantIbLb1EESR_EEDaSM_SN_EUlSM_E_NS1_11comp_targetILNS1_3genE8ELNS1_11target_archE1030ELNS1_3gpuE2ELNS1_3repE0EEENS1_30default_config_static_selectorELNS0_4arch9wavefront6targetE1EEEvT1_,"axG",@progbits,_ZN7rocprim17ROCPRIM_400000_NS6detail17trampoline_kernelINS0_14default_configENS1_20scan_config_selectorIiEEZZNS1_9scan_implILNS1_25lookback_scan_determinismE0ELb1ELb1ES3_N6thrust23THRUST_200600_302600_NS10device_ptrIiEESB_iNS9_4plusIvEEiEEDaPvRmT3_T4_T5_mT6_P12ihipStream_tbENKUlT_T0_E_clISt17integral_constantIbLb1EESR_EEDaSM_SN_EUlSM_E_NS1_11comp_targetILNS1_3genE8ELNS1_11target_archE1030ELNS1_3gpuE2ELNS1_3repE0EEENS1_30default_config_static_selectorELNS0_4arch9wavefront6targetE1EEEvT1_,comdat
.Lfunc_end6848:
	.size	_ZN7rocprim17ROCPRIM_400000_NS6detail17trampoline_kernelINS0_14default_configENS1_20scan_config_selectorIiEEZZNS1_9scan_implILNS1_25lookback_scan_determinismE0ELb1ELb1ES3_N6thrust23THRUST_200600_302600_NS10device_ptrIiEESB_iNS9_4plusIvEEiEEDaPvRmT3_T4_T5_mT6_P12ihipStream_tbENKUlT_T0_E_clISt17integral_constantIbLb1EESR_EEDaSM_SN_EUlSM_E_NS1_11comp_targetILNS1_3genE8ELNS1_11target_archE1030ELNS1_3gpuE2ELNS1_3repE0EEENS1_30default_config_static_selectorELNS0_4arch9wavefront6targetE1EEEvT1_, .Lfunc_end6848-_ZN7rocprim17ROCPRIM_400000_NS6detail17trampoline_kernelINS0_14default_configENS1_20scan_config_selectorIiEEZZNS1_9scan_implILNS1_25lookback_scan_determinismE0ELb1ELb1ES3_N6thrust23THRUST_200600_302600_NS10device_ptrIiEESB_iNS9_4plusIvEEiEEDaPvRmT3_T4_T5_mT6_P12ihipStream_tbENKUlT_T0_E_clISt17integral_constantIbLb1EESR_EEDaSM_SN_EUlSM_E_NS1_11comp_targetILNS1_3genE8ELNS1_11target_archE1030ELNS1_3gpuE2ELNS1_3repE0EEENS1_30default_config_static_selectorELNS0_4arch9wavefront6targetE1EEEvT1_
                                        ; -- End function
	.section	.AMDGPU.csdata,"",@progbits
; Kernel info:
; codeLenInByte = 0
; NumSgprs: 4
; NumVgprs: 0
; NumAgprs: 0
; TotalNumVgprs: 0
; ScratchSize: 0
; MemoryBound: 0
; FloatMode: 240
; IeeeMode: 1
; LDSByteSize: 0 bytes/workgroup (compile time only)
; SGPRBlocks: 0
; VGPRBlocks: 0
; NumSGPRsForWavesPerEU: 4
; NumVGPRsForWavesPerEU: 1
; AccumOffset: 4
; Occupancy: 8
; WaveLimiterHint : 0
; COMPUTE_PGM_RSRC2:SCRATCH_EN: 0
; COMPUTE_PGM_RSRC2:USER_SGPR: 6
; COMPUTE_PGM_RSRC2:TRAP_HANDLER: 0
; COMPUTE_PGM_RSRC2:TGID_X_EN: 1
; COMPUTE_PGM_RSRC2:TGID_Y_EN: 0
; COMPUTE_PGM_RSRC2:TGID_Z_EN: 0
; COMPUTE_PGM_RSRC2:TIDIG_COMP_CNT: 0
; COMPUTE_PGM_RSRC3_GFX90A:ACCUM_OFFSET: 0
; COMPUTE_PGM_RSRC3_GFX90A:TG_SPLIT: 0
	.section	.text._ZN7rocprim17ROCPRIM_400000_NS6detail17trampoline_kernelINS0_14default_configENS1_20scan_config_selectorIiEEZZNS1_9scan_implILNS1_25lookback_scan_determinismE0ELb1ELb1ES3_N6thrust23THRUST_200600_302600_NS10device_ptrIiEESB_iNS9_4plusIvEEiEEDaPvRmT3_T4_T5_mT6_P12ihipStream_tbENKUlT_T0_E_clISt17integral_constantIbLb1EESR_EEDaSM_SN_EUlSM_E0_NS1_11comp_targetILNS1_3genE0ELNS1_11target_archE4294967295ELNS1_3gpuE0ELNS1_3repE0EEENS1_30default_config_static_selectorELNS0_4arch9wavefront6targetE1EEEvT1_,"axG",@progbits,_ZN7rocprim17ROCPRIM_400000_NS6detail17trampoline_kernelINS0_14default_configENS1_20scan_config_selectorIiEEZZNS1_9scan_implILNS1_25lookback_scan_determinismE0ELb1ELb1ES3_N6thrust23THRUST_200600_302600_NS10device_ptrIiEESB_iNS9_4plusIvEEiEEDaPvRmT3_T4_T5_mT6_P12ihipStream_tbENKUlT_T0_E_clISt17integral_constantIbLb1EESR_EEDaSM_SN_EUlSM_E0_NS1_11comp_targetILNS1_3genE0ELNS1_11target_archE4294967295ELNS1_3gpuE0ELNS1_3repE0EEENS1_30default_config_static_selectorELNS0_4arch9wavefront6targetE1EEEvT1_,comdat
	.protected	_ZN7rocprim17ROCPRIM_400000_NS6detail17trampoline_kernelINS0_14default_configENS1_20scan_config_selectorIiEEZZNS1_9scan_implILNS1_25lookback_scan_determinismE0ELb1ELb1ES3_N6thrust23THRUST_200600_302600_NS10device_ptrIiEESB_iNS9_4plusIvEEiEEDaPvRmT3_T4_T5_mT6_P12ihipStream_tbENKUlT_T0_E_clISt17integral_constantIbLb1EESR_EEDaSM_SN_EUlSM_E0_NS1_11comp_targetILNS1_3genE0ELNS1_11target_archE4294967295ELNS1_3gpuE0ELNS1_3repE0EEENS1_30default_config_static_selectorELNS0_4arch9wavefront6targetE1EEEvT1_ ; -- Begin function _ZN7rocprim17ROCPRIM_400000_NS6detail17trampoline_kernelINS0_14default_configENS1_20scan_config_selectorIiEEZZNS1_9scan_implILNS1_25lookback_scan_determinismE0ELb1ELb1ES3_N6thrust23THRUST_200600_302600_NS10device_ptrIiEESB_iNS9_4plusIvEEiEEDaPvRmT3_T4_T5_mT6_P12ihipStream_tbENKUlT_T0_E_clISt17integral_constantIbLb1EESR_EEDaSM_SN_EUlSM_E0_NS1_11comp_targetILNS1_3genE0ELNS1_11target_archE4294967295ELNS1_3gpuE0ELNS1_3repE0EEENS1_30default_config_static_selectorELNS0_4arch9wavefront6targetE1EEEvT1_
	.globl	_ZN7rocprim17ROCPRIM_400000_NS6detail17trampoline_kernelINS0_14default_configENS1_20scan_config_selectorIiEEZZNS1_9scan_implILNS1_25lookback_scan_determinismE0ELb1ELb1ES3_N6thrust23THRUST_200600_302600_NS10device_ptrIiEESB_iNS9_4plusIvEEiEEDaPvRmT3_T4_T5_mT6_P12ihipStream_tbENKUlT_T0_E_clISt17integral_constantIbLb1EESR_EEDaSM_SN_EUlSM_E0_NS1_11comp_targetILNS1_3genE0ELNS1_11target_archE4294967295ELNS1_3gpuE0ELNS1_3repE0EEENS1_30default_config_static_selectorELNS0_4arch9wavefront6targetE1EEEvT1_
	.p2align	8
	.type	_ZN7rocprim17ROCPRIM_400000_NS6detail17trampoline_kernelINS0_14default_configENS1_20scan_config_selectorIiEEZZNS1_9scan_implILNS1_25lookback_scan_determinismE0ELb1ELb1ES3_N6thrust23THRUST_200600_302600_NS10device_ptrIiEESB_iNS9_4plusIvEEiEEDaPvRmT3_T4_T5_mT6_P12ihipStream_tbENKUlT_T0_E_clISt17integral_constantIbLb1EESR_EEDaSM_SN_EUlSM_E0_NS1_11comp_targetILNS1_3genE0ELNS1_11target_archE4294967295ELNS1_3gpuE0ELNS1_3repE0EEENS1_30default_config_static_selectorELNS0_4arch9wavefront6targetE1EEEvT1_,@function
_ZN7rocprim17ROCPRIM_400000_NS6detail17trampoline_kernelINS0_14default_configENS1_20scan_config_selectorIiEEZZNS1_9scan_implILNS1_25lookback_scan_determinismE0ELb1ELb1ES3_N6thrust23THRUST_200600_302600_NS10device_ptrIiEESB_iNS9_4plusIvEEiEEDaPvRmT3_T4_T5_mT6_P12ihipStream_tbENKUlT_T0_E_clISt17integral_constantIbLb1EESR_EEDaSM_SN_EUlSM_E0_NS1_11comp_targetILNS1_3genE0ELNS1_11target_archE4294967295ELNS1_3gpuE0ELNS1_3repE0EEENS1_30default_config_static_selectorELNS0_4arch9wavefront6targetE1EEEvT1_: ; @_ZN7rocprim17ROCPRIM_400000_NS6detail17trampoline_kernelINS0_14default_configENS1_20scan_config_selectorIiEEZZNS1_9scan_implILNS1_25lookback_scan_determinismE0ELb1ELb1ES3_N6thrust23THRUST_200600_302600_NS10device_ptrIiEESB_iNS9_4plusIvEEiEEDaPvRmT3_T4_T5_mT6_P12ihipStream_tbENKUlT_T0_E_clISt17integral_constantIbLb1EESR_EEDaSM_SN_EUlSM_E0_NS1_11comp_targetILNS1_3genE0ELNS1_11target_archE4294967295ELNS1_3gpuE0ELNS1_3repE0EEENS1_30default_config_static_selectorELNS0_4arch9wavefront6targetE1EEEvT1_
; %bb.0:
	.section	.rodata,"a",@progbits
	.p2align	6, 0x0
	.amdhsa_kernel _ZN7rocprim17ROCPRIM_400000_NS6detail17trampoline_kernelINS0_14default_configENS1_20scan_config_selectorIiEEZZNS1_9scan_implILNS1_25lookback_scan_determinismE0ELb1ELb1ES3_N6thrust23THRUST_200600_302600_NS10device_ptrIiEESB_iNS9_4plusIvEEiEEDaPvRmT3_T4_T5_mT6_P12ihipStream_tbENKUlT_T0_E_clISt17integral_constantIbLb1EESR_EEDaSM_SN_EUlSM_E0_NS1_11comp_targetILNS1_3genE0ELNS1_11target_archE4294967295ELNS1_3gpuE0ELNS1_3repE0EEENS1_30default_config_static_selectorELNS0_4arch9wavefront6targetE1EEEvT1_
		.amdhsa_group_segment_fixed_size 0
		.amdhsa_private_segment_fixed_size 0
		.amdhsa_kernarg_size 32
		.amdhsa_user_sgpr_count 6
		.amdhsa_user_sgpr_private_segment_buffer 1
		.amdhsa_user_sgpr_dispatch_ptr 0
		.amdhsa_user_sgpr_queue_ptr 0
		.amdhsa_user_sgpr_kernarg_segment_ptr 1
		.amdhsa_user_sgpr_dispatch_id 0
		.amdhsa_user_sgpr_flat_scratch_init 0
		.amdhsa_user_sgpr_kernarg_preload_length 0
		.amdhsa_user_sgpr_kernarg_preload_offset 0
		.amdhsa_user_sgpr_private_segment_size 0
		.amdhsa_uses_dynamic_stack 0
		.amdhsa_system_sgpr_private_segment_wavefront_offset 0
		.amdhsa_system_sgpr_workgroup_id_x 1
		.amdhsa_system_sgpr_workgroup_id_y 0
		.amdhsa_system_sgpr_workgroup_id_z 0
		.amdhsa_system_sgpr_workgroup_info 0
		.amdhsa_system_vgpr_workitem_id 0
		.amdhsa_next_free_vgpr 1
		.amdhsa_next_free_sgpr 0
		.amdhsa_accum_offset 4
		.amdhsa_reserve_vcc 0
		.amdhsa_reserve_flat_scratch 0
		.amdhsa_float_round_mode_32 0
		.amdhsa_float_round_mode_16_64 0
		.amdhsa_float_denorm_mode_32 3
		.amdhsa_float_denorm_mode_16_64 3
		.amdhsa_dx10_clamp 1
		.amdhsa_ieee_mode 1
		.amdhsa_fp16_overflow 0
		.amdhsa_tg_split 0
		.amdhsa_exception_fp_ieee_invalid_op 0
		.amdhsa_exception_fp_denorm_src 0
		.amdhsa_exception_fp_ieee_div_zero 0
		.amdhsa_exception_fp_ieee_overflow 0
		.amdhsa_exception_fp_ieee_underflow 0
		.amdhsa_exception_fp_ieee_inexact 0
		.amdhsa_exception_int_div_zero 0
	.end_amdhsa_kernel
	.section	.text._ZN7rocprim17ROCPRIM_400000_NS6detail17trampoline_kernelINS0_14default_configENS1_20scan_config_selectorIiEEZZNS1_9scan_implILNS1_25lookback_scan_determinismE0ELb1ELb1ES3_N6thrust23THRUST_200600_302600_NS10device_ptrIiEESB_iNS9_4plusIvEEiEEDaPvRmT3_T4_T5_mT6_P12ihipStream_tbENKUlT_T0_E_clISt17integral_constantIbLb1EESR_EEDaSM_SN_EUlSM_E0_NS1_11comp_targetILNS1_3genE0ELNS1_11target_archE4294967295ELNS1_3gpuE0ELNS1_3repE0EEENS1_30default_config_static_selectorELNS0_4arch9wavefront6targetE1EEEvT1_,"axG",@progbits,_ZN7rocprim17ROCPRIM_400000_NS6detail17trampoline_kernelINS0_14default_configENS1_20scan_config_selectorIiEEZZNS1_9scan_implILNS1_25lookback_scan_determinismE0ELb1ELb1ES3_N6thrust23THRUST_200600_302600_NS10device_ptrIiEESB_iNS9_4plusIvEEiEEDaPvRmT3_T4_T5_mT6_P12ihipStream_tbENKUlT_T0_E_clISt17integral_constantIbLb1EESR_EEDaSM_SN_EUlSM_E0_NS1_11comp_targetILNS1_3genE0ELNS1_11target_archE4294967295ELNS1_3gpuE0ELNS1_3repE0EEENS1_30default_config_static_selectorELNS0_4arch9wavefront6targetE1EEEvT1_,comdat
.Lfunc_end6849:
	.size	_ZN7rocprim17ROCPRIM_400000_NS6detail17trampoline_kernelINS0_14default_configENS1_20scan_config_selectorIiEEZZNS1_9scan_implILNS1_25lookback_scan_determinismE0ELb1ELb1ES3_N6thrust23THRUST_200600_302600_NS10device_ptrIiEESB_iNS9_4plusIvEEiEEDaPvRmT3_T4_T5_mT6_P12ihipStream_tbENKUlT_T0_E_clISt17integral_constantIbLb1EESR_EEDaSM_SN_EUlSM_E0_NS1_11comp_targetILNS1_3genE0ELNS1_11target_archE4294967295ELNS1_3gpuE0ELNS1_3repE0EEENS1_30default_config_static_selectorELNS0_4arch9wavefront6targetE1EEEvT1_, .Lfunc_end6849-_ZN7rocprim17ROCPRIM_400000_NS6detail17trampoline_kernelINS0_14default_configENS1_20scan_config_selectorIiEEZZNS1_9scan_implILNS1_25lookback_scan_determinismE0ELb1ELb1ES3_N6thrust23THRUST_200600_302600_NS10device_ptrIiEESB_iNS9_4plusIvEEiEEDaPvRmT3_T4_T5_mT6_P12ihipStream_tbENKUlT_T0_E_clISt17integral_constantIbLb1EESR_EEDaSM_SN_EUlSM_E0_NS1_11comp_targetILNS1_3genE0ELNS1_11target_archE4294967295ELNS1_3gpuE0ELNS1_3repE0EEENS1_30default_config_static_selectorELNS0_4arch9wavefront6targetE1EEEvT1_
                                        ; -- End function
	.section	.AMDGPU.csdata,"",@progbits
; Kernel info:
; codeLenInByte = 0
; NumSgprs: 4
; NumVgprs: 0
; NumAgprs: 0
; TotalNumVgprs: 0
; ScratchSize: 0
; MemoryBound: 0
; FloatMode: 240
; IeeeMode: 1
; LDSByteSize: 0 bytes/workgroup (compile time only)
; SGPRBlocks: 0
; VGPRBlocks: 0
; NumSGPRsForWavesPerEU: 4
; NumVGPRsForWavesPerEU: 1
; AccumOffset: 4
; Occupancy: 8
; WaveLimiterHint : 0
; COMPUTE_PGM_RSRC2:SCRATCH_EN: 0
; COMPUTE_PGM_RSRC2:USER_SGPR: 6
; COMPUTE_PGM_RSRC2:TRAP_HANDLER: 0
; COMPUTE_PGM_RSRC2:TGID_X_EN: 1
; COMPUTE_PGM_RSRC2:TGID_Y_EN: 0
; COMPUTE_PGM_RSRC2:TGID_Z_EN: 0
; COMPUTE_PGM_RSRC2:TIDIG_COMP_CNT: 0
; COMPUTE_PGM_RSRC3_GFX90A:ACCUM_OFFSET: 0
; COMPUTE_PGM_RSRC3_GFX90A:TG_SPLIT: 0
	.section	.text._ZN7rocprim17ROCPRIM_400000_NS6detail17trampoline_kernelINS0_14default_configENS1_20scan_config_selectorIiEEZZNS1_9scan_implILNS1_25lookback_scan_determinismE0ELb1ELb1ES3_N6thrust23THRUST_200600_302600_NS10device_ptrIiEESB_iNS9_4plusIvEEiEEDaPvRmT3_T4_T5_mT6_P12ihipStream_tbENKUlT_T0_E_clISt17integral_constantIbLb1EESR_EEDaSM_SN_EUlSM_E0_NS1_11comp_targetILNS1_3genE5ELNS1_11target_archE942ELNS1_3gpuE9ELNS1_3repE0EEENS1_30default_config_static_selectorELNS0_4arch9wavefront6targetE1EEEvT1_,"axG",@progbits,_ZN7rocprim17ROCPRIM_400000_NS6detail17trampoline_kernelINS0_14default_configENS1_20scan_config_selectorIiEEZZNS1_9scan_implILNS1_25lookback_scan_determinismE0ELb1ELb1ES3_N6thrust23THRUST_200600_302600_NS10device_ptrIiEESB_iNS9_4plusIvEEiEEDaPvRmT3_T4_T5_mT6_P12ihipStream_tbENKUlT_T0_E_clISt17integral_constantIbLb1EESR_EEDaSM_SN_EUlSM_E0_NS1_11comp_targetILNS1_3genE5ELNS1_11target_archE942ELNS1_3gpuE9ELNS1_3repE0EEENS1_30default_config_static_selectorELNS0_4arch9wavefront6targetE1EEEvT1_,comdat
	.protected	_ZN7rocprim17ROCPRIM_400000_NS6detail17trampoline_kernelINS0_14default_configENS1_20scan_config_selectorIiEEZZNS1_9scan_implILNS1_25lookback_scan_determinismE0ELb1ELb1ES3_N6thrust23THRUST_200600_302600_NS10device_ptrIiEESB_iNS9_4plusIvEEiEEDaPvRmT3_T4_T5_mT6_P12ihipStream_tbENKUlT_T0_E_clISt17integral_constantIbLb1EESR_EEDaSM_SN_EUlSM_E0_NS1_11comp_targetILNS1_3genE5ELNS1_11target_archE942ELNS1_3gpuE9ELNS1_3repE0EEENS1_30default_config_static_selectorELNS0_4arch9wavefront6targetE1EEEvT1_ ; -- Begin function _ZN7rocprim17ROCPRIM_400000_NS6detail17trampoline_kernelINS0_14default_configENS1_20scan_config_selectorIiEEZZNS1_9scan_implILNS1_25lookback_scan_determinismE0ELb1ELb1ES3_N6thrust23THRUST_200600_302600_NS10device_ptrIiEESB_iNS9_4plusIvEEiEEDaPvRmT3_T4_T5_mT6_P12ihipStream_tbENKUlT_T0_E_clISt17integral_constantIbLb1EESR_EEDaSM_SN_EUlSM_E0_NS1_11comp_targetILNS1_3genE5ELNS1_11target_archE942ELNS1_3gpuE9ELNS1_3repE0EEENS1_30default_config_static_selectorELNS0_4arch9wavefront6targetE1EEEvT1_
	.globl	_ZN7rocprim17ROCPRIM_400000_NS6detail17trampoline_kernelINS0_14default_configENS1_20scan_config_selectorIiEEZZNS1_9scan_implILNS1_25lookback_scan_determinismE0ELb1ELb1ES3_N6thrust23THRUST_200600_302600_NS10device_ptrIiEESB_iNS9_4plusIvEEiEEDaPvRmT3_T4_T5_mT6_P12ihipStream_tbENKUlT_T0_E_clISt17integral_constantIbLb1EESR_EEDaSM_SN_EUlSM_E0_NS1_11comp_targetILNS1_3genE5ELNS1_11target_archE942ELNS1_3gpuE9ELNS1_3repE0EEENS1_30default_config_static_selectorELNS0_4arch9wavefront6targetE1EEEvT1_
	.p2align	8
	.type	_ZN7rocprim17ROCPRIM_400000_NS6detail17trampoline_kernelINS0_14default_configENS1_20scan_config_selectorIiEEZZNS1_9scan_implILNS1_25lookback_scan_determinismE0ELb1ELb1ES3_N6thrust23THRUST_200600_302600_NS10device_ptrIiEESB_iNS9_4plusIvEEiEEDaPvRmT3_T4_T5_mT6_P12ihipStream_tbENKUlT_T0_E_clISt17integral_constantIbLb1EESR_EEDaSM_SN_EUlSM_E0_NS1_11comp_targetILNS1_3genE5ELNS1_11target_archE942ELNS1_3gpuE9ELNS1_3repE0EEENS1_30default_config_static_selectorELNS0_4arch9wavefront6targetE1EEEvT1_,@function
_ZN7rocprim17ROCPRIM_400000_NS6detail17trampoline_kernelINS0_14default_configENS1_20scan_config_selectorIiEEZZNS1_9scan_implILNS1_25lookback_scan_determinismE0ELb1ELb1ES3_N6thrust23THRUST_200600_302600_NS10device_ptrIiEESB_iNS9_4plusIvEEiEEDaPvRmT3_T4_T5_mT6_P12ihipStream_tbENKUlT_T0_E_clISt17integral_constantIbLb1EESR_EEDaSM_SN_EUlSM_E0_NS1_11comp_targetILNS1_3genE5ELNS1_11target_archE942ELNS1_3gpuE9ELNS1_3repE0EEENS1_30default_config_static_selectorELNS0_4arch9wavefront6targetE1EEEvT1_: ; @_ZN7rocprim17ROCPRIM_400000_NS6detail17trampoline_kernelINS0_14default_configENS1_20scan_config_selectorIiEEZZNS1_9scan_implILNS1_25lookback_scan_determinismE0ELb1ELb1ES3_N6thrust23THRUST_200600_302600_NS10device_ptrIiEESB_iNS9_4plusIvEEiEEDaPvRmT3_T4_T5_mT6_P12ihipStream_tbENKUlT_T0_E_clISt17integral_constantIbLb1EESR_EEDaSM_SN_EUlSM_E0_NS1_11comp_targetILNS1_3genE5ELNS1_11target_archE942ELNS1_3gpuE9ELNS1_3repE0EEENS1_30default_config_static_selectorELNS0_4arch9wavefront6targetE1EEEvT1_
; %bb.0:
	.section	.rodata,"a",@progbits
	.p2align	6, 0x0
	.amdhsa_kernel _ZN7rocprim17ROCPRIM_400000_NS6detail17trampoline_kernelINS0_14default_configENS1_20scan_config_selectorIiEEZZNS1_9scan_implILNS1_25lookback_scan_determinismE0ELb1ELb1ES3_N6thrust23THRUST_200600_302600_NS10device_ptrIiEESB_iNS9_4plusIvEEiEEDaPvRmT3_T4_T5_mT6_P12ihipStream_tbENKUlT_T0_E_clISt17integral_constantIbLb1EESR_EEDaSM_SN_EUlSM_E0_NS1_11comp_targetILNS1_3genE5ELNS1_11target_archE942ELNS1_3gpuE9ELNS1_3repE0EEENS1_30default_config_static_selectorELNS0_4arch9wavefront6targetE1EEEvT1_
		.amdhsa_group_segment_fixed_size 0
		.amdhsa_private_segment_fixed_size 0
		.amdhsa_kernarg_size 32
		.amdhsa_user_sgpr_count 6
		.amdhsa_user_sgpr_private_segment_buffer 1
		.amdhsa_user_sgpr_dispatch_ptr 0
		.amdhsa_user_sgpr_queue_ptr 0
		.amdhsa_user_sgpr_kernarg_segment_ptr 1
		.amdhsa_user_sgpr_dispatch_id 0
		.amdhsa_user_sgpr_flat_scratch_init 0
		.amdhsa_user_sgpr_kernarg_preload_length 0
		.amdhsa_user_sgpr_kernarg_preload_offset 0
		.amdhsa_user_sgpr_private_segment_size 0
		.amdhsa_uses_dynamic_stack 0
		.amdhsa_system_sgpr_private_segment_wavefront_offset 0
		.amdhsa_system_sgpr_workgroup_id_x 1
		.amdhsa_system_sgpr_workgroup_id_y 0
		.amdhsa_system_sgpr_workgroup_id_z 0
		.amdhsa_system_sgpr_workgroup_info 0
		.amdhsa_system_vgpr_workitem_id 0
		.amdhsa_next_free_vgpr 1
		.amdhsa_next_free_sgpr 0
		.amdhsa_accum_offset 4
		.amdhsa_reserve_vcc 0
		.amdhsa_reserve_flat_scratch 0
		.amdhsa_float_round_mode_32 0
		.amdhsa_float_round_mode_16_64 0
		.amdhsa_float_denorm_mode_32 3
		.amdhsa_float_denorm_mode_16_64 3
		.amdhsa_dx10_clamp 1
		.amdhsa_ieee_mode 1
		.amdhsa_fp16_overflow 0
		.amdhsa_tg_split 0
		.amdhsa_exception_fp_ieee_invalid_op 0
		.amdhsa_exception_fp_denorm_src 0
		.amdhsa_exception_fp_ieee_div_zero 0
		.amdhsa_exception_fp_ieee_overflow 0
		.amdhsa_exception_fp_ieee_underflow 0
		.amdhsa_exception_fp_ieee_inexact 0
		.amdhsa_exception_int_div_zero 0
	.end_amdhsa_kernel
	.section	.text._ZN7rocprim17ROCPRIM_400000_NS6detail17trampoline_kernelINS0_14default_configENS1_20scan_config_selectorIiEEZZNS1_9scan_implILNS1_25lookback_scan_determinismE0ELb1ELb1ES3_N6thrust23THRUST_200600_302600_NS10device_ptrIiEESB_iNS9_4plusIvEEiEEDaPvRmT3_T4_T5_mT6_P12ihipStream_tbENKUlT_T0_E_clISt17integral_constantIbLb1EESR_EEDaSM_SN_EUlSM_E0_NS1_11comp_targetILNS1_3genE5ELNS1_11target_archE942ELNS1_3gpuE9ELNS1_3repE0EEENS1_30default_config_static_selectorELNS0_4arch9wavefront6targetE1EEEvT1_,"axG",@progbits,_ZN7rocprim17ROCPRIM_400000_NS6detail17trampoline_kernelINS0_14default_configENS1_20scan_config_selectorIiEEZZNS1_9scan_implILNS1_25lookback_scan_determinismE0ELb1ELb1ES3_N6thrust23THRUST_200600_302600_NS10device_ptrIiEESB_iNS9_4plusIvEEiEEDaPvRmT3_T4_T5_mT6_P12ihipStream_tbENKUlT_T0_E_clISt17integral_constantIbLb1EESR_EEDaSM_SN_EUlSM_E0_NS1_11comp_targetILNS1_3genE5ELNS1_11target_archE942ELNS1_3gpuE9ELNS1_3repE0EEENS1_30default_config_static_selectorELNS0_4arch9wavefront6targetE1EEEvT1_,comdat
.Lfunc_end6850:
	.size	_ZN7rocprim17ROCPRIM_400000_NS6detail17trampoline_kernelINS0_14default_configENS1_20scan_config_selectorIiEEZZNS1_9scan_implILNS1_25lookback_scan_determinismE0ELb1ELb1ES3_N6thrust23THRUST_200600_302600_NS10device_ptrIiEESB_iNS9_4plusIvEEiEEDaPvRmT3_T4_T5_mT6_P12ihipStream_tbENKUlT_T0_E_clISt17integral_constantIbLb1EESR_EEDaSM_SN_EUlSM_E0_NS1_11comp_targetILNS1_3genE5ELNS1_11target_archE942ELNS1_3gpuE9ELNS1_3repE0EEENS1_30default_config_static_selectorELNS0_4arch9wavefront6targetE1EEEvT1_, .Lfunc_end6850-_ZN7rocprim17ROCPRIM_400000_NS6detail17trampoline_kernelINS0_14default_configENS1_20scan_config_selectorIiEEZZNS1_9scan_implILNS1_25lookback_scan_determinismE0ELb1ELb1ES3_N6thrust23THRUST_200600_302600_NS10device_ptrIiEESB_iNS9_4plusIvEEiEEDaPvRmT3_T4_T5_mT6_P12ihipStream_tbENKUlT_T0_E_clISt17integral_constantIbLb1EESR_EEDaSM_SN_EUlSM_E0_NS1_11comp_targetILNS1_3genE5ELNS1_11target_archE942ELNS1_3gpuE9ELNS1_3repE0EEENS1_30default_config_static_selectorELNS0_4arch9wavefront6targetE1EEEvT1_
                                        ; -- End function
	.section	.AMDGPU.csdata,"",@progbits
; Kernel info:
; codeLenInByte = 0
; NumSgprs: 4
; NumVgprs: 0
; NumAgprs: 0
; TotalNumVgprs: 0
; ScratchSize: 0
; MemoryBound: 0
; FloatMode: 240
; IeeeMode: 1
; LDSByteSize: 0 bytes/workgroup (compile time only)
; SGPRBlocks: 0
; VGPRBlocks: 0
; NumSGPRsForWavesPerEU: 4
; NumVGPRsForWavesPerEU: 1
; AccumOffset: 4
; Occupancy: 8
; WaveLimiterHint : 0
; COMPUTE_PGM_RSRC2:SCRATCH_EN: 0
; COMPUTE_PGM_RSRC2:USER_SGPR: 6
; COMPUTE_PGM_RSRC2:TRAP_HANDLER: 0
; COMPUTE_PGM_RSRC2:TGID_X_EN: 1
; COMPUTE_PGM_RSRC2:TGID_Y_EN: 0
; COMPUTE_PGM_RSRC2:TGID_Z_EN: 0
; COMPUTE_PGM_RSRC2:TIDIG_COMP_CNT: 0
; COMPUTE_PGM_RSRC3_GFX90A:ACCUM_OFFSET: 0
; COMPUTE_PGM_RSRC3_GFX90A:TG_SPLIT: 0
	.section	.text._ZN7rocprim17ROCPRIM_400000_NS6detail17trampoline_kernelINS0_14default_configENS1_20scan_config_selectorIiEEZZNS1_9scan_implILNS1_25lookback_scan_determinismE0ELb1ELb1ES3_N6thrust23THRUST_200600_302600_NS10device_ptrIiEESB_iNS9_4plusIvEEiEEDaPvRmT3_T4_T5_mT6_P12ihipStream_tbENKUlT_T0_E_clISt17integral_constantIbLb1EESR_EEDaSM_SN_EUlSM_E0_NS1_11comp_targetILNS1_3genE4ELNS1_11target_archE910ELNS1_3gpuE8ELNS1_3repE0EEENS1_30default_config_static_selectorELNS0_4arch9wavefront6targetE1EEEvT1_,"axG",@progbits,_ZN7rocprim17ROCPRIM_400000_NS6detail17trampoline_kernelINS0_14default_configENS1_20scan_config_selectorIiEEZZNS1_9scan_implILNS1_25lookback_scan_determinismE0ELb1ELb1ES3_N6thrust23THRUST_200600_302600_NS10device_ptrIiEESB_iNS9_4plusIvEEiEEDaPvRmT3_T4_T5_mT6_P12ihipStream_tbENKUlT_T0_E_clISt17integral_constantIbLb1EESR_EEDaSM_SN_EUlSM_E0_NS1_11comp_targetILNS1_3genE4ELNS1_11target_archE910ELNS1_3gpuE8ELNS1_3repE0EEENS1_30default_config_static_selectorELNS0_4arch9wavefront6targetE1EEEvT1_,comdat
	.protected	_ZN7rocprim17ROCPRIM_400000_NS6detail17trampoline_kernelINS0_14default_configENS1_20scan_config_selectorIiEEZZNS1_9scan_implILNS1_25lookback_scan_determinismE0ELb1ELb1ES3_N6thrust23THRUST_200600_302600_NS10device_ptrIiEESB_iNS9_4plusIvEEiEEDaPvRmT3_T4_T5_mT6_P12ihipStream_tbENKUlT_T0_E_clISt17integral_constantIbLb1EESR_EEDaSM_SN_EUlSM_E0_NS1_11comp_targetILNS1_3genE4ELNS1_11target_archE910ELNS1_3gpuE8ELNS1_3repE0EEENS1_30default_config_static_selectorELNS0_4arch9wavefront6targetE1EEEvT1_ ; -- Begin function _ZN7rocprim17ROCPRIM_400000_NS6detail17trampoline_kernelINS0_14default_configENS1_20scan_config_selectorIiEEZZNS1_9scan_implILNS1_25lookback_scan_determinismE0ELb1ELb1ES3_N6thrust23THRUST_200600_302600_NS10device_ptrIiEESB_iNS9_4plusIvEEiEEDaPvRmT3_T4_T5_mT6_P12ihipStream_tbENKUlT_T0_E_clISt17integral_constantIbLb1EESR_EEDaSM_SN_EUlSM_E0_NS1_11comp_targetILNS1_3genE4ELNS1_11target_archE910ELNS1_3gpuE8ELNS1_3repE0EEENS1_30default_config_static_selectorELNS0_4arch9wavefront6targetE1EEEvT1_
	.globl	_ZN7rocprim17ROCPRIM_400000_NS6detail17trampoline_kernelINS0_14default_configENS1_20scan_config_selectorIiEEZZNS1_9scan_implILNS1_25lookback_scan_determinismE0ELb1ELb1ES3_N6thrust23THRUST_200600_302600_NS10device_ptrIiEESB_iNS9_4plusIvEEiEEDaPvRmT3_T4_T5_mT6_P12ihipStream_tbENKUlT_T0_E_clISt17integral_constantIbLb1EESR_EEDaSM_SN_EUlSM_E0_NS1_11comp_targetILNS1_3genE4ELNS1_11target_archE910ELNS1_3gpuE8ELNS1_3repE0EEENS1_30default_config_static_selectorELNS0_4arch9wavefront6targetE1EEEvT1_
	.p2align	8
	.type	_ZN7rocprim17ROCPRIM_400000_NS6detail17trampoline_kernelINS0_14default_configENS1_20scan_config_selectorIiEEZZNS1_9scan_implILNS1_25lookback_scan_determinismE0ELb1ELb1ES3_N6thrust23THRUST_200600_302600_NS10device_ptrIiEESB_iNS9_4plusIvEEiEEDaPvRmT3_T4_T5_mT6_P12ihipStream_tbENKUlT_T0_E_clISt17integral_constantIbLb1EESR_EEDaSM_SN_EUlSM_E0_NS1_11comp_targetILNS1_3genE4ELNS1_11target_archE910ELNS1_3gpuE8ELNS1_3repE0EEENS1_30default_config_static_selectorELNS0_4arch9wavefront6targetE1EEEvT1_,@function
_ZN7rocprim17ROCPRIM_400000_NS6detail17trampoline_kernelINS0_14default_configENS1_20scan_config_selectorIiEEZZNS1_9scan_implILNS1_25lookback_scan_determinismE0ELb1ELb1ES3_N6thrust23THRUST_200600_302600_NS10device_ptrIiEESB_iNS9_4plusIvEEiEEDaPvRmT3_T4_T5_mT6_P12ihipStream_tbENKUlT_T0_E_clISt17integral_constantIbLb1EESR_EEDaSM_SN_EUlSM_E0_NS1_11comp_targetILNS1_3genE4ELNS1_11target_archE910ELNS1_3gpuE8ELNS1_3repE0EEENS1_30default_config_static_selectorELNS0_4arch9wavefront6targetE1EEEvT1_: ; @_ZN7rocprim17ROCPRIM_400000_NS6detail17trampoline_kernelINS0_14default_configENS1_20scan_config_selectorIiEEZZNS1_9scan_implILNS1_25lookback_scan_determinismE0ELb1ELb1ES3_N6thrust23THRUST_200600_302600_NS10device_ptrIiEESB_iNS9_4plusIvEEiEEDaPvRmT3_T4_T5_mT6_P12ihipStream_tbENKUlT_T0_E_clISt17integral_constantIbLb1EESR_EEDaSM_SN_EUlSM_E0_NS1_11comp_targetILNS1_3genE4ELNS1_11target_archE910ELNS1_3gpuE8ELNS1_3repE0EEENS1_30default_config_static_selectorELNS0_4arch9wavefront6targetE1EEEvT1_
; %bb.0:
	s_load_dwordx4 s[20:23], s[4:5], 0x0
	v_lshlrev_b32_e32 v14, 2, v0
	s_waitcnt lgkmcnt(0)
	s_load_dword s23, s[20:21], 0x0
	v_cmp_gt_u32_e32 vcc, s22, v0
	s_waitcnt lgkmcnt(0)
	v_mov_b32_e32 v1, s23
	s_and_saveexec_b64 s[0:1], vcc
	s_cbranch_execz .LBB6851_2
; %bb.1:
	global_load_dword v1, v14, s[20:21]
.LBB6851_2:
	s_or_b64 exec, exec, s[0:1]
	v_or_b32_e32 v2, 0x80, v0
	v_cmp_gt_u32_e64 s[0:1], s22, v2
	v_mov_b32_e32 v2, s23
	s_and_saveexec_b64 s[2:3], s[0:1]
	s_cbranch_execz .LBB6851_4
; %bb.3:
	global_load_dword v2, v14, s[20:21] offset:512
.LBB6851_4:
	s_or_b64 exec, exec, s[2:3]
	v_or_b32_e32 v3, 0x100, v0
	v_cmp_gt_u32_e64 s[2:3], s22, v3
	v_mov_b32_e32 v3, s23
	s_and_saveexec_b64 s[6:7], s[2:3]
	s_cbranch_execz .LBB6851_6
; %bb.5:
	global_load_dword v3, v14, s[20:21] offset:1024
.LBB6851_6:
	s_or_b64 exec, exec, s[6:7]
	v_or_b32_e32 v4, 0x180, v0
	v_cmp_gt_u32_e64 s[18:19], s22, v4
	v_mov_b32_e32 v4, s23
	s_and_saveexec_b64 s[6:7], s[18:19]
	s_cbranch_execz .LBB6851_8
; %bb.7:
	global_load_dword v4, v14, s[20:21] offset:1536
.LBB6851_8:
	s_or_b64 exec, exec, s[6:7]
	v_or_b32_e32 v5, 0x200, v0
	v_cmp_gt_u32_e64 s[6:7], s22, v5
	v_mov_b32_e32 v5, s23
	s_and_saveexec_b64 s[8:9], s[6:7]
	s_cbranch_execz .LBB6851_10
; %bb.9:
	global_load_dword v5, v14, s[20:21] offset:2048
.LBB6851_10:
	s_or_b64 exec, exec, s[8:9]
	v_or_b32_e32 v6, 0x280, v0
	v_cmp_gt_u32_e64 s[8:9], s22, v6
	v_mov_b32_e32 v6, s23
	s_and_saveexec_b64 s[10:11], s[8:9]
	s_cbranch_execz .LBB6851_12
; %bb.11:
	global_load_dword v6, v14, s[20:21] offset:2560
.LBB6851_12:
	s_or_b64 exec, exec, s[10:11]
	v_or_b32_e32 v7, 0x300, v0
	v_cmp_gt_u32_e64 s[10:11], s22, v7
	v_mov_b32_e32 v7, s23
	s_and_saveexec_b64 s[12:13], s[10:11]
	s_cbranch_execz .LBB6851_14
; %bb.13:
	global_load_dword v7, v14, s[20:21] offset:3072
.LBB6851_14:
	s_or_b64 exec, exec, s[12:13]
	v_or_b32_e32 v8, 0x380, v0
	v_cmp_gt_u32_e64 s[12:13], s22, v8
	v_mov_b32_e32 v8, s23
	s_and_saveexec_b64 s[14:15], s[12:13]
	s_cbranch_execz .LBB6851_16
; %bb.15:
	global_load_dword v8, v14, s[20:21] offset:3584
.LBB6851_16:
	s_or_b64 exec, exec, s[14:15]
	v_or_b32_e32 v10, 0x400, v0
	v_cmp_gt_u32_e64 s[14:15], s22, v10
	v_mov_b32_e32 v9, s23
	s_and_saveexec_b64 s[16:17], s[14:15]
	s_cbranch_execz .LBB6851_18
; %bb.17:
	v_lshlrev_b32_e32 v9, 2, v10
	global_load_dword v9, v9, s[20:21]
.LBB6851_18:
	s_or_b64 exec, exec, s[16:17]
	s_load_dword s24, s[4:5], 0x10
	v_or_b32_e32 v11, 0x480, v0
	v_cmp_gt_u32_e64 s[16:17], s22, v11
	v_mov_b32_e32 v10, s23
	s_and_saveexec_b64 s[22:23], s[16:17]
	s_cbranch_execz .LBB6851_20
; %bb.19:
	v_lshlrev_b32_e32 v10, 2, v11
	global_load_dword v10, v10, s[20:21]
.LBB6851_20:
	s_or_b64 exec, exec, s[22:23]
	s_waitcnt vmcnt(0)
	ds_write2st64_b32 v14, v1, v2 offset1:2
	ds_write2st64_b32 v14, v3, v4 offset0:4 offset1:6
	ds_write2st64_b32 v14, v5, v6 offset0:8 offset1:10
	;; [unrolled: 1-line block ×4, first 2 shown]
	v_mad_u32_u24 v1, v0, 36, v14
	s_waitcnt lgkmcnt(0)
	s_barrier
	ds_read2_b64 v[6:9], v1 offset1:1
	ds_read2_b64 v[2:5], v1 offset0:2 offset1:3
	ds_read_b64 v[10:11], v1 offset:32
	s_load_dwordx2 s[20:21], s[4:5], 0x18
	v_cmp_gt_u32_e64 s[4:5], 64, v0
	s_waitcnt lgkmcnt(0)
	v_add_u32_e32 v1, v7, v6
	v_add3_u32 v1, v1, v8, v9
	v_add3_u32 v1, v1, v2, v3
	;; [unrolled: 1-line block ×4, first 2 shown]
	v_lshrrev_b32_e32 v11, 3, v0
	v_and_b32_e32 v11, 12, v11
	v_add_u32_e32 v11, v14, v11
	s_barrier
	ds_write_b32 v11, v1
	s_waitcnt lgkmcnt(0)
	s_barrier
	s_and_saveexec_b64 s[22:23], s[4:5]
	s_cbranch_execz .LBB6851_22
; %bb.21:
	v_lshlrev_b32_e32 v11, 1, v0
	v_lshrrev_b32_e32 v12, 4, v0
	v_add_lshl_u32 v11, v12, v11, 2
	ds_read2_b32 v[12:13], v11 offset1:1
	v_mbcnt_lo_u32_b32 v15, -1, 0
	v_mbcnt_hi_u32_b32 v15, -1, v15
	v_and_b32_e32 v16, 15, v15
	v_cmp_ne_u32_e64 s[4:5], 0, v16
	s_waitcnt lgkmcnt(0)
	v_add_u32_e32 v13, v13, v12
	; wave barrier
	s_nop 1
	v_mov_b32_dpp v17, v13 row_shr:1 row_mask:0xf bank_mask:0xf
	v_cndmask_b32_e64 v17, 0, v17, s[4:5]
	v_add_u32_e32 v13, v17, v13
	v_cmp_lt_u32_e64 s[4:5], 1, v16
	s_nop 0
	v_mov_b32_dpp v17, v13 row_shr:2 row_mask:0xf bank_mask:0xf
	v_cndmask_b32_e64 v17, 0, v17, s[4:5]
	v_add_u32_e32 v13, v13, v17
	v_cmp_lt_u32_e64 s[4:5], 3, v16
	;; [unrolled: 5-line block ×3, first 2 shown]
	s_nop 0
	v_mov_b32_dpp v17, v13 row_shr:8 row_mask:0xf bank_mask:0xf
	v_cndmask_b32_e64 v16, 0, v17, s[4:5]
	v_add_u32_e32 v13, v13, v16
	v_bfe_i32 v17, v15, 4, 1
	v_cmp_lt_u32_e64 s[4:5], 31, v15
	v_mov_b32_dpp v16, v13 row_bcast:15 row_mask:0xf bank_mask:0xf
	v_and_b32_e32 v16, v17, v16
	v_add_u32_e32 v13, v13, v16
	v_and_b32_e32 v17, 64, v15
	s_nop 0
	v_mov_b32_dpp v16, v13 row_bcast:31 row_mask:0xf bank_mask:0xf
	v_cndmask_b32_e64 v16, 0, v16, s[4:5]
	v_add_u32_e32 v13, v13, v16
	v_add_u32_e32 v16, -1, v15
	v_cmp_lt_i32_e64 s[4:5], v16, v17
	v_cndmask_b32_e64 v15, v16, v15, s[4:5]
	v_lshlrev_b32_e32 v15, 2, v15
	ds_bpermute_b32 v13, v15, v13
	v_cmp_eq_u32_e64 s[4:5], 0, v0
	s_waitcnt lgkmcnt(0)
	v_add_u32_e32 v12, v13, v12
	v_cndmask_b32_e64 v1, v12, v1, s[4:5]
	ds_write_b32 v11, v1
	; wave barrier
	ds_read_b32 v12, v11 offset:4
	s_waitcnt lgkmcnt(0)
	v_add_u32_e32 v1, v12, v1
	ds_write_b32 v11, v1 offset:4
.LBB6851_22:
	s_or_b64 exec, exec, s[22:23]
	v_mul_u32_u24_e32 v1, 36, v0
	v_cmp_ne_u32_e64 s[4:5], 0, v0
	v_mov_b32_e32 v12, s24
	s_waitcnt lgkmcnt(0)
	s_barrier
	s_and_saveexec_b64 s[22:23], s[4:5]
	s_cbranch_execz .LBB6851_24
; %bb.23:
	v_add_u32_e32 v0, -1, v0
	v_lshrrev_b32_e32 v11, 5, v0
	v_add_lshl_u32 v0, v11, v0, 2
	ds_read_b32 v0, v0
	s_waitcnt lgkmcnt(0)
	v_add_u32_e32 v12, s24, v0
.LBB6851_24:
	s_or_b64 exec, exec, s[22:23]
	v_add_u32_e32 v13, v12, v6
	v_add_u32_e32 v6, v13, v7
	;; [unrolled: 1-line block ×10, first 2 shown]
	s_barrier
	ds_write2_b64 v0, v[12:13], v[6:7] offset1:1
	ds_write2_b64 v0, v[8:9], v[2:3] offset0:2 offset1:3
	ds_write_b64 v0, v[4:5] offset:32
	s_waitcnt lgkmcnt(0)
	s_barrier
	ds_read2st64_b32 v[8:9], v14 offset0:2 offset1:4
	ds_read2st64_b32 v[6:7], v14 offset0:6 offset1:8
	ds_read2st64_b32 v[4:5], v14 offset0:10 offset1:12
	ds_read2st64_b32 v[2:3], v14 offset0:14 offset1:16
	ds_read_b32 v10, v14 offset:4608
	v_mov_b32_e32 v1, s21
	v_add_co_u32_e64 v0, s[4:5], s20, v14
	v_addc_co_u32_e64 v1, s[4:5], 0, v1, s[4:5]
	s_and_saveexec_b64 s[4:5], vcc
	s_cbranch_execnz .LBB6851_35
; %bb.25:
	s_or_b64 exec, exec, s[4:5]
	s_and_saveexec_b64 s[4:5], s[0:1]
	s_cbranch_execnz .LBB6851_36
.LBB6851_26:
	s_or_b64 exec, exec, s[4:5]
	s_and_saveexec_b64 s[0:1], s[2:3]
	s_cbranch_execnz .LBB6851_37
.LBB6851_27:
	s_or_b64 exec, exec, s[0:1]
	s_and_saveexec_b64 s[0:1], s[18:19]
	s_cbranch_execnz .LBB6851_38
.LBB6851_28:
	s_or_b64 exec, exec, s[0:1]
	s_and_saveexec_b64 s[0:1], s[6:7]
	s_cbranch_execnz .LBB6851_39
.LBB6851_29:
	s_or_b64 exec, exec, s[0:1]
	s_and_saveexec_b64 s[0:1], s[8:9]
	s_cbranch_execnz .LBB6851_40
.LBB6851_30:
	s_or_b64 exec, exec, s[0:1]
	s_and_saveexec_b64 s[0:1], s[10:11]
	s_cbranch_execnz .LBB6851_41
.LBB6851_31:
	s_or_b64 exec, exec, s[0:1]
	s_and_saveexec_b64 s[0:1], s[12:13]
	s_cbranch_execnz .LBB6851_42
.LBB6851_32:
	s_or_b64 exec, exec, s[0:1]
	s_and_saveexec_b64 s[0:1], s[14:15]
	s_cbranch_execnz .LBB6851_43
.LBB6851_33:
	s_or_b64 exec, exec, s[0:1]
	s_and_saveexec_b64 s[0:1], s[16:17]
	s_cbranch_execnz .LBB6851_44
.LBB6851_34:
	s_endpgm
.LBB6851_35:
	ds_read_b32 v11, v14
	s_waitcnt lgkmcnt(0)
	global_store_dword v[0:1], v11, off
	s_or_b64 exec, exec, s[4:5]
	s_and_saveexec_b64 s[4:5], s[0:1]
	s_cbranch_execz .LBB6851_26
.LBB6851_36:
	s_waitcnt lgkmcnt(4)
	global_store_dword v[0:1], v8, off offset:512
	s_or_b64 exec, exec, s[4:5]
	s_and_saveexec_b64 s[0:1], s[2:3]
	s_cbranch_execz .LBB6851_27
.LBB6851_37:
	s_waitcnt lgkmcnt(4)
	global_store_dword v[0:1], v9, off offset:1024
	s_or_b64 exec, exec, s[0:1]
	s_and_saveexec_b64 s[0:1], s[18:19]
	s_cbranch_execz .LBB6851_28
.LBB6851_38:
	s_waitcnt lgkmcnt(3)
	global_store_dword v[0:1], v6, off offset:1536
	s_or_b64 exec, exec, s[0:1]
	s_and_saveexec_b64 s[0:1], s[6:7]
	s_cbranch_execz .LBB6851_29
.LBB6851_39:
	s_waitcnt lgkmcnt(3)
	global_store_dword v[0:1], v7, off offset:2048
	s_or_b64 exec, exec, s[0:1]
	s_and_saveexec_b64 s[0:1], s[8:9]
	s_cbranch_execz .LBB6851_30
.LBB6851_40:
	s_waitcnt lgkmcnt(2)
	global_store_dword v[0:1], v4, off offset:2560
	s_or_b64 exec, exec, s[0:1]
	s_and_saveexec_b64 s[0:1], s[10:11]
	s_cbranch_execz .LBB6851_31
.LBB6851_41:
	s_waitcnt lgkmcnt(2)
	global_store_dword v[0:1], v5, off offset:3072
	s_or_b64 exec, exec, s[0:1]
	s_and_saveexec_b64 s[0:1], s[12:13]
	s_cbranch_execz .LBB6851_32
.LBB6851_42:
	s_waitcnt lgkmcnt(1)
	global_store_dword v[0:1], v2, off offset:3584
	s_or_b64 exec, exec, s[0:1]
	s_and_saveexec_b64 s[0:1], s[14:15]
	s_cbranch_execz .LBB6851_33
.LBB6851_43:
	s_waitcnt lgkmcnt(2)
	v_add_co_u32_e32 v4, vcc, 0x1000, v0
	v_addc_co_u32_e32 v5, vcc, 0, v1, vcc
	s_waitcnt lgkmcnt(1)
	global_store_dword v[4:5], v3, off
	s_or_b64 exec, exec, s[0:1]
	s_and_saveexec_b64 s[0:1], s[16:17]
	s_cbranch_execz .LBB6851_34
.LBB6851_44:
	v_add_co_u32_e32 v0, vcc, 0x1000, v0
	v_addc_co_u32_e32 v1, vcc, 0, v1, vcc
	s_waitcnt lgkmcnt(0)
	global_store_dword v[0:1], v10, off offset:512
	s_endpgm
	.section	.rodata,"a",@progbits
	.p2align	6, 0x0
	.amdhsa_kernel _ZN7rocprim17ROCPRIM_400000_NS6detail17trampoline_kernelINS0_14default_configENS1_20scan_config_selectorIiEEZZNS1_9scan_implILNS1_25lookback_scan_determinismE0ELb1ELb1ES3_N6thrust23THRUST_200600_302600_NS10device_ptrIiEESB_iNS9_4plusIvEEiEEDaPvRmT3_T4_T5_mT6_P12ihipStream_tbENKUlT_T0_E_clISt17integral_constantIbLb1EESR_EEDaSM_SN_EUlSM_E0_NS1_11comp_targetILNS1_3genE4ELNS1_11target_archE910ELNS1_3gpuE8ELNS1_3repE0EEENS1_30default_config_static_selectorELNS0_4arch9wavefront6targetE1EEEvT1_
		.amdhsa_group_segment_fixed_size 5120
		.amdhsa_private_segment_fixed_size 0
		.amdhsa_kernarg_size 32
		.amdhsa_user_sgpr_count 6
		.amdhsa_user_sgpr_private_segment_buffer 1
		.amdhsa_user_sgpr_dispatch_ptr 0
		.amdhsa_user_sgpr_queue_ptr 0
		.amdhsa_user_sgpr_kernarg_segment_ptr 1
		.amdhsa_user_sgpr_dispatch_id 0
		.amdhsa_user_sgpr_flat_scratch_init 0
		.amdhsa_user_sgpr_kernarg_preload_length 0
		.amdhsa_user_sgpr_kernarg_preload_offset 0
		.amdhsa_user_sgpr_private_segment_size 0
		.amdhsa_uses_dynamic_stack 0
		.amdhsa_system_sgpr_private_segment_wavefront_offset 0
		.amdhsa_system_sgpr_workgroup_id_x 1
		.amdhsa_system_sgpr_workgroup_id_y 0
		.amdhsa_system_sgpr_workgroup_id_z 0
		.amdhsa_system_sgpr_workgroup_info 0
		.amdhsa_system_vgpr_workitem_id 0
		.amdhsa_next_free_vgpr 18
		.amdhsa_next_free_sgpr 25
		.amdhsa_accum_offset 20
		.amdhsa_reserve_vcc 1
		.amdhsa_reserve_flat_scratch 0
		.amdhsa_float_round_mode_32 0
		.amdhsa_float_round_mode_16_64 0
		.amdhsa_float_denorm_mode_32 3
		.amdhsa_float_denorm_mode_16_64 3
		.amdhsa_dx10_clamp 1
		.amdhsa_ieee_mode 1
		.amdhsa_fp16_overflow 0
		.amdhsa_tg_split 0
		.amdhsa_exception_fp_ieee_invalid_op 0
		.amdhsa_exception_fp_denorm_src 0
		.amdhsa_exception_fp_ieee_div_zero 0
		.amdhsa_exception_fp_ieee_overflow 0
		.amdhsa_exception_fp_ieee_underflow 0
		.amdhsa_exception_fp_ieee_inexact 0
		.amdhsa_exception_int_div_zero 0
	.end_amdhsa_kernel
	.section	.text._ZN7rocprim17ROCPRIM_400000_NS6detail17trampoline_kernelINS0_14default_configENS1_20scan_config_selectorIiEEZZNS1_9scan_implILNS1_25lookback_scan_determinismE0ELb1ELb1ES3_N6thrust23THRUST_200600_302600_NS10device_ptrIiEESB_iNS9_4plusIvEEiEEDaPvRmT3_T4_T5_mT6_P12ihipStream_tbENKUlT_T0_E_clISt17integral_constantIbLb1EESR_EEDaSM_SN_EUlSM_E0_NS1_11comp_targetILNS1_3genE4ELNS1_11target_archE910ELNS1_3gpuE8ELNS1_3repE0EEENS1_30default_config_static_selectorELNS0_4arch9wavefront6targetE1EEEvT1_,"axG",@progbits,_ZN7rocprim17ROCPRIM_400000_NS6detail17trampoline_kernelINS0_14default_configENS1_20scan_config_selectorIiEEZZNS1_9scan_implILNS1_25lookback_scan_determinismE0ELb1ELb1ES3_N6thrust23THRUST_200600_302600_NS10device_ptrIiEESB_iNS9_4plusIvEEiEEDaPvRmT3_T4_T5_mT6_P12ihipStream_tbENKUlT_T0_E_clISt17integral_constantIbLb1EESR_EEDaSM_SN_EUlSM_E0_NS1_11comp_targetILNS1_3genE4ELNS1_11target_archE910ELNS1_3gpuE8ELNS1_3repE0EEENS1_30default_config_static_selectorELNS0_4arch9wavefront6targetE1EEEvT1_,comdat
.Lfunc_end6851:
	.size	_ZN7rocprim17ROCPRIM_400000_NS6detail17trampoline_kernelINS0_14default_configENS1_20scan_config_selectorIiEEZZNS1_9scan_implILNS1_25lookback_scan_determinismE0ELb1ELb1ES3_N6thrust23THRUST_200600_302600_NS10device_ptrIiEESB_iNS9_4plusIvEEiEEDaPvRmT3_T4_T5_mT6_P12ihipStream_tbENKUlT_T0_E_clISt17integral_constantIbLb1EESR_EEDaSM_SN_EUlSM_E0_NS1_11comp_targetILNS1_3genE4ELNS1_11target_archE910ELNS1_3gpuE8ELNS1_3repE0EEENS1_30default_config_static_selectorELNS0_4arch9wavefront6targetE1EEEvT1_, .Lfunc_end6851-_ZN7rocprim17ROCPRIM_400000_NS6detail17trampoline_kernelINS0_14default_configENS1_20scan_config_selectorIiEEZZNS1_9scan_implILNS1_25lookback_scan_determinismE0ELb1ELb1ES3_N6thrust23THRUST_200600_302600_NS10device_ptrIiEESB_iNS9_4plusIvEEiEEDaPvRmT3_T4_T5_mT6_P12ihipStream_tbENKUlT_T0_E_clISt17integral_constantIbLb1EESR_EEDaSM_SN_EUlSM_E0_NS1_11comp_targetILNS1_3genE4ELNS1_11target_archE910ELNS1_3gpuE8ELNS1_3repE0EEENS1_30default_config_static_selectorELNS0_4arch9wavefront6targetE1EEEvT1_
                                        ; -- End function
	.section	.AMDGPU.csdata,"",@progbits
; Kernel info:
; codeLenInByte = 1536
; NumSgprs: 29
; NumVgprs: 18
; NumAgprs: 0
; TotalNumVgprs: 18
; ScratchSize: 0
; MemoryBound: 0
; FloatMode: 240
; IeeeMode: 1
; LDSByteSize: 5120 bytes/workgroup (compile time only)
; SGPRBlocks: 3
; VGPRBlocks: 2
; NumSGPRsForWavesPerEU: 29
; NumVGPRsForWavesPerEU: 18
; AccumOffset: 20
; Occupancy: 6
; WaveLimiterHint : 0
; COMPUTE_PGM_RSRC2:SCRATCH_EN: 0
; COMPUTE_PGM_RSRC2:USER_SGPR: 6
; COMPUTE_PGM_RSRC2:TRAP_HANDLER: 0
; COMPUTE_PGM_RSRC2:TGID_X_EN: 1
; COMPUTE_PGM_RSRC2:TGID_Y_EN: 0
; COMPUTE_PGM_RSRC2:TGID_Z_EN: 0
; COMPUTE_PGM_RSRC2:TIDIG_COMP_CNT: 0
; COMPUTE_PGM_RSRC3_GFX90A:ACCUM_OFFSET: 4
; COMPUTE_PGM_RSRC3_GFX90A:TG_SPLIT: 0
	.section	.text._ZN7rocprim17ROCPRIM_400000_NS6detail17trampoline_kernelINS0_14default_configENS1_20scan_config_selectorIiEEZZNS1_9scan_implILNS1_25lookback_scan_determinismE0ELb1ELb1ES3_N6thrust23THRUST_200600_302600_NS10device_ptrIiEESB_iNS9_4plusIvEEiEEDaPvRmT3_T4_T5_mT6_P12ihipStream_tbENKUlT_T0_E_clISt17integral_constantIbLb1EESR_EEDaSM_SN_EUlSM_E0_NS1_11comp_targetILNS1_3genE3ELNS1_11target_archE908ELNS1_3gpuE7ELNS1_3repE0EEENS1_30default_config_static_selectorELNS0_4arch9wavefront6targetE1EEEvT1_,"axG",@progbits,_ZN7rocprim17ROCPRIM_400000_NS6detail17trampoline_kernelINS0_14default_configENS1_20scan_config_selectorIiEEZZNS1_9scan_implILNS1_25lookback_scan_determinismE0ELb1ELb1ES3_N6thrust23THRUST_200600_302600_NS10device_ptrIiEESB_iNS9_4plusIvEEiEEDaPvRmT3_T4_T5_mT6_P12ihipStream_tbENKUlT_T0_E_clISt17integral_constantIbLb1EESR_EEDaSM_SN_EUlSM_E0_NS1_11comp_targetILNS1_3genE3ELNS1_11target_archE908ELNS1_3gpuE7ELNS1_3repE0EEENS1_30default_config_static_selectorELNS0_4arch9wavefront6targetE1EEEvT1_,comdat
	.protected	_ZN7rocprim17ROCPRIM_400000_NS6detail17trampoline_kernelINS0_14default_configENS1_20scan_config_selectorIiEEZZNS1_9scan_implILNS1_25lookback_scan_determinismE0ELb1ELb1ES3_N6thrust23THRUST_200600_302600_NS10device_ptrIiEESB_iNS9_4plusIvEEiEEDaPvRmT3_T4_T5_mT6_P12ihipStream_tbENKUlT_T0_E_clISt17integral_constantIbLb1EESR_EEDaSM_SN_EUlSM_E0_NS1_11comp_targetILNS1_3genE3ELNS1_11target_archE908ELNS1_3gpuE7ELNS1_3repE0EEENS1_30default_config_static_selectorELNS0_4arch9wavefront6targetE1EEEvT1_ ; -- Begin function _ZN7rocprim17ROCPRIM_400000_NS6detail17trampoline_kernelINS0_14default_configENS1_20scan_config_selectorIiEEZZNS1_9scan_implILNS1_25lookback_scan_determinismE0ELb1ELb1ES3_N6thrust23THRUST_200600_302600_NS10device_ptrIiEESB_iNS9_4plusIvEEiEEDaPvRmT3_T4_T5_mT6_P12ihipStream_tbENKUlT_T0_E_clISt17integral_constantIbLb1EESR_EEDaSM_SN_EUlSM_E0_NS1_11comp_targetILNS1_3genE3ELNS1_11target_archE908ELNS1_3gpuE7ELNS1_3repE0EEENS1_30default_config_static_selectorELNS0_4arch9wavefront6targetE1EEEvT1_
	.globl	_ZN7rocprim17ROCPRIM_400000_NS6detail17trampoline_kernelINS0_14default_configENS1_20scan_config_selectorIiEEZZNS1_9scan_implILNS1_25lookback_scan_determinismE0ELb1ELb1ES3_N6thrust23THRUST_200600_302600_NS10device_ptrIiEESB_iNS9_4plusIvEEiEEDaPvRmT3_T4_T5_mT6_P12ihipStream_tbENKUlT_T0_E_clISt17integral_constantIbLb1EESR_EEDaSM_SN_EUlSM_E0_NS1_11comp_targetILNS1_3genE3ELNS1_11target_archE908ELNS1_3gpuE7ELNS1_3repE0EEENS1_30default_config_static_selectorELNS0_4arch9wavefront6targetE1EEEvT1_
	.p2align	8
	.type	_ZN7rocprim17ROCPRIM_400000_NS6detail17trampoline_kernelINS0_14default_configENS1_20scan_config_selectorIiEEZZNS1_9scan_implILNS1_25lookback_scan_determinismE0ELb1ELb1ES3_N6thrust23THRUST_200600_302600_NS10device_ptrIiEESB_iNS9_4plusIvEEiEEDaPvRmT3_T4_T5_mT6_P12ihipStream_tbENKUlT_T0_E_clISt17integral_constantIbLb1EESR_EEDaSM_SN_EUlSM_E0_NS1_11comp_targetILNS1_3genE3ELNS1_11target_archE908ELNS1_3gpuE7ELNS1_3repE0EEENS1_30default_config_static_selectorELNS0_4arch9wavefront6targetE1EEEvT1_,@function
_ZN7rocprim17ROCPRIM_400000_NS6detail17trampoline_kernelINS0_14default_configENS1_20scan_config_selectorIiEEZZNS1_9scan_implILNS1_25lookback_scan_determinismE0ELb1ELb1ES3_N6thrust23THRUST_200600_302600_NS10device_ptrIiEESB_iNS9_4plusIvEEiEEDaPvRmT3_T4_T5_mT6_P12ihipStream_tbENKUlT_T0_E_clISt17integral_constantIbLb1EESR_EEDaSM_SN_EUlSM_E0_NS1_11comp_targetILNS1_3genE3ELNS1_11target_archE908ELNS1_3gpuE7ELNS1_3repE0EEENS1_30default_config_static_selectorELNS0_4arch9wavefront6targetE1EEEvT1_: ; @_ZN7rocprim17ROCPRIM_400000_NS6detail17trampoline_kernelINS0_14default_configENS1_20scan_config_selectorIiEEZZNS1_9scan_implILNS1_25lookback_scan_determinismE0ELb1ELb1ES3_N6thrust23THRUST_200600_302600_NS10device_ptrIiEESB_iNS9_4plusIvEEiEEDaPvRmT3_T4_T5_mT6_P12ihipStream_tbENKUlT_T0_E_clISt17integral_constantIbLb1EESR_EEDaSM_SN_EUlSM_E0_NS1_11comp_targetILNS1_3genE3ELNS1_11target_archE908ELNS1_3gpuE7ELNS1_3repE0EEENS1_30default_config_static_selectorELNS0_4arch9wavefront6targetE1EEEvT1_
; %bb.0:
	.section	.rodata,"a",@progbits
	.p2align	6, 0x0
	.amdhsa_kernel _ZN7rocprim17ROCPRIM_400000_NS6detail17trampoline_kernelINS0_14default_configENS1_20scan_config_selectorIiEEZZNS1_9scan_implILNS1_25lookback_scan_determinismE0ELb1ELb1ES3_N6thrust23THRUST_200600_302600_NS10device_ptrIiEESB_iNS9_4plusIvEEiEEDaPvRmT3_T4_T5_mT6_P12ihipStream_tbENKUlT_T0_E_clISt17integral_constantIbLb1EESR_EEDaSM_SN_EUlSM_E0_NS1_11comp_targetILNS1_3genE3ELNS1_11target_archE908ELNS1_3gpuE7ELNS1_3repE0EEENS1_30default_config_static_selectorELNS0_4arch9wavefront6targetE1EEEvT1_
		.amdhsa_group_segment_fixed_size 0
		.amdhsa_private_segment_fixed_size 0
		.amdhsa_kernarg_size 32
		.amdhsa_user_sgpr_count 6
		.amdhsa_user_sgpr_private_segment_buffer 1
		.amdhsa_user_sgpr_dispatch_ptr 0
		.amdhsa_user_sgpr_queue_ptr 0
		.amdhsa_user_sgpr_kernarg_segment_ptr 1
		.amdhsa_user_sgpr_dispatch_id 0
		.amdhsa_user_sgpr_flat_scratch_init 0
		.amdhsa_user_sgpr_kernarg_preload_length 0
		.amdhsa_user_sgpr_kernarg_preload_offset 0
		.amdhsa_user_sgpr_private_segment_size 0
		.amdhsa_uses_dynamic_stack 0
		.amdhsa_system_sgpr_private_segment_wavefront_offset 0
		.amdhsa_system_sgpr_workgroup_id_x 1
		.amdhsa_system_sgpr_workgroup_id_y 0
		.amdhsa_system_sgpr_workgroup_id_z 0
		.amdhsa_system_sgpr_workgroup_info 0
		.amdhsa_system_vgpr_workitem_id 0
		.amdhsa_next_free_vgpr 1
		.amdhsa_next_free_sgpr 0
		.amdhsa_accum_offset 4
		.amdhsa_reserve_vcc 0
		.amdhsa_reserve_flat_scratch 0
		.amdhsa_float_round_mode_32 0
		.amdhsa_float_round_mode_16_64 0
		.amdhsa_float_denorm_mode_32 3
		.amdhsa_float_denorm_mode_16_64 3
		.amdhsa_dx10_clamp 1
		.amdhsa_ieee_mode 1
		.amdhsa_fp16_overflow 0
		.amdhsa_tg_split 0
		.amdhsa_exception_fp_ieee_invalid_op 0
		.amdhsa_exception_fp_denorm_src 0
		.amdhsa_exception_fp_ieee_div_zero 0
		.amdhsa_exception_fp_ieee_overflow 0
		.amdhsa_exception_fp_ieee_underflow 0
		.amdhsa_exception_fp_ieee_inexact 0
		.amdhsa_exception_int_div_zero 0
	.end_amdhsa_kernel
	.section	.text._ZN7rocprim17ROCPRIM_400000_NS6detail17trampoline_kernelINS0_14default_configENS1_20scan_config_selectorIiEEZZNS1_9scan_implILNS1_25lookback_scan_determinismE0ELb1ELb1ES3_N6thrust23THRUST_200600_302600_NS10device_ptrIiEESB_iNS9_4plusIvEEiEEDaPvRmT3_T4_T5_mT6_P12ihipStream_tbENKUlT_T0_E_clISt17integral_constantIbLb1EESR_EEDaSM_SN_EUlSM_E0_NS1_11comp_targetILNS1_3genE3ELNS1_11target_archE908ELNS1_3gpuE7ELNS1_3repE0EEENS1_30default_config_static_selectorELNS0_4arch9wavefront6targetE1EEEvT1_,"axG",@progbits,_ZN7rocprim17ROCPRIM_400000_NS6detail17trampoline_kernelINS0_14default_configENS1_20scan_config_selectorIiEEZZNS1_9scan_implILNS1_25lookback_scan_determinismE0ELb1ELb1ES3_N6thrust23THRUST_200600_302600_NS10device_ptrIiEESB_iNS9_4plusIvEEiEEDaPvRmT3_T4_T5_mT6_P12ihipStream_tbENKUlT_T0_E_clISt17integral_constantIbLb1EESR_EEDaSM_SN_EUlSM_E0_NS1_11comp_targetILNS1_3genE3ELNS1_11target_archE908ELNS1_3gpuE7ELNS1_3repE0EEENS1_30default_config_static_selectorELNS0_4arch9wavefront6targetE1EEEvT1_,comdat
.Lfunc_end6852:
	.size	_ZN7rocprim17ROCPRIM_400000_NS6detail17trampoline_kernelINS0_14default_configENS1_20scan_config_selectorIiEEZZNS1_9scan_implILNS1_25lookback_scan_determinismE0ELb1ELb1ES3_N6thrust23THRUST_200600_302600_NS10device_ptrIiEESB_iNS9_4plusIvEEiEEDaPvRmT3_T4_T5_mT6_P12ihipStream_tbENKUlT_T0_E_clISt17integral_constantIbLb1EESR_EEDaSM_SN_EUlSM_E0_NS1_11comp_targetILNS1_3genE3ELNS1_11target_archE908ELNS1_3gpuE7ELNS1_3repE0EEENS1_30default_config_static_selectorELNS0_4arch9wavefront6targetE1EEEvT1_, .Lfunc_end6852-_ZN7rocprim17ROCPRIM_400000_NS6detail17trampoline_kernelINS0_14default_configENS1_20scan_config_selectorIiEEZZNS1_9scan_implILNS1_25lookback_scan_determinismE0ELb1ELb1ES3_N6thrust23THRUST_200600_302600_NS10device_ptrIiEESB_iNS9_4plusIvEEiEEDaPvRmT3_T4_T5_mT6_P12ihipStream_tbENKUlT_T0_E_clISt17integral_constantIbLb1EESR_EEDaSM_SN_EUlSM_E0_NS1_11comp_targetILNS1_3genE3ELNS1_11target_archE908ELNS1_3gpuE7ELNS1_3repE0EEENS1_30default_config_static_selectorELNS0_4arch9wavefront6targetE1EEEvT1_
                                        ; -- End function
	.section	.AMDGPU.csdata,"",@progbits
; Kernel info:
; codeLenInByte = 0
; NumSgprs: 4
; NumVgprs: 0
; NumAgprs: 0
; TotalNumVgprs: 0
; ScratchSize: 0
; MemoryBound: 0
; FloatMode: 240
; IeeeMode: 1
; LDSByteSize: 0 bytes/workgroup (compile time only)
; SGPRBlocks: 0
; VGPRBlocks: 0
; NumSGPRsForWavesPerEU: 4
; NumVGPRsForWavesPerEU: 1
; AccumOffset: 4
; Occupancy: 8
; WaveLimiterHint : 0
; COMPUTE_PGM_RSRC2:SCRATCH_EN: 0
; COMPUTE_PGM_RSRC2:USER_SGPR: 6
; COMPUTE_PGM_RSRC2:TRAP_HANDLER: 0
; COMPUTE_PGM_RSRC2:TGID_X_EN: 1
; COMPUTE_PGM_RSRC2:TGID_Y_EN: 0
; COMPUTE_PGM_RSRC2:TGID_Z_EN: 0
; COMPUTE_PGM_RSRC2:TIDIG_COMP_CNT: 0
; COMPUTE_PGM_RSRC3_GFX90A:ACCUM_OFFSET: 0
; COMPUTE_PGM_RSRC3_GFX90A:TG_SPLIT: 0
	.section	.text._ZN7rocprim17ROCPRIM_400000_NS6detail17trampoline_kernelINS0_14default_configENS1_20scan_config_selectorIiEEZZNS1_9scan_implILNS1_25lookback_scan_determinismE0ELb1ELb1ES3_N6thrust23THRUST_200600_302600_NS10device_ptrIiEESB_iNS9_4plusIvEEiEEDaPvRmT3_T4_T5_mT6_P12ihipStream_tbENKUlT_T0_E_clISt17integral_constantIbLb1EESR_EEDaSM_SN_EUlSM_E0_NS1_11comp_targetILNS1_3genE2ELNS1_11target_archE906ELNS1_3gpuE6ELNS1_3repE0EEENS1_30default_config_static_selectorELNS0_4arch9wavefront6targetE1EEEvT1_,"axG",@progbits,_ZN7rocprim17ROCPRIM_400000_NS6detail17trampoline_kernelINS0_14default_configENS1_20scan_config_selectorIiEEZZNS1_9scan_implILNS1_25lookback_scan_determinismE0ELb1ELb1ES3_N6thrust23THRUST_200600_302600_NS10device_ptrIiEESB_iNS9_4plusIvEEiEEDaPvRmT3_T4_T5_mT6_P12ihipStream_tbENKUlT_T0_E_clISt17integral_constantIbLb1EESR_EEDaSM_SN_EUlSM_E0_NS1_11comp_targetILNS1_3genE2ELNS1_11target_archE906ELNS1_3gpuE6ELNS1_3repE0EEENS1_30default_config_static_selectorELNS0_4arch9wavefront6targetE1EEEvT1_,comdat
	.protected	_ZN7rocprim17ROCPRIM_400000_NS6detail17trampoline_kernelINS0_14default_configENS1_20scan_config_selectorIiEEZZNS1_9scan_implILNS1_25lookback_scan_determinismE0ELb1ELb1ES3_N6thrust23THRUST_200600_302600_NS10device_ptrIiEESB_iNS9_4plusIvEEiEEDaPvRmT3_T4_T5_mT6_P12ihipStream_tbENKUlT_T0_E_clISt17integral_constantIbLb1EESR_EEDaSM_SN_EUlSM_E0_NS1_11comp_targetILNS1_3genE2ELNS1_11target_archE906ELNS1_3gpuE6ELNS1_3repE0EEENS1_30default_config_static_selectorELNS0_4arch9wavefront6targetE1EEEvT1_ ; -- Begin function _ZN7rocprim17ROCPRIM_400000_NS6detail17trampoline_kernelINS0_14default_configENS1_20scan_config_selectorIiEEZZNS1_9scan_implILNS1_25lookback_scan_determinismE0ELb1ELb1ES3_N6thrust23THRUST_200600_302600_NS10device_ptrIiEESB_iNS9_4plusIvEEiEEDaPvRmT3_T4_T5_mT6_P12ihipStream_tbENKUlT_T0_E_clISt17integral_constantIbLb1EESR_EEDaSM_SN_EUlSM_E0_NS1_11comp_targetILNS1_3genE2ELNS1_11target_archE906ELNS1_3gpuE6ELNS1_3repE0EEENS1_30default_config_static_selectorELNS0_4arch9wavefront6targetE1EEEvT1_
	.globl	_ZN7rocprim17ROCPRIM_400000_NS6detail17trampoline_kernelINS0_14default_configENS1_20scan_config_selectorIiEEZZNS1_9scan_implILNS1_25lookback_scan_determinismE0ELb1ELb1ES3_N6thrust23THRUST_200600_302600_NS10device_ptrIiEESB_iNS9_4plusIvEEiEEDaPvRmT3_T4_T5_mT6_P12ihipStream_tbENKUlT_T0_E_clISt17integral_constantIbLb1EESR_EEDaSM_SN_EUlSM_E0_NS1_11comp_targetILNS1_3genE2ELNS1_11target_archE906ELNS1_3gpuE6ELNS1_3repE0EEENS1_30default_config_static_selectorELNS0_4arch9wavefront6targetE1EEEvT1_
	.p2align	8
	.type	_ZN7rocprim17ROCPRIM_400000_NS6detail17trampoline_kernelINS0_14default_configENS1_20scan_config_selectorIiEEZZNS1_9scan_implILNS1_25lookback_scan_determinismE0ELb1ELb1ES3_N6thrust23THRUST_200600_302600_NS10device_ptrIiEESB_iNS9_4plusIvEEiEEDaPvRmT3_T4_T5_mT6_P12ihipStream_tbENKUlT_T0_E_clISt17integral_constantIbLb1EESR_EEDaSM_SN_EUlSM_E0_NS1_11comp_targetILNS1_3genE2ELNS1_11target_archE906ELNS1_3gpuE6ELNS1_3repE0EEENS1_30default_config_static_selectorELNS0_4arch9wavefront6targetE1EEEvT1_,@function
_ZN7rocprim17ROCPRIM_400000_NS6detail17trampoline_kernelINS0_14default_configENS1_20scan_config_selectorIiEEZZNS1_9scan_implILNS1_25lookback_scan_determinismE0ELb1ELb1ES3_N6thrust23THRUST_200600_302600_NS10device_ptrIiEESB_iNS9_4plusIvEEiEEDaPvRmT3_T4_T5_mT6_P12ihipStream_tbENKUlT_T0_E_clISt17integral_constantIbLb1EESR_EEDaSM_SN_EUlSM_E0_NS1_11comp_targetILNS1_3genE2ELNS1_11target_archE906ELNS1_3gpuE6ELNS1_3repE0EEENS1_30default_config_static_selectorELNS0_4arch9wavefront6targetE1EEEvT1_: ; @_ZN7rocprim17ROCPRIM_400000_NS6detail17trampoline_kernelINS0_14default_configENS1_20scan_config_selectorIiEEZZNS1_9scan_implILNS1_25lookback_scan_determinismE0ELb1ELb1ES3_N6thrust23THRUST_200600_302600_NS10device_ptrIiEESB_iNS9_4plusIvEEiEEDaPvRmT3_T4_T5_mT6_P12ihipStream_tbENKUlT_T0_E_clISt17integral_constantIbLb1EESR_EEDaSM_SN_EUlSM_E0_NS1_11comp_targetILNS1_3genE2ELNS1_11target_archE906ELNS1_3gpuE6ELNS1_3repE0EEENS1_30default_config_static_selectorELNS0_4arch9wavefront6targetE1EEEvT1_
; %bb.0:
	.section	.rodata,"a",@progbits
	.p2align	6, 0x0
	.amdhsa_kernel _ZN7rocprim17ROCPRIM_400000_NS6detail17trampoline_kernelINS0_14default_configENS1_20scan_config_selectorIiEEZZNS1_9scan_implILNS1_25lookback_scan_determinismE0ELb1ELb1ES3_N6thrust23THRUST_200600_302600_NS10device_ptrIiEESB_iNS9_4plusIvEEiEEDaPvRmT3_T4_T5_mT6_P12ihipStream_tbENKUlT_T0_E_clISt17integral_constantIbLb1EESR_EEDaSM_SN_EUlSM_E0_NS1_11comp_targetILNS1_3genE2ELNS1_11target_archE906ELNS1_3gpuE6ELNS1_3repE0EEENS1_30default_config_static_selectorELNS0_4arch9wavefront6targetE1EEEvT1_
		.amdhsa_group_segment_fixed_size 0
		.amdhsa_private_segment_fixed_size 0
		.amdhsa_kernarg_size 32
		.amdhsa_user_sgpr_count 6
		.amdhsa_user_sgpr_private_segment_buffer 1
		.amdhsa_user_sgpr_dispatch_ptr 0
		.amdhsa_user_sgpr_queue_ptr 0
		.amdhsa_user_sgpr_kernarg_segment_ptr 1
		.amdhsa_user_sgpr_dispatch_id 0
		.amdhsa_user_sgpr_flat_scratch_init 0
		.amdhsa_user_sgpr_kernarg_preload_length 0
		.amdhsa_user_sgpr_kernarg_preload_offset 0
		.amdhsa_user_sgpr_private_segment_size 0
		.amdhsa_uses_dynamic_stack 0
		.amdhsa_system_sgpr_private_segment_wavefront_offset 0
		.amdhsa_system_sgpr_workgroup_id_x 1
		.amdhsa_system_sgpr_workgroup_id_y 0
		.amdhsa_system_sgpr_workgroup_id_z 0
		.amdhsa_system_sgpr_workgroup_info 0
		.amdhsa_system_vgpr_workitem_id 0
		.amdhsa_next_free_vgpr 1
		.amdhsa_next_free_sgpr 0
		.amdhsa_accum_offset 4
		.amdhsa_reserve_vcc 0
		.amdhsa_reserve_flat_scratch 0
		.amdhsa_float_round_mode_32 0
		.amdhsa_float_round_mode_16_64 0
		.amdhsa_float_denorm_mode_32 3
		.amdhsa_float_denorm_mode_16_64 3
		.amdhsa_dx10_clamp 1
		.amdhsa_ieee_mode 1
		.amdhsa_fp16_overflow 0
		.amdhsa_tg_split 0
		.amdhsa_exception_fp_ieee_invalid_op 0
		.amdhsa_exception_fp_denorm_src 0
		.amdhsa_exception_fp_ieee_div_zero 0
		.amdhsa_exception_fp_ieee_overflow 0
		.amdhsa_exception_fp_ieee_underflow 0
		.amdhsa_exception_fp_ieee_inexact 0
		.amdhsa_exception_int_div_zero 0
	.end_amdhsa_kernel
	.section	.text._ZN7rocprim17ROCPRIM_400000_NS6detail17trampoline_kernelINS0_14default_configENS1_20scan_config_selectorIiEEZZNS1_9scan_implILNS1_25lookback_scan_determinismE0ELb1ELb1ES3_N6thrust23THRUST_200600_302600_NS10device_ptrIiEESB_iNS9_4plusIvEEiEEDaPvRmT3_T4_T5_mT6_P12ihipStream_tbENKUlT_T0_E_clISt17integral_constantIbLb1EESR_EEDaSM_SN_EUlSM_E0_NS1_11comp_targetILNS1_3genE2ELNS1_11target_archE906ELNS1_3gpuE6ELNS1_3repE0EEENS1_30default_config_static_selectorELNS0_4arch9wavefront6targetE1EEEvT1_,"axG",@progbits,_ZN7rocprim17ROCPRIM_400000_NS6detail17trampoline_kernelINS0_14default_configENS1_20scan_config_selectorIiEEZZNS1_9scan_implILNS1_25lookback_scan_determinismE0ELb1ELb1ES3_N6thrust23THRUST_200600_302600_NS10device_ptrIiEESB_iNS9_4plusIvEEiEEDaPvRmT3_T4_T5_mT6_P12ihipStream_tbENKUlT_T0_E_clISt17integral_constantIbLb1EESR_EEDaSM_SN_EUlSM_E0_NS1_11comp_targetILNS1_3genE2ELNS1_11target_archE906ELNS1_3gpuE6ELNS1_3repE0EEENS1_30default_config_static_selectorELNS0_4arch9wavefront6targetE1EEEvT1_,comdat
.Lfunc_end6853:
	.size	_ZN7rocprim17ROCPRIM_400000_NS6detail17trampoline_kernelINS0_14default_configENS1_20scan_config_selectorIiEEZZNS1_9scan_implILNS1_25lookback_scan_determinismE0ELb1ELb1ES3_N6thrust23THRUST_200600_302600_NS10device_ptrIiEESB_iNS9_4plusIvEEiEEDaPvRmT3_T4_T5_mT6_P12ihipStream_tbENKUlT_T0_E_clISt17integral_constantIbLb1EESR_EEDaSM_SN_EUlSM_E0_NS1_11comp_targetILNS1_3genE2ELNS1_11target_archE906ELNS1_3gpuE6ELNS1_3repE0EEENS1_30default_config_static_selectorELNS0_4arch9wavefront6targetE1EEEvT1_, .Lfunc_end6853-_ZN7rocprim17ROCPRIM_400000_NS6detail17trampoline_kernelINS0_14default_configENS1_20scan_config_selectorIiEEZZNS1_9scan_implILNS1_25lookback_scan_determinismE0ELb1ELb1ES3_N6thrust23THRUST_200600_302600_NS10device_ptrIiEESB_iNS9_4plusIvEEiEEDaPvRmT3_T4_T5_mT6_P12ihipStream_tbENKUlT_T0_E_clISt17integral_constantIbLb1EESR_EEDaSM_SN_EUlSM_E0_NS1_11comp_targetILNS1_3genE2ELNS1_11target_archE906ELNS1_3gpuE6ELNS1_3repE0EEENS1_30default_config_static_selectorELNS0_4arch9wavefront6targetE1EEEvT1_
                                        ; -- End function
	.section	.AMDGPU.csdata,"",@progbits
; Kernel info:
; codeLenInByte = 0
; NumSgprs: 4
; NumVgprs: 0
; NumAgprs: 0
; TotalNumVgprs: 0
; ScratchSize: 0
; MemoryBound: 0
; FloatMode: 240
; IeeeMode: 1
; LDSByteSize: 0 bytes/workgroup (compile time only)
; SGPRBlocks: 0
; VGPRBlocks: 0
; NumSGPRsForWavesPerEU: 4
; NumVGPRsForWavesPerEU: 1
; AccumOffset: 4
; Occupancy: 8
; WaveLimiterHint : 0
; COMPUTE_PGM_RSRC2:SCRATCH_EN: 0
; COMPUTE_PGM_RSRC2:USER_SGPR: 6
; COMPUTE_PGM_RSRC2:TRAP_HANDLER: 0
; COMPUTE_PGM_RSRC2:TGID_X_EN: 1
; COMPUTE_PGM_RSRC2:TGID_Y_EN: 0
; COMPUTE_PGM_RSRC2:TGID_Z_EN: 0
; COMPUTE_PGM_RSRC2:TIDIG_COMP_CNT: 0
; COMPUTE_PGM_RSRC3_GFX90A:ACCUM_OFFSET: 0
; COMPUTE_PGM_RSRC3_GFX90A:TG_SPLIT: 0
	.section	.text._ZN7rocprim17ROCPRIM_400000_NS6detail17trampoline_kernelINS0_14default_configENS1_20scan_config_selectorIiEEZZNS1_9scan_implILNS1_25lookback_scan_determinismE0ELb1ELb1ES3_N6thrust23THRUST_200600_302600_NS10device_ptrIiEESB_iNS9_4plusIvEEiEEDaPvRmT3_T4_T5_mT6_P12ihipStream_tbENKUlT_T0_E_clISt17integral_constantIbLb1EESR_EEDaSM_SN_EUlSM_E0_NS1_11comp_targetILNS1_3genE10ELNS1_11target_archE1201ELNS1_3gpuE5ELNS1_3repE0EEENS1_30default_config_static_selectorELNS0_4arch9wavefront6targetE1EEEvT1_,"axG",@progbits,_ZN7rocprim17ROCPRIM_400000_NS6detail17trampoline_kernelINS0_14default_configENS1_20scan_config_selectorIiEEZZNS1_9scan_implILNS1_25lookback_scan_determinismE0ELb1ELb1ES3_N6thrust23THRUST_200600_302600_NS10device_ptrIiEESB_iNS9_4plusIvEEiEEDaPvRmT3_T4_T5_mT6_P12ihipStream_tbENKUlT_T0_E_clISt17integral_constantIbLb1EESR_EEDaSM_SN_EUlSM_E0_NS1_11comp_targetILNS1_3genE10ELNS1_11target_archE1201ELNS1_3gpuE5ELNS1_3repE0EEENS1_30default_config_static_selectorELNS0_4arch9wavefront6targetE1EEEvT1_,comdat
	.protected	_ZN7rocprim17ROCPRIM_400000_NS6detail17trampoline_kernelINS0_14default_configENS1_20scan_config_selectorIiEEZZNS1_9scan_implILNS1_25lookback_scan_determinismE0ELb1ELb1ES3_N6thrust23THRUST_200600_302600_NS10device_ptrIiEESB_iNS9_4plusIvEEiEEDaPvRmT3_T4_T5_mT6_P12ihipStream_tbENKUlT_T0_E_clISt17integral_constantIbLb1EESR_EEDaSM_SN_EUlSM_E0_NS1_11comp_targetILNS1_3genE10ELNS1_11target_archE1201ELNS1_3gpuE5ELNS1_3repE0EEENS1_30default_config_static_selectorELNS0_4arch9wavefront6targetE1EEEvT1_ ; -- Begin function _ZN7rocprim17ROCPRIM_400000_NS6detail17trampoline_kernelINS0_14default_configENS1_20scan_config_selectorIiEEZZNS1_9scan_implILNS1_25lookback_scan_determinismE0ELb1ELb1ES3_N6thrust23THRUST_200600_302600_NS10device_ptrIiEESB_iNS9_4plusIvEEiEEDaPvRmT3_T4_T5_mT6_P12ihipStream_tbENKUlT_T0_E_clISt17integral_constantIbLb1EESR_EEDaSM_SN_EUlSM_E0_NS1_11comp_targetILNS1_3genE10ELNS1_11target_archE1201ELNS1_3gpuE5ELNS1_3repE0EEENS1_30default_config_static_selectorELNS0_4arch9wavefront6targetE1EEEvT1_
	.globl	_ZN7rocprim17ROCPRIM_400000_NS6detail17trampoline_kernelINS0_14default_configENS1_20scan_config_selectorIiEEZZNS1_9scan_implILNS1_25lookback_scan_determinismE0ELb1ELb1ES3_N6thrust23THRUST_200600_302600_NS10device_ptrIiEESB_iNS9_4plusIvEEiEEDaPvRmT3_T4_T5_mT6_P12ihipStream_tbENKUlT_T0_E_clISt17integral_constantIbLb1EESR_EEDaSM_SN_EUlSM_E0_NS1_11comp_targetILNS1_3genE10ELNS1_11target_archE1201ELNS1_3gpuE5ELNS1_3repE0EEENS1_30default_config_static_selectorELNS0_4arch9wavefront6targetE1EEEvT1_
	.p2align	8
	.type	_ZN7rocprim17ROCPRIM_400000_NS6detail17trampoline_kernelINS0_14default_configENS1_20scan_config_selectorIiEEZZNS1_9scan_implILNS1_25lookback_scan_determinismE0ELb1ELb1ES3_N6thrust23THRUST_200600_302600_NS10device_ptrIiEESB_iNS9_4plusIvEEiEEDaPvRmT3_T4_T5_mT6_P12ihipStream_tbENKUlT_T0_E_clISt17integral_constantIbLb1EESR_EEDaSM_SN_EUlSM_E0_NS1_11comp_targetILNS1_3genE10ELNS1_11target_archE1201ELNS1_3gpuE5ELNS1_3repE0EEENS1_30default_config_static_selectorELNS0_4arch9wavefront6targetE1EEEvT1_,@function
_ZN7rocprim17ROCPRIM_400000_NS6detail17trampoline_kernelINS0_14default_configENS1_20scan_config_selectorIiEEZZNS1_9scan_implILNS1_25lookback_scan_determinismE0ELb1ELb1ES3_N6thrust23THRUST_200600_302600_NS10device_ptrIiEESB_iNS9_4plusIvEEiEEDaPvRmT3_T4_T5_mT6_P12ihipStream_tbENKUlT_T0_E_clISt17integral_constantIbLb1EESR_EEDaSM_SN_EUlSM_E0_NS1_11comp_targetILNS1_3genE10ELNS1_11target_archE1201ELNS1_3gpuE5ELNS1_3repE0EEENS1_30default_config_static_selectorELNS0_4arch9wavefront6targetE1EEEvT1_: ; @_ZN7rocprim17ROCPRIM_400000_NS6detail17trampoline_kernelINS0_14default_configENS1_20scan_config_selectorIiEEZZNS1_9scan_implILNS1_25lookback_scan_determinismE0ELb1ELb1ES3_N6thrust23THRUST_200600_302600_NS10device_ptrIiEESB_iNS9_4plusIvEEiEEDaPvRmT3_T4_T5_mT6_P12ihipStream_tbENKUlT_T0_E_clISt17integral_constantIbLb1EESR_EEDaSM_SN_EUlSM_E0_NS1_11comp_targetILNS1_3genE10ELNS1_11target_archE1201ELNS1_3gpuE5ELNS1_3repE0EEENS1_30default_config_static_selectorELNS0_4arch9wavefront6targetE1EEEvT1_
; %bb.0:
	.section	.rodata,"a",@progbits
	.p2align	6, 0x0
	.amdhsa_kernel _ZN7rocprim17ROCPRIM_400000_NS6detail17trampoline_kernelINS0_14default_configENS1_20scan_config_selectorIiEEZZNS1_9scan_implILNS1_25lookback_scan_determinismE0ELb1ELb1ES3_N6thrust23THRUST_200600_302600_NS10device_ptrIiEESB_iNS9_4plusIvEEiEEDaPvRmT3_T4_T5_mT6_P12ihipStream_tbENKUlT_T0_E_clISt17integral_constantIbLb1EESR_EEDaSM_SN_EUlSM_E0_NS1_11comp_targetILNS1_3genE10ELNS1_11target_archE1201ELNS1_3gpuE5ELNS1_3repE0EEENS1_30default_config_static_selectorELNS0_4arch9wavefront6targetE1EEEvT1_
		.amdhsa_group_segment_fixed_size 0
		.amdhsa_private_segment_fixed_size 0
		.amdhsa_kernarg_size 32
		.amdhsa_user_sgpr_count 6
		.amdhsa_user_sgpr_private_segment_buffer 1
		.amdhsa_user_sgpr_dispatch_ptr 0
		.amdhsa_user_sgpr_queue_ptr 0
		.amdhsa_user_sgpr_kernarg_segment_ptr 1
		.amdhsa_user_sgpr_dispatch_id 0
		.amdhsa_user_sgpr_flat_scratch_init 0
		.amdhsa_user_sgpr_kernarg_preload_length 0
		.amdhsa_user_sgpr_kernarg_preload_offset 0
		.amdhsa_user_sgpr_private_segment_size 0
		.amdhsa_uses_dynamic_stack 0
		.amdhsa_system_sgpr_private_segment_wavefront_offset 0
		.amdhsa_system_sgpr_workgroup_id_x 1
		.amdhsa_system_sgpr_workgroup_id_y 0
		.amdhsa_system_sgpr_workgroup_id_z 0
		.amdhsa_system_sgpr_workgroup_info 0
		.amdhsa_system_vgpr_workitem_id 0
		.amdhsa_next_free_vgpr 1
		.amdhsa_next_free_sgpr 0
		.amdhsa_accum_offset 4
		.amdhsa_reserve_vcc 0
		.amdhsa_reserve_flat_scratch 0
		.amdhsa_float_round_mode_32 0
		.amdhsa_float_round_mode_16_64 0
		.amdhsa_float_denorm_mode_32 3
		.amdhsa_float_denorm_mode_16_64 3
		.amdhsa_dx10_clamp 1
		.amdhsa_ieee_mode 1
		.amdhsa_fp16_overflow 0
		.amdhsa_tg_split 0
		.amdhsa_exception_fp_ieee_invalid_op 0
		.amdhsa_exception_fp_denorm_src 0
		.amdhsa_exception_fp_ieee_div_zero 0
		.amdhsa_exception_fp_ieee_overflow 0
		.amdhsa_exception_fp_ieee_underflow 0
		.amdhsa_exception_fp_ieee_inexact 0
		.amdhsa_exception_int_div_zero 0
	.end_amdhsa_kernel
	.section	.text._ZN7rocprim17ROCPRIM_400000_NS6detail17trampoline_kernelINS0_14default_configENS1_20scan_config_selectorIiEEZZNS1_9scan_implILNS1_25lookback_scan_determinismE0ELb1ELb1ES3_N6thrust23THRUST_200600_302600_NS10device_ptrIiEESB_iNS9_4plusIvEEiEEDaPvRmT3_T4_T5_mT6_P12ihipStream_tbENKUlT_T0_E_clISt17integral_constantIbLb1EESR_EEDaSM_SN_EUlSM_E0_NS1_11comp_targetILNS1_3genE10ELNS1_11target_archE1201ELNS1_3gpuE5ELNS1_3repE0EEENS1_30default_config_static_selectorELNS0_4arch9wavefront6targetE1EEEvT1_,"axG",@progbits,_ZN7rocprim17ROCPRIM_400000_NS6detail17trampoline_kernelINS0_14default_configENS1_20scan_config_selectorIiEEZZNS1_9scan_implILNS1_25lookback_scan_determinismE0ELb1ELb1ES3_N6thrust23THRUST_200600_302600_NS10device_ptrIiEESB_iNS9_4plusIvEEiEEDaPvRmT3_T4_T5_mT6_P12ihipStream_tbENKUlT_T0_E_clISt17integral_constantIbLb1EESR_EEDaSM_SN_EUlSM_E0_NS1_11comp_targetILNS1_3genE10ELNS1_11target_archE1201ELNS1_3gpuE5ELNS1_3repE0EEENS1_30default_config_static_selectorELNS0_4arch9wavefront6targetE1EEEvT1_,comdat
.Lfunc_end6854:
	.size	_ZN7rocprim17ROCPRIM_400000_NS6detail17trampoline_kernelINS0_14default_configENS1_20scan_config_selectorIiEEZZNS1_9scan_implILNS1_25lookback_scan_determinismE0ELb1ELb1ES3_N6thrust23THRUST_200600_302600_NS10device_ptrIiEESB_iNS9_4plusIvEEiEEDaPvRmT3_T4_T5_mT6_P12ihipStream_tbENKUlT_T0_E_clISt17integral_constantIbLb1EESR_EEDaSM_SN_EUlSM_E0_NS1_11comp_targetILNS1_3genE10ELNS1_11target_archE1201ELNS1_3gpuE5ELNS1_3repE0EEENS1_30default_config_static_selectorELNS0_4arch9wavefront6targetE1EEEvT1_, .Lfunc_end6854-_ZN7rocprim17ROCPRIM_400000_NS6detail17trampoline_kernelINS0_14default_configENS1_20scan_config_selectorIiEEZZNS1_9scan_implILNS1_25lookback_scan_determinismE0ELb1ELb1ES3_N6thrust23THRUST_200600_302600_NS10device_ptrIiEESB_iNS9_4plusIvEEiEEDaPvRmT3_T4_T5_mT6_P12ihipStream_tbENKUlT_T0_E_clISt17integral_constantIbLb1EESR_EEDaSM_SN_EUlSM_E0_NS1_11comp_targetILNS1_3genE10ELNS1_11target_archE1201ELNS1_3gpuE5ELNS1_3repE0EEENS1_30default_config_static_selectorELNS0_4arch9wavefront6targetE1EEEvT1_
                                        ; -- End function
	.section	.AMDGPU.csdata,"",@progbits
; Kernel info:
; codeLenInByte = 0
; NumSgprs: 4
; NumVgprs: 0
; NumAgprs: 0
; TotalNumVgprs: 0
; ScratchSize: 0
; MemoryBound: 0
; FloatMode: 240
; IeeeMode: 1
; LDSByteSize: 0 bytes/workgroup (compile time only)
; SGPRBlocks: 0
; VGPRBlocks: 0
; NumSGPRsForWavesPerEU: 4
; NumVGPRsForWavesPerEU: 1
; AccumOffset: 4
; Occupancy: 8
; WaveLimiterHint : 0
; COMPUTE_PGM_RSRC2:SCRATCH_EN: 0
; COMPUTE_PGM_RSRC2:USER_SGPR: 6
; COMPUTE_PGM_RSRC2:TRAP_HANDLER: 0
; COMPUTE_PGM_RSRC2:TGID_X_EN: 1
; COMPUTE_PGM_RSRC2:TGID_Y_EN: 0
; COMPUTE_PGM_RSRC2:TGID_Z_EN: 0
; COMPUTE_PGM_RSRC2:TIDIG_COMP_CNT: 0
; COMPUTE_PGM_RSRC3_GFX90A:ACCUM_OFFSET: 0
; COMPUTE_PGM_RSRC3_GFX90A:TG_SPLIT: 0
	.section	.text._ZN7rocprim17ROCPRIM_400000_NS6detail17trampoline_kernelINS0_14default_configENS1_20scan_config_selectorIiEEZZNS1_9scan_implILNS1_25lookback_scan_determinismE0ELb1ELb1ES3_N6thrust23THRUST_200600_302600_NS10device_ptrIiEESB_iNS9_4plusIvEEiEEDaPvRmT3_T4_T5_mT6_P12ihipStream_tbENKUlT_T0_E_clISt17integral_constantIbLb1EESR_EEDaSM_SN_EUlSM_E0_NS1_11comp_targetILNS1_3genE10ELNS1_11target_archE1200ELNS1_3gpuE4ELNS1_3repE0EEENS1_30default_config_static_selectorELNS0_4arch9wavefront6targetE1EEEvT1_,"axG",@progbits,_ZN7rocprim17ROCPRIM_400000_NS6detail17trampoline_kernelINS0_14default_configENS1_20scan_config_selectorIiEEZZNS1_9scan_implILNS1_25lookback_scan_determinismE0ELb1ELb1ES3_N6thrust23THRUST_200600_302600_NS10device_ptrIiEESB_iNS9_4plusIvEEiEEDaPvRmT3_T4_T5_mT6_P12ihipStream_tbENKUlT_T0_E_clISt17integral_constantIbLb1EESR_EEDaSM_SN_EUlSM_E0_NS1_11comp_targetILNS1_3genE10ELNS1_11target_archE1200ELNS1_3gpuE4ELNS1_3repE0EEENS1_30default_config_static_selectorELNS0_4arch9wavefront6targetE1EEEvT1_,comdat
	.protected	_ZN7rocprim17ROCPRIM_400000_NS6detail17trampoline_kernelINS0_14default_configENS1_20scan_config_selectorIiEEZZNS1_9scan_implILNS1_25lookback_scan_determinismE0ELb1ELb1ES3_N6thrust23THRUST_200600_302600_NS10device_ptrIiEESB_iNS9_4plusIvEEiEEDaPvRmT3_T4_T5_mT6_P12ihipStream_tbENKUlT_T0_E_clISt17integral_constantIbLb1EESR_EEDaSM_SN_EUlSM_E0_NS1_11comp_targetILNS1_3genE10ELNS1_11target_archE1200ELNS1_3gpuE4ELNS1_3repE0EEENS1_30default_config_static_selectorELNS0_4arch9wavefront6targetE1EEEvT1_ ; -- Begin function _ZN7rocprim17ROCPRIM_400000_NS6detail17trampoline_kernelINS0_14default_configENS1_20scan_config_selectorIiEEZZNS1_9scan_implILNS1_25lookback_scan_determinismE0ELb1ELb1ES3_N6thrust23THRUST_200600_302600_NS10device_ptrIiEESB_iNS9_4plusIvEEiEEDaPvRmT3_T4_T5_mT6_P12ihipStream_tbENKUlT_T0_E_clISt17integral_constantIbLb1EESR_EEDaSM_SN_EUlSM_E0_NS1_11comp_targetILNS1_3genE10ELNS1_11target_archE1200ELNS1_3gpuE4ELNS1_3repE0EEENS1_30default_config_static_selectorELNS0_4arch9wavefront6targetE1EEEvT1_
	.globl	_ZN7rocprim17ROCPRIM_400000_NS6detail17trampoline_kernelINS0_14default_configENS1_20scan_config_selectorIiEEZZNS1_9scan_implILNS1_25lookback_scan_determinismE0ELb1ELb1ES3_N6thrust23THRUST_200600_302600_NS10device_ptrIiEESB_iNS9_4plusIvEEiEEDaPvRmT3_T4_T5_mT6_P12ihipStream_tbENKUlT_T0_E_clISt17integral_constantIbLb1EESR_EEDaSM_SN_EUlSM_E0_NS1_11comp_targetILNS1_3genE10ELNS1_11target_archE1200ELNS1_3gpuE4ELNS1_3repE0EEENS1_30default_config_static_selectorELNS0_4arch9wavefront6targetE1EEEvT1_
	.p2align	8
	.type	_ZN7rocprim17ROCPRIM_400000_NS6detail17trampoline_kernelINS0_14default_configENS1_20scan_config_selectorIiEEZZNS1_9scan_implILNS1_25lookback_scan_determinismE0ELb1ELb1ES3_N6thrust23THRUST_200600_302600_NS10device_ptrIiEESB_iNS9_4plusIvEEiEEDaPvRmT3_T4_T5_mT6_P12ihipStream_tbENKUlT_T0_E_clISt17integral_constantIbLb1EESR_EEDaSM_SN_EUlSM_E0_NS1_11comp_targetILNS1_3genE10ELNS1_11target_archE1200ELNS1_3gpuE4ELNS1_3repE0EEENS1_30default_config_static_selectorELNS0_4arch9wavefront6targetE1EEEvT1_,@function
_ZN7rocprim17ROCPRIM_400000_NS6detail17trampoline_kernelINS0_14default_configENS1_20scan_config_selectorIiEEZZNS1_9scan_implILNS1_25lookback_scan_determinismE0ELb1ELb1ES3_N6thrust23THRUST_200600_302600_NS10device_ptrIiEESB_iNS9_4plusIvEEiEEDaPvRmT3_T4_T5_mT6_P12ihipStream_tbENKUlT_T0_E_clISt17integral_constantIbLb1EESR_EEDaSM_SN_EUlSM_E0_NS1_11comp_targetILNS1_3genE10ELNS1_11target_archE1200ELNS1_3gpuE4ELNS1_3repE0EEENS1_30default_config_static_selectorELNS0_4arch9wavefront6targetE1EEEvT1_: ; @_ZN7rocprim17ROCPRIM_400000_NS6detail17trampoline_kernelINS0_14default_configENS1_20scan_config_selectorIiEEZZNS1_9scan_implILNS1_25lookback_scan_determinismE0ELb1ELb1ES3_N6thrust23THRUST_200600_302600_NS10device_ptrIiEESB_iNS9_4plusIvEEiEEDaPvRmT3_T4_T5_mT6_P12ihipStream_tbENKUlT_T0_E_clISt17integral_constantIbLb1EESR_EEDaSM_SN_EUlSM_E0_NS1_11comp_targetILNS1_3genE10ELNS1_11target_archE1200ELNS1_3gpuE4ELNS1_3repE0EEENS1_30default_config_static_selectorELNS0_4arch9wavefront6targetE1EEEvT1_
; %bb.0:
	.section	.rodata,"a",@progbits
	.p2align	6, 0x0
	.amdhsa_kernel _ZN7rocprim17ROCPRIM_400000_NS6detail17trampoline_kernelINS0_14default_configENS1_20scan_config_selectorIiEEZZNS1_9scan_implILNS1_25lookback_scan_determinismE0ELb1ELb1ES3_N6thrust23THRUST_200600_302600_NS10device_ptrIiEESB_iNS9_4plusIvEEiEEDaPvRmT3_T4_T5_mT6_P12ihipStream_tbENKUlT_T0_E_clISt17integral_constantIbLb1EESR_EEDaSM_SN_EUlSM_E0_NS1_11comp_targetILNS1_3genE10ELNS1_11target_archE1200ELNS1_3gpuE4ELNS1_3repE0EEENS1_30default_config_static_selectorELNS0_4arch9wavefront6targetE1EEEvT1_
		.amdhsa_group_segment_fixed_size 0
		.amdhsa_private_segment_fixed_size 0
		.amdhsa_kernarg_size 32
		.amdhsa_user_sgpr_count 6
		.amdhsa_user_sgpr_private_segment_buffer 1
		.amdhsa_user_sgpr_dispatch_ptr 0
		.amdhsa_user_sgpr_queue_ptr 0
		.amdhsa_user_sgpr_kernarg_segment_ptr 1
		.amdhsa_user_sgpr_dispatch_id 0
		.amdhsa_user_sgpr_flat_scratch_init 0
		.amdhsa_user_sgpr_kernarg_preload_length 0
		.amdhsa_user_sgpr_kernarg_preload_offset 0
		.amdhsa_user_sgpr_private_segment_size 0
		.amdhsa_uses_dynamic_stack 0
		.amdhsa_system_sgpr_private_segment_wavefront_offset 0
		.amdhsa_system_sgpr_workgroup_id_x 1
		.amdhsa_system_sgpr_workgroup_id_y 0
		.amdhsa_system_sgpr_workgroup_id_z 0
		.amdhsa_system_sgpr_workgroup_info 0
		.amdhsa_system_vgpr_workitem_id 0
		.amdhsa_next_free_vgpr 1
		.amdhsa_next_free_sgpr 0
		.amdhsa_accum_offset 4
		.amdhsa_reserve_vcc 0
		.amdhsa_reserve_flat_scratch 0
		.amdhsa_float_round_mode_32 0
		.amdhsa_float_round_mode_16_64 0
		.amdhsa_float_denorm_mode_32 3
		.amdhsa_float_denorm_mode_16_64 3
		.amdhsa_dx10_clamp 1
		.amdhsa_ieee_mode 1
		.amdhsa_fp16_overflow 0
		.amdhsa_tg_split 0
		.amdhsa_exception_fp_ieee_invalid_op 0
		.amdhsa_exception_fp_denorm_src 0
		.amdhsa_exception_fp_ieee_div_zero 0
		.amdhsa_exception_fp_ieee_overflow 0
		.amdhsa_exception_fp_ieee_underflow 0
		.amdhsa_exception_fp_ieee_inexact 0
		.amdhsa_exception_int_div_zero 0
	.end_amdhsa_kernel
	.section	.text._ZN7rocprim17ROCPRIM_400000_NS6detail17trampoline_kernelINS0_14default_configENS1_20scan_config_selectorIiEEZZNS1_9scan_implILNS1_25lookback_scan_determinismE0ELb1ELb1ES3_N6thrust23THRUST_200600_302600_NS10device_ptrIiEESB_iNS9_4plusIvEEiEEDaPvRmT3_T4_T5_mT6_P12ihipStream_tbENKUlT_T0_E_clISt17integral_constantIbLb1EESR_EEDaSM_SN_EUlSM_E0_NS1_11comp_targetILNS1_3genE10ELNS1_11target_archE1200ELNS1_3gpuE4ELNS1_3repE0EEENS1_30default_config_static_selectorELNS0_4arch9wavefront6targetE1EEEvT1_,"axG",@progbits,_ZN7rocprim17ROCPRIM_400000_NS6detail17trampoline_kernelINS0_14default_configENS1_20scan_config_selectorIiEEZZNS1_9scan_implILNS1_25lookback_scan_determinismE0ELb1ELb1ES3_N6thrust23THRUST_200600_302600_NS10device_ptrIiEESB_iNS9_4plusIvEEiEEDaPvRmT3_T4_T5_mT6_P12ihipStream_tbENKUlT_T0_E_clISt17integral_constantIbLb1EESR_EEDaSM_SN_EUlSM_E0_NS1_11comp_targetILNS1_3genE10ELNS1_11target_archE1200ELNS1_3gpuE4ELNS1_3repE0EEENS1_30default_config_static_selectorELNS0_4arch9wavefront6targetE1EEEvT1_,comdat
.Lfunc_end6855:
	.size	_ZN7rocprim17ROCPRIM_400000_NS6detail17trampoline_kernelINS0_14default_configENS1_20scan_config_selectorIiEEZZNS1_9scan_implILNS1_25lookback_scan_determinismE0ELb1ELb1ES3_N6thrust23THRUST_200600_302600_NS10device_ptrIiEESB_iNS9_4plusIvEEiEEDaPvRmT3_T4_T5_mT6_P12ihipStream_tbENKUlT_T0_E_clISt17integral_constantIbLb1EESR_EEDaSM_SN_EUlSM_E0_NS1_11comp_targetILNS1_3genE10ELNS1_11target_archE1200ELNS1_3gpuE4ELNS1_3repE0EEENS1_30default_config_static_selectorELNS0_4arch9wavefront6targetE1EEEvT1_, .Lfunc_end6855-_ZN7rocprim17ROCPRIM_400000_NS6detail17trampoline_kernelINS0_14default_configENS1_20scan_config_selectorIiEEZZNS1_9scan_implILNS1_25lookback_scan_determinismE0ELb1ELb1ES3_N6thrust23THRUST_200600_302600_NS10device_ptrIiEESB_iNS9_4plusIvEEiEEDaPvRmT3_T4_T5_mT6_P12ihipStream_tbENKUlT_T0_E_clISt17integral_constantIbLb1EESR_EEDaSM_SN_EUlSM_E0_NS1_11comp_targetILNS1_3genE10ELNS1_11target_archE1200ELNS1_3gpuE4ELNS1_3repE0EEENS1_30default_config_static_selectorELNS0_4arch9wavefront6targetE1EEEvT1_
                                        ; -- End function
	.section	.AMDGPU.csdata,"",@progbits
; Kernel info:
; codeLenInByte = 0
; NumSgprs: 4
; NumVgprs: 0
; NumAgprs: 0
; TotalNumVgprs: 0
; ScratchSize: 0
; MemoryBound: 0
; FloatMode: 240
; IeeeMode: 1
; LDSByteSize: 0 bytes/workgroup (compile time only)
; SGPRBlocks: 0
; VGPRBlocks: 0
; NumSGPRsForWavesPerEU: 4
; NumVGPRsForWavesPerEU: 1
; AccumOffset: 4
; Occupancy: 8
; WaveLimiterHint : 0
; COMPUTE_PGM_RSRC2:SCRATCH_EN: 0
; COMPUTE_PGM_RSRC2:USER_SGPR: 6
; COMPUTE_PGM_RSRC2:TRAP_HANDLER: 0
; COMPUTE_PGM_RSRC2:TGID_X_EN: 1
; COMPUTE_PGM_RSRC2:TGID_Y_EN: 0
; COMPUTE_PGM_RSRC2:TGID_Z_EN: 0
; COMPUTE_PGM_RSRC2:TIDIG_COMP_CNT: 0
; COMPUTE_PGM_RSRC3_GFX90A:ACCUM_OFFSET: 0
; COMPUTE_PGM_RSRC3_GFX90A:TG_SPLIT: 0
	.section	.text._ZN7rocprim17ROCPRIM_400000_NS6detail17trampoline_kernelINS0_14default_configENS1_20scan_config_selectorIiEEZZNS1_9scan_implILNS1_25lookback_scan_determinismE0ELb1ELb1ES3_N6thrust23THRUST_200600_302600_NS10device_ptrIiEESB_iNS9_4plusIvEEiEEDaPvRmT3_T4_T5_mT6_P12ihipStream_tbENKUlT_T0_E_clISt17integral_constantIbLb1EESR_EEDaSM_SN_EUlSM_E0_NS1_11comp_targetILNS1_3genE9ELNS1_11target_archE1100ELNS1_3gpuE3ELNS1_3repE0EEENS1_30default_config_static_selectorELNS0_4arch9wavefront6targetE1EEEvT1_,"axG",@progbits,_ZN7rocprim17ROCPRIM_400000_NS6detail17trampoline_kernelINS0_14default_configENS1_20scan_config_selectorIiEEZZNS1_9scan_implILNS1_25lookback_scan_determinismE0ELb1ELb1ES3_N6thrust23THRUST_200600_302600_NS10device_ptrIiEESB_iNS9_4plusIvEEiEEDaPvRmT3_T4_T5_mT6_P12ihipStream_tbENKUlT_T0_E_clISt17integral_constantIbLb1EESR_EEDaSM_SN_EUlSM_E0_NS1_11comp_targetILNS1_3genE9ELNS1_11target_archE1100ELNS1_3gpuE3ELNS1_3repE0EEENS1_30default_config_static_selectorELNS0_4arch9wavefront6targetE1EEEvT1_,comdat
	.protected	_ZN7rocprim17ROCPRIM_400000_NS6detail17trampoline_kernelINS0_14default_configENS1_20scan_config_selectorIiEEZZNS1_9scan_implILNS1_25lookback_scan_determinismE0ELb1ELb1ES3_N6thrust23THRUST_200600_302600_NS10device_ptrIiEESB_iNS9_4plusIvEEiEEDaPvRmT3_T4_T5_mT6_P12ihipStream_tbENKUlT_T0_E_clISt17integral_constantIbLb1EESR_EEDaSM_SN_EUlSM_E0_NS1_11comp_targetILNS1_3genE9ELNS1_11target_archE1100ELNS1_3gpuE3ELNS1_3repE0EEENS1_30default_config_static_selectorELNS0_4arch9wavefront6targetE1EEEvT1_ ; -- Begin function _ZN7rocprim17ROCPRIM_400000_NS6detail17trampoline_kernelINS0_14default_configENS1_20scan_config_selectorIiEEZZNS1_9scan_implILNS1_25lookback_scan_determinismE0ELb1ELb1ES3_N6thrust23THRUST_200600_302600_NS10device_ptrIiEESB_iNS9_4plusIvEEiEEDaPvRmT3_T4_T5_mT6_P12ihipStream_tbENKUlT_T0_E_clISt17integral_constantIbLb1EESR_EEDaSM_SN_EUlSM_E0_NS1_11comp_targetILNS1_3genE9ELNS1_11target_archE1100ELNS1_3gpuE3ELNS1_3repE0EEENS1_30default_config_static_selectorELNS0_4arch9wavefront6targetE1EEEvT1_
	.globl	_ZN7rocprim17ROCPRIM_400000_NS6detail17trampoline_kernelINS0_14default_configENS1_20scan_config_selectorIiEEZZNS1_9scan_implILNS1_25lookback_scan_determinismE0ELb1ELb1ES3_N6thrust23THRUST_200600_302600_NS10device_ptrIiEESB_iNS9_4plusIvEEiEEDaPvRmT3_T4_T5_mT6_P12ihipStream_tbENKUlT_T0_E_clISt17integral_constantIbLb1EESR_EEDaSM_SN_EUlSM_E0_NS1_11comp_targetILNS1_3genE9ELNS1_11target_archE1100ELNS1_3gpuE3ELNS1_3repE0EEENS1_30default_config_static_selectorELNS0_4arch9wavefront6targetE1EEEvT1_
	.p2align	8
	.type	_ZN7rocprim17ROCPRIM_400000_NS6detail17trampoline_kernelINS0_14default_configENS1_20scan_config_selectorIiEEZZNS1_9scan_implILNS1_25lookback_scan_determinismE0ELb1ELb1ES3_N6thrust23THRUST_200600_302600_NS10device_ptrIiEESB_iNS9_4plusIvEEiEEDaPvRmT3_T4_T5_mT6_P12ihipStream_tbENKUlT_T0_E_clISt17integral_constantIbLb1EESR_EEDaSM_SN_EUlSM_E0_NS1_11comp_targetILNS1_3genE9ELNS1_11target_archE1100ELNS1_3gpuE3ELNS1_3repE0EEENS1_30default_config_static_selectorELNS0_4arch9wavefront6targetE1EEEvT1_,@function
_ZN7rocprim17ROCPRIM_400000_NS6detail17trampoline_kernelINS0_14default_configENS1_20scan_config_selectorIiEEZZNS1_9scan_implILNS1_25lookback_scan_determinismE0ELb1ELb1ES3_N6thrust23THRUST_200600_302600_NS10device_ptrIiEESB_iNS9_4plusIvEEiEEDaPvRmT3_T4_T5_mT6_P12ihipStream_tbENKUlT_T0_E_clISt17integral_constantIbLb1EESR_EEDaSM_SN_EUlSM_E0_NS1_11comp_targetILNS1_3genE9ELNS1_11target_archE1100ELNS1_3gpuE3ELNS1_3repE0EEENS1_30default_config_static_selectorELNS0_4arch9wavefront6targetE1EEEvT1_: ; @_ZN7rocprim17ROCPRIM_400000_NS6detail17trampoline_kernelINS0_14default_configENS1_20scan_config_selectorIiEEZZNS1_9scan_implILNS1_25lookback_scan_determinismE0ELb1ELb1ES3_N6thrust23THRUST_200600_302600_NS10device_ptrIiEESB_iNS9_4plusIvEEiEEDaPvRmT3_T4_T5_mT6_P12ihipStream_tbENKUlT_T0_E_clISt17integral_constantIbLb1EESR_EEDaSM_SN_EUlSM_E0_NS1_11comp_targetILNS1_3genE9ELNS1_11target_archE1100ELNS1_3gpuE3ELNS1_3repE0EEENS1_30default_config_static_selectorELNS0_4arch9wavefront6targetE1EEEvT1_
; %bb.0:
	.section	.rodata,"a",@progbits
	.p2align	6, 0x0
	.amdhsa_kernel _ZN7rocprim17ROCPRIM_400000_NS6detail17trampoline_kernelINS0_14default_configENS1_20scan_config_selectorIiEEZZNS1_9scan_implILNS1_25lookback_scan_determinismE0ELb1ELb1ES3_N6thrust23THRUST_200600_302600_NS10device_ptrIiEESB_iNS9_4plusIvEEiEEDaPvRmT3_T4_T5_mT6_P12ihipStream_tbENKUlT_T0_E_clISt17integral_constantIbLb1EESR_EEDaSM_SN_EUlSM_E0_NS1_11comp_targetILNS1_3genE9ELNS1_11target_archE1100ELNS1_3gpuE3ELNS1_3repE0EEENS1_30default_config_static_selectorELNS0_4arch9wavefront6targetE1EEEvT1_
		.amdhsa_group_segment_fixed_size 0
		.amdhsa_private_segment_fixed_size 0
		.amdhsa_kernarg_size 32
		.amdhsa_user_sgpr_count 6
		.amdhsa_user_sgpr_private_segment_buffer 1
		.amdhsa_user_sgpr_dispatch_ptr 0
		.amdhsa_user_sgpr_queue_ptr 0
		.amdhsa_user_sgpr_kernarg_segment_ptr 1
		.amdhsa_user_sgpr_dispatch_id 0
		.amdhsa_user_sgpr_flat_scratch_init 0
		.amdhsa_user_sgpr_kernarg_preload_length 0
		.amdhsa_user_sgpr_kernarg_preload_offset 0
		.amdhsa_user_sgpr_private_segment_size 0
		.amdhsa_uses_dynamic_stack 0
		.amdhsa_system_sgpr_private_segment_wavefront_offset 0
		.amdhsa_system_sgpr_workgroup_id_x 1
		.amdhsa_system_sgpr_workgroup_id_y 0
		.amdhsa_system_sgpr_workgroup_id_z 0
		.amdhsa_system_sgpr_workgroup_info 0
		.amdhsa_system_vgpr_workitem_id 0
		.amdhsa_next_free_vgpr 1
		.amdhsa_next_free_sgpr 0
		.amdhsa_accum_offset 4
		.amdhsa_reserve_vcc 0
		.amdhsa_reserve_flat_scratch 0
		.amdhsa_float_round_mode_32 0
		.amdhsa_float_round_mode_16_64 0
		.amdhsa_float_denorm_mode_32 3
		.amdhsa_float_denorm_mode_16_64 3
		.amdhsa_dx10_clamp 1
		.amdhsa_ieee_mode 1
		.amdhsa_fp16_overflow 0
		.amdhsa_tg_split 0
		.amdhsa_exception_fp_ieee_invalid_op 0
		.amdhsa_exception_fp_denorm_src 0
		.amdhsa_exception_fp_ieee_div_zero 0
		.amdhsa_exception_fp_ieee_overflow 0
		.amdhsa_exception_fp_ieee_underflow 0
		.amdhsa_exception_fp_ieee_inexact 0
		.amdhsa_exception_int_div_zero 0
	.end_amdhsa_kernel
	.section	.text._ZN7rocprim17ROCPRIM_400000_NS6detail17trampoline_kernelINS0_14default_configENS1_20scan_config_selectorIiEEZZNS1_9scan_implILNS1_25lookback_scan_determinismE0ELb1ELb1ES3_N6thrust23THRUST_200600_302600_NS10device_ptrIiEESB_iNS9_4plusIvEEiEEDaPvRmT3_T4_T5_mT6_P12ihipStream_tbENKUlT_T0_E_clISt17integral_constantIbLb1EESR_EEDaSM_SN_EUlSM_E0_NS1_11comp_targetILNS1_3genE9ELNS1_11target_archE1100ELNS1_3gpuE3ELNS1_3repE0EEENS1_30default_config_static_selectorELNS0_4arch9wavefront6targetE1EEEvT1_,"axG",@progbits,_ZN7rocprim17ROCPRIM_400000_NS6detail17trampoline_kernelINS0_14default_configENS1_20scan_config_selectorIiEEZZNS1_9scan_implILNS1_25lookback_scan_determinismE0ELb1ELb1ES3_N6thrust23THRUST_200600_302600_NS10device_ptrIiEESB_iNS9_4plusIvEEiEEDaPvRmT3_T4_T5_mT6_P12ihipStream_tbENKUlT_T0_E_clISt17integral_constantIbLb1EESR_EEDaSM_SN_EUlSM_E0_NS1_11comp_targetILNS1_3genE9ELNS1_11target_archE1100ELNS1_3gpuE3ELNS1_3repE0EEENS1_30default_config_static_selectorELNS0_4arch9wavefront6targetE1EEEvT1_,comdat
.Lfunc_end6856:
	.size	_ZN7rocprim17ROCPRIM_400000_NS6detail17trampoline_kernelINS0_14default_configENS1_20scan_config_selectorIiEEZZNS1_9scan_implILNS1_25lookback_scan_determinismE0ELb1ELb1ES3_N6thrust23THRUST_200600_302600_NS10device_ptrIiEESB_iNS9_4plusIvEEiEEDaPvRmT3_T4_T5_mT6_P12ihipStream_tbENKUlT_T0_E_clISt17integral_constantIbLb1EESR_EEDaSM_SN_EUlSM_E0_NS1_11comp_targetILNS1_3genE9ELNS1_11target_archE1100ELNS1_3gpuE3ELNS1_3repE0EEENS1_30default_config_static_selectorELNS0_4arch9wavefront6targetE1EEEvT1_, .Lfunc_end6856-_ZN7rocprim17ROCPRIM_400000_NS6detail17trampoline_kernelINS0_14default_configENS1_20scan_config_selectorIiEEZZNS1_9scan_implILNS1_25lookback_scan_determinismE0ELb1ELb1ES3_N6thrust23THRUST_200600_302600_NS10device_ptrIiEESB_iNS9_4plusIvEEiEEDaPvRmT3_T4_T5_mT6_P12ihipStream_tbENKUlT_T0_E_clISt17integral_constantIbLb1EESR_EEDaSM_SN_EUlSM_E0_NS1_11comp_targetILNS1_3genE9ELNS1_11target_archE1100ELNS1_3gpuE3ELNS1_3repE0EEENS1_30default_config_static_selectorELNS0_4arch9wavefront6targetE1EEEvT1_
                                        ; -- End function
	.section	.AMDGPU.csdata,"",@progbits
; Kernel info:
; codeLenInByte = 0
; NumSgprs: 4
; NumVgprs: 0
; NumAgprs: 0
; TotalNumVgprs: 0
; ScratchSize: 0
; MemoryBound: 0
; FloatMode: 240
; IeeeMode: 1
; LDSByteSize: 0 bytes/workgroup (compile time only)
; SGPRBlocks: 0
; VGPRBlocks: 0
; NumSGPRsForWavesPerEU: 4
; NumVGPRsForWavesPerEU: 1
; AccumOffset: 4
; Occupancy: 8
; WaveLimiterHint : 0
; COMPUTE_PGM_RSRC2:SCRATCH_EN: 0
; COMPUTE_PGM_RSRC2:USER_SGPR: 6
; COMPUTE_PGM_RSRC2:TRAP_HANDLER: 0
; COMPUTE_PGM_RSRC2:TGID_X_EN: 1
; COMPUTE_PGM_RSRC2:TGID_Y_EN: 0
; COMPUTE_PGM_RSRC2:TGID_Z_EN: 0
; COMPUTE_PGM_RSRC2:TIDIG_COMP_CNT: 0
; COMPUTE_PGM_RSRC3_GFX90A:ACCUM_OFFSET: 0
; COMPUTE_PGM_RSRC3_GFX90A:TG_SPLIT: 0
	.section	.text._ZN7rocprim17ROCPRIM_400000_NS6detail17trampoline_kernelINS0_14default_configENS1_20scan_config_selectorIiEEZZNS1_9scan_implILNS1_25lookback_scan_determinismE0ELb1ELb1ES3_N6thrust23THRUST_200600_302600_NS10device_ptrIiEESB_iNS9_4plusIvEEiEEDaPvRmT3_T4_T5_mT6_P12ihipStream_tbENKUlT_T0_E_clISt17integral_constantIbLb1EESR_EEDaSM_SN_EUlSM_E0_NS1_11comp_targetILNS1_3genE8ELNS1_11target_archE1030ELNS1_3gpuE2ELNS1_3repE0EEENS1_30default_config_static_selectorELNS0_4arch9wavefront6targetE1EEEvT1_,"axG",@progbits,_ZN7rocprim17ROCPRIM_400000_NS6detail17trampoline_kernelINS0_14default_configENS1_20scan_config_selectorIiEEZZNS1_9scan_implILNS1_25lookback_scan_determinismE0ELb1ELb1ES3_N6thrust23THRUST_200600_302600_NS10device_ptrIiEESB_iNS9_4plusIvEEiEEDaPvRmT3_T4_T5_mT6_P12ihipStream_tbENKUlT_T0_E_clISt17integral_constantIbLb1EESR_EEDaSM_SN_EUlSM_E0_NS1_11comp_targetILNS1_3genE8ELNS1_11target_archE1030ELNS1_3gpuE2ELNS1_3repE0EEENS1_30default_config_static_selectorELNS0_4arch9wavefront6targetE1EEEvT1_,comdat
	.protected	_ZN7rocprim17ROCPRIM_400000_NS6detail17trampoline_kernelINS0_14default_configENS1_20scan_config_selectorIiEEZZNS1_9scan_implILNS1_25lookback_scan_determinismE0ELb1ELb1ES3_N6thrust23THRUST_200600_302600_NS10device_ptrIiEESB_iNS9_4plusIvEEiEEDaPvRmT3_T4_T5_mT6_P12ihipStream_tbENKUlT_T0_E_clISt17integral_constantIbLb1EESR_EEDaSM_SN_EUlSM_E0_NS1_11comp_targetILNS1_3genE8ELNS1_11target_archE1030ELNS1_3gpuE2ELNS1_3repE0EEENS1_30default_config_static_selectorELNS0_4arch9wavefront6targetE1EEEvT1_ ; -- Begin function _ZN7rocprim17ROCPRIM_400000_NS6detail17trampoline_kernelINS0_14default_configENS1_20scan_config_selectorIiEEZZNS1_9scan_implILNS1_25lookback_scan_determinismE0ELb1ELb1ES3_N6thrust23THRUST_200600_302600_NS10device_ptrIiEESB_iNS9_4plusIvEEiEEDaPvRmT3_T4_T5_mT6_P12ihipStream_tbENKUlT_T0_E_clISt17integral_constantIbLb1EESR_EEDaSM_SN_EUlSM_E0_NS1_11comp_targetILNS1_3genE8ELNS1_11target_archE1030ELNS1_3gpuE2ELNS1_3repE0EEENS1_30default_config_static_selectorELNS0_4arch9wavefront6targetE1EEEvT1_
	.globl	_ZN7rocprim17ROCPRIM_400000_NS6detail17trampoline_kernelINS0_14default_configENS1_20scan_config_selectorIiEEZZNS1_9scan_implILNS1_25lookback_scan_determinismE0ELb1ELb1ES3_N6thrust23THRUST_200600_302600_NS10device_ptrIiEESB_iNS9_4plusIvEEiEEDaPvRmT3_T4_T5_mT6_P12ihipStream_tbENKUlT_T0_E_clISt17integral_constantIbLb1EESR_EEDaSM_SN_EUlSM_E0_NS1_11comp_targetILNS1_3genE8ELNS1_11target_archE1030ELNS1_3gpuE2ELNS1_3repE0EEENS1_30default_config_static_selectorELNS0_4arch9wavefront6targetE1EEEvT1_
	.p2align	8
	.type	_ZN7rocprim17ROCPRIM_400000_NS6detail17trampoline_kernelINS0_14default_configENS1_20scan_config_selectorIiEEZZNS1_9scan_implILNS1_25lookback_scan_determinismE0ELb1ELb1ES3_N6thrust23THRUST_200600_302600_NS10device_ptrIiEESB_iNS9_4plusIvEEiEEDaPvRmT3_T4_T5_mT6_P12ihipStream_tbENKUlT_T0_E_clISt17integral_constantIbLb1EESR_EEDaSM_SN_EUlSM_E0_NS1_11comp_targetILNS1_3genE8ELNS1_11target_archE1030ELNS1_3gpuE2ELNS1_3repE0EEENS1_30default_config_static_selectorELNS0_4arch9wavefront6targetE1EEEvT1_,@function
_ZN7rocprim17ROCPRIM_400000_NS6detail17trampoline_kernelINS0_14default_configENS1_20scan_config_selectorIiEEZZNS1_9scan_implILNS1_25lookback_scan_determinismE0ELb1ELb1ES3_N6thrust23THRUST_200600_302600_NS10device_ptrIiEESB_iNS9_4plusIvEEiEEDaPvRmT3_T4_T5_mT6_P12ihipStream_tbENKUlT_T0_E_clISt17integral_constantIbLb1EESR_EEDaSM_SN_EUlSM_E0_NS1_11comp_targetILNS1_3genE8ELNS1_11target_archE1030ELNS1_3gpuE2ELNS1_3repE0EEENS1_30default_config_static_selectorELNS0_4arch9wavefront6targetE1EEEvT1_: ; @_ZN7rocprim17ROCPRIM_400000_NS6detail17trampoline_kernelINS0_14default_configENS1_20scan_config_selectorIiEEZZNS1_9scan_implILNS1_25lookback_scan_determinismE0ELb1ELb1ES3_N6thrust23THRUST_200600_302600_NS10device_ptrIiEESB_iNS9_4plusIvEEiEEDaPvRmT3_T4_T5_mT6_P12ihipStream_tbENKUlT_T0_E_clISt17integral_constantIbLb1EESR_EEDaSM_SN_EUlSM_E0_NS1_11comp_targetILNS1_3genE8ELNS1_11target_archE1030ELNS1_3gpuE2ELNS1_3repE0EEENS1_30default_config_static_selectorELNS0_4arch9wavefront6targetE1EEEvT1_
; %bb.0:
	.section	.rodata,"a",@progbits
	.p2align	6, 0x0
	.amdhsa_kernel _ZN7rocprim17ROCPRIM_400000_NS6detail17trampoline_kernelINS0_14default_configENS1_20scan_config_selectorIiEEZZNS1_9scan_implILNS1_25lookback_scan_determinismE0ELb1ELb1ES3_N6thrust23THRUST_200600_302600_NS10device_ptrIiEESB_iNS9_4plusIvEEiEEDaPvRmT3_T4_T5_mT6_P12ihipStream_tbENKUlT_T0_E_clISt17integral_constantIbLb1EESR_EEDaSM_SN_EUlSM_E0_NS1_11comp_targetILNS1_3genE8ELNS1_11target_archE1030ELNS1_3gpuE2ELNS1_3repE0EEENS1_30default_config_static_selectorELNS0_4arch9wavefront6targetE1EEEvT1_
		.amdhsa_group_segment_fixed_size 0
		.amdhsa_private_segment_fixed_size 0
		.amdhsa_kernarg_size 32
		.amdhsa_user_sgpr_count 6
		.amdhsa_user_sgpr_private_segment_buffer 1
		.amdhsa_user_sgpr_dispatch_ptr 0
		.amdhsa_user_sgpr_queue_ptr 0
		.amdhsa_user_sgpr_kernarg_segment_ptr 1
		.amdhsa_user_sgpr_dispatch_id 0
		.amdhsa_user_sgpr_flat_scratch_init 0
		.amdhsa_user_sgpr_kernarg_preload_length 0
		.amdhsa_user_sgpr_kernarg_preload_offset 0
		.amdhsa_user_sgpr_private_segment_size 0
		.amdhsa_uses_dynamic_stack 0
		.amdhsa_system_sgpr_private_segment_wavefront_offset 0
		.amdhsa_system_sgpr_workgroup_id_x 1
		.amdhsa_system_sgpr_workgroup_id_y 0
		.amdhsa_system_sgpr_workgroup_id_z 0
		.amdhsa_system_sgpr_workgroup_info 0
		.amdhsa_system_vgpr_workitem_id 0
		.amdhsa_next_free_vgpr 1
		.amdhsa_next_free_sgpr 0
		.amdhsa_accum_offset 4
		.amdhsa_reserve_vcc 0
		.amdhsa_reserve_flat_scratch 0
		.amdhsa_float_round_mode_32 0
		.amdhsa_float_round_mode_16_64 0
		.amdhsa_float_denorm_mode_32 3
		.amdhsa_float_denorm_mode_16_64 3
		.amdhsa_dx10_clamp 1
		.amdhsa_ieee_mode 1
		.amdhsa_fp16_overflow 0
		.amdhsa_tg_split 0
		.amdhsa_exception_fp_ieee_invalid_op 0
		.amdhsa_exception_fp_denorm_src 0
		.amdhsa_exception_fp_ieee_div_zero 0
		.amdhsa_exception_fp_ieee_overflow 0
		.amdhsa_exception_fp_ieee_underflow 0
		.amdhsa_exception_fp_ieee_inexact 0
		.amdhsa_exception_int_div_zero 0
	.end_amdhsa_kernel
	.section	.text._ZN7rocprim17ROCPRIM_400000_NS6detail17trampoline_kernelINS0_14default_configENS1_20scan_config_selectorIiEEZZNS1_9scan_implILNS1_25lookback_scan_determinismE0ELb1ELb1ES3_N6thrust23THRUST_200600_302600_NS10device_ptrIiEESB_iNS9_4plusIvEEiEEDaPvRmT3_T4_T5_mT6_P12ihipStream_tbENKUlT_T0_E_clISt17integral_constantIbLb1EESR_EEDaSM_SN_EUlSM_E0_NS1_11comp_targetILNS1_3genE8ELNS1_11target_archE1030ELNS1_3gpuE2ELNS1_3repE0EEENS1_30default_config_static_selectorELNS0_4arch9wavefront6targetE1EEEvT1_,"axG",@progbits,_ZN7rocprim17ROCPRIM_400000_NS6detail17trampoline_kernelINS0_14default_configENS1_20scan_config_selectorIiEEZZNS1_9scan_implILNS1_25lookback_scan_determinismE0ELb1ELb1ES3_N6thrust23THRUST_200600_302600_NS10device_ptrIiEESB_iNS9_4plusIvEEiEEDaPvRmT3_T4_T5_mT6_P12ihipStream_tbENKUlT_T0_E_clISt17integral_constantIbLb1EESR_EEDaSM_SN_EUlSM_E0_NS1_11comp_targetILNS1_3genE8ELNS1_11target_archE1030ELNS1_3gpuE2ELNS1_3repE0EEENS1_30default_config_static_selectorELNS0_4arch9wavefront6targetE1EEEvT1_,comdat
.Lfunc_end6857:
	.size	_ZN7rocprim17ROCPRIM_400000_NS6detail17trampoline_kernelINS0_14default_configENS1_20scan_config_selectorIiEEZZNS1_9scan_implILNS1_25lookback_scan_determinismE0ELb1ELb1ES3_N6thrust23THRUST_200600_302600_NS10device_ptrIiEESB_iNS9_4plusIvEEiEEDaPvRmT3_T4_T5_mT6_P12ihipStream_tbENKUlT_T0_E_clISt17integral_constantIbLb1EESR_EEDaSM_SN_EUlSM_E0_NS1_11comp_targetILNS1_3genE8ELNS1_11target_archE1030ELNS1_3gpuE2ELNS1_3repE0EEENS1_30default_config_static_selectorELNS0_4arch9wavefront6targetE1EEEvT1_, .Lfunc_end6857-_ZN7rocprim17ROCPRIM_400000_NS6detail17trampoline_kernelINS0_14default_configENS1_20scan_config_selectorIiEEZZNS1_9scan_implILNS1_25lookback_scan_determinismE0ELb1ELb1ES3_N6thrust23THRUST_200600_302600_NS10device_ptrIiEESB_iNS9_4plusIvEEiEEDaPvRmT3_T4_T5_mT6_P12ihipStream_tbENKUlT_T0_E_clISt17integral_constantIbLb1EESR_EEDaSM_SN_EUlSM_E0_NS1_11comp_targetILNS1_3genE8ELNS1_11target_archE1030ELNS1_3gpuE2ELNS1_3repE0EEENS1_30default_config_static_selectorELNS0_4arch9wavefront6targetE1EEEvT1_
                                        ; -- End function
	.section	.AMDGPU.csdata,"",@progbits
; Kernel info:
; codeLenInByte = 0
; NumSgprs: 4
; NumVgprs: 0
; NumAgprs: 0
; TotalNumVgprs: 0
; ScratchSize: 0
; MemoryBound: 0
; FloatMode: 240
; IeeeMode: 1
; LDSByteSize: 0 bytes/workgroup (compile time only)
; SGPRBlocks: 0
; VGPRBlocks: 0
; NumSGPRsForWavesPerEU: 4
; NumVGPRsForWavesPerEU: 1
; AccumOffset: 4
; Occupancy: 8
; WaveLimiterHint : 0
; COMPUTE_PGM_RSRC2:SCRATCH_EN: 0
; COMPUTE_PGM_RSRC2:USER_SGPR: 6
; COMPUTE_PGM_RSRC2:TRAP_HANDLER: 0
; COMPUTE_PGM_RSRC2:TGID_X_EN: 1
; COMPUTE_PGM_RSRC2:TGID_Y_EN: 0
; COMPUTE_PGM_RSRC2:TGID_Z_EN: 0
; COMPUTE_PGM_RSRC2:TIDIG_COMP_CNT: 0
; COMPUTE_PGM_RSRC3_GFX90A:ACCUM_OFFSET: 0
; COMPUTE_PGM_RSRC3_GFX90A:TG_SPLIT: 0
	.section	.text._ZN7rocprim17ROCPRIM_400000_NS6detail17trampoline_kernelINS0_14default_configENS1_20scan_config_selectorIiEEZZNS1_9scan_implILNS1_25lookback_scan_determinismE0ELb1ELb1ES3_N6thrust23THRUST_200600_302600_NS10device_ptrIiEESB_iNS9_4plusIvEEiEEDaPvRmT3_T4_T5_mT6_P12ihipStream_tbENKUlT_T0_E_clISt17integral_constantIbLb1EESQ_IbLb0EEEEDaSM_SN_EUlSM_E_NS1_11comp_targetILNS1_3genE0ELNS1_11target_archE4294967295ELNS1_3gpuE0ELNS1_3repE0EEENS1_30default_config_static_selectorELNS0_4arch9wavefront6targetE1EEEvT1_,"axG",@progbits,_ZN7rocprim17ROCPRIM_400000_NS6detail17trampoline_kernelINS0_14default_configENS1_20scan_config_selectorIiEEZZNS1_9scan_implILNS1_25lookback_scan_determinismE0ELb1ELb1ES3_N6thrust23THRUST_200600_302600_NS10device_ptrIiEESB_iNS9_4plusIvEEiEEDaPvRmT3_T4_T5_mT6_P12ihipStream_tbENKUlT_T0_E_clISt17integral_constantIbLb1EESQ_IbLb0EEEEDaSM_SN_EUlSM_E_NS1_11comp_targetILNS1_3genE0ELNS1_11target_archE4294967295ELNS1_3gpuE0ELNS1_3repE0EEENS1_30default_config_static_selectorELNS0_4arch9wavefront6targetE1EEEvT1_,comdat
	.protected	_ZN7rocprim17ROCPRIM_400000_NS6detail17trampoline_kernelINS0_14default_configENS1_20scan_config_selectorIiEEZZNS1_9scan_implILNS1_25lookback_scan_determinismE0ELb1ELb1ES3_N6thrust23THRUST_200600_302600_NS10device_ptrIiEESB_iNS9_4plusIvEEiEEDaPvRmT3_T4_T5_mT6_P12ihipStream_tbENKUlT_T0_E_clISt17integral_constantIbLb1EESQ_IbLb0EEEEDaSM_SN_EUlSM_E_NS1_11comp_targetILNS1_3genE0ELNS1_11target_archE4294967295ELNS1_3gpuE0ELNS1_3repE0EEENS1_30default_config_static_selectorELNS0_4arch9wavefront6targetE1EEEvT1_ ; -- Begin function _ZN7rocprim17ROCPRIM_400000_NS6detail17trampoline_kernelINS0_14default_configENS1_20scan_config_selectorIiEEZZNS1_9scan_implILNS1_25lookback_scan_determinismE0ELb1ELb1ES3_N6thrust23THRUST_200600_302600_NS10device_ptrIiEESB_iNS9_4plusIvEEiEEDaPvRmT3_T4_T5_mT6_P12ihipStream_tbENKUlT_T0_E_clISt17integral_constantIbLb1EESQ_IbLb0EEEEDaSM_SN_EUlSM_E_NS1_11comp_targetILNS1_3genE0ELNS1_11target_archE4294967295ELNS1_3gpuE0ELNS1_3repE0EEENS1_30default_config_static_selectorELNS0_4arch9wavefront6targetE1EEEvT1_
	.globl	_ZN7rocprim17ROCPRIM_400000_NS6detail17trampoline_kernelINS0_14default_configENS1_20scan_config_selectorIiEEZZNS1_9scan_implILNS1_25lookback_scan_determinismE0ELb1ELb1ES3_N6thrust23THRUST_200600_302600_NS10device_ptrIiEESB_iNS9_4plusIvEEiEEDaPvRmT3_T4_T5_mT6_P12ihipStream_tbENKUlT_T0_E_clISt17integral_constantIbLb1EESQ_IbLb0EEEEDaSM_SN_EUlSM_E_NS1_11comp_targetILNS1_3genE0ELNS1_11target_archE4294967295ELNS1_3gpuE0ELNS1_3repE0EEENS1_30default_config_static_selectorELNS0_4arch9wavefront6targetE1EEEvT1_
	.p2align	8
	.type	_ZN7rocprim17ROCPRIM_400000_NS6detail17trampoline_kernelINS0_14default_configENS1_20scan_config_selectorIiEEZZNS1_9scan_implILNS1_25lookback_scan_determinismE0ELb1ELb1ES3_N6thrust23THRUST_200600_302600_NS10device_ptrIiEESB_iNS9_4plusIvEEiEEDaPvRmT3_T4_T5_mT6_P12ihipStream_tbENKUlT_T0_E_clISt17integral_constantIbLb1EESQ_IbLb0EEEEDaSM_SN_EUlSM_E_NS1_11comp_targetILNS1_3genE0ELNS1_11target_archE4294967295ELNS1_3gpuE0ELNS1_3repE0EEENS1_30default_config_static_selectorELNS0_4arch9wavefront6targetE1EEEvT1_,@function
_ZN7rocprim17ROCPRIM_400000_NS6detail17trampoline_kernelINS0_14default_configENS1_20scan_config_selectorIiEEZZNS1_9scan_implILNS1_25lookback_scan_determinismE0ELb1ELb1ES3_N6thrust23THRUST_200600_302600_NS10device_ptrIiEESB_iNS9_4plusIvEEiEEDaPvRmT3_T4_T5_mT6_P12ihipStream_tbENKUlT_T0_E_clISt17integral_constantIbLb1EESQ_IbLb0EEEEDaSM_SN_EUlSM_E_NS1_11comp_targetILNS1_3genE0ELNS1_11target_archE4294967295ELNS1_3gpuE0ELNS1_3repE0EEENS1_30default_config_static_selectorELNS0_4arch9wavefront6targetE1EEEvT1_: ; @_ZN7rocprim17ROCPRIM_400000_NS6detail17trampoline_kernelINS0_14default_configENS1_20scan_config_selectorIiEEZZNS1_9scan_implILNS1_25lookback_scan_determinismE0ELb1ELb1ES3_N6thrust23THRUST_200600_302600_NS10device_ptrIiEESB_iNS9_4plusIvEEiEEDaPvRmT3_T4_T5_mT6_P12ihipStream_tbENKUlT_T0_E_clISt17integral_constantIbLb1EESQ_IbLb0EEEEDaSM_SN_EUlSM_E_NS1_11comp_targetILNS1_3genE0ELNS1_11target_archE4294967295ELNS1_3gpuE0ELNS1_3repE0EEENS1_30default_config_static_selectorELNS0_4arch9wavefront6targetE1EEEvT1_
; %bb.0:
	.section	.rodata,"a",@progbits
	.p2align	6, 0x0
	.amdhsa_kernel _ZN7rocprim17ROCPRIM_400000_NS6detail17trampoline_kernelINS0_14default_configENS1_20scan_config_selectorIiEEZZNS1_9scan_implILNS1_25lookback_scan_determinismE0ELb1ELb1ES3_N6thrust23THRUST_200600_302600_NS10device_ptrIiEESB_iNS9_4plusIvEEiEEDaPvRmT3_T4_T5_mT6_P12ihipStream_tbENKUlT_T0_E_clISt17integral_constantIbLb1EESQ_IbLb0EEEEDaSM_SN_EUlSM_E_NS1_11comp_targetILNS1_3genE0ELNS1_11target_archE4294967295ELNS1_3gpuE0ELNS1_3repE0EEENS1_30default_config_static_selectorELNS0_4arch9wavefront6targetE1EEEvT1_
		.amdhsa_group_segment_fixed_size 0
		.amdhsa_private_segment_fixed_size 0
		.amdhsa_kernarg_size 96
		.amdhsa_user_sgpr_count 6
		.amdhsa_user_sgpr_private_segment_buffer 1
		.amdhsa_user_sgpr_dispatch_ptr 0
		.amdhsa_user_sgpr_queue_ptr 0
		.amdhsa_user_sgpr_kernarg_segment_ptr 1
		.amdhsa_user_sgpr_dispatch_id 0
		.amdhsa_user_sgpr_flat_scratch_init 0
		.amdhsa_user_sgpr_kernarg_preload_length 0
		.amdhsa_user_sgpr_kernarg_preload_offset 0
		.amdhsa_user_sgpr_private_segment_size 0
		.amdhsa_uses_dynamic_stack 0
		.amdhsa_system_sgpr_private_segment_wavefront_offset 0
		.amdhsa_system_sgpr_workgroup_id_x 1
		.amdhsa_system_sgpr_workgroup_id_y 0
		.amdhsa_system_sgpr_workgroup_id_z 0
		.amdhsa_system_sgpr_workgroup_info 0
		.amdhsa_system_vgpr_workitem_id 0
		.amdhsa_next_free_vgpr 1
		.amdhsa_next_free_sgpr 0
		.amdhsa_accum_offset 4
		.amdhsa_reserve_vcc 0
		.amdhsa_reserve_flat_scratch 0
		.amdhsa_float_round_mode_32 0
		.amdhsa_float_round_mode_16_64 0
		.amdhsa_float_denorm_mode_32 3
		.amdhsa_float_denorm_mode_16_64 3
		.amdhsa_dx10_clamp 1
		.amdhsa_ieee_mode 1
		.amdhsa_fp16_overflow 0
		.amdhsa_tg_split 0
		.amdhsa_exception_fp_ieee_invalid_op 0
		.amdhsa_exception_fp_denorm_src 0
		.amdhsa_exception_fp_ieee_div_zero 0
		.amdhsa_exception_fp_ieee_overflow 0
		.amdhsa_exception_fp_ieee_underflow 0
		.amdhsa_exception_fp_ieee_inexact 0
		.amdhsa_exception_int_div_zero 0
	.end_amdhsa_kernel
	.section	.text._ZN7rocprim17ROCPRIM_400000_NS6detail17trampoline_kernelINS0_14default_configENS1_20scan_config_selectorIiEEZZNS1_9scan_implILNS1_25lookback_scan_determinismE0ELb1ELb1ES3_N6thrust23THRUST_200600_302600_NS10device_ptrIiEESB_iNS9_4plusIvEEiEEDaPvRmT3_T4_T5_mT6_P12ihipStream_tbENKUlT_T0_E_clISt17integral_constantIbLb1EESQ_IbLb0EEEEDaSM_SN_EUlSM_E_NS1_11comp_targetILNS1_3genE0ELNS1_11target_archE4294967295ELNS1_3gpuE0ELNS1_3repE0EEENS1_30default_config_static_selectorELNS0_4arch9wavefront6targetE1EEEvT1_,"axG",@progbits,_ZN7rocprim17ROCPRIM_400000_NS6detail17trampoline_kernelINS0_14default_configENS1_20scan_config_selectorIiEEZZNS1_9scan_implILNS1_25lookback_scan_determinismE0ELb1ELb1ES3_N6thrust23THRUST_200600_302600_NS10device_ptrIiEESB_iNS9_4plusIvEEiEEDaPvRmT3_T4_T5_mT6_P12ihipStream_tbENKUlT_T0_E_clISt17integral_constantIbLb1EESQ_IbLb0EEEEDaSM_SN_EUlSM_E_NS1_11comp_targetILNS1_3genE0ELNS1_11target_archE4294967295ELNS1_3gpuE0ELNS1_3repE0EEENS1_30default_config_static_selectorELNS0_4arch9wavefront6targetE1EEEvT1_,comdat
.Lfunc_end6858:
	.size	_ZN7rocprim17ROCPRIM_400000_NS6detail17trampoline_kernelINS0_14default_configENS1_20scan_config_selectorIiEEZZNS1_9scan_implILNS1_25lookback_scan_determinismE0ELb1ELb1ES3_N6thrust23THRUST_200600_302600_NS10device_ptrIiEESB_iNS9_4plusIvEEiEEDaPvRmT3_T4_T5_mT6_P12ihipStream_tbENKUlT_T0_E_clISt17integral_constantIbLb1EESQ_IbLb0EEEEDaSM_SN_EUlSM_E_NS1_11comp_targetILNS1_3genE0ELNS1_11target_archE4294967295ELNS1_3gpuE0ELNS1_3repE0EEENS1_30default_config_static_selectorELNS0_4arch9wavefront6targetE1EEEvT1_, .Lfunc_end6858-_ZN7rocprim17ROCPRIM_400000_NS6detail17trampoline_kernelINS0_14default_configENS1_20scan_config_selectorIiEEZZNS1_9scan_implILNS1_25lookback_scan_determinismE0ELb1ELb1ES3_N6thrust23THRUST_200600_302600_NS10device_ptrIiEESB_iNS9_4plusIvEEiEEDaPvRmT3_T4_T5_mT6_P12ihipStream_tbENKUlT_T0_E_clISt17integral_constantIbLb1EESQ_IbLb0EEEEDaSM_SN_EUlSM_E_NS1_11comp_targetILNS1_3genE0ELNS1_11target_archE4294967295ELNS1_3gpuE0ELNS1_3repE0EEENS1_30default_config_static_selectorELNS0_4arch9wavefront6targetE1EEEvT1_
                                        ; -- End function
	.section	.AMDGPU.csdata,"",@progbits
; Kernel info:
; codeLenInByte = 0
; NumSgprs: 4
; NumVgprs: 0
; NumAgprs: 0
; TotalNumVgprs: 0
; ScratchSize: 0
; MemoryBound: 0
; FloatMode: 240
; IeeeMode: 1
; LDSByteSize: 0 bytes/workgroup (compile time only)
; SGPRBlocks: 0
; VGPRBlocks: 0
; NumSGPRsForWavesPerEU: 4
; NumVGPRsForWavesPerEU: 1
; AccumOffset: 4
; Occupancy: 8
; WaveLimiterHint : 0
; COMPUTE_PGM_RSRC2:SCRATCH_EN: 0
; COMPUTE_PGM_RSRC2:USER_SGPR: 6
; COMPUTE_PGM_RSRC2:TRAP_HANDLER: 0
; COMPUTE_PGM_RSRC2:TGID_X_EN: 1
; COMPUTE_PGM_RSRC2:TGID_Y_EN: 0
; COMPUTE_PGM_RSRC2:TGID_Z_EN: 0
; COMPUTE_PGM_RSRC2:TIDIG_COMP_CNT: 0
; COMPUTE_PGM_RSRC3_GFX90A:ACCUM_OFFSET: 0
; COMPUTE_PGM_RSRC3_GFX90A:TG_SPLIT: 0
	.section	.text._ZN7rocprim17ROCPRIM_400000_NS6detail17trampoline_kernelINS0_14default_configENS1_20scan_config_selectorIiEEZZNS1_9scan_implILNS1_25lookback_scan_determinismE0ELb1ELb1ES3_N6thrust23THRUST_200600_302600_NS10device_ptrIiEESB_iNS9_4plusIvEEiEEDaPvRmT3_T4_T5_mT6_P12ihipStream_tbENKUlT_T0_E_clISt17integral_constantIbLb1EESQ_IbLb0EEEEDaSM_SN_EUlSM_E_NS1_11comp_targetILNS1_3genE5ELNS1_11target_archE942ELNS1_3gpuE9ELNS1_3repE0EEENS1_30default_config_static_selectorELNS0_4arch9wavefront6targetE1EEEvT1_,"axG",@progbits,_ZN7rocprim17ROCPRIM_400000_NS6detail17trampoline_kernelINS0_14default_configENS1_20scan_config_selectorIiEEZZNS1_9scan_implILNS1_25lookback_scan_determinismE0ELb1ELb1ES3_N6thrust23THRUST_200600_302600_NS10device_ptrIiEESB_iNS9_4plusIvEEiEEDaPvRmT3_T4_T5_mT6_P12ihipStream_tbENKUlT_T0_E_clISt17integral_constantIbLb1EESQ_IbLb0EEEEDaSM_SN_EUlSM_E_NS1_11comp_targetILNS1_3genE5ELNS1_11target_archE942ELNS1_3gpuE9ELNS1_3repE0EEENS1_30default_config_static_selectorELNS0_4arch9wavefront6targetE1EEEvT1_,comdat
	.protected	_ZN7rocprim17ROCPRIM_400000_NS6detail17trampoline_kernelINS0_14default_configENS1_20scan_config_selectorIiEEZZNS1_9scan_implILNS1_25lookback_scan_determinismE0ELb1ELb1ES3_N6thrust23THRUST_200600_302600_NS10device_ptrIiEESB_iNS9_4plusIvEEiEEDaPvRmT3_T4_T5_mT6_P12ihipStream_tbENKUlT_T0_E_clISt17integral_constantIbLb1EESQ_IbLb0EEEEDaSM_SN_EUlSM_E_NS1_11comp_targetILNS1_3genE5ELNS1_11target_archE942ELNS1_3gpuE9ELNS1_3repE0EEENS1_30default_config_static_selectorELNS0_4arch9wavefront6targetE1EEEvT1_ ; -- Begin function _ZN7rocprim17ROCPRIM_400000_NS6detail17trampoline_kernelINS0_14default_configENS1_20scan_config_selectorIiEEZZNS1_9scan_implILNS1_25lookback_scan_determinismE0ELb1ELb1ES3_N6thrust23THRUST_200600_302600_NS10device_ptrIiEESB_iNS9_4plusIvEEiEEDaPvRmT3_T4_T5_mT6_P12ihipStream_tbENKUlT_T0_E_clISt17integral_constantIbLb1EESQ_IbLb0EEEEDaSM_SN_EUlSM_E_NS1_11comp_targetILNS1_3genE5ELNS1_11target_archE942ELNS1_3gpuE9ELNS1_3repE0EEENS1_30default_config_static_selectorELNS0_4arch9wavefront6targetE1EEEvT1_
	.globl	_ZN7rocprim17ROCPRIM_400000_NS6detail17trampoline_kernelINS0_14default_configENS1_20scan_config_selectorIiEEZZNS1_9scan_implILNS1_25lookback_scan_determinismE0ELb1ELb1ES3_N6thrust23THRUST_200600_302600_NS10device_ptrIiEESB_iNS9_4plusIvEEiEEDaPvRmT3_T4_T5_mT6_P12ihipStream_tbENKUlT_T0_E_clISt17integral_constantIbLb1EESQ_IbLb0EEEEDaSM_SN_EUlSM_E_NS1_11comp_targetILNS1_3genE5ELNS1_11target_archE942ELNS1_3gpuE9ELNS1_3repE0EEENS1_30default_config_static_selectorELNS0_4arch9wavefront6targetE1EEEvT1_
	.p2align	8
	.type	_ZN7rocprim17ROCPRIM_400000_NS6detail17trampoline_kernelINS0_14default_configENS1_20scan_config_selectorIiEEZZNS1_9scan_implILNS1_25lookback_scan_determinismE0ELb1ELb1ES3_N6thrust23THRUST_200600_302600_NS10device_ptrIiEESB_iNS9_4plusIvEEiEEDaPvRmT3_T4_T5_mT6_P12ihipStream_tbENKUlT_T0_E_clISt17integral_constantIbLb1EESQ_IbLb0EEEEDaSM_SN_EUlSM_E_NS1_11comp_targetILNS1_3genE5ELNS1_11target_archE942ELNS1_3gpuE9ELNS1_3repE0EEENS1_30default_config_static_selectorELNS0_4arch9wavefront6targetE1EEEvT1_,@function
_ZN7rocprim17ROCPRIM_400000_NS6detail17trampoline_kernelINS0_14default_configENS1_20scan_config_selectorIiEEZZNS1_9scan_implILNS1_25lookback_scan_determinismE0ELb1ELb1ES3_N6thrust23THRUST_200600_302600_NS10device_ptrIiEESB_iNS9_4plusIvEEiEEDaPvRmT3_T4_T5_mT6_P12ihipStream_tbENKUlT_T0_E_clISt17integral_constantIbLb1EESQ_IbLb0EEEEDaSM_SN_EUlSM_E_NS1_11comp_targetILNS1_3genE5ELNS1_11target_archE942ELNS1_3gpuE9ELNS1_3repE0EEENS1_30default_config_static_selectorELNS0_4arch9wavefront6targetE1EEEvT1_: ; @_ZN7rocprim17ROCPRIM_400000_NS6detail17trampoline_kernelINS0_14default_configENS1_20scan_config_selectorIiEEZZNS1_9scan_implILNS1_25lookback_scan_determinismE0ELb1ELb1ES3_N6thrust23THRUST_200600_302600_NS10device_ptrIiEESB_iNS9_4plusIvEEiEEDaPvRmT3_T4_T5_mT6_P12ihipStream_tbENKUlT_T0_E_clISt17integral_constantIbLb1EESQ_IbLb0EEEEDaSM_SN_EUlSM_E_NS1_11comp_targetILNS1_3genE5ELNS1_11target_archE942ELNS1_3gpuE9ELNS1_3repE0EEENS1_30default_config_static_selectorELNS0_4arch9wavefront6targetE1EEEvT1_
; %bb.0:
	.section	.rodata,"a",@progbits
	.p2align	6, 0x0
	.amdhsa_kernel _ZN7rocprim17ROCPRIM_400000_NS6detail17trampoline_kernelINS0_14default_configENS1_20scan_config_selectorIiEEZZNS1_9scan_implILNS1_25lookback_scan_determinismE0ELb1ELb1ES3_N6thrust23THRUST_200600_302600_NS10device_ptrIiEESB_iNS9_4plusIvEEiEEDaPvRmT3_T4_T5_mT6_P12ihipStream_tbENKUlT_T0_E_clISt17integral_constantIbLb1EESQ_IbLb0EEEEDaSM_SN_EUlSM_E_NS1_11comp_targetILNS1_3genE5ELNS1_11target_archE942ELNS1_3gpuE9ELNS1_3repE0EEENS1_30default_config_static_selectorELNS0_4arch9wavefront6targetE1EEEvT1_
		.amdhsa_group_segment_fixed_size 0
		.amdhsa_private_segment_fixed_size 0
		.amdhsa_kernarg_size 96
		.amdhsa_user_sgpr_count 6
		.amdhsa_user_sgpr_private_segment_buffer 1
		.amdhsa_user_sgpr_dispatch_ptr 0
		.amdhsa_user_sgpr_queue_ptr 0
		.amdhsa_user_sgpr_kernarg_segment_ptr 1
		.amdhsa_user_sgpr_dispatch_id 0
		.amdhsa_user_sgpr_flat_scratch_init 0
		.amdhsa_user_sgpr_kernarg_preload_length 0
		.amdhsa_user_sgpr_kernarg_preload_offset 0
		.amdhsa_user_sgpr_private_segment_size 0
		.amdhsa_uses_dynamic_stack 0
		.amdhsa_system_sgpr_private_segment_wavefront_offset 0
		.amdhsa_system_sgpr_workgroup_id_x 1
		.amdhsa_system_sgpr_workgroup_id_y 0
		.amdhsa_system_sgpr_workgroup_id_z 0
		.amdhsa_system_sgpr_workgroup_info 0
		.amdhsa_system_vgpr_workitem_id 0
		.amdhsa_next_free_vgpr 1
		.amdhsa_next_free_sgpr 0
		.amdhsa_accum_offset 4
		.amdhsa_reserve_vcc 0
		.amdhsa_reserve_flat_scratch 0
		.amdhsa_float_round_mode_32 0
		.amdhsa_float_round_mode_16_64 0
		.amdhsa_float_denorm_mode_32 3
		.amdhsa_float_denorm_mode_16_64 3
		.amdhsa_dx10_clamp 1
		.amdhsa_ieee_mode 1
		.amdhsa_fp16_overflow 0
		.amdhsa_tg_split 0
		.amdhsa_exception_fp_ieee_invalid_op 0
		.amdhsa_exception_fp_denorm_src 0
		.amdhsa_exception_fp_ieee_div_zero 0
		.amdhsa_exception_fp_ieee_overflow 0
		.amdhsa_exception_fp_ieee_underflow 0
		.amdhsa_exception_fp_ieee_inexact 0
		.amdhsa_exception_int_div_zero 0
	.end_amdhsa_kernel
	.section	.text._ZN7rocprim17ROCPRIM_400000_NS6detail17trampoline_kernelINS0_14default_configENS1_20scan_config_selectorIiEEZZNS1_9scan_implILNS1_25lookback_scan_determinismE0ELb1ELb1ES3_N6thrust23THRUST_200600_302600_NS10device_ptrIiEESB_iNS9_4plusIvEEiEEDaPvRmT3_T4_T5_mT6_P12ihipStream_tbENKUlT_T0_E_clISt17integral_constantIbLb1EESQ_IbLb0EEEEDaSM_SN_EUlSM_E_NS1_11comp_targetILNS1_3genE5ELNS1_11target_archE942ELNS1_3gpuE9ELNS1_3repE0EEENS1_30default_config_static_selectorELNS0_4arch9wavefront6targetE1EEEvT1_,"axG",@progbits,_ZN7rocprim17ROCPRIM_400000_NS6detail17trampoline_kernelINS0_14default_configENS1_20scan_config_selectorIiEEZZNS1_9scan_implILNS1_25lookback_scan_determinismE0ELb1ELb1ES3_N6thrust23THRUST_200600_302600_NS10device_ptrIiEESB_iNS9_4plusIvEEiEEDaPvRmT3_T4_T5_mT6_P12ihipStream_tbENKUlT_T0_E_clISt17integral_constantIbLb1EESQ_IbLb0EEEEDaSM_SN_EUlSM_E_NS1_11comp_targetILNS1_3genE5ELNS1_11target_archE942ELNS1_3gpuE9ELNS1_3repE0EEENS1_30default_config_static_selectorELNS0_4arch9wavefront6targetE1EEEvT1_,comdat
.Lfunc_end6859:
	.size	_ZN7rocprim17ROCPRIM_400000_NS6detail17trampoline_kernelINS0_14default_configENS1_20scan_config_selectorIiEEZZNS1_9scan_implILNS1_25lookback_scan_determinismE0ELb1ELb1ES3_N6thrust23THRUST_200600_302600_NS10device_ptrIiEESB_iNS9_4plusIvEEiEEDaPvRmT3_T4_T5_mT6_P12ihipStream_tbENKUlT_T0_E_clISt17integral_constantIbLb1EESQ_IbLb0EEEEDaSM_SN_EUlSM_E_NS1_11comp_targetILNS1_3genE5ELNS1_11target_archE942ELNS1_3gpuE9ELNS1_3repE0EEENS1_30default_config_static_selectorELNS0_4arch9wavefront6targetE1EEEvT1_, .Lfunc_end6859-_ZN7rocprim17ROCPRIM_400000_NS6detail17trampoline_kernelINS0_14default_configENS1_20scan_config_selectorIiEEZZNS1_9scan_implILNS1_25lookback_scan_determinismE0ELb1ELb1ES3_N6thrust23THRUST_200600_302600_NS10device_ptrIiEESB_iNS9_4plusIvEEiEEDaPvRmT3_T4_T5_mT6_P12ihipStream_tbENKUlT_T0_E_clISt17integral_constantIbLb1EESQ_IbLb0EEEEDaSM_SN_EUlSM_E_NS1_11comp_targetILNS1_3genE5ELNS1_11target_archE942ELNS1_3gpuE9ELNS1_3repE0EEENS1_30default_config_static_selectorELNS0_4arch9wavefront6targetE1EEEvT1_
                                        ; -- End function
	.section	.AMDGPU.csdata,"",@progbits
; Kernel info:
; codeLenInByte = 0
; NumSgprs: 4
; NumVgprs: 0
; NumAgprs: 0
; TotalNumVgprs: 0
; ScratchSize: 0
; MemoryBound: 0
; FloatMode: 240
; IeeeMode: 1
; LDSByteSize: 0 bytes/workgroup (compile time only)
; SGPRBlocks: 0
; VGPRBlocks: 0
; NumSGPRsForWavesPerEU: 4
; NumVGPRsForWavesPerEU: 1
; AccumOffset: 4
; Occupancy: 8
; WaveLimiterHint : 0
; COMPUTE_PGM_RSRC2:SCRATCH_EN: 0
; COMPUTE_PGM_RSRC2:USER_SGPR: 6
; COMPUTE_PGM_RSRC2:TRAP_HANDLER: 0
; COMPUTE_PGM_RSRC2:TGID_X_EN: 1
; COMPUTE_PGM_RSRC2:TGID_Y_EN: 0
; COMPUTE_PGM_RSRC2:TGID_Z_EN: 0
; COMPUTE_PGM_RSRC2:TIDIG_COMP_CNT: 0
; COMPUTE_PGM_RSRC3_GFX90A:ACCUM_OFFSET: 0
; COMPUTE_PGM_RSRC3_GFX90A:TG_SPLIT: 0
	.section	.text._ZN7rocprim17ROCPRIM_400000_NS6detail17trampoline_kernelINS0_14default_configENS1_20scan_config_selectorIiEEZZNS1_9scan_implILNS1_25lookback_scan_determinismE0ELb1ELb1ES3_N6thrust23THRUST_200600_302600_NS10device_ptrIiEESB_iNS9_4plusIvEEiEEDaPvRmT3_T4_T5_mT6_P12ihipStream_tbENKUlT_T0_E_clISt17integral_constantIbLb1EESQ_IbLb0EEEEDaSM_SN_EUlSM_E_NS1_11comp_targetILNS1_3genE4ELNS1_11target_archE910ELNS1_3gpuE8ELNS1_3repE0EEENS1_30default_config_static_selectorELNS0_4arch9wavefront6targetE1EEEvT1_,"axG",@progbits,_ZN7rocprim17ROCPRIM_400000_NS6detail17trampoline_kernelINS0_14default_configENS1_20scan_config_selectorIiEEZZNS1_9scan_implILNS1_25lookback_scan_determinismE0ELb1ELb1ES3_N6thrust23THRUST_200600_302600_NS10device_ptrIiEESB_iNS9_4plusIvEEiEEDaPvRmT3_T4_T5_mT6_P12ihipStream_tbENKUlT_T0_E_clISt17integral_constantIbLb1EESQ_IbLb0EEEEDaSM_SN_EUlSM_E_NS1_11comp_targetILNS1_3genE4ELNS1_11target_archE910ELNS1_3gpuE8ELNS1_3repE0EEENS1_30default_config_static_selectorELNS0_4arch9wavefront6targetE1EEEvT1_,comdat
	.protected	_ZN7rocprim17ROCPRIM_400000_NS6detail17trampoline_kernelINS0_14default_configENS1_20scan_config_selectorIiEEZZNS1_9scan_implILNS1_25lookback_scan_determinismE0ELb1ELb1ES3_N6thrust23THRUST_200600_302600_NS10device_ptrIiEESB_iNS9_4plusIvEEiEEDaPvRmT3_T4_T5_mT6_P12ihipStream_tbENKUlT_T0_E_clISt17integral_constantIbLb1EESQ_IbLb0EEEEDaSM_SN_EUlSM_E_NS1_11comp_targetILNS1_3genE4ELNS1_11target_archE910ELNS1_3gpuE8ELNS1_3repE0EEENS1_30default_config_static_selectorELNS0_4arch9wavefront6targetE1EEEvT1_ ; -- Begin function _ZN7rocprim17ROCPRIM_400000_NS6detail17trampoline_kernelINS0_14default_configENS1_20scan_config_selectorIiEEZZNS1_9scan_implILNS1_25lookback_scan_determinismE0ELb1ELb1ES3_N6thrust23THRUST_200600_302600_NS10device_ptrIiEESB_iNS9_4plusIvEEiEEDaPvRmT3_T4_T5_mT6_P12ihipStream_tbENKUlT_T0_E_clISt17integral_constantIbLb1EESQ_IbLb0EEEEDaSM_SN_EUlSM_E_NS1_11comp_targetILNS1_3genE4ELNS1_11target_archE910ELNS1_3gpuE8ELNS1_3repE0EEENS1_30default_config_static_selectorELNS0_4arch9wavefront6targetE1EEEvT1_
	.globl	_ZN7rocprim17ROCPRIM_400000_NS6detail17trampoline_kernelINS0_14default_configENS1_20scan_config_selectorIiEEZZNS1_9scan_implILNS1_25lookback_scan_determinismE0ELb1ELb1ES3_N6thrust23THRUST_200600_302600_NS10device_ptrIiEESB_iNS9_4plusIvEEiEEDaPvRmT3_T4_T5_mT6_P12ihipStream_tbENKUlT_T0_E_clISt17integral_constantIbLb1EESQ_IbLb0EEEEDaSM_SN_EUlSM_E_NS1_11comp_targetILNS1_3genE4ELNS1_11target_archE910ELNS1_3gpuE8ELNS1_3repE0EEENS1_30default_config_static_selectorELNS0_4arch9wavefront6targetE1EEEvT1_
	.p2align	8
	.type	_ZN7rocprim17ROCPRIM_400000_NS6detail17trampoline_kernelINS0_14default_configENS1_20scan_config_selectorIiEEZZNS1_9scan_implILNS1_25lookback_scan_determinismE0ELb1ELb1ES3_N6thrust23THRUST_200600_302600_NS10device_ptrIiEESB_iNS9_4plusIvEEiEEDaPvRmT3_T4_T5_mT6_P12ihipStream_tbENKUlT_T0_E_clISt17integral_constantIbLb1EESQ_IbLb0EEEEDaSM_SN_EUlSM_E_NS1_11comp_targetILNS1_3genE4ELNS1_11target_archE910ELNS1_3gpuE8ELNS1_3repE0EEENS1_30default_config_static_selectorELNS0_4arch9wavefront6targetE1EEEvT1_,@function
_ZN7rocprim17ROCPRIM_400000_NS6detail17trampoline_kernelINS0_14default_configENS1_20scan_config_selectorIiEEZZNS1_9scan_implILNS1_25lookback_scan_determinismE0ELb1ELb1ES3_N6thrust23THRUST_200600_302600_NS10device_ptrIiEESB_iNS9_4plusIvEEiEEDaPvRmT3_T4_T5_mT6_P12ihipStream_tbENKUlT_T0_E_clISt17integral_constantIbLb1EESQ_IbLb0EEEEDaSM_SN_EUlSM_E_NS1_11comp_targetILNS1_3genE4ELNS1_11target_archE910ELNS1_3gpuE8ELNS1_3repE0EEENS1_30default_config_static_selectorELNS0_4arch9wavefront6targetE1EEEvT1_: ; @_ZN7rocprim17ROCPRIM_400000_NS6detail17trampoline_kernelINS0_14default_configENS1_20scan_config_selectorIiEEZZNS1_9scan_implILNS1_25lookback_scan_determinismE0ELb1ELb1ES3_N6thrust23THRUST_200600_302600_NS10device_ptrIiEESB_iNS9_4plusIvEEiEEDaPvRmT3_T4_T5_mT6_P12ihipStream_tbENKUlT_T0_E_clISt17integral_constantIbLb1EESQ_IbLb0EEEEDaSM_SN_EUlSM_E_NS1_11comp_targetILNS1_3genE4ELNS1_11target_archE910ELNS1_3gpuE8ELNS1_3repE0EEENS1_30default_config_static_selectorELNS0_4arch9wavefront6targetE1EEEvT1_
; %bb.0:
	s_load_dwordx8 s[8:15], s[4:5], 0x0
	s_load_dword s1, s[4:5], 0x30
	s_mul_i32 s0, s6, 0x500
	v_lshlrev_b32_e32 v22, 2, v0
	s_waitcnt lgkmcnt(0)
	s_lshl_b64 s[10:11], s[10:11], 2
	s_add_u32 s27, s8, s10
	s_addc_u32 s28, s9, s11
	s_add_i32 s2, s1, -1
	s_mul_i32 s3, s2, 0x500
	s_sub_u32 s7, s14, s3
	s_subb_u32 s26, s15, 0
	s_mov_b32 s1, 0
	s_cmp_lg_u32 s6, s2
	s_cselect_b64 s[8:9], -1, 0
	s_lshl_b64 s[14:15], s[0:1], 2
	s_add_u32 s2, s27, s14
	s_addc_u32 s3, s28, s15
	s_mov_b64 s[0:1], -1
	s_and_b64 vcc, exec, s[8:9]
	s_cbranch_vccz .LBB6860_2
; %bb.1:
	v_mov_b32_e32 v1, s3
	v_add_co_u32_e32 v2, vcc, s2, v22
	v_addc_co_u32_e32 v3, vcc, 0, v1, vcc
	flat_load_dword v1, v[2:3]
	flat_load_dword v4, v[2:3] offset:512
	flat_load_dword v5, v[2:3] offset:1024
	;; [unrolled: 1-line block ×7, first 2 shown]
	v_add_co_u32_e32 v2, vcc, 0x1000, v2
	v_addc_co_u32_e32 v3, vcc, 0, v3, vcc
	flat_load_dword v11, v[2:3]
	flat_load_dword v12, v[2:3] offset:512
	s_mov_b64 s[0:1], 0
	s_waitcnt vmcnt(0) lgkmcnt(0)
	ds_write2st64_b32 v22, v1, v4 offset1:2
	ds_write2st64_b32 v22, v5, v6 offset0:4 offset1:6
	ds_write2st64_b32 v22, v7, v8 offset0:8 offset1:10
	;; [unrolled: 1-line block ×4, first 2 shown]
	s_waitcnt lgkmcnt(0)
	s_barrier
.LBB6860_2:
	s_load_dwordx2 s[24:25], s[4:5], 0x28
	s_andn2_b64 vcc, exec, s[0:1]
	v_cmp_gt_u32_e64 s[0:1], s7, v0
	s_cbranch_vccnz .LBB6860_24
; %bb.3:
	v_pk_mov_b32 v[2:3], s[2:3], s[2:3] op_sel:[0,1]
	flat_load_dword v1, v[2:3]
	s_waitcnt vmcnt(0) lgkmcnt(0)
	v_mov_b32_e32 v2, v1
	v_mov_b32_e32 v3, v1
	;; [unrolled: 1-line block ×9, first 2 shown]
	s_and_saveexec_b64 s[16:17], s[0:1]
	s_cbranch_execz .LBB6860_5
; %bb.4:
	v_mov_b32_e32 v11, s3
	v_add_co_u32_e32 v10, vcc, s2, v22
	v_addc_co_u32_e32 v11, vcc, 0, v11, vcc
	flat_load_dword v10, v[10:11]
.LBB6860_5:
	s_or_b64 exec, exec, s[16:17]
	v_or_b32_e32 v11, 0x80, v0
	v_cmp_gt_u32_e32 vcc, s7, v11
	s_and_saveexec_b64 s[0:1], vcc
	s_cbranch_execz .LBB6860_7
; %bb.6:
	v_mov_b32_e32 v1, s3
	v_add_co_u32_e32 v12, vcc, s2, v22
	v_addc_co_u32_e32 v13, vcc, 0, v1, vcc
	flat_load_dword v1, v[12:13] offset:512
.LBB6860_7:
	s_or_b64 exec, exec, s[0:1]
	v_or_b32_e32 v11, 0x100, v0
	v_cmp_gt_u32_e32 vcc, s7, v11
	s_and_saveexec_b64 s[0:1], vcc
	s_cbranch_execz .LBB6860_9
; %bb.8:
	v_mov_b32_e32 v2, s3
	v_add_co_u32_e32 v12, vcc, s2, v22
	v_addc_co_u32_e32 v13, vcc, 0, v2, vcc
	flat_load_dword v2, v[12:13] offset:1024
.LBB6860_9:
	;; [unrolled: 11-line block ×7, first 2 shown]
	s_or_b64 exec, exec, s[0:1]
	v_or_b32_e32 v11, 0x400, v0
	v_cmp_gt_u32_e32 vcc, s7, v11
	s_and_saveexec_b64 s[0:1], vcc
	s_cbranch_execz .LBB6860_21
; %bb.20:
	v_lshlrev_b32_e32 v8, 2, v11
	v_mov_b32_e32 v11, s3
	v_add_co_u32_e32 v12, vcc, s2, v8
	v_addc_co_u32_e32 v13, vcc, 0, v11, vcc
	flat_load_dword v8, v[12:13]
.LBB6860_21:
	s_or_b64 exec, exec, s[0:1]
	v_or_b32_e32 v11, 0x480, v0
	v_cmp_gt_u32_e32 vcc, s7, v11
	s_and_saveexec_b64 s[0:1], vcc
	s_cbranch_execz .LBB6860_23
; %bb.22:
	v_lshlrev_b32_e32 v9, 2, v11
	v_mov_b32_e32 v11, s3
	v_add_co_u32_e32 v12, vcc, s2, v9
	v_addc_co_u32_e32 v13, vcc, 0, v11, vcc
	flat_load_dword v9, v[12:13]
.LBB6860_23:
	s_or_b64 exec, exec, s[0:1]
	s_waitcnt vmcnt(0) lgkmcnt(0)
	ds_write2st64_b32 v22, v10, v1 offset1:2
	ds_write2st64_b32 v22, v2, v3 offset0:4 offset1:6
	ds_write2st64_b32 v22, v4, v5 offset0:8 offset1:10
	;; [unrolled: 1-line block ×4, first 2 shown]
	s_waitcnt lgkmcnt(0)
	s_barrier
.LBB6860_24:
	v_mul_u32_u24_e32 v23, 10, v0
	v_lshlrev_b32_e32 v1, 2, v23
	s_waitcnt lgkmcnt(0)
	ds_read2_b64 v[16:19], v1 offset1:1
	ds_read2_b64 v[12:15], v1 offset0:2 offset1:3
	ds_read_b64 v[20:21], v1 offset:32
	s_cmp_lg_u32 s6, 0
	v_lshrrev_b32_e32 v24, 5, v0
	s_waitcnt lgkmcnt(2)
	v_add_u32_e32 v2, v17, v16
	v_add3_u32 v25, v2, v18, v19
	v_cmp_gt_u32_e32 vcc, 64, v0
	s_waitcnt lgkmcnt(0)
	s_barrier
	s_cbranch_scc0 .LBB6860_53
; %bb.25:
	v_add3_u32 v2, v25, v12, v13
	v_add3_u32 v2, v2, v14, v15
	v_add3_u32 v2, v2, v20, v21
	v_add_lshl_u32 v3, v24, v0, 2
	ds_write_b32 v3, v2
	s_waitcnt lgkmcnt(0)
	s_barrier
	s_and_saveexec_b64 s[2:3], vcc
	s_cbranch_execz .LBB6860_27
; %bb.26:
	v_lshlrev_b32_e32 v3, 1, v0
	v_lshrrev_b32_e32 v4, 4, v0
	v_add_lshl_u32 v3, v4, v3, 2
	ds_read2_b32 v[4:5], v3 offset1:1
	v_mbcnt_lo_u32_b32 v6, -1, 0
	v_mbcnt_hi_u32_b32 v6, -1, v6
	v_and_b32_e32 v7, 15, v6
	v_cmp_ne_u32_e64 s[0:1], 0, v7
	s_waitcnt lgkmcnt(0)
	v_add_u32_e32 v5, v5, v4
	; wave barrier
	s_nop 1
	v_mov_b32_dpp v8, v5 row_shr:1 row_mask:0xf bank_mask:0xf
	v_cndmask_b32_e64 v8, 0, v8, s[0:1]
	v_add_u32_e32 v5, v8, v5
	v_cmp_lt_u32_e64 s[0:1], 1, v7
	s_nop 0
	v_mov_b32_dpp v8, v5 row_shr:2 row_mask:0xf bank_mask:0xf
	v_cndmask_b32_e64 v8, 0, v8, s[0:1]
	v_add_u32_e32 v5, v5, v8
	v_cmp_lt_u32_e64 s[0:1], 3, v7
	;; [unrolled: 5-line block ×3, first 2 shown]
	s_nop 0
	v_mov_b32_dpp v8, v5 row_shr:8 row_mask:0xf bank_mask:0xf
	v_cndmask_b32_e64 v7, 0, v8, s[0:1]
	v_add_u32_e32 v5, v5, v7
	v_bfe_i32 v8, v6, 4, 1
	v_cmp_lt_u32_e64 s[0:1], 31, v6
	v_mov_b32_dpp v7, v5 row_bcast:15 row_mask:0xf bank_mask:0xf
	v_and_b32_e32 v7, v8, v7
	v_add_u32_e32 v5, v5, v7
	v_and_b32_e32 v8, 64, v6
	s_nop 0
	v_mov_b32_dpp v7, v5 row_bcast:31 row_mask:0xf bank_mask:0xf
	v_cndmask_b32_e64 v7, 0, v7, s[0:1]
	v_add_u32_e32 v5, v5, v7
	v_add_u32_e32 v7, -1, v6
	v_cmp_lt_i32_e64 s[0:1], v7, v8
	v_cndmask_b32_e64 v6, v7, v6, s[0:1]
	v_lshlrev_b32_e32 v6, 2, v6
	ds_bpermute_b32 v5, v6, v5
	v_cmp_eq_u32_e64 s[0:1], 0, v0
	s_waitcnt lgkmcnt(0)
	v_add_u32_e32 v4, v5, v4
	v_cndmask_b32_e64 v2, v4, v2, s[0:1]
	ds_write_b32 v3, v2
	; wave barrier
	ds_read_b32 v4, v3 offset:4
	s_waitcnt lgkmcnt(0)
	v_add_u32_e32 v2, v4, v2
	ds_write_b32 v3, v2 offset:4
.LBB6860_27:
	s_or_b64 exec, exec, s[2:3]
	v_cmp_eq_u32_e64 s[0:1], 0, v0
	v_cmp_ne_u32_e64 s[2:3], 0, v0
	v_mov_b32_e32 v26, 0
	s_waitcnt lgkmcnt(0)
	s_barrier
	s_and_saveexec_b64 s[16:17], s[2:3]
	s_cbranch_execz .LBB6860_29
; %bb.28:
	v_add_u32_e32 v2, -1, v0
	v_lshrrev_b32_e32 v3, 5, v2
	v_add_lshl_u32 v2, v3, v2, 2
	ds_read_b32 v26, v2
.LBB6860_29:
	s_or_b64 exec, exec, s[16:17]
	s_and_saveexec_b64 s[16:17], vcc
	s_cbranch_execz .LBB6860_52
; %bb.30:
	v_mov_b32_e32 v11, 0
	ds_read_b32 v2, v11 offset:520
	v_mbcnt_lo_u32_b32 v3, -1, 0
	v_mbcnt_hi_u32_b32 v5, -1, v3
	s_mov_b32 s21, 0
	v_cmp_eq_u32_e64 s[2:3], 0, v5
	s_and_saveexec_b64 s[18:19], s[2:3]
	s_cbranch_execz .LBB6860_32
; %bb.31:
	s_add_i32 s20, s6, 64
	s_lshl_b64 s[20:21], s[20:21], 3
	s_add_u32 s20, s24, s20
	v_mov_b32_e32 v3, 1
	s_addc_u32 s21, s25, s21
	s_waitcnt lgkmcnt(0)
	global_store_dwordx2 v11, v[2:3], s[20:21]
.LBB6860_32:
	s_or_b64 exec, exec, s[18:19]
	v_xad_u32 v4, v5, -1, s6
	v_add_u32_e32 v10, 64, v4
	v_lshlrev_b64 v[6:7], 3, v[10:11]
	v_mov_b32_e32 v3, s25
	v_add_co_u32_e32 v6, vcc, s24, v6
	v_addc_co_u32_e32 v7, vcc, v3, v7, vcc
	global_load_dwordx2 v[8:9], v[6:7], off glc
	s_waitcnt vmcnt(0)
	v_cmp_eq_u16_sdwa s[20:21], v9, v11 src0_sel:BYTE_0 src1_sel:DWORD
	s_and_saveexec_b64 s[18:19], s[20:21]
	s_cbranch_execz .LBB6860_38
; %bb.33:
	s_mov_b32 s22, 1
	s_mov_b64 s[20:21], 0
	v_mov_b32_e32 v3, 0
.LBB6860_34:                            ; =>This Loop Header: Depth=1
                                        ;     Child Loop BB6860_35 Depth 2
	s_max_u32 s23, s22, 1
.LBB6860_35:                            ;   Parent Loop BB6860_34 Depth=1
                                        ; =>  This Inner Loop Header: Depth=2
	s_add_i32 s23, s23, -1
	s_cmp_eq_u32 s23, 0
	s_sleep 1
	s_cbranch_scc0 .LBB6860_35
; %bb.36:                               ;   in Loop: Header=BB6860_34 Depth=1
	global_load_dwordx2 v[8:9], v[6:7], off glc
	s_cmp_lt_u32 s22, 32
	s_cselect_b64 s[30:31], -1, 0
	s_cmp_lg_u64 s[30:31], 0
	s_addc_u32 s22, s22, 0
	s_waitcnt vmcnt(0)
	v_cmp_ne_u16_sdwa s[30:31], v9, v3 src0_sel:BYTE_0 src1_sel:DWORD
	s_or_b64 s[20:21], s[30:31], s[20:21]
	s_andn2_b64 exec, exec, s[20:21]
	s_cbranch_execnz .LBB6860_34
; %bb.37:
	s_or_b64 exec, exec, s[20:21]
.LBB6860_38:
	s_or_b64 exec, exec, s[18:19]
	v_and_b32_e32 v27, 63, v5
	v_mov_b32_e32 v3, 2
	v_cmp_ne_u32_e32 vcc, 63, v27
	v_cmp_eq_u16_sdwa s[18:19], v9, v3 src0_sel:BYTE_0 src1_sel:DWORD
	v_lshlrev_b64 v[6:7], v5, -1
	v_addc_co_u32_e32 v28, vcc, 0, v5, vcc
	v_and_b32_e32 v10, s19, v7
	v_lshlrev_b32_e32 v28, 2, v28
	v_or_b32_e32 v10, 0x80000000, v10
	ds_bpermute_b32 v29, v28, v8
	v_and_b32_e32 v11, s18, v6
	v_ffbl_b32_e32 v10, v10
	v_add_u32_e32 v10, 32, v10
	v_ffbl_b32_e32 v11, v11
	v_min_u32_e32 v10, v11, v10
	v_cmp_lt_u32_e32 vcc, v27, v10
	s_waitcnt lgkmcnt(0)
	v_cndmask_b32_e32 v11, 0, v29, vcc
	v_cmp_gt_u32_e32 vcc, 62, v27
	v_add_u32_e32 v8, v11, v8
	v_cndmask_b32_e64 v11, 0, 1, vcc
	v_lshlrev_b32_e32 v11, 1, v11
	v_add_lshl_u32 v29, v11, v5, 2
	ds_bpermute_b32 v11, v29, v8
	v_add_u32_e32 v30, 2, v27
	v_cmp_le_u32_e32 vcc, v30, v10
	v_add_u32_e32 v32, 4, v27
	v_add_u32_e32 v34, 8, v27
	s_waitcnt lgkmcnt(0)
	v_cndmask_b32_e32 v11, 0, v11, vcc
	v_cmp_gt_u32_e32 vcc, 60, v27
	v_add_u32_e32 v8, v8, v11
	v_cndmask_b32_e64 v11, 0, 1, vcc
	v_lshlrev_b32_e32 v11, 2, v11
	v_add_lshl_u32 v31, v11, v5, 2
	ds_bpermute_b32 v11, v31, v8
	v_cmp_le_u32_e32 vcc, v32, v10
	v_add_u32_e32 v37, 16, v27
	v_add_u32_e32 v39, 32, v27
	s_waitcnt lgkmcnt(0)
	v_cndmask_b32_e32 v11, 0, v11, vcc
	v_cmp_gt_u32_e32 vcc, 56, v27
	v_add_u32_e32 v8, v8, v11
	v_cndmask_b32_e64 v11, 0, 1, vcc
	v_lshlrev_b32_e32 v11, 3, v11
	v_add_lshl_u32 v33, v11, v5, 2
	ds_bpermute_b32 v11, v33, v8
	v_cmp_le_u32_e32 vcc, v34, v10
	s_waitcnt lgkmcnt(0)
	v_cndmask_b32_e32 v11, 0, v11, vcc
	v_cmp_gt_u32_e32 vcc, 48, v27
	v_add_u32_e32 v8, v8, v11
	v_cndmask_b32_e64 v11, 0, 1, vcc
	v_lshlrev_b32_e32 v11, 4, v11
	v_add_lshl_u32 v36, v11, v5, 2
	ds_bpermute_b32 v11, v36, v8
	v_cmp_le_u32_e32 vcc, v37, v10
	;; [unrolled: 9-line block ×3, first 2 shown]
	s_waitcnt lgkmcnt(0)
	v_cndmask_b32_e32 v5, 0, v5, vcc
	v_add_u32_e32 v8, v8, v5
	v_mov_b32_e32 v5, 0
	s_branch .LBB6860_40
.LBB6860_39:                            ;   in Loop: Header=BB6860_40 Depth=1
	s_or_b64 exec, exec, s[18:19]
	v_cmp_eq_u16_sdwa s[18:19], v9, v3 src0_sel:BYTE_0 src1_sel:DWORD
	v_and_b32_e32 v10, s19, v7
	v_or_b32_e32 v10, 0x80000000, v10
	ds_bpermute_b32 v40, v28, v8
	v_and_b32_e32 v11, s18, v6
	v_ffbl_b32_e32 v10, v10
	v_add_u32_e32 v10, 32, v10
	v_ffbl_b32_e32 v11, v11
	v_min_u32_e32 v10, v11, v10
	v_cmp_lt_u32_e32 vcc, v27, v10
	s_waitcnt lgkmcnt(0)
	v_cndmask_b32_e32 v11, 0, v40, vcc
	v_add_u32_e32 v8, v11, v8
	ds_bpermute_b32 v11, v29, v8
	v_cmp_le_u32_e32 vcc, v30, v10
	v_subrev_u32_e32 v4, 64, v4
	s_waitcnt lgkmcnt(0)
	v_cndmask_b32_e32 v11, 0, v11, vcc
	v_add_u32_e32 v8, v8, v11
	ds_bpermute_b32 v11, v31, v8
	v_cmp_le_u32_e32 vcc, v32, v10
	s_waitcnt lgkmcnt(0)
	v_cndmask_b32_e32 v11, 0, v11, vcc
	v_add_u32_e32 v8, v8, v11
	ds_bpermute_b32 v11, v33, v8
	v_cmp_le_u32_e32 vcc, v34, v10
	;; [unrolled: 5-line block ×4, first 2 shown]
	s_waitcnt lgkmcnt(0)
	v_cndmask_b32_e32 v10, 0, v11, vcc
	v_add3_u32 v8, v10, v35, v8
.LBB6860_40:                            ; =>This Loop Header: Depth=1
                                        ;     Child Loop BB6860_43 Depth 2
                                        ;       Child Loop BB6860_44 Depth 3
	v_cmp_ne_u16_sdwa s[18:19], v9, v3 src0_sel:BYTE_0 src1_sel:DWORD
	v_cndmask_b32_e64 v9, 0, 1, s[18:19]
	;;#ASMSTART
	;;#ASMEND
	v_cmp_ne_u32_e32 vcc, 0, v9
	s_cmp_lg_u64 vcc, exec
	v_mov_b32_e32 v35, v8
	s_cbranch_scc1 .LBB6860_47
; %bb.41:                               ;   in Loop: Header=BB6860_40 Depth=1
	v_lshlrev_b64 v[8:9], 3, v[4:5]
	v_mov_b32_e32 v11, s25
	v_add_co_u32_e32 v10, vcc, s24, v8
	v_addc_co_u32_e32 v11, vcc, v11, v9, vcc
	global_load_dwordx2 v[8:9], v[10:11], off glc
	s_waitcnt vmcnt(0)
	v_cmp_eq_u16_sdwa s[20:21], v9, v5 src0_sel:BYTE_0 src1_sel:DWORD
	s_and_saveexec_b64 s[18:19], s[20:21]
	s_cbranch_execz .LBB6860_39
; %bb.42:                               ;   in Loop: Header=BB6860_40 Depth=1
	s_mov_b32 s22, 1
	s_mov_b64 s[20:21], 0
.LBB6860_43:                            ;   Parent Loop BB6860_40 Depth=1
                                        ; =>  This Loop Header: Depth=2
                                        ;       Child Loop BB6860_44 Depth 3
	s_max_u32 s23, s22, 1
.LBB6860_44:                            ;   Parent Loop BB6860_40 Depth=1
                                        ;     Parent Loop BB6860_43 Depth=2
                                        ; =>    This Inner Loop Header: Depth=3
	s_add_i32 s23, s23, -1
	s_cmp_eq_u32 s23, 0
	s_sleep 1
	s_cbranch_scc0 .LBB6860_44
; %bb.45:                               ;   in Loop: Header=BB6860_43 Depth=2
	global_load_dwordx2 v[8:9], v[10:11], off glc
	s_cmp_lt_u32 s22, 32
	s_cselect_b64 s[30:31], -1, 0
	s_cmp_lg_u64 s[30:31], 0
	s_addc_u32 s22, s22, 0
	s_waitcnt vmcnt(0)
	v_cmp_ne_u16_sdwa s[30:31], v9, v5 src0_sel:BYTE_0 src1_sel:DWORD
	s_or_b64 s[20:21], s[30:31], s[20:21]
	s_andn2_b64 exec, exec, s[20:21]
	s_cbranch_execnz .LBB6860_43
; %bb.46:                               ;   in Loop: Header=BB6860_40 Depth=1
	s_or_b64 exec, exec, s[20:21]
	s_branch .LBB6860_39
.LBB6860_47:                            ;   in Loop: Header=BB6860_40 Depth=1
                                        ; implicit-def: $vgpr8
                                        ; implicit-def: $vgpr9
	s_cbranch_execz .LBB6860_40
; %bb.48:
	s_and_saveexec_b64 s[18:19], s[2:3]
	s_cbranch_execz .LBB6860_50
; %bb.49:
	s_add_i32 s2, s6, 64
	s_mov_b32 s3, 0
	s_lshl_b64 s[2:3], s[2:3], 3
	s_add_u32 s2, s24, s2
	v_add_u32_e32 v2, v35, v2
	v_mov_b32_e32 v3, 2
	s_addc_u32 s3, s25, s3
	v_mov_b32_e32 v4, 0
	global_store_dwordx2 v4, v[2:3], s[2:3]
.LBB6860_50:
	s_or_b64 exec, exec, s[18:19]
	s_and_b64 exec, exec, s[0:1]
	s_cbranch_execz .LBB6860_52
; %bb.51:
	v_mov_b32_e32 v2, 0
	ds_write_b32 v2, v35
.LBB6860_52:
	s_or_b64 exec, exec, s[16:17]
	v_mov_b32_e32 v2, 0
	s_waitcnt lgkmcnt(0)
	s_barrier
	ds_read_b32 v2, v2
	s_waitcnt lgkmcnt(0)
	v_add_u32_e32 v2, v2, v26
	v_add_u32_e32 v3, v2, v16
	;; [unrolled: 1-line block ×10, first 2 shown]
	s_load_dwordx8 s[16:23], s[4:5], 0x38
	s_branch .LBB6860_63
.LBB6860_53:
                                        ; implicit-def: $vgpr2_vgpr3_vgpr4_vgpr5_vgpr6_vgpr7_vgpr8_vgpr9_vgpr10_vgpr11
	s_load_dwordx8 s[16:23], s[4:5], 0x38
	s_cbranch_execz .LBB6860_63
; %bb.54:
	s_load_dword s0, s[4:5], 0x20
	s_waitcnt lgkmcnt(0)
	s_cmp_eq_u64 s[20:21], 0
	v_mov_b32_e32 v26, s0
	s_cbranch_scc1 .LBB6860_56
; %bb.55:
	v_mov_b32_e32 v3, s28
	v_add_co_u32_e64 v2, vcc, -4, s27
	v_addc_co_u32_e32 v3, vcc, -1, v3, vcc
	v_mov_b32_e32 v4, 0
	flat_load_dword v5, v[2:3]
	global_load_dword v6, v4, s[16:17]
	s_waitcnt vmcnt(0) lgkmcnt(0)
	v_add_u32_e32 v26, v6, v5
.LBB6860_56:
	v_add3_u32 v2, v25, v12, v13
	v_add3_u32 v2, v2, v14, v15
	;; [unrolled: 1-line block ×3, first 2 shown]
	v_add_lshl_u32 v3, v24, v0, 2
	v_cmp_gt_u32_e32 vcc, 64, v0
	ds_write_b32 v3, v2
	s_waitcnt lgkmcnt(0)
	s_barrier
	s_and_saveexec_b64 s[0:1], vcc
	s_cbranch_execz .LBB6860_58
; %bb.57:
	v_lshlrev_b32_e32 v3, 1, v0
	v_lshrrev_b32_e32 v4, 4, v0
	v_add_lshl_u32 v3, v4, v3, 2
	ds_read2_b32 v[4:5], v3 offset1:1
	v_mbcnt_lo_u32_b32 v6, -1, 0
	v_mbcnt_hi_u32_b32 v6, -1, v6
	v_and_b32_e32 v7, 15, v6
	v_cmp_ne_u32_e32 vcc, 0, v7
	s_waitcnt lgkmcnt(0)
	v_add_u32_e32 v5, v5, v4
	; wave barrier
	s_nop 1
	v_mov_b32_dpp v8, v5 row_shr:1 row_mask:0xf bank_mask:0xf
	v_cndmask_b32_e32 v8, 0, v8, vcc
	v_add_u32_e32 v5, v8, v5
	v_cmp_lt_u32_e32 vcc, 1, v7
	s_nop 0
	v_mov_b32_dpp v8, v5 row_shr:2 row_mask:0xf bank_mask:0xf
	v_cndmask_b32_e32 v8, 0, v8, vcc
	v_add_u32_e32 v5, v5, v8
	v_cmp_lt_u32_e32 vcc, 3, v7
	;; [unrolled: 5-line block ×3, first 2 shown]
	s_nop 0
	v_mov_b32_dpp v8, v5 row_shr:8 row_mask:0xf bank_mask:0xf
	v_cndmask_b32_e32 v7, 0, v8, vcc
	v_add_u32_e32 v5, v5, v7
	v_bfe_i32 v8, v6, 4, 1
	v_cmp_lt_u32_e32 vcc, 31, v6
	v_mov_b32_dpp v7, v5 row_bcast:15 row_mask:0xf bank_mask:0xf
	v_and_b32_e32 v7, v8, v7
	v_add_u32_e32 v5, v5, v7
	v_and_b32_e32 v8, 64, v6
	s_nop 0
	v_mov_b32_dpp v7, v5 row_bcast:31 row_mask:0xf bank_mask:0xf
	v_cndmask_b32_e32 v7, 0, v7, vcc
	v_add_u32_e32 v5, v5, v7
	v_add_u32_e32 v7, -1, v6
	v_cmp_lt_i32_e32 vcc, v7, v8
	v_cndmask_b32_e32 v6, v7, v6, vcc
	v_lshlrev_b32_e32 v6, 2, v6
	ds_bpermute_b32 v5, v6, v5
	v_cmp_eq_u32_e32 vcc, 0, v0
	s_waitcnt lgkmcnt(0)
	v_add_u32_e32 v4, v5, v4
	v_cndmask_b32_e32 v2, v4, v2, vcc
	ds_write_b32 v3, v2
	; wave barrier
	ds_read_b32 v4, v3 offset:4
	s_waitcnt lgkmcnt(0)
	v_add_u32_e32 v2, v4, v2
	ds_write_b32 v3, v2 offset:4
.LBB6860_58:
	s_or_b64 exec, exec, s[0:1]
	v_cmp_eq_u32_e32 vcc, 0, v0
	v_cmp_ne_u32_e64 s[0:1], 0, v0
	v_mov_b32_e32 v2, v26
	s_waitcnt lgkmcnt(0)
	s_barrier
	s_and_saveexec_b64 s[2:3], s[0:1]
	s_cbranch_execz .LBB6860_60
; %bb.59:
	v_add_u32_e32 v2, -1, v0
	v_lshrrev_b32_e32 v3, 5, v2
	v_add_lshl_u32 v2, v3, v2, 2
	ds_read_b32 v2, v2
	s_waitcnt lgkmcnt(0)
	v_add_u32_e32 v2, v2, v26
.LBB6860_60:
	s_or_b64 exec, exec, s[2:3]
	v_add_u32_e32 v3, v2, v16
	v_add_u32_e32 v4, v3, v17
	;; [unrolled: 1-line block ×9, first 2 shown]
	s_and_saveexec_b64 s[0:1], vcc
	s_cbranch_execz .LBB6860_62
; %bb.61:
	v_mov_b32_e32 v14, 0
	ds_read_b32 v12, v14 offset:520
	v_mov_b32_e32 v13, 2
	s_waitcnt lgkmcnt(0)
	v_add_u32_e32 v12, v12, v26
	global_store_dwordx2 v14, v[12:13], s[24:25] offset:512
.LBB6860_62:
	s_or_b64 exec, exec, s[0:1]
.LBB6860_63:
	s_add_u32 s0, s12, s10
	s_addc_u32 s1, s13, s11
	s_add_u32 s2, s0, s14
	s_addc_u32 s3, s1, s15
	s_mov_b64 s[0:1], -1
	s_and_b64 vcc, exec, s[8:9]
	s_waitcnt lgkmcnt(0)
	s_barrier
	s_cbranch_vccz .LBB6860_65
; %bb.64:
	ds_write2_b64 v1, v[2:3], v[4:5] offset1:1
	ds_write2_b64 v1, v[6:7], v[8:9] offset0:2 offset1:3
	ds_write_b64 v1, v[10:11] offset:32
	s_waitcnt lgkmcnt(0)
	s_barrier
	ds_read2st64_b32 v[12:13], v22 offset1:2
	ds_read2st64_b32 v[14:15], v22 offset0:4 offset1:6
	ds_read2st64_b32 v[16:17], v22 offset0:8 offset1:10
	;; [unrolled: 1-line block ×4, first 2 shown]
	v_mov_b32_e32 v25, s3
	v_add_co_u32_e32 v24, vcc, s2, v22
	v_addc_co_u32_e32 v25, vcc, 0, v25, vcc
	s_waitcnt lgkmcnt(4)
	flat_store_dword v[24:25], v12
	flat_store_dword v[24:25], v13 offset:512
	s_waitcnt lgkmcnt(0)
	flat_store_dword v[24:25], v14 offset:1024
	flat_store_dword v[24:25], v15 offset:1536
	flat_store_dword v[24:25], v16 offset:2048
	flat_store_dword v[24:25], v17 offset:2560
	flat_store_dword v[24:25], v18 offset:3072
	flat_store_dword v[24:25], v19 offset:3584
	v_add_co_u32_e32 v12, vcc, 0x1000, v24
	v_addc_co_u32_e32 v13, vcc, 0, v25, vcc
	flat_store_dword v[12:13], v20
	flat_store_dword v[12:13], v21 offset:512
	s_mov_b64 s[0:1], 0
.LBB6860_65:
	s_andn2_b64 vcc, exec, s[0:1]
	s_cbranch_vccnz .LBB6860_121
; %bb.66:
	ds_write2_b64 v1, v[2:3], v[4:5] offset1:1
	ds_write2_b64 v1, v[6:7], v[8:9] offset0:2 offset1:3
	ds_write_b64 v1, v[10:11] offset:32
	s_waitcnt lgkmcnt(0)
	s_barrier
	ds_read2st64_b32 v[2:3], v22 offset1:2
	ds_read2st64_b32 v[6:7], v22 offset0:4 offset1:6
	ds_read2st64_b32 v[4:5], v22 offset0:8 offset1:10
	;; [unrolled: 1-line block ×4, first 2 shown]
	v_mov_b32_e32 v13, s3
	v_add_co_u32_e32 v12, vcc, s2, v22
	v_addc_co_u32_e32 v13, vcc, 0, v13, vcc
	v_mov_b32_e32 v1, 0
	v_cmp_gt_u32_e32 vcc, s7, v0
	s_and_saveexec_b64 s[0:1], vcc
	s_cbranch_execz .LBB6860_68
; %bb.67:
	s_waitcnt lgkmcnt(0)
	flat_store_dword v[12:13], v2
.LBB6860_68:
	s_or_b64 exec, exec, s[0:1]
	v_or_b32_e32 v14, 0x80, v0
	v_cmp_gt_u32_e32 vcc, s7, v14
	s_and_saveexec_b64 s[0:1], vcc
	s_cbranch_execz .LBB6860_70
; %bb.69:
	s_waitcnt lgkmcnt(0)
	flat_store_dword v[12:13], v3 offset:512
.LBB6860_70:
	s_or_b64 exec, exec, s[0:1]
	v_or_b32_e32 v14, 0x100, v0
	v_cmp_gt_u32_e32 vcc, s7, v14
	s_and_saveexec_b64 s[0:1], vcc
	s_cbranch_execz .LBB6860_72
; %bb.71:
	s_waitcnt lgkmcnt(0)
	flat_store_dword v[12:13], v6 offset:1024
.LBB6860_72:
	;; [unrolled: 9-line block ×7, first 2 shown]
	s_or_b64 exec, exec, s[0:1]
	v_or_b32_e32 v14, 0x400, v0
	v_cmp_gt_u32_e32 vcc, s7, v14
	s_and_saveexec_b64 s[0:1], vcc
	s_cbranch_execz .LBB6860_84
; %bb.83:
	v_add_co_u32_e32 v14, vcc, 0x1000, v12
	v_addc_co_u32_e32 v15, vcc, 0, v13, vcc
	s_waitcnt lgkmcnt(0)
	flat_store_dword v[14:15], v10
.LBB6860_84:
	s_or_b64 exec, exec, s[0:1]
	v_or_b32_e32 v14, 0x480, v0
	v_cmp_gt_u32_e32 vcc, s7, v14
	s_and_saveexec_b64 s[0:1], vcc
	s_cbranch_execz .LBB6860_86
; %bb.85:
	v_add_co_u32_e32 v12, vcc, 0x1000, v12
	v_addc_co_u32_e32 v13, vcc, 0, v13, vcc
	s_waitcnt lgkmcnt(0)
	flat_store_dword v[12:13], v11 offset:512
.LBB6860_86:
	s_or_b64 exec, exec, s[0:1]
	v_cmp_lt_u64_e64 s[0:1], s[22:23], 2
	s_and_b64 vcc, exec, s[0:1]
	s_cbranch_vccnz .LBB6860_121
; %bb.87:
	s_add_u32 s0, s7, -1
	s_addc_u32 s1, s26, -1
	s_add_u32 s2, 0, 0x99986000
	s_addc_u32 s3, 0, 0x59
	s_add_i32 s3, s3, 0x19999940
	s_mul_hi_u32 s7, s2, -10
	s_sub_i32 s7, s7, s2
	s_mul_i32 s8, s3, -10
	s_mul_i32 s4, s2, -10
	s_add_i32 s7, s7, s8
	s_mul_hi_u32 s5, s3, s4
	s_mul_i32 s6, s3, s4
	s_mul_i32 s9, s2, s7
	s_mul_hi_u32 s4, s2, s4
	s_mul_hi_u32 s8, s2, s7
	s_add_u32 s4, s4, s9
	s_addc_u32 s8, 0, s8
	s_add_u32 s4, s4, s6
	s_mul_hi_u32 s9, s3, s7
	s_addc_u32 s4, s8, s5
	s_addc_u32 s5, s9, 0
	s_mul_i32 s6, s3, s7
	s_add_u32 s4, s4, s6
	v_mov_b32_e32 v12, s4
	s_addc_u32 s5, 0, s5
	v_add_co_u32_e32 v12, vcc, s2, v12
	s_cmp_lg_u64 vcc, 0
	s_addc_u32 s2, s3, s5
	v_readfirstlane_b32 s5, v12
	s_mul_i32 s4, s0, s2
	s_mul_hi_u32 s6, s0, s5
	s_mul_hi_u32 s3, s0, s2
	s_add_u32 s4, s6, s4
	s_addc_u32 s3, 0, s3
	s_mul_hi_u32 s7, s1, s5
	s_mul_i32 s5, s1, s5
	s_add_u32 s4, s4, s5
	s_mul_hi_u32 s6, s1, s2
	s_addc_u32 s3, s3, s7
	s_addc_u32 s4, s6, 0
	s_mul_i32 s2, s1, s2
	s_add_u32 s2, s3, s2
	s_addc_u32 s3, 0, s4
	s_add_u32 s4, s2, 1
	s_addc_u32 s5, s3, 0
	s_add_u32 s6, s2, 2
	s_mul_i32 s8, s3, 10
	s_mul_hi_u32 s9, s2, 10
	s_addc_u32 s7, s3, 0
	s_add_i32 s9, s9, s8
	s_mul_i32 s8, s2, 10
	v_mov_b32_e32 v12, s8
	v_sub_co_u32_e32 v12, vcc, s0, v12
	s_cmp_lg_u64 vcc, 0
	s_subb_u32 s8, s1, s9
	v_subrev_co_u32_e32 v13, vcc, 10, v12
	s_cmp_lg_u64 vcc, 0
	s_subb_u32 s9, s8, 0
	v_readfirstlane_b32 s10, v13
	s_cmp_gt_u32 s10, 9
	s_cselect_b32 s10, -1, 0
	s_cmp_eq_u32 s9, 0
	s_cselect_b32 s9, s10, -1
	s_cmp_lg_u32 s9, 0
	s_cselect_b32 s4, s6, s4
	v_readfirstlane_b32 s6, v12
	s_cselect_b32 s5, s7, s5
	s_cmp_gt_u32 s6, 9
	s_cselect_b32 s6, -1, 0
	s_cmp_eq_u32 s8, 0
	s_cselect_b32 s6, s6, -1
	s_cmp_lg_u32 s6, 0
	s_cselect_b32 s3, s5, s3
	s_cselect_b32 s2, s4, s2
	v_cmp_eq_u64_e32 vcc, s[2:3], v[0:1]
	s_and_saveexec_b64 s[2:3], vcc
	s_cbranch_execz .LBB6860_121
; %bb.88:
	v_mul_hi_u32_u24_e32 v1, 10, v0
	v_mov_b32_e32 v12, s1
	v_sub_co_u32_e32 v0, vcc, s0, v23
	v_subb_co_u32_e32 v1, vcc, v12, v1, vcc
	v_cmp_lt_i64_e32 vcc, 4, v[0:1]
	s_and_saveexec_b64 s[0:1], vcc
	s_xor_b64 s[0:1], exec, s[0:1]
	s_cbranch_execz .LBB6860_106
; %bb.89:
	v_cmp_lt_i64_e32 vcc, 6, v[0:1]
	s_and_saveexec_b64 s[2:3], vcc
	s_xor_b64 s[2:3], exec, s[2:3]
	s_cbranch_execz .LBB6860_99
; %bb.90:
	;; [unrolled: 5-line block ×4, first 2 shown]
	v_mov_b32_e32 v0, 0
	s_waitcnt lgkmcnt(0)
	global_store_dword v0, v11, s[18:19]
                                        ; implicit-def: $vgpr10_vgpr11
.LBB6860_93:
	s_andn2_saveexec_b64 s[6:7], s[6:7]
	s_cbranch_execz .LBB6860_95
; %bb.94:
	v_mov_b32_e32 v0, 0
	s_waitcnt lgkmcnt(0)
	global_store_dword v0, v10, s[18:19]
.LBB6860_95:
	s_or_b64 exec, exec, s[6:7]
                                        ; implicit-def: $vgpr8_vgpr9
.LBB6860_96:
	s_andn2_saveexec_b64 s[4:5], s[4:5]
	s_cbranch_execz .LBB6860_98
; %bb.97:
	v_mov_b32_e32 v0, 0
	s_waitcnt lgkmcnt(0)
	global_store_dword v0, v9, s[18:19]
.LBB6860_98:
	s_or_b64 exec, exec, s[4:5]
                                        ; implicit-def: $vgpr4_vgpr5
                                        ; implicit-def: $vgpr0_vgpr1
                                        ; implicit-def: $vgpr8_vgpr9
.LBB6860_99:
	s_andn2_saveexec_b64 s[2:3], s[2:3]
	s_cbranch_execz .LBB6860_105
; %bb.100:
	v_cmp_lt_i64_e32 vcc, 5, v[0:1]
	s_and_saveexec_b64 s[4:5], vcc
	s_xor_b64 s[4:5], exec, s[4:5]
	s_cbranch_execz .LBB6860_102
; %bb.101:
	v_mov_b32_e32 v0, 0
	s_waitcnt lgkmcnt(0)
	global_store_dword v0, v8, s[18:19]
                                        ; implicit-def: $vgpr4_vgpr5
.LBB6860_102:
	s_andn2_saveexec_b64 s[4:5], s[4:5]
	s_cbranch_execz .LBB6860_104
; %bb.103:
	v_mov_b32_e32 v0, 0
	s_waitcnt lgkmcnt(0)
	global_store_dword v0, v5, s[18:19]
.LBB6860_104:
	s_or_b64 exec, exec, s[4:5]
.LBB6860_105:
	s_or_b64 exec, exec, s[2:3]
                                        ; implicit-def: $vgpr0_vgpr1
                                        ; implicit-def: $vgpr6_vgpr7
                                        ; implicit-def: $vgpr2_vgpr3
                                        ; implicit-def: $vgpr4_vgpr5
.LBB6860_106:
	s_andn2_saveexec_b64 s[0:1], s[0:1]
	s_cbranch_execz .LBB6860_121
; %bb.107:
	v_cmp_lt_i64_e32 vcc, 2, v[0:1]
	s_and_saveexec_b64 s[0:1], vcc
	s_xor_b64 s[0:1], exec, s[0:1]
	s_cbranch_execz .LBB6860_113
; %bb.108:
	v_cmp_lt_i64_e32 vcc, 3, v[0:1]
	s_and_saveexec_b64 s[2:3], vcc
	s_xor_b64 s[2:3], exec, s[2:3]
	s_cbranch_execz .LBB6860_110
; %bb.109:
	v_mov_b32_e32 v0, 0
	s_waitcnt lgkmcnt(0)
	global_store_dword v0, v4, s[18:19]
                                        ; implicit-def: $vgpr6_vgpr7
.LBB6860_110:
	s_andn2_saveexec_b64 s[2:3], s[2:3]
	s_cbranch_execz .LBB6860_112
; %bb.111:
	v_mov_b32_e32 v0, 0
	s_waitcnt lgkmcnt(0)
	global_store_dword v0, v7, s[18:19]
.LBB6860_112:
	s_or_b64 exec, exec, s[2:3]
                                        ; implicit-def: $vgpr0_vgpr1
                                        ; implicit-def: $vgpr6_vgpr7
                                        ; implicit-def: $vgpr2_vgpr3
.LBB6860_113:
	s_andn2_saveexec_b64 s[0:1], s[0:1]
	s_cbranch_execz .LBB6860_121
; %bb.114:
	v_cmp_lt_i64_e32 vcc, 1, v[0:1]
	s_and_saveexec_b64 s[0:1], vcc
	s_xor_b64 s[0:1], exec, s[0:1]
	s_cbranch_execz .LBB6860_116
; %bb.115:
	v_mov_b32_e32 v0, 0
	s_waitcnt lgkmcnt(0)
	global_store_dword v0, v6, s[18:19]
                                        ; implicit-def: $vgpr2_vgpr3
                                        ; implicit-def: $vgpr0_vgpr1
.LBB6860_116:
	s_andn2_saveexec_b64 s[0:1], s[0:1]
	s_cbranch_execz .LBB6860_121
; %bb.117:
	v_cmp_ne_u64_e32 vcc, 1, v[0:1]
	s_and_saveexec_b64 s[0:1], vcc
	s_xor_b64 s[0:1], exec, s[0:1]
	s_cbranch_execz .LBB6860_119
; %bb.118:
	v_mov_b32_e32 v0, 0
	s_waitcnt lgkmcnt(0)
	global_store_dword v0, v2, s[18:19]
                                        ; implicit-def: $vgpr2_vgpr3
.LBB6860_119:
	s_andn2_saveexec_b64 s[0:1], s[0:1]
	s_cbranch_execz .LBB6860_121
; %bb.120:
	v_mov_b32_e32 v0, 0
	s_waitcnt lgkmcnt(0)
	global_store_dword v0, v3, s[18:19]
.LBB6860_121:
	s_endpgm
	.section	.rodata,"a",@progbits
	.p2align	6, 0x0
	.amdhsa_kernel _ZN7rocprim17ROCPRIM_400000_NS6detail17trampoline_kernelINS0_14default_configENS1_20scan_config_selectorIiEEZZNS1_9scan_implILNS1_25lookback_scan_determinismE0ELb1ELb1ES3_N6thrust23THRUST_200600_302600_NS10device_ptrIiEESB_iNS9_4plusIvEEiEEDaPvRmT3_T4_T5_mT6_P12ihipStream_tbENKUlT_T0_E_clISt17integral_constantIbLb1EESQ_IbLb0EEEEDaSM_SN_EUlSM_E_NS1_11comp_targetILNS1_3genE4ELNS1_11target_archE910ELNS1_3gpuE8ELNS1_3repE0EEENS1_30default_config_static_selectorELNS0_4arch9wavefront6targetE1EEEvT1_
		.amdhsa_group_segment_fixed_size 5120
		.amdhsa_private_segment_fixed_size 0
		.amdhsa_kernarg_size 96
		.amdhsa_user_sgpr_count 6
		.amdhsa_user_sgpr_private_segment_buffer 1
		.amdhsa_user_sgpr_dispatch_ptr 0
		.amdhsa_user_sgpr_queue_ptr 0
		.amdhsa_user_sgpr_kernarg_segment_ptr 1
		.amdhsa_user_sgpr_dispatch_id 0
		.amdhsa_user_sgpr_flat_scratch_init 0
		.amdhsa_user_sgpr_kernarg_preload_length 0
		.amdhsa_user_sgpr_kernarg_preload_offset 0
		.amdhsa_user_sgpr_private_segment_size 0
		.amdhsa_uses_dynamic_stack 0
		.amdhsa_system_sgpr_private_segment_wavefront_offset 0
		.amdhsa_system_sgpr_workgroup_id_x 1
		.amdhsa_system_sgpr_workgroup_id_y 0
		.amdhsa_system_sgpr_workgroup_id_z 0
		.amdhsa_system_sgpr_workgroup_info 0
		.amdhsa_system_vgpr_workitem_id 0
		.amdhsa_next_free_vgpr 41
		.amdhsa_next_free_sgpr 32
		.amdhsa_accum_offset 44
		.amdhsa_reserve_vcc 1
		.amdhsa_reserve_flat_scratch 0
		.amdhsa_float_round_mode_32 0
		.amdhsa_float_round_mode_16_64 0
		.amdhsa_float_denorm_mode_32 3
		.amdhsa_float_denorm_mode_16_64 3
		.amdhsa_dx10_clamp 1
		.amdhsa_ieee_mode 1
		.amdhsa_fp16_overflow 0
		.amdhsa_tg_split 0
		.amdhsa_exception_fp_ieee_invalid_op 0
		.amdhsa_exception_fp_denorm_src 0
		.amdhsa_exception_fp_ieee_div_zero 0
		.amdhsa_exception_fp_ieee_overflow 0
		.amdhsa_exception_fp_ieee_underflow 0
		.amdhsa_exception_fp_ieee_inexact 0
		.amdhsa_exception_int_div_zero 0
	.end_amdhsa_kernel
	.section	.text._ZN7rocprim17ROCPRIM_400000_NS6detail17trampoline_kernelINS0_14default_configENS1_20scan_config_selectorIiEEZZNS1_9scan_implILNS1_25lookback_scan_determinismE0ELb1ELb1ES3_N6thrust23THRUST_200600_302600_NS10device_ptrIiEESB_iNS9_4plusIvEEiEEDaPvRmT3_T4_T5_mT6_P12ihipStream_tbENKUlT_T0_E_clISt17integral_constantIbLb1EESQ_IbLb0EEEEDaSM_SN_EUlSM_E_NS1_11comp_targetILNS1_3genE4ELNS1_11target_archE910ELNS1_3gpuE8ELNS1_3repE0EEENS1_30default_config_static_selectorELNS0_4arch9wavefront6targetE1EEEvT1_,"axG",@progbits,_ZN7rocprim17ROCPRIM_400000_NS6detail17trampoline_kernelINS0_14default_configENS1_20scan_config_selectorIiEEZZNS1_9scan_implILNS1_25lookback_scan_determinismE0ELb1ELb1ES3_N6thrust23THRUST_200600_302600_NS10device_ptrIiEESB_iNS9_4plusIvEEiEEDaPvRmT3_T4_T5_mT6_P12ihipStream_tbENKUlT_T0_E_clISt17integral_constantIbLb1EESQ_IbLb0EEEEDaSM_SN_EUlSM_E_NS1_11comp_targetILNS1_3genE4ELNS1_11target_archE910ELNS1_3gpuE8ELNS1_3repE0EEENS1_30default_config_static_selectorELNS0_4arch9wavefront6targetE1EEEvT1_,comdat
.Lfunc_end6860:
	.size	_ZN7rocprim17ROCPRIM_400000_NS6detail17trampoline_kernelINS0_14default_configENS1_20scan_config_selectorIiEEZZNS1_9scan_implILNS1_25lookback_scan_determinismE0ELb1ELb1ES3_N6thrust23THRUST_200600_302600_NS10device_ptrIiEESB_iNS9_4plusIvEEiEEDaPvRmT3_T4_T5_mT6_P12ihipStream_tbENKUlT_T0_E_clISt17integral_constantIbLb1EESQ_IbLb0EEEEDaSM_SN_EUlSM_E_NS1_11comp_targetILNS1_3genE4ELNS1_11target_archE910ELNS1_3gpuE8ELNS1_3repE0EEENS1_30default_config_static_selectorELNS0_4arch9wavefront6targetE1EEEvT1_, .Lfunc_end6860-_ZN7rocprim17ROCPRIM_400000_NS6detail17trampoline_kernelINS0_14default_configENS1_20scan_config_selectorIiEEZZNS1_9scan_implILNS1_25lookback_scan_determinismE0ELb1ELb1ES3_N6thrust23THRUST_200600_302600_NS10device_ptrIiEESB_iNS9_4plusIvEEiEEDaPvRmT3_T4_T5_mT6_P12ihipStream_tbENKUlT_T0_E_clISt17integral_constantIbLb1EESQ_IbLb0EEEEDaSM_SN_EUlSM_E_NS1_11comp_targetILNS1_3genE4ELNS1_11target_archE910ELNS1_3gpuE8ELNS1_3repE0EEENS1_30default_config_static_selectorELNS0_4arch9wavefront6targetE1EEEvT1_
                                        ; -- End function
	.section	.AMDGPU.csdata,"",@progbits
; Kernel info:
; codeLenInByte = 4484
; NumSgprs: 36
; NumVgprs: 41
; NumAgprs: 0
; TotalNumVgprs: 41
; ScratchSize: 0
; MemoryBound: 0
; FloatMode: 240
; IeeeMode: 1
; LDSByteSize: 5120 bytes/workgroup (compile time only)
; SGPRBlocks: 4
; VGPRBlocks: 5
; NumSGPRsForWavesPerEU: 36
; NumVGPRsForWavesPerEU: 41
; AccumOffset: 44
; Occupancy: 6
; WaveLimiterHint : 1
; COMPUTE_PGM_RSRC2:SCRATCH_EN: 0
; COMPUTE_PGM_RSRC2:USER_SGPR: 6
; COMPUTE_PGM_RSRC2:TRAP_HANDLER: 0
; COMPUTE_PGM_RSRC2:TGID_X_EN: 1
; COMPUTE_PGM_RSRC2:TGID_Y_EN: 0
; COMPUTE_PGM_RSRC2:TGID_Z_EN: 0
; COMPUTE_PGM_RSRC2:TIDIG_COMP_CNT: 0
; COMPUTE_PGM_RSRC3_GFX90A:ACCUM_OFFSET: 10
; COMPUTE_PGM_RSRC3_GFX90A:TG_SPLIT: 0
	.section	.text._ZN7rocprim17ROCPRIM_400000_NS6detail17trampoline_kernelINS0_14default_configENS1_20scan_config_selectorIiEEZZNS1_9scan_implILNS1_25lookback_scan_determinismE0ELb1ELb1ES3_N6thrust23THRUST_200600_302600_NS10device_ptrIiEESB_iNS9_4plusIvEEiEEDaPvRmT3_T4_T5_mT6_P12ihipStream_tbENKUlT_T0_E_clISt17integral_constantIbLb1EESQ_IbLb0EEEEDaSM_SN_EUlSM_E_NS1_11comp_targetILNS1_3genE3ELNS1_11target_archE908ELNS1_3gpuE7ELNS1_3repE0EEENS1_30default_config_static_selectorELNS0_4arch9wavefront6targetE1EEEvT1_,"axG",@progbits,_ZN7rocprim17ROCPRIM_400000_NS6detail17trampoline_kernelINS0_14default_configENS1_20scan_config_selectorIiEEZZNS1_9scan_implILNS1_25lookback_scan_determinismE0ELb1ELb1ES3_N6thrust23THRUST_200600_302600_NS10device_ptrIiEESB_iNS9_4plusIvEEiEEDaPvRmT3_T4_T5_mT6_P12ihipStream_tbENKUlT_T0_E_clISt17integral_constantIbLb1EESQ_IbLb0EEEEDaSM_SN_EUlSM_E_NS1_11comp_targetILNS1_3genE3ELNS1_11target_archE908ELNS1_3gpuE7ELNS1_3repE0EEENS1_30default_config_static_selectorELNS0_4arch9wavefront6targetE1EEEvT1_,comdat
	.protected	_ZN7rocprim17ROCPRIM_400000_NS6detail17trampoline_kernelINS0_14default_configENS1_20scan_config_selectorIiEEZZNS1_9scan_implILNS1_25lookback_scan_determinismE0ELb1ELb1ES3_N6thrust23THRUST_200600_302600_NS10device_ptrIiEESB_iNS9_4plusIvEEiEEDaPvRmT3_T4_T5_mT6_P12ihipStream_tbENKUlT_T0_E_clISt17integral_constantIbLb1EESQ_IbLb0EEEEDaSM_SN_EUlSM_E_NS1_11comp_targetILNS1_3genE3ELNS1_11target_archE908ELNS1_3gpuE7ELNS1_3repE0EEENS1_30default_config_static_selectorELNS0_4arch9wavefront6targetE1EEEvT1_ ; -- Begin function _ZN7rocprim17ROCPRIM_400000_NS6detail17trampoline_kernelINS0_14default_configENS1_20scan_config_selectorIiEEZZNS1_9scan_implILNS1_25lookback_scan_determinismE0ELb1ELb1ES3_N6thrust23THRUST_200600_302600_NS10device_ptrIiEESB_iNS9_4plusIvEEiEEDaPvRmT3_T4_T5_mT6_P12ihipStream_tbENKUlT_T0_E_clISt17integral_constantIbLb1EESQ_IbLb0EEEEDaSM_SN_EUlSM_E_NS1_11comp_targetILNS1_3genE3ELNS1_11target_archE908ELNS1_3gpuE7ELNS1_3repE0EEENS1_30default_config_static_selectorELNS0_4arch9wavefront6targetE1EEEvT1_
	.globl	_ZN7rocprim17ROCPRIM_400000_NS6detail17trampoline_kernelINS0_14default_configENS1_20scan_config_selectorIiEEZZNS1_9scan_implILNS1_25lookback_scan_determinismE0ELb1ELb1ES3_N6thrust23THRUST_200600_302600_NS10device_ptrIiEESB_iNS9_4plusIvEEiEEDaPvRmT3_T4_T5_mT6_P12ihipStream_tbENKUlT_T0_E_clISt17integral_constantIbLb1EESQ_IbLb0EEEEDaSM_SN_EUlSM_E_NS1_11comp_targetILNS1_3genE3ELNS1_11target_archE908ELNS1_3gpuE7ELNS1_3repE0EEENS1_30default_config_static_selectorELNS0_4arch9wavefront6targetE1EEEvT1_
	.p2align	8
	.type	_ZN7rocprim17ROCPRIM_400000_NS6detail17trampoline_kernelINS0_14default_configENS1_20scan_config_selectorIiEEZZNS1_9scan_implILNS1_25lookback_scan_determinismE0ELb1ELb1ES3_N6thrust23THRUST_200600_302600_NS10device_ptrIiEESB_iNS9_4plusIvEEiEEDaPvRmT3_T4_T5_mT6_P12ihipStream_tbENKUlT_T0_E_clISt17integral_constantIbLb1EESQ_IbLb0EEEEDaSM_SN_EUlSM_E_NS1_11comp_targetILNS1_3genE3ELNS1_11target_archE908ELNS1_3gpuE7ELNS1_3repE0EEENS1_30default_config_static_selectorELNS0_4arch9wavefront6targetE1EEEvT1_,@function
_ZN7rocprim17ROCPRIM_400000_NS6detail17trampoline_kernelINS0_14default_configENS1_20scan_config_selectorIiEEZZNS1_9scan_implILNS1_25lookback_scan_determinismE0ELb1ELb1ES3_N6thrust23THRUST_200600_302600_NS10device_ptrIiEESB_iNS9_4plusIvEEiEEDaPvRmT3_T4_T5_mT6_P12ihipStream_tbENKUlT_T0_E_clISt17integral_constantIbLb1EESQ_IbLb0EEEEDaSM_SN_EUlSM_E_NS1_11comp_targetILNS1_3genE3ELNS1_11target_archE908ELNS1_3gpuE7ELNS1_3repE0EEENS1_30default_config_static_selectorELNS0_4arch9wavefront6targetE1EEEvT1_: ; @_ZN7rocprim17ROCPRIM_400000_NS6detail17trampoline_kernelINS0_14default_configENS1_20scan_config_selectorIiEEZZNS1_9scan_implILNS1_25lookback_scan_determinismE0ELb1ELb1ES3_N6thrust23THRUST_200600_302600_NS10device_ptrIiEESB_iNS9_4plusIvEEiEEDaPvRmT3_T4_T5_mT6_P12ihipStream_tbENKUlT_T0_E_clISt17integral_constantIbLb1EESQ_IbLb0EEEEDaSM_SN_EUlSM_E_NS1_11comp_targetILNS1_3genE3ELNS1_11target_archE908ELNS1_3gpuE7ELNS1_3repE0EEENS1_30default_config_static_selectorELNS0_4arch9wavefront6targetE1EEEvT1_
; %bb.0:
	.section	.rodata,"a",@progbits
	.p2align	6, 0x0
	.amdhsa_kernel _ZN7rocprim17ROCPRIM_400000_NS6detail17trampoline_kernelINS0_14default_configENS1_20scan_config_selectorIiEEZZNS1_9scan_implILNS1_25lookback_scan_determinismE0ELb1ELb1ES3_N6thrust23THRUST_200600_302600_NS10device_ptrIiEESB_iNS9_4plusIvEEiEEDaPvRmT3_T4_T5_mT6_P12ihipStream_tbENKUlT_T0_E_clISt17integral_constantIbLb1EESQ_IbLb0EEEEDaSM_SN_EUlSM_E_NS1_11comp_targetILNS1_3genE3ELNS1_11target_archE908ELNS1_3gpuE7ELNS1_3repE0EEENS1_30default_config_static_selectorELNS0_4arch9wavefront6targetE1EEEvT1_
		.amdhsa_group_segment_fixed_size 0
		.amdhsa_private_segment_fixed_size 0
		.amdhsa_kernarg_size 96
		.amdhsa_user_sgpr_count 6
		.amdhsa_user_sgpr_private_segment_buffer 1
		.amdhsa_user_sgpr_dispatch_ptr 0
		.amdhsa_user_sgpr_queue_ptr 0
		.amdhsa_user_sgpr_kernarg_segment_ptr 1
		.amdhsa_user_sgpr_dispatch_id 0
		.amdhsa_user_sgpr_flat_scratch_init 0
		.amdhsa_user_sgpr_kernarg_preload_length 0
		.amdhsa_user_sgpr_kernarg_preload_offset 0
		.amdhsa_user_sgpr_private_segment_size 0
		.amdhsa_uses_dynamic_stack 0
		.amdhsa_system_sgpr_private_segment_wavefront_offset 0
		.amdhsa_system_sgpr_workgroup_id_x 1
		.amdhsa_system_sgpr_workgroup_id_y 0
		.amdhsa_system_sgpr_workgroup_id_z 0
		.amdhsa_system_sgpr_workgroup_info 0
		.amdhsa_system_vgpr_workitem_id 0
		.amdhsa_next_free_vgpr 1
		.amdhsa_next_free_sgpr 0
		.amdhsa_accum_offset 4
		.amdhsa_reserve_vcc 0
		.amdhsa_reserve_flat_scratch 0
		.amdhsa_float_round_mode_32 0
		.amdhsa_float_round_mode_16_64 0
		.amdhsa_float_denorm_mode_32 3
		.amdhsa_float_denorm_mode_16_64 3
		.amdhsa_dx10_clamp 1
		.amdhsa_ieee_mode 1
		.amdhsa_fp16_overflow 0
		.amdhsa_tg_split 0
		.amdhsa_exception_fp_ieee_invalid_op 0
		.amdhsa_exception_fp_denorm_src 0
		.amdhsa_exception_fp_ieee_div_zero 0
		.amdhsa_exception_fp_ieee_overflow 0
		.amdhsa_exception_fp_ieee_underflow 0
		.amdhsa_exception_fp_ieee_inexact 0
		.amdhsa_exception_int_div_zero 0
	.end_amdhsa_kernel
	.section	.text._ZN7rocprim17ROCPRIM_400000_NS6detail17trampoline_kernelINS0_14default_configENS1_20scan_config_selectorIiEEZZNS1_9scan_implILNS1_25lookback_scan_determinismE0ELb1ELb1ES3_N6thrust23THRUST_200600_302600_NS10device_ptrIiEESB_iNS9_4plusIvEEiEEDaPvRmT3_T4_T5_mT6_P12ihipStream_tbENKUlT_T0_E_clISt17integral_constantIbLb1EESQ_IbLb0EEEEDaSM_SN_EUlSM_E_NS1_11comp_targetILNS1_3genE3ELNS1_11target_archE908ELNS1_3gpuE7ELNS1_3repE0EEENS1_30default_config_static_selectorELNS0_4arch9wavefront6targetE1EEEvT1_,"axG",@progbits,_ZN7rocprim17ROCPRIM_400000_NS6detail17trampoline_kernelINS0_14default_configENS1_20scan_config_selectorIiEEZZNS1_9scan_implILNS1_25lookback_scan_determinismE0ELb1ELb1ES3_N6thrust23THRUST_200600_302600_NS10device_ptrIiEESB_iNS9_4plusIvEEiEEDaPvRmT3_T4_T5_mT6_P12ihipStream_tbENKUlT_T0_E_clISt17integral_constantIbLb1EESQ_IbLb0EEEEDaSM_SN_EUlSM_E_NS1_11comp_targetILNS1_3genE3ELNS1_11target_archE908ELNS1_3gpuE7ELNS1_3repE0EEENS1_30default_config_static_selectorELNS0_4arch9wavefront6targetE1EEEvT1_,comdat
.Lfunc_end6861:
	.size	_ZN7rocprim17ROCPRIM_400000_NS6detail17trampoline_kernelINS0_14default_configENS1_20scan_config_selectorIiEEZZNS1_9scan_implILNS1_25lookback_scan_determinismE0ELb1ELb1ES3_N6thrust23THRUST_200600_302600_NS10device_ptrIiEESB_iNS9_4plusIvEEiEEDaPvRmT3_T4_T5_mT6_P12ihipStream_tbENKUlT_T0_E_clISt17integral_constantIbLb1EESQ_IbLb0EEEEDaSM_SN_EUlSM_E_NS1_11comp_targetILNS1_3genE3ELNS1_11target_archE908ELNS1_3gpuE7ELNS1_3repE0EEENS1_30default_config_static_selectorELNS0_4arch9wavefront6targetE1EEEvT1_, .Lfunc_end6861-_ZN7rocprim17ROCPRIM_400000_NS6detail17trampoline_kernelINS0_14default_configENS1_20scan_config_selectorIiEEZZNS1_9scan_implILNS1_25lookback_scan_determinismE0ELb1ELb1ES3_N6thrust23THRUST_200600_302600_NS10device_ptrIiEESB_iNS9_4plusIvEEiEEDaPvRmT3_T4_T5_mT6_P12ihipStream_tbENKUlT_T0_E_clISt17integral_constantIbLb1EESQ_IbLb0EEEEDaSM_SN_EUlSM_E_NS1_11comp_targetILNS1_3genE3ELNS1_11target_archE908ELNS1_3gpuE7ELNS1_3repE0EEENS1_30default_config_static_selectorELNS0_4arch9wavefront6targetE1EEEvT1_
                                        ; -- End function
	.section	.AMDGPU.csdata,"",@progbits
; Kernel info:
; codeLenInByte = 0
; NumSgprs: 4
; NumVgprs: 0
; NumAgprs: 0
; TotalNumVgprs: 0
; ScratchSize: 0
; MemoryBound: 0
; FloatMode: 240
; IeeeMode: 1
; LDSByteSize: 0 bytes/workgroup (compile time only)
; SGPRBlocks: 0
; VGPRBlocks: 0
; NumSGPRsForWavesPerEU: 4
; NumVGPRsForWavesPerEU: 1
; AccumOffset: 4
; Occupancy: 8
; WaveLimiterHint : 0
; COMPUTE_PGM_RSRC2:SCRATCH_EN: 0
; COMPUTE_PGM_RSRC2:USER_SGPR: 6
; COMPUTE_PGM_RSRC2:TRAP_HANDLER: 0
; COMPUTE_PGM_RSRC2:TGID_X_EN: 1
; COMPUTE_PGM_RSRC2:TGID_Y_EN: 0
; COMPUTE_PGM_RSRC2:TGID_Z_EN: 0
; COMPUTE_PGM_RSRC2:TIDIG_COMP_CNT: 0
; COMPUTE_PGM_RSRC3_GFX90A:ACCUM_OFFSET: 0
; COMPUTE_PGM_RSRC3_GFX90A:TG_SPLIT: 0
	.section	.text._ZN7rocprim17ROCPRIM_400000_NS6detail17trampoline_kernelINS0_14default_configENS1_20scan_config_selectorIiEEZZNS1_9scan_implILNS1_25lookback_scan_determinismE0ELb1ELb1ES3_N6thrust23THRUST_200600_302600_NS10device_ptrIiEESB_iNS9_4plusIvEEiEEDaPvRmT3_T4_T5_mT6_P12ihipStream_tbENKUlT_T0_E_clISt17integral_constantIbLb1EESQ_IbLb0EEEEDaSM_SN_EUlSM_E_NS1_11comp_targetILNS1_3genE2ELNS1_11target_archE906ELNS1_3gpuE6ELNS1_3repE0EEENS1_30default_config_static_selectorELNS0_4arch9wavefront6targetE1EEEvT1_,"axG",@progbits,_ZN7rocprim17ROCPRIM_400000_NS6detail17trampoline_kernelINS0_14default_configENS1_20scan_config_selectorIiEEZZNS1_9scan_implILNS1_25lookback_scan_determinismE0ELb1ELb1ES3_N6thrust23THRUST_200600_302600_NS10device_ptrIiEESB_iNS9_4plusIvEEiEEDaPvRmT3_T4_T5_mT6_P12ihipStream_tbENKUlT_T0_E_clISt17integral_constantIbLb1EESQ_IbLb0EEEEDaSM_SN_EUlSM_E_NS1_11comp_targetILNS1_3genE2ELNS1_11target_archE906ELNS1_3gpuE6ELNS1_3repE0EEENS1_30default_config_static_selectorELNS0_4arch9wavefront6targetE1EEEvT1_,comdat
	.protected	_ZN7rocprim17ROCPRIM_400000_NS6detail17trampoline_kernelINS0_14default_configENS1_20scan_config_selectorIiEEZZNS1_9scan_implILNS1_25lookback_scan_determinismE0ELb1ELb1ES3_N6thrust23THRUST_200600_302600_NS10device_ptrIiEESB_iNS9_4plusIvEEiEEDaPvRmT3_T4_T5_mT6_P12ihipStream_tbENKUlT_T0_E_clISt17integral_constantIbLb1EESQ_IbLb0EEEEDaSM_SN_EUlSM_E_NS1_11comp_targetILNS1_3genE2ELNS1_11target_archE906ELNS1_3gpuE6ELNS1_3repE0EEENS1_30default_config_static_selectorELNS0_4arch9wavefront6targetE1EEEvT1_ ; -- Begin function _ZN7rocprim17ROCPRIM_400000_NS6detail17trampoline_kernelINS0_14default_configENS1_20scan_config_selectorIiEEZZNS1_9scan_implILNS1_25lookback_scan_determinismE0ELb1ELb1ES3_N6thrust23THRUST_200600_302600_NS10device_ptrIiEESB_iNS9_4plusIvEEiEEDaPvRmT3_T4_T5_mT6_P12ihipStream_tbENKUlT_T0_E_clISt17integral_constantIbLb1EESQ_IbLb0EEEEDaSM_SN_EUlSM_E_NS1_11comp_targetILNS1_3genE2ELNS1_11target_archE906ELNS1_3gpuE6ELNS1_3repE0EEENS1_30default_config_static_selectorELNS0_4arch9wavefront6targetE1EEEvT1_
	.globl	_ZN7rocprim17ROCPRIM_400000_NS6detail17trampoline_kernelINS0_14default_configENS1_20scan_config_selectorIiEEZZNS1_9scan_implILNS1_25lookback_scan_determinismE0ELb1ELb1ES3_N6thrust23THRUST_200600_302600_NS10device_ptrIiEESB_iNS9_4plusIvEEiEEDaPvRmT3_T4_T5_mT6_P12ihipStream_tbENKUlT_T0_E_clISt17integral_constantIbLb1EESQ_IbLb0EEEEDaSM_SN_EUlSM_E_NS1_11comp_targetILNS1_3genE2ELNS1_11target_archE906ELNS1_3gpuE6ELNS1_3repE0EEENS1_30default_config_static_selectorELNS0_4arch9wavefront6targetE1EEEvT1_
	.p2align	8
	.type	_ZN7rocprim17ROCPRIM_400000_NS6detail17trampoline_kernelINS0_14default_configENS1_20scan_config_selectorIiEEZZNS1_9scan_implILNS1_25lookback_scan_determinismE0ELb1ELb1ES3_N6thrust23THRUST_200600_302600_NS10device_ptrIiEESB_iNS9_4plusIvEEiEEDaPvRmT3_T4_T5_mT6_P12ihipStream_tbENKUlT_T0_E_clISt17integral_constantIbLb1EESQ_IbLb0EEEEDaSM_SN_EUlSM_E_NS1_11comp_targetILNS1_3genE2ELNS1_11target_archE906ELNS1_3gpuE6ELNS1_3repE0EEENS1_30default_config_static_selectorELNS0_4arch9wavefront6targetE1EEEvT1_,@function
_ZN7rocprim17ROCPRIM_400000_NS6detail17trampoline_kernelINS0_14default_configENS1_20scan_config_selectorIiEEZZNS1_9scan_implILNS1_25lookback_scan_determinismE0ELb1ELb1ES3_N6thrust23THRUST_200600_302600_NS10device_ptrIiEESB_iNS9_4plusIvEEiEEDaPvRmT3_T4_T5_mT6_P12ihipStream_tbENKUlT_T0_E_clISt17integral_constantIbLb1EESQ_IbLb0EEEEDaSM_SN_EUlSM_E_NS1_11comp_targetILNS1_3genE2ELNS1_11target_archE906ELNS1_3gpuE6ELNS1_3repE0EEENS1_30default_config_static_selectorELNS0_4arch9wavefront6targetE1EEEvT1_: ; @_ZN7rocprim17ROCPRIM_400000_NS6detail17trampoline_kernelINS0_14default_configENS1_20scan_config_selectorIiEEZZNS1_9scan_implILNS1_25lookback_scan_determinismE0ELb1ELb1ES3_N6thrust23THRUST_200600_302600_NS10device_ptrIiEESB_iNS9_4plusIvEEiEEDaPvRmT3_T4_T5_mT6_P12ihipStream_tbENKUlT_T0_E_clISt17integral_constantIbLb1EESQ_IbLb0EEEEDaSM_SN_EUlSM_E_NS1_11comp_targetILNS1_3genE2ELNS1_11target_archE906ELNS1_3gpuE6ELNS1_3repE0EEENS1_30default_config_static_selectorELNS0_4arch9wavefront6targetE1EEEvT1_
; %bb.0:
	.section	.rodata,"a",@progbits
	.p2align	6, 0x0
	.amdhsa_kernel _ZN7rocprim17ROCPRIM_400000_NS6detail17trampoline_kernelINS0_14default_configENS1_20scan_config_selectorIiEEZZNS1_9scan_implILNS1_25lookback_scan_determinismE0ELb1ELb1ES3_N6thrust23THRUST_200600_302600_NS10device_ptrIiEESB_iNS9_4plusIvEEiEEDaPvRmT3_T4_T5_mT6_P12ihipStream_tbENKUlT_T0_E_clISt17integral_constantIbLb1EESQ_IbLb0EEEEDaSM_SN_EUlSM_E_NS1_11comp_targetILNS1_3genE2ELNS1_11target_archE906ELNS1_3gpuE6ELNS1_3repE0EEENS1_30default_config_static_selectorELNS0_4arch9wavefront6targetE1EEEvT1_
		.amdhsa_group_segment_fixed_size 0
		.amdhsa_private_segment_fixed_size 0
		.amdhsa_kernarg_size 96
		.amdhsa_user_sgpr_count 6
		.amdhsa_user_sgpr_private_segment_buffer 1
		.amdhsa_user_sgpr_dispatch_ptr 0
		.amdhsa_user_sgpr_queue_ptr 0
		.amdhsa_user_sgpr_kernarg_segment_ptr 1
		.amdhsa_user_sgpr_dispatch_id 0
		.amdhsa_user_sgpr_flat_scratch_init 0
		.amdhsa_user_sgpr_kernarg_preload_length 0
		.amdhsa_user_sgpr_kernarg_preload_offset 0
		.amdhsa_user_sgpr_private_segment_size 0
		.amdhsa_uses_dynamic_stack 0
		.amdhsa_system_sgpr_private_segment_wavefront_offset 0
		.amdhsa_system_sgpr_workgroup_id_x 1
		.amdhsa_system_sgpr_workgroup_id_y 0
		.amdhsa_system_sgpr_workgroup_id_z 0
		.amdhsa_system_sgpr_workgroup_info 0
		.amdhsa_system_vgpr_workitem_id 0
		.amdhsa_next_free_vgpr 1
		.amdhsa_next_free_sgpr 0
		.amdhsa_accum_offset 4
		.amdhsa_reserve_vcc 0
		.amdhsa_reserve_flat_scratch 0
		.amdhsa_float_round_mode_32 0
		.amdhsa_float_round_mode_16_64 0
		.amdhsa_float_denorm_mode_32 3
		.amdhsa_float_denorm_mode_16_64 3
		.amdhsa_dx10_clamp 1
		.amdhsa_ieee_mode 1
		.amdhsa_fp16_overflow 0
		.amdhsa_tg_split 0
		.amdhsa_exception_fp_ieee_invalid_op 0
		.amdhsa_exception_fp_denorm_src 0
		.amdhsa_exception_fp_ieee_div_zero 0
		.amdhsa_exception_fp_ieee_overflow 0
		.amdhsa_exception_fp_ieee_underflow 0
		.amdhsa_exception_fp_ieee_inexact 0
		.amdhsa_exception_int_div_zero 0
	.end_amdhsa_kernel
	.section	.text._ZN7rocprim17ROCPRIM_400000_NS6detail17trampoline_kernelINS0_14default_configENS1_20scan_config_selectorIiEEZZNS1_9scan_implILNS1_25lookback_scan_determinismE0ELb1ELb1ES3_N6thrust23THRUST_200600_302600_NS10device_ptrIiEESB_iNS9_4plusIvEEiEEDaPvRmT3_T4_T5_mT6_P12ihipStream_tbENKUlT_T0_E_clISt17integral_constantIbLb1EESQ_IbLb0EEEEDaSM_SN_EUlSM_E_NS1_11comp_targetILNS1_3genE2ELNS1_11target_archE906ELNS1_3gpuE6ELNS1_3repE0EEENS1_30default_config_static_selectorELNS0_4arch9wavefront6targetE1EEEvT1_,"axG",@progbits,_ZN7rocprim17ROCPRIM_400000_NS6detail17trampoline_kernelINS0_14default_configENS1_20scan_config_selectorIiEEZZNS1_9scan_implILNS1_25lookback_scan_determinismE0ELb1ELb1ES3_N6thrust23THRUST_200600_302600_NS10device_ptrIiEESB_iNS9_4plusIvEEiEEDaPvRmT3_T4_T5_mT6_P12ihipStream_tbENKUlT_T0_E_clISt17integral_constantIbLb1EESQ_IbLb0EEEEDaSM_SN_EUlSM_E_NS1_11comp_targetILNS1_3genE2ELNS1_11target_archE906ELNS1_3gpuE6ELNS1_3repE0EEENS1_30default_config_static_selectorELNS0_4arch9wavefront6targetE1EEEvT1_,comdat
.Lfunc_end6862:
	.size	_ZN7rocprim17ROCPRIM_400000_NS6detail17trampoline_kernelINS0_14default_configENS1_20scan_config_selectorIiEEZZNS1_9scan_implILNS1_25lookback_scan_determinismE0ELb1ELb1ES3_N6thrust23THRUST_200600_302600_NS10device_ptrIiEESB_iNS9_4plusIvEEiEEDaPvRmT3_T4_T5_mT6_P12ihipStream_tbENKUlT_T0_E_clISt17integral_constantIbLb1EESQ_IbLb0EEEEDaSM_SN_EUlSM_E_NS1_11comp_targetILNS1_3genE2ELNS1_11target_archE906ELNS1_3gpuE6ELNS1_3repE0EEENS1_30default_config_static_selectorELNS0_4arch9wavefront6targetE1EEEvT1_, .Lfunc_end6862-_ZN7rocprim17ROCPRIM_400000_NS6detail17trampoline_kernelINS0_14default_configENS1_20scan_config_selectorIiEEZZNS1_9scan_implILNS1_25lookback_scan_determinismE0ELb1ELb1ES3_N6thrust23THRUST_200600_302600_NS10device_ptrIiEESB_iNS9_4plusIvEEiEEDaPvRmT3_T4_T5_mT6_P12ihipStream_tbENKUlT_T0_E_clISt17integral_constantIbLb1EESQ_IbLb0EEEEDaSM_SN_EUlSM_E_NS1_11comp_targetILNS1_3genE2ELNS1_11target_archE906ELNS1_3gpuE6ELNS1_3repE0EEENS1_30default_config_static_selectorELNS0_4arch9wavefront6targetE1EEEvT1_
                                        ; -- End function
	.section	.AMDGPU.csdata,"",@progbits
; Kernel info:
; codeLenInByte = 0
; NumSgprs: 4
; NumVgprs: 0
; NumAgprs: 0
; TotalNumVgprs: 0
; ScratchSize: 0
; MemoryBound: 0
; FloatMode: 240
; IeeeMode: 1
; LDSByteSize: 0 bytes/workgroup (compile time only)
; SGPRBlocks: 0
; VGPRBlocks: 0
; NumSGPRsForWavesPerEU: 4
; NumVGPRsForWavesPerEU: 1
; AccumOffset: 4
; Occupancy: 8
; WaveLimiterHint : 0
; COMPUTE_PGM_RSRC2:SCRATCH_EN: 0
; COMPUTE_PGM_RSRC2:USER_SGPR: 6
; COMPUTE_PGM_RSRC2:TRAP_HANDLER: 0
; COMPUTE_PGM_RSRC2:TGID_X_EN: 1
; COMPUTE_PGM_RSRC2:TGID_Y_EN: 0
; COMPUTE_PGM_RSRC2:TGID_Z_EN: 0
; COMPUTE_PGM_RSRC2:TIDIG_COMP_CNT: 0
; COMPUTE_PGM_RSRC3_GFX90A:ACCUM_OFFSET: 0
; COMPUTE_PGM_RSRC3_GFX90A:TG_SPLIT: 0
	.section	.text._ZN7rocprim17ROCPRIM_400000_NS6detail17trampoline_kernelINS0_14default_configENS1_20scan_config_selectorIiEEZZNS1_9scan_implILNS1_25lookback_scan_determinismE0ELb1ELb1ES3_N6thrust23THRUST_200600_302600_NS10device_ptrIiEESB_iNS9_4plusIvEEiEEDaPvRmT3_T4_T5_mT6_P12ihipStream_tbENKUlT_T0_E_clISt17integral_constantIbLb1EESQ_IbLb0EEEEDaSM_SN_EUlSM_E_NS1_11comp_targetILNS1_3genE10ELNS1_11target_archE1201ELNS1_3gpuE5ELNS1_3repE0EEENS1_30default_config_static_selectorELNS0_4arch9wavefront6targetE1EEEvT1_,"axG",@progbits,_ZN7rocprim17ROCPRIM_400000_NS6detail17trampoline_kernelINS0_14default_configENS1_20scan_config_selectorIiEEZZNS1_9scan_implILNS1_25lookback_scan_determinismE0ELb1ELb1ES3_N6thrust23THRUST_200600_302600_NS10device_ptrIiEESB_iNS9_4plusIvEEiEEDaPvRmT3_T4_T5_mT6_P12ihipStream_tbENKUlT_T0_E_clISt17integral_constantIbLb1EESQ_IbLb0EEEEDaSM_SN_EUlSM_E_NS1_11comp_targetILNS1_3genE10ELNS1_11target_archE1201ELNS1_3gpuE5ELNS1_3repE0EEENS1_30default_config_static_selectorELNS0_4arch9wavefront6targetE1EEEvT1_,comdat
	.protected	_ZN7rocprim17ROCPRIM_400000_NS6detail17trampoline_kernelINS0_14default_configENS1_20scan_config_selectorIiEEZZNS1_9scan_implILNS1_25lookback_scan_determinismE0ELb1ELb1ES3_N6thrust23THRUST_200600_302600_NS10device_ptrIiEESB_iNS9_4plusIvEEiEEDaPvRmT3_T4_T5_mT6_P12ihipStream_tbENKUlT_T0_E_clISt17integral_constantIbLb1EESQ_IbLb0EEEEDaSM_SN_EUlSM_E_NS1_11comp_targetILNS1_3genE10ELNS1_11target_archE1201ELNS1_3gpuE5ELNS1_3repE0EEENS1_30default_config_static_selectorELNS0_4arch9wavefront6targetE1EEEvT1_ ; -- Begin function _ZN7rocprim17ROCPRIM_400000_NS6detail17trampoline_kernelINS0_14default_configENS1_20scan_config_selectorIiEEZZNS1_9scan_implILNS1_25lookback_scan_determinismE0ELb1ELb1ES3_N6thrust23THRUST_200600_302600_NS10device_ptrIiEESB_iNS9_4plusIvEEiEEDaPvRmT3_T4_T5_mT6_P12ihipStream_tbENKUlT_T0_E_clISt17integral_constantIbLb1EESQ_IbLb0EEEEDaSM_SN_EUlSM_E_NS1_11comp_targetILNS1_3genE10ELNS1_11target_archE1201ELNS1_3gpuE5ELNS1_3repE0EEENS1_30default_config_static_selectorELNS0_4arch9wavefront6targetE1EEEvT1_
	.globl	_ZN7rocprim17ROCPRIM_400000_NS6detail17trampoline_kernelINS0_14default_configENS1_20scan_config_selectorIiEEZZNS1_9scan_implILNS1_25lookback_scan_determinismE0ELb1ELb1ES3_N6thrust23THRUST_200600_302600_NS10device_ptrIiEESB_iNS9_4plusIvEEiEEDaPvRmT3_T4_T5_mT6_P12ihipStream_tbENKUlT_T0_E_clISt17integral_constantIbLb1EESQ_IbLb0EEEEDaSM_SN_EUlSM_E_NS1_11comp_targetILNS1_3genE10ELNS1_11target_archE1201ELNS1_3gpuE5ELNS1_3repE0EEENS1_30default_config_static_selectorELNS0_4arch9wavefront6targetE1EEEvT1_
	.p2align	8
	.type	_ZN7rocprim17ROCPRIM_400000_NS6detail17trampoline_kernelINS0_14default_configENS1_20scan_config_selectorIiEEZZNS1_9scan_implILNS1_25lookback_scan_determinismE0ELb1ELb1ES3_N6thrust23THRUST_200600_302600_NS10device_ptrIiEESB_iNS9_4plusIvEEiEEDaPvRmT3_T4_T5_mT6_P12ihipStream_tbENKUlT_T0_E_clISt17integral_constantIbLb1EESQ_IbLb0EEEEDaSM_SN_EUlSM_E_NS1_11comp_targetILNS1_3genE10ELNS1_11target_archE1201ELNS1_3gpuE5ELNS1_3repE0EEENS1_30default_config_static_selectorELNS0_4arch9wavefront6targetE1EEEvT1_,@function
_ZN7rocprim17ROCPRIM_400000_NS6detail17trampoline_kernelINS0_14default_configENS1_20scan_config_selectorIiEEZZNS1_9scan_implILNS1_25lookback_scan_determinismE0ELb1ELb1ES3_N6thrust23THRUST_200600_302600_NS10device_ptrIiEESB_iNS9_4plusIvEEiEEDaPvRmT3_T4_T5_mT6_P12ihipStream_tbENKUlT_T0_E_clISt17integral_constantIbLb1EESQ_IbLb0EEEEDaSM_SN_EUlSM_E_NS1_11comp_targetILNS1_3genE10ELNS1_11target_archE1201ELNS1_3gpuE5ELNS1_3repE0EEENS1_30default_config_static_selectorELNS0_4arch9wavefront6targetE1EEEvT1_: ; @_ZN7rocprim17ROCPRIM_400000_NS6detail17trampoline_kernelINS0_14default_configENS1_20scan_config_selectorIiEEZZNS1_9scan_implILNS1_25lookback_scan_determinismE0ELb1ELb1ES3_N6thrust23THRUST_200600_302600_NS10device_ptrIiEESB_iNS9_4plusIvEEiEEDaPvRmT3_T4_T5_mT6_P12ihipStream_tbENKUlT_T0_E_clISt17integral_constantIbLb1EESQ_IbLb0EEEEDaSM_SN_EUlSM_E_NS1_11comp_targetILNS1_3genE10ELNS1_11target_archE1201ELNS1_3gpuE5ELNS1_3repE0EEENS1_30default_config_static_selectorELNS0_4arch9wavefront6targetE1EEEvT1_
; %bb.0:
	.section	.rodata,"a",@progbits
	.p2align	6, 0x0
	.amdhsa_kernel _ZN7rocprim17ROCPRIM_400000_NS6detail17trampoline_kernelINS0_14default_configENS1_20scan_config_selectorIiEEZZNS1_9scan_implILNS1_25lookback_scan_determinismE0ELb1ELb1ES3_N6thrust23THRUST_200600_302600_NS10device_ptrIiEESB_iNS9_4plusIvEEiEEDaPvRmT3_T4_T5_mT6_P12ihipStream_tbENKUlT_T0_E_clISt17integral_constantIbLb1EESQ_IbLb0EEEEDaSM_SN_EUlSM_E_NS1_11comp_targetILNS1_3genE10ELNS1_11target_archE1201ELNS1_3gpuE5ELNS1_3repE0EEENS1_30default_config_static_selectorELNS0_4arch9wavefront6targetE1EEEvT1_
		.amdhsa_group_segment_fixed_size 0
		.amdhsa_private_segment_fixed_size 0
		.amdhsa_kernarg_size 96
		.amdhsa_user_sgpr_count 6
		.amdhsa_user_sgpr_private_segment_buffer 1
		.amdhsa_user_sgpr_dispatch_ptr 0
		.amdhsa_user_sgpr_queue_ptr 0
		.amdhsa_user_sgpr_kernarg_segment_ptr 1
		.amdhsa_user_sgpr_dispatch_id 0
		.amdhsa_user_sgpr_flat_scratch_init 0
		.amdhsa_user_sgpr_kernarg_preload_length 0
		.amdhsa_user_sgpr_kernarg_preload_offset 0
		.amdhsa_user_sgpr_private_segment_size 0
		.amdhsa_uses_dynamic_stack 0
		.amdhsa_system_sgpr_private_segment_wavefront_offset 0
		.amdhsa_system_sgpr_workgroup_id_x 1
		.amdhsa_system_sgpr_workgroup_id_y 0
		.amdhsa_system_sgpr_workgroup_id_z 0
		.amdhsa_system_sgpr_workgroup_info 0
		.amdhsa_system_vgpr_workitem_id 0
		.amdhsa_next_free_vgpr 1
		.amdhsa_next_free_sgpr 0
		.amdhsa_accum_offset 4
		.amdhsa_reserve_vcc 0
		.amdhsa_reserve_flat_scratch 0
		.amdhsa_float_round_mode_32 0
		.amdhsa_float_round_mode_16_64 0
		.amdhsa_float_denorm_mode_32 3
		.amdhsa_float_denorm_mode_16_64 3
		.amdhsa_dx10_clamp 1
		.amdhsa_ieee_mode 1
		.amdhsa_fp16_overflow 0
		.amdhsa_tg_split 0
		.amdhsa_exception_fp_ieee_invalid_op 0
		.amdhsa_exception_fp_denorm_src 0
		.amdhsa_exception_fp_ieee_div_zero 0
		.amdhsa_exception_fp_ieee_overflow 0
		.amdhsa_exception_fp_ieee_underflow 0
		.amdhsa_exception_fp_ieee_inexact 0
		.amdhsa_exception_int_div_zero 0
	.end_amdhsa_kernel
	.section	.text._ZN7rocprim17ROCPRIM_400000_NS6detail17trampoline_kernelINS0_14default_configENS1_20scan_config_selectorIiEEZZNS1_9scan_implILNS1_25lookback_scan_determinismE0ELb1ELb1ES3_N6thrust23THRUST_200600_302600_NS10device_ptrIiEESB_iNS9_4plusIvEEiEEDaPvRmT3_T4_T5_mT6_P12ihipStream_tbENKUlT_T0_E_clISt17integral_constantIbLb1EESQ_IbLb0EEEEDaSM_SN_EUlSM_E_NS1_11comp_targetILNS1_3genE10ELNS1_11target_archE1201ELNS1_3gpuE5ELNS1_3repE0EEENS1_30default_config_static_selectorELNS0_4arch9wavefront6targetE1EEEvT1_,"axG",@progbits,_ZN7rocprim17ROCPRIM_400000_NS6detail17trampoline_kernelINS0_14default_configENS1_20scan_config_selectorIiEEZZNS1_9scan_implILNS1_25lookback_scan_determinismE0ELb1ELb1ES3_N6thrust23THRUST_200600_302600_NS10device_ptrIiEESB_iNS9_4plusIvEEiEEDaPvRmT3_T4_T5_mT6_P12ihipStream_tbENKUlT_T0_E_clISt17integral_constantIbLb1EESQ_IbLb0EEEEDaSM_SN_EUlSM_E_NS1_11comp_targetILNS1_3genE10ELNS1_11target_archE1201ELNS1_3gpuE5ELNS1_3repE0EEENS1_30default_config_static_selectorELNS0_4arch9wavefront6targetE1EEEvT1_,comdat
.Lfunc_end6863:
	.size	_ZN7rocprim17ROCPRIM_400000_NS6detail17trampoline_kernelINS0_14default_configENS1_20scan_config_selectorIiEEZZNS1_9scan_implILNS1_25lookback_scan_determinismE0ELb1ELb1ES3_N6thrust23THRUST_200600_302600_NS10device_ptrIiEESB_iNS9_4plusIvEEiEEDaPvRmT3_T4_T5_mT6_P12ihipStream_tbENKUlT_T0_E_clISt17integral_constantIbLb1EESQ_IbLb0EEEEDaSM_SN_EUlSM_E_NS1_11comp_targetILNS1_3genE10ELNS1_11target_archE1201ELNS1_3gpuE5ELNS1_3repE0EEENS1_30default_config_static_selectorELNS0_4arch9wavefront6targetE1EEEvT1_, .Lfunc_end6863-_ZN7rocprim17ROCPRIM_400000_NS6detail17trampoline_kernelINS0_14default_configENS1_20scan_config_selectorIiEEZZNS1_9scan_implILNS1_25lookback_scan_determinismE0ELb1ELb1ES3_N6thrust23THRUST_200600_302600_NS10device_ptrIiEESB_iNS9_4plusIvEEiEEDaPvRmT3_T4_T5_mT6_P12ihipStream_tbENKUlT_T0_E_clISt17integral_constantIbLb1EESQ_IbLb0EEEEDaSM_SN_EUlSM_E_NS1_11comp_targetILNS1_3genE10ELNS1_11target_archE1201ELNS1_3gpuE5ELNS1_3repE0EEENS1_30default_config_static_selectorELNS0_4arch9wavefront6targetE1EEEvT1_
                                        ; -- End function
	.section	.AMDGPU.csdata,"",@progbits
; Kernel info:
; codeLenInByte = 0
; NumSgprs: 4
; NumVgprs: 0
; NumAgprs: 0
; TotalNumVgprs: 0
; ScratchSize: 0
; MemoryBound: 0
; FloatMode: 240
; IeeeMode: 1
; LDSByteSize: 0 bytes/workgroup (compile time only)
; SGPRBlocks: 0
; VGPRBlocks: 0
; NumSGPRsForWavesPerEU: 4
; NumVGPRsForWavesPerEU: 1
; AccumOffset: 4
; Occupancy: 8
; WaveLimiterHint : 0
; COMPUTE_PGM_RSRC2:SCRATCH_EN: 0
; COMPUTE_PGM_RSRC2:USER_SGPR: 6
; COMPUTE_PGM_RSRC2:TRAP_HANDLER: 0
; COMPUTE_PGM_RSRC2:TGID_X_EN: 1
; COMPUTE_PGM_RSRC2:TGID_Y_EN: 0
; COMPUTE_PGM_RSRC2:TGID_Z_EN: 0
; COMPUTE_PGM_RSRC2:TIDIG_COMP_CNT: 0
; COMPUTE_PGM_RSRC3_GFX90A:ACCUM_OFFSET: 0
; COMPUTE_PGM_RSRC3_GFX90A:TG_SPLIT: 0
	.section	.text._ZN7rocprim17ROCPRIM_400000_NS6detail17trampoline_kernelINS0_14default_configENS1_20scan_config_selectorIiEEZZNS1_9scan_implILNS1_25lookback_scan_determinismE0ELb1ELb1ES3_N6thrust23THRUST_200600_302600_NS10device_ptrIiEESB_iNS9_4plusIvEEiEEDaPvRmT3_T4_T5_mT6_P12ihipStream_tbENKUlT_T0_E_clISt17integral_constantIbLb1EESQ_IbLb0EEEEDaSM_SN_EUlSM_E_NS1_11comp_targetILNS1_3genE10ELNS1_11target_archE1200ELNS1_3gpuE4ELNS1_3repE0EEENS1_30default_config_static_selectorELNS0_4arch9wavefront6targetE1EEEvT1_,"axG",@progbits,_ZN7rocprim17ROCPRIM_400000_NS6detail17trampoline_kernelINS0_14default_configENS1_20scan_config_selectorIiEEZZNS1_9scan_implILNS1_25lookback_scan_determinismE0ELb1ELb1ES3_N6thrust23THRUST_200600_302600_NS10device_ptrIiEESB_iNS9_4plusIvEEiEEDaPvRmT3_T4_T5_mT6_P12ihipStream_tbENKUlT_T0_E_clISt17integral_constantIbLb1EESQ_IbLb0EEEEDaSM_SN_EUlSM_E_NS1_11comp_targetILNS1_3genE10ELNS1_11target_archE1200ELNS1_3gpuE4ELNS1_3repE0EEENS1_30default_config_static_selectorELNS0_4arch9wavefront6targetE1EEEvT1_,comdat
	.protected	_ZN7rocprim17ROCPRIM_400000_NS6detail17trampoline_kernelINS0_14default_configENS1_20scan_config_selectorIiEEZZNS1_9scan_implILNS1_25lookback_scan_determinismE0ELb1ELb1ES3_N6thrust23THRUST_200600_302600_NS10device_ptrIiEESB_iNS9_4plusIvEEiEEDaPvRmT3_T4_T5_mT6_P12ihipStream_tbENKUlT_T0_E_clISt17integral_constantIbLb1EESQ_IbLb0EEEEDaSM_SN_EUlSM_E_NS1_11comp_targetILNS1_3genE10ELNS1_11target_archE1200ELNS1_3gpuE4ELNS1_3repE0EEENS1_30default_config_static_selectorELNS0_4arch9wavefront6targetE1EEEvT1_ ; -- Begin function _ZN7rocprim17ROCPRIM_400000_NS6detail17trampoline_kernelINS0_14default_configENS1_20scan_config_selectorIiEEZZNS1_9scan_implILNS1_25lookback_scan_determinismE0ELb1ELb1ES3_N6thrust23THRUST_200600_302600_NS10device_ptrIiEESB_iNS9_4plusIvEEiEEDaPvRmT3_T4_T5_mT6_P12ihipStream_tbENKUlT_T0_E_clISt17integral_constantIbLb1EESQ_IbLb0EEEEDaSM_SN_EUlSM_E_NS1_11comp_targetILNS1_3genE10ELNS1_11target_archE1200ELNS1_3gpuE4ELNS1_3repE0EEENS1_30default_config_static_selectorELNS0_4arch9wavefront6targetE1EEEvT1_
	.globl	_ZN7rocprim17ROCPRIM_400000_NS6detail17trampoline_kernelINS0_14default_configENS1_20scan_config_selectorIiEEZZNS1_9scan_implILNS1_25lookback_scan_determinismE0ELb1ELb1ES3_N6thrust23THRUST_200600_302600_NS10device_ptrIiEESB_iNS9_4plusIvEEiEEDaPvRmT3_T4_T5_mT6_P12ihipStream_tbENKUlT_T0_E_clISt17integral_constantIbLb1EESQ_IbLb0EEEEDaSM_SN_EUlSM_E_NS1_11comp_targetILNS1_3genE10ELNS1_11target_archE1200ELNS1_3gpuE4ELNS1_3repE0EEENS1_30default_config_static_selectorELNS0_4arch9wavefront6targetE1EEEvT1_
	.p2align	8
	.type	_ZN7rocprim17ROCPRIM_400000_NS6detail17trampoline_kernelINS0_14default_configENS1_20scan_config_selectorIiEEZZNS1_9scan_implILNS1_25lookback_scan_determinismE0ELb1ELb1ES3_N6thrust23THRUST_200600_302600_NS10device_ptrIiEESB_iNS9_4plusIvEEiEEDaPvRmT3_T4_T5_mT6_P12ihipStream_tbENKUlT_T0_E_clISt17integral_constantIbLb1EESQ_IbLb0EEEEDaSM_SN_EUlSM_E_NS1_11comp_targetILNS1_3genE10ELNS1_11target_archE1200ELNS1_3gpuE4ELNS1_3repE0EEENS1_30default_config_static_selectorELNS0_4arch9wavefront6targetE1EEEvT1_,@function
_ZN7rocprim17ROCPRIM_400000_NS6detail17trampoline_kernelINS0_14default_configENS1_20scan_config_selectorIiEEZZNS1_9scan_implILNS1_25lookback_scan_determinismE0ELb1ELb1ES3_N6thrust23THRUST_200600_302600_NS10device_ptrIiEESB_iNS9_4plusIvEEiEEDaPvRmT3_T4_T5_mT6_P12ihipStream_tbENKUlT_T0_E_clISt17integral_constantIbLb1EESQ_IbLb0EEEEDaSM_SN_EUlSM_E_NS1_11comp_targetILNS1_3genE10ELNS1_11target_archE1200ELNS1_3gpuE4ELNS1_3repE0EEENS1_30default_config_static_selectorELNS0_4arch9wavefront6targetE1EEEvT1_: ; @_ZN7rocprim17ROCPRIM_400000_NS6detail17trampoline_kernelINS0_14default_configENS1_20scan_config_selectorIiEEZZNS1_9scan_implILNS1_25lookback_scan_determinismE0ELb1ELb1ES3_N6thrust23THRUST_200600_302600_NS10device_ptrIiEESB_iNS9_4plusIvEEiEEDaPvRmT3_T4_T5_mT6_P12ihipStream_tbENKUlT_T0_E_clISt17integral_constantIbLb1EESQ_IbLb0EEEEDaSM_SN_EUlSM_E_NS1_11comp_targetILNS1_3genE10ELNS1_11target_archE1200ELNS1_3gpuE4ELNS1_3repE0EEENS1_30default_config_static_selectorELNS0_4arch9wavefront6targetE1EEEvT1_
; %bb.0:
	.section	.rodata,"a",@progbits
	.p2align	6, 0x0
	.amdhsa_kernel _ZN7rocprim17ROCPRIM_400000_NS6detail17trampoline_kernelINS0_14default_configENS1_20scan_config_selectorIiEEZZNS1_9scan_implILNS1_25lookback_scan_determinismE0ELb1ELb1ES3_N6thrust23THRUST_200600_302600_NS10device_ptrIiEESB_iNS9_4plusIvEEiEEDaPvRmT3_T4_T5_mT6_P12ihipStream_tbENKUlT_T0_E_clISt17integral_constantIbLb1EESQ_IbLb0EEEEDaSM_SN_EUlSM_E_NS1_11comp_targetILNS1_3genE10ELNS1_11target_archE1200ELNS1_3gpuE4ELNS1_3repE0EEENS1_30default_config_static_selectorELNS0_4arch9wavefront6targetE1EEEvT1_
		.amdhsa_group_segment_fixed_size 0
		.amdhsa_private_segment_fixed_size 0
		.amdhsa_kernarg_size 96
		.amdhsa_user_sgpr_count 6
		.amdhsa_user_sgpr_private_segment_buffer 1
		.amdhsa_user_sgpr_dispatch_ptr 0
		.amdhsa_user_sgpr_queue_ptr 0
		.amdhsa_user_sgpr_kernarg_segment_ptr 1
		.amdhsa_user_sgpr_dispatch_id 0
		.amdhsa_user_sgpr_flat_scratch_init 0
		.amdhsa_user_sgpr_kernarg_preload_length 0
		.amdhsa_user_sgpr_kernarg_preload_offset 0
		.amdhsa_user_sgpr_private_segment_size 0
		.amdhsa_uses_dynamic_stack 0
		.amdhsa_system_sgpr_private_segment_wavefront_offset 0
		.amdhsa_system_sgpr_workgroup_id_x 1
		.amdhsa_system_sgpr_workgroup_id_y 0
		.amdhsa_system_sgpr_workgroup_id_z 0
		.amdhsa_system_sgpr_workgroup_info 0
		.amdhsa_system_vgpr_workitem_id 0
		.amdhsa_next_free_vgpr 1
		.amdhsa_next_free_sgpr 0
		.amdhsa_accum_offset 4
		.amdhsa_reserve_vcc 0
		.amdhsa_reserve_flat_scratch 0
		.amdhsa_float_round_mode_32 0
		.amdhsa_float_round_mode_16_64 0
		.amdhsa_float_denorm_mode_32 3
		.amdhsa_float_denorm_mode_16_64 3
		.amdhsa_dx10_clamp 1
		.amdhsa_ieee_mode 1
		.amdhsa_fp16_overflow 0
		.amdhsa_tg_split 0
		.amdhsa_exception_fp_ieee_invalid_op 0
		.amdhsa_exception_fp_denorm_src 0
		.amdhsa_exception_fp_ieee_div_zero 0
		.amdhsa_exception_fp_ieee_overflow 0
		.amdhsa_exception_fp_ieee_underflow 0
		.amdhsa_exception_fp_ieee_inexact 0
		.amdhsa_exception_int_div_zero 0
	.end_amdhsa_kernel
	.section	.text._ZN7rocprim17ROCPRIM_400000_NS6detail17trampoline_kernelINS0_14default_configENS1_20scan_config_selectorIiEEZZNS1_9scan_implILNS1_25lookback_scan_determinismE0ELb1ELb1ES3_N6thrust23THRUST_200600_302600_NS10device_ptrIiEESB_iNS9_4plusIvEEiEEDaPvRmT3_T4_T5_mT6_P12ihipStream_tbENKUlT_T0_E_clISt17integral_constantIbLb1EESQ_IbLb0EEEEDaSM_SN_EUlSM_E_NS1_11comp_targetILNS1_3genE10ELNS1_11target_archE1200ELNS1_3gpuE4ELNS1_3repE0EEENS1_30default_config_static_selectorELNS0_4arch9wavefront6targetE1EEEvT1_,"axG",@progbits,_ZN7rocprim17ROCPRIM_400000_NS6detail17trampoline_kernelINS0_14default_configENS1_20scan_config_selectorIiEEZZNS1_9scan_implILNS1_25lookback_scan_determinismE0ELb1ELb1ES3_N6thrust23THRUST_200600_302600_NS10device_ptrIiEESB_iNS9_4plusIvEEiEEDaPvRmT3_T4_T5_mT6_P12ihipStream_tbENKUlT_T0_E_clISt17integral_constantIbLb1EESQ_IbLb0EEEEDaSM_SN_EUlSM_E_NS1_11comp_targetILNS1_3genE10ELNS1_11target_archE1200ELNS1_3gpuE4ELNS1_3repE0EEENS1_30default_config_static_selectorELNS0_4arch9wavefront6targetE1EEEvT1_,comdat
.Lfunc_end6864:
	.size	_ZN7rocprim17ROCPRIM_400000_NS6detail17trampoline_kernelINS0_14default_configENS1_20scan_config_selectorIiEEZZNS1_9scan_implILNS1_25lookback_scan_determinismE0ELb1ELb1ES3_N6thrust23THRUST_200600_302600_NS10device_ptrIiEESB_iNS9_4plusIvEEiEEDaPvRmT3_T4_T5_mT6_P12ihipStream_tbENKUlT_T0_E_clISt17integral_constantIbLb1EESQ_IbLb0EEEEDaSM_SN_EUlSM_E_NS1_11comp_targetILNS1_3genE10ELNS1_11target_archE1200ELNS1_3gpuE4ELNS1_3repE0EEENS1_30default_config_static_selectorELNS0_4arch9wavefront6targetE1EEEvT1_, .Lfunc_end6864-_ZN7rocprim17ROCPRIM_400000_NS6detail17trampoline_kernelINS0_14default_configENS1_20scan_config_selectorIiEEZZNS1_9scan_implILNS1_25lookback_scan_determinismE0ELb1ELb1ES3_N6thrust23THRUST_200600_302600_NS10device_ptrIiEESB_iNS9_4plusIvEEiEEDaPvRmT3_T4_T5_mT6_P12ihipStream_tbENKUlT_T0_E_clISt17integral_constantIbLb1EESQ_IbLb0EEEEDaSM_SN_EUlSM_E_NS1_11comp_targetILNS1_3genE10ELNS1_11target_archE1200ELNS1_3gpuE4ELNS1_3repE0EEENS1_30default_config_static_selectorELNS0_4arch9wavefront6targetE1EEEvT1_
                                        ; -- End function
	.section	.AMDGPU.csdata,"",@progbits
; Kernel info:
; codeLenInByte = 0
; NumSgprs: 4
; NumVgprs: 0
; NumAgprs: 0
; TotalNumVgprs: 0
; ScratchSize: 0
; MemoryBound: 0
; FloatMode: 240
; IeeeMode: 1
; LDSByteSize: 0 bytes/workgroup (compile time only)
; SGPRBlocks: 0
; VGPRBlocks: 0
; NumSGPRsForWavesPerEU: 4
; NumVGPRsForWavesPerEU: 1
; AccumOffset: 4
; Occupancy: 8
; WaveLimiterHint : 0
; COMPUTE_PGM_RSRC2:SCRATCH_EN: 0
; COMPUTE_PGM_RSRC2:USER_SGPR: 6
; COMPUTE_PGM_RSRC2:TRAP_HANDLER: 0
; COMPUTE_PGM_RSRC2:TGID_X_EN: 1
; COMPUTE_PGM_RSRC2:TGID_Y_EN: 0
; COMPUTE_PGM_RSRC2:TGID_Z_EN: 0
; COMPUTE_PGM_RSRC2:TIDIG_COMP_CNT: 0
; COMPUTE_PGM_RSRC3_GFX90A:ACCUM_OFFSET: 0
; COMPUTE_PGM_RSRC3_GFX90A:TG_SPLIT: 0
	.section	.text._ZN7rocprim17ROCPRIM_400000_NS6detail17trampoline_kernelINS0_14default_configENS1_20scan_config_selectorIiEEZZNS1_9scan_implILNS1_25lookback_scan_determinismE0ELb1ELb1ES3_N6thrust23THRUST_200600_302600_NS10device_ptrIiEESB_iNS9_4plusIvEEiEEDaPvRmT3_T4_T5_mT6_P12ihipStream_tbENKUlT_T0_E_clISt17integral_constantIbLb1EESQ_IbLb0EEEEDaSM_SN_EUlSM_E_NS1_11comp_targetILNS1_3genE9ELNS1_11target_archE1100ELNS1_3gpuE3ELNS1_3repE0EEENS1_30default_config_static_selectorELNS0_4arch9wavefront6targetE1EEEvT1_,"axG",@progbits,_ZN7rocprim17ROCPRIM_400000_NS6detail17trampoline_kernelINS0_14default_configENS1_20scan_config_selectorIiEEZZNS1_9scan_implILNS1_25lookback_scan_determinismE0ELb1ELb1ES3_N6thrust23THRUST_200600_302600_NS10device_ptrIiEESB_iNS9_4plusIvEEiEEDaPvRmT3_T4_T5_mT6_P12ihipStream_tbENKUlT_T0_E_clISt17integral_constantIbLb1EESQ_IbLb0EEEEDaSM_SN_EUlSM_E_NS1_11comp_targetILNS1_3genE9ELNS1_11target_archE1100ELNS1_3gpuE3ELNS1_3repE0EEENS1_30default_config_static_selectorELNS0_4arch9wavefront6targetE1EEEvT1_,comdat
	.protected	_ZN7rocprim17ROCPRIM_400000_NS6detail17trampoline_kernelINS0_14default_configENS1_20scan_config_selectorIiEEZZNS1_9scan_implILNS1_25lookback_scan_determinismE0ELb1ELb1ES3_N6thrust23THRUST_200600_302600_NS10device_ptrIiEESB_iNS9_4plusIvEEiEEDaPvRmT3_T4_T5_mT6_P12ihipStream_tbENKUlT_T0_E_clISt17integral_constantIbLb1EESQ_IbLb0EEEEDaSM_SN_EUlSM_E_NS1_11comp_targetILNS1_3genE9ELNS1_11target_archE1100ELNS1_3gpuE3ELNS1_3repE0EEENS1_30default_config_static_selectorELNS0_4arch9wavefront6targetE1EEEvT1_ ; -- Begin function _ZN7rocprim17ROCPRIM_400000_NS6detail17trampoline_kernelINS0_14default_configENS1_20scan_config_selectorIiEEZZNS1_9scan_implILNS1_25lookback_scan_determinismE0ELb1ELb1ES3_N6thrust23THRUST_200600_302600_NS10device_ptrIiEESB_iNS9_4plusIvEEiEEDaPvRmT3_T4_T5_mT6_P12ihipStream_tbENKUlT_T0_E_clISt17integral_constantIbLb1EESQ_IbLb0EEEEDaSM_SN_EUlSM_E_NS1_11comp_targetILNS1_3genE9ELNS1_11target_archE1100ELNS1_3gpuE3ELNS1_3repE0EEENS1_30default_config_static_selectorELNS0_4arch9wavefront6targetE1EEEvT1_
	.globl	_ZN7rocprim17ROCPRIM_400000_NS6detail17trampoline_kernelINS0_14default_configENS1_20scan_config_selectorIiEEZZNS1_9scan_implILNS1_25lookback_scan_determinismE0ELb1ELb1ES3_N6thrust23THRUST_200600_302600_NS10device_ptrIiEESB_iNS9_4plusIvEEiEEDaPvRmT3_T4_T5_mT6_P12ihipStream_tbENKUlT_T0_E_clISt17integral_constantIbLb1EESQ_IbLb0EEEEDaSM_SN_EUlSM_E_NS1_11comp_targetILNS1_3genE9ELNS1_11target_archE1100ELNS1_3gpuE3ELNS1_3repE0EEENS1_30default_config_static_selectorELNS0_4arch9wavefront6targetE1EEEvT1_
	.p2align	8
	.type	_ZN7rocprim17ROCPRIM_400000_NS6detail17trampoline_kernelINS0_14default_configENS1_20scan_config_selectorIiEEZZNS1_9scan_implILNS1_25lookback_scan_determinismE0ELb1ELb1ES3_N6thrust23THRUST_200600_302600_NS10device_ptrIiEESB_iNS9_4plusIvEEiEEDaPvRmT3_T4_T5_mT6_P12ihipStream_tbENKUlT_T0_E_clISt17integral_constantIbLb1EESQ_IbLb0EEEEDaSM_SN_EUlSM_E_NS1_11comp_targetILNS1_3genE9ELNS1_11target_archE1100ELNS1_3gpuE3ELNS1_3repE0EEENS1_30default_config_static_selectorELNS0_4arch9wavefront6targetE1EEEvT1_,@function
_ZN7rocprim17ROCPRIM_400000_NS6detail17trampoline_kernelINS0_14default_configENS1_20scan_config_selectorIiEEZZNS1_9scan_implILNS1_25lookback_scan_determinismE0ELb1ELb1ES3_N6thrust23THRUST_200600_302600_NS10device_ptrIiEESB_iNS9_4plusIvEEiEEDaPvRmT3_T4_T5_mT6_P12ihipStream_tbENKUlT_T0_E_clISt17integral_constantIbLb1EESQ_IbLb0EEEEDaSM_SN_EUlSM_E_NS1_11comp_targetILNS1_3genE9ELNS1_11target_archE1100ELNS1_3gpuE3ELNS1_3repE0EEENS1_30default_config_static_selectorELNS0_4arch9wavefront6targetE1EEEvT1_: ; @_ZN7rocprim17ROCPRIM_400000_NS6detail17trampoline_kernelINS0_14default_configENS1_20scan_config_selectorIiEEZZNS1_9scan_implILNS1_25lookback_scan_determinismE0ELb1ELb1ES3_N6thrust23THRUST_200600_302600_NS10device_ptrIiEESB_iNS9_4plusIvEEiEEDaPvRmT3_T4_T5_mT6_P12ihipStream_tbENKUlT_T0_E_clISt17integral_constantIbLb1EESQ_IbLb0EEEEDaSM_SN_EUlSM_E_NS1_11comp_targetILNS1_3genE9ELNS1_11target_archE1100ELNS1_3gpuE3ELNS1_3repE0EEENS1_30default_config_static_selectorELNS0_4arch9wavefront6targetE1EEEvT1_
; %bb.0:
	.section	.rodata,"a",@progbits
	.p2align	6, 0x0
	.amdhsa_kernel _ZN7rocprim17ROCPRIM_400000_NS6detail17trampoline_kernelINS0_14default_configENS1_20scan_config_selectorIiEEZZNS1_9scan_implILNS1_25lookback_scan_determinismE0ELb1ELb1ES3_N6thrust23THRUST_200600_302600_NS10device_ptrIiEESB_iNS9_4plusIvEEiEEDaPvRmT3_T4_T5_mT6_P12ihipStream_tbENKUlT_T0_E_clISt17integral_constantIbLb1EESQ_IbLb0EEEEDaSM_SN_EUlSM_E_NS1_11comp_targetILNS1_3genE9ELNS1_11target_archE1100ELNS1_3gpuE3ELNS1_3repE0EEENS1_30default_config_static_selectorELNS0_4arch9wavefront6targetE1EEEvT1_
		.amdhsa_group_segment_fixed_size 0
		.amdhsa_private_segment_fixed_size 0
		.amdhsa_kernarg_size 96
		.amdhsa_user_sgpr_count 6
		.amdhsa_user_sgpr_private_segment_buffer 1
		.amdhsa_user_sgpr_dispatch_ptr 0
		.amdhsa_user_sgpr_queue_ptr 0
		.amdhsa_user_sgpr_kernarg_segment_ptr 1
		.amdhsa_user_sgpr_dispatch_id 0
		.amdhsa_user_sgpr_flat_scratch_init 0
		.amdhsa_user_sgpr_kernarg_preload_length 0
		.amdhsa_user_sgpr_kernarg_preload_offset 0
		.amdhsa_user_sgpr_private_segment_size 0
		.amdhsa_uses_dynamic_stack 0
		.amdhsa_system_sgpr_private_segment_wavefront_offset 0
		.amdhsa_system_sgpr_workgroup_id_x 1
		.amdhsa_system_sgpr_workgroup_id_y 0
		.amdhsa_system_sgpr_workgroup_id_z 0
		.amdhsa_system_sgpr_workgroup_info 0
		.amdhsa_system_vgpr_workitem_id 0
		.amdhsa_next_free_vgpr 1
		.amdhsa_next_free_sgpr 0
		.amdhsa_accum_offset 4
		.amdhsa_reserve_vcc 0
		.amdhsa_reserve_flat_scratch 0
		.amdhsa_float_round_mode_32 0
		.amdhsa_float_round_mode_16_64 0
		.amdhsa_float_denorm_mode_32 3
		.amdhsa_float_denorm_mode_16_64 3
		.amdhsa_dx10_clamp 1
		.amdhsa_ieee_mode 1
		.amdhsa_fp16_overflow 0
		.amdhsa_tg_split 0
		.amdhsa_exception_fp_ieee_invalid_op 0
		.amdhsa_exception_fp_denorm_src 0
		.amdhsa_exception_fp_ieee_div_zero 0
		.amdhsa_exception_fp_ieee_overflow 0
		.amdhsa_exception_fp_ieee_underflow 0
		.amdhsa_exception_fp_ieee_inexact 0
		.amdhsa_exception_int_div_zero 0
	.end_amdhsa_kernel
	.section	.text._ZN7rocprim17ROCPRIM_400000_NS6detail17trampoline_kernelINS0_14default_configENS1_20scan_config_selectorIiEEZZNS1_9scan_implILNS1_25lookback_scan_determinismE0ELb1ELb1ES3_N6thrust23THRUST_200600_302600_NS10device_ptrIiEESB_iNS9_4plusIvEEiEEDaPvRmT3_T4_T5_mT6_P12ihipStream_tbENKUlT_T0_E_clISt17integral_constantIbLb1EESQ_IbLb0EEEEDaSM_SN_EUlSM_E_NS1_11comp_targetILNS1_3genE9ELNS1_11target_archE1100ELNS1_3gpuE3ELNS1_3repE0EEENS1_30default_config_static_selectorELNS0_4arch9wavefront6targetE1EEEvT1_,"axG",@progbits,_ZN7rocprim17ROCPRIM_400000_NS6detail17trampoline_kernelINS0_14default_configENS1_20scan_config_selectorIiEEZZNS1_9scan_implILNS1_25lookback_scan_determinismE0ELb1ELb1ES3_N6thrust23THRUST_200600_302600_NS10device_ptrIiEESB_iNS9_4plusIvEEiEEDaPvRmT3_T4_T5_mT6_P12ihipStream_tbENKUlT_T0_E_clISt17integral_constantIbLb1EESQ_IbLb0EEEEDaSM_SN_EUlSM_E_NS1_11comp_targetILNS1_3genE9ELNS1_11target_archE1100ELNS1_3gpuE3ELNS1_3repE0EEENS1_30default_config_static_selectorELNS0_4arch9wavefront6targetE1EEEvT1_,comdat
.Lfunc_end6865:
	.size	_ZN7rocprim17ROCPRIM_400000_NS6detail17trampoline_kernelINS0_14default_configENS1_20scan_config_selectorIiEEZZNS1_9scan_implILNS1_25lookback_scan_determinismE0ELb1ELb1ES3_N6thrust23THRUST_200600_302600_NS10device_ptrIiEESB_iNS9_4plusIvEEiEEDaPvRmT3_T4_T5_mT6_P12ihipStream_tbENKUlT_T0_E_clISt17integral_constantIbLb1EESQ_IbLb0EEEEDaSM_SN_EUlSM_E_NS1_11comp_targetILNS1_3genE9ELNS1_11target_archE1100ELNS1_3gpuE3ELNS1_3repE0EEENS1_30default_config_static_selectorELNS0_4arch9wavefront6targetE1EEEvT1_, .Lfunc_end6865-_ZN7rocprim17ROCPRIM_400000_NS6detail17trampoline_kernelINS0_14default_configENS1_20scan_config_selectorIiEEZZNS1_9scan_implILNS1_25lookback_scan_determinismE0ELb1ELb1ES3_N6thrust23THRUST_200600_302600_NS10device_ptrIiEESB_iNS9_4plusIvEEiEEDaPvRmT3_T4_T5_mT6_P12ihipStream_tbENKUlT_T0_E_clISt17integral_constantIbLb1EESQ_IbLb0EEEEDaSM_SN_EUlSM_E_NS1_11comp_targetILNS1_3genE9ELNS1_11target_archE1100ELNS1_3gpuE3ELNS1_3repE0EEENS1_30default_config_static_selectorELNS0_4arch9wavefront6targetE1EEEvT1_
                                        ; -- End function
	.section	.AMDGPU.csdata,"",@progbits
; Kernel info:
; codeLenInByte = 0
; NumSgprs: 4
; NumVgprs: 0
; NumAgprs: 0
; TotalNumVgprs: 0
; ScratchSize: 0
; MemoryBound: 0
; FloatMode: 240
; IeeeMode: 1
; LDSByteSize: 0 bytes/workgroup (compile time only)
; SGPRBlocks: 0
; VGPRBlocks: 0
; NumSGPRsForWavesPerEU: 4
; NumVGPRsForWavesPerEU: 1
; AccumOffset: 4
; Occupancy: 8
; WaveLimiterHint : 0
; COMPUTE_PGM_RSRC2:SCRATCH_EN: 0
; COMPUTE_PGM_RSRC2:USER_SGPR: 6
; COMPUTE_PGM_RSRC2:TRAP_HANDLER: 0
; COMPUTE_PGM_RSRC2:TGID_X_EN: 1
; COMPUTE_PGM_RSRC2:TGID_Y_EN: 0
; COMPUTE_PGM_RSRC2:TGID_Z_EN: 0
; COMPUTE_PGM_RSRC2:TIDIG_COMP_CNT: 0
; COMPUTE_PGM_RSRC3_GFX90A:ACCUM_OFFSET: 0
; COMPUTE_PGM_RSRC3_GFX90A:TG_SPLIT: 0
	.section	.text._ZN7rocprim17ROCPRIM_400000_NS6detail17trampoline_kernelINS0_14default_configENS1_20scan_config_selectorIiEEZZNS1_9scan_implILNS1_25lookback_scan_determinismE0ELb1ELb1ES3_N6thrust23THRUST_200600_302600_NS10device_ptrIiEESB_iNS9_4plusIvEEiEEDaPvRmT3_T4_T5_mT6_P12ihipStream_tbENKUlT_T0_E_clISt17integral_constantIbLb1EESQ_IbLb0EEEEDaSM_SN_EUlSM_E_NS1_11comp_targetILNS1_3genE8ELNS1_11target_archE1030ELNS1_3gpuE2ELNS1_3repE0EEENS1_30default_config_static_selectorELNS0_4arch9wavefront6targetE1EEEvT1_,"axG",@progbits,_ZN7rocprim17ROCPRIM_400000_NS6detail17trampoline_kernelINS0_14default_configENS1_20scan_config_selectorIiEEZZNS1_9scan_implILNS1_25lookback_scan_determinismE0ELb1ELb1ES3_N6thrust23THRUST_200600_302600_NS10device_ptrIiEESB_iNS9_4plusIvEEiEEDaPvRmT3_T4_T5_mT6_P12ihipStream_tbENKUlT_T0_E_clISt17integral_constantIbLb1EESQ_IbLb0EEEEDaSM_SN_EUlSM_E_NS1_11comp_targetILNS1_3genE8ELNS1_11target_archE1030ELNS1_3gpuE2ELNS1_3repE0EEENS1_30default_config_static_selectorELNS0_4arch9wavefront6targetE1EEEvT1_,comdat
	.protected	_ZN7rocprim17ROCPRIM_400000_NS6detail17trampoline_kernelINS0_14default_configENS1_20scan_config_selectorIiEEZZNS1_9scan_implILNS1_25lookback_scan_determinismE0ELb1ELb1ES3_N6thrust23THRUST_200600_302600_NS10device_ptrIiEESB_iNS9_4plusIvEEiEEDaPvRmT3_T4_T5_mT6_P12ihipStream_tbENKUlT_T0_E_clISt17integral_constantIbLb1EESQ_IbLb0EEEEDaSM_SN_EUlSM_E_NS1_11comp_targetILNS1_3genE8ELNS1_11target_archE1030ELNS1_3gpuE2ELNS1_3repE0EEENS1_30default_config_static_selectorELNS0_4arch9wavefront6targetE1EEEvT1_ ; -- Begin function _ZN7rocprim17ROCPRIM_400000_NS6detail17trampoline_kernelINS0_14default_configENS1_20scan_config_selectorIiEEZZNS1_9scan_implILNS1_25lookback_scan_determinismE0ELb1ELb1ES3_N6thrust23THRUST_200600_302600_NS10device_ptrIiEESB_iNS9_4plusIvEEiEEDaPvRmT3_T4_T5_mT6_P12ihipStream_tbENKUlT_T0_E_clISt17integral_constantIbLb1EESQ_IbLb0EEEEDaSM_SN_EUlSM_E_NS1_11comp_targetILNS1_3genE8ELNS1_11target_archE1030ELNS1_3gpuE2ELNS1_3repE0EEENS1_30default_config_static_selectorELNS0_4arch9wavefront6targetE1EEEvT1_
	.globl	_ZN7rocprim17ROCPRIM_400000_NS6detail17trampoline_kernelINS0_14default_configENS1_20scan_config_selectorIiEEZZNS1_9scan_implILNS1_25lookback_scan_determinismE0ELb1ELb1ES3_N6thrust23THRUST_200600_302600_NS10device_ptrIiEESB_iNS9_4plusIvEEiEEDaPvRmT3_T4_T5_mT6_P12ihipStream_tbENKUlT_T0_E_clISt17integral_constantIbLb1EESQ_IbLb0EEEEDaSM_SN_EUlSM_E_NS1_11comp_targetILNS1_3genE8ELNS1_11target_archE1030ELNS1_3gpuE2ELNS1_3repE0EEENS1_30default_config_static_selectorELNS0_4arch9wavefront6targetE1EEEvT1_
	.p2align	8
	.type	_ZN7rocprim17ROCPRIM_400000_NS6detail17trampoline_kernelINS0_14default_configENS1_20scan_config_selectorIiEEZZNS1_9scan_implILNS1_25lookback_scan_determinismE0ELb1ELb1ES3_N6thrust23THRUST_200600_302600_NS10device_ptrIiEESB_iNS9_4plusIvEEiEEDaPvRmT3_T4_T5_mT6_P12ihipStream_tbENKUlT_T0_E_clISt17integral_constantIbLb1EESQ_IbLb0EEEEDaSM_SN_EUlSM_E_NS1_11comp_targetILNS1_3genE8ELNS1_11target_archE1030ELNS1_3gpuE2ELNS1_3repE0EEENS1_30default_config_static_selectorELNS0_4arch9wavefront6targetE1EEEvT1_,@function
_ZN7rocprim17ROCPRIM_400000_NS6detail17trampoline_kernelINS0_14default_configENS1_20scan_config_selectorIiEEZZNS1_9scan_implILNS1_25lookback_scan_determinismE0ELb1ELb1ES3_N6thrust23THRUST_200600_302600_NS10device_ptrIiEESB_iNS9_4plusIvEEiEEDaPvRmT3_T4_T5_mT6_P12ihipStream_tbENKUlT_T0_E_clISt17integral_constantIbLb1EESQ_IbLb0EEEEDaSM_SN_EUlSM_E_NS1_11comp_targetILNS1_3genE8ELNS1_11target_archE1030ELNS1_3gpuE2ELNS1_3repE0EEENS1_30default_config_static_selectorELNS0_4arch9wavefront6targetE1EEEvT1_: ; @_ZN7rocprim17ROCPRIM_400000_NS6detail17trampoline_kernelINS0_14default_configENS1_20scan_config_selectorIiEEZZNS1_9scan_implILNS1_25lookback_scan_determinismE0ELb1ELb1ES3_N6thrust23THRUST_200600_302600_NS10device_ptrIiEESB_iNS9_4plusIvEEiEEDaPvRmT3_T4_T5_mT6_P12ihipStream_tbENKUlT_T0_E_clISt17integral_constantIbLb1EESQ_IbLb0EEEEDaSM_SN_EUlSM_E_NS1_11comp_targetILNS1_3genE8ELNS1_11target_archE1030ELNS1_3gpuE2ELNS1_3repE0EEENS1_30default_config_static_selectorELNS0_4arch9wavefront6targetE1EEEvT1_
; %bb.0:
	.section	.rodata,"a",@progbits
	.p2align	6, 0x0
	.amdhsa_kernel _ZN7rocprim17ROCPRIM_400000_NS6detail17trampoline_kernelINS0_14default_configENS1_20scan_config_selectorIiEEZZNS1_9scan_implILNS1_25lookback_scan_determinismE0ELb1ELb1ES3_N6thrust23THRUST_200600_302600_NS10device_ptrIiEESB_iNS9_4plusIvEEiEEDaPvRmT3_T4_T5_mT6_P12ihipStream_tbENKUlT_T0_E_clISt17integral_constantIbLb1EESQ_IbLb0EEEEDaSM_SN_EUlSM_E_NS1_11comp_targetILNS1_3genE8ELNS1_11target_archE1030ELNS1_3gpuE2ELNS1_3repE0EEENS1_30default_config_static_selectorELNS0_4arch9wavefront6targetE1EEEvT1_
		.amdhsa_group_segment_fixed_size 0
		.amdhsa_private_segment_fixed_size 0
		.amdhsa_kernarg_size 96
		.amdhsa_user_sgpr_count 6
		.amdhsa_user_sgpr_private_segment_buffer 1
		.amdhsa_user_sgpr_dispatch_ptr 0
		.amdhsa_user_sgpr_queue_ptr 0
		.amdhsa_user_sgpr_kernarg_segment_ptr 1
		.amdhsa_user_sgpr_dispatch_id 0
		.amdhsa_user_sgpr_flat_scratch_init 0
		.amdhsa_user_sgpr_kernarg_preload_length 0
		.amdhsa_user_sgpr_kernarg_preload_offset 0
		.amdhsa_user_sgpr_private_segment_size 0
		.amdhsa_uses_dynamic_stack 0
		.amdhsa_system_sgpr_private_segment_wavefront_offset 0
		.amdhsa_system_sgpr_workgroup_id_x 1
		.amdhsa_system_sgpr_workgroup_id_y 0
		.amdhsa_system_sgpr_workgroup_id_z 0
		.amdhsa_system_sgpr_workgroup_info 0
		.amdhsa_system_vgpr_workitem_id 0
		.amdhsa_next_free_vgpr 1
		.amdhsa_next_free_sgpr 0
		.amdhsa_accum_offset 4
		.amdhsa_reserve_vcc 0
		.amdhsa_reserve_flat_scratch 0
		.amdhsa_float_round_mode_32 0
		.amdhsa_float_round_mode_16_64 0
		.amdhsa_float_denorm_mode_32 3
		.amdhsa_float_denorm_mode_16_64 3
		.amdhsa_dx10_clamp 1
		.amdhsa_ieee_mode 1
		.amdhsa_fp16_overflow 0
		.amdhsa_tg_split 0
		.amdhsa_exception_fp_ieee_invalid_op 0
		.amdhsa_exception_fp_denorm_src 0
		.amdhsa_exception_fp_ieee_div_zero 0
		.amdhsa_exception_fp_ieee_overflow 0
		.amdhsa_exception_fp_ieee_underflow 0
		.amdhsa_exception_fp_ieee_inexact 0
		.amdhsa_exception_int_div_zero 0
	.end_amdhsa_kernel
	.section	.text._ZN7rocprim17ROCPRIM_400000_NS6detail17trampoline_kernelINS0_14default_configENS1_20scan_config_selectorIiEEZZNS1_9scan_implILNS1_25lookback_scan_determinismE0ELb1ELb1ES3_N6thrust23THRUST_200600_302600_NS10device_ptrIiEESB_iNS9_4plusIvEEiEEDaPvRmT3_T4_T5_mT6_P12ihipStream_tbENKUlT_T0_E_clISt17integral_constantIbLb1EESQ_IbLb0EEEEDaSM_SN_EUlSM_E_NS1_11comp_targetILNS1_3genE8ELNS1_11target_archE1030ELNS1_3gpuE2ELNS1_3repE0EEENS1_30default_config_static_selectorELNS0_4arch9wavefront6targetE1EEEvT1_,"axG",@progbits,_ZN7rocprim17ROCPRIM_400000_NS6detail17trampoline_kernelINS0_14default_configENS1_20scan_config_selectorIiEEZZNS1_9scan_implILNS1_25lookback_scan_determinismE0ELb1ELb1ES3_N6thrust23THRUST_200600_302600_NS10device_ptrIiEESB_iNS9_4plusIvEEiEEDaPvRmT3_T4_T5_mT6_P12ihipStream_tbENKUlT_T0_E_clISt17integral_constantIbLb1EESQ_IbLb0EEEEDaSM_SN_EUlSM_E_NS1_11comp_targetILNS1_3genE8ELNS1_11target_archE1030ELNS1_3gpuE2ELNS1_3repE0EEENS1_30default_config_static_selectorELNS0_4arch9wavefront6targetE1EEEvT1_,comdat
.Lfunc_end6866:
	.size	_ZN7rocprim17ROCPRIM_400000_NS6detail17trampoline_kernelINS0_14default_configENS1_20scan_config_selectorIiEEZZNS1_9scan_implILNS1_25lookback_scan_determinismE0ELb1ELb1ES3_N6thrust23THRUST_200600_302600_NS10device_ptrIiEESB_iNS9_4plusIvEEiEEDaPvRmT3_T4_T5_mT6_P12ihipStream_tbENKUlT_T0_E_clISt17integral_constantIbLb1EESQ_IbLb0EEEEDaSM_SN_EUlSM_E_NS1_11comp_targetILNS1_3genE8ELNS1_11target_archE1030ELNS1_3gpuE2ELNS1_3repE0EEENS1_30default_config_static_selectorELNS0_4arch9wavefront6targetE1EEEvT1_, .Lfunc_end6866-_ZN7rocprim17ROCPRIM_400000_NS6detail17trampoline_kernelINS0_14default_configENS1_20scan_config_selectorIiEEZZNS1_9scan_implILNS1_25lookback_scan_determinismE0ELb1ELb1ES3_N6thrust23THRUST_200600_302600_NS10device_ptrIiEESB_iNS9_4plusIvEEiEEDaPvRmT3_T4_T5_mT6_P12ihipStream_tbENKUlT_T0_E_clISt17integral_constantIbLb1EESQ_IbLb0EEEEDaSM_SN_EUlSM_E_NS1_11comp_targetILNS1_3genE8ELNS1_11target_archE1030ELNS1_3gpuE2ELNS1_3repE0EEENS1_30default_config_static_selectorELNS0_4arch9wavefront6targetE1EEEvT1_
                                        ; -- End function
	.section	.AMDGPU.csdata,"",@progbits
; Kernel info:
; codeLenInByte = 0
; NumSgprs: 4
; NumVgprs: 0
; NumAgprs: 0
; TotalNumVgprs: 0
; ScratchSize: 0
; MemoryBound: 0
; FloatMode: 240
; IeeeMode: 1
; LDSByteSize: 0 bytes/workgroup (compile time only)
; SGPRBlocks: 0
; VGPRBlocks: 0
; NumSGPRsForWavesPerEU: 4
; NumVGPRsForWavesPerEU: 1
; AccumOffset: 4
; Occupancy: 8
; WaveLimiterHint : 0
; COMPUTE_PGM_RSRC2:SCRATCH_EN: 0
; COMPUTE_PGM_RSRC2:USER_SGPR: 6
; COMPUTE_PGM_RSRC2:TRAP_HANDLER: 0
; COMPUTE_PGM_RSRC2:TGID_X_EN: 1
; COMPUTE_PGM_RSRC2:TGID_Y_EN: 0
; COMPUTE_PGM_RSRC2:TGID_Z_EN: 0
; COMPUTE_PGM_RSRC2:TIDIG_COMP_CNT: 0
; COMPUTE_PGM_RSRC3_GFX90A:ACCUM_OFFSET: 0
; COMPUTE_PGM_RSRC3_GFX90A:TG_SPLIT: 0
	.section	.text._ZN7rocprim17ROCPRIM_400000_NS6detail17trampoline_kernelINS0_14default_configENS1_20scan_config_selectorIiEEZZNS1_9scan_implILNS1_25lookback_scan_determinismE0ELb1ELb1ES3_N6thrust23THRUST_200600_302600_NS10device_ptrIiEESB_iNS9_4plusIvEEiEEDaPvRmT3_T4_T5_mT6_P12ihipStream_tbENKUlT_T0_E_clISt17integral_constantIbLb1EESQ_IbLb0EEEEDaSM_SN_EUlSM_E0_NS1_11comp_targetILNS1_3genE0ELNS1_11target_archE4294967295ELNS1_3gpuE0ELNS1_3repE0EEENS1_30default_config_static_selectorELNS0_4arch9wavefront6targetE1EEEvT1_,"axG",@progbits,_ZN7rocprim17ROCPRIM_400000_NS6detail17trampoline_kernelINS0_14default_configENS1_20scan_config_selectorIiEEZZNS1_9scan_implILNS1_25lookback_scan_determinismE0ELb1ELb1ES3_N6thrust23THRUST_200600_302600_NS10device_ptrIiEESB_iNS9_4plusIvEEiEEDaPvRmT3_T4_T5_mT6_P12ihipStream_tbENKUlT_T0_E_clISt17integral_constantIbLb1EESQ_IbLb0EEEEDaSM_SN_EUlSM_E0_NS1_11comp_targetILNS1_3genE0ELNS1_11target_archE4294967295ELNS1_3gpuE0ELNS1_3repE0EEENS1_30default_config_static_selectorELNS0_4arch9wavefront6targetE1EEEvT1_,comdat
	.protected	_ZN7rocprim17ROCPRIM_400000_NS6detail17trampoline_kernelINS0_14default_configENS1_20scan_config_selectorIiEEZZNS1_9scan_implILNS1_25lookback_scan_determinismE0ELb1ELb1ES3_N6thrust23THRUST_200600_302600_NS10device_ptrIiEESB_iNS9_4plusIvEEiEEDaPvRmT3_T4_T5_mT6_P12ihipStream_tbENKUlT_T0_E_clISt17integral_constantIbLb1EESQ_IbLb0EEEEDaSM_SN_EUlSM_E0_NS1_11comp_targetILNS1_3genE0ELNS1_11target_archE4294967295ELNS1_3gpuE0ELNS1_3repE0EEENS1_30default_config_static_selectorELNS0_4arch9wavefront6targetE1EEEvT1_ ; -- Begin function _ZN7rocprim17ROCPRIM_400000_NS6detail17trampoline_kernelINS0_14default_configENS1_20scan_config_selectorIiEEZZNS1_9scan_implILNS1_25lookback_scan_determinismE0ELb1ELb1ES3_N6thrust23THRUST_200600_302600_NS10device_ptrIiEESB_iNS9_4plusIvEEiEEDaPvRmT3_T4_T5_mT6_P12ihipStream_tbENKUlT_T0_E_clISt17integral_constantIbLb1EESQ_IbLb0EEEEDaSM_SN_EUlSM_E0_NS1_11comp_targetILNS1_3genE0ELNS1_11target_archE4294967295ELNS1_3gpuE0ELNS1_3repE0EEENS1_30default_config_static_selectorELNS0_4arch9wavefront6targetE1EEEvT1_
	.globl	_ZN7rocprim17ROCPRIM_400000_NS6detail17trampoline_kernelINS0_14default_configENS1_20scan_config_selectorIiEEZZNS1_9scan_implILNS1_25lookback_scan_determinismE0ELb1ELb1ES3_N6thrust23THRUST_200600_302600_NS10device_ptrIiEESB_iNS9_4plusIvEEiEEDaPvRmT3_T4_T5_mT6_P12ihipStream_tbENKUlT_T0_E_clISt17integral_constantIbLb1EESQ_IbLb0EEEEDaSM_SN_EUlSM_E0_NS1_11comp_targetILNS1_3genE0ELNS1_11target_archE4294967295ELNS1_3gpuE0ELNS1_3repE0EEENS1_30default_config_static_selectorELNS0_4arch9wavefront6targetE1EEEvT1_
	.p2align	8
	.type	_ZN7rocprim17ROCPRIM_400000_NS6detail17trampoline_kernelINS0_14default_configENS1_20scan_config_selectorIiEEZZNS1_9scan_implILNS1_25lookback_scan_determinismE0ELb1ELb1ES3_N6thrust23THRUST_200600_302600_NS10device_ptrIiEESB_iNS9_4plusIvEEiEEDaPvRmT3_T4_T5_mT6_P12ihipStream_tbENKUlT_T0_E_clISt17integral_constantIbLb1EESQ_IbLb0EEEEDaSM_SN_EUlSM_E0_NS1_11comp_targetILNS1_3genE0ELNS1_11target_archE4294967295ELNS1_3gpuE0ELNS1_3repE0EEENS1_30default_config_static_selectorELNS0_4arch9wavefront6targetE1EEEvT1_,@function
_ZN7rocprim17ROCPRIM_400000_NS6detail17trampoline_kernelINS0_14default_configENS1_20scan_config_selectorIiEEZZNS1_9scan_implILNS1_25lookback_scan_determinismE0ELb1ELb1ES3_N6thrust23THRUST_200600_302600_NS10device_ptrIiEESB_iNS9_4plusIvEEiEEDaPvRmT3_T4_T5_mT6_P12ihipStream_tbENKUlT_T0_E_clISt17integral_constantIbLb1EESQ_IbLb0EEEEDaSM_SN_EUlSM_E0_NS1_11comp_targetILNS1_3genE0ELNS1_11target_archE4294967295ELNS1_3gpuE0ELNS1_3repE0EEENS1_30default_config_static_selectorELNS0_4arch9wavefront6targetE1EEEvT1_: ; @_ZN7rocprim17ROCPRIM_400000_NS6detail17trampoline_kernelINS0_14default_configENS1_20scan_config_selectorIiEEZZNS1_9scan_implILNS1_25lookback_scan_determinismE0ELb1ELb1ES3_N6thrust23THRUST_200600_302600_NS10device_ptrIiEESB_iNS9_4plusIvEEiEEDaPvRmT3_T4_T5_mT6_P12ihipStream_tbENKUlT_T0_E_clISt17integral_constantIbLb1EESQ_IbLb0EEEEDaSM_SN_EUlSM_E0_NS1_11comp_targetILNS1_3genE0ELNS1_11target_archE4294967295ELNS1_3gpuE0ELNS1_3repE0EEENS1_30default_config_static_selectorELNS0_4arch9wavefront6targetE1EEEvT1_
; %bb.0:
	.section	.rodata,"a",@progbits
	.p2align	6, 0x0
	.amdhsa_kernel _ZN7rocprim17ROCPRIM_400000_NS6detail17trampoline_kernelINS0_14default_configENS1_20scan_config_selectorIiEEZZNS1_9scan_implILNS1_25lookback_scan_determinismE0ELb1ELb1ES3_N6thrust23THRUST_200600_302600_NS10device_ptrIiEESB_iNS9_4plusIvEEiEEDaPvRmT3_T4_T5_mT6_P12ihipStream_tbENKUlT_T0_E_clISt17integral_constantIbLb1EESQ_IbLb0EEEEDaSM_SN_EUlSM_E0_NS1_11comp_targetILNS1_3genE0ELNS1_11target_archE4294967295ELNS1_3gpuE0ELNS1_3repE0EEENS1_30default_config_static_selectorELNS0_4arch9wavefront6targetE1EEEvT1_
		.amdhsa_group_segment_fixed_size 0
		.amdhsa_private_segment_fixed_size 0
		.amdhsa_kernarg_size 32
		.amdhsa_user_sgpr_count 6
		.amdhsa_user_sgpr_private_segment_buffer 1
		.amdhsa_user_sgpr_dispatch_ptr 0
		.amdhsa_user_sgpr_queue_ptr 0
		.amdhsa_user_sgpr_kernarg_segment_ptr 1
		.amdhsa_user_sgpr_dispatch_id 0
		.amdhsa_user_sgpr_flat_scratch_init 0
		.amdhsa_user_sgpr_kernarg_preload_length 0
		.amdhsa_user_sgpr_kernarg_preload_offset 0
		.amdhsa_user_sgpr_private_segment_size 0
		.amdhsa_uses_dynamic_stack 0
		.amdhsa_system_sgpr_private_segment_wavefront_offset 0
		.amdhsa_system_sgpr_workgroup_id_x 1
		.amdhsa_system_sgpr_workgroup_id_y 0
		.amdhsa_system_sgpr_workgroup_id_z 0
		.amdhsa_system_sgpr_workgroup_info 0
		.amdhsa_system_vgpr_workitem_id 0
		.amdhsa_next_free_vgpr 1
		.amdhsa_next_free_sgpr 0
		.amdhsa_accum_offset 4
		.amdhsa_reserve_vcc 0
		.amdhsa_reserve_flat_scratch 0
		.amdhsa_float_round_mode_32 0
		.amdhsa_float_round_mode_16_64 0
		.amdhsa_float_denorm_mode_32 3
		.amdhsa_float_denorm_mode_16_64 3
		.amdhsa_dx10_clamp 1
		.amdhsa_ieee_mode 1
		.amdhsa_fp16_overflow 0
		.amdhsa_tg_split 0
		.amdhsa_exception_fp_ieee_invalid_op 0
		.amdhsa_exception_fp_denorm_src 0
		.amdhsa_exception_fp_ieee_div_zero 0
		.amdhsa_exception_fp_ieee_overflow 0
		.amdhsa_exception_fp_ieee_underflow 0
		.amdhsa_exception_fp_ieee_inexact 0
		.amdhsa_exception_int_div_zero 0
	.end_amdhsa_kernel
	.section	.text._ZN7rocprim17ROCPRIM_400000_NS6detail17trampoline_kernelINS0_14default_configENS1_20scan_config_selectorIiEEZZNS1_9scan_implILNS1_25lookback_scan_determinismE0ELb1ELb1ES3_N6thrust23THRUST_200600_302600_NS10device_ptrIiEESB_iNS9_4plusIvEEiEEDaPvRmT3_T4_T5_mT6_P12ihipStream_tbENKUlT_T0_E_clISt17integral_constantIbLb1EESQ_IbLb0EEEEDaSM_SN_EUlSM_E0_NS1_11comp_targetILNS1_3genE0ELNS1_11target_archE4294967295ELNS1_3gpuE0ELNS1_3repE0EEENS1_30default_config_static_selectorELNS0_4arch9wavefront6targetE1EEEvT1_,"axG",@progbits,_ZN7rocprim17ROCPRIM_400000_NS6detail17trampoline_kernelINS0_14default_configENS1_20scan_config_selectorIiEEZZNS1_9scan_implILNS1_25lookback_scan_determinismE0ELb1ELb1ES3_N6thrust23THRUST_200600_302600_NS10device_ptrIiEESB_iNS9_4plusIvEEiEEDaPvRmT3_T4_T5_mT6_P12ihipStream_tbENKUlT_T0_E_clISt17integral_constantIbLb1EESQ_IbLb0EEEEDaSM_SN_EUlSM_E0_NS1_11comp_targetILNS1_3genE0ELNS1_11target_archE4294967295ELNS1_3gpuE0ELNS1_3repE0EEENS1_30default_config_static_selectorELNS0_4arch9wavefront6targetE1EEEvT1_,comdat
.Lfunc_end6867:
	.size	_ZN7rocprim17ROCPRIM_400000_NS6detail17trampoline_kernelINS0_14default_configENS1_20scan_config_selectorIiEEZZNS1_9scan_implILNS1_25lookback_scan_determinismE0ELb1ELb1ES3_N6thrust23THRUST_200600_302600_NS10device_ptrIiEESB_iNS9_4plusIvEEiEEDaPvRmT3_T4_T5_mT6_P12ihipStream_tbENKUlT_T0_E_clISt17integral_constantIbLb1EESQ_IbLb0EEEEDaSM_SN_EUlSM_E0_NS1_11comp_targetILNS1_3genE0ELNS1_11target_archE4294967295ELNS1_3gpuE0ELNS1_3repE0EEENS1_30default_config_static_selectorELNS0_4arch9wavefront6targetE1EEEvT1_, .Lfunc_end6867-_ZN7rocprim17ROCPRIM_400000_NS6detail17trampoline_kernelINS0_14default_configENS1_20scan_config_selectorIiEEZZNS1_9scan_implILNS1_25lookback_scan_determinismE0ELb1ELb1ES3_N6thrust23THRUST_200600_302600_NS10device_ptrIiEESB_iNS9_4plusIvEEiEEDaPvRmT3_T4_T5_mT6_P12ihipStream_tbENKUlT_T0_E_clISt17integral_constantIbLb1EESQ_IbLb0EEEEDaSM_SN_EUlSM_E0_NS1_11comp_targetILNS1_3genE0ELNS1_11target_archE4294967295ELNS1_3gpuE0ELNS1_3repE0EEENS1_30default_config_static_selectorELNS0_4arch9wavefront6targetE1EEEvT1_
                                        ; -- End function
	.section	.AMDGPU.csdata,"",@progbits
; Kernel info:
; codeLenInByte = 0
; NumSgprs: 4
; NumVgprs: 0
; NumAgprs: 0
; TotalNumVgprs: 0
; ScratchSize: 0
; MemoryBound: 0
; FloatMode: 240
; IeeeMode: 1
; LDSByteSize: 0 bytes/workgroup (compile time only)
; SGPRBlocks: 0
; VGPRBlocks: 0
; NumSGPRsForWavesPerEU: 4
; NumVGPRsForWavesPerEU: 1
; AccumOffset: 4
; Occupancy: 8
; WaveLimiterHint : 0
; COMPUTE_PGM_RSRC2:SCRATCH_EN: 0
; COMPUTE_PGM_RSRC2:USER_SGPR: 6
; COMPUTE_PGM_RSRC2:TRAP_HANDLER: 0
; COMPUTE_PGM_RSRC2:TGID_X_EN: 1
; COMPUTE_PGM_RSRC2:TGID_Y_EN: 0
; COMPUTE_PGM_RSRC2:TGID_Z_EN: 0
; COMPUTE_PGM_RSRC2:TIDIG_COMP_CNT: 0
; COMPUTE_PGM_RSRC3_GFX90A:ACCUM_OFFSET: 0
; COMPUTE_PGM_RSRC3_GFX90A:TG_SPLIT: 0
	.section	.text._ZN7rocprim17ROCPRIM_400000_NS6detail17trampoline_kernelINS0_14default_configENS1_20scan_config_selectorIiEEZZNS1_9scan_implILNS1_25lookback_scan_determinismE0ELb1ELb1ES3_N6thrust23THRUST_200600_302600_NS10device_ptrIiEESB_iNS9_4plusIvEEiEEDaPvRmT3_T4_T5_mT6_P12ihipStream_tbENKUlT_T0_E_clISt17integral_constantIbLb1EESQ_IbLb0EEEEDaSM_SN_EUlSM_E0_NS1_11comp_targetILNS1_3genE5ELNS1_11target_archE942ELNS1_3gpuE9ELNS1_3repE0EEENS1_30default_config_static_selectorELNS0_4arch9wavefront6targetE1EEEvT1_,"axG",@progbits,_ZN7rocprim17ROCPRIM_400000_NS6detail17trampoline_kernelINS0_14default_configENS1_20scan_config_selectorIiEEZZNS1_9scan_implILNS1_25lookback_scan_determinismE0ELb1ELb1ES3_N6thrust23THRUST_200600_302600_NS10device_ptrIiEESB_iNS9_4plusIvEEiEEDaPvRmT3_T4_T5_mT6_P12ihipStream_tbENKUlT_T0_E_clISt17integral_constantIbLb1EESQ_IbLb0EEEEDaSM_SN_EUlSM_E0_NS1_11comp_targetILNS1_3genE5ELNS1_11target_archE942ELNS1_3gpuE9ELNS1_3repE0EEENS1_30default_config_static_selectorELNS0_4arch9wavefront6targetE1EEEvT1_,comdat
	.protected	_ZN7rocprim17ROCPRIM_400000_NS6detail17trampoline_kernelINS0_14default_configENS1_20scan_config_selectorIiEEZZNS1_9scan_implILNS1_25lookback_scan_determinismE0ELb1ELb1ES3_N6thrust23THRUST_200600_302600_NS10device_ptrIiEESB_iNS9_4plusIvEEiEEDaPvRmT3_T4_T5_mT6_P12ihipStream_tbENKUlT_T0_E_clISt17integral_constantIbLb1EESQ_IbLb0EEEEDaSM_SN_EUlSM_E0_NS1_11comp_targetILNS1_3genE5ELNS1_11target_archE942ELNS1_3gpuE9ELNS1_3repE0EEENS1_30default_config_static_selectorELNS0_4arch9wavefront6targetE1EEEvT1_ ; -- Begin function _ZN7rocprim17ROCPRIM_400000_NS6detail17trampoline_kernelINS0_14default_configENS1_20scan_config_selectorIiEEZZNS1_9scan_implILNS1_25lookback_scan_determinismE0ELb1ELb1ES3_N6thrust23THRUST_200600_302600_NS10device_ptrIiEESB_iNS9_4plusIvEEiEEDaPvRmT3_T4_T5_mT6_P12ihipStream_tbENKUlT_T0_E_clISt17integral_constantIbLb1EESQ_IbLb0EEEEDaSM_SN_EUlSM_E0_NS1_11comp_targetILNS1_3genE5ELNS1_11target_archE942ELNS1_3gpuE9ELNS1_3repE0EEENS1_30default_config_static_selectorELNS0_4arch9wavefront6targetE1EEEvT1_
	.globl	_ZN7rocprim17ROCPRIM_400000_NS6detail17trampoline_kernelINS0_14default_configENS1_20scan_config_selectorIiEEZZNS1_9scan_implILNS1_25lookback_scan_determinismE0ELb1ELb1ES3_N6thrust23THRUST_200600_302600_NS10device_ptrIiEESB_iNS9_4plusIvEEiEEDaPvRmT3_T4_T5_mT6_P12ihipStream_tbENKUlT_T0_E_clISt17integral_constantIbLb1EESQ_IbLb0EEEEDaSM_SN_EUlSM_E0_NS1_11comp_targetILNS1_3genE5ELNS1_11target_archE942ELNS1_3gpuE9ELNS1_3repE0EEENS1_30default_config_static_selectorELNS0_4arch9wavefront6targetE1EEEvT1_
	.p2align	8
	.type	_ZN7rocprim17ROCPRIM_400000_NS6detail17trampoline_kernelINS0_14default_configENS1_20scan_config_selectorIiEEZZNS1_9scan_implILNS1_25lookback_scan_determinismE0ELb1ELb1ES3_N6thrust23THRUST_200600_302600_NS10device_ptrIiEESB_iNS9_4plusIvEEiEEDaPvRmT3_T4_T5_mT6_P12ihipStream_tbENKUlT_T0_E_clISt17integral_constantIbLb1EESQ_IbLb0EEEEDaSM_SN_EUlSM_E0_NS1_11comp_targetILNS1_3genE5ELNS1_11target_archE942ELNS1_3gpuE9ELNS1_3repE0EEENS1_30default_config_static_selectorELNS0_4arch9wavefront6targetE1EEEvT1_,@function
_ZN7rocprim17ROCPRIM_400000_NS6detail17trampoline_kernelINS0_14default_configENS1_20scan_config_selectorIiEEZZNS1_9scan_implILNS1_25lookback_scan_determinismE0ELb1ELb1ES3_N6thrust23THRUST_200600_302600_NS10device_ptrIiEESB_iNS9_4plusIvEEiEEDaPvRmT3_T4_T5_mT6_P12ihipStream_tbENKUlT_T0_E_clISt17integral_constantIbLb1EESQ_IbLb0EEEEDaSM_SN_EUlSM_E0_NS1_11comp_targetILNS1_3genE5ELNS1_11target_archE942ELNS1_3gpuE9ELNS1_3repE0EEENS1_30default_config_static_selectorELNS0_4arch9wavefront6targetE1EEEvT1_: ; @_ZN7rocprim17ROCPRIM_400000_NS6detail17trampoline_kernelINS0_14default_configENS1_20scan_config_selectorIiEEZZNS1_9scan_implILNS1_25lookback_scan_determinismE0ELb1ELb1ES3_N6thrust23THRUST_200600_302600_NS10device_ptrIiEESB_iNS9_4plusIvEEiEEDaPvRmT3_T4_T5_mT6_P12ihipStream_tbENKUlT_T0_E_clISt17integral_constantIbLb1EESQ_IbLb0EEEEDaSM_SN_EUlSM_E0_NS1_11comp_targetILNS1_3genE5ELNS1_11target_archE942ELNS1_3gpuE9ELNS1_3repE0EEENS1_30default_config_static_selectorELNS0_4arch9wavefront6targetE1EEEvT1_
; %bb.0:
	.section	.rodata,"a",@progbits
	.p2align	6, 0x0
	.amdhsa_kernel _ZN7rocprim17ROCPRIM_400000_NS6detail17trampoline_kernelINS0_14default_configENS1_20scan_config_selectorIiEEZZNS1_9scan_implILNS1_25lookback_scan_determinismE0ELb1ELb1ES3_N6thrust23THRUST_200600_302600_NS10device_ptrIiEESB_iNS9_4plusIvEEiEEDaPvRmT3_T4_T5_mT6_P12ihipStream_tbENKUlT_T0_E_clISt17integral_constantIbLb1EESQ_IbLb0EEEEDaSM_SN_EUlSM_E0_NS1_11comp_targetILNS1_3genE5ELNS1_11target_archE942ELNS1_3gpuE9ELNS1_3repE0EEENS1_30default_config_static_selectorELNS0_4arch9wavefront6targetE1EEEvT1_
		.amdhsa_group_segment_fixed_size 0
		.amdhsa_private_segment_fixed_size 0
		.amdhsa_kernarg_size 32
		.amdhsa_user_sgpr_count 6
		.amdhsa_user_sgpr_private_segment_buffer 1
		.amdhsa_user_sgpr_dispatch_ptr 0
		.amdhsa_user_sgpr_queue_ptr 0
		.amdhsa_user_sgpr_kernarg_segment_ptr 1
		.amdhsa_user_sgpr_dispatch_id 0
		.amdhsa_user_sgpr_flat_scratch_init 0
		.amdhsa_user_sgpr_kernarg_preload_length 0
		.amdhsa_user_sgpr_kernarg_preload_offset 0
		.amdhsa_user_sgpr_private_segment_size 0
		.amdhsa_uses_dynamic_stack 0
		.amdhsa_system_sgpr_private_segment_wavefront_offset 0
		.amdhsa_system_sgpr_workgroup_id_x 1
		.amdhsa_system_sgpr_workgroup_id_y 0
		.amdhsa_system_sgpr_workgroup_id_z 0
		.amdhsa_system_sgpr_workgroup_info 0
		.amdhsa_system_vgpr_workitem_id 0
		.amdhsa_next_free_vgpr 1
		.amdhsa_next_free_sgpr 0
		.amdhsa_accum_offset 4
		.amdhsa_reserve_vcc 0
		.amdhsa_reserve_flat_scratch 0
		.amdhsa_float_round_mode_32 0
		.amdhsa_float_round_mode_16_64 0
		.amdhsa_float_denorm_mode_32 3
		.amdhsa_float_denorm_mode_16_64 3
		.amdhsa_dx10_clamp 1
		.amdhsa_ieee_mode 1
		.amdhsa_fp16_overflow 0
		.amdhsa_tg_split 0
		.amdhsa_exception_fp_ieee_invalid_op 0
		.amdhsa_exception_fp_denorm_src 0
		.amdhsa_exception_fp_ieee_div_zero 0
		.amdhsa_exception_fp_ieee_overflow 0
		.amdhsa_exception_fp_ieee_underflow 0
		.amdhsa_exception_fp_ieee_inexact 0
		.amdhsa_exception_int_div_zero 0
	.end_amdhsa_kernel
	.section	.text._ZN7rocprim17ROCPRIM_400000_NS6detail17trampoline_kernelINS0_14default_configENS1_20scan_config_selectorIiEEZZNS1_9scan_implILNS1_25lookback_scan_determinismE0ELb1ELb1ES3_N6thrust23THRUST_200600_302600_NS10device_ptrIiEESB_iNS9_4plusIvEEiEEDaPvRmT3_T4_T5_mT6_P12ihipStream_tbENKUlT_T0_E_clISt17integral_constantIbLb1EESQ_IbLb0EEEEDaSM_SN_EUlSM_E0_NS1_11comp_targetILNS1_3genE5ELNS1_11target_archE942ELNS1_3gpuE9ELNS1_3repE0EEENS1_30default_config_static_selectorELNS0_4arch9wavefront6targetE1EEEvT1_,"axG",@progbits,_ZN7rocprim17ROCPRIM_400000_NS6detail17trampoline_kernelINS0_14default_configENS1_20scan_config_selectorIiEEZZNS1_9scan_implILNS1_25lookback_scan_determinismE0ELb1ELb1ES3_N6thrust23THRUST_200600_302600_NS10device_ptrIiEESB_iNS9_4plusIvEEiEEDaPvRmT3_T4_T5_mT6_P12ihipStream_tbENKUlT_T0_E_clISt17integral_constantIbLb1EESQ_IbLb0EEEEDaSM_SN_EUlSM_E0_NS1_11comp_targetILNS1_3genE5ELNS1_11target_archE942ELNS1_3gpuE9ELNS1_3repE0EEENS1_30default_config_static_selectorELNS0_4arch9wavefront6targetE1EEEvT1_,comdat
.Lfunc_end6868:
	.size	_ZN7rocprim17ROCPRIM_400000_NS6detail17trampoline_kernelINS0_14default_configENS1_20scan_config_selectorIiEEZZNS1_9scan_implILNS1_25lookback_scan_determinismE0ELb1ELb1ES3_N6thrust23THRUST_200600_302600_NS10device_ptrIiEESB_iNS9_4plusIvEEiEEDaPvRmT3_T4_T5_mT6_P12ihipStream_tbENKUlT_T0_E_clISt17integral_constantIbLb1EESQ_IbLb0EEEEDaSM_SN_EUlSM_E0_NS1_11comp_targetILNS1_3genE5ELNS1_11target_archE942ELNS1_3gpuE9ELNS1_3repE0EEENS1_30default_config_static_selectorELNS0_4arch9wavefront6targetE1EEEvT1_, .Lfunc_end6868-_ZN7rocprim17ROCPRIM_400000_NS6detail17trampoline_kernelINS0_14default_configENS1_20scan_config_selectorIiEEZZNS1_9scan_implILNS1_25lookback_scan_determinismE0ELb1ELb1ES3_N6thrust23THRUST_200600_302600_NS10device_ptrIiEESB_iNS9_4plusIvEEiEEDaPvRmT3_T4_T5_mT6_P12ihipStream_tbENKUlT_T0_E_clISt17integral_constantIbLb1EESQ_IbLb0EEEEDaSM_SN_EUlSM_E0_NS1_11comp_targetILNS1_3genE5ELNS1_11target_archE942ELNS1_3gpuE9ELNS1_3repE0EEENS1_30default_config_static_selectorELNS0_4arch9wavefront6targetE1EEEvT1_
                                        ; -- End function
	.section	.AMDGPU.csdata,"",@progbits
; Kernel info:
; codeLenInByte = 0
; NumSgprs: 4
; NumVgprs: 0
; NumAgprs: 0
; TotalNumVgprs: 0
; ScratchSize: 0
; MemoryBound: 0
; FloatMode: 240
; IeeeMode: 1
; LDSByteSize: 0 bytes/workgroup (compile time only)
; SGPRBlocks: 0
; VGPRBlocks: 0
; NumSGPRsForWavesPerEU: 4
; NumVGPRsForWavesPerEU: 1
; AccumOffset: 4
; Occupancy: 8
; WaveLimiterHint : 0
; COMPUTE_PGM_RSRC2:SCRATCH_EN: 0
; COMPUTE_PGM_RSRC2:USER_SGPR: 6
; COMPUTE_PGM_RSRC2:TRAP_HANDLER: 0
; COMPUTE_PGM_RSRC2:TGID_X_EN: 1
; COMPUTE_PGM_RSRC2:TGID_Y_EN: 0
; COMPUTE_PGM_RSRC2:TGID_Z_EN: 0
; COMPUTE_PGM_RSRC2:TIDIG_COMP_CNT: 0
; COMPUTE_PGM_RSRC3_GFX90A:ACCUM_OFFSET: 0
; COMPUTE_PGM_RSRC3_GFX90A:TG_SPLIT: 0
	.section	.text._ZN7rocprim17ROCPRIM_400000_NS6detail17trampoline_kernelINS0_14default_configENS1_20scan_config_selectorIiEEZZNS1_9scan_implILNS1_25lookback_scan_determinismE0ELb1ELb1ES3_N6thrust23THRUST_200600_302600_NS10device_ptrIiEESB_iNS9_4plusIvEEiEEDaPvRmT3_T4_T5_mT6_P12ihipStream_tbENKUlT_T0_E_clISt17integral_constantIbLb1EESQ_IbLb0EEEEDaSM_SN_EUlSM_E0_NS1_11comp_targetILNS1_3genE4ELNS1_11target_archE910ELNS1_3gpuE8ELNS1_3repE0EEENS1_30default_config_static_selectorELNS0_4arch9wavefront6targetE1EEEvT1_,"axG",@progbits,_ZN7rocprim17ROCPRIM_400000_NS6detail17trampoline_kernelINS0_14default_configENS1_20scan_config_selectorIiEEZZNS1_9scan_implILNS1_25lookback_scan_determinismE0ELb1ELb1ES3_N6thrust23THRUST_200600_302600_NS10device_ptrIiEESB_iNS9_4plusIvEEiEEDaPvRmT3_T4_T5_mT6_P12ihipStream_tbENKUlT_T0_E_clISt17integral_constantIbLb1EESQ_IbLb0EEEEDaSM_SN_EUlSM_E0_NS1_11comp_targetILNS1_3genE4ELNS1_11target_archE910ELNS1_3gpuE8ELNS1_3repE0EEENS1_30default_config_static_selectorELNS0_4arch9wavefront6targetE1EEEvT1_,comdat
	.protected	_ZN7rocprim17ROCPRIM_400000_NS6detail17trampoline_kernelINS0_14default_configENS1_20scan_config_selectorIiEEZZNS1_9scan_implILNS1_25lookback_scan_determinismE0ELb1ELb1ES3_N6thrust23THRUST_200600_302600_NS10device_ptrIiEESB_iNS9_4plusIvEEiEEDaPvRmT3_T4_T5_mT6_P12ihipStream_tbENKUlT_T0_E_clISt17integral_constantIbLb1EESQ_IbLb0EEEEDaSM_SN_EUlSM_E0_NS1_11comp_targetILNS1_3genE4ELNS1_11target_archE910ELNS1_3gpuE8ELNS1_3repE0EEENS1_30default_config_static_selectorELNS0_4arch9wavefront6targetE1EEEvT1_ ; -- Begin function _ZN7rocprim17ROCPRIM_400000_NS6detail17trampoline_kernelINS0_14default_configENS1_20scan_config_selectorIiEEZZNS1_9scan_implILNS1_25lookback_scan_determinismE0ELb1ELb1ES3_N6thrust23THRUST_200600_302600_NS10device_ptrIiEESB_iNS9_4plusIvEEiEEDaPvRmT3_T4_T5_mT6_P12ihipStream_tbENKUlT_T0_E_clISt17integral_constantIbLb1EESQ_IbLb0EEEEDaSM_SN_EUlSM_E0_NS1_11comp_targetILNS1_3genE4ELNS1_11target_archE910ELNS1_3gpuE8ELNS1_3repE0EEENS1_30default_config_static_selectorELNS0_4arch9wavefront6targetE1EEEvT1_
	.globl	_ZN7rocprim17ROCPRIM_400000_NS6detail17trampoline_kernelINS0_14default_configENS1_20scan_config_selectorIiEEZZNS1_9scan_implILNS1_25lookback_scan_determinismE0ELb1ELb1ES3_N6thrust23THRUST_200600_302600_NS10device_ptrIiEESB_iNS9_4plusIvEEiEEDaPvRmT3_T4_T5_mT6_P12ihipStream_tbENKUlT_T0_E_clISt17integral_constantIbLb1EESQ_IbLb0EEEEDaSM_SN_EUlSM_E0_NS1_11comp_targetILNS1_3genE4ELNS1_11target_archE910ELNS1_3gpuE8ELNS1_3repE0EEENS1_30default_config_static_selectorELNS0_4arch9wavefront6targetE1EEEvT1_
	.p2align	8
	.type	_ZN7rocprim17ROCPRIM_400000_NS6detail17trampoline_kernelINS0_14default_configENS1_20scan_config_selectorIiEEZZNS1_9scan_implILNS1_25lookback_scan_determinismE0ELb1ELb1ES3_N6thrust23THRUST_200600_302600_NS10device_ptrIiEESB_iNS9_4plusIvEEiEEDaPvRmT3_T4_T5_mT6_P12ihipStream_tbENKUlT_T0_E_clISt17integral_constantIbLb1EESQ_IbLb0EEEEDaSM_SN_EUlSM_E0_NS1_11comp_targetILNS1_3genE4ELNS1_11target_archE910ELNS1_3gpuE8ELNS1_3repE0EEENS1_30default_config_static_selectorELNS0_4arch9wavefront6targetE1EEEvT1_,@function
_ZN7rocprim17ROCPRIM_400000_NS6detail17trampoline_kernelINS0_14default_configENS1_20scan_config_selectorIiEEZZNS1_9scan_implILNS1_25lookback_scan_determinismE0ELb1ELb1ES3_N6thrust23THRUST_200600_302600_NS10device_ptrIiEESB_iNS9_4plusIvEEiEEDaPvRmT3_T4_T5_mT6_P12ihipStream_tbENKUlT_T0_E_clISt17integral_constantIbLb1EESQ_IbLb0EEEEDaSM_SN_EUlSM_E0_NS1_11comp_targetILNS1_3genE4ELNS1_11target_archE910ELNS1_3gpuE8ELNS1_3repE0EEENS1_30default_config_static_selectorELNS0_4arch9wavefront6targetE1EEEvT1_: ; @_ZN7rocprim17ROCPRIM_400000_NS6detail17trampoline_kernelINS0_14default_configENS1_20scan_config_selectorIiEEZZNS1_9scan_implILNS1_25lookback_scan_determinismE0ELb1ELb1ES3_N6thrust23THRUST_200600_302600_NS10device_ptrIiEESB_iNS9_4plusIvEEiEEDaPvRmT3_T4_T5_mT6_P12ihipStream_tbENKUlT_T0_E_clISt17integral_constantIbLb1EESQ_IbLb0EEEEDaSM_SN_EUlSM_E0_NS1_11comp_targetILNS1_3genE4ELNS1_11target_archE910ELNS1_3gpuE8ELNS1_3repE0EEENS1_30default_config_static_selectorELNS0_4arch9wavefront6targetE1EEEvT1_
; %bb.0:
	s_load_dwordx4 s[20:23], s[4:5], 0x0
	v_lshlrev_b32_e32 v14, 2, v0
	s_waitcnt lgkmcnt(0)
	s_load_dword s23, s[20:21], 0x0
	v_cmp_gt_u32_e32 vcc, s22, v0
	s_waitcnt lgkmcnt(0)
	v_mov_b32_e32 v1, s23
	s_and_saveexec_b64 s[0:1], vcc
	s_cbranch_execz .LBB6869_2
; %bb.1:
	global_load_dword v1, v14, s[20:21]
.LBB6869_2:
	s_or_b64 exec, exec, s[0:1]
	v_or_b32_e32 v2, 0x80, v0
	v_cmp_gt_u32_e64 s[0:1], s22, v2
	v_mov_b32_e32 v2, s23
	s_and_saveexec_b64 s[2:3], s[0:1]
	s_cbranch_execz .LBB6869_4
; %bb.3:
	global_load_dword v2, v14, s[20:21] offset:512
.LBB6869_4:
	s_or_b64 exec, exec, s[2:3]
	v_or_b32_e32 v3, 0x100, v0
	v_cmp_gt_u32_e64 s[2:3], s22, v3
	v_mov_b32_e32 v3, s23
	s_and_saveexec_b64 s[6:7], s[2:3]
	s_cbranch_execz .LBB6869_6
; %bb.5:
	global_load_dword v3, v14, s[20:21] offset:1024
.LBB6869_6:
	;; [unrolled: 9-line block ×7, first 2 shown]
	s_or_b64 exec, exec, s[14:15]
	v_or_b32_e32 v10, 0x400, v0
	v_cmp_gt_u32_e64 s[14:15], s22, v10
	v_mov_b32_e32 v9, s23
	s_and_saveexec_b64 s[16:17], s[14:15]
	s_cbranch_execz .LBB6869_18
; %bb.17:
	v_lshlrev_b32_e32 v9, 2, v10
	global_load_dword v9, v9, s[20:21]
.LBB6869_18:
	s_or_b64 exec, exec, s[16:17]
	s_load_dword s24, s[4:5], 0x10
	v_or_b32_e32 v11, 0x480, v0
	v_cmp_gt_u32_e64 s[16:17], s22, v11
	v_mov_b32_e32 v10, s23
	s_and_saveexec_b64 s[22:23], s[16:17]
	s_cbranch_execz .LBB6869_20
; %bb.19:
	v_lshlrev_b32_e32 v10, 2, v11
	global_load_dword v10, v10, s[20:21]
.LBB6869_20:
	s_or_b64 exec, exec, s[22:23]
	s_waitcnt vmcnt(0)
	ds_write2st64_b32 v14, v1, v2 offset1:2
	ds_write2st64_b32 v14, v3, v4 offset0:4 offset1:6
	ds_write2st64_b32 v14, v5, v6 offset0:8 offset1:10
	;; [unrolled: 1-line block ×4, first 2 shown]
	v_mad_u32_u24 v1, v0, 36, v14
	s_waitcnt lgkmcnt(0)
	s_barrier
	ds_read2_b64 v[6:9], v1 offset1:1
	ds_read2_b64 v[2:5], v1 offset0:2 offset1:3
	ds_read_b64 v[10:11], v1 offset:32
	s_load_dwordx2 s[20:21], s[4:5], 0x18
	v_cmp_gt_u32_e64 s[4:5], 64, v0
	s_waitcnt lgkmcnt(0)
	v_add_u32_e32 v1, v7, v6
	v_add3_u32 v1, v1, v8, v9
	v_add3_u32 v1, v1, v2, v3
	;; [unrolled: 1-line block ×4, first 2 shown]
	v_lshrrev_b32_e32 v11, 3, v0
	v_and_b32_e32 v11, 12, v11
	v_add_u32_e32 v11, v14, v11
	s_barrier
	ds_write_b32 v11, v1
	s_waitcnt lgkmcnt(0)
	s_barrier
	s_and_saveexec_b64 s[22:23], s[4:5]
	s_cbranch_execz .LBB6869_22
; %bb.21:
	v_lshlrev_b32_e32 v11, 1, v0
	v_lshrrev_b32_e32 v12, 4, v0
	v_add_lshl_u32 v11, v12, v11, 2
	ds_read2_b32 v[12:13], v11 offset1:1
	v_mbcnt_lo_u32_b32 v15, -1, 0
	v_mbcnt_hi_u32_b32 v15, -1, v15
	v_and_b32_e32 v16, 15, v15
	v_cmp_ne_u32_e64 s[4:5], 0, v16
	s_waitcnt lgkmcnt(0)
	v_add_u32_e32 v13, v13, v12
	; wave barrier
	s_nop 1
	v_mov_b32_dpp v17, v13 row_shr:1 row_mask:0xf bank_mask:0xf
	v_cndmask_b32_e64 v17, 0, v17, s[4:5]
	v_add_u32_e32 v13, v17, v13
	v_cmp_lt_u32_e64 s[4:5], 1, v16
	s_nop 0
	v_mov_b32_dpp v17, v13 row_shr:2 row_mask:0xf bank_mask:0xf
	v_cndmask_b32_e64 v17, 0, v17, s[4:5]
	v_add_u32_e32 v13, v13, v17
	v_cmp_lt_u32_e64 s[4:5], 3, v16
	;; [unrolled: 5-line block ×3, first 2 shown]
	s_nop 0
	v_mov_b32_dpp v17, v13 row_shr:8 row_mask:0xf bank_mask:0xf
	v_cndmask_b32_e64 v16, 0, v17, s[4:5]
	v_add_u32_e32 v13, v13, v16
	v_bfe_i32 v17, v15, 4, 1
	v_cmp_lt_u32_e64 s[4:5], 31, v15
	v_mov_b32_dpp v16, v13 row_bcast:15 row_mask:0xf bank_mask:0xf
	v_and_b32_e32 v16, v17, v16
	v_add_u32_e32 v13, v13, v16
	v_and_b32_e32 v17, 64, v15
	s_nop 0
	v_mov_b32_dpp v16, v13 row_bcast:31 row_mask:0xf bank_mask:0xf
	v_cndmask_b32_e64 v16, 0, v16, s[4:5]
	v_add_u32_e32 v13, v13, v16
	v_add_u32_e32 v16, -1, v15
	v_cmp_lt_i32_e64 s[4:5], v16, v17
	v_cndmask_b32_e64 v15, v16, v15, s[4:5]
	v_lshlrev_b32_e32 v15, 2, v15
	ds_bpermute_b32 v13, v15, v13
	v_cmp_eq_u32_e64 s[4:5], 0, v0
	s_waitcnt lgkmcnt(0)
	v_add_u32_e32 v12, v13, v12
	v_cndmask_b32_e64 v1, v12, v1, s[4:5]
	ds_write_b32 v11, v1
	; wave barrier
	ds_read_b32 v12, v11 offset:4
	s_waitcnt lgkmcnt(0)
	v_add_u32_e32 v1, v12, v1
	ds_write_b32 v11, v1 offset:4
.LBB6869_22:
	s_or_b64 exec, exec, s[22:23]
	v_mul_u32_u24_e32 v1, 36, v0
	v_cmp_ne_u32_e64 s[4:5], 0, v0
	v_mov_b32_e32 v12, s24
	s_waitcnt lgkmcnt(0)
	s_barrier
	s_and_saveexec_b64 s[22:23], s[4:5]
	s_cbranch_execz .LBB6869_24
; %bb.23:
	v_add_u32_e32 v0, -1, v0
	v_lshrrev_b32_e32 v11, 5, v0
	v_add_lshl_u32 v0, v11, v0, 2
	ds_read_b32 v0, v0
	s_waitcnt lgkmcnt(0)
	v_add_u32_e32 v12, s24, v0
.LBB6869_24:
	s_or_b64 exec, exec, s[22:23]
	v_add_u32_e32 v13, v12, v6
	v_add_u32_e32 v6, v13, v7
	v_add_u32_e32 v7, v6, v8
	v_add_u32_e32 v8, v7, v9
	v_add_u32_e32 v9, v8, v2
	v_add_u32_e32 v2, v9, v3
	v_add_u32_e32 v3, v2, v4
	v_add_u32_e32 v4, v3, v5
	v_add_u32_e32 v5, v4, v10
	v_add_u32_e32 v0, v14, v1
	s_barrier
	ds_write2_b64 v0, v[12:13], v[6:7] offset1:1
	ds_write2_b64 v0, v[8:9], v[2:3] offset0:2 offset1:3
	ds_write_b64 v0, v[4:5] offset:32
	s_waitcnt lgkmcnt(0)
	s_barrier
	ds_read2st64_b32 v[8:9], v14 offset0:2 offset1:4
	ds_read2st64_b32 v[6:7], v14 offset0:6 offset1:8
	;; [unrolled: 1-line block ×4, first 2 shown]
	ds_read_b32 v10, v14 offset:4608
	v_mov_b32_e32 v1, s21
	v_add_co_u32_e64 v0, s[4:5], s20, v14
	v_addc_co_u32_e64 v1, s[4:5], 0, v1, s[4:5]
	s_and_saveexec_b64 s[4:5], vcc
	s_cbranch_execnz .LBB6869_35
; %bb.25:
	s_or_b64 exec, exec, s[4:5]
	s_and_saveexec_b64 s[4:5], s[0:1]
	s_cbranch_execnz .LBB6869_36
.LBB6869_26:
	s_or_b64 exec, exec, s[4:5]
	s_and_saveexec_b64 s[0:1], s[2:3]
	s_cbranch_execnz .LBB6869_37
.LBB6869_27:
	s_or_b64 exec, exec, s[0:1]
	s_and_saveexec_b64 s[0:1], s[18:19]
	s_cbranch_execnz .LBB6869_38
.LBB6869_28:
	s_or_b64 exec, exec, s[0:1]
	s_and_saveexec_b64 s[0:1], s[6:7]
	s_cbranch_execnz .LBB6869_39
.LBB6869_29:
	s_or_b64 exec, exec, s[0:1]
	s_and_saveexec_b64 s[0:1], s[8:9]
	s_cbranch_execnz .LBB6869_40
.LBB6869_30:
	s_or_b64 exec, exec, s[0:1]
	s_and_saveexec_b64 s[0:1], s[10:11]
	s_cbranch_execnz .LBB6869_41
.LBB6869_31:
	s_or_b64 exec, exec, s[0:1]
	s_and_saveexec_b64 s[0:1], s[12:13]
	s_cbranch_execnz .LBB6869_42
.LBB6869_32:
	s_or_b64 exec, exec, s[0:1]
	s_and_saveexec_b64 s[0:1], s[14:15]
	s_cbranch_execnz .LBB6869_43
.LBB6869_33:
	s_or_b64 exec, exec, s[0:1]
	s_and_saveexec_b64 s[0:1], s[16:17]
	s_cbranch_execnz .LBB6869_44
.LBB6869_34:
	s_endpgm
.LBB6869_35:
	ds_read_b32 v11, v14
	s_waitcnt lgkmcnt(0)
	global_store_dword v[0:1], v11, off
	s_or_b64 exec, exec, s[4:5]
	s_and_saveexec_b64 s[4:5], s[0:1]
	s_cbranch_execz .LBB6869_26
.LBB6869_36:
	s_waitcnt lgkmcnt(4)
	global_store_dword v[0:1], v8, off offset:512
	s_or_b64 exec, exec, s[4:5]
	s_and_saveexec_b64 s[0:1], s[2:3]
	s_cbranch_execz .LBB6869_27
.LBB6869_37:
	s_waitcnt lgkmcnt(4)
	global_store_dword v[0:1], v9, off offset:1024
	s_or_b64 exec, exec, s[0:1]
	s_and_saveexec_b64 s[0:1], s[18:19]
	s_cbranch_execz .LBB6869_28
.LBB6869_38:
	s_waitcnt lgkmcnt(3)
	global_store_dword v[0:1], v6, off offset:1536
	s_or_b64 exec, exec, s[0:1]
	s_and_saveexec_b64 s[0:1], s[6:7]
	s_cbranch_execz .LBB6869_29
.LBB6869_39:
	s_waitcnt lgkmcnt(3)
	global_store_dword v[0:1], v7, off offset:2048
	s_or_b64 exec, exec, s[0:1]
	s_and_saveexec_b64 s[0:1], s[8:9]
	s_cbranch_execz .LBB6869_30
.LBB6869_40:
	s_waitcnt lgkmcnt(2)
	global_store_dword v[0:1], v4, off offset:2560
	s_or_b64 exec, exec, s[0:1]
	s_and_saveexec_b64 s[0:1], s[10:11]
	s_cbranch_execz .LBB6869_31
.LBB6869_41:
	s_waitcnt lgkmcnt(2)
	global_store_dword v[0:1], v5, off offset:3072
	s_or_b64 exec, exec, s[0:1]
	s_and_saveexec_b64 s[0:1], s[12:13]
	s_cbranch_execz .LBB6869_32
.LBB6869_42:
	s_waitcnt lgkmcnt(1)
	global_store_dword v[0:1], v2, off offset:3584
	s_or_b64 exec, exec, s[0:1]
	s_and_saveexec_b64 s[0:1], s[14:15]
	s_cbranch_execz .LBB6869_33
.LBB6869_43:
	s_waitcnt lgkmcnt(2)
	v_add_co_u32_e32 v4, vcc, 0x1000, v0
	v_addc_co_u32_e32 v5, vcc, 0, v1, vcc
	s_waitcnt lgkmcnt(1)
	global_store_dword v[4:5], v3, off
	s_or_b64 exec, exec, s[0:1]
	s_and_saveexec_b64 s[0:1], s[16:17]
	s_cbranch_execz .LBB6869_34
.LBB6869_44:
	v_add_co_u32_e32 v0, vcc, 0x1000, v0
	v_addc_co_u32_e32 v1, vcc, 0, v1, vcc
	s_waitcnt lgkmcnt(0)
	global_store_dword v[0:1], v10, off offset:512
	s_endpgm
	.section	.rodata,"a",@progbits
	.p2align	6, 0x0
	.amdhsa_kernel _ZN7rocprim17ROCPRIM_400000_NS6detail17trampoline_kernelINS0_14default_configENS1_20scan_config_selectorIiEEZZNS1_9scan_implILNS1_25lookback_scan_determinismE0ELb1ELb1ES3_N6thrust23THRUST_200600_302600_NS10device_ptrIiEESB_iNS9_4plusIvEEiEEDaPvRmT3_T4_T5_mT6_P12ihipStream_tbENKUlT_T0_E_clISt17integral_constantIbLb1EESQ_IbLb0EEEEDaSM_SN_EUlSM_E0_NS1_11comp_targetILNS1_3genE4ELNS1_11target_archE910ELNS1_3gpuE8ELNS1_3repE0EEENS1_30default_config_static_selectorELNS0_4arch9wavefront6targetE1EEEvT1_
		.amdhsa_group_segment_fixed_size 5120
		.amdhsa_private_segment_fixed_size 0
		.amdhsa_kernarg_size 32
		.amdhsa_user_sgpr_count 6
		.amdhsa_user_sgpr_private_segment_buffer 1
		.amdhsa_user_sgpr_dispatch_ptr 0
		.amdhsa_user_sgpr_queue_ptr 0
		.amdhsa_user_sgpr_kernarg_segment_ptr 1
		.amdhsa_user_sgpr_dispatch_id 0
		.amdhsa_user_sgpr_flat_scratch_init 0
		.amdhsa_user_sgpr_kernarg_preload_length 0
		.amdhsa_user_sgpr_kernarg_preload_offset 0
		.amdhsa_user_sgpr_private_segment_size 0
		.amdhsa_uses_dynamic_stack 0
		.amdhsa_system_sgpr_private_segment_wavefront_offset 0
		.amdhsa_system_sgpr_workgroup_id_x 1
		.amdhsa_system_sgpr_workgroup_id_y 0
		.amdhsa_system_sgpr_workgroup_id_z 0
		.amdhsa_system_sgpr_workgroup_info 0
		.amdhsa_system_vgpr_workitem_id 0
		.amdhsa_next_free_vgpr 18
		.amdhsa_next_free_sgpr 25
		.amdhsa_accum_offset 20
		.amdhsa_reserve_vcc 1
		.amdhsa_reserve_flat_scratch 0
		.amdhsa_float_round_mode_32 0
		.amdhsa_float_round_mode_16_64 0
		.amdhsa_float_denorm_mode_32 3
		.amdhsa_float_denorm_mode_16_64 3
		.amdhsa_dx10_clamp 1
		.amdhsa_ieee_mode 1
		.amdhsa_fp16_overflow 0
		.amdhsa_tg_split 0
		.amdhsa_exception_fp_ieee_invalid_op 0
		.amdhsa_exception_fp_denorm_src 0
		.amdhsa_exception_fp_ieee_div_zero 0
		.amdhsa_exception_fp_ieee_overflow 0
		.amdhsa_exception_fp_ieee_underflow 0
		.amdhsa_exception_fp_ieee_inexact 0
		.amdhsa_exception_int_div_zero 0
	.end_amdhsa_kernel
	.section	.text._ZN7rocprim17ROCPRIM_400000_NS6detail17trampoline_kernelINS0_14default_configENS1_20scan_config_selectorIiEEZZNS1_9scan_implILNS1_25lookback_scan_determinismE0ELb1ELb1ES3_N6thrust23THRUST_200600_302600_NS10device_ptrIiEESB_iNS9_4plusIvEEiEEDaPvRmT3_T4_T5_mT6_P12ihipStream_tbENKUlT_T0_E_clISt17integral_constantIbLb1EESQ_IbLb0EEEEDaSM_SN_EUlSM_E0_NS1_11comp_targetILNS1_3genE4ELNS1_11target_archE910ELNS1_3gpuE8ELNS1_3repE0EEENS1_30default_config_static_selectorELNS0_4arch9wavefront6targetE1EEEvT1_,"axG",@progbits,_ZN7rocprim17ROCPRIM_400000_NS6detail17trampoline_kernelINS0_14default_configENS1_20scan_config_selectorIiEEZZNS1_9scan_implILNS1_25lookback_scan_determinismE0ELb1ELb1ES3_N6thrust23THRUST_200600_302600_NS10device_ptrIiEESB_iNS9_4plusIvEEiEEDaPvRmT3_T4_T5_mT6_P12ihipStream_tbENKUlT_T0_E_clISt17integral_constantIbLb1EESQ_IbLb0EEEEDaSM_SN_EUlSM_E0_NS1_11comp_targetILNS1_3genE4ELNS1_11target_archE910ELNS1_3gpuE8ELNS1_3repE0EEENS1_30default_config_static_selectorELNS0_4arch9wavefront6targetE1EEEvT1_,comdat
.Lfunc_end6869:
	.size	_ZN7rocprim17ROCPRIM_400000_NS6detail17trampoline_kernelINS0_14default_configENS1_20scan_config_selectorIiEEZZNS1_9scan_implILNS1_25lookback_scan_determinismE0ELb1ELb1ES3_N6thrust23THRUST_200600_302600_NS10device_ptrIiEESB_iNS9_4plusIvEEiEEDaPvRmT3_T4_T5_mT6_P12ihipStream_tbENKUlT_T0_E_clISt17integral_constantIbLb1EESQ_IbLb0EEEEDaSM_SN_EUlSM_E0_NS1_11comp_targetILNS1_3genE4ELNS1_11target_archE910ELNS1_3gpuE8ELNS1_3repE0EEENS1_30default_config_static_selectorELNS0_4arch9wavefront6targetE1EEEvT1_, .Lfunc_end6869-_ZN7rocprim17ROCPRIM_400000_NS6detail17trampoline_kernelINS0_14default_configENS1_20scan_config_selectorIiEEZZNS1_9scan_implILNS1_25lookback_scan_determinismE0ELb1ELb1ES3_N6thrust23THRUST_200600_302600_NS10device_ptrIiEESB_iNS9_4plusIvEEiEEDaPvRmT3_T4_T5_mT6_P12ihipStream_tbENKUlT_T0_E_clISt17integral_constantIbLb1EESQ_IbLb0EEEEDaSM_SN_EUlSM_E0_NS1_11comp_targetILNS1_3genE4ELNS1_11target_archE910ELNS1_3gpuE8ELNS1_3repE0EEENS1_30default_config_static_selectorELNS0_4arch9wavefront6targetE1EEEvT1_
                                        ; -- End function
	.section	.AMDGPU.csdata,"",@progbits
; Kernel info:
; codeLenInByte = 1536
; NumSgprs: 29
; NumVgprs: 18
; NumAgprs: 0
; TotalNumVgprs: 18
; ScratchSize: 0
; MemoryBound: 0
; FloatMode: 240
; IeeeMode: 1
; LDSByteSize: 5120 bytes/workgroup (compile time only)
; SGPRBlocks: 3
; VGPRBlocks: 2
; NumSGPRsForWavesPerEU: 29
; NumVGPRsForWavesPerEU: 18
; AccumOffset: 20
; Occupancy: 6
; WaveLimiterHint : 0
; COMPUTE_PGM_RSRC2:SCRATCH_EN: 0
; COMPUTE_PGM_RSRC2:USER_SGPR: 6
; COMPUTE_PGM_RSRC2:TRAP_HANDLER: 0
; COMPUTE_PGM_RSRC2:TGID_X_EN: 1
; COMPUTE_PGM_RSRC2:TGID_Y_EN: 0
; COMPUTE_PGM_RSRC2:TGID_Z_EN: 0
; COMPUTE_PGM_RSRC2:TIDIG_COMP_CNT: 0
; COMPUTE_PGM_RSRC3_GFX90A:ACCUM_OFFSET: 4
; COMPUTE_PGM_RSRC3_GFX90A:TG_SPLIT: 0
	.section	.text._ZN7rocprim17ROCPRIM_400000_NS6detail17trampoline_kernelINS0_14default_configENS1_20scan_config_selectorIiEEZZNS1_9scan_implILNS1_25lookback_scan_determinismE0ELb1ELb1ES3_N6thrust23THRUST_200600_302600_NS10device_ptrIiEESB_iNS9_4plusIvEEiEEDaPvRmT3_T4_T5_mT6_P12ihipStream_tbENKUlT_T0_E_clISt17integral_constantIbLb1EESQ_IbLb0EEEEDaSM_SN_EUlSM_E0_NS1_11comp_targetILNS1_3genE3ELNS1_11target_archE908ELNS1_3gpuE7ELNS1_3repE0EEENS1_30default_config_static_selectorELNS0_4arch9wavefront6targetE1EEEvT1_,"axG",@progbits,_ZN7rocprim17ROCPRIM_400000_NS6detail17trampoline_kernelINS0_14default_configENS1_20scan_config_selectorIiEEZZNS1_9scan_implILNS1_25lookback_scan_determinismE0ELb1ELb1ES3_N6thrust23THRUST_200600_302600_NS10device_ptrIiEESB_iNS9_4plusIvEEiEEDaPvRmT3_T4_T5_mT6_P12ihipStream_tbENKUlT_T0_E_clISt17integral_constantIbLb1EESQ_IbLb0EEEEDaSM_SN_EUlSM_E0_NS1_11comp_targetILNS1_3genE3ELNS1_11target_archE908ELNS1_3gpuE7ELNS1_3repE0EEENS1_30default_config_static_selectorELNS0_4arch9wavefront6targetE1EEEvT1_,comdat
	.protected	_ZN7rocprim17ROCPRIM_400000_NS6detail17trampoline_kernelINS0_14default_configENS1_20scan_config_selectorIiEEZZNS1_9scan_implILNS1_25lookback_scan_determinismE0ELb1ELb1ES3_N6thrust23THRUST_200600_302600_NS10device_ptrIiEESB_iNS9_4plusIvEEiEEDaPvRmT3_T4_T5_mT6_P12ihipStream_tbENKUlT_T0_E_clISt17integral_constantIbLb1EESQ_IbLb0EEEEDaSM_SN_EUlSM_E0_NS1_11comp_targetILNS1_3genE3ELNS1_11target_archE908ELNS1_3gpuE7ELNS1_3repE0EEENS1_30default_config_static_selectorELNS0_4arch9wavefront6targetE1EEEvT1_ ; -- Begin function _ZN7rocprim17ROCPRIM_400000_NS6detail17trampoline_kernelINS0_14default_configENS1_20scan_config_selectorIiEEZZNS1_9scan_implILNS1_25lookback_scan_determinismE0ELb1ELb1ES3_N6thrust23THRUST_200600_302600_NS10device_ptrIiEESB_iNS9_4plusIvEEiEEDaPvRmT3_T4_T5_mT6_P12ihipStream_tbENKUlT_T0_E_clISt17integral_constantIbLb1EESQ_IbLb0EEEEDaSM_SN_EUlSM_E0_NS1_11comp_targetILNS1_3genE3ELNS1_11target_archE908ELNS1_3gpuE7ELNS1_3repE0EEENS1_30default_config_static_selectorELNS0_4arch9wavefront6targetE1EEEvT1_
	.globl	_ZN7rocprim17ROCPRIM_400000_NS6detail17trampoline_kernelINS0_14default_configENS1_20scan_config_selectorIiEEZZNS1_9scan_implILNS1_25lookback_scan_determinismE0ELb1ELb1ES3_N6thrust23THRUST_200600_302600_NS10device_ptrIiEESB_iNS9_4plusIvEEiEEDaPvRmT3_T4_T5_mT6_P12ihipStream_tbENKUlT_T0_E_clISt17integral_constantIbLb1EESQ_IbLb0EEEEDaSM_SN_EUlSM_E0_NS1_11comp_targetILNS1_3genE3ELNS1_11target_archE908ELNS1_3gpuE7ELNS1_3repE0EEENS1_30default_config_static_selectorELNS0_4arch9wavefront6targetE1EEEvT1_
	.p2align	8
	.type	_ZN7rocprim17ROCPRIM_400000_NS6detail17trampoline_kernelINS0_14default_configENS1_20scan_config_selectorIiEEZZNS1_9scan_implILNS1_25lookback_scan_determinismE0ELb1ELb1ES3_N6thrust23THRUST_200600_302600_NS10device_ptrIiEESB_iNS9_4plusIvEEiEEDaPvRmT3_T4_T5_mT6_P12ihipStream_tbENKUlT_T0_E_clISt17integral_constantIbLb1EESQ_IbLb0EEEEDaSM_SN_EUlSM_E0_NS1_11comp_targetILNS1_3genE3ELNS1_11target_archE908ELNS1_3gpuE7ELNS1_3repE0EEENS1_30default_config_static_selectorELNS0_4arch9wavefront6targetE1EEEvT1_,@function
_ZN7rocprim17ROCPRIM_400000_NS6detail17trampoline_kernelINS0_14default_configENS1_20scan_config_selectorIiEEZZNS1_9scan_implILNS1_25lookback_scan_determinismE0ELb1ELb1ES3_N6thrust23THRUST_200600_302600_NS10device_ptrIiEESB_iNS9_4plusIvEEiEEDaPvRmT3_T4_T5_mT6_P12ihipStream_tbENKUlT_T0_E_clISt17integral_constantIbLb1EESQ_IbLb0EEEEDaSM_SN_EUlSM_E0_NS1_11comp_targetILNS1_3genE3ELNS1_11target_archE908ELNS1_3gpuE7ELNS1_3repE0EEENS1_30default_config_static_selectorELNS0_4arch9wavefront6targetE1EEEvT1_: ; @_ZN7rocprim17ROCPRIM_400000_NS6detail17trampoline_kernelINS0_14default_configENS1_20scan_config_selectorIiEEZZNS1_9scan_implILNS1_25lookback_scan_determinismE0ELb1ELb1ES3_N6thrust23THRUST_200600_302600_NS10device_ptrIiEESB_iNS9_4plusIvEEiEEDaPvRmT3_T4_T5_mT6_P12ihipStream_tbENKUlT_T0_E_clISt17integral_constantIbLb1EESQ_IbLb0EEEEDaSM_SN_EUlSM_E0_NS1_11comp_targetILNS1_3genE3ELNS1_11target_archE908ELNS1_3gpuE7ELNS1_3repE0EEENS1_30default_config_static_selectorELNS0_4arch9wavefront6targetE1EEEvT1_
; %bb.0:
	.section	.rodata,"a",@progbits
	.p2align	6, 0x0
	.amdhsa_kernel _ZN7rocprim17ROCPRIM_400000_NS6detail17trampoline_kernelINS0_14default_configENS1_20scan_config_selectorIiEEZZNS1_9scan_implILNS1_25lookback_scan_determinismE0ELb1ELb1ES3_N6thrust23THRUST_200600_302600_NS10device_ptrIiEESB_iNS9_4plusIvEEiEEDaPvRmT3_T4_T5_mT6_P12ihipStream_tbENKUlT_T0_E_clISt17integral_constantIbLb1EESQ_IbLb0EEEEDaSM_SN_EUlSM_E0_NS1_11comp_targetILNS1_3genE3ELNS1_11target_archE908ELNS1_3gpuE7ELNS1_3repE0EEENS1_30default_config_static_selectorELNS0_4arch9wavefront6targetE1EEEvT1_
		.amdhsa_group_segment_fixed_size 0
		.amdhsa_private_segment_fixed_size 0
		.amdhsa_kernarg_size 32
		.amdhsa_user_sgpr_count 6
		.amdhsa_user_sgpr_private_segment_buffer 1
		.amdhsa_user_sgpr_dispatch_ptr 0
		.amdhsa_user_sgpr_queue_ptr 0
		.amdhsa_user_sgpr_kernarg_segment_ptr 1
		.amdhsa_user_sgpr_dispatch_id 0
		.amdhsa_user_sgpr_flat_scratch_init 0
		.amdhsa_user_sgpr_kernarg_preload_length 0
		.amdhsa_user_sgpr_kernarg_preload_offset 0
		.amdhsa_user_sgpr_private_segment_size 0
		.amdhsa_uses_dynamic_stack 0
		.amdhsa_system_sgpr_private_segment_wavefront_offset 0
		.amdhsa_system_sgpr_workgroup_id_x 1
		.amdhsa_system_sgpr_workgroup_id_y 0
		.amdhsa_system_sgpr_workgroup_id_z 0
		.amdhsa_system_sgpr_workgroup_info 0
		.amdhsa_system_vgpr_workitem_id 0
		.amdhsa_next_free_vgpr 1
		.amdhsa_next_free_sgpr 0
		.amdhsa_accum_offset 4
		.amdhsa_reserve_vcc 0
		.amdhsa_reserve_flat_scratch 0
		.amdhsa_float_round_mode_32 0
		.amdhsa_float_round_mode_16_64 0
		.amdhsa_float_denorm_mode_32 3
		.amdhsa_float_denorm_mode_16_64 3
		.amdhsa_dx10_clamp 1
		.amdhsa_ieee_mode 1
		.amdhsa_fp16_overflow 0
		.amdhsa_tg_split 0
		.amdhsa_exception_fp_ieee_invalid_op 0
		.amdhsa_exception_fp_denorm_src 0
		.amdhsa_exception_fp_ieee_div_zero 0
		.amdhsa_exception_fp_ieee_overflow 0
		.amdhsa_exception_fp_ieee_underflow 0
		.amdhsa_exception_fp_ieee_inexact 0
		.amdhsa_exception_int_div_zero 0
	.end_amdhsa_kernel
	.section	.text._ZN7rocprim17ROCPRIM_400000_NS6detail17trampoline_kernelINS0_14default_configENS1_20scan_config_selectorIiEEZZNS1_9scan_implILNS1_25lookback_scan_determinismE0ELb1ELb1ES3_N6thrust23THRUST_200600_302600_NS10device_ptrIiEESB_iNS9_4plusIvEEiEEDaPvRmT3_T4_T5_mT6_P12ihipStream_tbENKUlT_T0_E_clISt17integral_constantIbLb1EESQ_IbLb0EEEEDaSM_SN_EUlSM_E0_NS1_11comp_targetILNS1_3genE3ELNS1_11target_archE908ELNS1_3gpuE7ELNS1_3repE0EEENS1_30default_config_static_selectorELNS0_4arch9wavefront6targetE1EEEvT1_,"axG",@progbits,_ZN7rocprim17ROCPRIM_400000_NS6detail17trampoline_kernelINS0_14default_configENS1_20scan_config_selectorIiEEZZNS1_9scan_implILNS1_25lookback_scan_determinismE0ELb1ELb1ES3_N6thrust23THRUST_200600_302600_NS10device_ptrIiEESB_iNS9_4plusIvEEiEEDaPvRmT3_T4_T5_mT6_P12ihipStream_tbENKUlT_T0_E_clISt17integral_constantIbLb1EESQ_IbLb0EEEEDaSM_SN_EUlSM_E0_NS1_11comp_targetILNS1_3genE3ELNS1_11target_archE908ELNS1_3gpuE7ELNS1_3repE0EEENS1_30default_config_static_selectorELNS0_4arch9wavefront6targetE1EEEvT1_,comdat
.Lfunc_end6870:
	.size	_ZN7rocprim17ROCPRIM_400000_NS6detail17trampoline_kernelINS0_14default_configENS1_20scan_config_selectorIiEEZZNS1_9scan_implILNS1_25lookback_scan_determinismE0ELb1ELb1ES3_N6thrust23THRUST_200600_302600_NS10device_ptrIiEESB_iNS9_4plusIvEEiEEDaPvRmT3_T4_T5_mT6_P12ihipStream_tbENKUlT_T0_E_clISt17integral_constantIbLb1EESQ_IbLb0EEEEDaSM_SN_EUlSM_E0_NS1_11comp_targetILNS1_3genE3ELNS1_11target_archE908ELNS1_3gpuE7ELNS1_3repE0EEENS1_30default_config_static_selectorELNS0_4arch9wavefront6targetE1EEEvT1_, .Lfunc_end6870-_ZN7rocprim17ROCPRIM_400000_NS6detail17trampoline_kernelINS0_14default_configENS1_20scan_config_selectorIiEEZZNS1_9scan_implILNS1_25lookback_scan_determinismE0ELb1ELb1ES3_N6thrust23THRUST_200600_302600_NS10device_ptrIiEESB_iNS9_4plusIvEEiEEDaPvRmT3_T4_T5_mT6_P12ihipStream_tbENKUlT_T0_E_clISt17integral_constantIbLb1EESQ_IbLb0EEEEDaSM_SN_EUlSM_E0_NS1_11comp_targetILNS1_3genE3ELNS1_11target_archE908ELNS1_3gpuE7ELNS1_3repE0EEENS1_30default_config_static_selectorELNS0_4arch9wavefront6targetE1EEEvT1_
                                        ; -- End function
	.section	.AMDGPU.csdata,"",@progbits
; Kernel info:
; codeLenInByte = 0
; NumSgprs: 4
; NumVgprs: 0
; NumAgprs: 0
; TotalNumVgprs: 0
; ScratchSize: 0
; MemoryBound: 0
; FloatMode: 240
; IeeeMode: 1
; LDSByteSize: 0 bytes/workgroup (compile time only)
; SGPRBlocks: 0
; VGPRBlocks: 0
; NumSGPRsForWavesPerEU: 4
; NumVGPRsForWavesPerEU: 1
; AccumOffset: 4
; Occupancy: 8
; WaveLimiterHint : 0
; COMPUTE_PGM_RSRC2:SCRATCH_EN: 0
; COMPUTE_PGM_RSRC2:USER_SGPR: 6
; COMPUTE_PGM_RSRC2:TRAP_HANDLER: 0
; COMPUTE_PGM_RSRC2:TGID_X_EN: 1
; COMPUTE_PGM_RSRC2:TGID_Y_EN: 0
; COMPUTE_PGM_RSRC2:TGID_Z_EN: 0
; COMPUTE_PGM_RSRC2:TIDIG_COMP_CNT: 0
; COMPUTE_PGM_RSRC3_GFX90A:ACCUM_OFFSET: 0
; COMPUTE_PGM_RSRC3_GFX90A:TG_SPLIT: 0
	.section	.text._ZN7rocprim17ROCPRIM_400000_NS6detail17trampoline_kernelINS0_14default_configENS1_20scan_config_selectorIiEEZZNS1_9scan_implILNS1_25lookback_scan_determinismE0ELb1ELb1ES3_N6thrust23THRUST_200600_302600_NS10device_ptrIiEESB_iNS9_4plusIvEEiEEDaPvRmT3_T4_T5_mT6_P12ihipStream_tbENKUlT_T0_E_clISt17integral_constantIbLb1EESQ_IbLb0EEEEDaSM_SN_EUlSM_E0_NS1_11comp_targetILNS1_3genE2ELNS1_11target_archE906ELNS1_3gpuE6ELNS1_3repE0EEENS1_30default_config_static_selectorELNS0_4arch9wavefront6targetE1EEEvT1_,"axG",@progbits,_ZN7rocprim17ROCPRIM_400000_NS6detail17trampoline_kernelINS0_14default_configENS1_20scan_config_selectorIiEEZZNS1_9scan_implILNS1_25lookback_scan_determinismE0ELb1ELb1ES3_N6thrust23THRUST_200600_302600_NS10device_ptrIiEESB_iNS9_4plusIvEEiEEDaPvRmT3_T4_T5_mT6_P12ihipStream_tbENKUlT_T0_E_clISt17integral_constantIbLb1EESQ_IbLb0EEEEDaSM_SN_EUlSM_E0_NS1_11comp_targetILNS1_3genE2ELNS1_11target_archE906ELNS1_3gpuE6ELNS1_3repE0EEENS1_30default_config_static_selectorELNS0_4arch9wavefront6targetE1EEEvT1_,comdat
	.protected	_ZN7rocprim17ROCPRIM_400000_NS6detail17trampoline_kernelINS0_14default_configENS1_20scan_config_selectorIiEEZZNS1_9scan_implILNS1_25lookback_scan_determinismE0ELb1ELb1ES3_N6thrust23THRUST_200600_302600_NS10device_ptrIiEESB_iNS9_4plusIvEEiEEDaPvRmT3_T4_T5_mT6_P12ihipStream_tbENKUlT_T0_E_clISt17integral_constantIbLb1EESQ_IbLb0EEEEDaSM_SN_EUlSM_E0_NS1_11comp_targetILNS1_3genE2ELNS1_11target_archE906ELNS1_3gpuE6ELNS1_3repE0EEENS1_30default_config_static_selectorELNS0_4arch9wavefront6targetE1EEEvT1_ ; -- Begin function _ZN7rocprim17ROCPRIM_400000_NS6detail17trampoline_kernelINS0_14default_configENS1_20scan_config_selectorIiEEZZNS1_9scan_implILNS1_25lookback_scan_determinismE0ELb1ELb1ES3_N6thrust23THRUST_200600_302600_NS10device_ptrIiEESB_iNS9_4plusIvEEiEEDaPvRmT3_T4_T5_mT6_P12ihipStream_tbENKUlT_T0_E_clISt17integral_constantIbLb1EESQ_IbLb0EEEEDaSM_SN_EUlSM_E0_NS1_11comp_targetILNS1_3genE2ELNS1_11target_archE906ELNS1_3gpuE6ELNS1_3repE0EEENS1_30default_config_static_selectorELNS0_4arch9wavefront6targetE1EEEvT1_
	.globl	_ZN7rocprim17ROCPRIM_400000_NS6detail17trampoline_kernelINS0_14default_configENS1_20scan_config_selectorIiEEZZNS1_9scan_implILNS1_25lookback_scan_determinismE0ELb1ELb1ES3_N6thrust23THRUST_200600_302600_NS10device_ptrIiEESB_iNS9_4plusIvEEiEEDaPvRmT3_T4_T5_mT6_P12ihipStream_tbENKUlT_T0_E_clISt17integral_constantIbLb1EESQ_IbLb0EEEEDaSM_SN_EUlSM_E0_NS1_11comp_targetILNS1_3genE2ELNS1_11target_archE906ELNS1_3gpuE6ELNS1_3repE0EEENS1_30default_config_static_selectorELNS0_4arch9wavefront6targetE1EEEvT1_
	.p2align	8
	.type	_ZN7rocprim17ROCPRIM_400000_NS6detail17trampoline_kernelINS0_14default_configENS1_20scan_config_selectorIiEEZZNS1_9scan_implILNS1_25lookback_scan_determinismE0ELb1ELb1ES3_N6thrust23THRUST_200600_302600_NS10device_ptrIiEESB_iNS9_4plusIvEEiEEDaPvRmT3_T4_T5_mT6_P12ihipStream_tbENKUlT_T0_E_clISt17integral_constantIbLb1EESQ_IbLb0EEEEDaSM_SN_EUlSM_E0_NS1_11comp_targetILNS1_3genE2ELNS1_11target_archE906ELNS1_3gpuE6ELNS1_3repE0EEENS1_30default_config_static_selectorELNS0_4arch9wavefront6targetE1EEEvT1_,@function
_ZN7rocprim17ROCPRIM_400000_NS6detail17trampoline_kernelINS0_14default_configENS1_20scan_config_selectorIiEEZZNS1_9scan_implILNS1_25lookback_scan_determinismE0ELb1ELb1ES3_N6thrust23THRUST_200600_302600_NS10device_ptrIiEESB_iNS9_4plusIvEEiEEDaPvRmT3_T4_T5_mT6_P12ihipStream_tbENKUlT_T0_E_clISt17integral_constantIbLb1EESQ_IbLb0EEEEDaSM_SN_EUlSM_E0_NS1_11comp_targetILNS1_3genE2ELNS1_11target_archE906ELNS1_3gpuE6ELNS1_3repE0EEENS1_30default_config_static_selectorELNS0_4arch9wavefront6targetE1EEEvT1_: ; @_ZN7rocprim17ROCPRIM_400000_NS6detail17trampoline_kernelINS0_14default_configENS1_20scan_config_selectorIiEEZZNS1_9scan_implILNS1_25lookback_scan_determinismE0ELb1ELb1ES3_N6thrust23THRUST_200600_302600_NS10device_ptrIiEESB_iNS9_4plusIvEEiEEDaPvRmT3_T4_T5_mT6_P12ihipStream_tbENKUlT_T0_E_clISt17integral_constantIbLb1EESQ_IbLb0EEEEDaSM_SN_EUlSM_E0_NS1_11comp_targetILNS1_3genE2ELNS1_11target_archE906ELNS1_3gpuE6ELNS1_3repE0EEENS1_30default_config_static_selectorELNS0_4arch9wavefront6targetE1EEEvT1_
; %bb.0:
	.section	.rodata,"a",@progbits
	.p2align	6, 0x0
	.amdhsa_kernel _ZN7rocprim17ROCPRIM_400000_NS6detail17trampoline_kernelINS0_14default_configENS1_20scan_config_selectorIiEEZZNS1_9scan_implILNS1_25lookback_scan_determinismE0ELb1ELb1ES3_N6thrust23THRUST_200600_302600_NS10device_ptrIiEESB_iNS9_4plusIvEEiEEDaPvRmT3_T4_T5_mT6_P12ihipStream_tbENKUlT_T0_E_clISt17integral_constantIbLb1EESQ_IbLb0EEEEDaSM_SN_EUlSM_E0_NS1_11comp_targetILNS1_3genE2ELNS1_11target_archE906ELNS1_3gpuE6ELNS1_3repE0EEENS1_30default_config_static_selectorELNS0_4arch9wavefront6targetE1EEEvT1_
		.amdhsa_group_segment_fixed_size 0
		.amdhsa_private_segment_fixed_size 0
		.amdhsa_kernarg_size 32
		.amdhsa_user_sgpr_count 6
		.amdhsa_user_sgpr_private_segment_buffer 1
		.amdhsa_user_sgpr_dispatch_ptr 0
		.amdhsa_user_sgpr_queue_ptr 0
		.amdhsa_user_sgpr_kernarg_segment_ptr 1
		.amdhsa_user_sgpr_dispatch_id 0
		.amdhsa_user_sgpr_flat_scratch_init 0
		.amdhsa_user_sgpr_kernarg_preload_length 0
		.amdhsa_user_sgpr_kernarg_preload_offset 0
		.amdhsa_user_sgpr_private_segment_size 0
		.amdhsa_uses_dynamic_stack 0
		.amdhsa_system_sgpr_private_segment_wavefront_offset 0
		.amdhsa_system_sgpr_workgroup_id_x 1
		.amdhsa_system_sgpr_workgroup_id_y 0
		.amdhsa_system_sgpr_workgroup_id_z 0
		.amdhsa_system_sgpr_workgroup_info 0
		.amdhsa_system_vgpr_workitem_id 0
		.amdhsa_next_free_vgpr 1
		.amdhsa_next_free_sgpr 0
		.amdhsa_accum_offset 4
		.amdhsa_reserve_vcc 0
		.amdhsa_reserve_flat_scratch 0
		.amdhsa_float_round_mode_32 0
		.amdhsa_float_round_mode_16_64 0
		.amdhsa_float_denorm_mode_32 3
		.amdhsa_float_denorm_mode_16_64 3
		.amdhsa_dx10_clamp 1
		.amdhsa_ieee_mode 1
		.amdhsa_fp16_overflow 0
		.amdhsa_tg_split 0
		.amdhsa_exception_fp_ieee_invalid_op 0
		.amdhsa_exception_fp_denorm_src 0
		.amdhsa_exception_fp_ieee_div_zero 0
		.amdhsa_exception_fp_ieee_overflow 0
		.amdhsa_exception_fp_ieee_underflow 0
		.amdhsa_exception_fp_ieee_inexact 0
		.amdhsa_exception_int_div_zero 0
	.end_amdhsa_kernel
	.section	.text._ZN7rocprim17ROCPRIM_400000_NS6detail17trampoline_kernelINS0_14default_configENS1_20scan_config_selectorIiEEZZNS1_9scan_implILNS1_25lookback_scan_determinismE0ELb1ELb1ES3_N6thrust23THRUST_200600_302600_NS10device_ptrIiEESB_iNS9_4plusIvEEiEEDaPvRmT3_T4_T5_mT6_P12ihipStream_tbENKUlT_T0_E_clISt17integral_constantIbLb1EESQ_IbLb0EEEEDaSM_SN_EUlSM_E0_NS1_11comp_targetILNS1_3genE2ELNS1_11target_archE906ELNS1_3gpuE6ELNS1_3repE0EEENS1_30default_config_static_selectorELNS0_4arch9wavefront6targetE1EEEvT1_,"axG",@progbits,_ZN7rocprim17ROCPRIM_400000_NS6detail17trampoline_kernelINS0_14default_configENS1_20scan_config_selectorIiEEZZNS1_9scan_implILNS1_25lookback_scan_determinismE0ELb1ELb1ES3_N6thrust23THRUST_200600_302600_NS10device_ptrIiEESB_iNS9_4plusIvEEiEEDaPvRmT3_T4_T5_mT6_P12ihipStream_tbENKUlT_T0_E_clISt17integral_constantIbLb1EESQ_IbLb0EEEEDaSM_SN_EUlSM_E0_NS1_11comp_targetILNS1_3genE2ELNS1_11target_archE906ELNS1_3gpuE6ELNS1_3repE0EEENS1_30default_config_static_selectorELNS0_4arch9wavefront6targetE1EEEvT1_,comdat
.Lfunc_end6871:
	.size	_ZN7rocprim17ROCPRIM_400000_NS6detail17trampoline_kernelINS0_14default_configENS1_20scan_config_selectorIiEEZZNS1_9scan_implILNS1_25lookback_scan_determinismE0ELb1ELb1ES3_N6thrust23THRUST_200600_302600_NS10device_ptrIiEESB_iNS9_4plusIvEEiEEDaPvRmT3_T4_T5_mT6_P12ihipStream_tbENKUlT_T0_E_clISt17integral_constantIbLb1EESQ_IbLb0EEEEDaSM_SN_EUlSM_E0_NS1_11comp_targetILNS1_3genE2ELNS1_11target_archE906ELNS1_3gpuE6ELNS1_3repE0EEENS1_30default_config_static_selectorELNS0_4arch9wavefront6targetE1EEEvT1_, .Lfunc_end6871-_ZN7rocprim17ROCPRIM_400000_NS6detail17trampoline_kernelINS0_14default_configENS1_20scan_config_selectorIiEEZZNS1_9scan_implILNS1_25lookback_scan_determinismE0ELb1ELb1ES3_N6thrust23THRUST_200600_302600_NS10device_ptrIiEESB_iNS9_4plusIvEEiEEDaPvRmT3_T4_T5_mT6_P12ihipStream_tbENKUlT_T0_E_clISt17integral_constantIbLb1EESQ_IbLb0EEEEDaSM_SN_EUlSM_E0_NS1_11comp_targetILNS1_3genE2ELNS1_11target_archE906ELNS1_3gpuE6ELNS1_3repE0EEENS1_30default_config_static_selectorELNS0_4arch9wavefront6targetE1EEEvT1_
                                        ; -- End function
	.section	.AMDGPU.csdata,"",@progbits
; Kernel info:
; codeLenInByte = 0
; NumSgprs: 4
; NumVgprs: 0
; NumAgprs: 0
; TotalNumVgprs: 0
; ScratchSize: 0
; MemoryBound: 0
; FloatMode: 240
; IeeeMode: 1
; LDSByteSize: 0 bytes/workgroup (compile time only)
; SGPRBlocks: 0
; VGPRBlocks: 0
; NumSGPRsForWavesPerEU: 4
; NumVGPRsForWavesPerEU: 1
; AccumOffset: 4
; Occupancy: 8
; WaveLimiterHint : 0
; COMPUTE_PGM_RSRC2:SCRATCH_EN: 0
; COMPUTE_PGM_RSRC2:USER_SGPR: 6
; COMPUTE_PGM_RSRC2:TRAP_HANDLER: 0
; COMPUTE_PGM_RSRC2:TGID_X_EN: 1
; COMPUTE_PGM_RSRC2:TGID_Y_EN: 0
; COMPUTE_PGM_RSRC2:TGID_Z_EN: 0
; COMPUTE_PGM_RSRC2:TIDIG_COMP_CNT: 0
; COMPUTE_PGM_RSRC3_GFX90A:ACCUM_OFFSET: 0
; COMPUTE_PGM_RSRC3_GFX90A:TG_SPLIT: 0
	.section	.text._ZN7rocprim17ROCPRIM_400000_NS6detail17trampoline_kernelINS0_14default_configENS1_20scan_config_selectorIiEEZZNS1_9scan_implILNS1_25lookback_scan_determinismE0ELb1ELb1ES3_N6thrust23THRUST_200600_302600_NS10device_ptrIiEESB_iNS9_4plusIvEEiEEDaPvRmT3_T4_T5_mT6_P12ihipStream_tbENKUlT_T0_E_clISt17integral_constantIbLb1EESQ_IbLb0EEEEDaSM_SN_EUlSM_E0_NS1_11comp_targetILNS1_3genE10ELNS1_11target_archE1201ELNS1_3gpuE5ELNS1_3repE0EEENS1_30default_config_static_selectorELNS0_4arch9wavefront6targetE1EEEvT1_,"axG",@progbits,_ZN7rocprim17ROCPRIM_400000_NS6detail17trampoline_kernelINS0_14default_configENS1_20scan_config_selectorIiEEZZNS1_9scan_implILNS1_25lookback_scan_determinismE0ELb1ELb1ES3_N6thrust23THRUST_200600_302600_NS10device_ptrIiEESB_iNS9_4plusIvEEiEEDaPvRmT3_T4_T5_mT6_P12ihipStream_tbENKUlT_T0_E_clISt17integral_constantIbLb1EESQ_IbLb0EEEEDaSM_SN_EUlSM_E0_NS1_11comp_targetILNS1_3genE10ELNS1_11target_archE1201ELNS1_3gpuE5ELNS1_3repE0EEENS1_30default_config_static_selectorELNS0_4arch9wavefront6targetE1EEEvT1_,comdat
	.protected	_ZN7rocprim17ROCPRIM_400000_NS6detail17trampoline_kernelINS0_14default_configENS1_20scan_config_selectorIiEEZZNS1_9scan_implILNS1_25lookback_scan_determinismE0ELb1ELb1ES3_N6thrust23THRUST_200600_302600_NS10device_ptrIiEESB_iNS9_4plusIvEEiEEDaPvRmT3_T4_T5_mT6_P12ihipStream_tbENKUlT_T0_E_clISt17integral_constantIbLb1EESQ_IbLb0EEEEDaSM_SN_EUlSM_E0_NS1_11comp_targetILNS1_3genE10ELNS1_11target_archE1201ELNS1_3gpuE5ELNS1_3repE0EEENS1_30default_config_static_selectorELNS0_4arch9wavefront6targetE1EEEvT1_ ; -- Begin function _ZN7rocprim17ROCPRIM_400000_NS6detail17trampoline_kernelINS0_14default_configENS1_20scan_config_selectorIiEEZZNS1_9scan_implILNS1_25lookback_scan_determinismE0ELb1ELb1ES3_N6thrust23THRUST_200600_302600_NS10device_ptrIiEESB_iNS9_4plusIvEEiEEDaPvRmT3_T4_T5_mT6_P12ihipStream_tbENKUlT_T0_E_clISt17integral_constantIbLb1EESQ_IbLb0EEEEDaSM_SN_EUlSM_E0_NS1_11comp_targetILNS1_3genE10ELNS1_11target_archE1201ELNS1_3gpuE5ELNS1_3repE0EEENS1_30default_config_static_selectorELNS0_4arch9wavefront6targetE1EEEvT1_
	.globl	_ZN7rocprim17ROCPRIM_400000_NS6detail17trampoline_kernelINS0_14default_configENS1_20scan_config_selectorIiEEZZNS1_9scan_implILNS1_25lookback_scan_determinismE0ELb1ELb1ES3_N6thrust23THRUST_200600_302600_NS10device_ptrIiEESB_iNS9_4plusIvEEiEEDaPvRmT3_T4_T5_mT6_P12ihipStream_tbENKUlT_T0_E_clISt17integral_constantIbLb1EESQ_IbLb0EEEEDaSM_SN_EUlSM_E0_NS1_11comp_targetILNS1_3genE10ELNS1_11target_archE1201ELNS1_3gpuE5ELNS1_3repE0EEENS1_30default_config_static_selectorELNS0_4arch9wavefront6targetE1EEEvT1_
	.p2align	8
	.type	_ZN7rocprim17ROCPRIM_400000_NS6detail17trampoline_kernelINS0_14default_configENS1_20scan_config_selectorIiEEZZNS1_9scan_implILNS1_25lookback_scan_determinismE0ELb1ELb1ES3_N6thrust23THRUST_200600_302600_NS10device_ptrIiEESB_iNS9_4plusIvEEiEEDaPvRmT3_T4_T5_mT6_P12ihipStream_tbENKUlT_T0_E_clISt17integral_constantIbLb1EESQ_IbLb0EEEEDaSM_SN_EUlSM_E0_NS1_11comp_targetILNS1_3genE10ELNS1_11target_archE1201ELNS1_3gpuE5ELNS1_3repE0EEENS1_30default_config_static_selectorELNS0_4arch9wavefront6targetE1EEEvT1_,@function
_ZN7rocprim17ROCPRIM_400000_NS6detail17trampoline_kernelINS0_14default_configENS1_20scan_config_selectorIiEEZZNS1_9scan_implILNS1_25lookback_scan_determinismE0ELb1ELb1ES3_N6thrust23THRUST_200600_302600_NS10device_ptrIiEESB_iNS9_4plusIvEEiEEDaPvRmT3_T4_T5_mT6_P12ihipStream_tbENKUlT_T0_E_clISt17integral_constantIbLb1EESQ_IbLb0EEEEDaSM_SN_EUlSM_E0_NS1_11comp_targetILNS1_3genE10ELNS1_11target_archE1201ELNS1_3gpuE5ELNS1_3repE0EEENS1_30default_config_static_selectorELNS0_4arch9wavefront6targetE1EEEvT1_: ; @_ZN7rocprim17ROCPRIM_400000_NS6detail17trampoline_kernelINS0_14default_configENS1_20scan_config_selectorIiEEZZNS1_9scan_implILNS1_25lookback_scan_determinismE0ELb1ELb1ES3_N6thrust23THRUST_200600_302600_NS10device_ptrIiEESB_iNS9_4plusIvEEiEEDaPvRmT3_T4_T5_mT6_P12ihipStream_tbENKUlT_T0_E_clISt17integral_constantIbLb1EESQ_IbLb0EEEEDaSM_SN_EUlSM_E0_NS1_11comp_targetILNS1_3genE10ELNS1_11target_archE1201ELNS1_3gpuE5ELNS1_3repE0EEENS1_30default_config_static_selectorELNS0_4arch9wavefront6targetE1EEEvT1_
; %bb.0:
	.section	.rodata,"a",@progbits
	.p2align	6, 0x0
	.amdhsa_kernel _ZN7rocprim17ROCPRIM_400000_NS6detail17trampoline_kernelINS0_14default_configENS1_20scan_config_selectorIiEEZZNS1_9scan_implILNS1_25lookback_scan_determinismE0ELb1ELb1ES3_N6thrust23THRUST_200600_302600_NS10device_ptrIiEESB_iNS9_4plusIvEEiEEDaPvRmT3_T4_T5_mT6_P12ihipStream_tbENKUlT_T0_E_clISt17integral_constantIbLb1EESQ_IbLb0EEEEDaSM_SN_EUlSM_E0_NS1_11comp_targetILNS1_3genE10ELNS1_11target_archE1201ELNS1_3gpuE5ELNS1_3repE0EEENS1_30default_config_static_selectorELNS0_4arch9wavefront6targetE1EEEvT1_
		.amdhsa_group_segment_fixed_size 0
		.amdhsa_private_segment_fixed_size 0
		.amdhsa_kernarg_size 32
		.amdhsa_user_sgpr_count 6
		.amdhsa_user_sgpr_private_segment_buffer 1
		.amdhsa_user_sgpr_dispatch_ptr 0
		.amdhsa_user_sgpr_queue_ptr 0
		.amdhsa_user_sgpr_kernarg_segment_ptr 1
		.amdhsa_user_sgpr_dispatch_id 0
		.amdhsa_user_sgpr_flat_scratch_init 0
		.amdhsa_user_sgpr_kernarg_preload_length 0
		.amdhsa_user_sgpr_kernarg_preload_offset 0
		.amdhsa_user_sgpr_private_segment_size 0
		.amdhsa_uses_dynamic_stack 0
		.amdhsa_system_sgpr_private_segment_wavefront_offset 0
		.amdhsa_system_sgpr_workgroup_id_x 1
		.amdhsa_system_sgpr_workgroup_id_y 0
		.amdhsa_system_sgpr_workgroup_id_z 0
		.amdhsa_system_sgpr_workgroup_info 0
		.amdhsa_system_vgpr_workitem_id 0
		.amdhsa_next_free_vgpr 1
		.amdhsa_next_free_sgpr 0
		.amdhsa_accum_offset 4
		.amdhsa_reserve_vcc 0
		.amdhsa_reserve_flat_scratch 0
		.amdhsa_float_round_mode_32 0
		.amdhsa_float_round_mode_16_64 0
		.amdhsa_float_denorm_mode_32 3
		.amdhsa_float_denorm_mode_16_64 3
		.amdhsa_dx10_clamp 1
		.amdhsa_ieee_mode 1
		.amdhsa_fp16_overflow 0
		.amdhsa_tg_split 0
		.amdhsa_exception_fp_ieee_invalid_op 0
		.amdhsa_exception_fp_denorm_src 0
		.amdhsa_exception_fp_ieee_div_zero 0
		.amdhsa_exception_fp_ieee_overflow 0
		.amdhsa_exception_fp_ieee_underflow 0
		.amdhsa_exception_fp_ieee_inexact 0
		.amdhsa_exception_int_div_zero 0
	.end_amdhsa_kernel
	.section	.text._ZN7rocprim17ROCPRIM_400000_NS6detail17trampoline_kernelINS0_14default_configENS1_20scan_config_selectorIiEEZZNS1_9scan_implILNS1_25lookback_scan_determinismE0ELb1ELb1ES3_N6thrust23THRUST_200600_302600_NS10device_ptrIiEESB_iNS9_4plusIvEEiEEDaPvRmT3_T4_T5_mT6_P12ihipStream_tbENKUlT_T0_E_clISt17integral_constantIbLb1EESQ_IbLb0EEEEDaSM_SN_EUlSM_E0_NS1_11comp_targetILNS1_3genE10ELNS1_11target_archE1201ELNS1_3gpuE5ELNS1_3repE0EEENS1_30default_config_static_selectorELNS0_4arch9wavefront6targetE1EEEvT1_,"axG",@progbits,_ZN7rocprim17ROCPRIM_400000_NS6detail17trampoline_kernelINS0_14default_configENS1_20scan_config_selectorIiEEZZNS1_9scan_implILNS1_25lookback_scan_determinismE0ELb1ELb1ES3_N6thrust23THRUST_200600_302600_NS10device_ptrIiEESB_iNS9_4plusIvEEiEEDaPvRmT3_T4_T5_mT6_P12ihipStream_tbENKUlT_T0_E_clISt17integral_constantIbLb1EESQ_IbLb0EEEEDaSM_SN_EUlSM_E0_NS1_11comp_targetILNS1_3genE10ELNS1_11target_archE1201ELNS1_3gpuE5ELNS1_3repE0EEENS1_30default_config_static_selectorELNS0_4arch9wavefront6targetE1EEEvT1_,comdat
.Lfunc_end6872:
	.size	_ZN7rocprim17ROCPRIM_400000_NS6detail17trampoline_kernelINS0_14default_configENS1_20scan_config_selectorIiEEZZNS1_9scan_implILNS1_25lookback_scan_determinismE0ELb1ELb1ES3_N6thrust23THRUST_200600_302600_NS10device_ptrIiEESB_iNS9_4plusIvEEiEEDaPvRmT3_T4_T5_mT6_P12ihipStream_tbENKUlT_T0_E_clISt17integral_constantIbLb1EESQ_IbLb0EEEEDaSM_SN_EUlSM_E0_NS1_11comp_targetILNS1_3genE10ELNS1_11target_archE1201ELNS1_3gpuE5ELNS1_3repE0EEENS1_30default_config_static_selectorELNS0_4arch9wavefront6targetE1EEEvT1_, .Lfunc_end6872-_ZN7rocprim17ROCPRIM_400000_NS6detail17trampoline_kernelINS0_14default_configENS1_20scan_config_selectorIiEEZZNS1_9scan_implILNS1_25lookback_scan_determinismE0ELb1ELb1ES3_N6thrust23THRUST_200600_302600_NS10device_ptrIiEESB_iNS9_4plusIvEEiEEDaPvRmT3_T4_T5_mT6_P12ihipStream_tbENKUlT_T0_E_clISt17integral_constantIbLb1EESQ_IbLb0EEEEDaSM_SN_EUlSM_E0_NS1_11comp_targetILNS1_3genE10ELNS1_11target_archE1201ELNS1_3gpuE5ELNS1_3repE0EEENS1_30default_config_static_selectorELNS0_4arch9wavefront6targetE1EEEvT1_
                                        ; -- End function
	.section	.AMDGPU.csdata,"",@progbits
; Kernel info:
; codeLenInByte = 0
; NumSgprs: 4
; NumVgprs: 0
; NumAgprs: 0
; TotalNumVgprs: 0
; ScratchSize: 0
; MemoryBound: 0
; FloatMode: 240
; IeeeMode: 1
; LDSByteSize: 0 bytes/workgroup (compile time only)
; SGPRBlocks: 0
; VGPRBlocks: 0
; NumSGPRsForWavesPerEU: 4
; NumVGPRsForWavesPerEU: 1
; AccumOffset: 4
; Occupancy: 8
; WaveLimiterHint : 0
; COMPUTE_PGM_RSRC2:SCRATCH_EN: 0
; COMPUTE_PGM_RSRC2:USER_SGPR: 6
; COMPUTE_PGM_RSRC2:TRAP_HANDLER: 0
; COMPUTE_PGM_RSRC2:TGID_X_EN: 1
; COMPUTE_PGM_RSRC2:TGID_Y_EN: 0
; COMPUTE_PGM_RSRC2:TGID_Z_EN: 0
; COMPUTE_PGM_RSRC2:TIDIG_COMP_CNT: 0
; COMPUTE_PGM_RSRC3_GFX90A:ACCUM_OFFSET: 0
; COMPUTE_PGM_RSRC3_GFX90A:TG_SPLIT: 0
	.section	.text._ZN7rocprim17ROCPRIM_400000_NS6detail17trampoline_kernelINS0_14default_configENS1_20scan_config_selectorIiEEZZNS1_9scan_implILNS1_25lookback_scan_determinismE0ELb1ELb1ES3_N6thrust23THRUST_200600_302600_NS10device_ptrIiEESB_iNS9_4plusIvEEiEEDaPvRmT3_T4_T5_mT6_P12ihipStream_tbENKUlT_T0_E_clISt17integral_constantIbLb1EESQ_IbLb0EEEEDaSM_SN_EUlSM_E0_NS1_11comp_targetILNS1_3genE10ELNS1_11target_archE1200ELNS1_3gpuE4ELNS1_3repE0EEENS1_30default_config_static_selectorELNS0_4arch9wavefront6targetE1EEEvT1_,"axG",@progbits,_ZN7rocprim17ROCPRIM_400000_NS6detail17trampoline_kernelINS0_14default_configENS1_20scan_config_selectorIiEEZZNS1_9scan_implILNS1_25lookback_scan_determinismE0ELb1ELb1ES3_N6thrust23THRUST_200600_302600_NS10device_ptrIiEESB_iNS9_4plusIvEEiEEDaPvRmT3_T4_T5_mT6_P12ihipStream_tbENKUlT_T0_E_clISt17integral_constantIbLb1EESQ_IbLb0EEEEDaSM_SN_EUlSM_E0_NS1_11comp_targetILNS1_3genE10ELNS1_11target_archE1200ELNS1_3gpuE4ELNS1_3repE0EEENS1_30default_config_static_selectorELNS0_4arch9wavefront6targetE1EEEvT1_,comdat
	.protected	_ZN7rocprim17ROCPRIM_400000_NS6detail17trampoline_kernelINS0_14default_configENS1_20scan_config_selectorIiEEZZNS1_9scan_implILNS1_25lookback_scan_determinismE0ELb1ELb1ES3_N6thrust23THRUST_200600_302600_NS10device_ptrIiEESB_iNS9_4plusIvEEiEEDaPvRmT3_T4_T5_mT6_P12ihipStream_tbENKUlT_T0_E_clISt17integral_constantIbLb1EESQ_IbLb0EEEEDaSM_SN_EUlSM_E0_NS1_11comp_targetILNS1_3genE10ELNS1_11target_archE1200ELNS1_3gpuE4ELNS1_3repE0EEENS1_30default_config_static_selectorELNS0_4arch9wavefront6targetE1EEEvT1_ ; -- Begin function _ZN7rocprim17ROCPRIM_400000_NS6detail17trampoline_kernelINS0_14default_configENS1_20scan_config_selectorIiEEZZNS1_9scan_implILNS1_25lookback_scan_determinismE0ELb1ELb1ES3_N6thrust23THRUST_200600_302600_NS10device_ptrIiEESB_iNS9_4plusIvEEiEEDaPvRmT3_T4_T5_mT6_P12ihipStream_tbENKUlT_T0_E_clISt17integral_constantIbLb1EESQ_IbLb0EEEEDaSM_SN_EUlSM_E0_NS1_11comp_targetILNS1_3genE10ELNS1_11target_archE1200ELNS1_3gpuE4ELNS1_3repE0EEENS1_30default_config_static_selectorELNS0_4arch9wavefront6targetE1EEEvT1_
	.globl	_ZN7rocprim17ROCPRIM_400000_NS6detail17trampoline_kernelINS0_14default_configENS1_20scan_config_selectorIiEEZZNS1_9scan_implILNS1_25lookback_scan_determinismE0ELb1ELb1ES3_N6thrust23THRUST_200600_302600_NS10device_ptrIiEESB_iNS9_4plusIvEEiEEDaPvRmT3_T4_T5_mT6_P12ihipStream_tbENKUlT_T0_E_clISt17integral_constantIbLb1EESQ_IbLb0EEEEDaSM_SN_EUlSM_E0_NS1_11comp_targetILNS1_3genE10ELNS1_11target_archE1200ELNS1_3gpuE4ELNS1_3repE0EEENS1_30default_config_static_selectorELNS0_4arch9wavefront6targetE1EEEvT1_
	.p2align	8
	.type	_ZN7rocprim17ROCPRIM_400000_NS6detail17trampoline_kernelINS0_14default_configENS1_20scan_config_selectorIiEEZZNS1_9scan_implILNS1_25lookback_scan_determinismE0ELb1ELb1ES3_N6thrust23THRUST_200600_302600_NS10device_ptrIiEESB_iNS9_4plusIvEEiEEDaPvRmT3_T4_T5_mT6_P12ihipStream_tbENKUlT_T0_E_clISt17integral_constantIbLb1EESQ_IbLb0EEEEDaSM_SN_EUlSM_E0_NS1_11comp_targetILNS1_3genE10ELNS1_11target_archE1200ELNS1_3gpuE4ELNS1_3repE0EEENS1_30default_config_static_selectorELNS0_4arch9wavefront6targetE1EEEvT1_,@function
_ZN7rocprim17ROCPRIM_400000_NS6detail17trampoline_kernelINS0_14default_configENS1_20scan_config_selectorIiEEZZNS1_9scan_implILNS1_25lookback_scan_determinismE0ELb1ELb1ES3_N6thrust23THRUST_200600_302600_NS10device_ptrIiEESB_iNS9_4plusIvEEiEEDaPvRmT3_T4_T5_mT6_P12ihipStream_tbENKUlT_T0_E_clISt17integral_constantIbLb1EESQ_IbLb0EEEEDaSM_SN_EUlSM_E0_NS1_11comp_targetILNS1_3genE10ELNS1_11target_archE1200ELNS1_3gpuE4ELNS1_3repE0EEENS1_30default_config_static_selectorELNS0_4arch9wavefront6targetE1EEEvT1_: ; @_ZN7rocprim17ROCPRIM_400000_NS6detail17trampoline_kernelINS0_14default_configENS1_20scan_config_selectorIiEEZZNS1_9scan_implILNS1_25lookback_scan_determinismE0ELb1ELb1ES3_N6thrust23THRUST_200600_302600_NS10device_ptrIiEESB_iNS9_4plusIvEEiEEDaPvRmT3_T4_T5_mT6_P12ihipStream_tbENKUlT_T0_E_clISt17integral_constantIbLb1EESQ_IbLb0EEEEDaSM_SN_EUlSM_E0_NS1_11comp_targetILNS1_3genE10ELNS1_11target_archE1200ELNS1_3gpuE4ELNS1_3repE0EEENS1_30default_config_static_selectorELNS0_4arch9wavefront6targetE1EEEvT1_
; %bb.0:
	.section	.rodata,"a",@progbits
	.p2align	6, 0x0
	.amdhsa_kernel _ZN7rocprim17ROCPRIM_400000_NS6detail17trampoline_kernelINS0_14default_configENS1_20scan_config_selectorIiEEZZNS1_9scan_implILNS1_25lookback_scan_determinismE0ELb1ELb1ES3_N6thrust23THRUST_200600_302600_NS10device_ptrIiEESB_iNS9_4plusIvEEiEEDaPvRmT3_T4_T5_mT6_P12ihipStream_tbENKUlT_T0_E_clISt17integral_constantIbLb1EESQ_IbLb0EEEEDaSM_SN_EUlSM_E0_NS1_11comp_targetILNS1_3genE10ELNS1_11target_archE1200ELNS1_3gpuE4ELNS1_3repE0EEENS1_30default_config_static_selectorELNS0_4arch9wavefront6targetE1EEEvT1_
		.amdhsa_group_segment_fixed_size 0
		.amdhsa_private_segment_fixed_size 0
		.amdhsa_kernarg_size 32
		.amdhsa_user_sgpr_count 6
		.amdhsa_user_sgpr_private_segment_buffer 1
		.amdhsa_user_sgpr_dispatch_ptr 0
		.amdhsa_user_sgpr_queue_ptr 0
		.amdhsa_user_sgpr_kernarg_segment_ptr 1
		.amdhsa_user_sgpr_dispatch_id 0
		.amdhsa_user_sgpr_flat_scratch_init 0
		.amdhsa_user_sgpr_kernarg_preload_length 0
		.amdhsa_user_sgpr_kernarg_preload_offset 0
		.amdhsa_user_sgpr_private_segment_size 0
		.amdhsa_uses_dynamic_stack 0
		.amdhsa_system_sgpr_private_segment_wavefront_offset 0
		.amdhsa_system_sgpr_workgroup_id_x 1
		.amdhsa_system_sgpr_workgroup_id_y 0
		.amdhsa_system_sgpr_workgroup_id_z 0
		.amdhsa_system_sgpr_workgroup_info 0
		.amdhsa_system_vgpr_workitem_id 0
		.amdhsa_next_free_vgpr 1
		.amdhsa_next_free_sgpr 0
		.amdhsa_accum_offset 4
		.amdhsa_reserve_vcc 0
		.amdhsa_reserve_flat_scratch 0
		.amdhsa_float_round_mode_32 0
		.amdhsa_float_round_mode_16_64 0
		.amdhsa_float_denorm_mode_32 3
		.amdhsa_float_denorm_mode_16_64 3
		.amdhsa_dx10_clamp 1
		.amdhsa_ieee_mode 1
		.amdhsa_fp16_overflow 0
		.amdhsa_tg_split 0
		.amdhsa_exception_fp_ieee_invalid_op 0
		.amdhsa_exception_fp_denorm_src 0
		.amdhsa_exception_fp_ieee_div_zero 0
		.amdhsa_exception_fp_ieee_overflow 0
		.amdhsa_exception_fp_ieee_underflow 0
		.amdhsa_exception_fp_ieee_inexact 0
		.amdhsa_exception_int_div_zero 0
	.end_amdhsa_kernel
	.section	.text._ZN7rocprim17ROCPRIM_400000_NS6detail17trampoline_kernelINS0_14default_configENS1_20scan_config_selectorIiEEZZNS1_9scan_implILNS1_25lookback_scan_determinismE0ELb1ELb1ES3_N6thrust23THRUST_200600_302600_NS10device_ptrIiEESB_iNS9_4plusIvEEiEEDaPvRmT3_T4_T5_mT6_P12ihipStream_tbENKUlT_T0_E_clISt17integral_constantIbLb1EESQ_IbLb0EEEEDaSM_SN_EUlSM_E0_NS1_11comp_targetILNS1_3genE10ELNS1_11target_archE1200ELNS1_3gpuE4ELNS1_3repE0EEENS1_30default_config_static_selectorELNS0_4arch9wavefront6targetE1EEEvT1_,"axG",@progbits,_ZN7rocprim17ROCPRIM_400000_NS6detail17trampoline_kernelINS0_14default_configENS1_20scan_config_selectorIiEEZZNS1_9scan_implILNS1_25lookback_scan_determinismE0ELb1ELb1ES3_N6thrust23THRUST_200600_302600_NS10device_ptrIiEESB_iNS9_4plusIvEEiEEDaPvRmT3_T4_T5_mT6_P12ihipStream_tbENKUlT_T0_E_clISt17integral_constantIbLb1EESQ_IbLb0EEEEDaSM_SN_EUlSM_E0_NS1_11comp_targetILNS1_3genE10ELNS1_11target_archE1200ELNS1_3gpuE4ELNS1_3repE0EEENS1_30default_config_static_selectorELNS0_4arch9wavefront6targetE1EEEvT1_,comdat
.Lfunc_end6873:
	.size	_ZN7rocprim17ROCPRIM_400000_NS6detail17trampoline_kernelINS0_14default_configENS1_20scan_config_selectorIiEEZZNS1_9scan_implILNS1_25lookback_scan_determinismE0ELb1ELb1ES3_N6thrust23THRUST_200600_302600_NS10device_ptrIiEESB_iNS9_4plusIvEEiEEDaPvRmT3_T4_T5_mT6_P12ihipStream_tbENKUlT_T0_E_clISt17integral_constantIbLb1EESQ_IbLb0EEEEDaSM_SN_EUlSM_E0_NS1_11comp_targetILNS1_3genE10ELNS1_11target_archE1200ELNS1_3gpuE4ELNS1_3repE0EEENS1_30default_config_static_selectorELNS0_4arch9wavefront6targetE1EEEvT1_, .Lfunc_end6873-_ZN7rocprim17ROCPRIM_400000_NS6detail17trampoline_kernelINS0_14default_configENS1_20scan_config_selectorIiEEZZNS1_9scan_implILNS1_25lookback_scan_determinismE0ELb1ELb1ES3_N6thrust23THRUST_200600_302600_NS10device_ptrIiEESB_iNS9_4plusIvEEiEEDaPvRmT3_T4_T5_mT6_P12ihipStream_tbENKUlT_T0_E_clISt17integral_constantIbLb1EESQ_IbLb0EEEEDaSM_SN_EUlSM_E0_NS1_11comp_targetILNS1_3genE10ELNS1_11target_archE1200ELNS1_3gpuE4ELNS1_3repE0EEENS1_30default_config_static_selectorELNS0_4arch9wavefront6targetE1EEEvT1_
                                        ; -- End function
	.section	.AMDGPU.csdata,"",@progbits
; Kernel info:
; codeLenInByte = 0
; NumSgprs: 4
; NumVgprs: 0
; NumAgprs: 0
; TotalNumVgprs: 0
; ScratchSize: 0
; MemoryBound: 0
; FloatMode: 240
; IeeeMode: 1
; LDSByteSize: 0 bytes/workgroup (compile time only)
; SGPRBlocks: 0
; VGPRBlocks: 0
; NumSGPRsForWavesPerEU: 4
; NumVGPRsForWavesPerEU: 1
; AccumOffset: 4
; Occupancy: 8
; WaveLimiterHint : 0
; COMPUTE_PGM_RSRC2:SCRATCH_EN: 0
; COMPUTE_PGM_RSRC2:USER_SGPR: 6
; COMPUTE_PGM_RSRC2:TRAP_HANDLER: 0
; COMPUTE_PGM_RSRC2:TGID_X_EN: 1
; COMPUTE_PGM_RSRC2:TGID_Y_EN: 0
; COMPUTE_PGM_RSRC2:TGID_Z_EN: 0
; COMPUTE_PGM_RSRC2:TIDIG_COMP_CNT: 0
; COMPUTE_PGM_RSRC3_GFX90A:ACCUM_OFFSET: 0
; COMPUTE_PGM_RSRC3_GFX90A:TG_SPLIT: 0
	.section	.text._ZN7rocprim17ROCPRIM_400000_NS6detail17trampoline_kernelINS0_14default_configENS1_20scan_config_selectorIiEEZZNS1_9scan_implILNS1_25lookback_scan_determinismE0ELb1ELb1ES3_N6thrust23THRUST_200600_302600_NS10device_ptrIiEESB_iNS9_4plusIvEEiEEDaPvRmT3_T4_T5_mT6_P12ihipStream_tbENKUlT_T0_E_clISt17integral_constantIbLb1EESQ_IbLb0EEEEDaSM_SN_EUlSM_E0_NS1_11comp_targetILNS1_3genE9ELNS1_11target_archE1100ELNS1_3gpuE3ELNS1_3repE0EEENS1_30default_config_static_selectorELNS0_4arch9wavefront6targetE1EEEvT1_,"axG",@progbits,_ZN7rocprim17ROCPRIM_400000_NS6detail17trampoline_kernelINS0_14default_configENS1_20scan_config_selectorIiEEZZNS1_9scan_implILNS1_25lookback_scan_determinismE0ELb1ELb1ES3_N6thrust23THRUST_200600_302600_NS10device_ptrIiEESB_iNS9_4plusIvEEiEEDaPvRmT3_T4_T5_mT6_P12ihipStream_tbENKUlT_T0_E_clISt17integral_constantIbLb1EESQ_IbLb0EEEEDaSM_SN_EUlSM_E0_NS1_11comp_targetILNS1_3genE9ELNS1_11target_archE1100ELNS1_3gpuE3ELNS1_3repE0EEENS1_30default_config_static_selectorELNS0_4arch9wavefront6targetE1EEEvT1_,comdat
	.protected	_ZN7rocprim17ROCPRIM_400000_NS6detail17trampoline_kernelINS0_14default_configENS1_20scan_config_selectorIiEEZZNS1_9scan_implILNS1_25lookback_scan_determinismE0ELb1ELb1ES3_N6thrust23THRUST_200600_302600_NS10device_ptrIiEESB_iNS9_4plusIvEEiEEDaPvRmT3_T4_T5_mT6_P12ihipStream_tbENKUlT_T0_E_clISt17integral_constantIbLb1EESQ_IbLb0EEEEDaSM_SN_EUlSM_E0_NS1_11comp_targetILNS1_3genE9ELNS1_11target_archE1100ELNS1_3gpuE3ELNS1_3repE0EEENS1_30default_config_static_selectorELNS0_4arch9wavefront6targetE1EEEvT1_ ; -- Begin function _ZN7rocprim17ROCPRIM_400000_NS6detail17trampoline_kernelINS0_14default_configENS1_20scan_config_selectorIiEEZZNS1_9scan_implILNS1_25lookback_scan_determinismE0ELb1ELb1ES3_N6thrust23THRUST_200600_302600_NS10device_ptrIiEESB_iNS9_4plusIvEEiEEDaPvRmT3_T4_T5_mT6_P12ihipStream_tbENKUlT_T0_E_clISt17integral_constantIbLb1EESQ_IbLb0EEEEDaSM_SN_EUlSM_E0_NS1_11comp_targetILNS1_3genE9ELNS1_11target_archE1100ELNS1_3gpuE3ELNS1_3repE0EEENS1_30default_config_static_selectorELNS0_4arch9wavefront6targetE1EEEvT1_
	.globl	_ZN7rocprim17ROCPRIM_400000_NS6detail17trampoline_kernelINS0_14default_configENS1_20scan_config_selectorIiEEZZNS1_9scan_implILNS1_25lookback_scan_determinismE0ELb1ELb1ES3_N6thrust23THRUST_200600_302600_NS10device_ptrIiEESB_iNS9_4plusIvEEiEEDaPvRmT3_T4_T5_mT6_P12ihipStream_tbENKUlT_T0_E_clISt17integral_constantIbLb1EESQ_IbLb0EEEEDaSM_SN_EUlSM_E0_NS1_11comp_targetILNS1_3genE9ELNS1_11target_archE1100ELNS1_3gpuE3ELNS1_3repE0EEENS1_30default_config_static_selectorELNS0_4arch9wavefront6targetE1EEEvT1_
	.p2align	8
	.type	_ZN7rocprim17ROCPRIM_400000_NS6detail17trampoline_kernelINS0_14default_configENS1_20scan_config_selectorIiEEZZNS1_9scan_implILNS1_25lookback_scan_determinismE0ELb1ELb1ES3_N6thrust23THRUST_200600_302600_NS10device_ptrIiEESB_iNS9_4plusIvEEiEEDaPvRmT3_T4_T5_mT6_P12ihipStream_tbENKUlT_T0_E_clISt17integral_constantIbLb1EESQ_IbLb0EEEEDaSM_SN_EUlSM_E0_NS1_11comp_targetILNS1_3genE9ELNS1_11target_archE1100ELNS1_3gpuE3ELNS1_3repE0EEENS1_30default_config_static_selectorELNS0_4arch9wavefront6targetE1EEEvT1_,@function
_ZN7rocprim17ROCPRIM_400000_NS6detail17trampoline_kernelINS0_14default_configENS1_20scan_config_selectorIiEEZZNS1_9scan_implILNS1_25lookback_scan_determinismE0ELb1ELb1ES3_N6thrust23THRUST_200600_302600_NS10device_ptrIiEESB_iNS9_4plusIvEEiEEDaPvRmT3_T4_T5_mT6_P12ihipStream_tbENKUlT_T0_E_clISt17integral_constantIbLb1EESQ_IbLb0EEEEDaSM_SN_EUlSM_E0_NS1_11comp_targetILNS1_3genE9ELNS1_11target_archE1100ELNS1_3gpuE3ELNS1_3repE0EEENS1_30default_config_static_selectorELNS0_4arch9wavefront6targetE1EEEvT1_: ; @_ZN7rocprim17ROCPRIM_400000_NS6detail17trampoline_kernelINS0_14default_configENS1_20scan_config_selectorIiEEZZNS1_9scan_implILNS1_25lookback_scan_determinismE0ELb1ELb1ES3_N6thrust23THRUST_200600_302600_NS10device_ptrIiEESB_iNS9_4plusIvEEiEEDaPvRmT3_T4_T5_mT6_P12ihipStream_tbENKUlT_T0_E_clISt17integral_constantIbLb1EESQ_IbLb0EEEEDaSM_SN_EUlSM_E0_NS1_11comp_targetILNS1_3genE9ELNS1_11target_archE1100ELNS1_3gpuE3ELNS1_3repE0EEENS1_30default_config_static_selectorELNS0_4arch9wavefront6targetE1EEEvT1_
; %bb.0:
	.section	.rodata,"a",@progbits
	.p2align	6, 0x0
	.amdhsa_kernel _ZN7rocprim17ROCPRIM_400000_NS6detail17trampoline_kernelINS0_14default_configENS1_20scan_config_selectorIiEEZZNS1_9scan_implILNS1_25lookback_scan_determinismE0ELb1ELb1ES3_N6thrust23THRUST_200600_302600_NS10device_ptrIiEESB_iNS9_4plusIvEEiEEDaPvRmT3_T4_T5_mT6_P12ihipStream_tbENKUlT_T0_E_clISt17integral_constantIbLb1EESQ_IbLb0EEEEDaSM_SN_EUlSM_E0_NS1_11comp_targetILNS1_3genE9ELNS1_11target_archE1100ELNS1_3gpuE3ELNS1_3repE0EEENS1_30default_config_static_selectorELNS0_4arch9wavefront6targetE1EEEvT1_
		.amdhsa_group_segment_fixed_size 0
		.amdhsa_private_segment_fixed_size 0
		.amdhsa_kernarg_size 32
		.amdhsa_user_sgpr_count 6
		.amdhsa_user_sgpr_private_segment_buffer 1
		.amdhsa_user_sgpr_dispatch_ptr 0
		.amdhsa_user_sgpr_queue_ptr 0
		.amdhsa_user_sgpr_kernarg_segment_ptr 1
		.amdhsa_user_sgpr_dispatch_id 0
		.amdhsa_user_sgpr_flat_scratch_init 0
		.amdhsa_user_sgpr_kernarg_preload_length 0
		.amdhsa_user_sgpr_kernarg_preload_offset 0
		.amdhsa_user_sgpr_private_segment_size 0
		.amdhsa_uses_dynamic_stack 0
		.amdhsa_system_sgpr_private_segment_wavefront_offset 0
		.amdhsa_system_sgpr_workgroup_id_x 1
		.amdhsa_system_sgpr_workgroup_id_y 0
		.amdhsa_system_sgpr_workgroup_id_z 0
		.amdhsa_system_sgpr_workgroup_info 0
		.amdhsa_system_vgpr_workitem_id 0
		.amdhsa_next_free_vgpr 1
		.amdhsa_next_free_sgpr 0
		.amdhsa_accum_offset 4
		.amdhsa_reserve_vcc 0
		.amdhsa_reserve_flat_scratch 0
		.amdhsa_float_round_mode_32 0
		.amdhsa_float_round_mode_16_64 0
		.amdhsa_float_denorm_mode_32 3
		.amdhsa_float_denorm_mode_16_64 3
		.amdhsa_dx10_clamp 1
		.amdhsa_ieee_mode 1
		.amdhsa_fp16_overflow 0
		.amdhsa_tg_split 0
		.amdhsa_exception_fp_ieee_invalid_op 0
		.amdhsa_exception_fp_denorm_src 0
		.amdhsa_exception_fp_ieee_div_zero 0
		.amdhsa_exception_fp_ieee_overflow 0
		.amdhsa_exception_fp_ieee_underflow 0
		.amdhsa_exception_fp_ieee_inexact 0
		.amdhsa_exception_int_div_zero 0
	.end_amdhsa_kernel
	.section	.text._ZN7rocprim17ROCPRIM_400000_NS6detail17trampoline_kernelINS0_14default_configENS1_20scan_config_selectorIiEEZZNS1_9scan_implILNS1_25lookback_scan_determinismE0ELb1ELb1ES3_N6thrust23THRUST_200600_302600_NS10device_ptrIiEESB_iNS9_4plusIvEEiEEDaPvRmT3_T4_T5_mT6_P12ihipStream_tbENKUlT_T0_E_clISt17integral_constantIbLb1EESQ_IbLb0EEEEDaSM_SN_EUlSM_E0_NS1_11comp_targetILNS1_3genE9ELNS1_11target_archE1100ELNS1_3gpuE3ELNS1_3repE0EEENS1_30default_config_static_selectorELNS0_4arch9wavefront6targetE1EEEvT1_,"axG",@progbits,_ZN7rocprim17ROCPRIM_400000_NS6detail17trampoline_kernelINS0_14default_configENS1_20scan_config_selectorIiEEZZNS1_9scan_implILNS1_25lookback_scan_determinismE0ELb1ELb1ES3_N6thrust23THRUST_200600_302600_NS10device_ptrIiEESB_iNS9_4plusIvEEiEEDaPvRmT3_T4_T5_mT6_P12ihipStream_tbENKUlT_T0_E_clISt17integral_constantIbLb1EESQ_IbLb0EEEEDaSM_SN_EUlSM_E0_NS1_11comp_targetILNS1_3genE9ELNS1_11target_archE1100ELNS1_3gpuE3ELNS1_3repE0EEENS1_30default_config_static_selectorELNS0_4arch9wavefront6targetE1EEEvT1_,comdat
.Lfunc_end6874:
	.size	_ZN7rocprim17ROCPRIM_400000_NS6detail17trampoline_kernelINS0_14default_configENS1_20scan_config_selectorIiEEZZNS1_9scan_implILNS1_25lookback_scan_determinismE0ELb1ELb1ES3_N6thrust23THRUST_200600_302600_NS10device_ptrIiEESB_iNS9_4plusIvEEiEEDaPvRmT3_T4_T5_mT6_P12ihipStream_tbENKUlT_T0_E_clISt17integral_constantIbLb1EESQ_IbLb0EEEEDaSM_SN_EUlSM_E0_NS1_11comp_targetILNS1_3genE9ELNS1_11target_archE1100ELNS1_3gpuE3ELNS1_3repE0EEENS1_30default_config_static_selectorELNS0_4arch9wavefront6targetE1EEEvT1_, .Lfunc_end6874-_ZN7rocprim17ROCPRIM_400000_NS6detail17trampoline_kernelINS0_14default_configENS1_20scan_config_selectorIiEEZZNS1_9scan_implILNS1_25lookback_scan_determinismE0ELb1ELb1ES3_N6thrust23THRUST_200600_302600_NS10device_ptrIiEESB_iNS9_4plusIvEEiEEDaPvRmT3_T4_T5_mT6_P12ihipStream_tbENKUlT_T0_E_clISt17integral_constantIbLb1EESQ_IbLb0EEEEDaSM_SN_EUlSM_E0_NS1_11comp_targetILNS1_3genE9ELNS1_11target_archE1100ELNS1_3gpuE3ELNS1_3repE0EEENS1_30default_config_static_selectorELNS0_4arch9wavefront6targetE1EEEvT1_
                                        ; -- End function
	.section	.AMDGPU.csdata,"",@progbits
; Kernel info:
; codeLenInByte = 0
; NumSgprs: 4
; NumVgprs: 0
; NumAgprs: 0
; TotalNumVgprs: 0
; ScratchSize: 0
; MemoryBound: 0
; FloatMode: 240
; IeeeMode: 1
; LDSByteSize: 0 bytes/workgroup (compile time only)
; SGPRBlocks: 0
; VGPRBlocks: 0
; NumSGPRsForWavesPerEU: 4
; NumVGPRsForWavesPerEU: 1
; AccumOffset: 4
; Occupancy: 8
; WaveLimiterHint : 0
; COMPUTE_PGM_RSRC2:SCRATCH_EN: 0
; COMPUTE_PGM_RSRC2:USER_SGPR: 6
; COMPUTE_PGM_RSRC2:TRAP_HANDLER: 0
; COMPUTE_PGM_RSRC2:TGID_X_EN: 1
; COMPUTE_PGM_RSRC2:TGID_Y_EN: 0
; COMPUTE_PGM_RSRC2:TGID_Z_EN: 0
; COMPUTE_PGM_RSRC2:TIDIG_COMP_CNT: 0
; COMPUTE_PGM_RSRC3_GFX90A:ACCUM_OFFSET: 0
; COMPUTE_PGM_RSRC3_GFX90A:TG_SPLIT: 0
	.section	.text._ZN7rocprim17ROCPRIM_400000_NS6detail17trampoline_kernelINS0_14default_configENS1_20scan_config_selectorIiEEZZNS1_9scan_implILNS1_25lookback_scan_determinismE0ELb1ELb1ES3_N6thrust23THRUST_200600_302600_NS10device_ptrIiEESB_iNS9_4plusIvEEiEEDaPvRmT3_T4_T5_mT6_P12ihipStream_tbENKUlT_T0_E_clISt17integral_constantIbLb1EESQ_IbLb0EEEEDaSM_SN_EUlSM_E0_NS1_11comp_targetILNS1_3genE8ELNS1_11target_archE1030ELNS1_3gpuE2ELNS1_3repE0EEENS1_30default_config_static_selectorELNS0_4arch9wavefront6targetE1EEEvT1_,"axG",@progbits,_ZN7rocprim17ROCPRIM_400000_NS6detail17trampoline_kernelINS0_14default_configENS1_20scan_config_selectorIiEEZZNS1_9scan_implILNS1_25lookback_scan_determinismE0ELb1ELb1ES3_N6thrust23THRUST_200600_302600_NS10device_ptrIiEESB_iNS9_4plusIvEEiEEDaPvRmT3_T4_T5_mT6_P12ihipStream_tbENKUlT_T0_E_clISt17integral_constantIbLb1EESQ_IbLb0EEEEDaSM_SN_EUlSM_E0_NS1_11comp_targetILNS1_3genE8ELNS1_11target_archE1030ELNS1_3gpuE2ELNS1_3repE0EEENS1_30default_config_static_selectorELNS0_4arch9wavefront6targetE1EEEvT1_,comdat
	.protected	_ZN7rocprim17ROCPRIM_400000_NS6detail17trampoline_kernelINS0_14default_configENS1_20scan_config_selectorIiEEZZNS1_9scan_implILNS1_25lookback_scan_determinismE0ELb1ELb1ES3_N6thrust23THRUST_200600_302600_NS10device_ptrIiEESB_iNS9_4plusIvEEiEEDaPvRmT3_T4_T5_mT6_P12ihipStream_tbENKUlT_T0_E_clISt17integral_constantIbLb1EESQ_IbLb0EEEEDaSM_SN_EUlSM_E0_NS1_11comp_targetILNS1_3genE8ELNS1_11target_archE1030ELNS1_3gpuE2ELNS1_3repE0EEENS1_30default_config_static_selectorELNS0_4arch9wavefront6targetE1EEEvT1_ ; -- Begin function _ZN7rocprim17ROCPRIM_400000_NS6detail17trampoline_kernelINS0_14default_configENS1_20scan_config_selectorIiEEZZNS1_9scan_implILNS1_25lookback_scan_determinismE0ELb1ELb1ES3_N6thrust23THRUST_200600_302600_NS10device_ptrIiEESB_iNS9_4plusIvEEiEEDaPvRmT3_T4_T5_mT6_P12ihipStream_tbENKUlT_T0_E_clISt17integral_constantIbLb1EESQ_IbLb0EEEEDaSM_SN_EUlSM_E0_NS1_11comp_targetILNS1_3genE8ELNS1_11target_archE1030ELNS1_3gpuE2ELNS1_3repE0EEENS1_30default_config_static_selectorELNS0_4arch9wavefront6targetE1EEEvT1_
	.globl	_ZN7rocprim17ROCPRIM_400000_NS6detail17trampoline_kernelINS0_14default_configENS1_20scan_config_selectorIiEEZZNS1_9scan_implILNS1_25lookback_scan_determinismE0ELb1ELb1ES3_N6thrust23THRUST_200600_302600_NS10device_ptrIiEESB_iNS9_4plusIvEEiEEDaPvRmT3_T4_T5_mT6_P12ihipStream_tbENKUlT_T0_E_clISt17integral_constantIbLb1EESQ_IbLb0EEEEDaSM_SN_EUlSM_E0_NS1_11comp_targetILNS1_3genE8ELNS1_11target_archE1030ELNS1_3gpuE2ELNS1_3repE0EEENS1_30default_config_static_selectorELNS0_4arch9wavefront6targetE1EEEvT1_
	.p2align	8
	.type	_ZN7rocprim17ROCPRIM_400000_NS6detail17trampoline_kernelINS0_14default_configENS1_20scan_config_selectorIiEEZZNS1_9scan_implILNS1_25lookback_scan_determinismE0ELb1ELb1ES3_N6thrust23THRUST_200600_302600_NS10device_ptrIiEESB_iNS9_4plusIvEEiEEDaPvRmT3_T4_T5_mT6_P12ihipStream_tbENKUlT_T0_E_clISt17integral_constantIbLb1EESQ_IbLb0EEEEDaSM_SN_EUlSM_E0_NS1_11comp_targetILNS1_3genE8ELNS1_11target_archE1030ELNS1_3gpuE2ELNS1_3repE0EEENS1_30default_config_static_selectorELNS0_4arch9wavefront6targetE1EEEvT1_,@function
_ZN7rocprim17ROCPRIM_400000_NS6detail17trampoline_kernelINS0_14default_configENS1_20scan_config_selectorIiEEZZNS1_9scan_implILNS1_25lookback_scan_determinismE0ELb1ELb1ES3_N6thrust23THRUST_200600_302600_NS10device_ptrIiEESB_iNS9_4plusIvEEiEEDaPvRmT3_T4_T5_mT6_P12ihipStream_tbENKUlT_T0_E_clISt17integral_constantIbLb1EESQ_IbLb0EEEEDaSM_SN_EUlSM_E0_NS1_11comp_targetILNS1_3genE8ELNS1_11target_archE1030ELNS1_3gpuE2ELNS1_3repE0EEENS1_30default_config_static_selectorELNS0_4arch9wavefront6targetE1EEEvT1_: ; @_ZN7rocprim17ROCPRIM_400000_NS6detail17trampoline_kernelINS0_14default_configENS1_20scan_config_selectorIiEEZZNS1_9scan_implILNS1_25lookback_scan_determinismE0ELb1ELb1ES3_N6thrust23THRUST_200600_302600_NS10device_ptrIiEESB_iNS9_4plusIvEEiEEDaPvRmT3_T4_T5_mT6_P12ihipStream_tbENKUlT_T0_E_clISt17integral_constantIbLb1EESQ_IbLb0EEEEDaSM_SN_EUlSM_E0_NS1_11comp_targetILNS1_3genE8ELNS1_11target_archE1030ELNS1_3gpuE2ELNS1_3repE0EEENS1_30default_config_static_selectorELNS0_4arch9wavefront6targetE1EEEvT1_
; %bb.0:
	.section	.rodata,"a",@progbits
	.p2align	6, 0x0
	.amdhsa_kernel _ZN7rocprim17ROCPRIM_400000_NS6detail17trampoline_kernelINS0_14default_configENS1_20scan_config_selectorIiEEZZNS1_9scan_implILNS1_25lookback_scan_determinismE0ELb1ELb1ES3_N6thrust23THRUST_200600_302600_NS10device_ptrIiEESB_iNS9_4plusIvEEiEEDaPvRmT3_T4_T5_mT6_P12ihipStream_tbENKUlT_T0_E_clISt17integral_constantIbLb1EESQ_IbLb0EEEEDaSM_SN_EUlSM_E0_NS1_11comp_targetILNS1_3genE8ELNS1_11target_archE1030ELNS1_3gpuE2ELNS1_3repE0EEENS1_30default_config_static_selectorELNS0_4arch9wavefront6targetE1EEEvT1_
		.amdhsa_group_segment_fixed_size 0
		.amdhsa_private_segment_fixed_size 0
		.amdhsa_kernarg_size 32
		.amdhsa_user_sgpr_count 6
		.amdhsa_user_sgpr_private_segment_buffer 1
		.amdhsa_user_sgpr_dispatch_ptr 0
		.amdhsa_user_sgpr_queue_ptr 0
		.amdhsa_user_sgpr_kernarg_segment_ptr 1
		.amdhsa_user_sgpr_dispatch_id 0
		.amdhsa_user_sgpr_flat_scratch_init 0
		.amdhsa_user_sgpr_kernarg_preload_length 0
		.amdhsa_user_sgpr_kernarg_preload_offset 0
		.amdhsa_user_sgpr_private_segment_size 0
		.amdhsa_uses_dynamic_stack 0
		.amdhsa_system_sgpr_private_segment_wavefront_offset 0
		.amdhsa_system_sgpr_workgroup_id_x 1
		.amdhsa_system_sgpr_workgroup_id_y 0
		.amdhsa_system_sgpr_workgroup_id_z 0
		.amdhsa_system_sgpr_workgroup_info 0
		.amdhsa_system_vgpr_workitem_id 0
		.amdhsa_next_free_vgpr 1
		.amdhsa_next_free_sgpr 0
		.amdhsa_accum_offset 4
		.amdhsa_reserve_vcc 0
		.amdhsa_reserve_flat_scratch 0
		.amdhsa_float_round_mode_32 0
		.amdhsa_float_round_mode_16_64 0
		.amdhsa_float_denorm_mode_32 3
		.amdhsa_float_denorm_mode_16_64 3
		.amdhsa_dx10_clamp 1
		.amdhsa_ieee_mode 1
		.amdhsa_fp16_overflow 0
		.amdhsa_tg_split 0
		.amdhsa_exception_fp_ieee_invalid_op 0
		.amdhsa_exception_fp_denorm_src 0
		.amdhsa_exception_fp_ieee_div_zero 0
		.amdhsa_exception_fp_ieee_overflow 0
		.amdhsa_exception_fp_ieee_underflow 0
		.amdhsa_exception_fp_ieee_inexact 0
		.amdhsa_exception_int_div_zero 0
	.end_amdhsa_kernel
	.section	.text._ZN7rocprim17ROCPRIM_400000_NS6detail17trampoline_kernelINS0_14default_configENS1_20scan_config_selectorIiEEZZNS1_9scan_implILNS1_25lookback_scan_determinismE0ELb1ELb1ES3_N6thrust23THRUST_200600_302600_NS10device_ptrIiEESB_iNS9_4plusIvEEiEEDaPvRmT3_T4_T5_mT6_P12ihipStream_tbENKUlT_T0_E_clISt17integral_constantIbLb1EESQ_IbLb0EEEEDaSM_SN_EUlSM_E0_NS1_11comp_targetILNS1_3genE8ELNS1_11target_archE1030ELNS1_3gpuE2ELNS1_3repE0EEENS1_30default_config_static_selectorELNS0_4arch9wavefront6targetE1EEEvT1_,"axG",@progbits,_ZN7rocprim17ROCPRIM_400000_NS6detail17trampoline_kernelINS0_14default_configENS1_20scan_config_selectorIiEEZZNS1_9scan_implILNS1_25lookback_scan_determinismE0ELb1ELb1ES3_N6thrust23THRUST_200600_302600_NS10device_ptrIiEESB_iNS9_4plusIvEEiEEDaPvRmT3_T4_T5_mT6_P12ihipStream_tbENKUlT_T0_E_clISt17integral_constantIbLb1EESQ_IbLb0EEEEDaSM_SN_EUlSM_E0_NS1_11comp_targetILNS1_3genE8ELNS1_11target_archE1030ELNS1_3gpuE2ELNS1_3repE0EEENS1_30default_config_static_selectorELNS0_4arch9wavefront6targetE1EEEvT1_,comdat
.Lfunc_end6875:
	.size	_ZN7rocprim17ROCPRIM_400000_NS6detail17trampoline_kernelINS0_14default_configENS1_20scan_config_selectorIiEEZZNS1_9scan_implILNS1_25lookback_scan_determinismE0ELb1ELb1ES3_N6thrust23THRUST_200600_302600_NS10device_ptrIiEESB_iNS9_4plusIvEEiEEDaPvRmT3_T4_T5_mT6_P12ihipStream_tbENKUlT_T0_E_clISt17integral_constantIbLb1EESQ_IbLb0EEEEDaSM_SN_EUlSM_E0_NS1_11comp_targetILNS1_3genE8ELNS1_11target_archE1030ELNS1_3gpuE2ELNS1_3repE0EEENS1_30default_config_static_selectorELNS0_4arch9wavefront6targetE1EEEvT1_, .Lfunc_end6875-_ZN7rocprim17ROCPRIM_400000_NS6detail17trampoline_kernelINS0_14default_configENS1_20scan_config_selectorIiEEZZNS1_9scan_implILNS1_25lookback_scan_determinismE0ELb1ELb1ES3_N6thrust23THRUST_200600_302600_NS10device_ptrIiEESB_iNS9_4plusIvEEiEEDaPvRmT3_T4_T5_mT6_P12ihipStream_tbENKUlT_T0_E_clISt17integral_constantIbLb1EESQ_IbLb0EEEEDaSM_SN_EUlSM_E0_NS1_11comp_targetILNS1_3genE8ELNS1_11target_archE1030ELNS1_3gpuE2ELNS1_3repE0EEENS1_30default_config_static_selectorELNS0_4arch9wavefront6targetE1EEEvT1_
                                        ; -- End function
	.section	.AMDGPU.csdata,"",@progbits
; Kernel info:
; codeLenInByte = 0
; NumSgprs: 4
; NumVgprs: 0
; NumAgprs: 0
; TotalNumVgprs: 0
; ScratchSize: 0
; MemoryBound: 0
; FloatMode: 240
; IeeeMode: 1
; LDSByteSize: 0 bytes/workgroup (compile time only)
; SGPRBlocks: 0
; VGPRBlocks: 0
; NumSGPRsForWavesPerEU: 4
; NumVGPRsForWavesPerEU: 1
; AccumOffset: 4
; Occupancy: 8
; WaveLimiterHint : 0
; COMPUTE_PGM_RSRC2:SCRATCH_EN: 0
; COMPUTE_PGM_RSRC2:USER_SGPR: 6
; COMPUTE_PGM_RSRC2:TRAP_HANDLER: 0
; COMPUTE_PGM_RSRC2:TGID_X_EN: 1
; COMPUTE_PGM_RSRC2:TGID_Y_EN: 0
; COMPUTE_PGM_RSRC2:TGID_Z_EN: 0
; COMPUTE_PGM_RSRC2:TIDIG_COMP_CNT: 0
; COMPUTE_PGM_RSRC3_GFX90A:ACCUM_OFFSET: 0
; COMPUTE_PGM_RSRC3_GFX90A:TG_SPLIT: 0
	.section	.text._ZN7rocprim17ROCPRIM_400000_NS6detail17trampoline_kernelINS0_14default_configENS1_20scan_config_selectorIiEEZZNS1_9scan_implILNS1_25lookback_scan_determinismE0ELb1ELb1ES3_N6thrust23THRUST_200600_302600_NS10device_ptrIiEESB_iNS9_4plusIvEEiEEDaPvRmT3_T4_T5_mT6_P12ihipStream_tbENKUlT_T0_E_clISt17integral_constantIbLb0EESQ_IbLb1EEEEDaSM_SN_EUlSM_E_NS1_11comp_targetILNS1_3genE0ELNS1_11target_archE4294967295ELNS1_3gpuE0ELNS1_3repE0EEENS1_30default_config_static_selectorELNS0_4arch9wavefront6targetE1EEEvT1_,"axG",@progbits,_ZN7rocprim17ROCPRIM_400000_NS6detail17trampoline_kernelINS0_14default_configENS1_20scan_config_selectorIiEEZZNS1_9scan_implILNS1_25lookback_scan_determinismE0ELb1ELb1ES3_N6thrust23THRUST_200600_302600_NS10device_ptrIiEESB_iNS9_4plusIvEEiEEDaPvRmT3_T4_T5_mT6_P12ihipStream_tbENKUlT_T0_E_clISt17integral_constantIbLb0EESQ_IbLb1EEEEDaSM_SN_EUlSM_E_NS1_11comp_targetILNS1_3genE0ELNS1_11target_archE4294967295ELNS1_3gpuE0ELNS1_3repE0EEENS1_30default_config_static_selectorELNS0_4arch9wavefront6targetE1EEEvT1_,comdat
	.protected	_ZN7rocprim17ROCPRIM_400000_NS6detail17trampoline_kernelINS0_14default_configENS1_20scan_config_selectorIiEEZZNS1_9scan_implILNS1_25lookback_scan_determinismE0ELb1ELb1ES3_N6thrust23THRUST_200600_302600_NS10device_ptrIiEESB_iNS9_4plusIvEEiEEDaPvRmT3_T4_T5_mT6_P12ihipStream_tbENKUlT_T0_E_clISt17integral_constantIbLb0EESQ_IbLb1EEEEDaSM_SN_EUlSM_E_NS1_11comp_targetILNS1_3genE0ELNS1_11target_archE4294967295ELNS1_3gpuE0ELNS1_3repE0EEENS1_30default_config_static_selectorELNS0_4arch9wavefront6targetE1EEEvT1_ ; -- Begin function _ZN7rocprim17ROCPRIM_400000_NS6detail17trampoline_kernelINS0_14default_configENS1_20scan_config_selectorIiEEZZNS1_9scan_implILNS1_25lookback_scan_determinismE0ELb1ELb1ES3_N6thrust23THRUST_200600_302600_NS10device_ptrIiEESB_iNS9_4plusIvEEiEEDaPvRmT3_T4_T5_mT6_P12ihipStream_tbENKUlT_T0_E_clISt17integral_constantIbLb0EESQ_IbLb1EEEEDaSM_SN_EUlSM_E_NS1_11comp_targetILNS1_3genE0ELNS1_11target_archE4294967295ELNS1_3gpuE0ELNS1_3repE0EEENS1_30default_config_static_selectorELNS0_4arch9wavefront6targetE1EEEvT1_
	.globl	_ZN7rocprim17ROCPRIM_400000_NS6detail17trampoline_kernelINS0_14default_configENS1_20scan_config_selectorIiEEZZNS1_9scan_implILNS1_25lookback_scan_determinismE0ELb1ELb1ES3_N6thrust23THRUST_200600_302600_NS10device_ptrIiEESB_iNS9_4plusIvEEiEEDaPvRmT3_T4_T5_mT6_P12ihipStream_tbENKUlT_T0_E_clISt17integral_constantIbLb0EESQ_IbLb1EEEEDaSM_SN_EUlSM_E_NS1_11comp_targetILNS1_3genE0ELNS1_11target_archE4294967295ELNS1_3gpuE0ELNS1_3repE0EEENS1_30default_config_static_selectorELNS0_4arch9wavefront6targetE1EEEvT1_
	.p2align	8
	.type	_ZN7rocprim17ROCPRIM_400000_NS6detail17trampoline_kernelINS0_14default_configENS1_20scan_config_selectorIiEEZZNS1_9scan_implILNS1_25lookback_scan_determinismE0ELb1ELb1ES3_N6thrust23THRUST_200600_302600_NS10device_ptrIiEESB_iNS9_4plusIvEEiEEDaPvRmT3_T4_T5_mT6_P12ihipStream_tbENKUlT_T0_E_clISt17integral_constantIbLb0EESQ_IbLb1EEEEDaSM_SN_EUlSM_E_NS1_11comp_targetILNS1_3genE0ELNS1_11target_archE4294967295ELNS1_3gpuE0ELNS1_3repE0EEENS1_30default_config_static_selectorELNS0_4arch9wavefront6targetE1EEEvT1_,@function
_ZN7rocprim17ROCPRIM_400000_NS6detail17trampoline_kernelINS0_14default_configENS1_20scan_config_selectorIiEEZZNS1_9scan_implILNS1_25lookback_scan_determinismE0ELb1ELb1ES3_N6thrust23THRUST_200600_302600_NS10device_ptrIiEESB_iNS9_4plusIvEEiEEDaPvRmT3_T4_T5_mT6_P12ihipStream_tbENKUlT_T0_E_clISt17integral_constantIbLb0EESQ_IbLb1EEEEDaSM_SN_EUlSM_E_NS1_11comp_targetILNS1_3genE0ELNS1_11target_archE4294967295ELNS1_3gpuE0ELNS1_3repE0EEENS1_30default_config_static_selectorELNS0_4arch9wavefront6targetE1EEEvT1_: ; @_ZN7rocprim17ROCPRIM_400000_NS6detail17trampoline_kernelINS0_14default_configENS1_20scan_config_selectorIiEEZZNS1_9scan_implILNS1_25lookback_scan_determinismE0ELb1ELb1ES3_N6thrust23THRUST_200600_302600_NS10device_ptrIiEESB_iNS9_4plusIvEEiEEDaPvRmT3_T4_T5_mT6_P12ihipStream_tbENKUlT_T0_E_clISt17integral_constantIbLb0EESQ_IbLb1EEEEDaSM_SN_EUlSM_E_NS1_11comp_targetILNS1_3genE0ELNS1_11target_archE4294967295ELNS1_3gpuE0ELNS1_3repE0EEENS1_30default_config_static_selectorELNS0_4arch9wavefront6targetE1EEEvT1_
; %bb.0:
	.section	.rodata,"a",@progbits
	.p2align	6, 0x0
	.amdhsa_kernel _ZN7rocprim17ROCPRIM_400000_NS6detail17trampoline_kernelINS0_14default_configENS1_20scan_config_selectorIiEEZZNS1_9scan_implILNS1_25lookback_scan_determinismE0ELb1ELb1ES3_N6thrust23THRUST_200600_302600_NS10device_ptrIiEESB_iNS9_4plusIvEEiEEDaPvRmT3_T4_T5_mT6_P12ihipStream_tbENKUlT_T0_E_clISt17integral_constantIbLb0EESQ_IbLb1EEEEDaSM_SN_EUlSM_E_NS1_11comp_targetILNS1_3genE0ELNS1_11target_archE4294967295ELNS1_3gpuE0ELNS1_3repE0EEENS1_30default_config_static_selectorELNS0_4arch9wavefront6targetE1EEEvT1_
		.amdhsa_group_segment_fixed_size 0
		.amdhsa_private_segment_fixed_size 0
		.amdhsa_kernarg_size 96
		.amdhsa_user_sgpr_count 6
		.amdhsa_user_sgpr_private_segment_buffer 1
		.amdhsa_user_sgpr_dispatch_ptr 0
		.amdhsa_user_sgpr_queue_ptr 0
		.amdhsa_user_sgpr_kernarg_segment_ptr 1
		.amdhsa_user_sgpr_dispatch_id 0
		.amdhsa_user_sgpr_flat_scratch_init 0
		.amdhsa_user_sgpr_kernarg_preload_length 0
		.amdhsa_user_sgpr_kernarg_preload_offset 0
		.amdhsa_user_sgpr_private_segment_size 0
		.amdhsa_uses_dynamic_stack 0
		.amdhsa_system_sgpr_private_segment_wavefront_offset 0
		.amdhsa_system_sgpr_workgroup_id_x 1
		.amdhsa_system_sgpr_workgroup_id_y 0
		.amdhsa_system_sgpr_workgroup_id_z 0
		.amdhsa_system_sgpr_workgroup_info 0
		.amdhsa_system_vgpr_workitem_id 0
		.amdhsa_next_free_vgpr 1
		.amdhsa_next_free_sgpr 0
		.amdhsa_accum_offset 4
		.amdhsa_reserve_vcc 0
		.amdhsa_reserve_flat_scratch 0
		.amdhsa_float_round_mode_32 0
		.amdhsa_float_round_mode_16_64 0
		.amdhsa_float_denorm_mode_32 3
		.amdhsa_float_denorm_mode_16_64 3
		.amdhsa_dx10_clamp 1
		.amdhsa_ieee_mode 1
		.amdhsa_fp16_overflow 0
		.amdhsa_tg_split 0
		.amdhsa_exception_fp_ieee_invalid_op 0
		.amdhsa_exception_fp_denorm_src 0
		.amdhsa_exception_fp_ieee_div_zero 0
		.amdhsa_exception_fp_ieee_overflow 0
		.amdhsa_exception_fp_ieee_underflow 0
		.amdhsa_exception_fp_ieee_inexact 0
		.amdhsa_exception_int_div_zero 0
	.end_amdhsa_kernel
	.section	.text._ZN7rocprim17ROCPRIM_400000_NS6detail17trampoline_kernelINS0_14default_configENS1_20scan_config_selectorIiEEZZNS1_9scan_implILNS1_25lookback_scan_determinismE0ELb1ELb1ES3_N6thrust23THRUST_200600_302600_NS10device_ptrIiEESB_iNS9_4plusIvEEiEEDaPvRmT3_T4_T5_mT6_P12ihipStream_tbENKUlT_T0_E_clISt17integral_constantIbLb0EESQ_IbLb1EEEEDaSM_SN_EUlSM_E_NS1_11comp_targetILNS1_3genE0ELNS1_11target_archE4294967295ELNS1_3gpuE0ELNS1_3repE0EEENS1_30default_config_static_selectorELNS0_4arch9wavefront6targetE1EEEvT1_,"axG",@progbits,_ZN7rocprim17ROCPRIM_400000_NS6detail17trampoline_kernelINS0_14default_configENS1_20scan_config_selectorIiEEZZNS1_9scan_implILNS1_25lookback_scan_determinismE0ELb1ELb1ES3_N6thrust23THRUST_200600_302600_NS10device_ptrIiEESB_iNS9_4plusIvEEiEEDaPvRmT3_T4_T5_mT6_P12ihipStream_tbENKUlT_T0_E_clISt17integral_constantIbLb0EESQ_IbLb1EEEEDaSM_SN_EUlSM_E_NS1_11comp_targetILNS1_3genE0ELNS1_11target_archE4294967295ELNS1_3gpuE0ELNS1_3repE0EEENS1_30default_config_static_selectorELNS0_4arch9wavefront6targetE1EEEvT1_,comdat
.Lfunc_end6876:
	.size	_ZN7rocprim17ROCPRIM_400000_NS6detail17trampoline_kernelINS0_14default_configENS1_20scan_config_selectorIiEEZZNS1_9scan_implILNS1_25lookback_scan_determinismE0ELb1ELb1ES3_N6thrust23THRUST_200600_302600_NS10device_ptrIiEESB_iNS9_4plusIvEEiEEDaPvRmT3_T4_T5_mT6_P12ihipStream_tbENKUlT_T0_E_clISt17integral_constantIbLb0EESQ_IbLb1EEEEDaSM_SN_EUlSM_E_NS1_11comp_targetILNS1_3genE0ELNS1_11target_archE4294967295ELNS1_3gpuE0ELNS1_3repE0EEENS1_30default_config_static_selectorELNS0_4arch9wavefront6targetE1EEEvT1_, .Lfunc_end6876-_ZN7rocprim17ROCPRIM_400000_NS6detail17trampoline_kernelINS0_14default_configENS1_20scan_config_selectorIiEEZZNS1_9scan_implILNS1_25lookback_scan_determinismE0ELb1ELb1ES3_N6thrust23THRUST_200600_302600_NS10device_ptrIiEESB_iNS9_4plusIvEEiEEDaPvRmT3_T4_T5_mT6_P12ihipStream_tbENKUlT_T0_E_clISt17integral_constantIbLb0EESQ_IbLb1EEEEDaSM_SN_EUlSM_E_NS1_11comp_targetILNS1_3genE0ELNS1_11target_archE4294967295ELNS1_3gpuE0ELNS1_3repE0EEENS1_30default_config_static_selectorELNS0_4arch9wavefront6targetE1EEEvT1_
                                        ; -- End function
	.section	.AMDGPU.csdata,"",@progbits
; Kernel info:
; codeLenInByte = 0
; NumSgprs: 4
; NumVgprs: 0
; NumAgprs: 0
; TotalNumVgprs: 0
; ScratchSize: 0
; MemoryBound: 0
; FloatMode: 240
; IeeeMode: 1
; LDSByteSize: 0 bytes/workgroup (compile time only)
; SGPRBlocks: 0
; VGPRBlocks: 0
; NumSGPRsForWavesPerEU: 4
; NumVGPRsForWavesPerEU: 1
; AccumOffset: 4
; Occupancy: 8
; WaveLimiterHint : 0
; COMPUTE_PGM_RSRC2:SCRATCH_EN: 0
; COMPUTE_PGM_RSRC2:USER_SGPR: 6
; COMPUTE_PGM_RSRC2:TRAP_HANDLER: 0
; COMPUTE_PGM_RSRC2:TGID_X_EN: 1
; COMPUTE_PGM_RSRC2:TGID_Y_EN: 0
; COMPUTE_PGM_RSRC2:TGID_Z_EN: 0
; COMPUTE_PGM_RSRC2:TIDIG_COMP_CNT: 0
; COMPUTE_PGM_RSRC3_GFX90A:ACCUM_OFFSET: 0
; COMPUTE_PGM_RSRC3_GFX90A:TG_SPLIT: 0
	.section	.text._ZN7rocprim17ROCPRIM_400000_NS6detail17trampoline_kernelINS0_14default_configENS1_20scan_config_selectorIiEEZZNS1_9scan_implILNS1_25lookback_scan_determinismE0ELb1ELb1ES3_N6thrust23THRUST_200600_302600_NS10device_ptrIiEESB_iNS9_4plusIvEEiEEDaPvRmT3_T4_T5_mT6_P12ihipStream_tbENKUlT_T0_E_clISt17integral_constantIbLb0EESQ_IbLb1EEEEDaSM_SN_EUlSM_E_NS1_11comp_targetILNS1_3genE5ELNS1_11target_archE942ELNS1_3gpuE9ELNS1_3repE0EEENS1_30default_config_static_selectorELNS0_4arch9wavefront6targetE1EEEvT1_,"axG",@progbits,_ZN7rocprim17ROCPRIM_400000_NS6detail17trampoline_kernelINS0_14default_configENS1_20scan_config_selectorIiEEZZNS1_9scan_implILNS1_25lookback_scan_determinismE0ELb1ELb1ES3_N6thrust23THRUST_200600_302600_NS10device_ptrIiEESB_iNS9_4plusIvEEiEEDaPvRmT3_T4_T5_mT6_P12ihipStream_tbENKUlT_T0_E_clISt17integral_constantIbLb0EESQ_IbLb1EEEEDaSM_SN_EUlSM_E_NS1_11comp_targetILNS1_3genE5ELNS1_11target_archE942ELNS1_3gpuE9ELNS1_3repE0EEENS1_30default_config_static_selectorELNS0_4arch9wavefront6targetE1EEEvT1_,comdat
	.protected	_ZN7rocprim17ROCPRIM_400000_NS6detail17trampoline_kernelINS0_14default_configENS1_20scan_config_selectorIiEEZZNS1_9scan_implILNS1_25lookback_scan_determinismE0ELb1ELb1ES3_N6thrust23THRUST_200600_302600_NS10device_ptrIiEESB_iNS9_4plusIvEEiEEDaPvRmT3_T4_T5_mT6_P12ihipStream_tbENKUlT_T0_E_clISt17integral_constantIbLb0EESQ_IbLb1EEEEDaSM_SN_EUlSM_E_NS1_11comp_targetILNS1_3genE5ELNS1_11target_archE942ELNS1_3gpuE9ELNS1_3repE0EEENS1_30default_config_static_selectorELNS0_4arch9wavefront6targetE1EEEvT1_ ; -- Begin function _ZN7rocprim17ROCPRIM_400000_NS6detail17trampoline_kernelINS0_14default_configENS1_20scan_config_selectorIiEEZZNS1_9scan_implILNS1_25lookback_scan_determinismE0ELb1ELb1ES3_N6thrust23THRUST_200600_302600_NS10device_ptrIiEESB_iNS9_4plusIvEEiEEDaPvRmT3_T4_T5_mT6_P12ihipStream_tbENKUlT_T0_E_clISt17integral_constantIbLb0EESQ_IbLb1EEEEDaSM_SN_EUlSM_E_NS1_11comp_targetILNS1_3genE5ELNS1_11target_archE942ELNS1_3gpuE9ELNS1_3repE0EEENS1_30default_config_static_selectorELNS0_4arch9wavefront6targetE1EEEvT1_
	.globl	_ZN7rocprim17ROCPRIM_400000_NS6detail17trampoline_kernelINS0_14default_configENS1_20scan_config_selectorIiEEZZNS1_9scan_implILNS1_25lookback_scan_determinismE0ELb1ELb1ES3_N6thrust23THRUST_200600_302600_NS10device_ptrIiEESB_iNS9_4plusIvEEiEEDaPvRmT3_T4_T5_mT6_P12ihipStream_tbENKUlT_T0_E_clISt17integral_constantIbLb0EESQ_IbLb1EEEEDaSM_SN_EUlSM_E_NS1_11comp_targetILNS1_3genE5ELNS1_11target_archE942ELNS1_3gpuE9ELNS1_3repE0EEENS1_30default_config_static_selectorELNS0_4arch9wavefront6targetE1EEEvT1_
	.p2align	8
	.type	_ZN7rocprim17ROCPRIM_400000_NS6detail17trampoline_kernelINS0_14default_configENS1_20scan_config_selectorIiEEZZNS1_9scan_implILNS1_25lookback_scan_determinismE0ELb1ELb1ES3_N6thrust23THRUST_200600_302600_NS10device_ptrIiEESB_iNS9_4plusIvEEiEEDaPvRmT3_T4_T5_mT6_P12ihipStream_tbENKUlT_T0_E_clISt17integral_constantIbLb0EESQ_IbLb1EEEEDaSM_SN_EUlSM_E_NS1_11comp_targetILNS1_3genE5ELNS1_11target_archE942ELNS1_3gpuE9ELNS1_3repE0EEENS1_30default_config_static_selectorELNS0_4arch9wavefront6targetE1EEEvT1_,@function
_ZN7rocprim17ROCPRIM_400000_NS6detail17trampoline_kernelINS0_14default_configENS1_20scan_config_selectorIiEEZZNS1_9scan_implILNS1_25lookback_scan_determinismE0ELb1ELb1ES3_N6thrust23THRUST_200600_302600_NS10device_ptrIiEESB_iNS9_4plusIvEEiEEDaPvRmT3_T4_T5_mT6_P12ihipStream_tbENKUlT_T0_E_clISt17integral_constantIbLb0EESQ_IbLb1EEEEDaSM_SN_EUlSM_E_NS1_11comp_targetILNS1_3genE5ELNS1_11target_archE942ELNS1_3gpuE9ELNS1_3repE0EEENS1_30default_config_static_selectorELNS0_4arch9wavefront6targetE1EEEvT1_: ; @_ZN7rocprim17ROCPRIM_400000_NS6detail17trampoline_kernelINS0_14default_configENS1_20scan_config_selectorIiEEZZNS1_9scan_implILNS1_25lookback_scan_determinismE0ELb1ELb1ES3_N6thrust23THRUST_200600_302600_NS10device_ptrIiEESB_iNS9_4plusIvEEiEEDaPvRmT3_T4_T5_mT6_P12ihipStream_tbENKUlT_T0_E_clISt17integral_constantIbLb0EESQ_IbLb1EEEEDaSM_SN_EUlSM_E_NS1_11comp_targetILNS1_3genE5ELNS1_11target_archE942ELNS1_3gpuE9ELNS1_3repE0EEENS1_30default_config_static_selectorELNS0_4arch9wavefront6targetE1EEEvT1_
; %bb.0:
	.section	.rodata,"a",@progbits
	.p2align	6, 0x0
	.amdhsa_kernel _ZN7rocprim17ROCPRIM_400000_NS6detail17trampoline_kernelINS0_14default_configENS1_20scan_config_selectorIiEEZZNS1_9scan_implILNS1_25lookback_scan_determinismE0ELb1ELb1ES3_N6thrust23THRUST_200600_302600_NS10device_ptrIiEESB_iNS9_4plusIvEEiEEDaPvRmT3_T4_T5_mT6_P12ihipStream_tbENKUlT_T0_E_clISt17integral_constantIbLb0EESQ_IbLb1EEEEDaSM_SN_EUlSM_E_NS1_11comp_targetILNS1_3genE5ELNS1_11target_archE942ELNS1_3gpuE9ELNS1_3repE0EEENS1_30default_config_static_selectorELNS0_4arch9wavefront6targetE1EEEvT1_
		.amdhsa_group_segment_fixed_size 0
		.amdhsa_private_segment_fixed_size 0
		.amdhsa_kernarg_size 96
		.amdhsa_user_sgpr_count 6
		.amdhsa_user_sgpr_private_segment_buffer 1
		.amdhsa_user_sgpr_dispatch_ptr 0
		.amdhsa_user_sgpr_queue_ptr 0
		.amdhsa_user_sgpr_kernarg_segment_ptr 1
		.amdhsa_user_sgpr_dispatch_id 0
		.amdhsa_user_sgpr_flat_scratch_init 0
		.amdhsa_user_sgpr_kernarg_preload_length 0
		.amdhsa_user_sgpr_kernarg_preload_offset 0
		.amdhsa_user_sgpr_private_segment_size 0
		.amdhsa_uses_dynamic_stack 0
		.amdhsa_system_sgpr_private_segment_wavefront_offset 0
		.amdhsa_system_sgpr_workgroup_id_x 1
		.amdhsa_system_sgpr_workgroup_id_y 0
		.amdhsa_system_sgpr_workgroup_id_z 0
		.amdhsa_system_sgpr_workgroup_info 0
		.amdhsa_system_vgpr_workitem_id 0
		.amdhsa_next_free_vgpr 1
		.amdhsa_next_free_sgpr 0
		.amdhsa_accum_offset 4
		.amdhsa_reserve_vcc 0
		.amdhsa_reserve_flat_scratch 0
		.amdhsa_float_round_mode_32 0
		.amdhsa_float_round_mode_16_64 0
		.amdhsa_float_denorm_mode_32 3
		.amdhsa_float_denorm_mode_16_64 3
		.amdhsa_dx10_clamp 1
		.amdhsa_ieee_mode 1
		.amdhsa_fp16_overflow 0
		.amdhsa_tg_split 0
		.amdhsa_exception_fp_ieee_invalid_op 0
		.amdhsa_exception_fp_denorm_src 0
		.amdhsa_exception_fp_ieee_div_zero 0
		.amdhsa_exception_fp_ieee_overflow 0
		.amdhsa_exception_fp_ieee_underflow 0
		.amdhsa_exception_fp_ieee_inexact 0
		.amdhsa_exception_int_div_zero 0
	.end_amdhsa_kernel
	.section	.text._ZN7rocprim17ROCPRIM_400000_NS6detail17trampoline_kernelINS0_14default_configENS1_20scan_config_selectorIiEEZZNS1_9scan_implILNS1_25lookback_scan_determinismE0ELb1ELb1ES3_N6thrust23THRUST_200600_302600_NS10device_ptrIiEESB_iNS9_4plusIvEEiEEDaPvRmT3_T4_T5_mT6_P12ihipStream_tbENKUlT_T0_E_clISt17integral_constantIbLb0EESQ_IbLb1EEEEDaSM_SN_EUlSM_E_NS1_11comp_targetILNS1_3genE5ELNS1_11target_archE942ELNS1_3gpuE9ELNS1_3repE0EEENS1_30default_config_static_selectorELNS0_4arch9wavefront6targetE1EEEvT1_,"axG",@progbits,_ZN7rocprim17ROCPRIM_400000_NS6detail17trampoline_kernelINS0_14default_configENS1_20scan_config_selectorIiEEZZNS1_9scan_implILNS1_25lookback_scan_determinismE0ELb1ELb1ES3_N6thrust23THRUST_200600_302600_NS10device_ptrIiEESB_iNS9_4plusIvEEiEEDaPvRmT3_T4_T5_mT6_P12ihipStream_tbENKUlT_T0_E_clISt17integral_constantIbLb0EESQ_IbLb1EEEEDaSM_SN_EUlSM_E_NS1_11comp_targetILNS1_3genE5ELNS1_11target_archE942ELNS1_3gpuE9ELNS1_3repE0EEENS1_30default_config_static_selectorELNS0_4arch9wavefront6targetE1EEEvT1_,comdat
.Lfunc_end6877:
	.size	_ZN7rocprim17ROCPRIM_400000_NS6detail17trampoline_kernelINS0_14default_configENS1_20scan_config_selectorIiEEZZNS1_9scan_implILNS1_25lookback_scan_determinismE0ELb1ELb1ES3_N6thrust23THRUST_200600_302600_NS10device_ptrIiEESB_iNS9_4plusIvEEiEEDaPvRmT3_T4_T5_mT6_P12ihipStream_tbENKUlT_T0_E_clISt17integral_constantIbLb0EESQ_IbLb1EEEEDaSM_SN_EUlSM_E_NS1_11comp_targetILNS1_3genE5ELNS1_11target_archE942ELNS1_3gpuE9ELNS1_3repE0EEENS1_30default_config_static_selectorELNS0_4arch9wavefront6targetE1EEEvT1_, .Lfunc_end6877-_ZN7rocprim17ROCPRIM_400000_NS6detail17trampoline_kernelINS0_14default_configENS1_20scan_config_selectorIiEEZZNS1_9scan_implILNS1_25lookback_scan_determinismE0ELb1ELb1ES3_N6thrust23THRUST_200600_302600_NS10device_ptrIiEESB_iNS9_4plusIvEEiEEDaPvRmT3_T4_T5_mT6_P12ihipStream_tbENKUlT_T0_E_clISt17integral_constantIbLb0EESQ_IbLb1EEEEDaSM_SN_EUlSM_E_NS1_11comp_targetILNS1_3genE5ELNS1_11target_archE942ELNS1_3gpuE9ELNS1_3repE0EEENS1_30default_config_static_selectorELNS0_4arch9wavefront6targetE1EEEvT1_
                                        ; -- End function
	.section	.AMDGPU.csdata,"",@progbits
; Kernel info:
; codeLenInByte = 0
; NumSgprs: 4
; NumVgprs: 0
; NumAgprs: 0
; TotalNumVgprs: 0
; ScratchSize: 0
; MemoryBound: 0
; FloatMode: 240
; IeeeMode: 1
; LDSByteSize: 0 bytes/workgroup (compile time only)
; SGPRBlocks: 0
; VGPRBlocks: 0
; NumSGPRsForWavesPerEU: 4
; NumVGPRsForWavesPerEU: 1
; AccumOffset: 4
; Occupancy: 8
; WaveLimiterHint : 0
; COMPUTE_PGM_RSRC2:SCRATCH_EN: 0
; COMPUTE_PGM_RSRC2:USER_SGPR: 6
; COMPUTE_PGM_RSRC2:TRAP_HANDLER: 0
; COMPUTE_PGM_RSRC2:TGID_X_EN: 1
; COMPUTE_PGM_RSRC2:TGID_Y_EN: 0
; COMPUTE_PGM_RSRC2:TGID_Z_EN: 0
; COMPUTE_PGM_RSRC2:TIDIG_COMP_CNT: 0
; COMPUTE_PGM_RSRC3_GFX90A:ACCUM_OFFSET: 0
; COMPUTE_PGM_RSRC3_GFX90A:TG_SPLIT: 0
	.section	.text._ZN7rocprim17ROCPRIM_400000_NS6detail17trampoline_kernelINS0_14default_configENS1_20scan_config_selectorIiEEZZNS1_9scan_implILNS1_25lookback_scan_determinismE0ELb1ELb1ES3_N6thrust23THRUST_200600_302600_NS10device_ptrIiEESB_iNS9_4plusIvEEiEEDaPvRmT3_T4_T5_mT6_P12ihipStream_tbENKUlT_T0_E_clISt17integral_constantIbLb0EESQ_IbLb1EEEEDaSM_SN_EUlSM_E_NS1_11comp_targetILNS1_3genE4ELNS1_11target_archE910ELNS1_3gpuE8ELNS1_3repE0EEENS1_30default_config_static_selectorELNS0_4arch9wavefront6targetE1EEEvT1_,"axG",@progbits,_ZN7rocprim17ROCPRIM_400000_NS6detail17trampoline_kernelINS0_14default_configENS1_20scan_config_selectorIiEEZZNS1_9scan_implILNS1_25lookback_scan_determinismE0ELb1ELb1ES3_N6thrust23THRUST_200600_302600_NS10device_ptrIiEESB_iNS9_4plusIvEEiEEDaPvRmT3_T4_T5_mT6_P12ihipStream_tbENKUlT_T0_E_clISt17integral_constantIbLb0EESQ_IbLb1EEEEDaSM_SN_EUlSM_E_NS1_11comp_targetILNS1_3genE4ELNS1_11target_archE910ELNS1_3gpuE8ELNS1_3repE0EEENS1_30default_config_static_selectorELNS0_4arch9wavefront6targetE1EEEvT1_,comdat
	.protected	_ZN7rocprim17ROCPRIM_400000_NS6detail17trampoline_kernelINS0_14default_configENS1_20scan_config_selectorIiEEZZNS1_9scan_implILNS1_25lookback_scan_determinismE0ELb1ELb1ES3_N6thrust23THRUST_200600_302600_NS10device_ptrIiEESB_iNS9_4plusIvEEiEEDaPvRmT3_T4_T5_mT6_P12ihipStream_tbENKUlT_T0_E_clISt17integral_constantIbLb0EESQ_IbLb1EEEEDaSM_SN_EUlSM_E_NS1_11comp_targetILNS1_3genE4ELNS1_11target_archE910ELNS1_3gpuE8ELNS1_3repE0EEENS1_30default_config_static_selectorELNS0_4arch9wavefront6targetE1EEEvT1_ ; -- Begin function _ZN7rocprim17ROCPRIM_400000_NS6detail17trampoline_kernelINS0_14default_configENS1_20scan_config_selectorIiEEZZNS1_9scan_implILNS1_25lookback_scan_determinismE0ELb1ELb1ES3_N6thrust23THRUST_200600_302600_NS10device_ptrIiEESB_iNS9_4plusIvEEiEEDaPvRmT3_T4_T5_mT6_P12ihipStream_tbENKUlT_T0_E_clISt17integral_constantIbLb0EESQ_IbLb1EEEEDaSM_SN_EUlSM_E_NS1_11comp_targetILNS1_3genE4ELNS1_11target_archE910ELNS1_3gpuE8ELNS1_3repE0EEENS1_30default_config_static_selectorELNS0_4arch9wavefront6targetE1EEEvT1_
	.globl	_ZN7rocprim17ROCPRIM_400000_NS6detail17trampoline_kernelINS0_14default_configENS1_20scan_config_selectorIiEEZZNS1_9scan_implILNS1_25lookback_scan_determinismE0ELb1ELb1ES3_N6thrust23THRUST_200600_302600_NS10device_ptrIiEESB_iNS9_4plusIvEEiEEDaPvRmT3_T4_T5_mT6_P12ihipStream_tbENKUlT_T0_E_clISt17integral_constantIbLb0EESQ_IbLb1EEEEDaSM_SN_EUlSM_E_NS1_11comp_targetILNS1_3genE4ELNS1_11target_archE910ELNS1_3gpuE8ELNS1_3repE0EEENS1_30default_config_static_selectorELNS0_4arch9wavefront6targetE1EEEvT1_
	.p2align	8
	.type	_ZN7rocprim17ROCPRIM_400000_NS6detail17trampoline_kernelINS0_14default_configENS1_20scan_config_selectorIiEEZZNS1_9scan_implILNS1_25lookback_scan_determinismE0ELb1ELb1ES3_N6thrust23THRUST_200600_302600_NS10device_ptrIiEESB_iNS9_4plusIvEEiEEDaPvRmT3_T4_T5_mT6_P12ihipStream_tbENKUlT_T0_E_clISt17integral_constantIbLb0EESQ_IbLb1EEEEDaSM_SN_EUlSM_E_NS1_11comp_targetILNS1_3genE4ELNS1_11target_archE910ELNS1_3gpuE8ELNS1_3repE0EEENS1_30default_config_static_selectorELNS0_4arch9wavefront6targetE1EEEvT1_,@function
_ZN7rocprim17ROCPRIM_400000_NS6detail17trampoline_kernelINS0_14default_configENS1_20scan_config_selectorIiEEZZNS1_9scan_implILNS1_25lookback_scan_determinismE0ELb1ELb1ES3_N6thrust23THRUST_200600_302600_NS10device_ptrIiEESB_iNS9_4plusIvEEiEEDaPvRmT3_T4_T5_mT6_P12ihipStream_tbENKUlT_T0_E_clISt17integral_constantIbLb0EESQ_IbLb1EEEEDaSM_SN_EUlSM_E_NS1_11comp_targetILNS1_3genE4ELNS1_11target_archE910ELNS1_3gpuE8ELNS1_3repE0EEENS1_30default_config_static_selectorELNS0_4arch9wavefront6targetE1EEEvT1_: ; @_ZN7rocprim17ROCPRIM_400000_NS6detail17trampoline_kernelINS0_14default_configENS1_20scan_config_selectorIiEEZZNS1_9scan_implILNS1_25lookback_scan_determinismE0ELb1ELb1ES3_N6thrust23THRUST_200600_302600_NS10device_ptrIiEESB_iNS9_4plusIvEEiEEDaPvRmT3_T4_T5_mT6_P12ihipStream_tbENKUlT_T0_E_clISt17integral_constantIbLb0EESQ_IbLb1EEEEDaSM_SN_EUlSM_E_NS1_11comp_targetILNS1_3genE4ELNS1_11target_archE910ELNS1_3gpuE8ELNS1_3repE0EEENS1_30default_config_static_selectorELNS0_4arch9wavefront6targetE1EEEvT1_
; %bb.0:
	s_load_dword s33, s[4:5], 0x20
	s_load_dwordx2 s[6:7], s[4:5], 0x28
	v_cmp_ne_u32_e64 s[2:3], 0, v0
	v_cmp_eq_u32_e64 s[0:1], 0, v0
	s_and_saveexec_b64 s[8:9], s[0:1]
	s_cbranch_execz .LBB6878_4
; %bb.1:
	s_mov_b64 s[12:13], exec
	v_mbcnt_lo_u32_b32 v1, s12, 0
	v_mbcnt_hi_u32_b32 v1, s13, v1
	v_cmp_eq_u32_e32 vcc, 0, v1
                                        ; implicit-def: $vgpr2
	s_and_saveexec_b64 s[10:11], vcc
	s_cbranch_execz .LBB6878_3
; %bb.2:
	s_load_dwordx2 s[14:15], s[4:5], 0x58
	s_bcnt1_i32_b64 s12, s[12:13]
	v_mov_b32_e32 v2, 0
	v_mov_b32_e32 v3, s12
	s_waitcnt lgkmcnt(0)
	global_atomic_add v2, v2, v3, s[14:15] glc
.LBB6878_3:
	s_or_b64 exec, exec, s[10:11]
	s_waitcnt vmcnt(0)
	v_readfirstlane_b32 s10, v2
	v_add_u32_e32 v1, s10, v1
	v_mov_b32_e32 v2, 0
	ds_write_b32 v2, v1
.LBB6878_4:
	s_or_b64 exec, exec, s[8:9]
	s_load_dwordx8 s[16:23], s[4:5], 0x0
	s_load_dword s24, s[4:5], 0x30
	s_load_dwordx8 s[8:15], s[4:5], 0x38
	v_mov_b32_e32 v1, 0
	s_waitcnt lgkmcnt(0)
	s_barrier
	ds_read_b32 v1, v1
	s_lshl_b64 s[18:19], s[18:19], 2
	s_add_u32 s34, s16, s18
	s_addc_u32 s35, s17, s19
	s_add_i32 s16, s24, -1
	s_mul_i32 s17, s16, 0x500
	s_sub_u32 s30, s22, s17
	s_waitcnt lgkmcnt(0)
	v_readfirstlane_b32 s36, v1
	s_subb_u32 s31, s23, 0
	s_mul_i32 s4, s36, 0x500
	s_mov_b32 s5, 0
	s_cmp_lg_u32 s36, s16
	s_cselect_b64 s[16:17], -1, 0
	s_lshl_b64 s[22:23], s[4:5], 2
	s_add_u32 s24, s34, s22
	s_addc_u32 s25, s35, s23
	s_mov_b64 s[4:5], -1
	s_and_b64 vcc, exec, s[16:17]
	v_lshlrev_b32_e32 v22, 2, v0
	s_barrier
	s_cbranch_vccz .LBB6878_6
; %bb.5:
	v_mov_b32_e32 v1, s25
	v_add_co_u32_e32 v2, vcc, s24, v22
	v_addc_co_u32_e32 v3, vcc, 0, v1, vcc
	flat_load_dword v1, v[2:3]
	flat_load_dword v4, v[2:3] offset:512
	flat_load_dword v5, v[2:3] offset:1024
	;; [unrolled: 1-line block ×7, first 2 shown]
	v_add_co_u32_e32 v2, vcc, 0x1000, v2
	v_addc_co_u32_e32 v3, vcc, 0, v3, vcc
	flat_load_dword v11, v[2:3]
	flat_load_dword v12, v[2:3] offset:512
	s_mov_b64 s[4:5], 0
	s_waitcnt vmcnt(0) lgkmcnt(0)
	ds_write2st64_b32 v22, v1, v4 offset1:2
	ds_write2st64_b32 v22, v5, v6 offset0:4 offset1:6
	ds_write2st64_b32 v22, v7, v8 offset0:8 offset1:10
	;; [unrolled: 1-line block ×4, first 2 shown]
	s_waitcnt lgkmcnt(0)
	s_barrier
.LBB6878_6:
	s_andn2_b64 vcc, exec, s[4:5]
	v_cmp_gt_u32_e64 s[4:5], s30, v0
	s_cbranch_vccnz .LBB6878_28
; %bb.7:
	v_pk_mov_b32 v[2:3], s[24:25], s[24:25] op_sel:[0,1]
	flat_load_dword v1, v[2:3]
	s_waitcnt vmcnt(0) lgkmcnt(0)
	v_mov_b32_e32 v2, v1
	v_mov_b32_e32 v3, v1
	;; [unrolled: 1-line block ×9, first 2 shown]
	s_and_saveexec_b64 s[26:27], s[4:5]
	s_cbranch_execz .LBB6878_9
; %bb.8:
	v_mov_b32_e32 v11, s25
	v_add_co_u32_e32 v10, vcc, s24, v22
	v_addc_co_u32_e32 v11, vcc, 0, v11, vcc
	flat_load_dword v10, v[10:11]
.LBB6878_9:
	s_or_b64 exec, exec, s[26:27]
	v_or_b32_e32 v11, 0x80, v0
	v_cmp_gt_u32_e32 vcc, s30, v11
	s_and_saveexec_b64 s[4:5], vcc
	s_cbranch_execz .LBB6878_11
; %bb.10:
	v_mov_b32_e32 v1, s25
	v_add_co_u32_e32 v12, vcc, s24, v22
	v_addc_co_u32_e32 v13, vcc, 0, v1, vcc
	flat_load_dword v1, v[12:13] offset:512
.LBB6878_11:
	s_or_b64 exec, exec, s[4:5]
	v_or_b32_e32 v11, 0x100, v0
	v_cmp_gt_u32_e32 vcc, s30, v11
	s_and_saveexec_b64 s[4:5], vcc
	s_cbranch_execz .LBB6878_13
; %bb.12:
	v_mov_b32_e32 v2, s25
	v_add_co_u32_e32 v12, vcc, s24, v22
	v_addc_co_u32_e32 v13, vcc, 0, v2, vcc
	flat_load_dword v2, v[12:13] offset:1024
.LBB6878_13:
	;; [unrolled: 11-line block ×7, first 2 shown]
	s_or_b64 exec, exec, s[4:5]
	v_or_b32_e32 v11, 0x400, v0
	v_cmp_gt_u32_e32 vcc, s30, v11
	s_and_saveexec_b64 s[4:5], vcc
	s_cbranch_execz .LBB6878_25
; %bb.24:
	v_lshlrev_b32_e32 v8, 2, v11
	v_mov_b32_e32 v11, s25
	v_add_co_u32_e32 v12, vcc, s24, v8
	v_addc_co_u32_e32 v13, vcc, 0, v11, vcc
	flat_load_dword v8, v[12:13]
.LBB6878_25:
	s_or_b64 exec, exec, s[4:5]
	v_or_b32_e32 v11, 0x480, v0
	v_cmp_gt_u32_e32 vcc, s30, v11
	s_and_saveexec_b64 s[4:5], vcc
	s_cbranch_execz .LBB6878_27
; %bb.26:
	v_lshlrev_b32_e32 v9, 2, v11
	v_mov_b32_e32 v11, s25
	v_add_co_u32_e32 v12, vcc, s24, v9
	v_addc_co_u32_e32 v13, vcc, 0, v11, vcc
	flat_load_dword v9, v[12:13]
.LBB6878_27:
	s_or_b64 exec, exec, s[4:5]
	s_waitcnt vmcnt(0) lgkmcnt(0)
	ds_write2st64_b32 v22, v10, v1 offset1:2
	ds_write2st64_b32 v22, v2, v3 offset0:4 offset1:6
	ds_write2st64_b32 v22, v4, v5 offset0:8 offset1:10
	;; [unrolled: 1-line block ×4, first 2 shown]
	s_waitcnt lgkmcnt(0)
	s_barrier
.LBB6878_28:
	v_mul_u32_u24_e32 v23, 10, v0
	v_lshlrev_b32_e32 v1, 2, v23
	ds_read2_b64 v[16:19], v1 offset1:1
	ds_read2_b64 v[12:15], v1 offset0:2 offset1:3
	ds_read_b64 v[20:21], v1 offset:32
	s_cmp_lg_u32 s36, 0
	v_lshrrev_b32_e32 v24, 5, v0
	s_waitcnt lgkmcnt(2)
	v_add_u32_e32 v2, v17, v16
	v_add3_u32 v25, v2, v18, v19
	v_cmp_gt_u32_e32 vcc, 64, v0
	s_waitcnt lgkmcnt(0)
	s_barrier
	s_cbranch_scc0 .LBB6878_53
; %bb.29:
	v_add3_u32 v2, v25, v12, v13
	v_add3_u32 v2, v2, v14, v15
	;; [unrolled: 1-line block ×3, first 2 shown]
	v_add_lshl_u32 v3, v24, v0, 2
	ds_write_b32 v3, v2
	s_waitcnt lgkmcnt(0)
	s_barrier
	s_and_saveexec_b64 s[24:25], vcc
	s_cbranch_execz .LBB6878_31
; %bb.30:
	v_lshlrev_b32_e32 v3, 1, v0
	v_lshrrev_b32_e32 v4, 4, v0
	v_add_lshl_u32 v3, v4, v3, 2
	ds_read2_b32 v[4:5], v3 offset1:1
	v_mbcnt_lo_u32_b32 v6, -1, 0
	v_mbcnt_hi_u32_b32 v6, -1, v6
	v_and_b32_e32 v7, 15, v6
	v_cmp_ne_u32_e64 s[4:5], 0, v7
	s_waitcnt lgkmcnt(0)
	v_add_u32_e32 v5, v5, v4
	; wave barrier
	s_nop 1
	v_mov_b32_dpp v8, v5 row_shr:1 row_mask:0xf bank_mask:0xf
	v_cndmask_b32_e64 v8, 0, v8, s[4:5]
	v_add_u32_e32 v5, v8, v5
	v_cmp_lt_u32_e64 s[4:5], 1, v7
	s_nop 0
	v_mov_b32_dpp v8, v5 row_shr:2 row_mask:0xf bank_mask:0xf
	v_cndmask_b32_e64 v8, 0, v8, s[4:5]
	v_add_u32_e32 v5, v5, v8
	v_cmp_lt_u32_e64 s[4:5], 3, v7
	s_nop 0
	v_mov_b32_dpp v8, v5 row_shr:4 row_mask:0xf bank_mask:0xf
	v_cndmask_b32_e64 v8, 0, v8, s[4:5]
	v_add_u32_e32 v5, v5, v8
	v_cmp_lt_u32_e64 s[4:5], 7, v7
	s_nop 0
	v_mov_b32_dpp v8, v5 row_shr:8 row_mask:0xf bank_mask:0xf
	v_cndmask_b32_e64 v7, 0, v8, s[4:5]
	v_add_u32_e32 v5, v5, v7
	v_bfe_i32 v8, v6, 4, 1
	v_cmp_lt_u32_e64 s[4:5], 31, v6
	v_mov_b32_dpp v7, v5 row_bcast:15 row_mask:0xf bank_mask:0xf
	v_and_b32_e32 v7, v8, v7
	v_add_u32_e32 v5, v5, v7
	v_and_b32_e32 v8, 64, v6
	s_nop 0
	v_mov_b32_dpp v7, v5 row_bcast:31 row_mask:0xf bank_mask:0xf
	v_cndmask_b32_e64 v7, 0, v7, s[4:5]
	v_add_u32_e32 v5, v5, v7
	v_add_u32_e32 v7, -1, v6
	v_cmp_lt_i32_e64 s[4:5], v7, v8
	v_cndmask_b32_e64 v6, v7, v6, s[4:5]
	v_lshlrev_b32_e32 v6, 2, v6
	ds_bpermute_b32 v5, v6, v5
	s_waitcnt lgkmcnt(0)
	v_add_u32_e32 v4, v5, v4
	v_cndmask_b32_e64 v2, v4, v2, s[0:1]
	ds_write_b32 v3, v2
	; wave barrier
	ds_read_b32 v4, v3 offset:4
	s_waitcnt lgkmcnt(0)
	v_add_u32_e32 v2, v4, v2
	ds_write_b32 v3, v2 offset:4
.LBB6878_31:
	s_or_b64 exec, exec, s[24:25]
	v_mov_b32_e32 v26, 0
	s_waitcnt lgkmcnt(0)
	s_barrier
	s_and_saveexec_b64 s[4:5], s[2:3]
	s_cbranch_execz .LBB6878_33
; %bb.32:
	v_add_u32_e32 v2, -1, v0
	v_lshrrev_b32_e32 v3, 5, v2
	v_add_lshl_u32 v2, v3, v2, 2
	ds_read_b32 v26, v2
.LBB6878_33:
	s_or_b64 exec, exec, s[4:5]
	s_and_saveexec_b64 s[24:25], vcc
	s_cbranch_execz .LBB6878_52
; %bb.34:
	v_mov_b32_e32 v9, 0
	ds_read_b32 v2, v9 offset:520
	v_mbcnt_lo_u32_b32 v3, -1, 0
	v_mbcnt_hi_u32_b32 v5, -1, v3
	s_mov_b32 s29, 0
	v_cmp_eq_u32_e64 s[4:5], 0, v5
	s_and_saveexec_b64 s[26:27], s[4:5]
	s_cbranch_execz .LBB6878_36
; %bb.35:
	s_add_i32 s28, s36, 64
	s_lshl_b64 s[28:29], s[28:29], 3
	s_add_u32 s28, s6, s28
	v_mov_b32_e32 v3, 1
	s_addc_u32 s29, s7, s29
	s_waitcnt lgkmcnt(0)
	global_store_dwordx2 v9, v[2:3], s[28:29]
.LBB6878_36:
	s_or_b64 exec, exec, s[26:27]
	v_xad_u32 v4, v5, -1, s36
	v_add_u32_e32 v8, 64, v4
	v_lshlrev_b64 v[6:7], 3, v[8:9]
	v_mov_b32_e32 v3, s7
	v_add_co_u32_e32 v10, vcc, s6, v6
	v_addc_co_u32_e32 v11, vcc, v3, v7, vcc
	global_load_dwordx2 v[6:7], v[10:11], off glc
	s_waitcnt vmcnt(0)
	v_cmp_eq_u16_sdwa s[28:29], v7, v9 src0_sel:BYTE_0 src1_sel:DWORD
	s_and_saveexec_b64 s[26:27], s[28:29]
	s_cbranch_execz .LBB6878_40
; %bb.37:
	s_mov_b64 s[28:29], 0
	v_mov_b32_e32 v3, 0
.LBB6878_38:                            ; =>This Inner Loop Header: Depth=1
	global_load_dwordx2 v[6:7], v[10:11], off glc
	s_waitcnt vmcnt(0)
	v_cmp_ne_u16_sdwa s[38:39], v7, v3 src0_sel:BYTE_0 src1_sel:DWORD
	s_or_b64 s[28:29], s[38:39], s[28:29]
	s_andn2_b64 exec, exec, s[28:29]
	s_cbranch_execnz .LBB6878_38
; %bb.39:
	s_or_b64 exec, exec, s[28:29]
.LBB6878_40:
	s_or_b64 exec, exec, s[26:27]
	v_and_b32_e32 v27, 63, v5
	v_mov_b32_e32 v3, 2
	v_cmp_ne_u32_e32 vcc, 63, v27
	v_cmp_eq_u16_sdwa s[26:27], v7, v3 src0_sel:BYTE_0 src1_sel:DWORD
	v_lshlrev_b64 v[8:9], v5, -1
	v_addc_co_u32_e32 v28, vcc, 0, v5, vcc
	v_and_b32_e32 v10, s27, v9
	v_lshlrev_b32_e32 v28, 2, v28
	v_or_b32_e32 v10, 0x80000000, v10
	ds_bpermute_b32 v29, v28, v6
	v_and_b32_e32 v11, s26, v8
	v_ffbl_b32_e32 v10, v10
	v_add_u32_e32 v10, 32, v10
	v_ffbl_b32_e32 v11, v11
	v_min_u32_e32 v10, v11, v10
	v_cmp_lt_u32_e32 vcc, v27, v10
	s_waitcnt lgkmcnt(0)
	v_cndmask_b32_e32 v11, 0, v29, vcc
	v_cmp_gt_u32_e32 vcc, 62, v27
	v_add_u32_e32 v6, v11, v6
	v_cndmask_b32_e64 v11, 0, 1, vcc
	v_lshlrev_b32_e32 v11, 1, v11
	v_add_lshl_u32 v29, v11, v5, 2
	ds_bpermute_b32 v11, v29, v6
	v_add_u32_e32 v30, 2, v27
	v_cmp_le_u32_e32 vcc, v30, v10
	v_add_u32_e32 v32, 4, v27
	v_add_u32_e32 v34, 8, v27
	s_waitcnt lgkmcnt(0)
	v_cndmask_b32_e32 v11, 0, v11, vcc
	v_cmp_gt_u32_e32 vcc, 60, v27
	v_add_u32_e32 v6, v6, v11
	v_cndmask_b32_e64 v11, 0, 1, vcc
	v_lshlrev_b32_e32 v11, 2, v11
	v_add_lshl_u32 v31, v11, v5, 2
	ds_bpermute_b32 v11, v31, v6
	v_cmp_le_u32_e32 vcc, v32, v10
	v_add_u32_e32 v37, 16, v27
	v_add_u32_e32 v39, 32, v27
	s_waitcnt lgkmcnt(0)
	v_cndmask_b32_e32 v11, 0, v11, vcc
	v_cmp_gt_u32_e32 vcc, 56, v27
	v_add_u32_e32 v6, v6, v11
	v_cndmask_b32_e64 v11, 0, 1, vcc
	v_lshlrev_b32_e32 v11, 3, v11
	v_add_lshl_u32 v33, v11, v5, 2
	ds_bpermute_b32 v11, v33, v6
	v_cmp_le_u32_e32 vcc, v34, v10
	s_waitcnt lgkmcnt(0)
	v_cndmask_b32_e32 v11, 0, v11, vcc
	v_cmp_gt_u32_e32 vcc, 48, v27
	v_add_u32_e32 v6, v6, v11
	v_cndmask_b32_e64 v11, 0, 1, vcc
	v_lshlrev_b32_e32 v11, 4, v11
	v_add_lshl_u32 v36, v11, v5, 2
	ds_bpermute_b32 v11, v36, v6
	v_cmp_le_u32_e32 vcc, v37, v10
	;; [unrolled: 9-line block ×3, first 2 shown]
	s_waitcnt lgkmcnt(0)
	v_cndmask_b32_e32 v5, 0, v5, vcc
	v_add_u32_e32 v6, v6, v5
	v_mov_b32_e32 v5, 0
	s_branch .LBB6878_42
.LBB6878_41:                            ;   in Loop: Header=BB6878_42 Depth=1
	s_or_b64 exec, exec, s[26:27]
	v_cmp_eq_u16_sdwa s[26:27], v7, v3 src0_sel:BYTE_0 src1_sel:DWORD
	v_and_b32_e32 v10, s27, v9
	v_or_b32_e32 v10, 0x80000000, v10
	ds_bpermute_b32 v40, v28, v6
	v_and_b32_e32 v11, s26, v8
	v_ffbl_b32_e32 v10, v10
	v_add_u32_e32 v10, 32, v10
	v_ffbl_b32_e32 v11, v11
	v_min_u32_e32 v10, v11, v10
	v_cmp_lt_u32_e32 vcc, v27, v10
	s_waitcnt lgkmcnt(0)
	v_cndmask_b32_e32 v11, 0, v40, vcc
	v_add_u32_e32 v6, v11, v6
	ds_bpermute_b32 v11, v29, v6
	v_cmp_le_u32_e32 vcc, v30, v10
	v_subrev_u32_e32 v4, 64, v4
	s_waitcnt lgkmcnt(0)
	v_cndmask_b32_e32 v11, 0, v11, vcc
	v_add_u32_e32 v6, v6, v11
	ds_bpermute_b32 v11, v31, v6
	v_cmp_le_u32_e32 vcc, v32, v10
	s_waitcnt lgkmcnt(0)
	v_cndmask_b32_e32 v11, 0, v11, vcc
	v_add_u32_e32 v6, v6, v11
	ds_bpermute_b32 v11, v33, v6
	v_cmp_le_u32_e32 vcc, v34, v10
	;; [unrolled: 5-line block ×4, first 2 shown]
	s_waitcnt lgkmcnt(0)
	v_cndmask_b32_e32 v10, 0, v11, vcc
	v_add3_u32 v6, v10, v35, v6
.LBB6878_42:                            ; =>This Loop Header: Depth=1
                                        ;     Child Loop BB6878_45 Depth 2
	v_cmp_ne_u16_sdwa s[26:27], v7, v3 src0_sel:BYTE_0 src1_sel:DWORD
	v_cndmask_b32_e64 v7, 0, 1, s[26:27]
	;;#ASMSTART
	;;#ASMEND
	v_cmp_ne_u32_e32 vcc, 0, v7
	s_cmp_lg_u64 vcc, exec
	v_mov_b32_e32 v35, v6
	s_cbranch_scc1 .LBB6878_47
; %bb.43:                               ;   in Loop: Header=BB6878_42 Depth=1
	v_lshlrev_b64 v[6:7], 3, v[4:5]
	v_mov_b32_e32 v11, s7
	v_add_co_u32_e32 v10, vcc, s6, v6
	v_addc_co_u32_e32 v11, vcc, v11, v7, vcc
	global_load_dwordx2 v[6:7], v[10:11], off glc
	s_waitcnt vmcnt(0)
	v_cmp_eq_u16_sdwa s[28:29], v7, v5 src0_sel:BYTE_0 src1_sel:DWORD
	s_and_saveexec_b64 s[26:27], s[28:29]
	s_cbranch_execz .LBB6878_41
; %bb.44:                               ;   in Loop: Header=BB6878_42 Depth=1
	s_mov_b64 s[28:29], 0
.LBB6878_45:                            ;   Parent Loop BB6878_42 Depth=1
                                        ; =>  This Inner Loop Header: Depth=2
	global_load_dwordx2 v[6:7], v[10:11], off glc
	s_waitcnt vmcnt(0)
	v_cmp_ne_u16_sdwa s[38:39], v7, v5 src0_sel:BYTE_0 src1_sel:DWORD
	s_or_b64 s[28:29], s[38:39], s[28:29]
	s_andn2_b64 exec, exec, s[28:29]
	s_cbranch_execnz .LBB6878_45
; %bb.46:                               ;   in Loop: Header=BB6878_42 Depth=1
	s_or_b64 exec, exec, s[28:29]
	s_branch .LBB6878_41
.LBB6878_47:                            ;   in Loop: Header=BB6878_42 Depth=1
                                        ; implicit-def: $vgpr6
                                        ; implicit-def: $vgpr7
	s_cbranch_execz .LBB6878_42
; %bb.48:
	s_and_saveexec_b64 s[26:27], s[4:5]
	s_cbranch_execz .LBB6878_50
; %bb.49:
	s_add_i32 s4, s36, 64
	s_mov_b32 s5, 0
	s_lshl_b64 s[4:5], s[4:5], 3
	s_add_u32 s4, s6, s4
	v_add_u32_e32 v2, v35, v2
	v_mov_b32_e32 v3, 2
	s_addc_u32 s5, s7, s5
	v_mov_b32_e32 v4, 0
	global_store_dwordx2 v4, v[2:3], s[4:5]
.LBB6878_50:
	s_or_b64 exec, exec, s[26:27]
	s_and_b64 exec, exec, s[0:1]
	s_cbranch_execz .LBB6878_52
; %bb.51:
	v_mov_b32_e32 v2, 0
	ds_write_b32 v2, v35
.LBB6878_52:
	s_or_b64 exec, exec, s[24:25]
	v_mov_b32_e32 v2, 0
	s_waitcnt lgkmcnt(0)
	s_barrier
	ds_read_b32 v2, v2
	s_waitcnt lgkmcnt(0)
	v_add_u32_e32 v2, v2, v26
	v_add_u32_e32 v3, v2, v16
	;; [unrolled: 1-line block ×10, first 2 shown]
	s_branch .LBB6878_63
.LBB6878_53:
                                        ; implicit-def: $vgpr2_vgpr3_vgpr4_vgpr5_vgpr6_vgpr7_vgpr8_vgpr9_vgpr10_vgpr11
	s_cbranch_execz .LBB6878_63
; %bb.54:
	s_cmp_eq_u64 s[12:13], 0
	v_mov_b32_e32 v26, s33
	s_cbranch_scc1 .LBB6878_56
; %bb.55:
	v_mov_b32_e32 v3, s35
	v_add_co_u32_e64 v2, vcc, -4, s34
	v_addc_co_u32_e32 v3, vcc, -1, v3, vcc
	v_mov_b32_e32 v4, 0
	flat_load_dword v5, v[2:3]
	global_load_dword v6, v4, s[8:9]
	s_waitcnt vmcnt(0) lgkmcnt(0)
	v_add_u32_e32 v26, v6, v5
.LBB6878_56:
	v_add3_u32 v2, v25, v12, v13
	v_add3_u32 v2, v2, v14, v15
	;; [unrolled: 1-line block ×3, first 2 shown]
	v_add_lshl_u32 v3, v24, v0, 2
	v_cmp_gt_u32_e32 vcc, 64, v0
	ds_write_b32 v3, v2
	s_waitcnt lgkmcnt(0)
	s_barrier
	s_and_saveexec_b64 s[4:5], vcc
	s_cbranch_execz .LBB6878_58
; %bb.57:
	v_lshlrev_b32_e32 v3, 1, v0
	v_lshrrev_b32_e32 v4, 4, v0
	v_add_lshl_u32 v3, v4, v3, 2
	ds_read2_b32 v[4:5], v3 offset1:1
	v_mbcnt_lo_u32_b32 v6, -1, 0
	v_mbcnt_hi_u32_b32 v6, -1, v6
	v_and_b32_e32 v7, 15, v6
	v_cmp_ne_u32_e32 vcc, 0, v7
	s_waitcnt lgkmcnt(0)
	v_add_u32_e32 v5, v5, v4
	; wave barrier
	s_nop 1
	v_mov_b32_dpp v8, v5 row_shr:1 row_mask:0xf bank_mask:0xf
	v_cndmask_b32_e32 v8, 0, v8, vcc
	v_add_u32_e32 v5, v8, v5
	v_cmp_lt_u32_e32 vcc, 1, v7
	s_nop 0
	v_mov_b32_dpp v8, v5 row_shr:2 row_mask:0xf bank_mask:0xf
	v_cndmask_b32_e32 v8, 0, v8, vcc
	v_add_u32_e32 v5, v5, v8
	v_cmp_lt_u32_e32 vcc, 3, v7
	;; [unrolled: 5-line block ×3, first 2 shown]
	s_nop 0
	v_mov_b32_dpp v8, v5 row_shr:8 row_mask:0xf bank_mask:0xf
	v_cndmask_b32_e32 v7, 0, v8, vcc
	v_add_u32_e32 v5, v5, v7
	v_bfe_i32 v8, v6, 4, 1
	v_cmp_lt_u32_e32 vcc, 31, v6
	v_mov_b32_dpp v7, v5 row_bcast:15 row_mask:0xf bank_mask:0xf
	v_and_b32_e32 v7, v8, v7
	v_add_u32_e32 v5, v5, v7
	v_and_b32_e32 v8, 64, v6
	s_nop 0
	v_mov_b32_dpp v7, v5 row_bcast:31 row_mask:0xf bank_mask:0xf
	v_cndmask_b32_e32 v7, 0, v7, vcc
	v_add_u32_e32 v5, v5, v7
	v_add_u32_e32 v7, -1, v6
	v_cmp_lt_i32_e32 vcc, v7, v8
	v_cndmask_b32_e32 v6, v7, v6, vcc
	v_lshlrev_b32_e32 v6, 2, v6
	ds_bpermute_b32 v5, v6, v5
	s_waitcnt lgkmcnt(0)
	v_add_u32_e32 v4, v5, v4
	v_cndmask_b32_e64 v2, v4, v2, s[0:1]
	ds_write_b32 v3, v2
	; wave barrier
	ds_read_b32 v4, v3 offset:4
	s_waitcnt lgkmcnt(0)
	v_add_u32_e32 v2, v4, v2
	ds_write_b32 v3, v2 offset:4
.LBB6878_58:
	s_or_b64 exec, exec, s[4:5]
	v_mov_b32_e32 v2, v26
	s_waitcnt lgkmcnt(0)
	s_barrier
	s_and_saveexec_b64 s[4:5], s[2:3]
	s_cbranch_execz .LBB6878_60
; %bb.59:
	v_add_u32_e32 v2, -1, v0
	v_lshrrev_b32_e32 v3, 5, v2
	v_add_lshl_u32 v2, v3, v2, 2
	ds_read_b32 v2, v2
	s_waitcnt lgkmcnt(0)
	v_add_u32_e32 v2, v2, v26
.LBB6878_60:
	s_or_b64 exec, exec, s[4:5]
	v_add_u32_e32 v3, v2, v16
	v_add_u32_e32 v4, v3, v17
	;; [unrolled: 1-line block ×9, first 2 shown]
	s_and_saveexec_b64 s[2:3], s[0:1]
	s_cbranch_execz .LBB6878_62
; %bb.61:
	v_mov_b32_e32 v14, 0
	ds_read_b32 v12, v14 offset:520
	v_mov_b32_e32 v13, 2
	s_waitcnt lgkmcnt(0)
	v_add_u32_e32 v12, v12, v26
	global_store_dwordx2 v14, v[12:13], s[6:7] offset:512
.LBB6878_62:
	s_or_b64 exec, exec, s[2:3]
.LBB6878_63:
	s_add_u32 s0, s20, s18
	s_addc_u32 s1, s21, s19
	s_add_u32 s2, s0, s22
	s_addc_u32 s3, s1, s23
	s_mov_b64 s[0:1], -1
	s_and_b64 vcc, exec, s[16:17]
	s_barrier
	s_cbranch_vccz .LBB6878_65
; %bb.64:
	ds_write2_b64 v1, v[2:3], v[4:5] offset1:1
	ds_write2_b64 v1, v[6:7], v[8:9] offset0:2 offset1:3
	ds_write_b64 v1, v[10:11] offset:32
	s_waitcnt lgkmcnt(0)
	s_barrier
	ds_read2st64_b32 v[12:13], v22 offset1:2
	ds_read2st64_b32 v[14:15], v22 offset0:4 offset1:6
	ds_read2st64_b32 v[16:17], v22 offset0:8 offset1:10
	;; [unrolled: 1-line block ×4, first 2 shown]
	v_mov_b32_e32 v25, s3
	v_add_co_u32_e32 v24, vcc, s2, v22
	v_addc_co_u32_e32 v25, vcc, 0, v25, vcc
	s_waitcnt lgkmcnt(4)
	flat_store_dword v[24:25], v12
	flat_store_dword v[24:25], v13 offset:512
	s_waitcnt lgkmcnt(0)
	flat_store_dword v[24:25], v14 offset:1024
	flat_store_dword v[24:25], v15 offset:1536
	;; [unrolled: 1-line block ×6, first 2 shown]
	v_add_co_u32_e32 v12, vcc, 0x1000, v24
	v_addc_co_u32_e32 v13, vcc, 0, v25, vcc
	flat_store_dword v[12:13], v20
	flat_store_dword v[12:13], v21 offset:512
	s_mov_b64 s[0:1], 0
.LBB6878_65:
	s_andn2_b64 vcc, exec, s[0:1]
	s_cbranch_vccnz .LBB6878_121
; %bb.66:
	ds_write2_b64 v1, v[2:3], v[4:5] offset1:1
	ds_write2_b64 v1, v[6:7], v[8:9] offset0:2 offset1:3
	ds_write_b64 v1, v[10:11] offset:32
	s_waitcnt lgkmcnt(0)
	s_barrier
	ds_read2st64_b32 v[2:3], v22 offset1:2
	ds_read2st64_b32 v[6:7], v22 offset0:4 offset1:6
	ds_read2st64_b32 v[4:5], v22 offset0:8 offset1:10
	;; [unrolled: 1-line block ×4, first 2 shown]
	v_mov_b32_e32 v13, s3
	v_add_co_u32_e32 v12, vcc, s2, v22
	v_addc_co_u32_e32 v13, vcc, 0, v13, vcc
	v_mov_b32_e32 v1, 0
	v_cmp_gt_u32_e32 vcc, s30, v0
	s_and_saveexec_b64 s[0:1], vcc
	s_cbranch_execz .LBB6878_68
; %bb.67:
	s_waitcnt lgkmcnt(0)
	flat_store_dword v[12:13], v2
.LBB6878_68:
	s_or_b64 exec, exec, s[0:1]
	v_or_b32_e32 v14, 0x80, v0
	v_cmp_gt_u32_e32 vcc, s30, v14
	s_and_saveexec_b64 s[0:1], vcc
	s_cbranch_execz .LBB6878_70
; %bb.69:
	s_waitcnt lgkmcnt(0)
	flat_store_dword v[12:13], v3 offset:512
.LBB6878_70:
	s_or_b64 exec, exec, s[0:1]
	v_or_b32_e32 v14, 0x100, v0
	v_cmp_gt_u32_e32 vcc, s30, v14
	s_and_saveexec_b64 s[0:1], vcc
	s_cbranch_execz .LBB6878_72
; %bb.71:
	s_waitcnt lgkmcnt(0)
	flat_store_dword v[12:13], v6 offset:1024
.LBB6878_72:
	s_or_b64 exec, exec, s[0:1]
	v_or_b32_e32 v14, 0x180, v0
	v_cmp_gt_u32_e32 vcc, s30, v14
	s_and_saveexec_b64 s[0:1], vcc
	s_cbranch_execz .LBB6878_74
; %bb.73:
	s_waitcnt lgkmcnt(0)
	flat_store_dword v[12:13], v7 offset:1536
.LBB6878_74:
	s_or_b64 exec, exec, s[0:1]
	v_or_b32_e32 v14, 0x200, v0
	v_cmp_gt_u32_e32 vcc, s30, v14
	s_and_saveexec_b64 s[0:1], vcc
	s_cbranch_execz .LBB6878_76
; %bb.75:
	s_waitcnt lgkmcnt(0)
	flat_store_dword v[12:13], v4 offset:2048
.LBB6878_76:
	s_or_b64 exec, exec, s[0:1]
	v_or_b32_e32 v14, 0x280, v0
	v_cmp_gt_u32_e32 vcc, s30, v14
	s_and_saveexec_b64 s[0:1], vcc
	s_cbranch_execz .LBB6878_78
; %bb.77:
	s_waitcnt lgkmcnt(0)
	flat_store_dword v[12:13], v5 offset:2560
.LBB6878_78:
	s_or_b64 exec, exec, s[0:1]
	v_or_b32_e32 v14, 0x300, v0
	v_cmp_gt_u32_e32 vcc, s30, v14
	s_and_saveexec_b64 s[0:1], vcc
	s_cbranch_execz .LBB6878_80
; %bb.79:
	s_waitcnt lgkmcnt(0)
	flat_store_dword v[12:13], v8 offset:3072
.LBB6878_80:
	s_or_b64 exec, exec, s[0:1]
	v_or_b32_e32 v14, 0x380, v0
	v_cmp_gt_u32_e32 vcc, s30, v14
	s_and_saveexec_b64 s[0:1], vcc
	s_cbranch_execz .LBB6878_82
; %bb.81:
	s_waitcnt lgkmcnt(0)
	flat_store_dword v[12:13], v9 offset:3584
.LBB6878_82:
	s_or_b64 exec, exec, s[0:1]
	v_or_b32_e32 v14, 0x400, v0
	v_cmp_gt_u32_e32 vcc, s30, v14
	s_and_saveexec_b64 s[0:1], vcc
	s_cbranch_execz .LBB6878_84
; %bb.83:
	v_add_co_u32_e32 v14, vcc, 0x1000, v12
	v_addc_co_u32_e32 v15, vcc, 0, v13, vcc
	s_waitcnt lgkmcnt(0)
	flat_store_dword v[14:15], v10
.LBB6878_84:
	s_or_b64 exec, exec, s[0:1]
	v_or_b32_e32 v14, 0x480, v0
	v_cmp_gt_u32_e32 vcc, s30, v14
	s_and_saveexec_b64 s[0:1], vcc
	s_cbranch_execz .LBB6878_86
; %bb.85:
	v_add_co_u32_e32 v12, vcc, 0x1000, v12
	v_addc_co_u32_e32 v13, vcc, 0, v13, vcc
	s_waitcnt lgkmcnt(0)
	flat_store_dword v[12:13], v11 offset:512
.LBB6878_86:
	s_or_b64 exec, exec, s[0:1]
	v_cmp_lt_u64_e64 s[0:1], s[14:15], 2
	s_and_b64 vcc, exec, s[0:1]
	s_cbranch_vccnz .LBB6878_121
; %bb.87:
	s_add_u32 s0, s30, -1
	s_addc_u32 s1, s31, -1
	s_add_u32 s2, 0, 0x99986000
	s_addc_u32 s3, 0, 0x59
	s_add_i32 s3, s3, 0x19999940
	s_mul_hi_u32 s7, s2, -10
	s_sub_i32 s7, s7, s2
	s_mul_i32 s8, s3, -10
	s_mul_i32 s4, s2, -10
	s_add_i32 s7, s7, s8
	s_mul_hi_u32 s5, s3, s4
	s_mul_i32 s6, s3, s4
	s_mul_i32 s9, s2, s7
	s_mul_hi_u32 s4, s2, s4
	s_mul_hi_u32 s8, s2, s7
	s_add_u32 s4, s4, s9
	s_addc_u32 s8, 0, s8
	s_add_u32 s4, s4, s6
	s_mul_hi_u32 s9, s3, s7
	s_addc_u32 s4, s8, s5
	s_addc_u32 s5, s9, 0
	s_mul_i32 s6, s3, s7
	s_add_u32 s4, s4, s6
	v_mov_b32_e32 v12, s4
	s_addc_u32 s5, 0, s5
	v_add_co_u32_e32 v12, vcc, s2, v12
	s_cmp_lg_u64 vcc, 0
	s_addc_u32 s2, s3, s5
	v_readfirstlane_b32 s5, v12
	s_mul_i32 s4, s0, s2
	s_mul_hi_u32 s6, s0, s5
	s_mul_hi_u32 s3, s0, s2
	s_add_u32 s4, s6, s4
	s_addc_u32 s3, 0, s3
	s_mul_hi_u32 s7, s1, s5
	s_mul_i32 s5, s1, s5
	s_add_u32 s4, s4, s5
	s_mul_hi_u32 s6, s1, s2
	s_addc_u32 s3, s3, s7
	s_addc_u32 s4, s6, 0
	s_mul_i32 s2, s1, s2
	s_add_u32 s2, s3, s2
	s_addc_u32 s3, 0, s4
	s_add_u32 s4, s2, 1
	s_addc_u32 s5, s3, 0
	s_add_u32 s6, s2, 2
	s_mul_i32 s8, s3, 10
	s_mul_hi_u32 s9, s2, 10
	s_addc_u32 s7, s3, 0
	s_add_i32 s9, s9, s8
	s_mul_i32 s8, s2, 10
	v_mov_b32_e32 v12, s8
	v_sub_co_u32_e32 v12, vcc, s0, v12
	s_cmp_lg_u64 vcc, 0
	s_subb_u32 s8, s1, s9
	v_subrev_co_u32_e32 v13, vcc, 10, v12
	s_cmp_lg_u64 vcc, 0
	s_subb_u32 s9, s8, 0
	v_readfirstlane_b32 s12, v13
	s_cmp_gt_u32 s12, 9
	s_cselect_b32 s12, -1, 0
	s_cmp_eq_u32 s9, 0
	s_cselect_b32 s9, s12, -1
	s_cmp_lg_u32 s9, 0
	s_cselect_b32 s4, s6, s4
	v_readfirstlane_b32 s6, v12
	s_cselect_b32 s5, s7, s5
	s_cmp_gt_u32 s6, 9
	s_cselect_b32 s6, -1, 0
	s_cmp_eq_u32 s8, 0
	s_cselect_b32 s6, s6, -1
	s_cmp_lg_u32 s6, 0
	s_cselect_b32 s3, s5, s3
	s_cselect_b32 s2, s4, s2
	v_cmp_eq_u64_e32 vcc, s[2:3], v[0:1]
	s_and_saveexec_b64 s[2:3], vcc
	s_cbranch_execz .LBB6878_121
; %bb.88:
	v_mul_hi_u32_u24_e32 v1, 10, v0
	v_mov_b32_e32 v12, s1
	v_sub_co_u32_e32 v0, vcc, s0, v23
	v_subb_co_u32_e32 v1, vcc, v12, v1, vcc
	v_cmp_lt_i64_e32 vcc, 4, v[0:1]
	s_and_saveexec_b64 s[0:1], vcc
	s_xor_b64 s[0:1], exec, s[0:1]
	s_cbranch_execz .LBB6878_106
; %bb.89:
	v_cmp_lt_i64_e32 vcc, 6, v[0:1]
	s_and_saveexec_b64 s[2:3], vcc
	s_xor_b64 s[2:3], exec, s[2:3]
	s_cbranch_execz .LBB6878_99
; %bb.90:
	;; [unrolled: 5-line block ×4, first 2 shown]
	v_mov_b32_e32 v0, 0
	s_waitcnt lgkmcnt(0)
	global_store_dword v0, v11, s[10:11]
                                        ; implicit-def: $vgpr10_vgpr11
.LBB6878_93:
	s_andn2_saveexec_b64 s[6:7], s[6:7]
	s_cbranch_execz .LBB6878_95
; %bb.94:
	v_mov_b32_e32 v0, 0
	s_waitcnt lgkmcnt(0)
	global_store_dword v0, v10, s[10:11]
.LBB6878_95:
	s_or_b64 exec, exec, s[6:7]
                                        ; implicit-def: $vgpr8_vgpr9
.LBB6878_96:
	s_andn2_saveexec_b64 s[4:5], s[4:5]
	s_cbranch_execz .LBB6878_98
; %bb.97:
	v_mov_b32_e32 v0, 0
	s_waitcnt lgkmcnt(0)
	global_store_dword v0, v9, s[10:11]
.LBB6878_98:
	s_or_b64 exec, exec, s[4:5]
                                        ; implicit-def: $vgpr4_vgpr5
                                        ; implicit-def: $vgpr0_vgpr1
                                        ; implicit-def: $vgpr8_vgpr9
.LBB6878_99:
	s_andn2_saveexec_b64 s[2:3], s[2:3]
	s_cbranch_execz .LBB6878_105
; %bb.100:
	v_cmp_lt_i64_e32 vcc, 5, v[0:1]
	s_and_saveexec_b64 s[4:5], vcc
	s_xor_b64 s[4:5], exec, s[4:5]
	s_cbranch_execz .LBB6878_102
; %bb.101:
	v_mov_b32_e32 v0, 0
	s_waitcnt lgkmcnt(0)
	global_store_dword v0, v8, s[10:11]
                                        ; implicit-def: $vgpr4_vgpr5
.LBB6878_102:
	s_andn2_saveexec_b64 s[4:5], s[4:5]
	s_cbranch_execz .LBB6878_104
; %bb.103:
	v_mov_b32_e32 v0, 0
	s_waitcnt lgkmcnt(0)
	global_store_dword v0, v5, s[10:11]
.LBB6878_104:
	s_or_b64 exec, exec, s[4:5]
.LBB6878_105:
	s_or_b64 exec, exec, s[2:3]
                                        ; implicit-def: $vgpr0_vgpr1
                                        ; implicit-def: $vgpr6_vgpr7
                                        ; implicit-def: $vgpr2_vgpr3
                                        ; implicit-def: $vgpr4_vgpr5
.LBB6878_106:
	s_andn2_saveexec_b64 s[0:1], s[0:1]
	s_cbranch_execz .LBB6878_121
; %bb.107:
	v_cmp_lt_i64_e32 vcc, 2, v[0:1]
	s_and_saveexec_b64 s[0:1], vcc
	s_xor_b64 s[0:1], exec, s[0:1]
	s_cbranch_execz .LBB6878_113
; %bb.108:
	v_cmp_lt_i64_e32 vcc, 3, v[0:1]
	s_and_saveexec_b64 s[2:3], vcc
	s_xor_b64 s[2:3], exec, s[2:3]
	s_cbranch_execz .LBB6878_110
; %bb.109:
	v_mov_b32_e32 v0, 0
	s_waitcnt lgkmcnt(0)
	global_store_dword v0, v4, s[10:11]
                                        ; implicit-def: $vgpr6_vgpr7
.LBB6878_110:
	s_andn2_saveexec_b64 s[2:3], s[2:3]
	s_cbranch_execz .LBB6878_112
; %bb.111:
	v_mov_b32_e32 v0, 0
	s_waitcnt lgkmcnt(0)
	global_store_dword v0, v7, s[10:11]
.LBB6878_112:
	s_or_b64 exec, exec, s[2:3]
                                        ; implicit-def: $vgpr0_vgpr1
                                        ; implicit-def: $vgpr6_vgpr7
                                        ; implicit-def: $vgpr2_vgpr3
.LBB6878_113:
	s_andn2_saveexec_b64 s[0:1], s[0:1]
	s_cbranch_execz .LBB6878_121
; %bb.114:
	v_cmp_lt_i64_e32 vcc, 1, v[0:1]
	s_and_saveexec_b64 s[0:1], vcc
	s_xor_b64 s[0:1], exec, s[0:1]
	s_cbranch_execz .LBB6878_116
; %bb.115:
	v_mov_b32_e32 v0, 0
	s_waitcnt lgkmcnt(0)
	global_store_dword v0, v6, s[10:11]
                                        ; implicit-def: $vgpr2_vgpr3
                                        ; implicit-def: $vgpr0_vgpr1
.LBB6878_116:
	s_andn2_saveexec_b64 s[0:1], s[0:1]
	s_cbranch_execz .LBB6878_121
; %bb.117:
	v_cmp_ne_u64_e32 vcc, 1, v[0:1]
	s_and_saveexec_b64 s[0:1], vcc
	s_xor_b64 s[0:1], exec, s[0:1]
	s_cbranch_execz .LBB6878_119
; %bb.118:
	v_mov_b32_e32 v0, 0
	s_waitcnt lgkmcnt(0)
	global_store_dword v0, v2, s[10:11]
                                        ; implicit-def: $vgpr2_vgpr3
.LBB6878_119:
	s_andn2_saveexec_b64 s[0:1], s[0:1]
	s_cbranch_execz .LBB6878_121
; %bb.120:
	v_mov_b32_e32 v0, 0
	s_waitcnt lgkmcnt(0)
	global_store_dword v0, v3, s[10:11]
.LBB6878_121:
	s_endpgm
	.section	.rodata,"a",@progbits
	.p2align	6, 0x0
	.amdhsa_kernel _ZN7rocprim17ROCPRIM_400000_NS6detail17trampoline_kernelINS0_14default_configENS1_20scan_config_selectorIiEEZZNS1_9scan_implILNS1_25lookback_scan_determinismE0ELb1ELb1ES3_N6thrust23THRUST_200600_302600_NS10device_ptrIiEESB_iNS9_4plusIvEEiEEDaPvRmT3_T4_T5_mT6_P12ihipStream_tbENKUlT_T0_E_clISt17integral_constantIbLb0EESQ_IbLb1EEEEDaSM_SN_EUlSM_E_NS1_11comp_targetILNS1_3genE4ELNS1_11target_archE910ELNS1_3gpuE8ELNS1_3repE0EEENS1_30default_config_static_selectorELNS0_4arch9wavefront6targetE1EEEvT1_
		.amdhsa_group_segment_fixed_size 5120
		.amdhsa_private_segment_fixed_size 0
		.amdhsa_kernarg_size 96
		.amdhsa_user_sgpr_count 6
		.amdhsa_user_sgpr_private_segment_buffer 1
		.amdhsa_user_sgpr_dispatch_ptr 0
		.amdhsa_user_sgpr_queue_ptr 0
		.amdhsa_user_sgpr_kernarg_segment_ptr 1
		.amdhsa_user_sgpr_dispatch_id 0
		.amdhsa_user_sgpr_flat_scratch_init 0
		.amdhsa_user_sgpr_kernarg_preload_length 0
		.amdhsa_user_sgpr_kernarg_preload_offset 0
		.amdhsa_user_sgpr_private_segment_size 0
		.amdhsa_uses_dynamic_stack 0
		.amdhsa_system_sgpr_private_segment_wavefront_offset 0
		.amdhsa_system_sgpr_workgroup_id_x 1
		.amdhsa_system_sgpr_workgroup_id_y 0
		.amdhsa_system_sgpr_workgroup_id_z 0
		.amdhsa_system_sgpr_workgroup_info 0
		.amdhsa_system_vgpr_workitem_id 0
		.amdhsa_next_free_vgpr 41
		.amdhsa_next_free_sgpr 40
		.amdhsa_accum_offset 44
		.amdhsa_reserve_vcc 1
		.amdhsa_reserve_flat_scratch 0
		.amdhsa_float_round_mode_32 0
		.amdhsa_float_round_mode_16_64 0
		.amdhsa_float_denorm_mode_32 3
		.amdhsa_float_denorm_mode_16_64 3
		.amdhsa_dx10_clamp 1
		.amdhsa_ieee_mode 1
		.amdhsa_fp16_overflow 0
		.amdhsa_tg_split 0
		.amdhsa_exception_fp_ieee_invalid_op 0
		.amdhsa_exception_fp_denorm_src 0
		.amdhsa_exception_fp_ieee_div_zero 0
		.amdhsa_exception_fp_ieee_overflow 0
		.amdhsa_exception_fp_ieee_underflow 0
		.amdhsa_exception_fp_ieee_inexact 0
		.amdhsa_exception_int_div_zero 0
	.end_amdhsa_kernel
	.section	.text._ZN7rocprim17ROCPRIM_400000_NS6detail17trampoline_kernelINS0_14default_configENS1_20scan_config_selectorIiEEZZNS1_9scan_implILNS1_25lookback_scan_determinismE0ELb1ELb1ES3_N6thrust23THRUST_200600_302600_NS10device_ptrIiEESB_iNS9_4plusIvEEiEEDaPvRmT3_T4_T5_mT6_P12ihipStream_tbENKUlT_T0_E_clISt17integral_constantIbLb0EESQ_IbLb1EEEEDaSM_SN_EUlSM_E_NS1_11comp_targetILNS1_3genE4ELNS1_11target_archE910ELNS1_3gpuE8ELNS1_3repE0EEENS1_30default_config_static_selectorELNS0_4arch9wavefront6targetE1EEEvT1_,"axG",@progbits,_ZN7rocprim17ROCPRIM_400000_NS6detail17trampoline_kernelINS0_14default_configENS1_20scan_config_selectorIiEEZZNS1_9scan_implILNS1_25lookback_scan_determinismE0ELb1ELb1ES3_N6thrust23THRUST_200600_302600_NS10device_ptrIiEESB_iNS9_4plusIvEEiEEDaPvRmT3_T4_T5_mT6_P12ihipStream_tbENKUlT_T0_E_clISt17integral_constantIbLb0EESQ_IbLb1EEEEDaSM_SN_EUlSM_E_NS1_11comp_targetILNS1_3genE4ELNS1_11target_archE910ELNS1_3gpuE8ELNS1_3repE0EEENS1_30default_config_static_selectorELNS0_4arch9wavefront6targetE1EEEvT1_,comdat
.Lfunc_end6878:
	.size	_ZN7rocprim17ROCPRIM_400000_NS6detail17trampoline_kernelINS0_14default_configENS1_20scan_config_selectorIiEEZZNS1_9scan_implILNS1_25lookback_scan_determinismE0ELb1ELb1ES3_N6thrust23THRUST_200600_302600_NS10device_ptrIiEESB_iNS9_4plusIvEEiEEDaPvRmT3_T4_T5_mT6_P12ihipStream_tbENKUlT_T0_E_clISt17integral_constantIbLb0EESQ_IbLb1EEEEDaSM_SN_EUlSM_E_NS1_11comp_targetILNS1_3genE4ELNS1_11target_archE910ELNS1_3gpuE8ELNS1_3repE0EEENS1_30default_config_static_selectorELNS0_4arch9wavefront6targetE1EEEvT1_, .Lfunc_end6878-_ZN7rocprim17ROCPRIM_400000_NS6detail17trampoline_kernelINS0_14default_configENS1_20scan_config_selectorIiEEZZNS1_9scan_implILNS1_25lookback_scan_determinismE0ELb1ELb1ES3_N6thrust23THRUST_200600_302600_NS10device_ptrIiEESB_iNS9_4plusIvEEiEEDaPvRmT3_T4_T5_mT6_P12ihipStream_tbENKUlT_T0_E_clISt17integral_constantIbLb0EESQ_IbLb1EEEEDaSM_SN_EUlSM_E_NS1_11comp_targetILNS1_3genE4ELNS1_11target_archE910ELNS1_3gpuE8ELNS1_3repE0EEENS1_30default_config_static_selectorELNS0_4arch9wavefront6targetE1EEEvT1_
                                        ; -- End function
	.section	.AMDGPU.csdata,"",@progbits
; Kernel info:
; codeLenInByte = 4496
; NumSgprs: 44
; NumVgprs: 41
; NumAgprs: 0
; TotalNumVgprs: 41
; ScratchSize: 0
; MemoryBound: 0
; FloatMode: 240
; IeeeMode: 1
; LDSByteSize: 5120 bytes/workgroup (compile time only)
; SGPRBlocks: 5
; VGPRBlocks: 5
; NumSGPRsForWavesPerEU: 44
; NumVGPRsForWavesPerEU: 41
; AccumOffset: 44
; Occupancy: 6
; WaveLimiterHint : 1
; COMPUTE_PGM_RSRC2:SCRATCH_EN: 0
; COMPUTE_PGM_RSRC2:USER_SGPR: 6
; COMPUTE_PGM_RSRC2:TRAP_HANDLER: 0
; COMPUTE_PGM_RSRC2:TGID_X_EN: 1
; COMPUTE_PGM_RSRC2:TGID_Y_EN: 0
; COMPUTE_PGM_RSRC2:TGID_Z_EN: 0
; COMPUTE_PGM_RSRC2:TIDIG_COMP_CNT: 0
; COMPUTE_PGM_RSRC3_GFX90A:ACCUM_OFFSET: 10
; COMPUTE_PGM_RSRC3_GFX90A:TG_SPLIT: 0
	.section	.text._ZN7rocprim17ROCPRIM_400000_NS6detail17trampoline_kernelINS0_14default_configENS1_20scan_config_selectorIiEEZZNS1_9scan_implILNS1_25lookback_scan_determinismE0ELb1ELb1ES3_N6thrust23THRUST_200600_302600_NS10device_ptrIiEESB_iNS9_4plusIvEEiEEDaPvRmT3_T4_T5_mT6_P12ihipStream_tbENKUlT_T0_E_clISt17integral_constantIbLb0EESQ_IbLb1EEEEDaSM_SN_EUlSM_E_NS1_11comp_targetILNS1_3genE3ELNS1_11target_archE908ELNS1_3gpuE7ELNS1_3repE0EEENS1_30default_config_static_selectorELNS0_4arch9wavefront6targetE1EEEvT1_,"axG",@progbits,_ZN7rocprim17ROCPRIM_400000_NS6detail17trampoline_kernelINS0_14default_configENS1_20scan_config_selectorIiEEZZNS1_9scan_implILNS1_25lookback_scan_determinismE0ELb1ELb1ES3_N6thrust23THRUST_200600_302600_NS10device_ptrIiEESB_iNS9_4plusIvEEiEEDaPvRmT3_T4_T5_mT6_P12ihipStream_tbENKUlT_T0_E_clISt17integral_constantIbLb0EESQ_IbLb1EEEEDaSM_SN_EUlSM_E_NS1_11comp_targetILNS1_3genE3ELNS1_11target_archE908ELNS1_3gpuE7ELNS1_3repE0EEENS1_30default_config_static_selectorELNS0_4arch9wavefront6targetE1EEEvT1_,comdat
	.protected	_ZN7rocprim17ROCPRIM_400000_NS6detail17trampoline_kernelINS0_14default_configENS1_20scan_config_selectorIiEEZZNS1_9scan_implILNS1_25lookback_scan_determinismE0ELb1ELb1ES3_N6thrust23THRUST_200600_302600_NS10device_ptrIiEESB_iNS9_4plusIvEEiEEDaPvRmT3_T4_T5_mT6_P12ihipStream_tbENKUlT_T0_E_clISt17integral_constantIbLb0EESQ_IbLb1EEEEDaSM_SN_EUlSM_E_NS1_11comp_targetILNS1_3genE3ELNS1_11target_archE908ELNS1_3gpuE7ELNS1_3repE0EEENS1_30default_config_static_selectorELNS0_4arch9wavefront6targetE1EEEvT1_ ; -- Begin function _ZN7rocprim17ROCPRIM_400000_NS6detail17trampoline_kernelINS0_14default_configENS1_20scan_config_selectorIiEEZZNS1_9scan_implILNS1_25lookback_scan_determinismE0ELb1ELb1ES3_N6thrust23THRUST_200600_302600_NS10device_ptrIiEESB_iNS9_4plusIvEEiEEDaPvRmT3_T4_T5_mT6_P12ihipStream_tbENKUlT_T0_E_clISt17integral_constantIbLb0EESQ_IbLb1EEEEDaSM_SN_EUlSM_E_NS1_11comp_targetILNS1_3genE3ELNS1_11target_archE908ELNS1_3gpuE7ELNS1_3repE0EEENS1_30default_config_static_selectorELNS0_4arch9wavefront6targetE1EEEvT1_
	.globl	_ZN7rocprim17ROCPRIM_400000_NS6detail17trampoline_kernelINS0_14default_configENS1_20scan_config_selectorIiEEZZNS1_9scan_implILNS1_25lookback_scan_determinismE0ELb1ELb1ES3_N6thrust23THRUST_200600_302600_NS10device_ptrIiEESB_iNS9_4plusIvEEiEEDaPvRmT3_T4_T5_mT6_P12ihipStream_tbENKUlT_T0_E_clISt17integral_constantIbLb0EESQ_IbLb1EEEEDaSM_SN_EUlSM_E_NS1_11comp_targetILNS1_3genE3ELNS1_11target_archE908ELNS1_3gpuE7ELNS1_3repE0EEENS1_30default_config_static_selectorELNS0_4arch9wavefront6targetE1EEEvT1_
	.p2align	8
	.type	_ZN7rocprim17ROCPRIM_400000_NS6detail17trampoline_kernelINS0_14default_configENS1_20scan_config_selectorIiEEZZNS1_9scan_implILNS1_25lookback_scan_determinismE0ELb1ELb1ES3_N6thrust23THRUST_200600_302600_NS10device_ptrIiEESB_iNS9_4plusIvEEiEEDaPvRmT3_T4_T5_mT6_P12ihipStream_tbENKUlT_T0_E_clISt17integral_constantIbLb0EESQ_IbLb1EEEEDaSM_SN_EUlSM_E_NS1_11comp_targetILNS1_3genE3ELNS1_11target_archE908ELNS1_3gpuE7ELNS1_3repE0EEENS1_30default_config_static_selectorELNS0_4arch9wavefront6targetE1EEEvT1_,@function
_ZN7rocprim17ROCPRIM_400000_NS6detail17trampoline_kernelINS0_14default_configENS1_20scan_config_selectorIiEEZZNS1_9scan_implILNS1_25lookback_scan_determinismE0ELb1ELb1ES3_N6thrust23THRUST_200600_302600_NS10device_ptrIiEESB_iNS9_4plusIvEEiEEDaPvRmT3_T4_T5_mT6_P12ihipStream_tbENKUlT_T0_E_clISt17integral_constantIbLb0EESQ_IbLb1EEEEDaSM_SN_EUlSM_E_NS1_11comp_targetILNS1_3genE3ELNS1_11target_archE908ELNS1_3gpuE7ELNS1_3repE0EEENS1_30default_config_static_selectorELNS0_4arch9wavefront6targetE1EEEvT1_: ; @_ZN7rocprim17ROCPRIM_400000_NS6detail17trampoline_kernelINS0_14default_configENS1_20scan_config_selectorIiEEZZNS1_9scan_implILNS1_25lookback_scan_determinismE0ELb1ELb1ES3_N6thrust23THRUST_200600_302600_NS10device_ptrIiEESB_iNS9_4plusIvEEiEEDaPvRmT3_T4_T5_mT6_P12ihipStream_tbENKUlT_T0_E_clISt17integral_constantIbLb0EESQ_IbLb1EEEEDaSM_SN_EUlSM_E_NS1_11comp_targetILNS1_3genE3ELNS1_11target_archE908ELNS1_3gpuE7ELNS1_3repE0EEENS1_30default_config_static_selectorELNS0_4arch9wavefront6targetE1EEEvT1_
; %bb.0:
	.section	.rodata,"a",@progbits
	.p2align	6, 0x0
	.amdhsa_kernel _ZN7rocprim17ROCPRIM_400000_NS6detail17trampoline_kernelINS0_14default_configENS1_20scan_config_selectorIiEEZZNS1_9scan_implILNS1_25lookback_scan_determinismE0ELb1ELb1ES3_N6thrust23THRUST_200600_302600_NS10device_ptrIiEESB_iNS9_4plusIvEEiEEDaPvRmT3_T4_T5_mT6_P12ihipStream_tbENKUlT_T0_E_clISt17integral_constantIbLb0EESQ_IbLb1EEEEDaSM_SN_EUlSM_E_NS1_11comp_targetILNS1_3genE3ELNS1_11target_archE908ELNS1_3gpuE7ELNS1_3repE0EEENS1_30default_config_static_selectorELNS0_4arch9wavefront6targetE1EEEvT1_
		.amdhsa_group_segment_fixed_size 0
		.amdhsa_private_segment_fixed_size 0
		.amdhsa_kernarg_size 96
		.amdhsa_user_sgpr_count 6
		.amdhsa_user_sgpr_private_segment_buffer 1
		.amdhsa_user_sgpr_dispatch_ptr 0
		.amdhsa_user_sgpr_queue_ptr 0
		.amdhsa_user_sgpr_kernarg_segment_ptr 1
		.amdhsa_user_sgpr_dispatch_id 0
		.amdhsa_user_sgpr_flat_scratch_init 0
		.amdhsa_user_sgpr_kernarg_preload_length 0
		.amdhsa_user_sgpr_kernarg_preload_offset 0
		.amdhsa_user_sgpr_private_segment_size 0
		.amdhsa_uses_dynamic_stack 0
		.amdhsa_system_sgpr_private_segment_wavefront_offset 0
		.amdhsa_system_sgpr_workgroup_id_x 1
		.amdhsa_system_sgpr_workgroup_id_y 0
		.amdhsa_system_sgpr_workgroup_id_z 0
		.amdhsa_system_sgpr_workgroup_info 0
		.amdhsa_system_vgpr_workitem_id 0
		.amdhsa_next_free_vgpr 1
		.amdhsa_next_free_sgpr 0
		.amdhsa_accum_offset 4
		.amdhsa_reserve_vcc 0
		.amdhsa_reserve_flat_scratch 0
		.amdhsa_float_round_mode_32 0
		.amdhsa_float_round_mode_16_64 0
		.amdhsa_float_denorm_mode_32 3
		.amdhsa_float_denorm_mode_16_64 3
		.amdhsa_dx10_clamp 1
		.amdhsa_ieee_mode 1
		.amdhsa_fp16_overflow 0
		.amdhsa_tg_split 0
		.amdhsa_exception_fp_ieee_invalid_op 0
		.amdhsa_exception_fp_denorm_src 0
		.amdhsa_exception_fp_ieee_div_zero 0
		.amdhsa_exception_fp_ieee_overflow 0
		.amdhsa_exception_fp_ieee_underflow 0
		.amdhsa_exception_fp_ieee_inexact 0
		.amdhsa_exception_int_div_zero 0
	.end_amdhsa_kernel
	.section	.text._ZN7rocprim17ROCPRIM_400000_NS6detail17trampoline_kernelINS0_14default_configENS1_20scan_config_selectorIiEEZZNS1_9scan_implILNS1_25lookback_scan_determinismE0ELb1ELb1ES3_N6thrust23THRUST_200600_302600_NS10device_ptrIiEESB_iNS9_4plusIvEEiEEDaPvRmT3_T4_T5_mT6_P12ihipStream_tbENKUlT_T0_E_clISt17integral_constantIbLb0EESQ_IbLb1EEEEDaSM_SN_EUlSM_E_NS1_11comp_targetILNS1_3genE3ELNS1_11target_archE908ELNS1_3gpuE7ELNS1_3repE0EEENS1_30default_config_static_selectorELNS0_4arch9wavefront6targetE1EEEvT1_,"axG",@progbits,_ZN7rocprim17ROCPRIM_400000_NS6detail17trampoline_kernelINS0_14default_configENS1_20scan_config_selectorIiEEZZNS1_9scan_implILNS1_25lookback_scan_determinismE0ELb1ELb1ES3_N6thrust23THRUST_200600_302600_NS10device_ptrIiEESB_iNS9_4plusIvEEiEEDaPvRmT3_T4_T5_mT6_P12ihipStream_tbENKUlT_T0_E_clISt17integral_constantIbLb0EESQ_IbLb1EEEEDaSM_SN_EUlSM_E_NS1_11comp_targetILNS1_3genE3ELNS1_11target_archE908ELNS1_3gpuE7ELNS1_3repE0EEENS1_30default_config_static_selectorELNS0_4arch9wavefront6targetE1EEEvT1_,comdat
.Lfunc_end6879:
	.size	_ZN7rocprim17ROCPRIM_400000_NS6detail17trampoline_kernelINS0_14default_configENS1_20scan_config_selectorIiEEZZNS1_9scan_implILNS1_25lookback_scan_determinismE0ELb1ELb1ES3_N6thrust23THRUST_200600_302600_NS10device_ptrIiEESB_iNS9_4plusIvEEiEEDaPvRmT3_T4_T5_mT6_P12ihipStream_tbENKUlT_T0_E_clISt17integral_constantIbLb0EESQ_IbLb1EEEEDaSM_SN_EUlSM_E_NS1_11comp_targetILNS1_3genE3ELNS1_11target_archE908ELNS1_3gpuE7ELNS1_3repE0EEENS1_30default_config_static_selectorELNS0_4arch9wavefront6targetE1EEEvT1_, .Lfunc_end6879-_ZN7rocprim17ROCPRIM_400000_NS6detail17trampoline_kernelINS0_14default_configENS1_20scan_config_selectorIiEEZZNS1_9scan_implILNS1_25lookback_scan_determinismE0ELb1ELb1ES3_N6thrust23THRUST_200600_302600_NS10device_ptrIiEESB_iNS9_4plusIvEEiEEDaPvRmT3_T4_T5_mT6_P12ihipStream_tbENKUlT_T0_E_clISt17integral_constantIbLb0EESQ_IbLb1EEEEDaSM_SN_EUlSM_E_NS1_11comp_targetILNS1_3genE3ELNS1_11target_archE908ELNS1_3gpuE7ELNS1_3repE0EEENS1_30default_config_static_selectorELNS0_4arch9wavefront6targetE1EEEvT1_
                                        ; -- End function
	.section	.AMDGPU.csdata,"",@progbits
; Kernel info:
; codeLenInByte = 0
; NumSgprs: 4
; NumVgprs: 0
; NumAgprs: 0
; TotalNumVgprs: 0
; ScratchSize: 0
; MemoryBound: 0
; FloatMode: 240
; IeeeMode: 1
; LDSByteSize: 0 bytes/workgroup (compile time only)
; SGPRBlocks: 0
; VGPRBlocks: 0
; NumSGPRsForWavesPerEU: 4
; NumVGPRsForWavesPerEU: 1
; AccumOffset: 4
; Occupancy: 8
; WaveLimiterHint : 0
; COMPUTE_PGM_RSRC2:SCRATCH_EN: 0
; COMPUTE_PGM_RSRC2:USER_SGPR: 6
; COMPUTE_PGM_RSRC2:TRAP_HANDLER: 0
; COMPUTE_PGM_RSRC2:TGID_X_EN: 1
; COMPUTE_PGM_RSRC2:TGID_Y_EN: 0
; COMPUTE_PGM_RSRC2:TGID_Z_EN: 0
; COMPUTE_PGM_RSRC2:TIDIG_COMP_CNT: 0
; COMPUTE_PGM_RSRC3_GFX90A:ACCUM_OFFSET: 0
; COMPUTE_PGM_RSRC3_GFX90A:TG_SPLIT: 0
	.section	.text._ZN7rocprim17ROCPRIM_400000_NS6detail17trampoline_kernelINS0_14default_configENS1_20scan_config_selectorIiEEZZNS1_9scan_implILNS1_25lookback_scan_determinismE0ELb1ELb1ES3_N6thrust23THRUST_200600_302600_NS10device_ptrIiEESB_iNS9_4plusIvEEiEEDaPvRmT3_T4_T5_mT6_P12ihipStream_tbENKUlT_T0_E_clISt17integral_constantIbLb0EESQ_IbLb1EEEEDaSM_SN_EUlSM_E_NS1_11comp_targetILNS1_3genE2ELNS1_11target_archE906ELNS1_3gpuE6ELNS1_3repE0EEENS1_30default_config_static_selectorELNS0_4arch9wavefront6targetE1EEEvT1_,"axG",@progbits,_ZN7rocprim17ROCPRIM_400000_NS6detail17trampoline_kernelINS0_14default_configENS1_20scan_config_selectorIiEEZZNS1_9scan_implILNS1_25lookback_scan_determinismE0ELb1ELb1ES3_N6thrust23THRUST_200600_302600_NS10device_ptrIiEESB_iNS9_4plusIvEEiEEDaPvRmT3_T4_T5_mT6_P12ihipStream_tbENKUlT_T0_E_clISt17integral_constantIbLb0EESQ_IbLb1EEEEDaSM_SN_EUlSM_E_NS1_11comp_targetILNS1_3genE2ELNS1_11target_archE906ELNS1_3gpuE6ELNS1_3repE0EEENS1_30default_config_static_selectorELNS0_4arch9wavefront6targetE1EEEvT1_,comdat
	.protected	_ZN7rocprim17ROCPRIM_400000_NS6detail17trampoline_kernelINS0_14default_configENS1_20scan_config_selectorIiEEZZNS1_9scan_implILNS1_25lookback_scan_determinismE0ELb1ELb1ES3_N6thrust23THRUST_200600_302600_NS10device_ptrIiEESB_iNS9_4plusIvEEiEEDaPvRmT3_T4_T5_mT6_P12ihipStream_tbENKUlT_T0_E_clISt17integral_constantIbLb0EESQ_IbLb1EEEEDaSM_SN_EUlSM_E_NS1_11comp_targetILNS1_3genE2ELNS1_11target_archE906ELNS1_3gpuE6ELNS1_3repE0EEENS1_30default_config_static_selectorELNS0_4arch9wavefront6targetE1EEEvT1_ ; -- Begin function _ZN7rocprim17ROCPRIM_400000_NS6detail17trampoline_kernelINS0_14default_configENS1_20scan_config_selectorIiEEZZNS1_9scan_implILNS1_25lookback_scan_determinismE0ELb1ELb1ES3_N6thrust23THRUST_200600_302600_NS10device_ptrIiEESB_iNS9_4plusIvEEiEEDaPvRmT3_T4_T5_mT6_P12ihipStream_tbENKUlT_T0_E_clISt17integral_constantIbLb0EESQ_IbLb1EEEEDaSM_SN_EUlSM_E_NS1_11comp_targetILNS1_3genE2ELNS1_11target_archE906ELNS1_3gpuE6ELNS1_3repE0EEENS1_30default_config_static_selectorELNS0_4arch9wavefront6targetE1EEEvT1_
	.globl	_ZN7rocprim17ROCPRIM_400000_NS6detail17trampoline_kernelINS0_14default_configENS1_20scan_config_selectorIiEEZZNS1_9scan_implILNS1_25lookback_scan_determinismE0ELb1ELb1ES3_N6thrust23THRUST_200600_302600_NS10device_ptrIiEESB_iNS9_4plusIvEEiEEDaPvRmT3_T4_T5_mT6_P12ihipStream_tbENKUlT_T0_E_clISt17integral_constantIbLb0EESQ_IbLb1EEEEDaSM_SN_EUlSM_E_NS1_11comp_targetILNS1_3genE2ELNS1_11target_archE906ELNS1_3gpuE6ELNS1_3repE0EEENS1_30default_config_static_selectorELNS0_4arch9wavefront6targetE1EEEvT1_
	.p2align	8
	.type	_ZN7rocprim17ROCPRIM_400000_NS6detail17trampoline_kernelINS0_14default_configENS1_20scan_config_selectorIiEEZZNS1_9scan_implILNS1_25lookback_scan_determinismE0ELb1ELb1ES3_N6thrust23THRUST_200600_302600_NS10device_ptrIiEESB_iNS9_4plusIvEEiEEDaPvRmT3_T4_T5_mT6_P12ihipStream_tbENKUlT_T0_E_clISt17integral_constantIbLb0EESQ_IbLb1EEEEDaSM_SN_EUlSM_E_NS1_11comp_targetILNS1_3genE2ELNS1_11target_archE906ELNS1_3gpuE6ELNS1_3repE0EEENS1_30default_config_static_selectorELNS0_4arch9wavefront6targetE1EEEvT1_,@function
_ZN7rocprim17ROCPRIM_400000_NS6detail17trampoline_kernelINS0_14default_configENS1_20scan_config_selectorIiEEZZNS1_9scan_implILNS1_25lookback_scan_determinismE0ELb1ELb1ES3_N6thrust23THRUST_200600_302600_NS10device_ptrIiEESB_iNS9_4plusIvEEiEEDaPvRmT3_T4_T5_mT6_P12ihipStream_tbENKUlT_T0_E_clISt17integral_constantIbLb0EESQ_IbLb1EEEEDaSM_SN_EUlSM_E_NS1_11comp_targetILNS1_3genE2ELNS1_11target_archE906ELNS1_3gpuE6ELNS1_3repE0EEENS1_30default_config_static_selectorELNS0_4arch9wavefront6targetE1EEEvT1_: ; @_ZN7rocprim17ROCPRIM_400000_NS6detail17trampoline_kernelINS0_14default_configENS1_20scan_config_selectorIiEEZZNS1_9scan_implILNS1_25lookback_scan_determinismE0ELb1ELb1ES3_N6thrust23THRUST_200600_302600_NS10device_ptrIiEESB_iNS9_4plusIvEEiEEDaPvRmT3_T4_T5_mT6_P12ihipStream_tbENKUlT_T0_E_clISt17integral_constantIbLb0EESQ_IbLb1EEEEDaSM_SN_EUlSM_E_NS1_11comp_targetILNS1_3genE2ELNS1_11target_archE906ELNS1_3gpuE6ELNS1_3repE0EEENS1_30default_config_static_selectorELNS0_4arch9wavefront6targetE1EEEvT1_
; %bb.0:
	.section	.rodata,"a",@progbits
	.p2align	6, 0x0
	.amdhsa_kernel _ZN7rocprim17ROCPRIM_400000_NS6detail17trampoline_kernelINS0_14default_configENS1_20scan_config_selectorIiEEZZNS1_9scan_implILNS1_25lookback_scan_determinismE0ELb1ELb1ES3_N6thrust23THRUST_200600_302600_NS10device_ptrIiEESB_iNS9_4plusIvEEiEEDaPvRmT3_T4_T5_mT6_P12ihipStream_tbENKUlT_T0_E_clISt17integral_constantIbLb0EESQ_IbLb1EEEEDaSM_SN_EUlSM_E_NS1_11comp_targetILNS1_3genE2ELNS1_11target_archE906ELNS1_3gpuE6ELNS1_3repE0EEENS1_30default_config_static_selectorELNS0_4arch9wavefront6targetE1EEEvT1_
		.amdhsa_group_segment_fixed_size 0
		.amdhsa_private_segment_fixed_size 0
		.amdhsa_kernarg_size 96
		.amdhsa_user_sgpr_count 6
		.amdhsa_user_sgpr_private_segment_buffer 1
		.amdhsa_user_sgpr_dispatch_ptr 0
		.amdhsa_user_sgpr_queue_ptr 0
		.amdhsa_user_sgpr_kernarg_segment_ptr 1
		.amdhsa_user_sgpr_dispatch_id 0
		.amdhsa_user_sgpr_flat_scratch_init 0
		.amdhsa_user_sgpr_kernarg_preload_length 0
		.amdhsa_user_sgpr_kernarg_preload_offset 0
		.amdhsa_user_sgpr_private_segment_size 0
		.amdhsa_uses_dynamic_stack 0
		.amdhsa_system_sgpr_private_segment_wavefront_offset 0
		.amdhsa_system_sgpr_workgroup_id_x 1
		.amdhsa_system_sgpr_workgroup_id_y 0
		.amdhsa_system_sgpr_workgroup_id_z 0
		.amdhsa_system_sgpr_workgroup_info 0
		.amdhsa_system_vgpr_workitem_id 0
		.amdhsa_next_free_vgpr 1
		.amdhsa_next_free_sgpr 0
		.amdhsa_accum_offset 4
		.amdhsa_reserve_vcc 0
		.amdhsa_reserve_flat_scratch 0
		.amdhsa_float_round_mode_32 0
		.amdhsa_float_round_mode_16_64 0
		.amdhsa_float_denorm_mode_32 3
		.amdhsa_float_denorm_mode_16_64 3
		.amdhsa_dx10_clamp 1
		.amdhsa_ieee_mode 1
		.amdhsa_fp16_overflow 0
		.amdhsa_tg_split 0
		.amdhsa_exception_fp_ieee_invalid_op 0
		.amdhsa_exception_fp_denorm_src 0
		.amdhsa_exception_fp_ieee_div_zero 0
		.amdhsa_exception_fp_ieee_overflow 0
		.amdhsa_exception_fp_ieee_underflow 0
		.amdhsa_exception_fp_ieee_inexact 0
		.amdhsa_exception_int_div_zero 0
	.end_amdhsa_kernel
	.section	.text._ZN7rocprim17ROCPRIM_400000_NS6detail17trampoline_kernelINS0_14default_configENS1_20scan_config_selectorIiEEZZNS1_9scan_implILNS1_25lookback_scan_determinismE0ELb1ELb1ES3_N6thrust23THRUST_200600_302600_NS10device_ptrIiEESB_iNS9_4plusIvEEiEEDaPvRmT3_T4_T5_mT6_P12ihipStream_tbENKUlT_T0_E_clISt17integral_constantIbLb0EESQ_IbLb1EEEEDaSM_SN_EUlSM_E_NS1_11comp_targetILNS1_3genE2ELNS1_11target_archE906ELNS1_3gpuE6ELNS1_3repE0EEENS1_30default_config_static_selectorELNS0_4arch9wavefront6targetE1EEEvT1_,"axG",@progbits,_ZN7rocprim17ROCPRIM_400000_NS6detail17trampoline_kernelINS0_14default_configENS1_20scan_config_selectorIiEEZZNS1_9scan_implILNS1_25lookback_scan_determinismE0ELb1ELb1ES3_N6thrust23THRUST_200600_302600_NS10device_ptrIiEESB_iNS9_4plusIvEEiEEDaPvRmT3_T4_T5_mT6_P12ihipStream_tbENKUlT_T0_E_clISt17integral_constantIbLb0EESQ_IbLb1EEEEDaSM_SN_EUlSM_E_NS1_11comp_targetILNS1_3genE2ELNS1_11target_archE906ELNS1_3gpuE6ELNS1_3repE0EEENS1_30default_config_static_selectorELNS0_4arch9wavefront6targetE1EEEvT1_,comdat
.Lfunc_end6880:
	.size	_ZN7rocprim17ROCPRIM_400000_NS6detail17trampoline_kernelINS0_14default_configENS1_20scan_config_selectorIiEEZZNS1_9scan_implILNS1_25lookback_scan_determinismE0ELb1ELb1ES3_N6thrust23THRUST_200600_302600_NS10device_ptrIiEESB_iNS9_4plusIvEEiEEDaPvRmT3_T4_T5_mT6_P12ihipStream_tbENKUlT_T0_E_clISt17integral_constantIbLb0EESQ_IbLb1EEEEDaSM_SN_EUlSM_E_NS1_11comp_targetILNS1_3genE2ELNS1_11target_archE906ELNS1_3gpuE6ELNS1_3repE0EEENS1_30default_config_static_selectorELNS0_4arch9wavefront6targetE1EEEvT1_, .Lfunc_end6880-_ZN7rocprim17ROCPRIM_400000_NS6detail17trampoline_kernelINS0_14default_configENS1_20scan_config_selectorIiEEZZNS1_9scan_implILNS1_25lookback_scan_determinismE0ELb1ELb1ES3_N6thrust23THRUST_200600_302600_NS10device_ptrIiEESB_iNS9_4plusIvEEiEEDaPvRmT3_T4_T5_mT6_P12ihipStream_tbENKUlT_T0_E_clISt17integral_constantIbLb0EESQ_IbLb1EEEEDaSM_SN_EUlSM_E_NS1_11comp_targetILNS1_3genE2ELNS1_11target_archE906ELNS1_3gpuE6ELNS1_3repE0EEENS1_30default_config_static_selectorELNS0_4arch9wavefront6targetE1EEEvT1_
                                        ; -- End function
	.section	.AMDGPU.csdata,"",@progbits
; Kernel info:
; codeLenInByte = 0
; NumSgprs: 4
; NumVgprs: 0
; NumAgprs: 0
; TotalNumVgprs: 0
; ScratchSize: 0
; MemoryBound: 0
; FloatMode: 240
; IeeeMode: 1
; LDSByteSize: 0 bytes/workgroup (compile time only)
; SGPRBlocks: 0
; VGPRBlocks: 0
; NumSGPRsForWavesPerEU: 4
; NumVGPRsForWavesPerEU: 1
; AccumOffset: 4
; Occupancy: 8
; WaveLimiterHint : 0
; COMPUTE_PGM_RSRC2:SCRATCH_EN: 0
; COMPUTE_PGM_RSRC2:USER_SGPR: 6
; COMPUTE_PGM_RSRC2:TRAP_HANDLER: 0
; COMPUTE_PGM_RSRC2:TGID_X_EN: 1
; COMPUTE_PGM_RSRC2:TGID_Y_EN: 0
; COMPUTE_PGM_RSRC2:TGID_Z_EN: 0
; COMPUTE_PGM_RSRC2:TIDIG_COMP_CNT: 0
; COMPUTE_PGM_RSRC3_GFX90A:ACCUM_OFFSET: 0
; COMPUTE_PGM_RSRC3_GFX90A:TG_SPLIT: 0
	.section	.text._ZN7rocprim17ROCPRIM_400000_NS6detail17trampoline_kernelINS0_14default_configENS1_20scan_config_selectorIiEEZZNS1_9scan_implILNS1_25lookback_scan_determinismE0ELb1ELb1ES3_N6thrust23THRUST_200600_302600_NS10device_ptrIiEESB_iNS9_4plusIvEEiEEDaPvRmT3_T4_T5_mT6_P12ihipStream_tbENKUlT_T0_E_clISt17integral_constantIbLb0EESQ_IbLb1EEEEDaSM_SN_EUlSM_E_NS1_11comp_targetILNS1_3genE10ELNS1_11target_archE1201ELNS1_3gpuE5ELNS1_3repE0EEENS1_30default_config_static_selectorELNS0_4arch9wavefront6targetE1EEEvT1_,"axG",@progbits,_ZN7rocprim17ROCPRIM_400000_NS6detail17trampoline_kernelINS0_14default_configENS1_20scan_config_selectorIiEEZZNS1_9scan_implILNS1_25lookback_scan_determinismE0ELb1ELb1ES3_N6thrust23THRUST_200600_302600_NS10device_ptrIiEESB_iNS9_4plusIvEEiEEDaPvRmT3_T4_T5_mT6_P12ihipStream_tbENKUlT_T0_E_clISt17integral_constantIbLb0EESQ_IbLb1EEEEDaSM_SN_EUlSM_E_NS1_11comp_targetILNS1_3genE10ELNS1_11target_archE1201ELNS1_3gpuE5ELNS1_3repE0EEENS1_30default_config_static_selectorELNS0_4arch9wavefront6targetE1EEEvT1_,comdat
	.protected	_ZN7rocprim17ROCPRIM_400000_NS6detail17trampoline_kernelINS0_14default_configENS1_20scan_config_selectorIiEEZZNS1_9scan_implILNS1_25lookback_scan_determinismE0ELb1ELb1ES3_N6thrust23THRUST_200600_302600_NS10device_ptrIiEESB_iNS9_4plusIvEEiEEDaPvRmT3_T4_T5_mT6_P12ihipStream_tbENKUlT_T0_E_clISt17integral_constantIbLb0EESQ_IbLb1EEEEDaSM_SN_EUlSM_E_NS1_11comp_targetILNS1_3genE10ELNS1_11target_archE1201ELNS1_3gpuE5ELNS1_3repE0EEENS1_30default_config_static_selectorELNS0_4arch9wavefront6targetE1EEEvT1_ ; -- Begin function _ZN7rocprim17ROCPRIM_400000_NS6detail17trampoline_kernelINS0_14default_configENS1_20scan_config_selectorIiEEZZNS1_9scan_implILNS1_25lookback_scan_determinismE0ELb1ELb1ES3_N6thrust23THRUST_200600_302600_NS10device_ptrIiEESB_iNS9_4plusIvEEiEEDaPvRmT3_T4_T5_mT6_P12ihipStream_tbENKUlT_T0_E_clISt17integral_constantIbLb0EESQ_IbLb1EEEEDaSM_SN_EUlSM_E_NS1_11comp_targetILNS1_3genE10ELNS1_11target_archE1201ELNS1_3gpuE5ELNS1_3repE0EEENS1_30default_config_static_selectorELNS0_4arch9wavefront6targetE1EEEvT1_
	.globl	_ZN7rocprim17ROCPRIM_400000_NS6detail17trampoline_kernelINS0_14default_configENS1_20scan_config_selectorIiEEZZNS1_9scan_implILNS1_25lookback_scan_determinismE0ELb1ELb1ES3_N6thrust23THRUST_200600_302600_NS10device_ptrIiEESB_iNS9_4plusIvEEiEEDaPvRmT3_T4_T5_mT6_P12ihipStream_tbENKUlT_T0_E_clISt17integral_constantIbLb0EESQ_IbLb1EEEEDaSM_SN_EUlSM_E_NS1_11comp_targetILNS1_3genE10ELNS1_11target_archE1201ELNS1_3gpuE5ELNS1_3repE0EEENS1_30default_config_static_selectorELNS0_4arch9wavefront6targetE1EEEvT1_
	.p2align	8
	.type	_ZN7rocprim17ROCPRIM_400000_NS6detail17trampoline_kernelINS0_14default_configENS1_20scan_config_selectorIiEEZZNS1_9scan_implILNS1_25lookback_scan_determinismE0ELb1ELb1ES3_N6thrust23THRUST_200600_302600_NS10device_ptrIiEESB_iNS9_4plusIvEEiEEDaPvRmT3_T4_T5_mT6_P12ihipStream_tbENKUlT_T0_E_clISt17integral_constantIbLb0EESQ_IbLb1EEEEDaSM_SN_EUlSM_E_NS1_11comp_targetILNS1_3genE10ELNS1_11target_archE1201ELNS1_3gpuE5ELNS1_3repE0EEENS1_30default_config_static_selectorELNS0_4arch9wavefront6targetE1EEEvT1_,@function
_ZN7rocprim17ROCPRIM_400000_NS6detail17trampoline_kernelINS0_14default_configENS1_20scan_config_selectorIiEEZZNS1_9scan_implILNS1_25lookback_scan_determinismE0ELb1ELb1ES3_N6thrust23THRUST_200600_302600_NS10device_ptrIiEESB_iNS9_4plusIvEEiEEDaPvRmT3_T4_T5_mT6_P12ihipStream_tbENKUlT_T0_E_clISt17integral_constantIbLb0EESQ_IbLb1EEEEDaSM_SN_EUlSM_E_NS1_11comp_targetILNS1_3genE10ELNS1_11target_archE1201ELNS1_3gpuE5ELNS1_3repE0EEENS1_30default_config_static_selectorELNS0_4arch9wavefront6targetE1EEEvT1_: ; @_ZN7rocprim17ROCPRIM_400000_NS6detail17trampoline_kernelINS0_14default_configENS1_20scan_config_selectorIiEEZZNS1_9scan_implILNS1_25lookback_scan_determinismE0ELb1ELb1ES3_N6thrust23THRUST_200600_302600_NS10device_ptrIiEESB_iNS9_4plusIvEEiEEDaPvRmT3_T4_T5_mT6_P12ihipStream_tbENKUlT_T0_E_clISt17integral_constantIbLb0EESQ_IbLb1EEEEDaSM_SN_EUlSM_E_NS1_11comp_targetILNS1_3genE10ELNS1_11target_archE1201ELNS1_3gpuE5ELNS1_3repE0EEENS1_30default_config_static_selectorELNS0_4arch9wavefront6targetE1EEEvT1_
; %bb.0:
	.section	.rodata,"a",@progbits
	.p2align	6, 0x0
	.amdhsa_kernel _ZN7rocprim17ROCPRIM_400000_NS6detail17trampoline_kernelINS0_14default_configENS1_20scan_config_selectorIiEEZZNS1_9scan_implILNS1_25lookback_scan_determinismE0ELb1ELb1ES3_N6thrust23THRUST_200600_302600_NS10device_ptrIiEESB_iNS9_4plusIvEEiEEDaPvRmT3_T4_T5_mT6_P12ihipStream_tbENKUlT_T0_E_clISt17integral_constantIbLb0EESQ_IbLb1EEEEDaSM_SN_EUlSM_E_NS1_11comp_targetILNS1_3genE10ELNS1_11target_archE1201ELNS1_3gpuE5ELNS1_3repE0EEENS1_30default_config_static_selectorELNS0_4arch9wavefront6targetE1EEEvT1_
		.amdhsa_group_segment_fixed_size 0
		.amdhsa_private_segment_fixed_size 0
		.amdhsa_kernarg_size 96
		.amdhsa_user_sgpr_count 6
		.amdhsa_user_sgpr_private_segment_buffer 1
		.amdhsa_user_sgpr_dispatch_ptr 0
		.amdhsa_user_sgpr_queue_ptr 0
		.amdhsa_user_sgpr_kernarg_segment_ptr 1
		.amdhsa_user_sgpr_dispatch_id 0
		.amdhsa_user_sgpr_flat_scratch_init 0
		.amdhsa_user_sgpr_kernarg_preload_length 0
		.amdhsa_user_sgpr_kernarg_preload_offset 0
		.amdhsa_user_sgpr_private_segment_size 0
		.amdhsa_uses_dynamic_stack 0
		.amdhsa_system_sgpr_private_segment_wavefront_offset 0
		.amdhsa_system_sgpr_workgroup_id_x 1
		.amdhsa_system_sgpr_workgroup_id_y 0
		.amdhsa_system_sgpr_workgroup_id_z 0
		.amdhsa_system_sgpr_workgroup_info 0
		.amdhsa_system_vgpr_workitem_id 0
		.amdhsa_next_free_vgpr 1
		.amdhsa_next_free_sgpr 0
		.amdhsa_accum_offset 4
		.amdhsa_reserve_vcc 0
		.amdhsa_reserve_flat_scratch 0
		.amdhsa_float_round_mode_32 0
		.amdhsa_float_round_mode_16_64 0
		.amdhsa_float_denorm_mode_32 3
		.amdhsa_float_denorm_mode_16_64 3
		.amdhsa_dx10_clamp 1
		.amdhsa_ieee_mode 1
		.amdhsa_fp16_overflow 0
		.amdhsa_tg_split 0
		.amdhsa_exception_fp_ieee_invalid_op 0
		.amdhsa_exception_fp_denorm_src 0
		.amdhsa_exception_fp_ieee_div_zero 0
		.amdhsa_exception_fp_ieee_overflow 0
		.amdhsa_exception_fp_ieee_underflow 0
		.amdhsa_exception_fp_ieee_inexact 0
		.amdhsa_exception_int_div_zero 0
	.end_amdhsa_kernel
	.section	.text._ZN7rocprim17ROCPRIM_400000_NS6detail17trampoline_kernelINS0_14default_configENS1_20scan_config_selectorIiEEZZNS1_9scan_implILNS1_25lookback_scan_determinismE0ELb1ELb1ES3_N6thrust23THRUST_200600_302600_NS10device_ptrIiEESB_iNS9_4plusIvEEiEEDaPvRmT3_T4_T5_mT6_P12ihipStream_tbENKUlT_T0_E_clISt17integral_constantIbLb0EESQ_IbLb1EEEEDaSM_SN_EUlSM_E_NS1_11comp_targetILNS1_3genE10ELNS1_11target_archE1201ELNS1_3gpuE5ELNS1_3repE0EEENS1_30default_config_static_selectorELNS0_4arch9wavefront6targetE1EEEvT1_,"axG",@progbits,_ZN7rocprim17ROCPRIM_400000_NS6detail17trampoline_kernelINS0_14default_configENS1_20scan_config_selectorIiEEZZNS1_9scan_implILNS1_25lookback_scan_determinismE0ELb1ELb1ES3_N6thrust23THRUST_200600_302600_NS10device_ptrIiEESB_iNS9_4plusIvEEiEEDaPvRmT3_T4_T5_mT6_P12ihipStream_tbENKUlT_T0_E_clISt17integral_constantIbLb0EESQ_IbLb1EEEEDaSM_SN_EUlSM_E_NS1_11comp_targetILNS1_3genE10ELNS1_11target_archE1201ELNS1_3gpuE5ELNS1_3repE0EEENS1_30default_config_static_selectorELNS0_4arch9wavefront6targetE1EEEvT1_,comdat
.Lfunc_end6881:
	.size	_ZN7rocprim17ROCPRIM_400000_NS6detail17trampoline_kernelINS0_14default_configENS1_20scan_config_selectorIiEEZZNS1_9scan_implILNS1_25lookback_scan_determinismE0ELb1ELb1ES3_N6thrust23THRUST_200600_302600_NS10device_ptrIiEESB_iNS9_4plusIvEEiEEDaPvRmT3_T4_T5_mT6_P12ihipStream_tbENKUlT_T0_E_clISt17integral_constantIbLb0EESQ_IbLb1EEEEDaSM_SN_EUlSM_E_NS1_11comp_targetILNS1_3genE10ELNS1_11target_archE1201ELNS1_3gpuE5ELNS1_3repE0EEENS1_30default_config_static_selectorELNS0_4arch9wavefront6targetE1EEEvT1_, .Lfunc_end6881-_ZN7rocprim17ROCPRIM_400000_NS6detail17trampoline_kernelINS0_14default_configENS1_20scan_config_selectorIiEEZZNS1_9scan_implILNS1_25lookback_scan_determinismE0ELb1ELb1ES3_N6thrust23THRUST_200600_302600_NS10device_ptrIiEESB_iNS9_4plusIvEEiEEDaPvRmT3_T4_T5_mT6_P12ihipStream_tbENKUlT_T0_E_clISt17integral_constantIbLb0EESQ_IbLb1EEEEDaSM_SN_EUlSM_E_NS1_11comp_targetILNS1_3genE10ELNS1_11target_archE1201ELNS1_3gpuE5ELNS1_3repE0EEENS1_30default_config_static_selectorELNS0_4arch9wavefront6targetE1EEEvT1_
                                        ; -- End function
	.section	.AMDGPU.csdata,"",@progbits
; Kernel info:
; codeLenInByte = 0
; NumSgprs: 4
; NumVgprs: 0
; NumAgprs: 0
; TotalNumVgprs: 0
; ScratchSize: 0
; MemoryBound: 0
; FloatMode: 240
; IeeeMode: 1
; LDSByteSize: 0 bytes/workgroup (compile time only)
; SGPRBlocks: 0
; VGPRBlocks: 0
; NumSGPRsForWavesPerEU: 4
; NumVGPRsForWavesPerEU: 1
; AccumOffset: 4
; Occupancy: 8
; WaveLimiterHint : 0
; COMPUTE_PGM_RSRC2:SCRATCH_EN: 0
; COMPUTE_PGM_RSRC2:USER_SGPR: 6
; COMPUTE_PGM_RSRC2:TRAP_HANDLER: 0
; COMPUTE_PGM_RSRC2:TGID_X_EN: 1
; COMPUTE_PGM_RSRC2:TGID_Y_EN: 0
; COMPUTE_PGM_RSRC2:TGID_Z_EN: 0
; COMPUTE_PGM_RSRC2:TIDIG_COMP_CNT: 0
; COMPUTE_PGM_RSRC3_GFX90A:ACCUM_OFFSET: 0
; COMPUTE_PGM_RSRC3_GFX90A:TG_SPLIT: 0
	.section	.text._ZN7rocprim17ROCPRIM_400000_NS6detail17trampoline_kernelINS0_14default_configENS1_20scan_config_selectorIiEEZZNS1_9scan_implILNS1_25lookback_scan_determinismE0ELb1ELb1ES3_N6thrust23THRUST_200600_302600_NS10device_ptrIiEESB_iNS9_4plusIvEEiEEDaPvRmT3_T4_T5_mT6_P12ihipStream_tbENKUlT_T0_E_clISt17integral_constantIbLb0EESQ_IbLb1EEEEDaSM_SN_EUlSM_E_NS1_11comp_targetILNS1_3genE10ELNS1_11target_archE1200ELNS1_3gpuE4ELNS1_3repE0EEENS1_30default_config_static_selectorELNS0_4arch9wavefront6targetE1EEEvT1_,"axG",@progbits,_ZN7rocprim17ROCPRIM_400000_NS6detail17trampoline_kernelINS0_14default_configENS1_20scan_config_selectorIiEEZZNS1_9scan_implILNS1_25lookback_scan_determinismE0ELb1ELb1ES3_N6thrust23THRUST_200600_302600_NS10device_ptrIiEESB_iNS9_4plusIvEEiEEDaPvRmT3_T4_T5_mT6_P12ihipStream_tbENKUlT_T0_E_clISt17integral_constantIbLb0EESQ_IbLb1EEEEDaSM_SN_EUlSM_E_NS1_11comp_targetILNS1_3genE10ELNS1_11target_archE1200ELNS1_3gpuE4ELNS1_3repE0EEENS1_30default_config_static_selectorELNS0_4arch9wavefront6targetE1EEEvT1_,comdat
	.protected	_ZN7rocprim17ROCPRIM_400000_NS6detail17trampoline_kernelINS0_14default_configENS1_20scan_config_selectorIiEEZZNS1_9scan_implILNS1_25lookback_scan_determinismE0ELb1ELb1ES3_N6thrust23THRUST_200600_302600_NS10device_ptrIiEESB_iNS9_4plusIvEEiEEDaPvRmT3_T4_T5_mT6_P12ihipStream_tbENKUlT_T0_E_clISt17integral_constantIbLb0EESQ_IbLb1EEEEDaSM_SN_EUlSM_E_NS1_11comp_targetILNS1_3genE10ELNS1_11target_archE1200ELNS1_3gpuE4ELNS1_3repE0EEENS1_30default_config_static_selectorELNS0_4arch9wavefront6targetE1EEEvT1_ ; -- Begin function _ZN7rocprim17ROCPRIM_400000_NS6detail17trampoline_kernelINS0_14default_configENS1_20scan_config_selectorIiEEZZNS1_9scan_implILNS1_25lookback_scan_determinismE0ELb1ELb1ES3_N6thrust23THRUST_200600_302600_NS10device_ptrIiEESB_iNS9_4plusIvEEiEEDaPvRmT3_T4_T5_mT6_P12ihipStream_tbENKUlT_T0_E_clISt17integral_constantIbLb0EESQ_IbLb1EEEEDaSM_SN_EUlSM_E_NS1_11comp_targetILNS1_3genE10ELNS1_11target_archE1200ELNS1_3gpuE4ELNS1_3repE0EEENS1_30default_config_static_selectorELNS0_4arch9wavefront6targetE1EEEvT1_
	.globl	_ZN7rocprim17ROCPRIM_400000_NS6detail17trampoline_kernelINS0_14default_configENS1_20scan_config_selectorIiEEZZNS1_9scan_implILNS1_25lookback_scan_determinismE0ELb1ELb1ES3_N6thrust23THRUST_200600_302600_NS10device_ptrIiEESB_iNS9_4plusIvEEiEEDaPvRmT3_T4_T5_mT6_P12ihipStream_tbENKUlT_T0_E_clISt17integral_constantIbLb0EESQ_IbLb1EEEEDaSM_SN_EUlSM_E_NS1_11comp_targetILNS1_3genE10ELNS1_11target_archE1200ELNS1_3gpuE4ELNS1_3repE0EEENS1_30default_config_static_selectorELNS0_4arch9wavefront6targetE1EEEvT1_
	.p2align	8
	.type	_ZN7rocprim17ROCPRIM_400000_NS6detail17trampoline_kernelINS0_14default_configENS1_20scan_config_selectorIiEEZZNS1_9scan_implILNS1_25lookback_scan_determinismE0ELb1ELb1ES3_N6thrust23THRUST_200600_302600_NS10device_ptrIiEESB_iNS9_4plusIvEEiEEDaPvRmT3_T4_T5_mT6_P12ihipStream_tbENKUlT_T0_E_clISt17integral_constantIbLb0EESQ_IbLb1EEEEDaSM_SN_EUlSM_E_NS1_11comp_targetILNS1_3genE10ELNS1_11target_archE1200ELNS1_3gpuE4ELNS1_3repE0EEENS1_30default_config_static_selectorELNS0_4arch9wavefront6targetE1EEEvT1_,@function
_ZN7rocprim17ROCPRIM_400000_NS6detail17trampoline_kernelINS0_14default_configENS1_20scan_config_selectorIiEEZZNS1_9scan_implILNS1_25lookback_scan_determinismE0ELb1ELb1ES3_N6thrust23THRUST_200600_302600_NS10device_ptrIiEESB_iNS9_4plusIvEEiEEDaPvRmT3_T4_T5_mT6_P12ihipStream_tbENKUlT_T0_E_clISt17integral_constantIbLb0EESQ_IbLb1EEEEDaSM_SN_EUlSM_E_NS1_11comp_targetILNS1_3genE10ELNS1_11target_archE1200ELNS1_3gpuE4ELNS1_3repE0EEENS1_30default_config_static_selectorELNS0_4arch9wavefront6targetE1EEEvT1_: ; @_ZN7rocprim17ROCPRIM_400000_NS6detail17trampoline_kernelINS0_14default_configENS1_20scan_config_selectorIiEEZZNS1_9scan_implILNS1_25lookback_scan_determinismE0ELb1ELb1ES3_N6thrust23THRUST_200600_302600_NS10device_ptrIiEESB_iNS9_4plusIvEEiEEDaPvRmT3_T4_T5_mT6_P12ihipStream_tbENKUlT_T0_E_clISt17integral_constantIbLb0EESQ_IbLb1EEEEDaSM_SN_EUlSM_E_NS1_11comp_targetILNS1_3genE10ELNS1_11target_archE1200ELNS1_3gpuE4ELNS1_3repE0EEENS1_30default_config_static_selectorELNS0_4arch9wavefront6targetE1EEEvT1_
; %bb.0:
	.section	.rodata,"a",@progbits
	.p2align	6, 0x0
	.amdhsa_kernel _ZN7rocprim17ROCPRIM_400000_NS6detail17trampoline_kernelINS0_14default_configENS1_20scan_config_selectorIiEEZZNS1_9scan_implILNS1_25lookback_scan_determinismE0ELb1ELb1ES3_N6thrust23THRUST_200600_302600_NS10device_ptrIiEESB_iNS9_4plusIvEEiEEDaPvRmT3_T4_T5_mT6_P12ihipStream_tbENKUlT_T0_E_clISt17integral_constantIbLb0EESQ_IbLb1EEEEDaSM_SN_EUlSM_E_NS1_11comp_targetILNS1_3genE10ELNS1_11target_archE1200ELNS1_3gpuE4ELNS1_3repE0EEENS1_30default_config_static_selectorELNS0_4arch9wavefront6targetE1EEEvT1_
		.amdhsa_group_segment_fixed_size 0
		.amdhsa_private_segment_fixed_size 0
		.amdhsa_kernarg_size 96
		.amdhsa_user_sgpr_count 6
		.amdhsa_user_sgpr_private_segment_buffer 1
		.amdhsa_user_sgpr_dispatch_ptr 0
		.amdhsa_user_sgpr_queue_ptr 0
		.amdhsa_user_sgpr_kernarg_segment_ptr 1
		.amdhsa_user_sgpr_dispatch_id 0
		.amdhsa_user_sgpr_flat_scratch_init 0
		.amdhsa_user_sgpr_kernarg_preload_length 0
		.amdhsa_user_sgpr_kernarg_preload_offset 0
		.amdhsa_user_sgpr_private_segment_size 0
		.amdhsa_uses_dynamic_stack 0
		.amdhsa_system_sgpr_private_segment_wavefront_offset 0
		.amdhsa_system_sgpr_workgroup_id_x 1
		.amdhsa_system_sgpr_workgroup_id_y 0
		.amdhsa_system_sgpr_workgroup_id_z 0
		.amdhsa_system_sgpr_workgroup_info 0
		.amdhsa_system_vgpr_workitem_id 0
		.amdhsa_next_free_vgpr 1
		.amdhsa_next_free_sgpr 0
		.amdhsa_accum_offset 4
		.amdhsa_reserve_vcc 0
		.amdhsa_reserve_flat_scratch 0
		.amdhsa_float_round_mode_32 0
		.amdhsa_float_round_mode_16_64 0
		.amdhsa_float_denorm_mode_32 3
		.amdhsa_float_denorm_mode_16_64 3
		.amdhsa_dx10_clamp 1
		.amdhsa_ieee_mode 1
		.amdhsa_fp16_overflow 0
		.amdhsa_tg_split 0
		.amdhsa_exception_fp_ieee_invalid_op 0
		.amdhsa_exception_fp_denorm_src 0
		.amdhsa_exception_fp_ieee_div_zero 0
		.amdhsa_exception_fp_ieee_overflow 0
		.amdhsa_exception_fp_ieee_underflow 0
		.amdhsa_exception_fp_ieee_inexact 0
		.amdhsa_exception_int_div_zero 0
	.end_amdhsa_kernel
	.section	.text._ZN7rocprim17ROCPRIM_400000_NS6detail17trampoline_kernelINS0_14default_configENS1_20scan_config_selectorIiEEZZNS1_9scan_implILNS1_25lookback_scan_determinismE0ELb1ELb1ES3_N6thrust23THRUST_200600_302600_NS10device_ptrIiEESB_iNS9_4plusIvEEiEEDaPvRmT3_T4_T5_mT6_P12ihipStream_tbENKUlT_T0_E_clISt17integral_constantIbLb0EESQ_IbLb1EEEEDaSM_SN_EUlSM_E_NS1_11comp_targetILNS1_3genE10ELNS1_11target_archE1200ELNS1_3gpuE4ELNS1_3repE0EEENS1_30default_config_static_selectorELNS0_4arch9wavefront6targetE1EEEvT1_,"axG",@progbits,_ZN7rocprim17ROCPRIM_400000_NS6detail17trampoline_kernelINS0_14default_configENS1_20scan_config_selectorIiEEZZNS1_9scan_implILNS1_25lookback_scan_determinismE0ELb1ELb1ES3_N6thrust23THRUST_200600_302600_NS10device_ptrIiEESB_iNS9_4plusIvEEiEEDaPvRmT3_T4_T5_mT6_P12ihipStream_tbENKUlT_T0_E_clISt17integral_constantIbLb0EESQ_IbLb1EEEEDaSM_SN_EUlSM_E_NS1_11comp_targetILNS1_3genE10ELNS1_11target_archE1200ELNS1_3gpuE4ELNS1_3repE0EEENS1_30default_config_static_selectorELNS0_4arch9wavefront6targetE1EEEvT1_,comdat
.Lfunc_end6882:
	.size	_ZN7rocprim17ROCPRIM_400000_NS6detail17trampoline_kernelINS0_14default_configENS1_20scan_config_selectorIiEEZZNS1_9scan_implILNS1_25lookback_scan_determinismE0ELb1ELb1ES3_N6thrust23THRUST_200600_302600_NS10device_ptrIiEESB_iNS9_4plusIvEEiEEDaPvRmT3_T4_T5_mT6_P12ihipStream_tbENKUlT_T0_E_clISt17integral_constantIbLb0EESQ_IbLb1EEEEDaSM_SN_EUlSM_E_NS1_11comp_targetILNS1_3genE10ELNS1_11target_archE1200ELNS1_3gpuE4ELNS1_3repE0EEENS1_30default_config_static_selectorELNS0_4arch9wavefront6targetE1EEEvT1_, .Lfunc_end6882-_ZN7rocprim17ROCPRIM_400000_NS6detail17trampoline_kernelINS0_14default_configENS1_20scan_config_selectorIiEEZZNS1_9scan_implILNS1_25lookback_scan_determinismE0ELb1ELb1ES3_N6thrust23THRUST_200600_302600_NS10device_ptrIiEESB_iNS9_4plusIvEEiEEDaPvRmT3_T4_T5_mT6_P12ihipStream_tbENKUlT_T0_E_clISt17integral_constantIbLb0EESQ_IbLb1EEEEDaSM_SN_EUlSM_E_NS1_11comp_targetILNS1_3genE10ELNS1_11target_archE1200ELNS1_3gpuE4ELNS1_3repE0EEENS1_30default_config_static_selectorELNS0_4arch9wavefront6targetE1EEEvT1_
                                        ; -- End function
	.section	.AMDGPU.csdata,"",@progbits
; Kernel info:
; codeLenInByte = 0
; NumSgprs: 4
; NumVgprs: 0
; NumAgprs: 0
; TotalNumVgprs: 0
; ScratchSize: 0
; MemoryBound: 0
; FloatMode: 240
; IeeeMode: 1
; LDSByteSize: 0 bytes/workgroup (compile time only)
; SGPRBlocks: 0
; VGPRBlocks: 0
; NumSGPRsForWavesPerEU: 4
; NumVGPRsForWavesPerEU: 1
; AccumOffset: 4
; Occupancy: 8
; WaveLimiterHint : 0
; COMPUTE_PGM_RSRC2:SCRATCH_EN: 0
; COMPUTE_PGM_RSRC2:USER_SGPR: 6
; COMPUTE_PGM_RSRC2:TRAP_HANDLER: 0
; COMPUTE_PGM_RSRC2:TGID_X_EN: 1
; COMPUTE_PGM_RSRC2:TGID_Y_EN: 0
; COMPUTE_PGM_RSRC2:TGID_Z_EN: 0
; COMPUTE_PGM_RSRC2:TIDIG_COMP_CNT: 0
; COMPUTE_PGM_RSRC3_GFX90A:ACCUM_OFFSET: 0
; COMPUTE_PGM_RSRC3_GFX90A:TG_SPLIT: 0
	.section	.text._ZN7rocprim17ROCPRIM_400000_NS6detail17trampoline_kernelINS0_14default_configENS1_20scan_config_selectorIiEEZZNS1_9scan_implILNS1_25lookback_scan_determinismE0ELb1ELb1ES3_N6thrust23THRUST_200600_302600_NS10device_ptrIiEESB_iNS9_4plusIvEEiEEDaPvRmT3_T4_T5_mT6_P12ihipStream_tbENKUlT_T0_E_clISt17integral_constantIbLb0EESQ_IbLb1EEEEDaSM_SN_EUlSM_E_NS1_11comp_targetILNS1_3genE9ELNS1_11target_archE1100ELNS1_3gpuE3ELNS1_3repE0EEENS1_30default_config_static_selectorELNS0_4arch9wavefront6targetE1EEEvT1_,"axG",@progbits,_ZN7rocprim17ROCPRIM_400000_NS6detail17trampoline_kernelINS0_14default_configENS1_20scan_config_selectorIiEEZZNS1_9scan_implILNS1_25lookback_scan_determinismE0ELb1ELb1ES3_N6thrust23THRUST_200600_302600_NS10device_ptrIiEESB_iNS9_4plusIvEEiEEDaPvRmT3_T4_T5_mT6_P12ihipStream_tbENKUlT_T0_E_clISt17integral_constantIbLb0EESQ_IbLb1EEEEDaSM_SN_EUlSM_E_NS1_11comp_targetILNS1_3genE9ELNS1_11target_archE1100ELNS1_3gpuE3ELNS1_3repE0EEENS1_30default_config_static_selectorELNS0_4arch9wavefront6targetE1EEEvT1_,comdat
	.protected	_ZN7rocprim17ROCPRIM_400000_NS6detail17trampoline_kernelINS0_14default_configENS1_20scan_config_selectorIiEEZZNS1_9scan_implILNS1_25lookback_scan_determinismE0ELb1ELb1ES3_N6thrust23THRUST_200600_302600_NS10device_ptrIiEESB_iNS9_4plusIvEEiEEDaPvRmT3_T4_T5_mT6_P12ihipStream_tbENKUlT_T0_E_clISt17integral_constantIbLb0EESQ_IbLb1EEEEDaSM_SN_EUlSM_E_NS1_11comp_targetILNS1_3genE9ELNS1_11target_archE1100ELNS1_3gpuE3ELNS1_3repE0EEENS1_30default_config_static_selectorELNS0_4arch9wavefront6targetE1EEEvT1_ ; -- Begin function _ZN7rocprim17ROCPRIM_400000_NS6detail17trampoline_kernelINS0_14default_configENS1_20scan_config_selectorIiEEZZNS1_9scan_implILNS1_25lookback_scan_determinismE0ELb1ELb1ES3_N6thrust23THRUST_200600_302600_NS10device_ptrIiEESB_iNS9_4plusIvEEiEEDaPvRmT3_T4_T5_mT6_P12ihipStream_tbENKUlT_T0_E_clISt17integral_constantIbLb0EESQ_IbLb1EEEEDaSM_SN_EUlSM_E_NS1_11comp_targetILNS1_3genE9ELNS1_11target_archE1100ELNS1_3gpuE3ELNS1_3repE0EEENS1_30default_config_static_selectorELNS0_4arch9wavefront6targetE1EEEvT1_
	.globl	_ZN7rocprim17ROCPRIM_400000_NS6detail17trampoline_kernelINS0_14default_configENS1_20scan_config_selectorIiEEZZNS1_9scan_implILNS1_25lookback_scan_determinismE0ELb1ELb1ES3_N6thrust23THRUST_200600_302600_NS10device_ptrIiEESB_iNS9_4plusIvEEiEEDaPvRmT3_T4_T5_mT6_P12ihipStream_tbENKUlT_T0_E_clISt17integral_constantIbLb0EESQ_IbLb1EEEEDaSM_SN_EUlSM_E_NS1_11comp_targetILNS1_3genE9ELNS1_11target_archE1100ELNS1_3gpuE3ELNS1_3repE0EEENS1_30default_config_static_selectorELNS0_4arch9wavefront6targetE1EEEvT1_
	.p2align	8
	.type	_ZN7rocprim17ROCPRIM_400000_NS6detail17trampoline_kernelINS0_14default_configENS1_20scan_config_selectorIiEEZZNS1_9scan_implILNS1_25lookback_scan_determinismE0ELb1ELb1ES3_N6thrust23THRUST_200600_302600_NS10device_ptrIiEESB_iNS9_4plusIvEEiEEDaPvRmT3_T4_T5_mT6_P12ihipStream_tbENKUlT_T0_E_clISt17integral_constantIbLb0EESQ_IbLb1EEEEDaSM_SN_EUlSM_E_NS1_11comp_targetILNS1_3genE9ELNS1_11target_archE1100ELNS1_3gpuE3ELNS1_3repE0EEENS1_30default_config_static_selectorELNS0_4arch9wavefront6targetE1EEEvT1_,@function
_ZN7rocprim17ROCPRIM_400000_NS6detail17trampoline_kernelINS0_14default_configENS1_20scan_config_selectorIiEEZZNS1_9scan_implILNS1_25lookback_scan_determinismE0ELb1ELb1ES3_N6thrust23THRUST_200600_302600_NS10device_ptrIiEESB_iNS9_4plusIvEEiEEDaPvRmT3_T4_T5_mT6_P12ihipStream_tbENKUlT_T0_E_clISt17integral_constantIbLb0EESQ_IbLb1EEEEDaSM_SN_EUlSM_E_NS1_11comp_targetILNS1_3genE9ELNS1_11target_archE1100ELNS1_3gpuE3ELNS1_3repE0EEENS1_30default_config_static_selectorELNS0_4arch9wavefront6targetE1EEEvT1_: ; @_ZN7rocprim17ROCPRIM_400000_NS6detail17trampoline_kernelINS0_14default_configENS1_20scan_config_selectorIiEEZZNS1_9scan_implILNS1_25lookback_scan_determinismE0ELb1ELb1ES3_N6thrust23THRUST_200600_302600_NS10device_ptrIiEESB_iNS9_4plusIvEEiEEDaPvRmT3_T4_T5_mT6_P12ihipStream_tbENKUlT_T0_E_clISt17integral_constantIbLb0EESQ_IbLb1EEEEDaSM_SN_EUlSM_E_NS1_11comp_targetILNS1_3genE9ELNS1_11target_archE1100ELNS1_3gpuE3ELNS1_3repE0EEENS1_30default_config_static_selectorELNS0_4arch9wavefront6targetE1EEEvT1_
; %bb.0:
	.section	.rodata,"a",@progbits
	.p2align	6, 0x0
	.amdhsa_kernel _ZN7rocprim17ROCPRIM_400000_NS6detail17trampoline_kernelINS0_14default_configENS1_20scan_config_selectorIiEEZZNS1_9scan_implILNS1_25lookback_scan_determinismE0ELb1ELb1ES3_N6thrust23THRUST_200600_302600_NS10device_ptrIiEESB_iNS9_4plusIvEEiEEDaPvRmT3_T4_T5_mT6_P12ihipStream_tbENKUlT_T0_E_clISt17integral_constantIbLb0EESQ_IbLb1EEEEDaSM_SN_EUlSM_E_NS1_11comp_targetILNS1_3genE9ELNS1_11target_archE1100ELNS1_3gpuE3ELNS1_3repE0EEENS1_30default_config_static_selectorELNS0_4arch9wavefront6targetE1EEEvT1_
		.amdhsa_group_segment_fixed_size 0
		.amdhsa_private_segment_fixed_size 0
		.amdhsa_kernarg_size 96
		.amdhsa_user_sgpr_count 6
		.amdhsa_user_sgpr_private_segment_buffer 1
		.amdhsa_user_sgpr_dispatch_ptr 0
		.amdhsa_user_sgpr_queue_ptr 0
		.amdhsa_user_sgpr_kernarg_segment_ptr 1
		.amdhsa_user_sgpr_dispatch_id 0
		.amdhsa_user_sgpr_flat_scratch_init 0
		.amdhsa_user_sgpr_kernarg_preload_length 0
		.amdhsa_user_sgpr_kernarg_preload_offset 0
		.amdhsa_user_sgpr_private_segment_size 0
		.amdhsa_uses_dynamic_stack 0
		.amdhsa_system_sgpr_private_segment_wavefront_offset 0
		.amdhsa_system_sgpr_workgroup_id_x 1
		.amdhsa_system_sgpr_workgroup_id_y 0
		.amdhsa_system_sgpr_workgroup_id_z 0
		.amdhsa_system_sgpr_workgroup_info 0
		.amdhsa_system_vgpr_workitem_id 0
		.amdhsa_next_free_vgpr 1
		.amdhsa_next_free_sgpr 0
		.amdhsa_accum_offset 4
		.amdhsa_reserve_vcc 0
		.amdhsa_reserve_flat_scratch 0
		.amdhsa_float_round_mode_32 0
		.amdhsa_float_round_mode_16_64 0
		.amdhsa_float_denorm_mode_32 3
		.amdhsa_float_denorm_mode_16_64 3
		.amdhsa_dx10_clamp 1
		.amdhsa_ieee_mode 1
		.amdhsa_fp16_overflow 0
		.amdhsa_tg_split 0
		.amdhsa_exception_fp_ieee_invalid_op 0
		.amdhsa_exception_fp_denorm_src 0
		.amdhsa_exception_fp_ieee_div_zero 0
		.amdhsa_exception_fp_ieee_overflow 0
		.amdhsa_exception_fp_ieee_underflow 0
		.amdhsa_exception_fp_ieee_inexact 0
		.amdhsa_exception_int_div_zero 0
	.end_amdhsa_kernel
	.section	.text._ZN7rocprim17ROCPRIM_400000_NS6detail17trampoline_kernelINS0_14default_configENS1_20scan_config_selectorIiEEZZNS1_9scan_implILNS1_25lookback_scan_determinismE0ELb1ELb1ES3_N6thrust23THRUST_200600_302600_NS10device_ptrIiEESB_iNS9_4plusIvEEiEEDaPvRmT3_T4_T5_mT6_P12ihipStream_tbENKUlT_T0_E_clISt17integral_constantIbLb0EESQ_IbLb1EEEEDaSM_SN_EUlSM_E_NS1_11comp_targetILNS1_3genE9ELNS1_11target_archE1100ELNS1_3gpuE3ELNS1_3repE0EEENS1_30default_config_static_selectorELNS0_4arch9wavefront6targetE1EEEvT1_,"axG",@progbits,_ZN7rocprim17ROCPRIM_400000_NS6detail17trampoline_kernelINS0_14default_configENS1_20scan_config_selectorIiEEZZNS1_9scan_implILNS1_25lookback_scan_determinismE0ELb1ELb1ES3_N6thrust23THRUST_200600_302600_NS10device_ptrIiEESB_iNS9_4plusIvEEiEEDaPvRmT3_T4_T5_mT6_P12ihipStream_tbENKUlT_T0_E_clISt17integral_constantIbLb0EESQ_IbLb1EEEEDaSM_SN_EUlSM_E_NS1_11comp_targetILNS1_3genE9ELNS1_11target_archE1100ELNS1_3gpuE3ELNS1_3repE0EEENS1_30default_config_static_selectorELNS0_4arch9wavefront6targetE1EEEvT1_,comdat
.Lfunc_end6883:
	.size	_ZN7rocprim17ROCPRIM_400000_NS6detail17trampoline_kernelINS0_14default_configENS1_20scan_config_selectorIiEEZZNS1_9scan_implILNS1_25lookback_scan_determinismE0ELb1ELb1ES3_N6thrust23THRUST_200600_302600_NS10device_ptrIiEESB_iNS9_4plusIvEEiEEDaPvRmT3_T4_T5_mT6_P12ihipStream_tbENKUlT_T0_E_clISt17integral_constantIbLb0EESQ_IbLb1EEEEDaSM_SN_EUlSM_E_NS1_11comp_targetILNS1_3genE9ELNS1_11target_archE1100ELNS1_3gpuE3ELNS1_3repE0EEENS1_30default_config_static_selectorELNS0_4arch9wavefront6targetE1EEEvT1_, .Lfunc_end6883-_ZN7rocprim17ROCPRIM_400000_NS6detail17trampoline_kernelINS0_14default_configENS1_20scan_config_selectorIiEEZZNS1_9scan_implILNS1_25lookback_scan_determinismE0ELb1ELb1ES3_N6thrust23THRUST_200600_302600_NS10device_ptrIiEESB_iNS9_4plusIvEEiEEDaPvRmT3_T4_T5_mT6_P12ihipStream_tbENKUlT_T0_E_clISt17integral_constantIbLb0EESQ_IbLb1EEEEDaSM_SN_EUlSM_E_NS1_11comp_targetILNS1_3genE9ELNS1_11target_archE1100ELNS1_3gpuE3ELNS1_3repE0EEENS1_30default_config_static_selectorELNS0_4arch9wavefront6targetE1EEEvT1_
                                        ; -- End function
	.section	.AMDGPU.csdata,"",@progbits
; Kernel info:
; codeLenInByte = 0
; NumSgprs: 4
; NumVgprs: 0
; NumAgprs: 0
; TotalNumVgprs: 0
; ScratchSize: 0
; MemoryBound: 0
; FloatMode: 240
; IeeeMode: 1
; LDSByteSize: 0 bytes/workgroup (compile time only)
; SGPRBlocks: 0
; VGPRBlocks: 0
; NumSGPRsForWavesPerEU: 4
; NumVGPRsForWavesPerEU: 1
; AccumOffset: 4
; Occupancy: 8
; WaveLimiterHint : 0
; COMPUTE_PGM_RSRC2:SCRATCH_EN: 0
; COMPUTE_PGM_RSRC2:USER_SGPR: 6
; COMPUTE_PGM_RSRC2:TRAP_HANDLER: 0
; COMPUTE_PGM_RSRC2:TGID_X_EN: 1
; COMPUTE_PGM_RSRC2:TGID_Y_EN: 0
; COMPUTE_PGM_RSRC2:TGID_Z_EN: 0
; COMPUTE_PGM_RSRC2:TIDIG_COMP_CNT: 0
; COMPUTE_PGM_RSRC3_GFX90A:ACCUM_OFFSET: 0
; COMPUTE_PGM_RSRC3_GFX90A:TG_SPLIT: 0
	.section	.text._ZN7rocprim17ROCPRIM_400000_NS6detail17trampoline_kernelINS0_14default_configENS1_20scan_config_selectorIiEEZZNS1_9scan_implILNS1_25lookback_scan_determinismE0ELb1ELb1ES3_N6thrust23THRUST_200600_302600_NS10device_ptrIiEESB_iNS9_4plusIvEEiEEDaPvRmT3_T4_T5_mT6_P12ihipStream_tbENKUlT_T0_E_clISt17integral_constantIbLb0EESQ_IbLb1EEEEDaSM_SN_EUlSM_E_NS1_11comp_targetILNS1_3genE8ELNS1_11target_archE1030ELNS1_3gpuE2ELNS1_3repE0EEENS1_30default_config_static_selectorELNS0_4arch9wavefront6targetE1EEEvT1_,"axG",@progbits,_ZN7rocprim17ROCPRIM_400000_NS6detail17trampoline_kernelINS0_14default_configENS1_20scan_config_selectorIiEEZZNS1_9scan_implILNS1_25lookback_scan_determinismE0ELb1ELb1ES3_N6thrust23THRUST_200600_302600_NS10device_ptrIiEESB_iNS9_4plusIvEEiEEDaPvRmT3_T4_T5_mT6_P12ihipStream_tbENKUlT_T0_E_clISt17integral_constantIbLb0EESQ_IbLb1EEEEDaSM_SN_EUlSM_E_NS1_11comp_targetILNS1_3genE8ELNS1_11target_archE1030ELNS1_3gpuE2ELNS1_3repE0EEENS1_30default_config_static_selectorELNS0_4arch9wavefront6targetE1EEEvT1_,comdat
	.protected	_ZN7rocprim17ROCPRIM_400000_NS6detail17trampoline_kernelINS0_14default_configENS1_20scan_config_selectorIiEEZZNS1_9scan_implILNS1_25lookback_scan_determinismE0ELb1ELb1ES3_N6thrust23THRUST_200600_302600_NS10device_ptrIiEESB_iNS9_4plusIvEEiEEDaPvRmT3_T4_T5_mT6_P12ihipStream_tbENKUlT_T0_E_clISt17integral_constantIbLb0EESQ_IbLb1EEEEDaSM_SN_EUlSM_E_NS1_11comp_targetILNS1_3genE8ELNS1_11target_archE1030ELNS1_3gpuE2ELNS1_3repE0EEENS1_30default_config_static_selectorELNS0_4arch9wavefront6targetE1EEEvT1_ ; -- Begin function _ZN7rocprim17ROCPRIM_400000_NS6detail17trampoline_kernelINS0_14default_configENS1_20scan_config_selectorIiEEZZNS1_9scan_implILNS1_25lookback_scan_determinismE0ELb1ELb1ES3_N6thrust23THRUST_200600_302600_NS10device_ptrIiEESB_iNS9_4plusIvEEiEEDaPvRmT3_T4_T5_mT6_P12ihipStream_tbENKUlT_T0_E_clISt17integral_constantIbLb0EESQ_IbLb1EEEEDaSM_SN_EUlSM_E_NS1_11comp_targetILNS1_3genE8ELNS1_11target_archE1030ELNS1_3gpuE2ELNS1_3repE0EEENS1_30default_config_static_selectorELNS0_4arch9wavefront6targetE1EEEvT1_
	.globl	_ZN7rocprim17ROCPRIM_400000_NS6detail17trampoline_kernelINS0_14default_configENS1_20scan_config_selectorIiEEZZNS1_9scan_implILNS1_25lookback_scan_determinismE0ELb1ELb1ES3_N6thrust23THRUST_200600_302600_NS10device_ptrIiEESB_iNS9_4plusIvEEiEEDaPvRmT3_T4_T5_mT6_P12ihipStream_tbENKUlT_T0_E_clISt17integral_constantIbLb0EESQ_IbLb1EEEEDaSM_SN_EUlSM_E_NS1_11comp_targetILNS1_3genE8ELNS1_11target_archE1030ELNS1_3gpuE2ELNS1_3repE0EEENS1_30default_config_static_selectorELNS0_4arch9wavefront6targetE1EEEvT1_
	.p2align	8
	.type	_ZN7rocprim17ROCPRIM_400000_NS6detail17trampoline_kernelINS0_14default_configENS1_20scan_config_selectorIiEEZZNS1_9scan_implILNS1_25lookback_scan_determinismE0ELb1ELb1ES3_N6thrust23THRUST_200600_302600_NS10device_ptrIiEESB_iNS9_4plusIvEEiEEDaPvRmT3_T4_T5_mT6_P12ihipStream_tbENKUlT_T0_E_clISt17integral_constantIbLb0EESQ_IbLb1EEEEDaSM_SN_EUlSM_E_NS1_11comp_targetILNS1_3genE8ELNS1_11target_archE1030ELNS1_3gpuE2ELNS1_3repE0EEENS1_30default_config_static_selectorELNS0_4arch9wavefront6targetE1EEEvT1_,@function
_ZN7rocprim17ROCPRIM_400000_NS6detail17trampoline_kernelINS0_14default_configENS1_20scan_config_selectorIiEEZZNS1_9scan_implILNS1_25lookback_scan_determinismE0ELb1ELb1ES3_N6thrust23THRUST_200600_302600_NS10device_ptrIiEESB_iNS9_4plusIvEEiEEDaPvRmT3_T4_T5_mT6_P12ihipStream_tbENKUlT_T0_E_clISt17integral_constantIbLb0EESQ_IbLb1EEEEDaSM_SN_EUlSM_E_NS1_11comp_targetILNS1_3genE8ELNS1_11target_archE1030ELNS1_3gpuE2ELNS1_3repE0EEENS1_30default_config_static_selectorELNS0_4arch9wavefront6targetE1EEEvT1_: ; @_ZN7rocprim17ROCPRIM_400000_NS6detail17trampoline_kernelINS0_14default_configENS1_20scan_config_selectorIiEEZZNS1_9scan_implILNS1_25lookback_scan_determinismE0ELb1ELb1ES3_N6thrust23THRUST_200600_302600_NS10device_ptrIiEESB_iNS9_4plusIvEEiEEDaPvRmT3_T4_T5_mT6_P12ihipStream_tbENKUlT_T0_E_clISt17integral_constantIbLb0EESQ_IbLb1EEEEDaSM_SN_EUlSM_E_NS1_11comp_targetILNS1_3genE8ELNS1_11target_archE1030ELNS1_3gpuE2ELNS1_3repE0EEENS1_30default_config_static_selectorELNS0_4arch9wavefront6targetE1EEEvT1_
; %bb.0:
	.section	.rodata,"a",@progbits
	.p2align	6, 0x0
	.amdhsa_kernel _ZN7rocprim17ROCPRIM_400000_NS6detail17trampoline_kernelINS0_14default_configENS1_20scan_config_selectorIiEEZZNS1_9scan_implILNS1_25lookback_scan_determinismE0ELb1ELb1ES3_N6thrust23THRUST_200600_302600_NS10device_ptrIiEESB_iNS9_4plusIvEEiEEDaPvRmT3_T4_T5_mT6_P12ihipStream_tbENKUlT_T0_E_clISt17integral_constantIbLb0EESQ_IbLb1EEEEDaSM_SN_EUlSM_E_NS1_11comp_targetILNS1_3genE8ELNS1_11target_archE1030ELNS1_3gpuE2ELNS1_3repE0EEENS1_30default_config_static_selectorELNS0_4arch9wavefront6targetE1EEEvT1_
		.amdhsa_group_segment_fixed_size 0
		.amdhsa_private_segment_fixed_size 0
		.amdhsa_kernarg_size 96
		.amdhsa_user_sgpr_count 6
		.amdhsa_user_sgpr_private_segment_buffer 1
		.amdhsa_user_sgpr_dispatch_ptr 0
		.amdhsa_user_sgpr_queue_ptr 0
		.amdhsa_user_sgpr_kernarg_segment_ptr 1
		.amdhsa_user_sgpr_dispatch_id 0
		.amdhsa_user_sgpr_flat_scratch_init 0
		.amdhsa_user_sgpr_kernarg_preload_length 0
		.amdhsa_user_sgpr_kernarg_preload_offset 0
		.amdhsa_user_sgpr_private_segment_size 0
		.amdhsa_uses_dynamic_stack 0
		.amdhsa_system_sgpr_private_segment_wavefront_offset 0
		.amdhsa_system_sgpr_workgroup_id_x 1
		.amdhsa_system_sgpr_workgroup_id_y 0
		.amdhsa_system_sgpr_workgroup_id_z 0
		.amdhsa_system_sgpr_workgroup_info 0
		.amdhsa_system_vgpr_workitem_id 0
		.amdhsa_next_free_vgpr 1
		.amdhsa_next_free_sgpr 0
		.amdhsa_accum_offset 4
		.amdhsa_reserve_vcc 0
		.amdhsa_reserve_flat_scratch 0
		.amdhsa_float_round_mode_32 0
		.amdhsa_float_round_mode_16_64 0
		.amdhsa_float_denorm_mode_32 3
		.amdhsa_float_denorm_mode_16_64 3
		.amdhsa_dx10_clamp 1
		.amdhsa_ieee_mode 1
		.amdhsa_fp16_overflow 0
		.amdhsa_tg_split 0
		.amdhsa_exception_fp_ieee_invalid_op 0
		.amdhsa_exception_fp_denorm_src 0
		.amdhsa_exception_fp_ieee_div_zero 0
		.amdhsa_exception_fp_ieee_overflow 0
		.amdhsa_exception_fp_ieee_underflow 0
		.amdhsa_exception_fp_ieee_inexact 0
		.amdhsa_exception_int_div_zero 0
	.end_amdhsa_kernel
	.section	.text._ZN7rocprim17ROCPRIM_400000_NS6detail17trampoline_kernelINS0_14default_configENS1_20scan_config_selectorIiEEZZNS1_9scan_implILNS1_25lookback_scan_determinismE0ELb1ELb1ES3_N6thrust23THRUST_200600_302600_NS10device_ptrIiEESB_iNS9_4plusIvEEiEEDaPvRmT3_T4_T5_mT6_P12ihipStream_tbENKUlT_T0_E_clISt17integral_constantIbLb0EESQ_IbLb1EEEEDaSM_SN_EUlSM_E_NS1_11comp_targetILNS1_3genE8ELNS1_11target_archE1030ELNS1_3gpuE2ELNS1_3repE0EEENS1_30default_config_static_selectorELNS0_4arch9wavefront6targetE1EEEvT1_,"axG",@progbits,_ZN7rocprim17ROCPRIM_400000_NS6detail17trampoline_kernelINS0_14default_configENS1_20scan_config_selectorIiEEZZNS1_9scan_implILNS1_25lookback_scan_determinismE0ELb1ELb1ES3_N6thrust23THRUST_200600_302600_NS10device_ptrIiEESB_iNS9_4plusIvEEiEEDaPvRmT3_T4_T5_mT6_P12ihipStream_tbENKUlT_T0_E_clISt17integral_constantIbLb0EESQ_IbLb1EEEEDaSM_SN_EUlSM_E_NS1_11comp_targetILNS1_3genE8ELNS1_11target_archE1030ELNS1_3gpuE2ELNS1_3repE0EEENS1_30default_config_static_selectorELNS0_4arch9wavefront6targetE1EEEvT1_,comdat
.Lfunc_end6884:
	.size	_ZN7rocprim17ROCPRIM_400000_NS6detail17trampoline_kernelINS0_14default_configENS1_20scan_config_selectorIiEEZZNS1_9scan_implILNS1_25lookback_scan_determinismE0ELb1ELb1ES3_N6thrust23THRUST_200600_302600_NS10device_ptrIiEESB_iNS9_4plusIvEEiEEDaPvRmT3_T4_T5_mT6_P12ihipStream_tbENKUlT_T0_E_clISt17integral_constantIbLb0EESQ_IbLb1EEEEDaSM_SN_EUlSM_E_NS1_11comp_targetILNS1_3genE8ELNS1_11target_archE1030ELNS1_3gpuE2ELNS1_3repE0EEENS1_30default_config_static_selectorELNS0_4arch9wavefront6targetE1EEEvT1_, .Lfunc_end6884-_ZN7rocprim17ROCPRIM_400000_NS6detail17trampoline_kernelINS0_14default_configENS1_20scan_config_selectorIiEEZZNS1_9scan_implILNS1_25lookback_scan_determinismE0ELb1ELb1ES3_N6thrust23THRUST_200600_302600_NS10device_ptrIiEESB_iNS9_4plusIvEEiEEDaPvRmT3_T4_T5_mT6_P12ihipStream_tbENKUlT_T0_E_clISt17integral_constantIbLb0EESQ_IbLb1EEEEDaSM_SN_EUlSM_E_NS1_11comp_targetILNS1_3genE8ELNS1_11target_archE1030ELNS1_3gpuE2ELNS1_3repE0EEENS1_30default_config_static_selectorELNS0_4arch9wavefront6targetE1EEEvT1_
                                        ; -- End function
	.section	.AMDGPU.csdata,"",@progbits
; Kernel info:
; codeLenInByte = 0
; NumSgprs: 4
; NumVgprs: 0
; NumAgprs: 0
; TotalNumVgprs: 0
; ScratchSize: 0
; MemoryBound: 0
; FloatMode: 240
; IeeeMode: 1
; LDSByteSize: 0 bytes/workgroup (compile time only)
; SGPRBlocks: 0
; VGPRBlocks: 0
; NumSGPRsForWavesPerEU: 4
; NumVGPRsForWavesPerEU: 1
; AccumOffset: 4
; Occupancy: 8
; WaveLimiterHint : 0
; COMPUTE_PGM_RSRC2:SCRATCH_EN: 0
; COMPUTE_PGM_RSRC2:USER_SGPR: 6
; COMPUTE_PGM_RSRC2:TRAP_HANDLER: 0
; COMPUTE_PGM_RSRC2:TGID_X_EN: 1
; COMPUTE_PGM_RSRC2:TGID_Y_EN: 0
; COMPUTE_PGM_RSRC2:TGID_Z_EN: 0
; COMPUTE_PGM_RSRC2:TIDIG_COMP_CNT: 0
; COMPUTE_PGM_RSRC3_GFX90A:ACCUM_OFFSET: 0
; COMPUTE_PGM_RSRC3_GFX90A:TG_SPLIT: 0
	.section	.text._ZN7rocprim17ROCPRIM_400000_NS6detail17trampoline_kernelINS0_14default_configENS1_20scan_config_selectorIiEEZZNS1_9scan_implILNS1_25lookback_scan_determinismE0ELb1ELb1ES3_N6thrust23THRUST_200600_302600_NS10device_ptrIiEESB_iNS9_4plusIvEEiEEDaPvRmT3_T4_T5_mT6_P12ihipStream_tbENKUlT_T0_E_clISt17integral_constantIbLb0EESQ_IbLb1EEEEDaSM_SN_EUlSM_E0_NS1_11comp_targetILNS1_3genE0ELNS1_11target_archE4294967295ELNS1_3gpuE0ELNS1_3repE0EEENS1_30default_config_static_selectorELNS0_4arch9wavefront6targetE1EEEvT1_,"axG",@progbits,_ZN7rocprim17ROCPRIM_400000_NS6detail17trampoline_kernelINS0_14default_configENS1_20scan_config_selectorIiEEZZNS1_9scan_implILNS1_25lookback_scan_determinismE0ELb1ELb1ES3_N6thrust23THRUST_200600_302600_NS10device_ptrIiEESB_iNS9_4plusIvEEiEEDaPvRmT3_T4_T5_mT6_P12ihipStream_tbENKUlT_T0_E_clISt17integral_constantIbLb0EESQ_IbLb1EEEEDaSM_SN_EUlSM_E0_NS1_11comp_targetILNS1_3genE0ELNS1_11target_archE4294967295ELNS1_3gpuE0ELNS1_3repE0EEENS1_30default_config_static_selectorELNS0_4arch9wavefront6targetE1EEEvT1_,comdat
	.protected	_ZN7rocprim17ROCPRIM_400000_NS6detail17trampoline_kernelINS0_14default_configENS1_20scan_config_selectorIiEEZZNS1_9scan_implILNS1_25lookback_scan_determinismE0ELb1ELb1ES3_N6thrust23THRUST_200600_302600_NS10device_ptrIiEESB_iNS9_4plusIvEEiEEDaPvRmT3_T4_T5_mT6_P12ihipStream_tbENKUlT_T0_E_clISt17integral_constantIbLb0EESQ_IbLb1EEEEDaSM_SN_EUlSM_E0_NS1_11comp_targetILNS1_3genE0ELNS1_11target_archE4294967295ELNS1_3gpuE0ELNS1_3repE0EEENS1_30default_config_static_selectorELNS0_4arch9wavefront6targetE1EEEvT1_ ; -- Begin function _ZN7rocprim17ROCPRIM_400000_NS6detail17trampoline_kernelINS0_14default_configENS1_20scan_config_selectorIiEEZZNS1_9scan_implILNS1_25lookback_scan_determinismE0ELb1ELb1ES3_N6thrust23THRUST_200600_302600_NS10device_ptrIiEESB_iNS9_4plusIvEEiEEDaPvRmT3_T4_T5_mT6_P12ihipStream_tbENKUlT_T0_E_clISt17integral_constantIbLb0EESQ_IbLb1EEEEDaSM_SN_EUlSM_E0_NS1_11comp_targetILNS1_3genE0ELNS1_11target_archE4294967295ELNS1_3gpuE0ELNS1_3repE0EEENS1_30default_config_static_selectorELNS0_4arch9wavefront6targetE1EEEvT1_
	.globl	_ZN7rocprim17ROCPRIM_400000_NS6detail17trampoline_kernelINS0_14default_configENS1_20scan_config_selectorIiEEZZNS1_9scan_implILNS1_25lookback_scan_determinismE0ELb1ELb1ES3_N6thrust23THRUST_200600_302600_NS10device_ptrIiEESB_iNS9_4plusIvEEiEEDaPvRmT3_T4_T5_mT6_P12ihipStream_tbENKUlT_T0_E_clISt17integral_constantIbLb0EESQ_IbLb1EEEEDaSM_SN_EUlSM_E0_NS1_11comp_targetILNS1_3genE0ELNS1_11target_archE4294967295ELNS1_3gpuE0ELNS1_3repE0EEENS1_30default_config_static_selectorELNS0_4arch9wavefront6targetE1EEEvT1_
	.p2align	8
	.type	_ZN7rocprim17ROCPRIM_400000_NS6detail17trampoline_kernelINS0_14default_configENS1_20scan_config_selectorIiEEZZNS1_9scan_implILNS1_25lookback_scan_determinismE0ELb1ELb1ES3_N6thrust23THRUST_200600_302600_NS10device_ptrIiEESB_iNS9_4plusIvEEiEEDaPvRmT3_T4_T5_mT6_P12ihipStream_tbENKUlT_T0_E_clISt17integral_constantIbLb0EESQ_IbLb1EEEEDaSM_SN_EUlSM_E0_NS1_11comp_targetILNS1_3genE0ELNS1_11target_archE4294967295ELNS1_3gpuE0ELNS1_3repE0EEENS1_30default_config_static_selectorELNS0_4arch9wavefront6targetE1EEEvT1_,@function
_ZN7rocprim17ROCPRIM_400000_NS6detail17trampoline_kernelINS0_14default_configENS1_20scan_config_selectorIiEEZZNS1_9scan_implILNS1_25lookback_scan_determinismE0ELb1ELb1ES3_N6thrust23THRUST_200600_302600_NS10device_ptrIiEESB_iNS9_4plusIvEEiEEDaPvRmT3_T4_T5_mT6_P12ihipStream_tbENKUlT_T0_E_clISt17integral_constantIbLb0EESQ_IbLb1EEEEDaSM_SN_EUlSM_E0_NS1_11comp_targetILNS1_3genE0ELNS1_11target_archE4294967295ELNS1_3gpuE0ELNS1_3repE0EEENS1_30default_config_static_selectorELNS0_4arch9wavefront6targetE1EEEvT1_: ; @_ZN7rocprim17ROCPRIM_400000_NS6detail17trampoline_kernelINS0_14default_configENS1_20scan_config_selectorIiEEZZNS1_9scan_implILNS1_25lookback_scan_determinismE0ELb1ELb1ES3_N6thrust23THRUST_200600_302600_NS10device_ptrIiEESB_iNS9_4plusIvEEiEEDaPvRmT3_T4_T5_mT6_P12ihipStream_tbENKUlT_T0_E_clISt17integral_constantIbLb0EESQ_IbLb1EEEEDaSM_SN_EUlSM_E0_NS1_11comp_targetILNS1_3genE0ELNS1_11target_archE4294967295ELNS1_3gpuE0ELNS1_3repE0EEENS1_30default_config_static_selectorELNS0_4arch9wavefront6targetE1EEEvT1_
; %bb.0:
	.section	.rodata,"a",@progbits
	.p2align	6, 0x0
	.amdhsa_kernel _ZN7rocprim17ROCPRIM_400000_NS6detail17trampoline_kernelINS0_14default_configENS1_20scan_config_selectorIiEEZZNS1_9scan_implILNS1_25lookback_scan_determinismE0ELb1ELb1ES3_N6thrust23THRUST_200600_302600_NS10device_ptrIiEESB_iNS9_4plusIvEEiEEDaPvRmT3_T4_T5_mT6_P12ihipStream_tbENKUlT_T0_E_clISt17integral_constantIbLb0EESQ_IbLb1EEEEDaSM_SN_EUlSM_E0_NS1_11comp_targetILNS1_3genE0ELNS1_11target_archE4294967295ELNS1_3gpuE0ELNS1_3repE0EEENS1_30default_config_static_selectorELNS0_4arch9wavefront6targetE1EEEvT1_
		.amdhsa_group_segment_fixed_size 0
		.amdhsa_private_segment_fixed_size 0
		.amdhsa_kernarg_size 32
		.amdhsa_user_sgpr_count 6
		.amdhsa_user_sgpr_private_segment_buffer 1
		.amdhsa_user_sgpr_dispatch_ptr 0
		.amdhsa_user_sgpr_queue_ptr 0
		.amdhsa_user_sgpr_kernarg_segment_ptr 1
		.amdhsa_user_sgpr_dispatch_id 0
		.amdhsa_user_sgpr_flat_scratch_init 0
		.amdhsa_user_sgpr_kernarg_preload_length 0
		.amdhsa_user_sgpr_kernarg_preload_offset 0
		.amdhsa_user_sgpr_private_segment_size 0
		.amdhsa_uses_dynamic_stack 0
		.amdhsa_system_sgpr_private_segment_wavefront_offset 0
		.amdhsa_system_sgpr_workgroup_id_x 1
		.amdhsa_system_sgpr_workgroup_id_y 0
		.amdhsa_system_sgpr_workgroup_id_z 0
		.amdhsa_system_sgpr_workgroup_info 0
		.amdhsa_system_vgpr_workitem_id 0
		.amdhsa_next_free_vgpr 1
		.amdhsa_next_free_sgpr 0
		.amdhsa_accum_offset 4
		.amdhsa_reserve_vcc 0
		.amdhsa_reserve_flat_scratch 0
		.amdhsa_float_round_mode_32 0
		.amdhsa_float_round_mode_16_64 0
		.amdhsa_float_denorm_mode_32 3
		.amdhsa_float_denorm_mode_16_64 3
		.amdhsa_dx10_clamp 1
		.amdhsa_ieee_mode 1
		.amdhsa_fp16_overflow 0
		.amdhsa_tg_split 0
		.amdhsa_exception_fp_ieee_invalid_op 0
		.amdhsa_exception_fp_denorm_src 0
		.amdhsa_exception_fp_ieee_div_zero 0
		.amdhsa_exception_fp_ieee_overflow 0
		.amdhsa_exception_fp_ieee_underflow 0
		.amdhsa_exception_fp_ieee_inexact 0
		.amdhsa_exception_int_div_zero 0
	.end_amdhsa_kernel
	.section	.text._ZN7rocprim17ROCPRIM_400000_NS6detail17trampoline_kernelINS0_14default_configENS1_20scan_config_selectorIiEEZZNS1_9scan_implILNS1_25lookback_scan_determinismE0ELb1ELb1ES3_N6thrust23THRUST_200600_302600_NS10device_ptrIiEESB_iNS9_4plusIvEEiEEDaPvRmT3_T4_T5_mT6_P12ihipStream_tbENKUlT_T0_E_clISt17integral_constantIbLb0EESQ_IbLb1EEEEDaSM_SN_EUlSM_E0_NS1_11comp_targetILNS1_3genE0ELNS1_11target_archE4294967295ELNS1_3gpuE0ELNS1_3repE0EEENS1_30default_config_static_selectorELNS0_4arch9wavefront6targetE1EEEvT1_,"axG",@progbits,_ZN7rocprim17ROCPRIM_400000_NS6detail17trampoline_kernelINS0_14default_configENS1_20scan_config_selectorIiEEZZNS1_9scan_implILNS1_25lookback_scan_determinismE0ELb1ELb1ES3_N6thrust23THRUST_200600_302600_NS10device_ptrIiEESB_iNS9_4plusIvEEiEEDaPvRmT3_T4_T5_mT6_P12ihipStream_tbENKUlT_T0_E_clISt17integral_constantIbLb0EESQ_IbLb1EEEEDaSM_SN_EUlSM_E0_NS1_11comp_targetILNS1_3genE0ELNS1_11target_archE4294967295ELNS1_3gpuE0ELNS1_3repE0EEENS1_30default_config_static_selectorELNS0_4arch9wavefront6targetE1EEEvT1_,comdat
.Lfunc_end6885:
	.size	_ZN7rocprim17ROCPRIM_400000_NS6detail17trampoline_kernelINS0_14default_configENS1_20scan_config_selectorIiEEZZNS1_9scan_implILNS1_25lookback_scan_determinismE0ELb1ELb1ES3_N6thrust23THRUST_200600_302600_NS10device_ptrIiEESB_iNS9_4plusIvEEiEEDaPvRmT3_T4_T5_mT6_P12ihipStream_tbENKUlT_T0_E_clISt17integral_constantIbLb0EESQ_IbLb1EEEEDaSM_SN_EUlSM_E0_NS1_11comp_targetILNS1_3genE0ELNS1_11target_archE4294967295ELNS1_3gpuE0ELNS1_3repE0EEENS1_30default_config_static_selectorELNS0_4arch9wavefront6targetE1EEEvT1_, .Lfunc_end6885-_ZN7rocprim17ROCPRIM_400000_NS6detail17trampoline_kernelINS0_14default_configENS1_20scan_config_selectorIiEEZZNS1_9scan_implILNS1_25lookback_scan_determinismE0ELb1ELb1ES3_N6thrust23THRUST_200600_302600_NS10device_ptrIiEESB_iNS9_4plusIvEEiEEDaPvRmT3_T4_T5_mT6_P12ihipStream_tbENKUlT_T0_E_clISt17integral_constantIbLb0EESQ_IbLb1EEEEDaSM_SN_EUlSM_E0_NS1_11comp_targetILNS1_3genE0ELNS1_11target_archE4294967295ELNS1_3gpuE0ELNS1_3repE0EEENS1_30default_config_static_selectorELNS0_4arch9wavefront6targetE1EEEvT1_
                                        ; -- End function
	.section	.AMDGPU.csdata,"",@progbits
; Kernel info:
; codeLenInByte = 0
; NumSgprs: 4
; NumVgprs: 0
; NumAgprs: 0
; TotalNumVgprs: 0
; ScratchSize: 0
; MemoryBound: 0
; FloatMode: 240
; IeeeMode: 1
; LDSByteSize: 0 bytes/workgroup (compile time only)
; SGPRBlocks: 0
; VGPRBlocks: 0
; NumSGPRsForWavesPerEU: 4
; NumVGPRsForWavesPerEU: 1
; AccumOffset: 4
; Occupancy: 8
; WaveLimiterHint : 0
; COMPUTE_PGM_RSRC2:SCRATCH_EN: 0
; COMPUTE_PGM_RSRC2:USER_SGPR: 6
; COMPUTE_PGM_RSRC2:TRAP_HANDLER: 0
; COMPUTE_PGM_RSRC2:TGID_X_EN: 1
; COMPUTE_PGM_RSRC2:TGID_Y_EN: 0
; COMPUTE_PGM_RSRC2:TGID_Z_EN: 0
; COMPUTE_PGM_RSRC2:TIDIG_COMP_CNT: 0
; COMPUTE_PGM_RSRC3_GFX90A:ACCUM_OFFSET: 0
; COMPUTE_PGM_RSRC3_GFX90A:TG_SPLIT: 0
	.section	.text._ZN7rocprim17ROCPRIM_400000_NS6detail17trampoline_kernelINS0_14default_configENS1_20scan_config_selectorIiEEZZNS1_9scan_implILNS1_25lookback_scan_determinismE0ELb1ELb1ES3_N6thrust23THRUST_200600_302600_NS10device_ptrIiEESB_iNS9_4plusIvEEiEEDaPvRmT3_T4_T5_mT6_P12ihipStream_tbENKUlT_T0_E_clISt17integral_constantIbLb0EESQ_IbLb1EEEEDaSM_SN_EUlSM_E0_NS1_11comp_targetILNS1_3genE5ELNS1_11target_archE942ELNS1_3gpuE9ELNS1_3repE0EEENS1_30default_config_static_selectorELNS0_4arch9wavefront6targetE1EEEvT1_,"axG",@progbits,_ZN7rocprim17ROCPRIM_400000_NS6detail17trampoline_kernelINS0_14default_configENS1_20scan_config_selectorIiEEZZNS1_9scan_implILNS1_25lookback_scan_determinismE0ELb1ELb1ES3_N6thrust23THRUST_200600_302600_NS10device_ptrIiEESB_iNS9_4plusIvEEiEEDaPvRmT3_T4_T5_mT6_P12ihipStream_tbENKUlT_T0_E_clISt17integral_constantIbLb0EESQ_IbLb1EEEEDaSM_SN_EUlSM_E0_NS1_11comp_targetILNS1_3genE5ELNS1_11target_archE942ELNS1_3gpuE9ELNS1_3repE0EEENS1_30default_config_static_selectorELNS0_4arch9wavefront6targetE1EEEvT1_,comdat
	.protected	_ZN7rocprim17ROCPRIM_400000_NS6detail17trampoline_kernelINS0_14default_configENS1_20scan_config_selectorIiEEZZNS1_9scan_implILNS1_25lookback_scan_determinismE0ELb1ELb1ES3_N6thrust23THRUST_200600_302600_NS10device_ptrIiEESB_iNS9_4plusIvEEiEEDaPvRmT3_T4_T5_mT6_P12ihipStream_tbENKUlT_T0_E_clISt17integral_constantIbLb0EESQ_IbLb1EEEEDaSM_SN_EUlSM_E0_NS1_11comp_targetILNS1_3genE5ELNS1_11target_archE942ELNS1_3gpuE9ELNS1_3repE0EEENS1_30default_config_static_selectorELNS0_4arch9wavefront6targetE1EEEvT1_ ; -- Begin function _ZN7rocprim17ROCPRIM_400000_NS6detail17trampoline_kernelINS0_14default_configENS1_20scan_config_selectorIiEEZZNS1_9scan_implILNS1_25lookback_scan_determinismE0ELb1ELb1ES3_N6thrust23THRUST_200600_302600_NS10device_ptrIiEESB_iNS9_4plusIvEEiEEDaPvRmT3_T4_T5_mT6_P12ihipStream_tbENKUlT_T0_E_clISt17integral_constantIbLb0EESQ_IbLb1EEEEDaSM_SN_EUlSM_E0_NS1_11comp_targetILNS1_3genE5ELNS1_11target_archE942ELNS1_3gpuE9ELNS1_3repE0EEENS1_30default_config_static_selectorELNS0_4arch9wavefront6targetE1EEEvT1_
	.globl	_ZN7rocprim17ROCPRIM_400000_NS6detail17trampoline_kernelINS0_14default_configENS1_20scan_config_selectorIiEEZZNS1_9scan_implILNS1_25lookback_scan_determinismE0ELb1ELb1ES3_N6thrust23THRUST_200600_302600_NS10device_ptrIiEESB_iNS9_4plusIvEEiEEDaPvRmT3_T4_T5_mT6_P12ihipStream_tbENKUlT_T0_E_clISt17integral_constantIbLb0EESQ_IbLb1EEEEDaSM_SN_EUlSM_E0_NS1_11comp_targetILNS1_3genE5ELNS1_11target_archE942ELNS1_3gpuE9ELNS1_3repE0EEENS1_30default_config_static_selectorELNS0_4arch9wavefront6targetE1EEEvT1_
	.p2align	8
	.type	_ZN7rocprim17ROCPRIM_400000_NS6detail17trampoline_kernelINS0_14default_configENS1_20scan_config_selectorIiEEZZNS1_9scan_implILNS1_25lookback_scan_determinismE0ELb1ELb1ES3_N6thrust23THRUST_200600_302600_NS10device_ptrIiEESB_iNS9_4plusIvEEiEEDaPvRmT3_T4_T5_mT6_P12ihipStream_tbENKUlT_T0_E_clISt17integral_constantIbLb0EESQ_IbLb1EEEEDaSM_SN_EUlSM_E0_NS1_11comp_targetILNS1_3genE5ELNS1_11target_archE942ELNS1_3gpuE9ELNS1_3repE0EEENS1_30default_config_static_selectorELNS0_4arch9wavefront6targetE1EEEvT1_,@function
_ZN7rocprim17ROCPRIM_400000_NS6detail17trampoline_kernelINS0_14default_configENS1_20scan_config_selectorIiEEZZNS1_9scan_implILNS1_25lookback_scan_determinismE0ELb1ELb1ES3_N6thrust23THRUST_200600_302600_NS10device_ptrIiEESB_iNS9_4plusIvEEiEEDaPvRmT3_T4_T5_mT6_P12ihipStream_tbENKUlT_T0_E_clISt17integral_constantIbLb0EESQ_IbLb1EEEEDaSM_SN_EUlSM_E0_NS1_11comp_targetILNS1_3genE5ELNS1_11target_archE942ELNS1_3gpuE9ELNS1_3repE0EEENS1_30default_config_static_selectorELNS0_4arch9wavefront6targetE1EEEvT1_: ; @_ZN7rocprim17ROCPRIM_400000_NS6detail17trampoline_kernelINS0_14default_configENS1_20scan_config_selectorIiEEZZNS1_9scan_implILNS1_25lookback_scan_determinismE0ELb1ELb1ES3_N6thrust23THRUST_200600_302600_NS10device_ptrIiEESB_iNS9_4plusIvEEiEEDaPvRmT3_T4_T5_mT6_P12ihipStream_tbENKUlT_T0_E_clISt17integral_constantIbLb0EESQ_IbLb1EEEEDaSM_SN_EUlSM_E0_NS1_11comp_targetILNS1_3genE5ELNS1_11target_archE942ELNS1_3gpuE9ELNS1_3repE0EEENS1_30default_config_static_selectorELNS0_4arch9wavefront6targetE1EEEvT1_
; %bb.0:
	.section	.rodata,"a",@progbits
	.p2align	6, 0x0
	.amdhsa_kernel _ZN7rocprim17ROCPRIM_400000_NS6detail17trampoline_kernelINS0_14default_configENS1_20scan_config_selectorIiEEZZNS1_9scan_implILNS1_25lookback_scan_determinismE0ELb1ELb1ES3_N6thrust23THRUST_200600_302600_NS10device_ptrIiEESB_iNS9_4plusIvEEiEEDaPvRmT3_T4_T5_mT6_P12ihipStream_tbENKUlT_T0_E_clISt17integral_constantIbLb0EESQ_IbLb1EEEEDaSM_SN_EUlSM_E0_NS1_11comp_targetILNS1_3genE5ELNS1_11target_archE942ELNS1_3gpuE9ELNS1_3repE0EEENS1_30default_config_static_selectorELNS0_4arch9wavefront6targetE1EEEvT1_
		.amdhsa_group_segment_fixed_size 0
		.amdhsa_private_segment_fixed_size 0
		.amdhsa_kernarg_size 32
		.amdhsa_user_sgpr_count 6
		.amdhsa_user_sgpr_private_segment_buffer 1
		.amdhsa_user_sgpr_dispatch_ptr 0
		.amdhsa_user_sgpr_queue_ptr 0
		.amdhsa_user_sgpr_kernarg_segment_ptr 1
		.amdhsa_user_sgpr_dispatch_id 0
		.amdhsa_user_sgpr_flat_scratch_init 0
		.amdhsa_user_sgpr_kernarg_preload_length 0
		.amdhsa_user_sgpr_kernarg_preload_offset 0
		.amdhsa_user_sgpr_private_segment_size 0
		.amdhsa_uses_dynamic_stack 0
		.amdhsa_system_sgpr_private_segment_wavefront_offset 0
		.amdhsa_system_sgpr_workgroup_id_x 1
		.amdhsa_system_sgpr_workgroup_id_y 0
		.amdhsa_system_sgpr_workgroup_id_z 0
		.amdhsa_system_sgpr_workgroup_info 0
		.amdhsa_system_vgpr_workitem_id 0
		.amdhsa_next_free_vgpr 1
		.amdhsa_next_free_sgpr 0
		.amdhsa_accum_offset 4
		.amdhsa_reserve_vcc 0
		.amdhsa_reserve_flat_scratch 0
		.amdhsa_float_round_mode_32 0
		.amdhsa_float_round_mode_16_64 0
		.amdhsa_float_denorm_mode_32 3
		.amdhsa_float_denorm_mode_16_64 3
		.amdhsa_dx10_clamp 1
		.amdhsa_ieee_mode 1
		.amdhsa_fp16_overflow 0
		.amdhsa_tg_split 0
		.amdhsa_exception_fp_ieee_invalid_op 0
		.amdhsa_exception_fp_denorm_src 0
		.amdhsa_exception_fp_ieee_div_zero 0
		.amdhsa_exception_fp_ieee_overflow 0
		.amdhsa_exception_fp_ieee_underflow 0
		.amdhsa_exception_fp_ieee_inexact 0
		.amdhsa_exception_int_div_zero 0
	.end_amdhsa_kernel
	.section	.text._ZN7rocprim17ROCPRIM_400000_NS6detail17trampoline_kernelINS0_14default_configENS1_20scan_config_selectorIiEEZZNS1_9scan_implILNS1_25lookback_scan_determinismE0ELb1ELb1ES3_N6thrust23THRUST_200600_302600_NS10device_ptrIiEESB_iNS9_4plusIvEEiEEDaPvRmT3_T4_T5_mT6_P12ihipStream_tbENKUlT_T0_E_clISt17integral_constantIbLb0EESQ_IbLb1EEEEDaSM_SN_EUlSM_E0_NS1_11comp_targetILNS1_3genE5ELNS1_11target_archE942ELNS1_3gpuE9ELNS1_3repE0EEENS1_30default_config_static_selectorELNS0_4arch9wavefront6targetE1EEEvT1_,"axG",@progbits,_ZN7rocprim17ROCPRIM_400000_NS6detail17trampoline_kernelINS0_14default_configENS1_20scan_config_selectorIiEEZZNS1_9scan_implILNS1_25lookback_scan_determinismE0ELb1ELb1ES3_N6thrust23THRUST_200600_302600_NS10device_ptrIiEESB_iNS9_4plusIvEEiEEDaPvRmT3_T4_T5_mT6_P12ihipStream_tbENKUlT_T0_E_clISt17integral_constantIbLb0EESQ_IbLb1EEEEDaSM_SN_EUlSM_E0_NS1_11comp_targetILNS1_3genE5ELNS1_11target_archE942ELNS1_3gpuE9ELNS1_3repE0EEENS1_30default_config_static_selectorELNS0_4arch9wavefront6targetE1EEEvT1_,comdat
.Lfunc_end6886:
	.size	_ZN7rocprim17ROCPRIM_400000_NS6detail17trampoline_kernelINS0_14default_configENS1_20scan_config_selectorIiEEZZNS1_9scan_implILNS1_25lookback_scan_determinismE0ELb1ELb1ES3_N6thrust23THRUST_200600_302600_NS10device_ptrIiEESB_iNS9_4plusIvEEiEEDaPvRmT3_T4_T5_mT6_P12ihipStream_tbENKUlT_T0_E_clISt17integral_constantIbLb0EESQ_IbLb1EEEEDaSM_SN_EUlSM_E0_NS1_11comp_targetILNS1_3genE5ELNS1_11target_archE942ELNS1_3gpuE9ELNS1_3repE0EEENS1_30default_config_static_selectorELNS0_4arch9wavefront6targetE1EEEvT1_, .Lfunc_end6886-_ZN7rocprim17ROCPRIM_400000_NS6detail17trampoline_kernelINS0_14default_configENS1_20scan_config_selectorIiEEZZNS1_9scan_implILNS1_25lookback_scan_determinismE0ELb1ELb1ES3_N6thrust23THRUST_200600_302600_NS10device_ptrIiEESB_iNS9_4plusIvEEiEEDaPvRmT3_T4_T5_mT6_P12ihipStream_tbENKUlT_T0_E_clISt17integral_constantIbLb0EESQ_IbLb1EEEEDaSM_SN_EUlSM_E0_NS1_11comp_targetILNS1_3genE5ELNS1_11target_archE942ELNS1_3gpuE9ELNS1_3repE0EEENS1_30default_config_static_selectorELNS0_4arch9wavefront6targetE1EEEvT1_
                                        ; -- End function
	.section	.AMDGPU.csdata,"",@progbits
; Kernel info:
; codeLenInByte = 0
; NumSgprs: 4
; NumVgprs: 0
; NumAgprs: 0
; TotalNumVgprs: 0
; ScratchSize: 0
; MemoryBound: 0
; FloatMode: 240
; IeeeMode: 1
; LDSByteSize: 0 bytes/workgroup (compile time only)
; SGPRBlocks: 0
; VGPRBlocks: 0
; NumSGPRsForWavesPerEU: 4
; NumVGPRsForWavesPerEU: 1
; AccumOffset: 4
; Occupancy: 8
; WaveLimiterHint : 0
; COMPUTE_PGM_RSRC2:SCRATCH_EN: 0
; COMPUTE_PGM_RSRC2:USER_SGPR: 6
; COMPUTE_PGM_RSRC2:TRAP_HANDLER: 0
; COMPUTE_PGM_RSRC2:TGID_X_EN: 1
; COMPUTE_PGM_RSRC2:TGID_Y_EN: 0
; COMPUTE_PGM_RSRC2:TGID_Z_EN: 0
; COMPUTE_PGM_RSRC2:TIDIG_COMP_CNT: 0
; COMPUTE_PGM_RSRC3_GFX90A:ACCUM_OFFSET: 0
; COMPUTE_PGM_RSRC3_GFX90A:TG_SPLIT: 0
	.section	.text._ZN7rocprim17ROCPRIM_400000_NS6detail17trampoline_kernelINS0_14default_configENS1_20scan_config_selectorIiEEZZNS1_9scan_implILNS1_25lookback_scan_determinismE0ELb1ELb1ES3_N6thrust23THRUST_200600_302600_NS10device_ptrIiEESB_iNS9_4plusIvEEiEEDaPvRmT3_T4_T5_mT6_P12ihipStream_tbENKUlT_T0_E_clISt17integral_constantIbLb0EESQ_IbLb1EEEEDaSM_SN_EUlSM_E0_NS1_11comp_targetILNS1_3genE4ELNS1_11target_archE910ELNS1_3gpuE8ELNS1_3repE0EEENS1_30default_config_static_selectorELNS0_4arch9wavefront6targetE1EEEvT1_,"axG",@progbits,_ZN7rocprim17ROCPRIM_400000_NS6detail17trampoline_kernelINS0_14default_configENS1_20scan_config_selectorIiEEZZNS1_9scan_implILNS1_25lookback_scan_determinismE0ELb1ELb1ES3_N6thrust23THRUST_200600_302600_NS10device_ptrIiEESB_iNS9_4plusIvEEiEEDaPvRmT3_T4_T5_mT6_P12ihipStream_tbENKUlT_T0_E_clISt17integral_constantIbLb0EESQ_IbLb1EEEEDaSM_SN_EUlSM_E0_NS1_11comp_targetILNS1_3genE4ELNS1_11target_archE910ELNS1_3gpuE8ELNS1_3repE0EEENS1_30default_config_static_selectorELNS0_4arch9wavefront6targetE1EEEvT1_,comdat
	.protected	_ZN7rocprim17ROCPRIM_400000_NS6detail17trampoline_kernelINS0_14default_configENS1_20scan_config_selectorIiEEZZNS1_9scan_implILNS1_25lookback_scan_determinismE0ELb1ELb1ES3_N6thrust23THRUST_200600_302600_NS10device_ptrIiEESB_iNS9_4plusIvEEiEEDaPvRmT3_T4_T5_mT6_P12ihipStream_tbENKUlT_T0_E_clISt17integral_constantIbLb0EESQ_IbLb1EEEEDaSM_SN_EUlSM_E0_NS1_11comp_targetILNS1_3genE4ELNS1_11target_archE910ELNS1_3gpuE8ELNS1_3repE0EEENS1_30default_config_static_selectorELNS0_4arch9wavefront6targetE1EEEvT1_ ; -- Begin function _ZN7rocprim17ROCPRIM_400000_NS6detail17trampoline_kernelINS0_14default_configENS1_20scan_config_selectorIiEEZZNS1_9scan_implILNS1_25lookback_scan_determinismE0ELb1ELb1ES3_N6thrust23THRUST_200600_302600_NS10device_ptrIiEESB_iNS9_4plusIvEEiEEDaPvRmT3_T4_T5_mT6_P12ihipStream_tbENKUlT_T0_E_clISt17integral_constantIbLb0EESQ_IbLb1EEEEDaSM_SN_EUlSM_E0_NS1_11comp_targetILNS1_3genE4ELNS1_11target_archE910ELNS1_3gpuE8ELNS1_3repE0EEENS1_30default_config_static_selectorELNS0_4arch9wavefront6targetE1EEEvT1_
	.globl	_ZN7rocprim17ROCPRIM_400000_NS6detail17trampoline_kernelINS0_14default_configENS1_20scan_config_selectorIiEEZZNS1_9scan_implILNS1_25lookback_scan_determinismE0ELb1ELb1ES3_N6thrust23THRUST_200600_302600_NS10device_ptrIiEESB_iNS9_4plusIvEEiEEDaPvRmT3_T4_T5_mT6_P12ihipStream_tbENKUlT_T0_E_clISt17integral_constantIbLb0EESQ_IbLb1EEEEDaSM_SN_EUlSM_E0_NS1_11comp_targetILNS1_3genE4ELNS1_11target_archE910ELNS1_3gpuE8ELNS1_3repE0EEENS1_30default_config_static_selectorELNS0_4arch9wavefront6targetE1EEEvT1_
	.p2align	8
	.type	_ZN7rocprim17ROCPRIM_400000_NS6detail17trampoline_kernelINS0_14default_configENS1_20scan_config_selectorIiEEZZNS1_9scan_implILNS1_25lookback_scan_determinismE0ELb1ELb1ES3_N6thrust23THRUST_200600_302600_NS10device_ptrIiEESB_iNS9_4plusIvEEiEEDaPvRmT3_T4_T5_mT6_P12ihipStream_tbENKUlT_T0_E_clISt17integral_constantIbLb0EESQ_IbLb1EEEEDaSM_SN_EUlSM_E0_NS1_11comp_targetILNS1_3genE4ELNS1_11target_archE910ELNS1_3gpuE8ELNS1_3repE0EEENS1_30default_config_static_selectorELNS0_4arch9wavefront6targetE1EEEvT1_,@function
_ZN7rocprim17ROCPRIM_400000_NS6detail17trampoline_kernelINS0_14default_configENS1_20scan_config_selectorIiEEZZNS1_9scan_implILNS1_25lookback_scan_determinismE0ELb1ELb1ES3_N6thrust23THRUST_200600_302600_NS10device_ptrIiEESB_iNS9_4plusIvEEiEEDaPvRmT3_T4_T5_mT6_P12ihipStream_tbENKUlT_T0_E_clISt17integral_constantIbLb0EESQ_IbLb1EEEEDaSM_SN_EUlSM_E0_NS1_11comp_targetILNS1_3genE4ELNS1_11target_archE910ELNS1_3gpuE8ELNS1_3repE0EEENS1_30default_config_static_selectorELNS0_4arch9wavefront6targetE1EEEvT1_: ; @_ZN7rocprim17ROCPRIM_400000_NS6detail17trampoline_kernelINS0_14default_configENS1_20scan_config_selectorIiEEZZNS1_9scan_implILNS1_25lookback_scan_determinismE0ELb1ELb1ES3_N6thrust23THRUST_200600_302600_NS10device_ptrIiEESB_iNS9_4plusIvEEiEEDaPvRmT3_T4_T5_mT6_P12ihipStream_tbENKUlT_T0_E_clISt17integral_constantIbLb0EESQ_IbLb1EEEEDaSM_SN_EUlSM_E0_NS1_11comp_targetILNS1_3genE4ELNS1_11target_archE910ELNS1_3gpuE8ELNS1_3repE0EEENS1_30default_config_static_selectorELNS0_4arch9wavefront6targetE1EEEvT1_
; %bb.0:
	s_load_dwordx4 s[20:23], s[4:5], 0x0
	v_lshlrev_b32_e32 v14, 2, v0
	s_waitcnt lgkmcnt(0)
	s_load_dword s23, s[20:21], 0x0
	v_cmp_gt_u32_e32 vcc, s22, v0
	s_waitcnt lgkmcnt(0)
	v_mov_b32_e32 v1, s23
	s_and_saveexec_b64 s[0:1], vcc
	s_cbranch_execz .LBB6887_2
; %bb.1:
	global_load_dword v1, v14, s[20:21]
.LBB6887_2:
	s_or_b64 exec, exec, s[0:1]
	v_or_b32_e32 v2, 0x80, v0
	v_cmp_gt_u32_e64 s[0:1], s22, v2
	v_mov_b32_e32 v2, s23
	s_and_saveexec_b64 s[2:3], s[0:1]
	s_cbranch_execz .LBB6887_4
; %bb.3:
	global_load_dword v2, v14, s[20:21] offset:512
.LBB6887_4:
	s_or_b64 exec, exec, s[2:3]
	v_or_b32_e32 v3, 0x100, v0
	v_cmp_gt_u32_e64 s[2:3], s22, v3
	v_mov_b32_e32 v3, s23
	s_and_saveexec_b64 s[6:7], s[2:3]
	s_cbranch_execz .LBB6887_6
; %bb.5:
	global_load_dword v3, v14, s[20:21] offset:1024
.LBB6887_6:
	;; [unrolled: 9-line block ×7, first 2 shown]
	s_or_b64 exec, exec, s[14:15]
	v_or_b32_e32 v10, 0x400, v0
	v_cmp_gt_u32_e64 s[14:15], s22, v10
	v_mov_b32_e32 v9, s23
	s_and_saveexec_b64 s[16:17], s[14:15]
	s_cbranch_execz .LBB6887_18
; %bb.17:
	v_lshlrev_b32_e32 v9, 2, v10
	global_load_dword v9, v9, s[20:21]
.LBB6887_18:
	s_or_b64 exec, exec, s[16:17]
	s_load_dword s24, s[4:5], 0x10
	v_or_b32_e32 v11, 0x480, v0
	v_cmp_gt_u32_e64 s[16:17], s22, v11
	v_mov_b32_e32 v10, s23
	s_and_saveexec_b64 s[22:23], s[16:17]
	s_cbranch_execz .LBB6887_20
; %bb.19:
	v_lshlrev_b32_e32 v10, 2, v11
	global_load_dword v10, v10, s[20:21]
.LBB6887_20:
	s_or_b64 exec, exec, s[22:23]
	s_waitcnt vmcnt(0)
	ds_write2st64_b32 v14, v1, v2 offset1:2
	ds_write2st64_b32 v14, v3, v4 offset0:4 offset1:6
	ds_write2st64_b32 v14, v5, v6 offset0:8 offset1:10
	;; [unrolled: 1-line block ×4, first 2 shown]
	v_mad_u32_u24 v1, v0, 36, v14
	s_waitcnt lgkmcnt(0)
	s_barrier
	ds_read2_b64 v[6:9], v1 offset1:1
	ds_read2_b64 v[2:5], v1 offset0:2 offset1:3
	ds_read_b64 v[10:11], v1 offset:32
	s_load_dwordx2 s[20:21], s[4:5], 0x18
	v_cmp_gt_u32_e64 s[4:5], 64, v0
	s_waitcnt lgkmcnt(0)
	v_add_u32_e32 v1, v7, v6
	v_add3_u32 v1, v1, v8, v9
	v_add3_u32 v1, v1, v2, v3
	;; [unrolled: 1-line block ×4, first 2 shown]
	v_lshrrev_b32_e32 v11, 3, v0
	v_and_b32_e32 v11, 12, v11
	v_add_u32_e32 v11, v14, v11
	s_barrier
	ds_write_b32 v11, v1
	s_waitcnt lgkmcnt(0)
	s_barrier
	s_and_saveexec_b64 s[22:23], s[4:5]
	s_cbranch_execz .LBB6887_22
; %bb.21:
	v_lshlrev_b32_e32 v11, 1, v0
	v_lshrrev_b32_e32 v12, 4, v0
	v_add_lshl_u32 v11, v12, v11, 2
	ds_read2_b32 v[12:13], v11 offset1:1
	v_mbcnt_lo_u32_b32 v15, -1, 0
	v_mbcnt_hi_u32_b32 v15, -1, v15
	v_and_b32_e32 v16, 15, v15
	v_cmp_ne_u32_e64 s[4:5], 0, v16
	s_waitcnt lgkmcnt(0)
	v_add_u32_e32 v13, v13, v12
	; wave barrier
	s_nop 1
	v_mov_b32_dpp v17, v13 row_shr:1 row_mask:0xf bank_mask:0xf
	v_cndmask_b32_e64 v17, 0, v17, s[4:5]
	v_add_u32_e32 v13, v17, v13
	v_cmp_lt_u32_e64 s[4:5], 1, v16
	s_nop 0
	v_mov_b32_dpp v17, v13 row_shr:2 row_mask:0xf bank_mask:0xf
	v_cndmask_b32_e64 v17, 0, v17, s[4:5]
	v_add_u32_e32 v13, v13, v17
	v_cmp_lt_u32_e64 s[4:5], 3, v16
	;; [unrolled: 5-line block ×3, first 2 shown]
	s_nop 0
	v_mov_b32_dpp v17, v13 row_shr:8 row_mask:0xf bank_mask:0xf
	v_cndmask_b32_e64 v16, 0, v17, s[4:5]
	v_add_u32_e32 v13, v13, v16
	v_bfe_i32 v17, v15, 4, 1
	v_cmp_lt_u32_e64 s[4:5], 31, v15
	v_mov_b32_dpp v16, v13 row_bcast:15 row_mask:0xf bank_mask:0xf
	v_and_b32_e32 v16, v17, v16
	v_add_u32_e32 v13, v13, v16
	v_and_b32_e32 v17, 64, v15
	s_nop 0
	v_mov_b32_dpp v16, v13 row_bcast:31 row_mask:0xf bank_mask:0xf
	v_cndmask_b32_e64 v16, 0, v16, s[4:5]
	v_add_u32_e32 v13, v13, v16
	v_add_u32_e32 v16, -1, v15
	v_cmp_lt_i32_e64 s[4:5], v16, v17
	v_cndmask_b32_e64 v15, v16, v15, s[4:5]
	v_lshlrev_b32_e32 v15, 2, v15
	ds_bpermute_b32 v13, v15, v13
	v_cmp_eq_u32_e64 s[4:5], 0, v0
	s_waitcnt lgkmcnt(0)
	v_add_u32_e32 v12, v13, v12
	v_cndmask_b32_e64 v1, v12, v1, s[4:5]
	ds_write_b32 v11, v1
	; wave barrier
	ds_read_b32 v12, v11 offset:4
	s_waitcnt lgkmcnt(0)
	v_add_u32_e32 v1, v12, v1
	ds_write_b32 v11, v1 offset:4
.LBB6887_22:
	s_or_b64 exec, exec, s[22:23]
	v_mul_u32_u24_e32 v1, 36, v0
	v_cmp_ne_u32_e64 s[4:5], 0, v0
	v_mov_b32_e32 v12, s24
	s_waitcnt lgkmcnt(0)
	s_barrier
	s_and_saveexec_b64 s[22:23], s[4:5]
	s_cbranch_execz .LBB6887_24
; %bb.23:
	v_add_u32_e32 v0, -1, v0
	v_lshrrev_b32_e32 v11, 5, v0
	v_add_lshl_u32 v0, v11, v0, 2
	ds_read_b32 v0, v0
	s_waitcnt lgkmcnt(0)
	v_add_u32_e32 v12, s24, v0
.LBB6887_24:
	s_or_b64 exec, exec, s[22:23]
	v_add_u32_e32 v13, v12, v6
	v_add_u32_e32 v6, v13, v7
	;; [unrolled: 1-line block ×10, first 2 shown]
	s_barrier
	ds_write2_b64 v0, v[12:13], v[6:7] offset1:1
	ds_write2_b64 v0, v[8:9], v[2:3] offset0:2 offset1:3
	ds_write_b64 v0, v[4:5] offset:32
	s_waitcnt lgkmcnt(0)
	s_barrier
	ds_read2st64_b32 v[8:9], v14 offset0:2 offset1:4
	ds_read2st64_b32 v[6:7], v14 offset0:6 offset1:8
	;; [unrolled: 1-line block ×4, first 2 shown]
	ds_read_b32 v10, v14 offset:4608
	v_mov_b32_e32 v1, s21
	v_add_co_u32_e64 v0, s[4:5], s20, v14
	v_addc_co_u32_e64 v1, s[4:5], 0, v1, s[4:5]
	s_and_saveexec_b64 s[4:5], vcc
	s_cbranch_execnz .LBB6887_35
; %bb.25:
	s_or_b64 exec, exec, s[4:5]
	s_and_saveexec_b64 s[4:5], s[0:1]
	s_cbranch_execnz .LBB6887_36
.LBB6887_26:
	s_or_b64 exec, exec, s[4:5]
	s_and_saveexec_b64 s[0:1], s[2:3]
	s_cbranch_execnz .LBB6887_37
.LBB6887_27:
	s_or_b64 exec, exec, s[0:1]
	s_and_saveexec_b64 s[0:1], s[18:19]
	s_cbranch_execnz .LBB6887_38
.LBB6887_28:
	s_or_b64 exec, exec, s[0:1]
	s_and_saveexec_b64 s[0:1], s[6:7]
	s_cbranch_execnz .LBB6887_39
.LBB6887_29:
	s_or_b64 exec, exec, s[0:1]
	s_and_saveexec_b64 s[0:1], s[8:9]
	s_cbranch_execnz .LBB6887_40
.LBB6887_30:
	s_or_b64 exec, exec, s[0:1]
	s_and_saveexec_b64 s[0:1], s[10:11]
	s_cbranch_execnz .LBB6887_41
.LBB6887_31:
	s_or_b64 exec, exec, s[0:1]
	s_and_saveexec_b64 s[0:1], s[12:13]
	s_cbranch_execnz .LBB6887_42
.LBB6887_32:
	s_or_b64 exec, exec, s[0:1]
	s_and_saveexec_b64 s[0:1], s[14:15]
	s_cbranch_execnz .LBB6887_43
.LBB6887_33:
	s_or_b64 exec, exec, s[0:1]
	s_and_saveexec_b64 s[0:1], s[16:17]
	s_cbranch_execnz .LBB6887_44
.LBB6887_34:
	s_endpgm
.LBB6887_35:
	ds_read_b32 v11, v14
	s_waitcnt lgkmcnt(0)
	global_store_dword v[0:1], v11, off
	s_or_b64 exec, exec, s[4:5]
	s_and_saveexec_b64 s[4:5], s[0:1]
	s_cbranch_execz .LBB6887_26
.LBB6887_36:
	s_waitcnt lgkmcnt(4)
	global_store_dword v[0:1], v8, off offset:512
	s_or_b64 exec, exec, s[4:5]
	s_and_saveexec_b64 s[0:1], s[2:3]
	s_cbranch_execz .LBB6887_27
.LBB6887_37:
	s_waitcnt lgkmcnt(4)
	global_store_dword v[0:1], v9, off offset:1024
	s_or_b64 exec, exec, s[0:1]
	s_and_saveexec_b64 s[0:1], s[18:19]
	s_cbranch_execz .LBB6887_28
.LBB6887_38:
	s_waitcnt lgkmcnt(3)
	global_store_dword v[0:1], v6, off offset:1536
	s_or_b64 exec, exec, s[0:1]
	s_and_saveexec_b64 s[0:1], s[6:7]
	s_cbranch_execz .LBB6887_29
.LBB6887_39:
	s_waitcnt lgkmcnt(3)
	global_store_dword v[0:1], v7, off offset:2048
	s_or_b64 exec, exec, s[0:1]
	s_and_saveexec_b64 s[0:1], s[8:9]
	s_cbranch_execz .LBB6887_30
.LBB6887_40:
	s_waitcnt lgkmcnt(2)
	global_store_dword v[0:1], v4, off offset:2560
	s_or_b64 exec, exec, s[0:1]
	s_and_saveexec_b64 s[0:1], s[10:11]
	s_cbranch_execz .LBB6887_31
.LBB6887_41:
	s_waitcnt lgkmcnt(2)
	global_store_dword v[0:1], v5, off offset:3072
	s_or_b64 exec, exec, s[0:1]
	s_and_saveexec_b64 s[0:1], s[12:13]
	s_cbranch_execz .LBB6887_32
.LBB6887_42:
	s_waitcnt lgkmcnt(1)
	global_store_dword v[0:1], v2, off offset:3584
	s_or_b64 exec, exec, s[0:1]
	s_and_saveexec_b64 s[0:1], s[14:15]
	s_cbranch_execz .LBB6887_33
.LBB6887_43:
	s_waitcnt lgkmcnt(2)
	v_add_co_u32_e32 v4, vcc, 0x1000, v0
	v_addc_co_u32_e32 v5, vcc, 0, v1, vcc
	s_waitcnt lgkmcnt(1)
	global_store_dword v[4:5], v3, off
	s_or_b64 exec, exec, s[0:1]
	s_and_saveexec_b64 s[0:1], s[16:17]
	s_cbranch_execz .LBB6887_34
.LBB6887_44:
	v_add_co_u32_e32 v0, vcc, 0x1000, v0
	v_addc_co_u32_e32 v1, vcc, 0, v1, vcc
	s_waitcnt lgkmcnt(0)
	global_store_dword v[0:1], v10, off offset:512
	s_endpgm
	.section	.rodata,"a",@progbits
	.p2align	6, 0x0
	.amdhsa_kernel _ZN7rocprim17ROCPRIM_400000_NS6detail17trampoline_kernelINS0_14default_configENS1_20scan_config_selectorIiEEZZNS1_9scan_implILNS1_25lookback_scan_determinismE0ELb1ELb1ES3_N6thrust23THRUST_200600_302600_NS10device_ptrIiEESB_iNS9_4plusIvEEiEEDaPvRmT3_T4_T5_mT6_P12ihipStream_tbENKUlT_T0_E_clISt17integral_constantIbLb0EESQ_IbLb1EEEEDaSM_SN_EUlSM_E0_NS1_11comp_targetILNS1_3genE4ELNS1_11target_archE910ELNS1_3gpuE8ELNS1_3repE0EEENS1_30default_config_static_selectorELNS0_4arch9wavefront6targetE1EEEvT1_
		.amdhsa_group_segment_fixed_size 5120
		.amdhsa_private_segment_fixed_size 0
		.amdhsa_kernarg_size 32
		.amdhsa_user_sgpr_count 6
		.amdhsa_user_sgpr_private_segment_buffer 1
		.amdhsa_user_sgpr_dispatch_ptr 0
		.amdhsa_user_sgpr_queue_ptr 0
		.amdhsa_user_sgpr_kernarg_segment_ptr 1
		.amdhsa_user_sgpr_dispatch_id 0
		.amdhsa_user_sgpr_flat_scratch_init 0
		.amdhsa_user_sgpr_kernarg_preload_length 0
		.amdhsa_user_sgpr_kernarg_preload_offset 0
		.amdhsa_user_sgpr_private_segment_size 0
		.amdhsa_uses_dynamic_stack 0
		.amdhsa_system_sgpr_private_segment_wavefront_offset 0
		.amdhsa_system_sgpr_workgroup_id_x 1
		.amdhsa_system_sgpr_workgroup_id_y 0
		.amdhsa_system_sgpr_workgroup_id_z 0
		.amdhsa_system_sgpr_workgroup_info 0
		.amdhsa_system_vgpr_workitem_id 0
		.amdhsa_next_free_vgpr 18
		.amdhsa_next_free_sgpr 25
		.amdhsa_accum_offset 20
		.amdhsa_reserve_vcc 1
		.amdhsa_reserve_flat_scratch 0
		.amdhsa_float_round_mode_32 0
		.amdhsa_float_round_mode_16_64 0
		.amdhsa_float_denorm_mode_32 3
		.amdhsa_float_denorm_mode_16_64 3
		.amdhsa_dx10_clamp 1
		.amdhsa_ieee_mode 1
		.amdhsa_fp16_overflow 0
		.amdhsa_tg_split 0
		.amdhsa_exception_fp_ieee_invalid_op 0
		.amdhsa_exception_fp_denorm_src 0
		.amdhsa_exception_fp_ieee_div_zero 0
		.amdhsa_exception_fp_ieee_overflow 0
		.amdhsa_exception_fp_ieee_underflow 0
		.amdhsa_exception_fp_ieee_inexact 0
		.amdhsa_exception_int_div_zero 0
	.end_amdhsa_kernel
	.section	.text._ZN7rocprim17ROCPRIM_400000_NS6detail17trampoline_kernelINS0_14default_configENS1_20scan_config_selectorIiEEZZNS1_9scan_implILNS1_25lookback_scan_determinismE0ELb1ELb1ES3_N6thrust23THRUST_200600_302600_NS10device_ptrIiEESB_iNS9_4plusIvEEiEEDaPvRmT3_T4_T5_mT6_P12ihipStream_tbENKUlT_T0_E_clISt17integral_constantIbLb0EESQ_IbLb1EEEEDaSM_SN_EUlSM_E0_NS1_11comp_targetILNS1_3genE4ELNS1_11target_archE910ELNS1_3gpuE8ELNS1_3repE0EEENS1_30default_config_static_selectorELNS0_4arch9wavefront6targetE1EEEvT1_,"axG",@progbits,_ZN7rocprim17ROCPRIM_400000_NS6detail17trampoline_kernelINS0_14default_configENS1_20scan_config_selectorIiEEZZNS1_9scan_implILNS1_25lookback_scan_determinismE0ELb1ELb1ES3_N6thrust23THRUST_200600_302600_NS10device_ptrIiEESB_iNS9_4plusIvEEiEEDaPvRmT3_T4_T5_mT6_P12ihipStream_tbENKUlT_T0_E_clISt17integral_constantIbLb0EESQ_IbLb1EEEEDaSM_SN_EUlSM_E0_NS1_11comp_targetILNS1_3genE4ELNS1_11target_archE910ELNS1_3gpuE8ELNS1_3repE0EEENS1_30default_config_static_selectorELNS0_4arch9wavefront6targetE1EEEvT1_,comdat
.Lfunc_end6887:
	.size	_ZN7rocprim17ROCPRIM_400000_NS6detail17trampoline_kernelINS0_14default_configENS1_20scan_config_selectorIiEEZZNS1_9scan_implILNS1_25lookback_scan_determinismE0ELb1ELb1ES3_N6thrust23THRUST_200600_302600_NS10device_ptrIiEESB_iNS9_4plusIvEEiEEDaPvRmT3_T4_T5_mT6_P12ihipStream_tbENKUlT_T0_E_clISt17integral_constantIbLb0EESQ_IbLb1EEEEDaSM_SN_EUlSM_E0_NS1_11comp_targetILNS1_3genE4ELNS1_11target_archE910ELNS1_3gpuE8ELNS1_3repE0EEENS1_30default_config_static_selectorELNS0_4arch9wavefront6targetE1EEEvT1_, .Lfunc_end6887-_ZN7rocprim17ROCPRIM_400000_NS6detail17trampoline_kernelINS0_14default_configENS1_20scan_config_selectorIiEEZZNS1_9scan_implILNS1_25lookback_scan_determinismE0ELb1ELb1ES3_N6thrust23THRUST_200600_302600_NS10device_ptrIiEESB_iNS9_4plusIvEEiEEDaPvRmT3_T4_T5_mT6_P12ihipStream_tbENKUlT_T0_E_clISt17integral_constantIbLb0EESQ_IbLb1EEEEDaSM_SN_EUlSM_E0_NS1_11comp_targetILNS1_3genE4ELNS1_11target_archE910ELNS1_3gpuE8ELNS1_3repE0EEENS1_30default_config_static_selectorELNS0_4arch9wavefront6targetE1EEEvT1_
                                        ; -- End function
	.section	.AMDGPU.csdata,"",@progbits
; Kernel info:
; codeLenInByte = 1536
; NumSgprs: 29
; NumVgprs: 18
; NumAgprs: 0
; TotalNumVgprs: 18
; ScratchSize: 0
; MemoryBound: 0
; FloatMode: 240
; IeeeMode: 1
; LDSByteSize: 5120 bytes/workgroup (compile time only)
; SGPRBlocks: 3
; VGPRBlocks: 2
; NumSGPRsForWavesPerEU: 29
; NumVGPRsForWavesPerEU: 18
; AccumOffset: 20
; Occupancy: 6
; WaveLimiterHint : 0
; COMPUTE_PGM_RSRC2:SCRATCH_EN: 0
; COMPUTE_PGM_RSRC2:USER_SGPR: 6
; COMPUTE_PGM_RSRC2:TRAP_HANDLER: 0
; COMPUTE_PGM_RSRC2:TGID_X_EN: 1
; COMPUTE_PGM_RSRC2:TGID_Y_EN: 0
; COMPUTE_PGM_RSRC2:TGID_Z_EN: 0
; COMPUTE_PGM_RSRC2:TIDIG_COMP_CNT: 0
; COMPUTE_PGM_RSRC3_GFX90A:ACCUM_OFFSET: 4
; COMPUTE_PGM_RSRC3_GFX90A:TG_SPLIT: 0
	.section	.text._ZN7rocprim17ROCPRIM_400000_NS6detail17trampoline_kernelINS0_14default_configENS1_20scan_config_selectorIiEEZZNS1_9scan_implILNS1_25lookback_scan_determinismE0ELb1ELb1ES3_N6thrust23THRUST_200600_302600_NS10device_ptrIiEESB_iNS9_4plusIvEEiEEDaPvRmT3_T4_T5_mT6_P12ihipStream_tbENKUlT_T0_E_clISt17integral_constantIbLb0EESQ_IbLb1EEEEDaSM_SN_EUlSM_E0_NS1_11comp_targetILNS1_3genE3ELNS1_11target_archE908ELNS1_3gpuE7ELNS1_3repE0EEENS1_30default_config_static_selectorELNS0_4arch9wavefront6targetE1EEEvT1_,"axG",@progbits,_ZN7rocprim17ROCPRIM_400000_NS6detail17trampoline_kernelINS0_14default_configENS1_20scan_config_selectorIiEEZZNS1_9scan_implILNS1_25lookback_scan_determinismE0ELb1ELb1ES3_N6thrust23THRUST_200600_302600_NS10device_ptrIiEESB_iNS9_4plusIvEEiEEDaPvRmT3_T4_T5_mT6_P12ihipStream_tbENKUlT_T0_E_clISt17integral_constantIbLb0EESQ_IbLb1EEEEDaSM_SN_EUlSM_E0_NS1_11comp_targetILNS1_3genE3ELNS1_11target_archE908ELNS1_3gpuE7ELNS1_3repE0EEENS1_30default_config_static_selectorELNS0_4arch9wavefront6targetE1EEEvT1_,comdat
	.protected	_ZN7rocprim17ROCPRIM_400000_NS6detail17trampoline_kernelINS0_14default_configENS1_20scan_config_selectorIiEEZZNS1_9scan_implILNS1_25lookback_scan_determinismE0ELb1ELb1ES3_N6thrust23THRUST_200600_302600_NS10device_ptrIiEESB_iNS9_4plusIvEEiEEDaPvRmT3_T4_T5_mT6_P12ihipStream_tbENKUlT_T0_E_clISt17integral_constantIbLb0EESQ_IbLb1EEEEDaSM_SN_EUlSM_E0_NS1_11comp_targetILNS1_3genE3ELNS1_11target_archE908ELNS1_3gpuE7ELNS1_3repE0EEENS1_30default_config_static_selectorELNS0_4arch9wavefront6targetE1EEEvT1_ ; -- Begin function _ZN7rocprim17ROCPRIM_400000_NS6detail17trampoline_kernelINS0_14default_configENS1_20scan_config_selectorIiEEZZNS1_9scan_implILNS1_25lookback_scan_determinismE0ELb1ELb1ES3_N6thrust23THRUST_200600_302600_NS10device_ptrIiEESB_iNS9_4plusIvEEiEEDaPvRmT3_T4_T5_mT6_P12ihipStream_tbENKUlT_T0_E_clISt17integral_constantIbLb0EESQ_IbLb1EEEEDaSM_SN_EUlSM_E0_NS1_11comp_targetILNS1_3genE3ELNS1_11target_archE908ELNS1_3gpuE7ELNS1_3repE0EEENS1_30default_config_static_selectorELNS0_4arch9wavefront6targetE1EEEvT1_
	.globl	_ZN7rocprim17ROCPRIM_400000_NS6detail17trampoline_kernelINS0_14default_configENS1_20scan_config_selectorIiEEZZNS1_9scan_implILNS1_25lookback_scan_determinismE0ELb1ELb1ES3_N6thrust23THRUST_200600_302600_NS10device_ptrIiEESB_iNS9_4plusIvEEiEEDaPvRmT3_T4_T5_mT6_P12ihipStream_tbENKUlT_T0_E_clISt17integral_constantIbLb0EESQ_IbLb1EEEEDaSM_SN_EUlSM_E0_NS1_11comp_targetILNS1_3genE3ELNS1_11target_archE908ELNS1_3gpuE7ELNS1_3repE0EEENS1_30default_config_static_selectorELNS0_4arch9wavefront6targetE1EEEvT1_
	.p2align	8
	.type	_ZN7rocprim17ROCPRIM_400000_NS6detail17trampoline_kernelINS0_14default_configENS1_20scan_config_selectorIiEEZZNS1_9scan_implILNS1_25lookback_scan_determinismE0ELb1ELb1ES3_N6thrust23THRUST_200600_302600_NS10device_ptrIiEESB_iNS9_4plusIvEEiEEDaPvRmT3_T4_T5_mT6_P12ihipStream_tbENKUlT_T0_E_clISt17integral_constantIbLb0EESQ_IbLb1EEEEDaSM_SN_EUlSM_E0_NS1_11comp_targetILNS1_3genE3ELNS1_11target_archE908ELNS1_3gpuE7ELNS1_3repE0EEENS1_30default_config_static_selectorELNS0_4arch9wavefront6targetE1EEEvT1_,@function
_ZN7rocprim17ROCPRIM_400000_NS6detail17trampoline_kernelINS0_14default_configENS1_20scan_config_selectorIiEEZZNS1_9scan_implILNS1_25lookback_scan_determinismE0ELb1ELb1ES3_N6thrust23THRUST_200600_302600_NS10device_ptrIiEESB_iNS9_4plusIvEEiEEDaPvRmT3_T4_T5_mT6_P12ihipStream_tbENKUlT_T0_E_clISt17integral_constantIbLb0EESQ_IbLb1EEEEDaSM_SN_EUlSM_E0_NS1_11comp_targetILNS1_3genE3ELNS1_11target_archE908ELNS1_3gpuE7ELNS1_3repE0EEENS1_30default_config_static_selectorELNS0_4arch9wavefront6targetE1EEEvT1_: ; @_ZN7rocprim17ROCPRIM_400000_NS6detail17trampoline_kernelINS0_14default_configENS1_20scan_config_selectorIiEEZZNS1_9scan_implILNS1_25lookback_scan_determinismE0ELb1ELb1ES3_N6thrust23THRUST_200600_302600_NS10device_ptrIiEESB_iNS9_4plusIvEEiEEDaPvRmT3_T4_T5_mT6_P12ihipStream_tbENKUlT_T0_E_clISt17integral_constantIbLb0EESQ_IbLb1EEEEDaSM_SN_EUlSM_E0_NS1_11comp_targetILNS1_3genE3ELNS1_11target_archE908ELNS1_3gpuE7ELNS1_3repE0EEENS1_30default_config_static_selectorELNS0_4arch9wavefront6targetE1EEEvT1_
; %bb.0:
	.section	.rodata,"a",@progbits
	.p2align	6, 0x0
	.amdhsa_kernel _ZN7rocprim17ROCPRIM_400000_NS6detail17trampoline_kernelINS0_14default_configENS1_20scan_config_selectorIiEEZZNS1_9scan_implILNS1_25lookback_scan_determinismE0ELb1ELb1ES3_N6thrust23THRUST_200600_302600_NS10device_ptrIiEESB_iNS9_4plusIvEEiEEDaPvRmT3_T4_T5_mT6_P12ihipStream_tbENKUlT_T0_E_clISt17integral_constantIbLb0EESQ_IbLb1EEEEDaSM_SN_EUlSM_E0_NS1_11comp_targetILNS1_3genE3ELNS1_11target_archE908ELNS1_3gpuE7ELNS1_3repE0EEENS1_30default_config_static_selectorELNS0_4arch9wavefront6targetE1EEEvT1_
		.amdhsa_group_segment_fixed_size 0
		.amdhsa_private_segment_fixed_size 0
		.amdhsa_kernarg_size 32
		.amdhsa_user_sgpr_count 6
		.amdhsa_user_sgpr_private_segment_buffer 1
		.amdhsa_user_sgpr_dispatch_ptr 0
		.amdhsa_user_sgpr_queue_ptr 0
		.amdhsa_user_sgpr_kernarg_segment_ptr 1
		.amdhsa_user_sgpr_dispatch_id 0
		.amdhsa_user_sgpr_flat_scratch_init 0
		.amdhsa_user_sgpr_kernarg_preload_length 0
		.amdhsa_user_sgpr_kernarg_preload_offset 0
		.amdhsa_user_sgpr_private_segment_size 0
		.amdhsa_uses_dynamic_stack 0
		.amdhsa_system_sgpr_private_segment_wavefront_offset 0
		.amdhsa_system_sgpr_workgroup_id_x 1
		.amdhsa_system_sgpr_workgroup_id_y 0
		.amdhsa_system_sgpr_workgroup_id_z 0
		.amdhsa_system_sgpr_workgroup_info 0
		.amdhsa_system_vgpr_workitem_id 0
		.amdhsa_next_free_vgpr 1
		.amdhsa_next_free_sgpr 0
		.amdhsa_accum_offset 4
		.amdhsa_reserve_vcc 0
		.amdhsa_reserve_flat_scratch 0
		.amdhsa_float_round_mode_32 0
		.amdhsa_float_round_mode_16_64 0
		.amdhsa_float_denorm_mode_32 3
		.amdhsa_float_denorm_mode_16_64 3
		.amdhsa_dx10_clamp 1
		.amdhsa_ieee_mode 1
		.amdhsa_fp16_overflow 0
		.amdhsa_tg_split 0
		.amdhsa_exception_fp_ieee_invalid_op 0
		.amdhsa_exception_fp_denorm_src 0
		.amdhsa_exception_fp_ieee_div_zero 0
		.amdhsa_exception_fp_ieee_overflow 0
		.amdhsa_exception_fp_ieee_underflow 0
		.amdhsa_exception_fp_ieee_inexact 0
		.amdhsa_exception_int_div_zero 0
	.end_amdhsa_kernel
	.section	.text._ZN7rocprim17ROCPRIM_400000_NS6detail17trampoline_kernelINS0_14default_configENS1_20scan_config_selectorIiEEZZNS1_9scan_implILNS1_25lookback_scan_determinismE0ELb1ELb1ES3_N6thrust23THRUST_200600_302600_NS10device_ptrIiEESB_iNS9_4plusIvEEiEEDaPvRmT3_T4_T5_mT6_P12ihipStream_tbENKUlT_T0_E_clISt17integral_constantIbLb0EESQ_IbLb1EEEEDaSM_SN_EUlSM_E0_NS1_11comp_targetILNS1_3genE3ELNS1_11target_archE908ELNS1_3gpuE7ELNS1_3repE0EEENS1_30default_config_static_selectorELNS0_4arch9wavefront6targetE1EEEvT1_,"axG",@progbits,_ZN7rocprim17ROCPRIM_400000_NS6detail17trampoline_kernelINS0_14default_configENS1_20scan_config_selectorIiEEZZNS1_9scan_implILNS1_25lookback_scan_determinismE0ELb1ELb1ES3_N6thrust23THRUST_200600_302600_NS10device_ptrIiEESB_iNS9_4plusIvEEiEEDaPvRmT3_T4_T5_mT6_P12ihipStream_tbENKUlT_T0_E_clISt17integral_constantIbLb0EESQ_IbLb1EEEEDaSM_SN_EUlSM_E0_NS1_11comp_targetILNS1_3genE3ELNS1_11target_archE908ELNS1_3gpuE7ELNS1_3repE0EEENS1_30default_config_static_selectorELNS0_4arch9wavefront6targetE1EEEvT1_,comdat
.Lfunc_end6888:
	.size	_ZN7rocprim17ROCPRIM_400000_NS6detail17trampoline_kernelINS0_14default_configENS1_20scan_config_selectorIiEEZZNS1_9scan_implILNS1_25lookback_scan_determinismE0ELb1ELb1ES3_N6thrust23THRUST_200600_302600_NS10device_ptrIiEESB_iNS9_4plusIvEEiEEDaPvRmT3_T4_T5_mT6_P12ihipStream_tbENKUlT_T0_E_clISt17integral_constantIbLb0EESQ_IbLb1EEEEDaSM_SN_EUlSM_E0_NS1_11comp_targetILNS1_3genE3ELNS1_11target_archE908ELNS1_3gpuE7ELNS1_3repE0EEENS1_30default_config_static_selectorELNS0_4arch9wavefront6targetE1EEEvT1_, .Lfunc_end6888-_ZN7rocprim17ROCPRIM_400000_NS6detail17trampoline_kernelINS0_14default_configENS1_20scan_config_selectorIiEEZZNS1_9scan_implILNS1_25lookback_scan_determinismE0ELb1ELb1ES3_N6thrust23THRUST_200600_302600_NS10device_ptrIiEESB_iNS9_4plusIvEEiEEDaPvRmT3_T4_T5_mT6_P12ihipStream_tbENKUlT_T0_E_clISt17integral_constantIbLb0EESQ_IbLb1EEEEDaSM_SN_EUlSM_E0_NS1_11comp_targetILNS1_3genE3ELNS1_11target_archE908ELNS1_3gpuE7ELNS1_3repE0EEENS1_30default_config_static_selectorELNS0_4arch9wavefront6targetE1EEEvT1_
                                        ; -- End function
	.section	.AMDGPU.csdata,"",@progbits
; Kernel info:
; codeLenInByte = 0
; NumSgprs: 4
; NumVgprs: 0
; NumAgprs: 0
; TotalNumVgprs: 0
; ScratchSize: 0
; MemoryBound: 0
; FloatMode: 240
; IeeeMode: 1
; LDSByteSize: 0 bytes/workgroup (compile time only)
; SGPRBlocks: 0
; VGPRBlocks: 0
; NumSGPRsForWavesPerEU: 4
; NumVGPRsForWavesPerEU: 1
; AccumOffset: 4
; Occupancy: 8
; WaveLimiterHint : 0
; COMPUTE_PGM_RSRC2:SCRATCH_EN: 0
; COMPUTE_PGM_RSRC2:USER_SGPR: 6
; COMPUTE_PGM_RSRC2:TRAP_HANDLER: 0
; COMPUTE_PGM_RSRC2:TGID_X_EN: 1
; COMPUTE_PGM_RSRC2:TGID_Y_EN: 0
; COMPUTE_PGM_RSRC2:TGID_Z_EN: 0
; COMPUTE_PGM_RSRC2:TIDIG_COMP_CNT: 0
; COMPUTE_PGM_RSRC3_GFX90A:ACCUM_OFFSET: 0
; COMPUTE_PGM_RSRC3_GFX90A:TG_SPLIT: 0
	.section	.text._ZN7rocprim17ROCPRIM_400000_NS6detail17trampoline_kernelINS0_14default_configENS1_20scan_config_selectorIiEEZZNS1_9scan_implILNS1_25lookback_scan_determinismE0ELb1ELb1ES3_N6thrust23THRUST_200600_302600_NS10device_ptrIiEESB_iNS9_4plusIvEEiEEDaPvRmT3_T4_T5_mT6_P12ihipStream_tbENKUlT_T0_E_clISt17integral_constantIbLb0EESQ_IbLb1EEEEDaSM_SN_EUlSM_E0_NS1_11comp_targetILNS1_3genE2ELNS1_11target_archE906ELNS1_3gpuE6ELNS1_3repE0EEENS1_30default_config_static_selectorELNS0_4arch9wavefront6targetE1EEEvT1_,"axG",@progbits,_ZN7rocprim17ROCPRIM_400000_NS6detail17trampoline_kernelINS0_14default_configENS1_20scan_config_selectorIiEEZZNS1_9scan_implILNS1_25lookback_scan_determinismE0ELb1ELb1ES3_N6thrust23THRUST_200600_302600_NS10device_ptrIiEESB_iNS9_4plusIvEEiEEDaPvRmT3_T4_T5_mT6_P12ihipStream_tbENKUlT_T0_E_clISt17integral_constantIbLb0EESQ_IbLb1EEEEDaSM_SN_EUlSM_E0_NS1_11comp_targetILNS1_3genE2ELNS1_11target_archE906ELNS1_3gpuE6ELNS1_3repE0EEENS1_30default_config_static_selectorELNS0_4arch9wavefront6targetE1EEEvT1_,comdat
	.protected	_ZN7rocprim17ROCPRIM_400000_NS6detail17trampoline_kernelINS0_14default_configENS1_20scan_config_selectorIiEEZZNS1_9scan_implILNS1_25lookback_scan_determinismE0ELb1ELb1ES3_N6thrust23THRUST_200600_302600_NS10device_ptrIiEESB_iNS9_4plusIvEEiEEDaPvRmT3_T4_T5_mT6_P12ihipStream_tbENKUlT_T0_E_clISt17integral_constantIbLb0EESQ_IbLb1EEEEDaSM_SN_EUlSM_E0_NS1_11comp_targetILNS1_3genE2ELNS1_11target_archE906ELNS1_3gpuE6ELNS1_3repE0EEENS1_30default_config_static_selectorELNS0_4arch9wavefront6targetE1EEEvT1_ ; -- Begin function _ZN7rocprim17ROCPRIM_400000_NS6detail17trampoline_kernelINS0_14default_configENS1_20scan_config_selectorIiEEZZNS1_9scan_implILNS1_25lookback_scan_determinismE0ELb1ELb1ES3_N6thrust23THRUST_200600_302600_NS10device_ptrIiEESB_iNS9_4plusIvEEiEEDaPvRmT3_T4_T5_mT6_P12ihipStream_tbENKUlT_T0_E_clISt17integral_constantIbLb0EESQ_IbLb1EEEEDaSM_SN_EUlSM_E0_NS1_11comp_targetILNS1_3genE2ELNS1_11target_archE906ELNS1_3gpuE6ELNS1_3repE0EEENS1_30default_config_static_selectorELNS0_4arch9wavefront6targetE1EEEvT1_
	.globl	_ZN7rocprim17ROCPRIM_400000_NS6detail17trampoline_kernelINS0_14default_configENS1_20scan_config_selectorIiEEZZNS1_9scan_implILNS1_25lookback_scan_determinismE0ELb1ELb1ES3_N6thrust23THRUST_200600_302600_NS10device_ptrIiEESB_iNS9_4plusIvEEiEEDaPvRmT3_T4_T5_mT6_P12ihipStream_tbENKUlT_T0_E_clISt17integral_constantIbLb0EESQ_IbLb1EEEEDaSM_SN_EUlSM_E0_NS1_11comp_targetILNS1_3genE2ELNS1_11target_archE906ELNS1_3gpuE6ELNS1_3repE0EEENS1_30default_config_static_selectorELNS0_4arch9wavefront6targetE1EEEvT1_
	.p2align	8
	.type	_ZN7rocprim17ROCPRIM_400000_NS6detail17trampoline_kernelINS0_14default_configENS1_20scan_config_selectorIiEEZZNS1_9scan_implILNS1_25lookback_scan_determinismE0ELb1ELb1ES3_N6thrust23THRUST_200600_302600_NS10device_ptrIiEESB_iNS9_4plusIvEEiEEDaPvRmT3_T4_T5_mT6_P12ihipStream_tbENKUlT_T0_E_clISt17integral_constantIbLb0EESQ_IbLb1EEEEDaSM_SN_EUlSM_E0_NS1_11comp_targetILNS1_3genE2ELNS1_11target_archE906ELNS1_3gpuE6ELNS1_3repE0EEENS1_30default_config_static_selectorELNS0_4arch9wavefront6targetE1EEEvT1_,@function
_ZN7rocprim17ROCPRIM_400000_NS6detail17trampoline_kernelINS0_14default_configENS1_20scan_config_selectorIiEEZZNS1_9scan_implILNS1_25lookback_scan_determinismE0ELb1ELb1ES3_N6thrust23THRUST_200600_302600_NS10device_ptrIiEESB_iNS9_4plusIvEEiEEDaPvRmT3_T4_T5_mT6_P12ihipStream_tbENKUlT_T0_E_clISt17integral_constantIbLb0EESQ_IbLb1EEEEDaSM_SN_EUlSM_E0_NS1_11comp_targetILNS1_3genE2ELNS1_11target_archE906ELNS1_3gpuE6ELNS1_3repE0EEENS1_30default_config_static_selectorELNS0_4arch9wavefront6targetE1EEEvT1_: ; @_ZN7rocprim17ROCPRIM_400000_NS6detail17trampoline_kernelINS0_14default_configENS1_20scan_config_selectorIiEEZZNS1_9scan_implILNS1_25lookback_scan_determinismE0ELb1ELb1ES3_N6thrust23THRUST_200600_302600_NS10device_ptrIiEESB_iNS9_4plusIvEEiEEDaPvRmT3_T4_T5_mT6_P12ihipStream_tbENKUlT_T0_E_clISt17integral_constantIbLb0EESQ_IbLb1EEEEDaSM_SN_EUlSM_E0_NS1_11comp_targetILNS1_3genE2ELNS1_11target_archE906ELNS1_3gpuE6ELNS1_3repE0EEENS1_30default_config_static_selectorELNS0_4arch9wavefront6targetE1EEEvT1_
; %bb.0:
	.section	.rodata,"a",@progbits
	.p2align	6, 0x0
	.amdhsa_kernel _ZN7rocprim17ROCPRIM_400000_NS6detail17trampoline_kernelINS0_14default_configENS1_20scan_config_selectorIiEEZZNS1_9scan_implILNS1_25lookback_scan_determinismE0ELb1ELb1ES3_N6thrust23THRUST_200600_302600_NS10device_ptrIiEESB_iNS9_4plusIvEEiEEDaPvRmT3_T4_T5_mT6_P12ihipStream_tbENKUlT_T0_E_clISt17integral_constantIbLb0EESQ_IbLb1EEEEDaSM_SN_EUlSM_E0_NS1_11comp_targetILNS1_3genE2ELNS1_11target_archE906ELNS1_3gpuE6ELNS1_3repE0EEENS1_30default_config_static_selectorELNS0_4arch9wavefront6targetE1EEEvT1_
		.amdhsa_group_segment_fixed_size 0
		.amdhsa_private_segment_fixed_size 0
		.amdhsa_kernarg_size 32
		.amdhsa_user_sgpr_count 6
		.amdhsa_user_sgpr_private_segment_buffer 1
		.amdhsa_user_sgpr_dispatch_ptr 0
		.amdhsa_user_sgpr_queue_ptr 0
		.amdhsa_user_sgpr_kernarg_segment_ptr 1
		.amdhsa_user_sgpr_dispatch_id 0
		.amdhsa_user_sgpr_flat_scratch_init 0
		.amdhsa_user_sgpr_kernarg_preload_length 0
		.amdhsa_user_sgpr_kernarg_preload_offset 0
		.amdhsa_user_sgpr_private_segment_size 0
		.amdhsa_uses_dynamic_stack 0
		.amdhsa_system_sgpr_private_segment_wavefront_offset 0
		.amdhsa_system_sgpr_workgroup_id_x 1
		.amdhsa_system_sgpr_workgroup_id_y 0
		.amdhsa_system_sgpr_workgroup_id_z 0
		.amdhsa_system_sgpr_workgroup_info 0
		.amdhsa_system_vgpr_workitem_id 0
		.amdhsa_next_free_vgpr 1
		.amdhsa_next_free_sgpr 0
		.amdhsa_accum_offset 4
		.amdhsa_reserve_vcc 0
		.amdhsa_reserve_flat_scratch 0
		.amdhsa_float_round_mode_32 0
		.amdhsa_float_round_mode_16_64 0
		.amdhsa_float_denorm_mode_32 3
		.amdhsa_float_denorm_mode_16_64 3
		.amdhsa_dx10_clamp 1
		.amdhsa_ieee_mode 1
		.amdhsa_fp16_overflow 0
		.amdhsa_tg_split 0
		.amdhsa_exception_fp_ieee_invalid_op 0
		.amdhsa_exception_fp_denorm_src 0
		.amdhsa_exception_fp_ieee_div_zero 0
		.amdhsa_exception_fp_ieee_overflow 0
		.amdhsa_exception_fp_ieee_underflow 0
		.amdhsa_exception_fp_ieee_inexact 0
		.amdhsa_exception_int_div_zero 0
	.end_amdhsa_kernel
	.section	.text._ZN7rocprim17ROCPRIM_400000_NS6detail17trampoline_kernelINS0_14default_configENS1_20scan_config_selectorIiEEZZNS1_9scan_implILNS1_25lookback_scan_determinismE0ELb1ELb1ES3_N6thrust23THRUST_200600_302600_NS10device_ptrIiEESB_iNS9_4plusIvEEiEEDaPvRmT3_T4_T5_mT6_P12ihipStream_tbENKUlT_T0_E_clISt17integral_constantIbLb0EESQ_IbLb1EEEEDaSM_SN_EUlSM_E0_NS1_11comp_targetILNS1_3genE2ELNS1_11target_archE906ELNS1_3gpuE6ELNS1_3repE0EEENS1_30default_config_static_selectorELNS0_4arch9wavefront6targetE1EEEvT1_,"axG",@progbits,_ZN7rocprim17ROCPRIM_400000_NS6detail17trampoline_kernelINS0_14default_configENS1_20scan_config_selectorIiEEZZNS1_9scan_implILNS1_25lookback_scan_determinismE0ELb1ELb1ES3_N6thrust23THRUST_200600_302600_NS10device_ptrIiEESB_iNS9_4plusIvEEiEEDaPvRmT3_T4_T5_mT6_P12ihipStream_tbENKUlT_T0_E_clISt17integral_constantIbLb0EESQ_IbLb1EEEEDaSM_SN_EUlSM_E0_NS1_11comp_targetILNS1_3genE2ELNS1_11target_archE906ELNS1_3gpuE6ELNS1_3repE0EEENS1_30default_config_static_selectorELNS0_4arch9wavefront6targetE1EEEvT1_,comdat
.Lfunc_end6889:
	.size	_ZN7rocprim17ROCPRIM_400000_NS6detail17trampoline_kernelINS0_14default_configENS1_20scan_config_selectorIiEEZZNS1_9scan_implILNS1_25lookback_scan_determinismE0ELb1ELb1ES3_N6thrust23THRUST_200600_302600_NS10device_ptrIiEESB_iNS9_4plusIvEEiEEDaPvRmT3_T4_T5_mT6_P12ihipStream_tbENKUlT_T0_E_clISt17integral_constantIbLb0EESQ_IbLb1EEEEDaSM_SN_EUlSM_E0_NS1_11comp_targetILNS1_3genE2ELNS1_11target_archE906ELNS1_3gpuE6ELNS1_3repE0EEENS1_30default_config_static_selectorELNS0_4arch9wavefront6targetE1EEEvT1_, .Lfunc_end6889-_ZN7rocprim17ROCPRIM_400000_NS6detail17trampoline_kernelINS0_14default_configENS1_20scan_config_selectorIiEEZZNS1_9scan_implILNS1_25lookback_scan_determinismE0ELb1ELb1ES3_N6thrust23THRUST_200600_302600_NS10device_ptrIiEESB_iNS9_4plusIvEEiEEDaPvRmT3_T4_T5_mT6_P12ihipStream_tbENKUlT_T0_E_clISt17integral_constantIbLb0EESQ_IbLb1EEEEDaSM_SN_EUlSM_E0_NS1_11comp_targetILNS1_3genE2ELNS1_11target_archE906ELNS1_3gpuE6ELNS1_3repE0EEENS1_30default_config_static_selectorELNS0_4arch9wavefront6targetE1EEEvT1_
                                        ; -- End function
	.section	.AMDGPU.csdata,"",@progbits
; Kernel info:
; codeLenInByte = 0
; NumSgprs: 4
; NumVgprs: 0
; NumAgprs: 0
; TotalNumVgprs: 0
; ScratchSize: 0
; MemoryBound: 0
; FloatMode: 240
; IeeeMode: 1
; LDSByteSize: 0 bytes/workgroup (compile time only)
; SGPRBlocks: 0
; VGPRBlocks: 0
; NumSGPRsForWavesPerEU: 4
; NumVGPRsForWavesPerEU: 1
; AccumOffset: 4
; Occupancy: 8
; WaveLimiterHint : 0
; COMPUTE_PGM_RSRC2:SCRATCH_EN: 0
; COMPUTE_PGM_RSRC2:USER_SGPR: 6
; COMPUTE_PGM_RSRC2:TRAP_HANDLER: 0
; COMPUTE_PGM_RSRC2:TGID_X_EN: 1
; COMPUTE_PGM_RSRC2:TGID_Y_EN: 0
; COMPUTE_PGM_RSRC2:TGID_Z_EN: 0
; COMPUTE_PGM_RSRC2:TIDIG_COMP_CNT: 0
; COMPUTE_PGM_RSRC3_GFX90A:ACCUM_OFFSET: 0
; COMPUTE_PGM_RSRC3_GFX90A:TG_SPLIT: 0
	.section	.text._ZN7rocprim17ROCPRIM_400000_NS6detail17trampoline_kernelINS0_14default_configENS1_20scan_config_selectorIiEEZZNS1_9scan_implILNS1_25lookback_scan_determinismE0ELb1ELb1ES3_N6thrust23THRUST_200600_302600_NS10device_ptrIiEESB_iNS9_4plusIvEEiEEDaPvRmT3_T4_T5_mT6_P12ihipStream_tbENKUlT_T0_E_clISt17integral_constantIbLb0EESQ_IbLb1EEEEDaSM_SN_EUlSM_E0_NS1_11comp_targetILNS1_3genE10ELNS1_11target_archE1201ELNS1_3gpuE5ELNS1_3repE0EEENS1_30default_config_static_selectorELNS0_4arch9wavefront6targetE1EEEvT1_,"axG",@progbits,_ZN7rocprim17ROCPRIM_400000_NS6detail17trampoline_kernelINS0_14default_configENS1_20scan_config_selectorIiEEZZNS1_9scan_implILNS1_25lookback_scan_determinismE0ELb1ELb1ES3_N6thrust23THRUST_200600_302600_NS10device_ptrIiEESB_iNS9_4plusIvEEiEEDaPvRmT3_T4_T5_mT6_P12ihipStream_tbENKUlT_T0_E_clISt17integral_constantIbLb0EESQ_IbLb1EEEEDaSM_SN_EUlSM_E0_NS1_11comp_targetILNS1_3genE10ELNS1_11target_archE1201ELNS1_3gpuE5ELNS1_3repE0EEENS1_30default_config_static_selectorELNS0_4arch9wavefront6targetE1EEEvT1_,comdat
	.protected	_ZN7rocprim17ROCPRIM_400000_NS6detail17trampoline_kernelINS0_14default_configENS1_20scan_config_selectorIiEEZZNS1_9scan_implILNS1_25lookback_scan_determinismE0ELb1ELb1ES3_N6thrust23THRUST_200600_302600_NS10device_ptrIiEESB_iNS9_4plusIvEEiEEDaPvRmT3_T4_T5_mT6_P12ihipStream_tbENKUlT_T0_E_clISt17integral_constantIbLb0EESQ_IbLb1EEEEDaSM_SN_EUlSM_E0_NS1_11comp_targetILNS1_3genE10ELNS1_11target_archE1201ELNS1_3gpuE5ELNS1_3repE0EEENS1_30default_config_static_selectorELNS0_4arch9wavefront6targetE1EEEvT1_ ; -- Begin function _ZN7rocprim17ROCPRIM_400000_NS6detail17trampoline_kernelINS0_14default_configENS1_20scan_config_selectorIiEEZZNS1_9scan_implILNS1_25lookback_scan_determinismE0ELb1ELb1ES3_N6thrust23THRUST_200600_302600_NS10device_ptrIiEESB_iNS9_4plusIvEEiEEDaPvRmT3_T4_T5_mT6_P12ihipStream_tbENKUlT_T0_E_clISt17integral_constantIbLb0EESQ_IbLb1EEEEDaSM_SN_EUlSM_E0_NS1_11comp_targetILNS1_3genE10ELNS1_11target_archE1201ELNS1_3gpuE5ELNS1_3repE0EEENS1_30default_config_static_selectorELNS0_4arch9wavefront6targetE1EEEvT1_
	.globl	_ZN7rocprim17ROCPRIM_400000_NS6detail17trampoline_kernelINS0_14default_configENS1_20scan_config_selectorIiEEZZNS1_9scan_implILNS1_25lookback_scan_determinismE0ELb1ELb1ES3_N6thrust23THRUST_200600_302600_NS10device_ptrIiEESB_iNS9_4plusIvEEiEEDaPvRmT3_T4_T5_mT6_P12ihipStream_tbENKUlT_T0_E_clISt17integral_constantIbLb0EESQ_IbLb1EEEEDaSM_SN_EUlSM_E0_NS1_11comp_targetILNS1_3genE10ELNS1_11target_archE1201ELNS1_3gpuE5ELNS1_3repE0EEENS1_30default_config_static_selectorELNS0_4arch9wavefront6targetE1EEEvT1_
	.p2align	8
	.type	_ZN7rocprim17ROCPRIM_400000_NS6detail17trampoline_kernelINS0_14default_configENS1_20scan_config_selectorIiEEZZNS1_9scan_implILNS1_25lookback_scan_determinismE0ELb1ELb1ES3_N6thrust23THRUST_200600_302600_NS10device_ptrIiEESB_iNS9_4plusIvEEiEEDaPvRmT3_T4_T5_mT6_P12ihipStream_tbENKUlT_T0_E_clISt17integral_constantIbLb0EESQ_IbLb1EEEEDaSM_SN_EUlSM_E0_NS1_11comp_targetILNS1_3genE10ELNS1_11target_archE1201ELNS1_3gpuE5ELNS1_3repE0EEENS1_30default_config_static_selectorELNS0_4arch9wavefront6targetE1EEEvT1_,@function
_ZN7rocprim17ROCPRIM_400000_NS6detail17trampoline_kernelINS0_14default_configENS1_20scan_config_selectorIiEEZZNS1_9scan_implILNS1_25lookback_scan_determinismE0ELb1ELb1ES3_N6thrust23THRUST_200600_302600_NS10device_ptrIiEESB_iNS9_4plusIvEEiEEDaPvRmT3_T4_T5_mT6_P12ihipStream_tbENKUlT_T0_E_clISt17integral_constantIbLb0EESQ_IbLb1EEEEDaSM_SN_EUlSM_E0_NS1_11comp_targetILNS1_3genE10ELNS1_11target_archE1201ELNS1_3gpuE5ELNS1_3repE0EEENS1_30default_config_static_selectorELNS0_4arch9wavefront6targetE1EEEvT1_: ; @_ZN7rocprim17ROCPRIM_400000_NS6detail17trampoline_kernelINS0_14default_configENS1_20scan_config_selectorIiEEZZNS1_9scan_implILNS1_25lookback_scan_determinismE0ELb1ELb1ES3_N6thrust23THRUST_200600_302600_NS10device_ptrIiEESB_iNS9_4plusIvEEiEEDaPvRmT3_T4_T5_mT6_P12ihipStream_tbENKUlT_T0_E_clISt17integral_constantIbLb0EESQ_IbLb1EEEEDaSM_SN_EUlSM_E0_NS1_11comp_targetILNS1_3genE10ELNS1_11target_archE1201ELNS1_3gpuE5ELNS1_3repE0EEENS1_30default_config_static_selectorELNS0_4arch9wavefront6targetE1EEEvT1_
; %bb.0:
	.section	.rodata,"a",@progbits
	.p2align	6, 0x0
	.amdhsa_kernel _ZN7rocprim17ROCPRIM_400000_NS6detail17trampoline_kernelINS0_14default_configENS1_20scan_config_selectorIiEEZZNS1_9scan_implILNS1_25lookback_scan_determinismE0ELb1ELb1ES3_N6thrust23THRUST_200600_302600_NS10device_ptrIiEESB_iNS9_4plusIvEEiEEDaPvRmT3_T4_T5_mT6_P12ihipStream_tbENKUlT_T0_E_clISt17integral_constantIbLb0EESQ_IbLb1EEEEDaSM_SN_EUlSM_E0_NS1_11comp_targetILNS1_3genE10ELNS1_11target_archE1201ELNS1_3gpuE5ELNS1_3repE0EEENS1_30default_config_static_selectorELNS0_4arch9wavefront6targetE1EEEvT1_
		.amdhsa_group_segment_fixed_size 0
		.amdhsa_private_segment_fixed_size 0
		.amdhsa_kernarg_size 32
		.amdhsa_user_sgpr_count 6
		.amdhsa_user_sgpr_private_segment_buffer 1
		.amdhsa_user_sgpr_dispatch_ptr 0
		.amdhsa_user_sgpr_queue_ptr 0
		.amdhsa_user_sgpr_kernarg_segment_ptr 1
		.amdhsa_user_sgpr_dispatch_id 0
		.amdhsa_user_sgpr_flat_scratch_init 0
		.amdhsa_user_sgpr_kernarg_preload_length 0
		.amdhsa_user_sgpr_kernarg_preload_offset 0
		.amdhsa_user_sgpr_private_segment_size 0
		.amdhsa_uses_dynamic_stack 0
		.amdhsa_system_sgpr_private_segment_wavefront_offset 0
		.amdhsa_system_sgpr_workgroup_id_x 1
		.amdhsa_system_sgpr_workgroup_id_y 0
		.amdhsa_system_sgpr_workgroup_id_z 0
		.amdhsa_system_sgpr_workgroup_info 0
		.amdhsa_system_vgpr_workitem_id 0
		.amdhsa_next_free_vgpr 1
		.amdhsa_next_free_sgpr 0
		.amdhsa_accum_offset 4
		.amdhsa_reserve_vcc 0
		.amdhsa_reserve_flat_scratch 0
		.amdhsa_float_round_mode_32 0
		.amdhsa_float_round_mode_16_64 0
		.amdhsa_float_denorm_mode_32 3
		.amdhsa_float_denorm_mode_16_64 3
		.amdhsa_dx10_clamp 1
		.amdhsa_ieee_mode 1
		.amdhsa_fp16_overflow 0
		.amdhsa_tg_split 0
		.amdhsa_exception_fp_ieee_invalid_op 0
		.amdhsa_exception_fp_denorm_src 0
		.amdhsa_exception_fp_ieee_div_zero 0
		.amdhsa_exception_fp_ieee_overflow 0
		.amdhsa_exception_fp_ieee_underflow 0
		.amdhsa_exception_fp_ieee_inexact 0
		.amdhsa_exception_int_div_zero 0
	.end_amdhsa_kernel
	.section	.text._ZN7rocprim17ROCPRIM_400000_NS6detail17trampoline_kernelINS0_14default_configENS1_20scan_config_selectorIiEEZZNS1_9scan_implILNS1_25lookback_scan_determinismE0ELb1ELb1ES3_N6thrust23THRUST_200600_302600_NS10device_ptrIiEESB_iNS9_4plusIvEEiEEDaPvRmT3_T4_T5_mT6_P12ihipStream_tbENKUlT_T0_E_clISt17integral_constantIbLb0EESQ_IbLb1EEEEDaSM_SN_EUlSM_E0_NS1_11comp_targetILNS1_3genE10ELNS1_11target_archE1201ELNS1_3gpuE5ELNS1_3repE0EEENS1_30default_config_static_selectorELNS0_4arch9wavefront6targetE1EEEvT1_,"axG",@progbits,_ZN7rocprim17ROCPRIM_400000_NS6detail17trampoline_kernelINS0_14default_configENS1_20scan_config_selectorIiEEZZNS1_9scan_implILNS1_25lookback_scan_determinismE0ELb1ELb1ES3_N6thrust23THRUST_200600_302600_NS10device_ptrIiEESB_iNS9_4plusIvEEiEEDaPvRmT3_T4_T5_mT6_P12ihipStream_tbENKUlT_T0_E_clISt17integral_constantIbLb0EESQ_IbLb1EEEEDaSM_SN_EUlSM_E0_NS1_11comp_targetILNS1_3genE10ELNS1_11target_archE1201ELNS1_3gpuE5ELNS1_3repE0EEENS1_30default_config_static_selectorELNS0_4arch9wavefront6targetE1EEEvT1_,comdat
.Lfunc_end6890:
	.size	_ZN7rocprim17ROCPRIM_400000_NS6detail17trampoline_kernelINS0_14default_configENS1_20scan_config_selectorIiEEZZNS1_9scan_implILNS1_25lookback_scan_determinismE0ELb1ELb1ES3_N6thrust23THRUST_200600_302600_NS10device_ptrIiEESB_iNS9_4plusIvEEiEEDaPvRmT3_T4_T5_mT6_P12ihipStream_tbENKUlT_T0_E_clISt17integral_constantIbLb0EESQ_IbLb1EEEEDaSM_SN_EUlSM_E0_NS1_11comp_targetILNS1_3genE10ELNS1_11target_archE1201ELNS1_3gpuE5ELNS1_3repE0EEENS1_30default_config_static_selectorELNS0_4arch9wavefront6targetE1EEEvT1_, .Lfunc_end6890-_ZN7rocprim17ROCPRIM_400000_NS6detail17trampoline_kernelINS0_14default_configENS1_20scan_config_selectorIiEEZZNS1_9scan_implILNS1_25lookback_scan_determinismE0ELb1ELb1ES3_N6thrust23THRUST_200600_302600_NS10device_ptrIiEESB_iNS9_4plusIvEEiEEDaPvRmT3_T4_T5_mT6_P12ihipStream_tbENKUlT_T0_E_clISt17integral_constantIbLb0EESQ_IbLb1EEEEDaSM_SN_EUlSM_E0_NS1_11comp_targetILNS1_3genE10ELNS1_11target_archE1201ELNS1_3gpuE5ELNS1_3repE0EEENS1_30default_config_static_selectorELNS0_4arch9wavefront6targetE1EEEvT1_
                                        ; -- End function
	.section	.AMDGPU.csdata,"",@progbits
; Kernel info:
; codeLenInByte = 0
; NumSgprs: 4
; NumVgprs: 0
; NumAgprs: 0
; TotalNumVgprs: 0
; ScratchSize: 0
; MemoryBound: 0
; FloatMode: 240
; IeeeMode: 1
; LDSByteSize: 0 bytes/workgroup (compile time only)
; SGPRBlocks: 0
; VGPRBlocks: 0
; NumSGPRsForWavesPerEU: 4
; NumVGPRsForWavesPerEU: 1
; AccumOffset: 4
; Occupancy: 8
; WaveLimiterHint : 0
; COMPUTE_PGM_RSRC2:SCRATCH_EN: 0
; COMPUTE_PGM_RSRC2:USER_SGPR: 6
; COMPUTE_PGM_RSRC2:TRAP_HANDLER: 0
; COMPUTE_PGM_RSRC2:TGID_X_EN: 1
; COMPUTE_PGM_RSRC2:TGID_Y_EN: 0
; COMPUTE_PGM_RSRC2:TGID_Z_EN: 0
; COMPUTE_PGM_RSRC2:TIDIG_COMP_CNT: 0
; COMPUTE_PGM_RSRC3_GFX90A:ACCUM_OFFSET: 0
; COMPUTE_PGM_RSRC3_GFX90A:TG_SPLIT: 0
	.section	.text._ZN7rocprim17ROCPRIM_400000_NS6detail17trampoline_kernelINS0_14default_configENS1_20scan_config_selectorIiEEZZNS1_9scan_implILNS1_25lookback_scan_determinismE0ELb1ELb1ES3_N6thrust23THRUST_200600_302600_NS10device_ptrIiEESB_iNS9_4plusIvEEiEEDaPvRmT3_T4_T5_mT6_P12ihipStream_tbENKUlT_T0_E_clISt17integral_constantIbLb0EESQ_IbLb1EEEEDaSM_SN_EUlSM_E0_NS1_11comp_targetILNS1_3genE10ELNS1_11target_archE1200ELNS1_3gpuE4ELNS1_3repE0EEENS1_30default_config_static_selectorELNS0_4arch9wavefront6targetE1EEEvT1_,"axG",@progbits,_ZN7rocprim17ROCPRIM_400000_NS6detail17trampoline_kernelINS0_14default_configENS1_20scan_config_selectorIiEEZZNS1_9scan_implILNS1_25lookback_scan_determinismE0ELb1ELb1ES3_N6thrust23THRUST_200600_302600_NS10device_ptrIiEESB_iNS9_4plusIvEEiEEDaPvRmT3_T4_T5_mT6_P12ihipStream_tbENKUlT_T0_E_clISt17integral_constantIbLb0EESQ_IbLb1EEEEDaSM_SN_EUlSM_E0_NS1_11comp_targetILNS1_3genE10ELNS1_11target_archE1200ELNS1_3gpuE4ELNS1_3repE0EEENS1_30default_config_static_selectorELNS0_4arch9wavefront6targetE1EEEvT1_,comdat
	.protected	_ZN7rocprim17ROCPRIM_400000_NS6detail17trampoline_kernelINS0_14default_configENS1_20scan_config_selectorIiEEZZNS1_9scan_implILNS1_25lookback_scan_determinismE0ELb1ELb1ES3_N6thrust23THRUST_200600_302600_NS10device_ptrIiEESB_iNS9_4plusIvEEiEEDaPvRmT3_T4_T5_mT6_P12ihipStream_tbENKUlT_T0_E_clISt17integral_constantIbLb0EESQ_IbLb1EEEEDaSM_SN_EUlSM_E0_NS1_11comp_targetILNS1_3genE10ELNS1_11target_archE1200ELNS1_3gpuE4ELNS1_3repE0EEENS1_30default_config_static_selectorELNS0_4arch9wavefront6targetE1EEEvT1_ ; -- Begin function _ZN7rocprim17ROCPRIM_400000_NS6detail17trampoline_kernelINS0_14default_configENS1_20scan_config_selectorIiEEZZNS1_9scan_implILNS1_25lookback_scan_determinismE0ELb1ELb1ES3_N6thrust23THRUST_200600_302600_NS10device_ptrIiEESB_iNS9_4plusIvEEiEEDaPvRmT3_T4_T5_mT6_P12ihipStream_tbENKUlT_T0_E_clISt17integral_constantIbLb0EESQ_IbLb1EEEEDaSM_SN_EUlSM_E0_NS1_11comp_targetILNS1_3genE10ELNS1_11target_archE1200ELNS1_3gpuE4ELNS1_3repE0EEENS1_30default_config_static_selectorELNS0_4arch9wavefront6targetE1EEEvT1_
	.globl	_ZN7rocprim17ROCPRIM_400000_NS6detail17trampoline_kernelINS0_14default_configENS1_20scan_config_selectorIiEEZZNS1_9scan_implILNS1_25lookback_scan_determinismE0ELb1ELb1ES3_N6thrust23THRUST_200600_302600_NS10device_ptrIiEESB_iNS9_4plusIvEEiEEDaPvRmT3_T4_T5_mT6_P12ihipStream_tbENKUlT_T0_E_clISt17integral_constantIbLb0EESQ_IbLb1EEEEDaSM_SN_EUlSM_E0_NS1_11comp_targetILNS1_3genE10ELNS1_11target_archE1200ELNS1_3gpuE4ELNS1_3repE0EEENS1_30default_config_static_selectorELNS0_4arch9wavefront6targetE1EEEvT1_
	.p2align	8
	.type	_ZN7rocprim17ROCPRIM_400000_NS6detail17trampoline_kernelINS0_14default_configENS1_20scan_config_selectorIiEEZZNS1_9scan_implILNS1_25lookback_scan_determinismE0ELb1ELb1ES3_N6thrust23THRUST_200600_302600_NS10device_ptrIiEESB_iNS9_4plusIvEEiEEDaPvRmT3_T4_T5_mT6_P12ihipStream_tbENKUlT_T0_E_clISt17integral_constantIbLb0EESQ_IbLb1EEEEDaSM_SN_EUlSM_E0_NS1_11comp_targetILNS1_3genE10ELNS1_11target_archE1200ELNS1_3gpuE4ELNS1_3repE0EEENS1_30default_config_static_selectorELNS0_4arch9wavefront6targetE1EEEvT1_,@function
_ZN7rocprim17ROCPRIM_400000_NS6detail17trampoline_kernelINS0_14default_configENS1_20scan_config_selectorIiEEZZNS1_9scan_implILNS1_25lookback_scan_determinismE0ELb1ELb1ES3_N6thrust23THRUST_200600_302600_NS10device_ptrIiEESB_iNS9_4plusIvEEiEEDaPvRmT3_T4_T5_mT6_P12ihipStream_tbENKUlT_T0_E_clISt17integral_constantIbLb0EESQ_IbLb1EEEEDaSM_SN_EUlSM_E0_NS1_11comp_targetILNS1_3genE10ELNS1_11target_archE1200ELNS1_3gpuE4ELNS1_3repE0EEENS1_30default_config_static_selectorELNS0_4arch9wavefront6targetE1EEEvT1_: ; @_ZN7rocprim17ROCPRIM_400000_NS6detail17trampoline_kernelINS0_14default_configENS1_20scan_config_selectorIiEEZZNS1_9scan_implILNS1_25lookback_scan_determinismE0ELb1ELb1ES3_N6thrust23THRUST_200600_302600_NS10device_ptrIiEESB_iNS9_4plusIvEEiEEDaPvRmT3_T4_T5_mT6_P12ihipStream_tbENKUlT_T0_E_clISt17integral_constantIbLb0EESQ_IbLb1EEEEDaSM_SN_EUlSM_E0_NS1_11comp_targetILNS1_3genE10ELNS1_11target_archE1200ELNS1_3gpuE4ELNS1_3repE0EEENS1_30default_config_static_selectorELNS0_4arch9wavefront6targetE1EEEvT1_
; %bb.0:
	.section	.rodata,"a",@progbits
	.p2align	6, 0x0
	.amdhsa_kernel _ZN7rocprim17ROCPRIM_400000_NS6detail17trampoline_kernelINS0_14default_configENS1_20scan_config_selectorIiEEZZNS1_9scan_implILNS1_25lookback_scan_determinismE0ELb1ELb1ES3_N6thrust23THRUST_200600_302600_NS10device_ptrIiEESB_iNS9_4plusIvEEiEEDaPvRmT3_T4_T5_mT6_P12ihipStream_tbENKUlT_T0_E_clISt17integral_constantIbLb0EESQ_IbLb1EEEEDaSM_SN_EUlSM_E0_NS1_11comp_targetILNS1_3genE10ELNS1_11target_archE1200ELNS1_3gpuE4ELNS1_3repE0EEENS1_30default_config_static_selectorELNS0_4arch9wavefront6targetE1EEEvT1_
		.amdhsa_group_segment_fixed_size 0
		.amdhsa_private_segment_fixed_size 0
		.amdhsa_kernarg_size 32
		.amdhsa_user_sgpr_count 6
		.amdhsa_user_sgpr_private_segment_buffer 1
		.amdhsa_user_sgpr_dispatch_ptr 0
		.amdhsa_user_sgpr_queue_ptr 0
		.amdhsa_user_sgpr_kernarg_segment_ptr 1
		.amdhsa_user_sgpr_dispatch_id 0
		.amdhsa_user_sgpr_flat_scratch_init 0
		.amdhsa_user_sgpr_kernarg_preload_length 0
		.amdhsa_user_sgpr_kernarg_preload_offset 0
		.amdhsa_user_sgpr_private_segment_size 0
		.amdhsa_uses_dynamic_stack 0
		.amdhsa_system_sgpr_private_segment_wavefront_offset 0
		.amdhsa_system_sgpr_workgroup_id_x 1
		.amdhsa_system_sgpr_workgroup_id_y 0
		.amdhsa_system_sgpr_workgroup_id_z 0
		.amdhsa_system_sgpr_workgroup_info 0
		.amdhsa_system_vgpr_workitem_id 0
		.amdhsa_next_free_vgpr 1
		.amdhsa_next_free_sgpr 0
		.amdhsa_accum_offset 4
		.amdhsa_reserve_vcc 0
		.amdhsa_reserve_flat_scratch 0
		.amdhsa_float_round_mode_32 0
		.amdhsa_float_round_mode_16_64 0
		.amdhsa_float_denorm_mode_32 3
		.amdhsa_float_denorm_mode_16_64 3
		.amdhsa_dx10_clamp 1
		.amdhsa_ieee_mode 1
		.amdhsa_fp16_overflow 0
		.amdhsa_tg_split 0
		.amdhsa_exception_fp_ieee_invalid_op 0
		.amdhsa_exception_fp_denorm_src 0
		.amdhsa_exception_fp_ieee_div_zero 0
		.amdhsa_exception_fp_ieee_overflow 0
		.amdhsa_exception_fp_ieee_underflow 0
		.amdhsa_exception_fp_ieee_inexact 0
		.amdhsa_exception_int_div_zero 0
	.end_amdhsa_kernel
	.section	.text._ZN7rocprim17ROCPRIM_400000_NS6detail17trampoline_kernelINS0_14default_configENS1_20scan_config_selectorIiEEZZNS1_9scan_implILNS1_25lookback_scan_determinismE0ELb1ELb1ES3_N6thrust23THRUST_200600_302600_NS10device_ptrIiEESB_iNS9_4plusIvEEiEEDaPvRmT3_T4_T5_mT6_P12ihipStream_tbENKUlT_T0_E_clISt17integral_constantIbLb0EESQ_IbLb1EEEEDaSM_SN_EUlSM_E0_NS1_11comp_targetILNS1_3genE10ELNS1_11target_archE1200ELNS1_3gpuE4ELNS1_3repE0EEENS1_30default_config_static_selectorELNS0_4arch9wavefront6targetE1EEEvT1_,"axG",@progbits,_ZN7rocprim17ROCPRIM_400000_NS6detail17trampoline_kernelINS0_14default_configENS1_20scan_config_selectorIiEEZZNS1_9scan_implILNS1_25lookback_scan_determinismE0ELb1ELb1ES3_N6thrust23THRUST_200600_302600_NS10device_ptrIiEESB_iNS9_4plusIvEEiEEDaPvRmT3_T4_T5_mT6_P12ihipStream_tbENKUlT_T0_E_clISt17integral_constantIbLb0EESQ_IbLb1EEEEDaSM_SN_EUlSM_E0_NS1_11comp_targetILNS1_3genE10ELNS1_11target_archE1200ELNS1_3gpuE4ELNS1_3repE0EEENS1_30default_config_static_selectorELNS0_4arch9wavefront6targetE1EEEvT1_,comdat
.Lfunc_end6891:
	.size	_ZN7rocprim17ROCPRIM_400000_NS6detail17trampoline_kernelINS0_14default_configENS1_20scan_config_selectorIiEEZZNS1_9scan_implILNS1_25lookback_scan_determinismE0ELb1ELb1ES3_N6thrust23THRUST_200600_302600_NS10device_ptrIiEESB_iNS9_4plusIvEEiEEDaPvRmT3_T4_T5_mT6_P12ihipStream_tbENKUlT_T0_E_clISt17integral_constantIbLb0EESQ_IbLb1EEEEDaSM_SN_EUlSM_E0_NS1_11comp_targetILNS1_3genE10ELNS1_11target_archE1200ELNS1_3gpuE4ELNS1_3repE0EEENS1_30default_config_static_selectorELNS0_4arch9wavefront6targetE1EEEvT1_, .Lfunc_end6891-_ZN7rocprim17ROCPRIM_400000_NS6detail17trampoline_kernelINS0_14default_configENS1_20scan_config_selectorIiEEZZNS1_9scan_implILNS1_25lookback_scan_determinismE0ELb1ELb1ES3_N6thrust23THRUST_200600_302600_NS10device_ptrIiEESB_iNS9_4plusIvEEiEEDaPvRmT3_T4_T5_mT6_P12ihipStream_tbENKUlT_T0_E_clISt17integral_constantIbLb0EESQ_IbLb1EEEEDaSM_SN_EUlSM_E0_NS1_11comp_targetILNS1_3genE10ELNS1_11target_archE1200ELNS1_3gpuE4ELNS1_3repE0EEENS1_30default_config_static_selectorELNS0_4arch9wavefront6targetE1EEEvT1_
                                        ; -- End function
	.section	.AMDGPU.csdata,"",@progbits
; Kernel info:
; codeLenInByte = 0
; NumSgprs: 4
; NumVgprs: 0
; NumAgprs: 0
; TotalNumVgprs: 0
; ScratchSize: 0
; MemoryBound: 0
; FloatMode: 240
; IeeeMode: 1
; LDSByteSize: 0 bytes/workgroup (compile time only)
; SGPRBlocks: 0
; VGPRBlocks: 0
; NumSGPRsForWavesPerEU: 4
; NumVGPRsForWavesPerEU: 1
; AccumOffset: 4
; Occupancy: 8
; WaveLimiterHint : 0
; COMPUTE_PGM_RSRC2:SCRATCH_EN: 0
; COMPUTE_PGM_RSRC2:USER_SGPR: 6
; COMPUTE_PGM_RSRC2:TRAP_HANDLER: 0
; COMPUTE_PGM_RSRC2:TGID_X_EN: 1
; COMPUTE_PGM_RSRC2:TGID_Y_EN: 0
; COMPUTE_PGM_RSRC2:TGID_Z_EN: 0
; COMPUTE_PGM_RSRC2:TIDIG_COMP_CNT: 0
; COMPUTE_PGM_RSRC3_GFX90A:ACCUM_OFFSET: 0
; COMPUTE_PGM_RSRC3_GFX90A:TG_SPLIT: 0
	.section	.text._ZN7rocprim17ROCPRIM_400000_NS6detail17trampoline_kernelINS0_14default_configENS1_20scan_config_selectorIiEEZZNS1_9scan_implILNS1_25lookback_scan_determinismE0ELb1ELb1ES3_N6thrust23THRUST_200600_302600_NS10device_ptrIiEESB_iNS9_4plusIvEEiEEDaPvRmT3_T4_T5_mT6_P12ihipStream_tbENKUlT_T0_E_clISt17integral_constantIbLb0EESQ_IbLb1EEEEDaSM_SN_EUlSM_E0_NS1_11comp_targetILNS1_3genE9ELNS1_11target_archE1100ELNS1_3gpuE3ELNS1_3repE0EEENS1_30default_config_static_selectorELNS0_4arch9wavefront6targetE1EEEvT1_,"axG",@progbits,_ZN7rocprim17ROCPRIM_400000_NS6detail17trampoline_kernelINS0_14default_configENS1_20scan_config_selectorIiEEZZNS1_9scan_implILNS1_25lookback_scan_determinismE0ELb1ELb1ES3_N6thrust23THRUST_200600_302600_NS10device_ptrIiEESB_iNS9_4plusIvEEiEEDaPvRmT3_T4_T5_mT6_P12ihipStream_tbENKUlT_T0_E_clISt17integral_constantIbLb0EESQ_IbLb1EEEEDaSM_SN_EUlSM_E0_NS1_11comp_targetILNS1_3genE9ELNS1_11target_archE1100ELNS1_3gpuE3ELNS1_3repE0EEENS1_30default_config_static_selectorELNS0_4arch9wavefront6targetE1EEEvT1_,comdat
	.protected	_ZN7rocprim17ROCPRIM_400000_NS6detail17trampoline_kernelINS0_14default_configENS1_20scan_config_selectorIiEEZZNS1_9scan_implILNS1_25lookback_scan_determinismE0ELb1ELb1ES3_N6thrust23THRUST_200600_302600_NS10device_ptrIiEESB_iNS9_4plusIvEEiEEDaPvRmT3_T4_T5_mT6_P12ihipStream_tbENKUlT_T0_E_clISt17integral_constantIbLb0EESQ_IbLb1EEEEDaSM_SN_EUlSM_E0_NS1_11comp_targetILNS1_3genE9ELNS1_11target_archE1100ELNS1_3gpuE3ELNS1_3repE0EEENS1_30default_config_static_selectorELNS0_4arch9wavefront6targetE1EEEvT1_ ; -- Begin function _ZN7rocprim17ROCPRIM_400000_NS6detail17trampoline_kernelINS0_14default_configENS1_20scan_config_selectorIiEEZZNS1_9scan_implILNS1_25lookback_scan_determinismE0ELb1ELb1ES3_N6thrust23THRUST_200600_302600_NS10device_ptrIiEESB_iNS9_4plusIvEEiEEDaPvRmT3_T4_T5_mT6_P12ihipStream_tbENKUlT_T0_E_clISt17integral_constantIbLb0EESQ_IbLb1EEEEDaSM_SN_EUlSM_E0_NS1_11comp_targetILNS1_3genE9ELNS1_11target_archE1100ELNS1_3gpuE3ELNS1_3repE0EEENS1_30default_config_static_selectorELNS0_4arch9wavefront6targetE1EEEvT1_
	.globl	_ZN7rocprim17ROCPRIM_400000_NS6detail17trampoline_kernelINS0_14default_configENS1_20scan_config_selectorIiEEZZNS1_9scan_implILNS1_25lookback_scan_determinismE0ELb1ELb1ES3_N6thrust23THRUST_200600_302600_NS10device_ptrIiEESB_iNS9_4plusIvEEiEEDaPvRmT3_T4_T5_mT6_P12ihipStream_tbENKUlT_T0_E_clISt17integral_constantIbLb0EESQ_IbLb1EEEEDaSM_SN_EUlSM_E0_NS1_11comp_targetILNS1_3genE9ELNS1_11target_archE1100ELNS1_3gpuE3ELNS1_3repE0EEENS1_30default_config_static_selectorELNS0_4arch9wavefront6targetE1EEEvT1_
	.p2align	8
	.type	_ZN7rocprim17ROCPRIM_400000_NS6detail17trampoline_kernelINS0_14default_configENS1_20scan_config_selectorIiEEZZNS1_9scan_implILNS1_25lookback_scan_determinismE0ELb1ELb1ES3_N6thrust23THRUST_200600_302600_NS10device_ptrIiEESB_iNS9_4plusIvEEiEEDaPvRmT3_T4_T5_mT6_P12ihipStream_tbENKUlT_T0_E_clISt17integral_constantIbLb0EESQ_IbLb1EEEEDaSM_SN_EUlSM_E0_NS1_11comp_targetILNS1_3genE9ELNS1_11target_archE1100ELNS1_3gpuE3ELNS1_3repE0EEENS1_30default_config_static_selectorELNS0_4arch9wavefront6targetE1EEEvT1_,@function
_ZN7rocprim17ROCPRIM_400000_NS6detail17trampoline_kernelINS0_14default_configENS1_20scan_config_selectorIiEEZZNS1_9scan_implILNS1_25lookback_scan_determinismE0ELb1ELb1ES3_N6thrust23THRUST_200600_302600_NS10device_ptrIiEESB_iNS9_4plusIvEEiEEDaPvRmT3_T4_T5_mT6_P12ihipStream_tbENKUlT_T0_E_clISt17integral_constantIbLb0EESQ_IbLb1EEEEDaSM_SN_EUlSM_E0_NS1_11comp_targetILNS1_3genE9ELNS1_11target_archE1100ELNS1_3gpuE3ELNS1_3repE0EEENS1_30default_config_static_selectorELNS0_4arch9wavefront6targetE1EEEvT1_: ; @_ZN7rocprim17ROCPRIM_400000_NS6detail17trampoline_kernelINS0_14default_configENS1_20scan_config_selectorIiEEZZNS1_9scan_implILNS1_25lookback_scan_determinismE0ELb1ELb1ES3_N6thrust23THRUST_200600_302600_NS10device_ptrIiEESB_iNS9_4plusIvEEiEEDaPvRmT3_T4_T5_mT6_P12ihipStream_tbENKUlT_T0_E_clISt17integral_constantIbLb0EESQ_IbLb1EEEEDaSM_SN_EUlSM_E0_NS1_11comp_targetILNS1_3genE9ELNS1_11target_archE1100ELNS1_3gpuE3ELNS1_3repE0EEENS1_30default_config_static_selectorELNS0_4arch9wavefront6targetE1EEEvT1_
; %bb.0:
	.section	.rodata,"a",@progbits
	.p2align	6, 0x0
	.amdhsa_kernel _ZN7rocprim17ROCPRIM_400000_NS6detail17trampoline_kernelINS0_14default_configENS1_20scan_config_selectorIiEEZZNS1_9scan_implILNS1_25lookback_scan_determinismE0ELb1ELb1ES3_N6thrust23THRUST_200600_302600_NS10device_ptrIiEESB_iNS9_4plusIvEEiEEDaPvRmT3_T4_T5_mT6_P12ihipStream_tbENKUlT_T0_E_clISt17integral_constantIbLb0EESQ_IbLb1EEEEDaSM_SN_EUlSM_E0_NS1_11comp_targetILNS1_3genE9ELNS1_11target_archE1100ELNS1_3gpuE3ELNS1_3repE0EEENS1_30default_config_static_selectorELNS0_4arch9wavefront6targetE1EEEvT1_
		.amdhsa_group_segment_fixed_size 0
		.amdhsa_private_segment_fixed_size 0
		.amdhsa_kernarg_size 32
		.amdhsa_user_sgpr_count 6
		.amdhsa_user_sgpr_private_segment_buffer 1
		.amdhsa_user_sgpr_dispatch_ptr 0
		.amdhsa_user_sgpr_queue_ptr 0
		.amdhsa_user_sgpr_kernarg_segment_ptr 1
		.amdhsa_user_sgpr_dispatch_id 0
		.amdhsa_user_sgpr_flat_scratch_init 0
		.amdhsa_user_sgpr_kernarg_preload_length 0
		.amdhsa_user_sgpr_kernarg_preload_offset 0
		.amdhsa_user_sgpr_private_segment_size 0
		.amdhsa_uses_dynamic_stack 0
		.amdhsa_system_sgpr_private_segment_wavefront_offset 0
		.amdhsa_system_sgpr_workgroup_id_x 1
		.amdhsa_system_sgpr_workgroup_id_y 0
		.amdhsa_system_sgpr_workgroup_id_z 0
		.amdhsa_system_sgpr_workgroup_info 0
		.amdhsa_system_vgpr_workitem_id 0
		.amdhsa_next_free_vgpr 1
		.amdhsa_next_free_sgpr 0
		.amdhsa_accum_offset 4
		.amdhsa_reserve_vcc 0
		.amdhsa_reserve_flat_scratch 0
		.amdhsa_float_round_mode_32 0
		.amdhsa_float_round_mode_16_64 0
		.amdhsa_float_denorm_mode_32 3
		.amdhsa_float_denorm_mode_16_64 3
		.amdhsa_dx10_clamp 1
		.amdhsa_ieee_mode 1
		.amdhsa_fp16_overflow 0
		.amdhsa_tg_split 0
		.amdhsa_exception_fp_ieee_invalid_op 0
		.amdhsa_exception_fp_denorm_src 0
		.amdhsa_exception_fp_ieee_div_zero 0
		.amdhsa_exception_fp_ieee_overflow 0
		.amdhsa_exception_fp_ieee_underflow 0
		.amdhsa_exception_fp_ieee_inexact 0
		.amdhsa_exception_int_div_zero 0
	.end_amdhsa_kernel
	.section	.text._ZN7rocprim17ROCPRIM_400000_NS6detail17trampoline_kernelINS0_14default_configENS1_20scan_config_selectorIiEEZZNS1_9scan_implILNS1_25lookback_scan_determinismE0ELb1ELb1ES3_N6thrust23THRUST_200600_302600_NS10device_ptrIiEESB_iNS9_4plusIvEEiEEDaPvRmT3_T4_T5_mT6_P12ihipStream_tbENKUlT_T0_E_clISt17integral_constantIbLb0EESQ_IbLb1EEEEDaSM_SN_EUlSM_E0_NS1_11comp_targetILNS1_3genE9ELNS1_11target_archE1100ELNS1_3gpuE3ELNS1_3repE0EEENS1_30default_config_static_selectorELNS0_4arch9wavefront6targetE1EEEvT1_,"axG",@progbits,_ZN7rocprim17ROCPRIM_400000_NS6detail17trampoline_kernelINS0_14default_configENS1_20scan_config_selectorIiEEZZNS1_9scan_implILNS1_25lookback_scan_determinismE0ELb1ELb1ES3_N6thrust23THRUST_200600_302600_NS10device_ptrIiEESB_iNS9_4plusIvEEiEEDaPvRmT3_T4_T5_mT6_P12ihipStream_tbENKUlT_T0_E_clISt17integral_constantIbLb0EESQ_IbLb1EEEEDaSM_SN_EUlSM_E0_NS1_11comp_targetILNS1_3genE9ELNS1_11target_archE1100ELNS1_3gpuE3ELNS1_3repE0EEENS1_30default_config_static_selectorELNS0_4arch9wavefront6targetE1EEEvT1_,comdat
.Lfunc_end6892:
	.size	_ZN7rocprim17ROCPRIM_400000_NS6detail17trampoline_kernelINS0_14default_configENS1_20scan_config_selectorIiEEZZNS1_9scan_implILNS1_25lookback_scan_determinismE0ELb1ELb1ES3_N6thrust23THRUST_200600_302600_NS10device_ptrIiEESB_iNS9_4plusIvEEiEEDaPvRmT3_T4_T5_mT6_P12ihipStream_tbENKUlT_T0_E_clISt17integral_constantIbLb0EESQ_IbLb1EEEEDaSM_SN_EUlSM_E0_NS1_11comp_targetILNS1_3genE9ELNS1_11target_archE1100ELNS1_3gpuE3ELNS1_3repE0EEENS1_30default_config_static_selectorELNS0_4arch9wavefront6targetE1EEEvT1_, .Lfunc_end6892-_ZN7rocprim17ROCPRIM_400000_NS6detail17trampoline_kernelINS0_14default_configENS1_20scan_config_selectorIiEEZZNS1_9scan_implILNS1_25lookback_scan_determinismE0ELb1ELb1ES3_N6thrust23THRUST_200600_302600_NS10device_ptrIiEESB_iNS9_4plusIvEEiEEDaPvRmT3_T4_T5_mT6_P12ihipStream_tbENKUlT_T0_E_clISt17integral_constantIbLb0EESQ_IbLb1EEEEDaSM_SN_EUlSM_E0_NS1_11comp_targetILNS1_3genE9ELNS1_11target_archE1100ELNS1_3gpuE3ELNS1_3repE0EEENS1_30default_config_static_selectorELNS0_4arch9wavefront6targetE1EEEvT1_
                                        ; -- End function
	.section	.AMDGPU.csdata,"",@progbits
; Kernel info:
; codeLenInByte = 0
; NumSgprs: 4
; NumVgprs: 0
; NumAgprs: 0
; TotalNumVgprs: 0
; ScratchSize: 0
; MemoryBound: 0
; FloatMode: 240
; IeeeMode: 1
; LDSByteSize: 0 bytes/workgroup (compile time only)
; SGPRBlocks: 0
; VGPRBlocks: 0
; NumSGPRsForWavesPerEU: 4
; NumVGPRsForWavesPerEU: 1
; AccumOffset: 4
; Occupancy: 8
; WaveLimiterHint : 0
; COMPUTE_PGM_RSRC2:SCRATCH_EN: 0
; COMPUTE_PGM_RSRC2:USER_SGPR: 6
; COMPUTE_PGM_RSRC2:TRAP_HANDLER: 0
; COMPUTE_PGM_RSRC2:TGID_X_EN: 1
; COMPUTE_PGM_RSRC2:TGID_Y_EN: 0
; COMPUTE_PGM_RSRC2:TGID_Z_EN: 0
; COMPUTE_PGM_RSRC2:TIDIG_COMP_CNT: 0
; COMPUTE_PGM_RSRC3_GFX90A:ACCUM_OFFSET: 0
; COMPUTE_PGM_RSRC3_GFX90A:TG_SPLIT: 0
	.section	.text._ZN7rocprim17ROCPRIM_400000_NS6detail17trampoline_kernelINS0_14default_configENS1_20scan_config_selectorIiEEZZNS1_9scan_implILNS1_25lookback_scan_determinismE0ELb1ELb1ES3_N6thrust23THRUST_200600_302600_NS10device_ptrIiEESB_iNS9_4plusIvEEiEEDaPvRmT3_T4_T5_mT6_P12ihipStream_tbENKUlT_T0_E_clISt17integral_constantIbLb0EESQ_IbLb1EEEEDaSM_SN_EUlSM_E0_NS1_11comp_targetILNS1_3genE8ELNS1_11target_archE1030ELNS1_3gpuE2ELNS1_3repE0EEENS1_30default_config_static_selectorELNS0_4arch9wavefront6targetE1EEEvT1_,"axG",@progbits,_ZN7rocprim17ROCPRIM_400000_NS6detail17trampoline_kernelINS0_14default_configENS1_20scan_config_selectorIiEEZZNS1_9scan_implILNS1_25lookback_scan_determinismE0ELb1ELb1ES3_N6thrust23THRUST_200600_302600_NS10device_ptrIiEESB_iNS9_4plusIvEEiEEDaPvRmT3_T4_T5_mT6_P12ihipStream_tbENKUlT_T0_E_clISt17integral_constantIbLb0EESQ_IbLb1EEEEDaSM_SN_EUlSM_E0_NS1_11comp_targetILNS1_3genE8ELNS1_11target_archE1030ELNS1_3gpuE2ELNS1_3repE0EEENS1_30default_config_static_selectorELNS0_4arch9wavefront6targetE1EEEvT1_,comdat
	.protected	_ZN7rocprim17ROCPRIM_400000_NS6detail17trampoline_kernelINS0_14default_configENS1_20scan_config_selectorIiEEZZNS1_9scan_implILNS1_25lookback_scan_determinismE0ELb1ELb1ES3_N6thrust23THRUST_200600_302600_NS10device_ptrIiEESB_iNS9_4plusIvEEiEEDaPvRmT3_T4_T5_mT6_P12ihipStream_tbENKUlT_T0_E_clISt17integral_constantIbLb0EESQ_IbLb1EEEEDaSM_SN_EUlSM_E0_NS1_11comp_targetILNS1_3genE8ELNS1_11target_archE1030ELNS1_3gpuE2ELNS1_3repE0EEENS1_30default_config_static_selectorELNS0_4arch9wavefront6targetE1EEEvT1_ ; -- Begin function _ZN7rocprim17ROCPRIM_400000_NS6detail17trampoline_kernelINS0_14default_configENS1_20scan_config_selectorIiEEZZNS1_9scan_implILNS1_25lookback_scan_determinismE0ELb1ELb1ES3_N6thrust23THRUST_200600_302600_NS10device_ptrIiEESB_iNS9_4plusIvEEiEEDaPvRmT3_T4_T5_mT6_P12ihipStream_tbENKUlT_T0_E_clISt17integral_constantIbLb0EESQ_IbLb1EEEEDaSM_SN_EUlSM_E0_NS1_11comp_targetILNS1_3genE8ELNS1_11target_archE1030ELNS1_3gpuE2ELNS1_3repE0EEENS1_30default_config_static_selectorELNS0_4arch9wavefront6targetE1EEEvT1_
	.globl	_ZN7rocprim17ROCPRIM_400000_NS6detail17trampoline_kernelINS0_14default_configENS1_20scan_config_selectorIiEEZZNS1_9scan_implILNS1_25lookback_scan_determinismE0ELb1ELb1ES3_N6thrust23THRUST_200600_302600_NS10device_ptrIiEESB_iNS9_4plusIvEEiEEDaPvRmT3_T4_T5_mT6_P12ihipStream_tbENKUlT_T0_E_clISt17integral_constantIbLb0EESQ_IbLb1EEEEDaSM_SN_EUlSM_E0_NS1_11comp_targetILNS1_3genE8ELNS1_11target_archE1030ELNS1_3gpuE2ELNS1_3repE0EEENS1_30default_config_static_selectorELNS0_4arch9wavefront6targetE1EEEvT1_
	.p2align	8
	.type	_ZN7rocprim17ROCPRIM_400000_NS6detail17trampoline_kernelINS0_14default_configENS1_20scan_config_selectorIiEEZZNS1_9scan_implILNS1_25lookback_scan_determinismE0ELb1ELb1ES3_N6thrust23THRUST_200600_302600_NS10device_ptrIiEESB_iNS9_4plusIvEEiEEDaPvRmT3_T4_T5_mT6_P12ihipStream_tbENKUlT_T0_E_clISt17integral_constantIbLb0EESQ_IbLb1EEEEDaSM_SN_EUlSM_E0_NS1_11comp_targetILNS1_3genE8ELNS1_11target_archE1030ELNS1_3gpuE2ELNS1_3repE0EEENS1_30default_config_static_selectorELNS0_4arch9wavefront6targetE1EEEvT1_,@function
_ZN7rocprim17ROCPRIM_400000_NS6detail17trampoline_kernelINS0_14default_configENS1_20scan_config_selectorIiEEZZNS1_9scan_implILNS1_25lookback_scan_determinismE0ELb1ELb1ES3_N6thrust23THRUST_200600_302600_NS10device_ptrIiEESB_iNS9_4plusIvEEiEEDaPvRmT3_T4_T5_mT6_P12ihipStream_tbENKUlT_T0_E_clISt17integral_constantIbLb0EESQ_IbLb1EEEEDaSM_SN_EUlSM_E0_NS1_11comp_targetILNS1_3genE8ELNS1_11target_archE1030ELNS1_3gpuE2ELNS1_3repE0EEENS1_30default_config_static_selectorELNS0_4arch9wavefront6targetE1EEEvT1_: ; @_ZN7rocprim17ROCPRIM_400000_NS6detail17trampoline_kernelINS0_14default_configENS1_20scan_config_selectorIiEEZZNS1_9scan_implILNS1_25lookback_scan_determinismE0ELb1ELb1ES3_N6thrust23THRUST_200600_302600_NS10device_ptrIiEESB_iNS9_4plusIvEEiEEDaPvRmT3_T4_T5_mT6_P12ihipStream_tbENKUlT_T0_E_clISt17integral_constantIbLb0EESQ_IbLb1EEEEDaSM_SN_EUlSM_E0_NS1_11comp_targetILNS1_3genE8ELNS1_11target_archE1030ELNS1_3gpuE2ELNS1_3repE0EEENS1_30default_config_static_selectorELNS0_4arch9wavefront6targetE1EEEvT1_
; %bb.0:
	.section	.rodata,"a",@progbits
	.p2align	6, 0x0
	.amdhsa_kernel _ZN7rocprim17ROCPRIM_400000_NS6detail17trampoline_kernelINS0_14default_configENS1_20scan_config_selectorIiEEZZNS1_9scan_implILNS1_25lookback_scan_determinismE0ELb1ELb1ES3_N6thrust23THRUST_200600_302600_NS10device_ptrIiEESB_iNS9_4plusIvEEiEEDaPvRmT3_T4_T5_mT6_P12ihipStream_tbENKUlT_T0_E_clISt17integral_constantIbLb0EESQ_IbLb1EEEEDaSM_SN_EUlSM_E0_NS1_11comp_targetILNS1_3genE8ELNS1_11target_archE1030ELNS1_3gpuE2ELNS1_3repE0EEENS1_30default_config_static_selectorELNS0_4arch9wavefront6targetE1EEEvT1_
		.amdhsa_group_segment_fixed_size 0
		.amdhsa_private_segment_fixed_size 0
		.amdhsa_kernarg_size 32
		.amdhsa_user_sgpr_count 6
		.amdhsa_user_sgpr_private_segment_buffer 1
		.amdhsa_user_sgpr_dispatch_ptr 0
		.amdhsa_user_sgpr_queue_ptr 0
		.amdhsa_user_sgpr_kernarg_segment_ptr 1
		.amdhsa_user_sgpr_dispatch_id 0
		.amdhsa_user_sgpr_flat_scratch_init 0
		.amdhsa_user_sgpr_kernarg_preload_length 0
		.amdhsa_user_sgpr_kernarg_preload_offset 0
		.amdhsa_user_sgpr_private_segment_size 0
		.amdhsa_uses_dynamic_stack 0
		.amdhsa_system_sgpr_private_segment_wavefront_offset 0
		.amdhsa_system_sgpr_workgroup_id_x 1
		.amdhsa_system_sgpr_workgroup_id_y 0
		.amdhsa_system_sgpr_workgroup_id_z 0
		.amdhsa_system_sgpr_workgroup_info 0
		.amdhsa_system_vgpr_workitem_id 0
		.amdhsa_next_free_vgpr 1
		.amdhsa_next_free_sgpr 0
		.amdhsa_accum_offset 4
		.amdhsa_reserve_vcc 0
		.amdhsa_reserve_flat_scratch 0
		.amdhsa_float_round_mode_32 0
		.amdhsa_float_round_mode_16_64 0
		.amdhsa_float_denorm_mode_32 3
		.amdhsa_float_denorm_mode_16_64 3
		.amdhsa_dx10_clamp 1
		.amdhsa_ieee_mode 1
		.amdhsa_fp16_overflow 0
		.amdhsa_tg_split 0
		.amdhsa_exception_fp_ieee_invalid_op 0
		.amdhsa_exception_fp_denorm_src 0
		.amdhsa_exception_fp_ieee_div_zero 0
		.amdhsa_exception_fp_ieee_overflow 0
		.amdhsa_exception_fp_ieee_underflow 0
		.amdhsa_exception_fp_ieee_inexact 0
		.amdhsa_exception_int_div_zero 0
	.end_amdhsa_kernel
	.section	.text._ZN7rocprim17ROCPRIM_400000_NS6detail17trampoline_kernelINS0_14default_configENS1_20scan_config_selectorIiEEZZNS1_9scan_implILNS1_25lookback_scan_determinismE0ELb1ELb1ES3_N6thrust23THRUST_200600_302600_NS10device_ptrIiEESB_iNS9_4plusIvEEiEEDaPvRmT3_T4_T5_mT6_P12ihipStream_tbENKUlT_T0_E_clISt17integral_constantIbLb0EESQ_IbLb1EEEEDaSM_SN_EUlSM_E0_NS1_11comp_targetILNS1_3genE8ELNS1_11target_archE1030ELNS1_3gpuE2ELNS1_3repE0EEENS1_30default_config_static_selectorELNS0_4arch9wavefront6targetE1EEEvT1_,"axG",@progbits,_ZN7rocprim17ROCPRIM_400000_NS6detail17trampoline_kernelINS0_14default_configENS1_20scan_config_selectorIiEEZZNS1_9scan_implILNS1_25lookback_scan_determinismE0ELb1ELb1ES3_N6thrust23THRUST_200600_302600_NS10device_ptrIiEESB_iNS9_4plusIvEEiEEDaPvRmT3_T4_T5_mT6_P12ihipStream_tbENKUlT_T0_E_clISt17integral_constantIbLb0EESQ_IbLb1EEEEDaSM_SN_EUlSM_E0_NS1_11comp_targetILNS1_3genE8ELNS1_11target_archE1030ELNS1_3gpuE2ELNS1_3repE0EEENS1_30default_config_static_selectorELNS0_4arch9wavefront6targetE1EEEvT1_,comdat
.Lfunc_end6893:
	.size	_ZN7rocprim17ROCPRIM_400000_NS6detail17trampoline_kernelINS0_14default_configENS1_20scan_config_selectorIiEEZZNS1_9scan_implILNS1_25lookback_scan_determinismE0ELb1ELb1ES3_N6thrust23THRUST_200600_302600_NS10device_ptrIiEESB_iNS9_4plusIvEEiEEDaPvRmT3_T4_T5_mT6_P12ihipStream_tbENKUlT_T0_E_clISt17integral_constantIbLb0EESQ_IbLb1EEEEDaSM_SN_EUlSM_E0_NS1_11comp_targetILNS1_3genE8ELNS1_11target_archE1030ELNS1_3gpuE2ELNS1_3repE0EEENS1_30default_config_static_selectorELNS0_4arch9wavefront6targetE1EEEvT1_, .Lfunc_end6893-_ZN7rocprim17ROCPRIM_400000_NS6detail17trampoline_kernelINS0_14default_configENS1_20scan_config_selectorIiEEZZNS1_9scan_implILNS1_25lookback_scan_determinismE0ELb1ELb1ES3_N6thrust23THRUST_200600_302600_NS10device_ptrIiEESB_iNS9_4plusIvEEiEEDaPvRmT3_T4_T5_mT6_P12ihipStream_tbENKUlT_T0_E_clISt17integral_constantIbLb0EESQ_IbLb1EEEEDaSM_SN_EUlSM_E0_NS1_11comp_targetILNS1_3genE8ELNS1_11target_archE1030ELNS1_3gpuE2ELNS1_3repE0EEENS1_30default_config_static_selectorELNS0_4arch9wavefront6targetE1EEEvT1_
                                        ; -- End function
	.section	.AMDGPU.csdata,"",@progbits
; Kernel info:
; codeLenInByte = 0
; NumSgprs: 4
; NumVgprs: 0
; NumAgprs: 0
; TotalNumVgprs: 0
; ScratchSize: 0
; MemoryBound: 0
; FloatMode: 240
; IeeeMode: 1
; LDSByteSize: 0 bytes/workgroup (compile time only)
; SGPRBlocks: 0
; VGPRBlocks: 0
; NumSGPRsForWavesPerEU: 4
; NumVGPRsForWavesPerEU: 1
; AccumOffset: 4
; Occupancy: 8
; WaveLimiterHint : 0
; COMPUTE_PGM_RSRC2:SCRATCH_EN: 0
; COMPUTE_PGM_RSRC2:USER_SGPR: 6
; COMPUTE_PGM_RSRC2:TRAP_HANDLER: 0
; COMPUTE_PGM_RSRC2:TGID_X_EN: 1
; COMPUTE_PGM_RSRC2:TGID_Y_EN: 0
; COMPUTE_PGM_RSRC2:TGID_Z_EN: 0
; COMPUTE_PGM_RSRC2:TIDIG_COMP_CNT: 0
; COMPUTE_PGM_RSRC3_GFX90A:ACCUM_OFFSET: 0
; COMPUTE_PGM_RSRC3_GFX90A:TG_SPLIT: 0
	.section	.text._ZN6thrust23THRUST_200600_302600_NS11hip_rocprim14__parallel_for6kernelILj256ENS1_20__uninitialized_fill7functorINS0_10device_ptrI3IntEES7_EEmLj1EEEvT0_T1_SB_,"axG",@progbits,_ZN6thrust23THRUST_200600_302600_NS11hip_rocprim14__parallel_for6kernelILj256ENS1_20__uninitialized_fill7functorINS0_10device_ptrI3IntEES7_EEmLj1EEEvT0_T1_SB_,comdat
	.protected	_ZN6thrust23THRUST_200600_302600_NS11hip_rocprim14__parallel_for6kernelILj256ENS1_20__uninitialized_fill7functorINS0_10device_ptrI3IntEES7_EEmLj1EEEvT0_T1_SB_ ; -- Begin function _ZN6thrust23THRUST_200600_302600_NS11hip_rocprim14__parallel_for6kernelILj256ENS1_20__uninitialized_fill7functorINS0_10device_ptrI3IntEES7_EEmLj1EEEvT0_T1_SB_
	.globl	_ZN6thrust23THRUST_200600_302600_NS11hip_rocprim14__parallel_for6kernelILj256ENS1_20__uninitialized_fill7functorINS0_10device_ptrI3IntEES7_EEmLj1EEEvT0_T1_SB_
	.p2align	8
	.type	_ZN6thrust23THRUST_200600_302600_NS11hip_rocprim14__parallel_for6kernelILj256ENS1_20__uninitialized_fill7functorINS0_10device_ptrI3IntEES7_EEmLj1EEEvT0_T1_SB_,@function
_ZN6thrust23THRUST_200600_302600_NS11hip_rocprim14__parallel_for6kernelILj256ENS1_20__uninitialized_fill7functorINS0_10device_ptrI3IntEES7_EEmLj1EEEvT0_T1_SB_: ; @_ZN6thrust23THRUST_200600_302600_NS11hip_rocprim14__parallel_for6kernelILj256ENS1_20__uninitialized_fill7functorINS0_10device_ptrI3IntEES7_EEmLj1EEEvT0_T1_SB_
; %bb.0:
	s_load_dwordx4 s[8:11], s[4:5], 0x10
	s_lshl_b32 s0, s6, 8
	v_mov_b32_e32 v2, 0x100
	v_mov_b32_e32 v3, 0
	s_waitcnt lgkmcnt(0)
	s_add_u32 s0, s0, s10
	s_addc_u32 s1, 0, s11
	s_sub_u32 s2, s8, s0
	s_subb_u32 s3, s9, s1
	v_cmp_lt_u64_e32 vcc, s[2:3], v[2:3]
	s_cbranch_vccz .LBB6894_2
; %bb.1:
	v_cmp_gt_u32_e32 vcc, s2, v0
	s_and_b64 s[2:3], vcc, exec
	s_cbranch_execz .LBB6894_3
	s_branch .LBB6894_4
.LBB6894_2:
	s_mov_b64 s[2:3], 0
.LBB6894_3:
	s_or_b64 s[2:3], s[2:3], exec
.LBB6894_4:
	s_and_saveexec_b64 s[6:7], s[2:3]
	s_cbranch_execnz .LBB6894_6
; %bb.5:
	s_endpgm
.LBB6894_6:
	s_load_dwordx2 s[2:3], s[4:5], 0x0
	s_load_dword s6, s[4:5], 0x8
	s_lshl_b64 s[0:1], s[0:1], 2
	v_mov_b32_e32 v1, 0
	v_lshlrev_b64 v[0:1], 2, v[0:1]
	s_waitcnt lgkmcnt(0)
	s_add_u32 s0, s2, s0
	s_addc_u32 s1, s3, s1
	v_mov_b32_e32 v2, s1
	v_add_co_u32_e32 v0, vcc, s0, v0
	v_addc_co_u32_e32 v1, vcc, v2, v1, vcc
	v_mov_b32_e32 v2, s6
	flat_store_dword v[0:1], v2
	s_endpgm
	.section	.rodata,"a",@progbits
	.p2align	6, 0x0
	.amdhsa_kernel _ZN6thrust23THRUST_200600_302600_NS11hip_rocprim14__parallel_for6kernelILj256ENS1_20__uninitialized_fill7functorINS0_10device_ptrI3IntEES7_EEmLj1EEEvT0_T1_SB_
		.amdhsa_group_segment_fixed_size 0
		.amdhsa_private_segment_fixed_size 0
		.amdhsa_kernarg_size 32
		.amdhsa_user_sgpr_count 6
		.amdhsa_user_sgpr_private_segment_buffer 1
		.amdhsa_user_sgpr_dispatch_ptr 0
		.amdhsa_user_sgpr_queue_ptr 0
		.amdhsa_user_sgpr_kernarg_segment_ptr 1
		.amdhsa_user_sgpr_dispatch_id 0
		.amdhsa_user_sgpr_flat_scratch_init 0
		.amdhsa_user_sgpr_kernarg_preload_length 0
		.amdhsa_user_sgpr_kernarg_preload_offset 0
		.amdhsa_user_sgpr_private_segment_size 0
		.amdhsa_uses_dynamic_stack 0
		.amdhsa_system_sgpr_private_segment_wavefront_offset 0
		.amdhsa_system_sgpr_workgroup_id_x 1
		.amdhsa_system_sgpr_workgroup_id_y 0
		.amdhsa_system_sgpr_workgroup_id_z 0
		.amdhsa_system_sgpr_workgroup_info 0
		.amdhsa_system_vgpr_workitem_id 0
		.amdhsa_next_free_vgpr 4
		.amdhsa_next_free_sgpr 12
		.amdhsa_accum_offset 4
		.amdhsa_reserve_vcc 1
		.amdhsa_reserve_flat_scratch 0
		.amdhsa_float_round_mode_32 0
		.amdhsa_float_round_mode_16_64 0
		.amdhsa_float_denorm_mode_32 3
		.amdhsa_float_denorm_mode_16_64 3
		.amdhsa_dx10_clamp 1
		.amdhsa_ieee_mode 1
		.amdhsa_fp16_overflow 0
		.amdhsa_tg_split 0
		.amdhsa_exception_fp_ieee_invalid_op 0
		.amdhsa_exception_fp_denorm_src 0
		.amdhsa_exception_fp_ieee_div_zero 0
		.amdhsa_exception_fp_ieee_overflow 0
		.amdhsa_exception_fp_ieee_underflow 0
		.amdhsa_exception_fp_ieee_inexact 0
		.amdhsa_exception_int_div_zero 0
	.end_amdhsa_kernel
	.section	.text._ZN6thrust23THRUST_200600_302600_NS11hip_rocprim14__parallel_for6kernelILj256ENS1_20__uninitialized_fill7functorINS0_10device_ptrI3IntEES7_EEmLj1EEEvT0_T1_SB_,"axG",@progbits,_ZN6thrust23THRUST_200600_302600_NS11hip_rocprim14__parallel_for6kernelILj256ENS1_20__uninitialized_fill7functorINS0_10device_ptrI3IntEES7_EEmLj1EEEvT0_T1_SB_,comdat
.Lfunc_end6894:
	.size	_ZN6thrust23THRUST_200600_302600_NS11hip_rocprim14__parallel_for6kernelILj256ENS1_20__uninitialized_fill7functorINS0_10device_ptrI3IntEES7_EEmLj1EEEvT0_T1_SB_, .Lfunc_end6894-_ZN6thrust23THRUST_200600_302600_NS11hip_rocprim14__parallel_for6kernelILj256ENS1_20__uninitialized_fill7functorINS0_10device_ptrI3IntEES7_EEmLj1EEEvT0_T1_SB_
                                        ; -- End function
	.section	.AMDGPU.csdata,"",@progbits
; Kernel info:
; codeLenInByte = 160
; NumSgprs: 16
; NumVgprs: 4
; NumAgprs: 0
; TotalNumVgprs: 4
; ScratchSize: 0
; MemoryBound: 0
; FloatMode: 240
; IeeeMode: 1
; LDSByteSize: 0 bytes/workgroup (compile time only)
; SGPRBlocks: 1
; VGPRBlocks: 0
; NumSGPRsForWavesPerEU: 16
; NumVGPRsForWavesPerEU: 4
; AccumOffset: 4
; Occupancy: 8
; WaveLimiterHint : 0
; COMPUTE_PGM_RSRC2:SCRATCH_EN: 0
; COMPUTE_PGM_RSRC2:USER_SGPR: 6
; COMPUTE_PGM_RSRC2:TRAP_HANDLER: 0
; COMPUTE_PGM_RSRC2:TGID_X_EN: 1
; COMPUTE_PGM_RSRC2:TGID_Y_EN: 0
; COMPUTE_PGM_RSRC2:TGID_Z_EN: 0
; COMPUTE_PGM_RSRC2:TIDIG_COMP_CNT: 0
; COMPUTE_PGM_RSRC3_GFX90A:ACCUM_OFFSET: 0
; COMPUTE_PGM_RSRC3_GFX90A:TG_SPLIT: 0
	.section	.text._ZN6thrust23THRUST_200600_302600_NS11hip_rocprim14__parallel_for6kernelILj256ENS1_10for_each_fINS0_10device_ptrI3IntEENS0_6detail16wrapped_functionINS8_23allocator_traits_detail5gozerEvEEEElLj1EEEvT0_T1_SF_,"axG",@progbits,_ZN6thrust23THRUST_200600_302600_NS11hip_rocprim14__parallel_for6kernelILj256ENS1_10for_each_fINS0_10device_ptrI3IntEENS0_6detail16wrapped_functionINS8_23allocator_traits_detail5gozerEvEEEElLj1EEEvT0_T1_SF_,comdat
	.protected	_ZN6thrust23THRUST_200600_302600_NS11hip_rocprim14__parallel_for6kernelILj256ENS1_10for_each_fINS0_10device_ptrI3IntEENS0_6detail16wrapped_functionINS8_23allocator_traits_detail5gozerEvEEEElLj1EEEvT0_T1_SF_ ; -- Begin function _ZN6thrust23THRUST_200600_302600_NS11hip_rocprim14__parallel_for6kernelILj256ENS1_10for_each_fINS0_10device_ptrI3IntEENS0_6detail16wrapped_functionINS8_23allocator_traits_detail5gozerEvEEEElLj1EEEvT0_T1_SF_
	.globl	_ZN6thrust23THRUST_200600_302600_NS11hip_rocprim14__parallel_for6kernelILj256ENS1_10for_each_fINS0_10device_ptrI3IntEENS0_6detail16wrapped_functionINS8_23allocator_traits_detail5gozerEvEEEElLj1EEEvT0_T1_SF_
	.p2align	8
	.type	_ZN6thrust23THRUST_200600_302600_NS11hip_rocprim14__parallel_for6kernelILj256ENS1_10for_each_fINS0_10device_ptrI3IntEENS0_6detail16wrapped_functionINS8_23allocator_traits_detail5gozerEvEEEElLj1EEEvT0_T1_SF_,@function
_ZN6thrust23THRUST_200600_302600_NS11hip_rocprim14__parallel_for6kernelILj256ENS1_10for_each_fINS0_10device_ptrI3IntEENS0_6detail16wrapped_functionINS8_23allocator_traits_detail5gozerEvEEEElLj1EEEvT0_T1_SF_: ; @_ZN6thrust23THRUST_200600_302600_NS11hip_rocprim14__parallel_for6kernelILj256ENS1_10for_each_fINS0_10device_ptrI3IntEENS0_6detail16wrapped_functionINS8_23allocator_traits_detail5gozerEvEEEElLj1EEEvT0_T1_SF_
; %bb.0:
	s_endpgm
	.section	.rodata,"a",@progbits
	.p2align	6, 0x0
	.amdhsa_kernel _ZN6thrust23THRUST_200600_302600_NS11hip_rocprim14__parallel_for6kernelILj256ENS1_10for_each_fINS0_10device_ptrI3IntEENS0_6detail16wrapped_functionINS8_23allocator_traits_detail5gozerEvEEEElLj1EEEvT0_T1_SF_
		.amdhsa_group_segment_fixed_size 0
		.amdhsa_private_segment_fixed_size 0
		.amdhsa_kernarg_size 32
		.amdhsa_user_sgpr_count 6
		.amdhsa_user_sgpr_private_segment_buffer 1
		.amdhsa_user_sgpr_dispatch_ptr 0
		.amdhsa_user_sgpr_queue_ptr 0
		.amdhsa_user_sgpr_kernarg_segment_ptr 1
		.amdhsa_user_sgpr_dispatch_id 0
		.amdhsa_user_sgpr_flat_scratch_init 0
		.amdhsa_user_sgpr_kernarg_preload_length 0
		.amdhsa_user_sgpr_kernarg_preload_offset 0
		.amdhsa_user_sgpr_private_segment_size 0
		.amdhsa_uses_dynamic_stack 0
		.amdhsa_system_sgpr_private_segment_wavefront_offset 0
		.amdhsa_system_sgpr_workgroup_id_x 1
		.amdhsa_system_sgpr_workgroup_id_y 0
		.amdhsa_system_sgpr_workgroup_id_z 0
		.amdhsa_system_sgpr_workgroup_info 0
		.amdhsa_system_vgpr_workitem_id 0
		.amdhsa_next_free_vgpr 1
		.amdhsa_next_free_sgpr 0
		.amdhsa_accum_offset 4
		.amdhsa_reserve_vcc 0
		.amdhsa_reserve_flat_scratch 0
		.amdhsa_float_round_mode_32 0
		.amdhsa_float_round_mode_16_64 0
		.amdhsa_float_denorm_mode_32 3
		.amdhsa_float_denorm_mode_16_64 3
		.amdhsa_dx10_clamp 1
		.amdhsa_ieee_mode 1
		.amdhsa_fp16_overflow 0
		.amdhsa_tg_split 0
		.amdhsa_exception_fp_ieee_invalid_op 0
		.amdhsa_exception_fp_denorm_src 0
		.amdhsa_exception_fp_ieee_div_zero 0
		.amdhsa_exception_fp_ieee_overflow 0
		.amdhsa_exception_fp_ieee_underflow 0
		.amdhsa_exception_fp_ieee_inexact 0
		.amdhsa_exception_int_div_zero 0
	.end_amdhsa_kernel
	.section	.text._ZN6thrust23THRUST_200600_302600_NS11hip_rocprim14__parallel_for6kernelILj256ENS1_10for_each_fINS0_10device_ptrI3IntEENS0_6detail16wrapped_functionINS8_23allocator_traits_detail5gozerEvEEEElLj1EEEvT0_T1_SF_,"axG",@progbits,_ZN6thrust23THRUST_200600_302600_NS11hip_rocprim14__parallel_for6kernelILj256ENS1_10for_each_fINS0_10device_ptrI3IntEENS0_6detail16wrapped_functionINS8_23allocator_traits_detail5gozerEvEEEElLj1EEEvT0_T1_SF_,comdat
.Lfunc_end6895:
	.size	_ZN6thrust23THRUST_200600_302600_NS11hip_rocprim14__parallel_for6kernelILj256ENS1_10for_each_fINS0_10device_ptrI3IntEENS0_6detail16wrapped_functionINS8_23allocator_traits_detail5gozerEvEEEElLj1EEEvT0_T1_SF_, .Lfunc_end6895-_ZN6thrust23THRUST_200600_302600_NS11hip_rocprim14__parallel_for6kernelILj256ENS1_10for_each_fINS0_10device_ptrI3IntEENS0_6detail16wrapped_functionINS8_23allocator_traits_detail5gozerEvEEEElLj1EEEvT0_T1_SF_
                                        ; -- End function
	.section	.AMDGPU.csdata,"",@progbits
; Kernel info:
; codeLenInByte = 4
; NumSgprs: 4
; NumVgprs: 0
; NumAgprs: 0
; TotalNumVgprs: 0
; ScratchSize: 0
; MemoryBound: 0
; FloatMode: 240
; IeeeMode: 1
; LDSByteSize: 0 bytes/workgroup (compile time only)
; SGPRBlocks: 0
; VGPRBlocks: 0
; NumSGPRsForWavesPerEU: 4
; NumVGPRsForWavesPerEU: 1
; AccumOffset: 4
; Occupancy: 8
; WaveLimiterHint : 0
; COMPUTE_PGM_RSRC2:SCRATCH_EN: 0
; COMPUTE_PGM_RSRC2:USER_SGPR: 6
; COMPUTE_PGM_RSRC2:TRAP_HANDLER: 0
; COMPUTE_PGM_RSRC2:TGID_X_EN: 1
; COMPUTE_PGM_RSRC2:TGID_Y_EN: 0
; COMPUTE_PGM_RSRC2:TGID_Z_EN: 0
; COMPUTE_PGM_RSRC2:TIDIG_COMP_CNT: 0
; COMPUTE_PGM_RSRC3_GFX90A:ACCUM_OFFSET: 0
; COMPUTE_PGM_RSRC3_GFX90A:TG_SPLIT: 0
	.section	.text._ZN7rocprim17ROCPRIM_400000_NS6detail31init_lookback_scan_state_kernelINS1_19lookback_scan_stateI3IntLb0ELb1EEENS1_16block_id_wrapperIjLb0EEEEEvT_jT0_jPNS8_10value_typeE,"axG",@progbits,_ZN7rocprim17ROCPRIM_400000_NS6detail31init_lookback_scan_state_kernelINS1_19lookback_scan_stateI3IntLb0ELb1EEENS1_16block_id_wrapperIjLb0EEEEEvT_jT0_jPNS8_10value_typeE,comdat
	.protected	_ZN7rocprim17ROCPRIM_400000_NS6detail31init_lookback_scan_state_kernelINS1_19lookback_scan_stateI3IntLb0ELb1EEENS1_16block_id_wrapperIjLb0EEEEEvT_jT0_jPNS8_10value_typeE ; -- Begin function _ZN7rocprim17ROCPRIM_400000_NS6detail31init_lookback_scan_state_kernelINS1_19lookback_scan_stateI3IntLb0ELb1EEENS1_16block_id_wrapperIjLb0EEEEEvT_jT0_jPNS8_10value_typeE
	.globl	_ZN7rocprim17ROCPRIM_400000_NS6detail31init_lookback_scan_state_kernelINS1_19lookback_scan_stateI3IntLb0ELb1EEENS1_16block_id_wrapperIjLb0EEEEEvT_jT0_jPNS8_10value_typeE
	.p2align	8
	.type	_ZN7rocprim17ROCPRIM_400000_NS6detail31init_lookback_scan_state_kernelINS1_19lookback_scan_stateI3IntLb0ELb1EEENS1_16block_id_wrapperIjLb0EEEEEvT_jT0_jPNS8_10value_typeE,@function
_ZN7rocprim17ROCPRIM_400000_NS6detail31init_lookback_scan_state_kernelINS1_19lookback_scan_stateI3IntLb0ELb1EEENS1_16block_id_wrapperIjLb0EEEEEvT_jT0_jPNS8_10value_typeE: ; @_ZN7rocprim17ROCPRIM_400000_NS6detail31init_lookback_scan_state_kernelINS1_19lookback_scan_stateI3IntLb0ELb1EEENS1_16block_id_wrapperIjLb0EEEEEvT_jT0_jPNS8_10value_typeE
; %bb.0:
	s_load_dword s7, s[4:5], 0x2c
	s_load_dwordx2 s[2:3], s[4:5], 0x18
	s_load_dwordx2 s[0:1], s[4:5], 0x0
	s_load_dword s8, s[4:5], 0x8
	s_waitcnt lgkmcnt(0)
	s_and_b32 s7, s7, 0xffff
	s_mul_i32 s6, s6, s7
	s_cmp_eq_u64 s[2:3], 0
	v_add_u32_e32 v0, s6, v0
	s_cbranch_scc1 .LBB6896_6
; %bb.1:
	s_load_dword s6, s[4:5], 0x10
	s_mov_b32 s7, 0
	s_waitcnt lgkmcnt(0)
	s_cmp_lt_u32 s6, s8
	s_cselect_b32 s4, s6, 0
	v_cmp_eq_u32_e32 vcc, s4, v0
	s_and_saveexec_b64 s[4:5], vcc
	s_cbranch_execz .LBB6896_5
; %bb.2:
	s_add_i32 s6, s6, 64
	s_lshl_b64 s[6:7], s[6:7], 3
	s_add_u32 s6, s0, s6
	s_addc_u32 s7, s1, s7
	v_mov_b32_e32 v4, 0
	global_load_dwordx2 v[2:3], v4, s[6:7] glc
	s_waitcnt vmcnt(0)
	v_and_b32_e32 v5, 0xff, v3
	v_cmp_ne_u64_e32 vcc, 0, v[4:5]
	s_cbranch_vccnz .LBB6896_4
.LBB6896_3:                             ; =>This Inner Loop Header: Depth=1
	global_load_dwordx2 v[2:3], v4, s[6:7] glc
	s_waitcnt vmcnt(0)
	v_and_b32_e32 v5, 0xff, v3
	v_cmp_eq_u64_e32 vcc, 0, v[4:5]
	s_cbranch_vccnz .LBB6896_3
.LBB6896_4:
	v_mov_b32_e32 v1, 0
	global_store_dword v1, v2, s[2:3]
.LBB6896_5:
	s_or_b64 exec, exec, s[4:5]
.LBB6896_6:
	v_cmp_gt_u32_e32 vcc, s8, v0
	s_and_saveexec_b64 s[2:3], vcc
	s_cbranch_execnz .LBB6896_9
; %bb.7:
	s_or_b64 exec, exec, s[2:3]
	v_cmp_gt_u32_e32 vcc, 64, v0
	s_and_saveexec_b64 s[2:3], vcc
	s_cbranch_execnz .LBB6896_10
.LBB6896_8:
	s_endpgm
.LBB6896_9:
	v_add_u32_e32 v2, 64, v0
	v_mov_b32_e32 v3, 0
	v_lshlrev_b64 v[4:5], 3, v[2:3]
	v_mov_b32_e32 v1, s1
	v_add_co_u32_e32 v4, vcc, s0, v4
	v_addc_co_u32_e32 v5, vcc, v1, v5, vcc
	v_mov_b32_e32 v2, v3
	global_store_dwordx2 v[4:5], v[2:3], off
	s_or_b64 exec, exec, s[2:3]
	v_cmp_gt_u32_e32 vcc, 64, v0
	s_and_saveexec_b64 s[2:3], vcc
	s_cbranch_execz .LBB6896_8
.LBB6896_10:
	v_mov_b32_e32 v1, 0
	v_lshlrev_b64 v[2:3], 3, v[0:1]
	v_mov_b32_e32 v0, s1
	v_add_co_u32_e32 v2, vcc, s0, v2
	v_addc_co_u32_e32 v3, vcc, v0, v3, vcc
	v_mov_b32_e32 v5, 0xff
	v_mov_b32_e32 v4, v1
	global_store_dwordx2 v[2:3], v[4:5], off
	s_endpgm
	.section	.rodata,"a",@progbits
	.p2align	6, 0x0
	.amdhsa_kernel _ZN7rocprim17ROCPRIM_400000_NS6detail31init_lookback_scan_state_kernelINS1_19lookback_scan_stateI3IntLb0ELb1EEENS1_16block_id_wrapperIjLb0EEEEEvT_jT0_jPNS8_10value_typeE
		.amdhsa_group_segment_fixed_size 0
		.amdhsa_private_segment_fixed_size 0
		.amdhsa_kernarg_size 288
		.amdhsa_user_sgpr_count 6
		.amdhsa_user_sgpr_private_segment_buffer 1
		.amdhsa_user_sgpr_dispatch_ptr 0
		.amdhsa_user_sgpr_queue_ptr 0
		.amdhsa_user_sgpr_kernarg_segment_ptr 1
		.amdhsa_user_sgpr_dispatch_id 0
		.amdhsa_user_sgpr_flat_scratch_init 0
		.amdhsa_user_sgpr_kernarg_preload_length 0
		.amdhsa_user_sgpr_kernarg_preload_offset 0
		.amdhsa_user_sgpr_private_segment_size 0
		.amdhsa_uses_dynamic_stack 0
		.amdhsa_system_sgpr_private_segment_wavefront_offset 0
		.amdhsa_system_sgpr_workgroup_id_x 1
		.amdhsa_system_sgpr_workgroup_id_y 0
		.amdhsa_system_sgpr_workgroup_id_z 0
		.amdhsa_system_sgpr_workgroup_info 0
		.amdhsa_system_vgpr_workitem_id 0
		.amdhsa_next_free_vgpr 6
		.amdhsa_next_free_sgpr 9
		.amdhsa_accum_offset 8
		.amdhsa_reserve_vcc 1
		.amdhsa_reserve_flat_scratch 0
		.amdhsa_float_round_mode_32 0
		.amdhsa_float_round_mode_16_64 0
		.amdhsa_float_denorm_mode_32 3
		.amdhsa_float_denorm_mode_16_64 3
		.amdhsa_dx10_clamp 1
		.amdhsa_ieee_mode 1
		.amdhsa_fp16_overflow 0
		.amdhsa_tg_split 0
		.amdhsa_exception_fp_ieee_invalid_op 0
		.amdhsa_exception_fp_denorm_src 0
		.amdhsa_exception_fp_ieee_div_zero 0
		.amdhsa_exception_fp_ieee_overflow 0
		.amdhsa_exception_fp_ieee_underflow 0
		.amdhsa_exception_fp_ieee_inexact 0
		.amdhsa_exception_int_div_zero 0
	.end_amdhsa_kernel
	.section	.text._ZN7rocprim17ROCPRIM_400000_NS6detail31init_lookback_scan_state_kernelINS1_19lookback_scan_stateI3IntLb0ELb1EEENS1_16block_id_wrapperIjLb0EEEEEvT_jT0_jPNS8_10value_typeE,"axG",@progbits,_ZN7rocprim17ROCPRIM_400000_NS6detail31init_lookback_scan_state_kernelINS1_19lookback_scan_stateI3IntLb0ELb1EEENS1_16block_id_wrapperIjLb0EEEEEvT_jT0_jPNS8_10value_typeE,comdat
.Lfunc_end6896:
	.size	_ZN7rocprim17ROCPRIM_400000_NS6detail31init_lookback_scan_state_kernelINS1_19lookback_scan_stateI3IntLb0ELb1EEENS1_16block_id_wrapperIjLb0EEEEEvT_jT0_jPNS8_10value_typeE, .Lfunc_end6896-_ZN7rocprim17ROCPRIM_400000_NS6detail31init_lookback_scan_state_kernelINS1_19lookback_scan_stateI3IntLb0ELb1EEENS1_16block_id_wrapperIjLb0EEEEEvT_jT0_jPNS8_10value_typeE
                                        ; -- End function
	.section	.AMDGPU.csdata,"",@progbits
; Kernel info:
; codeLenInByte = 324
; NumSgprs: 13
; NumVgprs: 6
; NumAgprs: 0
; TotalNumVgprs: 6
; ScratchSize: 0
; MemoryBound: 0
; FloatMode: 240
; IeeeMode: 1
; LDSByteSize: 0 bytes/workgroup (compile time only)
; SGPRBlocks: 1
; VGPRBlocks: 0
; NumSGPRsForWavesPerEU: 13
; NumVGPRsForWavesPerEU: 6
; AccumOffset: 8
; Occupancy: 8
; WaveLimiterHint : 0
; COMPUTE_PGM_RSRC2:SCRATCH_EN: 0
; COMPUTE_PGM_RSRC2:USER_SGPR: 6
; COMPUTE_PGM_RSRC2:TRAP_HANDLER: 0
; COMPUTE_PGM_RSRC2:TGID_X_EN: 1
; COMPUTE_PGM_RSRC2:TGID_Y_EN: 0
; COMPUTE_PGM_RSRC2:TGID_Z_EN: 0
; COMPUTE_PGM_RSRC2:TIDIG_COMP_CNT: 0
; COMPUTE_PGM_RSRC3_GFX90A:ACCUM_OFFSET: 1
; COMPUTE_PGM_RSRC3_GFX90A:TG_SPLIT: 0
	.section	.text._ZN7rocprim17ROCPRIM_400000_NS6detail17trampoline_kernelINS0_14default_configENS1_20scan_config_selectorI3IntEEZZNS1_9scan_implILNS1_25lookback_scan_determinismE0ELb0ELb0ES3_N6thrust23THRUST_200600_302600_NS6detail15normal_iteratorINSA_10device_ptrIKS5_EEEENSC_INSD_IS5_EEEES5_NSA_4plusIvEES5_EEDaPvRmT3_T4_T5_mT6_P12ihipStream_tbENKUlT_T0_E_clISt17integral_constantIbLb0EESY_EEDaST_SU_EUlST_E_NS1_11comp_targetILNS1_3genE0ELNS1_11target_archE4294967295ELNS1_3gpuE0ELNS1_3repE0EEENS1_30default_config_static_selectorELNS0_4arch9wavefront6targetE1EEEvT1_,"axG",@progbits,_ZN7rocprim17ROCPRIM_400000_NS6detail17trampoline_kernelINS0_14default_configENS1_20scan_config_selectorI3IntEEZZNS1_9scan_implILNS1_25lookback_scan_determinismE0ELb0ELb0ES3_N6thrust23THRUST_200600_302600_NS6detail15normal_iteratorINSA_10device_ptrIKS5_EEEENSC_INSD_IS5_EEEES5_NSA_4plusIvEES5_EEDaPvRmT3_T4_T5_mT6_P12ihipStream_tbENKUlT_T0_E_clISt17integral_constantIbLb0EESY_EEDaST_SU_EUlST_E_NS1_11comp_targetILNS1_3genE0ELNS1_11target_archE4294967295ELNS1_3gpuE0ELNS1_3repE0EEENS1_30default_config_static_selectorELNS0_4arch9wavefront6targetE1EEEvT1_,comdat
	.protected	_ZN7rocprim17ROCPRIM_400000_NS6detail17trampoline_kernelINS0_14default_configENS1_20scan_config_selectorI3IntEEZZNS1_9scan_implILNS1_25lookback_scan_determinismE0ELb0ELb0ES3_N6thrust23THRUST_200600_302600_NS6detail15normal_iteratorINSA_10device_ptrIKS5_EEEENSC_INSD_IS5_EEEES5_NSA_4plusIvEES5_EEDaPvRmT3_T4_T5_mT6_P12ihipStream_tbENKUlT_T0_E_clISt17integral_constantIbLb0EESY_EEDaST_SU_EUlST_E_NS1_11comp_targetILNS1_3genE0ELNS1_11target_archE4294967295ELNS1_3gpuE0ELNS1_3repE0EEENS1_30default_config_static_selectorELNS0_4arch9wavefront6targetE1EEEvT1_ ; -- Begin function _ZN7rocprim17ROCPRIM_400000_NS6detail17trampoline_kernelINS0_14default_configENS1_20scan_config_selectorI3IntEEZZNS1_9scan_implILNS1_25lookback_scan_determinismE0ELb0ELb0ES3_N6thrust23THRUST_200600_302600_NS6detail15normal_iteratorINSA_10device_ptrIKS5_EEEENSC_INSD_IS5_EEEES5_NSA_4plusIvEES5_EEDaPvRmT3_T4_T5_mT6_P12ihipStream_tbENKUlT_T0_E_clISt17integral_constantIbLb0EESY_EEDaST_SU_EUlST_E_NS1_11comp_targetILNS1_3genE0ELNS1_11target_archE4294967295ELNS1_3gpuE0ELNS1_3repE0EEENS1_30default_config_static_selectorELNS0_4arch9wavefront6targetE1EEEvT1_
	.globl	_ZN7rocprim17ROCPRIM_400000_NS6detail17trampoline_kernelINS0_14default_configENS1_20scan_config_selectorI3IntEEZZNS1_9scan_implILNS1_25lookback_scan_determinismE0ELb0ELb0ES3_N6thrust23THRUST_200600_302600_NS6detail15normal_iteratorINSA_10device_ptrIKS5_EEEENSC_INSD_IS5_EEEES5_NSA_4plusIvEES5_EEDaPvRmT3_T4_T5_mT6_P12ihipStream_tbENKUlT_T0_E_clISt17integral_constantIbLb0EESY_EEDaST_SU_EUlST_E_NS1_11comp_targetILNS1_3genE0ELNS1_11target_archE4294967295ELNS1_3gpuE0ELNS1_3repE0EEENS1_30default_config_static_selectorELNS0_4arch9wavefront6targetE1EEEvT1_
	.p2align	8
	.type	_ZN7rocprim17ROCPRIM_400000_NS6detail17trampoline_kernelINS0_14default_configENS1_20scan_config_selectorI3IntEEZZNS1_9scan_implILNS1_25lookback_scan_determinismE0ELb0ELb0ES3_N6thrust23THRUST_200600_302600_NS6detail15normal_iteratorINSA_10device_ptrIKS5_EEEENSC_INSD_IS5_EEEES5_NSA_4plusIvEES5_EEDaPvRmT3_T4_T5_mT6_P12ihipStream_tbENKUlT_T0_E_clISt17integral_constantIbLb0EESY_EEDaST_SU_EUlST_E_NS1_11comp_targetILNS1_3genE0ELNS1_11target_archE4294967295ELNS1_3gpuE0ELNS1_3repE0EEENS1_30default_config_static_selectorELNS0_4arch9wavefront6targetE1EEEvT1_,@function
_ZN7rocprim17ROCPRIM_400000_NS6detail17trampoline_kernelINS0_14default_configENS1_20scan_config_selectorI3IntEEZZNS1_9scan_implILNS1_25lookback_scan_determinismE0ELb0ELb0ES3_N6thrust23THRUST_200600_302600_NS6detail15normal_iteratorINSA_10device_ptrIKS5_EEEENSC_INSD_IS5_EEEES5_NSA_4plusIvEES5_EEDaPvRmT3_T4_T5_mT6_P12ihipStream_tbENKUlT_T0_E_clISt17integral_constantIbLb0EESY_EEDaST_SU_EUlST_E_NS1_11comp_targetILNS1_3genE0ELNS1_11target_archE4294967295ELNS1_3gpuE0ELNS1_3repE0EEENS1_30default_config_static_selectorELNS0_4arch9wavefront6targetE1EEEvT1_: ; @_ZN7rocprim17ROCPRIM_400000_NS6detail17trampoline_kernelINS0_14default_configENS1_20scan_config_selectorI3IntEEZZNS1_9scan_implILNS1_25lookback_scan_determinismE0ELb0ELb0ES3_N6thrust23THRUST_200600_302600_NS6detail15normal_iteratorINSA_10device_ptrIKS5_EEEENSC_INSD_IS5_EEEES5_NSA_4plusIvEES5_EEDaPvRmT3_T4_T5_mT6_P12ihipStream_tbENKUlT_T0_E_clISt17integral_constantIbLb0EESY_EEDaST_SU_EUlST_E_NS1_11comp_targetILNS1_3genE0ELNS1_11target_archE4294967295ELNS1_3gpuE0ELNS1_3repE0EEENS1_30default_config_static_selectorELNS0_4arch9wavefront6targetE1EEEvT1_
; %bb.0:
	.section	.rodata,"a",@progbits
	.p2align	6, 0x0
	.amdhsa_kernel _ZN7rocprim17ROCPRIM_400000_NS6detail17trampoline_kernelINS0_14default_configENS1_20scan_config_selectorI3IntEEZZNS1_9scan_implILNS1_25lookback_scan_determinismE0ELb0ELb0ES3_N6thrust23THRUST_200600_302600_NS6detail15normal_iteratorINSA_10device_ptrIKS5_EEEENSC_INSD_IS5_EEEES5_NSA_4plusIvEES5_EEDaPvRmT3_T4_T5_mT6_P12ihipStream_tbENKUlT_T0_E_clISt17integral_constantIbLb0EESY_EEDaST_SU_EUlST_E_NS1_11comp_targetILNS1_3genE0ELNS1_11target_archE4294967295ELNS1_3gpuE0ELNS1_3repE0EEENS1_30default_config_static_selectorELNS0_4arch9wavefront6targetE1EEEvT1_
		.amdhsa_group_segment_fixed_size 0
		.amdhsa_private_segment_fixed_size 0
		.amdhsa_kernarg_size 96
		.amdhsa_user_sgpr_count 6
		.amdhsa_user_sgpr_private_segment_buffer 1
		.amdhsa_user_sgpr_dispatch_ptr 0
		.amdhsa_user_sgpr_queue_ptr 0
		.amdhsa_user_sgpr_kernarg_segment_ptr 1
		.amdhsa_user_sgpr_dispatch_id 0
		.amdhsa_user_sgpr_flat_scratch_init 0
		.amdhsa_user_sgpr_kernarg_preload_length 0
		.amdhsa_user_sgpr_kernarg_preload_offset 0
		.amdhsa_user_sgpr_private_segment_size 0
		.amdhsa_uses_dynamic_stack 0
		.amdhsa_system_sgpr_private_segment_wavefront_offset 0
		.amdhsa_system_sgpr_workgroup_id_x 1
		.amdhsa_system_sgpr_workgroup_id_y 0
		.amdhsa_system_sgpr_workgroup_id_z 0
		.amdhsa_system_sgpr_workgroup_info 0
		.amdhsa_system_vgpr_workitem_id 0
		.amdhsa_next_free_vgpr 1
		.amdhsa_next_free_sgpr 0
		.amdhsa_accum_offset 4
		.amdhsa_reserve_vcc 0
		.amdhsa_reserve_flat_scratch 0
		.amdhsa_float_round_mode_32 0
		.amdhsa_float_round_mode_16_64 0
		.amdhsa_float_denorm_mode_32 3
		.amdhsa_float_denorm_mode_16_64 3
		.amdhsa_dx10_clamp 1
		.amdhsa_ieee_mode 1
		.amdhsa_fp16_overflow 0
		.amdhsa_tg_split 0
		.amdhsa_exception_fp_ieee_invalid_op 0
		.amdhsa_exception_fp_denorm_src 0
		.amdhsa_exception_fp_ieee_div_zero 0
		.amdhsa_exception_fp_ieee_overflow 0
		.amdhsa_exception_fp_ieee_underflow 0
		.amdhsa_exception_fp_ieee_inexact 0
		.amdhsa_exception_int_div_zero 0
	.end_amdhsa_kernel
	.section	.text._ZN7rocprim17ROCPRIM_400000_NS6detail17trampoline_kernelINS0_14default_configENS1_20scan_config_selectorI3IntEEZZNS1_9scan_implILNS1_25lookback_scan_determinismE0ELb0ELb0ES3_N6thrust23THRUST_200600_302600_NS6detail15normal_iteratorINSA_10device_ptrIKS5_EEEENSC_INSD_IS5_EEEES5_NSA_4plusIvEES5_EEDaPvRmT3_T4_T5_mT6_P12ihipStream_tbENKUlT_T0_E_clISt17integral_constantIbLb0EESY_EEDaST_SU_EUlST_E_NS1_11comp_targetILNS1_3genE0ELNS1_11target_archE4294967295ELNS1_3gpuE0ELNS1_3repE0EEENS1_30default_config_static_selectorELNS0_4arch9wavefront6targetE1EEEvT1_,"axG",@progbits,_ZN7rocprim17ROCPRIM_400000_NS6detail17trampoline_kernelINS0_14default_configENS1_20scan_config_selectorI3IntEEZZNS1_9scan_implILNS1_25lookback_scan_determinismE0ELb0ELb0ES3_N6thrust23THRUST_200600_302600_NS6detail15normal_iteratorINSA_10device_ptrIKS5_EEEENSC_INSD_IS5_EEEES5_NSA_4plusIvEES5_EEDaPvRmT3_T4_T5_mT6_P12ihipStream_tbENKUlT_T0_E_clISt17integral_constantIbLb0EESY_EEDaST_SU_EUlST_E_NS1_11comp_targetILNS1_3genE0ELNS1_11target_archE4294967295ELNS1_3gpuE0ELNS1_3repE0EEENS1_30default_config_static_selectorELNS0_4arch9wavefront6targetE1EEEvT1_,comdat
.Lfunc_end6897:
	.size	_ZN7rocprim17ROCPRIM_400000_NS6detail17trampoline_kernelINS0_14default_configENS1_20scan_config_selectorI3IntEEZZNS1_9scan_implILNS1_25lookback_scan_determinismE0ELb0ELb0ES3_N6thrust23THRUST_200600_302600_NS6detail15normal_iteratorINSA_10device_ptrIKS5_EEEENSC_INSD_IS5_EEEES5_NSA_4plusIvEES5_EEDaPvRmT3_T4_T5_mT6_P12ihipStream_tbENKUlT_T0_E_clISt17integral_constantIbLb0EESY_EEDaST_SU_EUlST_E_NS1_11comp_targetILNS1_3genE0ELNS1_11target_archE4294967295ELNS1_3gpuE0ELNS1_3repE0EEENS1_30default_config_static_selectorELNS0_4arch9wavefront6targetE1EEEvT1_, .Lfunc_end6897-_ZN7rocprim17ROCPRIM_400000_NS6detail17trampoline_kernelINS0_14default_configENS1_20scan_config_selectorI3IntEEZZNS1_9scan_implILNS1_25lookback_scan_determinismE0ELb0ELb0ES3_N6thrust23THRUST_200600_302600_NS6detail15normal_iteratorINSA_10device_ptrIKS5_EEEENSC_INSD_IS5_EEEES5_NSA_4plusIvEES5_EEDaPvRmT3_T4_T5_mT6_P12ihipStream_tbENKUlT_T0_E_clISt17integral_constantIbLb0EESY_EEDaST_SU_EUlST_E_NS1_11comp_targetILNS1_3genE0ELNS1_11target_archE4294967295ELNS1_3gpuE0ELNS1_3repE0EEENS1_30default_config_static_selectorELNS0_4arch9wavefront6targetE1EEEvT1_
                                        ; -- End function
	.section	.AMDGPU.csdata,"",@progbits
; Kernel info:
; codeLenInByte = 0
; NumSgprs: 4
; NumVgprs: 0
; NumAgprs: 0
; TotalNumVgprs: 0
; ScratchSize: 0
; MemoryBound: 0
; FloatMode: 240
; IeeeMode: 1
; LDSByteSize: 0 bytes/workgroup (compile time only)
; SGPRBlocks: 0
; VGPRBlocks: 0
; NumSGPRsForWavesPerEU: 4
; NumVGPRsForWavesPerEU: 1
; AccumOffset: 4
; Occupancy: 8
; WaveLimiterHint : 0
; COMPUTE_PGM_RSRC2:SCRATCH_EN: 0
; COMPUTE_PGM_RSRC2:USER_SGPR: 6
; COMPUTE_PGM_RSRC2:TRAP_HANDLER: 0
; COMPUTE_PGM_RSRC2:TGID_X_EN: 1
; COMPUTE_PGM_RSRC2:TGID_Y_EN: 0
; COMPUTE_PGM_RSRC2:TGID_Z_EN: 0
; COMPUTE_PGM_RSRC2:TIDIG_COMP_CNT: 0
; COMPUTE_PGM_RSRC3_GFX90A:ACCUM_OFFSET: 0
; COMPUTE_PGM_RSRC3_GFX90A:TG_SPLIT: 0
	.section	.text._ZN7rocprim17ROCPRIM_400000_NS6detail17trampoline_kernelINS0_14default_configENS1_20scan_config_selectorI3IntEEZZNS1_9scan_implILNS1_25lookback_scan_determinismE0ELb0ELb0ES3_N6thrust23THRUST_200600_302600_NS6detail15normal_iteratorINSA_10device_ptrIKS5_EEEENSC_INSD_IS5_EEEES5_NSA_4plusIvEES5_EEDaPvRmT3_T4_T5_mT6_P12ihipStream_tbENKUlT_T0_E_clISt17integral_constantIbLb0EESY_EEDaST_SU_EUlST_E_NS1_11comp_targetILNS1_3genE5ELNS1_11target_archE942ELNS1_3gpuE9ELNS1_3repE0EEENS1_30default_config_static_selectorELNS0_4arch9wavefront6targetE1EEEvT1_,"axG",@progbits,_ZN7rocprim17ROCPRIM_400000_NS6detail17trampoline_kernelINS0_14default_configENS1_20scan_config_selectorI3IntEEZZNS1_9scan_implILNS1_25lookback_scan_determinismE0ELb0ELb0ES3_N6thrust23THRUST_200600_302600_NS6detail15normal_iteratorINSA_10device_ptrIKS5_EEEENSC_INSD_IS5_EEEES5_NSA_4plusIvEES5_EEDaPvRmT3_T4_T5_mT6_P12ihipStream_tbENKUlT_T0_E_clISt17integral_constantIbLb0EESY_EEDaST_SU_EUlST_E_NS1_11comp_targetILNS1_3genE5ELNS1_11target_archE942ELNS1_3gpuE9ELNS1_3repE0EEENS1_30default_config_static_selectorELNS0_4arch9wavefront6targetE1EEEvT1_,comdat
	.protected	_ZN7rocprim17ROCPRIM_400000_NS6detail17trampoline_kernelINS0_14default_configENS1_20scan_config_selectorI3IntEEZZNS1_9scan_implILNS1_25lookback_scan_determinismE0ELb0ELb0ES3_N6thrust23THRUST_200600_302600_NS6detail15normal_iteratorINSA_10device_ptrIKS5_EEEENSC_INSD_IS5_EEEES5_NSA_4plusIvEES5_EEDaPvRmT3_T4_T5_mT6_P12ihipStream_tbENKUlT_T0_E_clISt17integral_constantIbLb0EESY_EEDaST_SU_EUlST_E_NS1_11comp_targetILNS1_3genE5ELNS1_11target_archE942ELNS1_3gpuE9ELNS1_3repE0EEENS1_30default_config_static_selectorELNS0_4arch9wavefront6targetE1EEEvT1_ ; -- Begin function _ZN7rocprim17ROCPRIM_400000_NS6detail17trampoline_kernelINS0_14default_configENS1_20scan_config_selectorI3IntEEZZNS1_9scan_implILNS1_25lookback_scan_determinismE0ELb0ELb0ES3_N6thrust23THRUST_200600_302600_NS6detail15normal_iteratorINSA_10device_ptrIKS5_EEEENSC_INSD_IS5_EEEES5_NSA_4plusIvEES5_EEDaPvRmT3_T4_T5_mT6_P12ihipStream_tbENKUlT_T0_E_clISt17integral_constantIbLb0EESY_EEDaST_SU_EUlST_E_NS1_11comp_targetILNS1_3genE5ELNS1_11target_archE942ELNS1_3gpuE9ELNS1_3repE0EEENS1_30default_config_static_selectorELNS0_4arch9wavefront6targetE1EEEvT1_
	.globl	_ZN7rocprim17ROCPRIM_400000_NS6detail17trampoline_kernelINS0_14default_configENS1_20scan_config_selectorI3IntEEZZNS1_9scan_implILNS1_25lookback_scan_determinismE0ELb0ELb0ES3_N6thrust23THRUST_200600_302600_NS6detail15normal_iteratorINSA_10device_ptrIKS5_EEEENSC_INSD_IS5_EEEES5_NSA_4plusIvEES5_EEDaPvRmT3_T4_T5_mT6_P12ihipStream_tbENKUlT_T0_E_clISt17integral_constantIbLb0EESY_EEDaST_SU_EUlST_E_NS1_11comp_targetILNS1_3genE5ELNS1_11target_archE942ELNS1_3gpuE9ELNS1_3repE0EEENS1_30default_config_static_selectorELNS0_4arch9wavefront6targetE1EEEvT1_
	.p2align	8
	.type	_ZN7rocprim17ROCPRIM_400000_NS6detail17trampoline_kernelINS0_14default_configENS1_20scan_config_selectorI3IntEEZZNS1_9scan_implILNS1_25lookback_scan_determinismE0ELb0ELb0ES3_N6thrust23THRUST_200600_302600_NS6detail15normal_iteratorINSA_10device_ptrIKS5_EEEENSC_INSD_IS5_EEEES5_NSA_4plusIvEES5_EEDaPvRmT3_T4_T5_mT6_P12ihipStream_tbENKUlT_T0_E_clISt17integral_constantIbLb0EESY_EEDaST_SU_EUlST_E_NS1_11comp_targetILNS1_3genE5ELNS1_11target_archE942ELNS1_3gpuE9ELNS1_3repE0EEENS1_30default_config_static_selectorELNS0_4arch9wavefront6targetE1EEEvT1_,@function
_ZN7rocprim17ROCPRIM_400000_NS6detail17trampoline_kernelINS0_14default_configENS1_20scan_config_selectorI3IntEEZZNS1_9scan_implILNS1_25lookback_scan_determinismE0ELb0ELb0ES3_N6thrust23THRUST_200600_302600_NS6detail15normal_iteratorINSA_10device_ptrIKS5_EEEENSC_INSD_IS5_EEEES5_NSA_4plusIvEES5_EEDaPvRmT3_T4_T5_mT6_P12ihipStream_tbENKUlT_T0_E_clISt17integral_constantIbLb0EESY_EEDaST_SU_EUlST_E_NS1_11comp_targetILNS1_3genE5ELNS1_11target_archE942ELNS1_3gpuE9ELNS1_3repE0EEENS1_30default_config_static_selectorELNS0_4arch9wavefront6targetE1EEEvT1_: ; @_ZN7rocprim17ROCPRIM_400000_NS6detail17trampoline_kernelINS0_14default_configENS1_20scan_config_selectorI3IntEEZZNS1_9scan_implILNS1_25lookback_scan_determinismE0ELb0ELb0ES3_N6thrust23THRUST_200600_302600_NS6detail15normal_iteratorINSA_10device_ptrIKS5_EEEENSC_INSD_IS5_EEEES5_NSA_4plusIvEES5_EEDaPvRmT3_T4_T5_mT6_P12ihipStream_tbENKUlT_T0_E_clISt17integral_constantIbLb0EESY_EEDaST_SU_EUlST_E_NS1_11comp_targetILNS1_3genE5ELNS1_11target_archE942ELNS1_3gpuE9ELNS1_3repE0EEENS1_30default_config_static_selectorELNS0_4arch9wavefront6targetE1EEEvT1_
; %bb.0:
	.section	.rodata,"a",@progbits
	.p2align	6, 0x0
	.amdhsa_kernel _ZN7rocprim17ROCPRIM_400000_NS6detail17trampoline_kernelINS0_14default_configENS1_20scan_config_selectorI3IntEEZZNS1_9scan_implILNS1_25lookback_scan_determinismE0ELb0ELb0ES3_N6thrust23THRUST_200600_302600_NS6detail15normal_iteratorINSA_10device_ptrIKS5_EEEENSC_INSD_IS5_EEEES5_NSA_4plusIvEES5_EEDaPvRmT3_T4_T5_mT6_P12ihipStream_tbENKUlT_T0_E_clISt17integral_constantIbLb0EESY_EEDaST_SU_EUlST_E_NS1_11comp_targetILNS1_3genE5ELNS1_11target_archE942ELNS1_3gpuE9ELNS1_3repE0EEENS1_30default_config_static_selectorELNS0_4arch9wavefront6targetE1EEEvT1_
		.amdhsa_group_segment_fixed_size 0
		.amdhsa_private_segment_fixed_size 0
		.amdhsa_kernarg_size 96
		.amdhsa_user_sgpr_count 6
		.amdhsa_user_sgpr_private_segment_buffer 1
		.amdhsa_user_sgpr_dispatch_ptr 0
		.amdhsa_user_sgpr_queue_ptr 0
		.amdhsa_user_sgpr_kernarg_segment_ptr 1
		.amdhsa_user_sgpr_dispatch_id 0
		.amdhsa_user_sgpr_flat_scratch_init 0
		.amdhsa_user_sgpr_kernarg_preload_length 0
		.amdhsa_user_sgpr_kernarg_preload_offset 0
		.amdhsa_user_sgpr_private_segment_size 0
		.amdhsa_uses_dynamic_stack 0
		.amdhsa_system_sgpr_private_segment_wavefront_offset 0
		.amdhsa_system_sgpr_workgroup_id_x 1
		.amdhsa_system_sgpr_workgroup_id_y 0
		.amdhsa_system_sgpr_workgroup_id_z 0
		.amdhsa_system_sgpr_workgroup_info 0
		.amdhsa_system_vgpr_workitem_id 0
		.amdhsa_next_free_vgpr 1
		.amdhsa_next_free_sgpr 0
		.amdhsa_accum_offset 4
		.amdhsa_reserve_vcc 0
		.amdhsa_reserve_flat_scratch 0
		.amdhsa_float_round_mode_32 0
		.amdhsa_float_round_mode_16_64 0
		.amdhsa_float_denorm_mode_32 3
		.amdhsa_float_denorm_mode_16_64 3
		.amdhsa_dx10_clamp 1
		.amdhsa_ieee_mode 1
		.amdhsa_fp16_overflow 0
		.amdhsa_tg_split 0
		.amdhsa_exception_fp_ieee_invalid_op 0
		.amdhsa_exception_fp_denorm_src 0
		.amdhsa_exception_fp_ieee_div_zero 0
		.amdhsa_exception_fp_ieee_overflow 0
		.amdhsa_exception_fp_ieee_underflow 0
		.amdhsa_exception_fp_ieee_inexact 0
		.amdhsa_exception_int_div_zero 0
	.end_amdhsa_kernel
	.section	.text._ZN7rocprim17ROCPRIM_400000_NS6detail17trampoline_kernelINS0_14default_configENS1_20scan_config_selectorI3IntEEZZNS1_9scan_implILNS1_25lookback_scan_determinismE0ELb0ELb0ES3_N6thrust23THRUST_200600_302600_NS6detail15normal_iteratorINSA_10device_ptrIKS5_EEEENSC_INSD_IS5_EEEES5_NSA_4plusIvEES5_EEDaPvRmT3_T4_T5_mT6_P12ihipStream_tbENKUlT_T0_E_clISt17integral_constantIbLb0EESY_EEDaST_SU_EUlST_E_NS1_11comp_targetILNS1_3genE5ELNS1_11target_archE942ELNS1_3gpuE9ELNS1_3repE0EEENS1_30default_config_static_selectorELNS0_4arch9wavefront6targetE1EEEvT1_,"axG",@progbits,_ZN7rocprim17ROCPRIM_400000_NS6detail17trampoline_kernelINS0_14default_configENS1_20scan_config_selectorI3IntEEZZNS1_9scan_implILNS1_25lookback_scan_determinismE0ELb0ELb0ES3_N6thrust23THRUST_200600_302600_NS6detail15normal_iteratorINSA_10device_ptrIKS5_EEEENSC_INSD_IS5_EEEES5_NSA_4plusIvEES5_EEDaPvRmT3_T4_T5_mT6_P12ihipStream_tbENKUlT_T0_E_clISt17integral_constantIbLb0EESY_EEDaST_SU_EUlST_E_NS1_11comp_targetILNS1_3genE5ELNS1_11target_archE942ELNS1_3gpuE9ELNS1_3repE0EEENS1_30default_config_static_selectorELNS0_4arch9wavefront6targetE1EEEvT1_,comdat
.Lfunc_end6898:
	.size	_ZN7rocprim17ROCPRIM_400000_NS6detail17trampoline_kernelINS0_14default_configENS1_20scan_config_selectorI3IntEEZZNS1_9scan_implILNS1_25lookback_scan_determinismE0ELb0ELb0ES3_N6thrust23THRUST_200600_302600_NS6detail15normal_iteratorINSA_10device_ptrIKS5_EEEENSC_INSD_IS5_EEEES5_NSA_4plusIvEES5_EEDaPvRmT3_T4_T5_mT6_P12ihipStream_tbENKUlT_T0_E_clISt17integral_constantIbLb0EESY_EEDaST_SU_EUlST_E_NS1_11comp_targetILNS1_3genE5ELNS1_11target_archE942ELNS1_3gpuE9ELNS1_3repE0EEENS1_30default_config_static_selectorELNS0_4arch9wavefront6targetE1EEEvT1_, .Lfunc_end6898-_ZN7rocprim17ROCPRIM_400000_NS6detail17trampoline_kernelINS0_14default_configENS1_20scan_config_selectorI3IntEEZZNS1_9scan_implILNS1_25lookback_scan_determinismE0ELb0ELb0ES3_N6thrust23THRUST_200600_302600_NS6detail15normal_iteratorINSA_10device_ptrIKS5_EEEENSC_INSD_IS5_EEEES5_NSA_4plusIvEES5_EEDaPvRmT3_T4_T5_mT6_P12ihipStream_tbENKUlT_T0_E_clISt17integral_constantIbLb0EESY_EEDaST_SU_EUlST_E_NS1_11comp_targetILNS1_3genE5ELNS1_11target_archE942ELNS1_3gpuE9ELNS1_3repE0EEENS1_30default_config_static_selectorELNS0_4arch9wavefront6targetE1EEEvT1_
                                        ; -- End function
	.section	.AMDGPU.csdata,"",@progbits
; Kernel info:
; codeLenInByte = 0
; NumSgprs: 4
; NumVgprs: 0
; NumAgprs: 0
; TotalNumVgprs: 0
; ScratchSize: 0
; MemoryBound: 0
; FloatMode: 240
; IeeeMode: 1
; LDSByteSize: 0 bytes/workgroup (compile time only)
; SGPRBlocks: 0
; VGPRBlocks: 0
; NumSGPRsForWavesPerEU: 4
; NumVGPRsForWavesPerEU: 1
; AccumOffset: 4
; Occupancy: 8
; WaveLimiterHint : 0
; COMPUTE_PGM_RSRC2:SCRATCH_EN: 0
; COMPUTE_PGM_RSRC2:USER_SGPR: 6
; COMPUTE_PGM_RSRC2:TRAP_HANDLER: 0
; COMPUTE_PGM_RSRC2:TGID_X_EN: 1
; COMPUTE_PGM_RSRC2:TGID_Y_EN: 0
; COMPUTE_PGM_RSRC2:TGID_Z_EN: 0
; COMPUTE_PGM_RSRC2:TIDIG_COMP_CNT: 0
; COMPUTE_PGM_RSRC3_GFX90A:ACCUM_OFFSET: 0
; COMPUTE_PGM_RSRC3_GFX90A:TG_SPLIT: 0
	.section	.text._ZN7rocprim17ROCPRIM_400000_NS6detail17trampoline_kernelINS0_14default_configENS1_20scan_config_selectorI3IntEEZZNS1_9scan_implILNS1_25lookback_scan_determinismE0ELb0ELb0ES3_N6thrust23THRUST_200600_302600_NS6detail15normal_iteratorINSA_10device_ptrIKS5_EEEENSC_INSD_IS5_EEEES5_NSA_4plusIvEES5_EEDaPvRmT3_T4_T5_mT6_P12ihipStream_tbENKUlT_T0_E_clISt17integral_constantIbLb0EESY_EEDaST_SU_EUlST_E_NS1_11comp_targetILNS1_3genE4ELNS1_11target_archE910ELNS1_3gpuE8ELNS1_3repE0EEENS1_30default_config_static_selectorELNS0_4arch9wavefront6targetE1EEEvT1_,"axG",@progbits,_ZN7rocprim17ROCPRIM_400000_NS6detail17trampoline_kernelINS0_14default_configENS1_20scan_config_selectorI3IntEEZZNS1_9scan_implILNS1_25lookback_scan_determinismE0ELb0ELb0ES3_N6thrust23THRUST_200600_302600_NS6detail15normal_iteratorINSA_10device_ptrIKS5_EEEENSC_INSD_IS5_EEEES5_NSA_4plusIvEES5_EEDaPvRmT3_T4_T5_mT6_P12ihipStream_tbENKUlT_T0_E_clISt17integral_constantIbLb0EESY_EEDaST_SU_EUlST_E_NS1_11comp_targetILNS1_3genE4ELNS1_11target_archE910ELNS1_3gpuE8ELNS1_3repE0EEENS1_30default_config_static_selectorELNS0_4arch9wavefront6targetE1EEEvT1_,comdat
	.protected	_ZN7rocprim17ROCPRIM_400000_NS6detail17trampoline_kernelINS0_14default_configENS1_20scan_config_selectorI3IntEEZZNS1_9scan_implILNS1_25lookback_scan_determinismE0ELb0ELb0ES3_N6thrust23THRUST_200600_302600_NS6detail15normal_iteratorINSA_10device_ptrIKS5_EEEENSC_INSD_IS5_EEEES5_NSA_4plusIvEES5_EEDaPvRmT3_T4_T5_mT6_P12ihipStream_tbENKUlT_T0_E_clISt17integral_constantIbLb0EESY_EEDaST_SU_EUlST_E_NS1_11comp_targetILNS1_3genE4ELNS1_11target_archE910ELNS1_3gpuE8ELNS1_3repE0EEENS1_30default_config_static_selectorELNS0_4arch9wavefront6targetE1EEEvT1_ ; -- Begin function _ZN7rocprim17ROCPRIM_400000_NS6detail17trampoline_kernelINS0_14default_configENS1_20scan_config_selectorI3IntEEZZNS1_9scan_implILNS1_25lookback_scan_determinismE0ELb0ELb0ES3_N6thrust23THRUST_200600_302600_NS6detail15normal_iteratorINSA_10device_ptrIKS5_EEEENSC_INSD_IS5_EEEES5_NSA_4plusIvEES5_EEDaPvRmT3_T4_T5_mT6_P12ihipStream_tbENKUlT_T0_E_clISt17integral_constantIbLb0EESY_EEDaST_SU_EUlST_E_NS1_11comp_targetILNS1_3genE4ELNS1_11target_archE910ELNS1_3gpuE8ELNS1_3repE0EEENS1_30default_config_static_selectorELNS0_4arch9wavefront6targetE1EEEvT1_
	.globl	_ZN7rocprim17ROCPRIM_400000_NS6detail17trampoline_kernelINS0_14default_configENS1_20scan_config_selectorI3IntEEZZNS1_9scan_implILNS1_25lookback_scan_determinismE0ELb0ELb0ES3_N6thrust23THRUST_200600_302600_NS6detail15normal_iteratorINSA_10device_ptrIKS5_EEEENSC_INSD_IS5_EEEES5_NSA_4plusIvEES5_EEDaPvRmT3_T4_T5_mT6_P12ihipStream_tbENKUlT_T0_E_clISt17integral_constantIbLb0EESY_EEDaST_SU_EUlST_E_NS1_11comp_targetILNS1_3genE4ELNS1_11target_archE910ELNS1_3gpuE8ELNS1_3repE0EEENS1_30default_config_static_selectorELNS0_4arch9wavefront6targetE1EEEvT1_
	.p2align	8
	.type	_ZN7rocprim17ROCPRIM_400000_NS6detail17trampoline_kernelINS0_14default_configENS1_20scan_config_selectorI3IntEEZZNS1_9scan_implILNS1_25lookback_scan_determinismE0ELb0ELb0ES3_N6thrust23THRUST_200600_302600_NS6detail15normal_iteratorINSA_10device_ptrIKS5_EEEENSC_INSD_IS5_EEEES5_NSA_4plusIvEES5_EEDaPvRmT3_T4_T5_mT6_P12ihipStream_tbENKUlT_T0_E_clISt17integral_constantIbLb0EESY_EEDaST_SU_EUlST_E_NS1_11comp_targetILNS1_3genE4ELNS1_11target_archE910ELNS1_3gpuE8ELNS1_3repE0EEENS1_30default_config_static_selectorELNS0_4arch9wavefront6targetE1EEEvT1_,@function
_ZN7rocprim17ROCPRIM_400000_NS6detail17trampoline_kernelINS0_14default_configENS1_20scan_config_selectorI3IntEEZZNS1_9scan_implILNS1_25lookback_scan_determinismE0ELb0ELb0ES3_N6thrust23THRUST_200600_302600_NS6detail15normal_iteratorINSA_10device_ptrIKS5_EEEENSC_INSD_IS5_EEEES5_NSA_4plusIvEES5_EEDaPvRmT3_T4_T5_mT6_P12ihipStream_tbENKUlT_T0_E_clISt17integral_constantIbLb0EESY_EEDaST_SU_EUlST_E_NS1_11comp_targetILNS1_3genE4ELNS1_11target_archE910ELNS1_3gpuE8ELNS1_3repE0EEENS1_30default_config_static_selectorELNS0_4arch9wavefront6targetE1EEEvT1_: ; @_ZN7rocprim17ROCPRIM_400000_NS6detail17trampoline_kernelINS0_14default_configENS1_20scan_config_selectorI3IntEEZZNS1_9scan_implILNS1_25lookback_scan_determinismE0ELb0ELb0ES3_N6thrust23THRUST_200600_302600_NS6detail15normal_iteratorINSA_10device_ptrIKS5_EEEENSC_INSD_IS5_EEEES5_NSA_4plusIvEES5_EEDaPvRmT3_T4_T5_mT6_P12ihipStream_tbENKUlT_T0_E_clISt17integral_constantIbLb0EESY_EEDaST_SU_EUlST_E_NS1_11comp_targetILNS1_3genE4ELNS1_11target_archE910ELNS1_3gpuE8ELNS1_3repE0EEENS1_30default_config_static_selectorELNS0_4arch9wavefront6targetE1EEEvT1_
; %bb.0:
	s_load_dwordx8 s[8:15], s[4:5], 0x0
	s_load_dword s0, s[4:5], 0x30
	s_mov_b32 s1, 0
	v_lshlrev_b32_e32 v26, 2, v0
	s_waitcnt lgkmcnt(0)
	s_lshl_b64 s[16:17], s[10:11], 2
	s_add_u32 s2, s8, s16
	s_addc_u32 s3, s9, s17
	s_add_i32 s7, s0, -1
	s_mul_i32 s8, s7, 0x500
	s_sub_u32 s24, s14, s8
	s_subb_u32 s25, s15, 0
	s_mul_i32 s0, s6, 0x500
	s_cmp_lg_u32 s6, s7
	s_cselect_b64 s[14:15], -1, 0
	s_lshl_b64 s[18:19], s[0:1], 2
	s_add_u32 s2, s2, s18
	s_addc_u32 s3, s3, s19
	s_mov_b64 s[0:1], -1
	s_and_b64 vcc, exec, s[14:15]
	s_cbranch_vccz .LBB6899_2
; %bb.1:
	v_mov_b32_e32 v1, s3
	v_add_co_u32_e32 v2, vcc, s2, v26
	v_addc_co_u32_e32 v3, vcc, 0, v1, vcc
	flat_load_dword v1, v[2:3]
	flat_load_dword v4, v[2:3] offset:512
	flat_load_dword v5, v[2:3] offset:1024
	;; [unrolled: 1-line block ×7, first 2 shown]
	v_add_co_u32_e32 v2, vcc, 0x1000, v2
	v_addc_co_u32_e32 v3, vcc, 0, v3, vcc
	flat_load_dword v11, v[2:3]
	flat_load_dword v12, v[2:3] offset:512
	s_mov_b64 s[0:1], 0
	s_waitcnt vmcnt(0) lgkmcnt(0)
	ds_write2st64_b32 v26, v1, v4 offset1:2
	ds_write2st64_b32 v26, v5, v6 offset0:4 offset1:6
	ds_write2st64_b32 v26, v7, v8 offset0:8 offset1:10
	;; [unrolled: 1-line block ×4, first 2 shown]
	s_waitcnt lgkmcnt(0)
	s_barrier
.LBB6899_2:
	s_load_dwordx2 s[20:21], s[4:5], 0x28
	s_andn2_b64 vcc, exec, s[0:1]
	v_cmp_gt_u32_e64 s[0:1], s24, v0
	s_cbranch_vccnz .LBB6899_24
; %bb.3:
	v_pk_mov_b32 v[2:3], s[2:3], s[2:3] op_sel:[0,1]
	flat_load_dword v1, v[2:3]
	s_waitcnt vmcnt(0) lgkmcnt(0)
	v_mov_b32_e32 v2, v1
	s_and_saveexec_b64 s[8:9], s[0:1]
	s_cbranch_execz .LBB6899_5
; %bb.4:
	v_mov_b32_e32 v3, s3
	v_add_co_u32_e32 v2, vcc, s2, v26
	v_addc_co_u32_e32 v3, vcc, 0, v3, vcc
	flat_load_dword v2, v[2:3]
.LBB6899_5:
	s_or_b64 exec, exec, s[8:9]
	v_or_b32_e32 v3, 0x80, v0
	v_cmp_gt_u32_e32 vcc, s24, v3
	v_mov_b32_e32 v3, v1
	s_and_saveexec_b64 s[0:1], vcc
	s_cbranch_execz .LBB6899_7
; %bb.6:
	v_mov_b32_e32 v3, s3
	v_add_co_u32_e32 v4, vcc, s2, v26
	v_addc_co_u32_e32 v5, vcc, 0, v3, vcc
	flat_load_dword v3, v[4:5] offset:512
.LBB6899_7:
	s_or_b64 exec, exec, s[0:1]
	v_or_b32_e32 v4, 0x100, v0
	v_cmp_gt_u32_e32 vcc, s24, v4
	v_mov_b32_e32 v4, v1
	s_and_saveexec_b64 s[0:1], vcc
	s_cbranch_execz .LBB6899_9
; %bb.8:
	v_mov_b32_e32 v5, s3
	v_add_co_u32_e32 v4, vcc, s2, v26
	v_addc_co_u32_e32 v5, vcc, 0, v5, vcc
	flat_load_dword v4, v[4:5] offset:1024
.LBB6899_9:
	;; [unrolled: 12-line block ×7, first 2 shown]
	s_or_b64 exec, exec, s[0:1]
	v_or_b32_e32 v11, 0x400, v0
	v_cmp_gt_u32_e32 vcc, s24, v11
	v_mov_b32_e32 v10, v1
	s_and_saveexec_b64 s[0:1], vcc
	s_cbranch_execz .LBB6899_21
; %bb.20:
	v_lshlrev_b32_e32 v10, 2, v11
	v_mov_b32_e32 v11, s3
	v_add_co_u32_e32 v10, vcc, s2, v10
	v_addc_co_u32_e32 v11, vcc, 0, v11, vcc
	flat_load_dword v10, v[10:11]
.LBB6899_21:
	s_or_b64 exec, exec, s[0:1]
	v_or_b32_e32 v11, 0x480, v0
	v_cmp_gt_u32_e32 vcc, s24, v11
	s_and_saveexec_b64 s[0:1], vcc
	s_cbranch_execz .LBB6899_23
; %bb.22:
	v_lshlrev_b32_e32 v1, 2, v11
	v_mov_b32_e32 v11, s3
	v_add_co_u32_e32 v12, vcc, s2, v1
	v_addc_co_u32_e32 v13, vcc, 0, v11, vcc
	flat_load_dword v1, v[12:13]
.LBB6899_23:
	s_or_b64 exec, exec, s[0:1]
	s_waitcnt vmcnt(0) lgkmcnt(0)
	ds_write2st64_b32 v26, v2, v3 offset1:2
	ds_write2st64_b32 v26, v4, v5 offset0:4 offset1:6
	ds_write2st64_b32 v26, v6, v7 offset0:8 offset1:10
	;; [unrolled: 1-line block ×4, first 2 shown]
	s_waitcnt lgkmcnt(0)
	s_barrier
.LBB6899_24:
	v_mul_u32_u24_e32 v27, 10, v0
	v_lshlrev_b32_e32 v1, 2, v27
	s_waitcnt lgkmcnt(0)
	ds_read2_b64 v[6:9], v1 offset1:1
	ds_read2_b64 v[2:5], v1 offset0:2 offset1:3
	ds_read_b64 v[18:19], v1 offset:32
	s_cmp_lg_u32 s6, 0
	v_lshrrev_b32_e32 v28, 5, v0
	v_cmp_gt_u32_e32 vcc, 64, v0
	s_waitcnt lgkmcnt(0)
	s_barrier
	s_cbranch_scc0 .LBB6899_49
; %bb.25:
	v_add_u32_e32 v10, v7, v6
	v_add3_u32 v10, v10, v8, v9
	v_add3_u32 v10, v10, v2, v3
	;; [unrolled: 1-line block ×4, first 2 shown]
	v_add_lshl_u32 v11, v28, v0, 2
	ds_write_b32 v11, v10
	s_waitcnt lgkmcnt(0)
	s_barrier
	s_and_saveexec_b64 s[2:3], vcc
	s_cbranch_execz .LBB6899_27
; %bb.26:
	v_lshlrev_b32_e32 v11, 1, v0
	v_lshrrev_b32_e32 v12, 4, v0
	v_add_lshl_u32 v11, v12, v11, 2
	ds_read2_b32 v[12:13], v11 offset1:1
	v_mbcnt_lo_u32_b32 v14, -1, 0
	v_mbcnt_hi_u32_b32 v14, -1, v14
	v_and_b32_e32 v15, 15, v14
	v_cmp_ne_u32_e64 s[0:1], 0, v15
	s_waitcnt lgkmcnt(0)
	v_add_u32_e32 v13, v13, v12
	; wave barrier
	s_nop 1
	v_mov_b32_dpp v16, v13 row_shr:1 row_mask:0xf bank_mask:0xf
	v_cndmask_b32_e64 v16, 0, v16, s[0:1]
	v_add_u32_e32 v13, v16, v13
	v_cmp_lt_u32_e64 s[0:1], 1, v15
	s_nop 0
	v_mov_b32_dpp v16, v13 row_shr:2 row_mask:0xf bank_mask:0xf
	v_cndmask_b32_e64 v16, 0, v16, s[0:1]
	v_add_u32_e32 v13, v13, v16
	v_cmp_lt_u32_e64 s[0:1], 3, v15
	;; [unrolled: 5-line block ×3, first 2 shown]
	s_nop 0
	v_mov_b32_dpp v16, v13 row_shr:8 row_mask:0xf bank_mask:0xf
	v_cndmask_b32_e64 v15, 0, v16, s[0:1]
	v_add_u32_e32 v13, v13, v15
	v_bfe_i32 v16, v14, 4, 1
	v_cmp_lt_u32_e64 s[0:1], 31, v14
	v_mov_b32_dpp v15, v13 row_bcast:15 row_mask:0xf bank_mask:0xf
	v_and_b32_e32 v15, v16, v15
	v_add_u32_e32 v13, v13, v15
	v_and_b32_e32 v16, 64, v14
	s_nop 0
	v_mov_b32_dpp v15, v13 row_bcast:31 row_mask:0xf bank_mask:0xf
	v_cndmask_b32_e64 v15, 0, v15, s[0:1]
	v_add_u32_e32 v13, v13, v15
	v_add_u32_e32 v15, -1, v14
	v_cmp_lt_i32_e64 s[0:1], v15, v16
	v_cndmask_b32_e64 v14, v15, v14, s[0:1]
	v_lshlrev_b32_e32 v14, 2, v14
	ds_bpermute_b32 v13, v14, v13
	v_cmp_eq_u32_e64 s[0:1], 0, v0
	s_waitcnt lgkmcnt(0)
	v_add_u32_e32 v12, v13, v12
	v_cndmask_b32_e64 v10, v12, v10, s[0:1]
	ds_write_b32 v11, v10
	; wave barrier
	ds_read_b32 v12, v11 offset:4
	s_waitcnt lgkmcnt(0)
	v_add_u32_e32 v10, v12, v10
	ds_write_b32 v11, v10 offset:4
.LBB6899_27:
	s_or_b64 exec, exec, s[2:3]
	v_cmp_eq_u32_e64 s[0:1], 0, v0
	v_cmp_ne_u32_e64 s[2:3], 0, v0
	v_mov_b32_e32 v22, 0
	s_waitcnt lgkmcnt(0)
	s_barrier
	s_and_saveexec_b64 s[8:9], s[2:3]
	s_cbranch_execz .LBB6899_29
; %bb.28:
	v_add_u32_e32 v10, -1, v0
	v_lshrrev_b32_e32 v11, 5, v10
	v_add_lshl_u32 v10, v11, v10, 2
	ds_read_b32 v22, v10
.LBB6899_29:
	s_or_b64 exec, exec, s[8:9]
	s_and_saveexec_b64 s[8:9], vcc
	s_cbranch_execz .LBB6899_48
; %bb.30:
	v_mov_b32_e32 v17, 0
	ds_read_b32 v10, v17 offset:520
	v_mbcnt_lo_u32_b32 v11, -1, 0
	v_mbcnt_hi_u32_b32 v13, -1, v11
	s_mov_b32 s23, 0
	v_cmp_eq_u32_e64 s[2:3], 0, v13
	s_and_saveexec_b64 s[10:11], s[2:3]
	s_cbranch_execz .LBB6899_32
; %bb.31:
	s_add_i32 s22, s6, 64
	s_lshl_b64 s[22:23], s[22:23], 3
	s_add_u32 s22, s20, s22
	v_mov_b32_e32 v11, 1
	s_addc_u32 s23, s21, s23
	s_waitcnt lgkmcnt(0)
	global_store_dwordx2 v17, v[10:11], s[22:23]
.LBB6899_32:
	s_or_b64 exec, exec, s[10:11]
	v_xad_u32 v12, v13, -1, s6
	v_add_u32_e32 v16, 64, v12
	v_lshlrev_b64 v[14:15], 3, v[16:17]
	v_mov_b32_e32 v11, s21
	v_add_co_u32_e32 v20, vcc, s20, v14
	v_addc_co_u32_e32 v21, vcc, v11, v15, vcc
	global_load_dwordx2 v[14:15], v[20:21], off glc
	s_waitcnt vmcnt(0)
	v_cmp_eq_u16_sdwa s[22:23], v15, v17 src0_sel:BYTE_0 src1_sel:DWORD
	s_and_saveexec_b64 s[10:11], s[22:23]
	s_cbranch_execz .LBB6899_36
; %bb.33:
	s_mov_b64 s[22:23], 0
	v_mov_b32_e32 v11, 0
.LBB6899_34:                            ; =>This Inner Loop Header: Depth=1
	global_load_dwordx2 v[14:15], v[20:21], off glc
	s_waitcnt vmcnt(0)
	v_cmp_ne_u16_sdwa s[26:27], v15, v11 src0_sel:BYTE_0 src1_sel:DWORD
	s_or_b64 s[22:23], s[26:27], s[22:23]
	s_andn2_b64 exec, exec, s[22:23]
	s_cbranch_execnz .LBB6899_34
; %bb.35:
	s_or_b64 exec, exec, s[22:23]
.LBB6899_36:
	s_or_b64 exec, exec, s[10:11]
	v_and_b32_e32 v23, 63, v13
	v_mov_b32_e32 v11, 2
	v_cmp_ne_u32_e32 vcc, 63, v23
	v_cmp_eq_u16_sdwa s[10:11], v15, v11 src0_sel:BYTE_0 src1_sel:DWORD
	v_lshlrev_b64 v[16:17], v13, -1
	v_addc_co_u32_e32 v24, vcc, 0, v13, vcc
	v_and_b32_e32 v20, s11, v17
	v_lshlrev_b32_e32 v24, 2, v24
	v_or_b32_e32 v20, 0x80000000, v20
	ds_bpermute_b32 v25, v24, v14
	v_and_b32_e32 v21, s10, v16
	v_ffbl_b32_e32 v20, v20
	v_add_u32_e32 v20, 32, v20
	v_ffbl_b32_e32 v21, v21
	v_min_u32_e32 v20, v21, v20
	v_cmp_lt_u32_e32 vcc, v23, v20
	s_waitcnt lgkmcnt(0)
	v_cndmask_b32_e32 v21, 0, v25, vcc
	v_cmp_gt_u32_e32 vcc, 62, v23
	v_add_u32_e32 v14, v21, v14
	v_cndmask_b32_e64 v21, 0, 1, vcc
	v_lshlrev_b32_e32 v21, 1, v21
	v_add_lshl_u32 v25, v21, v13, 2
	ds_bpermute_b32 v21, v25, v14
	v_add_u32_e32 v29, 2, v23
	v_cmp_le_u32_e32 vcc, v29, v20
	v_add_u32_e32 v31, 4, v23
	v_add_u32_e32 v33, 8, v23
	s_waitcnt lgkmcnt(0)
	v_cndmask_b32_e32 v21, 0, v21, vcc
	v_cmp_gt_u32_e32 vcc, 60, v23
	v_add_u32_e32 v14, v14, v21
	v_cndmask_b32_e64 v21, 0, 1, vcc
	v_lshlrev_b32_e32 v21, 2, v21
	v_add_lshl_u32 v30, v21, v13, 2
	ds_bpermute_b32 v21, v30, v14
	v_cmp_le_u32_e32 vcc, v31, v20
	v_add_u32_e32 v36, 16, v23
	v_add_u32_e32 v38, 32, v23
	s_waitcnt lgkmcnt(0)
	v_cndmask_b32_e32 v21, 0, v21, vcc
	v_cmp_gt_u32_e32 vcc, 56, v23
	v_add_u32_e32 v14, v14, v21
	v_cndmask_b32_e64 v21, 0, 1, vcc
	v_lshlrev_b32_e32 v21, 3, v21
	v_add_lshl_u32 v32, v21, v13, 2
	ds_bpermute_b32 v21, v32, v14
	v_cmp_le_u32_e32 vcc, v33, v20
	s_waitcnt lgkmcnt(0)
	v_cndmask_b32_e32 v21, 0, v21, vcc
	v_cmp_gt_u32_e32 vcc, 48, v23
	v_add_u32_e32 v14, v14, v21
	v_cndmask_b32_e64 v21, 0, 1, vcc
	v_lshlrev_b32_e32 v21, 4, v21
	v_add_lshl_u32 v35, v21, v13, 2
	ds_bpermute_b32 v21, v35, v14
	v_cmp_le_u32_e32 vcc, v36, v20
	;; [unrolled: 9-line block ×3, first 2 shown]
	s_waitcnt lgkmcnt(0)
	v_cndmask_b32_e32 v13, 0, v13, vcc
	v_add_u32_e32 v14, v14, v13
	v_mov_b32_e32 v13, 0
	s_branch .LBB6899_38
.LBB6899_37:                            ;   in Loop: Header=BB6899_38 Depth=1
	s_or_b64 exec, exec, s[10:11]
	v_cmp_eq_u16_sdwa s[10:11], v15, v11 src0_sel:BYTE_0 src1_sel:DWORD
	v_and_b32_e32 v20, s11, v17
	v_or_b32_e32 v20, 0x80000000, v20
	ds_bpermute_b32 v39, v24, v14
	v_and_b32_e32 v21, s10, v16
	v_ffbl_b32_e32 v20, v20
	v_add_u32_e32 v20, 32, v20
	v_ffbl_b32_e32 v21, v21
	v_min_u32_e32 v20, v21, v20
	v_cmp_lt_u32_e32 vcc, v23, v20
	s_waitcnt lgkmcnt(0)
	v_cndmask_b32_e32 v21, 0, v39, vcc
	v_add_u32_e32 v14, v21, v14
	ds_bpermute_b32 v21, v25, v14
	v_cmp_le_u32_e32 vcc, v29, v20
	v_subrev_u32_e32 v12, 64, v12
	s_waitcnt lgkmcnt(0)
	v_cndmask_b32_e32 v21, 0, v21, vcc
	v_add_u32_e32 v14, v14, v21
	ds_bpermute_b32 v21, v30, v14
	v_cmp_le_u32_e32 vcc, v31, v20
	s_waitcnt lgkmcnt(0)
	v_cndmask_b32_e32 v21, 0, v21, vcc
	v_add_u32_e32 v14, v14, v21
	ds_bpermute_b32 v21, v32, v14
	v_cmp_le_u32_e32 vcc, v33, v20
	;; [unrolled: 5-line block ×4, first 2 shown]
	s_waitcnt lgkmcnt(0)
	v_cndmask_b32_e32 v20, 0, v21, vcc
	v_add3_u32 v14, v20, v34, v14
.LBB6899_38:                            ; =>This Loop Header: Depth=1
                                        ;     Child Loop BB6899_41 Depth 2
	v_cmp_ne_u16_sdwa s[10:11], v15, v11 src0_sel:BYTE_0 src1_sel:DWORD
	v_cndmask_b32_e64 v15, 0, 1, s[10:11]
	;;#ASMSTART
	;;#ASMEND
	v_cmp_ne_u32_e32 vcc, 0, v15
	s_cmp_lg_u64 vcc, exec
	v_mov_b32_e32 v34, v14
	s_cbranch_scc1 .LBB6899_43
; %bb.39:                               ;   in Loop: Header=BB6899_38 Depth=1
	v_lshlrev_b64 v[14:15], 3, v[12:13]
	v_mov_b32_e32 v21, s21
	v_add_co_u32_e32 v20, vcc, s20, v14
	v_addc_co_u32_e32 v21, vcc, v21, v15, vcc
	global_load_dwordx2 v[14:15], v[20:21], off glc
	s_waitcnt vmcnt(0)
	v_cmp_eq_u16_sdwa s[22:23], v15, v13 src0_sel:BYTE_0 src1_sel:DWORD
	s_and_saveexec_b64 s[10:11], s[22:23]
	s_cbranch_execz .LBB6899_37
; %bb.40:                               ;   in Loop: Header=BB6899_38 Depth=1
	s_mov_b64 s[22:23], 0
.LBB6899_41:                            ;   Parent Loop BB6899_38 Depth=1
                                        ; =>  This Inner Loop Header: Depth=2
	global_load_dwordx2 v[14:15], v[20:21], off glc
	s_waitcnt vmcnt(0)
	v_cmp_ne_u16_sdwa s[26:27], v15, v13 src0_sel:BYTE_0 src1_sel:DWORD
	s_or_b64 s[22:23], s[26:27], s[22:23]
	s_andn2_b64 exec, exec, s[22:23]
	s_cbranch_execnz .LBB6899_41
; %bb.42:                               ;   in Loop: Header=BB6899_38 Depth=1
	s_or_b64 exec, exec, s[22:23]
	s_branch .LBB6899_37
.LBB6899_43:                            ;   in Loop: Header=BB6899_38 Depth=1
                                        ; implicit-def: $vgpr14
                                        ; implicit-def: $vgpr15
	s_cbranch_execz .LBB6899_38
; %bb.44:
	s_and_saveexec_b64 s[10:11], s[2:3]
	s_cbranch_execz .LBB6899_46
; %bb.45:
	s_add_i32 s2, s6, 64
	s_mov_b32 s3, 0
	s_lshl_b64 s[2:3], s[2:3], 3
	s_add_u32 s2, s20, s2
	v_add_u32_e32 v10, v34, v10
	v_mov_b32_e32 v11, 2
	s_addc_u32 s3, s21, s3
	v_mov_b32_e32 v12, 0
	global_store_dwordx2 v12, v[10:11], s[2:3]
.LBB6899_46:
	s_or_b64 exec, exec, s[10:11]
	s_and_b64 exec, exec, s[0:1]
	s_cbranch_execz .LBB6899_48
; %bb.47:
	v_mov_b32_e32 v10, 0
	ds_write_b32 v10, v34
.LBB6899_48:
	s_or_b64 exec, exec, s[8:9]
	v_mov_b32_e32 v10, 0
	s_waitcnt lgkmcnt(0)
	s_barrier
	ds_read_b32 v10, v10
	s_waitcnt lgkmcnt(0)
	v_add3_u32 v10, v22, v6, v10
	v_add_u32_e32 v11, v10, v7
	v_add_u32_e32 v20, v11, v8
	;; [unrolled: 1-line block ×9, first 2 shown]
	s_load_dwordx8 s[4:11], s[4:5], 0x38
	s_branch .LBB6899_61
.LBB6899_49:
                                        ; implicit-def: $vgpr24_vgpr25
                                        ; implicit-def: $vgpr22_vgpr23
                                        ; implicit-def: $vgpr20_vgpr21
                                        ; implicit-def: $vgpr14_vgpr15_vgpr16_vgpr17
                                        ; implicit-def: $vgpr10_vgpr11_vgpr12_vgpr13
	s_load_dwordx8 s[4:11], s[4:5], 0x38
	s_cbranch_execz .LBB6899_61
; %bb.50:
	s_waitcnt lgkmcnt(0)
	s_cmp_lg_u64 s[8:9], 0
	s_cselect_b64 s[2:3], -1, 0
	v_cmp_eq_u32_e64 s[0:1], 0, v0
	v_cmp_ne_u32_e32 vcc, 0, v0
	s_and_b64 s[8:9], s[0:1], s[2:3]
	s_and_saveexec_b64 s[2:3], s[8:9]
	s_cbranch_execz .LBB6899_52
; %bb.51:
	v_mov_b32_e32 v10, 0
	global_load_dword v10, v10, s[4:5]
	s_waitcnt vmcnt(0)
	v_add_u32_e32 v6, v10, v6
.LBB6899_52:
	s_or_b64 exec, exec, s[2:3]
	v_add_u32_e32 v11, v6, v7
	v_add_u32_e32 v20, v11, v8
	;; [unrolled: 1-line block ×9, first 2 shown]
	v_add_lshl_u32 v10, v28, v0, 2
	v_cmp_gt_u32_e64 s[2:3], 64, v0
	ds_write_b32 v10, v25
	s_waitcnt lgkmcnt(0)
	s_barrier
	s_and_saveexec_b64 s[4:5], s[2:3]
	s_cbranch_execz .LBB6899_54
; %bb.53:
	v_lshlrev_b32_e32 v10, 1, v0
	v_lshrrev_b32_e32 v12, 4, v0
	v_add_lshl_u32 v10, v12, v10, 2
	ds_read2_b32 v[12:13], v10 offset1:1
	v_mbcnt_lo_u32_b32 v16, -1, 0
	v_mbcnt_hi_u32_b32 v16, -1, v16
	v_and_b32_e32 v17, 15, v16
	v_cmp_ne_u32_e64 s[2:3], 0, v17
	s_waitcnt lgkmcnt(0)
	v_add_u32_e32 v13, v13, v12
	; wave barrier
	s_nop 1
	v_mov_b32_dpp v28, v13 row_shr:1 row_mask:0xf bank_mask:0xf
	v_cndmask_b32_e64 v28, 0, v28, s[2:3]
	v_add_u32_e32 v13, v28, v13
	v_cmp_lt_u32_e64 s[2:3], 1, v17
	s_nop 0
	v_mov_b32_dpp v28, v13 row_shr:2 row_mask:0xf bank_mask:0xf
	v_cndmask_b32_e64 v28, 0, v28, s[2:3]
	v_add_u32_e32 v13, v13, v28
	v_cmp_lt_u32_e64 s[2:3], 3, v17
	;; [unrolled: 5-line block ×3, first 2 shown]
	s_nop 0
	v_mov_b32_dpp v28, v13 row_shr:8 row_mask:0xf bank_mask:0xf
	v_cndmask_b32_e64 v17, 0, v28, s[2:3]
	v_add_u32_e32 v13, v13, v17
	v_bfe_i32 v28, v16, 4, 1
	v_cmp_lt_u32_e64 s[2:3], 31, v16
	v_mov_b32_dpp v17, v13 row_bcast:15 row_mask:0xf bank_mask:0xf
	v_and_b32_e32 v17, v28, v17
	v_add_u32_e32 v13, v13, v17
	v_and_b32_e32 v28, 64, v16
	s_nop 0
	v_mov_b32_dpp v17, v13 row_bcast:31 row_mask:0xf bank_mask:0xf
	v_cndmask_b32_e64 v17, 0, v17, s[2:3]
	v_add_u32_e32 v13, v13, v17
	v_add_u32_e32 v17, -1, v16
	v_cmp_lt_i32_e64 s[2:3], v17, v28
	v_cndmask_b32_e64 v16, v17, v16, s[2:3]
	v_lshlrev_b32_e32 v16, 2, v16
	ds_bpermute_b32 v13, v16, v13
	s_waitcnt lgkmcnt(0)
	v_add_u32_e32 v12, v13, v12
	v_cndmask_b32_e64 v12, v12, v25, s[0:1]
	ds_write_b32 v10, v12
	; wave barrier
	ds_read_b32 v13, v10 offset:4
	s_waitcnt lgkmcnt(0)
	v_add_u32_e32 v12, v13, v12
	ds_write_b32 v10, v12 offset:4
.LBB6899_54:
	s_or_b64 exec, exec, s[4:5]
	v_mov_b32_e32 v12, v25
	s_waitcnt lgkmcnt(0)
	s_barrier
	s_and_saveexec_b64 s[0:1], vcc
	s_cbranch_execz .LBB6899_56
; %bb.55:
	v_add_u32_e32 v10, -1, v0
	v_lshrrev_b32_e32 v12, 5, v10
	v_add_lshl_u32 v10, v12, v10, 2
	ds_read_b32 v12, v10
.LBB6899_56:
	s_or_b64 exec, exec, s[0:1]
	v_mov_b32_e32 v10, v6
	s_and_saveexec_b64 s[0:1], vcc
	s_cbranch_execz .LBB6899_58
; %bb.57:
	s_waitcnt lgkmcnt(0)
	v_add_u32_e32 v10, v12, v6
	v_add_u32_e32 v11, v10, v7
	;; [unrolled: 1-line block ×10, first 2 shown]
	;;#ASMSTART
	;;#ASMEND
.LBB6899_58:
	s_or_b64 exec, exec, s[0:1]
	s_movk_i32 s0, 0x7f
	v_cmp_eq_u32_e32 vcc, s0, v0
	s_and_saveexec_b64 s[0:1], vcc
	s_cbranch_execz .LBB6899_60
; %bb.59:
	v_mov_b32_e32 v4, 0
	v_mov_b32_e32 v3, 2
	v_mov_b32_e32 v2, v25
	global_store_dwordx2 v4, v[2:3], s[20:21] offset:512
.LBB6899_60:
	s_or_b64 exec, exec, s[0:1]
.LBB6899_61:
	s_add_u32 s0, s12, s16
	s_addc_u32 s1, s13, s17
	s_add_u32 s2, s0, s18
	s_addc_u32 s3, s1, s19
	s_mov_b64 s[0:1], -1
	s_and_b64 vcc, exec, s[14:15]
	s_waitcnt lgkmcnt(0)
	s_barrier
	s_cbranch_vccz .LBB6899_63
; %bb.62:
	ds_write2_b64 v1, v[10:11], v[20:21] offset1:1
	ds_write2_b64 v1, v[14:15], v[22:23] offset0:2 offset1:3
	ds_write_b64 v1, v[24:25] offset:32
	s_waitcnt lgkmcnt(0)
	s_barrier
	ds_read2st64_b32 v[2:3], v26 offset1:2
	ds_read2st64_b32 v[4:5], v26 offset0:4 offset1:6
	ds_read2st64_b32 v[6:7], v26 offset0:8 offset1:10
	;; [unrolled: 1-line block ×4, first 2 shown]
	v_mov_b32_e32 v17, s3
	v_add_co_u32_e32 v16, vcc, s2, v26
	v_addc_co_u32_e32 v17, vcc, 0, v17, vcc
	s_waitcnt lgkmcnt(4)
	flat_store_dword v[16:17], v2
	flat_store_dword v[16:17], v3 offset:512
	s_waitcnt lgkmcnt(0)
	flat_store_dword v[16:17], v4 offset:1024
	flat_store_dword v[16:17], v5 offset:1536
	;; [unrolled: 1-line block ×6, first 2 shown]
	v_add_co_u32_e32 v2, vcc, 0x1000, v16
	v_addc_co_u32_e32 v3, vcc, 0, v17, vcc
	flat_store_dword v[2:3], v12
	flat_store_dword v[2:3], v13 offset:512
	s_mov_b64 s[0:1], 0
.LBB6899_63:
	s_andn2_b64 vcc, exec, s[0:1]
	s_cbranch_vccnz .LBB6899_119
; %bb.64:
	ds_write2_b64 v1, v[10:11], v[20:21] offset1:1
	ds_write2_b64 v1, v[14:15], v[22:23] offset0:2 offset1:3
	ds_write_b64 v1, v[24:25] offset:32
	s_waitcnt lgkmcnt(0)
	s_barrier
	ds_read2st64_b32 v[2:3], v26 offset1:2
	ds_read2st64_b32 v[6:7], v26 offset0:4 offset1:6
	ds_read2st64_b32 v[4:5], v26 offset0:8 offset1:10
	ds_read2st64_b32 v[8:9], v26 offset0:12 offset1:14
	ds_read2st64_b32 v[10:11], v26 offset0:16 offset1:18
	v_mov_b32_e32 v13, s3
	v_add_co_u32_e32 v12, vcc, s2, v26
	v_addc_co_u32_e32 v13, vcc, 0, v13, vcc
	v_mov_b32_e32 v1, 0
	v_cmp_gt_u32_e32 vcc, s24, v0
	s_and_saveexec_b64 s[0:1], vcc
	s_cbranch_execz .LBB6899_66
; %bb.65:
	s_waitcnt lgkmcnt(0)
	flat_store_dword v[12:13], v2
.LBB6899_66:
	s_or_b64 exec, exec, s[0:1]
	v_or_b32_e32 v14, 0x80, v0
	v_cmp_gt_u32_e32 vcc, s24, v14
	s_and_saveexec_b64 s[0:1], vcc
	s_cbranch_execz .LBB6899_68
; %bb.67:
	s_waitcnt lgkmcnt(0)
	flat_store_dword v[12:13], v3 offset:512
.LBB6899_68:
	s_or_b64 exec, exec, s[0:1]
	v_or_b32_e32 v14, 0x100, v0
	v_cmp_gt_u32_e32 vcc, s24, v14
	s_and_saveexec_b64 s[0:1], vcc
	s_cbranch_execz .LBB6899_70
; %bb.69:
	s_waitcnt lgkmcnt(0)
	flat_store_dword v[12:13], v6 offset:1024
.LBB6899_70:
	;; [unrolled: 9-line block ×7, first 2 shown]
	s_or_b64 exec, exec, s[0:1]
	v_or_b32_e32 v14, 0x400, v0
	v_cmp_gt_u32_e32 vcc, s24, v14
	s_and_saveexec_b64 s[0:1], vcc
	s_cbranch_execz .LBB6899_82
; %bb.81:
	v_add_co_u32_e32 v14, vcc, 0x1000, v12
	v_addc_co_u32_e32 v15, vcc, 0, v13, vcc
	s_waitcnt lgkmcnt(0)
	flat_store_dword v[14:15], v10
.LBB6899_82:
	s_or_b64 exec, exec, s[0:1]
	v_or_b32_e32 v14, 0x480, v0
	v_cmp_gt_u32_e32 vcc, s24, v14
	s_and_saveexec_b64 s[0:1], vcc
	s_cbranch_execz .LBB6899_84
; %bb.83:
	v_add_co_u32_e32 v12, vcc, 0x1000, v12
	v_addc_co_u32_e32 v13, vcc, 0, v13, vcc
	s_waitcnt lgkmcnt(0)
	flat_store_dword v[12:13], v11 offset:512
.LBB6899_84:
	s_or_b64 exec, exec, s[0:1]
	v_cmp_lt_u64_e64 s[0:1], s[10:11], 2
	s_and_b64 vcc, exec, s[0:1]
	s_cbranch_vccnz .LBB6899_119
; %bb.85:
	s_add_u32 s0, s24, -1
	s_addc_u32 s1, s25, -1
	s_add_u32 s2, 0, 0x99986000
	s_addc_u32 s3, 0, 0x59
	s_add_i32 s3, s3, 0x19999940
	s_mul_hi_u32 s9, s2, -10
	s_sub_i32 s9, s9, s2
	s_mul_i32 s10, s3, -10
	s_mul_i32 s4, s2, -10
	s_add_i32 s9, s9, s10
	s_mul_hi_u32 s5, s3, s4
	s_mul_i32 s8, s3, s4
	s_mul_i32 s11, s2, s9
	s_mul_hi_u32 s4, s2, s4
	s_mul_hi_u32 s10, s2, s9
	s_add_u32 s4, s4, s11
	s_addc_u32 s10, 0, s10
	s_add_u32 s4, s4, s8
	s_mul_hi_u32 s11, s3, s9
	s_addc_u32 s4, s10, s5
	s_addc_u32 s5, s11, 0
	s_mul_i32 s8, s3, s9
	s_add_u32 s4, s4, s8
	v_mov_b32_e32 v12, s4
	s_addc_u32 s5, 0, s5
	v_add_co_u32_e32 v12, vcc, s2, v12
	s_cmp_lg_u64 vcc, 0
	s_addc_u32 s2, s3, s5
	v_readfirstlane_b32 s5, v12
	s_mul_i32 s4, s0, s2
	s_mul_hi_u32 s8, s0, s5
	s_mul_hi_u32 s3, s0, s2
	s_add_u32 s4, s8, s4
	s_addc_u32 s3, 0, s3
	s_mul_hi_u32 s9, s1, s5
	s_mul_i32 s5, s1, s5
	s_add_u32 s4, s4, s5
	s_mul_hi_u32 s8, s1, s2
	s_addc_u32 s3, s3, s9
	s_addc_u32 s4, s8, 0
	s_mul_i32 s2, s1, s2
	s_add_u32 s2, s3, s2
	s_addc_u32 s3, 0, s4
	s_add_u32 s4, s2, 1
	s_addc_u32 s5, s3, 0
	s_add_u32 s8, s2, 2
	s_mul_i32 s10, s3, 10
	s_mul_hi_u32 s11, s2, 10
	s_addc_u32 s9, s3, 0
	s_add_i32 s11, s11, s10
	s_mul_i32 s10, s2, 10
	v_mov_b32_e32 v12, s10
	v_sub_co_u32_e32 v12, vcc, s0, v12
	s_cmp_lg_u64 vcc, 0
	s_subb_u32 s10, s1, s11
	v_subrev_co_u32_e32 v13, vcc, 10, v12
	s_cmp_lg_u64 vcc, 0
	s_subb_u32 s11, s10, 0
	v_readfirstlane_b32 s12, v13
	s_cmp_gt_u32 s12, 9
	s_cselect_b32 s12, -1, 0
	s_cmp_eq_u32 s11, 0
	s_cselect_b32 s11, s12, -1
	s_cmp_lg_u32 s11, 0
	s_cselect_b32 s4, s8, s4
	v_readfirstlane_b32 s8, v12
	s_cselect_b32 s5, s9, s5
	s_cmp_gt_u32 s8, 9
	s_cselect_b32 s8, -1, 0
	s_cmp_eq_u32 s10, 0
	s_cselect_b32 s8, s8, -1
	s_cmp_lg_u32 s8, 0
	s_cselect_b32 s3, s5, s3
	s_cselect_b32 s2, s4, s2
	v_cmp_eq_u64_e32 vcc, s[2:3], v[0:1]
	s_and_saveexec_b64 s[2:3], vcc
	s_cbranch_execz .LBB6899_119
; %bb.86:
	v_mul_hi_u32_u24_e32 v1, 10, v0
	v_mov_b32_e32 v12, s1
	v_sub_co_u32_e32 v0, vcc, s0, v27
	v_subb_co_u32_e32 v1, vcc, v12, v1, vcc
	v_cmp_lt_i64_e32 vcc, 4, v[0:1]
	s_and_saveexec_b64 s[0:1], vcc
	s_xor_b64 s[0:1], exec, s[0:1]
	s_cbranch_execz .LBB6899_104
; %bb.87:
	v_cmp_lt_i64_e32 vcc, 6, v[0:1]
	s_and_saveexec_b64 s[2:3], vcc
	s_xor_b64 s[2:3], exec, s[2:3]
	s_cbranch_execz .LBB6899_97
; %bb.88:
	;; [unrolled: 5-line block ×4, first 2 shown]
	v_mov_b32_e32 v0, 0
	s_waitcnt lgkmcnt(0)
	global_store_dword v0, v11, s[6:7]
                                        ; implicit-def: $vgpr10_vgpr11
.LBB6899_91:
	s_andn2_saveexec_b64 s[8:9], s[8:9]
	s_cbranch_execz .LBB6899_93
; %bb.92:
	v_mov_b32_e32 v0, 0
	s_waitcnt lgkmcnt(0)
	global_store_dword v0, v10, s[6:7]
.LBB6899_93:
	s_or_b64 exec, exec, s[8:9]
                                        ; implicit-def: $vgpr8_vgpr9
.LBB6899_94:
	s_andn2_saveexec_b64 s[4:5], s[4:5]
	s_cbranch_execz .LBB6899_96
; %bb.95:
	v_mov_b32_e32 v0, 0
	s_waitcnt lgkmcnt(0)
	global_store_dword v0, v9, s[6:7]
.LBB6899_96:
	s_or_b64 exec, exec, s[4:5]
                                        ; implicit-def: $vgpr4_vgpr5
                                        ; implicit-def: $vgpr0_vgpr1
                                        ; implicit-def: $vgpr8_vgpr9
.LBB6899_97:
	s_andn2_saveexec_b64 s[2:3], s[2:3]
	s_cbranch_execz .LBB6899_103
; %bb.98:
	v_cmp_lt_i64_e32 vcc, 5, v[0:1]
	s_and_saveexec_b64 s[4:5], vcc
	s_xor_b64 s[4:5], exec, s[4:5]
	s_cbranch_execz .LBB6899_100
; %bb.99:
	v_mov_b32_e32 v0, 0
	s_waitcnt lgkmcnt(0)
	global_store_dword v0, v8, s[6:7]
                                        ; implicit-def: $vgpr4_vgpr5
.LBB6899_100:
	s_andn2_saveexec_b64 s[4:5], s[4:5]
	s_cbranch_execz .LBB6899_102
; %bb.101:
	v_mov_b32_e32 v0, 0
	s_waitcnt lgkmcnt(0)
	global_store_dword v0, v5, s[6:7]
.LBB6899_102:
	s_or_b64 exec, exec, s[4:5]
.LBB6899_103:
	s_or_b64 exec, exec, s[2:3]
                                        ; implicit-def: $vgpr0_vgpr1
                                        ; implicit-def: $vgpr6_vgpr7
                                        ; implicit-def: $vgpr2_vgpr3
                                        ; implicit-def: $vgpr4_vgpr5
.LBB6899_104:
	s_andn2_saveexec_b64 s[0:1], s[0:1]
	s_cbranch_execz .LBB6899_119
; %bb.105:
	v_cmp_lt_i64_e32 vcc, 2, v[0:1]
	s_and_saveexec_b64 s[0:1], vcc
	s_xor_b64 s[0:1], exec, s[0:1]
	s_cbranch_execz .LBB6899_111
; %bb.106:
	v_cmp_lt_i64_e32 vcc, 3, v[0:1]
	s_and_saveexec_b64 s[2:3], vcc
	s_xor_b64 s[2:3], exec, s[2:3]
	s_cbranch_execz .LBB6899_108
; %bb.107:
	v_mov_b32_e32 v0, 0
	s_waitcnt lgkmcnt(0)
	global_store_dword v0, v4, s[6:7]
                                        ; implicit-def: $vgpr6_vgpr7
.LBB6899_108:
	s_andn2_saveexec_b64 s[2:3], s[2:3]
	s_cbranch_execz .LBB6899_110
; %bb.109:
	v_mov_b32_e32 v0, 0
	s_waitcnt lgkmcnt(0)
	global_store_dword v0, v7, s[6:7]
.LBB6899_110:
	s_or_b64 exec, exec, s[2:3]
                                        ; implicit-def: $vgpr0_vgpr1
                                        ; implicit-def: $vgpr6_vgpr7
                                        ; implicit-def: $vgpr2_vgpr3
.LBB6899_111:
	s_andn2_saveexec_b64 s[0:1], s[0:1]
	s_cbranch_execz .LBB6899_119
; %bb.112:
	v_cmp_lt_i64_e32 vcc, 1, v[0:1]
	s_and_saveexec_b64 s[0:1], vcc
	s_xor_b64 s[0:1], exec, s[0:1]
	s_cbranch_execz .LBB6899_114
; %bb.113:
	v_mov_b32_e32 v0, 0
	s_waitcnt lgkmcnt(0)
	global_store_dword v0, v6, s[6:7]
                                        ; implicit-def: $vgpr2_vgpr3
                                        ; implicit-def: $vgpr0_vgpr1
.LBB6899_114:
	s_andn2_saveexec_b64 s[0:1], s[0:1]
	s_cbranch_execz .LBB6899_119
; %bb.115:
	v_cmp_ne_u64_e32 vcc, 1, v[0:1]
	s_and_saveexec_b64 s[0:1], vcc
	s_xor_b64 s[0:1], exec, s[0:1]
	s_cbranch_execz .LBB6899_117
; %bb.116:
	v_mov_b32_e32 v0, 0
	s_waitcnt lgkmcnt(0)
	global_store_dword v0, v2, s[6:7]
                                        ; implicit-def: $vgpr2_vgpr3
.LBB6899_117:
	s_andn2_saveexec_b64 s[0:1], s[0:1]
	s_cbranch_execz .LBB6899_119
; %bb.118:
	v_mov_b32_e32 v0, 0
	s_waitcnt lgkmcnt(0)
	global_store_dword v0, v3, s[6:7]
.LBB6899_119:
	s_endpgm
	.section	.rodata,"a",@progbits
	.p2align	6, 0x0
	.amdhsa_kernel _ZN7rocprim17ROCPRIM_400000_NS6detail17trampoline_kernelINS0_14default_configENS1_20scan_config_selectorI3IntEEZZNS1_9scan_implILNS1_25lookback_scan_determinismE0ELb0ELb0ES3_N6thrust23THRUST_200600_302600_NS6detail15normal_iteratorINSA_10device_ptrIKS5_EEEENSC_INSD_IS5_EEEES5_NSA_4plusIvEES5_EEDaPvRmT3_T4_T5_mT6_P12ihipStream_tbENKUlT_T0_E_clISt17integral_constantIbLb0EESY_EEDaST_SU_EUlST_E_NS1_11comp_targetILNS1_3genE4ELNS1_11target_archE910ELNS1_3gpuE8ELNS1_3repE0EEENS1_30default_config_static_selectorELNS0_4arch9wavefront6targetE1EEEvT1_
		.amdhsa_group_segment_fixed_size 5120
		.amdhsa_private_segment_fixed_size 0
		.amdhsa_kernarg_size 96
		.amdhsa_user_sgpr_count 6
		.amdhsa_user_sgpr_private_segment_buffer 1
		.amdhsa_user_sgpr_dispatch_ptr 0
		.amdhsa_user_sgpr_queue_ptr 0
		.amdhsa_user_sgpr_kernarg_segment_ptr 1
		.amdhsa_user_sgpr_dispatch_id 0
		.amdhsa_user_sgpr_flat_scratch_init 0
		.amdhsa_user_sgpr_kernarg_preload_length 0
		.amdhsa_user_sgpr_kernarg_preload_offset 0
		.amdhsa_user_sgpr_private_segment_size 0
		.amdhsa_uses_dynamic_stack 0
		.amdhsa_system_sgpr_private_segment_wavefront_offset 0
		.amdhsa_system_sgpr_workgroup_id_x 1
		.amdhsa_system_sgpr_workgroup_id_y 0
		.amdhsa_system_sgpr_workgroup_id_z 0
		.amdhsa_system_sgpr_workgroup_info 0
		.amdhsa_system_vgpr_workitem_id 0
		.amdhsa_next_free_vgpr 40
		.amdhsa_next_free_sgpr 28
		.amdhsa_accum_offset 40
		.amdhsa_reserve_vcc 1
		.amdhsa_reserve_flat_scratch 0
		.amdhsa_float_round_mode_32 0
		.amdhsa_float_round_mode_16_64 0
		.amdhsa_float_denorm_mode_32 3
		.amdhsa_float_denorm_mode_16_64 3
		.amdhsa_dx10_clamp 1
		.amdhsa_ieee_mode 1
		.amdhsa_fp16_overflow 0
		.amdhsa_tg_split 0
		.amdhsa_exception_fp_ieee_invalid_op 0
		.amdhsa_exception_fp_denorm_src 0
		.amdhsa_exception_fp_ieee_div_zero 0
		.amdhsa_exception_fp_ieee_overflow 0
		.amdhsa_exception_fp_ieee_underflow 0
		.amdhsa_exception_fp_ieee_inexact 0
		.amdhsa_exception_int_div_zero 0
	.end_amdhsa_kernel
	.section	.text._ZN7rocprim17ROCPRIM_400000_NS6detail17trampoline_kernelINS0_14default_configENS1_20scan_config_selectorI3IntEEZZNS1_9scan_implILNS1_25lookback_scan_determinismE0ELb0ELb0ES3_N6thrust23THRUST_200600_302600_NS6detail15normal_iteratorINSA_10device_ptrIKS5_EEEENSC_INSD_IS5_EEEES5_NSA_4plusIvEES5_EEDaPvRmT3_T4_T5_mT6_P12ihipStream_tbENKUlT_T0_E_clISt17integral_constantIbLb0EESY_EEDaST_SU_EUlST_E_NS1_11comp_targetILNS1_3genE4ELNS1_11target_archE910ELNS1_3gpuE8ELNS1_3repE0EEENS1_30default_config_static_selectorELNS0_4arch9wavefront6targetE1EEEvT1_,"axG",@progbits,_ZN7rocprim17ROCPRIM_400000_NS6detail17trampoline_kernelINS0_14default_configENS1_20scan_config_selectorI3IntEEZZNS1_9scan_implILNS1_25lookback_scan_determinismE0ELb0ELb0ES3_N6thrust23THRUST_200600_302600_NS6detail15normal_iteratorINSA_10device_ptrIKS5_EEEENSC_INSD_IS5_EEEES5_NSA_4plusIvEES5_EEDaPvRmT3_T4_T5_mT6_P12ihipStream_tbENKUlT_T0_E_clISt17integral_constantIbLb0EESY_EEDaST_SU_EUlST_E_NS1_11comp_targetILNS1_3genE4ELNS1_11target_archE910ELNS1_3gpuE8ELNS1_3repE0EEENS1_30default_config_static_selectorELNS0_4arch9wavefront6targetE1EEEvT1_,comdat
.Lfunc_end6899:
	.size	_ZN7rocprim17ROCPRIM_400000_NS6detail17trampoline_kernelINS0_14default_configENS1_20scan_config_selectorI3IntEEZZNS1_9scan_implILNS1_25lookback_scan_determinismE0ELb0ELb0ES3_N6thrust23THRUST_200600_302600_NS6detail15normal_iteratorINSA_10device_ptrIKS5_EEEENSC_INSD_IS5_EEEES5_NSA_4plusIvEES5_EEDaPvRmT3_T4_T5_mT6_P12ihipStream_tbENKUlT_T0_E_clISt17integral_constantIbLb0EESY_EEDaST_SU_EUlST_E_NS1_11comp_targetILNS1_3genE4ELNS1_11target_archE910ELNS1_3gpuE8ELNS1_3repE0EEENS1_30default_config_static_selectorELNS0_4arch9wavefront6targetE1EEEvT1_, .Lfunc_end6899-_ZN7rocprim17ROCPRIM_400000_NS6detail17trampoline_kernelINS0_14default_configENS1_20scan_config_selectorI3IntEEZZNS1_9scan_implILNS1_25lookback_scan_determinismE0ELb0ELb0ES3_N6thrust23THRUST_200600_302600_NS6detail15normal_iteratorINSA_10device_ptrIKS5_EEEENSC_INSD_IS5_EEEES5_NSA_4plusIvEES5_EEDaPvRmT3_T4_T5_mT6_P12ihipStream_tbENKUlT_T0_E_clISt17integral_constantIbLb0EESY_EEDaST_SU_EUlST_E_NS1_11comp_targetILNS1_3genE4ELNS1_11target_archE910ELNS1_3gpuE8ELNS1_3repE0EEENS1_30default_config_static_selectorELNS0_4arch9wavefront6targetE1EEEvT1_
                                        ; -- End function
	.section	.AMDGPU.csdata,"",@progbits
; Kernel info:
; codeLenInByte = 4460
; NumSgprs: 32
; NumVgprs: 40
; NumAgprs: 0
; TotalNumVgprs: 40
; ScratchSize: 0
; MemoryBound: 0
; FloatMode: 240
; IeeeMode: 1
; LDSByteSize: 5120 bytes/workgroup (compile time only)
; SGPRBlocks: 3
; VGPRBlocks: 4
; NumSGPRsForWavesPerEU: 32
; NumVGPRsForWavesPerEU: 40
; AccumOffset: 40
; Occupancy: 6
; WaveLimiterHint : 1
; COMPUTE_PGM_RSRC2:SCRATCH_EN: 0
; COMPUTE_PGM_RSRC2:USER_SGPR: 6
; COMPUTE_PGM_RSRC2:TRAP_HANDLER: 0
; COMPUTE_PGM_RSRC2:TGID_X_EN: 1
; COMPUTE_PGM_RSRC2:TGID_Y_EN: 0
; COMPUTE_PGM_RSRC2:TGID_Z_EN: 0
; COMPUTE_PGM_RSRC2:TIDIG_COMP_CNT: 0
; COMPUTE_PGM_RSRC3_GFX90A:ACCUM_OFFSET: 9
; COMPUTE_PGM_RSRC3_GFX90A:TG_SPLIT: 0
	.section	.text._ZN7rocprim17ROCPRIM_400000_NS6detail17trampoline_kernelINS0_14default_configENS1_20scan_config_selectorI3IntEEZZNS1_9scan_implILNS1_25lookback_scan_determinismE0ELb0ELb0ES3_N6thrust23THRUST_200600_302600_NS6detail15normal_iteratorINSA_10device_ptrIKS5_EEEENSC_INSD_IS5_EEEES5_NSA_4plusIvEES5_EEDaPvRmT3_T4_T5_mT6_P12ihipStream_tbENKUlT_T0_E_clISt17integral_constantIbLb0EESY_EEDaST_SU_EUlST_E_NS1_11comp_targetILNS1_3genE3ELNS1_11target_archE908ELNS1_3gpuE7ELNS1_3repE0EEENS1_30default_config_static_selectorELNS0_4arch9wavefront6targetE1EEEvT1_,"axG",@progbits,_ZN7rocprim17ROCPRIM_400000_NS6detail17trampoline_kernelINS0_14default_configENS1_20scan_config_selectorI3IntEEZZNS1_9scan_implILNS1_25lookback_scan_determinismE0ELb0ELb0ES3_N6thrust23THRUST_200600_302600_NS6detail15normal_iteratorINSA_10device_ptrIKS5_EEEENSC_INSD_IS5_EEEES5_NSA_4plusIvEES5_EEDaPvRmT3_T4_T5_mT6_P12ihipStream_tbENKUlT_T0_E_clISt17integral_constantIbLb0EESY_EEDaST_SU_EUlST_E_NS1_11comp_targetILNS1_3genE3ELNS1_11target_archE908ELNS1_3gpuE7ELNS1_3repE0EEENS1_30default_config_static_selectorELNS0_4arch9wavefront6targetE1EEEvT1_,comdat
	.protected	_ZN7rocprim17ROCPRIM_400000_NS6detail17trampoline_kernelINS0_14default_configENS1_20scan_config_selectorI3IntEEZZNS1_9scan_implILNS1_25lookback_scan_determinismE0ELb0ELb0ES3_N6thrust23THRUST_200600_302600_NS6detail15normal_iteratorINSA_10device_ptrIKS5_EEEENSC_INSD_IS5_EEEES5_NSA_4plusIvEES5_EEDaPvRmT3_T4_T5_mT6_P12ihipStream_tbENKUlT_T0_E_clISt17integral_constantIbLb0EESY_EEDaST_SU_EUlST_E_NS1_11comp_targetILNS1_3genE3ELNS1_11target_archE908ELNS1_3gpuE7ELNS1_3repE0EEENS1_30default_config_static_selectorELNS0_4arch9wavefront6targetE1EEEvT1_ ; -- Begin function _ZN7rocprim17ROCPRIM_400000_NS6detail17trampoline_kernelINS0_14default_configENS1_20scan_config_selectorI3IntEEZZNS1_9scan_implILNS1_25lookback_scan_determinismE0ELb0ELb0ES3_N6thrust23THRUST_200600_302600_NS6detail15normal_iteratorINSA_10device_ptrIKS5_EEEENSC_INSD_IS5_EEEES5_NSA_4plusIvEES5_EEDaPvRmT3_T4_T5_mT6_P12ihipStream_tbENKUlT_T0_E_clISt17integral_constantIbLb0EESY_EEDaST_SU_EUlST_E_NS1_11comp_targetILNS1_3genE3ELNS1_11target_archE908ELNS1_3gpuE7ELNS1_3repE0EEENS1_30default_config_static_selectorELNS0_4arch9wavefront6targetE1EEEvT1_
	.globl	_ZN7rocprim17ROCPRIM_400000_NS6detail17trampoline_kernelINS0_14default_configENS1_20scan_config_selectorI3IntEEZZNS1_9scan_implILNS1_25lookback_scan_determinismE0ELb0ELb0ES3_N6thrust23THRUST_200600_302600_NS6detail15normal_iteratorINSA_10device_ptrIKS5_EEEENSC_INSD_IS5_EEEES5_NSA_4plusIvEES5_EEDaPvRmT3_T4_T5_mT6_P12ihipStream_tbENKUlT_T0_E_clISt17integral_constantIbLb0EESY_EEDaST_SU_EUlST_E_NS1_11comp_targetILNS1_3genE3ELNS1_11target_archE908ELNS1_3gpuE7ELNS1_3repE0EEENS1_30default_config_static_selectorELNS0_4arch9wavefront6targetE1EEEvT1_
	.p2align	8
	.type	_ZN7rocprim17ROCPRIM_400000_NS6detail17trampoline_kernelINS0_14default_configENS1_20scan_config_selectorI3IntEEZZNS1_9scan_implILNS1_25lookback_scan_determinismE0ELb0ELb0ES3_N6thrust23THRUST_200600_302600_NS6detail15normal_iteratorINSA_10device_ptrIKS5_EEEENSC_INSD_IS5_EEEES5_NSA_4plusIvEES5_EEDaPvRmT3_T4_T5_mT6_P12ihipStream_tbENKUlT_T0_E_clISt17integral_constantIbLb0EESY_EEDaST_SU_EUlST_E_NS1_11comp_targetILNS1_3genE3ELNS1_11target_archE908ELNS1_3gpuE7ELNS1_3repE0EEENS1_30default_config_static_selectorELNS0_4arch9wavefront6targetE1EEEvT1_,@function
_ZN7rocprim17ROCPRIM_400000_NS6detail17trampoline_kernelINS0_14default_configENS1_20scan_config_selectorI3IntEEZZNS1_9scan_implILNS1_25lookback_scan_determinismE0ELb0ELb0ES3_N6thrust23THRUST_200600_302600_NS6detail15normal_iteratorINSA_10device_ptrIKS5_EEEENSC_INSD_IS5_EEEES5_NSA_4plusIvEES5_EEDaPvRmT3_T4_T5_mT6_P12ihipStream_tbENKUlT_T0_E_clISt17integral_constantIbLb0EESY_EEDaST_SU_EUlST_E_NS1_11comp_targetILNS1_3genE3ELNS1_11target_archE908ELNS1_3gpuE7ELNS1_3repE0EEENS1_30default_config_static_selectorELNS0_4arch9wavefront6targetE1EEEvT1_: ; @_ZN7rocprim17ROCPRIM_400000_NS6detail17trampoline_kernelINS0_14default_configENS1_20scan_config_selectorI3IntEEZZNS1_9scan_implILNS1_25lookback_scan_determinismE0ELb0ELb0ES3_N6thrust23THRUST_200600_302600_NS6detail15normal_iteratorINSA_10device_ptrIKS5_EEEENSC_INSD_IS5_EEEES5_NSA_4plusIvEES5_EEDaPvRmT3_T4_T5_mT6_P12ihipStream_tbENKUlT_T0_E_clISt17integral_constantIbLb0EESY_EEDaST_SU_EUlST_E_NS1_11comp_targetILNS1_3genE3ELNS1_11target_archE908ELNS1_3gpuE7ELNS1_3repE0EEENS1_30default_config_static_selectorELNS0_4arch9wavefront6targetE1EEEvT1_
; %bb.0:
	.section	.rodata,"a",@progbits
	.p2align	6, 0x0
	.amdhsa_kernel _ZN7rocprim17ROCPRIM_400000_NS6detail17trampoline_kernelINS0_14default_configENS1_20scan_config_selectorI3IntEEZZNS1_9scan_implILNS1_25lookback_scan_determinismE0ELb0ELb0ES3_N6thrust23THRUST_200600_302600_NS6detail15normal_iteratorINSA_10device_ptrIKS5_EEEENSC_INSD_IS5_EEEES5_NSA_4plusIvEES5_EEDaPvRmT3_T4_T5_mT6_P12ihipStream_tbENKUlT_T0_E_clISt17integral_constantIbLb0EESY_EEDaST_SU_EUlST_E_NS1_11comp_targetILNS1_3genE3ELNS1_11target_archE908ELNS1_3gpuE7ELNS1_3repE0EEENS1_30default_config_static_selectorELNS0_4arch9wavefront6targetE1EEEvT1_
		.amdhsa_group_segment_fixed_size 0
		.amdhsa_private_segment_fixed_size 0
		.amdhsa_kernarg_size 96
		.amdhsa_user_sgpr_count 6
		.amdhsa_user_sgpr_private_segment_buffer 1
		.amdhsa_user_sgpr_dispatch_ptr 0
		.amdhsa_user_sgpr_queue_ptr 0
		.amdhsa_user_sgpr_kernarg_segment_ptr 1
		.amdhsa_user_sgpr_dispatch_id 0
		.amdhsa_user_sgpr_flat_scratch_init 0
		.amdhsa_user_sgpr_kernarg_preload_length 0
		.amdhsa_user_sgpr_kernarg_preload_offset 0
		.amdhsa_user_sgpr_private_segment_size 0
		.amdhsa_uses_dynamic_stack 0
		.amdhsa_system_sgpr_private_segment_wavefront_offset 0
		.amdhsa_system_sgpr_workgroup_id_x 1
		.amdhsa_system_sgpr_workgroup_id_y 0
		.amdhsa_system_sgpr_workgroup_id_z 0
		.amdhsa_system_sgpr_workgroup_info 0
		.amdhsa_system_vgpr_workitem_id 0
		.amdhsa_next_free_vgpr 1
		.amdhsa_next_free_sgpr 0
		.amdhsa_accum_offset 4
		.amdhsa_reserve_vcc 0
		.amdhsa_reserve_flat_scratch 0
		.amdhsa_float_round_mode_32 0
		.amdhsa_float_round_mode_16_64 0
		.amdhsa_float_denorm_mode_32 3
		.amdhsa_float_denorm_mode_16_64 3
		.amdhsa_dx10_clamp 1
		.amdhsa_ieee_mode 1
		.amdhsa_fp16_overflow 0
		.amdhsa_tg_split 0
		.amdhsa_exception_fp_ieee_invalid_op 0
		.amdhsa_exception_fp_denorm_src 0
		.amdhsa_exception_fp_ieee_div_zero 0
		.amdhsa_exception_fp_ieee_overflow 0
		.amdhsa_exception_fp_ieee_underflow 0
		.amdhsa_exception_fp_ieee_inexact 0
		.amdhsa_exception_int_div_zero 0
	.end_amdhsa_kernel
	.section	.text._ZN7rocprim17ROCPRIM_400000_NS6detail17trampoline_kernelINS0_14default_configENS1_20scan_config_selectorI3IntEEZZNS1_9scan_implILNS1_25lookback_scan_determinismE0ELb0ELb0ES3_N6thrust23THRUST_200600_302600_NS6detail15normal_iteratorINSA_10device_ptrIKS5_EEEENSC_INSD_IS5_EEEES5_NSA_4plusIvEES5_EEDaPvRmT3_T4_T5_mT6_P12ihipStream_tbENKUlT_T0_E_clISt17integral_constantIbLb0EESY_EEDaST_SU_EUlST_E_NS1_11comp_targetILNS1_3genE3ELNS1_11target_archE908ELNS1_3gpuE7ELNS1_3repE0EEENS1_30default_config_static_selectorELNS0_4arch9wavefront6targetE1EEEvT1_,"axG",@progbits,_ZN7rocprim17ROCPRIM_400000_NS6detail17trampoline_kernelINS0_14default_configENS1_20scan_config_selectorI3IntEEZZNS1_9scan_implILNS1_25lookback_scan_determinismE0ELb0ELb0ES3_N6thrust23THRUST_200600_302600_NS6detail15normal_iteratorINSA_10device_ptrIKS5_EEEENSC_INSD_IS5_EEEES5_NSA_4plusIvEES5_EEDaPvRmT3_T4_T5_mT6_P12ihipStream_tbENKUlT_T0_E_clISt17integral_constantIbLb0EESY_EEDaST_SU_EUlST_E_NS1_11comp_targetILNS1_3genE3ELNS1_11target_archE908ELNS1_3gpuE7ELNS1_3repE0EEENS1_30default_config_static_selectorELNS0_4arch9wavefront6targetE1EEEvT1_,comdat
.Lfunc_end6900:
	.size	_ZN7rocprim17ROCPRIM_400000_NS6detail17trampoline_kernelINS0_14default_configENS1_20scan_config_selectorI3IntEEZZNS1_9scan_implILNS1_25lookback_scan_determinismE0ELb0ELb0ES3_N6thrust23THRUST_200600_302600_NS6detail15normal_iteratorINSA_10device_ptrIKS5_EEEENSC_INSD_IS5_EEEES5_NSA_4plusIvEES5_EEDaPvRmT3_T4_T5_mT6_P12ihipStream_tbENKUlT_T0_E_clISt17integral_constantIbLb0EESY_EEDaST_SU_EUlST_E_NS1_11comp_targetILNS1_3genE3ELNS1_11target_archE908ELNS1_3gpuE7ELNS1_3repE0EEENS1_30default_config_static_selectorELNS0_4arch9wavefront6targetE1EEEvT1_, .Lfunc_end6900-_ZN7rocprim17ROCPRIM_400000_NS6detail17trampoline_kernelINS0_14default_configENS1_20scan_config_selectorI3IntEEZZNS1_9scan_implILNS1_25lookback_scan_determinismE0ELb0ELb0ES3_N6thrust23THRUST_200600_302600_NS6detail15normal_iteratorINSA_10device_ptrIKS5_EEEENSC_INSD_IS5_EEEES5_NSA_4plusIvEES5_EEDaPvRmT3_T4_T5_mT6_P12ihipStream_tbENKUlT_T0_E_clISt17integral_constantIbLb0EESY_EEDaST_SU_EUlST_E_NS1_11comp_targetILNS1_3genE3ELNS1_11target_archE908ELNS1_3gpuE7ELNS1_3repE0EEENS1_30default_config_static_selectorELNS0_4arch9wavefront6targetE1EEEvT1_
                                        ; -- End function
	.section	.AMDGPU.csdata,"",@progbits
; Kernel info:
; codeLenInByte = 0
; NumSgprs: 4
; NumVgprs: 0
; NumAgprs: 0
; TotalNumVgprs: 0
; ScratchSize: 0
; MemoryBound: 0
; FloatMode: 240
; IeeeMode: 1
; LDSByteSize: 0 bytes/workgroup (compile time only)
; SGPRBlocks: 0
; VGPRBlocks: 0
; NumSGPRsForWavesPerEU: 4
; NumVGPRsForWavesPerEU: 1
; AccumOffset: 4
; Occupancy: 8
; WaveLimiterHint : 0
; COMPUTE_PGM_RSRC2:SCRATCH_EN: 0
; COMPUTE_PGM_RSRC2:USER_SGPR: 6
; COMPUTE_PGM_RSRC2:TRAP_HANDLER: 0
; COMPUTE_PGM_RSRC2:TGID_X_EN: 1
; COMPUTE_PGM_RSRC2:TGID_Y_EN: 0
; COMPUTE_PGM_RSRC2:TGID_Z_EN: 0
; COMPUTE_PGM_RSRC2:TIDIG_COMP_CNT: 0
; COMPUTE_PGM_RSRC3_GFX90A:ACCUM_OFFSET: 0
; COMPUTE_PGM_RSRC3_GFX90A:TG_SPLIT: 0
	.section	.text._ZN7rocprim17ROCPRIM_400000_NS6detail17trampoline_kernelINS0_14default_configENS1_20scan_config_selectorI3IntEEZZNS1_9scan_implILNS1_25lookback_scan_determinismE0ELb0ELb0ES3_N6thrust23THRUST_200600_302600_NS6detail15normal_iteratorINSA_10device_ptrIKS5_EEEENSC_INSD_IS5_EEEES5_NSA_4plusIvEES5_EEDaPvRmT3_T4_T5_mT6_P12ihipStream_tbENKUlT_T0_E_clISt17integral_constantIbLb0EESY_EEDaST_SU_EUlST_E_NS1_11comp_targetILNS1_3genE2ELNS1_11target_archE906ELNS1_3gpuE6ELNS1_3repE0EEENS1_30default_config_static_selectorELNS0_4arch9wavefront6targetE1EEEvT1_,"axG",@progbits,_ZN7rocprim17ROCPRIM_400000_NS6detail17trampoline_kernelINS0_14default_configENS1_20scan_config_selectorI3IntEEZZNS1_9scan_implILNS1_25lookback_scan_determinismE0ELb0ELb0ES3_N6thrust23THRUST_200600_302600_NS6detail15normal_iteratorINSA_10device_ptrIKS5_EEEENSC_INSD_IS5_EEEES5_NSA_4plusIvEES5_EEDaPvRmT3_T4_T5_mT6_P12ihipStream_tbENKUlT_T0_E_clISt17integral_constantIbLb0EESY_EEDaST_SU_EUlST_E_NS1_11comp_targetILNS1_3genE2ELNS1_11target_archE906ELNS1_3gpuE6ELNS1_3repE0EEENS1_30default_config_static_selectorELNS0_4arch9wavefront6targetE1EEEvT1_,comdat
	.protected	_ZN7rocprim17ROCPRIM_400000_NS6detail17trampoline_kernelINS0_14default_configENS1_20scan_config_selectorI3IntEEZZNS1_9scan_implILNS1_25lookback_scan_determinismE0ELb0ELb0ES3_N6thrust23THRUST_200600_302600_NS6detail15normal_iteratorINSA_10device_ptrIKS5_EEEENSC_INSD_IS5_EEEES5_NSA_4plusIvEES5_EEDaPvRmT3_T4_T5_mT6_P12ihipStream_tbENKUlT_T0_E_clISt17integral_constantIbLb0EESY_EEDaST_SU_EUlST_E_NS1_11comp_targetILNS1_3genE2ELNS1_11target_archE906ELNS1_3gpuE6ELNS1_3repE0EEENS1_30default_config_static_selectorELNS0_4arch9wavefront6targetE1EEEvT1_ ; -- Begin function _ZN7rocprim17ROCPRIM_400000_NS6detail17trampoline_kernelINS0_14default_configENS1_20scan_config_selectorI3IntEEZZNS1_9scan_implILNS1_25lookback_scan_determinismE0ELb0ELb0ES3_N6thrust23THRUST_200600_302600_NS6detail15normal_iteratorINSA_10device_ptrIKS5_EEEENSC_INSD_IS5_EEEES5_NSA_4plusIvEES5_EEDaPvRmT3_T4_T5_mT6_P12ihipStream_tbENKUlT_T0_E_clISt17integral_constantIbLb0EESY_EEDaST_SU_EUlST_E_NS1_11comp_targetILNS1_3genE2ELNS1_11target_archE906ELNS1_3gpuE6ELNS1_3repE0EEENS1_30default_config_static_selectorELNS0_4arch9wavefront6targetE1EEEvT1_
	.globl	_ZN7rocprim17ROCPRIM_400000_NS6detail17trampoline_kernelINS0_14default_configENS1_20scan_config_selectorI3IntEEZZNS1_9scan_implILNS1_25lookback_scan_determinismE0ELb0ELb0ES3_N6thrust23THRUST_200600_302600_NS6detail15normal_iteratorINSA_10device_ptrIKS5_EEEENSC_INSD_IS5_EEEES5_NSA_4plusIvEES5_EEDaPvRmT3_T4_T5_mT6_P12ihipStream_tbENKUlT_T0_E_clISt17integral_constantIbLb0EESY_EEDaST_SU_EUlST_E_NS1_11comp_targetILNS1_3genE2ELNS1_11target_archE906ELNS1_3gpuE6ELNS1_3repE0EEENS1_30default_config_static_selectorELNS0_4arch9wavefront6targetE1EEEvT1_
	.p2align	8
	.type	_ZN7rocprim17ROCPRIM_400000_NS6detail17trampoline_kernelINS0_14default_configENS1_20scan_config_selectorI3IntEEZZNS1_9scan_implILNS1_25lookback_scan_determinismE0ELb0ELb0ES3_N6thrust23THRUST_200600_302600_NS6detail15normal_iteratorINSA_10device_ptrIKS5_EEEENSC_INSD_IS5_EEEES5_NSA_4plusIvEES5_EEDaPvRmT3_T4_T5_mT6_P12ihipStream_tbENKUlT_T0_E_clISt17integral_constantIbLb0EESY_EEDaST_SU_EUlST_E_NS1_11comp_targetILNS1_3genE2ELNS1_11target_archE906ELNS1_3gpuE6ELNS1_3repE0EEENS1_30default_config_static_selectorELNS0_4arch9wavefront6targetE1EEEvT1_,@function
_ZN7rocprim17ROCPRIM_400000_NS6detail17trampoline_kernelINS0_14default_configENS1_20scan_config_selectorI3IntEEZZNS1_9scan_implILNS1_25lookback_scan_determinismE0ELb0ELb0ES3_N6thrust23THRUST_200600_302600_NS6detail15normal_iteratorINSA_10device_ptrIKS5_EEEENSC_INSD_IS5_EEEES5_NSA_4plusIvEES5_EEDaPvRmT3_T4_T5_mT6_P12ihipStream_tbENKUlT_T0_E_clISt17integral_constantIbLb0EESY_EEDaST_SU_EUlST_E_NS1_11comp_targetILNS1_3genE2ELNS1_11target_archE906ELNS1_3gpuE6ELNS1_3repE0EEENS1_30default_config_static_selectorELNS0_4arch9wavefront6targetE1EEEvT1_: ; @_ZN7rocprim17ROCPRIM_400000_NS6detail17trampoline_kernelINS0_14default_configENS1_20scan_config_selectorI3IntEEZZNS1_9scan_implILNS1_25lookback_scan_determinismE0ELb0ELb0ES3_N6thrust23THRUST_200600_302600_NS6detail15normal_iteratorINSA_10device_ptrIKS5_EEEENSC_INSD_IS5_EEEES5_NSA_4plusIvEES5_EEDaPvRmT3_T4_T5_mT6_P12ihipStream_tbENKUlT_T0_E_clISt17integral_constantIbLb0EESY_EEDaST_SU_EUlST_E_NS1_11comp_targetILNS1_3genE2ELNS1_11target_archE906ELNS1_3gpuE6ELNS1_3repE0EEENS1_30default_config_static_selectorELNS0_4arch9wavefront6targetE1EEEvT1_
; %bb.0:
	.section	.rodata,"a",@progbits
	.p2align	6, 0x0
	.amdhsa_kernel _ZN7rocprim17ROCPRIM_400000_NS6detail17trampoline_kernelINS0_14default_configENS1_20scan_config_selectorI3IntEEZZNS1_9scan_implILNS1_25lookback_scan_determinismE0ELb0ELb0ES3_N6thrust23THRUST_200600_302600_NS6detail15normal_iteratorINSA_10device_ptrIKS5_EEEENSC_INSD_IS5_EEEES5_NSA_4plusIvEES5_EEDaPvRmT3_T4_T5_mT6_P12ihipStream_tbENKUlT_T0_E_clISt17integral_constantIbLb0EESY_EEDaST_SU_EUlST_E_NS1_11comp_targetILNS1_3genE2ELNS1_11target_archE906ELNS1_3gpuE6ELNS1_3repE0EEENS1_30default_config_static_selectorELNS0_4arch9wavefront6targetE1EEEvT1_
		.amdhsa_group_segment_fixed_size 0
		.amdhsa_private_segment_fixed_size 0
		.amdhsa_kernarg_size 96
		.amdhsa_user_sgpr_count 6
		.amdhsa_user_sgpr_private_segment_buffer 1
		.amdhsa_user_sgpr_dispatch_ptr 0
		.amdhsa_user_sgpr_queue_ptr 0
		.amdhsa_user_sgpr_kernarg_segment_ptr 1
		.amdhsa_user_sgpr_dispatch_id 0
		.amdhsa_user_sgpr_flat_scratch_init 0
		.amdhsa_user_sgpr_kernarg_preload_length 0
		.amdhsa_user_sgpr_kernarg_preload_offset 0
		.amdhsa_user_sgpr_private_segment_size 0
		.amdhsa_uses_dynamic_stack 0
		.amdhsa_system_sgpr_private_segment_wavefront_offset 0
		.amdhsa_system_sgpr_workgroup_id_x 1
		.amdhsa_system_sgpr_workgroup_id_y 0
		.amdhsa_system_sgpr_workgroup_id_z 0
		.amdhsa_system_sgpr_workgroup_info 0
		.amdhsa_system_vgpr_workitem_id 0
		.amdhsa_next_free_vgpr 1
		.amdhsa_next_free_sgpr 0
		.amdhsa_accum_offset 4
		.amdhsa_reserve_vcc 0
		.amdhsa_reserve_flat_scratch 0
		.amdhsa_float_round_mode_32 0
		.amdhsa_float_round_mode_16_64 0
		.amdhsa_float_denorm_mode_32 3
		.amdhsa_float_denorm_mode_16_64 3
		.amdhsa_dx10_clamp 1
		.amdhsa_ieee_mode 1
		.amdhsa_fp16_overflow 0
		.amdhsa_tg_split 0
		.amdhsa_exception_fp_ieee_invalid_op 0
		.amdhsa_exception_fp_denorm_src 0
		.amdhsa_exception_fp_ieee_div_zero 0
		.amdhsa_exception_fp_ieee_overflow 0
		.amdhsa_exception_fp_ieee_underflow 0
		.amdhsa_exception_fp_ieee_inexact 0
		.amdhsa_exception_int_div_zero 0
	.end_amdhsa_kernel
	.section	.text._ZN7rocprim17ROCPRIM_400000_NS6detail17trampoline_kernelINS0_14default_configENS1_20scan_config_selectorI3IntEEZZNS1_9scan_implILNS1_25lookback_scan_determinismE0ELb0ELb0ES3_N6thrust23THRUST_200600_302600_NS6detail15normal_iteratorINSA_10device_ptrIKS5_EEEENSC_INSD_IS5_EEEES5_NSA_4plusIvEES5_EEDaPvRmT3_T4_T5_mT6_P12ihipStream_tbENKUlT_T0_E_clISt17integral_constantIbLb0EESY_EEDaST_SU_EUlST_E_NS1_11comp_targetILNS1_3genE2ELNS1_11target_archE906ELNS1_3gpuE6ELNS1_3repE0EEENS1_30default_config_static_selectorELNS0_4arch9wavefront6targetE1EEEvT1_,"axG",@progbits,_ZN7rocprim17ROCPRIM_400000_NS6detail17trampoline_kernelINS0_14default_configENS1_20scan_config_selectorI3IntEEZZNS1_9scan_implILNS1_25lookback_scan_determinismE0ELb0ELb0ES3_N6thrust23THRUST_200600_302600_NS6detail15normal_iteratorINSA_10device_ptrIKS5_EEEENSC_INSD_IS5_EEEES5_NSA_4plusIvEES5_EEDaPvRmT3_T4_T5_mT6_P12ihipStream_tbENKUlT_T0_E_clISt17integral_constantIbLb0EESY_EEDaST_SU_EUlST_E_NS1_11comp_targetILNS1_3genE2ELNS1_11target_archE906ELNS1_3gpuE6ELNS1_3repE0EEENS1_30default_config_static_selectorELNS0_4arch9wavefront6targetE1EEEvT1_,comdat
.Lfunc_end6901:
	.size	_ZN7rocprim17ROCPRIM_400000_NS6detail17trampoline_kernelINS0_14default_configENS1_20scan_config_selectorI3IntEEZZNS1_9scan_implILNS1_25lookback_scan_determinismE0ELb0ELb0ES3_N6thrust23THRUST_200600_302600_NS6detail15normal_iteratorINSA_10device_ptrIKS5_EEEENSC_INSD_IS5_EEEES5_NSA_4plusIvEES5_EEDaPvRmT3_T4_T5_mT6_P12ihipStream_tbENKUlT_T0_E_clISt17integral_constantIbLb0EESY_EEDaST_SU_EUlST_E_NS1_11comp_targetILNS1_3genE2ELNS1_11target_archE906ELNS1_3gpuE6ELNS1_3repE0EEENS1_30default_config_static_selectorELNS0_4arch9wavefront6targetE1EEEvT1_, .Lfunc_end6901-_ZN7rocprim17ROCPRIM_400000_NS6detail17trampoline_kernelINS0_14default_configENS1_20scan_config_selectorI3IntEEZZNS1_9scan_implILNS1_25lookback_scan_determinismE0ELb0ELb0ES3_N6thrust23THRUST_200600_302600_NS6detail15normal_iteratorINSA_10device_ptrIKS5_EEEENSC_INSD_IS5_EEEES5_NSA_4plusIvEES5_EEDaPvRmT3_T4_T5_mT6_P12ihipStream_tbENKUlT_T0_E_clISt17integral_constantIbLb0EESY_EEDaST_SU_EUlST_E_NS1_11comp_targetILNS1_3genE2ELNS1_11target_archE906ELNS1_3gpuE6ELNS1_3repE0EEENS1_30default_config_static_selectorELNS0_4arch9wavefront6targetE1EEEvT1_
                                        ; -- End function
	.section	.AMDGPU.csdata,"",@progbits
; Kernel info:
; codeLenInByte = 0
; NumSgprs: 4
; NumVgprs: 0
; NumAgprs: 0
; TotalNumVgprs: 0
; ScratchSize: 0
; MemoryBound: 0
; FloatMode: 240
; IeeeMode: 1
; LDSByteSize: 0 bytes/workgroup (compile time only)
; SGPRBlocks: 0
; VGPRBlocks: 0
; NumSGPRsForWavesPerEU: 4
; NumVGPRsForWavesPerEU: 1
; AccumOffset: 4
; Occupancy: 8
; WaveLimiterHint : 0
; COMPUTE_PGM_RSRC2:SCRATCH_EN: 0
; COMPUTE_PGM_RSRC2:USER_SGPR: 6
; COMPUTE_PGM_RSRC2:TRAP_HANDLER: 0
; COMPUTE_PGM_RSRC2:TGID_X_EN: 1
; COMPUTE_PGM_RSRC2:TGID_Y_EN: 0
; COMPUTE_PGM_RSRC2:TGID_Z_EN: 0
; COMPUTE_PGM_RSRC2:TIDIG_COMP_CNT: 0
; COMPUTE_PGM_RSRC3_GFX90A:ACCUM_OFFSET: 0
; COMPUTE_PGM_RSRC3_GFX90A:TG_SPLIT: 0
	.section	.text._ZN7rocprim17ROCPRIM_400000_NS6detail17trampoline_kernelINS0_14default_configENS1_20scan_config_selectorI3IntEEZZNS1_9scan_implILNS1_25lookback_scan_determinismE0ELb0ELb0ES3_N6thrust23THRUST_200600_302600_NS6detail15normal_iteratorINSA_10device_ptrIKS5_EEEENSC_INSD_IS5_EEEES5_NSA_4plusIvEES5_EEDaPvRmT3_T4_T5_mT6_P12ihipStream_tbENKUlT_T0_E_clISt17integral_constantIbLb0EESY_EEDaST_SU_EUlST_E_NS1_11comp_targetILNS1_3genE10ELNS1_11target_archE1201ELNS1_3gpuE5ELNS1_3repE0EEENS1_30default_config_static_selectorELNS0_4arch9wavefront6targetE1EEEvT1_,"axG",@progbits,_ZN7rocprim17ROCPRIM_400000_NS6detail17trampoline_kernelINS0_14default_configENS1_20scan_config_selectorI3IntEEZZNS1_9scan_implILNS1_25lookback_scan_determinismE0ELb0ELb0ES3_N6thrust23THRUST_200600_302600_NS6detail15normal_iteratorINSA_10device_ptrIKS5_EEEENSC_INSD_IS5_EEEES5_NSA_4plusIvEES5_EEDaPvRmT3_T4_T5_mT6_P12ihipStream_tbENKUlT_T0_E_clISt17integral_constantIbLb0EESY_EEDaST_SU_EUlST_E_NS1_11comp_targetILNS1_3genE10ELNS1_11target_archE1201ELNS1_3gpuE5ELNS1_3repE0EEENS1_30default_config_static_selectorELNS0_4arch9wavefront6targetE1EEEvT1_,comdat
	.protected	_ZN7rocprim17ROCPRIM_400000_NS6detail17trampoline_kernelINS0_14default_configENS1_20scan_config_selectorI3IntEEZZNS1_9scan_implILNS1_25lookback_scan_determinismE0ELb0ELb0ES3_N6thrust23THRUST_200600_302600_NS6detail15normal_iteratorINSA_10device_ptrIKS5_EEEENSC_INSD_IS5_EEEES5_NSA_4plusIvEES5_EEDaPvRmT3_T4_T5_mT6_P12ihipStream_tbENKUlT_T0_E_clISt17integral_constantIbLb0EESY_EEDaST_SU_EUlST_E_NS1_11comp_targetILNS1_3genE10ELNS1_11target_archE1201ELNS1_3gpuE5ELNS1_3repE0EEENS1_30default_config_static_selectorELNS0_4arch9wavefront6targetE1EEEvT1_ ; -- Begin function _ZN7rocprim17ROCPRIM_400000_NS6detail17trampoline_kernelINS0_14default_configENS1_20scan_config_selectorI3IntEEZZNS1_9scan_implILNS1_25lookback_scan_determinismE0ELb0ELb0ES3_N6thrust23THRUST_200600_302600_NS6detail15normal_iteratorINSA_10device_ptrIKS5_EEEENSC_INSD_IS5_EEEES5_NSA_4plusIvEES5_EEDaPvRmT3_T4_T5_mT6_P12ihipStream_tbENKUlT_T0_E_clISt17integral_constantIbLb0EESY_EEDaST_SU_EUlST_E_NS1_11comp_targetILNS1_3genE10ELNS1_11target_archE1201ELNS1_3gpuE5ELNS1_3repE0EEENS1_30default_config_static_selectorELNS0_4arch9wavefront6targetE1EEEvT1_
	.globl	_ZN7rocprim17ROCPRIM_400000_NS6detail17trampoline_kernelINS0_14default_configENS1_20scan_config_selectorI3IntEEZZNS1_9scan_implILNS1_25lookback_scan_determinismE0ELb0ELb0ES3_N6thrust23THRUST_200600_302600_NS6detail15normal_iteratorINSA_10device_ptrIKS5_EEEENSC_INSD_IS5_EEEES5_NSA_4plusIvEES5_EEDaPvRmT3_T4_T5_mT6_P12ihipStream_tbENKUlT_T0_E_clISt17integral_constantIbLb0EESY_EEDaST_SU_EUlST_E_NS1_11comp_targetILNS1_3genE10ELNS1_11target_archE1201ELNS1_3gpuE5ELNS1_3repE0EEENS1_30default_config_static_selectorELNS0_4arch9wavefront6targetE1EEEvT1_
	.p2align	8
	.type	_ZN7rocprim17ROCPRIM_400000_NS6detail17trampoline_kernelINS0_14default_configENS1_20scan_config_selectorI3IntEEZZNS1_9scan_implILNS1_25lookback_scan_determinismE0ELb0ELb0ES3_N6thrust23THRUST_200600_302600_NS6detail15normal_iteratorINSA_10device_ptrIKS5_EEEENSC_INSD_IS5_EEEES5_NSA_4plusIvEES5_EEDaPvRmT3_T4_T5_mT6_P12ihipStream_tbENKUlT_T0_E_clISt17integral_constantIbLb0EESY_EEDaST_SU_EUlST_E_NS1_11comp_targetILNS1_3genE10ELNS1_11target_archE1201ELNS1_3gpuE5ELNS1_3repE0EEENS1_30default_config_static_selectorELNS0_4arch9wavefront6targetE1EEEvT1_,@function
_ZN7rocprim17ROCPRIM_400000_NS6detail17trampoline_kernelINS0_14default_configENS1_20scan_config_selectorI3IntEEZZNS1_9scan_implILNS1_25lookback_scan_determinismE0ELb0ELb0ES3_N6thrust23THRUST_200600_302600_NS6detail15normal_iteratorINSA_10device_ptrIKS5_EEEENSC_INSD_IS5_EEEES5_NSA_4plusIvEES5_EEDaPvRmT3_T4_T5_mT6_P12ihipStream_tbENKUlT_T0_E_clISt17integral_constantIbLb0EESY_EEDaST_SU_EUlST_E_NS1_11comp_targetILNS1_3genE10ELNS1_11target_archE1201ELNS1_3gpuE5ELNS1_3repE0EEENS1_30default_config_static_selectorELNS0_4arch9wavefront6targetE1EEEvT1_: ; @_ZN7rocprim17ROCPRIM_400000_NS6detail17trampoline_kernelINS0_14default_configENS1_20scan_config_selectorI3IntEEZZNS1_9scan_implILNS1_25lookback_scan_determinismE0ELb0ELb0ES3_N6thrust23THRUST_200600_302600_NS6detail15normal_iteratorINSA_10device_ptrIKS5_EEEENSC_INSD_IS5_EEEES5_NSA_4plusIvEES5_EEDaPvRmT3_T4_T5_mT6_P12ihipStream_tbENKUlT_T0_E_clISt17integral_constantIbLb0EESY_EEDaST_SU_EUlST_E_NS1_11comp_targetILNS1_3genE10ELNS1_11target_archE1201ELNS1_3gpuE5ELNS1_3repE0EEENS1_30default_config_static_selectorELNS0_4arch9wavefront6targetE1EEEvT1_
; %bb.0:
	.section	.rodata,"a",@progbits
	.p2align	6, 0x0
	.amdhsa_kernel _ZN7rocprim17ROCPRIM_400000_NS6detail17trampoline_kernelINS0_14default_configENS1_20scan_config_selectorI3IntEEZZNS1_9scan_implILNS1_25lookback_scan_determinismE0ELb0ELb0ES3_N6thrust23THRUST_200600_302600_NS6detail15normal_iteratorINSA_10device_ptrIKS5_EEEENSC_INSD_IS5_EEEES5_NSA_4plusIvEES5_EEDaPvRmT3_T4_T5_mT6_P12ihipStream_tbENKUlT_T0_E_clISt17integral_constantIbLb0EESY_EEDaST_SU_EUlST_E_NS1_11comp_targetILNS1_3genE10ELNS1_11target_archE1201ELNS1_3gpuE5ELNS1_3repE0EEENS1_30default_config_static_selectorELNS0_4arch9wavefront6targetE1EEEvT1_
		.amdhsa_group_segment_fixed_size 0
		.amdhsa_private_segment_fixed_size 0
		.amdhsa_kernarg_size 96
		.amdhsa_user_sgpr_count 6
		.amdhsa_user_sgpr_private_segment_buffer 1
		.amdhsa_user_sgpr_dispatch_ptr 0
		.amdhsa_user_sgpr_queue_ptr 0
		.amdhsa_user_sgpr_kernarg_segment_ptr 1
		.amdhsa_user_sgpr_dispatch_id 0
		.amdhsa_user_sgpr_flat_scratch_init 0
		.amdhsa_user_sgpr_kernarg_preload_length 0
		.amdhsa_user_sgpr_kernarg_preload_offset 0
		.amdhsa_user_sgpr_private_segment_size 0
		.amdhsa_uses_dynamic_stack 0
		.amdhsa_system_sgpr_private_segment_wavefront_offset 0
		.amdhsa_system_sgpr_workgroup_id_x 1
		.amdhsa_system_sgpr_workgroup_id_y 0
		.amdhsa_system_sgpr_workgroup_id_z 0
		.amdhsa_system_sgpr_workgroup_info 0
		.amdhsa_system_vgpr_workitem_id 0
		.amdhsa_next_free_vgpr 1
		.amdhsa_next_free_sgpr 0
		.amdhsa_accum_offset 4
		.amdhsa_reserve_vcc 0
		.amdhsa_reserve_flat_scratch 0
		.amdhsa_float_round_mode_32 0
		.amdhsa_float_round_mode_16_64 0
		.amdhsa_float_denorm_mode_32 3
		.amdhsa_float_denorm_mode_16_64 3
		.amdhsa_dx10_clamp 1
		.amdhsa_ieee_mode 1
		.amdhsa_fp16_overflow 0
		.amdhsa_tg_split 0
		.amdhsa_exception_fp_ieee_invalid_op 0
		.amdhsa_exception_fp_denorm_src 0
		.amdhsa_exception_fp_ieee_div_zero 0
		.amdhsa_exception_fp_ieee_overflow 0
		.amdhsa_exception_fp_ieee_underflow 0
		.amdhsa_exception_fp_ieee_inexact 0
		.amdhsa_exception_int_div_zero 0
	.end_amdhsa_kernel
	.section	.text._ZN7rocprim17ROCPRIM_400000_NS6detail17trampoline_kernelINS0_14default_configENS1_20scan_config_selectorI3IntEEZZNS1_9scan_implILNS1_25lookback_scan_determinismE0ELb0ELb0ES3_N6thrust23THRUST_200600_302600_NS6detail15normal_iteratorINSA_10device_ptrIKS5_EEEENSC_INSD_IS5_EEEES5_NSA_4plusIvEES5_EEDaPvRmT3_T4_T5_mT6_P12ihipStream_tbENKUlT_T0_E_clISt17integral_constantIbLb0EESY_EEDaST_SU_EUlST_E_NS1_11comp_targetILNS1_3genE10ELNS1_11target_archE1201ELNS1_3gpuE5ELNS1_3repE0EEENS1_30default_config_static_selectorELNS0_4arch9wavefront6targetE1EEEvT1_,"axG",@progbits,_ZN7rocprim17ROCPRIM_400000_NS6detail17trampoline_kernelINS0_14default_configENS1_20scan_config_selectorI3IntEEZZNS1_9scan_implILNS1_25lookback_scan_determinismE0ELb0ELb0ES3_N6thrust23THRUST_200600_302600_NS6detail15normal_iteratorINSA_10device_ptrIKS5_EEEENSC_INSD_IS5_EEEES5_NSA_4plusIvEES5_EEDaPvRmT3_T4_T5_mT6_P12ihipStream_tbENKUlT_T0_E_clISt17integral_constantIbLb0EESY_EEDaST_SU_EUlST_E_NS1_11comp_targetILNS1_3genE10ELNS1_11target_archE1201ELNS1_3gpuE5ELNS1_3repE0EEENS1_30default_config_static_selectorELNS0_4arch9wavefront6targetE1EEEvT1_,comdat
.Lfunc_end6902:
	.size	_ZN7rocprim17ROCPRIM_400000_NS6detail17trampoline_kernelINS0_14default_configENS1_20scan_config_selectorI3IntEEZZNS1_9scan_implILNS1_25lookback_scan_determinismE0ELb0ELb0ES3_N6thrust23THRUST_200600_302600_NS6detail15normal_iteratorINSA_10device_ptrIKS5_EEEENSC_INSD_IS5_EEEES5_NSA_4plusIvEES5_EEDaPvRmT3_T4_T5_mT6_P12ihipStream_tbENKUlT_T0_E_clISt17integral_constantIbLb0EESY_EEDaST_SU_EUlST_E_NS1_11comp_targetILNS1_3genE10ELNS1_11target_archE1201ELNS1_3gpuE5ELNS1_3repE0EEENS1_30default_config_static_selectorELNS0_4arch9wavefront6targetE1EEEvT1_, .Lfunc_end6902-_ZN7rocprim17ROCPRIM_400000_NS6detail17trampoline_kernelINS0_14default_configENS1_20scan_config_selectorI3IntEEZZNS1_9scan_implILNS1_25lookback_scan_determinismE0ELb0ELb0ES3_N6thrust23THRUST_200600_302600_NS6detail15normal_iteratorINSA_10device_ptrIKS5_EEEENSC_INSD_IS5_EEEES5_NSA_4plusIvEES5_EEDaPvRmT3_T4_T5_mT6_P12ihipStream_tbENKUlT_T0_E_clISt17integral_constantIbLb0EESY_EEDaST_SU_EUlST_E_NS1_11comp_targetILNS1_3genE10ELNS1_11target_archE1201ELNS1_3gpuE5ELNS1_3repE0EEENS1_30default_config_static_selectorELNS0_4arch9wavefront6targetE1EEEvT1_
                                        ; -- End function
	.section	.AMDGPU.csdata,"",@progbits
; Kernel info:
; codeLenInByte = 0
; NumSgprs: 4
; NumVgprs: 0
; NumAgprs: 0
; TotalNumVgprs: 0
; ScratchSize: 0
; MemoryBound: 0
; FloatMode: 240
; IeeeMode: 1
; LDSByteSize: 0 bytes/workgroup (compile time only)
; SGPRBlocks: 0
; VGPRBlocks: 0
; NumSGPRsForWavesPerEU: 4
; NumVGPRsForWavesPerEU: 1
; AccumOffset: 4
; Occupancy: 8
; WaveLimiterHint : 0
; COMPUTE_PGM_RSRC2:SCRATCH_EN: 0
; COMPUTE_PGM_RSRC2:USER_SGPR: 6
; COMPUTE_PGM_RSRC2:TRAP_HANDLER: 0
; COMPUTE_PGM_RSRC2:TGID_X_EN: 1
; COMPUTE_PGM_RSRC2:TGID_Y_EN: 0
; COMPUTE_PGM_RSRC2:TGID_Z_EN: 0
; COMPUTE_PGM_RSRC2:TIDIG_COMP_CNT: 0
; COMPUTE_PGM_RSRC3_GFX90A:ACCUM_OFFSET: 0
; COMPUTE_PGM_RSRC3_GFX90A:TG_SPLIT: 0
	.section	.text._ZN7rocprim17ROCPRIM_400000_NS6detail17trampoline_kernelINS0_14default_configENS1_20scan_config_selectorI3IntEEZZNS1_9scan_implILNS1_25lookback_scan_determinismE0ELb0ELb0ES3_N6thrust23THRUST_200600_302600_NS6detail15normal_iteratorINSA_10device_ptrIKS5_EEEENSC_INSD_IS5_EEEES5_NSA_4plusIvEES5_EEDaPvRmT3_T4_T5_mT6_P12ihipStream_tbENKUlT_T0_E_clISt17integral_constantIbLb0EESY_EEDaST_SU_EUlST_E_NS1_11comp_targetILNS1_3genE10ELNS1_11target_archE1200ELNS1_3gpuE4ELNS1_3repE0EEENS1_30default_config_static_selectorELNS0_4arch9wavefront6targetE1EEEvT1_,"axG",@progbits,_ZN7rocprim17ROCPRIM_400000_NS6detail17trampoline_kernelINS0_14default_configENS1_20scan_config_selectorI3IntEEZZNS1_9scan_implILNS1_25lookback_scan_determinismE0ELb0ELb0ES3_N6thrust23THRUST_200600_302600_NS6detail15normal_iteratorINSA_10device_ptrIKS5_EEEENSC_INSD_IS5_EEEES5_NSA_4plusIvEES5_EEDaPvRmT3_T4_T5_mT6_P12ihipStream_tbENKUlT_T0_E_clISt17integral_constantIbLb0EESY_EEDaST_SU_EUlST_E_NS1_11comp_targetILNS1_3genE10ELNS1_11target_archE1200ELNS1_3gpuE4ELNS1_3repE0EEENS1_30default_config_static_selectorELNS0_4arch9wavefront6targetE1EEEvT1_,comdat
	.protected	_ZN7rocprim17ROCPRIM_400000_NS6detail17trampoline_kernelINS0_14default_configENS1_20scan_config_selectorI3IntEEZZNS1_9scan_implILNS1_25lookback_scan_determinismE0ELb0ELb0ES3_N6thrust23THRUST_200600_302600_NS6detail15normal_iteratorINSA_10device_ptrIKS5_EEEENSC_INSD_IS5_EEEES5_NSA_4plusIvEES5_EEDaPvRmT3_T4_T5_mT6_P12ihipStream_tbENKUlT_T0_E_clISt17integral_constantIbLb0EESY_EEDaST_SU_EUlST_E_NS1_11comp_targetILNS1_3genE10ELNS1_11target_archE1200ELNS1_3gpuE4ELNS1_3repE0EEENS1_30default_config_static_selectorELNS0_4arch9wavefront6targetE1EEEvT1_ ; -- Begin function _ZN7rocprim17ROCPRIM_400000_NS6detail17trampoline_kernelINS0_14default_configENS1_20scan_config_selectorI3IntEEZZNS1_9scan_implILNS1_25lookback_scan_determinismE0ELb0ELb0ES3_N6thrust23THRUST_200600_302600_NS6detail15normal_iteratorINSA_10device_ptrIKS5_EEEENSC_INSD_IS5_EEEES5_NSA_4plusIvEES5_EEDaPvRmT3_T4_T5_mT6_P12ihipStream_tbENKUlT_T0_E_clISt17integral_constantIbLb0EESY_EEDaST_SU_EUlST_E_NS1_11comp_targetILNS1_3genE10ELNS1_11target_archE1200ELNS1_3gpuE4ELNS1_3repE0EEENS1_30default_config_static_selectorELNS0_4arch9wavefront6targetE1EEEvT1_
	.globl	_ZN7rocprim17ROCPRIM_400000_NS6detail17trampoline_kernelINS0_14default_configENS1_20scan_config_selectorI3IntEEZZNS1_9scan_implILNS1_25lookback_scan_determinismE0ELb0ELb0ES3_N6thrust23THRUST_200600_302600_NS6detail15normal_iteratorINSA_10device_ptrIKS5_EEEENSC_INSD_IS5_EEEES5_NSA_4plusIvEES5_EEDaPvRmT3_T4_T5_mT6_P12ihipStream_tbENKUlT_T0_E_clISt17integral_constantIbLb0EESY_EEDaST_SU_EUlST_E_NS1_11comp_targetILNS1_3genE10ELNS1_11target_archE1200ELNS1_3gpuE4ELNS1_3repE0EEENS1_30default_config_static_selectorELNS0_4arch9wavefront6targetE1EEEvT1_
	.p2align	8
	.type	_ZN7rocprim17ROCPRIM_400000_NS6detail17trampoline_kernelINS0_14default_configENS1_20scan_config_selectorI3IntEEZZNS1_9scan_implILNS1_25lookback_scan_determinismE0ELb0ELb0ES3_N6thrust23THRUST_200600_302600_NS6detail15normal_iteratorINSA_10device_ptrIKS5_EEEENSC_INSD_IS5_EEEES5_NSA_4plusIvEES5_EEDaPvRmT3_T4_T5_mT6_P12ihipStream_tbENKUlT_T0_E_clISt17integral_constantIbLb0EESY_EEDaST_SU_EUlST_E_NS1_11comp_targetILNS1_3genE10ELNS1_11target_archE1200ELNS1_3gpuE4ELNS1_3repE0EEENS1_30default_config_static_selectorELNS0_4arch9wavefront6targetE1EEEvT1_,@function
_ZN7rocprim17ROCPRIM_400000_NS6detail17trampoline_kernelINS0_14default_configENS1_20scan_config_selectorI3IntEEZZNS1_9scan_implILNS1_25lookback_scan_determinismE0ELb0ELb0ES3_N6thrust23THRUST_200600_302600_NS6detail15normal_iteratorINSA_10device_ptrIKS5_EEEENSC_INSD_IS5_EEEES5_NSA_4plusIvEES5_EEDaPvRmT3_T4_T5_mT6_P12ihipStream_tbENKUlT_T0_E_clISt17integral_constantIbLb0EESY_EEDaST_SU_EUlST_E_NS1_11comp_targetILNS1_3genE10ELNS1_11target_archE1200ELNS1_3gpuE4ELNS1_3repE0EEENS1_30default_config_static_selectorELNS0_4arch9wavefront6targetE1EEEvT1_: ; @_ZN7rocprim17ROCPRIM_400000_NS6detail17trampoline_kernelINS0_14default_configENS1_20scan_config_selectorI3IntEEZZNS1_9scan_implILNS1_25lookback_scan_determinismE0ELb0ELb0ES3_N6thrust23THRUST_200600_302600_NS6detail15normal_iteratorINSA_10device_ptrIKS5_EEEENSC_INSD_IS5_EEEES5_NSA_4plusIvEES5_EEDaPvRmT3_T4_T5_mT6_P12ihipStream_tbENKUlT_T0_E_clISt17integral_constantIbLb0EESY_EEDaST_SU_EUlST_E_NS1_11comp_targetILNS1_3genE10ELNS1_11target_archE1200ELNS1_3gpuE4ELNS1_3repE0EEENS1_30default_config_static_selectorELNS0_4arch9wavefront6targetE1EEEvT1_
; %bb.0:
	.section	.rodata,"a",@progbits
	.p2align	6, 0x0
	.amdhsa_kernel _ZN7rocprim17ROCPRIM_400000_NS6detail17trampoline_kernelINS0_14default_configENS1_20scan_config_selectorI3IntEEZZNS1_9scan_implILNS1_25lookback_scan_determinismE0ELb0ELb0ES3_N6thrust23THRUST_200600_302600_NS6detail15normal_iteratorINSA_10device_ptrIKS5_EEEENSC_INSD_IS5_EEEES5_NSA_4plusIvEES5_EEDaPvRmT3_T4_T5_mT6_P12ihipStream_tbENKUlT_T0_E_clISt17integral_constantIbLb0EESY_EEDaST_SU_EUlST_E_NS1_11comp_targetILNS1_3genE10ELNS1_11target_archE1200ELNS1_3gpuE4ELNS1_3repE0EEENS1_30default_config_static_selectorELNS0_4arch9wavefront6targetE1EEEvT1_
		.amdhsa_group_segment_fixed_size 0
		.amdhsa_private_segment_fixed_size 0
		.amdhsa_kernarg_size 96
		.amdhsa_user_sgpr_count 6
		.amdhsa_user_sgpr_private_segment_buffer 1
		.amdhsa_user_sgpr_dispatch_ptr 0
		.amdhsa_user_sgpr_queue_ptr 0
		.amdhsa_user_sgpr_kernarg_segment_ptr 1
		.amdhsa_user_sgpr_dispatch_id 0
		.amdhsa_user_sgpr_flat_scratch_init 0
		.amdhsa_user_sgpr_kernarg_preload_length 0
		.amdhsa_user_sgpr_kernarg_preload_offset 0
		.amdhsa_user_sgpr_private_segment_size 0
		.amdhsa_uses_dynamic_stack 0
		.amdhsa_system_sgpr_private_segment_wavefront_offset 0
		.amdhsa_system_sgpr_workgroup_id_x 1
		.amdhsa_system_sgpr_workgroup_id_y 0
		.amdhsa_system_sgpr_workgroup_id_z 0
		.amdhsa_system_sgpr_workgroup_info 0
		.amdhsa_system_vgpr_workitem_id 0
		.amdhsa_next_free_vgpr 1
		.amdhsa_next_free_sgpr 0
		.amdhsa_accum_offset 4
		.amdhsa_reserve_vcc 0
		.amdhsa_reserve_flat_scratch 0
		.amdhsa_float_round_mode_32 0
		.amdhsa_float_round_mode_16_64 0
		.amdhsa_float_denorm_mode_32 3
		.amdhsa_float_denorm_mode_16_64 3
		.amdhsa_dx10_clamp 1
		.amdhsa_ieee_mode 1
		.amdhsa_fp16_overflow 0
		.amdhsa_tg_split 0
		.amdhsa_exception_fp_ieee_invalid_op 0
		.amdhsa_exception_fp_denorm_src 0
		.amdhsa_exception_fp_ieee_div_zero 0
		.amdhsa_exception_fp_ieee_overflow 0
		.amdhsa_exception_fp_ieee_underflow 0
		.amdhsa_exception_fp_ieee_inexact 0
		.amdhsa_exception_int_div_zero 0
	.end_amdhsa_kernel
	.section	.text._ZN7rocprim17ROCPRIM_400000_NS6detail17trampoline_kernelINS0_14default_configENS1_20scan_config_selectorI3IntEEZZNS1_9scan_implILNS1_25lookback_scan_determinismE0ELb0ELb0ES3_N6thrust23THRUST_200600_302600_NS6detail15normal_iteratorINSA_10device_ptrIKS5_EEEENSC_INSD_IS5_EEEES5_NSA_4plusIvEES5_EEDaPvRmT3_T4_T5_mT6_P12ihipStream_tbENKUlT_T0_E_clISt17integral_constantIbLb0EESY_EEDaST_SU_EUlST_E_NS1_11comp_targetILNS1_3genE10ELNS1_11target_archE1200ELNS1_3gpuE4ELNS1_3repE0EEENS1_30default_config_static_selectorELNS0_4arch9wavefront6targetE1EEEvT1_,"axG",@progbits,_ZN7rocprim17ROCPRIM_400000_NS6detail17trampoline_kernelINS0_14default_configENS1_20scan_config_selectorI3IntEEZZNS1_9scan_implILNS1_25lookback_scan_determinismE0ELb0ELb0ES3_N6thrust23THRUST_200600_302600_NS6detail15normal_iteratorINSA_10device_ptrIKS5_EEEENSC_INSD_IS5_EEEES5_NSA_4plusIvEES5_EEDaPvRmT3_T4_T5_mT6_P12ihipStream_tbENKUlT_T0_E_clISt17integral_constantIbLb0EESY_EEDaST_SU_EUlST_E_NS1_11comp_targetILNS1_3genE10ELNS1_11target_archE1200ELNS1_3gpuE4ELNS1_3repE0EEENS1_30default_config_static_selectorELNS0_4arch9wavefront6targetE1EEEvT1_,comdat
.Lfunc_end6903:
	.size	_ZN7rocprim17ROCPRIM_400000_NS6detail17trampoline_kernelINS0_14default_configENS1_20scan_config_selectorI3IntEEZZNS1_9scan_implILNS1_25lookback_scan_determinismE0ELb0ELb0ES3_N6thrust23THRUST_200600_302600_NS6detail15normal_iteratorINSA_10device_ptrIKS5_EEEENSC_INSD_IS5_EEEES5_NSA_4plusIvEES5_EEDaPvRmT3_T4_T5_mT6_P12ihipStream_tbENKUlT_T0_E_clISt17integral_constantIbLb0EESY_EEDaST_SU_EUlST_E_NS1_11comp_targetILNS1_3genE10ELNS1_11target_archE1200ELNS1_3gpuE4ELNS1_3repE0EEENS1_30default_config_static_selectorELNS0_4arch9wavefront6targetE1EEEvT1_, .Lfunc_end6903-_ZN7rocprim17ROCPRIM_400000_NS6detail17trampoline_kernelINS0_14default_configENS1_20scan_config_selectorI3IntEEZZNS1_9scan_implILNS1_25lookback_scan_determinismE0ELb0ELb0ES3_N6thrust23THRUST_200600_302600_NS6detail15normal_iteratorINSA_10device_ptrIKS5_EEEENSC_INSD_IS5_EEEES5_NSA_4plusIvEES5_EEDaPvRmT3_T4_T5_mT6_P12ihipStream_tbENKUlT_T0_E_clISt17integral_constantIbLb0EESY_EEDaST_SU_EUlST_E_NS1_11comp_targetILNS1_3genE10ELNS1_11target_archE1200ELNS1_3gpuE4ELNS1_3repE0EEENS1_30default_config_static_selectorELNS0_4arch9wavefront6targetE1EEEvT1_
                                        ; -- End function
	.section	.AMDGPU.csdata,"",@progbits
; Kernel info:
; codeLenInByte = 0
; NumSgprs: 4
; NumVgprs: 0
; NumAgprs: 0
; TotalNumVgprs: 0
; ScratchSize: 0
; MemoryBound: 0
; FloatMode: 240
; IeeeMode: 1
; LDSByteSize: 0 bytes/workgroup (compile time only)
; SGPRBlocks: 0
; VGPRBlocks: 0
; NumSGPRsForWavesPerEU: 4
; NumVGPRsForWavesPerEU: 1
; AccumOffset: 4
; Occupancy: 8
; WaveLimiterHint : 0
; COMPUTE_PGM_RSRC2:SCRATCH_EN: 0
; COMPUTE_PGM_RSRC2:USER_SGPR: 6
; COMPUTE_PGM_RSRC2:TRAP_HANDLER: 0
; COMPUTE_PGM_RSRC2:TGID_X_EN: 1
; COMPUTE_PGM_RSRC2:TGID_Y_EN: 0
; COMPUTE_PGM_RSRC2:TGID_Z_EN: 0
; COMPUTE_PGM_RSRC2:TIDIG_COMP_CNT: 0
; COMPUTE_PGM_RSRC3_GFX90A:ACCUM_OFFSET: 0
; COMPUTE_PGM_RSRC3_GFX90A:TG_SPLIT: 0
	.section	.text._ZN7rocprim17ROCPRIM_400000_NS6detail17trampoline_kernelINS0_14default_configENS1_20scan_config_selectorI3IntEEZZNS1_9scan_implILNS1_25lookback_scan_determinismE0ELb0ELb0ES3_N6thrust23THRUST_200600_302600_NS6detail15normal_iteratorINSA_10device_ptrIKS5_EEEENSC_INSD_IS5_EEEES5_NSA_4plusIvEES5_EEDaPvRmT3_T4_T5_mT6_P12ihipStream_tbENKUlT_T0_E_clISt17integral_constantIbLb0EESY_EEDaST_SU_EUlST_E_NS1_11comp_targetILNS1_3genE9ELNS1_11target_archE1100ELNS1_3gpuE3ELNS1_3repE0EEENS1_30default_config_static_selectorELNS0_4arch9wavefront6targetE1EEEvT1_,"axG",@progbits,_ZN7rocprim17ROCPRIM_400000_NS6detail17trampoline_kernelINS0_14default_configENS1_20scan_config_selectorI3IntEEZZNS1_9scan_implILNS1_25lookback_scan_determinismE0ELb0ELb0ES3_N6thrust23THRUST_200600_302600_NS6detail15normal_iteratorINSA_10device_ptrIKS5_EEEENSC_INSD_IS5_EEEES5_NSA_4plusIvEES5_EEDaPvRmT3_T4_T5_mT6_P12ihipStream_tbENKUlT_T0_E_clISt17integral_constantIbLb0EESY_EEDaST_SU_EUlST_E_NS1_11comp_targetILNS1_3genE9ELNS1_11target_archE1100ELNS1_3gpuE3ELNS1_3repE0EEENS1_30default_config_static_selectorELNS0_4arch9wavefront6targetE1EEEvT1_,comdat
	.protected	_ZN7rocprim17ROCPRIM_400000_NS6detail17trampoline_kernelINS0_14default_configENS1_20scan_config_selectorI3IntEEZZNS1_9scan_implILNS1_25lookback_scan_determinismE0ELb0ELb0ES3_N6thrust23THRUST_200600_302600_NS6detail15normal_iteratorINSA_10device_ptrIKS5_EEEENSC_INSD_IS5_EEEES5_NSA_4plusIvEES5_EEDaPvRmT3_T4_T5_mT6_P12ihipStream_tbENKUlT_T0_E_clISt17integral_constantIbLb0EESY_EEDaST_SU_EUlST_E_NS1_11comp_targetILNS1_3genE9ELNS1_11target_archE1100ELNS1_3gpuE3ELNS1_3repE0EEENS1_30default_config_static_selectorELNS0_4arch9wavefront6targetE1EEEvT1_ ; -- Begin function _ZN7rocprim17ROCPRIM_400000_NS6detail17trampoline_kernelINS0_14default_configENS1_20scan_config_selectorI3IntEEZZNS1_9scan_implILNS1_25lookback_scan_determinismE0ELb0ELb0ES3_N6thrust23THRUST_200600_302600_NS6detail15normal_iteratorINSA_10device_ptrIKS5_EEEENSC_INSD_IS5_EEEES5_NSA_4plusIvEES5_EEDaPvRmT3_T4_T5_mT6_P12ihipStream_tbENKUlT_T0_E_clISt17integral_constantIbLb0EESY_EEDaST_SU_EUlST_E_NS1_11comp_targetILNS1_3genE9ELNS1_11target_archE1100ELNS1_3gpuE3ELNS1_3repE0EEENS1_30default_config_static_selectorELNS0_4arch9wavefront6targetE1EEEvT1_
	.globl	_ZN7rocprim17ROCPRIM_400000_NS6detail17trampoline_kernelINS0_14default_configENS1_20scan_config_selectorI3IntEEZZNS1_9scan_implILNS1_25lookback_scan_determinismE0ELb0ELb0ES3_N6thrust23THRUST_200600_302600_NS6detail15normal_iteratorINSA_10device_ptrIKS5_EEEENSC_INSD_IS5_EEEES5_NSA_4plusIvEES5_EEDaPvRmT3_T4_T5_mT6_P12ihipStream_tbENKUlT_T0_E_clISt17integral_constantIbLb0EESY_EEDaST_SU_EUlST_E_NS1_11comp_targetILNS1_3genE9ELNS1_11target_archE1100ELNS1_3gpuE3ELNS1_3repE0EEENS1_30default_config_static_selectorELNS0_4arch9wavefront6targetE1EEEvT1_
	.p2align	8
	.type	_ZN7rocprim17ROCPRIM_400000_NS6detail17trampoline_kernelINS0_14default_configENS1_20scan_config_selectorI3IntEEZZNS1_9scan_implILNS1_25lookback_scan_determinismE0ELb0ELb0ES3_N6thrust23THRUST_200600_302600_NS6detail15normal_iteratorINSA_10device_ptrIKS5_EEEENSC_INSD_IS5_EEEES5_NSA_4plusIvEES5_EEDaPvRmT3_T4_T5_mT6_P12ihipStream_tbENKUlT_T0_E_clISt17integral_constantIbLb0EESY_EEDaST_SU_EUlST_E_NS1_11comp_targetILNS1_3genE9ELNS1_11target_archE1100ELNS1_3gpuE3ELNS1_3repE0EEENS1_30default_config_static_selectorELNS0_4arch9wavefront6targetE1EEEvT1_,@function
_ZN7rocprim17ROCPRIM_400000_NS6detail17trampoline_kernelINS0_14default_configENS1_20scan_config_selectorI3IntEEZZNS1_9scan_implILNS1_25lookback_scan_determinismE0ELb0ELb0ES3_N6thrust23THRUST_200600_302600_NS6detail15normal_iteratorINSA_10device_ptrIKS5_EEEENSC_INSD_IS5_EEEES5_NSA_4plusIvEES5_EEDaPvRmT3_T4_T5_mT6_P12ihipStream_tbENKUlT_T0_E_clISt17integral_constantIbLb0EESY_EEDaST_SU_EUlST_E_NS1_11comp_targetILNS1_3genE9ELNS1_11target_archE1100ELNS1_3gpuE3ELNS1_3repE0EEENS1_30default_config_static_selectorELNS0_4arch9wavefront6targetE1EEEvT1_: ; @_ZN7rocprim17ROCPRIM_400000_NS6detail17trampoline_kernelINS0_14default_configENS1_20scan_config_selectorI3IntEEZZNS1_9scan_implILNS1_25lookback_scan_determinismE0ELb0ELb0ES3_N6thrust23THRUST_200600_302600_NS6detail15normal_iteratorINSA_10device_ptrIKS5_EEEENSC_INSD_IS5_EEEES5_NSA_4plusIvEES5_EEDaPvRmT3_T4_T5_mT6_P12ihipStream_tbENKUlT_T0_E_clISt17integral_constantIbLb0EESY_EEDaST_SU_EUlST_E_NS1_11comp_targetILNS1_3genE9ELNS1_11target_archE1100ELNS1_3gpuE3ELNS1_3repE0EEENS1_30default_config_static_selectorELNS0_4arch9wavefront6targetE1EEEvT1_
; %bb.0:
	.section	.rodata,"a",@progbits
	.p2align	6, 0x0
	.amdhsa_kernel _ZN7rocprim17ROCPRIM_400000_NS6detail17trampoline_kernelINS0_14default_configENS1_20scan_config_selectorI3IntEEZZNS1_9scan_implILNS1_25lookback_scan_determinismE0ELb0ELb0ES3_N6thrust23THRUST_200600_302600_NS6detail15normal_iteratorINSA_10device_ptrIKS5_EEEENSC_INSD_IS5_EEEES5_NSA_4plusIvEES5_EEDaPvRmT3_T4_T5_mT6_P12ihipStream_tbENKUlT_T0_E_clISt17integral_constantIbLb0EESY_EEDaST_SU_EUlST_E_NS1_11comp_targetILNS1_3genE9ELNS1_11target_archE1100ELNS1_3gpuE3ELNS1_3repE0EEENS1_30default_config_static_selectorELNS0_4arch9wavefront6targetE1EEEvT1_
		.amdhsa_group_segment_fixed_size 0
		.amdhsa_private_segment_fixed_size 0
		.amdhsa_kernarg_size 96
		.amdhsa_user_sgpr_count 6
		.amdhsa_user_sgpr_private_segment_buffer 1
		.amdhsa_user_sgpr_dispatch_ptr 0
		.amdhsa_user_sgpr_queue_ptr 0
		.amdhsa_user_sgpr_kernarg_segment_ptr 1
		.amdhsa_user_sgpr_dispatch_id 0
		.amdhsa_user_sgpr_flat_scratch_init 0
		.amdhsa_user_sgpr_kernarg_preload_length 0
		.amdhsa_user_sgpr_kernarg_preload_offset 0
		.amdhsa_user_sgpr_private_segment_size 0
		.amdhsa_uses_dynamic_stack 0
		.amdhsa_system_sgpr_private_segment_wavefront_offset 0
		.amdhsa_system_sgpr_workgroup_id_x 1
		.amdhsa_system_sgpr_workgroup_id_y 0
		.amdhsa_system_sgpr_workgroup_id_z 0
		.amdhsa_system_sgpr_workgroup_info 0
		.amdhsa_system_vgpr_workitem_id 0
		.amdhsa_next_free_vgpr 1
		.amdhsa_next_free_sgpr 0
		.amdhsa_accum_offset 4
		.amdhsa_reserve_vcc 0
		.amdhsa_reserve_flat_scratch 0
		.amdhsa_float_round_mode_32 0
		.amdhsa_float_round_mode_16_64 0
		.amdhsa_float_denorm_mode_32 3
		.amdhsa_float_denorm_mode_16_64 3
		.amdhsa_dx10_clamp 1
		.amdhsa_ieee_mode 1
		.amdhsa_fp16_overflow 0
		.amdhsa_tg_split 0
		.amdhsa_exception_fp_ieee_invalid_op 0
		.amdhsa_exception_fp_denorm_src 0
		.amdhsa_exception_fp_ieee_div_zero 0
		.amdhsa_exception_fp_ieee_overflow 0
		.amdhsa_exception_fp_ieee_underflow 0
		.amdhsa_exception_fp_ieee_inexact 0
		.amdhsa_exception_int_div_zero 0
	.end_amdhsa_kernel
	.section	.text._ZN7rocprim17ROCPRIM_400000_NS6detail17trampoline_kernelINS0_14default_configENS1_20scan_config_selectorI3IntEEZZNS1_9scan_implILNS1_25lookback_scan_determinismE0ELb0ELb0ES3_N6thrust23THRUST_200600_302600_NS6detail15normal_iteratorINSA_10device_ptrIKS5_EEEENSC_INSD_IS5_EEEES5_NSA_4plusIvEES5_EEDaPvRmT3_T4_T5_mT6_P12ihipStream_tbENKUlT_T0_E_clISt17integral_constantIbLb0EESY_EEDaST_SU_EUlST_E_NS1_11comp_targetILNS1_3genE9ELNS1_11target_archE1100ELNS1_3gpuE3ELNS1_3repE0EEENS1_30default_config_static_selectorELNS0_4arch9wavefront6targetE1EEEvT1_,"axG",@progbits,_ZN7rocprim17ROCPRIM_400000_NS6detail17trampoline_kernelINS0_14default_configENS1_20scan_config_selectorI3IntEEZZNS1_9scan_implILNS1_25lookback_scan_determinismE0ELb0ELb0ES3_N6thrust23THRUST_200600_302600_NS6detail15normal_iteratorINSA_10device_ptrIKS5_EEEENSC_INSD_IS5_EEEES5_NSA_4plusIvEES5_EEDaPvRmT3_T4_T5_mT6_P12ihipStream_tbENKUlT_T0_E_clISt17integral_constantIbLb0EESY_EEDaST_SU_EUlST_E_NS1_11comp_targetILNS1_3genE9ELNS1_11target_archE1100ELNS1_3gpuE3ELNS1_3repE0EEENS1_30default_config_static_selectorELNS0_4arch9wavefront6targetE1EEEvT1_,comdat
.Lfunc_end6904:
	.size	_ZN7rocprim17ROCPRIM_400000_NS6detail17trampoline_kernelINS0_14default_configENS1_20scan_config_selectorI3IntEEZZNS1_9scan_implILNS1_25lookback_scan_determinismE0ELb0ELb0ES3_N6thrust23THRUST_200600_302600_NS6detail15normal_iteratorINSA_10device_ptrIKS5_EEEENSC_INSD_IS5_EEEES5_NSA_4plusIvEES5_EEDaPvRmT3_T4_T5_mT6_P12ihipStream_tbENKUlT_T0_E_clISt17integral_constantIbLb0EESY_EEDaST_SU_EUlST_E_NS1_11comp_targetILNS1_3genE9ELNS1_11target_archE1100ELNS1_3gpuE3ELNS1_3repE0EEENS1_30default_config_static_selectorELNS0_4arch9wavefront6targetE1EEEvT1_, .Lfunc_end6904-_ZN7rocprim17ROCPRIM_400000_NS6detail17trampoline_kernelINS0_14default_configENS1_20scan_config_selectorI3IntEEZZNS1_9scan_implILNS1_25lookback_scan_determinismE0ELb0ELb0ES3_N6thrust23THRUST_200600_302600_NS6detail15normal_iteratorINSA_10device_ptrIKS5_EEEENSC_INSD_IS5_EEEES5_NSA_4plusIvEES5_EEDaPvRmT3_T4_T5_mT6_P12ihipStream_tbENKUlT_T0_E_clISt17integral_constantIbLb0EESY_EEDaST_SU_EUlST_E_NS1_11comp_targetILNS1_3genE9ELNS1_11target_archE1100ELNS1_3gpuE3ELNS1_3repE0EEENS1_30default_config_static_selectorELNS0_4arch9wavefront6targetE1EEEvT1_
                                        ; -- End function
	.section	.AMDGPU.csdata,"",@progbits
; Kernel info:
; codeLenInByte = 0
; NumSgprs: 4
; NumVgprs: 0
; NumAgprs: 0
; TotalNumVgprs: 0
; ScratchSize: 0
; MemoryBound: 0
; FloatMode: 240
; IeeeMode: 1
; LDSByteSize: 0 bytes/workgroup (compile time only)
; SGPRBlocks: 0
; VGPRBlocks: 0
; NumSGPRsForWavesPerEU: 4
; NumVGPRsForWavesPerEU: 1
; AccumOffset: 4
; Occupancy: 8
; WaveLimiterHint : 0
; COMPUTE_PGM_RSRC2:SCRATCH_EN: 0
; COMPUTE_PGM_RSRC2:USER_SGPR: 6
; COMPUTE_PGM_RSRC2:TRAP_HANDLER: 0
; COMPUTE_PGM_RSRC2:TGID_X_EN: 1
; COMPUTE_PGM_RSRC2:TGID_Y_EN: 0
; COMPUTE_PGM_RSRC2:TGID_Z_EN: 0
; COMPUTE_PGM_RSRC2:TIDIG_COMP_CNT: 0
; COMPUTE_PGM_RSRC3_GFX90A:ACCUM_OFFSET: 0
; COMPUTE_PGM_RSRC3_GFX90A:TG_SPLIT: 0
	.section	.text._ZN7rocprim17ROCPRIM_400000_NS6detail17trampoline_kernelINS0_14default_configENS1_20scan_config_selectorI3IntEEZZNS1_9scan_implILNS1_25lookback_scan_determinismE0ELb0ELb0ES3_N6thrust23THRUST_200600_302600_NS6detail15normal_iteratorINSA_10device_ptrIKS5_EEEENSC_INSD_IS5_EEEES5_NSA_4plusIvEES5_EEDaPvRmT3_T4_T5_mT6_P12ihipStream_tbENKUlT_T0_E_clISt17integral_constantIbLb0EESY_EEDaST_SU_EUlST_E_NS1_11comp_targetILNS1_3genE8ELNS1_11target_archE1030ELNS1_3gpuE2ELNS1_3repE0EEENS1_30default_config_static_selectorELNS0_4arch9wavefront6targetE1EEEvT1_,"axG",@progbits,_ZN7rocprim17ROCPRIM_400000_NS6detail17trampoline_kernelINS0_14default_configENS1_20scan_config_selectorI3IntEEZZNS1_9scan_implILNS1_25lookback_scan_determinismE0ELb0ELb0ES3_N6thrust23THRUST_200600_302600_NS6detail15normal_iteratorINSA_10device_ptrIKS5_EEEENSC_INSD_IS5_EEEES5_NSA_4plusIvEES5_EEDaPvRmT3_T4_T5_mT6_P12ihipStream_tbENKUlT_T0_E_clISt17integral_constantIbLb0EESY_EEDaST_SU_EUlST_E_NS1_11comp_targetILNS1_3genE8ELNS1_11target_archE1030ELNS1_3gpuE2ELNS1_3repE0EEENS1_30default_config_static_selectorELNS0_4arch9wavefront6targetE1EEEvT1_,comdat
	.protected	_ZN7rocprim17ROCPRIM_400000_NS6detail17trampoline_kernelINS0_14default_configENS1_20scan_config_selectorI3IntEEZZNS1_9scan_implILNS1_25lookback_scan_determinismE0ELb0ELb0ES3_N6thrust23THRUST_200600_302600_NS6detail15normal_iteratorINSA_10device_ptrIKS5_EEEENSC_INSD_IS5_EEEES5_NSA_4plusIvEES5_EEDaPvRmT3_T4_T5_mT6_P12ihipStream_tbENKUlT_T0_E_clISt17integral_constantIbLb0EESY_EEDaST_SU_EUlST_E_NS1_11comp_targetILNS1_3genE8ELNS1_11target_archE1030ELNS1_3gpuE2ELNS1_3repE0EEENS1_30default_config_static_selectorELNS0_4arch9wavefront6targetE1EEEvT1_ ; -- Begin function _ZN7rocprim17ROCPRIM_400000_NS6detail17trampoline_kernelINS0_14default_configENS1_20scan_config_selectorI3IntEEZZNS1_9scan_implILNS1_25lookback_scan_determinismE0ELb0ELb0ES3_N6thrust23THRUST_200600_302600_NS6detail15normal_iteratorINSA_10device_ptrIKS5_EEEENSC_INSD_IS5_EEEES5_NSA_4plusIvEES5_EEDaPvRmT3_T4_T5_mT6_P12ihipStream_tbENKUlT_T0_E_clISt17integral_constantIbLb0EESY_EEDaST_SU_EUlST_E_NS1_11comp_targetILNS1_3genE8ELNS1_11target_archE1030ELNS1_3gpuE2ELNS1_3repE0EEENS1_30default_config_static_selectorELNS0_4arch9wavefront6targetE1EEEvT1_
	.globl	_ZN7rocprim17ROCPRIM_400000_NS6detail17trampoline_kernelINS0_14default_configENS1_20scan_config_selectorI3IntEEZZNS1_9scan_implILNS1_25lookback_scan_determinismE0ELb0ELb0ES3_N6thrust23THRUST_200600_302600_NS6detail15normal_iteratorINSA_10device_ptrIKS5_EEEENSC_INSD_IS5_EEEES5_NSA_4plusIvEES5_EEDaPvRmT3_T4_T5_mT6_P12ihipStream_tbENKUlT_T0_E_clISt17integral_constantIbLb0EESY_EEDaST_SU_EUlST_E_NS1_11comp_targetILNS1_3genE8ELNS1_11target_archE1030ELNS1_3gpuE2ELNS1_3repE0EEENS1_30default_config_static_selectorELNS0_4arch9wavefront6targetE1EEEvT1_
	.p2align	8
	.type	_ZN7rocprim17ROCPRIM_400000_NS6detail17trampoline_kernelINS0_14default_configENS1_20scan_config_selectorI3IntEEZZNS1_9scan_implILNS1_25lookback_scan_determinismE0ELb0ELb0ES3_N6thrust23THRUST_200600_302600_NS6detail15normal_iteratorINSA_10device_ptrIKS5_EEEENSC_INSD_IS5_EEEES5_NSA_4plusIvEES5_EEDaPvRmT3_T4_T5_mT6_P12ihipStream_tbENKUlT_T0_E_clISt17integral_constantIbLb0EESY_EEDaST_SU_EUlST_E_NS1_11comp_targetILNS1_3genE8ELNS1_11target_archE1030ELNS1_3gpuE2ELNS1_3repE0EEENS1_30default_config_static_selectorELNS0_4arch9wavefront6targetE1EEEvT1_,@function
_ZN7rocprim17ROCPRIM_400000_NS6detail17trampoline_kernelINS0_14default_configENS1_20scan_config_selectorI3IntEEZZNS1_9scan_implILNS1_25lookback_scan_determinismE0ELb0ELb0ES3_N6thrust23THRUST_200600_302600_NS6detail15normal_iteratorINSA_10device_ptrIKS5_EEEENSC_INSD_IS5_EEEES5_NSA_4plusIvEES5_EEDaPvRmT3_T4_T5_mT6_P12ihipStream_tbENKUlT_T0_E_clISt17integral_constantIbLb0EESY_EEDaST_SU_EUlST_E_NS1_11comp_targetILNS1_3genE8ELNS1_11target_archE1030ELNS1_3gpuE2ELNS1_3repE0EEENS1_30default_config_static_selectorELNS0_4arch9wavefront6targetE1EEEvT1_: ; @_ZN7rocprim17ROCPRIM_400000_NS6detail17trampoline_kernelINS0_14default_configENS1_20scan_config_selectorI3IntEEZZNS1_9scan_implILNS1_25lookback_scan_determinismE0ELb0ELb0ES3_N6thrust23THRUST_200600_302600_NS6detail15normal_iteratorINSA_10device_ptrIKS5_EEEENSC_INSD_IS5_EEEES5_NSA_4plusIvEES5_EEDaPvRmT3_T4_T5_mT6_P12ihipStream_tbENKUlT_T0_E_clISt17integral_constantIbLb0EESY_EEDaST_SU_EUlST_E_NS1_11comp_targetILNS1_3genE8ELNS1_11target_archE1030ELNS1_3gpuE2ELNS1_3repE0EEENS1_30default_config_static_selectorELNS0_4arch9wavefront6targetE1EEEvT1_
; %bb.0:
	.section	.rodata,"a",@progbits
	.p2align	6, 0x0
	.amdhsa_kernel _ZN7rocprim17ROCPRIM_400000_NS6detail17trampoline_kernelINS0_14default_configENS1_20scan_config_selectorI3IntEEZZNS1_9scan_implILNS1_25lookback_scan_determinismE0ELb0ELb0ES3_N6thrust23THRUST_200600_302600_NS6detail15normal_iteratorINSA_10device_ptrIKS5_EEEENSC_INSD_IS5_EEEES5_NSA_4plusIvEES5_EEDaPvRmT3_T4_T5_mT6_P12ihipStream_tbENKUlT_T0_E_clISt17integral_constantIbLb0EESY_EEDaST_SU_EUlST_E_NS1_11comp_targetILNS1_3genE8ELNS1_11target_archE1030ELNS1_3gpuE2ELNS1_3repE0EEENS1_30default_config_static_selectorELNS0_4arch9wavefront6targetE1EEEvT1_
		.amdhsa_group_segment_fixed_size 0
		.amdhsa_private_segment_fixed_size 0
		.amdhsa_kernarg_size 96
		.amdhsa_user_sgpr_count 6
		.amdhsa_user_sgpr_private_segment_buffer 1
		.amdhsa_user_sgpr_dispatch_ptr 0
		.amdhsa_user_sgpr_queue_ptr 0
		.amdhsa_user_sgpr_kernarg_segment_ptr 1
		.amdhsa_user_sgpr_dispatch_id 0
		.amdhsa_user_sgpr_flat_scratch_init 0
		.amdhsa_user_sgpr_kernarg_preload_length 0
		.amdhsa_user_sgpr_kernarg_preload_offset 0
		.amdhsa_user_sgpr_private_segment_size 0
		.amdhsa_uses_dynamic_stack 0
		.amdhsa_system_sgpr_private_segment_wavefront_offset 0
		.amdhsa_system_sgpr_workgroup_id_x 1
		.amdhsa_system_sgpr_workgroup_id_y 0
		.amdhsa_system_sgpr_workgroup_id_z 0
		.amdhsa_system_sgpr_workgroup_info 0
		.amdhsa_system_vgpr_workitem_id 0
		.amdhsa_next_free_vgpr 1
		.amdhsa_next_free_sgpr 0
		.amdhsa_accum_offset 4
		.amdhsa_reserve_vcc 0
		.amdhsa_reserve_flat_scratch 0
		.amdhsa_float_round_mode_32 0
		.amdhsa_float_round_mode_16_64 0
		.amdhsa_float_denorm_mode_32 3
		.amdhsa_float_denorm_mode_16_64 3
		.amdhsa_dx10_clamp 1
		.amdhsa_ieee_mode 1
		.amdhsa_fp16_overflow 0
		.amdhsa_tg_split 0
		.amdhsa_exception_fp_ieee_invalid_op 0
		.amdhsa_exception_fp_denorm_src 0
		.amdhsa_exception_fp_ieee_div_zero 0
		.amdhsa_exception_fp_ieee_overflow 0
		.amdhsa_exception_fp_ieee_underflow 0
		.amdhsa_exception_fp_ieee_inexact 0
		.amdhsa_exception_int_div_zero 0
	.end_amdhsa_kernel
	.section	.text._ZN7rocprim17ROCPRIM_400000_NS6detail17trampoline_kernelINS0_14default_configENS1_20scan_config_selectorI3IntEEZZNS1_9scan_implILNS1_25lookback_scan_determinismE0ELb0ELb0ES3_N6thrust23THRUST_200600_302600_NS6detail15normal_iteratorINSA_10device_ptrIKS5_EEEENSC_INSD_IS5_EEEES5_NSA_4plusIvEES5_EEDaPvRmT3_T4_T5_mT6_P12ihipStream_tbENKUlT_T0_E_clISt17integral_constantIbLb0EESY_EEDaST_SU_EUlST_E_NS1_11comp_targetILNS1_3genE8ELNS1_11target_archE1030ELNS1_3gpuE2ELNS1_3repE0EEENS1_30default_config_static_selectorELNS0_4arch9wavefront6targetE1EEEvT1_,"axG",@progbits,_ZN7rocprim17ROCPRIM_400000_NS6detail17trampoline_kernelINS0_14default_configENS1_20scan_config_selectorI3IntEEZZNS1_9scan_implILNS1_25lookback_scan_determinismE0ELb0ELb0ES3_N6thrust23THRUST_200600_302600_NS6detail15normal_iteratorINSA_10device_ptrIKS5_EEEENSC_INSD_IS5_EEEES5_NSA_4plusIvEES5_EEDaPvRmT3_T4_T5_mT6_P12ihipStream_tbENKUlT_T0_E_clISt17integral_constantIbLb0EESY_EEDaST_SU_EUlST_E_NS1_11comp_targetILNS1_3genE8ELNS1_11target_archE1030ELNS1_3gpuE2ELNS1_3repE0EEENS1_30default_config_static_selectorELNS0_4arch9wavefront6targetE1EEEvT1_,comdat
.Lfunc_end6905:
	.size	_ZN7rocprim17ROCPRIM_400000_NS6detail17trampoline_kernelINS0_14default_configENS1_20scan_config_selectorI3IntEEZZNS1_9scan_implILNS1_25lookback_scan_determinismE0ELb0ELb0ES3_N6thrust23THRUST_200600_302600_NS6detail15normal_iteratorINSA_10device_ptrIKS5_EEEENSC_INSD_IS5_EEEES5_NSA_4plusIvEES5_EEDaPvRmT3_T4_T5_mT6_P12ihipStream_tbENKUlT_T0_E_clISt17integral_constantIbLb0EESY_EEDaST_SU_EUlST_E_NS1_11comp_targetILNS1_3genE8ELNS1_11target_archE1030ELNS1_3gpuE2ELNS1_3repE0EEENS1_30default_config_static_selectorELNS0_4arch9wavefront6targetE1EEEvT1_, .Lfunc_end6905-_ZN7rocprim17ROCPRIM_400000_NS6detail17trampoline_kernelINS0_14default_configENS1_20scan_config_selectorI3IntEEZZNS1_9scan_implILNS1_25lookback_scan_determinismE0ELb0ELb0ES3_N6thrust23THRUST_200600_302600_NS6detail15normal_iteratorINSA_10device_ptrIKS5_EEEENSC_INSD_IS5_EEEES5_NSA_4plusIvEES5_EEDaPvRmT3_T4_T5_mT6_P12ihipStream_tbENKUlT_T0_E_clISt17integral_constantIbLb0EESY_EEDaST_SU_EUlST_E_NS1_11comp_targetILNS1_3genE8ELNS1_11target_archE1030ELNS1_3gpuE2ELNS1_3repE0EEENS1_30default_config_static_selectorELNS0_4arch9wavefront6targetE1EEEvT1_
                                        ; -- End function
	.section	.AMDGPU.csdata,"",@progbits
; Kernel info:
; codeLenInByte = 0
; NumSgprs: 4
; NumVgprs: 0
; NumAgprs: 0
; TotalNumVgprs: 0
; ScratchSize: 0
; MemoryBound: 0
; FloatMode: 240
; IeeeMode: 1
; LDSByteSize: 0 bytes/workgroup (compile time only)
; SGPRBlocks: 0
; VGPRBlocks: 0
; NumSGPRsForWavesPerEU: 4
; NumVGPRsForWavesPerEU: 1
; AccumOffset: 4
; Occupancy: 8
; WaveLimiterHint : 0
; COMPUTE_PGM_RSRC2:SCRATCH_EN: 0
; COMPUTE_PGM_RSRC2:USER_SGPR: 6
; COMPUTE_PGM_RSRC2:TRAP_HANDLER: 0
; COMPUTE_PGM_RSRC2:TGID_X_EN: 1
; COMPUTE_PGM_RSRC2:TGID_Y_EN: 0
; COMPUTE_PGM_RSRC2:TGID_Z_EN: 0
; COMPUTE_PGM_RSRC2:TIDIG_COMP_CNT: 0
; COMPUTE_PGM_RSRC3_GFX90A:ACCUM_OFFSET: 0
; COMPUTE_PGM_RSRC3_GFX90A:TG_SPLIT: 0
	.section	.text._ZN7rocprim17ROCPRIM_400000_NS6detail17trampoline_kernelINS0_14default_configENS1_25transform_config_selectorI3IntLb1EEEZNS1_14transform_implILb1ES3_S6_PS5_S8_NS0_8identityIS5_EEEE10hipError_tT2_T3_mT4_P12ihipStream_tbEUlT_E_NS1_11comp_targetILNS1_3genE0ELNS1_11target_archE4294967295ELNS1_3gpuE0ELNS1_3repE0EEENS1_30default_config_static_selectorELNS0_4arch9wavefront6targetE1EEEvT1_,"axG",@progbits,_ZN7rocprim17ROCPRIM_400000_NS6detail17trampoline_kernelINS0_14default_configENS1_25transform_config_selectorI3IntLb1EEEZNS1_14transform_implILb1ES3_S6_PS5_S8_NS0_8identityIS5_EEEE10hipError_tT2_T3_mT4_P12ihipStream_tbEUlT_E_NS1_11comp_targetILNS1_3genE0ELNS1_11target_archE4294967295ELNS1_3gpuE0ELNS1_3repE0EEENS1_30default_config_static_selectorELNS0_4arch9wavefront6targetE1EEEvT1_,comdat
	.protected	_ZN7rocprim17ROCPRIM_400000_NS6detail17trampoline_kernelINS0_14default_configENS1_25transform_config_selectorI3IntLb1EEEZNS1_14transform_implILb1ES3_S6_PS5_S8_NS0_8identityIS5_EEEE10hipError_tT2_T3_mT4_P12ihipStream_tbEUlT_E_NS1_11comp_targetILNS1_3genE0ELNS1_11target_archE4294967295ELNS1_3gpuE0ELNS1_3repE0EEENS1_30default_config_static_selectorELNS0_4arch9wavefront6targetE1EEEvT1_ ; -- Begin function _ZN7rocprim17ROCPRIM_400000_NS6detail17trampoline_kernelINS0_14default_configENS1_25transform_config_selectorI3IntLb1EEEZNS1_14transform_implILb1ES3_S6_PS5_S8_NS0_8identityIS5_EEEE10hipError_tT2_T3_mT4_P12ihipStream_tbEUlT_E_NS1_11comp_targetILNS1_3genE0ELNS1_11target_archE4294967295ELNS1_3gpuE0ELNS1_3repE0EEENS1_30default_config_static_selectorELNS0_4arch9wavefront6targetE1EEEvT1_
	.globl	_ZN7rocprim17ROCPRIM_400000_NS6detail17trampoline_kernelINS0_14default_configENS1_25transform_config_selectorI3IntLb1EEEZNS1_14transform_implILb1ES3_S6_PS5_S8_NS0_8identityIS5_EEEE10hipError_tT2_T3_mT4_P12ihipStream_tbEUlT_E_NS1_11comp_targetILNS1_3genE0ELNS1_11target_archE4294967295ELNS1_3gpuE0ELNS1_3repE0EEENS1_30default_config_static_selectorELNS0_4arch9wavefront6targetE1EEEvT1_
	.p2align	8
	.type	_ZN7rocprim17ROCPRIM_400000_NS6detail17trampoline_kernelINS0_14default_configENS1_25transform_config_selectorI3IntLb1EEEZNS1_14transform_implILb1ES3_S6_PS5_S8_NS0_8identityIS5_EEEE10hipError_tT2_T3_mT4_P12ihipStream_tbEUlT_E_NS1_11comp_targetILNS1_3genE0ELNS1_11target_archE4294967295ELNS1_3gpuE0ELNS1_3repE0EEENS1_30default_config_static_selectorELNS0_4arch9wavefront6targetE1EEEvT1_,@function
_ZN7rocprim17ROCPRIM_400000_NS6detail17trampoline_kernelINS0_14default_configENS1_25transform_config_selectorI3IntLb1EEEZNS1_14transform_implILb1ES3_S6_PS5_S8_NS0_8identityIS5_EEEE10hipError_tT2_T3_mT4_P12ihipStream_tbEUlT_E_NS1_11comp_targetILNS1_3genE0ELNS1_11target_archE4294967295ELNS1_3gpuE0ELNS1_3repE0EEENS1_30default_config_static_selectorELNS0_4arch9wavefront6targetE1EEEvT1_: ; @_ZN7rocprim17ROCPRIM_400000_NS6detail17trampoline_kernelINS0_14default_configENS1_25transform_config_selectorI3IntLb1EEEZNS1_14transform_implILb1ES3_S6_PS5_S8_NS0_8identityIS5_EEEE10hipError_tT2_T3_mT4_P12ihipStream_tbEUlT_E_NS1_11comp_targetILNS1_3genE0ELNS1_11target_archE4294967295ELNS1_3gpuE0ELNS1_3repE0EEENS1_30default_config_static_selectorELNS0_4arch9wavefront6targetE1EEEvT1_
; %bb.0:
	.section	.rodata,"a",@progbits
	.p2align	6, 0x0
	.amdhsa_kernel _ZN7rocprim17ROCPRIM_400000_NS6detail17trampoline_kernelINS0_14default_configENS1_25transform_config_selectorI3IntLb1EEEZNS1_14transform_implILb1ES3_S6_PS5_S8_NS0_8identityIS5_EEEE10hipError_tT2_T3_mT4_P12ihipStream_tbEUlT_E_NS1_11comp_targetILNS1_3genE0ELNS1_11target_archE4294967295ELNS1_3gpuE0ELNS1_3repE0EEENS1_30default_config_static_selectorELNS0_4arch9wavefront6targetE1EEEvT1_
		.amdhsa_group_segment_fixed_size 0
		.amdhsa_private_segment_fixed_size 0
		.amdhsa_kernarg_size 40
		.amdhsa_user_sgpr_count 6
		.amdhsa_user_sgpr_private_segment_buffer 1
		.amdhsa_user_sgpr_dispatch_ptr 0
		.amdhsa_user_sgpr_queue_ptr 0
		.amdhsa_user_sgpr_kernarg_segment_ptr 1
		.amdhsa_user_sgpr_dispatch_id 0
		.amdhsa_user_sgpr_flat_scratch_init 0
		.amdhsa_user_sgpr_kernarg_preload_length 0
		.amdhsa_user_sgpr_kernarg_preload_offset 0
		.amdhsa_user_sgpr_private_segment_size 0
		.amdhsa_uses_dynamic_stack 0
		.amdhsa_system_sgpr_private_segment_wavefront_offset 0
		.amdhsa_system_sgpr_workgroup_id_x 1
		.amdhsa_system_sgpr_workgroup_id_y 0
		.amdhsa_system_sgpr_workgroup_id_z 0
		.amdhsa_system_sgpr_workgroup_info 0
		.amdhsa_system_vgpr_workitem_id 0
		.amdhsa_next_free_vgpr 1
		.amdhsa_next_free_sgpr 0
		.amdhsa_accum_offset 4
		.amdhsa_reserve_vcc 0
		.amdhsa_reserve_flat_scratch 0
		.amdhsa_float_round_mode_32 0
		.amdhsa_float_round_mode_16_64 0
		.amdhsa_float_denorm_mode_32 3
		.amdhsa_float_denorm_mode_16_64 3
		.amdhsa_dx10_clamp 1
		.amdhsa_ieee_mode 1
		.amdhsa_fp16_overflow 0
		.amdhsa_tg_split 0
		.amdhsa_exception_fp_ieee_invalid_op 0
		.amdhsa_exception_fp_denorm_src 0
		.amdhsa_exception_fp_ieee_div_zero 0
		.amdhsa_exception_fp_ieee_overflow 0
		.amdhsa_exception_fp_ieee_underflow 0
		.amdhsa_exception_fp_ieee_inexact 0
		.amdhsa_exception_int_div_zero 0
	.end_amdhsa_kernel
	.section	.text._ZN7rocprim17ROCPRIM_400000_NS6detail17trampoline_kernelINS0_14default_configENS1_25transform_config_selectorI3IntLb1EEEZNS1_14transform_implILb1ES3_S6_PS5_S8_NS0_8identityIS5_EEEE10hipError_tT2_T3_mT4_P12ihipStream_tbEUlT_E_NS1_11comp_targetILNS1_3genE0ELNS1_11target_archE4294967295ELNS1_3gpuE0ELNS1_3repE0EEENS1_30default_config_static_selectorELNS0_4arch9wavefront6targetE1EEEvT1_,"axG",@progbits,_ZN7rocprim17ROCPRIM_400000_NS6detail17trampoline_kernelINS0_14default_configENS1_25transform_config_selectorI3IntLb1EEEZNS1_14transform_implILb1ES3_S6_PS5_S8_NS0_8identityIS5_EEEE10hipError_tT2_T3_mT4_P12ihipStream_tbEUlT_E_NS1_11comp_targetILNS1_3genE0ELNS1_11target_archE4294967295ELNS1_3gpuE0ELNS1_3repE0EEENS1_30default_config_static_selectorELNS0_4arch9wavefront6targetE1EEEvT1_,comdat
.Lfunc_end6906:
	.size	_ZN7rocprim17ROCPRIM_400000_NS6detail17trampoline_kernelINS0_14default_configENS1_25transform_config_selectorI3IntLb1EEEZNS1_14transform_implILb1ES3_S6_PS5_S8_NS0_8identityIS5_EEEE10hipError_tT2_T3_mT4_P12ihipStream_tbEUlT_E_NS1_11comp_targetILNS1_3genE0ELNS1_11target_archE4294967295ELNS1_3gpuE0ELNS1_3repE0EEENS1_30default_config_static_selectorELNS0_4arch9wavefront6targetE1EEEvT1_, .Lfunc_end6906-_ZN7rocprim17ROCPRIM_400000_NS6detail17trampoline_kernelINS0_14default_configENS1_25transform_config_selectorI3IntLb1EEEZNS1_14transform_implILb1ES3_S6_PS5_S8_NS0_8identityIS5_EEEE10hipError_tT2_T3_mT4_P12ihipStream_tbEUlT_E_NS1_11comp_targetILNS1_3genE0ELNS1_11target_archE4294967295ELNS1_3gpuE0ELNS1_3repE0EEENS1_30default_config_static_selectorELNS0_4arch9wavefront6targetE1EEEvT1_
                                        ; -- End function
	.section	.AMDGPU.csdata,"",@progbits
; Kernel info:
; codeLenInByte = 0
; NumSgprs: 4
; NumVgprs: 0
; NumAgprs: 0
; TotalNumVgprs: 0
; ScratchSize: 0
; MemoryBound: 0
; FloatMode: 240
; IeeeMode: 1
; LDSByteSize: 0 bytes/workgroup (compile time only)
; SGPRBlocks: 0
; VGPRBlocks: 0
; NumSGPRsForWavesPerEU: 4
; NumVGPRsForWavesPerEU: 1
; AccumOffset: 4
; Occupancy: 8
; WaveLimiterHint : 0
; COMPUTE_PGM_RSRC2:SCRATCH_EN: 0
; COMPUTE_PGM_RSRC2:USER_SGPR: 6
; COMPUTE_PGM_RSRC2:TRAP_HANDLER: 0
; COMPUTE_PGM_RSRC2:TGID_X_EN: 1
; COMPUTE_PGM_RSRC2:TGID_Y_EN: 0
; COMPUTE_PGM_RSRC2:TGID_Z_EN: 0
; COMPUTE_PGM_RSRC2:TIDIG_COMP_CNT: 0
; COMPUTE_PGM_RSRC3_GFX90A:ACCUM_OFFSET: 0
; COMPUTE_PGM_RSRC3_GFX90A:TG_SPLIT: 0
	.section	.text._ZN7rocprim17ROCPRIM_400000_NS6detail17trampoline_kernelINS0_14default_configENS1_25transform_config_selectorI3IntLb1EEEZNS1_14transform_implILb1ES3_S6_PS5_S8_NS0_8identityIS5_EEEE10hipError_tT2_T3_mT4_P12ihipStream_tbEUlT_E_NS1_11comp_targetILNS1_3genE10ELNS1_11target_archE1201ELNS1_3gpuE5ELNS1_3repE0EEENS1_30default_config_static_selectorELNS0_4arch9wavefront6targetE1EEEvT1_,"axG",@progbits,_ZN7rocprim17ROCPRIM_400000_NS6detail17trampoline_kernelINS0_14default_configENS1_25transform_config_selectorI3IntLb1EEEZNS1_14transform_implILb1ES3_S6_PS5_S8_NS0_8identityIS5_EEEE10hipError_tT2_T3_mT4_P12ihipStream_tbEUlT_E_NS1_11comp_targetILNS1_3genE10ELNS1_11target_archE1201ELNS1_3gpuE5ELNS1_3repE0EEENS1_30default_config_static_selectorELNS0_4arch9wavefront6targetE1EEEvT1_,comdat
	.protected	_ZN7rocprim17ROCPRIM_400000_NS6detail17trampoline_kernelINS0_14default_configENS1_25transform_config_selectorI3IntLb1EEEZNS1_14transform_implILb1ES3_S6_PS5_S8_NS0_8identityIS5_EEEE10hipError_tT2_T3_mT4_P12ihipStream_tbEUlT_E_NS1_11comp_targetILNS1_3genE10ELNS1_11target_archE1201ELNS1_3gpuE5ELNS1_3repE0EEENS1_30default_config_static_selectorELNS0_4arch9wavefront6targetE1EEEvT1_ ; -- Begin function _ZN7rocprim17ROCPRIM_400000_NS6detail17trampoline_kernelINS0_14default_configENS1_25transform_config_selectorI3IntLb1EEEZNS1_14transform_implILb1ES3_S6_PS5_S8_NS0_8identityIS5_EEEE10hipError_tT2_T3_mT4_P12ihipStream_tbEUlT_E_NS1_11comp_targetILNS1_3genE10ELNS1_11target_archE1201ELNS1_3gpuE5ELNS1_3repE0EEENS1_30default_config_static_selectorELNS0_4arch9wavefront6targetE1EEEvT1_
	.globl	_ZN7rocprim17ROCPRIM_400000_NS6detail17trampoline_kernelINS0_14default_configENS1_25transform_config_selectorI3IntLb1EEEZNS1_14transform_implILb1ES3_S6_PS5_S8_NS0_8identityIS5_EEEE10hipError_tT2_T3_mT4_P12ihipStream_tbEUlT_E_NS1_11comp_targetILNS1_3genE10ELNS1_11target_archE1201ELNS1_3gpuE5ELNS1_3repE0EEENS1_30default_config_static_selectorELNS0_4arch9wavefront6targetE1EEEvT1_
	.p2align	8
	.type	_ZN7rocprim17ROCPRIM_400000_NS6detail17trampoline_kernelINS0_14default_configENS1_25transform_config_selectorI3IntLb1EEEZNS1_14transform_implILb1ES3_S6_PS5_S8_NS0_8identityIS5_EEEE10hipError_tT2_T3_mT4_P12ihipStream_tbEUlT_E_NS1_11comp_targetILNS1_3genE10ELNS1_11target_archE1201ELNS1_3gpuE5ELNS1_3repE0EEENS1_30default_config_static_selectorELNS0_4arch9wavefront6targetE1EEEvT1_,@function
_ZN7rocprim17ROCPRIM_400000_NS6detail17trampoline_kernelINS0_14default_configENS1_25transform_config_selectorI3IntLb1EEEZNS1_14transform_implILb1ES3_S6_PS5_S8_NS0_8identityIS5_EEEE10hipError_tT2_T3_mT4_P12ihipStream_tbEUlT_E_NS1_11comp_targetILNS1_3genE10ELNS1_11target_archE1201ELNS1_3gpuE5ELNS1_3repE0EEENS1_30default_config_static_selectorELNS0_4arch9wavefront6targetE1EEEvT1_: ; @_ZN7rocprim17ROCPRIM_400000_NS6detail17trampoline_kernelINS0_14default_configENS1_25transform_config_selectorI3IntLb1EEEZNS1_14transform_implILb1ES3_S6_PS5_S8_NS0_8identityIS5_EEEE10hipError_tT2_T3_mT4_P12ihipStream_tbEUlT_E_NS1_11comp_targetILNS1_3genE10ELNS1_11target_archE1201ELNS1_3gpuE5ELNS1_3repE0EEENS1_30default_config_static_selectorELNS0_4arch9wavefront6targetE1EEEvT1_
; %bb.0:
	.section	.rodata,"a",@progbits
	.p2align	6, 0x0
	.amdhsa_kernel _ZN7rocprim17ROCPRIM_400000_NS6detail17trampoline_kernelINS0_14default_configENS1_25transform_config_selectorI3IntLb1EEEZNS1_14transform_implILb1ES3_S6_PS5_S8_NS0_8identityIS5_EEEE10hipError_tT2_T3_mT4_P12ihipStream_tbEUlT_E_NS1_11comp_targetILNS1_3genE10ELNS1_11target_archE1201ELNS1_3gpuE5ELNS1_3repE0EEENS1_30default_config_static_selectorELNS0_4arch9wavefront6targetE1EEEvT1_
		.amdhsa_group_segment_fixed_size 0
		.amdhsa_private_segment_fixed_size 0
		.amdhsa_kernarg_size 40
		.amdhsa_user_sgpr_count 6
		.amdhsa_user_sgpr_private_segment_buffer 1
		.amdhsa_user_sgpr_dispatch_ptr 0
		.amdhsa_user_sgpr_queue_ptr 0
		.amdhsa_user_sgpr_kernarg_segment_ptr 1
		.amdhsa_user_sgpr_dispatch_id 0
		.amdhsa_user_sgpr_flat_scratch_init 0
		.amdhsa_user_sgpr_kernarg_preload_length 0
		.amdhsa_user_sgpr_kernarg_preload_offset 0
		.amdhsa_user_sgpr_private_segment_size 0
		.amdhsa_uses_dynamic_stack 0
		.amdhsa_system_sgpr_private_segment_wavefront_offset 0
		.amdhsa_system_sgpr_workgroup_id_x 1
		.amdhsa_system_sgpr_workgroup_id_y 0
		.amdhsa_system_sgpr_workgroup_id_z 0
		.amdhsa_system_sgpr_workgroup_info 0
		.amdhsa_system_vgpr_workitem_id 0
		.amdhsa_next_free_vgpr 1
		.amdhsa_next_free_sgpr 0
		.amdhsa_accum_offset 4
		.amdhsa_reserve_vcc 0
		.amdhsa_reserve_flat_scratch 0
		.amdhsa_float_round_mode_32 0
		.amdhsa_float_round_mode_16_64 0
		.amdhsa_float_denorm_mode_32 3
		.amdhsa_float_denorm_mode_16_64 3
		.amdhsa_dx10_clamp 1
		.amdhsa_ieee_mode 1
		.amdhsa_fp16_overflow 0
		.amdhsa_tg_split 0
		.amdhsa_exception_fp_ieee_invalid_op 0
		.amdhsa_exception_fp_denorm_src 0
		.amdhsa_exception_fp_ieee_div_zero 0
		.amdhsa_exception_fp_ieee_overflow 0
		.amdhsa_exception_fp_ieee_underflow 0
		.amdhsa_exception_fp_ieee_inexact 0
		.amdhsa_exception_int_div_zero 0
	.end_amdhsa_kernel
	.section	.text._ZN7rocprim17ROCPRIM_400000_NS6detail17trampoline_kernelINS0_14default_configENS1_25transform_config_selectorI3IntLb1EEEZNS1_14transform_implILb1ES3_S6_PS5_S8_NS0_8identityIS5_EEEE10hipError_tT2_T3_mT4_P12ihipStream_tbEUlT_E_NS1_11comp_targetILNS1_3genE10ELNS1_11target_archE1201ELNS1_3gpuE5ELNS1_3repE0EEENS1_30default_config_static_selectorELNS0_4arch9wavefront6targetE1EEEvT1_,"axG",@progbits,_ZN7rocprim17ROCPRIM_400000_NS6detail17trampoline_kernelINS0_14default_configENS1_25transform_config_selectorI3IntLb1EEEZNS1_14transform_implILb1ES3_S6_PS5_S8_NS0_8identityIS5_EEEE10hipError_tT2_T3_mT4_P12ihipStream_tbEUlT_E_NS1_11comp_targetILNS1_3genE10ELNS1_11target_archE1201ELNS1_3gpuE5ELNS1_3repE0EEENS1_30default_config_static_selectorELNS0_4arch9wavefront6targetE1EEEvT1_,comdat
.Lfunc_end6907:
	.size	_ZN7rocprim17ROCPRIM_400000_NS6detail17trampoline_kernelINS0_14default_configENS1_25transform_config_selectorI3IntLb1EEEZNS1_14transform_implILb1ES3_S6_PS5_S8_NS0_8identityIS5_EEEE10hipError_tT2_T3_mT4_P12ihipStream_tbEUlT_E_NS1_11comp_targetILNS1_3genE10ELNS1_11target_archE1201ELNS1_3gpuE5ELNS1_3repE0EEENS1_30default_config_static_selectorELNS0_4arch9wavefront6targetE1EEEvT1_, .Lfunc_end6907-_ZN7rocprim17ROCPRIM_400000_NS6detail17trampoline_kernelINS0_14default_configENS1_25transform_config_selectorI3IntLb1EEEZNS1_14transform_implILb1ES3_S6_PS5_S8_NS0_8identityIS5_EEEE10hipError_tT2_T3_mT4_P12ihipStream_tbEUlT_E_NS1_11comp_targetILNS1_3genE10ELNS1_11target_archE1201ELNS1_3gpuE5ELNS1_3repE0EEENS1_30default_config_static_selectorELNS0_4arch9wavefront6targetE1EEEvT1_
                                        ; -- End function
	.section	.AMDGPU.csdata,"",@progbits
; Kernel info:
; codeLenInByte = 0
; NumSgprs: 4
; NumVgprs: 0
; NumAgprs: 0
; TotalNumVgprs: 0
; ScratchSize: 0
; MemoryBound: 0
; FloatMode: 240
; IeeeMode: 1
; LDSByteSize: 0 bytes/workgroup (compile time only)
; SGPRBlocks: 0
; VGPRBlocks: 0
; NumSGPRsForWavesPerEU: 4
; NumVGPRsForWavesPerEU: 1
; AccumOffset: 4
; Occupancy: 8
; WaveLimiterHint : 0
; COMPUTE_PGM_RSRC2:SCRATCH_EN: 0
; COMPUTE_PGM_RSRC2:USER_SGPR: 6
; COMPUTE_PGM_RSRC2:TRAP_HANDLER: 0
; COMPUTE_PGM_RSRC2:TGID_X_EN: 1
; COMPUTE_PGM_RSRC2:TGID_Y_EN: 0
; COMPUTE_PGM_RSRC2:TGID_Z_EN: 0
; COMPUTE_PGM_RSRC2:TIDIG_COMP_CNT: 0
; COMPUTE_PGM_RSRC3_GFX90A:ACCUM_OFFSET: 0
; COMPUTE_PGM_RSRC3_GFX90A:TG_SPLIT: 0
	.section	.text._ZN7rocprim17ROCPRIM_400000_NS6detail17trampoline_kernelINS0_14default_configENS1_25transform_config_selectorI3IntLb1EEEZNS1_14transform_implILb1ES3_S6_PS5_S8_NS0_8identityIS5_EEEE10hipError_tT2_T3_mT4_P12ihipStream_tbEUlT_E_NS1_11comp_targetILNS1_3genE5ELNS1_11target_archE942ELNS1_3gpuE9ELNS1_3repE0EEENS1_30default_config_static_selectorELNS0_4arch9wavefront6targetE1EEEvT1_,"axG",@progbits,_ZN7rocprim17ROCPRIM_400000_NS6detail17trampoline_kernelINS0_14default_configENS1_25transform_config_selectorI3IntLb1EEEZNS1_14transform_implILb1ES3_S6_PS5_S8_NS0_8identityIS5_EEEE10hipError_tT2_T3_mT4_P12ihipStream_tbEUlT_E_NS1_11comp_targetILNS1_3genE5ELNS1_11target_archE942ELNS1_3gpuE9ELNS1_3repE0EEENS1_30default_config_static_selectorELNS0_4arch9wavefront6targetE1EEEvT1_,comdat
	.protected	_ZN7rocprim17ROCPRIM_400000_NS6detail17trampoline_kernelINS0_14default_configENS1_25transform_config_selectorI3IntLb1EEEZNS1_14transform_implILb1ES3_S6_PS5_S8_NS0_8identityIS5_EEEE10hipError_tT2_T3_mT4_P12ihipStream_tbEUlT_E_NS1_11comp_targetILNS1_3genE5ELNS1_11target_archE942ELNS1_3gpuE9ELNS1_3repE0EEENS1_30default_config_static_selectorELNS0_4arch9wavefront6targetE1EEEvT1_ ; -- Begin function _ZN7rocprim17ROCPRIM_400000_NS6detail17trampoline_kernelINS0_14default_configENS1_25transform_config_selectorI3IntLb1EEEZNS1_14transform_implILb1ES3_S6_PS5_S8_NS0_8identityIS5_EEEE10hipError_tT2_T3_mT4_P12ihipStream_tbEUlT_E_NS1_11comp_targetILNS1_3genE5ELNS1_11target_archE942ELNS1_3gpuE9ELNS1_3repE0EEENS1_30default_config_static_selectorELNS0_4arch9wavefront6targetE1EEEvT1_
	.globl	_ZN7rocprim17ROCPRIM_400000_NS6detail17trampoline_kernelINS0_14default_configENS1_25transform_config_selectorI3IntLb1EEEZNS1_14transform_implILb1ES3_S6_PS5_S8_NS0_8identityIS5_EEEE10hipError_tT2_T3_mT4_P12ihipStream_tbEUlT_E_NS1_11comp_targetILNS1_3genE5ELNS1_11target_archE942ELNS1_3gpuE9ELNS1_3repE0EEENS1_30default_config_static_selectorELNS0_4arch9wavefront6targetE1EEEvT1_
	.p2align	8
	.type	_ZN7rocprim17ROCPRIM_400000_NS6detail17trampoline_kernelINS0_14default_configENS1_25transform_config_selectorI3IntLb1EEEZNS1_14transform_implILb1ES3_S6_PS5_S8_NS0_8identityIS5_EEEE10hipError_tT2_T3_mT4_P12ihipStream_tbEUlT_E_NS1_11comp_targetILNS1_3genE5ELNS1_11target_archE942ELNS1_3gpuE9ELNS1_3repE0EEENS1_30default_config_static_selectorELNS0_4arch9wavefront6targetE1EEEvT1_,@function
_ZN7rocprim17ROCPRIM_400000_NS6detail17trampoline_kernelINS0_14default_configENS1_25transform_config_selectorI3IntLb1EEEZNS1_14transform_implILb1ES3_S6_PS5_S8_NS0_8identityIS5_EEEE10hipError_tT2_T3_mT4_P12ihipStream_tbEUlT_E_NS1_11comp_targetILNS1_3genE5ELNS1_11target_archE942ELNS1_3gpuE9ELNS1_3repE0EEENS1_30default_config_static_selectorELNS0_4arch9wavefront6targetE1EEEvT1_: ; @_ZN7rocprim17ROCPRIM_400000_NS6detail17trampoline_kernelINS0_14default_configENS1_25transform_config_selectorI3IntLb1EEEZNS1_14transform_implILb1ES3_S6_PS5_S8_NS0_8identityIS5_EEEE10hipError_tT2_T3_mT4_P12ihipStream_tbEUlT_E_NS1_11comp_targetILNS1_3genE5ELNS1_11target_archE942ELNS1_3gpuE9ELNS1_3repE0EEENS1_30default_config_static_selectorELNS0_4arch9wavefront6targetE1EEEvT1_
; %bb.0:
	.section	.rodata,"a",@progbits
	.p2align	6, 0x0
	.amdhsa_kernel _ZN7rocprim17ROCPRIM_400000_NS6detail17trampoline_kernelINS0_14default_configENS1_25transform_config_selectorI3IntLb1EEEZNS1_14transform_implILb1ES3_S6_PS5_S8_NS0_8identityIS5_EEEE10hipError_tT2_T3_mT4_P12ihipStream_tbEUlT_E_NS1_11comp_targetILNS1_3genE5ELNS1_11target_archE942ELNS1_3gpuE9ELNS1_3repE0EEENS1_30default_config_static_selectorELNS0_4arch9wavefront6targetE1EEEvT1_
		.amdhsa_group_segment_fixed_size 0
		.amdhsa_private_segment_fixed_size 0
		.amdhsa_kernarg_size 40
		.amdhsa_user_sgpr_count 6
		.amdhsa_user_sgpr_private_segment_buffer 1
		.amdhsa_user_sgpr_dispatch_ptr 0
		.amdhsa_user_sgpr_queue_ptr 0
		.amdhsa_user_sgpr_kernarg_segment_ptr 1
		.amdhsa_user_sgpr_dispatch_id 0
		.amdhsa_user_sgpr_flat_scratch_init 0
		.amdhsa_user_sgpr_kernarg_preload_length 0
		.amdhsa_user_sgpr_kernarg_preload_offset 0
		.amdhsa_user_sgpr_private_segment_size 0
		.amdhsa_uses_dynamic_stack 0
		.amdhsa_system_sgpr_private_segment_wavefront_offset 0
		.amdhsa_system_sgpr_workgroup_id_x 1
		.amdhsa_system_sgpr_workgroup_id_y 0
		.amdhsa_system_sgpr_workgroup_id_z 0
		.amdhsa_system_sgpr_workgroup_info 0
		.amdhsa_system_vgpr_workitem_id 0
		.amdhsa_next_free_vgpr 1
		.amdhsa_next_free_sgpr 0
		.amdhsa_accum_offset 4
		.amdhsa_reserve_vcc 0
		.amdhsa_reserve_flat_scratch 0
		.amdhsa_float_round_mode_32 0
		.amdhsa_float_round_mode_16_64 0
		.amdhsa_float_denorm_mode_32 3
		.amdhsa_float_denorm_mode_16_64 3
		.amdhsa_dx10_clamp 1
		.amdhsa_ieee_mode 1
		.amdhsa_fp16_overflow 0
		.amdhsa_tg_split 0
		.amdhsa_exception_fp_ieee_invalid_op 0
		.amdhsa_exception_fp_denorm_src 0
		.amdhsa_exception_fp_ieee_div_zero 0
		.amdhsa_exception_fp_ieee_overflow 0
		.amdhsa_exception_fp_ieee_underflow 0
		.amdhsa_exception_fp_ieee_inexact 0
		.amdhsa_exception_int_div_zero 0
	.end_amdhsa_kernel
	.section	.text._ZN7rocprim17ROCPRIM_400000_NS6detail17trampoline_kernelINS0_14default_configENS1_25transform_config_selectorI3IntLb1EEEZNS1_14transform_implILb1ES3_S6_PS5_S8_NS0_8identityIS5_EEEE10hipError_tT2_T3_mT4_P12ihipStream_tbEUlT_E_NS1_11comp_targetILNS1_3genE5ELNS1_11target_archE942ELNS1_3gpuE9ELNS1_3repE0EEENS1_30default_config_static_selectorELNS0_4arch9wavefront6targetE1EEEvT1_,"axG",@progbits,_ZN7rocprim17ROCPRIM_400000_NS6detail17trampoline_kernelINS0_14default_configENS1_25transform_config_selectorI3IntLb1EEEZNS1_14transform_implILb1ES3_S6_PS5_S8_NS0_8identityIS5_EEEE10hipError_tT2_T3_mT4_P12ihipStream_tbEUlT_E_NS1_11comp_targetILNS1_3genE5ELNS1_11target_archE942ELNS1_3gpuE9ELNS1_3repE0EEENS1_30default_config_static_selectorELNS0_4arch9wavefront6targetE1EEEvT1_,comdat
.Lfunc_end6908:
	.size	_ZN7rocprim17ROCPRIM_400000_NS6detail17trampoline_kernelINS0_14default_configENS1_25transform_config_selectorI3IntLb1EEEZNS1_14transform_implILb1ES3_S6_PS5_S8_NS0_8identityIS5_EEEE10hipError_tT2_T3_mT4_P12ihipStream_tbEUlT_E_NS1_11comp_targetILNS1_3genE5ELNS1_11target_archE942ELNS1_3gpuE9ELNS1_3repE0EEENS1_30default_config_static_selectorELNS0_4arch9wavefront6targetE1EEEvT1_, .Lfunc_end6908-_ZN7rocprim17ROCPRIM_400000_NS6detail17trampoline_kernelINS0_14default_configENS1_25transform_config_selectorI3IntLb1EEEZNS1_14transform_implILb1ES3_S6_PS5_S8_NS0_8identityIS5_EEEE10hipError_tT2_T3_mT4_P12ihipStream_tbEUlT_E_NS1_11comp_targetILNS1_3genE5ELNS1_11target_archE942ELNS1_3gpuE9ELNS1_3repE0EEENS1_30default_config_static_selectorELNS0_4arch9wavefront6targetE1EEEvT1_
                                        ; -- End function
	.section	.AMDGPU.csdata,"",@progbits
; Kernel info:
; codeLenInByte = 0
; NumSgprs: 4
; NumVgprs: 0
; NumAgprs: 0
; TotalNumVgprs: 0
; ScratchSize: 0
; MemoryBound: 0
; FloatMode: 240
; IeeeMode: 1
; LDSByteSize: 0 bytes/workgroup (compile time only)
; SGPRBlocks: 0
; VGPRBlocks: 0
; NumSGPRsForWavesPerEU: 4
; NumVGPRsForWavesPerEU: 1
; AccumOffset: 4
; Occupancy: 8
; WaveLimiterHint : 0
; COMPUTE_PGM_RSRC2:SCRATCH_EN: 0
; COMPUTE_PGM_RSRC2:USER_SGPR: 6
; COMPUTE_PGM_RSRC2:TRAP_HANDLER: 0
; COMPUTE_PGM_RSRC2:TGID_X_EN: 1
; COMPUTE_PGM_RSRC2:TGID_Y_EN: 0
; COMPUTE_PGM_RSRC2:TGID_Z_EN: 0
; COMPUTE_PGM_RSRC2:TIDIG_COMP_CNT: 0
; COMPUTE_PGM_RSRC3_GFX90A:ACCUM_OFFSET: 0
; COMPUTE_PGM_RSRC3_GFX90A:TG_SPLIT: 0
	.section	.text._ZN7rocprim17ROCPRIM_400000_NS6detail17trampoline_kernelINS0_14default_configENS1_25transform_config_selectorI3IntLb1EEEZNS1_14transform_implILb1ES3_S6_PS5_S8_NS0_8identityIS5_EEEE10hipError_tT2_T3_mT4_P12ihipStream_tbEUlT_E_NS1_11comp_targetILNS1_3genE4ELNS1_11target_archE910ELNS1_3gpuE8ELNS1_3repE0EEENS1_30default_config_static_selectorELNS0_4arch9wavefront6targetE1EEEvT1_,"axG",@progbits,_ZN7rocprim17ROCPRIM_400000_NS6detail17trampoline_kernelINS0_14default_configENS1_25transform_config_selectorI3IntLb1EEEZNS1_14transform_implILb1ES3_S6_PS5_S8_NS0_8identityIS5_EEEE10hipError_tT2_T3_mT4_P12ihipStream_tbEUlT_E_NS1_11comp_targetILNS1_3genE4ELNS1_11target_archE910ELNS1_3gpuE8ELNS1_3repE0EEENS1_30default_config_static_selectorELNS0_4arch9wavefront6targetE1EEEvT1_,comdat
	.protected	_ZN7rocprim17ROCPRIM_400000_NS6detail17trampoline_kernelINS0_14default_configENS1_25transform_config_selectorI3IntLb1EEEZNS1_14transform_implILb1ES3_S6_PS5_S8_NS0_8identityIS5_EEEE10hipError_tT2_T3_mT4_P12ihipStream_tbEUlT_E_NS1_11comp_targetILNS1_3genE4ELNS1_11target_archE910ELNS1_3gpuE8ELNS1_3repE0EEENS1_30default_config_static_selectorELNS0_4arch9wavefront6targetE1EEEvT1_ ; -- Begin function _ZN7rocprim17ROCPRIM_400000_NS6detail17trampoline_kernelINS0_14default_configENS1_25transform_config_selectorI3IntLb1EEEZNS1_14transform_implILb1ES3_S6_PS5_S8_NS0_8identityIS5_EEEE10hipError_tT2_T3_mT4_P12ihipStream_tbEUlT_E_NS1_11comp_targetILNS1_3genE4ELNS1_11target_archE910ELNS1_3gpuE8ELNS1_3repE0EEENS1_30default_config_static_selectorELNS0_4arch9wavefront6targetE1EEEvT1_
	.globl	_ZN7rocprim17ROCPRIM_400000_NS6detail17trampoline_kernelINS0_14default_configENS1_25transform_config_selectorI3IntLb1EEEZNS1_14transform_implILb1ES3_S6_PS5_S8_NS0_8identityIS5_EEEE10hipError_tT2_T3_mT4_P12ihipStream_tbEUlT_E_NS1_11comp_targetILNS1_3genE4ELNS1_11target_archE910ELNS1_3gpuE8ELNS1_3repE0EEENS1_30default_config_static_selectorELNS0_4arch9wavefront6targetE1EEEvT1_
	.p2align	8
	.type	_ZN7rocprim17ROCPRIM_400000_NS6detail17trampoline_kernelINS0_14default_configENS1_25transform_config_selectorI3IntLb1EEEZNS1_14transform_implILb1ES3_S6_PS5_S8_NS0_8identityIS5_EEEE10hipError_tT2_T3_mT4_P12ihipStream_tbEUlT_E_NS1_11comp_targetILNS1_3genE4ELNS1_11target_archE910ELNS1_3gpuE8ELNS1_3repE0EEENS1_30default_config_static_selectorELNS0_4arch9wavefront6targetE1EEEvT1_,@function
_ZN7rocprim17ROCPRIM_400000_NS6detail17trampoline_kernelINS0_14default_configENS1_25transform_config_selectorI3IntLb1EEEZNS1_14transform_implILb1ES3_S6_PS5_S8_NS0_8identityIS5_EEEE10hipError_tT2_T3_mT4_P12ihipStream_tbEUlT_E_NS1_11comp_targetILNS1_3genE4ELNS1_11target_archE910ELNS1_3gpuE8ELNS1_3repE0EEENS1_30default_config_static_selectorELNS0_4arch9wavefront6targetE1EEEvT1_: ; @_ZN7rocprim17ROCPRIM_400000_NS6detail17trampoline_kernelINS0_14default_configENS1_25transform_config_selectorI3IntLb1EEEZNS1_14transform_implILb1ES3_S6_PS5_S8_NS0_8identityIS5_EEEE10hipError_tT2_T3_mT4_P12ihipStream_tbEUlT_E_NS1_11comp_targetILNS1_3genE4ELNS1_11target_archE910ELNS1_3gpuE8ELNS1_3repE0EEENS1_30default_config_static_selectorELNS0_4arch9wavefront6targetE1EEEvT1_
; %bb.0:
	s_load_dwordx8 s[8:15], s[4:5], 0x0
	s_load_dword s2, s[4:5], 0x28
	s_waitcnt lgkmcnt(0)
	s_lshl_b64 s[0:1], s[10:11], 2
	s_add_u32 s3, s8, s0
	s_addc_u32 s4, s9, s1
	s_add_u32 s13, s14, s0
	s_addc_u32 s14, s15, s1
	s_lshl_b32 s0, s6, 12
	s_mov_b32 s1, 0
	s_add_i32 s2, s2, -1
	s_lshl_b64 s[8:9], s[0:1], 2
	s_add_u32 s10, s3, s8
	s_addc_u32 s11, s4, s9
	s_cmp_lg_u32 s6, s2
	s_mov_b64 s[2:3], -1
	s_cbranch_scc0 .LBB6909_2
; %bb.1:
	v_lshlrev_b32_e32 v1, 4, v0
	global_load_dwordx4 v[2:5], v1, s[10:11]
	s_add_u32 s2, s13, s8
	s_addc_u32 s3, s14, s9
	s_waitcnt vmcnt(0)
	global_store_dwordx4 v1, v[2:5], s[2:3]
	s_mov_b64 s[2:3], 0
.LBB6909_2:
	s_andn2_b64 vcc, exec, s[2:3]
	s_cbranch_vccnz .LBB6909_16
; %bb.3:
	s_sub_i32 s6, s12, s0
	v_cmp_gt_u32_e32 vcc, s6, v0
	v_mov_b32_e32 v2, 0
	v_lshlrev_b32_e32 v1, 2, v0
	v_mov_b32_e32 v4, 0
	s_and_saveexec_b64 s[0:1], vcc
	s_cbranch_execz .LBB6909_5
; %bb.4:
	global_load_dword v4, v1, s[10:11]
.LBB6909_5:
	s_or_b64 exec, exec, s[0:1]
	v_or_b32_e32 v3, 0x400, v0
	v_cmp_gt_u32_e64 s[0:1], s6, v3
	s_and_saveexec_b64 s[2:3], s[0:1]
	s_cbranch_execz .LBB6909_7
; %bb.6:
	v_lshlrev_b32_e32 v2, 2, v3
	global_load_dword v2, v2, s[10:11]
.LBB6909_7:
	s_or_b64 exec, exec, s[2:3]
	v_or_b32_e32 v6, 0x800, v0
	v_cmp_gt_u32_e64 s[2:3], s6, v6
	v_mov_b32_e32 v3, 0
	v_mov_b32_e32 v5, 0
	s_and_saveexec_b64 s[4:5], s[2:3]
	s_cbranch_execz .LBB6909_9
; %bb.8:
	v_lshlrev_b32_e32 v5, 2, v6
	global_load_dword v5, v5, s[10:11]
.LBB6909_9:
	s_or_b64 exec, exec, s[4:5]
	v_or_b32_e32 v0, 0xc00, v0
	v_cmp_gt_u32_e64 s[4:5], s6, v0
	s_and_saveexec_b64 s[6:7], s[4:5]
	s_cbranch_execz .LBB6909_11
; %bb.10:
	v_lshlrev_b32_e32 v0, 2, v0
	global_load_dword v3, v0, s[10:11]
.LBB6909_11:
	s_or_b64 exec, exec, s[6:7]
	s_add_u32 s6, s13, s8
	s_addc_u32 s7, s14, s9
	v_mov_b32_e32 v6, s7
	v_add_co_u32_e64 v0, s[6:7], s6, v1
	v_addc_co_u32_e64 v1, s[6:7], 0, v6, s[6:7]
	s_and_saveexec_b64 s[6:7], vcc
	s_cbranch_execnz .LBB6909_17
; %bb.12:
	s_or_b64 exec, exec, s[6:7]
	s_and_saveexec_b64 s[6:7], s[0:1]
	s_cbranch_execnz .LBB6909_18
.LBB6909_13:
	s_or_b64 exec, exec, s[6:7]
	s_and_saveexec_b64 s[0:1], s[2:3]
	s_cbranch_execnz .LBB6909_19
.LBB6909_14:
	s_or_b64 exec, exec, s[0:1]
	s_and_saveexec_b64 s[0:1], s[4:5]
	s_cbranch_execz .LBB6909_16
.LBB6909_15:
	v_add_co_u32_e32 v0, vcc, 0x3000, v0
	v_addc_co_u32_e32 v1, vcc, 0, v1, vcc
	s_waitcnt vmcnt(0)
	global_store_dword v[0:1], v3, off
.LBB6909_16:
	s_endpgm
.LBB6909_17:
	s_waitcnt vmcnt(0)
	global_store_dword v[0:1], v4, off
	s_or_b64 exec, exec, s[6:7]
	s_and_saveexec_b64 s[6:7], s[0:1]
	s_cbranch_execz .LBB6909_13
.LBB6909_18:
	v_add_co_u32_e32 v6, vcc, 0x1000, v0
	v_addc_co_u32_e32 v7, vcc, 0, v1, vcc
	s_waitcnt vmcnt(0)
	global_store_dword v[6:7], v2, off
	s_or_b64 exec, exec, s[6:7]
	s_and_saveexec_b64 s[0:1], s[2:3]
	s_cbranch_execz .LBB6909_14
.LBB6909_19:
	v_add_co_u32_e32 v6, vcc, 0x2000, v0
	v_addc_co_u32_e32 v7, vcc, 0, v1, vcc
	s_waitcnt vmcnt(0)
	global_store_dword v[6:7], v5, off
	s_or_b64 exec, exec, s[0:1]
	s_and_saveexec_b64 s[0:1], s[4:5]
	s_cbranch_execnz .LBB6909_15
	s_branch .LBB6909_16
	.section	.rodata,"a",@progbits
	.p2align	6, 0x0
	.amdhsa_kernel _ZN7rocprim17ROCPRIM_400000_NS6detail17trampoline_kernelINS0_14default_configENS1_25transform_config_selectorI3IntLb1EEEZNS1_14transform_implILb1ES3_S6_PS5_S8_NS0_8identityIS5_EEEE10hipError_tT2_T3_mT4_P12ihipStream_tbEUlT_E_NS1_11comp_targetILNS1_3genE4ELNS1_11target_archE910ELNS1_3gpuE8ELNS1_3repE0EEENS1_30default_config_static_selectorELNS0_4arch9wavefront6targetE1EEEvT1_
		.amdhsa_group_segment_fixed_size 0
		.amdhsa_private_segment_fixed_size 0
		.amdhsa_kernarg_size 296
		.amdhsa_user_sgpr_count 6
		.amdhsa_user_sgpr_private_segment_buffer 1
		.amdhsa_user_sgpr_dispatch_ptr 0
		.amdhsa_user_sgpr_queue_ptr 0
		.amdhsa_user_sgpr_kernarg_segment_ptr 1
		.amdhsa_user_sgpr_dispatch_id 0
		.amdhsa_user_sgpr_flat_scratch_init 0
		.amdhsa_user_sgpr_kernarg_preload_length 0
		.amdhsa_user_sgpr_kernarg_preload_offset 0
		.amdhsa_user_sgpr_private_segment_size 0
		.amdhsa_uses_dynamic_stack 0
		.amdhsa_system_sgpr_private_segment_wavefront_offset 0
		.amdhsa_system_sgpr_workgroup_id_x 1
		.amdhsa_system_sgpr_workgroup_id_y 0
		.amdhsa_system_sgpr_workgroup_id_z 0
		.amdhsa_system_sgpr_workgroup_info 0
		.amdhsa_system_vgpr_workitem_id 0
		.amdhsa_next_free_vgpr 8
		.amdhsa_next_free_sgpr 16
		.amdhsa_accum_offset 8
		.amdhsa_reserve_vcc 1
		.amdhsa_reserve_flat_scratch 0
		.amdhsa_float_round_mode_32 0
		.amdhsa_float_round_mode_16_64 0
		.amdhsa_float_denorm_mode_32 3
		.amdhsa_float_denorm_mode_16_64 3
		.amdhsa_dx10_clamp 1
		.amdhsa_ieee_mode 1
		.amdhsa_fp16_overflow 0
		.amdhsa_tg_split 0
		.amdhsa_exception_fp_ieee_invalid_op 0
		.amdhsa_exception_fp_denorm_src 0
		.amdhsa_exception_fp_ieee_div_zero 0
		.amdhsa_exception_fp_ieee_overflow 0
		.amdhsa_exception_fp_ieee_underflow 0
		.amdhsa_exception_fp_ieee_inexact 0
		.amdhsa_exception_int_div_zero 0
	.end_amdhsa_kernel
	.section	.text._ZN7rocprim17ROCPRIM_400000_NS6detail17trampoline_kernelINS0_14default_configENS1_25transform_config_selectorI3IntLb1EEEZNS1_14transform_implILb1ES3_S6_PS5_S8_NS0_8identityIS5_EEEE10hipError_tT2_T3_mT4_P12ihipStream_tbEUlT_E_NS1_11comp_targetILNS1_3genE4ELNS1_11target_archE910ELNS1_3gpuE8ELNS1_3repE0EEENS1_30default_config_static_selectorELNS0_4arch9wavefront6targetE1EEEvT1_,"axG",@progbits,_ZN7rocprim17ROCPRIM_400000_NS6detail17trampoline_kernelINS0_14default_configENS1_25transform_config_selectorI3IntLb1EEEZNS1_14transform_implILb1ES3_S6_PS5_S8_NS0_8identityIS5_EEEE10hipError_tT2_T3_mT4_P12ihipStream_tbEUlT_E_NS1_11comp_targetILNS1_3genE4ELNS1_11target_archE910ELNS1_3gpuE8ELNS1_3repE0EEENS1_30default_config_static_selectorELNS0_4arch9wavefront6targetE1EEEvT1_,comdat
.Lfunc_end6909:
	.size	_ZN7rocprim17ROCPRIM_400000_NS6detail17trampoline_kernelINS0_14default_configENS1_25transform_config_selectorI3IntLb1EEEZNS1_14transform_implILb1ES3_S6_PS5_S8_NS0_8identityIS5_EEEE10hipError_tT2_T3_mT4_P12ihipStream_tbEUlT_E_NS1_11comp_targetILNS1_3genE4ELNS1_11target_archE910ELNS1_3gpuE8ELNS1_3repE0EEENS1_30default_config_static_selectorELNS0_4arch9wavefront6targetE1EEEvT1_, .Lfunc_end6909-_ZN7rocprim17ROCPRIM_400000_NS6detail17trampoline_kernelINS0_14default_configENS1_25transform_config_selectorI3IntLb1EEEZNS1_14transform_implILb1ES3_S6_PS5_S8_NS0_8identityIS5_EEEE10hipError_tT2_T3_mT4_P12ihipStream_tbEUlT_E_NS1_11comp_targetILNS1_3genE4ELNS1_11target_archE910ELNS1_3gpuE8ELNS1_3repE0EEENS1_30default_config_static_selectorELNS0_4arch9wavefront6targetE1EEEvT1_
                                        ; -- End function
	.section	.AMDGPU.csdata,"",@progbits
; Kernel info:
; codeLenInByte = 488
; NumSgprs: 20
; NumVgprs: 8
; NumAgprs: 0
; TotalNumVgprs: 8
; ScratchSize: 0
; MemoryBound: 1
; FloatMode: 240
; IeeeMode: 1
; LDSByteSize: 0 bytes/workgroup (compile time only)
; SGPRBlocks: 2
; VGPRBlocks: 0
; NumSGPRsForWavesPerEU: 20
; NumVGPRsForWavesPerEU: 8
; AccumOffset: 8
; Occupancy: 8
; WaveLimiterHint : 0
; COMPUTE_PGM_RSRC2:SCRATCH_EN: 0
; COMPUTE_PGM_RSRC2:USER_SGPR: 6
; COMPUTE_PGM_RSRC2:TRAP_HANDLER: 0
; COMPUTE_PGM_RSRC2:TGID_X_EN: 1
; COMPUTE_PGM_RSRC2:TGID_Y_EN: 0
; COMPUTE_PGM_RSRC2:TGID_Z_EN: 0
; COMPUTE_PGM_RSRC2:TIDIG_COMP_CNT: 0
; COMPUTE_PGM_RSRC3_GFX90A:ACCUM_OFFSET: 1
; COMPUTE_PGM_RSRC3_GFX90A:TG_SPLIT: 0
	.section	.text._ZN7rocprim17ROCPRIM_400000_NS6detail17trampoline_kernelINS0_14default_configENS1_25transform_config_selectorI3IntLb1EEEZNS1_14transform_implILb1ES3_S6_PS5_S8_NS0_8identityIS5_EEEE10hipError_tT2_T3_mT4_P12ihipStream_tbEUlT_E_NS1_11comp_targetILNS1_3genE3ELNS1_11target_archE908ELNS1_3gpuE7ELNS1_3repE0EEENS1_30default_config_static_selectorELNS0_4arch9wavefront6targetE1EEEvT1_,"axG",@progbits,_ZN7rocprim17ROCPRIM_400000_NS6detail17trampoline_kernelINS0_14default_configENS1_25transform_config_selectorI3IntLb1EEEZNS1_14transform_implILb1ES3_S6_PS5_S8_NS0_8identityIS5_EEEE10hipError_tT2_T3_mT4_P12ihipStream_tbEUlT_E_NS1_11comp_targetILNS1_3genE3ELNS1_11target_archE908ELNS1_3gpuE7ELNS1_3repE0EEENS1_30default_config_static_selectorELNS0_4arch9wavefront6targetE1EEEvT1_,comdat
	.protected	_ZN7rocprim17ROCPRIM_400000_NS6detail17trampoline_kernelINS0_14default_configENS1_25transform_config_selectorI3IntLb1EEEZNS1_14transform_implILb1ES3_S6_PS5_S8_NS0_8identityIS5_EEEE10hipError_tT2_T3_mT4_P12ihipStream_tbEUlT_E_NS1_11comp_targetILNS1_3genE3ELNS1_11target_archE908ELNS1_3gpuE7ELNS1_3repE0EEENS1_30default_config_static_selectorELNS0_4arch9wavefront6targetE1EEEvT1_ ; -- Begin function _ZN7rocprim17ROCPRIM_400000_NS6detail17trampoline_kernelINS0_14default_configENS1_25transform_config_selectorI3IntLb1EEEZNS1_14transform_implILb1ES3_S6_PS5_S8_NS0_8identityIS5_EEEE10hipError_tT2_T3_mT4_P12ihipStream_tbEUlT_E_NS1_11comp_targetILNS1_3genE3ELNS1_11target_archE908ELNS1_3gpuE7ELNS1_3repE0EEENS1_30default_config_static_selectorELNS0_4arch9wavefront6targetE1EEEvT1_
	.globl	_ZN7rocprim17ROCPRIM_400000_NS6detail17trampoline_kernelINS0_14default_configENS1_25transform_config_selectorI3IntLb1EEEZNS1_14transform_implILb1ES3_S6_PS5_S8_NS0_8identityIS5_EEEE10hipError_tT2_T3_mT4_P12ihipStream_tbEUlT_E_NS1_11comp_targetILNS1_3genE3ELNS1_11target_archE908ELNS1_3gpuE7ELNS1_3repE0EEENS1_30default_config_static_selectorELNS0_4arch9wavefront6targetE1EEEvT1_
	.p2align	8
	.type	_ZN7rocprim17ROCPRIM_400000_NS6detail17trampoline_kernelINS0_14default_configENS1_25transform_config_selectorI3IntLb1EEEZNS1_14transform_implILb1ES3_S6_PS5_S8_NS0_8identityIS5_EEEE10hipError_tT2_T3_mT4_P12ihipStream_tbEUlT_E_NS1_11comp_targetILNS1_3genE3ELNS1_11target_archE908ELNS1_3gpuE7ELNS1_3repE0EEENS1_30default_config_static_selectorELNS0_4arch9wavefront6targetE1EEEvT1_,@function
_ZN7rocprim17ROCPRIM_400000_NS6detail17trampoline_kernelINS0_14default_configENS1_25transform_config_selectorI3IntLb1EEEZNS1_14transform_implILb1ES3_S6_PS5_S8_NS0_8identityIS5_EEEE10hipError_tT2_T3_mT4_P12ihipStream_tbEUlT_E_NS1_11comp_targetILNS1_3genE3ELNS1_11target_archE908ELNS1_3gpuE7ELNS1_3repE0EEENS1_30default_config_static_selectorELNS0_4arch9wavefront6targetE1EEEvT1_: ; @_ZN7rocprim17ROCPRIM_400000_NS6detail17trampoline_kernelINS0_14default_configENS1_25transform_config_selectorI3IntLb1EEEZNS1_14transform_implILb1ES3_S6_PS5_S8_NS0_8identityIS5_EEEE10hipError_tT2_T3_mT4_P12ihipStream_tbEUlT_E_NS1_11comp_targetILNS1_3genE3ELNS1_11target_archE908ELNS1_3gpuE7ELNS1_3repE0EEENS1_30default_config_static_selectorELNS0_4arch9wavefront6targetE1EEEvT1_
; %bb.0:
	.section	.rodata,"a",@progbits
	.p2align	6, 0x0
	.amdhsa_kernel _ZN7rocprim17ROCPRIM_400000_NS6detail17trampoline_kernelINS0_14default_configENS1_25transform_config_selectorI3IntLb1EEEZNS1_14transform_implILb1ES3_S6_PS5_S8_NS0_8identityIS5_EEEE10hipError_tT2_T3_mT4_P12ihipStream_tbEUlT_E_NS1_11comp_targetILNS1_3genE3ELNS1_11target_archE908ELNS1_3gpuE7ELNS1_3repE0EEENS1_30default_config_static_selectorELNS0_4arch9wavefront6targetE1EEEvT1_
		.amdhsa_group_segment_fixed_size 0
		.amdhsa_private_segment_fixed_size 0
		.amdhsa_kernarg_size 40
		.amdhsa_user_sgpr_count 6
		.amdhsa_user_sgpr_private_segment_buffer 1
		.amdhsa_user_sgpr_dispatch_ptr 0
		.amdhsa_user_sgpr_queue_ptr 0
		.amdhsa_user_sgpr_kernarg_segment_ptr 1
		.amdhsa_user_sgpr_dispatch_id 0
		.amdhsa_user_sgpr_flat_scratch_init 0
		.amdhsa_user_sgpr_kernarg_preload_length 0
		.amdhsa_user_sgpr_kernarg_preload_offset 0
		.amdhsa_user_sgpr_private_segment_size 0
		.amdhsa_uses_dynamic_stack 0
		.amdhsa_system_sgpr_private_segment_wavefront_offset 0
		.amdhsa_system_sgpr_workgroup_id_x 1
		.amdhsa_system_sgpr_workgroup_id_y 0
		.amdhsa_system_sgpr_workgroup_id_z 0
		.amdhsa_system_sgpr_workgroup_info 0
		.amdhsa_system_vgpr_workitem_id 0
		.amdhsa_next_free_vgpr 1
		.amdhsa_next_free_sgpr 0
		.amdhsa_accum_offset 4
		.amdhsa_reserve_vcc 0
		.amdhsa_reserve_flat_scratch 0
		.amdhsa_float_round_mode_32 0
		.amdhsa_float_round_mode_16_64 0
		.amdhsa_float_denorm_mode_32 3
		.amdhsa_float_denorm_mode_16_64 3
		.amdhsa_dx10_clamp 1
		.amdhsa_ieee_mode 1
		.amdhsa_fp16_overflow 0
		.amdhsa_tg_split 0
		.amdhsa_exception_fp_ieee_invalid_op 0
		.amdhsa_exception_fp_denorm_src 0
		.amdhsa_exception_fp_ieee_div_zero 0
		.amdhsa_exception_fp_ieee_overflow 0
		.amdhsa_exception_fp_ieee_underflow 0
		.amdhsa_exception_fp_ieee_inexact 0
		.amdhsa_exception_int_div_zero 0
	.end_amdhsa_kernel
	.section	.text._ZN7rocprim17ROCPRIM_400000_NS6detail17trampoline_kernelINS0_14default_configENS1_25transform_config_selectorI3IntLb1EEEZNS1_14transform_implILb1ES3_S6_PS5_S8_NS0_8identityIS5_EEEE10hipError_tT2_T3_mT4_P12ihipStream_tbEUlT_E_NS1_11comp_targetILNS1_3genE3ELNS1_11target_archE908ELNS1_3gpuE7ELNS1_3repE0EEENS1_30default_config_static_selectorELNS0_4arch9wavefront6targetE1EEEvT1_,"axG",@progbits,_ZN7rocprim17ROCPRIM_400000_NS6detail17trampoline_kernelINS0_14default_configENS1_25transform_config_selectorI3IntLb1EEEZNS1_14transform_implILb1ES3_S6_PS5_S8_NS0_8identityIS5_EEEE10hipError_tT2_T3_mT4_P12ihipStream_tbEUlT_E_NS1_11comp_targetILNS1_3genE3ELNS1_11target_archE908ELNS1_3gpuE7ELNS1_3repE0EEENS1_30default_config_static_selectorELNS0_4arch9wavefront6targetE1EEEvT1_,comdat
.Lfunc_end6910:
	.size	_ZN7rocprim17ROCPRIM_400000_NS6detail17trampoline_kernelINS0_14default_configENS1_25transform_config_selectorI3IntLb1EEEZNS1_14transform_implILb1ES3_S6_PS5_S8_NS0_8identityIS5_EEEE10hipError_tT2_T3_mT4_P12ihipStream_tbEUlT_E_NS1_11comp_targetILNS1_3genE3ELNS1_11target_archE908ELNS1_3gpuE7ELNS1_3repE0EEENS1_30default_config_static_selectorELNS0_4arch9wavefront6targetE1EEEvT1_, .Lfunc_end6910-_ZN7rocprim17ROCPRIM_400000_NS6detail17trampoline_kernelINS0_14default_configENS1_25transform_config_selectorI3IntLb1EEEZNS1_14transform_implILb1ES3_S6_PS5_S8_NS0_8identityIS5_EEEE10hipError_tT2_T3_mT4_P12ihipStream_tbEUlT_E_NS1_11comp_targetILNS1_3genE3ELNS1_11target_archE908ELNS1_3gpuE7ELNS1_3repE0EEENS1_30default_config_static_selectorELNS0_4arch9wavefront6targetE1EEEvT1_
                                        ; -- End function
	.section	.AMDGPU.csdata,"",@progbits
; Kernel info:
; codeLenInByte = 0
; NumSgprs: 4
; NumVgprs: 0
; NumAgprs: 0
; TotalNumVgprs: 0
; ScratchSize: 0
; MemoryBound: 0
; FloatMode: 240
; IeeeMode: 1
; LDSByteSize: 0 bytes/workgroup (compile time only)
; SGPRBlocks: 0
; VGPRBlocks: 0
; NumSGPRsForWavesPerEU: 4
; NumVGPRsForWavesPerEU: 1
; AccumOffset: 4
; Occupancy: 8
; WaveLimiterHint : 0
; COMPUTE_PGM_RSRC2:SCRATCH_EN: 0
; COMPUTE_PGM_RSRC2:USER_SGPR: 6
; COMPUTE_PGM_RSRC2:TRAP_HANDLER: 0
; COMPUTE_PGM_RSRC2:TGID_X_EN: 1
; COMPUTE_PGM_RSRC2:TGID_Y_EN: 0
; COMPUTE_PGM_RSRC2:TGID_Z_EN: 0
; COMPUTE_PGM_RSRC2:TIDIG_COMP_CNT: 0
; COMPUTE_PGM_RSRC3_GFX90A:ACCUM_OFFSET: 0
; COMPUTE_PGM_RSRC3_GFX90A:TG_SPLIT: 0
	.section	.text._ZN7rocprim17ROCPRIM_400000_NS6detail17trampoline_kernelINS0_14default_configENS1_25transform_config_selectorI3IntLb1EEEZNS1_14transform_implILb1ES3_S6_PS5_S8_NS0_8identityIS5_EEEE10hipError_tT2_T3_mT4_P12ihipStream_tbEUlT_E_NS1_11comp_targetILNS1_3genE2ELNS1_11target_archE906ELNS1_3gpuE6ELNS1_3repE0EEENS1_30default_config_static_selectorELNS0_4arch9wavefront6targetE1EEEvT1_,"axG",@progbits,_ZN7rocprim17ROCPRIM_400000_NS6detail17trampoline_kernelINS0_14default_configENS1_25transform_config_selectorI3IntLb1EEEZNS1_14transform_implILb1ES3_S6_PS5_S8_NS0_8identityIS5_EEEE10hipError_tT2_T3_mT4_P12ihipStream_tbEUlT_E_NS1_11comp_targetILNS1_3genE2ELNS1_11target_archE906ELNS1_3gpuE6ELNS1_3repE0EEENS1_30default_config_static_selectorELNS0_4arch9wavefront6targetE1EEEvT1_,comdat
	.protected	_ZN7rocprim17ROCPRIM_400000_NS6detail17trampoline_kernelINS0_14default_configENS1_25transform_config_selectorI3IntLb1EEEZNS1_14transform_implILb1ES3_S6_PS5_S8_NS0_8identityIS5_EEEE10hipError_tT2_T3_mT4_P12ihipStream_tbEUlT_E_NS1_11comp_targetILNS1_3genE2ELNS1_11target_archE906ELNS1_3gpuE6ELNS1_3repE0EEENS1_30default_config_static_selectorELNS0_4arch9wavefront6targetE1EEEvT1_ ; -- Begin function _ZN7rocprim17ROCPRIM_400000_NS6detail17trampoline_kernelINS0_14default_configENS1_25transform_config_selectorI3IntLb1EEEZNS1_14transform_implILb1ES3_S6_PS5_S8_NS0_8identityIS5_EEEE10hipError_tT2_T3_mT4_P12ihipStream_tbEUlT_E_NS1_11comp_targetILNS1_3genE2ELNS1_11target_archE906ELNS1_3gpuE6ELNS1_3repE0EEENS1_30default_config_static_selectorELNS0_4arch9wavefront6targetE1EEEvT1_
	.globl	_ZN7rocprim17ROCPRIM_400000_NS6detail17trampoline_kernelINS0_14default_configENS1_25transform_config_selectorI3IntLb1EEEZNS1_14transform_implILb1ES3_S6_PS5_S8_NS0_8identityIS5_EEEE10hipError_tT2_T3_mT4_P12ihipStream_tbEUlT_E_NS1_11comp_targetILNS1_3genE2ELNS1_11target_archE906ELNS1_3gpuE6ELNS1_3repE0EEENS1_30default_config_static_selectorELNS0_4arch9wavefront6targetE1EEEvT1_
	.p2align	8
	.type	_ZN7rocprim17ROCPRIM_400000_NS6detail17trampoline_kernelINS0_14default_configENS1_25transform_config_selectorI3IntLb1EEEZNS1_14transform_implILb1ES3_S6_PS5_S8_NS0_8identityIS5_EEEE10hipError_tT2_T3_mT4_P12ihipStream_tbEUlT_E_NS1_11comp_targetILNS1_3genE2ELNS1_11target_archE906ELNS1_3gpuE6ELNS1_3repE0EEENS1_30default_config_static_selectorELNS0_4arch9wavefront6targetE1EEEvT1_,@function
_ZN7rocprim17ROCPRIM_400000_NS6detail17trampoline_kernelINS0_14default_configENS1_25transform_config_selectorI3IntLb1EEEZNS1_14transform_implILb1ES3_S6_PS5_S8_NS0_8identityIS5_EEEE10hipError_tT2_T3_mT4_P12ihipStream_tbEUlT_E_NS1_11comp_targetILNS1_3genE2ELNS1_11target_archE906ELNS1_3gpuE6ELNS1_3repE0EEENS1_30default_config_static_selectorELNS0_4arch9wavefront6targetE1EEEvT1_: ; @_ZN7rocprim17ROCPRIM_400000_NS6detail17trampoline_kernelINS0_14default_configENS1_25transform_config_selectorI3IntLb1EEEZNS1_14transform_implILb1ES3_S6_PS5_S8_NS0_8identityIS5_EEEE10hipError_tT2_T3_mT4_P12ihipStream_tbEUlT_E_NS1_11comp_targetILNS1_3genE2ELNS1_11target_archE906ELNS1_3gpuE6ELNS1_3repE0EEENS1_30default_config_static_selectorELNS0_4arch9wavefront6targetE1EEEvT1_
; %bb.0:
	.section	.rodata,"a",@progbits
	.p2align	6, 0x0
	.amdhsa_kernel _ZN7rocprim17ROCPRIM_400000_NS6detail17trampoline_kernelINS0_14default_configENS1_25transform_config_selectorI3IntLb1EEEZNS1_14transform_implILb1ES3_S6_PS5_S8_NS0_8identityIS5_EEEE10hipError_tT2_T3_mT4_P12ihipStream_tbEUlT_E_NS1_11comp_targetILNS1_3genE2ELNS1_11target_archE906ELNS1_3gpuE6ELNS1_3repE0EEENS1_30default_config_static_selectorELNS0_4arch9wavefront6targetE1EEEvT1_
		.amdhsa_group_segment_fixed_size 0
		.amdhsa_private_segment_fixed_size 0
		.amdhsa_kernarg_size 40
		.amdhsa_user_sgpr_count 6
		.amdhsa_user_sgpr_private_segment_buffer 1
		.amdhsa_user_sgpr_dispatch_ptr 0
		.amdhsa_user_sgpr_queue_ptr 0
		.amdhsa_user_sgpr_kernarg_segment_ptr 1
		.amdhsa_user_sgpr_dispatch_id 0
		.amdhsa_user_sgpr_flat_scratch_init 0
		.amdhsa_user_sgpr_kernarg_preload_length 0
		.amdhsa_user_sgpr_kernarg_preload_offset 0
		.amdhsa_user_sgpr_private_segment_size 0
		.amdhsa_uses_dynamic_stack 0
		.amdhsa_system_sgpr_private_segment_wavefront_offset 0
		.amdhsa_system_sgpr_workgroup_id_x 1
		.amdhsa_system_sgpr_workgroup_id_y 0
		.amdhsa_system_sgpr_workgroup_id_z 0
		.amdhsa_system_sgpr_workgroup_info 0
		.amdhsa_system_vgpr_workitem_id 0
		.amdhsa_next_free_vgpr 1
		.amdhsa_next_free_sgpr 0
		.amdhsa_accum_offset 4
		.amdhsa_reserve_vcc 0
		.amdhsa_reserve_flat_scratch 0
		.amdhsa_float_round_mode_32 0
		.amdhsa_float_round_mode_16_64 0
		.amdhsa_float_denorm_mode_32 3
		.amdhsa_float_denorm_mode_16_64 3
		.amdhsa_dx10_clamp 1
		.amdhsa_ieee_mode 1
		.amdhsa_fp16_overflow 0
		.amdhsa_tg_split 0
		.amdhsa_exception_fp_ieee_invalid_op 0
		.amdhsa_exception_fp_denorm_src 0
		.amdhsa_exception_fp_ieee_div_zero 0
		.amdhsa_exception_fp_ieee_overflow 0
		.amdhsa_exception_fp_ieee_underflow 0
		.amdhsa_exception_fp_ieee_inexact 0
		.amdhsa_exception_int_div_zero 0
	.end_amdhsa_kernel
	.section	.text._ZN7rocprim17ROCPRIM_400000_NS6detail17trampoline_kernelINS0_14default_configENS1_25transform_config_selectorI3IntLb1EEEZNS1_14transform_implILb1ES3_S6_PS5_S8_NS0_8identityIS5_EEEE10hipError_tT2_T3_mT4_P12ihipStream_tbEUlT_E_NS1_11comp_targetILNS1_3genE2ELNS1_11target_archE906ELNS1_3gpuE6ELNS1_3repE0EEENS1_30default_config_static_selectorELNS0_4arch9wavefront6targetE1EEEvT1_,"axG",@progbits,_ZN7rocprim17ROCPRIM_400000_NS6detail17trampoline_kernelINS0_14default_configENS1_25transform_config_selectorI3IntLb1EEEZNS1_14transform_implILb1ES3_S6_PS5_S8_NS0_8identityIS5_EEEE10hipError_tT2_T3_mT4_P12ihipStream_tbEUlT_E_NS1_11comp_targetILNS1_3genE2ELNS1_11target_archE906ELNS1_3gpuE6ELNS1_3repE0EEENS1_30default_config_static_selectorELNS0_4arch9wavefront6targetE1EEEvT1_,comdat
.Lfunc_end6911:
	.size	_ZN7rocprim17ROCPRIM_400000_NS6detail17trampoline_kernelINS0_14default_configENS1_25transform_config_selectorI3IntLb1EEEZNS1_14transform_implILb1ES3_S6_PS5_S8_NS0_8identityIS5_EEEE10hipError_tT2_T3_mT4_P12ihipStream_tbEUlT_E_NS1_11comp_targetILNS1_3genE2ELNS1_11target_archE906ELNS1_3gpuE6ELNS1_3repE0EEENS1_30default_config_static_selectorELNS0_4arch9wavefront6targetE1EEEvT1_, .Lfunc_end6911-_ZN7rocprim17ROCPRIM_400000_NS6detail17trampoline_kernelINS0_14default_configENS1_25transform_config_selectorI3IntLb1EEEZNS1_14transform_implILb1ES3_S6_PS5_S8_NS0_8identityIS5_EEEE10hipError_tT2_T3_mT4_P12ihipStream_tbEUlT_E_NS1_11comp_targetILNS1_3genE2ELNS1_11target_archE906ELNS1_3gpuE6ELNS1_3repE0EEENS1_30default_config_static_selectorELNS0_4arch9wavefront6targetE1EEEvT1_
                                        ; -- End function
	.section	.AMDGPU.csdata,"",@progbits
; Kernel info:
; codeLenInByte = 0
; NumSgprs: 4
; NumVgprs: 0
; NumAgprs: 0
; TotalNumVgprs: 0
; ScratchSize: 0
; MemoryBound: 0
; FloatMode: 240
; IeeeMode: 1
; LDSByteSize: 0 bytes/workgroup (compile time only)
; SGPRBlocks: 0
; VGPRBlocks: 0
; NumSGPRsForWavesPerEU: 4
; NumVGPRsForWavesPerEU: 1
; AccumOffset: 4
; Occupancy: 8
; WaveLimiterHint : 0
; COMPUTE_PGM_RSRC2:SCRATCH_EN: 0
; COMPUTE_PGM_RSRC2:USER_SGPR: 6
; COMPUTE_PGM_RSRC2:TRAP_HANDLER: 0
; COMPUTE_PGM_RSRC2:TGID_X_EN: 1
; COMPUTE_PGM_RSRC2:TGID_Y_EN: 0
; COMPUTE_PGM_RSRC2:TGID_Z_EN: 0
; COMPUTE_PGM_RSRC2:TIDIG_COMP_CNT: 0
; COMPUTE_PGM_RSRC3_GFX90A:ACCUM_OFFSET: 0
; COMPUTE_PGM_RSRC3_GFX90A:TG_SPLIT: 0
	.section	.text._ZN7rocprim17ROCPRIM_400000_NS6detail17trampoline_kernelINS0_14default_configENS1_25transform_config_selectorI3IntLb1EEEZNS1_14transform_implILb1ES3_S6_PS5_S8_NS0_8identityIS5_EEEE10hipError_tT2_T3_mT4_P12ihipStream_tbEUlT_E_NS1_11comp_targetILNS1_3genE9ELNS1_11target_archE1100ELNS1_3gpuE3ELNS1_3repE0EEENS1_30default_config_static_selectorELNS0_4arch9wavefront6targetE1EEEvT1_,"axG",@progbits,_ZN7rocprim17ROCPRIM_400000_NS6detail17trampoline_kernelINS0_14default_configENS1_25transform_config_selectorI3IntLb1EEEZNS1_14transform_implILb1ES3_S6_PS5_S8_NS0_8identityIS5_EEEE10hipError_tT2_T3_mT4_P12ihipStream_tbEUlT_E_NS1_11comp_targetILNS1_3genE9ELNS1_11target_archE1100ELNS1_3gpuE3ELNS1_3repE0EEENS1_30default_config_static_selectorELNS0_4arch9wavefront6targetE1EEEvT1_,comdat
	.protected	_ZN7rocprim17ROCPRIM_400000_NS6detail17trampoline_kernelINS0_14default_configENS1_25transform_config_selectorI3IntLb1EEEZNS1_14transform_implILb1ES3_S6_PS5_S8_NS0_8identityIS5_EEEE10hipError_tT2_T3_mT4_P12ihipStream_tbEUlT_E_NS1_11comp_targetILNS1_3genE9ELNS1_11target_archE1100ELNS1_3gpuE3ELNS1_3repE0EEENS1_30default_config_static_selectorELNS0_4arch9wavefront6targetE1EEEvT1_ ; -- Begin function _ZN7rocprim17ROCPRIM_400000_NS6detail17trampoline_kernelINS0_14default_configENS1_25transform_config_selectorI3IntLb1EEEZNS1_14transform_implILb1ES3_S6_PS5_S8_NS0_8identityIS5_EEEE10hipError_tT2_T3_mT4_P12ihipStream_tbEUlT_E_NS1_11comp_targetILNS1_3genE9ELNS1_11target_archE1100ELNS1_3gpuE3ELNS1_3repE0EEENS1_30default_config_static_selectorELNS0_4arch9wavefront6targetE1EEEvT1_
	.globl	_ZN7rocprim17ROCPRIM_400000_NS6detail17trampoline_kernelINS0_14default_configENS1_25transform_config_selectorI3IntLb1EEEZNS1_14transform_implILb1ES3_S6_PS5_S8_NS0_8identityIS5_EEEE10hipError_tT2_T3_mT4_P12ihipStream_tbEUlT_E_NS1_11comp_targetILNS1_3genE9ELNS1_11target_archE1100ELNS1_3gpuE3ELNS1_3repE0EEENS1_30default_config_static_selectorELNS0_4arch9wavefront6targetE1EEEvT1_
	.p2align	8
	.type	_ZN7rocprim17ROCPRIM_400000_NS6detail17trampoline_kernelINS0_14default_configENS1_25transform_config_selectorI3IntLb1EEEZNS1_14transform_implILb1ES3_S6_PS5_S8_NS0_8identityIS5_EEEE10hipError_tT2_T3_mT4_P12ihipStream_tbEUlT_E_NS1_11comp_targetILNS1_3genE9ELNS1_11target_archE1100ELNS1_3gpuE3ELNS1_3repE0EEENS1_30default_config_static_selectorELNS0_4arch9wavefront6targetE1EEEvT1_,@function
_ZN7rocprim17ROCPRIM_400000_NS6detail17trampoline_kernelINS0_14default_configENS1_25transform_config_selectorI3IntLb1EEEZNS1_14transform_implILb1ES3_S6_PS5_S8_NS0_8identityIS5_EEEE10hipError_tT2_T3_mT4_P12ihipStream_tbEUlT_E_NS1_11comp_targetILNS1_3genE9ELNS1_11target_archE1100ELNS1_3gpuE3ELNS1_3repE0EEENS1_30default_config_static_selectorELNS0_4arch9wavefront6targetE1EEEvT1_: ; @_ZN7rocprim17ROCPRIM_400000_NS6detail17trampoline_kernelINS0_14default_configENS1_25transform_config_selectorI3IntLb1EEEZNS1_14transform_implILb1ES3_S6_PS5_S8_NS0_8identityIS5_EEEE10hipError_tT2_T3_mT4_P12ihipStream_tbEUlT_E_NS1_11comp_targetILNS1_3genE9ELNS1_11target_archE1100ELNS1_3gpuE3ELNS1_3repE0EEENS1_30default_config_static_selectorELNS0_4arch9wavefront6targetE1EEEvT1_
; %bb.0:
	.section	.rodata,"a",@progbits
	.p2align	6, 0x0
	.amdhsa_kernel _ZN7rocprim17ROCPRIM_400000_NS6detail17trampoline_kernelINS0_14default_configENS1_25transform_config_selectorI3IntLb1EEEZNS1_14transform_implILb1ES3_S6_PS5_S8_NS0_8identityIS5_EEEE10hipError_tT2_T3_mT4_P12ihipStream_tbEUlT_E_NS1_11comp_targetILNS1_3genE9ELNS1_11target_archE1100ELNS1_3gpuE3ELNS1_3repE0EEENS1_30default_config_static_selectorELNS0_4arch9wavefront6targetE1EEEvT1_
		.amdhsa_group_segment_fixed_size 0
		.amdhsa_private_segment_fixed_size 0
		.amdhsa_kernarg_size 40
		.amdhsa_user_sgpr_count 6
		.amdhsa_user_sgpr_private_segment_buffer 1
		.amdhsa_user_sgpr_dispatch_ptr 0
		.amdhsa_user_sgpr_queue_ptr 0
		.amdhsa_user_sgpr_kernarg_segment_ptr 1
		.amdhsa_user_sgpr_dispatch_id 0
		.amdhsa_user_sgpr_flat_scratch_init 0
		.amdhsa_user_sgpr_kernarg_preload_length 0
		.amdhsa_user_sgpr_kernarg_preload_offset 0
		.amdhsa_user_sgpr_private_segment_size 0
		.amdhsa_uses_dynamic_stack 0
		.amdhsa_system_sgpr_private_segment_wavefront_offset 0
		.amdhsa_system_sgpr_workgroup_id_x 1
		.amdhsa_system_sgpr_workgroup_id_y 0
		.amdhsa_system_sgpr_workgroup_id_z 0
		.amdhsa_system_sgpr_workgroup_info 0
		.amdhsa_system_vgpr_workitem_id 0
		.amdhsa_next_free_vgpr 1
		.amdhsa_next_free_sgpr 0
		.amdhsa_accum_offset 4
		.amdhsa_reserve_vcc 0
		.amdhsa_reserve_flat_scratch 0
		.amdhsa_float_round_mode_32 0
		.amdhsa_float_round_mode_16_64 0
		.amdhsa_float_denorm_mode_32 3
		.amdhsa_float_denorm_mode_16_64 3
		.amdhsa_dx10_clamp 1
		.amdhsa_ieee_mode 1
		.amdhsa_fp16_overflow 0
		.amdhsa_tg_split 0
		.amdhsa_exception_fp_ieee_invalid_op 0
		.amdhsa_exception_fp_denorm_src 0
		.amdhsa_exception_fp_ieee_div_zero 0
		.amdhsa_exception_fp_ieee_overflow 0
		.amdhsa_exception_fp_ieee_underflow 0
		.amdhsa_exception_fp_ieee_inexact 0
		.amdhsa_exception_int_div_zero 0
	.end_amdhsa_kernel
	.section	.text._ZN7rocprim17ROCPRIM_400000_NS6detail17trampoline_kernelINS0_14default_configENS1_25transform_config_selectorI3IntLb1EEEZNS1_14transform_implILb1ES3_S6_PS5_S8_NS0_8identityIS5_EEEE10hipError_tT2_T3_mT4_P12ihipStream_tbEUlT_E_NS1_11comp_targetILNS1_3genE9ELNS1_11target_archE1100ELNS1_3gpuE3ELNS1_3repE0EEENS1_30default_config_static_selectorELNS0_4arch9wavefront6targetE1EEEvT1_,"axG",@progbits,_ZN7rocprim17ROCPRIM_400000_NS6detail17trampoline_kernelINS0_14default_configENS1_25transform_config_selectorI3IntLb1EEEZNS1_14transform_implILb1ES3_S6_PS5_S8_NS0_8identityIS5_EEEE10hipError_tT2_T3_mT4_P12ihipStream_tbEUlT_E_NS1_11comp_targetILNS1_3genE9ELNS1_11target_archE1100ELNS1_3gpuE3ELNS1_3repE0EEENS1_30default_config_static_selectorELNS0_4arch9wavefront6targetE1EEEvT1_,comdat
.Lfunc_end6912:
	.size	_ZN7rocprim17ROCPRIM_400000_NS6detail17trampoline_kernelINS0_14default_configENS1_25transform_config_selectorI3IntLb1EEEZNS1_14transform_implILb1ES3_S6_PS5_S8_NS0_8identityIS5_EEEE10hipError_tT2_T3_mT4_P12ihipStream_tbEUlT_E_NS1_11comp_targetILNS1_3genE9ELNS1_11target_archE1100ELNS1_3gpuE3ELNS1_3repE0EEENS1_30default_config_static_selectorELNS0_4arch9wavefront6targetE1EEEvT1_, .Lfunc_end6912-_ZN7rocprim17ROCPRIM_400000_NS6detail17trampoline_kernelINS0_14default_configENS1_25transform_config_selectorI3IntLb1EEEZNS1_14transform_implILb1ES3_S6_PS5_S8_NS0_8identityIS5_EEEE10hipError_tT2_T3_mT4_P12ihipStream_tbEUlT_E_NS1_11comp_targetILNS1_3genE9ELNS1_11target_archE1100ELNS1_3gpuE3ELNS1_3repE0EEENS1_30default_config_static_selectorELNS0_4arch9wavefront6targetE1EEEvT1_
                                        ; -- End function
	.section	.AMDGPU.csdata,"",@progbits
; Kernel info:
; codeLenInByte = 0
; NumSgprs: 4
; NumVgprs: 0
; NumAgprs: 0
; TotalNumVgprs: 0
; ScratchSize: 0
; MemoryBound: 0
; FloatMode: 240
; IeeeMode: 1
; LDSByteSize: 0 bytes/workgroup (compile time only)
; SGPRBlocks: 0
; VGPRBlocks: 0
; NumSGPRsForWavesPerEU: 4
; NumVGPRsForWavesPerEU: 1
; AccumOffset: 4
; Occupancy: 8
; WaveLimiterHint : 0
; COMPUTE_PGM_RSRC2:SCRATCH_EN: 0
; COMPUTE_PGM_RSRC2:USER_SGPR: 6
; COMPUTE_PGM_RSRC2:TRAP_HANDLER: 0
; COMPUTE_PGM_RSRC2:TGID_X_EN: 1
; COMPUTE_PGM_RSRC2:TGID_Y_EN: 0
; COMPUTE_PGM_RSRC2:TGID_Z_EN: 0
; COMPUTE_PGM_RSRC2:TIDIG_COMP_CNT: 0
; COMPUTE_PGM_RSRC3_GFX90A:ACCUM_OFFSET: 0
; COMPUTE_PGM_RSRC3_GFX90A:TG_SPLIT: 0
	.section	.text._ZN7rocprim17ROCPRIM_400000_NS6detail17trampoline_kernelINS0_14default_configENS1_25transform_config_selectorI3IntLb1EEEZNS1_14transform_implILb1ES3_S6_PS5_S8_NS0_8identityIS5_EEEE10hipError_tT2_T3_mT4_P12ihipStream_tbEUlT_E_NS1_11comp_targetILNS1_3genE8ELNS1_11target_archE1030ELNS1_3gpuE2ELNS1_3repE0EEENS1_30default_config_static_selectorELNS0_4arch9wavefront6targetE1EEEvT1_,"axG",@progbits,_ZN7rocprim17ROCPRIM_400000_NS6detail17trampoline_kernelINS0_14default_configENS1_25transform_config_selectorI3IntLb1EEEZNS1_14transform_implILb1ES3_S6_PS5_S8_NS0_8identityIS5_EEEE10hipError_tT2_T3_mT4_P12ihipStream_tbEUlT_E_NS1_11comp_targetILNS1_3genE8ELNS1_11target_archE1030ELNS1_3gpuE2ELNS1_3repE0EEENS1_30default_config_static_selectorELNS0_4arch9wavefront6targetE1EEEvT1_,comdat
	.protected	_ZN7rocprim17ROCPRIM_400000_NS6detail17trampoline_kernelINS0_14default_configENS1_25transform_config_selectorI3IntLb1EEEZNS1_14transform_implILb1ES3_S6_PS5_S8_NS0_8identityIS5_EEEE10hipError_tT2_T3_mT4_P12ihipStream_tbEUlT_E_NS1_11comp_targetILNS1_3genE8ELNS1_11target_archE1030ELNS1_3gpuE2ELNS1_3repE0EEENS1_30default_config_static_selectorELNS0_4arch9wavefront6targetE1EEEvT1_ ; -- Begin function _ZN7rocprim17ROCPRIM_400000_NS6detail17trampoline_kernelINS0_14default_configENS1_25transform_config_selectorI3IntLb1EEEZNS1_14transform_implILb1ES3_S6_PS5_S8_NS0_8identityIS5_EEEE10hipError_tT2_T3_mT4_P12ihipStream_tbEUlT_E_NS1_11comp_targetILNS1_3genE8ELNS1_11target_archE1030ELNS1_3gpuE2ELNS1_3repE0EEENS1_30default_config_static_selectorELNS0_4arch9wavefront6targetE1EEEvT1_
	.globl	_ZN7rocprim17ROCPRIM_400000_NS6detail17trampoline_kernelINS0_14default_configENS1_25transform_config_selectorI3IntLb1EEEZNS1_14transform_implILb1ES3_S6_PS5_S8_NS0_8identityIS5_EEEE10hipError_tT2_T3_mT4_P12ihipStream_tbEUlT_E_NS1_11comp_targetILNS1_3genE8ELNS1_11target_archE1030ELNS1_3gpuE2ELNS1_3repE0EEENS1_30default_config_static_selectorELNS0_4arch9wavefront6targetE1EEEvT1_
	.p2align	8
	.type	_ZN7rocprim17ROCPRIM_400000_NS6detail17trampoline_kernelINS0_14default_configENS1_25transform_config_selectorI3IntLb1EEEZNS1_14transform_implILb1ES3_S6_PS5_S8_NS0_8identityIS5_EEEE10hipError_tT2_T3_mT4_P12ihipStream_tbEUlT_E_NS1_11comp_targetILNS1_3genE8ELNS1_11target_archE1030ELNS1_3gpuE2ELNS1_3repE0EEENS1_30default_config_static_selectorELNS0_4arch9wavefront6targetE1EEEvT1_,@function
_ZN7rocprim17ROCPRIM_400000_NS6detail17trampoline_kernelINS0_14default_configENS1_25transform_config_selectorI3IntLb1EEEZNS1_14transform_implILb1ES3_S6_PS5_S8_NS0_8identityIS5_EEEE10hipError_tT2_T3_mT4_P12ihipStream_tbEUlT_E_NS1_11comp_targetILNS1_3genE8ELNS1_11target_archE1030ELNS1_3gpuE2ELNS1_3repE0EEENS1_30default_config_static_selectorELNS0_4arch9wavefront6targetE1EEEvT1_: ; @_ZN7rocprim17ROCPRIM_400000_NS6detail17trampoline_kernelINS0_14default_configENS1_25transform_config_selectorI3IntLb1EEEZNS1_14transform_implILb1ES3_S6_PS5_S8_NS0_8identityIS5_EEEE10hipError_tT2_T3_mT4_P12ihipStream_tbEUlT_E_NS1_11comp_targetILNS1_3genE8ELNS1_11target_archE1030ELNS1_3gpuE2ELNS1_3repE0EEENS1_30default_config_static_selectorELNS0_4arch9wavefront6targetE1EEEvT1_
; %bb.0:
	.section	.rodata,"a",@progbits
	.p2align	6, 0x0
	.amdhsa_kernel _ZN7rocprim17ROCPRIM_400000_NS6detail17trampoline_kernelINS0_14default_configENS1_25transform_config_selectorI3IntLb1EEEZNS1_14transform_implILb1ES3_S6_PS5_S8_NS0_8identityIS5_EEEE10hipError_tT2_T3_mT4_P12ihipStream_tbEUlT_E_NS1_11comp_targetILNS1_3genE8ELNS1_11target_archE1030ELNS1_3gpuE2ELNS1_3repE0EEENS1_30default_config_static_selectorELNS0_4arch9wavefront6targetE1EEEvT1_
		.amdhsa_group_segment_fixed_size 0
		.amdhsa_private_segment_fixed_size 0
		.amdhsa_kernarg_size 40
		.amdhsa_user_sgpr_count 6
		.amdhsa_user_sgpr_private_segment_buffer 1
		.amdhsa_user_sgpr_dispatch_ptr 0
		.amdhsa_user_sgpr_queue_ptr 0
		.amdhsa_user_sgpr_kernarg_segment_ptr 1
		.amdhsa_user_sgpr_dispatch_id 0
		.amdhsa_user_sgpr_flat_scratch_init 0
		.amdhsa_user_sgpr_kernarg_preload_length 0
		.amdhsa_user_sgpr_kernarg_preload_offset 0
		.amdhsa_user_sgpr_private_segment_size 0
		.amdhsa_uses_dynamic_stack 0
		.amdhsa_system_sgpr_private_segment_wavefront_offset 0
		.amdhsa_system_sgpr_workgroup_id_x 1
		.amdhsa_system_sgpr_workgroup_id_y 0
		.amdhsa_system_sgpr_workgroup_id_z 0
		.amdhsa_system_sgpr_workgroup_info 0
		.amdhsa_system_vgpr_workitem_id 0
		.amdhsa_next_free_vgpr 1
		.amdhsa_next_free_sgpr 0
		.amdhsa_accum_offset 4
		.amdhsa_reserve_vcc 0
		.amdhsa_reserve_flat_scratch 0
		.amdhsa_float_round_mode_32 0
		.amdhsa_float_round_mode_16_64 0
		.amdhsa_float_denorm_mode_32 3
		.amdhsa_float_denorm_mode_16_64 3
		.amdhsa_dx10_clamp 1
		.amdhsa_ieee_mode 1
		.amdhsa_fp16_overflow 0
		.amdhsa_tg_split 0
		.amdhsa_exception_fp_ieee_invalid_op 0
		.amdhsa_exception_fp_denorm_src 0
		.amdhsa_exception_fp_ieee_div_zero 0
		.amdhsa_exception_fp_ieee_overflow 0
		.amdhsa_exception_fp_ieee_underflow 0
		.amdhsa_exception_fp_ieee_inexact 0
		.amdhsa_exception_int_div_zero 0
	.end_amdhsa_kernel
	.section	.text._ZN7rocprim17ROCPRIM_400000_NS6detail17trampoline_kernelINS0_14default_configENS1_25transform_config_selectorI3IntLb1EEEZNS1_14transform_implILb1ES3_S6_PS5_S8_NS0_8identityIS5_EEEE10hipError_tT2_T3_mT4_P12ihipStream_tbEUlT_E_NS1_11comp_targetILNS1_3genE8ELNS1_11target_archE1030ELNS1_3gpuE2ELNS1_3repE0EEENS1_30default_config_static_selectorELNS0_4arch9wavefront6targetE1EEEvT1_,"axG",@progbits,_ZN7rocprim17ROCPRIM_400000_NS6detail17trampoline_kernelINS0_14default_configENS1_25transform_config_selectorI3IntLb1EEEZNS1_14transform_implILb1ES3_S6_PS5_S8_NS0_8identityIS5_EEEE10hipError_tT2_T3_mT4_P12ihipStream_tbEUlT_E_NS1_11comp_targetILNS1_3genE8ELNS1_11target_archE1030ELNS1_3gpuE2ELNS1_3repE0EEENS1_30default_config_static_selectorELNS0_4arch9wavefront6targetE1EEEvT1_,comdat
.Lfunc_end6913:
	.size	_ZN7rocprim17ROCPRIM_400000_NS6detail17trampoline_kernelINS0_14default_configENS1_25transform_config_selectorI3IntLb1EEEZNS1_14transform_implILb1ES3_S6_PS5_S8_NS0_8identityIS5_EEEE10hipError_tT2_T3_mT4_P12ihipStream_tbEUlT_E_NS1_11comp_targetILNS1_3genE8ELNS1_11target_archE1030ELNS1_3gpuE2ELNS1_3repE0EEENS1_30default_config_static_selectorELNS0_4arch9wavefront6targetE1EEEvT1_, .Lfunc_end6913-_ZN7rocprim17ROCPRIM_400000_NS6detail17trampoline_kernelINS0_14default_configENS1_25transform_config_selectorI3IntLb1EEEZNS1_14transform_implILb1ES3_S6_PS5_S8_NS0_8identityIS5_EEEE10hipError_tT2_T3_mT4_P12ihipStream_tbEUlT_E_NS1_11comp_targetILNS1_3genE8ELNS1_11target_archE1030ELNS1_3gpuE2ELNS1_3repE0EEENS1_30default_config_static_selectorELNS0_4arch9wavefront6targetE1EEEvT1_
                                        ; -- End function
	.section	.AMDGPU.csdata,"",@progbits
; Kernel info:
; codeLenInByte = 0
; NumSgprs: 4
; NumVgprs: 0
; NumAgprs: 0
; TotalNumVgprs: 0
; ScratchSize: 0
; MemoryBound: 0
; FloatMode: 240
; IeeeMode: 1
; LDSByteSize: 0 bytes/workgroup (compile time only)
; SGPRBlocks: 0
; VGPRBlocks: 0
; NumSGPRsForWavesPerEU: 4
; NumVGPRsForWavesPerEU: 1
; AccumOffset: 4
; Occupancy: 8
; WaveLimiterHint : 0
; COMPUTE_PGM_RSRC2:SCRATCH_EN: 0
; COMPUTE_PGM_RSRC2:USER_SGPR: 6
; COMPUTE_PGM_RSRC2:TRAP_HANDLER: 0
; COMPUTE_PGM_RSRC2:TGID_X_EN: 1
; COMPUTE_PGM_RSRC2:TGID_Y_EN: 0
; COMPUTE_PGM_RSRC2:TGID_Z_EN: 0
; COMPUTE_PGM_RSRC2:TIDIG_COMP_CNT: 0
; COMPUTE_PGM_RSRC3_GFX90A:ACCUM_OFFSET: 0
; COMPUTE_PGM_RSRC3_GFX90A:TG_SPLIT: 0
	.section	.text._ZN7rocprim17ROCPRIM_400000_NS6detail17trampoline_kernelINS0_14default_configENS1_20scan_config_selectorI3IntEEZZNS1_9scan_implILNS1_25lookback_scan_determinismE0ELb0ELb0ES3_N6thrust23THRUST_200600_302600_NS6detail15normal_iteratorINSA_10device_ptrIKS5_EEEENSC_INSD_IS5_EEEES5_NSA_4plusIvEES5_EEDaPvRmT3_T4_T5_mT6_P12ihipStream_tbENKUlT_T0_E_clISt17integral_constantIbLb0EESY_EEDaST_SU_EUlST_E0_NS1_11comp_targetILNS1_3genE0ELNS1_11target_archE4294967295ELNS1_3gpuE0ELNS1_3repE0EEENS1_30default_config_static_selectorELNS0_4arch9wavefront6targetE1EEEvT1_,"axG",@progbits,_ZN7rocprim17ROCPRIM_400000_NS6detail17trampoline_kernelINS0_14default_configENS1_20scan_config_selectorI3IntEEZZNS1_9scan_implILNS1_25lookback_scan_determinismE0ELb0ELb0ES3_N6thrust23THRUST_200600_302600_NS6detail15normal_iteratorINSA_10device_ptrIKS5_EEEENSC_INSD_IS5_EEEES5_NSA_4plusIvEES5_EEDaPvRmT3_T4_T5_mT6_P12ihipStream_tbENKUlT_T0_E_clISt17integral_constantIbLb0EESY_EEDaST_SU_EUlST_E0_NS1_11comp_targetILNS1_3genE0ELNS1_11target_archE4294967295ELNS1_3gpuE0ELNS1_3repE0EEENS1_30default_config_static_selectorELNS0_4arch9wavefront6targetE1EEEvT1_,comdat
	.protected	_ZN7rocprim17ROCPRIM_400000_NS6detail17trampoline_kernelINS0_14default_configENS1_20scan_config_selectorI3IntEEZZNS1_9scan_implILNS1_25lookback_scan_determinismE0ELb0ELb0ES3_N6thrust23THRUST_200600_302600_NS6detail15normal_iteratorINSA_10device_ptrIKS5_EEEENSC_INSD_IS5_EEEES5_NSA_4plusIvEES5_EEDaPvRmT3_T4_T5_mT6_P12ihipStream_tbENKUlT_T0_E_clISt17integral_constantIbLb0EESY_EEDaST_SU_EUlST_E0_NS1_11comp_targetILNS1_3genE0ELNS1_11target_archE4294967295ELNS1_3gpuE0ELNS1_3repE0EEENS1_30default_config_static_selectorELNS0_4arch9wavefront6targetE1EEEvT1_ ; -- Begin function _ZN7rocprim17ROCPRIM_400000_NS6detail17trampoline_kernelINS0_14default_configENS1_20scan_config_selectorI3IntEEZZNS1_9scan_implILNS1_25lookback_scan_determinismE0ELb0ELb0ES3_N6thrust23THRUST_200600_302600_NS6detail15normal_iteratorINSA_10device_ptrIKS5_EEEENSC_INSD_IS5_EEEES5_NSA_4plusIvEES5_EEDaPvRmT3_T4_T5_mT6_P12ihipStream_tbENKUlT_T0_E_clISt17integral_constantIbLb0EESY_EEDaST_SU_EUlST_E0_NS1_11comp_targetILNS1_3genE0ELNS1_11target_archE4294967295ELNS1_3gpuE0ELNS1_3repE0EEENS1_30default_config_static_selectorELNS0_4arch9wavefront6targetE1EEEvT1_
	.globl	_ZN7rocprim17ROCPRIM_400000_NS6detail17trampoline_kernelINS0_14default_configENS1_20scan_config_selectorI3IntEEZZNS1_9scan_implILNS1_25lookback_scan_determinismE0ELb0ELb0ES3_N6thrust23THRUST_200600_302600_NS6detail15normal_iteratorINSA_10device_ptrIKS5_EEEENSC_INSD_IS5_EEEES5_NSA_4plusIvEES5_EEDaPvRmT3_T4_T5_mT6_P12ihipStream_tbENKUlT_T0_E_clISt17integral_constantIbLb0EESY_EEDaST_SU_EUlST_E0_NS1_11comp_targetILNS1_3genE0ELNS1_11target_archE4294967295ELNS1_3gpuE0ELNS1_3repE0EEENS1_30default_config_static_selectorELNS0_4arch9wavefront6targetE1EEEvT1_
	.p2align	8
	.type	_ZN7rocprim17ROCPRIM_400000_NS6detail17trampoline_kernelINS0_14default_configENS1_20scan_config_selectorI3IntEEZZNS1_9scan_implILNS1_25lookback_scan_determinismE0ELb0ELb0ES3_N6thrust23THRUST_200600_302600_NS6detail15normal_iteratorINSA_10device_ptrIKS5_EEEENSC_INSD_IS5_EEEES5_NSA_4plusIvEES5_EEDaPvRmT3_T4_T5_mT6_P12ihipStream_tbENKUlT_T0_E_clISt17integral_constantIbLb0EESY_EEDaST_SU_EUlST_E0_NS1_11comp_targetILNS1_3genE0ELNS1_11target_archE4294967295ELNS1_3gpuE0ELNS1_3repE0EEENS1_30default_config_static_selectorELNS0_4arch9wavefront6targetE1EEEvT1_,@function
_ZN7rocprim17ROCPRIM_400000_NS6detail17trampoline_kernelINS0_14default_configENS1_20scan_config_selectorI3IntEEZZNS1_9scan_implILNS1_25lookback_scan_determinismE0ELb0ELb0ES3_N6thrust23THRUST_200600_302600_NS6detail15normal_iteratorINSA_10device_ptrIKS5_EEEENSC_INSD_IS5_EEEES5_NSA_4plusIvEES5_EEDaPvRmT3_T4_T5_mT6_P12ihipStream_tbENKUlT_T0_E_clISt17integral_constantIbLb0EESY_EEDaST_SU_EUlST_E0_NS1_11comp_targetILNS1_3genE0ELNS1_11target_archE4294967295ELNS1_3gpuE0ELNS1_3repE0EEENS1_30default_config_static_selectorELNS0_4arch9wavefront6targetE1EEEvT1_: ; @_ZN7rocprim17ROCPRIM_400000_NS6detail17trampoline_kernelINS0_14default_configENS1_20scan_config_selectorI3IntEEZZNS1_9scan_implILNS1_25lookback_scan_determinismE0ELb0ELb0ES3_N6thrust23THRUST_200600_302600_NS6detail15normal_iteratorINSA_10device_ptrIKS5_EEEENSC_INSD_IS5_EEEES5_NSA_4plusIvEES5_EEDaPvRmT3_T4_T5_mT6_P12ihipStream_tbENKUlT_T0_E_clISt17integral_constantIbLb0EESY_EEDaST_SU_EUlST_E0_NS1_11comp_targetILNS1_3genE0ELNS1_11target_archE4294967295ELNS1_3gpuE0ELNS1_3repE0EEENS1_30default_config_static_selectorELNS0_4arch9wavefront6targetE1EEEvT1_
; %bb.0:
	.section	.rodata,"a",@progbits
	.p2align	6, 0x0
	.amdhsa_kernel _ZN7rocprim17ROCPRIM_400000_NS6detail17trampoline_kernelINS0_14default_configENS1_20scan_config_selectorI3IntEEZZNS1_9scan_implILNS1_25lookback_scan_determinismE0ELb0ELb0ES3_N6thrust23THRUST_200600_302600_NS6detail15normal_iteratorINSA_10device_ptrIKS5_EEEENSC_INSD_IS5_EEEES5_NSA_4plusIvEES5_EEDaPvRmT3_T4_T5_mT6_P12ihipStream_tbENKUlT_T0_E_clISt17integral_constantIbLb0EESY_EEDaST_SU_EUlST_E0_NS1_11comp_targetILNS1_3genE0ELNS1_11target_archE4294967295ELNS1_3gpuE0ELNS1_3repE0EEENS1_30default_config_static_selectorELNS0_4arch9wavefront6targetE1EEEvT1_
		.amdhsa_group_segment_fixed_size 0
		.amdhsa_private_segment_fixed_size 0
		.amdhsa_kernarg_size 32
		.amdhsa_user_sgpr_count 6
		.amdhsa_user_sgpr_private_segment_buffer 1
		.amdhsa_user_sgpr_dispatch_ptr 0
		.amdhsa_user_sgpr_queue_ptr 0
		.amdhsa_user_sgpr_kernarg_segment_ptr 1
		.amdhsa_user_sgpr_dispatch_id 0
		.amdhsa_user_sgpr_flat_scratch_init 0
		.amdhsa_user_sgpr_kernarg_preload_length 0
		.amdhsa_user_sgpr_kernarg_preload_offset 0
		.amdhsa_user_sgpr_private_segment_size 0
		.amdhsa_uses_dynamic_stack 0
		.amdhsa_system_sgpr_private_segment_wavefront_offset 0
		.amdhsa_system_sgpr_workgroup_id_x 1
		.amdhsa_system_sgpr_workgroup_id_y 0
		.amdhsa_system_sgpr_workgroup_id_z 0
		.amdhsa_system_sgpr_workgroup_info 0
		.amdhsa_system_vgpr_workitem_id 0
		.amdhsa_next_free_vgpr 1
		.amdhsa_next_free_sgpr 0
		.amdhsa_accum_offset 4
		.amdhsa_reserve_vcc 0
		.amdhsa_reserve_flat_scratch 0
		.amdhsa_float_round_mode_32 0
		.amdhsa_float_round_mode_16_64 0
		.amdhsa_float_denorm_mode_32 3
		.amdhsa_float_denorm_mode_16_64 3
		.amdhsa_dx10_clamp 1
		.amdhsa_ieee_mode 1
		.amdhsa_fp16_overflow 0
		.amdhsa_tg_split 0
		.amdhsa_exception_fp_ieee_invalid_op 0
		.amdhsa_exception_fp_denorm_src 0
		.amdhsa_exception_fp_ieee_div_zero 0
		.amdhsa_exception_fp_ieee_overflow 0
		.amdhsa_exception_fp_ieee_underflow 0
		.amdhsa_exception_fp_ieee_inexact 0
		.amdhsa_exception_int_div_zero 0
	.end_amdhsa_kernel
	.section	.text._ZN7rocprim17ROCPRIM_400000_NS6detail17trampoline_kernelINS0_14default_configENS1_20scan_config_selectorI3IntEEZZNS1_9scan_implILNS1_25lookback_scan_determinismE0ELb0ELb0ES3_N6thrust23THRUST_200600_302600_NS6detail15normal_iteratorINSA_10device_ptrIKS5_EEEENSC_INSD_IS5_EEEES5_NSA_4plusIvEES5_EEDaPvRmT3_T4_T5_mT6_P12ihipStream_tbENKUlT_T0_E_clISt17integral_constantIbLb0EESY_EEDaST_SU_EUlST_E0_NS1_11comp_targetILNS1_3genE0ELNS1_11target_archE4294967295ELNS1_3gpuE0ELNS1_3repE0EEENS1_30default_config_static_selectorELNS0_4arch9wavefront6targetE1EEEvT1_,"axG",@progbits,_ZN7rocprim17ROCPRIM_400000_NS6detail17trampoline_kernelINS0_14default_configENS1_20scan_config_selectorI3IntEEZZNS1_9scan_implILNS1_25lookback_scan_determinismE0ELb0ELb0ES3_N6thrust23THRUST_200600_302600_NS6detail15normal_iteratorINSA_10device_ptrIKS5_EEEENSC_INSD_IS5_EEEES5_NSA_4plusIvEES5_EEDaPvRmT3_T4_T5_mT6_P12ihipStream_tbENKUlT_T0_E_clISt17integral_constantIbLb0EESY_EEDaST_SU_EUlST_E0_NS1_11comp_targetILNS1_3genE0ELNS1_11target_archE4294967295ELNS1_3gpuE0ELNS1_3repE0EEENS1_30default_config_static_selectorELNS0_4arch9wavefront6targetE1EEEvT1_,comdat
.Lfunc_end6914:
	.size	_ZN7rocprim17ROCPRIM_400000_NS6detail17trampoline_kernelINS0_14default_configENS1_20scan_config_selectorI3IntEEZZNS1_9scan_implILNS1_25lookback_scan_determinismE0ELb0ELb0ES3_N6thrust23THRUST_200600_302600_NS6detail15normal_iteratorINSA_10device_ptrIKS5_EEEENSC_INSD_IS5_EEEES5_NSA_4plusIvEES5_EEDaPvRmT3_T4_T5_mT6_P12ihipStream_tbENKUlT_T0_E_clISt17integral_constantIbLb0EESY_EEDaST_SU_EUlST_E0_NS1_11comp_targetILNS1_3genE0ELNS1_11target_archE4294967295ELNS1_3gpuE0ELNS1_3repE0EEENS1_30default_config_static_selectorELNS0_4arch9wavefront6targetE1EEEvT1_, .Lfunc_end6914-_ZN7rocprim17ROCPRIM_400000_NS6detail17trampoline_kernelINS0_14default_configENS1_20scan_config_selectorI3IntEEZZNS1_9scan_implILNS1_25lookback_scan_determinismE0ELb0ELb0ES3_N6thrust23THRUST_200600_302600_NS6detail15normal_iteratorINSA_10device_ptrIKS5_EEEENSC_INSD_IS5_EEEES5_NSA_4plusIvEES5_EEDaPvRmT3_T4_T5_mT6_P12ihipStream_tbENKUlT_T0_E_clISt17integral_constantIbLb0EESY_EEDaST_SU_EUlST_E0_NS1_11comp_targetILNS1_3genE0ELNS1_11target_archE4294967295ELNS1_3gpuE0ELNS1_3repE0EEENS1_30default_config_static_selectorELNS0_4arch9wavefront6targetE1EEEvT1_
                                        ; -- End function
	.section	.AMDGPU.csdata,"",@progbits
; Kernel info:
; codeLenInByte = 0
; NumSgprs: 4
; NumVgprs: 0
; NumAgprs: 0
; TotalNumVgprs: 0
; ScratchSize: 0
; MemoryBound: 0
; FloatMode: 240
; IeeeMode: 1
; LDSByteSize: 0 bytes/workgroup (compile time only)
; SGPRBlocks: 0
; VGPRBlocks: 0
; NumSGPRsForWavesPerEU: 4
; NumVGPRsForWavesPerEU: 1
; AccumOffset: 4
; Occupancy: 8
; WaveLimiterHint : 0
; COMPUTE_PGM_RSRC2:SCRATCH_EN: 0
; COMPUTE_PGM_RSRC2:USER_SGPR: 6
; COMPUTE_PGM_RSRC2:TRAP_HANDLER: 0
; COMPUTE_PGM_RSRC2:TGID_X_EN: 1
; COMPUTE_PGM_RSRC2:TGID_Y_EN: 0
; COMPUTE_PGM_RSRC2:TGID_Z_EN: 0
; COMPUTE_PGM_RSRC2:TIDIG_COMP_CNT: 0
; COMPUTE_PGM_RSRC3_GFX90A:ACCUM_OFFSET: 0
; COMPUTE_PGM_RSRC3_GFX90A:TG_SPLIT: 0
	.section	.text._ZN7rocprim17ROCPRIM_400000_NS6detail17trampoline_kernelINS0_14default_configENS1_20scan_config_selectorI3IntEEZZNS1_9scan_implILNS1_25lookback_scan_determinismE0ELb0ELb0ES3_N6thrust23THRUST_200600_302600_NS6detail15normal_iteratorINSA_10device_ptrIKS5_EEEENSC_INSD_IS5_EEEES5_NSA_4plusIvEES5_EEDaPvRmT3_T4_T5_mT6_P12ihipStream_tbENKUlT_T0_E_clISt17integral_constantIbLb0EESY_EEDaST_SU_EUlST_E0_NS1_11comp_targetILNS1_3genE5ELNS1_11target_archE942ELNS1_3gpuE9ELNS1_3repE0EEENS1_30default_config_static_selectorELNS0_4arch9wavefront6targetE1EEEvT1_,"axG",@progbits,_ZN7rocprim17ROCPRIM_400000_NS6detail17trampoline_kernelINS0_14default_configENS1_20scan_config_selectorI3IntEEZZNS1_9scan_implILNS1_25lookback_scan_determinismE0ELb0ELb0ES3_N6thrust23THRUST_200600_302600_NS6detail15normal_iteratorINSA_10device_ptrIKS5_EEEENSC_INSD_IS5_EEEES5_NSA_4plusIvEES5_EEDaPvRmT3_T4_T5_mT6_P12ihipStream_tbENKUlT_T0_E_clISt17integral_constantIbLb0EESY_EEDaST_SU_EUlST_E0_NS1_11comp_targetILNS1_3genE5ELNS1_11target_archE942ELNS1_3gpuE9ELNS1_3repE0EEENS1_30default_config_static_selectorELNS0_4arch9wavefront6targetE1EEEvT1_,comdat
	.protected	_ZN7rocprim17ROCPRIM_400000_NS6detail17trampoline_kernelINS0_14default_configENS1_20scan_config_selectorI3IntEEZZNS1_9scan_implILNS1_25lookback_scan_determinismE0ELb0ELb0ES3_N6thrust23THRUST_200600_302600_NS6detail15normal_iteratorINSA_10device_ptrIKS5_EEEENSC_INSD_IS5_EEEES5_NSA_4plusIvEES5_EEDaPvRmT3_T4_T5_mT6_P12ihipStream_tbENKUlT_T0_E_clISt17integral_constantIbLb0EESY_EEDaST_SU_EUlST_E0_NS1_11comp_targetILNS1_3genE5ELNS1_11target_archE942ELNS1_3gpuE9ELNS1_3repE0EEENS1_30default_config_static_selectorELNS0_4arch9wavefront6targetE1EEEvT1_ ; -- Begin function _ZN7rocprim17ROCPRIM_400000_NS6detail17trampoline_kernelINS0_14default_configENS1_20scan_config_selectorI3IntEEZZNS1_9scan_implILNS1_25lookback_scan_determinismE0ELb0ELb0ES3_N6thrust23THRUST_200600_302600_NS6detail15normal_iteratorINSA_10device_ptrIKS5_EEEENSC_INSD_IS5_EEEES5_NSA_4plusIvEES5_EEDaPvRmT3_T4_T5_mT6_P12ihipStream_tbENKUlT_T0_E_clISt17integral_constantIbLb0EESY_EEDaST_SU_EUlST_E0_NS1_11comp_targetILNS1_3genE5ELNS1_11target_archE942ELNS1_3gpuE9ELNS1_3repE0EEENS1_30default_config_static_selectorELNS0_4arch9wavefront6targetE1EEEvT1_
	.globl	_ZN7rocprim17ROCPRIM_400000_NS6detail17trampoline_kernelINS0_14default_configENS1_20scan_config_selectorI3IntEEZZNS1_9scan_implILNS1_25lookback_scan_determinismE0ELb0ELb0ES3_N6thrust23THRUST_200600_302600_NS6detail15normal_iteratorINSA_10device_ptrIKS5_EEEENSC_INSD_IS5_EEEES5_NSA_4plusIvEES5_EEDaPvRmT3_T4_T5_mT6_P12ihipStream_tbENKUlT_T0_E_clISt17integral_constantIbLb0EESY_EEDaST_SU_EUlST_E0_NS1_11comp_targetILNS1_3genE5ELNS1_11target_archE942ELNS1_3gpuE9ELNS1_3repE0EEENS1_30default_config_static_selectorELNS0_4arch9wavefront6targetE1EEEvT1_
	.p2align	8
	.type	_ZN7rocprim17ROCPRIM_400000_NS6detail17trampoline_kernelINS0_14default_configENS1_20scan_config_selectorI3IntEEZZNS1_9scan_implILNS1_25lookback_scan_determinismE0ELb0ELb0ES3_N6thrust23THRUST_200600_302600_NS6detail15normal_iteratorINSA_10device_ptrIKS5_EEEENSC_INSD_IS5_EEEES5_NSA_4plusIvEES5_EEDaPvRmT3_T4_T5_mT6_P12ihipStream_tbENKUlT_T0_E_clISt17integral_constantIbLb0EESY_EEDaST_SU_EUlST_E0_NS1_11comp_targetILNS1_3genE5ELNS1_11target_archE942ELNS1_3gpuE9ELNS1_3repE0EEENS1_30default_config_static_selectorELNS0_4arch9wavefront6targetE1EEEvT1_,@function
_ZN7rocprim17ROCPRIM_400000_NS6detail17trampoline_kernelINS0_14default_configENS1_20scan_config_selectorI3IntEEZZNS1_9scan_implILNS1_25lookback_scan_determinismE0ELb0ELb0ES3_N6thrust23THRUST_200600_302600_NS6detail15normal_iteratorINSA_10device_ptrIKS5_EEEENSC_INSD_IS5_EEEES5_NSA_4plusIvEES5_EEDaPvRmT3_T4_T5_mT6_P12ihipStream_tbENKUlT_T0_E_clISt17integral_constantIbLb0EESY_EEDaST_SU_EUlST_E0_NS1_11comp_targetILNS1_3genE5ELNS1_11target_archE942ELNS1_3gpuE9ELNS1_3repE0EEENS1_30default_config_static_selectorELNS0_4arch9wavefront6targetE1EEEvT1_: ; @_ZN7rocprim17ROCPRIM_400000_NS6detail17trampoline_kernelINS0_14default_configENS1_20scan_config_selectorI3IntEEZZNS1_9scan_implILNS1_25lookback_scan_determinismE0ELb0ELb0ES3_N6thrust23THRUST_200600_302600_NS6detail15normal_iteratorINSA_10device_ptrIKS5_EEEENSC_INSD_IS5_EEEES5_NSA_4plusIvEES5_EEDaPvRmT3_T4_T5_mT6_P12ihipStream_tbENKUlT_T0_E_clISt17integral_constantIbLb0EESY_EEDaST_SU_EUlST_E0_NS1_11comp_targetILNS1_3genE5ELNS1_11target_archE942ELNS1_3gpuE9ELNS1_3repE0EEENS1_30default_config_static_selectorELNS0_4arch9wavefront6targetE1EEEvT1_
; %bb.0:
	.section	.rodata,"a",@progbits
	.p2align	6, 0x0
	.amdhsa_kernel _ZN7rocprim17ROCPRIM_400000_NS6detail17trampoline_kernelINS0_14default_configENS1_20scan_config_selectorI3IntEEZZNS1_9scan_implILNS1_25lookback_scan_determinismE0ELb0ELb0ES3_N6thrust23THRUST_200600_302600_NS6detail15normal_iteratorINSA_10device_ptrIKS5_EEEENSC_INSD_IS5_EEEES5_NSA_4plusIvEES5_EEDaPvRmT3_T4_T5_mT6_P12ihipStream_tbENKUlT_T0_E_clISt17integral_constantIbLb0EESY_EEDaST_SU_EUlST_E0_NS1_11comp_targetILNS1_3genE5ELNS1_11target_archE942ELNS1_3gpuE9ELNS1_3repE0EEENS1_30default_config_static_selectorELNS0_4arch9wavefront6targetE1EEEvT1_
		.amdhsa_group_segment_fixed_size 0
		.amdhsa_private_segment_fixed_size 0
		.amdhsa_kernarg_size 32
		.amdhsa_user_sgpr_count 6
		.amdhsa_user_sgpr_private_segment_buffer 1
		.amdhsa_user_sgpr_dispatch_ptr 0
		.amdhsa_user_sgpr_queue_ptr 0
		.amdhsa_user_sgpr_kernarg_segment_ptr 1
		.amdhsa_user_sgpr_dispatch_id 0
		.amdhsa_user_sgpr_flat_scratch_init 0
		.amdhsa_user_sgpr_kernarg_preload_length 0
		.amdhsa_user_sgpr_kernarg_preload_offset 0
		.amdhsa_user_sgpr_private_segment_size 0
		.amdhsa_uses_dynamic_stack 0
		.amdhsa_system_sgpr_private_segment_wavefront_offset 0
		.amdhsa_system_sgpr_workgroup_id_x 1
		.amdhsa_system_sgpr_workgroup_id_y 0
		.amdhsa_system_sgpr_workgroup_id_z 0
		.amdhsa_system_sgpr_workgroup_info 0
		.amdhsa_system_vgpr_workitem_id 0
		.amdhsa_next_free_vgpr 1
		.amdhsa_next_free_sgpr 0
		.amdhsa_accum_offset 4
		.amdhsa_reserve_vcc 0
		.amdhsa_reserve_flat_scratch 0
		.amdhsa_float_round_mode_32 0
		.amdhsa_float_round_mode_16_64 0
		.amdhsa_float_denorm_mode_32 3
		.amdhsa_float_denorm_mode_16_64 3
		.amdhsa_dx10_clamp 1
		.amdhsa_ieee_mode 1
		.amdhsa_fp16_overflow 0
		.amdhsa_tg_split 0
		.amdhsa_exception_fp_ieee_invalid_op 0
		.amdhsa_exception_fp_denorm_src 0
		.amdhsa_exception_fp_ieee_div_zero 0
		.amdhsa_exception_fp_ieee_overflow 0
		.amdhsa_exception_fp_ieee_underflow 0
		.amdhsa_exception_fp_ieee_inexact 0
		.amdhsa_exception_int_div_zero 0
	.end_amdhsa_kernel
	.section	.text._ZN7rocprim17ROCPRIM_400000_NS6detail17trampoline_kernelINS0_14default_configENS1_20scan_config_selectorI3IntEEZZNS1_9scan_implILNS1_25lookback_scan_determinismE0ELb0ELb0ES3_N6thrust23THRUST_200600_302600_NS6detail15normal_iteratorINSA_10device_ptrIKS5_EEEENSC_INSD_IS5_EEEES5_NSA_4plusIvEES5_EEDaPvRmT3_T4_T5_mT6_P12ihipStream_tbENKUlT_T0_E_clISt17integral_constantIbLb0EESY_EEDaST_SU_EUlST_E0_NS1_11comp_targetILNS1_3genE5ELNS1_11target_archE942ELNS1_3gpuE9ELNS1_3repE0EEENS1_30default_config_static_selectorELNS0_4arch9wavefront6targetE1EEEvT1_,"axG",@progbits,_ZN7rocprim17ROCPRIM_400000_NS6detail17trampoline_kernelINS0_14default_configENS1_20scan_config_selectorI3IntEEZZNS1_9scan_implILNS1_25lookback_scan_determinismE0ELb0ELb0ES3_N6thrust23THRUST_200600_302600_NS6detail15normal_iteratorINSA_10device_ptrIKS5_EEEENSC_INSD_IS5_EEEES5_NSA_4plusIvEES5_EEDaPvRmT3_T4_T5_mT6_P12ihipStream_tbENKUlT_T0_E_clISt17integral_constantIbLb0EESY_EEDaST_SU_EUlST_E0_NS1_11comp_targetILNS1_3genE5ELNS1_11target_archE942ELNS1_3gpuE9ELNS1_3repE0EEENS1_30default_config_static_selectorELNS0_4arch9wavefront6targetE1EEEvT1_,comdat
.Lfunc_end6915:
	.size	_ZN7rocprim17ROCPRIM_400000_NS6detail17trampoline_kernelINS0_14default_configENS1_20scan_config_selectorI3IntEEZZNS1_9scan_implILNS1_25lookback_scan_determinismE0ELb0ELb0ES3_N6thrust23THRUST_200600_302600_NS6detail15normal_iteratorINSA_10device_ptrIKS5_EEEENSC_INSD_IS5_EEEES5_NSA_4plusIvEES5_EEDaPvRmT3_T4_T5_mT6_P12ihipStream_tbENKUlT_T0_E_clISt17integral_constantIbLb0EESY_EEDaST_SU_EUlST_E0_NS1_11comp_targetILNS1_3genE5ELNS1_11target_archE942ELNS1_3gpuE9ELNS1_3repE0EEENS1_30default_config_static_selectorELNS0_4arch9wavefront6targetE1EEEvT1_, .Lfunc_end6915-_ZN7rocprim17ROCPRIM_400000_NS6detail17trampoline_kernelINS0_14default_configENS1_20scan_config_selectorI3IntEEZZNS1_9scan_implILNS1_25lookback_scan_determinismE0ELb0ELb0ES3_N6thrust23THRUST_200600_302600_NS6detail15normal_iteratorINSA_10device_ptrIKS5_EEEENSC_INSD_IS5_EEEES5_NSA_4plusIvEES5_EEDaPvRmT3_T4_T5_mT6_P12ihipStream_tbENKUlT_T0_E_clISt17integral_constantIbLb0EESY_EEDaST_SU_EUlST_E0_NS1_11comp_targetILNS1_3genE5ELNS1_11target_archE942ELNS1_3gpuE9ELNS1_3repE0EEENS1_30default_config_static_selectorELNS0_4arch9wavefront6targetE1EEEvT1_
                                        ; -- End function
	.section	.AMDGPU.csdata,"",@progbits
; Kernel info:
; codeLenInByte = 0
; NumSgprs: 4
; NumVgprs: 0
; NumAgprs: 0
; TotalNumVgprs: 0
; ScratchSize: 0
; MemoryBound: 0
; FloatMode: 240
; IeeeMode: 1
; LDSByteSize: 0 bytes/workgroup (compile time only)
; SGPRBlocks: 0
; VGPRBlocks: 0
; NumSGPRsForWavesPerEU: 4
; NumVGPRsForWavesPerEU: 1
; AccumOffset: 4
; Occupancy: 8
; WaveLimiterHint : 0
; COMPUTE_PGM_RSRC2:SCRATCH_EN: 0
; COMPUTE_PGM_RSRC2:USER_SGPR: 6
; COMPUTE_PGM_RSRC2:TRAP_HANDLER: 0
; COMPUTE_PGM_RSRC2:TGID_X_EN: 1
; COMPUTE_PGM_RSRC2:TGID_Y_EN: 0
; COMPUTE_PGM_RSRC2:TGID_Z_EN: 0
; COMPUTE_PGM_RSRC2:TIDIG_COMP_CNT: 0
; COMPUTE_PGM_RSRC3_GFX90A:ACCUM_OFFSET: 0
; COMPUTE_PGM_RSRC3_GFX90A:TG_SPLIT: 0
	.section	.text._ZN7rocprim17ROCPRIM_400000_NS6detail17trampoline_kernelINS0_14default_configENS1_20scan_config_selectorI3IntEEZZNS1_9scan_implILNS1_25lookback_scan_determinismE0ELb0ELb0ES3_N6thrust23THRUST_200600_302600_NS6detail15normal_iteratorINSA_10device_ptrIKS5_EEEENSC_INSD_IS5_EEEES5_NSA_4plusIvEES5_EEDaPvRmT3_T4_T5_mT6_P12ihipStream_tbENKUlT_T0_E_clISt17integral_constantIbLb0EESY_EEDaST_SU_EUlST_E0_NS1_11comp_targetILNS1_3genE4ELNS1_11target_archE910ELNS1_3gpuE8ELNS1_3repE0EEENS1_30default_config_static_selectorELNS0_4arch9wavefront6targetE1EEEvT1_,"axG",@progbits,_ZN7rocprim17ROCPRIM_400000_NS6detail17trampoline_kernelINS0_14default_configENS1_20scan_config_selectorI3IntEEZZNS1_9scan_implILNS1_25lookback_scan_determinismE0ELb0ELb0ES3_N6thrust23THRUST_200600_302600_NS6detail15normal_iteratorINSA_10device_ptrIKS5_EEEENSC_INSD_IS5_EEEES5_NSA_4plusIvEES5_EEDaPvRmT3_T4_T5_mT6_P12ihipStream_tbENKUlT_T0_E_clISt17integral_constantIbLb0EESY_EEDaST_SU_EUlST_E0_NS1_11comp_targetILNS1_3genE4ELNS1_11target_archE910ELNS1_3gpuE8ELNS1_3repE0EEENS1_30default_config_static_selectorELNS0_4arch9wavefront6targetE1EEEvT1_,comdat
	.protected	_ZN7rocprim17ROCPRIM_400000_NS6detail17trampoline_kernelINS0_14default_configENS1_20scan_config_selectorI3IntEEZZNS1_9scan_implILNS1_25lookback_scan_determinismE0ELb0ELb0ES3_N6thrust23THRUST_200600_302600_NS6detail15normal_iteratorINSA_10device_ptrIKS5_EEEENSC_INSD_IS5_EEEES5_NSA_4plusIvEES5_EEDaPvRmT3_T4_T5_mT6_P12ihipStream_tbENKUlT_T0_E_clISt17integral_constantIbLb0EESY_EEDaST_SU_EUlST_E0_NS1_11comp_targetILNS1_3genE4ELNS1_11target_archE910ELNS1_3gpuE8ELNS1_3repE0EEENS1_30default_config_static_selectorELNS0_4arch9wavefront6targetE1EEEvT1_ ; -- Begin function _ZN7rocprim17ROCPRIM_400000_NS6detail17trampoline_kernelINS0_14default_configENS1_20scan_config_selectorI3IntEEZZNS1_9scan_implILNS1_25lookback_scan_determinismE0ELb0ELb0ES3_N6thrust23THRUST_200600_302600_NS6detail15normal_iteratorINSA_10device_ptrIKS5_EEEENSC_INSD_IS5_EEEES5_NSA_4plusIvEES5_EEDaPvRmT3_T4_T5_mT6_P12ihipStream_tbENKUlT_T0_E_clISt17integral_constantIbLb0EESY_EEDaST_SU_EUlST_E0_NS1_11comp_targetILNS1_3genE4ELNS1_11target_archE910ELNS1_3gpuE8ELNS1_3repE0EEENS1_30default_config_static_selectorELNS0_4arch9wavefront6targetE1EEEvT1_
	.globl	_ZN7rocprim17ROCPRIM_400000_NS6detail17trampoline_kernelINS0_14default_configENS1_20scan_config_selectorI3IntEEZZNS1_9scan_implILNS1_25lookback_scan_determinismE0ELb0ELb0ES3_N6thrust23THRUST_200600_302600_NS6detail15normal_iteratorINSA_10device_ptrIKS5_EEEENSC_INSD_IS5_EEEES5_NSA_4plusIvEES5_EEDaPvRmT3_T4_T5_mT6_P12ihipStream_tbENKUlT_T0_E_clISt17integral_constantIbLb0EESY_EEDaST_SU_EUlST_E0_NS1_11comp_targetILNS1_3genE4ELNS1_11target_archE910ELNS1_3gpuE8ELNS1_3repE0EEENS1_30default_config_static_selectorELNS0_4arch9wavefront6targetE1EEEvT1_
	.p2align	8
	.type	_ZN7rocprim17ROCPRIM_400000_NS6detail17trampoline_kernelINS0_14default_configENS1_20scan_config_selectorI3IntEEZZNS1_9scan_implILNS1_25lookback_scan_determinismE0ELb0ELb0ES3_N6thrust23THRUST_200600_302600_NS6detail15normal_iteratorINSA_10device_ptrIKS5_EEEENSC_INSD_IS5_EEEES5_NSA_4plusIvEES5_EEDaPvRmT3_T4_T5_mT6_P12ihipStream_tbENKUlT_T0_E_clISt17integral_constantIbLb0EESY_EEDaST_SU_EUlST_E0_NS1_11comp_targetILNS1_3genE4ELNS1_11target_archE910ELNS1_3gpuE8ELNS1_3repE0EEENS1_30default_config_static_selectorELNS0_4arch9wavefront6targetE1EEEvT1_,@function
_ZN7rocprim17ROCPRIM_400000_NS6detail17trampoline_kernelINS0_14default_configENS1_20scan_config_selectorI3IntEEZZNS1_9scan_implILNS1_25lookback_scan_determinismE0ELb0ELb0ES3_N6thrust23THRUST_200600_302600_NS6detail15normal_iteratorINSA_10device_ptrIKS5_EEEENSC_INSD_IS5_EEEES5_NSA_4plusIvEES5_EEDaPvRmT3_T4_T5_mT6_P12ihipStream_tbENKUlT_T0_E_clISt17integral_constantIbLb0EESY_EEDaST_SU_EUlST_E0_NS1_11comp_targetILNS1_3genE4ELNS1_11target_archE910ELNS1_3gpuE8ELNS1_3repE0EEENS1_30default_config_static_selectorELNS0_4arch9wavefront6targetE1EEEvT1_: ; @_ZN7rocprim17ROCPRIM_400000_NS6detail17trampoline_kernelINS0_14default_configENS1_20scan_config_selectorI3IntEEZZNS1_9scan_implILNS1_25lookback_scan_determinismE0ELb0ELb0ES3_N6thrust23THRUST_200600_302600_NS6detail15normal_iteratorINSA_10device_ptrIKS5_EEEENSC_INSD_IS5_EEEES5_NSA_4plusIvEES5_EEDaPvRmT3_T4_T5_mT6_P12ihipStream_tbENKUlT_T0_E_clISt17integral_constantIbLb0EESY_EEDaST_SU_EUlST_E0_NS1_11comp_targetILNS1_3genE4ELNS1_11target_archE910ELNS1_3gpuE8ELNS1_3repE0EEENS1_30default_config_static_selectorELNS0_4arch9wavefront6targetE1EEEvT1_
; %bb.0:
	s_load_dwordx4 s[20:23], s[4:5], 0x0
	v_lshlrev_b32_e32 v20, 2, v0
	s_waitcnt lgkmcnt(0)
	s_load_dword s23, s[20:21], 0x0
	v_cmp_gt_u32_e32 vcc, s22, v0
	s_waitcnt lgkmcnt(0)
	v_mov_b32_e32 v1, s23
	s_and_saveexec_b64 s[0:1], vcc
	s_cbranch_execz .LBB6916_2
; %bb.1:
	global_load_dword v1, v20, s[20:21]
.LBB6916_2:
	s_or_b64 exec, exec, s[0:1]
	v_or_b32_e32 v2, 0x80, v0
	v_cmp_gt_u32_e64 s[0:1], s22, v2
	v_mov_b32_e32 v2, s23
	s_and_saveexec_b64 s[2:3], s[0:1]
	s_cbranch_execz .LBB6916_4
; %bb.3:
	global_load_dword v2, v20, s[20:21] offset:512
.LBB6916_4:
	s_or_b64 exec, exec, s[2:3]
	v_or_b32_e32 v3, 0x100, v0
	v_cmp_gt_u32_e64 s[2:3], s22, v3
	v_mov_b32_e32 v3, s23
	s_and_saveexec_b64 s[6:7], s[2:3]
	s_cbranch_execz .LBB6916_6
; %bb.5:
	global_load_dword v3, v20, s[20:21] offset:1024
.LBB6916_6:
	;; [unrolled: 9-line block ×7, first 2 shown]
	s_or_b64 exec, exec, s[14:15]
	v_or_b32_e32 v10, 0x400, v0
	v_cmp_gt_u32_e64 s[14:15], s22, v10
	v_mov_b32_e32 v9, s23
	s_and_saveexec_b64 s[16:17], s[14:15]
	s_cbranch_execz .LBB6916_18
; %bb.17:
	v_lshlrev_b32_e32 v9, 2, v10
	global_load_dword v9, v9, s[20:21]
.LBB6916_18:
	s_or_b64 exec, exec, s[16:17]
	v_or_b32_e32 v11, 0x480, v0
	v_cmp_gt_u32_e64 s[16:17], s22, v11
	v_mov_b32_e32 v10, s23
	s_and_saveexec_b64 s[22:23], s[16:17]
	s_cbranch_execz .LBB6916_20
; %bb.19:
	v_lshlrev_b32_e32 v10, 2, v11
	global_load_dword v10, v10, s[20:21]
.LBB6916_20:
	s_or_b64 exec, exec, s[22:23]
	s_waitcnt vmcnt(0)
	ds_write2st64_b32 v20, v1, v2 offset1:2
	ds_write2st64_b32 v20, v3, v4 offset0:4 offset1:6
	ds_write2st64_b32 v20, v5, v6 offset0:8 offset1:10
	;; [unrolled: 1-line block ×4, first 2 shown]
	v_mad_u32_u24 v1, v0, 36, v20
	s_waitcnt lgkmcnt(0)
	s_barrier
	ds_read2_b64 v[6:9], v1 offset1:1
	ds_read2_b64 v[2:5], v1 offset0:2 offset1:3
	ds_read_b64 v[18:19], v1 offset:32
	v_lshrrev_b32_e32 v21, 3, v0
	v_and_b32_e32 v21, 12, v21
	s_waitcnt lgkmcnt(2)
	v_add_u32_e32 v1, v7, v6
	v_add_u32_e32 v14, v1, v8
	;; [unrolled: 1-line block ×3, first 2 shown]
	s_waitcnt lgkmcnt(1)
	v_add_u32_e32 v10, v15, v2
	v_add_u32_e32 v11, v10, v3
	;; [unrolled: 1-line block ×4, first 2 shown]
	s_waitcnt lgkmcnt(0)
	v_add_u32_e32 v16, v13, v18
	v_add_u32_e32 v17, v16, v19
	;; [unrolled: 1-line block ×3, first 2 shown]
	v_cmp_gt_u32_e64 s[20:21], 64, v0
	s_barrier
	ds_write_b32 v21, v17
	s_waitcnt lgkmcnt(0)
	s_barrier
	s_and_saveexec_b64 s[22:23], s[20:21]
	s_cbranch_execz .LBB6916_22
; %bb.21:
	v_lshlrev_b32_e32 v21, 1, v0
	v_lshrrev_b32_e32 v22, 4, v0
	v_add_lshl_u32 v21, v22, v21, 2
	ds_read2_b32 v[22:23], v21 offset1:1
	v_mbcnt_lo_u32_b32 v24, -1, 0
	v_mbcnt_hi_u32_b32 v24, -1, v24
	v_and_b32_e32 v25, 15, v24
	v_cmp_ne_u32_e64 s[20:21], 0, v25
	s_waitcnt lgkmcnt(0)
	v_add_u32_e32 v23, v23, v22
	; wave barrier
	s_nop 1
	v_mov_b32_dpp v26, v23 row_shr:1 row_mask:0xf bank_mask:0xf
	v_cndmask_b32_e64 v26, 0, v26, s[20:21]
	v_add_u32_e32 v23, v26, v23
	v_cmp_lt_u32_e64 s[20:21], 1, v25
	s_nop 0
	v_mov_b32_dpp v26, v23 row_shr:2 row_mask:0xf bank_mask:0xf
	v_cndmask_b32_e64 v26, 0, v26, s[20:21]
	v_add_u32_e32 v23, v23, v26
	v_cmp_lt_u32_e64 s[20:21], 3, v25
	;; [unrolled: 5-line block ×3, first 2 shown]
	s_nop 0
	v_mov_b32_dpp v26, v23 row_shr:8 row_mask:0xf bank_mask:0xf
	v_cndmask_b32_e64 v25, 0, v26, s[20:21]
	v_add_u32_e32 v23, v23, v25
	v_bfe_i32 v26, v24, 4, 1
	v_cmp_lt_u32_e64 s[20:21], 31, v24
	v_mov_b32_dpp v25, v23 row_bcast:15 row_mask:0xf bank_mask:0xf
	v_and_b32_e32 v25, v26, v25
	v_add_u32_e32 v23, v23, v25
	v_and_b32_e32 v26, 64, v24
	s_nop 0
	v_mov_b32_dpp v25, v23 row_bcast:31 row_mask:0xf bank_mask:0xf
	v_cndmask_b32_e64 v25, 0, v25, s[20:21]
	v_add_u32_e32 v23, v23, v25
	v_add_u32_e32 v25, -1, v24
	v_cmp_lt_i32_e64 s[20:21], v25, v26
	v_cndmask_b32_e64 v24, v25, v24, s[20:21]
	v_lshlrev_b32_e32 v24, 2, v24
	ds_bpermute_b32 v23, v24, v23
	v_cmp_eq_u32_e64 s[20:21], 0, v0
	s_waitcnt lgkmcnt(0)
	v_add_u32_e32 v22, v23, v22
	v_cndmask_b32_e64 v22, v22, v17, s[20:21]
	ds_write_b32 v21, v22
	; wave barrier
	ds_read_b32 v23, v21 offset:4
	s_waitcnt lgkmcnt(0)
	v_add_u32_e32 v22, v23, v22
	ds_write_b32 v21, v22 offset:4
.LBB6916_22:
	s_or_b64 exec, exec, s[22:23]
	s_load_dwordx2 s[20:21], s[4:5], 0x18
	v_cmp_ne_u32_e64 s[4:5], 0, v0
	v_mov_b32_e32 v22, v17
	s_waitcnt lgkmcnt(0)
	s_barrier
	s_and_saveexec_b64 s[22:23], s[4:5]
	s_cbranch_execz .LBB6916_24
; %bb.23:
	v_add_u32_e32 v21, -1, v0
	v_lshrrev_b32_e32 v22, 5, v21
	v_add_lshl_u32 v21, v22, v21, 2
	ds_read_b32 v22, v21
.LBB6916_24:
	s_or_b64 exec, exec, s[22:23]
	v_mul_u32_u24_e32 v21, 36, v0
	v_mov_b32_e32 v0, v6
	s_and_saveexec_b64 s[22:23], s[4:5]
	s_cbranch_execz .LBB6916_26
; %bb.25:
	s_waitcnt lgkmcnt(0)
	v_add_u32_e32 v0, v22, v6
	v_add_u32_e32 v1, v0, v7
	;; [unrolled: 1-line block ×10, first 2 shown]
	;;#ASMSTART
	;;#ASMEND
.LBB6916_26:
	s_or_b64 exec, exec, s[22:23]
	v_add_u32_e32 v2, v20, v21
	s_waitcnt lgkmcnt(0)
	s_barrier
	ds_write2_b64 v2, v[0:1], v[14:15] offset1:1
	ds_write2_b64 v2, v[10:11], v[12:13] offset0:2 offset1:3
	ds_write_b64 v2, v[16:17] offset:32
	s_waitcnt lgkmcnt(0)
	s_barrier
	ds_read2st64_b32 v[8:9], v20 offset0:2 offset1:4
	ds_read2st64_b32 v[6:7], v20 offset0:6 offset1:8
	;; [unrolled: 1-line block ×4, first 2 shown]
	ds_read_b32 v10, v20 offset:4608
	v_mov_b32_e32 v1, s21
	v_add_co_u32_e64 v0, s[4:5], s20, v20
	v_addc_co_u32_e64 v1, s[4:5], 0, v1, s[4:5]
	s_and_saveexec_b64 s[4:5], vcc
	s_cbranch_execnz .LBB6916_37
; %bb.27:
	s_or_b64 exec, exec, s[4:5]
	s_and_saveexec_b64 s[4:5], s[0:1]
	s_cbranch_execnz .LBB6916_38
.LBB6916_28:
	s_or_b64 exec, exec, s[4:5]
	s_and_saveexec_b64 s[0:1], s[2:3]
	s_cbranch_execnz .LBB6916_39
.LBB6916_29:
	s_or_b64 exec, exec, s[0:1]
	s_and_saveexec_b64 s[0:1], s[18:19]
	s_cbranch_execnz .LBB6916_40
.LBB6916_30:
	s_or_b64 exec, exec, s[0:1]
	s_and_saveexec_b64 s[0:1], s[6:7]
	s_cbranch_execnz .LBB6916_41
.LBB6916_31:
	s_or_b64 exec, exec, s[0:1]
	s_and_saveexec_b64 s[0:1], s[8:9]
	s_cbranch_execnz .LBB6916_42
.LBB6916_32:
	s_or_b64 exec, exec, s[0:1]
	s_and_saveexec_b64 s[0:1], s[10:11]
	s_cbranch_execnz .LBB6916_43
.LBB6916_33:
	s_or_b64 exec, exec, s[0:1]
	s_and_saveexec_b64 s[0:1], s[12:13]
	s_cbranch_execnz .LBB6916_44
.LBB6916_34:
	s_or_b64 exec, exec, s[0:1]
	s_and_saveexec_b64 s[0:1], s[14:15]
	s_cbranch_execnz .LBB6916_45
.LBB6916_35:
	s_or_b64 exec, exec, s[0:1]
	s_and_saveexec_b64 s[0:1], s[16:17]
	s_cbranch_execnz .LBB6916_46
.LBB6916_36:
	s_endpgm
.LBB6916_37:
	ds_read_b32 v11, v20
	s_waitcnt lgkmcnt(0)
	global_store_dword v[0:1], v11, off
	s_or_b64 exec, exec, s[4:5]
	s_and_saveexec_b64 s[4:5], s[0:1]
	s_cbranch_execz .LBB6916_28
.LBB6916_38:
	s_waitcnt lgkmcnt(4)
	global_store_dword v[0:1], v8, off offset:512
	s_or_b64 exec, exec, s[4:5]
	s_and_saveexec_b64 s[0:1], s[2:3]
	s_cbranch_execz .LBB6916_29
.LBB6916_39:
	s_waitcnt lgkmcnt(4)
	global_store_dword v[0:1], v9, off offset:1024
	s_or_b64 exec, exec, s[0:1]
	s_and_saveexec_b64 s[0:1], s[18:19]
	s_cbranch_execz .LBB6916_30
.LBB6916_40:
	s_waitcnt lgkmcnt(3)
	global_store_dword v[0:1], v6, off offset:1536
	s_or_b64 exec, exec, s[0:1]
	s_and_saveexec_b64 s[0:1], s[6:7]
	s_cbranch_execz .LBB6916_31
.LBB6916_41:
	s_waitcnt lgkmcnt(3)
	global_store_dword v[0:1], v7, off offset:2048
	s_or_b64 exec, exec, s[0:1]
	s_and_saveexec_b64 s[0:1], s[8:9]
	s_cbranch_execz .LBB6916_32
.LBB6916_42:
	s_waitcnt lgkmcnt(2)
	global_store_dword v[0:1], v4, off offset:2560
	s_or_b64 exec, exec, s[0:1]
	s_and_saveexec_b64 s[0:1], s[10:11]
	s_cbranch_execz .LBB6916_33
.LBB6916_43:
	s_waitcnt lgkmcnt(2)
	global_store_dword v[0:1], v5, off offset:3072
	s_or_b64 exec, exec, s[0:1]
	s_and_saveexec_b64 s[0:1], s[12:13]
	s_cbranch_execz .LBB6916_34
.LBB6916_44:
	s_waitcnt lgkmcnt(1)
	global_store_dword v[0:1], v2, off offset:3584
	s_or_b64 exec, exec, s[0:1]
	s_and_saveexec_b64 s[0:1], s[14:15]
	s_cbranch_execz .LBB6916_35
.LBB6916_45:
	s_waitcnt lgkmcnt(2)
	v_add_co_u32_e32 v4, vcc, 0x1000, v0
	v_addc_co_u32_e32 v5, vcc, 0, v1, vcc
	s_waitcnt lgkmcnt(1)
	global_store_dword v[4:5], v3, off
	s_or_b64 exec, exec, s[0:1]
	s_and_saveexec_b64 s[0:1], s[16:17]
	s_cbranch_execz .LBB6916_36
.LBB6916_46:
	v_add_co_u32_e32 v0, vcc, 0x1000, v0
	v_addc_co_u32_e32 v1, vcc, 0, v1, vcc
	s_waitcnt lgkmcnt(0)
	global_store_dword v[0:1], v10, off offset:512
	s_endpgm
	.section	.rodata,"a",@progbits
	.p2align	6, 0x0
	.amdhsa_kernel _ZN7rocprim17ROCPRIM_400000_NS6detail17trampoline_kernelINS0_14default_configENS1_20scan_config_selectorI3IntEEZZNS1_9scan_implILNS1_25lookback_scan_determinismE0ELb0ELb0ES3_N6thrust23THRUST_200600_302600_NS6detail15normal_iteratorINSA_10device_ptrIKS5_EEEENSC_INSD_IS5_EEEES5_NSA_4plusIvEES5_EEDaPvRmT3_T4_T5_mT6_P12ihipStream_tbENKUlT_T0_E_clISt17integral_constantIbLb0EESY_EEDaST_SU_EUlST_E0_NS1_11comp_targetILNS1_3genE4ELNS1_11target_archE910ELNS1_3gpuE8ELNS1_3repE0EEENS1_30default_config_static_selectorELNS0_4arch9wavefront6targetE1EEEvT1_
		.amdhsa_group_segment_fixed_size 5120
		.amdhsa_private_segment_fixed_size 0
		.amdhsa_kernarg_size 32
		.amdhsa_user_sgpr_count 6
		.amdhsa_user_sgpr_private_segment_buffer 1
		.amdhsa_user_sgpr_dispatch_ptr 0
		.amdhsa_user_sgpr_queue_ptr 0
		.amdhsa_user_sgpr_kernarg_segment_ptr 1
		.amdhsa_user_sgpr_dispatch_id 0
		.amdhsa_user_sgpr_flat_scratch_init 0
		.amdhsa_user_sgpr_kernarg_preload_length 0
		.amdhsa_user_sgpr_kernarg_preload_offset 0
		.amdhsa_user_sgpr_private_segment_size 0
		.amdhsa_uses_dynamic_stack 0
		.amdhsa_system_sgpr_private_segment_wavefront_offset 0
		.amdhsa_system_sgpr_workgroup_id_x 1
		.amdhsa_system_sgpr_workgroup_id_y 0
		.amdhsa_system_sgpr_workgroup_id_z 0
		.amdhsa_system_sgpr_workgroup_info 0
		.amdhsa_system_vgpr_workitem_id 0
		.amdhsa_next_free_vgpr 27
		.amdhsa_next_free_sgpr 24
		.amdhsa_accum_offset 28
		.amdhsa_reserve_vcc 1
		.amdhsa_reserve_flat_scratch 0
		.amdhsa_float_round_mode_32 0
		.amdhsa_float_round_mode_16_64 0
		.amdhsa_float_denorm_mode_32 3
		.amdhsa_float_denorm_mode_16_64 3
		.amdhsa_dx10_clamp 1
		.amdhsa_ieee_mode 1
		.amdhsa_fp16_overflow 0
		.amdhsa_tg_split 0
		.amdhsa_exception_fp_ieee_invalid_op 0
		.amdhsa_exception_fp_denorm_src 0
		.amdhsa_exception_fp_ieee_div_zero 0
		.amdhsa_exception_fp_ieee_overflow 0
		.amdhsa_exception_fp_ieee_underflow 0
		.amdhsa_exception_fp_ieee_inexact 0
		.amdhsa_exception_int_div_zero 0
	.end_amdhsa_kernel
	.section	.text._ZN7rocprim17ROCPRIM_400000_NS6detail17trampoline_kernelINS0_14default_configENS1_20scan_config_selectorI3IntEEZZNS1_9scan_implILNS1_25lookback_scan_determinismE0ELb0ELb0ES3_N6thrust23THRUST_200600_302600_NS6detail15normal_iteratorINSA_10device_ptrIKS5_EEEENSC_INSD_IS5_EEEES5_NSA_4plusIvEES5_EEDaPvRmT3_T4_T5_mT6_P12ihipStream_tbENKUlT_T0_E_clISt17integral_constantIbLb0EESY_EEDaST_SU_EUlST_E0_NS1_11comp_targetILNS1_3genE4ELNS1_11target_archE910ELNS1_3gpuE8ELNS1_3repE0EEENS1_30default_config_static_selectorELNS0_4arch9wavefront6targetE1EEEvT1_,"axG",@progbits,_ZN7rocprim17ROCPRIM_400000_NS6detail17trampoline_kernelINS0_14default_configENS1_20scan_config_selectorI3IntEEZZNS1_9scan_implILNS1_25lookback_scan_determinismE0ELb0ELb0ES3_N6thrust23THRUST_200600_302600_NS6detail15normal_iteratorINSA_10device_ptrIKS5_EEEENSC_INSD_IS5_EEEES5_NSA_4plusIvEES5_EEDaPvRmT3_T4_T5_mT6_P12ihipStream_tbENKUlT_T0_E_clISt17integral_constantIbLb0EESY_EEDaST_SU_EUlST_E0_NS1_11comp_targetILNS1_3genE4ELNS1_11target_archE910ELNS1_3gpuE8ELNS1_3repE0EEENS1_30default_config_static_selectorELNS0_4arch9wavefront6targetE1EEEvT1_,comdat
.Lfunc_end6916:
	.size	_ZN7rocprim17ROCPRIM_400000_NS6detail17trampoline_kernelINS0_14default_configENS1_20scan_config_selectorI3IntEEZZNS1_9scan_implILNS1_25lookback_scan_determinismE0ELb0ELb0ES3_N6thrust23THRUST_200600_302600_NS6detail15normal_iteratorINSA_10device_ptrIKS5_EEEENSC_INSD_IS5_EEEES5_NSA_4plusIvEES5_EEDaPvRmT3_T4_T5_mT6_P12ihipStream_tbENKUlT_T0_E_clISt17integral_constantIbLb0EESY_EEDaST_SU_EUlST_E0_NS1_11comp_targetILNS1_3genE4ELNS1_11target_archE910ELNS1_3gpuE8ELNS1_3repE0EEENS1_30default_config_static_selectorELNS0_4arch9wavefront6targetE1EEEvT1_, .Lfunc_end6916-_ZN7rocprim17ROCPRIM_400000_NS6detail17trampoline_kernelINS0_14default_configENS1_20scan_config_selectorI3IntEEZZNS1_9scan_implILNS1_25lookback_scan_determinismE0ELb0ELb0ES3_N6thrust23THRUST_200600_302600_NS6detail15normal_iteratorINSA_10device_ptrIKS5_EEEENSC_INSD_IS5_EEEES5_NSA_4plusIvEES5_EEDaPvRmT3_T4_T5_mT6_P12ihipStream_tbENKUlT_T0_E_clISt17integral_constantIbLb0EESY_EEDaST_SU_EUlST_E0_NS1_11comp_targetILNS1_3genE4ELNS1_11target_archE910ELNS1_3gpuE8ELNS1_3repE0EEENS1_30default_config_static_selectorELNS0_4arch9wavefront6targetE1EEEvT1_
                                        ; -- End function
	.section	.AMDGPU.csdata,"",@progbits
; Kernel info:
; codeLenInByte = 1556
; NumSgprs: 28
; NumVgprs: 27
; NumAgprs: 0
; TotalNumVgprs: 27
; ScratchSize: 0
; MemoryBound: 0
; FloatMode: 240
; IeeeMode: 1
; LDSByteSize: 5120 bytes/workgroup (compile time only)
; SGPRBlocks: 3
; VGPRBlocks: 3
; NumSGPRsForWavesPerEU: 28
; NumVGPRsForWavesPerEU: 27
; AccumOffset: 28
; Occupancy: 6
; WaveLimiterHint : 0
; COMPUTE_PGM_RSRC2:SCRATCH_EN: 0
; COMPUTE_PGM_RSRC2:USER_SGPR: 6
; COMPUTE_PGM_RSRC2:TRAP_HANDLER: 0
; COMPUTE_PGM_RSRC2:TGID_X_EN: 1
; COMPUTE_PGM_RSRC2:TGID_Y_EN: 0
; COMPUTE_PGM_RSRC2:TGID_Z_EN: 0
; COMPUTE_PGM_RSRC2:TIDIG_COMP_CNT: 0
; COMPUTE_PGM_RSRC3_GFX90A:ACCUM_OFFSET: 6
; COMPUTE_PGM_RSRC3_GFX90A:TG_SPLIT: 0
	.section	.text._ZN7rocprim17ROCPRIM_400000_NS6detail17trampoline_kernelINS0_14default_configENS1_20scan_config_selectorI3IntEEZZNS1_9scan_implILNS1_25lookback_scan_determinismE0ELb0ELb0ES3_N6thrust23THRUST_200600_302600_NS6detail15normal_iteratorINSA_10device_ptrIKS5_EEEENSC_INSD_IS5_EEEES5_NSA_4plusIvEES5_EEDaPvRmT3_T4_T5_mT6_P12ihipStream_tbENKUlT_T0_E_clISt17integral_constantIbLb0EESY_EEDaST_SU_EUlST_E0_NS1_11comp_targetILNS1_3genE3ELNS1_11target_archE908ELNS1_3gpuE7ELNS1_3repE0EEENS1_30default_config_static_selectorELNS0_4arch9wavefront6targetE1EEEvT1_,"axG",@progbits,_ZN7rocprim17ROCPRIM_400000_NS6detail17trampoline_kernelINS0_14default_configENS1_20scan_config_selectorI3IntEEZZNS1_9scan_implILNS1_25lookback_scan_determinismE0ELb0ELb0ES3_N6thrust23THRUST_200600_302600_NS6detail15normal_iteratorINSA_10device_ptrIKS5_EEEENSC_INSD_IS5_EEEES5_NSA_4plusIvEES5_EEDaPvRmT3_T4_T5_mT6_P12ihipStream_tbENKUlT_T0_E_clISt17integral_constantIbLb0EESY_EEDaST_SU_EUlST_E0_NS1_11comp_targetILNS1_3genE3ELNS1_11target_archE908ELNS1_3gpuE7ELNS1_3repE0EEENS1_30default_config_static_selectorELNS0_4arch9wavefront6targetE1EEEvT1_,comdat
	.protected	_ZN7rocprim17ROCPRIM_400000_NS6detail17trampoline_kernelINS0_14default_configENS1_20scan_config_selectorI3IntEEZZNS1_9scan_implILNS1_25lookback_scan_determinismE0ELb0ELb0ES3_N6thrust23THRUST_200600_302600_NS6detail15normal_iteratorINSA_10device_ptrIKS5_EEEENSC_INSD_IS5_EEEES5_NSA_4plusIvEES5_EEDaPvRmT3_T4_T5_mT6_P12ihipStream_tbENKUlT_T0_E_clISt17integral_constantIbLb0EESY_EEDaST_SU_EUlST_E0_NS1_11comp_targetILNS1_3genE3ELNS1_11target_archE908ELNS1_3gpuE7ELNS1_3repE0EEENS1_30default_config_static_selectorELNS0_4arch9wavefront6targetE1EEEvT1_ ; -- Begin function _ZN7rocprim17ROCPRIM_400000_NS6detail17trampoline_kernelINS0_14default_configENS1_20scan_config_selectorI3IntEEZZNS1_9scan_implILNS1_25lookback_scan_determinismE0ELb0ELb0ES3_N6thrust23THRUST_200600_302600_NS6detail15normal_iteratorINSA_10device_ptrIKS5_EEEENSC_INSD_IS5_EEEES5_NSA_4plusIvEES5_EEDaPvRmT3_T4_T5_mT6_P12ihipStream_tbENKUlT_T0_E_clISt17integral_constantIbLb0EESY_EEDaST_SU_EUlST_E0_NS1_11comp_targetILNS1_3genE3ELNS1_11target_archE908ELNS1_3gpuE7ELNS1_3repE0EEENS1_30default_config_static_selectorELNS0_4arch9wavefront6targetE1EEEvT1_
	.globl	_ZN7rocprim17ROCPRIM_400000_NS6detail17trampoline_kernelINS0_14default_configENS1_20scan_config_selectorI3IntEEZZNS1_9scan_implILNS1_25lookback_scan_determinismE0ELb0ELb0ES3_N6thrust23THRUST_200600_302600_NS6detail15normal_iteratorINSA_10device_ptrIKS5_EEEENSC_INSD_IS5_EEEES5_NSA_4plusIvEES5_EEDaPvRmT3_T4_T5_mT6_P12ihipStream_tbENKUlT_T0_E_clISt17integral_constantIbLb0EESY_EEDaST_SU_EUlST_E0_NS1_11comp_targetILNS1_3genE3ELNS1_11target_archE908ELNS1_3gpuE7ELNS1_3repE0EEENS1_30default_config_static_selectorELNS0_4arch9wavefront6targetE1EEEvT1_
	.p2align	8
	.type	_ZN7rocprim17ROCPRIM_400000_NS6detail17trampoline_kernelINS0_14default_configENS1_20scan_config_selectorI3IntEEZZNS1_9scan_implILNS1_25lookback_scan_determinismE0ELb0ELb0ES3_N6thrust23THRUST_200600_302600_NS6detail15normal_iteratorINSA_10device_ptrIKS5_EEEENSC_INSD_IS5_EEEES5_NSA_4plusIvEES5_EEDaPvRmT3_T4_T5_mT6_P12ihipStream_tbENKUlT_T0_E_clISt17integral_constantIbLb0EESY_EEDaST_SU_EUlST_E0_NS1_11comp_targetILNS1_3genE3ELNS1_11target_archE908ELNS1_3gpuE7ELNS1_3repE0EEENS1_30default_config_static_selectorELNS0_4arch9wavefront6targetE1EEEvT1_,@function
_ZN7rocprim17ROCPRIM_400000_NS6detail17trampoline_kernelINS0_14default_configENS1_20scan_config_selectorI3IntEEZZNS1_9scan_implILNS1_25lookback_scan_determinismE0ELb0ELb0ES3_N6thrust23THRUST_200600_302600_NS6detail15normal_iteratorINSA_10device_ptrIKS5_EEEENSC_INSD_IS5_EEEES5_NSA_4plusIvEES5_EEDaPvRmT3_T4_T5_mT6_P12ihipStream_tbENKUlT_T0_E_clISt17integral_constantIbLb0EESY_EEDaST_SU_EUlST_E0_NS1_11comp_targetILNS1_3genE3ELNS1_11target_archE908ELNS1_3gpuE7ELNS1_3repE0EEENS1_30default_config_static_selectorELNS0_4arch9wavefront6targetE1EEEvT1_: ; @_ZN7rocprim17ROCPRIM_400000_NS6detail17trampoline_kernelINS0_14default_configENS1_20scan_config_selectorI3IntEEZZNS1_9scan_implILNS1_25lookback_scan_determinismE0ELb0ELb0ES3_N6thrust23THRUST_200600_302600_NS6detail15normal_iteratorINSA_10device_ptrIKS5_EEEENSC_INSD_IS5_EEEES5_NSA_4plusIvEES5_EEDaPvRmT3_T4_T5_mT6_P12ihipStream_tbENKUlT_T0_E_clISt17integral_constantIbLb0EESY_EEDaST_SU_EUlST_E0_NS1_11comp_targetILNS1_3genE3ELNS1_11target_archE908ELNS1_3gpuE7ELNS1_3repE0EEENS1_30default_config_static_selectorELNS0_4arch9wavefront6targetE1EEEvT1_
; %bb.0:
	.section	.rodata,"a",@progbits
	.p2align	6, 0x0
	.amdhsa_kernel _ZN7rocprim17ROCPRIM_400000_NS6detail17trampoline_kernelINS0_14default_configENS1_20scan_config_selectorI3IntEEZZNS1_9scan_implILNS1_25lookback_scan_determinismE0ELb0ELb0ES3_N6thrust23THRUST_200600_302600_NS6detail15normal_iteratorINSA_10device_ptrIKS5_EEEENSC_INSD_IS5_EEEES5_NSA_4plusIvEES5_EEDaPvRmT3_T4_T5_mT6_P12ihipStream_tbENKUlT_T0_E_clISt17integral_constantIbLb0EESY_EEDaST_SU_EUlST_E0_NS1_11comp_targetILNS1_3genE3ELNS1_11target_archE908ELNS1_3gpuE7ELNS1_3repE0EEENS1_30default_config_static_selectorELNS0_4arch9wavefront6targetE1EEEvT1_
		.amdhsa_group_segment_fixed_size 0
		.amdhsa_private_segment_fixed_size 0
		.amdhsa_kernarg_size 32
		.amdhsa_user_sgpr_count 6
		.amdhsa_user_sgpr_private_segment_buffer 1
		.amdhsa_user_sgpr_dispatch_ptr 0
		.amdhsa_user_sgpr_queue_ptr 0
		.amdhsa_user_sgpr_kernarg_segment_ptr 1
		.amdhsa_user_sgpr_dispatch_id 0
		.amdhsa_user_sgpr_flat_scratch_init 0
		.amdhsa_user_sgpr_kernarg_preload_length 0
		.amdhsa_user_sgpr_kernarg_preload_offset 0
		.amdhsa_user_sgpr_private_segment_size 0
		.amdhsa_uses_dynamic_stack 0
		.amdhsa_system_sgpr_private_segment_wavefront_offset 0
		.amdhsa_system_sgpr_workgroup_id_x 1
		.amdhsa_system_sgpr_workgroup_id_y 0
		.amdhsa_system_sgpr_workgroup_id_z 0
		.amdhsa_system_sgpr_workgroup_info 0
		.amdhsa_system_vgpr_workitem_id 0
		.amdhsa_next_free_vgpr 1
		.amdhsa_next_free_sgpr 0
		.amdhsa_accum_offset 4
		.amdhsa_reserve_vcc 0
		.amdhsa_reserve_flat_scratch 0
		.amdhsa_float_round_mode_32 0
		.amdhsa_float_round_mode_16_64 0
		.amdhsa_float_denorm_mode_32 3
		.amdhsa_float_denorm_mode_16_64 3
		.amdhsa_dx10_clamp 1
		.amdhsa_ieee_mode 1
		.amdhsa_fp16_overflow 0
		.amdhsa_tg_split 0
		.amdhsa_exception_fp_ieee_invalid_op 0
		.amdhsa_exception_fp_denorm_src 0
		.amdhsa_exception_fp_ieee_div_zero 0
		.amdhsa_exception_fp_ieee_overflow 0
		.amdhsa_exception_fp_ieee_underflow 0
		.amdhsa_exception_fp_ieee_inexact 0
		.amdhsa_exception_int_div_zero 0
	.end_amdhsa_kernel
	.section	.text._ZN7rocprim17ROCPRIM_400000_NS6detail17trampoline_kernelINS0_14default_configENS1_20scan_config_selectorI3IntEEZZNS1_9scan_implILNS1_25lookback_scan_determinismE0ELb0ELb0ES3_N6thrust23THRUST_200600_302600_NS6detail15normal_iteratorINSA_10device_ptrIKS5_EEEENSC_INSD_IS5_EEEES5_NSA_4plusIvEES5_EEDaPvRmT3_T4_T5_mT6_P12ihipStream_tbENKUlT_T0_E_clISt17integral_constantIbLb0EESY_EEDaST_SU_EUlST_E0_NS1_11comp_targetILNS1_3genE3ELNS1_11target_archE908ELNS1_3gpuE7ELNS1_3repE0EEENS1_30default_config_static_selectorELNS0_4arch9wavefront6targetE1EEEvT1_,"axG",@progbits,_ZN7rocprim17ROCPRIM_400000_NS6detail17trampoline_kernelINS0_14default_configENS1_20scan_config_selectorI3IntEEZZNS1_9scan_implILNS1_25lookback_scan_determinismE0ELb0ELb0ES3_N6thrust23THRUST_200600_302600_NS6detail15normal_iteratorINSA_10device_ptrIKS5_EEEENSC_INSD_IS5_EEEES5_NSA_4plusIvEES5_EEDaPvRmT3_T4_T5_mT6_P12ihipStream_tbENKUlT_T0_E_clISt17integral_constantIbLb0EESY_EEDaST_SU_EUlST_E0_NS1_11comp_targetILNS1_3genE3ELNS1_11target_archE908ELNS1_3gpuE7ELNS1_3repE0EEENS1_30default_config_static_selectorELNS0_4arch9wavefront6targetE1EEEvT1_,comdat
.Lfunc_end6917:
	.size	_ZN7rocprim17ROCPRIM_400000_NS6detail17trampoline_kernelINS0_14default_configENS1_20scan_config_selectorI3IntEEZZNS1_9scan_implILNS1_25lookback_scan_determinismE0ELb0ELb0ES3_N6thrust23THRUST_200600_302600_NS6detail15normal_iteratorINSA_10device_ptrIKS5_EEEENSC_INSD_IS5_EEEES5_NSA_4plusIvEES5_EEDaPvRmT3_T4_T5_mT6_P12ihipStream_tbENKUlT_T0_E_clISt17integral_constantIbLb0EESY_EEDaST_SU_EUlST_E0_NS1_11comp_targetILNS1_3genE3ELNS1_11target_archE908ELNS1_3gpuE7ELNS1_3repE0EEENS1_30default_config_static_selectorELNS0_4arch9wavefront6targetE1EEEvT1_, .Lfunc_end6917-_ZN7rocprim17ROCPRIM_400000_NS6detail17trampoline_kernelINS0_14default_configENS1_20scan_config_selectorI3IntEEZZNS1_9scan_implILNS1_25lookback_scan_determinismE0ELb0ELb0ES3_N6thrust23THRUST_200600_302600_NS6detail15normal_iteratorINSA_10device_ptrIKS5_EEEENSC_INSD_IS5_EEEES5_NSA_4plusIvEES5_EEDaPvRmT3_T4_T5_mT6_P12ihipStream_tbENKUlT_T0_E_clISt17integral_constantIbLb0EESY_EEDaST_SU_EUlST_E0_NS1_11comp_targetILNS1_3genE3ELNS1_11target_archE908ELNS1_3gpuE7ELNS1_3repE0EEENS1_30default_config_static_selectorELNS0_4arch9wavefront6targetE1EEEvT1_
                                        ; -- End function
	.section	.AMDGPU.csdata,"",@progbits
; Kernel info:
; codeLenInByte = 0
; NumSgprs: 4
; NumVgprs: 0
; NumAgprs: 0
; TotalNumVgprs: 0
; ScratchSize: 0
; MemoryBound: 0
; FloatMode: 240
; IeeeMode: 1
; LDSByteSize: 0 bytes/workgroup (compile time only)
; SGPRBlocks: 0
; VGPRBlocks: 0
; NumSGPRsForWavesPerEU: 4
; NumVGPRsForWavesPerEU: 1
; AccumOffset: 4
; Occupancy: 8
; WaveLimiterHint : 0
; COMPUTE_PGM_RSRC2:SCRATCH_EN: 0
; COMPUTE_PGM_RSRC2:USER_SGPR: 6
; COMPUTE_PGM_RSRC2:TRAP_HANDLER: 0
; COMPUTE_PGM_RSRC2:TGID_X_EN: 1
; COMPUTE_PGM_RSRC2:TGID_Y_EN: 0
; COMPUTE_PGM_RSRC2:TGID_Z_EN: 0
; COMPUTE_PGM_RSRC2:TIDIG_COMP_CNT: 0
; COMPUTE_PGM_RSRC3_GFX90A:ACCUM_OFFSET: 0
; COMPUTE_PGM_RSRC3_GFX90A:TG_SPLIT: 0
	.section	.text._ZN7rocprim17ROCPRIM_400000_NS6detail17trampoline_kernelINS0_14default_configENS1_20scan_config_selectorI3IntEEZZNS1_9scan_implILNS1_25lookback_scan_determinismE0ELb0ELb0ES3_N6thrust23THRUST_200600_302600_NS6detail15normal_iteratorINSA_10device_ptrIKS5_EEEENSC_INSD_IS5_EEEES5_NSA_4plusIvEES5_EEDaPvRmT3_T4_T5_mT6_P12ihipStream_tbENKUlT_T0_E_clISt17integral_constantIbLb0EESY_EEDaST_SU_EUlST_E0_NS1_11comp_targetILNS1_3genE2ELNS1_11target_archE906ELNS1_3gpuE6ELNS1_3repE0EEENS1_30default_config_static_selectorELNS0_4arch9wavefront6targetE1EEEvT1_,"axG",@progbits,_ZN7rocprim17ROCPRIM_400000_NS6detail17trampoline_kernelINS0_14default_configENS1_20scan_config_selectorI3IntEEZZNS1_9scan_implILNS1_25lookback_scan_determinismE0ELb0ELb0ES3_N6thrust23THRUST_200600_302600_NS6detail15normal_iteratorINSA_10device_ptrIKS5_EEEENSC_INSD_IS5_EEEES5_NSA_4plusIvEES5_EEDaPvRmT3_T4_T5_mT6_P12ihipStream_tbENKUlT_T0_E_clISt17integral_constantIbLb0EESY_EEDaST_SU_EUlST_E0_NS1_11comp_targetILNS1_3genE2ELNS1_11target_archE906ELNS1_3gpuE6ELNS1_3repE0EEENS1_30default_config_static_selectorELNS0_4arch9wavefront6targetE1EEEvT1_,comdat
	.protected	_ZN7rocprim17ROCPRIM_400000_NS6detail17trampoline_kernelINS0_14default_configENS1_20scan_config_selectorI3IntEEZZNS1_9scan_implILNS1_25lookback_scan_determinismE0ELb0ELb0ES3_N6thrust23THRUST_200600_302600_NS6detail15normal_iteratorINSA_10device_ptrIKS5_EEEENSC_INSD_IS5_EEEES5_NSA_4plusIvEES5_EEDaPvRmT3_T4_T5_mT6_P12ihipStream_tbENKUlT_T0_E_clISt17integral_constantIbLb0EESY_EEDaST_SU_EUlST_E0_NS1_11comp_targetILNS1_3genE2ELNS1_11target_archE906ELNS1_3gpuE6ELNS1_3repE0EEENS1_30default_config_static_selectorELNS0_4arch9wavefront6targetE1EEEvT1_ ; -- Begin function _ZN7rocprim17ROCPRIM_400000_NS6detail17trampoline_kernelINS0_14default_configENS1_20scan_config_selectorI3IntEEZZNS1_9scan_implILNS1_25lookback_scan_determinismE0ELb0ELb0ES3_N6thrust23THRUST_200600_302600_NS6detail15normal_iteratorINSA_10device_ptrIKS5_EEEENSC_INSD_IS5_EEEES5_NSA_4plusIvEES5_EEDaPvRmT3_T4_T5_mT6_P12ihipStream_tbENKUlT_T0_E_clISt17integral_constantIbLb0EESY_EEDaST_SU_EUlST_E0_NS1_11comp_targetILNS1_3genE2ELNS1_11target_archE906ELNS1_3gpuE6ELNS1_3repE0EEENS1_30default_config_static_selectorELNS0_4arch9wavefront6targetE1EEEvT1_
	.globl	_ZN7rocprim17ROCPRIM_400000_NS6detail17trampoline_kernelINS0_14default_configENS1_20scan_config_selectorI3IntEEZZNS1_9scan_implILNS1_25lookback_scan_determinismE0ELb0ELb0ES3_N6thrust23THRUST_200600_302600_NS6detail15normal_iteratorINSA_10device_ptrIKS5_EEEENSC_INSD_IS5_EEEES5_NSA_4plusIvEES5_EEDaPvRmT3_T4_T5_mT6_P12ihipStream_tbENKUlT_T0_E_clISt17integral_constantIbLb0EESY_EEDaST_SU_EUlST_E0_NS1_11comp_targetILNS1_3genE2ELNS1_11target_archE906ELNS1_3gpuE6ELNS1_3repE0EEENS1_30default_config_static_selectorELNS0_4arch9wavefront6targetE1EEEvT1_
	.p2align	8
	.type	_ZN7rocprim17ROCPRIM_400000_NS6detail17trampoline_kernelINS0_14default_configENS1_20scan_config_selectorI3IntEEZZNS1_9scan_implILNS1_25lookback_scan_determinismE0ELb0ELb0ES3_N6thrust23THRUST_200600_302600_NS6detail15normal_iteratorINSA_10device_ptrIKS5_EEEENSC_INSD_IS5_EEEES5_NSA_4plusIvEES5_EEDaPvRmT3_T4_T5_mT6_P12ihipStream_tbENKUlT_T0_E_clISt17integral_constantIbLb0EESY_EEDaST_SU_EUlST_E0_NS1_11comp_targetILNS1_3genE2ELNS1_11target_archE906ELNS1_3gpuE6ELNS1_3repE0EEENS1_30default_config_static_selectorELNS0_4arch9wavefront6targetE1EEEvT1_,@function
_ZN7rocprim17ROCPRIM_400000_NS6detail17trampoline_kernelINS0_14default_configENS1_20scan_config_selectorI3IntEEZZNS1_9scan_implILNS1_25lookback_scan_determinismE0ELb0ELb0ES3_N6thrust23THRUST_200600_302600_NS6detail15normal_iteratorINSA_10device_ptrIKS5_EEEENSC_INSD_IS5_EEEES5_NSA_4plusIvEES5_EEDaPvRmT3_T4_T5_mT6_P12ihipStream_tbENKUlT_T0_E_clISt17integral_constantIbLb0EESY_EEDaST_SU_EUlST_E0_NS1_11comp_targetILNS1_3genE2ELNS1_11target_archE906ELNS1_3gpuE6ELNS1_3repE0EEENS1_30default_config_static_selectorELNS0_4arch9wavefront6targetE1EEEvT1_: ; @_ZN7rocprim17ROCPRIM_400000_NS6detail17trampoline_kernelINS0_14default_configENS1_20scan_config_selectorI3IntEEZZNS1_9scan_implILNS1_25lookback_scan_determinismE0ELb0ELb0ES3_N6thrust23THRUST_200600_302600_NS6detail15normal_iteratorINSA_10device_ptrIKS5_EEEENSC_INSD_IS5_EEEES5_NSA_4plusIvEES5_EEDaPvRmT3_T4_T5_mT6_P12ihipStream_tbENKUlT_T0_E_clISt17integral_constantIbLb0EESY_EEDaST_SU_EUlST_E0_NS1_11comp_targetILNS1_3genE2ELNS1_11target_archE906ELNS1_3gpuE6ELNS1_3repE0EEENS1_30default_config_static_selectorELNS0_4arch9wavefront6targetE1EEEvT1_
; %bb.0:
	.section	.rodata,"a",@progbits
	.p2align	6, 0x0
	.amdhsa_kernel _ZN7rocprim17ROCPRIM_400000_NS6detail17trampoline_kernelINS0_14default_configENS1_20scan_config_selectorI3IntEEZZNS1_9scan_implILNS1_25lookback_scan_determinismE0ELb0ELb0ES3_N6thrust23THRUST_200600_302600_NS6detail15normal_iteratorINSA_10device_ptrIKS5_EEEENSC_INSD_IS5_EEEES5_NSA_4plusIvEES5_EEDaPvRmT3_T4_T5_mT6_P12ihipStream_tbENKUlT_T0_E_clISt17integral_constantIbLb0EESY_EEDaST_SU_EUlST_E0_NS1_11comp_targetILNS1_3genE2ELNS1_11target_archE906ELNS1_3gpuE6ELNS1_3repE0EEENS1_30default_config_static_selectorELNS0_4arch9wavefront6targetE1EEEvT1_
		.amdhsa_group_segment_fixed_size 0
		.amdhsa_private_segment_fixed_size 0
		.amdhsa_kernarg_size 32
		.amdhsa_user_sgpr_count 6
		.amdhsa_user_sgpr_private_segment_buffer 1
		.amdhsa_user_sgpr_dispatch_ptr 0
		.amdhsa_user_sgpr_queue_ptr 0
		.amdhsa_user_sgpr_kernarg_segment_ptr 1
		.amdhsa_user_sgpr_dispatch_id 0
		.amdhsa_user_sgpr_flat_scratch_init 0
		.amdhsa_user_sgpr_kernarg_preload_length 0
		.amdhsa_user_sgpr_kernarg_preload_offset 0
		.amdhsa_user_sgpr_private_segment_size 0
		.amdhsa_uses_dynamic_stack 0
		.amdhsa_system_sgpr_private_segment_wavefront_offset 0
		.amdhsa_system_sgpr_workgroup_id_x 1
		.amdhsa_system_sgpr_workgroup_id_y 0
		.amdhsa_system_sgpr_workgroup_id_z 0
		.amdhsa_system_sgpr_workgroup_info 0
		.amdhsa_system_vgpr_workitem_id 0
		.amdhsa_next_free_vgpr 1
		.amdhsa_next_free_sgpr 0
		.amdhsa_accum_offset 4
		.amdhsa_reserve_vcc 0
		.amdhsa_reserve_flat_scratch 0
		.amdhsa_float_round_mode_32 0
		.amdhsa_float_round_mode_16_64 0
		.amdhsa_float_denorm_mode_32 3
		.amdhsa_float_denorm_mode_16_64 3
		.amdhsa_dx10_clamp 1
		.amdhsa_ieee_mode 1
		.amdhsa_fp16_overflow 0
		.amdhsa_tg_split 0
		.amdhsa_exception_fp_ieee_invalid_op 0
		.amdhsa_exception_fp_denorm_src 0
		.amdhsa_exception_fp_ieee_div_zero 0
		.amdhsa_exception_fp_ieee_overflow 0
		.amdhsa_exception_fp_ieee_underflow 0
		.amdhsa_exception_fp_ieee_inexact 0
		.amdhsa_exception_int_div_zero 0
	.end_amdhsa_kernel
	.section	.text._ZN7rocprim17ROCPRIM_400000_NS6detail17trampoline_kernelINS0_14default_configENS1_20scan_config_selectorI3IntEEZZNS1_9scan_implILNS1_25lookback_scan_determinismE0ELb0ELb0ES3_N6thrust23THRUST_200600_302600_NS6detail15normal_iteratorINSA_10device_ptrIKS5_EEEENSC_INSD_IS5_EEEES5_NSA_4plusIvEES5_EEDaPvRmT3_T4_T5_mT6_P12ihipStream_tbENKUlT_T0_E_clISt17integral_constantIbLb0EESY_EEDaST_SU_EUlST_E0_NS1_11comp_targetILNS1_3genE2ELNS1_11target_archE906ELNS1_3gpuE6ELNS1_3repE0EEENS1_30default_config_static_selectorELNS0_4arch9wavefront6targetE1EEEvT1_,"axG",@progbits,_ZN7rocprim17ROCPRIM_400000_NS6detail17trampoline_kernelINS0_14default_configENS1_20scan_config_selectorI3IntEEZZNS1_9scan_implILNS1_25lookback_scan_determinismE0ELb0ELb0ES3_N6thrust23THRUST_200600_302600_NS6detail15normal_iteratorINSA_10device_ptrIKS5_EEEENSC_INSD_IS5_EEEES5_NSA_4plusIvEES5_EEDaPvRmT3_T4_T5_mT6_P12ihipStream_tbENKUlT_T0_E_clISt17integral_constantIbLb0EESY_EEDaST_SU_EUlST_E0_NS1_11comp_targetILNS1_3genE2ELNS1_11target_archE906ELNS1_3gpuE6ELNS1_3repE0EEENS1_30default_config_static_selectorELNS0_4arch9wavefront6targetE1EEEvT1_,comdat
.Lfunc_end6918:
	.size	_ZN7rocprim17ROCPRIM_400000_NS6detail17trampoline_kernelINS0_14default_configENS1_20scan_config_selectorI3IntEEZZNS1_9scan_implILNS1_25lookback_scan_determinismE0ELb0ELb0ES3_N6thrust23THRUST_200600_302600_NS6detail15normal_iteratorINSA_10device_ptrIKS5_EEEENSC_INSD_IS5_EEEES5_NSA_4plusIvEES5_EEDaPvRmT3_T4_T5_mT6_P12ihipStream_tbENKUlT_T0_E_clISt17integral_constantIbLb0EESY_EEDaST_SU_EUlST_E0_NS1_11comp_targetILNS1_3genE2ELNS1_11target_archE906ELNS1_3gpuE6ELNS1_3repE0EEENS1_30default_config_static_selectorELNS0_4arch9wavefront6targetE1EEEvT1_, .Lfunc_end6918-_ZN7rocprim17ROCPRIM_400000_NS6detail17trampoline_kernelINS0_14default_configENS1_20scan_config_selectorI3IntEEZZNS1_9scan_implILNS1_25lookback_scan_determinismE0ELb0ELb0ES3_N6thrust23THRUST_200600_302600_NS6detail15normal_iteratorINSA_10device_ptrIKS5_EEEENSC_INSD_IS5_EEEES5_NSA_4plusIvEES5_EEDaPvRmT3_T4_T5_mT6_P12ihipStream_tbENKUlT_T0_E_clISt17integral_constantIbLb0EESY_EEDaST_SU_EUlST_E0_NS1_11comp_targetILNS1_3genE2ELNS1_11target_archE906ELNS1_3gpuE6ELNS1_3repE0EEENS1_30default_config_static_selectorELNS0_4arch9wavefront6targetE1EEEvT1_
                                        ; -- End function
	.section	.AMDGPU.csdata,"",@progbits
; Kernel info:
; codeLenInByte = 0
; NumSgprs: 4
; NumVgprs: 0
; NumAgprs: 0
; TotalNumVgprs: 0
; ScratchSize: 0
; MemoryBound: 0
; FloatMode: 240
; IeeeMode: 1
; LDSByteSize: 0 bytes/workgroup (compile time only)
; SGPRBlocks: 0
; VGPRBlocks: 0
; NumSGPRsForWavesPerEU: 4
; NumVGPRsForWavesPerEU: 1
; AccumOffset: 4
; Occupancy: 8
; WaveLimiterHint : 0
; COMPUTE_PGM_RSRC2:SCRATCH_EN: 0
; COMPUTE_PGM_RSRC2:USER_SGPR: 6
; COMPUTE_PGM_RSRC2:TRAP_HANDLER: 0
; COMPUTE_PGM_RSRC2:TGID_X_EN: 1
; COMPUTE_PGM_RSRC2:TGID_Y_EN: 0
; COMPUTE_PGM_RSRC2:TGID_Z_EN: 0
; COMPUTE_PGM_RSRC2:TIDIG_COMP_CNT: 0
; COMPUTE_PGM_RSRC3_GFX90A:ACCUM_OFFSET: 0
; COMPUTE_PGM_RSRC3_GFX90A:TG_SPLIT: 0
	.section	.text._ZN7rocprim17ROCPRIM_400000_NS6detail17trampoline_kernelINS0_14default_configENS1_20scan_config_selectorI3IntEEZZNS1_9scan_implILNS1_25lookback_scan_determinismE0ELb0ELb0ES3_N6thrust23THRUST_200600_302600_NS6detail15normal_iteratorINSA_10device_ptrIKS5_EEEENSC_INSD_IS5_EEEES5_NSA_4plusIvEES5_EEDaPvRmT3_T4_T5_mT6_P12ihipStream_tbENKUlT_T0_E_clISt17integral_constantIbLb0EESY_EEDaST_SU_EUlST_E0_NS1_11comp_targetILNS1_3genE10ELNS1_11target_archE1201ELNS1_3gpuE5ELNS1_3repE0EEENS1_30default_config_static_selectorELNS0_4arch9wavefront6targetE1EEEvT1_,"axG",@progbits,_ZN7rocprim17ROCPRIM_400000_NS6detail17trampoline_kernelINS0_14default_configENS1_20scan_config_selectorI3IntEEZZNS1_9scan_implILNS1_25lookback_scan_determinismE0ELb0ELb0ES3_N6thrust23THRUST_200600_302600_NS6detail15normal_iteratorINSA_10device_ptrIKS5_EEEENSC_INSD_IS5_EEEES5_NSA_4plusIvEES5_EEDaPvRmT3_T4_T5_mT6_P12ihipStream_tbENKUlT_T0_E_clISt17integral_constantIbLb0EESY_EEDaST_SU_EUlST_E0_NS1_11comp_targetILNS1_3genE10ELNS1_11target_archE1201ELNS1_3gpuE5ELNS1_3repE0EEENS1_30default_config_static_selectorELNS0_4arch9wavefront6targetE1EEEvT1_,comdat
	.protected	_ZN7rocprim17ROCPRIM_400000_NS6detail17trampoline_kernelINS0_14default_configENS1_20scan_config_selectorI3IntEEZZNS1_9scan_implILNS1_25lookback_scan_determinismE0ELb0ELb0ES3_N6thrust23THRUST_200600_302600_NS6detail15normal_iteratorINSA_10device_ptrIKS5_EEEENSC_INSD_IS5_EEEES5_NSA_4plusIvEES5_EEDaPvRmT3_T4_T5_mT6_P12ihipStream_tbENKUlT_T0_E_clISt17integral_constantIbLb0EESY_EEDaST_SU_EUlST_E0_NS1_11comp_targetILNS1_3genE10ELNS1_11target_archE1201ELNS1_3gpuE5ELNS1_3repE0EEENS1_30default_config_static_selectorELNS0_4arch9wavefront6targetE1EEEvT1_ ; -- Begin function _ZN7rocprim17ROCPRIM_400000_NS6detail17trampoline_kernelINS0_14default_configENS1_20scan_config_selectorI3IntEEZZNS1_9scan_implILNS1_25lookback_scan_determinismE0ELb0ELb0ES3_N6thrust23THRUST_200600_302600_NS6detail15normal_iteratorINSA_10device_ptrIKS5_EEEENSC_INSD_IS5_EEEES5_NSA_4plusIvEES5_EEDaPvRmT3_T4_T5_mT6_P12ihipStream_tbENKUlT_T0_E_clISt17integral_constantIbLb0EESY_EEDaST_SU_EUlST_E0_NS1_11comp_targetILNS1_3genE10ELNS1_11target_archE1201ELNS1_3gpuE5ELNS1_3repE0EEENS1_30default_config_static_selectorELNS0_4arch9wavefront6targetE1EEEvT1_
	.globl	_ZN7rocprim17ROCPRIM_400000_NS6detail17trampoline_kernelINS0_14default_configENS1_20scan_config_selectorI3IntEEZZNS1_9scan_implILNS1_25lookback_scan_determinismE0ELb0ELb0ES3_N6thrust23THRUST_200600_302600_NS6detail15normal_iteratorINSA_10device_ptrIKS5_EEEENSC_INSD_IS5_EEEES5_NSA_4plusIvEES5_EEDaPvRmT3_T4_T5_mT6_P12ihipStream_tbENKUlT_T0_E_clISt17integral_constantIbLb0EESY_EEDaST_SU_EUlST_E0_NS1_11comp_targetILNS1_3genE10ELNS1_11target_archE1201ELNS1_3gpuE5ELNS1_3repE0EEENS1_30default_config_static_selectorELNS0_4arch9wavefront6targetE1EEEvT1_
	.p2align	8
	.type	_ZN7rocprim17ROCPRIM_400000_NS6detail17trampoline_kernelINS0_14default_configENS1_20scan_config_selectorI3IntEEZZNS1_9scan_implILNS1_25lookback_scan_determinismE0ELb0ELb0ES3_N6thrust23THRUST_200600_302600_NS6detail15normal_iteratorINSA_10device_ptrIKS5_EEEENSC_INSD_IS5_EEEES5_NSA_4plusIvEES5_EEDaPvRmT3_T4_T5_mT6_P12ihipStream_tbENKUlT_T0_E_clISt17integral_constantIbLb0EESY_EEDaST_SU_EUlST_E0_NS1_11comp_targetILNS1_3genE10ELNS1_11target_archE1201ELNS1_3gpuE5ELNS1_3repE0EEENS1_30default_config_static_selectorELNS0_4arch9wavefront6targetE1EEEvT1_,@function
_ZN7rocprim17ROCPRIM_400000_NS6detail17trampoline_kernelINS0_14default_configENS1_20scan_config_selectorI3IntEEZZNS1_9scan_implILNS1_25lookback_scan_determinismE0ELb0ELb0ES3_N6thrust23THRUST_200600_302600_NS6detail15normal_iteratorINSA_10device_ptrIKS5_EEEENSC_INSD_IS5_EEEES5_NSA_4plusIvEES5_EEDaPvRmT3_T4_T5_mT6_P12ihipStream_tbENKUlT_T0_E_clISt17integral_constantIbLb0EESY_EEDaST_SU_EUlST_E0_NS1_11comp_targetILNS1_3genE10ELNS1_11target_archE1201ELNS1_3gpuE5ELNS1_3repE0EEENS1_30default_config_static_selectorELNS0_4arch9wavefront6targetE1EEEvT1_: ; @_ZN7rocprim17ROCPRIM_400000_NS6detail17trampoline_kernelINS0_14default_configENS1_20scan_config_selectorI3IntEEZZNS1_9scan_implILNS1_25lookback_scan_determinismE0ELb0ELb0ES3_N6thrust23THRUST_200600_302600_NS6detail15normal_iteratorINSA_10device_ptrIKS5_EEEENSC_INSD_IS5_EEEES5_NSA_4plusIvEES5_EEDaPvRmT3_T4_T5_mT6_P12ihipStream_tbENKUlT_T0_E_clISt17integral_constantIbLb0EESY_EEDaST_SU_EUlST_E0_NS1_11comp_targetILNS1_3genE10ELNS1_11target_archE1201ELNS1_3gpuE5ELNS1_3repE0EEENS1_30default_config_static_selectorELNS0_4arch9wavefront6targetE1EEEvT1_
; %bb.0:
	.section	.rodata,"a",@progbits
	.p2align	6, 0x0
	.amdhsa_kernel _ZN7rocprim17ROCPRIM_400000_NS6detail17trampoline_kernelINS0_14default_configENS1_20scan_config_selectorI3IntEEZZNS1_9scan_implILNS1_25lookback_scan_determinismE0ELb0ELb0ES3_N6thrust23THRUST_200600_302600_NS6detail15normal_iteratorINSA_10device_ptrIKS5_EEEENSC_INSD_IS5_EEEES5_NSA_4plusIvEES5_EEDaPvRmT3_T4_T5_mT6_P12ihipStream_tbENKUlT_T0_E_clISt17integral_constantIbLb0EESY_EEDaST_SU_EUlST_E0_NS1_11comp_targetILNS1_3genE10ELNS1_11target_archE1201ELNS1_3gpuE5ELNS1_3repE0EEENS1_30default_config_static_selectorELNS0_4arch9wavefront6targetE1EEEvT1_
		.amdhsa_group_segment_fixed_size 0
		.amdhsa_private_segment_fixed_size 0
		.amdhsa_kernarg_size 32
		.amdhsa_user_sgpr_count 6
		.amdhsa_user_sgpr_private_segment_buffer 1
		.amdhsa_user_sgpr_dispatch_ptr 0
		.amdhsa_user_sgpr_queue_ptr 0
		.amdhsa_user_sgpr_kernarg_segment_ptr 1
		.amdhsa_user_sgpr_dispatch_id 0
		.amdhsa_user_sgpr_flat_scratch_init 0
		.amdhsa_user_sgpr_kernarg_preload_length 0
		.amdhsa_user_sgpr_kernarg_preload_offset 0
		.amdhsa_user_sgpr_private_segment_size 0
		.amdhsa_uses_dynamic_stack 0
		.amdhsa_system_sgpr_private_segment_wavefront_offset 0
		.amdhsa_system_sgpr_workgroup_id_x 1
		.amdhsa_system_sgpr_workgroup_id_y 0
		.amdhsa_system_sgpr_workgroup_id_z 0
		.amdhsa_system_sgpr_workgroup_info 0
		.amdhsa_system_vgpr_workitem_id 0
		.amdhsa_next_free_vgpr 1
		.amdhsa_next_free_sgpr 0
		.amdhsa_accum_offset 4
		.amdhsa_reserve_vcc 0
		.amdhsa_reserve_flat_scratch 0
		.amdhsa_float_round_mode_32 0
		.amdhsa_float_round_mode_16_64 0
		.amdhsa_float_denorm_mode_32 3
		.amdhsa_float_denorm_mode_16_64 3
		.amdhsa_dx10_clamp 1
		.amdhsa_ieee_mode 1
		.amdhsa_fp16_overflow 0
		.amdhsa_tg_split 0
		.amdhsa_exception_fp_ieee_invalid_op 0
		.amdhsa_exception_fp_denorm_src 0
		.amdhsa_exception_fp_ieee_div_zero 0
		.amdhsa_exception_fp_ieee_overflow 0
		.amdhsa_exception_fp_ieee_underflow 0
		.amdhsa_exception_fp_ieee_inexact 0
		.amdhsa_exception_int_div_zero 0
	.end_amdhsa_kernel
	.section	.text._ZN7rocprim17ROCPRIM_400000_NS6detail17trampoline_kernelINS0_14default_configENS1_20scan_config_selectorI3IntEEZZNS1_9scan_implILNS1_25lookback_scan_determinismE0ELb0ELb0ES3_N6thrust23THRUST_200600_302600_NS6detail15normal_iteratorINSA_10device_ptrIKS5_EEEENSC_INSD_IS5_EEEES5_NSA_4plusIvEES5_EEDaPvRmT3_T4_T5_mT6_P12ihipStream_tbENKUlT_T0_E_clISt17integral_constantIbLb0EESY_EEDaST_SU_EUlST_E0_NS1_11comp_targetILNS1_3genE10ELNS1_11target_archE1201ELNS1_3gpuE5ELNS1_3repE0EEENS1_30default_config_static_selectorELNS0_4arch9wavefront6targetE1EEEvT1_,"axG",@progbits,_ZN7rocprim17ROCPRIM_400000_NS6detail17trampoline_kernelINS0_14default_configENS1_20scan_config_selectorI3IntEEZZNS1_9scan_implILNS1_25lookback_scan_determinismE0ELb0ELb0ES3_N6thrust23THRUST_200600_302600_NS6detail15normal_iteratorINSA_10device_ptrIKS5_EEEENSC_INSD_IS5_EEEES5_NSA_4plusIvEES5_EEDaPvRmT3_T4_T5_mT6_P12ihipStream_tbENKUlT_T0_E_clISt17integral_constantIbLb0EESY_EEDaST_SU_EUlST_E0_NS1_11comp_targetILNS1_3genE10ELNS1_11target_archE1201ELNS1_3gpuE5ELNS1_3repE0EEENS1_30default_config_static_selectorELNS0_4arch9wavefront6targetE1EEEvT1_,comdat
.Lfunc_end6919:
	.size	_ZN7rocprim17ROCPRIM_400000_NS6detail17trampoline_kernelINS0_14default_configENS1_20scan_config_selectorI3IntEEZZNS1_9scan_implILNS1_25lookback_scan_determinismE0ELb0ELb0ES3_N6thrust23THRUST_200600_302600_NS6detail15normal_iteratorINSA_10device_ptrIKS5_EEEENSC_INSD_IS5_EEEES5_NSA_4plusIvEES5_EEDaPvRmT3_T4_T5_mT6_P12ihipStream_tbENKUlT_T0_E_clISt17integral_constantIbLb0EESY_EEDaST_SU_EUlST_E0_NS1_11comp_targetILNS1_3genE10ELNS1_11target_archE1201ELNS1_3gpuE5ELNS1_3repE0EEENS1_30default_config_static_selectorELNS0_4arch9wavefront6targetE1EEEvT1_, .Lfunc_end6919-_ZN7rocprim17ROCPRIM_400000_NS6detail17trampoline_kernelINS0_14default_configENS1_20scan_config_selectorI3IntEEZZNS1_9scan_implILNS1_25lookback_scan_determinismE0ELb0ELb0ES3_N6thrust23THRUST_200600_302600_NS6detail15normal_iteratorINSA_10device_ptrIKS5_EEEENSC_INSD_IS5_EEEES5_NSA_4plusIvEES5_EEDaPvRmT3_T4_T5_mT6_P12ihipStream_tbENKUlT_T0_E_clISt17integral_constantIbLb0EESY_EEDaST_SU_EUlST_E0_NS1_11comp_targetILNS1_3genE10ELNS1_11target_archE1201ELNS1_3gpuE5ELNS1_3repE0EEENS1_30default_config_static_selectorELNS0_4arch9wavefront6targetE1EEEvT1_
                                        ; -- End function
	.section	.AMDGPU.csdata,"",@progbits
; Kernel info:
; codeLenInByte = 0
; NumSgprs: 4
; NumVgprs: 0
; NumAgprs: 0
; TotalNumVgprs: 0
; ScratchSize: 0
; MemoryBound: 0
; FloatMode: 240
; IeeeMode: 1
; LDSByteSize: 0 bytes/workgroup (compile time only)
; SGPRBlocks: 0
; VGPRBlocks: 0
; NumSGPRsForWavesPerEU: 4
; NumVGPRsForWavesPerEU: 1
; AccumOffset: 4
; Occupancy: 8
; WaveLimiterHint : 0
; COMPUTE_PGM_RSRC2:SCRATCH_EN: 0
; COMPUTE_PGM_RSRC2:USER_SGPR: 6
; COMPUTE_PGM_RSRC2:TRAP_HANDLER: 0
; COMPUTE_PGM_RSRC2:TGID_X_EN: 1
; COMPUTE_PGM_RSRC2:TGID_Y_EN: 0
; COMPUTE_PGM_RSRC2:TGID_Z_EN: 0
; COMPUTE_PGM_RSRC2:TIDIG_COMP_CNT: 0
; COMPUTE_PGM_RSRC3_GFX90A:ACCUM_OFFSET: 0
; COMPUTE_PGM_RSRC3_GFX90A:TG_SPLIT: 0
	.section	.text._ZN7rocprim17ROCPRIM_400000_NS6detail17trampoline_kernelINS0_14default_configENS1_20scan_config_selectorI3IntEEZZNS1_9scan_implILNS1_25lookback_scan_determinismE0ELb0ELb0ES3_N6thrust23THRUST_200600_302600_NS6detail15normal_iteratorINSA_10device_ptrIKS5_EEEENSC_INSD_IS5_EEEES5_NSA_4plusIvEES5_EEDaPvRmT3_T4_T5_mT6_P12ihipStream_tbENKUlT_T0_E_clISt17integral_constantIbLb0EESY_EEDaST_SU_EUlST_E0_NS1_11comp_targetILNS1_3genE10ELNS1_11target_archE1200ELNS1_3gpuE4ELNS1_3repE0EEENS1_30default_config_static_selectorELNS0_4arch9wavefront6targetE1EEEvT1_,"axG",@progbits,_ZN7rocprim17ROCPRIM_400000_NS6detail17trampoline_kernelINS0_14default_configENS1_20scan_config_selectorI3IntEEZZNS1_9scan_implILNS1_25lookback_scan_determinismE0ELb0ELb0ES3_N6thrust23THRUST_200600_302600_NS6detail15normal_iteratorINSA_10device_ptrIKS5_EEEENSC_INSD_IS5_EEEES5_NSA_4plusIvEES5_EEDaPvRmT3_T4_T5_mT6_P12ihipStream_tbENKUlT_T0_E_clISt17integral_constantIbLb0EESY_EEDaST_SU_EUlST_E0_NS1_11comp_targetILNS1_3genE10ELNS1_11target_archE1200ELNS1_3gpuE4ELNS1_3repE0EEENS1_30default_config_static_selectorELNS0_4arch9wavefront6targetE1EEEvT1_,comdat
	.protected	_ZN7rocprim17ROCPRIM_400000_NS6detail17trampoline_kernelINS0_14default_configENS1_20scan_config_selectorI3IntEEZZNS1_9scan_implILNS1_25lookback_scan_determinismE0ELb0ELb0ES3_N6thrust23THRUST_200600_302600_NS6detail15normal_iteratorINSA_10device_ptrIKS5_EEEENSC_INSD_IS5_EEEES5_NSA_4plusIvEES5_EEDaPvRmT3_T4_T5_mT6_P12ihipStream_tbENKUlT_T0_E_clISt17integral_constantIbLb0EESY_EEDaST_SU_EUlST_E0_NS1_11comp_targetILNS1_3genE10ELNS1_11target_archE1200ELNS1_3gpuE4ELNS1_3repE0EEENS1_30default_config_static_selectorELNS0_4arch9wavefront6targetE1EEEvT1_ ; -- Begin function _ZN7rocprim17ROCPRIM_400000_NS6detail17trampoline_kernelINS0_14default_configENS1_20scan_config_selectorI3IntEEZZNS1_9scan_implILNS1_25lookback_scan_determinismE0ELb0ELb0ES3_N6thrust23THRUST_200600_302600_NS6detail15normal_iteratorINSA_10device_ptrIKS5_EEEENSC_INSD_IS5_EEEES5_NSA_4plusIvEES5_EEDaPvRmT3_T4_T5_mT6_P12ihipStream_tbENKUlT_T0_E_clISt17integral_constantIbLb0EESY_EEDaST_SU_EUlST_E0_NS1_11comp_targetILNS1_3genE10ELNS1_11target_archE1200ELNS1_3gpuE4ELNS1_3repE0EEENS1_30default_config_static_selectorELNS0_4arch9wavefront6targetE1EEEvT1_
	.globl	_ZN7rocprim17ROCPRIM_400000_NS6detail17trampoline_kernelINS0_14default_configENS1_20scan_config_selectorI3IntEEZZNS1_9scan_implILNS1_25lookback_scan_determinismE0ELb0ELb0ES3_N6thrust23THRUST_200600_302600_NS6detail15normal_iteratorINSA_10device_ptrIKS5_EEEENSC_INSD_IS5_EEEES5_NSA_4plusIvEES5_EEDaPvRmT3_T4_T5_mT6_P12ihipStream_tbENKUlT_T0_E_clISt17integral_constantIbLb0EESY_EEDaST_SU_EUlST_E0_NS1_11comp_targetILNS1_3genE10ELNS1_11target_archE1200ELNS1_3gpuE4ELNS1_3repE0EEENS1_30default_config_static_selectorELNS0_4arch9wavefront6targetE1EEEvT1_
	.p2align	8
	.type	_ZN7rocprim17ROCPRIM_400000_NS6detail17trampoline_kernelINS0_14default_configENS1_20scan_config_selectorI3IntEEZZNS1_9scan_implILNS1_25lookback_scan_determinismE0ELb0ELb0ES3_N6thrust23THRUST_200600_302600_NS6detail15normal_iteratorINSA_10device_ptrIKS5_EEEENSC_INSD_IS5_EEEES5_NSA_4plusIvEES5_EEDaPvRmT3_T4_T5_mT6_P12ihipStream_tbENKUlT_T0_E_clISt17integral_constantIbLb0EESY_EEDaST_SU_EUlST_E0_NS1_11comp_targetILNS1_3genE10ELNS1_11target_archE1200ELNS1_3gpuE4ELNS1_3repE0EEENS1_30default_config_static_selectorELNS0_4arch9wavefront6targetE1EEEvT1_,@function
_ZN7rocprim17ROCPRIM_400000_NS6detail17trampoline_kernelINS0_14default_configENS1_20scan_config_selectorI3IntEEZZNS1_9scan_implILNS1_25lookback_scan_determinismE0ELb0ELb0ES3_N6thrust23THRUST_200600_302600_NS6detail15normal_iteratorINSA_10device_ptrIKS5_EEEENSC_INSD_IS5_EEEES5_NSA_4plusIvEES5_EEDaPvRmT3_T4_T5_mT6_P12ihipStream_tbENKUlT_T0_E_clISt17integral_constantIbLb0EESY_EEDaST_SU_EUlST_E0_NS1_11comp_targetILNS1_3genE10ELNS1_11target_archE1200ELNS1_3gpuE4ELNS1_3repE0EEENS1_30default_config_static_selectorELNS0_4arch9wavefront6targetE1EEEvT1_: ; @_ZN7rocprim17ROCPRIM_400000_NS6detail17trampoline_kernelINS0_14default_configENS1_20scan_config_selectorI3IntEEZZNS1_9scan_implILNS1_25lookback_scan_determinismE0ELb0ELb0ES3_N6thrust23THRUST_200600_302600_NS6detail15normal_iteratorINSA_10device_ptrIKS5_EEEENSC_INSD_IS5_EEEES5_NSA_4plusIvEES5_EEDaPvRmT3_T4_T5_mT6_P12ihipStream_tbENKUlT_T0_E_clISt17integral_constantIbLb0EESY_EEDaST_SU_EUlST_E0_NS1_11comp_targetILNS1_3genE10ELNS1_11target_archE1200ELNS1_3gpuE4ELNS1_3repE0EEENS1_30default_config_static_selectorELNS0_4arch9wavefront6targetE1EEEvT1_
; %bb.0:
	.section	.rodata,"a",@progbits
	.p2align	6, 0x0
	.amdhsa_kernel _ZN7rocprim17ROCPRIM_400000_NS6detail17trampoline_kernelINS0_14default_configENS1_20scan_config_selectorI3IntEEZZNS1_9scan_implILNS1_25lookback_scan_determinismE0ELb0ELb0ES3_N6thrust23THRUST_200600_302600_NS6detail15normal_iteratorINSA_10device_ptrIKS5_EEEENSC_INSD_IS5_EEEES5_NSA_4plusIvEES5_EEDaPvRmT3_T4_T5_mT6_P12ihipStream_tbENKUlT_T0_E_clISt17integral_constantIbLb0EESY_EEDaST_SU_EUlST_E0_NS1_11comp_targetILNS1_3genE10ELNS1_11target_archE1200ELNS1_3gpuE4ELNS1_3repE0EEENS1_30default_config_static_selectorELNS0_4arch9wavefront6targetE1EEEvT1_
		.amdhsa_group_segment_fixed_size 0
		.amdhsa_private_segment_fixed_size 0
		.amdhsa_kernarg_size 32
		.amdhsa_user_sgpr_count 6
		.amdhsa_user_sgpr_private_segment_buffer 1
		.amdhsa_user_sgpr_dispatch_ptr 0
		.amdhsa_user_sgpr_queue_ptr 0
		.amdhsa_user_sgpr_kernarg_segment_ptr 1
		.amdhsa_user_sgpr_dispatch_id 0
		.amdhsa_user_sgpr_flat_scratch_init 0
		.amdhsa_user_sgpr_kernarg_preload_length 0
		.amdhsa_user_sgpr_kernarg_preload_offset 0
		.amdhsa_user_sgpr_private_segment_size 0
		.amdhsa_uses_dynamic_stack 0
		.amdhsa_system_sgpr_private_segment_wavefront_offset 0
		.amdhsa_system_sgpr_workgroup_id_x 1
		.amdhsa_system_sgpr_workgroup_id_y 0
		.amdhsa_system_sgpr_workgroup_id_z 0
		.amdhsa_system_sgpr_workgroup_info 0
		.amdhsa_system_vgpr_workitem_id 0
		.amdhsa_next_free_vgpr 1
		.amdhsa_next_free_sgpr 0
		.amdhsa_accum_offset 4
		.amdhsa_reserve_vcc 0
		.amdhsa_reserve_flat_scratch 0
		.amdhsa_float_round_mode_32 0
		.amdhsa_float_round_mode_16_64 0
		.amdhsa_float_denorm_mode_32 3
		.amdhsa_float_denorm_mode_16_64 3
		.amdhsa_dx10_clamp 1
		.amdhsa_ieee_mode 1
		.amdhsa_fp16_overflow 0
		.amdhsa_tg_split 0
		.amdhsa_exception_fp_ieee_invalid_op 0
		.amdhsa_exception_fp_denorm_src 0
		.amdhsa_exception_fp_ieee_div_zero 0
		.amdhsa_exception_fp_ieee_overflow 0
		.amdhsa_exception_fp_ieee_underflow 0
		.amdhsa_exception_fp_ieee_inexact 0
		.amdhsa_exception_int_div_zero 0
	.end_amdhsa_kernel
	.section	.text._ZN7rocprim17ROCPRIM_400000_NS6detail17trampoline_kernelINS0_14default_configENS1_20scan_config_selectorI3IntEEZZNS1_9scan_implILNS1_25lookback_scan_determinismE0ELb0ELb0ES3_N6thrust23THRUST_200600_302600_NS6detail15normal_iteratorINSA_10device_ptrIKS5_EEEENSC_INSD_IS5_EEEES5_NSA_4plusIvEES5_EEDaPvRmT3_T4_T5_mT6_P12ihipStream_tbENKUlT_T0_E_clISt17integral_constantIbLb0EESY_EEDaST_SU_EUlST_E0_NS1_11comp_targetILNS1_3genE10ELNS1_11target_archE1200ELNS1_3gpuE4ELNS1_3repE0EEENS1_30default_config_static_selectorELNS0_4arch9wavefront6targetE1EEEvT1_,"axG",@progbits,_ZN7rocprim17ROCPRIM_400000_NS6detail17trampoline_kernelINS0_14default_configENS1_20scan_config_selectorI3IntEEZZNS1_9scan_implILNS1_25lookback_scan_determinismE0ELb0ELb0ES3_N6thrust23THRUST_200600_302600_NS6detail15normal_iteratorINSA_10device_ptrIKS5_EEEENSC_INSD_IS5_EEEES5_NSA_4plusIvEES5_EEDaPvRmT3_T4_T5_mT6_P12ihipStream_tbENKUlT_T0_E_clISt17integral_constantIbLb0EESY_EEDaST_SU_EUlST_E0_NS1_11comp_targetILNS1_3genE10ELNS1_11target_archE1200ELNS1_3gpuE4ELNS1_3repE0EEENS1_30default_config_static_selectorELNS0_4arch9wavefront6targetE1EEEvT1_,comdat
.Lfunc_end6920:
	.size	_ZN7rocprim17ROCPRIM_400000_NS6detail17trampoline_kernelINS0_14default_configENS1_20scan_config_selectorI3IntEEZZNS1_9scan_implILNS1_25lookback_scan_determinismE0ELb0ELb0ES3_N6thrust23THRUST_200600_302600_NS6detail15normal_iteratorINSA_10device_ptrIKS5_EEEENSC_INSD_IS5_EEEES5_NSA_4plusIvEES5_EEDaPvRmT3_T4_T5_mT6_P12ihipStream_tbENKUlT_T0_E_clISt17integral_constantIbLb0EESY_EEDaST_SU_EUlST_E0_NS1_11comp_targetILNS1_3genE10ELNS1_11target_archE1200ELNS1_3gpuE4ELNS1_3repE0EEENS1_30default_config_static_selectorELNS0_4arch9wavefront6targetE1EEEvT1_, .Lfunc_end6920-_ZN7rocprim17ROCPRIM_400000_NS6detail17trampoline_kernelINS0_14default_configENS1_20scan_config_selectorI3IntEEZZNS1_9scan_implILNS1_25lookback_scan_determinismE0ELb0ELb0ES3_N6thrust23THRUST_200600_302600_NS6detail15normal_iteratorINSA_10device_ptrIKS5_EEEENSC_INSD_IS5_EEEES5_NSA_4plusIvEES5_EEDaPvRmT3_T4_T5_mT6_P12ihipStream_tbENKUlT_T0_E_clISt17integral_constantIbLb0EESY_EEDaST_SU_EUlST_E0_NS1_11comp_targetILNS1_3genE10ELNS1_11target_archE1200ELNS1_3gpuE4ELNS1_3repE0EEENS1_30default_config_static_selectorELNS0_4arch9wavefront6targetE1EEEvT1_
                                        ; -- End function
	.section	.AMDGPU.csdata,"",@progbits
; Kernel info:
; codeLenInByte = 0
; NumSgprs: 4
; NumVgprs: 0
; NumAgprs: 0
; TotalNumVgprs: 0
; ScratchSize: 0
; MemoryBound: 0
; FloatMode: 240
; IeeeMode: 1
; LDSByteSize: 0 bytes/workgroup (compile time only)
; SGPRBlocks: 0
; VGPRBlocks: 0
; NumSGPRsForWavesPerEU: 4
; NumVGPRsForWavesPerEU: 1
; AccumOffset: 4
; Occupancy: 8
; WaveLimiterHint : 0
; COMPUTE_PGM_RSRC2:SCRATCH_EN: 0
; COMPUTE_PGM_RSRC2:USER_SGPR: 6
; COMPUTE_PGM_RSRC2:TRAP_HANDLER: 0
; COMPUTE_PGM_RSRC2:TGID_X_EN: 1
; COMPUTE_PGM_RSRC2:TGID_Y_EN: 0
; COMPUTE_PGM_RSRC2:TGID_Z_EN: 0
; COMPUTE_PGM_RSRC2:TIDIG_COMP_CNT: 0
; COMPUTE_PGM_RSRC3_GFX90A:ACCUM_OFFSET: 0
; COMPUTE_PGM_RSRC3_GFX90A:TG_SPLIT: 0
	.section	.text._ZN7rocprim17ROCPRIM_400000_NS6detail17trampoline_kernelINS0_14default_configENS1_20scan_config_selectorI3IntEEZZNS1_9scan_implILNS1_25lookback_scan_determinismE0ELb0ELb0ES3_N6thrust23THRUST_200600_302600_NS6detail15normal_iteratorINSA_10device_ptrIKS5_EEEENSC_INSD_IS5_EEEES5_NSA_4plusIvEES5_EEDaPvRmT3_T4_T5_mT6_P12ihipStream_tbENKUlT_T0_E_clISt17integral_constantIbLb0EESY_EEDaST_SU_EUlST_E0_NS1_11comp_targetILNS1_3genE9ELNS1_11target_archE1100ELNS1_3gpuE3ELNS1_3repE0EEENS1_30default_config_static_selectorELNS0_4arch9wavefront6targetE1EEEvT1_,"axG",@progbits,_ZN7rocprim17ROCPRIM_400000_NS6detail17trampoline_kernelINS0_14default_configENS1_20scan_config_selectorI3IntEEZZNS1_9scan_implILNS1_25lookback_scan_determinismE0ELb0ELb0ES3_N6thrust23THRUST_200600_302600_NS6detail15normal_iteratorINSA_10device_ptrIKS5_EEEENSC_INSD_IS5_EEEES5_NSA_4plusIvEES5_EEDaPvRmT3_T4_T5_mT6_P12ihipStream_tbENKUlT_T0_E_clISt17integral_constantIbLb0EESY_EEDaST_SU_EUlST_E0_NS1_11comp_targetILNS1_3genE9ELNS1_11target_archE1100ELNS1_3gpuE3ELNS1_3repE0EEENS1_30default_config_static_selectorELNS0_4arch9wavefront6targetE1EEEvT1_,comdat
	.protected	_ZN7rocprim17ROCPRIM_400000_NS6detail17trampoline_kernelINS0_14default_configENS1_20scan_config_selectorI3IntEEZZNS1_9scan_implILNS1_25lookback_scan_determinismE0ELb0ELb0ES3_N6thrust23THRUST_200600_302600_NS6detail15normal_iteratorINSA_10device_ptrIKS5_EEEENSC_INSD_IS5_EEEES5_NSA_4plusIvEES5_EEDaPvRmT3_T4_T5_mT6_P12ihipStream_tbENKUlT_T0_E_clISt17integral_constantIbLb0EESY_EEDaST_SU_EUlST_E0_NS1_11comp_targetILNS1_3genE9ELNS1_11target_archE1100ELNS1_3gpuE3ELNS1_3repE0EEENS1_30default_config_static_selectorELNS0_4arch9wavefront6targetE1EEEvT1_ ; -- Begin function _ZN7rocprim17ROCPRIM_400000_NS6detail17trampoline_kernelINS0_14default_configENS1_20scan_config_selectorI3IntEEZZNS1_9scan_implILNS1_25lookback_scan_determinismE0ELb0ELb0ES3_N6thrust23THRUST_200600_302600_NS6detail15normal_iteratorINSA_10device_ptrIKS5_EEEENSC_INSD_IS5_EEEES5_NSA_4plusIvEES5_EEDaPvRmT3_T4_T5_mT6_P12ihipStream_tbENKUlT_T0_E_clISt17integral_constantIbLb0EESY_EEDaST_SU_EUlST_E0_NS1_11comp_targetILNS1_3genE9ELNS1_11target_archE1100ELNS1_3gpuE3ELNS1_3repE0EEENS1_30default_config_static_selectorELNS0_4arch9wavefront6targetE1EEEvT1_
	.globl	_ZN7rocprim17ROCPRIM_400000_NS6detail17trampoline_kernelINS0_14default_configENS1_20scan_config_selectorI3IntEEZZNS1_9scan_implILNS1_25lookback_scan_determinismE0ELb0ELb0ES3_N6thrust23THRUST_200600_302600_NS6detail15normal_iteratorINSA_10device_ptrIKS5_EEEENSC_INSD_IS5_EEEES5_NSA_4plusIvEES5_EEDaPvRmT3_T4_T5_mT6_P12ihipStream_tbENKUlT_T0_E_clISt17integral_constantIbLb0EESY_EEDaST_SU_EUlST_E0_NS1_11comp_targetILNS1_3genE9ELNS1_11target_archE1100ELNS1_3gpuE3ELNS1_3repE0EEENS1_30default_config_static_selectorELNS0_4arch9wavefront6targetE1EEEvT1_
	.p2align	8
	.type	_ZN7rocprim17ROCPRIM_400000_NS6detail17trampoline_kernelINS0_14default_configENS1_20scan_config_selectorI3IntEEZZNS1_9scan_implILNS1_25lookback_scan_determinismE0ELb0ELb0ES3_N6thrust23THRUST_200600_302600_NS6detail15normal_iteratorINSA_10device_ptrIKS5_EEEENSC_INSD_IS5_EEEES5_NSA_4plusIvEES5_EEDaPvRmT3_T4_T5_mT6_P12ihipStream_tbENKUlT_T0_E_clISt17integral_constantIbLb0EESY_EEDaST_SU_EUlST_E0_NS1_11comp_targetILNS1_3genE9ELNS1_11target_archE1100ELNS1_3gpuE3ELNS1_3repE0EEENS1_30default_config_static_selectorELNS0_4arch9wavefront6targetE1EEEvT1_,@function
_ZN7rocprim17ROCPRIM_400000_NS6detail17trampoline_kernelINS0_14default_configENS1_20scan_config_selectorI3IntEEZZNS1_9scan_implILNS1_25lookback_scan_determinismE0ELb0ELb0ES3_N6thrust23THRUST_200600_302600_NS6detail15normal_iteratorINSA_10device_ptrIKS5_EEEENSC_INSD_IS5_EEEES5_NSA_4plusIvEES5_EEDaPvRmT3_T4_T5_mT6_P12ihipStream_tbENKUlT_T0_E_clISt17integral_constantIbLb0EESY_EEDaST_SU_EUlST_E0_NS1_11comp_targetILNS1_3genE9ELNS1_11target_archE1100ELNS1_3gpuE3ELNS1_3repE0EEENS1_30default_config_static_selectorELNS0_4arch9wavefront6targetE1EEEvT1_: ; @_ZN7rocprim17ROCPRIM_400000_NS6detail17trampoline_kernelINS0_14default_configENS1_20scan_config_selectorI3IntEEZZNS1_9scan_implILNS1_25lookback_scan_determinismE0ELb0ELb0ES3_N6thrust23THRUST_200600_302600_NS6detail15normal_iteratorINSA_10device_ptrIKS5_EEEENSC_INSD_IS5_EEEES5_NSA_4plusIvEES5_EEDaPvRmT3_T4_T5_mT6_P12ihipStream_tbENKUlT_T0_E_clISt17integral_constantIbLb0EESY_EEDaST_SU_EUlST_E0_NS1_11comp_targetILNS1_3genE9ELNS1_11target_archE1100ELNS1_3gpuE3ELNS1_3repE0EEENS1_30default_config_static_selectorELNS0_4arch9wavefront6targetE1EEEvT1_
; %bb.0:
	.section	.rodata,"a",@progbits
	.p2align	6, 0x0
	.amdhsa_kernel _ZN7rocprim17ROCPRIM_400000_NS6detail17trampoline_kernelINS0_14default_configENS1_20scan_config_selectorI3IntEEZZNS1_9scan_implILNS1_25lookback_scan_determinismE0ELb0ELb0ES3_N6thrust23THRUST_200600_302600_NS6detail15normal_iteratorINSA_10device_ptrIKS5_EEEENSC_INSD_IS5_EEEES5_NSA_4plusIvEES5_EEDaPvRmT3_T4_T5_mT6_P12ihipStream_tbENKUlT_T0_E_clISt17integral_constantIbLb0EESY_EEDaST_SU_EUlST_E0_NS1_11comp_targetILNS1_3genE9ELNS1_11target_archE1100ELNS1_3gpuE3ELNS1_3repE0EEENS1_30default_config_static_selectorELNS0_4arch9wavefront6targetE1EEEvT1_
		.amdhsa_group_segment_fixed_size 0
		.amdhsa_private_segment_fixed_size 0
		.amdhsa_kernarg_size 32
		.amdhsa_user_sgpr_count 6
		.amdhsa_user_sgpr_private_segment_buffer 1
		.amdhsa_user_sgpr_dispatch_ptr 0
		.amdhsa_user_sgpr_queue_ptr 0
		.amdhsa_user_sgpr_kernarg_segment_ptr 1
		.amdhsa_user_sgpr_dispatch_id 0
		.amdhsa_user_sgpr_flat_scratch_init 0
		.amdhsa_user_sgpr_kernarg_preload_length 0
		.amdhsa_user_sgpr_kernarg_preload_offset 0
		.amdhsa_user_sgpr_private_segment_size 0
		.amdhsa_uses_dynamic_stack 0
		.amdhsa_system_sgpr_private_segment_wavefront_offset 0
		.amdhsa_system_sgpr_workgroup_id_x 1
		.amdhsa_system_sgpr_workgroup_id_y 0
		.amdhsa_system_sgpr_workgroup_id_z 0
		.amdhsa_system_sgpr_workgroup_info 0
		.amdhsa_system_vgpr_workitem_id 0
		.amdhsa_next_free_vgpr 1
		.amdhsa_next_free_sgpr 0
		.amdhsa_accum_offset 4
		.amdhsa_reserve_vcc 0
		.amdhsa_reserve_flat_scratch 0
		.amdhsa_float_round_mode_32 0
		.amdhsa_float_round_mode_16_64 0
		.amdhsa_float_denorm_mode_32 3
		.amdhsa_float_denorm_mode_16_64 3
		.amdhsa_dx10_clamp 1
		.amdhsa_ieee_mode 1
		.amdhsa_fp16_overflow 0
		.amdhsa_tg_split 0
		.amdhsa_exception_fp_ieee_invalid_op 0
		.amdhsa_exception_fp_denorm_src 0
		.amdhsa_exception_fp_ieee_div_zero 0
		.amdhsa_exception_fp_ieee_overflow 0
		.amdhsa_exception_fp_ieee_underflow 0
		.amdhsa_exception_fp_ieee_inexact 0
		.amdhsa_exception_int_div_zero 0
	.end_amdhsa_kernel
	.section	.text._ZN7rocprim17ROCPRIM_400000_NS6detail17trampoline_kernelINS0_14default_configENS1_20scan_config_selectorI3IntEEZZNS1_9scan_implILNS1_25lookback_scan_determinismE0ELb0ELb0ES3_N6thrust23THRUST_200600_302600_NS6detail15normal_iteratorINSA_10device_ptrIKS5_EEEENSC_INSD_IS5_EEEES5_NSA_4plusIvEES5_EEDaPvRmT3_T4_T5_mT6_P12ihipStream_tbENKUlT_T0_E_clISt17integral_constantIbLb0EESY_EEDaST_SU_EUlST_E0_NS1_11comp_targetILNS1_3genE9ELNS1_11target_archE1100ELNS1_3gpuE3ELNS1_3repE0EEENS1_30default_config_static_selectorELNS0_4arch9wavefront6targetE1EEEvT1_,"axG",@progbits,_ZN7rocprim17ROCPRIM_400000_NS6detail17trampoline_kernelINS0_14default_configENS1_20scan_config_selectorI3IntEEZZNS1_9scan_implILNS1_25lookback_scan_determinismE0ELb0ELb0ES3_N6thrust23THRUST_200600_302600_NS6detail15normal_iteratorINSA_10device_ptrIKS5_EEEENSC_INSD_IS5_EEEES5_NSA_4plusIvEES5_EEDaPvRmT3_T4_T5_mT6_P12ihipStream_tbENKUlT_T0_E_clISt17integral_constantIbLb0EESY_EEDaST_SU_EUlST_E0_NS1_11comp_targetILNS1_3genE9ELNS1_11target_archE1100ELNS1_3gpuE3ELNS1_3repE0EEENS1_30default_config_static_selectorELNS0_4arch9wavefront6targetE1EEEvT1_,comdat
.Lfunc_end6921:
	.size	_ZN7rocprim17ROCPRIM_400000_NS6detail17trampoline_kernelINS0_14default_configENS1_20scan_config_selectorI3IntEEZZNS1_9scan_implILNS1_25lookback_scan_determinismE0ELb0ELb0ES3_N6thrust23THRUST_200600_302600_NS6detail15normal_iteratorINSA_10device_ptrIKS5_EEEENSC_INSD_IS5_EEEES5_NSA_4plusIvEES5_EEDaPvRmT3_T4_T5_mT6_P12ihipStream_tbENKUlT_T0_E_clISt17integral_constantIbLb0EESY_EEDaST_SU_EUlST_E0_NS1_11comp_targetILNS1_3genE9ELNS1_11target_archE1100ELNS1_3gpuE3ELNS1_3repE0EEENS1_30default_config_static_selectorELNS0_4arch9wavefront6targetE1EEEvT1_, .Lfunc_end6921-_ZN7rocprim17ROCPRIM_400000_NS6detail17trampoline_kernelINS0_14default_configENS1_20scan_config_selectorI3IntEEZZNS1_9scan_implILNS1_25lookback_scan_determinismE0ELb0ELb0ES3_N6thrust23THRUST_200600_302600_NS6detail15normal_iteratorINSA_10device_ptrIKS5_EEEENSC_INSD_IS5_EEEES5_NSA_4plusIvEES5_EEDaPvRmT3_T4_T5_mT6_P12ihipStream_tbENKUlT_T0_E_clISt17integral_constantIbLb0EESY_EEDaST_SU_EUlST_E0_NS1_11comp_targetILNS1_3genE9ELNS1_11target_archE1100ELNS1_3gpuE3ELNS1_3repE0EEENS1_30default_config_static_selectorELNS0_4arch9wavefront6targetE1EEEvT1_
                                        ; -- End function
	.section	.AMDGPU.csdata,"",@progbits
; Kernel info:
; codeLenInByte = 0
; NumSgprs: 4
; NumVgprs: 0
; NumAgprs: 0
; TotalNumVgprs: 0
; ScratchSize: 0
; MemoryBound: 0
; FloatMode: 240
; IeeeMode: 1
; LDSByteSize: 0 bytes/workgroup (compile time only)
; SGPRBlocks: 0
; VGPRBlocks: 0
; NumSGPRsForWavesPerEU: 4
; NumVGPRsForWavesPerEU: 1
; AccumOffset: 4
; Occupancy: 8
; WaveLimiterHint : 0
; COMPUTE_PGM_RSRC2:SCRATCH_EN: 0
; COMPUTE_PGM_RSRC2:USER_SGPR: 6
; COMPUTE_PGM_RSRC2:TRAP_HANDLER: 0
; COMPUTE_PGM_RSRC2:TGID_X_EN: 1
; COMPUTE_PGM_RSRC2:TGID_Y_EN: 0
; COMPUTE_PGM_RSRC2:TGID_Z_EN: 0
; COMPUTE_PGM_RSRC2:TIDIG_COMP_CNT: 0
; COMPUTE_PGM_RSRC3_GFX90A:ACCUM_OFFSET: 0
; COMPUTE_PGM_RSRC3_GFX90A:TG_SPLIT: 0
	.section	.text._ZN7rocprim17ROCPRIM_400000_NS6detail17trampoline_kernelINS0_14default_configENS1_20scan_config_selectorI3IntEEZZNS1_9scan_implILNS1_25lookback_scan_determinismE0ELb0ELb0ES3_N6thrust23THRUST_200600_302600_NS6detail15normal_iteratorINSA_10device_ptrIKS5_EEEENSC_INSD_IS5_EEEES5_NSA_4plusIvEES5_EEDaPvRmT3_T4_T5_mT6_P12ihipStream_tbENKUlT_T0_E_clISt17integral_constantIbLb0EESY_EEDaST_SU_EUlST_E0_NS1_11comp_targetILNS1_3genE8ELNS1_11target_archE1030ELNS1_3gpuE2ELNS1_3repE0EEENS1_30default_config_static_selectorELNS0_4arch9wavefront6targetE1EEEvT1_,"axG",@progbits,_ZN7rocprim17ROCPRIM_400000_NS6detail17trampoline_kernelINS0_14default_configENS1_20scan_config_selectorI3IntEEZZNS1_9scan_implILNS1_25lookback_scan_determinismE0ELb0ELb0ES3_N6thrust23THRUST_200600_302600_NS6detail15normal_iteratorINSA_10device_ptrIKS5_EEEENSC_INSD_IS5_EEEES5_NSA_4plusIvEES5_EEDaPvRmT3_T4_T5_mT6_P12ihipStream_tbENKUlT_T0_E_clISt17integral_constantIbLb0EESY_EEDaST_SU_EUlST_E0_NS1_11comp_targetILNS1_3genE8ELNS1_11target_archE1030ELNS1_3gpuE2ELNS1_3repE0EEENS1_30default_config_static_selectorELNS0_4arch9wavefront6targetE1EEEvT1_,comdat
	.protected	_ZN7rocprim17ROCPRIM_400000_NS6detail17trampoline_kernelINS0_14default_configENS1_20scan_config_selectorI3IntEEZZNS1_9scan_implILNS1_25lookback_scan_determinismE0ELb0ELb0ES3_N6thrust23THRUST_200600_302600_NS6detail15normal_iteratorINSA_10device_ptrIKS5_EEEENSC_INSD_IS5_EEEES5_NSA_4plusIvEES5_EEDaPvRmT3_T4_T5_mT6_P12ihipStream_tbENKUlT_T0_E_clISt17integral_constantIbLb0EESY_EEDaST_SU_EUlST_E0_NS1_11comp_targetILNS1_3genE8ELNS1_11target_archE1030ELNS1_3gpuE2ELNS1_3repE0EEENS1_30default_config_static_selectorELNS0_4arch9wavefront6targetE1EEEvT1_ ; -- Begin function _ZN7rocprim17ROCPRIM_400000_NS6detail17trampoline_kernelINS0_14default_configENS1_20scan_config_selectorI3IntEEZZNS1_9scan_implILNS1_25lookback_scan_determinismE0ELb0ELb0ES3_N6thrust23THRUST_200600_302600_NS6detail15normal_iteratorINSA_10device_ptrIKS5_EEEENSC_INSD_IS5_EEEES5_NSA_4plusIvEES5_EEDaPvRmT3_T4_T5_mT6_P12ihipStream_tbENKUlT_T0_E_clISt17integral_constantIbLb0EESY_EEDaST_SU_EUlST_E0_NS1_11comp_targetILNS1_3genE8ELNS1_11target_archE1030ELNS1_3gpuE2ELNS1_3repE0EEENS1_30default_config_static_selectorELNS0_4arch9wavefront6targetE1EEEvT1_
	.globl	_ZN7rocprim17ROCPRIM_400000_NS6detail17trampoline_kernelINS0_14default_configENS1_20scan_config_selectorI3IntEEZZNS1_9scan_implILNS1_25lookback_scan_determinismE0ELb0ELb0ES3_N6thrust23THRUST_200600_302600_NS6detail15normal_iteratorINSA_10device_ptrIKS5_EEEENSC_INSD_IS5_EEEES5_NSA_4plusIvEES5_EEDaPvRmT3_T4_T5_mT6_P12ihipStream_tbENKUlT_T0_E_clISt17integral_constantIbLb0EESY_EEDaST_SU_EUlST_E0_NS1_11comp_targetILNS1_3genE8ELNS1_11target_archE1030ELNS1_3gpuE2ELNS1_3repE0EEENS1_30default_config_static_selectorELNS0_4arch9wavefront6targetE1EEEvT1_
	.p2align	8
	.type	_ZN7rocprim17ROCPRIM_400000_NS6detail17trampoline_kernelINS0_14default_configENS1_20scan_config_selectorI3IntEEZZNS1_9scan_implILNS1_25lookback_scan_determinismE0ELb0ELb0ES3_N6thrust23THRUST_200600_302600_NS6detail15normal_iteratorINSA_10device_ptrIKS5_EEEENSC_INSD_IS5_EEEES5_NSA_4plusIvEES5_EEDaPvRmT3_T4_T5_mT6_P12ihipStream_tbENKUlT_T0_E_clISt17integral_constantIbLb0EESY_EEDaST_SU_EUlST_E0_NS1_11comp_targetILNS1_3genE8ELNS1_11target_archE1030ELNS1_3gpuE2ELNS1_3repE0EEENS1_30default_config_static_selectorELNS0_4arch9wavefront6targetE1EEEvT1_,@function
_ZN7rocprim17ROCPRIM_400000_NS6detail17trampoline_kernelINS0_14default_configENS1_20scan_config_selectorI3IntEEZZNS1_9scan_implILNS1_25lookback_scan_determinismE0ELb0ELb0ES3_N6thrust23THRUST_200600_302600_NS6detail15normal_iteratorINSA_10device_ptrIKS5_EEEENSC_INSD_IS5_EEEES5_NSA_4plusIvEES5_EEDaPvRmT3_T4_T5_mT6_P12ihipStream_tbENKUlT_T0_E_clISt17integral_constantIbLb0EESY_EEDaST_SU_EUlST_E0_NS1_11comp_targetILNS1_3genE8ELNS1_11target_archE1030ELNS1_3gpuE2ELNS1_3repE0EEENS1_30default_config_static_selectorELNS0_4arch9wavefront6targetE1EEEvT1_: ; @_ZN7rocprim17ROCPRIM_400000_NS6detail17trampoline_kernelINS0_14default_configENS1_20scan_config_selectorI3IntEEZZNS1_9scan_implILNS1_25lookback_scan_determinismE0ELb0ELb0ES3_N6thrust23THRUST_200600_302600_NS6detail15normal_iteratorINSA_10device_ptrIKS5_EEEENSC_INSD_IS5_EEEES5_NSA_4plusIvEES5_EEDaPvRmT3_T4_T5_mT6_P12ihipStream_tbENKUlT_T0_E_clISt17integral_constantIbLb0EESY_EEDaST_SU_EUlST_E0_NS1_11comp_targetILNS1_3genE8ELNS1_11target_archE1030ELNS1_3gpuE2ELNS1_3repE0EEENS1_30default_config_static_selectorELNS0_4arch9wavefront6targetE1EEEvT1_
; %bb.0:
	.section	.rodata,"a",@progbits
	.p2align	6, 0x0
	.amdhsa_kernel _ZN7rocprim17ROCPRIM_400000_NS6detail17trampoline_kernelINS0_14default_configENS1_20scan_config_selectorI3IntEEZZNS1_9scan_implILNS1_25lookback_scan_determinismE0ELb0ELb0ES3_N6thrust23THRUST_200600_302600_NS6detail15normal_iteratorINSA_10device_ptrIKS5_EEEENSC_INSD_IS5_EEEES5_NSA_4plusIvEES5_EEDaPvRmT3_T4_T5_mT6_P12ihipStream_tbENKUlT_T0_E_clISt17integral_constantIbLb0EESY_EEDaST_SU_EUlST_E0_NS1_11comp_targetILNS1_3genE8ELNS1_11target_archE1030ELNS1_3gpuE2ELNS1_3repE0EEENS1_30default_config_static_selectorELNS0_4arch9wavefront6targetE1EEEvT1_
		.amdhsa_group_segment_fixed_size 0
		.amdhsa_private_segment_fixed_size 0
		.amdhsa_kernarg_size 32
		.amdhsa_user_sgpr_count 6
		.amdhsa_user_sgpr_private_segment_buffer 1
		.amdhsa_user_sgpr_dispatch_ptr 0
		.amdhsa_user_sgpr_queue_ptr 0
		.amdhsa_user_sgpr_kernarg_segment_ptr 1
		.amdhsa_user_sgpr_dispatch_id 0
		.amdhsa_user_sgpr_flat_scratch_init 0
		.amdhsa_user_sgpr_kernarg_preload_length 0
		.amdhsa_user_sgpr_kernarg_preload_offset 0
		.amdhsa_user_sgpr_private_segment_size 0
		.amdhsa_uses_dynamic_stack 0
		.amdhsa_system_sgpr_private_segment_wavefront_offset 0
		.amdhsa_system_sgpr_workgroup_id_x 1
		.amdhsa_system_sgpr_workgroup_id_y 0
		.amdhsa_system_sgpr_workgroup_id_z 0
		.amdhsa_system_sgpr_workgroup_info 0
		.amdhsa_system_vgpr_workitem_id 0
		.amdhsa_next_free_vgpr 1
		.amdhsa_next_free_sgpr 0
		.amdhsa_accum_offset 4
		.amdhsa_reserve_vcc 0
		.amdhsa_reserve_flat_scratch 0
		.amdhsa_float_round_mode_32 0
		.amdhsa_float_round_mode_16_64 0
		.amdhsa_float_denorm_mode_32 3
		.amdhsa_float_denorm_mode_16_64 3
		.amdhsa_dx10_clamp 1
		.amdhsa_ieee_mode 1
		.amdhsa_fp16_overflow 0
		.amdhsa_tg_split 0
		.amdhsa_exception_fp_ieee_invalid_op 0
		.amdhsa_exception_fp_denorm_src 0
		.amdhsa_exception_fp_ieee_div_zero 0
		.amdhsa_exception_fp_ieee_overflow 0
		.amdhsa_exception_fp_ieee_underflow 0
		.amdhsa_exception_fp_ieee_inexact 0
		.amdhsa_exception_int_div_zero 0
	.end_amdhsa_kernel
	.section	.text._ZN7rocprim17ROCPRIM_400000_NS6detail17trampoline_kernelINS0_14default_configENS1_20scan_config_selectorI3IntEEZZNS1_9scan_implILNS1_25lookback_scan_determinismE0ELb0ELb0ES3_N6thrust23THRUST_200600_302600_NS6detail15normal_iteratorINSA_10device_ptrIKS5_EEEENSC_INSD_IS5_EEEES5_NSA_4plusIvEES5_EEDaPvRmT3_T4_T5_mT6_P12ihipStream_tbENKUlT_T0_E_clISt17integral_constantIbLb0EESY_EEDaST_SU_EUlST_E0_NS1_11comp_targetILNS1_3genE8ELNS1_11target_archE1030ELNS1_3gpuE2ELNS1_3repE0EEENS1_30default_config_static_selectorELNS0_4arch9wavefront6targetE1EEEvT1_,"axG",@progbits,_ZN7rocprim17ROCPRIM_400000_NS6detail17trampoline_kernelINS0_14default_configENS1_20scan_config_selectorI3IntEEZZNS1_9scan_implILNS1_25lookback_scan_determinismE0ELb0ELb0ES3_N6thrust23THRUST_200600_302600_NS6detail15normal_iteratorINSA_10device_ptrIKS5_EEEENSC_INSD_IS5_EEEES5_NSA_4plusIvEES5_EEDaPvRmT3_T4_T5_mT6_P12ihipStream_tbENKUlT_T0_E_clISt17integral_constantIbLb0EESY_EEDaST_SU_EUlST_E0_NS1_11comp_targetILNS1_3genE8ELNS1_11target_archE1030ELNS1_3gpuE2ELNS1_3repE0EEENS1_30default_config_static_selectorELNS0_4arch9wavefront6targetE1EEEvT1_,comdat
.Lfunc_end6922:
	.size	_ZN7rocprim17ROCPRIM_400000_NS6detail17trampoline_kernelINS0_14default_configENS1_20scan_config_selectorI3IntEEZZNS1_9scan_implILNS1_25lookback_scan_determinismE0ELb0ELb0ES3_N6thrust23THRUST_200600_302600_NS6detail15normal_iteratorINSA_10device_ptrIKS5_EEEENSC_INSD_IS5_EEEES5_NSA_4plusIvEES5_EEDaPvRmT3_T4_T5_mT6_P12ihipStream_tbENKUlT_T0_E_clISt17integral_constantIbLb0EESY_EEDaST_SU_EUlST_E0_NS1_11comp_targetILNS1_3genE8ELNS1_11target_archE1030ELNS1_3gpuE2ELNS1_3repE0EEENS1_30default_config_static_selectorELNS0_4arch9wavefront6targetE1EEEvT1_, .Lfunc_end6922-_ZN7rocprim17ROCPRIM_400000_NS6detail17trampoline_kernelINS0_14default_configENS1_20scan_config_selectorI3IntEEZZNS1_9scan_implILNS1_25lookback_scan_determinismE0ELb0ELb0ES3_N6thrust23THRUST_200600_302600_NS6detail15normal_iteratorINSA_10device_ptrIKS5_EEEENSC_INSD_IS5_EEEES5_NSA_4plusIvEES5_EEDaPvRmT3_T4_T5_mT6_P12ihipStream_tbENKUlT_T0_E_clISt17integral_constantIbLb0EESY_EEDaST_SU_EUlST_E0_NS1_11comp_targetILNS1_3genE8ELNS1_11target_archE1030ELNS1_3gpuE2ELNS1_3repE0EEENS1_30default_config_static_selectorELNS0_4arch9wavefront6targetE1EEEvT1_
                                        ; -- End function
	.section	.AMDGPU.csdata,"",@progbits
; Kernel info:
; codeLenInByte = 0
; NumSgprs: 4
; NumVgprs: 0
; NumAgprs: 0
; TotalNumVgprs: 0
; ScratchSize: 0
; MemoryBound: 0
; FloatMode: 240
; IeeeMode: 1
; LDSByteSize: 0 bytes/workgroup (compile time only)
; SGPRBlocks: 0
; VGPRBlocks: 0
; NumSGPRsForWavesPerEU: 4
; NumVGPRsForWavesPerEU: 1
; AccumOffset: 4
; Occupancy: 8
; WaveLimiterHint : 0
; COMPUTE_PGM_RSRC2:SCRATCH_EN: 0
; COMPUTE_PGM_RSRC2:USER_SGPR: 6
; COMPUTE_PGM_RSRC2:TRAP_HANDLER: 0
; COMPUTE_PGM_RSRC2:TGID_X_EN: 1
; COMPUTE_PGM_RSRC2:TGID_Y_EN: 0
; COMPUTE_PGM_RSRC2:TGID_Z_EN: 0
; COMPUTE_PGM_RSRC2:TIDIG_COMP_CNT: 0
; COMPUTE_PGM_RSRC3_GFX90A:ACCUM_OFFSET: 0
; COMPUTE_PGM_RSRC3_GFX90A:TG_SPLIT: 0
	.section	.text._ZN7rocprim17ROCPRIM_400000_NS6detail31init_lookback_scan_state_kernelINS1_19lookback_scan_stateI3IntLb1ELb1EEENS1_16block_id_wrapperIjLb1EEEEEvT_jT0_jPNS8_10value_typeE,"axG",@progbits,_ZN7rocprim17ROCPRIM_400000_NS6detail31init_lookback_scan_state_kernelINS1_19lookback_scan_stateI3IntLb1ELb1EEENS1_16block_id_wrapperIjLb1EEEEEvT_jT0_jPNS8_10value_typeE,comdat
	.protected	_ZN7rocprim17ROCPRIM_400000_NS6detail31init_lookback_scan_state_kernelINS1_19lookback_scan_stateI3IntLb1ELb1EEENS1_16block_id_wrapperIjLb1EEEEEvT_jT0_jPNS8_10value_typeE ; -- Begin function _ZN7rocprim17ROCPRIM_400000_NS6detail31init_lookback_scan_state_kernelINS1_19lookback_scan_stateI3IntLb1ELb1EEENS1_16block_id_wrapperIjLb1EEEEEvT_jT0_jPNS8_10value_typeE
	.globl	_ZN7rocprim17ROCPRIM_400000_NS6detail31init_lookback_scan_state_kernelINS1_19lookback_scan_stateI3IntLb1ELb1EEENS1_16block_id_wrapperIjLb1EEEEEvT_jT0_jPNS8_10value_typeE
	.p2align	8
	.type	_ZN7rocprim17ROCPRIM_400000_NS6detail31init_lookback_scan_state_kernelINS1_19lookback_scan_stateI3IntLb1ELb1EEENS1_16block_id_wrapperIjLb1EEEEEvT_jT0_jPNS8_10value_typeE,@function
_ZN7rocprim17ROCPRIM_400000_NS6detail31init_lookback_scan_state_kernelINS1_19lookback_scan_stateI3IntLb1ELb1EEENS1_16block_id_wrapperIjLb1EEEEEvT_jT0_jPNS8_10value_typeE: ; @_ZN7rocprim17ROCPRIM_400000_NS6detail31init_lookback_scan_state_kernelINS1_19lookback_scan_stateI3IntLb1ELb1EEENS1_16block_id_wrapperIjLb1EEEEEvT_jT0_jPNS8_10value_typeE
; %bb.0:
	s_load_dword s7, s[4:5], 0x34
	s_load_dwordx2 s[2:3], s[4:5], 0x20
	s_load_dwordx2 s[0:1], s[4:5], 0x0
	s_load_dword s10, s[4:5], 0x8
	s_waitcnt lgkmcnt(0)
	s_and_b32 s7, s7, 0xffff
	s_mul_i32 s6, s6, s7
	s_cmp_eq_u64 s[2:3], 0
	v_add_u32_e32 v0, s6, v0
	s_cbranch_scc1 .LBB6923_9
; %bb.1:
	s_load_dword s8, s[4:5], 0x18
	s_mov_b32 s9, 0
	s_waitcnt lgkmcnt(0)
	s_cmp_lt_u32 s8, s10
	s_cselect_b32 s6, s8, 0
	v_cmp_eq_u32_e32 vcc, s6, v0
	s_and_saveexec_b64 s[6:7], vcc
	s_cbranch_execz .LBB6923_8
; %bb.2:
	s_add_i32 s8, s8, 64
	s_lshl_b64 s[8:9], s[8:9], 3
	s_add_u32 s8, s0, s8
	s_addc_u32 s9, s1, s9
	v_mov_b32_e32 v2, 0
	global_load_dwordx2 v[4:5], v2, s[8:9] glc
	s_waitcnt vmcnt(0)
	v_and_b32_e32 v3, 0xff, v5
	v_cmp_ne_u64_e32 vcc, 0, v[2:3]
	s_cbranch_vccnz .LBB6923_7
; %bb.3:
	s_mov_b32 s11, 1
.LBB6923_4:                             ; =>This Loop Header: Depth=1
                                        ;     Child Loop BB6923_5 Depth 2
	s_max_u32 s12, s11, 1
.LBB6923_5:                             ;   Parent Loop BB6923_4 Depth=1
                                        ; =>  This Inner Loop Header: Depth=2
	s_add_i32 s12, s12, -1
	s_cmp_eq_u32 s12, 0
	s_sleep 1
	s_cbranch_scc0 .LBB6923_5
; %bb.6:                                ;   in Loop: Header=BB6923_4 Depth=1
	global_load_dwordx2 v[4:5], v2, s[8:9] glc
	s_cmp_lt_u32 s11, 32
	s_cselect_b64 s[12:13], -1, 0
	s_cmp_lg_u64 s[12:13], 0
	s_addc_u32 s11, s11, 0
	s_waitcnt vmcnt(0)
	v_and_b32_e32 v3, 0xff, v5
	v_cmp_ne_u64_e32 vcc, 0, v[2:3]
	s_cbranch_vccz .LBB6923_4
.LBB6923_7:
	v_mov_b32_e32 v1, 0
	global_store_dword v1, v4, s[2:3]
.LBB6923_8:
	s_or_b64 exec, exec, s[6:7]
.LBB6923_9:
	v_cmp_eq_u32_e32 vcc, 0, v0
	s_and_saveexec_b64 s[2:3], vcc
	s_cbranch_execnz .LBB6923_13
; %bb.10:
	s_or_b64 exec, exec, s[2:3]
	v_cmp_gt_u32_e32 vcc, s10, v0
	s_and_saveexec_b64 s[2:3], vcc
	s_cbranch_execnz .LBB6923_14
.LBB6923_11:
	s_or_b64 exec, exec, s[2:3]
	v_cmp_gt_u32_e32 vcc, 64, v0
	s_and_saveexec_b64 s[2:3], vcc
	s_cbranch_execnz .LBB6923_15
.LBB6923_12:
	s_endpgm
.LBB6923_13:
	s_load_dwordx2 s[4:5], s[4:5], 0x10
	v_mov_b32_e32 v1, 0
	s_waitcnt lgkmcnt(0)
	global_store_dword v1, v1, s[4:5]
	s_or_b64 exec, exec, s[2:3]
	v_cmp_gt_u32_e32 vcc, s10, v0
	s_and_saveexec_b64 s[2:3], vcc
	s_cbranch_execz .LBB6923_11
.LBB6923_14:
	v_add_u32_e32 v2, 64, v0
	v_mov_b32_e32 v3, 0
	v_lshlrev_b64 v[4:5], 3, v[2:3]
	v_mov_b32_e32 v1, s1
	v_add_co_u32_e32 v4, vcc, s0, v4
	v_addc_co_u32_e32 v5, vcc, v1, v5, vcc
	v_mov_b32_e32 v2, v3
	global_store_dwordx2 v[4:5], v[2:3], off
	s_or_b64 exec, exec, s[2:3]
	v_cmp_gt_u32_e32 vcc, 64, v0
	s_and_saveexec_b64 s[2:3], vcc
	s_cbranch_execz .LBB6923_12
.LBB6923_15:
	v_mov_b32_e32 v1, 0
	v_lshlrev_b64 v[2:3], 3, v[0:1]
	v_mov_b32_e32 v0, s1
	v_add_co_u32_e32 v2, vcc, s0, v2
	v_addc_co_u32_e32 v3, vcc, v0, v3, vcc
	v_mov_b32_e32 v5, 0xff
	v_mov_b32_e32 v4, v1
	global_store_dwordx2 v[2:3], v[4:5], off
	s_endpgm
	.section	.rodata,"a",@progbits
	.p2align	6, 0x0
	.amdhsa_kernel _ZN7rocprim17ROCPRIM_400000_NS6detail31init_lookback_scan_state_kernelINS1_19lookback_scan_stateI3IntLb1ELb1EEENS1_16block_id_wrapperIjLb1EEEEEvT_jT0_jPNS8_10value_typeE
		.amdhsa_group_segment_fixed_size 0
		.amdhsa_private_segment_fixed_size 0
		.amdhsa_kernarg_size 296
		.amdhsa_user_sgpr_count 6
		.amdhsa_user_sgpr_private_segment_buffer 1
		.amdhsa_user_sgpr_dispatch_ptr 0
		.amdhsa_user_sgpr_queue_ptr 0
		.amdhsa_user_sgpr_kernarg_segment_ptr 1
		.amdhsa_user_sgpr_dispatch_id 0
		.amdhsa_user_sgpr_flat_scratch_init 0
		.amdhsa_user_sgpr_kernarg_preload_length 0
		.amdhsa_user_sgpr_kernarg_preload_offset 0
		.amdhsa_user_sgpr_private_segment_size 0
		.amdhsa_uses_dynamic_stack 0
		.amdhsa_system_sgpr_private_segment_wavefront_offset 0
		.amdhsa_system_sgpr_workgroup_id_x 1
		.amdhsa_system_sgpr_workgroup_id_y 0
		.amdhsa_system_sgpr_workgroup_id_z 0
		.amdhsa_system_sgpr_workgroup_info 0
		.amdhsa_system_vgpr_workitem_id 0
		.amdhsa_next_free_vgpr 6
		.amdhsa_next_free_sgpr 14
		.amdhsa_accum_offset 8
		.amdhsa_reserve_vcc 1
		.amdhsa_reserve_flat_scratch 0
		.amdhsa_float_round_mode_32 0
		.amdhsa_float_round_mode_16_64 0
		.amdhsa_float_denorm_mode_32 3
		.amdhsa_float_denorm_mode_16_64 3
		.amdhsa_dx10_clamp 1
		.amdhsa_ieee_mode 1
		.amdhsa_fp16_overflow 0
		.amdhsa_tg_split 0
		.amdhsa_exception_fp_ieee_invalid_op 0
		.amdhsa_exception_fp_denorm_src 0
		.amdhsa_exception_fp_ieee_div_zero 0
		.amdhsa_exception_fp_ieee_overflow 0
		.amdhsa_exception_fp_ieee_underflow 0
		.amdhsa_exception_fp_ieee_inexact 0
		.amdhsa_exception_int_div_zero 0
	.end_amdhsa_kernel
	.section	.text._ZN7rocprim17ROCPRIM_400000_NS6detail31init_lookback_scan_state_kernelINS1_19lookback_scan_stateI3IntLb1ELb1EEENS1_16block_id_wrapperIjLb1EEEEEvT_jT0_jPNS8_10value_typeE,"axG",@progbits,_ZN7rocprim17ROCPRIM_400000_NS6detail31init_lookback_scan_state_kernelINS1_19lookback_scan_stateI3IntLb1ELb1EEENS1_16block_id_wrapperIjLb1EEEEEvT_jT0_jPNS8_10value_typeE,comdat
.Lfunc_end6923:
	.size	_ZN7rocprim17ROCPRIM_400000_NS6detail31init_lookback_scan_state_kernelINS1_19lookback_scan_stateI3IntLb1ELb1EEENS1_16block_id_wrapperIjLb1EEEEEvT_jT0_jPNS8_10value_typeE, .Lfunc_end6923-_ZN7rocprim17ROCPRIM_400000_NS6detail31init_lookback_scan_state_kernelINS1_19lookback_scan_stateI3IntLb1ELb1EEENS1_16block_id_wrapperIjLb1EEEEEvT_jT0_jPNS8_10value_typeE
                                        ; -- End function
	.section	.AMDGPU.csdata,"",@progbits
; Kernel info:
; codeLenInByte = 420
; NumSgprs: 18
; NumVgprs: 6
; NumAgprs: 0
; TotalNumVgprs: 6
; ScratchSize: 0
; MemoryBound: 0
; FloatMode: 240
; IeeeMode: 1
; LDSByteSize: 0 bytes/workgroup (compile time only)
; SGPRBlocks: 2
; VGPRBlocks: 0
; NumSGPRsForWavesPerEU: 18
; NumVGPRsForWavesPerEU: 6
; AccumOffset: 8
; Occupancy: 8
; WaveLimiterHint : 0
; COMPUTE_PGM_RSRC2:SCRATCH_EN: 0
; COMPUTE_PGM_RSRC2:USER_SGPR: 6
; COMPUTE_PGM_RSRC2:TRAP_HANDLER: 0
; COMPUTE_PGM_RSRC2:TGID_X_EN: 1
; COMPUTE_PGM_RSRC2:TGID_Y_EN: 0
; COMPUTE_PGM_RSRC2:TGID_Z_EN: 0
; COMPUTE_PGM_RSRC2:TIDIG_COMP_CNT: 0
; COMPUTE_PGM_RSRC3_GFX90A:ACCUM_OFFSET: 1
; COMPUTE_PGM_RSRC3_GFX90A:TG_SPLIT: 0
	.section	.text._ZN7rocprim17ROCPRIM_400000_NS6detail17trampoline_kernelINS0_14default_configENS1_20scan_config_selectorI3IntEEZZNS1_9scan_implILNS1_25lookback_scan_determinismE0ELb0ELb0ES3_N6thrust23THRUST_200600_302600_NS6detail15normal_iteratorINSA_10device_ptrIKS5_EEEENSC_INSD_IS5_EEEES5_NSA_4plusIvEES5_EEDaPvRmT3_T4_T5_mT6_P12ihipStream_tbENKUlT_T0_E_clISt17integral_constantIbLb1EESY_EEDaST_SU_EUlST_E_NS1_11comp_targetILNS1_3genE0ELNS1_11target_archE4294967295ELNS1_3gpuE0ELNS1_3repE0EEENS1_30default_config_static_selectorELNS0_4arch9wavefront6targetE1EEEvT1_,"axG",@progbits,_ZN7rocprim17ROCPRIM_400000_NS6detail17trampoline_kernelINS0_14default_configENS1_20scan_config_selectorI3IntEEZZNS1_9scan_implILNS1_25lookback_scan_determinismE0ELb0ELb0ES3_N6thrust23THRUST_200600_302600_NS6detail15normal_iteratorINSA_10device_ptrIKS5_EEEENSC_INSD_IS5_EEEES5_NSA_4plusIvEES5_EEDaPvRmT3_T4_T5_mT6_P12ihipStream_tbENKUlT_T0_E_clISt17integral_constantIbLb1EESY_EEDaST_SU_EUlST_E_NS1_11comp_targetILNS1_3genE0ELNS1_11target_archE4294967295ELNS1_3gpuE0ELNS1_3repE0EEENS1_30default_config_static_selectorELNS0_4arch9wavefront6targetE1EEEvT1_,comdat
	.protected	_ZN7rocprim17ROCPRIM_400000_NS6detail17trampoline_kernelINS0_14default_configENS1_20scan_config_selectorI3IntEEZZNS1_9scan_implILNS1_25lookback_scan_determinismE0ELb0ELb0ES3_N6thrust23THRUST_200600_302600_NS6detail15normal_iteratorINSA_10device_ptrIKS5_EEEENSC_INSD_IS5_EEEES5_NSA_4plusIvEES5_EEDaPvRmT3_T4_T5_mT6_P12ihipStream_tbENKUlT_T0_E_clISt17integral_constantIbLb1EESY_EEDaST_SU_EUlST_E_NS1_11comp_targetILNS1_3genE0ELNS1_11target_archE4294967295ELNS1_3gpuE0ELNS1_3repE0EEENS1_30default_config_static_selectorELNS0_4arch9wavefront6targetE1EEEvT1_ ; -- Begin function _ZN7rocprim17ROCPRIM_400000_NS6detail17trampoline_kernelINS0_14default_configENS1_20scan_config_selectorI3IntEEZZNS1_9scan_implILNS1_25lookback_scan_determinismE0ELb0ELb0ES3_N6thrust23THRUST_200600_302600_NS6detail15normal_iteratorINSA_10device_ptrIKS5_EEEENSC_INSD_IS5_EEEES5_NSA_4plusIvEES5_EEDaPvRmT3_T4_T5_mT6_P12ihipStream_tbENKUlT_T0_E_clISt17integral_constantIbLb1EESY_EEDaST_SU_EUlST_E_NS1_11comp_targetILNS1_3genE0ELNS1_11target_archE4294967295ELNS1_3gpuE0ELNS1_3repE0EEENS1_30default_config_static_selectorELNS0_4arch9wavefront6targetE1EEEvT1_
	.globl	_ZN7rocprim17ROCPRIM_400000_NS6detail17trampoline_kernelINS0_14default_configENS1_20scan_config_selectorI3IntEEZZNS1_9scan_implILNS1_25lookback_scan_determinismE0ELb0ELb0ES3_N6thrust23THRUST_200600_302600_NS6detail15normal_iteratorINSA_10device_ptrIKS5_EEEENSC_INSD_IS5_EEEES5_NSA_4plusIvEES5_EEDaPvRmT3_T4_T5_mT6_P12ihipStream_tbENKUlT_T0_E_clISt17integral_constantIbLb1EESY_EEDaST_SU_EUlST_E_NS1_11comp_targetILNS1_3genE0ELNS1_11target_archE4294967295ELNS1_3gpuE0ELNS1_3repE0EEENS1_30default_config_static_selectorELNS0_4arch9wavefront6targetE1EEEvT1_
	.p2align	8
	.type	_ZN7rocprim17ROCPRIM_400000_NS6detail17trampoline_kernelINS0_14default_configENS1_20scan_config_selectorI3IntEEZZNS1_9scan_implILNS1_25lookback_scan_determinismE0ELb0ELb0ES3_N6thrust23THRUST_200600_302600_NS6detail15normal_iteratorINSA_10device_ptrIKS5_EEEENSC_INSD_IS5_EEEES5_NSA_4plusIvEES5_EEDaPvRmT3_T4_T5_mT6_P12ihipStream_tbENKUlT_T0_E_clISt17integral_constantIbLb1EESY_EEDaST_SU_EUlST_E_NS1_11comp_targetILNS1_3genE0ELNS1_11target_archE4294967295ELNS1_3gpuE0ELNS1_3repE0EEENS1_30default_config_static_selectorELNS0_4arch9wavefront6targetE1EEEvT1_,@function
_ZN7rocprim17ROCPRIM_400000_NS6detail17trampoline_kernelINS0_14default_configENS1_20scan_config_selectorI3IntEEZZNS1_9scan_implILNS1_25lookback_scan_determinismE0ELb0ELb0ES3_N6thrust23THRUST_200600_302600_NS6detail15normal_iteratorINSA_10device_ptrIKS5_EEEENSC_INSD_IS5_EEEES5_NSA_4plusIvEES5_EEDaPvRmT3_T4_T5_mT6_P12ihipStream_tbENKUlT_T0_E_clISt17integral_constantIbLb1EESY_EEDaST_SU_EUlST_E_NS1_11comp_targetILNS1_3genE0ELNS1_11target_archE4294967295ELNS1_3gpuE0ELNS1_3repE0EEENS1_30default_config_static_selectorELNS0_4arch9wavefront6targetE1EEEvT1_: ; @_ZN7rocprim17ROCPRIM_400000_NS6detail17trampoline_kernelINS0_14default_configENS1_20scan_config_selectorI3IntEEZZNS1_9scan_implILNS1_25lookback_scan_determinismE0ELb0ELb0ES3_N6thrust23THRUST_200600_302600_NS6detail15normal_iteratorINSA_10device_ptrIKS5_EEEENSC_INSD_IS5_EEEES5_NSA_4plusIvEES5_EEDaPvRmT3_T4_T5_mT6_P12ihipStream_tbENKUlT_T0_E_clISt17integral_constantIbLb1EESY_EEDaST_SU_EUlST_E_NS1_11comp_targetILNS1_3genE0ELNS1_11target_archE4294967295ELNS1_3gpuE0ELNS1_3repE0EEENS1_30default_config_static_selectorELNS0_4arch9wavefront6targetE1EEEvT1_
; %bb.0:
	.section	.rodata,"a",@progbits
	.p2align	6, 0x0
	.amdhsa_kernel _ZN7rocprim17ROCPRIM_400000_NS6detail17trampoline_kernelINS0_14default_configENS1_20scan_config_selectorI3IntEEZZNS1_9scan_implILNS1_25lookback_scan_determinismE0ELb0ELb0ES3_N6thrust23THRUST_200600_302600_NS6detail15normal_iteratorINSA_10device_ptrIKS5_EEEENSC_INSD_IS5_EEEES5_NSA_4plusIvEES5_EEDaPvRmT3_T4_T5_mT6_P12ihipStream_tbENKUlT_T0_E_clISt17integral_constantIbLb1EESY_EEDaST_SU_EUlST_E_NS1_11comp_targetILNS1_3genE0ELNS1_11target_archE4294967295ELNS1_3gpuE0ELNS1_3repE0EEENS1_30default_config_static_selectorELNS0_4arch9wavefront6targetE1EEEvT1_
		.amdhsa_group_segment_fixed_size 0
		.amdhsa_private_segment_fixed_size 0
		.amdhsa_kernarg_size 96
		.amdhsa_user_sgpr_count 6
		.amdhsa_user_sgpr_private_segment_buffer 1
		.amdhsa_user_sgpr_dispatch_ptr 0
		.amdhsa_user_sgpr_queue_ptr 0
		.amdhsa_user_sgpr_kernarg_segment_ptr 1
		.amdhsa_user_sgpr_dispatch_id 0
		.amdhsa_user_sgpr_flat_scratch_init 0
		.amdhsa_user_sgpr_kernarg_preload_length 0
		.amdhsa_user_sgpr_kernarg_preload_offset 0
		.amdhsa_user_sgpr_private_segment_size 0
		.amdhsa_uses_dynamic_stack 0
		.amdhsa_system_sgpr_private_segment_wavefront_offset 0
		.amdhsa_system_sgpr_workgroup_id_x 1
		.amdhsa_system_sgpr_workgroup_id_y 0
		.amdhsa_system_sgpr_workgroup_id_z 0
		.amdhsa_system_sgpr_workgroup_info 0
		.amdhsa_system_vgpr_workitem_id 0
		.amdhsa_next_free_vgpr 1
		.amdhsa_next_free_sgpr 0
		.amdhsa_accum_offset 4
		.amdhsa_reserve_vcc 0
		.amdhsa_reserve_flat_scratch 0
		.amdhsa_float_round_mode_32 0
		.amdhsa_float_round_mode_16_64 0
		.amdhsa_float_denorm_mode_32 3
		.amdhsa_float_denorm_mode_16_64 3
		.amdhsa_dx10_clamp 1
		.amdhsa_ieee_mode 1
		.amdhsa_fp16_overflow 0
		.amdhsa_tg_split 0
		.amdhsa_exception_fp_ieee_invalid_op 0
		.amdhsa_exception_fp_denorm_src 0
		.amdhsa_exception_fp_ieee_div_zero 0
		.amdhsa_exception_fp_ieee_overflow 0
		.amdhsa_exception_fp_ieee_underflow 0
		.amdhsa_exception_fp_ieee_inexact 0
		.amdhsa_exception_int_div_zero 0
	.end_amdhsa_kernel
	.section	.text._ZN7rocprim17ROCPRIM_400000_NS6detail17trampoline_kernelINS0_14default_configENS1_20scan_config_selectorI3IntEEZZNS1_9scan_implILNS1_25lookback_scan_determinismE0ELb0ELb0ES3_N6thrust23THRUST_200600_302600_NS6detail15normal_iteratorINSA_10device_ptrIKS5_EEEENSC_INSD_IS5_EEEES5_NSA_4plusIvEES5_EEDaPvRmT3_T4_T5_mT6_P12ihipStream_tbENKUlT_T0_E_clISt17integral_constantIbLb1EESY_EEDaST_SU_EUlST_E_NS1_11comp_targetILNS1_3genE0ELNS1_11target_archE4294967295ELNS1_3gpuE0ELNS1_3repE0EEENS1_30default_config_static_selectorELNS0_4arch9wavefront6targetE1EEEvT1_,"axG",@progbits,_ZN7rocprim17ROCPRIM_400000_NS6detail17trampoline_kernelINS0_14default_configENS1_20scan_config_selectorI3IntEEZZNS1_9scan_implILNS1_25lookback_scan_determinismE0ELb0ELb0ES3_N6thrust23THRUST_200600_302600_NS6detail15normal_iteratorINSA_10device_ptrIKS5_EEEENSC_INSD_IS5_EEEES5_NSA_4plusIvEES5_EEDaPvRmT3_T4_T5_mT6_P12ihipStream_tbENKUlT_T0_E_clISt17integral_constantIbLb1EESY_EEDaST_SU_EUlST_E_NS1_11comp_targetILNS1_3genE0ELNS1_11target_archE4294967295ELNS1_3gpuE0ELNS1_3repE0EEENS1_30default_config_static_selectorELNS0_4arch9wavefront6targetE1EEEvT1_,comdat
.Lfunc_end6924:
	.size	_ZN7rocprim17ROCPRIM_400000_NS6detail17trampoline_kernelINS0_14default_configENS1_20scan_config_selectorI3IntEEZZNS1_9scan_implILNS1_25lookback_scan_determinismE0ELb0ELb0ES3_N6thrust23THRUST_200600_302600_NS6detail15normal_iteratorINSA_10device_ptrIKS5_EEEENSC_INSD_IS5_EEEES5_NSA_4plusIvEES5_EEDaPvRmT3_T4_T5_mT6_P12ihipStream_tbENKUlT_T0_E_clISt17integral_constantIbLb1EESY_EEDaST_SU_EUlST_E_NS1_11comp_targetILNS1_3genE0ELNS1_11target_archE4294967295ELNS1_3gpuE0ELNS1_3repE0EEENS1_30default_config_static_selectorELNS0_4arch9wavefront6targetE1EEEvT1_, .Lfunc_end6924-_ZN7rocprim17ROCPRIM_400000_NS6detail17trampoline_kernelINS0_14default_configENS1_20scan_config_selectorI3IntEEZZNS1_9scan_implILNS1_25lookback_scan_determinismE0ELb0ELb0ES3_N6thrust23THRUST_200600_302600_NS6detail15normal_iteratorINSA_10device_ptrIKS5_EEEENSC_INSD_IS5_EEEES5_NSA_4plusIvEES5_EEDaPvRmT3_T4_T5_mT6_P12ihipStream_tbENKUlT_T0_E_clISt17integral_constantIbLb1EESY_EEDaST_SU_EUlST_E_NS1_11comp_targetILNS1_3genE0ELNS1_11target_archE4294967295ELNS1_3gpuE0ELNS1_3repE0EEENS1_30default_config_static_selectorELNS0_4arch9wavefront6targetE1EEEvT1_
                                        ; -- End function
	.section	.AMDGPU.csdata,"",@progbits
; Kernel info:
; codeLenInByte = 0
; NumSgprs: 4
; NumVgprs: 0
; NumAgprs: 0
; TotalNumVgprs: 0
; ScratchSize: 0
; MemoryBound: 0
; FloatMode: 240
; IeeeMode: 1
; LDSByteSize: 0 bytes/workgroup (compile time only)
; SGPRBlocks: 0
; VGPRBlocks: 0
; NumSGPRsForWavesPerEU: 4
; NumVGPRsForWavesPerEU: 1
; AccumOffset: 4
; Occupancy: 8
; WaveLimiterHint : 0
; COMPUTE_PGM_RSRC2:SCRATCH_EN: 0
; COMPUTE_PGM_RSRC2:USER_SGPR: 6
; COMPUTE_PGM_RSRC2:TRAP_HANDLER: 0
; COMPUTE_PGM_RSRC2:TGID_X_EN: 1
; COMPUTE_PGM_RSRC2:TGID_Y_EN: 0
; COMPUTE_PGM_RSRC2:TGID_Z_EN: 0
; COMPUTE_PGM_RSRC2:TIDIG_COMP_CNT: 0
; COMPUTE_PGM_RSRC3_GFX90A:ACCUM_OFFSET: 0
; COMPUTE_PGM_RSRC3_GFX90A:TG_SPLIT: 0
	.section	.text._ZN7rocprim17ROCPRIM_400000_NS6detail17trampoline_kernelINS0_14default_configENS1_20scan_config_selectorI3IntEEZZNS1_9scan_implILNS1_25lookback_scan_determinismE0ELb0ELb0ES3_N6thrust23THRUST_200600_302600_NS6detail15normal_iteratorINSA_10device_ptrIKS5_EEEENSC_INSD_IS5_EEEES5_NSA_4plusIvEES5_EEDaPvRmT3_T4_T5_mT6_P12ihipStream_tbENKUlT_T0_E_clISt17integral_constantIbLb1EESY_EEDaST_SU_EUlST_E_NS1_11comp_targetILNS1_3genE5ELNS1_11target_archE942ELNS1_3gpuE9ELNS1_3repE0EEENS1_30default_config_static_selectorELNS0_4arch9wavefront6targetE1EEEvT1_,"axG",@progbits,_ZN7rocprim17ROCPRIM_400000_NS6detail17trampoline_kernelINS0_14default_configENS1_20scan_config_selectorI3IntEEZZNS1_9scan_implILNS1_25lookback_scan_determinismE0ELb0ELb0ES3_N6thrust23THRUST_200600_302600_NS6detail15normal_iteratorINSA_10device_ptrIKS5_EEEENSC_INSD_IS5_EEEES5_NSA_4plusIvEES5_EEDaPvRmT3_T4_T5_mT6_P12ihipStream_tbENKUlT_T0_E_clISt17integral_constantIbLb1EESY_EEDaST_SU_EUlST_E_NS1_11comp_targetILNS1_3genE5ELNS1_11target_archE942ELNS1_3gpuE9ELNS1_3repE0EEENS1_30default_config_static_selectorELNS0_4arch9wavefront6targetE1EEEvT1_,comdat
	.protected	_ZN7rocprim17ROCPRIM_400000_NS6detail17trampoline_kernelINS0_14default_configENS1_20scan_config_selectorI3IntEEZZNS1_9scan_implILNS1_25lookback_scan_determinismE0ELb0ELb0ES3_N6thrust23THRUST_200600_302600_NS6detail15normal_iteratorINSA_10device_ptrIKS5_EEEENSC_INSD_IS5_EEEES5_NSA_4plusIvEES5_EEDaPvRmT3_T4_T5_mT6_P12ihipStream_tbENKUlT_T0_E_clISt17integral_constantIbLb1EESY_EEDaST_SU_EUlST_E_NS1_11comp_targetILNS1_3genE5ELNS1_11target_archE942ELNS1_3gpuE9ELNS1_3repE0EEENS1_30default_config_static_selectorELNS0_4arch9wavefront6targetE1EEEvT1_ ; -- Begin function _ZN7rocprim17ROCPRIM_400000_NS6detail17trampoline_kernelINS0_14default_configENS1_20scan_config_selectorI3IntEEZZNS1_9scan_implILNS1_25lookback_scan_determinismE0ELb0ELb0ES3_N6thrust23THRUST_200600_302600_NS6detail15normal_iteratorINSA_10device_ptrIKS5_EEEENSC_INSD_IS5_EEEES5_NSA_4plusIvEES5_EEDaPvRmT3_T4_T5_mT6_P12ihipStream_tbENKUlT_T0_E_clISt17integral_constantIbLb1EESY_EEDaST_SU_EUlST_E_NS1_11comp_targetILNS1_3genE5ELNS1_11target_archE942ELNS1_3gpuE9ELNS1_3repE0EEENS1_30default_config_static_selectorELNS0_4arch9wavefront6targetE1EEEvT1_
	.globl	_ZN7rocprim17ROCPRIM_400000_NS6detail17trampoline_kernelINS0_14default_configENS1_20scan_config_selectorI3IntEEZZNS1_9scan_implILNS1_25lookback_scan_determinismE0ELb0ELb0ES3_N6thrust23THRUST_200600_302600_NS6detail15normal_iteratorINSA_10device_ptrIKS5_EEEENSC_INSD_IS5_EEEES5_NSA_4plusIvEES5_EEDaPvRmT3_T4_T5_mT6_P12ihipStream_tbENKUlT_T0_E_clISt17integral_constantIbLb1EESY_EEDaST_SU_EUlST_E_NS1_11comp_targetILNS1_3genE5ELNS1_11target_archE942ELNS1_3gpuE9ELNS1_3repE0EEENS1_30default_config_static_selectorELNS0_4arch9wavefront6targetE1EEEvT1_
	.p2align	8
	.type	_ZN7rocprim17ROCPRIM_400000_NS6detail17trampoline_kernelINS0_14default_configENS1_20scan_config_selectorI3IntEEZZNS1_9scan_implILNS1_25lookback_scan_determinismE0ELb0ELb0ES3_N6thrust23THRUST_200600_302600_NS6detail15normal_iteratorINSA_10device_ptrIKS5_EEEENSC_INSD_IS5_EEEES5_NSA_4plusIvEES5_EEDaPvRmT3_T4_T5_mT6_P12ihipStream_tbENKUlT_T0_E_clISt17integral_constantIbLb1EESY_EEDaST_SU_EUlST_E_NS1_11comp_targetILNS1_3genE5ELNS1_11target_archE942ELNS1_3gpuE9ELNS1_3repE0EEENS1_30default_config_static_selectorELNS0_4arch9wavefront6targetE1EEEvT1_,@function
_ZN7rocprim17ROCPRIM_400000_NS6detail17trampoline_kernelINS0_14default_configENS1_20scan_config_selectorI3IntEEZZNS1_9scan_implILNS1_25lookback_scan_determinismE0ELb0ELb0ES3_N6thrust23THRUST_200600_302600_NS6detail15normal_iteratorINSA_10device_ptrIKS5_EEEENSC_INSD_IS5_EEEES5_NSA_4plusIvEES5_EEDaPvRmT3_T4_T5_mT6_P12ihipStream_tbENKUlT_T0_E_clISt17integral_constantIbLb1EESY_EEDaST_SU_EUlST_E_NS1_11comp_targetILNS1_3genE5ELNS1_11target_archE942ELNS1_3gpuE9ELNS1_3repE0EEENS1_30default_config_static_selectorELNS0_4arch9wavefront6targetE1EEEvT1_: ; @_ZN7rocprim17ROCPRIM_400000_NS6detail17trampoline_kernelINS0_14default_configENS1_20scan_config_selectorI3IntEEZZNS1_9scan_implILNS1_25lookback_scan_determinismE0ELb0ELb0ES3_N6thrust23THRUST_200600_302600_NS6detail15normal_iteratorINSA_10device_ptrIKS5_EEEENSC_INSD_IS5_EEEES5_NSA_4plusIvEES5_EEDaPvRmT3_T4_T5_mT6_P12ihipStream_tbENKUlT_T0_E_clISt17integral_constantIbLb1EESY_EEDaST_SU_EUlST_E_NS1_11comp_targetILNS1_3genE5ELNS1_11target_archE942ELNS1_3gpuE9ELNS1_3repE0EEENS1_30default_config_static_selectorELNS0_4arch9wavefront6targetE1EEEvT1_
; %bb.0:
	.section	.rodata,"a",@progbits
	.p2align	6, 0x0
	.amdhsa_kernel _ZN7rocprim17ROCPRIM_400000_NS6detail17trampoline_kernelINS0_14default_configENS1_20scan_config_selectorI3IntEEZZNS1_9scan_implILNS1_25lookback_scan_determinismE0ELb0ELb0ES3_N6thrust23THRUST_200600_302600_NS6detail15normal_iteratorINSA_10device_ptrIKS5_EEEENSC_INSD_IS5_EEEES5_NSA_4plusIvEES5_EEDaPvRmT3_T4_T5_mT6_P12ihipStream_tbENKUlT_T0_E_clISt17integral_constantIbLb1EESY_EEDaST_SU_EUlST_E_NS1_11comp_targetILNS1_3genE5ELNS1_11target_archE942ELNS1_3gpuE9ELNS1_3repE0EEENS1_30default_config_static_selectorELNS0_4arch9wavefront6targetE1EEEvT1_
		.amdhsa_group_segment_fixed_size 0
		.amdhsa_private_segment_fixed_size 0
		.amdhsa_kernarg_size 96
		.amdhsa_user_sgpr_count 6
		.amdhsa_user_sgpr_private_segment_buffer 1
		.amdhsa_user_sgpr_dispatch_ptr 0
		.amdhsa_user_sgpr_queue_ptr 0
		.amdhsa_user_sgpr_kernarg_segment_ptr 1
		.amdhsa_user_sgpr_dispatch_id 0
		.amdhsa_user_sgpr_flat_scratch_init 0
		.amdhsa_user_sgpr_kernarg_preload_length 0
		.amdhsa_user_sgpr_kernarg_preload_offset 0
		.amdhsa_user_sgpr_private_segment_size 0
		.amdhsa_uses_dynamic_stack 0
		.amdhsa_system_sgpr_private_segment_wavefront_offset 0
		.amdhsa_system_sgpr_workgroup_id_x 1
		.amdhsa_system_sgpr_workgroup_id_y 0
		.amdhsa_system_sgpr_workgroup_id_z 0
		.amdhsa_system_sgpr_workgroup_info 0
		.amdhsa_system_vgpr_workitem_id 0
		.amdhsa_next_free_vgpr 1
		.amdhsa_next_free_sgpr 0
		.amdhsa_accum_offset 4
		.amdhsa_reserve_vcc 0
		.amdhsa_reserve_flat_scratch 0
		.amdhsa_float_round_mode_32 0
		.amdhsa_float_round_mode_16_64 0
		.amdhsa_float_denorm_mode_32 3
		.amdhsa_float_denorm_mode_16_64 3
		.amdhsa_dx10_clamp 1
		.amdhsa_ieee_mode 1
		.amdhsa_fp16_overflow 0
		.amdhsa_tg_split 0
		.amdhsa_exception_fp_ieee_invalid_op 0
		.amdhsa_exception_fp_denorm_src 0
		.amdhsa_exception_fp_ieee_div_zero 0
		.amdhsa_exception_fp_ieee_overflow 0
		.amdhsa_exception_fp_ieee_underflow 0
		.amdhsa_exception_fp_ieee_inexact 0
		.amdhsa_exception_int_div_zero 0
	.end_amdhsa_kernel
	.section	.text._ZN7rocprim17ROCPRIM_400000_NS6detail17trampoline_kernelINS0_14default_configENS1_20scan_config_selectorI3IntEEZZNS1_9scan_implILNS1_25lookback_scan_determinismE0ELb0ELb0ES3_N6thrust23THRUST_200600_302600_NS6detail15normal_iteratorINSA_10device_ptrIKS5_EEEENSC_INSD_IS5_EEEES5_NSA_4plusIvEES5_EEDaPvRmT3_T4_T5_mT6_P12ihipStream_tbENKUlT_T0_E_clISt17integral_constantIbLb1EESY_EEDaST_SU_EUlST_E_NS1_11comp_targetILNS1_3genE5ELNS1_11target_archE942ELNS1_3gpuE9ELNS1_3repE0EEENS1_30default_config_static_selectorELNS0_4arch9wavefront6targetE1EEEvT1_,"axG",@progbits,_ZN7rocprim17ROCPRIM_400000_NS6detail17trampoline_kernelINS0_14default_configENS1_20scan_config_selectorI3IntEEZZNS1_9scan_implILNS1_25lookback_scan_determinismE0ELb0ELb0ES3_N6thrust23THRUST_200600_302600_NS6detail15normal_iteratorINSA_10device_ptrIKS5_EEEENSC_INSD_IS5_EEEES5_NSA_4plusIvEES5_EEDaPvRmT3_T4_T5_mT6_P12ihipStream_tbENKUlT_T0_E_clISt17integral_constantIbLb1EESY_EEDaST_SU_EUlST_E_NS1_11comp_targetILNS1_3genE5ELNS1_11target_archE942ELNS1_3gpuE9ELNS1_3repE0EEENS1_30default_config_static_selectorELNS0_4arch9wavefront6targetE1EEEvT1_,comdat
.Lfunc_end6925:
	.size	_ZN7rocprim17ROCPRIM_400000_NS6detail17trampoline_kernelINS0_14default_configENS1_20scan_config_selectorI3IntEEZZNS1_9scan_implILNS1_25lookback_scan_determinismE0ELb0ELb0ES3_N6thrust23THRUST_200600_302600_NS6detail15normal_iteratorINSA_10device_ptrIKS5_EEEENSC_INSD_IS5_EEEES5_NSA_4plusIvEES5_EEDaPvRmT3_T4_T5_mT6_P12ihipStream_tbENKUlT_T0_E_clISt17integral_constantIbLb1EESY_EEDaST_SU_EUlST_E_NS1_11comp_targetILNS1_3genE5ELNS1_11target_archE942ELNS1_3gpuE9ELNS1_3repE0EEENS1_30default_config_static_selectorELNS0_4arch9wavefront6targetE1EEEvT1_, .Lfunc_end6925-_ZN7rocprim17ROCPRIM_400000_NS6detail17trampoline_kernelINS0_14default_configENS1_20scan_config_selectorI3IntEEZZNS1_9scan_implILNS1_25lookback_scan_determinismE0ELb0ELb0ES3_N6thrust23THRUST_200600_302600_NS6detail15normal_iteratorINSA_10device_ptrIKS5_EEEENSC_INSD_IS5_EEEES5_NSA_4plusIvEES5_EEDaPvRmT3_T4_T5_mT6_P12ihipStream_tbENKUlT_T0_E_clISt17integral_constantIbLb1EESY_EEDaST_SU_EUlST_E_NS1_11comp_targetILNS1_3genE5ELNS1_11target_archE942ELNS1_3gpuE9ELNS1_3repE0EEENS1_30default_config_static_selectorELNS0_4arch9wavefront6targetE1EEEvT1_
                                        ; -- End function
	.section	.AMDGPU.csdata,"",@progbits
; Kernel info:
; codeLenInByte = 0
; NumSgprs: 4
; NumVgprs: 0
; NumAgprs: 0
; TotalNumVgprs: 0
; ScratchSize: 0
; MemoryBound: 0
; FloatMode: 240
; IeeeMode: 1
; LDSByteSize: 0 bytes/workgroup (compile time only)
; SGPRBlocks: 0
; VGPRBlocks: 0
; NumSGPRsForWavesPerEU: 4
; NumVGPRsForWavesPerEU: 1
; AccumOffset: 4
; Occupancy: 8
; WaveLimiterHint : 0
; COMPUTE_PGM_RSRC2:SCRATCH_EN: 0
; COMPUTE_PGM_RSRC2:USER_SGPR: 6
; COMPUTE_PGM_RSRC2:TRAP_HANDLER: 0
; COMPUTE_PGM_RSRC2:TGID_X_EN: 1
; COMPUTE_PGM_RSRC2:TGID_Y_EN: 0
; COMPUTE_PGM_RSRC2:TGID_Z_EN: 0
; COMPUTE_PGM_RSRC2:TIDIG_COMP_CNT: 0
; COMPUTE_PGM_RSRC3_GFX90A:ACCUM_OFFSET: 0
; COMPUTE_PGM_RSRC3_GFX90A:TG_SPLIT: 0
	.section	.text._ZN7rocprim17ROCPRIM_400000_NS6detail17trampoline_kernelINS0_14default_configENS1_20scan_config_selectorI3IntEEZZNS1_9scan_implILNS1_25lookback_scan_determinismE0ELb0ELb0ES3_N6thrust23THRUST_200600_302600_NS6detail15normal_iteratorINSA_10device_ptrIKS5_EEEENSC_INSD_IS5_EEEES5_NSA_4plusIvEES5_EEDaPvRmT3_T4_T5_mT6_P12ihipStream_tbENKUlT_T0_E_clISt17integral_constantIbLb1EESY_EEDaST_SU_EUlST_E_NS1_11comp_targetILNS1_3genE4ELNS1_11target_archE910ELNS1_3gpuE8ELNS1_3repE0EEENS1_30default_config_static_selectorELNS0_4arch9wavefront6targetE1EEEvT1_,"axG",@progbits,_ZN7rocprim17ROCPRIM_400000_NS6detail17trampoline_kernelINS0_14default_configENS1_20scan_config_selectorI3IntEEZZNS1_9scan_implILNS1_25lookback_scan_determinismE0ELb0ELb0ES3_N6thrust23THRUST_200600_302600_NS6detail15normal_iteratorINSA_10device_ptrIKS5_EEEENSC_INSD_IS5_EEEES5_NSA_4plusIvEES5_EEDaPvRmT3_T4_T5_mT6_P12ihipStream_tbENKUlT_T0_E_clISt17integral_constantIbLb1EESY_EEDaST_SU_EUlST_E_NS1_11comp_targetILNS1_3genE4ELNS1_11target_archE910ELNS1_3gpuE8ELNS1_3repE0EEENS1_30default_config_static_selectorELNS0_4arch9wavefront6targetE1EEEvT1_,comdat
	.protected	_ZN7rocprim17ROCPRIM_400000_NS6detail17trampoline_kernelINS0_14default_configENS1_20scan_config_selectorI3IntEEZZNS1_9scan_implILNS1_25lookback_scan_determinismE0ELb0ELb0ES3_N6thrust23THRUST_200600_302600_NS6detail15normal_iteratorINSA_10device_ptrIKS5_EEEENSC_INSD_IS5_EEEES5_NSA_4plusIvEES5_EEDaPvRmT3_T4_T5_mT6_P12ihipStream_tbENKUlT_T0_E_clISt17integral_constantIbLb1EESY_EEDaST_SU_EUlST_E_NS1_11comp_targetILNS1_3genE4ELNS1_11target_archE910ELNS1_3gpuE8ELNS1_3repE0EEENS1_30default_config_static_selectorELNS0_4arch9wavefront6targetE1EEEvT1_ ; -- Begin function _ZN7rocprim17ROCPRIM_400000_NS6detail17trampoline_kernelINS0_14default_configENS1_20scan_config_selectorI3IntEEZZNS1_9scan_implILNS1_25lookback_scan_determinismE0ELb0ELb0ES3_N6thrust23THRUST_200600_302600_NS6detail15normal_iteratorINSA_10device_ptrIKS5_EEEENSC_INSD_IS5_EEEES5_NSA_4plusIvEES5_EEDaPvRmT3_T4_T5_mT6_P12ihipStream_tbENKUlT_T0_E_clISt17integral_constantIbLb1EESY_EEDaST_SU_EUlST_E_NS1_11comp_targetILNS1_3genE4ELNS1_11target_archE910ELNS1_3gpuE8ELNS1_3repE0EEENS1_30default_config_static_selectorELNS0_4arch9wavefront6targetE1EEEvT1_
	.globl	_ZN7rocprim17ROCPRIM_400000_NS6detail17trampoline_kernelINS0_14default_configENS1_20scan_config_selectorI3IntEEZZNS1_9scan_implILNS1_25lookback_scan_determinismE0ELb0ELb0ES3_N6thrust23THRUST_200600_302600_NS6detail15normal_iteratorINSA_10device_ptrIKS5_EEEENSC_INSD_IS5_EEEES5_NSA_4plusIvEES5_EEDaPvRmT3_T4_T5_mT6_P12ihipStream_tbENKUlT_T0_E_clISt17integral_constantIbLb1EESY_EEDaST_SU_EUlST_E_NS1_11comp_targetILNS1_3genE4ELNS1_11target_archE910ELNS1_3gpuE8ELNS1_3repE0EEENS1_30default_config_static_selectorELNS0_4arch9wavefront6targetE1EEEvT1_
	.p2align	8
	.type	_ZN7rocprim17ROCPRIM_400000_NS6detail17trampoline_kernelINS0_14default_configENS1_20scan_config_selectorI3IntEEZZNS1_9scan_implILNS1_25lookback_scan_determinismE0ELb0ELb0ES3_N6thrust23THRUST_200600_302600_NS6detail15normal_iteratorINSA_10device_ptrIKS5_EEEENSC_INSD_IS5_EEEES5_NSA_4plusIvEES5_EEDaPvRmT3_T4_T5_mT6_P12ihipStream_tbENKUlT_T0_E_clISt17integral_constantIbLb1EESY_EEDaST_SU_EUlST_E_NS1_11comp_targetILNS1_3genE4ELNS1_11target_archE910ELNS1_3gpuE8ELNS1_3repE0EEENS1_30default_config_static_selectorELNS0_4arch9wavefront6targetE1EEEvT1_,@function
_ZN7rocprim17ROCPRIM_400000_NS6detail17trampoline_kernelINS0_14default_configENS1_20scan_config_selectorI3IntEEZZNS1_9scan_implILNS1_25lookback_scan_determinismE0ELb0ELb0ES3_N6thrust23THRUST_200600_302600_NS6detail15normal_iteratorINSA_10device_ptrIKS5_EEEENSC_INSD_IS5_EEEES5_NSA_4plusIvEES5_EEDaPvRmT3_T4_T5_mT6_P12ihipStream_tbENKUlT_T0_E_clISt17integral_constantIbLb1EESY_EEDaST_SU_EUlST_E_NS1_11comp_targetILNS1_3genE4ELNS1_11target_archE910ELNS1_3gpuE8ELNS1_3repE0EEENS1_30default_config_static_selectorELNS0_4arch9wavefront6targetE1EEEvT1_: ; @_ZN7rocprim17ROCPRIM_400000_NS6detail17trampoline_kernelINS0_14default_configENS1_20scan_config_selectorI3IntEEZZNS1_9scan_implILNS1_25lookback_scan_determinismE0ELb0ELb0ES3_N6thrust23THRUST_200600_302600_NS6detail15normal_iteratorINSA_10device_ptrIKS5_EEEENSC_INSD_IS5_EEEES5_NSA_4plusIvEES5_EEDaPvRmT3_T4_T5_mT6_P12ihipStream_tbENKUlT_T0_E_clISt17integral_constantIbLb1EESY_EEDaST_SU_EUlST_E_NS1_11comp_targetILNS1_3genE4ELNS1_11target_archE910ELNS1_3gpuE8ELNS1_3repE0EEENS1_30default_config_static_selectorELNS0_4arch9wavefront6targetE1EEEvT1_
; %bb.0:
	s_load_dwordx2 s[6:7], s[4:5], 0x28
	v_cmp_ne_u32_e64 s[0:1], 0, v0
	v_cmp_eq_u32_e64 s[2:3], 0, v0
	s_and_saveexec_b64 s[8:9], s[2:3]
	s_cbranch_execz .LBB6926_4
; %bb.1:
	s_mov_b64 s[12:13], exec
	v_mbcnt_lo_u32_b32 v1, s12, 0
	v_mbcnt_hi_u32_b32 v1, s13, v1
	v_cmp_eq_u32_e32 vcc, 0, v1
                                        ; implicit-def: $vgpr2
	s_and_saveexec_b64 s[10:11], vcc
	s_cbranch_execz .LBB6926_3
; %bb.2:
	s_load_dwordx2 s[14:15], s[4:5], 0x58
	s_bcnt1_i32_b64 s12, s[12:13]
	v_mov_b32_e32 v2, 0
	v_mov_b32_e32 v3, s12
	s_waitcnt lgkmcnt(0)
	global_atomic_add v2, v2, v3, s[14:15] glc
.LBB6926_3:
	s_or_b64 exec, exec, s[10:11]
	s_waitcnt vmcnt(0)
	v_readfirstlane_b32 s10, v2
	v_add_u32_e32 v1, s10, v1
	v_mov_b32_e32 v2, 0
	ds_write_b32 v2, v1
.LBB6926_4:
	s_or_b64 exec, exec, s[8:9]
	s_load_dwordx8 s[16:23], s[4:5], 0x0
	s_load_dword s24, s[4:5], 0x30
	s_load_dwordx8 s[8:15], s[4:5], 0x38
	v_mov_b32_e32 v1, 0
	s_waitcnt lgkmcnt(0)
	s_barrier
	ds_read_b32 v1, v1
	s_lshl_b64 s[18:19], s[18:19], 2
	s_add_u32 s25, s16, s18
	s_addc_u32 s26, s17, s19
	s_add_i32 s16, s24, -1
	s_mul_i32 s17, s16, 0x500
	s_sub_u32 s30, s22, s17
	s_waitcnt lgkmcnt(0)
	v_readfirstlane_b32 s33, v1
	s_subb_u32 s31, s23, 0
	s_mov_b32 s5, 0
	s_mul_i32 s4, s33, 0x500
	s_cmp_lg_u32 s33, s16
	s_cselect_b64 s[16:17], -1, 0
	s_lshl_b64 s[22:23], s[4:5], 2
	s_add_u32 s24, s25, s22
	s_addc_u32 s25, s26, s23
	s_mov_b64 s[4:5], -1
	s_and_b64 vcc, exec, s[16:17]
	v_lshlrev_b32_e32 v26, 2, v0
	s_barrier
	s_cbranch_vccz .LBB6926_6
; %bb.5:
	v_mov_b32_e32 v1, s25
	v_add_co_u32_e32 v2, vcc, s24, v26
	v_addc_co_u32_e32 v3, vcc, 0, v1, vcc
	flat_load_dword v1, v[2:3]
	flat_load_dword v4, v[2:3] offset:512
	flat_load_dword v5, v[2:3] offset:1024
	;; [unrolled: 1-line block ×7, first 2 shown]
	v_add_co_u32_e32 v2, vcc, 0x1000, v2
	v_addc_co_u32_e32 v3, vcc, 0, v3, vcc
	flat_load_dword v11, v[2:3]
	flat_load_dword v12, v[2:3] offset:512
	s_mov_b64 s[4:5], 0
	s_waitcnt vmcnt(0) lgkmcnt(0)
	ds_write2st64_b32 v26, v1, v4 offset1:2
	ds_write2st64_b32 v26, v5, v6 offset0:4 offset1:6
	ds_write2st64_b32 v26, v7, v8 offset0:8 offset1:10
	;; [unrolled: 1-line block ×4, first 2 shown]
	s_waitcnt lgkmcnt(0)
	s_barrier
.LBB6926_6:
	s_andn2_b64 vcc, exec, s[4:5]
	v_cmp_gt_u32_e64 s[4:5], s30, v0
	s_cbranch_vccnz .LBB6926_28
; %bb.7:
	v_pk_mov_b32 v[2:3], s[24:25], s[24:25] op_sel:[0,1]
	flat_load_dword v1, v[2:3]
	s_waitcnt vmcnt(0) lgkmcnt(0)
	v_mov_b32_e32 v2, v1
	s_and_saveexec_b64 s[26:27], s[4:5]
	s_cbranch_execz .LBB6926_9
; %bb.8:
	v_mov_b32_e32 v3, s25
	v_add_co_u32_e32 v2, vcc, s24, v26
	v_addc_co_u32_e32 v3, vcc, 0, v3, vcc
	flat_load_dword v2, v[2:3]
.LBB6926_9:
	s_or_b64 exec, exec, s[26:27]
	v_or_b32_e32 v3, 0x80, v0
	v_cmp_gt_u32_e32 vcc, s30, v3
	v_mov_b32_e32 v3, v1
	s_and_saveexec_b64 s[4:5], vcc
	s_cbranch_execz .LBB6926_11
; %bb.10:
	v_mov_b32_e32 v3, s25
	v_add_co_u32_e32 v4, vcc, s24, v26
	v_addc_co_u32_e32 v5, vcc, 0, v3, vcc
	flat_load_dword v3, v[4:5] offset:512
.LBB6926_11:
	s_or_b64 exec, exec, s[4:5]
	v_or_b32_e32 v4, 0x100, v0
	v_cmp_gt_u32_e32 vcc, s30, v4
	v_mov_b32_e32 v4, v1
	s_and_saveexec_b64 s[4:5], vcc
	s_cbranch_execz .LBB6926_13
; %bb.12:
	v_mov_b32_e32 v5, s25
	v_add_co_u32_e32 v4, vcc, s24, v26
	v_addc_co_u32_e32 v5, vcc, 0, v5, vcc
	flat_load_dword v4, v[4:5] offset:1024
.LBB6926_13:
	;; [unrolled: 12-line block ×7, first 2 shown]
	s_or_b64 exec, exec, s[4:5]
	v_or_b32_e32 v11, 0x400, v0
	v_cmp_gt_u32_e32 vcc, s30, v11
	v_mov_b32_e32 v10, v1
	s_and_saveexec_b64 s[4:5], vcc
	s_cbranch_execz .LBB6926_25
; %bb.24:
	v_lshlrev_b32_e32 v10, 2, v11
	v_mov_b32_e32 v11, s25
	v_add_co_u32_e32 v10, vcc, s24, v10
	v_addc_co_u32_e32 v11, vcc, 0, v11, vcc
	flat_load_dword v10, v[10:11]
.LBB6926_25:
	s_or_b64 exec, exec, s[4:5]
	v_or_b32_e32 v11, 0x480, v0
	v_cmp_gt_u32_e32 vcc, s30, v11
	s_and_saveexec_b64 s[4:5], vcc
	s_cbranch_execz .LBB6926_27
; %bb.26:
	v_lshlrev_b32_e32 v1, 2, v11
	v_mov_b32_e32 v11, s25
	v_add_co_u32_e32 v12, vcc, s24, v1
	v_addc_co_u32_e32 v13, vcc, 0, v11, vcc
	flat_load_dword v1, v[12:13]
.LBB6926_27:
	s_or_b64 exec, exec, s[4:5]
	s_waitcnt vmcnt(0) lgkmcnt(0)
	ds_write2st64_b32 v26, v2, v3 offset1:2
	ds_write2st64_b32 v26, v4, v5 offset0:4 offset1:6
	ds_write2st64_b32 v26, v6, v7 offset0:8 offset1:10
	;; [unrolled: 1-line block ×4, first 2 shown]
	s_waitcnt lgkmcnt(0)
	s_barrier
.LBB6926_28:
	v_mul_u32_u24_e32 v27, 10, v0
	v_lshlrev_b32_e32 v1, 2, v27
	ds_read2_b64 v[6:9], v1 offset1:1
	ds_read2_b64 v[2:5], v1 offset0:2 offset1:3
	ds_read_b64 v[18:19], v1 offset:32
	s_cmp_lg_u32 s33, 0
	v_lshrrev_b32_e32 v28, 5, v0
	v_cmp_gt_u32_e32 vcc, 64, v0
	s_waitcnt lgkmcnt(0)
	s_barrier
	s_cbranch_scc0 .LBB6926_57
; %bb.29:
	v_add_u32_e32 v10, v7, v6
	v_add3_u32 v10, v10, v8, v9
	v_add3_u32 v10, v10, v2, v3
	;; [unrolled: 1-line block ×4, first 2 shown]
	v_add_lshl_u32 v11, v28, v0, 2
	ds_write_b32 v11, v10
	s_waitcnt lgkmcnt(0)
	s_barrier
	s_and_saveexec_b64 s[24:25], vcc
	s_cbranch_execz .LBB6926_31
; %bb.30:
	v_lshlrev_b32_e32 v11, 1, v0
	v_lshrrev_b32_e32 v12, 4, v0
	v_add_lshl_u32 v11, v12, v11, 2
	ds_read2_b32 v[12:13], v11 offset1:1
	v_mbcnt_lo_u32_b32 v14, -1, 0
	v_mbcnt_hi_u32_b32 v14, -1, v14
	v_and_b32_e32 v15, 15, v14
	v_cmp_ne_u32_e64 s[4:5], 0, v15
	s_waitcnt lgkmcnt(0)
	v_add_u32_e32 v13, v13, v12
	; wave barrier
	s_nop 1
	v_mov_b32_dpp v16, v13 row_shr:1 row_mask:0xf bank_mask:0xf
	v_cndmask_b32_e64 v16, 0, v16, s[4:5]
	v_add_u32_e32 v13, v16, v13
	v_cmp_lt_u32_e64 s[4:5], 1, v15
	s_nop 0
	v_mov_b32_dpp v16, v13 row_shr:2 row_mask:0xf bank_mask:0xf
	v_cndmask_b32_e64 v16, 0, v16, s[4:5]
	v_add_u32_e32 v13, v13, v16
	v_cmp_lt_u32_e64 s[4:5], 3, v15
	;; [unrolled: 5-line block ×3, first 2 shown]
	s_nop 0
	v_mov_b32_dpp v16, v13 row_shr:8 row_mask:0xf bank_mask:0xf
	v_cndmask_b32_e64 v15, 0, v16, s[4:5]
	v_add_u32_e32 v13, v13, v15
	v_bfe_i32 v16, v14, 4, 1
	v_cmp_lt_u32_e64 s[4:5], 31, v14
	v_mov_b32_dpp v15, v13 row_bcast:15 row_mask:0xf bank_mask:0xf
	v_and_b32_e32 v15, v16, v15
	v_add_u32_e32 v13, v13, v15
	v_and_b32_e32 v16, 64, v14
	s_nop 0
	v_mov_b32_dpp v15, v13 row_bcast:31 row_mask:0xf bank_mask:0xf
	v_cndmask_b32_e64 v15, 0, v15, s[4:5]
	v_add_u32_e32 v13, v13, v15
	v_add_u32_e32 v15, -1, v14
	v_cmp_lt_i32_e64 s[4:5], v15, v16
	v_cndmask_b32_e64 v14, v15, v14, s[4:5]
	v_lshlrev_b32_e32 v14, 2, v14
	ds_bpermute_b32 v13, v14, v13
	s_waitcnt lgkmcnt(0)
	v_add_u32_e32 v12, v13, v12
	v_cndmask_b32_e64 v10, v12, v10, s[2:3]
	ds_write_b32 v11, v10
	; wave barrier
	ds_read_b32 v12, v11 offset:4
	s_waitcnt lgkmcnt(0)
	v_add_u32_e32 v10, v12, v10
	ds_write_b32 v11, v10 offset:4
.LBB6926_31:
	s_or_b64 exec, exec, s[24:25]
	v_mov_b32_e32 v22, 0
	s_waitcnt lgkmcnt(0)
	s_barrier
	s_and_saveexec_b64 s[4:5], s[0:1]
	s_cbranch_execz .LBB6926_33
; %bb.32:
	v_add_u32_e32 v10, -1, v0
	v_lshrrev_b32_e32 v11, 5, v10
	v_add_lshl_u32 v10, v11, v10, 2
	ds_read_b32 v22, v10
.LBB6926_33:
	s_or_b64 exec, exec, s[4:5]
	s_and_saveexec_b64 s[24:25], vcc
	s_cbranch_execz .LBB6926_56
; %bb.34:
	v_mov_b32_e32 v21, 0
	ds_read_b32 v10, v21 offset:520
	v_mbcnt_lo_u32_b32 v11, -1, 0
	v_mbcnt_hi_u32_b32 v13, -1, v11
	s_mov_b32 s29, 0
	v_cmp_eq_u32_e64 s[4:5], 0, v13
	s_and_saveexec_b64 s[26:27], s[4:5]
	s_cbranch_execz .LBB6926_36
; %bb.35:
	s_add_i32 s28, s33, 64
	s_lshl_b64 s[28:29], s[28:29], 3
	s_add_u32 s28, s6, s28
	v_mov_b32_e32 v11, 1
	s_addc_u32 s29, s7, s29
	s_waitcnt lgkmcnt(0)
	global_store_dwordx2 v21, v[10:11], s[28:29]
.LBB6926_36:
	s_or_b64 exec, exec, s[26:27]
	v_xad_u32 v12, v13, -1, s33
	v_add_u32_e32 v20, 64, v12
	v_lshlrev_b64 v[14:15], 3, v[20:21]
	v_mov_b32_e32 v11, s7
	v_add_co_u32_e32 v14, vcc, s6, v14
	v_addc_co_u32_e32 v15, vcc, v11, v15, vcc
	global_load_dwordx2 v[16:17], v[14:15], off glc
	s_waitcnt vmcnt(0)
	v_cmp_eq_u16_sdwa s[28:29], v17, v21 src0_sel:BYTE_0 src1_sel:DWORD
	s_and_saveexec_b64 s[26:27], s[28:29]
	s_cbranch_execz .LBB6926_42
; %bb.37:
	s_mov_b32 s34, 1
	s_mov_b64 s[28:29], 0
	v_mov_b32_e32 v11, 0
.LBB6926_38:                            ; =>This Loop Header: Depth=1
                                        ;     Child Loop BB6926_39 Depth 2
	s_max_u32 s35, s34, 1
.LBB6926_39:                            ;   Parent Loop BB6926_38 Depth=1
                                        ; =>  This Inner Loop Header: Depth=2
	s_add_i32 s35, s35, -1
	s_cmp_eq_u32 s35, 0
	s_sleep 1
	s_cbranch_scc0 .LBB6926_39
; %bb.40:                               ;   in Loop: Header=BB6926_38 Depth=1
	global_load_dwordx2 v[16:17], v[14:15], off glc
	s_cmp_lt_u32 s34, 32
	s_cselect_b64 s[36:37], -1, 0
	s_cmp_lg_u64 s[36:37], 0
	s_addc_u32 s34, s34, 0
	s_waitcnt vmcnt(0)
	v_cmp_ne_u16_sdwa s[36:37], v17, v11 src0_sel:BYTE_0 src1_sel:DWORD
	s_or_b64 s[28:29], s[36:37], s[28:29]
	s_andn2_b64 exec, exec, s[28:29]
	s_cbranch_execnz .LBB6926_38
; %bb.41:
	s_or_b64 exec, exec, s[28:29]
.LBB6926_42:
	s_or_b64 exec, exec, s[26:27]
	v_and_b32_e32 v23, 63, v13
	v_mov_b32_e32 v11, 2
	v_cmp_ne_u32_e32 vcc, 63, v23
	v_cmp_eq_u16_sdwa s[26:27], v17, v11 src0_sel:BYTE_0 src1_sel:DWORD
	v_lshlrev_b64 v[14:15], v13, -1
	v_addc_co_u32_e32 v24, vcc, 0, v13, vcc
	v_and_b32_e32 v20, s27, v15
	v_lshlrev_b32_e32 v24, 2, v24
	v_or_b32_e32 v20, 0x80000000, v20
	ds_bpermute_b32 v25, v24, v16
	v_and_b32_e32 v21, s26, v14
	v_ffbl_b32_e32 v20, v20
	v_add_u32_e32 v20, 32, v20
	v_ffbl_b32_e32 v21, v21
	v_min_u32_e32 v20, v21, v20
	v_cmp_lt_u32_e32 vcc, v23, v20
	s_waitcnt lgkmcnt(0)
	v_cndmask_b32_e32 v21, 0, v25, vcc
	v_cmp_gt_u32_e32 vcc, 62, v23
	v_add_u32_e32 v16, v21, v16
	v_cndmask_b32_e64 v21, 0, 1, vcc
	v_lshlrev_b32_e32 v21, 1, v21
	v_add_lshl_u32 v25, v21, v13, 2
	ds_bpermute_b32 v21, v25, v16
	v_add_u32_e32 v29, 2, v23
	v_cmp_le_u32_e32 vcc, v29, v20
	v_add_u32_e32 v31, 4, v23
	v_add_u32_e32 v33, 8, v23
	s_waitcnt lgkmcnt(0)
	v_cndmask_b32_e32 v21, 0, v21, vcc
	v_cmp_gt_u32_e32 vcc, 60, v23
	v_add_u32_e32 v16, v16, v21
	v_cndmask_b32_e64 v21, 0, 1, vcc
	v_lshlrev_b32_e32 v21, 2, v21
	v_add_lshl_u32 v30, v21, v13, 2
	ds_bpermute_b32 v21, v30, v16
	v_cmp_le_u32_e32 vcc, v31, v20
	v_add_u32_e32 v36, 16, v23
	v_add_u32_e32 v38, 32, v23
	s_waitcnt lgkmcnt(0)
	v_cndmask_b32_e32 v21, 0, v21, vcc
	v_cmp_gt_u32_e32 vcc, 56, v23
	v_add_u32_e32 v16, v16, v21
	v_cndmask_b32_e64 v21, 0, 1, vcc
	v_lshlrev_b32_e32 v21, 3, v21
	v_add_lshl_u32 v32, v21, v13, 2
	ds_bpermute_b32 v21, v32, v16
	v_cmp_le_u32_e32 vcc, v33, v20
	s_waitcnt lgkmcnt(0)
	v_cndmask_b32_e32 v21, 0, v21, vcc
	v_cmp_gt_u32_e32 vcc, 48, v23
	v_add_u32_e32 v16, v16, v21
	v_cndmask_b32_e64 v21, 0, 1, vcc
	v_lshlrev_b32_e32 v21, 4, v21
	v_add_lshl_u32 v35, v21, v13, 2
	ds_bpermute_b32 v21, v35, v16
	v_cmp_le_u32_e32 vcc, v36, v20
	;; [unrolled: 9-line block ×3, first 2 shown]
	s_waitcnt lgkmcnt(0)
	v_cndmask_b32_e32 v13, 0, v13, vcc
	v_add_u32_e32 v16, v16, v13
	v_mov_b32_e32 v13, 0
	s_branch .LBB6926_44
.LBB6926_43:                            ;   in Loop: Header=BB6926_44 Depth=1
	s_or_b64 exec, exec, s[26:27]
	v_cmp_eq_u16_sdwa s[26:27], v17, v11 src0_sel:BYTE_0 src1_sel:DWORD
	v_and_b32_e32 v20, s27, v15
	v_or_b32_e32 v20, 0x80000000, v20
	ds_bpermute_b32 v39, v24, v16
	v_and_b32_e32 v21, s26, v14
	v_ffbl_b32_e32 v20, v20
	v_add_u32_e32 v20, 32, v20
	v_ffbl_b32_e32 v21, v21
	v_min_u32_e32 v20, v21, v20
	v_cmp_lt_u32_e32 vcc, v23, v20
	s_waitcnt lgkmcnt(0)
	v_cndmask_b32_e32 v21, 0, v39, vcc
	v_add_u32_e32 v16, v21, v16
	ds_bpermute_b32 v21, v25, v16
	v_cmp_le_u32_e32 vcc, v29, v20
	v_subrev_u32_e32 v12, 64, v12
	s_waitcnt lgkmcnt(0)
	v_cndmask_b32_e32 v21, 0, v21, vcc
	v_add_u32_e32 v16, v16, v21
	ds_bpermute_b32 v21, v30, v16
	v_cmp_le_u32_e32 vcc, v31, v20
	s_waitcnt lgkmcnt(0)
	v_cndmask_b32_e32 v21, 0, v21, vcc
	v_add_u32_e32 v16, v16, v21
	ds_bpermute_b32 v21, v32, v16
	v_cmp_le_u32_e32 vcc, v33, v20
	;; [unrolled: 5-line block ×4, first 2 shown]
	s_waitcnt lgkmcnt(0)
	v_cndmask_b32_e32 v20, 0, v21, vcc
	v_add3_u32 v16, v20, v34, v16
.LBB6926_44:                            ; =>This Loop Header: Depth=1
                                        ;     Child Loop BB6926_47 Depth 2
                                        ;       Child Loop BB6926_48 Depth 3
	v_cmp_ne_u16_sdwa s[26:27], v17, v11 src0_sel:BYTE_0 src1_sel:DWORD
	v_cndmask_b32_e64 v17, 0, 1, s[26:27]
	;;#ASMSTART
	;;#ASMEND
	v_cmp_ne_u32_e32 vcc, 0, v17
	s_cmp_lg_u64 vcc, exec
	v_mov_b32_e32 v34, v16
	s_cbranch_scc1 .LBB6926_51
; %bb.45:                               ;   in Loop: Header=BB6926_44 Depth=1
	v_lshlrev_b64 v[16:17], 3, v[12:13]
	v_mov_b32_e32 v21, s7
	v_add_co_u32_e32 v20, vcc, s6, v16
	v_addc_co_u32_e32 v21, vcc, v21, v17, vcc
	global_load_dwordx2 v[16:17], v[20:21], off glc
	s_waitcnt vmcnt(0)
	v_cmp_eq_u16_sdwa s[28:29], v17, v13 src0_sel:BYTE_0 src1_sel:DWORD
	s_and_saveexec_b64 s[26:27], s[28:29]
	s_cbranch_execz .LBB6926_43
; %bb.46:                               ;   in Loop: Header=BB6926_44 Depth=1
	s_mov_b32 s34, 1
	s_mov_b64 s[28:29], 0
.LBB6926_47:                            ;   Parent Loop BB6926_44 Depth=1
                                        ; =>  This Loop Header: Depth=2
                                        ;       Child Loop BB6926_48 Depth 3
	s_max_u32 s35, s34, 1
.LBB6926_48:                            ;   Parent Loop BB6926_44 Depth=1
                                        ;     Parent Loop BB6926_47 Depth=2
                                        ; =>    This Inner Loop Header: Depth=3
	s_add_i32 s35, s35, -1
	s_cmp_eq_u32 s35, 0
	s_sleep 1
	s_cbranch_scc0 .LBB6926_48
; %bb.49:                               ;   in Loop: Header=BB6926_47 Depth=2
	global_load_dwordx2 v[16:17], v[20:21], off glc
	s_cmp_lt_u32 s34, 32
	s_cselect_b64 s[36:37], -1, 0
	s_cmp_lg_u64 s[36:37], 0
	s_addc_u32 s34, s34, 0
	s_waitcnt vmcnt(0)
	v_cmp_ne_u16_sdwa s[36:37], v17, v13 src0_sel:BYTE_0 src1_sel:DWORD
	s_or_b64 s[28:29], s[36:37], s[28:29]
	s_andn2_b64 exec, exec, s[28:29]
	s_cbranch_execnz .LBB6926_47
; %bb.50:                               ;   in Loop: Header=BB6926_44 Depth=1
	s_or_b64 exec, exec, s[28:29]
	s_branch .LBB6926_43
.LBB6926_51:                            ;   in Loop: Header=BB6926_44 Depth=1
                                        ; implicit-def: $vgpr16
                                        ; implicit-def: $vgpr17
	s_cbranch_execz .LBB6926_44
; %bb.52:
	s_and_saveexec_b64 s[26:27], s[4:5]
	s_cbranch_execz .LBB6926_54
; %bb.53:
	s_add_i32 s4, s33, 64
	s_mov_b32 s5, 0
	s_lshl_b64 s[4:5], s[4:5], 3
	s_add_u32 s4, s6, s4
	v_add_u32_e32 v10, v34, v10
	v_mov_b32_e32 v11, 2
	s_addc_u32 s5, s7, s5
	v_mov_b32_e32 v12, 0
	global_store_dwordx2 v12, v[10:11], s[4:5]
.LBB6926_54:
	s_or_b64 exec, exec, s[26:27]
	s_and_b64 exec, exec, s[2:3]
	s_cbranch_execz .LBB6926_56
; %bb.55:
	v_mov_b32_e32 v10, 0
	ds_write_b32 v10, v34
.LBB6926_56:
	s_or_b64 exec, exec, s[24:25]
	v_mov_b32_e32 v10, 0
	s_waitcnt lgkmcnt(0)
	s_barrier
	ds_read_b32 v10, v10
	s_waitcnt lgkmcnt(0)
	v_add3_u32 v10, v22, v6, v10
	v_add_u32_e32 v11, v10, v7
	v_add_u32_e32 v20, v11, v8
	;; [unrolled: 1-line block ×9, first 2 shown]
	s_branch .LBB6926_69
.LBB6926_57:
                                        ; implicit-def: $vgpr24_vgpr25
                                        ; implicit-def: $vgpr22_vgpr23
                                        ; implicit-def: $vgpr20_vgpr21
                                        ; implicit-def: $vgpr14_vgpr15_vgpr16_vgpr17
                                        ; implicit-def: $vgpr10_vgpr11_vgpr12_vgpr13
	s_cbranch_execz .LBB6926_69
; %bb.58:
	s_cmp_lg_u64 s[12:13], 0
	s_cselect_b64 s[4:5], -1, 0
	s_and_b64 s[12:13], s[2:3], s[4:5]
	s_and_saveexec_b64 s[4:5], s[12:13]
	s_cbranch_execz .LBB6926_60
; %bb.59:
	v_mov_b32_e32 v10, 0
	global_load_dword v10, v10, s[8:9]
	s_waitcnt vmcnt(0)
	v_add_u32_e32 v6, v10, v6
.LBB6926_60:
	s_or_b64 exec, exec, s[4:5]
	v_add_u32_e32 v11, v6, v7
	v_add_u32_e32 v20, v11, v8
	;; [unrolled: 1-line block ×9, first 2 shown]
	v_add_lshl_u32 v10, v28, v0, 2
	v_cmp_gt_u32_e32 vcc, 64, v0
	ds_write_b32 v10, v25
	s_waitcnt lgkmcnt(0)
	s_barrier
	s_and_saveexec_b64 s[4:5], vcc
	s_cbranch_execz .LBB6926_62
; %bb.61:
	v_lshlrev_b32_e32 v10, 1, v0
	v_lshrrev_b32_e32 v12, 4, v0
	v_add_lshl_u32 v10, v12, v10, 2
	ds_read2_b32 v[12:13], v10 offset1:1
	v_mbcnt_lo_u32_b32 v16, -1, 0
	v_mbcnt_hi_u32_b32 v16, -1, v16
	v_and_b32_e32 v17, 15, v16
	v_cmp_ne_u32_e32 vcc, 0, v17
	s_waitcnt lgkmcnt(0)
	v_add_u32_e32 v13, v13, v12
	; wave barrier
	s_nop 1
	v_mov_b32_dpp v28, v13 row_shr:1 row_mask:0xf bank_mask:0xf
	v_cndmask_b32_e32 v28, 0, v28, vcc
	v_add_u32_e32 v13, v28, v13
	v_cmp_lt_u32_e32 vcc, 1, v17
	s_nop 0
	v_mov_b32_dpp v28, v13 row_shr:2 row_mask:0xf bank_mask:0xf
	v_cndmask_b32_e32 v28, 0, v28, vcc
	v_add_u32_e32 v13, v13, v28
	v_cmp_lt_u32_e32 vcc, 3, v17
	;; [unrolled: 5-line block ×3, first 2 shown]
	s_nop 0
	v_mov_b32_dpp v28, v13 row_shr:8 row_mask:0xf bank_mask:0xf
	v_cndmask_b32_e32 v17, 0, v28, vcc
	v_add_u32_e32 v13, v13, v17
	v_bfe_i32 v28, v16, 4, 1
	v_cmp_lt_u32_e32 vcc, 31, v16
	v_mov_b32_dpp v17, v13 row_bcast:15 row_mask:0xf bank_mask:0xf
	v_and_b32_e32 v17, v28, v17
	v_add_u32_e32 v13, v13, v17
	v_and_b32_e32 v28, 64, v16
	s_nop 0
	v_mov_b32_dpp v17, v13 row_bcast:31 row_mask:0xf bank_mask:0xf
	v_cndmask_b32_e32 v17, 0, v17, vcc
	v_add_u32_e32 v13, v13, v17
	v_add_u32_e32 v17, -1, v16
	v_cmp_lt_i32_e32 vcc, v17, v28
	v_cndmask_b32_e32 v16, v17, v16, vcc
	v_lshlrev_b32_e32 v16, 2, v16
	ds_bpermute_b32 v13, v16, v13
	s_waitcnt lgkmcnt(0)
	v_add_u32_e32 v12, v13, v12
	v_cndmask_b32_e64 v12, v12, v25, s[2:3]
	ds_write_b32 v10, v12
	; wave barrier
	ds_read_b32 v13, v10 offset:4
	s_waitcnt lgkmcnt(0)
	v_add_u32_e32 v12, v13, v12
	ds_write_b32 v10, v12 offset:4
.LBB6926_62:
	s_or_b64 exec, exec, s[4:5]
	v_mov_b32_e32 v12, v25
	s_waitcnt lgkmcnt(0)
	s_barrier
	s_and_saveexec_b64 s[2:3], s[0:1]
	s_cbranch_execz .LBB6926_64
; %bb.63:
	v_add_u32_e32 v10, -1, v0
	v_lshrrev_b32_e32 v12, 5, v10
	v_add_lshl_u32 v10, v12, v10, 2
	ds_read_b32 v12, v10
.LBB6926_64:
	s_or_b64 exec, exec, s[2:3]
	v_mov_b32_e32 v10, v6
	s_and_saveexec_b64 s[2:3], s[0:1]
	s_cbranch_execz .LBB6926_66
; %bb.65:
	s_waitcnt lgkmcnt(0)
	v_add_u32_e32 v10, v12, v6
	v_add_u32_e32 v11, v10, v7
	;; [unrolled: 1-line block ×10, first 2 shown]
	;;#ASMSTART
	;;#ASMEND
.LBB6926_66:
	s_or_b64 exec, exec, s[2:3]
	s_movk_i32 s0, 0x7f
	v_cmp_eq_u32_e32 vcc, s0, v0
	s_and_saveexec_b64 s[0:1], vcc
	s_cbranch_execz .LBB6926_68
; %bb.67:
	v_mov_b32_e32 v4, 0
	v_mov_b32_e32 v3, 2
	v_mov_b32_e32 v2, v25
	global_store_dwordx2 v4, v[2:3], s[6:7] offset:512
.LBB6926_68:
	s_or_b64 exec, exec, s[0:1]
.LBB6926_69:
	s_add_u32 s0, s20, s18
	s_addc_u32 s1, s21, s19
	s_add_u32 s2, s0, s22
	s_addc_u32 s3, s1, s23
	s_mov_b64 s[0:1], -1
	s_and_b64 vcc, exec, s[16:17]
	s_waitcnt lgkmcnt(0)
	s_barrier
	s_cbranch_vccz .LBB6926_71
; %bb.70:
	ds_write2_b64 v1, v[10:11], v[20:21] offset1:1
	ds_write2_b64 v1, v[14:15], v[22:23] offset0:2 offset1:3
	ds_write_b64 v1, v[24:25] offset:32
	s_waitcnt lgkmcnt(0)
	s_barrier
	ds_read2st64_b32 v[2:3], v26 offset1:2
	ds_read2st64_b32 v[4:5], v26 offset0:4 offset1:6
	ds_read2st64_b32 v[6:7], v26 offset0:8 offset1:10
	;; [unrolled: 1-line block ×4, first 2 shown]
	v_mov_b32_e32 v17, s3
	v_add_co_u32_e32 v16, vcc, s2, v26
	v_addc_co_u32_e32 v17, vcc, 0, v17, vcc
	s_waitcnt lgkmcnt(4)
	flat_store_dword v[16:17], v2
	flat_store_dword v[16:17], v3 offset:512
	s_waitcnt lgkmcnt(0)
	flat_store_dword v[16:17], v4 offset:1024
	flat_store_dword v[16:17], v5 offset:1536
	;; [unrolled: 1-line block ×6, first 2 shown]
	v_add_co_u32_e32 v2, vcc, 0x1000, v16
	v_addc_co_u32_e32 v3, vcc, 0, v17, vcc
	flat_store_dword v[2:3], v12
	flat_store_dword v[2:3], v13 offset:512
	s_mov_b64 s[0:1], 0
.LBB6926_71:
	s_andn2_b64 vcc, exec, s[0:1]
	s_cbranch_vccnz .LBB6926_127
; %bb.72:
	ds_write2_b64 v1, v[10:11], v[20:21] offset1:1
	ds_write2_b64 v1, v[14:15], v[22:23] offset0:2 offset1:3
	ds_write_b64 v1, v[24:25] offset:32
	s_waitcnt lgkmcnt(0)
	s_barrier
	ds_read2st64_b32 v[2:3], v26 offset1:2
	ds_read2st64_b32 v[6:7], v26 offset0:4 offset1:6
	ds_read2st64_b32 v[4:5], v26 offset0:8 offset1:10
	;; [unrolled: 1-line block ×4, first 2 shown]
	v_mov_b32_e32 v13, s3
	v_add_co_u32_e32 v12, vcc, s2, v26
	v_addc_co_u32_e32 v13, vcc, 0, v13, vcc
	v_mov_b32_e32 v1, 0
	v_cmp_gt_u32_e32 vcc, s30, v0
	s_and_saveexec_b64 s[0:1], vcc
	s_cbranch_execz .LBB6926_74
; %bb.73:
	s_waitcnt lgkmcnt(0)
	flat_store_dword v[12:13], v2
.LBB6926_74:
	s_or_b64 exec, exec, s[0:1]
	v_or_b32_e32 v14, 0x80, v0
	v_cmp_gt_u32_e32 vcc, s30, v14
	s_and_saveexec_b64 s[0:1], vcc
	s_cbranch_execz .LBB6926_76
; %bb.75:
	s_waitcnt lgkmcnt(0)
	flat_store_dword v[12:13], v3 offset:512
.LBB6926_76:
	s_or_b64 exec, exec, s[0:1]
	v_or_b32_e32 v14, 0x100, v0
	v_cmp_gt_u32_e32 vcc, s30, v14
	s_and_saveexec_b64 s[0:1], vcc
	s_cbranch_execz .LBB6926_78
; %bb.77:
	s_waitcnt lgkmcnt(0)
	flat_store_dword v[12:13], v6 offset:1024
.LBB6926_78:
	;; [unrolled: 9-line block ×7, first 2 shown]
	s_or_b64 exec, exec, s[0:1]
	v_or_b32_e32 v14, 0x400, v0
	v_cmp_gt_u32_e32 vcc, s30, v14
	s_and_saveexec_b64 s[0:1], vcc
	s_cbranch_execz .LBB6926_90
; %bb.89:
	v_add_co_u32_e32 v14, vcc, 0x1000, v12
	v_addc_co_u32_e32 v15, vcc, 0, v13, vcc
	s_waitcnt lgkmcnt(0)
	flat_store_dword v[14:15], v10
.LBB6926_90:
	s_or_b64 exec, exec, s[0:1]
	v_or_b32_e32 v14, 0x480, v0
	v_cmp_gt_u32_e32 vcc, s30, v14
	s_and_saveexec_b64 s[0:1], vcc
	s_cbranch_execz .LBB6926_92
; %bb.91:
	v_add_co_u32_e32 v12, vcc, 0x1000, v12
	v_addc_co_u32_e32 v13, vcc, 0, v13, vcc
	s_waitcnt lgkmcnt(0)
	flat_store_dword v[12:13], v11 offset:512
.LBB6926_92:
	s_or_b64 exec, exec, s[0:1]
	v_cmp_lt_u64_e64 s[0:1], s[14:15], 2
	s_and_b64 vcc, exec, s[0:1]
	s_cbranch_vccnz .LBB6926_127
; %bb.93:
	s_add_u32 s0, s30, -1
	s_addc_u32 s1, s31, -1
	s_add_u32 s2, 0, 0x99986000
	s_addc_u32 s3, 0, 0x59
	s_add_i32 s3, s3, 0x19999940
	s_mul_hi_u32 s7, s2, -10
	s_sub_i32 s7, s7, s2
	s_mul_i32 s8, s3, -10
	s_mul_i32 s4, s2, -10
	s_add_i32 s7, s7, s8
	s_mul_hi_u32 s5, s3, s4
	s_mul_i32 s6, s3, s4
	s_mul_i32 s9, s2, s7
	s_mul_hi_u32 s4, s2, s4
	s_mul_hi_u32 s8, s2, s7
	s_add_u32 s4, s4, s9
	s_addc_u32 s8, 0, s8
	s_add_u32 s4, s4, s6
	s_mul_hi_u32 s9, s3, s7
	s_addc_u32 s4, s8, s5
	s_addc_u32 s5, s9, 0
	s_mul_i32 s6, s3, s7
	s_add_u32 s4, s4, s6
	v_mov_b32_e32 v12, s4
	s_addc_u32 s5, 0, s5
	v_add_co_u32_e32 v12, vcc, s2, v12
	s_cmp_lg_u64 vcc, 0
	s_addc_u32 s2, s3, s5
	v_readfirstlane_b32 s5, v12
	s_mul_i32 s4, s0, s2
	s_mul_hi_u32 s6, s0, s5
	s_mul_hi_u32 s3, s0, s2
	s_add_u32 s4, s6, s4
	s_addc_u32 s3, 0, s3
	s_mul_hi_u32 s7, s1, s5
	s_mul_i32 s5, s1, s5
	s_add_u32 s4, s4, s5
	s_mul_hi_u32 s6, s1, s2
	s_addc_u32 s3, s3, s7
	s_addc_u32 s4, s6, 0
	s_mul_i32 s2, s1, s2
	s_add_u32 s2, s3, s2
	s_addc_u32 s3, 0, s4
	s_add_u32 s4, s2, 1
	s_addc_u32 s5, s3, 0
	s_add_u32 s6, s2, 2
	s_mul_i32 s8, s3, 10
	s_mul_hi_u32 s9, s2, 10
	s_addc_u32 s7, s3, 0
	s_add_i32 s9, s9, s8
	s_mul_i32 s8, s2, 10
	v_mov_b32_e32 v12, s8
	v_sub_co_u32_e32 v12, vcc, s0, v12
	s_cmp_lg_u64 vcc, 0
	s_subb_u32 s8, s1, s9
	v_subrev_co_u32_e32 v13, vcc, 10, v12
	s_cmp_lg_u64 vcc, 0
	s_subb_u32 s9, s8, 0
	v_readfirstlane_b32 s12, v13
	s_cmp_gt_u32 s12, 9
	s_cselect_b32 s12, -1, 0
	s_cmp_eq_u32 s9, 0
	s_cselect_b32 s9, s12, -1
	s_cmp_lg_u32 s9, 0
	s_cselect_b32 s4, s6, s4
	v_readfirstlane_b32 s6, v12
	s_cselect_b32 s5, s7, s5
	s_cmp_gt_u32 s6, 9
	s_cselect_b32 s6, -1, 0
	s_cmp_eq_u32 s8, 0
	s_cselect_b32 s6, s6, -1
	s_cmp_lg_u32 s6, 0
	s_cselect_b32 s3, s5, s3
	s_cselect_b32 s2, s4, s2
	v_cmp_eq_u64_e32 vcc, s[2:3], v[0:1]
	s_and_saveexec_b64 s[2:3], vcc
	s_cbranch_execz .LBB6926_127
; %bb.94:
	v_mul_hi_u32_u24_e32 v1, 10, v0
	v_mov_b32_e32 v12, s1
	v_sub_co_u32_e32 v0, vcc, s0, v27
	v_subb_co_u32_e32 v1, vcc, v12, v1, vcc
	v_cmp_lt_i64_e32 vcc, 4, v[0:1]
	s_and_saveexec_b64 s[0:1], vcc
	s_xor_b64 s[0:1], exec, s[0:1]
	s_cbranch_execz .LBB6926_112
; %bb.95:
	v_cmp_lt_i64_e32 vcc, 6, v[0:1]
	s_and_saveexec_b64 s[2:3], vcc
	s_xor_b64 s[2:3], exec, s[2:3]
	s_cbranch_execz .LBB6926_105
; %bb.96:
	;; [unrolled: 5-line block ×4, first 2 shown]
	v_mov_b32_e32 v0, 0
	s_waitcnt lgkmcnt(0)
	global_store_dword v0, v11, s[10:11]
                                        ; implicit-def: $vgpr10_vgpr11
.LBB6926_99:
	s_andn2_saveexec_b64 s[6:7], s[6:7]
	s_cbranch_execz .LBB6926_101
; %bb.100:
	v_mov_b32_e32 v0, 0
	s_waitcnt lgkmcnt(0)
	global_store_dword v0, v10, s[10:11]
.LBB6926_101:
	s_or_b64 exec, exec, s[6:7]
                                        ; implicit-def: $vgpr8_vgpr9
.LBB6926_102:
	s_andn2_saveexec_b64 s[4:5], s[4:5]
	s_cbranch_execz .LBB6926_104
; %bb.103:
	v_mov_b32_e32 v0, 0
	s_waitcnt lgkmcnt(0)
	global_store_dword v0, v9, s[10:11]
.LBB6926_104:
	s_or_b64 exec, exec, s[4:5]
                                        ; implicit-def: $vgpr4_vgpr5
                                        ; implicit-def: $vgpr0_vgpr1
                                        ; implicit-def: $vgpr8_vgpr9
.LBB6926_105:
	s_andn2_saveexec_b64 s[2:3], s[2:3]
	s_cbranch_execz .LBB6926_111
; %bb.106:
	v_cmp_lt_i64_e32 vcc, 5, v[0:1]
	s_and_saveexec_b64 s[4:5], vcc
	s_xor_b64 s[4:5], exec, s[4:5]
	s_cbranch_execz .LBB6926_108
; %bb.107:
	v_mov_b32_e32 v0, 0
	s_waitcnt lgkmcnt(0)
	global_store_dword v0, v8, s[10:11]
                                        ; implicit-def: $vgpr4_vgpr5
.LBB6926_108:
	s_andn2_saveexec_b64 s[4:5], s[4:5]
	s_cbranch_execz .LBB6926_110
; %bb.109:
	v_mov_b32_e32 v0, 0
	s_waitcnt lgkmcnt(0)
	global_store_dword v0, v5, s[10:11]
.LBB6926_110:
	s_or_b64 exec, exec, s[4:5]
.LBB6926_111:
	s_or_b64 exec, exec, s[2:3]
                                        ; implicit-def: $vgpr0_vgpr1
                                        ; implicit-def: $vgpr6_vgpr7
                                        ; implicit-def: $vgpr2_vgpr3
                                        ; implicit-def: $vgpr4_vgpr5
.LBB6926_112:
	s_andn2_saveexec_b64 s[0:1], s[0:1]
	s_cbranch_execz .LBB6926_127
; %bb.113:
	v_cmp_lt_i64_e32 vcc, 2, v[0:1]
	s_and_saveexec_b64 s[0:1], vcc
	s_xor_b64 s[0:1], exec, s[0:1]
	s_cbranch_execz .LBB6926_119
; %bb.114:
	v_cmp_lt_i64_e32 vcc, 3, v[0:1]
	s_and_saveexec_b64 s[2:3], vcc
	s_xor_b64 s[2:3], exec, s[2:3]
	s_cbranch_execz .LBB6926_116
; %bb.115:
	v_mov_b32_e32 v0, 0
	s_waitcnt lgkmcnt(0)
	global_store_dword v0, v4, s[10:11]
                                        ; implicit-def: $vgpr6_vgpr7
.LBB6926_116:
	s_andn2_saveexec_b64 s[2:3], s[2:3]
	s_cbranch_execz .LBB6926_118
; %bb.117:
	v_mov_b32_e32 v0, 0
	s_waitcnt lgkmcnt(0)
	global_store_dword v0, v7, s[10:11]
.LBB6926_118:
	s_or_b64 exec, exec, s[2:3]
                                        ; implicit-def: $vgpr0_vgpr1
                                        ; implicit-def: $vgpr6_vgpr7
                                        ; implicit-def: $vgpr2_vgpr3
.LBB6926_119:
	s_andn2_saveexec_b64 s[0:1], s[0:1]
	s_cbranch_execz .LBB6926_127
; %bb.120:
	v_cmp_lt_i64_e32 vcc, 1, v[0:1]
	s_and_saveexec_b64 s[0:1], vcc
	s_xor_b64 s[0:1], exec, s[0:1]
	s_cbranch_execz .LBB6926_122
; %bb.121:
	v_mov_b32_e32 v0, 0
	s_waitcnt lgkmcnt(0)
	global_store_dword v0, v6, s[10:11]
                                        ; implicit-def: $vgpr2_vgpr3
                                        ; implicit-def: $vgpr0_vgpr1
.LBB6926_122:
	s_andn2_saveexec_b64 s[0:1], s[0:1]
	s_cbranch_execz .LBB6926_127
; %bb.123:
	v_cmp_ne_u64_e32 vcc, 1, v[0:1]
	s_and_saveexec_b64 s[0:1], vcc
	s_xor_b64 s[0:1], exec, s[0:1]
	s_cbranch_execz .LBB6926_125
; %bb.124:
	v_mov_b32_e32 v0, 0
	s_waitcnt lgkmcnt(0)
	global_store_dword v0, v2, s[10:11]
                                        ; implicit-def: $vgpr2_vgpr3
.LBB6926_125:
	s_andn2_saveexec_b64 s[0:1], s[0:1]
	s_cbranch_execz .LBB6926_127
; %bb.126:
	v_mov_b32_e32 v0, 0
	s_waitcnt lgkmcnt(0)
	global_store_dword v0, v3, s[10:11]
.LBB6926_127:
	s_endpgm
	.section	.rodata,"a",@progbits
	.p2align	6, 0x0
	.amdhsa_kernel _ZN7rocprim17ROCPRIM_400000_NS6detail17trampoline_kernelINS0_14default_configENS1_20scan_config_selectorI3IntEEZZNS1_9scan_implILNS1_25lookback_scan_determinismE0ELb0ELb0ES3_N6thrust23THRUST_200600_302600_NS6detail15normal_iteratorINSA_10device_ptrIKS5_EEEENSC_INSD_IS5_EEEES5_NSA_4plusIvEES5_EEDaPvRmT3_T4_T5_mT6_P12ihipStream_tbENKUlT_T0_E_clISt17integral_constantIbLb1EESY_EEDaST_SU_EUlST_E_NS1_11comp_targetILNS1_3genE4ELNS1_11target_archE910ELNS1_3gpuE8ELNS1_3repE0EEENS1_30default_config_static_selectorELNS0_4arch9wavefront6targetE1EEEvT1_
		.amdhsa_group_segment_fixed_size 5120
		.amdhsa_private_segment_fixed_size 0
		.amdhsa_kernarg_size 96
		.amdhsa_user_sgpr_count 6
		.amdhsa_user_sgpr_private_segment_buffer 1
		.amdhsa_user_sgpr_dispatch_ptr 0
		.amdhsa_user_sgpr_queue_ptr 0
		.amdhsa_user_sgpr_kernarg_segment_ptr 1
		.amdhsa_user_sgpr_dispatch_id 0
		.amdhsa_user_sgpr_flat_scratch_init 0
		.amdhsa_user_sgpr_kernarg_preload_length 0
		.amdhsa_user_sgpr_kernarg_preload_offset 0
		.amdhsa_user_sgpr_private_segment_size 0
		.amdhsa_uses_dynamic_stack 0
		.amdhsa_system_sgpr_private_segment_wavefront_offset 0
		.amdhsa_system_sgpr_workgroup_id_x 1
		.amdhsa_system_sgpr_workgroup_id_y 0
		.amdhsa_system_sgpr_workgroup_id_z 0
		.amdhsa_system_sgpr_workgroup_info 0
		.amdhsa_system_vgpr_workitem_id 0
		.amdhsa_next_free_vgpr 40
		.amdhsa_next_free_sgpr 38
		.amdhsa_accum_offset 40
		.amdhsa_reserve_vcc 1
		.amdhsa_reserve_flat_scratch 0
		.amdhsa_float_round_mode_32 0
		.amdhsa_float_round_mode_16_64 0
		.amdhsa_float_denorm_mode_32 3
		.amdhsa_float_denorm_mode_16_64 3
		.amdhsa_dx10_clamp 1
		.amdhsa_ieee_mode 1
		.amdhsa_fp16_overflow 0
		.amdhsa_tg_split 0
		.amdhsa_exception_fp_ieee_invalid_op 0
		.amdhsa_exception_fp_denorm_src 0
		.amdhsa_exception_fp_ieee_div_zero 0
		.amdhsa_exception_fp_ieee_overflow 0
		.amdhsa_exception_fp_ieee_underflow 0
		.amdhsa_exception_fp_ieee_inexact 0
		.amdhsa_exception_int_div_zero 0
	.end_amdhsa_kernel
	.section	.text._ZN7rocprim17ROCPRIM_400000_NS6detail17trampoline_kernelINS0_14default_configENS1_20scan_config_selectorI3IntEEZZNS1_9scan_implILNS1_25lookback_scan_determinismE0ELb0ELb0ES3_N6thrust23THRUST_200600_302600_NS6detail15normal_iteratorINSA_10device_ptrIKS5_EEEENSC_INSD_IS5_EEEES5_NSA_4plusIvEES5_EEDaPvRmT3_T4_T5_mT6_P12ihipStream_tbENKUlT_T0_E_clISt17integral_constantIbLb1EESY_EEDaST_SU_EUlST_E_NS1_11comp_targetILNS1_3genE4ELNS1_11target_archE910ELNS1_3gpuE8ELNS1_3repE0EEENS1_30default_config_static_selectorELNS0_4arch9wavefront6targetE1EEEvT1_,"axG",@progbits,_ZN7rocprim17ROCPRIM_400000_NS6detail17trampoline_kernelINS0_14default_configENS1_20scan_config_selectorI3IntEEZZNS1_9scan_implILNS1_25lookback_scan_determinismE0ELb0ELb0ES3_N6thrust23THRUST_200600_302600_NS6detail15normal_iteratorINSA_10device_ptrIKS5_EEEENSC_INSD_IS5_EEEES5_NSA_4plusIvEES5_EEDaPvRmT3_T4_T5_mT6_P12ihipStream_tbENKUlT_T0_E_clISt17integral_constantIbLb1EESY_EEDaST_SU_EUlST_E_NS1_11comp_targetILNS1_3genE4ELNS1_11target_archE910ELNS1_3gpuE8ELNS1_3repE0EEENS1_30default_config_static_selectorELNS0_4arch9wavefront6targetE1EEEvT1_,comdat
.Lfunc_end6926:
	.size	_ZN7rocprim17ROCPRIM_400000_NS6detail17trampoline_kernelINS0_14default_configENS1_20scan_config_selectorI3IntEEZZNS1_9scan_implILNS1_25lookback_scan_determinismE0ELb0ELb0ES3_N6thrust23THRUST_200600_302600_NS6detail15normal_iteratorINSA_10device_ptrIKS5_EEEENSC_INSD_IS5_EEEES5_NSA_4plusIvEES5_EEDaPvRmT3_T4_T5_mT6_P12ihipStream_tbENKUlT_T0_E_clISt17integral_constantIbLb1EESY_EEDaST_SU_EUlST_E_NS1_11comp_targetILNS1_3genE4ELNS1_11target_archE910ELNS1_3gpuE8ELNS1_3repE0EEENS1_30default_config_static_selectorELNS0_4arch9wavefront6targetE1EEEvT1_, .Lfunc_end6926-_ZN7rocprim17ROCPRIM_400000_NS6detail17trampoline_kernelINS0_14default_configENS1_20scan_config_selectorI3IntEEZZNS1_9scan_implILNS1_25lookback_scan_determinismE0ELb0ELb0ES3_N6thrust23THRUST_200600_302600_NS6detail15normal_iteratorINSA_10device_ptrIKS5_EEEENSC_INSD_IS5_EEEES5_NSA_4plusIvEES5_EEDaPvRmT3_T4_T5_mT6_P12ihipStream_tbENKUlT_T0_E_clISt17integral_constantIbLb1EESY_EEDaST_SU_EUlST_E_NS1_11comp_targetILNS1_3genE4ELNS1_11target_archE910ELNS1_3gpuE8ELNS1_3repE0EEENS1_30default_config_static_selectorELNS0_4arch9wavefront6targetE1EEEvT1_
                                        ; -- End function
	.section	.AMDGPU.csdata,"",@progbits
; Kernel info:
; codeLenInByte = 4584
; NumSgprs: 42
; NumVgprs: 40
; NumAgprs: 0
; TotalNumVgprs: 40
; ScratchSize: 0
; MemoryBound: 0
; FloatMode: 240
; IeeeMode: 1
; LDSByteSize: 5120 bytes/workgroup (compile time only)
; SGPRBlocks: 5
; VGPRBlocks: 4
; NumSGPRsForWavesPerEU: 42
; NumVGPRsForWavesPerEU: 40
; AccumOffset: 40
; Occupancy: 6
; WaveLimiterHint : 1
; COMPUTE_PGM_RSRC2:SCRATCH_EN: 0
; COMPUTE_PGM_RSRC2:USER_SGPR: 6
; COMPUTE_PGM_RSRC2:TRAP_HANDLER: 0
; COMPUTE_PGM_RSRC2:TGID_X_EN: 1
; COMPUTE_PGM_RSRC2:TGID_Y_EN: 0
; COMPUTE_PGM_RSRC2:TGID_Z_EN: 0
; COMPUTE_PGM_RSRC2:TIDIG_COMP_CNT: 0
; COMPUTE_PGM_RSRC3_GFX90A:ACCUM_OFFSET: 9
; COMPUTE_PGM_RSRC3_GFX90A:TG_SPLIT: 0
	.section	.text._ZN7rocprim17ROCPRIM_400000_NS6detail17trampoline_kernelINS0_14default_configENS1_20scan_config_selectorI3IntEEZZNS1_9scan_implILNS1_25lookback_scan_determinismE0ELb0ELb0ES3_N6thrust23THRUST_200600_302600_NS6detail15normal_iteratorINSA_10device_ptrIKS5_EEEENSC_INSD_IS5_EEEES5_NSA_4plusIvEES5_EEDaPvRmT3_T4_T5_mT6_P12ihipStream_tbENKUlT_T0_E_clISt17integral_constantIbLb1EESY_EEDaST_SU_EUlST_E_NS1_11comp_targetILNS1_3genE3ELNS1_11target_archE908ELNS1_3gpuE7ELNS1_3repE0EEENS1_30default_config_static_selectorELNS0_4arch9wavefront6targetE1EEEvT1_,"axG",@progbits,_ZN7rocprim17ROCPRIM_400000_NS6detail17trampoline_kernelINS0_14default_configENS1_20scan_config_selectorI3IntEEZZNS1_9scan_implILNS1_25lookback_scan_determinismE0ELb0ELb0ES3_N6thrust23THRUST_200600_302600_NS6detail15normal_iteratorINSA_10device_ptrIKS5_EEEENSC_INSD_IS5_EEEES5_NSA_4plusIvEES5_EEDaPvRmT3_T4_T5_mT6_P12ihipStream_tbENKUlT_T0_E_clISt17integral_constantIbLb1EESY_EEDaST_SU_EUlST_E_NS1_11comp_targetILNS1_3genE3ELNS1_11target_archE908ELNS1_3gpuE7ELNS1_3repE0EEENS1_30default_config_static_selectorELNS0_4arch9wavefront6targetE1EEEvT1_,comdat
	.protected	_ZN7rocprim17ROCPRIM_400000_NS6detail17trampoline_kernelINS0_14default_configENS1_20scan_config_selectorI3IntEEZZNS1_9scan_implILNS1_25lookback_scan_determinismE0ELb0ELb0ES3_N6thrust23THRUST_200600_302600_NS6detail15normal_iteratorINSA_10device_ptrIKS5_EEEENSC_INSD_IS5_EEEES5_NSA_4plusIvEES5_EEDaPvRmT3_T4_T5_mT6_P12ihipStream_tbENKUlT_T0_E_clISt17integral_constantIbLb1EESY_EEDaST_SU_EUlST_E_NS1_11comp_targetILNS1_3genE3ELNS1_11target_archE908ELNS1_3gpuE7ELNS1_3repE0EEENS1_30default_config_static_selectorELNS0_4arch9wavefront6targetE1EEEvT1_ ; -- Begin function _ZN7rocprim17ROCPRIM_400000_NS6detail17trampoline_kernelINS0_14default_configENS1_20scan_config_selectorI3IntEEZZNS1_9scan_implILNS1_25lookback_scan_determinismE0ELb0ELb0ES3_N6thrust23THRUST_200600_302600_NS6detail15normal_iteratorINSA_10device_ptrIKS5_EEEENSC_INSD_IS5_EEEES5_NSA_4plusIvEES5_EEDaPvRmT3_T4_T5_mT6_P12ihipStream_tbENKUlT_T0_E_clISt17integral_constantIbLb1EESY_EEDaST_SU_EUlST_E_NS1_11comp_targetILNS1_3genE3ELNS1_11target_archE908ELNS1_3gpuE7ELNS1_3repE0EEENS1_30default_config_static_selectorELNS0_4arch9wavefront6targetE1EEEvT1_
	.globl	_ZN7rocprim17ROCPRIM_400000_NS6detail17trampoline_kernelINS0_14default_configENS1_20scan_config_selectorI3IntEEZZNS1_9scan_implILNS1_25lookback_scan_determinismE0ELb0ELb0ES3_N6thrust23THRUST_200600_302600_NS6detail15normal_iteratorINSA_10device_ptrIKS5_EEEENSC_INSD_IS5_EEEES5_NSA_4plusIvEES5_EEDaPvRmT3_T4_T5_mT6_P12ihipStream_tbENKUlT_T0_E_clISt17integral_constantIbLb1EESY_EEDaST_SU_EUlST_E_NS1_11comp_targetILNS1_3genE3ELNS1_11target_archE908ELNS1_3gpuE7ELNS1_3repE0EEENS1_30default_config_static_selectorELNS0_4arch9wavefront6targetE1EEEvT1_
	.p2align	8
	.type	_ZN7rocprim17ROCPRIM_400000_NS6detail17trampoline_kernelINS0_14default_configENS1_20scan_config_selectorI3IntEEZZNS1_9scan_implILNS1_25lookback_scan_determinismE0ELb0ELb0ES3_N6thrust23THRUST_200600_302600_NS6detail15normal_iteratorINSA_10device_ptrIKS5_EEEENSC_INSD_IS5_EEEES5_NSA_4plusIvEES5_EEDaPvRmT3_T4_T5_mT6_P12ihipStream_tbENKUlT_T0_E_clISt17integral_constantIbLb1EESY_EEDaST_SU_EUlST_E_NS1_11comp_targetILNS1_3genE3ELNS1_11target_archE908ELNS1_3gpuE7ELNS1_3repE0EEENS1_30default_config_static_selectorELNS0_4arch9wavefront6targetE1EEEvT1_,@function
_ZN7rocprim17ROCPRIM_400000_NS6detail17trampoline_kernelINS0_14default_configENS1_20scan_config_selectorI3IntEEZZNS1_9scan_implILNS1_25lookback_scan_determinismE0ELb0ELb0ES3_N6thrust23THRUST_200600_302600_NS6detail15normal_iteratorINSA_10device_ptrIKS5_EEEENSC_INSD_IS5_EEEES5_NSA_4plusIvEES5_EEDaPvRmT3_T4_T5_mT6_P12ihipStream_tbENKUlT_T0_E_clISt17integral_constantIbLb1EESY_EEDaST_SU_EUlST_E_NS1_11comp_targetILNS1_3genE3ELNS1_11target_archE908ELNS1_3gpuE7ELNS1_3repE0EEENS1_30default_config_static_selectorELNS0_4arch9wavefront6targetE1EEEvT1_: ; @_ZN7rocprim17ROCPRIM_400000_NS6detail17trampoline_kernelINS0_14default_configENS1_20scan_config_selectorI3IntEEZZNS1_9scan_implILNS1_25lookback_scan_determinismE0ELb0ELb0ES3_N6thrust23THRUST_200600_302600_NS6detail15normal_iteratorINSA_10device_ptrIKS5_EEEENSC_INSD_IS5_EEEES5_NSA_4plusIvEES5_EEDaPvRmT3_T4_T5_mT6_P12ihipStream_tbENKUlT_T0_E_clISt17integral_constantIbLb1EESY_EEDaST_SU_EUlST_E_NS1_11comp_targetILNS1_3genE3ELNS1_11target_archE908ELNS1_3gpuE7ELNS1_3repE0EEENS1_30default_config_static_selectorELNS0_4arch9wavefront6targetE1EEEvT1_
; %bb.0:
	.section	.rodata,"a",@progbits
	.p2align	6, 0x0
	.amdhsa_kernel _ZN7rocprim17ROCPRIM_400000_NS6detail17trampoline_kernelINS0_14default_configENS1_20scan_config_selectorI3IntEEZZNS1_9scan_implILNS1_25lookback_scan_determinismE0ELb0ELb0ES3_N6thrust23THRUST_200600_302600_NS6detail15normal_iteratorINSA_10device_ptrIKS5_EEEENSC_INSD_IS5_EEEES5_NSA_4plusIvEES5_EEDaPvRmT3_T4_T5_mT6_P12ihipStream_tbENKUlT_T0_E_clISt17integral_constantIbLb1EESY_EEDaST_SU_EUlST_E_NS1_11comp_targetILNS1_3genE3ELNS1_11target_archE908ELNS1_3gpuE7ELNS1_3repE0EEENS1_30default_config_static_selectorELNS0_4arch9wavefront6targetE1EEEvT1_
		.amdhsa_group_segment_fixed_size 0
		.amdhsa_private_segment_fixed_size 0
		.amdhsa_kernarg_size 96
		.amdhsa_user_sgpr_count 6
		.amdhsa_user_sgpr_private_segment_buffer 1
		.amdhsa_user_sgpr_dispatch_ptr 0
		.amdhsa_user_sgpr_queue_ptr 0
		.amdhsa_user_sgpr_kernarg_segment_ptr 1
		.amdhsa_user_sgpr_dispatch_id 0
		.amdhsa_user_sgpr_flat_scratch_init 0
		.amdhsa_user_sgpr_kernarg_preload_length 0
		.amdhsa_user_sgpr_kernarg_preload_offset 0
		.amdhsa_user_sgpr_private_segment_size 0
		.amdhsa_uses_dynamic_stack 0
		.amdhsa_system_sgpr_private_segment_wavefront_offset 0
		.amdhsa_system_sgpr_workgroup_id_x 1
		.amdhsa_system_sgpr_workgroup_id_y 0
		.amdhsa_system_sgpr_workgroup_id_z 0
		.amdhsa_system_sgpr_workgroup_info 0
		.amdhsa_system_vgpr_workitem_id 0
		.amdhsa_next_free_vgpr 1
		.amdhsa_next_free_sgpr 0
		.amdhsa_accum_offset 4
		.amdhsa_reserve_vcc 0
		.amdhsa_reserve_flat_scratch 0
		.amdhsa_float_round_mode_32 0
		.amdhsa_float_round_mode_16_64 0
		.amdhsa_float_denorm_mode_32 3
		.amdhsa_float_denorm_mode_16_64 3
		.amdhsa_dx10_clamp 1
		.amdhsa_ieee_mode 1
		.amdhsa_fp16_overflow 0
		.amdhsa_tg_split 0
		.amdhsa_exception_fp_ieee_invalid_op 0
		.amdhsa_exception_fp_denorm_src 0
		.amdhsa_exception_fp_ieee_div_zero 0
		.amdhsa_exception_fp_ieee_overflow 0
		.amdhsa_exception_fp_ieee_underflow 0
		.amdhsa_exception_fp_ieee_inexact 0
		.amdhsa_exception_int_div_zero 0
	.end_amdhsa_kernel
	.section	.text._ZN7rocprim17ROCPRIM_400000_NS6detail17trampoline_kernelINS0_14default_configENS1_20scan_config_selectorI3IntEEZZNS1_9scan_implILNS1_25lookback_scan_determinismE0ELb0ELb0ES3_N6thrust23THRUST_200600_302600_NS6detail15normal_iteratorINSA_10device_ptrIKS5_EEEENSC_INSD_IS5_EEEES5_NSA_4plusIvEES5_EEDaPvRmT3_T4_T5_mT6_P12ihipStream_tbENKUlT_T0_E_clISt17integral_constantIbLb1EESY_EEDaST_SU_EUlST_E_NS1_11comp_targetILNS1_3genE3ELNS1_11target_archE908ELNS1_3gpuE7ELNS1_3repE0EEENS1_30default_config_static_selectorELNS0_4arch9wavefront6targetE1EEEvT1_,"axG",@progbits,_ZN7rocprim17ROCPRIM_400000_NS6detail17trampoline_kernelINS0_14default_configENS1_20scan_config_selectorI3IntEEZZNS1_9scan_implILNS1_25lookback_scan_determinismE0ELb0ELb0ES3_N6thrust23THRUST_200600_302600_NS6detail15normal_iteratorINSA_10device_ptrIKS5_EEEENSC_INSD_IS5_EEEES5_NSA_4plusIvEES5_EEDaPvRmT3_T4_T5_mT6_P12ihipStream_tbENKUlT_T0_E_clISt17integral_constantIbLb1EESY_EEDaST_SU_EUlST_E_NS1_11comp_targetILNS1_3genE3ELNS1_11target_archE908ELNS1_3gpuE7ELNS1_3repE0EEENS1_30default_config_static_selectorELNS0_4arch9wavefront6targetE1EEEvT1_,comdat
.Lfunc_end6927:
	.size	_ZN7rocprim17ROCPRIM_400000_NS6detail17trampoline_kernelINS0_14default_configENS1_20scan_config_selectorI3IntEEZZNS1_9scan_implILNS1_25lookback_scan_determinismE0ELb0ELb0ES3_N6thrust23THRUST_200600_302600_NS6detail15normal_iteratorINSA_10device_ptrIKS5_EEEENSC_INSD_IS5_EEEES5_NSA_4plusIvEES5_EEDaPvRmT3_T4_T5_mT6_P12ihipStream_tbENKUlT_T0_E_clISt17integral_constantIbLb1EESY_EEDaST_SU_EUlST_E_NS1_11comp_targetILNS1_3genE3ELNS1_11target_archE908ELNS1_3gpuE7ELNS1_3repE0EEENS1_30default_config_static_selectorELNS0_4arch9wavefront6targetE1EEEvT1_, .Lfunc_end6927-_ZN7rocprim17ROCPRIM_400000_NS6detail17trampoline_kernelINS0_14default_configENS1_20scan_config_selectorI3IntEEZZNS1_9scan_implILNS1_25lookback_scan_determinismE0ELb0ELb0ES3_N6thrust23THRUST_200600_302600_NS6detail15normal_iteratorINSA_10device_ptrIKS5_EEEENSC_INSD_IS5_EEEES5_NSA_4plusIvEES5_EEDaPvRmT3_T4_T5_mT6_P12ihipStream_tbENKUlT_T0_E_clISt17integral_constantIbLb1EESY_EEDaST_SU_EUlST_E_NS1_11comp_targetILNS1_3genE3ELNS1_11target_archE908ELNS1_3gpuE7ELNS1_3repE0EEENS1_30default_config_static_selectorELNS0_4arch9wavefront6targetE1EEEvT1_
                                        ; -- End function
	.section	.AMDGPU.csdata,"",@progbits
; Kernel info:
; codeLenInByte = 0
; NumSgprs: 4
; NumVgprs: 0
; NumAgprs: 0
; TotalNumVgprs: 0
; ScratchSize: 0
; MemoryBound: 0
; FloatMode: 240
; IeeeMode: 1
; LDSByteSize: 0 bytes/workgroup (compile time only)
; SGPRBlocks: 0
; VGPRBlocks: 0
; NumSGPRsForWavesPerEU: 4
; NumVGPRsForWavesPerEU: 1
; AccumOffset: 4
; Occupancy: 8
; WaveLimiterHint : 0
; COMPUTE_PGM_RSRC2:SCRATCH_EN: 0
; COMPUTE_PGM_RSRC2:USER_SGPR: 6
; COMPUTE_PGM_RSRC2:TRAP_HANDLER: 0
; COMPUTE_PGM_RSRC2:TGID_X_EN: 1
; COMPUTE_PGM_RSRC2:TGID_Y_EN: 0
; COMPUTE_PGM_RSRC2:TGID_Z_EN: 0
; COMPUTE_PGM_RSRC2:TIDIG_COMP_CNT: 0
; COMPUTE_PGM_RSRC3_GFX90A:ACCUM_OFFSET: 0
; COMPUTE_PGM_RSRC3_GFX90A:TG_SPLIT: 0
	.section	.text._ZN7rocprim17ROCPRIM_400000_NS6detail17trampoline_kernelINS0_14default_configENS1_20scan_config_selectorI3IntEEZZNS1_9scan_implILNS1_25lookback_scan_determinismE0ELb0ELb0ES3_N6thrust23THRUST_200600_302600_NS6detail15normal_iteratorINSA_10device_ptrIKS5_EEEENSC_INSD_IS5_EEEES5_NSA_4plusIvEES5_EEDaPvRmT3_T4_T5_mT6_P12ihipStream_tbENKUlT_T0_E_clISt17integral_constantIbLb1EESY_EEDaST_SU_EUlST_E_NS1_11comp_targetILNS1_3genE2ELNS1_11target_archE906ELNS1_3gpuE6ELNS1_3repE0EEENS1_30default_config_static_selectorELNS0_4arch9wavefront6targetE1EEEvT1_,"axG",@progbits,_ZN7rocprim17ROCPRIM_400000_NS6detail17trampoline_kernelINS0_14default_configENS1_20scan_config_selectorI3IntEEZZNS1_9scan_implILNS1_25lookback_scan_determinismE0ELb0ELb0ES3_N6thrust23THRUST_200600_302600_NS6detail15normal_iteratorINSA_10device_ptrIKS5_EEEENSC_INSD_IS5_EEEES5_NSA_4plusIvEES5_EEDaPvRmT3_T4_T5_mT6_P12ihipStream_tbENKUlT_T0_E_clISt17integral_constantIbLb1EESY_EEDaST_SU_EUlST_E_NS1_11comp_targetILNS1_3genE2ELNS1_11target_archE906ELNS1_3gpuE6ELNS1_3repE0EEENS1_30default_config_static_selectorELNS0_4arch9wavefront6targetE1EEEvT1_,comdat
	.protected	_ZN7rocprim17ROCPRIM_400000_NS6detail17trampoline_kernelINS0_14default_configENS1_20scan_config_selectorI3IntEEZZNS1_9scan_implILNS1_25lookback_scan_determinismE0ELb0ELb0ES3_N6thrust23THRUST_200600_302600_NS6detail15normal_iteratorINSA_10device_ptrIKS5_EEEENSC_INSD_IS5_EEEES5_NSA_4plusIvEES5_EEDaPvRmT3_T4_T5_mT6_P12ihipStream_tbENKUlT_T0_E_clISt17integral_constantIbLb1EESY_EEDaST_SU_EUlST_E_NS1_11comp_targetILNS1_3genE2ELNS1_11target_archE906ELNS1_3gpuE6ELNS1_3repE0EEENS1_30default_config_static_selectorELNS0_4arch9wavefront6targetE1EEEvT1_ ; -- Begin function _ZN7rocprim17ROCPRIM_400000_NS6detail17trampoline_kernelINS0_14default_configENS1_20scan_config_selectorI3IntEEZZNS1_9scan_implILNS1_25lookback_scan_determinismE0ELb0ELb0ES3_N6thrust23THRUST_200600_302600_NS6detail15normal_iteratorINSA_10device_ptrIKS5_EEEENSC_INSD_IS5_EEEES5_NSA_4plusIvEES5_EEDaPvRmT3_T4_T5_mT6_P12ihipStream_tbENKUlT_T0_E_clISt17integral_constantIbLb1EESY_EEDaST_SU_EUlST_E_NS1_11comp_targetILNS1_3genE2ELNS1_11target_archE906ELNS1_3gpuE6ELNS1_3repE0EEENS1_30default_config_static_selectorELNS0_4arch9wavefront6targetE1EEEvT1_
	.globl	_ZN7rocprim17ROCPRIM_400000_NS6detail17trampoline_kernelINS0_14default_configENS1_20scan_config_selectorI3IntEEZZNS1_9scan_implILNS1_25lookback_scan_determinismE0ELb0ELb0ES3_N6thrust23THRUST_200600_302600_NS6detail15normal_iteratorINSA_10device_ptrIKS5_EEEENSC_INSD_IS5_EEEES5_NSA_4plusIvEES5_EEDaPvRmT3_T4_T5_mT6_P12ihipStream_tbENKUlT_T0_E_clISt17integral_constantIbLb1EESY_EEDaST_SU_EUlST_E_NS1_11comp_targetILNS1_3genE2ELNS1_11target_archE906ELNS1_3gpuE6ELNS1_3repE0EEENS1_30default_config_static_selectorELNS0_4arch9wavefront6targetE1EEEvT1_
	.p2align	8
	.type	_ZN7rocprim17ROCPRIM_400000_NS6detail17trampoline_kernelINS0_14default_configENS1_20scan_config_selectorI3IntEEZZNS1_9scan_implILNS1_25lookback_scan_determinismE0ELb0ELb0ES3_N6thrust23THRUST_200600_302600_NS6detail15normal_iteratorINSA_10device_ptrIKS5_EEEENSC_INSD_IS5_EEEES5_NSA_4plusIvEES5_EEDaPvRmT3_T4_T5_mT6_P12ihipStream_tbENKUlT_T0_E_clISt17integral_constantIbLb1EESY_EEDaST_SU_EUlST_E_NS1_11comp_targetILNS1_3genE2ELNS1_11target_archE906ELNS1_3gpuE6ELNS1_3repE0EEENS1_30default_config_static_selectorELNS0_4arch9wavefront6targetE1EEEvT1_,@function
_ZN7rocprim17ROCPRIM_400000_NS6detail17trampoline_kernelINS0_14default_configENS1_20scan_config_selectorI3IntEEZZNS1_9scan_implILNS1_25lookback_scan_determinismE0ELb0ELb0ES3_N6thrust23THRUST_200600_302600_NS6detail15normal_iteratorINSA_10device_ptrIKS5_EEEENSC_INSD_IS5_EEEES5_NSA_4plusIvEES5_EEDaPvRmT3_T4_T5_mT6_P12ihipStream_tbENKUlT_T0_E_clISt17integral_constantIbLb1EESY_EEDaST_SU_EUlST_E_NS1_11comp_targetILNS1_3genE2ELNS1_11target_archE906ELNS1_3gpuE6ELNS1_3repE0EEENS1_30default_config_static_selectorELNS0_4arch9wavefront6targetE1EEEvT1_: ; @_ZN7rocprim17ROCPRIM_400000_NS6detail17trampoline_kernelINS0_14default_configENS1_20scan_config_selectorI3IntEEZZNS1_9scan_implILNS1_25lookback_scan_determinismE0ELb0ELb0ES3_N6thrust23THRUST_200600_302600_NS6detail15normal_iteratorINSA_10device_ptrIKS5_EEEENSC_INSD_IS5_EEEES5_NSA_4plusIvEES5_EEDaPvRmT3_T4_T5_mT6_P12ihipStream_tbENKUlT_T0_E_clISt17integral_constantIbLb1EESY_EEDaST_SU_EUlST_E_NS1_11comp_targetILNS1_3genE2ELNS1_11target_archE906ELNS1_3gpuE6ELNS1_3repE0EEENS1_30default_config_static_selectorELNS0_4arch9wavefront6targetE1EEEvT1_
; %bb.0:
	.section	.rodata,"a",@progbits
	.p2align	6, 0x0
	.amdhsa_kernel _ZN7rocprim17ROCPRIM_400000_NS6detail17trampoline_kernelINS0_14default_configENS1_20scan_config_selectorI3IntEEZZNS1_9scan_implILNS1_25lookback_scan_determinismE0ELb0ELb0ES3_N6thrust23THRUST_200600_302600_NS6detail15normal_iteratorINSA_10device_ptrIKS5_EEEENSC_INSD_IS5_EEEES5_NSA_4plusIvEES5_EEDaPvRmT3_T4_T5_mT6_P12ihipStream_tbENKUlT_T0_E_clISt17integral_constantIbLb1EESY_EEDaST_SU_EUlST_E_NS1_11comp_targetILNS1_3genE2ELNS1_11target_archE906ELNS1_3gpuE6ELNS1_3repE0EEENS1_30default_config_static_selectorELNS0_4arch9wavefront6targetE1EEEvT1_
		.amdhsa_group_segment_fixed_size 0
		.amdhsa_private_segment_fixed_size 0
		.amdhsa_kernarg_size 96
		.amdhsa_user_sgpr_count 6
		.amdhsa_user_sgpr_private_segment_buffer 1
		.amdhsa_user_sgpr_dispatch_ptr 0
		.amdhsa_user_sgpr_queue_ptr 0
		.amdhsa_user_sgpr_kernarg_segment_ptr 1
		.amdhsa_user_sgpr_dispatch_id 0
		.amdhsa_user_sgpr_flat_scratch_init 0
		.amdhsa_user_sgpr_kernarg_preload_length 0
		.amdhsa_user_sgpr_kernarg_preload_offset 0
		.amdhsa_user_sgpr_private_segment_size 0
		.amdhsa_uses_dynamic_stack 0
		.amdhsa_system_sgpr_private_segment_wavefront_offset 0
		.amdhsa_system_sgpr_workgroup_id_x 1
		.amdhsa_system_sgpr_workgroup_id_y 0
		.amdhsa_system_sgpr_workgroup_id_z 0
		.amdhsa_system_sgpr_workgroup_info 0
		.amdhsa_system_vgpr_workitem_id 0
		.amdhsa_next_free_vgpr 1
		.amdhsa_next_free_sgpr 0
		.amdhsa_accum_offset 4
		.amdhsa_reserve_vcc 0
		.amdhsa_reserve_flat_scratch 0
		.amdhsa_float_round_mode_32 0
		.amdhsa_float_round_mode_16_64 0
		.amdhsa_float_denorm_mode_32 3
		.amdhsa_float_denorm_mode_16_64 3
		.amdhsa_dx10_clamp 1
		.amdhsa_ieee_mode 1
		.amdhsa_fp16_overflow 0
		.amdhsa_tg_split 0
		.amdhsa_exception_fp_ieee_invalid_op 0
		.amdhsa_exception_fp_denorm_src 0
		.amdhsa_exception_fp_ieee_div_zero 0
		.amdhsa_exception_fp_ieee_overflow 0
		.amdhsa_exception_fp_ieee_underflow 0
		.amdhsa_exception_fp_ieee_inexact 0
		.amdhsa_exception_int_div_zero 0
	.end_amdhsa_kernel
	.section	.text._ZN7rocprim17ROCPRIM_400000_NS6detail17trampoline_kernelINS0_14default_configENS1_20scan_config_selectorI3IntEEZZNS1_9scan_implILNS1_25lookback_scan_determinismE0ELb0ELb0ES3_N6thrust23THRUST_200600_302600_NS6detail15normal_iteratorINSA_10device_ptrIKS5_EEEENSC_INSD_IS5_EEEES5_NSA_4plusIvEES5_EEDaPvRmT3_T4_T5_mT6_P12ihipStream_tbENKUlT_T0_E_clISt17integral_constantIbLb1EESY_EEDaST_SU_EUlST_E_NS1_11comp_targetILNS1_3genE2ELNS1_11target_archE906ELNS1_3gpuE6ELNS1_3repE0EEENS1_30default_config_static_selectorELNS0_4arch9wavefront6targetE1EEEvT1_,"axG",@progbits,_ZN7rocprim17ROCPRIM_400000_NS6detail17trampoline_kernelINS0_14default_configENS1_20scan_config_selectorI3IntEEZZNS1_9scan_implILNS1_25lookback_scan_determinismE0ELb0ELb0ES3_N6thrust23THRUST_200600_302600_NS6detail15normal_iteratorINSA_10device_ptrIKS5_EEEENSC_INSD_IS5_EEEES5_NSA_4plusIvEES5_EEDaPvRmT3_T4_T5_mT6_P12ihipStream_tbENKUlT_T0_E_clISt17integral_constantIbLb1EESY_EEDaST_SU_EUlST_E_NS1_11comp_targetILNS1_3genE2ELNS1_11target_archE906ELNS1_3gpuE6ELNS1_3repE0EEENS1_30default_config_static_selectorELNS0_4arch9wavefront6targetE1EEEvT1_,comdat
.Lfunc_end6928:
	.size	_ZN7rocprim17ROCPRIM_400000_NS6detail17trampoline_kernelINS0_14default_configENS1_20scan_config_selectorI3IntEEZZNS1_9scan_implILNS1_25lookback_scan_determinismE0ELb0ELb0ES3_N6thrust23THRUST_200600_302600_NS6detail15normal_iteratorINSA_10device_ptrIKS5_EEEENSC_INSD_IS5_EEEES5_NSA_4plusIvEES5_EEDaPvRmT3_T4_T5_mT6_P12ihipStream_tbENKUlT_T0_E_clISt17integral_constantIbLb1EESY_EEDaST_SU_EUlST_E_NS1_11comp_targetILNS1_3genE2ELNS1_11target_archE906ELNS1_3gpuE6ELNS1_3repE0EEENS1_30default_config_static_selectorELNS0_4arch9wavefront6targetE1EEEvT1_, .Lfunc_end6928-_ZN7rocprim17ROCPRIM_400000_NS6detail17trampoline_kernelINS0_14default_configENS1_20scan_config_selectorI3IntEEZZNS1_9scan_implILNS1_25lookback_scan_determinismE0ELb0ELb0ES3_N6thrust23THRUST_200600_302600_NS6detail15normal_iteratorINSA_10device_ptrIKS5_EEEENSC_INSD_IS5_EEEES5_NSA_4plusIvEES5_EEDaPvRmT3_T4_T5_mT6_P12ihipStream_tbENKUlT_T0_E_clISt17integral_constantIbLb1EESY_EEDaST_SU_EUlST_E_NS1_11comp_targetILNS1_3genE2ELNS1_11target_archE906ELNS1_3gpuE6ELNS1_3repE0EEENS1_30default_config_static_selectorELNS0_4arch9wavefront6targetE1EEEvT1_
                                        ; -- End function
	.section	.AMDGPU.csdata,"",@progbits
; Kernel info:
; codeLenInByte = 0
; NumSgprs: 4
; NumVgprs: 0
; NumAgprs: 0
; TotalNumVgprs: 0
; ScratchSize: 0
; MemoryBound: 0
; FloatMode: 240
; IeeeMode: 1
; LDSByteSize: 0 bytes/workgroup (compile time only)
; SGPRBlocks: 0
; VGPRBlocks: 0
; NumSGPRsForWavesPerEU: 4
; NumVGPRsForWavesPerEU: 1
; AccumOffset: 4
; Occupancy: 8
; WaveLimiterHint : 0
; COMPUTE_PGM_RSRC2:SCRATCH_EN: 0
; COMPUTE_PGM_RSRC2:USER_SGPR: 6
; COMPUTE_PGM_RSRC2:TRAP_HANDLER: 0
; COMPUTE_PGM_RSRC2:TGID_X_EN: 1
; COMPUTE_PGM_RSRC2:TGID_Y_EN: 0
; COMPUTE_PGM_RSRC2:TGID_Z_EN: 0
; COMPUTE_PGM_RSRC2:TIDIG_COMP_CNT: 0
; COMPUTE_PGM_RSRC3_GFX90A:ACCUM_OFFSET: 0
; COMPUTE_PGM_RSRC3_GFX90A:TG_SPLIT: 0
	.section	.text._ZN7rocprim17ROCPRIM_400000_NS6detail17trampoline_kernelINS0_14default_configENS1_20scan_config_selectorI3IntEEZZNS1_9scan_implILNS1_25lookback_scan_determinismE0ELb0ELb0ES3_N6thrust23THRUST_200600_302600_NS6detail15normal_iteratorINSA_10device_ptrIKS5_EEEENSC_INSD_IS5_EEEES5_NSA_4plusIvEES5_EEDaPvRmT3_T4_T5_mT6_P12ihipStream_tbENKUlT_T0_E_clISt17integral_constantIbLb1EESY_EEDaST_SU_EUlST_E_NS1_11comp_targetILNS1_3genE10ELNS1_11target_archE1201ELNS1_3gpuE5ELNS1_3repE0EEENS1_30default_config_static_selectorELNS0_4arch9wavefront6targetE1EEEvT1_,"axG",@progbits,_ZN7rocprim17ROCPRIM_400000_NS6detail17trampoline_kernelINS0_14default_configENS1_20scan_config_selectorI3IntEEZZNS1_9scan_implILNS1_25lookback_scan_determinismE0ELb0ELb0ES3_N6thrust23THRUST_200600_302600_NS6detail15normal_iteratorINSA_10device_ptrIKS5_EEEENSC_INSD_IS5_EEEES5_NSA_4plusIvEES5_EEDaPvRmT3_T4_T5_mT6_P12ihipStream_tbENKUlT_T0_E_clISt17integral_constantIbLb1EESY_EEDaST_SU_EUlST_E_NS1_11comp_targetILNS1_3genE10ELNS1_11target_archE1201ELNS1_3gpuE5ELNS1_3repE0EEENS1_30default_config_static_selectorELNS0_4arch9wavefront6targetE1EEEvT1_,comdat
	.protected	_ZN7rocprim17ROCPRIM_400000_NS6detail17trampoline_kernelINS0_14default_configENS1_20scan_config_selectorI3IntEEZZNS1_9scan_implILNS1_25lookback_scan_determinismE0ELb0ELb0ES3_N6thrust23THRUST_200600_302600_NS6detail15normal_iteratorINSA_10device_ptrIKS5_EEEENSC_INSD_IS5_EEEES5_NSA_4plusIvEES5_EEDaPvRmT3_T4_T5_mT6_P12ihipStream_tbENKUlT_T0_E_clISt17integral_constantIbLb1EESY_EEDaST_SU_EUlST_E_NS1_11comp_targetILNS1_3genE10ELNS1_11target_archE1201ELNS1_3gpuE5ELNS1_3repE0EEENS1_30default_config_static_selectorELNS0_4arch9wavefront6targetE1EEEvT1_ ; -- Begin function _ZN7rocprim17ROCPRIM_400000_NS6detail17trampoline_kernelINS0_14default_configENS1_20scan_config_selectorI3IntEEZZNS1_9scan_implILNS1_25lookback_scan_determinismE0ELb0ELb0ES3_N6thrust23THRUST_200600_302600_NS6detail15normal_iteratorINSA_10device_ptrIKS5_EEEENSC_INSD_IS5_EEEES5_NSA_4plusIvEES5_EEDaPvRmT3_T4_T5_mT6_P12ihipStream_tbENKUlT_T0_E_clISt17integral_constantIbLb1EESY_EEDaST_SU_EUlST_E_NS1_11comp_targetILNS1_3genE10ELNS1_11target_archE1201ELNS1_3gpuE5ELNS1_3repE0EEENS1_30default_config_static_selectorELNS0_4arch9wavefront6targetE1EEEvT1_
	.globl	_ZN7rocprim17ROCPRIM_400000_NS6detail17trampoline_kernelINS0_14default_configENS1_20scan_config_selectorI3IntEEZZNS1_9scan_implILNS1_25lookback_scan_determinismE0ELb0ELb0ES3_N6thrust23THRUST_200600_302600_NS6detail15normal_iteratorINSA_10device_ptrIKS5_EEEENSC_INSD_IS5_EEEES5_NSA_4plusIvEES5_EEDaPvRmT3_T4_T5_mT6_P12ihipStream_tbENKUlT_T0_E_clISt17integral_constantIbLb1EESY_EEDaST_SU_EUlST_E_NS1_11comp_targetILNS1_3genE10ELNS1_11target_archE1201ELNS1_3gpuE5ELNS1_3repE0EEENS1_30default_config_static_selectorELNS0_4arch9wavefront6targetE1EEEvT1_
	.p2align	8
	.type	_ZN7rocprim17ROCPRIM_400000_NS6detail17trampoline_kernelINS0_14default_configENS1_20scan_config_selectorI3IntEEZZNS1_9scan_implILNS1_25lookback_scan_determinismE0ELb0ELb0ES3_N6thrust23THRUST_200600_302600_NS6detail15normal_iteratorINSA_10device_ptrIKS5_EEEENSC_INSD_IS5_EEEES5_NSA_4plusIvEES5_EEDaPvRmT3_T4_T5_mT6_P12ihipStream_tbENKUlT_T0_E_clISt17integral_constantIbLb1EESY_EEDaST_SU_EUlST_E_NS1_11comp_targetILNS1_3genE10ELNS1_11target_archE1201ELNS1_3gpuE5ELNS1_3repE0EEENS1_30default_config_static_selectorELNS0_4arch9wavefront6targetE1EEEvT1_,@function
_ZN7rocprim17ROCPRIM_400000_NS6detail17trampoline_kernelINS0_14default_configENS1_20scan_config_selectorI3IntEEZZNS1_9scan_implILNS1_25lookback_scan_determinismE0ELb0ELb0ES3_N6thrust23THRUST_200600_302600_NS6detail15normal_iteratorINSA_10device_ptrIKS5_EEEENSC_INSD_IS5_EEEES5_NSA_4plusIvEES5_EEDaPvRmT3_T4_T5_mT6_P12ihipStream_tbENKUlT_T0_E_clISt17integral_constantIbLb1EESY_EEDaST_SU_EUlST_E_NS1_11comp_targetILNS1_3genE10ELNS1_11target_archE1201ELNS1_3gpuE5ELNS1_3repE0EEENS1_30default_config_static_selectorELNS0_4arch9wavefront6targetE1EEEvT1_: ; @_ZN7rocprim17ROCPRIM_400000_NS6detail17trampoline_kernelINS0_14default_configENS1_20scan_config_selectorI3IntEEZZNS1_9scan_implILNS1_25lookback_scan_determinismE0ELb0ELb0ES3_N6thrust23THRUST_200600_302600_NS6detail15normal_iteratorINSA_10device_ptrIKS5_EEEENSC_INSD_IS5_EEEES5_NSA_4plusIvEES5_EEDaPvRmT3_T4_T5_mT6_P12ihipStream_tbENKUlT_T0_E_clISt17integral_constantIbLb1EESY_EEDaST_SU_EUlST_E_NS1_11comp_targetILNS1_3genE10ELNS1_11target_archE1201ELNS1_3gpuE5ELNS1_3repE0EEENS1_30default_config_static_selectorELNS0_4arch9wavefront6targetE1EEEvT1_
; %bb.0:
	.section	.rodata,"a",@progbits
	.p2align	6, 0x0
	.amdhsa_kernel _ZN7rocprim17ROCPRIM_400000_NS6detail17trampoline_kernelINS0_14default_configENS1_20scan_config_selectorI3IntEEZZNS1_9scan_implILNS1_25lookback_scan_determinismE0ELb0ELb0ES3_N6thrust23THRUST_200600_302600_NS6detail15normal_iteratorINSA_10device_ptrIKS5_EEEENSC_INSD_IS5_EEEES5_NSA_4plusIvEES5_EEDaPvRmT3_T4_T5_mT6_P12ihipStream_tbENKUlT_T0_E_clISt17integral_constantIbLb1EESY_EEDaST_SU_EUlST_E_NS1_11comp_targetILNS1_3genE10ELNS1_11target_archE1201ELNS1_3gpuE5ELNS1_3repE0EEENS1_30default_config_static_selectorELNS0_4arch9wavefront6targetE1EEEvT1_
		.amdhsa_group_segment_fixed_size 0
		.amdhsa_private_segment_fixed_size 0
		.amdhsa_kernarg_size 96
		.amdhsa_user_sgpr_count 6
		.amdhsa_user_sgpr_private_segment_buffer 1
		.amdhsa_user_sgpr_dispatch_ptr 0
		.amdhsa_user_sgpr_queue_ptr 0
		.amdhsa_user_sgpr_kernarg_segment_ptr 1
		.amdhsa_user_sgpr_dispatch_id 0
		.amdhsa_user_sgpr_flat_scratch_init 0
		.amdhsa_user_sgpr_kernarg_preload_length 0
		.amdhsa_user_sgpr_kernarg_preload_offset 0
		.amdhsa_user_sgpr_private_segment_size 0
		.amdhsa_uses_dynamic_stack 0
		.amdhsa_system_sgpr_private_segment_wavefront_offset 0
		.amdhsa_system_sgpr_workgroup_id_x 1
		.amdhsa_system_sgpr_workgroup_id_y 0
		.amdhsa_system_sgpr_workgroup_id_z 0
		.amdhsa_system_sgpr_workgroup_info 0
		.amdhsa_system_vgpr_workitem_id 0
		.amdhsa_next_free_vgpr 1
		.amdhsa_next_free_sgpr 0
		.amdhsa_accum_offset 4
		.amdhsa_reserve_vcc 0
		.amdhsa_reserve_flat_scratch 0
		.amdhsa_float_round_mode_32 0
		.amdhsa_float_round_mode_16_64 0
		.amdhsa_float_denorm_mode_32 3
		.amdhsa_float_denorm_mode_16_64 3
		.amdhsa_dx10_clamp 1
		.amdhsa_ieee_mode 1
		.amdhsa_fp16_overflow 0
		.amdhsa_tg_split 0
		.amdhsa_exception_fp_ieee_invalid_op 0
		.amdhsa_exception_fp_denorm_src 0
		.amdhsa_exception_fp_ieee_div_zero 0
		.amdhsa_exception_fp_ieee_overflow 0
		.amdhsa_exception_fp_ieee_underflow 0
		.amdhsa_exception_fp_ieee_inexact 0
		.amdhsa_exception_int_div_zero 0
	.end_amdhsa_kernel
	.section	.text._ZN7rocprim17ROCPRIM_400000_NS6detail17trampoline_kernelINS0_14default_configENS1_20scan_config_selectorI3IntEEZZNS1_9scan_implILNS1_25lookback_scan_determinismE0ELb0ELb0ES3_N6thrust23THRUST_200600_302600_NS6detail15normal_iteratorINSA_10device_ptrIKS5_EEEENSC_INSD_IS5_EEEES5_NSA_4plusIvEES5_EEDaPvRmT3_T4_T5_mT6_P12ihipStream_tbENKUlT_T0_E_clISt17integral_constantIbLb1EESY_EEDaST_SU_EUlST_E_NS1_11comp_targetILNS1_3genE10ELNS1_11target_archE1201ELNS1_3gpuE5ELNS1_3repE0EEENS1_30default_config_static_selectorELNS0_4arch9wavefront6targetE1EEEvT1_,"axG",@progbits,_ZN7rocprim17ROCPRIM_400000_NS6detail17trampoline_kernelINS0_14default_configENS1_20scan_config_selectorI3IntEEZZNS1_9scan_implILNS1_25lookback_scan_determinismE0ELb0ELb0ES3_N6thrust23THRUST_200600_302600_NS6detail15normal_iteratorINSA_10device_ptrIKS5_EEEENSC_INSD_IS5_EEEES5_NSA_4plusIvEES5_EEDaPvRmT3_T4_T5_mT6_P12ihipStream_tbENKUlT_T0_E_clISt17integral_constantIbLb1EESY_EEDaST_SU_EUlST_E_NS1_11comp_targetILNS1_3genE10ELNS1_11target_archE1201ELNS1_3gpuE5ELNS1_3repE0EEENS1_30default_config_static_selectorELNS0_4arch9wavefront6targetE1EEEvT1_,comdat
.Lfunc_end6929:
	.size	_ZN7rocprim17ROCPRIM_400000_NS6detail17trampoline_kernelINS0_14default_configENS1_20scan_config_selectorI3IntEEZZNS1_9scan_implILNS1_25lookback_scan_determinismE0ELb0ELb0ES3_N6thrust23THRUST_200600_302600_NS6detail15normal_iteratorINSA_10device_ptrIKS5_EEEENSC_INSD_IS5_EEEES5_NSA_4plusIvEES5_EEDaPvRmT3_T4_T5_mT6_P12ihipStream_tbENKUlT_T0_E_clISt17integral_constantIbLb1EESY_EEDaST_SU_EUlST_E_NS1_11comp_targetILNS1_3genE10ELNS1_11target_archE1201ELNS1_3gpuE5ELNS1_3repE0EEENS1_30default_config_static_selectorELNS0_4arch9wavefront6targetE1EEEvT1_, .Lfunc_end6929-_ZN7rocprim17ROCPRIM_400000_NS6detail17trampoline_kernelINS0_14default_configENS1_20scan_config_selectorI3IntEEZZNS1_9scan_implILNS1_25lookback_scan_determinismE0ELb0ELb0ES3_N6thrust23THRUST_200600_302600_NS6detail15normal_iteratorINSA_10device_ptrIKS5_EEEENSC_INSD_IS5_EEEES5_NSA_4plusIvEES5_EEDaPvRmT3_T4_T5_mT6_P12ihipStream_tbENKUlT_T0_E_clISt17integral_constantIbLb1EESY_EEDaST_SU_EUlST_E_NS1_11comp_targetILNS1_3genE10ELNS1_11target_archE1201ELNS1_3gpuE5ELNS1_3repE0EEENS1_30default_config_static_selectorELNS0_4arch9wavefront6targetE1EEEvT1_
                                        ; -- End function
	.section	.AMDGPU.csdata,"",@progbits
; Kernel info:
; codeLenInByte = 0
; NumSgprs: 4
; NumVgprs: 0
; NumAgprs: 0
; TotalNumVgprs: 0
; ScratchSize: 0
; MemoryBound: 0
; FloatMode: 240
; IeeeMode: 1
; LDSByteSize: 0 bytes/workgroup (compile time only)
; SGPRBlocks: 0
; VGPRBlocks: 0
; NumSGPRsForWavesPerEU: 4
; NumVGPRsForWavesPerEU: 1
; AccumOffset: 4
; Occupancy: 8
; WaveLimiterHint : 0
; COMPUTE_PGM_RSRC2:SCRATCH_EN: 0
; COMPUTE_PGM_RSRC2:USER_SGPR: 6
; COMPUTE_PGM_RSRC2:TRAP_HANDLER: 0
; COMPUTE_PGM_RSRC2:TGID_X_EN: 1
; COMPUTE_PGM_RSRC2:TGID_Y_EN: 0
; COMPUTE_PGM_RSRC2:TGID_Z_EN: 0
; COMPUTE_PGM_RSRC2:TIDIG_COMP_CNT: 0
; COMPUTE_PGM_RSRC3_GFX90A:ACCUM_OFFSET: 0
; COMPUTE_PGM_RSRC3_GFX90A:TG_SPLIT: 0
	.section	.text._ZN7rocprim17ROCPRIM_400000_NS6detail17trampoline_kernelINS0_14default_configENS1_20scan_config_selectorI3IntEEZZNS1_9scan_implILNS1_25lookback_scan_determinismE0ELb0ELb0ES3_N6thrust23THRUST_200600_302600_NS6detail15normal_iteratorINSA_10device_ptrIKS5_EEEENSC_INSD_IS5_EEEES5_NSA_4plusIvEES5_EEDaPvRmT3_T4_T5_mT6_P12ihipStream_tbENKUlT_T0_E_clISt17integral_constantIbLb1EESY_EEDaST_SU_EUlST_E_NS1_11comp_targetILNS1_3genE10ELNS1_11target_archE1200ELNS1_3gpuE4ELNS1_3repE0EEENS1_30default_config_static_selectorELNS0_4arch9wavefront6targetE1EEEvT1_,"axG",@progbits,_ZN7rocprim17ROCPRIM_400000_NS6detail17trampoline_kernelINS0_14default_configENS1_20scan_config_selectorI3IntEEZZNS1_9scan_implILNS1_25lookback_scan_determinismE0ELb0ELb0ES3_N6thrust23THRUST_200600_302600_NS6detail15normal_iteratorINSA_10device_ptrIKS5_EEEENSC_INSD_IS5_EEEES5_NSA_4plusIvEES5_EEDaPvRmT3_T4_T5_mT6_P12ihipStream_tbENKUlT_T0_E_clISt17integral_constantIbLb1EESY_EEDaST_SU_EUlST_E_NS1_11comp_targetILNS1_3genE10ELNS1_11target_archE1200ELNS1_3gpuE4ELNS1_3repE0EEENS1_30default_config_static_selectorELNS0_4arch9wavefront6targetE1EEEvT1_,comdat
	.protected	_ZN7rocprim17ROCPRIM_400000_NS6detail17trampoline_kernelINS0_14default_configENS1_20scan_config_selectorI3IntEEZZNS1_9scan_implILNS1_25lookback_scan_determinismE0ELb0ELb0ES3_N6thrust23THRUST_200600_302600_NS6detail15normal_iteratorINSA_10device_ptrIKS5_EEEENSC_INSD_IS5_EEEES5_NSA_4plusIvEES5_EEDaPvRmT3_T4_T5_mT6_P12ihipStream_tbENKUlT_T0_E_clISt17integral_constantIbLb1EESY_EEDaST_SU_EUlST_E_NS1_11comp_targetILNS1_3genE10ELNS1_11target_archE1200ELNS1_3gpuE4ELNS1_3repE0EEENS1_30default_config_static_selectorELNS0_4arch9wavefront6targetE1EEEvT1_ ; -- Begin function _ZN7rocprim17ROCPRIM_400000_NS6detail17trampoline_kernelINS0_14default_configENS1_20scan_config_selectorI3IntEEZZNS1_9scan_implILNS1_25lookback_scan_determinismE0ELb0ELb0ES3_N6thrust23THRUST_200600_302600_NS6detail15normal_iteratorINSA_10device_ptrIKS5_EEEENSC_INSD_IS5_EEEES5_NSA_4plusIvEES5_EEDaPvRmT3_T4_T5_mT6_P12ihipStream_tbENKUlT_T0_E_clISt17integral_constantIbLb1EESY_EEDaST_SU_EUlST_E_NS1_11comp_targetILNS1_3genE10ELNS1_11target_archE1200ELNS1_3gpuE4ELNS1_3repE0EEENS1_30default_config_static_selectorELNS0_4arch9wavefront6targetE1EEEvT1_
	.globl	_ZN7rocprim17ROCPRIM_400000_NS6detail17trampoline_kernelINS0_14default_configENS1_20scan_config_selectorI3IntEEZZNS1_9scan_implILNS1_25lookback_scan_determinismE0ELb0ELb0ES3_N6thrust23THRUST_200600_302600_NS6detail15normal_iteratorINSA_10device_ptrIKS5_EEEENSC_INSD_IS5_EEEES5_NSA_4plusIvEES5_EEDaPvRmT3_T4_T5_mT6_P12ihipStream_tbENKUlT_T0_E_clISt17integral_constantIbLb1EESY_EEDaST_SU_EUlST_E_NS1_11comp_targetILNS1_3genE10ELNS1_11target_archE1200ELNS1_3gpuE4ELNS1_3repE0EEENS1_30default_config_static_selectorELNS0_4arch9wavefront6targetE1EEEvT1_
	.p2align	8
	.type	_ZN7rocprim17ROCPRIM_400000_NS6detail17trampoline_kernelINS0_14default_configENS1_20scan_config_selectorI3IntEEZZNS1_9scan_implILNS1_25lookback_scan_determinismE0ELb0ELb0ES3_N6thrust23THRUST_200600_302600_NS6detail15normal_iteratorINSA_10device_ptrIKS5_EEEENSC_INSD_IS5_EEEES5_NSA_4plusIvEES5_EEDaPvRmT3_T4_T5_mT6_P12ihipStream_tbENKUlT_T0_E_clISt17integral_constantIbLb1EESY_EEDaST_SU_EUlST_E_NS1_11comp_targetILNS1_3genE10ELNS1_11target_archE1200ELNS1_3gpuE4ELNS1_3repE0EEENS1_30default_config_static_selectorELNS0_4arch9wavefront6targetE1EEEvT1_,@function
_ZN7rocprim17ROCPRIM_400000_NS6detail17trampoline_kernelINS0_14default_configENS1_20scan_config_selectorI3IntEEZZNS1_9scan_implILNS1_25lookback_scan_determinismE0ELb0ELb0ES3_N6thrust23THRUST_200600_302600_NS6detail15normal_iteratorINSA_10device_ptrIKS5_EEEENSC_INSD_IS5_EEEES5_NSA_4plusIvEES5_EEDaPvRmT3_T4_T5_mT6_P12ihipStream_tbENKUlT_T0_E_clISt17integral_constantIbLb1EESY_EEDaST_SU_EUlST_E_NS1_11comp_targetILNS1_3genE10ELNS1_11target_archE1200ELNS1_3gpuE4ELNS1_3repE0EEENS1_30default_config_static_selectorELNS0_4arch9wavefront6targetE1EEEvT1_: ; @_ZN7rocprim17ROCPRIM_400000_NS6detail17trampoline_kernelINS0_14default_configENS1_20scan_config_selectorI3IntEEZZNS1_9scan_implILNS1_25lookback_scan_determinismE0ELb0ELb0ES3_N6thrust23THRUST_200600_302600_NS6detail15normal_iteratorINSA_10device_ptrIKS5_EEEENSC_INSD_IS5_EEEES5_NSA_4plusIvEES5_EEDaPvRmT3_T4_T5_mT6_P12ihipStream_tbENKUlT_T0_E_clISt17integral_constantIbLb1EESY_EEDaST_SU_EUlST_E_NS1_11comp_targetILNS1_3genE10ELNS1_11target_archE1200ELNS1_3gpuE4ELNS1_3repE0EEENS1_30default_config_static_selectorELNS0_4arch9wavefront6targetE1EEEvT1_
; %bb.0:
	.section	.rodata,"a",@progbits
	.p2align	6, 0x0
	.amdhsa_kernel _ZN7rocprim17ROCPRIM_400000_NS6detail17trampoline_kernelINS0_14default_configENS1_20scan_config_selectorI3IntEEZZNS1_9scan_implILNS1_25lookback_scan_determinismE0ELb0ELb0ES3_N6thrust23THRUST_200600_302600_NS6detail15normal_iteratorINSA_10device_ptrIKS5_EEEENSC_INSD_IS5_EEEES5_NSA_4plusIvEES5_EEDaPvRmT3_T4_T5_mT6_P12ihipStream_tbENKUlT_T0_E_clISt17integral_constantIbLb1EESY_EEDaST_SU_EUlST_E_NS1_11comp_targetILNS1_3genE10ELNS1_11target_archE1200ELNS1_3gpuE4ELNS1_3repE0EEENS1_30default_config_static_selectorELNS0_4arch9wavefront6targetE1EEEvT1_
		.amdhsa_group_segment_fixed_size 0
		.amdhsa_private_segment_fixed_size 0
		.amdhsa_kernarg_size 96
		.amdhsa_user_sgpr_count 6
		.amdhsa_user_sgpr_private_segment_buffer 1
		.amdhsa_user_sgpr_dispatch_ptr 0
		.amdhsa_user_sgpr_queue_ptr 0
		.amdhsa_user_sgpr_kernarg_segment_ptr 1
		.amdhsa_user_sgpr_dispatch_id 0
		.amdhsa_user_sgpr_flat_scratch_init 0
		.amdhsa_user_sgpr_kernarg_preload_length 0
		.amdhsa_user_sgpr_kernarg_preload_offset 0
		.amdhsa_user_sgpr_private_segment_size 0
		.amdhsa_uses_dynamic_stack 0
		.amdhsa_system_sgpr_private_segment_wavefront_offset 0
		.amdhsa_system_sgpr_workgroup_id_x 1
		.amdhsa_system_sgpr_workgroup_id_y 0
		.amdhsa_system_sgpr_workgroup_id_z 0
		.amdhsa_system_sgpr_workgroup_info 0
		.amdhsa_system_vgpr_workitem_id 0
		.amdhsa_next_free_vgpr 1
		.amdhsa_next_free_sgpr 0
		.amdhsa_accum_offset 4
		.amdhsa_reserve_vcc 0
		.amdhsa_reserve_flat_scratch 0
		.amdhsa_float_round_mode_32 0
		.amdhsa_float_round_mode_16_64 0
		.amdhsa_float_denorm_mode_32 3
		.amdhsa_float_denorm_mode_16_64 3
		.amdhsa_dx10_clamp 1
		.amdhsa_ieee_mode 1
		.amdhsa_fp16_overflow 0
		.amdhsa_tg_split 0
		.amdhsa_exception_fp_ieee_invalid_op 0
		.amdhsa_exception_fp_denorm_src 0
		.amdhsa_exception_fp_ieee_div_zero 0
		.amdhsa_exception_fp_ieee_overflow 0
		.amdhsa_exception_fp_ieee_underflow 0
		.amdhsa_exception_fp_ieee_inexact 0
		.amdhsa_exception_int_div_zero 0
	.end_amdhsa_kernel
	.section	.text._ZN7rocprim17ROCPRIM_400000_NS6detail17trampoline_kernelINS0_14default_configENS1_20scan_config_selectorI3IntEEZZNS1_9scan_implILNS1_25lookback_scan_determinismE0ELb0ELb0ES3_N6thrust23THRUST_200600_302600_NS6detail15normal_iteratorINSA_10device_ptrIKS5_EEEENSC_INSD_IS5_EEEES5_NSA_4plusIvEES5_EEDaPvRmT3_T4_T5_mT6_P12ihipStream_tbENKUlT_T0_E_clISt17integral_constantIbLb1EESY_EEDaST_SU_EUlST_E_NS1_11comp_targetILNS1_3genE10ELNS1_11target_archE1200ELNS1_3gpuE4ELNS1_3repE0EEENS1_30default_config_static_selectorELNS0_4arch9wavefront6targetE1EEEvT1_,"axG",@progbits,_ZN7rocprim17ROCPRIM_400000_NS6detail17trampoline_kernelINS0_14default_configENS1_20scan_config_selectorI3IntEEZZNS1_9scan_implILNS1_25lookback_scan_determinismE0ELb0ELb0ES3_N6thrust23THRUST_200600_302600_NS6detail15normal_iteratorINSA_10device_ptrIKS5_EEEENSC_INSD_IS5_EEEES5_NSA_4plusIvEES5_EEDaPvRmT3_T4_T5_mT6_P12ihipStream_tbENKUlT_T0_E_clISt17integral_constantIbLb1EESY_EEDaST_SU_EUlST_E_NS1_11comp_targetILNS1_3genE10ELNS1_11target_archE1200ELNS1_3gpuE4ELNS1_3repE0EEENS1_30default_config_static_selectorELNS0_4arch9wavefront6targetE1EEEvT1_,comdat
.Lfunc_end6930:
	.size	_ZN7rocprim17ROCPRIM_400000_NS6detail17trampoline_kernelINS0_14default_configENS1_20scan_config_selectorI3IntEEZZNS1_9scan_implILNS1_25lookback_scan_determinismE0ELb0ELb0ES3_N6thrust23THRUST_200600_302600_NS6detail15normal_iteratorINSA_10device_ptrIKS5_EEEENSC_INSD_IS5_EEEES5_NSA_4plusIvEES5_EEDaPvRmT3_T4_T5_mT6_P12ihipStream_tbENKUlT_T0_E_clISt17integral_constantIbLb1EESY_EEDaST_SU_EUlST_E_NS1_11comp_targetILNS1_3genE10ELNS1_11target_archE1200ELNS1_3gpuE4ELNS1_3repE0EEENS1_30default_config_static_selectorELNS0_4arch9wavefront6targetE1EEEvT1_, .Lfunc_end6930-_ZN7rocprim17ROCPRIM_400000_NS6detail17trampoline_kernelINS0_14default_configENS1_20scan_config_selectorI3IntEEZZNS1_9scan_implILNS1_25lookback_scan_determinismE0ELb0ELb0ES3_N6thrust23THRUST_200600_302600_NS6detail15normal_iteratorINSA_10device_ptrIKS5_EEEENSC_INSD_IS5_EEEES5_NSA_4plusIvEES5_EEDaPvRmT3_T4_T5_mT6_P12ihipStream_tbENKUlT_T0_E_clISt17integral_constantIbLb1EESY_EEDaST_SU_EUlST_E_NS1_11comp_targetILNS1_3genE10ELNS1_11target_archE1200ELNS1_3gpuE4ELNS1_3repE0EEENS1_30default_config_static_selectorELNS0_4arch9wavefront6targetE1EEEvT1_
                                        ; -- End function
	.section	.AMDGPU.csdata,"",@progbits
; Kernel info:
; codeLenInByte = 0
; NumSgprs: 4
; NumVgprs: 0
; NumAgprs: 0
; TotalNumVgprs: 0
; ScratchSize: 0
; MemoryBound: 0
; FloatMode: 240
; IeeeMode: 1
; LDSByteSize: 0 bytes/workgroup (compile time only)
; SGPRBlocks: 0
; VGPRBlocks: 0
; NumSGPRsForWavesPerEU: 4
; NumVGPRsForWavesPerEU: 1
; AccumOffset: 4
; Occupancy: 8
; WaveLimiterHint : 0
; COMPUTE_PGM_RSRC2:SCRATCH_EN: 0
; COMPUTE_PGM_RSRC2:USER_SGPR: 6
; COMPUTE_PGM_RSRC2:TRAP_HANDLER: 0
; COMPUTE_PGM_RSRC2:TGID_X_EN: 1
; COMPUTE_PGM_RSRC2:TGID_Y_EN: 0
; COMPUTE_PGM_RSRC2:TGID_Z_EN: 0
; COMPUTE_PGM_RSRC2:TIDIG_COMP_CNT: 0
; COMPUTE_PGM_RSRC3_GFX90A:ACCUM_OFFSET: 0
; COMPUTE_PGM_RSRC3_GFX90A:TG_SPLIT: 0
	.section	.text._ZN7rocprim17ROCPRIM_400000_NS6detail17trampoline_kernelINS0_14default_configENS1_20scan_config_selectorI3IntEEZZNS1_9scan_implILNS1_25lookback_scan_determinismE0ELb0ELb0ES3_N6thrust23THRUST_200600_302600_NS6detail15normal_iteratorINSA_10device_ptrIKS5_EEEENSC_INSD_IS5_EEEES5_NSA_4plusIvEES5_EEDaPvRmT3_T4_T5_mT6_P12ihipStream_tbENKUlT_T0_E_clISt17integral_constantIbLb1EESY_EEDaST_SU_EUlST_E_NS1_11comp_targetILNS1_3genE9ELNS1_11target_archE1100ELNS1_3gpuE3ELNS1_3repE0EEENS1_30default_config_static_selectorELNS0_4arch9wavefront6targetE1EEEvT1_,"axG",@progbits,_ZN7rocprim17ROCPRIM_400000_NS6detail17trampoline_kernelINS0_14default_configENS1_20scan_config_selectorI3IntEEZZNS1_9scan_implILNS1_25lookback_scan_determinismE0ELb0ELb0ES3_N6thrust23THRUST_200600_302600_NS6detail15normal_iteratorINSA_10device_ptrIKS5_EEEENSC_INSD_IS5_EEEES5_NSA_4plusIvEES5_EEDaPvRmT3_T4_T5_mT6_P12ihipStream_tbENKUlT_T0_E_clISt17integral_constantIbLb1EESY_EEDaST_SU_EUlST_E_NS1_11comp_targetILNS1_3genE9ELNS1_11target_archE1100ELNS1_3gpuE3ELNS1_3repE0EEENS1_30default_config_static_selectorELNS0_4arch9wavefront6targetE1EEEvT1_,comdat
	.protected	_ZN7rocprim17ROCPRIM_400000_NS6detail17trampoline_kernelINS0_14default_configENS1_20scan_config_selectorI3IntEEZZNS1_9scan_implILNS1_25lookback_scan_determinismE0ELb0ELb0ES3_N6thrust23THRUST_200600_302600_NS6detail15normal_iteratorINSA_10device_ptrIKS5_EEEENSC_INSD_IS5_EEEES5_NSA_4plusIvEES5_EEDaPvRmT3_T4_T5_mT6_P12ihipStream_tbENKUlT_T0_E_clISt17integral_constantIbLb1EESY_EEDaST_SU_EUlST_E_NS1_11comp_targetILNS1_3genE9ELNS1_11target_archE1100ELNS1_3gpuE3ELNS1_3repE0EEENS1_30default_config_static_selectorELNS0_4arch9wavefront6targetE1EEEvT1_ ; -- Begin function _ZN7rocprim17ROCPRIM_400000_NS6detail17trampoline_kernelINS0_14default_configENS1_20scan_config_selectorI3IntEEZZNS1_9scan_implILNS1_25lookback_scan_determinismE0ELb0ELb0ES3_N6thrust23THRUST_200600_302600_NS6detail15normal_iteratorINSA_10device_ptrIKS5_EEEENSC_INSD_IS5_EEEES5_NSA_4plusIvEES5_EEDaPvRmT3_T4_T5_mT6_P12ihipStream_tbENKUlT_T0_E_clISt17integral_constantIbLb1EESY_EEDaST_SU_EUlST_E_NS1_11comp_targetILNS1_3genE9ELNS1_11target_archE1100ELNS1_3gpuE3ELNS1_3repE0EEENS1_30default_config_static_selectorELNS0_4arch9wavefront6targetE1EEEvT1_
	.globl	_ZN7rocprim17ROCPRIM_400000_NS6detail17trampoline_kernelINS0_14default_configENS1_20scan_config_selectorI3IntEEZZNS1_9scan_implILNS1_25lookback_scan_determinismE0ELb0ELb0ES3_N6thrust23THRUST_200600_302600_NS6detail15normal_iteratorINSA_10device_ptrIKS5_EEEENSC_INSD_IS5_EEEES5_NSA_4plusIvEES5_EEDaPvRmT3_T4_T5_mT6_P12ihipStream_tbENKUlT_T0_E_clISt17integral_constantIbLb1EESY_EEDaST_SU_EUlST_E_NS1_11comp_targetILNS1_3genE9ELNS1_11target_archE1100ELNS1_3gpuE3ELNS1_3repE0EEENS1_30default_config_static_selectorELNS0_4arch9wavefront6targetE1EEEvT1_
	.p2align	8
	.type	_ZN7rocprim17ROCPRIM_400000_NS6detail17trampoline_kernelINS0_14default_configENS1_20scan_config_selectorI3IntEEZZNS1_9scan_implILNS1_25lookback_scan_determinismE0ELb0ELb0ES3_N6thrust23THRUST_200600_302600_NS6detail15normal_iteratorINSA_10device_ptrIKS5_EEEENSC_INSD_IS5_EEEES5_NSA_4plusIvEES5_EEDaPvRmT3_T4_T5_mT6_P12ihipStream_tbENKUlT_T0_E_clISt17integral_constantIbLb1EESY_EEDaST_SU_EUlST_E_NS1_11comp_targetILNS1_3genE9ELNS1_11target_archE1100ELNS1_3gpuE3ELNS1_3repE0EEENS1_30default_config_static_selectorELNS0_4arch9wavefront6targetE1EEEvT1_,@function
_ZN7rocprim17ROCPRIM_400000_NS6detail17trampoline_kernelINS0_14default_configENS1_20scan_config_selectorI3IntEEZZNS1_9scan_implILNS1_25lookback_scan_determinismE0ELb0ELb0ES3_N6thrust23THRUST_200600_302600_NS6detail15normal_iteratorINSA_10device_ptrIKS5_EEEENSC_INSD_IS5_EEEES5_NSA_4plusIvEES5_EEDaPvRmT3_T4_T5_mT6_P12ihipStream_tbENKUlT_T0_E_clISt17integral_constantIbLb1EESY_EEDaST_SU_EUlST_E_NS1_11comp_targetILNS1_3genE9ELNS1_11target_archE1100ELNS1_3gpuE3ELNS1_3repE0EEENS1_30default_config_static_selectorELNS0_4arch9wavefront6targetE1EEEvT1_: ; @_ZN7rocprim17ROCPRIM_400000_NS6detail17trampoline_kernelINS0_14default_configENS1_20scan_config_selectorI3IntEEZZNS1_9scan_implILNS1_25lookback_scan_determinismE0ELb0ELb0ES3_N6thrust23THRUST_200600_302600_NS6detail15normal_iteratorINSA_10device_ptrIKS5_EEEENSC_INSD_IS5_EEEES5_NSA_4plusIvEES5_EEDaPvRmT3_T4_T5_mT6_P12ihipStream_tbENKUlT_T0_E_clISt17integral_constantIbLb1EESY_EEDaST_SU_EUlST_E_NS1_11comp_targetILNS1_3genE9ELNS1_11target_archE1100ELNS1_3gpuE3ELNS1_3repE0EEENS1_30default_config_static_selectorELNS0_4arch9wavefront6targetE1EEEvT1_
; %bb.0:
	.section	.rodata,"a",@progbits
	.p2align	6, 0x0
	.amdhsa_kernel _ZN7rocprim17ROCPRIM_400000_NS6detail17trampoline_kernelINS0_14default_configENS1_20scan_config_selectorI3IntEEZZNS1_9scan_implILNS1_25lookback_scan_determinismE0ELb0ELb0ES3_N6thrust23THRUST_200600_302600_NS6detail15normal_iteratorINSA_10device_ptrIKS5_EEEENSC_INSD_IS5_EEEES5_NSA_4plusIvEES5_EEDaPvRmT3_T4_T5_mT6_P12ihipStream_tbENKUlT_T0_E_clISt17integral_constantIbLb1EESY_EEDaST_SU_EUlST_E_NS1_11comp_targetILNS1_3genE9ELNS1_11target_archE1100ELNS1_3gpuE3ELNS1_3repE0EEENS1_30default_config_static_selectorELNS0_4arch9wavefront6targetE1EEEvT1_
		.amdhsa_group_segment_fixed_size 0
		.amdhsa_private_segment_fixed_size 0
		.amdhsa_kernarg_size 96
		.amdhsa_user_sgpr_count 6
		.amdhsa_user_sgpr_private_segment_buffer 1
		.amdhsa_user_sgpr_dispatch_ptr 0
		.amdhsa_user_sgpr_queue_ptr 0
		.amdhsa_user_sgpr_kernarg_segment_ptr 1
		.amdhsa_user_sgpr_dispatch_id 0
		.amdhsa_user_sgpr_flat_scratch_init 0
		.amdhsa_user_sgpr_kernarg_preload_length 0
		.amdhsa_user_sgpr_kernarg_preload_offset 0
		.amdhsa_user_sgpr_private_segment_size 0
		.amdhsa_uses_dynamic_stack 0
		.amdhsa_system_sgpr_private_segment_wavefront_offset 0
		.amdhsa_system_sgpr_workgroup_id_x 1
		.amdhsa_system_sgpr_workgroup_id_y 0
		.amdhsa_system_sgpr_workgroup_id_z 0
		.amdhsa_system_sgpr_workgroup_info 0
		.amdhsa_system_vgpr_workitem_id 0
		.amdhsa_next_free_vgpr 1
		.amdhsa_next_free_sgpr 0
		.amdhsa_accum_offset 4
		.amdhsa_reserve_vcc 0
		.amdhsa_reserve_flat_scratch 0
		.amdhsa_float_round_mode_32 0
		.amdhsa_float_round_mode_16_64 0
		.amdhsa_float_denorm_mode_32 3
		.amdhsa_float_denorm_mode_16_64 3
		.amdhsa_dx10_clamp 1
		.amdhsa_ieee_mode 1
		.amdhsa_fp16_overflow 0
		.amdhsa_tg_split 0
		.amdhsa_exception_fp_ieee_invalid_op 0
		.amdhsa_exception_fp_denorm_src 0
		.amdhsa_exception_fp_ieee_div_zero 0
		.amdhsa_exception_fp_ieee_overflow 0
		.amdhsa_exception_fp_ieee_underflow 0
		.amdhsa_exception_fp_ieee_inexact 0
		.amdhsa_exception_int_div_zero 0
	.end_amdhsa_kernel
	.section	.text._ZN7rocprim17ROCPRIM_400000_NS6detail17trampoline_kernelINS0_14default_configENS1_20scan_config_selectorI3IntEEZZNS1_9scan_implILNS1_25lookback_scan_determinismE0ELb0ELb0ES3_N6thrust23THRUST_200600_302600_NS6detail15normal_iteratorINSA_10device_ptrIKS5_EEEENSC_INSD_IS5_EEEES5_NSA_4plusIvEES5_EEDaPvRmT3_T4_T5_mT6_P12ihipStream_tbENKUlT_T0_E_clISt17integral_constantIbLb1EESY_EEDaST_SU_EUlST_E_NS1_11comp_targetILNS1_3genE9ELNS1_11target_archE1100ELNS1_3gpuE3ELNS1_3repE0EEENS1_30default_config_static_selectorELNS0_4arch9wavefront6targetE1EEEvT1_,"axG",@progbits,_ZN7rocprim17ROCPRIM_400000_NS6detail17trampoline_kernelINS0_14default_configENS1_20scan_config_selectorI3IntEEZZNS1_9scan_implILNS1_25lookback_scan_determinismE0ELb0ELb0ES3_N6thrust23THRUST_200600_302600_NS6detail15normal_iteratorINSA_10device_ptrIKS5_EEEENSC_INSD_IS5_EEEES5_NSA_4plusIvEES5_EEDaPvRmT3_T4_T5_mT6_P12ihipStream_tbENKUlT_T0_E_clISt17integral_constantIbLb1EESY_EEDaST_SU_EUlST_E_NS1_11comp_targetILNS1_3genE9ELNS1_11target_archE1100ELNS1_3gpuE3ELNS1_3repE0EEENS1_30default_config_static_selectorELNS0_4arch9wavefront6targetE1EEEvT1_,comdat
.Lfunc_end6931:
	.size	_ZN7rocprim17ROCPRIM_400000_NS6detail17trampoline_kernelINS0_14default_configENS1_20scan_config_selectorI3IntEEZZNS1_9scan_implILNS1_25lookback_scan_determinismE0ELb0ELb0ES3_N6thrust23THRUST_200600_302600_NS6detail15normal_iteratorINSA_10device_ptrIKS5_EEEENSC_INSD_IS5_EEEES5_NSA_4plusIvEES5_EEDaPvRmT3_T4_T5_mT6_P12ihipStream_tbENKUlT_T0_E_clISt17integral_constantIbLb1EESY_EEDaST_SU_EUlST_E_NS1_11comp_targetILNS1_3genE9ELNS1_11target_archE1100ELNS1_3gpuE3ELNS1_3repE0EEENS1_30default_config_static_selectorELNS0_4arch9wavefront6targetE1EEEvT1_, .Lfunc_end6931-_ZN7rocprim17ROCPRIM_400000_NS6detail17trampoline_kernelINS0_14default_configENS1_20scan_config_selectorI3IntEEZZNS1_9scan_implILNS1_25lookback_scan_determinismE0ELb0ELb0ES3_N6thrust23THRUST_200600_302600_NS6detail15normal_iteratorINSA_10device_ptrIKS5_EEEENSC_INSD_IS5_EEEES5_NSA_4plusIvEES5_EEDaPvRmT3_T4_T5_mT6_P12ihipStream_tbENKUlT_T0_E_clISt17integral_constantIbLb1EESY_EEDaST_SU_EUlST_E_NS1_11comp_targetILNS1_3genE9ELNS1_11target_archE1100ELNS1_3gpuE3ELNS1_3repE0EEENS1_30default_config_static_selectorELNS0_4arch9wavefront6targetE1EEEvT1_
                                        ; -- End function
	.section	.AMDGPU.csdata,"",@progbits
; Kernel info:
; codeLenInByte = 0
; NumSgprs: 4
; NumVgprs: 0
; NumAgprs: 0
; TotalNumVgprs: 0
; ScratchSize: 0
; MemoryBound: 0
; FloatMode: 240
; IeeeMode: 1
; LDSByteSize: 0 bytes/workgroup (compile time only)
; SGPRBlocks: 0
; VGPRBlocks: 0
; NumSGPRsForWavesPerEU: 4
; NumVGPRsForWavesPerEU: 1
; AccumOffset: 4
; Occupancy: 8
; WaveLimiterHint : 0
; COMPUTE_PGM_RSRC2:SCRATCH_EN: 0
; COMPUTE_PGM_RSRC2:USER_SGPR: 6
; COMPUTE_PGM_RSRC2:TRAP_HANDLER: 0
; COMPUTE_PGM_RSRC2:TGID_X_EN: 1
; COMPUTE_PGM_RSRC2:TGID_Y_EN: 0
; COMPUTE_PGM_RSRC2:TGID_Z_EN: 0
; COMPUTE_PGM_RSRC2:TIDIG_COMP_CNT: 0
; COMPUTE_PGM_RSRC3_GFX90A:ACCUM_OFFSET: 0
; COMPUTE_PGM_RSRC3_GFX90A:TG_SPLIT: 0
	.section	.text._ZN7rocprim17ROCPRIM_400000_NS6detail17trampoline_kernelINS0_14default_configENS1_20scan_config_selectorI3IntEEZZNS1_9scan_implILNS1_25lookback_scan_determinismE0ELb0ELb0ES3_N6thrust23THRUST_200600_302600_NS6detail15normal_iteratorINSA_10device_ptrIKS5_EEEENSC_INSD_IS5_EEEES5_NSA_4plusIvEES5_EEDaPvRmT3_T4_T5_mT6_P12ihipStream_tbENKUlT_T0_E_clISt17integral_constantIbLb1EESY_EEDaST_SU_EUlST_E_NS1_11comp_targetILNS1_3genE8ELNS1_11target_archE1030ELNS1_3gpuE2ELNS1_3repE0EEENS1_30default_config_static_selectorELNS0_4arch9wavefront6targetE1EEEvT1_,"axG",@progbits,_ZN7rocprim17ROCPRIM_400000_NS6detail17trampoline_kernelINS0_14default_configENS1_20scan_config_selectorI3IntEEZZNS1_9scan_implILNS1_25lookback_scan_determinismE0ELb0ELb0ES3_N6thrust23THRUST_200600_302600_NS6detail15normal_iteratorINSA_10device_ptrIKS5_EEEENSC_INSD_IS5_EEEES5_NSA_4plusIvEES5_EEDaPvRmT3_T4_T5_mT6_P12ihipStream_tbENKUlT_T0_E_clISt17integral_constantIbLb1EESY_EEDaST_SU_EUlST_E_NS1_11comp_targetILNS1_3genE8ELNS1_11target_archE1030ELNS1_3gpuE2ELNS1_3repE0EEENS1_30default_config_static_selectorELNS0_4arch9wavefront6targetE1EEEvT1_,comdat
	.protected	_ZN7rocprim17ROCPRIM_400000_NS6detail17trampoline_kernelINS0_14default_configENS1_20scan_config_selectorI3IntEEZZNS1_9scan_implILNS1_25lookback_scan_determinismE0ELb0ELb0ES3_N6thrust23THRUST_200600_302600_NS6detail15normal_iteratorINSA_10device_ptrIKS5_EEEENSC_INSD_IS5_EEEES5_NSA_4plusIvEES5_EEDaPvRmT3_T4_T5_mT6_P12ihipStream_tbENKUlT_T0_E_clISt17integral_constantIbLb1EESY_EEDaST_SU_EUlST_E_NS1_11comp_targetILNS1_3genE8ELNS1_11target_archE1030ELNS1_3gpuE2ELNS1_3repE0EEENS1_30default_config_static_selectorELNS0_4arch9wavefront6targetE1EEEvT1_ ; -- Begin function _ZN7rocprim17ROCPRIM_400000_NS6detail17trampoline_kernelINS0_14default_configENS1_20scan_config_selectorI3IntEEZZNS1_9scan_implILNS1_25lookback_scan_determinismE0ELb0ELb0ES3_N6thrust23THRUST_200600_302600_NS6detail15normal_iteratorINSA_10device_ptrIKS5_EEEENSC_INSD_IS5_EEEES5_NSA_4plusIvEES5_EEDaPvRmT3_T4_T5_mT6_P12ihipStream_tbENKUlT_T0_E_clISt17integral_constantIbLb1EESY_EEDaST_SU_EUlST_E_NS1_11comp_targetILNS1_3genE8ELNS1_11target_archE1030ELNS1_3gpuE2ELNS1_3repE0EEENS1_30default_config_static_selectorELNS0_4arch9wavefront6targetE1EEEvT1_
	.globl	_ZN7rocprim17ROCPRIM_400000_NS6detail17trampoline_kernelINS0_14default_configENS1_20scan_config_selectorI3IntEEZZNS1_9scan_implILNS1_25lookback_scan_determinismE0ELb0ELb0ES3_N6thrust23THRUST_200600_302600_NS6detail15normal_iteratorINSA_10device_ptrIKS5_EEEENSC_INSD_IS5_EEEES5_NSA_4plusIvEES5_EEDaPvRmT3_T4_T5_mT6_P12ihipStream_tbENKUlT_T0_E_clISt17integral_constantIbLb1EESY_EEDaST_SU_EUlST_E_NS1_11comp_targetILNS1_3genE8ELNS1_11target_archE1030ELNS1_3gpuE2ELNS1_3repE0EEENS1_30default_config_static_selectorELNS0_4arch9wavefront6targetE1EEEvT1_
	.p2align	8
	.type	_ZN7rocprim17ROCPRIM_400000_NS6detail17trampoline_kernelINS0_14default_configENS1_20scan_config_selectorI3IntEEZZNS1_9scan_implILNS1_25lookback_scan_determinismE0ELb0ELb0ES3_N6thrust23THRUST_200600_302600_NS6detail15normal_iteratorINSA_10device_ptrIKS5_EEEENSC_INSD_IS5_EEEES5_NSA_4plusIvEES5_EEDaPvRmT3_T4_T5_mT6_P12ihipStream_tbENKUlT_T0_E_clISt17integral_constantIbLb1EESY_EEDaST_SU_EUlST_E_NS1_11comp_targetILNS1_3genE8ELNS1_11target_archE1030ELNS1_3gpuE2ELNS1_3repE0EEENS1_30default_config_static_selectorELNS0_4arch9wavefront6targetE1EEEvT1_,@function
_ZN7rocprim17ROCPRIM_400000_NS6detail17trampoline_kernelINS0_14default_configENS1_20scan_config_selectorI3IntEEZZNS1_9scan_implILNS1_25lookback_scan_determinismE0ELb0ELb0ES3_N6thrust23THRUST_200600_302600_NS6detail15normal_iteratorINSA_10device_ptrIKS5_EEEENSC_INSD_IS5_EEEES5_NSA_4plusIvEES5_EEDaPvRmT3_T4_T5_mT6_P12ihipStream_tbENKUlT_T0_E_clISt17integral_constantIbLb1EESY_EEDaST_SU_EUlST_E_NS1_11comp_targetILNS1_3genE8ELNS1_11target_archE1030ELNS1_3gpuE2ELNS1_3repE0EEENS1_30default_config_static_selectorELNS0_4arch9wavefront6targetE1EEEvT1_: ; @_ZN7rocprim17ROCPRIM_400000_NS6detail17trampoline_kernelINS0_14default_configENS1_20scan_config_selectorI3IntEEZZNS1_9scan_implILNS1_25lookback_scan_determinismE0ELb0ELb0ES3_N6thrust23THRUST_200600_302600_NS6detail15normal_iteratorINSA_10device_ptrIKS5_EEEENSC_INSD_IS5_EEEES5_NSA_4plusIvEES5_EEDaPvRmT3_T4_T5_mT6_P12ihipStream_tbENKUlT_T0_E_clISt17integral_constantIbLb1EESY_EEDaST_SU_EUlST_E_NS1_11comp_targetILNS1_3genE8ELNS1_11target_archE1030ELNS1_3gpuE2ELNS1_3repE0EEENS1_30default_config_static_selectorELNS0_4arch9wavefront6targetE1EEEvT1_
; %bb.0:
	.section	.rodata,"a",@progbits
	.p2align	6, 0x0
	.amdhsa_kernel _ZN7rocprim17ROCPRIM_400000_NS6detail17trampoline_kernelINS0_14default_configENS1_20scan_config_selectorI3IntEEZZNS1_9scan_implILNS1_25lookback_scan_determinismE0ELb0ELb0ES3_N6thrust23THRUST_200600_302600_NS6detail15normal_iteratorINSA_10device_ptrIKS5_EEEENSC_INSD_IS5_EEEES5_NSA_4plusIvEES5_EEDaPvRmT3_T4_T5_mT6_P12ihipStream_tbENKUlT_T0_E_clISt17integral_constantIbLb1EESY_EEDaST_SU_EUlST_E_NS1_11comp_targetILNS1_3genE8ELNS1_11target_archE1030ELNS1_3gpuE2ELNS1_3repE0EEENS1_30default_config_static_selectorELNS0_4arch9wavefront6targetE1EEEvT1_
		.amdhsa_group_segment_fixed_size 0
		.amdhsa_private_segment_fixed_size 0
		.amdhsa_kernarg_size 96
		.amdhsa_user_sgpr_count 6
		.amdhsa_user_sgpr_private_segment_buffer 1
		.amdhsa_user_sgpr_dispatch_ptr 0
		.amdhsa_user_sgpr_queue_ptr 0
		.amdhsa_user_sgpr_kernarg_segment_ptr 1
		.amdhsa_user_sgpr_dispatch_id 0
		.amdhsa_user_sgpr_flat_scratch_init 0
		.amdhsa_user_sgpr_kernarg_preload_length 0
		.amdhsa_user_sgpr_kernarg_preload_offset 0
		.amdhsa_user_sgpr_private_segment_size 0
		.amdhsa_uses_dynamic_stack 0
		.amdhsa_system_sgpr_private_segment_wavefront_offset 0
		.amdhsa_system_sgpr_workgroup_id_x 1
		.amdhsa_system_sgpr_workgroup_id_y 0
		.amdhsa_system_sgpr_workgroup_id_z 0
		.amdhsa_system_sgpr_workgroup_info 0
		.amdhsa_system_vgpr_workitem_id 0
		.amdhsa_next_free_vgpr 1
		.amdhsa_next_free_sgpr 0
		.amdhsa_accum_offset 4
		.amdhsa_reserve_vcc 0
		.amdhsa_reserve_flat_scratch 0
		.amdhsa_float_round_mode_32 0
		.amdhsa_float_round_mode_16_64 0
		.amdhsa_float_denorm_mode_32 3
		.amdhsa_float_denorm_mode_16_64 3
		.amdhsa_dx10_clamp 1
		.amdhsa_ieee_mode 1
		.amdhsa_fp16_overflow 0
		.amdhsa_tg_split 0
		.amdhsa_exception_fp_ieee_invalid_op 0
		.amdhsa_exception_fp_denorm_src 0
		.amdhsa_exception_fp_ieee_div_zero 0
		.amdhsa_exception_fp_ieee_overflow 0
		.amdhsa_exception_fp_ieee_underflow 0
		.amdhsa_exception_fp_ieee_inexact 0
		.amdhsa_exception_int_div_zero 0
	.end_amdhsa_kernel
	.section	.text._ZN7rocprim17ROCPRIM_400000_NS6detail17trampoline_kernelINS0_14default_configENS1_20scan_config_selectorI3IntEEZZNS1_9scan_implILNS1_25lookback_scan_determinismE0ELb0ELb0ES3_N6thrust23THRUST_200600_302600_NS6detail15normal_iteratorINSA_10device_ptrIKS5_EEEENSC_INSD_IS5_EEEES5_NSA_4plusIvEES5_EEDaPvRmT3_T4_T5_mT6_P12ihipStream_tbENKUlT_T0_E_clISt17integral_constantIbLb1EESY_EEDaST_SU_EUlST_E_NS1_11comp_targetILNS1_3genE8ELNS1_11target_archE1030ELNS1_3gpuE2ELNS1_3repE0EEENS1_30default_config_static_selectorELNS0_4arch9wavefront6targetE1EEEvT1_,"axG",@progbits,_ZN7rocprim17ROCPRIM_400000_NS6detail17trampoline_kernelINS0_14default_configENS1_20scan_config_selectorI3IntEEZZNS1_9scan_implILNS1_25lookback_scan_determinismE0ELb0ELb0ES3_N6thrust23THRUST_200600_302600_NS6detail15normal_iteratorINSA_10device_ptrIKS5_EEEENSC_INSD_IS5_EEEES5_NSA_4plusIvEES5_EEDaPvRmT3_T4_T5_mT6_P12ihipStream_tbENKUlT_T0_E_clISt17integral_constantIbLb1EESY_EEDaST_SU_EUlST_E_NS1_11comp_targetILNS1_3genE8ELNS1_11target_archE1030ELNS1_3gpuE2ELNS1_3repE0EEENS1_30default_config_static_selectorELNS0_4arch9wavefront6targetE1EEEvT1_,comdat
.Lfunc_end6932:
	.size	_ZN7rocprim17ROCPRIM_400000_NS6detail17trampoline_kernelINS0_14default_configENS1_20scan_config_selectorI3IntEEZZNS1_9scan_implILNS1_25lookback_scan_determinismE0ELb0ELb0ES3_N6thrust23THRUST_200600_302600_NS6detail15normal_iteratorINSA_10device_ptrIKS5_EEEENSC_INSD_IS5_EEEES5_NSA_4plusIvEES5_EEDaPvRmT3_T4_T5_mT6_P12ihipStream_tbENKUlT_T0_E_clISt17integral_constantIbLb1EESY_EEDaST_SU_EUlST_E_NS1_11comp_targetILNS1_3genE8ELNS1_11target_archE1030ELNS1_3gpuE2ELNS1_3repE0EEENS1_30default_config_static_selectorELNS0_4arch9wavefront6targetE1EEEvT1_, .Lfunc_end6932-_ZN7rocprim17ROCPRIM_400000_NS6detail17trampoline_kernelINS0_14default_configENS1_20scan_config_selectorI3IntEEZZNS1_9scan_implILNS1_25lookback_scan_determinismE0ELb0ELb0ES3_N6thrust23THRUST_200600_302600_NS6detail15normal_iteratorINSA_10device_ptrIKS5_EEEENSC_INSD_IS5_EEEES5_NSA_4plusIvEES5_EEDaPvRmT3_T4_T5_mT6_P12ihipStream_tbENKUlT_T0_E_clISt17integral_constantIbLb1EESY_EEDaST_SU_EUlST_E_NS1_11comp_targetILNS1_3genE8ELNS1_11target_archE1030ELNS1_3gpuE2ELNS1_3repE0EEENS1_30default_config_static_selectorELNS0_4arch9wavefront6targetE1EEEvT1_
                                        ; -- End function
	.section	.AMDGPU.csdata,"",@progbits
; Kernel info:
; codeLenInByte = 0
; NumSgprs: 4
; NumVgprs: 0
; NumAgprs: 0
; TotalNumVgprs: 0
; ScratchSize: 0
; MemoryBound: 0
; FloatMode: 240
; IeeeMode: 1
; LDSByteSize: 0 bytes/workgroup (compile time only)
; SGPRBlocks: 0
; VGPRBlocks: 0
; NumSGPRsForWavesPerEU: 4
; NumVGPRsForWavesPerEU: 1
; AccumOffset: 4
; Occupancy: 8
; WaveLimiterHint : 0
; COMPUTE_PGM_RSRC2:SCRATCH_EN: 0
; COMPUTE_PGM_RSRC2:USER_SGPR: 6
; COMPUTE_PGM_RSRC2:TRAP_HANDLER: 0
; COMPUTE_PGM_RSRC2:TGID_X_EN: 1
; COMPUTE_PGM_RSRC2:TGID_Y_EN: 0
; COMPUTE_PGM_RSRC2:TGID_Z_EN: 0
; COMPUTE_PGM_RSRC2:TIDIG_COMP_CNT: 0
; COMPUTE_PGM_RSRC3_GFX90A:ACCUM_OFFSET: 0
; COMPUTE_PGM_RSRC3_GFX90A:TG_SPLIT: 0
	.section	.text._ZN7rocprim17ROCPRIM_400000_NS6detail17trampoline_kernelINS0_14default_configENS1_20scan_config_selectorI3IntEEZZNS1_9scan_implILNS1_25lookback_scan_determinismE0ELb0ELb0ES3_N6thrust23THRUST_200600_302600_NS6detail15normal_iteratorINSA_10device_ptrIKS5_EEEENSC_INSD_IS5_EEEES5_NSA_4plusIvEES5_EEDaPvRmT3_T4_T5_mT6_P12ihipStream_tbENKUlT_T0_E_clISt17integral_constantIbLb1EESY_EEDaST_SU_EUlST_E0_NS1_11comp_targetILNS1_3genE0ELNS1_11target_archE4294967295ELNS1_3gpuE0ELNS1_3repE0EEENS1_30default_config_static_selectorELNS0_4arch9wavefront6targetE1EEEvT1_,"axG",@progbits,_ZN7rocprim17ROCPRIM_400000_NS6detail17trampoline_kernelINS0_14default_configENS1_20scan_config_selectorI3IntEEZZNS1_9scan_implILNS1_25lookback_scan_determinismE0ELb0ELb0ES3_N6thrust23THRUST_200600_302600_NS6detail15normal_iteratorINSA_10device_ptrIKS5_EEEENSC_INSD_IS5_EEEES5_NSA_4plusIvEES5_EEDaPvRmT3_T4_T5_mT6_P12ihipStream_tbENKUlT_T0_E_clISt17integral_constantIbLb1EESY_EEDaST_SU_EUlST_E0_NS1_11comp_targetILNS1_3genE0ELNS1_11target_archE4294967295ELNS1_3gpuE0ELNS1_3repE0EEENS1_30default_config_static_selectorELNS0_4arch9wavefront6targetE1EEEvT1_,comdat
	.protected	_ZN7rocprim17ROCPRIM_400000_NS6detail17trampoline_kernelINS0_14default_configENS1_20scan_config_selectorI3IntEEZZNS1_9scan_implILNS1_25lookback_scan_determinismE0ELb0ELb0ES3_N6thrust23THRUST_200600_302600_NS6detail15normal_iteratorINSA_10device_ptrIKS5_EEEENSC_INSD_IS5_EEEES5_NSA_4plusIvEES5_EEDaPvRmT3_T4_T5_mT6_P12ihipStream_tbENKUlT_T0_E_clISt17integral_constantIbLb1EESY_EEDaST_SU_EUlST_E0_NS1_11comp_targetILNS1_3genE0ELNS1_11target_archE4294967295ELNS1_3gpuE0ELNS1_3repE0EEENS1_30default_config_static_selectorELNS0_4arch9wavefront6targetE1EEEvT1_ ; -- Begin function _ZN7rocprim17ROCPRIM_400000_NS6detail17trampoline_kernelINS0_14default_configENS1_20scan_config_selectorI3IntEEZZNS1_9scan_implILNS1_25lookback_scan_determinismE0ELb0ELb0ES3_N6thrust23THRUST_200600_302600_NS6detail15normal_iteratorINSA_10device_ptrIKS5_EEEENSC_INSD_IS5_EEEES5_NSA_4plusIvEES5_EEDaPvRmT3_T4_T5_mT6_P12ihipStream_tbENKUlT_T0_E_clISt17integral_constantIbLb1EESY_EEDaST_SU_EUlST_E0_NS1_11comp_targetILNS1_3genE0ELNS1_11target_archE4294967295ELNS1_3gpuE0ELNS1_3repE0EEENS1_30default_config_static_selectorELNS0_4arch9wavefront6targetE1EEEvT1_
	.globl	_ZN7rocprim17ROCPRIM_400000_NS6detail17trampoline_kernelINS0_14default_configENS1_20scan_config_selectorI3IntEEZZNS1_9scan_implILNS1_25lookback_scan_determinismE0ELb0ELb0ES3_N6thrust23THRUST_200600_302600_NS6detail15normal_iteratorINSA_10device_ptrIKS5_EEEENSC_INSD_IS5_EEEES5_NSA_4plusIvEES5_EEDaPvRmT3_T4_T5_mT6_P12ihipStream_tbENKUlT_T0_E_clISt17integral_constantIbLb1EESY_EEDaST_SU_EUlST_E0_NS1_11comp_targetILNS1_3genE0ELNS1_11target_archE4294967295ELNS1_3gpuE0ELNS1_3repE0EEENS1_30default_config_static_selectorELNS0_4arch9wavefront6targetE1EEEvT1_
	.p2align	8
	.type	_ZN7rocprim17ROCPRIM_400000_NS6detail17trampoline_kernelINS0_14default_configENS1_20scan_config_selectorI3IntEEZZNS1_9scan_implILNS1_25lookback_scan_determinismE0ELb0ELb0ES3_N6thrust23THRUST_200600_302600_NS6detail15normal_iteratorINSA_10device_ptrIKS5_EEEENSC_INSD_IS5_EEEES5_NSA_4plusIvEES5_EEDaPvRmT3_T4_T5_mT6_P12ihipStream_tbENKUlT_T0_E_clISt17integral_constantIbLb1EESY_EEDaST_SU_EUlST_E0_NS1_11comp_targetILNS1_3genE0ELNS1_11target_archE4294967295ELNS1_3gpuE0ELNS1_3repE0EEENS1_30default_config_static_selectorELNS0_4arch9wavefront6targetE1EEEvT1_,@function
_ZN7rocprim17ROCPRIM_400000_NS6detail17trampoline_kernelINS0_14default_configENS1_20scan_config_selectorI3IntEEZZNS1_9scan_implILNS1_25lookback_scan_determinismE0ELb0ELb0ES3_N6thrust23THRUST_200600_302600_NS6detail15normal_iteratorINSA_10device_ptrIKS5_EEEENSC_INSD_IS5_EEEES5_NSA_4plusIvEES5_EEDaPvRmT3_T4_T5_mT6_P12ihipStream_tbENKUlT_T0_E_clISt17integral_constantIbLb1EESY_EEDaST_SU_EUlST_E0_NS1_11comp_targetILNS1_3genE0ELNS1_11target_archE4294967295ELNS1_3gpuE0ELNS1_3repE0EEENS1_30default_config_static_selectorELNS0_4arch9wavefront6targetE1EEEvT1_: ; @_ZN7rocprim17ROCPRIM_400000_NS6detail17trampoline_kernelINS0_14default_configENS1_20scan_config_selectorI3IntEEZZNS1_9scan_implILNS1_25lookback_scan_determinismE0ELb0ELb0ES3_N6thrust23THRUST_200600_302600_NS6detail15normal_iteratorINSA_10device_ptrIKS5_EEEENSC_INSD_IS5_EEEES5_NSA_4plusIvEES5_EEDaPvRmT3_T4_T5_mT6_P12ihipStream_tbENKUlT_T0_E_clISt17integral_constantIbLb1EESY_EEDaST_SU_EUlST_E0_NS1_11comp_targetILNS1_3genE0ELNS1_11target_archE4294967295ELNS1_3gpuE0ELNS1_3repE0EEENS1_30default_config_static_selectorELNS0_4arch9wavefront6targetE1EEEvT1_
; %bb.0:
	.section	.rodata,"a",@progbits
	.p2align	6, 0x0
	.amdhsa_kernel _ZN7rocprim17ROCPRIM_400000_NS6detail17trampoline_kernelINS0_14default_configENS1_20scan_config_selectorI3IntEEZZNS1_9scan_implILNS1_25lookback_scan_determinismE0ELb0ELb0ES3_N6thrust23THRUST_200600_302600_NS6detail15normal_iteratorINSA_10device_ptrIKS5_EEEENSC_INSD_IS5_EEEES5_NSA_4plusIvEES5_EEDaPvRmT3_T4_T5_mT6_P12ihipStream_tbENKUlT_T0_E_clISt17integral_constantIbLb1EESY_EEDaST_SU_EUlST_E0_NS1_11comp_targetILNS1_3genE0ELNS1_11target_archE4294967295ELNS1_3gpuE0ELNS1_3repE0EEENS1_30default_config_static_selectorELNS0_4arch9wavefront6targetE1EEEvT1_
		.amdhsa_group_segment_fixed_size 0
		.amdhsa_private_segment_fixed_size 0
		.amdhsa_kernarg_size 32
		.amdhsa_user_sgpr_count 6
		.amdhsa_user_sgpr_private_segment_buffer 1
		.amdhsa_user_sgpr_dispatch_ptr 0
		.amdhsa_user_sgpr_queue_ptr 0
		.amdhsa_user_sgpr_kernarg_segment_ptr 1
		.amdhsa_user_sgpr_dispatch_id 0
		.amdhsa_user_sgpr_flat_scratch_init 0
		.amdhsa_user_sgpr_kernarg_preload_length 0
		.amdhsa_user_sgpr_kernarg_preload_offset 0
		.amdhsa_user_sgpr_private_segment_size 0
		.amdhsa_uses_dynamic_stack 0
		.amdhsa_system_sgpr_private_segment_wavefront_offset 0
		.amdhsa_system_sgpr_workgroup_id_x 1
		.amdhsa_system_sgpr_workgroup_id_y 0
		.amdhsa_system_sgpr_workgroup_id_z 0
		.amdhsa_system_sgpr_workgroup_info 0
		.amdhsa_system_vgpr_workitem_id 0
		.amdhsa_next_free_vgpr 1
		.amdhsa_next_free_sgpr 0
		.amdhsa_accum_offset 4
		.amdhsa_reserve_vcc 0
		.amdhsa_reserve_flat_scratch 0
		.amdhsa_float_round_mode_32 0
		.amdhsa_float_round_mode_16_64 0
		.amdhsa_float_denorm_mode_32 3
		.amdhsa_float_denorm_mode_16_64 3
		.amdhsa_dx10_clamp 1
		.amdhsa_ieee_mode 1
		.amdhsa_fp16_overflow 0
		.amdhsa_tg_split 0
		.amdhsa_exception_fp_ieee_invalid_op 0
		.amdhsa_exception_fp_denorm_src 0
		.amdhsa_exception_fp_ieee_div_zero 0
		.amdhsa_exception_fp_ieee_overflow 0
		.amdhsa_exception_fp_ieee_underflow 0
		.amdhsa_exception_fp_ieee_inexact 0
		.amdhsa_exception_int_div_zero 0
	.end_amdhsa_kernel
	.section	.text._ZN7rocprim17ROCPRIM_400000_NS6detail17trampoline_kernelINS0_14default_configENS1_20scan_config_selectorI3IntEEZZNS1_9scan_implILNS1_25lookback_scan_determinismE0ELb0ELb0ES3_N6thrust23THRUST_200600_302600_NS6detail15normal_iteratorINSA_10device_ptrIKS5_EEEENSC_INSD_IS5_EEEES5_NSA_4plusIvEES5_EEDaPvRmT3_T4_T5_mT6_P12ihipStream_tbENKUlT_T0_E_clISt17integral_constantIbLb1EESY_EEDaST_SU_EUlST_E0_NS1_11comp_targetILNS1_3genE0ELNS1_11target_archE4294967295ELNS1_3gpuE0ELNS1_3repE0EEENS1_30default_config_static_selectorELNS0_4arch9wavefront6targetE1EEEvT1_,"axG",@progbits,_ZN7rocprim17ROCPRIM_400000_NS6detail17trampoline_kernelINS0_14default_configENS1_20scan_config_selectorI3IntEEZZNS1_9scan_implILNS1_25lookback_scan_determinismE0ELb0ELb0ES3_N6thrust23THRUST_200600_302600_NS6detail15normal_iteratorINSA_10device_ptrIKS5_EEEENSC_INSD_IS5_EEEES5_NSA_4plusIvEES5_EEDaPvRmT3_T4_T5_mT6_P12ihipStream_tbENKUlT_T0_E_clISt17integral_constantIbLb1EESY_EEDaST_SU_EUlST_E0_NS1_11comp_targetILNS1_3genE0ELNS1_11target_archE4294967295ELNS1_3gpuE0ELNS1_3repE0EEENS1_30default_config_static_selectorELNS0_4arch9wavefront6targetE1EEEvT1_,comdat
.Lfunc_end6933:
	.size	_ZN7rocprim17ROCPRIM_400000_NS6detail17trampoline_kernelINS0_14default_configENS1_20scan_config_selectorI3IntEEZZNS1_9scan_implILNS1_25lookback_scan_determinismE0ELb0ELb0ES3_N6thrust23THRUST_200600_302600_NS6detail15normal_iteratorINSA_10device_ptrIKS5_EEEENSC_INSD_IS5_EEEES5_NSA_4plusIvEES5_EEDaPvRmT3_T4_T5_mT6_P12ihipStream_tbENKUlT_T0_E_clISt17integral_constantIbLb1EESY_EEDaST_SU_EUlST_E0_NS1_11comp_targetILNS1_3genE0ELNS1_11target_archE4294967295ELNS1_3gpuE0ELNS1_3repE0EEENS1_30default_config_static_selectorELNS0_4arch9wavefront6targetE1EEEvT1_, .Lfunc_end6933-_ZN7rocprim17ROCPRIM_400000_NS6detail17trampoline_kernelINS0_14default_configENS1_20scan_config_selectorI3IntEEZZNS1_9scan_implILNS1_25lookback_scan_determinismE0ELb0ELb0ES3_N6thrust23THRUST_200600_302600_NS6detail15normal_iteratorINSA_10device_ptrIKS5_EEEENSC_INSD_IS5_EEEES5_NSA_4plusIvEES5_EEDaPvRmT3_T4_T5_mT6_P12ihipStream_tbENKUlT_T0_E_clISt17integral_constantIbLb1EESY_EEDaST_SU_EUlST_E0_NS1_11comp_targetILNS1_3genE0ELNS1_11target_archE4294967295ELNS1_3gpuE0ELNS1_3repE0EEENS1_30default_config_static_selectorELNS0_4arch9wavefront6targetE1EEEvT1_
                                        ; -- End function
	.section	.AMDGPU.csdata,"",@progbits
; Kernel info:
; codeLenInByte = 0
; NumSgprs: 4
; NumVgprs: 0
; NumAgprs: 0
; TotalNumVgprs: 0
; ScratchSize: 0
; MemoryBound: 0
; FloatMode: 240
; IeeeMode: 1
; LDSByteSize: 0 bytes/workgroup (compile time only)
; SGPRBlocks: 0
; VGPRBlocks: 0
; NumSGPRsForWavesPerEU: 4
; NumVGPRsForWavesPerEU: 1
; AccumOffset: 4
; Occupancy: 8
; WaveLimiterHint : 0
; COMPUTE_PGM_RSRC2:SCRATCH_EN: 0
; COMPUTE_PGM_RSRC2:USER_SGPR: 6
; COMPUTE_PGM_RSRC2:TRAP_HANDLER: 0
; COMPUTE_PGM_RSRC2:TGID_X_EN: 1
; COMPUTE_PGM_RSRC2:TGID_Y_EN: 0
; COMPUTE_PGM_RSRC2:TGID_Z_EN: 0
; COMPUTE_PGM_RSRC2:TIDIG_COMP_CNT: 0
; COMPUTE_PGM_RSRC3_GFX90A:ACCUM_OFFSET: 0
; COMPUTE_PGM_RSRC3_GFX90A:TG_SPLIT: 0
	.section	.text._ZN7rocprim17ROCPRIM_400000_NS6detail17trampoline_kernelINS0_14default_configENS1_20scan_config_selectorI3IntEEZZNS1_9scan_implILNS1_25lookback_scan_determinismE0ELb0ELb0ES3_N6thrust23THRUST_200600_302600_NS6detail15normal_iteratorINSA_10device_ptrIKS5_EEEENSC_INSD_IS5_EEEES5_NSA_4plusIvEES5_EEDaPvRmT3_T4_T5_mT6_P12ihipStream_tbENKUlT_T0_E_clISt17integral_constantIbLb1EESY_EEDaST_SU_EUlST_E0_NS1_11comp_targetILNS1_3genE5ELNS1_11target_archE942ELNS1_3gpuE9ELNS1_3repE0EEENS1_30default_config_static_selectorELNS0_4arch9wavefront6targetE1EEEvT1_,"axG",@progbits,_ZN7rocprim17ROCPRIM_400000_NS6detail17trampoline_kernelINS0_14default_configENS1_20scan_config_selectorI3IntEEZZNS1_9scan_implILNS1_25lookback_scan_determinismE0ELb0ELb0ES3_N6thrust23THRUST_200600_302600_NS6detail15normal_iteratorINSA_10device_ptrIKS5_EEEENSC_INSD_IS5_EEEES5_NSA_4plusIvEES5_EEDaPvRmT3_T4_T5_mT6_P12ihipStream_tbENKUlT_T0_E_clISt17integral_constantIbLb1EESY_EEDaST_SU_EUlST_E0_NS1_11comp_targetILNS1_3genE5ELNS1_11target_archE942ELNS1_3gpuE9ELNS1_3repE0EEENS1_30default_config_static_selectorELNS0_4arch9wavefront6targetE1EEEvT1_,comdat
	.protected	_ZN7rocprim17ROCPRIM_400000_NS6detail17trampoline_kernelINS0_14default_configENS1_20scan_config_selectorI3IntEEZZNS1_9scan_implILNS1_25lookback_scan_determinismE0ELb0ELb0ES3_N6thrust23THRUST_200600_302600_NS6detail15normal_iteratorINSA_10device_ptrIKS5_EEEENSC_INSD_IS5_EEEES5_NSA_4plusIvEES5_EEDaPvRmT3_T4_T5_mT6_P12ihipStream_tbENKUlT_T0_E_clISt17integral_constantIbLb1EESY_EEDaST_SU_EUlST_E0_NS1_11comp_targetILNS1_3genE5ELNS1_11target_archE942ELNS1_3gpuE9ELNS1_3repE0EEENS1_30default_config_static_selectorELNS0_4arch9wavefront6targetE1EEEvT1_ ; -- Begin function _ZN7rocprim17ROCPRIM_400000_NS6detail17trampoline_kernelINS0_14default_configENS1_20scan_config_selectorI3IntEEZZNS1_9scan_implILNS1_25lookback_scan_determinismE0ELb0ELb0ES3_N6thrust23THRUST_200600_302600_NS6detail15normal_iteratorINSA_10device_ptrIKS5_EEEENSC_INSD_IS5_EEEES5_NSA_4plusIvEES5_EEDaPvRmT3_T4_T5_mT6_P12ihipStream_tbENKUlT_T0_E_clISt17integral_constantIbLb1EESY_EEDaST_SU_EUlST_E0_NS1_11comp_targetILNS1_3genE5ELNS1_11target_archE942ELNS1_3gpuE9ELNS1_3repE0EEENS1_30default_config_static_selectorELNS0_4arch9wavefront6targetE1EEEvT1_
	.globl	_ZN7rocprim17ROCPRIM_400000_NS6detail17trampoline_kernelINS0_14default_configENS1_20scan_config_selectorI3IntEEZZNS1_9scan_implILNS1_25lookback_scan_determinismE0ELb0ELb0ES3_N6thrust23THRUST_200600_302600_NS6detail15normal_iteratorINSA_10device_ptrIKS5_EEEENSC_INSD_IS5_EEEES5_NSA_4plusIvEES5_EEDaPvRmT3_T4_T5_mT6_P12ihipStream_tbENKUlT_T0_E_clISt17integral_constantIbLb1EESY_EEDaST_SU_EUlST_E0_NS1_11comp_targetILNS1_3genE5ELNS1_11target_archE942ELNS1_3gpuE9ELNS1_3repE0EEENS1_30default_config_static_selectorELNS0_4arch9wavefront6targetE1EEEvT1_
	.p2align	8
	.type	_ZN7rocprim17ROCPRIM_400000_NS6detail17trampoline_kernelINS0_14default_configENS1_20scan_config_selectorI3IntEEZZNS1_9scan_implILNS1_25lookback_scan_determinismE0ELb0ELb0ES3_N6thrust23THRUST_200600_302600_NS6detail15normal_iteratorINSA_10device_ptrIKS5_EEEENSC_INSD_IS5_EEEES5_NSA_4plusIvEES5_EEDaPvRmT3_T4_T5_mT6_P12ihipStream_tbENKUlT_T0_E_clISt17integral_constantIbLb1EESY_EEDaST_SU_EUlST_E0_NS1_11comp_targetILNS1_3genE5ELNS1_11target_archE942ELNS1_3gpuE9ELNS1_3repE0EEENS1_30default_config_static_selectorELNS0_4arch9wavefront6targetE1EEEvT1_,@function
_ZN7rocprim17ROCPRIM_400000_NS6detail17trampoline_kernelINS0_14default_configENS1_20scan_config_selectorI3IntEEZZNS1_9scan_implILNS1_25lookback_scan_determinismE0ELb0ELb0ES3_N6thrust23THRUST_200600_302600_NS6detail15normal_iteratorINSA_10device_ptrIKS5_EEEENSC_INSD_IS5_EEEES5_NSA_4plusIvEES5_EEDaPvRmT3_T4_T5_mT6_P12ihipStream_tbENKUlT_T0_E_clISt17integral_constantIbLb1EESY_EEDaST_SU_EUlST_E0_NS1_11comp_targetILNS1_3genE5ELNS1_11target_archE942ELNS1_3gpuE9ELNS1_3repE0EEENS1_30default_config_static_selectorELNS0_4arch9wavefront6targetE1EEEvT1_: ; @_ZN7rocprim17ROCPRIM_400000_NS6detail17trampoline_kernelINS0_14default_configENS1_20scan_config_selectorI3IntEEZZNS1_9scan_implILNS1_25lookback_scan_determinismE0ELb0ELb0ES3_N6thrust23THRUST_200600_302600_NS6detail15normal_iteratorINSA_10device_ptrIKS5_EEEENSC_INSD_IS5_EEEES5_NSA_4plusIvEES5_EEDaPvRmT3_T4_T5_mT6_P12ihipStream_tbENKUlT_T0_E_clISt17integral_constantIbLb1EESY_EEDaST_SU_EUlST_E0_NS1_11comp_targetILNS1_3genE5ELNS1_11target_archE942ELNS1_3gpuE9ELNS1_3repE0EEENS1_30default_config_static_selectorELNS0_4arch9wavefront6targetE1EEEvT1_
; %bb.0:
	.section	.rodata,"a",@progbits
	.p2align	6, 0x0
	.amdhsa_kernel _ZN7rocprim17ROCPRIM_400000_NS6detail17trampoline_kernelINS0_14default_configENS1_20scan_config_selectorI3IntEEZZNS1_9scan_implILNS1_25lookback_scan_determinismE0ELb0ELb0ES3_N6thrust23THRUST_200600_302600_NS6detail15normal_iteratorINSA_10device_ptrIKS5_EEEENSC_INSD_IS5_EEEES5_NSA_4plusIvEES5_EEDaPvRmT3_T4_T5_mT6_P12ihipStream_tbENKUlT_T0_E_clISt17integral_constantIbLb1EESY_EEDaST_SU_EUlST_E0_NS1_11comp_targetILNS1_3genE5ELNS1_11target_archE942ELNS1_3gpuE9ELNS1_3repE0EEENS1_30default_config_static_selectorELNS0_4arch9wavefront6targetE1EEEvT1_
		.amdhsa_group_segment_fixed_size 0
		.amdhsa_private_segment_fixed_size 0
		.amdhsa_kernarg_size 32
		.amdhsa_user_sgpr_count 6
		.amdhsa_user_sgpr_private_segment_buffer 1
		.amdhsa_user_sgpr_dispatch_ptr 0
		.amdhsa_user_sgpr_queue_ptr 0
		.amdhsa_user_sgpr_kernarg_segment_ptr 1
		.amdhsa_user_sgpr_dispatch_id 0
		.amdhsa_user_sgpr_flat_scratch_init 0
		.amdhsa_user_sgpr_kernarg_preload_length 0
		.amdhsa_user_sgpr_kernarg_preload_offset 0
		.amdhsa_user_sgpr_private_segment_size 0
		.amdhsa_uses_dynamic_stack 0
		.amdhsa_system_sgpr_private_segment_wavefront_offset 0
		.amdhsa_system_sgpr_workgroup_id_x 1
		.amdhsa_system_sgpr_workgroup_id_y 0
		.amdhsa_system_sgpr_workgroup_id_z 0
		.amdhsa_system_sgpr_workgroup_info 0
		.amdhsa_system_vgpr_workitem_id 0
		.amdhsa_next_free_vgpr 1
		.amdhsa_next_free_sgpr 0
		.amdhsa_accum_offset 4
		.amdhsa_reserve_vcc 0
		.amdhsa_reserve_flat_scratch 0
		.amdhsa_float_round_mode_32 0
		.amdhsa_float_round_mode_16_64 0
		.amdhsa_float_denorm_mode_32 3
		.amdhsa_float_denorm_mode_16_64 3
		.amdhsa_dx10_clamp 1
		.amdhsa_ieee_mode 1
		.amdhsa_fp16_overflow 0
		.amdhsa_tg_split 0
		.amdhsa_exception_fp_ieee_invalid_op 0
		.amdhsa_exception_fp_denorm_src 0
		.amdhsa_exception_fp_ieee_div_zero 0
		.amdhsa_exception_fp_ieee_overflow 0
		.amdhsa_exception_fp_ieee_underflow 0
		.amdhsa_exception_fp_ieee_inexact 0
		.amdhsa_exception_int_div_zero 0
	.end_amdhsa_kernel
	.section	.text._ZN7rocprim17ROCPRIM_400000_NS6detail17trampoline_kernelINS0_14default_configENS1_20scan_config_selectorI3IntEEZZNS1_9scan_implILNS1_25lookback_scan_determinismE0ELb0ELb0ES3_N6thrust23THRUST_200600_302600_NS6detail15normal_iteratorINSA_10device_ptrIKS5_EEEENSC_INSD_IS5_EEEES5_NSA_4plusIvEES5_EEDaPvRmT3_T4_T5_mT6_P12ihipStream_tbENKUlT_T0_E_clISt17integral_constantIbLb1EESY_EEDaST_SU_EUlST_E0_NS1_11comp_targetILNS1_3genE5ELNS1_11target_archE942ELNS1_3gpuE9ELNS1_3repE0EEENS1_30default_config_static_selectorELNS0_4arch9wavefront6targetE1EEEvT1_,"axG",@progbits,_ZN7rocprim17ROCPRIM_400000_NS6detail17trampoline_kernelINS0_14default_configENS1_20scan_config_selectorI3IntEEZZNS1_9scan_implILNS1_25lookback_scan_determinismE0ELb0ELb0ES3_N6thrust23THRUST_200600_302600_NS6detail15normal_iteratorINSA_10device_ptrIKS5_EEEENSC_INSD_IS5_EEEES5_NSA_4plusIvEES5_EEDaPvRmT3_T4_T5_mT6_P12ihipStream_tbENKUlT_T0_E_clISt17integral_constantIbLb1EESY_EEDaST_SU_EUlST_E0_NS1_11comp_targetILNS1_3genE5ELNS1_11target_archE942ELNS1_3gpuE9ELNS1_3repE0EEENS1_30default_config_static_selectorELNS0_4arch9wavefront6targetE1EEEvT1_,comdat
.Lfunc_end6934:
	.size	_ZN7rocprim17ROCPRIM_400000_NS6detail17trampoline_kernelINS0_14default_configENS1_20scan_config_selectorI3IntEEZZNS1_9scan_implILNS1_25lookback_scan_determinismE0ELb0ELb0ES3_N6thrust23THRUST_200600_302600_NS6detail15normal_iteratorINSA_10device_ptrIKS5_EEEENSC_INSD_IS5_EEEES5_NSA_4plusIvEES5_EEDaPvRmT3_T4_T5_mT6_P12ihipStream_tbENKUlT_T0_E_clISt17integral_constantIbLb1EESY_EEDaST_SU_EUlST_E0_NS1_11comp_targetILNS1_3genE5ELNS1_11target_archE942ELNS1_3gpuE9ELNS1_3repE0EEENS1_30default_config_static_selectorELNS0_4arch9wavefront6targetE1EEEvT1_, .Lfunc_end6934-_ZN7rocprim17ROCPRIM_400000_NS6detail17trampoline_kernelINS0_14default_configENS1_20scan_config_selectorI3IntEEZZNS1_9scan_implILNS1_25lookback_scan_determinismE0ELb0ELb0ES3_N6thrust23THRUST_200600_302600_NS6detail15normal_iteratorINSA_10device_ptrIKS5_EEEENSC_INSD_IS5_EEEES5_NSA_4plusIvEES5_EEDaPvRmT3_T4_T5_mT6_P12ihipStream_tbENKUlT_T0_E_clISt17integral_constantIbLb1EESY_EEDaST_SU_EUlST_E0_NS1_11comp_targetILNS1_3genE5ELNS1_11target_archE942ELNS1_3gpuE9ELNS1_3repE0EEENS1_30default_config_static_selectorELNS0_4arch9wavefront6targetE1EEEvT1_
                                        ; -- End function
	.section	.AMDGPU.csdata,"",@progbits
; Kernel info:
; codeLenInByte = 0
; NumSgprs: 4
; NumVgprs: 0
; NumAgprs: 0
; TotalNumVgprs: 0
; ScratchSize: 0
; MemoryBound: 0
; FloatMode: 240
; IeeeMode: 1
; LDSByteSize: 0 bytes/workgroup (compile time only)
; SGPRBlocks: 0
; VGPRBlocks: 0
; NumSGPRsForWavesPerEU: 4
; NumVGPRsForWavesPerEU: 1
; AccumOffset: 4
; Occupancy: 8
; WaveLimiterHint : 0
; COMPUTE_PGM_RSRC2:SCRATCH_EN: 0
; COMPUTE_PGM_RSRC2:USER_SGPR: 6
; COMPUTE_PGM_RSRC2:TRAP_HANDLER: 0
; COMPUTE_PGM_RSRC2:TGID_X_EN: 1
; COMPUTE_PGM_RSRC2:TGID_Y_EN: 0
; COMPUTE_PGM_RSRC2:TGID_Z_EN: 0
; COMPUTE_PGM_RSRC2:TIDIG_COMP_CNT: 0
; COMPUTE_PGM_RSRC3_GFX90A:ACCUM_OFFSET: 0
; COMPUTE_PGM_RSRC3_GFX90A:TG_SPLIT: 0
	.section	.text._ZN7rocprim17ROCPRIM_400000_NS6detail17trampoline_kernelINS0_14default_configENS1_20scan_config_selectorI3IntEEZZNS1_9scan_implILNS1_25lookback_scan_determinismE0ELb0ELb0ES3_N6thrust23THRUST_200600_302600_NS6detail15normal_iteratorINSA_10device_ptrIKS5_EEEENSC_INSD_IS5_EEEES5_NSA_4plusIvEES5_EEDaPvRmT3_T4_T5_mT6_P12ihipStream_tbENKUlT_T0_E_clISt17integral_constantIbLb1EESY_EEDaST_SU_EUlST_E0_NS1_11comp_targetILNS1_3genE4ELNS1_11target_archE910ELNS1_3gpuE8ELNS1_3repE0EEENS1_30default_config_static_selectorELNS0_4arch9wavefront6targetE1EEEvT1_,"axG",@progbits,_ZN7rocprim17ROCPRIM_400000_NS6detail17trampoline_kernelINS0_14default_configENS1_20scan_config_selectorI3IntEEZZNS1_9scan_implILNS1_25lookback_scan_determinismE0ELb0ELb0ES3_N6thrust23THRUST_200600_302600_NS6detail15normal_iteratorINSA_10device_ptrIKS5_EEEENSC_INSD_IS5_EEEES5_NSA_4plusIvEES5_EEDaPvRmT3_T4_T5_mT6_P12ihipStream_tbENKUlT_T0_E_clISt17integral_constantIbLb1EESY_EEDaST_SU_EUlST_E0_NS1_11comp_targetILNS1_3genE4ELNS1_11target_archE910ELNS1_3gpuE8ELNS1_3repE0EEENS1_30default_config_static_selectorELNS0_4arch9wavefront6targetE1EEEvT1_,comdat
	.protected	_ZN7rocprim17ROCPRIM_400000_NS6detail17trampoline_kernelINS0_14default_configENS1_20scan_config_selectorI3IntEEZZNS1_9scan_implILNS1_25lookback_scan_determinismE0ELb0ELb0ES3_N6thrust23THRUST_200600_302600_NS6detail15normal_iteratorINSA_10device_ptrIKS5_EEEENSC_INSD_IS5_EEEES5_NSA_4plusIvEES5_EEDaPvRmT3_T4_T5_mT6_P12ihipStream_tbENKUlT_T0_E_clISt17integral_constantIbLb1EESY_EEDaST_SU_EUlST_E0_NS1_11comp_targetILNS1_3genE4ELNS1_11target_archE910ELNS1_3gpuE8ELNS1_3repE0EEENS1_30default_config_static_selectorELNS0_4arch9wavefront6targetE1EEEvT1_ ; -- Begin function _ZN7rocprim17ROCPRIM_400000_NS6detail17trampoline_kernelINS0_14default_configENS1_20scan_config_selectorI3IntEEZZNS1_9scan_implILNS1_25lookback_scan_determinismE0ELb0ELb0ES3_N6thrust23THRUST_200600_302600_NS6detail15normal_iteratorINSA_10device_ptrIKS5_EEEENSC_INSD_IS5_EEEES5_NSA_4plusIvEES5_EEDaPvRmT3_T4_T5_mT6_P12ihipStream_tbENKUlT_T0_E_clISt17integral_constantIbLb1EESY_EEDaST_SU_EUlST_E0_NS1_11comp_targetILNS1_3genE4ELNS1_11target_archE910ELNS1_3gpuE8ELNS1_3repE0EEENS1_30default_config_static_selectorELNS0_4arch9wavefront6targetE1EEEvT1_
	.globl	_ZN7rocprim17ROCPRIM_400000_NS6detail17trampoline_kernelINS0_14default_configENS1_20scan_config_selectorI3IntEEZZNS1_9scan_implILNS1_25lookback_scan_determinismE0ELb0ELb0ES3_N6thrust23THRUST_200600_302600_NS6detail15normal_iteratorINSA_10device_ptrIKS5_EEEENSC_INSD_IS5_EEEES5_NSA_4plusIvEES5_EEDaPvRmT3_T4_T5_mT6_P12ihipStream_tbENKUlT_T0_E_clISt17integral_constantIbLb1EESY_EEDaST_SU_EUlST_E0_NS1_11comp_targetILNS1_3genE4ELNS1_11target_archE910ELNS1_3gpuE8ELNS1_3repE0EEENS1_30default_config_static_selectorELNS0_4arch9wavefront6targetE1EEEvT1_
	.p2align	8
	.type	_ZN7rocprim17ROCPRIM_400000_NS6detail17trampoline_kernelINS0_14default_configENS1_20scan_config_selectorI3IntEEZZNS1_9scan_implILNS1_25lookback_scan_determinismE0ELb0ELb0ES3_N6thrust23THRUST_200600_302600_NS6detail15normal_iteratorINSA_10device_ptrIKS5_EEEENSC_INSD_IS5_EEEES5_NSA_4plusIvEES5_EEDaPvRmT3_T4_T5_mT6_P12ihipStream_tbENKUlT_T0_E_clISt17integral_constantIbLb1EESY_EEDaST_SU_EUlST_E0_NS1_11comp_targetILNS1_3genE4ELNS1_11target_archE910ELNS1_3gpuE8ELNS1_3repE0EEENS1_30default_config_static_selectorELNS0_4arch9wavefront6targetE1EEEvT1_,@function
_ZN7rocprim17ROCPRIM_400000_NS6detail17trampoline_kernelINS0_14default_configENS1_20scan_config_selectorI3IntEEZZNS1_9scan_implILNS1_25lookback_scan_determinismE0ELb0ELb0ES3_N6thrust23THRUST_200600_302600_NS6detail15normal_iteratorINSA_10device_ptrIKS5_EEEENSC_INSD_IS5_EEEES5_NSA_4plusIvEES5_EEDaPvRmT3_T4_T5_mT6_P12ihipStream_tbENKUlT_T0_E_clISt17integral_constantIbLb1EESY_EEDaST_SU_EUlST_E0_NS1_11comp_targetILNS1_3genE4ELNS1_11target_archE910ELNS1_3gpuE8ELNS1_3repE0EEENS1_30default_config_static_selectorELNS0_4arch9wavefront6targetE1EEEvT1_: ; @_ZN7rocprim17ROCPRIM_400000_NS6detail17trampoline_kernelINS0_14default_configENS1_20scan_config_selectorI3IntEEZZNS1_9scan_implILNS1_25lookback_scan_determinismE0ELb0ELb0ES3_N6thrust23THRUST_200600_302600_NS6detail15normal_iteratorINSA_10device_ptrIKS5_EEEENSC_INSD_IS5_EEEES5_NSA_4plusIvEES5_EEDaPvRmT3_T4_T5_mT6_P12ihipStream_tbENKUlT_T0_E_clISt17integral_constantIbLb1EESY_EEDaST_SU_EUlST_E0_NS1_11comp_targetILNS1_3genE4ELNS1_11target_archE910ELNS1_3gpuE8ELNS1_3repE0EEENS1_30default_config_static_selectorELNS0_4arch9wavefront6targetE1EEEvT1_
; %bb.0:
	s_load_dwordx4 s[20:23], s[4:5], 0x0
	v_lshlrev_b32_e32 v20, 2, v0
	s_waitcnt lgkmcnt(0)
	s_load_dword s23, s[20:21], 0x0
	v_cmp_gt_u32_e32 vcc, s22, v0
	s_waitcnt lgkmcnt(0)
	v_mov_b32_e32 v1, s23
	s_and_saveexec_b64 s[0:1], vcc
	s_cbranch_execz .LBB6935_2
; %bb.1:
	global_load_dword v1, v20, s[20:21]
.LBB6935_2:
	s_or_b64 exec, exec, s[0:1]
	v_or_b32_e32 v2, 0x80, v0
	v_cmp_gt_u32_e64 s[0:1], s22, v2
	v_mov_b32_e32 v2, s23
	s_and_saveexec_b64 s[2:3], s[0:1]
	s_cbranch_execz .LBB6935_4
; %bb.3:
	global_load_dword v2, v20, s[20:21] offset:512
.LBB6935_4:
	s_or_b64 exec, exec, s[2:3]
	v_or_b32_e32 v3, 0x100, v0
	v_cmp_gt_u32_e64 s[2:3], s22, v3
	v_mov_b32_e32 v3, s23
	s_and_saveexec_b64 s[6:7], s[2:3]
	s_cbranch_execz .LBB6935_6
; %bb.5:
	global_load_dword v3, v20, s[20:21] offset:1024
.LBB6935_6:
	s_or_b64 exec, exec, s[6:7]
	v_or_b32_e32 v4, 0x180, v0
	v_cmp_gt_u32_e64 s[18:19], s22, v4
	v_mov_b32_e32 v4, s23
	s_and_saveexec_b64 s[6:7], s[18:19]
	s_cbranch_execz .LBB6935_8
; %bb.7:
	global_load_dword v4, v20, s[20:21] offset:1536
.LBB6935_8:
	s_or_b64 exec, exec, s[6:7]
	v_or_b32_e32 v5, 0x200, v0
	v_cmp_gt_u32_e64 s[6:7], s22, v5
	v_mov_b32_e32 v5, s23
	s_and_saveexec_b64 s[8:9], s[6:7]
	s_cbranch_execz .LBB6935_10
; %bb.9:
	global_load_dword v5, v20, s[20:21] offset:2048
.LBB6935_10:
	s_or_b64 exec, exec, s[8:9]
	v_or_b32_e32 v6, 0x280, v0
	v_cmp_gt_u32_e64 s[8:9], s22, v6
	v_mov_b32_e32 v6, s23
	s_and_saveexec_b64 s[10:11], s[8:9]
	s_cbranch_execz .LBB6935_12
; %bb.11:
	global_load_dword v6, v20, s[20:21] offset:2560
.LBB6935_12:
	s_or_b64 exec, exec, s[10:11]
	v_or_b32_e32 v7, 0x300, v0
	v_cmp_gt_u32_e64 s[10:11], s22, v7
	v_mov_b32_e32 v7, s23
	s_and_saveexec_b64 s[12:13], s[10:11]
	s_cbranch_execz .LBB6935_14
; %bb.13:
	global_load_dword v7, v20, s[20:21] offset:3072
.LBB6935_14:
	s_or_b64 exec, exec, s[12:13]
	v_or_b32_e32 v8, 0x380, v0
	v_cmp_gt_u32_e64 s[12:13], s22, v8
	v_mov_b32_e32 v8, s23
	s_and_saveexec_b64 s[14:15], s[12:13]
	s_cbranch_execz .LBB6935_16
; %bb.15:
	global_load_dword v8, v20, s[20:21] offset:3584
.LBB6935_16:
	s_or_b64 exec, exec, s[14:15]
	v_or_b32_e32 v10, 0x400, v0
	v_cmp_gt_u32_e64 s[14:15], s22, v10
	v_mov_b32_e32 v9, s23
	s_and_saveexec_b64 s[16:17], s[14:15]
	s_cbranch_execz .LBB6935_18
; %bb.17:
	v_lshlrev_b32_e32 v9, 2, v10
	global_load_dword v9, v9, s[20:21]
.LBB6935_18:
	s_or_b64 exec, exec, s[16:17]
	v_or_b32_e32 v11, 0x480, v0
	v_cmp_gt_u32_e64 s[16:17], s22, v11
	v_mov_b32_e32 v10, s23
	s_and_saveexec_b64 s[22:23], s[16:17]
	s_cbranch_execz .LBB6935_20
; %bb.19:
	v_lshlrev_b32_e32 v10, 2, v11
	global_load_dword v10, v10, s[20:21]
.LBB6935_20:
	s_or_b64 exec, exec, s[22:23]
	s_waitcnt vmcnt(0)
	ds_write2st64_b32 v20, v1, v2 offset1:2
	ds_write2st64_b32 v20, v3, v4 offset0:4 offset1:6
	ds_write2st64_b32 v20, v5, v6 offset0:8 offset1:10
	;; [unrolled: 1-line block ×4, first 2 shown]
	v_mad_u32_u24 v1, v0, 36, v20
	s_waitcnt lgkmcnt(0)
	s_barrier
	ds_read2_b64 v[6:9], v1 offset1:1
	ds_read2_b64 v[2:5], v1 offset0:2 offset1:3
	ds_read_b64 v[18:19], v1 offset:32
	v_lshrrev_b32_e32 v21, 3, v0
	v_and_b32_e32 v21, 12, v21
	s_waitcnt lgkmcnt(2)
	v_add_u32_e32 v1, v7, v6
	v_add_u32_e32 v14, v1, v8
	;; [unrolled: 1-line block ×3, first 2 shown]
	s_waitcnt lgkmcnt(1)
	v_add_u32_e32 v10, v15, v2
	v_add_u32_e32 v11, v10, v3
	;; [unrolled: 1-line block ×4, first 2 shown]
	s_waitcnt lgkmcnt(0)
	v_add_u32_e32 v16, v13, v18
	v_add_u32_e32 v17, v16, v19
	;; [unrolled: 1-line block ×3, first 2 shown]
	v_cmp_gt_u32_e64 s[20:21], 64, v0
	s_barrier
	ds_write_b32 v21, v17
	s_waitcnt lgkmcnt(0)
	s_barrier
	s_and_saveexec_b64 s[22:23], s[20:21]
	s_cbranch_execz .LBB6935_22
; %bb.21:
	v_lshlrev_b32_e32 v21, 1, v0
	v_lshrrev_b32_e32 v22, 4, v0
	v_add_lshl_u32 v21, v22, v21, 2
	ds_read2_b32 v[22:23], v21 offset1:1
	v_mbcnt_lo_u32_b32 v24, -1, 0
	v_mbcnt_hi_u32_b32 v24, -1, v24
	v_and_b32_e32 v25, 15, v24
	v_cmp_ne_u32_e64 s[20:21], 0, v25
	s_waitcnt lgkmcnt(0)
	v_add_u32_e32 v23, v23, v22
	; wave barrier
	s_nop 1
	v_mov_b32_dpp v26, v23 row_shr:1 row_mask:0xf bank_mask:0xf
	v_cndmask_b32_e64 v26, 0, v26, s[20:21]
	v_add_u32_e32 v23, v26, v23
	v_cmp_lt_u32_e64 s[20:21], 1, v25
	s_nop 0
	v_mov_b32_dpp v26, v23 row_shr:2 row_mask:0xf bank_mask:0xf
	v_cndmask_b32_e64 v26, 0, v26, s[20:21]
	v_add_u32_e32 v23, v23, v26
	v_cmp_lt_u32_e64 s[20:21], 3, v25
	;; [unrolled: 5-line block ×3, first 2 shown]
	s_nop 0
	v_mov_b32_dpp v26, v23 row_shr:8 row_mask:0xf bank_mask:0xf
	v_cndmask_b32_e64 v25, 0, v26, s[20:21]
	v_add_u32_e32 v23, v23, v25
	v_bfe_i32 v26, v24, 4, 1
	v_cmp_lt_u32_e64 s[20:21], 31, v24
	v_mov_b32_dpp v25, v23 row_bcast:15 row_mask:0xf bank_mask:0xf
	v_and_b32_e32 v25, v26, v25
	v_add_u32_e32 v23, v23, v25
	v_and_b32_e32 v26, 64, v24
	s_nop 0
	v_mov_b32_dpp v25, v23 row_bcast:31 row_mask:0xf bank_mask:0xf
	v_cndmask_b32_e64 v25, 0, v25, s[20:21]
	v_add_u32_e32 v23, v23, v25
	v_add_u32_e32 v25, -1, v24
	v_cmp_lt_i32_e64 s[20:21], v25, v26
	v_cndmask_b32_e64 v24, v25, v24, s[20:21]
	v_lshlrev_b32_e32 v24, 2, v24
	ds_bpermute_b32 v23, v24, v23
	v_cmp_eq_u32_e64 s[20:21], 0, v0
	s_waitcnt lgkmcnt(0)
	v_add_u32_e32 v22, v23, v22
	v_cndmask_b32_e64 v22, v22, v17, s[20:21]
	ds_write_b32 v21, v22
	; wave barrier
	ds_read_b32 v23, v21 offset:4
	s_waitcnt lgkmcnt(0)
	v_add_u32_e32 v22, v23, v22
	ds_write_b32 v21, v22 offset:4
.LBB6935_22:
	s_or_b64 exec, exec, s[22:23]
	s_load_dwordx2 s[20:21], s[4:5], 0x18
	v_cmp_ne_u32_e64 s[4:5], 0, v0
	v_mov_b32_e32 v22, v17
	s_waitcnt lgkmcnt(0)
	s_barrier
	s_and_saveexec_b64 s[22:23], s[4:5]
	s_cbranch_execz .LBB6935_24
; %bb.23:
	v_add_u32_e32 v21, -1, v0
	v_lshrrev_b32_e32 v22, 5, v21
	v_add_lshl_u32 v21, v22, v21, 2
	ds_read_b32 v22, v21
.LBB6935_24:
	s_or_b64 exec, exec, s[22:23]
	v_mul_u32_u24_e32 v21, 36, v0
	v_mov_b32_e32 v0, v6
	s_and_saveexec_b64 s[22:23], s[4:5]
	s_cbranch_execz .LBB6935_26
; %bb.25:
	s_waitcnt lgkmcnt(0)
	v_add_u32_e32 v0, v22, v6
	v_add_u32_e32 v1, v0, v7
	;; [unrolled: 1-line block ×10, first 2 shown]
	;;#ASMSTART
	;;#ASMEND
.LBB6935_26:
	s_or_b64 exec, exec, s[22:23]
	v_add_u32_e32 v2, v20, v21
	s_waitcnt lgkmcnt(0)
	s_barrier
	ds_write2_b64 v2, v[0:1], v[14:15] offset1:1
	ds_write2_b64 v2, v[10:11], v[12:13] offset0:2 offset1:3
	ds_write_b64 v2, v[16:17] offset:32
	s_waitcnt lgkmcnt(0)
	s_barrier
	ds_read2st64_b32 v[8:9], v20 offset0:2 offset1:4
	ds_read2st64_b32 v[6:7], v20 offset0:6 offset1:8
	ds_read2st64_b32 v[4:5], v20 offset0:10 offset1:12
	ds_read2st64_b32 v[2:3], v20 offset0:14 offset1:16
	ds_read_b32 v10, v20 offset:4608
	v_mov_b32_e32 v1, s21
	v_add_co_u32_e64 v0, s[4:5], s20, v20
	v_addc_co_u32_e64 v1, s[4:5], 0, v1, s[4:5]
	s_and_saveexec_b64 s[4:5], vcc
	s_cbranch_execnz .LBB6935_37
; %bb.27:
	s_or_b64 exec, exec, s[4:5]
	s_and_saveexec_b64 s[4:5], s[0:1]
	s_cbranch_execnz .LBB6935_38
.LBB6935_28:
	s_or_b64 exec, exec, s[4:5]
	s_and_saveexec_b64 s[0:1], s[2:3]
	s_cbranch_execnz .LBB6935_39
.LBB6935_29:
	s_or_b64 exec, exec, s[0:1]
	s_and_saveexec_b64 s[0:1], s[18:19]
	s_cbranch_execnz .LBB6935_40
.LBB6935_30:
	s_or_b64 exec, exec, s[0:1]
	s_and_saveexec_b64 s[0:1], s[6:7]
	s_cbranch_execnz .LBB6935_41
.LBB6935_31:
	s_or_b64 exec, exec, s[0:1]
	s_and_saveexec_b64 s[0:1], s[8:9]
	s_cbranch_execnz .LBB6935_42
.LBB6935_32:
	s_or_b64 exec, exec, s[0:1]
	s_and_saveexec_b64 s[0:1], s[10:11]
	s_cbranch_execnz .LBB6935_43
.LBB6935_33:
	s_or_b64 exec, exec, s[0:1]
	s_and_saveexec_b64 s[0:1], s[12:13]
	s_cbranch_execnz .LBB6935_44
.LBB6935_34:
	s_or_b64 exec, exec, s[0:1]
	s_and_saveexec_b64 s[0:1], s[14:15]
	s_cbranch_execnz .LBB6935_45
.LBB6935_35:
	s_or_b64 exec, exec, s[0:1]
	s_and_saveexec_b64 s[0:1], s[16:17]
	s_cbranch_execnz .LBB6935_46
.LBB6935_36:
	s_endpgm
.LBB6935_37:
	ds_read_b32 v11, v20
	s_waitcnt lgkmcnt(0)
	global_store_dword v[0:1], v11, off
	s_or_b64 exec, exec, s[4:5]
	s_and_saveexec_b64 s[4:5], s[0:1]
	s_cbranch_execz .LBB6935_28
.LBB6935_38:
	s_waitcnt lgkmcnt(4)
	global_store_dword v[0:1], v8, off offset:512
	s_or_b64 exec, exec, s[4:5]
	s_and_saveexec_b64 s[0:1], s[2:3]
	s_cbranch_execz .LBB6935_29
.LBB6935_39:
	s_waitcnt lgkmcnt(4)
	global_store_dword v[0:1], v9, off offset:1024
	s_or_b64 exec, exec, s[0:1]
	s_and_saveexec_b64 s[0:1], s[18:19]
	s_cbranch_execz .LBB6935_30
.LBB6935_40:
	s_waitcnt lgkmcnt(3)
	global_store_dword v[0:1], v6, off offset:1536
	s_or_b64 exec, exec, s[0:1]
	s_and_saveexec_b64 s[0:1], s[6:7]
	s_cbranch_execz .LBB6935_31
.LBB6935_41:
	s_waitcnt lgkmcnt(3)
	global_store_dword v[0:1], v7, off offset:2048
	s_or_b64 exec, exec, s[0:1]
	s_and_saveexec_b64 s[0:1], s[8:9]
	s_cbranch_execz .LBB6935_32
.LBB6935_42:
	s_waitcnt lgkmcnt(2)
	global_store_dword v[0:1], v4, off offset:2560
	s_or_b64 exec, exec, s[0:1]
	s_and_saveexec_b64 s[0:1], s[10:11]
	s_cbranch_execz .LBB6935_33
.LBB6935_43:
	s_waitcnt lgkmcnt(2)
	global_store_dword v[0:1], v5, off offset:3072
	s_or_b64 exec, exec, s[0:1]
	s_and_saveexec_b64 s[0:1], s[12:13]
	s_cbranch_execz .LBB6935_34
.LBB6935_44:
	s_waitcnt lgkmcnt(1)
	global_store_dword v[0:1], v2, off offset:3584
	s_or_b64 exec, exec, s[0:1]
	s_and_saveexec_b64 s[0:1], s[14:15]
	s_cbranch_execz .LBB6935_35
.LBB6935_45:
	s_waitcnt lgkmcnt(2)
	v_add_co_u32_e32 v4, vcc, 0x1000, v0
	v_addc_co_u32_e32 v5, vcc, 0, v1, vcc
	s_waitcnt lgkmcnt(1)
	global_store_dword v[4:5], v3, off
	s_or_b64 exec, exec, s[0:1]
	s_and_saveexec_b64 s[0:1], s[16:17]
	s_cbranch_execz .LBB6935_36
.LBB6935_46:
	v_add_co_u32_e32 v0, vcc, 0x1000, v0
	v_addc_co_u32_e32 v1, vcc, 0, v1, vcc
	s_waitcnt lgkmcnt(0)
	global_store_dword v[0:1], v10, off offset:512
	s_endpgm
	.section	.rodata,"a",@progbits
	.p2align	6, 0x0
	.amdhsa_kernel _ZN7rocprim17ROCPRIM_400000_NS6detail17trampoline_kernelINS0_14default_configENS1_20scan_config_selectorI3IntEEZZNS1_9scan_implILNS1_25lookback_scan_determinismE0ELb0ELb0ES3_N6thrust23THRUST_200600_302600_NS6detail15normal_iteratorINSA_10device_ptrIKS5_EEEENSC_INSD_IS5_EEEES5_NSA_4plusIvEES5_EEDaPvRmT3_T4_T5_mT6_P12ihipStream_tbENKUlT_T0_E_clISt17integral_constantIbLb1EESY_EEDaST_SU_EUlST_E0_NS1_11comp_targetILNS1_3genE4ELNS1_11target_archE910ELNS1_3gpuE8ELNS1_3repE0EEENS1_30default_config_static_selectorELNS0_4arch9wavefront6targetE1EEEvT1_
		.amdhsa_group_segment_fixed_size 5120
		.amdhsa_private_segment_fixed_size 0
		.amdhsa_kernarg_size 32
		.amdhsa_user_sgpr_count 6
		.amdhsa_user_sgpr_private_segment_buffer 1
		.amdhsa_user_sgpr_dispatch_ptr 0
		.amdhsa_user_sgpr_queue_ptr 0
		.amdhsa_user_sgpr_kernarg_segment_ptr 1
		.amdhsa_user_sgpr_dispatch_id 0
		.amdhsa_user_sgpr_flat_scratch_init 0
		.amdhsa_user_sgpr_kernarg_preload_length 0
		.amdhsa_user_sgpr_kernarg_preload_offset 0
		.amdhsa_user_sgpr_private_segment_size 0
		.amdhsa_uses_dynamic_stack 0
		.amdhsa_system_sgpr_private_segment_wavefront_offset 0
		.amdhsa_system_sgpr_workgroup_id_x 1
		.amdhsa_system_sgpr_workgroup_id_y 0
		.amdhsa_system_sgpr_workgroup_id_z 0
		.amdhsa_system_sgpr_workgroup_info 0
		.amdhsa_system_vgpr_workitem_id 0
		.amdhsa_next_free_vgpr 27
		.amdhsa_next_free_sgpr 24
		.amdhsa_accum_offset 28
		.amdhsa_reserve_vcc 1
		.amdhsa_reserve_flat_scratch 0
		.amdhsa_float_round_mode_32 0
		.amdhsa_float_round_mode_16_64 0
		.amdhsa_float_denorm_mode_32 3
		.amdhsa_float_denorm_mode_16_64 3
		.amdhsa_dx10_clamp 1
		.amdhsa_ieee_mode 1
		.amdhsa_fp16_overflow 0
		.amdhsa_tg_split 0
		.amdhsa_exception_fp_ieee_invalid_op 0
		.amdhsa_exception_fp_denorm_src 0
		.amdhsa_exception_fp_ieee_div_zero 0
		.amdhsa_exception_fp_ieee_overflow 0
		.amdhsa_exception_fp_ieee_underflow 0
		.amdhsa_exception_fp_ieee_inexact 0
		.amdhsa_exception_int_div_zero 0
	.end_amdhsa_kernel
	.section	.text._ZN7rocprim17ROCPRIM_400000_NS6detail17trampoline_kernelINS0_14default_configENS1_20scan_config_selectorI3IntEEZZNS1_9scan_implILNS1_25lookback_scan_determinismE0ELb0ELb0ES3_N6thrust23THRUST_200600_302600_NS6detail15normal_iteratorINSA_10device_ptrIKS5_EEEENSC_INSD_IS5_EEEES5_NSA_4plusIvEES5_EEDaPvRmT3_T4_T5_mT6_P12ihipStream_tbENKUlT_T0_E_clISt17integral_constantIbLb1EESY_EEDaST_SU_EUlST_E0_NS1_11comp_targetILNS1_3genE4ELNS1_11target_archE910ELNS1_3gpuE8ELNS1_3repE0EEENS1_30default_config_static_selectorELNS0_4arch9wavefront6targetE1EEEvT1_,"axG",@progbits,_ZN7rocprim17ROCPRIM_400000_NS6detail17trampoline_kernelINS0_14default_configENS1_20scan_config_selectorI3IntEEZZNS1_9scan_implILNS1_25lookback_scan_determinismE0ELb0ELb0ES3_N6thrust23THRUST_200600_302600_NS6detail15normal_iteratorINSA_10device_ptrIKS5_EEEENSC_INSD_IS5_EEEES5_NSA_4plusIvEES5_EEDaPvRmT3_T4_T5_mT6_P12ihipStream_tbENKUlT_T0_E_clISt17integral_constantIbLb1EESY_EEDaST_SU_EUlST_E0_NS1_11comp_targetILNS1_3genE4ELNS1_11target_archE910ELNS1_3gpuE8ELNS1_3repE0EEENS1_30default_config_static_selectorELNS0_4arch9wavefront6targetE1EEEvT1_,comdat
.Lfunc_end6935:
	.size	_ZN7rocprim17ROCPRIM_400000_NS6detail17trampoline_kernelINS0_14default_configENS1_20scan_config_selectorI3IntEEZZNS1_9scan_implILNS1_25lookback_scan_determinismE0ELb0ELb0ES3_N6thrust23THRUST_200600_302600_NS6detail15normal_iteratorINSA_10device_ptrIKS5_EEEENSC_INSD_IS5_EEEES5_NSA_4plusIvEES5_EEDaPvRmT3_T4_T5_mT6_P12ihipStream_tbENKUlT_T0_E_clISt17integral_constantIbLb1EESY_EEDaST_SU_EUlST_E0_NS1_11comp_targetILNS1_3genE4ELNS1_11target_archE910ELNS1_3gpuE8ELNS1_3repE0EEENS1_30default_config_static_selectorELNS0_4arch9wavefront6targetE1EEEvT1_, .Lfunc_end6935-_ZN7rocprim17ROCPRIM_400000_NS6detail17trampoline_kernelINS0_14default_configENS1_20scan_config_selectorI3IntEEZZNS1_9scan_implILNS1_25lookback_scan_determinismE0ELb0ELb0ES3_N6thrust23THRUST_200600_302600_NS6detail15normal_iteratorINSA_10device_ptrIKS5_EEEENSC_INSD_IS5_EEEES5_NSA_4plusIvEES5_EEDaPvRmT3_T4_T5_mT6_P12ihipStream_tbENKUlT_T0_E_clISt17integral_constantIbLb1EESY_EEDaST_SU_EUlST_E0_NS1_11comp_targetILNS1_3genE4ELNS1_11target_archE910ELNS1_3gpuE8ELNS1_3repE0EEENS1_30default_config_static_selectorELNS0_4arch9wavefront6targetE1EEEvT1_
                                        ; -- End function
	.section	.AMDGPU.csdata,"",@progbits
; Kernel info:
; codeLenInByte = 1556
; NumSgprs: 28
; NumVgprs: 27
; NumAgprs: 0
; TotalNumVgprs: 27
; ScratchSize: 0
; MemoryBound: 0
; FloatMode: 240
; IeeeMode: 1
; LDSByteSize: 5120 bytes/workgroup (compile time only)
; SGPRBlocks: 3
; VGPRBlocks: 3
; NumSGPRsForWavesPerEU: 28
; NumVGPRsForWavesPerEU: 27
; AccumOffset: 28
; Occupancy: 6
; WaveLimiterHint : 0
; COMPUTE_PGM_RSRC2:SCRATCH_EN: 0
; COMPUTE_PGM_RSRC2:USER_SGPR: 6
; COMPUTE_PGM_RSRC2:TRAP_HANDLER: 0
; COMPUTE_PGM_RSRC2:TGID_X_EN: 1
; COMPUTE_PGM_RSRC2:TGID_Y_EN: 0
; COMPUTE_PGM_RSRC2:TGID_Z_EN: 0
; COMPUTE_PGM_RSRC2:TIDIG_COMP_CNT: 0
; COMPUTE_PGM_RSRC3_GFX90A:ACCUM_OFFSET: 6
; COMPUTE_PGM_RSRC3_GFX90A:TG_SPLIT: 0
	.section	.text._ZN7rocprim17ROCPRIM_400000_NS6detail17trampoline_kernelINS0_14default_configENS1_20scan_config_selectorI3IntEEZZNS1_9scan_implILNS1_25lookback_scan_determinismE0ELb0ELb0ES3_N6thrust23THRUST_200600_302600_NS6detail15normal_iteratorINSA_10device_ptrIKS5_EEEENSC_INSD_IS5_EEEES5_NSA_4plusIvEES5_EEDaPvRmT3_T4_T5_mT6_P12ihipStream_tbENKUlT_T0_E_clISt17integral_constantIbLb1EESY_EEDaST_SU_EUlST_E0_NS1_11comp_targetILNS1_3genE3ELNS1_11target_archE908ELNS1_3gpuE7ELNS1_3repE0EEENS1_30default_config_static_selectorELNS0_4arch9wavefront6targetE1EEEvT1_,"axG",@progbits,_ZN7rocprim17ROCPRIM_400000_NS6detail17trampoline_kernelINS0_14default_configENS1_20scan_config_selectorI3IntEEZZNS1_9scan_implILNS1_25lookback_scan_determinismE0ELb0ELb0ES3_N6thrust23THRUST_200600_302600_NS6detail15normal_iteratorINSA_10device_ptrIKS5_EEEENSC_INSD_IS5_EEEES5_NSA_4plusIvEES5_EEDaPvRmT3_T4_T5_mT6_P12ihipStream_tbENKUlT_T0_E_clISt17integral_constantIbLb1EESY_EEDaST_SU_EUlST_E0_NS1_11comp_targetILNS1_3genE3ELNS1_11target_archE908ELNS1_3gpuE7ELNS1_3repE0EEENS1_30default_config_static_selectorELNS0_4arch9wavefront6targetE1EEEvT1_,comdat
	.protected	_ZN7rocprim17ROCPRIM_400000_NS6detail17trampoline_kernelINS0_14default_configENS1_20scan_config_selectorI3IntEEZZNS1_9scan_implILNS1_25lookback_scan_determinismE0ELb0ELb0ES3_N6thrust23THRUST_200600_302600_NS6detail15normal_iteratorINSA_10device_ptrIKS5_EEEENSC_INSD_IS5_EEEES5_NSA_4plusIvEES5_EEDaPvRmT3_T4_T5_mT6_P12ihipStream_tbENKUlT_T0_E_clISt17integral_constantIbLb1EESY_EEDaST_SU_EUlST_E0_NS1_11comp_targetILNS1_3genE3ELNS1_11target_archE908ELNS1_3gpuE7ELNS1_3repE0EEENS1_30default_config_static_selectorELNS0_4arch9wavefront6targetE1EEEvT1_ ; -- Begin function _ZN7rocprim17ROCPRIM_400000_NS6detail17trampoline_kernelINS0_14default_configENS1_20scan_config_selectorI3IntEEZZNS1_9scan_implILNS1_25lookback_scan_determinismE0ELb0ELb0ES3_N6thrust23THRUST_200600_302600_NS6detail15normal_iteratorINSA_10device_ptrIKS5_EEEENSC_INSD_IS5_EEEES5_NSA_4plusIvEES5_EEDaPvRmT3_T4_T5_mT6_P12ihipStream_tbENKUlT_T0_E_clISt17integral_constantIbLb1EESY_EEDaST_SU_EUlST_E0_NS1_11comp_targetILNS1_3genE3ELNS1_11target_archE908ELNS1_3gpuE7ELNS1_3repE0EEENS1_30default_config_static_selectorELNS0_4arch9wavefront6targetE1EEEvT1_
	.globl	_ZN7rocprim17ROCPRIM_400000_NS6detail17trampoline_kernelINS0_14default_configENS1_20scan_config_selectorI3IntEEZZNS1_9scan_implILNS1_25lookback_scan_determinismE0ELb0ELb0ES3_N6thrust23THRUST_200600_302600_NS6detail15normal_iteratorINSA_10device_ptrIKS5_EEEENSC_INSD_IS5_EEEES5_NSA_4plusIvEES5_EEDaPvRmT3_T4_T5_mT6_P12ihipStream_tbENKUlT_T0_E_clISt17integral_constantIbLb1EESY_EEDaST_SU_EUlST_E0_NS1_11comp_targetILNS1_3genE3ELNS1_11target_archE908ELNS1_3gpuE7ELNS1_3repE0EEENS1_30default_config_static_selectorELNS0_4arch9wavefront6targetE1EEEvT1_
	.p2align	8
	.type	_ZN7rocprim17ROCPRIM_400000_NS6detail17trampoline_kernelINS0_14default_configENS1_20scan_config_selectorI3IntEEZZNS1_9scan_implILNS1_25lookback_scan_determinismE0ELb0ELb0ES3_N6thrust23THRUST_200600_302600_NS6detail15normal_iteratorINSA_10device_ptrIKS5_EEEENSC_INSD_IS5_EEEES5_NSA_4plusIvEES5_EEDaPvRmT3_T4_T5_mT6_P12ihipStream_tbENKUlT_T0_E_clISt17integral_constantIbLb1EESY_EEDaST_SU_EUlST_E0_NS1_11comp_targetILNS1_3genE3ELNS1_11target_archE908ELNS1_3gpuE7ELNS1_3repE0EEENS1_30default_config_static_selectorELNS0_4arch9wavefront6targetE1EEEvT1_,@function
_ZN7rocprim17ROCPRIM_400000_NS6detail17trampoline_kernelINS0_14default_configENS1_20scan_config_selectorI3IntEEZZNS1_9scan_implILNS1_25lookback_scan_determinismE0ELb0ELb0ES3_N6thrust23THRUST_200600_302600_NS6detail15normal_iteratorINSA_10device_ptrIKS5_EEEENSC_INSD_IS5_EEEES5_NSA_4plusIvEES5_EEDaPvRmT3_T4_T5_mT6_P12ihipStream_tbENKUlT_T0_E_clISt17integral_constantIbLb1EESY_EEDaST_SU_EUlST_E0_NS1_11comp_targetILNS1_3genE3ELNS1_11target_archE908ELNS1_3gpuE7ELNS1_3repE0EEENS1_30default_config_static_selectorELNS0_4arch9wavefront6targetE1EEEvT1_: ; @_ZN7rocprim17ROCPRIM_400000_NS6detail17trampoline_kernelINS0_14default_configENS1_20scan_config_selectorI3IntEEZZNS1_9scan_implILNS1_25lookback_scan_determinismE0ELb0ELb0ES3_N6thrust23THRUST_200600_302600_NS6detail15normal_iteratorINSA_10device_ptrIKS5_EEEENSC_INSD_IS5_EEEES5_NSA_4plusIvEES5_EEDaPvRmT3_T4_T5_mT6_P12ihipStream_tbENKUlT_T0_E_clISt17integral_constantIbLb1EESY_EEDaST_SU_EUlST_E0_NS1_11comp_targetILNS1_3genE3ELNS1_11target_archE908ELNS1_3gpuE7ELNS1_3repE0EEENS1_30default_config_static_selectorELNS0_4arch9wavefront6targetE1EEEvT1_
; %bb.0:
	.section	.rodata,"a",@progbits
	.p2align	6, 0x0
	.amdhsa_kernel _ZN7rocprim17ROCPRIM_400000_NS6detail17trampoline_kernelINS0_14default_configENS1_20scan_config_selectorI3IntEEZZNS1_9scan_implILNS1_25lookback_scan_determinismE0ELb0ELb0ES3_N6thrust23THRUST_200600_302600_NS6detail15normal_iteratorINSA_10device_ptrIKS5_EEEENSC_INSD_IS5_EEEES5_NSA_4plusIvEES5_EEDaPvRmT3_T4_T5_mT6_P12ihipStream_tbENKUlT_T0_E_clISt17integral_constantIbLb1EESY_EEDaST_SU_EUlST_E0_NS1_11comp_targetILNS1_3genE3ELNS1_11target_archE908ELNS1_3gpuE7ELNS1_3repE0EEENS1_30default_config_static_selectorELNS0_4arch9wavefront6targetE1EEEvT1_
		.amdhsa_group_segment_fixed_size 0
		.amdhsa_private_segment_fixed_size 0
		.amdhsa_kernarg_size 32
		.amdhsa_user_sgpr_count 6
		.amdhsa_user_sgpr_private_segment_buffer 1
		.amdhsa_user_sgpr_dispatch_ptr 0
		.amdhsa_user_sgpr_queue_ptr 0
		.amdhsa_user_sgpr_kernarg_segment_ptr 1
		.amdhsa_user_sgpr_dispatch_id 0
		.amdhsa_user_sgpr_flat_scratch_init 0
		.amdhsa_user_sgpr_kernarg_preload_length 0
		.amdhsa_user_sgpr_kernarg_preload_offset 0
		.amdhsa_user_sgpr_private_segment_size 0
		.amdhsa_uses_dynamic_stack 0
		.amdhsa_system_sgpr_private_segment_wavefront_offset 0
		.amdhsa_system_sgpr_workgroup_id_x 1
		.amdhsa_system_sgpr_workgroup_id_y 0
		.amdhsa_system_sgpr_workgroup_id_z 0
		.amdhsa_system_sgpr_workgroup_info 0
		.amdhsa_system_vgpr_workitem_id 0
		.amdhsa_next_free_vgpr 1
		.amdhsa_next_free_sgpr 0
		.amdhsa_accum_offset 4
		.amdhsa_reserve_vcc 0
		.amdhsa_reserve_flat_scratch 0
		.amdhsa_float_round_mode_32 0
		.amdhsa_float_round_mode_16_64 0
		.amdhsa_float_denorm_mode_32 3
		.amdhsa_float_denorm_mode_16_64 3
		.amdhsa_dx10_clamp 1
		.amdhsa_ieee_mode 1
		.amdhsa_fp16_overflow 0
		.amdhsa_tg_split 0
		.amdhsa_exception_fp_ieee_invalid_op 0
		.amdhsa_exception_fp_denorm_src 0
		.amdhsa_exception_fp_ieee_div_zero 0
		.amdhsa_exception_fp_ieee_overflow 0
		.amdhsa_exception_fp_ieee_underflow 0
		.amdhsa_exception_fp_ieee_inexact 0
		.amdhsa_exception_int_div_zero 0
	.end_amdhsa_kernel
	.section	.text._ZN7rocprim17ROCPRIM_400000_NS6detail17trampoline_kernelINS0_14default_configENS1_20scan_config_selectorI3IntEEZZNS1_9scan_implILNS1_25lookback_scan_determinismE0ELb0ELb0ES3_N6thrust23THRUST_200600_302600_NS6detail15normal_iteratorINSA_10device_ptrIKS5_EEEENSC_INSD_IS5_EEEES5_NSA_4plusIvEES5_EEDaPvRmT3_T4_T5_mT6_P12ihipStream_tbENKUlT_T0_E_clISt17integral_constantIbLb1EESY_EEDaST_SU_EUlST_E0_NS1_11comp_targetILNS1_3genE3ELNS1_11target_archE908ELNS1_3gpuE7ELNS1_3repE0EEENS1_30default_config_static_selectorELNS0_4arch9wavefront6targetE1EEEvT1_,"axG",@progbits,_ZN7rocprim17ROCPRIM_400000_NS6detail17trampoline_kernelINS0_14default_configENS1_20scan_config_selectorI3IntEEZZNS1_9scan_implILNS1_25lookback_scan_determinismE0ELb0ELb0ES3_N6thrust23THRUST_200600_302600_NS6detail15normal_iteratorINSA_10device_ptrIKS5_EEEENSC_INSD_IS5_EEEES5_NSA_4plusIvEES5_EEDaPvRmT3_T4_T5_mT6_P12ihipStream_tbENKUlT_T0_E_clISt17integral_constantIbLb1EESY_EEDaST_SU_EUlST_E0_NS1_11comp_targetILNS1_3genE3ELNS1_11target_archE908ELNS1_3gpuE7ELNS1_3repE0EEENS1_30default_config_static_selectorELNS0_4arch9wavefront6targetE1EEEvT1_,comdat
.Lfunc_end6936:
	.size	_ZN7rocprim17ROCPRIM_400000_NS6detail17trampoline_kernelINS0_14default_configENS1_20scan_config_selectorI3IntEEZZNS1_9scan_implILNS1_25lookback_scan_determinismE0ELb0ELb0ES3_N6thrust23THRUST_200600_302600_NS6detail15normal_iteratorINSA_10device_ptrIKS5_EEEENSC_INSD_IS5_EEEES5_NSA_4plusIvEES5_EEDaPvRmT3_T4_T5_mT6_P12ihipStream_tbENKUlT_T0_E_clISt17integral_constantIbLb1EESY_EEDaST_SU_EUlST_E0_NS1_11comp_targetILNS1_3genE3ELNS1_11target_archE908ELNS1_3gpuE7ELNS1_3repE0EEENS1_30default_config_static_selectorELNS0_4arch9wavefront6targetE1EEEvT1_, .Lfunc_end6936-_ZN7rocprim17ROCPRIM_400000_NS6detail17trampoline_kernelINS0_14default_configENS1_20scan_config_selectorI3IntEEZZNS1_9scan_implILNS1_25lookback_scan_determinismE0ELb0ELb0ES3_N6thrust23THRUST_200600_302600_NS6detail15normal_iteratorINSA_10device_ptrIKS5_EEEENSC_INSD_IS5_EEEES5_NSA_4plusIvEES5_EEDaPvRmT3_T4_T5_mT6_P12ihipStream_tbENKUlT_T0_E_clISt17integral_constantIbLb1EESY_EEDaST_SU_EUlST_E0_NS1_11comp_targetILNS1_3genE3ELNS1_11target_archE908ELNS1_3gpuE7ELNS1_3repE0EEENS1_30default_config_static_selectorELNS0_4arch9wavefront6targetE1EEEvT1_
                                        ; -- End function
	.section	.AMDGPU.csdata,"",@progbits
; Kernel info:
; codeLenInByte = 0
; NumSgprs: 4
; NumVgprs: 0
; NumAgprs: 0
; TotalNumVgprs: 0
; ScratchSize: 0
; MemoryBound: 0
; FloatMode: 240
; IeeeMode: 1
; LDSByteSize: 0 bytes/workgroup (compile time only)
; SGPRBlocks: 0
; VGPRBlocks: 0
; NumSGPRsForWavesPerEU: 4
; NumVGPRsForWavesPerEU: 1
; AccumOffset: 4
; Occupancy: 8
; WaveLimiterHint : 0
; COMPUTE_PGM_RSRC2:SCRATCH_EN: 0
; COMPUTE_PGM_RSRC2:USER_SGPR: 6
; COMPUTE_PGM_RSRC2:TRAP_HANDLER: 0
; COMPUTE_PGM_RSRC2:TGID_X_EN: 1
; COMPUTE_PGM_RSRC2:TGID_Y_EN: 0
; COMPUTE_PGM_RSRC2:TGID_Z_EN: 0
; COMPUTE_PGM_RSRC2:TIDIG_COMP_CNT: 0
; COMPUTE_PGM_RSRC3_GFX90A:ACCUM_OFFSET: 0
; COMPUTE_PGM_RSRC3_GFX90A:TG_SPLIT: 0
	.section	.text._ZN7rocprim17ROCPRIM_400000_NS6detail17trampoline_kernelINS0_14default_configENS1_20scan_config_selectorI3IntEEZZNS1_9scan_implILNS1_25lookback_scan_determinismE0ELb0ELb0ES3_N6thrust23THRUST_200600_302600_NS6detail15normal_iteratorINSA_10device_ptrIKS5_EEEENSC_INSD_IS5_EEEES5_NSA_4plusIvEES5_EEDaPvRmT3_T4_T5_mT6_P12ihipStream_tbENKUlT_T0_E_clISt17integral_constantIbLb1EESY_EEDaST_SU_EUlST_E0_NS1_11comp_targetILNS1_3genE2ELNS1_11target_archE906ELNS1_3gpuE6ELNS1_3repE0EEENS1_30default_config_static_selectorELNS0_4arch9wavefront6targetE1EEEvT1_,"axG",@progbits,_ZN7rocprim17ROCPRIM_400000_NS6detail17trampoline_kernelINS0_14default_configENS1_20scan_config_selectorI3IntEEZZNS1_9scan_implILNS1_25lookback_scan_determinismE0ELb0ELb0ES3_N6thrust23THRUST_200600_302600_NS6detail15normal_iteratorINSA_10device_ptrIKS5_EEEENSC_INSD_IS5_EEEES5_NSA_4plusIvEES5_EEDaPvRmT3_T4_T5_mT6_P12ihipStream_tbENKUlT_T0_E_clISt17integral_constantIbLb1EESY_EEDaST_SU_EUlST_E0_NS1_11comp_targetILNS1_3genE2ELNS1_11target_archE906ELNS1_3gpuE6ELNS1_3repE0EEENS1_30default_config_static_selectorELNS0_4arch9wavefront6targetE1EEEvT1_,comdat
	.protected	_ZN7rocprim17ROCPRIM_400000_NS6detail17trampoline_kernelINS0_14default_configENS1_20scan_config_selectorI3IntEEZZNS1_9scan_implILNS1_25lookback_scan_determinismE0ELb0ELb0ES3_N6thrust23THRUST_200600_302600_NS6detail15normal_iteratorINSA_10device_ptrIKS5_EEEENSC_INSD_IS5_EEEES5_NSA_4plusIvEES5_EEDaPvRmT3_T4_T5_mT6_P12ihipStream_tbENKUlT_T0_E_clISt17integral_constantIbLb1EESY_EEDaST_SU_EUlST_E0_NS1_11comp_targetILNS1_3genE2ELNS1_11target_archE906ELNS1_3gpuE6ELNS1_3repE0EEENS1_30default_config_static_selectorELNS0_4arch9wavefront6targetE1EEEvT1_ ; -- Begin function _ZN7rocprim17ROCPRIM_400000_NS6detail17trampoline_kernelINS0_14default_configENS1_20scan_config_selectorI3IntEEZZNS1_9scan_implILNS1_25lookback_scan_determinismE0ELb0ELb0ES3_N6thrust23THRUST_200600_302600_NS6detail15normal_iteratorINSA_10device_ptrIKS5_EEEENSC_INSD_IS5_EEEES5_NSA_4plusIvEES5_EEDaPvRmT3_T4_T5_mT6_P12ihipStream_tbENKUlT_T0_E_clISt17integral_constantIbLb1EESY_EEDaST_SU_EUlST_E0_NS1_11comp_targetILNS1_3genE2ELNS1_11target_archE906ELNS1_3gpuE6ELNS1_3repE0EEENS1_30default_config_static_selectorELNS0_4arch9wavefront6targetE1EEEvT1_
	.globl	_ZN7rocprim17ROCPRIM_400000_NS6detail17trampoline_kernelINS0_14default_configENS1_20scan_config_selectorI3IntEEZZNS1_9scan_implILNS1_25lookback_scan_determinismE0ELb0ELb0ES3_N6thrust23THRUST_200600_302600_NS6detail15normal_iteratorINSA_10device_ptrIKS5_EEEENSC_INSD_IS5_EEEES5_NSA_4plusIvEES5_EEDaPvRmT3_T4_T5_mT6_P12ihipStream_tbENKUlT_T0_E_clISt17integral_constantIbLb1EESY_EEDaST_SU_EUlST_E0_NS1_11comp_targetILNS1_3genE2ELNS1_11target_archE906ELNS1_3gpuE6ELNS1_3repE0EEENS1_30default_config_static_selectorELNS0_4arch9wavefront6targetE1EEEvT1_
	.p2align	8
	.type	_ZN7rocprim17ROCPRIM_400000_NS6detail17trampoline_kernelINS0_14default_configENS1_20scan_config_selectorI3IntEEZZNS1_9scan_implILNS1_25lookback_scan_determinismE0ELb0ELb0ES3_N6thrust23THRUST_200600_302600_NS6detail15normal_iteratorINSA_10device_ptrIKS5_EEEENSC_INSD_IS5_EEEES5_NSA_4plusIvEES5_EEDaPvRmT3_T4_T5_mT6_P12ihipStream_tbENKUlT_T0_E_clISt17integral_constantIbLb1EESY_EEDaST_SU_EUlST_E0_NS1_11comp_targetILNS1_3genE2ELNS1_11target_archE906ELNS1_3gpuE6ELNS1_3repE0EEENS1_30default_config_static_selectorELNS0_4arch9wavefront6targetE1EEEvT1_,@function
_ZN7rocprim17ROCPRIM_400000_NS6detail17trampoline_kernelINS0_14default_configENS1_20scan_config_selectorI3IntEEZZNS1_9scan_implILNS1_25lookback_scan_determinismE0ELb0ELb0ES3_N6thrust23THRUST_200600_302600_NS6detail15normal_iteratorINSA_10device_ptrIKS5_EEEENSC_INSD_IS5_EEEES5_NSA_4plusIvEES5_EEDaPvRmT3_T4_T5_mT6_P12ihipStream_tbENKUlT_T0_E_clISt17integral_constantIbLb1EESY_EEDaST_SU_EUlST_E0_NS1_11comp_targetILNS1_3genE2ELNS1_11target_archE906ELNS1_3gpuE6ELNS1_3repE0EEENS1_30default_config_static_selectorELNS0_4arch9wavefront6targetE1EEEvT1_: ; @_ZN7rocprim17ROCPRIM_400000_NS6detail17trampoline_kernelINS0_14default_configENS1_20scan_config_selectorI3IntEEZZNS1_9scan_implILNS1_25lookback_scan_determinismE0ELb0ELb0ES3_N6thrust23THRUST_200600_302600_NS6detail15normal_iteratorINSA_10device_ptrIKS5_EEEENSC_INSD_IS5_EEEES5_NSA_4plusIvEES5_EEDaPvRmT3_T4_T5_mT6_P12ihipStream_tbENKUlT_T0_E_clISt17integral_constantIbLb1EESY_EEDaST_SU_EUlST_E0_NS1_11comp_targetILNS1_3genE2ELNS1_11target_archE906ELNS1_3gpuE6ELNS1_3repE0EEENS1_30default_config_static_selectorELNS0_4arch9wavefront6targetE1EEEvT1_
; %bb.0:
	.section	.rodata,"a",@progbits
	.p2align	6, 0x0
	.amdhsa_kernel _ZN7rocprim17ROCPRIM_400000_NS6detail17trampoline_kernelINS0_14default_configENS1_20scan_config_selectorI3IntEEZZNS1_9scan_implILNS1_25lookback_scan_determinismE0ELb0ELb0ES3_N6thrust23THRUST_200600_302600_NS6detail15normal_iteratorINSA_10device_ptrIKS5_EEEENSC_INSD_IS5_EEEES5_NSA_4plusIvEES5_EEDaPvRmT3_T4_T5_mT6_P12ihipStream_tbENKUlT_T0_E_clISt17integral_constantIbLb1EESY_EEDaST_SU_EUlST_E0_NS1_11comp_targetILNS1_3genE2ELNS1_11target_archE906ELNS1_3gpuE6ELNS1_3repE0EEENS1_30default_config_static_selectorELNS0_4arch9wavefront6targetE1EEEvT1_
		.amdhsa_group_segment_fixed_size 0
		.amdhsa_private_segment_fixed_size 0
		.amdhsa_kernarg_size 32
		.amdhsa_user_sgpr_count 6
		.amdhsa_user_sgpr_private_segment_buffer 1
		.amdhsa_user_sgpr_dispatch_ptr 0
		.amdhsa_user_sgpr_queue_ptr 0
		.amdhsa_user_sgpr_kernarg_segment_ptr 1
		.amdhsa_user_sgpr_dispatch_id 0
		.amdhsa_user_sgpr_flat_scratch_init 0
		.amdhsa_user_sgpr_kernarg_preload_length 0
		.amdhsa_user_sgpr_kernarg_preload_offset 0
		.amdhsa_user_sgpr_private_segment_size 0
		.amdhsa_uses_dynamic_stack 0
		.amdhsa_system_sgpr_private_segment_wavefront_offset 0
		.amdhsa_system_sgpr_workgroup_id_x 1
		.amdhsa_system_sgpr_workgroup_id_y 0
		.amdhsa_system_sgpr_workgroup_id_z 0
		.amdhsa_system_sgpr_workgroup_info 0
		.amdhsa_system_vgpr_workitem_id 0
		.amdhsa_next_free_vgpr 1
		.amdhsa_next_free_sgpr 0
		.amdhsa_accum_offset 4
		.amdhsa_reserve_vcc 0
		.amdhsa_reserve_flat_scratch 0
		.amdhsa_float_round_mode_32 0
		.amdhsa_float_round_mode_16_64 0
		.amdhsa_float_denorm_mode_32 3
		.amdhsa_float_denorm_mode_16_64 3
		.amdhsa_dx10_clamp 1
		.amdhsa_ieee_mode 1
		.amdhsa_fp16_overflow 0
		.amdhsa_tg_split 0
		.amdhsa_exception_fp_ieee_invalid_op 0
		.amdhsa_exception_fp_denorm_src 0
		.amdhsa_exception_fp_ieee_div_zero 0
		.amdhsa_exception_fp_ieee_overflow 0
		.amdhsa_exception_fp_ieee_underflow 0
		.amdhsa_exception_fp_ieee_inexact 0
		.amdhsa_exception_int_div_zero 0
	.end_amdhsa_kernel
	.section	.text._ZN7rocprim17ROCPRIM_400000_NS6detail17trampoline_kernelINS0_14default_configENS1_20scan_config_selectorI3IntEEZZNS1_9scan_implILNS1_25lookback_scan_determinismE0ELb0ELb0ES3_N6thrust23THRUST_200600_302600_NS6detail15normal_iteratorINSA_10device_ptrIKS5_EEEENSC_INSD_IS5_EEEES5_NSA_4plusIvEES5_EEDaPvRmT3_T4_T5_mT6_P12ihipStream_tbENKUlT_T0_E_clISt17integral_constantIbLb1EESY_EEDaST_SU_EUlST_E0_NS1_11comp_targetILNS1_3genE2ELNS1_11target_archE906ELNS1_3gpuE6ELNS1_3repE0EEENS1_30default_config_static_selectorELNS0_4arch9wavefront6targetE1EEEvT1_,"axG",@progbits,_ZN7rocprim17ROCPRIM_400000_NS6detail17trampoline_kernelINS0_14default_configENS1_20scan_config_selectorI3IntEEZZNS1_9scan_implILNS1_25lookback_scan_determinismE0ELb0ELb0ES3_N6thrust23THRUST_200600_302600_NS6detail15normal_iteratorINSA_10device_ptrIKS5_EEEENSC_INSD_IS5_EEEES5_NSA_4plusIvEES5_EEDaPvRmT3_T4_T5_mT6_P12ihipStream_tbENKUlT_T0_E_clISt17integral_constantIbLb1EESY_EEDaST_SU_EUlST_E0_NS1_11comp_targetILNS1_3genE2ELNS1_11target_archE906ELNS1_3gpuE6ELNS1_3repE0EEENS1_30default_config_static_selectorELNS0_4arch9wavefront6targetE1EEEvT1_,comdat
.Lfunc_end6937:
	.size	_ZN7rocprim17ROCPRIM_400000_NS6detail17trampoline_kernelINS0_14default_configENS1_20scan_config_selectorI3IntEEZZNS1_9scan_implILNS1_25lookback_scan_determinismE0ELb0ELb0ES3_N6thrust23THRUST_200600_302600_NS6detail15normal_iteratorINSA_10device_ptrIKS5_EEEENSC_INSD_IS5_EEEES5_NSA_4plusIvEES5_EEDaPvRmT3_T4_T5_mT6_P12ihipStream_tbENKUlT_T0_E_clISt17integral_constantIbLb1EESY_EEDaST_SU_EUlST_E0_NS1_11comp_targetILNS1_3genE2ELNS1_11target_archE906ELNS1_3gpuE6ELNS1_3repE0EEENS1_30default_config_static_selectorELNS0_4arch9wavefront6targetE1EEEvT1_, .Lfunc_end6937-_ZN7rocprim17ROCPRIM_400000_NS6detail17trampoline_kernelINS0_14default_configENS1_20scan_config_selectorI3IntEEZZNS1_9scan_implILNS1_25lookback_scan_determinismE0ELb0ELb0ES3_N6thrust23THRUST_200600_302600_NS6detail15normal_iteratorINSA_10device_ptrIKS5_EEEENSC_INSD_IS5_EEEES5_NSA_4plusIvEES5_EEDaPvRmT3_T4_T5_mT6_P12ihipStream_tbENKUlT_T0_E_clISt17integral_constantIbLb1EESY_EEDaST_SU_EUlST_E0_NS1_11comp_targetILNS1_3genE2ELNS1_11target_archE906ELNS1_3gpuE6ELNS1_3repE0EEENS1_30default_config_static_selectorELNS0_4arch9wavefront6targetE1EEEvT1_
                                        ; -- End function
	.section	.AMDGPU.csdata,"",@progbits
; Kernel info:
; codeLenInByte = 0
; NumSgprs: 4
; NumVgprs: 0
; NumAgprs: 0
; TotalNumVgprs: 0
; ScratchSize: 0
; MemoryBound: 0
; FloatMode: 240
; IeeeMode: 1
; LDSByteSize: 0 bytes/workgroup (compile time only)
; SGPRBlocks: 0
; VGPRBlocks: 0
; NumSGPRsForWavesPerEU: 4
; NumVGPRsForWavesPerEU: 1
; AccumOffset: 4
; Occupancy: 8
; WaveLimiterHint : 0
; COMPUTE_PGM_RSRC2:SCRATCH_EN: 0
; COMPUTE_PGM_RSRC2:USER_SGPR: 6
; COMPUTE_PGM_RSRC2:TRAP_HANDLER: 0
; COMPUTE_PGM_RSRC2:TGID_X_EN: 1
; COMPUTE_PGM_RSRC2:TGID_Y_EN: 0
; COMPUTE_PGM_RSRC2:TGID_Z_EN: 0
; COMPUTE_PGM_RSRC2:TIDIG_COMP_CNT: 0
; COMPUTE_PGM_RSRC3_GFX90A:ACCUM_OFFSET: 0
; COMPUTE_PGM_RSRC3_GFX90A:TG_SPLIT: 0
	.section	.text._ZN7rocprim17ROCPRIM_400000_NS6detail17trampoline_kernelINS0_14default_configENS1_20scan_config_selectorI3IntEEZZNS1_9scan_implILNS1_25lookback_scan_determinismE0ELb0ELb0ES3_N6thrust23THRUST_200600_302600_NS6detail15normal_iteratorINSA_10device_ptrIKS5_EEEENSC_INSD_IS5_EEEES5_NSA_4plusIvEES5_EEDaPvRmT3_T4_T5_mT6_P12ihipStream_tbENKUlT_T0_E_clISt17integral_constantIbLb1EESY_EEDaST_SU_EUlST_E0_NS1_11comp_targetILNS1_3genE10ELNS1_11target_archE1201ELNS1_3gpuE5ELNS1_3repE0EEENS1_30default_config_static_selectorELNS0_4arch9wavefront6targetE1EEEvT1_,"axG",@progbits,_ZN7rocprim17ROCPRIM_400000_NS6detail17trampoline_kernelINS0_14default_configENS1_20scan_config_selectorI3IntEEZZNS1_9scan_implILNS1_25lookback_scan_determinismE0ELb0ELb0ES3_N6thrust23THRUST_200600_302600_NS6detail15normal_iteratorINSA_10device_ptrIKS5_EEEENSC_INSD_IS5_EEEES5_NSA_4plusIvEES5_EEDaPvRmT3_T4_T5_mT6_P12ihipStream_tbENKUlT_T0_E_clISt17integral_constantIbLb1EESY_EEDaST_SU_EUlST_E0_NS1_11comp_targetILNS1_3genE10ELNS1_11target_archE1201ELNS1_3gpuE5ELNS1_3repE0EEENS1_30default_config_static_selectorELNS0_4arch9wavefront6targetE1EEEvT1_,comdat
	.protected	_ZN7rocprim17ROCPRIM_400000_NS6detail17trampoline_kernelINS0_14default_configENS1_20scan_config_selectorI3IntEEZZNS1_9scan_implILNS1_25lookback_scan_determinismE0ELb0ELb0ES3_N6thrust23THRUST_200600_302600_NS6detail15normal_iteratorINSA_10device_ptrIKS5_EEEENSC_INSD_IS5_EEEES5_NSA_4plusIvEES5_EEDaPvRmT3_T4_T5_mT6_P12ihipStream_tbENKUlT_T0_E_clISt17integral_constantIbLb1EESY_EEDaST_SU_EUlST_E0_NS1_11comp_targetILNS1_3genE10ELNS1_11target_archE1201ELNS1_3gpuE5ELNS1_3repE0EEENS1_30default_config_static_selectorELNS0_4arch9wavefront6targetE1EEEvT1_ ; -- Begin function _ZN7rocprim17ROCPRIM_400000_NS6detail17trampoline_kernelINS0_14default_configENS1_20scan_config_selectorI3IntEEZZNS1_9scan_implILNS1_25lookback_scan_determinismE0ELb0ELb0ES3_N6thrust23THRUST_200600_302600_NS6detail15normal_iteratorINSA_10device_ptrIKS5_EEEENSC_INSD_IS5_EEEES5_NSA_4plusIvEES5_EEDaPvRmT3_T4_T5_mT6_P12ihipStream_tbENKUlT_T0_E_clISt17integral_constantIbLb1EESY_EEDaST_SU_EUlST_E0_NS1_11comp_targetILNS1_3genE10ELNS1_11target_archE1201ELNS1_3gpuE5ELNS1_3repE0EEENS1_30default_config_static_selectorELNS0_4arch9wavefront6targetE1EEEvT1_
	.globl	_ZN7rocprim17ROCPRIM_400000_NS6detail17trampoline_kernelINS0_14default_configENS1_20scan_config_selectorI3IntEEZZNS1_9scan_implILNS1_25lookback_scan_determinismE0ELb0ELb0ES3_N6thrust23THRUST_200600_302600_NS6detail15normal_iteratorINSA_10device_ptrIKS5_EEEENSC_INSD_IS5_EEEES5_NSA_4plusIvEES5_EEDaPvRmT3_T4_T5_mT6_P12ihipStream_tbENKUlT_T0_E_clISt17integral_constantIbLb1EESY_EEDaST_SU_EUlST_E0_NS1_11comp_targetILNS1_3genE10ELNS1_11target_archE1201ELNS1_3gpuE5ELNS1_3repE0EEENS1_30default_config_static_selectorELNS0_4arch9wavefront6targetE1EEEvT1_
	.p2align	8
	.type	_ZN7rocprim17ROCPRIM_400000_NS6detail17trampoline_kernelINS0_14default_configENS1_20scan_config_selectorI3IntEEZZNS1_9scan_implILNS1_25lookback_scan_determinismE0ELb0ELb0ES3_N6thrust23THRUST_200600_302600_NS6detail15normal_iteratorINSA_10device_ptrIKS5_EEEENSC_INSD_IS5_EEEES5_NSA_4plusIvEES5_EEDaPvRmT3_T4_T5_mT6_P12ihipStream_tbENKUlT_T0_E_clISt17integral_constantIbLb1EESY_EEDaST_SU_EUlST_E0_NS1_11comp_targetILNS1_3genE10ELNS1_11target_archE1201ELNS1_3gpuE5ELNS1_3repE0EEENS1_30default_config_static_selectorELNS0_4arch9wavefront6targetE1EEEvT1_,@function
_ZN7rocprim17ROCPRIM_400000_NS6detail17trampoline_kernelINS0_14default_configENS1_20scan_config_selectorI3IntEEZZNS1_9scan_implILNS1_25lookback_scan_determinismE0ELb0ELb0ES3_N6thrust23THRUST_200600_302600_NS6detail15normal_iteratorINSA_10device_ptrIKS5_EEEENSC_INSD_IS5_EEEES5_NSA_4plusIvEES5_EEDaPvRmT3_T4_T5_mT6_P12ihipStream_tbENKUlT_T0_E_clISt17integral_constantIbLb1EESY_EEDaST_SU_EUlST_E0_NS1_11comp_targetILNS1_3genE10ELNS1_11target_archE1201ELNS1_3gpuE5ELNS1_3repE0EEENS1_30default_config_static_selectorELNS0_4arch9wavefront6targetE1EEEvT1_: ; @_ZN7rocprim17ROCPRIM_400000_NS6detail17trampoline_kernelINS0_14default_configENS1_20scan_config_selectorI3IntEEZZNS1_9scan_implILNS1_25lookback_scan_determinismE0ELb0ELb0ES3_N6thrust23THRUST_200600_302600_NS6detail15normal_iteratorINSA_10device_ptrIKS5_EEEENSC_INSD_IS5_EEEES5_NSA_4plusIvEES5_EEDaPvRmT3_T4_T5_mT6_P12ihipStream_tbENKUlT_T0_E_clISt17integral_constantIbLb1EESY_EEDaST_SU_EUlST_E0_NS1_11comp_targetILNS1_3genE10ELNS1_11target_archE1201ELNS1_3gpuE5ELNS1_3repE0EEENS1_30default_config_static_selectorELNS0_4arch9wavefront6targetE1EEEvT1_
; %bb.0:
	.section	.rodata,"a",@progbits
	.p2align	6, 0x0
	.amdhsa_kernel _ZN7rocprim17ROCPRIM_400000_NS6detail17trampoline_kernelINS0_14default_configENS1_20scan_config_selectorI3IntEEZZNS1_9scan_implILNS1_25lookback_scan_determinismE0ELb0ELb0ES3_N6thrust23THRUST_200600_302600_NS6detail15normal_iteratorINSA_10device_ptrIKS5_EEEENSC_INSD_IS5_EEEES5_NSA_4plusIvEES5_EEDaPvRmT3_T4_T5_mT6_P12ihipStream_tbENKUlT_T0_E_clISt17integral_constantIbLb1EESY_EEDaST_SU_EUlST_E0_NS1_11comp_targetILNS1_3genE10ELNS1_11target_archE1201ELNS1_3gpuE5ELNS1_3repE0EEENS1_30default_config_static_selectorELNS0_4arch9wavefront6targetE1EEEvT1_
		.amdhsa_group_segment_fixed_size 0
		.amdhsa_private_segment_fixed_size 0
		.amdhsa_kernarg_size 32
		.amdhsa_user_sgpr_count 6
		.amdhsa_user_sgpr_private_segment_buffer 1
		.amdhsa_user_sgpr_dispatch_ptr 0
		.amdhsa_user_sgpr_queue_ptr 0
		.amdhsa_user_sgpr_kernarg_segment_ptr 1
		.amdhsa_user_sgpr_dispatch_id 0
		.amdhsa_user_sgpr_flat_scratch_init 0
		.amdhsa_user_sgpr_kernarg_preload_length 0
		.amdhsa_user_sgpr_kernarg_preload_offset 0
		.amdhsa_user_sgpr_private_segment_size 0
		.amdhsa_uses_dynamic_stack 0
		.amdhsa_system_sgpr_private_segment_wavefront_offset 0
		.amdhsa_system_sgpr_workgroup_id_x 1
		.amdhsa_system_sgpr_workgroup_id_y 0
		.amdhsa_system_sgpr_workgroup_id_z 0
		.amdhsa_system_sgpr_workgroup_info 0
		.amdhsa_system_vgpr_workitem_id 0
		.amdhsa_next_free_vgpr 1
		.amdhsa_next_free_sgpr 0
		.amdhsa_accum_offset 4
		.amdhsa_reserve_vcc 0
		.amdhsa_reserve_flat_scratch 0
		.amdhsa_float_round_mode_32 0
		.amdhsa_float_round_mode_16_64 0
		.amdhsa_float_denorm_mode_32 3
		.amdhsa_float_denorm_mode_16_64 3
		.amdhsa_dx10_clamp 1
		.amdhsa_ieee_mode 1
		.amdhsa_fp16_overflow 0
		.amdhsa_tg_split 0
		.amdhsa_exception_fp_ieee_invalid_op 0
		.amdhsa_exception_fp_denorm_src 0
		.amdhsa_exception_fp_ieee_div_zero 0
		.amdhsa_exception_fp_ieee_overflow 0
		.amdhsa_exception_fp_ieee_underflow 0
		.amdhsa_exception_fp_ieee_inexact 0
		.amdhsa_exception_int_div_zero 0
	.end_amdhsa_kernel
	.section	.text._ZN7rocprim17ROCPRIM_400000_NS6detail17trampoline_kernelINS0_14default_configENS1_20scan_config_selectorI3IntEEZZNS1_9scan_implILNS1_25lookback_scan_determinismE0ELb0ELb0ES3_N6thrust23THRUST_200600_302600_NS6detail15normal_iteratorINSA_10device_ptrIKS5_EEEENSC_INSD_IS5_EEEES5_NSA_4plusIvEES5_EEDaPvRmT3_T4_T5_mT6_P12ihipStream_tbENKUlT_T0_E_clISt17integral_constantIbLb1EESY_EEDaST_SU_EUlST_E0_NS1_11comp_targetILNS1_3genE10ELNS1_11target_archE1201ELNS1_3gpuE5ELNS1_3repE0EEENS1_30default_config_static_selectorELNS0_4arch9wavefront6targetE1EEEvT1_,"axG",@progbits,_ZN7rocprim17ROCPRIM_400000_NS6detail17trampoline_kernelINS0_14default_configENS1_20scan_config_selectorI3IntEEZZNS1_9scan_implILNS1_25lookback_scan_determinismE0ELb0ELb0ES3_N6thrust23THRUST_200600_302600_NS6detail15normal_iteratorINSA_10device_ptrIKS5_EEEENSC_INSD_IS5_EEEES5_NSA_4plusIvEES5_EEDaPvRmT3_T4_T5_mT6_P12ihipStream_tbENKUlT_T0_E_clISt17integral_constantIbLb1EESY_EEDaST_SU_EUlST_E0_NS1_11comp_targetILNS1_3genE10ELNS1_11target_archE1201ELNS1_3gpuE5ELNS1_3repE0EEENS1_30default_config_static_selectorELNS0_4arch9wavefront6targetE1EEEvT1_,comdat
.Lfunc_end6938:
	.size	_ZN7rocprim17ROCPRIM_400000_NS6detail17trampoline_kernelINS0_14default_configENS1_20scan_config_selectorI3IntEEZZNS1_9scan_implILNS1_25lookback_scan_determinismE0ELb0ELb0ES3_N6thrust23THRUST_200600_302600_NS6detail15normal_iteratorINSA_10device_ptrIKS5_EEEENSC_INSD_IS5_EEEES5_NSA_4plusIvEES5_EEDaPvRmT3_T4_T5_mT6_P12ihipStream_tbENKUlT_T0_E_clISt17integral_constantIbLb1EESY_EEDaST_SU_EUlST_E0_NS1_11comp_targetILNS1_3genE10ELNS1_11target_archE1201ELNS1_3gpuE5ELNS1_3repE0EEENS1_30default_config_static_selectorELNS0_4arch9wavefront6targetE1EEEvT1_, .Lfunc_end6938-_ZN7rocprim17ROCPRIM_400000_NS6detail17trampoline_kernelINS0_14default_configENS1_20scan_config_selectorI3IntEEZZNS1_9scan_implILNS1_25lookback_scan_determinismE0ELb0ELb0ES3_N6thrust23THRUST_200600_302600_NS6detail15normal_iteratorINSA_10device_ptrIKS5_EEEENSC_INSD_IS5_EEEES5_NSA_4plusIvEES5_EEDaPvRmT3_T4_T5_mT6_P12ihipStream_tbENKUlT_T0_E_clISt17integral_constantIbLb1EESY_EEDaST_SU_EUlST_E0_NS1_11comp_targetILNS1_3genE10ELNS1_11target_archE1201ELNS1_3gpuE5ELNS1_3repE0EEENS1_30default_config_static_selectorELNS0_4arch9wavefront6targetE1EEEvT1_
                                        ; -- End function
	.section	.AMDGPU.csdata,"",@progbits
; Kernel info:
; codeLenInByte = 0
; NumSgprs: 4
; NumVgprs: 0
; NumAgprs: 0
; TotalNumVgprs: 0
; ScratchSize: 0
; MemoryBound: 0
; FloatMode: 240
; IeeeMode: 1
; LDSByteSize: 0 bytes/workgroup (compile time only)
; SGPRBlocks: 0
; VGPRBlocks: 0
; NumSGPRsForWavesPerEU: 4
; NumVGPRsForWavesPerEU: 1
; AccumOffset: 4
; Occupancy: 8
; WaveLimiterHint : 0
; COMPUTE_PGM_RSRC2:SCRATCH_EN: 0
; COMPUTE_PGM_RSRC2:USER_SGPR: 6
; COMPUTE_PGM_RSRC2:TRAP_HANDLER: 0
; COMPUTE_PGM_RSRC2:TGID_X_EN: 1
; COMPUTE_PGM_RSRC2:TGID_Y_EN: 0
; COMPUTE_PGM_RSRC2:TGID_Z_EN: 0
; COMPUTE_PGM_RSRC2:TIDIG_COMP_CNT: 0
; COMPUTE_PGM_RSRC3_GFX90A:ACCUM_OFFSET: 0
; COMPUTE_PGM_RSRC3_GFX90A:TG_SPLIT: 0
	.section	.text._ZN7rocprim17ROCPRIM_400000_NS6detail17trampoline_kernelINS0_14default_configENS1_20scan_config_selectorI3IntEEZZNS1_9scan_implILNS1_25lookback_scan_determinismE0ELb0ELb0ES3_N6thrust23THRUST_200600_302600_NS6detail15normal_iteratorINSA_10device_ptrIKS5_EEEENSC_INSD_IS5_EEEES5_NSA_4plusIvEES5_EEDaPvRmT3_T4_T5_mT6_P12ihipStream_tbENKUlT_T0_E_clISt17integral_constantIbLb1EESY_EEDaST_SU_EUlST_E0_NS1_11comp_targetILNS1_3genE10ELNS1_11target_archE1200ELNS1_3gpuE4ELNS1_3repE0EEENS1_30default_config_static_selectorELNS0_4arch9wavefront6targetE1EEEvT1_,"axG",@progbits,_ZN7rocprim17ROCPRIM_400000_NS6detail17trampoline_kernelINS0_14default_configENS1_20scan_config_selectorI3IntEEZZNS1_9scan_implILNS1_25lookback_scan_determinismE0ELb0ELb0ES3_N6thrust23THRUST_200600_302600_NS6detail15normal_iteratorINSA_10device_ptrIKS5_EEEENSC_INSD_IS5_EEEES5_NSA_4plusIvEES5_EEDaPvRmT3_T4_T5_mT6_P12ihipStream_tbENKUlT_T0_E_clISt17integral_constantIbLb1EESY_EEDaST_SU_EUlST_E0_NS1_11comp_targetILNS1_3genE10ELNS1_11target_archE1200ELNS1_3gpuE4ELNS1_3repE0EEENS1_30default_config_static_selectorELNS0_4arch9wavefront6targetE1EEEvT1_,comdat
	.protected	_ZN7rocprim17ROCPRIM_400000_NS6detail17trampoline_kernelINS0_14default_configENS1_20scan_config_selectorI3IntEEZZNS1_9scan_implILNS1_25lookback_scan_determinismE0ELb0ELb0ES3_N6thrust23THRUST_200600_302600_NS6detail15normal_iteratorINSA_10device_ptrIKS5_EEEENSC_INSD_IS5_EEEES5_NSA_4plusIvEES5_EEDaPvRmT3_T4_T5_mT6_P12ihipStream_tbENKUlT_T0_E_clISt17integral_constantIbLb1EESY_EEDaST_SU_EUlST_E0_NS1_11comp_targetILNS1_3genE10ELNS1_11target_archE1200ELNS1_3gpuE4ELNS1_3repE0EEENS1_30default_config_static_selectorELNS0_4arch9wavefront6targetE1EEEvT1_ ; -- Begin function _ZN7rocprim17ROCPRIM_400000_NS6detail17trampoline_kernelINS0_14default_configENS1_20scan_config_selectorI3IntEEZZNS1_9scan_implILNS1_25lookback_scan_determinismE0ELb0ELb0ES3_N6thrust23THRUST_200600_302600_NS6detail15normal_iteratorINSA_10device_ptrIKS5_EEEENSC_INSD_IS5_EEEES5_NSA_4plusIvEES5_EEDaPvRmT3_T4_T5_mT6_P12ihipStream_tbENKUlT_T0_E_clISt17integral_constantIbLb1EESY_EEDaST_SU_EUlST_E0_NS1_11comp_targetILNS1_3genE10ELNS1_11target_archE1200ELNS1_3gpuE4ELNS1_3repE0EEENS1_30default_config_static_selectorELNS0_4arch9wavefront6targetE1EEEvT1_
	.globl	_ZN7rocprim17ROCPRIM_400000_NS6detail17trampoline_kernelINS0_14default_configENS1_20scan_config_selectorI3IntEEZZNS1_9scan_implILNS1_25lookback_scan_determinismE0ELb0ELb0ES3_N6thrust23THRUST_200600_302600_NS6detail15normal_iteratorINSA_10device_ptrIKS5_EEEENSC_INSD_IS5_EEEES5_NSA_4plusIvEES5_EEDaPvRmT3_T4_T5_mT6_P12ihipStream_tbENKUlT_T0_E_clISt17integral_constantIbLb1EESY_EEDaST_SU_EUlST_E0_NS1_11comp_targetILNS1_3genE10ELNS1_11target_archE1200ELNS1_3gpuE4ELNS1_3repE0EEENS1_30default_config_static_selectorELNS0_4arch9wavefront6targetE1EEEvT1_
	.p2align	8
	.type	_ZN7rocprim17ROCPRIM_400000_NS6detail17trampoline_kernelINS0_14default_configENS1_20scan_config_selectorI3IntEEZZNS1_9scan_implILNS1_25lookback_scan_determinismE0ELb0ELb0ES3_N6thrust23THRUST_200600_302600_NS6detail15normal_iteratorINSA_10device_ptrIKS5_EEEENSC_INSD_IS5_EEEES5_NSA_4plusIvEES5_EEDaPvRmT3_T4_T5_mT6_P12ihipStream_tbENKUlT_T0_E_clISt17integral_constantIbLb1EESY_EEDaST_SU_EUlST_E0_NS1_11comp_targetILNS1_3genE10ELNS1_11target_archE1200ELNS1_3gpuE4ELNS1_3repE0EEENS1_30default_config_static_selectorELNS0_4arch9wavefront6targetE1EEEvT1_,@function
_ZN7rocprim17ROCPRIM_400000_NS6detail17trampoline_kernelINS0_14default_configENS1_20scan_config_selectorI3IntEEZZNS1_9scan_implILNS1_25lookback_scan_determinismE0ELb0ELb0ES3_N6thrust23THRUST_200600_302600_NS6detail15normal_iteratorINSA_10device_ptrIKS5_EEEENSC_INSD_IS5_EEEES5_NSA_4plusIvEES5_EEDaPvRmT3_T4_T5_mT6_P12ihipStream_tbENKUlT_T0_E_clISt17integral_constantIbLb1EESY_EEDaST_SU_EUlST_E0_NS1_11comp_targetILNS1_3genE10ELNS1_11target_archE1200ELNS1_3gpuE4ELNS1_3repE0EEENS1_30default_config_static_selectorELNS0_4arch9wavefront6targetE1EEEvT1_: ; @_ZN7rocprim17ROCPRIM_400000_NS6detail17trampoline_kernelINS0_14default_configENS1_20scan_config_selectorI3IntEEZZNS1_9scan_implILNS1_25lookback_scan_determinismE0ELb0ELb0ES3_N6thrust23THRUST_200600_302600_NS6detail15normal_iteratorINSA_10device_ptrIKS5_EEEENSC_INSD_IS5_EEEES5_NSA_4plusIvEES5_EEDaPvRmT3_T4_T5_mT6_P12ihipStream_tbENKUlT_T0_E_clISt17integral_constantIbLb1EESY_EEDaST_SU_EUlST_E0_NS1_11comp_targetILNS1_3genE10ELNS1_11target_archE1200ELNS1_3gpuE4ELNS1_3repE0EEENS1_30default_config_static_selectorELNS0_4arch9wavefront6targetE1EEEvT1_
; %bb.0:
	.section	.rodata,"a",@progbits
	.p2align	6, 0x0
	.amdhsa_kernel _ZN7rocprim17ROCPRIM_400000_NS6detail17trampoline_kernelINS0_14default_configENS1_20scan_config_selectorI3IntEEZZNS1_9scan_implILNS1_25lookback_scan_determinismE0ELb0ELb0ES3_N6thrust23THRUST_200600_302600_NS6detail15normal_iteratorINSA_10device_ptrIKS5_EEEENSC_INSD_IS5_EEEES5_NSA_4plusIvEES5_EEDaPvRmT3_T4_T5_mT6_P12ihipStream_tbENKUlT_T0_E_clISt17integral_constantIbLb1EESY_EEDaST_SU_EUlST_E0_NS1_11comp_targetILNS1_3genE10ELNS1_11target_archE1200ELNS1_3gpuE4ELNS1_3repE0EEENS1_30default_config_static_selectorELNS0_4arch9wavefront6targetE1EEEvT1_
		.amdhsa_group_segment_fixed_size 0
		.amdhsa_private_segment_fixed_size 0
		.amdhsa_kernarg_size 32
		.amdhsa_user_sgpr_count 6
		.amdhsa_user_sgpr_private_segment_buffer 1
		.amdhsa_user_sgpr_dispatch_ptr 0
		.amdhsa_user_sgpr_queue_ptr 0
		.amdhsa_user_sgpr_kernarg_segment_ptr 1
		.amdhsa_user_sgpr_dispatch_id 0
		.amdhsa_user_sgpr_flat_scratch_init 0
		.amdhsa_user_sgpr_kernarg_preload_length 0
		.amdhsa_user_sgpr_kernarg_preload_offset 0
		.amdhsa_user_sgpr_private_segment_size 0
		.amdhsa_uses_dynamic_stack 0
		.amdhsa_system_sgpr_private_segment_wavefront_offset 0
		.amdhsa_system_sgpr_workgroup_id_x 1
		.amdhsa_system_sgpr_workgroup_id_y 0
		.amdhsa_system_sgpr_workgroup_id_z 0
		.amdhsa_system_sgpr_workgroup_info 0
		.amdhsa_system_vgpr_workitem_id 0
		.amdhsa_next_free_vgpr 1
		.amdhsa_next_free_sgpr 0
		.amdhsa_accum_offset 4
		.amdhsa_reserve_vcc 0
		.amdhsa_reserve_flat_scratch 0
		.amdhsa_float_round_mode_32 0
		.amdhsa_float_round_mode_16_64 0
		.amdhsa_float_denorm_mode_32 3
		.amdhsa_float_denorm_mode_16_64 3
		.amdhsa_dx10_clamp 1
		.amdhsa_ieee_mode 1
		.amdhsa_fp16_overflow 0
		.amdhsa_tg_split 0
		.amdhsa_exception_fp_ieee_invalid_op 0
		.amdhsa_exception_fp_denorm_src 0
		.amdhsa_exception_fp_ieee_div_zero 0
		.amdhsa_exception_fp_ieee_overflow 0
		.amdhsa_exception_fp_ieee_underflow 0
		.amdhsa_exception_fp_ieee_inexact 0
		.amdhsa_exception_int_div_zero 0
	.end_amdhsa_kernel
	.section	.text._ZN7rocprim17ROCPRIM_400000_NS6detail17trampoline_kernelINS0_14default_configENS1_20scan_config_selectorI3IntEEZZNS1_9scan_implILNS1_25lookback_scan_determinismE0ELb0ELb0ES3_N6thrust23THRUST_200600_302600_NS6detail15normal_iteratorINSA_10device_ptrIKS5_EEEENSC_INSD_IS5_EEEES5_NSA_4plusIvEES5_EEDaPvRmT3_T4_T5_mT6_P12ihipStream_tbENKUlT_T0_E_clISt17integral_constantIbLb1EESY_EEDaST_SU_EUlST_E0_NS1_11comp_targetILNS1_3genE10ELNS1_11target_archE1200ELNS1_3gpuE4ELNS1_3repE0EEENS1_30default_config_static_selectorELNS0_4arch9wavefront6targetE1EEEvT1_,"axG",@progbits,_ZN7rocprim17ROCPRIM_400000_NS6detail17trampoline_kernelINS0_14default_configENS1_20scan_config_selectorI3IntEEZZNS1_9scan_implILNS1_25lookback_scan_determinismE0ELb0ELb0ES3_N6thrust23THRUST_200600_302600_NS6detail15normal_iteratorINSA_10device_ptrIKS5_EEEENSC_INSD_IS5_EEEES5_NSA_4plusIvEES5_EEDaPvRmT3_T4_T5_mT6_P12ihipStream_tbENKUlT_T0_E_clISt17integral_constantIbLb1EESY_EEDaST_SU_EUlST_E0_NS1_11comp_targetILNS1_3genE10ELNS1_11target_archE1200ELNS1_3gpuE4ELNS1_3repE0EEENS1_30default_config_static_selectorELNS0_4arch9wavefront6targetE1EEEvT1_,comdat
.Lfunc_end6939:
	.size	_ZN7rocprim17ROCPRIM_400000_NS6detail17trampoline_kernelINS0_14default_configENS1_20scan_config_selectorI3IntEEZZNS1_9scan_implILNS1_25lookback_scan_determinismE0ELb0ELb0ES3_N6thrust23THRUST_200600_302600_NS6detail15normal_iteratorINSA_10device_ptrIKS5_EEEENSC_INSD_IS5_EEEES5_NSA_4plusIvEES5_EEDaPvRmT3_T4_T5_mT6_P12ihipStream_tbENKUlT_T0_E_clISt17integral_constantIbLb1EESY_EEDaST_SU_EUlST_E0_NS1_11comp_targetILNS1_3genE10ELNS1_11target_archE1200ELNS1_3gpuE4ELNS1_3repE0EEENS1_30default_config_static_selectorELNS0_4arch9wavefront6targetE1EEEvT1_, .Lfunc_end6939-_ZN7rocprim17ROCPRIM_400000_NS6detail17trampoline_kernelINS0_14default_configENS1_20scan_config_selectorI3IntEEZZNS1_9scan_implILNS1_25lookback_scan_determinismE0ELb0ELb0ES3_N6thrust23THRUST_200600_302600_NS6detail15normal_iteratorINSA_10device_ptrIKS5_EEEENSC_INSD_IS5_EEEES5_NSA_4plusIvEES5_EEDaPvRmT3_T4_T5_mT6_P12ihipStream_tbENKUlT_T0_E_clISt17integral_constantIbLb1EESY_EEDaST_SU_EUlST_E0_NS1_11comp_targetILNS1_3genE10ELNS1_11target_archE1200ELNS1_3gpuE4ELNS1_3repE0EEENS1_30default_config_static_selectorELNS0_4arch9wavefront6targetE1EEEvT1_
                                        ; -- End function
	.section	.AMDGPU.csdata,"",@progbits
; Kernel info:
; codeLenInByte = 0
; NumSgprs: 4
; NumVgprs: 0
; NumAgprs: 0
; TotalNumVgprs: 0
; ScratchSize: 0
; MemoryBound: 0
; FloatMode: 240
; IeeeMode: 1
; LDSByteSize: 0 bytes/workgroup (compile time only)
; SGPRBlocks: 0
; VGPRBlocks: 0
; NumSGPRsForWavesPerEU: 4
; NumVGPRsForWavesPerEU: 1
; AccumOffset: 4
; Occupancy: 8
; WaveLimiterHint : 0
; COMPUTE_PGM_RSRC2:SCRATCH_EN: 0
; COMPUTE_PGM_RSRC2:USER_SGPR: 6
; COMPUTE_PGM_RSRC2:TRAP_HANDLER: 0
; COMPUTE_PGM_RSRC2:TGID_X_EN: 1
; COMPUTE_PGM_RSRC2:TGID_Y_EN: 0
; COMPUTE_PGM_RSRC2:TGID_Z_EN: 0
; COMPUTE_PGM_RSRC2:TIDIG_COMP_CNT: 0
; COMPUTE_PGM_RSRC3_GFX90A:ACCUM_OFFSET: 0
; COMPUTE_PGM_RSRC3_GFX90A:TG_SPLIT: 0
	.section	.text._ZN7rocprim17ROCPRIM_400000_NS6detail17trampoline_kernelINS0_14default_configENS1_20scan_config_selectorI3IntEEZZNS1_9scan_implILNS1_25lookback_scan_determinismE0ELb0ELb0ES3_N6thrust23THRUST_200600_302600_NS6detail15normal_iteratorINSA_10device_ptrIKS5_EEEENSC_INSD_IS5_EEEES5_NSA_4plusIvEES5_EEDaPvRmT3_T4_T5_mT6_P12ihipStream_tbENKUlT_T0_E_clISt17integral_constantIbLb1EESY_EEDaST_SU_EUlST_E0_NS1_11comp_targetILNS1_3genE9ELNS1_11target_archE1100ELNS1_3gpuE3ELNS1_3repE0EEENS1_30default_config_static_selectorELNS0_4arch9wavefront6targetE1EEEvT1_,"axG",@progbits,_ZN7rocprim17ROCPRIM_400000_NS6detail17trampoline_kernelINS0_14default_configENS1_20scan_config_selectorI3IntEEZZNS1_9scan_implILNS1_25lookback_scan_determinismE0ELb0ELb0ES3_N6thrust23THRUST_200600_302600_NS6detail15normal_iteratorINSA_10device_ptrIKS5_EEEENSC_INSD_IS5_EEEES5_NSA_4plusIvEES5_EEDaPvRmT3_T4_T5_mT6_P12ihipStream_tbENKUlT_T0_E_clISt17integral_constantIbLb1EESY_EEDaST_SU_EUlST_E0_NS1_11comp_targetILNS1_3genE9ELNS1_11target_archE1100ELNS1_3gpuE3ELNS1_3repE0EEENS1_30default_config_static_selectorELNS0_4arch9wavefront6targetE1EEEvT1_,comdat
	.protected	_ZN7rocprim17ROCPRIM_400000_NS6detail17trampoline_kernelINS0_14default_configENS1_20scan_config_selectorI3IntEEZZNS1_9scan_implILNS1_25lookback_scan_determinismE0ELb0ELb0ES3_N6thrust23THRUST_200600_302600_NS6detail15normal_iteratorINSA_10device_ptrIKS5_EEEENSC_INSD_IS5_EEEES5_NSA_4plusIvEES5_EEDaPvRmT3_T4_T5_mT6_P12ihipStream_tbENKUlT_T0_E_clISt17integral_constantIbLb1EESY_EEDaST_SU_EUlST_E0_NS1_11comp_targetILNS1_3genE9ELNS1_11target_archE1100ELNS1_3gpuE3ELNS1_3repE0EEENS1_30default_config_static_selectorELNS0_4arch9wavefront6targetE1EEEvT1_ ; -- Begin function _ZN7rocprim17ROCPRIM_400000_NS6detail17trampoline_kernelINS0_14default_configENS1_20scan_config_selectorI3IntEEZZNS1_9scan_implILNS1_25lookback_scan_determinismE0ELb0ELb0ES3_N6thrust23THRUST_200600_302600_NS6detail15normal_iteratorINSA_10device_ptrIKS5_EEEENSC_INSD_IS5_EEEES5_NSA_4plusIvEES5_EEDaPvRmT3_T4_T5_mT6_P12ihipStream_tbENKUlT_T0_E_clISt17integral_constantIbLb1EESY_EEDaST_SU_EUlST_E0_NS1_11comp_targetILNS1_3genE9ELNS1_11target_archE1100ELNS1_3gpuE3ELNS1_3repE0EEENS1_30default_config_static_selectorELNS0_4arch9wavefront6targetE1EEEvT1_
	.globl	_ZN7rocprim17ROCPRIM_400000_NS6detail17trampoline_kernelINS0_14default_configENS1_20scan_config_selectorI3IntEEZZNS1_9scan_implILNS1_25lookback_scan_determinismE0ELb0ELb0ES3_N6thrust23THRUST_200600_302600_NS6detail15normal_iteratorINSA_10device_ptrIKS5_EEEENSC_INSD_IS5_EEEES5_NSA_4plusIvEES5_EEDaPvRmT3_T4_T5_mT6_P12ihipStream_tbENKUlT_T0_E_clISt17integral_constantIbLb1EESY_EEDaST_SU_EUlST_E0_NS1_11comp_targetILNS1_3genE9ELNS1_11target_archE1100ELNS1_3gpuE3ELNS1_3repE0EEENS1_30default_config_static_selectorELNS0_4arch9wavefront6targetE1EEEvT1_
	.p2align	8
	.type	_ZN7rocprim17ROCPRIM_400000_NS6detail17trampoline_kernelINS0_14default_configENS1_20scan_config_selectorI3IntEEZZNS1_9scan_implILNS1_25lookback_scan_determinismE0ELb0ELb0ES3_N6thrust23THRUST_200600_302600_NS6detail15normal_iteratorINSA_10device_ptrIKS5_EEEENSC_INSD_IS5_EEEES5_NSA_4plusIvEES5_EEDaPvRmT3_T4_T5_mT6_P12ihipStream_tbENKUlT_T0_E_clISt17integral_constantIbLb1EESY_EEDaST_SU_EUlST_E0_NS1_11comp_targetILNS1_3genE9ELNS1_11target_archE1100ELNS1_3gpuE3ELNS1_3repE0EEENS1_30default_config_static_selectorELNS0_4arch9wavefront6targetE1EEEvT1_,@function
_ZN7rocprim17ROCPRIM_400000_NS6detail17trampoline_kernelINS0_14default_configENS1_20scan_config_selectorI3IntEEZZNS1_9scan_implILNS1_25lookback_scan_determinismE0ELb0ELb0ES3_N6thrust23THRUST_200600_302600_NS6detail15normal_iteratorINSA_10device_ptrIKS5_EEEENSC_INSD_IS5_EEEES5_NSA_4plusIvEES5_EEDaPvRmT3_T4_T5_mT6_P12ihipStream_tbENKUlT_T0_E_clISt17integral_constantIbLb1EESY_EEDaST_SU_EUlST_E0_NS1_11comp_targetILNS1_3genE9ELNS1_11target_archE1100ELNS1_3gpuE3ELNS1_3repE0EEENS1_30default_config_static_selectorELNS0_4arch9wavefront6targetE1EEEvT1_: ; @_ZN7rocprim17ROCPRIM_400000_NS6detail17trampoline_kernelINS0_14default_configENS1_20scan_config_selectorI3IntEEZZNS1_9scan_implILNS1_25lookback_scan_determinismE0ELb0ELb0ES3_N6thrust23THRUST_200600_302600_NS6detail15normal_iteratorINSA_10device_ptrIKS5_EEEENSC_INSD_IS5_EEEES5_NSA_4plusIvEES5_EEDaPvRmT3_T4_T5_mT6_P12ihipStream_tbENKUlT_T0_E_clISt17integral_constantIbLb1EESY_EEDaST_SU_EUlST_E0_NS1_11comp_targetILNS1_3genE9ELNS1_11target_archE1100ELNS1_3gpuE3ELNS1_3repE0EEENS1_30default_config_static_selectorELNS0_4arch9wavefront6targetE1EEEvT1_
; %bb.0:
	.section	.rodata,"a",@progbits
	.p2align	6, 0x0
	.amdhsa_kernel _ZN7rocprim17ROCPRIM_400000_NS6detail17trampoline_kernelINS0_14default_configENS1_20scan_config_selectorI3IntEEZZNS1_9scan_implILNS1_25lookback_scan_determinismE0ELb0ELb0ES3_N6thrust23THRUST_200600_302600_NS6detail15normal_iteratorINSA_10device_ptrIKS5_EEEENSC_INSD_IS5_EEEES5_NSA_4plusIvEES5_EEDaPvRmT3_T4_T5_mT6_P12ihipStream_tbENKUlT_T0_E_clISt17integral_constantIbLb1EESY_EEDaST_SU_EUlST_E0_NS1_11comp_targetILNS1_3genE9ELNS1_11target_archE1100ELNS1_3gpuE3ELNS1_3repE0EEENS1_30default_config_static_selectorELNS0_4arch9wavefront6targetE1EEEvT1_
		.amdhsa_group_segment_fixed_size 0
		.amdhsa_private_segment_fixed_size 0
		.amdhsa_kernarg_size 32
		.amdhsa_user_sgpr_count 6
		.amdhsa_user_sgpr_private_segment_buffer 1
		.amdhsa_user_sgpr_dispatch_ptr 0
		.amdhsa_user_sgpr_queue_ptr 0
		.amdhsa_user_sgpr_kernarg_segment_ptr 1
		.amdhsa_user_sgpr_dispatch_id 0
		.amdhsa_user_sgpr_flat_scratch_init 0
		.amdhsa_user_sgpr_kernarg_preload_length 0
		.amdhsa_user_sgpr_kernarg_preload_offset 0
		.amdhsa_user_sgpr_private_segment_size 0
		.amdhsa_uses_dynamic_stack 0
		.amdhsa_system_sgpr_private_segment_wavefront_offset 0
		.amdhsa_system_sgpr_workgroup_id_x 1
		.amdhsa_system_sgpr_workgroup_id_y 0
		.amdhsa_system_sgpr_workgroup_id_z 0
		.amdhsa_system_sgpr_workgroup_info 0
		.amdhsa_system_vgpr_workitem_id 0
		.amdhsa_next_free_vgpr 1
		.amdhsa_next_free_sgpr 0
		.amdhsa_accum_offset 4
		.amdhsa_reserve_vcc 0
		.amdhsa_reserve_flat_scratch 0
		.amdhsa_float_round_mode_32 0
		.amdhsa_float_round_mode_16_64 0
		.amdhsa_float_denorm_mode_32 3
		.amdhsa_float_denorm_mode_16_64 3
		.amdhsa_dx10_clamp 1
		.amdhsa_ieee_mode 1
		.amdhsa_fp16_overflow 0
		.amdhsa_tg_split 0
		.amdhsa_exception_fp_ieee_invalid_op 0
		.amdhsa_exception_fp_denorm_src 0
		.amdhsa_exception_fp_ieee_div_zero 0
		.amdhsa_exception_fp_ieee_overflow 0
		.amdhsa_exception_fp_ieee_underflow 0
		.amdhsa_exception_fp_ieee_inexact 0
		.amdhsa_exception_int_div_zero 0
	.end_amdhsa_kernel
	.section	.text._ZN7rocprim17ROCPRIM_400000_NS6detail17trampoline_kernelINS0_14default_configENS1_20scan_config_selectorI3IntEEZZNS1_9scan_implILNS1_25lookback_scan_determinismE0ELb0ELb0ES3_N6thrust23THRUST_200600_302600_NS6detail15normal_iteratorINSA_10device_ptrIKS5_EEEENSC_INSD_IS5_EEEES5_NSA_4plusIvEES5_EEDaPvRmT3_T4_T5_mT6_P12ihipStream_tbENKUlT_T0_E_clISt17integral_constantIbLb1EESY_EEDaST_SU_EUlST_E0_NS1_11comp_targetILNS1_3genE9ELNS1_11target_archE1100ELNS1_3gpuE3ELNS1_3repE0EEENS1_30default_config_static_selectorELNS0_4arch9wavefront6targetE1EEEvT1_,"axG",@progbits,_ZN7rocprim17ROCPRIM_400000_NS6detail17trampoline_kernelINS0_14default_configENS1_20scan_config_selectorI3IntEEZZNS1_9scan_implILNS1_25lookback_scan_determinismE0ELb0ELb0ES3_N6thrust23THRUST_200600_302600_NS6detail15normal_iteratorINSA_10device_ptrIKS5_EEEENSC_INSD_IS5_EEEES5_NSA_4plusIvEES5_EEDaPvRmT3_T4_T5_mT6_P12ihipStream_tbENKUlT_T0_E_clISt17integral_constantIbLb1EESY_EEDaST_SU_EUlST_E0_NS1_11comp_targetILNS1_3genE9ELNS1_11target_archE1100ELNS1_3gpuE3ELNS1_3repE0EEENS1_30default_config_static_selectorELNS0_4arch9wavefront6targetE1EEEvT1_,comdat
.Lfunc_end6940:
	.size	_ZN7rocprim17ROCPRIM_400000_NS6detail17trampoline_kernelINS0_14default_configENS1_20scan_config_selectorI3IntEEZZNS1_9scan_implILNS1_25lookback_scan_determinismE0ELb0ELb0ES3_N6thrust23THRUST_200600_302600_NS6detail15normal_iteratorINSA_10device_ptrIKS5_EEEENSC_INSD_IS5_EEEES5_NSA_4plusIvEES5_EEDaPvRmT3_T4_T5_mT6_P12ihipStream_tbENKUlT_T0_E_clISt17integral_constantIbLb1EESY_EEDaST_SU_EUlST_E0_NS1_11comp_targetILNS1_3genE9ELNS1_11target_archE1100ELNS1_3gpuE3ELNS1_3repE0EEENS1_30default_config_static_selectorELNS0_4arch9wavefront6targetE1EEEvT1_, .Lfunc_end6940-_ZN7rocprim17ROCPRIM_400000_NS6detail17trampoline_kernelINS0_14default_configENS1_20scan_config_selectorI3IntEEZZNS1_9scan_implILNS1_25lookback_scan_determinismE0ELb0ELb0ES3_N6thrust23THRUST_200600_302600_NS6detail15normal_iteratorINSA_10device_ptrIKS5_EEEENSC_INSD_IS5_EEEES5_NSA_4plusIvEES5_EEDaPvRmT3_T4_T5_mT6_P12ihipStream_tbENKUlT_T0_E_clISt17integral_constantIbLb1EESY_EEDaST_SU_EUlST_E0_NS1_11comp_targetILNS1_3genE9ELNS1_11target_archE1100ELNS1_3gpuE3ELNS1_3repE0EEENS1_30default_config_static_selectorELNS0_4arch9wavefront6targetE1EEEvT1_
                                        ; -- End function
	.section	.AMDGPU.csdata,"",@progbits
; Kernel info:
; codeLenInByte = 0
; NumSgprs: 4
; NumVgprs: 0
; NumAgprs: 0
; TotalNumVgprs: 0
; ScratchSize: 0
; MemoryBound: 0
; FloatMode: 240
; IeeeMode: 1
; LDSByteSize: 0 bytes/workgroup (compile time only)
; SGPRBlocks: 0
; VGPRBlocks: 0
; NumSGPRsForWavesPerEU: 4
; NumVGPRsForWavesPerEU: 1
; AccumOffset: 4
; Occupancy: 8
; WaveLimiterHint : 0
; COMPUTE_PGM_RSRC2:SCRATCH_EN: 0
; COMPUTE_PGM_RSRC2:USER_SGPR: 6
; COMPUTE_PGM_RSRC2:TRAP_HANDLER: 0
; COMPUTE_PGM_RSRC2:TGID_X_EN: 1
; COMPUTE_PGM_RSRC2:TGID_Y_EN: 0
; COMPUTE_PGM_RSRC2:TGID_Z_EN: 0
; COMPUTE_PGM_RSRC2:TIDIG_COMP_CNT: 0
; COMPUTE_PGM_RSRC3_GFX90A:ACCUM_OFFSET: 0
; COMPUTE_PGM_RSRC3_GFX90A:TG_SPLIT: 0
	.section	.text._ZN7rocprim17ROCPRIM_400000_NS6detail17trampoline_kernelINS0_14default_configENS1_20scan_config_selectorI3IntEEZZNS1_9scan_implILNS1_25lookback_scan_determinismE0ELb0ELb0ES3_N6thrust23THRUST_200600_302600_NS6detail15normal_iteratorINSA_10device_ptrIKS5_EEEENSC_INSD_IS5_EEEES5_NSA_4plusIvEES5_EEDaPvRmT3_T4_T5_mT6_P12ihipStream_tbENKUlT_T0_E_clISt17integral_constantIbLb1EESY_EEDaST_SU_EUlST_E0_NS1_11comp_targetILNS1_3genE8ELNS1_11target_archE1030ELNS1_3gpuE2ELNS1_3repE0EEENS1_30default_config_static_selectorELNS0_4arch9wavefront6targetE1EEEvT1_,"axG",@progbits,_ZN7rocprim17ROCPRIM_400000_NS6detail17trampoline_kernelINS0_14default_configENS1_20scan_config_selectorI3IntEEZZNS1_9scan_implILNS1_25lookback_scan_determinismE0ELb0ELb0ES3_N6thrust23THRUST_200600_302600_NS6detail15normal_iteratorINSA_10device_ptrIKS5_EEEENSC_INSD_IS5_EEEES5_NSA_4plusIvEES5_EEDaPvRmT3_T4_T5_mT6_P12ihipStream_tbENKUlT_T0_E_clISt17integral_constantIbLb1EESY_EEDaST_SU_EUlST_E0_NS1_11comp_targetILNS1_3genE8ELNS1_11target_archE1030ELNS1_3gpuE2ELNS1_3repE0EEENS1_30default_config_static_selectorELNS0_4arch9wavefront6targetE1EEEvT1_,comdat
	.protected	_ZN7rocprim17ROCPRIM_400000_NS6detail17trampoline_kernelINS0_14default_configENS1_20scan_config_selectorI3IntEEZZNS1_9scan_implILNS1_25lookback_scan_determinismE0ELb0ELb0ES3_N6thrust23THRUST_200600_302600_NS6detail15normal_iteratorINSA_10device_ptrIKS5_EEEENSC_INSD_IS5_EEEES5_NSA_4plusIvEES5_EEDaPvRmT3_T4_T5_mT6_P12ihipStream_tbENKUlT_T0_E_clISt17integral_constantIbLb1EESY_EEDaST_SU_EUlST_E0_NS1_11comp_targetILNS1_3genE8ELNS1_11target_archE1030ELNS1_3gpuE2ELNS1_3repE0EEENS1_30default_config_static_selectorELNS0_4arch9wavefront6targetE1EEEvT1_ ; -- Begin function _ZN7rocprim17ROCPRIM_400000_NS6detail17trampoline_kernelINS0_14default_configENS1_20scan_config_selectorI3IntEEZZNS1_9scan_implILNS1_25lookback_scan_determinismE0ELb0ELb0ES3_N6thrust23THRUST_200600_302600_NS6detail15normal_iteratorINSA_10device_ptrIKS5_EEEENSC_INSD_IS5_EEEES5_NSA_4plusIvEES5_EEDaPvRmT3_T4_T5_mT6_P12ihipStream_tbENKUlT_T0_E_clISt17integral_constantIbLb1EESY_EEDaST_SU_EUlST_E0_NS1_11comp_targetILNS1_3genE8ELNS1_11target_archE1030ELNS1_3gpuE2ELNS1_3repE0EEENS1_30default_config_static_selectorELNS0_4arch9wavefront6targetE1EEEvT1_
	.globl	_ZN7rocprim17ROCPRIM_400000_NS6detail17trampoline_kernelINS0_14default_configENS1_20scan_config_selectorI3IntEEZZNS1_9scan_implILNS1_25lookback_scan_determinismE0ELb0ELb0ES3_N6thrust23THRUST_200600_302600_NS6detail15normal_iteratorINSA_10device_ptrIKS5_EEEENSC_INSD_IS5_EEEES5_NSA_4plusIvEES5_EEDaPvRmT3_T4_T5_mT6_P12ihipStream_tbENKUlT_T0_E_clISt17integral_constantIbLb1EESY_EEDaST_SU_EUlST_E0_NS1_11comp_targetILNS1_3genE8ELNS1_11target_archE1030ELNS1_3gpuE2ELNS1_3repE0EEENS1_30default_config_static_selectorELNS0_4arch9wavefront6targetE1EEEvT1_
	.p2align	8
	.type	_ZN7rocprim17ROCPRIM_400000_NS6detail17trampoline_kernelINS0_14default_configENS1_20scan_config_selectorI3IntEEZZNS1_9scan_implILNS1_25lookback_scan_determinismE0ELb0ELb0ES3_N6thrust23THRUST_200600_302600_NS6detail15normal_iteratorINSA_10device_ptrIKS5_EEEENSC_INSD_IS5_EEEES5_NSA_4plusIvEES5_EEDaPvRmT3_T4_T5_mT6_P12ihipStream_tbENKUlT_T0_E_clISt17integral_constantIbLb1EESY_EEDaST_SU_EUlST_E0_NS1_11comp_targetILNS1_3genE8ELNS1_11target_archE1030ELNS1_3gpuE2ELNS1_3repE0EEENS1_30default_config_static_selectorELNS0_4arch9wavefront6targetE1EEEvT1_,@function
_ZN7rocprim17ROCPRIM_400000_NS6detail17trampoline_kernelINS0_14default_configENS1_20scan_config_selectorI3IntEEZZNS1_9scan_implILNS1_25lookback_scan_determinismE0ELb0ELb0ES3_N6thrust23THRUST_200600_302600_NS6detail15normal_iteratorINSA_10device_ptrIKS5_EEEENSC_INSD_IS5_EEEES5_NSA_4plusIvEES5_EEDaPvRmT3_T4_T5_mT6_P12ihipStream_tbENKUlT_T0_E_clISt17integral_constantIbLb1EESY_EEDaST_SU_EUlST_E0_NS1_11comp_targetILNS1_3genE8ELNS1_11target_archE1030ELNS1_3gpuE2ELNS1_3repE0EEENS1_30default_config_static_selectorELNS0_4arch9wavefront6targetE1EEEvT1_: ; @_ZN7rocprim17ROCPRIM_400000_NS6detail17trampoline_kernelINS0_14default_configENS1_20scan_config_selectorI3IntEEZZNS1_9scan_implILNS1_25lookback_scan_determinismE0ELb0ELb0ES3_N6thrust23THRUST_200600_302600_NS6detail15normal_iteratorINSA_10device_ptrIKS5_EEEENSC_INSD_IS5_EEEES5_NSA_4plusIvEES5_EEDaPvRmT3_T4_T5_mT6_P12ihipStream_tbENKUlT_T0_E_clISt17integral_constantIbLb1EESY_EEDaST_SU_EUlST_E0_NS1_11comp_targetILNS1_3genE8ELNS1_11target_archE1030ELNS1_3gpuE2ELNS1_3repE0EEENS1_30default_config_static_selectorELNS0_4arch9wavefront6targetE1EEEvT1_
; %bb.0:
	.section	.rodata,"a",@progbits
	.p2align	6, 0x0
	.amdhsa_kernel _ZN7rocprim17ROCPRIM_400000_NS6detail17trampoline_kernelINS0_14default_configENS1_20scan_config_selectorI3IntEEZZNS1_9scan_implILNS1_25lookback_scan_determinismE0ELb0ELb0ES3_N6thrust23THRUST_200600_302600_NS6detail15normal_iteratorINSA_10device_ptrIKS5_EEEENSC_INSD_IS5_EEEES5_NSA_4plusIvEES5_EEDaPvRmT3_T4_T5_mT6_P12ihipStream_tbENKUlT_T0_E_clISt17integral_constantIbLb1EESY_EEDaST_SU_EUlST_E0_NS1_11comp_targetILNS1_3genE8ELNS1_11target_archE1030ELNS1_3gpuE2ELNS1_3repE0EEENS1_30default_config_static_selectorELNS0_4arch9wavefront6targetE1EEEvT1_
		.amdhsa_group_segment_fixed_size 0
		.amdhsa_private_segment_fixed_size 0
		.amdhsa_kernarg_size 32
		.amdhsa_user_sgpr_count 6
		.amdhsa_user_sgpr_private_segment_buffer 1
		.amdhsa_user_sgpr_dispatch_ptr 0
		.amdhsa_user_sgpr_queue_ptr 0
		.amdhsa_user_sgpr_kernarg_segment_ptr 1
		.amdhsa_user_sgpr_dispatch_id 0
		.amdhsa_user_sgpr_flat_scratch_init 0
		.amdhsa_user_sgpr_kernarg_preload_length 0
		.amdhsa_user_sgpr_kernarg_preload_offset 0
		.amdhsa_user_sgpr_private_segment_size 0
		.amdhsa_uses_dynamic_stack 0
		.amdhsa_system_sgpr_private_segment_wavefront_offset 0
		.amdhsa_system_sgpr_workgroup_id_x 1
		.amdhsa_system_sgpr_workgroup_id_y 0
		.amdhsa_system_sgpr_workgroup_id_z 0
		.amdhsa_system_sgpr_workgroup_info 0
		.amdhsa_system_vgpr_workitem_id 0
		.amdhsa_next_free_vgpr 1
		.amdhsa_next_free_sgpr 0
		.amdhsa_accum_offset 4
		.amdhsa_reserve_vcc 0
		.amdhsa_reserve_flat_scratch 0
		.amdhsa_float_round_mode_32 0
		.amdhsa_float_round_mode_16_64 0
		.amdhsa_float_denorm_mode_32 3
		.amdhsa_float_denorm_mode_16_64 3
		.amdhsa_dx10_clamp 1
		.amdhsa_ieee_mode 1
		.amdhsa_fp16_overflow 0
		.amdhsa_tg_split 0
		.amdhsa_exception_fp_ieee_invalid_op 0
		.amdhsa_exception_fp_denorm_src 0
		.amdhsa_exception_fp_ieee_div_zero 0
		.amdhsa_exception_fp_ieee_overflow 0
		.amdhsa_exception_fp_ieee_underflow 0
		.amdhsa_exception_fp_ieee_inexact 0
		.amdhsa_exception_int_div_zero 0
	.end_amdhsa_kernel
	.section	.text._ZN7rocprim17ROCPRIM_400000_NS6detail17trampoline_kernelINS0_14default_configENS1_20scan_config_selectorI3IntEEZZNS1_9scan_implILNS1_25lookback_scan_determinismE0ELb0ELb0ES3_N6thrust23THRUST_200600_302600_NS6detail15normal_iteratorINSA_10device_ptrIKS5_EEEENSC_INSD_IS5_EEEES5_NSA_4plusIvEES5_EEDaPvRmT3_T4_T5_mT6_P12ihipStream_tbENKUlT_T0_E_clISt17integral_constantIbLb1EESY_EEDaST_SU_EUlST_E0_NS1_11comp_targetILNS1_3genE8ELNS1_11target_archE1030ELNS1_3gpuE2ELNS1_3repE0EEENS1_30default_config_static_selectorELNS0_4arch9wavefront6targetE1EEEvT1_,"axG",@progbits,_ZN7rocprim17ROCPRIM_400000_NS6detail17trampoline_kernelINS0_14default_configENS1_20scan_config_selectorI3IntEEZZNS1_9scan_implILNS1_25lookback_scan_determinismE0ELb0ELb0ES3_N6thrust23THRUST_200600_302600_NS6detail15normal_iteratorINSA_10device_ptrIKS5_EEEENSC_INSD_IS5_EEEES5_NSA_4plusIvEES5_EEDaPvRmT3_T4_T5_mT6_P12ihipStream_tbENKUlT_T0_E_clISt17integral_constantIbLb1EESY_EEDaST_SU_EUlST_E0_NS1_11comp_targetILNS1_3genE8ELNS1_11target_archE1030ELNS1_3gpuE2ELNS1_3repE0EEENS1_30default_config_static_selectorELNS0_4arch9wavefront6targetE1EEEvT1_,comdat
.Lfunc_end6941:
	.size	_ZN7rocprim17ROCPRIM_400000_NS6detail17trampoline_kernelINS0_14default_configENS1_20scan_config_selectorI3IntEEZZNS1_9scan_implILNS1_25lookback_scan_determinismE0ELb0ELb0ES3_N6thrust23THRUST_200600_302600_NS6detail15normal_iteratorINSA_10device_ptrIKS5_EEEENSC_INSD_IS5_EEEES5_NSA_4plusIvEES5_EEDaPvRmT3_T4_T5_mT6_P12ihipStream_tbENKUlT_T0_E_clISt17integral_constantIbLb1EESY_EEDaST_SU_EUlST_E0_NS1_11comp_targetILNS1_3genE8ELNS1_11target_archE1030ELNS1_3gpuE2ELNS1_3repE0EEENS1_30default_config_static_selectorELNS0_4arch9wavefront6targetE1EEEvT1_, .Lfunc_end6941-_ZN7rocprim17ROCPRIM_400000_NS6detail17trampoline_kernelINS0_14default_configENS1_20scan_config_selectorI3IntEEZZNS1_9scan_implILNS1_25lookback_scan_determinismE0ELb0ELb0ES3_N6thrust23THRUST_200600_302600_NS6detail15normal_iteratorINSA_10device_ptrIKS5_EEEENSC_INSD_IS5_EEEES5_NSA_4plusIvEES5_EEDaPvRmT3_T4_T5_mT6_P12ihipStream_tbENKUlT_T0_E_clISt17integral_constantIbLb1EESY_EEDaST_SU_EUlST_E0_NS1_11comp_targetILNS1_3genE8ELNS1_11target_archE1030ELNS1_3gpuE2ELNS1_3repE0EEENS1_30default_config_static_selectorELNS0_4arch9wavefront6targetE1EEEvT1_
                                        ; -- End function
	.section	.AMDGPU.csdata,"",@progbits
; Kernel info:
; codeLenInByte = 0
; NumSgprs: 4
; NumVgprs: 0
; NumAgprs: 0
; TotalNumVgprs: 0
; ScratchSize: 0
; MemoryBound: 0
; FloatMode: 240
; IeeeMode: 1
; LDSByteSize: 0 bytes/workgroup (compile time only)
; SGPRBlocks: 0
; VGPRBlocks: 0
; NumSGPRsForWavesPerEU: 4
; NumVGPRsForWavesPerEU: 1
; AccumOffset: 4
; Occupancy: 8
; WaveLimiterHint : 0
; COMPUTE_PGM_RSRC2:SCRATCH_EN: 0
; COMPUTE_PGM_RSRC2:USER_SGPR: 6
; COMPUTE_PGM_RSRC2:TRAP_HANDLER: 0
; COMPUTE_PGM_RSRC2:TGID_X_EN: 1
; COMPUTE_PGM_RSRC2:TGID_Y_EN: 0
; COMPUTE_PGM_RSRC2:TGID_Z_EN: 0
; COMPUTE_PGM_RSRC2:TIDIG_COMP_CNT: 0
; COMPUTE_PGM_RSRC3_GFX90A:ACCUM_OFFSET: 0
; COMPUTE_PGM_RSRC3_GFX90A:TG_SPLIT: 0
	.section	.text._ZN7rocprim17ROCPRIM_400000_NS6detail31init_lookback_scan_state_kernelINS1_19lookback_scan_stateI3IntLb1ELb1EEENS1_16block_id_wrapperIjLb0EEEEEvT_jT0_jPNS8_10value_typeE,"axG",@progbits,_ZN7rocprim17ROCPRIM_400000_NS6detail31init_lookback_scan_state_kernelINS1_19lookback_scan_stateI3IntLb1ELb1EEENS1_16block_id_wrapperIjLb0EEEEEvT_jT0_jPNS8_10value_typeE,comdat
	.protected	_ZN7rocprim17ROCPRIM_400000_NS6detail31init_lookback_scan_state_kernelINS1_19lookback_scan_stateI3IntLb1ELb1EEENS1_16block_id_wrapperIjLb0EEEEEvT_jT0_jPNS8_10value_typeE ; -- Begin function _ZN7rocprim17ROCPRIM_400000_NS6detail31init_lookback_scan_state_kernelINS1_19lookback_scan_stateI3IntLb1ELb1EEENS1_16block_id_wrapperIjLb0EEEEEvT_jT0_jPNS8_10value_typeE
	.globl	_ZN7rocprim17ROCPRIM_400000_NS6detail31init_lookback_scan_state_kernelINS1_19lookback_scan_stateI3IntLb1ELb1EEENS1_16block_id_wrapperIjLb0EEEEEvT_jT0_jPNS8_10value_typeE
	.p2align	8
	.type	_ZN7rocprim17ROCPRIM_400000_NS6detail31init_lookback_scan_state_kernelINS1_19lookback_scan_stateI3IntLb1ELb1EEENS1_16block_id_wrapperIjLb0EEEEEvT_jT0_jPNS8_10value_typeE,@function
_ZN7rocprim17ROCPRIM_400000_NS6detail31init_lookback_scan_state_kernelINS1_19lookback_scan_stateI3IntLb1ELb1EEENS1_16block_id_wrapperIjLb0EEEEEvT_jT0_jPNS8_10value_typeE: ; @_ZN7rocprim17ROCPRIM_400000_NS6detail31init_lookback_scan_state_kernelINS1_19lookback_scan_stateI3IntLb1ELb1EEENS1_16block_id_wrapperIjLb0EEEEEvT_jT0_jPNS8_10value_typeE
; %bb.0:
	s_load_dword s7, s[4:5], 0x2c
	s_load_dwordx2 s[2:3], s[4:5], 0x18
	s_load_dwordx2 s[0:1], s[4:5], 0x0
	s_load_dword s8, s[4:5], 0x8
	s_waitcnt lgkmcnt(0)
	s_and_b32 s7, s7, 0xffff
	s_mul_i32 s6, s6, s7
	s_cmp_eq_u64 s[2:3], 0
	v_add_u32_e32 v0, s6, v0
	s_cbranch_scc1 .LBB6942_9
; %bb.1:
	s_load_dword s6, s[4:5], 0x10
	s_mov_b32 s7, 0
	s_waitcnt lgkmcnt(0)
	s_cmp_lt_u32 s6, s8
	s_cselect_b32 s4, s6, 0
	v_cmp_eq_u32_e32 vcc, s4, v0
	s_and_saveexec_b64 s[4:5], vcc
	s_cbranch_execz .LBB6942_8
; %bb.2:
	s_add_i32 s6, s6, 64
	s_lshl_b64 s[6:7], s[6:7], 3
	s_add_u32 s6, s0, s6
	s_addc_u32 s7, s1, s7
	v_mov_b32_e32 v2, 0
	global_load_dwordx2 v[4:5], v2, s[6:7] glc
	s_waitcnt vmcnt(0)
	v_and_b32_e32 v3, 0xff, v5
	v_cmp_ne_u64_e32 vcc, 0, v[2:3]
	s_cbranch_vccnz .LBB6942_7
; %bb.3:
	s_mov_b32 s9, 1
.LBB6942_4:                             ; =>This Loop Header: Depth=1
                                        ;     Child Loop BB6942_5 Depth 2
	s_max_u32 s10, s9, 1
.LBB6942_5:                             ;   Parent Loop BB6942_4 Depth=1
                                        ; =>  This Inner Loop Header: Depth=2
	s_add_i32 s10, s10, -1
	s_cmp_eq_u32 s10, 0
	s_sleep 1
	s_cbranch_scc0 .LBB6942_5
; %bb.6:                                ;   in Loop: Header=BB6942_4 Depth=1
	global_load_dwordx2 v[4:5], v2, s[6:7] glc
	s_cmp_lt_u32 s9, 32
	s_cselect_b64 s[10:11], -1, 0
	s_cmp_lg_u64 s[10:11], 0
	s_addc_u32 s9, s9, 0
	s_waitcnt vmcnt(0)
	v_and_b32_e32 v3, 0xff, v5
	v_cmp_ne_u64_e32 vcc, 0, v[2:3]
	s_cbranch_vccz .LBB6942_4
.LBB6942_7:
	v_mov_b32_e32 v1, 0
	global_store_dword v1, v4, s[2:3]
.LBB6942_8:
	s_or_b64 exec, exec, s[4:5]
.LBB6942_9:
	v_cmp_gt_u32_e32 vcc, s8, v0
	s_and_saveexec_b64 s[2:3], vcc
	s_cbranch_execnz .LBB6942_12
; %bb.10:
	s_or_b64 exec, exec, s[2:3]
	v_cmp_gt_u32_e32 vcc, 64, v0
	s_and_saveexec_b64 s[2:3], vcc
	s_cbranch_execnz .LBB6942_13
.LBB6942_11:
	s_endpgm
.LBB6942_12:
	v_add_u32_e32 v2, 64, v0
	v_mov_b32_e32 v3, 0
	v_lshlrev_b64 v[4:5], 3, v[2:3]
	v_mov_b32_e32 v1, s1
	v_add_co_u32_e32 v4, vcc, s0, v4
	v_addc_co_u32_e32 v5, vcc, v1, v5, vcc
	v_mov_b32_e32 v2, v3
	global_store_dwordx2 v[4:5], v[2:3], off
	s_or_b64 exec, exec, s[2:3]
	v_cmp_gt_u32_e32 vcc, 64, v0
	s_and_saveexec_b64 s[2:3], vcc
	s_cbranch_execz .LBB6942_11
.LBB6942_13:
	v_mov_b32_e32 v1, 0
	v_lshlrev_b64 v[2:3], 3, v[0:1]
	v_mov_b32_e32 v0, s1
	v_add_co_u32_e32 v2, vcc, s0, v2
	v_addc_co_u32_e32 v3, vcc, v0, v3, vcc
	v_mov_b32_e32 v5, 0xff
	v_mov_b32_e32 v4, v1
	global_store_dwordx2 v[2:3], v[4:5], off
	s_endpgm
	.section	.rodata,"a",@progbits
	.p2align	6, 0x0
	.amdhsa_kernel _ZN7rocprim17ROCPRIM_400000_NS6detail31init_lookback_scan_state_kernelINS1_19lookback_scan_stateI3IntLb1ELb1EEENS1_16block_id_wrapperIjLb0EEEEEvT_jT0_jPNS8_10value_typeE
		.amdhsa_group_segment_fixed_size 0
		.amdhsa_private_segment_fixed_size 0
		.amdhsa_kernarg_size 288
		.amdhsa_user_sgpr_count 6
		.amdhsa_user_sgpr_private_segment_buffer 1
		.amdhsa_user_sgpr_dispatch_ptr 0
		.amdhsa_user_sgpr_queue_ptr 0
		.amdhsa_user_sgpr_kernarg_segment_ptr 1
		.amdhsa_user_sgpr_dispatch_id 0
		.amdhsa_user_sgpr_flat_scratch_init 0
		.amdhsa_user_sgpr_kernarg_preload_length 0
		.amdhsa_user_sgpr_kernarg_preload_offset 0
		.amdhsa_user_sgpr_private_segment_size 0
		.amdhsa_uses_dynamic_stack 0
		.amdhsa_system_sgpr_private_segment_wavefront_offset 0
		.amdhsa_system_sgpr_workgroup_id_x 1
		.amdhsa_system_sgpr_workgroup_id_y 0
		.amdhsa_system_sgpr_workgroup_id_z 0
		.amdhsa_system_sgpr_workgroup_info 0
		.amdhsa_system_vgpr_workitem_id 0
		.amdhsa_next_free_vgpr 6
		.amdhsa_next_free_sgpr 12
		.amdhsa_accum_offset 8
		.amdhsa_reserve_vcc 1
		.amdhsa_reserve_flat_scratch 0
		.amdhsa_float_round_mode_32 0
		.amdhsa_float_round_mode_16_64 0
		.amdhsa_float_denorm_mode_32 3
		.amdhsa_float_denorm_mode_16_64 3
		.amdhsa_dx10_clamp 1
		.amdhsa_ieee_mode 1
		.amdhsa_fp16_overflow 0
		.amdhsa_tg_split 0
		.amdhsa_exception_fp_ieee_invalid_op 0
		.amdhsa_exception_fp_denorm_src 0
		.amdhsa_exception_fp_ieee_div_zero 0
		.amdhsa_exception_fp_ieee_overflow 0
		.amdhsa_exception_fp_ieee_underflow 0
		.amdhsa_exception_fp_ieee_inexact 0
		.amdhsa_exception_int_div_zero 0
	.end_amdhsa_kernel
	.section	.text._ZN7rocprim17ROCPRIM_400000_NS6detail31init_lookback_scan_state_kernelINS1_19lookback_scan_stateI3IntLb1ELb1EEENS1_16block_id_wrapperIjLb0EEEEEvT_jT0_jPNS8_10value_typeE,"axG",@progbits,_ZN7rocprim17ROCPRIM_400000_NS6detail31init_lookback_scan_state_kernelINS1_19lookback_scan_stateI3IntLb1ELb1EEENS1_16block_id_wrapperIjLb0EEEEEvT_jT0_jPNS8_10value_typeE,comdat
.Lfunc_end6942:
	.size	_ZN7rocprim17ROCPRIM_400000_NS6detail31init_lookback_scan_state_kernelINS1_19lookback_scan_stateI3IntLb1ELb1EEENS1_16block_id_wrapperIjLb0EEEEEvT_jT0_jPNS8_10value_typeE, .Lfunc_end6942-_ZN7rocprim17ROCPRIM_400000_NS6detail31init_lookback_scan_state_kernelINS1_19lookback_scan_stateI3IntLb1ELb1EEENS1_16block_id_wrapperIjLb0EEEEEvT_jT0_jPNS8_10value_typeE
                                        ; -- End function
	.section	.AMDGPU.csdata,"",@progbits
; Kernel info:
; codeLenInByte = 364
; NumSgprs: 16
; NumVgprs: 6
; NumAgprs: 0
; TotalNumVgprs: 6
; ScratchSize: 0
; MemoryBound: 0
; FloatMode: 240
; IeeeMode: 1
; LDSByteSize: 0 bytes/workgroup (compile time only)
; SGPRBlocks: 1
; VGPRBlocks: 0
; NumSGPRsForWavesPerEU: 16
; NumVGPRsForWavesPerEU: 6
; AccumOffset: 8
; Occupancy: 8
; WaveLimiterHint : 0
; COMPUTE_PGM_RSRC2:SCRATCH_EN: 0
; COMPUTE_PGM_RSRC2:USER_SGPR: 6
; COMPUTE_PGM_RSRC2:TRAP_HANDLER: 0
; COMPUTE_PGM_RSRC2:TGID_X_EN: 1
; COMPUTE_PGM_RSRC2:TGID_Y_EN: 0
; COMPUTE_PGM_RSRC2:TGID_Z_EN: 0
; COMPUTE_PGM_RSRC2:TIDIG_COMP_CNT: 0
; COMPUTE_PGM_RSRC3_GFX90A:ACCUM_OFFSET: 1
; COMPUTE_PGM_RSRC3_GFX90A:TG_SPLIT: 0
	.section	.text._ZN7rocprim17ROCPRIM_400000_NS6detail17trampoline_kernelINS0_14default_configENS1_20scan_config_selectorI3IntEEZZNS1_9scan_implILNS1_25lookback_scan_determinismE0ELb0ELb0ES3_N6thrust23THRUST_200600_302600_NS6detail15normal_iteratorINSA_10device_ptrIKS5_EEEENSC_INSD_IS5_EEEES5_NSA_4plusIvEES5_EEDaPvRmT3_T4_T5_mT6_P12ihipStream_tbENKUlT_T0_E_clISt17integral_constantIbLb1EESX_IbLb0EEEEDaST_SU_EUlST_E_NS1_11comp_targetILNS1_3genE0ELNS1_11target_archE4294967295ELNS1_3gpuE0ELNS1_3repE0EEENS1_30default_config_static_selectorELNS0_4arch9wavefront6targetE1EEEvT1_,"axG",@progbits,_ZN7rocprim17ROCPRIM_400000_NS6detail17trampoline_kernelINS0_14default_configENS1_20scan_config_selectorI3IntEEZZNS1_9scan_implILNS1_25lookback_scan_determinismE0ELb0ELb0ES3_N6thrust23THRUST_200600_302600_NS6detail15normal_iteratorINSA_10device_ptrIKS5_EEEENSC_INSD_IS5_EEEES5_NSA_4plusIvEES5_EEDaPvRmT3_T4_T5_mT6_P12ihipStream_tbENKUlT_T0_E_clISt17integral_constantIbLb1EESX_IbLb0EEEEDaST_SU_EUlST_E_NS1_11comp_targetILNS1_3genE0ELNS1_11target_archE4294967295ELNS1_3gpuE0ELNS1_3repE0EEENS1_30default_config_static_selectorELNS0_4arch9wavefront6targetE1EEEvT1_,comdat
	.protected	_ZN7rocprim17ROCPRIM_400000_NS6detail17trampoline_kernelINS0_14default_configENS1_20scan_config_selectorI3IntEEZZNS1_9scan_implILNS1_25lookback_scan_determinismE0ELb0ELb0ES3_N6thrust23THRUST_200600_302600_NS6detail15normal_iteratorINSA_10device_ptrIKS5_EEEENSC_INSD_IS5_EEEES5_NSA_4plusIvEES5_EEDaPvRmT3_T4_T5_mT6_P12ihipStream_tbENKUlT_T0_E_clISt17integral_constantIbLb1EESX_IbLb0EEEEDaST_SU_EUlST_E_NS1_11comp_targetILNS1_3genE0ELNS1_11target_archE4294967295ELNS1_3gpuE0ELNS1_3repE0EEENS1_30default_config_static_selectorELNS0_4arch9wavefront6targetE1EEEvT1_ ; -- Begin function _ZN7rocprim17ROCPRIM_400000_NS6detail17trampoline_kernelINS0_14default_configENS1_20scan_config_selectorI3IntEEZZNS1_9scan_implILNS1_25lookback_scan_determinismE0ELb0ELb0ES3_N6thrust23THRUST_200600_302600_NS6detail15normal_iteratorINSA_10device_ptrIKS5_EEEENSC_INSD_IS5_EEEES5_NSA_4plusIvEES5_EEDaPvRmT3_T4_T5_mT6_P12ihipStream_tbENKUlT_T0_E_clISt17integral_constantIbLb1EESX_IbLb0EEEEDaST_SU_EUlST_E_NS1_11comp_targetILNS1_3genE0ELNS1_11target_archE4294967295ELNS1_3gpuE0ELNS1_3repE0EEENS1_30default_config_static_selectorELNS0_4arch9wavefront6targetE1EEEvT1_
	.globl	_ZN7rocprim17ROCPRIM_400000_NS6detail17trampoline_kernelINS0_14default_configENS1_20scan_config_selectorI3IntEEZZNS1_9scan_implILNS1_25lookback_scan_determinismE0ELb0ELb0ES3_N6thrust23THRUST_200600_302600_NS6detail15normal_iteratorINSA_10device_ptrIKS5_EEEENSC_INSD_IS5_EEEES5_NSA_4plusIvEES5_EEDaPvRmT3_T4_T5_mT6_P12ihipStream_tbENKUlT_T0_E_clISt17integral_constantIbLb1EESX_IbLb0EEEEDaST_SU_EUlST_E_NS1_11comp_targetILNS1_3genE0ELNS1_11target_archE4294967295ELNS1_3gpuE0ELNS1_3repE0EEENS1_30default_config_static_selectorELNS0_4arch9wavefront6targetE1EEEvT1_
	.p2align	8
	.type	_ZN7rocprim17ROCPRIM_400000_NS6detail17trampoline_kernelINS0_14default_configENS1_20scan_config_selectorI3IntEEZZNS1_9scan_implILNS1_25lookback_scan_determinismE0ELb0ELb0ES3_N6thrust23THRUST_200600_302600_NS6detail15normal_iteratorINSA_10device_ptrIKS5_EEEENSC_INSD_IS5_EEEES5_NSA_4plusIvEES5_EEDaPvRmT3_T4_T5_mT6_P12ihipStream_tbENKUlT_T0_E_clISt17integral_constantIbLb1EESX_IbLb0EEEEDaST_SU_EUlST_E_NS1_11comp_targetILNS1_3genE0ELNS1_11target_archE4294967295ELNS1_3gpuE0ELNS1_3repE0EEENS1_30default_config_static_selectorELNS0_4arch9wavefront6targetE1EEEvT1_,@function
_ZN7rocprim17ROCPRIM_400000_NS6detail17trampoline_kernelINS0_14default_configENS1_20scan_config_selectorI3IntEEZZNS1_9scan_implILNS1_25lookback_scan_determinismE0ELb0ELb0ES3_N6thrust23THRUST_200600_302600_NS6detail15normal_iteratorINSA_10device_ptrIKS5_EEEENSC_INSD_IS5_EEEES5_NSA_4plusIvEES5_EEDaPvRmT3_T4_T5_mT6_P12ihipStream_tbENKUlT_T0_E_clISt17integral_constantIbLb1EESX_IbLb0EEEEDaST_SU_EUlST_E_NS1_11comp_targetILNS1_3genE0ELNS1_11target_archE4294967295ELNS1_3gpuE0ELNS1_3repE0EEENS1_30default_config_static_selectorELNS0_4arch9wavefront6targetE1EEEvT1_: ; @_ZN7rocprim17ROCPRIM_400000_NS6detail17trampoline_kernelINS0_14default_configENS1_20scan_config_selectorI3IntEEZZNS1_9scan_implILNS1_25lookback_scan_determinismE0ELb0ELb0ES3_N6thrust23THRUST_200600_302600_NS6detail15normal_iteratorINSA_10device_ptrIKS5_EEEENSC_INSD_IS5_EEEES5_NSA_4plusIvEES5_EEDaPvRmT3_T4_T5_mT6_P12ihipStream_tbENKUlT_T0_E_clISt17integral_constantIbLb1EESX_IbLb0EEEEDaST_SU_EUlST_E_NS1_11comp_targetILNS1_3genE0ELNS1_11target_archE4294967295ELNS1_3gpuE0ELNS1_3repE0EEENS1_30default_config_static_selectorELNS0_4arch9wavefront6targetE1EEEvT1_
; %bb.0:
	.section	.rodata,"a",@progbits
	.p2align	6, 0x0
	.amdhsa_kernel _ZN7rocprim17ROCPRIM_400000_NS6detail17trampoline_kernelINS0_14default_configENS1_20scan_config_selectorI3IntEEZZNS1_9scan_implILNS1_25lookback_scan_determinismE0ELb0ELb0ES3_N6thrust23THRUST_200600_302600_NS6detail15normal_iteratorINSA_10device_ptrIKS5_EEEENSC_INSD_IS5_EEEES5_NSA_4plusIvEES5_EEDaPvRmT3_T4_T5_mT6_P12ihipStream_tbENKUlT_T0_E_clISt17integral_constantIbLb1EESX_IbLb0EEEEDaST_SU_EUlST_E_NS1_11comp_targetILNS1_3genE0ELNS1_11target_archE4294967295ELNS1_3gpuE0ELNS1_3repE0EEENS1_30default_config_static_selectorELNS0_4arch9wavefront6targetE1EEEvT1_
		.amdhsa_group_segment_fixed_size 0
		.amdhsa_private_segment_fixed_size 0
		.amdhsa_kernarg_size 96
		.amdhsa_user_sgpr_count 6
		.amdhsa_user_sgpr_private_segment_buffer 1
		.amdhsa_user_sgpr_dispatch_ptr 0
		.amdhsa_user_sgpr_queue_ptr 0
		.amdhsa_user_sgpr_kernarg_segment_ptr 1
		.amdhsa_user_sgpr_dispatch_id 0
		.amdhsa_user_sgpr_flat_scratch_init 0
		.amdhsa_user_sgpr_kernarg_preload_length 0
		.amdhsa_user_sgpr_kernarg_preload_offset 0
		.amdhsa_user_sgpr_private_segment_size 0
		.amdhsa_uses_dynamic_stack 0
		.amdhsa_system_sgpr_private_segment_wavefront_offset 0
		.amdhsa_system_sgpr_workgroup_id_x 1
		.amdhsa_system_sgpr_workgroup_id_y 0
		.amdhsa_system_sgpr_workgroup_id_z 0
		.amdhsa_system_sgpr_workgroup_info 0
		.amdhsa_system_vgpr_workitem_id 0
		.amdhsa_next_free_vgpr 1
		.amdhsa_next_free_sgpr 0
		.amdhsa_accum_offset 4
		.amdhsa_reserve_vcc 0
		.amdhsa_reserve_flat_scratch 0
		.amdhsa_float_round_mode_32 0
		.amdhsa_float_round_mode_16_64 0
		.amdhsa_float_denorm_mode_32 3
		.amdhsa_float_denorm_mode_16_64 3
		.amdhsa_dx10_clamp 1
		.amdhsa_ieee_mode 1
		.amdhsa_fp16_overflow 0
		.amdhsa_tg_split 0
		.amdhsa_exception_fp_ieee_invalid_op 0
		.amdhsa_exception_fp_denorm_src 0
		.amdhsa_exception_fp_ieee_div_zero 0
		.amdhsa_exception_fp_ieee_overflow 0
		.amdhsa_exception_fp_ieee_underflow 0
		.amdhsa_exception_fp_ieee_inexact 0
		.amdhsa_exception_int_div_zero 0
	.end_amdhsa_kernel
	.section	.text._ZN7rocprim17ROCPRIM_400000_NS6detail17trampoline_kernelINS0_14default_configENS1_20scan_config_selectorI3IntEEZZNS1_9scan_implILNS1_25lookback_scan_determinismE0ELb0ELb0ES3_N6thrust23THRUST_200600_302600_NS6detail15normal_iteratorINSA_10device_ptrIKS5_EEEENSC_INSD_IS5_EEEES5_NSA_4plusIvEES5_EEDaPvRmT3_T4_T5_mT6_P12ihipStream_tbENKUlT_T0_E_clISt17integral_constantIbLb1EESX_IbLb0EEEEDaST_SU_EUlST_E_NS1_11comp_targetILNS1_3genE0ELNS1_11target_archE4294967295ELNS1_3gpuE0ELNS1_3repE0EEENS1_30default_config_static_selectorELNS0_4arch9wavefront6targetE1EEEvT1_,"axG",@progbits,_ZN7rocprim17ROCPRIM_400000_NS6detail17trampoline_kernelINS0_14default_configENS1_20scan_config_selectorI3IntEEZZNS1_9scan_implILNS1_25lookback_scan_determinismE0ELb0ELb0ES3_N6thrust23THRUST_200600_302600_NS6detail15normal_iteratorINSA_10device_ptrIKS5_EEEENSC_INSD_IS5_EEEES5_NSA_4plusIvEES5_EEDaPvRmT3_T4_T5_mT6_P12ihipStream_tbENKUlT_T0_E_clISt17integral_constantIbLb1EESX_IbLb0EEEEDaST_SU_EUlST_E_NS1_11comp_targetILNS1_3genE0ELNS1_11target_archE4294967295ELNS1_3gpuE0ELNS1_3repE0EEENS1_30default_config_static_selectorELNS0_4arch9wavefront6targetE1EEEvT1_,comdat
.Lfunc_end6943:
	.size	_ZN7rocprim17ROCPRIM_400000_NS6detail17trampoline_kernelINS0_14default_configENS1_20scan_config_selectorI3IntEEZZNS1_9scan_implILNS1_25lookback_scan_determinismE0ELb0ELb0ES3_N6thrust23THRUST_200600_302600_NS6detail15normal_iteratorINSA_10device_ptrIKS5_EEEENSC_INSD_IS5_EEEES5_NSA_4plusIvEES5_EEDaPvRmT3_T4_T5_mT6_P12ihipStream_tbENKUlT_T0_E_clISt17integral_constantIbLb1EESX_IbLb0EEEEDaST_SU_EUlST_E_NS1_11comp_targetILNS1_3genE0ELNS1_11target_archE4294967295ELNS1_3gpuE0ELNS1_3repE0EEENS1_30default_config_static_selectorELNS0_4arch9wavefront6targetE1EEEvT1_, .Lfunc_end6943-_ZN7rocprim17ROCPRIM_400000_NS6detail17trampoline_kernelINS0_14default_configENS1_20scan_config_selectorI3IntEEZZNS1_9scan_implILNS1_25lookback_scan_determinismE0ELb0ELb0ES3_N6thrust23THRUST_200600_302600_NS6detail15normal_iteratorINSA_10device_ptrIKS5_EEEENSC_INSD_IS5_EEEES5_NSA_4plusIvEES5_EEDaPvRmT3_T4_T5_mT6_P12ihipStream_tbENKUlT_T0_E_clISt17integral_constantIbLb1EESX_IbLb0EEEEDaST_SU_EUlST_E_NS1_11comp_targetILNS1_3genE0ELNS1_11target_archE4294967295ELNS1_3gpuE0ELNS1_3repE0EEENS1_30default_config_static_selectorELNS0_4arch9wavefront6targetE1EEEvT1_
                                        ; -- End function
	.section	.AMDGPU.csdata,"",@progbits
; Kernel info:
; codeLenInByte = 0
; NumSgprs: 4
; NumVgprs: 0
; NumAgprs: 0
; TotalNumVgprs: 0
; ScratchSize: 0
; MemoryBound: 0
; FloatMode: 240
; IeeeMode: 1
; LDSByteSize: 0 bytes/workgroup (compile time only)
; SGPRBlocks: 0
; VGPRBlocks: 0
; NumSGPRsForWavesPerEU: 4
; NumVGPRsForWavesPerEU: 1
; AccumOffset: 4
; Occupancy: 8
; WaveLimiterHint : 0
; COMPUTE_PGM_RSRC2:SCRATCH_EN: 0
; COMPUTE_PGM_RSRC2:USER_SGPR: 6
; COMPUTE_PGM_RSRC2:TRAP_HANDLER: 0
; COMPUTE_PGM_RSRC2:TGID_X_EN: 1
; COMPUTE_PGM_RSRC2:TGID_Y_EN: 0
; COMPUTE_PGM_RSRC2:TGID_Z_EN: 0
; COMPUTE_PGM_RSRC2:TIDIG_COMP_CNT: 0
; COMPUTE_PGM_RSRC3_GFX90A:ACCUM_OFFSET: 0
; COMPUTE_PGM_RSRC3_GFX90A:TG_SPLIT: 0
	.section	.text._ZN7rocprim17ROCPRIM_400000_NS6detail17trampoline_kernelINS0_14default_configENS1_20scan_config_selectorI3IntEEZZNS1_9scan_implILNS1_25lookback_scan_determinismE0ELb0ELb0ES3_N6thrust23THRUST_200600_302600_NS6detail15normal_iteratorINSA_10device_ptrIKS5_EEEENSC_INSD_IS5_EEEES5_NSA_4plusIvEES5_EEDaPvRmT3_T4_T5_mT6_P12ihipStream_tbENKUlT_T0_E_clISt17integral_constantIbLb1EESX_IbLb0EEEEDaST_SU_EUlST_E_NS1_11comp_targetILNS1_3genE5ELNS1_11target_archE942ELNS1_3gpuE9ELNS1_3repE0EEENS1_30default_config_static_selectorELNS0_4arch9wavefront6targetE1EEEvT1_,"axG",@progbits,_ZN7rocprim17ROCPRIM_400000_NS6detail17trampoline_kernelINS0_14default_configENS1_20scan_config_selectorI3IntEEZZNS1_9scan_implILNS1_25lookback_scan_determinismE0ELb0ELb0ES3_N6thrust23THRUST_200600_302600_NS6detail15normal_iteratorINSA_10device_ptrIKS5_EEEENSC_INSD_IS5_EEEES5_NSA_4plusIvEES5_EEDaPvRmT3_T4_T5_mT6_P12ihipStream_tbENKUlT_T0_E_clISt17integral_constantIbLb1EESX_IbLb0EEEEDaST_SU_EUlST_E_NS1_11comp_targetILNS1_3genE5ELNS1_11target_archE942ELNS1_3gpuE9ELNS1_3repE0EEENS1_30default_config_static_selectorELNS0_4arch9wavefront6targetE1EEEvT1_,comdat
	.protected	_ZN7rocprim17ROCPRIM_400000_NS6detail17trampoline_kernelINS0_14default_configENS1_20scan_config_selectorI3IntEEZZNS1_9scan_implILNS1_25lookback_scan_determinismE0ELb0ELb0ES3_N6thrust23THRUST_200600_302600_NS6detail15normal_iteratorINSA_10device_ptrIKS5_EEEENSC_INSD_IS5_EEEES5_NSA_4plusIvEES5_EEDaPvRmT3_T4_T5_mT6_P12ihipStream_tbENKUlT_T0_E_clISt17integral_constantIbLb1EESX_IbLb0EEEEDaST_SU_EUlST_E_NS1_11comp_targetILNS1_3genE5ELNS1_11target_archE942ELNS1_3gpuE9ELNS1_3repE0EEENS1_30default_config_static_selectorELNS0_4arch9wavefront6targetE1EEEvT1_ ; -- Begin function _ZN7rocprim17ROCPRIM_400000_NS6detail17trampoline_kernelINS0_14default_configENS1_20scan_config_selectorI3IntEEZZNS1_9scan_implILNS1_25lookback_scan_determinismE0ELb0ELb0ES3_N6thrust23THRUST_200600_302600_NS6detail15normal_iteratorINSA_10device_ptrIKS5_EEEENSC_INSD_IS5_EEEES5_NSA_4plusIvEES5_EEDaPvRmT3_T4_T5_mT6_P12ihipStream_tbENKUlT_T0_E_clISt17integral_constantIbLb1EESX_IbLb0EEEEDaST_SU_EUlST_E_NS1_11comp_targetILNS1_3genE5ELNS1_11target_archE942ELNS1_3gpuE9ELNS1_3repE0EEENS1_30default_config_static_selectorELNS0_4arch9wavefront6targetE1EEEvT1_
	.globl	_ZN7rocprim17ROCPRIM_400000_NS6detail17trampoline_kernelINS0_14default_configENS1_20scan_config_selectorI3IntEEZZNS1_9scan_implILNS1_25lookback_scan_determinismE0ELb0ELb0ES3_N6thrust23THRUST_200600_302600_NS6detail15normal_iteratorINSA_10device_ptrIKS5_EEEENSC_INSD_IS5_EEEES5_NSA_4plusIvEES5_EEDaPvRmT3_T4_T5_mT6_P12ihipStream_tbENKUlT_T0_E_clISt17integral_constantIbLb1EESX_IbLb0EEEEDaST_SU_EUlST_E_NS1_11comp_targetILNS1_3genE5ELNS1_11target_archE942ELNS1_3gpuE9ELNS1_3repE0EEENS1_30default_config_static_selectorELNS0_4arch9wavefront6targetE1EEEvT1_
	.p2align	8
	.type	_ZN7rocprim17ROCPRIM_400000_NS6detail17trampoline_kernelINS0_14default_configENS1_20scan_config_selectorI3IntEEZZNS1_9scan_implILNS1_25lookback_scan_determinismE0ELb0ELb0ES3_N6thrust23THRUST_200600_302600_NS6detail15normal_iteratorINSA_10device_ptrIKS5_EEEENSC_INSD_IS5_EEEES5_NSA_4plusIvEES5_EEDaPvRmT3_T4_T5_mT6_P12ihipStream_tbENKUlT_T0_E_clISt17integral_constantIbLb1EESX_IbLb0EEEEDaST_SU_EUlST_E_NS1_11comp_targetILNS1_3genE5ELNS1_11target_archE942ELNS1_3gpuE9ELNS1_3repE0EEENS1_30default_config_static_selectorELNS0_4arch9wavefront6targetE1EEEvT1_,@function
_ZN7rocprim17ROCPRIM_400000_NS6detail17trampoline_kernelINS0_14default_configENS1_20scan_config_selectorI3IntEEZZNS1_9scan_implILNS1_25lookback_scan_determinismE0ELb0ELb0ES3_N6thrust23THRUST_200600_302600_NS6detail15normal_iteratorINSA_10device_ptrIKS5_EEEENSC_INSD_IS5_EEEES5_NSA_4plusIvEES5_EEDaPvRmT3_T4_T5_mT6_P12ihipStream_tbENKUlT_T0_E_clISt17integral_constantIbLb1EESX_IbLb0EEEEDaST_SU_EUlST_E_NS1_11comp_targetILNS1_3genE5ELNS1_11target_archE942ELNS1_3gpuE9ELNS1_3repE0EEENS1_30default_config_static_selectorELNS0_4arch9wavefront6targetE1EEEvT1_: ; @_ZN7rocprim17ROCPRIM_400000_NS6detail17trampoline_kernelINS0_14default_configENS1_20scan_config_selectorI3IntEEZZNS1_9scan_implILNS1_25lookback_scan_determinismE0ELb0ELb0ES3_N6thrust23THRUST_200600_302600_NS6detail15normal_iteratorINSA_10device_ptrIKS5_EEEENSC_INSD_IS5_EEEES5_NSA_4plusIvEES5_EEDaPvRmT3_T4_T5_mT6_P12ihipStream_tbENKUlT_T0_E_clISt17integral_constantIbLb1EESX_IbLb0EEEEDaST_SU_EUlST_E_NS1_11comp_targetILNS1_3genE5ELNS1_11target_archE942ELNS1_3gpuE9ELNS1_3repE0EEENS1_30default_config_static_selectorELNS0_4arch9wavefront6targetE1EEEvT1_
; %bb.0:
	.section	.rodata,"a",@progbits
	.p2align	6, 0x0
	.amdhsa_kernel _ZN7rocprim17ROCPRIM_400000_NS6detail17trampoline_kernelINS0_14default_configENS1_20scan_config_selectorI3IntEEZZNS1_9scan_implILNS1_25lookback_scan_determinismE0ELb0ELb0ES3_N6thrust23THRUST_200600_302600_NS6detail15normal_iteratorINSA_10device_ptrIKS5_EEEENSC_INSD_IS5_EEEES5_NSA_4plusIvEES5_EEDaPvRmT3_T4_T5_mT6_P12ihipStream_tbENKUlT_T0_E_clISt17integral_constantIbLb1EESX_IbLb0EEEEDaST_SU_EUlST_E_NS1_11comp_targetILNS1_3genE5ELNS1_11target_archE942ELNS1_3gpuE9ELNS1_3repE0EEENS1_30default_config_static_selectorELNS0_4arch9wavefront6targetE1EEEvT1_
		.amdhsa_group_segment_fixed_size 0
		.amdhsa_private_segment_fixed_size 0
		.amdhsa_kernarg_size 96
		.amdhsa_user_sgpr_count 6
		.amdhsa_user_sgpr_private_segment_buffer 1
		.amdhsa_user_sgpr_dispatch_ptr 0
		.amdhsa_user_sgpr_queue_ptr 0
		.amdhsa_user_sgpr_kernarg_segment_ptr 1
		.amdhsa_user_sgpr_dispatch_id 0
		.amdhsa_user_sgpr_flat_scratch_init 0
		.amdhsa_user_sgpr_kernarg_preload_length 0
		.amdhsa_user_sgpr_kernarg_preload_offset 0
		.amdhsa_user_sgpr_private_segment_size 0
		.amdhsa_uses_dynamic_stack 0
		.amdhsa_system_sgpr_private_segment_wavefront_offset 0
		.amdhsa_system_sgpr_workgroup_id_x 1
		.amdhsa_system_sgpr_workgroup_id_y 0
		.amdhsa_system_sgpr_workgroup_id_z 0
		.amdhsa_system_sgpr_workgroup_info 0
		.amdhsa_system_vgpr_workitem_id 0
		.amdhsa_next_free_vgpr 1
		.amdhsa_next_free_sgpr 0
		.amdhsa_accum_offset 4
		.amdhsa_reserve_vcc 0
		.amdhsa_reserve_flat_scratch 0
		.amdhsa_float_round_mode_32 0
		.amdhsa_float_round_mode_16_64 0
		.amdhsa_float_denorm_mode_32 3
		.amdhsa_float_denorm_mode_16_64 3
		.amdhsa_dx10_clamp 1
		.amdhsa_ieee_mode 1
		.amdhsa_fp16_overflow 0
		.amdhsa_tg_split 0
		.amdhsa_exception_fp_ieee_invalid_op 0
		.amdhsa_exception_fp_denorm_src 0
		.amdhsa_exception_fp_ieee_div_zero 0
		.amdhsa_exception_fp_ieee_overflow 0
		.amdhsa_exception_fp_ieee_underflow 0
		.amdhsa_exception_fp_ieee_inexact 0
		.amdhsa_exception_int_div_zero 0
	.end_amdhsa_kernel
	.section	.text._ZN7rocprim17ROCPRIM_400000_NS6detail17trampoline_kernelINS0_14default_configENS1_20scan_config_selectorI3IntEEZZNS1_9scan_implILNS1_25lookback_scan_determinismE0ELb0ELb0ES3_N6thrust23THRUST_200600_302600_NS6detail15normal_iteratorINSA_10device_ptrIKS5_EEEENSC_INSD_IS5_EEEES5_NSA_4plusIvEES5_EEDaPvRmT3_T4_T5_mT6_P12ihipStream_tbENKUlT_T0_E_clISt17integral_constantIbLb1EESX_IbLb0EEEEDaST_SU_EUlST_E_NS1_11comp_targetILNS1_3genE5ELNS1_11target_archE942ELNS1_3gpuE9ELNS1_3repE0EEENS1_30default_config_static_selectorELNS0_4arch9wavefront6targetE1EEEvT1_,"axG",@progbits,_ZN7rocprim17ROCPRIM_400000_NS6detail17trampoline_kernelINS0_14default_configENS1_20scan_config_selectorI3IntEEZZNS1_9scan_implILNS1_25lookback_scan_determinismE0ELb0ELb0ES3_N6thrust23THRUST_200600_302600_NS6detail15normal_iteratorINSA_10device_ptrIKS5_EEEENSC_INSD_IS5_EEEES5_NSA_4plusIvEES5_EEDaPvRmT3_T4_T5_mT6_P12ihipStream_tbENKUlT_T0_E_clISt17integral_constantIbLb1EESX_IbLb0EEEEDaST_SU_EUlST_E_NS1_11comp_targetILNS1_3genE5ELNS1_11target_archE942ELNS1_3gpuE9ELNS1_3repE0EEENS1_30default_config_static_selectorELNS0_4arch9wavefront6targetE1EEEvT1_,comdat
.Lfunc_end6944:
	.size	_ZN7rocprim17ROCPRIM_400000_NS6detail17trampoline_kernelINS0_14default_configENS1_20scan_config_selectorI3IntEEZZNS1_9scan_implILNS1_25lookback_scan_determinismE0ELb0ELb0ES3_N6thrust23THRUST_200600_302600_NS6detail15normal_iteratorINSA_10device_ptrIKS5_EEEENSC_INSD_IS5_EEEES5_NSA_4plusIvEES5_EEDaPvRmT3_T4_T5_mT6_P12ihipStream_tbENKUlT_T0_E_clISt17integral_constantIbLb1EESX_IbLb0EEEEDaST_SU_EUlST_E_NS1_11comp_targetILNS1_3genE5ELNS1_11target_archE942ELNS1_3gpuE9ELNS1_3repE0EEENS1_30default_config_static_selectorELNS0_4arch9wavefront6targetE1EEEvT1_, .Lfunc_end6944-_ZN7rocprim17ROCPRIM_400000_NS6detail17trampoline_kernelINS0_14default_configENS1_20scan_config_selectorI3IntEEZZNS1_9scan_implILNS1_25lookback_scan_determinismE0ELb0ELb0ES3_N6thrust23THRUST_200600_302600_NS6detail15normal_iteratorINSA_10device_ptrIKS5_EEEENSC_INSD_IS5_EEEES5_NSA_4plusIvEES5_EEDaPvRmT3_T4_T5_mT6_P12ihipStream_tbENKUlT_T0_E_clISt17integral_constantIbLb1EESX_IbLb0EEEEDaST_SU_EUlST_E_NS1_11comp_targetILNS1_3genE5ELNS1_11target_archE942ELNS1_3gpuE9ELNS1_3repE0EEENS1_30default_config_static_selectorELNS0_4arch9wavefront6targetE1EEEvT1_
                                        ; -- End function
	.section	.AMDGPU.csdata,"",@progbits
; Kernel info:
; codeLenInByte = 0
; NumSgprs: 4
; NumVgprs: 0
; NumAgprs: 0
; TotalNumVgprs: 0
; ScratchSize: 0
; MemoryBound: 0
; FloatMode: 240
; IeeeMode: 1
; LDSByteSize: 0 bytes/workgroup (compile time only)
; SGPRBlocks: 0
; VGPRBlocks: 0
; NumSGPRsForWavesPerEU: 4
; NumVGPRsForWavesPerEU: 1
; AccumOffset: 4
; Occupancy: 8
; WaveLimiterHint : 0
; COMPUTE_PGM_RSRC2:SCRATCH_EN: 0
; COMPUTE_PGM_RSRC2:USER_SGPR: 6
; COMPUTE_PGM_RSRC2:TRAP_HANDLER: 0
; COMPUTE_PGM_RSRC2:TGID_X_EN: 1
; COMPUTE_PGM_RSRC2:TGID_Y_EN: 0
; COMPUTE_PGM_RSRC2:TGID_Z_EN: 0
; COMPUTE_PGM_RSRC2:TIDIG_COMP_CNT: 0
; COMPUTE_PGM_RSRC3_GFX90A:ACCUM_OFFSET: 0
; COMPUTE_PGM_RSRC3_GFX90A:TG_SPLIT: 0
	.section	.text._ZN7rocprim17ROCPRIM_400000_NS6detail17trampoline_kernelINS0_14default_configENS1_20scan_config_selectorI3IntEEZZNS1_9scan_implILNS1_25lookback_scan_determinismE0ELb0ELb0ES3_N6thrust23THRUST_200600_302600_NS6detail15normal_iteratorINSA_10device_ptrIKS5_EEEENSC_INSD_IS5_EEEES5_NSA_4plusIvEES5_EEDaPvRmT3_T4_T5_mT6_P12ihipStream_tbENKUlT_T0_E_clISt17integral_constantIbLb1EESX_IbLb0EEEEDaST_SU_EUlST_E_NS1_11comp_targetILNS1_3genE4ELNS1_11target_archE910ELNS1_3gpuE8ELNS1_3repE0EEENS1_30default_config_static_selectorELNS0_4arch9wavefront6targetE1EEEvT1_,"axG",@progbits,_ZN7rocprim17ROCPRIM_400000_NS6detail17trampoline_kernelINS0_14default_configENS1_20scan_config_selectorI3IntEEZZNS1_9scan_implILNS1_25lookback_scan_determinismE0ELb0ELb0ES3_N6thrust23THRUST_200600_302600_NS6detail15normal_iteratorINSA_10device_ptrIKS5_EEEENSC_INSD_IS5_EEEES5_NSA_4plusIvEES5_EEDaPvRmT3_T4_T5_mT6_P12ihipStream_tbENKUlT_T0_E_clISt17integral_constantIbLb1EESX_IbLb0EEEEDaST_SU_EUlST_E_NS1_11comp_targetILNS1_3genE4ELNS1_11target_archE910ELNS1_3gpuE8ELNS1_3repE0EEENS1_30default_config_static_selectorELNS0_4arch9wavefront6targetE1EEEvT1_,comdat
	.protected	_ZN7rocprim17ROCPRIM_400000_NS6detail17trampoline_kernelINS0_14default_configENS1_20scan_config_selectorI3IntEEZZNS1_9scan_implILNS1_25lookback_scan_determinismE0ELb0ELb0ES3_N6thrust23THRUST_200600_302600_NS6detail15normal_iteratorINSA_10device_ptrIKS5_EEEENSC_INSD_IS5_EEEES5_NSA_4plusIvEES5_EEDaPvRmT3_T4_T5_mT6_P12ihipStream_tbENKUlT_T0_E_clISt17integral_constantIbLb1EESX_IbLb0EEEEDaST_SU_EUlST_E_NS1_11comp_targetILNS1_3genE4ELNS1_11target_archE910ELNS1_3gpuE8ELNS1_3repE0EEENS1_30default_config_static_selectorELNS0_4arch9wavefront6targetE1EEEvT1_ ; -- Begin function _ZN7rocprim17ROCPRIM_400000_NS6detail17trampoline_kernelINS0_14default_configENS1_20scan_config_selectorI3IntEEZZNS1_9scan_implILNS1_25lookback_scan_determinismE0ELb0ELb0ES3_N6thrust23THRUST_200600_302600_NS6detail15normal_iteratorINSA_10device_ptrIKS5_EEEENSC_INSD_IS5_EEEES5_NSA_4plusIvEES5_EEDaPvRmT3_T4_T5_mT6_P12ihipStream_tbENKUlT_T0_E_clISt17integral_constantIbLb1EESX_IbLb0EEEEDaST_SU_EUlST_E_NS1_11comp_targetILNS1_3genE4ELNS1_11target_archE910ELNS1_3gpuE8ELNS1_3repE0EEENS1_30default_config_static_selectorELNS0_4arch9wavefront6targetE1EEEvT1_
	.globl	_ZN7rocprim17ROCPRIM_400000_NS6detail17trampoline_kernelINS0_14default_configENS1_20scan_config_selectorI3IntEEZZNS1_9scan_implILNS1_25lookback_scan_determinismE0ELb0ELb0ES3_N6thrust23THRUST_200600_302600_NS6detail15normal_iteratorINSA_10device_ptrIKS5_EEEENSC_INSD_IS5_EEEES5_NSA_4plusIvEES5_EEDaPvRmT3_T4_T5_mT6_P12ihipStream_tbENKUlT_T0_E_clISt17integral_constantIbLb1EESX_IbLb0EEEEDaST_SU_EUlST_E_NS1_11comp_targetILNS1_3genE4ELNS1_11target_archE910ELNS1_3gpuE8ELNS1_3repE0EEENS1_30default_config_static_selectorELNS0_4arch9wavefront6targetE1EEEvT1_
	.p2align	8
	.type	_ZN7rocprim17ROCPRIM_400000_NS6detail17trampoline_kernelINS0_14default_configENS1_20scan_config_selectorI3IntEEZZNS1_9scan_implILNS1_25lookback_scan_determinismE0ELb0ELb0ES3_N6thrust23THRUST_200600_302600_NS6detail15normal_iteratorINSA_10device_ptrIKS5_EEEENSC_INSD_IS5_EEEES5_NSA_4plusIvEES5_EEDaPvRmT3_T4_T5_mT6_P12ihipStream_tbENKUlT_T0_E_clISt17integral_constantIbLb1EESX_IbLb0EEEEDaST_SU_EUlST_E_NS1_11comp_targetILNS1_3genE4ELNS1_11target_archE910ELNS1_3gpuE8ELNS1_3repE0EEENS1_30default_config_static_selectorELNS0_4arch9wavefront6targetE1EEEvT1_,@function
_ZN7rocprim17ROCPRIM_400000_NS6detail17trampoline_kernelINS0_14default_configENS1_20scan_config_selectorI3IntEEZZNS1_9scan_implILNS1_25lookback_scan_determinismE0ELb0ELb0ES3_N6thrust23THRUST_200600_302600_NS6detail15normal_iteratorINSA_10device_ptrIKS5_EEEENSC_INSD_IS5_EEEES5_NSA_4plusIvEES5_EEDaPvRmT3_T4_T5_mT6_P12ihipStream_tbENKUlT_T0_E_clISt17integral_constantIbLb1EESX_IbLb0EEEEDaST_SU_EUlST_E_NS1_11comp_targetILNS1_3genE4ELNS1_11target_archE910ELNS1_3gpuE8ELNS1_3repE0EEENS1_30default_config_static_selectorELNS0_4arch9wavefront6targetE1EEEvT1_: ; @_ZN7rocprim17ROCPRIM_400000_NS6detail17trampoline_kernelINS0_14default_configENS1_20scan_config_selectorI3IntEEZZNS1_9scan_implILNS1_25lookback_scan_determinismE0ELb0ELb0ES3_N6thrust23THRUST_200600_302600_NS6detail15normal_iteratorINSA_10device_ptrIKS5_EEEENSC_INSD_IS5_EEEES5_NSA_4plusIvEES5_EEDaPvRmT3_T4_T5_mT6_P12ihipStream_tbENKUlT_T0_E_clISt17integral_constantIbLb1EESX_IbLb0EEEEDaST_SU_EUlST_E_NS1_11comp_targetILNS1_3genE4ELNS1_11target_archE910ELNS1_3gpuE8ELNS1_3repE0EEENS1_30default_config_static_selectorELNS0_4arch9wavefront6targetE1EEEvT1_
; %bb.0:
	s_load_dwordx8 s[8:15], s[4:5], 0x0
	s_load_dword s0, s[4:5], 0x30
	s_mov_b32 s1, 0
	v_lshlrev_b32_e32 v26, 2, v0
	s_waitcnt lgkmcnt(0)
	s_lshl_b64 s[16:17], s[10:11], 2
	s_add_u32 s2, s8, s16
	s_addc_u32 s3, s9, s17
	s_add_i32 s7, s0, -1
	s_mul_i32 s8, s7, 0x500
	s_sub_u32 s24, s14, s8
	s_subb_u32 s25, s15, 0
	s_mul_i32 s0, s6, 0x500
	s_cmp_lg_u32 s6, s7
	s_cselect_b64 s[14:15], -1, 0
	s_lshl_b64 s[18:19], s[0:1], 2
	s_add_u32 s2, s2, s18
	s_addc_u32 s3, s3, s19
	s_mov_b64 s[0:1], -1
	s_and_b64 vcc, exec, s[14:15]
	s_cbranch_vccz .LBB6945_2
; %bb.1:
	v_mov_b32_e32 v1, s3
	v_add_co_u32_e32 v2, vcc, s2, v26
	v_addc_co_u32_e32 v3, vcc, 0, v1, vcc
	flat_load_dword v1, v[2:3]
	flat_load_dword v4, v[2:3] offset:512
	flat_load_dword v5, v[2:3] offset:1024
	;; [unrolled: 1-line block ×7, first 2 shown]
	v_add_co_u32_e32 v2, vcc, 0x1000, v2
	v_addc_co_u32_e32 v3, vcc, 0, v3, vcc
	flat_load_dword v11, v[2:3]
	flat_load_dword v12, v[2:3] offset:512
	s_mov_b64 s[0:1], 0
	s_waitcnt vmcnt(0) lgkmcnt(0)
	ds_write2st64_b32 v26, v1, v4 offset1:2
	ds_write2st64_b32 v26, v5, v6 offset0:4 offset1:6
	ds_write2st64_b32 v26, v7, v8 offset0:8 offset1:10
	;; [unrolled: 1-line block ×4, first 2 shown]
	s_waitcnt lgkmcnt(0)
	s_barrier
.LBB6945_2:
	s_load_dwordx2 s[20:21], s[4:5], 0x28
	s_andn2_b64 vcc, exec, s[0:1]
	v_cmp_gt_u32_e64 s[0:1], s24, v0
	s_cbranch_vccnz .LBB6945_24
; %bb.3:
	v_pk_mov_b32 v[2:3], s[2:3], s[2:3] op_sel:[0,1]
	flat_load_dword v1, v[2:3]
	s_waitcnt vmcnt(0) lgkmcnt(0)
	v_mov_b32_e32 v2, v1
	s_and_saveexec_b64 s[8:9], s[0:1]
	s_cbranch_execz .LBB6945_5
; %bb.4:
	v_mov_b32_e32 v3, s3
	v_add_co_u32_e32 v2, vcc, s2, v26
	v_addc_co_u32_e32 v3, vcc, 0, v3, vcc
	flat_load_dword v2, v[2:3]
.LBB6945_5:
	s_or_b64 exec, exec, s[8:9]
	v_or_b32_e32 v3, 0x80, v0
	v_cmp_gt_u32_e32 vcc, s24, v3
	v_mov_b32_e32 v3, v1
	s_and_saveexec_b64 s[0:1], vcc
	s_cbranch_execz .LBB6945_7
; %bb.6:
	v_mov_b32_e32 v3, s3
	v_add_co_u32_e32 v4, vcc, s2, v26
	v_addc_co_u32_e32 v5, vcc, 0, v3, vcc
	flat_load_dword v3, v[4:5] offset:512
.LBB6945_7:
	s_or_b64 exec, exec, s[0:1]
	v_or_b32_e32 v4, 0x100, v0
	v_cmp_gt_u32_e32 vcc, s24, v4
	v_mov_b32_e32 v4, v1
	s_and_saveexec_b64 s[0:1], vcc
	s_cbranch_execz .LBB6945_9
; %bb.8:
	v_mov_b32_e32 v5, s3
	v_add_co_u32_e32 v4, vcc, s2, v26
	v_addc_co_u32_e32 v5, vcc, 0, v5, vcc
	flat_load_dword v4, v[4:5] offset:1024
.LBB6945_9:
	;; [unrolled: 12-line block ×7, first 2 shown]
	s_or_b64 exec, exec, s[0:1]
	v_or_b32_e32 v11, 0x400, v0
	v_cmp_gt_u32_e32 vcc, s24, v11
	v_mov_b32_e32 v10, v1
	s_and_saveexec_b64 s[0:1], vcc
	s_cbranch_execz .LBB6945_21
; %bb.20:
	v_lshlrev_b32_e32 v10, 2, v11
	v_mov_b32_e32 v11, s3
	v_add_co_u32_e32 v10, vcc, s2, v10
	v_addc_co_u32_e32 v11, vcc, 0, v11, vcc
	flat_load_dword v10, v[10:11]
.LBB6945_21:
	s_or_b64 exec, exec, s[0:1]
	v_or_b32_e32 v11, 0x480, v0
	v_cmp_gt_u32_e32 vcc, s24, v11
	s_and_saveexec_b64 s[0:1], vcc
	s_cbranch_execz .LBB6945_23
; %bb.22:
	v_lshlrev_b32_e32 v1, 2, v11
	v_mov_b32_e32 v11, s3
	v_add_co_u32_e32 v12, vcc, s2, v1
	v_addc_co_u32_e32 v13, vcc, 0, v11, vcc
	flat_load_dword v1, v[12:13]
.LBB6945_23:
	s_or_b64 exec, exec, s[0:1]
	s_waitcnt vmcnt(0) lgkmcnt(0)
	ds_write2st64_b32 v26, v2, v3 offset1:2
	ds_write2st64_b32 v26, v4, v5 offset0:4 offset1:6
	ds_write2st64_b32 v26, v6, v7 offset0:8 offset1:10
	;; [unrolled: 1-line block ×4, first 2 shown]
	s_waitcnt lgkmcnt(0)
	s_barrier
.LBB6945_24:
	v_mul_u32_u24_e32 v27, 10, v0
	v_lshlrev_b32_e32 v1, 2, v27
	s_waitcnt lgkmcnt(0)
	ds_read2_b64 v[6:9], v1 offset1:1
	ds_read2_b64 v[2:5], v1 offset0:2 offset1:3
	ds_read_b64 v[18:19], v1 offset:32
	s_cmp_lg_u32 s6, 0
	v_lshrrev_b32_e32 v28, 5, v0
	v_cmp_gt_u32_e32 vcc, 64, v0
	s_waitcnt lgkmcnt(0)
	s_barrier
	s_cbranch_scc0 .LBB6945_53
; %bb.25:
	v_add_u32_e32 v10, v7, v6
	v_add3_u32 v10, v10, v8, v9
	v_add3_u32 v10, v10, v2, v3
	;; [unrolled: 1-line block ×4, first 2 shown]
	v_add_lshl_u32 v11, v28, v0, 2
	ds_write_b32 v11, v10
	s_waitcnt lgkmcnt(0)
	s_barrier
	s_and_saveexec_b64 s[2:3], vcc
	s_cbranch_execz .LBB6945_27
; %bb.26:
	v_lshlrev_b32_e32 v11, 1, v0
	v_lshrrev_b32_e32 v12, 4, v0
	v_add_lshl_u32 v11, v12, v11, 2
	ds_read2_b32 v[12:13], v11 offset1:1
	v_mbcnt_lo_u32_b32 v14, -1, 0
	v_mbcnt_hi_u32_b32 v14, -1, v14
	v_and_b32_e32 v15, 15, v14
	v_cmp_ne_u32_e64 s[0:1], 0, v15
	s_waitcnt lgkmcnt(0)
	v_add_u32_e32 v13, v13, v12
	; wave barrier
	s_nop 1
	v_mov_b32_dpp v16, v13 row_shr:1 row_mask:0xf bank_mask:0xf
	v_cndmask_b32_e64 v16, 0, v16, s[0:1]
	v_add_u32_e32 v13, v16, v13
	v_cmp_lt_u32_e64 s[0:1], 1, v15
	s_nop 0
	v_mov_b32_dpp v16, v13 row_shr:2 row_mask:0xf bank_mask:0xf
	v_cndmask_b32_e64 v16, 0, v16, s[0:1]
	v_add_u32_e32 v13, v13, v16
	v_cmp_lt_u32_e64 s[0:1], 3, v15
	;; [unrolled: 5-line block ×3, first 2 shown]
	s_nop 0
	v_mov_b32_dpp v16, v13 row_shr:8 row_mask:0xf bank_mask:0xf
	v_cndmask_b32_e64 v15, 0, v16, s[0:1]
	v_add_u32_e32 v13, v13, v15
	v_bfe_i32 v16, v14, 4, 1
	v_cmp_lt_u32_e64 s[0:1], 31, v14
	v_mov_b32_dpp v15, v13 row_bcast:15 row_mask:0xf bank_mask:0xf
	v_and_b32_e32 v15, v16, v15
	v_add_u32_e32 v13, v13, v15
	v_and_b32_e32 v16, 64, v14
	s_nop 0
	v_mov_b32_dpp v15, v13 row_bcast:31 row_mask:0xf bank_mask:0xf
	v_cndmask_b32_e64 v15, 0, v15, s[0:1]
	v_add_u32_e32 v13, v13, v15
	v_add_u32_e32 v15, -1, v14
	v_cmp_lt_i32_e64 s[0:1], v15, v16
	v_cndmask_b32_e64 v14, v15, v14, s[0:1]
	v_lshlrev_b32_e32 v14, 2, v14
	ds_bpermute_b32 v13, v14, v13
	v_cmp_eq_u32_e64 s[0:1], 0, v0
	s_waitcnt lgkmcnt(0)
	v_add_u32_e32 v12, v13, v12
	v_cndmask_b32_e64 v10, v12, v10, s[0:1]
	ds_write_b32 v11, v10
	; wave barrier
	ds_read_b32 v12, v11 offset:4
	s_waitcnt lgkmcnt(0)
	v_add_u32_e32 v10, v12, v10
	ds_write_b32 v11, v10 offset:4
.LBB6945_27:
	s_or_b64 exec, exec, s[2:3]
	v_cmp_eq_u32_e64 s[0:1], 0, v0
	v_cmp_ne_u32_e64 s[2:3], 0, v0
	v_mov_b32_e32 v22, 0
	s_waitcnt lgkmcnt(0)
	s_barrier
	s_and_saveexec_b64 s[8:9], s[2:3]
	s_cbranch_execz .LBB6945_29
; %bb.28:
	v_add_u32_e32 v10, -1, v0
	v_lshrrev_b32_e32 v11, 5, v10
	v_add_lshl_u32 v10, v11, v10, 2
	ds_read_b32 v22, v10
.LBB6945_29:
	s_or_b64 exec, exec, s[8:9]
	s_and_saveexec_b64 s[8:9], vcc
	s_cbranch_execz .LBB6945_52
; %bb.30:
	v_mov_b32_e32 v21, 0
	ds_read_b32 v10, v21 offset:520
	v_mbcnt_lo_u32_b32 v11, -1, 0
	v_mbcnt_hi_u32_b32 v13, -1, v11
	s_mov_b32 s23, 0
	v_cmp_eq_u32_e64 s[2:3], 0, v13
	s_and_saveexec_b64 s[10:11], s[2:3]
	s_cbranch_execz .LBB6945_32
; %bb.31:
	s_add_i32 s22, s6, 64
	s_lshl_b64 s[22:23], s[22:23], 3
	s_add_u32 s22, s20, s22
	v_mov_b32_e32 v11, 1
	s_addc_u32 s23, s21, s23
	s_waitcnt lgkmcnt(0)
	global_store_dwordx2 v21, v[10:11], s[22:23]
.LBB6945_32:
	s_or_b64 exec, exec, s[10:11]
	v_xad_u32 v12, v13, -1, s6
	v_add_u32_e32 v20, 64, v12
	v_lshlrev_b64 v[14:15], 3, v[20:21]
	v_mov_b32_e32 v11, s21
	v_add_co_u32_e32 v14, vcc, s20, v14
	v_addc_co_u32_e32 v15, vcc, v11, v15, vcc
	global_load_dwordx2 v[16:17], v[14:15], off glc
	s_waitcnt vmcnt(0)
	v_cmp_eq_u16_sdwa s[22:23], v17, v21 src0_sel:BYTE_0 src1_sel:DWORD
	s_and_saveexec_b64 s[10:11], s[22:23]
	s_cbranch_execz .LBB6945_38
; %bb.33:
	s_mov_b32 s7, 1
	s_mov_b64 s[22:23], 0
	v_mov_b32_e32 v11, 0
.LBB6945_34:                            ; =>This Loop Header: Depth=1
                                        ;     Child Loop BB6945_35 Depth 2
	s_max_u32 s26, s7, 1
.LBB6945_35:                            ;   Parent Loop BB6945_34 Depth=1
                                        ; =>  This Inner Loop Header: Depth=2
	s_add_i32 s26, s26, -1
	s_cmp_eq_u32 s26, 0
	s_sleep 1
	s_cbranch_scc0 .LBB6945_35
; %bb.36:                               ;   in Loop: Header=BB6945_34 Depth=1
	global_load_dwordx2 v[16:17], v[14:15], off glc
	s_cmp_lt_u32 s7, 32
	s_cselect_b64 s[26:27], -1, 0
	s_cmp_lg_u64 s[26:27], 0
	s_addc_u32 s7, s7, 0
	s_waitcnt vmcnt(0)
	v_cmp_ne_u16_sdwa s[26:27], v17, v11 src0_sel:BYTE_0 src1_sel:DWORD
	s_or_b64 s[22:23], s[26:27], s[22:23]
	s_andn2_b64 exec, exec, s[22:23]
	s_cbranch_execnz .LBB6945_34
; %bb.37:
	s_or_b64 exec, exec, s[22:23]
.LBB6945_38:
	s_or_b64 exec, exec, s[10:11]
	v_and_b32_e32 v23, 63, v13
	v_mov_b32_e32 v11, 2
	v_cmp_ne_u32_e32 vcc, 63, v23
	v_cmp_eq_u16_sdwa s[10:11], v17, v11 src0_sel:BYTE_0 src1_sel:DWORD
	v_lshlrev_b64 v[14:15], v13, -1
	v_addc_co_u32_e32 v24, vcc, 0, v13, vcc
	v_and_b32_e32 v20, s11, v15
	v_lshlrev_b32_e32 v24, 2, v24
	v_or_b32_e32 v20, 0x80000000, v20
	ds_bpermute_b32 v25, v24, v16
	v_and_b32_e32 v21, s10, v14
	v_ffbl_b32_e32 v20, v20
	v_add_u32_e32 v20, 32, v20
	v_ffbl_b32_e32 v21, v21
	v_min_u32_e32 v20, v21, v20
	v_cmp_lt_u32_e32 vcc, v23, v20
	s_waitcnt lgkmcnt(0)
	v_cndmask_b32_e32 v21, 0, v25, vcc
	v_cmp_gt_u32_e32 vcc, 62, v23
	v_add_u32_e32 v16, v21, v16
	v_cndmask_b32_e64 v21, 0, 1, vcc
	v_lshlrev_b32_e32 v21, 1, v21
	v_add_lshl_u32 v25, v21, v13, 2
	ds_bpermute_b32 v21, v25, v16
	v_add_u32_e32 v29, 2, v23
	v_cmp_le_u32_e32 vcc, v29, v20
	v_add_u32_e32 v31, 4, v23
	v_add_u32_e32 v33, 8, v23
	s_waitcnt lgkmcnt(0)
	v_cndmask_b32_e32 v21, 0, v21, vcc
	v_cmp_gt_u32_e32 vcc, 60, v23
	v_add_u32_e32 v16, v16, v21
	v_cndmask_b32_e64 v21, 0, 1, vcc
	v_lshlrev_b32_e32 v21, 2, v21
	v_add_lshl_u32 v30, v21, v13, 2
	ds_bpermute_b32 v21, v30, v16
	v_cmp_le_u32_e32 vcc, v31, v20
	v_add_u32_e32 v36, 16, v23
	v_add_u32_e32 v38, 32, v23
	s_waitcnt lgkmcnt(0)
	v_cndmask_b32_e32 v21, 0, v21, vcc
	v_cmp_gt_u32_e32 vcc, 56, v23
	v_add_u32_e32 v16, v16, v21
	v_cndmask_b32_e64 v21, 0, 1, vcc
	v_lshlrev_b32_e32 v21, 3, v21
	v_add_lshl_u32 v32, v21, v13, 2
	ds_bpermute_b32 v21, v32, v16
	v_cmp_le_u32_e32 vcc, v33, v20
	s_waitcnt lgkmcnt(0)
	v_cndmask_b32_e32 v21, 0, v21, vcc
	v_cmp_gt_u32_e32 vcc, 48, v23
	v_add_u32_e32 v16, v16, v21
	v_cndmask_b32_e64 v21, 0, 1, vcc
	v_lshlrev_b32_e32 v21, 4, v21
	v_add_lshl_u32 v35, v21, v13, 2
	ds_bpermute_b32 v21, v35, v16
	v_cmp_le_u32_e32 vcc, v36, v20
	;; [unrolled: 9-line block ×3, first 2 shown]
	s_waitcnt lgkmcnt(0)
	v_cndmask_b32_e32 v13, 0, v13, vcc
	v_add_u32_e32 v16, v16, v13
	v_mov_b32_e32 v13, 0
	s_branch .LBB6945_40
.LBB6945_39:                            ;   in Loop: Header=BB6945_40 Depth=1
	s_or_b64 exec, exec, s[10:11]
	v_cmp_eq_u16_sdwa s[10:11], v17, v11 src0_sel:BYTE_0 src1_sel:DWORD
	v_and_b32_e32 v20, s11, v15
	v_or_b32_e32 v20, 0x80000000, v20
	ds_bpermute_b32 v39, v24, v16
	v_and_b32_e32 v21, s10, v14
	v_ffbl_b32_e32 v20, v20
	v_add_u32_e32 v20, 32, v20
	v_ffbl_b32_e32 v21, v21
	v_min_u32_e32 v20, v21, v20
	v_cmp_lt_u32_e32 vcc, v23, v20
	s_waitcnt lgkmcnt(0)
	v_cndmask_b32_e32 v21, 0, v39, vcc
	v_add_u32_e32 v16, v21, v16
	ds_bpermute_b32 v21, v25, v16
	v_cmp_le_u32_e32 vcc, v29, v20
	v_subrev_u32_e32 v12, 64, v12
	s_waitcnt lgkmcnt(0)
	v_cndmask_b32_e32 v21, 0, v21, vcc
	v_add_u32_e32 v16, v16, v21
	ds_bpermute_b32 v21, v30, v16
	v_cmp_le_u32_e32 vcc, v31, v20
	s_waitcnt lgkmcnt(0)
	v_cndmask_b32_e32 v21, 0, v21, vcc
	v_add_u32_e32 v16, v16, v21
	ds_bpermute_b32 v21, v32, v16
	v_cmp_le_u32_e32 vcc, v33, v20
	;; [unrolled: 5-line block ×4, first 2 shown]
	s_waitcnt lgkmcnt(0)
	v_cndmask_b32_e32 v20, 0, v21, vcc
	v_add3_u32 v16, v20, v34, v16
.LBB6945_40:                            ; =>This Loop Header: Depth=1
                                        ;     Child Loop BB6945_43 Depth 2
                                        ;       Child Loop BB6945_44 Depth 3
	v_cmp_ne_u16_sdwa s[10:11], v17, v11 src0_sel:BYTE_0 src1_sel:DWORD
	v_cndmask_b32_e64 v17, 0, 1, s[10:11]
	;;#ASMSTART
	;;#ASMEND
	v_cmp_ne_u32_e32 vcc, 0, v17
	s_cmp_lg_u64 vcc, exec
	v_mov_b32_e32 v34, v16
	s_cbranch_scc1 .LBB6945_47
; %bb.41:                               ;   in Loop: Header=BB6945_40 Depth=1
	v_lshlrev_b64 v[16:17], 3, v[12:13]
	v_mov_b32_e32 v21, s21
	v_add_co_u32_e32 v20, vcc, s20, v16
	v_addc_co_u32_e32 v21, vcc, v21, v17, vcc
	global_load_dwordx2 v[16:17], v[20:21], off glc
	s_waitcnt vmcnt(0)
	v_cmp_eq_u16_sdwa s[22:23], v17, v13 src0_sel:BYTE_0 src1_sel:DWORD
	s_and_saveexec_b64 s[10:11], s[22:23]
	s_cbranch_execz .LBB6945_39
; %bb.42:                               ;   in Loop: Header=BB6945_40 Depth=1
	s_mov_b32 s7, 1
	s_mov_b64 s[22:23], 0
.LBB6945_43:                            ;   Parent Loop BB6945_40 Depth=1
                                        ; =>  This Loop Header: Depth=2
                                        ;       Child Loop BB6945_44 Depth 3
	s_max_u32 s26, s7, 1
.LBB6945_44:                            ;   Parent Loop BB6945_40 Depth=1
                                        ;     Parent Loop BB6945_43 Depth=2
                                        ; =>    This Inner Loop Header: Depth=3
	s_add_i32 s26, s26, -1
	s_cmp_eq_u32 s26, 0
	s_sleep 1
	s_cbranch_scc0 .LBB6945_44
; %bb.45:                               ;   in Loop: Header=BB6945_43 Depth=2
	global_load_dwordx2 v[16:17], v[20:21], off glc
	s_cmp_lt_u32 s7, 32
	s_cselect_b64 s[26:27], -1, 0
	s_cmp_lg_u64 s[26:27], 0
	s_addc_u32 s7, s7, 0
	s_waitcnt vmcnt(0)
	v_cmp_ne_u16_sdwa s[26:27], v17, v13 src0_sel:BYTE_0 src1_sel:DWORD
	s_or_b64 s[22:23], s[26:27], s[22:23]
	s_andn2_b64 exec, exec, s[22:23]
	s_cbranch_execnz .LBB6945_43
; %bb.46:                               ;   in Loop: Header=BB6945_40 Depth=1
	s_or_b64 exec, exec, s[22:23]
	s_branch .LBB6945_39
.LBB6945_47:                            ;   in Loop: Header=BB6945_40 Depth=1
                                        ; implicit-def: $vgpr16
                                        ; implicit-def: $vgpr17
	s_cbranch_execz .LBB6945_40
; %bb.48:
	s_and_saveexec_b64 s[10:11], s[2:3]
	s_cbranch_execz .LBB6945_50
; %bb.49:
	s_add_i32 s2, s6, 64
	s_mov_b32 s3, 0
	s_lshl_b64 s[2:3], s[2:3], 3
	s_add_u32 s2, s20, s2
	v_add_u32_e32 v10, v34, v10
	v_mov_b32_e32 v11, 2
	s_addc_u32 s3, s21, s3
	v_mov_b32_e32 v12, 0
	global_store_dwordx2 v12, v[10:11], s[2:3]
.LBB6945_50:
	s_or_b64 exec, exec, s[10:11]
	s_and_b64 exec, exec, s[0:1]
	s_cbranch_execz .LBB6945_52
; %bb.51:
	v_mov_b32_e32 v10, 0
	ds_write_b32 v10, v34
.LBB6945_52:
	s_or_b64 exec, exec, s[8:9]
	v_mov_b32_e32 v10, 0
	s_waitcnt lgkmcnt(0)
	s_barrier
	ds_read_b32 v10, v10
	s_waitcnt lgkmcnt(0)
	v_add3_u32 v10, v22, v6, v10
	v_add_u32_e32 v11, v10, v7
	v_add_u32_e32 v20, v11, v8
	;; [unrolled: 1-line block ×9, first 2 shown]
	s_load_dwordx8 s[4:11], s[4:5], 0x38
	s_branch .LBB6945_65
.LBB6945_53:
                                        ; implicit-def: $vgpr24_vgpr25
                                        ; implicit-def: $vgpr22_vgpr23
                                        ; implicit-def: $vgpr20_vgpr21
                                        ; implicit-def: $vgpr14_vgpr15_vgpr16_vgpr17
                                        ; implicit-def: $vgpr10_vgpr11_vgpr12_vgpr13
	s_load_dwordx8 s[4:11], s[4:5], 0x38
	s_cbranch_execz .LBB6945_65
; %bb.54:
	s_waitcnt lgkmcnt(0)
	s_cmp_lg_u64 s[8:9], 0
	s_cselect_b64 s[2:3], -1, 0
	v_cmp_eq_u32_e64 s[0:1], 0, v0
	v_cmp_ne_u32_e32 vcc, 0, v0
	s_and_b64 s[8:9], s[0:1], s[2:3]
	s_and_saveexec_b64 s[2:3], s[8:9]
	s_cbranch_execz .LBB6945_56
; %bb.55:
	v_mov_b32_e32 v10, 0
	global_load_dword v10, v10, s[4:5]
	s_waitcnt vmcnt(0)
	v_add_u32_e32 v6, v10, v6
.LBB6945_56:
	s_or_b64 exec, exec, s[2:3]
	v_add_u32_e32 v11, v6, v7
	v_add_u32_e32 v20, v11, v8
	;; [unrolled: 1-line block ×9, first 2 shown]
	v_add_lshl_u32 v10, v28, v0, 2
	v_cmp_gt_u32_e64 s[2:3], 64, v0
	ds_write_b32 v10, v25
	s_waitcnt lgkmcnt(0)
	s_barrier
	s_and_saveexec_b64 s[4:5], s[2:3]
	s_cbranch_execz .LBB6945_58
; %bb.57:
	v_lshlrev_b32_e32 v10, 1, v0
	v_lshrrev_b32_e32 v12, 4, v0
	v_add_lshl_u32 v10, v12, v10, 2
	ds_read2_b32 v[12:13], v10 offset1:1
	v_mbcnt_lo_u32_b32 v16, -1, 0
	v_mbcnt_hi_u32_b32 v16, -1, v16
	v_and_b32_e32 v17, 15, v16
	v_cmp_ne_u32_e64 s[2:3], 0, v17
	s_waitcnt lgkmcnt(0)
	v_add_u32_e32 v13, v13, v12
	; wave barrier
	s_nop 1
	v_mov_b32_dpp v28, v13 row_shr:1 row_mask:0xf bank_mask:0xf
	v_cndmask_b32_e64 v28, 0, v28, s[2:3]
	v_add_u32_e32 v13, v28, v13
	v_cmp_lt_u32_e64 s[2:3], 1, v17
	s_nop 0
	v_mov_b32_dpp v28, v13 row_shr:2 row_mask:0xf bank_mask:0xf
	v_cndmask_b32_e64 v28, 0, v28, s[2:3]
	v_add_u32_e32 v13, v13, v28
	v_cmp_lt_u32_e64 s[2:3], 3, v17
	;; [unrolled: 5-line block ×3, first 2 shown]
	s_nop 0
	v_mov_b32_dpp v28, v13 row_shr:8 row_mask:0xf bank_mask:0xf
	v_cndmask_b32_e64 v17, 0, v28, s[2:3]
	v_add_u32_e32 v13, v13, v17
	v_bfe_i32 v28, v16, 4, 1
	v_cmp_lt_u32_e64 s[2:3], 31, v16
	v_mov_b32_dpp v17, v13 row_bcast:15 row_mask:0xf bank_mask:0xf
	v_and_b32_e32 v17, v28, v17
	v_add_u32_e32 v13, v13, v17
	v_and_b32_e32 v28, 64, v16
	s_nop 0
	v_mov_b32_dpp v17, v13 row_bcast:31 row_mask:0xf bank_mask:0xf
	v_cndmask_b32_e64 v17, 0, v17, s[2:3]
	v_add_u32_e32 v13, v13, v17
	v_add_u32_e32 v17, -1, v16
	v_cmp_lt_i32_e64 s[2:3], v17, v28
	v_cndmask_b32_e64 v16, v17, v16, s[2:3]
	v_lshlrev_b32_e32 v16, 2, v16
	ds_bpermute_b32 v13, v16, v13
	s_waitcnt lgkmcnt(0)
	v_add_u32_e32 v12, v13, v12
	v_cndmask_b32_e64 v12, v12, v25, s[0:1]
	ds_write_b32 v10, v12
	; wave barrier
	ds_read_b32 v13, v10 offset:4
	s_waitcnt lgkmcnt(0)
	v_add_u32_e32 v12, v13, v12
	ds_write_b32 v10, v12 offset:4
.LBB6945_58:
	s_or_b64 exec, exec, s[4:5]
	v_mov_b32_e32 v12, v25
	s_waitcnt lgkmcnt(0)
	s_barrier
	s_and_saveexec_b64 s[0:1], vcc
	s_cbranch_execz .LBB6945_60
; %bb.59:
	v_add_u32_e32 v10, -1, v0
	v_lshrrev_b32_e32 v12, 5, v10
	v_add_lshl_u32 v10, v12, v10, 2
	ds_read_b32 v12, v10
.LBB6945_60:
	s_or_b64 exec, exec, s[0:1]
	v_mov_b32_e32 v10, v6
	s_and_saveexec_b64 s[0:1], vcc
	s_cbranch_execz .LBB6945_62
; %bb.61:
	s_waitcnt lgkmcnt(0)
	v_add_u32_e32 v10, v12, v6
	v_add_u32_e32 v11, v10, v7
	;; [unrolled: 1-line block ×10, first 2 shown]
	;;#ASMSTART
	;;#ASMEND
.LBB6945_62:
	s_or_b64 exec, exec, s[0:1]
	s_movk_i32 s0, 0x7f
	v_cmp_eq_u32_e32 vcc, s0, v0
	s_and_saveexec_b64 s[0:1], vcc
	s_cbranch_execz .LBB6945_64
; %bb.63:
	v_mov_b32_e32 v4, 0
	v_mov_b32_e32 v3, 2
	;; [unrolled: 1-line block ×3, first 2 shown]
	global_store_dwordx2 v4, v[2:3], s[20:21] offset:512
.LBB6945_64:
	s_or_b64 exec, exec, s[0:1]
.LBB6945_65:
	s_add_u32 s0, s12, s16
	s_addc_u32 s1, s13, s17
	s_add_u32 s2, s0, s18
	s_addc_u32 s3, s1, s19
	s_mov_b64 s[0:1], -1
	s_and_b64 vcc, exec, s[14:15]
	s_waitcnt lgkmcnt(0)
	s_barrier
	s_cbranch_vccz .LBB6945_67
; %bb.66:
	ds_write2_b64 v1, v[10:11], v[20:21] offset1:1
	ds_write2_b64 v1, v[14:15], v[22:23] offset0:2 offset1:3
	ds_write_b64 v1, v[24:25] offset:32
	s_waitcnt lgkmcnt(0)
	s_barrier
	ds_read2st64_b32 v[2:3], v26 offset1:2
	ds_read2st64_b32 v[4:5], v26 offset0:4 offset1:6
	ds_read2st64_b32 v[6:7], v26 offset0:8 offset1:10
	;; [unrolled: 1-line block ×4, first 2 shown]
	v_mov_b32_e32 v17, s3
	v_add_co_u32_e32 v16, vcc, s2, v26
	v_addc_co_u32_e32 v17, vcc, 0, v17, vcc
	s_waitcnt lgkmcnt(4)
	flat_store_dword v[16:17], v2
	flat_store_dword v[16:17], v3 offset:512
	s_waitcnt lgkmcnt(0)
	flat_store_dword v[16:17], v4 offset:1024
	flat_store_dword v[16:17], v5 offset:1536
	;; [unrolled: 1-line block ×6, first 2 shown]
	v_add_co_u32_e32 v2, vcc, 0x1000, v16
	v_addc_co_u32_e32 v3, vcc, 0, v17, vcc
	flat_store_dword v[2:3], v12
	flat_store_dword v[2:3], v13 offset:512
	s_mov_b64 s[0:1], 0
.LBB6945_67:
	s_andn2_b64 vcc, exec, s[0:1]
	s_cbranch_vccnz .LBB6945_123
; %bb.68:
	ds_write2_b64 v1, v[10:11], v[20:21] offset1:1
	ds_write2_b64 v1, v[14:15], v[22:23] offset0:2 offset1:3
	ds_write_b64 v1, v[24:25] offset:32
	s_waitcnt lgkmcnt(0)
	s_barrier
	ds_read2st64_b32 v[2:3], v26 offset1:2
	ds_read2st64_b32 v[6:7], v26 offset0:4 offset1:6
	ds_read2st64_b32 v[4:5], v26 offset0:8 offset1:10
	ds_read2st64_b32 v[8:9], v26 offset0:12 offset1:14
	ds_read2st64_b32 v[10:11], v26 offset0:16 offset1:18
	v_mov_b32_e32 v13, s3
	v_add_co_u32_e32 v12, vcc, s2, v26
	v_addc_co_u32_e32 v13, vcc, 0, v13, vcc
	v_mov_b32_e32 v1, 0
	v_cmp_gt_u32_e32 vcc, s24, v0
	s_and_saveexec_b64 s[0:1], vcc
	s_cbranch_execz .LBB6945_70
; %bb.69:
	s_waitcnt lgkmcnt(0)
	flat_store_dword v[12:13], v2
.LBB6945_70:
	s_or_b64 exec, exec, s[0:1]
	v_or_b32_e32 v14, 0x80, v0
	v_cmp_gt_u32_e32 vcc, s24, v14
	s_and_saveexec_b64 s[0:1], vcc
	s_cbranch_execz .LBB6945_72
; %bb.71:
	s_waitcnt lgkmcnt(0)
	flat_store_dword v[12:13], v3 offset:512
.LBB6945_72:
	s_or_b64 exec, exec, s[0:1]
	v_or_b32_e32 v14, 0x100, v0
	v_cmp_gt_u32_e32 vcc, s24, v14
	s_and_saveexec_b64 s[0:1], vcc
	s_cbranch_execz .LBB6945_74
; %bb.73:
	s_waitcnt lgkmcnt(0)
	flat_store_dword v[12:13], v6 offset:1024
.LBB6945_74:
	;; [unrolled: 9-line block ×7, first 2 shown]
	s_or_b64 exec, exec, s[0:1]
	v_or_b32_e32 v14, 0x400, v0
	v_cmp_gt_u32_e32 vcc, s24, v14
	s_and_saveexec_b64 s[0:1], vcc
	s_cbranch_execz .LBB6945_86
; %bb.85:
	v_add_co_u32_e32 v14, vcc, 0x1000, v12
	v_addc_co_u32_e32 v15, vcc, 0, v13, vcc
	s_waitcnt lgkmcnt(0)
	flat_store_dword v[14:15], v10
.LBB6945_86:
	s_or_b64 exec, exec, s[0:1]
	v_or_b32_e32 v14, 0x480, v0
	v_cmp_gt_u32_e32 vcc, s24, v14
	s_and_saveexec_b64 s[0:1], vcc
	s_cbranch_execz .LBB6945_88
; %bb.87:
	v_add_co_u32_e32 v12, vcc, 0x1000, v12
	v_addc_co_u32_e32 v13, vcc, 0, v13, vcc
	s_waitcnt lgkmcnt(0)
	flat_store_dword v[12:13], v11 offset:512
.LBB6945_88:
	s_or_b64 exec, exec, s[0:1]
	v_cmp_lt_u64_e64 s[0:1], s[10:11], 2
	s_and_b64 vcc, exec, s[0:1]
	s_cbranch_vccnz .LBB6945_123
; %bb.89:
	s_add_u32 s0, s24, -1
	s_addc_u32 s1, s25, -1
	s_add_u32 s2, 0, 0x99986000
	s_addc_u32 s3, 0, 0x59
	s_add_i32 s3, s3, 0x19999940
	s_mul_hi_u32 s9, s2, -10
	s_sub_i32 s9, s9, s2
	s_mul_i32 s10, s3, -10
	s_mul_i32 s4, s2, -10
	s_add_i32 s9, s9, s10
	s_mul_hi_u32 s5, s3, s4
	s_mul_i32 s8, s3, s4
	s_mul_i32 s11, s2, s9
	s_mul_hi_u32 s4, s2, s4
	s_mul_hi_u32 s10, s2, s9
	s_add_u32 s4, s4, s11
	s_addc_u32 s10, 0, s10
	s_add_u32 s4, s4, s8
	s_mul_hi_u32 s11, s3, s9
	s_addc_u32 s4, s10, s5
	s_addc_u32 s5, s11, 0
	s_mul_i32 s8, s3, s9
	s_add_u32 s4, s4, s8
	v_mov_b32_e32 v12, s4
	s_addc_u32 s5, 0, s5
	v_add_co_u32_e32 v12, vcc, s2, v12
	s_cmp_lg_u64 vcc, 0
	s_addc_u32 s2, s3, s5
	v_readfirstlane_b32 s5, v12
	s_mul_i32 s4, s0, s2
	s_mul_hi_u32 s8, s0, s5
	s_mul_hi_u32 s3, s0, s2
	s_add_u32 s4, s8, s4
	s_addc_u32 s3, 0, s3
	s_mul_hi_u32 s9, s1, s5
	s_mul_i32 s5, s1, s5
	s_add_u32 s4, s4, s5
	s_mul_hi_u32 s8, s1, s2
	s_addc_u32 s3, s3, s9
	s_addc_u32 s4, s8, 0
	s_mul_i32 s2, s1, s2
	s_add_u32 s2, s3, s2
	s_addc_u32 s3, 0, s4
	s_add_u32 s4, s2, 1
	s_addc_u32 s5, s3, 0
	s_add_u32 s8, s2, 2
	s_mul_i32 s10, s3, 10
	s_mul_hi_u32 s11, s2, 10
	s_addc_u32 s9, s3, 0
	s_add_i32 s11, s11, s10
	s_mul_i32 s10, s2, 10
	v_mov_b32_e32 v12, s10
	v_sub_co_u32_e32 v12, vcc, s0, v12
	s_cmp_lg_u64 vcc, 0
	s_subb_u32 s10, s1, s11
	v_subrev_co_u32_e32 v13, vcc, 10, v12
	s_cmp_lg_u64 vcc, 0
	s_subb_u32 s11, s10, 0
	v_readfirstlane_b32 s12, v13
	s_cmp_gt_u32 s12, 9
	s_cselect_b32 s12, -1, 0
	s_cmp_eq_u32 s11, 0
	s_cselect_b32 s11, s12, -1
	s_cmp_lg_u32 s11, 0
	s_cselect_b32 s4, s8, s4
	v_readfirstlane_b32 s8, v12
	s_cselect_b32 s5, s9, s5
	s_cmp_gt_u32 s8, 9
	s_cselect_b32 s8, -1, 0
	s_cmp_eq_u32 s10, 0
	s_cselect_b32 s8, s8, -1
	s_cmp_lg_u32 s8, 0
	s_cselect_b32 s3, s5, s3
	s_cselect_b32 s2, s4, s2
	v_cmp_eq_u64_e32 vcc, s[2:3], v[0:1]
	s_and_saveexec_b64 s[2:3], vcc
	s_cbranch_execz .LBB6945_123
; %bb.90:
	v_mul_hi_u32_u24_e32 v1, 10, v0
	v_mov_b32_e32 v12, s1
	v_sub_co_u32_e32 v0, vcc, s0, v27
	v_subb_co_u32_e32 v1, vcc, v12, v1, vcc
	v_cmp_lt_i64_e32 vcc, 4, v[0:1]
	s_and_saveexec_b64 s[0:1], vcc
	s_xor_b64 s[0:1], exec, s[0:1]
	s_cbranch_execz .LBB6945_108
; %bb.91:
	v_cmp_lt_i64_e32 vcc, 6, v[0:1]
	s_and_saveexec_b64 s[2:3], vcc
	s_xor_b64 s[2:3], exec, s[2:3]
	s_cbranch_execz .LBB6945_101
; %bb.92:
	;; [unrolled: 5-line block ×4, first 2 shown]
	v_mov_b32_e32 v0, 0
	s_waitcnt lgkmcnt(0)
	global_store_dword v0, v11, s[6:7]
                                        ; implicit-def: $vgpr10_vgpr11
.LBB6945_95:
	s_andn2_saveexec_b64 s[8:9], s[8:9]
	s_cbranch_execz .LBB6945_97
; %bb.96:
	v_mov_b32_e32 v0, 0
	s_waitcnt lgkmcnt(0)
	global_store_dword v0, v10, s[6:7]
.LBB6945_97:
	s_or_b64 exec, exec, s[8:9]
                                        ; implicit-def: $vgpr8_vgpr9
.LBB6945_98:
	s_andn2_saveexec_b64 s[4:5], s[4:5]
	s_cbranch_execz .LBB6945_100
; %bb.99:
	v_mov_b32_e32 v0, 0
	s_waitcnt lgkmcnt(0)
	global_store_dword v0, v9, s[6:7]
.LBB6945_100:
	s_or_b64 exec, exec, s[4:5]
                                        ; implicit-def: $vgpr4_vgpr5
                                        ; implicit-def: $vgpr0_vgpr1
                                        ; implicit-def: $vgpr8_vgpr9
.LBB6945_101:
	s_andn2_saveexec_b64 s[2:3], s[2:3]
	s_cbranch_execz .LBB6945_107
; %bb.102:
	v_cmp_lt_i64_e32 vcc, 5, v[0:1]
	s_and_saveexec_b64 s[4:5], vcc
	s_xor_b64 s[4:5], exec, s[4:5]
	s_cbranch_execz .LBB6945_104
; %bb.103:
	v_mov_b32_e32 v0, 0
	s_waitcnt lgkmcnt(0)
	global_store_dword v0, v8, s[6:7]
                                        ; implicit-def: $vgpr4_vgpr5
.LBB6945_104:
	s_andn2_saveexec_b64 s[4:5], s[4:5]
	s_cbranch_execz .LBB6945_106
; %bb.105:
	v_mov_b32_e32 v0, 0
	s_waitcnt lgkmcnt(0)
	global_store_dword v0, v5, s[6:7]
.LBB6945_106:
	s_or_b64 exec, exec, s[4:5]
.LBB6945_107:
	s_or_b64 exec, exec, s[2:3]
                                        ; implicit-def: $vgpr0_vgpr1
                                        ; implicit-def: $vgpr6_vgpr7
                                        ; implicit-def: $vgpr2_vgpr3
                                        ; implicit-def: $vgpr4_vgpr5
.LBB6945_108:
	s_andn2_saveexec_b64 s[0:1], s[0:1]
	s_cbranch_execz .LBB6945_123
; %bb.109:
	v_cmp_lt_i64_e32 vcc, 2, v[0:1]
	s_and_saveexec_b64 s[0:1], vcc
	s_xor_b64 s[0:1], exec, s[0:1]
	s_cbranch_execz .LBB6945_115
; %bb.110:
	v_cmp_lt_i64_e32 vcc, 3, v[0:1]
	s_and_saveexec_b64 s[2:3], vcc
	s_xor_b64 s[2:3], exec, s[2:3]
	s_cbranch_execz .LBB6945_112
; %bb.111:
	v_mov_b32_e32 v0, 0
	s_waitcnt lgkmcnt(0)
	global_store_dword v0, v4, s[6:7]
                                        ; implicit-def: $vgpr6_vgpr7
.LBB6945_112:
	s_andn2_saveexec_b64 s[2:3], s[2:3]
	s_cbranch_execz .LBB6945_114
; %bb.113:
	v_mov_b32_e32 v0, 0
	s_waitcnt lgkmcnt(0)
	global_store_dword v0, v7, s[6:7]
.LBB6945_114:
	s_or_b64 exec, exec, s[2:3]
                                        ; implicit-def: $vgpr0_vgpr1
                                        ; implicit-def: $vgpr6_vgpr7
                                        ; implicit-def: $vgpr2_vgpr3
.LBB6945_115:
	s_andn2_saveexec_b64 s[0:1], s[0:1]
	s_cbranch_execz .LBB6945_123
; %bb.116:
	v_cmp_lt_i64_e32 vcc, 1, v[0:1]
	s_and_saveexec_b64 s[0:1], vcc
	s_xor_b64 s[0:1], exec, s[0:1]
	s_cbranch_execz .LBB6945_118
; %bb.117:
	v_mov_b32_e32 v0, 0
	s_waitcnt lgkmcnt(0)
	global_store_dword v0, v6, s[6:7]
                                        ; implicit-def: $vgpr2_vgpr3
                                        ; implicit-def: $vgpr0_vgpr1
.LBB6945_118:
	s_andn2_saveexec_b64 s[0:1], s[0:1]
	s_cbranch_execz .LBB6945_123
; %bb.119:
	v_cmp_ne_u64_e32 vcc, 1, v[0:1]
	s_and_saveexec_b64 s[0:1], vcc
	s_xor_b64 s[0:1], exec, s[0:1]
	s_cbranch_execz .LBB6945_121
; %bb.120:
	v_mov_b32_e32 v0, 0
	s_waitcnt lgkmcnt(0)
	global_store_dword v0, v2, s[6:7]
                                        ; implicit-def: $vgpr2_vgpr3
.LBB6945_121:
	s_andn2_saveexec_b64 s[0:1], s[0:1]
	s_cbranch_execz .LBB6945_123
; %bb.122:
	v_mov_b32_e32 v0, 0
	s_waitcnt lgkmcnt(0)
	global_store_dword v0, v3, s[6:7]
.LBB6945_123:
	s_endpgm
	.section	.rodata,"a",@progbits
	.p2align	6, 0x0
	.amdhsa_kernel _ZN7rocprim17ROCPRIM_400000_NS6detail17trampoline_kernelINS0_14default_configENS1_20scan_config_selectorI3IntEEZZNS1_9scan_implILNS1_25lookback_scan_determinismE0ELb0ELb0ES3_N6thrust23THRUST_200600_302600_NS6detail15normal_iteratorINSA_10device_ptrIKS5_EEEENSC_INSD_IS5_EEEES5_NSA_4plusIvEES5_EEDaPvRmT3_T4_T5_mT6_P12ihipStream_tbENKUlT_T0_E_clISt17integral_constantIbLb1EESX_IbLb0EEEEDaST_SU_EUlST_E_NS1_11comp_targetILNS1_3genE4ELNS1_11target_archE910ELNS1_3gpuE8ELNS1_3repE0EEENS1_30default_config_static_selectorELNS0_4arch9wavefront6targetE1EEEvT1_
		.amdhsa_group_segment_fixed_size 5120
		.amdhsa_private_segment_fixed_size 0
		.amdhsa_kernarg_size 96
		.amdhsa_user_sgpr_count 6
		.amdhsa_user_sgpr_private_segment_buffer 1
		.amdhsa_user_sgpr_dispatch_ptr 0
		.amdhsa_user_sgpr_queue_ptr 0
		.amdhsa_user_sgpr_kernarg_segment_ptr 1
		.amdhsa_user_sgpr_dispatch_id 0
		.amdhsa_user_sgpr_flat_scratch_init 0
		.amdhsa_user_sgpr_kernarg_preload_length 0
		.amdhsa_user_sgpr_kernarg_preload_offset 0
		.amdhsa_user_sgpr_private_segment_size 0
		.amdhsa_uses_dynamic_stack 0
		.amdhsa_system_sgpr_private_segment_wavefront_offset 0
		.amdhsa_system_sgpr_workgroup_id_x 1
		.amdhsa_system_sgpr_workgroup_id_y 0
		.amdhsa_system_sgpr_workgroup_id_z 0
		.amdhsa_system_sgpr_workgroup_info 0
		.amdhsa_system_vgpr_workitem_id 0
		.amdhsa_next_free_vgpr 40
		.amdhsa_next_free_sgpr 28
		.amdhsa_accum_offset 40
		.amdhsa_reserve_vcc 1
		.amdhsa_reserve_flat_scratch 0
		.amdhsa_float_round_mode_32 0
		.amdhsa_float_round_mode_16_64 0
		.amdhsa_float_denorm_mode_32 3
		.amdhsa_float_denorm_mode_16_64 3
		.amdhsa_dx10_clamp 1
		.amdhsa_ieee_mode 1
		.amdhsa_fp16_overflow 0
		.amdhsa_tg_split 0
		.amdhsa_exception_fp_ieee_invalid_op 0
		.amdhsa_exception_fp_denorm_src 0
		.amdhsa_exception_fp_ieee_div_zero 0
		.amdhsa_exception_fp_ieee_overflow 0
		.amdhsa_exception_fp_ieee_underflow 0
		.amdhsa_exception_fp_ieee_inexact 0
		.amdhsa_exception_int_div_zero 0
	.end_amdhsa_kernel
	.section	.text._ZN7rocprim17ROCPRIM_400000_NS6detail17trampoline_kernelINS0_14default_configENS1_20scan_config_selectorI3IntEEZZNS1_9scan_implILNS1_25lookback_scan_determinismE0ELb0ELb0ES3_N6thrust23THRUST_200600_302600_NS6detail15normal_iteratorINSA_10device_ptrIKS5_EEEENSC_INSD_IS5_EEEES5_NSA_4plusIvEES5_EEDaPvRmT3_T4_T5_mT6_P12ihipStream_tbENKUlT_T0_E_clISt17integral_constantIbLb1EESX_IbLb0EEEEDaST_SU_EUlST_E_NS1_11comp_targetILNS1_3genE4ELNS1_11target_archE910ELNS1_3gpuE8ELNS1_3repE0EEENS1_30default_config_static_selectorELNS0_4arch9wavefront6targetE1EEEvT1_,"axG",@progbits,_ZN7rocprim17ROCPRIM_400000_NS6detail17trampoline_kernelINS0_14default_configENS1_20scan_config_selectorI3IntEEZZNS1_9scan_implILNS1_25lookback_scan_determinismE0ELb0ELb0ES3_N6thrust23THRUST_200600_302600_NS6detail15normal_iteratorINSA_10device_ptrIKS5_EEEENSC_INSD_IS5_EEEES5_NSA_4plusIvEES5_EEDaPvRmT3_T4_T5_mT6_P12ihipStream_tbENKUlT_T0_E_clISt17integral_constantIbLb1EESX_IbLb0EEEEDaST_SU_EUlST_E_NS1_11comp_targetILNS1_3genE4ELNS1_11target_archE910ELNS1_3gpuE8ELNS1_3repE0EEENS1_30default_config_static_selectorELNS0_4arch9wavefront6targetE1EEEvT1_,comdat
.Lfunc_end6945:
	.size	_ZN7rocprim17ROCPRIM_400000_NS6detail17trampoline_kernelINS0_14default_configENS1_20scan_config_selectorI3IntEEZZNS1_9scan_implILNS1_25lookback_scan_determinismE0ELb0ELb0ES3_N6thrust23THRUST_200600_302600_NS6detail15normal_iteratorINSA_10device_ptrIKS5_EEEENSC_INSD_IS5_EEEES5_NSA_4plusIvEES5_EEDaPvRmT3_T4_T5_mT6_P12ihipStream_tbENKUlT_T0_E_clISt17integral_constantIbLb1EESX_IbLb0EEEEDaST_SU_EUlST_E_NS1_11comp_targetILNS1_3genE4ELNS1_11target_archE910ELNS1_3gpuE8ELNS1_3repE0EEENS1_30default_config_static_selectorELNS0_4arch9wavefront6targetE1EEEvT1_, .Lfunc_end6945-_ZN7rocprim17ROCPRIM_400000_NS6detail17trampoline_kernelINS0_14default_configENS1_20scan_config_selectorI3IntEEZZNS1_9scan_implILNS1_25lookback_scan_determinismE0ELb0ELb0ES3_N6thrust23THRUST_200600_302600_NS6detail15normal_iteratorINSA_10device_ptrIKS5_EEEENSC_INSD_IS5_EEEES5_NSA_4plusIvEES5_EEDaPvRmT3_T4_T5_mT6_P12ihipStream_tbENKUlT_T0_E_clISt17integral_constantIbLb1EESX_IbLb0EEEEDaST_SU_EUlST_E_NS1_11comp_targetILNS1_3genE4ELNS1_11target_archE910ELNS1_3gpuE8ELNS1_3repE0EEENS1_30default_config_static_selectorELNS0_4arch9wavefront6targetE1EEEvT1_
                                        ; -- End function
	.section	.AMDGPU.csdata,"",@progbits
; Kernel info:
; codeLenInByte = 4540
; NumSgprs: 32
; NumVgprs: 40
; NumAgprs: 0
; TotalNumVgprs: 40
; ScratchSize: 0
; MemoryBound: 0
; FloatMode: 240
; IeeeMode: 1
; LDSByteSize: 5120 bytes/workgroup (compile time only)
; SGPRBlocks: 3
; VGPRBlocks: 4
; NumSGPRsForWavesPerEU: 32
; NumVGPRsForWavesPerEU: 40
; AccumOffset: 40
; Occupancy: 6
; WaveLimiterHint : 1
; COMPUTE_PGM_RSRC2:SCRATCH_EN: 0
; COMPUTE_PGM_RSRC2:USER_SGPR: 6
; COMPUTE_PGM_RSRC2:TRAP_HANDLER: 0
; COMPUTE_PGM_RSRC2:TGID_X_EN: 1
; COMPUTE_PGM_RSRC2:TGID_Y_EN: 0
; COMPUTE_PGM_RSRC2:TGID_Z_EN: 0
; COMPUTE_PGM_RSRC2:TIDIG_COMP_CNT: 0
; COMPUTE_PGM_RSRC3_GFX90A:ACCUM_OFFSET: 9
; COMPUTE_PGM_RSRC3_GFX90A:TG_SPLIT: 0
	.section	.text._ZN7rocprim17ROCPRIM_400000_NS6detail17trampoline_kernelINS0_14default_configENS1_20scan_config_selectorI3IntEEZZNS1_9scan_implILNS1_25lookback_scan_determinismE0ELb0ELb0ES3_N6thrust23THRUST_200600_302600_NS6detail15normal_iteratorINSA_10device_ptrIKS5_EEEENSC_INSD_IS5_EEEES5_NSA_4plusIvEES5_EEDaPvRmT3_T4_T5_mT6_P12ihipStream_tbENKUlT_T0_E_clISt17integral_constantIbLb1EESX_IbLb0EEEEDaST_SU_EUlST_E_NS1_11comp_targetILNS1_3genE3ELNS1_11target_archE908ELNS1_3gpuE7ELNS1_3repE0EEENS1_30default_config_static_selectorELNS0_4arch9wavefront6targetE1EEEvT1_,"axG",@progbits,_ZN7rocprim17ROCPRIM_400000_NS6detail17trampoline_kernelINS0_14default_configENS1_20scan_config_selectorI3IntEEZZNS1_9scan_implILNS1_25lookback_scan_determinismE0ELb0ELb0ES3_N6thrust23THRUST_200600_302600_NS6detail15normal_iteratorINSA_10device_ptrIKS5_EEEENSC_INSD_IS5_EEEES5_NSA_4plusIvEES5_EEDaPvRmT3_T4_T5_mT6_P12ihipStream_tbENKUlT_T0_E_clISt17integral_constantIbLb1EESX_IbLb0EEEEDaST_SU_EUlST_E_NS1_11comp_targetILNS1_3genE3ELNS1_11target_archE908ELNS1_3gpuE7ELNS1_3repE0EEENS1_30default_config_static_selectorELNS0_4arch9wavefront6targetE1EEEvT1_,comdat
	.protected	_ZN7rocprim17ROCPRIM_400000_NS6detail17trampoline_kernelINS0_14default_configENS1_20scan_config_selectorI3IntEEZZNS1_9scan_implILNS1_25lookback_scan_determinismE0ELb0ELb0ES3_N6thrust23THRUST_200600_302600_NS6detail15normal_iteratorINSA_10device_ptrIKS5_EEEENSC_INSD_IS5_EEEES5_NSA_4plusIvEES5_EEDaPvRmT3_T4_T5_mT6_P12ihipStream_tbENKUlT_T0_E_clISt17integral_constantIbLb1EESX_IbLb0EEEEDaST_SU_EUlST_E_NS1_11comp_targetILNS1_3genE3ELNS1_11target_archE908ELNS1_3gpuE7ELNS1_3repE0EEENS1_30default_config_static_selectorELNS0_4arch9wavefront6targetE1EEEvT1_ ; -- Begin function _ZN7rocprim17ROCPRIM_400000_NS6detail17trampoline_kernelINS0_14default_configENS1_20scan_config_selectorI3IntEEZZNS1_9scan_implILNS1_25lookback_scan_determinismE0ELb0ELb0ES3_N6thrust23THRUST_200600_302600_NS6detail15normal_iteratorINSA_10device_ptrIKS5_EEEENSC_INSD_IS5_EEEES5_NSA_4plusIvEES5_EEDaPvRmT3_T4_T5_mT6_P12ihipStream_tbENKUlT_T0_E_clISt17integral_constantIbLb1EESX_IbLb0EEEEDaST_SU_EUlST_E_NS1_11comp_targetILNS1_3genE3ELNS1_11target_archE908ELNS1_3gpuE7ELNS1_3repE0EEENS1_30default_config_static_selectorELNS0_4arch9wavefront6targetE1EEEvT1_
	.globl	_ZN7rocprim17ROCPRIM_400000_NS6detail17trampoline_kernelINS0_14default_configENS1_20scan_config_selectorI3IntEEZZNS1_9scan_implILNS1_25lookback_scan_determinismE0ELb0ELb0ES3_N6thrust23THRUST_200600_302600_NS6detail15normal_iteratorINSA_10device_ptrIKS5_EEEENSC_INSD_IS5_EEEES5_NSA_4plusIvEES5_EEDaPvRmT3_T4_T5_mT6_P12ihipStream_tbENKUlT_T0_E_clISt17integral_constantIbLb1EESX_IbLb0EEEEDaST_SU_EUlST_E_NS1_11comp_targetILNS1_3genE3ELNS1_11target_archE908ELNS1_3gpuE7ELNS1_3repE0EEENS1_30default_config_static_selectorELNS0_4arch9wavefront6targetE1EEEvT1_
	.p2align	8
	.type	_ZN7rocprim17ROCPRIM_400000_NS6detail17trampoline_kernelINS0_14default_configENS1_20scan_config_selectorI3IntEEZZNS1_9scan_implILNS1_25lookback_scan_determinismE0ELb0ELb0ES3_N6thrust23THRUST_200600_302600_NS6detail15normal_iteratorINSA_10device_ptrIKS5_EEEENSC_INSD_IS5_EEEES5_NSA_4plusIvEES5_EEDaPvRmT3_T4_T5_mT6_P12ihipStream_tbENKUlT_T0_E_clISt17integral_constantIbLb1EESX_IbLb0EEEEDaST_SU_EUlST_E_NS1_11comp_targetILNS1_3genE3ELNS1_11target_archE908ELNS1_3gpuE7ELNS1_3repE0EEENS1_30default_config_static_selectorELNS0_4arch9wavefront6targetE1EEEvT1_,@function
_ZN7rocprim17ROCPRIM_400000_NS6detail17trampoline_kernelINS0_14default_configENS1_20scan_config_selectorI3IntEEZZNS1_9scan_implILNS1_25lookback_scan_determinismE0ELb0ELb0ES3_N6thrust23THRUST_200600_302600_NS6detail15normal_iteratorINSA_10device_ptrIKS5_EEEENSC_INSD_IS5_EEEES5_NSA_4plusIvEES5_EEDaPvRmT3_T4_T5_mT6_P12ihipStream_tbENKUlT_T0_E_clISt17integral_constantIbLb1EESX_IbLb0EEEEDaST_SU_EUlST_E_NS1_11comp_targetILNS1_3genE3ELNS1_11target_archE908ELNS1_3gpuE7ELNS1_3repE0EEENS1_30default_config_static_selectorELNS0_4arch9wavefront6targetE1EEEvT1_: ; @_ZN7rocprim17ROCPRIM_400000_NS6detail17trampoline_kernelINS0_14default_configENS1_20scan_config_selectorI3IntEEZZNS1_9scan_implILNS1_25lookback_scan_determinismE0ELb0ELb0ES3_N6thrust23THRUST_200600_302600_NS6detail15normal_iteratorINSA_10device_ptrIKS5_EEEENSC_INSD_IS5_EEEES5_NSA_4plusIvEES5_EEDaPvRmT3_T4_T5_mT6_P12ihipStream_tbENKUlT_T0_E_clISt17integral_constantIbLb1EESX_IbLb0EEEEDaST_SU_EUlST_E_NS1_11comp_targetILNS1_3genE3ELNS1_11target_archE908ELNS1_3gpuE7ELNS1_3repE0EEENS1_30default_config_static_selectorELNS0_4arch9wavefront6targetE1EEEvT1_
; %bb.0:
	.section	.rodata,"a",@progbits
	.p2align	6, 0x0
	.amdhsa_kernel _ZN7rocprim17ROCPRIM_400000_NS6detail17trampoline_kernelINS0_14default_configENS1_20scan_config_selectorI3IntEEZZNS1_9scan_implILNS1_25lookback_scan_determinismE0ELb0ELb0ES3_N6thrust23THRUST_200600_302600_NS6detail15normal_iteratorINSA_10device_ptrIKS5_EEEENSC_INSD_IS5_EEEES5_NSA_4plusIvEES5_EEDaPvRmT3_T4_T5_mT6_P12ihipStream_tbENKUlT_T0_E_clISt17integral_constantIbLb1EESX_IbLb0EEEEDaST_SU_EUlST_E_NS1_11comp_targetILNS1_3genE3ELNS1_11target_archE908ELNS1_3gpuE7ELNS1_3repE0EEENS1_30default_config_static_selectorELNS0_4arch9wavefront6targetE1EEEvT1_
		.amdhsa_group_segment_fixed_size 0
		.amdhsa_private_segment_fixed_size 0
		.amdhsa_kernarg_size 96
		.amdhsa_user_sgpr_count 6
		.amdhsa_user_sgpr_private_segment_buffer 1
		.amdhsa_user_sgpr_dispatch_ptr 0
		.amdhsa_user_sgpr_queue_ptr 0
		.amdhsa_user_sgpr_kernarg_segment_ptr 1
		.amdhsa_user_sgpr_dispatch_id 0
		.amdhsa_user_sgpr_flat_scratch_init 0
		.amdhsa_user_sgpr_kernarg_preload_length 0
		.amdhsa_user_sgpr_kernarg_preload_offset 0
		.amdhsa_user_sgpr_private_segment_size 0
		.amdhsa_uses_dynamic_stack 0
		.amdhsa_system_sgpr_private_segment_wavefront_offset 0
		.amdhsa_system_sgpr_workgroup_id_x 1
		.amdhsa_system_sgpr_workgroup_id_y 0
		.amdhsa_system_sgpr_workgroup_id_z 0
		.amdhsa_system_sgpr_workgroup_info 0
		.amdhsa_system_vgpr_workitem_id 0
		.amdhsa_next_free_vgpr 1
		.amdhsa_next_free_sgpr 0
		.amdhsa_accum_offset 4
		.amdhsa_reserve_vcc 0
		.amdhsa_reserve_flat_scratch 0
		.amdhsa_float_round_mode_32 0
		.amdhsa_float_round_mode_16_64 0
		.amdhsa_float_denorm_mode_32 3
		.amdhsa_float_denorm_mode_16_64 3
		.amdhsa_dx10_clamp 1
		.amdhsa_ieee_mode 1
		.amdhsa_fp16_overflow 0
		.amdhsa_tg_split 0
		.amdhsa_exception_fp_ieee_invalid_op 0
		.amdhsa_exception_fp_denorm_src 0
		.amdhsa_exception_fp_ieee_div_zero 0
		.amdhsa_exception_fp_ieee_overflow 0
		.amdhsa_exception_fp_ieee_underflow 0
		.amdhsa_exception_fp_ieee_inexact 0
		.amdhsa_exception_int_div_zero 0
	.end_amdhsa_kernel
	.section	.text._ZN7rocprim17ROCPRIM_400000_NS6detail17trampoline_kernelINS0_14default_configENS1_20scan_config_selectorI3IntEEZZNS1_9scan_implILNS1_25lookback_scan_determinismE0ELb0ELb0ES3_N6thrust23THRUST_200600_302600_NS6detail15normal_iteratorINSA_10device_ptrIKS5_EEEENSC_INSD_IS5_EEEES5_NSA_4plusIvEES5_EEDaPvRmT3_T4_T5_mT6_P12ihipStream_tbENKUlT_T0_E_clISt17integral_constantIbLb1EESX_IbLb0EEEEDaST_SU_EUlST_E_NS1_11comp_targetILNS1_3genE3ELNS1_11target_archE908ELNS1_3gpuE7ELNS1_3repE0EEENS1_30default_config_static_selectorELNS0_4arch9wavefront6targetE1EEEvT1_,"axG",@progbits,_ZN7rocprim17ROCPRIM_400000_NS6detail17trampoline_kernelINS0_14default_configENS1_20scan_config_selectorI3IntEEZZNS1_9scan_implILNS1_25lookback_scan_determinismE0ELb0ELb0ES3_N6thrust23THRUST_200600_302600_NS6detail15normal_iteratorINSA_10device_ptrIKS5_EEEENSC_INSD_IS5_EEEES5_NSA_4plusIvEES5_EEDaPvRmT3_T4_T5_mT6_P12ihipStream_tbENKUlT_T0_E_clISt17integral_constantIbLb1EESX_IbLb0EEEEDaST_SU_EUlST_E_NS1_11comp_targetILNS1_3genE3ELNS1_11target_archE908ELNS1_3gpuE7ELNS1_3repE0EEENS1_30default_config_static_selectorELNS0_4arch9wavefront6targetE1EEEvT1_,comdat
.Lfunc_end6946:
	.size	_ZN7rocprim17ROCPRIM_400000_NS6detail17trampoline_kernelINS0_14default_configENS1_20scan_config_selectorI3IntEEZZNS1_9scan_implILNS1_25lookback_scan_determinismE0ELb0ELb0ES3_N6thrust23THRUST_200600_302600_NS6detail15normal_iteratorINSA_10device_ptrIKS5_EEEENSC_INSD_IS5_EEEES5_NSA_4plusIvEES5_EEDaPvRmT3_T4_T5_mT6_P12ihipStream_tbENKUlT_T0_E_clISt17integral_constantIbLb1EESX_IbLb0EEEEDaST_SU_EUlST_E_NS1_11comp_targetILNS1_3genE3ELNS1_11target_archE908ELNS1_3gpuE7ELNS1_3repE0EEENS1_30default_config_static_selectorELNS0_4arch9wavefront6targetE1EEEvT1_, .Lfunc_end6946-_ZN7rocprim17ROCPRIM_400000_NS6detail17trampoline_kernelINS0_14default_configENS1_20scan_config_selectorI3IntEEZZNS1_9scan_implILNS1_25lookback_scan_determinismE0ELb0ELb0ES3_N6thrust23THRUST_200600_302600_NS6detail15normal_iteratorINSA_10device_ptrIKS5_EEEENSC_INSD_IS5_EEEES5_NSA_4plusIvEES5_EEDaPvRmT3_T4_T5_mT6_P12ihipStream_tbENKUlT_T0_E_clISt17integral_constantIbLb1EESX_IbLb0EEEEDaST_SU_EUlST_E_NS1_11comp_targetILNS1_3genE3ELNS1_11target_archE908ELNS1_3gpuE7ELNS1_3repE0EEENS1_30default_config_static_selectorELNS0_4arch9wavefront6targetE1EEEvT1_
                                        ; -- End function
	.section	.AMDGPU.csdata,"",@progbits
; Kernel info:
; codeLenInByte = 0
; NumSgprs: 4
; NumVgprs: 0
; NumAgprs: 0
; TotalNumVgprs: 0
; ScratchSize: 0
; MemoryBound: 0
; FloatMode: 240
; IeeeMode: 1
; LDSByteSize: 0 bytes/workgroup (compile time only)
; SGPRBlocks: 0
; VGPRBlocks: 0
; NumSGPRsForWavesPerEU: 4
; NumVGPRsForWavesPerEU: 1
; AccumOffset: 4
; Occupancy: 8
; WaveLimiterHint : 0
; COMPUTE_PGM_RSRC2:SCRATCH_EN: 0
; COMPUTE_PGM_RSRC2:USER_SGPR: 6
; COMPUTE_PGM_RSRC2:TRAP_HANDLER: 0
; COMPUTE_PGM_RSRC2:TGID_X_EN: 1
; COMPUTE_PGM_RSRC2:TGID_Y_EN: 0
; COMPUTE_PGM_RSRC2:TGID_Z_EN: 0
; COMPUTE_PGM_RSRC2:TIDIG_COMP_CNT: 0
; COMPUTE_PGM_RSRC3_GFX90A:ACCUM_OFFSET: 0
; COMPUTE_PGM_RSRC3_GFX90A:TG_SPLIT: 0
	.section	.text._ZN7rocprim17ROCPRIM_400000_NS6detail17trampoline_kernelINS0_14default_configENS1_20scan_config_selectorI3IntEEZZNS1_9scan_implILNS1_25lookback_scan_determinismE0ELb0ELb0ES3_N6thrust23THRUST_200600_302600_NS6detail15normal_iteratorINSA_10device_ptrIKS5_EEEENSC_INSD_IS5_EEEES5_NSA_4plusIvEES5_EEDaPvRmT3_T4_T5_mT6_P12ihipStream_tbENKUlT_T0_E_clISt17integral_constantIbLb1EESX_IbLb0EEEEDaST_SU_EUlST_E_NS1_11comp_targetILNS1_3genE2ELNS1_11target_archE906ELNS1_3gpuE6ELNS1_3repE0EEENS1_30default_config_static_selectorELNS0_4arch9wavefront6targetE1EEEvT1_,"axG",@progbits,_ZN7rocprim17ROCPRIM_400000_NS6detail17trampoline_kernelINS0_14default_configENS1_20scan_config_selectorI3IntEEZZNS1_9scan_implILNS1_25lookback_scan_determinismE0ELb0ELb0ES3_N6thrust23THRUST_200600_302600_NS6detail15normal_iteratorINSA_10device_ptrIKS5_EEEENSC_INSD_IS5_EEEES5_NSA_4plusIvEES5_EEDaPvRmT3_T4_T5_mT6_P12ihipStream_tbENKUlT_T0_E_clISt17integral_constantIbLb1EESX_IbLb0EEEEDaST_SU_EUlST_E_NS1_11comp_targetILNS1_3genE2ELNS1_11target_archE906ELNS1_3gpuE6ELNS1_3repE0EEENS1_30default_config_static_selectorELNS0_4arch9wavefront6targetE1EEEvT1_,comdat
	.protected	_ZN7rocprim17ROCPRIM_400000_NS6detail17trampoline_kernelINS0_14default_configENS1_20scan_config_selectorI3IntEEZZNS1_9scan_implILNS1_25lookback_scan_determinismE0ELb0ELb0ES3_N6thrust23THRUST_200600_302600_NS6detail15normal_iteratorINSA_10device_ptrIKS5_EEEENSC_INSD_IS5_EEEES5_NSA_4plusIvEES5_EEDaPvRmT3_T4_T5_mT6_P12ihipStream_tbENKUlT_T0_E_clISt17integral_constantIbLb1EESX_IbLb0EEEEDaST_SU_EUlST_E_NS1_11comp_targetILNS1_3genE2ELNS1_11target_archE906ELNS1_3gpuE6ELNS1_3repE0EEENS1_30default_config_static_selectorELNS0_4arch9wavefront6targetE1EEEvT1_ ; -- Begin function _ZN7rocprim17ROCPRIM_400000_NS6detail17trampoline_kernelINS0_14default_configENS1_20scan_config_selectorI3IntEEZZNS1_9scan_implILNS1_25lookback_scan_determinismE0ELb0ELb0ES3_N6thrust23THRUST_200600_302600_NS6detail15normal_iteratorINSA_10device_ptrIKS5_EEEENSC_INSD_IS5_EEEES5_NSA_4plusIvEES5_EEDaPvRmT3_T4_T5_mT6_P12ihipStream_tbENKUlT_T0_E_clISt17integral_constantIbLb1EESX_IbLb0EEEEDaST_SU_EUlST_E_NS1_11comp_targetILNS1_3genE2ELNS1_11target_archE906ELNS1_3gpuE6ELNS1_3repE0EEENS1_30default_config_static_selectorELNS0_4arch9wavefront6targetE1EEEvT1_
	.globl	_ZN7rocprim17ROCPRIM_400000_NS6detail17trampoline_kernelINS0_14default_configENS1_20scan_config_selectorI3IntEEZZNS1_9scan_implILNS1_25lookback_scan_determinismE0ELb0ELb0ES3_N6thrust23THRUST_200600_302600_NS6detail15normal_iteratorINSA_10device_ptrIKS5_EEEENSC_INSD_IS5_EEEES5_NSA_4plusIvEES5_EEDaPvRmT3_T4_T5_mT6_P12ihipStream_tbENKUlT_T0_E_clISt17integral_constantIbLb1EESX_IbLb0EEEEDaST_SU_EUlST_E_NS1_11comp_targetILNS1_3genE2ELNS1_11target_archE906ELNS1_3gpuE6ELNS1_3repE0EEENS1_30default_config_static_selectorELNS0_4arch9wavefront6targetE1EEEvT1_
	.p2align	8
	.type	_ZN7rocprim17ROCPRIM_400000_NS6detail17trampoline_kernelINS0_14default_configENS1_20scan_config_selectorI3IntEEZZNS1_9scan_implILNS1_25lookback_scan_determinismE0ELb0ELb0ES3_N6thrust23THRUST_200600_302600_NS6detail15normal_iteratorINSA_10device_ptrIKS5_EEEENSC_INSD_IS5_EEEES5_NSA_4plusIvEES5_EEDaPvRmT3_T4_T5_mT6_P12ihipStream_tbENKUlT_T0_E_clISt17integral_constantIbLb1EESX_IbLb0EEEEDaST_SU_EUlST_E_NS1_11comp_targetILNS1_3genE2ELNS1_11target_archE906ELNS1_3gpuE6ELNS1_3repE0EEENS1_30default_config_static_selectorELNS0_4arch9wavefront6targetE1EEEvT1_,@function
_ZN7rocprim17ROCPRIM_400000_NS6detail17trampoline_kernelINS0_14default_configENS1_20scan_config_selectorI3IntEEZZNS1_9scan_implILNS1_25lookback_scan_determinismE0ELb0ELb0ES3_N6thrust23THRUST_200600_302600_NS6detail15normal_iteratorINSA_10device_ptrIKS5_EEEENSC_INSD_IS5_EEEES5_NSA_4plusIvEES5_EEDaPvRmT3_T4_T5_mT6_P12ihipStream_tbENKUlT_T0_E_clISt17integral_constantIbLb1EESX_IbLb0EEEEDaST_SU_EUlST_E_NS1_11comp_targetILNS1_3genE2ELNS1_11target_archE906ELNS1_3gpuE6ELNS1_3repE0EEENS1_30default_config_static_selectorELNS0_4arch9wavefront6targetE1EEEvT1_: ; @_ZN7rocprim17ROCPRIM_400000_NS6detail17trampoline_kernelINS0_14default_configENS1_20scan_config_selectorI3IntEEZZNS1_9scan_implILNS1_25lookback_scan_determinismE0ELb0ELb0ES3_N6thrust23THRUST_200600_302600_NS6detail15normal_iteratorINSA_10device_ptrIKS5_EEEENSC_INSD_IS5_EEEES5_NSA_4plusIvEES5_EEDaPvRmT3_T4_T5_mT6_P12ihipStream_tbENKUlT_T0_E_clISt17integral_constantIbLb1EESX_IbLb0EEEEDaST_SU_EUlST_E_NS1_11comp_targetILNS1_3genE2ELNS1_11target_archE906ELNS1_3gpuE6ELNS1_3repE0EEENS1_30default_config_static_selectorELNS0_4arch9wavefront6targetE1EEEvT1_
; %bb.0:
	.section	.rodata,"a",@progbits
	.p2align	6, 0x0
	.amdhsa_kernel _ZN7rocprim17ROCPRIM_400000_NS6detail17trampoline_kernelINS0_14default_configENS1_20scan_config_selectorI3IntEEZZNS1_9scan_implILNS1_25lookback_scan_determinismE0ELb0ELb0ES3_N6thrust23THRUST_200600_302600_NS6detail15normal_iteratorINSA_10device_ptrIKS5_EEEENSC_INSD_IS5_EEEES5_NSA_4plusIvEES5_EEDaPvRmT3_T4_T5_mT6_P12ihipStream_tbENKUlT_T0_E_clISt17integral_constantIbLb1EESX_IbLb0EEEEDaST_SU_EUlST_E_NS1_11comp_targetILNS1_3genE2ELNS1_11target_archE906ELNS1_3gpuE6ELNS1_3repE0EEENS1_30default_config_static_selectorELNS0_4arch9wavefront6targetE1EEEvT1_
		.amdhsa_group_segment_fixed_size 0
		.amdhsa_private_segment_fixed_size 0
		.amdhsa_kernarg_size 96
		.amdhsa_user_sgpr_count 6
		.amdhsa_user_sgpr_private_segment_buffer 1
		.amdhsa_user_sgpr_dispatch_ptr 0
		.amdhsa_user_sgpr_queue_ptr 0
		.amdhsa_user_sgpr_kernarg_segment_ptr 1
		.amdhsa_user_sgpr_dispatch_id 0
		.amdhsa_user_sgpr_flat_scratch_init 0
		.amdhsa_user_sgpr_kernarg_preload_length 0
		.amdhsa_user_sgpr_kernarg_preload_offset 0
		.amdhsa_user_sgpr_private_segment_size 0
		.amdhsa_uses_dynamic_stack 0
		.amdhsa_system_sgpr_private_segment_wavefront_offset 0
		.amdhsa_system_sgpr_workgroup_id_x 1
		.amdhsa_system_sgpr_workgroup_id_y 0
		.amdhsa_system_sgpr_workgroup_id_z 0
		.amdhsa_system_sgpr_workgroup_info 0
		.amdhsa_system_vgpr_workitem_id 0
		.amdhsa_next_free_vgpr 1
		.amdhsa_next_free_sgpr 0
		.amdhsa_accum_offset 4
		.amdhsa_reserve_vcc 0
		.amdhsa_reserve_flat_scratch 0
		.amdhsa_float_round_mode_32 0
		.amdhsa_float_round_mode_16_64 0
		.amdhsa_float_denorm_mode_32 3
		.amdhsa_float_denorm_mode_16_64 3
		.amdhsa_dx10_clamp 1
		.amdhsa_ieee_mode 1
		.amdhsa_fp16_overflow 0
		.amdhsa_tg_split 0
		.amdhsa_exception_fp_ieee_invalid_op 0
		.amdhsa_exception_fp_denorm_src 0
		.amdhsa_exception_fp_ieee_div_zero 0
		.amdhsa_exception_fp_ieee_overflow 0
		.amdhsa_exception_fp_ieee_underflow 0
		.amdhsa_exception_fp_ieee_inexact 0
		.amdhsa_exception_int_div_zero 0
	.end_amdhsa_kernel
	.section	.text._ZN7rocprim17ROCPRIM_400000_NS6detail17trampoline_kernelINS0_14default_configENS1_20scan_config_selectorI3IntEEZZNS1_9scan_implILNS1_25lookback_scan_determinismE0ELb0ELb0ES3_N6thrust23THRUST_200600_302600_NS6detail15normal_iteratorINSA_10device_ptrIKS5_EEEENSC_INSD_IS5_EEEES5_NSA_4plusIvEES5_EEDaPvRmT3_T4_T5_mT6_P12ihipStream_tbENKUlT_T0_E_clISt17integral_constantIbLb1EESX_IbLb0EEEEDaST_SU_EUlST_E_NS1_11comp_targetILNS1_3genE2ELNS1_11target_archE906ELNS1_3gpuE6ELNS1_3repE0EEENS1_30default_config_static_selectorELNS0_4arch9wavefront6targetE1EEEvT1_,"axG",@progbits,_ZN7rocprim17ROCPRIM_400000_NS6detail17trampoline_kernelINS0_14default_configENS1_20scan_config_selectorI3IntEEZZNS1_9scan_implILNS1_25lookback_scan_determinismE0ELb0ELb0ES3_N6thrust23THRUST_200600_302600_NS6detail15normal_iteratorINSA_10device_ptrIKS5_EEEENSC_INSD_IS5_EEEES5_NSA_4plusIvEES5_EEDaPvRmT3_T4_T5_mT6_P12ihipStream_tbENKUlT_T0_E_clISt17integral_constantIbLb1EESX_IbLb0EEEEDaST_SU_EUlST_E_NS1_11comp_targetILNS1_3genE2ELNS1_11target_archE906ELNS1_3gpuE6ELNS1_3repE0EEENS1_30default_config_static_selectorELNS0_4arch9wavefront6targetE1EEEvT1_,comdat
.Lfunc_end6947:
	.size	_ZN7rocprim17ROCPRIM_400000_NS6detail17trampoline_kernelINS0_14default_configENS1_20scan_config_selectorI3IntEEZZNS1_9scan_implILNS1_25lookback_scan_determinismE0ELb0ELb0ES3_N6thrust23THRUST_200600_302600_NS6detail15normal_iteratorINSA_10device_ptrIKS5_EEEENSC_INSD_IS5_EEEES5_NSA_4plusIvEES5_EEDaPvRmT3_T4_T5_mT6_P12ihipStream_tbENKUlT_T0_E_clISt17integral_constantIbLb1EESX_IbLb0EEEEDaST_SU_EUlST_E_NS1_11comp_targetILNS1_3genE2ELNS1_11target_archE906ELNS1_3gpuE6ELNS1_3repE0EEENS1_30default_config_static_selectorELNS0_4arch9wavefront6targetE1EEEvT1_, .Lfunc_end6947-_ZN7rocprim17ROCPRIM_400000_NS6detail17trampoline_kernelINS0_14default_configENS1_20scan_config_selectorI3IntEEZZNS1_9scan_implILNS1_25lookback_scan_determinismE0ELb0ELb0ES3_N6thrust23THRUST_200600_302600_NS6detail15normal_iteratorINSA_10device_ptrIKS5_EEEENSC_INSD_IS5_EEEES5_NSA_4plusIvEES5_EEDaPvRmT3_T4_T5_mT6_P12ihipStream_tbENKUlT_T0_E_clISt17integral_constantIbLb1EESX_IbLb0EEEEDaST_SU_EUlST_E_NS1_11comp_targetILNS1_3genE2ELNS1_11target_archE906ELNS1_3gpuE6ELNS1_3repE0EEENS1_30default_config_static_selectorELNS0_4arch9wavefront6targetE1EEEvT1_
                                        ; -- End function
	.section	.AMDGPU.csdata,"",@progbits
; Kernel info:
; codeLenInByte = 0
; NumSgprs: 4
; NumVgprs: 0
; NumAgprs: 0
; TotalNumVgprs: 0
; ScratchSize: 0
; MemoryBound: 0
; FloatMode: 240
; IeeeMode: 1
; LDSByteSize: 0 bytes/workgroup (compile time only)
; SGPRBlocks: 0
; VGPRBlocks: 0
; NumSGPRsForWavesPerEU: 4
; NumVGPRsForWavesPerEU: 1
; AccumOffset: 4
; Occupancy: 8
; WaveLimiterHint : 0
; COMPUTE_PGM_RSRC2:SCRATCH_EN: 0
; COMPUTE_PGM_RSRC2:USER_SGPR: 6
; COMPUTE_PGM_RSRC2:TRAP_HANDLER: 0
; COMPUTE_PGM_RSRC2:TGID_X_EN: 1
; COMPUTE_PGM_RSRC2:TGID_Y_EN: 0
; COMPUTE_PGM_RSRC2:TGID_Z_EN: 0
; COMPUTE_PGM_RSRC2:TIDIG_COMP_CNT: 0
; COMPUTE_PGM_RSRC3_GFX90A:ACCUM_OFFSET: 0
; COMPUTE_PGM_RSRC3_GFX90A:TG_SPLIT: 0
	.section	.text._ZN7rocprim17ROCPRIM_400000_NS6detail17trampoline_kernelINS0_14default_configENS1_20scan_config_selectorI3IntEEZZNS1_9scan_implILNS1_25lookback_scan_determinismE0ELb0ELb0ES3_N6thrust23THRUST_200600_302600_NS6detail15normal_iteratorINSA_10device_ptrIKS5_EEEENSC_INSD_IS5_EEEES5_NSA_4plusIvEES5_EEDaPvRmT3_T4_T5_mT6_P12ihipStream_tbENKUlT_T0_E_clISt17integral_constantIbLb1EESX_IbLb0EEEEDaST_SU_EUlST_E_NS1_11comp_targetILNS1_3genE10ELNS1_11target_archE1201ELNS1_3gpuE5ELNS1_3repE0EEENS1_30default_config_static_selectorELNS0_4arch9wavefront6targetE1EEEvT1_,"axG",@progbits,_ZN7rocprim17ROCPRIM_400000_NS6detail17trampoline_kernelINS0_14default_configENS1_20scan_config_selectorI3IntEEZZNS1_9scan_implILNS1_25lookback_scan_determinismE0ELb0ELb0ES3_N6thrust23THRUST_200600_302600_NS6detail15normal_iteratorINSA_10device_ptrIKS5_EEEENSC_INSD_IS5_EEEES5_NSA_4plusIvEES5_EEDaPvRmT3_T4_T5_mT6_P12ihipStream_tbENKUlT_T0_E_clISt17integral_constantIbLb1EESX_IbLb0EEEEDaST_SU_EUlST_E_NS1_11comp_targetILNS1_3genE10ELNS1_11target_archE1201ELNS1_3gpuE5ELNS1_3repE0EEENS1_30default_config_static_selectorELNS0_4arch9wavefront6targetE1EEEvT1_,comdat
	.protected	_ZN7rocprim17ROCPRIM_400000_NS6detail17trampoline_kernelINS0_14default_configENS1_20scan_config_selectorI3IntEEZZNS1_9scan_implILNS1_25lookback_scan_determinismE0ELb0ELb0ES3_N6thrust23THRUST_200600_302600_NS6detail15normal_iteratorINSA_10device_ptrIKS5_EEEENSC_INSD_IS5_EEEES5_NSA_4plusIvEES5_EEDaPvRmT3_T4_T5_mT6_P12ihipStream_tbENKUlT_T0_E_clISt17integral_constantIbLb1EESX_IbLb0EEEEDaST_SU_EUlST_E_NS1_11comp_targetILNS1_3genE10ELNS1_11target_archE1201ELNS1_3gpuE5ELNS1_3repE0EEENS1_30default_config_static_selectorELNS0_4arch9wavefront6targetE1EEEvT1_ ; -- Begin function _ZN7rocprim17ROCPRIM_400000_NS6detail17trampoline_kernelINS0_14default_configENS1_20scan_config_selectorI3IntEEZZNS1_9scan_implILNS1_25lookback_scan_determinismE0ELb0ELb0ES3_N6thrust23THRUST_200600_302600_NS6detail15normal_iteratorINSA_10device_ptrIKS5_EEEENSC_INSD_IS5_EEEES5_NSA_4plusIvEES5_EEDaPvRmT3_T4_T5_mT6_P12ihipStream_tbENKUlT_T0_E_clISt17integral_constantIbLb1EESX_IbLb0EEEEDaST_SU_EUlST_E_NS1_11comp_targetILNS1_3genE10ELNS1_11target_archE1201ELNS1_3gpuE5ELNS1_3repE0EEENS1_30default_config_static_selectorELNS0_4arch9wavefront6targetE1EEEvT1_
	.globl	_ZN7rocprim17ROCPRIM_400000_NS6detail17trampoline_kernelINS0_14default_configENS1_20scan_config_selectorI3IntEEZZNS1_9scan_implILNS1_25lookback_scan_determinismE0ELb0ELb0ES3_N6thrust23THRUST_200600_302600_NS6detail15normal_iteratorINSA_10device_ptrIKS5_EEEENSC_INSD_IS5_EEEES5_NSA_4plusIvEES5_EEDaPvRmT3_T4_T5_mT6_P12ihipStream_tbENKUlT_T0_E_clISt17integral_constantIbLb1EESX_IbLb0EEEEDaST_SU_EUlST_E_NS1_11comp_targetILNS1_3genE10ELNS1_11target_archE1201ELNS1_3gpuE5ELNS1_3repE0EEENS1_30default_config_static_selectorELNS0_4arch9wavefront6targetE1EEEvT1_
	.p2align	8
	.type	_ZN7rocprim17ROCPRIM_400000_NS6detail17trampoline_kernelINS0_14default_configENS1_20scan_config_selectorI3IntEEZZNS1_9scan_implILNS1_25lookback_scan_determinismE0ELb0ELb0ES3_N6thrust23THRUST_200600_302600_NS6detail15normal_iteratorINSA_10device_ptrIKS5_EEEENSC_INSD_IS5_EEEES5_NSA_4plusIvEES5_EEDaPvRmT3_T4_T5_mT6_P12ihipStream_tbENKUlT_T0_E_clISt17integral_constantIbLb1EESX_IbLb0EEEEDaST_SU_EUlST_E_NS1_11comp_targetILNS1_3genE10ELNS1_11target_archE1201ELNS1_3gpuE5ELNS1_3repE0EEENS1_30default_config_static_selectorELNS0_4arch9wavefront6targetE1EEEvT1_,@function
_ZN7rocprim17ROCPRIM_400000_NS6detail17trampoline_kernelINS0_14default_configENS1_20scan_config_selectorI3IntEEZZNS1_9scan_implILNS1_25lookback_scan_determinismE0ELb0ELb0ES3_N6thrust23THRUST_200600_302600_NS6detail15normal_iteratorINSA_10device_ptrIKS5_EEEENSC_INSD_IS5_EEEES5_NSA_4plusIvEES5_EEDaPvRmT3_T4_T5_mT6_P12ihipStream_tbENKUlT_T0_E_clISt17integral_constantIbLb1EESX_IbLb0EEEEDaST_SU_EUlST_E_NS1_11comp_targetILNS1_3genE10ELNS1_11target_archE1201ELNS1_3gpuE5ELNS1_3repE0EEENS1_30default_config_static_selectorELNS0_4arch9wavefront6targetE1EEEvT1_: ; @_ZN7rocprim17ROCPRIM_400000_NS6detail17trampoline_kernelINS0_14default_configENS1_20scan_config_selectorI3IntEEZZNS1_9scan_implILNS1_25lookback_scan_determinismE0ELb0ELb0ES3_N6thrust23THRUST_200600_302600_NS6detail15normal_iteratorINSA_10device_ptrIKS5_EEEENSC_INSD_IS5_EEEES5_NSA_4plusIvEES5_EEDaPvRmT3_T4_T5_mT6_P12ihipStream_tbENKUlT_T0_E_clISt17integral_constantIbLb1EESX_IbLb0EEEEDaST_SU_EUlST_E_NS1_11comp_targetILNS1_3genE10ELNS1_11target_archE1201ELNS1_3gpuE5ELNS1_3repE0EEENS1_30default_config_static_selectorELNS0_4arch9wavefront6targetE1EEEvT1_
; %bb.0:
	.section	.rodata,"a",@progbits
	.p2align	6, 0x0
	.amdhsa_kernel _ZN7rocprim17ROCPRIM_400000_NS6detail17trampoline_kernelINS0_14default_configENS1_20scan_config_selectorI3IntEEZZNS1_9scan_implILNS1_25lookback_scan_determinismE0ELb0ELb0ES3_N6thrust23THRUST_200600_302600_NS6detail15normal_iteratorINSA_10device_ptrIKS5_EEEENSC_INSD_IS5_EEEES5_NSA_4plusIvEES5_EEDaPvRmT3_T4_T5_mT6_P12ihipStream_tbENKUlT_T0_E_clISt17integral_constantIbLb1EESX_IbLb0EEEEDaST_SU_EUlST_E_NS1_11comp_targetILNS1_3genE10ELNS1_11target_archE1201ELNS1_3gpuE5ELNS1_3repE0EEENS1_30default_config_static_selectorELNS0_4arch9wavefront6targetE1EEEvT1_
		.amdhsa_group_segment_fixed_size 0
		.amdhsa_private_segment_fixed_size 0
		.amdhsa_kernarg_size 96
		.amdhsa_user_sgpr_count 6
		.amdhsa_user_sgpr_private_segment_buffer 1
		.amdhsa_user_sgpr_dispatch_ptr 0
		.amdhsa_user_sgpr_queue_ptr 0
		.amdhsa_user_sgpr_kernarg_segment_ptr 1
		.amdhsa_user_sgpr_dispatch_id 0
		.amdhsa_user_sgpr_flat_scratch_init 0
		.amdhsa_user_sgpr_kernarg_preload_length 0
		.amdhsa_user_sgpr_kernarg_preload_offset 0
		.amdhsa_user_sgpr_private_segment_size 0
		.amdhsa_uses_dynamic_stack 0
		.amdhsa_system_sgpr_private_segment_wavefront_offset 0
		.amdhsa_system_sgpr_workgroup_id_x 1
		.amdhsa_system_sgpr_workgroup_id_y 0
		.amdhsa_system_sgpr_workgroup_id_z 0
		.amdhsa_system_sgpr_workgroup_info 0
		.amdhsa_system_vgpr_workitem_id 0
		.amdhsa_next_free_vgpr 1
		.amdhsa_next_free_sgpr 0
		.amdhsa_accum_offset 4
		.amdhsa_reserve_vcc 0
		.amdhsa_reserve_flat_scratch 0
		.amdhsa_float_round_mode_32 0
		.amdhsa_float_round_mode_16_64 0
		.amdhsa_float_denorm_mode_32 3
		.amdhsa_float_denorm_mode_16_64 3
		.amdhsa_dx10_clamp 1
		.amdhsa_ieee_mode 1
		.amdhsa_fp16_overflow 0
		.amdhsa_tg_split 0
		.amdhsa_exception_fp_ieee_invalid_op 0
		.amdhsa_exception_fp_denorm_src 0
		.amdhsa_exception_fp_ieee_div_zero 0
		.amdhsa_exception_fp_ieee_overflow 0
		.amdhsa_exception_fp_ieee_underflow 0
		.amdhsa_exception_fp_ieee_inexact 0
		.amdhsa_exception_int_div_zero 0
	.end_amdhsa_kernel
	.section	.text._ZN7rocprim17ROCPRIM_400000_NS6detail17trampoline_kernelINS0_14default_configENS1_20scan_config_selectorI3IntEEZZNS1_9scan_implILNS1_25lookback_scan_determinismE0ELb0ELb0ES3_N6thrust23THRUST_200600_302600_NS6detail15normal_iteratorINSA_10device_ptrIKS5_EEEENSC_INSD_IS5_EEEES5_NSA_4plusIvEES5_EEDaPvRmT3_T4_T5_mT6_P12ihipStream_tbENKUlT_T0_E_clISt17integral_constantIbLb1EESX_IbLb0EEEEDaST_SU_EUlST_E_NS1_11comp_targetILNS1_3genE10ELNS1_11target_archE1201ELNS1_3gpuE5ELNS1_3repE0EEENS1_30default_config_static_selectorELNS0_4arch9wavefront6targetE1EEEvT1_,"axG",@progbits,_ZN7rocprim17ROCPRIM_400000_NS6detail17trampoline_kernelINS0_14default_configENS1_20scan_config_selectorI3IntEEZZNS1_9scan_implILNS1_25lookback_scan_determinismE0ELb0ELb0ES3_N6thrust23THRUST_200600_302600_NS6detail15normal_iteratorINSA_10device_ptrIKS5_EEEENSC_INSD_IS5_EEEES5_NSA_4plusIvEES5_EEDaPvRmT3_T4_T5_mT6_P12ihipStream_tbENKUlT_T0_E_clISt17integral_constantIbLb1EESX_IbLb0EEEEDaST_SU_EUlST_E_NS1_11comp_targetILNS1_3genE10ELNS1_11target_archE1201ELNS1_3gpuE5ELNS1_3repE0EEENS1_30default_config_static_selectorELNS0_4arch9wavefront6targetE1EEEvT1_,comdat
.Lfunc_end6948:
	.size	_ZN7rocprim17ROCPRIM_400000_NS6detail17trampoline_kernelINS0_14default_configENS1_20scan_config_selectorI3IntEEZZNS1_9scan_implILNS1_25lookback_scan_determinismE0ELb0ELb0ES3_N6thrust23THRUST_200600_302600_NS6detail15normal_iteratorINSA_10device_ptrIKS5_EEEENSC_INSD_IS5_EEEES5_NSA_4plusIvEES5_EEDaPvRmT3_T4_T5_mT6_P12ihipStream_tbENKUlT_T0_E_clISt17integral_constantIbLb1EESX_IbLb0EEEEDaST_SU_EUlST_E_NS1_11comp_targetILNS1_3genE10ELNS1_11target_archE1201ELNS1_3gpuE5ELNS1_3repE0EEENS1_30default_config_static_selectorELNS0_4arch9wavefront6targetE1EEEvT1_, .Lfunc_end6948-_ZN7rocprim17ROCPRIM_400000_NS6detail17trampoline_kernelINS0_14default_configENS1_20scan_config_selectorI3IntEEZZNS1_9scan_implILNS1_25lookback_scan_determinismE0ELb0ELb0ES3_N6thrust23THRUST_200600_302600_NS6detail15normal_iteratorINSA_10device_ptrIKS5_EEEENSC_INSD_IS5_EEEES5_NSA_4plusIvEES5_EEDaPvRmT3_T4_T5_mT6_P12ihipStream_tbENKUlT_T0_E_clISt17integral_constantIbLb1EESX_IbLb0EEEEDaST_SU_EUlST_E_NS1_11comp_targetILNS1_3genE10ELNS1_11target_archE1201ELNS1_3gpuE5ELNS1_3repE0EEENS1_30default_config_static_selectorELNS0_4arch9wavefront6targetE1EEEvT1_
                                        ; -- End function
	.section	.AMDGPU.csdata,"",@progbits
; Kernel info:
; codeLenInByte = 0
; NumSgprs: 4
; NumVgprs: 0
; NumAgprs: 0
; TotalNumVgprs: 0
; ScratchSize: 0
; MemoryBound: 0
; FloatMode: 240
; IeeeMode: 1
; LDSByteSize: 0 bytes/workgroup (compile time only)
; SGPRBlocks: 0
; VGPRBlocks: 0
; NumSGPRsForWavesPerEU: 4
; NumVGPRsForWavesPerEU: 1
; AccumOffset: 4
; Occupancy: 8
; WaveLimiterHint : 0
; COMPUTE_PGM_RSRC2:SCRATCH_EN: 0
; COMPUTE_PGM_RSRC2:USER_SGPR: 6
; COMPUTE_PGM_RSRC2:TRAP_HANDLER: 0
; COMPUTE_PGM_RSRC2:TGID_X_EN: 1
; COMPUTE_PGM_RSRC2:TGID_Y_EN: 0
; COMPUTE_PGM_RSRC2:TGID_Z_EN: 0
; COMPUTE_PGM_RSRC2:TIDIG_COMP_CNT: 0
; COMPUTE_PGM_RSRC3_GFX90A:ACCUM_OFFSET: 0
; COMPUTE_PGM_RSRC3_GFX90A:TG_SPLIT: 0
	.section	.text._ZN7rocprim17ROCPRIM_400000_NS6detail17trampoline_kernelINS0_14default_configENS1_20scan_config_selectorI3IntEEZZNS1_9scan_implILNS1_25lookback_scan_determinismE0ELb0ELb0ES3_N6thrust23THRUST_200600_302600_NS6detail15normal_iteratorINSA_10device_ptrIKS5_EEEENSC_INSD_IS5_EEEES5_NSA_4plusIvEES5_EEDaPvRmT3_T4_T5_mT6_P12ihipStream_tbENKUlT_T0_E_clISt17integral_constantIbLb1EESX_IbLb0EEEEDaST_SU_EUlST_E_NS1_11comp_targetILNS1_3genE10ELNS1_11target_archE1200ELNS1_3gpuE4ELNS1_3repE0EEENS1_30default_config_static_selectorELNS0_4arch9wavefront6targetE1EEEvT1_,"axG",@progbits,_ZN7rocprim17ROCPRIM_400000_NS6detail17trampoline_kernelINS0_14default_configENS1_20scan_config_selectorI3IntEEZZNS1_9scan_implILNS1_25lookback_scan_determinismE0ELb0ELb0ES3_N6thrust23THRUST_200600_302600_NS6detail15normal_iteratorINSA_10device_ptrIKS5_EEEENSC_INSD_IS5_EEEES5_NSA_4plusIvEES5_EEDaPvRmT3_T4_T5_mT6_P12ihipStream_tbENKUlT_T0_E_clISt17integral_constantIbLb1EESX_IbLb0EEEEDaST_SU_EUlST_E_NS1_11comp_targetILNS1_3genE10ELNS1_11target_archE1200ELNS1_3gpuE4ELNS1_3repE0EEENS1_30default_config_static_selectorELNS0_4arch9wavefront6targetE1EEEvT1_,comdat
	.protected	_ZN7rocprim17ROCPRIM_400000_NS6detail17trampoline_kernelINS0_14default_configENS1_20scan_config_selectorI3IntEEZZNS1_9scan_implILNS1_25lookback_scan_determinismE0ELb0ELb0ES3_N6thrust23THRUST_200600_302600_NS6detail15normal_iteratorINSA_10device_ptrIKS5_EEEENSC_INSD_IS5_EEEES5_NSA_4plusIvEES5_EEDaPvRmT3_T4_T5_mT6_P12ihipStream_tbENKUlT_T0_E_clISt17integral_constantIbLb1EESX_IbLb0EEEEDaST_SU_EUlST_E_NS1_11comp_targetILNS1_3genE10ELNS1_11target_archE1200ELNS1_3gpuE4ELNS1_3repE0EEENS1_30default_config_static_selectorELNS0_4arch9wavefront6targetE1EEEvT1_ ; -- Begin function _ZN7rocprim17ROCPRIM_400000_NS6detail17trampoline_kernelINS0_14default_configENS1_20scan_config_selectorI3IntEEZZNS1_9scan_implILNS1_25lookback_scan_determinismE0ELb0ELb0ES3_N6thrust23THRUST_200600_302600_NS6detail15normal_iteratorINSA_10device_ptrIKS5_EEEENSC_INSD_IS5_EEEES5_NSA_4plusIvEES5_EEDaPvRmT3_T4_T5_mT6_P12ihipStream_tbENKUlT_T0_E_clISt17integral_constantIbLb1EESX_IbLb0EEEEDaST_SU_EUlST_E_NS1_11comp_targetILNS1_3genE10ELNS1_11target_archE1200ELNS1_3gpuE4ELNS1_3repE0EEENS1_30default_config_static_selectorELNS0_4arch9wavefront6targetE1EEEvT1_
	.globl	_ZN7rocprim17ROCPRIM_400000_NS6detail17trampoline_kernelINS0_14default_configENS1_20scan_config_selectorI3IntEEZZNS1_9scan_implILNS1_25lookback_scan_determinismE0ELb0ELb0ES3_N6thrust23THRUST_200600_302600_NS6detail15normal_iteratorINSA_10device_ptrIKS5_EEEENSC_INSD_IS5_EEEES5_NSA_4plusIvEES5_EEDaPvRmT3_T4_T5_mT6_P12ihipStream_tbENKUlT_T0_E_clISt17integral_constantIbLb1EESX_IbLb0EEEEDaST_SU_EUlST_E_NS1_11comp_targetILNS1_3genE10ELNS1_11target_archE1200ELNS1_3gpuE4ELNS1_3repE0EEENS1_30default_config_static_selectorELNS0_4arch9wavefront6targetE1EEEvT1_
	.p2align	8
	.type	_ZN7rocprim17ROCPRIM_400000_NS6detail17trampoline_kernelINS0_14default_configENS1_20scan_config_selectorI3IntEEZZNS1_9scan_implILNS1_25lookback_scan_determinismE0ELb0ELb0ES3_N6thrust23THRUST_200600_302600_NS6detail15normal_iteratorINSA_10device_ptrIKS5_EEEENSC_INSD_IS5_EEEES5_NSA_4plusIvEES5_EEDaPvRmT3_T4_T5_mT6_P12ihipStream_tbENKUlT_T0_E_clISt17integral_constantIbLb1EESX_IbLb0EEEEDaST_SU_EUlST_E_NS1_11comp_targetILNS1_3genE10ELNS1_11target_archE1200ELNS1_3gpuE4ELNS1_3repE0EEENS1_30default_config_static_selectorELNS0_4arch9wavefront6targetE1EEEvT1_,@function
_ZN7rocprim17ROCPRIM_400000_NS6detail17trampoline_kernelINS0_14default_configENS1_20scan_config_selectorI3IntEEZZNS1_9scan_implILNS1_25lookback_scan_determinismE0ELb0ELb0ES3_N6thrust23THRUST_200600_302600_NS6detail15normal_iteratorINSA_10device_ptrIKS5_EEEENSC_INSD_IS5_EEEES5_NSA_4plusIvEES5_EEDaPvRmT3_T4_T5_mT6_P12ihipStream_tbENKUlT_T0_E_clISt17integral_constantIbLb1EESX_IbLb0EEEEDaST_SU_EUlST_E_NS1_11comp_targetILNS1_3genE10ELNS1_11target_archE1200ELNS1_3gpuE4ELNS1_3repE0EEENS1_30default_config_static_selectorELNS0_4arch9wavefront6targetE1EEEvT1_: ; @_ZN7rocprim17ROCPRIM_400000_NS6detail17trampoline_kernelINS0_14default_configENS1_20scan_config_selectorI3IntEEZZNS1_9scan_implILNS1_25lookback_scan_determinismE0ELb0ELb0ES3_N6thrust23THRUST_200600_302600_NS6detail15normal_iteratorINSA_10device_ptrIKS5_EEEENSC_INSD_IS5_EEEES5_NSA_4plusIvEES5_EEDaPvRmT3_T4_T5_mT6_P12ihipStream_tbENKUlT_T0_E_clISt17integral_constantIbLb1EESX_IbLb0EEEEDaST_SU_EUlST_E_NS1_11comp_targetILNS1_3genE10ELNS1_11target_archE1200ELNS1_3gpuE4ELNS1_3repE0EEENS1_30default_config_static_selectorELNS0_4arch9wavefront6targetE1EEEvT1_
; %bb.0:
	.section	.rodata,"a",@progbits
	.p2align	6, 0x0
	.amdhsa_kernel _ZN7rocprim17ROCPRIM_400000_NS6detail17trampoline_kernelINS0_14default_configENS1_20scan_config_selectorI3IntEEZZNS1_9scan_implILNS1_25lookback_scan_determinismE0ELb0ELb0ES3_N6thrust23THRUST_200600_302600_NS6detail15normal_iteratorINSA_10device_ptrIKS5_EEEENSC_INSD_IS5_EEEES5_NSA_4plusIvEES5_EEDaPvRmT3_T4_T5_mT6_P12ihipStream_tbENKUlT_T0_E_clISt17integral_constantIbLb1EESX_IbLb0EEEEDaST_SU_EUlST_E_NS1_11comp_targetILNS1_3genE10ELNS1_11target_archE1200ELNS1_3gpuE4ELNS1_3repE0EEENS1_30default_config_static_selectorELNS0_4arch9wavefront6targetE1EEEvT1_
		.amdhsa_group_segment_fixed_size 0
		.amdhsa_private_segment_fixed_size 0
		.amdhsa_kernarg_size 96
		.amdhsa_user_sgpr_count 6
		.amdhsa_user_sgpr_private_segment_buffer 1
		.amdhsa_user_sgpr_dispatch_ptr 0
		.amdhsa_user_sgpr_queue_ptr 0
		.amdhsa_user_sgpr_kernarg_segment_ptr 1
		.amdhsa_user_sgpr_dispatch_id 0
		.amdhsa_user_sgpr_flat_scratch_init 0
		.amdhsa_user_sgpr_kernarg_preload_length 0
		.amdhsa_user_sgpr_kernarg_preload_offset 0
		.amdhsa_user_sgpr_private_segment_size 0
		.amdhsa_uses_dynamic_stack 0
		.amdhsa_system_sgpr_private_segment_wavefront_offset 0
		.amdhsa_system_sgpr_workgroup_id_x 1
		.amdhsa_system_sgpr_workgroup_id_y 0
		.amdhsa_system_sgpr_workgroup_id_z 0
		.amdhsa_system_sgpr_workgroup_info 0
		.amdhsa_system_vgpr_workitem_id 0
		.amdhsa_next_free_vgpr 1
		.amdhsa_next_free_sgpr 0
		.amdhsa_accum_offset 4
		.amdhsa_reserve_vcc 0
		.amdhsa_reserve_flat_scratch 0
		.amdhsa_float_round_mode_32 0
		.amdhsa_float_round_mode_16_64 0
		.amdhsa_float_denorm_mode_32 3
		.amdhsa_float_denorm_mode_16_64 3
		.amdhsa_dx10_clamp 1
		.amdhsa_ieee_mode 1
		.amdhsa_fp16_overflow 0
		.amdhsa_tg_split 0
		.amdhsa_exception_fp_ieee_invalid_op 0
		.amdhsa_exception_fp_denorm_src 0
		.amdhsa_exception_fp_ieee_div_zero 0
		.amdhsa_exception_fp_ieee_overflow 0
		.amdhsa_exception_fp_ieee_underflow 0
		.amdhsa_exception_fp_ieee_inexact 0
		.amdhsa_exception_int_div_zero 0
	.end_amdhsa_kernel
	.section	.text._ZN7rocprim17ROCPRIM_400000_NS6detail17trampoline_kernelINS0_14default_configENS1_20scan_config_selectorI3IntEEZZNS1_9scan_implILNS1_25lookback_scan_determinismE0ELb0ELb0ES3_N6thrust23THRUST_200600_302600_NS6detail15normal_iteratorINSA_10device_ptrIKS5_EEEENSC_INSD_IS5_EEEES5_NSA_4plusIvEES5_EEDaPvRmT3_T4_T5_mT6_P12ihipStream_tbENKUlT_T0_E_clISt17integral_constantIbLb1EESX_IbLb0EEEEDaST_SU_EUlST_E_NS1_11comp_targetILNS1_3genE10ELNS1_11target_archE1200ELNS1_3gpuE4ELNS1_3repE0EEENS1_30default_config_static_selectorELNS0_4arch9wavefront6targetE1EEEvT1_,"axG",@progbits,_ZN7rocprim17ROCPRIM_400000_NS6detail17trampoline_kernelINS0_14default_configENS1_20scan_config_selectorI3IntEEZZNS1_9scan_implILNS1_25lookback_scan_determinismE0ELb0ELb0ES3_N6thrust23THRUST_200600_302600_NS6detail15normal_iteratorINSA_10device_ptrIKS5_EEEENSC_INSD_IS5_EEEES5_NSA_4plusIvEES5_EEDaPvRmT3_T4_T5_mT6_P12ihipStream_tbENKUlT_T0_E_clISt17integral_constantIbLb1EESX_IbLb0EEEEDaST_SU_EUlST_E_NS1_11comp_targetILNS1_3genE10ELNS1_11target_archE1200ELNS1_3gpuE4ELNS1_3repE0EEENS1_30default_config_static_selectorELNS0_4arch9wavefront6targetE1EEEvT1_,comdat
.Lfunc_end6949:
	.size	_ZN7rocprim17ROCPRIM_400000_NS6detail17trampoline_kernelINS0_14default_configENS1_20scan_config_selectorI3IntEEZZNS1_9scan_implILNS1_25lookback_scan_determinismE0ELb0ELb0ES3_N6thrust23THRUST_200600_302600_NS6detail15normal_iteratorINSA_10device_ptrIKS5_EEEENSC_INSD_IS5_EEEES5_NSA_4plusIvEES5_EEDaPvRmT3_T4_T5_mT6_P12ihipStream_tbENKUlT_T0_E_clISt17integral_constantIbLb1EESX_IbLb0EEEEDaST_SU_EUlST_E_NS1_11comp_targetILNS1_3genE10ELNS1_11target_archE1200ELNS1_3gpuE4ELNS1_3repE0EEENS1_30default_config_static_selectorELNS0_4arch9wavefront6targetE1EEEvT1_, .Lfunc_end6949-_ZN7rocprim17ROCPRIM_400000_NS6detail17trampoline_kernelINS0_14default_configENS1_20scan_config_selectorI3IntEEZZNS1_9scan_implILNS1_25lookback_scan_determinismE0ELb0ELb0ES3_N6thrust23THRUST_200600_302600_NS6detail15normal_iteratorINSA_10device_ptrIKS5_EEEENSC_INSD_IS5_EEEES5_NSA_4plusIvEES5_EEDaPvRmT3_T4_T5_mT6_P12ihipStream_tbENKUlT_T0_E_clISt17integral_constantIbLb1EESX_IbLb0EEEEDaST_SU_EUlST_E_NS1_11comp_targetILNS1_3genE10ELNS1_11target_archE1200ELNS1_3gpuE4ELNS1_3repE0EEENS1_30default_config_static_selectorELNS0_4arch9wavefront6targetE1EEEvT1_
                                        ; -- End function
	.section	.AMDGPU.csdata,"",@progbits
; Kernel info:
; codeLenInByte = 0
; NumSgprs: 4
; NumVgprs: 0
; NumAgprs: 0
; TotalNumVgprs: 0
; ScratchSize: 0
; MemoryBound: 0
; FloatMode: 240
; IeeeMode: 1
; LDSByteSize: 0 bytes/workgroup (compile time only)
; SGPRBlocks: 0
; VGPRBlocks: 0
; NumSGPRsForWavesPerEU: 4
; NumVGPRsForWavesPerEU: 1
; AccumOffset: 4
; Occupancy: 8
; WaveLimiterHint : 0
; COMPUTE_PGM_RSRC2:SCRATCH_EN: 0
; COMPUTE_PGM_RSRC2:USER_SGPR: 6
; COMPUTE_PGM_RSRC2:TRAP_HANDLER: 0
; COMPUTE_PGM_RSRC2:TGID_X_EN: 1
; COMPUTE_PGM_RSRC2:TGID_Y_EN: 0
; COMPUTE_PGM_RSRC2:TGID_Z_EN: 0
; COMPUTE_PGM_RSRC2:TIDIG_COMP_CNT: 0
; COMPUTE_PGM_RSRC3_GFX90A:ACCUM_OFFSET: 0
; COMPUTE_PGM_RSRC3_GFX90A:TG_SPLIT: 0
	.section	.text._ZN7rocprim17ROCPRIM_400000_NS6detail17trampoline_kernelINS0_14default_configENS1_20scan_config_selectorI3IntEEZZNS1_9scan_implILNS1_25lookback_scan_determinismE0ELb0ELb0ES3_N6thrust23THRUST_200600_302600_NS6detail15normal_iteratorINSA_10device_ptrIKS5_EEEENSC_INSD_IS5_EEEES5_NSA_4plusIvEES5_EEDaPvRmT3_T4_T5_mT6_P12ihipStream_tbENKUlT_T0_E_clISt17integral_constantIbLb1EESX_IbLb0EEEEDaST_SU_EUlST_E_NS1_11comp_targetILNS1_3genE9ELNS1_11target_archE1100ELNS1_3gpuE3ELNS1_3repE0EEENS1_30default_config_static_selectorELNS0_4arch9wavefront6targetE1EEEvT1_,"axG",@progbits,_ZN7rocprim17ROCPRIM_400000_NS6detail17trampoline_kernelINS0_14default_configENS1_20scan_config_selectorI3IntEEZZNS1_9scan_implILNS1_25lookback_scan_determinismE0ELb0ELb0ES3_N6thrust23THRUST_200600_302600_NS6detail15normal_iteratorINSA_10device_ptrIKS5_EEEENSC_INSD_IS5_EEEES5_NSA_4plusIvEES5_EEDaPvRmT3_T4_T5_mT6_P12ihipStream_tbENKUlT_T0_E_clISt17integral_constantIbLb1EESX_IbLb0EEEEDaST_SU_EUlST_E_NS1_11comp_targetILNS1_3genE9ELNS1_11target_archE1100ELNS1_3gpuE3ELNS1_3repE0EEENS1_30default_config_static_selectorELNS0_4arch9wavefront6targetE1EEEvT1_,comdat
	.protected	_ZN7rocprim17ROCPRIM_400000_NS6detail17trampoline_kernelINS0_14default_configENS1_20scan_config_selectorI3IntEEZZNS1_9scan_implILNS1_25lookback_scan_determinismE0ELb0ELb0ES3_N6thrust23THRUST_200600_302600_NS6detail15normal_iteratorINSA_10device_ptrIKS5_EEEENSC_INSD_IS5_EEEES5_NSA_4plusIvEES5_EEDaPvRmT3_T4_T5_mT6_P12ihipStream_tbENKUlT_T0_E_clISt17integral_constantIbLb1EESX_IbLb0EEEEDaST_SU_EUlST_E_NS1_11comp_targetILNS1_3genE9ELNS1_11target_archE1100ELNS1_3gpuE3ELNS1_3repE0EEENS1_30default_config_static_selectorELNS0_4arch9wavefront6targetE1EEEvT1_ ; -- Begin function _ZN7rocprim17ROCPRIM_400000_NS6detail17trampoline_kernelINS0_14default_configENS1_20scan_config_selectorI3IntEEZZNS1_9scan_implILNS1_25lookback_scan_determinismE0ELb0ELb0ES3_N6thrust23THRUST_200600_302600_NS6detail15normal_iteratorINSA_10device_ptrIKS5_EEEENSC_INSD_IS5_EEEES5_NSA_4plusIvEES5_EEDaPvRmT3_T4_T5_mT6_P12ihipStream_tbENKUlT_T0_E_clISt17integral_constantIbLb1EESX_IbLb0EEEEDaST_SU_EUlST_E_NS1_11comp_targetILNS1_3genE9ELNS1_11target_archE1100ELNS1_3gpuE3ELNS1_3repE0EEENS1_30default_config_static_selectorELNS0_4arch9wavefront6targetE1EEEvT1_
	.globl	_ZN7rocprim17ROCPRIM_400000_NS6detail17trampoline_kernelINS0_14default_configENS1_20scan_config_selectorI3IntEEZZNS1_9scan_implILNS1_25lookback_scan_determinismE0ELb0ELb0ES3_N6thrust23THRUST_200600_302600_NS6detail15normal_iteratorINSA_10device_ptrIKS5_EEEENSC_INSD_IS5_EEEES5_NSA_4plusIvEES5_EEDaPvRmT3_T4_T5_mT6_P12ihipStream_tbENKUlT_T0_E_clISt17integral_constantIbLb1EESX_IbLb0EEEEDaST_SU_EUlST_E_NS1_11comp_targetILNS1_3genE9ELNS1_11target_archE1100ELNS1_3gpuE3ELNS1_3repE0EEENS1_30default_config_static_selectorELNS0_4arch9wavefront6targetE1EEEvT1_
	.p2align	8
	.type	_ZN7rocprim17ROCPRIM_400000_NS6detail17trampoline_kernelINS0_14default_configENS1_20scan_config_selectorI3IntEEZZNS1_9scan_implILNS1_25lookback_scan_determinismE0ELb0ELb0ES3_N6thrust23THRUST_200600_302600_NS6detail15normal_iteratorINSA_10device_ptrIKS5_EEEENSC_INSD_IS5_EEEES5_NSA_4plusIvEES5_EEDaPvRmT3_T4_T5_mT6_P12ihipStream_tbENKUlT_T0_E_clISt17integral_constantIbLb1EESX_IbLb0EEEEDaST_SU_EUlST_E_NS1_11comp_targetILNS1_3genE9ELNS1_11target_archE1100ELNS1_3gpuE3ELNS1_3repE0EEENS1_30default_config_static_selectorELNS0_4arch9wavefront6targetE1EEEvT1_,@function
_ZN7rocprim17ROCPRIM_400000_NS6detail17trampoline_kernelINS0_14default_configENS1_20scan_config_selectorI3IntEEZZNS1_9scan_implILNS1_25lookback_scan_determinismE0ELb0ELb0ES3_N6thrust23THRUST_200600_302600_NS6detail15normal_iteratorINSA_10device_ptrIKS5_EEEENSC_INSD_IS5_EEEES5_NSA_4plusIvEES5_EEDaPvRmT3_T4_T5_mT6_P12ihipStream_tbENKUlT_T0_E_clISt17integral_constantIbLb1EESX_IbLb0EEEEDaST_SU_EUlST_E_NS1_11comp_targetILNS1_3genE9ELNS1_11target_archE1100ELNS1_3gpuE3ELNS1_3repE0EEENS1_30default_config_static_selectorELNS0_4arch9wavefront6targetE1EEEvT1_: ; @_ZN7rocprim17ROCPRIM_400000_NS6detail17trampoline_kernelINS0_14default_configENS1_20scan_config_selectorI3IntEEZZNS1_9scan_implILNS1_25lookback_scan_determinismE0ELb0ELb0ES3_N6thrust23THRUST_200600_302600_NS6detail15normal_iteratorINSA_10device_ptrIKS5_EEEENSC_INSD_IS5_EEEES5_NSA_4plusIvEES5_EEDaPvRmT3_T4_T5_mT6_P12ihipStream_tbENKUlT_T0_E_clISt17integral_constantIbLb1EESX_IbLb0EEEEDaST_SU_EUlST_E_NS1_11comp_targetILNS1_3genE9ELNS1_11target_archE1100ELNS1_3gpuE3ELNS1_3repE0EEENS1_30default_config_static_selectorELNS0_4arch9wavefront6targetE1EEEvT1_
; %bb.0:
	.section	.rodata,"a",@progbits
	.p2align	6, 0x0
	.amdhsa_kernel _ZN7rocprim17ROCPRIM_400000_NS6detail17trampoline_kernelINS0_14default_configENS1_20scan_config_selectorI3IntEEZZNS1_9scan_implILNS1_25lookback_scan_determinismE0ELb0ELb0ES3_N6thrust23THRUST_200600_302600_NS6detail15normal_iteratorINSA_10device_ptrIKS5_EEEENSC_INSD_IS5_EEEES5_NSA_4plusIvEES5_EEDaPvRmT3_T4_T5_mT6_P12ihipStream_tbENKUlT_T0_E_clISt17integral_constantIbLb1EESX_IbLb0EEEEDaST_SU_EUlST_E_NS1_11comp_targetILNS1_3genE9ELNS1_11target_archE1100ELNS1_3gpuE3ELNS1_3repE0EEENS1_30default_config_static_selectorELNS0_4arch9wavefront6targetE1EEEvT1_
		.amdhsa_group_segment_fixed_size 0
		.amdhsa_private_segment_fixed_size 0
		.amdhsa_kernarg_size 96
		.amdhsa_user_sgpr_count 6
		.amdhsa_user_sgpr_private_segment_buffer 1
		.amdhsa_user_sgpr_dispatch_ptr 0
		.amdhsa_user_sgpr_queue_ptr 0
		.amdhsa_user_sgpr_kernarg_segment_ptr 1
		.amdhsa_user_sgpr_dispatch_id 0
		.amdhsa_user_sgpr_flat_scratch_init 0
		.amdhsa_user_sgpr_kernarg_preload_length 0
		.amdhsa_user_sgpr_kernarg_preload_offset 0
		.amdhsa_user_sgpr_private_segment_size 0
		.amdhsa_uses_dynamic_stack 0
		.amdhsa_system_sgpr_private_segment_wavefront_offset 0
		.amdhsa_system_sgpr_workgroup_id_x 1
		.amdhsa_system_sgpr_workgroup_id_y 0
		.amdhsa_system_sgpr_workgroup_id_z 0
		.amdhsa_system_sgpr_workgroup_info 0
		.amdhsa_system_vgpr_workitem_id 0
		.amdhsa_next_free_vgpr 1
		.amdhsa_next_free_sgpr 0
		.amdhsa_accum_offset 4
		.amdhsa_reserve_vcc 0
		.amdhsa_reserve_flat_scratch 0
		.amdhsa_float_round_mode_32 0
		.amdhsa_float_round_mode_16_64 0
		.amdhsa_float_denorm_mode_32 3
		.amdhsa_float_denorm_mode_16_64 3
		.amdhsa_dx10_clamp 1
		.amdhsa_ieee_mode 1
		.amdhsa_fp16_overflow 0
		.amdhsa_tg_split 0
		.amdhsa_exception_fp_ieee_invalid_op 0
		.amdhsa_exception_fp_denorm_src 0
		.amdhsa_exception_fp_ieee_div_zero 0
		.amdhsa_exception_fp_ieee_overflow 0
		.amdhsa_exception_fp_ieee_underflow 0
		.amdhsa_exception_fp_ieee_inexact 0
		.amdhsa_exception_int_div_zero 0
	.end_amdhsa_kernel
	.section	.text._ZN7rocprim17ROCPRIM_400000_NS6detail17trampoline_kernelINS0_14default_configENS1_20scan_config_selectorI3IntEEZZNS1_9scan_implILNS1_25lookback_scan_determinismE0ELb0ELb0ES3_N6thrust23THRUST_200600_302600_NS6detail15normal_iteratorINSA_10device_ptrIKS5_EEEENSC_INSD_IS5_EEEES5_NSA_4plusIvEES5_EEDaPvRmT3_T4_T5_mT6_P12ihipStream_tbENKUlT_T0_E_clISt17integral_constantIbLb1EESX_IbLb0EEEEDaST_SU_EUlST_E_NS1_11comp_targetILNS1_3genE9ELNS1_11target_archE1100ELNS1_3gpuE3ELNS1_3repE0EEENS1_30default_config_static_selectorELNS0_4arch9wavefront6targetE1EEEvT1_,"axG",@progbits,_ZN7rocprim17ROCPRIM_400000_NS6detail17trampoline_kernelINS0_14default_configENS1_20scan_config_selectorI3IntEEZZNS1_9scan_implILNS1_25lookback_scan_determinismE0ELb0ELb0ES3_N6thrust23THRUST_200600_302600_NS6detail15normal_iteratorINSA_10device_ptrIKS5_EEEENSC_INSD_IS5_EEEES5_NSA_4plusIvEES5_EEDaPvRmT3_T4_T5_mT6_P12ihipStream_tbENKUlT_T0_E_clISt17integral_constantIbLb1EESX_IbLb0EEEEDaST_SU_EUlST_E_NS1_11comp_targetILNS1_3genE9ELNS1_11target_archE1100ELNS1_3gpuE3ELNS1_3repE0EEENS1_30default_config_static_selectorELNS0_4arch9wavefront6targetE1EEEvT1_,comdat
.Lfunc_end6950:
	.size	_ZN7rocprim17ROCPRIM_400000_NS6detail17trampoline_kernelINS0_14default_configENS1_20scan_config_selectorI3IntEEZZNS1_9scan_implILNS1_25lookback_scan_determinismE0ELb0ELb0ES3_N6thrust23THRUST_200600_302600_NS6detail15normal_iteratorINSA_10device_ptrIKS5_EEEENSC_INSD_IS5_EEEES5_NSA_4plusIvEES5_EEDaPvRmT3_T4_T5_mT6_P12ihipStream_tbENKUlT_T0_E_clISt17integral_constantIbLb1EESX_IbLb0EEEEDaST_SU_EUlST_E_NS1_11comp_targetILNS1_3genE9ELNS1_11target_archE1100ELNS1_3gpuE3ELNS1_3repE0EEENS1_30default_config_static_selectorELNS0_4arch9wavefront6targetE1EEEvT1_, .Lfunc_end6950-_ZN7rocprim17ROCPRIM_400000_NS6detail17trampoline_kernelINS0_14default_configENS1_20scan_config_selectorI3IntEEZZNS1_9scan_implILNS1_25lookback_scan_determinismE0ELb0ELb0ES3_N6thrust23THRUST_200600_302600_NS6detail15normal_iteratorINSA_10device_ptrIKS5_EEEENSC_INSD_IS5_EEEES5_NSA_4plusIvEES5_EEDaPvRmT3_T4_T5_mT6_P12ihipStream_tbENKUlT_T0_E_clISt17integral_constantIbLb1EESX_IbLb0EEEEDaST_SU_EUlST_E_NS1_11comp_targetILNS1_3genE9ELNS1_11target_archE1100ELNS1_3gpuE3ELNS1_3repE0EEENS1_30default_config_static_selectorELNS0_4arch9wavefront6targetE1EEEvT1_
                                        ; -- End function
	.section	.AMDGPU.csdata,"",@progbits
; Kernel info:
; codeLenInByte = 0
; NumSgprs: 4
; NumVgprs: 0
; NumAgprs: 0
; TotalNumVgprs: 0
; ScratchSize: 0
; MemoryBound: 0
; FloatMode: 240
; IeeeMode: 1
; LDSByteSize: 0 bytes/workgroup (compile time only)
; SGPRBlocks: 0
; VGPRBlocks: 0
; NumSGPRsForWavesPerEU: 4
; NumVGPRsForWavesPerEU: 1
; AccumOffset: 4
; Occupancy: 8
; WaveLimiterHint : 0
; COMPUTE_PGM_RSRC2:SCRATCH_EN: 0
; COMPUTE_PGM_RSRC2:USER_SGPR: 6
; COMPUTE_PGM_RSRC2:TRAP_HANDLER: 0
; COMPUTE_PGM_RSRC2:TGID_X_EN: 1
; COMPUTE_PGM_RSRC2:TGID_Y_EN: 0
; COMPUTE_PGM_RSRC2:TGID_Z_EN: 0
; COMPUTE_PGM_RSRC2:TIDIG_COMP_CNT: 0
; COMPUTE_PGM_RSRC3_GFX90A:ACCUM_OFFSET: 0
; COMPUTE_PGM_RSRC3_GFX90A:TG_SPLIT: 0
	.section	.text._ZN7rocprim17ROCPRIM_400000_NS6detail17trampoline_kernelINS0_14default_configENS1_20scan_config_selectorI3IntEEZZNS1_9scan_implILNS1_25lookback_scan_determinismE0ELb0ELb0ES3_N6thrust23THRUST_200600_302600_NS6detail15normal_iteratorINSA_10device_ptrIKS5_EEEENSC_INSD_IS5_EEEES5_NSA_4plusIvEES5_EEDaPvRmT3_T4_T5_mT6_P12ihipStream_tbENKUlT_T0_E_clISt17integral_constantIbLb1EESX_IbLb0EEEEDaST_SU_EUlST_E_NS1_11comp_targetILNS1_3genE8ELNS1_11target_archE1030ELNS1_3gpuE2ELNS1_3repE0EEENS1_30default_config_static_selectorELNS0_4arch9wavefront6targetE1EEEvT1_,"axG",@progbits,_ZN7rocprim17ROCPRIM_400000_NS6detail17trampoline_kernelINS0_14default_configENS1_20scan_config_selectorI3IntEEZZNS1_9scan_implILNS1_25lookback_scan_determinismE0ELb0ELb0ES3_N6thrust23THRUST_200600_302600_NS6detail15normal_iteratorINSA_10device_ptrIKS5_EEEENSC_INSD_IS5_EEEES5_NSA_4plusIvEES5_EEDaPvRmT3_T4_T5_mT6_P12ihipStream_tbENKUlT_T0_E_clISt17integral_constantIbLb1EESX_IbLb0EEEEDaST_SU_EUlST_E_NS1_11comp_targetILNS1_3genE8ELNS1_11target_archE1030ELNS1_3gpuE2ELNS1_3repE0EEENS1_30default_config_static_selectorELNS0_4arch9wavefront6targetE1EEEvT1_,comdat
	.protected	_ZN7rocprim17ROCPRIM_400000_NS6detail17trampoline_kernelINS0_14default_configENS1_20scan_config_selectorI3IntEEZZNS1_9scan_implILNS1_25lookback_scan_determinismE0ELb0ELb0ES3_N6thrust23THRUST_200600_302600_NS6detail15normal_iteratorINSA_10device_ptrIKS5_EEEENSC_INSD_IS5_EEEES5_NSA_4plusIvEES5_EEDaPvRmT3_T4_T5_mT6_P12ihipStream_tbENKUlT_T0_E_clISt17integral_constantIbLb1EESX_IbLb0EEEEDaST_SU_EUlST_E_NS1_11comp_targetILNS1_3genE8ELNS1_11target_archE1030ELNS1_3gpuE2ELNS1_3repE0EEENS1_30default_config_static_selectorELNS0_4arch9wavefront6targetE1EEEvT1_ ; -- Begin function _ZN7rocprim17ROCPRIM_400000_NS6detail17trampoline_kernelINS0_14default_configENS1_20scan_config_selectorI3IntEEZZNS1_9scan_implILNS1_25lookback_scan_determinismE0ELb0ELb0ES3_N6thrust23THRUST_200600_302600_NS6detail15normal_iteratorINSA_10device_ptrIKS5_EEEENSC_INSD_IS5_EEEES5_NSA_4plusIvEES5_EEDaPvRmT3_T4_T5_mT6_P12ihipStream_tbENKUlT_T0_E_clISt17integral_constantIbLb1EESX_IbLb0EEEEDaST_SU_EUlST_E_NS1_11comp_targetILNS1_3genE8ELNS1_11target_archE1030ELNS1_3gpuE2ELNS1_3repE0EEENS1_30default_config_static_selectorELNS0_4arch9wavefront6targetE1EEEvT1_
	.globl	_ZN7rocprim17ROCPRIM_400000_NS6detail17trampoline_kernelINS0_14default_configENS1_20scan_config_selectorI3IntEEZZNS1_9scan_implILNS1_25lookback_scan_determinismE0ELb0ELb0ES3_N6thrust23THRUST_200600_302600_NS6detail15normal_iteratorINSA_10device_ptrIKS5_EEEENSC_INSD_IS5_EEEES5_NSA_4plusIvEES5_EEDaPvRmT3_T4_T5_mT6_P12ihipStream_tbENKUlT_T0_E_clISt17integral_constantIbLb1EESX_IbLb0EEEEDaST_SU_EUlST_E_NS1_11comp_targetILNS1_3genE8ELNS1_11target_archE1030ELNS1_3gpuE2ELNS1_3repE0EEENS1_30default_config_static_selectorELNS0_4arch9wavefront6targetE1EEEvT1_
	.p2align	8
	.type	_ZN7rocprim17ROCPRIM_400000_NS6detail17trampoline_kernelINS0_14default_configENS1_20scan_config_selectorI3IntEEZZNS1_9scan_implILNS1_25lookback_scan_determinismE0ELb0ELb0ES3_N6thrust23THRUST_200600_302600_NS6detail15normal_iteratorINSA_10device_ptrIKS5_EEEENSC_INSD_IS5_EEEES5_NSA_4plusIvEES5_EEDaPvRmT3_T4_T5_mT6_P12ihipStream_tbENKUlT_T0_E_clISt17integral_constantIbLb1EESX_IbLb0EEEEDaST_SU_EUlST_E_NS1_11comp_targetILNS1_3genE8ELNS1_11target_archE1030ELNS1_3gpuE2ELNS1_3repE0EEENS1_30default_config_static_selectorELNS0_4arch9wavefront6targetE1EEEvT1_,@function
_ZN7rocprim17ROCPRIM_400000_NS6detail17trampoline_kernelINS0_14default_configENS1_20scan_config_selectorI3IntEEZZNS1_9scan_implILNS1_25lookback_scan_determinismE0ELb0ELb0ES3_N6thrust23THRUST_200600_302600_NS6detail15normal_iteratorINSA_10device_ptrIKS5_EEEENSC_INSD_IS5_EEEES5_NSA_4plusIvEES5_EEDaPvRmT3_T4_T5_mT6_P12ihipStream_tbENKUlT_T0_E_clISt17integral_constantIbLb1EESX_IbLb0EEEEDaST_SU_EUlST_E_NS1_11comp_targetILNS1_3genE8ELNS1_11target_archE1030ELNS1_3gpuE2ELNS1_3repE0EEENS1_30default_config_static_selectorELNS0_4arch9wavefront6targetE1EEEvT1_: ; @_ZN7rocprim17ROCPRIM_400000_NS6detail17trampoline_kernelINS0_14default_configENS1_20scan_config_selectorI3IntEEZZNS1_9scan_implILNS1_25lookback_scan_determinismE0ELb0ELb0ES3_N6thrust23THRUST_200600_302600_NS6detail15normal_iteratorINSA_10device_ptrIKS5_EEEENSC_INSD_IS5_EEEES5_NSA_4plusIvEES5_EEDaPvRmT3_T4_T5_mT6_P12ihipStream_tbENKUlT_T0_E_clISt17integral_constantIbLb1EESX_IbLb0EEEEDaST_SU_EUlST_E_NS1_11comp_targetILNS1_3genE8ELNS1_11target_archE1030ELNS1_3gpuE2ELNS1_3repE0EEENS1_30default_config_static_selectorELNS0_4arch9wavefront6targetE1EEEvT1_
; %bb.0:
	.section	.rodata,"a",@progbits
	.p2align	6, 0x0
	.amdhsa_kernel _ZN7rocprim17ROCPRIM_400000_NS6detail17trampoline_kernelINS0_14default_configENS1_20scan_config_selectorI3IntEEZZNS1_9scan_implILNS1_25lookback_scan_determinismE0ELb0ELb0ES3_N6thrust23THRUST_200600_302600_NS6detail15normal_iteratorINSA_10device_ptrIKS5_EEEENSC_INSD_IS5_EEEES5_NSA_4plusIvEES5_EEDaPvRmT3_T4_T5_mT6_P12ihipStream_tbENKUlT_T0_E_clISt17integral_constantIbLb1EESX_IbLb0EEEEDaST_SU_EUlST_E_NS1_11comp_targetILNS1_3genE8ELNS1_11target_archE1030ELNS1_3gpuE2ELNS1_3repE0EEENS1_30default_config_static_selectorELNS0_4arch9wavefront6targetE1EEEvT1_
		.amdhsa_group_segment_fixed_size 0
		.amdhsa_private_segment_fixed_size 0
		.amdhsa_kernarg_size 96
		.amdhsa_user_sgpr_count 6
		.amdhsa_user_sgpr_private_segment_buffer 1
		.amdhsa_user_sgpr_dispatch_ptr 0
		.amdhsa_user_sgpr_queue_ptr 0
		.amdhsa_user_sgpr_kernarg_segment_ptr 1
		.amdhsa_user_sgpr_dispatch_id 0
		.amdhsa_user_sgpr_flat_scratch_init 0
		.amdhsa_user_sgpr_kernarg_preload_length 0
		.amdhsa_user_sgpr_kernarg_preload_offset 0
		.amdhsa_user_sgpr_private_segment_size 0
		.amdhsa_uses_dynamic_stack 0
		.amdhsa_system_sgpr_private_segment_wavefront_offset 0
		.amdhsa_system_sgpr_workgroup_id_x 1
		.amdhsa_system_sgpr_workgroup_id_y 0
		.amdhsa_system_sgpr_workgroup_id_z 0
		.amdhsa_system_sgpr_workgroup_info 0
		.amdhsa_system_vgpr_workitem_id 0
		.amdhsa_next_free_vgpr 1
		.amdhsa_next_free_sgpr 0
		.amdhsa_accum_offset 4
		.amdhsa_reserve_vcc 0
		.amdhsa_reserve_flat_scratch 0
		.amdhsa_float_round_mode_32 0
		.amdhsa_float_round_mode_16_64 0
		.amdhsa_float_denorm_mode_32 3
		.amdhsa_float_denorm_mode_16_64 3
		.amdhsa_dx10_clamp 1
		.amdhsa_ieee_mode 1
		.amdhsa_fp16_overflow 0
		.amdhsa_tg_split 0
		.amdhsa_exception_fp_ieee_invalid_op 0
		.amdhsa_exception_fp_denorm_src 0
		.amdhsa_exception_fp_ieee_div_zero 0
		.amdhsa_exception_fp_ieee_overflow 0
		.amdhsa_exception_fp_ieee_underflow 0
		.amdhsa_exception_fp_ieee_inexact 0
		.amdhsa_exception_int_div_zero 0
	.end_amdhsa_kernel
	.section	.text._ZN7rocprim17ROCPRIM_400000_NS6detail17trampoline_kernelINS0_14default_configENS1_20scan_config_selectorI3IntEEZZNS1_9scan_implILNS1_25lookback_scan_determinismE0ELb0ELb0ES3_N6thrust23THRUST_200600_302600_NS6detail15normal_iteratorINSA_10device_ptrIKS5_EEEENSC_INSD_IS5_EEEES5_NSA_4plusIvEES5_EEDaPvRmT3_T4_T5_mT6_P12ihipStream_tbENKUlT_T0_E_clISt17integral_constantIbLb1EESX_IbLb0EEEEDaST_SU_EUlST_E_NS1_11comp_targetILNS1_3genE8ELNS1_11target_archE1030ELNS1_3gpuE2ELNS1_3repE0EEENS1_30default_config_static_selectorELNS0_4arch9wavefront6targetE1EEEvT1_,"axG",@progbits,_ZN7rocprim17ROCPRIM_400000_NS6detail17trampoline_kernelINS0_14default_configENS1_20scan_config_selectorI3IntEEZZNS1_9scan_implILNS1_25lookback_scan_determinismE0ELb0ELb0ES3_N6thrust23THRUST_200600_302600_NS6detail15normal_iteratorINSA_10device_ptrIKS5_EEEENSC_INSD_IS5_EEEES5_NSA_4plusIvEES5_EEDaPvRmT3_T4_T5_mT6_P12ihipStream_tbENKUlT_T0_E_clISt17integral_constantIbLb1EESX_IbLb0EEEEDaST_SU_EUlST_E_NS1_11comp_targetILNS1_3genE8ELNS1_11target_archE1030ELNS1_3gpuE2ELNS1_3repE0EEENS1_30default_config_static_selectorELNS0_4arch9wavefront6targetE1EEEvT1_,comdat
.Lfunc_end6951:
	.size	_ZN7rocprim17ROCPRIM_400000_NS6detail17trampoline_kernelINS0_14default_configENS1_20scan_config_selectorI3IntEEZZNS1_9scan_implILNS1_25lookback_scan_determinismE0ELb0ELb0ES3_N6thrust23THRUST_200600_302600_NS6detail15normal_iteratorINSA_10device_ptrIKS5_EEEENSC_INSD_IS5_EEEES5_NSA_4plusIvEES5_EEDaPvRmT3_T4_T5_mT6_P12ihipStream_tbENKUlT_T0_E_clISt17integral_constantIbLb1EESX_IbLb0EEEEDaST_SU_EUlST_E_NS1_11comp_targetILNS1_3genE8ELNS1_11target_archE1030ELNS1_3gpuE2ELNS1_3repE0EEENS1_30default_config_static_selectorELNS0_4arch9wavefront6targetE1EEEvT1_, .Lfunc_end6951-_ZN7rocprim17ROCPRIM_400000_NS6detail17trampoline_kernelINS0_14default_configENS1_20scan_config_selectorI3IntEEZZNS1_9scan_implILNS1_25lookback_scan_determinismE0ELb0ELb0ES3_N6thrust23THRUST_200600_302600_NS6detail15normal_iteratorINSA_10device_ptrIKS5_EEEENSC_INSD_IS5_EEEES5_NSA_4plusIvEES5_EEDaPvRmT3_T4_T5_mT6_P12ihipStream_tbENKUlT_T0_E_clISt17integral_constantIbLb1EESX_IbLb0EEEEDaST_SU_EUlST_E_NS1_11comp_targetILNS1_3genE8ELNS1_11target_archE1030ELNS1_3gpuE2ELNS1_3repE0EEENS1_30default_config_static_selectorELNS0_4arch9wavefront6targetE1EEEvT1_
                                        ; -- End function
	.section	.AMDGPU.csdata,"",@progbits
; Kernel info:
; codeLenInByte = 0
; NumSgprs: 4
; NumVgprs: 0
; NumAgprs: 0
; TotalNumVgprs: 0
; ScratchSize: 0
; MemoryBound: 0
; FloatMode: 240
; IeeeMode: 1
; LDSByteSize: 0 bytes/workgroup (compile time only)
; SGPRBlocks: 0
; VGPRBlocks: 0
; NumSGPRsForWavesPerEU: 4
; NumVGPRsForWavesPerEU: 1
; AccumOffset: 4
; Occupancy: 8
; WaveLimiterHint : 0
; COMPUTE_PGM_RSRC2:SCRATCH_EN: 0
; COMPUTE_PGM_RSRC2:USER_SGPR: 6
; COMPUTE_PGM_RSRC2:TRAP_HANDLER: 0
; COMPUTE_PGM_RSRC2:TGID_X_EN: 1
; COMPUTE_PGM_RSRC2:TGID_Y_EN: 0
; COMPUTE_PGM_RSRC2:TGID_Z_EN: 0
; COMPUTE_PGM_RSRC2:TIDIG_COMP_CNT: 0
; COMPUTE_PGM_RSRC3_GFX90A:ACCUM_OFFSET: 0
; COMPUTE_PGM_RSRC3_GFX90A:TG_SPLIT: 0
	.section	.text._ZN7rocprim17ROCPRIM_400000_NS6detail17trampoline_kernelINS0_14default_configENS1_20scan_config_selectorI3IntEEZZNS1_9scan_implILNS1_25lookback_scan_determinismE0ELb0ELb0ES3_N6thrust23THRUST_200600_302600_NS6detail15normal_iteratorINSA_10device_ptrIKS5_EEEENSC_INSD_IS5_EEEES5_NSA_4plusIvEES5_EEDaPvRmT3_T4_T5_mT6_P12ihipStream_tbENKUlT_T0_E_clISt17integral_constantIbLb1EESX_IbLb0EEEEDaST_SU_EUlST_E0_NS1_11comp_targetILNS1_3genE0ELNS1_11target_archE4294967295ELNS1_3gpuE0ELNS1_3repE0EEENS1_30default_config_static_selectorELNS0_4arch9wavefront6targetE1EEEvT1_,"axG",@progbits,_ZN7rocprim17ROCPRIM_400000_NS6detail17trampoline_kernelINS0_14default_configENS1_20scan_config_selectorI3IntEEZZNS1_9scan_implILNS1_25lookback_scan_determinismE0ELb0ELb0ES3_N6thrust23THRUST_200600_302600_NS6detail15normal_iteratorINSA_10device_ptrIKS5_EEEENSC_INSD_IS5_EEEES5_NSA_4plusIvEES5_EEDaPvRmT3_T4_T5_mT6_P12ihipStream_tbENKUlT_T0_E_clISt17integral_constantIbLb1EESX_IbLb0EEEEDaST_SU_EUlST_E0_NS1_11comp_targetILNS1_3genE0ELNS1_11target_archE4294967295ELNS1_3gpuE0ELNS1_3repE0EEENS1_30default_config_static_selectorELNS0_4arch9wavefront6targetE1EEEvT1_,comdat
	.protected	_ZN7rocprim17ROCPRIM_400000_NS6detail17trampoline_kernelINS0_14default_configENS1_20scan_config_selectorI3IntEEZZNS1_9scan_implILNS1_25lookback_scan_determinismE0ELb0ELb0ES3_N6thrust23THRUST_200600_302600_NS6detail15normal_iteratorINSA_10device_ptrIKS5_EEEENSC_INSD_IS5_EEEES5_NSA_4plusIvEES5_EEDaPvRmT3_T4_T5_mT6_P12ihipStream_tbENKUlT_T0_E_clISt17integral_constantIbLb1EESX_IbLb0EEEEDaST_SU_EUlST_E0_NS1_11comp_targetILNS1_3genE0ELNS1_11target_archE4294967295ELNS1_3gpuE0ELNS1_3repE0EEENS1_30default_config_static_selectorELNS0_4arch9wavefront6targetE1EEEvT1_ ; -- Begin function _ZN7rocprim17ROCPRIM_400000_NS6detail17trampoline_kernelINS0_14default_configENS1_20scan_config_selectorI3IntEEZZNS1_9scan_implILNS1_25lookback_scan_determinismE0ELb0ELb0ES3_N6thrust23THRUST_200600_302600_NS6detail15normal_iteratorINSA_10device_ptrIKS5_EEEENSC_INSD_IS5_EEEES5_NSA_4plusIvEES5_EEDaPvRmT3_T4_T5_mT6_P12ihipStream_tbENKUlT_T0_E_clISt17integral_constantIbLb1EESX_IbLb0EEEEDaST_SU_EUlST_E0_NS1_11comp_targetILNS1_3genE0ELNS1_11target_archE4294967295ELNS1_3gpuE0ELNS1_3repE0EEENS1_30default_config_static_selectorELNS0_4arch9wavefront6targetE1EEEvT1_
	.globl	_ZN7rocprim17ROCPRIM_400000_NS6detail17trampoline_kernelINS0_14default_configENS1_20scan_config_selectorI3IntEEZZNS1_9scan_implILNS1_25lookback_scan_determinismE0ELb0ELb0ES3_N6thrust23THRUST_200600_302600_NS6detail15normal_iteratorINSA_10device_ptrIKS5_EEEENSC_INSD_IS5_EEEES5_NSA_4plusIvEES5_EEDaPvRmT3_T4_T5_mT6_P12ihipStream_tbENKUlT_T0_E_clISt17integral_constantIbLb1EESX_IbLb0EEEEDaST_SU_EUlST_E0_NS1_11comp_targetILNS1_3genE0ELNS1_11target_archE4294967295ELNS1_3gpuE0ELNS1_3repE0EEENS1_30default_config_static_selectorELNS0_4arch9wavefront6targetE1EEEvT1_
	.p2align	8
	.type	_ZN7rocprim17ROCPRIM_400000_NS6detail17trampoline_kernelINS0_14default_configENS1_20scan_config_selectorI3IntEEZZNS1_9scan_implILNS1_25lookback_scan_determinismE0ELb0ELb0ES3_N6thrust23THRUST_200600_302600_NS6detail15normal_iteratorINSA_10device_ptrIKS5_EEEENSC_INSD_IS5_EEEES5_NSA_4plusIvEES5_EEDaPvRmT3_T4_T5_mT6_P12ihipStream_tbENKUlT_T0_E_clISt17integral_constantIbLb1EESX_IbLb0EEEEDaST_SU_EUlST_E0_NS1_11comp_targetILNS1_3genE0ELNS1_11target_archE4294967295ELNS1_3gpuE0ELNS1_3repE0EEENS1_30default_config_static_selectorELNS0_4arch9wavefront6targetE1EEEvT1_,@function
_ZN7rocprim17ROCPRIM_400000_NS6detail17trampoline_kernelINS0_14default_configENS1_20scan_config_selectorI3IntEEZZNS1_9scan_implILNS1_25lookback_scan_determinismE0ELb0ELb0ES3_N6thrust23THRUST_200600_302600_NS6detail15normal_iteratorINSA_10device_ptrIKS5_EEEENSC_INSD_IS5_EEEES5_NSA_4plusIvEES5_EEDaPvRmT3_T4_T5_mT6_P12ihipStream_tbENKUlT_T0_E_clISt17integral_constantIbLb1EESX_IbLb0EEEEDaST_SU_EUlST_E0_NS1_11comp_targetILNS1_3genE0ELNS1_11target_archE4294967295ELNS1_3gpuE0ELNS1_3repE0EEENS1_30default_config_static_selectorELNS0_4arch9wavefront6targetE1EEEvT1_: ; @_ZN7rocprim17ROCPRIM_400000_NS6detail17trampoline_kernelINS0_14default_configENS1_20scan_config_selectorI3IntEEZZNS1_9scan_implILNS1_25lookback_scan_determinismE0ELb0ELb0ES3_N6thrust23THRUST_200600_302600_NS6detail15normal_iteratorINSA_10device_ptrIKS5_EEEENSC_INSD_IS5_EEEES5_NSA_4plusIvEES5_EEDaPvRmT3_T4_T5_mT6_P12ihipStream_tbENKUlT_T0_E_clISt17integral_constantIbLb1EESX_IbLb0EEEEDaST_SU_EUlST_E0_NS1_11comp_targetILNS1_3genE0ELNS1_11target_archE4294967295ELNS1_3gpuE0ELNS1_3repE0EEENS1_30default_config_static_selectorELNS0_4arch9wavefront6targetE1EEEvT1_
; %bb.0:
	.section	.rodata,"a",@progbits
	.p2align	6, 0x0
	.amdhsa_kernel _ZN7rocprim17ROCPRIM_400000_NS6detail17trampoline_kernelINS0_14default_configENS1_20scan_config_selectorI3IntEEZZNS1_9scan_implILNS1_25lookback_scan_determinismE0ELb0ELb0ES3_N6thrust23THRUST_200600_302600_NS6detail15normal_iteratorINSA_10device_ptrIKS5_EEEENSC_INSD_IS5_EEEES5_NSA_4plusIvEES5_EEDaPvRmT3_T4_T5_mT6_P12ihipStream_tbENKUlT_T0_E_clISt17integral_constantIbLb1EESX_IbLb0EEEEDaST_SU_EUlST_E0_NS1_11comp_targetILNS1_3genE0ELNS1_11target_archE4294967295ELNS1_3gpuE0ELNS1_3repE0EEENS1_30default_config_static_selectorELNS0_4arch9wavefront6targetE1EEEvT1_
		.amdhsa_group_segment_fixed_size 0
		.amdhsa_private_segment_fixed_size 0
		.amdhsa_kernarg_size 32
		.amdhsa_user_sgpr_count 6
		.amdhsa_user_sgpr_private_segment_buffer 1
		.amdhsa_user_sgpr_dispatch_ptr 0
		.amdhsa_user_sgpr_queue_ptr 0
		.amdhsa_user_sgpr_kernarg_segment_ptr 1
		.amdhsa_user_sgpr_dispatch_id 0
		.amdhsa_user_sgpr_flat_scratch_init 0
		.amdhsa_user_sgpr_kernarg_preload_length 0
		.amdhsa_user_sgpr_kernarg_preload_offset 0
		.amdhsa_user_sgpr_private_segment_size 0
		.amdhsa_uses_dynamic_stack 0
		.amdhsa_system_sgpr_private_segment_wavefront_offset 0
		.amdhsa_system_sgpr_workgroup_id_x 1
		.amdhsa_system_sgpr_workgroup_id_y 0
		.amdhsa_system_sgpr_workgroup_id_z 0
		.amdhsa_system_sgpr_workgroup_info 0
		.amdhsa_system_vgpr_workitem_id 0
		.amdhsa_next_free_vgpr 1
		.amdhsa_next_free_sgpr 0
		.amdhsa_accum_offset 4
		.amdhsa_reserve_vcc 0
		.amdhsa_reserve_flat_scratch 0
		.amdhsa_float_round_mode_32 0
		.amdhsa_float_round_mode_16_64 0
		.amdhsa_float_denorm_mode_32 3
		.amdhsa_float_denorm_mode_16_64 3
		.amdhsa_dx10_clamp 1
		.amdhsa_ieee_mode 1
		.amdhsa_fp16_overflow 0
		.amdhsa_tg_split 0
		.amdhsa_exception_fp_ieee_invalid_op 0
		.amdhsa_exception_fp_denorm_src 0
		.amdhsa_exception_fp_ieee_div_zero 0
		.amdhsa_exception_fp_ieee_overflow 0
		.amdhsa_exception_fp_ieee_underflow 0
		.amdhsa_exception_fp_ieee_inexact 0
		.amdhsa_exception_int_div_zero 0
	.end_amdhsa_kernel
	.section	.text._ZN7rocprim17ROCPRIM_400000_NS6detail17trampoline_kernelINS0_14default_configENS1_20scan_config_selectorI3IntEEZZNS1_9scan_implILNS1_25lookback_scan_determinismE0ELb0ELb0ES3_N6thrust23THRUST_200600_302600_NS6detail15normal_iteratorINSA_10device_ptrIKS5_EEEENSC_INSD_IS5_EEEES5_NSA_4plusIvEES5_EEDaPvRmT3_T4_T5_mT6_P12ihipStream_tbENKUlT_T0_E_clISt17integral_constantIbLb1EESX_IbLb0EEEEDaST_SU_EUlST_E0_NS1_11comp_targetILNS1_3genE0ELNS1_11target_archE4294967295ELNS1_3gpuE0ELNS1_3repE0EEENS1_30default_config_static_selectorELNS0_4arch9wavefront6targetE1EEEvT1_,"axG",@progbits,_ZN7rocprim17ROCPRIM_400000_NS6detail17trampoline_kernelINS0_14default_configENS1_20scan_config_selectorI3IntEEZZNS1_9scan_implILNS1_25lookback_scan_determinismE0ELb0ELb0ES3_N6thrust23THRUST_200600_302600_NS6detail15normal_iteratorINSA_10device_ptrIKS5_EEEENSC_INSD_IS5_EEEES5_NSA_4plusIvEES5_EEDaPvRmT3_T4_T5_mT6_P12ihipStream_tbENKUlT_T0_E_clISt17integral_constantIbLb1EESX_IbLb0EEEEDaST_SU_EUlST_E0_NS1_11comp_targetILNS1_3genE0ELNS1_11target_archE4294967295ELNS1_3gpuE0ELNS1_3repE0EEENS1_30default_config_static_selectorELNS0_4arch9wavefront6targetE1EEEvT1_,comdat
.Lfunc_end6952:
	.size	_ZN7rocprim17ROCPRIM_400000_NS6detail17trampoline_kernelINS0_14default_configENS1_20scan_config_selectorI3IntEEZZNS1_9scan_implILNS1_25lookback_scan_determinismE0ELb0ELb0ES3_N6thrust23THRUST_200600_302600_NS6detail15normal_iteratorINSA_10device_ptrIKS5_EEEENSC_INSD_IS5_EEEES5_NSA_4plusIvEES5_EEDaPvRmT3_T4_T5_mT6_P12ihipStream_tbENKUlT_T0_E_clISt17integral_constantIbLb1EESX_IbLb0EEEEDaST_SU_EUlST_E0_NS1_11comp_targetILNS1_3genE0ELNS1_11target_archE4294967295ELNS1_3gpuE0ELNS1_3repE0EEENS1_30default_config_static_selectorELNS0_4arch9wavefront6targetE1EEEvT1_, .Lfunc_end6952-_ZN7rocprim17ROCPRIM_400000_NS6detail17trampoline_kernelINS0_14default_configENS1_20scan_config_selectorI3IntEEZZNS1_9scan_implILNS1_25lookback_scan_determinismE0ELb0ELb0ES3_N6thrust23THRUST_200600_302600_NS6detail15normal_iteratorINSA_10device_ptrIKS5_EEEENSC_INSD_IS5_EEEES5_NSA_4plusIvEES5_EEDaPvRmT3_T4_T5_mT6_P12ihipStream_tbENKUlT_T0_E_clISt17integral_constantIbLb1EESX_IbLb0EEEEDaST_SU_EUlST_E0_NS1_11comp_targetILNS1_3genE0ELNS1_11target_archE4294967295ELNS1_3gpuE0ELNS1_3repE0EEENS1_30default_config_static_selectorELNS0_4arch9wavefront6targetE1EEEvT1_
                                        ; -- End function
	.section	.AMDGPU.csdata,"",@progbits
; Kernel info:
; codeLenInByte = 0
; NumSgprs: 4
; NumVgprs: 0
; NumAgprs: 0
; TotalNumVgprs: 0
; ScratchSize: 0
; MemoryBound: 0
; FloatMode: 240
; IeeeMode: 1
; LDSByteSize: 0 bytes/workgroup (compile time only)
; SGPRBlocks: 0
; VGPRBlocks: 0
; NumSGPRsForWavesPerEU: 4
; NumVGPRsForWavesPerEU: 1
; AccumOffset: 4
; Occupancy: 8
; WaveLimiterHint : 0
; COMPUTE_PGM_RSRC2:SCRATCH_EN: 0
; COMPUTE_PGM_RSRC2:USER_SGPR: 6
; COMPUTE_PGM_RSRC2:TRAP_HANDLER: 0
; COMPUTE_PGM_RSRC2:TGID_X_EN: 1
; COMPUTE_PGM_RSRC2:TGID_Y_EN: 0
; COMPUTE_PGM_RSRC2:TGID_Z_EN: 0
; COMPUTE_PGM_RSRC2:TIDIG_COMP_CNT: 0
; COMPUTE_PGM_RSRC3_GFX90A:ACCUM_OFFSET: 0
; COMPUTE_PGM_RSRC3_GFX90A:TG_SPLIT: 0
	.section	.text._ZN7rocprim17ROCPRIM_400000_NS6detail17trampoline_kernelINS0_14default_configENS1_20scan_config_selectorI3IntEEZZNS1_9scan_implILNS1_25lookback_scan_determinismE0ELb0ELb0ES3_N6thrust23THRUST_200600_302600_NS6detail15normal_iteratorINSA_10device_ptrIKS5_EEEENSC_INSD_IS5_EEEES5_NSA_4plusIvEES5_EEDaPvRmT3_T4_T5_mT6_P12ihipStream_tbENKUlT_T0_E_clISt17integral_constantIbLb1EESX_IbLb0EEEEDaST_SU_EUlST_E0_NS1_11comp_targetILNS1_3genE5ELNS1_11target_archE942ELNS1_3gpuE9ELNS1_3repE0EEENS1_30default_config_static_selectorELNS0_4arch9wavefront6targetE1EEEvT1_,"axG",@progbits,_ZN7rocprim17ROCPRIM_400000_NS6detail17trampoline_kernelINS0_14default_configENS1_20scan_config_selectorI3IntEEZZNS1_9scan_implILNS1_25lookback_scan_determinismE0ELb0ELb0ES3_N6thrust23THRUST_200600_302600_NS6detail15normal_iteratorINSA_10device_ptrIKS5_EEEENSC_INSD_IS5_EEEES5_NSA_4plusIvEES5_EEDaPvRmT3_T4_T5_mT6_P12ihipStream_tbENKUlT_T0_E_clISt17integral_constantIbLb1EESX_IbLb0EEEEDaST_SU_EUlST_E0_NS1_11comp_targetILNS1_3genE5ELNS1_11target_archE942ELNS1_3gpuE9ELNS1_3repE0EEENS1_30default_config_static_selectorELNS0_4arch9wavefront6targetE1EEEvT1_,comdat
	.protected	_ZN7rocprim17ROCPRIM_400000_NS6detail17trampoline_kernelINS0_14default_configENS1_20scan_config_selectorI3IntEEZZNS1_9scan_implILNS1_25lookback_scan_determinismE0ELb0ELb0ES3_N6thrust23THRUST_200600_302600_NS6detail15normal_iteratorINSA_10device_ptrIKS5_EEEENSC_INSD_IS5_EEEES5_NSA_4plusIvEES5_EEDaPvRmT3_T4_T5_mT6_P12ihipStream_tbENKUlT_T0_E_clISt17integral_constantIbLb1EESX_IbLb0EEEEDaST_SU_EUlST_E0_NS1_11comp_targetILNS1_3genE5ELNS1_11target_archE942ELNS1_3gpuE9ELNS1_3repE0EEENS1_30default_config_static_selectorELNS0_4arch9wavefront6targetE1EEEvT1_ ; -- Begin function _ZN7rocprim17ROCPRIM_400000_NS6detail17trampoline_kernelINS0_14default_configENS1_20scan_config_selectorI3IntEEZZNS1_9scan_implILNS1_25lookback_scan_determinismE0ELb0ELb0ES3_N6thrust23THRUST_200600_302600_NS6detail15normal_iteratorINSA_10device_ptrIKS5_EEEENSC_INSD_IS5_EEEES5_NSA_4plusIvEES5_EEDaPvRmT3_T4_T5_mT6_P12ihipStream_tbENKUlT_T0_E_clISt17integral_constantIbLb1EESX_IbLb0EEEEDaST_SU_EUlST_E0_NS1_11comp_targetILNS1_3genE5ELNS1_11target_archE942ELNS1_3gpuE9ELNS1_3repE0EEENS1_30default_config_static_selectorELNS0_4arch9wavefront6targetE1EEEvT1_
	.globl	_ZN7rocprim17ROCPRIM_400000_NS6detail17trampoline_kernelINS0_14default_configENS1_20scan_config_selectorI3IntEEZZNS1_9scan_implILNS1_25lookback_scan_determinismE0ELb0ELb0ES3_N6thrust23THRUST_200600_302600_NS6detail15normal_iteratorINSA_10device_ptrIKS5_EEEENSC_INSD_IS5_EEEES5_NSA_4plusIvEES5_EEDaPvRmT3_T4_T5_mT6_P12ihipStream_tbENKUlT_T0_E_clISt17integral_constantIbLb1EESX_IbLb0EEEEDaST_SU_EUlST_E0_NS1_11comp_targetILNS1_3genE5ELNS1_11target_archE942ELNS1_3gpuE9ELNS1_3repE0EEENS1_30default_config_static_selectorELNS0_4arch9wavefront6targetE1EEEvT1_
	.p2align	8
	.type	_ZN7rocprim17ROCPRIM_400000_NS6detail17trampoline_kernelINS0_14default_configENS1_20scan_config_selectorI3IntEEZZNS1_9scan_implILNS1_25lookback_scan_determinismE0ELb0ELb0ES3_N6thrust23THRUST_200600_302600_NS6detail15normal_iteratorINSA_10device_ptrIKS5_EEEENSC_INSD_IS5_EEEES5_NSA_4plusIvEES5_EEDaPvRmT3_T4_T5_mT6_P12ihipStream_tbENKUlT_T0_E_clISt17integral_constantIbLb1EESX_IbLb0EEEEDaST_SU_EUlST_E0_NS1_11comp_targetILNS1_3genE5ELNS1_11target_archE942ELNS1_3gpuE9ELNS1_3repE0EEENS1_30default_config_static_selectorELNS0_4arch9wavefront6targetE1EEEvT1_,@function
_ZN7rocprim17ROCPRIM_400000_NS6detail17trampoline_kernelINS0_14default_configENS1_20scan_config_selectorI3IntEEZZNS1_9scan_implILNS1_25lookback_scan_determinismE0ELb0ELb0ES3_N6thrust23THRUST_200600_302600_NS6detail15normal_iteratorINSA_10device_ptrIKS5_EEEENSC_INSD_IS5_EEEES5_NSA_4plusIvEES5_EEDaPvRmT3_T4_T5_mT6_P12ihipStream_tbENKUlT_T0_E_clISt17integral_constantIbLb1EESX_IbLb0EEEEDaST_SU_EUlST_E0_NS1_11comp_targetILNS1_3genE5ELNS1_11target_archE942ELNS1_3gpuE9ELNS1_3repE0EEENS1_30default_config_static_selectorELNS0_4arch9wavefront6targetE1EEEvT1_: ; @_ZN7rocprim17ROCPRIM_400000_NS6detail17trampoline_kernelINS0_14default_configENS1_20scan_config_selectorI3IntEEZZNS1_9scan_implILNS1_25lookback_scan_determinismE0ELb0ELb0ES3_N6thrust23THRUST_200600_302600_NS6detail15normal_iteratorINSA_10device_ptrIKS5_EEEENSC_INSD_IS5_EEEES5_NSA_4plusIvEES5_EEDaPvRmT3_T4_T5_mT6_P12ihipStream_tbENKUlT_T0_E_clISt17integral_constantIbLb1EESX_IbLb0EEEEDaST_SU_EUlST_E0_NS1_11comp_targetILNS1_3genE5ELNS1_11target_archE942ELNS1_3gpuE9ELNS1_3repE0EEENS1_30default_config_static_selectorELNS0_4arch9wavefront6targetE1EEEvT1_
; %bb.0:
	.section	.rodata,"a",@progbits
	.p2align	6, 0x0
	.amdhsa_kernel _ZN7rocprim17ROCPRIM_400000_NS6detail17trampoline_kernelINS0_14default_configENS1_20scan_config_selectorI3IntEEZZNS1_9scan_implILNS1_25lookback_scan_determinismE0ELb0ELb0ES3_N6thrust23THRUST_200600_302600_NS6detail15normal_iteratorINSA_10device_ptrIKS5_EEEENSC_INSD_IS5_EEEES5_NSA_4plusIvEES5_EEDaPvRmT3_T4_T5_mT6_P12ihipStream_tbENKUlT_T0_E_clISt17integral_constantIbLb1EESX_IbLb0EEEEDaST_SU_EUlST_E0_NS1_11comp_targetILNS1_3genE5ELNS1_11target_archE942ELNS1_3gpuE9ELNS1_3repE0EEENS1_30default_config_static_selectorELNS0_4arch9wavefront6targetE1EEEvT1_
		.amdhsa_group_segment_fixed_size 0
		.amdhsa_private_segment_fixed_size 0
		.amdhsa_kernarg_size 32
		.amdhsa_user_sgpr_count 6
		.amdhsa_user_sgpr_private_segment_buffer 1
		.amdhsa_user_sgpr_dispatch_ptr 0
		.amdhsa_user_sgpr_queue_ptr 0
		.amdhsa_user_sgpr_kernarg_segment_ptr 1
		.amdhsa_user_sgpr_dispatch_id 0
		.amdhsa_user_sgpr_flat_scratch_init 0
		.amdhsa_user_sgpr_kernarg_preload_length 0
		.amdhsa_user_sgpr_kernarg_preload_offset 0
		.amdhsa_user_sgpr_private_segment_size 0
		.amdhsa_uses_dynamic_stack 0
		.amdhsa_system_sgpr_private_segment_wavefront_offset 0
		.amdhsa_system_sgpr_workgroup_id_x 1
		.amdhsa_system_sgpr_workgroup_id_y 0
		.amdhsa_system_sgpr_workgroup_id_z 0
		.amdhsa_system_sgpr_workgroup_info 0
		.amdhsa_system_vgpr_workitem_id 0
		.amdhsa_next_free_vgpr 1
		.amdhsa_next_free_sgpr 0
		.amdhsa_accum_offset 4
		.amdhsa_reserve_vcc 0
		.amdhsa_reserve_flat_scratch 0
		.amdhsa_float_round_mode_32 0
		.amdhsa_float_round_mode_16_64 0
		.amdhsa_float_denorm_mode_32 3
		.amdhsa_float_denorm_mode_16_64 3
		.amdhsa_dx10_clamp 1
		.amdhsa_ieee_mode 1
		.amdhsa_fp16_overflow 0
		.amdhsa_tg_split 0
		.amdhsa_exception_fp_ieee_invalid_op 0
		.amdhsa_exception_fp_denorm_src 0
		.amdhsa_exception_fp_ieee_div_zero 0
		.amdhsa_exception_fp_ieee_overflow 0
		.amdhsa_exception_fp_ieee_underflow 0
		.amdhsa_exception_fp_ieee_inexact 0
		.amdhsa_exception_int_div_zero 0
	.end_amdhsa_kernel
	.section	.text._ZN7rocprim17ROCPRIM_400000_NS6detail17trampoline_kernelINS0_14default_configENS1_20scan_config_selectorI3IntEEZZNS1_9scan_implILNS1_25lookback_scan_determinismE0ELb0ELb0ES3_N6thrust23THRUST_200600_302600_NS6detail15normal_iteratorINSA_10device_ptrIKS5_EEEENSC_INSD_IS5_EEEES5_NSA_4plusIvEES5_EEDaPvRmT3_T4_T5_mT6_P12ihipStream_tbENKUlT_T0_E_clISt17integral_constantIbLb1EESX_IbLb0EEEEDaST_SU_EUlST_E0_NS1_11comp_targetILNS1_3genE5ELNS1_11target_archE942ELNS1_3gpuE9ELNS1_3repE0EEENS1_30default_config_static_selectorELNS0_4arch9wavefront6targetE1EEEvT1_,"axG",@progbits,_ZN7rocprim17ROCPRIM_400000_NS6detail17trampoline_kernelINS0_14default_configENS1_20scan_config_selectorI3IntEEZZNS1_9scan_implILNS1_25lookback_scan_determinismE0ELb0ELb0ES3_N6thrust23THRUST_200600_302600_NS6detail15normal_iteratorINSA_10device_ptrIKS5_EEEENSC_INSD_IS5_EEEES5_NSA_4plusIvEES5_EEDaPvRmT3_T4_T5_mT6_P12ihipStream_tbENKUlT_T0_E_clISt17integral_constantIbLb1EESX_IbLb0EEEEDaST_SU_EUlST_E0_NS1_11comp_targetILNS1_3genE5ELNS1_11target_archE942ELNS1_3gpuE9ELNS1_3repE0EEENS1_30default_config_static_selectorELNS0_4arch9wavefront6targetE1EEEvT1_,comdat
.Lfunc_end6953:
	.size	_ZN7rocprim17ROCPRIM_400000_NS6detail17trampoline_kernelINS0_14default_configENS1_20scan_config_selectorI3IntEEZZNS1_9scan_implILNS1_25lookback_scan_determinismE0ELb0ELb0ES3_N6thrust23THRUST_200600_302600_NS6detail15normal_iteratorINSA_10device_ptrIKS5_EEEENSC_INSD_IS5_EEEES5_NSA_4plusIvEES5_EEDaPvRmT3_T4_T5_mT6_P12ihipStream_tbENKUlT_T0_E_clISt17integral_constantIbLb1EESX_IbLb0EEEEDaST_SU_EUlST_E0_NS1_11comp_targetILNS1_3genE5ELNS1_11target_archE942ELNS1_3gpuE9ELNS1_3repE0EEENS1_30default_config_static_selectorELNS0_4arch9wavefront6targetE1EEEvT1_, .Lfunc_end6953-_ZN7rocprim17ROCPRIM_400000_NS6detail17trampoline_kernelINS0_14default_configENS1_20scan_config_selectorI3IntEEZZNS1_9scan_implILNS1_25lookback_scan_determinismE0ELb0ELb0ES3_N6thrust23THRUST_200600_302600_NS6detail15normal_iteratorINSA_10device_ptrIKS5_EEEENSC_INSD_IS5_EEEES5_NSA_4plusIvEES5_EEDaPvRmT3_T4_T5_mT6_P12ihipStream_tbENKUlT_T0_E_clISt17integral_constantIbLb1EESX_IbLb0EEEEDaST_SU_EUlST_E0_NS1_11comp_targetILNS1_3genE5ELNS1_11target_archE942ELNS1_3gpuE9ELNS1_3repE0EEENS1_30default_config_static_selectorELNS0_4arch9wavefront6targetE1EEEvT1_
                                        ; -- End function
	.section	.AMDGPU.csdata,"",@progbits
; Kernel info:
; codeLenInByte = 0
; NumSgprs: 4
; NumVgprs: 0
; NumAgprs: 0
; TotalNumVgprs: 0
; ScratchSize: 0
; MemoryBound: 0
; FloatMode: 240
; IeeeMode: 1
; LDSByteSize: 0 bytes/workgroup (compile time only)
; SGPRBlocks: 0
; VGPRBlocks: 0
; NumSGPRsForWavesPerEU: 4
; NumVGPRsForWavesPerEU: 1
; AccumOffset: 4
; Occupancy: 8
; WaveLimiterHint : 0
; COMPUTE_PGM_RSRC2:SCRATCH_EN: 0
; COMPUTE_PGM_RSRC2:USER_SGPR: 6
; COMPUTE_PGM_RSRC2:TRAP_HANDLER: 0
; COMPUTE_PGM_RSRC2:TGID_X_EN: 1
; COMPUTE_PGM_RSRC2:TGID_Y_EN: 0
; COMPUTE_PGM_RSRC2:TGID_Z_EN: 0
; COMPUTE_PGM_RSRC2:TIDIG_COMP_CNT: 0
; COMPUTE_PGM_RSRC3_GFX90A:ACCUM_OFFSET: 0
; COMPUTE_PGM_RSRC3_GFX90A:TG_SPLIT: 0
	.section	.text._ZN7rocprim17ROCPRIM_400000_NS6detail17trampoline_kernelINS0_14default_configENS1_20scan_config_selectorI3IntEEZZNS1_9scan_implILNS1_25lookback_scan_determinismE0ELb0ELb0ES3_N6thrust23THRUST_200600_302600_NS6detail15normal_iteratorINSA_10device_ptrIKS5_EEEENSC_INSD_IS5_EEEES5_NSA_4plusIvEES5_EEDaPvRmT3_T4_T5_mT6_P12ihipStream_tbENKUlT_T0_E_clISt17integral_constantIbLb1EESX_IbLb0EEEEDaST_SU_EUlST_E0_NS1_11comp_targetILNS1_3genE4ELNS1_11target_archE910ELNS1_3gpuE8ELNS1_3repE0EEENS1_30default_config_static_selectorELNS0_4arch9wavefront6targetE1EEEvT1_,"axG",@progbits,_ZN7rocprim17ROCPRIM_400000_NS6detail17trampoline_kernelINS0_14default_configENS1_20scan_config_selectorI3IntEEZZNS1_9scan_implILNS1_25lookback_scan_determinismE0ELb0ELb0ES3_N6thrust23THRUST_200600_302600_NS6detail15normal_iteratorINSA_10device_ptrIKS5_EEEENSC_INSD_IS5_EEEES5_NSA_4plusIvEES5_EEDaPvRmT3_T4_T5_mT6_P12ihipStream_tbENKUlT_T0_E_clISt17integral_constantIbLb1EESX_IbLb0EEEEDaST_SU_EUlST_E0_NS1_11comp_targetILNS1_3genE4ELNS1_11target_archE910ELNS1_3gpuE8ELNS1_3repE0EEENS1_30default_config_static_selectorELNS0_4arch9wavefront6targetE1EEEvT1_,comdat
	.protected	_ZN7rocprim17ROCPRIM_400000_NS6detail17trampoline_kernelINS0_14default_configENS1_20scan_config_selectorI3IntEEZZNS1_9scan_implILNS1_25lookback_scan_determinismE0ELb0ELb0ES3_N6thrust23THRUST_200600_302600_NS6detail15normal_iteratorINSA_10device_ptrIKS5_EEEENSC_INSD_IS5_EEEES5_NSA_4plusIvEES5_EEDaPvRmT3_T4_T5_mT6_P12ihipStream_tbENKUlT_T0_E_clISt17integral_constantIbLb1EESX_IbLb0EEEEDaST_SU_EUlST_E0_NS1_11comp_targetILNS1_3genE4ELNS1_11target_archE910ELNS1_3gpuE8ELNS1_3repE0EEENS1_30default_config_static_selectorELNS0_4arch9wavefront6targetE1EEEvT1_ ; -- Begin function _ZN7rocprim17ROCPRIM_400000_NS6detail17trampoline_kernelINS0_14default_configENS1_20scan_config_selectorI3IntEEZZNS1_9scan_implILNS1_25lookback_scan_determinismE0ELb0ELb0ES3_N6thrust23THRUST_200600_302600_NS6detail15normal_iteratorINSA_10device_ptrIKS5_EEEENSC_INSD_IS5_EEEES5_NSA_4plusIvEES5_EEDaPvRmT3_T4_T5_mT6_P12ihipStream_tbENKUlT_T0_E_clISt17integral_constantIbLb1EESX_IbLb0EEEEDaST_SU_EUlST_E0_NS1_11comp_targetILNS1_3genE4ELNS1_11target_archE910ELNS1_3gpuE8ELNS1_3repE0EEENS1_30default_config_static_selectorELNS0_4arch9wavefront6targetE1EEEvT1_
	.globl	_ZN7rocprim17ROCPRIM_400000_NS6detail17trampoline_kernelINS0_14default_configENS1_20scan_config_selectorI3IntEEZZNS1_9scan_implILNS1_25lookback_scan_determinismE0ELb0ELb0ES3_N6thrust23THRUST_200600_302600_NS6detail15normal_iteratorINSA_10device_ptrIKS5_EEEENSC_INSD_IS5_EEEES5_NSA_4plusIvEES5_EEDaPvRmT3_T4_T5_mT6_P12ihipStream_tbENKUlT_T0_E_clISt17integral_constantIbLb1EESX_IbLb0EEEEDaST_SU_EUlST_E0_NS1_11comp_targetILNS1_3genE4ELNS1_11target_archE910ELNS1_3gpuE8ELNS1_3repE0EEENS1_30default_config_static_selectorELNS0_4arch9wavefront6targetE1EEEvT1_
	.p2align	8
	.type	_ZN7rocprim17ROCPRIM_400000_NS6detail17trampoline_kernelINS0_14default_configENS1_20scan_config_selectorI3IntEEZZNS1_9scan_implILNS1_25lookback_scan_determinismE0ELb0ELb0ES3_N6thrust23THRUST_200600_302600_NS6detail15normal_iteratorINSA_10device_ptrIKS5_EEEENSC_INSD_IS5_EEEES5_NSA_4plusIvEES5_EEDaPvRmT3_T4_T5_mT6_P12ihipStream_tbENKUlT_T0_E_clISt17integral_constantIbLb1EESX_IbLb0EEEEDaST_SU_EUlST_E0_NS1_11comp_targetILNS1_3genE4ELNS1_11target_archE910ELNS1_3gpuE8ELNS1_3repE0EEENS1_30default_config_static_selectorELNS0_4arch9wavefront6targetE1EEEvT1_,@function
_ZN7rocprim17ROCPRIM_400000_NS6detail17trampoline_kernelINS0_14default_configENS1_20scan_config_selectorI3IntEEZZNS1_9scan_implILNS1_25lookback_scan_determinismE0ELb0ELb0ES3_N6thrust23THRUST_200600_302600_NS6detail15normal_iteratorINSA_10device_ptrIKS5_EEEENSC_INSD_IS5_EEEES5_NSA_4plusIvEES5_EEDaPvRmT3_T4_T5_mT6_P12ihipStream_tbENKUlT_T0_E_clISt17integral_constantIbLb1EESX_IbLb0EEEEDaST_SU_EUlST_E0_NS1_11comp_targetILNS1_3genE4ELNS1_11target_archE910ELNS1_3gpuE8ELNS1_3repE0EEENS1_30default_config_static_selectorELNS0_4arch9wavefront6targetE1EEEvT1_: ; @_ZN7rocprim17ROCPRIM_400000_NS6detail17trampoline_kernelINS0_14default_configENS1_20scan_config_selectorI3IntEEZZNS1_9scan_implILNS1_25lookback_scan_determinismE0ELb0ELb0ES3_N6thrust23THRUST_200600_302600_NS6detail15normal_iteratorINSA_10device_ptrIKS5_EEEENSC_INSD_IS5_EEEES5_NSA_4plusIvEES5_EEDaPvRmT3_T4_T5_mT6_P12ihipStream_tbENKUlT_T0_E_clISt17integral_constantIbLb1EESX_IbLb0EEEEDaST_SU_EUlST_E0_NS1_11comp_targetILNS1_3genE4ELNS1_11target_archE910ELNS1_3gpuE8ELNS1_3repE0EEENS1_30default_config_static_selectorELNS0_4arch9wavefront6targetE1EEEvT1_
; %bb.0:
	s_load_dwordx4 s[20:23], s[4:5], 0x0
	v_lshlrev_b32_e32 v20, 2, v0
	s_waitcnt lgkmcnt(0)
	s_load_dword s23, s[20:21], 0x0
	v_cmp_gt_u32_e32 vcc, s22, v0
	s_waitcnt lgkmcnt(0)
	v_mov_b32_e32 v1, s23
	s_and_saveexec_b64 s[0:1], vcc
	s_cbranch_execz .LBB6954_2
; %bb.1:
	global_load_dword v1, v20, s[20:21]
.LBB6954_2:
	s_or_b64 exec, exec, s[0:1]
	v_or_b32_e32 v2, 0x80, v0
	v_cmp_gt_u32_e64 s[0:1], s22, v2
	v_mov_b32_e32 v2, s23
	s_and_saveexec_b64 s[2:3], s[0:1]
	s_cbranch_execz .LBB6954_4
; %bb.3:
	global_load_dword v2, v20, s[20:21] offset:512
.LBB6954_4:
	s_or_b64 exec, exec, s[2:3]
	v_or_b32_e32 v3, 0x100, v0
	v_cmp_gt_u32_e64 s[2:3], s22, v3
	v_mov_b32_e32 v3, s23
	s_and_saveexec_b64 s[6:7], s[2:3]
	s_cbranch_execz .LBB6954_6
; %bb.5:
	global_load_dword v3, v20, s[20:21] offset:1024
.LBB6954_6:
	;; [unrolled: 9-line block ×7, first 2 shown]
	s_or_b64 exec, exec, s[14:15]
	v_or_b32_e32 v10, 0x400, v0
	v_cmp_gt_u32_e64 s[14:15], s22, v10
	v_mov_b32_e32 v9, s23
	s_and_saveexec_b64 s[16:17], s[14:15]
	s_cbranch_execz .LBB6954_18
; %bb.17:
	v_lshlrev_b32_e32 v9, 2, v10
	global_load_dword v9, v9, s[20:21]
.LBB6954_18:
	s_or_b64 exec, exec, s[16:17]
	v_or_b32_e32 v11, 0x480, v0
	v_cmp_gt_u32_e64 s[16:17], s22, v11
	v_mov_b32_e32 v10, s23
	s_and_saveexec_b64 s[22:23], s[16:17]
	s_cbranch_execz .LBB6954_20
; %bb.19:
	v_lshlrev_b32_e32 v10, 2, v11
	global_load_dword v10, v10, s[20:21]
.LBB6954_20:
	s_or_b64 exec, exec, s[22:23]
	s_waitcnt vmcnt(0)
	ds_write2st64_b32 v20, v1, v2 offset1:2
	ds_write2st64_b32 v20, v3, v4 offset0:4 offset1:6
	ds_write2st64_b32 v20, v5, v6 offset0:8 offset1:10
	;; [unrolled: 1-line block ×4, first 2 shown]
	v_mad_u32_u24 v1, v0, 36, v20
	s_waitcnt lgkmcnt(0)
	s_barrier
	ds_read2_b64 v[6:9], v1 offset1:1
	ds_read2_b64 v[2:5], v1 offset0:2 offset1:3
	ds_read_b64 v[18:19], v1 offset:32
	v_lshrrev_b32_e32 v21, 3, v0
	v_and_b32_e32 v21, 12, v21
	s_waitcnt lgkmcnt(2)
	v_add_u32_e32 v1, v7, v6
	v_add_u32_e32 v14, v1, v8
	;; [unrolled: 1-line block ×3, first 2 shown]
	s_waitcnt lgkmcnt(1)
	v_add_u32_e32 v10, v15, v2
	v_add_u32_e32 v11, v10, v3
	;; [unrolled: 1-line block ×4, first 2 shown]
	s_waitcnt lgkmcnt(0)
	v_add_u32_e32 v16, v13, v18
	v_add_u32_e32 v17, v16, v19
	;; [unrolled: 1-line block ×3, first 2 shown]
	v_cmp_gt_u32_e64 s[20:21], 64, v0
	s_barrier
	ds_write_b32 v21, v17
	s_waitcnt lgkmcnt(0)
	s_barrier
	s_and_saveexec_b64 s[22:23], s[20:21]
	s_cbranch_execz .LBB6954_22
; %bb.21:
	v_lshlrev_b32_e32 v21, 1, v0
	v_lshrrev_b32_e32 v22, 4, v0
	v_add_lshl_u32 v21, v22, v21, 2
	ds_read2_b32 v[22:23], v21 offset1:1
	v_mbcnt_lo_u32_b32 v24, -1, 0
	v_mbcnt_hi_u32_b32 v24, -1, v24
	v_and_b32_e32 v25, 15, v24
	v_cmp_ne_u32_e64 s[20:21], 0, v25
	s_waitcnt lgkmcnt(0)
	v_add_u32_e32 v23, v23, v22
	; wave barrier
	s_nop 1
	v_mov_b32_dpp v26, v23 row_shr:1 row_mask:0xf bank_mask:0xf
	v_cndmask_b32_e64 v26, 0, v26, s[20:21]
	v_add_u32_e32 v23, v26, v23
	v_cmp_lt_u32_e64 s[20:21], 1, v25
	s_nop 0
	v_mov_b32_dpp v26, v23 row_shr:2 row_mask:0xf bank_mask:0xf
	v_cndmask_b32_e64 v26, 0, v26, s[20:21]
	v_add_u32_e32 v23, v23, v26
	v_cmp_lt_u32_e64 s[20:21], 3, v25
	;; [unrolled: 5-line block ×3, first 2 shown]
	s_nop 0
	v_mov_b32_dpp v26, v23 row_shr:8 row_mask:0xf bank_mask:0xf
	v_cndmask_b32_e64 v25, 0, v26, s[20:21]
	v_add_u32_e32 v23, v23, v25
	v_bfe_i32 v26, v24, 4, 1
	v_cmp_lt_u32_e64 s[20:21], 31, v24
	v_mov_b32_dpp v25, v23 row_bcast:15 row_mask:0xf bank_mask:0xf
	v_and_b32_e32 v25, v26, v25
	v_add_u32_e32 v23, v23, v25
	v_and_b32_e32 v26, 64, v24
	s_nop 0
	v_mov_b32_dpp v25, v23 row_bcast:31 row_mask:0xf bank_mask:0xf
	v_cndmask_b32_e64 v25, 0, v25, s[20:21]
	v_add_u32_e32 v23, v23, v25
	v_add_u32_e32 v25, -1, v24
	v_cmp_lt_i32_e64 s[20:21], v25, v26
	v_cndmask_b32_e64 v24, v25, v24, s[20:21]
	v_lshlrev_b32_e32 v24, 2, v24
	ds_bpermute_b32 v23, v24, v23
	v_cmp_eq_u32_e64 s[20:21], 0, v0
	s_waitcnt lgkmcnt(0)
	v_add_u32_e32 v22, v23, v22
	v_cndmask_b32_e64 v22, v22, v17, s[20:21]
	ds_write_b32 v21, v22
	; wave barrier
	ds_read_b32 v23, v21 offset:4
	s_waitcnt lgkmcnt(0)
	v_add_u32_e32 v22, v23, v22
	ds_write_b32 v21, v22 offset:4
.LBB6954_22:
	s_or_b64 exec, exec, s[22:23]
	s_load_dwordx2 s[20:21], s[4:5], 0x18
	v_cmp_ne_u32_e64 s[4:5], 0, v0
	v_mov_b32_e32 v22, v17
	s_waitcnt lgkmcnt(0)
	s_barrier
	s_and_saveexec_b64 s[22:23], s[4:5]
	s_cbranch_execz .LBB6954_24
; %bb.23:
	v_add_u32_e32 v21, -1, v0
	v_lshrrev_b32_e32 v22, 5, v21
	v_add_lshl_u32 v21, v22, v21, 2
	ds_read_b32 v22, v21
.LBB6954_24:
	s_or_b64 exec, exec, s[22:23]
	v_mul_u32_u24_e32 v21, 36, v0
	v_mov_b32_e32 v0, v6
	s_and_saveexec_b64 s[22:23], s[4:5]
	s_cbranch_execz .LBB6954_26
; %bb.25:
	s_waitcnt lgkmcnt(0)
	v_add_u32_e32 v0, v22, v6
	v_add_u32_e32 v1, v0, v7
	v_add_u32_e32 v14, v1, v8
	v_add_u32_e32 v15, v14, v9
	v_add_u32_e32 v10, v15, v2
	v_add_u32_e32 v11, v10, v3
	v_add_u32_e32 v12, v11, v4
	v_add_u32_e32 v13, v12, v5
	v_add_u32_e32 v16, v13, v18
	v_add_u32_e32 v17, v16, v19
	;;#ASMSTART
	;;#ASMEND
.LBB6954_26:
	s_or_b64 exec, exec, s[22:23]
	v_add_u32_e32 v2, v20, v21
	s_waitcnt lgkmcnt(0)
	s_barrier
	ds_write2_b64 v2, v[0:1], v[14:15] offset1:1
	ds_write2_b64 v2, v[10:11], v[12:13] offset0:2 offset1:3
	ds_write_b64 v2, v[16:17] offset:32
	s_waitcnt lgkmcnt(0)
	s_barrier
	ds_read2st64_b32 v[8:9], v20 offset0:2 offset1:4
	ds_read2st64_b32 v[6:7], v20 offset0:6 offset1:8
	;; [unrolled: 1-line block ×4, first 2 shown]
	ds_read_b32 v10, v20 offset:4608
	v_mov_b32_e32 v1, s21
	v_add_co_u32_e64 v0, s[4:5], s20, v20
	v_addc_co_u32_e64 v1, s[4:5], 0, v1, s[4:5]
	s_and_saveexec_b64 s[4:5], vcc
	s_cbranch_execnz .LBB6954_37
; %bb.27:
	s_or_b64 exec, exec, s[4:5]
	s_and_saveexec_b64 s[4:5], s[0:1]
	s_cbranch_execnz .LBB6954_38
.LBB6954_28:
	s_or_b64 exec, exec, s[4:5]
	s_and_saveexec_b64 s[0:1], s[2:3]
	s_cbranch_execnz .LBB6954_39
.LBB6954_29:
	s_or_b64 exec, exec, s[0:1]
	s_and_saveexec_b64 s[0:1], s[18:19]
	s_cbranch_execnz .LBB6954_40
.LBB6954_30:
	s_or_b64 exec, exec, s[0:1]
	s_and_saveexec_b64 s[0:1], s[6:7]
	s_cbranch_execnz .LBB6954_41
.LBB6954_31:
	s_or_b64 exec, exec, s[0:1]
	s_and_saveexec_b64 s[0:1], s[8:9]
	s_cbranch_execnz .LBB6954_42
.LBB6954_32:
	s_or_b64 exec, exec, s[0:1]
	s_and_saveexec_b64 s[0:1], s[10:11]
	s_cbranch_execnz .LBB6954_43
.LBB6954_33:
	s_or_b64 exec, exec, s[0:1]
	s_and_saveexec_b64 s[0:1], s[12:13]
	s_cbranch_execnz .LBB6954_44
.LBB6954_34:
	s_or_b64 exec, exec, s[0:1]
	s_and_saveexec_b64 s[0:1], s[14:15]
	s_cbranch_execnz .LBB6954_45
.LBB6954_35:
	s_or_b64 exec, exec, s[0:1]
	s_and_saveexec_b64 s[0:1], s[16:17]
	s_cbranch_execnz .LBB6954_46
.LBB6954_36:
	s_endpgm
.LBB6954_37:
	ds_read_b32 v11, v20
	s_waitcnt lgkmcnt(0)
	global_store_dword v[0:1], v11, off
	s_or_b64 exec, exec, s[4:5]
	s_and_saveexec_b64 s[4:5], s[0:1]
	s_cbranch_execz .LBB6954_28
.LBB6954_38:
	s_waitcnt lgkmcnt(4)
	global_store_dword v[0:1], v8, off offset:512
	s_or_b64 exec, exec, s[4:5]
	s_and_saveexec_b64 s[0:1], s[2:3]
	s_cbranch_execz .LBB6954_29
.LBB6954_39:
	s_waitcnt lgkmcnt(4)
	global_store_dword v[0:1], v9, off offset:1024
	s_or_b64 exec, exec, s[0:1]
	s_and_saveexec_b64 s[0:1], s[18:19]
	s_cbranch_execz .LBB6954_30
.LBB6954_40:
	s_waitcnt lgkmcnt(3)
	global_store_dword v[0:1], v6, off offset:1536
	s_or_b64 exec, exec, s[0:1]
	s_and_saveexec_b64 s[0:1], s[6:7]
	s_cbranch_execz .LBB6954_31
.LBB6954_41:
	s_waitcnt lgkmcnt(3)
	global_store_dword v[0:1], v7, off offset:2048
	s_or_b64 exec, exec, s[0:1]
	s_and_saveexec_b64 s[0:1], s[8:9]
	s_cbranch_execz .LBB6954_32
.LBB6954_42:
	s_waitcnt lgkmcnt(2)
	global_store_dword v[0:1], v4, off offset:2560
	s_or_b64 exec, exec, s[0:1]
	s_and_saveexec_b64 s[0:1], s[10:11]
	s_cbranch_execz .LBB6954_33
.LBB6954_43:
	s_waitcnt lgkmcnt(2)
	global_store_dword v[0:1], v5, off offset:3072
	s_or_b64 exec, exec, s[0:1]
	s_and_saveexec_b64 s[0:1], s[12:13]
	s_cbranch_execz .LBB6954_34
.LBB6954_44:
	s_waitcnt lgkmcnt(1)
	global_store_dword v[0:1], v2, off offset:3584
	s_or_b64 exec, exec, s[0:1]
	s_and_saveexec_b64 s[0:1], s[14:15]
	s_cbranch_execz .LBB6954_35
.LBB6954_45:
	s_waitcnt lgkmcnt(2)
	v_add_co_u32_e32 v4, vcc, 0x1000, v0
	v_addc_co_u32_e32 v5, vcc, 0, v1, vcc
	s_waitcnt lgkmcnt(1)
	global_store_dword v[4:5], v3, off
	s_or_b64 exec, exec, s[0:1]
	s_and_saveexec_b64 s[0:1], s[16:17]
	s_cbranch_execz .LBB6954_36
.LBB6954_46:
	v_add_co_u32_e32 v0, vcc, 0x1000, v0
	v_addc_co_u32_e32 v1, vcc, 0, v1, vcc
	s_waitcnt lgkmcnt(0)
	global_store_dword v[0:1], v10, off offset:512
	s_endpgm
	.section	.rodata,"a",@progbits
	.p2align	6, 0x0
	.amdhsa_kernel _ZN7rocprim17ROCPRIM_400000_NS6detail17trampoline_kernelINS0_14default_configENS1_20scan_config_selectorI3IntEEZZNS1_9scan_implILNS1_25lookback_scan_determinismE0ELb0ELb0ES3_N6thrust23THRUST_200600_302600_NS6detail15normal_iteratorINSA_10device_ptrIKS5_EEEENSC_INSD_IS5_EEEES5_NSA_4plusIvEES5_EEDaPvRmT3_T4_T5_mT6_P12ihipStream_tbENKUlT_T0_E_clISt17integral_constantIbLb1EESX_IbLb0EEEEDaST_SU_EUlST_E0_NS1_11comp_targetILNS1_3genE4ELNS1_11target_archE910ELNS1_3gpuE8ELNS1_3repE0EEENS1_30default_config_static_selectorELNS0_4arch9wavefront6targetE1EEEvT1_
		.amdhsa_group_segment_fixed_size 5120
		.amdhsa_private_segment_fixed_size 0
		.amdhsa_kernarg_size 32
		.amdhsa_user_sgpr_count 6
		.amdhsa_user_sgpr_private_segment_buffer 1
		.amdhsa_user_sgpr_dispatch_ptr 0
		.amdhsa_user_sgpr_queue_ptr 0
		.amdhsa_user_sgpr_kernarg_segment_ptr 1
		.amdhsa_user_sgpr_dispatch_id 0
		.amdhsa_user_sgpr_flat_scratch_init 0
		.amdhsa_user_sgpr_kernarg_preload_length 0
		.amdhsa_user_sgpr_kernarg_preload_offset 0
		.amdhsa_user_sgpr_private_segment_size 0
		.amdhsa_uses_dynamic_stack 0
		.amdhsa_system_sgpr_private_segment_wavefront_offset 0
		.amdhsa_system_sgpr_workgroup_id_x 1
		.amdhsa_system_sgpr_workgroup_id_y 0
		.amdhsa_system_sgpr_workgroup_id_z 0
		.amdhsa_system_sgpr_workgroup_info 0
		.amdhsa_system_vgpr_workitem_id 0
		.amdhsa_next_free_vgpr 27
		.amdhsa_next_free_sgpr 24
		.amdhsa_accum_offset 28
		.amdhsa_reserve_vcc 1
		.amdhsa_reserve_flat_scratch 0
		.amdhsa_float_round_mode_32 0
		.amdhsa_float_round_mode_16_64 0
		.amdhsa_float_denorm_mode_32 3
		.amdhsa_float_denorm_mode_16_64 3
		.amdhsa_dx10_clamp 1
		.amdhsa_ieee_mode 1
		.amdhsa_fp16_overflow 0
		.amdhsa_tg_split 0
		.amdhsa_exception_fp_ieee_invalid_op 0
		.amdhsa_exception_fp_denorm_src 0
		.amdhsa_exception_fp_ieee_div_zero 0
		.amdhsa_exception_fp_ieee_overflow 0
		.amdhsa_exception_fp_ieee_underflow 0
		.amdhsa_exception_fp_ieee_inexact 0
		.amdhsa_exception_int_div_zero 0
	.end_amdhsa_kernel
	.section	.text._ZN7rocprim17ROCPRIM_400000_NS6detail17trampoline_kernelINS0_14default_configENS1_20scan_config_selectorI3IntEEZZNS1_9scan_implILNS1_25lookback_scan_determinismE0ELb0ELb0ES3_N6thrust23THRUST_200600_302600_NS6detail15normal_iteratorINSA_10device_ptrIKS5_EEEENSC_INSD_IS5_EEEES5_NSA_4plusIvEES5_EEDaPvRmT3_T4_T5_mT6_P12ihipStream_tbENKUlT_T0_E_clISt17integral_constantIbLb1EESX_IbLb0EEEEDaST_SU_EUlST_E0_NS1_11comp_targetILNS1_3genE4ELNS1_11target_archE910ELNS1_3gpuE8ELNS1_3repE0EEENS1_30default_config_static_selectorELNS0_4arch9wavefront6targetE1EEEvT1_,"axG",@progbits,_ZN7rocprim17ROCPRIM_400000_NS6detail17trampoline_kernelINS0_14default_configENS1_20scan_config_selectorI3IntEEZZNS1_9scan_implILNS1_25lookback_scan_determinismE0ELb0ELb0ES3_N6thrust23THRUST_200600_302600_NS6detail15normal_iteratorINSA_10device_ptrIKS5_EEEENSC_INSD_IS5_EEEES5_NSA_4plusIvEES5_EEDaPvRmT3_T4_T5_mT6_P12ihipStream_tbENKUlT_T0_E_clISt17integral_constantIbLb1EESX_IbLb0EEEEDaST_SU_EUlST_E0_NS1_11comp_targetILNS1_3genE4ELNS1_11target_archE910ELNS1_3gpuE8ELNS1_3repE0EEENS1_30default_config_static_selectorELNS0_4arch9wavefront6targetE1EEEvT1_,comdat
.Lfunc_end6954:
	.size	_ZN7rocprim17ROCPRIM_400000_NS6detail17trampoline_kernelINS0_14default_configENS1_20scan_config_selectorI3IntEEZZNS1_9scan_implILNS1_25lookback_scan_determinismE0ELb0ELb0ES3_N6thrust23THRUST_200600_302600_NS6detail15normal_iteratorINSA_10device_ptrIKS5_EEEENSC_INSD_IS5_EEEES5_NSA_4plusIvEES5_EEDaPvRmT3_T4_T5_mT6_P12ihipStream_tbENKUlT_T0_E_clISt17integral_constantIbLb1EESX_IbLb0EEEEDaST_SU_EUlST_E0_NS1_11comp_targetILNS1_3genE4ELNS1_11target_archE910ELNS1_3gpuE8ELNS1_3repE0EEENS1_30default_config_static_selectorELNS0_4arch9wavefront6targetE1EEEvT1_, .Lfunc_end6954-_ZN7rocprim17ROCPRIM_400000_NS6detail17trampoline_kernelINS0_14default_configENS1_20scan_config_selectorI3IntEEZZNS1_9scan_implILNS1_25lookback_scan_determinismE0ELb0ELb0ES3_N6thrust23THRUST_200600_302600_NS6detail15normal_iteratorINSA_10device_ptrIKS5_EEEENSC_INSD_IS5_EEEES5_NSA_4plusIvEES5_EEDaPvRmT3_T4_T5_mT6_P12ihipStream_tbENKUlT_T0_E_clISt17integral_constantIbLb1EESX_IbLb0EEEEDaST_SU_EUlST_E0_NS1_11comp_targetILNS1_3genE4ELNS1_11target_archE910ELNS1_3gpuE8ELNS1_3repE0EEENS1_30default_config_static_selectorELNS0_4arch9wavefront6targetE1EEEvT1_
                                        ; -- End function
	.section	.AMDGPU.csdata,"",@progbits
; Kernel info:
; codeLenInByte = 1556
; NumSgprs: 28
; NumVgprs: 27
; NumAgprs: 0
; TotalNumVgprs: 27
; ScratchSize: 0
; MemoryBound: 0
; FloatMode: 240
; IeeeMode: 1
; LDSByteSize: 5120 bytes/workgroup (compile time only)
; SGPRBlocks: 3
; VGPRBlocks: 3
; NumSGPRsForWavesPerEU: 28
; NumVGPRsForWavesPerEU: 27
; AccumOffset: 28
; Occupancy: 6
; WaveLimiterHint : 0
; COMPUTE_PGM_RSRC2:SCRATCH_EN: 0
; COMPUTE_PGM_RSRC2:USER_SGPR: 6
; COMPUTE_PGM_RSRC2:TRAP_HANDLER: 0
; COMPUTE_PGM_RSRC2:TGID_X_EN: 1
; COMPUTE_PGM_RSRC2:TGID_Y_EN: 0
; COMPUTE_PGM_RSRC2:TGID_Z_EN: 0
; COMPUTE_PGM_RSRC2:TIDIG_COMP_CNT: 0
; COMPUTE_PGM_RSRC3_GFX90A:ACCUM_OFFSET: 6
; COMPUTE_PGM_RSRC3_GFX90A:TG_SPLIT: 0
	.section	.text._ZN7rocprim17ROCPRIM_400000_NS6detail17trampoline_kernelINS0_14default_configENS1_20scan_config_selectorI3IntEEZZNS1_9scan_implILNS1_25lookback_scan_determinismE0ELb0ELb0ES3_N6thrust23THRUST_200600_302600_NS6detail15normal_iteratorINSA_10device_ptrIKS5_EEEENSC_INSD_IS5_EEEES5_NSA_4plusIvEES5_EEDaPvRmT3_T4_T5_mT6_P12ihipStream_tbENKUlT_T0_E_clISt17integral_constantIbLb1EESX_IbLb0EEEEDaST_SU_EUlST_E0_NS1_11comp_targetILNS1_3genE3ELNS1_11target_archE908ELNS1_3gpuE7ELNS1_3repE0EEENS1_30default_config_static_selectorELNS0_4arch9wavefront6targetE1EEEvT1_,"axG",@progbits,_ZN7rocprim17ROCPRIM_400000_NS6detail17trampoline_kernelINS0_14default_configENS1_20scan_config_selectorI3IntEEZZNS1_9scan_implILNS1_25lookback_scan_determinismE0ELb0ELb0ES3_N6thrust23THRUST_200600_302600_NS6detail15normal_iteratorINSA_10device_ptrIKS5_EEEENSC_INSD_IS5_EEEES5_NSA_4plusIvEES5_EEDaPvRmT3_T4_T5_mT6_P12ihipStream_tbENKUlT_T0_E_clISt17integral_constantIbLb1EESX_IbLb0EEEEDaST_SU_EUlST_E0_NS1_11comp_targetILNS1_3genE3ELNS1_11target_archE908ELNS1_3gpuE7ELNS1_3repE0EEENS1_30default_config_static_selectorELNS0_4arch9wavefront6targetE1EEEvT1_,comdat
	.protected	_ZN7rocprim17ROCPRIM_400000_NS6detail17trampoline_kernelINS0_14default_configENS1_20scan_config_selectorI3IntEEZZNS1_9scan_implILNS1_25lookback_scan_determinismE0ELb0ELb0ES3_N6thrust23THRUST_200600_302600_NS6detail15normal_iteratorINSA_10device_ptrIKS5_EEEENSC_INSD_IS5_EEEES5_NSA_4plusIvEES5_EEDaPvRmT3_T4_T5_mT6_P12ihipStream_tbENKUlT_T0_E_clISt17integral_constantIbLb1EESX_IbLb0EEEEDaST_SU_EUlST_E0_NS1_11comp_targetILNS1_3genE3ELNS1_11target_archE908ELNS1_3gpuE7ELNS1_3repE0EEENS1_30default_config_static_selectorELNS0_4arch9wavefront6targetE1EEEvT1_ ; -- Begin function _ZN7rocprim17ROCPRIM_400000_NS6detail17trampoline_kernelINS0_14default_configENS1_20scan_config_selectorI3IntEEZZNS1_9scan_implILNS1_25lookback_scan_determinismE0ELb0ELb0ES3_N6thrust23THRUST_200600_302600_NS6detail15normal_iteratorINSA_10device_ptrIKS5_EEEENSC_INSD_IS5_EEEES5_NSA_4plusIvEES5_EEDaPvRmT3_T4_T5_mT6_P12ihipStream_tbENKUlT_T0_E_clISt17integral_constantIbLb1EESX_IbLb0EEEEDaST_SU_EUlST_E0_NS1_11comp_targetILNS1_3genE3ELNS1_11target_archE908ELNS1_3gpuE7ELNS1_3repE0EEENS1_30default_config_static_selectorELNS0_4arch9wavefront6targetE1EEEvT1_
	.globl	_ZN7rocprim17ROCPRIM_400000_NS6detail17trampoline_kernelINS0_14default_configENS1_20scan_config_selectorI3IntEEZZNS1_9scan_implILNS1_25lookback_scan_determinismE0ELb0ELb0ES3_N6thrust23THRUST_200600_302600_NS6detail15normal_iteratorINSA_10device_ptrIKS5_EEEENSC_INSD_IS5_EEEES5_NSA_4plusIvEES5_EEDaPvRmT3_T4_T5_mT6_P12ihipStream_tbENKUlT_T0_E_clISt17integral_constantIbLb1EESX_IbLb0EEEEDaST_SU_EUlST_E0_NS1_11comp_targetILNS1_3genE3ELNS1_11target_archE908ELNS1_3gpuE7ELNS1_3repE0EEENS1_30default_config_static_selectorELNS0_4arch9wavefront6targetE1EEEvT1_
	.p2align	8
	.type	_ZN7rocprim17ROCPRIM_400000_NS6detail17trampoline_kernelINS0_14default_configENS1_20scan_config_selectorI3IntEEZZNS1_9scan_implILNS1_25lookback_scan_determinismE0ELb0ELb0ES3_N6thrust23THRUST_200600_302600_NS6detail15normal_iteratorINSA_10device_ptrIKS5_EEEENSC_INSD_IS5_EEEES5_NSA_4plusIvEES5_EEDaPvRmT3_T4_T5_mT6_P12ihipStream_tbENKUlT_T0_E_clISt17integral_constantIbLb1EESX_IbLb0EEEEDaST_SU_EUlST_E0_NS1_11comp_targetILNS1_3genE3ELNS1_11target_archE908ELNS1_3gpuE7ELNS1_3repE0EEENS1_30default_config_static_selectorELNS0_4arch9wavefront6targetE1EEEvT1_,@function
_ZN7rocprim17ROCPRIM_400000_NS6detail17trampoline_kernelINS0_14default_configENS1_20scan_config_selectorI3IntEEZZNS1_9scan_implILNS1_25lookback_scan_determinismE0ELb0ELb0ES3_N6thrust23THRUST_200600_302600_NS6detail15normal_iteratorINSA_10device_ptrIKS5_EEEENSC_INSD_IS5_EEEES5_NSA_4plusIvEES5_EEDaPvRmT3_T4_T5_mT6_P12ihipStream_tbENKUlT_T0_E_clISt17integral_constantIbLb1EESX_IbLb0EEEEDaST_SU_EUlST_E0_NS1_11comp_targetILNS1_3genE3ELNS1_11target_archE908ELNS1_3gpuE7ELNS1_3repE0EEENS1_30default_config_static_selectorELNS0_4arch9wavefront6targetE1EEEvT1_: ; @_ZN7rocprim17ROCPRIM_400000_NS6detail17trampoline_kernelINS0_14default_configENS1_20scan_config_selectorI3IntEEZZNS1_9scan_implILNS1_25lookback_scan_determinismE0ELb0ELb0ES3_N6thrust23THRUST_200600_302600_NS6detail15normal_iteratorINSA_10device_ptrIKS5_EEEENSC_INSD_IS5_EEEES5_NSA_4plusIvEES5_EEDaPvRmT3_T4_T5_mT6_P12ihipStream_tbENKUlT_T0_E_clISt17integral_constantIbLb1EESX_IbLb0EEEEDaST_SU_EUlST_E0_NS1_11comp_targetILNS1_3genE3ELNS1_11target_archE908ELNS1_3gpuE7ELNS1_3repE0EEENS1_30default_config_static_selectorELNS0_4arch9wavefront6targetE1EEEvT1_
; %bb.0:
	.section	.rodata,"a",@progbits
	.p2align	6, 0x0
	.amdhsa_kernel _ZN7rocprim17ROCPRIM_400000_NS6detail17trampoline_kernelINS0_14default_configENS1_20scan_config_selectorI3IntEEZZNS1_9scan_implILNS1_25lookback_scan_determinismE0ELb0ELb0ES3_N6thrust23THRUST_200600_302600_NS6detail15normal_iteratorINSA_10device_ptrIKS5_EEEENSC_INSD_IS5_EEEES5_NSA_4plusIvEES5_EEDaPvRmT3_T4_T5_mT6_P12ihipStream_tbENKUlT_T0_E_clISt17integral_constantIbLb1EESX_IbLb0EEEEDaST_SU_EUlST_E0_NS1_11comp_targetILNS1_3genE3ELNS1_11target_archE908ELNS1_3gpuE7ELNS1_3repE0EEENS1_30default_config_static_selectorELNS0_4arch9wavefront6targetE1EEEvT1_
		.amdhsa_group_segment_fixed_size 0
		.amdhsa_private_segment_fixed_size 0
		.amdhsa_kernarg_size 32
		.amdhsa_user_sgpr_count 6
		.amdhsa_user_sgpr_private_segment_buffer 1
		.amdhsa_user_sgpr_dispatch_ptr 0
		.amdhsa_user_sgpr_queue_ptr 0
		.amdhsa_user_sgpr_kernarg_segment_ptr 1
		.amdhsa_user_sgpr_dispatch_id 0
		.amdhsa_user_sgpr_flat_scratch_init 0
		.amdhsa_user_sgpr_kernarg_preload_length 0
		.amdhsa_user_sgpr_kernarg_preload_offset 0
		.amdhsa_user_sgpr_private_segment_size 0
		.amdhsa_uses_dynamic_stack 0
		.amdhsa_system_sgpr_private_segment_wavefront_offset 0
		.amdhsa_system_sgpr_workgroup_id_x 1
		.amdhsa_system_sgpr_workgroup_id_y 0
		.amdhsa_system_sgpr_workgroup_id_z 0
		.amdhsa_system_sgpr_workgroup_info 0
		.amdhsa_system_vgpr_workitem_id 0
		.amdhsa_next_free_vgpr 1
		.amdhsa_next_free_sgpr 0
		.amdhsa_accum_offset 4
		.amdhsa_reserve_vcc 0
		.amdhsa_reserve_flat_scratch 0
		.amdhsa_float_round_mode_32 0
		.amdhsa_float_round_mode_16_64 0
		.amdhsa_float_denorm_mode_32 3
		.amdhsa_float_denorm_mode_16_64 3
		.amdhsa_dx10_clamp 1
		.amdhsa_ieee_mode 1
		.amdhsa_fp16_overflow 0
		.amdhsa_tg_split 0
		.amdhsa_exception_fp_ieee_invalid_op 0
		.amdhsa_exception_fp_denorm_src 0
		.amdhsa_exception_fp_ieee_div_zero 0
		.amdhsa_exception_fp_ieee_overflow 0
		.amdhsa_exception_fp_ieee_underflow 0
		.amdhsa_exception_fp_ieee_inexact 0
		.amdhsa_exception_int_div_zero 0
	.end_amdhsa_kernel
	.section	.text._ZN7rocprim17ROCPRIM_400000_NS6detail17trampoline_kernelINS0_14default_configENS1_20scan_config_selectorI3IntEEZZNS1_9scan_implILNS1_25lookback_scan_determinismE0ELb0ELb0ES3_N6thrust23THRUST_200600_302600_NS6detail15normal_iteratorINSA_10device_ptrIKS5_EEEENSC_INSD_IS5_EEEES5_NSA_4plusIvEES5_EEDaPvRmT3_T4_T5_mT6_P12ihipStream_tbENKUlT_T0_E_clISt17integral_constantIbLb1EESX_IbLb0EEEEDaST_SU_EUlST_E0_NS1_11comp_targetILNS1_3genE3ELNS1_11target_archE908ELNS1_3gpuE7ELNS1_3repE0EEENS1_30default_config_static_selectorELNS0_4arch9wavefront6targetE1EEEvT1_,"axG",@progbits,_ZN7rocprim17ROCPRIM_400000_NS6detail17trampoline_kernelINS0_14default_configENS1_20scan_config_selectorI3IntEEZZNS1_9scan_implILNS1_25lookback_scan_determinismE0ELb0ELb0ES3_N6thrust23THRUST_200600_302600_NS6detail15normal_iteratorINSA_10device_ptrIKS5_EEEENSC_INSD_IS5_EEEES5_NSA_4plusIvEES5_EEDaPvRmT3_T4_T5_mT6_P12ihipStream_tbENKUlT_T0_E_clISt17integral_constantIbLb1EESX_IbLb0EEEEDaST_SU_EUlST_E0_NS1_11comp_targetILNS1_3genE3ELNS1_11target_archE908ELNS1_3gpuE7ELNS1_3repE0EEENS1_30default_config_static_selectorELNS0_4arch9wavefront6targetE1EEEvT1_,comdat
.Lfunc_end6955:
	.size	_ZN7rocprim17ROCPRIM_400000_NS6detail17trampoline_kernelINS0_14default_configENS1_20scan_config_selectorI3IntEEZZNS1_9scan_implILNS1_25lookback_scan_determinismE0ELb0ELb0ES3_N6thrust23THRUST_200600_302600_NS6detail15normal_iteratorINSA_10device_ptrIKS5_EEEENSC_INSD_IS5_EEEES5_NSA_4plusIvEES5_EEDaPvRmT3_T4_T5_mT6_P12ihipStream_tbENKUlT_T0_E_clISt17integral_constantIbLb1EESX_IbLb0EEEEDaST_SU_EUlST_E0_NS1_11comp_targetILNS1_3genE3ELNS1_11target_archE908ELNS1_3gpuE7ELNS1_3repE0EEENS1_30default_config_static_selectorELNS0_4arch9wavefront6targetE1EEEvT1_, .Lfunc_end6955-_ZN7rocprim17ROCPRIM_400000_NS6detail17trampoline_kernelINS0_14default_configENS1_20scan_config_selectorI3IntEEZZNS1_9scan_implILNS1_25lookback_scan_determinismE0ELb0ELb0ES3_N6thrust23THRUST_200600_302600_NS6detail15normal_iteratorINSA_10device_ptrIKS5_EEEENSC_INSD_IS5_EEEES5_NSA_4plusIvEES5_EEDaPvRmT3_T4_T5_mT6_P12ihipStream_tbENKUlT_T0_E_clISt17integral_constantIbLb1EESX_IbLb0EEEEDaST_SU_EUlST_E0_NS1_11comp_targetILNS1_3genE3ELNS1_11target_archE908ELNS1_3gpuE7ELNS1_3repE0EEENS1_30default_config_static_selectorELNS0_4arch9wavefront6targetE1EEEvT1_
                                        ; -- End function
	.section	.AMDGPU.csdata,"",@progbits
; Kernel info:
; codeLenInByte = 0
; NumSgprs: 4
; NumVgprs: 0
; NumAgprs: 0
; TotalNumVgprs: 0
; ScratchSize: 0
; MemoryBound: 0
; FloatMode: 240
; IeeeMode: 1
; LDSByteSize: 0 bytes/workgroup (compile time only)
; SGPRBlocks: 0
; VGPRBlocks: 0
; NumSGPRsForWavesPerEU: 4
; NumVGPRsForWavesPerEU: 1
; AccumOffset: 4
; Occupancy: 8
; WaveLimiterHint : 0
; COMPUTE_PGM_RSRC2:SCRATCH_EN: 0
; COMPUTE_PGM_RSRC2:USER_SGPR: 6
; COMPUTE_PGM_RSRC2:TRAP_HANDLER: 0
; COMPUTE_PGM_RSRC2:TGID_X_EN: 1
; COMPUTE_PGM_RSRC2:TGID_Y_EN: 0
; COMPUTE_PGM_RSRC2:TGID_Z_EN: 0
; COMPUTE_PGM_RSRC2:TIDIG_COMP_CNT: 0
; COMPUTE_PGM_RSRC3_GFX90A:ACCUM_OFFSET: 0
; COMPUTE_PGM_RSRC3_GFX90A:TG_SPLIT: 0
	.section	.text._ZN7rocprim17ROCPRIM_400000_NS6detail17trampoline_kernelINS0_14default_configENS1_20scan_config_selectorI3IntEEZZNS1_9scan_implILNS1_25lookback_scan_determinismE0ELb0ELb0ES3_N6thrust23THRUST_200600_302600_NS6detail15normal_iteratorINSA_10device_ptrIKS5_EEEENSC_INSD_IS5_EEEES5_NSA_4plusIvEES5_EEDaPvRmT3_T4_T5_mT6_P12ihipStream_tbENKUlT_T0_E_clISt17integral_constantIbLb1EESX_IbLb0EEEEDaST_SU_EUlST_E0_NS1_11comp_targetILNS1_3genE2ELNS1_11target_archE906ELNS1_3gpuE6ELNS1_3repE0EEENS1_30default_config_static_selectorELNS0_4arch9wavefront6targetE1EEEvT1_,"axG",@progbits,_ZN7rocprim17ROCPRIM_400000_NS6detail17trampoline_kernelINS0_14default_configENS1_20scan_config_selectorI3IntEEZZNS1_9scan_implILNS1_25lookback_scan_determinismE0ELb0ELb0ES3_N6thrust23THRUST_200600_302600_NS6detail15normal_iteratorINSA_10device_ptrIKS5_EEEENSC_INSD_IS5_EEEES5_NSA_4plusIvEES5_EEDaPvRmT3_T4_T5_mT6_P12ihipStream_tbENKUlT_T0_E_clISt17integral_constantIbLb1EESX_IbLb0EEEEDaST_SU_EUlST_E0_NS1_11comp_targetILNS1_3genE2ELNS1_11target_archE906ELNS1_3gpuE6ELNS1_3repE0EEENS1_30default_config_static_selectorELNS0_4arch9wavefront6targetE1EEEvT1_,comdat
	.protected	_ZN7rocprim17ROCPRIM_400000_NS6detail17trampoline_kernelINS0_14default_configENS1_20scan_config_selectorI3IntEEZZNS1_9scan_implILNS1_25lookback_scan_determinismE0ELb0ELb0ES3_N6thrust23THRUST_200600_302600_NS6detail15normal_iteratorINSA_10device_ptrIKS5_EEEENSC_INSD_IS5_EEEES5_NSA_4plusIvEES5_EEDaPvRmT3_T4_T5_mT6_P12ihipStream_tbENKUlT_T0_E_clISt17integral_constantIbLb1EESX_IbLb0EEEEDaST_SU_EUlST_E0_NS1_11comp_targetILNS1_3genE2ELNS1_11target_archE906ELNS1_3gpuE6ELNS1_3repE0EEENS1_30default_config_static_selectorELNS0_4arch9wavefront6targetE1EEEvT1_ ; -- Begin function _ZN7rocprim17ROCPRIM_400000_NS6detail17trampoline_kernelINS0_14default_configENS1_20scan_config_selectorI3IntEEZZNS1_9scan_implILNS1_25lookback_scan_determinismE0ELb0ELb0ES3_N6thrust23THRUST_200600_302600_NS6detail15normal_iteratorINSA_10device_ptrIKS5_EEEENSC_INSD_IS5_EEEES5_NSA_4plusIvEES5_EEDaPvRmT3_T4_T5_mT6_P12ihipStream_tbENKUlT_T0_E_clISt17integral_constantIbLb1EESX_IbLb0EEEEDaST_SU_EUlST_E0_NS1_11comp_targetILNS1_3genE2ELNS1_11target_archE906ELNS1_3gpuE6ELNS1_3repE0EEENS1_30default_config_static_selectorELNS0_4arch9wavefront6targetE1EEEvT1_
	.globl	_ZN7rocprim17ROCPRIM_400000_NS6detail17trampoline_kernelINS0_14default_configENS1_20scan_config_selectorI3IntEEZZNS1_9scan_implILNS1_25lookback_scan_determinismE0ELb0ELb0ES3_N6thrust23THRUST_200600_302600_NS6detail15normal_iteratorINSA_10device_ptrIKS5_EEEENSC_INSD_IS5_EEEES5_NSA_4plusIvEES5_EEDaPvRmT3_T4_T5_mT6_P12ihipStream_tbENKUlT_T0_E_clISt17integral_constantIbLb1EESX_IbLb0EEEEDaST_SU_EUlST_E0_NS1_11comp_targetILNS1_3genE2ELNS1_11target_archE906ELNS1_3gpuE6ELNS1_3repE0EEENS1_30default_config_static_selectorELNS0_4arch9wavefront6targetE1EEEvT1_
	.p2align	8
	.type	_ZN7rocprim17ROCPRIM_400000_NS6detail17trampoline_kernelINS0_14default_configENS1_20scan_config_selectorI3IntEEZZNS1_9scan_implILNS1_25lookback_scan_determinismE0ELb0ELb0ES3_N6thrust23THRUST_200600_302600_NS6detail15normal_iteratorINSA_10device_ptrIKS5_EEEENSC_INSD_IS5_EEEES5_NSA_4plusIvEES5_EEDaPvRmT3_T4_T5_mT6_P12ihipStream_tbENKUlT_T0_E_clISt17integral_constantIbLb1EESX_IbLb0EEEEDaST_SU_EUlST_E0_NS1_11comp_targetILNS1_3genE2ELNS1_11target_archE906ELNS1_3gpuE6ELNS1_3repE0EEENS1_30default_config_static_selectorELNS0_4arch9wavefront6targetE1EEEvT1_,@function
_ZN7rocprim17ROCPRIM_400000_NS6detail17trampoline_kernelINS0_14default_configENS1_20scan_config_selectorI3IntEEZZNS1_9scan_implILNS1_25lookback_scan_determinismE0ELb0ELb0ES3_N6thrust23THRUST_200600_302600_NS6detail15normal_iteratorINSA_10device_ptrIKS5_EEEENSC_INSD_IS5_EEEES5_NSA_4plusIvEES5_EEDaPvRmT3_T4_T5_mT6_P12ihipStream_tbENKUlT_T0_E_clISt17integral_constantIbLb1EESX_IbLb0EEEEDaST_SU_EUlST_E0_NS1_11comp_targetILNS1_3genE2ELNS1_11target_archE906ELNS1_3gpuE6ELNS1_3repE0EEENS1_30default_config_static_selectorELNS0_4arch9wavefront6targetE1EEEvT1_: ; @_ZN7rocprim17ROCPRIM_400000_NS6detail17trampoline_kernelINS0_14default_configENS1_20scan_config_selectorI3IntEEZZNS1_9scan_implILNS1_25lookback_scan_determinismE0ELb0ELb0ES3_N6thrust23THRUST_200600_302600_NS6detail15normal_iteratorINSA_10device_ptrIKS5_EEEENSC_INSD_IS5_EEEES5_NSA_4plusIvEES5_EEDaPvRmT3_T4_T5_mT6_P12ihipStream_tbENKUlT_T0_E_clISt17integral_constantIbLb1EESX_IbLb0EEEEDaST_SU_EUlST_E0_NS1_11comp_targetILNS1_3genE2ELNS1_11target_archE906ELNS1_3gpuE6ELNS1_3repE0EEENS1_30default_config_static_selectorELNS0_4arch9wavefront6targetE1EEEvT1_
; %bb.0:
	.section	.rodata,"a",@progbits
	.p2align	6, 0x0
	.amdhsa_kernel _ZN7rocprim17ROCPRIM_400000_NS6detail17trampoline_kernelINS0_14default_configENS1_20scan_config_selectorI3IntEEZZNS1_9scan_implILNS1_25lookback_scan_determinismE0ELb0ELb0ES3_N6thrust23THRUST_200600_302600_NS6detail15normal_iteratorINSA_10device_ptrIKS5_EEEENSC_INSD_IS5_EEEES5_NSA_4plusIvEES5_EEDaPvRmT3_T4_T5_mT6_P12ihipStream_tbENKUlT_T0_E_clISt17integral_constantIbLb1EESX_IbLb0EEEEDaST_SU_EUlST_E0_NS1_11comp_targetILNS1_3genE2ELNS1_11target_archE906ELNS1_3gpuE6ELNS1_3repE0EEENS1_30default_config_static_selectorELNS0_4arch9wavefront6targetE1EEEvT1_
		.amdhsa_group_segment_fixed_size 0
		.amdhsa_private_segment_fixed_size 0
		.amdhsa_kernarg_size 32
		.amdhsa_user_sgpr_count 6
		.amdhsa_user_sgpr_private_segment_buffer 1
		.amdhsa_user_sgpr_dispatch_ptr 0
		.amdhsa_user_sgpr_queue_ptr 0
		.amdhsa_user_sgpr_kernarg_segment_ptr 1
		.amdhsa_user_sgpr_dispatch_id 0
		.amdhsa_user_sgpr_flat_scratch_init 0
		.amdhsa_user_sgpr_kernarg_preload_length 0
		.amdhsa_user_sgpr_kernarg_preload_offset 0
		.amdhsa_user_sgpr_private_segment_size 0
		.amdhsa_uses_dynamic_stack 0
		.amdhsa_system_sgpr_private_segment_wavefront_offset 0
		.amdhsa_system_sgpr_workgroup_id_x 1
		.amdhsa_system_sgpr_workgroup_id_y 0
		.amdhsa_system_sgpr_workgroup_id_z 0
		.amdhsa_system_sgpr_workgroup_info 0
		.amdhsa_system_vgpr_workitem_id 0
		.amdhsa_next_free_vgpr 1
		.amdhsa_next_free_sgpr 0
		.amdhsa_accum_offset 4
		.amdhsa_reserve_vcc 0
		.amdhsa_reserve_flat_scratch 0
		.amdhsa_float_round_mode_32 0
		.amdhsa_float_round_mode_16_64 0
		.amdhsa_float_denorm_mode_32 3
		.amdhsa_float_denorm_mode_16_64 3
		.amdhsa_dx10_clamp 1
		.amdhsa_ieee_mode 1
		.amdhsa_fp16_overflow 0
		.amdhsa_tg_split 0
		.amdhsa_exception_fp_ieee_invalid_op 0
		.amdhsa_exception_fp_denorm_src 0
		.amdhsa_exception_fp_ieee_div_zero 0
		.amdhsa_exception_fp_ieee_overflow 0
		.amdhsa_exception_fp_ieee_underflow 0
		.amdhsa_exception_fp_ieee_inexact 0
		.amdhsa_exception_int_div_zero 0
	.end_amdhsa_kernel
	.section	.text._ZN7rocprim17ROCPRIM_400000_NS6detail17trampoline_kernelINS0_14default_configENS1_20scan_config_selectorI3IntEEZZNS1_9scan_implILNS1_25lookback_scan_determinismE0ELb0ELb0ES3_N6thrust23THRUST_200600_302600_NS6detail15normal_iteratorINSA_10device_ptrIKS5_EEEENSC_INSD_IS5_EEEES5_NSA_4plusIvEES5_EEDaPvRmT3_T4_T5_mT6_P12ihipStream_tbENKUlT_T0_E_clISt17integral_constantIbLb1EESX_IbLb0EEEEDaST_SU_EUlST_E0_NS1_11comp_targetILNS1_3genE2ELNS1_11target_archE906ELNS1_3gpuE6ELNS1_3repE0EEENS1_30default_config_static_selectorELNS0_4arch9wavefront6targetE1EEEvT1_,"axG",@progbits,_ZN7rocprim17ROCPRIM_400000_NS6detail17trampoline_kernelINS0_14default_configENS1_20scan_config_selectorI3IntEEZZNS1_9scan_implILNS1_25lookback_scan_determinismE0ELb0ELb0ES3_N6thrust23THRUST_200600_302600_NS6detail15normal_iteratorINSA_10device_ptrIKS5_EEEENSC_INSD_IS5_EEEES5_NSA_4plusIvEES5_EEDaPvRmT3_T4_T5_mT6_P12ihipStream_tbENKUlT_T0_E_clISt17integral_constantIbLb1EESX_IbLb0EEEEDaST_SU_EUlST_E0_NS1_11comp_targetILNS1_3genE2ELNS1_11target_archE906ELNS1_3gpuE6ELNS1_3repE0EEENS1_30default_config_static_selectorELNS0_4arch9wavefront6targetE1EEEvT1_,comdat
.Lfunc_end6956:
	.size	_ZN7rocprim17ROCPRIM_400000_NS6detail17trampoline_kernelINS0_14default_configENS1_20scan_config_selectorI3IntEEZZNS1_9scan_implILNS1_25lookback_scan_determinismE0ELb0ELb0ES3_N6thrust23THRUST_200600_302600_NS6detail15normal_iteratorINSA_10device_ptrIKS5_EEEENSC_INSD_IS5_EEEES5_NSA_4plusIvEES5_EEDaPvRmT3_T4_T5_mT6_P12ihipStream_tbENKUlT_T0_E_clISt17integral_constantIbLb1EESX_IbLb0EEEEDaST_SU_EUlST_E0_NS1_11comp_targetILNS1_3genE2ELNS1_11target_archE906ELNS1_3gpuE6ELNS1_3repE0EEENS1_30default_config_static_selectorELNS0_4arch9wavefront6targetE1EEEvT1_, .Lfunc_end6956-_ZN7rocprim17ROCPRIM_400000_NS6detail17trampoline_kernelINS0_14default_configENS1_20scan_config_selectorI3IntEEZZNS1_9scan_implILNS1_25lookback_scan_determinismE0ELb0ELb0ES3_N6thrust23THRUST_200600_302600_NS6detail15normal_iteratorINSA_10device_ptrIKS5_EEEENSC_INSD_IS5_EEEES5_NSA_4plusIvEES5_EEDaPvRmT3_T4_T5_mT6_P12ihipStream_tbENKUlT_T0_E_clISt17integral_constantIbLb1EESX_IbLb0EEEEDaST_SU_EUlST_E0_NS1_11comp_targetILNS1_3genE2ELNS1_11target_archE906ELNS1_3gpuE6ELNS1_3repE0EEENS1_30default_config_static_selectorELNS0_4arch9wavefront6targetE1EEEvT1_
                                        ; -- End function
	.section	.AMDGPU.csdata,"",@progbits
; Kernel info:
; codeLenInByte = 0
; NumSgprs: 4
; NumVgprs: 0
; NumAgprs: 0
; TotalNumVgprs: 0
; ScratchSize: 0
; MemoryBound: 0
; FloatMode: 240
; IeeeMode: 1
; LDSByteSize: 0 bytes/workgroup (compile time only)
; SGPRBlocks: 0
; VGPRBlocks: 0
; NumSGPRsForWavesPerEU: 4
; NumVGPRsForWavesPerEU: 1
; AccumOffset: 4
; Occupancy: 8
; WaveLimiterHint : 0
; COMPUTE_PGM_RSRC2:SCRATCH_EN: 0
; COMPUTE_PGM_RSRC2:USER_SGPR: 6
; COMPUTE_PGM_RSRC2:TRAP_HANDLER: 0
; COMPUTE_PGM_RSRC2:TGID_X_EN: 1
; COMPUTE_PGM_RSRC2:TGID_Y_EN: 0
; COMPUTE_PGM_RSRC2:TGID_Z_EN: 0
; COMPUTE_PGM_RSRC2:TIDIG_COMP_CNT: 0
; COMPUTE_PGM_RSRC3_GFX90A:ACCUM_OFFSET: 0
; COMPUTE_PGM_RSRC3_GFX90A:TG_SPLIT: 0
	.section	.text._ZN7rocprim17ROCPRIM_400000_NS6detail17trampoline_kernelINS0_14default_configENS1_20scan_config_selectorI3IntEEZZNS1_9scan_implILNS1_25lookback_scan_determinismE0ELb0ELb0ES3_N6thrust23THRUST_200600_302600_NS6detail15normal_iteratorINSA_10device_ptrIKS5_EEEENSC_INSD_IS5_EEEES5_NSA_4plusIvEES5_EEDaPvRmT3_T4_T5_mT6_P12ihipStream_tbENKUlT_T0_E_clISt17integral_constantIbLb1EESX_IbLb0EEEEDaST_SU_EUlST_E0_NS1_11comp_targetILNS1_3genE10ELNS1_11target_archE1201ELNS1_3gpuE5ELNS1_3repE0EEENS1_30default_config_static_selectorELNS0_4arch9wavefront6targetE1EEEvT1_,"axG",@progbits,_ZN7rocprim17ROCPRIM_400000_NS6detail17trampoline_kernelINS0_14default_configENS1_20scan_config_selectorI3IntEEZZNS1_9scan_implILNS1_25lookback_scan_determinismE0ELb0ELb0ES3_N6thrust23THRUST_200600_302600_NS6detail15normal_iteratorINSA_10device_ptrIKS5_EEEENSC_INSD_IS5_EEEES5_NSA_4plusIvEES5_EEDaPvRmT3_T4_T5_mT6_P12ihipStream_tbENKUlT_T0_E_clISt17integral_constantIbLb1EESX_IbLb0EEEEDaST_SU_EUlST_E0_NS1_11comp_targetILNS1_3genE10ELNS1_11target_archE1201ELNS1_3gpuE5ELNS1_3repE0EEENS1_30default_config_static_selectorELNS0_4arch9wavefront6targetE1EEEvT1_,comdat
	.protected	_ZN7rocprim17ROCPRIM_400000_NS6detail17trampoline_kernelINS0_14default_configENS1_20scan_config_selectorI3IntEEZZNS1_9scan_implILNS1_25lookback_scan_determinismE0ELb0ELb0ES3_N6thrust23THRUST_200600_302600_NS6detail15normal_iteratorINSA_10device_ptrIKS5_EEEENSC_INSD_IS5_EEEES5_NSA_4plusIvEES5_EEDaPvRmT3_T4_T5_mT6_P12ihipStream_tbENKUlT_T0_E_clISt17integral_constantIbLb1EESX_IbLb0EEEEDaST_SU_EUlST_E0_NS1_11comp_targetILNS1_3genE10ELNS1_11target_archE1201ELNS1_3gpuE5ELNS1_3repE0EEENS1_30default_config_static_selectorELNS0_4arch9wavefront6targetE1EEEvT1_ ; -- Begin function _ZN7rocprim17ROCPRIM_400000_NS6detail17trampoline_kernelINS0_14default_configENS1_20scan_config_selectorI3IntEEZZNS1_9scan_implILNS1_25lookback_scan_determinismE0ELb0ELb0ES3_N6thrust23THRUST_200600_302600_NS6detail15normal_iteratorINSA_10device_ptrIKS5_EEEENSC_INSD_IS5_EEEES5_NSA_4plusIvEES5_EEDaPvRmT3_T4_T5_mT6_P12ihipStream_tbENKUlT_T0_E_clISt17integral_constantIbLb1EESX_IbLb0EEEEDaST_SU_EUlST_E0_NS1_11comp_targetILNS1_3genE10ELNS1_11target_archE1201ELNS1_3gpuE5ELNS1_3repE0EEENS1_30default_config_static_selectorELNS0_4arch9wavefront6targetE1EEEvT1_
	.globl	_ZN7rocprim17ROCPRIM_400000_NS6detail17trampoline_kernelINS0_14default_configENS1_20scan_config_selectorI3IntEEZZNS1_9scan_implILNS1_25lookback_scan_determinismE0ELb0ELb0ES3_N6thrust23THRUST_200600_302600_NS6detail15normal_iteratorINSA_10device_ptrIKS5_EEEENSC_INSD_IS5_EEEES5_NSA_4plusIvEES5_EEDaPvRmT3_T4_T5_mT6_P12ihipStream_tbENKUlT_T0_E_clISt17integral_constantIbLb1EESX_IbLb0EEEEDaST_SU_EUlST_E0_NS1_11comp_targetILNS1_3genE10ELNS1_11target_archE1201ELNS1_3gpuE5ELNS1_3repE0EEENS1_30default_config_static_selectorELNS0_4arch9wavefront6targetE1EEEvT1_
	.p2align	8
	.type	_ZN7rocprim17ROCPRIM_400000_NS6detail17trampoline_kernelINS0_14default_configENS1_20scan_config_selectorI3IntEEZZNS1_9scan_implILNS1_25lookback_scan_determinismE0ELb0ELb0ES3_N6thrust23THRUST_200600_302600_NS6detail15normal_iteratorINSA_10device_ptrIKS5_EEEENSC_INSD_IS5_EEEES5_NSA_4plusIvEES5_EEDaPvRmT3_T4_T5_mT6_P12ihipStream_tbENKUlT_T0_E_clISt17integral_constantIbLb1EESX_IbLb0EEEEDaST_SU_EUlST_E0_NS1_11comp_targetILNS1_3genE10ELNS1_11target_archE1201ELNS1_3gpuE5ELNS1_3repE0EEENS1_30default_config_static_selectorELNS0_4arch9wavefront6targetE1EEEvT1_,@function
_ZN7rocprim17ROCPRIM_400000_NS6detail17trampoline_kernelINS0_14default_configENS1_20scan_config_selectorI3IntEEZZNS1_9scan_implILNS1_25lookback_scan_determinismE0ELb0ELb0ES3_N6thrust23THRUST_200600_302600_NS6detail15normal_iteratorINSA_10device_ptrIKS5_EEEENSC_INSD_IS5_EEEES5_NSA_4plusIvEES5_EEDaPvRmT3_T4_T5_mT6_P12ihipStream_tbENKUlT_T0_E_clISt17integral_constantIbLb1EESX_IbLb0EEEEDaST_SU_EUlST_E0_NS1_11comp_targetILNS1_3genE10ELNS1_11target_archE1201ELNS1_3gpuE5ELNS1_3repE0EEENS1_30default_config_static_selectorELNS0_4arch9wavefront6targetE1EEEvT1_: ; @_ZN7rocprim17ROCPRIM_400000_NS6detail17trampoline_kernelINS0_14default_configENS1_20scan_config_selectorI3IntEEZZNS1_9scan_implILNS1_25lookback_scan_determinismE0ELb0ELb0ES3_N6thrust23THRUST_200600_302600_NS6detail15normal_iteratorINSA_10device_ptrIKS5_EEEENSC_INSD_IS5_EEEES5_NSA_4plusIvEES5_EEDaPvRmT3_T4_T5_mT6_P12ihipStream_tbENKUlT_T0_E_clISt17integral_constantIbLb1EESX_IbLb0EEEEDaST_SU_EUlST_E0_NS1_11comp_targetILNS1_3genE10ELNS1_11target_archE1201ELNS1_3gpuE5ELNS1_3repE0EEENS1_30default_config_static_selectorELNS0_4arch9wavefront6targetE1EEEvT1_
; %bb.0:
	.section	.rodata,"a",@progbits
	.p2align	6, 0x0
	.amdhsa_kernel _ZN7rocprim17ROCPRIM_400000_NS6detail17trampoline_kernelINS0_14default_configENS1_20scan_config_selectorI3IntEEZZNS1_9scan_implILNS1_25lookback_scan_determinismE0ELb0ELb0ES3_N6thrust23THRUST_200600_302600_NS6detail15normal_iteratorINSA_10device_ptrIKS5_EEEENSC_INSD_IS5_EEEES5_NSA_4plusIvEES5_EEDaPvRmT3_T4_T5_mT6_P12ihipStream_tbENKUlT_T0_E_clISt17integral_constantIbLb1EESX_IbLb0EEEEDaST_SU_EUlST_E0_NS1_11comp_targetILNS1_3genE10ELNS1_11target_archE1201ELNS1_3gpuE5ELNS1_3repE0EEENS1_30default_config_static_selectorELNS0_4arch9wavefront6targetE1EEEvT1_
		.amdhsa_group_segment_fixed_size 0
		.amdhsa_private_segment_fixed_size 0
		.amdhsa_kernarg_size 32
		.amdhsa_user_sgpr_count 6
		.amdhsa_user_sgpr_private_segment_buffer 1
		.amdhsa_user_sgpr_dispatch_ptr 0
		.amdhsa_user_sgpr_queue_ptr 0
		.amdhsa_user_sgpr_kernarg_segment_ptr 1
		.amdhsa_user_sgpr_dispatch_id 0
		.amdhsa_user_sgpr_flat_scratch_init 0
		.amdhsa_user_sgpr_kernarg_preload_length 0
		.amdhsa_user_sgpr_kernarg_preload_offset 0
		.amdhsa_user_sgpr_private_segment_size 0
		.amdhsa_uses_dynamic_stack 0
		.amdhsa_system_sgpr_private_segment_wavefront_offset 0
		.amdhsa_system_sgpr_workgroup_id_x 1
		.amdhsa_system_sgpr_workgroup_id_y 0
		.amdhsa_system_sgpr_workgroup_id_z 0
		.amdhsa_system_sgpr_workgroup_info 0
		.amdhsa_system_vgpr_workitem_id 0
		.amdhsa_next_free_vgpr 1
		.amdhsa_next_free_sgpr 0
		.amdhsa_accum_offset 4
		.amdhsa_reserve_vcc 0
		.amdhsa_reserve_flat_scratch 0
		.amdhsa_float_round_mode_32 0
		.amdhsa_float_round_mode_16_64 0
		.amdhsa_float_denorm_mode_32 3
		.amdhsa_float_denorm_mode_16_64 3
		.amdhsa_dx10_clamp 1
		.amdhsa_ieee_mode 1
		.amdhsa_fp16_overflow 0
		.amdhsa_tg_split 0
		.amdhsa_exception_fp_ieee_invalid_op 0
		.amdhsa_exception_fp_denorm_src 0
		.amdhsa_exception_fp_ieee_div_zero 0
		.amdhsa_exception_fp_ieee_overflow 0
		.amdhsa_exception_fp_ieee_underflow 0
		.amdhsa_exception_fp_ieee_inexact 0
		.amdhsa_exception_int_div_zero 0
	.end_amdhsa_kernel
	.section	.text._ZN7rocprim17ROCPRIM_400000_NS6detail17trampoline_kernelINS0_14default_configENS1_20scan_config_selectorI3IntEEZZNS1_9scan_implILNS1_25lookback_scan_determinismE0ELb0ELb0ES3_N6thrust23THRUST_200600_302600_NS6detail15normal_iteratorINSA_10device_ptrIKS5_EEEENSC_INSD_IS5_EEEES5_NSA_4plusIvEES5_EEDaPvRmT3_T4_T5_mT6_P12ihipStream_tbENKUlT_T0_E_clISt17integral_constantIbLb1EESX_IbLb0EEEEDaST_SU_EUlST_E0_NS1_11comp_targetILNS1_3genE10ELNS1_11target_archE1201ELNS1_3gpuE5ELNS1_3repE0EEENS1_30default_config_static_selectorELNS0_4arch9wavefront6targetE1EEEvT1_,"axG",@progbits,_ZN7rocprim17ROCPRIM_400000_NS6detail17trampoline_kernelINS0_14default_configENS1_20scan_config_selectorI3IntEEZZNS1_9scan_implILNS1_25lookback_scan_determinismE0ELb0ELb0ES3_N6thrust23THRUST_200600_302600_NS6detail15normal_iteratorINSA_10device_ptrIKS5_EEEENSC_INSD_IS5_EEEES5_NSA_4plusIvEES5_EEDaPvRmT3_T4_T5_mT6_P12ihipStream_tbENKUlT_T0_E_clISt17integral_constantIbLb1EESX_IbLb0EEEEDaST_SU_EUlST_E0_NS1_11comp_targetILNS1_3genE10ELNS1_11target_archE1201ELNS1_3gpuE5ELNS1_3repE0EEENS1_30default_config_static_selectorELNS0_4arch9wavefront6targetE1EEEvT1_,comdat
.Lfunc_end6957:
	.size	_ZN7rocprim17ROCPRIM_400000_NS6detail17trampoline_kernelINS0_14default_configENS1_20scan_config_selectorI3IntEEZZNS1_9scan_implILNS1_25lookback_scan_determinismE0ELb0ELb0ES3_N6thrust23THRUST_200600_302600_NS6detail15normal_iteratorINSA_10device_ptrIKS5_EEEENSC_INSD_IS5_EEEES5_NSA_4plusIvEES5_EEDaPvRmT3_T4_T5_mT6_P12ihipStream_tbENKUlT_T0_E_clISt17integral_constantIbLb1EESX_IbLb0EEEEDaST_SU_EUlST_E0_NS1_11comp_targetILNS1_3genE10ELNS1_11target_archE1201ELNS1_3gpuE5ELNS1_3repE0EEENS1_30default_config_static_selectorELNS0_4arch9wavefront6targetE1EEEvT1_, .Lfunc_end6957-_ZN7rocprim17ROCPRIM_400000_NS6detail17trampoline_kernelINS0_14default_configENS1_20scan_config_selectorI3IntEEZZNS1_9scan_implILNS1_25lookback_scan_determinismE0ELb0ELb0ES3_N6thrust23THRUST_200600_302600_NS6detail15normal_iteratorINSA_10device_ptrIKS5_EEEENSC_INSD_IS5_EEEES5_NSA_4plusIvEES5_EEDaPvRmT3_T4_T5_mT6_P12ihipStream_tbENKUlT_T0_E_clISt17integral_constantIbLb1EESX_IbLb0EEEEDaST_SU_EUlST_E0_NS1_11comp_targetILNS1_3genE10ELNS1_11target_archE1201ELNS1_3gpuE5ELNS1_3repE0EEENS1_30default_config_static_selectorELNS0_4arch9wavefront6targetE1EEEvT1_
                                        ; -- End function
	.section	.AMDGPU.csdata,"",@progbits
; Kernel info:
; codeLenInByte = 0
; NumSgprs: 4
; NumVgprs: 0
; NumAgprs: 0
; TotalNumVgprs: 0
; ScratchSize: 0
; MemoryBound: 0
; FloatMode: 240
; IeeeMode: 1
; LDSByteSize: 0 bytes/workgroup (compile time only)
; SGPRBlocks: 0
; VGPRBlocks: 0
; NumSGPRsForWavesPerEU: 4
; NumVGPRsForWavesPerEU: 1
; AccumOffset: 4
; Occupancy: 8
; WaveLimiterHint : 0
; COMPUTE_PGM_RSRC2:SCRATCH_EN: 0
; COMPUTE_PGM_RSRC2:USER_SGPR: 6
; COMPUTE_PGM_RSRC2:TRAP_HANDLER: 0
; COMPUTE_PGM_RSRC2:TGID_X_EN: 1
; COMPUTE_PGM_RSRC2:TGID_Y_EN: 0
; COMPUTE_PGM_RSRC2:TGID_Z_EN: 0
; COMPUTE_PGM_RSRC2:TIDIG_COMP_CNT: 0
; COMPUTE_PGM_RSRC3_GFX90A:ACCUM_OFFSET: 0
; COMPUTE_PGM_RSRC3_GFX90A:TG_SPLIT: 0
	.section	.text._ZN7rocprim17ROCPRIM_400000_NS6detail17trampoline_kernelINS0_14default_configENS1_20scan_config_selectorI3IntEEZZNS1_9scan_implILNS1_25lookback_scan_determinismE0ELb0ELb0ES3_N6thrust23THRUST_200600_302600_NS6detail15normal_iteratorINSA_10device_ptrIKS5_EEEENSC_INSD_IS5_EEEES5_NSA_4plusIvEES5_EEDaPvRmT3_T4_T5_mT6_P12ihipStream_tbENKUlT_T0_E_clISt17integral_constantIbLb1EESX_IbLb0EEEEDaST_SU_EUlST_E0_NS1_11comp_targetILNS1_3genE10ELNS1_11target_archE1200ELNS1_3gpuE4ELNS1_3repE0EEENS1_30default_config_static_selectorELNS0_4arch9wavefront6targetE1EEEvT1_,"axG",@progbits,_ZN7rocprim17ROCPRIM_400000_NS6detail17trampoline_kernelINS0_14default_configENS1_20scan_config_selectorI3IntEEZZNS1_9scan_implILNS1_25lookback_scan_determinismE0ELb0ELb0ES3_N6thrust23THRUST_200600_302600_NS6detail15normal_iteratorINSA_10device_ptrIKS5_EEEENSC_INSD_IS5_EEEES5_NSA_4plusIvEES5_EEDaPvRmT3_T4_T5_mT6_P12ihipStream_tbENKUlT_T0_E_clISt17integral_constantIbLb1EESX_IbLb0EEEEDaST_SU_EUlST_E0_NS1_11comp_targetILNS1_3genE10ELNS1_11target_archE1200ELNS1_3gpuE4ELNS1_3repE0EEENS1_30default_config_static_selectorELNS0_4arch9wavefront6targetE1EEEvT1_,comdat
	.protected	_ZN7rocprim17ROCPRIM_400000_NS6detail17trampoline_kernelINS0_14default_configENS1_20scan_config_selectorI3IntEEZZNS1_9scan_implILNS1_25lookback_scan_determinismE0ELb0ELb0ES3_N6thrust23THRUST_200600_302600_NS6detail15normal_iteratorINSA_10device_ptrIKS5_EEEENSC_INSD_IS5_EEEES5_NSA_4plusIvEES5_EEDaPvRmT3_T4_T5_mT6_P12ihipStream_tbENKUlT_T0_E_clISt17integral_constantIbLb1EESX_IbLb0EEEEDaST_SU_EUlST_E0_NS1_11comp_targetILNS1_3genE10ELNS1_11target_archE1200ELNS1_3gpuE4ELNS1_3repE0EEENS1_30default_config_static_selectorELNS0_4arch9wavefront6targetE1EEEvT1_ ; -- Begin function _ZN7rocprim17ROCPRIM_400000_NS6detail17trampoline_kernelINS0_14default_configENS1_20scan_config_selectorI3IntEEZZNS1_9scan_implILNS1_25lookback_scan_determinismE0ELb0ELb0ES3_N6thrust23THRUST_200600_302600_NS6detail15normal_iteratorINSA_10device_ptrIKS5_EEEENSC_INSD_IS5_EEEES5_NSA_4plusIvEES5_EEDaPvRmT3_T4_T5_mT6_P12ihipStream_tbENKUlT_T0_E_clISt17integral_constantIbLb1EESX_IbLb0EEEEDaST_SU_EUlST_E0_NS1_11comp_targetILNS1_3genE10ELNS1_11target_archE1200ELNS1_3gpuE4ELNS1_3repE0EEENS1_30default_config_static_selectorELNS0_4arch9wavefront6targetE1EEEvT1_
	.globl	_ZN7rocprim17ROCPRIM_400000_NS6detail17trampoline_kernelINS0_14default_configENS1_20scan_config_selectorI3IntEEZZNS1_9scan_implILNS1_25lookback_scan_determinismE0ELb0ELb0ES3_N6thrust23THRUST_200600_302600_NS6detail15normal_iteratorINSA_10device_ptrIKS5_EEEENSC_INSD_IS5_EEEES5_NSA_4plusIvEES5_EEDaPvRmT3_T4_T5_mT6_P12ihipStream_tbENKUlT_T0_E_clISt17integral_constantIbLb1EESX_IbLb0EEEEDaST_SU_EUlST_E0_NS1_11comp_targetILNS1_3genE10ELNS1_11target_archE1200ELNS1_3gpuE4ELNS1_3repE0EEENS1_30default_config_static_selectorELNS0_4arch9wavefront6targetE1EEEvT1_
	.p2align	8
	.type	_ZN7rocprim17ROCPRIM_400000_NS6detail17trampoline_kernelINS0_14default_configENS1_20scan_config_selectorI3IntEEZZNS1_9scan_implILNS1_25lookback_scan_determinismE0ELb0ELb0ES3_N6thrust23THRUST_200600_302600_NS6detail15normal_iteratorINSA_10device_ptrIKS5_EEEENSC_INSD_IS5_EEEES5_NSA_4plusIvEES5_EEDaPvRmT3_T4_T5_mT6_P12ihipStream_tbENKUlT_T0_E_clISt17integral_constantIbLb1EESX_IbLb0EEEEDaST_SU_EUlST_E0_NS1_11comp_targetILNS1_3genE10ELNS1_11target_archE1200ELNS1_3gpuE4ELNS1_3repE0EEENS1_30default_config_static_selectorELNS0_4arch9wavefront6targetE1EEEvT1_,@function
_ZN7rocprim17ROCPRIM_400000_NS6detail17trampoline_kernelINS0_14default_configENS1_20scan_config_selectorI3IntEEZZNS1_9scan_implILNS1_25lookback_scan_determinismE0ELb0ELb0ES3_N6thrust23THRUST_200600_302600_NS6detail15normal_iteratorINSA_10device_ptrIKS5_EEEENSC_INSD_IS5_EEEES5_NSA_4plusIvEES5_EEDaPvRmT3_T4_T5_mT6_P12ihipStream_tbENKUlT_T0_E_clISt17integral_constantIbLb1EESX_IbLb0EEEEDaST_SU_EUlST_E0_NS1_11comp_targetILNS1_3genE10ELNS1_11target_archE1200ELNS1_3gpuE4ELNS1_3repE0EEENS1_30default_config_static_selectorELNS0_4arch9wavefront6targetE1EEEvT1_: ; @_ZN7rocprim17ROCPRIM_400000_NS6detail17trampoline_kernelINS0_14default_configENS1_20scan_config_selectorI3IntEEZZNS1_9scan_implILNS1_25lookback_scan_determinismE0ELb0ELb0ES3_N6thrust23THRUST_200600_302600_NS6detail15normal_iteratorINSA_10device_ptrIKS5_EEEENSC_INSD_IS5_EEEES5_NSA_4plusIvEES5_EEDaPvRmT3_T4_T5_mT6_P12ihipStream_tbENKUlT_T0_E_clISt17integral_constantIbLb1EESX_IbLb0EEEEDaST_SU_EUlST_E0_NS1_11comp_targetILNS1_3genE10ELNS1_11target_archE1200ELNS1_3gpuE4ELNS1_3repE0EEENS1_30default_config_static_selectorELNS0_4arch9wavefront6targetE1EEEvT1_
; %bb.0:
	.section	.rodata,"a",@progbits
	.p2align	6, 0x0
	.amdhsa_kernel _ZN7rocprim17ROCPRIM_400000_NS6detail17trampoline_kernelINS0_14default_configENS1_20scan_config_selectorI3IntEEZZNS1_9scan_implILNS1_25lookback_scan_determinismE0ELb0ELb0ES3_N6thrust23THRUST_200600_302600_NS6detail15normal_iteratorINSA_10device_ptrIKS5_EEEENSC_INSD_IS5_EEEES5_NSA_4plusIvEES5_EEDaPvRmT3_T4_T5_mT6_P12ihipStream_tbENKUlT_T0_E_clISt17integral_constantIbLb1EESX_IbLb0EEEEDaST_SU_EUlST_E0_NS1_11comp_targetILNS1_3genE10ELNS1_11target_archE1200ELNS1_3gpuE4ELNS1_3repE0EEENS1_30default_config_static_selectorELNS0_4arch9wavefront6targetE1EEEvT1_
		.amdhsa_group_segment_fixed_size 0
		.amdhsa_private_segment_fixed_size 0
		.amdhsa_kernarg_size 32
		.amdhsa_user_sgpr_count 6
		.amdhsa_user_sgpr_private_segment_buffer 1
		.amdhsa_user_sgpr_dispatch_ptr 0
		.amdhsa_user_sgpr_queue_ptr 0
		.amdhsa_user_sgpr_kernarg_segment_ptr 1
		.amdhsa_user_sgpr_dispatch_id 0
		.amdhsa_user_sgpr_flat_scratch_init 0
		.amdhsa_user_sgpr_kernarg_preload_length 0
		.amdhsa_user_sgpr_kernarg_preload_offset 0
		.amdhsa_user_sgpr_private_segment_size 0
		.amdhsa_uses_dynamic_stack 0
		.amdhsa_system_sgpr_private_segment_wavefront_offset 0
		.amdhsa_system_sgpr_workgroup_id_x 1
		.amdhsa_system_sgpr_workgroup_id_y 0
		.amdhsa_system_sgpr_workgroup_id_z 0
		.amdhsa_system_sgpr_workgroup_info 0
		.amdhsa_system_vgpr_workitem_id 0
		.amdhsa_next_free_vgpr 1
		.amdhsa_next_free_sgpr 0
		.amdhsa_accum_offset 4
		.amdhsa_reserve_vcc 0
		.amdhsa_reserve_flat_scratch 0
		.amdhsa_float_round_mode_32 0
		.amdhsa_float_round_mode_16_64 0
		.amdhsa_float_denorm_mode_32 3
		.amdhsa_float_denorm_mode_16_64 3
		.amdhsa_dx10_clamp 1
		.amdhsa_ieee_mode 1
		.amdhsa_fp16_overflow 0
		.amdhsa_tg_split 0
		.amdhsa_exception_fp_ieee_invalid_op 0
		.amdhsa_exception_fp_denorm_src 0
		.amdhsa_exception_fp_ieee_div_zero 0
		.amdhsa_exception_fp_ieee_overflow 0
		.amdhsa_exception_fp_ieee_underflow 0
		.amdhsa_exception_fp_ieee_inexact 0
		.amdhsa_exception_int_div_zero 0
	.end_amdhsa_kernel
	.section	.text._ZN7rocprim17ROCPRIM_400000_NS6detail17trampoline_kernelINS0_14default_configENS1_20scan_config_selectorI3IntEEZZNS1_9scan_implILNS1_25lookback_scan_determinismE0ELb0ELb0ES3_N6thrust23THRUST_200600_302600_NS6detail15normal_iteratorINSA_10device_ptrIKS5_EEEENSC_INSD_IS5_EEEES5_NSA_4plusIvEES5_EEDaPvRmT3_T4_T5_mT6_P12ihipStream_tbENKUlT_T0_E_clISt17integral_constantIbLb1EESX_IbLb0EEEEDaST_SU_EUlST_E0_NS1_11comp_targetILNS1_3genE10ELNS1_11target_archE1200ELNS1_3gpuE4ELNS1_3repE0EEENS1_30default_config_static_selectorELNS0_4arch9wavefront6targetE1EEEvT1_,"axG",@progbits,_ZN7rocprim17ROCPRIM_400000_NS6detail17trampoline_kernelINS0_14default_configENS1_20scan_config_selectorI3IntEEZZNS1_9scan_implILNS1_25lookback_scan_determinismE0ELb0ELb0ES3_N6thrust23THRUST_200600_302600_NS6detail15normal_iteratorINSA_10device_ptrIKS5_EEEENSC_INSD_IS5_EEEES5_NSA_4plusIvEES5_EEDaPvRmT3_T4_T5_mT6_P12ihipStream_tbENKUlT_T0_E_clISt17integral_constantIbLb1EESX_IbLb0EEEEDaST_SU_EUlST_E0_NS1_11comp_targetILNS1_3genE10ELNS1_11target_archE1200ELNS1_3gpuE4ELNS1_3repE0EEENS1_30default_config_static_selectorELNS0_4arch9wavefront6targetE1EEEvT1_,comdat
.Lfunc_end6958:
	.size	_ZN7rocprim17ROCPRIM_400000_NS6detail17trampoline_kernelINS0_14default_configENS1_20scan_config_selectorI3IntEEZZNS1_9scan_implILNS1_25lookback_scan_determinismE0ELb0ELb0ES3_N6thrust23THRUST_200600_302600_NS6detail15normal_iteratorINSA_10device_ptrIKS5_EEEENSC_INSD_IS5_EEEES5_NSA_4plusIvEES5_EEDaPvRmT3_T4_T5_mT6_P12ihipStream_tbENKUlT_T0_E_clISt17integral_constantIbLb1EESX_IbLb0EEEEDaST_SU_EUlST_E0_NS1_11comp_targetILNS1_3genE10ELNS1_11target_archE1200ELNS1_3gpuE4ELNS1_3repE0EEENS1_30default_config_static_selectorELNS0_4arch9wavefront6targetE1EEEvT1_, .Lfunc_end6958-_ZN7rocprim17ROCPRIM_400000_NS6detail17trampoline_kernelINS0_14default_configENS1_20scan_config_selectorI3IntEEZZNS1_9scan_implILNS1_25lookback_scan_determinismE0ELb0ELb0ES3_N6thrust23THRUST_200600_302600_NS6detail15normal_iteratorINSA_10device_ptrIKS5_EEEENSC_INSD_IS5_EEEES5_NSA_4plusIvEES5_EEDaPvRmT3_T4_T5_mT6_P12ihipStream_tbENKUlT_T0_E_clISt17integral_constantIbLb1EESX_IbLb0EEEEDaST_SU_EUlST_E0_NS1_11comp_targetILNS1_3genE10ELNS1_11target_archE1200ELNS1_3gpuE4ELNS1_3repE0EEENS1_30default_config_static_selectorELNS0_4arch9wavefront6targetE1EEEvT1_
                                        ; -- End function
	.section	.AMDGPU.csdata,"",@progbits
; Kernel info:
; codeLenInByte = 0
; NumSgprs: 4
; NumVgprs: 0
; NumAgprs: 0
; TotalNumVgprs: 0
; ScratchSize: 0
; MemoryBound: 0
; FloatMode: 240
; IeeeMode: 1
; LDSByteSize: 0 bytes/workgroup (compile time only)
; SGPRBlocks: 0
; VGPRBlocks: 0
; NumSGPRsForWavesPerEU: 4
; NumVGPRsForWavesPerEU: 1
; AccumOffset: 4
; Occupancy: 8
; WaveLimiterHint : 0
; COMPUTE_PGM_RSRC2:SCRATCH_EN: 0
; COMPUTE_PGM_RSRC2:USER_SGPR: 6
; COMPUTE_PGM_RSRC2:TRAP_HANDLER: 0
; COMPUTE_PGM_RSRC2:TGID_X_EN: 1
; COMPUTE_PGM_RSRC2:TGID_Y_EN: 0
; COMPUTE_PGM_RSRC2:TGID_Z_EN: 0
; COMPUTE_PGM_RSRC2:TIDIG_COMP_CNT: 0
; COMPUTE_PGM_RSRC3_GFX90A:ACCUM_OFFSET: 0
; COMPUTE_PGM_RSRC3_GFX90A:TG_SPLIT: 0
	.section	.text._ZN7rocprim17ROCPRIM_400000_NS6detail17trampoline_kernelINS0_14default_configENS1_20scan_config_selectorI3IntEEZZNS1_9scan_implILNS1_25lookback_scan_determinismE0ELb0ELb0ES3_N6thrust23THRUST_200600_302600_NS6detail15normal_iteratorINSA_10device_ptrIKS5_EEEENSC_INSD_IS5_EEEES5_NSA_4plusIvEES5_EEDaPvRmT3_T4_T5_mT6_P12ihipStream_tbENKUlT_T0_E_clISt17integral_constantIbLb1EESX_IbLb0EEEEDaST_SU_EUlST_E0_NS1_11comp_targetILNS1_3genE9ELNS1_11target_archE1100ELNS1_3gpuE3ELNS1_3repE0EEENS1_30default_config_static_selectorELNS0_4arch9wavefront6targetE1EEEvT1_,"axG",@progbits,_ZN7rocprim17ROCPRIM_400000_NS6detail17trampoline_kernelINS0_14default_configENS1_20scan_config_selectorI3IntEEZZNS1_9scan_implILNS1_25lookback_scan_determinismE0ELb0ELb0ES3_N6thrust23THRUST_200600_302600_NS6detail15normal_iteratorINSA_10device_ptrIKS5_EEEENSC_INSD_IS5_EEEES5_NSA_4plusIvEES5_EEDaPvRmT3_T4_T5_mT6_P12ihipStream_tbENKUlT_T0_E_clISt17integral_constantIbLb1EESX_IbLb0EEEEDaST_SU_EUlST_E0_NS1_11comp_targetILNS1_3genE9ELNS1_11target_archE1100ELNS1_3gpuE3ELNS1_3repE0EEENS1_30default_config_static_selectorELNS0_4arch9wavefront6targetE1EEEvT1_,comdat
	.protected	_ZN7rocprim17ROCPRIM_400000_NS6detail17trampoline_kernelINS0_14default_configENS1_20scan_config_selectorI3IntEEZZNS1_9scan_implILNS1_25lookback_scan_determinismE0ELb0ELb0ES3_N6thrust23THRUST_200600_302600_NS6detail15normal_iteratorINSA_10device_ptrIKS5_EEEENSC_INSD_IS5_EEEES5_NSA_4plusIvEES5_EEDaPvRmT3_T4_T5_mT6_P12ihipStream_tbENKUlT_T0_E_clISt17integral_constantIbLb1EESX_IbLb0EEEEDaST_SU_EUlST_E0_NS1_11comp_targetILNS1_3genE9ELNS1_11target_archE1100ELNS1_3gpuE3ELNS1_3repE0EEENS1_30default_config_static_selectorELNS0_4arch9wavefront6targetE1EEEvT1_ ; -- Begin function _ZN7rocprim17ROCPRIM_400000_NS6detail17trampoline_kernelINS0_14default_configENS1_20scan_config_selectorI3IntEEZZNS1_9scan_implILNS1_25lookback_scan_determinismE0ELb0ELb0ES3_N6thrust23THRUST_200600_302600_NS6detail15normal_iteratorINSA_10device_ptrIKS5_EEEENSC_INSD_IS5_EEEES5_NSA_4plusIvEES5_EEDaPvRmT3_T4_T5_mT6_P12ihipStream_tbENKUlT_T0_E_clISt17integral_constantIbLb1EESX_IbLb0EEEEDaST_SU_EUlST_E0_NS1_11comp_targetILNS1_3genE9ELNS1_11target_archE1100ELNS1_3gpuE3ELNS1_3repE0EEENS1_30default_config_static_selectorELNS0_4arch9wavefront6targetE1EEEvT1_
	.globl	_ZN7rocprim17ROCPRIM_400000_NS6detail17trampoline_kernelINS0_14default_configENS1_20scan_config_selectorI3IntEEZZNS1_9scan_implILNS1_25lookback_scan_determinismE0ELb0ELb0ES3_N6thrust23THRUST_200600_302600_NS6detail15normal_iteratorINSA_10device_ptrIKS5_EEEENSC_INSD_IS5_EEEES5_NSA_4plusIvEES5_EEDaPvRmT3_T4_T5_mT6_P12ihipStream_tbENKUlT_T0_E_clISt17integral_constantIbLb1EESX_IbLb0EEEEDaST_SU_EUlST_E0_NS1_11comp_targetILNS1_3genE9ELNS1_11target_archE1100ELNS1_3gpuE3ELNS1_3repE0EEENS1_30default_config_static_selectorELNS0_4arch9wavefront6targetE1EEEvT1_
	.p2align	8
	.type	_ZN7rocprim17ROCPRIM_400000_NS6detail17trampoline_kernelINS0_14default_configENS1_20scan_config_selectorI3IntEEZZNS1_9scan_implILNS1_25lookback_scan_determinismE0ELb0ELb0ES3_N6thrust23THRUST_200600_302600_NS6detail15normal_iteratorINSA_10device_ptrIKS5_EEEENSC_INSD_IS5_EEEES5_NSA_4plusIvEES5_EEDaPvRmT3_T4_T5_mT6_P12ihipStream_tbENKUlT_T0_E_clISt17integral_constantIbLb1EESX_IbLb0EEEEDaST_SU_EUlST_E0_NS1_11comp_targetILNS1_3genE9ELNS1_11target_archE1100ELNS1_3gpuE3ELNS1_3repE0EEENS1_30default_config_static_selectorELNS0_4arch9wavefront6targetE1EEEvT1_,@function
_ZN7rocprim17ROCPRIM_400000_NS6detail17trampoline_kernelINS0_14default_configENS1_20scan_config_selectorI3IntEEZZNS1_9scan_implILNS1_25lookback_scan_determinismE0ELb0ELb0ES3_N6thrust23THRUST_200600_302600_NS6detail15normal_iteratorINSA_10device_ptrIKS5_EEEENSC_INSD_IS5_EEEES5_NSA_4plusIvEES5_EEDaPvRmT3_T4_T5_mT6_P12ihipStream_tbENKUlT_T0_E_clISt17integral_constantIbLb1EESX_IbLb0EEEEDaST_SU_EUlST_E0_NS1_11comp_targetILNS1_3genE9ELNS1_11target_archE1100ELNS1_3gpuE3ELNS1_3repE0EEENS1_30default_config_static_selectorELNS0_4arch9wavefront6targetE1EEEvT1_: ; @_ZN7rocprim17ROCPRIM_400000_NS6detail17trampoline_kernelINS0_14default_configENS1_20scan_config_selectorI3IntEEZZNS1_9scan_implILNS1_25lookback_scan_determinismE0ELb0ELb0ES3_N6thrust23THRUST_200600_302600_NS6detail15normal_iteratorINSA_10device_ptrIKS5_EEEENSC_INSD_IS5_EEEES5_NSA_4plusIvEES5_EEDaPvRmT3_T4_T5_mT6_P12ihipStream_tbENKUlT_T0_E_clISt17integral_constantIbLb1EESX_IbLb0EEEEDaST_SU_EUlST_E0_NS1_11comp_targetILNS1_3genE9ELNS1_11target_archE1100ELNS1_3gpuE3ELNS1_3repE0EEENS1_30default_config_static_selectorELNS0_4arch9wavefront6targetE1EEEvT1_
; %bb.0:
	.section	.rodata,"a",@progbits
	.p2align	6, 0x0
	.amdhsa_kernel _ZN7rocprim17ROCPRIM_400000_NS6detail17trampoline_kernelINS0_14default_configENS1_20scan_config_selectorI3IntEEZZNS1_9scan_implILNS1_25lookback_scan_determinismE0ELb0ELb0ES3_N6thrust23THRUST_200600_302600_NS6detail15normal_iteratorINSA_10device_ptrIKS5_EEEENSC_INSD_IS5_EEEES5_NSA_4plusIvEES5_EEDaPvRmT3_T4_T5_mT6_P12ihipStream_tbENKUlT_T0_E_clISt17integral_constantIbLb1EESX_IbLb0EEEEDaST_SU_EUlST_E0_NS1_11comp_targetILNS1_3genE9ELNS1_11target_archE1100ELNS1_3gpuE3ELNS1_3repE0EEENS1_30default_config_static_selectorELNS0_4arch9wavefront6targetE1EEEvT1_
		.amdhsa_group_segment_fixed_size 0
		.amdhsa_private_segment_fixed_size 0
		.amdhsa_kernarg_size 32
		.amdhsa_user_sgpr_count 6
		.amdhsa_user_sgpr_private_segment_buffer 1
		.amdhsa_user_sgpr_dispatch_ptr 0
		.amdhsa_user_sgpr_queue_ptr 0
		.amdhsa_user_sgpr_kernarg_segment_ptr 1
		.amdhsa_user_sgpr_dispatch_id 0
		.amdhsa_user_sgpr_flat_scratch_init 0
		.amdhsa_user_sgpr_kernarg_preload_length 0
		.amdhsa_user_sgpr_kernarg_preload_offset 0
		.amdhsa_user_sgpr_private_segment_size 0
		.amdhsa_uses_dynamic_stack 0
		.amdhsa_system_sgpr_private_segment_wavefront_offset 0
		.amdhsa_system_sgpr_workgroup_id_x 1
		.amdhsa_system_sgpr_workgroup_id_y 0
		.amdhsa_system_sgpr_workgroup_id_z 0
		.amdhsa_system_sgpr_workgroup_info 0
		.amdhsa_system_vgpr_workitem_id 0
		.amdhsa_next_free_vgpr 1
		.amdhsa_next_free_sgpr 0
		.amdhsa_accum_offset 4
		.amdhsa_reserve_vcc 0
		.amdhsa_reserve_flat_scratch 0
		.amdhsa_float_round_mode_32 0
		.amdhsa_float_round_mode_16_64 0
		.amdhsa_float_denorm_mode_32 3
		.amdhsa_float_denorm_mode_16_64 3
		.amdhsa_dx10_clamp 1
		.amdhsa_ieee_mode 1
		.amdhsa_fp16_overflow 0
		.amdhsa_tg_split 0
		.amdhsa_exception_fp_ieee_invalid_op 0
		.amdhsa_exception_fp_denorm_src 0
		.amdhsa_exception_fp_ieee_div_zero 0
		.amdhsa_exception_fp_ieee_overflow 0
		.amdhsa_exception_fp_ieee_underflow 0
		.amdhsa_exception_fp_ieee_inexact 0
		.amdhsa_exception_int_div_zero 0
	.end_amdhsa_kernel
	.section	.text._ZN7rocprim17ROCPRIM_400000_NS6detail17trampoline_kernelINS0_14default_configENS1_20scan_config_selectorI3IntEEZZNS1_9scan_implILNS1_25lookback_scan_determinismE0ELb0ELb0ES3_N6thrust23THRUST_200600_302600_NS6detail15normal_iteratorINSA_10device_ptrIKS5_EEEENSC_INSD_IS5_EEEES5_NSA_4plusIvEES5_EEDaPvRmT3_T4_T5_mT6_P12ihipStream_tbENKUlT_T0_E_clISt17integral_constantIbLb1EESX_IbLb0EEEEDaST_SU_EUlST_E0_NS1_11comp_targetILNS1_3genE9ELNS1_11target_archE1100ELNS1_3gpuE3ELNS1_3repE0EEENS1_30default_config_static_selectorELNS0_4arch9wavefront6targetE1EEEvT1_,"axG",@progbits,_ZN7rocprim17ROCPRIM_400000_NS6detail17trampoline_kernelINS0_14default_configENS1_20scan_config_selectorI3IntEEZZNS1_9scan_implILNS1_25lookback_scan_determinismE0ELb0ELb0ES3_N6thrust23THRUST_200600_302600_NS6detail15normal_iteratorINSA_10device_ptrIKS5_EEEENSC_INSD_IS5_EEEES5_NSA_4plusIvEES5_EEDaPvRmT3_T4_T5_mT6_P12ihipStream_tbENKUlT_T0_E_clISt17integral_constantIbLb1EESX_IbLb0EEEEDaST_SU_EUlST_E0_NS1_11comp_targetILNS1_3genE9ELNS1_11target_archE1100ELNS1_3gpuE3ELNS1_3repE0EEENS1_30default_config_static_selectorELNS0_4arch9wavefront6targetE1EEEvT1_,comdat
.Lfunc_end6959:
	.size	_ZN7rocprim17ROCPRIM_400000_NS6detail17trampoline_kernelINS0_14default_configENS1_20scan_config_selectorI3IntEEZZNS1_9scan_implILNS1_25lookback_scan_determinismE0ELb0ELb0ES3_N6thrust23THRUST_200600_302600_NS6detail15normal_iteratorINSA_10device_ptrIKS5_EEEENSC_INSD_IS5_EEEES5_NSA_4plusIvEES5_EEDaPvRmT3_T4_T5_mT6_P12ihipStream_tbENKUlT_T0_E_clISt17integral_constantIbLb1EESX_IbLb0EEEEDaST_SU_EUlST_E0_NS1_11comp_targetILNS1_3genE9ELNS1_11target_archE1100ELNS1_3gpuE3ELNS1_3repE0EEENS1_30default_config_static_selectorELNS0_4arch9wavefront6targetE1EEEvT1_, .Lfunc_end6959-_ZN7rocprim17ROCPRIM_400000_NS6detail17trampoline_kernelINS0_14default_configENS1_20scan_config_selectorI3IntEEZZNS1_9scan_implILNS1_25lookback_scan_determinismE0ELb0ELb0ES3_N6thrust23THRUST_200600_302600_NS6detail15normal_iteratorINSA_10device_ptrIKS5_EEEENSC_INSD_IS5_EEEES5_NSA_4plusIvEES5_EEDaPvRmT3_T4_T5_mT6_P12ihipStream_tbENKUlT_T0_E_clISt17integral_constantIbLb1EESX_IbLb0EEEEDaST_SU_EUlST_E0_NS1_11comp_targetILNS1_3genE9ELNS1_11target_archE1100ELNS1_3gpuE3ELNS1_3repE0EEENS1_30default_config_static_selectorELNS0_4arch9wavefront6targetE1EEEvT1_
                                        ; -- End function
	.section	.AMDGPU.csdata,"",@progbits
; Kernel info:
; codeLenInByte = 0
; NumSgprs: 4
; NumVgprs: 0
; NumAgprs: 0
; TotalNumVgprs: 0
; ScratchSize: 0
; MemoryBound: 0
; FloatMode: 240
; IeeeMode: 1
; LDSByteSize: 0 bytes/workgroup (compile time only)
; SGPRBlocks: 0
; VGPRBlocks: 0
; NumSGPRsForWavesPerEU: 4
; NumVGPRsForWavesPerEU: 1
; AccumOffset: 4
; Occupancy: 8
; WaveLimiterHint : 0
; COMPUTE_PGM_RSRC2:SCRATCH_EN: 0
; COMPUTE_PGM_RSRC2:USER_SGPR: 6
; COMPUTE_PGM_RSRC2:TRAP_HANDLER: 0
; COMPUTE_PGM_RSRC2:TGID_X_EN: 1
; COMPUTE_PGM_RSRC2:TGID_Y_EN: 0
; COMPUTE_PGM_RSRC2:TGID_Z_EN: 0
; COMPUTE_PGM_RSRC2:TIDIG_COMP_CNT: 0
; COMPUTE_PGM_RSRC3_GFX90A:ACCUM_OFFSET: 0
; COMPUTE_PGM_RSRC3_GFX90A:TG_SPLIT: 0
	.section	.text._ZN7rocprim17ROCPRIM_400000_NS6detail17trampoline_kernelINS0_14default_configENS1_20scan_config_selectorI3IntEEZZNS1_9scan_implILNS1_25lookback_scan_determinismE0ELb0ELb0ES3_N6thrust23THRUST_200600_302600_NS6detail15normal_iteratorINSA_10device_ptrIKS5_EEEENSC_INSD_IS5_EEEES5_NSA_4plusIvEES5_EEDaPvRmT3_T4_T5_mT6_P12ihipStream_tbENKUlT_T0_E_clISt17integral_constantIbLb1EESX_IbLb0EEEEDaST_SU_EUlST_E0_NS1_11comp_targetILNS1_3genE8ELNS1_11target_archE1030ELNS1_3gpuE2ELNS1_3repE0EEENS1_30default_config_static_selectorELNS0_4arch9wavefront6targetE1EEEvT1_,"axG",@progbits,_ZN7rocprim17ROCPRIM_400000_NS6detail17trampoline_kernelINS0_14default_configENS1_20scan_config_selectorI3IntEEZZNS1_9scan_implILNS1_25lookback_scan_determinismE0ELb0ELb0ES3_N6thrust23THRUST_200600_302600_NS6detail15normal_iteratorINSA_10device_ptrIKS5_EEEENSC_INSD_IS5_EEEES5_NSA_4plusIvEES5_EEDaPvRmT3_T4_T5_mT6_P12ihipStream_tbENKUlT_T0_E_clISt17integral_constantIbLb1EESX_IbLb0EEEEDaST_SU_EUlST_E0_NS1_11comp_targetILNS1_3genE8ELNS1_11target_archE1030ELNS1_3gpuE2ELNS1_3repE0EEENS1_30default_config_static_selectorELNS0_4arch9wavefront6targetE1EEEvT1_,comdat
	.protected	_ZN7rocprim17ROCPRIM_400000_NS6detail17trampoline_kernelINS0_14default_configENS1_20scan_config_selectorI3IntEEZZNS1_9scan_implILNS1_25lookback_scan_determinismE0ELb0ELb0ES3_N6thrust23THRUST_200600_302600_NS6detail15normal_iteratorINSA_10device_ptrIKS5_EEEENSC_INSD_IS5_EEEES5_NSA_4plusIvEES5_EEDaPvRmT3_T4_T5_mT6_P12ihipStream_tbENKUlT_T0_E_clISt17integral_constantIbLb1EESX_IbLb0EEEEDaST_SU_EUlST_E0_NS1_11comp_targetILNS1_3genE8ELNS1_11target_archE1030ELNS1_3gpuE2ELNS1_3repE0EEENS1_30default_config_static_selectorELNS0_4arch9wavefront6targetE1EEEvT1_ ; -- Begin function _ZN7rocprim17ROCPRIM_400000_NS6detail17trampoline_kernelINS0_14default_configENS1_20scan_config_selectorI3IntEEZZNS1_9scan_implILNS1_25lookback_scan_determinismE0ELb0ELb0ES3_N6thrust23THRUST_200600_302600_NS6detail15normal_iteratorINSA_10device_ptrIKS5_EEEENSC_INSD_IS5_EEEES5_NSA_4plusIvEES5_EEDaPvRmT3_T4_T5_mT6_P12ihipStream_tbENKUlT_T0_E_clISt17integral_constantIbLb1EESX_IbLb0EEEEDaST_SU_EUlST_E0_NS1_11comp_targetILNS1_3genE8ELNS1_11target_archE1030ELNS1_3gpuE2ELNS1_3repE0EEENS1_30default_config_static_selectorELNS0_4arch9wavefront6targetE1EEEvT1_
	.globl	_ZN7rocprim17ROCPRIM_400000_NS6detail17trampoline_kernelINS0_14default_configENS1_20scan_config_selectorI3IntEEZZNS1_9scan_implILNS1_25lookback_scan_determinismE0ELb0ELb0ES3_N6thrust23THRUST_200600_302600_NS6detail15normal_iteratorINSA_10device_ptrIKS5_EEEENSC_INSD_IS5_EEEES5_NSA_4plusIvEES5_EEDaPvRmT3_T4_T5_mT6_P12ihipStream_tbENKUlT_T0_E_clISt17integral_constantIbLb1EESX_IbLb0EEEEDaST_SU_EUlST_E0_NS1_11comp_targetILNS1_3genE8ELNS1_11target_archE1030ELNS1_3gpuE2ELNS1_3repE0EEENS1_30default_config_static_selectorELNS0_4arch9wavefront6targetE1EEEvT1_
	.p2align	8
	.type	_ZN7rocprim17ROCPRIM_400000_NS6detail17trampoline_kernelINS0_14default_configENS1_20scan_config_selectorI3IntEEZZNS1_9scan_implILNS1_25lookback_scan_determinismE0ELb0ELb0ES3_N6thrust23THRUST_200600_302600_NS6detail15normal_iteratorINSA_10device_ptrIKS5_EEEENSC_INSD_IS5_EEEES5_NSA_4plusIvEES5_EEDaPvRmT3_T4_T5_mT6_P12ihipStream_tbENKUlT_T0_E_clISt17integral_constantIbLb1EESX_IbLb0EEEEDaST_SU_EUlST_E0_NS1_11comp_targetILNS1_3genE8ELNS1_11target_archE1030ELNS1_3gpuE2ELNS1_3repE0EEENS1_30default_config_static_selectorELNS0_4arch9wavefront6targetE1EEEvT1_,@function
_ZN7rocprim17ROCPRIM_400000_NS6detail17trampoline_kernelINS0_14default_configENS1_20scan_config_selectorI3IntEEZZNS1_9scan_implILNS1_25lookback_scan_determinismE0ELb0ELb0ES3_N6thrust23THRUST_200600_302600_NS6detail15normal_iteratorINSA_10device_ptrIKS5_EEEENSC_INSD_IS5_EEEES5_NSA_4plusIvEES5_EEDaPvRmT3_T4_T5_mT6_P12ihipStream_tbENKUlT_T0_E_clISt17integral_constantIbLb1EESX_IbLb0EEEEDaST_SU_EUlST_E0_NS1_11comp_targetILNS1_3genE8ELNS1_11target_archE1030ELNS1_3gpuE2ELNS1_3repE0EEENS1_30default_config_static_selectorELNS0_4arch9wavefront6targetE1EEEvT1_: ; @_ZN7rocprim17ROCPRIM_400000_NS6detail17trampoline_kernelINS0_14default_configENS1_20scan_config_selectorI3IntEEZZNS1_9scan_implILNS1_25lookback_scan_determinismE0ELb0ELb0ES3_N6thrust23THRUST_200600_302600_NS6detail15normal_iteratorINSA_10device_ptrIKS5_EEEENSC_INSD_IS5_EEEES5_NSA_4plusIvEES5_EEDaPvRmT3_T4_T5_mT6_P12ihipStream_tbENKUlT_T0_E_clISt17integral_constantIbLb1EESX_IbLb0EEEEDaST_SU_EUlST_E0_NS1_11comp_targetILNS1_3genE8ELNS1_11target_archE1030ELNS1_3gpuE2ELNS1_3repE0EEENS1_30default_config_static_selectorELNS0_4arch9wavefront6targetE1EEEvT1_
; %bb.0:
	.section	.rodata,"a",@progbits
	.p2align	6, 0x0
	.amdhsa_kernel _ZN7rocprim17ROCPRIM_400000_NS6detail17trampoline_kernelINS0_14default_configENS1_20scan_config_selectorI3IntEEZZNS1_9scan_implILNS1_25lookback_scan_determinismE0ELb0ELb0ES3_N6thrust23THRUST_200600_302600_NS6detail15normal_iteratorINSA_10device_ptrIKS5_EEEENSC_INSD_IS5_EEEES5_NSA_4plusIvEES5_EEDaPvRmT3_T4_T5_mT6_P12ihipStream_tbENKUlT_T0_E_clISt17integral_constantIbLb1EESX_IbLb0EEEEDaST_SU_EUlST_E0_NS1_11comp_targetILNS1_3genE8ELNS1_11target_archE1030ELNS1_3gpuE2ELNS1_3repE0EEENS1_30default_config_static_selectorELNS0_4arch9wavefront6targetE1EEEvT1_
		.amdhsa_group_segment_fixed_size 0
		.amdhsa_private_segment_fixed_size 0
		.amdhsa_kernarg_size 32
		.amdhsa_user_sgpr_count 6
		.amdhsa_user_sgpr_private_segment_buffer 1
		.amdhsa_user_sgpr_dispatch_ptr 0
		.amdhsa_user_sgpr_queue_ptr 0
		.amdhsa_user_sgpr_kernarg_segment_ptr 1
		.amdhsa_user_sgpr_dispatch_id 0
		.amdhsa_user_sgpr_flat_scratch_init 0
		.amdhsa_user_sgpr_kernarg_preload_length 0
		.amdhsa_user_sgpr_kernarg_preload_offset 0
		.amdhsa_user_sgpr_private_segment_size 0
		.amdhsa_uses_dynamic_stack 0
		.amdhsa_system_sgpr_private_segment_wavefront_offset 0
		.amdhsa_system_sgpr_workgroup_id_x 1
		.amdhsa_system_sgpr_workgroup_id_y 0
		.amdhsa_system_sgpr_workgroup_id_z 0
		.amdhsa_system_sgpr_workgroup_info 0
		.amdhsa_system_vgpr_workitem_id 0
		.amdhsa_next_free_vgpr 1
		.amdhsa_next_free_sgpr 0
		.amdhsa_accum_offset 4
		.amdhsa_reserve_vcc 0
		.amdhsa_reserve_flat_scratch 0
		.amdhsa_float_round_mode_32 0
		.amdhsa_float_round_mode_16_64 0
		.amdhsa_float_denorm_mode_32 3
		.amdhsa_float_denorm_mode_16_64 3
		.amdhsa_dx10_clamp 1
		.amdhsa_ieee_mode 1
		.amdhsa_fp16_overflow 0
		.amdhsa_tg_split 0
		.amdhsa_exception_fp_ieee_invalid_op 0
		.amdhsa_exception_fp_denorm_src 0
		.amdhsa_exception_fp_ieee_div_zero 0
		.amdhsa_exception_fp_ieee_overflow 0
		.amdhsa_exception_fp_ieee_underflow 0
		.amdhsa_exception_fp_ieee_inexact 0
		.amdhsa_exception_int_div_zero 0
	.end_amdhsa_kernel
	.section	.text._ZN7rocprim17ROCPRIM_400000_NS6detail17trampoline_kernelINS0_14default_configENS1_20scan_config_selectorI3IntEEZZNS1_9scan_implILNS1_25lookback_scan_determinismE0ELb0ELb0ES3_N6thrust23THRUST_200600_302600_NS6detail15normal_iteratorINSA_10device_ptrIKS5_EEEENSC_INSD_IS5_EEEES5_NSA_4plusIvEES5_EEDaPvRmT3_T4_T5_mT6_P12ihipStream_tbENKUlT_T0_E_clISt17integral_constantIbLb1EESX_IbLb0EEEEDaST_SU_EUlST_E0_NS1_11comp_targetILNS1_3genE8ELNS1_11target_archE1030ELNS1_3gpuE2ELNS1_3repE0EEENS1_30default_config_static_selectorELNS0_4arch9wavefront6targetE1EEEvT1_,"axG",@progbits,_ZN7rocprim17ROCPRIM_400000_NS6detail17trampoline_kernelINS0_14default_configENS1_20scan_config_selectorI3IntEEZZNS1_9scan_implILNS1_25lookback_scan_determinismE0ELb0ELb0ES3_N6thrust23THRUST_200600_302600_NS6detail15normal_iteratorINSA_10device_ptrIKS5_EEEENSC_INSD_IS5_EEEES5_NSA_4plusIvEES5_EEDaPvRmT3_T4_T5_mT6_P12ihipStream_tbENKUlT_T0_E_clISt17integral_constantIbLb1EESX_IbLb0EEEEDaST_SU_EUlST_E0_NS1_11comp_targetILNS1_3genE8ELNS1_11target_archE1030ELNS1_3gpuE2ELNS1_3repE0EEENS1_30default_config_static_selectorELNS0_4arch9wavefront6targetE1EEEvT1_,comdat
.Lfunc_end6960:
	.size	_ZN7rocprim17ROCPRIM_400000_NS6detail17trampoline_kernelINS0_14default_configENS1_20scan_config_selectorI3IntEEZZNS1_9scan_implILNS1_25lookback_scan_determinismE0ELb0ELb0ES3_N6thrust23THRUST_200600_302600_NS6detail15normal_iteratorINSA_10device_ptrIKS5_EEEENSC_INSD_IS5_EEEES5_NSA_4plusIvEES5_EEDaPvRmT3_T4_T5_mT6_P12ihipStream_tbENKUlT_T0_E_clISt17integral_constantIbLb1EESX_IbLb0EEEEDaST_SU_EUlST_E0_NS1_11comp_targetILNS1_3genE8ELNS1_11target_archE1030ELNS1_3gpuE2ELNS1_3repE0EEENS1_30default_config_static_selectorELNS0_4arch9wavefront6targetE1EEEvT1_, .Lfunc_end6960-_ZN7rocprim17ROCPRIM_400000_NS6detail17trampoline_kernelINS0_14default_configENS1_20scan_config_selectorI3IntEEZZNS1_9scan_implILNS1_25lookback_scan_determinismE0ELb0ELb0ES3_N6thrust23THRUST_200600_302600_NS6detail15normal_iteratorINSA_10device_ptrIKS5_EEEENSC_INSD_IS5_EEEES5_NSA_4plusIvEES5_EEDaPvRmT3_T4_T5_mT6_P12ihipStream_tbENKUlT_T0_E_clISt17integral_constantIbLb1EESX_IbLb0EEEEDaST_SU_EUlST_E0_NS1_11comp_targetILNS1_3genE8ELNS1_11target_archE1030ELNS1_3gpuE2ELNS1_3repE0EEENS1_30default_config_static_selectorELNS0_4arch9wavefront6targetE1EEEvT1_
                                        ; -- End function
	.section	.AMDGPU.csdata,"",@progbits
; Kernel info:
; codeLenInByte = 0
; NumSgprs: 4
; NumVgprs: 0
; NumAgprs: 0
; TotalNumVgprs: 0
; ScratchSize: 0
; MemoryBound: 0
; FloatMode: 240
; IeeeMode: 1
; LDSByteSize: 0 bytes/workgroup (compile time only)
; SGPRBlocks: 0
; VGPRBlocks: 0
; NumSGPRsForWavesPerEU: 4
; NumVGPRsForWavesPerEU: 1
; AccumOffset: 4
; Occupancy: 8
; WaveLimiterHint : 0
; COMPUTE_PGM_RSRC2:SCRATCH_EN: 0
; COMPUTE_PGM_RSRC2:USER_SGPR: 6
; COMPUTE_PGM_RSRC2:TRAP_HANDLER: 0
; COMPUTE_PGM_RSRC2:TGID_X_EN: 1
; COMPUTE_PGM_RSRC2:TGID_Y_EN: 0
; COMPUTE_PGM_RSRC2:TGID_Z_EN: 0
; COMPUTE_PGM_RSRC2:TIDIG_COMP_CNT: 0
; COMPUTE_PGM_RSRC3_GFX90A:ACCUM_OFFSET: 0
; COMPUTE_PGM_RSRC3_GFX90A:TG_SPLIT: 0
	.section	.text._ZN7rocprim17ROCPRIM_400000_NS6detail31init_lookback_scan_state_kernelINS1_19lookback_scan_stateI3IntLb0ELb1EEENS1_16block_id_wrapperIjLb1EEEEEvT_jT0_jPNS8_10value_typeE,"axG",@progbits,_ZN7rocprim17ROCPRIM_400000_NS6detail31init_lookback_scan_state_kernelINS1_19lookback_scan_stateI3IntLb0ELb1EEENS1_16block_id_wrapperIjLb1EEEEEvT_jT0_jPNS8_10value_typeE,comdat
	.protected	_ZN7rocprim17ROCPRIM_400000_NS6detail31init_lookback_scan_state_kernelINS1_19lookback_scan_stateI3IntLb0ELb1EEENS1_16block_id_wrapperIjLb1EEEEEvT_jT0_jPNS8_10value_typeE ; -- Begin function _ZN7rocprim17ROCPRIM_400000_NS6detail31init_lookback_scan_state_kernelINS1_19lookback_scan_stateI3IntLb0ELb1EEENS1_16block_id_wrapperIjLb1EEEEEvT_jT0_jPNS8_10value_typeE
	.globl	_ZN7rocprim17ROCPRIM_400000_NS6detail31init_lookback_scan_state_kernelINS1_19lookback_scan_stateI3IntLb0ELb1EEENS1_16block_id_wrapperIjLb1EEEEEvT_jT0_jPNS8_10value_typeE
	.p2align	8
	.type	_ZN7rocprim17ROCPRIM_400000_NS6detail31init_lookback_scan_state_kernelINS1_19lookback_scan_stateI3IntLb0ELb1EEENS1_16block_id_wrapperIjLb1EEEEEvT_jT0_jPNS8_10value_typeE,@function
_ZN7rocprim17ROCPRIM_400000_NS6detail31init_lookback_scan_state_kernelINS1_19lookback_scan_stateI3IntLb0ELb1EEENS1_16block_id_wrapperIjLb1EEEEEvT_jT0_jPNS8_10value_typeE: ; @_ZN7rocprim17ROCPRIM_400000_NS6detail31init_lookback_scan_state_kernelINS1_19lookback_scan_stateI3IntLb0ELb1EEENS1_16block_id_wrapperIjLb1EEEEEvT_jT0_jPNS8_10value_typeE
; %bb.0:
	s_load_dword s7, s[4:5], 0x34
	s_load_dwordx2 s[2:3], s[4:5], 0x20
	s_load_dwordx2 s[0:1], s[4:5], 0x0
	s_load_dword s10, s[4:5], 0x8
	s_waitcnt lgkmcnt(0)
	s_and_b32 s7, s7, 0xffff
	s_mul_i32 s6, s6, s7
	s_cmp_eq_u64 s[2:3], 0
	v_add_u32_e32 v0, s6, v0
	s_cbranch_scc1 .LBB6961_6
; %bb.1:
	s_load_dword s8, s[4:5], 0x18
	s_mov_b32 s9, 0
	s_waitcnt lgkmcnt(0)
	s_cmp_lt_u32 s8, s10
	s_cselect_b32 s6, s8, 0
	v_cmp_eq_u32_e32 vcc, s6, v0
	s_and_saveexec_b64 s[6:7], vcc
	s_cbranch_execz .LBB6961_5
; %bb.2:
	s_add_i32 s8, s8, 64
	s_lshl_b64 s[8:9], s[8:9], 3
	s_add_u32 s8, s0, s8
	s_addc_u32 s9, s1, s9
	v_mov_b32_e32 v4, 0
	global_load_dwordx2 v[2:3], v4, s[8:9] glc
	s_waitcnt vmcnt(0)
	v_and_b32_e32 v5, 0xff, v3
	v_cmp_ne_u64_e32 vcc, 0, v[4:5]
	s_cbranch_vccnz .LBB6961_4
.LBB6961_3:                             ; =>This Inner Loop Header: Depth=1
	global_load_dwordx2 v[2:3], v4, s[8:9] glc
	s_waitcnt vmcnt(0)
	v_and_b32_e32 v5, 0xff, v3
	v_cmp_eq_u64_e32 vcc, 0, v[4:5]
	s_cbranch_vccnz .LBB6961_3
.LBB6961_4:
	v_mov_b32_e32 v1, 0
	global_store_dword v1, v2, s[2:3]
.LBB6961_5:
	s_or_b64 exec, exec, s[6:7]
.LBB6961_6:
	v_cmp_eq_u32_e32 vcc, 0, v0
	s_and_saveexec_b64 s[2:3], vcc
	s_cbranch_execnz .LBB6961_10
; %bb.7:
	s_or_b64 exec, exec, s[2:3]
	v_cmp_gt_u32_e32 vcc, s10, v0
	s_and_saveexec_b64 s[2:3], vcc
	s_cbranch_execnz .LBB6961_11
.LBB6961_8:
	s_or_b64 exec, exec, s[2:3]
	v_cmp_gt_u32_e32 vcc, 64, v0
	s_and_saveexec_b64 s[2:3], vcc
	s_cbranch_execnz .LBB6961_12
.LBB6961_9:
	s_endpgm
.LBB6961_10:
	s_load_dwordx2 s[4:5], s[4:5], 0x10
	v_mov_b32_e32 v1, 0
	s_waitcnt lgkmcnt(0)
	global_store_dword v1, v1, s[4:5]
	s_or_b64 exec, exec, s[2:3]
	v_cmp_gt_u32_e32 vcc, s10, v0
	s_and_saveexec_b64 s[2:3], vcc
	s_cbranch_execz .LBB6961_8
.LBB6961_11:
	v_add_u32_e32 v2, 64, v0
	v_mov_b32_e32 v3, 0
	v_lshlrev_b64 v[4:5], 3, v[2:3]
	v_mov_b32_e32 v1, s1
	v_add_co_u32_e32 v4, vcc, s0, v4
	v_addc_co_u32_e32 v5, vcc, v1, v5, vcc
	v_mov_b32_e32 v2, v3
	global_store_dwordx2 v[4:5], v[2:3], off
	s_or_b64 exec, exec, s[2:3]
	v_cmp_gt_u32_e32 vcc, 64, v0
	s_and_saveexec_b64 s[2:3], vcc
	s_cbranch_execz .LBB6961_9
.LBB6961_12:
	v_mov_b32_e32 v1, 0
	v_lshlrev_b64 v[2:3], 3, v[0:1]
	v_mov_b32_e32 v0, s1
	v_add_co_u32_e32 v2, vcc, s0, v2
	v_addc_co_u32_e32 v3, vcc, v0, v3, vcc
	v_mov_b32_e32 v5, 0xff
	v_mov_b32_e32 v4, v1
	global_store_dwordx2 v[2:3], v[4:5], off
	s_endpgm
	.section	.rodata,"a",@progbits
	.p2align	6, 0x0
	.amdhsa_kernel _ZN7rocprim17ROCPRIM_400000_NS6detail31init_lookback_scan_state_kernelINS1_19lookback_scan_stateI3IntLb0ELb1EEENS1_16block_id_wrapperIjLb1EEEEEvT_jT0_jPNS8_10value_typeE
		.amdhsa_group_segment_fixed_size 0
		.amdhsa_private_segment_fixed_size 0
		.amdhsa_kernarg_size 296
		.amdhsa_user_sgpr_count 6
		.amdhsa_user_sgpr_private_segment_buffer 1
		.amdhsa_user_sgpr_dispatch_ptr 0
		.amdhsa_user_sgpr_queue_ptr 0
		.amdhsa_user_sgpr_kernarg_segment_ptr 1
		.amdhsa_user_sgpr_dispatch_id 0
		.amdhsa_user_sgpr_flat_scratch_init 0
		.amdhsa_user_sgpr_kernarg_preload_length 0
		.amdhsa_user_sgpr_kernarg_preload_offset 0
		.amdhsa_user_sgpr_private_segment_size 0
		.amdhsa_uses_dynamic_stack 0
		.amdhsa_system_sgpr_private_segment_wavefront_offset 0
		.amdhsa_system_sgpr_workgroup_id_x 1
		.amdhsa_system_sgpr_workgroup_id_y 0
		.amdhsa_system_sgpr_workgroup_id_z 0
		.amdhsa_system_sgpr_workgroup_info 0
		.amdhsa_system_vgpr_workitem_id 0
		.amdhsa_next_free_vgpr 6
		.amdhsa_next_free_sgpr 11
		.amdhsa_accum_offset 8
		.amdhsa_reserve_vcc 1
		.amdhsa_reserve_flat_scratch 0
		.amdhsa_float_round_mode_32 0
		.amdhsa_float_round_mode_16_64 0
		.amdhsa_float_denorm_mode_32 3
		.amdhsa_float_denorm_mode_16_64 3
		.amdhsa_dx10_clamp 1
		.amdhsa_ieee_mode 1
		.amdhsa_fp16_overflow 0
		.amdhsa_tg_split 0
		.amdhsa_exception_fp_ieee_invalid_op 0
		.amdhsa_exception_fp_denorm_src 0
		.amdhsa_exception_fp_ieee_div_zero 0
		.amdhsa_exception_fp_ieee_overflow 0
		.amdhsa_exception_fp_ieee_underflow 0
		.amdhsa_exception_fp_ieee_inexact 0
		.amdhsa_exception_int_div_zero 0
	.end_amdhsa_kernel
	.section	.text._ZN7rocprim17ROCPRIM_400000_NS6detail31init_lookback_scan_state_kernelINS1_19lookback_scan_stateI3IntLb0ELb1EEENS1_16block_id_wrapperIjLb1EEEEEvT_jT0_jPNS8_10value_typeE,"axG",@progbits,_ZN7rocprim17ROCPRIM_400000_NS6detail31init_lookback_scan_state_kernelINS1_19lookback_scan_stateI3IntLb0ELb1EEENS1_16block_id_wrapperIjLb1EEEEEvT_jT0_jPNS8_10value_typeE,comdat
.Lfunc_end6961:
	.size	_ZN7rocprim17ROCPRIM_400000_NS6detail31init_lookback_scan_state_kernelINS1_19lookback_scan_stateI3IntLb0ELb1EEENS1_16block_id_wrapperIjLb1EEEEEvT_jT0_jPNS8_10value_typeE, .Lfunc_end6961-_ZN7rocprim17ROCPRIM_400000_NS6detail31init_lookback_scan_state_kernelINS1_19lookback_scan_stateI3IntLb0ELb1EEENS1_16block_id_wrapperIjLb1EEEEEvT_jT0_jPNS8_10value_typeE
                                        ; -- End function
	.section	.AMDGPU.csdata,"",@progbits
; Kernel info:
; codeLenInByte = 380
; NumSgprs: 15
; NumVgprs: 6
; NumAgprs: 0
; TotalNumVgprs: 6
; ScratchSize: 0
; MemoryBound: 0
; FloatMode: 240
; IeeeMode: 1
; LDSByteSize: 0 bytes/workgroup (compile time only)
; SGPRBlocks: 1
; VGPRBlocks: 0
; NumSGPRsForWavesPerEU: 15
; NumVGPRsForWavesPerEU: 6
; AccumOffset: 8
; Occupancy: 8
; WaveLimiterHint : 0
; COMPUTE_PGM_RSRC2:SCRATCH_EN: 0
; COMPUTE_PGM_RSRC2:USER_SGPR: 6
; COMPUTE_PGM_RSRC2:TRAP_HANDLER: 0
; COMPUTE_PGM_RSRC2:TGID_X_EN: 1
; COMPUTE_PGM_RSRC2:TGID_Y_EN: 0
; COMPUTE_PGM_RSRC2:TGID_Z_EN: 0
; COMPUTE_PGM_RSRC2:TIDIG_COMP_CNT: 0
; COMPUTE_PGM_RSRC3_GFX90A:ACCUM_OFFSET: 1
; COMPUTE_PGM_RSRC3_GFX90A:TG_SPLIT: 0
	.section	.text._ZN7rocprim17ROCPRIM_400000_NS6detail17trampoline_kernelINS0_14default_configENS1_20scan_config_selectorI3IntEEZZNS1_9scan_implILNS1_25lookback_scan_determinismE0ELb0ELb0ES3_N6thrust23THRUST_200600_302600_NS6detail15normal_iteratorINSA_10device_ptrIKS5_EEEENSC_INSD_IS5_EEEES5_NSA_4plusIvEES5_EEDaPvRmT3_T4_T5_mT6_P12ihipStream_tbENKUlT_T0_E_clISt17integral_constantIbLb0EESX_IbLb1EEEEDaST_SU_EUlST_E_NS1_11comp_targetILNS1_3genE0ELNS1_11target_archE4294967295ELNS1_3gpuE0ELNS1_3repE0EEENS1_30default_config_static_selectorELNS0_4arch9wavefront6targetE1EEEvT1_,"axG",@progbits,_ZN7rocprim17ROCPRIM_400000_NS6detail17trampoline_kernelINS0_14default_configENS1_20scan_config_selectorI3IntEEZZNS1_9scan_implILNS1_25lookback_scan_determinismE0ELb0ELb0ES3_N6thrust23THRUST_200600_302600_NS6detail15normal_iteratorINSA_10device_ptrIKS5_EEEENSC_INSD_IS5_EEEES5_NSA_4plusIvEES5_EEDaPvRmT3_T4_T5_mT6_P12ihipStream_tbENKUlT_T0_E_clISt17integral_constantIbLb0EESX_IbLb1EEEEDaST_SU_EUlST_E_NS1_11comp_targetILNS1_3genE0ELNS1_11target_archE4294967295ELNS1_3gpuE0ELNS1_3repE0EEENS1_30default_config_static_selectorELNS0_4arch9wavefront6targetE1EEEvT1_,comdat
	.protected	_ZN7rocprim17ROCPRIM_400000_NS6detail17trampoline_kernelINS0_14default_configENS1_20scan_config_selectorI3IntEEZZNS1_9scan_implILNS1_25lookback_scan_determinismE0ELb0ELb0ES3_N6thrust23THRUST_200600_302600_NS6detail15normal_iteratorINSA_10device_ptrIKS5_EEEENSC_INSD_IS5_EEEES5_NSA_4plusIvEES5_EEDaPvRmT3_T4_T5_mT6_P12ihipStream_tbENKUlT_T0_E_clISt17integral_constantIbLb0EESX_IbLb1EEEEDaST_SU_EUlST_E_NS1_11comp_targetILNS1_3genE0ELNS1_11target_archE4294967295ELNS1_3gpuE0ELNS1_3repE0EEENS1_30default_config_static_selectorELNS0_4arch9wavefront6targetE1EEEvT1_ ; -- Begin function _ZN7rocprim17ROCPRIM_400000_NS6detail17trampoline_kernelINS0_14default_configENS1_20scan_config_selectorI3IntEEZZNS1_9scan_implILNS1_25lookback_scan_determinismE0ELb0ELb0ES3_N6thrust23THRUST_200600_302600_NS6detail15normal_iteratorINSA_10device_ptrIKS5_EEEENSC_INSD_IS5_EEEES5_NSA_4plusIvEES5_EEDaPvRmT3_T4_T5_mT6_P12ihipStream_tbENKUlT_T0_E_clISt17integral_constantIbLb0EESX_IbLb1EEEEDaST_SU_EUlST_E_NS1_11comp_targetILNS1_3genE0ELNS1_11target_archE4294967295ELNS1_3gpuE0ELNS1_3repE0EEENS1_30default_config_static_selectorELNS0_4arch9wavefront6targetE1EEEvT1_
	.globl	_ZN7rocprim17ROCPRIM_400000_NS6detail17trampoline_kernelINS0_14default_configENS1_20scan_config_selectorI3IntEEZZNS1_9scan_implILNS1_25lookback_scan_determinismE0ELb0ELb0ES3_N6thrust23THRUST_200600_302600_NS6detail15normal_iteratorINSA_10device_ptrIKS5_EEEENSC_INSD_IS5_EEEES5_NSA_4plusIvEES5_EEDaPvRmT3_T4_T5_mT6_P12ihipStream_tbENKUlT_T0_E_clISt17integral_constantIbLb0EESX_IbLb1EEEEDaST_SU_EUlST_E_NS1_11comp_targetILNS1_3genE0ELNS1_11target_archE4294967295ELNS1_3gpuE0ELNS1_3repE0EEENS1_30default_config_static_selectorELNS0_4arch9wavefront6targetE1EEEvT1_
	.p2align	8
	.type	_ZN7rocprim17ROCPRIM_400000_NS6detail17trampoline_kernelINS0_14default_configENS1_20scan_config_selectorI3IntEEZZNS1_9scan_implILNS1_25lookback_scan_determinismE0ELb0ELb0ES3_N6thrust23THRUST_200600_302600_NS6detail15normal_iteratorINSA_10device_ptrIKS5_EEEENSC_INSD_IS5_EEEES5_NSA_4plusIvEES5_EEDaPvRmT3_T4_T5_mT6_P12ihipStream_tbENKUlT_T0_E_clISt17integral_constantIbLb0EESX_IbLb1EEEEDaST_SU_EUlST_E_NS1_11comp_targetILNS1_3genE0ELNS1_11target_archE4294967295ELNS1_3gpuE0ELNS1_3repE0EEENS1_30default_config_static_selectorELNS0_4arch9wavefront6targetE1EEEvT1_,@function
_ZN7rocprim17ROCPRIM_400000_NS6detail17trampoline_kernelINS0_14default_configENS1_20scan_config_selectorI3IntEEZZNS1_9scan_implILNS1_25lookback_scan_determinismE0ELb0ELb0ES3_N6thrust23THRUST_200600_302600_NS6detail15normal_iteratorINSA_10device_ptrIKS5_EEEENSC_INSD_IS5_EEEES5_NSA_4plusIvEES5_EEDaPvRmT3_T4_T5_mT6_P12ihipStream_tbENKUlT_T0_E_clISt17integral_constantIbLb0EESX_IbLb1EEEEDaST_SU_EUlST_E_NS1_11comp_targetILNS1_3genE0ELNS1_11target_archE4294967295ELNS1_3gpuE0ELNS1_3repE0EEENS1_30default_config_static_selectorELNS0_4arch9wavefront6targetE1EEEvT1_: ; @_ZN7rocprim17ROCPRIM_400000_NS6detail17trampoline_kernelINS0_14default_configENS1_20scan_config_selectorI3IntEEZZNS1_9scan_implILNS1_25lookback_scan_determinismE0ELb0ELb0ES3_N6thrust23THRUST_200600_302600_NS6detail15normal_iteratorINSA_10device_ptrIKS5_EEEENSC_INSD_IS5_EEEES5_NSA_4plusIvEES5_EEDaPvRmT3_T4_T5_mT6_P12ihipStream_tbENKUlT_T0_E_clISt17integral_constantIbLb0EESX_IbLb1EEEEDaST_SU_EUlST_E_NS1_11comp_targetILNS1_3genE0ELNS1_11target_archE4294967295ELNS1_3gpuE0ELNS1_3repE0EEENS1_30default_config_static_selectorELNS0_4arch9wavefront6targetE1EEEvT1_
; %bb.0:
	.section	.rodata,"a",@progbits
	.p2align	6, 0x0
	.amdhsa_kernel _ZN7rocprim17ROCPRIM_400000_NS6detail17trampoline_kernelINS0_14default_configENS1_20scan_config_selectorI3IntEEZZNS1_9scan_implILNS1_25lookback_scan_determinismE0ELb0ELb0ES3_N6thrust23THRUST_200600_302600_NS6detail15normal_iteratorINSA_10device_ptrIKS5_EEEENSC_INSD_IS5_EEEES5_NSA_4plusIvEES5_EEDaPvRmT3_T4_T5_mT6_P12ihipStream_tbENKUlT_T0_E_clISt17integral_constantIbLb0EESX_IbLb1EEEEDaST_SU_EUlST_E_NS1_11comp_targetILNS1_3genE0ELNS1_11target_archE4294967295ELNS1_3gpuE0ELNS1_3repE0EEENS1_30default_config_static_selectorELNS0_4arch9wavefront6targetE1EEEvT1_
		.amdhsa_group_segment_fixed_size 0
		.amdhsa_private_segment_fixed_size 0
		.amdhsa_kernarg_size 96
		.amdhsa_user_sgpr_count 6
		.amdhsa_user_sgpr_private_segment_buffer 1
		.amdhsa_user_sgpr_dispatch_ptr 0
		.amdhsa_user_sgpr_queue_ptr 0
		.amdhsa_user_sgpr_kernarg_segment_ptr 1
		.amdhsa_user_sgpr_dispatch_id 0
		.amdhsa_user_sgpr_flat_scratch_init 0
		.amdhsa_user_sgpr_kernarg_preload_length 0
		.amdhsa_user_sgpr_kernarg_preload_offset 0
		.amdhsa_user_sgpr_private_segment_size 0
		.amdhsa_uses_dynamic_stack 0
		.amdhsa_system_sgpr_private_segment_wavefront_offset 0
		.amdhsa_system_sgpr_workgroup_id_x 1
		.amdhsa_system_sgpr_workgroup_id_y 0
		.amdhsa_system_sgpr_workgroup_id_z 0
		.amdhsa_system_sgpr_workgroup_info 0
		.amdhsa_system_vgpr_workitem_id 0
		.amdhsa_next_free_vgpr 1
		.amdhsa_next_free_sgpr 0
		.amdhsa_accum_offset 4
		.amdhsa_reserve_vcc 0
		.amdhsa_reserve_flat_scratch 0
		.amdhsa_float_round_mode_32 0
		.amdhsa_float_round_mode_16_64 0
		.amdhsa_float_denorm_mode_32 3
		.amdhsa_float_denorm_mode_16_64 3
		.amdhsa_dx10_clamp 1
		.amdhsa_ieee_mode 1
		.amdhsa_fp16_overflow 0
		.amdhsa_tg_split 0
		.amdhsa_exception_fp_ieee_invalid_op 0
		.amdhsa_exception_fp_denorm_src 0
		.amdhsa_exception_fp_ieee_div_zero 0
		.amdhsa_exception_fp_ieee_overflow 0
		.amdhsa_exception_fp_ieee_underflow 0
		.amdhsa_exception_fp_ieee_inexact 0
		.amdhsa_exception_int_div_zero 0
	.end_amdhsa_kernel
	.section	.text._ZN7rocprim17ROCPRIM_400000_NS6detail17trampoline_kernelINS0_14default_configENS1_20scan_config_selectorI3IntEEZZNS1_9scan_implILNS1_25lookback_scan_determinismE0ELb0ELb0ES3_N6thrust23THRUST_200600_302600_NS6detail15normal_iteratorINSA_10device_ptrIKS5_EEEENSC_INSD_IS5_EEEES5_NSA_4plusIvEES5_EEDaPvRmT3_T4_T5_mT6_P12ihipStream_tbENKUlT_T0_E_clISt17integral_constantIbLb0EESX_IbLb1EEEEDaST_SU_EUlST_E_NS1_11comp_targetILNS1_3genE0ELNS1_11target_archE4294967295ELNS1_3gpuE0ELNS1_3repE0EEENS1_30default_config_static_selectorELNS0_4arch9wavefront6targetE1EEEvT1_,"axG",@progbits,_ZN7rocprim17ROCPRIM_400000_NS6detail17trampoline_kernelINS0_14default_configENS1_20scan_config_selectorI3IntEEZZNS1_9scan_implILNS1_25lookback_scan_determinismE0ELb0ELb0ES3_N6thrust23THRUST_200600_302600_NS6detail15normal_iteratorINSA_10device_ptrIKS5_EEEENSC_INSD_IS5_EEEES5_NSA_4plusIvEES5_EEDaPvRmT3_T4_T5_mT6_P12ihipStream_tbENKUlT_T0_E_clISt17integral_constantIbLb0EESX_IbLb1EEEEDaST_SU_EUlST_E_NS1_11comp_targetILNS1_3genE0ELNS1_11target_archE4294967295ELNS1_3gpuE0ELNS1_3repE0EEENS1_30default_config_static_selectorELNS0_4arch9wavefront6targetE1EEEvT1_,comdat
.Lfunc_end6962:
	.size	_ZN7rocprim17ROCPRIM_400000_NS6detail17trampoline_kernelINS0_14default_configENS1_20scan_config_selectorI3IntEEZZNS1_9scan_implILNS1_25lookback_scan_determinismE0ELb0ELb0ES3_N6thrust23THRUST_200600_302600_NS6detail15normal_iteratorINSA_10device_ptrIKS5_EEEENSC_INSD_IS5_EEEES5_NSA_4plusIvEES5_EEDaPvRmT3_T4_T5_mT6_P12ihipStream_tbENKUlT_T0_E_clISt17integral_constantIbLb0EESX_IbLb1EEEEDaST_SU_EUlST_E_NS1_11comp_targetILNS1_3genE0ELNS1_11target_archE4294967295ELNS1_3gpuE0ELNS1_3repE0EEENS1_30default_config_static_selectorELNS0_4arch9wavefront6targetE1EEEvT1_, .Lfunc_end6962-_ZN7rocprim17ROCPRIM_400000_NS6detail17trampoline_kernelINS0_14default_configENS1_20scan_config_selectorI3IntEEZZNS1_9scan_implILNS1_25lookback_scan_determinismE0ELb0ELb0ES3_N6thrust23THRUST_200600_302600_NS6detail15normal_iteratorINSA_10device_ptrIKS5_EEEENSC_INSD_IS5_EEEES5_NSA_4plusIvEES5_EEDaPvRmT3_T4_T5_mT6_P12ihipStream_tbENKUlT_T0_E_clISt17integral_constantIbLb0EESX_IbLb1EEEEDaST_SU_EUlST_E_NS1_11comp_targetILNS1_3genE0ELNS1_11target_archE4294967295ELNS1_3gpuE0ELNS1_3repE0EEENS1_30default_config_static_selectorELNS0_4arch9wavefront6targetE1EEEvT1_
                                        ; -- End function
	.section	.AMDGPU.csdata,"",@progbits
; Kernel info:
; codeLenInByte = 0
; NumSgprs: 4
; NumVgprs: 0
; NumAgprs: 0
; TotalNumVgprs: 0
; ScratchSize: 0
; MemoryBound: 0
; FloatMode: 240
; IeeeMode: 1
; LDSByteSize: 0 bytes/workgroup (compile time only)
; SGPRBlocks: 0
; VGPRBlocks: 0
; NumSGPRsForWavesPerEU: 4
; NumVGPRsForWavesPerEU: 1
; AccumOffset: 4
; Occupancy: 8
; WaveLimiterHint : 0
; COMPUTE_PGM_RSRC2:SCRATCH_EN: 0
; COMPUTE_PGM_RSRC2:USER_SGPR: 6
; COMPUTE_PGM_RSRC2:TRAP_HANDLER: 0
; COMPUTE_PGM_RSRC2:TGID_X_EN: 1
; COMPUTE_PGM_RSRC2:TGID_Y_EN: 0
; COMPUTE_PGM_RSRC2:TGID_Z_EN: 0
; COMPUTE_PGM_RSRC2:TIDIG_COMP_CNT: 0
; COMPUTE_PGM_RSRC3_GFX90A:ACCUM_OFFSET: 0
; COMPUTE_PGM_RSRC3_GFX90A:TG_SPLIT: 0
	.section	.text._ZN7rocprim17ROCPRIM_400000_NS6detail17trampoline_kernelINS0_14default_configENS1_20scan_config_selectorI3IntEEZZNS1_9scan_implILNS1_25lookback_scan_determinismE0ELb0ELb0ES3_N6thrust23THRUST_200600_302600_NS6detail15normal_iteratorINSA_10device_ptrIKS5_EEEENSC_INSD_IS5_EEEES5_NSA_4plusIvEES5_EEDaPvRmT3_T4_T5_mT6_P12ihipStream_tbENKUlT_T0_E_clISt17integral_constantIbLb0EESX_IbLb1EEEEDaST_SU_EUlST_E_NS1_11comp_targetILNS1_3genE5ELNS1_11target_archE942ELNS1_3gpuE9ELNS1_3repE0EEENS1_30default_config_static_selectorELNS0_4arch9wavefront6targetE1EEEvT1_,"axG",@progbits,_ZN7rocprim17ROCPRIM_400000_NS6detail17trampoline_kernelINS0_14default_configENS1_20scan_config_selectorI3IntEEZZNS1_9scan_implILNS1_25lookback_scan_determinismE0ELb0ELb0ES3_N6thrust23THRUST_200600_302600_NS6detail15normal_iteratorINSA_10device_ptrIKS5_EEEENSC_INSD_IS5_EEEES5_NSA_4plusIvEES5_EEDaPvRmT3_T4_T5_mT6_P12ihipStream_tbENKUlT_T0_E_clISt17integral_constantIbLb0EESX_IbLb1EEEEDaST_SU_EUlST_E_NS1_11comp_targetILNS1_3genE5ELNS1_11target_archE942ELNS1_3gpuE9ELNS1_3repE0EEENS1_30default_config_static_selectorELNS0_4arch9wavefront6targetE1EEEvT1_,comdat
	.protected	_ZN7rocprim17ROCPRIM_400000_NS6detail17trampoline_kernelINS0_14default_configENS1_20scan_config_selectorI3IntEEZZNS1_9scan_implILNS1_25lookback_scan_determinismE0ELb0ELb0ES3_N6thrust23THRUST_200600_302600_NS6detail15normal_iteratorINSA_10device_ptrIKS5_EEEENSC_INSD_IS5_EEEES5_NSA_4plusIvEES5_EEDaPvRmT3_T4_T5_mT6_P12ihipStream_tbENKUlT_T0_E_clISt17integral_constantIbLb0EESX_IbLb1EEEEDaST_SU_EUlST_E_NS1_11comp_targetILNS1_3genE5ELNS1_11target_archE942ELNS1_3gpuE9ELNS1_3repE0EEENS1_30default_config_static_selectorELNS0_4arch9wavefront6targetE1EEEvT1_ ; -- Begin function _ZN7rocprim17ROCPRIM_400000_NS6detail17trampoline_kernelINS0_14default_configENS1_20scan_config_selectorI3IntEEZZNS1_9scan_implILNS1_25lookback_scan_determinismE0ELb0ELb0ES3_N6thrust23THRUST_200600_302600_NS6detail15normal_iteratorINSA_10device_ptrIKS5_EEEENSC_INSD_IS5_EEEES5_NSA_4plusIvEES5_EEDaPvRmT3_T4_T5_mT6_P12ihipStream_tbENKUlT_T0_E_clISt17integral_constantIbLb0EESX_IbLb1EEEEDaST_SU_EUlST_E_NS1_11comp_targetILNS1_3genE5ELNS1_11target_archE942ELNS1_3gpuE9ELNS1_3repE0EEENS1_30default_config_static_selectorELNS0_4arch9wavefront6targetE1EEEvT1_
	.globl	_ZN7rocprim17ROCPRIM_400000_NS6detail17trampoline_kernelINS0_14default_configENS1_20scan_config_selectorI3IntEEZZNS1_9scan_implILNS1_25lookback_scan_determinismE0ELb0ELb0ES3_N6thrust23THRUST_200600_302600_NS6detail15normal_iteratorINSA_10device_ptrIKS5_EEEENSC_INSD_IS5_EEEES5_NSA_4plusIvEES5_EEDaPvRmT3_T4_T5_mT6_P12ihipStream_tbENKUlT_T0_E_clISt17integral_constantIbLb0EESX_IbLb1EEEEDaST_SU_EUlST_E_NS1_11comp_targetILNS1_3genE5ELNS1_11target_archE942ELNS1_3gpuE9ELNS1_3repE0EEENS1_30default_config_static_selectorELNS0_4arch9wavefront6targetE1EEEvT1_
	.p2align	8
	.type	_ZN7rocprim17ROCPRIM_400000_NS6detail17trampoline_kernelINS0_14default_configENS1_20scan_config_selectorI3IntEEZZNS1_9scan_implILNS1_25lookback_scan_determinismE0ELb0ELb0ES3_N6thrust23THRUST_200600_302600_NS6detail15normal_iteratorINSA_10device_ptrIKS5_EEEENSC_INSD_IS5_EEEES5_NSA_4plusIvEES5_EEDaPvRmT3_T4_T5_mT6_P12ihipStream_tbENKUlT_T0_E_clISt17integral_constantIbLb0EESX_IbLb1EEEEDaST_SU_EUlST_E_NS1_11comp_targetILNS1_3genE5ELNS1_11target_archE942ELNS1_3gpuE9ELNS1_3repE0EEENS1_30default_config_static_selectorELNS0_4arch9wavefront6targetE1EEEvT1_,@function
_ZN7rocprim17ROCPRIM_400000_NS6detail17trampoline_kernelINS0_14default_configENS1_20scan_config_selectorI3IntEEZZNS1_9scan_implILNS1_25lookback_scan_determinismE0ELb0ELb0ES3_N6thrust23THRUST_200600_302600_NS6detail15normal_iteratorINSA_10device_ptrIKS5_EEEENSC_INSD_IS5_EEEES5_NSA_4plusIvEES5_EEDaPvRmT3_T4_T5_mT6_P12ihipStream_tbENKUlT_T0_E_clISt17integral_constantIbLb0EESX_IbLb1EEEEDaST_SU_EUlST_E_NS1_11comp_targetILNS1_3genE5ELNS1_11target_archE942ELNS1_3gpuE9ELNS1_3repE0EEENS1_30default_config_static_selectorELNS0_4arch9wavefront6targetE1EEEvT1_: ; @_ZN7rocprim17ROCPRIM_400000_NS6detail17trampoline_kernelINS0_14default_configENS1_20scan_config_selectorI3IntEEZZNS1_9scan_implILNS1_25lookback_scan_determinismE0ELb0ELb0ES3_N6thrust23THRUST_200600_302600_NS6detail15normal_iteratorINSA_10device_ptrIKS5_EEEENSC_INSD_IS5_EEEES5_NSA_4plusIvEES5_EEDaPvRmT3_T4_T5_mT6_P12ihipStream_tbENKUlT_T0_E_clISt17integral_constantIbLb0EESX_IbLb1EEEEDaST_SU_EUlST_E_NS1_11comp_targetILNS1_3genE5ELNS1_11target_archE942ELNS1_3gpuE9ELNS1_3repE0EEENS1_30default_config_static_selectorELNS0_4arch9wavefront6targetE1EEEvT1_
; %bb.0:
	.section	.rodata,"a",@progbits
	.p2align	6, 0x0
	.amdhsa_kernel _ZN7rocprim17ROCPRIM_400000_NS6detail17trampoline_kernelINS0_14default_configENS1_20scan_config_selectorI3IntEEZZNS1_9scan_implILNS1_25lookback_scan_determinismE0ELb0ELb0ES3_N6thrust23THRUST_200600_302600_NS6detail15normal_iteratorINSA_10device_ptrIKS5_EEEENSC_INSD_IS5_EEEES5_NSA_4plusIvEES5_EEDaPvRmT3_T4_T5_mT6_P12ihipStream_tbENKUlT_T0_E_clISt17integral_constantIbLb0EESX_IbLb1EEEEDaST_SU_EUlST_E_NS1_11comp_targetILNS1_3genE5ELNS1_11target_archE942ELNS1_3gpuE9ELNS1_3repE0EEENS1_30default_config_static_selectorELNS0_4arch9wavefront6targetE1EEEvT1_
		.amdhsa_group_segment_fixed_size 0
		.amdhsa_private_segment_fixed_size 0
		.amdhsa_kernarg_size 96
		.amdhsa_user_sgpr_count 6
		.amdhsa_user_sgpr_private_segment_buffer 1
		.amdhsa_user_sgpr_dispatch_ptr 0
		.amdhsa_user_sgpr_queue_ptr 0
		.amdhsa_user_sgpr_kernarg_segment_ptr 1
		.amdhsa_user_sgpr_dispatch_id 0
		.amdhsa_user_sgpr_flat_scratch_init 0
		.amdhsa_user_sgpr_kernarg_preload_length 0
		.amdhsa_user_sgpr_kernarg_preload_offset 0
		.amdhsa_user_sgpr_private_segment_size 0
		.amdhsa_uses_dynamic_stack 0
		.amdhsa_system_sgpr_private_segment_wavefront_offset 0
		.amdhsa_system_sgpr_workgroup_id_x 1
		.amdhsa_system_sgpr_workgroup_id_y 0
		.amdhsa_system_sgpr_workgroup_id_z 0
		.amdhsa_system_sgpr_workgroup_info 0
		.amdhsa_system_vgpr_workitem_id 0
		.amdhsa_next_free_vgpr 1
		.amdhsa_next_free_sgpr 0
		.amdhsa_accum_offset 4
		.amdhsa_reserve_vcc 0
		.amdhsa_reserve_flat_scratch 0
		.amdhsa_float_round_mode_32 0
		.amdhsa_float_round_mode_16_64 0
		.amdhsa_float_denorm_mode_32 3
		.amdhsa_float_denorm_mode_16_64 3
		.amdhsa_dx10_clamp 1
		.amdhsa_ieee_mode 1
		.amdhsa_fp16_overflow 0
		.amdhsa_tg_split 0
		.amdhsa_exception_fp_ieee_invalid_op 0
		.amdhsa_exception_fp_denorm_src 0
		.amdhsa_exception_fp_ieee_div_zero 0
		.amdhsa_exception_fp_ieee_overflow 0
		.amdhsa_exception_fp_ieee_underflow 0
		.amdhsa_exception_fp_ieee_inexact 0
		.amdhsa_exception_int_div_zero 0
	.end_amdhsa_kernel
	.section	.text._ZN7rocprim17ROCPRIM_400000_NS6detail17trampoline_kernelINS0_14default_configENS1_20scan_config_selectorI3IntEEZZNS1_9scan_implILNS1_25lookback_scan_determinismE0ELb0ELb0ES3_N6thrust23THRUST_200600_302600_NS6detail15normal_iteratorINSA_10device_ptrIKS5_EEEENSC_INSD_IS5_EEEES5_NSA_4plusIvEES5_EEDaPvRmT3_T4_T5_mT6_P12ihipStream_tbENKUlT_T0_E_clISt17integral_constantIbLb0EESX_IbLb1EEEEDaST_SU_EUlST_E_NS1_11comp_targetILNS1_3genE5ELNS1_11target_archE942ELNS1_3gpuE9ELNS1_3repE0EEENS1_30default_config_static_selectorELNS0_4arch9wavefront6targetE1EEEvT1_,"axG",@progbits,_ZN7rocprim17ROCPRIM_400000_NS6detail17trampoline_kernelINS0_14default_configENS1_20scan_config_selectorI3IntEEZZNS1_9scan_implILNS1_25lookback_scan_determinismE0ELb0ELb0ES3_N6thrust23THRUST_200600_302600_NS6detail15normal_iteratorINSA_10device_ptrIKS5_EEEENSC_INSD_IS5_EEEES5_NSA_4plusIvEES5_EEDaPvRmT3_T4_T5_mT6_P12ihipStream_tbENKUlT_T0_E_clISt17integral_constantIbLb0EESX_IbLb1EEEEDaST_SU_EUlST_E_NS1_11comp_targetILNS1_3genE5ELNS1_11target_archE942ELNS1_3gpuE9ELNS1_3repE0EEENS1_30default_config_static_selectorELNS0_4arch9wavefront6targetE1EEEvT1_,comdat
.Lfunc_end6963:
	.size	_ZN7rocprim17ROCPRIM_400000_NS6detail17trampoline_kernelINS0_14default_configENS1_20scan_config_selectorI3IntEEZZNS1_9scan_implILNS1_25lookback_scan_determinismE0ELb0ELb0ES3_N6thrust23THRUST_200600_302600_NS6detail15normal_iteratorINSA_10device_ptrIKS5_EEEENSC_INSD_IS5_EEEES5_NSA_4plusIvEES5_EEDaPvRmT3_T4_T5_mT6_P12ihipStream_tbENKUlT_T0_E_clISt17integral_constantIbLb0EESX_IbLb1EEEEDaST_SU_EUlST_E_NS1_11comp_targetILNS1_3genE5ELNS1_11target_archE942ELNS1_3gpuE9ELNS1_3repE0EEENS1_30default_config_static_selectorELNS0_4arch9wavefront6targetE1EEEvT1_, .Lfunc_end6963-_ZN7rocprim17ROCPRIM_400000_NS6detail17trampoline_kernelINS0_14default_configENS1_20scan_config_selectorI3IntEEZZNS1_9scan_implILNS1_25lookback_scan_determinismE0ELb0ELb0ES3_N6thrust23THRUST_200600_302600_NS6detail15normal_iteratorINSA_10device_ptrIKS5_EEEENSC_INSD_IS5_EEEES5_NSA_4plusIvEES5_EEDaPvRmT3_T4_T5_mT6_P12ihipStream_tbENKUlT_T0_E_clISt17integral_constantIbLb0EESX_IbLb1EEEEDaST_SU_EUlST_E_NS1_11comp_targetILNS1_3genE5ELNS1_11target_archE942ELNS1_3gpuE9ELNS1_3repE0EEENS1_30default_config_static_selectorELNS0_4arch9wavefront6targetE1EEEvT1_
                                        ; -- End function
	.section	.AMDGPU.csdata,"",@progbits
; Kernel info:
; codeLenInByte = 0
; NumSgprs: 4
; NumVgprs: 0
; NumAgprs: 0
; TotalNumVgprs: 0
; ScratchSize: 0
; MemoryBound: 0
; FloatMode: 240
; IeeeMode: 1
; LDSByteSize: 0 bytes/workgroup (compile time only)
; SGPRBlocks: 0
; VGPRBlocks: 0
; NumSGPRsForWavesPerEU: 4
; NumVGPRsForWavesPerEU: 1
; AccumOffset: 4
; Occupancy: 8
; WaveLimiterHint : 0
; COMPUTE_PGM_RSRC2:SCRATCH_EN: 0
; COMPUTE_PGM_RSRC2:USER_SGPR: 6
; COMPUTE_PGM_RSRC2:TRAP_HANDLER: 0
; COMPUTE_PGM_RSRC2:TGID_X_EN: 1
; COMPUTE_PGM_RSRC2:TGID_Y_EN: 0
; COMPUTE_PGM_RSRC2:TGID_Z_EN: 0
; COMPUTE_PGM_RSRC2:TIDIG_COMP_CNT: 0
; COMPUTE_PGM_RSRC3_GFX90A:ACCUM_OFFSET: 0
; COMPUTE_PGM_RSRC3_GFX90A:TG_SPLIT: 0
	.section	.text._ZN7rocprim17ROCPRIM_400000_NS6detail17trampoline_kernelINS0_14default_configENS1_20scan_config_selectorI3IntEEZZNS1_9scan_implILNS1_25lookback_scan_determinismE0ELb0ELb0ES3_N6thrust23THRUST_200600_302600_NS6detail15normal_iteratorINSA_10device_ptrIKS5_EEEENSC_INSD_IS5_EEEES5_NSA_4plusIvEES5_EEDaPvRmT3_T4_T5_mT6_P12ihipStream_tbENKUlT_T0_E_clISt17integral_constantIbLb0EESX_IbLb1EEEEDaST_SU_EUlST_E_NS1_11comp_targetILNS1_3genE4ELNS1_11target_archE910ELNS1_3gpuE8ELNS1_3repE0EEENS1_30default_config_static_selectorELNS0_4arch9wavefront6targetE1EEEvT1_,"axG",@progbits,_ZN7rocprim17ROCPRIM_400000_NS6detail17trampoline_kernelINS0_14default_configENS1_20scan_config_selectorI3IntEEZZNS1_9scan_implILNS1_25lookback_scan_determinismE0ELb0ELb0ES3_N6thrust23THRUST_200600_302600_NS6detail15normal_iteratorINSA_10device_ptrIKS5_EEEENSC_INSD_IS5_EEEES5_NSA_4plusIvEES5_EEDaPvRmT3_T4_T5_mT6_P12ihipStream_tbENKUlT_T0_E_clISt17integral_constantIbLb0EESX_IbLb1EEEEDaST_SU_EUlST_E_NS1_11comp_targetILNS1_3genE4ELNS1_11target_archE910ELNS1_3gpuE8ELNS1_3repE0EEENS1_30default_config_static_selectorELNS0_4arch9wavefront6targetE1EEEvT1_,comdat
	.protected	_ZN7rocprim17ROCPRIM_400000_NS6detail17trampoline_kernelINS0_14default_configENS1_20scan_config_selectorI3IntEEZZNS1_9scan_implILNS1_25lookback_scan_determinismE0ELb0ELb0ES3_N6thrust23THRUST_200600_302600_NS6detail15normal_iteratorINSA_10device_ptrIKS5_EEEENSC_INSD_IS5_EEEES5_NSA_4plusIvEES5_EEDaPvRmT3_T4_T5_mT6_P12ihipStream_tbENKUlT_T0_E_clISt17integral_constantIbLb0EESX_IbLb1EEEEDaST_SU_EUlST_E_NS1_11comp_targetILNS1_3genE4ELNS1_11target_archE910ELNS1_3gpuE8ELNS1_3repE0EEENS1_30default_config_static_selectorELNS0_4arch9wavefront6targetE1EEEvT1_ ; -- Begin function _ZN7rocprim17ROCPRIM_400000_NS6detail17trampoline_kernelINS0_14default_configENS1_20scan_config_selectorI3IntEEZZNS1_9scan_implILNS1_25lookback_scan_determinismE0ELb0ELb0ES3_N6thrust23THRUST_200600_302600_NS6detail15normal_iteratorINSA_10device_ptrIKS5_EEEENSC_INSD_IS5_EEEES5_NSA_4plusIvEES5_EEDaPvRmT3_T4_T5_mT6_P12ihipStream_tbENKUlT_T0_E_clISt17integral_constantIbLb0EESX_IbLb1EEEEDaST_SU_EUlST_E_NS1_11comp_targetILNS1_3genE4ELNS1_11target_archE910ELNS1_3gpuE8ELNS1_3repE0EEENS1_30default_config_static_selectorELNS0_4arch9wavefront6targetE1EEEvT1_
	.globl	_ZN7rocprim17ROCPRIM_400000_NS6detail17trampoline_kernelINS0_14default_configENS1_20scan_config_selectorI3IntEEZZNS1_9scan_implILNS1_25lookback_scan_determinismE0ELb0ELb0ES3_N6thrust23THRUST_200600_302600_NS6detail15normal_iteratorINSA_10device_ptrIKS5_EEEENSC_INSD_IS5_EEEES5_NSA_4plusIvEES5_EEDaPvRmT3_T4_T5_mT6_P12ihipStream_tbENKUlT_T0_E_clISt17integral_constantIbLb0EESX_IbLb1EEEEDaST_SU_EUlST_E_NS1_11comp_targetILNS1_3genE4ELNS1_11target_archE910ELNS1_3gpuE8ELNS1_3repE0EEENS1_30default_config_static_selectorELNS0_4arch9wavefront6targetE1EEEvT1_
	.p2align	8
	.type	_ZN7rocprim17ROCPRIM_400000_NS6detail17trampoline_kernelINS0_14default_configENS1_20scan_config_selectorI3IntEEZZNS1_9scan_implILNS1_25lookback_scan_determinismE0ELb0ELb0ES3_N6thrust23THRUST_200600_302600_NS6detail15normal_iteratorINSA_10device_ptrIKS5_EEEENSC_INSD_IS5_EEEES5_NSA_4plusIvEES5_EEDaPvRmT3_T4_T5_mT6_P12ihipStream_tbENKUlT_T0_E_clISt17integral_constantIbLb0EESX_IbLb1EEEEDaST_SU_EUlST_E_NS1_11comp_targetILNS1_3genE4ELNS1_11target_archE910ELNS1_3gpuE8ELNS1_3repE0EEENS1_30default_config_static_selectorELNS0_4arch9wavefront6targetE1EEEvT1_,@function
_ZN7rocprim17ROCPRIM_400000_NS6detail17trampoline_kernelINS0_14default_configENS1_20scan_config_selectorI3IntEEZZNS1_9scan_implILNS1_25lookback_scan_determinismE0ELb0ELb0ES3_N6thrust23THRUST_200600_302600_NS6detail15normal_iteratorINSA_10device_ptrIKS5_EEEENSC_INSD_IS5_EEEES5_NSA_4plusIvEES5_EEDaPvRmT3_T4_T5_mT6_P12ihipStream_tbENKUlT_T0_E_clISt17integral_constantIbLb0EESX_IbLb1EEEEDaST_SU_EUlST_E_NS1_11comp_targetILNS1_3genE4ELNS1_11target_archE910ELNS1_3gpuE8ELNS1_3repE0EEENS1_30default_config_static_selectorELNS0_4arch9wavefront6targetE1EEEvT1_: ; @_ZN7rocprim17ROCPRIM_400000_NS6detail17trampoline_kernelINS0_14default_configENS1_20scan_config_selectorI3IntEEZZNS1_9scan_implILNS1_25lookback_scan_determinismE0ELb0ELb0ES3_N6thrust23THRUST_200600_302600_NS6detail15normal_iteratorINSA_10device_ptrIKS5_EEEENSC_INSD_IS5_EEEES5_NSA_4plusIvEES5_EEDaPvRmT3_T4_T5_mT6_P12ihipStream_tbENKUlT_T0_E_clISt17integral_constantIbLb0EESX_IbLb1EEEEDaST_SU_EUlST_E_NS1_11comp_targetILNS1_3genE4ELNS1_11target_archE910ELNS1_3gpuE8ELNS1_3repE0EEENS1_30default_config_static_selectorELNS0_4arch9wavefront6targetE1EEEvT1_
; %bb.0:
	s_load_dwordx2 s[6:7], s[4:5], 0x28
	v_cmp_ne_u32_e64 s[0:1], 0, v0
	v_cmp_eq_u32_e64 s[2:3], 0, v0
	s_and_saveexec_b64 s[8:9], s[2:3]
	s_cbranch_execz .LBB6964_4
; %bb.1:
	s_mov_b64 s[12:13], exec
	v_mbcnt_lo_u32_b32 v1, s12, 0
	v_mbcnt_hi_u32_b32 v1, s13, v1
	v_cmp_eq_u32_e32 vcc, 0, v1
                                        ; implicit-def: $vgpr2
	s_and_saveexec_b64 s[10:11], vcc
	s_cbranch_execz .LBB6964_3
; %bb.2:
	s_load_dwordx2 s[14:15], s[4:5], 0x58
	s_bcnt1_i32_b64 s12, s[12:13]
	v_mov_b32_e32 v2, 0
	v_mov_b32_e32 v3, s12
	s_waitcnt lgkmcnt(0)
	global_atomic_add v2, v2, v3, s[14:15] glc
.LBB6964_3:
	s_or_b64 exec, exec, s[10:11]
	s_waitcnt vmcnt(0)
	v_readfirstlane_b32 s10, v2
	v_add_u32_e32 v1, s10, v1
	v_mov_b32_e32 v2, 0
	ds_write_b32 v2, v1
.LBB6964_4:
	s_or_b64 exec, exec, s[8:9]
	s_load_dwordx8 s[16:23], s[4:5], 0x0
	s_load_dword s24, s[4:5], 0x30
	s_load_dwordx8 s[8:15], s[4:5], 0x38
	v_mov_b32_e32 v1, 0
	s_waitcnt lgkmcnt(0)
	s_barrier
	ds_read_b32 v1, v1
	s_lshl_b64 s[18:19], s[18:19], 2
	s_add_u32 s25, s16, s18
	s_addc_u32 s26, s17, s19
	s_add_i32 s16, s24, -1
	s_mul_i32 s17, s16, 0x500
	s_sub_u32 s30, s22, s17
	s_waitcnt lgkmcnt(0)
	v_readfirstlane_b32 s33, v1
	s_subb_u32 s31, s23, 0
	s_mov_b32 s5, 0
	s_mul_i32 s4, s33, 0x500
	s_cmp_lg_u32 s33, s16
	s_cselect_b64 s[16:17], -1, 0
	s_lshl_b64 s[22:23], s[4:5], 2
	s_add_u32 s24, s25, s22
	s_addc_u32 s25, s26, s23
	s_mov_b64 s[4:5], -1
	s_and_b64 vcc, exec, s[16:17]
	v_lshlrev_b32_e32 v26, 2, v0
	s_barrier
	s_cbranch_vccz .LBB6964_6
; %bb.5:
	v_mov_b32_e32 v1, s25
	v_add_co_u32_e32 v2, vcc, s24, v26
	v_addc_co_u32_e32 v3, vcc, 0, v1, vcc
	flat_load_dword v1, v[2:3]
	flat_load_dword v4, v[2:3] offset:512
	flat_load_dword v5, v[2:3] offset:1024
	;; [unrolled: 1-line block ×7, first 2 shown]
	v_add_co_u32_e32 v2, vcc, 0x1000, v2
	v_addc_co_u32_e32 v3, vcc, 0, v3, vcc
	flat_load_dword v11, v[2:3]
	flat_load_dword v12, v[2:3] offset:512
	s_mov_b64 s[4:5], 0
	s_waitcnt vmcnt(0) lgkmcnt(0)
	ds_write2st64_b32 v26, v1, v4 offset1:2
	ds_write2st64_b32 v26, v5, v6 offset0:4 offset1:6
	ds_write2st64_b32 v26, v7, v8 offset0:8 offset1:10
	;; [unrolled: 1-line block ×4, first 2 shown]
	s_waitcnt lgkmcnt(0)
	s_barrier
.LBB6964_6:
	s_andn2_b64 vcc, exec, s[4:5]
	v_cmp_gt_u32_e64 s[4:5], s30, v0
	s_cbranch_vccnz .LBB6964_28
; %bb.7:
	v_pk_mov_b32 v[2:3], s[24:25], s[24:25] op_sel:[0,1]
	flat_load_dword v1, v[2:3]
	s_waitcnt vmcnt(0) lgkmcnt(0)
	v_mov_b32_e32 v2, v1
	s_and_saveexec_b64 s[26:27], s[4:5]
	s_cbranch_execz .LBB6964_9
; %bb.8:
	v_mov_b32_e32 v3, s25
	v_add_co_u32_e32 v2, vcc, s24, v26
	v_addc_co_u32_e32 v3, vcc, 0, v3, vcc
	flat_load_dword v2, v[2:3]
.LBB6964_9:
	s_or_b64 exec, exec, s[26:27]
	v_or_b32_e32 v3, 0x80, v0
	v_cmp_gt_u32_e32 vcc, s30, v3
	v_mov_b32_e32 v3, v1
	s_and_saveexec_b64 s[4:5], vcc
	s_cbranch_execz .LBB6964_11
; %bb.10:
	v_mov_b32_e32 v3, s25
	v_add_co_u32_e32 v4, vcc, s24, v26
	v_addc_co_u32_e32 v5, vcc, 0, v3, vcc
	flat_load_dword v3, v[4:5] offset:512
.LBB6964_11:
	s_or_b64 exec, exec, s[4:5]
	v_or_b32_e32 v4, 0x100, v0
	v_cmp_gt_u32_e32 vcc, s30, v4
	v_mov_b32_e32 v4, v1
	s_and_saveexec_b64 s[4:5], vcc
	s_cbranch_execz .LBB6964_13
; %bb.12:
	v_mov_b32_e32 v5, s25
	v_add_co_u32_e32 v4, vcc, s24, v26
	v_addc_co_u32_e32 v5, vcc, 0, v5, vcc
	flat_load_dword v4, v[4:5] offset:1024
.LBB6964_13:
	;; [unrolled: 12-line block ×7, first 2 shown]
	s_or_b64 exec, exec, s[4:5]
	v_or_b32_e32 v11, 0x400, v0
	v_cmp_gt_u32_e32 vcc, s30, v11
	v_mov_b32_e32 v10, v1
	s_and_saveexec_b64 s[4:5], vcc
	s_cbranch_execz .LBB6964_25
; %bb.24:
	v_lshlrev_b32_e32 v10, 2, v11
	v_mov_b32_e32 v11, s25
	v_add_co_u32_e32 v10, vcc, s24, v10
	v_addc_co_u32_e32 v11, vcc, 0, v11, vcc
	flat_load_dword v10, v[10:11]
.LBB6964_25:
	s_or_b64 exec, exec, s[4:5]
	v_or_b32_e32 v11, 0x480, v0
	v_cmp_gt_u32_e32 vcc, s30, v11
	s_and_saveexec_b64 s[4:5], vcc
	s_cbranch_execz .LBB6964_27
; %bb.26:
	v_lshlrev_b32_e32 v1, 2, v11
	v_mov_b32_e32 v11, s25
	v_add_co_u32_e32 v12, vcc, s24, v1
	v_addc_co_u32_e32 v13, vcc, 0, v11, vcc
	flat_load_dword v1, v[12:13]
.LBB6964_27:
	s_or_b64 exec, exec, s[4:5]
	s_waitcnt vmcnt(0) lgkmcnt(0)
	ds_write2st64_b32 v26, v2, v3 offset1:2
	ds_write2st64_b32 v26, v4, v5 offset0:4 offset1:6
	ds_write2st64_b32 v26, v6, v7 offset0:8 offset1:10
	;; [unrolled: 1-line block ×4, first 2 shown]
	s_waitcnt lgkmcnt(0)
	s_barrier
.LBB6964_28:
	v_mul_u32_u24_e32 v27, 10, v0
	v_lshlrev_b32_e32 v1, 2, v27
	ds_read2_b64 v[6:9], v1 offset1:1
	ds_read2_b64 v[2:5], v1 offset0:2 offset1:3
	ds_read_b64 v[18:19], v1 offset:32
	s_cmp_lg_u32 s33, 0
	v_lshrrev_b32_e32 v28, 5, v0
	v_cmp_gt_u32_e32 vcc, 64, v0
	s_waitcnt lgkmcnt(0)
	s_barrier
	s_cbranch_scc0 .LBB6964_53
; %bb.29:
	v_add_u32_e32 v10, v7, v6
	v_add3_u32 v10, v10, v8, v9
	v_add3_u32 v10, v10, v2, v3
	;; [unrolled: 1-line block ×4, first 2 shown]
	v_add_lshl_u32 v11, v28, v0, 2
	ds_write_b32 v11, v10
	s_waitcnt lgkmcnt(0)
	s_barrier
	s_and_saveexec_b64 s[24:25], vcc
	s_cbranch_execz .LBB6964_31
; %bb.30:
	v_lshlrev_b32_e32 v11, 1, v0
	v_lshrrev_b32_e32 v12, 4, v0
	v_add_lshl_u32 v11, v12, v11, 2
	ds_read2_b32 v[12:13], v11 offset1:1
	v_mbcnt_lo_u32_b32 v14, -1, 0
	v_mbcnt_hi_u32_b32 v14, -1, v14
	v_and_b32_e32 v15, 15, v14
	v_cmp_ne_u32_e64 s[4:5], 0, v15
	s_waitcnt lgkmcnt(0)
	v_add_u32_e32 v13, v13, v12
	; wave barrier
	s_nop 1
	v_mov_b32_dpp v16, v13 row_shr:1 row_mask:0xf bank_mask:0xf
	v_cndmask_b32_e64 v16, 0, v16, s[4:5]
	v_add_u32_e32 v13, v16, v13
	v_cmp_lt_u32_e64 s[4:5], 1, v15
	s_nop 0
	v_mov_b32_dpp v16, v13 row_shr:2 row_mask:0xf bank_mask:0xf
	v_cndmask_b32_e64 v16, 0, v16, s[4:5]
	v_add_u32_e32 v13, v13, v16
	v_cmp_lt_u32_e64 s[4:5], 3, v15
	;; [unrolled: 5-line block ×3, first 2 shown]
	s_nop 0
	v_mov_b32_dpp v16, v13 row_shr:8 row_mask:0xf bank_mask:0xf
	v_cndmask_b32_e64 v15, 0, v16, s[4:5]
	v_add_u32_e32 v13, v13, v15
	v_bfe_i32 v16, v14, 4, 1
	v_cmp_lt_u32_e64 s[4:5], 31, v14
	v_mov_b32_dpp v15, v13 row_bcast:15 row_mask:0xf bank_mask:0xf
	v_and_b32_e32 v15, v16, v15
	v_add_u32_e32 v13, v13, v15
	v_and_b32_e32 v16, 64, v14
	s_nop 0
	v_mov_b32_dpp v15, v13 row_bcast:31 row_mask:0xf bank_mask:0xf
	v_cndmask_b32_e64 v15, 0, v15, s[4:5]
	v_add_u32_e32 v13, v13, v15
	v_add_u32_e32 v15, -1, v14
	v_cmp_lt_i32_e64 s[4:5], v15, v16
	v_cndmask_b32_e64 v14, v15, v14, s[4:5]
	v_lshlrev_b32_e32 v14, 2, v14
	ds_bpermute_b32 v13, v14, v13
	s_waitcnt lgkmcnt(0)
	v_add_u32_e32 v12, v13, v12
	v_cndmask_b32_e64 v10, v12, v10, s[2:3]
	ds_write_b32 v11, v10
	; wave barrier
	ds_read_b32 v12, v11 offset:4
	s_waitcnt lgkmcnt(0)
	v_add_u32_e32 v10, v12, v10
	ds_write_b32 v11, v10 offset:4
.LBB6964_31:
	s_or_b64 exec, exec, s[24:25]
	v_mov_b32_e32 v22, 0
	s_waitcnt lgkmcnt(0)
	s_barrier
	s_and_saveexec_b64 s[4:5], s[0:1]
	s_cbranch_execz .LBB6964_33
; %bb.32:
	v_add_u32_e32 v10, -1, v0
	v_lshrrev_b32_e32 v11, 5, v10
	v_add_lshl_u32 v10, v11, v10, 2
	ds_read_b32 v22, v10
.LBB6964_33:
	s_or_b64 exec, exec, s[4:5]
	s_and_saveexec_b64 s[24:25], vcc
	s_cbranch_execz .LBB6964_52
; %bb.34:
	v_mov_b32_e32 v17, 0
	ds_read_b32 v10, v17 offset:520
	v_mbcnt_lo_u32_b32 v11, -1, 0
	v_mbcnt_hi_u32_b32 v13, -1, v11
	s_mov_b32 s29, 0
	v_cmp_eq_u32_e64 s[4:5], 0, v13
	s_and_saveexec_b64 s[26:27], s[4:5]
	s_cbranch_execz .LBB6964_36
; %bb.35:
	s_add_i32 s28, s33, 64
	s_lshl_b64 s[28:29], s[28:29], 3
	s_add_u32 s28, s6, s28
	v_mov_b32_e32 v11, 1
	s_addc_u32 s29, s7, s29
	s_waitcnt lgkmcnt(0)
	global_store_dwordx2 v17, v[10:11], s[28:29]
.LBB6964_36:
	s_or_b64 exec, exec, s[26:27]
	v_xad_u32 v12, v13, -1, s33
	v_add_u32_e32 v16, 64, v12
	v_lshlrev_b64 v[14:15], 3, v[16:17]
	v_mov_b32_e32 v11, s7
	v_add_co_u32_e32 v20, vcc, s6, v14
	v_addc_co_u32_e32 v21, vcc, v11, v15, vcc
	global_load_dwordx2 v[14:15], v[20:21], off glc
	s_waitcnt vmcnt(0)
	v_cmp_eq_u16_sdwa s[28:29], v15, v17 src0_sel:BYTE_0 src1_sel:DWORD
	s_and_saveexec_b64 s[26:27], s[28:29]
	s_cbranch_execz .LBB6964_40
; %bb.37:
	s_mov_b64 s[28:29], 0
	v_mov_b32_e32 v11, 0
.LBB6964_38:                            ; =>This Inner Loop Header: Depth=1
	global_load_dwordx2 v[14:15], v[20:21], off glc
	s_waitcnt vmcnt(0)
	v_cmp_ne_u16_sdwa s[34:35], v15, v11 src0_sel:BYTE_0 src1_sel:DWORD
	s_or_b64 s[28:29], s[34:35], s[28:29]
	s_andn2_b64 exec, exec, s[28:29]
	s_cbranch_execnz .LBB6964_38
; %bb.39:
	s_or_b64 exec, exec, s[28:29]
.LBB6964_40:
	s_or_b64 exec, exec, s[26:27]
	v_and_b32_e32 v23, 63, v13
	v_mov_b32_e32 v11, 2
	v_cmp_ne_u32_e32 vcc, 63, v23
	v_cmp_eq_u16_sdwa s[26:27], v15, v11 src0_sel:BYTE_0 src1_sel:DWORD
	v_lshlrev_b64 v[16:17], v13, -1
	v_addc_co_u32_e32 v24, vcc, 0, v13, vcc
	v_and_b32_e32 v20, s27, v17
	v_lshlrev_b32_e32 v24, 2, v24
	v_or_b32_e32 v20, 0x80000000, v20
	ds_bpermute_b32 v25, v24, v14
	v_and_b32_e32 v21, s26, v16
	v_ffbl_b32_e32 v20, v20
	v_add_u32_e32 v20, 32, v20
	v_ffbl_b32_e32 v21, v21
	v_min_u32_e32 v20, v21, v20
	v_cmp_lt_u32_e32 vcc, v23, v20
	s_waitcnt lgkmcnt(0)
	v_cndmask_b32_e32 v21, 0, v25, vcc
	v_cmp_gt_u32_e32 vcc, 62, v23
	v_add_u32_e32 v14, v21, v14
	v_cndmask_b32_e64 v21, 0, 1, vcc
	v_lshlrev_b32_e32 v21, 1, v21
	v_add_lshl_u32 v25, v21, v13, 2
	ds_bpermute_b32 v21, v25, v14
	v_add_u32_e32 v29, 2, v23
	v_cmp_le_u32_e32 vcc, v29, v20
	v_add_u32_e32 v31, 4, v23
	v_add_u32_e32 v33, 8, v23
	s_waitcnt lgkmcnt(0)
	v_cndmask_b32_e32 v21, 0, v21, vcc
	v_cmp_gt_u32_e32 vcc, 60, v23
	v_add_u32_e32 v14, v14, v21
	v_cndmask_b32_e64 v21, 0, 1, vcc
	v_lshlrev_b32_e32 v21, 2, v21
	v_add_lshl_u32 v30, v21, v13, 2
	ds_bpermute_b32 v21, v30, v14
	v_cmp_le_u32_e32 vcc, v31, v20
	v_add_u32_e32 v36, 16, v23
	v_add_u32_e32 v38, 32, v23
	s_waitcnt lgkmcnt(0)
	v_cndmask_b32_e32 v21, 0, v21, vcc
	v_cmp_gt_u32_e32 vcc, 56, v23
	v_add_u32_e32 v14, v14, v21
	v_cndmask_b32_e64 v21, 0, 1, vcc
	v_lshlrev_b32_e32 v21, 3, v21
	v_add_lshl_u32 v32, v21, v13, 2
	ds_bpermute_b32 v21, v32, v14
	v_cmp_le_u32_e32 vcc, v33, v20
	s_waitcnt lgkmcnt(0)
	v_cndmask_b32_e32 v21, 0, v21, vcc
	v_cmp_gt_u32_e32 vcc, 48, v23
	v_add_u32_e32 v14, v14, v21
	v_cndmask_b32_e64 v21, 0, 1, vcc
	v_lshlrev_b32_e32 v21, 4, v21
	v_add_lshl_u32 v35, v21, v13, 2
	ds_bpermute_b32 v21, v35, v14
	v_cmp_le_u32_e32 vcc, v36, v20
	;; [unrolled: 9-line block ×3, first 2 shown]
	s_waitcnt lgkmcnt(0)
	v_cndmask_b32_e32 v13, 0, v13, vcc
	v_add_u32_e32 v14, v14, v13
	v_mov_b32_e32 v13, 0
	s_branch .LBB6964_42
.LBB6964_41:                            ;   in Loop: Header=BB6964_42 Depth=1
	s_or_b64 exec, exec, s[26:27]
	v_cmp_eq_u16_sdwa s[26:27], v15, v11 src0_sel:BYTE_0 src1_sel:DWORD
	v_and_b32_e32 v20, s27, v17
	v_or_b32_e32 v20, 0x80000000, v20
	ds_bpermute_b32 v39, v24, v14
	v_and_b32_e32 v21, s26, v16
	v_ffbl_b32_e32 v20, v20
	v_add_u32_e32 v20, 32, v20
	v_ffbl_b32_e32 v21, v21
	v_min_u32_e32 v20, v21, v20
	v_cmp_lt_u32_e32 vcc, v23, v20
	s_waitcnt lgkmcnt(0)
	v_cndmask_b32_e32 v21, 0, v39, vcc
	v_add_u32_e32 v14, v21, v14
	ds_bpermute_b32 v21, v25, v14
	v_cmp_le_u32_e32 vcc, v29, v20
	v_subrev_u32_e32 v12, 64, v12
	s_waitcnt lgkmcnt(0)
	v_cndmask_b32_e32 v21, 0, v21, vcc
	v_add_u32_e32 v14, v14, v21
	ds_bpermute_b32 v21, v30, v14
	v_cmp_le_u32_e32 vcc, v31, v20
	s_waitcnt lgkmcnt(0)
	v_cndmask_b32_e32 v21, 0, v21, vcc
	v_add_u32_e32 v14, v14, v21
	ds_bpermute_b32 v21, v32, v14
	v_cmp_le_u32_e32 vcc, v33, v20
	;; [unrolled: 5-line block ×4, first 2 shown]
	s_waitcnt lgkmcnt(0)
	v_cndmask_b32_e32 v20, 0, v21, vcc
	v_add3_u32 v14, v20, v34, v14
.LBB6964_42:                            ; =>This Loop Header: Depth=1
                                        ;     Child Loop BB6964_45 Depth 2
	v_cmp_ne_u16_sdwa s[26:27], v15, v11 src0_sel:BYTE_0 src1_sel:DWORD
	v_cndmask_b32_e64 v15, 0, 1, s[26:27]
	;;#ASMSTART
	;;#ASMEND
	v_cmp_ne_u32_e32 vcc, 0, v15
	s_cmp_lg_u64 vcc, exec
	v_mov_b32_e32 v34, v14
	s_cbranch_scc1 .LBB6964_47
; %bb.43:                               ;   in Loop: Header=BB6964_42 Depth=1
	v_lshlrev_b64 v[14:15], 3, v[12:13]
	v_mov_b32_e32 v21, s7
	v_add_co_u32_e32 v20, vcc, s6, v14
	v_addc_co_u32_e32 v21, vcc, v21, v15, vcc
	global_load_dwordx2 v[14:15], v[20:21], off glc
	s_waitcnt vmcnt(0)
	v_cmp_eq_u16_sdwa s[28:29], v15, v13 src0_sel:BYTE_0 src1_sel:DWORD
	s_and_saveexec_b64 s[26:27], s[28:29]
	s_cbranch_execz .LBB6964_41
; %bb.44:                               ;   in Loop: Header=BB6964_42 Depth=1
	s_mov_b64 s[28:29], 0
.LBB6964_45:                            ;   Parent Loop BB6964_42 Depth=1
                                        ; =>  This Inner Loop Header: Depth=2
	global_load_dwordx2 v[14:15], v[20:21], off glc
	s_waitcnt vmcnt(0)
	v_cmp_ne_u16_sdwa s[34:35], v15, v13 src0_sel:BYTE_0 src1_sel:DWORD
	s_or_b64 s[28:29], s[34:35], s[28:29]
	s_andn2_b64 exec, exec, s[28:29]
	s_cbranch_execnz .LBB6964_45
; %bb.46:                               ;   in Loop: Header=BB6964_42 Depth=1
	s_or_b64 exec, exec, s[28:29]
	s_branch .LBB6964_41
.LBB6964_47:                            ;   in Loop: Header=BB6964_42 Depth=1
                                        ; implicit-def: $vgpr14
                                        ; implicit-def: $vgpr15
	s_cbranch_execz .LBB6964_42
; %bb.48:
	s_and_saveexec_b64 s[26:27], s[4:5]
	s_cbranch_execz .LBB6964_50
; %bb.49:
	s_add_i32 s4, s33, 64
	s_mov_b32 s5, 0
	s_lshl_b64 s[4:5], s[4:5], 3
	s_add_u32 s4, s6, s4
	v_add_u32_e32 v10, v34, v10
	v_mov_b32_e32 v11, 2
	s_addc_u32 s5, s7, s5
	v_mov_b32_e32 v12, 0
	global_store_dwordx2 v12, v[10:11], s[4:5]
.LBB6964_50:
	s_or_b64 exec, exec, s[26:27]
	s_and_b64 exec, exec, s[2:3]
	s_cbranch_execz .LBB6964_52
; %bb.51:
	v_mov_b32_e32 v10, 0
	ds_write_b32 v10, v34
.LBB6964_52:
	s_or_b64 exec, exec, s[24:25]
	v_mov_b32_e32 v10, 0
	s_waitcnt lgkmcnt(0)
	s_barrier
	ds_read_b32 v10, v10
	s_waitcnt lgkmcnt(0)
	v_add3_u32 v10, v22, v6, v10
	v_add_u32_e32 v11, v10, v7
	v_add_u32_e32 v20, v11, v8
	;; [unrolled: 1-line block ×9, first 2 shown]
	s_branch .LBB6964_65
.LBB6964_53:
                                        ; implicit-def: $vgpr24_vgpr25
                                        ; implicit-def: $vgpr22_vgpr23
                                        ; implicit-def: $vgpr20_vgpr21
                                        ; implicit-def: $vgpr14_vgpr15_vgpr16_vgpr17
                                        ; implicit-def: $vgpr10_vgpr11_vgpr12_vgpr13
	s_cbranch_execz .LBB6964_65
; %bb.54:
	s_cmp_lg_u64 s[12:13], 0
	s_cselect_b64 s[4:5], -1, 0
	s_and_b64 s[12:13], s[2:3], s[4:5]
	s_and_saveexec_b64 s[4:5], s[12:13]
	s_cbranch_execz .LBB6964_56
; %bb.55:
	v_mov_b32_e32 v10, 0
	global_load_dword v10, v10, s[8:9]
	s_waitcnt vmcnt(0)
	v_add_u32_e32 v6, v10, v6
.LBB6964_56:
	s_or_b64 exec, exec, s[4:5]
	v_add_u32_e32 v11, v6, v7
	v_add_u32_e32 v20, v11, v8
	;; [unrolled: 1-line block ×9, first 2 shown]
	v_add_lshl_u32 v10, v28, v0, 2
	v_cmp_gt_u32_e32 vcc, 64, v0
	ds_write_b32 v10, v25
	s_waitcnt lgkmcnt(0)
	s_barrier
	s_and_saveexec_b64 s[4:5], vcc
	s_cbranch_execz .LBB6964_58
; %bb.57:
	v_lshlrev_b32_e32 v10, 1, v0
	v_lshrrev_b32_e32 v12, 4, v0
	v_add_lshl_u32 v10, v12, v10, 2
	ds_read2_b32 v[12:13], v10 offset1:1
	v_mbcnt_lo_u32_b32 v16, -1, 0
	v_mbcnt_hi_u32_b32 v16, -1, v16
	v_and_b32_e32 v17, 15, v16
	v_cmp_ne_u32_e32 vcc, 0, v17
	s_waitcnt lgkmcnt(0)
	v_add_u32_e32 v13, v13, v12
	; wave barrier
	s_nop 1
	v_mov_b32_dpp v28, v13 row_shr:1 row_mask:0xf bank_mask:0xf
	v_cndmask_b32_e32 v28, 0, v28, vcc
	v_add_u32_e32 v13, v28, v13
	v_cmp_lt_u32_e32 vcc, 1, v17
	s_nop 0
	v_mov_b32_dpp v28, v13 row_shr:2 row_mask:0xf bank_mask:0xf
	v_cndmask_b32_e32 v28, 0, v28, vcc
	v_add_u32_e32 v13, v13, v28
	v_cmp_lt_u32_e32 vcc, 3, v17
	;; [unrolled: 5-line block ×3, first 2 shown]
	s_nop 0
	v_mov_b32_dpp v28, v13 row_shr:8 row_mask:0xf bank_mask:0xf
	v_cndmask_b32_e32 v17, 0, v28, vcc
	v_add_u32_e32 v13, v13, v17
	v_bfe_i32 v28, v16, 4, 1
	v_cmp_lt_u32_e32 vcc, 31, v16
	v_mov_b32_dpp v17, v13 row_bcast:15 row_mask:0xf bank_mask:0xf
	v_and_b32_e32 v17, v28, v17
	v_add_u32_e32 v13, v13, v17
	v_and_b32_e32 v28, 64, v16
	s_nop 0
	v_mov_b32_dpp v17, v13 row_bcast:31 row_mask:0xf bank_mask:0xf
	v_cndmask_b32_e32 v17, 0, v17, vcc
	v_add_u32_e32 v13, v13, v17
	v_add_u32_e32 v17, -1, v16
	v_cmp_lt_i32_e32 vcc, v17, v28
	v_cndmask_b32_e32 v16, v17, v16, vcc
	v_lshlrev_b32_e32 v16, 2, v16
	ds_bpermute_b32 v13, v16, v13
	s_waitcnt lgkmcnt(0)
	v_add_u32_e32 v12, v13, v12
	v_cndmask_b32_e64 v12, v12, v25, s[2:3]
	ds_write_b32 v10, v12
	; wave barrier
	ds_read_b32 v13, v10 offset:4
	s_waitcnt lgkmcnt(0)
	v_add_u32_e32 v12, v13, v12
	ds_write_b32 v10, v12 offset:4
.LBB6964_58:
	s_or_b64 exec, exec, s[4:5]
	v_mov_b32_e32 v12, v25
	s_waitcnt lgkmcnt(0)
	s_barrier
	s_and_saveexec_b64 s[2:3], s[0:1]
	s_cbranch_execz .LBB6964_60
; %bb.59:
	v_add_u32_e32 v10, -1, v0
	v_lshrrev_b32_e32 v12, 5, v10
	v_add_lshl_u32 v10, v12, v10, 2
	ds_read_b32 v12, v10
.LBB6964_60:
	s_or_b64 exec, exec, s[2:3]
	v_mov_b32_e32 v10, v6
	s_and_saveexec_b64 s[2:3], s[0:1]
	s_cbranch_execz .LBB6964_62
; %bb.61:
	s_waitcnt lgkmcnt(0)
	v_add_u32_e32 v10, v12, v6
	v_add_u32_e32 v11, v10, v7
	v_add_u32_e32 v20, v11, v8
	v_add_u32_e32 v21, v20, v9
	v_add_u32_e32 v14, v21, v2
	v_add_u32_e32 v15, v14, v3
	v_add_u32_e32 v22, v15, v4
	v_add_u32_e32 v23, v22, v5
	v_add_u32_e32 v24, v23, v18
	v_add_u32_e32 v25, v24, v19
	;;#ASMSTART
	;;#ASMEND
.LBB6964_62:
	s_or_b64 exec, exec, s[2:3]
	s_movk_i32 s0, 0x7f
	v_cmp_eq_u32_e32 vcc, s0, v0
	s_and_saveexec_b64 s[0:1], vcc
	s_cbranch_execz .LBB6964_64
; %bb.63:
	v_mov_b32_e32 v4, 0
	v_mov_b32_e32 v3, 2
	;; [unrolled: 1-line block ×3, first 2 shown]
	global_store_dwordx2 v4, v[2:3], s[6:7] offset:512
.LBB6964_64:
	s_or_b64 exec, exec, s[0:1]
.LBB6964_65:
	s_add_u32 s0, s20, s18
	s_addc_u32 s1, s21, s19
	s_add_u32 s2, s0, s22
	s_addc_u32 s3, s1, s23
	s_mov_b64 s[0:1], -1
	s_and_b64 vcc, exec, s[16:17]
	s_waitcnt lgkmcnt(0)
	s_barrier
	s_cbranch_vccz .LBB6964_67
; %bb.66:
	ds_write2_b64 v1, v[10:11], v[20:21] offset1:1
	ds_write2_b64 v1, v[14:15], v[22:23] offset0:2 offset1:3
	ds_write_b64 v1, v[24:25] offset:32
	s_waitcnt lgkmcnt(0)
	s_barrier
	ds_read2st64_b32 v[2:3], v26 offset1:2
	ds_read2st64_b32 v[4:5], v26 offset0:4 offset1:6
	ds_read2st64_b32 v[6:7], v26 offset0:8 offset1:10
	;; [unrolled: 1-line block ×4, first 2 shown]
	v_mov_b32_e32 v17, s3
	v_add_co_u32_e32 v16, vcc, s2, v26
	v_addc_co_u32_e32 v17, vcc, 0, v17, vcc
	s_waitcnt lgkmcnt(4)
	flat_store_dword v[16:17], v2
	flat_store_dword v[16:17], v3 offset:512
	s_waitcnt lgkmcnt(0)
	flat_store_dword v[16:17], v4 offset:1024
	flat_store_dword v[16:17], v5 offset:1536
	;; [unrolled: 1-line block ×6, first 2 shown]
	v_add_co_u32_e32 v2, vcc, 0x1000, v16
	v_addc_co_u32_e32 v3, vcc, 0, v17, vcc
	flat_store_dword v[2:3], v12
	flat_store_dword v[2:3], v13 offset:512
	s_mov_b64 s[0:1], 0
.LBB6964_67:
	s_andn2_b64 vcc, exec, s[0:1]
	s_cbranch_vccnz .LBB6964_123
; %bb.68:
	ds_write2_b64 v1, v[10:11], v[20:21] offset1:1
	ds_write2_b64 v1, v[14:15], v[22:23] offset0:2 offset1:3
	ds_write_b64 v1, v[24:25] offset:32
	s_waitcnt lgkmcnt(0)
	s_barrier
	ds_read2st64_b32 v[2:3], v26 offset1:2
	ds_read2st64_b32 v[6:7], v26 offset0:4 offset1:6
	ds_read2st64_b32 v[4:5], v26 offset0:8 offset1:10
	;; [unrolled: 1-line block ×4, first 2 shown]
	v_mov_b32_e32 v13, s3
	v_add_co_u32_e32 v12, vcc, s2, v26
	v_addc_co_u32_e32 v13, vcc, 0, v13, vcc
	v_mov_b32_e32 v1, 0
	v_cmp_gt_u32_e32 vcc, s30, v0
	s_and_saveexec_b64 s[0:1], vcc
	s_cbranch_execz .LBB6964_70
; %bb.69:
	s_waitcnt lgkmcnt(0)
	flat_store_dword v[12:13], v2
.LBB6964_70:
	s_or_b64 exec, exec, s[0:1]
	v_or_b32_e32 v14, 0x80, v0
	v_cmp_gt_u32_e32 vcc, s30, v14
	s_and_saveexec_b64 s[0:1], vcc
	s_cbranch_execz .LBB6964_72
; %bb.71:
	s_waitcnt lgkmcnt(0)
	flat_store_dword v[12:13], v3 offset:512
.LBB6964_72:
	s_or_b64 exec, exec, s[0:1]
	v_or_b32_e32 v14, 0x100, v0
	v_cmp_gt_u32_e32 vcc, s30, v14
	s_and_saveexec_b64 s[0:1], vcc
	s_cbranch_execz .LBB6964_74
; %bb.73:
	s_waitcnt lgkmcnt(0)
	flat_store_dword v[12:13], v6 offset:1024
.LBB6964_74:
	;; [unrolled: 9-line block ×7, first 2 shown]
	s_or_b64 exec, exec, s[0:1]
	v_or_b32_e32 v14, 0x400, v0
	v_cmp_gt_u32_e32 vcc, s30, v14
	s_and_saveexec_b64 s[0:1], vcc
	s_cbranch_execz .LBB6964_86
; %bb.85:
	v_add_co_u32_e32 v14, vcc, 0x1000, v12
	v_addc_co_u32_e32 v15, vcc, 0, v13, vcc
	s_waitcnt lgkmcnt(0)
	flat_store_dword v[14:15], v10
.LBB6964_86:
	s_or_b64 exec, exec, s[0:1]
	v_or_b32_e32 v14, 0x480, v0
	v_cmp_gt_u32_e32 vcc, s30, v14
	s_and_saveexec_b64 s[0:1], vcc
	s_cbranch_execz .LBB6964_88
; %bb.87:
	v_add_co_u32_e32 v12, vcc, 0x1000, v12
	v_addc_co_u32_e32 v13, vcc, 0, v13, vcc
	s_waitcnt lgkmcnt(0)
	flat_store_dword v[12:13], v11 offset:512
.LBB6964_88:
	s_or_b64 exec, exec, s[0:1]
	v_cmp_lt_u64_e64 s[0:1], s[14:15], 2
	s_and_b64 vcc, exec, s[0:1]
	s_cbranch_vccnz .LBB6964_123
; %bb.89:
	s_add_u32 s0, s30, -1
	s_addc_u32 s1, s31, -1
	s_add_u32 s2, 0, 0x99986000
	s_addc_u32 s3, 0, 0x59
	s_add_i32 s3, s3, 0x19999940
	s_mul_hi_u32 s7, s2, -10
	s_sub_i32 s7, s7, s2
	s_mul_i32 s8, s3, -10
	s_mul_i32 s4, s2, -10
	s_add_i32 s7, s7, s8
	s_mul_hi_u32 s5, s3, s4
	s_mul_i32 s6, s3, s4
	s_mul_i32 s9, s2, s7
	s_mul_hi_u32 s4, s2, s4
	s_mul_hi_u32 s8, s2, s7
	s_add_u32 s4, s4, s9
	s_addc_u32 s8, 0, s8
	s_add_u32 s4, s4, s6
	s_mul_hi_u32 s9, s3, s7
	s_addc_u32 s4, s8, s5
	s_addc_u32 s5, s9, 0
	s_mul_i32 s6, s3, s7
	s_add_u32 s4, s4, s6
	v_mov_b32_e32 v12, s4
	s_addc_u32 s5, 0, s5
	v_add_co_u32_e32 v12, vcc, s2, v12
	s_cmp_lg_u64 vcc, 0
	s_addc_u32 s2, s3, s5
	v_readfirstlane_b32 s5, v12
	s_mul_i32 s4, s0, s2
	s_mul_hi_u32 s6, s0, s5
	s_mul_hi_u32 s3, s0, s2
	s_add_u32 s4, s6, s4
	s_addc_u32 s3, 0, s3
	s_mul_hi_u32 s7, s1, s5
	s_mul_i32 s5, s1, s5
	s_add_u32 s4, s4, s5
	s_mul_hi_u32 s6, s1, s2
	s_addc_u32 s3, s3, s7
	s_addc_u32 s4, s6, 0
	s_mul_i32 s2, s1, s2
	s_add_u32 s2, s3, s2
	s_addc_u32 s3, 0, s4
	s_add_u32 s4, s2, 1
	s_addc_u32 s5, s3, 0
	s_add_u32 s6, s2, 2
	s_mul_i32 s8, s3, 10
	s_mul_hi_u32 s9, s2, 10
	s_addc_u32 s7, s3, 0
	s_add_i32 s9, s9, s8
	s_mul_i32 s8, s2, 10
	v_mov_b32_e32 v12, s8
	v_sub_co_u32_e32 v12, vcc, s0, v12
	s_cmp_lg_u64 vcc, 0
	s_subb_u32 s8, s1, s9
	v_subrev_co_u32_e32 v13, vcc, 10, v12
	s_cmp_lg_u64 vcc, 0
	s_subb_u32 s9, s8, 0
	v_readfirstlane_b32 s12, v13
	s_cmp_gt_u32 s12, 9
	s_cselect_b32 s12, -1, 0
	s_cmp_eq_u32 s9, 0
	s_cselect_b32 s9, s12, -1
	s_cmp_lg_u32 s9, 0
	s_cselect_b32 s4, s6, s4
	v_readfirstlane_b32 s6, v12
	s_cselect_b32 s5, s7, s5
	s_cmp_gt_u32 s6, 9
	s_cselect_b32 s6, -1, 0
	s_cmp_eq_u32 s8, 0
	s_cselect_b32 s6, s6, -1
	s_cmp_lg_u32 s6, 0
	s_cselect_b32 s3, s5, s3
	s_cselect_b32 s2, s4, s2
	v_cmp_eq_u64_e32 vcc, s[2:3], v[0:1]
	s_and_saveexec_b64 s[2:3], vcc
	s_cbranch_execz .LBB6964_123
; %bb.90:
	v_mul_hi_u32_u24_e32 v1, 10, v0
	v_mov_b32_e32 v12, s1
	v_sub_co_u32_e32 v0, vcc, s0, v27
	v_subb_co_u32_e32 v1, vcc, v12, v1, vcc
	v_cmp_lt_i64_e32 vcc, 4, v[0:1]
	s_and_saveexec_b64 s[0:1], vcc
	s_xor_b64 s[0:1], exec, s[0:1]
	s_cbranch_execz .LBB6964_108
; %bb.91:
	v_cmp_lt_i64_e32 vcc, 6, v[0:1]
	s_and_saveexec_b64 s[2:3], vcc
	s_xor_b64 s[2:3], exec, s[2:3]
	s_cbranch_execz .LBB6964_101
; %bb.92:
	;; [unrolled: 5-line block ×4, first 2 shown]
	v_mov_b32_e32 v0, 0
	s_waitcnt lgkmcnt(0)
	global_store_dword v0, v11, s[10:11]
                                        ; implicit-def: $vgpr10_vgpr11
.LBB6964_95:
	s_andn2_saveexec_b64 s[6:7], s[6:7]
	s_cbranch_execz .LBB6964_97
; %bb.96:
	v_mov_b32_e32 v0, 0
	s_waitcnt lgkmcnt(0)
	global_store_dword v0, v10, s[10:11]
.LBB6964_97:
	s_or_b64 exec, exec, s[6:7]
                                        ; implicit-def: $vgpr8_vgpr9
.LBB6964_98:
	s_andn2_saveexec_b64 s[4:5], s[4:5]
	s_cbranch_execz .LBB6964_100
; %bb.99:
	v_mov_b32_e32 v0, 0
	s_waitcnt lgkmcnt(0)
	global_store_dword v0, v9, s[10:11]
.LBB6964_100:
	s_or_b64 exec, exec, s[4:5]
                                        ; implicit-def: $vgpr4_vgpr5
                                        ; implicit-def: $vgpr0_vgpr1
                                        ; implicit-def: $vgpr8_vgpr9
.LBB6964_101:
	s_andn2_saveexec_b64 s[2:3], s[2:3]
	s_cbranch_execz .LBB6964_107
; %bb.102:
	v_cmp_lt_i64_e32 vcc, 5, v[0:1]
	s_and_saveexec_b64 s[4:5], vcc
	s_xor_b64 s[4:5], exec, s[4:5]
	s_cbranch_execz .LBB6964_104
; %bb.103:
	v_mov_b32_e32 v0, 0
	s_waitcnt lgkmcnt(0)
	global_store_dword v0, v8, s[10:11]
                                        ; implicit-def: $vgpr4_vgpr5
.LBB6964_104:
	s_andn2_saveexec_b64 s[4:5], s[4:5]
	s_cbranch_execz .LBB6964_106
; %bb.105:
	v_mov_b32_e32 v0, 0
	s_waitcnt lgkmcnt(0)
	global_store_dword v0, v5, s[10:11]
.LBB6964_106:
	s_or_b64 exec, exec, s[4:5]
.LBB6964_107:
	s_or_b64 exec, exec, s[2:3]
                                        ; implicit-def: $vgpr0_vgpr1
                                        ; implicit-def: $vgpr6_vgpr7
                                        ; implicit-def: $vgpr2_vgpr3
                                        ; implicit-def: $vgpr4_vgpr5
.LBB6964_108:
	s_andn2_saveexec_b64 s[0:1], s[0:1]
	s_cbranch_execz .LBB6964_123
; %bb.109:
	v_cmp_lt_i64_e32 vcc, 2, v[0:1]
	s_and_saveexec_b64 s[0:1], vcc
	s_xor_b64 s[0:1], exec, s[0:1]
	s_cbranch_execz .LBB6964_115
; %bb.110:
	v_cmp_lt_i64_e32 vcc, 3, v[0:1]
	s_and_saveexec_b64 s[2:3], vcc
	s_xor_b64 s[2:3], exec, s[2:3]
	s_cbranch_execz .LBB6964_112
; %bb.111:
	v_mov_b32_e32 v0, 0
	s_waitcnt lgkmcnt(0)
	global_store_dword v0, v4, s[10:11]
                                        ; implicit-def: $vgpr6_vgpr7
.LBB6964_112:
	s_andn2_saveexec_b64 s[2:3], s[2:3]
	s_cbranch_execz .LBB6964_114
; %bb.113:
	v_mov_b32_e32 v0, 0
	s_waitcnt lgkmcnt(0)
	global_store_dword v0, v7, s[10:11]
.LBB6964_114:
	s_or_b64 exec, exec, s[2:3]
                                        ; implicit-def: $vgpr0_vgpr1
                                        ; implicit-def: $vgpr6_vgpr7
                                        ; implicit-def: $vgpr2_vgpr3
.LBB6964_115:
	s_andn2_saveexec_b64 s[0:1], s[0:1]
	s_cbranch_execz .LBB6964_123
; %bb.116:
	v_cmp_lt_i64_e32 vcc, 1, v[0:1]
	s_and_saveexec_b64 s[0:1], vcc
	s_xor_b64 s[0:1], exec, s[0:1]
	s_cbranch_execz .LBB6964_118
; %bb.117:
	v_mov_b32_e32 v0, 0
	s_waitcnt lgkmcnt(0)
	global_store_dword v0, v6, s[10:11]
                                        ; implicit-def: $vgpr2_vgpr3
                                        ; implicit-def: $vgpr0_vgpr1
.LBB6964_118:
	s_andn2_saveexec_b64 s[0:1], s[0:1]
	s_cbranch_execz .LBB6964_123
; %bb.119:
	v_cmp_ne_u64_e32 vcc, 1, v[0:1]
	s_and_saveexec_b64 s[0:1], vcc
	s_xor_b64 s[0:1], exec, s[0:1]
	s_cbranch_execz .LBB6964_121
; %bb.120:
	v_mov_b32_e32 v0, 0
	s_waitcnt lgkmcnt(0)
	global_store_dword v0, v2, s[10:11]
                                        ; implicit-def: $vgpr2_vgpr3
.LBB6964_121:
	s_andn2_saveexec_b64 s[0:1], s[0:1]
	s_cbranch_execz .LBB6964_123
; %bb.122:
	v_mov_b32_e32 v0, 0
	s_waitcnt lgkmcnt(0)
	global_store_dword v0, v3, s[10:11]
.LBB6964_123:
	s_endpgm
	.section	.rodata,"a",@progbits
	.p2align	6, 0x0
	.amdhsa_kernel _ZN7rocprim17ROCPRIM_400000_NS6detail17trampoline_kernelINS0_14default_configENS1_20scan_config_selectorI3IntEEZZNS1_9scan_implILNS1_25lookback_scan_determinismE0ELb0ELb0ES3_N6thrust23THRUST_200600_302600_NS6detail15normal_iteratorINSA_10device_ptrIKS5_EEEENSC_INSD_IS5_EEEES5_NSA_4plusIvEES5_EEDaPvRmT3_T4_T5_mT6_P12ihipStream_tbENKUlT_T0_E_clISt17integral_constantIbLb0EESX_IbLb1EEEEDaST_SU_EUlST_E_NS1_11comp_targetILNS1_3genE4ELNS1_11target_archE910ELNS1_3gpuE8ELNS1_3repE0EEENS1_30default_config_static_selectorELNS0_4arch9wavefront6targetE1EEEvT1_
		.amdhsa_group_segment_fixed_size 5120
		.amdhsa_private_segment_fixed_size 0
		.amdhsa_kernarg_size 96
		.amdhsa_user_sgpr_count 6
		.amdhsa_user_sgpr_private_segment_buffer 1
		.amdhsa_user_sgpr_dispatch_ptr 0
		.amdhsa_user_sgpr_queue_ptr 0
		.amdhsa_user_sgpr_kernarg_segment_ptr 1
		.amdhsa_user_sgpr_dispatch_id 0
		.amdhsa_user_sgpr_flat_scratch_init 0
		.amdhsa_user_sgpr_kernarg_preload_length 0
		.amdhsa_user_sgpr_kernarg_preload_offset 0
		.amdhsa_user_sgpr_private_segment_size 0
		.amdhsa_uses_dynamic_stack 0
		.amdhsa_system_sgpr_private_segment_wavefront_offset 0
		.amdhsa_system_sgpr_workgroup_id_x 1
		.amdhsa_system_sgpr_workgroup_id_y 0
		.amdhsa_system_sgpr_workgroup_id_z 0
		.amdhsa_system_sgpr_workgroup_info 0
		.amdhsa_system_vgpr_workitem_id 0
		.amdhsa_next_free_vgpr 40
		.amdhsa_next_free_sgpr 36
		.amdhsa_accum_offset 40
		.amdhsa_reserve_vcc 1
		.amdhsa_reserve_flat_scratch 0
		.amdhsa_float_round_mode_32 0
		.amdhsa_float_round_mode_16_64 0
		.amdhsa_float_denorm_mode_32 3
		.amdhsa_float_denorm_mode_16_64 3
		.amdhsa_dx10_clamp 1
		.amdhsa_ieee_mode 1
		.amdhsa_fp16_overflow 0
		.amdhsa_tg_split 0
		.amdhsa_exception_fp_ieee_invalid_op 0
		.amdhsa_exception_fp_denorm_src 0
		.amdhsa_exception_fp_ieee_div_zero 0
		.amdhsa_exception_fp_ieee_overflow 0
		.amdhsa_exception_fp_ieee_underflow 0
		.amdhsa_exception_fp_ieee_inexact 0
		.amdhsa_exception_int_div_zero 0
	.end_amdhsa_kernel
	.section	.text._ZN7rocprim17ROCPRIM_400000_NS6detail17trampoline_kernelINS0_14default_configENS1_20scan_config_selectorI3IntEEZZNS1_9scan_implILNS1_25lookback_scan_determinismE0ELb0ELb0ES3_N6thrust23THRUST_200600_302600_NS6detail15normal_iteratorINSA_10device_ptrIKS5_EEEENSC_INSD_IS5_EEEES5_NSA_4plusIvEES5_EEDaPvRmT3_T4_T5_mT6_P12ihipStream_tbENKUlT_T0_E_clISt17integral_constantIbLb0EESX_IbLb1EEEEDaST_SU_EUlST_E_NS1_11comp_targetILNS1_3genE4ELNS1_11target_archE910ELNS1_3gpuE8ELNS1_3repE0EEENS1_30default_config_static_selectorELNS0_4arch9wavefront6targetE1EEEvT1_,"axG",@progbits,_ZN7rocprim17ROCPRIM_400000_NS6detail17trampoline_kernelINS0_14default_configENS1_20scan_config_selectorI3IntEEZZNS1_9scan_implILNS1_25lookback_scan_determinismE0ELb0ELb0ES3_N6thrust23THRUST_200600_302600_NS6detail15normal_iteratorINSA_10device_ptrIKS5_EEEENSC_INSD_IS5_EEEES5_NSA_4plusIvEES5_EEDaPvRmT3_T4_T5_mT6_P12ihipStream_tbENKUlT_T0_E_clISt17integral_constantIbLb0EESX_IbLb1EEEEDaST_SU_EUlST_E_NS1_11comp_targetILNS1_3genE4ELNS1_11target_archE910ELNS1_3gpuE8ELNS1_3repE0EEENS1_30default_config_static_selectorELNS0_4arch9wavefront6targetE1EEEvT1_,comdat
.Lfunc_end6964:
	.size	_ZN7rocprim17ROCPRIM_400000_NS6detail17trampoline_kernelINS0_14default_configENS1_20scan_config_selectorI3IntEEZZNS1_9scan_implILNS1_25lookback_scan_determinismE0ELb0ELb0ES3_N6thrust23THRUST_200600_302600_NS6detail15normal_iteratorINSA_10device_ptrIKS5_EEEENSC_INSD_IS5_EEEES5_NSA_4plusIvEES5_EEDaPvRmT3_T4_T5_mT6_P12ihipStream_tbENKUlT_T0_E_clISt17integral_constantIbLb0EESX_IbLb1EEEEDaST_SU_EUlST_E_NS1_11comp_targetILNS1_3genE4ELNS1_11target_archE910ELNS1_3gpuE8ELNS1_3repE0EEENS1_30default_config_static_selectorELNS0_4arch9wavefront6targetE1EEEvT1_, .Lfunc_end6964-_ZN7rocprim17ROCPRIM_400000_NS6detail17trampoline_kernelINS0_14default_configENS1_20scan_config_selectorI3IntEEZZNS1_9scan_implILNS1_25lookback_scan_determinismE0ELb0ELb0ES3_N6thrust23THRUST_200600_302600_NS6detail15normal_iteratorINSA_10device_ptrIKS5_EEEENSC_INSD_IS5_EEEES5_NSA_4plusIvEES5_EEDaPvRmT3_T4_T5_mT6_P12ihipStream_tbENKUlT_T0_E_clISt17integral_constantIbLb0EESX_IbLb1EEEEDaST_SU_EUlST_E_NS1_11comp_targetILNS1_3genE4ELNS1_11target_archE910ELNS1_3gpuE8ELNS1_3repE0EEENS1_30default_config_static_selectorELNS0_4arch9wavefront6targetE1EEEvT1_
                                        ; -- End function
	.section	.AMDGPU.csdata,"",@progbits
; Kernel info:
; codeLenInByte = 4504
; NumSgprs: 40
; NumVgprs: 40
; NumAgprs: 0
; TotalNumVgprs: 40
; ScratchSize: 0
; MemoryBound: 0
; FloatMode: 240
; IeeeMode: 1
; LDSByteSize: 5120 bytes/workgroup (compile time only)
; SGPRBlocks: 4
; VGPRBlocks: 4
; NumSGPRsForWavesPerEU: 40
; NumVGPRsForWavesPerEU: 40
; AccumOffset: 40
; Occupancy: 6
; WaveLimiterHint : 1
; COMPUTE_PGM_RSRC2:SCRATCH_EN: 0
; COMPUTE_PGM_RSRC2:USER_SGPR: 6
; COMPUTE_PGM_RSRC2:TRAP_HANDLER: 0
; COMPUTE_PGM_RSRC2:TGID_X_EN: 1
; COMPUTE_PGM_RSRC2:TGID_Y_EN: 0
; COMPUTE_PGM_RSRC2:TGID_Z_EN: 0
; COMPUTE_PGM_RSRC2:TIDIG_COMP_CNT: 0
; COMPUTE_PGM_RSRC3_GFX90A:ACCUM_OFFSET: 9
; COMPUTE_PGM_RSRC3_GFX90A:TG_SPLIT: 0
	.section	.text._ZN7rocprim17ROCPRIM_400000_NS6detail17trampoline_kernelINS0_14default_configENS1_20scan_config_selectorI3IntEEZZNS1_9scan_implILNS1_25lookback_scan_determinismE0ELb0ELb0ES3_N6thrust23THRUST_200600_302600_NS6detail15normal_iteratorINSA_10device_ptrIKS5_EEEENSC_INSD_IS5_EEEES5_NSA_4plusIvEES5_EEDaPvRmT3_T4_T5_mT6_P12ihipStream_tbENKUlT_T0_E_clISt17integral_constantIbLb0EESX_IbLb1EEEEDaST_SU_EUlST_E_NS1_11comp_targetILNS1_3genE3ELNS1_11target_archE908ELNS1_3gpuE7ELNS1_3repE0EEENS1_30default_config_static_selectorELNS0_4arch9wavefront6targetE1EEEvT1_,"axG",@progbits,_ZN7rocprim17ROCPRIM_400000_NS6detail17trampoline_kernelINS0_14default_configENS1_20scan_config_selectorI3IntEEZZNS1_9scan_implILNS1_25lookback_scan_determinismE0ELb0ELb0ES3_N6thrust23THRUST_200600_302600_NS6detail15normal_iteratorINSA_10device_ptrIKS5_EEEENSC_INSD_IS5_EEEES5_NSA_4plusIvEES5_EEDaPvRmT3_T4_T5_mT6_P12ihipStream_tbENKUlT_T0_E_clISt17integral_constantIbLb0EESX_IbLb1EEEEDaST_SU_EUlST_E_NS1_11comp_targetILNS1_3genE3ELNS1_11target_archE908ELNS1_3gpuE7ELNS1_3repE0EEENS1_30default_config_static_selectorELNS0_4arch9wavefront6targetE1EEEvT1_,comdat
	.protected	_ZN7rocprim17ROCPRIM_400000_NS6detail17trampoline_kernelINS0_14default_configENS1_20scan_config_selectorI3IntEEZZNS1_9scan_implILNS1_25lookback_scan_determinismE0ELb0ELb0ES3_N6thrust23THRUST_200600_302600_NS6detail15normal_iteratorINSA_10device_ptrIKS5_EEEENSC_INSD_IS5_EEEES5_NSA_4plusIvEES5_EEDaPvRmT3_T4_T5_mT6_P12ihipStream_tbENKUlT_T0_E_clISt17integral_constantIbLb0EESX_IbLb1EEEEDaST_SU_EUlST_E_NS1_11comp_targetILNS1_3genE3ELNS1_11target_archE908ELNS1_3gpuE7ELNS1_3repE0EEENS1_30default_config_static_selectorELNS0_4arch9wavefront6targetE1EEEvT1_ ; -- Begin function _ZN7rocprim17ROCPRIM_400000_NS6detail17trampoline_kernelINS0_14default_configENS1_20scan_config_selectorI3IntEEZZNS1_9scan_implILNS1_25lookback_scan_determinismE0ELb0ELb0ES3_N6thrust23THRUST_200600_302600_NS6detail15normal_iteratorINSA_10device_ptrIKS5_EEEENSC_INSD_IS5_EEEES5_NSA_4plusIvEES5_EEDaPvRmT3_T4_T5_mT6_P12ihipStream_tbENKUlT_T0_E_clISt17integral_constantIbLb0EESX_IbLb1EEEEDaST_SU_EUlST_E_NS1_11comp_targetILNS1_3genE3ELNS1_11target_archE908ELNS1_3gpuE7ELNS1_3repE0EEENS1_30default_config_static_selectorELNS0_4arch9wavefront6targetE1EEEvT1_
	.globl	_ZN7rocprim17ROCPRIM_400000_NS6detail17trampoline_kernelINS0_14default_configENS1_20scan_config_selectorI3IntEEZZNS1_9scan_implILNS1_25lookback_scan_determinismE0ELb0ELb0ES3_N6thrust23THRUST_200600_302600_NS6detail15normal_iteratorINSA_10device_ptrIKS5_EEEENSC_INSD_IS5_EEEES5_NSA_4plusIvEES5_EEDaPvRmT3_T4_T5_mT6_P12ihipStream_tbENKUlT_T0_E_clISt17integral_constantIbLb0EESX_IbLb1EEEEDaST_SU_EUlST_E_NS1_11comp_targetILNS1_3genE3ELNS1_11target_archE908ELNS1_3gpuE7ELNS1_3repE0EEENS1_30default_config_static_selectorELNS0_4arch9wavefront6targetE1EEEvT1_
	.p2align	8
	.type	_ZN7rocprim17ROCPRIM_400000_NS6detail17trampoline_kernelINS0_14default_configENS1_20scan_config_selectorI3IntEEZZNS1_9scan_implILNS1_25lookback_scan_determinismE0ELb0ELb0ES3_N6thrust23THRUST_200600_302600_NS6detail15normal_iteratorINSA_10device_ptrIKS5_EEEENSC_INSD_IS5_EEEES5_NSA_4plusIvEES5_EEDaPvRmT3_T4_T5_mT6_P12ihipStream_tbENKUlT_T0_E_clISt17integral_constantIbLb0EESX_IbLb1EEEEDaST_SU_EUlST_E_NS1_11comp_targetILNS1_3genE3ELNS1_11target_archE908ELNS1_3gpuE7ELNS1_3repE0EEENS1_30default_config_static_selectorELNS0_4arch9wavefront6targetE1EEEvT1_,@function
_ZN7rocprim17ROCPRIM_400000_NS6detail17trampoline_kernelINS0_14default_configENS1_20scan_config_selectorI3IntEEZZNS1_9scan_implILNS1_25lookback_scan_determinismE0ELb0ELb0ES3_N6thrust23THRUST_200600_302600_NS6detail15normal_iteratorINSA_10device_ptrIKS5_EEEENSC_INSD_IS5_EEEES5_NSA_4plusIvEES5_EEDaPvRmT3_T4_T5_mT6_P12ihipStream_tbENKUlT_T0_E_clISt17integral_constantIbLb0EESX_IbLb1EEEEDaST_SU_EUlST_E_NS1_11comp_targetILNS1_3genE3ELNS1_11target_archE908ELNS1_3gpuE7ELNS1_3repE0EEENS1_30default_config_static_selectorELNS0_4arch9wavefront6targetE1EEEvT1_: ; @_ZN7rocprim17ROCPRIM_400000_NS6detail17trampoline_kernelINS0_14default_configENS1_20scan_config_selectorI3IntEEZZNS1_9scan_implILNS1_25lookback_scan_determinismE0ELb0ELb0ES3_N6thrust23THRUST_200600_302600_NS6detail15normal_iteratorINSA_10device_ptrIKS5_EEEENSC_INSD_IS5_EEEES5_NSA_4plusIvEES5_EEDaPvRmT3_T4_T5_mT6_P12ihipStream_tbENKUlT_T0_E_clISt17integral_constantIbLb0EESX_IbLb1EEEEDaST_SU_EUlST_E_NS1_11comp_targetILNS1_3genE3ELNS1_11target_archE908ELNS1_3gpuE7ELNS1_3repE0EEENS1_30default_config_static_selectorELNS0_4arch9wavefront6targetE1EEEvT1_
; %bb.0:
	.section	.rodata,"a",@progbits
	.p2align	6, 0x0
	.amdhsa_kernel _ZN7rocprim17ROCPRIM_400000_NS6detail17trampoline_kernelINS0_14default_configENS1_20scan_config_selectorI3IntEEZZNS1_9scan_implILNS1_25lookback_scan_determinismE0ELb0ELb0ES3_N6thrust23THRUST_200600_302600_NS6detail15normal_iteratorINSA_10device_ptrIKS5_EEEENSC_INSD_IS5_EEEES5_NSA_4plusIvEES5_EEDaPvRmT3_T4_T5_mT6_P12ihipStream_tbENKUlT_T0_E_clISt17integral_constantIbLb0EESX_IbLb1EEEEDaST_SU_EUlST_E_NS1_11comp_targetILNS1_3genE3ELNS1_11target_archE908ELNS1_3gpuE7ELNS1_3repE0EEENS1_30default_config_static_selectorELNS0_4arch9wavefront6targetE1EEEvT1_
		.amdhsa_group_segment_fixed_size 0
		.amdhsa_private_segment_fixed_size 0
		.amdhsa_kernarg_size 96
		.amdhsa_user_sgpr_count 6
		.amdhsa_user_sgpr_private_segment_buffer 1
		.amdhsa_user_sgpr_dispatch_ptr 0
		.amdhsa_user_sgpr_queue_ptr 0
		.amdhsa_user_sgpr_kernarg_segment_ptr 1
		.amdhsa_user_sgpr_dispatch_id 0
		.amdhsa_user_sgpr_flat_scratch_init 0
		.amdhsa_user_sgpr_kernarg_preload_length 0
		.amdhsa_user_sgpr_kernarg_preload_offset 0
		.amdhsa_user_sgpr_private_segment_size 0
		.amdhsa_uses_dynamic_stack 0
		.amdhsa_system_sgpr_private_segment_wavefront_offset 0
		.amdhsa_system_sgpr_workgroup_id_x 1
		.amdhsa_system_sgpr_workgroup_id_y 0
		.amdhsa_system_sgpr_workgroup_id_z 0
		.amdhsa_system_sgpr_workgroup_info 0
		.amdhsa_system_vgpr_workitem_id 0
		.amdhsa_next_free_vgpr 1
		.amdhsa_next_free_sgpr 0
		.amdhsa_accum_offset 4
		.amdhsa_reserve_vcc 0
		.amdhsa_reserve_flat_scratch 0
		.amdhsa_float_round_mode_32 0
		.amdhsa_float_round_mode_16_64 0
		.amdhsa_float_denorm_mode_32 3
		.amdhsa_float_denorm_mode_16_64 3
		.amdhsa_dx10_clamp 1
		.amdhsa_ieee_mode 1
		.amdhsa_fp16_overflow 0
		.amdhsa_tg_split 0
		.amdhsa_exception_fp_ieee_invalid_op 0
		.amdhsa_exception_fp_denorm_src 0
		.amdhsa_exception_fp_ieee_div_zero 0
		.amdhsa_exception_fp_ieee_overflow 0
		.amdhsa_exception_fp_ieee_underflow 0
		.amdhsa_exception_fp_ieee_inexact 0
		.amdhsa_exception_int_div_zero 0
	.end_amdhsa_kernel
	.section	.text._ZN7rocprim17ROCPRIM_400000_NS6detail17trampoline_kernelINS0_14default_configENS1_20scan_config_selectorI3IntEEZZNS1_9scan_implILNS1_25lookback_scan_determinismE0ELb0ELb0ES3_N6thrust23THRUST_200600_302600_NS6detail15normal_iteratorINSA_10device_ptrIKS5_EEEENSC_INSD_IS5_EEEES5_NSA_4plusIvEES5_EEDaPvRmT3_T4_T5_mT6_P12ihipStream_tbENKUlT_T0_E_clISt17integral_constantIbLb0EESX_IbLb1EEEEDaST_SU_EUlST_E_NS1_11comp_targetILNS1_3genE3ELNS1_11target_archE908ELNS1_3gpuE7ELNS1_3repE0EEENS1_30default_config_static_selectorELNS0_4arch9wavefront6targetE1EEEvT1_,"axG",@progbits,_ZN7rocprim17ROCPRIM_400000_NS6detail17trampoline_kernelINS0_14default_configENS1_20scan_config_selectorI3IntEEZZNS1_9scan_implILNS1_25lookback_scan_determinismE0ELb0ELb0ES3_N6thrust23THRUST_200600_302600_NS6detail15normal_iteratorINSA_10device_ptrIKS5_EEEENSC_INSD_IS5_EEEES5_NSA_4plusIvEES5_EEDaPvRmT3_T4_T5_mT6_P12ihipStream_tbENKUlT_T0_E_clISt17integral_constantIbLb0EESX_IbLb1EEEEDaST_SU_EUlST_E_NS1_11comp_targetILNS1_3genE3ELNS1_11target_archE908ELNS1_3gpuE7ELNS1_3repE0EEENS1_30default_config_static_selectorELNS0_4arch9wavefront6targetE1EEEvT1_,comdat
.Lfunc_end6965:
	.size	_ZN7rocprim17ROCPRIM_400000_NS6detail17trampoline_kernelINS0_14default_configENS1_20scan_config_selectorI3IntEEZZNS1_9scan_implILNS1_25lookback_scan_determinismE0ELb0ELb0ES3_N6thrust23THRUST_200600_302600_NS6detail15normal_iteratorINSA_10device_ptrIKS5_EEEENSC_INSD_IS5_EEEES5_NSA_4plusIvEES5_EEDaPvRmT3_T4_T5_mT6_P12ihipStream_tbENKUlT_T0_E_clISt17integral_constantIbLb0EESX_IbLb1EEEEDaST_SU_EUlST_E_NS1_11comp_targetILNS1_3genE3ELNS1_11target_archE908ELNS1_3gpuE7ELNS1_3repE0EEENS1_30default_config_static_selectorELNS0_4arch9wavefront6targetE1EEEvT1_, .Lfunc_end6965-_ZN7rocprim17ROCPRIM_400000_NS6detail17trampoline_kernelINS0_14default_configENS1_20scan_config_selectorI3IntEEZZNS1_9scan_implILNS1_25lookback_scan_determinismE0ELb0ELb0ES3_N6thrust23THRUST_200600_302600_NS6detail15normal_iteratorINSA_10device_ptrIKS5_EEEENSC_INSD_IS5_EEEES5_NSA_4plusIvEES5_EEDaPvRmT3_T4_T5_mT6_P12ihipStream_tbENKUlT_T0_E_clISt17integral_constantIbLb0EESX_IbLb1EEEEDaST_SU_EUlST_E_NS1_11comp_targetILNS1_3genE3ELNS1_11target_archE908ELNS1_3gpuE7ELNS1_3repE0EEENS1_30default_config_static_selectorELNS0_4arch9wavefront6targetE1EEEvT1_
                                        ; -- End function
	.section	.AMDGPU.csdata,"",@progbits
; Kernel info:
; codeLenInByte = 0
; NumSgprs: 4
; NumVgprs: 0
; NumAgprs: 0
; TotalNumVgprs: 0
; ScratchSize: 0
; MemoryBound: 0
; FloatMode: 240
; IeeeMode: 1
; LDSByteSize: 0 bytes/workgroup (compile time only)
; SGPRBlocks: 0
; VGPRBlocks: 0
; NumSGPRsForWavesPerEU: 4
; NumVGPRsForWavesPerEU: 1
; AccumOffset: 4
; Occupancy: 8
; WaveLimiterHint : 0
; COMPUTE_PGM_RSRC2:SCRATCH_EN: 0
; COMPUTE_PGM_RSRC2:USER_SGPR: 6
; COMPUTE_PGM_RSRC2:TRAP_HANDLER: 0
; COMPUTE_PGM_RSRC2:TGID_X_EN: 1
; COMPUTE_PGM_RSRC2:TGID_Y_EN: 0
; COMPUTE_PGM_RSRC2:TGID_Z_EN: 0
; COMPUTE_PGM_RSRC2:TIDIG_COMP_CNT: 0
; COMPUTE_PGM_RSRC3_GFX90A:ACCUM_OFFSET: 0
; COMPUTE_PGM_RSRC3_GFX90A:TG_SPLIT: 0
	.section	.text._ZN7rocprim17ROCPRIM_400000_NS6detail17trampoline_kernelINS0_14default_configENS1_20scan_config_selectorI3IntEEZZNS1_9scan_implILNS1_25lookback_scan_determinismE0ELb0ELb0ES3_N6thrust23THRUST_200600_302600_NS6detail15normal_iteratorINSA_10device_ptrIKS5_EEEENSC_INSD_IS5_EEEES5_NSA_4plusIvEES5_EEDaPvRmT3_T4_T5_mT6_P12ihipStream_tbENKUlT_T0_E_clISt17integral_constantIbLb0EESX_IbLb1EEEEDaST_SU_EUlST_E_NS1_11comp_targetILNS1_3genE2ELNS1_11target_archE906ELNS1_3gpuE6ELNS1_3repE0EEENS1_30default_config_static_selectorELNS0_4arch9wavefront6targetE1EEEvT1_,"axG",@progbits,_ZN7rocprim17ROCPRIM_400000_NS6detail17trampoline_kernelINS0_14default_configENS1_20scan_config_selectorI3IntEEZZNS1_9scan_implILNS1_25lookback_scan_determinismE0ELb0ELb0ES3_N6thrust23THRUST_200600_302600_NS6detail15normal_iteratorINSA_10device_ptrIKS5_EEEENSC_INSD_IS5_EEEES5_NSA_4plusIvEES5_EEDaPvRmT3_T4_T5_mT6_P12ihipStream_tbENKUlT_T0_E_clISt17integral_constantIbLb0EESX_IbLb1EEEEDaST_SU_EUlST_E_NS1_11comp_targetILNS1_3genE2ELNS1_11target_archE906ELNS1_3gpuE6ELNS1_3repE0EEENS1_30default_config_static_selectorELNS0_4arch9wavefront6targetE1EEEvT1_,comdat
	.protected	_ZN7rocprim17ROCPRIM_400000_NS6detail17trampoline_kernelINS0_14default_configENS1_20scan_config_selectorI3IntEEZZNS1_9scan_implILNS1_25lookback_scan_determinismE0ELb0ELb0ES3_N6thrust23THRUST_200600_302600_NS6detail15normal_iteratorINSA_10device_ptrIKS5_EEEENSC_INSD_IS5_EEEES5_NSA_4plusIvEES5_EEDaPvRmT3_T4_T5_mT6_P12ihipStream_tbENKUlT_T0_E_clISt17integral_constantIbLb0EESX_IbLb1EEEEDaST_SU_EUlST_E_NS1_11comp_targetILNS1_3genE2ELNS1_11target_archE906ELNS1_3gpuE6ELNS1_3repE0EEENS1_30default_config_static_selectorELNS0_4arch9wavefront6targetE1EEEvT1_ ; -- Begin function _ZN7rocprim17ROCPRIM_400000_NS6detail17trampoline_kernelINS0_14default_configENS1_20scan_config_selectorI3IntEEZZNS1_9scan_implILNS1_25lookback_scan_determinismE0ELb0ELb0ES3_N6thrust23THRUST_200600_302600_NS6detail15normal_iteratorINSA_10device_ptrIKS5_EEEENSC_INSD_IS5_EEEES5_NSA_4plusIvEES5_EEDaPvRmT3_T4_T5_mT6_P12ihipStream_tbENKUlT_T0_E_clISt17integral_constantIbLb0EESX_IbLb1EEEEDaST_SU_EUlST_E_NS1_11comp_targetILNS1_3genE2ELNS1_11target_archE906ELNS1_3gpuE6ELNS1_3repE0EEENS1_30default_config_static_selectorELNS0_4arch9wavefront6targetE1EEEvT1_
	.globl	_ZN7rocprim17ROCPRIM_400000_NS6detail17trampoline_kernelINS0_14default_configENS1_20scan_config_selectorI3IntEEZZNS1_9scan_implILNS1_25lookback_scan_determinismE0ELb0ELb0ES3_N6thrust23THRUST_200600_302600_NS6detail15normal_iteratorINSA_10device_ptrIKS5_EEEENSC_INSD_IS5_EEEES5_NSA_4plusIvEES5_EEDaPvRmT3_T4_T5_mT6_P12ihipStream_tbENKUlT_T0_E_clISt17integral_constantIbLb0EESX_IbLb1EEEEDaST_SU_EUlST_E_NS1_11comp_targetILNS1_3genE2ELNS1_11target_archE906ELNS1_3gpuE6ELNS1_3repE0EEENS1_30default_config_static_selectorELNS0_4arch9wavefront6targetE1EEEvT1_
	.p2align	8
	.type	_ZN7rocprim17ROCPRIM_400000_NS6detail17trampoline_kernelINS0_14default_configENS1_20scan_config_selectorI3IntEEZZNS1_9scan_implILNS1_25lookback_scan_determinismE0ELb0ELb0ES3_N6thrust23THRUST_200600_302600_NS6detail15normal_iteratorINSA_10device_ptrIKS5_EEEENSC_INSD_IS5_EEEES5_NSA_4plusIvEES5_EEDaPvRmT3_T4_T5_mT6_P12ihipStream_tbENKUlT_T0_E_clISt17integral_constantIbLb0EESX_IbLb1EEEEDaST_SU_EUlST_E_NS1_11comp_targetILNS1_3genE2ELNS1_11target_archE906ELNS1_3gpuE6ELNS1_3repE0EEENS1_30default_config_static_selectorELNS0_4arch9wavefront6targetE1EEEvT1_,@function
_ZN7rocprim17ROCPRIM_400000_NS6detail17trampoline_kernelINS0_14default_configENS1_20scan_config_selectorI3IntEEZZNS1_9scan_implILNS1_25lookback_scan_determinismE0ELb0ELb0ES3_N6thrust23THRUST_200600_302600_NS6detail15normal_iteratorINSA_10device_ptrIKS5_EEEENSC_INSD_IS5_EEEES5_NSA_4plusIvEES5_EEDaPvRmT3_T4_T5_mT6_P12ihipStream_tbENKUlT_T0_E_clISt17integral_constantIbLb0EESX_IbLb1EEEEDaST_SU_EUlST_E_NS1_11comp_targetILNS1_3genE2ELNS1_11target_archE906ELNS1_3gpuE6ELNS1_3repE0EEENS1_30default_config_static_selectorELNS0_4arch9wavefront6targetE1EEEvT1_: ; @_ZN7rocprim17ROCPRIM_400000_NS6detail17trampoline_kernelINS0_14default_configENS1_20scan_config_selectorI3IntEEZZNS1_9scan_implILNS1_25lookback_scan_determinismE0ELb0ELb0ES3_N6thrust23THRUST_200600_302600_NS6detail15normal_iteratorINSA_10device_ptrIKS5_EEEENSC_INSD_IS5_EEEES5_NSA_4plusIvEES5_EEDaPvRmT3_T4_T5_mT6_P12ihipStream_tbENKUlT_T0_E_clISt17integral_constantIbLb0EESX_IbLb1EEEEDaST_SU_EUlST_E_NS1_11comp_targetILNS1_3genE2ELNS1_11target_archE906ELNS1_3gpuE6ELNS1_3repE0EEENS1_30default_config_static_selectorELNS0_4arch9wavefront6targetE1EEEvT1_
; %bb.0:
	.section	.rodata,"a",@progbits
	.p2align	6, 0x0
	.amdhsa_kernel _ZN7rocprim17ROCPRIM_400000_NS6detail17trampoline_kernelINS0_14default_configENS1_20scan_config_selectorI3IntEEZZNS1_9scan_implILNS1_25lookback_scan_determinismE0ELb0ELb0ES3_N6thrust23THRUST_200600_302600_NS6detail15normal_iteratorINSA_10device_ptrIKS5_EEEENSC_INSD_IS5_EEEES5_NSA_4plusIvEES5_EEDaPvRmT3_T4_T5_mT6_P12ihipStream_tbENKUlT_T0_E_clISt17integral_constantIbLb0EESX_IbLb1EEEEDaST_SU_EUlST_E_NS1_11comp_targetILNS1_3genE2ELNS1_11target_archE906ELNS1_3gpuE6ELNS1_3repE0EEENS1_30default_config_static_selectorELNS0_4arch9wavefront6targetE1EEEvT1_
		.amdhsa_group_segment_fixed_size 0
		.amdhsa_private_segment_fixed_size 0
		.amdhsa_kernarg_size 96
		.amdhsa_user_sgpr_count 6
		.amdhsa_user_sgpr_private_segment_buffer 1
		.amdhsa_user_sgpr_dispatch_ptr 0
		.amdhsa_user_sgpr_queue_ptr 0
		.amdhsa_user_sgpr_kernarg_segment_ptr 1
		.amdhsa_user_sgpr_dispatch_id 0
		.amdhsa_user_sgpr_flat_scratch_init 0
		.amdhsa_user_sgpr_kernarg_preload_length 0
		.amdhsa_user_sgpr_kernarg_preload_offset 0
		.amdhsa_user_sgpr_private_segment_size 0
		.amdhsa_uses_dynamic_stack 0
		.amdhsa_system_sgpr_private_segment_wavefront_offset 0
		.amdhsa_system_sgpr_workgroup_id_x 1
		.amdhsa_system_sgpr_workgroup_id_y 0
		.amdhsa_system_sgpr_workgroup_id_z 0
		.amdhsa_system_sgpr_workgroup_info 0
		.amdhsa_system_vgpr_workitem_id 0
		.amdhsa_next_free_vgpr 1
		.amdhsa_next_free_sgpr 0
		.amdhsa_accum_offset 4
		.amdhsa_reserve_vcc 0
		.amdhsa_reserve_flat_scratch 0
		.amdhsa_float_round_mode_32 0
		.amdhsa_float_round_mode_16_64 0
		.amdhsa_float_denorm_mode_32 3
		.amdhsa_float_denorm_mode_16_64 3
		.amdhsa_dx10_clamp 1
		.amdhsa_ieee_mode 1
		.amdhsa_fp16_overflow 0
		.amdhsa_tg_split 0
		.amdhsa_exception_fp_ieee_invalid_op 0
		.amdhsa_exception_fp_denorm_src 0
		.amdhsa_exception_fp_ieee_div_zero 0
		.amdhsa_exception_fp_ieee_overflow 0
		.amdhsa_exception_fp_ieee_underflow 0
		.amdhsa_exception_fp_ieee_inexact 0
		.amdhsa_exception_int_div_zero 0
	.end_amdhsa_kernel
	.section	.text._ZN7rocprim17ROCPRIM_400000_NS6detail17trampoline_kernelINS0_14default_configENS1_20scan_config_selectorI3IntEEZZNS1_9scan_implILNS1_25lookback_scan_determinismE0ELb0ELb0ES3_N6thrust23THRUST_200600_302600_NS6detail15normal_iteratorINSA_10device_ptrIKS5_EEEENSC_INSD_IS5_EEEES5_NSA_4plusIvEES5_EEDaPvRmT3_T4_T5_mT6_P12ihipStream_tbENKUlT_T0_E_clISt17integral_constantIbLb0EESX_IbLb1EEEEDaST_SU_EUlST_E_NS1_11comp_targetILNS1_3genE2ELNS1_11target_archE906ELNS1_3gpuE6ELNS1_3repE0EEENS1_30default_config_static_selectorELNS0_4arch9wavefront6targetE1EEEvT1_,"axG",@progbits,_ZN7rocprim17ROCPRIM_400000_NS6detail17trampoline_kernelINS0_14default_configENS1_20scan_config_selectorI3IntEEZZNS1_9scan_implILNS1_25lookback_scan_determinismE0ELb0ELb0ES3_N6thrust23THRUST_200600_302600_NS6detail15normal_iteratorINSA_10device_ptrIKS5_EEEENSC_INSD_IS5_EEEES5_NSA_4plusIvEES5_EEDaPvRmT3_T4_T5_mT6_P12ihipStream_tbENKUlT_T0_E_clISt17integral_constantIbLb0EESX_IbLb1EEEEDaST_SU_EUlST_E_NS1_11comp_targetILNS1_3genE2ELNS1_11target_archE906ELNS1_3gpuE6ELNS1_3repE0EEENS1_30default_config_static_selectorELNS0_4arch9wavefront6targetE1EEEvT1_,comdat
.Lfunc_end6966:
	.size	_ZN7rocprim17ROCPRIM_400000_NS6detail17trampoline_kernelINS0_14default_configENS1_20scan_config_selectorI3IntEEZZNS1_9scan_implILNS1_25lookback_scan_determinismE0ELb0ELb0ES3_N6thrust23THRUST_200600_302600_NS6detail15normal_iteratorINSA_10device_ptrIKS5_EEEENSC_INSD_IS5_EEEES5_NSA_4plusIvEES5_EEDaPvRmT3_T4_T5_mT6_P12ihipStream_tbENKUlT_T0_E_clISt17integral_constantIbLb0EESX_IbLb1EEEEDaST_SU_EUlST_E_NS1_11comp_targetILNS1_3genE2ELNS1_11target_archE906ELNS1_3gpuE6ELNS1_3repE0EEENS1_30default_config_static_selectorELNS0_4arch9wavefront6targetE1EEEvT1_, .Lfunc_end6966-_ZN7rocprim17ROCPRIM_400000_NS6detail17trampoline_kernelINS0_14default_configENS1_20scan_config_selectorI3IntEEZZNS1_9scan_implILNS1_25lookback_scan_determinismE0ELb0ELb0ES3_N6thrust23THRUST_200600_302600_NS6detail15normal_iteratorINSA_10device_ptrIKS5_EEEENSC_INSD_IS5_EEEES5_NSA_4plusIvEES5_EEDaPvRmT3_T4_T5_mT6_P12ihipStream_tbENKUlT_T0_E_clISt17integral_constantIbLb0EESX_IbLb1EEEEDaST_SU_EUlST_E_NS1_11comp_targetILNS1_3genE2ELNS1_11target_archE906ELNS1_3gpuE6ELNS1_3repE0EEENS1_30default_config_static_selectorELNS0_4arch9wavefront6targetE1EEEvT1_
                                        ; -- End function
	.section	.AMDGPU.csdata,"",@progbits
; Kernel info:
; codeLenInByte = 0
; NumSgprs: 4
; NumVgprs: 0
; NumAgprs: 0
; TotalNumVgprs: 0
; ScratchSize: 0
; MemoryBound: 0
; FloatMode: 240
; IeeeMode: 1
; LDSByteSize: 0 bytes/workgroup (compile time only)
; SGPRBlocks: 0
; VGPRBlocks: 0
; NumSGPRsForWavesPerEU: 4
; NumVGPRsForWavesPerEU: 1
; AccumOffset: 4
; Occupancy: 8
; WaveLimiterHint : 0
; COMPUTE_PGM_RSRC2:SCRATCH_EN: 0
; COMPUTE_PGM_RSRC2:USER_SGPR: 6
; COMPUTE_PGM_RSRC2:TRAP_HANDLER: 0
; COMPUTE_PGM_RSRC2:TGID_X_EN: 1
; COMPUTE_PGM_RSRC2:TGID_Y_EN: 0
; COMPUTE_PGM_RSRC2:TGID_Z_EN: 0
; COMPUTE_PGM_RSRC2:TIDIG_COMP_CNT: 0
; COMPUTE_PGM_RSRC3_GFX90A:ACCUM_OFFSET: 0
; COMPUTE_PGM_RSRC3_GFX90A:TG_SPLIT: 0
	.section	.text._ZN7rocprim17ROCPRIM_400000_NS6detail17trampoline_kernelINS0_14default_configENS1_20scan_config_selectorI3IntEEZZNS1_9scan_implILNS1_25lookback_scan_determinismE0ELb0ELb0ES3_N6thrust23THRUST_200600_302600_NS6detail15normal_iteratorINSA_10device_ptrIKS5_EEEENSC_INSD_IS5_EEEES5_NSA_4plusIvEES5_EEDaPvRmT3_T4_T5_mT6_P12ihipStream_tbENKUlT_T0_E_clISt17integral_constantIbLb0EESX_IbLb1EEEEDaST_SU_EUlST_E_NS1_11comp_targetILNS1_3genE10ELNS1_11target_archE1201ELNS1_3gpuE5ELNS1_3repE0EEENS1_30default_config_static_selectorELNS0_4arch9wavefront6targetE1EEEvT1_,"axG",@progbits,_ZN7rocprim17ROCPRIM_400000_NS6detail17trampoline_kernelINS0_14default_configENS1_20scan_config_selectorI3IntEEZZNS1_9scan_implILNS1_25lookback_scan_determinismE0ELb0ELb0ES3_N6thrust23THRUST_200600_302600_NS6detail15normal_iteratorINSA_10device_ptrIKS5_EEEENSC_INSD_IS5_EEEES5_NSA_4plusIvEES5_EEDaPvRmT3_T4_T5_mT6_P12ihipStream_tbENKUlT_T0_E_clISt17integral_constantIbLb0EESX_IbLb1EEEEDaST_SU_EUlST_E_NS1_11comp_targetILNS1_3genE10ELNS1_11target_archE1201ELNS1_3gpuE5ELNS1_3repE0EEENS1_30default_config_static_selectorELNS0_4arch9wavefront6targetE1EEEvT1_,comdat
	.protected	_ZN7rocprim17ROCPRIM_400000_NS6detail17trampoline_kernelINS0_14default_configENS1_20scan_config_selectorI3IntEEZZNS1_9scan_implILNS1_25lookback_scan_determinismE0ELb0ELb0ES3_N6thrust23THRUST_200600_302600_NS6detail15normal_iteratorINSA_10device_ptrIKS5_EEEENSC_INSD_IS5_EEEES5_NSA_4plusIvEES5_EEDaPvRmT3_T4_T5_mT6_P12ihipStream_tbENKUlT_T0_E_clISt17integral_constantIbLb0EESX_IbLb1EEEEDaST_SU_EUlST_E_NS1_11comp_targetILNS1_3genE10ELNS1_11target_archE1201ELNS1_3gpuE5ELNS1_3repE0EEENS1_30default_config_static_selectorELNS0_4arch9wavefront6targetE1EEEvT1_ ; -- Begin function _ZN7rocprim17ROCPRIM_400000_NS6detail17trampoline_kernelINS0_14default_configENS1_20scan_config_selectorI3IntEEZZNS1_9scan_implILNS1_25lookback_scan_determinismE0ELb0ELb0ES3_N6thrust23THRUST_200600_302600_NS6detail15normal_iteratorINSA_10device_ptrIKS5_EEEENSC_INSD_IS5_EEEES5_NSA_4plusIvEES5_EEDaPvRmT3_T4_T5_mT6_P12ihipStream_tbENKUlT_T0_E_clISt17integral_constantIbLb0EESX_IbLb1EEEEDaST_SU_EUlST_E_NS1_11comp_targetILNS1_3genE10ELNS1_11target_archE1201ELNS1_3gpuE5ELNS1_3repE0EEENS1_30default_config_static_selectorELNS0_4arch9wavefront6targetE1EEEvT1_
	.globl	_ZN7rocprim17ROCPRIM_400000_NS6detail17trampoline_kernelINS0_14default_configENS1_20scan_config_selectorI3IntEEZZNS1_9scan_implILNS1_25lookback_scan_determinismE0ELb0ELb0ES3_N6thrust23THRUST_200600_302600_NS6detail15normal_iteratorINSA_10device_ptrIKS5_EEEENSC_INSD_IS5_EEEES5_NSA_4plusIvEES5_EEDaPvRmT3_T4_T5_mT6_P12ihipStream_tbENKUlT_T0_E_clISt17integral_constantIbLb0EESX_IbLb1EEEEDaST_SU_EUlST_E_NS1_11comp_targetILNS1_3genE10ELNS1_11target_archE1201ELNS1_3gpuE5ELNS1_3repE0EEENS1_30default_config_static_selectorELNS0_4arch9wavefront6targetE1EEEvT1_
	.p2align	8
	.type	_ZN7rocprim17ROCPRIM_400000_NS6detail17trampoline_kernelINS0_14default_configENS1_20scan_config_selectorI3IntEEZZNS1_9scan_implILNS1_25lookback_scan_determinismE0ELb0ELb0ES3_N6thrust23THRUST_200600_302600_NS6detail15normal_iteratorINSA_10device_ptrIKS5_EEEENSC_INSD_IS5_EEEES5_NSA_4plusIvEES5_EEDaPvRmT3_T4_T5_mT6_P12ihipStream_tbENKUlT_T0_E_clISt17integral_constantIbLb0EESX_IbLb1EEEEDaST_SU_EUlST_E_NS1_11comp_targetILNS1_3genE10ELNS1_11target_archE1201ELNS1_3gpuE5ELNS1_3repE0EEENS1_30default_config_static_selectorELNS0_4arch9wavefront6targetE1EEEvT1_,@function
_ZN7rocprim17ROCPRIM_400000_NS6detail17trampoline_kernelINS0_14default_configENS1_20scan_config_selectorI3IntEEZZNS1_9scan_implILNS1_25lookback_scan_determinismE0ELb0ELb0ES3_N6thrust23THRUST_200600_302600_NS6detail15normal_iteratorINSA_10device_ptrIKS5_EEEENSC_INSD_IS5_EEEES5_NSA_4plusIvEES5_EEDaPvRmT3_T4_T5_mT6_P12ihipStream_tbENKUlT_T0_E_clISt17integral_constantIbLb0EESX_IbLb1EEEEDaST_SU_EUlST_E_NS1_11comp_targetILNS1_3genE10ELNS1_11target_archE1201ELNS1_3gpuE5ELNS1_3repE0EEENS1_30default_config_static_selectorELNS0_4arch9wavefront6targetE1EEEvT1_: ; @_ZN7rocprim17ROCPRIM_400000_NS6detail17trampoline_kernelINS0_14default_configENS1_20scan_config_selectorI3IntEEZZNS1_9scan_implILNS1_25lookback_scan_determinismE0ELb0ELb0ES3_N6thrust23THRUST_200600_302600_NS6detail15normal_iteratorINSA_10device_ptrIKS5_EEEENSC_INSD_IS5_EEEES5_NSA_4plusIvEES5_EEDaPvRmT3_T4_T5_mT6_P12ihipStream_tbENKUlT_T0_E_clISt17integral_constantIbLb0EESX_IbLb1EEEEDaST_SU_EUlST_E_NS1_11comp_targetILNS1_3genE10ELNS1_11target_archE1201ELNS1_3gpuE5ELNS1_3repE0EEENS1_30default_config_static_selectorELNS0_4arch9wavefront6targetE1EEEvT1_
; %bb.0:
	.section	.rodata,"a",@progbits
	.p2align	6, 0x0
	.amdhsa_kernel _ZN7rocprim17ROCPRIM_400000_NS6detail17trampoline_kernelINS0_14default_configENS1_20scan_config_selectorI3IntEEZZNS1_9scan_implILNS1_25lookback_scan_determinismE0ELb0ELb0ES3_N6thrust23THRUST_200600_302600_NS6detail15normal_iteratorINSA_10device_ptrIKS5_EEEENSC_INSD_IS5_EEEES5_NSA_4plusIvEES5_EEDaPvRmT3_T4_T5_mT6_P12ihipStream_tbENKUlT_T0_E_clISt17integral_constantIbLb0EESX_IbLb1EEEEDaST_SU_EUlST_E_NS1_11comp_targetILNS1_3genE10ELNS1_11target_archE1201ELNS1_3gpuE5ELNS1_3repE0EEENS1_30default_config_static_selectorELNS0_4arch9wavefront6targetE1EEEvT1_
		.amdhsa_group_segment_fixed_size 0
		.amdhsa_private_segment_fixed_size 0
		.amdhsa_kernarg_size 96
		.amdhsa_user_sgpr_count 6
		.amdhsa_user_sgpr_private_segment_buffer 1
		.amdhsa_user_sgpr_dispatch_ptr 0
		.amdhsa_user_sgpr_queue_ptr 0
		.amdhsa_user_sgpr_kernarg_segment_ptr 1
		.amdhsa_user_sgpr_dispatch_id 0
		.amdhsa_user_sgpr_flat_scratch_init 0
		.amdhsa_user_sgpr_kernarg_preload_length 0
		.amdhsa_user_sgpr_kernarg_preload_offset 0
		.amdhsa_user_sgpr_private_segment_size 0
		.amdhsa_uses_dynamic_stack 0
		.amdhsa_system_sgpr_private_segment_wavefront_offset 0
		.amdhsa_system_sgpr_workgroup_id_x 1
		.amdhsa_system_sgpr_workgroup_id_y 0
		.amdhsa_system_sgpr_workgroup_id_z 0
		.amdhsa_system_sgpr_workgroup_info 0
		.amdhsa_system_vgpr_workitem_id 0
		.amdhsa_next_free_vgpr 1
		.amdhsa_next_free_sgpr 0
		.amdhsa_accum_offset 4
		.amdhsa_reserve_vcc 0
		.amdhsa_reserve_flat_scratch 0
		.amdhsa_float_round_mode_32 0
		.amdhsa_float_round_mode_16_64 0
		.amdhsa_float_denorm_mode_32 3
		.amdhsa_float_denorm_mode_16_64 3
		.amdhsa_dx10_clamp 1
		.amdhsa_ieee_mode 1
		.amdhsa_fp16_overflow 0
		.amdhsa_tg_split 0
		.amdhsa_exception_fp_ieee_invalid_op 0
		.amdhsa_exception_fp_denorm_src 0
		.amdhsa_exception_fp_ieee_div_zero 0
		.amdhsa_exception_fp_ieee_overflow 0
		.amdhsa_exception_fp_ieee_underflow 0
		.amdhsa_exception_fp_ieee_inexact 0
		.amdhsa_exception_int_div_zero 0
	.end_amdhsa_kernel
	.section	.text._ZN7rocprim17ROCPRIM_400000_NS6detail17trampoline_kernelINS0_14default_configENS1_20scan_config_selectorI3IntEEZZNS1_9scan_implILNS1_25lookback_scan_determinismE0ELb0ELb0ES3_N6thrust23THRUST_200600_302600_NS6detail15normal_iteratorINSA_10device_ptrIKS5_EEEENSC_INSD_IS5_EEEES5_NSA_4plusIvEES5_EEDaPvRmT3_T4_T5_mT6_P12ihipStream_tbENKUlT_T0_E_clISt17integral_constantIbLb0EESX_IbLb1EEEEDaST_SU_EUlST_E_NS1_11comp_targetILNS1_3genE10ELNS1_11target_archE1201ELNS1_3gpuE5ELNS1_3repE0EEENS1_30default_config_static_selectorELNS0_4arch9wavefront6targetE1EEEvT1_,"axG",@progbits,_ZN7rocprim17ROCPRIM_400000_NS6detail17trampoline_kernelINS0_14default_configENS1_20scan_config_selectorI3IntEEZZNS1_9scan_implILNS1_25lookback_scan_determinismE0ELb0ELb0ES3_N6thrust23THRUST_200600_302600_NS6detail15normal_iteratorINSA_10device_ptrIKS5_EEEENSC_INSD_IS5_EEEES5_NSA_4plusIvEES5_EEDaPvRmT3_T4_T5_mT6_P12ihipStream_tbENKUlT_T0_E_clISt17integral_constantIbLb0EESX_IbLb1EEEEDaST_SU_EUlST_E_NS1_11comp_targetILNS1_3genE10ELNS1_11target_archE1201ELNS1_3gpuE5ELNS1_3repE0EEENS1_30default_config_static_selectorELNS0_4arch9wavefront6targetE1EEEvT1_,comdat
.Lfunc_end6967:
	.size	_ZN7rocprim17ROCPRIM_400000_NS6detail17trampoline_kernelINS0_14default_configENS1_20scan_config_selectorI3IntEEZZNS1_9scan_implILNS1_25lookback_scan_determinismE0ELb0ELb0ES3_N6thrust23THRUST_200600_302600_NS6detail15normal_iteratorINSA_10device_ptrIKS5_EEEENSC_INSD_IS5_EEEES5_NSA_4plusIvEES5_EEDaPvRmT3_T4_T5_mT6_P12ihipStream_tbENKUlT_T0_E_clISt17integral_constantIbLb0EESX_IbLb1EEEEDaST_SU_EUlST_E_NS1_11comp_targetILNS1_3genE10ELNS1_11target_archE1201ELNS1_3gpuE5ELNS1_3repE0EEENS1_30default_config_static_selectorELNS0_4arch9wavefront6targetE1EEEvT1_, .Lfunc_end6967-_ZN7rocprim17ROCPRIM_400000_NS6detail17trampoline_kernelINS0_14default_configENS1_20scan_config_selectorI3IntEEZZNS1_9scan_implILNS1_25lookback_scan_determinismE0ELb0ELb0ES3_N6thrust23THRUST_200600_302600_NS6detail15normal_iteratorINSA_10device_ptrIKS5_EEEENSC_INSD_IS5_EEEES5_NSA_4plusIvEES5_EEDaPvRmT3_T4_T5_mT6_P12ihipStream_tbENKUlT_T0_E_clISt17integral_constantIbLb0EESX_IbLb1EEEEDaST_SU_EUlST_E_NS1_11comp_targetILNS1_3genE10ELNS1_11target_archE1201ELNS1_3gpuE5ELNS1_3repE0EEENS1_30default_config_static_selectorELNS0_4arch9wavefront6targetE1EEEvT1_
                                        ; -- End function
	.section	.AMDGPU.csdata,"",@progbits
; Kernel info:
; codeLenInByte = 0
; NumSgprs: 4
; NumVgprs: 0
; NumAgprs: 0
; TotalNumVgprs: 0
; ScratchSize: 0
; MemoryBound: 0
; FloatMode: 240
; IeeeMode: 1
; LDSByteSize: 0 bytes/workgroup (compile time only)
; SGPRBlocks: 0
; VGPRBlocks: 0
; NumSGPRsForWavesPerEU: 4
; NumVGPRsForWavesPerEU: 1
; AccumOffset: 4
; Occupancy: 8
; WaveLimiterHint : 0
; COMPUTE_PGM_RSRC2:SCRATCH_EN: 0
; COMPUTE_PGM_RSRC2:USER_SGPR: 6
; COMPUTE_PGM_RSRC2:TRAP_HANDLER: 0
; COMPUTE_PGM_RSRC2:TGID_X_EN: 1
; COMPUTE_PGM_RSRC2:TGID_Y_EN: 0
; COMPUTE_PGM_RSRC2:TGID_Z_EN: 0
; COMPUTE_PGM_RSRC2:TIDIG_COMP_CNT: 0
; COMPUTE_PGM_RSRC3_GFX90A:ACCUM_OFFSET: 0
; COMPUTE_PGM_RSRC3_GFX90A:TG_SPLIT: 0
	.section	.text._ZN7rocprim17ROCPRIM_400000_NS6detail17trampoline_kernelINS0_14default_configENS1_20scan_config_selectorI3IntEEZZNS1_9scan_implILNS1_25lookback_scan_determinismE0ELb0ELb0ES3_N6thrust23THRUST_200600_302600_NS6detail15normal_iteratorINSA_10device_ptrIKS5_EEEENSC_INSD_IS5_EEEES5_NSA_4plusIvEES5_EEDaPvRmT3_T4_T5_mT6_P12ihipStream_tbENKUlT_T0_E_clISt17integral_constantIbLb0EESX_IbLb1EEEEDaST_SU_EUlST_E_NS1_11comp_targetILNS1_3genE10ELNS1_11target_archE1200ELNS1_3gpuE4ELNS1_3repE0EEENS1_30default_config_static_selectorELNS0_4arch9wavefront6targetE1EEEvT1_,"axG",@progbits,_ZN7rocprim17ROCPRIM_400000_NS6detail17trampoline_kernelINS0_14default_configENS1_20scan_config_selectorI3IntEEZZNS1_9scan_implILNS1_25lookback_scan_determinismE0ELb0ELb0ES3_N6thrust23THRUST_200600_302600_NS6detail15normal_iteratorINSA_10device_ptrIKS5_EEEENSC_INSD_IS5_EEEES5_NSA_4plusIvEES5_EEDaPvRmT3_T4_T5_mT6_P12ihipStream_tbENKUlT_T0_E_clISt17integral_constantIbLb0EESX_IbLb1EEEEDaST_SU_EUlST_E_NS1_11comp_targetILNS1_3genE10ELNS1_11target_archE1200ELNS1_3gpuE4ELNS1_3repE0EEENS1_30default_config_static_selectorELNS0_4arch9wavefront6targetE1EEEvT1_,comdat
	.protected	_ZN7rocprim17ROCPRIM_400000_NS6detail17trampoline_kernelINS0_14default_configENS1_20scan_config_selectorI3IntEEZZNS1_9scan_implILNS1_25lookback_scan_determinismE0ELb0ELb0ES3_N6thrust23THRUST_200600_302600_NS6detail15normal_iteratorINSA_10device_ptrIKS5_EEEENSC_INSD_IS5_EEEES5_NSA_4plusIvEES5_EEDaPvRmT3_T4_T5_mT6_P12ihipStream_tbENKUlT_T0_E_clISt17integral_constantIbLb0EESX_IbLb1EEEEDaST_SU_EUlST_E_NS1_11comp_targetILNS1_3genE10ELNS1_11target_archE1200ELNS1_3gpuE4ELNS1_3repE0EEENS1_30default_config_static_selectorELNS0_4arch9wavefront6targetE1EEEvT1_ ; -- Begin function _ZN7rocprim17ROCPRIM_400000_NS6detail17trampoline_kernelINS0_14default_configENS1_20scan_config_selectorI3IntEEZZNS1_9scan_implILNS1_25lookback_scan_determinismE0ELb0ELb0ES3_N6thrust23THRUST_200600_302600_NS6detail15normal_iteratorINSA_10device_ptrIKS5_EEEENSC_INSD_IS5_EEEES5_NSA_4plusIvEES5_EEDaPvRmT3_T4_T5_mT6_P12ihipStream_tbENKUlT_T0_E_clISt17integral_constantIbLb0EESX_IbLb1EEEEDaST_SU_EUlST_E_NS1_11comp_targetILNS1_3genE10ELNS1_11target_archE1200ELNS1_3gpuE4ELNS1_3repE0EEENS1_30default_config_static_selectorELNS0_4arch9wavefront6targetE1EEEvT1_
	.globl	_ZN7rocprim17ROCPRIM_400000_NS6detail17trampoline_kernelINS0_14default_configENS1_20scan_config_selectorI3IntEEZZNS1_9scan_implILNS1_25lookback_scan_determinismE0ELb0ELb0ES3_N6thrust23THRUST_200600_302600_NS6detail15normal_iteratorINSA_10device_ptrIKS5_EEEENSC_INSD_IS5_EEEES5_NSA_4plusIvEES5_EEDaPvRmT3_T4_T5_mT6_P12ihipStream_tbENKUlT_T0_E_clISt17integral_constantIbLb0EESX_IbLb1EEEEDaST_SU_EUlST_E_NS1_11comp_targetILNS1_3genE10ELNS1_11target_archE1200ELNS1_3gpuE4ELNS1_3repE0EEENS1_30default_config_static_selectorELNS0_4arch9wavefront6targetE1EEEvT1_
	.p2align	8
	.type	_ZN7rocprim17ROCPRIM_400000_NS6detail17trampoline_kernelINS0_14default_configENS1_20scan_config_selectorI3IntEEZZNS1_9scan_implILNS1_25lookback_scan_determinismE0ELb0ELb0ES3_N6thrust23THRUST_200600_302600_NS6detail15normal_iteratorINSA_10device_ptrIKS5_EEEENSC_INSD_IS5_EEEES5_NSA_4plusIvEES5_EEDaPvRmT3_T4_T5_mT6_P12ihipStream_tbENKUlT_T0_E_clISt17integral_constantIbLb0EESX_IbLb1EEEEDaST_SU_EUlST_E_NS1_11comp_targetILNS1_3genE10ELNS1_11target_archE1200ELNS1_3gpuE4ELNS1_3repE0EEENS1_30default_config_static_selectorELNS0_4arch9wavefront6targetE1EEEvT1_,@function
_ZN7rocprim17ROCPRIM_400000_NS6detail17trampoline_kernelINS0_14default_configENS1_20scan_config_selectorI3IntEEZZNS1_9scan_implILNS1_25lookback_scan_determinismE0ELb0ELb0ES3_N6thrust23THRUST_200600_302600_NS6detail15normal_iteratorINSA_10device_ptrIKS5_EEEENSC_INSD_IS5_EEEES5_NSA_4plusIvEES5_EEDaPvRmT3_T4_T5_mT6_P12ihipStream_tbENKUlT_T0_E_clISt17integral_constantIbLb0EESX_IbLb1EEEEDaST_SU_EUlST_E_NS1_11comp_targetILNS1_3genE10ELNS1_11target_archE1200ELNS1_3gpuE4ELNS1_3repE0EEENS1_30default_config_static_selectorELNS0_4arch9wavefront6targetE1EEEvT1_: ; @_ZN7rocprim17ROCPRIM_400000_NS6detail17trampoline_kernelINS0_14default_configENS1_20scan_config_selectorI3IntEEZZNS1_9scan_implILNS1_25lookback_scan_determinismE0ELb0ELb0ES3_N6thrust23THRUST_200600_302600_NS6detail15normal_iteratorINSA_10device_ptrIKS5_EEEENSC_INSD_IS5_EEEES5_NSA_4plusIvEES5_EEDaPvRmT3_T4_T5_mT6_P12ihipStream_tbENKUlT_T0_E_clISt17integral_constantIbLb0EESX_IbLb1EEEEDaST_SU_EUlST_E_NS1_11comp_targetILNS1_3genE10ELNS1_11target_archE1200ELNS1_3gpuE4ELNS1_3repE0EEENS1_30default_config_static_selectorELNS0_4arch9wavefront6targetE1EEEvT1_
; %bb.0:
	.section	.rodata,"a",@progbits
	.p2align	6, 0x0
	.amdhsa_kernel _ZN7rocprim17ROCPRIM_400000_NS6detail17trampoline_kernelINS0_14default_configENS1_20scan_config_selectorI3IntEEZZNS1_9scan_implILNS1_25lookback_scan_determinismE0ELb0ELb0ES3_N6thrust23THRUST_200600_302600_NS6detail15normal_iteratorINSA_10device_ptrIKS5_EEEENSC_INSD_IS5_EEEES5_NSA_4plusIvEES5_EEDaPvRmT3_T4_T5_mT6_P12ihipStream_tbENKUlT_T0_E_clISt17integral_constantIbLb0EESX_IbLb1EEEEDaST_SU_EUlST_E_NS1_11comp_targetILNS1_3genE10ELNS1_11target_archE1200ELNS1_3gpuE4ELNS1_3repE0EEENS1_30default_config_static_selectorELNS0_4arch9wavefront6targetE1EEEvT1_
		.amdhsa_group_segment_fixed_size 0
		.amdhsa_private_segment_fixed_size 0
		.amdhsa_kernarg_size 96
		.amdhsa_user_sgpr_count 6
		.amdhsa_user_sgpr_private_segment_buffer 1
		.amdhsa_user_sgpr_dispatch_ptr 0
		.amdhsa_user_sgpr_queue_ptr 0
		.amdhsa_user_sgpr_kernarg_segment_ptr 1
		.amdhsa_user_sgpr_dispatch_id 0
		.amdhsa_user_sgpr_flat_scratch_init 0
		.amdhsa_user_sgpr_kernarg_preload_length 0
		.amdhsa_user_sgpr_kernarg_preload_offset 0
		.amdhsa_user_sgpr_private_segment_size 0
		.amdhsa_uses_dynamic_stack 0
		.amdhsa_system_sgpr_private_segment_wavefront_offset 0
		.amdhsa_system_sgpr_workgroup_id_x 1
		.amdhsa_system_sgpr_workgroup_id_y 0
		.amdhsa_system_sgpr_workgroup_id_z 0
		.amdhsa_system_sgpr_workgroup_info 0
		.amdhsa_system_vgpr_workitem_id 0
		.amdhsa_next_free_vgpr 1
		.amdhsa_next_free_sgpr 0
		.amdhsa_accum_offset 4
		.amdhsa_reserve_vcc 0
		.amdhsa_reserve_flat_scratch 0
		.amdhsa_float_round_mode_32 0
		.amdhsa_float_round_mode_16_64 0
		.amdhsa_float_denorm_mode_32 3
		.amdhsa_float_denorm_mode_16_64 3
		.amdhsa_dx10_clamp 1
		.amdhsa_ieee_mode 1
		.amdhsa_fp16_overflow 0
		.amdhsa_tg_split 0
		.amdhsa_exception_fp_ieee_invalid_op 0
		.amdhsa_exception_fp_denorm_src 0
		.amdhsa_exception_fp_ieee_div_zero 0
		.amdhsa_exception_fp_ieee_overflow 0
		.amdhsa_exception_fp_ieee_underflow 0
		.amdhsa_exception_fp_ieee_inexact 0
		.amdhsa_exception_int_div_zero 0
	.end_amdhsa_kernel
	.section	.text._ZN7rocprim17ROCPRIM_400000_NS6detail17trampoline_kernelINS0_14default_configENS1_20scan_config_selectorI3IntEEZZNS1_9scan_implILNS1_25lookback_scan_determinismE0ELb0ELb0ES3_N6thrust23THRUST_200600_302600_NS6detail15normal_iteratorINSA_10device_ptrIKS5_EEEENSC_INSD_IS5_EEEES5_NSA_4plusIvEES5_EEDaPvRmT3_T4_T5_mT6_P12ihipStream_tbENKUlT_T0_E_clISt17integral_constantIbLb0EESX_IbLb1EEEEDaST_SU_EUlST_E_NS1_11comp_targetILNS1_3genE10ELNS1_11target_archE1200ELNS1_3gpuE4ELNS1_3repE0EEENS1_30default_config_static_selectorELNS0_4arch9wavefront6targetE1EEEvT1_,"axG",@progbits,_ZN7rocprim17ROCPRIM_400000_NS6detail17trampoline_kernelINS0_14default_configENS1_20scan_config_selectorI3IntEEZZNS1_9scan_implILNS1_25lookback_scan_determinismE0ELb0ELb0ES3_N6thrust23THRUST_200600_302600_NS6detail15normal_iteratorINSA_10device_ptrIKS5_EEEENSC_INSD_IS5_EEEES5_NSA_4plusIvEES5_EEDaPvRmT3_T4_T5_mT6_P12ihipStream_tbENKUlT_T0_E_clISt17integral_constantIbLb0EESX_IbLb1EEEEDaST_SU_EUlST_E_NS1_11comp_targetILNS1_3genE10ELNS1_11target_archE1200ELNS1_3gpuE4ELNS1_3repE0EEENS1_30default_config_static_selectorELNS0_4arch9wavefront6targetE1EEEvT1_,comdat
.Lfunc_end6968:
	.size	_ZN7rocprim17ROCPRIM_400000_NS6detail17trampoline_kernelINS0_14default_configENS1_20scan_config_selectorI3IntEEZZNS1_9scan_implILNS1_25lookback_scan_determinismE0ELb0ELb0ES3_N6thrust23THRUST_200600_302600_NS6detail15normal_iteratorINSA_10device_ptrIKS5_EEEENSC_INSD_IS5_EEEES5_NSA_4plusIvEES5_EEDaPvRmT3_T4_T5_mT6_P12ihipStream_tbENKUlT_T0_E_clISt17integral_constantIbLb0EESX_IbLb1EEEEDaST_SU_EUlST_E_NS1_11comp_targetILNS1_3genE10ELNS1_11target_archE1200ELNS1_3gpuE4ELNS1_3repE0EEENS1_30default_config_static_selectorELNS0_4arch9wavefront6targetE1EEEvT1_, .Lfunc_end6968-_ZN7rocprim17ROCPRIM_400000_NS6detail17trampoline_kernelINS0_14default_configENS1_20scan_config_selectorI3IntEEZZNS1_9scan_implILNS1_25lookback_scan_determinismE0ELb0ELb0ES3_N6thrust23THRUST_200600_302600_NS6detail15normal_iteratorINSA_10device_ptrIKS5_EEEENSC_INSD_IS5_EEEES5_NSA_4plusIvEES5_EEDaPvRmT3_T4_T5_mT6_P12ihipStream_tbENKUlT_T0_E_clISt17integral_constantIbLb0EESX_IbLb1EEEEDaST_SU_EUlST_E_NS1_11comp_targetILNS1_3genE10ELNS1_11target_archE1200ELNS1_3gpuE4ELNS1_3repE0EEENS1_30default_config_static_selectorELNS0_4arch9wavefront6targetE1EEEvT1_
                                        ; -- End function
	.section	.AMDGPU.csdata,"",@progbits
; Kernel info:
; codeLenInByte = 0
; NumSgprs: 4
; NumVgprs: 0
; NumAgprs: 0
; TotalNumVgprs: 0
; ScratchSize: 0
; MemoryBound: 0
; FloatMode: 240
; IeeeMode: 1
; LDSByteSize: 0 bytes/workgroup (compile time only)
; SGPRBlocks: 0
; VGPRBlocks: 0
; NumSGPRsForWavesPerEU: 4
; NumVGPRsForWavesPerEU: 1
; AccumOffset: 4
; Occupancy: 8
; WaveLimiterHint : 0
; COMPUTE_PGM_RSRC2:SCRATCH_EN: 0
; COMPUTE_PGM_RSRC2:USER_SGPR: 6
; COMPUTE_PGM_RSRC2:TRAP_HANDLER: 0
; COMPUTE_PGM_RSRC2:TGID_X_EN: 1
; COMPUTE_PGM_RSRC2:TGID_Y_EN: 0
; COMPUTE_PGM_RSRC2:TGID_Z_EN: 0
; COMPUTE_PGM_RSRC2:TIDIG_COMP_CNT: 0
; COMPUTE_PGM_RSRC3_GFX90A:ACCUM_OFFSET: 0
; COMPUTE_PGM_RSRC3_GFX90A:TG_SPLIT: 0
	.section	.text._ZN7rocprim17ROCPRIM_400000_NS6detail17trampoline_kernelINS0_14default_configENS1_20scan_config_selectorI3IntEEZZNS1_9scan_implILNS1_25lookback_scan_determinismE0ELb0ELb0ES3_N6thrust23THRUST_200600_302600_NS6detail15normal_iteratorINSA_10device_ptrIKS5_EEEENSC_INSD_IS5_EEEES5_NSA_4plusIvEES5_EEDaPvRmT3_T4_T5_mT6_P12ihipStream_tbENKUlT_T0_E_clISt17integral_constantIbLb0EESX_IbLb1EEEEDaST_SU_EUlST_E_NS1_11comp_targetILNS1_3genE9ELNS1_11target_archE1100ELNS1_3gpuE3ELNS1_3repE0EEENS1_30default_config_static_selectorELNS0_4arch9wavefront6targetE1EEEvT1_,"axG",@progbits,_ZN7rocprim17ROCPRIM_400000_NS6detail17trampoline_kernelINS0_14default_configENS1_20scan_config_selectorI3IntEEZZNS1_9scan_implILNS1_25lookback_scan_determinismE0ELb0ELb0ES3_N6thrust23THRUST_200600_302600_NS6detail15normal_iteratorINSA_10device_ptrIKS5_EEEENSC_INSD_IS5_EEEES5_NSA_4plusIvEES5_EEDaPvRmT3_T4_T5_mT6_P12ihipStream_tbENKUlT_T0_E_clISt17integral_constantIbLb0EESX_IbLb1EEEEDaST_SU_EUlST_E_NS1_11comp_targetILNS1_3genE9ELNS1_11target_archE1100ELNS1_3gpuE3ELNS1_3repE0EEENS1_30default_config_static_selectorELNS0_4arch9wavefront6targetE1EEEvT1_,comdat
	.protected	_ZN7rocprim17ROCPRIM_400000_NS6detail17trampoline_kernelINS0_14default_configENS1_20scan_config_selectorI3IntEEZZNS1_9scan_implILNS1_25lookback_scan_determinismE0ELb0ELb0ES3_N6thrust23THRUST_200600_302600_NS6detail15normal_iteratorINSA_10device_ptrIKS5_EEEENSC_INSD_IS5_EEEES5_NSA_4plusIvEES5_EEDaPvRmT3_T4_T5_mT6_P12ihipStream_tbENKUlT_T0_E_clISt17integral_constantIbLb0EESX_IbLb1EEEEDaST_SU_EUlST_E_NS1_11comp_targetILNS1_3genE9ELNS1_11target_archE1100ELNS1_3gpuE3ELNS1_3repE0EEENS1_30default_config_static_selectorELNS0_4arch9wavefront6targetE1EEEvT1_ ; -- Begin function _ZN7rocprim17ROCPRIM_400000_NS6detail17trampoline_kernelINS0_14default_configENS1_20scan_config_selectorI3IntEEZZNS1_9scan_implILNS1_25lookback_scan_determinismE0ELb0ELb0ES3_N6thrust23THRUST_200600_302600_NS6detail15normal_iteratorINSA_10device_ptrIKS5_EEEENSC_INSD_IS5_EEEES5_NSA_4plusIvEES5_EEDaPvRmT3_T4_T5_mT6_P12ihipStream_tbENKUlT_T0_E_clISt17integral_constantIbLb0EESX_IbLb1EEEEDaST_SU_EUlST_E_NS1_11comp_targetILNS1_3genE9ELNS1_11target_archE1100ELNS1_3gpuE3ELNS1_3repE0EEENS1_30default_config_static_selectorELNS0_4arch9wavefront6targetE1EEEvT1_
	.globl	_ZN7rocprim17ROCPRIM_400000_NS6detail17trampoline_kernelINS0_14default_configENS1_20scan_config_selectorI3IntEEZZNS1_9scan_implILNS1_25lookback_scan_determinismE0ELb0ELb0ES3_N6thrust23THRUST_200600_302600_NS6detail15normal_iteratorINSA_10device_ptrIKS5_EEEENSC_INSD_IS5_EEEES5_NSA_4plusIvEES5_EEDaPvRmT3_T4_T5_mT6_P12ihipStream_tbENKUlT_T0_E_clISt17integral_constantIbLb0EESX_IbLb1EEEEDaST_SU_EUlST_E_NS1_11comp_targetILNS1_3genE9ELNS1_11target_archE1100ELNS1_3gpuE3ELNS1_3repE0EEENS1_30default_config_static_selectorELNS0_4arch9wavefront6targetE1EEEvT1_
	.p2align	8
	.type	_ZN7rocprim17ROCPRIM_400000_NS6detail17trampoline_kernelINS0_14default_configENS1_20scan_config_selectorI3IntEEZZNS1_9scan_implILNS1_25lookback_scan_determinismE0ELb0ELb0ES3_N6thrust23THRUST_200600_302600_NS6detail15normal_iteratorINSA_10device_ptrIKS5_EEEENSC_INSD_IS5_EEEES5_NSA_4plusIvEES5_EEDaPvRmT3_T4_T5_mT6_P12ihipStream_tbENKUlT_T0_E_clISt17integral_constantIbLb0EESX_IbLb1EEEEDaST_SU_EUlST_E_NS1_11comp_targetILNS1_3genE9ELNS1_11target_archE1100ELNS1_3gpuE3ELNS1_3repE0EEENS1_30default_config_static_selectorELNS0_4arch9wavefront6targetE1EEEvT1_,@function
_ZN7rocprim17ROCPRIM_400000_NS6detail17trampoline_kernelINS0_14default_configENS1_20scan_config_selectorI3IntEEZZNS1_9scan_implILNS1_25lookback_scan_determinismE0ELb0ELb0ES3_N6thrust23THRUST_200600_302600_NS6detail15normal_iteratorINSA_10device_ptrIKS5_EEEENSC_INSD_IS5_EEEES5_NSA_4plusIvEES5_EEDaPvRmT3_T4_T5_mT6_P12ihipStream_tbENKUlT_T0_E_clISt17integral_constantIbLb0EESX_IbLb1EEEEDaST_SU_EUlST_E_NS1_11comp_targetILNS1_3genE9ELNS1_11target_archE1100ELNS1_3gpuE3ELNS1_3repE0EEENS1_30default_config_static_selectorELNS0_4arch9wavefront6targetE1EEEvT1_: ; @_ZN7rocprim17ROCPRIM_400000_NS6detail17trampoline_kernelINS0_14default_configENS1_20scan_config_selectorI3IntEEZZNS1_9scan_implILNS1_25lookback_scan_determinismE0ELb0ELb0ES3_N6thrust23THRUST_200600_302600_NS6detail15normal_iteratorINSA_10device_ptrIKS5_EEEENSC_INSD_IS5_EEEES5_NSA_4plusIvEES5_EEDaPvRmT3_T4_T5_mT6_P12ihipStream_tbENKUlT_T0_E_clISt17integral_constantIbLb0EESX_IbLb1EEEEDaST_SU_EUlST_E_NS1_11comp_targetILNS1_3genE9ELNS1_11target_archE1100ELNS1_3gpuE3ELNS1_3repE0EEENS1_30default_config_static_selectorELNS0_4arch9wavefront6targetE1EEEvT1_
; %bb.0:
	.section	.rodata,"a",@progbits
	.p2align	6, 0x0
	.amdhsa_kernel _ZN7rocprim17ROCPRIM_400000_NS6detail17trampoline_kernelINS0_14default_configENS1_20scan_config_selectorI3IntEEZZNS1_9scan_implILNS1_25lookback_scan_determinismE0ELb0ELb0ES3_N6thrust23THRUST_200600_302600_NS6detail15normal_iteratorINSA_10device_ptrIKS5_EEEENSC_INSD_IS5_EEEES5_NSA_4plusIvEES5_EEDaPvRmT3_T4_T5_mT6_P12ihipStream_tbENKUlT_T0_E_clISt17integral_constantIbLb0EESX_IbLb1EEEEDaST_SU_EUlST_E_NS1_11comp_targetILNS1_3genE9ELNS1_11target_archE1100ELNS1_3gpuE3ELNS1_3repE0EEENS1_30default_config_static_selectorELNS0_4arch9wavefront6targetE1EEEvT1_
		.amdhsa_group_segment_fixed_size 0
		.amdhsa_private_segment_fixed_size 0
		.amdhsa_kernarg_size 96
		.amdhsa_user_sgpr_count 6
		.amdhsa_user_sgpr_private_segment_buffer 1
		.amdhsa_user_sgpr_dispatch_ptr 0
		.amdhsa_user_sgpr_queue_ptr 0
		.amdhsa_user_sgpr_kernarg_segment_ptr 1
		.amdhsa_user_sgpr_dispatch_id 0
		.amdhsa_user_sgpr_flat_scratch_init 0
		.amdhsa_user_sgpr_kernarg_preload_length 0
		.amdhsa_user_sgpr_kernarg_preload_offset 0
		.amdhsa_user_sgpr_private_segment_size 0
		.amdhsa_uses_dynamic_stack 0
		.amdhsa_system_sgpr_private_segment_wavefront_offset 0
		.amdhsa_system_sgpr_workgroup_id_x 1
		.amdhsa_system_sgpr_workgroup_id_y 0
		.amdhsa_system_sgpr_workgroup_id_z 0
		.amdhsa_system_sgpr_workgroup_info 0
		.amdhsa_system_vgpr_workitem_id 0
		.amdhsa_next_free_vgpr 1
		.amdhsa_next_free_sgpr 0
		.amdhsa_accum_offset 4
		.amdhsa_reserve_vcc 0
		.amdhsa_reserve_flat_scratch 0
		.amdhsa_float_round_mode_32 0
		.amdhsa_float_round_mode_16_64 0
		.amdhsa_float_denorm_mode_32 3
		.amdhsa_float_denorm_mode_16_64 3
		.amdhsa_dx10_clamp 1
		.amdhsa_ieee_mode 1
		.amdhsa_fp16_overflow 0
		.amdhsa_tg_split 0
		.amdhsa_exception_fp_ieee_invalid_op 0
		.amdhsa_exception_fp_denorm_src 0
		.amdhsa_exception_fp_ieee_div_zero 0
		.amdhsa_exception_fp_ieee_overflow 0
		.amdhsa_exception_fp_ieee_underflow 0
		.amdhsa_exception_fp_ieee_inexact 0
		.amdhsa_exception_int_div_zero 0
	.end_amdhsa_kernel
	.section	.text._ZN7rocprim17ROCPRIM_400000_NS6detail17trampoline_kernelINS0_14default_configENS1_20scan_config_selectorI3IntEEZZNS1_9scan_implILNS1_25lookback_scan_determinismE0ELb0ELb0ES3_N6thrust23THRUST_200600_302600_NS6detail15normal_iteratorINSA_10device_ptrIKS5_EEEENSC_INSD_IS5_EEEES5_NSA_4plusIvEES5_EEDaPvRmT3_T4_T5_mT6_P12ihipStream_tbENKUlT_T0_E_clISt17integral_constantIbLb0EESX_IbLb1EEEEDaST_SU_EUlST_E_NS1_11comp_targetILNS1_3genE9ELNS1_11target_archE1100ELNS1_3gpuE3ELNS1_3repE0EEENS1_30default_config_static_selectorELNS0_4arch9wavefront6targetE1EEEvT1_,"axG",@progbits,_ZN7rocprim17ROCPRIM_400000_NS6detail17trampoline_kernelINS0_14default_configENS1_20scan_config_selectorI3IntEEZZNS1_9scan_implILNS1_25lookback_scan_determinismE0ELb0ELb0ES3_N6thrust23THRUST_200600_302600_NS6detail15normal_iteratorINSA_10device_ptrIKS5_EEEENSC_INSD_IS5_EEEES5_NSA_4plusIvEES5_EEDaPvRmT3_T4_T5_mT6_P12ihipStream_tbENKUlT_T0_E_clISt17integral_constantIbLb0EESX_IbLb1EEEEDaST_SU_EUlST_E_NS1_11comp_targetILNS1_3genE9ELNS1_11target_archE1100ELNS1_3gpuE3ELNS1_3repE0EEENS1_30default_config_static_selectorELNS0_4arch9wavefront6targetE1EEEvT1_,comdat
.Lfunc_end6969:
	.size	_ZN7rocprim17ROCPRIM_400000_NS6detail17trampoline_kernelINS0_14default_configENS1_20scan_config_selectorI3IntEEZZNS1_9scan_implILNS1_25lookback_scan_determinismE0ELb0ELb0ES3_N6thrust23THRUST_200600_302600_NS6detail15normal_iteratorINSA_10device_ptrIKS5_EEEENSC_INSD_IS5_EEEES5_NSA_4plusIvEES5_EEDaPvRmT3_T4_T5_mT6_P12ihipStream_tbENKUlT_T0_E_clISt17integral_constantIbLb0EESX_IbLb1EEEEDaST_SU_EUlST_E_NS1_11comp_targetILNS1_3genE9ELNS1_11target_archE1100ELNS1_3gpuE3ELNS1_3repE0EEENS1_30default_config_static_selectorELNS0_4arch9wavefront6targetE1EEEvT1_, .Lfunc_end6969-_ZN7rocprim17ROCPRIM_400000_NS6detail17trampoline_kernelINS0_14default_configENS1_20scan_config_selectorI3IntEEZZNS1_9scan_implILNS1_25lookback_scan_determinismE0ELb0ELb0ES3_N6thrust23THRUST_200600_302600_NS6detail15normal_iteratorINSA_10device_ptrIKS5_EEEENSC_INSD_IS5_EEEES5_NSA_4plusIvEES5_EEDaPvRmT3_T4_T5_mT6_P12ihipStream_tbENKUlT_T0_E_clISt17integral_constantIbLb0EESX_IbLb1EEEEDaST_SU_EUlST_E_NS1_11comp_targetILNS1_3genE9ELNS1_11target_archE1100ELNS1_3gpuE3ELNS1_3repE0EEENS1_30default_config_static_selectorELNS0_4arch9wavefront6targetE1EEEvT1_
                                        ; -- End function
	.section	.AMDGPU.csdata,"",@progbits
; Kernel info:
; codeLenInByte = 0
; NumSgprs: 4
; NumVgprs: 0
; NumAgprs: 0
; TotalNumVgprs: 0
; ScratchSize: 0
; MemoryBound: 0
; FloatMode: 240
; IeeeMode: 1
; LDSByteSize: 0 bytes/workgroup (compile time only)
; SGPRBlocks: 0
; VGPRBlocks: 0
; NumSGPRsForWavesPerEU: 4
; NumVGPRsForWavesPerEU: 1
; AccumOffset: 4
; Occupancy: 8
; WaveLimiterHint : 0
; COMPUTE_PGM_RSRC2:SCRATCH_EN: 0
; COMPUTE_PGM_RSRC2:USER_SGPR: 6
; COMPUTE_PGM_RSRC2:TRAP_HANDLER: 0
; COMPUTE_PGM_RSRC2:TGID_X_EN: 1
; COMPUTE_PGM_RSRC2:TGID_Y_EN: 0
; COMPUTE_PGM_RSRC2:TGID_Z_EN: 0
; COMPUTE_PGM_RSRC2:TIDIG_COMP_CNT: 0
; COMPUTE_PGM_RSRC3_GFX90A:ACCUM_OFFSET: 0
; COMPUTE_PGM_RSRC3_GFX90A:TG_SPLIT: 0
	.section	.text._ZN7rocprim17ROCPRIM_400000_NS6detail17trampoline_kernelINS0_14default_configENS1_20scan_config_selectorI3IntEEZZNS1_9scan_implILNS1_25lookback_scan_determinismE0ELb0ELb0ES3_N6thrust23THRUST_200600_302600_NS6detail15normal_iteratorINSA_10device_ptrIKS5_EEEENSC_INSD_IS5_EEEES5_NSA_4plusIvEES5_EEDaPvRmT3_T4_T5_mT6_P12ihipStream_tbENKUlT_T0_E_clISt17integral_constantIbLb0EESX_IbLb1EEEEDaST_SU_EUlST_E_NS1_11comp_targetILNS1_3genE8ELNS1_11target_archE1030ELNS1_3gpuE2ELNS1_3repE0EEENS1_30default_config_static_selectorELNS0_4arch9wavefront6targetE1EEEvT1_,"axG",@progbits,_ZN7rocprim17ROCPRIM_400000_NS6detail17trampoline_kernelINS0_14default_configENS1_20scan_config_selectorI3IntEEZZNS1_9scan_implILNS1_25lookback_scan_determinismE0ELb0ELb0ES3_N6thrust23THRUST_200600_302600_NS6detail15normal_iteratorINSA_10device_ptrIKS5_EEEENSC_INSD_IS5_EEEES5_NSA_4plusIvEES5_EEDaPvRmT3_T4_T5_mT6_P12ihipStream_tbENKUlT_T0_E_clISt17integral_constantIbLb0EESX_IbLb1EEEEDaST_SU_EUlST_E_NS1_11comp_targetILNS1_3genE8ELNS1_11target_archE1030ELNS1_3gpuE2ELNS1_3repE0EEENS1_30default_config_static_selectorELNS0_4arch9wavefront6targetE1EEEvT1_,comdat
	.protected	_ZN7rocprim17ROCPRIM_400000_NS6detail17trampoline_kernelINS0_14default_configENS1_20scan_config_selectorI3IntEEZZNS1_9scan_implILNS1_25lookback_scan_determinismE0ELb0ELb0ES3_N6thrust23THRUST_200600_302600_NS6detail15normal_iteratorINSA_10device_ptrIKS5_EEEENSC_INSD_IS5_EEEES5_NSA_4plusIvEES5_EEDaPvRmT3_T4_T5_mT6_P12ihipStream_tbENKUlT_T0_E_clISt17integral_constantIbLb0EESX_IbLb1EEEEDaST_SU_EUlST_E_NS1_11comp_targetILNS1_3genE8ELNS1_11target_archE1030ELNS1_3gpuE2ELNS1_3repE0EEENS1_30default_config_static_selectorELNS0_4arch9wavefront6targetE1EEEvT1_ ; -- Begin function _ZN7rocprim17ROCPRIM_400000_NS6detail17trampoline_kernelINS0_14default_configENS1_20scan_config_selectorI3IntEEZZNS1_9scan_implILNS1_25lookback_scan_determinismE0ELb0ELb0ES3_N6thrust23THRUST_200600_302600_NS6detail15normal_iteratorINSA_10device_ptrIKS5_EEEENSC_INSD_IS5_EEEES5_NSA_4plusIvEES5_EEDaPvRmT3_T4_T5_mT6_P12ihipStream_tbENKUlT_T0_E_clISt17integral_constantIbLb0EESX_IbLb1EEEEDaST_SU_EUlST_E_NS1_11comp_targetILNS1_3genE8ELNS1_11target_archE1030ELNS1_3gpuE2ELNS1_3repE0EEENS1_30default_config_static_selectorELNS0_4arch9wavefront6targetE1EEEvT1_
	.globl	_ZN7rocprim17ROCPRIM_400000_NS6detail17trampoline_kernelINS0_14default_configENS1_20scan_config_selectorI3IntEEZZNS1_9scan_implILNS1_25lookback_scan_determinismE0ELb0ELb0ES3_N6thrust23THRUST_200600_302600_NS6detail15normal_iteratorINSA_10device_ptrIKS5_EEEENSC_INSD_IS5_EEEES5_NSA_4plusIvEES5_EEDaPvRmT3_T4_T5_mT6_P12ihipStream_tbENKUlT_T0_E_clISt17integral_constantIbLb0EESX_IbLb1EEEEDaST_SU_EUlST_E_NS1_11comp_targetILNS1_3genE8ELNS1_11target_archE1030ELNS1_3gpuE2ELNS1_3repE0EEENS1_30default_config_static_selectorELNS0_4arch9wavefront6targetE1EEEvT1_
	.p2align	8
	.type	_ZN7rocprim17ROCPRIM_400000_NS6detail17trampoline_kernelINS0_14default_configENS1_20scan_config_selectorI3IntEEZZNS1_9scan_implILNS1_25lookback_scan_determinismE0ELb0ELb0ES3_N6thrust23THRUST_200600_302600_NS6detail15normal_iteratorINSA_10device_ptrIKS5_EEEENSC_INSD_IS5_EEEES5_NSA_4plusIvEES5_EEDaPvRmT3_T4_T5_mT6_P12ihipStream_tbENKUlT_T0_E_clISt17integral_constantIbLb0EESX_IbLb1EEEEDaST_SU_EUlST_E_NS1_11comp_targetILNS1_3genE8ELNS1_11target_archE1030ELNS1_3gpuE2ELNS1_3repE0EEENS1_30default_config_static_selectorELNS0_4arch9wavefront6targetE1EEEvT1_,@function
_ZN7rocprim17ROCPRIM_400000_NS6detail17trampoline_kernelINS0_14default_configENS1_20scan_config_selectorI3IntEEZZNS1_9scan_implILNS1_25lookback_scan_determinismE0ELb0ELb0ES3_N6thrust23THRUST_200600_302600_NS6detail15normal_iteratorINSA_10device_ptrIKS5_EEEENSC_INSD_IS5_EEEES5_NSA_4plusIvEES5_EEDaPvRmT3_T4_T5_mT6_P12ihipStream_tbENKUlT_T0_E_clISt17integral_constantIbLb0EESX_IbLb1EEEEDaST_SU_EUlST_E_NS1_11comp_targetILNS1_3genE8ELNS1_11target_archE1030ELNS1_3gpuE2ELNS1_3repE0EEENS1_30default_config_static_selectorELNS0_4arch9wavefront6targetE1EEEvT1_: ; @_ZN7rocprim17ROCPRIM_400000_NS6detail17trampoline_kernelINS0_14default_configENS1_20scan_config_selectorI3IntEEZZNS1_9scan_implILNS1_25lookback_scan_determinismE0ELb0ELb0ES3_N6thrust23THRUST_200600_302600_NS6detail15normal_iteratorINSA_10device_ptrIKS5_EEEENSC_INSD_IS5_EEEES5_NSA_4plusIvEES5_EEDaPvRmT3_T4_T5_mT6_P12ihipStream_tbENKUlT_T0_E_clISt17integral_constantIbLb0EESX_IbLb1EEEEDaST_SU_EUlST_E_NS1_11comp_targetILNS1_3genE8ELNS1_11target_archE1030ELNS1_3gpuE2ELNS1_3repE0EEENS1_30default_config_static_selectorELNS0_4arch9wavefront6targetE1EEEvT1_
; %bb.0:
	.section	.rodata,"a",@progbits
	.p2align	6, 0x0
	.amdhsa_kernel _ZN7rocprim17ROCPRIM_400000_NS6detail17trampoline_kernelINS0_14default_configENS1_20scan_config_selectorI3IntEEZZNS1_9scan_implILNS1_25lookback_scan_determinismE0ELb0ELb0ES3_N6thrust23THRUST_200600_302600_NS6detail15normal_iteratorINSA_10device_ptrIKS5_EEEENSC_INSD_IS5_EEEES5_NSA_4plusIvEES5_EEDaPvRmT3_T4_T5_mT6_P12ihipStream_tbENKUlT_T0_E_clISt17integral_constantIbLb0EESX_IbLb1EEEEDaST_SU_EUlST_E_NS1_11comp_targetILNS1_3genE8ELNS1_11target_archE1030ELNS1_3gpuE2ELNS1_3repE0EEENS1_30default_config_static_selectorELNS0_4arch9wavefront6targetE1EEEvT1_
		.amdhsa_group_segment_fixed_size 0
		.amdhsa_private_segment_fixed_size 0
		.amdhsa_kernarg_size 96
		.amdhsa_user_sgpr_count 6
		.amdhsa_user_sgpr_private_segment_buffer 1
		.amdhsa_user_sgpr_dispatch_ptr 0
		.amdhsa_user_sgpr_queue_ptr 0
		.amdhsa_user_sgpr_kernarg_segment_ptr 1
		.amdhsa_user_sgpr_dispatch_id 0
		.amdhsa_user_sgpr_flat_scratch_init 0
		.amdhsa_user_sgpr_kernarg_preload_length 0
		.amdhsa_user_sgpr_kernarg_preload_offset 0
		.amdhsa_user_sgpr_private_segment_size 0
		.amdhsa_uses_dynamic_stack 0
		.amdhsa_system_sgpr_private_segment_wavefront_offset 0
		.amdhsa_system_sgpr_workgroup_id_x 1
		.amdhsa_system_sgpr_workgroup_id_y 0
		.amdhsa_system_sgpr_workgroup_id_z 0
		.amdhsa_system_sgpr_workgroup_info 0
		.amdhsa_system_vgpr_workitem_id 0
		.amdhsa_next_free_vgpr 1
		.amdhsa_next_free_sgpr 0
		.amdhsa_accum_offset 4
		.amdhsa_reserve_vcc 0
		.amdhsa_reserve_flat_scratch 0
		.amdhsa_float_round_mode_32 0
		.amdhsa_float_round_mode_16_64 0
		.amdhsa_float_denorm_mode_32 3
		.amdhsa_float_denorm_mode_16_64 3
		.amdhsa_dx10_clamp 1
		.amdhsa_ieee_mode 1
		.amdhsa_fp16_overflow 0
		.amdhsa_tg_split 0
		.amdhsa_exception_fp_ieee_invalid_op 0
		.amdhsa_exception_fp_denorm_src 0
		.amdhsa_exception_fp_ieee_div_zero 0
		.amdhsa_exception_fp_ieee_overflow 0
		.amdhsa_exception_fp_ieee_underflow 0
		.amdhsa_exception_fp_ieee_inexact 0
		.amdhsa_exception_int_div_zero 0
	.end_amdhsa_kernel
	.section	.text._ZN7rocprim17ROCPRIM_400000_NS6detail17trampoline_kernelINS0_14default_configENS1_20scan_config_selectorI3IntEEZZNS1_9scan_implILNS1_25lookback_scan_determinismE0ELb0ELb0ES3_N6thrust23THRUST_200600_302600_NS6detail15normal_iteratorINSA_10device_ptrIKS5_EEEENSC_INSD_IS5_EEEES5_NSA_4plusIvEES5_EEDaPvRmT3_T4_T5_mT6_P12ihipStream_tbENKUlT_T0_E_clISt17integral_constantIbLb0EESX_IbLb1EEEEDaST_SU_EUlST_E_NS1_11comp_targetILNS1_3genE8ELNS1_11target_archE1030ELNS1_3gpuE2ELNS1_3repE0EEENS1_30default_config_static_selectorELNS0_4arch9wavefront6targetE1EEEvT1_,"axG",@progbits,_ZN7rocprim17ROCPRIM_400000_NS6detail17trampoline_kernelINS0_14default_configENS1_20scan_config_selectorI3IntEEZZNS1_9scan_implILNS1_25lookback_scan_determinismE0ELb0ELb0ES3_N6thrust23THRUST_200600_302600_NS6detail15normal_iteratorINSA_10device_ptrIKS5_EEEENSC_INSD_IS5_EEEES5_NSA_4plusIvEES5_EEDaPvRmT3_T4_T5_mT6_P12ihipStream_tbENKUlT_T0_E_clISt17integral_constantIbLb0EESX_IbLb1EEEEDaST_SU_EUlST_E_NS1_11comp_targetILNS1_3genE8ELNS1_11target_archE1030ELNS1_3gpuE2ELNS1_3repE0EEENS1_30default_config_static_selectorELNS0_4arch9wavefront6targetE1EEEvT1_,comdat
.Lfunc_end6970:
	.size	_ZN7rocprim17ROCPRIM_400000_NS6detail17trampoline_kernelINS0_14default_configENS1_20scan_config_selectorI3IntEEZZNS1_9scan_implILNS1_25lookback_scan_determinismE0ELb0ELb0ES3_N6thrust23THRUST_200600_302600_NS6detail15normal_iteratorINSA_10device_ptrIKS5_EEEENSC_INSD_IS5_EEEES5_NSA_4plusIvEES5_EEDaPvRmT3_T4_T5_mT6_P12ihipStream_tbENKUlT_T0_E_clISt17integral_constantIbLb0EESX_IbLb1EEEEDaST_SU_EUlST_E_NS1_11comp_targetILNS1_3genE8ELNS1_11target_archE1030ELNS1_3gpuE2ELNS1_3repE0EEENS1_30default_config_static_selectorELNS0_4arch9wavefront6targetE1EEEvT1_, .Lfunc_end6970-_ZN7rocprim17ROCPRIM_400000_NS6detail17trampoline_kernelINS0_14default_configENS1_20scan_config_selectorI3IntEEZZNS1_9scan_implILNS1_25lookback_scan_determinismE0ELb0ELb0ES3_N6thrust23THRUST_200600_302600_NS6detail15normal_iteratorINSA_10device_ptrIKS5_EEEENSC_INSD_IS5_EEEES5_NSA_4plusIvEES5_EEDaPvRmT3_T4_T5_mT6_P12ihipStream_tbENKUlT_T0_E_clISt17integral_constantIbLb0EESX_IbLb1EEEEDaST_SU_EUlST_E_NS1_11comp_targetILNS1_3genE8ELNS1_11target_archE1030ELNS1_3gpuE2ELNS1_3repE0EEENS1_30default_config_static_selectorELNS0_4arch9wavefront6targetE1EEEvT1_
                                        ; -- End function
	.section	.AMDGPU.csdata,"",@progbits
; Kernel info:
; codeLenInByte = 0
; NumSgprs: 4
; NumVgprs: 0
; NumAgprs: 0
; TotalNumVgprs: 0
; ScratchSize: 0
; MemoryBound: 0
; FloatMode: 240
; IeeeMode: 1
; LDSByteSize: 0 bytes/workgroup (compile time only)
; SGPRBlocks: 0
; VGPRBlocks: 0
; NumSGPRsForWavesPerEU: 4
; NumVGPRsForWavesPerEU: 1
; AccumOffset: 4
; Occupancy: 8
; WaveLimiterHint : 0
; COMPUTE_PGM_RSRC2:SCRATCH_EN: 0
; COMPUTE_PGM_RSRC2:USER_SGPR: 6
; COMPUTE_PGM_RSRC2:TRAP_HANDLER: 0
; COMPUTE_PGM_RSRC2:TGID_X_EN: 1
; COMPUTE_PGM_RSRC2:TGID_Y_EN: 0
; COMPUTE_PGM_RSRC2:TGID_Z_EN: 0
; COMPUTE_PGM_RSRC2:TIDIG_COMP_CNT: 0
; COMPUTE_PGM_RSRC3_GFX90A:ACCUM_OFFSET: 0
; COMPUTE_PGM_RSRC3_GFX90A:TG_SPLIT: 0
	.section	.text._ZN7rocprim17ROCPRIM_400000_NS6detail17trampoline_kernelINS0_14default_configENS1_20scan_config_selectorI3IntEEZZNS1_9scan_implILNS1_25lookback_scan_determinismE0ELb0ELb0ES3_N6thrust23THRUST_200600_302600_NS6detail15normal_iteratorINSA_10device_ptrIKS5_EEEENSC_INSD_IS5_EEEES5_NSA_4plusIvEES5_EEDaPvRmT3_T4_T5_mT6_P12ihipStream_tbENKUlT_T0_E_clISt17integral_constantIbLb0EESX_IbLb1EEEEDaST_SU_EUlST_E0_NS1_11comp_targetILNS1_3genE0ELNS1_11target_archE4294967295ELNS1_3gpuE0ELNS1_3repE0EEENS1_30default_config_static_selectorELNS0_4arch9wavefront6targetE1EEEvT1_,"axG",@progbits,_ZN7rocprim17ROCPRIM_400000_NS6detail17trampoline_kernelINS0_14default_configENS1_20scan_config_selectorI3IntEEZZNS1_9scan_implILNS1_25lookback_scan_determinismE0ELb0ELb0ES3_N6thrust23THRUST_200600_302600_NS6detail15normal_iteratorINSA_10device_ptrIKS5_EEEENSC_INSD_IS5_EEEES5_NSA_4plusIvEES5_EEDaPvRmT3_T4_T5_mT6_P12ihipStream_tbENKUlT_T0_E_clISt17integral_constantIbLb0EESX_IbLb1EEEEDaST_SU_EUlST_E0_NS1_11comp_targetILNS1_3genE0ELNS1_11target_archE4294967295ELNS1_3gpuE0ELNS1_3repE0EEENS1_30default_config_static_selectorELNS0_4arch9wavefront6targetE1EEEvT1_,comdat
	.protected	_ZN7rocprim17ROCPRIM_400000_NS6detail17trampoline_kernelINS0_14default_configENS1_20scan_config_selectorI3IntEEZZNS1_9scan_implILNS1_25lookback_scan_determinismE0ELb0ELb0ES3_N6thrust23THRUST_200600_302600_NS6detail15normal_iteratorINSA_10device_ptrIKS5_EEEENSC_INSD_IS5_EEEES5_NSA_4plusIvEES5_EEDaPvRmT3_T4_T5_mT6_P12ihipStream_tbENKUlT_T0_E_clISt17integral_constantIbLb0EESX_IbLb1EEEEDaST_SU_EUlST_E0_NS1_11comp_targetILNS1_3genE0ELNS1_11target_archE4294967295ELNS1_3gpuE0ELNS1_3repE0EEENS1_30default_config_static_selectorELNS0_4arch9wavefront6targetE1EEEvT1_ ; -- Begin function _ZN7rocprim17ROCPRIM_400000_NS6detail17trampoline_kernelINS0_14default_configENS1_20scan_config_selectorI3IntEEZZNS1_9scan_implILNS1_25lookback_scan_determinismE0ELb0ELb0ES3_N6thrust23THRUST_200600_302600_NS6detail15normal_iteratorINSA_10device_ptrIKS5_EEEENSC_INSD_IS5_EEEES5_NSA_4plusIvEES5_EEDaPvRmT3_T4_T5_mT6_P12ihipStream_tbENKUlT_T0_E_clISt17integral_constantIbLb0EESX_IbLb1EEEEDaST_SU_EUlST_E0_NS1_11comp_targetILNS1_3genE0ELNS1_11target_archE4294967295ELNS1_3gpuE0ELNS1_3repE0EEENS1_30default_config_static_selectorELNS0_4arch9wavefront6targetE1EEEvT1_
	.globl	_ZN7rocprim17ROCPRIM_400000_NS6detail17trampoline_kernelINS0_14default_configENS1_20scan_config_selectorI3IntEEZZNS1_9scan_implILNS1_25lookback_scan_determinismE0ELb0ELb0ES3_N6thrust23THRUST_200600_302600_NS6detail15normal_iteratorINSA_10device_ptrIKS5_EEEENSC_INSD_IS5_EEEES5_NSA_4plusIvEES5_EEDaPvRmT3_T4_T5_mT6_P12ihipStream_tbENKUlT_T0_E_clISt17integral_constantIbLb0EESX_IbLb1EEEEDaST_SU_EUlST_E0_NS1_11comp_targetILNS1_3genE0ELNS1_11target_archE4294967295ELNS1_3gpuE0ELNS1_3repE0EEENS1_30default_config_static_selectorELNS0_4arch9wavefront6targetE1EEEvT1_
	.p2align	8
	.type	_ZN7rocprim17ROCPRIM_400000_NS6detail17trampoline_kernelINS0_14default_configENS1_20scan_config_selectorI3IntEEZZNS1_9scan_implILNS1_25lookback_scan_determinismE0ELb0ELb0ES3_N6thrust23THRUST_200600_302600_NS6detail15normal_iteratorINSA_10device_ptrIKS5_EEEENSC_INSD_IS5_EEEES5_NSA_4plusIvEES5_EEDaPvRmT3_T4_T5_mT6_P12ihipStream_tbENKUlT_T0_E_clISt17integral_constantIbLb0EESX_IbLb1EEEEDaST_SU_EUlST_E0_NS1_11comp_targetILNS1_3genE0ELNS1_11target_archE4294967295ELNS1_3gpuE0ELNS1_3repE0EEENS1_30default_config_static_selectorELNS0_4arch9wavefront6targetE1EEEvT1_,@function
_ZN7rocprim17ROCPRIM_400000_NS6detail17trampoline_kernelINS0_14default_configENS1_20scan_config_selectorI3IntEEZZNS1_9scan_implILNS1_25lookback_scan_determinismE0ELb0ELb0ES3_N6thrust23THRUST_200600_302600_NS6detail15normal_iteratorINSA_10device_ptrIKS5_EEEENSC_INSD_IS5_EEEES5_NSA_4plusIvEES5_EEDaPvRmT3_T4_T5_mT6_P12ihipStream_tbENKUlT_T0_E_clISt17integral_constantIbLb0EESX_IbLb1EEEEDaST_SU_EUlST_E0_NS1_11comp_targetILNS1_3genE0ELNS1_11target_archE4294967295ELNS1_3gpuE0ELNS1_3repE0EEENS1_30default_config_static_selectorELNS0_4arch9wavefront6targetE1EEEvT1_: ; @_ZN7rocprim17ROCPRIM_400000_NS6detail17trampoline_kernelINS0_14default_configENS1_20scan_config_selectorI3IntEEZZNS1_9scan_implILNS1_25lookback_scan_determinismE0ELb0ELb0ES3_N6thrust23THRUST_200600_302600_NS6detail15normal_iteratorINSA_10device_ptrIKS5_EEEENSC_INSD_IS5_EEEES5_NSA_4plusIvEES5_EEDaPvRmT3_T4_T5_mT6_P12ihipStream_tbENKUlT_T0_E_clISt17integral_constantIbLb0EESX_IbLb1EEEEDaST_SU_EUlST_E0_NS1_11comp_targetILNS1_3genE0ELNS1_11target_archE4294967295ELNS1_3gpuE0ELNS1_3repE0EEENS1_30default_config_static_selectorELNS0_4arch9wavefront6targetE1EEEvT1_
; %bb.0:
	.section	.rodata,"a",@progbits
	.p2align	6, 0x0
	.amdhsa_kernel _ZN7rocprim17ROCPRIM_400000_NS6detail17trampoline_kernelINS0_14default_configENS1_20scan_config_selectorI3IntEEZZNS1_9scan_implILNS1_25lookback_scan_determinismE0ELb0ELb0ES3_N6thrust23THRUST_200600_302600_NS6detail15normal_iteratorINSA_10device_ptrIKS5_EEEENSC_INSD_IS5_EEEES5_NSA_4plusIvEES5_EEDaPvRmT3_T4_T5_mT6_P12ihipStream_tbENKUlT_T0_E_clISt17integral_constantIbLb0EESX_IbLb1EEEEDaST_SU_EUlST_E0_NS1_11comp_targetILNS1_3genE0ELNS1_11target_archE4294967295ELNS1_3gpuE0ELNS1_3repE0EEENS1_30default_config_static_selectorELNS0_4arch9wavefront6targetE1EEEvT1_
		.amdhsa_group_segment_fixed_size 0
		.amdhsa_private_segment_fixed_size 0
		.amdhsa_kernarg_size 32
		.amdhsa_user_sgpr_count 6
		.amdhsa_user_sgpr_private_segment_buffer 1
		.amdhsa_user_sgpr_dispatch_ptr 0
		.amdhsa_user_sgpr_queue_ptr 0
		.amdhsa_user_sgpr_kernarg_segment_ptr 1
		.amdhsa_user_sgpr_dispatch_id 0
		.amdhsa_user_sgpr_flat_scratch_init 0
		.amdhsa_user_sgpr_kernarg_preload_length 0
		.amdhsa_user_sgpr_kernarg_preload_offset 0
		.amdhsa_user_sgpr_private_segment_size 0
		.amdhsa_uses_dynamic_stack 0
		.amdhsa_system_sgpr_private_segment_wavefront_offset 0
		.amdhsa_system_sgpr_workgroup_id_x 1
		.amdhsa_system_sgpr_workgroup_id_y 0
		.amdhsa_system_sgpr_workgroup_id_z 0
		.amdhsa_system_sgpr_workgroup_info 0
		.amdhsa_system_vgpr_workitem_id 0
		.amdhsa_next_free_vgpr 1
		.amdhsa_next_free_sgpr 0
		.amdhsa_accum_offset 4
		.amdhsa_reserve_vcc 0
		.amdhsa_reserve_flat_scratch 0
		.amdhsa_float_round_mode_32 0
		.amdhsa_float_round_mode_16_64 0
		.amdhsa_float_denorm_mode_32 3
		.amdhsa_float_denorm_mode_16_64 3
		.amdhsa_dx10_clamp 1
		.amdhsa_ieee_mode 1
		.amdhsa_fp16_overflow 0
		.amdhsa_tg_split 0
		.amdhsa_exception_fp_ieee_invalid_op 0
		.amdhsa_exception_fp_denorm_src 0
		.amdhsa_exception_fp_ieee_div_zero 0
		.amdhsa_exception_fp_ieee_overflow 0
		.amdhsa_exception_fp_ieee_underflow 0
		.amdhsa_exception_fp_ieee_inexact 0
		.amdhsa_exception_int_div_zero 0
	.end_amdhsa_kernel
	.section	.text._ZN7rocprim17ROCPRIM_400000_NS6detail17trampoline_kernelINS0_14default_configENS1_20scan_config_selectorI3IntEEZZNS1_9scan_implILNS1_25lookback_scan_determinismE0ELb0ELb0ES3_N6thrust23THRUST_200600_302600_NS6detail15normal_iteratorINSA_10device_ptrIKS5_EEEENSC_INSD_IS5_EEEES5_NSA_4plusIvEES5_EEDaPvRmT3_T4_T5_mT6_P12ihipStream_tbENKUlT_T0_E_clISt17integral_constantIbLb0EESX_IbLb1EEEEDaST_SU_EUlST_E0_NS1_11comp_targetILNS1_3genE0ELNS1_11target_archE4294967295ELNS1_3gpuE0ELNS1_3repE0EEENS1_30default_config_static_selectorELNS0_4arch9wavefront6targetE1EEEvT1_,"axG",@progbits,_ZN7rocprim17ROCPRIM_400000_NS6detail17trampoline_kernelINS0_14default_configENS1_20scan_config_selectorI3IntEEZZNS1_9scan_implILNS1_25lookback_scan_determinismE0ELb0ELb0ES3_N6thrust23THRUST_200600_302600_NS6detail15normal_iteratorINSA_10device_ptrIKS5_EEEENSC_INSD_IS5_EEEES5_NSA_4plusIvEES5_EEDaPvRmT3_T4_T5_mT6_P12ihipStream_tbENKUlT_T0_E_clISt17integral_constantIbLb0EESX_IbLb1EEEEDaST_SU_EUlST_E0_NS1_11comp_targetILNS1_3genE0ELNS1_11target_archE4294967295ELNS1_3gpuE0ELNS1_3repE0EEENS1_30default_config_static_selectorELNS0_4arch9wavefront6targetE1EEEvT1_,comdat
.Lfunc_end6971:
	.size	_ZN7rocprim17ROCPRIM_400000_NS6detail17trampoline_kernelINS0_14default_configENS1_20scan_config_selectorI3IntEEZZNS1_9scan_implILNS1_25lookback_scan_determinismE0ELb0ELb0ES3_N6thrust23THRUST_200600_302600_NS6detail15normal_iteratorINSA_10device_ptrIKS5_EEEENSC_INSD_IS5_EEEES5_NSA_4plusIvEES5_EEDaPvRmT3_T4_T5_mT6_P12ihipStream_tbENKUlT_T0_E_clISt17integral_constantIbLb0EESX_IbLb1EEEEDaST_SU_EUlST_E0_NS1_11comp_targetILNS1_3genE0ELNS1_11target_archE4294967295ELNS1_3gpuE0ELNS1_3repE0EEENS1_30default_config_static_selectorELNS0_4arch9wavefront6targetE1EEEvT1_, .Lfunc_end6971-_ZN7rocprim17ROCPRIM_400000_NS6detail17trampoline_kernelINS0_14default_configENS1_20scan_config_selectorI3IntEEZZNS1_9scan_implILNS1_25lookback_scan_determinismE0ELb0ELb0ES3_N6thrust23THRUST_200600_302600_NS6detail15normal_iteratorINSA_10device_ptrIKS5_EEEENSC_INSD_IS5_EEEES5_NSA_4plusIvEES5_EEDaPvRmT3_T4_T5_mT6_P12ihipStream_tbENKUlT_T0_E_clISt17integral_constantIbLb0EESX_IbLb1EEEEDaST_SU_EUlST_E0_NS1_11comp_targetILNS1_3genE0ELNS1_11target_archE4294967295ELNS1_3gpuE0ELNS1_3repE0EEENS1_30default_config_static_selectorELNS0_4arch9wavefront6targetE1EEEvT1_
                                        ; -- End function
	.section	.AMDGPU.csdata,"",@progbits
; Kernel info:
; codeLenInByte = 0
; NumSgprs: 4
; NumVgprs: 0
; NumAgprs: 0
; TotalNumVgprs: 0
; ScratchSize: 0
; MemoryBound: 0
; FloatMode: 240
; IeeeMode: 1
; LDSByteSize: 0 bytes/workgroup (compile time only)
; SGPRBlocks: 0
; VGPRBlocks: 0
; NumSGPRsForWavesPerEU: 4
; NumVGPRsForWavesPerEU: 1
; AccumOffset: 4
; Occupancy: 8
; WaveLimiterHint : 0
; COMPUTE_PGM_RSRC2:SCRATCH_EN: 0
; COMPUTE_PGM_RSRC2:USER_SGPR: 6
; COMPUTE_PGM_RSRC2:TRAP_HANDLER: 0
; COMPUTE_PGM_RSRC2:TGID_X_EN: 1
; COMPUTE_PGM_RSRC2:TGID_Y_EN: 0
; COMPUTE_PGM_RSRC2:TGID_Z_EN: 0
; COMPUTE_PGM_RSRC2:TIDIG_COMP_CNT: 0
; COMPUTE_PGM_RSRC3_GFX90A:ACCUM_OFFSET: 0
; COMPUTE_PGM_RSRC3_GFX90A:TG_SPLIT: 0
	.section	.text._ZN7rocprim17ROCPRIM_400000_NS6detail17trampoline_kernelINS0_14default_configENS1_20scan_config_selectorI3IntEEZZNS1_9scan_implILNS1_25lookback_scan_determinismE0ELb0ELb0ES3_N6thrust23THRUST_200600_302600_NS6detail15normal_iteratorINSA_10device_ptrIKS5_EEEENSC_INSD_IS5_EEEES5_NSA_4plusIvEES5_EEDaPvRmT3_T4_T5_mT6_P12ihipStream_tbENKUlT_T0_E_clISt17integral_constantIbLb0EESX_IbLb1EEEEDaST_SU_EUlST_E0_NS1_11comp_targetILNS1_3genE5ELNS1_11target_archE942ELNS1_3gpuE9ELNS1_3repE0EEENS1_30default_config_static_selectorELNS0_4arch9wavefront6targetE1EEEvT1_,"axG",@progbits,_ZN7rocprim17ROCPRIM_400000_NS6detail17trampoline_kernelINS0_14default_configENS1_20scan_config_selectorI3IntEEZZNS1_9scan_implILNS1_25lookback_scan_determinismE0ELb0ELb0ES3_N6thrust23THRUST_200600_302600_NS6detail15normal_iteratorINSA_10device_ptrIKS5_EEEENSC_INSD_IS5_EEEES5_NSA_4plusIvEES5_EEDaPvRmT3_T4_T5_mT6_P12ihipStream_tbENKUlT_T0_E_clISt17integral_constantIbLb0EESX_IbLb1EEEEDaST_SU_EUlST_E0_NS1_11comp_targetILNS1_3genE5ELNS1_11target_archE942ELNS1_3gpuE9ELNS1_3repE0EEENS1_30default_config_static_selectorELNS0_4arch9wavefront6targetE1EEEvT1_,comdat
	.protected	_ZN7rocprim17ROCPRIM_400000_NS6detail17trampoline_kernelINS0_14default_configENS1_20scan_config_selectorI3IntEEZZNS1_9scan_implILNS1_25lookback_scan_determinismE0ELb0ELb0ES3_N6thrust23THRUST_200600_302600_NS6detail15normal_iteratorINSA_10device_ptrIKS5_EEEENSC_INSD_IS5_EEEES5_NSA_4plusIvEES5_EEDaPvRmT3_T4_T5_mT6_P12ihipStream_tbENKUlT_T0_E_clISt17integral_constantIbLb0EESX_IbLb1EEEEDaST_SU_EUlST_E0_NS1_11comp_targetILNS1_3genE5ELNS1_11target_archE942ELNS1_3gpuE9ELNS1_3repE0EEENS1_30default_config_static_selectorELNS0_4arch9wavefront6targetE1EEEvT1_ ; -- Begin function _ZN7rocprim17ROCPRIM_400000_NS6detail17trampoline_kernelINS0_14default_configENS1_20scan_config_selectorI3IntEEZZNS1_9scan_implILNS1_25lookback_scan_determinismE0ELb0ELb0ES3_N6thrust23THRUST_200600_302600_NS6detail15normal_iteratorINSA_10device_ptrIKS5_EEEENSC_INSD_IS5_EEEES5_NSA_4plusIvEES5_EEDaPvRmT3_T4_T5_mT6_P12ihipStream_tbENKUlT_T0_E_clISt17integral_constantIbLb0EESX_IbLb1EEEEDaST_SU_EUlST_E0_NS1_11comp_targetILNS1_3genE5ELNS1_11target_archE942ELNS1_3gpuE9ELNS1_3repE0EEENS1_30default_config_static_selectorELNS0_4arch9wavefront6targetE1EEEvT1_
	.globl	_ZN7rocprim17ROCPRIM_400000_NS6detail17trampoline_kernelINS0_14default_configENS1_20scan_config_selectorI3IntEEZZNS1_9scan_implILNS1_25lookback_scan_determinismE0ELb0ELb0ES3_N6thrust23THRUST_200600_302600_NS6detail15normal_iteratorINSA_10device_ptrIKS5_EEEENSC_INSD_IS5_EEEES5_NSA_4plusIvEES5_EEDaPvRmT3_T4_T5_mT6_P12ihipStream_tbENKUlT_T0_E_clISt17integral_constantIbLb0EESX_IbLb1EEEEDaST_SU_EUlST_E0_NS1_11comp_targetILNS1_3genE5ELNS1_11target_archE942ELNS1_3gpuE9ELNS1_3repE0EEENS1_30default_config_static_selectorELNS0_4arch9wavefront6targetE1EEEvT1_
	.p2align	8
	.type	_ZN7rocprim17ROCPRIM_400000_NS6detail17trampoline_kernelINS0_14default_configENS1_20scan_config_selectorI3IntEEZZNS1_9scan_implILNS1_25lookback_scan_determinismE0ELb0ELb0ES3_N6thrust23THRUST_200600_302600_NS6detail15normal_iteratorINSA_10device_ptrIKS5_EEEENSC_INSD_IS5_EEEES5_NSA_4plusIvEES5_EEDaPvRmT3_T4_T5_mT6_P12ihipStream_tbENKUlT_T0_E_clISt17integral_constantIbLb0EESX_IbLb1EEEEDaST_SU_EUlST_E0_NS1_11comp_targetILNS1_3genE5ELNS1_11target_archE942ELNS1_3gpuE9ELNS1_3repE0EEENS1_30default_config_static_selectorELNS0_4arch9wavefront6targetE1EEEvT1_,@function
_ZN7rocprim17ROCPRIM_400000_NS6detail17trampoline_kernelINS0_14default_configENS1_20scan_config_selectorI3IntEEZZNS1_9scan_implILNS1_25lookback_scan_determinismE0ELb0ELb0ES3_N6thrust23THRUST_200600_302600_NS6detail15normal_iteratorINSA_10device_ptrIKS5_EEEENSC_INSD_IS5_EEEES5_NSA_4plusIvEES5_EEDaPvRmT3_T4_T5_mT6_P12ihipStream_tbENKUlT_T0_E_clISt17integral_constantIbLb0EESX_IbLb1EEEEDaST_SU_EUlST_E0_NS1_11comp_targetILNS1_3genE5ELNS1_11target_archE942ELNS1_3gpuE9ELNS1_3repE0EEENS1_30default_config_static_selectorELNS0_4arch9wavefront6targetE1EEEvT1_: ; @_ZN7rocprim17ROCPRIM_400000_NS6detail17trampoline_kernelINS0_14default_configENS1_20scan_config_selectorI3IntEEZZNS1_9scan_implILNS1_25lookback_scan_determinismE0ELb0ELb0ES3_N6thrust23THRUST_200600_302600_NS6detail15normal_iteratorINSA_10device_ptrIKS5_EEEENSC_INSD_IS5_EEEES5_NSA_4plusIvEES5_EEDaPvRmT3_T4_T5_mT6_P12ihipStream_tbENKUlT_T0_E_clISt17integral_constantIbLb0EESX_IbLb1EEEEDaST_SU_EUlST_E0_NS1_11comp_targetILNS1_3genE5ELNS1_11target_archE942ELNS1_3gpuE9ELNS1_3repE0EEENS1_30default_config_static_selectorELNS0_4arch9wavefront6targetE1EEEvT1_
; %bb.0:
	.section	.rodata,"a",@progbits
	.p2align	6, 0x0
	.amdhsa_kernel _ZN7rocprim17ROCPRIM_400000_NS6detail17trampoline_kernelINS0_14default_configENS1_20scan_config_selectorI3IntEEZZNS1_9scan_implILNS1_25lookback_scan_determinismE0ELb0ELb0ES3_N6thrust23THRUST_200600_302600_NS6detail15normal_iteratorINSA_10device_ptrIKS5_EEEENSC_INSD_IS5_EEEES5_NSA_4plusIvEES5_EEDaPvRmT3_T4_T5_mT6_P12ihipStream_tbENKUlT_T0_E_clISt17integral_constantIbLb0EESX_IbLb1EEEEDaST_SU_EUlST_E0_NS1_11comp_targetILNS1_3genE5ELNS1_11target_archE942ELNS1_3gpuE9ELNS1_3repE0EEENS1_30default_config_static_selectorELNS0_4arch9wavefront6targetE1EEEvT1_
		.amdhsa_group_segment_fixed_size 0
		.amdhsa_private_segment_fixed_size 0
		.amdhsa_kernarg_size 32
		.amdhsa_user_sgpr_count 6
		.amdhsa_user_sgpr_private_segment_buffer 1
		.amdhsa_user_sgpr_dispatch_ptr 0
		.amdhsa_user_sgpr_queue_ptr 0
		.amdhsa_user_sgpr_kernarg_segment_ptr 1
		.amdhsa_user_sgpr_dispatch_id 0
		.amdhsa_user_sgpr_flat_scratch_init 0
		.amdhsa_user_sgpr_kernarg_preload_length 0
		.amdhsa_user_sgpr_kernarg_preload_offset 0
		.amdhsa_user_sgpr_private_segment_size 0
		.amdhsa_uses_dynamic_stack 0
		.amdhsa_system_sgpr_private_segment_wavefront_offset 0
		.amdhsa_system_sgpr_workgroup_id_x 1
		.amdhsa_system_sgpr_workgroup_id_y 0
		.amdhsa_system_sgpr_workgroup_id_z 0
		.amdhsa_system_sgpr_workgroup_info 0
		.amdhsa_system_vgpr_workitem_id 0
		.amdhsa_next_free_vgpr 1
		.amdhsa_next_free_sgpr 0
		.amdhsa_accum_offset 4
		.amdhsa_reserve_vcc 0
		.amdhsa_reserve_flat_scratch 0
		.amdhsa_float_round_mode_32 0
		.amdhsa_float_round_mode_16_64 0
		.amdhsa_float_denorm_mode_32 3
		.amdhsa_float_denorm_mode_16_64 3
		.amdhsa_dx10_clamp 1
		.amdhsa_ieee_mode 1
		.amdhsa_fp16_overflow 0
		.amdhsa_tg_split 0
		.amdhsa_exception_fp_ieee_invalid_op 0
		.amdhsa_exception_fp_denorm_src 0
		.amdhsa_exception_fp_ieee_div_zero 0
		.amdhsa_exception_fp_ieee_overflow 0
		.amdhsa_exception_fp_ieee_underflow 0
		.amdhsa_exception_fp_ieee_inexact 0
		.amdhsa_exception_int_div_zero 0
	.end_amdhsa_kernel
	.section	.text._ZN7rocprim17ROCPRIM_400000_NS6detail17trampoline_kernelINS0_14default_configENS1_20scan_config_selectorI3IntEEZZNS1_9scan_implILNS1_25lookback_scan_determinismE0ELb0ELb0ES3_N6thrust23THRUST_200600_302600_NS6detail15normal_iteratorINSA_10device_ptrIKS5_EEEENSC_INSD_IS5_EEEES5_NSA_4plusIvEES5_EEDaPvRmT3_T4_T5_mT6_P12ihipStream_tbENKUlT_T0_E_clISt17integral_constantIbLb0EESX_IbLb1EEEEDaST_SU_EUlST_E0_NS1_11comp_targetILNS1_3genE5ELNS1_11target_archE942ELNS1_3gpuE9ELNS1_3repE0EEENS1_30default_config_static_selectorELNS0_4arch9wavefront6targetE1EEEvT1_,"axG",@progbits,_ZN7rocprim17ROCPRIM_400000_NS6detail17trampoline_kernelINS0_14default_configENS1_20scan_config_selectorI3IntEEZZNS1_9scan_implILNS1_25lookback_scan_determinismE0ELb0ELb0ES3_N6thrust23THRUST_200600_302600_NS6detail15normal_iteratorINSA_10device_ptrIKS5_EEEENSC_INSD_IS5_EEEES5_NSA_4plusIvEES5_EEDaPvRmT3_T4_T5_mT6_P12ihipStream_tbENKUlT_T0_E_clISt17integral_constantIbLb0EESX_IbLb1EEEEDaST_SU_EUlST_E0_NS1_11comp_targetILNS1_3genE5ELNS1_11target_archE942ELNS1_3gpuE9ELNS1_3repE0EEENS1_30default_config_static_selectorELNS0_4arch9wavefront6targetE1EEEvT1_,comdat
.Lfunc_end6972:
	.size	_ZN7rocprim17ROCPRIM_400000_NS6detail17trampoline_kernelINS0_14default_configENS1_20scan_config_selectorI3IntEEZZNS1_9scan_implILNS1_25lookback_scan_determinismE0ELb0ELb0ES3_N6thrust23THRUST_200600_302600_NS6detail15normal_iteratorINSA_10device_ptrIKS5_EEEENSC_INSD_IS5_EEEES5_NSA_4plusIvEES5_EEDaPvRmT3_T4_T5_mT6_P12ihipStream_tbENKUlT_T0_E_clISt17integral_constantIbLb0EESX_IbLb1EEEEDaST_SU_EUlST_E0_NS1_11comp_targetILNS1_3genE5ELNS1_11target_archE942ELNS1_3gpuE9ELNS1_3repE0EEENS1_30default_config_static_selectorELNS0_4arch9wavefront6targetE1EEEvT1_, .Lfunc_end6972-_ZN7rocprim17ROCPRIM_400000_NS6detail17trampoline_kernelINS0_14default_configENS1_20scan_config_selectorI3IntEEZZNS1_9scan_implILNS1_25lookback_scan_determinismE0ELb0ELb0ES3_N6thrust23THRUST_200600_302600_NS6detail15normal_iteratorINSA_10device_ptrIKS5_EEEENSC_INSD_IS5_EEEES5_NSA_4plusIvEES5_EEDaPvRmT3_T4_T5_mT6_P12ihipStream_tbENKUlT_T0_E_clISt17integral_constantIbLb0EESX_IbLb1EEEEDaST_SU_EUlST_E0_NS1_11comp_targetILNS1_3genE5ELNS1_11target_archE942ELNS1_3gpuE9ELNS1_3repE0EEENS1_30default_config_static_selectorELNS0_4arch9wavefront6targetE1EEEvT1_
                                        ; -- End function
	.section	.AMDGPU.csdata,"",@progbits
; Kernel info:
; codeLenInByte = 0
; NumSgprs: 4
; NumVgprs: 0
; NumAgprs: 0
; TotalNumVgprs: 0
; ScratchSize: 0
; MemoryBound: 0
; FloatMode: 240
; IeeeMode: 1
; LDSByteSize: 0 bytes/workgroup (compile time only)
; SGPRBlocks: 0
; VGPRBlocks: 0
; NumSGPRsForWavesPerEU: 4
; NumVGPRsForWavesPerEU: 1
; AccumOffset: 4
; Occupancy: 8
; WaveLimiterHint : 0
; COMPUTE_PGM_RSRC2:SCRATCH_EN: 0
; COMPUTE_PGM_RSRC2:USER_SGPR: 6
; COMPUTE_PGM_RSRC2:TRAP_HANDLER: 0
; COMPUTE_PGM_RSRC2:TGID_X_EN: 1
; COMPUTE_PGM_RSRC2:TGID_Y_EN: 0
; COMPUTE_PGM_RSRC2:TGID_Z_EN: 0
; COMPUTE_PGM_RSRC2:TIDIG_COMP_CNT: 0
; COMPUTE_PGM_RSRC3_GFX90A:ACCUM_OFFSET: 0
; COMPUTE_PGM_RSRC3_GFX90A:TG_SPLIT: 0
	.section	.text._ZN7rocprim17ROCPRIM_400000_NS6detail17trampoline_kernelINS0_14default_configENS1_20scan_config_selectorI3IntEEZZNS1_9scan_implILNS1_25lookback_scan_determinismE0ELb0ELb0ES3_N6thrust23THRUST_200600_302600_NS6detail15normal_iteratorINSA_10device_ptrIKS5_EEEENSC_INSD_IS5_EEEES5_NSA_4plusIvEES5_EEDaPvRmT3_T4_T5_mT6_P12ihipStream_tbENKUlT_T0_E_clISt17integral_constantIbLb0EESX_IbLb1EEEEDaST_SU_EUlST_E0_NS1_11comp_targetILNS1_3genE4ELNS1_11target_archE910ELNS1_3gpuE8ELNS1_3repE0EEENS1_30default_config_static_selectorELNS0_4arch9wavefront6targetE1EEEvT1_,"axG",@progbits,_ZN7rocprim17ROCPRIM_400000_NS6detail17trampoline_kernelINS0_14default_configENS1_20scan_config_selectorI3IntEEZZNS1_9scan_implILNS1_25lookback_scan_determinismE0ELb0ELb0ES3_N6thrust23THRUST_200600_302600_NS6detail15normal_iteratorINSA_10device_ptrIKS5_EEEENSC_INSD_IS5_EEEES5_NSA_4plusIvEES5_EEDaPvRmT3_T4_T5_mT6_P12ihipStream_tbENKUlT_T0_E_clISt17integral_constantIbLb0EESX_IbLb1EEEEDaST_SU_EUlST_E0_NS1_11comp_targetILNS1_3genE4ELNS1_11target_archE910ELNS1_3gpuE8ELNS1_3repE0EEENS1_30default_config_static_selectorELNS0_4arch9wavefront6targetE1EEEvT1_,comdat
	.protected	_ZN7rocprim17ROCPRIM_400000_NS6detail17trampoline_kernelINS0_14default_configENS1_20scan_config_selectorI3IntEEZZNS1_9scan_implILNS1_25lookback_scan_determinismE0ELb0ELb0ES3_N6thrust23THRUST_200600_302600_NS6detail15normal_iteratorINSA_10device_ptrIKS5_EEEENSC_INSD_IS5_EEEES5_NSA_4plusIvEES5_EEDaPvRmT3_T4_T5_mT6_P12ihipStream_tbENKUlT_T0_E_clISt17integral_constantIbLb0EESX_IbLb1EEEEDaST_SU_EUlST_E0_NS1_11comp_targetILNS1_3genE4ELNS1_11target_archE910ELNS1_3gpuE8ELNS1_3repE0EEENS1_30default_config_static_selectorELNS0_4arch9wavefront6targetE1EEEvT1_ ; -- Begin function _ZN7rocprim17ROCPRIM_400000_NS6detail17trampoline_kernelINS0_14default_configENS1_20scan_config_selectorI3IntEEZZNS1_9scan_implILNS1_25lookback_scan_determinismE0ELb0ELb0ES3_N6thrust23THRUST_200600_302600_NS6detail15normal_iteratorINSA_10device_ptrIKS5_EEEENSC_INSD_IS5_EEEES5_NSA_4plusIvEES5_EEDaPvRmT3_T4_T5_mT6_P12ihipStream_tbENKUlT_T0_E_clISt17integral_constantIbLb0EESX_IbLb1EEEEDaST_SU_EUlST_E0_NS1_11comp_targetILNS1_3genE4ELNS1_11target_archE910ELNS1_3gpuE8ELNS1_3repE0EEENS1_30default_config_static_selectorELNS0_4arch9wavefront6targetE1EEEvT1_
	.globl	_ZN7rocprim17ROCPRIM_400000_NS6detail17trampoline_kernelINS0_14default_configENS1_20scan_config_selectorI3IntEEZZNS1_9scan_implILNS1_25lookback_scan_determinismE0ELb0ELb0ES3_N6thrust23THRUST_200600_302600_NS6detail15normal_iteratorINSA_10device_ptrIKS5_EEEENSC_INSD_IS5_EEEES5_NSA_4plusIvEES5_EEDaPvRmT3_T4_T5_mT6_P12ihipStream_tbENKUlT_T0_E_clISt17integral_constantIbLb0EESX_IbLb1EEEEDaST_SU_EUlST_E0_NS1_11comp_targetILNS1_3genE4ELNS1_11target_archE910ELNS1_3gpuE8ELNS1_3repE0EEENS1_30default_config_static_selectorELNS0_4arch9wavefront6targetE1EEEvT1_
	.p2align	8
	.type	_ZN7rocprim17ROCPRIM_400000_NS6detail17trampoline_kernelINS0_14default_configENS1_20scan_config_selectorI3IntEEZZNS1_9scan_implILNS1_25lookback_scan_determinismE0ELb0ELb0ES3_N6thrust23THRUST_200600_302600_NS6detail15normal_iteratorINSA_10device_ptrIKS5_EEEENSC_INSD_IS5_EEEES5_NSA_4plusIvEES5_EEDaPvRmT3_T4_T5_mT6_P12ihipStream_tbENKUlT_T0_E_clISt17integral_constantIbLb0EESX_IbLb1EEEEDaST_SU_EUlST_E0_NS1_11comp_targetILNS1_3genE4ELNS1_11target_archE910ELNS1_3gpuE8ELNS1_3repE0EEENS1_30default_config_static_selectorELNS0_4arch9wavefront6targetE1EEEvT1_,@function
_ZN7rocprim17ROCPRIM_400000_NS6detail17trampoline_kernelINS0_14default_configENS1_20scan_config_selectorI3IntEEZZNS1_9scan_implILNS1_25lookback_scan_determinismE0ELb0ELb0ES3_N6thrust23THRUST_200600_302600_NS6detail15normal_iteratorINSA_10device_ptrIKS5_EEEENSC_INSD_IS5_EEEES5_NSA_4plusIvEES5_EEDaPvRmT3_T4_T5_mT6_P12ihipStream_tbENKUlT_T0_E_clISt17integral_constantIbLb0EESX_IbLb1EEEEDaST_SU_EUlST_E0_NS1_11comp_targetILNS1_3genE4ELNS1_11target_archE910ELNS1_3gpuE8ELNS1_3repE0EEENS1_30default_config_static_selectorELNS0_4arch9wavefront6targetE1EEEvT1_: ; @_ZN7rocprim17ROCPRIM_400000_NS6detail17trampoline_kernelINS0_14default_configENS1_20scan_config_selectorI3IntEEZZNS1_9scan_implILNS1_25lookback_scan_determinismE0ELb0ELb0ES3_N6thrust23THRUST_200600_302600_NS6detail15normal_iteratorINSA_10device_ptrIKS5_EEEENSC_INSD_IS5_EEEES5_NSA_4plusIvEES5_EEDaPvRmT3_T4_T5_mT6_P12ihipStream_tbENKUlT_T0_E_clISt17integral_constantIbLb0EESX_IbLb1EEEEDaST_SU_EUlST_E0_NS1_11comp_targetILNS1_3genE4ELNS1_11target_archE910ELNS1_3gpuE8ELNS1_3repE0EEENS1_30default_config_static_selectorELNS0_4arch9wavefront6targetE1EEEvT1_
; %bb.0:
	s_load_dwordx4 s[20:23], s[4:5], 0x0
	v_lshlrev_b32_e32 v20, 2, v0
	s_waitcnt lgkmcnt(0)
	s_load_dword s23, s[20:21], 0x0
	v_cmp_gt_u32_e32 vcc, s22, v0
	s_waitcnt lgkmcnt(0)
	v_mov_b32_e32 v1, s23
	s_and_saveexec_b64 s[0:1], vcc
	s_cbranch_execz .LBB6973_2
; %bb.1:
	global_load_dword v1, v20, s[20:21]
.LBB6973_2:
	s_or_b64 exec, exec, s[0:1]
	v_or_b32_e32 v2, 0x80, v0
	v_cmp_gt_u32_e64 s[0:1], s22, v2
	v_mov_b32_e32 v2, s23
	s_and_saveexec_b64 s[2:3], s[0:1]
	s_cbranch_execz .LBB6973_4
; %bb.3:
	global_load_dword v2, v20, s[20:21] offset:512
.LBB6973_4:
	s_or_b64 exec, exec, s[2:3]
	v_or_b32_e32 v3, 0x100, v0
	v_cmp_gt_u32_e64 s[2:3], s22, v3
	v_mov_b32_e32 v3, s23
	s_and_saveexec_b64 s[6:7], s[2:3]
	s_cbranch_execz .LBB6973_6
; %bb.5:
	global_load_dword v3, v20, s[20:21] offset:1024
.LBB6973_6:
	;; [unrolled: 9-line block ×7, first 2 shown]
	s_or_b64 exec, exec, s[14:15]
	v_or_b32_e32 v10, 0x400, v0
	v_cmp_gt_u32_e64 s[14:15], s22, v10
	v_mov_b32_e32 v9, s23
	s_and_saveexec_b64 s[16:17], s[14:15]
	s_cbranch_execz .LBB6973_18
; %bb.17:
	v_lshlrev_b32_e32 v9, 2, v10
	global_load_dword v9, v9, s[20:21]
.LBB6973_18:
	s_or_b64 exec, exec, s[16:17]
	v_or_b32_e32 v11, 0x480, v0
	v_cmp_gt_u32_e64 s[16:17], s22, v11
	v_mov_b32_e32 v10, s23
	s_and_saveexec_b64 s[22:23], s[16:17]
	s_cbranch_execz .LBB6973_20
; %bb.19:
	v_lshlrev_b32_e32 v10, 2, v11
	global_load_dword v10, v10, s[20:21]
.LBB6973_20:
	s_or_b64 exec, exec, s[22:23]
	s_waitcnt vmcnt(0)
	ds_write2st64_b32 v20, v1, v2 offset1:2
	ds_write2st64_b32 v20, v3, v4 offset0:4 offset1:6
	ds_write2st64_b32 v20, v5, v6 offset0:8 offset1:10
	;; [unrolled: 1-line block ×4, first 2 shown]
	v_mad_u32_u24 v1, v0, 36, v20
	s_waitcnt lgkmcnt(0)
	s_barrier
	ds_read2_b64 v[6:9], v1 offset1:1
	ds_read2_b64 v[2:5], v1 offset0:2 offset1:3
	ds_read_b64 v[18:19], v1 offset:32
	v_lshrrev_b32_e32 v21, 3, v0
	v_and_b32_e32 v21, 12, v21
	s_waitcnt lgkmcnt(2)
	v_add_u32_e32 v1, v7, v6
	v_add_u32_e32 v14, v1, v8
	;; [unrolled: 1-line block ×3, first 2 shown]
	s_waitcnt lgkmcnt(1)
	v_add_u32_e32 v10, v15, v2
	v_add_u32_e32 v11, v10, v3
	;; [unrolled: 1-line block ×4, first 2 shown]
	s_waitcnt lgkmcnt(0)
	v_add_u32_e32 v16, v13, v18
	v_add_u32_e32 v17, v16, v19
	;; [unrolled: 1-line block ×3, first 2 shown]
	v_cmp_gt_u32_e64 s[20:21], 64, v0
	s_barrier
	ds_write_b32 v21, v17
	s_waitcnt lgkmcnt(0)
	s_barrier
	s_and_saveexec_b64 s[22:23], s[20:21]
	s_cbranch_execz .LBB6973_22
; %bb.21:
	v_lshlrev_b32_e32 v21, 1, v0
	v_lshrrev_b32_e32 v22, 4, v0
	v_add_lshl_u32 v21, v22, v21, 2
	ds_read2_b32 v[22:23], v21 offset1:1
	v_mbcnt_lo_u32_b32 v24, -1, 0
	v_mbcnt_hi_u32_b32 v24, -1, v24
	v_and_b32_e32 v25, 15, v24
	v_cmp_ne_u32_e64 s[20:21], 0, v25
	s_waitcnt lgkmcnt(0)
	v_add_u32_e32 v23, v23, v22
	; wave barrier
	s_nop 1
	v_mov_b32_dpp v26, v23 row_shr:1 row_mask:0xf bank_mask:0xf
	v_cndmask_b32_e64 v26, 0, v26, s[20:21]
	v_add_u32_e32 v23, v26, v23
	v_cmp_lt_u32_e64 s[20:21], 1, v25
	s_nop 0
	v_mov_b32_dpp v26, v23 row_shr:2 row_mask:0xf bank_mask:0xf
	v_cndmask_b32_e64 v26, 0, v26, s[20:21]
	v_add_u32_e32 v23, v23, v26
	v_cmp_lt_u32_e64 s[20:21], 3, v25
	;; [unrolled: 5-line block ×3, first 2 shown]
	s_nop 0
	v_mov_b32_dpp v26, v23 row_shr:8 row_mask:0xf bank_mask:0xf
	v_cndmask_b32_e64 v25, 0, v26, s[20:21]
	v_add_u32_e32 v23, v23, v25
	v_bfe_i32 v26, v24, 4, 1
	v_cmp_lt_u32_e64 s[20:21], 31, v24
	v_mov_b32_dpp v25, v23 row_bcast:15 row_mask:0xf bank_mask:0xf
	v_and_b32_e32 v25, v26, v25
	v_add_u32_e32 v23, v23, v25
	v_and_b32_e32 v26, 64, v24
	s_nop 0
	v_mov_b32_dpp v25, v23 row_bcast:31 row_mask:0xf bank_mask:0xf
	v_cndmask_b32_e64 v25, 0, v25, s[20:21]
	v_add_u32_e32 v23, v23, v25
	v_add_u32_e32 v25, -1, v24
	v_cmp_lt_i32_e64 s[20:21], v25, v26
	v_cndmask_b32_e64 v24, v25, v24, s[20:21]
	v_lshlrev_b32_e32 v24, 2, v24
	ds_bpermute_b32 v23, v24, v23
	v_cmp_eq_u32_e64 s[20:21], 0, v0
	s_waitcnt lgkmcnt(0)
	v_add_u32_e32 v22, v23, v22
	v_cndmask_b32_e64 v22, v22, v17, s[20:21]
	ds_write_b32 v21, v22
	; wave barrier
	ds_read_b32 v23, v21 offset:4
	s_waitcnt lgkmcnt(0)
	v_add_u32_e32 v22, v23, v22
	ds_write_b32 v21, v22 offset:4
.LBB6973_22:
	s_or_b64 exec, exec, s[22:23]
	s_load_dwordx2 s[20:21], s[4:5], 0x18
	v_cmp_ne_u32_e64 s[4:5], 0, v0
	v_mov_b32_e32 v22, v17
	s_waitcnt lgkmcnt(0)
	s_barrier
	s_and_saveexec_b64 s[22:23], s[4:5]
	s_cbranch_execz .LBB6973_24
; %bb.23:
	v_add_u32_e32 v21, -1, v0
	v_lshrrev_b32_e32 v22, 5, v21
	v_add_lshl_u32 v21, v22, v21, 2
	ds_read_b32 v22, v21
.LBB6973_24:
	s_or_b64 exec, exec, s[22:23]
	v_mul_u32_u24_e32 v21, 36, v0
	v_mov_b32_e32 v0, v6
	s_and_saveexec_b64 s[22:23], s[4:5]
	s_cbranch_execz .LBB6973_26
; %bb.25:
	s_waitcnt lgkmcnt(0)
	v_add_u32_e32 v0, v22, v6
	v_add_u32_e32 v1, v0, v7
	;; [unrolled: 1-line block ×10, first 2 shown]
	;;#ASMSTART
	;;#ASMEND
.LBB6973_26:
	s_or_b64 exec, exec, s[22:23]
	v_add_u32_e32 v2, v20, v21
	s_waitcnt lgkmcnt(0)
	s_barrier
	ds_write2_b64 v2, v[0:1], v[14:15] offset1:1
	ds_write2_b64 v2, v[10:11], v[12:13] offset0:2 offset1:3
	ds_write_b64 v2, v[16:17] offset:32
	s_waitcnt lgkmcnt(0)
	s_barrier
	ds_read2st64_b32 v[8:9], v20 offset0:2 offset1:4
	ds_read2st64_b32 v[6:7], v20 offset0:6 offset1:8
	;; [unrolled: 1-line block ×4, first 2 shown]
	ds_read_b32 v10, v20 offset:4608
	v_mov_b32_e32 v1, s21
	v_add_co_u32_e64 v0, s[4:5], s20, v20
	v_addc_co_u32_e64 v1, s[4:5], 0, v1, s[4:5]
	s_and_saveexec_b64 s[4:5], vcc
	s_cbranch_execnz .LBB6973_37
; %bb.27:
	s_or_b64 exec, exec, s[4:5]
	s_and_saveexec_b64 s[4:5], s[0:1]
	s_cbranch_execnz .LBB6973_38
.LBB6973_28:
	s_or_b64 exec, exec, s[4:5]
	s_and_saveexec_b64 s[0:1], s[2:3]
	s_cbranch_execnz .LBB6973_39
.LBB6973_29:
	s_or_b64 exec, exec, s[0:1]
	s_and_saveexec_b64 s[0:1], s[18:19]
	s_cbranch_execnz .LBB6973_40
.LBB6973_30:
	s_or_b64 exec, exec, s[0:1]
	s_and_saveexec_b64 s[0:1], s[6:7]
	s_cbranch_execnz .LBB6973_41
.LBB6973_31:
	s_or_b64 exec, exec, s[0:1]
	s_and_saveexec_b64 s[0:1], s[8:9]
	s_cbranch_execnz .LBB6973_42
.LBB6973_32:
	s_or_b64 exec, exec, s[0:1]
	s_and_saveexec_b64 s[0:1], s[10:11]
	s_cbranch_execnz .LBB6973_43
.LBB6973_33:
	s_or_b64 exec, exec, s[0:1]
	s_and_saveexec_b64 s[0:1], s[12:13]
	s_cbranch_execnz .LBB6973_44
.LBB6973_34:
	s_or_b64 exec, exec, s[0:1]
	s_and_saveexec_b64 s[0:1], s[14:15]
	s_cbranch_execnz .LBB6973_45
.LBB6973_35:
	s_or_b64 exec, exec, s[0:1]
	s_and_saveexec_b64 s[0:1], s[16:17]
	s_cbranch_execnz .LBB6973_46
.LBB6973_36:
	s_endpgm
.LBB6973_37:
	ds_read_b32 v11, v20
	s_waitcnt lgkmcnt(0)
	global_store_dword v[0:1], v11, off
	s_or_b64 exec, exec, s[4:5]
	s_and_saveexec_b64 s[4:5], s[0:1]
	s_cbranch_execz .LBB6973_28
.LBB6973_38:
	s_waitcnt lgkmcnt(4)
	global_store_dword v[0:1], v8, off offset:512
	s_or_b64 exec, exec, s[4:5]
	s_and_saveexec_b64 s[0:1], s[2:3]
	s_cbranch_execz .LBB6973_29
.LBB6973_39:
	s_waitcnt lgkmcnt(4)
	global_store_dword v[0:1], v9, off offset:1024
	s_or_b64 exec, exec, s[0:1]
	s_and_saveexec_b64 s[0:1], s[18:19]
	s_cbranch_execz .LBB6973_30
.LBB6973_40:
	s_waitcnt lgkmcnt(3)
	global_store_dword v[0:1], v6, off offset:1536
	s_or_b64 exec, exec, s[0:1]
	s_and_saveexec_b64 s[0:1], s[6:7]
	s_cbranch_execz .LBB6973_31
.LBB6973_41:
	s_waitcnt lgkmcnt(3)
	global_store_dword v[0:1], v7, off offset:2048
	s_or_b64 exec, exec, s[0:1]
	s_and_saveexec_b64 s[0:1], s[8:9]
	s_cbranch_execz .LBB6973_32
.LBB6973_42:
	s_waitcnt lgkmcnt(2)
	global_store_dword v[0:1], v4, off offset:2560
	s_or_b64 exec, exec, s[0:1]
	s_and_saveexec_b64 s[0:1], s[10:11]
	s_cbranch_execz .LBB6973_33
.LBB6973_43:
	s_waitcnt lgkmcnt(2)
	global_store_dword v[0:1], v5, off offset:3072
	s_or_b64 exec, exec, s[0:1]
	s_and_saveexec_b64 s[0:1], s[12:13]
	s_cbranch_execz .LBB6973_34
.LBB6973_44:
	s_waitcnt lgkmcnt(1)
	global_store_dword v[0:1], v2, off offset:3584
	s_or_b64 exec, exec, s[0:1]
	s_and_saveexec_b64 s[0:1], s[14:15]
	s_cbranch_execz .LBB6973_35
.LBB6973_45:
	s_waitcnt lgkmcnt(2)
	v_add_co_u32_e32 v4, vcc, 0x1000, v0
	v_addc_co_u32_e32 v5, vcc, 0, v1, vcc
	s_waitcnt lgkmcnt(1)
	global_store_dword v[4:5], v3, off
	s_or_b64 exec, exec, s[0:1]
	s_and_saveexec_b64 s[0:1], s[16:17]
	s_cbranch_execz .LBB6973_36
.LBB6973_46:
	v_add_co_u32_e32 v0, vcc, 0x1000, v0
	v_addc_co_u32_e32 v1, vcc, 0, v1, vcc
	s_waitcnt lgkmcnt(0)
	global_store_dword v[0:1], v10, off offset:512
	s_endpgm
	.section	.rodata,"a",@progbits
	.p2align	6, 0x0
	.amdhsa_kernel _ZN7rocprim17ROCPRIM_400000_NS6detail17trampoline_kernelINS0_14default_configENS1_20scan_config_selectorI3IntEEZZNS1_9scan_implILNS1_25lookback_scan_determinismE0ELb0ELb0ES3_N6thrust23THRUST_200600_302600_NS6detail15normal_iteratorINSA_10device_ptrIKS5_EEEENSC_INSD_IS5_EEEES5_NSA_4plusIvEES5_EEDaPvRmT3_T4_T5_mT6_P12ihipStream_tbENKUlT_T0_E_clISt17integral_constantIbLb0EESX_IbLb1EEEEDaST_SU_EUlST_E0_NS1_11comp_targetILNS1_3genE4ELNS1_11target_archE910ELNS1_3gpuE8ELNS1_3repE0EEENS1_30default_config_static_selectorELNS0_4arch9wavefront6targetE1EEEvT1_
		.amdhsa_group_segment_fixed_size 5120
		.amdhsa_private_segment_fixed_size 0
		.amdhsa_kernarg_size 32
		.amdhsa_user_sgpr_count 6
		.amdhsa_user_sgpr_private_segment_buffer 1
		.amdhsa_user_sgpr_dispatch_ptr 0
		.amdhsa_user_sgpr_queue_ptr 0
		.amdhsa_user_sgpr_kernarg_segment_ptr 1
		.amdhsa_user_sgpr_dispatch_id 0
		.amdhsa_user_sgpr_flat_scratch_init 0
		.amdhsa_user_sgpr_kernarg_preload_length 0
		.amdhsa_user_sgpr_kernarg_preload_offset 0
		.amdhsa_user_sgpr_private_segment_size 0
		.amdhsa_uses_dynamic_stack 0
		.amdhsa_system_sgpr_private_segment_wavefront_offset 0
		.amdhsa_system_sgpr_workgroup_id_x 1
		.amdhsa_system_sgpr_workgroup_id_y 0
		.amdhsa_system_sgpr_workgroup_id_z 0
		.amdhsa_system_sgpr_workgroup_info 0
		.amdhsa_system_vgpr_workitem_id 0
		.amdhsa_next_free_vgpr 27
		.amdhsa_next_free_sgpr 24
		.amdhsa_accum_offset 28
		.amdhsa_reserve_vcc 1
		.amdhsa_reserve_flat_scratch 0
		.amdhsa_float_round_mode_32 0
		.amdhsa_float_round_mode_16_64 0
		.amdhsa_float_denorm_mode_32 3
		.amdhsa_float_denorm_mode_16_64 3
		.amdhsa_dx10_clamp 1
		.amdhsa_ieee_mode 1
		.amdhsa_fp16_overflow 0
		.amdhsa_tg_split 0
		.amdhsa_exception_fp_ieee_invalid_op 0
		.amdhsa_exception_fp_denorm_src 0
		.amdhsa_exception_fp_ieee_div_zero 0
		.amdhsa_exception_fp_ieee_overflow 0
		.amdhsa_exception_fp_ieee_underflow 0
		.amdhsa_exception_fp_ieee_inexact 0
		.amdhsa_exception_int_div_zero 0
	.end_amdhsa_kernel
	.section	.text._ZN7rocprim17ROCPRIM_400000_NS6detail17trampoline_kernelINS0_14default_configENS1_20scan_config_selectorI3IntEEZZNS1_9scan_implILNS1_25lookback_scan_determinismE0ELb0ELb0ES3_N6thrust23THRUST_200600_302600_NS6detail15normal_iteratorINSA_10device_ptrIKS5_EEEENSC_INSD_IS5_EEEES5_NSA_4plusIvEES5_EEDaPvRmT3_T4_T5_mT6_P12ihipStream_tbENKUlT_T0_E_clISt17integral_constantIbLb0EESX_IbLb1EEEEDaST_SU_EUlST_E0_NS1_11comp_targetILNS1_3genE4ELNS1_11target_archE910ELNS1_3gpuE8ELNS1_3repE0EEENS1_30default_config_static_selectorELNS0_4arch9wavefront6targetE1EEEvT1_,"axG",@progbits,_ZN7rocprim17ROCPRIM_400000_NS6detail17trampoline_kernelINS0_14default_configENS1_20scan_config_selectorI3IntEEZZNS1_9scan_implILNS1_25lookback_scan_determinismE0ELb0ELb0ES3_N6thrust23THRUST_200600_302600_NS6detail15normal_iteratorINSA_10device_ptrIKS5_EEEENSC_INSD_IS5_EEEES5_NSA_4plusIvEES5_EEDaPvRmT3_T4_T5_mT6_P12ihipStream_tbENKUlT_T0_E_clISt17integral_constantIbLb0EESX_IbLb1EEEEDaST_SU_EUlST_E0_NS1_11comp_targetILNS1_3genE4ELNS1_11target_archE910ELNS1_3gpuE8ELNS1_3repE0EEENS1_30default_config_static_selectorELNS0_4arch9wavefront6targetE1EEEvT1_,comdat
.Lfunc_end6973:
	.size	_ZN7rocprim17ROCPRIM_400000_NS6detail17trampoline_kernelINS0_14default_configENS1_20scan_config_selectorI3IntEEZZNS1_9scan_implILNS1_25lookback_scan_determinismE0ELb0ELb0ES3_N6thrust23THRUST_200600_302600_NS6detail15normal_iteratorINSA_10device_ptrIKS5_EEEENSC_INSD_IS5_EEEES5_NSA_4plusIvEES5_EEDaPvRmT3_T4_T5_mT6_P12ihipStream_tbENKUlT_T0_E_clISt17integral_constantIbLb0EESX_IbLb1EEEEDaST_SU_EUlST_E0_NS1_11comp_targetILNS1_3genE4ELNS1_11target_archE910ELNS1_3gpuE8ELNS1_3repE0EEENS1_30default_config_static_selectorELNS0_4arch9wavefront6targetE1EEEvT1_, .Lfunc_end6973-_ZN7rocprim17ROCPRIM_400000_NS6detail17trampoline_kernelINS0_14default_configENS1_20scan_config_selectorI3IntEEZZNS1_9scan_implILNS1_25lookback_scan_determinismE0ELb0ELb0ES3_N6thrust23THRUST_200600_302600_NS6detail15normal_iteratorINSA_10device_ptrIKS5_EEEENSC_INSD_IS5_EEEES5_NSA_4plusIvEES5_EEDaPvRmT3_T4_T5_mT6_P12ihipStream_tbENKUlT_T0_E_clISt17integral_constantIbLb0EESX_IbLb1EEEEDaST_SU_EUlST_E0_NS1_11comp_targetILNS1_3genE4ELNS1_11target_archE910ELNS1_3gpuE8ELNS1_3repE0EEENS1_30default_config_static_selectorELNS0_4arch9wavefront6targetE1EEEvT1_
                                        ; -- End function
	.section	.AMDGPU.csdata,"",@progbits
; Kernel info:
; codeLenInByte = 1556
; NumSgprs: 28
; NumVgprs: 27
; NumAgprs: 0
; TotalNumVgprs: 27
; ScratchSize: 0
; MemoryBound: 0
; FloatMode: 240
; IeeeMode: 1
; LDSByteSize: 5120 bytes/workgroup (compile time only)
; SGPRBlocks: 3
; VGPRBlocks: 3
; NumSGPRsForWavesPerEU: 28
; NumVGPRsForWavesPerEU: 27
; AccumOffset: 28
; Occupancy: 6
; WaveLimiterHint : 0
; COMPUTE_PGM_RSRC2:SCRATCH_EN: 0
; COMPUTE_PGM_RSRC2:USER_SGPR: 6
; COMPUTE_PGM_RSRC2:TRAP_HANDLER: 0
; COMPUTE_PGM_RSRC2:TGID_X_EN: 1
; COMPUTE_PGM_RSRC2:TGID_Y_EN: 0
; COMPUTE_PGM_RSRC2:TGID_Z_EN: 0
; COMPUTE_PGM_RSRC2:TIDIG_COMP_CNT: 0
; COMPUTE_PGM_RSRC3_GFX90A:ACCUM_OFFSET: 6
; COMPUTE_PGM_RSRC3_GFX90A:TG_SPLIT: 0
	.section	.text._ZN7rocprim17ROCPRIM_400000_NS6detail17trampoline_kernelINS0_14default_configENS1_20scan_config_selectorI3IntEEZZNS1_9scan_implILNS1_25lookback_scan_determinismE0ELb0ELb0ES3_N6thrust23THRUST_200600_302600_NS6detail15normal_iteratorINSA_10device_ptrIKS5_EEEENSC_INSD_IS5_EEEES5_NSA_4plusIvEES5_EEDaPvRmT3_T4_T5_mT6_P12ihipStream_tbENKUlT_T0_E_clISt17integral_constantIbLb0EESX_IbLb1EEEEDaST_SU_EUlST_E0_NS1_11comp_targetILNS1_3genE3ELNS1_11target_archE908ELNS1_3gpuE7ELNS1_3repE0EEENS1_30default_config_static_selectorELNS0_4arch9wavefront6targetE1EEEvT1_,"axG",@progbits,_ZN7rocprim17ROCPRIM_400000_NS6detail17trampoline_kernelINS0_14default_configENS1_20scan_config_selectorI3IntEEZZNS1_9scan_implILNS1_25lookback_scan_determinismE0ELb0ELb0ES3_N6thrust23THRUST_200600_302600_NS6detail15normal_iteratorINSA_10device_ptrIKS5_EEEENSC_INSD_IS5_EEEES5_NSA_4plusIvEES5_EEDaPvRmT3_T4_T5_mT6_P12ihipStream_tbENKUlT_T0_E_clISt17integral_constantIbLb0EESX_IbLb1EEEEDaST_SU_EUlST_E0_NS1_11comp_targetILNS1_3genE3ELNS1_11target_archE908ELNS1_3gpuE7ELNS1_3repE0EEENS1_30default_config_static_selectorELNS0_4arch9wavefront6targetE1EEEvT1_,comdat
	.protected	_ZN7rocprim17ROCPRIM_400000_NS6detail17trampoline_kernelINS0_14default_configENS1_20scan_config_selectorI3IntEEZZNS1_9scan_implILNS1_25lookback_scan_determinismE0ELb0ELb0ES3_N6thrust23THRUST_200600_302600_NS6detail15normal_iteratorINSA_10device_ptrIKS5_EEEENSC_INSD_IS5_EEEES5_NSA_4plusIvEES5_EEDaPvRmT3_T4_T5_mT6_P12ihipStream_tbENKUlT_T0_E_clISt17integral_constantIbLb0EESX_IbLb1EEEEDaST_SU_EUlST_E0_NS1_11comp_targetILNS1_3genE3ELNS1_11target_archE908ELNS1_3gpuE7ELNS1_3repE0EEENS1_30default_config_static_selectorELNS0_4arch9wavefront6targetE1EEEvT1_ ; -- Begin function _ZN7rocprim17ROCPRIM_400000_NS6detail17trampoline_kernelINS0_14default_configENS1_20scan_config_selectorI3IntEEZZNS1_9scan_implILNS1_25lookback_scan_determinismE0ELb0ELb0ES3_N6thrust23THRUST_200600_302600_NS6detail15normal_iteratorINSA_10device_ptrIKS5_EEEENSC_INSD_IS5_EEEES5_NSA_4plusIvEES5_EEDaPvRmT3_T4_T5_mT6_P12ihipStream_tbENKUlT_T0_E_clISt17integral_constantIbLb0EESX_IbLb1EEEEDaST_SU_EUlST_E0_NS1_11comp_targetILNS1_3genE3ELNS1_11target_archE908ELNS1_3gpuE7ELNS1_3repE0EEENS1_30default_config_static_selectorELNS0_4arch9wavefront6targetE1EEEvT1_
	.globl	_ZN7rocprim17ROCPRIM_400000_NS6detail17trampoline_kernelINS0_14default_configENS1_20scan_config_selectorI3IntEEZZNS1_9scan_implILNS1_25lookback_scan_determinismE0ELb0ELb0ES3_N6thrust23THRUST_200600_302600_NS6detail15normal_iteratorINSA_10device_ptrIKS5_EEEENSC_INSD_IS5_EEEES5_NSA_4plusIvEES5_EEDaPvRmT3_T4_T5_mT6_P12ihipStream_tbENKUlT_T0_E_clISt17integral_constantIbLb0EESX_IbLb1EEEEDaST_SU_EUlST_E0_NS1_11comp_targetILNS1_3genE3ELNS1_11target_archE908ELNS1_3gpuE7ELNS1_3repE0EEENS1_30default_config_static_selectorELNS0_4arch9wavefront6targetE1EEEvT1_
	.p2align	8
	.type	_ZN7rocprim17ROCPRIM_400000_NS6detail17trampoline_kernelINS0_14default_configENS1_20scan_config_selectorI3IntEEZZNS1_9scan_implILNS1_25lookback_scan_determinismE0ELb0ELb0ES3_N6thrust23THRUST_200600_302600_NS6detail15normal_iteratorINSA_10device_ptrIKS5_EEEENSC_INSD_IS5_EEEES5_NSA_4plusIvEES5_EEDaPvRmT3_T4_T5_mT6_P12ihipStream_tbENKUlT_T0_E_clISt17integral_constantIbLb0EESX_IbLb1EEEEDaST_SU_EUlST_E0_NS1_11comp_targetILNS1_3genE3ELNS1_11target_archE908ELNS1_3gpuE7ELNS1_3repE0EEENS1_30default_config_static_selectorELNS0_4arch9wavefront6targetE1EEEvT1_,@function
_ZN7rocprim17ROCPRIM_400000_NS6detail17trampoline_kernelINS0_14default_configENS1_20scan_config_selectorI3IntEEZZNS1_9scan_implILNS1_25lookback_scan_determinismE0ELb0ELb0ES3_N6thrust23THRUST_200600_302600_NS6detail15normal_iteratorINSA_10device_ptrIKS5_EEEENSC_INSD_IS5_EEEES5_NSA_4plusIvEES5_EEDaPvRmT3_T4_T5_mT6_P12ihipStream_tbENKUlT_T0_E_clISt17integral_constantIbLb0EESX_IbLb1EEEEDaST_SU_EUlST_E0_NS1_11comp_targetILNS1_3genE3ELNS1_11target_archE908ELNS1_3gpuE7ELNS1_3repE0EEENS1_30default_config_static_selectorELNS0_4arch9wavefront6targetE1EEEvT1_: ; @_ZN7rocprim17ROCPRIM_400000_NS6detail17trampoline_kernelINS0_14default_configENS1_20scan_config_selectorI3IntEEZZNS1_9scan_implILNS1_25lookback_scan_determinismE0ELb0ELb0ES3_N6thrust23THRUST_200600_302600_NS6detail15normal_iteratorINSA_10device_ptrIKS5_EEEENSC_INSD_IS5_EEEES5_NSA_4plusIvEES5_EEDaPvRmT3_T4_T5_mT6_P12ihipStream_tbENKUlT_T0_E_clISt17integral_constantIbLb0EESX_IbLb1EEEEDaST_SU_EUlST_E0_NS1_11comp_targetILNS1_3genE3ELNS1_11target_archE908ELNS1_3gpuE7ELNS1_3repE0EEENS1_30default_config_static_selectorELNS0_4arch9wavefront6targetE1EEEvT1_
; %bb.0:
	.section	.rodata,"a",@progbits
	.p2align	6, 0x0
	.amdhsa_kernel _ZN7rocprim17ROCPRIM_400000_NS6detail17trampoline_kernelINS0_14default_configENS1_20scan_config_selectorI3IntEEZZNS1_9scan_implILNS1_25lookback_scan_determinismE0ELb0ELb0ES3_N6thrust23THRUST_200600_302600_NS6detail15normal_iteratorINSA_10device_ptrIKS5_EEEENSC_INSD_IS5_EEEES5_NSA_4plusIvEES5_EEDaPvRmT3_T4_T5_mT6_P12ihipStream_tbENKUlT_T0_E_clISt17integral_constantIbLb0EESX_IbLb1EEEEDaST_SU_EUlST_E0_NS1_11comp_targetILNS1_3genE3ELNS1_11target_archE908ELNS1_3gpuE7ELNS1_3repE0EEENS1_30default_config_static_selectorELNS0_4arch9wavefront6targetE1EEEvT1_
		.amdhsa_group_segment_fixed_size 0
		.amdhsa_private_segment_fixed_size 0
		.amdhsa_kernarg_size 32
		.amdhsa_user_sgpr_count 6
		.amdhsa_user_sgpr_private_segment_buffer 1
		.amdhsa_user_sgpr_dispatch_ptr 0
		.amdhsa_user_sgpr_queue_ptr 0
		.amdhsa_user_sgpr_kernarg_segment_ptr 1
		.amdhsa_user_sgpr_dispatch_id 0
		.amdhsa_user_sgpr_flat_scratch_init 0
		.amdhsa_user_sgpr_kernarg_preload_length 0
		.amdhsa_user_sgpr_kernarg_preload_offset 0
		.amdhsa_user_sgpr_private_segment_size 0
		.amdhsa_uses_dynamic_stack 0
		.amdhsa_system_sgpr_private_segment_wavefront_offset 0
		.amdhsa_system_sgpr_workgroup_id_x 1
		.amdhsa_system_sgpr_workgroup_id_y 0
		.amdhsa_system_sgpr_workgroup_id_z 0
		.amdhsa_system_sgpr_workgroup_info 0
		.amdhsa_system_vgpr_workitem_id 0
		.amdhsa_next_free_vgpr 1
		.amdhsa_next_free_sgpr 0
		.amdhsa_accum_offset 4
		.amdhsa_reserve_vcc 0
		.amdhsa_reserve_flat_scratch 0
		.amdhsa_float_round_mode_32 0
		.amdhsa_float_round_mode_16_64 0
		.amdhsa_float_denorm_mode_32 3
		.amdhsa_float_denorm_mode_16_64 3
		.amdhsa_dx10_clamp 1
		.amdhsa_ieee_mode 1
		.amdhsa_fp16_overflow 0
		.amdhsa_tg_split 0
		.amdhsa_exception_fp_ieee_invalid_op 0
		.amdhsa_exception_fp_denorm_src 0
		.amdhsa_exception_fp_ieee_div_zero 0
		.amdhsa_exception_fp_ieee_overflow 0
		.amdhsa_exception_fp_ieee_underflow 0
		.amdhsa_exception_fp_ieee_inexact 0
		.amdhsa_exception_int_div_zero 0
	.end_amdhsa_kernel
	.section	.text._ZN7rocprim17ROCPRIM_400000_NS6detail17trampoline_kernelINS0_14default_configENS1_20scan_config_selectorI3IntEEZZNS1_9scan_implILNS1_25lookback_scan_determinismE0ELb0ELb0ES3_N6thrust23THRUST_200600_302600_NS6detail15normal_iteratorINSA_10device_ptrIKS5_EEEENSC_INSD_IS5_EEEES5_NSA_4plusIvEES5_EEDaPvRmT3_T4_T5_mT6_P12ihipStream_tbENKUlT_T0_E_clISt17integral_constantIbLb0EESX_IbLb1EEEEDaST_SU_EUlST_E0_NS1_11comp_targetILNS1_3genE3ELNS1_11target_archE908ELNS1_3gpuE7ELNS1_3repE0EEENS1_30default_config_static_selectorELNS0_4arch9wavefront6targetE1EEEvT1_,"axG",@progbits,_ZN7rocprim17ROCPRIM_400000_NS6detail17trampoline_kernelINS0_14default_configENS1_20scan_config_selectorI3IntEEZZNS1_9scan_implILNS1_25lookback_scan_determinismE0ELb0ELb0ES3_N6thrust23THRUST_200600_302600_NS6detail15normal_iteratorINSA_10device_ptrIKS5_EEEENSC_INSD_IS5_EEEES5_NSA_4plusIvEES5_EEDaPvRmT3_T4_T5_mT6_P12ihipStream_tbENKUlT_T0_E_clISt17integral_constantIbLb0EESX_IbLb1EEEEDaST_SU_EUlST_E0_NS1_11comp_targetILNS1_3genE3ELNS1_11target_archE908ELNS1_3gpuE7ELNS1_3repE0EEENS1_30default_config_static_selectorELNS0_4arch9wavefront6targetE1EEEvT1_,comdat
.Lfunc_end6974:
	.size	_ZN7rocprim17ROCPRIM_400000_NS6detail17trampoline_kernelINS0_14default_configENS1_20scan_config_selectorI3IntEEZZNS1_9scan_implILNS1_25lookback_scan_determinismE0ELb0ELb0ES3_N6thrust23THRUST_200600_302600_NS6detail15normal_iteratorINSA_10device_ptrIKS5_EEEENSC_INSD_IS5_EEEES5_NSA_4plusIvEES5_EEDaPvRmT3_T4_T5_mT6_P12ihipStream_tbENKUlT_T0_E_clISt17integral_constantIbLb0EESX_IbLb1EEEEDaST_SU_EUlST_E0_NS1_11comp_targetILNS1_3genE3ELNS1_11target_archE908ELNS1_3gpuE7ELNS1_3repE0EEENS1_30default_config_static_selectorELNS0_4arch9wavefront6targetE1EEEvT1_, .Lfunc_end6974-_ZN7rocprim17ROCPRIM_400000_NS6detail17trampoline_kernelINS0_14default_configENS1_20scan_config_selectorI3IntEEZZNS1_9scan_implILNS1_25lookback_scan_determinismE0ELb0ELb0ES3_N6thrust23THRUST_200600_302600_NS6detail15normal_iteratorINSA_10device_ptrIKS5_EEEENSC_INSD_IS5_EEEES5_NSA_4plusIvEES5_EEDaPvRmT3_T4_T5_mT6_P12ihipStream_tbENKUlT_T0_E_clISt17integral_constantIbLb0EESX_IbLb1EEEEDaST_SU_EUlST_E0_NS1_11comp_targetILNS1_3genE3ELNS1_11target_archE908ELNS1_3gpuE7ELNS1_3repE0EEENS1_30default_config_static_selectorELNS0_4arch9wavefront6targetE1EEEvT1_
                                        ; -- End function
	.section	.AMDGPU.csdata,"",@progbits
; Kernel info:
; codeLenInByte = 0
; NumSgprs: 4
; NumVgprs: 0
; NumAgprs: 0
; TotalNumVgprs: 0
; ScratchSize: 0
; MemoryBound: 0
; FloatMode: 240
; IeeeMode: 1
; LDSByteSize: 0 bytes/workgroup (compile time only)
; SGPRBlocks: 0
; VGPRBlocks: 0
; NumSGPRsForWavesPerEU: 4
; NumVGPRsForWavesPerEU: 1
; AccumOffset: 4
; Occupancy: 8
; WaveLimiterHint : 0
; COMPUTE_PGM_RSRC2:SCRATCH_EN: 0
; COMPUTE_PGM_RSRC2:USER_SGPR: 6
; COMPUTE_PGM_RSRC2:TRAP_HANDLER: 0
; COMPUTE_PGM_RSRC2:TGID_X_EN: 1
; COMPUTE_PGM_RSRC2:TGID_Y_EN: 0
; COMPUTE_PGM_RSRC2:TGID_Z_EN: 0
; COMPUTE_PGM_RSRC2:TIDIG_COMP_CNT: 0
; COMPUTE_PGM_RSRC3_GFX90A:ACCUM_OFFSET: 0
; COMPUTE_PGM_RSRC3_GFX90A:TG_SPLIT: 0
	.section	.text._ZN7rocprim17ROCPRIM_400000_NS6detail17trampoline_kernelINS0_14default_configENS1_20scan_config_selectorI3IntEEZZNS1_9scan_implILNS1_25lookback_scan_determinismE0ELb0ELb0ES3_N6thrust23THRUST_200600_302600_NS6detail15normal_iteratorINSA_10device_ptrIKS5_EEEENSC_INSD_IS5_EEEES5_NSA_4plusIvEES5_EEDaPvRmT3_T4_T5_mT6_P12ihipStream_tbENKUlT_T0_E_clISt17integral_constantIbLb0EESX_IbLb1EEEEDaST_SU_EUlST_E0_NS1_11comp_targetILNS1_3genE2ELNS1_11target_archE906ELNS1_3gpuE6ELNS1_3repE0EEENS1_30default_config_static_selectorELNS0_4arch9wavefront6targetE1EEEvT1_,"axG",@progbits,_ZN7rocprim17ROCPRIM_400000_NS6detail17trampoline_kernelINS0_14default_configENS1_20scan_config_selectorI3IntEEZZNS1_9scan_implILNS1_25lookback_scan_determinismE0ELb0ELb0ES3_N6thrust23THRUST_200600_302600_NS6detail15normal_iteratorINSA_10device_ptrIKS5_EEEENSC_INSD_IS5_EEEES5_NSA_4plusIvEES5_EEDaPvRmT3_T4_T5_mT6_P12ihipStream_tbENKUlT_T0_E_clISt17integral_constantIbLb0EESX_IbLb1EEEEDaST_SU_EUlST_E0_NS1_11comp_targetILNS1_3genE2ELNS1_11target_archE906ELNS1_3gpuE6ELNS1_3repE0EEENS1_30default_config_static_selectorELNS0_4arch9wavefront6targetE1EEEvT1_,comdat
	.protected	_ZN7rocprim17ROCPRIM_400000_NS6detail17trampoline_kernelINS0_14default_configENS1_20scan_config_selectorI3IntEEZZNS1_9scan_implILNS1_25lookback_scan_determinismE0ELb0ELb0ES3_N6thrust23THRUST_200600_302600_NS6detail15normal_iteratorINSA_10device_ptrIKS5_EEEENSC_INSD_IS5_EEEES5_NSA_4plusIvEES5_EEDaPvRmT3_T4_T5_mT6_P12ihipStream_tbENKUlT_T0_E_clISt17integral_constantIbLb0EESX_IbLb1EEEEDaST_SU_EUlST_E0_NS1_11comp_targetILNS1_3genE2ELNS1_11target_archE906ELNS1_3gpuE6ELNS1_3repE0EEENS1_30default_config_static_selectorELNS0_4arch9wavefront6targetE1EEEvT1_ ; -- Begin function _ZN7rocprim17ROCPRIM_400000_NS6detail17trampoline_kernelINS0_14default_configENS1_20scan_config_selectorI3IntEEZZNS1_9scan_implILNS1_25lookback_scan_determinismE0ELb0ELb0ES3_N6thrust23THRUST_200600_302600_NS6detail15normal_iteratorINSA_10device_ptrIKS5_EEEENSC_INSD_IS5_EEEES5_NSA_4plusIvEES5_EEDaPvRmT3_T4_T5_mT6_P12ihipStream_tbENKUlT_T0_E_clISt17integral_constantIbLb0EESX_IbLb1EEEEDaST_SU_EUlST_E0_NS1_11comp_targetILNS1_3genE2ELNS1_11target_archE906ELNS1_3gpuE6ELNS1_3repE0EEENS1_30default_config_static_selectorELNS0_4arch9wavefront6targetE1EEEvT1_
	.globl	_ZN7rocprim17ROCPRIM_400000_NS6detail17trampoline_kernelINS0_14default_configENS1_20scan_config_selectorI3IntEEZZNS1_9scan_implILNS1_25lookback_scan_determinismE0ELb0ELb0ES3_N6thrust23THRUST_200600_302600_NS6detail15normal_iteratorINSA_10device_ptrIKS5_EEEENSC_INSD_IS5_EEEES5_NSA_4plusIvEES5_EEDaPvRmT3_T4_T5_mT6_P12ihipStream_tbENKUlT_T0_E_clISt17integral_constantIbLb0EESX_IbLb1EEEEDaST_SU_EUlST_E0_NS1_11comp_targetILNS1_3genE2ELNS1_11target_archE906ELNS1_3gpuE6ELNS1_3repE0EEENS1_30default_config_static_selectorELNS0_4arch9wavefront6targetE1EEEvT1_
	.p2align	8
	.type	_ZN7rocprim17ROCPRIM_400000_NS6detail17trampoline_kernelINS0_14default_configENS1_20scan_config_selectorI3IntEEZZNS1_9scan_implILNS1_25lookback_scan_determinismE0ELb0ELb0ES3_N6thrust23THRUST_200600_302600_NS6detail15normal_iteratorINSA_10device_ptrIKS5_EEEENSC_INSD_IS5_EEEES5_NSA_4plusIvEES5_EEDaPvRmT3_T4_T5_mT6_P12ihipStream_tbENKUlT_T0_E_clISt17integral_constantIbLb0EESX_IbLb1EEEEDaST_SU_EUlST_E0_NS1_11comp_targetILNS1_3genE2ELNS1_11target_archE906ELNS1_3gpuE6ELNS1_3repE0EEENS1_30default_config_static_selectorELNS0_4arch9wavefront6targetE1EEEvT1_,@function
_ZN7rocprim17ROCPRIM_400000_NS6detail17trampoline_kernelINS0_14default_configENS1_20scan_config_selectorI3IntEEZZNS1_9scan_implILNS1_25lookback_scan_determinismE0ELb0ELb0ES3_N6thrust23THRUST_200600_302600_NS6detail15normal_iteratorINSA_10device_ptrIKS5_EEEENSC_INSD_IS5_EEEES5_NSA_4plusIvEES5_EEDaPvRmT3_T4_T5_mT6_P12ihipStream_tbENKUlT_T0_E_clISt17integral_constantIbLb0EESX_IbLb1EEEEDaST_SU_EUlST_E0_NS1_11comp_targetILNS1_3genE2ELNS1_11target_archE906ELNS1_3gpuE6ELNS1_3repE0EEENS1_30default_config_static_selectorELNS0_4arch9wavefront6targetE1EEEvT1_: ; @_ZN7rocprim17ROCPRIM_400000_NS6detail17trampoline_kernelINS0_14default_configENS1_20scan_config_selectorI3IntEEZZNS1_9scan_implILNS1_25lookback_scan_determinismE0ELb0ELb0ES3_N6thrust23THRUST_200600_302600_NS6detail15normal_iteratorINSA_10device_ptrIKS5_EEEENSC_INSD_IS5_EEEES5_NSA_4plusIvEES5_EEDaPvRmT3_T4_T5_mT6_P12ihipStream_tbENKUlT_T0_E_clISt17integral_constantIbLb0EESX_IbLb1EEEEDaST_SU_EUlST_E0_NS1_11comp_targetILNS1_3genE2ELNS1_11target_archE906ELNS1_3gpuE6ELNS1_3repE0EEENS1_30default_config_static_selectorELNS0_4arch9wavefront6targetE1EEEvT1_
; %bb.0:
	.section	.rodata,"a",@progbits
	.p2align	6, 0x0
	.amdhsa_kernel _ZN7rocprim17ROCPRIM_400000_NS6detail17trampoline_kernelINS0_14default_configENS1_20scan_config_selectorI3IntEEZZNS1_9scan_implILNS1_25lookback_scan_determinismE0ELb0ELb0ES3_N6thrust23THRUST_200600_302600_NS6detail15normal_iteratorINSA_10device_ptrIKS5_EEEENSC_INSD_IS5_EEEES5_NSA_4plusIvEES5_EEDaPvRmT3_T4_T5_mT6_P12ihipStream_tbENKUlT_T0_E_clISt17integral_constantIbLb0EESX_IbLb1EEEEDaST_SU_EUlST_E0_NS1_11comp_targetILNS1_3genE2ELNS1_11target_archE906ELNS1_3gpuE6ELNS1_3repE0EEENS1_30default_config_static_selectorELNS0_4arch9wavefront6targetE1EEEvT1_
		.amdhsa_group_segment_fixed_size 0
		.amdhsa_private_segment_fixed_size 0
		.amdhsa_kernarg_size 32
		.amdhsa_user_sgpr_count 6
		.amdhsa_user_sgpr_private_segment_buffer 1
		.amdhsa_user_sgpr_dispatch_ptr 0
		.amdhsa_user_sgpr_queue_ptr 0
		.amdhsa_user_sgpr_kernarg_segment_ptr 1
		.amdhsa_user_sgpr_dispatch_id 0
		.amdhsa_user_sgpr_flat_scratch_init 0
		.amdhsa_user_sgpr_kernarg_preload_length 0
		.amdhsa_user_sgpr_kernarg_preload_offset 0
		.amdhsa_user_sgpr_private_segment_size 0
		.amdhsa_uses_dynamic_stack 0
		.amdhsa_system_sgpr_private_segment_wavefront_offset 0
		.amdhsa_system_sgpr_workgroup_id_x 1
		.amdhsa_system_sgpr_workgroup_id_y 0
		.amdhsa_system_sgpr_workgroup_id_z 0
		.amdhsa_system_sgpr_workgroup_info 0
		.amdhsa_system_vgpr_workitem_id 0
		.amdhsa_next_free_vgpr 1
		.amdhsa_next_free_sgpr 0
		.amdhsa_accum_offset 4
		.amdhsa_reserve_vcc 0
		.amdhsa_reserve_flat_scratch 0
		.amdhsa_float_round_mode_32 0
		.amdhsa_float_round_mode_16_64 0
		.amdhsa_float_denorm_mode_32 3
		.amdhsa_float_denorm_mode_16_64 3
		.amdhsa_dx10_clamp 1
		.amdhsa_ieee_mode 1
		.amdhsa_fp16_overflow 0
		.amdhsa_tg_split 0
		.amdhsa_exception_fp_ieee_invalid_op 0
		.amdhsa_exception_fp_denorm_src 0
		.amdhsa_exception_fp_ieee_div_zero 0
		.amdhsa_exception_fp_ieee_overflow 0
		.amdhsa_exception_fp_ieee_underflow 0
		.amdhsa_exception_fp_ieee_inexact 0
		.amdhsa_exception_int_div_zero 0
	.end_amdhsa_kernel
	.section	.text._ZN7rocprim17ROCPRIM_400000_NS6detail17trampoline_kernelINS0_14default_configENS1_20scan_config_selectorI3IntEEZZNS1_9scan_implILNS1_25lookback_scan_determinismE0ELb0ELb0ES3_N6thrust23THRUST_200600_302600_NS6detail15normal_iteratorINSA_10device_ptrIKS5_EEEENSC_INSD_IS5_EEEES5_NSA_4plusIvEES5_EEDaPvRmT3_T4_T5_mT6_P12ihipStream_tbENKUlT_T0_E_clISt17integral_constantIbLb0EESX_IbLb1EEEEDaST_SU_EUlST_E0_NS1_11comp_targetILNS1_3genE2ELNS1_11target_archE906ELNS1_3gpuE6ELNS1_3repE0EEENS1_30default_config_static_selectorELNS0_4arch9wavefront6targetE1EEEvT1_,"axG",@progbits,_ZN7rocprim17ROCPRIM_400000_NS6detail17trampoline_kernelINS0_14default_configENS1_20scan_config_selectorI3IntEEZZNS1_9scan_implILNS1_25lookback_scan_determinismE0ELb0ELb0ES3_N6thrust23THRUST_200600_302600_NS6detail15normal_iteratorINSA_10device_ptrIKS5_EEEENSC_INSD_IS5_EEEES5_NSA_4plusIvEES5_EEDaPvRmT3_T4_T5_mT6_P12ihipStream_tbENKUlT_T0_E_clISt17integral_constantIbLb0EESX_IbLb1EEEEDaST_SU_EUlST_E0_NS1_11comp_targetILNS1_3genE2ELNS1_11target_archE906ELNS1_3gpuE6ELNS1_3repE0EEENS1_30default_config_static_selectorELNS0_4arch9wavefront6targetE1EEEvT1_,comdat
.Lfunc_end6975:
	.size	_ZN7rocprim17ROCPRIM_400000_NS6detail17trampoline_kernelINS0_14default_configENS1_20scan_config_selectorI3IntEEZZNS1_9scan_implILNS1_25lookback_scan_determinismE0ELb0ELb0ES3_N6thrust23THRUST_200600_302600_NS6detail15normal_iteratorINSA_10device_ptrIKS5_EEEENSC_INSD_IS5_EEEES5_NSA_4plusIvEES5_EEDaPvRmT3_T4_T5_mT6_P12ihipStream_tbENKUlT_T0_E_clISt17integral_constantIbLb0EESX_IbLb1EEEEDaST_SU_EUlST_E0_NS1_11comp_targetILNS1_3genE2ELNS1_11target_archE906ELNS1_3gpuE6ELNS1_3repE0EEENS1_30default_config_static_selectorELNS0_4arch9wavefront6targetE1EEEvT1_, .Lfunc_end6975-_ZN7rocprim17ROCPRIM_400000_NS6detail17trampoline_kernelINS0_14default_configENS1_20scan_config_selectorI3IntEEZZNS1_9scan_implILNS1_25lookback_scan_determinismE0ELb0ELb0ES3_N6thrust23THRUST_200600_302600_NS6detail15normal_iteratorINSA_10device_ptrIKS5_EEEENSC_INSD_IS5_EEEES5_NSA_4plusIvEES5_EEDaPvRmT3_T4_T5_mT6_P12ihipStream_tbENKUlT_T0_E_clISt17integral_constantIbLb0EESX_IbLb1EEEEDaST_SU_EUlST_E0_NS1_11comp_targetILNS1_3genE2ELNS1_11target_archE906ELNS1_3gpuE6ELNS1_3repE0EEENS1_30default_config_static_selectorELNS0_4arch9wavefront6targetE1EEEvT1_
                                        ; -- End function
	.section	.AMDGPU.csdata,"",@progbits
; Kernel info:
; codeLenInByte = 0
; NumSgprs: 4
; NumVgprs: 0
; NumAgprs: 0
; TotalNumVgprs: 0
; ScratchSize: 0
; MemoryBound: 0
; FloatMode: 240
; IeeeMode: 1
; LDSByteSize: 0 bytes/workgroup (compile time only)
; SGPRBlocks: 0
; VGPRBlocks: 0
; NumSGPRsForWavesPerEU: 4
; NumVGPRsForWavesPerEU: 1
; AccumOffset: 4
; Occupancy: 8
; WaveLimiterHint : 0
; COMPUTE_PGM_RSRC2:SCRATCH_EN: 0
; COMPUTE_PGM_RSRC2:USER_SGPR: 6
; COMPUTE_PGM_RSRC2:TRAP_HANDLER: 0
; COMPUTE_PGM_RSRC2:TGID_X_EN: 1
; COMPUTE_PGM_RSRC2:TGID_Y_EN: 0
; COMPUTE_PGM_RSRC2:TGID_Z_EN: 0
; COMPUTE_PGM_RSRC2:TIDIG_COMP_CNT: 0
; COMPUTE_PGM_RSRC3_GFX90A:ACCUM_OFFSET: 0
; COMPUTE_PGM_RSRC3_GFX90A:TG_SPLIT: 0
	.section	.text._ZN7rocprim17ROCPRIM_400000_NS6detail17trampoline_kernelINS0_14default_configENS1_20scan_config_selectorI3IntEEZZNS1_9scan_implILNS1_25lookback_scan_determinismE0ELb0ELb0ES3_N6thrust23THRUST_200600_302600_NS6detail15normal_iteratorINSA_10device_ptrIKS5_EEEENSC_INSD_IS5_EEEES5_NSA_4plusIvEES5_EEDaPvRmT3_T4_T5_mT6_P12ihipStream_tbENKUlT_T0_E_clISt17integral_constantIbLb0EESX_IbLb1EEEEDaST_SU_EUlST_E0_NS1_11comp_targetILNS1_3genE10ELNS1_11target_archE1201ELNS1_3gpuE5ELNS1_3repE0EEENS1_30default_config_static_selectorELNS0_4arch9wavefront6targetE1EEEvT1_,"axG",@progbits,_ZN7rocprim17ROCPRIM_400000_NS6detail17trampoline_kernelINS0_14default_configENS1_20scan_config_selectorI3IntEEZZNS1_9scan_implILNS1_25lookback_scan_determinismE0ELb0ELb0ES3_N6thrust23THRUST_200600_302600_NS6detail15normal_iteratorINSA_10device_ptrIKS5_EEEENSC_INSD_IS5_EEEES5_NSA_4plusIvEES5_EEDaPvRmT3_T4_T5_mT6_P12ihipStream_tbENKUlT_T0_E_clISt17integral_constantIbLb0EESX_IbLb1EEEEDaST_SU_EUlST_E0_NS1_11comp_targetILNS1_3genE10ELNS1_11target_archE1201ELNS1_3gpuE5ELNS1_3repE0EEENS1_30default_config_static_selectorELNS0_4arch9wavefront6targetE1EEEvT1_,comdat
	.protected	_ZN7rocprim17ROCPRIM_400000_NS6detail17trampoline_kernelINS0_14default_configENS1_20scan_config_selectorI3IntEEZZNS1_9scan_implILNS1_25lookback_scan_determinismE0ELb0ELb0ES3_N6thrust23THRUST_200600_302600_NS6detail15normal_iteratorINSA_10device_ptrIKS5_EEEENSC_INSD_IS5_EEEES5_NSA_4plusIvEES5_EEDaPvRmT3_T4_T5_mT6_P12ihipStream_tbENKUlT_T0_E_clISt17integral_constantIbLb0EESX_IbLb1EEEEDaST_SU_EUlST_E0_NS1_11comp_targetILNS1_3genE10ELNS1_11target_archE1201ELNS1_3gpuE5ELNS1_3repE0EEENS1_30default_config_static_selectorELNS0_4arch9wavefront6targetE1EEEvT1_ ; -- Begin function _ZN7rocprim17ROCPRIM_400000_NS6detail17trampoline_kernelINS0_14default_configENS1_20scan_config_selectorI3IntEEZZNS1_9scan_implILNS1_25lookback_scan_determinismE0ELb0ELb0ES3_N6thrust23THRUST_200600_302600_NS6detail15normal_iteratorINSA_10device_ptrIKS5_EEEENSC_INSD_IS5_EEEES5_NSA_4plusIvEES5_EEDaPvRmT3_T4_T5_mT6_P12ihipStream_tbENKUlT_T0_E_clISt17integral_constantIbLb0EESX_IbLb1EEEEDaST_SU_EUlST_E0_NS1_11comp_targetILNS1_3genE10ELNS1_11target_archE1201ELNS1_3gpuE5ELNS1_3repE0EEENS1_30default_config_static_selectorELNS0_4arch9wavefront6targetE1EEEvT1_
	.globl	_ZN7rocprim17ROCPRIM_400000_NS6detail17trampoline_kernelINS0_14default_configENS1_20scan_config_selectorI3IntEEZZNS1_9scan_implILNS1_25lookback_scan_determinismE0ELb0ELb0ES3_N6thrust23THRUST_200600_302600_NS6detail15normal_iteratorINSA_10device_ptrIKS5_EEEENSC_INSD_IS5_EEEES5_NSA_4plusIvEES5_EEDaPvRmT3_T4_T5_mT6_P12ihipStream_tbENKUlT_T0_E_clISt17integral_constantIbLb0EESX_IbLb1EEEEDaST_SU_EUlST_E0_NS1_11comp_targetILNS1_3genE10ELNS1_11target_archE1201ELNS1_3gpuE5ELNS1_3repE0EEENS1_30default_config_static_selectorELNS0_4arch9wavefront6targetE1EEEvT1_
	.p2align	8
	.type	_ZN7rocprim17ROCPRIM_400000_NS6detail17trampoline_kernelINS0_14default_configENS1_20scan_config_selectorI3IntEEZZNS1_9scan_implILNS1_25lookback_scan_determinismE0ELb0ELb0ES3_N6thrust23THRUST_200600_302600_NS6detail15normal_iteratorINSA_10device_ptrIKS5_EEEENSC_INSD_IS5_EEEES5_NSA_4plusIvEES5_EEDaPvRmT3_T4_T5_mT6_P12ihipStream_tbENKUlT_T0_E_clISt17integral_constantIbLb0EESX_IbLb1EEEEDaST_SU_EUlST_E0_NS1_11comp_targetILNS1_3genE10ELNS1_11target_archE1201ELNS1_3gpuE5ELNS1_3repE0EEENS1_30default_config_static_selectorELNS0_4arch9wavefront6targetE1EEEvT1_,@function
_ZN7rocprim17ROCPRIM_400000_NS6detail17trampoline_kernelINS0_14default_configENS1_20scan_config_selectorI3IntEEZZNS1_9scan_implILNS1_25lookback_scan_determinismE0ELb0ELb0ES3_N6thrust23THRUST_200600_302600_NS6detail15normal_iteratorINSA_10device_ptrIKS5_EEEENSC_INSD_IS5_EEEES5_NSA_4plusIvEES5_EEDaPvRmT3_T4_T5_mT6_P12ihipStream_tbENKUlT_T0_E_clISt17integral_constantIbLb0EESX_IbLb1EEEEDaST_SU_EUlST_E0_NS1_11comp_targetILNS1_3genE10ELNS1_11target_archE1201ELNS1_3gpuE5ELNS1_3repE0EEENS1_30default_config_static_selectorELNS0_4arch9wavefront6targetE1EEEvT1_: ; @_ZN7rocprim17ROCPRIM_400000_NS6detail17trampoline_kernelINS0_14default_configENS1_20scan_config_selectorI3IntEEZZNS1_9scan_implILNS1_25lookback_scan_determinismE0ELb0ELb0ES3_N6thrust23THRUST_200600_302600_NS6detail15normal_iteratorINSA_10device_ptrIKS5_EEEENSC_INSD_IS5_EEEES5_NSA_4plusIvEES5_EEDaPvRmT3_T4_T5_mT6_P12ihipStream_tbENKUlT_T0_E_clISt17integral_constantIbLb0EESX_IbLb1EEEEDaST_SU_EUlST_E0_NS1_11comp_targetILNS1_3genE10ELNS1_11target_archE1201ELNS1_3gpuE5ELNS1_3repE0EEENS1_30default_config_static_selectorELNS0_4arch9wavefront6targetE1EEEvT1_
; %bb.0:
	.section	.rodata,"a",@progbits
	.p2align	6, 0x0
	.amdhsa_kernel _ZN7rocprim17ROCPRIM_400000_NS6detail17trampoline_kernelINS0_14default_configENS1_20scan_config_selectorI3IntEEZZNS1_9scan_implILNS1_25lookback_scan_determinismE0ELb0ELb0ES3_N6thrust23THRUST_200600_302600_NS6detail15normal_iteratorINSA_10device_ptrIKS5_EEEENSC_INSD_IS5_EEEES5_NSA_4plusIvEES5_EEDaPvRmT3_T4_T5_mT6_P12ihipStream_tbENKUlT_T0_E_clISt17integral_constantIbLb0EESX_IbLb1EEEEDaST_SU_EUlST_E0_NS1_11comp_targetILNS1_3genE10ELNS1_11target_archE1201ELNS1_3gpuE5ELNS1_3repE0EEENS1_30default_config_static_selectorELNS0_4arch9wavefront6targetE1EEEvT1_
		.amdhsa_group_segment_fixed_size 0
		.amdhsa_private_segment_fixed_size 0
		.amdhsa_kernarg_size 32
		.amdhsa_user_sgpr_count 6
		.amdhsa_user_sgpr_private_segment_buffer 1
		.amdhsa_user_sgpr_dispatch_ptr 0
		.amdhsa_user_sgpr_queue_ptr 0
		.amdhsa_user_sgpr_kernarg_segment_ptr 1
		.amdhsa_user_sgpr_dispatch_id 0
		.amdhsa_user_sgpr_flat_scratch_init 0
		.amdhsa_user_sgpr_kernarg_preload_length 0
		.amdhsa_user_sgpr_kernarg_preload_offset 0
		.amdhsa_user_sgpr_private_segment_size 0
		.amdhsa_uses_dynamic_stack 0
		.amdhsa_system_sgpr_private_segment_wavefront_offset 0
		.amdhsa_system_sgpr_workgroup_id_x 1
		.amdhsa_system_sgpr_workgroup_id_y 0
		.amdhsa_system_sgpr_workgroup_id_z 0
		.amdhsa_system_sgpr_workgroup_info 0
		.amdhsa_system_vgpr_workitem_id 0
		.amdhsa_next_free_vgpr 1
		.amdhsa_next_free_sgpr 0
		.amdhsa_accum_offset 4
		.amdhsa_reserve_vcc 0
		.amdhsa_reserve_flat_scratch 0
		.amdhsa_float_round_mode_32 0
		.amdhsa_float_round_mode_16_64 0
		.amdhsa_float_denorm_mode_32 3
		.amdhsa_float_denorm_mode_16_64 3
		.amdhsa_dx10_clamp 1
		.amdhsa_ieee_mode 1
		.amdhsa_fp16_overflow 0
		.amdhsa_tg_split 0
		.amdhsa_exception_fp_ieee_invalid_op 0
		.amdhsa_exception_fp_denorm_src 0
		.amdhsa_exception_fp_ieee_div_zero 0
		.amdhsa_exception_fp_ieee_overflow 0
		.amdhsa_exception_fp_ieee_underflow 0
		.amdhsa_exception_fp_ieee_inexact 0
		.amdhsa_exception_int_div_zero 0
	.end_amdhsa_kernel
	.section	.text._ZN7rocprim17ROCPRIM_400000_NS6detail17trampoline_kernelINS0_14default_configENS1_20scan_config_selectorI3IntEEZZNS1_9scan_implILNS1_25lookback_scan_determinismE0ELb0ELb0ES3_N6thrust23THRUST_200600_302600_NS6detail15normal_iteratorINSA_10device_ptrIKS5_EEEENSC_INSD_IS5_EEEES5_NSA_4plusIvEES5_EEDaPvRmT3_T4_T5_mT6_P12ihipStream_tbENKUlT_T0_E_clISt17integral_constantIbLb0EESX_IbLb1EEEEDaST_SU_EUlST_E0_NS1_11comp_targetILNS1_3genE10ELNS1_11target_archE1201ELNS1_3gpuE5ELNS1_3repE0EEENS1_30default_config_static_selectorELNS0_4arch9wavefront6targetE1EEEvT1_,"axG",@progbits,_ZN7rocprim17ROCPRIM_400000_NS6detail17trampoline_kernelINS0_14default_configENS1_20scan_config_selectorI3IntEEZZNS1_9scan_implILNS1_25lookback_scan_determinismE0ELb0ELb0ES3_N6thrust23THRUST_200600_302600_NS6detail15normal_iteratorINSA_10device_ptrIKS5_EEEENSC_INSD_IS5_EEEES5_NSA_4plusIvEES5_EEDaPvRmT3_T4_T5_mT6_P12ihipStream_tbENKUlT_T0_E_clISt17integral_constantIbLb0EESX_IbLb1EEEEDaST_SU_EUlST_E0_NS1_11comp_targetILNS1_3genE10ELNS1_11target_archE1201ELNS1_3gpuE5ELNS1_3repE0EEENS1_30default_config_static_selectorELNS0_4arch9wavefront6targetE1EEEvT1_,comdat
.Lfunc_end6976:
	.size	_ZN7rocprim17ROCPRIM_400000_NS6detail17trampoline_kernelINS0_14default_configENS1_20scan_config_selectorI3IntEEZZNS1_9scan_implILNS1_25lookback_scan_determinismE0ELb0ELb0ES3_N6thrust23THRUST_200600_302600_NS6detail15normal_iteratorINSA_10device_ptrIKS5_EEEENSC_INSD_IS5_EEEES5_NSA_4plusIvEES5_EEDaPvRmT3_T4_T5_mT6_P12ihipStream_tbENKUlT_T0_E_clISt17integral_constantIbLb0EESX_IbLb1EEEEDaST_SU_EUlST_E0_NS1_11comp_targetILNS1_3genE10ELNS1_11target_archE1201ELNS1_3gpuE5ELNS1_3repE0EEENS1_30default_config_static_selectorELNS0_4arch9wavefront6targetE1EEEvT1_, .Lfunc_end6976-_ZN7rocprim17ROCPRIM_400000_NS6detail17trampoline_kernelINS0_14default_configENS1_20scan_config_selectorI3IntEEZZNS1_9scan_implILNS1_25lookback_scan_determinismE0ELb0ELb0ES3_N6thrust23THRUST_200600_302600_NS6detail15normal_iteratorINSA_10device_ptrIKS5_EEEENSC_INSD_IS5_EEEES5_NSA_4plusIvEES5_EEDaPvRmT3_T4_T5_mT6_P12ihipStream_tbENKUlT_T0_E_clISt17integral_constantIbLb0EESX_IbLb1EEEEDaST_SU_EUlST_E0_NS1_11comp_targetILNS1_3genE10ELNS1_11target_archE1201ELNS1_3gpuE5ELNS1_3repE0EEENS1_30default_config_static_selectorELNS0_4arch9wavefront6targetE1EEEvT1_
                                        ; -- End function
	.section	.AMDGPU.csdata,"",@progbits
; Kernel info:
; codeLenInByte = 0
; NumSgprs: 4
; NumVgprs: 0
; NumAgprs: 0
; TotalNumVgprs: 0
; ScratchSize: 0
; MemoryBound: 0
; FloatMode: 240
; IeeeMode: 1
; LDSByteSize: 0 bytes/workgroup (compile time only)
; SGPRBlocks: 0
; VGPRBlocks: 0
; NumSGPRsForWavesPerEU: 4
; NumVGPRsForWavesPerEU: 1
; AccumOffset: 4
; Occupancy: 8
; WaveLimiterHint : 0
; COMPUTE_PGM_RSRC2:SCRATCH_EN: 0
; COMPUTE_PGM_RSRC2:USER_SGPR: 6
; COMPUTE_PGM_RSRC2:TRAP_HANDLER: 0
; COMPUTE_PGM_RSRC2:TGID_X_EN: 1
; COMPUTE_PGM_RSRC2:TGID_Y_EN: 0
; COMPUTE_PGM_RSRC2:TGID_Z_EN: 0
; COMPUTE_PGM_RSRC2:TIDIG_COMP_CNT: 0
; COMPUTE_PGM_RSRC3_GFX90A:ACCUM_OFFSET: 0
; COMPUTE_PGM_RSRC3_GFX90A:TG_SPLIT: 0
	.section	.text._ZN7rocprim17ROCPRIM_400000_NS6detail17trampoline_kernelINS0_14default_configENS1_20scan_config_selectorI3IntEEZZNS1_9scan_implILNS1_25lookback_scan_determinismE0ELb0ELb0ES3_N6thrust23THRUST_200600_302600_NS6detail15normal_iteratorINSA_10device_ptrIKS5_EEEENSC_INSD_IS5_EEEES5_NSA_4plusIvEES5_EEDaPvRmT3_T4_T5_mT6_P12ihipStream_tbENKUlT_T0_E_clISt17integral_constantIbLb0EESX_IbLb1EEEEDaST_SU_EUlST_E0_NS1_11comp_targetILNS1_3genE10ELNS1_11target_archE1200ELNS1_3gpuE4ELNS1_3repE0EEENS1_30default_config_static_selectorELNS0_4arch9wavefront6targetE1EEEvT1_,"axG",@progbits,_ZN7rocprim17ROCPRIM_400000_NS6detail17trampoline_kernelINS0_14default_configENS1_20scan_config_selectorI3IntEEZZNS1_9scan_implILNS1_25lookback_scan_determinismE0ELb0ELb0ES3_N6thrust23THRUST_200600_302600_NS6detail15normal_iteratorINSA_10device_ptrIKS5_EEEENSC_INSD_IS5_EEEES5_NSA_4plusIvEES5_EEDaPvRmT3_T4_T5_mT6_P12ihipStream_tbENKUlT_T0_E_clISt17integral_constantIbLb0EESX_IbLb1EEEEDaST_SU_EUlST_E0_NS1_11comp_targetILNS1_3genE10ELNS1_11target_archE1200ELNS1_3gpuE4ELNS1_3repE0EEENS1_30default_config_static_selectorELNS0_4arch9wavefront6targetE1EEEvT1_,comdat
	.protected	_ZN7rocprim17ROCPRIM_400000_NS6detail17trampoline_kernelINS0_14default_configENS1_20scan_config_selectorI3IntEEZZNS1_9scan_implILNS1_25lookback_scan_determinismE0ELb0ELb0ES3_N6thrust23THRUST_200600_302600_NS6detail15normal_iteratorINSA_10device_ptrIKS5_EEEENSC_INSD_IS5_EEEES5_NSA_4plusIvEES5_EEDaPvRmT3_T4_T5_mT6_P12ihipStream_tbENKUlT_T0_E_clISt17integral_constantIbLb0EESX_IbLb1EEEEDaST_SU_EUlST_E0_NS1_11comp_targetILNS1_3genE10ELNS1_11target_archE1200ELNS1_3gpuE4ELNS1_3repE0EEENS1_30default_config_static_selectorELNS0_4arch9wavefront6targetE1EEEvT1_ ; -- Begin function _ZN7rocprim17ROCPRIM_400000_NS6detail17trampoline_kernelINS0_14default_configENS1_20scan_config_selectorI3IntEEZZNS1_9scan_implILNS1_25lookback_scan_determinismE0ELb0ELb0ES3_N6thrust23THRUST_200600_302600_NS6detail15normal_iteratorINSA_10device_ptrIKS5_EEEENSC_INSD_IS5_EEEES5_NSA_4plusIvEES5_EEDaPvRmT3_T4_T5_mT6_P12ihipStream_tbENKUlT_T0_E_clISt17integral_constantIbLb0EESX_IbLb1EEEEDaST_SU_EUlST_E0_NS1_11comp_targetILNS1_3genE10ELNS1_11target_archE1200ELNS1_3gpuE4ELNS1_3repE0EEENS1_30default_config_static_selectorELNS0_4arch9wavefront6targetE1EEEvT1_
	.globl	_ZN7rocprim17ROCPRIM_400000_NS6detail17trampoline_kernelINS0_14default_configENS1_20scan_config_selectorI3IntEEZZNS1_9scan_implILNS1_25lookback_scan_determinismE0ELb0ELb0ES3_N6thrust23THRUST_200600_302600_NS6detail15normal_iteratorINSA_10device_ptrIKS5_EEEENSC_INSD_IS5_EEEES5_NSA_4plusIvEES5_EEDaPvRmT3_T4_T5_mT6_P12ihipStream_tbENKUlT_T0_E_clISt17integral_constantIbLb0EESX_IbLb1EEEEDaST_SU_EUlST_E0_NS1_11comp_targetILNS1_3genE10ELNS1_11target_archE1200ELNS1_3gpuE4ELNS1_3repE0EEENS1_30default_config_static_selectorELNS0_4arch9wavefront6targetE1EEEvT1_
	.p2align	8
	.type	_ZN7rocprim17ROCPRIM_400000_NS6detail17trampoline_kernelINS0_14default_configENS1_20scan_config_selectorI3IntEEZZNS1_9scan_implILNS1_25lookback_scan_determinismE0ELb0ELb0ES3_N6thrust23THRUST_200600_302600_NS6detail15normal_iteratorINSA_10device_ptrIKS5_EEEENSC_INSD_IS5_EEEES5_NSA_4plusIvEES5_EEDaPvRmT3_T4_T5_mT6_P12ihipStream_tbENKUlT_T0_E_clISt17integral_constantIbLb0EESX_IbLb1EEEEDaST_SU_EUlST_E0_NS1_11comp_targetILNS1_3genE10ELNS1_11target_archE1200ELNS1_3gpuE4ELNS1_3repE0EEENS1_30default_config_static_selectorELNS0_4arch9wavefront6targetE1EEEvT1_,@function
_ZN7rocprim17ROCPRIM_400000_NS6detail17trampoline_kernelINS0_14default_configENS1_20scan_config_selectorI3IntEEZZNS1_9scan_implILNS1_25lookback_scan_determinismE0ELb0ELb0ES3_N6thrust23THRUST_200600_302600_NS6detail15normal_iteratorINSA_10device_ptrIKS5_EEEENSC_INSD_IS5_EEEES5_NSA_4plusIvEES5_EEDaPvRmT3_T4_T5_mT6_P12ihipStream_tbENKUlT_T0_E_clISt17integral_constantIbLb0EESX_IbLb1EEEEDaST_SU_EUlST_E0_NS1_11comp_targetILNS1_3genE10ELNS1_11target_archE1200ELNS1_3gpuE4ELNS1_3repE0EEENS1_30default_config_static_selectorELNS0_4arch9wavefront6targetE1EEEvT1_: ; @_ZN7rocprim17ROCPRIM_400000_NS6detail17trampoline_kernelINS0_14default_configENS1_20scan_config_selectorI3IntEEZZNS1_9scan_implILNS1_25lookback_scan_determinismE0ELb0ELb0ES3_N6thrust23THRUST_200600_302600_NS6detail15normal_iteratorINSA_10device_ptrIKS5_EEEENSC_INSD_IS5_EEEES5_NSA_4plusIvEES5_EEDaPvRmT3_T4_T5_mT6_P12ihipStream_tbENKUlT_T0_E_clISt17integral_constantIbLb0EESX_IbLb1EEEEDaST_SU_EUlST_E0_NS1_11comp_targetILNS1_3genE10ELNS1_11target_archE1200ELNS1_3gpuE4ELNS1_3repE0EEENS1_30default_config_static_selectorELNS0_4arch9wavefront6targetE1EEEvT1_
; %bb.0:
	.section	.rodata,"a",@progbits
	.p2align	6, 0x0
	.amdhsa_kernel _ZN7rocprim17ROCPRIM_400000_NS6detail17trampoline_kernelINS0_14default_configENS1_20scan_config_selectorI3IntEEZZNS1_9scan_implILNS1_25lookback_scan_determinismE0ELb0ELb0ES3_N6thrust23THRUST_200600_302600_NS6detail15normal_iteratorINSA_10device_ptrIKS5_EEEENSC_INSD_IS5_EEEES5_NSA_4plusIvEES5_EEDaPvRmT3_T4_T5_mT6_P12ihipStream_tbENKUlT_T0_E_clISt17integral_constantIbLb0EESX_IbLb1EEEEDaST_SU_EUlST_E0_NS1_11comp_targetILNS1_3genE10ELNS1_11target_archE1200ELNS1_3gpuE4ELNS1_3repE0EEENS1_30default_config_static_selectorELNS0_4arch9wavefront6targetE1EEEvT1_
		.amdhsa_group_segment_fixed_size 0
		.amdhsa_private_segment_fixed_size 0
		.amdhsa_kernarg_size 32
		.amdhsa_user_sgpr_count 6
		.amdhsa_user_sgpr_private_segment_buffer 1
		.amdhsa_user_sgpr_dispatch_ptr 0
		.amdhsa_user_sgpr_queue_ptr 0
		.amdhsa_user_sgpr_kernarg_segment_ptr 1
		.amdhsa_user_sgpr_dispatch_id 0
		.amdhsa_user_sgpr_flat_scratch_init 0
		.amdhsa_user_sgpr_kernarg_preload_length 0
		.amdhsa_user_sgpr_kernarg_preload_offset 0
		.amdhsa_user_sgpr_private_segment_size 0
		.amdhsa_uses_dynamic_stack 0
		.amdhsa_system_sgpr_private_segment_wavefront_offset 0
		.amdhsa_system_sgpr_workgroup_id_x 1
		.amdhsa_system_sgpr_workgroup_id_y 0
		.amdhsa_system_sgpr_workgroup_id_z 0
		.amdhsa_system_sgpr_workgroup_info 0
		.amdhsa_system_vgpr_workitem_id 0
		.amdhsa_next_free_vgpr 1
		.amdhsa_next_free_sgpr 0
		.amdhsa_accum_offset 4
		.amdhsa_reserve_vcc 0
		.amdhsa_reserve_flat_scratch 0
		.amdhsa_float_round_mode_32 0
		.amdhsa_float_round_mode_16_64 0
		.amdhsa_float_denorm_mode_32 3
		.amdhsa_float_denorm_mode_16_64 3
		.amdhsa_dx10_clamp 1
		.amdhsa_ieee_mode 1
		.amdhsa_fp16_overflow 0
		.amdhsa_tg_split 0
		.amdhsa_exception_fp_ieee_invalid_op 0
		.amdhsa_exception_fp_denorm_src 0
		.amdhsa_exception_fp_ieee_div_zero 0
		.amdhsa_exception_fp_ieee_overflow 0
		.amdhsa_exception_fp_ieee_underflow 0
		.amdhsa_exception_fp_ieee_inexact 0
		.amdhsa_exception_int_div_zero 0
	.end_amdhsa_kernel
	.section	.text._ZN7rocprim17ROCPRIM_400000_NS6detail17trampoline_kernelINS0_14default_configENS1_20scan_config_selectorI3IntEEZZNS1_9scan_implILNS1_25lookback_scan_determinismE0ELb0ELb0ES3_N6thrust23THRUST_200600_302600_NS6detail15normal_iteratorINSA_10device_ptrIKS5_EEEENSC_INSD_IS5_EEEES5_NSA_4plusIvEES5_EEDaPvRmT3_T4_T5_mT6_P12ihipStream_tbENKUlT_T0_E_clISt17integral_constantIbLb0EESX_IbLb1EEEEDaST_SU_EUlST_E0_NS1_11comp_targetILNS1_3genE10ELNS1_11target_archE1200ELNS1_3gpuE4ELNS1_3repE0EEENS1_30default_config_static_selectorELNS0_4arch9wavefront6targetE1EEEvT1_,"axG",@progbits,_ZN7rocprim17ROCPRIM_400000_NS6detail17trampoline_kernelINS0_14default_configENS1_20scan_config_selectorI3IntEEZZNS1_9scan_implILNS1_25lookback_scan_determinismE0ELb0ELb0ES3_N6thrust23THRUST_200600_302600_NS6detail15normal_iteratorINSA_10device_ptrIKS5_EEEENSC_INSD_IS5_EEEES5_NSA_4plusIvEES5_EEDaPvRmT3_T4_T5_mT6_P12ihipStream_tbENKUlT_T0_E_clISt17integral_constantIbLb0EESX_IbLb1EEEEDaST_SU_EUlST_E0_NS1_11comp_targetILNS1_3genE10ELNS1_11target_archE1200ELNS1_3gpuE4ELNS1_3repE0EEENS1_30default_config_static_selectorELNS0_4arch9wavefront6targetE1EEEvT1_,comdat
.Lfunc_end6977:
	.size	_ZN7rocprim17ROCPRIM_400000_NS6detail17trampoline_kernelINS0_14default_configENS1_20scan_config_selectorI3IntEEZZNS1_9scan_implILNS1_25lookback_scan_determinismE0ELb0ELb0ES3_N6thrust23THRUST_200600_302600_NS6detail15normal_iteratorINSA_10device_ptrIKS5_EEEENSC_INSD_IS5_EEEES5_NSA_4plusIvEES5_EEDaPvRmT3_T4_T5_mT6_P12ihipStream_tbENKUlT_T0_E_clISt17integral_constantIbLb0EESX_IbLb1EEEEDaST_SU_EUlST_E0_NS1_11comp_targetILNS1_3genE10ELNS1_11target_archE1200ELNS1_3gpuE4ELNS1_3repE0EEENS1_30default_config_static_selectorELNS0_4arch9wavefront6targetE1EEEvT1_, .Lfunc_end6977-_ZN7rocprim17ROCPRIM_400000_NS6detail17trampoline_kernelINS0_14default_configENS1_20scan_config_selectorI3IntEEZZNS1_9scan_implILNS1_25lookback_scan_determinismE0ELb0ELb0ES3_N6thrust23THRUST_200600_302600_NS6detail15normal_iteratorINSA_10device_ptrIKS5_EEEENSC_INSD_IS5_EEEES5_NSA_4plusIvEES5_EEDaPvRmT3_T4_T5_mT6_P12ihipStream_tbENKUlT_T0_E_clISt17integral_constantIbLb0EESX_IbLb1EEEEDaST_SU_EUlST_E0_NS1_11comp_targetILNS1_3genE10ELNS1_11target_archE1200ELNS1_3gpuE4ELNS1_3repE0EEENS1_30default_config_static_selectorELNS0_4arch9wavefront6targetE1EEEvT1_
                                        ; -- End function
	.section	.AMDGPU.csdata,"",@progbits
; Kernel info:
; codeLenInByte = 0
; NumSgprs: 4
; NumVgprs: 0
; NumAgprs: 0
; TotalNumVgprs: 0
; ScratchSize: 0
; MemoryBound: 0
; FloatMode: 240
; IeeeMode: 1
; LDSByteSize: 0 bytes/workgroup (compile time only)
; SGPRBlocks: 0
; VGPRBlocks: 0
; NumSGPRsForWavesPerEU: 4
; NumVGPRsForWavesPerEU: 1
; AccumOffset: 4
; Occupancy: 8
; WaveLimiterHint : 0
; COMPUTE_PGM_RSRC2:SCRATCH_EN: 0
; COMPUTE_PGM_RSRC2:USER_SGPR: 6
; COMPUTE_PGM_RSRC2:TRAP_HANDLER: 0
; COMPUTE_PGM_RSRC2:TGID_X_EN: 1
; COMPUTE_PGM_RSRC2:TGID_Y_EN: 0
; COMPUTE_PGM_RSRC2:TGID_Z_EN: 0
; COMPUTE_PGM_RSRC2:TIDIG_COMP_CNT: 0
; COMPUTE_PGM_RSRC3_GFX90A:ACCUM_OFFSET: 0
; COMPUTE_PGM_RSRC3_GFX90A:TG_SPLIT: 0
	.section	.text._ZN7rocprim17ROCPRIM_400000_NS6detail17trampoline_kernelINS0_14default_configENS1_20scan_config_selectorI3IntEEZZNS1_9scan_implILNS1_25lookback_scan_determinismE0ELb0ELb0ES3_N6thrust23THRUST_200600_302600_NS6detail15normal_iteratorINSA_10device_ptrIKS5_EEEENSC_INSD_IS5_EEEES5_NSA_4plusIvEES5_EEDaPvRmT3_T4_T5_mT6_P12ihipStream_tbENKUlT_T0_E_clISt17integral_constantIbLb0EESX_IbLb1EEEEDaST_SU_EUlST_E0_NS1_11comp_targetILNS1_3genE9ELNS1_11target_archE1100ELNS1_3gpuE3ELNS1_3repE0EEENS1_30default_config_static_selectorELNS0_4arch9wavefront6targetE1EEEvT1_,"axG",@progbits,_ZN7rocprim17ROCPRIM_400000_NS6detail17trampoline_kernelINS0_14default_configENS1_20scan_config_selectorI3IntEEZZNS1_9scan_implILNS1_25lookback_scan_determinismE0ELb0ELb0ES3_N6thrust23THRUST_200600_302600_NS6detail15normal_iteratorINSA_10device_ptrIKS5_EEEENSC_INSD_IS5_EEEES5_NSA_4plusIvEES5_EEDaPvRmT3_T4_T5_mT6_P12ihipStream_tbENKUlT_T0_E_clISt17integral_constantIbLb0EESX_IbLb1EEEEDaST_SU_EUlST_E0_NS1_11comp_targetILNS1_3genE9ELNS1_11target_archE1100ELNS1_3gpuE3ELNS1_3repE0EEENS1_30default_config_static_selectorELNS0_4arch9wavefront6targetE1EEEvT1_,comdat
	.protected	_ZN7rocprim17ROCPRIM_400000_NS6detail17trampoline_kernelINS0_14default_configENS1_20scan_config_selectorI3IntEEZZNS1_9scan_implILNS1_25lookback_scan_determinismE0ELb0ELb0ES3_N6thrust23THRUST_200600_302600_NS6detail15normal_iteratorINSA_10device_ptrIKS5_EEEENSC_INSD_IS5_EEEES5_NSA_4plusIvEES5_EEDaPvRmT3_T4_T5_mT6_P12ihipStream_tbENKUlT_T0_E_clISt17integral_constantIbLb0EESX_IbLb1EEEEDaST_SU_EUlST_E0_NS1_11comp_targetILNS1_3genE9ELNS1_11target_archE1100ELNS1_3gpuE3ELNS1_3repE0EEENS1_30default_config_static_selectorELNS0_4arch9wavefront6targetE1EEEvT1_ ; -- Begin function _ZN7rocprim17ROCPRIM_400000_NS6detail17trampoline_kernelINS0_14default_configENS1_20scan_config_selectorI3IntEEZZNS1_9scan_implILNS1_25lookback_scan_determinismE0ELb0ELb0ES3_N6thrust23THRUST_200600_302600_NS6detail15normal_iteratorINSA_10device_ptrIKS5_EEEENSC_INSD_IS5_EEEES5_NSA_4plusIvEES5_EEDaPvRmT3_T4_T5_mT6_P12ihipStream_tbENKUlT_T0_E_clISt17integral_constantIbLb0EESX_IbLb1EEEEDaST_SU_EUlST_E0_NS1_11comp_targetILNS1_3genE9ELNS1_11target_archE1100ELNS1_3gpuE3ELNS1_3repE0EEENS1_30default_config_static_selectorELNS0_4arch9wavefront6targetE1EEEvT1_
	.globl	_ZN7rocprim17ROCPRIM_400000_NS6detail17trampoline_kernelINS0_14default_configENS1_20scan_config_selectorI3IntEEZZNS1_9scan_implILNS1_25lookback_scan_determinismE0ELb0ELb0ES3_N6thrust23THRUST_200600_302600_NS6detail15normal_iteratorINSA_10device_ptrIKS5_EEEENSC_INSD_IS5_EEEES5_NSA_4plusIvEES5_EEDaPvRmT3_T4_T5_mT6_P12ihipStream_tbENKUlT_T0_E_clISt17integral_constantIbLb0EESX_IbLb1EEEEDaST_SU_EUlST_E0_NS1_11comp_targetILNS1_3genE9ELNS1_11target_archE1100ELNS1_3gpuE3ELNS1_3repE0EEENS1_30default_config_static_selectorELNS0_4arch9wavefront6targetE1EEEvT1_
	.p2align	8
	.type	_ZN7rocprim17ROCPRIM_400000_NS6detail17trampoline_kernelINS0_14default_configENS1_20scan_config_selectorI3IntEEZZNS1_9scan_implILNS1_25lookback_scan_determinismE0ELb0ELb0ES3_N6thrust23THRUST_200600_302600_NS6detail15normal_iteratorINSA_10device_ptrIKS5_EEEENSC_INSD_IS5_EEEES5_NSA_4plusIvEES5_EEDaPvRmT3_T4_T5_mT6_P12ihipStream_tbENKUlT_T0_E_clISt17integral_constantIbLb0EESX_IbLb1EEEEDaST_SU_EUlST_E0_NS1_11comp_targetILNS1_3genE9ELNS1_11target_archE1100ELNS1_3gpuE3ELNS1_3repE0EEENS1_30default_config_static_selectorELNS0_4arch9wavefront6targetE1EEEvT1_,@function
_ZN7rocprim17ROCPRIM_400000_NS6detail17trampoline_kernelINS0_14default_configENS1_20scan_config_selectorI3IntEEZZNS1_9scan_implILNS1_25lookback_scan_determinismE0ELb0ELb0ES3_N6thrust23THRUST_200600_302600_NS6detail15normal_iteratorINSA_10device_ptrIKS5_EEEENSC_INSD_IS5_EEEES5_NSA_4plusIvEES5_EEDaPvRmT3_T4_T5_mT6_P12ihipStream_tbENKUlT_T0_E_clISt17integral_constantIbLb0EESX_IbLb1EEEEDaST_SU_EUlST_E0_NS1_11comp_targetILNS1_3genE9ELNS1_11target_archE1100ELNS1_3gpuE3ELNS1_3repE0EEENS1_30default_config_static_selectorELNS0_4arch9wavefront6targetE1EEEvT1_: ; @_ZN7rocprim17ROCPRIM_400000_NS6detail17trampoline_kernelINS0_14default_configENS1_20scan_config_selectorI3IntEEZZNS1_9scan_implILNS1_25lookback_scan_determinismE0ELb0ELb0ES3_N6thrust23THRUST_200600_302600_NS6detail15normal_iteratorINSA_10device_ptrIKS5_EEEENSC_INSD_IS5_EEEES5_NSA_4plusIvEES5_EEDaPvRmT3_T4_T5_mT6_P12ihipStream_tbENKUlT_T0_E_clISt17integral_constantIbLb0EESX_IbLb1EEEEDaST_SU_EUlST_E0_NS1_11comp_targetILNS1_3genE9ELNS1_11target_archE1100ELNS1_3gpuE3ELNS1_3repE0EEENS1_30default_config_static_selectorELNS0_4arch9wavefront6targetE1EEEvT1_
; %bb.0:
	.section	.rodata,"a",@progbits
	.p2align	6, 0x0
	.amdhsa_kernel _ZN7rocprim17ROCPRIM_400000_NS6detail17trampoline_kernelINS0_14default_configENS1_20scan_config_selectorI3IntEEZZNS1_9scan_implILNS1_25lookback_scan_determinismE0ELb0ELb0ES3_N6thrust23THRUST_200600_302600_NS6detail15normal_iteratorINSA_10device_ptrIKS5_EEEENSC_INSD_IS5_EEEES5_NSA_4plusIvEES5_EEDaPvRmT3_T4_T5_mT6_P12ihipStream_tbENKUlT_T0_E_clISt17integral_constantIbLb0EESX_IbLb1EEEEDaST_SU_EUlST_E0_NS1_11comp_targetILNS1_3genE9ELNS1_11target_archE1100ELNS1_3gpuE3ELNS1_3repE0EEENS1_30default_config_static_selectorELNS0_4arch9wavefront6targetE1EEEvT1_
		.amdhsa_group_segment_fixed_size 0
		.amdhsa_private_segment_fixed_size 0
		.amdhsa_kernarg_size 32
		.amdhsa_user_sgpr_count 6
		.amdhsa_user_sgpr_private_segment_buffer 1
		.amdhsa_user_sgpr_dispatch_ptr 0
		.amdhsa_user_sgpr_queue_ptr 0
		.amdhsa_user_sgpr_kernarg_segment_ptr 1
		.amdhsa_user_sgpr_dispatch_id 0
		.amdhsa_user_sgpr_flat_scratch_init 0
		.amdhsa_user_sgpr_kernarg_preload_length 0
		.amdhsa_user_sgpr_kernarg_preload_offset 0
		.amdhsa_user_sgpr_private_segment_size 0
		.amdhsa_uses_dynamic_stack 0
		.amdhsa_system_sgpr_private_segment_wavefront_offset 0
		.amdhsa_system_sgpr_workgroup_id_x 1
		.amdhsa_system_sgpr_workgroup_id_y 0
		.amdhsa_system_sgpr_workgroup_id_z 0
		.amdhsa_system_sgpr_workgroup_info 0
		.amdhsa_system_vgpr_workitem_id 0
		.amdhsa_next_free_vgpr 1
		.amdhsa_next_free_sgpr 0
		.amdhsa_accum_offset 4
		.amdhsa_reserve_vcc 0
		.amdhsa_reserve_flat_scratch 0
		.amdhsa_float_round_mode_32 0
		.amdhsa_float_round_mode_16_64 0
		.amdhsa_float_denorm_mode_32 3
		.amdhsa_float_denorm_mode_16_64 3
		.amdhsa_dx10_clamp 1
		.amdhsa_ieee_mode 1
		.amdhsa_fp16_overflow 0
		.amdhsa_tg_split 0
		.amdhsa_exception_fp_ieee_invalid_op 0
		.amdhsa_exception_fp_denorm_src 0
		.amdhsa_exception_fp_ieee_div_zero 0
		.amdhsa_exception_fp_ieee_overflow 0
		.amdhsa_exception_fp_ieee_underflow 0
		.amdhsa_exception_fp_ieee_inexact 0
		.amdhsa_exception_int_div_zero 0
	.end_amdhsa_kernel
	.section	.text._ZN7rocprim17ROCPRIM_400000_NS6detail17trampoline_kernelINS0_14default_configENS1_20scan_config_selectorI3IntEEZZNS1_9scan_implILNS1_25lookback_scan_determinismE0ELb0ELb0ES3_N6thrust23THRUST_200600_302600_NS6detail15normal_iteratorINSA_10device_ptrIKS5_EEEENSC_INSD_IS5_EEEES5_NSA_4plusIvEES5_EEDaPvRmT3_T4_T5_mT6_P12ihipStream_tbENKUlT_T0_E_clISt17integral_constantIbLb0EESX_IbLb1EEEEDaST_SU_EUlST_E0_NS1_11comp_targetILNS1_3genE9ELNS1_11target_archE1100ELNS1_3gpuE3ELNS1_3repE0EEENS1_30default_config_static_selectorELNS0_4arch9wavefront6targetE1EEEvT1_,"axG",@progbits,_ZN7rocprim17ROCPRIM_400000_NS6detail17trampoline_kernelINS0_14default_configENS1_20scan_config_selectorI3IntEEZZNS1_9scan_implILNS1_25lookback_scan_determinismE0ELb0ELb0ES3_N6thrust23THRUST_200600_302600_NS6detail15normal_iteratorINSA_10device_ptrIKS5_EEEENSC_INSD_IS5_EEEES5_NSA_4plusIvEES5_EEDaPvRmT3_T4_T5_mT6_P12ihipStream_tbENKUlT_T0_E_clISt17integral_constantIbLb0EESX_IbLb1EEEEDaST_SU_EUlST_E0_NS1_11comp_targetILNS1_3genE9ELNS1_11target_archE1100ELNS1_3gpuE3ELNS1_3repE0EEENS1_30default_config_static_selectorELNS0_4arch9wavefront6targetE1EEEvT1_,comdat
.Lfunc_end6978:
	.size	_ZN7rocprim17ROCPRIM_400000_NS6detail17trampoline_kernelINS0_14default_configENS1_20scan_config_selectorI3IntEEZZNS1_9scan_implILNS1_25lookback_scan_determinismE0ELb0ELb0ES3_N6thrust23THRUST_200600_302600_NS6detail15normal_iteratorINSA_10device_ptrIKS5_EEEENSC_INSD_IS5_EEEES5_NSA_4plusIvEES5_EEDaPvRmT3_T4_T5_mT6_P12ihipStream_tbENKUlT_T0_E_clISt17integral_constantIbLb0EESX_IbLb1EEEEDaST_SU_EUlST_E0_NS1_11comp_targetILNS1_3genE9ELNS1_11target_archE1100ELNS1_3gpuE3ELNS1_3repE0EEENS1_30default_config_static_selectorELNS0_4arch9wavefront6targetE1EEEvT1_, .Lfunc_end6978-_ZN7rocprim17ROCPRIM_400000_NS6detail17trampoline_kernelINS0_14default_configENS1_20scan_config_selectorI3IntEEZZNS1_9scan_implILNS1_25lookback_scan_determinismE0ELb0ELb0ES3_N6thrust23THRUST_200600_302600_NS6detail15normal_iteratorINSA_10device_ptrIKS5_EEEENSC_INSD_IS5_EEEES5_NSA_4plusIvEES5_EEDaPvRmT3_T4_T5_mT6_P12ihipStream_tbENKUlT_T0_E_clISt17integral_constantIbLb0EESX_IbLb1EEEEDaST_SU_EUlST_E0_NS1_11comp_targetILNS1_3genE9ELNS1_11target_archE1100ELNS1_3gpuE3ELNS1_3repE0EEENS1_30default_config_static_selectorELNS0_4arch9wavefront6targetE1EEEvT1_
                                        ; -- End function
	.section	.AMDGPU.csdata,"",@progbits
; Kernel info:
; codeLenInByte = 0
; NumSgprs: 4
; NumVgprs: 0
; NumAgprs: 0
; TotalNumVgprs: 0
; ScratchSize: 0
; MemoryBound: 0
; FloatMode: 240
; IeeeMode: 1
; LDSByteSize: 0 bytes/workgroup (compile time only)
; SGPRBlocks: 0
; VGPRBlocks: 0
; NumSGPRsForWavesPerEU: 4
; NumVGPRsForWavesPerEU: 1
; AccumOffset: 4
; Occupancy: 8
; WaveLimiterHint : 0
; COMPUTE_PGM_RSRC2:SCRATCH_EN: 0
; COMPUTE_PGM_RSRC2:USER_SGPR: 6
; COMPUTE_PGM_RSRC2:TRAP_HANDLER: 0
; COMPUTE_PGM_RSRC2:TGID_X_EN: 1
; COMPUTE_PGM_RSRC2:TGID_Y_EN: 0
; COMPUTE_PGM_RSRC2:TGID_Z_EN: 0
; COMPUTE_PGM_RSRC2:TIDIG_COMP_CNT: 0
; COMPUTE_PGM_RSRC3_GFX90A:ACCUM_OFFSET: 0
; COMPUTE_PGM_RSRC3_GFX90A:TG_SPLIT: 0
	.section	.text._ZN7rocprim17ROCPRIM_400000_NS6detail17trampoline_kernelINS0_14default_configENS1_20scan_config_selectorI3IntEEZZNS1_9scan_implILNS1_25lookback_scan_determinismE0ELb0ELb0ES3_N6thrust23THRUST_200600_302600_NS6detail15normal_iteratorINSA_10device_ptrIKS5_EEEENSC_INSD_IS5_EEEES5_NSA_4plusIvEES5_EEDaPvRmT3_T4_T5_mT6_P12ihipStream_tbENKUlT_T0_E_clISt17integral_constantIbLb0EESX_IbLb1EEEEDaST_SU_EUlST_E0_NS1_11comp_targetILNS1_3genE8ELNS1_11target_archE1030ELNS1_3gpuE2ELNS1_3repE0EEENS1_30default_config_static_selectorELNS0_4arch9wavefront6targetE1EEEvT1_,"axG",@progbits,_ZN7rocprim17ROCPRIM_400000_NS6detail17trampoline_kernelINS0_14default_configENS1_20scan_config_selectorI3IntEEZZNS1_9scan_implILNS1_25lookback_scan_determinismE0ELb0ELb0ES3_N6thrust23THRUST_200600_302600_NS6detail15normal_iteratorINSA_10device_ptrIKS5_EEEENSC_INSD_IS5_EEEES5_NSA_4plusIvEES5_EEDaPvRmT3_T4_T5_mT6_P12ihipStream_tbENKUlT_T0_E_clISt17integral_constantIbLb0EESX_IbLb1EEEEDaST_SU_EUlST_E0_NS1_11comp_targetILNS1_3genE8ELNS1_11target_archE1030ELNS1_3gpuE2ELNS1_3repE0EEENS1_30default_config_static_selectorELNS0_4arch9wavefront6targetE1EEEvT1_,comdat
	.protected	_ZN7rocprim17ROCPRIM_400000_NS6detail17trampoline_kernelINS0_14default_configENS1_20scan_config_selectorI3IntEEZZNS1_9scan_implILNS1_25lookback_scan_determinismE0ELb0ELb0ES3_N6thrust23THRUST_200600_302600_NS6detail15normal_iteratorINSA_10device_ptrIKS5_EEEENSC_INSD_IS5_EEEES5_NSA_4plusIvEES5_EEDaPvRmT3_T4_T5_mT6_P12ihipStream_tbENKUlT_T0_E_clISt17integral_constantIbLb0EESX_IbLb1EEEEDaST_SU_EUlST_E0_NS1_11comp_targetILNS1_3genE8ELNS1_11target_archE1030ELNS1_3gpuE2ELNS1_3repE0EEENS1_30default_config_static_selectorELNS0_4arch9wavefront6targetE1EEEvT1_ ; -- Begin function _ZN7rocprim17ROCPRIM_400000_NS6detail17trampoline_kernelINS0_14default_configENS1_20scan_config_selectorI3IntEEZZNS1_9scan_implILNS1_25lookback_scan_determinismE0ELb0ELb0ES3_N6thrust23THRUST_200600_302600_NS6detail15normal_iteratorINSA_10device_ptrIKS5_EEEENSC_INSD_IS5_EEEES5_NSA_4plusIvEES5_EEDaPvRmT3_T4_T5_mT6_P12ihipStream_tbENKUlT_T0_E_clISt17integral_constantIbLb0EESX_IbLb1EEEEDaST_SU_EUlST_E0_NS1_11comp_targetILNS1_3genE8ELNS1_11target_archE1030ELNS1_3gpuE2ELNS1_3repE0EEENS1_30default_config_static_selectorELNS0_4arch9wavefront6targetE1EEEvT1_
	.globl	_ZN7rocprim17ROCPRIM_400000_NS6detail17trampoline_kernelINS0_14default_configENS1_20scan_config_selectorI3IntEEZZNS1_9scan_implILNS1_25lookback_scan_determinismE0ELb0ELb0ES3_N6thrust23THRUST_200600_302600_NS6detail15normal_iteratorINSA_10device_ptrIKS5_EEEENSC_INSD_IS5_EEEES5_NSA_4plusIvEES5_EEDaPvRmT3_T4_T5_mT6_P12ihipStream_tbENKUlT_T0_E_clISt17integral_constantIbLb0EESX_IbLb1EEEEDaST_SU_EUlST_E0_NS1_11comp_targetILNS1_3genE8ELNS1_11target_archE1030ELNS1_3gpuE2ELNS1_3repE0EEENS1_30default_config_static_selectorELNS0_4arch9wavefront6targetE1EEEvT1_
	.p2align	8
	.type	_ZN7rocprim17ROCPRIM_400000_NS6detail17trampoline_kernelINS0_14default_configENS1_20scan_config_selectorI3IntEEZZNS1_9scan_implILNS1_25lookback_scan_determinismE0ELb0ELb0ES3_N6thrust23THRUST_200600_302600_NS6detail15normal_iteratorINSA_10device_ptrIKS5_EEEENSC_INSD_IS5_EEEES5_NSA_4plusIvEES5_EEDaPvRmT3_T4_T5_mT6_P12ihipStream_tbENKUlT_T0_E_clISt17integral_constantIbLb0EESX_IbLb1EEEEDaST_SU_EUlST_E0_NS1_11comp_targetILNS1_3genE8ELNS1_11target_archE1030ELNS1_3gpuE2ELNS1_3repE0EEENS1_30default_config_static_selectorELNS0_4arch9wavefront6targetE1EEEvT1_,@function
_ZN7rocprim17ROCPRIM_400000_NS6detail17trampoline_kernelINS0_14default_configENS1_20scan_config_selectorI3IntEEZZNS1_9scan_implILNS1_25lookback_scan_determinismE0ELb0ELb0ES3_N6thrust23THRUST_200600_302600_NS6detail15normal_iteratorINSA_10device_ptrIKS5_EEEENSC_INSD_IS5_EEEES5_NSA_4plusIvEES5_EEDaPvRmT3_T4_T5_mT6_P12ihipStream_tbENKUlT_T0_E_clISt17integral_constantIbLb0EESX_IbLb1EEEEDaST_SU_EUlST_E0_NS1_11comp_targetILNS1_3genE8ELNS1_11target_archE1030ELNS1_3gpuE2ELNS1_3repE0EEENS1_30default_config_static_selectorELNS0_4arch9wavefront6targetE1EEEvT1_: ; @_ZN7rocprim17ROCPRIM_400000_NS6detail17trampoline_kernelINS0_14default_configENS1_20scan_config_selectorI3IntEEZZNS1_9scan_implILNS1_25lookback_scan_determinismE0ELb0ELb0ES3_N6thrust23THRUST_200600_302600_NS6detail15normal_iteratorINSA_10device_ptrIKS5_EEEENSC_INSD_IS5_EEEES5_NSA_4plusIvEES5_EEDaPvRmT3_T4_T5_mT6_P12ihipStream_tbENKUlT_T0_E_clISt17integral_constantIbLb0EESX_IbLb1EEEEDaST_SU_EUlST_E0_NS1_11comp_targetILNS1_3genE8ELNS1_11target_archE1030ELNS1_3gpuE2ELNS1_3repE0EEENS1_30default_config_static_selectorELNS0_4arch9wavefront6targetE1EEEvT1_
; %bb.0:
	.section	.rodata,"a",@progbits
	.p2align	6, 0x0
	.amdhsa_kernel _ZN7rocprim17ROCPRIM_400000_NS6detail17trampoline_kernelINS0_14default_configENS1_20scan_config_selectorI3IntEEZZNS1_9scan_implILNS1_25lookback_scan_determinismE0ELb0ELb0ES3_N6thrust23THRUST_200600_302600_NS6detail15normal_iteratorINSA_10device_ptrIKS5_EEEENSC_INSD_IS5_EEEES5_NSA_4plusIvEES5_EEDaPvRmT3_T4_T5_mT6_P12ihipStream_tbENKUlT_T0_E_clISt17integral_constantIbLb0EESX_IbLb1EEEEDaST_SU_EUlST_E0_NS1_11comp_targetILNS1_3genE8ELNS1_11target_archE1030ELNS1_3gpuE2ELNS1_3repE0EEENS1_30default_config_static_selectorELNS0_4arch9wavefront6targetE1EEEvT1_
		.amdhsa_group_segment_fixed_size 0
		.amdhsa_private_segment_fixed_size 0
		.amdhsa_kernarg_size 32
		.amdhsa_user_sgpr_count 6
		.amdhsa_user_sgpr_private_segment_buffer 1
		.amdhsa_user_sgpr_dispatch_ptr 0
		.amdhsa_user_sgpr_queue_ptr 0
		.amdhsa_user_sgpr_kernarg_segment_ptr 1
		.amdhsa_user_sgpr_dispatch_id 0
		.amdhsa_user_sgpr_flat_scratch_init 0
		.amdhsa_user_sgpr_kernarg_preload_length 0
		.amdhsa_user_sgpr_kernarg_preload_offset 0
		.amdhsa_user_sgpr_private_segment_size 0
		.amdhsa_uses_dynamic_stack 0
		.amdhsa_system_sgpr_private_segment_wavefront_offset 0
		.amdhsa_system_sgpr_workgroup_id_x 1
		.amdhsa_system_sgpr_workgroup_id_y 0
		.amdhsa_system_sgpr_workgroup_id_z 0
		.amdhsa_system_sgpr_workgroup_info 0
		.amdhsa_system_vgpr_workitem_id 0
		.amdhsa_next_free_vgpr 1
		.amdhsa_next_free_sgpr 0
		.amdhsa_accum_offset 4
		.amdhsa_reserve_vcc 0
		.amdhsa_reserve_flat_scratch 0
		.amdhsa_float_round_mode_32 0
		.amdhsa_float_round_mode_16_64 0
		.amdhsa_float_denorm_mode_32 3
		.amdhsa_float_denorm_mode_16_64 3
		.amdhsa_dx10_clamp 1
		.amdhsa_ieee_mode 1
		.amdhsa_fp16_overflow 0
		.amdhsa_tg_split 0
		.amdhsa_exception_fp_ieee_invalid_op 0
		.amdhsa_exception_fp_denorm_src 0
		.amdhsa_exception_fp_ieee_div_zero 0
		.amdhsa_exception_fp_ieee_overflow 0
		.amdhsa_exception_fp_ieee_underflow 0
		.amdhsa_exception_fp_ieee_inexact 0
		.amdhsa_exception_int_div_zero 0
	.end_amdhsa_kernel
	.section	.text._ZN7rocprim17ROCPRIM_400000_NS6detail17trampoline_kernelINS0_14default_configENS1_20scan_config_selectorI3IntEEZZNS1_9scan_implILNS1_25lookback_scan_determinismE0ELb0ELb0ES3_N6thrust23THRUST_200600_302600_NS6detail15normal_iteratorINSA_10device_ptrIKS5_EEEENSC_INSD_IS5_EEEES5_NSA_4plusIvEES5_EEDaPvRmT3_T4_T5_mT6_P12ihipStream_tbENKUlT_T0_E_clISt17integral_constantIbLb0EESX_IbLb1EEEEDaST_SU_EUlST_E0_NS1_11comp_targetILNS1_3genE8ELNS1_11target_archE1030ELNS1_3gpuE2ELNS1_3repE0EEENS1_30default_config_static_selectorELNS0_4arch9wavefront6targetE1EEEvT1_,"axG",@progbits,_ZN7rocprim17ROCPRIM_400000_NS6detail17trampoline_kernelINS0_14default_configENS1_20scan_config_selectorI3IntEEZZNS1_9scan_implILNS1_25lookback_scan_determinismE0ELb0ELb0ES3_N6thrust23THRUST_200600_302600_NS6detail15normal_iteratorINSA_10device_ptrIKS5_EEEENSC_INSD_IS5_EEEES5_NSA_4plusIvEES5_EEDaPvRmT3_T4_T5_mT6_P12ihipStream_tbENKUlT_T0_E_clISt17integral_constantIbLb0EESX_IbLb1EEEEDaST_SU_EUlST_E0_NS1_11comp_targetILNS1_3genE8ELNS1_11target_archE1030ELNS1_3gpuE2ELNS1_3repE0EEENS1_30default_config_static_selectorELNS0_4arch9wavefront6targetE1EEEvT1_,comdat
.Lfunc_end6979:
	.size	_ZN7rocprim17ROCPRIM_400000_NS6detail17trampoline_kernelINS0_14default_configENS1_20scan_config_selectorI3IntEEZZNS1_9scan_implILNS1_25lookback_scan_determinismE0ELb0ELb0ES3_N6thrust23THRUST_200600_302600_NS6detail15normal_iteratorINSA_10device_ptrIKS5_EEEENSC_INSD_IS5_EEEES5_NSA_4plusIvEES5_EEDaPvRmT3_T4_T5_mT6_P12ihipStream_tbENKUlT_T0_E_clISt17integral_constantIbLb0EESX_IbLb1EEEEDaST_SU_EUlST_E0_NS1_11comp_targetILNS1_3genE8ELNS1_11target_archE1030ELNS1_3gpuE2ELNS1_3repE0EEENS1_30default_config_static_selectorELNS0_4arch9wavefront6targetE1EEEvT1_, .Lfunc_end6979-_ZN7rocprim17ROCPRIM_400000_NS6detail17trampoline_kernelINS0_14default_configENS1_20scan_config_selectorI3IntEEZZNS1_9scan_implILNS1_25lookback_scan_determinismE0ELb0ELb0ES3_N6thrust23THRUST_200600_302600_NS6detail15normal_iteratorINSA_10device_ptrIKS5_EEEENSC_INSD_IS5_EEEES5_NSA_4plusIvEES5_EEDaPvRmT3_T4_T5_mT6_P12ihipStream_tbENKUlT_T0_E_clISt17integral_constantIbLb0EESX_IbLb1EEEEDaST_SU_EUlST_E0_NS1_11comp_targetILNS1_3genE8ELNS1_11target_archE1030ELNS1_3gpuE2ELNS1_3repE0EEENS1_30default_config_static_selectorELNS0_4arch9wavefront6targetE1EEEvT1_
                                        ; -- End function
	.section	.AMDGPU.csdata,"",@progbits
; Kernel info:
; codeLenInByte = 0
; NumSgprs: 4
; NumVgprs: 0
; NumAgprs: 0
; TotalNumVgprs: 0
; ScratchSize: 0
; MemoryBound: 0
; FloatMode: 240
; IeeeMode: 1
; LDSByteSize: 0 bytes/workgroup (compile time only)
; SGPRBlocks: 0
; VGPRBlocks: 0
; NumSGPRsForWavesPerEU: 4
; NumVGPRsForWavesPerEU: 1
; AccumOffset: 4
; Occupancy: 8
; WaveLimiterHint : 0
; COMPUTE_PGM_RSRC2:SCRATCH_EN: 0
; COMPUTE_PGM_RSRC2:USER_SGPR: 6
; COMPUTE_PGM_RSRC2:TRAP_HANDLER: 0
; COMPUTE_PGM_RSRC2:TGID_X_EN: 1
; COMPUTE_PGM_RSRC2:TGID_Y_EN: 0
; COMPUTE_PGM_RSRC2:TGID_Z_EN: 0
; COMPUTE_PGM_RSRC2:TIDIG_COMP_CNT: 0
; COMPUTE_PGM_RSRC3_GFX90A:ACCUM_OFFSET: 0
; COMPUTE_PGM_RSRC3_GFX90A:TG_SPLIT: 0
	.section	.text._ZN7rocprim17ROCPRIM_400000_NS6detail17trampoline_kernelINS0_14default_configENS1_20scan_config_selectorIiEEZZNS1_9scan_implILNS1_25lookback_scan_determinismE0ELb0ELb0ES3_N6thrust23THRUST_200600_302600_NS6detail15normal_iteratorINS9_10device_ptrIiEEEESE_i19const_ref_plus_mod3IiEiEEDaPvRmT3_T4_T5_mT6_P12ihipStream_tbENKUlT_T0_E_clISt17integral_constantIbLb0EESU_EEDaSP_SQ_EUlSP_E_NS1_11comp_targetILNS1_3genE0ELNS1_11target_archE4294967295ELNS1_3gpuE0ELNS1_3repE0EEENS1_30default_config_static_selectorELNS0_4arch9wavefront6targetE1EEEvT1_,"axG",@progbits,_ZN7rocprim17ROCPRIM_400000_NS6detail17trampoline_kernelINS0_14default_configENS1_20scan_config_selectorIiEEZZNS1_9scan_implILNS1_25lookback_scan_determinismE0ELb0ELb0ES3_N6thrust23THRUST_200600_302600_NS6detail15normal_iteratorINS9_10device_ptrIiEEEESE_i19const_ref_plus_mod3IiEiEEDaPvRmT3_T4_T5_mT6_P12ihipStream_tbENKUlT_T0_E_clISt17integral_constantIbLb0EESU_EEDaSP_SQ_EUlSP_E_NS1_11comp_targetILNS1_3genE0ELNS1_11target_archE4294967295ELNS1_3gpuE0ELNS1_3repE0EEENS1_30default_config_static_selectorELNS0_4arch9wavefront6targetE1EEEvT1_,comdat
	.protected	_ZN7rocprim17ROCPRIM_400000_NS6detail17trampoline_kernelINS0_14default_configENS1_20scan_config_selectorIiEEZZNS1_9scan_implILNS1_25lookback_scan_determinismE0ELb0ELb0ES3_N6thrust23THRUST_200600_302600_NS6detail15normal_iteratorINS9_10device_ptrIiEEEESE_i19const_ref_plus_mod3IiEiEEDaPvRmT3_T4_T5_mT6_P12ihipStream_tbENKUlT_T0_E_clISt17integral_constantIbLb0EESU_EEDaSP_SQ_EUlSP_E_NS1_11comp_targetILNS1_3genE0ELNS1_11target_archE4294967295ELNS1_3gpuE0ELNS1_3repE0EEENS1_30default_config_static_selectorELNS0_4arch9wavefront6targetE1EEEvT1_ ; -- Begin function _ZN7rocprim17ROCPRIM_400000_NS6detail17trampoline_kernelINS0_14default_configENS1_20scan_config_selectorIiEEZZNS1_9scan_implILNS1_25lookback_scan_determinismE0ELb0ELb0ES3_N6thrust23THRUST_200600_302600_NS6detail15normal_iteratorINS9_10device_ptrIiEEEESE_i19const_ref_plus_mod3IiEiEEDaPvRmT3_T4_T5_mT6_P12ihipStream_tbENKUlT_T0_E_clISt17integral_constantIbLb0EESU_EEDaSP_SQ_EUlSP_E_NS1_11comp_targetILNS1_3genE0ELNS1_11target_archE4294967295ELNS1_3gpuE0ELNS1_3repE0EEENS1_30default_config_static_selectorELNS0_4arch9wavefront6targetE1EEEvT1_
	.globl	_ZN7rocprim17ROCPRIM_400000_NS6detail17trampoline_kernelINS0_14default_configENS1_20scan_config_selectorIiEEZZNS1_9scan_implILNS1_25lookback_scan_determinismE0ELb0ELb0ES3_N6thrust23THRUST_200600_302600_NS6detail15normal_iteratorINS9_10device_ptrIiEEEESE_i19const_ref_plus_mod3IiEiEEDaPvRmT3_T4_T5_mT6_P12ihipStream_tbENKUlT_T0_E_clISt17integral_constantIbLb0EESU_EEDaSP_SQ_EUlSP_E_NS1_11comp_targetILNS1_3genE0ELNS1_11target_archE4294967295ELNS1_3gpuE0ELNS1_3repE0EEENS1_30default_config_static_selectorELNS0_4arch9wavefront6targetE1EEEvT1_
	.p2align	8
	.type	_ZN7rocprim17ROCPRIM_400000_NS6detail17trampoline_kernelINS0_14default_configENS1_20scan_config_selectorIiEEZZNS1_9scan_implILNS1_25lookback_scan_determinismE0ELb0ELb0ES3_N6thrust23THRUST_200600_302600_NS6detail15normal_iteratorINS9_10device_ptrIiEEEESE_i19const_ref_plus_mod3IiEiEEDaPvRmT3_T4_T5_mT6_P12ihipStream_tbENKUlT_T0_E_clISt17integral_constantIbLb0EESU_EEDaSP_SQ_EUlSP_E_NS1_11comp_targetILNS1_3genE0ELNS1_11target_archE4294967295ELNS1_3gpuE0ELNS1_3repE0EEENS1_30default_config_static_selectorELNS0_4arch9wavefront6targetE1EEEvT1_,@function
_ZN7rocprim17ROCPRIM_400000_NS6detail17trampoline_kernelINS0_14default_configENS1_20scan_config_selectorIiEEZZNS1_9scan_implILNS1_25lookback_scan_determinismE0ELb0ELb0ES3_N6thrust23THRUST_200600_302600_NS6detail15normal_iteratorINS9_10device_ptrIiEEEESE_i19const_ref_plus_mod3IiEiEEDaPvRmT3_T4_T5_mT6_P12ihipStream_tbENKUlT_T0_E_clISt17integral_constantIbLb0EESU_EEDaSP_SQ_EUlSP_E_NS1_11comp_targetILNS1_3genE0ELNS1_11target_archE4294967295ELNS1_3gpuE0ELNS1_3repE0EEENS1_30default_config_static_selectorELNS0_4arch9wavefront6targetE1EEEvT1_: ; @_ZN7rocprim17ROCPRIM_400000_NS6detail17trampoline_kernelINS0_14default_configENS1_20scan_config_selectorIiEEZZNS1_9scan_implILNS1_25lookback_scan_determinismE0ELb0ELb0ES3_N6thrust23THRUST_200600_302600_NS6detail15normal_iteratorINS9_10device_ptrIiEEEESE_i19const_ref_plus_mod3IiEiEEDaPvRmT3_T4_T5_mT6_P12ihipStream_tbENKUlT_T0_E_clISt17integral_constantIbLb0EESU_EEDaSP_SQ_EUlSP_E_NS1_11comp_targetILNS1_3genE0ELNS1_11target_archE4294967295ELNS1_3gpuE0ELNS1_3repE0EEENS1_30default_config_static_selectorELNS0_4arch9wavefront6targetE1EEEvT1_
; %bb.0:
	.section	.rodata,"a",@progbits
	.p2align	6, 0x0
	.amdhsa_kernel _ZN7rocprim17ROCPRIM_400000_NS6detail17trampoline_kernelINS0_14default_configENS1_20scan_config_selectorIiEEZZNS1_9scan_implILNS1_25lookback_scan_determinismE0ELb0ELb0ES3_N6thrust23THRUST_200600_302600_NS6detail15normal_iteratorINS9_10device_ptrIiEEEESE_i19const_ref_plus_mod3IiEiEEDaPvRmT3_T4_T5_mT6_P12ihipStream_tbENKUlT_T0_E_clISt17integral_constantIbLb0EESU_EEDaSP_SQ_EUlSP_E_NS1_11comp_targetILNS1_3genE0ELNS1_11target_archE4294967295ELNS1_3gpuE0ELNS1_3repE0EEENS1_30default_config_static_selectorELNS0_4arch9wavefront6targetE1EEEvT1_
		.amdhsa_group_segment_fixed_size 0
		.amdhsa_private_segment_fixed_size 0
		.amdhsa_kernarg_size 104
		.amdhsa_user_sgpr_count 6
		.amdhsa_user_sgpr_private_segment_buffer 1
		.amdhsa_user_sgpr_dispatch_ptr 0
		.amdhsa_user_sgpr_queue_ptr 0
		.amdhsa_user_sgpr_kernarg_segment_ptr 1
		.amdhsa_user_sgpr_dispatch_id 0
		.amdhsa_user_sgpr_flat_scratch_init 0
		.amdhsa_user_sgpr_kernarg_preload_length 0
		.amdhsa_user_sgpr_kernarg_preload_offset 0
		.amdhsa_user_sgpr_private_segment_size 0
		.amdhsa_uses_dynamic_stack 0
		.amdhsa_system_sgpr_private_segment_wavefront_offset 0
		.amdhsa_system_sgpr_workgroup_id_x 1
		.amdhsa_system_sgpr_workgroup_id_y 0
		.amdhsa_system_sgpr_workgroup_id_z 0
		.amdhsa_system_sgpr_workgroup_info 0
		.amdhsa_system_vgpr_workitem_id 0
		.amdhsa_next_free_vgpr 1
		.amdhsa_next_free_sgpr 0
		.amdhsa_accum_offset 4
		.amdhsa_reserve_vcc 0
		.amdhsa_reserve_flat_scratch 0
		.amdhsa_float_round_mode_32 0
		.amdhsa_float_round_mode_16_64 0
		.amdhsa_float_denorm_mode_32 3
		.amdhsa_float_denorm_mode_16_64 3
		.amdhsa_dx10_clamp 1
		.amdhsa_ieee_mode 1
		.amdhsa_fp16_overflow 0
		.amdhsa_tg_split 0
		.amdhsa_exception_fp_ieee_invalid_op 0
		.amdhsa_exception_fp_denorm_src 0
		.amdhsa_exception_fp_ieee_div_zero 0
		.amdhsa_exception_fp_ieee_overflow 0
		.amdhsa_exception_fp_ieee_underflow 0
		.amdhsa_exception_fp_ieee_inexact 0
		.amdhsa_exception_int_div_zero 0
	.end_amdhsa_kernel
	.section	.text._ZN7rocprim17ROCPRIM_400000_NS6detail17trampoline_kernelINS0_14default_configENS1_20scan_config_selectorIiEEZZNS1_9scan_implILNS1_25lookback_scan_determinismE0ELb0ELb0ES3_N6thrust23THRUST_200600_302600_NS6detail15normal_iteratorINS9_10device_ptrIiEEEESE_i19const_ref_plus_mod3IiEiEEDaPvRmT3_T4_T5_mT6_P12ihipStream_tbENKUlT_T0_E_clISt17integral_constantIbLb0EESU_EEDaSP_SQ_EUlSP_E_NS1_11comp_targetILNS1_3genE0ELNS1_11target_archE4294967295ELNS1_3gpuE0ELNS1_3repE0EEENS1_30default_config_static_selectorELNS0_4arch9wavefront6targetE1EEEvT1_,"axG",@progbits,_ZN7rocprim17ROCPRIM_400000_NS6detail17trampoline_kernelINS0_14default_configENS1_20scan_config_selectorIiEEZZNS1_9scan_implILNS1_25lookback_scan_determinismE0ELb0ELb0ES3_N6thrust23THRUST_200600_302600_NS6detail15normal_iteratorINS9_10device_ptrIiEEEESE_i19const_ref_plus_mod3IiEiEEDaPvRmT3_T4_T5_mT6_P12ihipStream_tbENKUlT_T0_E_clISt17integral_constantIbLb0EESU_EEDaSP_SQ_EUlSP_E_NS1_11comp_targetILNS1_3genE0ELNS1_11target_archE4294967295ELNS1_3gpuE0ELNS1_3repE0EEENS1_30default_config_static_selectorELNS0_4arch9wavefront6targetE1EEEvT1_,comdat
.Lfunc_end6980:
	.size	_ZN7rocprim17ROCPRIM_400000_NS6detail17trampoline_kernelINS0_14default_configENS1_20scan_config_selectorIiEEZZNS1_9scan_implILNS1_25lookback_scan_determinismE0ELb0ELb0ES3_N6thrust23THRUST_200600_302600_NS6detail15normal_iteratorINS9_10device_ptrIiEEEESE_i19const_ref_plus_mod3IiEiEEDaPvRmT3_T4_T5_mT6_P12ihipStream_tbENKUlT_T0_E_clISt17integral_constantIbLb0EESU_EEDaSP_SQ_EUlSP_E_NS1_11comp_targetILNS1_3genE0ELNS1_11target_archE4294967295ELNS1_3gpuE0ELNS1_3repE0EEENS1_30default_config_static_selectorELNS0_4arch9wavefront6targetE1EEEvT1_, .Lfunc_end6980-_ZN7rocprim17ROCPRIM_400000_NS6detail17trampoline_kernelINS0_14default_configENS1_20scan_config_selectorIiEEZZNS1_9scan_implILNS1_25lookback_scan_determinismE0ELb0ELb0ES3_N6thrust23THRUST_200600_302600_NS6detail15normal_iteratorINS9_10device_ptrIiEEEESE_i19const_ref_plus_mod3IiEiEEDaPvRmT3_T4_T5_mT6_P12ihipStream_tbENKUlT_T0_E_clISt17integral_constantIbLb0EESU_EEDaSP_SQ_EUlSP_E_NS1_11comp_targetILNS1_3genE0ELNS1_11target_archE4294967295ELNS1_3gpuE0ELNS1_3repE0EEENS1_30default_config_static_selectorELNS0_4arch9wavefront6targetE1EEEvT1_
                                        ; -- End function
	.section	.AMDGPU.csdata,"",@progbits
; Kernel info:
; codeLenInByte = 0
; NumSgprs: 4
; NumVgprs: 0
; NumAgprs: 0
; TotalNumVgprs: 0
; ScratchSize: 0
; MemoryBound: 0
; FloatMode: 240
; IeeeMode: 1
; LDSByteSize: 0 bytes/workgroup (compile time only)
; SGPRBlocks: 0
; VGPRBlocks: 0
; NumSGPRsForWavesPerEU: 4
; NumVGPRsForWavesPerEU: 1
; AccumOffset: 4
; Occupancy: 8
; WaveLimiterHint : 0
; COMPUTE_PGM_RSRC2:SCRATCH_EN: 0
; COMPUTE_PGM_RSRC2:USER_SGPR: 6
; COMPUTE_PGM_RSRC2:TRAP_HANDLER: 0
; COMPUTE_PGM_RSRC2:TGID_X_EN: 1
; COMPUTE_PGM_RSRC2:TGID_Y_EN: 0
; COMPUTE_PGM_RSRC2:TGID_Z_EN: 0
; COMPUTE_PGM_RSRC2:TIDIG_COMP_CNT: 0
; COMPUTE_PGM_RSRC3_GFX90A:ACCUM_OFFSET: 0
; COMPUTE_PGM_RSRC3_GFX90A:TG_SPLIT: 0
	.section	.text._ZN7rocprim17ROCPRIM_400000_NS6detail17trampoline_kernelINS0_14default_configENS1_20scan_config_selectorIiEEZZNS1_9scan_implILNS1_25lookback_scan_determinismE0ELb0ELb0ES3_N6thrust23THRUST_200600_302600_NS6detail15normal_iteratorINS9_10device_ptrIiEEEESE_i19const_ref_plus_mod3IiEiEEDaPvRmT3_T4_T5_mT6_P12ihipStream_tbENKUlT_T0_E_clISt17integral_constantIbLb0EESU_EEDaSP_SQ_EUlSP_E_NS1_11comp_targetILNS1_3genE5ELNS1_11target_archE942ELNS1_3gpuE9ELNS1_3repE0EEENS1_30default_config_static_selectorELNS0_4arch9wavefront6targetE1EEEvT1_,"axG",@progbits,_ZN7rocprim17ROCPRIM_400000_NS6detail17trampoline_kernelINS0_14default_configENS1_20scan_config_selectorIiEEZZNS1_9scan_implILNS1_25lookback_scan_determinismE0ELb0ELb0ES3_N6thrust23THRUST_200600_302600_NS6detail15normal_iteratorINS9_10device_ptrIiEEEESE_i19const_ref_plus_mod3IiEiEEDaPvRmT3_T4_T5_mT6_P12ihipStream_tbENKUlT_T0_E_clISt17integral_constantIbLb0EESU_EEDaSP_SQ_EUlSP_E_NS1_11comp_targetILNS1_3genE5ELNS1_11target_archE942ELNS1_3gpuE9ELNS1_3repE0EEENS1_30default_config_static_selectorELNS0_4arch9wavefront6targetE1EEEvT1_,comdat
	.protected	_ZN7rocprim17ROCPRIM_400000_NS6detail17trampoline_kernelINS0_14default_configENS1_20scan_config_selectorIiEEZZNS1_9scan_implILNS1_25lookback_scan_determinismE0ELb0ELb0ES3_N6thrust23THRUST_200600_302600_NS6detail15normal_iteratorINS9_10device_ptrIiEEEESE_i19const_ref_plus_mod3IiEiEEDaPvRmT3_T4_T5_mT6_P12ihipStream_tbENKUlT_T0_E_clISt17integral_constantIbLb0EESU_EEDaSP_SQ_EUlSP_E_NS1_11comp_targetILNS1_3genE5ELNS1_11target_archE942ELNS1_3gpuE9ELNS1_3repE0EEENS1_30default_config_static_selectorELNS0_4arch9wavefront6targetE1EEEvT1_ ; -- Begin function _ZN7rocprim17ROCPRIM_400000_NS6detail17trampoline_kernelINS0_14default_configENS1_20scan_config_selectorIiEEZZNS1_9scan_implILNS1_25lookback_scan_determinismE0ELb0ELb0ES3_N6thrust23THRUST_200600_302600_NS6detail15normal_iteratorINS9_10device_ptrIiEEEESE_i19const_ref_plus_mod3IiEiEEDaPvRmT3_T4_T5_mT6_P12ihipStream_tbENKUlT_T0_E_clISt17integral_constantIbLb0EESU_EEDaSP_SQ_EUlSP_E_NS1_11comp_targetILNS1_3genE5ELNS1_11target_archE942ELNS1_3gpuE9ELNS1_3repE0EEENS1_30default_config_static_selectorELNS0_4arch9wavefront6targetE1EEEvT1_
	.globl	_ZN7rocprim17ROCPRIM_400000_NS6detail17trampoline_kernelINS0_14default_configENS1_20scan_config_selectorIiEEZZNS1_9scan_implILNS1_25lookback_scan_determinismE0ELb0ELb0ES3_N6thrust23THRUST_200600_302600_NS6detail15normal_iteratorINS9_10device_ptrIiEEEESE_i19const_ref_plus_mod3IiEiEEDaPvRmT3_T4_T5_mT6_P12ihipStream_tbENKUlT_T0_E_clISt17integral_constantIbLb0EESU_EEDaSP_SQ_EUlSP_E_NS1_11comp_targetILNS1_3genE5ELNS1_11target_archE942ELNS1_3gpuE9ELNS1_3repE0EEENS1_30default_config_static_selectorELNS0_4arch9wavefront6targetE1EEEvT1_
	.p2align	8
	.type	_ZN7rocprim17ROCPRIM_400000_NS6detail17trampoline_kernelINS0_14default_configENS1_20scan_config_selectorIiEEZZNS1_9scan_implILNS1_25lookback_scan_determinismE0ELb0ELb0ES3_N6thrust23THRUST_200600_302600_NS6detail15normal_iteratorINS9_10device_ptrIiEEEESE_i19const_ref_plus_mod3IiEiEEDaPvRmT3_T4_T5_mT6_P12ihipStream_tbENKUlT_T0_E_clISt17integral_constantIbLb0EESU_EEDaSP_SQ_EUlSP_E_NS1_11comp_targetILNS1_3genE5ELNS1_11target_archE942ELNS1_3gpuE9ELNS1_3repE0EEENS1_30default_config_static_selectorELNS0_4arch9wavefront6targetE1EEEvT1_,@function
_ZN7rocprim17ROCPRIM_400000_NS6detail17trampoline_kernelINS0_14default_configENS1_20scan_config_selectorIiEEZZNS1_9scan_implILNS1_25lookback_scan_determinismE0ELb0ELb0ES3_N6thrust23THRUST_200600_302600_NS6detail15normal_iteratorINS9_10device_ptrIiEEEESE_i19const_ref_plus_mod3IiEiEEDaPvRmT3_T4_T5_mT6_P12ihipStream_tbENKUlT_T0_E_clISt17integral_constantIbLb0EESU_EEDaSP_SQ_EUlSP_E_NS1_11comp_targetILNS1_3genE5ELNS1_11target_archE942ELNS1_3gpuE9ELNS1_3repE0EEENS1_30default_config_static_selectorELNS0_4arch9wavefront6targetE1EEEvT1_: ; @_ZN7rocprim17ROCPRIM_400000_NS6detail17trampoline_kernelINS0_14default_configENS1_20scan_config_selectorIiEEZZNS1_9scan_implILNS1_25lookback_scan_determinismE0ELb0ELb0ES3_N6thrust23THRUST_200600_302600_NS6detail15normal_iteratorINS9_10device_ptrIiEEEESE_i19const_ref_plus_mod3IiEiEEDaPvRmT3_T4_T5_mT6_P12ihipStream_tbENKUlT_T0_E_clISt17integral_constantIbLb0EESU_EEDaSP_SQ_EUlSP_E_NS1_11comp_targetILNS1_3genE5ELNS1_11target_archE942ELNS1_3gpuE9ELNS1_3repE0EEENS1_30default_config_static_selectorELNS0_4arch9wavefront6targetE1EEEvT1_
; %bb.0:
	.section	.rodata,"a",@progbits
	.p2align	6, 0x0
	.amdhsa_kernel _ZN7rocprim17ROCPRIM_400000_NS6detail17trampoline_kernelINS0_14default_configENS1_20scan_config_selectorIiEEZZNS1_9scan_implILNS1_25lookback_scan_determinismE0ELb0ELb0ES3_N6thrust23THRUST_200600_302600_NS6detail15normal_iteratorINS9_10device_ptrIiEEEESE_i19const_ref_plus_mod3IiEiEEDaPvRmT3_T4_T5_mT6_P12ihipStream_tbENKUlT_T0_E_clISt17integral_constantIbLb0EESU_EEDaSP_SQ_EUlSP_E_NS1_11comp_targetILNS1_3genE5ELNS1_11target_archE942ELNS1_3gpuE9ELNS1_3repE0EEENS1_30default_config_static_selectorELNS0_4arch9wavefront6targetE1EEEvT1_
		.amdhsa_group_segment_fixed_size 0
		.amdhsa_private_segment_fixed_size 0
		.amdhsa_kernarg_size 104
		.amdhsa_user_sgpr_count 6
		.amdhsa_user_sgpr_private_segment_buffer 1
		.amdhsa_user_sgpr_dispatch_ptr 0
		.amdhsa_user_sgpr_queue_ptr 0
		.amdhsa_user_sgpr_kernarg_segment_ptr 1
		.amdhsa_user_sgpr_dispatch_id 0
		.amdhsa_user_sgpr_flat_scratch_init 0
		.amdhsa_user_sgpr_kernarg_preload_length 0
		.amdhsa_user_sgpr_kernarg_preload_offset 0
		.amdhsa_user_sgpr_private_segment_size 0
		.amdhsa_uses_dynamic_stack 0
		.amdhsa_system_sgpr_private_segment_wavefront_offset 0
		.amdhsa_system_sgpr_workgroup_id_x 1
		.amdhsa_system_sgpr_workgroup_id_y 0
		.amdhsa_system_sgpr_workgroup_id_z 0
		.amdhsa_system_sgpr_workgroup_info 0
		.amdhsa_system_vgpr_workitem_id 0
		.amdhsa_next_free_vgpr 1
		.amdhsa_next_free_sgpr 0
		.amdhsa_accum_offset 4
		.amdhsa_reserve_vcc 0
		.amdhsa_reserve_flat_scratch 0
		.amdhsa_float_round_mode_32 0
		.amdhsa_float_round_mode_16_64 0
		.amdhsa_float_denorm_mode_32 3
		.amdhsa_float_denorm_mode_16_64 3
		.amdhsa_dx10_clamp 1
		.amdhsa_ieee_mode 1
		.amdhsa_fp16_overflow 0
		.amdhsa_tg_split 0
		.amdhsa_exception_fp_ieee_invalid_op 0
		.amdhsa_exception_fp_denorm_src 0
		.amdhsa_exception_fp_ieee_div_zero 0
		.amdhsa_exception_fp_ieee_overflow 0
		.amdhsa_exception_fp_ieee_underflow 0
		.amdhsa_exception_fp_ieee_inexact 0
		.amdhsa_exception_int_div_zero 0
	.end_amdhsa_kernel
	.section	.text._ZN7rocprim17ROCPRIM_400000_NS6detail17trampoline_kernelINS0_14default_configENS1_20scan_config_selectorIiEEZZNS1_9scan_implILNS1_25lookback_scan_determinismE0ELb0ELb0ES3_N6thrust23THRUST_200600_302600_NS6detail15normal_iteratorINS9_10device_ptrIiEEEESE_i19const_ref_plus_mod3IiEiEEDaPvRmT3_T4_T5_mT6_P12ihipStream_tbENKUlT_T0_E_clISt17integral_constantIbLb0EESU_EEDaSP_SQ_EUlSP_E_NS1_11comp_targetILNS1_3genE5ELNS1_11target_archE942ELNS1_3gpuE9ELNS1_3repE0EEENS1_30default_config_static_selectorELNS0_4arch9wavefront6targetE1EEEvT1_,"axG",@progbits,_ZN7rocprim17ROCPRIM_400000_NS6detail17trampoline_kernelINS0_14default_configENS1_20scan_config_selectorIiEEZZNS1_9scan_implILNS1_25lookback_scan_determinismE0ELb0ELb0ES3_N6thrust23THRUST_200600_302600_NS6detail15normal_iteratorINS9_10device_ptrIiEEEESE_i19const_ref_plus_mod3IiEiEEDaPvRmT3_T4_T5_mT6_P12ihipStream_tbENKUlT_T0_E_clISt17integral_constantIbLb0EESU_EEDaSP_SQ_EUlSP_E_NS1_11comp_targetILNS1_3genE5ELNS1_11target_archE942ELNS1_3gpuE9ELNS1_3repE0EEENS1_30default_config_static_selectorELNS0_4arch9wavefront6targetE1EEEvT1_,comdat
.Lfunc_end6981:
	.size	_ZN7rocprim17ROCPRIM_400000_NS6detail17trampoline_kernelINS0_14default_configENS1_20scan_config_selectorIiEEZZNS1_9scan_implILNS1_25lookback_scan_determinismE0ELb0ELb0ES3_N6thrust23THRUST_200600_302600_NS6detail15normal_iteratorINS9_10device_ptrIiEEEESE_i19const_ref_plus_mod3IiEiEEDaPvRmT3_T4_T5_mT6_P12ihipStream_tbENKUlT_T0_E_clISt17integral_constantIbLb0EESU_EEDaSP_SQ_EUlSP_E_NS1_11comp_targetILNS1_3genE5ELNS1_11target_archE942ELNS1_3gpuE9ELNS1_3repE0EEENS1_30default_config_static_selectorELNS0_4arch9wavefront6targetE1EEEvT1_, .Lfunc_end6981-_ZN7rocprim17ROCPRIM_400000_NS6detail17trampoline_kernelINS0_14default_configENS1_20scan_config_selectorIiEEZZNS1_9scan_implILNS1_25lookback_scan_determinismE0ELb0ELb0ES3_N6thrust23THRUST_200600_302600_NS6detail15normal_iteratorINS9_10device_ptrIiEEEESE_i19const_ref_plus_mod3IiEiEEDaPvRmT3_T4_T5_mT6_P12ihipStream_tbENKUlT_T0_E_clISt17integral_constantIbLb0EESU_EEDaSP_SQ_EUlSP_E_NS1_11comp_targetILNS1_3genE5ELNS1_11target_archE942ELNS1_3gpuE9ELNS1_3repE0EEENS1_30default_config_static_selectorELNS0_4arch9wavefront6targetE1EEEvT1_
                                        ; -- End function
	.section	.AMDGPU.csdata,"",@progbits
; Kernel info:
; codeLenInByte = 0
; NumSgprs: 4
; NumVgprs: 0
; NumAgprs: 0
; TotalNumVgprs: 0
; ScratchSize: 0
; MemoryBound: 0
; FloatMode: 240
; IeeeMode: 1
; LDSByteSize: 0 bytes/workgroup (compile time only)
; SGPRBlocks: 0
; VGPRBlocks: 0
; NumSGPRsForWavesPerEU: 4
; NumVGPRsForWavesPerEU: 1
; AccumOffset: 4
; Occupancy: 8
; WaveLimiterHint : 0
; COMPUTE_PGM_RSRC2:SCRATCH_EN: 0
; COMPUTE_PGM_RSRC2:USER_SGPR: 6
; COMPUTE_PGM_RSRC2:TRAP_HANDLER: 0
; COMPUTE_PGM_RSRC2:TGID_X_EN: 1
; COMPUTE_PGM_RSRC2:TGID_Y_EN: 0
; COMPUTE_PGM_RSRC2:TGID_Z_EN: 0
; COMPUTE_PGM_RSRC2:TIDIG_COMP_CNT: 0
; COMPUTE_PGM_RSRC3_GFX90A:ACCUM_OFFSET: 0
; COMPUTE_PGM_RSRC3_GFX90A:TG_SPLIT: 0
	.section	.text._ZN7rocprim17ROCPRIM_400000_NS6detail17trampoline_kernelINS0_14default_configENS1_20scan_config_selectorIiEEZZNS1_9scan_implILNS1_25lookback_scan_determinismE0ELb0ELb0ES3_N6thrust23THRUST_200600_302600_NS6detail15normal_iteratorINS9_10device_ptrIiEEEESE_i19const_ref_plus_mod3IiEiEEDaPvRmT3_T4_T5_mT6_P12ihipStream_tbENKUlT_T0_E_clISt17integral_constantIbLb0EESU_EEDaSP_SQ_EUlSP_E_NS1_11comp_targetILNS1_3genE4ELNS1_11target_archE910ELNS1_3gpuE8ELNS1_3repE0EEENS1_30default_config_static_selectorELNS0_4arch9wavefront6targetE1EEEvT1_,"axG",@progbits,_ZN7rocprim17ROCPRIM_400000_NS6detail17trampoline_kernelINS0_14default_configENS1_20scan_config_selectorIiEEZZNS1_9scan_implILNS1_25lookback_scan_determinismE0ELb0ELb0ES3_N6thrust23THRUST_200600_302600_NS6detail15normal_iteratorINS9_10device_ptrIiEEEESE_i19const_ref_plus_mod3IiEiEEDaPvRmT3_T4_T5_mT6_P12ihipStream_tbENKUlT_T0_E_clISt17integral_constantIbLb0EESU_EEDaSP_SQ_EUlSP_E_NS1_11comp_targetILNS1_3genE4ELNS1_11target_archE910ELNS1_3gpuE8ELNS1_3repE0EEENS1_30default_config_static_selectorELNS0_4arch9wavefront6targetE1EEEvT1_,comdat
	.protected	_ZN7rocprim17ROCPRIM_400000_NS6detail17trampoline_kernelINS0_14default_configENS1_20scan_config_selectorIiEEZZNS1_9scan_implILNS1_25lookback_scan_determinismE0ELb0ELb0ES3_N6thrust23THRUST_200600_302600_NS6detail15normal_iteratorINS9_10device_ptrIiEEEESE_i19const_ref_plus_mod3IiEiEEDaPvRmT3_T4_T5_mT6_P12ihipStream_tbENKUlT_T0_E_clISt17integral_constantIbLb0EESU_EEDaSP_SQ_EUlSP_E_NS1_11comp_targetILNS1_3genE4ELNS1_11target_archE910ELNS1_3gpuE8ELNS1_3repE0EEENS1_30default_config_static_selectorELNS0_4arch9wavefront6targetE1EEEvT1_ ; -- Begin function _ZN7rocprim17ROCPRIM_400000_NS6detail17trampoline_kernelINS0_14default_configENS1_20scan_config_selectorIiEEZZNS1_9scan_implILNS1_25lookback_scan_determinismE0ELb0ELb0ES3_N6thrust23THRUST_200600_302600_NS6detail15normal_iteratorINS9_10device_ptrIiEEEESE_i19const_ref_plus_mod3IiEiEEDaPvRmT3_T4_T5_mT6_P12ihipStream_tbENKUlT_T0_E_clISt17integral_constantIbLb0EESU_EEDaSP_SQ_EUlSP_E_NS1_11comp_targetILNS1_3genE4ELNS1_11target_archE910ELNS1_3gpuE8ELNS1_3repE0EEENS1_30default_config_static_selectorELNS0_4arch9wavefront6targetE1EEEvT1_
	.globl	_ZN7rocprim17ROCPRIM_400000_NS6detail17trampoline_kernelINS0_14default_configENS1_20scan_config_selectorIiEEZZNS1_9scan_implILNS1_25lookback_scan_determinismE0ELb0ELb0ES3_N6thrust23THRUST_200600_302600_NS6detail15normal_iteratorINS9_10device_ptrIiEEEESE_i19const_ref_plus_mod3IiEiEEDaPvRmT3_T4_T5_mT6_P12ihipStream_tbENKUlT_T0_E_clISt17integral_constantIbLb0EESU_EEDaSP_SQ_EUlSP_E_NS1_11comp_targetILNS1_3genE4ELNS1_11target_archE910ELNS1_3gpuE8ELNS1_3repE0EEENS1_30default_config_static_selectorELNS0_4arch9wavefront6targetE1EEEvT1_
	.p2align	8
	.type	_ZN7rocprim17ROCPRIM_400000_NS6detail17trampoline_kernelINS0_14default_configENS1_20scan_config_selectorIiEEZZNS1_9scan_implILNS1_25lookback_scan_determinismE0ELb0ELb0ES3_N6thrust23THRUST_200600_302600_NS6detail15normal_iteratorINS9_10device_ptrIiEEEESE_i19const_ref_plus_mod3IiEiEEDaPvRmT3_T4_T5_mT6_P12ihipStream_tbENKUlT_T0_E_clISt17integral_constantIbLb0EESU_EEDaSP_SQ_EUlSP_E_NS1_11comp_targetILNS1_3genE4ELNS1_11target_archE910ELNS1_3gpuE8ELNS1_3repE0EEENS1_30default_config_static_selectorELNS0_4arch9wavefront6targetE1EEEvT1_,@function
_ZN7rocprim17ROCPRIM_400000_NS6detail17trampoline_kernelINS0_14default_configENS1_20scan_config_selectorIiEEZZNS1_9scan_implILNS1_25lookback_scan_determinismE0ELb0ELb0ES3_N6thrust23THRUST_200600_302600_NS6detail15normal_iteratorINS9_10device_ptrIiEEEESE_i19const_ref_plus_mod3IiEiEEDaPvRmT3_T4_T5_mT6_P12ihipStream_tbENKUlT_T0_E_clISt17integral_constantIbLb0EESU_EEDaSP_SQ_EUlSP_E_NS1_11comp_targetILNS1_3genE4ELNS1_11target_archE910ELNS1_3gpuE8ELNS1_3repE0EEENS1_30default_config_static_selectorELNS0_4arch9wavefront6targetE1EEEvT1_: ; @_ZN7rocprim17ROCPRIM_400000_NS6detail17trampoline_kernelINS0_14default_configENS1_20scan_config_selectorIiEEZZNS1_9scan_implILNS1_25lookback_scan_determinismE0ELb0ELb0ES3_N6thrust23THRUST_200600_302600_NS6detail15normal_iteratorINS9_10device_ptrIiEEEESE_i19const_ref_plus_mod3IiEiEEDaPvRmT3_T4_T5_mT6_P12ihipStream_tbENKUlT_T0_E_clISt17integral_constantIbLb0EESU_EEDaSP_SQ_EUlSP_E_NS1_11comp_targetILNS1_3genE4ELNS1_11target_archE910ELNS1_3gpuE8ELNS1_3repE0EEENS1_30default_config_static_selectorELNS0_4arch9wavefront6targetE1EEEvT1_
; %bb.0:
	s_load_dwordx8 s[8:15], s[4:5], 0x0
	s_load_dword s1, s[4:5], 0x38
	s_mul_i32 s0, s6, 0x500
	v_lshlrev_b32_e32 v22, 2, v0
	s_waitcnt lgkmcnt(0)
	s_lshl_b64 s[20:21], s[10:11], 2
	s_add_u32 s2, s8, s20
	s_addc_u32 s3, s9, s21
	s_add_i32 s7, s1, -1
	s_mul_i32 s8, s7, 0x500
	s_sub_u32 s33, s14, s8
	s_subb_u32 s36, s15, 0
	s_mov_b32 s1, 0
	s_cmp_lg_u32 s6, s7
	s_cselect_b64 s[14:15], -1, 0
	s_lshl_b64 s[22:23], s[0:1], 2
	s_add_u32 s2, s2, s22
	s_addc_u32 s3, s3, s23
	s_mov_b64 s[0:1], -1
	s_and_b64 vcc, exec, s[14:15]
	s_cbranch_vccz .LBB6982_2
; %bb.1:
	v_mov_b32_e32 v1, s3
	v_add_co_u32_e32 v2, vcc, s2, v22
	v_addc_co_u32_e32 v3, vcc, 0, v1, vcc
	flat_load_dword v1, v[2:3]
	flat_load_dword v4, v[2:3] offset:512
	flat_load_dword v5, v[2:3] offset:1024
	;; [unrolled: 1-line block ×7, first 2 shown]
	v_add_co_u32_e32 v2, vcc, 0x1000, v2
	v_addc_co_u32_e32 v3, vcc, 0, v3, vcc
	flat_load_dword v11, v[2:3]
	flat_load_dword v12, v[2:3] offset:512
	s_mov_b64 s[0:1], 0
	s_waitcnt vmcnt(0) lgkmcnt(0)
	ds_write2st64_b32 v22, v1, v4 offset1:2
	ds_write2st64_b32 v22, v5, v6 offset0:4 offset1:6
	ds_write2st64_b32 v22, v7, v8 offset0:8 offset1:10
	;; [unrolled: 1-line block ×4, first 2 shown]
	s_waitcnt lgkmcnt(0)
	s_barrier
.LBB6982_2:
	s_load_dwordx4 s[16:19], s[4:5], 0x28
	s_andn2_b64 vcc, exec, s[0:1]
	v_cmp_gt_u32_e64 s[0:1], s33, v0
	s_cbranch_vccnz .LBB6982_24
; %bb.3:
	v_pk_mov_b32 v[2:3], s[2:3], s[2:3] op_sel:[0,1]
	flat_load_dword v1, v[2:3]
	s_waitcnt vmcnt(0) lgkmcnt(0)
	v_mov_b32_e32 v2, v1
	v_mov_b32_e32 v3, v1
	;; [unrolled: 1-line block ×9, first 2 shown]
	s_and_saveexec_b64 s[8:9], s[0:1]
	s_cbranch_execz .LBB6982_5
; %bb.4:
	v_mov_b32_e32 v11, s3
	v_add_co_u32_e32 v10, vcc, s2, v22
	v_addc_co_u32_e32 v11, vcc, 0, v11, vcc
	flat_load_dword v10, v[10:11]
.LBB6982_5:
	s_or_b64 exec, exec, s[8:9]
	v_or_b32_e32 v11, 0x80, v0
	v_cmp_gt_u32_e32 vcc, s33, v11
	s_and_saveexec_b64 s[0:1], vcc
	s_cbranch_execz .LBB6982_7
; %bb.6:
	v_mov_b32_e32 v1, s3
	v_add_co_u32_e32 v12, vcc, s2, v22
	v_addc_co_u32_e32 v13, vcc, 0, v1, vcc
	flat_load_dword v1, v[12:13] offset:512
.LBB6982_7:
	s_or_b64 exec, exec, s[0:1]
	v_or_b32_e32 v11, 0x100, v0
	v_cmp_gt_u32_e32 vcc, s33, v11
	s_and_saveexec_b64 s[0:1], vcc
	s_cbranch_execz .LBB6982_9
; %bb.8:
	v_mov_b32_e32 v2, s3
	v_add_co_u32_e32 v12, vcc, s2, v22
	v_addc_co_u32_e32 v13, vcc, 0, v2, vcc
	flat_load_dword v2, v[12:13] offset:1024
.LBB6982_9:
	s_or_b64 exec, exec, s[0:1]
	v_or_b32_e32 v11, 0x180, v0
	v_cmp_gt_u32_e32 vcc, s33, v11
	s_and_saveexec_b64 s[0:1], vcc
	s_cbranch_execz .LBB6982_11
; %bb.10:
	v_mov_b32_e32 v3, s3
	v_add_co_u32_e32 v12, vcc, s2, v22
	v_addc_co_u32_e32 v13, vcc, 0, v3, vcc
	flat_load_dword v3, v[12:13] offset:1536
.LBB6982_11:
	s_or_b64 exec, exec, s[0:1]
	v_or_b32_e32 v11, 0x200, v0
	v_cmp_gt_u32_e32 vcc, s33, v11
	s_and_saveexec_b64 s[0:1], vcc
	s_cbranch_execz .LBB6982_13
; %bb.12:
	v_mov_b32_e32 v4, s3
	v_add_co_u32_e32 v12, vcc, s2, v22
	v_addc_co_u32_e32 v13, vcc, 0, v4, vcc
	flat_load_dword v4, v[12:13] offset:2048
.LBB6982_13:
	s_or_b64 exec, exec, s[0:1]
	v_or_b32_e32 v11, 0x280, v0
	v_cmp_gt_u32_e32 vcc, s33, v11
	s_and_saveexec_b64 s[0:1], vcc
	s_cbranch_execz .LBB6982_15
; %bb.14:
	v_mov_b32_e32 v5, s3
	v_add_co_u32_e32 v12, vcc, s2, v22
	v_addc_co_u32_e32 v13, vcc, 0, v5, vcc
	flat_load_dword v5, v[12:13] offset:2560
.LBB6982_15:
	s_or_b64 exec, exec, s[0:1]
	v_or_b32_e32 v11, 0x300, v0
	v_cmp_gt_u32_e32 vcc, s33, v11
	s_and_saveexec_b64 s[0:1], vcc
	s_cbranch_execz .LBB6982_17
; %bb.16:
	v_mov_b32_e32 v6, s3
	v_add_co_u32_e32 v12, vcc, s2, v22
	v_addc_co_u32_e32 v13, vcc, 0, v6, vcc
	flat_load_dword v6, v[12:13] offset:3072
.LBB6982_17:
	s_or_b64 exec, exec, s[0:1]
	v_or_b32_e32 v11, 0x380, v0
	v_cmp_gt_u32_e32 vcc, s33, v11
	s_and_saveexec_b64 s[0:1], vcc
	s_cbranch_execz .LBB6982_19
; %bb.18:
	v_mov_b32_e32 v7, s3
	v_add_co_u32_e32 v12, vcc, s2, v22
	v_addc_co_u32_e32 v13, vcc, 0, v7, vcc
	flat_load_dword v7, v[12:13] offset:3584
.LBB6982_19:
	s_or_b64 exec, exec, s[0:1]
	v_or_b32_e32 v11, 0x400, v0
	v_cmp_gt_u32_e32 vcc, s33, v11
	s_and_saveexec_b64 s[0:1], vcc
	s_cbranch_execz .LBB6982_21
; %bb.20:
	v_lshlrev_b32_e32 v8, 2, v11
	v_mov_b32_e32 v11, s3
	v_add_co_u32_e32 v12, vcc, s2, v8
	v_addc_co_u32_e32 v13, vcc, 0, v11, vcc
	flat_load_dword v8, v[12:13]
.LBB6982_21:
	s_or_b64 exec, exec, s[0:1]
	v_or_b32_e32 v11, 0x480, v0
	v_cmp_gt_u32_e32 vcc, s33, v11
	s_and_saveexec_b64 s[0:1], vcc
	s_cbranch_execz .LBB6982_23
; %bb.22:
	v_lshlrev_b32_e32 v9, 2, v11
	v_mov_b32_e32 v11, s3
	v_add_co_u32_e32 v12, vcc, s2, v9
	v_addc_co_u32_e32 v13, vcc, 0, v11, vcc
	flat_load_dword v9, v[12:13]
.LBB6982_23:
	s_or_b64 exec, exec, s[0:1]
	s_waitcnt vmcnt(0) lgkmcnt(0)
	ds_write2st64_b32 v22, v10, v1 offset1:2
	ds_write2st64_b32 v22, v2, v3 offset0:4 offset1:6
	ds_write2st64_b32 v22, v4, v5 offset0:8 offset1:10
	;; [unrolled: 1-line block ×4, first 2 shown]
	s_waitcnt lgkmcnt(0)
	s_barrier
.LBB6982_24:
	v_mul_u32_u24_e32 v23, 10, v0
	v_lshlrev_b32_e32 v1, 2, v23
	s_waitcnt lgkmcnt(0)
	ds_read2_b64 v[2:5], v1 offset1:1
	ds_read2_b64 v[16:19], v1 offset0:2 offset1:3
	ds_read_b64 v[20:21], v1 offset:32
	s_cmp_lg_u32 s6, 0
	v_lshrrev_b32_e32 v24, 5, v0
	v_cmp_gt_u32_e32 vcc, 64, v0
	s_waitcnt lgkmcnt(0)
	s_barrier
	s_cbranch_scc0 .LBB6982_90
; %bb.25:
	v_add_u32_e32 v6, v3, v2
	v_ashrrev_i32_e32 v7, 31, v6
	v_lshlrev_b64 v[6:7], 2, v[6:7]
	v_mov_b32_e32 v8, s17
	v_add_co_u32_e64 v6, s[0:1], s16, v6
	v_addc_co_u32_e64 v7, s[0:1], v8, v7, s[0:1]
	global_load_dword v6, v[6:7], off
	s_waitcnt vmcnt(0)
	v_add_u32_e32 v6, v6, v4
	v_ashrrev_i32_e32 v7, 31, v6
	v_lshlrev_b64 v[6:7], 2, v[6:7]
	v_add_co_u32_e64 v6, s[0:1], s16, v6
	v_addc_co_u32_e64 v7, s[0:1], v8, v7, s[0:1]
	global_load_dword v6, v[6:7], off
	s_waitcnt vmcnt(0)
	v_add_u32_e32 v6, v6, v5
	v_ashrrev_i32_e32 v7, 31, v6
	v_lshlrev_b64 v[6:7], 2, v[6:7]
	;; [unrolled: 7-line block ×8, first 2 shown]
	v_add_co_u32_e64 v6, s[0:1], s16, v6
	v_addc_co_u32_e64 v7, s[0:1], v8, v7, s[0:1]
	global_load_dword v25, v[6:7], off
	v_add_lshl_u32 v6, v24, v0, 2
	s_waitcnt vmcnt(0)
	ds_write_b32 v6, v25
	s_waitcnt lgkmcnt(0)
	s_barrier
	s_and_saveexec_b64 s[2:3], vcc
	s_cbranch_execz .LBB6982_39
; %bb.26:
	v_lshlrev_b32_e32 v6, 1, v0
	v_lshrrev_b32_e32 v7, 4, v0
	v_add_lshl_u32 v8, v7, v6, 2
	ds_read2_b32 v[6:7], v8 offset1:1
	v_mov_b32_e32 v9, s17
	s_waitcnt lgkmcnt(0)
	v_add_u32_e32 v10, v7, v6
	v_ashrrev_i32_e32 v11, 31, v10
	v_lshlrev_b64 v[10:11], 2, v[10:11]
	v_add_co_u32_e64 v10, s[0:1], s16, v10
	v_addc_co_u32_e64 v11, s[0:1], v9, v11, s[0:1]
	global_load_dword v9, v[10:11], off
	v_mbcnt_lo_u32_b32 v7, -1, 0
	v_mbcnt_hi_u32_b32 v7, -1, v7
	v_and_b32_e32 v10, 15, v7
	v_cmp_ne_u32_e64 s[0:1], 0, v10
	s_waitcnt vmcnt(0)
	v_mov_b32_dpp v11, v9 row_shr:1 row_mask:0xf bank_mask:0xf
	s_and_saveexec_b64 s[8:9], s[0:1]
	s_cbranch_execz .LBB6982_28
; %bb.27:
	v_add_u32_e32 v12, v11, v9
	v_ashrrev_i32_e32 v13, 31, v12
	v_lshlrev_b64 v[12:13], 2, v[12:13]
	v_mov_b32_e32 v9, s17
	v_add_co_u32_e64 v12, s[0:1], s16, v12
	v_addc_co_u32_e64 v13, s[0:1], v9, v13, s[0:1]
	global_load_dword v9, v[12:13], off
.LBB6982_28:
	s_or_b64 exec, exec, s[8:9]
	s_waitcnt vmcnt(0)
	v_mov_b32_dpp v11, v9 row_shr:2 row_mask:0xf bank_mask:0xf
	v_cmp_lt_u32_e64 s[0:1], 1, v10
	s_and_saveexec_b64 s[8:9], s[0:1]
	s_cbranch_execz .LBB6982_30
; %bb.29:
	v_add_u32_e32 v12, v11, v9
	v_ashrrev_i32_e32 v13, 31, v12
	v_lshlrev_b64 v[12:13], 2, v[12:13]
	v_mov_b32_e32 v9, s17
	v_add_co_u32_e64 v12, s[0:1], s16, v12
	v_addc_co_u32_e64 v13, s[0:1], v9, v13, s[0:1]
	global_load_dword v9, v[12:13], off
.LBB6982_30:
	s_or_b64 exec, exec, s[8:9]
	s_waitcnt vmcnt(0)
	v_mov_b32_dpp v11, v9 row_shr:4 row_mask:0xf bank_mask:0xf
	v_cmp_lt_u32_e64 s[0:1], 3, v10
	;; [unrolled: 15-line block ×3, first 2 shown]
	s_and_saveexec_b64 s[8:9], s[0:1]
	s_cbranch_execz .LBB6982_34
; %bb.33:
	v_add_u32_e32 v10, v11, v9
	v_ashrrev_i32_e32 v11, 31, v10
	v_lshlrev_b64 v[10:11], 2, v[10:11]
	v_mov_b32_e32 v9, s17
	v_add_co_u32_e64 v10, s[0:1], s16, v10
	v_addc_co_u32_e64 v11, s[0:1], v9, v11, s[0:1]
	global_load_dword v9, v[10:11], off
.LBB6982_34:
	s_or_b64 exec, exec, s[8:9]
	v_and_b32_e32 v11, 16, v7
	s_waitcnt vmcnt(0)
	v_mov_b32_dpp v10, v9 row_bcast:15 row_mask:0xf bank_mask:0xf
	v_cmp_ne_u32_e64 s[0:1], 0, v11
	s_and_saveexec_b64 s[8:9], s[0:1]
	s_cbranch_execz .LBB6982_36
; %bb.35:
	v_add_u32_e32 v10, v10, v9
	v_ashrrev_i32_e32 v11, 31, v10
	v_lshlrev_b64 v[10:11], 2, v[10:11]
	v_mov_b32_e32 v9, s17
	v_add_co_u32_e64 v10, s[0:1], s16, v10
	v_addc_co_u32_e64 v11, s[0:1], v9, v11, s[0:1]
	global_load_dword v9, v[10:11], off
.LBB6982_36:
	s_or_b64 exec, exec, s[8:9]
	s_waitcnt vmcnt(0)
	v_mov_b32_dpp v10, v9 row_bcast:31 row_mask:0xf bank_mask:0xf
	v_cmp_lt_u32_e64 s[0:1], 31, v7
	s_and_saveexec_b64 s[8:9], s[0:1]
	s_cbranch_execz .LBB6982_38
; %bb.37:
	v_add_u32_e32 v10, v10, v9
	v_ashrrev_i32_e32 v11, 31, v10
	v_lshlrev_b64 v[10:11], 2, v[10:11]
	v_mov_b32_e32 v9, s17
	v_add_co_u32_e64 v10, s[0:1], s16, v10
	v_addc_co_u32_e64 v11, s[0:1], v9, v11, s[0:1]
	global_load_dword v9, v[10:11], off
.LBB6982_38:
	s_or_b64 exec, exec, s[8:9]
	v_add_u32_e32 v10, -1, v7
	v_and_b32_e32 v11, 64, v7
	v_cmp_lt_i32_e64 s[0:1], v10, v11
	v_cndmask_b32_e64 v7, v10, v7, s[0:1]
	v_lshlrev_b32_e32 v7, 2, v7
	s_waitcnt vmcnt(0)
	ds_bpermute_b32 v7, v7, v9
	v_mov_b32_e32 v9, s17
	s_waitcnt lgkmcnt(0)
	v_add_u32_e32 v6, v7, v6
	v_ashrrev_i32_e32 v7, 31, v6
	v_lshlrev_b64 v[6:7], 2, v[6:7]
	v_add_co_u32_e64 v6, s[0:1], s16, v6
	v_addc_co_u32_e64 v7, s[0:1], v9, v7, s[0:1]
	global_load_dword v6, v[6:7], off
	v_cmp_eq_u32_e64 s[0:1], 0, v0
	; wave barrier
	s_waitcnt vmcnt(0)
	v_cndmask_b32_e64 v6, v6, v25, s[0:1]
	ds_write_b32 v8, v6
	; wave barrier
	ds_read_b32 v7, v8 offset:4
	s_waitcnt lgkmcnt(0)
	v_add_u32_e32 v6, v7, v6
	v_ashrrev_i32_e32 v7, 31, v6
	v_lshlrev_b64 v[6:7], 2, v[6:7]
	v_add_co_u32_e64 v6, s[0:1], s16, v6
	v_addc_co_u32_e64 v7, s[0:1], v9, v7, s[0:1]
	global_load_dword v6, v[6:7], off
	s_waitcnt vmcnt(0)
	ds_write_b32 v8, v6 offset:4
.LBB6982_39:
	s_or_b64 exec, exec, s[2:3]
	v_cmp_eq_u32_e64 s[2:3], 0, v0
	v_cmp_ne_u32_e64 s[0:1], 0, v0
	s_waitcnt lgkmcnt(0)
	s_barrier
	s_and_saveexec_b64 s[8:9], s[0:1]
	s_cbranch_execz .LBB6982_41
; %bb.40:
	v_add_u32_e32 v6, -1, v0
	v_lshrrev_b32_e32 v7, 5, v6
	v_add_lshl_u32 v6, v7, v6, 2
	ds_read_b32 v25, v6
.LBB6982_41:
	s_or_b64 exec, exec, s[8:9]
	s_and_saveexec_b64 s[10:11], vcc
	s_cbranch_execz .LBB6982_87
; %bb.42:
	v_mov_b32_e32 v13, 0
	ds_read_b32 v6, v13 offset:520
	v_mbcnt_lo_u32_b32 v7, -1, 0
	v_mbcnt_hi_u32_b32 v9, -1, v7
	s_mov_b32 s27, 0
	v_cmp_eq_u32_e64 s[8:9], 0, v9
	s_and_saveexec_b64 s[24:25], s[8:9]
	s_cbranch_execz .LBB6982_44
; %bb.43:
	s_add_i32 s26, s6, 64
	s_lshl_b64 s[26:27], s[26:27], 3
	s_add_u32 s26, s18, s26
	v_mov_b32_e32 v7, 1
	s_addc_u32 s27, s19, s27
	s_waitcnt lgkmcnt(0)
	global_store_dwordx2 v13, v[6:7], s[26:27]
.LBB6982_44:
	s_or_b64 exec, exec, s[24:25]
	v_xad_u32 v8, v9, -1, s6
	v_add_u32_e32 v12, 64, v8
	v_lshlrev_b64 v[10:11], 3, v[12:13]
	v_mov_b32_e32 v7, s19
	v_add_co_u32_e32 v14, vcc, s18, v10
	v_addc_co_u32_e32 v15, vcc, v7, v11, vcc
	global_load_dwordx2 v[10:11], v[14:15], off glc
	s_waitcnt vmcnt(0)
	v_cmp_eq_u16_sdwa s[26:27], v11, v13 src0_sel:BYTE_0 src1_sel:DWORD
	s_and_saveexec_b64 s[24:25], s[26:27]
	s_cbranch_execz .LBB6982_48
; %bb.45:
	s_mov_b64 s[26:27], 0
	v_mov_b32_e32 v7, 0
.LBB6982_46:                            ; =>This Inner Loop Header: Depth=1
	global_load_dwordx2 v[10:11], v[14:15], off glc
	s_waitcnt vmcnt(0)
	v_cmp_ne_u16_sdwa s[28:29], v11, v7 src0_sel:BYTE_0 src1_sel:DWORD
	s_or_b64 s[26:27], s[28:29], s[26:27]
	s_andn2_b64 exec, exec, s[26:27]
	s_cbranch_execnz .LBB6982_46
; %bb.47:
	s_or_b64 exec, exec, s[26:27]
.LBB6982_48:
	s_or_b64 exec, exec, s[24:25]
	v_mov_b32_e32 v7, 2
	v_cmp_eq_u16_sdwa s[24:25], v11, v7 src0_sel:BYTE_0 src1_sel:DWORD
	v_lshlrev_b64 v[12:13], v9, -1
	v_and_b32_e32 v7, s25, v13
	v_or_b32_e32 v7, 0x80000000, v7
	v_ffbl_b32_e32 v27, v7
	v_and_b32_e32 v7, 63, v9
	v_cmp_ne_u32_e32 vcc, 63, v7
	v_addc_co_u32_e32 v15, vcc, 0, v9, vcc
	v_lshlrev_b32_e32 v26, 2, v15
	ds_bpermute_b32 v15, v26, v10
	v_and_b32_e32 v14, s24, v12
	v_add_u32_e32 v27, 32, v27
	v_ffbl_b32_e32 v14, v14
	v_min_u32_e32 v14, v14, v27
	v_cmp_lt_u32_e32 vcc, v7, v14
	s_and_saveexec_b64 s[24:25], vcc
	s_cbranch_execz .LBB6982_50
; %bb.49:
	s_waitcnt lgkmcnt(0)
	v_add_u32_e32 v28, v15, v10
	v_ashrrev_i32_e32 v29, 31, v28
	v_lshlrev_b64 v[28:29], 2, v[28:29]
	v_mov_b32_e32 v10, s17
	v_add_co_u32_e32 v28, vcc, s16, v28
	v_addc_co_u32_e32 v29, vcc, v10, v29, vcc
	global_load_dword v10, v[28:29], off
.LBB6982_50:
	s_or_b64 exec, exec, s[24:25]
	v_cmp_gt_u32_e32 vcc, 62, v7
	s_waitcnt lgkmcnt(0)
	v_cndmask_b32_e64 v15, 0, 1, vcc
	v_lshlrev_b32_e32 v15, 1, v15
	v_add_lshl_u32 v27, v15, v9, 2
	s_waitcnt vmcnt(0)
	ds_bpermute_b32 v15, v27, v10
	v_add_u32_e32 v28, 2, v7
	v_cmp_le_u32_e32 vcc, v28, v14
	s_and_saveexec_b64 s[24:25], vcc
	s_cbranch_execz .LBB6982_52
; %bb.51:
	s_waitcnt lgkmcnt(0)
	v_add_u32_e32 v30, v15, v10
	v_ashrrev_i32_e32 v31, 31, v30
	v_lshlrev_b64 v[30:31], 2, v[30:31]
	v_mov_b32_e32 v10, s17
	v_add_co_u32_e32 v30, vcc, s16, v30
	v_addc_co_u32_e32 v31, vcc, v10, v31, vcc
	global_load_dword v10, v[30:31], off
.LBB6982_52:
	s_or_b64 exec, exec, s[24:25]
	v_cmp_gt_u32_e32 vcc, 60, v7
	s_waitcnt lgkmcnt(0)
	v_cndmask_b32_e64 v15, 0, 1, vcc
	v_lshlrev_b32_e32 v15, 2, v15
	v_add_lshl_u32 v29, v15, v9, 2
	s_waitcnt vmcnt(0)
	ds_bpermute_b32 v15, v29, v10
	v_add_u32_e32 v30, 4, v7
	v_cmp_le_u32_e32 vcc, v30, v14
	;; [unrolled: 22-line block ×5, first 2 shown]
	s_mov_b64 s[24:25], -1
                                        ; implicit-def: $vgpr14
	s_and_saveexec_b64 s[26:27], vcc
	s_cbranch_execz .LBB6982_60
; %bb.59:
	s_waitcnt lgkmcnt(0)
	v_add_u32_e32 v14, v9, v10
	s_xor_b64 s[24:25], exec, -1
.LBB6982_60:
	s_or_b64 exec, exec, s[26:27]
	s_mov_b64 s[26:27], 0
	s_waitcnt lgkmcnt(0)
	v_mov_b32_e32 v9, 0
	v_mov_b32_e32 v38, 2
                                        ; implicit-def: $sgpr28_sgpr29
	s_branch .LBB6982_62
.LBB6982_61:                            ;   in Loop: Header=BB6982_62 Depth=1
	s_or_b64 exec, exec, s[24:25]
	v_subrev_u32_e32 v8, 64, v8
	s_waitcnt vmcnt(0)
	v_add_u32_e32 v14, v10, v37
	s_mov_b64 s[24:25], 0
	s_mov_b64 s[26:27], 0
                                        ; implicit-def: $sgpr28_sgpr29
.LBB6982_62:                            ; =>This Loop Header: Depth=1
                                        ;     Child Loop BB6982_68 Depth 2
	s_waitcnt vmcnt(0)
	v_mov_b32_e32 v37, v10
	s_xor_b64 s[34:35], s[24:25], -1
	s_or_b64 s[28:29], s[28:29], exec
                                        ; implicit-def: $sgpr30_sgpr31
	s_and_saveexec_b64 s[38:39], s[34:35]
	s_xor_b64 s[34:35], exec, s[38:39]
	s_cbranch_execz .LBB6982_64
; %bb.63:                               ;   in Loop: Header=BB6982_62 Depth=1
	s_waitcnt lgkmcnt(0)
	v_ashrrev_i32_e32 v15, 31, v14
	v_lshlrev_b64 v[40:41], 2, v[14:15]
	v_mov_b32_e32 v10, s17
	v_add_co_u32_e32 v40, vcc, s16, v40
	v_addc_co_u32_e32 v41, vcc, v10, v41, vcc
	global_load_dword v10, v[40:41], off
	s_mov_b64 s[30:31], -1
	s_andn2_b64 s[28:29], s[28:29], exec
                                        ; implicit-def: $sgpr24_sgpr25
.LBB6982_64:                            ;   in Loop: Header=BB6982_62 Depth=1
	s_or_b64 exec, exec, s[34:35]
	s_and_b64 s[34:35], exec, s[28:29]
	s_or_b64 s[26:27], s[34:35], s[26:27]
	s_andn2_b64 s[24:25], s[24:25], exec
	s_and_b64 s[30:31], s[30:31], exec
	s_or_b64 s[24:25], s[24:25], s[30:31]
	s_andn2_b64 exec, exec, s[26:27]
	s_cbranch_execnz .LBB6982_62
; %bb.65:                               ;   in Loop: Header=BB6982_62 Depth=1
	s_or_b64 exec, exec, s[26:27]
	v_cmp_ne_u16_sdwa s[24:25], v11, v38 src0_sel:BYTE_0 src1_sel:DWORD
	s_waitcnt vmcnt(0)
	v_cndmask_b32_e64 v10, 0, 1, s[24:25]
	;;#ASMSTART
	;;#ASMEND
	v_cmp_ne_u32_e32 vcc, 0, v10
	s_cmp_lg_u64 vcc, exec
	s_cbranch_scc1 .LBB6982_82
; %bb.66:                               ;   in Loop: Header=BB6982_62 Depth=1
	v_lshlrev_b64 v[10:11], 3, v[8:9]
	s_waitcnt lgkmcnt(0)
	v_mov_b32_e32 v15, s19
	v_add_co_u32_e32 v14, vcc, s18, v10
	v_addc_co_u32_e32 v15, vcc, v15, v11, vcc
	global_load_dwordx2 v[10:11], v[14:15], off glc
	s_waitcnt vmcnt(0)
	v_cmp_eq_u16_sdwa s[26:27], v11, v9 src0_sel:BYTE_0 src1_sel:DWORD
	s_and_saveexec_b64 s[24:25], s[26:27]
	s_cbranch_execz .LBB6982_70
; %bb.67:                               ;   in Loop: Header=BB6982_62 Depth=1
	s_mov_b64 s[26:27], 0
.LBB6982_68:                            ;   Parent Loop BB6982_62 Depth=1
                                        ; =>  This Inner Loop Header: Depth=2
	global_load_dwordx2 v[10:11], v[14:15], off glc
	s_waitcnt vmcnt(0)
	v_cmp_ne_u16_sdwa s[28:29], v11, v9 src0_sel:BYTE_0 src1_sel:DWORD
	s_or_b64 s[26:27], s[28:29], s[26:27]
	s_andn2_b64 exec, exec, s[26:27]
	s_cbranch_execnz .LBB6982_68
; %bb.69:                               ;   in Loop: Header=BB6982_62 Depth=1
	s_or_b64 exec, exec, s[26:27]
.LBB6982_70:                            ;   in Loop: Header=BB6982_62 Depth=1
	s_or_b64 exec, exec, s[24:25]
	v_cmp_eq_u16_sdwa s[24:25], v11, v38 src0_sel:BYTE_0 src1_sel:DWORD
	v_and_b32_e32 v14, s25, v13
	v_or_b32_e32 v14, 0x80000000, v14
	ds_bpermute_b32 v15, v26, v10
	v_and_b32_e32 v39, s24, v12
	v_ffbl_b32_e32 v14, v14
	v_add_u32_e32 v14, 32, v14
	v_ffbl_b32_e32 v39, v39
	v_min_u32_e32 v14, v39, v14
	v_cmp_lt_u32_e32 vcc, v7, v14
	s_and_saveexec_b64 s[24:25], vcc
	s_cbranch_execz .LBB6982_72
; %bb.71:                               ;   in Loop: Header=BB6982_62 Depth=1
	s_waitcnt lgkmcnt(0)
	v_add_u32_e32 v40, v15, v10
	v_ashrrev_i32_e32 v41, 31, v40
	v_lshlrev_b64 v[40:41], 2, v[40:41]
	v_mov_b32_e32 v10, s17
	v_add_co_u32_e32 v40, vcc, s16, v40
	v_addc_co_u32_e32 v41, vcc, v10, v41, vcc
	global_load_dword v10, v[40:41], off
.LBB6982_72:                            ;   in Loop: Header=BB6982_62 Depth=1
	s_or_b64 exec, exec, s[24:25]
	s_waitcnt vmcnt(0) lgkmcnt(0)
	ds_bpermute_b32 v15, v27, v10
	v_cmp_le_u32_e32 vcc, v28, v14
	s_and_saveexec_b64 s[24:25], vcc
	s_cbranch_execz .LBB6982_74
; %bb.73:                               ;   in Loop: Header=BB6982_62 Depth=1
	s_waitcnt lgkmcnt(0)
	v_add_u32_e32 v40, v15, v10
	v_ashrrev_i32_e32 v41, 31, v40
	v_lshlrev_b64 v[40:41], 2, v[40:41]
	v_mov_b32_e32 v10, s17
	v_add_co_u32_e32 v40, vcc, s16, v40
	v_addc_co_u32_e32 v41, vcc, v10, v41, vcc
	global_load_dword v10, v[40:41], off
.LBB6982_74:                            ;   in Loop: Header=BB6982_62 Depth=1
	s_or_b64 exec, exec, s[24:25]
	s_waitcnt vmcnt(0) lgkmcnt(0)
	ds_bpermute_b32 v15, v29, v10
	v_cmp_le_u32_e32 vcc, v30, v14
	;; [unrolled: 16-line block ×5, first 2 shown]
	s_and_saveexec_b64 s[24:25], vcc
	s_cbranch_execz .LBB6982_61
; %bb.81:                               ;   in Loop: Header=BB6982_62 Depth=1
	s_waitcnt lgkmcnt(0)
	v_add_u32_e32 v14, v15, v10
	v_ashrrev_i32_e32 v15, 31, v14
	v_lshlrev_b64 v[14:15], 2, v[14:15]
	v_mov_b32_e32 v10, s17
	v_add_co_u32_e32 v14, vcc, s16, v14
	v_addc_co_u32_e32 v15, vcc, v10, v15, vcc
	global_load_dword v10, v[14:15], off
	s_branch .LBB6982_61
.LBB6982_82:                            ;   in Loop: Header=BB6982_62 Depth=1
	s_mov_b64 s[24:25], -1
                                        ; implicit-def: $vgpr14
                                        ; implicit-def: $vgpr11
	s_mov_b64 s[26:27], 0
                                        ; implicit-def: $sgpr28_sgpr29
	s_cbranch_execz .LBB6982_62
; %bb.83:
	s_and_saveexec_b64 s[24:25], s[8:9]
	s_cbranch_execz .LBB6982_85
; %bb.84:
	v_add_u32_e32 v6, v37, v6
	v_ashrrev_i32_e32 v7, 31, v6
	v_lshlrev_b64 v[6:7], 2, v[6:7]
	v_mov_b32_e32 v8, s17
	v_add_co_u32_e32 v6, vcc, s16, v6
	v_addc_co_u32_e32 v7, vcc, v8, v7, vcc
	global_load_dword v6, v[6:7], off
	s_add_i32 s6, s6, 64
	s_mov_b32 s7, 0
	s_lshl_b64 s[6:7], s[6:7], 3
	s_add_u32 s6, s18, s6
	s_addc_u32 s7, s19, s7
	v_mov_b32_e32 v8, 0
	v_mov_b32_e32 v7, 2
	s_waitcnt vmcnt(0)
	global_store_dwordx2 v8, v[6:7], s[6:7]
.LBB6982_85:
	s_or_b64 exec, exec, s[24:25]
	s_and_b64 exec, exec, s[2:3]
	s_cbranch_execz .LBB6982_87
; %bb.86:
	v_mov_b32_e32 v6, 0
	ds_write_b32 v6, v37
.LBB6982_87:
	s_or_b64 exec, exec, s[10:11]
	v_mov_b32_e32 v6, 0
	s_waitcnt lgkmcnt(0)
	s_barrier
	ds_read_b32 v6, v6
	v_mov_b32_e32 v7, v2
	s_and_saveexec_b64 s[2:3], s[0:1]
	s_cbranch_execz .LBB6982_89
; %bb.88:
	v_add_u32_e32 v8, v25, v2
	v_ashrrev_i32_e32 v9, 31, v8
	v_lshlrev_b64 v[8:9], 2, v[8:9]
	v_mov_b32_e32 v7, s17
	v_add_co_u32_e32 v8, vcc, s16, v8
	v_addc_co_u32_e32 v9, vcc, v7, v9, vcc
	global_load_dword v7, v[8:9], off
.LBB6982_89:
	s_or_b64 exec, exec, s[2:3]
	s_waitcnt vmcnt(0) lgkmcnt(0)
	v_add_u32_e32 v6, v7, v6
	v_ashrrev_i32_e32 v7, 31, v6
	v_lshlrev_b64 v[6:7], 2, v[6:7]
	v_mov_b32_e32 v8, s17
	v_add_co_u32_e32 v6, vcc, s16, v6
	v_addc_co_u32_e32 v7, vcc, v8, v7, vcc
	global_load_dword v6, v[6:7], off
	v_mov_b32_e32 v7, s17
	v_mov_b32_e32 v10, s17
	;; [unrolled: 1-line block ×5, first 2 shown]
	s_waitcnt vmcnt(0)
	v_add_u32_e32 v8, v6, v3
	v_ashrrev_i32_e32 v9, 31, v8
	v_lshlrev_b64 v[8:9], 2, v[8:9]
	v_add_co_u32_e32 v8, vcc, s16, v8
	v_addc_co_u32_e32 v9, vcc, v7, v9, vcc
	global_load_dword v7, v[8:9], off
	s_waitcnt vmcnt(0)
	v_add_u32_e32 v8, v7, v4
	v_ashrrev_i32_e32 v9, 31, v8
	v_lshlrev_b64 v[8:9], 2, v[8:9]
	v_add_co_u32_e32 v8, vcc, s16, v8
	v_addc_co_u32_e32 v9, vcc, v10, v9, vcc
	global_load_dword v8, v[8:9], off
	v_mov_b32_e32 v9, s17
	s_waitcnt vmcnt(0)
	v_add_u32_e32 v10, v8, v5
	v_ashrrev_i32_e32 v11, 31, v10
	v_lshlrev_b64 v[10:11], 2, v[10:11]
	v_add_co_u32_e32 v10, vcc, s16, v10
	v_addc_co_u32_e32 v11, vcc, v9, v11, vcc
	global_load_dword v9, v[10:11], off
	s_waitcnt vmcnt(0)
	v_add_u32_e32 v10, v9, v16
	v_ashrrev_i32_e32 v11, 31, v10
	v_lshlrev_b64 v[10:11], 2, v[10:11]
	v_add_co_u32_e32 v10, vcc, s16, v10
	v_addc_co_u32_e32 v11, vcc, v12, v11, vcc
	global_load_dword v10, v[10:11], off
	v_mov_b32_e32 v11, s17
	;; [unrolled: 15-line block ×4, first 2 shown]
	s_waitcnt vmcnt(0)
	v_add_u32_e32 v26, v14, v21
	v_ashrrev_i32_e32 v27, 31, v26
	v_lshlrev_b64 v[26:27], 2, v[26:27]
	v_add_co_u32_e32 v26, vcc, s16, v26
	v_addc_co_u32_e32 v27, vcc, v15, v27, vcc
	global_load_dword v15, v[26:27], off
	s_load_dwordx8 s[4:11], s[4:5], 0x40
	s_branch .LBB6982_114
.LBB6982_90:
                                        ; implicit-def: $vgpr6_vgpr7_vgpr8_vgpr9_vgpr10_vgpr11_vgpr12_vgpr13_vgpr14_vgpr15
	s_load_dwordx8 s[4:11], s[4:5], 0x40
	s_cbranch_execz .LBB6982_114
; %bb.91:
	s_waitcnt lgkmcnt(0)
	s_cmp_lg_u64 s[8:9], 0
	s_cselect_b64 s[2:3], -1, 0
	v_cmp_eq_u32_e64 s[0:1], 0, v0
	s_waitcnt vmcnt(0)
	v_pk_mov_b32 v[14:15], v[10:11], v[10:11] op_sel:[0,1]
	v_cmp_ne_u32_e32 vcc, 0, v0
	s_and_b64 s[2:3], s[0:1], s[2:3]
	v_pk_mov_b32 v[12:13], v[8:9], v[8:9] op_sel:[0,1]
	v_pk_mov_b32 v[10:11], v[6:7], v[6:7] op_sel:[0,1]
	;; [unrolled: 1-line block ×4, first 2 shown]
	s_and_saveexec_b64 s[8:9], s[2:3]
	s_cbranch_execz .LBB6982_93
; %bb.92:
	v_mov_b32_e32 v6, 0
	global_load_dword v6, v6, s[4:5]
	v_mov_b32_e32 v8, s17
	s_waitcnt vmcnt(0)
	v_add_u32_e32 v6, v6, v2
	v_ashrrev_i32_e32 v7, 31, v6
	v_lshlrev_b64 v[6:7], 2, v[6:7]
	v_add_co_u32_e64 v6, s[2:3], s16, v6
	v_addc_co_u32_e64 v7, s[2:3], v8, v7, s[2:3]
	global_load_dword v6, v[6:7], off
	s_waitcnt vmcnt(0)
	v_mov_b32_e32 v2, v6
.LBB6982_93:
	s_or_b64 exec, exec, s[8:9]
	v_add_u32_e32 v8, v3, v2
	v_ashrrev_i32_e32 v9, 31, v8
	v_lshlrev_b64 v[10:11], 2, v[8:9]
	v_mov_b32_e32 v7, s17
	v_add_co_u32_e64 v10, s[2:3], s16, v10
	v_addc_co_u32_e64 v11, s[2:3], v7, v11, s[2:3]
	global_load_dword v7, v[10:11], off
	v_mov_b32_e32 v12, s17
	s_waitcnt vmcnt(0)
	v_add_u32_e32 v10, v4, v7
	v_ashrrev_i32_e32 v11, 31, v10
	v_lshlrev_b64 v[10:11], 2, v[10:11]
	v_add_co_u32_e64 v10, s[2:3], s16, v10
	v_addc_co_u32_e64 v11, s[2:3], v12, v11, s[2:3]
	global_load_dword v7, v[10:11], off
	s_waitcnt vmcnt(0)
	v_add_u32_e32 v10, v7, v5
	v_ashrrev_i32_e32 v11, 31, v10
	v_lshlrev_b64 v[10:11], 2, v[10:11]
	v_add_co_u32_e64 v10, s[2:3], s16, v10
	v_addc_co_u32_e64 v11, s[2:3], v12, v11, s[2:3]
	global_load_dword v7, v[10:11], off
	s_waitcnt vmcnt(0)
	v_add_u32_e32 v10, v7, v16
	v_ashrrev_i32_e32 v11, 31, v10
	v_lshlrev_b64 v[10:11], 2, v[10:11]
	v_add_co_u32_e64 v10, s[2:3], s16, v10
	v_addc_co_u32_e64 v11, s[2:3], v12, v11, s[2:3]
	global_load_dword v7, v[10:11], off
	s_waitcnt vmcnt(0)
	v_add_u32_e32 v10, v7, v17
	v_ashrrev_i32_e32 v11, 31, v10
	v_lshlrev_b64 v[10:11], 2, v[10:11]
	v_add_co_u32_e64 v10, s[2:3], s16, v10
	v_addc_co_u32_e64 v11, s[2:3], v12, v11, s[2:3]
	global_load_dword v7, v[10:11], off
	s_waitcnt vmcnt(0)
	v_add_u32_e32 v10, v7, v18
	v_ashrrev_i32_e32 v11, 31, v10
	v_lshlrev_b64 v[10:11], 2, v[10:11]
	v_add_co_u32_e64 v10, s[2:3], s16, v10
	v_addc_co_u32_e64 v11, s[2:3], v12, v11, s[2:3]
	global_load_dword v7, v[10:11], off
	s_waitcnt vmcnt(0)
	v_add_u32_e32 v10, v7, v19
	v_ashrrev_i32_e32 v11, 31, v10
	v_lshlrev_b64 v[10:11], 2, v[10:11]
	v_add_co_u32_e64 v10, s[2:3], s16, v10
	v_addc_co_u32_e64 v11, s[2:3], v12, v11, s[2:3]
	global_load_dword v7, v[10:11], off
	s_waitcnt vmcnt(0)
	v_add_u32_e32 v10, v7, v20
	v_ashrrev_i32_e32 v11, 31, v10
	v_lshlrev_b64 v[10:11], 2, v[10:11]
	v_add_co_u32_e64 v10, s[2:3], s16, v10
	v_addc_co_u32_e64 v11, s[2:3], v12, v11, s[2:3]
	global_load_dword v7, v[10:11], off
	s_waitcnt vmcnt(0)
	v_add_u32_e32 v10, v7, v21
	v_ashrrev_i32_e32 v11, 31, v10
	v_lshlrev_b64 v[10:11], 2, v[10:11]
	v_add_co_u32_e64 v10, s[2:3], s16, v10
	v_addc_co_u32_e64 v11, s[2:3], v12, v11, s[2:3]
	global_load_dword v7, v[10:11], off
	v_add_lshl_u32 v10, v24, v0, 2
	v_cmp_gt_u32_e64 s[2:3], 64, v0
	s_waitcnt vmcnt(0)
	ds_write_b32 v10, v7
	s_waitcnt lgkmcnt(0)
	s_barrier
	s_and_saveexec_b64 s[4:5], s[2:3]
	s_cbranch_execz .LBB6982_107
; %bb.94:
	v_lshlrev_b32_e32 v10, 1, v0
	v_lshrrev_b32_e32 v11, 4, v0
	v_add_lshl_u32 v12, v11, v10, 2
	ds_read2_b32 v[10:11], v12 offset1:1
	v_mov_b32_e32 v13, s17
	s_waitcnt lgkmcnt(0)
	v_add_u32_e32 v14, v11, v10
	v_ashrrev_i32_e32 v15, 31, v14
	v_lshlrev_b64 v[14:15], 2, v[14:15]
	v_add_co_u32_e64 v14, s[2:3], s16, v14
	v_addc_co_u32_e64 v15, s[2:3], v13, v15, s[2:3]
	global_load_dword v13, v[14:15], off
	v_mbcnt_lo_u32_b32 v11, -1, 0
	v_mbcnt_hi_u32_b32 v11, -1, v11
	v_and_b32_e32 v14, 15, v11
	v_cmp_ne_u32_e64 s[2:3], 0, v14
	s_waitcnt vmcnt(0)
	v_mov_b32_dpp v15, v13 row_shr:1 row_mask:0xf bank_mask:0xf
	s_and_saveexec_b64 s[8:9], s[2:3]
	s_cbranch_execz .LBB6982_96
; %bb.95:
	v_add_u32_e32 v24, v15, v13
	v_ashrrev_i32_e32 v25, 31, v24
	v_lshlrev_b64 v[24:25], 2, v[24:25]
	v_mov_b32_e32 v13, s17
	v_add_co_u32_e64 v24, s[2:3], s16, v24
	v_addc_co_u32_e64 v25, s[2:3], v13, v25, s[2:3]
	global_load_dword v13, v[24:25], off
.LBB6982_96:
	s_or_b64 exec, exec, s[8:9]
	s_waitcnt vmcnt(0)
	v_mov_b32_dpp v15, v13 row_shr:2 row_mask:0xf bank_mask:0xf
	v_cmp_lt_u32_e64 s[2:3], 1, v14
	s_and_saveexec_b64 s[8:9], s[2:3]
	s_cbranch_execz .LBB6982_98
; %bb.97:
	v_add_u32_e32 v24, v15, v13
	v_ashrrev_i32_e32 v25, 31, v24
	v_lshlrev_b64 v[24:25], 2, v[24:25]
	v_mov_b32_e32 v13, s17
	v_add_co_u32_e64 v24, s[2:3], s16, v24
	v_addc_co_u32_e64 v25, s[2:3], v13, v25, s[2:3]
	global_load_dword v13, v[24:25], off
.LBB6982_98:
	s_or_b64 exec, exec, s[8:9]
	s_waitcnt vmcnt(0)
	v_mov_b32_dpp v15, v13 row_shr:4 row_mask:0xf bank_mask:0xf
	v_cmp_lt_u32_e64 s[2:3], 3, v14
	;; [unrolled: 15-line block ×3, first 2 shown]
	s_and_saveexec_b64 s[8:9], s[2:3]
	s_cbranch_execz .LBB6982_102
; %bb.101:
	v_add_u32_e32 v14, v15, v13
	v_ashrrev_i32_e32 v15, 31, v14
	v_lshlrev_b64 v[14:15], 2, v[14:15]
	v_mov_b32_e32 v13, s17
	v_add_co_u32_e64 v14, s[2:3], s16, v14
	v_addc_co_u32_e64 v15, s[2:3], v13, v15, s[2:3]
	global_load_dword v13, v[14:15], off
.LBB6982_102:
	s_or_b64 exec, exec, s[8:9]
	v_and_b32_e32 v15, 16, v11
	s_waitcnt vmcnt(0)
	v_mov_b32_dpp v14, v13 row_bcast:15 row_mask:0xf bank_mask:0xf
	v_cmp_ne_u32_e64 s[2:3], 0, v15
	s_and_saveexec_b64 s[8:9], s[2:3]
	s_cbranch_execz .LBB6982_104
; %bb.103:
	v_add_u32_e32 v14, v14, v13
	v_ashrrev_i32_e32 v15, 31, v14
	v_lshlrev_b64 v[14:15], 2, v[14:15]
	v_mov_b32_e32 v13, s17
	v_add_co_u32_e64 v14, s[2:3], s16, v14
	v_addc_co_u32_e64 v15, s[2:3], v13, v15, s[2:3]
	global_load_dword v13, v[14:15], off
.LBB6982_104:
	s_or_b64 exec, exec, s[8:9]
	s_waitcnt vmcnt(0)
	v_mov_b32_dpp v14, v13 row_bcast:31 row_mask:0xf bank_mask:0xf
	v_cmp_lt_u32_e64 s[2:3], 31, v11
	s_and_saveexec_b64 s[8:9], s[2:3]
	s_cbranch_execz .LBB6982_106
; %bb.105:
	v_add_u32_e32 v14, v14, v13
	v_ashrrev_i32_e32 v15, 31, v14
	v_lshlrev_b64 v[14:15], 2, v[14:15]
	v_mov_b32_e32 v13, s17
	v_add_co_u32_e64 v14, s[2:3], s16, v14
	v_addc_co_u32_e64 v15, s[2:3], v13, v15, s[2:3]
	global_load_dword v13, v[14:15], off
.LBB6982_106:
	s_or_b64 exec, exec, s[8:9]
	v_add_u32_e32 v14, -1, v11
	v_and_b32_e32 v15, 64, v11
	v_cmp_lt_i32_e64 s[2:3], v14, v15
	v_cndmask_b32_e64 v11, v14, v11, s[2:3]
	v_lshlrev_b32_e32 v11, 2, v11
	s_waitcnt vmcnt(0)
	ds_bpermute_b32 v11, v11, v13
	v_mov_b32_e32 v13, s17
	s_waitcnt lgkmcnt(0)
	v_add_u32_e32 v10, v11, v10
	v_ashrrev_i32_e32 v11, 31, v10
	v_lshlrev_b64 v[10:11], 2, v[10:11]
	v_add_co_u32_e64 v10, s[2:3], s16, v10
	v_addc_co_u32_e64 v11, s[2:3], v13, v11, s[2:3]
	global_load_dword v10, v[10:11], off
	; wave barrier
	s_waitcnt vmcnt(0)
	v_cndmask_b32_e64 v10, v10, v7, s[0:1]
	ds_write_b32 v12, v10
	; wave barrier
	ds_read_b32 v11, v12 offset:4
	s_waitcnt lgkmcnt(0)
	v_add_u32_e32 v10, v11, v10
	v_ashrrev_i32_e32 v11, 31, v10
	v_lshlrev_b64 v[10:11], 2, v[10:11]
	v_add_co_u32_e64 v10, s[0:1], s16, v10
	v_addc_co_u32_e64 v11, s[0:1], v13, v11, s[0:1]
	global_load_dword v10, v[10:11], off
	s_waitcnt vmcnt(0)
	ds_write_b32 v12, v10 offset:4
.LBB6982_107:
	s_or_b64 exec, exec, s[4:5]
	s_waitcnt lgkmcnt(0)
	s_barrier
	s_and_saveexec_b64 s[0:1], vcc
	s_cbranch_execz .LBB6982_109
; %bb.108:
	v_add_u32_e32 v7, -1, v0
	v_lshrrev_b32_e32 v10, 5, v7
	v_add_lshl_u32 v7, v10, v7, 2
	ds_read_b32 v7, v7
.LBB6982_109:
	s_or_b64 exec, exec, s[0:1]
	s_and_saveexec_b64 s[0:1], vcc
	s_cbranch_execz .LBB6982_111
; %bb.110:
	s_waitcnt lgkmcnt(0)
	v_add_u32_e32 v6, v7, v2
	v_ashrrev_i32_e32 v7, 31, v6
	v_lshlrev_b64 v[6:7], 2, v[6:7]
	v_mov_b32_e32 v2, s17
	v_add_co_u32_e32 v6, vcc, s16, v6
	v_addc_co_u32_e32 v7, vcc, v2, v7, vcc
	global_load_dword v6, v[6:7], off
	;;#ASMSTART
	;;#ASMEND
	s_waitcnt vmcnt(0)
	v_add_u32_e32 v8, v6, v3
	v_ashrrev_i32_e32 v9, 31, v8
.LBB6982_111:
	s_or_b64 exec, exec, s[0:1]
	v_lshlrev_b64 v[2:3], 2, v[8:9]
	s_waitcnt lgkmcnt(0)
	v_mov_b32_e32 v7, s17
	v_add_co_u32_e32 v2, vcc, s16, v2
	v_addc_co_u32_e32 v3, vcc, v7, v3, vcc
	global_load_dword v7, v[2:3], off
	v_mov_b32_e32 v8, s17
	s_movk_i32 s0, 0x7f
	s_waitcnt vmcnt(0)
	v_add_u32_e32 v2, v7, v4
	v_ashrrev_i32_e32 v3, 31, v2
	v_lshlrev_b64 v[2:3], 2, v[2:3]
	v_add_co_u32_e32 v2, vcc, s16, v2
	v_addc_co_u32_e32 v3, vcc, v8, v3, vcc
	global_load_dword v8, v[2:3], off
	v_mov_b32_e32 v4, s17
	s_waitcnt vmcnt(0)
	v_add_u32_e32 v2, v8, v5
	v_ashrrev_i32_e32 v3, 31, v2
	v_lshlrev_b64 v[2:3], 2, v[2:3]
	v_add_co_u32_e32 v2, vcc, s16, v2
	v_addc_co_u32_e32 v3, vcc, v4, v3, vcc
	global_load_dword v9, v[2:3], off
	s_waitcnt vmcnt(0)
	v_add_u32_e32 v2, v9, v16
	v_ashrrev_i32_e32 v3, 31, v2
	v_lshlrev_b64 v[2:3], 2, v[2:3]
	v_add_co_u32_e32 v2, vcc, s16, v2
	v_addc_co_u32_e32 v3, vcc, v4, v3, vcc
	global_load_dword v10, v[2:3], off
	;; [unrolled: 7-line block ×7, first 2 shown]
	v_cmp_eq_u32_e32 vcc, s0, v0
	s_and_saveexec_b64 s[0:1], vcc
	s_cbranch_execz .LBB6982_113
; %bb.112:
	v_mov_b32_e32 v4, 0
	v_mov_b32_e32 v3, 2
	s_waitcnt vmcnt(0)
	v_mov_b32_e32 v2, v15
	global_store_dwordx2 v4, v[2:3], s[18:19] offset:512
.LBB6982_113:
	s_or_b64 exec, exec, s[0:1]
.LBB6982_114:
	s_add_u32 s0, s12, s20
	s_addc_u32 s1, s13, s21
	s_add_u32 s2, s0, s22
	s_addc_u32 s3, s1, s23
	s_mov_b64 s[0:1], -1
	s_and_b64 vcc, exec, s[14:15]
	s_waitcnt lgkmcnt(0)
	s_barrier
	s_cbranch_vccz .LBB6982_116
; %bb.115:
	ds_write2_b64 v1, v[6:7], v[8:9] offset1:1
	ds_write2_b64 v1, v[10:11], v[12:13] offset0:2 offset1:3
	s_waitcnt vmcnt(0)
	ds_write_b64 v1, v[14:15] offset:32
	s_waitcnt lgkmcnt(0)
	s_barrier
	ds_read2st64_b32 v[2:3], v22 offset1:2
	ds_read2st64_b32 v[4:5], v22 offset0:4 offset1:6
	ds_read2st64_b32 v[16:17], v22 offset0:8 offset1:10
	;; [unrolled: 1-line block ×4, first 2 shown]
	v_mov_b32_e32 v25, s3
	v_add_co_u32_e32 v24, vcc, s2, v22
	v_addc_co_u32_e32 v25, vcc, 0, v25, vcc
	s_waitcnt lgkmcnt(4)
	flat_store_dword v[24:25], v2
	flat_store_dword v[24:25], v3 offset:512
	s_waitcnt lgkmcnt(0)
	flat_store_dword v[24:25], v4 offset:1024
	flat_store_dword v[24:25], v5 offset:1536
	;; [unrolled: 1-line block ×6, first 2 shown]
	v_add_co_u32_e32 v2, vcc, 0x1000, v24
	v_addc_co_u32_e32 v3, vcc, 0, v25, vcc
	flat_store_dword v[2:3], v20
	flat_store_dword v[2:3], v21 offset:512
	s_mov_b64 s[0:1], 0
.LBB6982_116:
	s_andn2_b64 vcc, exec, s[0:1]
	s_cbranch_vccnz .LBB6982_172
; %bb.117:
	ds_write2_b64 v1, v[6:7], v[8:9] offset1:1
	ds_write2_b64 v1, v[10:11], v[12:13] offset0:2 offset1:3
	s_waitcnt vmcnt(0)
	ds_write_b64 v1, v[14:15] offset:32
	s_waitcnt lgkmcnt(0)
	s_barrier
	ds_read2st64_b32 v[2:3], v22 offset1:2
	ds_read2st64_b32 v[6:7], v22 offset0:4 offset1:6
	ds_read2st64_b32 v[4:5], v22 offset0:8 offset1:10
	;; [unrolled: 1-line block ×4, first 2 shown]
	v_mov_b32_e32 v13, s3
	v_add_co_u32_e32 v12, vcc, s2, v22
	v_addc_co_u32_e32 v13, vcc, 0, v13, vcc
	v_mov_b32_e32 v1, 0
	v_cmp_gt_u32_e32 vcc, s33, v0
	s_and_saveexec_b64 s[0:1], vcc
	s_cbranch_execz .LBB6982_119
; %bb.118:
	s_waitcnt lgkmcnt(4)
	flat_store_dword v[12:13], v2
.LBB6982_119:
	s_or_b64 exec, exec, s[0:1]
	v_or_b32_e32 v14, 0x80, v0
	v_cmp_gt_u32_e32 vcc, s33, v14
	s_and_saveexec_b64 s[0:1], vcc
	s_cbranch_execz .LBB6982_121
; %bb.120:
	s_waitcnt lgkmcnt(0)
	flat_store_dword v[12:13], v3 offset:512
.LBB6982_121:
	s_or_b64 exec, exec, s[0:1]
	v_or_b32_e32 v14, 0x100, v0
	v_cmp_gt_u32_e32 vcc, s33, v14
	s_and_saveexec_b64 s[0:1], vcc
	s_cbranch_execz .LBB6982_123
; %bb.122:
	s_waitcnt lgkmcnt(0)
	flat_store_dword v[12:13], v6 offset:1024
.LBB6982_123:
	s_or_b64 exec, exec, s[0:1]
	v_or_b32_e32 v14, 0x180, v0
	v_cmp_gt_u32_e32 vcc, s33, v14
	s_and_saveexec_b64 s[0:1], vcc
	s_cbranch_execz .LBB6982_125
; %bb.124:
	s_waitcnt lgkmcnt(0)
	flat_store_dword v[12:13], v7 offset:1536
.LBB6982_125:
	s_or_b64 exec, exec, s[0:1]
	v_or_b32_e32 v14, 0x200, v0
	v_cmp_gt_u32_e32 vcc, s33, v14
	s_and_saveexec_b64 s[0:1], vcc
	s_cbranch_execz .LBB6982_127
; %bb.126:
	s_waitcnt lgkmcnt(0)
	flat_store_dword v[12:13], v4 offset:2048
.LBB6982_127:
	s_or_b64 exec, exec, s[0:1]
	v_or_b32_e32 v14, 0x280, v0
	v_cmp_gt_u32_e32 vcc, s33, v14
	s_and_saveexec_b64 s[0:1], vcc
	s_cbranch_execz .LBB6982_129
; %bb.128:
	s_waitcnt lgkmcnt(0)
	flat_store_dword v[12:13], v5 offset:2560
.LBB6982_129:
	s_or_b64 exec, exec, s[0:1]
	v_or_b32_e32 v14, 0x300, v0
	v_cmp_gt_u32_e32 vcc, s33, v14
	s_and_saveexec_b64 s[0:1], vcc
	s_cbranch_execz .LBB6982_131
; %bb.130:
	s_waitcnt lgkmcnt(0)
	flat_store_dword v[12:13], v8 offset:3072
.LBB6982_131:
	s_or_b64 exec, exec, s[0:1]
	v_or_b32_e32 v14, 0x380, v0
	v_cmp_gt_u32_e32 vcc, s33, v14
	s_and_saveexec_b64 s[0:1], vcc
	s_cbranch_execz .LBB6982_133
; %bb.132:
	s_waitcnt lgkmcnt(0)
	flat_store_dword v[12:13], v9 offset:3584
.LBB6982_133:
	s_or_b64 exec, exec, s[0:1]
	v_or_b32_e32 v14, 0x400, v0
	v_cmp_gt_u32_e32 vcc, s33, v14
	s_and_saveexec_b64 s[0:1], vcc
	s_cbranch_execz .LBB6982_135
; %bb.134:
	v_add_co_u32_e32 v14, vcc, 0x1000, v12
	v_addc_co_u32_e32 v15, vcc, 0, v13, vcc
	s_waitcnt lgkmcnt(0)
	flat_store_dword v[14:15], v10
.LBB6982_135:
	s_or_b64 exec, exec, s[0:1]
	v_or_b32_e32 v14, 0x480, v0
	v_cmp_gt_u32_e32 vcc, s33, v14
	s_and_saveexec_b64 s[0:1], vcc
	s_cbranch_execz .LBB6982_137
; %bb.136:
	v_add_co_u32_e32 v12, vcc, 0x1000, v12
	v_addc_co_u32_e32 v13, vcc, 0, v13, vcc
	s_waitcnt lgkmcnt(0)
	flat_store_dword v[12:13], v11 offset:512
.LBB6982_137:
	s_or_b64 exec, exec, s[0:1]
	v_cmp_lt_u64_e64 s[0:1], s[10:11], 2
	s_and_b64 vcc, exec, s[0:1]
	s_cbranch_vccnz .LBB6982_172
; %bb.138:
	s_add_u32 s0, s33, -1
	s_addc_u32 s1, s36, -1
	s_add_u32 s2, 0, 0x99986000
	s_addc_u32 s3, 0, 0x59
	s_add_i32 s3, s3, 0x19999940
	s_mul_hi_u32 s9, s2, -10
	s_sub_i32 s9, s9, s2
	s_mul_i32 s10, s3, -10
	s_mul_i32 s4, s2, -10
	s_add_i32 s9, s9, s10
	s_mul_hi_u32 s5, s3, s4
	s_mul_i32 s8, s3, s4
	s_mul_i32 s11, s2, s9
	s_mul_hi_u32 s4, s2, s4
	s_mul_hi_u32 s10, s2, s9
	s_add_u32 s4, s4, s11
	s_addc_u32 s10, 0, s10
	s_add_u32 s4, s4, s8
	s_mul_hi_u32 s11, s3, s9
	s_addc_u32 s4, s10, s5
	s_addc_u32 s5, s11, 0
	s_mul_i32 s8, s3, s9
	s_add_u32 s4, s4, s8
	v_mov_b32_e32 v12, s4
	s_addc_u32 s5, 0, s5
	v_add_co_u32_e32 v12, vcc, s2, v12
	s_cmp_lg_u64 vcc, 0
	s_addc_u32 s2, s3, s5
	v_readfirstlane_b32 s5, v12
	s_mul_i32 s4, s0, s2
	s_mul_hi_u32 s8, s0, s5
	s_mul_hi_u32 s3, s0, s2
	s_add_u32 s4, s8, s4
	s_addc_u32 s3, 0, s3
	s_mul_hi_u32 s9, s1, s5
	s_mul_i32 s5, s1, s5
	s_add_u32 s4, s4, s5
	s_mul_hi_u32 s8, s1, s2
	s_addc_u32 s3, s3, s9
	s_addc_u32 s4, s8, 0
	s_mul_i32 s2, s1, s2
	s_add_u32 s2, s3, s2
	s_addc_u32 s3, 0, s4
	s_add_u32 s4, s2, 1
	s_addc_u32 s5, s3, 0
	s_add_u32 s8, s2, 2
	s_mul_i32 s10, s3, 10
	s_mul_hi_u32 s11, s2, 10
	s_addc_u32 s9, s3, 0
	s_add_i32 s11, s11, s10
	s_mul_i32 s10, s2, 10
	v_mov_b32_e32 v12, s10
	v_sub_co_u32_e32 v12, vcc, s0, v12
	s_cmp_lg_u64 vcc, 0
	s_subb_u32 s10, s1, s11
	v_subrev_co_u32_e32 v13, vcc, 10, v12
	s_cmp_lg_u64 vcc, 0
	s_subb_u32 s11, s10, 0
	v_readfirstlane_b32 s12, v13
	s_cmp_gt_u32 s12, 9
	s_cselect_b32 s12, -1, 0
	s_cmp_eq_u32 s11, 0
	s_cselect_b32 s11, s12, -1
	s_cmp_lg_u32 s11, 0
	s_cselect_b32 s4, s8, s4
	v_readfirstlane_b32 s8, v12
	s_cselect_b32 s5, s9, s5
	s_cmp_gt_u32 s8, 9
	s_cselect_b32 s8, -1, 0
	s_cmp_eq_u32 s10, 0
	s_cselect_b32 s8, s8, -1
	s_cmp_lg_u32 s8, 0
	s_cselect_b32 s3, s5, s3
	s_cselect_b32 s2, s4, s2
	v_cmp_eq_u64_e32 vcc, s[2:3], v[0:1]
	s_and_saveexec_b64 s[2:3], vcc
	s_cbranch_execz .LBB6982_172
; %bb.139:
	v_mul_hi_u32_u24_e32 v1, 10, v0
	v_mov_b32_e32 v12, s1
	v_sub_co_u32_e32 v0, vcc, s0, v23
	v_subb_co_u32_e32 v1, vcc, v12, v1, vcc
	v_cmp_lt_i64_e32 vcc, 4, v[0:1]
	s_and_saveexec_b64 s[0:1], vcc
	s_xor_b64 s[0:1], exec, s[0:1]
	s_cbranch_execz .LBB6982_157
; %bb.140:
	v_cmp_lt_i64_e32 vcc, 6, v[0:1]
	s_and_saveexec_b64 s[2:3], vcc
	s_xor_b64 s[2:3], exec, s[2:3]
	s_cbranch_execz .LBB6982_150
; %bb.141:
	v_cmp_lt_i64_e32 vcc, 7, v[0:1]
	s_and_saveexec_b64 s[4:5], vcc
	s_xor_b64 s[4:5], exec, s[4:5]
	s_cbranch_execz .LBB6982_147
; %bb.142:
	v_cmp_lt_i64_e32 vcc, 8, v[0:1]
	s_and_saveexec_b64 s[8:9], vcc
	s_xor_b64 s[8:9], exec, s[8:9]
	s_cbranch_execz .LBB6982_144
; %bb.143:
	v_mov_b32_e32 v0, 0
	s_waitcnt lgkmcnt(0)
	global_store_dword v0, v11, s[6:7]
                                        ; implicit-def: $vgpr10_vgpr11
.LBB6982_144:
	s_andn2_saveexec_b64 s[8:9], s[8:9]
	s_cbranch_execz .LBB6982_146
; %bb.145:
	v_mov_b32_e32 v0, 0
	s_waitcnt lgkmcnt(0)
	global_store_dword v0, v10, s[6:7]
.LBB6982_146:
	s_or_b64 exec, exec, s[8:9]
                                        ; implicit-def: $vgpr8_vgpr9
.LBB6982_147:
	s_andn2_saveexec_b64 s[4:5], s[4:5]
	s_cbranch_execz .LBB6982_149
; %bb.148:
	v_mov_b32_e32 v0, 0
	s_waitcnt lgkmcnt(0)
	global_store_dword v0, v9, s[6:7]
.LBB6982_149:
	s_or_b64 exec, exec, s[4:5]
                                        ; implicit-def: $vgpr4_vgpr5
                                        ; implicit-def: $vgpr0_vgpr1
                                        ; implicit-def: $vgpr8_vgpr9
.LBB6982_150:
	s_andn2_saveexec_b64 s[2:3], s[2:3]
	s_cbranch_execz .LBB6982_156
; %bb.151:
	v_cmp_lt_i64_e32 vcc, 5, v[0:1]
	s_and_saveexec_b64 s[4:5], vcc
	s_xor_b64 s[4:5], exec, s[4:5]
	s_cbranch_execz .LBB6982_153
; %bb.152:
	v_mov_b32_e32 v0, 0
	s_waitcnt lgkmcnt(0)
	global_store_dword v0, v8, s[6:7]
                                        ; implicit-def: $vgpr4_vgpr5
.LBB6982_153:
	s_andn2_saveexec_b64 s[4:5], s[4:5]
	s_cbranch_execz .LBB6982_155
; %bb.154:
	v_mov_b32_e32 v0, 0
	s_waitcnt lgkmcnt(0)
	global_store_dword v0, v5, s[6:7]
.LBB6982_155:
	s_or_b64 exec, exec, s[4:5]
.LBB6982_156:
	s_or_b64 exec, exec, s[2:3]
                                        ; implicit-def: $vgpr0_vgpr1
                                        ; implicit-def: $vgpr6_vgpr7
                                        ; implicit-def: $vgpr2_vgpr3
                                        ; implicit-def: $vgpr4_vgpr5
.LBB6982_157:
	s_andn2_saveexec_b64 s[0:1], s[0:1]
	s_cbranch_execz .LBB6982_172
; %bb.158:
	v_cmp_lt_i64_e32 vcc, 2, v[0:1]
	s_and_saveexec_b64 s[0:1], vcc
	s_xor_b64 s[0:1], exec, s[0:1]
	s_cbranch_execz .LBB6982_164
; %bb.159:
	v_cmp_lt_i64_e32 vcc, 3, v[0:1]
	s_and_saveexec_b64 s[2:3], vcc
	s_xor_b64 s[2:3], exec, s[2:3]
	s_cbranch_execz .LBB6982_161
; %bb.160:
	v_mov_b32_e32 v0, 0
	s_waitcnt lgkmcnt(0)
	global_store_dword v0, v4, s[6:7]
                                        ; implicit-def: $vgpr6_vgpr7
.LBB6982_161:
	s_andn2_saveexec_b64 s[2:3], s[2:3]
	s_cbranch_execz .LBB6982_163
; %bb.162:
	v_mov_b32_e32 v0, 0
	s_waitcnt lgkmcnt(0)
	global_store_dword v0, v7, s[6:7]
.LBB6982_163:
	s_or_b64 exec, exec, s[2:3]
                                        ; implicit-def: $vgpr0_vgpr1
                                        ; implicit-def: $vgpr6_vgpr7
                                        ; implicit-def: $vgpr2_vgpr3
.LBB6982_164:
	s_andn2_saveexec_b64 s[0:1], s[0:1]
	s_cbranch_execz .LBB6982_172
; %bb.165:
	v_cmp_lt_i64_e32 vcc, 1, v[0:1]
	s_and_saveexec_b64 s[0:1], vcc
	s_xor_b64 s[0:1], exec, s[0:1]
	s_cbranch_execz .LBB6982_167
; %bb.166:
	v_mov_b32_e32 v0, 0
	s_waitcnt lgkmcnt(0)
	global_store_dword v0, v6, s[6:7]
                                        ; implicit-def: $vgpr2_vgpr3
                                        ; implicit-def: $vgpr0_vgpr1
.LBB6982_167:
	s_andn2_saveexec_b64 s[0:1], s[0:1]
	s_cbranch_execz .LBB6982_172
; %bb.168:
	v_cmp_ne_u64_e32 vcc, 1, v[0:1]
	s_and_saveexec_b64 s[0:1], vcc
	s_xor_b64 s[0:1], exec, s[0:1]
	s_cbranch_execz .LBB6982_170
; %bb.169:
	v_mov_b32_e32 v0, 0
	s_waitcnt lgkmcnt(0)
	global_store_dword v0, v2, s[6:7]
                                        ; implicit-def: $vgpr2_vgpr3
.LBB6982_170:
	s_andn2_saveexec_b64 s[0:1], s[0:1]
	s_cbranch_execz .LBB6982_172
; %bb.171:
	v_mov_b32_e32 v0, 0
	s_waitcnt lgkmcnt(0)
	global_store_dword v0, v3, s[6:7]
.LBB6982_172:
	s_endpgm
	.section	.rodata,"a",@progbits
	.p2align	6, 0x0
	.amdhsa_kernel _ZN7rocprim17ROCPRIM_400000_NS6detail17trampoline_kernelINS0_14default_configENS1_20scan_config_selectorIiEEZZNS1_9scan_implILNS1_25lookback_scan_determinismE0ELb0ELb0ES3_N6thrust23THRUST_200600_302600_NS6detail15normal_iteratorINS9_10device_ptrIiEEEESE_i19const_ref_plus_mod3IiEiEEDaPvRmT3_T4_T5_mT6_P12ihipStream_tbENKUlT_T0_E_clISt17integral_constantIbLb0EESU_EEDaSP_SQ_EUlSP_E_NS1_11comp_targetILNS1_3genE4ELNS1_11target_archE910ELNS1_3gpuE8ELNS1_3repE0EEENS1_30default_config_static_selectorELNS0_4arch9wavefront6targetE1EEEvT1_
		.amdhsa_group_segment_fixed_size 5120
		.amdhsa_private_segment_fixed_size 0
		.amdhsa_kernarg_size 104
		.amdhsa_user_sgpr_count 6
		.amdhsa_user_sgpr_private_segment_buffer 1
		.amdhsa_user_sgpr_dispatch_ptr 0
		.amdhsa_user_sgpr_queue_ptr 0
		.amdhsa_user_sgpr_kernarg_segment_ptr 1
		.amdhsa_user_sgpr_dispatch_id 0
		.amdhsa_user_sgpr_flat_scratch_init 0
		.amdhsa_user_sgpr_kernarg_preload_length 0
		.amdhsa_user_sgpr_kernarg_preload_offset 0
		.amdhsa_user_sgpr_private_segment_size 0
		.amdhsa_uses_dynamic_stack 0
		.amdhsa_system_sgpr_private_segment_wavefront_offset 0
		.amdhsa_system_sgpr_workgroup_id_x 1
		.amdhsa_system_sgpr_workgroup_id_y 0
		.amdhsa_system_sgpr_workgroup_id_z 0
		.amdhsa_system_sgpr_workgroup_info 0
		.amdhsa_system_vgpr_workitem_id 0
		.amdhsa_next_free_vgpr 42
		.amdhsa_next_free_sgpr 40
		.amdhsa_accum_offset 44
		.amdhsa_reserve_vcc 1
		.amdhsa_reserve_flat_scratch 0
		.amdhsa_float_round_mode_32 0
		.amdhsa_float_round_mode_16_64 0
		.amdhsa_float_denorm_mode_32 3
		.amdhsa_float_denorm_mode_16_64 3
		.amdhsa_dx10_clamp 1
		.amdhsa_ieee_mode 1
		.amdhsa_fp16_overflow 0
		.amdhsa_tg_split 0
		.amdhsa_exception_fp_ieee_invalid_op 0
		.amdhsa_exception_fp_denorm_src 0
		.amdhsa_exception_fp_ieee_div_zero 0
		.amdhsa_exception_fp_ieee_overflow 0
		.amdhsa_exception_fp_ieee_underflow 0
		.amdhsa_exception_fp_ieee_inexact 0
		.amdhsa_exception_int_div_zero 0
	.end_amdhsa_kernel
	.section	.text._ZN7rocprim17ROCPRIM_400000_NS6detail17trampoline_kernelINS0_14default_configENS1_20scan_config_selectorIiEEZZNS1_9scan_implILNS1_25lookback_scan_determinismE0ELb0ELb0ES3_N6thrust23THRUST_200600_302600_NS6detail15normal_iteratorINS9_10device_ptrIiEEEESE_i19const_ref_plus_mod3IiEiEEDaPvRmT3_T4_T5_mT6_P12ihipStream_tbENKUlT_T0_E_clISt17integral_constantIbLb0EESU_EEDaSP_SQ_EUlSP_E_NS1_11comp_targetILNS1_3genE4ELNS1_11target_archE910ELNS1_3gpuE8ELNS1_3repE0EEENS1_30default_config_static_selectorELNS0_4arch9wavefront6targetE1EEEvT1_,"axG",@progbits,_ZN7rocprim17ROCPRIM_400000_NS6detail17trampoline_kernelINS0_14default_configENS1_20scan_config_selectorIiEEZZNS1_9scan_implILNS1_25lookback_scan_determinismE0ELb0ELb0ES3_N6thrust23THRUST_200600_302600_NS6detail15normal_iteratorINS9_10device_ptrIiEEEESE_i19const_ref_plus_mod3IiEiEEDaPvRmT3_T4_T5_mT6_P12ihipStream_tbENKUlT_T0_E_clISt17integral_constantIbLb0EESU_EEDaSP_SQ_EUlSP_E_NS1_11comp_targetILNS1_3genE4ELNS1_11target_archE910ELNS1_3gpuE8ELNS1_3repE0EEENS1_30default_config_static_selectorELNS0_4arch9wavefront6targetE1EEEvT1_,comdat
.Lfunc_end6982:
	.size	_ZN7rocprim17ROCPRIM_400000_NS6detail17trampoline_kernelINS0_14default_configENS1_20scan_config_selectorIiEEZZNS1_9scan_implILNS1_25lookback_scan_determinismE0ELb0ELb0ES3_N6thrust23THRUST_200600_302600_NS6detail15normal_iteratorINS9_10device_ptrIiEEEESE_i19const_ref_plus_mod3IiEiEEDaPvRmT3_T4_T5_mT6_P12ihipStream_tbENKUlT_T0_E_clISt17integral_constantIbLb0EESU_EEDaSP_SQ_EUlSP_E_NS1_11comp_targetILNS1_3genE4ELNS1_11target_archE910ELNS1_3gpuE8ELNS1_3repE0EEENS1_30default_config_static_selectorELNS0_4arch9wavefront6targetE1EEEvT1_, .Lfunc_end6982-_ZN7rocprim17ROCPRIM_400000_NS6detail17trampoline_kernelINS0_14default_configENS1_20scan_config_selectorIiEEZZNS1_9scan_implILNS1_25lookback_scan_determinismE0ELb0ELb0ES3_N6thrust23THRUST_200600_302600_NS6detail15normal_iteratorINS9_10device_ptrIiEEEESE_i19const_ref_plus_mod3IiEiEEDaPvRmT3_T4_T5_mT6_P12ihipStream_tbENKUlT_T0_E_clISt17integral_constantIbLb0EESU_EEDaSP_SQ_EUlSP_E_NS1_11comp_targetILNS1_3genE4ELNS1_11target_archE910ELNS1_3gpuE8ELNS1_3repE0EEENS1_30default_config_static_selectorELNS0_4arch9wavefront6targetE1EEEvT1_
                                        ; -- End function
	.section	.AMDGPU.csdata,"",@progbits
; Kernel info:
; codeLenInByte = 7528
; NumSgprs: 44
; NumVgprs: 42
; NumAgprs: 0
; TotalNumVgprs: 42
; ScratchSize: 0
; MemoryBound: 0
; FloatMode: 240
; IeeeMode: 1
; LDSByteSize: 5120 bytes/workgroup (compile time only)
; SGPRBlocks: 5
; VGPRBlocks: 5
; NumSGPRsForWavesPerEU: 44
; NumVGPRsForWavesPerEU: 42
; AccumOffset: 44
; Occupancy: 6
; WaveLimiterHint : 1
; COMPUTE_PGM_RSRC2:SCRATCH_EN: 0
; COMPUTE_PGM_RSRC2:USER_SGPR: 6
; COMPUTE_PGM_RSRC2:TRAP_HANDLER: 0
; COMPUTE_PGM_RSRC2:TGID_X_EN: 1
; COMPUTE_PGM_RSRC2:TGID_Y_EN: 0
; COMPUTE_PGM_RSRC2:TGID_Z_EN: 0
; COMPUTE_PGM_RSRC2:TIDIG_COMP_CNT: 0
; COMPUTE_PGM_RSRC3_GFX90A:ACCUM_OFFSET: 10
; COMPUTE_PGM_RSRC3_GFX90A:TG_SPLIT: 0
	.section	.text._ZN7rocprim17ROCPRIM_400000_NS6detail17trampoline_kernelINS0_14default_configENS1_20scan_config_selectorIiEEZZNS1_9scan_implILNS1_25lookback_scan_determinismE0ELb0ELb0ES3_N6thrust23THRUST_200600_302600_NS6detail15normal_iteratorINS9_10device_ptrIiEEEESE_i19const_ref_plus_mod3IiEiEEDaPvRmT3_T4_T5_mT6_P12ihipStream_tbENKUlT_T0_E_clISt17integral_constantIbLb0EESU_EEDaSP_SQ_EUlSP_E_NS1_11comp_targetILNS1_3genE3ELNS1_11target_archE908ELNS1_3gpuE7ELNS1_3repE0EEENS1_30default_config_static_selectorELNS0_4arch9wavefront6targetE1EEEvT1_,"axG",@progbits,_ZN7rocprim17ROCPRIM_400000_NS6detail17trampoline_kernelINS0_14default_configENS1_20scan_config_selectorIiEEZZNS1_9scan_implILNS1_25lookback_scan_determinismE0ELb0ELb0ES3_N6thrust23THRUST_200600_302600_NS6detail15normal_iteratorINS9_10device_ptrIiEEEESE_i19const_ref_plus_mod3IiEiEEDaPvRmT3_T4_T5_mT6_P12ihipStream_tbENKUlT_T0_E_clISt17integral_constantIbLb0EESU_EEDaSP_SQ_EUlSP_E_NS1_11comp_targetILNS1_3genE3ELNS1_11target_archE908ELNS1_3gpuE7ELNS1_3repE0EEENS1_30default_config_static_selectorELNS0_4arch9wavefront6targetE1EEEvT1_,comdat
	.protected	_ZN7rocprim17ROCPRIM_400000_NS6detail17trampoline_kernelINS0_14default_configENS1_20scan_config_selectorIiEEZZNS1_9scan_implILNS1_25lookback_scan_determinismE0ELb0ELb0ES3_N6thrust23THRUST_200600_302600_NS6detail15normal_iteratorINS9_10device_ptrIiEEEESE_i19const_ref_plus_mod3IiEiEEDaPvRmT3_T4_T5_mT6_P12ihipStream_tbENKUlT_T0_E_clISt17integral_constantIbLb0EESU_EEDaSP_SQ_EUlSP_E_NS1_11comp_targetILNS1_3genE3ELNS1_11target_archE908ELNS1_3gpuE7ELNS1_3repE0EEENS1_30default_config_static_selectorELNS0_4arch9wavefront6targetE1EEEvT1_ ; -- Begin function _ZN7rocprim17ROCPRIM_400000_NS6detail17trampoline_kernelINS0_14default_configENS1_20scan_config_selectorIiEEZZNS1_9scan_implILNS1_25lookback_scan_determinismE0ELb0ELb0ES3_N6thrust23THRUST_200600_302600_NS6detail15normal_iteratorINS9_10device_ptrIiEEEESE_i19const_ref_plus_mod3IiEiEEDaPvRmT3_T4_T5_mT6_P12ihipStream_tbENKUlT_T0_E_clISt17integral_constantIbLb0EESU_EEDaSP_SQ_EUlSP_E_NS1_11comp_targetILNS1_3genE3ELNS1_11target_archE908ELNS1_3gpuE7ELNS1_3repE0EEENS1_30default_config_static_selectorELNS0_4arch9wavefront6targetE1EEEvT1_
	.globl	_ZN7rocprim17ROCPRIM_400000_NS6detail17trampoline_kernelINS0_14default_configENS1_20scan_config_selectorIiEEZZNS1_9scan_implILNS1_25lookback_scan_determinismE0ELb0ELb0ES3_N6thrust23THRUST_200600_302600_NS6detail15normal_iteratorINS9_10device_ptrIiEEEESE_i19const_ref_plus_mod3IiEiEEDaPvRmT3_T4_T5_mT6_P12ihipStream_tbENKUlT_T0_E_clISt17integral_constantIbLb0EESU_EEDaSP_SQ_EUlSP_E_NS1_11comp_targetILNS1_3genE3ELNS1_11target_archE908ELNS1_3gpuE7ELNS1_3repE0EEENS1_30default_config_static_selectorELNS0_4arch9wavefront6targetE1EEEvT1_
	.p2align	8
	.type	_ZN7rocprim17ROCPRIM_400000_NS6detail17trampoline_kernelINS0_14default_configENS1_20scan_config_selectorIiEEZZNS1_9scan_implILNS1_25lookback_scan_determinismE0ELb0ELb0ES3_N6thrust23THRUST_200600_302600_NS6detail15normal_iteratorINS9_10device_ptrIiEEEESE_i19const_ref_plus_mod3IiEiEEDaPvRmT3_T4_T5_mT6_P12ihipStream_tbENKUlT_T0_E_clISt17integral_constantIbLb0EESU_EEDaSP_SQ_EUlSP_E_NS1_11comp_targetILNS1_3genE3ELNS1_11target_archE908ELNS1_3gpuE7ELNS1_3repE0EEENS1_30default_config_static_selectorELNS0_4arch9wavefront6targetE1EEEvT1_,@function
_ZN7rocprim17ROCPRIM_400000_NS6detail17trampoline_kernelINS0_14default_configENS1_20scan_config_selectorIiEEZZNS1_9scan_implILNS1_25lookback_scan_determinismE0ELb0ELb0ES3_N6thrust23THRUST_200600_302600_NS6detail15normal_iteratorINS9_10device_ptrIiEEEESE_i19const_ref_plus_mod3IiEiEEDaPvRmT3_T4_T5_mT6_P12ihipStream_tbENKUlT_T0_E_clISt17integral_constantIbLb0EESU_EEDaSP_SQ_EUlSP_E_NS1_11comp_targetILNS1_3genE3ELNS1_11target_archE908ELNS1_3gpuE7ELNS1_3repE0EEENS1_30default_config_static_selectorELNS0_4arch9wavefront6targetE1EEEvT1_: ; @_ZN7rocprim17ROCPRIM_400000_NS6detail17trampoline_kernelINS0_14default_configENS1_20scan_config_selectorIiEEZZNS1_9scan_implILNS1_25lookback_scan_determinismE0ELb0ELb0ES3_N6thrust23THRUST_200600_302600_NS6detail15normal_iteratorINS9_10device_ptrIiEEEESE_i19const_ref_plus_mod3IiEiEEDaPvRmT3_T4_T5_mT6_P12ihipStream_tbENKUlT_T0_E_clISt17integral_constantIbLb0EESU_EEDaSP_SQ_EUlSP_E_NS1_11comp_targetILNS1_3genE3ELNS1_11target_archE908ELNS1_3gpuE7ELNS1_3repE0EEENS1_30default_config_static_selectorELNS0_4arch9wavefront6targetE1EEEvT1_
; %bb.0:
	.section	.rodata,"a",@progbits
	.p2align	6, 0x0
	.amdhsa_kernel _ZN7rocprim17ROCPRIM_400000_NS6detail17trampoline_kernelINS0_14default_configENS1_20scan_config_selectorIiEEZZNS1_9scan_implILNS1_25lookback_scan_determinismE0ELb0ELb0ES3_N6thrust23THRUST_200600_302600_NS6detail15normal_iteratorINS9_10device_ptrIiEEEESE_i19const_ref_plus_mod3IiEiEEDaPvRmT3_T4_T5_mT6_P12ihipStream_tbENKUlT_T0_E_clISt17integral_constantIbLb0EESU_EEDaSP_SQ_EUlSP_E_NS1_11comp_targetILNS1_3genE3ELNS1_11target_archE908ELNS1_3gpuE7ELNS1_3repE0EEENS1_30default_config_static_selectorELNS0_4arch9wavefront6targetE1EEEvT1_
		.amdhsa_group_segment_fixed_size 0
		.amdhsa_private_segment_fixed_size 0
		.amdhsa_kernarg_size 104
		.amdhsa_user_sgpr_count 6
		.amdhsa_user_sgpr_private_segment_buffer 1
		.amdhsa_user_sgpr_dispatch_ptr 0
		.amdhsa_user_sgpr_queue_ptr 0
		.amdhsa_user_sgpr_kernarg_segment_ptr 1
		.amdhsa_user_sgpr_dispatch_id 0
		.amdhsa_user_sgpr_flat_scratch_init 0
		.amdhsa_user_sgpr_kernarg_preload_length 0
		.amdhsa_user_sgpr_kernarg_preload_offset 0
		.amdhsa_user_sgpr_private_segment_size 0
		.amdhsa_uses_dynamic_stack 0
		.amdhsa_system_sgpr_private_segment_wavefront_offset 0
		.amdhsa_system_sgpr_workgroup_id_x 1
		.amdhsa_system_sgpr_workgroup_id_y 0
		.amdhsa_system_sgpr_workgroup_id_z 0
		.amdhsa_system_sgpr_workgroup_info 0
		.amdhsa_system_vgpr_workitem_id 0
		.amdhsa_next_free_vgpr 1
		.amdhsa_next_free_sgpr 0
		.amdhsa_accum_offset 4
		.amdhsa_reserve_vcc 0
		.amdhsa_reserve_flat_scratch 0
		.amdhsa_float_round_mode_32 0
		.amdhsa_float_round_mode_16_64 0
		.amdhsa_float_denorm_mode_32 3
		.amdhsa_float_denorm_mode_16_64 3
		.amdhsa_dx10_clamp 1
		.amdhsa_ieee_mode 1
		.amdhsa_fp16_overflow 0
		.amdhsa_tg_split 0
		.amdhsa_exception_fp_ieee_invalid_op 0
		.amdhsa_exception_fp_denorm_src 0
		.amdhsa_exception_fp_ieee_div_zero 0
		.amdhsa_exception_fp_ieee_overflow 0
		.amdhsa_exception_fp_ieee_underflow 0
		.amdhsa_exception_fp_ieee_inexact 0
		.amdhsa_exception_int_div_zero 0
	.end_amdhsa_kernel
	.section	.text._ZN7rocprim17ROCPRIM_400000_NS6detail17trampoline_kernelINS0_14default_configENS1_20scan_config_selectorIiEEZZNS1_9scan_implILNS1_25lookback_scan_determinismE0ELb0ELb0ES3_N6thrust23THRUST_200600_302600_NS6detail15normal_iteratorINS9_10device_ptrIiEEEESE_i19const_ref_plus_mod3IiEiEEDaPvRmT3_T4_T5_mT6_P12ihipStream_tbENKUlT_T0_E_clISt17integral_constantIbLb0EESU_EEDaSP_SQ_EUlSP_E_NS1_11comp_targetILNS1_3genE3ELNS1_11target_archE908ELNS1_3gpuE7ELNS1_3repE0EEENS1_30default_config_static_selectorELNS0_4arch9wavefront6targetE1EEEvT1_,"axG",@progbits,_ZN7rocprim17ROCPRIM_400000_NS6detail17trampoline_kernelINS0_14default_configENS1_20scan_config_selectorIiEEZZNS1_9scan_implILNS1_25lookback_scan_determinismE0ELb0ELb0ES3_N6thrust23THRUST_200600_302600_NS6detail15normal_iteratorINS9_10device_ptrIiEEEESE_i19const_ref_plus_mod3IiEiEEDaPvRmT3_T4_T5_mT6_P12ihipStream_tbENKUlT_T0_E_clISt17integral_constantIbLb0EESU_EEDaSP_SQ_EUlSP_E_NS1_11comp_targetILNS1_3genE3ELNS1_11target_archE908ELNS1_3gpuE7ELNS1_3repE0EEENS1_30default_config_static_selectorELNS0_4arch9wavefront6targetE1EEEvT1_,comdat
.Lfunc_end6983:
	.size	_ZN7rocprim17ROCPRIM_400000_NS6detail17trampoline_kernelINS0_14default_configENS1_20scan_config_selectorIiEEZZNS1_9scan_implILNS1_25lookback_scan_determinismE0ELb0ELb0ES3_N6thrust23THRUST_200600_302600_NS6detail15normal_iteratorINS9_10device_ptrIiEEEESE_i19const_ref_plus_mod3IiEiEEDaPvRmT3_T4_T5_mT6_P12ihipStream_tbENKUlT_T0_E_clISt17integral_constantIbLb0EESU_EEDaSP_SQ_EUlSP_E_NS1_11comp_targetILNS1_3genE3ELNS1_11target_archE908ELNS1_3gpuE7ELNS1_3repE0EEENS1_30default_config_static_selectorELNS0_4arch9wavefront6targetE1EEEvT1_, .Lfunc_end6983-_ZN7rocprim17ROCPRIM_400000_NS6detail17trampoline_kernelINS0_14default_configENS1_20scan_config_selectorIiEEZZNS1_9scan_implILNS1_25lookback_scan_determinismE0ELb0ELb0ES3_N6thrust23THRUST_200600_302600_NS6detail15normal_iteratorINS9_10device_ptrIiEEEESE_i19const_ref_plus_mod3IiEiEEDaPvRmT3_T4_T5_mT6_P12ihipStream_tbENKUlT_T0_E_clISt17integral_constantIbLb0EESU_EEDaSP_SQ_EUlSP_E_NS1_11comp_targetILNS1_3genE3ELNS1_11target_archE908ELNS1_3gpuE7ELNS1_3repE0EEENS1_30default_config_static_selectorELNS0_4arch9wavefront6targetE1EEEvT1_
                                        ; -- End function
	.section	.AMDGPU.csdata,"",@progbits
; Kernel info:
; codeLenInByte = 0
; NumSgprs: 4
; NumVgprs: 0
; NumAgprs: 0
; TotalNumVgprs: 0
; ScratchSize: 0
; MemoryBound: 0
; FloatMode: 240
; IeeeMode: 1
; LDSByteSize: 0 bytes/workgroup (compile time only)
; SGPRBlocks: 0
; VGPRBlocks: 0
; NumSGPRsForWavesPerEU: 4
; NumVGPRsForWavesPerEU: 1
; AccumOffset: 4
; Occupancy: 8
; WaveLimiterHint : 0
; COMPUTE_PGM_RSRC2:SCRATCH_EN: 0
; COMPUTE_PGM_RSRC2:USER_SGPR: 6
; COMPUTE_PGM_RSRC2:TRAP_HANDLER: 0
; COMPUTE_PGM_RSRC2:TGID_X_EN: 1
; COMPUTE_PGM_RSRC2:TGID_Y_EN: 0
; COMPUTE_PGM_RSRC2:TGID_Z_EN: 0
; COMPUTE_PGM_RSRC2:TIDIG_COMP_CNT: 0
; COMPUTE_PGM_RSRC3_GFX90A:ACCUM_OFFSET: 0
; COMPUTE_PGM_RSRC3_GFX90A:TG_SPLIT: 0
	.section	.text._ZN7rocprim17ROCPRIM_400000_NS6detail17trampoline_kernelINS0_14default_configENS1_20scan_config_selectorIiEEZZNS1_9scan_implILNS1_25lookback_scan_determinismE0ELb0ELb0ES3_N6thrust23THRUST_200600_302600_NS6detail15normal_iteratorINS9_10device_ptrIiEEEESE_i19const_ref_plus_mod3IiEiEEDaPvRmT3_T4_T5_mT6_P12ihipStream_tbENKUlT_T0_E_clISt17integral_constantIbLb0EESU_EEDaSP_SQ_EUlSP_E_NS1_11comp_targetILNS1_3genE2ELNS1_11target_archE906ELNS1_3gpuE6ELNS1_3repE0EEENS1_30default_config_static_selectorELNS0_4arch9wavefront6targetE1EEEvT1_,"axG",@progbits,_ZN7rocprim17ROCPRIM_400000_NS6detail17trampoline_kernelINS0_14default_configENS1_20scan_config_selectorIiEEZZNS1_9scan_implILNS1_25lookback_scan_determinismE0ELb0ELb0ES3_N6thrust23THRUST_200600_302600_NS6detail15normal_iteratorINS9_10device_ptrIiEEEESE_i19const_ref_plus_mod3IiEiEEDaPvRmT3_T4_T5_mT6_P12ihipStream_tbENKUlT_T0_E_clISt17integral_constantIbLb0EESU_EEDaSP_SQ_EUlSP_E_NS1_11comp_targetILNS1_3genE2ELNS1_11target_archE906ELNS1_3gpuE6ELNS1_3repE0EEENS1_30default_config_static_selectorELNS0_4arch9wavefront6targetE1EEEvT1_,comdat
	.protected	_ZN7rocprim17ROCPRIM_400000_NS6detail17trampoline_kernelINS0_14default_configENS1_20scan_config_selectorIiEEZZNS1_9scan_implILNS1_25lookback_scan_determinismE0ELb0ELb0ES3_N6thrust23THRUST_200600_302600_NS6detail15normal_iteratorINS9_10device_ptrIiEEEESE_i19const_ref_plus_mod3IiEiEEDaPvRmT3_T4_T5_mT6_P12ihipStream_tbENKUlT_T0_E_clISt17integral_constantIbLb0EESU_EEDaSP_SQ_EUlSP_E_NS1_11comp_targetILNS1_3genE2ELNS1_11target_archE906ELNS1_3gpuE6ELNS1_3repE0EEENS1_30default_config_static_selectorELNS0_4arch9wavefront6targetE1EEEvT1_ ; -- Begin function _ZN7rocprim17ROCPRIM_400000_NS6detail17trampoline_kernelINS0_14default_configENS1_20scan_config_selectorIiEEZZNS1_9scan_implILNS1_25lookback_scan_determinismE0ELb0ELb0ES3_N6thrust23THRUST_200600_302600_NS6detail15normal_iteratorINS9_10device_ptrIiEEEESE_i19const_ref_plus_mod3IiEiEEDaPvRmT3_T4_T5_mT6_P12ihipStream_tbENKUlT_T0_E_clISt17integral_constantIbLb0EESU_EEDaSP_SQ_EUlSP_E_NS1_11comp_targetILNS1_3genE2ELNS1_11target_archE906ELNS1_3gpuE6ELNS1_3repE0EEENS1_30default_config_static_selectorELNS0_4arch9wavefront6targetE1EEEvT1_
	.globl	_ZN7rocprim17ROCPRIM_400000_NS6detail17trampoline_kernelINS0_14default_configENS1_20scan_config_selectorIiEEZZNS1_9scan_implILNS1_25lookback_scan_determinismE0ELb0ELb0ES3_N6thrust23THRUST_200600_302600_NS6detail15normal_iteratorINS9_10device_ptrIiEEEESE_i19const_ref_plus_mod3IiEiEEDaPvRmT3_T4_T5_mT6_P12ihipStream_tbENKUlT_T0_E_clISt17integral_constantIbLb0EESU_EEDaSP_SQ_EUlSP_E_NS1_11comp_targetILNS1_3genE2ELNS1_11target_archE906ELNS1_3gpuE6ELNS1_3repE0EEENS1_30default_config_static_selectorELNS0_4arch9wavefront6targetE1EEEvT1_
	.p2align	8
	.type	_ZN7rocprim17ROCPRIM_400000_NS6detail17trampoline_kernelINS0_14default_configENS1_20scan_config_selectorIiEEZZNS1_9scan_implILNS1_25lookback_scan_determinismE0ELb0ELb0ES3_N6thrust23THRUST_200600_302600_NS6detail15normal_iteratorINS9_10device_ptrIiEEEESE_i19const_ref_plus_mod3IiEiEEDaPvRmT3_T4_T5_mT6_P12ihipStream_tbENKUlT_T0_E_clISt17integral_constantIbLb0EESU_EEDaSP_SQ_EUlSP_E_NS1_11comp_targetILNS1_3genE2ELNS1_11target_archE906ELNS1_3gpuE6ELNS1_3repE0EEENS1_30default_config_static_selectorELNS0_4arch9wavefront6targetE1EEEvT1_,@function
_ZN7rocprim17ROCPRIM_400000_NS6detail17trampoline_kernelINS0_14default_configENS1_20scan_config_selectorIiEEZZNS1_9scan_implILNS1_25lookback_scan_determinismE0ELb0ELb0ES3_N6thrust23THRUST_200600_302600_NS6detail15normal_iteratorINS9_10device_ptrIiEEEESE_i19const_ref_plus_mod3IiEiEEDaPvRmT3_T4_T5_mT6_P12ihipStream_tbENKUlT_T0_E_clISt17integral_constantIbLb0EESU_EEDaSP_SQ_EUlSP_E_NS1_11comp_targetILNS1_3genE2ELNS1_11target_archE906ELNS1_3gpuE6ELNS1_3repE0EEENS1_30default_config_static_selectorELNS0_4arch9wavefront6targetE1EEEvT1_: ; @_ZN7rocprim17ROCPRIM_400000_NS6detail17trampoline_kernelINS0_14default_configENS1_20scan_config_selectorIiEEZZNS1_9scan_implILNS1_25lookback_scan_determinismE0ELb0ELb0ES3_N6thrust23THRUST_200600_302600_NS6detail15normal_iteratorINS9_10device_ptrIiEEEESE_i19const_ref_plus_mod3IiEiEEDaPvRmT3_T4_T5_mT6_P12ihipStream_tbENKUlT_T0_E_clISt17integral_constantIbLb0EESU_EEDaSP_SQ_EUlSP_E_NS1_11comp_targetILNS1_3genE2ELNS1_11target_archE906ELNS1_3gpuE6ELNS1_3repE0EEENS1_30default_config_static_selectorELNS0_4arch9wavefront6targetE1EEEvT1_
; %bb.0:
	.section	.rodata,"a",@progbits
	.p2align	6, 0x0
	.amdhsa_kernel _ZN7rocprim17ROCPRIM_400000_NS6detail17trampoline_kernelINS0_14default_configENS1_20scan_config_selectorIiEEZZNS1_9scan_implILNS1_25lookback_scan_determinismE0ELb0ELb0ES3_N6thrust23THRUST_200600_302600_NS6detail15normal_iteratorINS9_10device_ptrIiEEEESE_i19const_ref_plus_mod3IiEiEEDaPvRmT3_T4_T5_mT6_P12ihipStream_tbENKUlT_T0_E_clISt17integral_constantIbLb0EESU_EEDaSP_SQ_EUlSP_E_NS1_11comp_targetILNS1_3genE2ELNS1_11target_archE906ELNS1_3gpuE6ELNS1_3repE0EEENS1_30default_config_static_selectorELNS0_4arch9wavefront6targetE1EEEvT1_
		.amdhsa_group_segment_fixed_size 0
		.amdhsa_private_segment_fixed_size 0
		.amdhsa_kernarg_size 104
		.amdhsa_user_sgpr_count 6
		.amdhsa_user_sgpr_private_segment_buffer 1
		.amdhsa_user_sgpr_dispatch_ptr 0
		.amdhsa_user_sgpr_queue_ptr 0
		.amdhsa_user_sgpr_kernarg_segment_ptr 1
		.amdhsa_user_sgpr_dispatch_id 0
		.amdhsa_user_sgpr_flat_scratch_init 0
		.amdhsa_user_sgpr_kernarg_preload_length 0
		.amdhsa_user_sgpr_kernarg_preload_offset 0
		.amdhsa_user_sgpr_private_segment_size 0
		.amdhsa_uses_dynamic_stack 0
		.amdhsa_system_sgpr_private_segment_wavefront_offset 0
		.amdhsa_system_sgpr_workgroup_id_x 1
		.amdhsa_system_sgpr_workgroup_id_y 0
		.amdhsa_system_sgpr_workgroup_id_z 0
		.amdhsa_system_sgpr_workgroup_info 0
		.amdhsa_system_vgpr_workitem_id 0
		.amdhsa_next_free_vgpr 1
		.amdhsa_next_free_sgpr 0
		.amdhsa_accum_offset 4
		.amdhsa_reserve_vcc 0
		.amdhsa_reserve_flat_scratch 0
		.amdhsa_float_round_mode_32 0
		.amdhsa_float_round_mode_16_64 0
		.amdhsa_float_denorm_mode_32 3
		.amdhsa_float_denorm_mode_16_64 3
		.amdhsa_dx10_clamp 1
		.amdhsa_ieee_mode 1
		.amdhsa_fp16_overflow 0
		.amdhsa_tg_split 0
		.amdhsa_exception_fp_ieee_invalid_op 0
		.amdhsa_exception_fp_denorm_src 0
		.amdhsa_exception_fp_ieee_div_zero 0
		.amdhsa_exception_fp_ieee_overflow 0
		.amdhsa_exception_fp_ieee_underflow 0
		.amdhsa_exception_fp_ieee_inexact 0
		.amdhsa_exception_int_div_zero 0
	.end_amdhsa_kernel
	.section	.text._ZN7rocprim17ROCPRIM_400000_NS6detail17trampoline_kernelINS0_14default_configENS1_20scan_config_selectorIiEEZZNS1_9scan_implILNS1_25lookback_scan_determinismE0ELb0ELb0ES3_N6thrust23THRUST_200600_302600_NS6detail15normal_iteratorINS9_10device_ptrIiEEEESE_i19const_ref_plus_mod3IiEiEEDaPvRmT3_T4_T5_mT6_P12ihipStream_tbENKUlT_T0_E_clISt17integral_constantIbLb0EESU_EEDaSP_SQ_EUlSP_E_NS1_11comp_targetILNS1_3genE2ELNS1_11target_archE906ELNS1_3gpuE6ELNS1_3repE0EEENS1_30default_config_static_selectorELNS0_4arch9wavefront6targetE1EEEvT1_,"axG",@progbits,_ZN7rocprim17ROCPRIM_400000_NS6detail17trampoline_kernelINS0_14default_configENS1_20scan_config_selectorIiEEZZNS1_9scan_implILNS1_25lookback_scan_determinismE0ELb0ELb0ES3_N6thrust23THRUST_200600_302600_NS6detail15normal_iteratorINS9_10device_ptrIiEEEESE_i19const_ref_plus_mod3IiEiEEDaPvRmT3_T4_T5_mT6_P12ihipStream_tbENKUlT_T0_E_clISt17integral_constantIbLb0EESU_EEDaSP_SQ_EUlSP_E_NS1_11comp_targetILNS1_3genE2ELNS1_11target_archE906ELNS1_3gpuE6ELNS1_3repE0EEENS1_30default_config_static_selectorELNS0_4arch9wavefront6targetE1EEEvT1_,comdat
.Lfunc_end6984:
	.size	_ZN7rocprim17ROCPRIM_400000_NS6detail17trampoline_kernelINS0_14default_configENS1_20scan_config_selectorIiEEZZNS1_9scan_implILNS1_25lookback_scan_determinismE0ELb0ELb0ES3_N6thrust23THRUST_200600_302600_NS6detail15normal_iteratorINS9_10device_ptrIiEEEESE_i19const_ref_plus_mod3IiEiEEDaPvRmT3_T4_T5_mT6_P12ihipStream_tbENKUlT_T0_E_clISt17integral_constantIbLb0EESU_EEDaSP_SQ_EUlSP_E_NS1_11comp_targetILNS1_3genE2ELNS1_11target_archE906ELNS1_3gpuE6ELNS1_3repE0EEENS1_30default_config_static_selectorELNS0_4arch9wavefront6targetE1EEEvT1_, .Lfunc_end6984-_ZN7rocprim17ROCPRIM_400000_NS6detail17trampoline_kernelINS0_14default_configENS1_20scan_config_selectorIiEEZZNS1_9scan_implILNS1_25lookback_scan_determinismE0ELb0ELb0ES3_N6thrust23THRUST_200600_302600_NS6detail15normal_iteratorINS9_10device_ptrIiEEEESE_i19const_ref_plus_mod3IiEiEEDaPvRmT3_T4_T5_mT6_P12ihipStream_tbENKUlT_T0_E_clISt17integral_constantIbLb0EESU_EEDaSP_SQ_EUlSP_E_NS1_11comp_targetILNS1_3genE2ELNS1_11target_archE906ELNS1_3gpuE6ELNS1_3repE0EEENS1_30default_config_static_selectorELNS0_4arch9wavefront6targetE1EEEvT1_
                                        ; -- End function
	.section	.AMDGPU.csdata,"",@progbits
; Kernel info:
; codeLenInByte = 0
; NumSgprs: 4
; NumVgprs: 0
; NumAgprs: 0
; TotalNumVgprs: 0
; ScratchSize: 0
; MemoryBound: 0
; FloatMode: 240
; IeeeMode: 1
; LDSByteSize: 0 bytes/workgroup (compile time only)
; SGPRBlocks: 0
; VGPRBlocks: 0
; NumSGPRsForWavesPerEU: 4
; NumVGPRsForWavesPerEU: 1
; AccumOffset: 4
; Occupancy: 8
; WaveLimiterHint : 0
; COMPUTE_PGM_RSRC2:SCRATCH_EN: 0
; COMPUTE_PGM_RSRC2:USER_SGPR: 6
; COMPUTE_PGM_RSRC2:TRAP_HANDLER: 0
; COMPUTE_PGM_RSRC2:TGID_X_EN: 1
; COMPUTE_PGM_RSRC2:TGID_Y_EN: 0
; COMPUTE_PGM_RSRC2:TGID_Z_EN: 0
; COMPUTE_PGM_RSRC2:TIDIG_COMP_CNT: 0
; COMPUTE_PGM_RSRC3_GFX90A:ACCUM_OFFSET: 0
; COMPUTE_PGM_RSRC3_GFX90A:TG_SPLIT: 0
	.section	.text._ZN7rocprim17ROCPRIM_400000_NS6detail17trampoline_kernelINS0_14default_configENS1_20scan_config_selectorIiEEZZNS1_9scan_implILNS1_25lookback_scan_determinismE0ELb0ELb0ES3_N6thrust23THRUST_200600_302600_NS6detail15normal_iteratorINS9_10device_ptrIiEEEESE_i19const_ref_plus_mod3IiEiEEDaPvRmT3_T4_T5_mT6_P12ihipStream_tbENKUlT_T0_E_clISt17integral_constantIbLb0EESU_EEDaSP_SQ_EUlSP_E_NS1_11comp_targetILNS1_3genE10ELNS1_11target_archE1201ELNS1_3gpuE5ELNS1_3repE0EEENS1_30default_config_static_selectorELNS0_4arch9wavefront6targetE1EEEvT1_,"axG",@progbits,_ZN7rocprim17ROCPRIM_400000_NS6detail17trampoline_kernelINS0_14default_configENS1_20scan_config_selectorIiEEZZNS1_9scan_implILNS1_25lookback_scan_determinismE0ELb0ELb0ES3_N6thrust23THRUST_200600_302600_NS6detail15normal_iteratorINS9_10device_ptrIiEEEESE_i19const_ref_plus_mod3IiEiEEDaPvRmT3_T4_T5_mT6_P12ihipStream_tbENKUlT_T0_E_clISt17integral_constantIbLb0EESU_EEDaSP_SQ_EUlSP_E_NS1_11comp_targetILNS1_3genE10ELNS1_11target_archE1201ELNS1_3gpuE5ELNS1_3repE0EEENS1_30default_config_static_selectorELNS0_4arch9wavefront6targetE1EEEvT1_,comdat
	.protected	_ZN7rocprim17ROCPRIM_400000_NS6detail17trampoline_kernelINS0_14default_configENS1_20scan_config_selectorIiEEZZNS1_9scan_implILNS1_25lookback_scan_determinismE0ELb0ELb0ES3_N6thrust23THRUST_200600_302600_NS6detail15normal_iteratorINS9_10device_ptrIiEEEESE_i19const_ref_plus_mod3IiEiEEDaPvRmT3_T4_T5_mT6_P12ihipStream_tbENKUlT_T0_E_clISt17integral_constantIbLb0EESU_EEDaSP_SQ_EUlSP_E_NS1_11comp_targetILNS1_3genE10ELNS1_11target_archE1201ELNS1_3gpuE5ELNS1_3repE0EEENS1_30default_config_static_selectorELNS0_4arch9wavefront6targetE1EEEvT1_ ; -- Begin function _ZN7rocprim17ROCPRIM_400000_NS6detail17trampoline_kernelINS0_14default_configENS1_20scan_config_selectorIiEEZZNS1_9scan_implILNS1_25lookback_scan_determinismE0ELb0ELb0ES3_N6thrust23THRUST_200600_302600_NS6detail15normal_iteratorINS9_10device_ptrIiEEEESE_i19const_ref_plus_mod3IiEiEEDaPvRmT3_T4_T5_mT6_P12ihipStream_tbENKUlT_T0_E_clISt17integral_constantIbLb0EESU_EEDaSP_SQ_EUlSP_E_NS1_11comp_targetILNS1_3genE10ELNS1_11target_archE1201ELNS1_3gpuE5ELNS1_3repE0EEENS1_30default_config_static_selectorELNS0_4arch9wavefront6targetE1EEEvT1_
	.globl	_ZN7rocprim17ROCPRIM_400000_NS6detail17trampoline_kernelINS0_14default_configENS1_20scan_config_selectorIiEEZZNS1_9scan_implILNS1_25lookback_scan_determinismE0ELb0ELb0ES3_N6thrust23THRUST_200600_302600_NS6detail15normal_iteratorINS9_10device_ptrIiEEEESE_i19const_ref_plus_mod3IiEiEEDaPvRmT3_T4_T5_mT6_P12ihipStream_tbENKUlT_T0_E_clISt17integral_constantIbLb0EESU_EEDaSP_SQ_EUlSP_E_NS1_11comp_targetILNS1_3genE10ELNS1_11target_archE1201ELNS1_3gpuE5ELNS1_3repE0EEENS1_30default_config_static_selectorELNS0_4arch9wavefront6targetE1EEEvT1_
	.p2align	8
	.type	_ZN7rocprim17ROCPRIM_400000_NS6detail17trampoline_kernelINS0_14default_configENS1_20scan_config_selectorIiEEZZNS1_9scan_implILNS1_25lookback_scan_determinismE0ELb0ELb0ES3_N6thrust23THRUST_200600_302600_NS6detail15normal_iteratorINS9_10device_ptrIiEEEESE_i19const_ref_plus_mod3IiEiEEDaPvRmT3_T4_T5_mT6_P12ihipStream_tbENKUlT_T0_E_clISt17integral_constantIbLb0EESU_EEDaSP_SQ_EUlSP_E_NS1_11comp_targetILNS1_3genE10ELNS1_11target_archE1201ELNS1_3gpuE5ELNS1_3repE0EEENS1_30default_config_static_selectorELNS0_4arch9wavefront6targetE1EEEvT1_,@function
_ZN7rocprim17ROCPRIM_400000_NS6detail17trampoline_kernelINS0_14default_configENS1_20scan_config_selectorIiEEZZNS1_9scan_implILNS1_25lookback_scan_determinismE0ELb0ELb0ES3_N6thrust23THRUST_200600_302600_NS6detail15normal_iteratorINS9_10device_ptrIiEEEESE_i19const_ref_plus_mod3IiEiEEDaPvRmT3_T4_T5_mT6_P12ihipStream_tbENKUlT_T0_E_clISt17integral_constantIbLb0EESU_EEDaSP_SQ_EUlSP_E_NS1_11comp_targetILNS1_3genE10ELNS1_11target_archE1201ELNS1_3gpuE5ELNS1_3repE0EEENS1_30default_config_static_selectorELNS0_4arch9wavefront6targetE1EEEvT1_: ; @_ZN7rocprim17ROCPRIM_400000_NS6detail17trampoline_kernelINS0_14default_configENS1_20scan_config_selectorIiEEZZNS1_9scan_implILNS1_25lookback_scan_determinismE0ELb0ELb0ES3_N6thrust23THRUST_200600_302600_NS6detail15normal_iteratorINS9_10device_ptrIiEEEESE_i19const_ref_plus_mod3IiEiEEDaPvRmT3_T4_T5_mT6_P12ihipStream_tbENKUlT_T0_E_clISt17integral_constantIbLb0EESU_EEDaSP_SQ_EUlSP_E_NS1_11comp_targetILNS1_3genE10ELNS1_11target_archE1201ELNS1_3gpuE5ELNS1_3repE0EEENS1_30default_config_static_selectorELNS0_4arch9wavefront6targetE1EEEvT1_
; %bb.0:
	.section	.rodata,"a",@progbits
	.p2align	6, 0x0
	.amdhsa_kernel _ZN7rocprim17ROCPRIM_400000_NS6detail17trampoline_kernelINS0_14default_configENS1_20scan_config_selectorIiEEZZNS1_9scan_implILNS1_25lookback_scan_determinismE0ELb0ELb0ES3_N6thrust23THRUST_200600_302600_NS6detail15normal_iteratorINS9_10device_ptrIiEEEESE_i19const_ref_plus_mod3IiEiEEDaPvRmT3_T4_T5_mT6_P12ihipStream_tbENKUlT_T0_E_clISt17integral_constantIbLb0EESU_EEDaSP_SQ_EUlSP_E_NS1_11comp_targetILNS1_3genE10ELNS1_11target_archE1201ELNS1_3gpuE5ELNS1_3repE0EEENS1_30default_config_static_selectorELNS0_4arch9wavefront6targetE1EEEvT1_
		.amdhsa_group_segment_fixed_size 0
		.amdhsa_private_segment_fixed_size 0
		.amdhsa_kernarg_size 104
		.amdhsa_user_sgpr_count 6
		.amdhsa_user_sgpr_private_segment_buffer 1
		.amdhsa_user_sgpr_dispatch_ptr 0
		.amdhsa_user_sgpr_queue_ptr 0
		.amdhsa_user_sgpr_kernarg_segment_ptr 1
		.amdhsa_user_sgpr_dispatch_id 0
		.amdhsa_user_sgpr_flat_scratch_init 0
		.amdhsa_user_sgpr_kernarg_preload_length 0
		.amdhsa_user_sgpr_kernarg_preload_offset 0
		.amdhsa_user_sgpr_private_segment_size 0
		.amdhsa_uses_dynamic_stack 0
		.amdhsa_system_sgpr_private_segment_wavefront_offset 0
		.amdhsa_system_sgpr_workgroup_id_x 1
		.amdhsa_system_sgpr_workgroup_id_y 0
		.amdhsa_system_sgpr_workgroup_id_z 0
		.amdhsa_system_sgpr_workgroup_info 0
		.amdhsa_system_vgpr_workitem_id 0
		.amdhsa_next_free_vgpr 1
		.amdhsa_next_free_sgpr 0
		.amdhsa_accum_offset 4
		.amdhsa_reserve_vcc 0
		.amdhsa_reserve_flat_scratch 0
		.amdhsa_float_round_mode_32 0
		.amdhsa_float_round_mode_16_64 0
		.amdhsa_float_denorm_mode_32 3
		.amdhsa_float_denorm_mode_16_64 3
		.amdhsa_dx10_clamp 1
		.amdhsa_ieee_mode 1
		.amdhsa_fp16_overflow 0
		.amdhsa_tg_split 0
		.amdhsa_exception_fp_ieee_invalid_op 0
		.amdhsa_exception_fp_denorm_src 0
		.amdhsa_exception_fp_ieee_div_zero 0
		.amdhsa_exception_fp_ieee_overflow 0
		.amdhsa_exception_fp_ieee_underflow 0
		.amdhsa_exception_fp_ieee_inexact 0
		.amdhsa_exception_int_div_zero 0
	.end_amdhsa_kernel
	.section	.text._ZN7rocprim17ROCPRIM_400000_NS6detail17trampoline_kernelINS0_14default_configENS1_20scan_config_selectorIiEEZZNS1_9scan_implILNS1_25lookback_scan_determinismE0ELb0ELb0ES3_N6thrust23THRUST_200600_302600_NS6detail15normal_iteratorINS9_10device_ptrIiEEEESE_i19const_ref_plus_mod3IiEiEEDaPvRmT3_T4_T5_mT6_P12ihipStream_tbENKUlT_T0_E_clISt17integral_constantIbLb0EESU_EEDaSP_SQ_EUlSP_E_NS1_11comp_targetILNS1_3genE10ELNS1_11target_archE1201ELNS1_3gpuE5ELNS1_3repE0EEENS1_30default_config_static_selectorELNS0_4arch9wavefront6targetE1EEEvT1_,"axG",@progbits,_ZN7rocprim17ROCPRIM_400000_NS6detail17trampoline_kernelINS0_14default_configENS1_20scan_config_selectorIiEEZZNS1_9scan_implILNS1_25lookback_scan_determinismE0ELb0ELb0ES3_N6thrust23THRUST_200600_302600_NS6detail15normal_iteratorINS9_10device_ptrIiEEEESE_i19const_ref_plus_mod3IiEiEEDaPvRmT3_T4_T5_mT6_P12ihipStream_tbENKUlT_T0_E_clISt17integral_constantIbLb0EESU_EEDaSP_SQ_EUlSP_E_NS1_11comp_targetILNS1_3genE10ELNS1_11target_archE1201ELNS1_3gpuE5ELNS1_3repE0EEENS1_30default_config_static_selectorELNS0_4arch9wavefront6targetE1EEEvT1_,comdat
.Lfunc_end6985:
	.size	_ZN7rocprim17ROCPRIM_400000_NS6detail17trampoline_kernelINS0_14default_configENS1_20scan_config_selectorIiEEZZNS1_9scan_implILNS1_25lookback_scan_determinismE0ELb0ELb0ES3_N6thrust23THRUST_200600_302600_NS6detail15normal_iteratorINS9_10device_ptrIiEEEESE_i19const_ref_plus_mod3IiEiEEDaPvRmT3_T4_T5_mT6_P12ihipStream_tbENKUlT_T0_E_clISt17integral_constantIbLb0EESU_EEDaSP_SQ_EUlSP_E_NS1_11comp_targetILNS1_3genE10ELNS1_11target_archE1201ELNS1_3gpuE5ELNS1_3repE0EEENS1_30default_config_static_selectorELNS0_4arch9wavefront6targetE1EEEvT1_, .Lfunc_end6985-_ZN7rocprim17ROCPRIM_400000_NS6detail17trampoline_kernelINS0_14default_configENS1_20scan_config_selectorIiEEZZNS1_9scan_implILNS1_25lookback_scan_determinismE0ELb0ELb0ES3_N6thrust23THRUST_200600_302600_NS6detail15normal_iteratorINS9_10device_ptrIiEEEESE_i19const_ref_plus_mod3IiEiEEDaPvRmT3_T4_T5_mT6_P12ihipStream_tbENKUlT_T0_E_clISt17integral_constantIbLb0EESU_EEDaSP_SQ_EUlSP_E_NS1_11comp_targetILNS1_3genE10ELNS1_11target_archE1201ELNS1_3gpuE5ELNS1_3repE0EEENS1_30default_config_static_selectorELNS0_4arch9wavefront6targetE1EEEvT1_
                                        ; -- End function
	.section	.AMDGPU.csdata,"",@progbits
; Kernel info:
; codeLenInByte = 0
; NumSgprs: 4
; NumVgprs: 0
; NumAgprs: 0
; TotalNumVgprs: 0
; ScratchSize: 0
; MemoryBound: 0
; FloatMode: 240
; IeeeMode: 1
; LDSByteSize: 0 bytes/workgroup (compile time only)
; SGPRBlocks: 0
; VGPRBlocks: 0
; NumSGPRsForWavesPerEU: 4
; NumVGPRsForWavesPerEU: 1
; AccumOffset: 4
; Occupancy: 8
; WaveLimiterHint : 0
; COMPUTE_PGM_RSRC2:SCRATCH_EN: 0
; COMPUTE_PGM_RSRC2:USER_SGPR: 6
; COMPUTE_PGM_RSRC2:TRAP_HANDLER: 0
; COMPUTE_PGM_RSRC2:TGID_X_EN: 1
; COMPUTE_PGM_RSRC2:TGID_Y_EN: 0
; COMPUTE_PGM_RSRC2:TGID_Z_EN: 0
; COMPUTE_PGM_RSRC2:TIDIG_COMP_CNT: 0
; COMPUTE_PGM_RSRC3_GFX90A:ACCUM_OFFSET: 0
; COMPUTE_PGM_RSRC3_GFX90A:TG_SPLIT: 0
	.section	.text._ZN7rocprim17ROCPRIM_400000_NS6detail17trampoline_kernelINS0_14default_configENS1_20scan_config_selectorIiEEZZNS1_9scan_implILNS1_25lookback_scan_determinismE0ELb0ELb0ES3_N6thrust23THRUST_200600_302600_NS6detail15normal_iteratorINS9_10device_ptrIiEEEESE_i19const_ref_plus_mod3IiEiEEDaPvRmT3_T4_T5_mT6_P12ihipStream_tbENKUlT_T0_E_clISt17integral_constantIbLb0EESU_EEDaSP_SQ_EUlSP_E_NS1_11comp_targetILNS1_3genE10ELNS1_11target_archE1200ELNS1_3gpuE4ELNS1_3repE0EEENS1_30default_config_static_selectorELNS0_4arch9wavefront6targetE1EEEvT1_,"axG",@progbits,_ZN7rocprim17ROCPRIM_400000_NS6detail17trampoline_kernelINS0_14default_configENS1_20scan_config_selectorIiEEZZNS1_9scan_implILNS1_25lookback_scan_determinismE0ELb0ELb0ES3_N6thrust23THRUST_200600_302600_NS6detail15normal_iteratorINS9_10device_ptrIiEEEESE_i19const_ref_plus_mod3IiEiEEDaPvRmT3_T4_T5_mT6_P12ihipStream_tbENKUlT_T0_E_clISt17integral_constantIbLb0EESU_EEDaSP_SQ_EUlSP_E_NS1_11comp_targetILNS1_3genE10ELNS1_11target_archE1200ELNS1_3gpuE4ELNS1_3repE0EEENS1_30default_config_static_selectorELNS0_4arch9wavefront6targetE1EEEvT1_,comdat
	.protected	_ZN7rocprim17ROCPRIM_400000_NS6detail17trampoline_kernelINS0_14default_configENS1_20scan_config_selectorIiEEZZNS1_9scan_implILNS1_25lookback_scan_determinismE0ELb0ELb0ES3_N6thrust23THRUST_200600_302600_NS6detail15normal_iteratorINS9_10device_ptrIiEEEESE_i19const_ref_plus_mod3IiEiEEDaPvRmT3_T4_T5_mT6_P12ihipStream_tbENKUlT_T0_E_clISt17integral_constantIbLb0EESU_EEDaSP_SQ_EUlSP_E_NS1_11comp_targetILNS1_3genE10ELNS1_11target_archE1200ELNS1_3gpuE4ELNS1_3repE0EEENS1_30default_config_static_selectorELNS0_4arch9wavefront6targetE1EEEvT1_ ; -- Begin function _ZN7rocprim17ROCPRIM_400000_NS6detail17trampoline_kernelINS0_14default_configENS1_20scan_config_selectorIiEEZZNS1_9scan_implILNS1_25lookback_scan_determinismE0ELb0ELb0ES3_N6thrust23THRUST_200600_302600_NS6detail15normal_iteratorINS9_10device_ptrIiEEEESE_i19const_ref_plus_mod3IiEiEEDaPvRmT3_T4_T5_mT6_P12ihipStream_tbENKUlT_T0_E_clISt17integral_constantIbLb0EESU_EEDaSP_SQ_EUlSP_E_NS1_11comp_targetILNS1_3genE10ELNS1_11target_archE1200ELNS1_3gpuE4ELNS1_3repE0EEENS1_30default_config_static_selectorELNS0_4arch9wavefront6targetE1EEEvT1_
	.globl	_ZN7rocprim17ROCPRIM_400000_NS6detail17trampoline_kernelINS0_14default_configENS1_20scan_config_selectorIiEEZZNS1_9scan_implILNS1_25lookback_scan_determinismE0ELb0ELb0ES3_N6thrust23THRUST_200600_302600_NS6detail15normal_iteratorINS9_10device_ptrIiEEEESE_i19const_ref_plus_mod3IiEiEEDaPvRmT3_T4_T5_mT6_P12ihipStream_tbENKUlT_T0_E_clISt17integral_constantIbLb0EESU_EEDaSP_SQ_EUlSP_E_NS1_11comp_targetILNS1_3genE10ELNS1_11target_archE1200ELNS1_3gpuE4ELNS1_3repE0EEENS1_30default_config_static_selectorELNS0_4arch9wavefront6targetE1EEEvT1_
	.p2align	8
	.type	_ZN7rocprim17ROCPRIM_400000_NS6detail17trampoline_kernelINS0_14default_configENS1_20scan_config_selectorIiEEZZNS1_9scan_implILNS1_25lookback_scan_determinismE0ELb0ELb0ES3_N6thrust23THRUST_200600_302600_NS6detail15normal_iteratorINS9_10device_ptrIiEEEESE_i19const_ref_plus_mod3IiEiEEDaPvRmT3_T4_T5_mT6_P12ihipStream_tbENKUlT_T0_E_clISt17integral_constantIbLb0EESU_EEDaSP_SQ_EUlSP_E_NS1_11comp_targetILNS1_3genE10ELNS1_11target_archE1200ELNS1_3gpuE4ELNS1_3repE0EEENS1_30default_config_static_selectorELNS0_4arch9wavefront6targetE1EEEvT1_,@function
_ZN7rocprim17ROCPRIM_400000_NS6detail17trampoline_kernelINS0_14default_configENS1_20scan_config_selectorIiEEZZNS1_9scan_implILNS1_25lookback_scan_determinismE0ELb0ELb0ES3_N6thrust23THRUST_200600_302600_NS6detail15normal_iteratorINS9_10device_ptrIiEEEESE_i19const_ref_plus_mod3IiEiEEDaPvRmT3_T4_T5_mT6_P12ihipStream_tbENKUlT_T0_E_clISt17integral_constantIbLb0EESU_EEDaSP_SQ_EUlSP_E_NS1_11comp_targetILNS1_3genE10ELNS1_11target_archE1200ELNS1_3gpuE4ELNS1_3repE0EEENS1_30default_config_static_selectorELNS0_4arch9wavefront6targetE1EEEvT1_: ; @_ZN7rocprim17ROCPRIM_400000_NS6detail17trampoline_kernelINS0_14default_configENS1_20scan_config_selectorIiEEZZNS1_9scan_implILNS1_25lookback_scan_determinismE0ELb0ELb0ES3_N6thrust23THRUST_200600_302600_NS6detail15normal_iteratorINS9_10device_ptrIiEEEESE_i19const_ref_plus_mod3IiEiEEDaPvRmT3_T4_T5_mT6_P12ihipStream_tbENKUlT_T0_E_clISt17integral_constantIbLb0EESU_EEDaSP_SQ_EUlSP_E_NS1_11comp_targetILNS1_3genE10ELNS1_11target_archE1200ELNS1_3gpuE4ELNS1_3repE0EEENS1_30default_config_static_selectorELNS0_4arch9wavefront6targetE1EEEvT1_
; %bb.0:
	.section	.rodata,"a",@progbits
	.p2align	6, 0x0
	.amdhsa_kernel _ZN7rocprim17ROCPRIM_400000_NS6detail17trampoline_kernelINS0_14default_configENS1_20scan_config_selectorIiEEZZNS1_9scan_implILNS1_25lookback_scan_determinismE0ELb0ELb0ES3_N6thrust23THRUST_200600_302600_NS6detail15normal_iteratorINS9_10device_ptrIiEEEESE_i19const_ref_plus_mod3IiEiEEDaPvRmT3_T4_T5_mT6_P12ihipStream_tbENKUlT_T0_E_clISt17integral_constantIbLb0EESU_EEDaSP_SQ_EUlSP_E_NS1_11comp_targetILNS1_3genE10ELNS1_11target_archE1200ELNS1_3gpuE4ELNS1_3repE0EEENS1_30default_config_static_selectorELNS0_4arch9wavefront6targetE1EEEvT1_
		.amdhsa_group_segment_fixed_size 0
		.amdhsa_private_segment_fixed_size 0
		.amdhsa_kernarg_size 104
		.amdhsa_user_sgpr_count 6
		.amdhsa_user_sgpr_private_segment_buffer 1
		.amdhsa_user_sgpr_dispatch_ptr 0
		.amdhsa_user_sgpr_queue_ptr 0
		.amdhsa_user_sgpr_kernarg_segment_ptr 1
		.amdhsa_user_sgpr_dispatch_id 0
		.amdhsa_user_sgpr_flat_scratch_init 0
		.amdhsa_user_sgpr_kernarg_preload_length 0
		.amdhsa_user_sgpr_kernarg_preload_offset 0
		.amdhsa_user_sgpr_private_segment_size 0
		.amdhsa_uses_dynamic_stack 0
		.amdhsa_system_sgpr_private_segment_wavefront_offset 0
		.amdhsa_system_sgpr_workgroup_id_x 1
		.amdhsa_system_sgpr_workgroup_id_y 0
		.amdhsa_system_sgpr_workgroup_id_z 0
		.amdhsa_system_sgpr_workgroup_info 0
		.amdhsa_system_vgpr_workitem_id 0
		.amdhsa_next_free_vgpr 1
		.amdhsa_next_free_sgpr 0
		.amdhsa_accum_offset 4
		.amdhsa_reserve_vcc 0
		.amdhsa_reserve_flat_scratch 0
		.amdhsa_float_round_mode_32 0
		.amdhsa_float_round_mode_16_64 0
		.amdhsa_float_denorm_mode_32 3
		.amdhsa_float_denorm_mode_16_64 3
		.amdhsa_dx10_clamp 1
		.amdhsa_ieee_mode 1
		.amdhsa_fp16_overflow 0
		.amdhsa_tg_split 0
		.amdhsa_exception_fp_ieee_invalid_op 0
		.amdhsa_exception_fp_denorm_src 0
		.amdhsa_exception_fp_ieee_div_zero 0
		.amdhsa_exception_fp_ieee_overflow 0
		.amdhsa_exception_fp_ieee_underflow 0
		.amdhsa_exception_fp_ieee_inexact 0
		.amdhsa_exception_int_div_zero 0
	.end_amdhsa_kernel
	.section	.text._ZN7rocprim17ROCPRIM_400000_NS6detail17trampoline_kernelINS0_14default_configENS1_20scan_config_selectorIiEEZZNS1_9scan_implILNS1_25lookback_scan_determinismE0ELb0ELb0ES3_N6thrust23THRUST_200600_302600_NS6detail15normal_iteratorINS9_10device_ptrIiEEEESE_i19const_ref_plus_mod3IiEiEEDaPvRmT3_T4_T5_mT6_P12ihipStream_tbENKUlT_T0_E_clISt17integral_constantIbLb0EESU_EEDaSP_SQ_EUlSP_E_NS1_11comp_targetILNS1_3genE10ELNS1_11target_archE1200ELNS1_3gpuE4ELNS1_3repE0EEENS1_30default_config_static_selectorELNS0_4arch9wavefront6targetE1EEEvT1_,"axG",@progbits,_ZN7rocprim17ROCPRIM_400000_NS6detail17trampoline_kernelINS0_14default_configENS1_20scan_config_selectorIiEEZZNS1_9scan_implILNS1_25lookback_scan_determinismE0ELb0ELb0ES3_N6thrust23THRUST_200600_302600_NS6detail15normal_iteratorINS9_10device_ptrIiEEEESE_i19const_ref_plus_mod3IiEiEEDaPvRmT3_T4_T5_mT6_P12ihipStream_tbENKUlT_T0_E_clISt17integral_constantIbLb0EESU_EEDaSP_SQ_EUlSP_E_NS1_11comp_targetILNS1_3genE10ELNS1_11target_archE1200ELNS1_3gpuE4ELNS1_3repE0EEENS1_30default_config_static_selectorELNS0_4arch9wavefront6targetE1EEEvT1_,comdat
.Lfunc_end6986:
	.size	_ZN7rocprim17ROCPRIM_400000_NS6detail17trampoline_kernelINS0_14default_configENS1_20scan_config_selectorIiEEZZNS1_9scan_implILNS1_25lookback_scan_determinismE0ELb0ELb0ES3_N6thrust23THRUST_200600_302600_NS6detail15normal_iteratorINS9_10device_ptrIiEEEESE_i19const_ref_plus_mod3IiEiEEDaPvRmT3_T4_T5_mT6_P12ihipStream_tbENKUlT_T0_E_clISt17integral_constantIbLb0EESU_EEDaSP_SQ_EUlSP_E_NS1_11comp_targetILNS1_3genE10ELNS1_11target_archE1200ELNS1_3gpuE4ELNS1_3repE0EEENS1_30default_config_static_selectorELNS0_4arch9wavefront6targetE1EEEvT1_, .Lfunc_end6986-_ZN7rocprim17ROCPRIM_400000_NS6detail17trampoline_kernelINS0_14default_configENS1_20scan_config_selectorIiEEZZNS1_9scan_implILNS1_25lookback_scan_determinismE0ELb0ELb0ES3_N6thrust23THRUST_200600_302600_NS6detail15normal_iteratorINS9_10device_ptrIiEEEESE_i19const_ref_plus_mod3IiEiEEDaPvRmT3_T4_T5_mT6_P12ihipStream_tbENKUlT_T0_E_clISt17integral_constantIbLb0EESU_EEDaSP_SQ_EUlSP_E_NS1_11comp_targetILNS1_3genE10ELNS1_11target_archE1200ELNS1_3gpuE4ELNS1_3repE0EEENS1_30default_config_static_selectorELNS0_4arch9wavefront6targetE1EEEvT1_
                                        ; -- End function
	.section	.AMDGPU.csdata,"",@progbits
; Kernel info:
; codeLenInByte = 0
; NumSgprs: 4
; NumVgprs: 0
; NumAgprs: 0
; TotalNumVgprs: 0
; ScratchSize: 0
; MemoryBound: 0
; FloatMode: 240
; IeeeMode: 1
; LDSByteSize: 0 bytes/workgroup (compile time only)
; SGPRBlocks: 0
; VGPRBlocks: 0
; NumSGPRsForWavesPerEU: 4
; NumVGPRsForWavesPerEU: 1
; AccumOffset: 4
; Occupancy: 8
; WaveLimiterHint : 0
; COMPUTE_PGM_RSRC2:SCRATCH_EN: 0
; COMPUTE_PGM_RSRC2:USER_SGPR: 6
; COMPUTE_PGM_RSRC2:TRAP_HANDLER: 0
; COMPUTE_PGM_RSRC2:TGID_X_EN: 1
; COMPUTE_PGM_RSRC2:TGID_Y_EN: 0
; COMPUTE_PGM_RSRC2:TGID_Z_EN: 0
; COMPUTE_PGM_RSRC2:TIDIG_COMP_CNT: 0
; COMPUTE_PGM_RSRC3_GFX90A:ACCUM_OFFSET: 0
; COMPUTE_PGM_RSRC3_GFX90A:TG_SPLIT: 0
	.section	.text._ZN7rocprim17ROCPRIM_400000_NS6detail17trampoline_kernelINS0_14default_configENS1_20scan_config_selectorIiEEZZNS1_9scan_implILNS1_25lookback_scan_determinismE0ELb0ELb0ES3_N6thrust23THRUST_200600_302600_NS6detail15normal_iteratorINS9_10device_ptrIiEEEESE_i19const_ref_plus_mod3IiEiEEDaPvRmT3_T4_T5_mT6_P12ihipStream_tbENKUlT_T0_E_clISt17integral_constantIbLb0EESU_EEDaSP_SQ_EUlSP_E_NS1_11comp_targetILNS1_3genE9ELNS1_11target_archE1100ELNS1_3gpuE3ELNS1_3repE0EEENS1_30default_config_static_selectorELNS0_4arch9wavefront6targetE1EEEvT1_,"axG",@progbits,_ZN7rocprim17ROCPRIM_400000_NS6detail17trampoline_kernelINS0_14default_configENS1_20scan_config_selectorIiEEZZNS1_9scan_implILNS1_25lookback_scan_determinismE0ELb0ELb0ES3_N6thrust23THRUST_200600_302600_NS6detail15normal_iteratorINS9_10device_ptrIiEEEESE_i19const_ref_plus_mod3IiEiEEDaPvRmT3_T4_T5_mT6_P12ihipStream_tbENKUlT_T0_E_clISt17integral_constantIbLb0EESU_EEDaSP_SQ_EUlSP_E_NS1_11comp_targetILNS1_3genE9ELNS1_11target_archE1100ELNS1_3gpuE3ELNS1_3repE0EEENS1_30default_config_static_selectorELNS0_4arch9wavefront6targetE1EEEvT1_,comdat
	.protected	_ZN7rocprim17ROCPRIM_400000_NS6detail17trampoline_kernelINS0_14default_configENS1_20scan_config_selectorIiEEZZNS1_9scan_implILNS1_25lookback_scan_determinismE0ELb0ELb0ES3_N6thrust23THRUST_200600_302600_NS6detail15normal_iteratorINS9_10device_ptrIiEEEESE_i19const_ref_plus_mod3IiEiEEDaPvRmT3_T4_T5_mT6_P12ihipStream_tbENKUlT_T0_E_clISt17integral_constantIbLb0EESU_EEDaSP_SQ_EUlSP_E_NS1_11comp_targetILNS1_3genE9ELNS1_11target_archE1100ELNS1_3gpuE3ELNS1_3repE0EEENS1_30default_config_static_selectorELNS0_4arch9wavefront6targetE1EEEvT1_ ; -- Begin function _ZN7rocprim17ROCPRIM_400000_NS6detail17trampoline_kernelINS0_14default_configENS1_20scan_config_selectorIiEEZZNS1_9scan_implILNS1_25lookback_scan_determinismE0ELb0ELb0ES3_N6thrust23THRUST_200600_302600_NS6detail15normal_iteratorINS9_10device_ptrIiEEEESE_i19const_ref_plus_mod3IiEiEEDaPvRmT3_T4_T5_mT6_P12ihipStream_tbENKUlT_T0_E_clISt17integral_constantIbLb0EESU_EEDaSP_SQ_EUlSP_E_NS1_11comp_targetILNS1_3genE9ELNS1_11target_archE1100ELNS1_3gpuE3ELNS1_3repE0EEENS1_30default_config_static_selectorELNS0_4arch9wavefront6targetE1EEEvT1_
	.globl	_ZN7rocprim17ROCPRIM_400000_NS6detail17trampoline_kernelINS0_14default_configENS1_20scan_config_selectorIiEEZZNS1_9scan_implILNS1_25lookback_scan_determinismE0ELb0ELb0ES3_N6thrust23THRUST_200600_302600_NS6detail15normal_iteratorINS9_10device_ptrIiEEEESE_i19const_ref_plus_mod3IiEiEEDaPvRmT3_T4_T5_mT6_P12ihipStream_tbENKUlT_T0_E_clISt17integral_constantIbLb0EESU_EEDaSP_SQ_EUlSP_E_NS1_11comp_targetILNS1_3genE9ELNS1_11target_archE1100ELNS1_3gpuE3ELNS1_3repE0EEENS1_30default_config_static_selectorELNS0_4arch9wavefront6targetE1EEEvT1_
	.p2align	8
	.type	_ZN7rocprim17ROCPRIM_400000_NS6detail17trampoline_kernelINS0_14default_configENS1_20scan_config_selectorIiEEZZNS1_9scan_implILNS1_25lookback_scan_determinismE0ELb0ELb0ES3_N6thrust23THRUST_200600_302600_NS6detail15normal_iteratorINS9_10device_ptrIiEEEESE_i19const_ref_plus_mod3IiEiEEDaPvRmT3_T4_T5_mT6_P12ihipStream_tbENKUlT_T0_E_clISt17integral_constantIbLb0EESU_EEDaSP_SQ_EUlSP_E_NS1_11comp_targetILNS1_3genE9ELNS1_11target_archE1100ELNS1_3gpuE3ELNS1_3repE0EEENS1_30default_config_static_selectorELNS0_4arch9wavefront6targetE1EEEvT1_,@function
_ZN7rocprim17ROCPRIM_400000_NS6detail17trampoline_kernelINS0_14default_configENS1_20scan_config_selectorIiEEZZNS1_9scan_implILNS1_25lookback_scan_determinismE0ELb0ELb0ES3_N6thrust23THRUST_200600_302600_NS6detail15normal_iteratorINS9_10device_ptrIiEEEESE_i19const_ref_plus_mod3IiEiEEDaPvRmT3_T4_T5_mT6_P12ihipStream_tbENKUlT_T0_E_clISt17integral_constantIbLb0EESU_EEDaSP_SQ_EUlSP_E_NS1_11comp_targetILNS1_3genE9ELNS1_11target_archE1100ELNS1_3gpuE3ELNS1_3repE0EEENS1_30default_config_static_selectorELNS0_4arch9wavefront6targetE1EEEvT1_: ; @_ZN7rocprim17ROCPRIM_400000_NS6detail17trampoline_kernelINS0_14default_configENS1_20scan_config_selectorIiEEZZNS1_9scan_implILNS1_25lookback_scan_determinismE0ELb0ELb0ES3_N6thrust23THRUST_200600_302600_NS6detail15normal_iteratorINS9_10device_ptrIiEEEESE_i19const_ref_plus_mod3IiEiEEDaPvRmT3_T4_T5_mT6_P12ihipStream_tbENKUlT_T0_E_clISt17integral_constantIbLb0EESU_EEDaSP_SQ_EUlSP_E_NS1_11comp_targetILNS1_3genE9ELNS1_11target_archE1100ELNS1_3gpuE3ELNS1_3repE0EEENS1_30default_config_static_selectorELNS0_4arch9wavefront6targetE1EEEvT1_
; %bb.0:
	.section	.rodata,"a",@progbits
	.p2align	6, 0x0
	.amdhsa_kernel _ZN7rocprim17ROCPRIM_400000_NS6detail17trampoline_kernelINS0_14default_configENS1_20scan_config_selectorIiEEZZNS1_9scan_implILNS1_25lookback_scan_determinismE0ELb0ELb0ES3_N6thrust23THRUST_200600_302600_NS6detail15normal_iteratorINS9_10device_ptrIiEEEESE_i19const_ref_plus_mod3IiEiEEDaPvRmT3_T4_T5_mT6_P12ihipStream_tbENKUlT_T0_E_clISt17integral_constantIbLb0EESU_EEDaSP_SQ_EUlSP_E_NS1_11comp_targetILNS1_3genE9ELNS1_11target_archE1100ELNS1_3gpuE3ELNS1_3repE0EEENS1_30default_config_static_selectorELNS0_4arch9wavefront6targetE1EEEvT1_
		.amdhsa_group_segment_fixed_size 0
		.amdhsa_private_segment_fixed_size 0
		.amdhsa_kernarg_size 104
		.amdhsa_user_sgpr_count 6
		.amdhsa_user_sgpr_private_segment_buffer 1
		.amdhsa_user_sgpr_dispatch_ptr 0
		.amdhsa_user_sgpr_queue_ptr 0
		.amdhsa_user_sgpr_kernarg_segment_ptr 1
		.amdhsa_user_sgpr_dispatch_id 0
		.amdhsa_user_sgpr_flat_scratch_init 0
		.amdhsa_user_sgpr_kernarg_preload_length 0
		.amdhsa_user_sgpr_kernarg_preload_offset 0
		.amdhsa_user_sgpr_private_segment_size 0
		.amdhsa_uses_dynamic_stack 0
		.amdhsa_system_sgpr_private_segment_wavefront_offset 0
		.amdhsa_system_sgpr_workgroup_id_x 1
		.amdhsa_system_sgpr_workgroup_id_y 0
		.amdhsa_system_sgpr_workgroup_id_z 0
		.amdhsa_system_sgpr_workgroup_info 0
		.amdhsa_system_vgpr_workitem_id 0
		.amdhsa_next_free_vgpr 1
		.amdhsa_next_free_sgpr 0
		.amdhsa_accum_offset 4
		.amdhsa_reserve_vcc 0
		.amdhsa_reserve_flat_scratch 0
		.amdhsa_float_round_mode_32 0
		.amdhsa_float_round_mode_16_64 0
		.amdhsa_float_denorm_mode_32 3
		.amdhsa_float_denorm_mode_16_64 3
		.amdhsa_dx10_clamp 1
		.amdhsa_ieee_mode 1
		.amdhsa_fp16_overflow 0
		.amdhsa_tg_split 0
		.amdhsa_exception_fp_ieee_invalid_op 0
		.amdhsa_exception_fp_denorm_src 0
		.amdhsa_exception_fp_ieee_div_zero 0
		.amdhsa_exception_fp_ieee_overflow 0
		.amdhsa_exception_fp_ieee_underflow 0
		.amdhsa_exception_fp_ieee_inexact 0
		.amdhsa_exception_int_div_zero 0
	.end_amdhsa_kernel
	.section	.text._ZN7rocprim17ROCPRIM_400000_NS6detail17trampoline_kernelINS0_14default_configENS1_20scan_config_selectorIiEEZZNS1_9scan_implILNS1_25lookback_scan_determinismE0ELb0ELb0ES3_N6thrust23THRUST_200600_302600_NS6detail15normal_iteratorINS9_10device_ptrIiEEEESE_i19const_ref_plus_mod3IiEiEEDaPvRmT3_T4_T5_mT6_P12ihipStream_tbENKUlT_T0_E_clISt17integral_constantIbLb0EESU_EEDaSP_SQ_EUlSP_E_NS1_11comp_targetILNS1_3genE9ELNS1_11target_archE1100ELNS1_3gpuE3ELNS1_3repE0EEENS1_30default_config_static_selectorELNS0_4arch9wavefront6targetE1EEEvT1_,"axG",@progbits,_ZN7rocprim17ROCPRIM_400000_NS6detail17trampoline_kernelINS0_14default_configENS1_20scan_config_selectorIiEEZZNS1_9scan_implILNS1_25lookback_scan_determinismE0ELb0ELb0ES3_N6thrust23THRUST_200600_302600_NS6detail15normal_iteratorINS9_10device_ptrIiEEEESE_i19const_ref_plus_mod3IiEiEEDaPvRmT3_T4_T5_mT6_P12ihipStream_tbENKUlT_T0_E_clISt17integral_constantIbLb0EESU_EEDaSP_SQ_EUlSP_E_NS1_11comp_targetILNS1_3genE9ELNS1_11target_archE1100ELNS1_3gpuE3ELNS1_3repE0EEENS1_30default_config_static_selectorELNS0_4arch9wavefront6targetE1EEEvT1_,comdat
.Lfunc_end6987:
	.size	_ZN7rocprim17ROCPRIM_400000_NS6detail17trampoline_kernelINS0_14default_configENS1_20scan_config_selectorIiEEZZNS1_9scan_implILNS1_25lookback_scan_determinismE0ELb0ELb0ES3_N6thrust23THRUST_200600_302600_NS6detail15normal_iteratorINS9_10device_ptrIiEEEESE_i19const_ref_plus_mod3IiEiEEDaPvRmT3_T4_T5_mT6_P12ihipStream_tbENKUlT_T0_E_clISt17integral_constantIbLb0EESU_EEDaSP_SQ_EUlSP_E_NS1_11comp_targetILNS1_3genE9ELNS1_11target_archE1100ELNS1_3gpuE3ELNS1_3repE0EEENS1_30default_config_static_selectorELNS0_4arch9wavefront6targetE1EEEvT1_, .Lfunc_end6987-_ZN7rocprim17ROCPRIM_400000_NS6detail17trampoline_kernelINS0_14default_configENS1_20scan_config_selectorIiEEZZNS1_9scan_implILNS1_25lookback_scan_determinismE0ELb0ELb0ES3_N6thrust23THRUST_200600_302600_NS6detail15normal_iteratorINS9_10device_ptrIiEEEESE_i19const_ref_plus_mod3IiEiEEDaPvRmT3_T4_T5_mT6_P12ihipStream_tbENKUlT_T0_E_clISt17integral_constantIbLb0EESU_EEDaSP_SQ_EUlSP_E_NS1_11comp_targetILNS1_3genE9ELNS1_11target_archE1100ELNS1_3gpuE3ELNS1_3repE0EEENS1_30default_config_static_selectorELNS0_4arch9wavefront6targetE1EEEvT1_
                                        ; -- End function
	.section	.AMDGPU.csdata,"",@progbits
; Kernel info:
; codeLenInByte = 0
; NumSgprs: 4
; NumVgprs: 0
; NumAgprs: 0
; TotalNumVgprs: 0
; ScratchSize: 0
; MemoryBound: 0
; FloatMode: 240
; IeeeMode: 1
; LDSByteSize: 0 bytes/workgroup (compile time only)
; SGPRBlocks: 0
; VGPRBlocks: 0
; NumSGPRsForWavesPerEU: 4
; NumVGPRsForWavesPerEU: 1
; AccumOffset: 4
; Occupancy: 8
; WaveLimiterHint : 0
; COMPUTE_PGM_RSRC2:SCRATCH_EN: 0
; COMPUTE_PGM_RSRC2:USER_SGPR: 6
; COMPUTE_PGM_RSRC2:TRAP_HANDLER: 0
; COMPUTE_PGM_RSRC2:TGID_X_EN: 1
; COMPUTE_PGM_RSRC2:TGID_Y_EN: 0
; COMPUTE_PGM_RSRC2:TGID_Z_EN: 0
; COMPUTE_PGM_RSRC2:TIDIG_COMP_CNT: 0
; COMPUTE_PGM_RSRC3_GFX90A:ACCUM_OFFSET: 0
; COMPUTE_PGM_RSRC3_GFX90A:TG_SPLIT: 0
	.section	.text._ZN7rocprim17ROCPRIM_400000_NS6detail17trampoline_kernelINS0_14default_configENS1_20scan_config_selectorIiEEZZNS1_9scan_implILNS1_25lookback_scan_determinismE0ELb0ELb0ES3_N6thrust23THRUST_200600_302600_NS6detail15normal_iteratorINS9_10device_ptrIiEEEESE_i19const_ref_plus_mod3IiEiEEDaPvRmT3_T4_T5_mT6_P12ihipStream_tbENKUlT_T0_E_clISt17integral_constantIbLb0EESU_EEDaSP_SQ_EUlSP_E_NS1_11comp_targetILNS1_3genE8ELNS1_11target_archE1030ELNS1_3gpuE2ELNS1_3repE0EEENS1_30default_config_static_selectorELNS0_4arch9wavefront6targetE1EEEvT1_,"axG",@progbits,_ZN7rocprim17ROCPRIM_400000_NS6detail17trampoline_kernelINS0_14default_configENS1_20scan_config_selectorIiEEZZNS1_9scan_implILNS1_25lookback_scan_determinismE0ELb0ELb0ES3_N6thrust23THRUST_200600_302600_NS6detail15normal_iteratorINS9_10device_ptrIiEEEESE_i19const_ref_plus_mod3IiEiEEDaPvRmT3_T4_T5_mT6_P12ihipStream_tbENKUlT_T0_E_clISt17integral_constantIbLb0EESU_EEDaSP_SQ_EUlSP_E_NS1_11comp_targetILNS1_3genE8ELNS1_11target_archE1030ELNS1_3gpuE2ELNS1_3repE0EEENS1_30default_config_static_selectorELNS0_4arch9wavefront6targetE1EEEvT1_,comdat
	.protected	_ZN7rocprim17ROCPRIM_400000_NS6detail17trampoline_kernelINS0_14default_configENS1_20scan_config_selectorIiEEZZNS1_9scan_implILNS1_25lookback_scan_determinismE0ELb0ELb0ES3_N6thrust23THRUST_200600_302600_NS6detail15normal_iteratorINS9_10device_ptrIiEEEESE_i19const_ref_plus_mod3IiEiEEDaPvRmT3_T4_T5_mT6_P12ihipStream_tbENKUlT_T0_E_clISt17integral_constantIbLb0EESU_EEDaSP_SQ_EUlSP_E_NS1_11comp_targetILNS1_3genE8ELNS1_11target_archE1030ELNS1_3gpuE2ELNS1_3repE0EEENS1_30default_config_static_selectorELNS0_4arch9wavefront6targetE1EEEvT1_ ; -- Begin function _ZN7rocprim17ROCPRIM_400000_NS6detail17trampoline_kernelINS0_14default_configENS1_20scan_config_selectorIiEEZZNS1_9scan_implILNS1_25lookback_scan_determinismE0ELb0ELb0ES3_N6thrust23THRUST_200600_302600_NS6detail15normal_iteratorINS9_10device_ptrIiEEEESE_i19const_ref_plus_mod3IiEiEEDaPvRmT3_T4_T5_mT6_P12ihipStream_tbENKUlT_T0_E_clISt17integral_constantIbLb0EESU_EEDaSP_SQ_EUlSP_E_NS1_11comp_targetILNS1_3genE8ELNS1_11target_archE1030ELNS1_3gpuE2ELNS1_3repE0EEENS1_30default_config_static_selectorELNS0_4arch9wavefront6targetE1EEEvT1_
	.globl	_ZN7rocprim17ROCPRIM_400000_NS6detail17trampoline_kernelINS0_14default_configENS1_20scan_config_selectorIiEEZZNS1_9scan_implILNS1_25lookback_scan_determinismE0ELb0ELb0ES3_N6thrust23THRUST_200600_302600_NS6detail15normal_iteratorINS9_10device_ptrIiEEEESE_i19const_ref_plus_mod3IiEiEEDaPvRmT3_T4_T5_mT6_P12ihipStream_tbENKUlT_T0_E_clISt17integral_constantIbLb0EESU_EEDaSP_SQ_EUlSP_E_NS1_11comp_targetILNS1_3genE8ELNS1_11target_archE1030ELNS1_3gpuE2ELNS1_3repE0EEENS1_30default_config_static_selectorELNS0_4arch9wavefront6targetE1EEEvT1_
	.p2align	8
	.type	_ZN7rocprim17ROCPRIM_400000_NS6detail17trampoline_kernelINS0_14default_configENS1_20scan_config_selectorIiEEZZNS1_9scan_implILNS1_25lookback_scan_determinismE0ELb0ELb0ES3_N6thrust23THRUST_200600_302600_NS6detail15normal_iteratorINS9_10device_ptrIiEEEESE_i19const_ref_plus_mod3IiEiEEDaPvRmT3_T4_T5_mT6_P12ihipStream_tbENKUlT_T0_E_clISt17integral_constantIbLb0EESU_EEDaSP_SQ_EUlSP_E_NS1_11comp_targetILNS1_3genE8ELNS1_11target_archE1030ELNS1_3gpuE2ELNS1_3repE0EEENS1_30default_config_static_selectorELNS0_4arch9wavefront6targetE1EEEvT1_,@function
_ZN7rocprim17ROCPRIM_400000_NS6detail17trampoline_kernelINS0_14default_configENS1_20scan_config_selectorIiEEZZNS1_9scan_implILNS1_25lookback_scan_determinismE0ELb0ELb0ES3_N6thrust23THRUST_200600_302600_NS6detail15normal_iteratorINS9_10device_ptrIiEEEESE_i19const_ref_plus_mod3IiEiEEDaPvRmT3_T4_T5_mT6_P12ihipStream_tbENKUlT_T0_E_clISt17integral_constantIbLb0EESU_EEDaSP_SQ_EUlSP_E_NS1_11comp_targetILNS1_3genE8ELNS1_11target_archE1030ELNS1_3gpuE2ELNS1_3repE0EEENS1_30default_config_static_selectorELNS0_4arch9wavefront6targetE1EEEvT1_: ; @_ZN7rocprim17ROCPRIM_400000_NS6detail17trampoline_kernelINS0_14default_configENS1_20scan_config_selectorIiEEZZNS1_9scan_implILNS1_25lookback_scan_determinismE0ELb0ELb0ES3_N6thrust23THRUST_200600_302600_NS6detail15normal_iteratorINS9_10device_ptrIiEEEESE_i19const_ref_plus_mod3IiEiEEDaPvRmT3_T4_T5_mT6_P12ihipStream_tbENKUlT_T0_E_clISt17integral_constantIbLb0EESU_EEDaSP_SQ_EUlSP_E_NS1_11comp_targetILNS1_3genE8ELNS1_11target_archE1030ELNS1_3gpuE2ELNS1_3repE0EEENS1_30default_config_static_selectorELNS0_4arch9wavefront6targetE1EEEvT1_
; %bb.0:
	.section	.rodata,"a",@progbits
	.p2align	6, 0x0
	.amdhsa_kernel _ZN7rocprim17ROCPRIM_400000_NS6detail17trampoline_kernelINS0_14default_configENS1_20scan_config_selectorIiEEZZNS1_9scan_implILNS1_25lookback_scan_determinismE0ELb0ELb0ES3_N6thrust23THRUST_200600_302600_NS6detail15normal_iteratorINS9_10device_ptrIiEEEESE_i19const_ref_plus_mod3IiEiEEDaPvRmT3_T4_T5_mT6_P12ihipStream_tbENKUlT_T0_E_clISt17integral_constantIbLb0EESU_EEDaSP_SQ_EUlSP_E_NS1_11comp_targetILNS1_3genE8ELNS1_11target_archE1030ELNS1_3gpuE2ELNS1_3repE0EEENS1_30default_config_static_selectorELNS0_4arch9wavefront6targetE1EEEvT1_
		.amdhsa_group_segment_fixed_size 0
		.amdhsa_private_segment_fixed_size 0
		.amdhsa_kernarg_size 104
		.amdhsa_user_sgpr_count 6
		.amdhsa_user_sgpr_private_segment_buffer 1
		.amdhsa_user_sgpr_dispatch_ptr 0
		.amdhsa_user_sgpr_queue_ptr 0
		.amdhsa_user_sgpr_kernarg_segment_ptr 1
		.amdhsa_user_sgpr_dispatch_id 0
		.amdhsa_user_sgpr_flat_scratch_init 0
		.amdhsa_user_sgpr_kernarg_preload_length 0
		.amdhsa_user_sgpr_kernarg_preload_offset 0
		.amdhsa_user_sgpr_private_segment_size 0
		.amdhsa_uses_dynamic_stack 0
		.amdhsa_system_sgpr_private_segment_wavefront_offset 0
		.amdhsa_system_sgpr_workgroup_id_x 1
		.amdhsa_system_sgpr_workgroup_id_y 0
		.amdhsa_system_sgpr_workgroup_id_z 0
		.amdhsa_system_sgpr_workgroup_info 0
		.amdhsa_system_vgpr_workitem_id 0
		.amdhsa_next_free_vgpr 1
		.amdhsa_next_free_sgpr 0
		.amdhsa_accum_offset 4
		.amdhsa_reserve_vcc 0
		.amdhsa_reserve_flat_scratch 0
		.amdhsa_float_round_mode_32 0
		.amdhsa_float_round_mode_16_64 0
		.amdhsa_float_denorm_mode_32 3
		.amdhsa_float_denorm_mode_16_64 3
		.amdhsa_dx10_clamp 1
		.amdhsa_ieee_mode 1
		.amdhsa_fp16_overflow 0
		.amdhsa_tg_split 0
		.amdhsa_exception_fp_ieee_invalid_op 0
		.amdhsa_exception_fp_denorm_src 0
		.amdhsa_exception_fp_ieee_div_zero 0
		.amdhsa_exception_fp_ieee_overflow 0
		.amdhsa_exception_fp_ieee_underflow 0
		.amdhsa_exception_fp_ieee_inexact 0
		.amdhsa_exception_int_div_zero 0
	.end_amdhsa_kernel
	.section	.text._ZN7rocprim17ROCPRIM_400000_NS6detail17trampoline_kernelINS0_14default_configENS1_20scan_config_selectorIiEEZZNS1_9scan_implILNS1_25lookback_scan_determinismE0ELb0ELb0ES3_N6thrust23THRUST_200600_302600_NS6detail15normal_iteratorINS9_10device_ptrIiEEEESE_i19const_ref_plus_mod3IiEiEEDaPvRmT3_T4_T5_mT6_P12ihipStream_tbENKUlT_T0_E_clISt17integral_constantIbLb0EESU_EEDaSP_SQ_EUlSP_E_NS1_11comp_targetILNS1_3genE8ELNS1_11target_archE1030ELNS1_3gpuE2ELNS1_3repE0EEENS1_30default_config_static_selectorELNS0_4arch9wavefront6targetE1EEEvT1_,"axG",@progbits,_ZN7rocprim17ROCPRIM_400000_NS6detail17trampoline_kernelINS0_14default_configENS1_20scan_config_selectorIiEEZZNS1_9scan_implILNS1_25lookback_scan_determinismE0ELb0ELb0ES3_N6thrust23THRUST_200600_302600_NS6detail15normal_iteratorINS9_10device_ptrIiEEEESE_i19const_ref_plus_mod3IiEiEEDaPvRmT3_T4_T5_mT6_P12ihipStream_tbENKUlT_T0_E_clISt17integral_constantIbLb0EESU_EEDaSP_SQ_EUlSP_E_NS1_11comp_targetILNS1_3genE8ELNS1_11target_archE1030ELNS1_3gpuE2ELNS1_3repE0EEENS1_30default_config_static_selectorELNS0_4arch9wavefront6targetE1EEEvT1_,comdat
.Lfunc_end6988:
	.size	_ZN7rocprim17ROCPRIM_400000_NS6detail17trampoline_kernelINS0_14default_configENS1_20scan_config_selectorIiEEZZNS1_9scan_implILNS1_25lookback_scan_determinismE0ELb0ELb0ES3_N6thrust23THRUST_200600_302600_NS6detail15normal_iteratorINS9_10device_ptrIiEEEESE_i19const_ref_plus_mod3IiEiEEDaPvRmT3_T4_T5_mT6_P12ihipStream_tbENKUlT_T0_E_clISt17integral_constantIbLb0EESU_EEDaSP_SQ_EUlSP_E_NS1_11comp_targetILNS1_3genE8ELNS1_11target_archE1030ELNS1_3gpuE2ELNS1_3repE0EEENS1_30default_config_static_selectorELNS0_4arch9wavefront6targetE1EEEvT1_, .Lfunc_end6988-_ZN7rocprim17ROCPRIM_400000_NS6detail17trampoline_kernelINS0_14default_configENS1_20scan_config_selectorIiEEZZNS1_9scan_implILNS1_25lookback_scan_determinismE0ELb0ELb0ES3_N6thrust23THRUST_200600_302600_NS6detail15normal_iteratorINS9_10device_ptrIiEEEESE_i19const_ref_plus_mod3IiEiEEDaPvRmT3_T4_T5_mT6_P12ihipStream_tbENKUlT_T0_E_clISt17integral_constantIbLb0EESU_EEDaSP_SQ_EUlSP_E_NS1_11comp_targetILNS1_3genE8ELNS1_11target_archE1030ELNS1_3gpuE2ELNS1_3repE0EEENS1_30default_config_static_selectorELNS0_4arch9wavefront6targetE1EEEvT1_
                                        ; -- End function
	.section	.AMDGPU.csdata,"",@progbits
; Kernel info:
; codeLenInByte = 0
; NumSgprs: 4
; NumVgprs: 0
; NumAgprs: 0
; TotalNumVgprs: 0
; ScratchSize: 0
; MemoryBound: 0
; FloatMode: 240
; IeeeMode: 1
; LDSByteSize: 0 bytes/workgroup (compile time only)
; SGPRBlocks: 0
; VGPRBlocks: 0
; NumSGPRsForWavesPerEU: 4
; NumVGPRsForWavesPerEU: 1
; AccumOffset: 4
; Occupancy: 8
; WaveLimiterHint : 0
; COMPUTE_PGM_RSRC2:SCRATCH_EN: 0
; COMPUTE_PGM_RSRC2:USER_SGPR: 6
; COMPUTE_PGM_RSRC2:TRAP_HANDLER: 0
; COMPUTE_PGM_RSRC2:TGID_X_EN: 1
; COMPUTE_PGM_RSRC2:TGID_Y_EN: 0
; COMPUTE_PGM_RSRC2:TGID_Z_EN: 0
; COMPUTE_PGM_RSRC2:TIDIG_COMP_CNT: 0
; COMPUTE_PGM_RSRC3_GFX90A:ACCUM_OFFSET: 0
; COMPUTE_PGM_RSRC3_GFX90A:TG_SPLIT: 0
	.section	.text._ZN7rocprim17ROCPRIM_400000_NS6detail17trampoline_kernelINS0_14default_configENS1_20scan_config_selectorIiEEZZNS1_9scan_implILNS1_25lookback_scan_determinismE0ELb0ELb0ES3_N6thrust23THRUST_200600_302600_NS6detail15normal_iteratorINS9_10device_ptrIiEEEESE_i19const_ref_plus_mod3IiEiEEDaPvRmT3_T4_T5_mT6_P12ihipStream_tbENKUlT_T0_E_clISt17integral_constantIbLb0EESU_EEDaSP_SQ_EUlSP_E0_NS1_11comp_targetILNS1_3genE0ELNS1_11target_archE4294967295ELNS1_3gpuE0ELNS1_3repE0EEENS1_30default_config_static_selectorELNS0_4arch9wavefront6targetE1EEEvT1_,"axG",@progbits,_ZN7rocprim17ROCPRIM_400000_NS6detail17trampoline_kernelINS0_14default_configENS1_20scan_config_selectorIiEEZZNS1_9scan_implILNS1_25lookback_scan_determinismE0ELb0ELb0ES3_N6thrust23THRUST_200600_302600_NS6detail15normal_iteratorINS9_10device_ptrIiEEEESE_i19const_ref_plus_mod3IiEiEEDaPvRmT3_T4_T5_mT6_P12ihipStream_tbENKUlT_T0_E_clISt17integral_constantIbLb0EESU_EEDaSP_SQ_EUlSP_E0_NS1_11comp_targetILNS1_3genE0ELNS1_11target_archE4294967295ELNS1_3gpuE0ELNS1_3repE0EEENS1_30default_config_static_selectorELNS0_4arch9wavefront6targetE1EEEvT1_,comdat
	.protected	_ZN7rocprim17ROCPRIM_400000_NS6detail17trampoline_kernelINS0_14default_configENS1_20scan_config_selectorIiEEZZNS1_9scan_implILNS1_25lookback_scan_determinismE0ELb0ELb0ES3_N6thrust23THRUST_200600_302600_NS6detail15normal_iteratorINS9_10device_ptrIiEEEESE_i19const_ref_plus_mod3IiEiEEDaPvRmT3_T4_T5_mT6_P12ihipStream_tbENKUlT_T0_E_clISt17integral_constantIbLb0EESU_EEDaSP_SQ_EUlSP_E0_NS1_11comp_targetILNS1_3genE0ELNS1_11target_archE4294967295ELNS1_3gpuE0ELNS1_3repE0EEENS1_30default_config_static_selectorELNS0_4arch9wavefront6targetE1EEEvT1_ ; -- Begin function _ZN7rocprim17ROCPRIM_400000_NS6detail17trampoline_kernelINS0_14default_configENS1_20scan_config_selectorIiEEZZNS1_9scan_implILNS1_25lookback_scan_determinismE0ELb0ELb0ES3_N6thrust23THRUST_200600_302600_NS6detail15normal_iteratorINS9_10device_ptrIiEEEESE_i19const_ref_plus_mod3IiEiEEDaPvRmT3_T4_T5_mT6_P12ihipStream_tbENKUlT_T0_E_clISt17integral_constantIbLb0EESU_EEDaSP_SQ_EUlSP_E0_NS1_11comp_targetILNS1_3genE0ELNS1_11target_archE4294967295ELNS1_3gpuE0ELNS1_3repE0EEENS1_30default_config_static_selectorELNS0_4arch9wavefront6targetE1EEEvT1_
	.globl	_ZN7rocprim17ROCPRIM_400000_NS6detail17trampoline_kernelINS0_14default_configENS1_20scan_config_selectorIiEEZZNS1_9scan_implILNS1_25lookback_scan_determinismE0ELb0ELb0ES3_N6thrust23THRUST_200600_302600_NS6detail15normal_iteratorINS9_10device_ptrIiEEEESE_i19const_ref_plus_mod3IiEiEEDaPvRmT3_T4_T5_mT6_P12ihipStream_tbENKUlT_T0_E_clISt17integral_constantIbLb0EESU_EEDaSP_SQ_EUlSP_E0_NS1_11comp_targetILNS1_3genE0ELNS1_11target_archE4294967295ELNS1_3gpuE0ELNS1_3repE0EEENS1_30default_config_static_selectorELNS0_4arch9wavefront6targetE1EEEvT1_
	.p2align	8
	.type	_ZN7rocprim17ROCPRIM_400000_NS6detail17trampoline_kernelINS0_14default_configENS1_20scan_config_selectorIiEEZZNS1_9scan_implILNS1_25lookback_scan_determinismE0ELb0ELb0ES3_N6thrust23THRUST_200600_302600_NS6detail15normal_iteratorINS9_10device_ptrIiEEEESE_i19const_ref_plus_mod3IiEiEEDaPvRmT3_T4_T5_mT6_P12ihipStream_tbENKUlT_T0_E_clISt17integral_constantIbLb0EESU_EEDaSP_SQ_EUlSP_E0_NS1_11comp_targetILNS1_3genE0ELNS1_11target_archE4294967295ELNS1_3gpuE0ELNS1_3repE0EEENS1_30default_config_static_selectorELNS0_4arch9wavefront6targetE1EEEvT1_,@function
_ZN7rocprim17ROCPRIM_400000_NS6detail17trampoline_kernelINS0_14default_configENS1_20scan_config_selectorIiEEZZNS1_9scan_implILNS1_25lookback_scan_determinismE0ELb0ELb0ES3_N6thrust23THRUST_200600_302600_NS6detail15normal_iteratorINS9_10device_ptrIiEEEESE_i19const_ref_plus_mod3IiEiEEDaPvRmT3_T4_T5_mT6_P12ihipStream_tbENKUlT_T0_E_clISt17integral_constantIbLb0EESU_EEDaSP_SQ_EUlSP_E0_NS1_11comp_targetILNS1_3genE0ELNS1_11target_archE4294967295ELNS1_3gpuE0ELNS1_3repE0EEENS1_30default_config_static_selectorELNS0_4arch9wavefront6targetE1EEEvT1_: ; @_ZN7rocprim17ROCPRIM_400000_NS6detail17trampoline_kernelINS0_14default_configENS1_20scan_config_selectorIiEEZZNS1_9scan_implILNS1_25lookback_scan_determinismE0ELb0ELb0ES3_N6thrust23THRUST_200600_302600_NS6detail15normal_iteratorINS9_10device_ptrIiEEEESE_i19const_ref_plus_mod3IiEiEEDaPvRmT3_T4_T5_mT6_P12ihipStream_tbENKUlT_T0_E_clISt17integral_constantIbLb0EESU_EEDaSP_SQ_EUlSP_E0_NS1_11comp_targetILNS1_3genE0ELNS1_11target_archE4294967295ELNS1_3gpuE0ELNS1_3repE0EEENS1_30default_config_static_selectorELNS0_4arch9wavefront6targetE1EEEvT1_
; %bb.0:
	.section	.rodata,"a",@progbits
	.p2align	6, 0x0
	.amdhsa_kernel _ZN7rocprim17ROCPRIM_400000_NS6detail17trampoline_kernelINS0_14default_configENS1_20scan_config_selectorIiEEZZNS1_9scan_implILNS1_25lookback_scan_determinismE0ELb0ELb0ES3_N6thrust23THRUST_200600_302600_NS6detail15normal_iteratorINS9_10device_ptrIiEEEESE_i19const_ref_plus_mod3IiEiEEDaPvRmT3_T4_T5_mT6_P12ihipStream_tbENKUlT_T0_E_clISt17integral_constantIbLb0EESU_EEDaSP_SQ_EUlSP_E0_NS1_11comp_targetILNS1_3genE0ELNS1_11target_archE4294967295ELNS1_3gpuE0ELNS1_3repE0EEENS1_30default_config_static_selectorELNS0_4arch9wavefront6targetE1EEEvT1_
		.amdhsa_group_segment_fixed_size 0
		.amdhsa_private_segment_fixed_size 0
		.amdhsa_kernarg_size 40
		.amdhsa_user_sgpr_count 6
		.amdhsa_user_sgpr_private_segment_buffer 1
		.amdhsa_user_sgpr_dispatch_ptr 0
		.amdhsa_user_sgpr_queue_ptr 0
		.amdhsa_user_sgpr_kernarg_segment_ptr 1
		.amdhsa_user_sgpr_dispatch_id 0
		.amdhsa_user_sgpr_flat_scratch_init 0
		.amdhsa_user_sgpr_kernarg_preload_length 0
		.amdhsa_user_sgpr_kernarg_preload_offset 0
		.amdhsa_user_sgpr_private_segment_size 0
		.amdhsa_uses_dynamic_stack 0
		.amdhsa_system_sgpr_private_segment_wavefront_offset 0
		.amdhsa_system_sgpr_workgroup_id_x 1
		.amdhsa_system_sgpr_workgroup_id_y 0
		.amdhsa_system_sgpr_workgroup_id_z 0
		.amdhsa_system_sgpr_workgroup_info 0
		.amdhsa_system_vgpr_workitem_id 0
		.amdhsa_next_free_vgpr 1
		.amdhsa_next_free_sgpr 0
		.amdhsa_accum_offset 4
		.amdhsa_reserve_vcc 0
		.amdhsa_reserve_flat_scratch 0
		.amdhsa_float_round_mode_32 0
		.amdhsa_float_round_mode_16_64 0
		.amdhsa_float_denorm_mode_32 3
		.amdhsa_float_denorm_mode_16_64 3
		.amdhsa_dx10_clamp 1
		.amdhsa_ieee_mode 1
		.amdhsa_fp16_overflow 0
		.amdhsa_tg_split 0
		.amdhsa_exception_fp_ieee_invalid_op 0
		.amdhsa_exception_fp_denorm_src 0
		.amdhsa_exception_fp_ieee_div_zero 0
		.amdhsa_exception_fp_ieee_overflow 0
		.amdhsa_exception_fp_ieee_underflow 0
		.amdhsa_exception_fp_ieee_inexact 0
		.amdhsa_exception_int_div_zero 0
	.end_amdhsa_kernel
	.section	.text._ZN7rocprim17ROCPRIM_400000_NS6detail17trampoline_kernelINS0_14default_configENS1_20scan_config_selectorIiEEZZNS1_9scan_implILNS1_25lookback_scan_determinismE0ELb0ELb0ES3_N6thrust23THRUST_200600_302600_NS6detail15normal_iteratorINS9_10device_ptrIiEEEESE_i19const_ref_plus_mod3IiEiEEDaPvRmT3_T4_T5_mT6_P12ihipStream_tbENKUlT_T0_E_clISt17integral_constantIbLb0EESU_EEDaSP_SQ_EUlSP_E0_NS1_11comp_targetILNS1_3genE0ELNS1_11target_archE4294967295ELNS1_3gpuE0ELNS1_3repE0EEENS1_30default_config_static_selectorELNS0_4arch9wavefront6targetE1EEEvT1_,"axG",@progbits,_ZN7rocprim17ROCPRIM_400000_NS6detail17trampoline_kernelINS0_14default_configENS1_20scan_config_selectorIiEEZZNS1_9scan_implILNS1_25lookback_scan_determinismE0ELb0ELb0ES3_N6thrust23THRUST_200600_302600_NS6detail15normal_iteratorINS9_10device_ptrIiEEEESE_i19const_ref_plus_mod3IiEiEEDaPvRmT3_T4_T5_mT6_P12ihipStream_tbENKUlT_T0_E_clISt17integral_constantIbLb0EESU_EEDaSP_SQ_EUlSP_E0_NS1_11comp_targetILNS1_3genE0ELNS1_11target_archE4294967295ELNS1_3gpuE0ELNS1_3repE0EEENS1_30default_config_static_selectorELNS0_4arch9wavefront6targetE1EEEvT1_,comdat
.Lfunc_end6989:
	.size	_ZN7rocprim17ROCPRIM_400000_NS6detail17trampoline_kernelINS0_14default_configENS1_20scan_config_selectorIiEEZZNS1_9scan_implILNS1_25lookback_scan_determinismE0ELb0ELb0ES3_N6thrust23THRUST_200600_302600_NS6detail15normal_iteratorINS9_10device_ptrIiEEEESE_i19const_ref_plus_mod3IiEiEEDaPvRmT3_T4_T5_mT6_P12ihipStream_tbENKUlT_T0_E_clISt17integral_constantIbLb0EESU_EEDaSP_SQ_EUlSP_E0_NS1_11comp_targetILNS1_3genE0ELNS1_11target_archE4294967295ELNS1_3gpuE0ELNS1_3repE0EEENS1_30default_config_static_selectorELNS0_4arch9wavefront6targetE1EEEvT1_, .Lfunc_end6989-_ZN7rocprim17ROCPRIM_400000_NS6detail17trampoline_kernelINS0_14default_configENS1_20scan_config_selectorIiEEZZNS1_9scan_implILNS1_25lookback_scan_determinismE0ELb0ELb0ES3_N6thrust23THRUST_200600_302600_NS6detail15normal_iteratorINS9_10device_ptrIiEEEESE_i19const_ref_plus_mod3IiEiEEDaPvRmT3_T4_T5_mT6_P12ihipStream_tbENKUlT_T0_E_clISt17integral_constantIbLb0EESU_EEDaSP_SQ_EUlSP_E0_NS1_11comp_targetILNS1_3genE0ELNS1_11target_archE4294967295ELNS1_3gpuE0ELNS1_3repE0EEENS1_30default_config_static_selectorELNS0_4arch9wavefront6targetE1EEEvT1_
                                        ; -- End function
	.section	.AMDGPU.csdata,"",@progbits
; Kernel info:
; codeLenInByte = 0
; NumSgprs: 4
; NumVgprs: 0
; NumAgprs: 0
; TotalNumVgprs: 0
; ScratchSize: 0
; MemoryBound: 0
; FloatMode: 240
; IeeeMode: 1
; LDSByteSize: 0 bytes/workgroup (compile time only)
; SGPRBlocks: 0
; VGPRBlocks: 0
; NumSGPRsForWavesPerEU: 4
; NumVGPRsForWavesPerEU: 1
; AccumOffset: 4
; Occupancy: 8
; WaveLimiterHint : 0
; COMPUTE_PGM_RSRC2:SCRATCH_EN: 0
; COMPUTE_PGM_RSRC2:USER_SGPR: 6
; COMPUTE_PGM_RSRC2:TRAP_HANDLER: 0
; COMPUTE_PGM_RSRC2:TGID_X_EN: 1
; COMPUTE_PGM_RSRC2:TGID_Y_EN: 0
; COMPUTE_PGM_RSRC2:TGID_Z_EN: 0
; COMPUTE_PGM_RSRC2:TIDIG_COMP_CNT: 0
; COMPUTE_PGM_RSRC3_GFX90A:ACCUM_OFFSET: 0
; COMPUTE_PGM_RSRC3_GFX90A:TG_SPLIT: 0
	.section	.text._ZN7rocprim17ROCPRIM_400000_NS6detail17trampoline_kernelINS0_14default_configENS1_20scan_config_selectorIiEEZZNS1_9scan_implILNS1_25lookback_scan_determinismE0ELb0ELb0ES3_N6thrust23THRUST_200600_302600_NS6detail15normal_iteratorINS9_10device_ptrIiEEEESE_i19const_ref_plus_mod3IiEiEEDaPvRmT3_T4_T5_mT6_P12ihipStream_tbENKUlT_T0_E_clISt17integral_constantIbLb0EESU_EEDaSP_SQ_EUlSP_E0_NS1_11comp_targetILNS1_3genE5ELNS1_11target_archE942ELNS1_3gpuE9ELNS1_3repE0EEENS1_30default_config_static_selectorELNS0_4arch9wavefront6targetE1EEEvT1_,"axG",@progbits,_ZN7rocprim17ROCPRIM_400000_NS6detail17trampoline_kernelINS0_14default_configENS1_20scan_config_selectorIiEEZZNS1_9scan_implILNS1_25lookback_scan_determinismE0ELb0ELb0ES3_N6thrust23THRUST_200600_302600_NS6detail15normal_iteratorINS9_10device_ptrIiEEEESE_i19const_ref_plus_mod3IiEiEEDaPvRmT3_T4_T5_mT6_P12ihipStream_tbENKUlT_T0_E_clISt17integral_constantIbLb0EESU_EEDaSP_SQ_EUlSP_E0_NS1_11comp_targetILNS1_3genE5ELNS1_11target_archE942ELNS1_3gpuE9ELNS1_3repE0EEENS1_30default_config_static_selectorELNS0_4arch9wavefront6targetE1EEEvT1_,comdat
	.protected	_ZN7rocprim17ROCPRIM_400000_NS6detail17trampoline_kernelINS0_14default_configENS1_20scan_config_selectorIiEEZZNS1_9scan_implILNS1_25lookback_scan_determinismE0ELb0ELb0ES3_N6thrust23THRUST_200600_302600_NS6detail15normal_iteratorINS9_10device_ptrIiEEEESE_i19const_ref_plus_mod3IiEiEEDaPvRmT3_T4_T5_mT6_P12ihipStream_tbENKUlT_T0_E_clISt17integral_constantIbLb0EESU_EEDaSP_SQ_EUlSP_E0_NS1_11comp_targetILNS1_3genE5ELNS1_11target_archE942ELNS1_3gpuE9ELNS1_3repE0EEENS1_30default_config_static_selectorELNS0_4arch9wavefront6targetE1EEEvT1_ ; -- Begin function _ZN7rocprim17ROCPRIM_400000_NS6detail17trampoline_kernelINS0_14default_configENS1_20scan_config_selectorIiEEZZNS1_9scan_implILNS1_25lookback_scan_determinismE0ELb0ELb0ES3_N6thrust23THRUST_200600_302600_NS6detail15normal_iteratorINS9_10device_ptrIiEEEESE_i19const_ref_plus_mod3IiEiEEDaPvRmT3_T4_T5_mT6_P12ihipStream_tbENKUlT_T0_E_clISt17integral_constantIbLb0EESU_EEDaSP_SQ_EUlSP_E0_NS1_11comp_targetILNS1_3genE5ELNS1_11target_archE942ELNS1_3gpuE9ELNS1_3repE0EEENS1_30default_config_static_selectorELNS0_4arch9wavefront6targetE1EEEvT1_
	.globl	_ZN7rocprim17ROCPRIM_400000_NS6detail17trampoline_kernelINS0_14default_configENS1_20scan_config_selectorIiEEZZNS1_9scan_implILNS1_25lookback_scan_determinismE0ELb0ELb0ES3_N6thrust23THRUST_200600_302600_NS6detail15normal_iteratorINS9_10device_ptrIiEEEESE_i19const_ref_plus_mod3IiEiEEDaPvRmT3_T4_T5_mT6_P12ihipStream_tbENKUlT_T0_E_clISt17integral_constantIbLb0EESU_EEDaSP_SQ_EUlSP_E0_NS1_11comp_targetILNS1_3genE5ELNS1_11target_archE942ELNS1_3gpuE9ELNS1_3repE0EEENS1_30default_config_static_selectorELNS0_4arch9wavefront6targetE1EEEvT1_
	.p2align	8
	.type	_ZN7rocprim17ROCPRIM_400000_NS6detail17trampoline_kernelINS0_14default_configENS1_20scan_config_selectorIiEEZZNS1_9scan_implILNS1_25lookback_scan_determinismE0ELb0ELb0ES3_N6thrust23THRUST_200600_302600_NS6detail15normal_iteratorINS9_10device_ptrIiEEEESE_i19const_ref_plus_mod3IiEiEEDaPvRmT3_T4_T5_mT6_P12ihipStream_tbENKUlT_T0_E_clISt17integral_constantIbLb0EESU_EEDaSP_SQ_EUlSP_E0_NS1_11comp_targetILNS1_3genE5ELNS1_11target_archE942ELNS1_3gpuE9ELNS1_3repE0EEENS1_30default_config_static_selectorELNS0_4arch9wavefront6targetE1EEEvT1_,@function
_ZN7rocprim17ROCPRIM_400000_NS6detail17trampoline_kernelINS0_14default_configENS1_20scan_config_selectorIiEEZZNS1_9scan_implILNS1_25lookback_scan_determinismE0ELb0ELb0ES3_N6thrust23THRUST_200600_302600_NS6detail15normal_iteratorINS9_10device_ptrIiEEEESE_i19const_ref_plus_mod3IiEiEEDaPvRmT3_T4_T5_mT6_P12ihipStream_tbENKUlT_T0_E_clISt17integral_constantIbLb0EESU_EEDaSP_SQ_EUlSP_E0_NS1_11comp_targetILNS1_3genE5ELNS1_11target_archE942ELNS1_3gpuE9ELNS1_3repE0EEENS1_30default_config_static_selectorELNS0_4arch9wavefront6targetE1EEEvT1_: ; @_ZN7rocprim17ROCPRIM_400000_NS6detail17trampoline_kernelINS0_14default_configENS1_20scan_config_selectorIiEEZZNS1_9scan_implILNS1_25lookback_scan_determinismE0ELb0ELb0ES3_N6thrust23THRUST_200600_302600_NS6detail15normal_iteratorINS9_10device_ptrIiEEEESE_i19const_ref_plus_mod3IiEiEEDaPvRmT3_T4_T5_mT6_P12ihipStream_tbENKUlT_T0_E_clISt17integral_constantIbLb0EESU_EEDaSP_SQ_EUlSP_E0_NS1_11comp_targetILNS1_3genE5ELNS1_11target_archE942ELNS1_3gpuE9ELNS1_3repE0EEENS1_30default_config_static_selectorELNS0_4arch9wavefront6targetE1EEEvT1_
; %bb.0:
	.section	.rodata,"a",@progbits
	.p2align	6, 0x0
	.amdhsa_kernel _ZN7rocprim17ROCPRIM_400000_NS6detail17trampoline_kernelINS0_14default_configENS1_20scan_config_selectorIiEEZZNS1_9scan_implILNS1_25lookback_scan_determinismE0ELb0ELb0ES3_N6thrust23THRUST_200600_302600_NS6detail15normal_iteratorINS9_10device_ptrIiEEEESE_i19const_ref_plus_mod3IiEiEEDaPvRmT3_T4_T5_mT6_P12ihipStream_tbENKUlT_T0_E_clISt17integral_constantIbLb0EESU_EEDaSP_SQ_EUlSP_E0_NS1_11comp_targetILNS1_3genE5ELNS1_11target_archE942ELNS1_3gpuE9ELNS1_3repE0EEENS1_30default_config_static_selectorELNS0_4arch9wavefront6targetE1EEEvT1_
		.amdhsa_group_segment_fixed_size 0
		.amdhsa_private_segment_fixed_size 0
		.amdhsa_kernarg_size 40
		.amdhsa_user_sgpr_count 6
		.amdhsa_user_sgpr_private_segment_buffer 1
		.amdhsa_user_sgpr_dispatch_ptr 0
		.amdhsa_user_sgpr_queue_ptr 0
		.amdhsa_user_sgpr_kernarg_segment_ptr 1
		.amdhsa_user_sgpr_dispatch_id 0
		.amdhsa_user_sgpr_flat_scratch_init 0
		.amdhsa_user_sgpr_kernarg_preload_length 0
		.amdhsa_user_sgpr_kernarg_preload_offset 0
		.amdhsa_user_sgpr_private_segment_size 0
		.amdhsa_uses_dynamic_stack 0
		.amdhsa_system_sgpr_private_segment_wavefront_offset 0
		.amdhsa_system_sgpr_workgroup_id_x 1
		.amdhsa_system_sgpr_workgroup_id_y 0
		.amdhsa_system_sgpr_workgroup_id_z 0
		.amdhsa_system_sgpr_workgroup_info 0
		.amdhsa_system_vgpr_workitem_id 0
		.amdhsa_next_free_vgpr 1
		.amdhsa_next_free_sgpr 0
		.amdhsa_accum_offset 4
		.amdhsa_reserve_vcc 0
		.amdhsa_reserve_flat_scratch 0
		.amdhsa_float_round_mode_32 0
		.amdhsa_float_round_mode_16_64 0
		.amdhsa_float_denorm_mode_32 3
		.amdhsa_float_denorm_mode_16_64 3
		.amdhsa_dx10_clamp 1
		.amdhsa_ieee_mode 1
		.amdhsa_fp16_overflow 0
		.amdhsa_tg_split 0
		.amdhsa_exception_fp_ieee_invalid_op 0
		.amdhsa_exception_fp_denorm_src 0
		.amdhsa_exception_fp_ieee_div_zero 0
		.amdhsa_exception_fp_ieee_overflow 0
		.amdhsa_exception_fp_ieee_underflow 0
		.amdhsa_exception_fp_ieee_inexact 0
		.amdhsa_exception_int_div_zero 0
	.end_amdhsa_kernel
	.section	.text._ZN7rocprim17ROCPRIM_400000_NS6detail17trampoline_kernelINS0_14default_configENS1_20scan_config_selectorIiEEZZNS1_9scan_implILNS1_25lookback_scan_determinismE0ELb0ELb0ES3_N6thrust23THRUST_200600_302600_NS6detail15normal_iteratorINS9_10device_ptrIiEEEESE_i19const_ref_plus_mod3IiEiEEDaPvRmT3_T4_T5_mT6_P12ihipStream_tbENKUlT_T0_E_clISt17integral_constantIbLb0EESU_EEDaSP_SQ_EUlSP_E0_NS1_11comp_targetILNS1_3genE5ELNS1_11target_archE942ELNS1_3gpuE9ELNS1_3repE0EEENS1_30default_config_static_selectorELNS0_4arch9wavefront6targetE1EEEvT1_,"axG",@progbits,_ZN7rocprim17ROCPRIM_400000_NS6detail17trampoline_kernelINS0_14default_configENS1_20scan_config_selectorIiEEZZNS1_9scan_implILNS1_25lookback_scan_determinismE0ELb0ELb0ES3_N6thrust23THRUST_200600_302600_NS6detail15normal_iteratorINS9_10device_ptrIiEEEESE_i19const_ref_plus_mod3IiEiEEDaPvRmT3_T4_T5_mT6_P12ihipStream_tbENKUlT_T0_E_clISt17integral_constantIbLb0EESU_EEDaSP_SQ_EUlSP_E0_NS1_11comp_targetILNS1_3genE5ELNS1_11target_archE942ELNS1_3gpuE9ELNS1_3repE0EEENS1_30default_config_static_selectorELNS0_4arch9wavefront6targetE1EEEvT1_,comdat
.Lfunc_end6990:
	.size	_ZN7rocprim17ROCPRIM_400000_NS6detail17trampoline_kernelINS0_14default_configENS1_20scan_config_selectorIiEEZZNS1_9scan_implILNS1_25lookback_scan_determinismE0ELb0ELb0ES3_N6thrust23THRUST_200600_302600_NS6detail15normal_iteratorINS9_10device_ptrIiEEEESE_i19const_ref_plus_mod3IiEiEEDaPvRmT3_T4_T5_mT6_P12ihipStream_tbENKUlT_T0_E_clISt17integral_constantIbLb0EESU_EEDaSP_SQ_EUlSP_E0_NS1_11comp_targetILNS1_3genE5ELNS1_11target_archE942ELNS1_3gpuE9ELNS1_3repE0EEENS1_30default_config_static_selectorELNS0_4arch9wavefront6targetE1EEEvT1_, .Lfunc_end6990-_ZN7rocprim17ROCPRIM_400000_NS6detail17trampoline_kernelINS0_14default_configENS1_20scan_config_selectorIiEEZZNS1_9scan_implILNS1_25lookback_scan_determinismE0ELb0ELb0ES3_N6thrust23THRUST_200600_302600_NS6detail15normal_iteratorINS9_10device_ptrIiEEEESE_i19const_ref_plus_mod3IiEiEEDaPvRmT3_T4_T5_mT6_P12ihipStream_tbENKUlT_T0_E_clISt17integral_constantIbLb0EESU_EEDaSP_SQ_EUlSP_E0_NS1_11comp_targetILNS1_3genE5ELNS1_11target_archE942ELNS1_3gpuE9ELNS1_3repE0EEENS1_30default_config_static_selectorELNS0_4arch9wavefront6targetE1EEEvT1_
                                        ; -- End function
	.section	.AMDGPU.csdata,"",@progbits
; Kernel info:
; codeLenInByte = 0
; NumSgprs: 4
; NumVgprs: 0
; NumAgprs: 0
; TotalNumVgprs: 0
; ScratchSize: 0
; MemoryBound: 0
; FloatMode: 240
; IeeeMode: 1
; LDSByteSize: 0 bytes/workgroup (compile time only)
; SGPRBlocks: 0
; VGPRBlocks: 0
; NumSGPRsForWavesPerEU: 4
; NumVGPRsForWavesPerEU: 1
; AccumOffset: 4
; Occupancy: 8
; WaveLimiterHint : 0
; COMPUTE_PGM_RSRC2:SCRATCH_EN: 0
; COMPUTE_PGM_RSRC2:USER_SGPR: 6
; COMPUTE_PGM_RSRC2:TRAP_HANDLER: 0
; COMPUTE_PGM_RSRC2:TGID_X_EN: 1
; COMPUTE_PGM_RSRC2:TGID_Y_EN: 0
; COMPUTE_PGM_RSRC2:TGID_Z_EN: 0
; COMPUTE_PGM_RSRC2:TIDIG_COMP_CNT: 0
; COMPUTE_PGM_RSRC3_GFX90A:ACCUM_OFFSET: 0
; COMPUTE_PGM_RSRC3_GFX90A:TG_SPLIT: 0
	.section	.text._ZN7rocprim17ROCPRIM_400000_NS6detail17trampoline_kernelINS0_14default_configENS1_20scan_config_selectorIiEEZZNS1_9scan_implILNS1_25lookback_scan_determinismE0ELb0ELb0ES3_N6thrust23THRUST_200600_302600_NS6detail15normal_iteratorINS9_10device_ptrIiEEEESE_i19const_ref_plus_mod3IiEiEEDaPvRmT3_T4_T5_mT6_P12ihipStream_tbENKUlT_T0_E_clISt17integral_constantIbLb0EESU_EEDaSP_SQ_EUlSP_E0_NS1_11comp_targetILNS1_3genE4ELNS1_11target_archE910ELNS1_3gpuE8ELNS1_3repE0EEENS1_30default_config_static_selectorELNS0_4arch9wavefront6targetE1EEEvT1_,"axG",@progbits,_ZN7rocprim17ROCPRIM_400000_NS6detail17trampoline_kernelINS0_14default_configENS1_20scan_config_selectorIiEEZZNS1_9scan_implILNS1_25lookback_scan_determinismE0ELb0ELb0ES3_N6thrust23THRUST_200600_302600_NS6detail15normal_iteratorINS9_10device_ptrIiEEEESE_i19const_ref_plus_mod3IiEiEEDaPvRmT3_T4_T5_mT6_P12ihipStream_tbENKUlT_T0_E_clISt17integral_constantIbLb0EESU_EEDaSP_SQ_EUlSP_E0_NS1_11comp_targetILNS1_3genE4ELNS1_11target_archE910ELNS1_3gpuE8ELNS1_3repE0EEENS1_30default_config_static_selectorELNS0_4arch9wavefront6targetE1EEEvT1_,comdat
	.protected	_ZN7rocprim17ROCPRIM_400000_NS6detail17trampoline_kernelINS0_14default_configENS1_20scan_config_selectorIiEEZZNS1_9scan_implILNS1_25lookback_scan_determinismE0ELb0ELb0ES3_N6thrust23THRUST_200600_302600_NS6detail15normal_iteratorINS9_10device_ptrIiEEEESE_i19const_ref_plus_mod3IiEiEEDaPvRmT3_T4_T5_mT6_P12ihipStream_tbENKUlT_T0_E_clISt17integral_constantIbLb0EESU_EEDaSP_SQ_EUlSP_E0_NS1_11comp_targetILNS1_3genE4ELNS1_11target_archE910ELNS1_3gpuE8ELNS1_3repE0EEENS1_30default_config_static_selectorELNS0_4arch9wavefront6targetE1EEEvT1_ ; -- Begin function _ZN7rocprim17ROCPRIM_400000_NS6detail17trampoline_kernelINS0_14default_configENS1_20scan_config_selectorIiEEZZNS1_9scan_implILNS1_25lookback_scan_determinismE0ELb0ELb0ES3_N6thrust23THRUST_200600_302600_NS6detail15normal_iteratorINS9_10device_ptrIiEEEESE_i19const_ref_plus_mod3IiEiEEDaPvRmT3_T4_T5_mT6_P12ihipStream_tbENKUlT_T0_E_clISt17integral_constantIbLb0EESU_EEDaSP_SQ_EUlSP_E0_NS1_11comp_targetILNS1_3genE4ELNS1_11target_archE910ELNS1_3gpuE8ELNS1_3repE0EEENS1_30default_config_static_selectorELNS0_4arch9wavefront6targetE1EEEvT1_
	.globl	_ZN7rocprim17ROCPRIM_400000_NS6detail17trampoline_kernelINS0_14default_configENS1_20scan_config_selectorIiEEZZNS1_9scan_implILNS1_25lookback_scan_determinismE0ELb0ELb0ES3_N6thrust23THRUST_200600_302600_NS6detail15normal_iteratorINS9_10device_ptrIiEEEESE_i19const_ref_plus_mod3IiEiEEDaPvRmT3_T4_T5_mT6_P12ihipStream_tbENKUlT_T0_E_clISt17integral_constantIbLb0EESU_EEDaSP_SQ_EUlSP_E0_NS1_11comp_targetILNS1_3genE4ELNS1_11target_archE910ELNS1_3gpuE8ELNS1_3repE0EEENS1_30default_config_static_selectorELNS0_4arch9wavefront6targetE1EEEvT1_
	.p2align	8
	.type	_ZN7rocprim17ROCPRIM_400000_NS6detail17trampoline_kernelINS0_14default_configENS1_20scan_config_selectorIiEEZZNS1_9scan_implILNS1_25lookback_scan_determinismE0ELb0ELb0ES3_N6thrust23THRUST_200600_302600_NS6detail15normal_iteratorINS9_10device_ptrIiEEEESE_i19const_ref_plus_mod3IiEiEEDaPvRmT3_T4_T5_mT6_P12ihipStream_tbENKUlT_T0_E_clISt17integral_constantIbLb0EESU_EEDaSP_SQ_EUlSP_E0_NS1_11comp_targetILNS1_3genE4ELNS1_11target_archE910ELNS1_3gpuE8ELNS1_3repE0EEENS1_30default_config_static_selectorELNS0_4arch9wavefront6targetE1EEEvT1_,@function
_ZN7rocprim17ROCPRIM_400000_NS6detail17trampoline_kernelINS0_14default_configENS1_20scan_config_selectorIiEEZZNS1_9scan_implILNS1_25lookback_scan_determinismE0ELb0ELb0ES3_N6thrust23THRUST_200600_302600_NS6detail15normal_iteratorINS9_10device_ptrIiEEEESE_i19const_ref_plus_mod3IiEiEEDaPvRmT3_T4_T5_mT6_P12ihipStream_tbENKUlT_T0_E_clISt17integral_constantIbLb0EESU_EEDaSP_SQ_EUlSP_E0_NS1_11comp_targetILNS1_3genE4ELNS1_11target_archE910ELNS1_3gpuE8ELNS1_3repE0EEENS1_30default_config_static_selectorELNS0_4arch9wavefront6targetE1EEEvT1_: ; @_ZN7rocprim17ROCPRIM_400000_NS6detail17trampoline_kernelINS0_14default_configENS1_20scan_config_selectorIiEEZZNS1_9scan_implILNS1_25lookback_scan_determinismE0ELb0ELb0ES3_N6thrust23THRUST_200600_302600_NS6detail15normal_iteratorINS9_10device_ptrIiEEEESE_i19const_ref_plus_mod3IiEiEEDaPvRmT3_T4_T5_mT6_P12ihipStream_tbENKUlT_T0_E_clISt17integral_constantIbLb0EESU_EEDaSP_SQ_EUlSP_E0_NS1_11comp_targetILNS1_3genE4ELNS1_11target_archE910ELNS1_3gpuE8ELNS1_3repE0EEENS1_30default_config_static_selectorELNS0_4arch9wavefront6targetE1EEEvT1_
; %bb.0:
	s_load_dwordx4 s[24:27], s[4:5], 0x0
	v_lshlrev_b32_e32 v16, 2, v0
	s_waitcnt lgkmcnt(0)
	s_load_dword s27, s[24:25], 0x0
	v_cmp_gt_u32_e32 vcc, s26, v0
	s_waitcnt lgkmcnt(0)
	v_mov_b32_e32 v1, s27
	s_and_saveexec_b64 s[0:1], vcc
	s_cbranch_execz .LBB6991_2
; %bb.1:
	global_load_dword v1, v16, s[24:25]
.LBB6991_2:
	s_or_b64 exec, exec, s[0:1]
	v_or_b32_e32 v2, 0x80, v0
	v_cmp_gt_u32_e64 s[0:1], s26, v2
	v_mov_b32_e32 v2, s27
	s_and_saveexec_b64 s[2:3], s[0:1]
	s_cbranch_execz .LBB6991_4
; %bb.3:
	global_load_dword v2, v16, s[24:25] offset:512
.LBB6991_4:
	s_or_b64 exec, exec, s[2:3]
	v_or_b32_e32 v3, 0x100, v0
	v_cmp_gt_u32_e64 s[2:3], s26, v3
	v_mov_b32_e32 v3, s27
	s_and_saveexec_b64 s[6:7], s[2:3]
	s_cbranch_execz .LBB6991_6
; %bb.5:
	global_load_dword v3, v16, s[24:25] offset:1024
.LBB6991_6:
	;; [unrolled: 9-line block ×7, first 2 shown]
	s_or_b64 exec, exec, s[14:15]
	v_or_b32_e32 v10, 0x400, v0
	v_cmp_gt_u32_e64 s[14:15], s26, v10
	v_mov_b32_e32 v9, s27
	s_and_saveexec_b64 s[16:17], s[14:15]
	s_cbranch_execz .LBB6991_18
; %bb.17:
	v_lshlrev_b32_e32 v9, 2, v10
	global_load_dword v9, v9, s[24:25]
.LBB6991_18:
	s_or_b64 exec, exec, s[16:17]
	s_load_dwordx4 s[20:23], s[4:5], 0x18
	v_or_b32_e32 v11, 0x480, v0
	v_cmp_gt_u32_e64 s[16:17], s26, v11
	v_mov_b32_e32 v10, s27
	s_and_saveexec_b64 s[4:5], s[16:17]
	s_cbranch_execz .LBB6991_20
; %bb.19:
	v_lshlrev_b32_e32 v10, 2, v11
	global_load_dword v10, v10, s[24:25]
.LBB6991_20:
	s_or_b64 exec, exec, s[4:5]
	s_waitcnt vmcnt(0)
	ds_write2st64_b32 v16, v1, v2 offset1:2
	ds_write2st64_b32 v16, v3, v4 offset0:4 offset1:6
	ds_write2st64_b32 v16, v5, v6 offset0:8 offset1:10
	;; [unrolled: 1-line block ×4, first 2 shown]
	v_mad_u32_u24 v1, v0, 36, v16
	s_waitcnt lgkmcnt(0)
	s_barrier
	ds_read2_b64 v[2:5], v1 offset1:1
	ds_read2_b64 v[6:9], v1 offset0:2 offset1:3
	ds_read_b64 v[10:11], v1 offset:32
	v_mov_b32_e32 v1, s21
	s_waitcnt lgkmcnt(0)
	v_add_u32_e32 v12, v3, v2
	v_ashrrev_i32_e32 v13, 31, v12
	v_lshlrev_b64 v[14:15], 2, v[12:13]
	v_add_co_u32_e64 v14, s[4:5], s20, v14
	v_addc_co_u32_e64 v15, s[4:5], v1, v15, s[4:5]
	s_barrier
	global_load_dword v1, v[14:15], off
	v_mov_b32_e32 v17, s21
	s_waitcnt vmcnt(0)
	v_add_u32_e32 v14, v1, v4
	v_ashrrev_i32_e32 v15, 31, v14
	v_lshlrev_b64 v[14:15], 2, v[14:15]
	v_add_co_u32_e64 v14, s[4:5], s20, v14
	v_addc_co_u32_e64 v15, s[4:5], v17, v15, s[4:5]
	global_load_dword v1, v[14:15], off
	s_waitcnt vmcnt(0)
	v_add_u32_e32 v14, v1, v5
	v_ashrrev_i32_e32 v15, 31, v14
	v_lshlrev_b64 v[14:15], 2, v[14:15]
	v_add_co_u32_e64 v14, s[4:5], s20, v14
	v_addc_co_u32_e64 v15, s[4:5], v17, v15, s[4:5]
	global_load_dword v1, v[14:15], off
	;; [unrolled: 7-line block ×8, first 2 shown]
	v_lshrrev_b32_e32 v14, 3, v0
	v_and_b32_e32 v14, 12, v14
	v_add_u32_e32 v14, v16, v14
	v_cmp_gt_u32_e64 s[4:5], 64, v0
	s_waitcnt vmcnt(0)
	ds_write_b32 v14, v1
	s_waitcnt lgkmcnt(0)
	s_barrier
	s_and_saveexec_b64 s[24:25], s[4:5]
	s_cbranch_execz .LBB6991_34
; %bb.21:
	v_lshlrev_b32_e32 v14, 1, v0
	v_lshrrev_b32_e32 v15, 4, v0
	v_add_lshl_u32 v17, v15, v14, 2
	ds_read2_b32 v[14:15], v17 offset1:1
	v_mov_b32_e32 v20, s21
	s_waitcnt lgkmcnt(0)
	v_add_u32_e32 v18, v15, v14
	v_ashrrev_i32_e32 v19, 31, v18
	v_lshlrev_b64 v[18:19], 2, v[18:19]
	v_add_co_u32_e64 v18, s[4:5], s20, v18
	v_addc_co_u32_e64 v19, s[4:5], v20, v19, s[4:5]
	global_load_dword v18, v[18:19], off
	v_mbcnt_lo_u32_b32 v15, -1, 0
	v_mbcnt_hi_u32_b32 v15, -1, v15
	v_and_b32_e32 v19, 15, v15
	v_cmp_ne_u32_e64 s[4:5], 0, v19
	s_waitcnt vmcnt(0)
	v_mov_b32_dpp v20, v18 row_shr:1 row_mask:0xf bank_mask:0xf
	s_and_saveexec_b64 s[26:27], s[4:5]
	s_cbranch_execz .LBB6991_23
; %bb.22:
	v_add_u32_e32 v20, v20, v18
	v_ashrrev_i32_e32 v21, 31, v20
	v_lshlrev_b64 v[20:21], 2, v[20:21]
	v_mov_b32_e32 v18, s21
	v_add_co_u32_e64 v20, s[4:5], s20, v20
	v_addc_co_u32_e64 v21, s[4:5], v18, v21, s[4:5]
	global_load_dword v18, v[20:21], off
.LBB6991_23:
	s_or_b64 exec, exec, s[26:27]
	s_waitcnt vmcnt(0)
	v_mov_b32_dpp v20, v18 row_shr:2 row_mask:0xf bank_mask:0xf
	v_cmp_lt_u32_e64 s[4:5], 1, v19
	s_and_saveexec_b64 s[26:27], s[4:5]
	s_cbranch_execz .LBB6991_25
; %bb.24:
	v_add_u32_e32 v20, v20, v18
	v_ashrrev_i32_e32 v21, 31, v20
	v_lshlrev_b64 v[20:21], 2, v[20:21]
	v_mov_b32_e32 v18, s21
	v_add_co_u32_e64 v20, s[4:5], s20, v20
	v_addc_co_u32_e64 v21, s[4:5], v18, v21, s[4:5]
	global_load_dword v18, v[20:21], off
.LBB6991_25:
	s_or_b64 exec, exec, s[26:27]
	s_waitcnt vmcnt(0)
	v_mov_b32_dpp v20, v18 row_shr:4 row_mask:0xf bank_mask:0xf
	v_cmp_lt_u32_e64 s[4:5], 3, v19
	;; [unrolled: 15-line block ×3, first 2 shown]
	s_and_saveexec_b64 s[26:27], s[4:5]
	s_cbranch_execz .LBB6991_29
; %bb.28:
	v_add_u32_e32 v18, v20, v18
	v_ashrrev_i32_e32 v19, 31, v18
	v_lshlrev_b64 v[18:19], 2, v[18:19]
	v_mov_b32_e32 v20, s21
	v_add_co_u32_e64 v18, s[4:5], s20, v18
	v_addc_co_u32_e64 v19, s[4:5], v20, v19, s[4:5]
	global_load_dword v18, v[18:19], off
.LBB6991_29:
	s_or_b64 exec, exec, s[26:27]
	v_and_b32_e32 v20, 16, v15
	s_waitcnt vmcnt(0)
	v_mov_b32_dpp v19, v18 row_bcast:15 row_mask:0xf bank_mask:0xf
	v_cmp_ne_u32_e64 s[4:5], 0, v20
	s_and_saveexec_b64 s[26:27], s[4:5]
	s_cbranch_execz .LBB6991_31
; %bb.30:
	v_add_u32_e32 v18, v19, v18
	v_ashrrev_i32_e32 v19, 31, v18
	v_lshlrev_b64 v[18:19], 2, v[18:19]
	v_mov_b32_e32 v20, s21
	v_add_co_u32_e64 v18, s[4:5], s20, v18
	v_addc_co_u32_e64 v19, s[4:5], v20, v19, s[4:5]
	global_load_dword v18, v[18:19], off
.LBB6991_31:
	s_or_b64 exec, exec, s[26:27]
	s_waitcnt vmcnt(0)
	v_mov_b32_dpp v19, v18 row_bcast:31 row_mask:0xf bank_mask:0xf
	v_cmp_lt_u32_e64 s[4:5], 31, v15
	s_and_saveexec_b64 s[26:27], s[4:5]
	s_cbranch_execz .LBB6991_33
; %bb.32:
	v_add_u32_e32 v18, v19, v18
	v_ashrrev_i32_e32 v19, 31, v18
	v_lshlrev_b64 v[18:19], 2, v[18:19]
	v_mov_b32_e32 v20, s21
	v_add_co_u32_e64 v18, s[4:5], s20, v18
	v_addc_co_u32_e64 v19, s[4:5], v20, v19, s[4:5]
	global_load_dword v18, v[18:19], off
.LBB6991_33:
	s_or_b64 exec, exec, s[26:27]
	v_add_u32_e32 v19, -1, v15
	v_and_b32_e32 v20, 64, v15
	v_cmp_lt_i32_e64 s[4:5], v19, v20
	v_cndmask_b32_e64 v15, v19, v15, s[4:5]
	v_lshlrev_b32_e32 v15, 2, v15
	s_waitcnt vmcnt(0)
	ds_bpermute_b32 v15, v15, v18
	v_mov_b32_e32 v18, s21
	s_waitcnt lgkmcnt(0)
	v_add_u32_e32 v14, v15, v14
	v_ashrrev_i32_e32 v15, 31, v14
	v_lshlrev_b64 v[14:15], 2, v[14:15]
	v_add_co_u32_e64 v14, s[4:5], s20, v14
	v_addc_co_u32_e64 v15, s[4:5], v18, v15, s[4:5]
	global_load_dword v14, v[14:15], off
	v_cmp_eq_u32_e64 s[4:5], 0, v0
	; wave barrier
	s_waitcnt vmcnt(0)
	v_cndmask_b32_e64 v14, v14, v1, s[4:5]
	ds_write_b32 v17, v14
	; wave barrier
	ds_read_b32 v15, v17 offset:4
	s_waitcnt lgkmcnt(0)
	v_add_u32_e32 v14, v15, v14
	v_ashrrev_i32_e32 v15, 31, v14
	v_lshlrev_b64 v[14:15], 2, v[14:15]
	v_add_co_u32_e64 v14, s[4:5], s20, v14
	v_addc_co_u32_e64 v15, s[4:5], v18, v15, s[4:5]
	global_load_dword v14, v[14:15], off
	s_waitcnt vmcnt(0)
	ds_write_b32 v17, v14 offset:4
.LBB6991_34:
	s_or_b64 exec, exec, s[24:25]
	v_mul_u32_u24_e32 v14, 36, v0
	v_cmp_ne_u32_e64 s[4:5], 0, v0
	s_waitcnt lgkmcnt(0)
	s_barrier
	s_and_saveexec_b64 s[24:25], s[4:5]
	s_cbranch_execz .LBB6991_36
; %bb.35:
	v_add_u32_e32 v0, -1, v0
	v_lshrrev_b32_e32 v1, 5, v0
	v_add_lshl_u32 v0, v1, v0, 2
	ds_read_b32 v1, v0
.LBB6991_36:
	s_or_b64 exec, exec, s[24:25]
	s_and_saveexec_b64 s[24:25], s[4:5]
	s_cbranch_execz .LBB6991_38
; %bb.37:
	s_waitcnt lgkmcnt(0)
	v_add_u32_e32 v0, v1, v2
	v_ashrrev_i32_e32 v1, 31, v0
	v_lshlrev_b64 v[0:1], 2, v[0:1]
	v_mov_b32_e32 v2, s21
	v_add_co_u32_e64 v0, s[4:5], s20, v0
	v_addc_co_u32_e64 v1, s[4:5], v2, v1, s[4:5]
	global_load_dword v2, v[0:1], off
	;;#ASMSTART
	;;#ASMEND
	s_waitcnt vmcnt(0)
	v_add_u32_e32 v12, v2, v3
	v_ashrrev_i32_e32 v13, 31, v12
.LBB6991_38:
	s_or_b64 exec, exec, s[24:25]
	s_waitcnt lgkmcnt(0)
	v_lshlrev_b64 v[0:1], 2, v[12:13]
	v_mov_b32_e32 v3, s21
	v_add_co_u32_e64 v0, s[4:5], s20, v0
	v_addc_co_u32_e64 v1, s[4:5], v3, v1, s[4:5]
	global_load_dword v12, v[0:1], off
	s_waitcnt vmcnt(0)
	v_add_u32_e32 v0, v12, v4
	v_ashrrev_i32_e32 v1, 31, v0
	v_lshlrev_b64 v[0:1], 2, v[0:1]
	v_add_co_u32_e64 v0, s[4:5], s20, v0
	v_addc_co_u32_e64 v1, s[4:5], v3, v1, s[4:5]
	global_load_dword v4, v[0:1], off
	s_waitcnt vmcnt(0)
	v_add_u32_e32 v0, v4, v5
	v_ashrrev_i32_e32 v1, 31, v0
	v_lshlrev_b64 v[0:1], 2, v[0:1]
	;; [unrolled: 7-line block ×8, first 2 shown]
	v_add_co_u32_e64 v0, s[4:5], s20, v0
	v_addc_co_u32_e64 v1, s[4:5], v3, v1, s[4:5]
	global_load_dword v0, v[0:1], off
	v_add_u32_e32 v1, v16, v14
	s_barrier
	ds_write2_b32 v1, v12, v4 offset0:1 offset1:2
	ds_write2_b32 v1, v5, v6 offset0:3 offset1:4
	;; [unrolled: 1-line block ×4, first 2 shown]
	s_waitcnt vmcnt(0)
	ds_write2_b32 v1, v2, v0 offset1:9
	s_waitcnt lgkmcnt(0)
	s_barrier
	ds_read2st64_b32 v[8:9], v16 offset0:2 offset1:4
	ds_read2st64_b32 v[6:7], v16 offset0:6 offset1:8
	;; [unrolled: 1-line block ×4, first 2 shown]
	ds_read_b32 v10, v16 offset:4608
	v_mov_b32_e32 v1, s23
	v_add_co_u32_e64 v0, s[4:5], s22, v16
	v_addc_co_u32_e64 v1, s[4:5], 0, v1, s[4:5]
	s_and_saveexec_b64 s[4:5], vcc
	s_cbranch_execnz .LBB6991_49
; %bb.39:
	s_or_b64 exec, exec, s[4:5]
	s_and_saveexec_b64 s[4:5], s[0:1]
	s_cbranch_execnz .LBB6991_50
.LBB6991_40:
	s_or_b64 exec, exec, s[4:5]
	s_and_saveexec_b64 s[0:1], s[2:3]
	s_cbranch_execnz .LBB6991_51
.LBB6991_41:
	s_or_b64 exec, exec, s[0:1]
	s_and_saveexec_b64 s[0:1], s[18:19]
	s_cbranch_execnz .LBB6991_52
.LBB6991_42:
	s_or_b64 exec, exec, s[0:1]
	s_and_saveexec_b64 s[0:1], s[6:7]
	s_cbranch_execnz .LBB6991_53
.LBB6991_43:
	s_or_b64 exec, exec, s[0:1]
	s_and_saveexec_b64 s[0:1], s[8:9]
	s_cbranch_execnz .LBB6991_54
.LBB6991_44:
	s_or_b64 exec, exec, s[0:1]
	s_and_saveexec_b64 s[0:1], s[10:11]
	s_cbranch_execnz .LBB6991_55
.LBB6991_45:
	s_or_b64 exec, exec, s[0:1]
	s_and_saveexec_b64 s[0:1], s[12:13]
	s_cbranch_execnz .LBB6991_56
.LBB6991_46:
	s_or_b64 exec, exec, s[0:1]
	s_and_saveexec_b64 s[0:1], s[14:15]
	s_cbranch_execnz .LBB6991_57
.LBB6991_47:
	s_or_b64 exec, exec, s[0:1]
	s_and_saveexec_b64 s[0:1], s[16:17]
	s_cbranch_execnz .LBB6991_58
.LBB6991_48:
	s_endpgm
.LBB6991_49:
	ds_read_b32 v11, v16
	s_waitcnt lgkmcnt(0)
	global_store_dword v[0:1], v11, off
	s_or_b64 exec, exec, s[4:5]
	s_and_saveexec_b64 s[4:5], s[0:1]
	s_cbranch_execz .LBB6991_40
.LBB6991_50:
	s_waitcnt lgkmcnt(4)
	global_store_dword v[0:1], v8, off offset:512
	s_or_b64 exec, exec, s[4:5]
	s_and_saveexec_b64 s[0:1], s[2:3]
	s_cbranch_execz .LBB6991_41
.LBB6991_51:
	s_waitcnt lgkmcnt(4)
	global_store_dword v[0:1], v9, off offset:1024
	s_or_b64 exec, exec, s[0:1]
	s_and_saveexec_b64 s[0:1], s[18:19]
	s_cbranch_execz .LBB6991_42
.LBB6991_52:
	s_waitcnt lgkmcnt(3)
	global_store_dword v[0:1], v6, off offset:1536
	s_or_b64 exec, exec, s[0:1]
	s_and_saveexec_b64 s[0:1], s[6:7]
	s_cbranch_execz .LBB6991_43
.LBB6991_53:
	s_waitcnt lgkmcnt(3)
	global_store_dword v[0:1], v7, off offset:2048
	s_or_b64 exec, exec, s[0:1]
	s_and_saveexec_b64 s[0:1], s[8:9]
	s_cbranch_execz .LBB6991_44
.LBB6991_54:
	s_waitcnt lgkmcnt(2)
	global_store_dword v[0:1], v4, off offset:2560
	s_or_b64 exec, exec, s[0:1]
	s_and_saveexec_b64 s[0:1], s[10:11]
	s_cbranch_execz .LBB6991_45
.LBB6991_55:
	s_waitcnt lgkmcnt(2)
	global_store_dword v[0:1], v5, off offset:3072
	s_or_b64 exec, exec, s[0:1]
	s_and_saveexec_b64 s[0:1], s[12:13]
	s_cbranch_execz .LBB6991_46
.LBB6991_56:
	s_waitcnt lgkmcnt(1)
	global_store_dword v[0:1], v2, off offset:3584
	s_or_b64 exec, exec, s[0:1]
	s_and_saveexec_b64 s[0:1], s[14:15]
	s_cbranch_execz .LBB6991_47
.LBB6991_57:
	s_waitcnt lgkmcnt(2)
	v_add_co_u32_e32 v4, vcc, 0x1000, v0
	v_addc_co_u32_e32 v5, vcc, 0, v1, vcc
	s_waitcnt lgkmcnt(1)
	global_store_dword v[4:5], v3, off
	s_or_b64 exec, exec, s[0:1]
	s_and_saveexec_b64 s[0:1], s[16:17]
	s_cbranch_execz .LBB6991_48
.LBB6991_58:
	v_add_co_u32_e32 v0, vcc, 0x1000, v0
	v_addc_co_u32_e32 v1, vcc, 0, v1, vcc
	s_waitcnt lgkmcnt(0)
	global_store_dword v[0:1], v10, off offset:512
	s_endpgm
	.section	.rodata,"a",@progbits
	.p2align	6, 0x0
	.amdhsa_kernel _ZN7rocprim17ROCPRIM_400000_NS6detail17trampoline_kernelINS0_14default_configENS1_20scan_config_selectorIiEEZZNS1_9scan_implILNS1_25lookback_scan_determinismE0ELb0ELb0ES3_N6thrust23THRUST_200600_302600_NS6detail15normal_iteratorINS9_10device_ptrIiEEEESE_i19const_ref_plus_mod3IiEiEEDaPvRmT3_T4_T5_mT6_P12ihipStream_tbENKUlT_T0_E_clISt17integral_constantIbLb0EESU_EEDaSP_SQ_EUlSP_E0_NS1_11comp_targetILNS1_3genE4ELNS1_11target_archE910ELNS1_3gpuE8ELNS1_3repE0EEENS1_30default_config_static_selectorELNS0_4arch9wavefront6targetE1EEEvT1_
		.amdhsa_group_segment_fixed_size 5120
		.amdhsa_private_segment_fixed_size 0
		.amdhsa_kernarg_size 40
		.amdhsa_user_sgpr_count 6
		.amdhsa_user_sgpr_private_segment_buffer 1
		.amdhsa_user_sgpr_dispatch_ptr 0
		.amdhsa_user_sgpr_queue_ptr 0
		.amdhsa_user_sgpr_kernarg_segment_ptr 1
		.amdhsa_user_sgpr_dispatch_id 0
		.amdhsa_user_sgpr_flat_scratch_init 0
		.amdhsa_user_sgpr_kernarg_preload_length 0
		.amdhsa_user_sgpr_kernarg_preload_offset 0
		.amdhsa_user_sgpr_private_segment_size 0
		.amdhsa_uses_dynamic_stack 0
		.amdhsa_system_sgpr_private_segment_wavefront_offset 0
		.amdhsa_system_sgpr_workgroup_id_x 1
		.amdhsa_system_sgpr_workgroup_id_y 0
		.amdhsa_system_sgpr_workgroup_id_z 0
		.amdhsa_system_sgpr_workgroup_info 0
		.amdhsa_system_vgpr_workitem_id 0
		.amdhsa_next_free_vgpr 22
		.amdhsa_next_free_sgpr 28
		.amdhsa_accum_offset 24
		.amdhsa_reserve_vcc 1
		.amdhsa_reserve_flat_scratch 0
		.amdhsa_float_round_mode_32 0
		.amdhsa_float_round_mode_16_64 0
		.amdhsa_float_denorm_mode_32 3
		.amdhsa_float_denorm_mode_16_64 3
		.amdhsa_dx10_clamp 1
		.amdhsa_ieee_mode 1
		.amdhsa_fp16_overflow 0
		.amdhsa_tg_split 0
		.amdhsa_exception_fp_ieee_invalid_op 0
		.amdhsa_exception_fp_denorm_src 0
		.amdhsa_exception_fp_ieee_div_zero 0
		.amdhsa_exception_fp_ieee_overflow 0
		.amdhsa_exception_fp_ieee_underflow 0
		.amdhsa_exception_fp_ieee_inexact 0
		.amdhsa_exception_int_div_zero 0
	.end_amdhsa_kernel
	.section	.text._ZN7rocprim17ROCPRIM_400000_NS6detail17trampoline_kernelINS0_14default_configENS1_20scan_config_selectorIiEEZZNS1_9scan_implILNS1_25lookback_scan_determinismE0ELb0ELb0ES3_N6thrust23THRUST_200600_302600_NS6detail15normal_iteratorINS9_10device_ptrIiEEEESE_i19const_ref_plus_mod3IiEiEEDaPvRmT3_T4_T5_mT6_P12ihipStream_tbENKUlT_T0_E_clISt17integral_constantIbLb0EESU_EEDaSP_SQ_EUlSP_E0_NS1_11comp_targetILNS1_3genE4ELNS1_11target_archE910ELNS1_3gpuE8ELNS1_3repE0EEENS1_30default_config_static_selectorELNS0_4arch9wavefront6targetE1EEEvT1_,"axG",@progbits,_ZN7rocprim17ROCPRIM_400000_NS6detail17trampoline_kernelINS0_14default_configENS1_20scan_config_selectorIiEEZZNS1_9scan_implILNS1_25lookback_scan_determinismE0ELb0ELb0ES3_N6thrust23THRUST_200600_302600_NS6detail15normal_iteratorINS9_10device_ptrIiEEEESE_i19const_ref_plus_mod3IiEiEEDaPvRmT3_T4_T5_mT6_P12ihipStream_tbENKUlT_T0_E_clISt17integral_constantIbLb0EESU_EEDaSP_SQ_EUlSP_E0_NS1_11comp_targetILNS1_3genE4ELNS1_11target_archE910ELNS1_3gpuE8ELNS1_3repE0EEENS1_30default_config_static_selectorELNS0_4arch9wavefront6targetE1EEEvT1_,comdat
.Lfunc_end6991:
	.size	_ZN7rocprim17ROCPRIM_400000_NS6detail17trampoline_kernelINS0_14default_configENS1_20scan_config_selectorIiEEZZNS1_9scan_implILNS1_25lookback_scan_determinismE0ELb0ELb0ES3_N6thrust23THRUST_200600_302600_NS6detail15normal_iteratorINS9_10device_ptrIiEEEESE_i19const_ref_plus_mod3IiEiEEDaPvRmT3_T4_T5_mT6_P12ihipStream_tbENKUlT_T0_E_clISt17integral_constantIbLb0EESU_EEDaSP_SQ_EUlSP_E0_NS1_11comp_targetILNS1_3genE4ELNS1_11target_archE910ELNS1_3gpuE8ELNS1_3repE0EEENS1_30default_config_static_selectorELNS0_4arch9wavefront6targetE1EEEvT1_, .Lfunc_end6991-_ZN7rocprim17ROCPRIM_400000_NS6detail17trampoline_kernelINS0_14default_configENS1_20scan_config_selectorIiEEZZNS1_9scan_implILNS1_25lookback_scan_determinismE0ELb0ELb0ES3_N6thrust23THRUST_200600_302600_NS6detail15normal_iteratorINS9_10device_ptrIiEEEESE_i19const_ref_plus_mod3IiEiEEDaPvRmT3_T4_T5_mT6_P12ihipStream_tbENKUlT_T0_E_clISt17integral_constantIbLb0EESU_EEDaSP_SQ_EUlSP_E0_NS1_11comp_targetILNS1_3genE4ELNS1_11target_archE910ELNS1_3gpuE8ELNS1_3repE0EEENS1_30default_config_static_selectorELNS0_4arch9wavefront6targetE1EEEvT1_
                                        ; -- End function
	.section	.AMDGPU.csdata,"",@progbits
; Kernel info:
; codeLenInByte = 2736
; NumSgprs: 32
; NumVgprs: 22
; NumAgprs: 0
; TotalNumVgprs: 22
; ScratchSize: 0
; MemoryBound: 0
; FloatMode: 240
; IeeeMode: 1
; LDSByteSize: 5120 bytes/workgroup (compile time only)
; SGPRBlocks: 3
; VGPRBlocks: 2
; NumSGPRsForWavesPerEU: 32
; NumVGPRsForWavesPerEU: 22
; AccumOffset: 24
; Occupancy: 6
; WaveLimiterHint : 1
; COMPUTE_PGM_RSRC2:SCRATCH_EN: 0
; COMPUTE_PGM_RSRC2:USER_SGPR: 6
; COMPUTE_PGM_RSRC2:TRAP_HANDLER: 0
; COMPUTE_PGM_RSRC2:TGID_X_EN: 1
; COMPUTE_PGM_RSRC2:TGID_Y_EN: 0
; COMPUTE_PGM_RSRC2:TGID_Z_EN: 0
; COMPUTE_PGM_RSRC2:TIDIG_COMP_CNT: 0
; COMPUTE_PGM_RSRC3_GFX90A:ACCUM_OFFSET: 5
; COMPUTE_PGM_RSRC3_GFX90A:TG_SPLIT: 0
	.section	.text._ZN7rocprim17ROCPRIM_400000_NS6detail17trampoline_kernelINS0_14default_configENS1_20scan_config_selectorIiEEZZNS1_9scan_implILNS1_25lookback_scan_determinismE0ELb0ELb0ES3_N6thrust23THRUST_200600_302600_NS6detail15normal_iteratorINS9_10device_ptrIiEEEESE_i19const_ref_plus_mod3IiEiEEDaPvRmT3_T4_T5_mT6_P12ihipStream_tbENKUlT_T0_E_clISt17integral_constantIbLb0EESU_EEDaSP_SQ_EUlSP_E0_NS1_11comp_targetILNS1_3genE3ELNS1_11target_archE908ELNS1_3gpuE7ELNS1_3repE0EEENS1_30default_config_static_selectorELNS0_4arch9wavefront6targetE1EEEvT1_,"axG",@progbits,_ZN7rocprim17ROCPRIM_400000_NS6detail17trampoline_kernelINS0_14default_configENS1_20scan_config_selectorIiEEZZNS1_9scan_implILNS1_25lookback_scan_determinismE0ELb0ELb0ES3_N6thrust23THRUST_200600_302600_NS6detail15normal_iteratorINS9_10device_ptrIiEEEESE_i19const_ref_plus_mod3IiEiEEDaPvRmT3_T4_T5_mT6_P12ihipStream_tbENKUlT_T0_E_clISt17integral_constantIbLb0EESU_EEDaSP_SQ_EUlSP_E0_NS1_11comp_targetILNS1_3genE3ELNS1_11target_archE908ELNS1_3gpuE7ELNS1_3repE0EEENS1_30default_config_static_selectorELNS0_4arch9wavefront6targetE1EEEvT1_,comdat
	.protected	_ZN7rocprim17ROCPRIM_400000_NS6detail17trampoline_kernelINS0_14default_configENS1_20scan_config_selectorIiEEZZNS1_9scan_implILNS1_25lookback_scan_determinismE0ELb0ELb0ES3_N6thrust23THRUST_200600_302600_NS6detail15normal_iteratorINS9_10device_ptrIiEEEESE_i19const_ref_plus_mod3IiEiEEDaPvRmT3_T4_T5_mT6_P12ihipStream_tbENKUlT_T0_E_clISt17integral_constantIbLb0EESU_EEDaSP_SQ_EUlSP_E0_NS1_11comp_targetILNS1_3genE3ELNS1_11target_archE908ELNS1_3gpuE7ELNS1_3repE0EEENS1_30default_config_static_selectorELNS0_4arch9wavefront6targetE1EEEvT1_ ; -- Begin function _ZN7rocprim17ROCPRIM_400000_NS6detail17trampoline_kernelINS0_14default_configENS1_20scan_config_selectorIiEEZZNS1_9scan_implILNS1_25lookback_scan_determinismE0ELb0ELb0ES3_N6thrust23THRUST_200600_302600_NS6detail15normal_iteratorINS9_10device_ptrIiEEEESE_i19const_ref_plus_mod3IiEiEEDaPvRmT3_T4_T5_mT6_P12ihipStream_tbENKUlT_T0_E_clISt17integral_constantIbLb0EESU_EEDaSP_SQ_EUlSP_E0_NS1_11comp_targetILNS1_3genE3ELNS1_11target_archE908ELNS1_3gpuE7ELNS1_3repE0EEENS1_30default_config_static_selectorELNS0_4arch9wavefront6targetE1EEEvT1_
	.globl	_ZN7rocprim17ROCPRIM_400000_NS6detail17trampoline_kernelINS0_14default_configENS1_20scan_config_selectorIiEEZZNS1_9scan_implILNS1_25lookback_scan_determinismE0ELb0ELb0ES3_N6thrust23THRUST_200600_302600_NS6detail15normal_iteratorINS9_10device_ptrIiEEEESE_i19const_ref_plus_mod3IiEiEEDaPvRmT3_T4_T5_mT6_P12ihipStream_tbENKUlT_T0_E_clISt17integral_constantIbLb0EESU_EEDaSP_SQ_EUlSP_E0_NS1_11comp_targetILNS1_3genE3ELNS1_11target_archE908ELNS1_3gpuE7ELNS1_3repE0EEENS1_30default_config_static_selectorELNS0_4arch9wavefront6targetE1EEEvT1_
	.p2align	8
	.type	_ZN7rocprim17ROCPRIM_400000_NS6detail17trampoline_kernelINS0_14default_configENS1_20scan_config_selectorIiEEZZNS1_9scan_implILNS1_25lookback_scan_determinismE0ELb0ELb0ES3_N6thrust23THRUST_200600_302600_NS6detail15normal_iteratorINS9_10device_ptrIiEEEESE_i19const_ref_plus_mod3IiEiEEDaPvRmT3_T4_T5_mT6_P12ihipStream_tbENKUlT_T0_E_clISt17integral_constantIbLb0EESU_EEDaSP_SQ_EUlSP_E0_NS1_11comp_targetILNS1_3genE3ELNS1_11target_archE908ELNS1_3gpuE7ELNS1_3repE0EEENS1_30default_config_static_selectorELNS0_4arch9wavefront6targetE1EEEvT1_,@function
_ZN7rocprim17ROCPRIM_400000_NS6detail17trampoline_kernelINS0_14default_configENS1_20scan_config_selectorIiEEZZNS1_9scan_implILNS1_25lookback_scan_determinismE0ELb0ELb0ES3_N6thrust23THRUST_200600_302600_NS6detail15normal_iteratorINS9_10device_ptrIiEEEESE_i19const_ref_plus_mod3IiEiEEDaPvRmT3_T4_T5_mT6_P12ihipStream_tbENKUlT_T0_E_clISt17integral_constantIbLb0EESU_EEDaSP_SQ_EUlSP_E0_NS1_11comp_targetILNS1_3genE3ELNS1_11target_archE908ELNS1_3gpuE7ELNS1_3repE0EEENS1_30default_config_static_selectorELNS0_4arch9wavefront6targetE1EEEvT1_: ; @_ZN7rocprim17ROCPRIM_400000_NS6detail17trampoline_kernelINS0_14default_configENS1_20scan_config_selectorIiEEZZNS1_9scan_implILNS1_25lookback_scan_determinismE0ELb0ELb0ES3_N6thrust23THRUST_200600_302600_NS6detail15normal_iteratorINS9_10device_ptrIiEEEESE_i19const_ref_plus_mod3IiEiEEDaPvRmT3_T4_T5_mT6_P12ihipStream_tbENKUlT_T0_E_clISt17integral_constantIbLb0EESU_EEDaSP_SQ_EUlSP_E0_NS1_11comp_targetILNS1_3genE3ELNS1_11target_archE908ELNS1_3gpuE7ELNS1_3repE0EEENS1_30default_config_static_selectorELNS0_4arch9wavefront6targetE1EEEvT1_
; %bb.0:
	.section	.rodata,"a",@progbits
	.p2align	6, 0x0
	.amdhsa_kernel _ZN7rocprim17ROCPRIM_400000_NS6detail17trampoline_kernelINS0_14default_configENS1_20scan_config_selectorIiEEZZNS1_9scan_implILNS1_25lookback_scan_determinismE0ELb0ELb0ES3_N6thrust23THRUST_200600_302600_NS6detail15normal_iteratorINS9_10device_ptrIiEEEESE_i19const_ref_plus_mod3IiEiEEDaPvRmT3_T4_T5_mT6_P12ihipStream_tbENKUlT_T0_E_clISt17integral_constantIbLb0EESU_EEDaSP_SQ_EUlSP_E0_NS1_11comp_targetILNS1_3genE3ELNS1_11target_archE908ELNS1_3gpuE7ELNS1_3repE0EEENS1_30default_config_static_selectorELNS0_4arch9wavefront6targetE1EEEvT1_
		.amdhsa_group_segment_fixed_size 0
		.amdhsa_private_segment_fixed_size 0
		.amdhsa_kernarg_size 40
		.amdhsa_user_sgpr_count 6
		.amdhsa_user_sgpr_private_segment_buffer 1
		.amdhsa_user_sgpr_dispatch_ptr 0
		.amdhsa_user_sgpr_queue_ptr 0
		.amdhsa_user_sgpr_kernarg_segment_ptr 1
		.amdhsa_user_sgpr_dispatch_id 0
		.amdhsa_user_sgpr_flat_scratch_init 0
		.amdhsa_user_sgpr_kernarg_preload_length 0
		.amdhsa_user_sgpr_kernarg_preload_offset 0
		.amdhsa_user_sgpr_private_segment_size 0
		.amdhsa_uses_dynamic_stack 0
		.amdhsa_system_sgpr_private_segment_wavefront_offset 0
		.amdhsa_system_sgpr_workgroup_id_x 1
		.amdhsa_system_sgpr_workgroup_id_y 0
		.amdhsa_system_sgpr_workgroup_id_z 0
		.amdhsa_system_sgpr_workgroup_info 0
		.amdhsa_system_vgpr_workitem_id 0
		.amdhsa_next_free_vgpr 1
		.amdhsa_next_free_sgpr 0
		.amdhsa_accum_offset 4
		.amdhsa_reserve_vcc 0
		.amdhsa_reserve_flat_scratch 0
		.amdhsa_float_round_mode_32 0
		.amdhsa_float_round_mode_16_64 0
		.amdhsa_float_denorm_mode_32 3
		.amdhsa_float_denorm_mode_16_64 3
		.amdhsa_dx10_clamp 1
		.amdhsa_ieee_mode 1
		.amdhsa_fp16_overflow 0
		.amdhsa_tg_split 0
		.amdhsa_exception_fp_ieee_invalid_op 0
		.amdhsa_exception_fp_denorm_src 0
		.amdhsa_exception_fp_ieee_div_zero 0
		.amdhsa_exception_fp_ieee_overflow 0
		.amdhsa_exception_fp_ieee_underflow 0
		.amdhsa_exception_fp_ieee_inexact 0
		.amdhsa_exception_int_div_zero 0
	.end_amdhsa_kernel
	.section	.text._ZN7rocprim17ROCPRIM_400000_NS6detail17trampoline_kernelINS0_14default_configENS1_20scan_config_selectorIiEEZZNS1_9scan_implILNS1_25lookback_scan_determinismE0ELb0ELb0ES3_N6thrust23THRUST_200600_302600_NS6detail15normal_iteratorINS9_10device_ptrIiEEEESE_i19const_ref_plus_mod3IiEiEEDaPvRmT3_T4_T5_mT6_P12ihipStream_tbENKUlT_T0_E_clISt17integral_constantIbLb0EESU_EEDaSP_SQ_EUlSP_E0_NS1_11comp_targetILNS1_3genE3ELNS1_11target_archE908ELNS1_3gpuE7ELNS1_3repE0EEENS1_30default_config_static_selectorELNS0_4arch9wavefront6targetE1EEEvT1_,"axG",@progbits,_ZN7rocprim17ROCPRIM_400000_NS6detail17trampoline_kernelINS0_14default_configENS1_20scan_config_selectorIiEEZZNS1_9scan_implILNS1_25lookback_scan_determinismE0ELb0ELb0ES3_N6thrust23THRUST_200600_302600_NS6detail15normal_iteratorINS9_10device_ptrIiEEEESE_i19const_ref_plus_mod3IiEiEEDaPvRmT3_T4_T5_mT6_P12ihipStream_tbENKUlT_T0_E_clISt17integral_constantIbLb0EESU_EEDaSP_SQ_EUlSP_E0_NS1_11comp_targetILNS1_3genE3ELNS1_11target_archE908ELNS1_3gpuE7ELNS1_3repE0EEENS1_30default_config_static_selectorELNS0_4arch9wavefront6targetE1EEEvT1_,comdat
.Lfunc_end6992:
	.size	_ZN7rocprim17ROCPRIM_400000_NS6detail17trampoline_kernelINS0_14default_configENS1_20scan_config_selectorIiEEZZNS1_9scan_implILNS1_25lookback_scan_determinismE0ELb0ELb0ES3_N6thrust23THRUST_200600_302600_NS6detail15normal_iteratorINS9_10device_ptrIiEEEESE_i19const_ref_plus_mod3IiEiEEDaPvRmT3_T4_T5_mT6_P12ihipStream_tbENKUlT_T0_E_clISt17integral_constantIbLb0EESU_EEDaSP_SQ_EUlSP_E0_NS1_11comp_targetILNS1_3genE3ELNS1_11target_archE908ELNS1_3gpuE7ELNS1_3repE0EEENS1_30default_config_static_selectorELNS0_4arch9wavefront6targetE1EEEvT1_, .Lfunc_end6992-_ZN7rocprim17ROCPRIM_400000_NS6detail17trampoline_kernelINS0_14default_configENS1_20scan_config_selectorIiEEZZNS1_9scan_implILNS1_25lookback_scan_determinismE0ELb0ELb0ES3_N6thrust23THRUST_200600_302600_NS6detail15normal_iteratorINS9_10device_ptrIiEEEESE_i19const_ref_plus_mod3IiEiEEDaPvRmT3_T4_T5_mT6_P12ihipStream_tbENKUlT_T0_E_clISt17integral_constantIbLb0EESU_EEDaSP_SQ_EUlSP_E0_NS1_11comp_targetILNS1_3genE3ELNS1_11target_archE908ELNS1_3gpuE7ELNS1_3repE0EEENS1_30default_config_static_selectorELNS0_4arch9wavefront6targetE1EEEvT1_
                                        ; -- End function
	.section	.AMDGPU.csdata,"",@progbits
; Kernel info:
; codeLenInByte = 0
; NumSgprs: 4
; NumVgprs: 0
; NumAgprs: 0
; TotalNumVgprs: 0
; ScratchSize: 0
; MemoryBound: 0
; FloatMode: 240
; IeeeMode: 1
; LDSByteSize: 0 bytes/workgroup (compile time only)
; SGPRBlocks: 0
; VGPRBlocks: 0
; NumSGPRsForWavesPerEU: 4
; NumVGPRsForWavesPerEU: 1
; AccumOffset: 4
; Occupancy: 8
; WaveLimiterHint : 0
; COMPUTE_PGM_RSRC2:SCRATCH_EN: 0
; COMPUTE_PGM_RSRC2:USER_SGPR: 6
; COMPUTE_PGM_RSRC2:TRAP_HANDLER: 0
; COMPUTE_PGM_RSRC2:TGID_X_EN: 1
; COMPUTE_PGM_RSRC2:TGID_Y_EN: 0
; COMPUTE_PGM_RSRC2:TGID_Z_EN: 0
; COMPUTE_PGM_RSRC2:TIDIG_COMP_CNT: 0
; COMPUTE_PGM_RSRC3_GFX90A:ACCUM_OFFSET: 0
; COMPUTE_PGM_RSRC3_GFX90A:TG_SPLIT: 0
	.section	.text._ZN7rocprim17ROCPRIM_400000_NS6detail17trampoline_kernelINS0_14default_configENS1_20scan_config_selectorIiEEZZNS1_9scan_implILNS1_25lookback_scan_determinismE0ELb0ELb0ES3_N6thrust23THRUST_200600_302600_NS6detail15normal_iteratorINS9_10device_ptrIiEEEESE_i19const_ref_plus_mod3IiEiEEDaPvRmT3_T4_T5_mT6_P12ihipStream_tbENKUlT_T0_E_clISt17integral_constantIbLb0EESU_EEDaSP_SQ_EUlSP_E0_NS1_11comp_targetILNS1_3genE2ELNS1_11target_archE906ELNS1_3gpuE6ELNS1_3repE0EEENS1_30default_config_static_selectorELNS0_4arch9wavefront6targetE1EEEvT1_,"axG",@progbits,_ZN7rocprim17ROCPRIM_400000_NS6detail17trampoline_kernelINS0_14default_configENS1_20scan_config_selectorIiEEZZNS1_9scan_implILNS1_25lookback_scan_determinismE0ELb0ELb0ES3_N6thrust23THRUST_200600_302600_NS6detail15normal_iteratorINS9_10device_ptrIiEEEESE_i19const_ref_plus_mod3IiEiEEDaPvRmT3_T4_T5_mT6_P12ihipStream_tbENKUlT_T0_E_clISt17integral_constantIbLb0EESU_EEDaSP_SQ_EUlSP_E0_NS1_11comp_targetILNS1_3genE2ELNS1_11target_archE906ELNS1_3gpuE6ELNS1_3repE0EEENS1_30default_config_static_selectorELNS0_4arch9wavefront6targetE1EEEvT1_,comdat
	.protected	_ZN7rocprim17ROCPRIM_400000_NS6detail17trampoline_kernelINS0_14default_configENS1_20scan_config_selectorIiEEZZNS1_9scan_implILNS1_25lookback_scan_determinismE0ELb0ELb0ES3_N6thrust23THRUST_200600_302600_NS6detail15normal_iteratorINS9_10device_ptrIiEEEESE_i19const_ref_plus_mod3IiEiEEDaPvRmT3_T4_T5_mT6_P12ihipStream_tbENKUlT_T0_E_clISt17integral_constantIbLb0EESU_EEDaSP_SQ_EUlSP_E0_NS1_11comp_targetILNS1_3genE2ELNS1_11target_archE906ELNS1_3gpuE6ELNS1_3repE0EEENS1_30default_config_static_selectorELNS0_4arch9wavefront6targetE1EEEvT1_ ; -- Begin function _ZN7rocprim17ROCPRIM_400000_NS6detail17trampoline_kernelINS0_14default_configENS1_20scan_config_selectorIiEEZZNS1_9scan_implILNS1_25lookback_scan_determinismE0ELb0ELb0ES3_N6thrust23THRUST_200600_302600_NS6detail15normal_iteratorINS9_10device_ptrIiEEEESE_i19const_ref_plus_mod3IiEiEEDaPvRmT3_T4_T5_mT6_P12ihipStream_tbENKUlT_T0_E_clISt17integral_constantIbLb0EESU_EEDaSP_SQ_EUlSP_E0_NS1_11comp_targetILNS1_3genE2ELNS1_11target_archE906ELNS1_3gpuE6ELNS1_3repE0EEENS1_30default_config_static_selectorELNS0_4arch9wavefront6targetE1EEEvT1_
	.globl	_ZN7rocprim17ROCPRIM_400000_NS6detail17trampoline_kernelINS0_14default_configENS1_20scan_config_selectorIiEEZZNS1_9scan_implILNS1_25lookback_scan_determinismE0ELb0ELb0ES3_N6thrust23THRUST_200600_302600_NS6detail15normal_iteratorINS9_10device_ptrIiEEEESE_i19const_ref_plus_mod3IiEiEEDaPvRmT3_T4_T5_mT6_P12ihipStream_tbENKUlT_T0_E_clISt17integral_constantIbLb0EESU_EEDaSP_SQ_EUlSP_E0_NS1_11comp_targetILNS1_3genE2ELNS1_11target_archE906ELNS1_3gpuE6ELNS1_3repE0EEENS1_30default_config_static_selectorELNS0_4arch9wavefront6targetE1EEEvT1_
	.p2align	8
	.type	_ZN7rocprim17ROCPRIM_400000_NS6detail17trampoline_kernelINS0_14default_configENS1_20scan_config_selectorIiEEZZNS1_9scan_implILNS1_25lookback_scan_determinismE0ELb0ELb0ES3_N6thrust23THRUST_200600_302600_NS6detail15normal_iteratorINS9_10device_ptrIiEEEESE_i19const_ref_plus_mod3IiEiEEDaPvRmT3_T4_T5_mT6_P12ihipStream_tbENKUlT_T0_E_clISt17integral_constantIbLb0EESU_EEDaSP_SQ_EUlSP_E0_NS1_11comp_targetILNS1_3genE2ELNS1_11target_archE906ELNS1_3gpuE6ELNS1_3repE0EEENS1_30default_config_static_selectorELNS0_4arch9wavefront6targetE1EEEvT1_,@function
_ZN7rocprim17ROCPRIM_400000_NS6detail17trampoline_kernelINS0_14default_configENS1_20scan_config_selectorIiEEZZNS1_9scan_implILNS1_25lookback_scan_determinismE0ELb0ELb0ES3_N6thrust23THRUST_200600_302600_NS6detail15normal_iteratorINS9_10device_ptrIiEEEESE_i19const_ref_plus_mod3IiEiEEDaPvRmT3_T4_T5_mT6_P12ihipStream_tbENKUlT_T0_E_clISt17integral_constantIbLb0EESU_EEDaSP_SQ_EUlSP_E0_NS1_11comp_targetILNS1_3genE2ELNS1_11target_archE906ELNS1_3gpuE6ELNS1_3repE0EEENS1_30default_config_static_selectorELNS0_4arch9wavefront6targetE1EEEvT1_: ; @_ZN7rocprim17ROCPRIM_400000_NS6detail17trampoline_kernelINS0_14default_configENS1_20scan_config_selectorIiEEZZNS1_9scan_implILNS1_25lookback_scan_determinismE0ELb0ELb0ES3_N6thrust23THRUST_200600_302600_NS6detail15normal_iteratorINS9_10device_ptrIiEEEESE_i19const_ref_plus_mod3IiEiEEDaPvRmT3_T4_T5_mT6_P12ihipStream_tbENKUlT_T0_E_clISt17integral_constantIbLb0EESU_EEDaSP_SQ_EUlSP_E0_NS1_11comp_targetILNS1_3genE2ELNS1_11target_archE906ELNS1_3gpuE6ELNS1_3repE0EEENS1_30default_config_static_selectorELNS0_4arch9wavefront6targetE1EEEvT1_
; %bb.0:
	.section	.rodata,"a",@progbits
	.p2align	6, 0x0
	.amdhsa_kernel _ZN7rocprim17ROCPRIM_400000_NS6detail17trampoline_kernelINS0_14default_configENS1_20scan_config_selectorIiEEZZNS1_9scan_implILNS1_25lookback_scan_determinismE0ELb0ELb0ES3_N6thrust23THRUST_200600_302600_NS6detail15normal_iteratorINS9_10device_ptrIiEEEESE_i19const_ref_plus_mod3IiEiEEDaPvRmT3_T4_T5_mT6_P12ihipStream_tbENKUlT_T0_E_clISt17integral_constantIbLb0EESU_EEDaSP_SQ_EUlSP_E0_NS1_11comp_targetILNS1_3genE2ELNS1_11target_archE906ELNS1_3gpuE6ELNS1_3repE0EEENS1_30default_config_static_selectorELNS0_4arch9wavefront6targetE1EEEvT1_
		.amdhsa_group_segment_fixed_size 0
		.amdhsa_private_segment_fixed_size 0
		.amdhsa_kernarg_size 40
		.amdhsa_user_sgpr_count 6
		.amdhsa_user_sgpr_private_segment_buffer 1
		.amdhsa_user_sgpr_dispatch_ptr 0
		.amdhsa_user_sgpr_queue_ptr 0
		.amdhsa_user_sgpr_kernarg_segment_ptr 1
		.amdhsa_user_sgpr_dispatch_id 0
		.amdhsa_user_sgpr_flat_scratch_init 0
		.amdhsa_user_sgpr_kernarg_preload_length 0
		.amdhsa_user_sgpr_kernarg_preload_offset 0
		.amdhsa_user_sgpr_private_segment_size 0
		.amdhsa_uses_dynamic_stack 0
		.amdhsa_system_sgpr_private_segment_wavefront_offset 0
		.amdhsa_system_sgpr_workgroup_id_x 1
		.amdhsa_system_sgpr_workgroup_id_y 0
		.amdhsa_system_sgpr_workgroup_id_z 0
		.amdhsa_system_sgpr_workgroup_info 0
		.amdhsa_system_vgpr_workitem_id 0
		.amdhsa_next_free_vgpr 1
		.amdhsa_next_free_sgpr 0
		.amdhsa_accum_offset 4
		.amdhsa_reserve_vcc 0
		.amdhsa_reserve_flat_scratch 0
		.amdhsa_float_round_mode_32 0
		.amdhsa_float_round_mode_16_64 0
		.amdhsa_float_denorm_mode_32 3
		.amdhsa_float_denorm_mode_16_64 3
		.amdhsa_dx10_clamp 1
		.amdhsa_ieee_mode 1
		.amdhsa_fp16_overflow 0
		.amdhsa_tg_split 0
		.amdhsa_exception_fp_ieee_invalid_op 0
		.amdhsa_exception_fp_denorm_src 0
		.amdhsa_exception_fp_ieee_div_zero 0
		.amdhsa_exception_fp_ieee_overflow 0
		.amdhsa_exception_fp_ieee_underflow 0
		.amdhsa_exception_fp_ieee_inexact 0
		.amdhsa_exception_int_div_zero 0
	.end_amdhsa_kernel
	.section	.text._ZN7rocprim17ROCPRIM_400000_NS6detail17trampoline_kernelINS0_14default_configENS1_20scan_config_selectorIiEEZZNS1_9scan_implILNS1_25lookback_scan_determinismE0ELb0ELb0ES3_N6thrust23THRUST_200600_302600_NS6detail15normal_iteratorINS9_10device_ptrIiEEEESE_i19const_ref_plus_mod3IiEiEEDaPvRmT3_T4_T5_mT6_P12ihipStream_tbENKUlT_T0_E_clISt17integral_constantIbLb0EESU_EEDaSP_SQ_EUlSP_E0_NS1_11comp_targetILNS1_3genE2ELNS1_11target_archE906ELNS1_3gpuE6ELNS1_3repE0EEENS1_30default_config_static_selectorELNS0_4arch9wavefront6targetE1EEEvT1_,"axG",@progbits,_ZN7rocprim17ROCPRIM_400000_NS6detail17trampoline_kernelINS0_14default_configENS1_20scan_config_selectorIiEEZZNS1_9scan_implILNS1_25lookback_scan_determinismE0ELb0ELb0ES3_N6thrust23THRUST_200600_302600_NS6detail15normal_iteratorINS9_10device_ptrIiEEEESE_i19const_ref_plus_mod3IiEiEEDaPvRmT3_T4_T5_mT6_P12ihipStream_tbENKUlT_T0_E_clISt17integral_constantIbLb0EESU_EEDaSP_SQ_EUlSP_E0_NS1_11comp_targetILNS1_3genE2ELNS1_11target_archE906ELNS1_3gpuE6ELNS1_3repE0EEENS1_30default_config_static_selectorELNS0_4arch9wavefront6targetE1EEEvT1_,comdat
.Lfunc_end6993:
	.size	_ZN7rocprim17ROCPRIM_400000_NS6detail17trampoline_kernelINS0_14default_configENS1_20scan_config_selectorIiEEZZNS1_9scan_implILNS1_25lookback_scan_determinismE0ELb0ELb0ES3_N6thrust23THRUST_200600_302600_NS6detail15normal_iteratorINS9_10device_ptrIiEEEESE_i19const_ref_plus_mod3IiEiEEDaPvRmT3_T4_T5_mT6_P12ihipStream_tbENKUlT_T0_E_clISt17integral_constantIbLb0EESU_EEDaSP_SQ_EUlSP_E0_NS1_11comp_targetILNS1_3genE2ELNS1_11target_archE906ELNS1_3gpuE6ELNS1_3repE0EEENS1_30default_config_static_selectorELNS0_4arch9wavefront6targetE1EEEvT1_, .Lfunc_end6993-_ZN7rocprim17ROCPRIM_400000_NS6detail17trampoline_kernelINS0_14default_configENS1_20scan_config_selectorIiEEZZNS1_9scan_implILNS1_25lookback_scan_determinismE0ELb0ELb0ES3_N6thrust23THRUST_200600_302600_NS6detail15normal_iteratorINS9_10device_ptrIiEEEESE_i19const_ref_plus_mod3IiEiEEDaPvRmT3_T4_T5_mT6_P12ihipStream_tbENKUlT_T0_E_clISt17integral_constantIbLb0EESU_EEDaSP_SQ_EUlSP_E0_NS1_11comp_targetILNS1_3genE2ELNS1_11target_archE906ELNS1_3gpuE6ELNS1_3repE0EEENS1_30default_config_static_selectorELNS0_4arch9wavefront6targetE1EEEvT1_
                                        ; -- End function
	.section	.AMDGPU.csdata,"",@progbits
; Kernel info:
; codeLenInByte = 0
; NumSgprs: 4
; NumVgprs: 0
; NumAgprs: 0
; TotalNumVgprs: 0
; ScratchSize: 0
; MemoryBound: 0
; FloatMode: 240
; IeeeMode: 1
; LDSByteSize: 0 bytes/workgroup (compile time only)
; SGPRBlocks: 0
; VGPRBlocks: 0
; NumSGPRsForWavesPerEU: 4
; NumVGPRsForWavesPerEU: 1
; AccumOffset: 4
; Occupancy: 8
; WaveLimiterHint : 0
; COMPUTE_PGM_RSRC2:SCRATCH_EN: 0
; COMPUTE_PGM_RSRC2:USER_SGPR: 6
; COMPUTE_PGM_RSRC2:TRAP_HANDLER: 0
; COMPUTE_PGM_RSRC2:TGID_X_EN: 1
; COMPUTE_PGM_RSRC2:TGID_Y_EN: 0
; COMPUTE_PGM_RSRC2:TGID_Z_EN: 0
; COMPUTE_PGM_RSRC2:TIDIG_COMP_CNT: 0
; COMPUTE_PGM_RSRC3_GFX90A:ACCUM_OFFSET: 0
; COMPUTE_PGM_RSRC3_GFX90A:TG_SPLIT: 0
	.section	.text._ZN7rocprim17ROCPRIM_400000_NS6detail17trampoline_kernelINS0_14default_configENS1_20scan_config_selectorIiEEZZNS1_9scan_implILNS1_25lookback_scan_determinismE0ELb0ELb0ES3_N6thrust23THRUST_200600_302600_NS6detail15normal_iteratorINS9_10device_ptrIiEEEESE_i19const_ref_plus_mod3IiEiEEDaPvRmT3_T4_T5_mT6_P12ihipStream_tbENKUlT_T0_E_clISt17integral_constantIbLb0EESU_EEDaSP_SQ_EUlSP_E0_NS1_11comp_targetILNS1_3genE10ELNS1_11target_archE1201ELNS1_3gpuE5ELNS1_3repE0EEENS1_30default_config_static_selectorELNS0_4arch9wavefront6targetE1EEEvT1_,"axG",@progbits,_ZN7rocprim17ROCPRIM_400000_NS6detail17trampoline_kernelINS0_14default_configENS1_20scan_config_selectorIiEEZZNS1_9scan_implILNS1_25lookback_scan_determinismE0ELb0ELb0ES3_N6thrust23THRUST_200600_302600_NS6detail15normal_iteratorINS9_10device_ptrIiEEEESE_i19const_ref_plus_mod3IiEiEEDaPvRmT3_T4_T5_mT6_P12ihipStream_tbENKUlT_T0_E_clISt17integral_constantIbLb0EESU_EEDaSP_SQ_EUlSP_E0_NS1_11comp_targetILNS1_3genE10ELNS1_11target_archE1201ELNS1_3gpuE5ELNS1_3repE0EEENS1_30default_config_static_selectorELNS0_4arch9wavefront6targetE1EEEvT1_,comdat
	.protected	_ZN7rocprim17ROCPRIM_400000_NS6detail17trampoline_kernelINS0_14default_configENS1_20scan_config_selectorIiEEZZNS1_9scan_implILNS1_25lookback_scan_determinismE0ELb0ELb0ES3_N6thrust23THRUST_200600_302600_NS6detail15normal_iteratorINS9_10device_ptrIiEEEESE_i19const_ref_plus_mod3IiEiEEDaPvRmT3_T4_T5_mT6_P12ihipStream_tbENKUlT_T0_E_clISt17integral_constantIbLb0EESU_EEDaSP_SQ_EUlSP_E0_NS1_11comp_targetILNS1_3genE10ELNS1_11target_archE1201ELNS1_3gpuE5ELNS1_3repE0EEENS1_30default_config_static_selectorELNS0_4arch9wavefront6targetE1EEEvT1_ ; -- Begin function _ZN7rocprim17ROCPRIM_400000_NS6detail17trampoline_kernelINS0_14default_configENS1_20scan_config_selectorIiEEZZNS1_9scan_implILNS1_25lookback_scan_determinismE0ELb0ELb0ES3_N6thrust23THRUST_200600_302600_NS6detail15normal_iteratorINS9_10device_ptrIiEEEESE_i19const_ref_plus_mod3IiEiEEDaPvRmT3_T4_T5_mT6_P12ihipStream_tbENKUlT_T0_E_clISt17integral_constantIbLb0EESU_EEDaSP_SQ_EUlSP_E0_NS1_11comp_targetILNS1_3genE10ELNS1_11target_archE1201ELNS1_3gpuE5ELNS1_3repE0EEENS1_30default_config_static_selectorELNS0_4arch9wavefront6targetE1EEEvT1_
	.globl	_ZN7rocprim17ROCPRIM_400000_NS6detail17trampoline_kernelINS0_14default_configENS1_20scan_config_selectorIiEEZZNS1_9scan_implILNS1_25lookback_scan_determinismE0ELb0ELb0ES3_N6thrust23THRUST_200600_302600_NS6detail15normal_iteratorINS9_10device_ptrIiEEEESE_i19const_ref_plus_mod3IiEiEEDaPvRmT3_T4_T5_mT6_P12ihipStream_tbENKUlT_T0_E_clISt17integral_constantIbLb0EESU_EEDaSP_SQ_EUlSP_E0_NS1_11comp_targetILNS1_3genE10ELNS1_11target_archE1201ELNS1_3gpuE5ELNS1_3repE0EEENS1_30default_config_static_selectorELNS0_4arch9wavefront6targetE1EEEvT1_
	.p2align	8
	.type	_ZN7rocprim17ROCPRIM_400000_NS6detail17trampoline_kernelINS0_14default_configENS1_20scan_config_selectorIiEEZZNS1_9scan_implILNS1_25lookback_scan_determinismE0ELb0ELb0ES3_N6thrust23THRUST_200600_302600_NS6detail15normal_iteratorINS9_10device_ptrIiEEEESE_i19const_ref_plus_mod3IiEiEEDaPvRmT3_T4_T5_mT6_P12ihipStream_tbENKUlT_T0_E_clISt17integral_constantIbLb0EESU_EEDaSP_SQ_EUlSP_E0_NS1_11comp_targetILNS1_3genE10ELNS1_11target_archE1201ELNS1_3gpuE5ELNS1_3repE0EEENS1_30default_config_static_selectorELNS0_4arch9wavefront6targetE1EEEvT1_,@function
_ZN7rocprim17ROCPRIM_400000_NS6detail17trampoline_kernelINS0_14default_configENS1_20scan_config_selectorIiEEZZNS1_9scan_implILNS1_25lookback_scan_determinismE0ELb0ELb0ES3_N6thrust23THRUST_200600_302600_NS6detail15normal_iteratorINS9_10device_ptrIiEEEESE_i19const_ref_plus_mod3IiEiEEDaPvRmT3_T4_T5_mT6_P12ihipStream_tbENKUlT_T0_E_clISt17integral_constantIbLb0EESU_EEDaSP_SQ_EUlSP_E0_NS1_11comp_targetILNS1_3genE10ELNS1_11target_archE1201ELNS1_3gpuE5ELNS1_3repE0EEENS1_30default_config_static_selectorELNS0_4arch9wavefront6targetE1EEEvT1_: ; @_ZN7rocprim17ROCPRIM_400000_NS6detail17trampoline_kernelINS0_14default_configENS1_20scan_config_selectorIiEEZZNS1_9scan_implILNS1_25lookback_scan_determinismE0ELb0ELb0ES3_N6thrust23THRUST_200600_302600_NS6detail15normal_iteratorINS9_10device_ptrIiEEEESE_i19const_ref_plus_mod3IiEiEEDaPvRmT3_T4_T5_mT6_P12ihipStream_tbENKUlT_T0_E_clISt17integral_constantIbLb0EESU_EEDaSP_SQ_EUlSP_E0_NS1_11comp_targetILNS1_3genE10ELNS1_11target_archE1201ELNS1_3gpuE5ELNS1_3repE0EEENS1_30default_config_static_selectorELNS0_4arch9wavefront6targetE1EEEvT1_
; %bb.0:
	.section	.rodata,"a",@progbits
	.p2align	6, 0x0
	.amdhsa_kernel _ZN7rocprim17ROCPRIM_400000_NS6detail17trampoline_kernelINS0_14default_configENS1_20scan_config_selectorIiEEZZNS1_9scan_implILNS1_25lookback_scan_determinismE0ELb0ELb0ES3_N6thrust23THRUST_200600_302600_NS6detail15normal_iteratorINS9_10device_ptrIiEEEESE_i19const_ref_plus_mod3IiEiEEDaPvRmT3_T4_T5_mT6_P12ihipStream_tbENKUlT_T0_E_clISt17integral_constantIbLb0EESU_EEDaSP_SQ_EUlSP_E0_NS1_11comp_targetILNS1_3genE10ELNS1_11target_archE1201ELNS1_3gpuE5ELNS1_3repE0EEENS1_30default_config_static_selectorELNS0_4arch9wavefront6targetE1EEEvT1_
		.amdhsa_group_segment_fixed_size 0
		.amdhsa_private_segment_fixed_size 0
		.amdhsa_kernarg_size 40
		.amdhsa_user_sgpr_count 6
		.amdhsa_user_sgpr_private_segment_buffer 1
		.amdhsa_user_sgpr_dispatch_ptr 0
		.amdhsa_user_sgpr_queue_ptr 0
		.amdhsa_user_sgpr_kernarg_segment_ptr 1
		.amdhsa_user_sgpr_dispatch_id 0
		.amdhsa_user_sgpr_flat_scratch_init 0
		.amdhsa_user_sgpr_kernarg_preload_length 0
		.amdhsa_user_sgpr_kernarg_preload_offset 0
		.amdhsa_user_sgpr_private_segment_size 0
		.amdhsa_uses_dynamic_stack 0
		.amdhsa_system_sgpr_private_segment_wavefront_offset 0
		.amdhsa_system_sgpr_workgroup_id_x 1
		.amdhsa_system_sgpr_workgroup_id_y 0
		.amdhsa_system_sgpr_workgroup_id_z 0
		.amdhsa_system_sgpr_workgroup_info 0
		.amdhsa_system_vgpr_workitem_id 0
		.amdhsa_next_free_vgpr 1
		.amdhsa_next_free_sgpr 0
		.amdhsa_accum_offset 4
		.amdhsa_reserve_vcc 0
		.amdhsa_reserve_flat_scratch 0
		.amdhsa_float_round_mode_32 0
		.amdhsa_float_round_mode_16_64 0
		.amdhsa_float_denorm_mode_32 3
		.amdhsa_float_denorm_mode_16_64 3
		.amdhsa_dx10_clamp 1
		.amdhsa_ieee_mode 1
		.amdhsa_fp16_overflow 0
		.amdhsa_tg_split 0
		.amdhsa_exception_fp_ieee_invalid_op 0
		.amdhsa_exception_fp_denorm_src 0
		.amdhsa_exception_fp_ieee_div_zero 0
		.amdhsa_exception_fp_ieee_overflow 0
		.amdhsa_exception_fp_ieee_underflow 0
		.amdhsa_exception_fp_ieee_inexact 0
		.amdhsa_exception_int_div_zero 0
	.end_amdhsa_kernel
	.section	.text._ZN7rocprim17ROCPRIM_400000_NS6detail17trampoline_kernelINS0_14default_configENS1_20scan_config_selectorIiEEZZNS1_9scan_implILNS1_25lookback_scan_determinismE0ELb0ELb0ES3_N6thrust23THRUST_200600_302600_NS6detail15normal_iteratorINS9_10device_ptrIiEEEESE_i19const_ref_plus_mod3IiEiEEDaPvRmT3_T4_T5_mT6_P12ihipStream_tbENKUlT_T0_E_clISt17integral_constantIbLb0EESU_EEDaSP_SQ_EUlSP_E0_NS1_11comp_targetILNS1_3genE10ELNS1_11target_archE1201ELNS1_3gpuE5ELNS1_3repE0EEENS1_30default_config_static_selectorELNS0_4arch9wavefront6targetE1EEEvT1_,"axG",@progbits,_ZN7rocprim17ROCPRIM_400000_NS6detail17trampoline_kernelINS0_14default_configENS1_20scan_config_selectorIiEEZZNS1_9scan_implILNS1_25lookback_scan_determinismE0ELb0ELb0ES3_N6thrust23THRUST_200600_302600_NS6detail15normal_iteratorINS9_10device_ptrIiEEEESE_i19const_ref_plus_mod3IiEiEEDaPvRmT3_T4_T5_mT6_P12ihipStream_tbENKUlT_T0_E_clISt17integral_constantIbLb0EESU_EEDaSP_SQ_EUlSP_E0_NS1_11comp_targetILNS1_3genE10ELNS1_11target_archE1201ELNS1_3gpuE5ELNS1_3repE0EEENS1_30default_config_static_selectorELNS0_4arch9wavefront6targetE1EEEvT1_,comdat
.Lfunc_end6994:
	.size	_ZN7rocprim17ROCPRIM_400000_NS6detail17trampoline_kernelINS0_14default_configENS1_20scan_config_selectorIiEEZZNS1_9scan_implILNS1_25lookback_scan_determinismE0ELb0ELb0ES3_N6thrust23THRUST_200600_302600_NS6detail15normal_iteratorINS9_10device_ptrIiEEEESE_i19const_ref_plus_mod3IiEiEEDaPvRmT3_T4_T5_mT6_P12ihipStream_tbENKUlT_T0_E_clISt17integral_constantIbLb0EESU_EEDaSP_SQ_EUlSP_E0_NS1_11comp_targetILNS1_3genE10ELNS1_11target_archE1201ELNS1_3gpuE5ELNS1_3repE0EEENS1_30default_config_static_selectorELNS0_4arch9wavefront6targetE1EEEvT1_, .Lfunc_end6994-_ZN7rocprim17ROCPRIM_400000_NS6detail17trampoline_kernelINS0_14default_configENS1_20scan_config_selectorIiEEZZNS1_9scan_implILNS1_25lookback_scan_determinismE0ELb0ELb0ES3_N6thrust23THRUST_200600_302600_NS6detail15normal_iteratorINS9_10device_ptrIiEEEESE_i19const_ref_plus_mod3IiEiEEDaPvRmT3_T4_T5_mT6_P12ihipStream_tbENKUlT_T0_E_clISt17integral_constantIbLb0EESU_EEDaSP_SQ_EUlSP_E0_NS1_11comp_targetILNS1_3genE10ELNS1_11target_archE1201ELNS1_3gpuE5ELNS1_3repE0EEENS1_30default_config_static_selectorELNS0_4arch9wavefront6targetE1EEEvT1_
                                        ; -- End function
	.section	.AMDGPU.csdata,"",@progbits
; Kernel info:
; codeLenInByte = 0
; NumSgprs: 4
; NumVgprs: 0
; NumAgprs: 0
; TotalNumVgprs: 0
; ScratchSize: 0
; MemoryBound: 0
; FloatMode: 240
; IeeeMode: 1
; LDSByteSize: 0 bytes/workgroup (compile time only)
; SGPRBlocks: 0
; VGPRBlocks: 0
; NumSGPRsForWavesPerEU: 4
; NumVGPRsForWavesPerEU: 1
; AccumOffset: 4
; Occupancy: 8
; WaveLimiterHint : 0
; COMPUTE_PGM_RSRC2:SCRATCH_EN: 0
; COMPUTE_PGM_RSRC2:USER_SGPR: 6
; COMPUTE_PGM_RSRC2:TRAP_HANDLER: 0
; COMPUTE_PGM_RSRC2:TGID_X_EN: 1
; COMPUTE_PGM_RSRC2:TGID_Y_EN: 0
; COMPUTE_PGM_RSRC2:TGID_Z_EN: 0
; COMPUTE_PGM_RSRC2:TIDIG_COMP_CNT: 0
; COMPUTE_PGM_RSRC3_GFX90A:ACCUM_OFFSET: 0
; COMPUTE_PGM_RSRC3_GFX90A:TG_SPLIT: 0
	.section	.text._ZN7rocprim17ROCPRIM_400000_NS6detail17trampoline_kernelINS0_14default_configENS1_20scan_config_selectorIiEEZZNS1_9scan_implILNS1_25lookback_scan_determinismE0ELb0ELb0ES3_N6thrust23THRUST_200600_302600_NS6detail15normal_iteratorINS9_10device_ptrIiEEEESE_i19const_ref_plus_mod3IiEiEEDaPvRmT3_T4_T5_mT6_P12ihipStream_tbENKUlT_T0_E_clISt17integral_constantIbLb0EESU_EEDaSP_SQ_EUlSP_E0_NS1_11comp_targetILNS1_3genE10ELNS1_11target_archE1200ELNS1_3gpuE4ELNS1_3repE0EEENS1_30default_config_static_selectorELNS0_4arch9wavefront6targetE1EEEvT1_,"axG",@progbits,_ZN7rocprim17ROCPRIM_400000_NS6detail17trampoline_kernelINS0_14default_configENS1_20scan_config_selectorIiEEZZNS1_9scan_implILNS1_25lookback_scan_determinismE0ELb0ELb0ES3_N6thrust23THRUST_200600_302600_NS6detail15normal_iteratorINS9_10device_ptrIiEEEESE_i19const_ref_plus_mod3IiEiEEDaPvRmT3_T4_T5_mT6_P12ihipStream_tbENKUlT_T0_E_clISt17integral_constantIbLb0EESU_EEDaSP_SQ_EUlSP_E0_NS1_11comp_targetILNS1_3genE10ELNS1_11target_archE1200ELNS1_3gpuE4ELNS1_3repE0EEENS1_30default_config_static_selectorELNS0_4arch9wavefront6targetE1EEEvT1_,comdat
	.protected	_ZN7rocprim17ROCPRIM_400000_NS6detail17trampoline_kernelINS0_14default_configENS1_20scan_config_selectorIiEEZZNS1_9scan_implILNS1_25lookback_scan_determinismE0ELb0ELb0ES3_N6thrust23THRUST_200600_302600_NS6detail15normal_iteratorINS9_10device_ptrIiEEEESE_i19const_ref_plus_mod3IiEiEEDaPvRmT3_T4_T5_mT6_P12ihipStream_tbENKUlT_T0_E_clISt17integral_constantIbLb0EESU_EEDaSP_SQ_EUlSP_E0_NS1_11comp_targetILNS1_3genE10ELNS1_11target_archE1200ELNS1_3gpuE4ELNS1_3repE0EEENS1_30default_config_static_selectorELNS0_4arch9wavefront6targetE1EEEvT1_ ; -- Begin function _ZN7rocprim17ROCPRIM_400000_NS6detail17trampoline_kernelINS0_14default_configENS1_20scan_config_selectorIiEEZZNS1_9scan_implILNS1_25lookback_scan_determinismE0ELb0ELb0ES3_N6thrust23THRUST_200600_302600_NS6detail15normal_iteratorINS9_10device_ptrIiEEEESE_i19const_ref_plus_mod3IiEiEEDaPvRmT3_T4_T5_mT6_P12ihipStream_tbENKUlT_T0_E_clISt17integral_constantIbLb0EESU_EEDaSP_SQ_EUlSP_E0_NS1_11comp_targetILNS1_3genE10ELNS1_11target_archE1200ELNS1_3gpuE4ELNS1_3repE0EEENS1_30default_config_static_selectorELNS0_4arch9wavefront6targetE1EEEvT1_
	.globl	_ZN7rocprim17ROCPRIM_400000_NS6detail17trampoline_kernelINS0_14default_configENS1_20scan_config_selectorIiEEZZNS1_9scan_implILNS1_25lookback_scan_determinismE0ELb0ELb0ES3_N6thrust23THRUST_200600_302600_NS6detail15normal_iteratorINS9_10device_ptrIiEEEESE_i19const_ref_plus_mod3IiEiEEDaPvRmT3_T4_T5_mT6_P12ihipStream_tbENKUlT_T0_E_clISt17integral_constantIbLb0EESU_EEDaSP_SQ_EUlSP_E0_NS1_11comp_targetILNS1_3genE10ELNS1_11target_archE1200ELNS1_3gpuE4ELNS1_3repE0EEENS1_30default_config_static_selectorELNS0_4arch9wavefront6targetE1EEEvT1_
	.p2align	8
	.type	_ZN7rocprim17ROCPRIM_400000_NS6detail17trampoline_kernelINS0_14default_configENS1_20scan_config_selectorIiEEZZNS1_9scan_implILNS1_25lookback_scan_determinismE0ELb0ELb0ES3_N6thrust23THRUST_200600_302600_NS6detail15normal_iteratorINS9_10device_ptrIiEEEESE_i19const_ref_plus_mod3IiEiEEDaPvRmT3_T4_T5_mT6_P12ihipStream_tbENKUlT_T0_E_clISt17integral_constantIbLb0EESU_EEDaSP_SQ_EUlSP_E0_NS1_11comp_targetILNS1_3genE10ELNS1_11target_archE1200ELNS1_3gpuE4ELNS1_3repE0EEENS1_30default_config_static_selectorELNS0_4arch9wavefront6targetE1EEEvT1_,@function
_ZN7rocprim17ROCPRIM_400000_NS6detail17trampoline_kernelINS0_14default_configENS1_20scan_config_selectorIiEEZZNS1_9scan_implILNS1_25lookback_scan_determinismE0ELb0ELb0ES3_N6thrust23THRUST_200600_302600_NS6detail15normal_iteratorINS9_10device_ptrIiEEEESE_i19const_ref_plus_mod3IiEiEEDaPvRmT3_T4_T5_mT6_P12ihipStream_tbENKUlT_T0_E_clISt17integral_constantIbLb0EESU_EEDaSP_SQ_EUlSP_E0_NS1_11comp_targetILNS1_3genE10ELNS1_11target_archE1200ELNS1_3gpuE4ELNS1_3repE0EEENS1_30default_config_static_selectorELNS0_4arch9wavefront6targetE1EEEvT1_: ; @_ZN7rocprim17ROCPRIM_400000_NS6detail17trampoline_kernelINS0_14default_configENS1_20scan_config_selectorIiEEZZNS1_9scan_implILNS1_25lookback_scan_determinismE0ELb0ELb0ES3_N6thrust23THRUST_200600_302600_NS6detail15normal_iteratorINS9_10device_ptrIiEEEESE_i19const_ref_plus_mod3IiEiEEDaPvRmT3_T4_T5_mT6_P12ihipStream_tbENKUlT_T0_E_clISt17integral_constantIbLb0EESU_EEDaSP_SQ_EUlSP_E0_NS1_11comp_targetILNS1_3genE10ELNS1_11target_archE1200ELNS1_3gpuE4ELNS1_3repE0EEENS1_30default_config_static_selectorELNS0_4arch9wavefront6targetE1EEEvT1_
; %bb.0:
	.section	.rodata,"a",@progbits
	.p2align	6, 0x0
	.amdhsa_kernel _ZN7rocprim17ROCPRIM_400000_NS6detail17trampoline_kernelINS0_14default_configENS1_20scan_config_selectorIiEEZZNS1_9scan_implILNS1_25lookback_scan_determinismE0ELb0ELb0ES3_N6thrust23THRUST_200600_302600_NS6detail15normal_iteratorINS9_10device_ptrIiEEEESE_i19const_ref_plus_mod3IiEiEEDaPvRmT3_T4_T5_mT6_P12ihipStream_tbENKUlT_T0_E_clISt17integral_constantIbLb0EESU_EEDaSP_SQ_EUlSP_E0_NS1_11comp_targetILNS1_3genE10ELNS1_11target_archE1200ELNS1_3gpuE4ELNS1_3repE0EEENS1_30default_config_static_selectorELNS0_4arch9wavefront6targetE1EEEvT1_
		.amdhsa_group_segment_fixed_size 0
		.amdhsa_private_segment_fixed_size 0
		.amdhsa_kernarg_size 40
		.amdhsa_user_sgpr_count 6
		.amdhsa_user_sgpr_private_segment_buffer 1
		.amdhsa_user_sgpr_dispatch_ptr 0
		.amdhsa_user_sgpr_queue_ptr 0
		.amdhsa_user_sgpr_kernarg_segment_ptr 1
		.amdhsa_user_sgpr_dispatch_id 0
		.amdhsa_user_sgpr_flat_scratch_init 0
		.amdhsa_user_sgpr_kernarg_preload_length 0
		.amdhsa_user_sgpr_kernarg_preload_offset 0
		.amdhsa_user_sgpr_private_segment_size 0
		.amdhsa_uses_dynamic_stack 0
		.amdhsa_system_sgpr_private_segment_wavefront_offset 0
		.amdhsa_system_sgpr_workgroup_id_x 1
		.amdhsa_system_sgpr_workgroup_id_y 0
		.amdhsa_system_sgpr_workgroup_id_z 0
		.amdhsa_system_sgpr_workgroup_info 0
		.amdhsa_system_vgpr_workitem_id 0
		.amdhsa_next_free_vgpr 1
		.amdhsa_next_free_sgpr 0
		.amdhsa_accum_offset 4
		.amdhsa_reserve_vcc 0
		.amdhsa_reserve_flat_scratch 0
		.amdhsa_float_round_mode_32 0
		.amdhsa_float_round_mode_16_64 0
		.amdhsa_float_denorm_mode_32 3
		.amdhsa_float_denorm_mode_16_64 3
		.amdhsa_dx10_clamp 1
		.amdhsa_ieee_mode 1
		.amdhsa_fp16_overflow 0
		.amdhsa_tg_split 0
		.amdhsa_exception_fp_ieee_invalid_op 0
		.amdhsa_exception_fp_denorm_src 0
		.amdhsa_exception_fp_ieee_div_zero 0
		.amdhsa_exception_fp_ieee_overflow 0
		.amdhsa_exception_fp_ieee_underflow 0
		.amdhsa_exception_fp_ieee_inexact 0
		.amdhsa_exception_int_div_zero 0
	.end_amdhsa_kernel
	.section	.text._ZN7rocprim17ROCPRIM_400000_NS6detail17trampoline_kernelINS0_14default_configENS1_20scan_config_selectorIiEEZZNS1_9scan_implILNS1_25lookback_scan_determinismE0ELb0ELb0ES3_N6thrust23THRUST_200600_302600_NS6detail15normal_iteratorINS9_10device_ptrIiEEEESE_i19const_ref_plus_mod3IiEiEEDaPvRmT3_T4_T5_mT6_P12ihipStream_tbENKUlT_T0_E_clISt17integral_constantIbLb0EESU_EEDaSP_SQ_EUlSP_E0_NS1_11comp_targetILNS1_3genE10ELNS1_11target_archE1200ELNS1_3gpuE4ELNS1_3repE0EEENS1_30default_config_static_selectorELNS0_4arch9wavefront6targetE1EEEvT1_,"axG",@progbits,_ZN7rocprim17ROCPRIM_400000_NS6detail17trampoline_kernelINS0_14default_configENS1_20scan_config_selectorIiEEZZNS1_9scan_implILNS1_25lookback_scan_determinismE0ELb0ELb0ES3_N6thrust23THRUST_200600_302600_NS6detail15normal_iteratorINS9_10device_ptrIiEEEESE_i19const_ref_plus_mod3IiEiEEDaPvRmT3_T4_T5_mT6_P12ihipStream_tbENKUlT_T0_E_clISt17integral_constantIbLb0EESU_EEDaSP_SQ_EUlSP_E0_NS1_11comp_targetILNS1_3genE10ELNS1_11target_archE1200ELNS1_3gpuE4ELNS1_3repE0EEENS1_30default_config_static_selectorELNS0_4arch9wavefront6targetE1EEEvT1_,comdat
.Lfunc_end6995:
	.size	_ZN7rocprim17ROCPRIM_400000_NS6detail17trampoline_kernelINS0_14default_configENS1_20scan_config_selectorIiEEZZNS1_9scan_implILNS1_25lookback_scan_determinismE0ELb0ELb0ES3_N6thrust23THRUST_200600_302600_NS6detail15normal_iteratorINS9_10device_ptrIiEEEESE_i19const_ref_plus_mod3IiEiEEDaPvRmT3_T4_T5_mT6_P12ihipStream_tbENKUlT_T0_E_clISt17integral_constantIbLb0EESU_EEDaSP_SQ_EUlSP_E0_NS1_11comp_targetILNS1_3genE10ELNS1_11target_archE1200ELNS1_3gpuE4ELNS1_3repE0EEENS1_30default_config_static_selectorELNS0_4arch9wavefront6targetE1EEEvT1_, .Lfunc_end6995-_ZN7rocprim17ROCPRIM_400000_NS6detail17trampoline_kernelINS0_14default_configENS1_20scan_config_selectorIiEEZZNS1_9scan_implILNS1_25lookback_scan_determinismE0ELb0ELb0ES3_N6thrust23THRUST_200600_302600_NS6detail15normal_iteratorINS9_10device_ptrIiEEEESE_i19const_ref_plus_mod3IiEiEEDaPvRmT3_T4_T5_mT6_P12ihipStream_tbENKUlT_T0_E_clISt17integral_constantIbLb0EESU_EEDaSP_SQ_EUlSP_E0_NS1_11comp_targetILNS1_3genE10ELNS1_11target_archE1200ELNS1_3gpuE4ELNS1_3repE0EEENS1_30default_config_static_selectorELNS0_4arch9wavefront6targetE1EEEvT1_
                                        ; -- End function
	.section	.AMDGPU.csdata,"",@progbits
; Kernel info:
; codeLenInByte = 0
; NumSgprs: 4
; NumVgprs: 0
; NumAgprs: 0
; TotalNumVgprs: 0
; ScratchSize: 0
; MemoryBound: 0
; FloatMode: 240
; IeeeMode: 1
; LDSByteSize: 0 bytes/workgroup (compile time only)
; SGPRBlocks: 0
; VGPRBlocks: 0
; NumSGPRsForWavesPerEU: 4
; NumVGPRsForWavesPerEU: 1
; AccumOffset: 4
; Occupancy: 8
; WaveLimiterHint : 0
; COMPUTE_PGM_RSRC2:SCRATCH_EN: 0
; COMPUTE_PGM_RSRC2:USER_SGPR: 6
; COMPUTE_PGM_RSRC2:TRAP_HANDLER: 0
; COMPUTE_PGM_RSRC2:TGID_X_EN: 1
; COMPUTE_PGM_RSRC2:TGID_Y_EN: 0
; COMPUTE_PGM_RSRC2:TGID_Z_EN: 0
; COMPUTE_PGM_RSRC2:TIDIG_COMP_CNT: 0
; COMPUTE_PGM_RSRC3_GFX90A:ACCUM_OFFSET: 0
; COMPUTE_PGM_RSRC3_GFX90A:TG_SPLIT: 0
	.section	.text._ZN7rocprim17ROCPRIM_400000_NS6detail17trampoline_kernelINS0_14default_configENS1_20scan_config_selectorIiEEZZNS1_9scan_implILNS1_25lookback_scan_determinismE0ELb0ELb0ES3_N6thrust23THRUST_200600_302600_NS6detail15normal_iteratorINS9_10device_ptrIiEEEESE_i19const_ref_plus_mod3IiEiEEDaPvRmT3_T4_T5_mT6_P12ihipStream_tbENKUlT_T0_E_clISt17integral_constantIbLb0EESU_EEDaSP_SQ_EUlSP_E0_NS1_11comp_targetILNS1_3genE9ELNS1_11target_archE1100ELNS1_3gpuE3ELNS1_3repE0EEENS1_30default_config_static_selectorELNS0_4arch9wavefront6targetE1EEEvT1_,"axG",@progbits,_ZN7rocprim17ROCPRIM_400000_NS6detail17trampoline_kernelINS0_14default_configENS1_20scan_config_selectorIiEEZZNS1_9scan_implILNS1_25lookback_scan_determinismE0ELb0ELb0ES3_N6thrust23THRUST_200600_302600_NS6detail15normal_iteratorINS9_10device_ptrIiEEEESE_i19const_ref_plus_mod3IiEiEEDaPvRmT3_T4_T5_mT6_P12ihipStream_tbENKUlT_T0_E_clISt17integral_constantIbLb0EESU_EEDaSP_SQ_EUlSP_E0_NS1_11comp_targetILNS1_3genE9ELNS1_11target_archE1100ELNS1_3gpuE3ELNS1_3repE0EEENS1_30default_config_static_selectorELNS0_4arch9wavefront6targetE1EEEvT1_,comdat
	.protected	_ZN7rocprim17ROCPRIM_400000_NS6detail17trampoline_kernelINS0_14default_configENS1_20scan_config_selectorIiEEZZNS1_9scan_implILNS1_25lookback_scan_determinismE0ELb0ELb0ES3_N6thrust23THRUST_200600_302600_NS6detail15normal_iteratorINS9_10device_ptrIiEEEESE_i19const_ref_plus_mod3IiEiEEDaPvRmT3_T4_T5_mT6_P12ihipStream_tbENKUlT_T0_E_clISt17integral_constantIbLb0EESU_EEDaSP_SQ_EUlSP_E0_NS1_11comp_targetILNS1_3genE9ELNS1_11target_archE1100ELNS1_3gpuE3ELNS1_3repE0EEENS1_30default_config_static_selectorELNS0_4arch9wavefront6targetE1EEEvT1_ ; -- Begin function _ZN7rocprim17ROCPRIM_400000_NS6detail17trampoline_kernelINS0_14default_configENS1_20scan_config_selectorIiEEZZNS1_9scan_implILNS1_25lookback_scan_determinismE0ELb0ELb0ES3_N6thrust23THRUST_200600_302600_NS6detail15normal_iteratorINS9_10device_ptrIiEEEESE_i19const_ref_plus_mod3IiEiEEDaPvRmT3_T4_T5_mT6_P12ihipStream_tbENKUlT_T0_E_clISt17integral_constantIbLb0EESU_EEDaSP_SQ_EUlSP_E0_NS1_11comp_targetILNS1_3genE9ELNS1_11target_archE1100ELNS1_3gpuE3ELNS1_3repE0EEENS1_30default_config_static_selectorELNS0_4arch9wavefront6targetE1EEEvT1_
	.globl	_ZN7rocprim17ROCPRIM_400000_NS6detail17trampoline_kernelINS0_14default_configENS1_20scan_config_selectorIiEEZZNS1_9scan_implILNS1_25lookback_scan_determinismE0ELb0ELb0ES3_N6thrust23THRUST_200600_302600_NS6detail15normal_iteratorINS9_10device_ptrIiEEEESE_i19const_ref_plus_mod3IiEiEEDaPvRmT3_T4_T5_mT6_P12ihipStream_tbENKUlT_T0_E_clISt17integral_constantIbLb0EESU_EEDaSP_SQ_EUlSP_E0_NS1_11comp_targetILNS1_3genE9ELNS1_11target_archE1100ELNS1_3gpuE3ELNS1_3repE0EEENS1_30default_config_static_selectorELNS0_4arch9wavefront6targetE1EEEvT1_
	.p2align	8
	.type	_ZN7rocprim17ROCPRIM_400000_NS6detail17trampoline_kernelINS0_14default_configENS1_20scan_config_selectorIiEEZZNS1_9scan_implILNS1_25lookback_scan_determinismE0ELb0ELb0ES3_N6thrust23THRUST_200600_302600_NS6detail15normal_iteratorINS9_10device_ptrIiEEEESE_i19const_ref_plus_mod3IiEiEEDaPvRmT3_T4_T5_mT6_P12ihipStream_tbENKUlT_T0_E_clISt17integral_constantIbLb0EESU_EEDaSP_SQ_EUlSP_E0_NS1_11comp_targetILNS1_3genE9ELNS1_11target_archE1100ELNS1_3gpuE3ELNS1_3repE0EEENS1_30default_config_static_selectorELNS0_4arch9wavefront6targetE1EEEvT1_,@function
_ZN7rocprim17ROCPRIM_400000_NS6detail17trampoline_kernelINS0_14default_configENS1_20scan_config_selectorIiEEZZNS1_9scan_implILNS1_25lookback_scan_determinismE0ELb0ELb0ES3_N6thrust23THRUST_200600_302600_NS6detail15normal_iteratorINS9_10device_ptrIiEEEESE_i19const_ref_plus_mod3IiEiEEDaPvRmT3_T4_T5_mT6_P12ihipStream_tbENKUlT_T0_E_clISt17integral_constantIbLb0EESU_EEDaSP_SQ_EUlSP_E0_NS1_11comp_targetILNS1_3genE9ELNS1_11target_archE1100ELNS1_3gpuE3ELNS1_3repE0EEENS1_30default_config_static_selectorELNS0_4arch9wavefront6targetE1EEEvT1_: ; @_ZN7rocprim17ROCPRIM_400000_NS6detail17trampoline_kernelINS0_14default_configENS1_20scan_config_selectorIiEEZZNS1_9scan_implILNS1_25lookback_scan_determinismE0ELb0ELb0ES3_N6thrust23THRUST_200600_302600_NS6detail15normal_iteratorINS9_10device_ptrIiEEEESE_i19const_ref_plus_mod3IiEiEEDaPvRmT3_T4_T5_mT6_P12ihipStream_tbENKUlT_T0_E_clISt17integral_constantIbLb0EESU_EEDaSP_SQ_EUlSP_E0_NS1_11comp_targetILNS1_3genE9ELNS1_11target_archE1100ELNS1_3gpuE3ELNS1_3repE0EEENS1_30default_config_static_selectorELNS0_4arch9wavefront6targetE1EEEvT1_
; %bb.0:
	.section	.rodata,"a",@progbits
	.p2align	6, 0x0
	.amdhsa_kernel _ZN7rocprim17ROCPRIM_400000_NS6detail17trampoline_kernelINS0_14default_configENS1_20scan_config_selectorIiEEZZNS1_9scan_implILNS1_25lookback_scan_determinismE0ELb0ELb0ES3_N6thrust23THRUST_200600_302600_NS6detail15normal_iteratorINS9_10device_ptrIiEEEESE_i19const_ref_plus_mod3IiEiEEDaPvRmT3_T4_T5_mT6_P12ihipStream_tbENKUlT_T0_E_clISt17integral_constantIbLb0EESU_EEDaSP_SQ_EUlSP_E0_NS1_11comp_targetILNS1_3genE9ELNS1_11target_archE1100ELNS1_3gpuE3ELNS1_3repE0EEENS1_30default_config_static_selectorELNS0_4arch9wavefront6targetE1EEEvT1_
		.amdhsa_group_segment_fixed_size 0
		.amdhsa_private_segment_fixed_size 0
		.amdhsa_kernarg_size 40
		.amdhsa_user_sgpr_count 6
		.amdhsa_user_sgpr_private_segment_buffer 1
		.amdhsa_user_sgpr_dispatch_ptr 0
		.amdhsa_user_sgpr_queue_ptr 0
		.amdhsa_user_sgpr_kernarg_segment_ptr 1
		.amdhsa_user_sgpr_dispatch_id 0
		.amdhsa_user_sgpr_flat_scratch_init 0
		.amdhsa_user_sgpr_kernarg_preload_length 0
		.amdhsa_user_sgpr_kernarg_preload_offset 0
		.amdhsa_user_sgpr_private_segment_size 0
		.amdhsa_uses_dynamic_stack 0
		.amdhsa_system_sgpr_private_segment_wavefront_offset 0
		.amdhsa_system_sgpr_workgroup_id_x 1
		.amdhsa_system_sgpr_workgroup_id_y 0
		.amdhsa_system_sgpr_workgroup_id_z 0
		.amdhsa_system_sgpr_workgroup_info 0
		.amdhsa_system_vgpr_workitem_id 0
		.amdhsa_next_free_vgpr 1
		.amdhsa_next_free_sgpr 0
		.amdhsa_accum_offset 4
		.amdhsa_reserve_vcc 0
		.amdhsa_reserve_flat_scratch 0
		.amdhsa_float_round_mode_32 0
		.amdhsa_float_round_mode_16_64 0
		.amdhsa_float_denorm_mode_32 3
		.amdhsa_float_denorm_mode_16_64 3
		.amdhsa_dx10_clamp 1
		.amdhsa_ieee_mode 1
		.amdhsa_fp16_overflow 0
		.amdhsa_tg_split 0
		.amdhsa_exception_fp_ieee_invalid_op 0
		.amdhsa_exception_fp_denorm_src 0
		.amdhsa_exception_fp_ieee_div_zero 0
		.amdhsa_exception_fp_ieee_overflow 0
		.amdhsa_exception_fp_ieee_underflow 0
		.amdhsa_exception_fp_ieee_inexact 0
		.amdhsa_exception_int_div_zero 0
	.end_amdhsa_kernel
	.section	.text._ZN7rocprim17ROCPRIM_400000_NS6detail17trampoline_kernelINS0_14default_configENS1_20scan_config_selectorIiEEZZNS1_9scan_implILNS1_25lookback_scan_determinismE0ELb0ELb0ES3_N6thrust23THRUST_200600_302600_NS6detail15normal_iteratorINS9_10device_ptrIiEEEESE_i19const_ref_plus_mod3IiEiEEDaPvRmT3_T4_T5_mT6_P12ihipStream_tbENKUlT_T0_E_clISt17integral_constantIbLb0EESU_EEDaSP_SQ_EUlSP_E0_NS1_11comp_targetILNS1_3genE9ELNS1_11target_archE1100ELNS1_3gpuE3ELNS1_3repE0EEENS1_30default_config_static_selectorELNS0_4arch9wavefront6targetE1EEEvT1_,"axG",@progbits,_ZN7rocprim17ROCPRIM_400000_NS6detail17trampoline_kernelINS0_14default_configENS1_20scan_config_selectorIiEEZZNS1_9scan_implILNS1_25lookback_scan_determinismE0ELb0ELb0ES3_N6thrust23THRUST_200600_302600_NS6detail15normal_iteratorINS9_10device_ptrIiEEEESE_i19const_ref_plus_mod3IiEiEEDaPvRmT3_T4_T5_mT6_P12ihipStream_tbENKUlT_T0_E_clISt17integral_constantIbLb0EESU_EEDaSP_SQ_EUlSP_E0_NS1_11comp_targetILNS1_3genE9ELNS1_11target_archE1100ELNS1_3gpuE3ELNS1_3repE0EEENS1_30default_config_static_selectorELNS0_4arch9wavefront6targetE1EEEvT1_,comdat
.Lfunc_end6996:
	.size	_ZN7rocprim17ROCPRIM_400000_NS6detail17trampoline_kernelINS0_14default_configENS1_20scan_config_selectorIiEEZZNS1_9scan_implILNS1_25lookback_scan_determinismE0ELb0ELb0ES3_N6thrust23THRUST_200600_302600_NS6detail15normal_iteratorINS9_10device_ptrIiEEEESE_i19const_ref_plus_mod3IiEiEEDaPvRmT3_T4_T5_mT6_P12ihipStream_tbENKUlT_T0_E_clISt17integral_constantIbLb0EESU_EEDaSP_SQ_EUlSP_E0_NS1_11comp_targetILNS1_3genE9ELNS1_11target_archE1100ELNS1_3gpuE3ELNS1_3repE0EEENS1_30default_config_static_selectorELNS0_4arch9wavefront6targetE1EEEvT1_, .Lfunc_end6996-_ZN7rocprim17ROCPRIM_400000_NS6detail17trampoline_kernelINS0_14default_configENS1_20scan_config_selectorIiEEZZNS1_9scan_implILNS1_25lookback_scan_determinismE0ELb0ELb0ES3_N6thrust23THRUST_200600_302600_NS6detail15normal_iteratorINS9_10device_ptrIiEEEESE_i19const_ref_plus_mod3IiEiEEDaPvRmT3_T4_T5_mT6_P12ihipStream_tbENKUlT_T0_E_clISt17integral_constantIbLb0EESU_EEDaSP_SQ_EUlSP_E0_NS1_11comp_targetILNS1_3genE9ELNS1_11target_archE1100ELNS1_3gpuE3ELNS1_3repE0EEENS1_30default_config_static_selectorELNS0_4arch9wavefront6targetE1EEEvT1_
                                        ; -- End function
	.section	.AMDGPU.csdata,"",@progbits
; Kernel info:
; codeLenInByte = 0
; NumSgprs: 4
; NumVgprs: 0
; NumAgprs: 0
; TotalNumVgprs: 0
; ScratchSize: 0
; MemoryBound: 0
; FloatMode: 240
; IeeeMode: 1
; LDSByteSize: 0 bytes/workgroup (compile time only)
; SGPRBlocks: 0
; VGPRBlocks: 0
; NumSGPRsForWavesPerEU: 4
; NumVGPRsForWavesPerEU: 1
; AccumOffset: 4
; Occupancy: 8
; WaveLimiterHint : 0
; COMPUTE_PGM_RSRC2:SCRATCH_EN: 0
; COMPUTE_PGM_RSRC2:USER_SGPR: 6
; COMPUTE_PGM_RSRC2:TRAP_HANDLER: 0
; COMPUTE_PGM_RSRC2:TGID_X_EN: 1
; COMPUTE_PGM_RSRC2:TGID_Y_EN: 0
; COMPUTE_PGM_RSRC2:TGID_Z_EN: 0
; COMPUTE_PGM_RSRC2:TIDIG_COMP_CNT: 0
; COMPUTE_PGM_RSRC3_GFX90A:ACCUM_OFFSET: 0
; COMPUTE_PGM_RSRC3_GFX90A:TG_SPLIT: 0
	.section	.text._ZN7rocprim17ROCPRIM_400000_NS6detail17trampoline_kernelINS0_14default_configENS1_20scan_config_selectorIiEEZZNS1_9scan_implILNS1_25lookback_scan_determinismE0ELb0ELb0ES3_N6thrust23THRUST_200600_302600_NS6detail15normal_iteratorINS9_10device_ptrIiEEEESE_i19const_ref_plus_mod3IiEiEEDaPvRmT3_T4_T5_mT6_P12ihipStream_tbENKUlT_T0_E_clISt17integral_constantIbLb0EESU_EEDaSP_SQ_EUlSP_E0_NS1_11comp_targetILNS1_3genE8ELNS1_11target_archE1030ELNS1_3gpuE2ELNS1_3repE0EEENS1_30default_config_static_selectorELNS0_4arch9wavefront6targetE1EEEvT1_,"axG",@progbits,_ZN7rocprim17ROCPRIM_400000_NS6detail17trampoline_kernelINS0_14default_configENS1_20scan_config_selectorIiEEZZNS1_9scan_implILNS1_25lookback_scan_determinismE0ELb0ELb0ES3_N6thrust23THRUST_200600_302600_NS6detail15normal_iteratorINS9_10device_ptrIiEEEESE_i19const_ref_plus_mod3IiEiEEDaPvRmT3_T4_T5_mT6_P12ihipStream_tbENKUlT_T0_E_clISt17integral_constantIbLb0EESU_EEDaSP_SQ_EUlSP_E0_NS1_11comp_targetILNS1_3genE8ELNS1_11target_archE1030ELNS1_3gpuE2ELNS1_3repE0EEENS1_30default_config_static_selectorELNS0_4arch9wavefront6targetE1EEEvT1_,comdat
	.protected	_ZN7rocprim17ROCPRIM_400000_NS6detail17trampoline_kernelINS0_14default_configENS1_20scan_config_selectorIiEEZZNS1_9scan_implILNS1_25lookback_scan_determinismE0ELb0ELb0ES3_N6thrust23THRUST_200600_302600_NS6detail15normal_iteratorINS9_10device_ptrIiEEEESE_i19const_ref_plus_mod3IiEiEEDaPvRmT3_T4_T5_mT6_P12ihipStream_tbENKUlT_T0_E_clISt17integral_constantIbLb0EESU_EEDaSP_SQ_EUlSP_E0_NS1_11comp_targetILNS1_3genE8ELNS1_11target_archE1030ELNS1_3gpuE2ELNS1_3repE0EEENS1_30default_config_static_selectorELNS0_4arch9wavefront6targetE1EEEvT1_ ; -- Begin function _ZN7rocprim17ROCPRIM_400000_NS6detail17trampoline_kernelINS0_14default_configENS1_20scan_config_selectorIiEEZZNS1_9scan_implILNS1_25lookback_scan_determinismE0ELb0ELb0ES3_N6thrust23THRUST_200600_302600_NS6detail15normal_iteratorINS9_10device_ptrIiEEEESE_i19const_ref_plus_mod3IiEiEEDaPvRmT3_T4_T5_mT6_P12ihipStream_tbENKUlT_T0_E_clISt17integral_constantIbLb0EESU_EEDaSP_SQ_EUlSP_E0_NS1_11comp_targetILNS1_3genE8ELNS1_11target_archE1030ELNS1_3gpuE2ELNS1_3repE0EEENS1_30default_config_static_selectorELNS0_4arch9wavefront6targetE1EEEvT1_
	.globl	_ZN7rocprim17ROCPRIM_400000_NS6detail17trampoline_kernelINS0_14default_configENS1_20scan_config_selectorIiEEZZNS1_9scan_implILNS1_25lookback_scan_determinismE0ELb0ELb0ES3_N6thrust23THRUST_200600_302600_NS6detail15normal_iteratorINS9_10device_ptrIiEEEESE_i19const_ref_plus_mod3IiEiEEDaPvRmT3_T4_T5_mT6_P12ihipStream_tbENKUlT_T0_E_clISt17integral_constantIbLb0EESU_EEDaSP_SQ_EUlSP_E0_NS1_11comp_targetILNS1_3genE8ELNS1_11target_archE1030ELNS1_3gpuE2ELNS1_3repE0EEENS1_30default_config_static_selectorELNS0_4arch9wavefront6targetE1EEEvT1_
	.p2align	8
	.type	_ZN7rocprim17ROCPRIM_400000_NS6detail17trampoline_kernelINS0_14default_configENS1_20scan_config_selectorIiEEZZNS1_9scan_implILNS1_25lookback_scan_determinismE0ELb0ELb0ES3_N6thrust23THRUST_200600_302600_NS6detail15normal_iteratorINS9_10device_ptrIiEEEESE_i19const_ref_plus_mod3IiEiEEDaPvRmT3_T4_T5_mT6_P12ihipStream_tbENKUlT_T0_E_clISt17integral_constantIbLb0EESU_EEDaSP_SQ_EUlSP_E0_NS1_11comp_targetILNS1_3genE8ELNS1_11target_archE1030ELNS1_3gpuE2ELNS1_3repE0EEENS1_30default_config_static_selectorELNS0_4arch9wavefront6targetE1EEEvT1_,@function
_ZN7rocprim17ROCPRIM_400000_NS6detail17trampoline_kernelINS0_14default_configENS1_20scan_config_selectorIiEEZZNS1_9scan_implILNS1_25lookback_scan_determinismE0ELb0ELb0ES3_N6thrust23THRUST_200600_302600_NS6detail15normal_iteratorINS9_10device_ptrIiEEEESE_i19const_ref_plus_mod3IiEiEEDaPvRmT3_T4_T5_mT6_P12ihipStream_tbENKUlT_T0_E_clISt17integral_constantIbLb0EESU_EEDaSP_SQ_EUlSP_E0_NS1_11comp_targetILNS1_3genE8ELNS1_11target_archE1030ELNS1_3gpuE2ELNS1_3repE0EEENS1_30default_config_static_selectorELNS0_4arch9wavefront6targetE1EEEvT1_: ; @_ZN7rocprim17ROCPRIM_400000_NS6detail17trampoline_kernelINS0_14default_configENS1_20scan_config_selectorIiEEZZNS1_9scan_implILNS1_25lookback_scan_determinismE0ELb0ELb0ES3_N6thrust23THRUST_200600_302600_NS6detail15normal_iteratorINS9_10device_ptrIiEEEESE_i19const_ref_plus_mod3IiEiEEDaPvRmT3_T4_T5_mT6_P12ihipStream_tbENKUlT_T0_E_clISt17integral_constantIbLb0EESU_EEDaSP_SQ_EUlSP_E0_NS1_11comp_targetILNS1_3genE8ELNS1_11target_archE1030ELNS1_3gpuE2ELNS1_3repE0EEENS1_30default_config_static_selectorELNS0_4arch9wavefront6targetE1EEEvT1_
; %bb.0:
	.section	.rodata,"a",@progbits
	.p2align	6, 0x0
	.amdhsa_kernel _ZN7rocprim17ROCPRIM_400000_NS6detail17trampoline_kernelINS0_14default_configENS1_20scan_config_selectorIiEEZZNS1_9scan_implILNS1_25lookback_scan_determinismE0ELb0ELb0ES3_N6thrust23THRUST_200600_302600_NS6detail15normal_iteratorINS9_10device_ptrIiEEEESE_i19const_ref_plus_mod3IiEiEEDaPvRmT3_T4_T5_mT6_P12ihipStream_tbENKUlT_T0_E_clISt17integral_constantIbLb0EESU_EEDaSP_SQ_EUlSP_E0_NS1_11comp_targetILNS1_3genE8ELNS1_11target_archE1030ELNS1_3gpuE2ELNS1_3repE0EEENS1_30default_config_static_selectorELNS0_4arch9wavefront6targetE1EEEvT1_
		.amdhsa_group_segment_fixed_size 0
		.amdhsa_private_segment_fixed_size 0
		.amdhsa_kernarg_size 40
		.amdhsa_user_sgpr_count 6
		.amdhsa_user_sgpr_private_segment_buffer 1
		.amdhsa_user_sgpr_dispatch_ptr 0
		.amdhsa_user_sgpr_queue_ptr 0
		.amdhsa_user_sgpr_kernarg_segment_ptr 1
		.amdhsa_user_sgpr_dispatch_id 0
		.amdhsa_user_sgpr_flat_scratch_init 0
		.amdhsa_user_sgpr_kernarg_preload_length 0
		.amdhsa_user_sgpr_kernarg_preload_offset 0
		.amdhsa_user_sgpr_private_segment_size 0
		.amdhsa_uses_dynamic_stack 0
		.amdhsa_system_sgpr_private_segment_wavefront_offset 0
		.amdhsa_system_sgpr_workgroup_id_x 1
		.amdhsa_system_sgpr_workgroup_id_y 0
		.amdhsa_system_sgpr_workgroup_id_z 0
		.amdhsa_system_sgpr_workgroup_info 0
		.amdhsa_system_vgpr_workitem_id 0
		.amdhsa_next_free_vgpr 1
		.amdhsa_next_free_sgpr 0
		.amdhsa_accum_offset 4
		.amdhsa_reserve_vcc 0
		.amdhsa_reserve_flat_scratch 0
		.amdhsa_float_round_mode_32 0
		.amdhsa_float_round_mode_16_64 0
		.amdhsa_float_denorm_mode_32 3
		.amdhsa_float_denorm_mode_16_64 3
		.amdhsa_dx10_clamp 1
		.amdhsa_ieee_mode 1
		.amdhsa_fp16_overflow 0
		.amdhsa_tg_split 0
		.amdhsa_exception_fp_ieee_invalid_op 0
		.amdhsa_exception_fp_denorm_src 0
		.amdhsa_exception_fp_ieee_div_zero 0
		.amdhsa_exception_fp_ieee_overflow 0
		.amdhsa_exception_fp_ieee_underflow 0
		.amdhsa_exception_fp_ieee_inexact 0
		.amdhsa_exception_int_div_zero 0
	.end_amdhsa_kernel
	.section	.text._ZN7rocprim17ROCPRIM_400000_NS6detail17trampoline_kernelINS0_14default_configENS1_20scan_config_selectorIiEEZZNS1_9scan_implILNS1_25lookback_scan_determinismE0ELb0ELb0ES3_N6thrust23THRUST_200600_302600_NS6detail15normal_iteratorINS9_10device_ptrIiEEEESE_i19const_ref_plus_mod3IiEiEEDaPvRmT3_T4_T5_mT6_P12ihipStream_tbENKUlT_T0_E_clISt17integral_constantIbLb0EESU_EEDaSP_SQ_EUlSP_E0_NS1_11comp_targetILNS1_3genE8ELNS1_11target_archE1030ELNS1_3gpuE2ELNS1_3repE0EEENS1_30default_config_static_selectorELNS0_4arch9wavefront6targetE1EEEvT1_,"axG",@progbits,_ZN7rocprim17ROCPRIM_400000_NS6detail17trampoline_kernelINS0_14default_configENS1_20scan_config_selectorIiEEZZNS1_9scan_implILNS1_25lookback_scan_determinismE0ELb0ELb0ES3_N6thrust23THRUST_200600_302600_NS6detail15normal_iteratorINS9_10device_ptrIiEEEESE_i19const_ref_plus_mod3IiEiEEDaPvRmT3_T4_T5_mT6_P12ihipStream_tbENKUlT_T0_E_clISt17integral_constantIbLb0EESU_EEDaSP_SQ_EUlSP_E0_NS1_11comp_targetILNS1_3genE8ELNS1_11target_archE1030ELNS1_3gpuE2ELNS1_3repE0EEENS1_30default_config_static_selectorELNS0_4arch9wavefront6targetE1EEEvT1_,comdat
.Lfunc_end6997:
	.size	_ZN7rocprim17ROCPRIM_400000_NS6detail17trampoline_kernelINS0_14default_configENS1_20scan_config_selectorIiEEZZNS1_9scan_implILNS1_25lookback_scan_determinismE0ELb0ELb0ES3_N6thrust23THRUST_200600_302600_NS6detail15normal_iteratorINS9_10device_ptrIiEEEESE_i19const_ref_plus_mod3IiEiEEDaPvRmT3_T4_T5_mT6_P12ihipStream_tbENKUlT_T0_E_clISt17integral_constantIbLb0EESU_EEDaSP_SQ_EUlSP_E0_NS1_11comp_targetILNS1_3genE8ELNS1_11target_archE1030ELNS1_3gpuE2ELNS1_3repE0EEENS1_30default_config_static_selectorELNS0_4arch9wavefront6targetE1EEEvT1_, .Lfunc_end6997-_ZN7rocprim17ROCPRIM_400000_NS6detail17trampoline_kernelINS0_14default_configENS1_20scan_config_selectorIiEEZZNS1_9scan_implILNS1_25lookback_scan_determinismE0ELb0ELb0ES3_N6thrust23THRUST_200600_302600_NS6detail15normal_iteratorINS9_10device_ptrIiEEEESE_i19const_ref_plus_mod3IiEiEEDaPvRmT3_T4_T5_mT6_P12ihipStream_tbENKUlT_T0_E_clISt17integral_constantIbLb0EESU_EEDaSP_SQ_EUlSP_E0_NS1_11comp_targetILNS1_3genE8ELNS1_11target_archE1030ELNS1_3gpuE2ELNS1_3repE0EEENS1_30default_config_static_selectorELNS0_4arch9wavefront6targetE1EEEvT1_
                                        ; -- End function
	.section	.AMDGPU.csdata,"",@progbits
; Kernel info:
; codeLenInByte = 0
; NumSgprs: 4
; NumVgprs: 0
; NumAgprs: 0
; TotalNumVgprs: 0
; ScratchSize: 0
; MemoryBound: 0
; FloatMode: 240
; IeeeMode: 1
; LDSByteSize: 0 bytes/workgroup (compile time only)
; SGPRBlocks: 0
; VGPRBlocks: 0
; NumSGPRsForWavesPerEU: 4
; NumVGPRsForWavesPerEU: 1
; AccumOffset: 4
; Occupancy: 8
; WaveLimiterHint : 0
; COMPUTE_PGM_RSRC2:SCRATCH_EN: 0
; COMPUTE_PGM_RSRC2:USER_SGPR: 6
; COMPUTE_PGM_RSRC2:TRAP_HANDLER: 0
; COMPUTE_PGM_RSRC2:TGID_X_EN: 1
; COMPUTE_PGM_RSRC2:TGID_Y_EN: 0
; COMPUTE_PGM_RSRC2:TGID_Z_EN: 0
; COMPUTE_PGM_RSRC2:TIDIG_COMP_CNT: 0
; COMPUTE_PGM_RSRC3_GFX90A:ACCUM_OFFSET: 0
; COMPUTE_PGM_RSRC3_GFX90A:TG_SPLIT: 0
	.section	.text._ZN7rocprim17ROCPRIM_400000_NS6detail17trampoline_kernelINS0_14default_configENS1_20scan_config_selectorIiEEZZNS1_9scan_implILNS1_25lookback_scan_determinismE0ELb0ELb0ES3_N6thrust23THRUST_200600_302600_NS6detail15normal_iteratorINS9_10device_ptrIiEEEESE_i19const_ref_plus_mod3IiEiEEDaPvRmT3_T4_T5_mT6_P12ihipStream_tbENKUlT_T0_E_clISt17integral_constantIbLb1EESU_EEDaSP_SQ_EUlSP_E_NS1_11comp_targetILNS1_3genE0ELNS1_11target_archE4294967295ELNS1_3gpuE0ELNS1_3repE0EEENS1_30default_config_static_selectorELNS0_4arch9wavefront6targetE1EEEvT1_,"axG",@progbits,_ZN7rocprim17ROCPRIM_400000_NS6detail17trampoline_kernelINS0_14default_configENS1_20scan_config_selectorIiEEZZNS1_9scan_implILNS1_25lookback_scan_determinismE0ELb0ELb0ES3_N6thrust23THRUST_200600_302600_NS6detail15normal_iteratorINS9_10device_ptrIiEEEESE_i19const_ref_plus_mod3IiEiEEDaPvRmT3_T4_T5_mT6_P12ihipStream_tbENKUlT_T0_E_clISt17integral_constantIbLb1EESU_EEDaSP_SQ_EUlSP_E_NS1_11comp_targetILNS1_3genE0ELNS1_11target_archE4294967295ELNS1_3gpuE0ELNS1_3repE0EEENS1_30default_config_static_selectorELNS0_4arch9wavefront6targetE1EEEvT1_,comdat
	.protected	_ZN7rocprim17ROCPRIM_400000_NS6detail17trampoline_kernelINS0_14default_configENS1_20scan_config_selectorIiEEZZNS1_9scan_implILNS1_25lookback_scan_determinismE0ELb0ELb0ES3_N6thrust23THRUST_200600_302600_NS6detail15normal_iteratorINS9_10device_ptrIiEEEESE_i19const_ref_plus_mod3IiEiEEDaPvRmT3_T4_T5_mT6_P12ihipStream_tbENKUlT_T0_E_clISt17integral_constantIbLb1EESU_EEDaSP_SQ_EUlSP_E_NS1_11comp_targetILNS1_3genE0ELNS1_11target_archE4294967295ELNS1_3gpuE0ELNS1_3repE0EEENS1_30default_config_static_selectorELNS0_4arch9wavefront6targetE1EEEvT1_ ; -- Begin function _ZN7rocprim17ROCPRIM_400000_NS6detail17trampoline_kernelINS0_14default_configENS1_20scan_config_selectorIiEEZZNS1_9scan_implILNS1_25lookback_scan_determinismE0ELb0ELb0ES3_N6thrust23THRUST_200600_302600_NS6detail15normal_iteratorINS9_10device_ptrIiEEEESE_i19const_ref_plus_mod3IiEiEEDaPvRmT3_T4_T5_mT6_P12ihipStream_tbENKUlT_T0_E_clISt17integral_constantIbLb1EESU_EEDaSP_SQ_EUlSP_E_NS1_11comp_targetILNS1_3genE0ELNS1_11target_archE4294967295ELNS1_3gpuE0ELNS1_3repE0EEENS1_30default_config_static_selectorELNS0_4arch9wavefront6targetE1EEEvT1_
	.globl	_ZN7rocprim17ROCPRIM_400000_NS6detail17trampoline_kernelINS0_14default_configENS1_20scan_config_selectorIiEEZZNS1_9scan_implILNS1_25lookback_scan_determinismE0ELb0ELb0ES3_N6thrust23THRUST_200600_302600_NS6detail15normal_iteratorINS9_10device_ptrIiEEEESE_i19const_ref_plus_mod3IiEiEEDaPvRmT3_T4_T5_mT6_P12ihipStream_tbENKUlT_T0_E_clISt17integral_constantIbLb1EESU_EEDaSP_SQ_EUlSP_E_NS1_11comp_targetILNS1_3genE0ELNS1_11target_archE4294967295ELNS1_3gpuE0ELNS1_3repE0EEENS1_30default_config_static_selectorELNS0_4arch9wavefront6targetE1EEEvT1_
	.p2align	8
	.type	_ZN7rocprim17ROCPRIM_400000_NS6detail17trampoline_kernelINS0_14default_configENS1_20scan_config_selectorIiEEZZNS1_9scan_implILNS1_25lookback_scan_determinismE0ELb0ELb0ES3_N6thrust23THRUST_200600_302600_NS6detail15normal_iteratorINS9_10device_ptrIiEEEESE_i19const_ref_plus_mod3IiEiEEDaPvRmT3_T4_T5_mT6_P12ihipStream_tbENKUlT_T0_E_clISt17integral_constantIbLb1EESU_EEDaSP_SQ_EUlSP_E_NS1_11comp_targetILNS1_3genE0ELNS1_11target_archE4294967295ELNS1_3gpuE0ELNS1_3repE0EEENS1_30default_config_static_selectorELNS0_4arch9wavefront6targetE1EEEvT1_,@function
_ZN7rocprim17ROCPRIM_400000_NS6detail17trampoline_kernelINS0_14default_configENS1_20scan_config_selectorIiEEZZNS1_9scan_implILNS1_25lookback_scan_determinismE0ELb0ELb0ES3_N6thrust23THRUST_200600_302600_NS6detail15normal_iteratorINS9_10device_ptrIiEEEESE_i19const_ref_plus_mod3IiEiEEDaPvRmT3_T4_T5_mT6_P12ihipStream_tbENKUlT_T0_E_clISt17integral_constantIbLb1EESU_EEDaSP_SQ_EUlSP_E_NS1_11comp_targetILNS1_3genE0ELNS1_11target_archE4294967295ELNS1_3gpuE0ELNS1_3repE0EEENS1_30default_config_static_selectorELNS0_4arch9wavefront6targetE1EEEvT1_: ; @_ZN7rocprim17ROCPRIM_400000_NS6detail17trampoline_kernelINS0_14default_configENS1_20scan_config_selectorIiEEZZNS1_9scan_implILNS1_25lookback_scan_determinismE0ELb0ELb0ES3_N6thrust23THRUST_200600_302600_NS6detail15normal_iteratorINS9_10device_ptrIiEEEESE_i19const_ref_plus_mod3IiEiEEDaPvRmT3_T4_T5_mT6_P12ihipStream_tbENKUlT_T0_E_clISt17integral_constantIbLb1EESU_EEDaSP_SQ_EUlSP_E_NS1_11comp_targetILNS1_3genE0ELNS1_11target_archE4294967295ELNS1_3gpuE0ELNS1_3repE0EEENS1_30default_config_static_selectorELNS0_4arch9wavefront6targetE1EEEvT1_
; %bb.0:
	.section	.rodata,"a",@progbits
	.p2align	6, 0x0
	.amdhsa_kernel _ZN7rocprim17ROCPRIM_400000_NS6detail17trampoline_kernelINS0_14default_configENS1_20scan_config_selectorIiEEZZNS1_9scan_implILNS1_25lookback_scan_determinismE0ELb0ELb0ES3_N6thrust23THRUST_200600_302600_NS6detail15normal_iteratorINS9_10device_ptrIiEEEESE_i19const_ref_plus_mod3IiEiEEDaPvRmT3_T4_T5_mT6_P12ihipStream_tbENKUlT_T0_E_clISt17integral_constantIbLb1EESU_EEDaSP_SQ_EUlSP_E_NS1_11comp_targetILNS1_3genE0ELNS1_11target_archE4294967295ELNS1_3gpuE0ELNS1_3repE0EEENS1_30default_config_static_selectorELNS0_4arch9wavefront6targetE1EEEvT1_
		.amdhsa_group_segment_fixed_size 0
		.amdhsa_private_segment_fixed_size 0
		.amdhsa_kernarg_size 104
		.amdhsa_user_sgpr_count 6
		.amdhsa_user_sgpr_private_segment_buffer 1
		.amdhsa_user_sgpr_dispatch_ptr 0
		.amdhsa_user_sgpr_queue_ptr 0
		.amdhsa_user_sgpr_kernarg_segment_ptr 1
		.amdhsa_user_sgpr_dispatch_id 0
		.amdhsa_user_sgpr_flat_scratch_init 0
		.amdhsa_user_sgpr_kernarg_preload_length 0
		.amdhsa_user_sgpr_kernarg_preload_offset 0
		.amdhsa_user_sgpr_private_segment_size 0
		.amdhsa_uses_dynamic_stack 0
		.amdhsa_system_sgpr_private_segment_wavefront_offset 0
		.amdhsa_system_sgpr_workgroup_id_x 1
		.amdhsa_system_sgpr_workgroup_id_y 0
		.amdhsa_system_sgpr_workgroup_id_z 0
		.amdhsa_system_sgpr_workgroup_info 0
		.amdhsa_system_vgpr_workitem_id 0
		.amdhsa_next_free_vgpr 1
		.amdhsa_next_free_sgpr 0
		.amdhsa_accum_offset 4
		.amdhsa_reserve_vcc 0
		.amdhsa_reserve_flat_scratch 0
		.amdhsa_float_round_mode_32 0
		.amdhsa_float_round_mode_16_64 0
		.amdhsa_float_denorm_mode_32 3
		.amdhsa_float_denorm_mode_16_64 3
		.amdhsa_dx10_clamp 1
		.amdhsa_ieee_mode 1
		.amdhsa_fp16_overflow 0
		.amdhsa_tg_split 0
		.amdhsa_exception_fp_ieee_invalid_op 0
		.amdhsa_exception_fp_denorm_src 0
		.amdhsa_exception_fp_ieee_div_zero 0
		.amdhsa_exception_fp_ieee_overflow 0
		.amdhsa_exception_fp_ieee_underflow 0
		.amdhsa_exception_fp_ieee_inexact 0
		.amdhsa_exception_int_div_zero 0
	.end_amdhsa_kernel
	.section	.text._ZN7rocprim17ROCPRIM_400000_NS6detail17trampoline_kernelINS0_14default_configENS1_20scan_config_selectorIiEEZZNS1_9scan_implILNS1_25lookback_scan_determinismE0ELb0ELb0ES3_N6thrust23THRUST_200600_302600_NS6detail15normal_iteratorINS9_10device_ptrIiEEEESE_i19const_ref_plus_mod3IiEiEEDaPvRmT3_T4_T5_mT6_P12ihipStream_tbENKUlT_T0_E_clISt17integral_constantIbLb1EESU_EEDaSP_SQ_EUlSP_E_NS1_11comp_targetILNS1_3genE0ELNS1_11target_archE4294967295ELNS1_3gpuE0ELNS1_3repE0EEENS1_30default_config_static_selectorELNS0_4arch9wavefront6targetE1EEEvT1_,"axG",@progbits,_ZN7rocprim17ROCPRIM_400000_NS6detail17trampoline_kernelINS0_14default_configENS1_20scan_config_selectorIiEEZZNS1_9scan_implILNS1_25lookback_scan_determinismE0ELb0ELb0ES3_N6thrust23THRUST_200600_302600_NS6detail15normal_iteratorINS9_10device_ptrIiEEEESE_i19const_ref_plus_mod3IiEiEEDaPvRmT3_T4_T5_mT6_P12ihipStream_tbENKUlT_T0_E_clISt17integral_constantIbLb1EESU_EEDaSP_SQ_EUlSP_E_NS1_11comp_targetILNS1_3genE0ELNS1_11target_archE4294967295ELNS1_3gpuE0ELNS1_3repE0EEENS1_30default_config_static_selectorELNS0_4arch9wavefront6targetE1EEEvT1_,comdat
.Lfunc_end6998:
	.size	_ZN7rocprim17ROCPRIM_400000_NS6detail17trampoline_kernelINS0_14default_configENS1_20scan_config_selectorIiEEZZNS1_9scan_implILNS1_25lookback_scan_determinismE0ELb0ELb0ES3_N6thrust23THRUST_200600_302600_NS6detail15normal_iteratorINS9_10device_ptrIiEEEESE_i19const_ref_plus_mod3IiEiEEDaPvRmT3_T4_T5_mT6_P12ihipStream_tbENKUlT_T0_E_clISt17integral_constantIbLb1EESU_EEDaSP_SQ_EUlSP_E_NS1_11comp_targetILNS1_3genE0ELNS1_11target_archE4294967295ELNS1_3gpuE0ELNS1_3repE0EEENS1_30default_config_static_selectorELNS0_4arch9wavefront6targetE1EEEvT1_, .Lfunc_end6998-_ZN7rocprim17ROCPRIM_400000_NS6detail17trampoline_kernelINS0_14default_configENS1_20scan_config_selectorIiEEZZNS1_9scan_implILNS1_25lookback_scan_determinismE0ELb0ELb0ES3_N6thrust23THRUST_200600_302600_NS6detail15normal_iteratorINS9_10device_ptrIiEEEESE_i19const_ref_plus_mod3IiEiEEDaPvRmT3_T4_T5_mT6_P12ihipStream_tbENKUlT_T0_E_clISt17integral_constantIbLb1EESU_EEDaSP_SQ_EUlSP_E_NS1_11comp_targetILNS1_3genE0ELNS1_11target_archE4294967295ELNS1_3gpuE0ELNS1_3repE0EEENS1_30default_config_static_selectorELNS0_4arch9wavefront6targetE1EEEvT1_
                                        ; -- End function
	.section	.AMDGPU.csdata,"",@progbits
; Kernel info:
; codeLenInByte = 0
; NumSgprs: 4
; NumVgprs: 0
; NumAgprs: 0
; TotalNumVgprs: 0
; ScratchSize: 0
; MemoryBound: 0
; FloatMode: 240
; IeeeMode: 1
; LDSByteSize: 0 bytes/workgroup (compile time only)
; SGPRBlocks: 0
; VGPRBlocks: 0
; NumSGPRsForWavesPerEU: 4
; NumVGPRsForWavesPerEU: 1
; AccumOffset: 4
; Occupancy: 8
; WaveLimiterHint : 0
; COMPUTE_PGM_RSRC2:SCRATCH_EN: 0
; COMPUTE_PGM_RSRC2:USER_SGPR: 6
; COMPUTE_PGM_RSRC2:TRAP_HANDLER: 0
; COMPUTE_PGM_RSRC2:TGID_X_EN: 1
; COMPUTE_PGM_RSRC2:TGID_Y_EN: 0
; COMPUTE_PGM_RSRC2:TGID_Z_EN: 0
; COMPUTE_PGM_RSRC2:TIDIG_COMP_CNT: 0
; COMPUTE_PGM_RSRC3_GFX90A:ACCUM_OFFSET: 0
; COMPUTE_PGM_RSRC3_GFX90A:TG_SPLIT: 0
	.section	.text._ZN7rocprim17ROCPRIM_400000_NS6detail17trampoline_kernelINS0_14default_configENS1_20scan_config_selectorIiEEZZNS1_9scan_implILNS1_25lookback_scan_determinismE0ELb0ELb0ES3_N6thrust23THRUST_200600_302600_NS6detail15normal_iteratorINS9_10device_ptrIiEEEESE_i19const_ref_plus_mod3IiEiEEDaPvRmT3_T4_T5_mT6_P12ihipStream_tbENKUlT_T0_E_clISt17integral_constantIbLb1EESU_EEDaSP_SQ_EUlSP_E_NS1_11comp_targetILNS1_3genE5ELNS1_11target_archE942ELNS1_3gpuE9ELNS1_3repE0EEENS1_30default_config_static_selectorELNS0_4arch9wavefront6targetE1EEEvT1_,"axG",@progbits,_ZN7rocprim17ROCPRIM_400000_NS6detail17trampoline_kernelINS0_14default_configENS1_20scan_config_selectorIiEEZZNS1_9scan_implILNS1_25lookback_scan_determinismE0ELb0ELb0ES3_N6thrust23THRUST_200600_302600_NS6detail15normal_iteratorINS9_10device_ptrIiEEEESE_i19const_ref_plus_mod3IiEiEEDaPvRmT3_T4_T5_mT6_P12ihipStream_tbENKUlT_T0_E_clISt17integral_constantIbLb1EESU_EEDaSP_SQ_EUlSP_E_NS1_11comp_targetILNS1_3genE5ELNS1_11target_archE942ELNS1_3gpuE9ELNS1_3repE0EEENS1_30default_config_static_selectorELNS0_4arch9wavefront6targetE1EEEvT1_,comdat
	.protected	_ZN7rocprim17ROCPRIM_400000_NS6detail17trampoline_kernelINS0_14default_configENS1_20scan_config_selectorIiEEZZNS1_9scan_implILNS1_25lookback_scan_determinismE0ELb0ELb0ES3_N6thrust23THRUST_200600_302600_NS6detail15normal_iteratorINS9_10device_ptrIiEEEESE_i19const_ref_plus_mod3IiEiEEDaPvRmT3_T4_T5_mT6_P12ihipStream_tbENKUlT_T0_E_clISt17integral_constantIbLb1EESU_EEDaSP_SQ_EUlSP_E_NS1_11comp_targetILNS1_3genE5ELNS1_11target_archE942ELNS1_3gpuE9ELNS1_3repE0EEENS1_30default_config_static_selectorELNS0_4arch9wavefront6targetE1EEEvT1_ ; -- Begin function _ZN7rocprim17ROCPRIM_400000_NS6detail17trampoline_kernelINS0_14default_configENS1_20scan_config_selectorIiEEZZNS1_9scan_implILNS1_25lookback_scan_determinismE0ELb0ELb0ES3_N6thrust23THRUST_200600_302600_NS6detail15normal_iteratorINS9_10device_ptrIiEEEESE_i19const_ref_plus_mod3IiEiEEDaPvRmT3_T4_T5_mT6_P12ihipStream_tbENKUlT_T0_E_clISt17integral_constantIbLb1EESU_EEDaSP_SQ_EUlSP_E_NS1_11comp_targetILNS1_3genE5ELNS1_11target_archE942ELNS1_3gpuE9ELNS1_3repE0EEENS1_30default_config_static_selectorELNS0_4arch9wavefront6targetE1EEEvT1_
	.globl	_ZN7rocprim17ROCPRIM_400000_NS6detail17trampoline_kernelINS0_14default_configENS1_20scan_config_selectorIiEEZZNS1_9scan_implILNS1_25lookback_scan_determinismE0ELb0ELb0ES3_N6thrust23THRUST_200600_302600_NS6detail15normal_iteratorINS9_10device_ptrIiEEEESE_i19const_ref_plus_mod3IiEiEEDaPvRmT3_T4_T5_mT6_P12ihipStream_tbENKUlT_T0_E_clISt17integral_constantIbLb1EESU_EEDaSP_SQ_EUlSP_E_NS1_11comp_targetILNS1_3genE5ELNS1_11target_archE942ELNS1_3gpuE9ELNS1_3repE0EEENS1_30default_config_static_selectorELNS0_4arch9wavefront6targetE1EEEvT1_
	.p2align	8
	.type	_ZN7rocprim17ROCPRIM_400000_NS6detail17trampoline_kernelINS0_14default_configENS1_20scan_config_selectorIiEEZZNS1_9scan_implILNS1_25lookback_scan_determinismE0ELb0ELb0ES3_N6thrust23THRUST_200600_302600_NS6detail15normal_iteratorINS9_10device_ptrIiEEEESE_i19const_ref_plus_mod3IiEiEEDaPvRmT3_T4_T5_mT6_P12ihipStream_tbENKUlT_T0_E_clISt17integral_constantIbLb1EESU_EEDaSP_SQ_EUlSP_E_NS1_11comp_targetILNS1_3genE5ELNS1_11target_archE942ELNS1_3gpuE9ELNS1_3repE0EEENS1_30default_config_static_selectorELNS0_4arch9wavefront6targetE1EEEvT1_,@function
_ZN7rocprim17ROCPRIM_400000_NS6detail17trampoline_kernelINS0_14default_configENS1_20scan_config_selectorIiEEZZNS1_9scan_implILNS1_25lookback_scan_determinismE0ELb0ELb0ES3_N6thrust23THRUST_200600_302600_NS6detail15normal_iteratorINS9_10device_ptrIiEEEESE_i19const_ref_plus_mod3IiEiEEDaPvRmT3_T4_T5_mT6_P12ihipStream_tbENKUlT_T0_E_clISt17integral_constantIbLb1EESU_EEDaSP_SQ_EUlSP_E_NS1_11comp_targetILNS1_3genE5ELNS1_11target_archE942ELNS1_3gpuE9ELNS1_3repE0EEENS1_30default_config_static_selectorELNS0_4arch9wavefront6targetE1EEEvT1_: ; @_ZN7rocprim17ROCPRIM_400000_NS6detail17trampoline_kernelINS0_14default_configENS1_20scan_config_selectorIiEEZZNS1_9scan_implILNS1_25lookback_scan_determinismE0ELb0ELb0ES3_N6thrust23THRUST_200600_302600_NS6detail15normal_iteratorINS9_10device_ptrIiEEEESE_i19const_ref_plus_mod3IiEiEEDaPvRmT3_T4_T5_mT6_P12ihipStream_tbENKUlT_T0_E_clISt17integral_constantIbLb1EESU_EEDaSP_SQ_EUlSP_E_NS1_11comp_targetILNS1_3genE5ELNS1_11target_archE942ELNS1_3gpuE9ELNS1_3repE0EEENS1_30default_config_static_selectorELNS0_4arch9wavefront6targetE1EEEvT1_
; %bb.0:
	.section	.rodata,"a",@progbits
	.p2align	6, 0x0
	.amdhsa_kernel _ZN7rocprim17ROCPRIM_400000_NS6detail17trampoline_kernelINS0_14default_configENS1_20scan_config_selectorIiEEZZNS1_9scan_implILNS1_25lookback_scan_determinismE0ELb0ELb0ES3_N6thrust23THRUST_200600_302600_NS6detail15normal_iteratorINS9_10device_ptrIiEEEESE_i19const_ref_plus_mod3IiEiEEDaPvRmT3_T4_T5_mT6_P12ihipStream_tbENKUlT_T0_E_clISt17integral_constantIbLb1EESU_EEDaSP_SQ_EUlSP_E_NS1_11comp_targetILNS1_3genE5ELNS1_11target_archE942ELNS1_3gpuE9ELNS1_3repE0EEENS1_30default_config_static_selectorELNS0_4arch9wavefront6targetE1EEEvT1_
		.amdhsa_group_segment_fixed_size 0
		.amdhsa_private_segment_fixed_size 0
		.amdhsa_kernarg_size 104
		.amdhsa_user_sgpr_count 6
		.amdhsa_user_sgpr_private_segment_buffer 1
		.amdhsa_user_sgpr_dispatch_ptr 0
		.amdhsa_user_sgpr_queue_ptr 0
		.amdhsa_user_sgpr_kernarg_segment_ptr 1
		.amdhsa_user_sgpr_dispatch_id 0
		.amdhsa_user_sgpr_flat_scratch_init 0
		.amdhsa_user_sgpr_kernarg_preload_length 0
		.amdhsa_user_sgpr_kernarg_preload_offset 0
		.amdhsa_user_sgpr_private_segment_size 0
		.amdhsa_uses_dynamic_stack 0
		.amdhsa_system_sgpr_private_segment_wavefront_offset 0
		.amdhsa_system_sgpr_workgroup_id_x 1
		.amdhsa_system_sgpr_workgroup_id_y 0
		.amdhsa_system_sgpr_workgroup_id_z 0
		.amdhsa_system_sgpr_workgroup_info 0
		.amdhsa_system_vgpr_workitem_id 0
		.amdhsa_next_free_vgpr 1
		.amdhsa_next_free_sgpr 0
		.amdhsa_accum_offset 4
		.amdhsa_reserve_vcc 0
		.amdhsa_reserve_flat_scratch 0
		.amdhsa_float_round_mode_32 0
		.amdhsa_float_round_mode_16_64 0
		.amdhsa_float_denorm_mode_32 3
		.amdhsa_float_denorm_mode_16_64 3
		.amdhsa_dx10_clamp 1
		.amdhsa_ieee_mode 1
		.amdhsa_fp16_overflow 0
		.amdhsa_tg_split 0
		.amdhsa_exception_fp_ieee_invalid_op 0
		.amdhsa_exception_fp_denorm_src 0
		.amdhsa_exception_fp_ieee_div_zero 0
		.amdhsa_exception_fp_ieee_overflow 0
		.amdhsa_exception_fp_ieee_underflow 0
		.amdhsa_exception_fp_ieee_inexact 0
		.amdhsa_exception_int_div_zero 0
	.end_amdhsa_kernel
	.section	.text._ZN7rocprim17ROCPRIM_400000_NS6detail17trampoline_kernelINS0_14default_configENS1_20scan_config_selectorIiEEZZNS1_9scan_implILNS1_25lookback_scan_determinismE0ELb0ELb0ES3_N6thrust23THRUST_200600_302600_NS6detail15normal_iteratorINS9_10device_ptrIiEEEESE_i19const_ref_plus_mod3IiEiEEDaPvRmT3_T4_T5_mT6_P12ihipStream_tbENKUlT_T0_E_clISt17integral_constantIbLb1EESU_EEDaSP_SQ_EUlSP_E_NS1_11comp_targetILNS1_3genE5ELNS1_11target_archE942ELNS1_3gpuE9ELNS1_3repE0EEENS1_30default_config_static_selectorELNS0_4arch9wavefront6targetE1EEEvT1_,"axG",@progbits,_ZN7rocprim17ROCPRIM_400000_NS6detail17trampoline_kernelINS0_14default_configENS1_20scan_config_selectorIiEEZZNS1_9scan_implILNS1_25lookback_scan_determinismE0ELb0ELb0ES3_N6thrust23THRUST_200600_302600_NS6detail15normal_iteratorINS9_10device_ptrIiEEEESE_i19const_ref_plus_mod3IiEiEEDaPvRmT3_T4_T5_mT6_P12ihipStream_tbENKUlT_T0_E_clISt17integral_constantIbLb1EESU_EEDaSP_SQ_EUlSP_E_NS1_11comp_targetILNS1_3genE5ELNS1_11target_archE942ELNS1_3gpuE9ELNS1_3repE0EEENS1_30default_config_static_selectorELNS0_4arch9wavefront6targetE1EEEvT1_,comdat
.Lfunc_end6999:
	.size	_ZN7rocprim17ROCPRIM_400000_NS6detail17trampoline_kernelINS0_14default_configENS1_20scan_config_selectorIiEEZZNS1_9scan_implILNS1_25lookback_scan_determinismE0ELb0ELb0ES3_N6thrust23THRUST_200600_302600_NS6detail15normal_iteratorINS9_10device_ptrIiEEEESE_i19const_ref_plus_mod3IiEiEEDaPvRmT3_T4_T5_mT6_P12ihipStream_tbENKUlT_T0_E_clISt17integral_constantIbLb1EESU_EEDaSP_SQ_EUlSP_E_NS1_11comp_targetILNS1_3genE5ELNS1_11target_archE942ELNS1_3gpuE9ELNS1_3repE0EEENS1_30default_config_static_selectorELNS0_4arch9wavefront6targetE1EEEvT1_, .Lfunc_end6999-_ZN7rocprim17ROCPRIM_400000_NS6detail17trampoline_kernelINS0_14default_configENS1_20scan_config_selectorIiEEZZNS1_9scan_implILNS1_25lookback_scan_determinismE0ELb0ELb0ES3_N6thrust23THRUST_200600_302600_NS6detail15normal_iteratorINS9_10device_ptrIiEEEESE_i19const_ref_plus_mod3IiEiEEDaPvRmT3_T4_T5_mT6_P12ihipStream_tbENKUlT_T0_E_clISt17integral_constantIbLb1EESU_EEDaSP_SQ_EUlSP_E_NS1_11comp_targetILNS1_3genE5ELNS1_11target_archE942ELNS1_3gpuE9ELNS1_3repE0EEENS1_30default_config_static_selectorELNS0_4arch9wavefront6targetE1EEEvT1_
                                        ; -- End function
	.section	.AMDGPU.csdata,"",@progbits
; Kernel info:
; codeLenInByte = 0
; NumSgprs: 4
; NumVgprs: 0
; NumAgprs: 0
; TotalNumVgprs: 0
; ScratchSize: 0
; MemoryBound: 0
; FloatMode: 240
; IeeeMode: 1
; LDSByteSize: 0 bytes/workgroup (compile time only)
; SGPRBlocks: 0
; VGPRBlocks: 0
; NumSGPRsForWavesPerEU: 4
; NumVGPRsForWavesPerEU: 1
; AccumOffset: 4
; Occupancy: 8
; WaveLimiterHint : 0
; COMPUTE_PGM_RSRC2:SCRATCH_EN: 0
; COMPUTE_PGM_RSRC2:USER_SGPR: 6
; COMPUTE_PGM_RSRC2:TRAP_HANDLER: 0
; COMPUTE_PGM_RSRC2:TGID_X_EN: 1
; COMPUTE_PGM_RSRC2:TGID_Y_EN: 0
; COMPUTE_PGM_RSRC2:TGID_Z_EN: 0
; COMPUTE_PGM_RSRC2:TIDIG_COMP_CNT: 0
; COMPUTE_PGM_RSRC3_GFX90A:ACCUM_OFFSET: 0
; COMPUTE_PGM_RSRC3_GFX90A:TG_SPLIT: 0
	.section	.text._ZN7rocprim17ROCPRIM_400000_NS6detail17trampoline_kernelINS0_14default_configENS1_20scan_config_selectorIiEEZZNS1_9scan_implILNS1_25lookback_scan_determinismE0ELb0ELb0ES3_N6thrust23THRUST_200600_302600_NS6detail15normal_iteratorINS9_10device_ptrIiEEEESE_i19const_ref_plus_mod3IiEiEEDaPvRmT3_T4_T5_mT6_P12ihipStream_tbENKUlT_T0_E_clISt17integral_constantIbLb1EESU_EEDaSP_SQ_EUlSP_E_NS1_11comp_targetILNS1_3genE4ELNS1_11target_archE910ELNS1_3gpuE8ELNS1_3repE0EEENS1_30default_config_static_selectorELNS0_4arch9wavefront6targetE1EEEvT1_,"axG",@progbits,_ZN7rocprim17ROCPRIM_400000_NS6detail17trampoline_kernelINS0_14default_configENS1_20scan_config_selectorIiEEZZNS1_9scan_implILNS1_25lookback_scan_determinismE0ELb0ELb0ES3_N6thrust23THRUST_200600_302600_NS6detail15normal_iteratorINS9_10device_ptrIiEEEESE_i19const_ref_plus_mod3IiEiEEDaPvRmT3_T4_T5_mT6_P12ihipStream_tbENKUlT_T0_E_clISt17integral_constantIbLb1EESU_EEDaSP_SQ_EUlSP_E_NS1_11comp_targetILNS1_3genE4ELNS1_11target_archE910ELNS1_3gpuE8ELNS1_3repE0EEENS1_30default_config_static_selectorELNS0_4arch9wavefront6targetE1EEEvT1_,comdat
	.protected	_ZN7rocprim17ROCPRIM_400000_NS6detail17trampoline_kernelINS0_14default_configENS1_20scan_config_selectorIiEEZZNS1_9scan_implILNS1_25lookback_scan_determinismE0ELb0ELb0ES3_N6thrust23THRUST_200600_302600_NS6detail15normal_iteratorINS9_10device_ptrIiEEEESE_i19const_ref_plus_mod3IiEiEEDaPvRmT3_T4_T5_mT6_P12ihipStream_tbENKUlT_T0_E_clISt17integral_constantIbLb1EESU_EEDaSP_SQ_EUlSP_E_NS1_11comp_targetILNS1_3genE4ELNS1_11target_archE910ELNS1_3gpuE8ELNS1_3repE0EEENS1_30default_config_static_selectorELNS0_4arch9wavefront6targetE1EEEvT1_ ; -- Begin function _ZN7rocprim17ROCPRIM_400000_NS6detail17trampoline_kernelINS0_14default_configENS1_20scan_config_selectorIiEEZZNS1_9scan_implILNS1_25lookback_scan_determinismE0ELb0ELb0ES3_N6thrust23THRUST_200600_302600_NS6detail15normal_iteratorINS9_10device_ptrIiEEEESE_i19const_ref_plus_mod3IiEiEEDaPvRmT3_T4_T5_mT6_P12ihipStream_tbENKUlT_T0_E_clISt17integral_constantIbLb1EESU_EEDaSP_SQ_EUlSP_E_NS1_11comp_targetILNS1_3genE4ELNS1_11target_archE910ELNS1_3gpuE8ELNS1_3repE0EEENS1_30default_config_static_selectorELNS0_4arch9wavefront6targetE1EEEvT1_
	.globl	_ZN7rocprim17ROCPRIM_400000_NS6detail17trampoline_kernelINS0_14default_configENS1_20scan_config_selectorIiEEZZNS1_9scan_implILNS1_25lookback_scan_determinismE0ELb0ELb0ES3_N6thrust23THRUST_200600_302600_NS6detail15normal_iteratorINS9_10device_ptrIiEEEESE_i19const_ref_plus_mod3IiEiEEDaPvRmT3_T4_T5_mT6_P12ihipStream_tbENKUlT_T0_E_clISt17integral_constantIbLb1EESU_EEDaSP_SQ_EUlSP_E_NS1_11comp_targetILNS1_3genE4ELNS1_11target_archE910ELNS1_3gpuE8ELNS1_3repE0EEENS1_30default_config_static_selectorELNS0_4arch9wavefront6targetE1EEEvT1_
	.p2align	8
	.type	_ZN7rocprim17ROCPRIM_400000_NS6detail17trampoline_kernelINS0_14default_configENS1_20scan_config_selectorIiEEZZNS1_9scan_implILNS1_25lookback_scan_determinismE0ELb0ELb0ES3_N6thrust23THRUST_200600_302600_NS6detail15normal_iteratorINS9_10device_ptrIiEEEESE_i19const_ref_plus_mod3IiEiEEDaPvRmT3_T4_T5_mT6_P12ihipStream_tbENKUlT_T0_E_clISt17integral_constantIbLb1EESU_EEDaSP_SQ_EUlSP_E_NS1_11comp_targetILNS1_3genE4ELNS1_11target_archE910ELNS1_3gpuE8ELNS1_3repE0EEENS1_30default_config_static_selectorELNS0_4arch9wavefront6targetE1EEEvT1_,@function
_ZN7rocprim17ROCPRIM_400000_NS6detail17trampoline_kernelINS0_14default_configENS1_20scan_config_selectorIiEEZZNS1_9scan_implILNS1_25lookback_scan_determinismE0ELb0ELb0ES3_N6thrust23THRUST_200600_302600_NS6detail15normal_iteratorINS9_10device_ptrIiEEEESE_i19const_ref_plus_mod3IiEiEEDaPvRmT3_T4_T5_mT6_P12ihipStream_tbENKUlT_T0_E_clISt17integral_constantIbLb1EESU_EEDaSP_SQ_EUlSP_E_NS1_11comp_targetILNS1_3genE4ELNS1_11target_archE910ELNS1_3gpuE8ELNS1_3repE0EEENS1_30default_config_static_selectorELNS0_4arch9wavefront6targetE1EEEvT1_: ; @_ZN7rocprim17ROCPRIM_400000_NS6detail17trampoline_kernelINS0_14default_configENS1_20scan_config_selectorIiEEZZNS1_9scan_implILNS1_25lookback_scan_determinismE0ELb0ELb0ES3_N6thrust23THRUST_200600_302600_NS6detail15normal_iteratorINS9_10device_ptrIiEEEESE_i19const_ref_plus_mod3IiEiEEDaPvRmT3_T4_T5_mT6_P12ihipStream_tbENKUlT_T0_E_clISt17integral_constantIbLb1EESU_EEDaSP_SQ_EUlSP_E_NS1_11comp_targetILNS1_3genE4ELNS1_11target_archE910ELNS1_3gpuE8ELNS1_3repE0EEENS1_30default_config_static_selectorELNS0_4arch9wavefront6targetE1EEEvT1_
; %bb.0:
	v_cmp_ne_u32_e64 s[0:1], 0, v0
	v_cmp_eq_u32_e64 s[2:3], 0, v0
	s_and_saveexec_b64 s[6:7], s[2:3]
	s_cbranch_execz .LBB7000_4
; %bb.1:
	s_mov_b64 s[10:11], exec
	v_mbcnt_lo_u32_b32 v1, s10, 0
	v_mbcnt_hi_u32_b32 v1, s11, v1
	v_cmp_eq_u32_e32 vcc, 0, v1
                                        ; implicit-def: $vgpr2
	s_and_saveexec_b64 s[8:9], vcc
	s_cbranch_execz .LBB7000_3
; %bb.2:
	s_load_dwordx2 s[12:13], s[4:5], 0x60
	s_bcnt1_i32_b64 s10, s[10:11]
	v_mov_b32_e32 v2, 0
	v_mov_b32_e32 v3, s10
	s_waitcnt lgkmcnt(0)
	global_atomic_add v2, v2, v3, s[12:13] glc
.LBB7000_3:
	s_or_b64 exec, exec, s[8:9]
	s_waitcnt vmcnt(0)
	v_readfirstlane_b32 s8, v2
	v_add_u32_e32 v1, s8, v1
	v_mov_b32_e32 v2, 0
	ds_write_b32 v2, v1
.LBB7000_4:
	s_or_b64 exec, exec, s[6:7]
	s_load_dwordx8 s[16:23], s[4:5], 0x0
	s_load_dwordx4 s[24:27], s[4:5], 0x28
	s_load_dword s28, s[4:5], 0x38
	s_load_dwordx8 s[8:15], s[4:5], 0x40
	v_mov_b32_e32 v1, 0
	s_waitcnt lgkmcnt(0)
	s_barrier
	ds_read_b32 v1, v1
	s_lshl_b64 s[6:7], s[18:19], 2
	s_add_u32 s29, s16, s6
	s_addc_u32 s30, s17, s7
	s_add_i32 s16, s28, -1
	s_mul_i32 s17, s16, 0x500
	s_sub_u32 s33, s22, s17
	s_waitcnt lgkmcnt(0)
	v_readfirstlane_b32 s41, v1
	s_subb_u32 s40, s23, 0
	s_mul_i32 s4, s41, 0x500
	s_mov_b32 s5, 0
	s_cmp_lg_u32 s41, s16
	s_cselect_b64 s[16:17], -1, 0
	s_lshl_b64 s[18:19], s[4:5], 2
	s_add_u32 s22, s29, s18
	s_addc_u32 s23, s30, s19
	s_mov_b64 s[4:5], -1
	s_and_b64 vcc, exec, s[16:17]
	v_lshlrev_b32_e32 v22, 2, v0
	s_barrier
	s_cbranch_vccz .LBB7000_6
; %bb.5:
	v_mov_b32_e32 v1, s23
	v_add_co_u32_e32 v2, vcc, s22, v22
	v_addc_co_u32_e32 v3, vcc, 0, v1, vcc
	flat_load_dword v1, v[2:3]
	flat_load_dword v4, v[2:3] offset:512
	flat_load_dword v5, v[2:3] offset:1024
	;; [unrolled: 1-line block ×7, first 2 shown]
	v_add_co_u32_e32 v2, vcc, 0x1000, v2
	v_addc_co_u32_e32 v3, vcc, 0, v3, vcc
	flat_load_dword v11, v[2:3]
	flat_load_dword v12, v[2:3] offset:512
	s_mov_b64 s[4:5], 0
	s_waitcnt vmcnt(0) lgkmcnt(0)
	ds_write2st64_b32 v22, v1, v4 offset1:2
	ds_write2st64_b32 v22, v5, v6 offset0:4 offset1:6
	ds_write2st64_b32 v22, v7, v8 offset0:8 offset1:10
	;; [unrolled: 1-line block ×4, first 2 shown]
	s_waitcnt lgkmcnt(0)
	s_barrier
.LBB7000_6:
	s_andn2_b64 vcc, exec, s[4:5]
	v_cmp_gt_u32_e64 s[4:5], s33, v0
	s_cbranch_vccnz .LBB7000_28
; %bb.7:
	v_pk_mov_b32 v[2:3], s[22:23], s[22:23] op_sel:[0,1]
	flat_load_dword v1, v[2:3]
	s_waitcnt vmcnt(0) lgkmcnt(0)
	v_mov_b32_e32 v2, v1
	v_mov_b32_e32 v3, v1
	v_mov_b32_e32 v4, v1
	v_mov_b32_e32 v5, v1
	v_mov_b32_e32 v6, v1
	v_mov_b32_e32 v7, v1
	v_mov_b32_e32 v8, v1
	v_mov_b32_e32 v9, v1
	v_mov_b32_e32 v10, v1
	s_and_saveexec_b64 s[28:29], s[4:5]
	s_cbranch_execz .LBB7000_9
; %bb.8:
	v_mov_b32_e32 v11, s23
	v_add_co_u32_e32 v10, vcc, s22, v22
	v_addc_co_u32_e32 v11, vcc, 0, v11, vcc
	flat_load_dword v10, v[10:11]
.LBB7000_9:
	s_or_b64 exec, exec, s[28:29]
	v_or_b32_e32 v11, 0x80, v0
	v_cmp_gt_u32_e32 vcc, s33, v11
	s_and_saveexec_b64 s[4:5], vcc
	s_cbranch_execz .LBB7000_11
; %bb.10:
	v_mov_b32_e32 v1, s23
	v_add_co_u32_e32 v12, vcc, s22, v22
	v_addc_co_u32_e32 v13, vcc, 0, v1, vcc
	flat_load_dword v1, v[12:13] offset:512
.LBB7000_11:
	s_or_b64 exec, exec, s[4:5]
	v_or_b32_e32 v11, 0x100, v0
	v_cmp_gt_u32_e32 vcc, s33, v11
	s_and_saveexec_b64 s[4:5], vcc
	s_cbranch_execz .LBB7000_13
; %bb.12:
	v_mov_b32_e32 v2, s23
	v_add_co_u32_e32 v12, vcc, s22, v22
	v_addc_co_u32_e32 v13, vcc, 0, v2, vcc
	flat_load_dword v2, v[12:13] offset:1024
.LBB7000_13:
	;; [unrolled: 11-line block ×7, first 2 shown]
	s_or_b64 exec, exec, s[4:5]
	v_or_b32_e32 v11, 0x400, v0
	v_cmp_gt_u32_e32 vcc, s33, v11
	s_and_saveexec_b64 s[4:5], vcc
	s_cbranch_execz .LBB7000_25
; %bb.24:
	v_lshlrev_b32_e32 v8, 2, v11
	v_mov_b32_e32 v11, s23
	v_add_co_u32_e32 v12, vcc, s22, v8
	v_addc_co_u32_e32 v13, vcc, 0, v11, vcc
	flat_load_dword v8, v[12:13]
.LBB7000_25:
	s_or_b64 exec, exec, s[4:5]
	v_or_b32_e32 v11, 0x480, v0
	v_cmp_gt_u32_e32 vcc, s33, v11
	s_and_saveexec_b64 s[4:5], vcc
	s_cbranch_execz .LBB7000_27
; %bb.26:
	v_lshlrev_b32_e32 v9, 2, v11
	v_mov_b32_e32 v11, s23
	v_add_co_u32_e32 v12, vcc, s22, v9
	v_addc_co_u32_e32 v13, vcc, 0, v11, vcc
	flat_load_dword v9, v[12:13]
.LBB7000_27:
	s_or_b64 exec, exec, s[4:5]
	s_waitcnt vmcnt(0) lgkmcnt(0)
	ds_write2st64_b32 v22, v10, v1 offset1:2
	ds_write2st64_b32 v22, v2, v3 offset0:4 offset1:6
	ds_write2st64_b32 v22, v4, v5 offset0:8 offset1:10
	;; [unrolled: 1-line block ×4, first 2 shown]
	s_waitcnt lgkmcnt(0)
	s_barrier
.LBB7000_28:
	v_mul_u32_u24_e32 v23, 10, v0
	v_lshlrev_b32_e32 v1, 2, v23
	ds_read2_b64 v[2:5], v1 offset1:1
	ds_read2_b64 v[16:19], v1 offset0:2 offset1:3
	ds_read_b64 v[20:21], v1 offset:32
	s_cmp_lg_u32 s41, 0
	v_lshrrev_b32_e32 v24, 5, v0
	v_cmp_gt_u32_e32 vcc, 64, v0
	s_waitcnt lgkmcnt(0)
	s_barrier
	s_cbranch_scc0 .LBB7000_98
; %bb.29:
	v_add_u32_e32 v6, v3, v2
	v_ashrrev_i32_e32 v7, 31, v6
	v_lshlrev_b64 v[6:7], 2, v[6:7]
	v_mov_b32_e32 v8, s25
	v_add_co_u32_e64 v6, s[4:5], s24, v6
	v_addc_co_u32_e64 v7, s[4:5], v8, v7, s[4:5]
	global_load_dword v6, v[6:7], off
	s_waitcnt vmcnt(0)
	v_add_u32_e32 v6, v6, v4
	v_ashrrev_i32_e32 v7, 31, v6
	v_lshlrev_b64 v[6:7], 2, v[6:7]
	v_add_co_u32_e64 v6, s[4:5], s24, v6
	v_addc_co_u32_e64 v7, s[4:5], v8, v7, s[4:5]
	global_load_dword v6, v[6:7], off
	s_waitcnt vmcnt(0)
	v_add_u32_e32 v6, v6, v5
	v_ashrrev_i32_e32 v7, 31, v6
	v_lshlrev_b64 v[6:7], 2, v[6:7]
	;; [unrolled: 7-line block ×8, first 2 shown]
	v_add_co_u32_e64 v6, s[4:5], s24, v6
	v_addc_co_u32_e64 v7, s[4:5], v8, v7, s[4:5]
	global_load_dword v25, v[6:7], off
	v_add_lshl_u32 v6, v24, v0, 2
	s_waitcnt vmcnt(0)
	ds_write_b32 v6, v25
	s_waitcnt lgkmcnt(0)
	s_barrier
	s_and_saveexec_b64 s[22:23], vcc
	s_cbranch_execz .LBB7000_43
; %bb.30:
	v_lshlrev_b32_e32 v6, 1, v0
	v_lshrrev_b32_e32 v7, 4, v0
	v_add_lshl_u32 v8, v7, v6, 2
	ds_read2_b32 v[6:7], v8 offset1:1
	v_mov_b32_e32 v9, s25
	s_waitcnt lgkmcnt(0)
	v_add_u32_e32 v10, v7, v6
	v_ashrrev_i32_e32 v11, 31, v10
	v_lshlrev_b64 v[10:11], 2, v[10:11]
	v_add_co_u32_e64 v10, s[4:5], s24, v10
	v_addc_co_u32_e64 v11, s[4:5], v9, v11, s[4:5]
	global_load_dword v9, v[10:11], off
	v_mbcnt_lo_u32_b32 v7, -1, 0
	v_mbcnt_hi_u32_b32 v7, -1, v7
	v_and_b32_e32 v10, 15, v7
	v_cmp_ne_u32_e64 s[4:5], 0, v10
	s_waitcnt vmcnt(0)
	v_mov_b32_dpp v11, v9 row_shr:1 row_mask:0xf bank_mask:0xf
	s_and_saveexec_b64 s[28:29], s[4:5]
	s_cbranch_execz .LBB7000_32
; %bb.31:
	v_add_u32_e32 v12, v11, v9
	v_ashrrev_i32_e32 v13, 31, v12
	v_lshlrev_b64 v[12:13], 2, v[12:13]
	v_mov_b32_e32 v9, s25
	v_add_co_u32_e64 v12, s[4:5], s24, v12
	v_addc_co_u32_e64 v13, s[4:5], v9, v13, s[4:5]
	global_load_dword v9, v[12:13], off
.LBB7000_32:
	s_or_b64 exec, exec, s[28:29]
	s_waitcnt vmcnt(0)
	v_mov_b32_dpp v11, v9 row_shr:2 row_mask:0xf bank_mask:0xf
	v_cmp_lt_u32_e64 s[4:5], 1, v10
	s_and_saveexec_b64 s[28:29], s[4:5]
	s_cbranch_execz .LBB7000_34
; %bb.33:
	v_add_u32_e32 v12, v11, v9
	v_ashrrev_i32_e32 v13, 31, v12
	v_lshlrev_b64 v[12:13], 2, v[12:13]
	v_mov_b32_e32 v9, s25
	v_add_co_u32_e64 v12, s[4:5], s24, v12
	v_addc_co_u32_e64 v13, s[4:5], v9, v13, s[4:5]
	global_load_dword v9, v[12:13], off
.LBB7000_34:
	s_or_b64 exec, exec, s[28:29]
	s_waitcnt vmcnt(0)
	v_mov_b32_dpp v11, v9 row_shr:4 row_mask:0xf bank_mask:0xf
	v_cmp_lt_u32_e64 s[4:5], 3, v10
	;; [unrolled: 15-line block ×3, first 2 shown]
	s_and_saveexec_b64 s[28:29], s[4:5]
	s_cbranch_execz .LBB7000_38
; %bb.37:
	v_add_u32_e32 v10, v11, v9
	v_ashrrev_i32_e32 v11, 31, v10
	v_lshlrev_b64 v[10:11], 2, v[10:11]
	v_mov_b32_e32 v9, s25
	v_add_co_u32_e64 v10, s[4:5], s24, v10
	v_addc_co_u32_e64 v11, s[4:5], v9, v11, s[4:5]
	global_load_dword v9, v[10:11], off
.LBB7000_38:
	s_or_b64 exec, exec, s[28:29]
	v_and_b32_e32 v11, 16, v7
	s_waitcnt vmcnt(0)
	v_mov_b32_dpp v10, v9 row_bcast:15 row_mask:0xf bank_mask:0xf
	v_cmp_ne_u32_e64 s[4:5], 0, v11
	s_and_saveexec_b64 s[28:29], s[4:5]
	s_cbranch_execz .LBB7000_40
; %bb.39:
	v_add_u32_e32 v10, v10, v9
	v_ashrrev_i32_e32 v11, 31, v10
	v_lshlrev_b64 v[10:11], 2, v[10:11]
	v_mov_b32_e32 v9, s25
	v_add_co_u32_e64 v10, s[4:5], s24, v10
	v_addc_co_u32_e64 v11, s[4:5], v9, v11, s[4:5]
	global_load_dword v9, v[10:11], off
.LBB7000_40:
	s_or_b64 exec, exec, s[28:29]
	s_waitcnt vmcnt(0)
	v_mov_b32_dpp v10, v9 row_bcast:31 row_mask:0xf bank_mask:0xf
	v_cmp_lt_u32_e64 s[4:5], 31, v7
	s_and_saveexec_b64 s[28:29], s[4:5]
	s_cbranch_execz .LBB7000_42
; %bb.41:
	v_add_u32_e32 v10, v10, v9
	v_ashrrev_i32_e32 v11, 31, v10
	v_lshlrev_b64 v[10:11], 2, v[10:11]
	v_mov_b32_e32 v9, s25
	v_add_co_u32_e64 v10, s[4:5], s24, v10
	v_addc_co_u32_e64 v11, s[4:5], v9, v11, s[4:5]
	global_load_dword v9, v[10:11], off
.LBB7000_42:
	s_or_b64 exec, exec, s[28:29]
	v_add_u32_e32 v10, -1, v7
	v_and_b32_e32 v11, 64, v7
	v_cmp_lt_i32_e64 s[4:5], v10, v11
	v_cndmask_b32_e64 v7, v10, v7, s[4:5]
	v_lshlrev_b32_e32 v7, 2, v7
	s_waitcnt vmcnt(0)
	ds_bpermute_b32 v7, v7, v9
	v_mov_b32_e32 v9, s25
	s_waitcnt lgkmcnt(0)
	v_add_u32_e32 v6, v7, v6
	v_ashrrev_i32_e32 v7, 31, v6
	v_lshlrev_b64 v[6:7], 2, v[6:7]
	v_add_co_u32_e64 v6, s[4:5], s24, v6
	v_addc_co_u32_e64 v7, s[4:5], v9, v7, s[4:5]
	global_load_dword v6, v[6:7], off
	; wave barrier
	s_waitcnt vmcnt(0)
	v_cndmask_b32_e64 v6, v6, v25, s[2:3]
	ds_write_b32 v8, v6
	; wave barrier
	ds_read_b32 v7, v8 offset:4
	s_waitcnt lgkmcnt(0)
	v_add_u32_e32 v6, v7, v6
	v_ashrrev_i32_e32 v7, 31, v6
	v_lshlrev_b64 v[6:7], 2, v[6:7]
	v_add_co_u32_e64 v6, s[4:5], s24, v6
	v_addc_co_u32_e64 v7, s[4:5], v9, v7, s[4:5]
	global_load_dword v6, v[6:7], off
	s_waitcnt vmcnt(0)
	ds_write_b32 v8, v6 offset:4
.LBB7000_43:
	s_or_b64 exec, exec, s[22:23]
	s_waitcnt lgkmcnt(0)
	s_barrier
	s_and_saveexec_b64 s[4:5], s[0:1]
	s_cbranch_execz .LBB7000_45
; %bb.44:
	v_add_u32_e32 v6, -1, v0
	v_lshrrev_b32_e32 v7, 5, v6
	v_add_lshl_u32 v6, v7, v6, 2
	ds_read_b32 v25, v6
.LBB7000_45:
	s_or_b64 exec, exec, s[4:5]
	s_and_saveexec_b64 s[22:23], vcc
	s_cbranch_execz .LBB7000_95
; %bb.46:
	v_mov_b32_e32 v15, 0
	ds_read_b32 v6, v15 offset:520
	v_mbcnt_lo_u32_b32 v7, -1, 0
	v_mbcnt_hi_u32_b32 v9, -1, v7
	s_mov_b32 s31, 0
	v_cmp_eq_u32_e64 s[4:5], 0, v9
	s_and_saveexec_b64 s[28:29], s[4:5]
	s_cbranch_execz .LBB7000_48
; %bb.47:
	s_add_i32 s30, s41, 64
	s_lshl_b64 s[30:31], s[30:31], 3
	s_add_u32 s30, s26, s30
	v_mov_b32_e32 v7, 1
	s_addc_u32 s31, s27, s31
	s_waitcnt lgkmcnt(0)
	global_store_dwordx2 v15, v[6:7], s[30:31]
.LBB7000_48:
	s_or_b64 exec, exec, s[28:29]
	v_xad_u32 v8, v9, -1, s41
	v_add_u32_e32 v14, 64, v8
	v_lshlrev_b64 v[10:11], 3, v[14:15]
	v_mov_b32_e32 v7, s27
	v_add_co_u32_e32 v10, vcc, s26, v10
	v_addc_co_u32_e32 v11, vcc, v7, v11, vcc
	global_load_dwordx2 v[12:13], v[10:11], off glc
	s_waitcnt vmcnt(0)
	v_cmp_eq_u16_sdwa s[30:31], v13, v15 src0_sel:BYTE_0 src1_sel:DWORD
	s_and_saveexec_b64 s[28:29], s[30:31]
	s_cbranch_execz .LBB7000_54
; %bb.49:
	s_mov_b32 s34, 1
	s_mov_b64 s[30:31], 0
	v_mov_b32_e32 v7, 0
.LBB7000_50:                            ; =>This Loop Header: Depth=1
                                        ;     Child Loop BB7000_51 Depth 2
	s_max_u32 s35, s34, 1
.LBB7000_51:                            ;   Parent Loop BB7000_50 Depth=1
                                        ; =>  This Inner Loop Header: Depth=2
	s_add_i32 s35, s35, -1
	s_cmp_eq_u32 s35, 0
	s_sleep 1
	s_cbranch_scc0 .LBB7000_51
; %bb.52:                               ;   in Loop: Header=BB7000_50 Depth=1
	global_load_dwordx2 v[12:13], v[10:11], off glc
	s_cmp_lt_u32 s34, 32
	s_cselect_b64 s[36:37], -1, 0
	s_cmp_lg_u64 s[36:37], 0
	s_addc_u32 s34, s34, 0
	s_waitcnt vmcnt(0)
	v_cmp_ne_u16_sdwa s[36:37], v13, v7 src0_sel:BYTE_0 src1_sel:DWORD
	s_or_b64 s[30:31], s[36:37], s[30:31]
	s_andn2_b64 exec, exec, s[30:31]
	s_cbranch_execnz .LBB7000_50
; %bb.53:
	s_or_b64 exec, exec, s[30:31]
.LBB7000_54:
	s_or_b64 exec, exec, s[28:29]
	v_mov_b32_e32 v7, 2
	v_cmp_eq_u16_sdwa s[28:29], v13, v7 src0_sel:BYTE_0 src1_sel:DWORD
	v_lshlrev_b64 v[10:11], v9, -1
	v_and_b32_e32 v7, s29, v11
	v_or_b32_e32 v7, 0x80000000, v7
	v_ffbl_b32_e32 v27, v7
	v_and_b32_e32 v7, 63, v9
	v_cmp_ne_u32_e32 vcc, 63, v7
	v_addc_co_u32_e32 v15, vcc, 0, v9, vcc
	v_lshlrev_b32_e32 v26, 2, v15
	ds_bpermute_b32 v15, v26, v12
	v_and_b32_e32 v14, s28, v10
	v_add_u32_e32 v27, 32, v27
	v_ffbl_b32_e32 v14, v14
	v_min_u32_e32 v14, v14, v27
	v_cmp_lt_u32_e32 vcc, v7, v14
	s_and_saveexec_b64 s[28:29], vcc
	s_cbranch_execz .LBB7000_56
; %bb.55:
	s_waitcnt lgkmcnt(0)
	v_add_u32_e32 v28, v15, v12
	v_ashrrev_i32_e32 v29, 31, v28
	v_lshlrev_b64 v[28:29], 2, v[28:29]
	v_mov_b32_e32 v12, s25
	v_add_co_u32_e32 v28, vcc, s24, v28
	v_addc_co_u32_e32 v29, vcc, v12, v29, vcc
	global_load_dword v12, v[28:29], off
.LBB7000_56:
	s_or_b64 exec, exec, s[28:29]
	v_cmp_gt_u32_e32 vcc, 62, v7
	s_waitcnt lgkmcnt(0)
	v_cndmask_b32_e64 v15, 0, 1, vcc
	v_lshlrev_b32_e32 v15, 1, v15
	v_add_lshl_u32 v27, v15, v9, 2
	s_waitcnt vmcnt(0)
	ds_bpermute_b32 v15, v27, v12
	v_add_u32_e32 v28, 2, v7
	v_cmp_le_u32_e32 vcc, v28, v14
	s_and_saveexec_b64 s[28:29], vcc
	s_cbranch_execz .LBB7000_58
; %bb.57:
	s_waitcnt lgkmcnt(0)
	v_add_u32_e32 v30, v15, v12
	v_ashrrev_i32_e32 v31, 31, v30
	v_lshlrev_b64 v[30:31], 2, v[30:31]
	v_mov_b32_e32 v12, s25
	v_add_co_u32_e32 v30, vcc, s24, v30
	v_addc_co_u32_e32 v31, vcc, v12, v31, vcc
	global_load_dword v12, v[30:31], off
.LBB7000_58:
	s_or_b64 exec, exec, s[28:29]
	v_cmp_gt_u32_e32 vcc, 60, v7
	s_waitcnt lgkmcnt(0)
	v_cndmask_b32_e64 v15, 0, 1, vcc
	v_lshlrev_b32_e32 v15, 2, v15
	v_add_lshl_u32 v29, v15, v9, 2
	s_waitcnt vmcnt(0)
	ds_bpermute_b32 v15, v29, v12
	v_add_u32_e32 v30, 4, v7
	v_cmp_le_u32_e32 vcc, v30, v14
	;; [unrolled: 22-line block ×5, first 2 shown]
	s_mov_b64 s[28:29], -1
                                        ; implicit-def: $vgpr14
	s_and_saveexec_b64 s[30:31], vcc
	s_cbranch_execz .LBB7000_66
; %bb.65:
	s_waitcnt lgkmcnt(0)
	v_add_u32_e32 v14, v9, v12
	s_xor_b64 s[28:29], exec, -1
.LBB7000_66:
	s_or_b64 exec, exec, s[30:31]
	s_mov_b64 s[30:31], 0
	s_waitcnt lgkmcnt(0)
	v_mov_b32_e32 v9, 0
	v_mov_b32_e32 v38, 2
                                        ; implicit-def: $sgpr34_sgpr35
	s_branch .LBB7000_68
.LBB7000_67:                            ;   in Loop: Header=BB7000_68 Depth=1
	s_or_b64 exec, exec, s[28:29]
	v_subrev_u32_e32 v8, 64, v8
	s_waitcnt vmcnt(0)
	v_add_u32_e32 v14, v12, v37
	s_mov_b64 s[28:29], 0
	s_mov_b64 s[30:31], 0
                                        ; implicit-def: $sgpr34_sgpr35
.LBB7000_68:                            ; =>This Loop Header: Depth=1
                                        ;     Child Loop BB7000_74 Depth 2
                                        ;       Child Loop BB7000_75 Depth 3
	s_waitcnt vmcnt(0)
	v_mov_b32_e32 v37, v12
	s_xor_b64 s[38:39], s[28:29], -1
	s_or_b64 s[34:35], s[34:35], exec
                                        ; implicit-def: $sgpr36_sgpr37
	s_and_saveexec_b64 s[42:43], s[38:39]
	s_xor_b64 s[38:39], exec, s[42:43]
	s_cbranch_execz .LBB7000_70
; %bb.69:                               ;   in Loop: Header=BB7000_68 Depth=1
	s_waitcnt lgkmcnt(0)
	v_ashrrev_i32_e32 v15, 31, v14
	v_lshlrev_b64 v[40:41], 2, v[14:15]
	v_mov_b32_e32 v12, s25
	v_add_co_u32_e32 v40, vcc, s24, v40
	v_addc_co_u32_e32 v41, vcc, v12, v41, vcc
	global_load_dword v12, v[40:41], off
	s_mov_b64 s[36:37], -1
	s_andn2_b64 s[34:35], s[34:35], exec
                                        ; implicit-def: $sgpr28_sgpr29
.LBB7000_70:                            ;   in Loop: Header=BB7000_68 Depth=1
	s_or_b64 exec, exec, s[38:39]
	s_and_b64 s[38:39], exec, s[34:35]
	s_or_b64 s[30:31], s[38:39], s[30:31]
	s_andn2_b64 s[28:29], s[28:29], exec
	s_and_b64 s[36:37], s[36:37], exec
	s_or_b64 s[28:29], s[28:29], s[36:37]
	s_andn2_b64 exec, exec, s[30:31]
	s_cbranch_execnz .LBB7000_68
; %bb.71:                               ;   in Loop: Header=BB7000_68 Depth=1
	s_or_b64 exec, exec, s[30:31]
	v_cmp_ne_u16_sdwa s[28:29], v13, v38 src0_sel:BYTE_0 src1_sel:DWORD
	s_waitcnt vmcnt(0)
	v_cndmask_b32_e64 v12, 0, 1, s[28:29]
	;;#ASMSTART
	;;#ASMEND
	v_cmp_ne_u32_e32 vcc, 0, v12
	s_cmp_lg_u64 vcc, exec
	s_cbranch_scc1 .LBB7000_90
; %bb.72:                               ;   in Loop: Header=BB7000_68 Depth=1
	v_lshlrev_b64 v[12:13], 3, v[8:9]
	s_waitcnt lgkmcnt(0)
	v_mov_b32_e32 v15, s27
	v_add_co_u32_e32 v14, vcc, s26, v12
	v_addc_co_u32_e32 v15, vcc, v15, v13, vcc
	global_load_dwordx2 v[12:13], v[14:15], off glc
	s_waitcnt vmcnt(0)
	v_cmp_eq_u16_sdwa s[30:31], v13, v9 src0_sel:BYTE_0 src1_sel:DWORD
	s_and_saveexec_b64 s[28:29], s[30:31]
	s_cbranch_execz .LBB7000_78
; %bb.73:                               ;   in Loop: Header=BB7000_68 Depth=1
	s_mov_b32 s34, 1
	s_mov_b64 s[30:31], 0
.LBB7000_74:                            ;   Parent Loop BB7000_68 Depth=1
                                        ; =>  This Loop Header: Depth=2
                                        ;       Child Loop BB7000_75 Depth 3
	s_max_u32 s35, s34, 1
.LBB7000_75:                            ;   Parent Loop BB7000_68 Depth=1
                                        ;     Parent Loop BB7000_74 Depth=2
                                        ; =>    This Inner Loop Header: Depth=3
	s_add_i32 s35, s35, -1
	s_cmp_eq_u32 s35, 0
	s_sleep 1
	s_cbranch_scc0 .LBB7000_75
; %bb.76:                               ;   in Loop: Header=BB7000_74 Depth=2
	global_load_dwordx2 v[12:13], v[14:15], off glc
	s_cmp_lt_u32 s34, 32
	s_cselect_b64 s[36:37], -1, 0
	s_cmp_lg_u64 s[36:37], 0
	s_addc_u32 s34, s34, 0
	s_waitcnt vmcnt(0)
	v_cmp_ne_u16_sdwa s[36:37], v13, v9 src0_sel:BYTE_0 src1_sel:DWORD
	s_or_b64 s[30:31], s[36:37], s[30:31]
	s_andn2_b64 exec, exec, s[30:31]
	s_cbranch_execnz .LBB7000_74
; %bb.77:                               ;   in Loop: Header=BB7000_68 Depth=1
	s_or_b64 exec, exec, s[30:31]
.LBB7000_78:                            ;   in Loop: Header=BB7000_68 Depth=1
	s_or_b64 exec, exec, s[28:29]
	v_cmp_eq_u16_sdwa s[28:29], v13, v38 src0_sel:BYTE_0 src1_sel:DWORD
	v_and_b32_e32 v14, s29, v11
	v_or_b32_e32 v14, 0x80000000, v14
	ds_bpermute_b32 v15, v26, v12
	v_and_b32_e32 v39, s28, v10
	v_ffbl_b32_e32 v14, v14
	v_add_u32_e32 v14, 32, v14
	v_ffbl_b32_e32 v39, v39
	v_min_u32_e32 v14, v39, v14
	v_cmp_lt_u32_e32 vcc, v7, v14
	s_and_saveexec_b64 s[28:29], vcc
	s_cbranch_execz .LBB7000_80
; %bb.79:                               ;   in Loop: Header=BB7000_68 Depth=1
	s_waitcnt lgkmcnt(0)
	v_add_u32_e32 v40, v15, v12
	v_ashrrev_i32_e32 v41, 31, v40
	v_lshlrev_b64 v[40:41], 2, v[40:41]
	v_mov_b32_e32 v12, s25
	v_add_co_u32_e32 v40, vcc, s24, v40
	v_addc_co_u32_e32 v41, vcc, v12, v41, vcc
	global_load_dword v12, v[40:41], off
.LBB7000_80:                            ;   in Loop: Header=BB7000_68 Depth=1
	s_or_b64 exec, exec, s[28:29]
	s_waitcnt vmcnt(0) lgkmcnt(0)
	ds_bpermute_b32 v15, v27, v12
	v_cmp_le_u32_e32 vcc, v28, v14
	s_and_saveexec_b64 s[28:29], vcc
	s_cbranch_execz .LBB7000_82
; %bb.81:                               ;   in Loop: Header=BB7000_68 Depth=1
	s_waitcnt lgkmcnt(0)
	v_add_u32_e32 v40, v15, v12
	v_ashrrev_i32_e32 v41, 31, v40
	v_lshlrev_b64 v[40:41], 2, v[40:41]
	v_mov_b32_e32 v12, s25
	v_add_co_u32_e32 v40, vcc, s24, v40
	v_addc_co_u32_e32 v41, vcc, v12, v41, vcc
	global_load_dword v12, v[40:41], off
.LBB7000_82:                            ;   in Loop: Header=BB7000_68 Depth=1
	s_or_b64 exec, exec, s[28:29]
	s_waitcnt vmcnt(0) lgkmcnt(0)
	ds_bpermute_b32 v15, v29, v12
	v_cmp_le_u32_e32 vcc, v30, v14
	;; [unrolled: 16-line block ×5, first 2 shown]
	s_and_saveexec_b64 s[28:29], vcc
	s_cbranch_execz .LBB7000_67
; %bb.89:                               ;   in Loop: Header=BB7000_68 Depth=1
	s_waitcnt lgkmcnt(0)
	v_add_u32_e32 v14, v15, v12
	v_ashrrev_i32_e32 v15, 31, v14
	v_lshlrev_b64 v[14:15], 2, v[14:15]
	v_mov_b32_e32 v12, s25
	v_add_co_u32_e32 v14, vcc, s24, v14
	v_addc_co_u32_e32 v15, vcc, v12, v15, vcc
	global_load_dword v12, v[14:15], off
	s_branch .LBB7000_67
.LBB7000_90:                            ;   in Loop: Header=BB7000_68 Depth=1
	s_mov_b64 s[28:29], -1
                                        ; implicit-def: $vgpr14
                                        ; implicit-def: $vgpr13
	s_mov_b64 s[30:31], 0
                                        ; implicit-def: $sgpr34_sgpr35
	s_cbranch_execz .LBB7000_68
; %bb.91:
	s_and_saveexec_b64 s[28:29], s[4:5]
	s_cbranch_execz .LBB7000_93
; %bb.92:
	v_add_u32_e32 v6, v37, v6
	v_ashrrev_i32_e32 v7, 31, v6
	v_lshlrev_b64 v[6:7], 2, v[6:7]
	v_mov_b32_e32 v8, s25
	v_add_co_u32_e32 v6, vcc, s24, v6
	v_addc_co_u32_e32 v7, vcc, v8, v7, vcc
	global_load_dword v6, v[6:7], off
	s_add_i32 s4, s41, 64
	s_mov_b32 s5, 0
	s_lshl_b64 s[4:5], s[4:5], 3
	s_add_u32 s4, s26, s4
	s_addc_u32 s5, s27, s5
	v_mov_b32_e32 v8, 0
	v_mov_b32_e32 v7, 2
	s_waitcnt vmcnt(0)
	global_store_dwordx2 v8, v[6:7], s[4:5]
.LBB7000_93:
	s_or_b64 exec, exec, s[28:29]
	s_and_b64 exec, exec, s[2:3]
	s_cbranch_execz .LBB7000_95
; %bb.94:
	v_mov_b32_e32 v6, 0
	ds_write_b32 v6, v37
.LBB7000_95:
	s_or_b64 exec, exec, s[22:23]
	v_mov_b32_e32 v6, 0
	s_waitcnt lgkmcnt(0)
	s_barrier
	ds_read_b32 v6, v6
	v_mov_b32_e32 v7, v2
	s_and_saveexec_b64 s[4:5], s[0:1]
	s_cbranch_execz .LBB7000_97
; %bb.96:
	v_add_u32_e32 v8, v25, v2
	v_ashrrev_i32_e32 v9, 31, v8
	v_lshlrev_b64 v[8:9], 2, v[8:9]
	v_mov_b32_e32 v7, s25
	v_add_co_u32_e32 v8, vcc, s24, v8
	v_addc_co_u32_e32 v9, vcc, v7, v9, vcc
	global_load_dword v7, v[8:9], off
.LBB7000_97:
	s_or_b64 exec, exec, s[4:5]
	s_waitcnt vmcnt(0) lgkmcnt(0)
	v_add_u32_e32 v6, v7, v6
	v_ashrrev_i32_e32 v7, 31, v6
	v_lshlrev_b64 v[6:7], 2, v[6:7]
	v_mov_b32_e32 v8, s25
	v_add_co_u32_e32 v6, vcc, s24, v6
	v_addc_co_u32_e32 v7, vcc, v8, v7, vcc
	global_load_dword v6, v[6:7], off
	v_mov_b32_e32 v7, s25
	v_mov_b32_e32 v10, s25
	;; [unrolled: 1-line block ×5, first 2 shown]
	s_waitcnt vmcnt(0)
	v_add_u32_e32 v8, v6, v3
	v_ashrrev_i32_e32 v9, 31, v8
	v_lshlrev_b64 v[8:9], 2, v[8:9]
	v_add_co_u32_e32 v8, vcc, s24, v8
	v_addc_co_u32_e32 v9, vcc, v7, v9, vcc
	global_load_dword v7, v[8:9], off
	s_waitcnt vmcnt(0)
	v_add_u32_e32 v8, v7, v4
	v_ashrrev_i32_e32 v9, 31, v8
	v_lshlrev_b64 v[8:9], 2, v[8:9]
	v_add_co_u32_e32 v8, vcc, s24, v8
	v_addc_co_u32_e32 v9, vcc, v10, v9, vcc
	global_load_dword v8, v[8:9], off
	v_mov_b32_e32 v9, s25
	s_waitcnt vmcnt(0)
	v_add_u32_e32 v10, v8, v5
	v_ashrrev_i32_e32 v11, 31, v10
	v_lshlrev_b64 v[10:11], 2, v[10:11]
	v_add_co_u32_e32 v10, vcc, s24, v10
	v_addc_co_u32_e32 v11, vcc, v9, v11, vcc
	global_load_dword v9, v[10:11], off
	s_waitcnt vmcnt(0)
	v_add_u32_e32 v10, v9, v16
	v_ashrrev_i32_e32 v11, 31, v10
	v_lshlrev_b64 v[10:11], 2, v[10:11]
	v_add_co_u32_e32 v10, vcc, s24, v10
	v_addc_co_u32_e32 v11, vcc, v12, v11, vcc
	global_load_dword v10, v[10:11], off
	v_mov_b32_e32 v11, s25
	s_waitcnt vmcnt(0)
	v_add_u32_e32 v12, v10, v17
	v_ashrrev_i32_e32 v13, 31, v12
	v_lshlrev_b64 v[12:13], 2, v[12:13]
	v_add_co_u32_e32 v12, vcc, s24, v12
	v_addc_co_u32_e32 v13, vcc, v11, v13, vcc
	global_load_dword v11, v[12:13], off
	s_waitcnt vmcnt(0)
	v_add_u32_e32 v12, v11, v18
	v_ashrrev_i32_e32 v13, 31, v12
	v_lshlrev_b64 v[12:13], 2, v[12:13]
	v_add_co_u32_e32 v12, vcc, s24, v12
	v_addc_co_u32_e32 v13, vcc, v14, v13, vcc
	global_load_dword v12, v[12:13], off
	v_mov_b32_e32 v13, s25
	s_waitcnt vmcnt(0)
	v_add_u32_e32 v14, v12, v19
	v_ashrrev_i32_e32 v15, 31, v14
	v_lshlrev_b64 v[14:15], 2, v[14:15]
	v_add_co_u32_e32 v14, vcc, s24, v14
	v_addc_co_u32_e32 v15, vcc, v13, v15, vcc
	global_load_dword v13, v[14:15], off
	s_waitcnt vmcnt(0)
	v_add_u32_e32 v14, v13, v20
	v_ashrrev_i32_e32 v15, 31, v14
	v_lshlrev_b64 v[14:15], 2, v[14:15]
	v_add_co_u32_e32 v14, vcc, s24, v14
	v_addc_co_u32_e32 v15, vcc, v25, v15, vcc
	global_load_dword v14, v[14:15], off
	v_mov_b32_e32 v15, s25
	s_waitcnt vmcnt(0)
	v_add_u32_e32 v26, v14, v21
	v_ashrrev_i32_e32 v27, 31, v26
	v_lshlrev_b64 v[26:27], 2, v[26:27]
	v_add_co_u32_e32 v26, vcc, s24, v26
	v_addc_co_u32_e32 v27, vcc, v15, v27, vcc
	global_load_dword v15, v[26:27], off
	s_branch .LBB7000_122
.LBB7000_98:
                                        ; implicit-def: $vgpr6_vgpr7_vgpr8_vgpr9_vgpr10_vgpr11_vgpr12_vgpr13_vgpr14_vgpr15
	s_cbranch_execz .LBB7000_122
; %bb.99:
	s_cmp_lg_u64 s[12:13], 0
	s_cselect_b64 s[4:5], -1, 0
	s_waitcnt vmcnt(0)
	v_pk_mov_b32 v[14:15], v[10:11], v[10:11] op_sel:[0,1]
	s_and_b64 s[12:13], s[2:3], s[4:5]
	v_pk_mov_b32 v[12:13], v[8:9], v[8:9] op_sel:[0,1]
	v_pk_mov_b32 v[10:11], v[6:7], v[6:7] op_sel:[0,1]
	;; [unrolled: 1-line block ×4, first 2 shown]
	s_and_saveexec_b64 s[4:5], s[12:13]
	s_cbranch_execz .LBB7000_101
; %bb.100:
	v_mov_b32_e32 v6, 0
	global_load_dword v6, v6, s[8:9]
	v_mov_b32_e32 v8, s25
	s_waitcnt vmcnt(0)
	v_add_u32_e32 v6, v6, v2
	v_ashrrev_i32_e32 v7, 31, v6
	v_lshlrev_b64 v[6:7], 2, v[6:7]
	v_add_co_u32_e32 v6, vcc, s24, v6
	v_addc_co_u32_e32 v7, vcc, v8, v7, vcc
	global_load_dword v6, v[6:7], off
	s_waitcnt vmcnt(0)
	v_mov_b32_e32 v2, v6
.LBB7000_101:
	s_or_b64 exec, exec, s[4:5]
	v_add_u32_e32 v8, v3, v2
	v_ashrrev_i32_e32 v9, 31, v8
	v_lshlrev_b64 v[10:11], 2, v[8:9]
	v_mov_b32_e32 v7, s25
	v_add_co_u32_e32 v10, vcc, s24, v10
	v_addc_co_u32_e32 v11, vcc, v7, v11, vcc
	global_load_dword v7, v[10:11], off
	v_mov_b32_e32 v12, s25
	s_waitcnt vmcnt(0)
	v_add_u32_e32 v10, v4, v7
	v_ashrrev_i32_e32 v11, 31, v10
	v_lshlrev_b64 v[10:11], 2, v[10:11]
	v_add_co_u32_e32 v10, vcc, s24, v10
	v_addc_co_u32_e32 v11, vcc, v12, v11, vcc
	global_load_dword v7, v[10:11], off
	s_waitcnt vmcnt(0)
	v_add_u32_e32 v10, v7, v5
	v_ashrrev_i32_e32 v11, 31, v10
	v_lshlrev_b64 v[10:11], 2, v[10:11]
	v_add_co_u32_e32 v10, vcc, s24, v10
	v_addc_co_u32_e32 v11, vcc, v12, v11, vcc
	global_load_dword v7, v[10:11], off
	;; [unrolled: 7-line block ×8, first 2 shown]
	v_add_lshl_u32 v10, v24, v0, 2
	v_cmp_gt_u32_e32 vcc, 64, v0
	s_waitcnt vmcnt(0)
	ds_write_b32 v10, v7
	s_waitcnt lgkmcnt(0)
	s_barrier
	s_and_saveexec_b64 s[4:5], vcc
	s_cbranch_execz .LBB7000_115
; %bb.102:
	v_lshlrev_b32_e32 v10, 1, v0
	v_lshrrev_b32_e32 v11, 4, v0
	v_add_lshl_u32 v12, v11, v10, 2
	ds_read2_b32 v[10:11], v12 offset1:1
	v_mov_b32_e32 v13, s25
	s_waitcnt lgkmcnt(0)
	v_add_u32_e32 v14, v11, v10
	v_ashrrev_i32_e32 v15, 31, v14
	v_lshlrev_b64 v[14:15], 2, v[14:15]
	v_add_co_u32_e32 v14, vcc, s24, v14
	v_addc_co_u32_e32 v15, vcc, v13, v15, vcc
	global_load_dword v13, v[14:15], off
	v_mbcnt_lo_u32_b32 v11, -1, 0
	v_mbcnt_hi_u32_b32 v11, -1, v11
	v_and_b32_e32 v14, 15, v11
	v_cmp_ne_u32_e32 vcc, 0, v14
	s_waitcnt vmcnt(0)
	v_mov_b32_dpp v15, v13 row_shr:1 row_mask:0xf bank_mask:0xf
	s_and_saveexec_b64 s[8:9], vcc
	s_cbranch_execz .LBB7000_104
; %bb.103:
	v_add_u32_e32 v24, v15, v13
	v_ashrrev_i32_e32 v25, 31, v24
	v_lshlrev_b64 v[24:25], 2, v[24:25]
	v_mov_b32_e32 v13, s25
	v_add_co_u32_e32 v24, vcc, s24, v24
	v_addc_co_u32_e32 v25, vcc, v13, v25, vcc
	global_load_dword v13, v[24:25], off
.LBB7000_104:
	s_or_b64 exec, exec, s[8:9]
	s_waitcnt vmcnt(0)
	v_mov_b32_dpp v15, v13 row_shr:2 row_mask:0xf bank_mask:0xf
	v_cmp_lt_u32_e32 vcc, 1, v14
	s_and_saveexec_b64 s[8:9], vcc
	s_cbranch_execz .LBB7000_106
; %bb.105:
	v_add_u32_e32 v24, v15, v13
	v_ashrrev_i32_e32 v25, 31, v24
	v_lshlrev_b64 v[24:25], 2, v[24:25]
	v_mov_b32_e32 v13, s25
	v_add_co_u32_e32 v24, vcc, s24, v24
	v_addc_co_u32_e32 v25, vcc, v13, v25, vcc
	global_load_dword v13, v[24:25], off
.LBB7000_106:
	s_or_b64 exec, exec, s[8:9]
	s_waitcnt vmcnt(0)
	v_mov_b32_dpp v15, v13 row_shr:4 row_mask:0xf bank_mask:0xf
	v_cmp_lt_u32_e32 vcc, 3, v14
	;; [unrolled: 15-line block ×3, first 2 shown]
	s_and_saveexec_b64 s[8:9], vcc
	s_cbranch_execz .LBB7000_110
; %bb.109:
	v_add_u32_e32 v14, v15, v13
	v_ashrrev_i32_e32 v15, 31, v14
	v_lshlrev_b64 v[14:15], 2, v[14:15]
	v_mov_b32_e32 v13, s25
	v_add_co_u32_e32 v14, vcc, s24, v14
	v_addc_co_u32_e32 v15, vcc, v13, v15, vcc
	global_load_dword v13, v[14:15], off
.LBB7000_110:
	s_or_b64 exec, exec, s[8:9]
	v_and_b32_e32 v15, 16, v11
	s_waitcnt vmcnt(0)
	v_mov_b32_dpp v14, v13 row_bcast:15 row_mask:0xf bank_mask:0xf
	v_cmp_ne_u32_e32 vcc, 0, v15
	s_and_saveexec_b64 s[8:9], vcc
	s_cbranch_execz .LBB7000_112
; %bb.111:
	v_add_u32_e32 v14, v14, v13
	v_ashrrev_i32_e32 v15, 31, v14
	v_lshlrev_b64 v[14:15], 2, v[14:15]
	v_mov_b32_e32 v13, s25
	v_add_co_u32_e32 v14, vcc, s24, v14
	v_addc_co_u32_e32 v15, vcc, v13, v15, vcc
	global_load_dword v13, v[14:15], off
.LBB7000_112:
	s_or_b64 exec, exec, s[8:9]
	s_waitcnt vmcnt(0)
	v_mov_b32_dpp v14, v13 row_bcast:31 row_mask:0xf bank_mask:0xf
	v_cmp_lt_u32_e32 vcc, 31, v11
	s_and_saveexec_b64 s[8:9], vcc
	s_cbranch_execz .LBB7000_114
; %bb.113:
	v_add_u32_e32 v14, v14, v13
	v_ashrrev_i32_e32 v15, 31, v14
	v_lshlrev_b64 v[14:15], 2, v[14:15]
	v_mov_b32_e32 v13, s25
	v_add_co_u32_e32 v14, vcc, s24, v14
	v_addc_co_u32_e32 v15, vcc, v13, v15, vcc
	global_load_dword v13, v[14:15], off
.LBB7000_114:
	s_or_b64 exec, exec, s[8:9]
	v_add_u32_e32 v14, -1, v11
	v_and_b32_e32 v15, 64, v11
	v_cmp_lt_i32_e32 vcc, v14, v15
	v_cndmask_b32_e32 v11, v14, v11, vcc
	v_lshlrev_b32_e32 v11, 2, v11
	s_waitcnt vmcnt(0)
	ds_bpermute_b32 v11, v11, v13
	v_mov_b32_e32 v13, s25
	s_waitcnt lgkmcnt(0)
	v_add_u32_e32 v10, v11, v10
	v_ashrrev_i32_e32 v11, 31, v10
	v_lshlrev_b64 v[10:11], 2, v[10:11]
	v_add_co_u32_e32 v10, vcc, s24, v10
	v_addc_co_u32_e32 v11, vcc, v13, v11, vcc
	global_load_dword v10, v[10:11], off
	; wave barrier
	s_waitcnt vmcnt(0)
	v_cndmask_b32_e64 v10, v10, v7, s[2:3]
	ds_write_b32 v12, v10
	; wave barrier
	ds_read_b32 v11, v12 offset:4
	s_waitcnt lgkmcnt(0)
	v_add_u32_e32 v10, v11, v10
	v_ashrrev_i32_e32 v11, 31, v10
	v_lshlrev_b64 v[10:11], 2, v[10:11]
	v_add_co_u32_e32 v10, vcc, s24, v10
	v_addc_co_u32_e32 v11, vcc, v13, v11, vcc
	global_load_dword v10, v[10:11], off
	s_waitcnt vmcnt(0)
	ds_write_b32 v12, v10 offset:4
.LBB7000_115:
	s_or_b64 exec, exec, s[4:5]
	s_waitcnt lgkmcnt(0)
	s_barrier
	s_and_saveexec_b64 s[2:3], s[0:1]
	s_cbranch_execz .LBB7000_117
; %bb.116:
	v_add_u32_e32 v7, -1, v0
	v_lshrrev_b32_e32 v10, 5, v7
	v_add_lshl_u32 v7, v10, v7, 2
	ds_read_b32 v7, v7
.LBB7000_117:
	s_or_b64 exec, exec, s[2:3]
	s_and_saveexec_b64 s[2:3], s[0:1]
	s_cbranch_execz .LBB7000_119
; %bb.118:
	s_waitcnt lgkmcnt(0)
	v_add_u32_e32 v6, v7, v2
	v_ashrrev_i32_e32 v7, 31, v6
	v_lshlrev_b64 v[6:7], 2, v[6:7]
	v_mov_b32_e32 v2, s25
	v_add_co_u32_e32 v6, vcc, s24, v6
	v_addc_co_u32_e32 v7, vcc, v2, v7, vcc
	global_load_dword v6, v[6:7], off
	;;#ASMSTART
	;;#ASMEND
	s_waitcnt vmcnt(0)
	v_add_u32_e32 v8, v6, v3
	v_ashrrev_i32_e32 v9, 31, v8
.LBB7000_119:
	s_or_b64 exec, exec, s[2:3]
	v_lshlrev_b64 v[2:3], 2, v[8:9]
	s_waitcnt lgkmcnt(0)
	v_mov_b32_e32 v7, s25
	v_add_co_u32_e32 v2, vcc, s24, v2
	v_addc_co_u32_e32 v3, vcc, v7, v3, vcc
	global_load_dword v7, v[2:3], off
	v_mov_b32_e32 v8, s25
	s_movk_i32 s0, 0x7f
	s_waitcnt vmcnt(0)
	v_add_u32_e32 v2, v7, v4
	v_ashrrev_i32_e32 v3, 31, v2
	v_lshlrev_b64 v[2:3], 2, v[2:3]
	v_add_co_u32_e32 v2, vcc, s24, v2
	v_addc_co_u32_e32 v3, vcc, v8, v3, vcc
	global_load_dword v8, v[2:3], off
	v_mov_b32_e32 v4, s25
	s_waitcnt vmcnt(0)
	v_add_u32_e32 v2, v8, v5
	v_ashrrev_i32_e32 v3, 31, v2
	v_lshlrev_b64 v[2:3], 2, v[2:3]
	v_add_co_u32_e32 v2, vcc, s24, v2
	v_addc_co_u32_e32 v3, vcc, v4, v3, vcc
	global_load_dword v9, v[2:3], off
	s_waitcnt vmcnt(0)
	v_add_u32_e32 v2, v9, v16
	v_ashrrev_i32_e32 v3, 31, v2
	v_lshlrev_b64 v[2:3], 2, v[2:3]
	v_add_co_u32_e32 v2, vcc, s24, v2
	v_addc_co_u32_e32 v3, vcc, v4, v3, vcc
	global_load_dword v10, v[2:3], off
	;; [unrolled: 7-line block ×7, first 2 shown]
	v_cmp_eq_u32_e32 vcc, s0, v0
	s_and_saveexec_b64 s[0:1], vcc
	s_cbranch_execz .LBB7000_121
; %bb.120:
	v_mov_b32_e32 v4, 0
	v_mov_b32_e32 v3, 2
	s_waitcnt vmcnt(0)
	v_mov_b32_e32 v2, v15
	global_store_dwordx2 v4, v[2:3], s[26:27] offset:512
.LBB7000_121:
	s_or_b64 exec, exec, s[0:1]
.LBB7000_122:
	s_add_u32 s0, s20, s6
	s_addc_u32 s1, s21, s7
	s_add_u32 s2, s0, s18
	s_addc_u32 s3, s1, s19
	s_mov_b64 s[0:1], -1
	s_and_b64 vcc, exec, s[16:17]
	s_barrier
	s_cbranch_vccz .LBB7000_124
; %bb.123:
	ds_write2_b64 v1, v[6:7], v[8:9] offset1:1
	ds_write2_b64 v1, v[10:11], v[12:13] offset0:2 offset1:3
	s_waitcnt vmcnt(0)
	ds_write_b64 v1, v[14:15] offset:32
	s_waitcnt lgkmcnt(0)
	s_barrier
	ds_read2st64_b32 v[2:3], v22 offset1:2
	ds_read2st64_b32 v[4:5], v22 offset0:4 offset1:6
	ds_read2st64_b32 v[16:17], v22 offset0:8 offset1:10
	ds_read2st64_b32 v[18:19], v22 offset0:12 offset1:14
	ds_read2st64_b32 v[20:21], v22 offset0:16 offset1:18
	v_mov_b32_e32 v25, s3
	v_add_co_u32_e32 v24, vcc, s2, v22
	v_addc_co_u32_e32 v25, vcc, 0, v25, vcc
	s_waitcnt lgkmcnt(4)
	flat_store_dword v[24:25], v2
	flat_store_dword v[24:25], v3 offset:512
	s_waitcnt lgkmcnt(0)
	flat_store_dword v[24:25], v4 offset:1024
	flat_store_dword v[24:25], v5 offset:1536
	;; [unrolled: 1-line block ×6, first 2 shown]
	v_add_co_u32_e32 v2, vcc, 0x1000, v24
	v_addc_co_u32_e32 v3, vcc, 0, v25, vcc
	flat_store_dword v[2:3], v20
	flat_store_dword v[2:3], v21 offset:512
	s_mov_b64 s[0:1], 0
.LBB7000_124:
	s_andn2_b64 vcc, exec, s[0:1]
	s_cbranch_vccnz .LBB7000_180
; %bb.125:
	ds_write2_b64 v1, v[6:7], v[8:9] offset1:1
	ds_write2_b64 v1, v[10:11], v[12:13] offset0:2 offset1:3
	s_waitcnt vmcnt(0)
	ds_write_b64 v1, v[14:15] offset:32
	s_waitcnt lgkmcnt(0)
	s_barrier
	ds_read2st64_b32 v[2:3], v22 offset1:2
	ds_read2st64_b32 v[6:7], v22 offset0:4 offset1:6
	ds_read2st64_b32 v[4:5], v22 offset0:8 offset1:10
	;; [unrolled: 1-line block ×4, first 2 shown]
	v_mov_b32_e32 v13, s3
	v_add_co_u32_e32 v12, vcc, s2, v22
	v_addc_co_u32_e32 v13, vcc, 0, v13, vcc
	v_mov_b32_e32 v1, 0
	v_cmp_gt_u32_e32 vcc, s33, v0
	s_and_saveexec_b64 s[0:1], vcc
	s_cbranch_execz .LBB7000_127
; %bb.126:
	s_waitcnt lgkmcnt(4)
	flat_store_dword v[12:13], v2
.LBB7000_127:
	s_or_b64 exec, exec, s[0:1]
	v_or_b32_e32 v14, 0x80, v0
	v_cmp_gt_u32_e32 vcc, s33, v14
	s_and_saveexec_b64 s[0:1], vcc
	s_cbranch_execz .LBB7000_129
; %bb.128:
	s_waitcnt lgkmcnt(0)
	flat_store_dword v[12:13], v3 offset:512
.LBB7000_129:
	s_or_b64 exec, exec, s[0:1]
	v_or_b32_e32 v14, 0x100, v0
	v_cmp_gt_u32_e32 vcc, s33, v14
	s_and_saveexec_b64 s[0:1], vcc
	s_cbranch_execz .LBB7000_131
; %bb.130:
	s_waitcnt lgkmcnt(0)
	flat_store_dword v[12:13], v6 offset:1024
.LBB7000_131:
	;; [unrolled: 9-line block ×7, first 2 shown]
	s_or_b64 exec, exec, s[0:1]
	v_or_b32_e32 v14, 0x400, v0
	v_cmp_gt_u32_e32 vcc, s33, v14
	s_and_saveexec_b64 s[0:1], vcc
	s_cbranch_execz .LBB7000_143
; %bb.142:
	v_add_co_u32_e32 v14, vcc, 0x1000, v12
	v_addc_co_u32_e32 v15, vcc, 0, v13, vcc
	s_waitcnt lgkmcnt(0)
	flat_store_dword v[14:15], v10
.LBB7000_143:
	s_or_b64 exec, exec, s[0:1]
	v_or_b32_e32 v14, 0x480, v0
	v_cmp_gt_u32_e32 vcc, s33, v14
	s_and_saveexec_b64 s[0:1], vcc
	s_cbranch_execz .LBB7000_145
; %bb.144:
	v_add_co_u32_e32 v12, vcc, 0x1000, v12
	v_addc_co_u32_e32 v13, vcc, 0, v13, vcc
	s_waitcnt lgkmcnt(0)
	flat_store_dword v[12:13], v11 offset:512
.LBB7000_145:
	s_or_b64 exec, exec, s[0:1]
	v_cmp_lt_u64_e64 s[0:1], s[14:15], 2
	s_and_b64 vcc, exec, s[0:1]
	s_cbranch_vccnz .LBB7000_180
; %bb.146:
	s_add_u32 s0, s33, -1
	s_addc_u32 s1, s40, -1
	s_add_u32 s2, 0, 0x99986000
	s_addc_u32 s3, 0, 0x59
	s_add_i32 s3, s3, 0x19999940
	s_mul_hi_u32 s7, s2, -10
	s_sub_i32 s7, s7, s2
	s_mul_i32 s8, s3, -10
	s_mul_i32 s4, s2, -10
	s_add_i32 s7, s7, s8
	s_mul_hi_u32 s5, s3, s4
	s_mul_i32 s6, s3, s4
	s_mul_i32 s9, s2, s7
	s_mul_hi_u32 s4, s2, s4
	s_mul_hi_u32 s8, s2, s7
	s_add_u32 s4, s4, s9
	s_addc_u32 s8, 0, s8
	s_add_u32 s4, s4, s6
	s_mul_hi_u32 s9, s3, s7
	s_addc_u32 s4, s8, s5
	s_addc_u32 s5, s9, 0
	s_mul_i32 s6, s3, s7
	s_add_u32 s4, s4, s6
	v_mov_b32_e32 v12, s4
	s_addc_u32 s5, 0, s5
	v_add_co_u32_e32 v12, vcc, s2, v12
	s_cmp_lg_u64 vcc, 0
	s_addc_u32 s2, s3, s5
	v_readfirstlane_b32 s5, v12
	s_mul_i32 s4, s0, s2
	s_mul_hi_u32 s6, s0, s5
	s_mul_hi_u32 s3, s0, s2
	s_add_u32 s4, s6, s4
	s_addc_u32 s3, 0, s3
	s_mul_hi_u32 s7, s1, s5
	s_mul_i32 s5, s1, s5
	s_add_u32 s4, s4, s5
	s_mul_hi_u32 s6, s1, s2
	s_addc_u32 s3, s3, s7
	s_addc_u32 s4, s6, 0
	s_mul_i32 s2, s1, s2
	s_add_u32 s2, s3, s2
	s_addc_u32 s3, 0, s4
	s_add_u32 s4, s2, 1
	s_addc_u32 s5, s3, 0
	s_add_u32 s6, s2, 2
	s_mul_i32 s8, s3, 10
	s_mul_hi_u32 s9, s2, 10
	s_addc_u32 s7, s3, 0
	s_add_i32 s9, s9, s8
	s_mul_i32 s8, s2, 10
	v_mov_b32_e32 v12, s8
	v_sub_co_u32_e32 v12, vcc, s0, v12
	s_cmp_lg_u64 vcc, 0
	s_subb_u32 s8, s1, s9
	v_subrev_co_u32_e32 v13, vcc, 10, v12
	s_cmp_lg_u64 vcc, 0
	s_subb_u32 s9, s8, 0
	v_readfirstlane_b32 s12, v13
	s_cmp_gt_u32 s12, 9
	s_cselect_b32 s12, -1, 0
	s_cmp_eq_u32 s9, 0
	s_cselect_b32 s9, s12, -1
	s_cmp_lg_u32 s9, 0
	s_cselect_b32 s4, s6, s4
	v_readfirstlane_b32 s6, v12
	s_cselect_b32 s5, s7, s5
	s_cmp_gt_u32 s6, 9
	s_cselect_b32 s6, -1, 0
	s_cmp_eq_u32 s8, 0
	s_cselect_b32 s6, s6, -1
	s_cmp_lg_u32 s6, 0
	s_cselect_b32 s3, s5, s3
	s_cselect_b32 s2, s4, s2
	v_cmp_eq_u64_e32 vcc, s[2:3], v[0:1]
	s_and_saveexec_b64 s[2:3], vcc
	s_cbranch_execz .LBB7000_180
; %bb.147:
	v_mul_hi_u32_u24_e32 v1, 10, v0
	v_mov_b32_e32 v12, s1
	v_sub_co_u32_e32 v0, vcc, s0, v23
	v_subb_co_u32_e32 v1, vcc, v12, v1, vcc
	v_cmp_lt_i64_e32 vcc, 4, v[0:1]
	s_and_saveexec_b64 s[0:1], vcc
	s_xor_b64 s[0:1], exec, s[0:1]
	s_cbranch_execz .LBB7000_165
; %bb.148:
	v_cmp_lt_i64_e32 vcc, 6, v[0:1]
	s_and_saveexec_b64 s[2:3], vcc
	s_xor_b64 s[2:3], exec, s[2:3]
	s_cbranch_execz .LBB7000_158
; %bb.149:
	v_cmp_lt_i64_e32 vcc, 7, v[0:1]
	s_and_saveexec_b64 s[4:5], vcc
	s_xor_b64 s[4:5], exec, s[4:5]
	s_cbranch_execz .LBB7000_155
; %bb.150:
	v_cmp_lt_i64_e32 vcc, 8, v[0:1]
	s_and_saveexec_b64 s[6:7], vcc
	s_xor_b64 s[6:7], exec, s[6:7]
	s_cbranch_execz .LBB7000_152
; %bb.151:
	v_mov_b32_e32 v0, 0
	s_waitcnt lgkmcnt(0)
	global_store_dword v0, v11, s[10:11]
                                        ; implicit-def: $vgpr10_vgpr11
.LBB7000_152:
	s_andn2_saveexec_b64 s[6:7], s[6:7]
	s_cbranch_execz .LBB7000_154
; %bb.153:
	v_mov_b32_e32 v0, 0
	s_waitcnt lgkmcnt(0)
	global_store_dword v0, v10, s[10:11]
.LBB7000_154:
	s_or_b64 exec, exec, s[6:7]
                                        ; implicit-def: $vgpr8_vgpr9
.LBB7000_155:
	s_andn2_saveexec_b64 s[4:5], s[4:5]
	s_cbranch_execz .LBB7000_157
; %bb.156:
	v_mov_b32_e32 v0, 0
	s_waitcnt lgkmcnt(0)
	global_store_dword v0, v9, s[10:11]
.LBB7000_157:
	s_or_b64 exec, exec, s[4:5]
                                        ; implicit-def: $vgpr4_vgpr5
                                        ; implicit-def: $vgpr0_vgpr1
                                        ; implicit-def: $vgpr8_vgpr9
.LBB7000_158:
	s_andn2_saveexec_b64 s[2:3], s[2:3]
	s_cbranch_execz .LBB7000_164
; %bb.159:
	v_cmp_lt_i64_e32 vcc, 5, v[0:1]
	s_and_saveexec_b64 s[4:5], vcc
	s_xor_b64 s[4:5], exec, s[4:5]
	s_cbranch_execz .LBB7000_161
; %bb.160:
	v_mov_b32_e32 v0, 0
	s_waitcnt lgkmcnt(0)
	global_store_dword v0, v8, s[10:11]
                                        ; implicit-def: $vgpr4_vgpr5
.LBB7000_161:
	s_andn2_saveexec_b64 s[4:5], s[4:5]
	s_cbranch_execz .LBB7000_163
; %bb.162:
	v_mov_b32_e32 v0, 0
	s_waitcnt lgkmcnt(0)
	global_store_dword v0, v5, s[10:11]
.LBB7000_163:
	s_or_b64 exec, exec, s[4:5]
.LBB7000_164:
	s_or_b64 exec, exec, s[2:3]
                                        ; implicit-def: $vgpr0_vgpr1
                                        ; implicit-def: $vgpr6_vgpr7
                                        ; implicit-def: $vgpr2_vgpr3
                                        ; implicit-def: $vgpr4_vgpr5
.LBB7000_165:
	s_andn2_saveexec_b64 s[0:1], s[0:1]
	s_cbranch_execz .LBB7000_180
; %bb.166:
	v_cmp_lt_i64_e32 vcc, 2, v[0:1]
	s_and_saveexec_b64 s[0:1], vcc
	s_xor_b64 s[0:1], exec, s[0:1]
	s_cbranch_execz .LBB7000_172
; %bb.167:
	v_cmp_lt_i64_e32 vcc, 3, v[0:1]
	s_and_saveexec_b64 s[2:3], vcc
	s_xor_b64 s[2:3], exec, s[2:3]
	s_cbranch_execz .LBB7000_169
; %bb.168:
	v_mov_b32_e32 v0, 0
	s_waitcnt lgkmcnt(0)
	global_store_dword v0, v4, s[10:11]
                                        ; implicit-def: $vgpr6_vgpr7
.LBB7000_169:
	s_andn2_saveexec_b64 s[2:3], s[2:3]
	s_cbranch_execz .LBB7000_171
; %bb.170:
	v_mov_b32_e32 v0, 0
	s_waitcnt lgkmcnt(0)
	global_store_dword v0, v7, s[10:11]
.LBB7000_171:
	s_or_b64 exec, exec, s[2:3]
                                        ; implicit-def: $vgpr0_vgpr1
                                        ; implicit-def: $vgpr6_vgpr7
                                        ; implicit-def: $vgpr2_vgpr3
.LBB7000_172:
	s_andn2_saveexec_b64 s[0:1], s[0:1]
	s_cbranch_execz .LBB7000_180
; %bb.173:
	v_cmp_lt_i64_e32 vcc, 1, v[0:1]
	s_and_saveexec_b64 s[0:1], vcc
	s_xor_b64 s[0:1], exec, s[0:1]
	s_cbranch_execz .LBB7000_175
; %bb.174:
	v_mov_b32_e32 v0, 0
	s_waitcnt lgkmcnt(0)
	global_store_dword v0, v6, s[10:11]
                                        ; implicit-def: $vgpr2_vgpr3
                                        ; implicit-def: $vgpr0_vgpr1
.LBB7000_175:
	s_andn2_saveexec_b64 s[0:1], s[0:1]
	s_cbranch_execz .LBB7000_180
; %bb.176:
	v_cmp_ne_u64_e32 vcc, 1, v[0:1]
	s_and_saveexec_b64 s[0:1], vcc
	s_xor_b64 s[0:1], exec, s[0:1]
	s_cbranch_execz .LBB7000_178
; %bb.177:
	v_mov_b32_e32 v0, 0
	s_waitcnt lgkmcnt(0)
	global_store_dword v0, v2, s[10:11]
                                        ; implicit-def: $vgpr2_vgpr3
.LBB7000_178:
	s_andn2_saveexec_b64 s[0:1], s[0:1]
	s_cbranch_execz .LBB7000_180
; %bb.179:
	v_mov_b32_e32 v0, 0
	s_waitcnt lgkmcnt(0)
	global_store_dword v0, v3, s[10:11]
.LBB7000_180:
	s_endpgm
	.section	.rodata,"a",@progbits
	.p2align	6, 0x0
	.amdhsa_kernel _ZN7rocprim17ROCPRIM_400000_NS6detail17trampoline_kernelINS0_14default_configENS1_20scan_config_selectorIiEEZZNS1_9scan_implILNS1_25lookback_scan_determinismE0ELb0ELb0ES3_N6thrust23THRUST_200600_302600_NS6detail15normal_iteratorINS9_10device_ptrIiEEEESE_i19const_ref_plus_mod3IiEiEEDaPvRmT3_T4_T5_mT6_P12ihipStream_tbENKUlT_T0_E_clISt17integral_constantIbLb1EESU_EEDaSP_SQ_EUlSP_E_NS1_11comp_targetILNS1_3genE4ELNS1_11target_archE910ELNS1_3gpuE8ELNS1_3repE0EEENS1_30default_config_static_selectorELNS0_4arch9wavefront6targetE1EEEvT1_
		.amdhsa_group_segment_fixed_size 5120
		.amdhsa_private_segment_fixed_size 0
		.amdhsa_kernarg_size 104
		.amdhsa_user_sgpr_count 6
		.amdhsa_user_sgpr_private_segment_buffer 1
		.amdhsa_user_sgpr_dispatch_ptr 0
		.amdhsa_user_sgpr_queue_ptr 0
		.amdhsa_user_sgpr_kernarg_segment_ptr 1
		.amdhsa_user_sgpr_dispatch_id 0
		.amdhsa_user_sgpr_flat_scratch_init 0
		.amdhsa_user_sgpr_kernarg_preload_length 0
		.amdhsa_user_sgpr_kernarg_preload_offset 0
		.amdhsa_user_sgpr_private_segment_size 0
		.amdhsa_uses_dynamic_stack 0
		.amdhsa_system_sgpr_private_segment_wavefront_offset 0
		.amdhsa_system_sgpr_workgroup_id_x 1
		.amdhsa_system_sgpr_workgroup_id_y 0
		.amdhsa_system_sgpr_workgroup_id_z 0
		.amdhsa_system_sgpr_workgroup_info 0
		.amdhsa_system_vgpr_workitem_id 0
		.amdhsa_next_free_vgpr 42
		.amdhsa_next_free_sgpr 44
		.amdhsa_accum_offset 44
		.amdhsa_reserve_vcc 1
		.amdhsa_reserve_flat_scratch 0
		.amdhsa_float_round_mode_32 0
		.amdhsa_float_round_mode_16_64 0
		.amdhsa_float_denorm_mode_32 3
		.amdhsa_float_denorm_mode_16_64 3
		.amdhsa_dx10_clamp 1
		.amdhsa_ieee_mode 1
		.amdhsa_fp16_overflow 0
		.amdhsa_tg_split 0
		.amdhsa_exception_fp_ieee_invalid_op 0
		.amdhsa_exception_fp_denorm_src 0
		.amdhsa_exception_fp_ieee_div_zero 0
		.amdhsa_exception_fp_ieee_overflow 0
		.amdhsa_exception_fp_ieee_underflow 0
		.amdhsa_exception_fp_ieee_inexact 0
		.amdhsa_exception_int_div_zero 0
	.end_amdhsa_kernel
	.section	.text._ZN7rocprim17ROCPRIM_400000_NS6detail17trampoline_kernelINS0_14default_configENS1_20scan_config_selectorIiEEZZNS1_9scan_implILNS1_25lookback_scan_determinismE0ELb0ELb0ES3_N6thrust23THRUST_200600_302600_NS6detail15normal_iteratorINS9_10device_ptrIiEEEESE_i19const_ref_plus_mod3IiEiEEDaPvRmT3_T4_T5_mT6_P12ihipStream_tbENKUlT_T0_E_clISt17integral_constantIbLb1EESU_EEDaSP_SQ_EUlSP_E_NS1_11comp_targetILNS1_3genE4ELNS1_11target_archE910ELNS1_3gpuE8ELNS1_3repE0EEENS1_30default_config_static_selectorELNS0_4arch9wavefront6targetE1EEEvT1_,"axG",@progbits,_ZN7rocprim17ROCPRIM_400000_NS6detail17trampoline_kernelINS0_14default_configENS1_20scan_config_selectorIiEEZZNS1_9scan_implILNS1_25lookback_scan_determinismE0ELb0ELb0ES3_N6thrust23THRUST_200600_302600_NS6detail15normal_iteratorINS9_10device_ptrIiEEEESE_i19const_ref_plus_mod3IiEiEEDaPvRmT3_T4_T5_mT6_P12ihipStream_tbENKUlT_T0_E_clISt17integral_constantIbLb1EESU_EEDaSP_SQ_EUlSP_E_NS1_11comp_targetILNS1_3genE4ELNS1_11target_archE910ELNS1_3gpuE8ELNS1_3repE0EEENS1_30default_config_static_selectorELNS0_4arch9wavefront6targetE1EEEvT1_,comdat
.Lfunc_end7000:
	.size	_ZN7rocprim17ROCPRIM_400000_NS6detail17trampoline_kernelINS0_14default_configENS1_20scan_config_selectorIiEEZZNS1_9scan_implILNS1_25lookback_scan_determinismE0ELb0ELb0ES3_N6thrust23THRUST_200600_302600_NS6detail15normal_iteratorINS9_10device_ptrIiEEEESE_i19const_ref_plus_mod3IiEiEEDaPvRmT3_T4_T5_mT6_P12ihipStream_tbENKUlT_T0_E_clISt17integral_constantIbLb1EESU_EEDaSP_SQ_EUlSP_E_NS1_11comp_targetILNS1_3genE4ELNS1_11target_archE910ELNS1_3gpuE8ELNS1_3repE0EEENS1_30default_config_static_selectorELNS0_4arch9wavefront6targetE1EEEvT1_, .Lfunc_end7000-_ZN7rocprim17ROCPRIM_400000_NS6detail17trampoline_kernelINS0_14default_configENS1_20scan_config_selectorIiEEZZNS1_9scan_implILNS1_25lookback_scan_determinismE0ELb0ELb0ES3_N6thrust23THRUST_200600_302600_NS6detail15normal_iteratorINS9_10device_ptrIiEEEESE_i19const_ref_plus_mod3IiEiEEDaPvRmT3_T4_T5_mT6_P12ihipStream_tbENKUlT_T0_E_clISt17integral_constantIbLb1EESU_EEDaSP_SQ_EUlSP_E_NS1_11comp_targetILNS1_3genE4ELNS1_11target_archE910ELNS1_3gpuE8ELNS1_3repE0EEENS1_30default_config_static_selectorELNS0_4arch9wavefront6targetE1EEEvT1_
                                        ; -- End function
	.section	.AMDGPU.csdata,"",@progbits
; Kernel info:
; codeLenInByte = 7512
; NumSgprs: 48
; NumVgprs: 42
; NumAgprs: 0
; TotalNumVgprs: 42
; ScratchSize: 0
; MemoryBound: 0
; FloatMode: 240
; IeeeMode: 1
; LDSByteSize: 5120 bytes/workgroup (compile time only)
; SGPRBlocks: 5
; VGPRBlocks: 5
; NumSGPRsForWavesPerEU: 48
; NumVGPRsForWavesPerEU: 42
; AccumOffset: 44
; Occupancy: 6
; WaveLimiterHint : 1
; COMPUTE_PGM_RSRC2:SCRATCH_EN: 0
; COMPUTE_PGM_RSRC2:USER_SGPR: 6
; COMPUTE_PGM_RSRC2:TRAP_HANDLER: 0
; COMPUTE_PGM_RSRC2:TGID_X_EN: 1
; COMPUTE_PGM_RSRC2:TGID_Y_EN: 0
; COMPUTE_PGM_RSRC2:TGID_Z_EN: 0
; COMPUTE_PGM_RSRC2:TIDIG_COMP_CNT: 0
; COMPUTE_PGM_RSRC3_GFX90A:ACCUM_OFFSET: 10
; COMPUTE_PGM_RSRC3_GFX90A:TG_SPLIT: 0
	.section	.text._ZN7rocprim17ROCPRIM_400000_NS6detail17trampoline_kernelINS0_14default_configENS1_20scan_config_selectorIiEEZZNS1_9scan_implILNS1_25lookback_scan_determinismE0ELb0ELb0ES3_N6thrust23THRUST_200600_302600_NS6detail15normal_iteratorINS9_10device_ptrIiEEEESE_i19const_ref_plus_mod3IiEiEEDaPvRmT3_T4_T5_mT6_P12ihipStream_tbENKUlT_T0_E_clISt17integral_constantIbLb1EESU_EEDaSP_SQ_EUlSP_E_NS1_11comp_targetILNS1_3genE3ELNS1_11target_archE908ELNS1_3gpuE7ELNS1_3repE0EEENS1_30default_config_static_selectorELNS0_4arch9wavefront6targetE1EEEvT1_,"axG",@progbits,_ZN7rocprim17ROCPRIM_400000_NS6detail17trampoline_kernelINS0_14default_configENS1_20scan_config_selectorIiEEZZNS1_9scan_implILNS1_25lookback_scan_determinismE0ELb0ELb0ES3_N6thrust23THRUST_200600_302600_NS6detail15normal_iteratorINS9_10device_ptrIiEEEESE_i19const_ref_plus_mod3IiEiEEDaPvRmT3_T4_T5_mT6_P12ihipStream_tbENKUlT_T0_E_clISt17integral_constantIbLb1EESU_EEDaSP_SQ_EUlSP_E_NS1_11comp_targetILNS1_3genE3ELNS1_11target_archE908ELNS1_3gpuE7ELNS1_3repE0EEENS1_30default_config_static_selectorELNS0_4arch9wavefront6targetE1EEEvT1_,comdat
	.protected	_ZN7rocprim17ROCPRIM_400000_NS6detail17trampoline_kernelINS0_14default_configENS1_20scan_config_selectorIiEEZZNS1_9scan_implILNS1_25lookback_scan_determinismE0ELb0ELb0ES3_N6thrust23THRUST_200600_302600_NS6detail15normal_iteratorINS9_10device_ptrIiEEEESE_i19const_ref_plus_mod3IiEiEEDaPvRmT3_T4_T5_mT6_P12ihipStream_tbENKUlT_T0_E_clISt17integral_constantIbLb1EESU_EEDaSP_SQ_EUlSP_E_NS1_11comp_targetILNS1_3genE3ELNS1_11target_archE908ELNS1_3gpuE7ELNS1_3repE0EEENS1_30default_config_static_selectorELNS0_4arch9wavefront6targetE1EEEvT1_ ; -- Begin function _ZN7rocprim17ROCPRIM_400000_NS6detail17trampoline_kernelINS0_14default_configENS1_20scan_config_selectorIiEEZZNS1_9scan_implILNS1_25lookback_scan_determinismE0ELb0ELb0ES3_N6thrust23THRUST_200600_302600_NS6detail15normal_iteratorINS9_10device_ptrIiEEEESE_i19const_ref_plus_mod3IiEiEEDaPvRmT3_T4_T5_mT6_P12ihipStream_tbENKUlT_T0_E_clISt17integral_constantIbLb1EESU_EEDaSP_SQ_EUlSP_E_NS1_11comp_targetILNS1_3genE3ELNS1_11target_archE908ELNS1_3gpuE7ELNS1_3repE0EEENS1_30default_config_static_selectorELNS0_4arch9wavefront6targetE1EEEvT1_
	.globl	_ZN7rocprim17ROCPRIM_400000_NS6detail17trampoline_kernelINS0_14default_configENS1_20scan_config_selectorIiEEZZNS1_9scan_implILNS1_25lookback_scan_determinismE0ELb0ELb0ES3_N6thrust23THRUST_200600_302600_NS6detail15normal_iteratorINS9_10device_ptrIiEEEESE_i19const_ref_plus_mod3IiEiEEDaPvRmT3_T4_T5_mT6_P12ihipStream_tbENKUlT_T0_E_clISt17integral_constantIbLb1EESU_EEDaSP_SQ_EUlSP_E_NS1_11comp_targetILNS1_3genE3ELNS1_11target_archE908ELNS1_3gpuE7ELNS1_3repE0EEENS1_30default_config_static_selectorELNS0_4arch9wavefront6targetE1EEEvT1_
	.p2align	8
	.type	_ZN7rocprim17ROCPRIM_400000_NS6detail17trampoline_kernelINS0_14default_configENS1_20scan_config_selectorIiEEZZNS1_9scan_implILNS1_25lookback_scan_determinismE0ELb0ELb0ES3_N6thrust23THRUST_200600_302600_NS6detail15normal_iteratorINS9_10device_ptrIiEEEESE_i19const_ref_plus_mod3IiEiEEDaPvRmT3_T4_T5_mT6_P12ihipStream_tbENKUlT_T0_E_clISt17integral_constantIbLb1EESU_EEDaSP_SQ_EUlSP_E_NS1_11comp_targetILNS1_3genE3ELNS1_11target_archE908ELNS1_3gpuE7ELNS1_3repE0EEENS1_30default_config_static_selectorELNS0_4arch9wavefront6targetE1EEEvT1_,@function
_ZN7rocprim17ROCPRIM_400000_NS6detail17trampoline_kernelINS0_14default_configENS1_20scan_config_selectorIiEEZZNS1_9scan_implILNS1_25lookback_scan_determinismE0ELb0ELb0ES3_N6thrust23THRUST_200600_302600_NS6detail15normal_iteratorINS9_10device_ptrIiEEEESE_i19const_ref_plus_mod3IiEiEEDaPvRmT3_T4_T5_mT6_P12ihipStream_tbENKUlT_T0_E_clISt17integral_constantIbLb1EESU_EEDaSP_SQ_EUlSP_E_NS1_11comp_targetILNS1_3genE3ELNS1_11target_archE908ELNS1_3gpuE7ELNS1_3repE0EEENS1_30default_config_static_selectorELNS0_4arch9wavefront6targetE1EEEvT1_: ; @_ZN7rocprim17ROCPRIM_400000_NS6detail17trampoline_kernelINS0_14default_configENS1_20scan_config_selectorIiEEZZNS1_9scan_implILNS1_25lookback_scan_determinismE0ELb0ELb0ES3_N6thrust23THRUST_200600_302600_NS6detail15normal_iteratorINS9_10device_ptrIiEEEESE_i19const_ref_plus_mod3IiEiEEDaPvRmT3_T4_T5_mT6_P12ihipStream_tbENKUlT_T0_E_clISt17integral_constantIbLb1EESU_EEDaSP_SQ_EUlSP_E_NS1_11comp_targetILNS1_3genE3ELNS1_11target_archE908ELNS1_3gpuE7ELNS1_3repE0EEENS1_30default_config_static_selectorELNS0_4arch9wavefront6targetE1EEEvT1_
; %bb.0:
	.section	.rodata,"a",@progbits
	.p2align	6, 0x0
	.amdhsa_kernel _ZN7rocprim17ROCPRIM_400000_NS6detail17trampoline_kernelINS0_14default_configENS1_20scan_config_selectorIiEEZZNS1_9scan_implILNS1_25lookback_scan_determinismE0ELb0ELb0ES3_N6thrust23THRUST_200600_302600_NS6detail15normal_iteratorINS9_10device_ptrIiEEEESE_i19const_ref_plus_mod3IiEiEEDaPvRmT3_T4_T5_mT6_P12ihipStream_tbENKUlT_T0_E_clISt17integral_constantIbLb1EESU_EEDaSP_SQ_EUlSP_E_NS1_11comp_targetILNS1_3genE3ELNS1_11target_archE908ELNS1_3gpuE7ELNS1_3repE0EEENS1_30default_config_static_selectorELNS0_4arch9wavefront6targetE1EEEvT1_
		.amdhsa_group_segment_fixed_size 0
		.amdhsa_private_segment_fixed_size 0
		.amdhsa_kernarg_size 104
		.amdhsa_user_sgpr_count 6
		.amdhsa_user_sgpr_private_segment_buffer 1
		.amdhsa_user_sgpr_dispatch_ptr 0
		.amdhsa_user_sgpr_queue_ptr 0
		.amdhsa_user_sgpr_kernarg_segment_ptr 1
		.amdhsa_user_sgpr_dispatch_id 0
		.amdhsa_user_sgpr_flat_scratch_init 0
		.amdhsa_user_sgpr_kernarg_preload_length 0
		.amdhsa_user_sgpr_kernarg_preload_offset 0
		.amdhsa_user_sgpr_private_segment_size 0
		.amdhsa_uses_dynamic_stack 0
		.amdhsa_system_sgpr_private_segment_wavefront_offset 0
		.amdhsa_system_sgpr_workgroup_id_x 1
		.amdhsa_system_sgpr_workgroup_id_y 0
		.amdhsa_system_sgpr_workgroup_id_z 0
		.amdhsa_system_sgpr_workgroup_info 0
		.amdhsa_system_vgpr_workitem_id 0
		.amdhsa_next_free_vgpr 1
		.amdhsa_next_free_sgpr 0
		.amdhsa_accum_offset 4
		.amdhsa_reserve_vcc 0
		.amdhsa_reserve_flat_scratch 0
		.amdhsa_float_round_mode_32 0
		.amdhsa_float_round_mode_16_64 0
		.amdhsa_float_denorm_mode_32 3
		.amdhsa_float_denorm_mode_16_64 3
		.amdhsa_dx10_clamp 1
		.amdhsa_ieee_mode 1
		.amdhsa_fp16_overflow 0
		.amdhsa_tg_split 0
		.amdhsa_exception_fp_ieee_invalid_op 0
		.amdhsa_exception_fp_denorm_src 0
		.amdhsa_exception_fp_ieee_div_zero 0
		.amdhsa_exception_fp_ieee_overflow 0
		.amdhsa_exception_fp_ieee_underflow 0
		.amdhsa_exception_fp_ieee_inexact 0
		.amdhsa_exception_int_div_zero 0
	.end_amdhsa_kernel
	.section	.text._ZN7rocprim17ROCPRIM_400000_NS6detail17trampoline_kernelINS0_14default_configENS1_20scan_config_selectorIiEEZZNS1_9scan_implILNS1_25lookback_scan_determinismE0ELb0ELb0ES3_N6thrust23THRUST_200600_302600_NS6detail15normal_iteratorINS9_10device_ptrIiEEEESE_i19const_ref_plus_mod3IiEiEEDaPvRmT3_T4_T5_mT6_P12ihipStream_tbENKUlT_T0_E_clISt17integral_constantIbLb1EESU_EEDaSP_SQ_EUlSP_E_NS1_11comp_targetILNS1_3genE3ELNS1_11target_archE908ELNS1_3gpuE7ELNS1_3repE0EEENS1_30default_config_static_selectorELNS0_4arch9wavefront6targetE1EEEvT1_,"axG",@progbits,_ZN7rocprim17ROCPRIM_400000_NS6detail17trampoline_kernelINS0_14default_configENS1_20scan_config_selectorIiEEZZNS1_9scan_implILNS1_25lookback_scan_determinismE0ELb0ELb0ES3_N6thrust23THRUST_200600_302600_NS6detail15normal_iteratorINS9_10device_ptrIiEEEESE_i19const_ref_plus_mod3IiEiEEDaPvRmT3_T4_T5_mT6_P12ihipStream_tbENKUlT_T0_E_clISt17integral_constantIbLb1EESU_EEDaSP_SQ_EUlSP_E_NS1_11comp_targetILNS1_3genE3ELNS1_11target_archE908ELNS1_3gpuE7ELNS1_3repE0EEENS1_30default_config_static_selectorELNS0_4arch9wavefront6targetE1EEEvT1_,comdat
.Lfunc_end7001:
	.size	_ZN7rocprim17ROCPRIM_400000_NS6detail17trampoline_kernelINS0_14default_configENS1_20scan_config_selectorIiEEZZNS1_9scan_implILNS1_25lookback_scan_determinismE0ELb0ELb0ES3_N6thrust23THRUST_200600_302600_NS6detail15normal_iteratorINS9_10device_ptrIiEEEESE_i19const_ref_plus_mod3IiEiEEDaPvRmT3_T4_T5_mT6_P12ihipStream_tbENKUlT_T0_E_clISt17integral_constantIbLb1EESU_EEDaSP_SQ_EUlSP_E_NS1_11comp_targetILNS1_3genE3ELNS1_11target_archE908ELNS1_3gpuE7ELNS1_3repE0EEENS1_30default_config_static_selectorELNS0_4arch9wavefront6targetE1EEEvT1_, .Lfunc_end7001-_ZN7rocprim17ROCPRIM_400000_NS6detail17trampoline_kernelINS0_14default_configENS1_20scan_config_selectorIiEEZZNS1_9scan_implILNS1_25lookback_scan_determinismE0ELb0ELb0ES3_N6thrust23THRUST_200600_302600_NS6detail15normal_iteratorINS9_10device_ptrIiEEEESE_i19const_ref_plus_mod3IiEiEEDaPvRmT3_T4_T5_mT6_P12ihipStream_tbENKUlT_T0_E_clISt17integral_constantIbLb1EESU_EEDaSP_SQ_EUlSP_E_NS1_11comp_targetILNS1_3genE3ELNS1_11target_archE908ELNS1_3gpuE7ELNS1_3repE0EEENS1_30default_config_static_selectorELNS0_4arch9wavefront6targetE1EEEvT1_
                                        ; -- End function
	.section	.AMDGPU.csdata,"",@progbits
; Kernel info:
; codeLenInByte = 0
; NumSgprs: 4
; NumVgprs: 0
; NumAgprs: 0
; TotalNumVgprs: 0
; ScratchSize: 0
; MemoryBound: 0
; FloatMode: 240
; IeeeMode: 1
; LDSByteSize: 0 bytes/workgroup (compile time only)
; SGPRBlocks: 0
; VGPRBlocks: 0
; NumSGPRsForWavesPerEU: 4
; NumVGPRsForWavesPerEU: 1
; AccumOffset: 4
; Occupancy: 8
; WaveLimiterHint : 0
; COMPUTE_PGM_RSRC2:SCRATCH_EN: 0
; COMPUTE_PGM_RSRC2:USER_SGPR: 6
; COMPUTE_PGM_RSRC2:TRAP_HANDLER: 0
; COMPUTE_PGM_RSRC2:TGID_X_EN: 1
; COMPUTE_PGM_RSRC2:TGID_Y_EN: 0
; COMPUTE_PGM_RSRC2:TGID_Z_EN: 0
; COMPUTE_PGM_RSRC2:TIDIG_COMP_CNT: 0
; COMPUTE_PGM_RSRC3_GFX90A:ACCUM_OFFSET: 0
; COMPUTE_PGM_RSRC3_GFX90A:TG_SPLIT: 0
	.section	.text._ZN7rocprim17ROCPRIM_400000_NS6detail17trampoline_kernelINS0_14default_configENS1_20scan_config_selectorIiEEZZNS1_9scan_implILNS1_25lookback_scan_determinismE0ELb0ELb0ES3_N6thrust23THRUST_200600_302600_NS6detail15normal_iteratorINS9_10device_ptrIiEEEESE_i19const_ref_plus_mod3IiEiEEDaPvRmT3_T4_T5_mT6_P12ihipStream_tbENKUlT_T0_E_clISt17integral_constantIbLb1EESU_EEDaSP_SQ_EUlSP_E_NS1_11comp_targetILNS1_3genE2ELNS1_11target_archE906ELNS1_3gpuE6ELNS1_3repE0EEENS1_30default_config_static_selectorELNS0_4arch9wavefront6targetE1EEEvT1_,"axG",@progbits,_ZN7rocprim17ROCPRIM_400000_NS6detail17trampoline_kernelINS0_14default_configENS1_20scan_config_selectorIiEEZZNS1_9scan_implILNS1_25lookback_scan_determinismE0ELb0ELb0ES3_N6thrust23THRUST_200600_302600_NS6detail15normal_iteratorINS9_10device_ptrIiEEEESE_i19const_ref_plus_mod3IiEiEEDaPvRmT3_T4_T5_mT6_P12ihipStream_tbENKUlT_T0_E_clISt17integral_constantIbLb1EESU_EEDaSP_SQ_EUlSP_E_NS1_11comp_targetILNS1_3genE2ELNS1_11target_archE906ELNS1_3gpuE6ELNS1_3repE0EEENS1_30default_config_static_selectorELNS0_4arch9wavefront6targetE1EEEvT1_,comdat
	.protected	_ZN7rocprim17ROCPRIM_400000_NS6detail17trampoline_kernelINS0_14default_configENS1_20scan_config_selectorIiEEZZNS1_9scan_implILNS1_25lookback_scan_determinismE0ELb0ELb0ES3_N6thrust23THRUST_200600_302600_NS6detail15normal_iteratorINS9_10device_ptrIiEEEESE_i19const_ref_plus_mod3IiEiEEDaPvRmT3_T4_T5_mT6_P12ihipStream_tbENKUlT_T0_E_clISt17integral_constantIbLb1EESU_EEDaSP_SQ_EUlSP_E_NS1_11comp_targetILNS1_3genE2ELNS1_11target_archE906ELNS1_3gpuE6ELNS1_3repE0EEENS1_30default_config_static_selectorELNS0_4arch9wavefront6targetE1EEEvT1_ ; -- Begin function _ZN7rocprim17ROCPRIM_400000_NS6detail17trampoline_kernelINS0_14default_configENS1_20scan_config_selectorIiEEZZNS1_9scan_implILNS1_25lookback_scan_determinismE0ELb0ELb0ES3_N6thrust23THRUST_200600_302600_NS6detail15normal_iteratorINS9_10device_ptrIiEEEESE_i19const_ref_plus_mod3IiEiEEDaPvRmT3_T4_T5_mT6_P12ihipStream_tbENKUlT_T0_E_clISt17integral_constantIbLb1EESU_EEDaSP_SQ_EUlSP_E_NS1_11comp_targetILNS1_3genE2ELNS1_11target_archE906ELNS1_3gpuE6ELNS1_3repE0EEENS1_30default_config_static_selectorELNS0_4arch9wavefront6targetE1EEEvT1_
	.globl	_ZN7rocprim17ROCPRIM_400000_NS6detail17trampoline_kernelINS0_14default_configENS1_20scan_config_selectorIiEEZZNS1_9scan_implILNS1_25lookback_scan_determinismE0ELb0ELb0ES3_N6thrust23THRUST_200600_302600_NS6detail15normal_iteratorINS9_10device_ptrIiEEEESE_i19const_ref_plus_mod3IiEiEEDaPvRmT3_T4_T5_mT6_P12ihipStream_tbENKUlT_T0_E_clISt17integral_constantIbLb1EESU_EEDaSP_SQ_EUlSP_E_NS1_11comp_targetILNS1_3genE2ELNS1_11target_archE906ELNS1_3gpuE6ELNS1_3repE0EEENS1_30default_config_static_selectorELNS0_4arch9wavefront6targetE1EEEvT1_
	.p2align	8
	.type	_ZN7rocprim17ROCPRIM_400000_NS6detail17trampoline_kernelINS0_14default_configENS1_20scan_config_selectorIiEEZZNS1_9scan_implILNS1_25lookback_scan_determinismE0ELb0ELb0ES3_N6thrust23THRUST_200600_302600_NS6detail15normal_iteratorINS9_10device_ptrIiEEEESE_i19const_ref_plus_mod3IiEiEEDaPvRmT3_T4_T5_mT6_P12ihipStream_tbENKUlT_T0_E_clISt17integral_constantIbLb1EESU_EEDaSP_SQ_EUlSP_E_NS1_11comp_targetILNS1_3genE2ELNS1_11target_archE906ELNS1_3gpuE6ELNS1_3repE0EEENS1_30default_config_static_selectorELNS0_4arch9wavefront6targetE1EEEvT1_,@function
_ZN7rocprim17ROCPRIM_400000_NS6detail17trampoline_kernelINS0_14default_configENS1_20scan_config_selectorIiEEZZNS1_9scan_implILNS1_25lookback_scan_determinismE0ELb0ELb0ES3_N6thrust23THRUST_200600_302600_NS6detail15normal_iteratorINS9_10device_ptrIiEEEESE_i19const_ref_plus_mod3IiEiEEDaPvRmT3_T4_T5_mT6_P12ihipStream_tbENKUlT_T0_E_clISt17integral_constantIbLb1EESU_EEDaSP_SQ_EUlSP_E_NS1_11comp_targetILNS1_3genE2ELNS1_11target_archE906ELNS1_3gpuE6ELNS1_3repE0EEENS1_30default_config_static_selectorELNS0_4arch9wavefront6targetE1EEEvT1_: ; @_ZN7rocprim17ROCPRIM_400000_NS6detail17trampoline_kernelINS0_14default_configENS1_20scan_config_selectorIiEEZZNS1_9scan_implILNS1_25lookback_scan_determinismE0ELb0ELb0ES3_N6thrust23THRUST_200600_302600_NS6detail15normal_iteratorINS9_10device_ptrIiEEEESE_i19const_ref_plus_mod3IiEiEEDaPvRmT3_T4_T5_mT6_P12ihipStream_tbENKUlT_T0_E_clISt17integral_constantIbLb1EESU_EEDaSP_SQ_EUlSP_E_NS1_11comp_targetILNS1_3genE2ELNS1_11target_archE906ELNS1_3gpuE6ELNS1_3repE0EEENS1_30default_config_static_selectorELNS0_4arch9wavefront6targetE1EEEvT1_
; %bb.0:
	.section	.rodata,"a",@progbits
	.p2align	6, 0x0
	.amdhsa_kernel _ZN7rocprim17ROCPRIM_400000_NS6detail17trampoline_kernelINS0_14default_configENS1_20scan_config_selectorIiEEZZNS1_9scan_implILNS1_25lookback_scan_determinismE0ELb0ELb0ES3_N6thrust23THRUST_200600_302600_NS6detail15normal_iteratorINS9_10device_ptrIiEEEESE_i19const_ref_plus_mod3IiEiEEDaPvRmT3_T4_T5_mT6_P12ihipStream_tbENKUlT_T0_E_clISt17integral_constantIbLb1EESU_EEDaSP_SQ_EUlSP_E_NS1_11comp_targetILNS1_3genE2ELNS1_11target_archE906ELNS1_3gpuE6ELNS1_3repE0EEENS1_30default_config_static_selectorELNS0_4arch9wavefront6targetE1EEEvT1_
		.amdhsa_group_segment_fixed_size 0
		.amdhsa_private_segment_fixed_size 0
		.amdhsa_kernarg_size 104
		.amdhsa_user_sgpr_count 6
		.amdhsa_user_sgpr_private_segment_buffer 1
		.amdhsa_user_sgpr_dispatch_ptr 0
		.amdhsa_user_sgpr_queue_ptr 0
		.amdhsa_user_sgpr_kernarg_segment_ptr 1
		.amdhsa_user_sgpr_dispatch_id 0
		.amdhsa_user_sgpr_flat_scratch_init 0
		.amdhsa_user_sgpr_kernarg_preload_length 0
		.amdhsa_user_sgpr_kernarg_preload_offset 0
		.amdhsa_user_sgpr_private_segment_size 0
		.amdhsa_uses_dynamic_stack 0
		.amdhsa_system_sgpr_private_segment_wavefront_offset 0
		.amdhsa_system_sgpr_workgroup_id_x 1
		.amdhsa_system_sgpr_workgroup_id_y 0
		.amdhsa_system_sgpr_workgroup_id_z 0
		.amdhsa_system_sgpr_workgroup_info 0
		.amdhsa_system_vgpr_workitem_id 0
		.amdhsa_next_free_vgpr 1
		.amdhsa_next_free_sgpr 0
		.amdhsa_accum_offset 4
		.amdhsa_reserve_vcc 0
		.amdhsa_reserve_flat_scratch 0
		.amdhsa_float_round_mode_32 0
		.amdhsa_float_round_mode_16_64 0
		.amdhsa_float_denorm_mode_32 3
		.amdhsa_float_denorm_mode_16_64 3
		.amdhsa_dx10_clamp 1
		.amdhsa_ieee_mode 1
		.amdhsa_fp16_overflow 0
		.amdhsa_tg_split 0
		.amdhsa_exception_fp_ieee_invalid_op 0
		.amdhsa_exception_fp_denorm_src 0
		.amdhsa_exception_fp_ieee_div_zero 0
		.amdhsa_exception_fp_ieee_overflow 0
		.amdhsa_exception_fp_ieee_underflow 0
		.amdhsa_exception_fp_ieee_inexact 0
		.amdhsa_exception_int_div_zero 0
	.end_amdhsa_kernel
	.section	.text._ZN7rocprim17ROCPRIM_400000_NS6detail17trampoline_kernelINS0_14default_configENS1_20scan_config_selectorIiEEZZNS1_9scan_implILNS1_25lookback_scan_determinismE0ELb0ELb0ES3_N6thrust23THRUST_200600_302600_NS6detail15normal_iteratorINS9_10device_ptrIiEEEESE_i19const_ref_plus_mod3IiEiEEDaPvRmT3_T4_T5_mT6_P12ihipStream_tbENKUlT_T0_E_clISt17integral_constantIbLb1EESU_EEDaSP_SQ_EUlSP_E_NS1_11comp_targetILNS1_3genE2ELNS1_11target_archE906ELNS1_3gpuE6ELNS1_3repE0EEENS1_30default_config_static_selectorELNS0_4arch9wavefront6targetE1EEEvT1_,"axG",@progbits,_ZN7rocprim17ROCPRIM_400000_NS6detail17trampoline_kernelINS0_14default_configENS1_20scan_config_selectorIiEEZZNS1_9scan_implILNS1_25lookback_scan_determinismE0ELb0ELb0ES3_N6thrust23THRUST_200600_302600_NS6detail15normal_iteratorINS9_10device_ptrIiEEEESE_i19const_ref_plus_mod3IiEiEEDaPvRmT3_T4_T5_mT6_P12ihipStream_tbENKUlT_T0_E_clISt17integral_constantIbLb1EESU_EEDaSP_SQ_EUlSP_E_NS1_11comp_targetILNS1_3genE2ELNS1_11target_archE906ELNS1_3gpuE6ELNS1_3repE0EEENS1_30default_config_static_selectorELNS0_4arch9wavefront6targetE1EEEvT1_,comdat
.Lfunc_end7002:
	.size	_ZN7rocprim17ROCPRIM_400000_NS6detail17trampoline_kernelINS0_14default_configENS1_20scan_config_selectorIiEEZZNS1_9scan_implILNS1_25lookback_scan_determinismE0ELb0ELb0ES3_N6thrust23THRUST_200600_302600_NS6detail15normal_iteratorINS9_10device_ptrIiEEEESE_i19const_ref_plus_mod3IiEiEEDaPvRmT3_T4_T5_mT6_P12ihipStream_tbENKUlT_T0_E_clISt17integral_constantIbLb1EESU_EEDaSP_SQ_EUlSP_E_NS1_11comp_targetILNS1_3genE2ELNS1_11target_archE906ELNS1_3gpuE6ELNS1_3repE0EEENS1_30default_config_static_selectorELNS0_4arch9wavefront6targetE1EEEvT1_, .Lfunc_end7002-_ZN7rocprim17ROCPRIM_400000_NS6detail17trampoline_kernelINS0_14default_configENS1_20scan_config_selectorIiEEZZNS1_9scan_implILNS1_25lookback_scan_determinismE0ELb0ELb0ES3_N6thrust23THRUST_200600_302600_NS6detail15normal_iteratorINS9_10device_ptrIiEEEESE_i19const_ref_plus_mod3IiEiEEDaPvRmT3_T4_T5_mT6_P12ihipStream_tbENKUlT_T0_E_clISt17integral_constantIbLb1EESU_EEDaSP_SQ_EUlSP_E_NS1_11comp_targetILNS1_3genE2ELNS1_11target_archE906ELNS1_3gpuE6ELNS1_3repE0EEENS1_30default_config_static_selectorELNS0_4arch9wavefront6targetE1EEEvT1_
                                        ; -- End function
	.section	.AMDGPU.csdata,"",@progbits
; Kernel info:
; codeLenInByte = 0
; NumSgprs: 4
; NumVgprs: 0
; NumAgprs: 0
; TotalNumVgprs: 0
; ScratchSize: 0
; MemoryBound: 0
; FloatMode: 240
; IeeeMode: 1
; LDSByteSize: 0 bytes/workgroup (compile time only)
; SGPRBlocks: 0
; VGPRBlocks: 0
; NumSGPRsForWavesPerEU: 4
; NumVGPRsForWavesPerEU: 1
; AccumOffset: 4
; Occupancy: 8
; WaveLimiterHint : 0
; COMPUTE_PGM_RSRC2:SCRATCH_EN: 0
; COMPUTE_PGM_RSRC2:USER_SGPR: 6
; COMPUTE_PGM_RSRC2:TRAP_HANDLER: 0
; COMPUTE_PGM_RSRC2:TGID_X_EN: 1
; COMPUTE_PGM_RSRC2:TGID_Y_EN: 0
; COMPUTE_PGM_RSRC2:TGID_Z_EN: 0
; COMPUTE_PGM_RSRC2:TIDIG_COMP_CNT: 0
; COMPUTE_PGM_RSRC3_GFX90A:ACCUM_OFFSET: 0
; COMPUTE_PGM_RSRC3_GFX90A:TG_SPLIT: 0
	.section	.text._ZN7rocprim17ROCPRIM_400000_NS6detail17trampoline_kernelINS0_14default_configENS1_20scan_config_selectorIiEEZZNS1_9scan_implILNS1_25lookback_scan_determinismE0ELb0ELb0ES3_N6thrust23THRUST_200600_302600_NS6detail15normal_iteratorINS9_10device_ptrIiEEEESE_i19const_ref_plus_mod3IiEiEEDaPvRmT3_T4_T5_mT6_P12ihipStream_tbENKUlT_T0_E_clISt17integral_constantIbLb1EESU_EEDaSP_SQ_EUlSP_E_NS1_11comp_targetILNS1_3genE10ELNS1_11target_archE1201ELNS1_3gpuE5ELNS1_3repE0EEENS1_30default_config_static_selectorELNS0_4arch9wavefront6targetE1EEEvT1_,"axG",@progbits,_ZN7rocprim17ROCPRIM_400000_NS6detail17trampoline_kernelINS0_14default_configENS1_20scan_config_selectorIiEEZZNS1_9scan_implILNS1_25lookback_scan_determinismE0ELb0ELb0ES3_N6thrust23THRUST_200600_302600_NS6detail15normal_iteratorINS9_10device_ptrIiEEEESE_i19const_ref_plus_mod3IiEiEEDaPvRmT3_T4_T5_mT6_P12ihipStream_tbENKUlT_T0_E_clISt17integral_constantIbLb1EESU_EEDaSP_SQ_EUlSP_E_NS1_11comp_targetILNS1_3genE10ELNS1_11target_archE1201ELNS1_3gpuE5ELNS1_3repE0EEENS1_30default_config_static_selectorELNS0_4arch9wavefront6targetE1EEEvT1_,comdat
	.protected	_ZN7rocprim17ROCPRIM_400000_NS6detail17trampoline_kernelINS0_14default_configENS1_20scan_config_selectorIiEEZZNS1_9scan_implILNS1_25lookback_scan_determinismE0ELb0ELb0ES3_N6thrust23THRUST_200600_302600_NS6detail15normal_iteratorINS9_10device_ptrIiEEEESE_i19const_ref_plus_mod3IiEiEEDaPvRmT3_T4_T5_mT6_P12ihipStream_tbENKUlT_T0_E_clISt17integral_constantIbLb1EESU_EEDaSP_SQ_EUlSP_E_NS1_11comp_targetILNS1_3genE10ELNS1_11target_archE1201ELNS1_3gpuE5ELNS1_3repE0EEENS1_30default_config_static_selectorELNS0_4arch9wavefront6targetE1EEEvT1_ ; -- Begin function _ZN7rocprim17ROCPRIM_400000_NS6detail17trampoline_kernelINS0_14default_configENS1_20scan_config_selectorIiEEZZNS1_9scan_implILNS1_25lookback_scan_determinismE0ELb0ELb0ES3_N6thrust23THRUST_200600_302600_NS6detail15normal_iteratorINS9_10device_ptrIiEEEESE_i19const_ref_plus_mod3IiEiEEDaPvRmT3_T4_T5_mT6_P12ihipStream_tbENKUlT_T0_E_clISt17integral_constantIbLb1EESU_EEDaSP_SQ_EUlSP_E_NS1_11comp_targetILNS1_3genE10ELNS1_11target_archE1201ELNS1_3gpuE5ELNS1_3repE0EEENS1_30default_config_static_selectorELNS0_4arch9wavefront6targetE1EEEvT1_
	.globl	_ZN7rocprim17ROCPRIM_400000_NS6detail17trampoline_kernelINS0_14default_configENS1_20scan_config_selectorIiEEZZNS1_9scan_implILNS1_25lookback_scan_determinismE0ELb0ELb0ES3_N6thrust23THRUST_200600_302600_NS6detail15normal_iteratorINS9_10device_ptrIiEEEESE_i19const_ref_plus_mod3IiEiEEDaPvRmT3_T4_T5_mT6_P12ihipStream_tbENKUlT_T0_E_clISt17integral_constantIbLb1EESU_EEDaSP_SQ_EUlSP_E_NS1_11comp_targetILNS1_3genE10ELNS1_11target_archE1201ELNS1_3gpuE5ELNS1_3repE0EEENS1_30default_config_static_selectorELNS0_4arch9wavefront6targetE1EEEvT1_
	.p2align	8
	.type	_ZN7rocprim17ROCPRIM_400000_NS6detail17trampoline_kernelINS0_14default_configENS1_20scan_config_selectorIiEEZZNS1_9scan_implILNS1_25lookback_scan_determinismE0ELb0ELb0ES3_N6thrust23THRUST_200600_302600_NS6detail15normal_iteratorINS9_10device_ptrIiEEEESE_i19const_ref_plus_mod3IiEiEEDaPvRmT3_T4_T5_mT6_P12ihipStream_tbENKUlT_T0_E_clISt17integral_constantIbLb1EESU_EEDaSP_SQ_EUlSP_E_NS1_11comp_targetILNS1_3genE10ELNS1_11target_archE1201ELNS1_3gpuE5ELNS1_3repE0EEENS1_30default_config_static_selectorELNS0_4arch9wavefront6targetE1EEEvT1_,@function
_ZN7rocprim17ROCPRIM_400000_NS6detail17trampoline_kernelINS0_14default_configENS1_20scan_config_selectorIiEEZZNS1_9scan_implILNS1_25lookback_scan_determinismE0ELb0ELb0ES3_N6thrust23THRUST_200600_302600_NS6detail15normal_iteratorINS9_10device_ptrIiEEEESE_i19const_ref_plus_mod3IiEiEEDaPvRmT3_T4_T5_mT6_P12ihipStream_tbENKUlT_T0_E_clISt17integral_constantIbLb1EESU_EEDaSP_SQ_EUlSP_E_NS1_11comp_targetILNS1_3genE10ELNS1_11target_archE1201ELNS1_3gpuE5ELNS1_3repE0EEENS1_30default_config_static_selectorELNS0_4arch9wavefront6targetE1EEEvT1_: ; @_ZN7rocprim17ROCPRIM_400000_NS6detail17trampoline_kernelINS0_14default_configENS1_20scan_config_selectorIiEEZZNS1_9scan_implILNS1_25lookback_scan_determinismE0ELb0ELb0ES3_N6thrust23THRUST_200600_302600_NS6detail15normal_iteratorINS9_10device_ptrIiEEEESE_i19const_ref_plus_mod3IiEiEEDaPvRmT3_T4_T5_mT6_P12ihipStream_tbENKUlT_T0_E_clISt17integral_constantIbLb1EESU_EEDaSP_SQ_EUlSP_E_NS1_11comp_targetILNS1_3genE10ELNS1_11target_archE1201ELNS1_3gpuE5ELNS1_3repE0EEENS1_30default_config_static_selectorELNS0_4arch9wavefront6targetE1EEEvT1_
; %bb.0:
	.section	.rodata,"a",@progbits
	.p2align	6, 0x0
	.amdhsa_kernel _ZN7rocprim17ROCPRIM_400000_NS6detail17trampoline_kernelINS0_14default_configENS1_20scan_config_selectorIiEEZZNS1_9scan_implILNS1_25lookback_scan_determinismE0ELb0ELb0ES3_N6thrust23THRUST_200600_302600_NS6detail15normal_iteratorINS9_10device_ptrIiEEEESE_i19const_ref_plus_mod3IiEiEEDaPvRmT3_T4_T5_mT6_P12ihipStream_tbENKUlT_T0_E_clISt17integral_constantIbLb1EESU_EEDaSP_SQ_EUlSP_E_NS1_11comp_targetILNS1_3genE10ELNS1_11target_archE1201ELNS1_3gpuE5ELNS1_3repE0EEENS1_30default_config_static_selectorELNS0_4arch9wavefront6targetE1EEEvT1_
		.amdhsa_group_segment_fixed_size 0
		.amdhsa_private_segment_fixed_size 0
		.amdhsa_kernarg_size 104
		.amdhsa_user_sgpr_count 6
		.amdhsa_user_sgpr_private_segment_buffer 1
		.amdhsa_user_sgpr_dispatch_ptr 0
		.amdhsa_user_sgpr_queue_ptr 0
		.amdhsa_user_sgpr_kernarg_segment_ptr 1
		.amdhsa_user_sgpr_dispatch_id 0
		.amdhsa_user_sgpr_flat_scratch_init 0
		.amdhsa_user_sgpr_kernarg_preload_length 0
		.amdhsa_user_sgpr_kernarg_preload_offset 0
		.amdhsa_user_sgpr_private_segment_size 0
		.amdhsa_uses_dynamic_stack 0
		.amdhsa_system_sgpr_private_segment_wavefront_offset 0
		.amdhsa_system_sgpr_workgroup_id_x 1
		.amdhsa_system_sgpr_workgroup_id_y 0
		.amdhsa_system_sgpr_workgroup_id_z 0
		.amdhsa_system_sgpr_workgroup_info 0
		.amdhsa_system_vgpr_workitem_id 0
		.amdhsa_next_free_vgpr 1
		.amdhsa_next_free_sgpr 0
		.amdhsa_accum_offset 4
		.amdhsa_reserve_vcc 0
		.amdhsa_reserve_flat_scratch 0
		.amdhsa_float_round_mode_32 0
		.amdhsa_float_round_mode_16_64 0
		.amdhsa_float_denorm_mode_32 3
		.amdhsa_float_denorm_mode_16_64 3
		.amdhsa_dx10_clamp 1
		.amdhsa_ieee_mode 1
		.amdhsa_fp16_overflow 0
		.amdhsa_tg_split 0
		.amdhsa_exception_fp_ieee_invalid_op 0
		.amdhsa_exception_fp_denorm_src 0
		.amdhsa_exception_fp_ieee_div_zero 0
		.amdhsa_exception_fp_ieee_overflow 0
		.amdhsa_exception_fp_ieee_underflow 0
		.amdhsa_exception_fp_ieee_inexact 0
		.amdhsa_exception_int_div_zero 0
	.end_amdhsa_kernel
	.section	.text._ZN7rocprim17ROCPRIM_400000_NS6detail17trampoline_kernelINS0_14default_configENS1_20scan_config_selectorIiEEZZNS1_9scan_implILNS1_25lookback_scan_determinismE0ELb0ELb0ES3_N6thrust23THRUST_200600_302600_NS6detail15normal_iteratorINS9_10device_ptrIiEEEESE_i19const_ref_plus_mod3IiEiEEDaPvRmT3_T4_T5_mT6_P12ihipStream_tbENKUlT_T0_E_clISt17integral_constantIbLb1EESU_EEDaSP_SQ_EUlSP_E_NS1_11comp_targetILNS1_3genE10ELNS1_11target_archE1201ELNS1_3gpuE5ELNS1_3repE0EEENS1_30default_config_static_selectorELNS0_4arch9wavefront6targetE1EEEvT1_,"axG",@progbits,_ZN7rocprim17ROCPRIM_400000_NS6detail17trampoline_kernelINS0_14default_configENS1_20scan_config_selectorIiEEZZNS1_9scan_implILNS1_25lookback_scan_determinismE0ELb0ELb0ES3_N6thrust23THRUST_200600_302600_NS6detail15normal_iteratorINS9_10device_ptrIiEEEESE_i19const_ref_plus_mod3IiEiEEDaPvRmT3_T4_T5_mT6_P12ihipStream_tbENKUlT_T0_E_clISt17integral_constantIbLb1EESU_EEDaSP_SQ_EUlSP_E_NS1_11comp_targetILNS1_3genE10ELNS1_11target_archE1201ELNS1_3gpuE5ELNS1_3repE0EEENS1_30default_config_static_selectorELNS0_4arch9wavefront6targetE1EEEvT1_,comdat
.Lfunc_end7003:
	.size	_ZN7rocprim17ROCPRIM_400000_NS6detail17trampoline_kernelINS0_14default_configENS1_20scan_config_selectorIiEEZZNS1_9scan_implILNS1_25lookback_scan_determinismE0ELb0ELb0ES3_N6thrust23THRUST_200600_302600_NS6detail15normal_iteratorINS9_10device_ptrIiEEEESE_i19const_ref_plus_mod3IiEiEEDaPvRmT3_T4_T5_mT6_P12ihipStream_tbENKUlT_T0_E_clISt17integral_constantIbLb1EESU_EEDaSP_SQ_EUlSP_E_NS1_11comp_targetILNS1_3genE10ELNS1_11target_archE1201ELNS1_3gpuE5ELNS1_3repE0EEENS1_30default_config_static_selectorELNS0_4arch9wavefront6targetE1EEEvT1_, .Lfunc_end7003-_ZN7rocprim17ROCPRIM_400000_NS6detail17trampoline_kernelINS0_14default_configENS1_20scan_config_selectorIiEEZZNS1_9scan_implILNS1_25lookback_scan_determinismE0ELb0ELb0ES3_N6thrust23THRUST_200600_302600_NS6detail15normal_iteratorINS9_10device_ptrIiEEEESE_i19const_ref_plus_mod3IiEiEEDaPvRmT3_T4_T5_mT6_P12ihipStream_tbENKUlT_T0_E_clISt17integral_constantIbLb1EESU_EEDaSP_SQ_EUlSP_E_NS1_11comp_targetILNS1_3genE10ELNS1_11target_archE1201ELNS1_3gpuE5ELNS1_3repE0EEENS1_30default_config_static_selectorELNS0_4arch9wavefront6targetE1EEEvT1_
                                        ; -- End function
	.section	.AMDGPU.csdata,"",@progbits
; Kernel info:
; codeLenInByte = 0
; NumSgprs: 4
; NumVgprs: 0
; NumAgprs: 0
; TotalNumVgprs: 0
; ScratchSize: 0
; MemoryBound: 0
; FloatMode: 240
; IeeeMode: 1
; LDSByteSize: 0 bytes/workgroup (compile time only)
; SGPRBlocks: 0
; VGPRBlocks: 0
; NumSGPRsForWavesPerEU: 4
; NumVGPRsForWavesPerEU: 1
; AccumOffset: 4
; Occupancy: 8
; WaveLimiterHint : 0
; COMPUTE_PGM_RSRC2:SCRATCH_EN: 0
; COMPUTE_PGM_RSRC2:USER_SGPR: 6
; COMPUTE_PGM_RSRC2:TRAP_HANDLER: 0
; COMPUTE_PGM_RSRC2:TGID_X_EN: 1
; COMPUTE_PGM_RSRC2:TGID_Y_EN: 0
; COMPUTE_PGM_RSRC2:TGID_Z_EN: 0
; COMPUTE_PGM_RSRC2:TIDIG_COMP_CNT: 0
; COMPUTE_PGM_RSRC3_GFX90A:ACCUM_OFFSET: 0
; COMPUTE_PGM_RSRC3_GFX90A:TG_SPLIT: 0
	.section	.text._ZN7rocprim17ROCPRIM_400000_NS6detail17trampoline_kernelINS0_14default_configENS1_20scan_config_selectorIiEEZZNS1_9scan_implILNS1_25lookback_scan_determinismE0ELb0ELb0ES3_N6thrust23THRUST_200600_302600_NS6detail15normal_iteratorINS9_10device_ptrIiEEEESE_i19const_ref_plus_mod3IiEiEEDaPvRmT3_T4_T5_mT6_P12ihipStream_tbENKUlT_T0_E_clISt17integral_constantIbLb1EESU_EEDaSP_SQ_EUlSP_E_NS1_11comp_targetILNS1_3genE10ELNS1_11target_archE1200ELNS1_3gpuE4ELNS1_3repE0EEENS1_30default_config_static_selectorELNS0_4arch9wavefront6targetE1EEEvT1_,"axG",@progbits,_ZN7rocprim17ROCPRIM_400000_NS6detail17trampoline_kernelINS0_14default_configENS1_20scan_config_selectorIiEEZZNS1_9scan_implILNS1_25lookback_scan_determinismE0ELb0ELb0ES3_N6thrust23THRUST_200600_302600_NS6detail15normal_iteratorINS9_10device_ptrIiEEEESE_i19const_ref_plus_mod3IiEiEEDaPvRmT3_T4_T5_mT6_P12ihipStream_tbENKUlT_T0_E_clISt17integral_constantIbLb1EESU_EEDaSP_SQ_EUlSP_E_NS1_11comp_targetILNS1_3genE10ELNS1_11target_archE1200ELNS1_3gpuE4ELNS1_3repE0EEENS1_30default_config_static_selectorELNS0_4arch9wavefront6targetE1EEEvT1_,comdat
	.protected	_ZN7rocprim17ROCPRIM_400000_NS6detail17trampoline_kernelINS0_14default_configENS1_20scan_config_selectorIiEEZZNS1_9scan_implILNS1_25lookback_scan_determinismE0ELb0ELb0ES3_N6thrust23THRUST_200600_302600_NS6detail15normal_iteratorINS9_10device_ptrIiEEEESE_i19const_ref_plus_mod3IiEiEEDaPvRmT3_T4_T5_mT6_P12ihipStream_tbENKUlT_T0_E_clISt17integral_constantIbLb1EESU_EEDaSP_SQ_EUlSP_E_NS1_11comp_targetILNS1_3genE10ELNS1_11target_archE1200ELNS1_3gpuE4ELNS1_3repE0EEENS1_30default_config_static_selectorELNS0_4arch9wavefront6targetE1EEEvT1_ ; -- Begin function _ZN7rocprim17ROCPRIM_400000_NS6detail17trampoline_kernelINS0_14default_configENS1_20scan_config_selectorIiEEZZNS1_9scan_implILNS1_25lookback_scan_determinismE0ELb0ELb0ES3_N6thrust23THRUST_200600_302600_NS6detail15normal_iteratorINS9_10device_ptrIiEEEESE_i19const_ref_plus_mod3IiEiEEDaPvRmT3_T4_T5_mT6_P12ihipStream_tbENKUlT_T0_E_clISt17integral_constantIbLb1EESU_EEDaSP_SQ_EUlSP_E_NS1_11comp_targetILNS1_3genE10ELNS1_11target_archE1200ELNS1_3gpuE4ELNS1_3repE0EEENS1_30default_config_static_selectorELNS0_4arch9wavefront6targetE1EEEvT1_
	.globl	_ZN7rocprim17ROCPRIM_400000_NS6detail17trampoline_kernelINS0_14default_configENS1_20scan_config_selectorIiEEZZNS1_9scan_implILNS1_25lookback_scan_determinismE0ELb0ELb0ES3_N6thrust23THRUST_200600_302600_NS6detail15normal_iteratorINS9_10device_ptrIiEEEESE_i19const_ref_plus_mod3IiEiEEDaPvRmT3_T4_T5_mT6_P12ihipStream_tbENKUlT_T0_E_clISt17integral_constantIbLb1EESU_EEDaSP_SQ_EUlSP_E_NS1_11comp_targetILNS1_3genE10ELNS1_11target_archE1200ELNS1_3gpuE4ELNS1_3repE0EEENS1_30default_config_static_selectorELNS0_4arch9wavefront6targetE1EEEvT1_
	.p2align	8
	.type	_ZN7rocprim17ROCPRIM_400000_NS6detail17trampoline_kernelINS0_14default_configENS1_20scan_config_selectorIiEEZZNS1_9scan_implILNS1_25lookback_scan_determinismE0ELb0ELb0ES3_N6thrust23THRUST_200600_302600_NS6detail15normal_iteratorINS9_10device_ptrIiEEEESE_i19const_ref_plus_mod3IiEiEEDaPvRmT3_T4_T5_mT6_P12ihipStream_tbENKUlT_T0_E_clISt17integral_constantIbLb1EESU_EEDaSP_SQ_EUlSP_E_NS1_11comp_targetILNS1_3genE10ELNS1_11target_archE1200ELNS1_3gpuE4ELNS1_3repE0EEENS1_30default_config_static_selectorELNS0_4arch9wavefront6targetE1EEEvT1_,@function
_ZN7rocprim17ROCPRIM_400000_NS6detail17trampoline_kernelINS0_14default_configENS1_20scan_config_selectorIiEEZZNS1_9scan_implILNS1_25lookback_scan_determinismE0ELb0ELb0ES3_N6thrust23THRUST_200600_302600_NS6detail15normal_iteratorINS9_10device_ptrIiEEEESE_i19const_ref_plus_mod3IiEiEEDaPvRmT3_T4_T5_mT6_P12ihipStream_tbENKUlT_T0_E_clISt17integral_constantIbLb1EESU_EEDaSP_SQ_EUlSP_E_NS1_11comp_targetILNS1_3genE10ELNS1_11target_archE1200ELNS1_3gpuE4ELNS1_3repE0EEENS1_30default_config_static_selectorELNS0_4arch9wavefront6targetE1EEEvT1_: ; @_ZN7rocprim17ROCPRIM_400000_NS6detail17trampoline_kernelINS0_14default_configENS1_20scan_config_selectorIiEEZZNS1_9scan_implILNS1_25lookback_scan_determinismE0ELb0ELb0ES3_N6thrust23THRUST_200600_302600_NS6detail15normal_iteratorINS9_10device_ptrIiEEEESE_i19const_ref_plus_mod3IiEiEEDaPvRmT3_T4_T5_mT6_P12ihipStream_tbENKUlT_T0_E_clISt17integral_constantIbLb1EESU_EEDaSP_SQ_EUlSP_E_NS1_11comp_targetILNS1_3genE10ELNS1_11target_archE1200ELNS1_3gpuE4ELNS1_3repE0EEENS1_30default_config_static_selectorELNS0_4arch9wavefront6targetE1EEEvT1_
; %bb.0:
	.section	.rodata,"a",@progbits
	.p2align	6, 0x0
	.amdhsa_kernel _ZN7rocprim17ROCPRIM_400000_NS6detail17trampoline_kernelINS0_14default_configENS1_20scan_config_selectorIiEEZZNS1_9scan_implILNS1_25lookback_scan_determinismE0ELb0ELb0ES3_N6thrust23THRUST_200600_302600_NS6detail15normal_iteratorINS9_10device_ptrIiEEEESE_i19const_ref_plus_mod3IiEiEEDaPvRmT3_T4_T5_mT6_P12ihipStream_tbENKUlT_T0_E_clISt17integral_constantIbLb1EESU_EEDaSP_SQ_EUlSP_E_NS1_11comp_targetILNS1_3genE10ELNS1_11target_archE1200ELNS1_3gpuE4ELNS1_3repE0EEENS1_30default_config_static_selectorELNS0_4arch9wavefront6targetE1EEEvT1_
		.amdhsa_group_segment_fixed_size 0
		.amdhsa_private_segment_fixed_size 0
		.amdhsa_kernarg_size 104
		.amdhsa_user_sgpr_count 6
		.amdhsa_user_sgpr_private_segment_buffer 1
		.amdhsa_user_sgpr_dispatch_ptr 0
		.amdhsa_user_sgpr_queue_ptr 0
		.amdhsa_user_sgpr_kernarg_segment_ptr 1
		.amdhsa_user_sgpr_dispatch_id 0
		.amdhsa_user_sgpr_flat_scratch_init 0
		.amdhsa_user_sgpr_kernarg_preload_length 0
		.amdhsa_user_sgpr_kernarg_preload_offset 0
		.amdhsa_user_sgpr_private_segment_size 0
		.amdhsa_uses_dynamic_stack 0
		.amdhsa_system_sgpr_private_segment_wavefront_offset 0
		.amdhsa_system_sgpr_workgroup_id_x 1
		.amdhsa_system_sgpr_workgroup_id_y 0
		.amdhsa_system_sgpr_workgroup_id_z 0
		.amdhsa_system_sgpr_workgroup_info 0
		.amdhsa_system_vgpr_workitem_id 0
		.amdhsa_next_free_vgpr 1
		.amdhsa_next_free_sgpr 0
		.amdhsa_accum_offset 4
		.amdhsa_reserve_vcc 0
		.amdhsa_reserve_flat_scratch 0
		.amdhsa_float_round_mode_32 0
		.amdhsa_float_round_mode_16_64 0
		.amdhsa_float_denorm_mode_32 3
		.amdhsa_float_denorm_mode_16_64 3
		.amdhsa_dx10_clamp 1
		.amdhsa_ieee_mode 1
		.amdhsa_fp16_overflow 0
		.amdhsa_tg_split 0
		.amdhsa_exception_fp_ieee_invalid_op 0
		.amdhsa_exception_fp_denorm_src 0
		.amdhsa_exception_fp_ieee_div_zero 0
		.amdhsa_exception_fp_ieee_overflow 0
		.amdhsa_exception_fp_ieee_underflow 0
		.amdhsa_exception_fp_ieee_inexact 0
		.amdhsa_exception_int_div_zero 0
	.end_amdhsa_kernel
	.section	.text._ZN7rocprim17ROCPRIM_400000_NS6detail17trampoline_kernelINS0_14default_configENS1_20scan_config_selectorIiEEZZNS1_9scan_implILNS1_25lookback_scan_determinismE0ELb0ELb0ES3_N6thrust23THRUST_200600_302600_NS6detail15normal_iteratorINS9_10device_ptrIiEEEESE_i19const_ref_plus_mod3IiEiEEDaPvRmT3_T4_T5_mT6_P12ihipStream_tbENKUlT_T0_E_clISt17integral_constantIbLb1EESU_EEDaSP_SQ_EUlSP_E_NS1_11comp_targetILNS1_3genE10ELNS1_11target_archE1200ELNS1_3gpuE4ELNS1_3repE0EEENS1_30default_config_static_selectorELNS0_4arch9wavefront6targetE1EEEvT1_,"axG",@progbits,_ZN7rocprim17ROCPRIM_400000_NS6detail17trampoline_kernelINS0_14default_configENS1_20scan_config_selectorIiEEZZNS1_9scan_implILNS1_25lookback_scan_determinismE0ELb0ELb0ES3_N6thrust23THRUST_200600_302600_NS6detail15normal_iteratorINS9_10device_ptrIiEEEESE_i19const_ref_plus_mod3IiEiEEDaPvRmT3_T4_T5_mT6_P12ihipStream_tbENKUlT_T0_E_clISt17integral_constantIbLb1EESU_EEDaSP_SQ_EUlSP_E_NS1_11comp_targetILNS1_3genE10ELNS1_11target_archE1200ELNS1_3gpuE4ELNS1_3repE0EEENS1_30default_config_static_selectorELNS0_4arch9wavefront6targetE1EEEvT1_,comdat
.Lfunc_end7004:
	.size	_ZN7rocprim17ROCPRIM_400000_NS6detail17trampoline_kernelINS0_14default_configENS1_20scan_config_selectorIiEEZZNS1_9scan_implILNS1_25lookback_scan_determinismE0ELb0ELb0ES3_N6thrust23THRUST_200600_302600_NS6detail15normal_iteratorINS9_10device_ptrIiEEEESE_i19const_ref_plus_mod3IiEiEEDaPvRmT3_T4_T5_mT6_P12ihipStream_tbENKUlT_T0_E_clISt17integral_constantIbLb1EESU_EEDaSP_SQ_EUlSP_E_NS1_11comp_targetILNS1_3genE10ELNS1_11target_archE1200ELNS1_3gpuE4ELNS1_3repE0EEENS1_30default_config_static_selectorELNS0_4arch9wavefront6targetE1EEEvT1_, .Lfunc_end7004-_ZN7rocprim17ROCPRIM_400000_NS6detail17trampoline_kernelINS0_14default_configENS1_20scan_config_selectorIiEEZZNS1_9scan_implILNS1_25lookback_scan_determinismE0ELb0ELb0ES3_N6thrust23THRUST_200600_302600_NS6detail15normal_iteratorINS9_10device_ptrIiEEEESE_i19const_ref_plus_mod3IiEiEEDaPvRmT3_T4_T5_mT6_P12ihipStream_tbENKUlT_T0_E_clISt17integral_constantIbLb1EESU_EEDaSP_SQ_EUlSP_E_NS1_11comp_targetILNS1_3genE10ELNS1_11target_archE1200ELNS1_3gpuE4ELNS1_3repE0EEENS1_30default_config_static_selectorELNS0_4arch9wavefront6targetE1EEEvT1_
                                        ; -- End function
	.section	.AMDGPU.csdata,"",@progbits
; Kernel info:
; codeLenInByte = 0
; NumSgprs: 4
; NumVgprs: 0
; NumAgprs: 0
; TotalNumVgprs: 0
; ScratchSize: 0
; MemoryBound: 0
; FloatMode: 240
; IeeeMode: 1
; LDSByteSize: 0 bytes/workgroup (compile time only)
; SGPRBlocks: 0
; VGPRBlocks: 0
; NumSGPRsForWavesPerEU: 4
; NumVGPRsForWavesPerEU: 1
; AccumOffset: 4
; Occupancy: 8
; WaveLimiterHint : 0
; COMPUTE_PGM_RSRC2:SCRATCH_EN: 0
; COMPUTE_PGM_RSRC2:USER_SGPR: 6
; COMPUTE_PGM_RSRC2:TRAP_HANDLER: 0
; COMPUTE_PGM_RSRC2:TGID_X_EN: 1
; COMPUTE_PGM_RSRC2:TGID_Y_EN: 0
; COMPUTE_PGM_RSRC2:TGID_Z_EN: 0
; COMPUTE_PGM_RSRC2:TIDIG_COMP_CNT: 0
; COMPUTE_PGM_RSRC3_GFX90A:ACCUM_OFFSET: 0
; COMPUTE_PGM_RSRC3_GFX90A:TG_SPLIT: 0
	.section	.text._ZN7rocprim17ROCPRIM_400000_NS6detail17trampoline_kernelINS0_14default_configENS1_20scan_config_selectorIiEEZZNS1_9scan_implILNS1_25lookback_scan_determinismE0ELb0ELb0ES3_N6thrust23THRUST_200600_302600_NS6detail15normal_iteratorINS9_10device_ptrIiEEEESE_i19const_ref_plus_mod3IiEiEEDaPvRmT3_T4_T5_mT6_P12ihipStream_tbENKUlT_T0_E_clISt17integral_constantIbLb1EESU_EEDaSP_SQ_EUlSP_E_NS1_11comp_targetILNS1_3genE9ELNS1_11target_archE1100ELNS1_3gpuE3ELNS1_3repE0EEENS1_30default_config_static_selectorELNS0_4arch9wavefront6targetE1EEEvT1_,"axG",@progbits,_ZN7rocprim17ROCPRIM_400000_NS6detail17trampoline_kernelINS0_14default_configENS1_20scan_config_selectorIiEEZZNS1_9scan_implILNS1_25lookback_scan_determinismE0ELb0ELb0ES3_N6thrust23THRUST_200600_302600_NS6detail15normal_iteratorINS9_10device_ptrIiEEEESE_i19const_ref_plus_mod3IiEiEEDaPvRmT3_T4_T5_mT6_P12ihipStream_tbENKUlT_T0_E_clISt17integral_constantIbLb1EESU_EEDaSP_SQ_EUlSP_E_NS1_11comp_targetILNS1_3genE9ELNS1_11target_archE1100ELNS1_3gpuE3ELNS1_3repE0EEENS1_30default_config_static_selectorELNS0_4arch9wavefront6targetE1EEEvT1_,comdat
	.protected	_ZN7rocprim17ROCPRIM_400000_NS6detail17trampoline_kernelINS0_14default_configENS1_20scan_config_selectorIiEEZZNS1_9scan_implILNS1_25lookback_scan_determinismE0ELb0ELb0ES3_N6thrust23THRUST_200600_302600_NS6detail15normal_iteratorINS9_10device_ptrIiEEEESE_i19const_ref_plus_mod3IiEiEEDaPvRmT3_T4_T5_mT6_P12ihipStream_tbENKUlT_T0_E_clISt17integral_constantIbLb1EESU_EEDaSP_SQ_EUlSP_E_NS1_11comp_targetILNS1_3genE9ELNS1_11target_archE1100ELNS1_3gpuE3ELNS1_3repE0EEENS1_30default_config_static_selectorELNS0_4arch9wavefront6targetE1EEEvT1_ ; -- Begin function _ZN7rocprim17ROCPRIM_400000_NS6detail17trampoline_kernelINS0_14default_configENS1_20scan_config_selectorIiEEZZNS1_9scan_implILNS1_25lookback_scan_determinismE0ELb0ELb0ES3_N6thrust23THRUST_200600_302600_NS6detail15normal_iteratorINS9_10device_ptrIiEEEESE_i19const_ref_plus_mod3IiEiEEDaPvRmT3_T4_T5_mT6_P12ihipStream_tbENKUlT_T0_E_clISt17integral_constantIbLb1EESU_EEDaSP_SQ_EUlSP_E_NS1_11comp_targetILNS1_3genE9ELNS1_11target_archE1100ELNS1_3gpuE3ELNS1_3repE0EEENS1_30default_config_static_selectorELNS0_4arch9wavefront6targetE1EEEvT1_
	.globl	_ZN7rocprim17ROCPRIM_400000_NS6detail17trampoline_kernelINS0_14default_configENS1_20scan_config_selectorIiEEZZNS1_9scan_implILNS1_25lookback_scan_determinismE0ELb0ELb0ES3_N6thrust23THRUST_200600_302600_NS6detail15normal_iteratorINS9_10device_ptrIiEEEESE_i19const_ref_plus_mod3IiEiEEDaPvRmT3_T4_T5_mT6_P12ihipStream_tbENKUlT_T0_E_clISt17integral_constantIbLb1EESU_EEDaSP_SQ_EUlSP_E_NS1_11comp_targetILNS1_3genE9ELNS1_11target_archE1100ELNS1_3gpuE3ELNS1_3repE0EEENS1_30default_config_static_selectorELNS0_4arch9wavefront6targetE1EEEvT1_
	.p2align	8
	.type	_ZN7rocprim17ROCPRIM_400000_NS6detail17trampoline_kernelINS0_14default_configENS1_20scan_config_selectorIiEEZZNS1_9scan_implILNS1_25lookback_scan_determinismE0ELb0ELb0ES3_N6thrust23THRUST_200600_302600_NS6detail15normal_iteratorINS9_10device_ptrIiEEEESE_i19const_ref_plus_mod3IiEiEEDaPvRmT3_T4_T5_mT6_P12ihipStream_tbENKUlT_T0_E_clISt17integral_constantIbLb1EESU_EEDaSP_SQ_EUlSP_E_NS1_11comp_targetILNS1_3genE9ELNS1_11target_archE1100ELNS1_3gpuE3ELNS1_3repE0EEENS1_30default_config_static_selectorELNS0_4arch9wavefront6targetE1EEEvT1_,@function
_ZN7rocprim17ROCPRIM_400000_NS6detail17trampoline_kernelINS0_14default_configENS1_20scan_config_selectorIiEEZZNS1_9scan_implILNS1_25lookback_scan_determinismE0ELb0ELb0ES3_N6thrust23THRUST_200600_302600_NS6detail15normal_iteratorINS9_10device_ptrIiEEEESE_i19const_ref_plus_mod3IiEiEEDaPvRmT3_T4_T5_mT6_P12ihipStream_tbENKUlT_T0_E_clISt17integral_constantIbLb1EESU_EEDaSP_SQ_EUlSP_E_NS1_11comp_targetILNS1_3genE9ELNS1_11target_archE1100ELNS1_3gpuE3ELNS1_3repE0EEENS1_30default_config_static_selectorELNS0_4arch9wavefront6targetE1EEEvT1_: ; @_ZN7rocprim17ROCPRIM_400000_NS6detail17trampoline_kernelINS0_14default_configENS1_20scan_config_selectorIiEEZZNS1_9scan_implILNS1_25lookback_scan_determinismE0ELb0ELb0ES3_N6thrust23THRUST_200600_302600_NS6detail15normal_iteratorINS9_10device_ptrIiEEEESE_i19const_ref_plus_mod3IiEiEEDaPvRmT3_T4_T5_mT6_P12ihipStream_tbENKUlT_T0_E_clISt17integral_constantIbLb1EESU_EEDaSP_SQ_EUlSP_E_NS1_11comp_targetILNS1_3genE9ELNS1_11target_archE1100ELNS1_3gpuE3ELNS1_3repE0EEENS1_30default_config_static_selectorELNS0_4arch9wavefront6targetE1EEEvT1_
; %bb.0:
	.section	.rodata,"a",@progbits
	.p2align	6, 0x0
	.amdhsa_kernel _ZN7rocprim17ROCPRIM_400000_NS6detail17trampoline_kernelINS0_14default_configENS1_20scan_config_selectorIiEEZZNS1_9scan_implILNS1_25lookback_scan_determinismE0ELb0ELb0ES3_N6thrust23THRUST_200600_302600_NS6detail15normal_iteratorINS9_10device_ptrIiEEEESE_i19const_ref_plus_mod3IiEiEEDaPvRmT3_T4_T5_mT6_P12ihipStream_tbENKUlT_T0_E_clISt17integral_constantIbLb1EESU_EEDaSP_SQ_EUlSP_E_NS1_11comp_targetILNS1_3genE9ELNS1_11target_archE1100ELNS1_3gpuE3ELNS1_3repE0EEENS1_30default_config_static_selectorELNS0_4arch9wavefront6targetE1EEEvT1_
		.amdhsa_group_segment_fixed_size 0
		.amdhsa_private_segment_fixed_size 0
		.amdhsa_kernarg_size 104
		.amdhsa_user_sgpr_count 6
		.amdhsa_user_sgpr_private_segment_buffer 1
		.amdhsa_user_sgpr_dispatch_ptr 0
		.amdhsa_user_sgpr_queue_ptr 0
		.amdhsa_user_sgpr_kernarg_segment_ptr 1
		.amdhsa_user_sgpr_dispatch_id 0
		.amdhsa_user_sgpr_flat_scratch_init 0
		.amdhsa_user_sgpr_kernarg_preload_length 0
		.amdhsa_user_sgpr_kernarg_preload_offset 0
		.amdhsa_user_sgpr_private_segment_size 0
		.amdhsa_uses_dynamic_stack 0
		.amdhsa_system_sgpr_private_segment_wavefront_offset 0
		.amdhsa_system_sgpr_workgroup_id_x 1
		.amdhsa_system_sgpr_workgroup_id_y 0
		.amdhsa_system_sgpr_workgroup_id_z 0
		.amdhsa_system_sgpr_workgroup_info 0
		.amdhsa_system_vgpr_workitem_id 0
		.amdhsa_next_free_vgpr 1
		.amdhsa_next_free_sgpr 0
		.amdhsa_accum_offset 4
		.amdhsa_reserve_vcc 0
		.amdhsa_reserve_flat_scratch 0
		.amdhsa_float_round_mode_32 0
		.amdhsa_float_round_mode_16_64 0
		.amdhsa_float_denorm_mode_32 3
		.amdhsa_float_denorm_mode_16_64 3
		.amdhsa_dx10_clamp 1
		.amdhsa_ieee_mode 1
		.amdhsa_fp16_overflow 0
		.amdhsa_tg_split 0
		.amdhsa_exception_fp_ieee_invalid_op 0
		.amdhsa_exception_fp_denorm_src 0
		.amdhsa_exception_fp_ieee_div_zero 0
		.amdhsa_exception_fp_ieee_overflow 0
		.amdhsa_exception_fp_ieee_underflow 0
		.amdhsa_exception_fp_ieee_inexact 0
		.amdhsa_exception_int_div_zero 0
	.end_amdhsa_kernel
	.section	.text._ZN7rocprim17ROCPRIM_400000_NS6detail17trampoline_kernelINS0_14default_configENS1_20scan_config_selectorIiEEZZNS1_9scan_implILNS1_25lookback_scan_determinismE0ELb0ELb0ES3_N6thrust23THRUST_200600_302600_NS6detail15normal_iteratorINS9_10device_ptrIiEEEESE_i19const_ref_plus_mod3IiEiEEDaPvRmT3_T4_T5_mT6_P12ihipStream_tbENKUlT_T0_E_clISt17integral_constantIbLb1EESU_EEDaSP_SQ_EUlSP_E_NS1_11comp_targetILNS1_3genE9ELNS1_11target_archE1100ELNS1_3gpuE3ELNS1_3repE0EEENS1_30default_config_static_selectorELNS0_4arch9wavefront6targetE1EEEvT1_,"axG",@progbits,_ZN7rocprim17ROCPRIM_400000_NS6detail17trampoline_kernelINS0_14default_configENS1_20scan_config_selectorIiEEZZNS1_9scan_implILNS1_25lookback_scan_determinismE0ELb0ELb0ES3_N6thrust23THRUST_200600_302600_NS6detail15normal_iteratorINS9_10device_ptrIiEEEESE_i19const_ref_plus_mod3IiEiEEDaPvRmT3_T4_T5_mT6_P12ihipStream_tbENKUlT_T0_E_clISt17integral_constantIbLb1EESU_EEDaSP_SQ_EUlSP_E_NS1_11comp_targetILNS1_3genE9ELNS1_11target_archE1100ELNS1_3gpuE3ELNS1_3repE0EEENS1_30default_config_static_selectorELNS0_4arch9wavefront6targetE1EEEvT1_,comdat
.Lfunc_end7005:
	.size	_ZN7rocprim17ROCPRIM_400000_NS6detail17trampoline_kernelINS0_14default_configENS1_20scan_config_selectorIiEEZZNS1_9scan_implILNS1_25lookback_scan_determinismE0ELb0ELb0ES3_N6thrust23THRUST_200600_302600_NS6detail15normal_iteratorINS9_10device_ptrIiEEEESE_i19const_ref_plus_mod3IiEiEEDaPvRmT3_T4_T5_mT6_P12ihipStream_tbENKUlT_T0_E_clISt17integral_constantIbLb1EESU_EEDaSP_SQ_EUlSP_E_NS1_11comp_targetILNS1_3genE9ELNS1_11target_archE1100ELNS1_3gpuE3ELNS1_3repE0EEENS1_30default_config_static_selectorELNS0_4arch9wavefront6targetE1EEEvT1_, .Lfunc_end7005-_ZN7rocprim17ROCPRIM_400000_NS6detail17trampoline_kernelINS0_14default_configENS1_20scan_config_selectorIiEEZZNS1_9scan_implILNS1_25lookback_scan_determinismE0ELb0ELb0ES3_N6thrust23THRUST_200600_302600_NS6detail15normal_iteratorINS9_10device_ptrIiEEEESE_i19const_ref_plus_mod3IiEiEEDaPvRmT3_T4_T5_mT6_P12ihipStream_tbENKUlT_T0_E_clISt17integral_constantIbLb1EESU_EEDaSP_SQ_EUlSP_E_NS1_11comp_targetILNS1_3genE9ELNS1_11target_archE1100ELNS1_3gpuE3ELNS1_3repE0EEENS1_30default_config_static_selectorELNS0_4arch9wavefront6targetE1EEEvT1_
                                        ; -- End function
	.section	.AMDGPU.csdata,"",@progbits
; Kernel info:
; codeLenInByte = 0
; NumSgprs: 4
; NumVgprs: 0
; NumAgprs: 0
; TotalNumVgprs: 0
; ScratchSize: 0
; MemoryBound: 0
; FloatMode: 240
; IeeeMode: 1
; LDSByteSize: 0 bytes/workgroup (compile time only)
; SGPRBlocks: 0
; VGPRBlocks: 0
; NumSGPRsForWavesPerEU: 4
; NumVGPRsForWavesPerEU: 1
; AccumOffset: 4
; Occupancy: 8
; WaveLimiterHint : 0
; COMPUTE_PGM_RSRC2:SCRATCH_EN: 0
; COMPUTE_PGM_RSRC2:USER_SGPR: 6
; COMPUTE_PGM_RSRC2:TRAP_HANDLER: 0
; COMPUTE_PGM_RSRC2:TGID_X_EN: 1
; COMPUTE_PGM_RSRC2:TGID_Y_EN: 0
; COMPUTE_PGM_RSRC2:TGID_Z_EN: 0
; COMPUTE_PGM_RSRC2:TIDIG_COMP_CNT: 0
; COMPUTE_PGM_RSRC3_GFX90A:ACCUM_OFFSET: 0
; COMPUTE_PGM_RSRC3_GFX90A:TG_SPLIT: 0
	.section	.text._ZN7rocprim17ROCPRIM_400000_NS6detail17trampoline_kernelINS0_14default_configENS1_20scan_config_selectorIiEEZZNS1_9scan_implILNS1_25lookback_scan_determinismE0ELb0ELb0ES3_N6thrust23THRUST_200600_302600_NS6detail15normal_iteratorINS9_10device_ptrIiEEEESE_i19const_ref_plus_mod3IiEiEEDaPvRmT3_T4_T5_mT6_P12ihipStream_tbENKUlT_T0_E_clISt17integral_constantIbLb1EESU_EEDaSP_SQ_EUlSP_E_NS1_11comp_targetILNS1_3genE8ELNS1_11target_archE1030ELNS1_3gpuE2ELNS1_3repE0EEENS1_30default_config_static_selectorELNS0_4arch9wavefront6targetE1EEEvT1_,"axG",@progbits,_ZN7rocprim17ROCPRIM_400000_NS6detail17trampoline_kernelINS0_14default_configENS1_20scan_config_selectorIiEEZZNS1_9scan_implILNS1_25lookback_scan_determinismE0ELb0ELb0ES3_N6thrust23THRUST_200600_302600_NS6detail15normal_iteratorINS9_10device_ptrIiEEEESE_i19const_ref_plus_mod3IiEiEEDaPvRmT3_T4_T5_mT6_P12ihipStream_tbENKUlT_T0_E_clISt17integral_constantIbLb1EESU_EEDaSP_SQ_EUlSP_E_NS1_11comp_targetILNS1_3genE8ELNS1_11target_archE1030ELNS1_3gpuE2ELNS1_3repE0EEENS1_30default_config_static_selectorELNS0_4arch9wavefront6targetE1EEEvT1_,comdat
	.protected	_ZN7rocprim17ROCPRIM_400000_NS6detail17trampoline_kernelINS0_14default_configENS1_20scan_config_selectorIiEEZZNS1_9scan_implILNS1_25lookback_scan_determinismE0ELb0ELb0ES3_N6thrust23THRUST_200600_302600_NS6detail15normal_iteratorINS9_10device_ptrIiEEEESE_i19const_ref_plus_mod3IiEiEEDaPvRmT3_T4_T5_mT6_P12ihipStream_tbENKUlT_T0_E_clISt17integral_constantIbLb1EESU_EEDaSP_SQ_EUlSP_E_NS1_11comp_targetILNS1_3genE8ELNS1_11target_archE1030ELNS1_3gpuE2ELNS1_3repE0EEENS1_30default_config_static_selectorELNS0_4arch9wavefront6targetE1EEEvT1_ ; -- Begin function _ZN7rocprim17ROCPRIM_400000_NS6detail17trampoline_kernelINS0_14default_configENS1_20scan_config_selectorIiEEZZNS1_9scan_implILNS1_25lookback_scan_determinismE0ELb0ELb0ES3_N6thrust23THRUST_200600_302600_NS6detail15normal_iteratorINS9_10device_ptrIiEEEESE_i19const_ref_plus_mod3IiEiEEDaPvRmT3_T4_T5_mT6_P12ihipStream_tbENKUlT_T0_E_clISt17integral_constantIbLb1EESU_EEDaSP_SQ_EUlSP_E_NS1_11comp_targetILNS1_3genE8ELNS1_11target_archE1030ELNS1_3gpuE2ELNS1_3repE0EEENS1_30default_config_static_selectorELNS0_4arch9wavefront6targetE1EEEvT1_
	.globl	_ZN7rocprim17ROCPRIM_400000_NS6detail17trampoline_kernelINS0_14default_configENS1_20scan_config_selectorIiEEZZNS1_9scan_implILNS1_25lookback_scan_determinismE0ELb0ELb0ES3_N6thrust23THRUST_200600_302600_NS6detail15normal_iteratorINS9_10device_ptrIiEEEESE_i19const_ref_plus_mod3IiEiEEDaPvRmT3_T4_T5_mT6_P12ihipStream_tbENKUlT_T0_E_clISt17integral_constantIbLb1EESU_EEDaSP_SQ_EUlSP_E_NS1_11comp_targetILNS1_3genE8ELNS1_11target_archE1030ELNS1_3gpuE2ELNS1_3repE0EEENS1_30default_config_static_selectorELNS0_4arch9wavefront6targetE1EEEvT1_
	.p2align	8
	.type	_ZN7rocprim17ROCPRIM_400000_NS6detail17trampoline_kernelINS0_14default_configENS1_20scan_config_selectorIiEEZZNS1_9scan_implILNS1_25lookback_scan_determinismE0ELb0ELb0ES3_N6thrust23THRUST_200600_302600_NS6detail15normal_iteratorINS9_10device_ptrIiEEEESE_i19const_ref_plus_mod3IiEiEEDaPvRmT3_T4_T5_mT6_P12ihipStream_tbENKUlT_T0_E_clISt17integral_constantIbLb1EESU_EEDaSP_SQ_EUlSP_E_NS1_11comp_targetILNS1_3genE8ELNS1_11target_archE1030ELNS1_3gpuE2ELNS1_3repE0EEENS1_30default_config_static_selectorELNS0_4arch9wavefront6targetE1EEEvT1_,@function
_ZN7rocprim17ROCPRIM_400000_NS6detail17trampoline_kernelINS0_14default_configENS1_20scan_config_selectorIiEEZZNS1_9scan_implILNS1_25lookback_scan_determinismE0ELb0ELb0ES3_N6thrust23THRUST_200600_302600_NS6detail15normal_iteratorINS9_10device_ptrIiEEEESE_i19const_ref_plus_mod3IiEiEEDaPvRmT3_T4_T5_mT6_P12ihipStream_tbENKUlT_T0_E_clISt17integral_constantIbLb1EESU_EEDaSP_SQ_EUlSP_E_NS1_11comp_targetILNS1_3genE8ELNS1_11target_archE1030ELNS1_3gpuE2ELNS1_3repE0EEENS1_30default_config_static_selectorELNS0_4arch9wavefront6targetE1EEEvT1_: ; @_ZN7rocprim17ROCPRIM_400000_NS6detail17trampoline_kernelINS0_14default_configENS1_20scan_config_selectorIiEEZZNS1_9scan_implILNS1_25lookback_scan_determinismE0ELb0ELb0ES3_N6thrust23THRUST_200600_302600_NS6detail15normal_iteratorINS9_10device_ptrIiEEEESE_i19const_ref_plus_mod3IiEiEEDaPvRmT3_T4_T5_mT6_P12ihipStream_tbENKUlT_T0_E_clISt17integral_constantIbLb1EESU_EEDaSP_SQ_EUlSP_E_NS1_11comp_targetILNS1_3genE8ELNS1_11target_archE1030ELNS1_3gpuE2ELNS1_3repE0EEENS1_30default_config_static_selectorELNS0_4arch9wavefront6targetE1EEEvT1_
; %bb.0:
	.section	.rodata,"a",@progbits
	.p2align	6, 0x0
	.amdhsa_kernel _ZN7rocprim17ROCPRIM_400000_NS6detail17trampoline_kernelINS0_14default_configENS1_20scan_config_selectorIiEEZZNS1_9scan_implILNS1_25lookback_scan_determinismE0ELb0ELb0ES3_N6thrust23THRUST_200600_302600_NS6detail15normal_iteratorINS9_10device_ptrIiEEEESE_i19const_ref_plus_mod3IiEiEEDaPvRmT3_T4_T5_mT6_P12ihipStream_tbENKUlT_T0_E_clISt17integral_constantIbLb1EESU_EEDaSP_SQ_EUlSP_E_NS1_11comp_targetILNS1_3genE8ELNS1_11target_archE1030ELNS1_3gpuE2ELNS1_3repE0EEENS1_30default_config_static_selectorELNS0_4arch9wavefront6targetE1EEEvT1_
		.amdhsa_group_segment_fixed_size 0
		.amdhsa_private_segment_fixed_size 0
		.amdhsa_kernarg_size 104
		.amdhsa_user_sgpr_count 6
		.amdhsa_user_sgpr_private_segment_buffer 1
		.amdhsa_user_sgpr_dispatch_ptr 0
		.amdhsa_user_sgpr_queue_ptr 0
		.amdhsa_user_sgpr_kernarg_segment_ptr 1
		.amdhsa_user_sgpr_dispatch_id 0
		.amdhsa_user_sgpr_flat_scratch_init 0
		.amdhsa_user_sgpr_kernarg_preload_length 0
		.amdhsa_user_sgpr_kernarg_preload_offset 0
		.amdhsa_user_sgpr_private_segment_size 0
		.amdhsa_uses_dynamic_stack 0
		.amdhsa_system_sgpr_private_segment_wavefront_offset 0
		.amdhsa_system_sgpr_workgroup_id_x 1
		.amdhsa_system_sgpr_workgroup_id_y 0
		.amdhsa_system_sgpr_workgroup_id_z 0
		.amdhsa_system_sgpr_workgroup_info 0
		.amdhsa_system_vgpr_workitem_id 0
		.amdhsa_next_free_vgpr 1
		.amdhsa_next_free_sgpr 0
		.amdhsa_accum_offset 4
		.amdhsa_reserve_vcc 0
		.amdhsa_reserve_flat_scratch 0
		.amdhsa_float_round_mode_32 0
		.amdhsa_float_round_mode_16_64 0
		.amdhsa_float_denorm_mode_32 3
		.amdhsa_float_denorm_mode_16_64 3
		.amdhsa_dx10_clamp 1
		.amdhsa_ieee_mode 1
		.amdhsa_fp16_overflow 0
		.amdhsa_tg_split 0
		.amdhsa_exception_fp_ieee_invalid_op 0
		.amdhsa_exception_fp_denorm_src 0
		.amdhsa_exception_fp_ieee_div_zero 0
		.amdhsa_exception_fp_ieee_overflow 0
		.amdhsa_exception_fp_ieee_underflow 0
		.amdhsa_exception_fp_ieee_inexact 0
		.amdhsa_exception_int_div_zero 0
	.end_amdhsa_kernel
	.section	.text._ZN7rocprim17ROCPRIM_400000_NS6detail17trampoline_kernelINS0_14default_configENS1_20scan_config_selectorIiEEZZNS1_9scan_implILNS1_25lookback_scan_determinismE0ELb0ELb0ES3_N6thrust23THRUST_200600_302600_NS6detail15normal_iteratorINS9_10device_ptrIiEEEESE_i19const_ref_plus_mod3IiEiEEDaPvRmT3_T4_T5_mT6_P12ihipStream_tbENKUlT_T0_E_clISt17integral_constantIbLb1EESU_EEDaSP_SQ_EUlSP_E_NS1_11comp_targetILNS1_3genE8ELNS1_11target_archE1030ELNS1_3gpuE2ELNS1_3repE0EEENS1_30default_config_static_selectorELNS0_4arch9wavefront6targetE1EEEvT1_,"axG",@progbits,_ZN7rocprim17ROCPRIM_400000_NS6detail17trampoline_kernelINS0_14default_configENS1_20scan_config_selectorIiEEZZNS1_9scan_implILNS1_25lookback_scan_determinismE0ELb0ELb0ES3_N6thrust23THRUST_200600_302600_NS6detail15normal_iteratorINS9_10device_ptrIiEEEESE_i19const_ref_plus_mod3IiEiEEDaPvRmT3_T4_T5_mT6_P12ihipStream_tbENKUlT_T0_E_clISt17integral_constantIbLb1EESU_EEDaSP_SQ_EUlSP_E_NS1_11comp_targetILNS1_3genE8ELNS1_11target_archE1030ELNS1_3gpuE2ELNS1_3repE0EEENS1_30default_config_static_selectorELNS0_4arch9wavefront6targetE1EEEvT1_,comdat
.Lfunc_end7006:
	.size	_ZN7rocprim17ROCPRIM_400000_NS6detail17trampoline_kernelINS0_14default_configENS1_20scan_config_selectorIiEEZZNS1_9scan_implILNS1_25lookback_scan_determinismE0ELb0ELb0ES3_N6thrust23THRUST_200600_302600_NS6detail15normal_iteratorINS9_10device_ptrIiEEEESE_i19const_ref_plus_mod3IiEiEEDaPvRmT3_T4_T5_mT6_P12ihipStream_tbENKUlT_T0_E_clISt17integral_constantIbLb1EESU_EEDaSP_SQ_EUlSP_E_NS1_11comp_targetILNS1_3genE8ELNS1_11target_archE1030ELNS1_3gpuE2ELNS1_3repE0EEENS1_30default_config_static_selectorELNS0_4arch9wavefront6targetE1EEEvT1_, .Lfunc_end7006-_ZN7rocprim17ROCPRIM_400000_NS6detail17trampoline_kernelINS0_14default_configENS1_20scan_config_selectorIiEEZZNS1_9scan_implILNS1_25lookback_scan_determinismE0ELb0ELb0ES3_N6thrust23THRUST_200600_302600_NS6detail15normal_iteratorINS9_10device_ptrIiEEEESE_i19const_ref_plus_mod3IiEiEEDaPvRmT3_T4_T5_mT6_P12ihipStream_tbENKUlT_T0_E_clISt17integral_constantIbLb1EESU_EEDaSP_SQ_EUlSP_E_NS1_11comp_targetILNS1_3genE8ELNS1_11target_archE1030ELNS1_3gpuE2ELNS1_3repE0EEENS1_30default_config_static_selectorELNS0_4arch9wavefront6targetE1EEEvT1_
                                        ; -- End function
	.section	.AMDGPU.csdata,"",@progbits
; Kernel info:
; codeLenInByte = 0
; NumSgprs: 4
; NumVgprs: 0
; NumAgprs: 0
; TotalNumVgprs: 0
; ScratchSize: 0
; MemoryBound: 0
; FloatMode: 240
; IeeeMode: 1
; LDSByteSize: 0 bytes/workgroup (compile time only)
; SGPRBlocks: 0
; VGPRBlocks: 0
; NumSGPRsForWavesPerEU: 4
; NumVGPRsForWavesPerEU: 1
; AccumOffset: 4
; Occupancy: 8
; WaveLimiterHint : 0
; COMPUTE_PGM_RSRC2:SCRATCH_EN: 0
; COMPUTE_PGM_RSRC2:USER_SGPR: 6
; COMPUTE_PGM_RSRC2:TRAP_HANDLER: 0
; COMPUTE_PGM_RSRC2:TGID_X_EN: 1
; COMPUTE_PGM_RSRC2:TGID_Y_EN: 0
; COMPUTE_PGM_RSRC2:TGID_Z_EN: 0
; COMPUTE_PGM_RSRC2:TIDIG_COMP_CNT: 0
; COMPUTE_PGM_RSRC3_GFX90A:ACCUM_OFFSET: 0
; COMPUTE_PGM_RSRC3_GFX90A:TG_SPLIT: 0
	.section	.text._ZN7rocprim17ROCPRIM_400000_NS6detail17trampoline_kernelINS0_14default_configENS1_20scan_config_selectorIiEEZZNS1_9scan_implILNS1_25lookback_scan_determinismE0ELb0ELb0ES3_N6thrust23THRUST_200600_302600_NS6detail15normal_iteratorINS9_10device_ptrIiEEEESE_i19const_ref_plus_mod3IiEiEEDaPvRmT3_T4_T5_mT6_P12ihipStream_tbENKUlT_T0_E_clISt17integral_constantIbLb1EESU_EEDaSP_SQ_EUlSP_E0_NS1_11comp_targetILNS1_3genE0ELNS1_11target_archE4294967295ELNS1_3gpuE0ELNS1_3repE0EEENS1_30default_config_static_selectorELNS0_4arch9wavefront6targetE1EEEvT1_,"axG",@progbits,_ZN7rocprim17ROCPRIM_400000_NS6detail17trampoline_kernelINS0_14default_configENS1_20scan_config_selectorIiEEZZNS1_9scan_implILNS1_25lookback_scan_determinismE0ELb0ELb0ES3_N6thrust23THRUST_200600_302600_NS6detail15normal_iteratorINS9_10device_ptrIiEEEESE_i19const_ref_plus_mod3IiEiEEDaPvRmT3_T4_T5_mT6_P12ihipStream_tbENKUlT_T0_E_clISt17integral_constantIbLb1EESU_EEDaSP_SQ_EUlSP_E0_NS1_11comp_targetILNS1_3genE0ELNS1_11target_archE4294967295ELNS1_3gpuE0ELNS1_3repE0EEENS1_30default_config_static_selectorELNS0_4arch9wavefront6targetE1EEEvT1_,comdat
	.protected	_ZN7rocprim17ROCPRIM_400000_NS6detail17trampoline_kernelINS0_14default_configENS1_20scan_config_selectorIiEEZZNS1_9scan_implILNS1_25lookback_scan_determinismE0ELb0ELb0ES3_N6thrust23THRUST_200600_302600_NS6detail15normal_iteratorINS9_10device_ptrIiEEEESE_i19const_ref_plus_mod3IiEiEEDaPvRmT3_T4_T5_mT6_P12ihipStream_tbENKUlT_T0_E_clISt17integral_constantIbLb1EESU_EEDaSP_SQ_EUlSP_E0_NS1_11comp_targetILNS1_3genE0ELNS1_11target_archE4294967295ELNS1_3gpuE0ELNS1_3repE0EEENS1_30default_config_static_selectorELNS0_4arch9wavefront6targetE1EEEvT1_ ; -- Begin function _ZN7rocprim17ROCPRIM_400000_NS6detail17trampoline_kernelINS0_14default_configENS1_20scan_config_selectorIiEEZZNS1_9scan_implILNS1_25lookback_scan_determinismE0ELb0ELb0ES3_N6thrust23THRUST_200600_302600_NS6detail15normal_iteratorINS9_10device_ptrIiEEEESE_i19const_ref_plus_mod3IiEiEEDaPvRmT3_T4_T5_mT6_P12ihipStream_tbENKUlT_T0_E_clISt17integral_constantIbLb1EESU_EEDaSP_SQ_EUlSP_E0_NS1_11comp_targetILNS1_3genE0ELNS1_11target_archE4294967295ELNS1_3gpuE0ELNS1_3repE0EEENS1_30default_config_static_selectorELNS0_4arch9wavefront6targetE1EEEvT1_
	.globl	_ZN7rocprim17ROCPRIM_400000_NS6detail17trampoline_kernelINS0_14default_configENS1_20scan_config_selectorIiEEZZNS1_9scan_implILNS1_25lookback_scan_determinismE0ELb0ELb0ES3_N6thrust23THRUST_200600_302600_NS6detail15normal_iteratorINS9_10device_ptrIiEEEESE_i19const_ref_plus_mod3IiEiEEDaPvRmT3_T4_T5_mT6_P12ihipStream_tbENKUlT_T0_E_clISt17integral_constantIbLb1EESU_EEDaSP_SQ_EUlSP_E0_NS1_11comp_targetILNS1_3genE0ELNS1_11target_archE4294967295ELNS1_3gpuE0ELNS1_3repE0EEENS1_30default_config_static_selectorELNS0_4arch9wavefront6targetE1EEEvT1_
	.p2align	8
	.type	_ZN7rocprim17ROCPRIM_400000_NS6detail17trampoline_kernelINS0_14default_configENS1_20scan_config_selectorIiEEZZNS1_9scan_implILNS1_25lookback_scan_determinismE0ELb0ELb0ES3_N6thrust23THRUST_200600_302600_NS6detail15normal_iteratorINS9_10device_ptrIiEEEESE_i19const_ref_plus_mod3IiEiEEDaPvRmT3_T4_T5_mT6_P12ihipStream_tbENKUlT_T0_E_clISt17integral_constantIbLb1EESU_EEDaSP_SQ_EUlSP_E0_NS1_11comp_targetILNS1_3genE0ELNS1_11target_archE4294967295ELNS1_3gpuE0ELNS1_3repE0EEENS1_30default_config_static_selectorELNS0_4arch9wavefront6targetE1EEEvT1_,@function
_ZN7rocprim17ROCPRIM_400000_NS6detail17trampoline_kernelINS0_14default_configENS1_20scan_config_selectorIiEEZZNS1_9scan_implILNS1_25lookback_scan_determinismE0ELb0ELb0ES3_N6thrust23THRUST_200600_302600_NS6detail15normal_iteratorINS9_10device_ptrIiEEEESE_i19const_ref_plus_mod3IiEiEEDaPvRmT3_T4_T5_mT6_P12ihipStream_tbENKUlT_T0_E_clISt17integral_constantIbLb1EESU_EEDaSP_SQ_EUlSP_E0_NS1_11comp_targetILNS1_3genE0ELNS1_11target_archE4294967295ELNS1_3gpuE0ELNS1_3repE0EEENS1_30default_config_static_selectorELNS0_4arch9wavefront6targetE1EEEvT1_: ; @_ZN7rocprim17ROCPRIM_400000_NS6detail17trampoline_kernelINS0_14default_configENS1_20scan_config_selectorIiEEZZNS1_9scan_implILNS1_25lookback_scan_determinismE0ELb0ELb0ES3_N6thrust23THRUST_200600_302600_NS6detail15normal_iteratorINS9_10device_ptrIiEEEESE_i19const_ref_plus_mod3IiEiEEDaPvRmT3_T4_T5_mT6_P12ihipStream_tbENKUlT_T0_E_clISt17integral_constantIbLb1EESU_EEDaSP_SQ_EUlSP_E0_NS1_11comp_targetILNS1_3genE0ELNS1_11target_archE4294967295ELNS1_3gpuE0ELNS1_3repE0EEENS1_30default_config_static_selectorELNS0_4arch9wavefront6targetE1EEEvT1_
; %bb.0:
	.section	.rodata,"a",@progbits
	.p2align	6, 0x0
	.amdhsa_kernel _ZN7rocprim17ROCPRIM_400000_NS6detail17trampoline_kernelINS0_14default_configENS1_20scan_config_selectorIiEEZZNS1_9scan_implILNS1_25lookback_scan_determinismE0ELb0ELb0ES3_N6thrust23THRUST_200600_302600_NS6detail15normal_iteratorINS9_10device_ptrIiEEEESE_i19const_ref_plus_mod3IiEiEEDaPvRmT3_T4_T5_mT6_P12ihipStream_tbENKUlT_T0_E_clISt17integral_constantIbLb1EESU_EEDaSP_SQ_EUlSP_E0_NS1_11comp_targetILNS1_3genE0ELNS1_11target_archE4294967295ELNS1_3gpuE0ELNS1_3repE0EEENS1_30default_config_static_selectorELNS0_4arch9wavefront6targetE1EEEvT1_
		.amdhsa_group_segment_fixed_size 0
		.amdhsa_private_segment_fixed_size 0
		.amdhsa_kernarg_size 40
		.amdhsa_user_sgpr_count 6
		.amdhsa_user_sgpr_private_segment_buffer 1
		.amdhsa_user_sgpr_dispatch_ptr 0
		.amdhsa_user_sgpr_queue_ptr 0
		.amdhsa_user_sgpr_kernarg_segment_ptr 1
		.amdhsa_user_sgpr_dispatch_id 0
		.amdhsa_user_sgpr_flat_scratch_init 0
		.amdhsa_user_sgpr_kernarg_preload_length 0
		.amdhsa_user_sgpr_kernarg_preload_offset 0
		.amdhsa_user_sgpr_private_segment_size 0
		.amdhsa_uses_dynamic_stack 0
		.amdhsa_system_sgpr_private_segment_wavefront_offset 0
		.amdhsa_system_sgpr_workgroup_id_x 1
		.amdhsa_system_sgpr_workgroup_id_y 0
		.amdhsa_system_sgpr_workgroup_id_z 0
		.amdhsa_system_sgpr_workgroup_info 0
		.amdhsa_system_vgpr_workitem_id 0
		.amdhsa_next_free_vgpr 1
		.amdhsa_next_free_sgpr 0
		.amdhsa_accum_offset 4
		.amdhsa_reserve_vcc 0
		.amdhsa_reserve_flat_scratch 0
		.amdhsa_float_round_mode_32 0
		.amdhsa_float_round_mode_16_64 0
		.amdhsa_float_denorm_mode_32 3
		.amdhsa_float_denorm_mode_16_64 3
		.amdhsa_dx10_clamp 1
		.amdhsa_ieee_mode 1
		.amdhsa_fp16_overflow 0
		.amdhsa_tg_split 0
		.amdhsa_exception_fp_ieee_invalid_op 0
		.amdhsa_exception_fp_denorm_src 0
		.amdhsa_exception_fp_ieee_div_zero 0
		.amdhsa_exception_fp_ieee_overflow 0
		.amdhsa_exception_fp_ieee_underflow 0
		.amdhsa_exception_fp_ieee_inexact 0
		.amdhsa_exception_int_div_zero 0
	.end_amdhsa_kernel
	.section	.text._ZN7rocprim17ROCPRIM_400000_NS6detail17trampoline_kernelINS0_14default_configENS1_20scan_config_selectorIiEEZZNS1_9scan_implILNS1_25lookback_scan_determinismE0ELb0ELb0ES3_N6thrust23THRUST_200600_302600_NS6detail15normal_iteratorINS9_10device_ptrIiEEEESE_i19const_ref_plus_mod3IiEiEEDaPvRmT3_T4_T5_mT6_P12ihipStream_tbENKUlT_T0_E_clISt17integral_constantIbLb1EESU_EEDaSP_SQ_EUlSP_E0_NS1_11comp_targetILNS1_3genE0ELNS1_11target_archE4294967295ELNS1_3gpuE0ELNS1_3repE0EEENS1_30default_config_static_selectorELNS0_4arch9wavefront6targetE1EEEvT1_,"axG",@progbits,_ZN7rocprim17ROCPRIM_400000_NS6detail17trampoline_kernelINS0_14default_configENS1_20scan_config_selectorIiEEZZNS1_9scan_implILNS1_25lookback_scan_determinismE0ELb0ELb0ES3_N6thrust23THRUST_200600_302600_NS6detail15normal_iteratorINS9_10device_ptrIiEEEESE_i19const_ref_plus_mod3IiEiEEDaPvRmT3_T4_T5_mT6_P12ihipStream_tbENKUlT_T0_E_clISt17integral_constantIbLb1EESU_EEDaSP_SQ_EUlSP_E0_NS1_11comp_targetILNS1_3genE0ELNS1_11target_archE4294967295ELNS1_3gpuE0ELNS1_3repE0EEENS1_30default_config_static_selectorELNS0_4arch9wavefront6targetE1EEEvT1_,comdat
.Lfunc_end7007:
	.size	_ZN7rocprim17ROCPRIM_400000_NS6detail17trampoline_kernelINS0_14default_configENS1_20scan_config_selectorIiEEZZNS1_9scan_implILNS1_25lookback_scan_determinismE0ELb0ELb0ES3_N6thrust23THRUST_200600_302600_NS6detail15normal_iteratorINS9_10device_ptrIiEEEESE_i19const_ref_plus_mod3IiEiEEDaPvRmT3_T4_T5_mT6_P12ihipStream_tbENKUlT_T0_E_clISt17integral_constantIbLb1EESU_EEDaSP_SQ_EUlSP_E0_NS1_11comp_targetILNS1_3genE0ELNS1_11target_archE4294967295ELNS1_3gpuE0ELNS1_3repE0EEENS1_30default_config_static_selectorELNS0_4arch9wavefront6targetE1EEEvT1_, .Lfunc_end7007-_ZN7rocprim17ROCPRIM_400000_NS6detail17trampoline_kernelINS0_14default_configENS1_20scan_config_selectorIiEEZZNS1_9scan_implILNS1_25lookback_scan_determinismE0ELb0ELb0ES3_N6thrust23THRUST_200600_302600_NS6detail15normal_iteratorINS9_10device_ptrIiEEEESE_i19const_ref_plus_mod3IiEiEEDaPvRmT3_T4_T5_mT6_P12ihipStream_tbENKUlT_T0_E_clISt17integral_constantIbLb1EESU_EEDaSP_SQ_EUlSP_E0_NS1_11comp_targetILNS1_3genE0ELNS1_11target_archE4294967295ELNS1_3gpuE0ELNS1_3repE0EEENS1_30default_config_static_selectorELNS0_4arch9wavefront6targetE1EEEvT1_
                                        ; -- End function
	.section	.AMDGPU.csdata,"",@progbits
; Kernel info:
; codeLenInByte = 0
; NumSgprs: 4
; NumVgprs: 0
; NumAgprs: 0
; TotalNumVgprs: 0
; ScratchSize: 0
; MemoryBound: 0
; FloatMode: 240
; IeeeMode: 1
; LDSByteSize: 0 bytes/workgroup (compile time only)
; SGPRBlocks: 0
; VGPRBlocks: 0
; NumSGPRsForWavesPerEU: 4
; NumVGPRsForWavesPerEU: 1
; AccumOffset: 4
; Occupancy: 8
; WaveLimiterHint : 0
; COMPUTE_PGM_RSRC2:SCRATCH_EN: 0
; COMPUTE_PGM_RSRC2:USER_SGPR: 6
; COMPUTE_PGM_RSRC2:TRAP_HANDLER: 0
; COMPUTE_PGM_RSRC2:TGID_X_EN: 1
; COMPUTE_PGM_RSRC2:TGID_Y_EN: 0
; COMPUTE_PGM_RSRC2:TGID_Z_EN: 0
; COMPUTE_PGM_RSRC2:TIDIG_COMP_CNT: 0
; COMPUTE_PGM_RSRC3_GFX90A:ACCUM_OFFSET: 0
; COMPUTE_PGM_RSRC3_GFX90A:TG_SPLIT: 0
	.section	.text._ZN7rocprim17ROCPRIM_400000_NS6detail17trampoline_kernelINS0_14default_configENS1_20scan_config_selectorIiEEZZNS1_9scan_implILNS1_25lookback_scan_determinismE0ELb0ELb0ES3_N6thrust23THRUST_200600_302600_NS6detail15normal_iteratorINS9_10device_ptrIiEEEESE_i19const_ref_plus_mod3IiEiEEDaPvRmT3_T4_T5_mT6_P12ihipStream_tbENKUlT_T0_E_clISt17integral_constantIbLb1EESU_EEDaSP_SQ_EUlSP_E0_NS1_11comp_targetILNS1_3genE5ELNS1_11target_archE942ELNS1_3gpuE9ELNS1_3repE0EEENS1_30default_config_static_selectorELNS0_4arch9wavefront6targetE1EEEvT1_,"axG",@progbits,_ZN7rocprim17ROCPRIM_400000_NS6detail17trampoline_kernelINS0_14default_configENS1_20scan_config_selectorIiEEZZNS1_9scan_implILNS1_25lookback_scan_determinismE0ELb0ELb0ES3_N6thrust23THRUST_200600_302600_NS6detail15normal_iteratorINS9_10device_ptrIiEEEESE_i19const_ref_plus_mod3IiEiEEDaPvRmT3_T4_T5_mT6_P12ihipStream_tbENKUlT_T0_E_clISt17integral_constantIbLb1EESU_EEDaSP_SQ_EUlSP_E0_NS1_11comp_targetILNS1_3genE5ELNS1_11target_archE942ELNS1_3gpuE9ELNS1_3repE0EEENS1_30default_config_static_selectorELNS0_4arch9wavefront6targetE1EEEvT1_,comdat
	.protected	_ZN7rocprim17ROCPRIM_400000_NS6detail17trampoline_kernelINS0_14default_configENS1_20scan_config_selectorIiEEZZNS1_9scan_implILNS1_25lookback_scan_determinismE0ELb0ELb0ES3_N6thrust23THRUST_200600_302600_NS6detail15normal_iteratorINS9_10device_ptrIiEEEESE_i19const_ref_plus_mod3IiEiEEDaPvRmT3_T4_T5_mT6_P12ihipStream_tbENKUlT_T0_E_clISt17integral_constantIbLb1EESU_EEDaSP_SQ_EUlSP_E0_NS1_11comp_targetILNS1_3genE5ELNS1_11target_archE942ELNS1_3gpuE9ELNS1_3repE0EEENS1_30default_config_static_selectorELNS0_4arch9wavefront6targetE1EEEvT1_ ; -- Begin function _ZN7rocprim17ROCPRIM_400000_NS6detail17trampoline_kernelINS0_14default_configENS1_20scan_config_selectorIiEEZZNS1_9scan_implILNS1_25lookback_scan_determinismE0ELb0ELb0ES3_N6thrust23THRUST_200600_302600_NS6detail15normal_iteratorINS9_10device_ptrIiEEEESE_i19const_ref_plus_mod3IiEiEEDaPvRmT3_T4_T5_mT6_P12ihipStream_tbENKUlT_T0_E_clISt17integral_constantIbLb1EESU_EEDaSP_SQ_EUlSP_E0_NS1_11comp_targetILNS1_3genE5ELNS1_11target_archE942ELNS1_3gpuE9ELNS1_3repE0EEENS1_30default_config_static_selectorELNS0_4arch9wavefront6targetE1EEEvT1_
	.globl	_ZN7rocprim17ROCPRIM_400000_NS6detail17trampoline_kernelINS0_14default_configENS1_20scan_config_selectorIiEEZZNS1_9scan_implILNS1_25lookback_scan_determinismE0ELb0ELb0ES3_N6thrust23THRUST_200600_302600_NS6detail15normal_iteratorINS9_10device_ptrIiEEEESE_i19const_ref_plus_mod3IiEiEEDaPvRmT3_T4_T5_mT6_P12ihipStream_tbENKUlT_T0_E_clISt17integral_constantIbLb1EESU_EEDaSP_SQ_EUlSP_E0_NS1_11comp_targetILNS1_3genE5ELNS1_11target_archE942ELNS1_3gpuE9ELNS1_3repE0EEENS1_30default_config_static_selectorELNS0_4arch9wavefront6targetE1EEEvT1_
	.p2align	8
	.type	_ZN7rocprim17ROCPRIM_400000_NS6detail17trampoline_kernelINS0_14default_configENS1_20scan_config_selectorIiEEZZNS1_9scan_implILNS1_25lookback_scan_determinismE0ELb0ELb0ES3_N6thrust23THRUST_200600_302600_NS6detail15normal_iteratorINS9_10device_ptrIiEEEESE_i19const_ref_plus_mod3IiEiEEDaPvRmT3_T4_T5_mT6_P12ihipStream_tbENKUlT_T0_E_clISt17integral_constantIbLb1EESU_EEDaSP_SQ_EUlSP_E0_NS1_11comp_targetILNS1_3genE5ELNS1_11target_archE942ELNS1_3gpuE9ELNS1_3repE0EEENS1_30default_config_static_selectorELNS0_4arch9wavefront6targetE1EEEvT1_,@function
_ZN7rocprim17ROCPRIM_400000_NS6detail17trampoline_kernelINS0_14default_configENS1_20scan_config_selectorIiEEZZNS1_9scan_implILNS1_25lookback_scan_determinismE0ELb0ELb0ES3_N6thrust23THRUST_200600_302600_NS6detail15normal_iteratorINS9_10device_ptrIiEEEESE_i19const_ref_plus_mod3IiEiEEDaPvRmT3_T4_T5_mT6_P12ihipStream_tbENKUlT_T0_E_clISt17integral_constantIbLb1EESU_EEDaSP_SQ_EUlSP_E0_NS1_11comp_targetILNS1_3genE5ELNS1_11target_archE942ELNS1_3gpuE9ELNS1_3repE0EEENS1_30default_config_static_selectorELNS0_4arch9wavefront6targetE1EEEvT1_: ; @_ZN7rocprim17ROCPRIM_400000_NS6detail17trampoline_kernelINS0_14default_configENS1_20scan_config_selectorIiEEZZNS1_9scan_implILNS1_25lookback_scan_determinismE0ELb0ELb0ES3_N6thrust23THRUST_200600_302600_NS6detail15normal_iteratorINS9_10device_ptrIiEEEESE_i19const_ref_plus_mod3IiEiEEDaPvRmT3_T4_T5_mT6_P12ihipStream_tbENKUlT_T0_E_clISt17integral_constantIbLb1EESU_EEDaSP_SQ_EUlSP_E0_NS1_11comp_targetILNS1_3genE5ELNS1_11target_archE942ELNS1_3gpuE9ELNS1_3repE0EEENS1_30default_config_static_selectorELNS0_4arch9wavefront6targetE1EEEvT1_
; %bb.0:
	.section	.rodata,"a",@progbits
	.p2align	6, 0x0
	.amdhsa_kernel _ZN7rocprim17ROCPRIM_400000_NS6detail17trampoline_kernelINS0_14default_configENS1_20scan_config_selectorIiEEZZNS1_9scan_implILNS1_25lookback_scan_determinismE0ELb0ELb0ES3_N6thrust23THRUST_200600_302600_NS6detail15normal_iteratorINS9_10device_ptrIiEEEESE_i19const_ref_plus_mod3IiEiEEDaPvRmT3_T4_T5_mT6_P12ihipStream_tbENKUlT_T0_E_clISt17integral_constantIbLb1EESU_EEDaSP_SQ_EUlSP_E0_NS1_11comp_targetILNS1_3genE5ELNS1_11target_archE942ELNS1_3gpuE9ELNS1_3repE0EEENS1_30default_config_static_selectorELNS0_4arch9wavefront6targetE1EEEvT1_
		.amdhsa_group_segment_fixed_size 0
		.amdhsa_private_segment_fixed_size 0
		.amdhsa_kernarg_size 40
		.amdhsa_user_sgpr_count 6
		.amdhsa_user_sgpr_private_segment_buffer 1
		.amdhsa_user_sgpr_dispatch_ptr 0
		.amdhsa_user_sgpr_queue_ptr 0
		.amdhsa_user_sgpr_kernarg_segment_ptr 1
		.amdhsa_user_sgpr_dispatch_id 0
		.amdhsa_user_sgpr_flat_scratch_init 0
		.amdhsa_user_sgpr_kernarg_preload_length 0
		.amdhsa_user_sgpr_kernarg_preload_offset 0
		.amdhsa_user_sgpr_private_segment_size 0
		.amdhsa_uses_dynamic_stack 0
		.amdhsa_system_sgpr_private_segment_wavefront_offset 0
		.amdhsa_system_sgpr_workgroup_id_x 1
		.amdhsa_system_sgpr_workgroup_id_y 0
		.amdhsa_system_sgpr_workgroup_id_z 0
		.amdhsa_system_sgpr_workgroup_info 0
		.amdhsa_system_vgpr_workitem_id 0
		.amdhsa_next_free_vgpr 1
		.amdhsa_next_free_sgpr 0
		.amdhsa_accum_offset 4
		.amdhsa_reserve_vcc 0
		.amdhsa_reserve_flat_scratch 0
		.amdhsa_float_round_mode_32 0
		.amdhsa_float_round_mode_16_64 0
		.amdhsa_float_denorm_mode_32 3
		.amdhsa_float_denorm_mode_16_64 3
		.amdhsa_dx10_clamp 1
		.amdhsa_ieee_mode 1
		.amdhsa_fp16_overflow 0
		.amdhsa_tg_split 0
		.amdhsa_exception_fp_ieee_invalid_op 0
		.amdhsa_exception_fp_denorm_src 0
		.amdhsa_exception_fp_ieee_div_zero 0
		.amdhsa_exception_fp_ieee_overflow 0
		.amdhsa_exception_fp_ieee_underflow 0
		.amdhsa_exception_fp_ieee_inexact 0
		.amdhsa_exception_int_div_zero 0
	.end_amdhsa_kernel
	.section	.text._ZN7rocprim17ROCPRIM_400000_NS6detail17trampoline_kernelINS0_14default_configENS1_20scan_config_selectorIiEEZZNS1_9scan_implILNS1_25lookback_scan_determinismE0ELb0ELb0ES3_N6thrust23THRUST_200600_302600_NS6detail15normal_iteratorINS9_10device_ptrIiEEEESE_i19const_ref_plus_mod3IiEiEEDaPvRmT3_T4_T5_mT6_P12ihipStream_tbENKUlT_T0_E_clISt17integral_constantIbLb1EESU_EEDaSP_SQ_EUlSP_E0_NS1_11comp_targetILNS1_3genE5ELNS1_11target_archE942ELNS1_3gpuE9ELNS1_3repE0EEENS1_30default_config_static_selectorELNS0_4arch9wavefront6targetE1EEEvT1_,"axG",@progbits,_ZN7rocprim17ROCPRIM_400000_NS6detail17trampoline_kernelINS0_14default_configENS1_20scan_config_selectorIiEEZZNS1_9scan_implILNS1_25lookback_scan_determinismE0ELb0ELb0ES3_N6thrust23THRUST_200600_302600_NS6detail15normal_iteratorINS9_10device_ptrIiEEEESE_i19const_ref_plus_mod3IiEiEEDaPvRmT3_T4_T5_mT6_P12ihipStream_tbENKUlT_T0_E_clISt17integral_constantIbLb1EESU_EEDaSP_SQ_EUlSP_E0_NS1_11comp_targetILNS1_3genE5ELNS1_11target_archE942ELNS1_3gpuE9ELNS1_3repE0EEENS1_30default_config_static_selectorELNS0_4arch9wavefront6targetE1EEEvT1_,comdat
.Lfunc_end7008:
	.size	_ZN7rocprim17ROCPRIM_400000_NS6detail17trampoline_kernelINS0_14default_configENS1_20scan_config_selectorIiEEZZNS1_9scan_implILNS1_25lookback_scan_determinismE0ELb0ELb0ES3_N6thrust23THRUST_200600_302600_NS6detail15normal_iteratorINS9_10device_ptrIiEEEESE_i19const_ref_plus_mod3IiEiEEDaPvRmT3_T4_T5_mT6_P12ihipStream_tbENKUlT_T0_E_clISt17integral_constantIbLb1EESU_EEDaSP_SQ_EUlSP_E0_NS1_11comp_targetILNS1_3genE5ELNS1_11target_archE942ELNS1_3gpuE9ELNS1_3repE0EEENS1_30default_config_static_selectorELNS0_4arch9wavefront6targetE1EEEvT1_, .Lfunc_end7008-_ZN7rocprim17ROCPRIM_400000_NS6detail17trampoline_kernelINS0_14default_configENS1_20scan_config_selectorIiEEZZNS1_9scan_implILNS1_25lookback_scan_determinismE0ELb0ELb0ES3_N6thrust23THRUST_200600_302600_NS6detail15normal_iteratorINS9_10device_ptrIiEEEESE_i19const_ref_plus_mod3IiEiEEDaPvRmT3_T4_T5_mT6_P12ihipStream_tbENKUlT_T0_E_clISt17integral_constantIbLb1EESU_EEDaSP_SQ_EUlSP_E0_NS1_11comp_targetILNS1_3genE5ELNS1_11target_archE942ELNS1_3gpuE9ELNS1_3repE0EEENS1_30default_config_static_selectorELNS0_4arch9wavefront6targetE1EEEvT1_
                                        ; -- End function
	.section	.AMDGPU.csdata,"",@progbits
; Kernel info:
; codeLenInByte = 0
; NumSgprs: 4
; NumVgprs: 0
; NumAgprs: 0
; TotalNumVgprs: 0
; ScratchSize: 0
; MemoryBound: 0
; FloatMode: 240
; IeeeMode: 1
; LDSByteSize: 0 bytes/workgroup (compile time only)
; SGPRBlocks: 0
; VGPRBlocks: 0
; NumSGPRsForWavesPerEU: 4
; NumVGPRsForWavesPerEU: 1
; AccumOffset: 4
; Occupancy: 8
; WaveLimiterHint : 0
; COMPUTE_PGM_RSRC2:SCRATCH_EN: 0
; COMPUTE_PGM_RSRC2:USER_SGPR: 6
; COMPUTE_PGM_RSRC2:TRAP_HANDLER: 0
; COMPUTE_PGM_RSRC2:TGID_X_EN: 1
; COMPUTE_PGM_RSRC2:TGID_Y_EN: 0
; COMPUTE_PGM_RSRC2:TGID_Z_EN: 0
; COMPUTE_PGM_RSRC2:TIDIG_COMP_CNT: 0
; COMPUTE_PGM_RSRC3_GFX90A:ACCUM_OFFSET: 0
; COMPUTE_PGM_RSRC3_GFX90A:TG_SPLIT: 0
	.section	.text._ZN7rocprim17ROCPRIM_400000_NS6detail17trampoline_kernelINS0_14default_configENS1_20scan_config_selectorIiEEZZNS1_9scan_implILNS1_25lookback_scan_determinismE0ELb0ELb0ES3_N6thrust23THRUST_200600_302600_NS6detail15normal_iteratorINS9_10device_ptrIiEEEESE_i19const_ref_plus_mod3IiEiEEDaPvRmT3_T4_T5_mT6_P12ihipStream_tbENKUlT_T0_E_clISt17integral_constantIbLb1EESU_EEDaSP_SQ_EUlSP_E0_NS1_11comp_targetILNS1_3genE4ELNS1_11target_archE910ELNS1_3gpuE8ELNS1_3repE0EEENS1_30default_config_static_selectorELNS0_4arch9wavefront6targetE1EEEvT1_,"axG",@progbits,_ZN7rocprim17ROCPRIM_400000_NS6detail17trampoline_kernelINS0_14default_configENS1_20scan_config_selectorIiEEZZNS1_9scan_implILNS1_25lookback_scan_determinismE0ELb0ELb0ES3_N6thrust23THRUST_200600_302600_NS6detail15normal_iteratorINS9_10device_ptrIiEEEESE_i19const_ref_plus_mod3IiEiEEDaPvRmT3_T4_T5_mT6_P12ihipStream_tbENKUlT_T0_E_clISt17integral_constantIbLb1EESU_EEDaSP_SQ_EUlSP_E0_NS1_11comp_targetILNS1_3genE4ELNS1_11target_archE910ELNS1_3gpuE8ELNS1_3repE0EEENS1_30default_config_static_selectorELNS0_4arch9wavefront6targetE1EEEvT1_,comdat
	.protected	_ZN7rocprim17ROCPRIM_400000_NS6detail17trampoline_kernelINS0_14default_configENS1_20scan_config_selectorIiEEZZNS1_9scan_implILNS1_25lookback_scan_determinismE0ELb0ELb0ES3_N6thrust23THRUST_200600_302600_NS6detail15normal_iteratorINS9_10device_ptrIiEEEESE_i19const_ref_plus_mod3IiEiEEDaPvRmT3_T4_T5_mT6_P12ihipStream_tbENKUlT_T0_E_clISt17integral_constantIbLb1EESU_EEDaSP_SQ_EUlSP_E0_NS1_11comp_targetILNS1_3genE4ELNS1_11target_archE910ELNS1_3gpuE8ELNS1_3repE0EEENS1_30default_config_static_selectorELNS0_4arch9wavefront6targetE1EEEvT1_ ; -- Begin function _ZN7rocprim17ROCPRIM_400000_NS6detail17trampoline_kernelINS0_14default_configENS1_20scan_config_selectorIiEEZZNS1_9scan_implILNS1_25lookback_scan_determinismE0ELb0ELb0ES3_N6thrust23THRUST_200600_302600_NS6detail15normal_iteratorINS9_10device_ptrIiEEEESE_i19const_ref_plus_mod3IiEiEEDaPvRmT3_T4_T5_mT6_P12ihipStream_tbENKUlT_T0_E_clISt17integral_constantIbLb1EESU_EEDaSP_SQ_EUlSP_E0_NS1_11comp_targetILNS1_3genE4ELNS1_11target_archE910ELNS1_3gpuE8ELNS1_3repE0EEENS1_30default_config_static_selectorELNS0_4arch9wavefront6targetE1EEEvT1_
	.globl	_ZN7rocprim17ROCPRIM_400000_NS6detail17trampoline_kernelINS0_14default_configENS1_20scan_config_selectorIiEEZZNS1_9scan_implILNS1_25lookback_scan_determinismE0ELb0ELb0ES3_N6thrust23THRUST_200600_302600_NS6detail15normal_iteratorINS9_10device_ptrIiEEEESE_i19const_ref_plus_mod3IiEiEEDaPvRmT3_T4_T5_mT6_P12ihipStream_tbENKUlT_T0_E_clISt17integral_constantIbLb1EESU_EEDaSP_SQ_EUlSP_E0_NS1_11comp_targetILNS1_3genE4ELNS1_11target_archE910ELNS1_3gpuE8ELNS1_3repE0EEENS1_30default_config_static_selectorELNS0_4arch9wavefront6targetE1EEEvT1_
	.p2align	8
	.type	_ZN7rocprim17ROCPRIM_400000_NS6detail17trampoline_kernelINS0_14default_configENS1_20scan_config_selectorIiEEZZNS1_9scan_implILNS1_25lookback_scan_determinismE0ELb0ELb0ES3_N6thrust23THRUST_200600_302600_NS6detail15normal_iteratorINS9_10device_ptrIiEEEESE_i19const_ref_plus_mod3IiEiEEDaPvRmT3_T4_T5_mT6_P12ihipStream_tbENKUlT_T0_E_clISt17integral_constantIbLb1EESU_EEDaSP_SQ_EUlSP_E0_NS1_11comp_targetILNS1_3genE4ELNS1_11target_archE910ELNS1_3gpuE8ELNS1_3repE0EEENS1_30default_config_static_selectorELNS0_4arch9wavefront6targetE1EEEvT1_,@function
_ZN7rocprim17ROCPRIM_400000_NS6detail17trampoline_kernelINS0_14default_configENS1_20scan_config_selectorIiEEZZNS1_9scan_implILNS1_25lookback_scan_determinismE0ELb0ELb0ES3_N6thrust23THRUST_200600_302600_NS6detail15normal_iteratorINS9_10device_ptrIiEEEESE_i19const_ref_plus_mod3IiEiEEDaPvRmT3_T4_T5_mT6_P12ihipStream_tbENKUlT_T0_E_clISt17integral_constantIbLb1EESU_EEDaSP_SQ_EUlSP_E0_NS1_11comp_targetILNS1_3genE4ELNS1_11target_archE910ELNS1_3gpuE8ELNS1_3repE0EEENS1_30default_config_static_selectorELNS0_4arch9wavefront6targetE1EEEvT1_: ; @_ZN7rocprim17ROCPRIM_400000_NS6detail17trampoline_kernelINS0_14default_configENS1_20scan_config_selectorIiEEZZNS1_9scan_implILNS1_25lookback_scan_determinismE0ELb0ELb0ES3_N6thrust23THRUST_200600_302600_NS6detail15normal_iteratorINS9_10device_ptrIiEEEESE_i19const_ref_plus_mod3IiEiEEDaPvRmT3_T4_T5_mT6_P12ihipStream_tbENKUlT_T0_E_clISt17integral_constantIbLb1EESU_EEDaSP_SQ_EUlSP_E0_NS1_11comp_targetILNS1_3genE4ELNS1_11target_archE910ELNS1_3gpuE8ELNS1_3repE0EEENS1_30default_config_static_selectorELNS0_4arch9wavefront6targetE1EEEvT1_
; %bb.0:
	s_load_dwordx4 s[24:27], s[4:5], 0x0
	v_lshlrev_b32_e32 v16, 2, v0
	s_waitcnt lgkmcnt(0)
	s_load_dword s27, s[24:25], 0x0
	v_cmp_gt_u32_e32 vcc, s26, v0
	s_waitcnt lgkmcnt(0)
	v_mov_b32_e32 v1, s27
	s_and_saveexec_b64 s[0:1], vcc
	s_cbranch_execz .LBB7009_2
; %bb.1:
	global_load_dword v1, v16, s[24:25]
.LBB7009_2:
	s_or_b64 exec, exec, s[0:1]
	v_or_b32_e32 v2, 0x80, v0
	v_cmp_gt_u32_e64 s[0:1], s26, v2
	v_mov_b32_e32 v2, s27
	s_and_saveexec_b64 s[2:3], s[0:1]
	s_cbranch_execz .LBB7009_4
; %bb.3:
	global_load_dword v2, v16, s[24:25] offset:512
.LBB7009_4:
	s_or_b64 exec, exec, s[2:3]
	v_or_b32_e32 v3, 0x100, v0
	v_cmp_gt_u32_e64 s[2:3], s26, v3
	v_mov_b32_e32 v3, s27
	s_and_saveexec_b64 s[6:7], s[2:3]
	s_cbranch_execz .LBB7009_6
; %bb.5:
	global_load_dword v3, v16, s[24:25] offset:1024
.LBB7009_6:
	;; [unrolled: 9-line block ×7, first 2 shown]
	s_or_b64 exec, exec, s[14:15]
	v_or_b32_e32 v10, 0x400, v0
	v_cmp_gt_u32_e64 s[14:15], s26, v10
	v_mov_b32_e32 v9, s27
	s_and_saveexec_b64 s[16:17], s[14:15]
	s_cbranch_execz .LBB7009_18
; %bb.17:
	v_lshlrev_b32_e32 v9, 2, v10
	global_load_dword v9, v9, s[24:25]
.LBB7009_18:
	s_or_b64 exec, exec, s[16:17]
	s_load_dwordx4 s[20:23], s[4:5], 0x18
	v_or_b32_e32 v11, 0x480, v0
	v_cmp_gt_u32_e64 s[16:17], s26, v11
	v_mov_b32_e32 v10, s27
	s_and_saveexec_b64 s[4:5], s[16:17]
	s_cbranch_execz .LBB7009_20
; %bb.19:
	v_lshlrev_b32_e32 v10, 2, v11
	global_load_dword v10, v10, s[24:25]
.LBB7009_20:
	s_or_b64 exec, exec, s[4:5]
	s_waitcnt vmcnt(0)
	ds_write2st64_b32 v16, v1, v2 offset1:2
	ds_write2st64_b32 v16, v3, v4 offset0:4 offset1:6
	ds_write2st64_b32 v16, v5, v6 offset0:8 offset1:10
	ds_write2st64_b32 v16, v7, v8 offset0:12 offset1:14
	ds_write2st64_b32 v16, v9, v10 offset0:16 offset1:18
	v_mad_u32_u24 v1, v0, 36, v16
	s_waitcnt lgkmcnt(0)
	s_barrier
	ds_read2_b64 v[2:5], v1 offset1:1
	ds_read2_b64 v[6:9], v1 offset0:2 offset1:3
	ds_read_b64 v[10:11], v1 offset:32
	v_mov_b32_e32 v1, s21
	s_waitcnt lgkmcnt(0)
	v_add_u32_e32 v12, v3, v2
	v_ashrrev_i32_e32 v13, 31, v12
	v_lshlrev_b64 v[14:15], 2, v[12:13]
	v_add_co_u32_e64 v14, s[4:5], s20, v14
	v_addc_co_u32_e64 v15, s[4:5], v1, v15, s[4:5]
	s_barrier
	global_load_dword v1, v[14:15], off
	v_mov_b32_e32 v17, s21
	s_waitcnt vmcnt(0)
	v_add_u32_e32 v14, v1, v4
	v_ashrrev_i32_e32 v15, 31, v14
	v_lshlrev_b64 v[14:15], 2, v[14:15]
	v_add_co_u32_e64 v14, s[4:5], s20, v14
	v_addc_co_u32_e64 v15, s[4:5], v17, v15, s[4:5]
	global_load_dword v1, v[14:15], off
	s_waitcnt vmcnt(0)
	v_add_u32_e32 v14, v1, v5
	v_ashrrev_i32_e32 v15, 31, v14
	v_lshlrev_b64 v[14:15], 2, v[14:15]
	v_add_co_u32_e64 v14, s[4:5], s20, v14
	v_addc_co_u32_e64 v15, s[4:5], v17, v15, s[4:5]
	global_load_dword v1, v[14:15], off
	;; [unrolled: 7-line block ×8, first 2 shown]
	v_lshrrev_b32_e32 v14, 3, v0
	v_and_b32_e32 v14, 12, v14
	v_add_u32_e32 v14, v16, v14
	v_cmp_gt_u32_e64 s[4:5], 64, v0
	s_waitcnt vmcnt(0)
	ds_write_b32 v14, v1
	s_waitcnt lgkmcnt(0)
	s_barrier
	s_and_saveexec_b64 s[24:25], s[4:5]
	s_cbranch_execz .LBB7009_34
; %bb.21:
	v_lshlrev_b32_e32 v14, 1, v0
	v_lshrrev_b32_e32 v15, 4, v0
	v_add_lshl_u32 v17, v15, v14, 2
	ds_read2_b32 v[14:15], v17 offset1:1
	v_mov_b32_e32 v20, s21
	s_waitcnt lgkmcnt(0)
	v_add_u32_e32 v18, v15, v14
	v_ashrrev_i32_e32 v19, 31, v18
	v_lshlrev_b64 v[18:19], 2, v[18:19]
	v_add_co_u32_e64 v18, s[4:5], s20, v18
	v_addc_co_u32_e64 v19, s[4:5], v20, v19, s[4:5]
	global_load_dword v18, v[18:19], off
	v_mbcnt_lo_u32_b32 v15, -1, 0
	v_mbcnt_hi_u32_b32 v15, -1, v15
	v_and_b32_e32 v19, 15, v15
	v_cmp_ne_u32_e64 s[4:5], 0, v19
	s_waitcnt vmcnt(0)
	v_mov_b32_dpp v20, v18 row_shr:1 row_mask:0xf bank_mask:0xf
	s_and_saveexec_b64 s[26:27], s[4:5]
	s_cbranch_execz .LBB7009_23
; %bb.22:
	v_add_u32_e32 v20, v20, v18
	v_ashrrev_i32_e32 v21, 31, v20
	v_lshlrev_b64 v[20:21], 2, v[20:21]
	v_mov_b32_e32 v18, s21
	v_add_co_u32_e64 v20, s[4:5], s20, v20
	v_addc_co_u32_e64 v21, s[4:5], v18, v21, s[4:5]
	global_load_dword v18, v[20:21], off
.LBB7009_23:
	s_or_b64 exec, exec, s[26:27]
	s_waitcnt vmcnt(0)
	v_mov_b32_dpp v20, v18 row_shr:2 row_mask:0xf bank_mask:0xf
	v_cmp_lt_u32_e64 s[4:5], 1, v19
	s_and_saveexec_b64 s[26:27], s[4:5]
	s_cbranch_execz .LBB7009_25
; %bb.24:
	v_add_u32_e32 v20, v20, v18
	v_ashrrev_i32_e32 v21, 31, v20
	v_lshlrev_b64 v[20:21], 2, v[20:21]
	v_mov_b32_e32 v18, s21
	v_add_co_u32_e64 v20, s[4:5], s20, v20
	v_addc_co_u32_e64 v21, s[4:5], v18, v21, s[4:5]
	global_load_dword v18, v[20:21], off
.LBB7009_25:
	s_or_b64 exec, exec, s[26:27]
	s_waitcnt vmcnt(0)
	v_mov_b32_dpp v20, v18 row_shr:4 row_mask:0xf bank_mask:0xf
	v_cmp_lt_u32_e64 s[4:5], 3, v19
	;; [unrolled: 15-line block ×3, first 2 shown]
	s_and_saveexec_b64 s[26:27], s[4:5]
	s_cbranch_execz .LBB7009_29
; %bb.28:
	v_add_u32_e32 v18, v20, v18
	v_ashrrev_i32_e32 v19, 31, v18
	v_lshlrev_b64 v[18:19], 2, v[18:19]
	v_mov_b32_e32 v20, s21
	v_add_co_u32_e64 v18, s[4:5], s20, v18
	v_addc_co_u32_e64 v19, s[4:5], v20, v19, s[4:5]
	global_load_dword v18, v[18:19], off
.LBB7009_29:
	s_or_b64 exec, exec, s[26:27]
	v_and_b32_e32 v20, 16, v15
	s_waitcnt vmcnt(0)
	v_mov_b32_dpp v19, v18 row_bcast:15 row_mask:0xf bank_mask:0xf
	v_cmp_ne_u32_e64 s[4:5], 0, v20
	s_and_saveexec_b64 s[26:27], s[4:5]
	s_cbranch_execz .LBB7009_31
; %bb.30:
	v_add_u32_e32 v18, v19, v18
	v_ashrrev_i32_e32 v19, 31, v18
	v_lshlrev_b64 v[18:19], 2, v[18:19]
	v_mov_b32_e32 v20, s21
	v_add_co_u32_e64 v18, s[4:5], s20, v18
	v_addc_co_u32_e64 v19, s[4:5], v20, v19, s[4:5]
	global_load_dword v18, v[18:19], off
.LBB7009_31:
	s_or_b64 exec, exec, s[26:27]
	s_waitcnt vmcnt(0)
	v_mov_b32_dpp v19, v18 row_bcast:31 row_mask:0xf bank_mask:0xf
	v_cmp_lt_u32_e64 s[4:5], 31, v15
	s_and_saveexec_b64 s[26:27], s[4:5]
	s_cbranch_execz .LBB7009_33
; %bb.32:
	v_add_u32_e32 v18, v19, v18
	v_ashrrev_i32_e32 v19, 31, v18
	v_lshlrev_b64 v[18:19], 2, v[18:19]
	v_mov_b32_e32 v20, s21
	v_add_co_u32_e64 v18, s[4:5], s20, v18
	v_addc_co_u32_e64 v19, s[4:5], v20, v19, s[4:5]
	global_load_dword v18, v[18:19], off
.LBB7009_33:
	s_or_b64 exec, exec, s[26:27]
	v_add_u32_e32 v19, -1, v15
	v_and_b32_e32 v20, 64, v15
	v_cmp_lt_i32_e64 s[4:5], v19, v20
	v_cndmask_b32_e64 v15, v19, v15, s[4:5]
	v_lshlrev_b32_e32 v15, 2, v15
	s_waitcnt vmcnt(0)
	ds_bpermute_b32 v15, v15, v18
	v_mov_b32_e32 v18, s21
	s_waitcnt lgkmcnt(0)
	v_add_u32_e32 v14, v15, v14
	v_ashrrev_i32_e32 v15, 31, v14
	v_lshlrev_b64 v[14:15], 2, v[14:15]
	v_add_co_u32_e64 v14, s[4:5], s20, v14
	v_addc_co_u32_e64 v15, s[4:5], v18, v15, s[4:5]
	global_load_dword v14, v[14:15], off
	v_cmp_eq_u32_e64 s[4:5], 0, v0
	; wave barrier
	s_waitcnt vmcnt(0)
	v_cndmask_b32_e64 v14, v14, v1, s[4:5]
	ds_write_b32 v17, v14
	; wave barrier
	ds_read_b32 v15, v17 offset:4
	s_waitcnt lgkmcnt(0)
	v_add_u32_e32 v14, v15, v14
	v_ashrrev_i32_e32 v15, 31, v14
	v_lshlrev_b64 v[14:15], 2, v[14:15]
	v_add_co_u32_e64 v14, s[4:5], s20, v14
	v_addc_co_u32_e64 v15, s[4:5], v18, v15, s[4:5]
	global_load_dword v14, v[14:15], off
	s_waitcnt vmcnt(0)
	ds_write_b32 v17, v14 offset:4
.LBB7009_34:
	s_or_b64 exec, exec, s[24:25]
	v_mul_u32_u24_e32 v14, 36, v0
	v_cmp_ne_u32_e64 s[4:5], 0, v0
	s_waitcnt lgkmcnt(0)
	s_barrier
	s_and_saveexec_b64 s[24:25], s[4:5]
	s_cbranch_execz .LBB7009_36
; %bb.35:
	v_add_u32_e32 v0, -1, v0
	v_lshrrev_b32_e32 v1, 5, v0
	v_add_lshl_u32 v0, v1, v0, 2
	ds_read_b32 v1, v0
.LBB7009_36:
	s_or_b64 exec, exec, s[24:25]
	s_and_saveexec_b64 s[24:25], s[4:5]
	s_cbranch_execz .LBB7009_38
; %bb.37:
	s_waitcnt lgkmcnt(0)
	v_add_u32_e32 v0, v1, v2
	v_ashrrev_i32_e32 v1, 31, v0
	v_lshlrev_b64 v[0:1], 2, v[0:1]
	v_mov_b32_e32 v2, s21
	v_add_co_u32_e64 v0, s[4:5], s20, v0
	v_addc_co_u32_e64 v1, s[4:5], v2, v1, s[4:5]
	global_load_dword v2, v[0:1], off
	;;#ASMSTART
	;;#ASMEND
	s_waitcnt vmcnt(0)
	v_add_u32_e32 v12, v2, v3
	v_ashrrev_i32_e32 v13, 31, v12
.LBB7009_38:
	s_or_b64 exec, exec, s[24:25]
	s_waitcnt lgkmcnt(0)
	v_lshlrev_b64 v[0:1], 2, v[12:13]
	v_mov_b32_e32 v3, s21
	v_add_co_u32_e64 v0, s[4:5], s20, v0
	v_addc_co_u32_e64 v1, s[4:5], v3, v1, s[4:5]
	global_load_dword v12, v[0:1], off
	s_waitcnt vmcnt(0)
	v_add_u32_e32 v0, v12, v4
	v_ashrrev_i32_e32 v1, 31, v0
	v_lshlrev_b64 v[0:1], 2, v[0:1]
	v_add_co_u32_e64 v0, s[4:5], s20, v0
	v_addc_co_u32_e64 v1, s[4:5], v3, v1, s[4:5]
	global_load_dword v4, v[0:1], off
	s_waitcnt vmcnt(0)
	v_add_u32_e32 v0, v4, v5
	v_ashrrev_i32_e32 v1, 31, v0
	v_lshlrev_b64 v[0:1], 2, v[0:1]
	;; [unrolled: 7-line block ×8, first 2 shown]
	v_add_co_u32_e64 v0, s[4:5], s20, v0
	v_addc_co_u32_e64 v1, s[4:5], v3, v1, s[4:5]
	global_load_dword v0, v[0:1], off
	v_add_u32_e32 v1, v16, v14
	s_barrier
	ds_write2_b32 v1, v12, v4 offset0:1 offset1:2
	ds_write2_b32 v1, v5, v6 offset0:3 offset1:4
	;; [unrolled: 1-line block ×4, first 2 shown]
	s_waitcnt vmcnt(0)
	ds_write2_b32 v1, v2, v0 offset1:9
	s_waitcnt lgkmcnt(0)
	s_barrier
	ds_read2st64_b32 v[8:9], v16 offset0:2 offset1:4
	ds_read2st64_b32 v[6:7], v16 offset0:6 offset1:8
	;; [unrolled: 1-line block ×4, first 2 shown]
	ds_read_b32 v10, v16 offset:4608
	v_mov_b32_e32 v1, s23
	v_add_co_u32_e64 v0, s[4:5], s22, v16
	v_addc_co_u32_e64 v1, s[4:5], 0, v1, s[4:5]
	s_and_saveexec_b64 s[4:5], vcc
	s_cbranch_execnz .LBB7009_49
; %bb.39:
	s_or_b64 exec, exec, s[4:5]
	s_and_saveexec_b64 s[4:5], s[0:1]
	s_cbranch_execnz .LBB7009_50
.LBB7009_40:
	s_or_b64 exec, exec, s[4:5]
	s_and_saveexec_b64 s[0:1], s[2:3]
	s_cbranch_execnz .LBB7009_51
.LBB7009_41:
	s_or_b64 exec, exec, s[0:1]
	s_and_saveexec_b64 s[0:1], s[18:19]
	s_cbranch_execnz .LBB7009_52
.LBB7009_42:
	s_or_b64 exec, exec, s[0:1]
	s_and_saveexec_b64 s[0:1], s[6:7]
	s_cbranch_execnz .LBB7009_53
.LBB7009_43:
	s_or_b64 exec, exec, s[0:1]
	s_and_saveexec_b64 s[0:1], s[8:9]
	s_cbranch_execnz .LBB7009_54
.LBB7009_44:
	s_or_b64 exec, exec, s[0:1]
	s_and_saveexec_b64 s[0:1], s[10:11]
	s_cbranch_execnz .LBB7009_55
.LBB7009_45:
	s_or_b64 exec, exec, s[0:1]
	s_and_saveexec_b64 s[0:1], s[12:13]
	s_cbranch_execnz .LBB7009_56
.LBB7009_46:
	s_or_b64 exec, exec, s[0:1]
	s_and_saveexec_b64 s[0:1], s[14:15]
	s_cbranch_execnz .LBB7009_57
.LBB7009_47:
	s_or_b64 exec, exec, s[0:1]
	s_and_saveexec_b64 s[0:1], s[16:17]
	s_cbranch_execnz .LBB7009_58
.LBB7009_48:
	s_endpgm
.LBB7009_49:
	ds_read_b32 v11, v16
	s_waitcnt lgkmcnt(0)
	global_store_dword v[0:1], v11, off
	s_or_b64 exec, exec, s[4:5]
	s_and_saveexec_b64 s[4:5], s[0:1]
	s_cbranch_execz .LBB7009_40
.LBB7009_50:
	s_waitcnt lgkmcnt(4)
	global_store_dword v[0:1], v8, off offset:512
	s_or_b64 exec, exec, s[4:5]
	s_and_saveexec_b64 s[0:1], s[2:3]
	s_cbranch_execz .LBB7009_41
.LBB7009_51:
	s_waitcnt lgkmcnt(4)
	global_store_dword v[0:1], v9, off offset:1024
	s_or_b64 exec, exec, s[0:1]
	s_and_saveexec_b64 s[0:1], s[18:19]
	s_cbranch_execz .LBB7009_42
.LBB7009_52:
	s_waitcnt lgkmcnt(3)
	global_store_dword v[0:1], v6, off offset:1536
	s_or_b64 exec, exec, s[0:1]
	s_and_saveexec_b64 s[0:1], s[6:7]
	s_cbranch_execz .LBB7009_43
.LBB7009_53:
	s_waitcnt lgkmcnt(3)
	global_store_dword v[0:1], v7, off offset:2048
	s_or_b64 exec, exec, s[0:1]
	s_and_saveexec_b64 s[0:1], s[8:9]
	s_cbranch_execz .LBB7009_44
.LBB7009_54:
	s_waitcnt lgkmcnt(2)
	global_store_dword v[0:1], v4, off offset:2560
	s_or_b64 exec, exec, s[0:1]
	s_and_saveexec_b64 s[0:1], s[10:11]
	s_cbranch_execz .LBB7009_45
.LBB7009_55:
	s_waitcnt lgkmcnt(2)
	global_store_dword v[0:1], v5, off offset:3072
	s_or_b64 exec, exec, s[0:1]
	s_and_saveexec_b64 s[0:1], s[12:13]
	s_cbranch_execz .LBB7009_46
.LBB7009_56:
	s_waitcnt lgkmcnt(1)
	global_store_dword v[0:1], v2, off offset:3584
	s_or_b64 exec, exec, s[0:1]
	s_and_saveexec_b64 s[0:1], s[14:15]
	s_cbranch_execz .LBB7009_47
.LBB7009_57:
	s_waitcnt lgkmcnt(2)
	v_add_co_u32_e32 v4, vcc, 0x1000, v0
	v_addc_co_u32_e32 v5, vcc, 0, v1, vcc
	s_waitcnt lgkmcnt(1)
	global_store_dword v[4:5], v3, off
	s_or_b64 exec, exec, s[0:1]
	s_and_saveexec_b64 s[0:1], s[16:17]
	s_cbranch_execz .LBB7009_48
.LBB7009_58:
	v_add_co_u32_e32 v0, vcc, 0x1000, v0
	v_addc_co_u32_e32 v1, vcc, 0, v1, vcc
	s_waitcnt lgkmcnt(0)
	global_store_dword v[0:1], v10, off offset:512
	s_endpgm
	.section	.rodata,"a",@progbits
	.p2align	6, 0x0
	.amdhsa_kernel _ZN7rocprim17ROCPRIM_400000_NS6detail17trampoline_kernelINS0_14default_configENS1_20scan_config_selectorIiEEZZNS1_9scan_implILNS1_25lookback_scan_determinismE0ELb0ELb0ES3_N6thrust23THRUST_200600_302600_NS6detail15normal_iteratorINS9_10device_ptrIiEEEESE_i19const_ref_plus_mod3IiEiEEDaPvRmT3_T4_T5_mT6_P12ihipStream_tbENKUlT_T0_E_clISt17integral_constantIbLb1EESU_EEDaSP_SQ_EUlSP_E0_NS1_11comp_targetILNS1_3genE4ELNS1_11target_archE910ELNS1_3gpuE8ELNS1_3repE0EEENS1_30default_config_static_selectorELNS0_4arch9wavefront6targetE1EEEvT1_
		.amdhsa_group_segment_fixed_size 5120
		.amdhsa_private_segment_fixed_size 0
		.amdhsa_kernarg_size 40
		.amdhsa_user_sgpr_count 6
		.amdhsa_user_sgpr_private_segment_buffer 1
		.amdhsa_user_sgpr_dispatch_ptr 0
		.amdhsa_user_sgpr_queue_ptr 0
		.amdhsa_user_sgpr_kernarg_segment_ptr 1
		.amdhsa_user_sgpr_dispatch_id 0
		.amdhsa_user_sgpr_flat_scratch_init 0
		.amdhsa_user_sgpr_kernarg_preload_length 0
		.amdhsa_user_sgpr_kernarg_preload_offset 0
		.amdhsa_user_sgpr_private_segment_size 0
		.amdhsa_uses_dynamic_stack 0
		.amdhsa_system_sgpr_private_segment_wavefront_offset 0
		.amdhsa_system_sgpr_workgroup_id_x 1
		.amdhsa_system_sgpr_workgroup_id_y 0
		.amdhsa_system_sgpr_workgroup_id_z 0
		.amdhsa_system_sgpr_workgroup_info 0
		.amdhsa_system_vgpr_workitem_id 0
		.amdhsa_next_free_vgpr 22
		.amdhsa_next_free_sgpr 28
		.amdhsa_accum_offset 24
		.amdhsa_reserve_vcc 1
		.amdhsa_reserve_flat_scratch 0
		.amdhsa_float_round_mode_32 0
		.amdhsa_float_round_mode_16_64 0
		.amdhsa_float_denorm_mode_32 3
		.amdhsa_float_denorm_mode_16_64 3
		.amdhsa_dx10_clamp 1
		.amdhsa_ieee_mode 1
		.amdhsa_fp16_overflow 0
		.amdhsa_tg_split 0
		.amdhsa_exception_fp_ieee_invalid_op 0
		.amdhsa_exception_fp_denorm_src 0
		.amdhsa_exception_fp_ieee_div_zero 0
		.amdhsa_exception_fp_ieee_overflow 0
		.amdhsa_exception_fp_ieee_underflow 0
		.amdhsa_exception_fp_ieee_inexact 0
		.amdhsa_exception_int_div_zero 0
	.end_amdhsa_kernel
	.section	.text._ZN7rocprim17ROCPRIM_400000_NS6detail17trampoline_kernelINS0_14default_configENS1_20scan_config_selectorIiEEZZNS1_9scan_implILNS1_25lookback_scan_determinismE0ELb0ELb0ES3_N6thrust23THRUST_200600_302600_NS6detail15normal_iteratorINS9_10device_ptrIiEEEESE_i19const_ref_plus_mod3IiEiEEDaPvRmT3_T4_T5_mT6_P12ihipStream_tbENKUlT_T0_E_clISt17integral_constantIbLb1EESU_EEDaSP_SQ_EUlSP_E0_NS1_11comp_targetILNS1_3genE4ELNS1_11target_archE910ELNS1_3gpuE8ELNS1_3repE0EEENS1_30default_config_static_selectorELNS0_4arch9wavefront6targetE1EEEvT1_,"axG",@progbits,_ZN7rocprim17ROCPRIM_400000_NS6detail17trampoline_kernelINS0_14default_configENS1_20scan_config_selectorIiEEZZNS1_9scan_implILNS1_25lookback_scan_determinismE0ELb0ELb0ES3_N6thrust23THRUST_200600_302600_NS6detail15normal_iteratorINS9_10device_ptrIiEEEESE_i19const_ref_plus_mod3IiEiEEDaPvRmT3_T4_T5_mT6_P12ihipStream_tbENKUlT_T0_E_clISt17integral_constantIbLb1EESU_EEDaSP_SQ_EUlSP_E0_NS1_11comp_targetILNS1_3genE4ELNS1_11target_archE910ELNS1_3gpuE8ELNS1_3repE0EEENS1_30default_config_static_selectorELNS0_4arch9wavefront6targetE1EEEvT1_,comdat
.Lfunc_end7009:
	.size	_ZN7rocprim17ROCPRIM_400000_NS6detail17trampoline_kernelINS0_14default_configENS1_20scan_config_selectorIiEEZZNS1_9scan_implILNS1_25lookback_scan_determinismE0ELb0ELb0ES3_N6thrust23THRUST_200600_302600_NS6detail15normal_iteratorINS9_10device_ptrIiEEEESE_i19const_ref_plus_mod3IiEiEEDaPvRmT3_T4_T5_mT6_P12ihipStream_tbENKUlT_T0_E_clISt17integral_constantIbLb1EESU_EEDaSP_SQ_EUlSP_E0_NS1_11comp_targetILNS1_3genE4ELNS1_11target_archE910ELNS1_3gpuE8ELNS1_3repE0EEENS1_30default_config_static_selectorELNS0_4arch9wavefront6targetE1EEEvT1_, .Lfunc_end7009-_ZN7rocprim17ROCPRIM_400000_NS6detail17trampoline_kernelINS0_14default_configENS1_20scan_config_selectorIiEEZZNS1_9scan_implILNS1_25lookback_scan_determinismE0ELb0ELb0ES3_N6thrust23THRUST_200600_302600_NS6detail15normal_iteratorINS9_10device_ptrIiEEEESE_i19const_ref_plus_mod3IiEiEEDaPvRmT3_T4_T5_mT6_P12ihipStream_tbENKUlT_T0_E_clISt17integral_constantIbLb1EESU_EEDaSP_SQ_EUlSP_E0_NS1_11comp_targetILNS1_3genE4ELNS1_11target_archE910ELNS1_3gpuE8ELNS1_3repE0EEENS1_30default_config_static_selectorELNS0_4arch9wavefront6targetE1EEEvT1_
                                        ; -- End function
	.section	.AMDGPU.csdata,"",@progbits
; Kernel info:
; codeLenInByte = 2736
; NumSgprs: 32
; NumVgprs: 22
; NumAgprs: 0
; TotalNumVgprs: 22
; ScratchSize: 0
; MemoryBound: 0
; FloatMode: 240
; IeeeMode: 1
; LDSByteSize: 5120 bytes/workgroup (compile time only)
; SGPRBlocks: 3
; VGPRBlocks: 2
; NumSGPRsForWavesPerEU: 32
; NumVGPRsForWavesPerEU: 22
; AccumOffset: 24
; Occupancy: 6
; WaveLimiterHint : 1
; COMPUTE_PGM_RSRC2:SCRATCH_EN: 0
; COMPUTE_PGM_RSRC2:USER_SGPR: 6
; COMPUTE_PGM_RSRC2:TRAP_HANDLER: 0
; COMPUTE_PGM_RSRC2:TGID_X_EN: 1
; COMPUTE_PGM_RSRC2:TGID_Y_EN: 0
; COMPUTE_PGM_RSRC2:TGID_Z_EN: 0
; COMPUTE_PGM_RSRC2:TIDIG_COMP_CNT: 0
; COMPUTE_PGM_RSRC3_GFX90A:ACCUM_OFFSET: 5
; COMPUTE_PGM_RSRC3_GFX90A:TG_SPLIT: 0
	.section	.text._ZN7rocprim17ROCPRIM_400000_NS6detail17trampoline_kernelINS0_14default_configENS1_20scan_config_selectorIiEEZZNS1_9scan_implILNS1_25lookback_scan_determinismE0ELb0ELb0ES3_N6thrust23THRUST_200600_302600_NS6detail15normal_iteratorINS9_10device_ptrIiEEEESE_i19const_ref_plus_mod3IiEiEEDaPvRmT3_T4_T5_mT6_P12ihipStream_tbENKUlT_T0_E_clISt17integral_constantIbLb1EESU_EEDaSP_SQ_EUlSP_E0_NS1_11comp_targetILNS1_3genE3ELNS1_11target_archE908ELNS1_3gpuE7ELNS1_3repE0EEENS1_30default_config_static_selectorELNS0_4arch9wavefront6targetE1EEEvT1_,"axG",@progbits,_ZN7rocprim17ROCPRIM_400000_NS6detail17trampoline_kernelINS0_14default_configENS1_20scan_config_selectorIiEEZZNS1_9scan_implILNS1_25lookback_scan_determinismE0ELb0ELb0ES3_N6thrust23THRUST_200600_302600_NS6detail15normal_iteratorINS9_10device_ptrIiEEEESE_i19const_ref_plus_mod3IiEiEEDaPvRmT3_T4_T5_mT6_P12ihipStream_tbENKUlT_T0_E_clISt17integral_constantIbLb1EESU_EEDaSP_SQ_EUlSP_E0_NS1_11comp_targetILNS1_3genE3ELNS1_11target_archE908ELNS1_3gpuE7ELNS1_3repE0EEENS1_30default_config_static_selectorELNS0_4arch9wavefront6targetE1EEEvT1_,comdat
	.protected	_ZN7rocprim17ROCPRIM_400000_NS6detail17trampoline_kernelINS0_14default_configENS1_20scan_config_selectorIiEEZZNS1_9scan_implILNS1_25lookback_scan_determinismE0ELb0ELb0ES3_N6thrust23THRUST_200600_302600_NS6detail15normal_iteratorINS9_10device_ptrIiEEEESE_i19const_ref_plus_mod3IiEiEEDaPvRmT3_T4_T5_mT6_P12ihipStream_tbENKUlT_T0_E_clISt17integral_constantIbLb1EESU_EEDaSP_SQ_EUlSP_E0_NS1_11comp_targetILNS1_3genE3ELNS1_11target_archE908ELNS1_3gpuE7ELNS1_3repE0EEENS1_30default_config_static_selectorELNS0_4arch9wavefront6targetE1EEEvT1_ ; -- Begin function _ZN7rocprim17ROCPRIM_400000_NS6detail17trampoline_kernelINS0_14default_configENS1_20scan_config_selectorIiEEZZNS1_9scan_implILNS1_25lookback_scan_determinismE0ELb0ELb0ES3_N6thrust23THRUST_200600_302600_NS6detail15normal_iteratorINS9_10device_ptrIiEEEESE_i19const_ref_plus_mod3IiEiEEDaPvRmT3_T4_T5_mT6_P12ihipStream_tbENKUlT_T0_E_clISt17integral_constantIbLb1EESU_EEDaSP_SQ_EUlSP_E0_NS1_11comp_targetILNS1_3genE3ELNS1_11target_archE908ELNS1_3gpuE7ELNS1_3repE0EEENS1_30default_config_static_selectorELNS0_4arch9wavefront6targetE1EEEvT1_
	.globl	_ZN7rocprim17ROCPRIM_400000_NS6detail17trampoline_kernelINS0_14default_configENS1_20scan_config_selectorIiEEZZNS1_9scan_implILNS1_25lookback_scan_determinismE0ELb0ELb0ES3_N6thrust23THRUST_200600_302600_NS6detail15normal_iteratorINS9_10device_ptrIiEEEESE_i19const_ref_plus_mod3IiEiEEDaPvRmT3_T4_T5_mT6_P12ihipStream_tbENKUlT_T0_E_clISt17integral_constantIbLb1EESU_EEDaSP_SQ_EUlSP_E0_NS1_11comp_targetILNS1_3genE3ELNS1_11target_archE908ELNS1_3gpuE7ELNS1_3repE0EEENS1_30default_config_static_selectorELNS0_4arch9wavefront6targetE1EEEvT1_
	.p2align	8
	.type	_ZN7rocprim17ROCPRIM_400000_NS6detail17trampoline_kernelINS0_14default_configENS1_20scan_config_selectorIiEEZZNS1_9scan_implILNS1_25lookback_scan_determinismE0ELb0ELb0ES3_N6thrust23THRUST_200600_302600_NS6detail15normal_iteratorINS9_10device_ptrIiEEEESE_i19const_ref_plus_mod3IiEiEEDaPvRmT3_T4_T5_mT6_P12ihipStream_tbENKUlT_T0_E_clISt17integral_constantIbLb1EESU_EEDaSP_SQ_EUlSP_E0_NS1_11comp_targetILNS1_3genE3ELNS1_11target_archE908ELNS1_3gpuE7ELNS1_3repE0EEENS1_30default_config_static_selectorELNS0_4arch9wavefront6targetE1EEEvT1_,@function
_ZN7rocprim17ROCPRIM_400000_NS6detail17trampoline_kernelINS0_14default_configENS1_20scan_config_selectorIiEEZZNS1_9scan_implILNS1_25lookback_scan_determinismE0ELb0ELb0ES3_N6thrust23THRUST_200600_302600_NS6detail15normal_iteratorINS9_10device_ptrIiEEEESE_i19const_ref_plus_mod3IiEiEEDaPvRmT3_T4_T5_mT6_P12ihipStream_tbENKUlT_T0_E_clISt17integral_constantIbLb1EESU_EEDaSP_SQ_EUlSP_E0_NS1_11comp_targetILNS1_3genE3ELNS1_11target_archE908ELNS1_3gpuE7ELNS1_3repE0EEENS1_30default_config_static_selectorELNS0_4arch9wavefront6targetE1EEEvT1_: ; @_ZN7rocprim17ROCPRIM_400000_NS6detail17trampoline_kernelINS0_14default_configENS1_20scan_config_selectorIiEEZZNS1_9scan_implILNS1_25lookback_scan_determinismE0ELb0ELb0ES3_N6thrust23THRUST_200600_302600_NS6detail15normal_iteratorINS9_10device_ptrIiEEEESE_i19const_ref_plus_mod3IiEiEEDaPvRmT3_T4_T5_mT6_P12ihipStream_tbENKUlT_T0_E_clISt17integral_constantIbLb1EESU_EEDaSP_SQ_EUlSP_E0_NS1_11comp_targetILNS1_3genE3ELNS1_11target_archE908ELNS1_3gpuE7ELNS1_3repE0EEENS1_30default_config_static_selectorELNS0_4arch9wavefront6targetE1EEEvT1_
; %bb.0:
	.section	.rodata,"a",@progbits
	.p2align	6, 0x0
	.amdhsa_kernel _ZN7rocprim17ROCPRIM_400000_NS6detail17trampoline_kernelINS0_14default_configENS1_20scan_config_selectorIiEEZZNS1_9scan_implILNS1_25lookback_scan_determinismE0ELb0ELb0ES3_N6thrust23THRUST_200600_302600_NS6detail15normal_iteratorINS9_10device_ptrIiEEEESE_i19const_ref_plus_mod3IiEiEEDaPvRmT3_T4_T5_mT6_P12ihipStream_tbENKUlT_T0_E_clISt17integral_constantIbLb1EESU_EEDaSP_SQ_EUlSP_E0_NS1_11comp_targetILNS1_3genE3ELNS1_11target_archE908ELNS1_3gpuE7ELNS1_3repE0EEENS1_30default_config_static_selectorELNS0_4arch9wavefront6targetE1EEEvT1_
		.amdhsa_group_segment_fixed_size 0
		.amdhsa_private_segment_fixed_size 0
		.amdhsa_kernarg_size 40
		.amdhsa_user_sgpr_count 6
		.amdhsa_user_sgpr_private_segment_buffer 1
		.amdhsa_user_sgpr_dispatch_ptr 0
		.amdhsa_user_sgpr_queue_ptr 0
		.amdhsa_user_sgpr_kernarg_segment_ptr 1
		.amdhsa_user_sgpr_dispatch_id 0
		.amdhsa_user_sgpr_flat_scratch_init 0
		.amdhsa_user_sgpr_kernarg_preload_length 0
		.amdhsa_user_sgpr_kernarg_preload_offset 0
		.amdhsa_user_sgpr_private_segment_size 0
		.amdhsa_uses_dynamic_stack 0
		.amdhsa_system_sgpr_private_segment_wavefront_offset 0
		.amdhsa_system_sgpr_workgroup_id_x 1
		.amdhsa_system_sgpr_workgroup_id_y 0
		.amdhsa_system_sgpr_workgroup_id_z 0
		.amdhsa_system_sgpr_workgroup_info 0
		.amdhsa_system_vgpr_workitem_id 0
		.amdhsa_next_free_vgpr 1
		.amdhsa_next_free_sgpr 0
		.amdhsa_accum_offset 4
		.amdhsa_reserve_vcc 0
		.amdhsa_reserve_flat_scratch 0
		.amdhsa_float_round_mode_32 0
		.amdhsa_float_round_mode_16_64 0
		.amdhsa_float_denorm_mode_32 3
		.amdhsa_float_denorm_mode_16_64 3
		.amdhsa_dx10_clamp 1
		.amdhsa_ieee_mode 1
		.amdhsa_fp16_overflow 0
		.amdhsa_tg_split 0
		.amdhsa_exception_fp_ieee_invalid_op 0
		.amdhsa_exception_fp_denorm_src 0
		.amdhsa_exception_fp_ieee_div_zero 0
		.amdhsa_exception_fp_ieee_overflow 0
		.amdhsa_exception_fp_ieee_underflow 0
		.amdhsa_exception_fp_ieee_inexact 0
		.amdhsa_exception_int_div_zero 0
	.end_amdhsa_kernel
	.section	.text._ZN7rocprim17ROCPRIM_400000_NS6detail17trampoline_kernelINS0_14default_configENS1_20scan_config_selectorIiEEZZNS1_9scan_implILNS1_25lookback_scan_determinismE0ELb0ELb0ES3_N6thrust23THRUST_200600_302600_NS6detail15normal_iteratorINS9_10device_ptrIiEEEESE_i19const_ref_plus_mod3IiEiEEDaPvRmT3_T4_T5_mT6_P12ihipStream_tbENKUlT_T0_E_clISt17integral_constantIbLb1EESU_EEDaSP_SQ_EUlSP_E0_NS1_11comp_targetILNS1_3genE3ELNS1_11target_archE908ELNS1_3gpuE7ELNS1_3repE0EEENS1_30default_config_static_selectorELNS0_4arch9wavefront6targetE1EEEvT1_,"axG",@progbits,_ZN7rocprim17ROCPRIM_400000_NS6detail17trampoline_kernelINS0_14default_configENS1_20scan_config_selectorIiEEZZNS1_9scan_implILNS1_25lookback_scan_determinismE0ELb0ELb0ES3_N6thrust23THRUST_200600_302600_NS6detail15normal_iteratorINS9_10device_ptrIiEEEESE_i19const_ref_plus_mod3IiEiEEDaPvRmT3_T4_T5_mT6_P12ihipStream_tbENKUlT_T0_E_clISt17integral_constantIbLb1EESU_EEDaSP_SQ_EUlSP_E0_NS1_11comp_targetILNS1_3genE3ELNS1_11target_archE908ELNS1_3gpuE7ELNS1_3repE0EEENS1_30default_config_static_selectorELNS0_4arch9wavefront6targetE1EEEvT1_,comdat
.Lfunc_end7010:
	.size	_ZN7rocprim17ROCPRIM_400000_NS6detail17trampoline_kernelINS0_14default_configENS1_20scan_config_selectorIiEEZZNS1_9scan_implILNS1_25lookback_scan_determinismE0ELb0ELb0ES3_N6thrust23THRUST_200600_302600_NS6detail15normal_iteratorINS9_10device_ptrIiEEEESE_i19const_ref_plus_mod3IiEiEEDaPvRmT3_T4_T5_mT6_P12ihipStream_tbENKUlT_T0_E_clISt17integral_constantIbLb1EESU_EEDaSP_SQ_EUlSP_E0_NS1_11comp_targetILNS1_3genE3ELNS1_11target_archE908ELNS1_3gpuE7ELNS1_3repE0EEENS1_30default_config_static_selectorELNS0_4arch9wavefront6targetE1EEEvT1_, .Lfunc_end7010-_ZN7rocprim17ROCPRIM_400000_NS6detail17trampoline_kernelINS0_14default_configENS1_20scan_config_selectorIiEEZZNS1_9scan_implILNS1_25lookback_scan_determinismE0ELb0ELb0ES3_N6thrust23THRUST_200600_302600_NS6detail15normal_iteratorINS9_10device_ptrIiEEEESE_i19const_ref_plus_mod3IiEiEEDaPvRmT3_T4_T5_mT6_P12ihipStream_tbENKUlT_T0_E_clISt17integral_constantIbLb1EESU_EEDaSP_SQ_EUlSP_E0_NS1_11comp_targetILNS1_3genE3ELNS1_11target_archE908ELNS1_3gpuE7ELNS1_3repE0EEENS1_30default_config_static_selectorELNS0_4arch9wavefront6targetE1EEEvT1_
                                        ; -- End function
	.section	.AMDGPU.csdata,"",@progbits
; Kernel info:
; codeLenInByte = 0
; NumSgprs: 4
; NumVgprs: 0
; NumAgprs: 0
; TotalNumVgprs: 0
; ScratchSize: 0
; MemoryBound: 0
; FloatMode: 240
; IeeeMode: 1
; LDSByteSize: 0 bytes/workgroup (compile time only)
; SGPRBlocks: 0
; VGPRBlocks: 0
; NumSGPRsForWavesPerEU: 4
; NumVGPRsForWavesPerEU: 1
; AccumOffset: 4
; Occupancy: 8
; WaveLimiterHint : 0
; COMPUTE_PGM_RSRC2:SCRATCH_EN: 0
; COMPUTE_PGM_RSRC2:USER_SGPR: 6
; COMPUTE_PGM_RSRC2:TRAP_HANDLER: 0
; COMPUTE_PGM_RSRC2:TGID_X_EN: 1
; COMPUTE_PGM_RSRC2:TGID_Y_EN: 0
; COMPUTE_PGM_RSRC2:TGID_Z_EN: 0
; COMPUTE_PGM_RSRC2:TIDIG_COMP_CNT: 0
; COMPUTE_PGM_RSRC3_GFX90A:ACCUM_OFFSET: 0
; COMPUTE_PGM_RSRC3_GFX90A:TG_SPLIT: 0
	.section	.text._ZN7rocprim17ROCPRIM_400000_NS6detail17trampoline_kernelINS0_14default_configENS1_20scan_config_selectorIiEEZZNS1_9scan_implILNS1_25lookback_scan_determinismE0ELb0ELb0ES3_N6thrust23THRUST_200600_302600_NS6detail15normal_iteratorINS9_10device_ptrIiEEEESE_i19const_ref_plus_mod3IiEiEEDaPvRmT3_T4_T5_mT6_P12ihipStream_tbENKUlT_T0_E_clISt17integral_constantIbLb1EESU_EEDaSP_SQ_EUlSP_E0_NS1_11comp_targetILNS1_3genE2ELNS1_11target_archE906ELNS1_3gpuE6ELNS1_3repE0EEENS1_30default_config_static_selectorELNS0_4arch9wavefront6targetE1EEEvT1_,"axG",@progbits,_ZN7rocprim17ROCPRIM_400000_NS6detail17trampoline_kernelINS0_14default_configENS1_20scan_config_selectorIiEEZZNS1_9scan_implILNS1_25lookback_scan_determinismE0ELb0ELb0ES3_N6thrust23THRUST_200600_302600_NS6detail15normal_iteratorINS9_10device_ptrIiEEEESE_i19const_ref_plus_mod3IiEiEEDaPvRmT3_T4_T5_mT6_P12ihipStream_tbENKUlT_T0_E_clISt17integral_constantIbLb1EESU_EEDaSP_SQ_EUlSP_E0_NS1_11comp_targetILNS1_3genE2ELNS1_11target_archE906ELNS1_3gpuE6ELNS1_3repE0EEENS1_30default_config_static_selectorELNS0_4arch9wavefront6targetE1EEEvT1_,comdat
	.protected	_ZN7rocprim17ROCPRIM_400000_NS6detail17trampoline_kernelINS0_14default_configENS1_20scan_config_selectorIiEEZZNS1_9scan_implILNS1_25lookback_scan_determinismE0ELb0ELb0ES3_N6thrust23THRUST_200600_302600_NS6detail15normal_iteratorINS9_10device_ptrIiEEEESE_i19const_ref_plus_mod3IiEiEEDaPvRmT3_T4_T5_mT6_P12ihipStream_tbENKUlT_T0_E_clISt17integral_constantIbLb1EESU_EEDaSP_SQ_EUlSP_E0_NS1_11comp_targetILNS1_3genE2ELNS1_11target_archE906ELNS1_3gpuE6ELNS1_3repE0EEENS1_30default_config_static_selectorELNS0_4arch9wavefront6targetE1EEEvT1_ ; -- Begin function _ZN7rocprim17ROCPRIM_400000_NS6detail17trampoline_kernelINS0_14default_configENS1_20scan_config_selectorIiEEZZNS1_9scan_implILNS1_25lookback_scan_determinismE0ELb0ELb0ES3_N6thrust23THRUST_200600_302600_NS6detail15normal_iteratorINS9_10device_ptrIiEEEESE_i19const_ref_plus_mod3IiEiEEDaPvRmT3_T4_T5_mT6_P12ihipStream_tbENKUlT_T0_E_clISt17integral_constantIbLb1EESU_EEDaSP_SQ_EUlSP_E0_NS1_11comp_targetILNS1_3genE2ELNS1_11target_archE906ELNS1_3gpuE6ELNS1_3repE0EEENS1_30default_config_static_selectorELNS0_4arch9wavefront6targetE1EEEvT1_
	.globl	_ZN7rocprim17ROCPRIM_400000_NS6detail17trampoline_kernelINS0_14default_configENS1_20scan_config_selectorIiEEZZNS1_9scan_implILNS1_25lookback_scan_determinismE0ELb0ELb0ES3_N6thrust23THRUST_200600_302600_NS6detail15normal_iteratorINS9_10device_ptrIiEEEESE_i19const_ref_plus_mod3IiEiEEDaPvRmT3_T4_T5_mT6_P12ihipStream_tbENKUlT_T0_E_clISt17integral_constantIbLb1EESU_EEDaSP_SQ_EUlSP_E0_NS1_11comp_targetILNS1_3genE2ELNS1_11target_archE906ELNS1_3gpuE6ELNS1_3repE0EEENS1_30default_config_static_selectorELNS0_4arch9wavefront6targetE1EEEvT1_
	.p2align	8
	.type	_ZN7rocprim17ROCPRIM_400000_NS6detail17trampoline_kernelINS0_14default_configENS1_20scan_config_selectorIiEEZZNS1_9scan_implILNS1_25lookback_scan_determinismE0ELb0ELb0ES3_N6thrust23THRUST_200600_302600_NS6detail15normal_iteratorINS9_10device_ptrIiEEEESE_i19const_ref_plus_mod3IiEiEEDaPvRmT3_T4_T5_mT6_P12ihipStream_tbENKUlT_T0_E_clISt17integral_constantIbLb1EESU_EEDaSP_SQ_EUlSP_E0_NS1_11comp_targetILNS1_3genE2ELNS1_11target_archE906ELNS1_3gpuE6ELNS1_3repE0EEENS1_30default_config_static_selectorELNS0_4arch9wavefront6targetE1EEEvT1_,@function
_ZN7rocprim17ROCPRIM_400000_NS6detail17trampoline_kernelINS0_14default_configENS1_20scan_config_selectorIiEEZZNS1_9scan_implILNS1_25lookback_scan_determinismE0ELb0ELb0ES3_N6thrust23THRUST_200600_302600_NS6detail15normal_iteratorINS9_10device_ptrIiEEEESE_i19const_ref_plus_mod3IiEiEEDaPvRmT3_T4_T5_mT6_P12ihipStream_tbENKUlT_T0_E_clISt17integral_constantIbLb1EESU_EEDaSP_SQ_EUlSP_E0_NS1_11comp_targetILNS1_3genE2ELNS1_11target_archE906ELNS1_3gpuE6ELNS1_3repE0EEENS1_30default_config_static_selectorELNS0_4arch9wavefront6targetE1EEEvT1_: ; @_ZN7rocprim17ROCPRIM_400000_NS6detail17trampoline_kernelINS0_14default_configENS1_20scan_config_selectorIiEEZZNS1_9scan_implILNS1_25lookback_scan_determinismE0ELb0ELb0ES3_N6thrust23THRUST_200600_302600_NS6detail15normal_iteratorINS9_10device_ptrIiEEEESE_i19const_ref_plus_mod3IiEiEEDaPvRmT3_T4_T5_mT6_P12ihipStream_tbENKUlT_T0_E_clISt17integral_constantIbLb1EESU_EEDaSP_SQ_EUlSP_E0_NS1_11comp_targetILNS1_3genE2ELNS1_11target_archE906ELNS1_3gpuE6ELNS1_3repE0EEENS1_30default_config_static_selectorELNS0_4arch9wavefront6targetE1EEEvT1_
; %bb.0:
	.section	.rodata,"a",@progbits
	.p2align	6, 0x0
	.amdhsa_kernel _ZN7rocprim17ROCPRIM_400000_NS6detail17trampoline_kernelINS0_14default_configENS1_20scan_config_selectorIiEEZZNS1_9scan_implILNS1_25lookback_scan_determinismE0ELb0ELb0ES3_N6thrust23THRUST_200600_302600_NS6detail15normal_iteratorINS9_10device_ptrIiEEEESE_i19const_ref_plus_mod3IiEiEEDaPvRmT3_T4_T5_mT6_P12ihipStream_tbENKUlT_T0_E_clISt17integral_constantIbLb1EESU_EEDaSP_SQ_EUlSP_E0_NS1_11comp_targetILNS1_3genE2ELNS1_11target_archE906ELNS1_3gpuE6ELNS1_3repE0EEENS1_30default_config_static_selectorELNS0_4arch9wavefront6targetE1EEEvT1_
		.amdhsa_group_segment_fixed_size 0
		.amdhsa_private_segment_fixed_size 0
		.amdhsa_kernarg_size 40
		.amdhsa_user_sgpr_count 6
		.amdhsa_user_sgpr_private_segment_buffer 1
		.amdhsa_user_sgpr_dispatch_ptr 0
		.amdhsa_user_sgpr_queue_ptr 0
		.amdhsa_user_sgpr_kernarg_segment_ptr 1
		.amdhsa_user_sgpr_dispatch_id 0
		.amdhsa_user_sgpr_flat_scratch_init 0
		.amdhsa_user_sgpr_kernarg_preload_length 0
		.amdhsa_user_sgpr_kernarg_preload_offset 0
		.amdhsa_user_sgpr_private_segment_size 0
		.amdhsa_uses_dynamic_stack 0
		.amdhsa_system_sgpr_private_segment_wavefront_offset 0
		.amdhsa_system_sgpr_workgroup_id_x 1
		.amdhsa_system_sgpr_workgroup_id_y 0
		.amdhsa_system_sgpr_workgroup_id_z 0
		.amdhsa_system_sgpr_workgroup_info 0
		.amdhsa_system_vgpr_workitem_id 0
		.amdhsa_next_free_vgpr 1
		.amdhsa_next_free_sgpr 0
		.amdhsa_accum_offset 4
		.amdhsa_reserve_vcc 0
		.amdhsa_reserve_flat_scratch 0
		.amdhsa_float_round_mode_32 0
		.amdhsa_float_round_mode_16_64 0
		.amdhsa_float_denorm_mode_32 3
		.amdhsa_float_denorm_mode_16_64 3
		.amdhsa_dx10_clamp 1
		.amdhsa_ieee_mode 1
		.amdhsa_fp16_overflow 0
		.amdhsa_tg_split 0
		.amdhsa_exception_fp_ieee_invalid_op 0
		.amdhsa_exception_fp_denorm_src 0
		.amdhsa_exception_fp_ieee_div_zero 0
		.amdhsa_exception_fp_ieee_overflow 0
		.amdhsa_exception_fp_ieee_underflow 0
		.amdhsa_exception_fp_ieee_inexact 0
		.amdhsa_exception_int_div_zero 0
	.end_amdhsa_kernel
	.section	.text._ZN7rocprim17ROCPRIM_400000_NS6detail17trampoline_kernelINS0_14default_configENS1_20scan_config_selectorIiEEZZNS1_9scan_implILNS1_25lookback_scan_determinismE0ELb0ELb0ES3_N6thrust23THRUST_200600_302600_NS6detail15normal_iteratorINS9_10device_ptrIiEEEESE_i19const_ref_plus_mod3IiEiEEDaPvRmT3_T4_T5_mT6_P12ihipStream_tbENKUlT_T0_E_clISt17integral_constantIbLb1EESU_EEDaSP_SQ_EUlSP_E0_NS1_11comp_targetILNS1_3genE2ELNS1_11target_archE906ELNS1_3gpuE6ELNS1_3repE0EEENS1_30default_config_static_selectorELNS0_4arch9wavefront6targetE1EEEvT1_,"axG",@progbits,_ZN7rocprim17ROCPRIM_400000_NS6detail17trampoline_kernelINS0_14default_configENS1_20scan_config_selectorIiEEZZNS1_9scan_implILNS1_25lookback_scan_determinismE0ELb0ELb0ES3_N6thrust23THRUST_200600_302600_NS6detail15normal_iteratorINS9_10device_ptrIiEEEESE_i19const_ref_plus_mod3IiEiEEDaPvRmT3_T4_T5_mT6_P12ihipStream_tbENKUlT_T0_E_clISt17integral_constantIbLb1EESU_EEDaSP_SQ_EUlSP_E0_NS1_11comp_targetILNS1_3genE2ELNS1_11target_archE906ELNS1_3gpuE6ELNS1_3repE0EEENS1_30default_config_static_selectorELNS0_4arch9wavefront6targetE1EEEvT1_,comdat
.Lfunc_end7011:
	.size	_ZN7rocprim17ROCPRIM_400000_NS6detail17trampoline_kernelINS0_14default_configENS1_20scan_config_selectorIiEEZZNS1_9scan_implILNS1_25lookback_scan_determinismE0ELb0ELb0ES3_N6thrust23THRUST_200600_302600_NS6detail15normal_iteratorINS9_10device_ptrIiEEEESE_i19const_ref_plus_mod3IiEiEEDaPvRmT3_T4_T5_mT6_P12ihipStream_tbENKUlT_T0_E_clISt17integral_constantIbLb1EESU_EEDaSP_SQ_EUlSP_E0_NS1_11comp_targetILNS1_3genE2ELNS1_11target_archE906ELNS1_3gpuE6ELNS1_3repE0EEENS1_30default_config_static_selectorELNS0_4arch9wavefront6targetE1EEEvT1_, .Lfunc_end7011-_ZN7rocprim17ROCPRIM_400000_NS6detail17trampoline_kernelINS0_14default_configENS1_20scan_config_selectorIiEEZZNS1_9scan_implILNS1_25lookback_scan_determinismE0ELb0ELb0ES3_N6thrust23THRUST_200600_302600_NS6detail15normal_iteratorINS9_10device_ptrIiEEEESE_i19const_ref_plus_mod3IiEiEEDaPvRmT3_T4_T5_mT6_P12ihipStream_tbENKUlT_T0_E_clISt17integral_constantIbLb1EESU_EEDaSP_SQ_EUlSP_E0_NS1_11comp_targetILNS1_3genE2ELNS1_11target_archE906ELNS1_3gpuE6ELNS1_3repE0EEENS1_30default_config_static_selectorELNS0_4arch9wavefront6targetE1EEEvT1_
                                        ; -- End function
	.section	.AMDGPU.csdata,"",@progbits
; Kernel info:
; codeLenInByte = 0
; NumSgprs: 4
; NumVgprs: 0
; NumAgprs: 0
; TotalNumVgprs: 0
; ScratchSize: 0
; MemoryBound: 0
; FloatMode: 240
; IeeeMode: 1
; LDSByteSize: 0 bytes/workgroup (compile time only)
; SGPRBlocks: 0
; VGPRBlocks: 0
; NumSGPRsForWavesPerEU: 4
; NumVGPRsForWavesPerEU: 1
; AccumOffset: 4
; Occupancy: 8
; WaveLimiterHint : 0
; COMPUTE_PGM_RSRC2:SCRATCH_EN: 0
; COMPUTE_PGM_RSRC2:USER_SGPR: 6
; COMPUTE_PGM_RSRC2:TRAP_HANDLER: 0
; COMPUTE_PGM_RSRC2:TGID_X_EN: 1
; COMPUTE_PGM_RSRC2:TGID_Y_EN: 0
; COMPUTE_PGM_RSRC2:TGID_Z_EN: 0
; COMPUTE_PGM_RSRC2:TIDIG_COMP_CNT: 0
; COMPUTE_PGM_RSRC3_GFX90A:ACCUM_OFFSET: 0
; COMPUTE_PGM_RSRC3_GFX90A:TG_SPLIT: 0
	.section	.text._ZN7rocprim17ROCPRIM_400000_NS6detail17trampoline_kernelINS0_14default_configENS1_20scan_config_selectorIiEEZZNS1_9scan_implILNS1_25lookback_scan_determinismE0ELb0ELb0ES3_N6thrust23THRUST_200600_302600_NS6detail15normal_iteratorINS9_10device_ptrIiEEEESE_i19const_ref_plus_mod3IiEiEEDaPvRmT3_T4_T5_mT6_P12ihipStream_tbENKUlT_T0_E_clISt17integral_constantIbLb1EESU_EEDaSP_SQ_EUlSP_E0_NS1_11comp_targetILNS1_3genE10ELNS1_11target_archE1201ELNS1_3gpuE5ELNS1_3repE0EEENS1_30default_config_static_selectorELNS0_4arch9wavefront6targetE1EEEvT1_,"axG",@progbits,_ZN7rocprim17ROCPRIM_400000_NS6detail17trampoline_kernelINS0_14default_configENS1_20scan_config_selectorIiEEZZNS1_9scan_implILNS1_25lookback_scan_determinismE0ELb0ELb0ES3_N6thrust23THRUST_200600_302600_NS6detail15normal_iteratorINS9_10device_ptrIiEEEESE_i19const_ref_plus_mod3IiEiEEDaPvRmT3_T4_T5_mT6_P12ihipStream_tbENKUlT_T0_E_clISt17integral_constantIbLb1EESU_EEDaSP_SQ_EUlSP_E0_NS1_11comp_targetILNS1_3genE10ELNS1_11target_archE1201ELNS1_3gpuE5ELNS1_3repE0EEENS1_30default_config_static_selectorELNS0_4arch9wavefront6targetE1EEEvT1_,comdat
	.protected	_ZN7rocprim17ROCPRIM_400000_NS6detail17trampoline_kernelINS0_14default_configENS1_20scan_config_selectorIiEEZZNS1_9scan_implILNS1_25lookback_scan_determinismE0ELb0ELb0ES3_N6thrust23THRUST_200600_302600_NS6detail15normal_iteratorINS9_10device_ptrIiEEEESE_i19const_ref_plus_mod3IiEiEEDaPvRmT3_T4_T5_mT6_P12ihipStream_tbENKUlT_T0_E_clISt17integral_constantIbLb1EESU_EEDaSP_SQ_EUlSP_E0_NS1_11comp_targetILNS1_3genE10ELNS1_11target_archE1201ELNS1_3gpuE5ELNS1_3repE0EEENS1_30default_config_static_selectorELNS0_4arch9wavefront6targetE1EEEvT1_ ; -- Begin function _ZN7rocprim17ROCPRIM_400000_NS6detail17trampoline_kernelINS0_14default_configENS1_20scan_config_selectorIiEEZZNS1_9scan_implILNS1_25lookback_scan_determinismE0ELb0ELb0ES3_N6thrust23THRUST_200600_302600_NS6detail15normal_iteratorINS9_10device_ptrIiEEEESE_i19const_ref_plus_mod3IiEiEEDaPvRmT3_T4_T5_mT6_P12ihipStream_tbENKUlT_T0_E_clISt17integral_constantIbLb1EESU_EEDaSP_SQ_EUlSP_E0_NS1_11comp_targetILNS1_3genE10ELNS1_11target_archE1201ELNS1_3gpuE5ELNS1_3repE0EEENS1_30default_config_static_selectorELNS0_4arch9wavefront6targetE1EEEvT1_
	.globl	_ZN7rocprim17ROCPRIM_400000_NS6detail17trampoline_kernelINS0_14default_configENS1_20scan_config_selectorIiEEZZNS1_9scan_implILNS1_25lookback_scan_determinismE0ELb0ELb0ES3_N6thrust23THRUST_200600_302600_NS6detail15normal_iteratorINS9_10device_ptrIiEEEESE_i19const_ref_plus_mod3IiEiEEDaPvRmT3_T4_T5_mT6_P12ihipStream_tbENKUlT_T0_E_clISt17integral_constantIbLb1EESU_EEDaSP_SQ_EUlSP_E0_NS1_11comp_targetILNS1_3genE10ELNS1_11target_archE1201ELNS1_3gpuE5ELNS1_3repE0EEENS1_30default_config_static_selectorELNS0_4arch9wavefront6targetE1EEEvT1_
	.p2align	8
	.type	_ZN7rocprim17ROCPRIM_400000_NS6detail17trampoline_kernelINS0_14default_configENS1_20scan_config_selectorIiEEZZNS1_9scan_implILNS1_25lookback_scan_determinismE0ELb0ELb0ES3_N6thrust23THRUST_200600_302600_NS6detail15normal_iteratorINS9_10device_ptrIiEEEESE_i19const_ref_plus_mod3IiEiEEDaPvRmT3_T4_T5_mT6_P12ihipStream_tbENKUlT_T0_E_clISt17integral_constantIbLb1EESU_EEDaSP_SQ_EUlSP_E0_NS1_11comp_targetILNS1_3genE10ELNS1_11target_archE1201ELNS1_3gpuE5ELNS1_3repE0EEENS1_30default_config_static_selectorELNS0_4arch9wavefront6targetE1EEEvT1_,@function
_ZN7rocprim17ROCPRIM_400000_NS6detail17trampoline_kernelINS0_14default_configENS1_20scan_config_selectorIiEEZZNS1_9scan_implILNS1_25lookback_scan_determinismE0ELb0ELb0ES3_N6thrust23THRUST_200600_302600_NS6detail15normal_iteratorINS9_10device_ptrIiEEEESE_i19const_ref_plus_mod3IiEiEEDaPvRmT3_T4_T5_mT6_P12ihipStream_tbENKUlT_T0_E_clISt17integral_constantIbLb1EESU_EEDaSP_SQ_EUlSP_E0_NS1_11comp_targetILNS1_3genE10ELNS1_11target_archE1201ELNS1_3gpuE5ELNS1_3repE0EEENS1_30default_config_static_selectorELNS0_4arch9wavefront6targetE1EEEvT1_: ; @_ZN7rocprim17ROCPRIM_400000_NS6detail17trampoline_kernelINS0_14default_configENS1_20scan_config_selectorIiEEZZNS1_9scan_implILNS1_25lookback_scan_determinismE0ELb0ELb0ES3_N6thrust23THRUST_200600_302600_NS6detail15normal_iteratorINS9_10device_ptrIiEEEESE_i19const_ref_plus_mod3IiEiEEDaPvRmT3_T4_T5_mT6_P12ihipStream_tbENKUlT_T0_E_clISt17integral_constantIbLb1EESU_EEDaSP_SQ_EUlSP_E0_NS1_11comp_targetILNS1_3genE10ELNS1_11target_archE1201ELNS1_3gpuE5ELNS1_3repE0EEENS1_30default_config_static_selectorELNS0_4arch9wavefront6targetE1EEEvT1_
; %bb.0:
	.section	.rodata,"a",@progbits
	.p2align	6, 0x0
	.amdhsa_kernel _ZN7rocprim17ROCPRIM_400000_NS6detail17trampoline_kernelINS0_14default_configENS1_20scan_config_selectorIiEEZZNS1_9scan_implILNS1_25lookback_scan_determinismE0ELb0ELb0ES3_N6thrust23THRUST_200600_302600_NS6detail15normal_iteratorINS9_10device_ptrIiEEEESE_i19const_ref_plus_mod3IiEiEEDaPvRmT3_T4_T5_mT6_P12ihipStream_tbENKUlT_T0_E_clISt17integral_constantIbLb1EESU_EEDaSP_SQ_EUlSP_E0_NS1_11comp_targetILNS1_3genE10ELNS1_11target_archE1201ELNS1_3gpuE5ELNS1_3repE0EEENS1_30default_config_static_selectorELNS0_4arch9wavefront6targetE1EEEvT1_
		.amdhsa_group_segment_fixed_size 0
		.amdhsa_private_segment_fixed_size 0
		.amdhsa_kernarg_size 40
		.amdhsa_user_sgpr_count 6
		.amdhsa_user_sgpr_private_segment_buffer 1
		.amdhsa_user_sgpr_dispatch_ptr 0
		.amdhsa_user_sgpr_queue_ptr 0
		.amdhsa_user_sgpr_kernarg_segment_ptr 1
		.amdhsa_user_sgpr_dispatch_id 0
		.amdhsa_user_sgpr_flat_scratch_init 0
		.amdhsa_user_sgpr_kernarg_preload_length 0
		.amdhsa_user_sgpr_kernarg_preload_offset 0
		.amdhsa_user_sgpr_private_segment_size 0
		.amdhsa_uses_dynamic_stack 0
		.amdhsa_system_sgpr_private_segment_wavefront_offset 0
		.amdhsa_system_sgpr_workgroup_id_x 1
		.amdhsa_system_sgpr_workgroup_id_y 0
		.amdhsa_system_sgpr_workgroup_id_z 0
		.amdhsa_system_sgpr_workgroup_info 0
		.amdhsa_system_vgpr_workitem_id 0
		.amdhsa_next_free_vgpr 1
		.amdhsa_next_free_sgpr 0
		.amdhsa_accum_offset 4
		.amdhsa_reserve_vcc 0
		.amdhsa_reserve_flat_scratch 0
		.amdhsa_float_round_mode_32 0
		.amdhsa_float_round_mode_16_64 0
		.amdhsa_float_denorm_mode_32 3
		.amdhsa_float_denorm_mode_16_64 3
		.amdhsa_dx10_clamp 1
		.amdhsa_ieee_mode 1
		.amdhsa_fp16_overflow 0
		.amdhsa_tg_split 0
		.amdhsa_exception_fp_ieee_invalid_op 0
		.amdhsa_exception_fp_denorm_src 0
		.amdhsa_exception_fp_ieee_div_zero 0
		.amdhsa_exception_fp_ieee_overflow 0
		.amdhsa_exception_fp_ieee_underflow 0
		.amdhsa_exception_fp_ieee_inexact 0
		.amdhsa_exception_int_div_zero 0
	.end_amdhsa_kernel
	.section	.text._ZN7rocprim17ROCPRIM_400000_NS6detail17trampoline_kernelINS0_14default_configENS1_20scan_config_selectorIiEEZZNS1_9scan_implILNS1_25lookback_scan_determinismE0ELb0ELb0ES3_N6thrust23THRUST_200600_302600_NS6detail15normal_iteratorINS9_10device_ptrIiEEEESE_i19const_ref_plus_mod3IiEiEEDaPvRmT3_T4_T5_mT6_P12ihipStream_tbENKUlT_T0_E_clISt17integral_constantIbLb1EESU_EEDaSP_SQ_EUlSP_E0_NS1_11comp_targetILNS1_3genE10ELNS1_11target_archE1201ELNS1_3gpuE5ELNS1_3repE0EEENS1_30default_config_static_selectorELNS0_4arch9wavefront6targetE1EEEvT1_,"axG",@progbits,_ZN7rocprim17ROCPRIM_400000_NS6detail17trampoline_kernelINS0_14default_configENS1_20scan_config_selectorIiEEZZNS1_9scan_implILNS1_25lookback_scan_determinismE0ELb0ELb0ES3_N6thrust23THRUST_200600_302600_NS6detail15normal_iteratorINS9_10device_ptrIiEEEESE_i19const_ref_plus_mod3IiEiEEDaPvRmT3_T4_T5_mT6_P12ihipStream_tbENKUlT_T0_E_clISt17integral_constantIbLb1EESU_EEDaSP_SQ_EUlSP_E0_NS1_11comp_targetILNS1_3genE10ELNS1_11target_archE1201ELNS1_3gpuE5ELNS1_3repE0EEENS1_30default_config_static_selectorELNS0_4arch9wavefront6targetE1EEEvT1_,comdat
.Lfunc_end7012:
	.size	_ZN7rocprim17ROCPRIM_400000_NS6detail17trampoline_kernelINS0_14default_configENS1_20scan_config_selectorIiEEZZNS1_9scan_implILNS1_25lookback_scan_determinismE0ELb0ELb0ES3_N6thrust23THRUST_200600_302600_NS6detail15normal_iteratorINS9_10device_ptrIiEEEESE_i19const_ref_plus_mod3IiEiEEDaPvRmT3_T4_T5_mT6_P12ihipStream_tbENKUlT_T0_E_clISt17integral_constantIbLb1EESU_EEDaSP_SQ_EUlSP_E0_NS1_11comp_targetILNS1_3genE10ELNS1_11target_archE1201ELNS1_3gpuE5ELNS1_3repE0EEENS1_30default_config_static_selectorELNS0_4arch9wavefront6targetE1EEEvT1_, .Lfunc_end7012-_ZN7rocprim17ROCPRIM_400000_NS6detail17trampoline_kernelINS0_14default_configENS1_20scan_config_selectorIiEEZZNS1_9scan_implILNS1_25lookback_scan_determinismE0ELb0ELb0ES3_N6thrust23THRUST_200600_302600_NS6detail15normal_iteratorINS9_10device_ptrIiEEEESE_i19const_ref_plus_mod3IiEiEEDaPvRmT3_T4_T5_mT6_P12ihipStream_tbENKUlT_T0_E_clISt17integral_constantIbLb1EESU_EEDaSP_SQ_EUlSP_E0_NS1_11comp_targetILNS1_3genE10ELNS1_11target_archE1201ELNS1_3gpuE5ELNS1_3repE0EEENS1_30default_config_static_selectorELNS0_4arch9wavefront6targetE1EEEvT1_
                                        ; -- End function
	.section	.AMDGPU.csdata,"",@progbits
; Kernel info:
; codeLenInByte = 0
; NumSgprs: 4
; NumVgprs: 0
; NumAgprs: 0
; TotalNumVgprs: 0
; ScratchSize: 0
; MemoryBound: 0
; FloatMode: 240
; IeeeMode: 1
; LDSByteSize: 0 bytes/workgroup (compile time only)
; SGPRBlocks: 0
; VGPRBlocks: 0
; NumSGPRsForWavesPerEU: 4
; NumVGPRsForWavesPerEU: 1
; AccumOffset: 4
; Occupancy: 8
; WaveLimiterHint : 0
; COMPUTE_PGM_RSRC2:SCRATCH_EN: 0
; COMPUTE_PGM_RSRC2:USER_SGPR: 6
; COMPUTE_PGM_RSRC2:TRAP_HANDLER: 0
; COMPUTE_PGM_RSRC2:TGID_X_EN: 1
; COMPUTE_PGM_RSRC2:TGID_Y_EN: 0
; COMPUTE_PGM_RSRC2:TGID_Z_EN: 0
; COMPUTE_PGM_RSRC2:TIDIG_COMP_CNT: 0
; COMPUTE_PGM_RSRC3_GFX90A:ACCUM_OFFSET: 0
; COMPUTE_PGM_RSRC3_GFX90A:TG_SPLIT: 0
	.section	.text._ZN7rocprim17ROCPRIM_400000_NS6detail17trampoline_kernelINS0_14default_configENS1_20scan_config_selectorIiEEZZNS1_9scan_implILNS1_25lookback_scan_determinismE0ELb0ELb0ES3_N6thrust23THRUST_200600_302600_NS6detail15normal_iteratorINS9_10device_ptrIiEEEESE_i19const_ref_plus_mod3IiEiEEDaPvRmT3_T4_T5_mT6_P12ihipStream_tbENKUlT_T0_E_clISt17integral_constantIbLb1EESU_EEDaSP_SQ_EUlSP_E0_NS1_11comp_targetILNS1_3genE10ELNS1_11target_archE1200ELNS1_3gpuE4ELNS1_3repE0EEENS1_30default_config_static_selectorELNS0_4arch9wavefront6targetE1EEEvT1_,"axG",@progbits,_ZN7rocprim17ROCPRIM_400000_NS6detail17trampoline_kernelINS0_14default_configENS1_20scan_config_selectorIiEEZZNS1_9scan_implILNS1_25lookback_scan_determinismE0ELb0ELb0ES3_N6thrust23THRUST_200600_302600_NS6detail15normal_iteratorINS9_10device_ptrIiEEEESE_i19const_ref_plus_mod3IiEiEEDaPvRmT3_T4_T5_mT6_P12ihipStream_tbENKUlT_T0_E_clISt17integral_constantIbLb1EESU_EEDaSP_SQ_EUlSP_E0_NS1_11comp_targetILNS1_3genE10ELNS1_11target_archE1200ELNS1_3gpuE4ELNS1_3repE0EEENS1_30default_config_static_selectorELNS0_4arch9wavefront6targetE1EEEvT1_,comdat
	.protected	_ZN7rocprim17ROCPRIM_400000_NS6detail17trampoline_kernelINS0_14default_configENS1_20scan_config_selectorIiEEZZNS1_9scan_implILNS1_25lookback_scan_determinismE0ELb0ELb0ES3_N6thrust23THRUST_200600_302600_NS6detail15normal_iteratorINS9_10device_ptrIiEEEESE_i19const_ref_plus_mod3IiEiEEDaPvRmT3_T4_T5_mT6_P12ihipStream_tbENKUlT_T0_E_clISt17integral_constantIbLb1EESU_EEDaSP_SQ_EUlSP_E0_NS1_11comp_targetILNS1_3genE10ELNS1_11target_archE1200ELNS1_3gpuE4ELNS1_3repE0EEENS1_30default_config_static_selectorELNS0_4arch9wavefront6targetE1EEEvT1_ ; -- Begin function _ZN7rocprim17ROCPRIM_400000_NS6detail17trampoline_kernelINS0_14default_configENS1_20scan_config_selectorIiEEZZNS1_9scan_implILNS1_25lookback_scan_determinismE0ELb0ELb0ES3_N6thrust23THRUST_200600_302600_NS6detail15normal_iteratorINS9_10device_ptrIiEEEESE_i19const_ref_plus_mod3IiEiEEDaPvRmT3_T4_T5_mT6_P12ihipStream_tbENKUlT_T0_E_clISt17integral_constantIbLb1EESU_EEDaSP_SQ_EUlSP_E0_NS1_11comp_targetILNS1_3genE10ELNS1_11target_archE1200ELNS1_3gpuE4ELNS1_3repE0EEENS1_30default_config_static_selectorELNS0_4arch9wavefront6targetE1EEEvT1_
	.globl	_ZN7rocprim17ROCPRIM_400000_NS6detail17trampoline_kernelINS0_14default_configENS1_20scan_config_selectorIiEEZZNS1_9scan_implILNS1_25lookback_scan_determinismE0ELb0ELb0ES3_N6thrust23THRUST_200600_302600_NS6detail15normal_iteratorINS9_10device_ptrIiEEEESE_i19const_ref_plus_mod3IiEiEEDaPvRmT3_T4_T5_mT6_P12ihipStream_tbENKUlT_T0_E_clISt17integral_constantIbLb1EESU_EEDaSP_SQ_EUlSP_E0_NS1_11comp_targetILNS1_3genE10ELNS1_11target_archE1200ELNS1_3gpuE4ELNS1_3repE0EEENS1_30default_config_static_selectorELNS0_4arch9wavefront6targetE1EEEvT1_
	.p2align	8
	.type	_ZN7rocprim17ROCPRIM_400000_NS6detail17trampoline_kernelINS0_14default_configENS1_20scan_config_selectorIiEEZZNS1_9scan_implILNS1_25lookback_scan_determinismE0ELb0ELb0ES3_N6thrust23THRUST_200600_302600_NS6detail15normal_iteratorINS9_10device_ptrIiEEEESE_i19const_ref_plus_mod3IiEiEEDaPvRmT3_T4_T5_mT6_P12ihipStream_tbENKUlT_T0_E_clISt17integral_constantIbLb1EESU_EEDaSP_SQ_EUlSP_E0_NS1_11comp_targetILNS1_3genE10ELNS1_11target_archE1200ELNS1_3gpuE4ELNS1_3repE0EEENS1_30default_config_static_selectorELNS0_4arch9wavefront6targetE1EEEvT1_,@function
_ZN7rocprim17ROCPRIM_400000_NS6detail17trampoline_kernelINS0_14default_configENS1_20scan_config_selectorIiEEZZNS1_9scan_implILNS1_25lookback_scan_determinismE0ELb0ELb0ES3_N6thrust23THRUST_200600_302600_NS6detail15normal_iteratorINS9_10device_ptrIiEEEESE_i19const_ref_plus_mod3IiEiEEDaPvRmT3_T4_T5_mT6_P12ihipStream_tbENKUlT_T0_E_clISt17integral_constantIbLb1EESU_EEDaSP_SQ_EUlSP_E0_NS1_11comp_targetILNS1_3genE10ELNS1_11target_archE1200ELNS1_3gpuE4ELNS1_3repE0EEENS1_30default_config_static_selectorELNS0_4arch9wavefront6targetE1EEEvT1_: ; @_ZN7rocprim17ROCPRIM_400000_NS6detail17trampoline_kernelINS0_14default_configENS1_20scan_config_selectorIiEEZZNS1_9scan_implILNS1_25lookback_scan_determinismE0ELb0ELb0ES3_N6thrust23THRUST_200600_302600_NS6detail15normal_iteratorINS9_10device_ptrIiEEEESE_i19const_ref_plus_mod3IiEiEEDaPvRmT3_T4_T5_mT6_P12ihipStream_tbENKUlT_T0_E_clISt17integral_constantIbLb1EESU_EEDaSP_SQ_EUlSP_E0_NS1_11comp_targetILNS1_3genE10ELNS1_11target_archE1200ELNS1_3gpuE4ELNS1_3repE0EEENS1_30default_config_static_selectorELNS0_4arch9wavefront6targetE1EEEvT1_
; %bb.0:
	.section	.rodata,"a",@progbits
	.p2align	6, 0x0
	.amdhsa_kernel _ZN7rocprim17ROCPRIM_400000_NS6detail17trampoline_kernelINS0_14default_configENS1_20scan_config_selectorIiEEZZNS1_9scan_implILNS1_25lookback_scan_determinismE0ELb0ELb0ES3_N6thrust23THRUST_200600_302600_NS6detail15normal_iteratorINS9_10device_ptrIiEEEESE_i19const_ref_plus_mod3IiEiEEDaPvRmT3_T4_T5_mT6_P12ihipStream_tbENKUlT_T0_E_clISt17integral_constantIbLb1EESU_EEDaSP_SQ_EUlSP_E0_NS1_11comp_targetILNS1_3genE10ELNS1_11target_archE1200ELNS1_3gpuE4ELNS1_3repE0EEENS1_30default_config_static_selectorELNS0_4arch9wavefront6targetE1EEEvT1_
		.amdhsa_group_segment_fixed_size 0
		.amdhsa_private_segment_fixed_size 0
		.amdhsa_kernarg_size 40
		.amdhsa_user_sgpr_count 6
		.amdhsa_user_sgpr_private_segment_buffer 1
		.amdhsa_user_sgpr_dispatch_ptr 0
		.amdhsa_user_sgpr_queue_ptr 0
		.amdhsa_user_sgpr_kernarg_segment_ptr 1
		.amdhsa_user_sgpr_dispatch_id 0
		.amdhsa_user_sgpr_flat_scratch_init 0
		.amdhsa_user_sgpr_kernarg_preload_length 0
		.amdhsa_user_sgpr_kernarg_preload_offset 0
		.amdhsa_user_sgpr_private_segment_size 0
		.amdhsa_uses_dynamic_stack 0
		.amdhsa_system_sgpr_private_segment_wavefront_offset 0
		.amdhsa_system_sgpr_workgroup_id_x 1
		.amdhsa_system_sgpr_workgroup_id_y 0
		.amdhsa_system_sgpr_workgroup_id_z 0
		.amdhsa_system_sgpr_workgroup_info 0
		.amdhsa_system_vgpr_workitem_id 0
		.amdhsa_next_free_vgpr 1
		.amdhsa_next_free_sgpr 0
		.amdhsa_accum_offset 4
		.amdhsa_reserve_vcc 0
		.amdhsa_reserve_flat_scratch 0
		.amdhsa_float_round_mode_32 0
		.amdhsa_float_round_mode_16_64 0
		.amdhsa_float_denorm_mode_32 3
		.amdhsa_float_denorm_mode_16_64 3
		.amdhsa_dx10_clamp 1
		.amdhsa_ieee_mode 1
		.amdhsa_fp16_overflow 0
		.amdhsa_tg_split 0
		.amdhsa_exception_fp_ieee_invalid_op 0
		.amdhsa_exception_fp_denorm_src 0
		.amdhsa_exception_fp_ieee_div_zero 0
		.amdhsa_exception_fp_ieee_overflow 0
		.amdhsa_exception_fp_ieee_underflow 0
		.amdhsa_exception_fp_ieee_inexact 0
		.amdhsa_exception_int_div_zero 0
	.end_amdhsa_kernel
	.section	.text._ZN7rocprim17ROCPRIM_400000_NS6detail17trampoline_kernelINS0_14default_configENS1_20scan_config_selectorIiEEZZNS1_9scan_implILNS1_25lookback_scan_determinismE0ELb0ELb0ES3_N6thrust23THRUST_200600_302600_NS6detail15normal_iteratorINS9_10device_ptrIiEEEESE_i19const_ref_plus_mod3IiEiEEDaPvRmT3_T4_T5_mT6_P12ihipStream_tbENKUlT_T0_E_clISt17integral_constantIbLb1EESU_EEDaSP_SQ_EUlSP_E0_NS1_11comp_targetILNS1_3genE10ELNS1_11target_archE1200ELNS1_3gpuE4ELNS1_3repE0EEENS1_30default_config_static_selectorELNS0_4arch9wavefront6targetE1EEEvT1_,"axG",@progbits,_ZN7rocprim17ROCPRIM_400000_NS6detail17trampoline_kernelINS0_14default_configENS1_20scan_config_selectorIiEEZZNS1_9scan_implILNS1_25lookback_scan_determinismE0ELb0ELb0ES3_N6thrust23THRUST_200600_302600_NS6detail15normal_iteratorINS9_10device_ptrIiEEEESE_i19const_ref_plus_mod3IiEiEEDaPvRmT3_T4_T5_mT6_P12ihipStream_tbENKUlT_T0_E_clISt17integral_constantIbLb1EESU_EEDaSP_SQ_EUlSP_E0_NS1_11comp_targetILNS1_3genE10ELNS1_11target_archE1200ELNS1_3gpuE4ELNS1_3repE0EEENS1_30default_config_static_selectorELNS0_4arch9wavefront6targetE1EEEvT1_,comdat
.Lfunc_end7013:
	.size	_ZN7rocprim17ROCPRIM_400000_NS6detail17trampoline_kernelINS0_14default_configENS1_20scan_config_selectorIiEEZZNS1_9scan_implILNS1_25lookback_scan_determinismE0ELb0ELb0ES3_N6thrust23THRUST_200600_302600_NS6detail15normal_iteratorINS9_10device_ptrIiEEEESE_i19const_ref_plus_mod3IiEiEEDaPvRmT3_T4_T5_mT6_P12ihipStream_tbENKUlT_T0_E_clISt17integral_constantIbLb1EESU_EEDaSP_SQ_EUlSP_E0_NS1_11comp_targetILNS1_3genE10ELNS1_11target_archE1200ELNS1_3gpuE4ELNS1_3repE0EEENS1_30default_config_static_selectorELNS0_4arch9wavefront6targetE1EEEvT1_, .Lfunc_end7013-_ZN7rocprim17ROCPRIM_400000_NS6detail17trampoline_kernelINS0_14default_configENS1_20scan_config_selectorIiEEZZNS1_9scan_implILNS1_25lookback_scan_determinismE0ELb0ELb0ES3_N6thrust23THRUST_200600_302600_NS6detail15normal_iteratorINS9_10device_ptrIiEEEESE_i19const_ref_plus_mod3IiEiEEDaPvRmT3_T4_T5_mT6_P12ihipStream_tbENKUlT_T0_E_clISt17integral_constantIbLb1EESU_EEDaSP_SQ_EUlSP_E0_NS1_11comp_targetILNS1_3genE10ELNS1_11target_archE1200ELNS1_3gpuE4ELNS1_3repE0EEENS1_30default_config_static_selectorELNS0_4arch9wavefront6targetE1EEEvT1_
                                        ; -- End function
	.section	.AMDGPU.csdata,"",@progbits
; Kernel info:
; codeLenInByte = 0
; NumSgprs: 4
; NumVgprs: 0
; NumAgprs: 0
; TotalNumVgprs: 0
; ScratchSize: 0
; MemoryBound: 0
; FloatMode: 240
; IeeeMode: 1
; LDSByteSize: 0 bytes/workgroup (compile time only)
; SGPRBlocks: 0
; VGPRBlocks: 0
; NumSGPRsForWavesPerEU: 4
; NumVGPRsForWavesPerEU: 1
; AccumOffset: 4
; Occupancy: 8
; WaveLimiterHint : 0
; COMPUTE_PGM_RSRC2:SCRATCH_EN: 0
; COMPUTE_PGM_RSRC2:USER_SGPR: 6
; COMPUTE_PGM_RSRC2:TRAP_HANDLER: 0
; COMPUTE_PGM_RSRC2:TGID_X_EN: 1
; COMPUTE_PGM_RSRC2:TGID_Y_EN: 0
; COMPUTE_PGM_RSRC2:TGID_Z_EN: 0
; COMPUTE_PGM_RSRC2:TIDIG_COMP_CNT: 0
; COMPUTE_PGM_RSRC3_GFX90A:ACCUM_OFFSET: 0
; COMPUTE_PGM_RSRC3_GFX90A:TG_SPLIT: 0
	.section	.text._ZN7rocprim17ROCPRIM_400000_NS6detail17trampoline_kernelINS0_14default_configENS1_20scan_config_selectorIiEEZZNS1_9scan_implILNS1_25lookback_scan_determinismE0ELb0ELb0ES3_N6thrust23THRUST_200600_302600_NS6detail15normal_iteratorINS9_10device_ptrIiEEEESE_i19const_ref_plus_mod3IiEiEEDaPvRmT3_T4_T5_mT6_P12ihipStream_tbENKUlT_T0_E_clISt17integral_constantIbLb1EESU_EEDaSP_SQ_EUlSP_E0_NS1_11comp_targetILNS1_3genE9ELNS1_11target_archE1100ELNS1_3gpuE3ELNS1_3repE0EEENS1_30default_config_static_selectorELNS0_4arch9wavefront6targetE1EEEvT1_,"axG",@progbits,_ZN7rocprim17ROCPRIM_400000_NS6detail17trampoline_kernelINS0_14default_configENS1_20scan_config_selectorIiEEZZNS1_9scan_implILNS1_25lookback_scan_determinismE0ELb0ELb0ES3_N6thrust23THRUST_200600_302600_NS6detail15normal_iteratorINS9_10device_ptrIiEEEESE_i19const_ref_plus_mod3IiEiEEDaPvRmT3_T4_T5_mT6_P12ihipStream_tbENKUlT_T0_E_clISt17integral_constantIbLb1EESU_EEDaSP_SQ_EUlSP_E0_NS1_11comp_targetILNS1_3genE9ELNS1_11target_archE1100ELNS1_3gpuE3ELNS1_3repE0EEENS1_30default_config_static_selectorELNS0_4arch9wavefront6targetE1EEEvT1_,comdat
	.protected	_ZN7rocprim17ROCPRIM_400000_NS6detail17trampoline_kernelINS0_14default_configENS1_20scan_config_selectorIiEEZZNS1_9scan_implILNS1_25lookback_scan_determinismE0ELb0ELb0ES3_N6thrust23THRUST_200600_302600_NS6detail15normal_iteratorINS9_10device_ptrIiEEEESE_i19const_ref_plus_mod3IiEiEEDaPvRmT3_T4_T5_mT6_P12ihipStream_tbENKUlT_T0_E_clISt17integral_constantIbLb1EESU_EEDaSP_SQ_EUlSP_E0_NS1_11comp_targetILNS1_3genE9ELNS1_11target_archE1100ELNS1_3gpuE3ELNS1_3repE0EEENS1_30default_config_static_selectorELNS0_4arch9wavefront6targetE1EEEvT1_ ; -- Begin function _ZN7rocprim17ROCPRIM_400000_NS6detail17trampoline_kernelINS0_14default_configENS1_20scan_config_selectorIiEEZZNS1_9scan_implILNS1_25lookback_scan_determinismE0ELb0ELb0ES3_N6thrust23THRUST_200600_302600_NS6detail15normal_iteratorINS9_10device_ptrIiEEEESE_i19const_ref_plus_mod3IiEiEEDaPvRmT3_T4_T5_mT6_P12ihipStream_tbENKUlT_T0_E_clISt17integral_constantIbLb1EESU_EEDaSP_SQ_EUlSP_E0_NS1_11comp_targetILNS1_3genE9ELNS1_11target_archE1100ELNS1_3gpuE3ELNS1_3repE0EEENS1_30default_config_static_selectorELNS0_4arch9wavefront6targetE1EEEvT1_
	.globl	_ZN7rocprim17ROCPRIM_400000_NS6detail17trampoline_kernelINS0_14default_configENS1_20scan_config_selectorIiEEZZNS1_9scan_implILNS1_25lookback_scan_determinismE0ELb0ELb0ES3_N6thrust23THRUST_200600_302600_NS6detail15normal_iteratorINS9_10device_ptrIiEEEESE_i19const_ref_plus_mod3IiEiEEDaPvRmT3_T4_T5_mT6_P12ihipStream_tbENKUlT_T0_E_clISt17integral_constantIbLb1EESU_EEDaSP_SQ_EUlSP_E0_NS1_11comp_targetILNS1_3genE9ELNS1_11target_archE1100ELNS1_3gpuE3ELNS1_3repE0EEENS1_30default_config_static_selectorELNS0_4arch9wavefront6targetE1EEEvT1_
	.p2align	8
	.type	_ZN7rocprim17ROCPRIM_400000_NS6detail17trampoline_kernelINS0_14default_configENS1_20scan_config_selectorIiEEZZNS1_9scan_implILNS1_25lookback_scan_determinismE0ELb0ELb0ES3_N6thrust23THRUST_200600_302600_NS6detail15normal_iteratorINS9_10device_ptrIiEEEESE_i19const_ref_plus_mod3IiEiEEDaPvRmT3_T4_T5_mT6_P12ihipStream_tbENKUlT_T0_E_clISt17integral_constantIbLb1EESU_EEDaSP_SQ_EUlSP_E0_NS1_11comp_targetILNS1_3genE9ELNS1_11target_archE1100ELNS1_3gpuE3ELNS1_3repE0EEENS1_30default_config_static_selectorELNS0_4arch9wavefront6targetE1EEEvT1_,@function
_ZN7rocprim17ROCPRIM_400000_NS6detail17trampoline_kernelINS0_14default_configENS1_20scan_config_selectorIiEEZZNS1_9scan_implILNS1_25lookback_scan_determinismE0ELb0ELb0ES3_N6thrust23THRUST_200600_302600_NS6detail15normal_iteratorINS9_10device_ptrIiEEEESE_i19const_ref_plus_mod3IiEiEEDaPvRmT3_T4_T5_mT6_P12ihipStream_tbENKUlT_T0_E_clISt17integral_constantIbLb1EESU_EEDaSP_SQ_EUlSP_E0_NS1_11comp_targetILNS1_3genE9ELNS1_11target_archE1100ELNS1_3gpuE3ELNS1_3repE0EEENS1_30default_config_static_selectorELNS0_4arch9wavefront6targetE1EEEvT1_: ; @_ZN7rocprim17ROCPRIM_400000_NS6detail17trampoline_kernelINS0_14default_configENS1_20scan_config_selectorIiEEZZNS1_9scan_implILNS1_25lookback_scan_determinismE0ELb0ELb0ES3_N6thrust23THRUST_200600_302600_NS6detail15normal_iteratorINS9_10device_ptrIiEEEESE_i19const_ref_plus_mod3IiEiEEDaPvRmT3_T4_T5_mT6_P12ihipStream_tbENKUlT_T0_E_clISt17integral_constantIbLb1EESU_EEDaSP_SQ_EUlSP_E0_NS1_11comp_targetILNS1_3genE9ELNS1_11target_archE1100ELNS1_3gpuE3ELNS1_3repE0EEENS1_30default_config_static_selectorELNS0_4arch9wavefront6targetE1EEEvT1_
; %bb.0:
	.section	.rodata,"a",@progbits
	.p2align	6, 0x0
	.amdhsa_kernel _ZN7rocprim17ROCPRIM_400000_NS6detail17trampoline_kernelINS0_14default_configENS1_20scan_config_selectorIiEEZZNS1_9scan_implILNS1_25lookback_scan_determinismE0ELb0ELb0ES3_N6thrust23THRUST_200600_302600_NS6detail15normal_iteratorINS9_10device_ptrIiEEEESE_i19const_ref_plus_mod3IiEiEEDaPvRmT3_T4_T5_mT6_P12ihipStream_tbENKUlT_T0_E_clISt17integral_constantIbLb1EESU_EEDaSP_SQ_EUlSP_E0_NS1_11comp_targetILNS1_3genE9ELNS1_11target_archE1100ELNS1_3gpuE3ELNS1_3repE0EEENS1_30default_config_static_selectorELNS0_4arch9wavefront6targetE1EEEvT1_
		.amdhsa_group_segment_fixed_size 0
		.amdhsa_private_segment_fixed_size 0
		.amdhsa_kernarg_size 40
		.amdhsa_user_sgpr_count 6
		.amdhsa_user_sgpr_private_segment_buffer 1
		.amdhsa_user_sgpr_dispatch_ptr 0
		.amdhsa_user_sgpr_queue_ptr 0
		.amdhsa_user_sgpr_kernarg_segment_ptr 1
		.amdhsa_user_sgpr_dispatch_id 0
		.amdhsa_user_sgpr_flat_scratch_init 0
		.amdhsa_user_sgpr_kernarg_preload_length 0
		.amdhsa_user_sgpr_kernarg_preload_offset 0
		.amdhsa_user_sgpr_private_segment_size 0
		.amdhsa_uses_dynamic_stack 0
		.amdhsa_system_sgpr_private_segment_wavefront_offset 0
		.amdhsa_system_sgpr_workgroup_id_x 1
		.amdhsa_system_sgpr_workgroup_id_y 0
		.amdhsa_system_sgpr_workgroup_id_z 0
		.amdhsa_system_sgpr_workgroup_info 0
		.amdhsa_system_vgpr_workitem_id 0
		.amdhsa_next_free_vgpr 1
		.amdhsa_next_free_sgpr 0
		.amdhsa_accum_offset 4
		.amdhsa_reserve_vcc 0
		.amdhsa_reserve_flat_scratch 0
		.amdhsa_float_round_mode_32 0
		.amdhsa_float_round_mode_16_64 0
		.amdhsa_float_denorm_mode_32 3
		.amdhsa_float_denorm_mode_16_64 3
		.amdhsa_dx10_clamp 1
		.amdhsa_ieee_mode 1
		.amdhsa_fp16_overflow 0
		.amdhsa_tg_split 0
		.amdhsa_exception_fp_ieee_invalid_op 0
		.amdhsa_exception_fp_denorm_src 0
		.amdhsa_exception_fp_ieee_div_zero 0
		.amdhsa_exception_fp_ieee_overflow 0
		.amdhsa_exception_fp_ieee_underflow 0
		.amdhsa_exception_fp_ieee_inexact 0
		.amdhsa_exception_int_div_zero 0
	.end_amdhsa_kernel
	.section	.text._ZN7rocprim17ROCPRIM_400000_NS6detail17trampoline_kernelINS0_14default_configENS1_20scan_config_selectorIiEEZZNS1_9scan_implILNS1_25lookback_scan_determinismE0ELb0ELb0ES3_N6thrust23THRUST_200600_302600_NS6detail15normal_iteratorINS9_10device_ptrIiEEEESE_i19const_ref_plus_mod3IiEiEEDaPvRmT3_T4_T5_mT6_P12ihipStream_tbENKUlT_T0_E_clISt17integral_constantIbLb1EESU_EEDaSP_SQ_EUlSP_E0_NS1_11comp_targetILNS1_3genE9ELNS1_11target_archE1100ELNS1_3gpuE3ELNS1_3repE0EEENS1_30default_config_static_selectorELNS0_4arch9wavefront6targetE1EEEvT1_,"axG",@progbits,_ZN7rocprim17ROCPRIM_400000_NS6detail17trampoline_kernelINS0_14default_configENS1_20scan_config_selectorIiEEZZNS1_9scan_implILNS1_25lookback_scan_determinismE0ELb0ELb0ES3_N6thrust23THRUST_200600_302600_NS6detail15normal_iteratorINS9_10device_ptrIiEEEESE_i19const_ref_plus_mod3IiEiEEDaPvRmT3_T4_T5_mT6_P12ihipStream_tbENKUlT_T0_E_clISt17integral_constantIbLb1EESU_EEDaSP_SQ_EUlSP_E0_NS1_11comp_targetILNS1_3genE9ELNS1_11target_archE1100ELNS1_3gpuE3ELNS1_3repE0EEENS1_30default_config_static_selectorELNS0_4arch9wavefront6targetE1EEEvT1_,comdat
.Lfunc_end7014:
	.size	_ZN7rocprim17ROCPRIM_400000_NS6detail17trampoline_kernelINS0_14default_configENS1_20scan_config_selectorIiEEZZNS1_9scan_implILNS1_25lookback_scan_determinismE0ELb0ELb0ES3_N6thrust23THRUST_200600_302600_NS6detail15normal_iteratorINS9_10device_ptrIiEEEESE_i19const_ref_plus_mod3IiEiEEDaPvRmT3_T4_T5_mT6_P12ihipStream_tbENKUlT_T0_E_clISt17integral_constantIbLb1EESU_EEDaSP_SQ_EUlSP_E0_NS1_11comp_targetILNS1_3genE9ELNS1_11target_archE1100ELNS1_3gpuE3ELNS1_3repE0EEENS1_30default_config_static_selectorELNS0_4arch9wavefront6targetE1EEEvT1_, .Lfunc_end7014-_ZN7rocprim17ROCPRIM_400000_NS6detail17trampoline_kernelINS0_14default_configENS1_20scan_config_selectorIiEEZZNS1_9scan_implILNS1_25lookback_scan_determinismE0ELb0ELb0ES3_N6thrust23THRUST_200600_302600_NS6detail15normal_iteratorINS9_10device_ptrIiEEEESE_i19const_ref_plus_mod3IiEiEEDaPvRmT3_T4_T5_mT6_P12ihipStream_tbENKUlT_T0_E_clISt17integral_constantIbLb1EESU_EEDaSP_SQ_EUlSP_E0_NS1_11comp_targetILNS1_3genE9ELNS1_11target_archE1100ELNS1_3gpuE3ELNS1_3repE0EEENS1_30default_config_static_selectorELNS0_4arch9wavefront6targetE1EEEvT1_
                                        ; -- End function
	.section	.AMDGPU.csdata,"",@progbits
; Kernel info:
; codeLenInByte = 0
; NumSgprs: 4
; NumVgprs: 0
; NumAgprs: 0
; TotalNumVgprs: 0
; ScratchSize: 0
; MemoryBound: 0
; FloatMode: 240
; IeeeMode: 1
; LDSByteSize: 0 bytes/workgroup (compile time only)
; SGPRBlocks: 0
; VGPRBlocks: 0
; NumSGPRsForWavesPerEU: 4
; NumVGPRsForWavesPerEU: 1
; AccumOffset: 4
; Occupancy: 8
; WaveLimiterHint : 0
; COMPUTE_PGM_RSRC2:SCRATCH_EN: 0
; COMPUTE_PGM_RSRC2:USER_SGPR: 6
; COMPUTE_PGM_RSRC2:TRAP_HANDLER: 0
; COMPUTE_PGM_RSRC2:TGID_X_EN: 1
; COMPUTE_PGM_RSRC2:TGID_Y_EN: 0
; COMPUTE_PGM_RSRC2:TGID_Z_EN: 0
; COMPUTE_PGM_RSRC2:TIDIG_COMP_CNT: 0
; COMPUTE_PGM_RSRC3_GFX90A:ACCUM_OFFSET: 0
; COMPUTE_PGM_RSRC3_GFX90A:TG_SPLIT: 0
	.section	.text._ZN7rocprim17ROCPRIM_400000_NS6detail17trampoline_kernelINS0_14default_configENS1_20scan_config_selectorIiEEZZNS1_9scan_implILNS1_25lookback_scan_determinismE0ELb0ELb0ES3_N6thrust23THRUST_200600_302600_NS6detail15normal_iteratorINS9_10device_ptrIiEEEESE_i19const_ref_plus_mod3IiEiEEDaPvRmT3_T4_T5_mT6_P12ihipStream_tbENKUlT_T0_E_clISt17integral_constantIbLb1EESU_EEDaSP_SQ_EUlSP_E0_NS1_11comp_targetILNS1_3genE8ELNS1_11target_archE1030ELNS1_3gpuE2ELNS1_3repE0EEENS1_30default_config_static_selectorELNS0_4arch9wavefront6targetE1EEEvT1_,"axG",@progbits,_ZN7rocprim17ROCPRIM_400000_NS6detail17trampoline_kernelINS0_14default_configENS1_20scan_config_selectorIiEEZZNS1_9scan_implILNS1_25lookback_scan_determinismE0ELb0ELb0ES3_N6thrust23THRUST_200600_302600_NS6detail15normal_iteratorINS9_10device_ptrIiEEEESE_i19const_ref_plus_mod3IiEiEEDaPvRmT3_T4_T5_mT6_P12ihipStream_tbENKUlT_T0_E_clISt17integral_constantIbLb1EESU_EEDaSP_SQ_EUlSP_E0_NS1_11comp_targetILNS1_3genE8ELNS1_11target_archE1030ELNS1_3gpuE2ELNS1_3repE0EEENS1_30default_config_static_selectorELNS0_4arch9wavefront6targetE1EEEvT1_,comdat
	.protected	_ZN7rocprim17ROCPRIM_400000_NS6detail17trampoline_kernelINS0_14default_configENS1_20scan_config_selectorIiEEZZNS1_9scan_implILNS1_25lookback_scan_determinismE0ELb0ELb0ES3_N6thrust23THRUST_200600_302600_NS6detail15normal_iteratorINS9_10device_ptrIiEEEESE_i19const_ref_plus_mod3IiEiEEDaPvRmT3_T4_T5_mT6_P12ihipStream_tbENKUlT_T0_E_clISt17integral_constantIbLb1EESU_EEDaSP_SQ_EUlSP_E0_NS1_11comp_targetILNS1_3genE8ELNS1_11target_archE1030ELNS1_3gpuE2ELNS1_3repE0EEENS1_30default_config_static_selectorELNS0_4arch9wavefront6targetE1EEEvT1_ ; -- Begin function _ZN7rocprim17ROCPRIM_400000_NS6detail17trampoline_kernelINS0_14default_configENS1_20scan_config_selectorIiEEZZNS1_9scan_implILNS1_25lookback_scan_determinismE0ELb0ELb0ES3_N6thrust23THRUST_200600_302600_NS6detail15normal_iteratorINS9_10device_ptrIiEEEESE_i19const_ref_plus_mod3IiEiEEDaPvRmT3_T4_T5_mT6_P12ihipStream_tbENKUlT_T0_E_clISt17integral_constantIbLb1EESU_EEDaSP_SQ_EUlSP_E0_NS1_11comp_targetILNS1_3genE8ELNS1_11target_archE1030ELNS1_3gpuE2ELNS1_3repE0EEENS1_30default_config_static_selectorELNS0_4arch9wavefront6targetE1EEEvT1_
	.globl	_ZN7rocprim17ROCPRIM_400000_NS6detail17trampoline_kernelINS0_14default_configENS1_20scan_config_selectorIiEEZZNS1_9scan_implILNS1_25lookback_scan_determinismE0ELb0ELb0ES3_N6thrust23THRUST_200600_302600_NS6detail15normal_iteratorINS9_10device_ptrIiEEEESE_i19const_ref_plus_mod3IiEiEEDaPvRmT3_T4_T5_mT6_P12ihipStream_tbENKUlT_T0_E_clISt17integral_constantIbLb1EESU_EEDaSP_SQ_EUlSP_E0_NS1_11comp_targetILNS1_3genE8ELNS1_11target_archE1030ELNS1_3gpuE2ELNS1_3repE0EEENS1_30default_config_static_selectorELNS0_4arch9wavefront6targetE1EEEvT1_
	.p2align	8
	.type	_ZN7rocprim17ROCPRIM_400000_NS6detail17trampoline_kernelINS0_14default_configENS1_20scan_config_selectorIiEEZZNS1_9scan_implILNS1_25lookback_scan_determinismE0ELb0ELb0ES3_N6thrust23THRUST_200600_302600_NS6detail15normal_iteratorINS9_10device_ptrIiEEEESE_i19const_ref_plus_mod3IiEiEEDaPvRmT3_T4_T5_mT6_P12ihipStream_tbENKUlT_T0_E_clISt17integral_constantIbLb1EESU_EEDaSP_SQ_EUlSP_E0_NS1_11comp_targetILNS1_3genE8ELNS1_11target_archE1030ELNS1_3gpuE2ELNS1_3repE0EEENS1_30default_config_static_selectorELNS0_4arch9wavefront6targetE1EEEvT1_,@function
_ZN7rocprim17ROCPRIM_400000_NS6detail17trampoline_kernelINS0_14default_configENS1_20scan_config_selectorIiEEZZNS1_9scan_implILNS1_25lookback_scan_determinismE0ELb0ELb0ES3_N6thrust23THRUST_200600_302600_NS6detail15normal_iteratorINS9_10device_ptrIiEEEESE_i19const_ref_plus_mod3IiEiEEDaPvRmT3_T4_T5_mT6_P12ihipStream_tbENKUlT_T0_E_clISt17integral_constantIbLb1EESU_EEDaSP_SQ_EUlSP_E0_NS1_11comp_targetILNS1_3genE8ELNS1_11target_archE1030ELNS1_3gpuE2ELNS1_3repE0EEENS1_30default_config_static_selectorELNS0_4arch9wavefront6targetE1EEEvT1_: ; @_ZN7rocprim17ROCPRIM_400000_NS6detail17trampoline_kernelINS0_14default_configENS1_20scan_config_selectorIiEEZZNS1_9scan_implILNS1_25lookback_scan_determinismE0ELb0ELb0ES3_N6thrust23THRUST_200600_302600_NS6detail15normal_iteratorINS9_10device_ptrIiEEEESE_i19const_ref_plus_mod3IiEiEEDaPvRmT3_T4_T5_mT6_P12ihipStream_tbENKUlT_T0_E_clISt17integral_constantIbLb1EESU_EEDaSP_SQ_EUlSP_E0_NS1_11comp_targetILNS1_3genE8ELNS1_11target_archE1030ELNS1_3gpuE2ELNS1_3repE0EEENS1_30default_config_static_selectorELNS0_4arch9wavefront6targetE1EEEvT1_
; %bb.0:
	.section	.rodata,"a",@progbits
	.p2align	6, 0x0
	.amdhsa_kernel _ZN7rocprim17ROCPRIM_400000_NS6detail17trampoline_kernelINS0_14default_configENS1_20scan_config_selectorIiEEZZNS1_9scan_implILNS1_25lookback_scan_determinismE0ELb0ELb0ES3_N6thrust23THRUST_200600_302600_NS6detail15normal_iteratorINS9_10device_ptrIiEEEESE_i19const_ref_plus_mod3IiEiEEDaPvRmT3_T4_T5_mT6_P12ihipStream_tbENKUlT_T0_E_clISt17integral_constantIbLb1EESU_EEDaSP_SQ_EUlSP_E0_NS1_11comp_targetILNS1_3genE8ELNS1_11target_archE1030ELNS1_3gpuE2ELNS1_3repE0EEENS1_30default_config_static_selectorELNS0_4arch9wavefront6targetE1EEEvT1_
		.amdhsa_group_segment_fixed_size 0
		.amdhsa_private_segment_fixed_size 0
		.amdhsa_kernarg_size 40
		.amdhsa_user_sgpr_count 6
		.amdhsa_user_sgpr_private_segment_buffer 1
		.amdhsa_user_sgpr_dispatch_ptr 0
		.amdhsa_user_sgpr_queue_ptr 0
		.amdhsa_user_sgpr_kernarg_segment_ptr 1
		.amdhsa_user_sgpr_dispatch_id 0
		.amdhsa_user_sgpr_flat_scratch_init 0
		.amdhsa_user_sgpr_kernarg_preload_length 0
		.amdhsa_user_sgpr_kernarg_preload_offset 0
		.amdhsa_user_sgpr_private_segment_size 0
		.amdhsa_uses_dynamic_stack 0
		.amdhsa_system_sgpr_private_segment_wavefront_offset 0
		.amdhsa_system_sgpr_workgroup_id_x 1
		.amdhsa_system_sgpr_workgroup_id_y 0
		.amdhsa_system_sgpr_workgroup_id_z 0
		.amdhsa_system_sgpr_workgroup_info 0
		.amdhsa_system_vgpr_workitem_id 0
		.amdhsa_next_free_vgpr 1
		.amdhsa_next_free_sgpr 0
		.amdhsa_accum_offset 4
		.amdhsa_reserve_vcc 0
		.amdhsa_reserve_flat_scratch 0
		.amdhsa_float_round_mode_32 0
		.amdhsa_float_round_mode_16_64 0
		.amdhsa_float_denorm_mode_32 3
		.amdhsa_float_denorm_mode_16_64 3
		.amdhsa_dx10_clamp 1
		.amdhsa_ieee_mode 1
		.amdhsa_fp16_overflow 0
		.amdhsa_tg_split 0
		.amdhsa_exception_fp_ieee_invalid_op 0
		.amdhsa_exception_fp_denorm_src 0
		.amdhsa_exception_fp_ieee_div_zero 0
		.amdhsa_exception_fp_ieee_overflow 0
		.amdhsa_exception_fp_ieee_underflow 0
		.amdhsa_exception_fp_ieee_inexact 0
		.amdhsa_exception_int_div_zero 0
	.end_amdhsa_kernel
	.section	.text._ZN7rocprim17ROCPRIM_400000_NS6detail17trampoline_kernelINS0_14default_configENS1_20scan_config_selectorIiEEZZNS1_9scan_implILNS1_25lookback_scan_determinismE0ELb0ELb0ES3_N6thrust23THRUST_200600_302600_NS6detail15normal_iteratorINS9_10device_ptrIiEEEESE_i19const_ref_plus_mod3IiEiEEDaPvRmT3_T4_T5_mT6_P12ihipStream_tbENKUlT_T0_E_clISt17integral_constantIbLb1EESU_EEDaSP_SQ_EUlSP_E0_NS1_11comp_targetILNS1_3genE8ELNS1_11target_archE1030ELNS1_3gpuE2ELNS1_3repE0EEENS1_30default_config_static_selectorELNS0_4arch9wavefront6targetE1EEEvT1_,"axG",@progbits,_ZN7rocprim17ROCPRIM_400000_NS6detail17trampoline_kernelINS0_14default_configENS1_20scan_config_selectorIiEEZZNS1_9scan_implILNS1_25lookback_scan_determinismE0ELb0ELb0ES3_N6thrust23THRUST_200600_302600_NS6detail15normal_iteratorINS9_10device_ptrIiEEEESE_i19const_ref_plus_mod3IiEiEEDaPvRmT3_T4_T5_mT6_P12ihipStream_tbENKUlT_T0_E_clISt17integral_constantIbLb1EESU_EEDaSP_SQ_EUlSP_E0_NS1_11comp_targetILNS1_3genE8ELNS1_11target_archE1030ELNS1_3gpuE2ELNS1_3repE0EEENS1_30default_config_static_selectorELNS0_4arch9wavefront6targetE1EEEvT1_,comdat
.Lfunc_end7015:
	.size	_ZN7rocprim17ROCPRIM_400000_NS6detail17trampoline_kernelINS0_14default_configENS1_20scan_config_selectorIiEEZZNS1_9scan_implILNS1_25lookback_scan_determinismE0ELb0ELb0ES3_N6thrust23THRUST_200600_302600_NS6detail15normal_iteratorINS9_10device_ptrIiEEEESE_i19const_ref_plus_mod3IiEiEEDaPvRmT3_T4_T5_mT6_P12ihipStream_tbENKUlT_T0_E_clISt17integral_constantIbLb1EESU_EEDaSP_SQ_EUlSP_E0_NS1_11comp_targetILNS1_3genE8ELNS1_11target_archE1030ELNS1_3gpuE2ELNS1_3repE0EEENS1_30default_config_static_selectorELNS0_4arch9wavefront6targetE1EEEvT1_, .Lfunc_end7015-_ZN7rocprim17ROCPRIM_400000_NS6detail17trampoline_kernelINS0_14default_configENS1_20scan_config_selectorIiEEZZNS1_9scan_implILNS1_25lookback_scan_determinismE0ELb0ELb0ES3_N6thrust23THRUST_200600_302600_NS6detail15normal_iteratorINS9_10device_ptrIiEEEESE_i19const_ref_plus_mod3IiEiEEDaPvRmT3_T4_T5_mT6_P12ihipStream_tbENKUlT_T0_E_clISt17integral_constantIbLb1EESU_EEDaSP_SQ_EUlSP_E0_NS1_11comp_targetILNS1_3genE8ELNS1_11target_archE1030ELNS1_3gpuE2ELNS1_3repE0EEENS1_30default_config_static_selectorELNS0_4arch9wavefront6targetE1EEEvT1_
                                        ; -- End function
	.section	.AMDGPU.csdata,"",@progbits
; Kernel info:
; codeLenInByte = 0
; NumSgprs: 4
; NumVgprs: 0
; NumAgprs: 0
; TotalNumVgprs: 0
; ScratchSize: 0
; MemoryBound: 0
; FloatMode: 240
; IeeeMode: 1
; LDSByteSize: 0 bytes/workgroup (compile time only)
; SGPRBlocks: 0
; VGPRBlocks: 0
; NumSGPRsForWavesPerEU: 4
; NumVGPRsForWavesPerEU: 1
; AccumOffset: 4
; Occupancy: 8
; WaveLimiterHint : 0
; COMPUTE_PGM_RSRC2:SCRATCH_EN: 0
; COMPUTE_PGM_RSRC2:USER_SGPR: 6
; COMPUTE_PGM_RSRC2:TRAP_HANDLER: 0
; COMPUTE_PGM_RSRC2:TGID_X_EN: 1
; COMPUTE_PGM_RSRC2:TGID_Y_EN: 0
; COMPUTE_PGM_RSRC2:TGID_Z_EN: 0
; COMPUTE_PGM_RSRC2:TIDIG_COMP_CNT: 0
; COMPUTE_PGM_RSRC3_GFX90A:ACCUM_OFFSET: 0
; COMPUTE_PGM_RSRC3_GFX90A:TG_SPLIT: 0
	.section	.text._ZN7rocprim17ROCPRIM_400000_NS6detail17trampoline_kernelINS0_14default_configENS1_20scan_config_selectorIiEEZZNS1_9scan_implILNS1_25lookback_scan_determinismE0ELb0ELb0ES3_N6thrust23THRUST_200600_302600_NS6detail15normal_iteratorINS9_10device_ptrIiEEEESE_i19const_ref_plus_mod3IiEiEEDaPvRmT3_T4_T5_mT6_P12ihipStream_tbENKUlT_T0_E_clISt17integral_constantIbLb1EEST_IbLb0EEEEDaSP_SQ_EUlSP_E_NS1_11comp_targetILNS1_3genE0ELNS1_11target_archE4294967295ELNS1_3gpuE0ELNS1_3repE0EEENS1_30default_config_static_selectorELNS0_4arch9wavefront6targetE1EEEvT1_,"axG",@progbits,_ZN7rocprim17ROCPRIM_400000_NS6detail17trampoline_kernelINS0_14default_configENS1_20scan_config_selectorIiEEZZNS1_9scan_implILNS1_25lookback_scan_determinismE0ELb0ELb0ES3_N6thrust23THRUST_200600_302600_NS6detail15normal_iteratorINS9_10device_ptrIiEEEESE_i19const_ref_plus_mod3IiEiEEDaPvRmT3_T4_T5_mT6_P12ihipStream_tbENKUlT_T0_E_clISt17integral_constantIbLb1EEST_IbLb0EEEEDaSP_SQ_EUlSP_E_NS1_11comp_targetILNS1_3genE0ELNS1_11target_archE4294967295ELNS1_3gpuE0ELNS1_3repE0EEENS1_30default_config_static_selectorELNS0_4arch9wavefront6targetE1EEEvT1_,comdat
	.protected	_ZN7rocprim17ROCPRIM_400000_NS6detail17trampoline_kernelINS0_14default_configENS1_20scan_config_selectorIiEEZZNS1_9scan_implILNS1_25lookback_scan_determinismE0ELb0ELb0ES3_N6thrust23THRUST_200600_302600_NS6detail15normal_iteratorINS9_10device_ptrIiEEEESE_i19const_ref_plus_mod3IiEiEEDaPvRmT3_T4_T5_mT6_P12ihipStream_tbENKUlT_T0_E_clISt17integral_constantIbLb1EEST_IbLb0EEEEDaSP_SQ_EUlSP_E_NS1_11comp_targetILNS1_3genE0ELNS1_11target_archE4294967295ELNS1_3gpuE0ELNS1_3repE0EEENS1_30default_config_static_selectorELNS0_4arch9wavefront6targetE1EEEvT1_ ; -- Begin function _ZN7rocprim17ROCPRIM_400000_NS6detail17trampoline_kernelINS0_14default_configENS1_20scan_config_selectorIiEEZZNS1_9scan_implILNS1_25lookback_scan_determinismE0ELb0ELb0ES3_N6thrust23THRUST_200600_302600_NS6detail15normal_iteratorINS9_10device_ptrIiEEEESE_i19const_ref_plus_mod3IiEiEEDaPvRmT3_T4_T5_mT6_P12ihipStream_tbENKUlT_T0_E_clISt17integral_constantIbLb1EEST_IbLb0EEEEDaSP_SQ_EUlSP_E_NS1_11comp_targetILNS1_3genE0ELNS1_11target_archE4294967295ELNS1_3gpuE0ELNS1_3repE0EEENS1_30default_config_static_selectorELNS0_4arch9wavefront6targetE1EEEvT1_
	.globl	_ZN7rocprim17ROCPRIM_400000_NS6detail17trampoline_kernelINS0_14default_configENS1_20scan_config_selectorIiEEZZNS1_9scan_implILNS1_25lookback_scan_determinismE0ELb0ELb0ES3_N6thrust23THRUST_200600_302600_NS6detail15normal_iteratorINS9_10device_ptrIiEEEESE_i19const_ref_plus_mod3IiEiEEDaPvRmT3_T4_T5_mT6_P12ihipStream_tbENKUlT_T0_E_clISt17integral_constantIbLb1EEST_IbLb0EEEEDaSP_SQ_EUlSP_E_NS1_11comp_targetILNS1_3genE0ELNS1_11target_archE4294967295ELNS1_3gpuE0ELNS1_3repE0EEENS1_30default_config_static_selectorELNS0_4arch9wavefront6targetE1EEEvT1_
	.p2align	8
	.type	_ZN7rocprim17ROCPRIM_400000_NS6detail17trampoline_kernelINS0_14default_configENS1_20scan_config_selectorIiEEZZNS1_9scan_implILNS1_25lookback_scan_determinismE0ELb0ELb0ES3_N6thrust23THRUST_200600_302600_NS6detail15normal_iteratorINS9_10device_ptrIiEEEESE_i19const_ref_plus_mod3IiEiEEDaPvRmT3_T4_T5_mT6_P12ihipStream_tbENKUlT_T0_E_clISt17integral_constantIbLb1EEST_IbLb0EEEEDaSP_SQ_EUlSP_E_NS1_11comp_targetILNS1_3genE0ELNS1_11target_archE4294967295ELNS1_3gpuE0ELNS1_3repE0EEENS1_30default_config_static_selectorELNS0_4arch9wavefront6targetE1EEEvT1_,@function
_ZN7rocprim17ROCPRIM_400000_NS6detail17trampoline_kernelINS0_14default_configENS1_20scan_config_selectorIiEEZZNS1_9scan_implILNS1_25lookback_scan_determinismE0ELb0ELb0ES3_N6thrust23THRUST_200600_302600_NS6detail15normal_iteratorINS9_10device_ptrIiEEEESE_i19const_ref_plus_mod3IiEiEEDaPvRmT3_T4_T5_mT6_P12ihipStream_tbENKUlT_T0_E_clISt17integral_constantIbLb1EEST_IbLb0EEEEDaSP_SQ_EUlSP_E_NS1_11comp_targetILNS1_3genE0ELNS1_11target_archE4294967295ELNS1_3gpuE0ELNS1_3repE0EEENS1_30default_config_static_selectorELNS0_4arch9wavefront6targetE1EEEvT1_: ; @_ZN7rocprim17ROCPRIM_400000_NS6detail17trampoline_kernelINS0_14default_configENS1_20scan_config_selectorIiEEZZNS1_9scan_implILNS1_25lookback_scan_determinismE0ELb0ELb0ES3_N6thrust23THRUST_200600_302600_NS6detail15normal_iteratorINS9_10device_ptrIiEEEESE_i19const_ref_plus_mod3IiEiEEDaPvRmT3_T4_T5_mT6_P12ihipStream_tbENKUlT_T0_E_clISt17integral_constantIbLb1EEST_IbLb0EEEEDaSP_SQ_EUlSP_E_NS1_11comp_targetILNS1_3genE0ELNS1_11target_archE4294967295ELNS1_3gpuE0ELNS1_3repE0EEENS1_30default_config_static_selectorELNS0_4arch9wavefront6targetE1EEEvT1_
; %bb.0:
	.section	.rodata,"a",@progbits
	.p2align	6, 0x0
	.amdhsa_kernel _ZN7rocprim17ROCPRIM_400000_NS6detail17trampoline_kernelINS0_14default_configENS1_20scan_config_selectorIiEEZZNS1_9scan_implILNS1_25lookback_scan_determinismE0ELb0ELb0ES3_N6thrust23THRUST_200600_302600_NS6detail15normal_iteratorINS9_10device_ptrIiEEEESE_i19const_ref_plus_mod3IiEiEEDaPvRmT3_T4_T5_mT6_P12ihipStream_tbENKUlT_T0_E_clISt17integral_constantIbLb1EEST_IbLb0EEEEDaSP_SQ_EUlSP_E_NS1_11comp_targetILNS1_3genE0ELNS1_11target_archE4294967295ELNS1_3gpuE0ELNS1_3repE0EEENS1_30default_config_static_selectorELNS0_4arch9wavefront6targetE1EEEvT1_
		.amdhsa_group_segment_fixed_size 0
		.amdhsa_private_segment_fixed_size 0
		.amdhsa_kernarg_size 104
		.amdhsa_user_sgpr_count 6
		.amdhsa_user_sgpr_private_segment_buffer 1
		.amdhsa_user_sgpr_dispatch_ptr 0
		.amdhsa_user_sgpr_queue_ptr 0
		.amdhsa_user_sgpr_kernarg_segment_ptr 1
		.amdhsa_user_sgpr_dispatch_id 0
		.amdhsa_user_sgpr_flat_scratch_init 0
		.amdhsa_user_sgpr_kernarg_preload_length 0
		.amdhsa_user_sgpr_kernarg_preload_offset 0
		.amdhsa_user_sgpr_private_segment_size 0
		.amdhsa_uses_dynamic_stack 0
		.amdhsa_system_sgpr_private_segment_wavefront_offset 0
		.amdhsa_system_sgpr_workgroup_id_x 1
		.amdhsa_system_sgpr_workgroup_id_y 0
		.amdhsa_system_sgpr_workgroup_id_z 0
		.amdhsa_system_sgpr_workgroup_info 0
		.amdhsa_system_vgpr_workitem_id 0
		.amdhsa_next_free_vgpr 1
		.amdhsa_next_free_sgpr 0
		.amdhsa_accum_offset 4
		.amdhsa_reserve_vcc 0
		.amdhsa_reserve_flat_scratch 0
		.amdhsa_float_round_mode_32 0
		.amdhsa_float_round_mode_16_64 0
		.amdhsa_float_denorm_mode_32 3
		.amdhsa_float_denorm_mode_16_64 3
		.amdhsa_dx10_clamp 1
		.amdhsa_ieee_mode 1
		.amdhsa_fp16_overflow 0
		.amdhsa_tg_split 0
		.amdhsa_exception_fp_ieee_invalid_op 0
		.amdhsa_exception_fp_denorm_src 0
		.amdhsa_exception_fp_ieee_div_zero 0
		.amdhsa_exception_fp_ieee_overflow 0
		.amdhsa_exception_fp_ieee_underflow 0
		.amdhsa_exception_fp_ieee_inexact 0
		.amdhsa_exception_int_div_zero 0
	.end_amdhsa_kernel
	.section	.text._ZN7rocprim17ROCPRIM_400000_NS6detail17trampoline_kernelINS0_14default_configENS1_20scan_config_selectorIiEEZZNS1_9scan_implILNS1_25lookback_scan_determinismE0ELb0ELb0ES3_N6thrust23THRUST_200600_302600_NS6detail15normal_iteratorINS9_10device_ptrIiEEEESE_i19const_ref_plus_mod3IiEiEEDaPvRmT3_T4_T5_mT6_P12ihipStream_tbENKUlT_T0_E_clISt17integral_constantIbLb1EEST_IbLb0EEEEDaSP_SQ_EUlSP_E_NS1_11comp_targetILNS1_3genE0ELNS1_11target_archE4294967295ELNS1_3gpuE0ELNS1_3repE0EEENS1_30default_config_static_selectorELNS0_4arch9wavefront6targetE1EEEvT1_,"axG",@progbits,_ZN7rocprim17ROCPRIM_400000_NS6detail17trampoline_kernelINS0_14default_configENS1_20scan_config_selectorIiEEZZNS1_9scan_implILNS1_25lookback_scan_determinismE0ELb0ELb0ES3_N6thrust23THRUST_200600_302600_NS6detail15normal_iteratorINS9_10device_ptrIiEEEESE_i19const_ref_plus_mod3IiEiEEDaPvRmT3_T4_T5_mT6_P12ihipStream_tbENKUlT_T0_E_clISt17integral_constantIbLb1EEST_IbLb0EEEEDaSP_SQ_EUlSP_E_NS1_11comp_targetILNS1_3genE0ELNS1_11target_archE4294967295ELNS1_3gpuE0ELNS1_3repE0EEENS1_30default_config_static_selectorELNS0_4arch9wavefront6targetE1EEEvT1_,comdat
.Lfunc_end7016:
	.size	_ZN7rocprim17ROCPRIM_400000_NS6detail17trampoline_kernelINS0_14default_configENS1_20scan_config_selectorIiEEZZNS1_9scan_implILNS1_25lookback_scan_determinismE0ELb0ELb0ES3_N6thrust23THRUST_200600_302600_NS6detail15normal_iteratorINS9_10device_ptrIiEEEESE_i19const_ref_plus_mod3IiEiEEDaPvRmT3_T4_T5_mT6_P12ihipStream_tbENKUlT_T0_E_clISt17integral_constantIbLb1EEST_IbLb0EEEEDaSP_SQ_EUlSP_E_NS1_11comp_targetILNS1_3genE0ELNS1_11target_archE4294967295ELNS1_3gpuE0ELNS1_3repE0EEENS1_30default_config_static_selectorELNS0_4arch9wavefront6targetE1EEEvT1_, .Lfunc_end7016-_ZN7rocprim17ROCPRIM_400000_NS6detail17trampoline_kernelINS0_14default_configENS1_20scan_config_selectorIiEEZZNS1_9scan_implILNS1_25lookback_scan_determinismE0ELb0ELb0ES3_N6thrust23THRUST_200600_302600_NS6detail15normal_iteratorINS9_10device_ptrIiEEEESE_i19const_ref_plus_mod3IiEiEEDaPvRmT3_T4_T5_mT6_P12ihipStream_tbENKUlT_T0_E_clISt17integral_constantIbLb1EEST_IbLb0EEEEDaSP_SQ_EUlSP_E_NS1_11comp_targetILNS1_3genE0ELNS1_11target_archE4294967295ELNS1_3gpuE0ELNS1_3repE0EEENS1_30default_config_static_selectorELNS0_4arch9wavefront6targetE1EEEvT1_
                                        ; -- End function
	.section	.AMDGPU.csdata,"",@progbits
; Kernel info:
; codeLenInByte = 0
; NumSgprs: 4
; NumVgprs: 0
; NumAgprs: 0
; TotalNumVgprs: 0
; ScratchSize: 0
; MemoryBound: 0
; FloatMode: 240
; IeeeMode: 1
; LDSByteSize: 0 bytes/workgroup (compile time only)
; SGPRBlocks: 0
; VGPRBlocks: 0
; NumSGPRsForWavesPerEU: 4
; NumVGPRsForWavesPerEU: 1
; AccumOffset: 4
; Occupancy: 8
; WaveLimiterHint : 0
; COMPUTE_PGM_RSRC2:SCRATCH_EN: 0
; COMPUTE_PGM_RSRC2:USER_SGPR: 6
; COMPUTE_PGM_RSRC2:TRAP_HANDLER: 0
; COMPUTE_PGM_RSRC2:TGID_X_EN: 1
; COMPUTE_PGM_RSRC2:TGID_Y_EN: 0
; COMPUTE_PGM_RSRC2:TGID_Z_EN: 0
; COMPUTE_PGM_RSRC2:TIDIG_COMP_CNT: 0
; COMPUTE_PGM_RSRC3_GFX90A:ACCUM_OFFSET: 0
; COMPUTE_PGM_RSRC3_GFX90A:TG_SPLIT: 0
	.section	.text._ZN7rocprim17ROCPRIM_400000_NS6detail17trampoline_kernelINS0_14default_configENS1_20scan_config_selectorIiEEZZNS1_9scan_implILNS1_25lookback_scan_determinismE0ELb0ELb0ES3_N6thrust23THRUST_200600_302600_NS6detail15normal_iteratorINS9_10device_ptrIiEEEESE_i19const_ref_plus_mod3IiEiEEDaPvRmT3_T4_T5_mT6_P12ihipStream_tbENKUlT_T0_E_clISt17integral_constantIbLb1EEST_IbLb0EEEEDaSP_SQ_EUlSP_E_NS1_11comp_targetILNS1_3genE5ELNS1_11target_archE942ELNS1_3gpuE9ELNS1_3repE0EEENS1_30default_config_static_selectorELNS0_4arch9wavefront6targetE1EEEvT1_,"axG",@progbits,_ZN7rocprim17ROCPRIM_400000_NS6detail17trampoline_kernelINS0_14default_configENS1_20scan_config_selectorIiEEZZNS1_9scan_implILNS1_25lookback_scan_determinismE0ELb0ELb0ES3_N6thrust23THRUST_200600_302600_NS6detail15normal_iteratorINS9_10device_ptrIiEEEESE_i19const_ref_plus_mod3IiEiEEDaPvRmT3_T4_T5_mT6_P12ihipStream_tbENKUlT_T0_E_clISt17integral_constantIbLb1EEST_IbLb0EEEEDaSP_SQ_EUlSP_E_NS1_11comp_targetILNS1_3genE5ELNS1_11target_archE942ELNS1_3gpuE9ELNS1_3repE0EEENS1_30default_config_static_selectorELNS0_4arch9wavefront6targetE1EEEvT1_,comdat
	.protected	_ZN7rocprim17ROCPRIM_400000_NS6detail17trampoline_kernelINS0_14default_configENS1_20scan_config_selectorIiEEZZNS1_9scan_implILNS1_25lookback_scan_determinismE0ELb0ELb0ES3_N6thrust23THRUST_200600_302600_NS6detail15normal_iteratorINS9_10device_ptrIiEEEESE_i19const_ref_plus_mod3IiEiEEDaPvRmT3_T4_T5_mT6_P12ihipStream_tbENKUlT_T0_E_clISt17integral_constantIbLb1EEST_IbLb0EEEEDaSP_SQ_EUlSP_E_NS1_11comp_targetILNS1_3genE5ELNS1_11target_archE942ELNS1_3gpuE9ELNS1_3repE0EEENS1_30default_config_static_selectorELNS0_4arch9wavefront6targetE1EEEvT1_ ; -- Begin function _ZN7rocprim17ROCPRIM_400000_NS6detail17trampoline_kernelINS0_14default_configENS1_20scan_config_selectorIiEEZZNS1_9scan_implILNS1_25lookback_scan_determinismE0ELb0ELb0ES3_N6thrust23THRUST_200600_302600_NS6detail15normal_iteratorINS9_10device_ptrIiEEEESE_i19const_ref_plus_mod3IiEiEEDaPvRmT3_T4_T5_mT6_P12ihipStream_tbENKUlT_T0_E_clISt17integral_constantIbLb1EEST_IbLb0EEEEDaSP_SQ_EUlSP_E_NS1_11comp_targetILNS1_3genE5ELNS1_11target_archE942ELNS1_3gpuE9ELNS1_3repE0EEENS1_30default_config_static_selectorELNS0_4arch9wavefront6targetE1EEEvT1_
	.globl	_ZN7rocprim17ROCPRIM_400000_NS6detail17trampoline_kernelINS0_14default_configENS1_20scan_config_selectorIiEEZZNS1_9scan_implILNS1_25lookback_scan_determinismE0ELb0ELb0ES3_N6thrust23THRUST_200600_302600_NS6detail15normal_iteratorINS9_10device_ptrIiEEEESE_i19const_ref_plus_mod3IiEiEEDaPvRmT3_T4_T5_mT6_P12ihipStream_tbENKUlT_T0_E_clISt17integral_constantIbLb1EEST_IbLb0EEEEDaSP_SQ_EUlSP_E_NS1_11comp_targetILNS1_3genE5ELNS1_11target_archE942ELNS1_3gpuE9ELNS1_3repE0EEENS1_30default_config_static_selectorELNS0_4arch9wavefront6targetE1EEEvT1_
	.p2align	8
	.type	_ZN7rocprim17ROCPRIM_400000_NS6detail17trampoline_kernelINS0_14default_configENS1_20scan_config_selectorIiEEZZNS1_9scan_implILNS1_25lookback_scan_determinismE0ELb0ELb0ES3_N6thrust23THRUST_200600_302600_NS6detail15normal_iteratorINS9_10device_ptrIiEEEESE_i19const_ref_plus_mod3IiEiEEDaPvRmT3_T4_T5_mT6_P12ihipStream_tbENKUlT_T0_E_clISt17integral_constantIbLb1EEST_IbLb0EEEEDaSP_SQ_EUlSP_E_NS1_11comp_targetILNS1_3genE5ELNS1_11target_archE942ELNS1_3gpuE9ELNS1_3repE0EEENS1_30default_config_static_selectorELNS0_4arch9wavefront6targetE1EEEvT1_,@function
_ZN7rocprim17ROCPRIM_400000_NS6detail17trampoline_kernelINS0_14default_configENS1_20scan_config_selectorIiEEZZNS1_9scan_implILNS1_25lookback_scan_determinismE0ELb0ELb0ES3_N6thrust23THRUST_200600_302600_NS6detail15normal_iteratorINS9_10device_ptrIiEEEESE_i19const_ref_plus_mod3IiEiEEDaPvRmT3_T4_T5_mT6_P12ihipStream_tbENKUlT_T0_E_clISt17integral_constantIbLb1EEST_IbLb0EEEEDaSP_SQ_EUlSP_E_NS1_11comp_targetILNS1_3genE5ELNS1_11target_archE942ELNS1_3gpuE9ELNS1_3repE0EEENS1_30default_config_static_selectorELNS0_4arch9wavefront6targetE1EEEvT1_: ; @_ZN7rocprim17ROCPRIM_400000_NS6detail17trampoline_kernelINS0_14default_configENS1_20scan_config_selectorIiEEZZNS1_9scan_implILNS1_25lookback_scan_determinismE0ELb0ELb0ES3_N6thrust23THRUST_200600_302600_NS6detail15normal_iteratorINS9_10device_ptrIiEEEESE_i19const_ref_plus_mod3IiEiEEDaPvRmT3_T4_T5_mT6_P12ihipStream_tbENKUlT_T0_E_clISt17integral_constantIbLb1EEST_IbLb0EEEEDaSP_SQ_EUlSP_E_NS1_11comp_targetILNS1_3genE5ELNS1_11target_archE942ELNS1_3gpuE9ELNS1_3repE0EEENS1_30default_config_static_selectorELNS0_4arch9wavefront6targetE1EEEvT1_
; %bb.0:
	.section	.rodata,"a",@progbits
	.p2align	6, 0x0
	.amdhsa_kernel _ZN7rocprim17ROCPRIM_400000_NS6detail17trampoline_kernelINS0_14default_configENS1_20scan_config_selectorIiEEZZNS1_9scan_implILNS1_25lookback_scan_determinismE0ELb0ELb0ES3_N6thrust23THRUST_200600_302600_NS6detail15normal_iteratorINS9_10device_ptrIiEEEESE_i19const_ref_plus_mod3IiEiEEDaPvRmT3_T4_T5_mT6_P12ihipStream_tbENKUlT_T0_E_clISt17integral_constantIbLb1EEST_IbLb0EEEEDaSP_SQ_EUlSP_E_NS1_11comp_targetILNS1_3genE5ELNS1_11target_archE942ELNS1_3gpuE9ELNS1_3repE0EEENS1_30default_config_static_selectorELNS0_4arch9wavefront6targetE1EEEvT1_
		.amdhsa_group_segment_fixed_size 0
		.amdhsa_private_segment_fixed_size 0
		.amdhsa_kernarg_size 104
		.amdhsa_user_sgpr_count 6
		.amdhsa_user_sgpr_private_segment_buffer 1
		.amdhsa_user_sgpr_dispatch_ptr 0
		.amdhsa_user_sgpr_queue_ptr 0
		.amdhsa_user_sgpr_kernarg_segment_ptr 1
		.amdhsa_user_sgpr_dispatch_id 0
		.amdhsa_user_sgpr_flat_scratch_init 0
		.amdhsa_user_sgpr_kernarg_preload_length 0
		.amdhsa_user_sgpr_kernarg_preload_offset 0
		.amdhsa_user_sgpr_private_segment_size 0
		.amdhsa_uses_dynamic_stack 0
		.amdhsa_system_sgpr_private_segment_wavefront_offset 0
		.amdhsa_system_sgpr_workgroup_id_x 1
		.amdhsa_system_sgpr_workgroup_id_y 0
		.amdhsa_system_sgpr_workgroup_id_z 0
		.amdhsa_system_sgpr_workgroup_info 0
		.amdhsa_system_vgpr_workitem_id 0
		.amdhsa_next_free_vgpr 1
		.amdhsa_next_free_sgpr 0
		.amdhsa_accum_offset 4
		.amdhsa_reserve_vcc 0
		.amdhsa_reserve_flat_scratch 0
		.amdhsa_float_round_mode_32 0
		.amdhsa_float_round_mode_16_64 0
		.amdhsa_float_denorm_mode_32 3
		.amdhsa_float_denorm_mode_16_64 3
		.amdhsa_dx10_clamp 1
		.amdhsa_ieee_mode 1
		.amdhsa_fp16_overflow 0
		.amdhsa_tg_split 0
		.amdhsa_exception_fp_ieee_invalid_op 0
		.amdhsa_exception_fp_denorm_src 0
		.amdhsa_exception_fp_ieee_div_zero 0
		.amdhsa_exception_fp_ieee_overflow 0
		.amdhsa_exception_fp_ieee_underflow 0
		.amdhsa_exception_fp_ieee_inexact 0
		.amdhsa_exception_int_div_zero 0
	.end_amdhsa_kernel
	.section	.text._ZN7rocprim17ROCPRIM_400000_NS6detail17trampoline_kernelINS0_14default_configENS1_20scan_config_selectorIiEEZZNS1_9scan_implILNS1_25lookback_scan_determinismE0ELb0ELb0ES3_N6thrust23THRUST_200600_302600_NS6detail15normal_iteratorINS9_10device_ptrIiEEEESE_i19const_ref_plus_mod3IiEiEEDaPvRmT3_T4_T5_mT6_P12ihipStream_tbENKUlT_T0_E_clISt17integral_constantIbLb1EEST_IbLb0EEEEDaSP_SQ_EUlSP_E_NS1_11comp_targetILNS1_3genE5ELNS1_11target_archE942ELNS1_3gpuE9ELNS1_3repE0EEENS1_30default_config_static_selectorELNS0_4arch9wavefront6targetE1EEEvT1_,"axG",@progbits,_ZN7rocprim17ROCPRIM_400000_NS6detail17trampoline_kernelINS0_14default_configENS1_20scan_config_selectorIiEEZZNS1_9scan_implILNS1_25lookback_scan_determinismE0ELb0ELb0ES3_N6thrust23THRUST_200600_302600_NS6detail15normal_iteratorINS9_10device_ptrIiEEEESE_i19const_ref_plus_mod3IiEiEEDaPvRmT3_T4_T5_mT6_P12ihipStream_tbENKUlT_T0_E_clISt17integral_constantIbLb1EEST_IbLb0EEEEDaSP_SQ_EUlSP_E_NS1_11comp_targetILNS1_3genE5ELNS1_11target_archE942ELNS1_3gpuE9ELNS1_3repE0EEENS1_30default_config_static_selectorELNS0_4arch9wavefront6targetE1EEEvT1_,comdat
.Lfunc_end7017:
	.size	_ZN7rocprim17ROCPRIM_400000_NS6detail17trampoline_kernelINS0_14default_configENS1_20scan_config_selectorIiEEZZNS1_9scan_implILNS1_25lookback_scan_determinismE0ELb0ELb0ES3_N6thrust23THRUST_200600_302600_NS6detail15normal_iteratorINS9_10device_ptrIiEEEESE_i19const_ref_plus_mod3IiEiEEDaPvRmT3_T4_T5_mT6_P12ihipStream_tbENKUlT_T0_E_clISt17integral_constantIbLb1EEST_IbLb0EEEEDaSP_SQ_EUlSP_E_NS1_11comp_targetILNS1_3genE5ELNS1_11target_archE942ELNS1_3gpuE9ELNS1_3repE0EEENS1_30default_config_static_selectorELNS0_4arch9wavefront6targetE1EEEvT1_, .Lfunc_end7017-_ZN7rocprim17ROCPRIM_400000_NS6detail17trampoline_kernelINS0_14default_configENS1_20scan_config_selectorIiEEZZNS1_9scan_implILNS1_25lookback_scan_determinismE0ELb0ELb0ES3_N6thrust23THRUST_200600_302600_NS6detail15normal_iteratorINS9_10device_ptrIiEEEESE_i19const_ref_plus_mod3IiEiEEDaPvRmT3_T4_T5_mT6_P12ihipStream_tbENKUlT_T0_E_clISt17integral_constantIbLb1EEST_IbLb0EEEEDaSP_SQ_EUlSP_E_NS1_11comp_targetILNS1_3genE5ELNS1_11target_archE942ELNS1_3gpuE9ELNS1_3repE0EEENS1_30default_config_static_selectorELNS0_4arch9wavefront6targetE1EEEvT1_
                                        ; -- End function
	.section	.AMDGPU.csdata,"",@progbits
; Kernel info:
; codeLenInByte = 0
; NumSgprs: 4
; NumVgprs: 0
; NumAgprs: 0
; TotalNumVgprs: 0
; ScratchSize: 0
; MemoryBound: 0
; FloatMode: 240
; IeeeMode: 1
; LDSByteSize: 0 bytes/workgroup (compile time only)
; SGPRBlocks: 0
; VGPRBlocks: 0
; NumSGPRsForWavesPerEU: 4
; NumVGPRsForWavesPerEU: 1
; AccumOffset: 4
; Occupancy: 8
; WaveLimiterHint : 0
; COMPUTE_PGM_RSRC2:SCRATCH_EN: 0
; COMPUTE_PGM_RSRC2:USER_SGPR: 6
; COMPUTE_PGM_RSRC2:TRAP_HANDLER: 0
; COMPUTE_PGM_RSRC2:TGID_X_EN: 1
; COMPUTE_PGM_RSRC2:TGID_Y_EN: 0
; COMPUTE_PGM_RSRC2:TGID_Z_EN: 0
; COMPUTE_PGM_RSRC2:TIDIG_COMP_CNT: 0
; COMPUTE_PGM_RSRC3_GFX90A:ACCUM_OFFSET: 0
; COMPUTE_PGM_RSRC3_GFX90A:TG_SPLIT: 0
	.section	.text._ZN7rocprim17ROCPRIM_400000_NS6detail17trampoline_kernelINS0_14default_configENS1_20scan_config_selectorIiEEZZNS1_9scan_implILNS1_25lookback_scan_determinismE0ELb0ELb0ES3_N6thrust23THRUST_200600_302600_NS6detail15normal_iteratorINS9_10device_ptrIiEEEESE_i19const_ref_plus_mod3IiEiEEDaPvRmT3_T4_T5_mT6_P12ihipStream_tbENKUlT_T0_E_clISt17integral_constantIbLb1EEST_IbLb0EEEEDaSP_SQ_EUlSP_E_NS1_11comp_targetILNS1_3genE4ELNS1_11target_archE910ELNS1_3gpuE8ELNS1_3repE0EEENS1_30default_config_static_selectorELNS0_4arch9wavefront6targetE1EEEvT1_,"axG",@progbits,_ZN7rocprim17ROCPRIM_400000_NS6detail17trampoline_kernelINS0_14default_configENS1_20scan_config_selectorIiEEZZNS1_9scan_implILNS1_25lookback_scan_determinismE0ELb0ELb0ES3_N6thrust23THRUST_200600_302600_NS6detail15normal_iteratorINS9_10device_ptrIiEEEESE_i19const_ref_plus_mod3IiEiEEDaPvRmT3_T4_T5_mT6_P12ihipStream_tbENKUlT_T0_E_clISt17integral_constantIbLb1EEST_IbLb0EEEEDaSP_SQ_EUlSP_E_NS1_11comp_targetILNS1_3genE4ELNS1_11target_archE910ELNS1_3gpuE8ELNS1_3repE0EEENS1_30default_config_static_selectorELNS0_4arch9wavefront6targetE1EEEvT1_,comdat
	.protected	_ZN7rocprim17ROCPRIM_400000_NS6detail17trampoline_kernelINS0_14default_configENS1_20scan_config_selectorIiEEZZNS1_9scan_implILNS1_25lookback_scan_determinismE0ELb0ELb0ES3_N6thrust23THRUST_200600_302600_NS6detail15normal_iteratorINS9_10device_ptrIiEEEESE_i19const_ref_plus_mod3IiEiEEDaPvRmT3_T4_T5_mT6_P12ihipStream_tbENKUlT_T0_E_clISt17integral_constantIbLb1EEST_IbLb0EEEEDaSP_SQ_EUlSP_E_NS1_11comp_targetILNS1_3genE4ELNS1_11target_archE910ELNS1_3gpuE8ELNS1_3repE0EEENS1_30default_config_static_selectorELNS0_4arch9wavefront6targetE1EEEvT1_ ; -- Begin function _ZN7rocprim17ROCPRIM_400000_NS6detail17trampoline_kernelINS0_14default_configENS1_20scan_config_selectorIiEEZZNS1_9scan_implILNS1_25lookback_scan_determinismE0ELb0ELb0ES3_N6thrust23THRUST_200600_302600_NS6detail15normal_iteratorINS9_10device_ptrIiEEEESE_i19const_ref_plus_mod3IiEiEEDaPvRmT3_T4_T5_mT6_P12ihipStream_tbENKUlT_T0_E_clISt17integral_constantIbLb1EEST_IbLb0EEEEDaSP_SQ_EUlSP_E_NS1_11comp_targetILNS1_3genE4ELNS1_11target_archE910ELNS1_3gpuE8ELNS1_3repE0EEENS1_30default_config_static_selectorELNS0_4arch9wavefront6targetE1EEEvT1_
	.globl	_ZN7rocprim17ROCPRIM_400000_NS6detail17trampoline_kernelINS0_14default_configENS1_20scan_config_selectorIiEEZZNS1_9scan_implILNS1_25lookback_scan_determinismE0ELb0ELb0ES3_N6thrust23THRUST_200600_302600_NS6detail15normal_iteratorINS9_10device_ptrIiEEEESE_i19const_ref_plus_mod3IiEiEEDaPvRmT3_T4_T5_mT6_P12ihipStream_tbENKUlT_T0_E_clISt17integral_constantIbLb1EEST_IbLb0EEEEDaSP_SQ_EUlSP_E_NS1_11comp_targetILNS1_3genE4ELNS1_11target_archE910ELNS1_3gpuE8ELNS1_3repE0EEENS1_30default_config_static_selectorELNS0_4arch9wavefront6targetE1EEEvT1_
	.p2align	8
	.type	_ZN7rocprim17ROCPRIM_400000_NS6detail17trampoline_kernelINS0_14default_configENS1_20scan_config_selectorIiEEZZNS1_9scan_implILNS1_25lookback_scan_determinismE0ELb0ELb0ES3_N6thrust23THRUST_200600_302600_NS6detail15normal_iteratorINS9_10device_ptrIiEEEESE_i19const_ref_plus_mod3IiEiEEDaPvRmT3_T4_T5_mT6_P12ihipStream_tbENKUlT_T0_E_clISt17integral_constantIbLb1EEST_IbLb0EEEEDaSP_SQ_EUlSP_E_NS1_11comp_targetILNS1_3genE4ELNS1_11target_archE910ELNS1_3gpuE8ELNS1_3repE0EEENS1_30default_config_static_selectorELNS0_4arch9wavefront6targetE1EEEvT1_,@function
_ZN7rocprim17ROCPRIM_400000_NS6detail17trampoline_kernelINS0_14default_configENS1_20scan_config_selectorIiEEZZNS1_9scan_implILNS1_25lookback_scan_determinismE0ELb0ELb0ES3_N6thrust23THRUST_200600_302600_NS6detail15normal_iteratorINS9_10device_ptrIiEEEESE_i19const_ref_plus_mod3IiEiEEDaPvRmT3_T4_T5_mT6_P12ihipStream_tbENKUlT_T0_E_clISt17integral_constantIbLb1EEST_IbLb0EEEEDaSP_SQ_EUlSP_E_NS1_11comp_targetILNS1_3genE4ELNS1_11target_archE910ELNS1_3gpuE8ELNS1_3repE0EEENS1_30default_config_static_selectorELNS0_4arch9wavefront6targetE1EEEvT1_: ; @_ZN7rocprim17ROCPRIM_400000_NS6detail17trampoline_kernelINS0_14default_configENS1_20scan_config_selectorIiEEZZNS1_9scan_implILNS1_25lookback_scan_determinismE0ELb0ELb0ES3_N6thrust23THRUST_200600_302600_NS6detail15normal_iteratorINS9_10device_ptrIiEEEESE_i19const_ref_plus_mod3IiEiEEDaPvRmT3_T4_T5_mT6_P12ihipStream_tbENKUlT_T0_E_clISt17integral_constantIbLb1EEST_IbLb0EEEEDaSP_SQ_EUlSP_E_NS1_11comp_targetILNS1_3genE4ELNS1_11target_archE910ELNS1_3gpuE8ELNS1_3repE0EEENS1_30default_config_static_selectorELNS0_4arch9wavefront6targetE1EEEvT1_
; %bb.0:
	s_load_dwordx8 s[8:15], s[4:5], 0x0
	s_load_dword s1, s[4:5], 0x38
	s_mul_i32 s0, s6, 0x500
	v_lshlrev_b32_e32 v22, 2, v0
	s_waitcnt lgkmcnt(0)
	s_lshl_b64 s[20:21], s[10:11], 2
	s_add_u32 s2, s8, s20
	s_addc_u32 s3, s9, s21
	s_add_i32 s7, s1, -1
	s_mul_i32 s8, s7, 0x500
	s_sub_u32 s33, s14, s8
	s_subb_u32 s36, s15, 0
	s_mov_b32 s1, 0
	s_cmp_lg_u32 s6, s7
	s_cselect_b64 s[14:15], -1, 0
	s_lshl_b64 s[22:23], s[0:1], 2
	s_add_u32 s2, s2, s22
	s_addc_u32 s3, s3, s23
	s_mov_b64 s[0:1], -1
	s_and_b64 vcc, exec, s[14:15]
	s_cbranch_vccz .LBB7018_2
; %bb.1:
	v_mov_b32_e32 v1, s3
	v_add_co_u32_e32 v2, vcc, s2, v22
	v_addc_co_u32_e32 v3, vcc, 0, v1, vcc
	flat_load_dword v1, v[2:3]
	flat_load_dword v4, v[2:3] offset:512
	flat_load_dword v5, v[2:3] offset:1024
	;; [unrolled: 1-line block ×7, first 2 shown]
	v_add_co_u32_e32 v2, vcc, 0x1000, v2
	v_addc_co_u32_e32 v3, vcc, 0, v3, vcc
	flat_load_dword v11, v[2:3]
	flat_load_dword v12, v[2:3] offset:512
	s_mov_b64 s[0:1], 0
	s_waitcnt vmcnt(0) lgkmcnt(0)
	ds_write2st64_b32 v22, v1, v4 offset1:2
	ds_write2st64_b32 v22, v5, v6 offset0:4 offset1:6
	ds_write2st64_b32 v22, v7, v8 offset0:8 offset1:10
	;; [unrolled: 1-line block ×4, first 2 shown]
	s_waitcnt lgkmcnt(0)
	s_barrier
.LBB7018_2:
	s_load_dwordx4 s[16:19], s[4:5], 0x28
	s_andn2_b64 vcc, exec, s[0:1]
	v_cmp_gt_u32_e64 s[0:1], s33, v0
	s_cbranch_vccnz .LBB7018_24
; %bb.3:
	v_pk_mov_b32 v[2:3], s[2:3], s[2:3] op_sel:[0,1]
	flat_load_dword v1, v[2:3]
	s_waitcnt vmcnt(0) lgkmcnt(0)
	v_mov_b32_e32 v2, v1
	v_mov_b32_e32 v3, v1
	;; [unrolled: 1-line block ×9, first 2 shown]
	s_and_saveexec_b64 s[8:9], s[0:1]
	s_cbranch_execz .LBB7018_5
; %bb.4:
	v_mov_b32_e32 v11, s3
	v_add_co_u32_e32 v10, vcc, s2, v22
	v_addc_co_u32_e32 v11, vcc, 0, v11, vcc
	flat_load_dword v10, v[10:11]
.LBB7018_5:
	s_or_b64 exec, exec, s[8:9]
	v_or_b32_e32 v11, 0x80, v0
	v_cmp_gt_u32_e32 vcc, s33, v11
	s_and_saveexec_b64 s[0:1], vcc
	s_cbranch_execz .LBB7018_7
; %bb.6:
	v_mov_b32_e32 v1, s3
	v_add_co_u32_e32 v12, vcc, s2, v22
	v_addc_co_u32_e32 v13, vcc, 0, v1, vcc
	flat_load_dword v1, v[12:13] offset:512
.LBB7018_7:
	s_or_b64 exec, exec, s[0:1]
	v_or_b32_e32 v11, 0x100, v0
	v_cmp_gt_u32_e32 vcc, s33, v11
	s_and_saveexec_b64 s[0:1], vcc
	s_cbranch_execz .LBB7018_9
; %bb.8:
	v_mov_b32_e32 v2, s3
	v_add_co_u32_e32 v12, vcc, s2, v22
	v_addc_co_u32_e32 v13, vcc, 0, v2, vcc
	flat_load_dword v2, v[12:13] offset:1024
.LBB7018_9:
	;; [unrolled: 11-line block ×7, first 2 shown]
	s_or_b64 exec, exec, s[0:1]
	v_or_b32_e32 v11, 0x400, v0
	v_cmp_gt_u32_e32 vcc, s33, v11
	s_and_saveexec_b64 s[0:1], vcc
	s_cbranch_execz .LBB7018_21
; %bb.20:
	v_lshlrev_b32_e32 v8, 2, v11
	v_mov_b32_e32 v11, s3
	v_add_co_u32_e32 v12, vcc, s2, v8
	v_addc_co_u32_e32 v13, vcc, 0, v11, vcc
	flat_load_dword v8, v[12:13]
.LBB7018_21:
	s_or_b64 exec, exec, s[0:1]
	v_or_b32_e32 v11, 0x480, v0
	v_cmp_gt_u32_e32 vcc, s33, v11
	s_and_saveexec_b64 s[0:1], vcc
	s_cbranch_execz .LBB7018_23
; %bb.22:
	v_lshlrev_b32_e32 v9, 2, v11
	v_mov_b32_e32 v11, s3
	v_add_co_u32_e32 v12, vcc, s2, v9
	v_addc_co_u32_e32 v13, vcc, 0, v11, vcc
	flat_load_dword v9, v[12:13]
.LBB7018_23:
	s_or_b64 exec, exec, s[0:1]
	s_waitcnt vmcnt(0) lgkmcnt(0)
	ds_write2st64_b32 v22, v10, v1 offset1:2
	ds_write2st64_b32 v22, v2, v3 offset0:4 offset1:6
	ds_write2st64_b32 v22, v4, v5 offset0:8 offset1:10
	;; [unrolled: 1-line block ×4, first 2 shown]
	s_waitcnt lgkmcnt(0)
	s_barrier
.LBB7018_24:
	v_mul_u32_u24_e32 v23, 10, v0
	v_lshlrev_b32_e32 v1, 2, v23
	s_waitcnt lgkmcnt(0)
	ds_read2_b64 v[2:5], v1 offset1:1
	ds_read2_b64 v[16:19], v1 offset0:2 offset1:3
	ds_read_b64 v[20:21], v1 offset:32
	s_cmp_lg_u32 s6, 0
	v_lshrrev_b32_e32 v24, 5, v0
	v_cmp_gt_u32_e32 vcc, 64, v0
	s_waitcnt lgkmcnt(0)
	s_barrier
	s_cbranch_scc0 .LBB7018_94
; %bb.25:
	v_add_u32_e32 v6, v3, v2
	v_ashrrev_i32_e32 v7, 31, v6
	v_lshlrev_b64 v[6:7], 2, v[6:7]
	v_mov_b32_e32 v8, s17
	v_add_co_u32_e64 v6, s[0:1], s16, v6
	v_addc_co_u32_e64 v7, s[0:1], v8, v7, s[0:1]
	global_load_dword v6, v[6:7], off
	s_waitcnt vmcnt(0)
	v_add_u32_e32 v6, v6, v4
	v_ashrrev_i32_e32 v7, 31, v6
	v_lshlrev_b64 v[6:7], 2, v[6:7]
	v_add_co_u32_e64 v6, s[0:1], s16, v6
	v_addc_co_u32_e64 v7, s[0:1], v8, v7, s[0:1]
	global_load_dword v6, v[6:7], off
	s_waitcnt vmcnt(0)
	v_add_u32_e32 v6, v6, v5
	v_ashrrev_i32_e32 v7, 31, v6
	v_lshlrev_b64 v[6:7], 2, v[6:7]
	;; [unrolled: 7-line block ×8, first 2 shown]
	v_add_co_u32_e64 v6, s[0:1], s16, v6
	v_addc_co_u32_e64 v7, s[0:1], v8, v7, s[0:1]
	global_load_dword v25, v[6:7], off
	v_add_lshl_u32 v6, v24, v0, 2
	s_waitcnt vmcnt(0)
	ds_write_b32 v6, v25
	s_waitcnt lgkmcnt(0)
	s_barrier
	s_and_saveexec_b64 s[2:3], vcc
	s_cbranch_execz .LBB7018_39
; %bb.26:
	v_lshlrev_b32_e32 v6, 1, v0
	v_lshrrev_b32_e32 v7, 4, v0
	v_add_lshl_u32 v8, v7, v6, 2
	ds_read2_b32 v[6:7], v8 offset1:1
	v_mov_b32_e32 v9, s17
	s_waitcnt lgkmcnt(0)
	v_add_u32_e32 v10, v7, v6
	v_ashrrev_i32_e32 v11, 31, v10
	v_lshlrev_b64 v[10:11], 2, v[10:11]
	v_add_co_u32_e64 v10, s[0:1], s16, v10
	v_addc_co_u32_e64 v11, s[0:1], v9, v11, s[0:1]
	global_load_dword v9, v[10:11], off
	v_mbcnt_lo_u32_b32 v7, -1, 0
	v_mbcnt_hi_u32_b32 v7, -1, v7
	v_and_b32_e32 v10, 15, v7
	v_cmp_ne_u32_e64 s[0:1], 0, v10
	s_waitcnt vmcnt(0)
	v_mov_b32_dpp v11, v9 row_shr:1 row_mask:0xf bank_mask:0xf
	s_and_saveexec_b64 s[8:9], s[0:1]
	s_cbranch_execz .LBB7018_28
; %bb.27:
	v_add_u32_e32 v12, v11, v9
	v_ashrrev_i32_e32 v13, 31, v12
	v_lshlrev_b64 v[12:13], 2, v[12:13]
	v_mov_b32_e32 v9, s17
	v_add_co_u32_e64 v12, s[0:1], s16, v12
	v_addc_co_u32_e64 v13, s[0:1], v9, v13, s[0:1]
	global_load_dword v9, v[12:13], off
.LBB7018_28:
	s_or_b64 exec, exec, s[8:9]
	s_waitcnt vmcnt(0)
	v_mov_b32_dpp v11, v9 row_shr:2 row_mask:0xf bank_mask:0xf
	v_cmp_lt_u32_e64 s[0:1], 1, v10
	s_and_saveexec_b64 s[8:9], s[0:1]
	s_cbranch_execz .LBB7018_30
; %bb.29:
	v_add_u32_e32 v12, v11, v9
	v_ashrrev_i32_e32 v13, 31, v12
	v_lshlrev_b64 v[12:13], 2, v[12:13]
	v_mov_b32_e32 v9, s17
	v_add_co_u32_e64 v12, s[0:1], s16, v12
	v_addc_co_u32_e64 v13, s[0:1], v9, v13, s[0:1]
	global_load_dword v9, v[12:13], off
.LBB7018_30:
	s_or_b64 exec, exec, s[8:9]
	s_waitcnt vmcnt(0)
	v_mov_b32_dpp v11, v9 row_shr:4 row_mask:0xf bank_mask:0xf
	v_cmp_lt_u32_e64 s[0:1], 3, v10
	;; [unrolled: 15-line block ×3, first 2 shown]
	s_and_saveexec_b64 s[8:9], s[0:1]
	s_cbranch_execz .LBB7018_34
; %bb.33:
	v_add_u32_e32 v10, v11, v9
	v_ashrrev_i32_e32 v11, 31, v10
	v_lshlrev_b64 v[10:11], 2, v[10:11]
	v_mov_b32_e32 v9, s17
	v_add_co_u32_e64 v10, s[0:1], s16, v10
	v_addc_co_u32_e64 v11, s[0:1], v9, v11, s[0:1]
	global_load_dword v9, v[10:11], off
.LBB7018_34:
	s_or_b64 exec, exec, s[8:9]
	v_and_b32_e32 v11, 16, v7
	s_waitcnt vmcnt(0)
	v_mov_b32_dpp v10, v9 row_bcast:15 row_mask:0xf bank_mask:0xf
	v_cmp_ne_u32_e64 s[0:1], 0, v11
	s_and_saveexec_b64 s[8:9], s[0:1]
	s_cbranch_execz .LBB7018_36
; %bb.35:
	v_add_u32_e32 v10, v10, v9
	v_ashrrev_i32_e32 v11, 31, v10
	v_lshlrev_b64 v[10:11], 2, v[10:11]
	v_mov_b32_e32 v9, s17
	v_add_co_u32_e64 v10, s[0:1], s16, v10
	v_addc_co_u32_e64 v11, s[0:1], v9, v11, s[0:1]
	global_load_dword v9, v[10:11], off
.LBB7018_36:
	s_or_b64 exec, exec, s[8:9]
	s_waitcnt vmcnt(0)
	v_mov_b32_dpp v10, v9 row_bcast:31 row_mask:0xf bank_mask:0xf
	v_cmp_lt_u32_e64 s[0:1], 31, v7
	s_and_saveexec_b64 s[8:9], s[0:1]
	s_cbranch_execz .LBB7018_38
; %bb.37:
	v_add_u32_e32 v10, v10, v9
	v_ashrrev_i32_e32 v11, 31, v10
	v_lshlrev_b64 v[10:11], 2, v[10:11]
	v_mov_b32_e32 v9, s17
	v_add_co_u32_e64 v10, s[0:1], s16, v10
	v_addc_co_u32_e64 v11, s[0:1], v9, v11, s[0:1]
	global_load_dword v9, v[10:11], off
.LBB7018_38:
	s_or_b64 exec, exec, s[8:9]
	v_add_u32_e32 v10, -1, v7
	v_and_b32_e32 v11, 64, v7
	v_cmp_lt_i32_e64 s[0:1], v10, v11
	v_cndmask_b32_e64 v7, v10, v7, s[0:1]
	v_lshlrev_b32_e32 v7, 2, v7
	s_waitcnt vmcnt(0)
	ds_bpermute_b32 v7, v7, v9
	v_mov_b32_e32 v9, s17
	s_waitcnt lgkmcnt(0)
	v_add_u32_e32 v6, v7, v6
	v_ashrrev_i32_e32 v7, 31, v6
	v_lshlrev_b64 v[6:7], 2, v[6:7]
	v_add_co_u32_e64 v6, s[0:1], s16, v6
	v_addc_co_u32_e64 v7, s[0:1], v9, v7, s[0:1]
	global_load_dword v6, v[6:7], off
	v_cmp_eq_u32_e64 s[0:1], 0, v0
	; wave barrier
	s_waitcnt vmcnt(0)
	v_cndmask_b32_e64 v6, v6, v25, s[0:1]
	ds_write_b32 v8, v6
	; wave barrier
	ds_read_b32 v7, v8 offset:4
	s_waitcnt lgkmcnt(0)
	v_add_u32_e32 v6, v7, v6
	v_ashrrev_i32_e32 v7, 31, v6
	v_lshlrev_b64 v[6:7], 2, v[6:7]
	v_add_co_u32_e64 v6, s[0:1], s16, v6
	v_addc_co_u32_e64 v7, s[0:1], v9, v7, s[0:1]
	global_load_dword v6, v[6:7], off
	s_waitcnt vmcnt(0)
	ds_write_b32 v8, v6 offset:4
.LBB7018_39:
	s_or_b64 exec, exec, s[2:3]
	v_cmp_eq_u32_e64 s[2:3], 0, v0
	v_cmp_ne_u32_e64 s[0:1], 0, v0
	s_waitcnt lgkmcnt(0)
	s_barrier
	s_and_saveexec_b64 s[8:9], s[0:1]
	s_cbranch_execz .LBB7018_41
; %bb.40:
	v_add_u32_e32 v6, -1, v0
	v_lshrrev_b32_e32 v7, 5, v6
	v_add_lshl_u32 v6, v7, v6, 2
	ds_read_b32 v25, v6
.LBB7018_41:
	s_or_b64 exec, exec, s[8:9]
	s_and_saveexec_b64 s[10:11], vcc
	s_cbranch_execz .LBB7018_91
; %bb.42:
	v_mov_b32_e32 v15, 0
	ds_read_b32 v6, v15 offset:520
	v_mbcnt_lo_u32_b32 v7, -1, 0
	v_mbcnt_hi_u32_b32 v9, -1, v7
	s_mov_b32 s27, 0
	v_cmp_eq_u32_e64 s[8:9], 0, v9
	s_and_saveexec_b64 s[24:25], s[8:9]
	s_cbranch_execz .LBB7018_44
; %bb.43:
	s_add_i32 s26, s6, 64
	s_lshl_b64 s[26:27], s[26:27], 3
	s_add_u32 s26, s18, s26
	v_mov_b32_e32 v7, 1
	s_addc_u32 s27, s19, s27
	s_waitcnt lgkmcnt(0)
	global_store_dwordx2 v15, v[6:7], s[26:27]
.LBB7018_44:
	s_or_b64 exec, exec, s[24:25]
	v_xad_u32 v8, v9, -1, s6
	v_add_u32_e32 v14, 64, v8
	v_lshlrev_b64 v[10:11], 3, v[14:15]
	v_mov_b32_e32 v7, s19
	v_add_co_u32_e32 v10, vcc, s18, v10
	v_addc_co_u32_e32 v11, vcc, v7, v11, vcc
	global_load_dwordx2 v[12:13], v[10:11], off glc
	s_waitcnt vmcnt(0)
	v_cmp_eq_u16_sdwa s[26:27], v13, v15 src0_sel:BYTE_0 src1_sel:DWORD
	s_and_saveexec_b64 s[24:25], s[26:27]
	s_cbranch_execz .LBB7018_50
; %bb.45:
	s_mov_b32 s7, 1
	s_mov_b64 s[26:27], 0
	v_mov_b32_e32 v7, 0
.LBB7018_46:                            ; =>This Loop Header: Depth=1
                                        ;     Child Loop BB7018_47 Depth 2
	s_max_u32 s28, s7, 1
.LBB7018_47:                            ;   Parent Loop BB7018_46 Depth=1
                                        ; =>  This Inner Loop Header: Depth=2
	s_add_i32 s28, s28, -1
	s_cmp_eq_u32 s28, 0
	s_sleep 1
	s_cbranch_scc0 .LBB7018_47
; %bb.48:                               ;   in Loop: Header=BB7018_46 Depth=1
	global_load_dwordx2 v[12:13], v[10:11], off glc
	s_cmp_lt_u32 s7, 32
	s_cselect_b64 s[28:29], -1, 0
	s_cmp_lg_u64 s[28:29], 0
	s_addc_u32 s7, s7, 0
	s_waitcnt vmcnt(0)
	v_cmp_ne_u16_sdwa s[28:29], v13, v7 src0_sel:BYTE_0 src1_sel:DWORD
	s_or_b64 s[26:27], s[28:29], s[26:27]
	s_andn2_b64 exec, exec, s[26:27]
	s_cbranch_execnz .LBB7018_46
; %bb.49:
	s_or_b64 exec, exec, s[26:27]
.LBB7018_50:
	s_or_b64 exec, exec, s[24:25]
	v_mov_b32_e32 v7, 2
	v_cmp_eq_u16_sdwa s[24:25], v13, v7 src0_sel:BYTE_0 src1_sel:DWORD
	v_lshlrev_b64 v[10:11], v9, -1
	v_and_b32_e32 v7, s25, v11
	v_or_b32_e32 v7, 0x80000000, v7
	v_ffbl_b32_e32 v27, v7
	v_and_b32_e32 v7, 63, v9
	v_cmp_ne_u32_e32 vcc, 63, v7
	v_addc_co_u32_e32 v15, vcc, 0, v9, vcc
	v_lshlrev_b32_e32 v26, 2, v15
	ds_bpermute_b32 v15, v26, v12
	v_and_b32_e32 v14, s24, v10
	v_add_u32_e32 v27, 32, v27
	v_ffbl_b32_e32 v14, v14
	v_min_u32_e32 v14, v14, v27
	v_cmp_lt_u32_e32 vcc, v7, v14
	s_and_saveexec_b64 s[24:25], vcc
	s_cbranch_execz .LBB7018_52
; %bb.51:
	s_waitcnt lgkmcnt(0)
	v_add_u32_e32 v28, v15, v12
	v_ashrrev_i32_e32 v29, 31, v28
	v_lshlrev_b64 v[28:29], 2, v[28:29]
	v_mov_b32_e32 v12, s17
	v_add_co_u32_e32 v28, vcc, s16, v28
	v_addc_co_u32_e32 v29, vcc, v12, v29, vcc
	global_load_dword v12, v[28:29], off
.LBB7018_52:
	s_or_b64 exec, exec, s[24:25]
	v_cmp_gt_u32_e32 vcc, 62, v7
	s_waitcnt lgkmcnt(0)
	v_cndmask_b32_e64 v15, 0, 1, vcc
	v_lshlrev_b32_e32 v15, 1, v15
	v_add_lshl_u32 v27, v15, v9, 2
	s_waitcnt vmcnt(0)
	ds_bpermute_b32 v15, v27, v12
	v_add_u32_e32 v28, 2, v7
	v_cmp_le_u32_e32 vcc, v28, v14
	s_and_saveexec_b64 s[24:25], vcc
	s_cbranch_execz .LBB7018_54
; %bb.53:
	s_waitcnt lgkmcnt(0)
	v_add_u32_e32 v30, v15, v12
	v_ashrrev_i32_e32 v31, 31, v30
	v_lshlrev_b64 v[30:31], 2, v[30:31]
	v_mov_b32_e32 v12, s17
	v_add_co_u32_e32 v30, vcc, s16, v30
	v_addc_co_u32_e32 v31, vcc, v12, v31, vcc
	global_load_dword v12, v[30:31], off
.LBB7018_54:
	s_or_b64 exec, exec, s[24:25]
	v_cmp_gt_u32_e32 vcc, 60, v7
	s_waitcnt lgkmcnt(0)
	v_cndmask_b32_e64 v15, 0, 1, vcc
	v_lshlrev_b32_e32 v15, 2, v15
	v_add_lshl_u32 v29, v15, v9, 2
	s_waitcnt vmcnt(0)
	ds_bpermute_b32 v15, v29, v12
	v_add_u32_e32 v30, 4, v7
	v_cmp_le_u32_e32 vcc, v30, v14
	;; [unrolled: 22-line block ×5, first 2 shown]
	s_mov_b64 s[24:25], -1
                                        ; implicit-def: $vgpr14
	s_and_saveexec_b64 s[26:27], vcc
	s_cbranch_execz .LBB7018_62
; %bb.61:
	s_waitcnt lgkmcnt(0)
	v_add_u32_e32 v14, v9, v12
	s_xor_b64 s[24:25], exec, -1
.LBB7018_62:
	s_or_b64 exec, exec, s[26:27]
	s_mov_b64 s[26:27], 0
	s_waitcnt lgkmcnt(0)
	v_mov_b32_e32 v9, 0
	v_mov_b32_e32 v38, 2
                                        ; implicit-def: $sgpr28_sgpr29
	s_branch .LBB7018_64
.LBB7018_63:                            ;   in Loop: Header=BB7018_64 Depth=1
	s_or_b64 exec, exec, s[24:25]
	v_subrev_u32_e32 v8, 64, v8
	s_waitcnt vmcnt(0)
	v_add_u32_e32 v14, v12, v37
	s_mov_b64 s[24:25], 0
	s_mov_b64 s[26:27], 0
                                        ; implicit-def: $sgpr28_sgpr29
.LBB7018_64:                            ; =>This Loop Header: Depth=1
                                        ;     Child Loop BB7018_70 Depth 2
                                        ;       Child Loop BB7018_71 Depth 3
	s_waitcnt vmcnt(0)
	v_mov_b32_e32 v37, v12
	s_xor_b64 s[34:35], s[24:25], -1
	s_or_b64 s[28:29], s[28:29], exec
                                        ; implicit-def: $sgpr30_sgpr31
	s_and_saveexec_b64 s[38:39], s[34:35]
	s_xor_b64 s[34:35], exec, s[38:39]
	s_cbranch_execz .LBB7018_66
; %bb.65:                               ;   in Loop: Header=BB7018_64 Depth=1
	s_waitcnt lgkmcnt(0)
	v_ashrrev_i32_e32 v15, 31, v14
	v_lshlrev_b64 v[40:41], 2, v[14:15]
	v_mov_b32_e32 v12, s17
	v_add_co_u32_e32 v40, vcc, s16, v40
	v_addc_co_u32_e32 v41, vcc, v12, v41, vcc
	global_load_dword v12, v[40:41], off
	s_mov_b64 s[30:31], -1
	s_andn2_b64 s[28:29], s[28:29], exec
                                        ; implicit-def: $sgpr24_sgpr25
.LBB7018_66:                            ;   in Loop: Header=BB7018_64 Depth=1
	s_or_b64 exec, exec, s[34:35]
	s_and_b64 s[34:35], exec, s[28:29]
	s_or_b64 s[26:27], s[34:35], s[26:27]
	s_andn2_b64 s[24:25], s[24:25], exec
	s_and_b64 s[30:31], s[30:31], exec
	s_or_b64 s[24:25], s[24:25], s[30:31]
	s_andn2_b64 exec, exec, s[26:27]
	s_cbranch_execnz .LBB7018_64
; %bb.67:                               ;   in Loop: Header=BB7018_64 Depth=1
	s_or_b64 exec, exec, s[26:27]
	v_cmp_ne_u16_sdwa s[24:25], v13, v38 src0_sel:BYTE_0 src1_sel:DWORD
	s_waitcnt vmcnt(0)
	v_cndmask_b32_e64 v12, 0, 1, s[24:25]
	;;#ASMSTART
	;;#ASMEND
	v_cmp_ne_u32_e32 vcc, 0, v12
	s_cmp_lg_u64 vcc, exec
	s_cbranch_scc1 .LBB7018_86
; %bb.68:                               ;   in Loop: Header=BB7018_64 Depth=1
	v_lshlrev_b64 v[12:13], 3, v[8:9]
	s_waitcnt lgkmcnt(0)
	v_mov_b32_e32 v15, s19
	v_add_co_u32_e32 v14, vcc, s18, v12
	v_addc_co_u32_e32 v15, vcc, v15, v13, vcc
	global_load_dwordx2 v[12:13], v[14:15], off glc
	s_waitcnt vmcnt(0)
	v_cmp_eq_u16_sdwa s[26:27], v13, v9 src0_sel:BYTE_0 src1_sel:DWORD
	s_and_saveexec_b64 s[24:25], s[26:27]
	s_cbranch_execz .LBB7018_74
; %bb.69:                               ;   in Loop: Header=BB7018_64 Depth=1
	s_mov_b32 s7, 1
	s_mov_b64 s[26:27], 0
.LBB7018_70:                            ;   Parent Loop BB7018_64 Depth=1
                                        ; =>  This Loop Header: Depth=2
                                        ;       Child Loop BB7018_71 Depth 3
	s_max_u32 s28, s7, 1
.LBB7018_71:                            ;   Parent Loop BB7018_64 Depth=1
                                        ;     Parent Loop BB7018_70 Depth=2
                                        ; =>    This Inner Loop Header: Depth=3
	s_add_i32 s28, s28, -1
	s_cmp_eq_u32 s28, 0
	s_sleep 1
	s_cbranch_scc0 .LBB7018_71
; %bb.72:                               ;   in Loop: Header=BB7018_70 Depth=2
	global_load_dwordx2 v[12:13], v[14:15], off glc
	s_cmp_lt_u32 s7, 32
	s_cselect_b64 s[28:29], -1, 0
	s_cmp_lg_u64 s[28:29], 0
	s_addc_u32 s7, s7, 0
	s_waitcnt vmcnt(0)
	v_cmp_ne_u16_sdwa s[28:29], v13, v9 src0_sel:BYTE_0 src1_sel:DWORD
	s_or_b64 s[26:27], s[28:29], s[26:27]
	s_andn2_b64 exec, exec, s[26:27]
	s_cbranch_execnz .LBB7018_70
; %bb.73:                               ;   in Loop: Header=BB7018_64 Depth=1
	s_or_b64 exec, exec, s[26:27]
.LBB7018_74:                            ;   in Loop: Header=BB7018_64 Depth=1
	s_or_b64 exec, exec, s[24:25]
	v_cmp_eq_u16_sdwa s[24:25], v13, v38 src0_sel:BYTE_0 src1_sel:DWORD
	v_and_b32_e32 v14, s25, v11
	v_or_b32_e32 v14, 0x80000000, v14
	ds_bpermute_b32 v15, v26, v12
	v_and_b32_e32 v39, s24, v10
	v_ffbl_b32_e32 v14, v14
	v_add_u32_e32 v14, 32, v14
	v_ffbl_b32_e32 v39, v39
	v_min_u32_e32 v14, v39, v14
	v_cmp_lt_u32_e32 vcc, v7, v14
	s_and_saveexec_b64 s[24:25], vcc
	s_cbranch_execz .LBB7018_76
; %bb.75:                               ;   in Loop: Header=BB7018_64 Depth=1
	s_waitcnt lgkmcnt(0)
	v_add_u32_e32 v40, v15, v12
	v_ashrrev_i32_e32 v41, 31, v40
	v_lshlrev_b64 v[40:41], 2, v[40:41]
	v_mov_b32_e32 v12, s17
	v_add_co_u32_e32 v40, vcc, s16, v40
	v_addc_co_u32_e32 v41, vcc, v12, v41, vcc
	global_load_dword v12, v[40:41], off
.LBB7018_76:                            ;   in Loop: Header=BB7018_64 Depth=1
	s_or_b64 exec, exec, s[24:25]
	s_waitcnt vmcnt(0) lgkmcnt(0)
	ds_bpermute_b32 v15, v27, v12
	v_cmp_le_u32_e32 vcc, v28, v14
	s_and_saveexec_b64 s[24:25], vcc
	s_cbranch_execz .LBB7018_78
; %bb.77:                               ;   in Loop: Header=BB7018_64 Depth=1
	s_waitcnt lgkmcnt(0)
	v_add_u32_e32 v40, v15, v12
	v_ashrrev_i32_e32 v41, 31, v40
	v_lshlrev_b64 v[40:41], 2, v[40:41]
	v_mov_b32_e32 v12, s17
	v_add_co_u32_e32 v40, vcc, s16, v40
	v_addc_co_u32_e32 v41, vcc, v12, v41, vcc
	global_load_dword v12, v[40:41], off
.LBB7018_78:                            ;   in Loop: Header=BB7018_64 Depth=1
	s_or_b64 exec, exec, s[24:25]
	s_waitcnt vmcnt(0) lgkmcnt(0)
	ds_bpermute_b32 v15, v29, v12
	v_cmp_le_u32_e32 vcc, v30, v14
	;; [unrolled: 16-line block ×5, first 2 shown]
	s_and_saveexec_b64 s[24:25], vcc
	s_cbranch_execz .LBB7018_63
; %bb.85:                               ;   in Loop: Header=BB7018_64 Depth=1
	s_waitcnt lgkmcnt(0)
	v_add_u32_e32 v14, v15, v12
	v_ashrrev_i32_e32 v15, 31, v14
	v_lshlrev_b64 v[14:15], 2, v[14:15]
	v_mov_b32_e32 v12, s17
	v_add_co_u32_e32 v14, vcc, s16, v14
	v_addc_co_u32_e32 v15, vcc, v12, v15, vcc
	global_load_dword v12, v[14:15], off
	s_branch .LBB7018_63
.LBB7018_86:                            ;   in Loop: Header=BB7018_64 Depth=1
	s_mov_b64 s[24:25], -1
                                        ; implicit-def: $vgpr14
                                        ; implicit-def: $vgpr13
	s_mov_b64 s[26:27], 0
                                        ; implicit-def: $sgpr28_sgpr29
	s_cbranch_execz .LBB7018_64
; %bb.87:
	s_and_saveexec_b64 s[24:25], s[8:9]
	s_cbranch_execz .LBB7018_89
; %bb.88:
	v_add_u32_e32 v6, v37, v6
	v_ashrrev_i32_e32 v7, 31, v6
	v_lshlrev_b64 v[6:7], 2, v[6:7]
	v_mov_b32_e32 v8, s17
	v_add_co_u32_e32 v6, vcc, s16, v6
	v_addc_co_u32_e32 v7, vcc, v8, v7, vcc
	global_load_dword v6, v[6:7], off
	s_add_i32 s6, s6, 64
	s_mov_b32 s7, 0
	s_lshl_b64 s[6:7], s[6:7], 3
	s_add_u32 s6, s18, s6
	s_addc_u32 s7, s19, s7
	v_mov_b32_e32 v8, 0
	v_mov_b32_e32 v7, 2
	s_waitcnt vmcnt(0)
	global_store_dwordx2 v8, v[6:7], s[6:7]
.LBB7018_89:
	s_or_b64 exec, exec, s[24:25]
	s_and_b64 exec, exec, s[2:3]
	s_cbranch_execz .LBB7018_91
; %bb.90:
	v_mov_b32_e32 v6, 0
	ds_write_b32 v6, v37
.LBB7018_91:
	s_or_b64 exec, exec, s[10:11]
	v_mov_b32_e32 v6, 0
	s_waitcnt lgkmcnt(0)
	s_barrier
	ds_read_b32 v6, v6
	v_mov_b32_e32 v7, v2
	s_and_saveexec_b64 s[2:3], s[0:1]
	s_cbranch_execz .LBB7018_93
; %bb.92:
	v_add_u32_e32 v8, v25, v2
	v_ashrrev_i32_e32 v9, 31, v8
	v_lshlrev_b64 v[8:9], 2, v[8:9]
	v_mov_b32_e32 v7, s17
	v_add_co_u32_e32 v8, vcc, s16, v8
	v_addc_co_u32_e32 v9, vcc, v7, v9, vcc
	global_load_dword v7, v[8:9], off
.LBB7018_93:
	s_or_b64 exec, exec, s[2:3]
	s_waitcnt vmcnt(0) lgkmcnt(0)
	v_add_u32_e32 v6, v7, v6
	v_ashrrev_i32_e32 v7, 31, v6
	v_lshlrev_b64 v[6:7], 2, v[6:7]
	v_mov_b32_e32 v8, s17
	v_add_co_u32_e32 v6, vcc, s16, v6
	v_addc_co_u32_e32 v7, vcc, v8, v7, vcc
	global_load_dword v6, v[6:7], off
	v_mov_b32_e32 v7, s17
	v_mov_b32_e32 v10, s17
	;; [unrolled: 1-line block ×5, first 2 shown]
	s_waitcnt vmcnt(0)
	v_add_u32_e32 v8, v6, v3
	v_ashrrev_i32_e32 v9, 31, v8
	v_lshlrev_b64 v[8:9], 2, v[8:9]
	v_add_co_u32_e32 v8, vcc, s16, v8
	v_addc_co_u32_e32 v9, vcc, v7, v9, vcc
	global_load_dword v7, v[8:9], off
	s_waitcnt vmcnt(0)
	v_add_u32_e32 v8, v7, v4
	v_ashrrev_i32_e32 v9, 31, v8
	v_lshlrev_b64 v[8:9], 2, v[8:9]
	v_add_co_u32_e32 v8, vcc, s16, v8
	v_addc_co_u32_e32 v9, vcc, v10, v9, vcc
	global_load_dword v8, v[8:9], off
	v_mov_b32_e32 v9, s17
	s_waitcnt vmcnt(0)
	v_add_u32_e32 v10, v8, v5
	v_ashrrev_i32_e32 v11, 31, v10
	v_lshlrev_b64 v[10:11], 2, v[10:11]
	v_add_co_u32_e32 v10, vcc, s16, v10
	v_addc_co_u32_e32 v11, vcc, v9, v11, vcc
	global_load_dword v9, v[10:11], off
	s_waitcnt vmcnt(0)
	v_add_u32_e32 v10, v9, v16
	v_ashrrev_i32_e32 v11, 31, v10
	v_lshlrev_b64 v[10:11], 2, v[10:11]
	v_add_co_u32_e32 v10, vcc, s16, v10
	v_addc_co_u32_e32 v11, vcc, v12, v11, vcc
	global_load_dword v10, v[10:11], off
	v_mov_b32_e32 v11, s17
	s_waitcnt vmcnt(0)
	v_add_u32_e32 v12, v10, v17
	v_ashrrev_i32_e32 v13, 31, v12
	v_lshlrev_b64 v[12:13], 2, v[12:13]
	v_add_co_u32_e32 v12, vcc, s16, v12
	v_addc_co_u32_e32 v13, vcc, v11, v13, vcc
	global_load_dword v11, v[12:13], off
	s_waitcnt vmcnt(0)
	v_add_u32_e32 v12, v11, v18
	v_ashrrev_i32_e32 v13, 31, v12
	v_lshlrev_b64 v[12:13], 2, v[12:13]
	v_add_co_u32_e32 v12, vcc, s16, v12
	v_addc_co_u32_e32 v13, vcc, v14, v13, vcc
	global_load_dword v12, v[12:13], off
	v_mov_b32_e32 v13, s17
	s_waitcnt vmcnt(0)
	v_add_u32_e32 v14, v12, v19
	v_ashrrev_i32_e32 v15, 31, v14
	v_lshlrev_b64 v[14:15], 2, v[14:15]
	v_add_co_u32_e32 v14, vcc, s16, v14
	v_addc_co_u32_e32 v15, vcc, v13, v15, vcc
	global_load_dword v13, v[14:15], off
	s_waitcnt vmcnt(0)
	v_add_u32_e32 v14, v13, v20
	v_ashrrev_i32_e32 v15, 31, v14
	v_lshlrev_b64 v[14:15], 2, v[14:15]
	v_add_co_u32_e32 v14, vcc, s16, v14
	v_addc_co_u32_e32 v15, vcc, v25, v15, vcc
	global_load_dword v14, v[14:15], off
	v_mov_b32_e32 v15, s17
	s_waitcnt vmcnt(0)
	v_add_u32_e32 v26, v14, v21
	v_ashrrev_i32_e32 v27, 31, v26
	v_lshlrev_b64 v[26:27], 2, v[26:27]
	v_add_co_u32_e32 v26, vcc, s16, v26
	v_addc_co_u32_e32 v27, vcc, v15, v27, vcc
	global_load_dword v15, v[26:27], off
	s_load_dwordx8 s[4:11], s[4:5], 0x40
	s_branch .LBB7018_118
.LBB7018_94:
                                        ; implicit-def: $vgpr6_vgpr7_vgpr8_vgpr9_vgpr10_vgpr11_vgpr12_vgpr13_vgpr14_vgpr15
	s_load_dwordx8 s[4:11], s[4:5], 0x40
	s_cbranch_execz .LBB7018_118
; %bb.95:
	s_waitcnt lgkmcnt(0)
	s_cmp_lg_u64 s[8:9], 0
	s_cselect_b64 s[2:3], -1, 0
	v_cmp_eq_u32_e64 s[0:1], 0, v0
	s_waitcnt vmcnt(0)
	v_pk_mov_b32 v[14:15], v[10:11], v[10:11] op_sel:[0,1]
	v_cmp_ne_u32_e32 vcc, 0, v0
	s_and_b64 s[2:3], s[0:1], s[2:3]
	v_pk_mov_b32 v[12:13], v[8:9], v[8:9] op_sel:[0,1]
	v_pk_mov_b32 v[10:11], v[6:7], v[6:7] op_sel:[0,1]
	;; [unrolled: 1-line block ×4, first 2 shown]
	s_and_saveexec_b64 s[8:9], s[2:3]
	s_cbranch_execz .LBB7018_97
; %bb.96:
	v_mov_b32_e32 v6, 0
	global_load_dword v6, v6, s[4:5]
	v_mov_b32_e32 v8, s17
	s_waitcnt vmcnt(0)
	v_add_u32_e32 v6, v6, v2
	v_ashrrev_i32_e32 v7, 31, v6
	v_lshlrev_b64 v[6:7], 2, v[6:7]
	v_add_co_u32_e64 v6, s[2:3], s16, v6
	v_addc_co_u32_e64 v7, s[2:3], v8, v7, s[2:3]
	global_load_dword v6, v[6:7], off
	s_waitcnt vmcnt(0)
	v_mov_b32_e32 v2, v6
.LBB7018_97:
	s_or_b64 exec, exec, s[8:9]
	v_add_u32_e32 v8, v3, v2
	v_ashrrev_i32_e32 v9, 31, v8
	v_lshlrev_b64 v[10:11], 2, v[8:9]
	v_mov_b32_e32 v7, s17
	v_add_co_u32_e64 v10, s[2:3], s16, v10
	v_addc_co_u32_e64 v11, s[2:3], v7, v11, s[2:3]
	global_load_dword v7, v[10:11], off
	v_mov_b32_e32 v12, s17
	s_waitcnt vmcnt(0)
	v_add_u32_e32 v10, v4, v7
	v_ashrrev_i32_e32 v11, 31, v10
	v_lshlrev_b64 v[10:11], 2, v[10:11]
	v_add_co_u32_e64 v10, s[2:3], s16, v10
	v_addc_co_u32_e64 v11, s[2:3], v12, v11, s[2:3]
	global_load_dword v7, v[10:11], off
	s_waitcnt vmcnt(0)
	v_add_u32_e32 v10, v7, v5
	v_ashrrev_i32_e32 v11, 31, v10
	v_lshlrev_b64 v[10:11], 2, v[10:11]
	v_add_co_u32_e64 v10, s[2:3], s16, v10
	v_addc_co_u32_e64 v11, s[2:3], v12, v11, s[2:3]
	global_load_dword v7, v[10:11], off
	;; [unrolled: 7-line block ×8, first 2 shown]
	v_add_lshl_u32 v10, v24, v0, 2
	v_cmp_gt_u32_e64 s[2:3], 64, v0
	s_waitcnt vmcnt(0)
	ds_write_b32 v10, v7
	s_waitcnt lgkmcnt(0)
	s_barrier
	s_and_saveexec_b64 s[4:5], s[2:3]
	s_cbranch_execz .LBB7018_111
; %bb.98:
	v_lshlrev_b32_e32 v10, 1, v0
	v_lshrrev_b32_e32 v11, 4, v0
	v_add_lshl_u32 v12, v11, v10, 2
	ds_read2_b32 v[10:11], v12 offset1:1
	v_mov_b32_e32 v13, s17
	s_waitcnt lgkmcnt(0)
	v_add_u32_e32 v14, v11, v10
	v_ashrrev_i32_e32 v15, 31, v14
	v_lshlrev_b64 v[14:15], 2, v[14:15]
	v_add_co_u32_e64 v14, s[2:3], s16, v14
	v_addc_co_u32_e64 v15, s[2:3], v13, v15, s[2:3]
	global_load_dword v13, v[14:15], off
	v_mbcnt_lo_u32_b32 v11, -1, 0
	v_mbcnt_hi_u32_b32 v11, -1, v11
	v_and_b32_e32 v14, 15, v11
	v_cmp_ne_u32_e64 s[2:3], 0, v14
	s_waitcnt vmcnt(0)
	v_mov_b32_dpp v15, v13 row_shr:1 row_mask:0xf bank_mask:0xf
	s_and_saveexec_b64 s[8:9], s[2:3]
	s_cbranch_execz .LBB7018_100
; %bb.99:
	v_add_u32_e32 v24, v15, v13
	v_ashrrev_i32_e32 v25, 31, v24
	v_lshlrev_b64 v[24:25], 2, v[24:25]
	v_mov_b32_e32 v13, s17
	v_add_co_u32_e64 v24, s[2:3], s16, v24
	v_addc_co_u32_e64 v25, s[2:3], v13, v25, s[2:3]
	global_load_dword v13, v[24:25], off
.LBB7018_100:
	s_or_b64 exec, exec, s[8:9]
	s_waitcnt vmcnt(0)
	v_mov_b32_dpp v15, v13 row_shr:2 row_mask:0xf bank_mask:0xf
	v_cmp_lt_u32_e64 s[2:3], 1, v14
	s_and_saveexec_b64 s[8:9], s[2:3]
	s_cbranch_execz .LBB7018_102
; %bb.101:
	v_add_u32_e32 v24, v15, v13
	v_ashrrev_i32_e32 v25, 31, v24
	v_lshlrev_b64 v[24:25], 2, v[24:25]
	v_mov_b32_e32 v13, s17
	v_add_co_u32_e64 v24, s[2:3], s16, v24
	v_addc_co_u32_e64 v25, s[2:3], v13, v25, s[2:3]
	global_load_dword v13, v[24:25], off
.LBB7018_102:
	s_or_b64 exec, exec, s[8:9]
	s_waitcnt vmcnt(0)
	v_mov_b32_dpp v15, v13 row_shr:4 row_mask:0xf bank_mask:0xf
	v_cmp_lt_u32_e64 s[2:3], 3, v14
	;; [unrolled: 15-line block ×3, first 2 shown]
	s_and_saveexec_b64 s[8:9], s[2:3]
	s_cbranch_execz .LBB7018_106
; %bb.105:
	v_add_u32_e32 v14, v15, v13
	v_ashrrev_i32_e32 v15, 31, v14
	v_lshlrev_b64 v[14:15], 2, v[14:15]
	v_mov_b32_e32 v13, s17
	v_add_co_u32_e64 v14, s[2:3], s16, v14
	v_addc_co_u32_e64 v15, s[2:3], v13, v15, s[2:3]
	global_load_dword v13, v[14:15], off
.LBB7018_106:
	s_or_b64 exec, exec, s[8:9]
	v_and_b32_e32 v15, 16, v11
	s_waitcnt vmcnt(0)
	v_mov_b32_dpp v14, v13 row_bcast:15 row_mask:0xf bank_mask:0xf
	v_cmp_ne_u32_e64 s[2:3], 0, v15
	s_and_saveexec_b64 s[8:9], s[2:3]
	s_cbranch_execz .LBB7018_108
; %bb.107:
	v_add_u32_e32 v14, v14, v13
	v_ashrrev_i32_e32 v15, 31, v14
	v_lshlrev_b64 v[14:15], 2, v[14:15]
	v_mov_b32_e32 v13, s17
	v_add_co_u32_e64 v14, s[2:3], s16, v14
	v_addc_co_u32_e64 v15, s[2:3], v13, v15, s[2:3]
	global_load_dword v13, v[14:15], off
.LBB7018_108:
	s_or_b64 exec, exec, s[8:9]
	s_waitcnt vmcnt(0)
	v_mov_b32_dpp v14, v13 row_bcast:31 row_mask:0xf bank_mask:0xf
	v_cmp_lt_u32_e64 s[2:3], 31, v11
	s_and_saveexec_b64 s[8:9], s[2:3]
	s_cbranch_execz .LBB7018_110
; %bb.109:
	v_add_u32_e32 v14, v14, v13
	v_ashrrev_i32_e32 v15, 31, v14
	v_lshlrev_b64 v[14:15], 2, v[14:15]
	v_mov_b32_e32 v13, s17
	v_add_co_u32_e64 v14, s[2:3], s16, v14
	v_addc_co_u32_e64 v15, s[2:3], v13, v15, s[2:3]
	global_load_dword v13, v[14:15], off
.LBB7018_110:
	s_or_b64 exec, exec, s[8:9]
	v_add_u32_e32 v14, -1, v11
	v_and_b32_e32 v15, 64, v11
	v_cmp_lt_i32_e64 s[2:3], v14, v15
	v_cndmask_b32_e64 v11, v14, v11, s[2:3]
	v_lshlrev_b32_e32 v11, 2, v11
	s_waitcnt vmcnt(0)
	ds_bpermute_b32 v11, v11, v13
	v_mov_b32_e32 v13, s17
	s_waitcnt lgkmcnt(0)
	v_add_u32_e32 v10, v11, v10
	v_ashrrev_i32_e32 v11, 31, v10
	v_lshlrev_b64 v[10:11], 2, v[10:11]
	v_add_co_u32_e64 v10, s[2:3], s16, v10
	v_addc_co_u32_e64 v11, s[2:3], v13, v11, s[2:3]
	global_load_dword v10, v[10:11], off
	; wave barrier
	s_waitcnt vmcnt(0)
	v_cndmask_b32_e64 v10, v10, v7, s[0:1]
	ds_write_b32 v12, v10
	; wave barrier
	ds_read_b32 v11, v12 offset:4
	s_waitcnt lgkmcnt(0)
	v_add_u32_e32 v10, v11, v10
	v_ashrrev_i32_e32 v11, 31, v10
	v_lshlrev_b64 v[10:11], 2, v[10:11]
	v_add_co_u32_e64 v10, s[0:1], s16, v10
	v_addc_co_u32_e64 v11, s[0:1], v13, v11, s[0:1]
	global_load_dword v10, v[10:11], off
	s_waitcnt vmcnt(0)
	ds_write_b32 v12, v10 offset:4
.LBB7018_111:
	s_or_b64 exec, exec, s[4:5]
	s_waitcnt lgkmcnt(0)
	s_barrier
	s_and_saveexec_b64 s[0:1], vcc
	s_cbranch_execz .LBB7018_113
; %bb.112:
	v_add_u32_e32 v7, -1, v0
	v_lshrrev_b32_e32 v10, 5, v7
	v_add_lshl_u32 v7, v10, v7, 2
	ds_read_b32 v7, v7
.LBB7018_113:
	s_or_b64 exec, exec, s[0:1]
	s_and_saveexec_b64 s[0:1], vcc
	s_cbranch_execz .LBB7018_115
; %bb.114:
	s_waitcnt lgkmcnt(0)
	v_add_u32_e32 v6, v7, v2
	v_ashrrev_i32_e32 v7, 31, v6
	v_lshlrev_b64 v[6:7], 2, v[6:7]
	v_mov_b32_e32 v2, s17
	v_add_co_u32_e32 v6, vcc, s16, v6
	v_addc_co_u32_e32 v7, vcc, v2, v7, vcc
	global_load_dword v6, v[6:7], off
	;;#ASMSTART
	;;#ASMEND
	s_waitcnt vmcnt(0)
	v_add_u32_e32 v8, v6, v3
	v_ashrrev_i32_e32 v9, 31, v8
.LBB7018_115:
	s_or_b64 exec, exec, s[0:1]
	v_lshlrev_b64 v[2:3], 2, v[8:9]
	s_waitcnt lgkmcnt(0)
	v_mov_b32_e32 v7, s17
	v_add_co_u32_e32 v2, vcc, s16, v2
	v_addc_co_u32_e32 v3, vcc, v7, v3, vcc
	global_load_dword v7, v[2:3], off
	v_mov_b32_e32 v8, s17
	s_movk_i32 s0, 0x7f
	s_waitcnt vmcnt(0)
	v_add_u32_e32 v2, v7, v4
	v_ashrrev_i32_e32 v3, 31, v2
	v_lshlrev_b64 v[2:3], 2, v[2:3]
	v_add_co_u32_e32 v2, vcc, s16, v2
	v_addc_co_u32_e32 v3, vcc, v8, v3, vcc
	global_load_dword v8, v[2:3], off
	v_mov_b32_e32 v4, s17
	s_waitcnt vmcnt(0)
	v_add_u32_e32 v2, v8, v5
	v_ashrrev_i32_e32 v3, 31, v2
	v_lshlrev_b64 v[2:3], 2, v[2:3]
	v_add_co_u32_e32 v2, vcc, s16, v2
	v_addc_co_u32_e32 v3, vcc, v4, v3, vcc
	global_load_dword v9, v[2:3], off
	s_waitcnt vmcnt(0)
	v_add_u32_e32 v2, v9, v16
	v_ashrrev_i32_e32 v3, 31, v2
	v_lshlrev_b64 v[2:3], 2, v[2:3]
	v_add_co_u32_e32 v2, vcc, s16, v2
	v_addc_co_u32_e32 v3, vcc, v4, v3, vcc
	global_load_dword v10, v[2:3], off
	;; [unrolled: 7-line block ×7, first 2 shown]
	v_cmp_eq_u32_e32 vcc, s0, v0
	s_and_saveexec_b64 s[0:1], vcc
	s_cbranch_execz .LBB7018_117
; %bb.116:
	v_mov_b32_e32 v4, 0
	v_mov_b32_e32 v3, 2
	s_waitcnt vmcnt(0)
	v_mov_b32_e32 v2, v15
	global_store_dwordx2 v4, v[2:3], s[18:19] offset:512
.LBB7018_117:
	s_or_b64 exec, exec, s[0:1]
.LBB7018_118:
	s_add_u32 s0, s12, s20
	s_addc_u32 s1, s13, s21
	s_add_u32 s2, s0, s22
	s_addc_u32 s3, s1, s23
	s_mov_b64 s[0:1], -1
	s_and_b64 vcc, exec, s[14:15]
	s_waitcnt lgkmcnt(0)
	s_barrier
	s_cbranch_vccz .LBB7018_120
; %bb.119:
	ds_write2_b64 v1, v[6:7], v[8:9] offset1:1
	ds_write2_b64 v1, v[10:11], v[12:13] offset0:2 offset1:3
	s_waitcnt vmcnt(0)
	ds_write_b64 v1, v[14:15] offset:32
	s_waitcnt lgkmcnt(0)
	s_barrier
	ds_read2st64_b32 v[2:3], v22 offset1:2
	ds_read2st64_b32 v[4:5], v22 offset0:4 offset1:6
	ds_read2st64_b32 v[16:17], v22 offset0:8 offset1:10
	;; [unrolled: 1-line block ×4, first 2 shown]
	v_mov_b32_e32 v25, s3
	v_add_co_u32_e32 v24, vcc, s2, v22
	v_addc_co_u32_e32 v25, vcc, 0, v25, vcc
	s_waitcnt lgkmcnt(4)
	flat_store_dword v[24:25], v2
	flat_store_dword v[24:25], v3 offset:512
	s_waitcnt lgkmcnt(0)
	flat_store_dword v[24:25], v4 offset:1024
	flat_store_dword v[24:25], v5 offset:1536
	;; [unrolled: 1-line block ×6, first 2 shown]
	v_add_co_u32_e32 v2, vcc, 0x1000, v24
	v_addc_co_u32_e32 v3, vcc, 0, v25, vcc
	flat_store_dword v[2:3], v20
	flat_store_dword v[2:3], v21 offset:512
	s_mov_b64 s[0:1], 0
.LBB7018_120:
	s_andn2_b64 vcc, exec, s[0:1]
	s_cbranch_vccnz .LBB7018_176
; %bb.121:
	ds_write2_b64 v1, v[6:7], v[8:9] offset1:1
	ds_write2_b64 v1, v[10:11], v[12:13] offset0:2 offset1:3
	s_waitcnt vmcnt(0)
	ds_write_b64 v1, v[14:15] offset:32
	s_waitcnt lgkmcnt(0)
	s_barrier
	ds_read2st64_b32 v[2:3], v22 offset1:2
	ds_read2st64_b32 v[6:7], v22 offset0:4 offset1:6
	ds_read2st64_b32 v[4:5], v22 offset0:8 offset1:10
	;; [unrolled: 1-line block ×4, first 2 shown]
	v_mov_b32_e32 v13, s3
	v_add_co_u32_e32 v12, vcc, s2, v22
	v_addc_co_u32_e32 v13, vcc, 0, v13, vcc
	v_mov_b32_e32 v1, 0
	v_cmp_gt_u32_e32 vcc, s33, v0
	s_and_saveexec_b64 s[0:1], vcc
	s_cbranch_execz .LBB7018_123
; %bb.122:
	s_waitcnt lgkmcnt(4)
	flat_store_dword v[12:13], v2
.LBB7018_123:
	s_or_b64 exec, exec, s[0:1]
	v_or_b32_e32 v14, 0x80, v0
	v_cmp_gt_u32_e32 vcc, s33, v14
	s_and_saveexec_b64 s[0:1], vcc
	s_cbranch_execz .LBB7018_125
; %bb.124:
	s_waitcnt lgkmcnt(0)
	flat_store_dword v[12:13], v3 offset:512
.LBB7018_125:
	s_or_b64 exec, exec, s[0:1]
	v_or_b32_e32 v14, 0x100, v0
	v_cmp_gt_u32_e32 vcc, s33, v14
	s_and_saveexec_b64 s[0:1], vcc
	s_cbranch_execz .LBB7018_127
; %bb.126:
	s_waitcnt lgkmcnt(0)
	flat_store_dword v[12:13], v6 offset:1024
.LBB7018_127:
	;; [unrolled: 9-line block ×7, first 2 shown]
	s_or_b64 exec, exec, s[0:1]
	v_or_b32_e32 v14, 0x400, v0
	v_cmp_gt_u32_e32 vcc, s33, v14
	s_and_saveexec_b64 s[0:1], vcc
	s_cbranch_execz .LBB7018_139
; %bb.138:
	v_add_co_u32_e32 v14, vcc, 0x1000, v12
	v_addc_co_u32_e32 v15, vcc, 0, v13, vcc
	s_waitcnt lgkmcnt(0)
	flat_store_dword v[14:15], v10
.LBB7018_139:
	s_or_b64 exec, exec, s[0:1]
	v_or_b32_e32 v14, 0x480, v0
	v_cmp_gt_u32_e32 vcc, s33, v14
	s_and_saveexec_b64 s[0:1], vcc
	s_cbranch_execz .LBB7018_141
; %bb.140:
	v_add_co_u32_e32 v12, vcc, 0x1000, v12
	v_addc_co_u32_e32 v13, vcc, 0, v13, vcc
	s_waitcnt lgkmcnt(0)
	flat_store_dword v[12:13], v11 offset:512
.LBB7018_141:
	s_or_b64 exec, exec, s[0:1]
	v_cmp_lt_u64_e64 s[0:1], s[10:11], 2
	s_and_b64 vcc, exec, s[0:1]
	s_cbranch_vccnz .LBB7018_176
; %bb.142:
	s_add_u32 s0, s33, -1
	s_addc_u32 s1, s36, -1
	s_add_u32 s2, 0, 0x99986000
	s_addc_u32 s3, 0, 0x59
	s_add_i32 s3, s3, 0x19999940
	s_mul_hi_u32 s9, s2, -10
	s_sub_i32 s9, s9, s2
	s_mul_i32 s10, s3, -10
	s_mul_i32 s4, s2, -10
	s_add_i32 s9, s9, s10
	s_mul_hi_u32 s5, s3, s4
	s_mul_i32 s8, s3, s4
	s_mul_i32 s11, s2, s9
	s_mul_hi_u32 s4, s2, s4
	s_mul_hi_u32 s10, s2, s9
	s_add_u32 s4, s4, s11
	s_addc_u32 s10, 0, s10
	s_add_u32 s4, s4, s8
	s_mul_hi_u32 s11, s3, s9
	s_addc_u32 s4, s10, s5
	s_addc_u32 s5, s11, 0
	s_mul_i32 s8, s3, s9
	s_add_u32 s4, s4, s8
	v_mov_b32_e32 v12, s4
	s_addc_u32 s5, 0, s5
	v_add_co_u32_e32 v12, vcc, s2, v12
	s_cmp_lg_u64 vcc, 0
	s_addc_u32 s2, s3, s5
	v_readfirstlane_b32 s5, v12
	s_mul_i32 s4, s0, s2
	s_mul_hi_u32 s8, s0, s5
	s_mul_hi_u32 s3, s0, s2
	s_add_u32 s4, s8, s4
	s_addc_u32 s3, 0, s3
	s_mul_hi_u32 s9, s1, s5
	s_mul_i32 s5, s1, s5
	s_add_u32 s4, s4, s5
	s_mul_hi_u32 s8, s1, s2
	s_addc_u32 s3, s3, s9
	s_addc_u32 s4, s8, 0
	s_mul_i32 s2, s1, s2
	s_add_u32 s2, s3, s2
	s_addc_u32 s3, 0, s4
	s_add_u32 s4, s2, 1
	s_addc_u32 s5, s3, 0
	s_add_u32 s8, s2, 2
	s_mul_i32 s10, s3, 10
	s_mul_hi_u32 s11, s2, 10
	s_addc_u32 s9, s3, 0
	s_add_i32 s11, s11, s10
	s_mul_i32 s10, s2, 10
	v_mov_b32_e32 v12, s10
	v_sub_co_u32_e32 v12, vcc, s0, v12
	s_cmp_lg_u64 vcc, 0
	s_subb_u32 s10, s1, s11
	v_subrev_co_u32_e32 v13, vcc, 10, v12
	s_cmp_lg_u64 vcc, 0
	s_subb_u32 s11, s10, 0
	v_readfirstlane_b32 s12, v13
	s_cmp_gt_u32 s12, 9
	s_cselect_b32 s12, -1, 0
	s_cmp_eq_u32 s11, 0
	s_cselect_b32 s11, s12, -1
	s_cmp_lg_u32 s11, 0
	s_cselect_b32 s4, s8, s4
	v_readfirstlane_b32 s8, v12
	s_cselect_b32 s5, s9, s5
	s_cmp_gt_u32 s8, 9
	s_cselect_b32 s8, -1, 0
	s_cmp_eq_u32 s10, 0
	s_cselect_b32 s8, s8, -1
	s_cmp_lg_u32 s8, 0
	s_cselect_b32 s3, s5, s3
	s_cselect_b32 s2, s4, s2
	v_cmp_eq_u64_e32 vcc, s[2:3], v[0:1]
	s_and_saveexec_b64 s[2:3], vcc
	s_cbranch_execz .LBB7018_176
; %bb.143:
	v_mul_hi_u32_u24_e32 v1, 10, v0
	v_mov_b32_e32 v12, s1
	v_sub_co_u32_e32 v0, vcc, s0, v23
	v_subb_co_u32_e32 v1, vcc, v12, v1, vcc
	v_cmp_lt_i64_e32 vcc, 4, v[0:1]
	s_and_saveexec_b64 s[0:1], vcc
	s_xor_b64 s[0:1], exec, s[0:1]
	s_cbranch_execz .LBB7018_161
; %bb.144:
	v_cmp_lt_i64_e32 vcc, 6, v[0:1]
	s_and_saveexec_b64 s[2:3], vcc
	s_xor_b64 s[2:3], exec, s[2:3]
	s_cbranch_execz .LBB7018_154
; %bb.145:
	v_cmp_lt_i64_e32 vcc, 7, v[0:1]
	s_and_saveexec_b64 s[4:5], vcc
	s_xor_b64 s[4:5], exec, s[4:5]
	s_cbranch_execz .LBB7018_151
; %bb.146:
	v_cmp_lt_i64_e32 vcc, 8, v[0:1]
	s_and_saveexec_b64 s[8:9], vcc
	s_xor_b64 s[8:9], exec, s[8:9]
	s_cbranch_execz .LBB7018_148
; %bb.147:
	v_mov_b32_e32 v0, 0
	s_waitcnt lgkmcnt(0)
	global_store_dword v0, v11, s[6:7]
                                        ; implicit-def: $vgpr10_vgpr11
.LBB7018_148:
	s_andn2_saveexec_b64 s[8:9], s[8:9]
	s_cbranch_execz .LBB7018_150
; %bb.149:
	v_mov_b32_e32 v0, 0
	s_waitcnt lgkmcnt(0)
	global_store_dword v0, v10, s[6:7]
.LBB7018_150:
	s_or_b64 exec, exec, s[8:9]
                                        ; implicit-def: $vgpr8_vgpr9
.LBB7018_151:
	s_andn2_saveexec_b64 s[4:5], s[4:5]
	s_cbranch_execz .LBB7018_153
; %bb.152:
	v_mov_b32_e32 v0, 0
	s_waitcnt lgkmcnt(0)
	global_store_dword v0, v9, s[6:7]
.LBB7018_153:
	s_or_b64 exec, exec, s[4:5]
                                        ; implicit-def: $vgpr4_vgpr5
                                        ; implicit-def: $vgpr0_vgpr1
                                        ; implicit-def: $vgpr8_vgpr9
.LBB7018_154:
	s_andn2_saveexec_b64 s[2:3], s[2:3]
	s_cbranch_execz .LBB7018_160
; %bb.155:
	v_cmp_lt_i64_e32 vcc, 5, v[0:1]
	s_and_saveexec_b64 s[4:5], vcc
	s_xor_b64 s[4:5], exec, s[4:5]
	s_cbranch_execz .LBB7018_157
; %bb.156:
	v_mov_b32_e32 v0, 0
	s_waitcnt lgkmcnt(0)
	global_store_dword v0, v8, s[6:7]
                                        ; implicit-def: $vgpr4_vgpr5
.LBB7018_157:
	s_andn2_saveexec_b64 s[4:5], s[4:5]
	s_cbranch_execz .LBB7018_159
; %bb.158:
	v_mov_b32_e32 v0, 0
	s_waitcnt lgkmcnt(0)
	global_store_dword v0, v5, s[6:7]
.LBB7018_159:
	s_or_b64 exec, exec, s[4:5]
.LBB7018_160:
	s_or_b64 exec, exec, s[2:3]
                                        ; implicit-def: $vgpr0_vgpr1
                                        ; implicit-def: $vgpr6_vgpr7
                                        ; implicit-def: $vgpr2_vgpr3
                                        ; implicit-def: $vgpr4_vgpr5
.LBB7018_161:
	s_andn2_saveexec_b64 s[0:1], s[0:1]
	s_cbranch_execz .LBB7018_176
; %bb.162:
	v_cmp_lt_i64_e32 vcc, 2, v[0:1]
	s_and_saveexec_b64 s[0:1], vcc
	s_xor_b64 s[0:1], exec, s[0:1]
	s_cbranch_execz .LBB7018_168
; %bb.163:
	v_cmp_lt_i64_e32 vcc, 3, v[0:1]
	s_and_saveexec_b64 s[2:3], vcc
	s_xor_b64 s[2:3], exec, s[2:3]
	s_cbranch_execz .LBB7018_165
; %bb.164:
	v_mov_b32_e32 v0, 0
	s_waitcnt lgkmcnt(0)
	global_store_dword v0, v4, s[6:7]
                                        ; implicit-def: $vgpr6_vgpr7
.LBB7018_165:
	s_andn2_saveexec_b64 s[2:3], s[2:3]
	s_cbranch_execz .LBB7018_167
; %bb.166:
	v_mov_b32_e32 v0, 0
	s_waitcnt lgkmcnt(0)
	global_store_dword v0, v7, s[6:7]
.LBB7018_167:
	s_or_b64 exec, exec, s[2:3]
                                        ; implicit-def: $vgpr0_vgpr1
                                        ; implicit-def: $vgpr6_vgpr7
                                        ; implicit-def: $vgpr2_vgpr3
.LBB7018_168:
	s_andn2_saveexec_b64 s[0:1], s[0:1]
	s_cbranch_execz .LBB7018_176
; %bb.169:
	v_cmp_lt_i64_e32 vcc, 1, v[0:1]
	s_and_saveexec_b64 s[0:1], vcc
	s_xor_b64 s[0:1], exec, s[0:1]
	s_cbranch_execz .LBB7018_171
; %bb.170:
	v_mov_b32_e32 v0, 0
	s_waitcnt lgkmcnt(0)
	global_store_dword v0, v6, s[6:7]
                                        ; implicit-def: $vgpr2_vgpr3
                                        ; implicit-def: $vgpr0_vgpr1
.LBB7018_171:
	s_andn2_saveexec_b64 s[0:1], s[0:1]
	s_cbranch_execz .LBB7018_176
; %bb.172:
	v_cmp_ne_u64_e32 vcc, 1, v[0:1]
	s_and_saveexec_b64 s[0:1], vcc
	s_xor_b64 s[0:1], exec, s[0:1]
	s_cbranch_execz .LBB7018_174
; %bb.173:
	v_mov_b32_e32 v0, 0
	s_waitcnt lgkmcnt(0)
	global_store_dword v0, v2, s[6:7]
                                        ; implicit-def: $vgpr2_vgpr3
.LBB7018_174:
	s_andn2_saveexec_b64 s[0:1], s[0:1]
	s_cbranch_execz .LBB7018_176
; %bb.175:
	v_mov_b32_e32 v0, 0
	s_waitcnt lgkmcnt(0)
	global_store_dword v0, v3, s[6:7]
.LBB7018_176:
	s_endpgm
	.section	.rodata,"a",@progbits
	.p2align	6, 0x0
	.amdhsa_kernel _ZN7rocprim17ROCPRIM_400000_NS6detail17trampoline_kernelINS0_14default_configENS1_20scan_config_selectorIiEEZZNS1_9scan_implILNS1_25lookback_scan_determinismE0ELb0ELb0ES3_N6thrust23THRUST_200600_302600_NS6detail15normal_iteratorINS9_10device_ptrIiEEEESE_i19const_ref_plus_mod3IiEiEEDaPvRmT3_T4_T5_mT6_P12ihipStream_tbENKUlT_T0_E_clISt17integral_constantIbLb1EEST_IbLb0EEEEDaSP_SQ_EUlSP_E_NS1_11comp_targetILNS1_3genE4ELNS1_11target_archE910ELNS1_3gpuE8ELNS1_3repE0EEENS1_30default_config_static_selectorELNS0_4arch9wavefront6targetE1EEEvT1_
		.amdhsa_group_segment_fixed_size 5120
		.amdhsa_private_segment_fixed_size 0
		.amdhsa_kernarg_size 104
		.amdhsa_user_sgpr_count 6
		.amdhsa_user_sgpr_private_segment_buffer 1
		.amdhsa_user_sgpr_dispatch_ptr 0
		.amdhsa_user_sgpr_queue_ptr 0
		.amdhsa_user_sgpr_kernarg_segment_ptr 1
		.amdhsa_user_sgpr_dispatch_id 0
		.amdhsa_user_sgpr_flat_scratch_init 0
		.amdhsa_user_sgpr_kernarg_preload_length 0
		.amdhsa_user_sgpr_kernarg_preload_offset 0
		.amdhsa_user_sgpr_private_segment_size 0
		.amdhsa_uses_dynamic_stack 0
		.amdhsa_system_sgpr_private_segment_wavefront_offset 0
		.amdhsa_system_sgpr_workgroup_id_x 1
		.amdhsa_system_sgpr_workgroup_id_y 0
		.amdhsa_system_sgpr_workgroup_id_z 0
		.amdhsa_system_sgpr_workgroup_info 0
		.amdhsa_system_vgpr_workitem_id 0
		.amdhsa_next_free_vgpr 42
		.amdhsa_next_free_sgpr 40
		.amdhsa_accum_offset 44
		.amdhsa_reserve_vcc 1
		.amdhsa_reserve_flat_scratch 0
		.amdhsa_float_round_mode_32 0
		.amdhsa_float_round_mode_16_64 0
		.amdhsa_float_denorm_mode_32 3
		.amdhsa_float_denorm_mode_16_64 3
		.amdhsa_dx10_clamp 1
		.amdhsa_ieee_mode 1
		.amdhsa_fp16_overflow 0
		.amdhsa_tg_split 0
		.amdhsa_exception_fp_ieee_invalid_op 0
		.amdhsa_exception_fp_denorm_src 0
		.amdhsa_exception_fp_ieee_div_zero 0
		.amdhsa_exception_fp_ieee_overflow 0
		.amdhsa_exception_fp_ieee_underflow 0
		.amdhsa_exception_fp_ieee_inexact 0
		.amdhsa_exception_int_div_zero 0
	.end_amdhsa_kernel
	.section	.text._ZN7rocprim17ROCPRIM_400000_NS6detail17trampoline_kernelINS0_14default_configENS1_20scan_config_selectorIiEEZZNS1_9scan_implILNS1_25lookback_scan_determinismE0ELb0ELb0ES3_N6thrust23THRUST_200600_302600_NS6detail15normal_iteratorINS9_10device_ptrIiEEEESE_i19const_ref_plus_mod3IiEiEEDaPvRmT3_T4_T5_mT6_P12ihipStream_tbENKUlT_T0_E_clISt17integral_constantIbLb1EEST_IbLb0EEEEDaSP_SQ_EUlSP_E_NS1_11comp_targetILNS1_3genE4ELNS1_11target_archE910ELNS1_3gpuE8ELNS1_3repE0EEENS1_30default_config_static_selectorELNS0_4arch9wavefront6targetE1EEEvT1_,"axG",@progbits,_ZN7rocprim17ROCPRIM_400000_NS6detail17trampoline_kernelINS0_14default_configENS1_20scan_config_selectorIiEEZZNS1_9scan_implILNS1_25lookback_scan_determinismE0ELb0ELb0ES3_N6thrust23THRUST_200600_302600_NS6detail15normal_iteratorINS9_10device_ptrIiEEEESE_i19const_ref_plus_mod3IiEiEEDaPvRmT3_T4_T5_mT6_P12ihipStream_tbENKUlT_T0_E_clISt17integral_constantIbLb1EEST_IbLb0EEEEDaSP_SQ_EUlSP_E_NS1_11comp_targetILNS1_3genE4ELNS1_11target_archE910ELNS1_3gpuE8ELNS1_3repE0EEENS1_30default_config_static_selectorELNS0_4arch9wavefront6targetE1EEEvT1_,comdat
.Lfunc_end7018:
	.size	_ZN7rocprim17ROCPRIM_400000_NS6detail17trampoline_kernelINS0_14default_configENS1_20scan_config_selectorIiEEZZNS1_9scan_implILNS1_25lookback_scan_determinismE0ELb0ELb0ES3_N6thrust23THRUST_200600_302600_NS6detail15normal_iteratorINS9_10device_ptrIiEEEESE_i19const_ref_plus_mod3IiEiEEDaPvRmT3_T4_T5_mT6_P12ihipStream_tbENKUlT_T0_E_clISt17integral_constantIbLb1EEST_IbLb0EEEEDaSP_SQ_EUlSP_E_NS1_11comp_targetILNS1_3genE4ELNS1_11target_archE910ELNS1_3gpuE8ELNS1_3repE0EEENS1_30default_config_static_selectorELNS0_4arch9wavefront6targetE1EEEvT1_, .Lfunc_end7018-_ZN7rocprim17ROCPRIM_400000_NS6detail17trampoline_kernelINS0_14default_configENS1_20scan_config_selectorIiEEZZNS1_9scan_implILNS1_25lookback_scan_determinismE0ELb0ELb0ES3_N6thrust23THRUST_200600_302600_NS6detail15normal_iteratorINS9_10device_ptrIiEEEESE_i19const_ref_plus_mod3IiEiEEDaPvRmT3_T4_T5_mT6_P12ihipStream_tbENKUlT_T0_E_clISt17integral_constantIbLb1EEST_IbLb0EEEEDaSP_SQ_EUlSP_E_NS1_11comp_targetILNS1_3genE4ELNS1_11target_archE910ELNS1_3gpuE8ELNS1_3repE0EEENS1_30default_config_static_selectorELNS0_4arch9wavefront6targetE1EEEvT1_
                                        ; -- End function
	.section	.AMDGPU.csdata,"",@progbits
; Kernel info:
; codeLenInByte = 7608
; NumSgprs: 44
; NumVgprs: 42
; NumAgprs: 0
; TotalNumVgprs: 42
; ScratchSize: 0
; MemoryBound: 0
; FloatMode: 240
; IeeeMode: 1
; LDSByteSize: 5120 bytes/workgroup (compile time only)
; SGPRBlocks: 5
; VGPRBlocks: 5
; NumSGPRsForWavesPerEU: 44
; NumVGPRsForWavesPerEU: 42
; AccumOffset: 44
; Occupancy: 6
; WaveLimiterHint : 1
; COMPUTE_PGM_RSRC2:SCRATCH_EN: 0
; COMPUTE_PGM_RSRC2:USER_SGPR: 6
; COMPUTE_PGM_RSRC2:TRAP_HANDLER: 0
; COMPUTE_PGM_RSRC2:TGID_X_EN: 1
; COMPUTE_PGM_RSRC2:TGID_Y_EN: 0
; COMPUTE_PGM_RSRC2:TGID_Z_EN: 0
; COMPUTE_PGM_RSRC2:TIDIG_COMP_CNT: 0
; COMPUTE_PGM_RSRC3_GFX90A:ACCUM_OFFSET: 10
; COMPUTE_PGM_RSRC3_GFX90A:TG_SPLIT: 0
	.section	.text._ZN7rocprim17ROCPRIM_400000_NS6detail17trampoline_kernelINS0_14default_configENS1_20scan_config_selectorIiEEZZNS1_9scan_implILNS1_25lookback_scan_determinismE0ELb0ELb0ES3_N6thrust23THRUST_200600_302600_NS6detail15normal_iteratorINS9_10device_ptrIiEEEESE_i19const_ref_plus_mod3IiEiEEDaPvRmT3_T4_T5_mT6_P12ihipStream_tbENKUlT_T0_E_clISt17integral_constantIbLb1EEST_IbLb0EEEEDaSP_SQ_EUlSP_E_NS1_11comp_targetILNS1_3genE3ELNS1_11target_archE908ELNS1_3gpuE7ELNS1_3repE0EEENS1_30default_config_static_selectorELNS0_4arch9wavefront6targetE1EEEvT1_,"axG",@progbits,_ZN7rocprim17ROCPRIM_400000_NS6detail17trampoline_kernelINS0_14default_configENS1_20scan_config_selectorIiEEZZNS1_9scan_implILNS1_25lookback_scan_determinismE0ELb0ELb0ES3_N6thrust23THRUST_200600_302600_NS6detail15normal_iteratorINS9_10device_ptrIiEEEESE_i19const_ref_plus_mod3IiEiEEDaPvRmT3_T4_T5_mT6_P12ihipStream_tbENKUlT_T0_E_clISt17integral_constantIbLb1EEST_IbLb0EEEEDaSP_SQ_EUlSP_E_NS1_11comp_targetILNS1_3genE3ELNS1_11target_archE908ELNS1_3gpuE7ELNS1_3repE0EEENS1_30default_config_static_selectorELNS0_4arch9wavefront6targetE1EEEvT1_,comdat
	.protected	_ZN7rocprim17ROCPRIM_400000_NS6detail17trampoline_kernelINS0_14default_configENS1_20scan_config_selectorIiEEZZNS1_9scan_implILNS1_25lookback_scan_determinismE0ELb0ELb0ES3_N6thrust23THRUST_200600_302600_NS6detail15normal_iteratorINS9_10device_ptrIiEEEESE_i19const_ref_plus_mod3IiEiEEDaPvRmT3_T4_T5_mT6_P12ihipStream_tbENKUlT_T0_E_clISt17integral_constantIbLb1EEST_IbLb0EEEEDaSP_SQ_EUlSP_E_NS1_11comp_targetILNS1_3genE3ELNS1_11target_archE908ELNS1_3gpuE7ELNS1_3repE0EEENS1_30default_config_static_selectorELNS0_4arch9wavefront6targetE1EEEvT1_ ; -- Begin function _ZN7rocprim17ROCPRIM_400000_NS6detail17trampoline_kernelINS0_14default_configENS1_20scan_config_selectorIiEEZZNS1_9scan_implILNS1_25lookback_scan_determinismE0ELb0ELb0ES3_N6thrust23THRUST_200600_302600_NS6detail15normal_iteratorINS9_10device_ptrIiEEEESE_i19const_ref_plus_mod3IiEiEEDaPvRmT3_T4_T5_mT6_P12ihipStream_tbENKUlT_T0_E_clISt17integral_constantIbLb1EEST_IbLb0EEEEDaSP_SQ_EUlSP_E_NS1_11comp_targetILNS1_3genE3ELNS1_11target_archE908ELNS1_3gpuE7ELNS1_3repE0EEENS1_30default_config_static_selectorELNS0_4arch9wavefront6targetE1EEEvT1_
	.globl	_ZN7rocprim17ROCPRIM_400000_NS6detail17trampoline_kernelINS0_14default_configENS1_20scan_config_selectorIiEEZZNS1_9scan_implILNS1_25lookback_scan_determinismE0ELb0ELb0ES3_N6thrust23THRUST_200600_302600_NS6detail15normal_iteratorINS9_10device_ptrIiEEEESE_i19const_ref_plus_mod3IiEiEEDaPvRmT3_T4_T5_mT6_P12ihipStream_tbENKUlT_T0_E_clISt17integral_constantIbLb1EEST_IbLb0EEEEDaSP_SQ_EUlSP_E_NS1_11comp_targetILNS1_3genE3ELNS1_11target_archE908ELNS1_3gpuE7ELNS1_3repE0EEENS1_30default_config_static_selectorELNS0_4arch9wavefront6targetE1EEEvT1_
	.p2align	8
	.type	_ZN7rocprim17ROCPRIM_400000_NS6detail17trampoline_kernelINS0_14default_configENS1_20scan_config_selectorIiEEZZNS1_9scan_implILNS1_25lookback_scan_determinismE0ELb0ELb0ES3_N6thrust23THRUST_200600_302600_NS6detail15normal_iteratorINS9_10device_ptrIiEEEESE_i19const_ref_plus_mod3IiEiEEDaPvRmT3_T4_T5_mT6_P12ihipStream_tbENKUlT_T0_E_clISt17integral_constantIbLb1EEST_IbLb0EEEEDaSP_SQ_EUlSP_E_NS1_11comp_targetILNS1_3genE3ELNS1_11target_archE908ELNS1_3gpuE7ELNS1_3repE0EEENS1_30default_config_static_selectorELNS0_4arch9wavefront6targetE1EEEvT1_,@function
_ZN7rocprim17ROCPRIM_400000_NS6detail17trampoline_kernelINS0_14default_configENS1_20scan_config_selectorIiEEZZNS1_9scan_implILNS1_25lookback_scan_determinismE0ELb0ELb0ES3_N6thrust23THRUST_200600_302600_NS6detail15normal_iteratorINS9_10device_ptrIiEEEESE_i19const_ref_plus_mod3IiEiEEDaPvRmT3_T4_T5_mT6_P12ihipStream_tbENKUlT_T0_E_clISt17integral_constantIbLb1EEST_IbLb0EEEEDaSP_SQ_EUlSP_E_NS1_11comp_targetILNS1_3genE3ELNS1_11target_archE908ELNS1_3gpuE7ELNS1_3repE0EEENS1_30default_config_static_selectorELNS0_4arch9wavefront6targetE1EEEvT1_: ; @_ZN7rocprim17ROCPRIM_400000_NS6detail17trampoline_kernelINS0_14default_configENS1_20scan_config_selectorIiEEZZNS1_9scan_implILNS1_25lookback_scan_determinismE0ELb0ELb0ES3_N6thrust23THRUST_200600_302600_NS6detail15normal_iteratorINS9_10device_ptrIiEEEESE_i19const_ref_plus_mod3IiEiEEDaPvRmT3_T4_T5_mT6_P12ihipStream_tbENKUlT_T0_E_clISt17integral_constantIbLb1EEST_IbLb0EEEEDaSP_SQ_EUlSP_E_NS1_11comp_targetILNS1_3genE3ELNS1_11target_archE908ELNS1_3gpuE7ELNS1_3repE0EEENS1_30default_config_static_selectorELNS0_4arch9wavefront6targetE1EEEvT1_
; %bb.0:
	.section	.rodata,"a",@progbits
	.p2align	6, 0x0
	.amdhsa_kernel _ZN7rocprim17ROCPRIM_400000_NS6detail17trampoline_kernelINS0_14default_configENS1_20scan_config_selectorIiEEZZNS1_9scan_implILNS1_25lookback_scan_determinismE0ELb0ELb0ES3_N6thrust23THRUST_200600_302600_NS6detail15normal_iteratorINS9_10device_ptrIiEEEESE_i19const_ref_plus_mod3IiEiEEDaPvRmT3_T4_T5_mT6_P12ihipStream_tbENKUlT_T0_E_clISt17integral_constantIbLb1EEST_IbLb0EEEEDaSP_SQ_EUlSP_E_NS1_11comp_targetILNS1_3genE3ELNS1_11target_archE908ELNS1_3gpuE7ELNS1_3repE0EEENS1_30default_config_static_selectorELNS0_4arch9wavefront6targetE1EEEvT1_
		.amdhsa_group_segment_fixed_size 0
		.amdhsa_private_segment_fixed_size 0
		.amdhsa_kernarg_size 104
		.amdhsa_user_sgpr_count 6
		.amdhsa_user_sgpr_private_segment_buffer 1
		.amdhsa_user_sgpr_dispatch_ptr 0
		.amdhsa_user_sgpr_queue_ptr 0
		.amdhsa_user_sgpr_kernarg_segment_ptr 1
		.amdhsa_user_sgpr_dispatch_id 0
		.amdhsa_user_sgpr_flat_scratch_init 0
		.amdhsa_user_sgpr_kernarg_preload_length 0
		.amdhsa_user_sgpr_kernarg_preload_offset 0
		.amdhsa_user_sgpr_private_segment_size 0
		.amdhsa_uses_dynamic_stack 0
		.amdhsa_system_sgpr_private_segment_wavefront_offset 0
		.amdhsa_system_sgpr_workgroup_id_x 1
		.amdhsa_system_sgpr_workgroup_id_y 0
		.amdhsa_system_sgpr_workgroup_id_z 0
		.amdhsa_system_sgpr_workgroup_info 0
		.amdhsa_system_vgpr_workitem_id 0
		.amdhsa_next_free_vgpr 1
		.amdhsa_next_free_sgpr 0
		.amdhsa_accum_offset 4
		.amdhsa_reserve_vcc 0
		.amdhsa_reserve_flat_scratch 0
		.amdhsa_float_round_mode_32 0
		.amdhsa_float_round_mode_16_64 0
		.amdhsa_float_denorm_mode_32 3
		.amdhsa_float_denorm_mode_16_64 3
		.amdhsa_dx10_clamp 1
		.amdhsa_ieee_mode 1
		.amdhsa_fp16_overflow 0
		.amdhsa_tg_split 0
		.amdhsa_exception_fp_ieee_invalid_op 0
		.amdhsa_exception_fp_denorm_src 0
		.amdhsa_exception_fp_ieee_div_zero 0
		.amdhsa_exception_fp_ieee_overflow 0
		.amdhsa_exception_fp_ieee_underflow 0
		.amdhsa_exception_fp_ieee_inexact 0
		.amdhsa_exception_int_div_zero 0
	.end_amdhsa_kernel
	.section	.text._ZN7rocprim17ROCPRIM_400000_NS6detail17trampoline_kernelINS0_14default_configENS1_20scan_config_selectorIiEEZZNS1_9scan_implILNS1_25lookback_scan_determinismE0ELb0ELb0ES3_N6thrust23THRUST_200600_302600_NS6detail15normal_iteratorINS9_10device_ptrIiEEEESE_i19const_ref_plus_mod3IiEiEEDaPvRmT3_T4_T5_mT6_P12ihipStream_tbENKUlT_T0_E_clISt17integral_constantIbLb1EEST_IbLb0EEEEDaSP_SQ_EUlSP_E_NS1_11comp_targetILNS1_3genE3ELNS1_11target_archE908ELNS1_3gpuE7ELNS1_3repE0EEENS1_30default_config_static_selectorELNS0_4arch9wavefront6targetE1EEEvT1_,"axG",@progbits,_ZN7rocprim17ROCPRIM_400000_NS6detail17trampoline_kernelINS0_14default_configENS1_20scan_config_selectorIiEEZZNS1_9scan_implILNS1_25lookback_scan_determinismE0ELb0ELb0ES3_N6thrust23THRUST_200600_302600_NS6detail15normal_iteratorINS9_10device_ptrIiEEEESE_i19const_ref_plus_mod3IiEiEEDaPvRmT3_T4_T5_mT6_P12ihipStream_tbENKUlT_T0_E_clISt17integral_constantIbLb1EEST_IbLb0EEEEDaSP_SQ_EUlSP_E_NS1_11comp_targetILNS1_3genE3ELNS1_11target_archE908ELNS1_3gpuE7ELNS1_3repE0EEENS1_30default_config_static_selectorELNS0_4arch9wavefront6targetE1EEEvT1_,comdat
.Lfunc_end7019:
	.size	_ZN7rocprim17ROCPRIM_400000_NS6detail17trampoline_kernelINS0_14default_configENS1_20scan_config_selectorIiEEZZNS1_9scan_implILNS1_25lookback_scan_determinismE0ELb0ELb0ES3_N6thrust23THRUST_200600_302600_NS6detail15normal_iteratorINS9_10device_ptrIiEEEESE_i19const_ref_plus_mod3IiEiEEDaPvRmT3_T4_T5_mT6_P12ihipStream_tbENKUlT_T0_E_clISt17integral_constantIbLb1EEST_IbLb0EEEEDaSP_SQ_EUlSP_E_NS1_11comp_targetILNS1_3genE3ELNS1_11target_archE908ELNS1_3gpuE7ELNS1_3repE0EEENS1_30default_config_static_selectorELNS0_4arch9wavefront6targetE1EEEvT1_, .Lfunc_end7019-_ZN7rocprim17ROCPRIM_400000_NS6detail17trampoline_kernelINS0_14default_configENS1_20scan_config_selectorIiEEZZNS1_9scan_implILNS1_25lookback_scan_determinismE0ELb0ELb0ES3_N6thrust23THRUST_200600_302600_NS6detail15normal_iteratorINS9_10device_ptrIiEEEESE_i19const_ref_plus_mod3IiEiEEDaPvRmT3_T4_T5_mT6_P12ihipStream_tbENKUlT_T0_E_clISt17integral_constantIbLb1EEST_IbLb0EEEEDaSP_SQ_EUlSP_E_NS1_11comp_targetILNS1_3genE3ELNS1_11target_archE908ELNS1_3gpuE7ELNS1_3repE0EEENS1_30default_config_static_selectorELNS0_4arch9wavefront6targetE1EEEvT1_
                                        ; -- End function
	.section	.AMDGPU.csdata,"",@progbits
; Kernel info:
; codeLenInByte = 0
; NumSgprs: 4
; NumVgprs: 0
; NumAgprs: 0
; TotalNumVgprs: 0
; ScratchSize: 0
; MemoryBound: 0
; FloatMode: 240
; IeeeMode: 1
; LDSByteSize: 0 bytes/workgroup (compile time only)
; SGPRBlocks: 0
; VGPRBlocks: 0
; NumSGPRsForWavesPerEU: 4
; NumVGPRsForWavesPerEU: 1
; AccumOffset: 4
; Occupancy: 8
; WaveLimiterHint : 0
; COMPUTE_PGM_RSRC2:SCRATCH_EN: 0
; COMPUTE_PGM_RSRC2:USER_SGPR: 6
; COMPUTE_PGM_RSRC2:TRAP_HANDLER: 0
; COMPUTE_PGM_RSRC2:TGID_X_EN: 1
; COMPUTE_PGM_RSRC2:TGID_Y_EN: 0
; COMPUTE_PGM_RSRC2:TGID_Z_EN: 0
; COMPUTE_PGM_RSRC2:TIDIG_COMP_CNT: 0
; COMPUTE_PGM_RSRC3_GFX90A:ACCUM_OFFSET: 0
; COMPUTE_PGM_RSRC3_GFX90A:TG_SPLIT: 0
	.section	.text._ZN7rocprim17ROCPRIM_400000_NS6detail17trampoline_kernelINS0_14default_configENS1_20scan_config_selectorIiEEZZNS1_9scan_implILNS1_25lookback_scan_determinismE0ELb0ELb0ES3_N6thrust23THRUST_200600_302600_NS6detail15normal_iteratorINS9_10device_ptrIiEEEESE_i19const_ref_plus_mod3IiEiEEDaPvRmT3_T4_T5_mT6_P12ihipStream_tbENKUlT_T0_E_clISt17integral_constantIbLb1EEST_IbLb0EEEEDaSP_SQ_EUlSP_E_NS1_11comp_targetILNS1_3genE2ELNS1_11target_archE906ELNS1_3gpuE6ELNS1_3repE0EEENS1_30default_config_static_selectorELNS0_4arch9wavefront6targetE1EEEvT1_,"axG",@progbits,_ZN7rocprim17ROCPRIM_400000_NS6detail17trampoline_kernelINS0_14default_configENS1_20scan_config_selectorIiEEZZNS1_9scan_implILNS1_25lookback_scan_determinismE0ELb0ELb0ES3_N6thrust23THRUST_200600_302600_NS6detail15normal_iteratorINS9_10device_ptrIiEEEESE_i19const_ref_plus_mod3IiEiEEDaPvRmT3_T4_T5_mT6_P12ihipStream_tbENKUlT_T0_E_clISt17integral_constantIbLb1EEST_IbLb0EEEEDaSP_SQ_EUlSP_E_NS1_11comp_targetILNS1_3genE2ELNS1_11target_archE906ELNS1_3gpuE6ELNS1_3repE0EEENS1_30default_config_static_selectorELNS0_4arch9wavefront6targetE1EEEvT1_,comdat
	.protected	_ZN7rocprim17ROCPRIM_400000_NS6detail17trampoline_kernelINS0_14default_configENS1_20scan_config_selectorIiEEZZNS1_9scan_implILNS1_25lookback_scan_determinismE0ELb0ELb0ES3_N6thrust23THRUST_200600_302600_NS6detail15normal_iteratorINS9_10device_ptrIiEEEESE_i19const_ref_plus_mod3IiEiEEDaPvRmT3_T4_T5_mT6_P12ihipStream_tbENKUlT_T0_E_clISt17integral_constantIbLb1EEST_IbLb0EEEEDaSP_SQ_EUlSP_E_NS1_11comp_targetILNS1_3genE2ELNS1_11target_archE906ELNS1_3gpuE6ELNS1_3repE0EEENS1_30default_config_static_selectorELNS0_4arch9wavefront6targetE1EEEvT1_ ; -- Begin function _ZN7rocprim17ROCPRIM_400000_NS6detail17trampoline_kernelINS0_14default_configENS1_20scan_config_selectorIiEEZZNS1_9scan_implILNS1_25lookback_scan_determinismE0ELb0ELb0ES3_N6thrust23THRUST_200600_302600_NS6detail15normal_iteratorINS9_10device_ptrIiEEEESE_i19const_ref_plus_mod3IiEiEEDaPvRmT3_T4_T5_mT6_P12ihipStream_tbENKUlT_T0_E_clISt17integral_constantIbLb1EEST_IbLb0EEEEDaSP_SQ_EUlSP_E_NS1_11comp_targetILNS1_3genE2ELNS1_11target_archE906ELNS1_3gpuE6ELNS1_3repE0EEENS1_30default_config_static_selectorELNS0_4arch9wavefront6targetE1EEEvT1_
	.globl	_ZN7rocprim17ROCPRIM_400000_NS6detail17trampoline_kernelINS0_14default_configENS1_20scan_config_selectorIiEEZZNS1_9scan_implILNS1_25lookback_scan_determinismE0ELb0ELb0ES3_N6thrust23THRUST_200600_302600_NS6detail15normal_iteratorINS9_10device_ptrIiEEEESE_i19const_ref_plus_mod3IiEiEEDaPvRmT3_T4_T5_mT6_P12ihipStream_tbENKUlT_T0_E_clISt17integral_constantIbLb1EEST_IbLb0EEEEDaSP_SQ_EUlSP_E_NS1_11comp_targetILNS1_3genE2ELNS1_11target_archE906ELNS1_3gpuE6ELNS1_3repE0EEENS1_30default_config_static_selectorELNS0_4arch9wavefront6targetE1EEEvT1_
	.p2align	8
	.type	_ZN7rocprim17ROCPRIM_400000_NS6detail17trampoline_kernelINS0_14default_configENS1_20scan_config_selectorIiEEZZNS1_9scan_implILNS1_25lookback_scan_determinismE0ELb0ELb0ES3_N6thrust23THRUST_200600_302600_NS6detail15normal_iteratorINS9_10device_ptrIiEEEESE_i19const_ref_plus_mod3IiEiEEDaPvRmT3_T4_T5_mT6_P12ihipStream_tbENKUlT_T0_E_clISt17integral_constantIbLb1EEST_IbLb0EEEEDaSP_SQ_EUlSP_E_NS1_11comp_targetILNS1_3genE2ELNS1_11target_archE906ELNS1_3gpuE6ELNS1_3repE0EEENS1_30default_config_static_selectorELNS0_4arch9wavefront6targetE1EEEvT1_,@function
_ZN7rocprim17ROCPRIM_400000_NS6detail17trampoline_kernelINS0_14default_configENS1_20scan_config_selectorIiEEZZNS1_9scan_implILNS1_25lookback_scan_determinismE0ELb0ELb0ES3_N6thrust23THRUST_200600_302600_NS6detail15normal_iteratorINS9_10device_ptrIiEEEESE_i19const_ref_plus_mod3IiEiEEDaPvRmT3_T4_T5_mT6_P12ihipStream_tbENKUlT_T0_E_clISt17integral_constantIbLb1EEST_IbLb0EEEEDaSP_SQ_EUlSP_E_NS1_11comp_targetILNS1_3genE2ELNS1_11target_archE906ELNS1_3gpuE6ELNS1_3repE0EEENS1_30default_config_static_selectorELNS0_4arch9wavefront6targetE1EEEvT1_: ; @_ZN7rocprim17ROCPRIM_400000_NS6detail17trampoline_kernelINS0_14default_configENS1_20scan_config_selectorIiEEZZNS1_9scan_implILNS1_25lookback_scan_determinismE0ELb0ELb0ES3_N6thrust23THRUST_200600_302600_NS6detail15normal_iteratorINS9_10device_ptrIiEEEESE_i19const_ref_plus_mod3IiEiEEDaPvRmT3_T4_T5_mT6_P12ihipStream_tbENKUlT_T0_E_clISt17integral_constantIbLb1EEST_IbLb0EEEEDaSP_SQ_EUlSP_E_NS1_11comp_targetILNS1_3genE2ELNS1_11target_archE906ELNS1_3gpuE6ELNS1_3repE0EEENS1_30default_config_static_selectorELNS0_4arch9wavefront6targetE1EEEvT1_
; %bb.0:
	.section	.rodata,"a",@progbits
	.p2align	6, 0x0
	.amdhsa_kernel _ZN7rocprim17ROCPRIM_400000_NS6detail17trampoline_kernelINS0_14default_configENS1_20scan_config_selectorIiEEZZNS1_9scan_implILNS1_25lookback_scan_determinismE0ELb0ELb0ES3_N6thrust23THRUST_200600_302600_NS6detail15normal_iteratorINS9_10device_ptrIiEEEESE_i19const_ref_plus_mod3IiEiEEDaPvRmT3_T4_T5_mT6_P12ihipStream_tbENKUlT_T0_E_clISt17integral_constantIbLb1EEST_IbLb0EEEEDaSP_SQ_EUlSP_E_NS1_11comp_targetILNS1_3genE2ELNS1_11target_archE906ELNS1_3gpuE6ELNS1_3repE0EEENS1_30default_config_static_selectorELNS0_4arch9wavefront6targetE1EEEvT1_
		.amdhsa_group_segment_fixed_size 0
		.amdhsa_private_segment_fixed_size 0
		.amdhsa_kernarg_size 104
		.amdhsa_user_sgpr_count 6
		.amdhsa_user_sgpr_private_segment_buffer 1
		.amdhsa_user_sgpr_dispatch_ptr 0
		.amdhsa_user_sgpr_queue_ptr 0
		.amdhsa_user_sgpr_kernarg_segment_ptr 1
		.amdhsa_user_sgpr_dispatch_id 0
		.amdhsa_user_sgpr_flat_scratch_init 0
		.amdhsa_user_sgpr_kernarg_preload_length 0
		.amdhsa_user_sgpr_kernarg_preload_offset 0
		.amdhsa_user_sgpr_private_segment_size 0
		.amdhsa_uses_dynamic_stack 0
		.amdhsa_system_sgpr_private_segment_wavefront_offset 0
		.amdhsa_system_sgpr_workgroup_id_x 1
		.amdhsa_system_sgpr_workgroup_id_y 0
		.amdhsa_system_sgpr_workgroup_id_z 0
		.amdhsa_system_sgpr_workgroup_info 0
		.amdhsa_system_vgpr_workitem_id 0
		.amdhsa_next_free_vgpr 1
		.amdhsa_next_free_sgpr 0
		.amdhsa_accum_offset 4
		.amdhsa_reserve_vcc 0
		.amdhsa_reserve_flat_scratch 0
		.amdhsa_float_round_mode_32 0
		.amdhsa_float_round_mode_16_64 0
		.amdhsa_float_denorm_mode_32 3
		.amdhsa_float_denorm_mode_16_64 3
		.amdhsa_dx10_clamp 1
		.amdhsa_ieee_mode 1
		.amdhsa_fp16_overflow 0
		.amdhsa_tg_split 0
		.amdhsa_exception_fp_ieee_invalid_op 0
		.amdhsa_exception_fp_denorm_src 0
		.amdhsa_exception_fp_ieee_div_zero 0
		.amdhsa_exception_fp_ieee_overflow 0
		.amdhsa_exception_fp_ieee_underflow 0
		.amdhsa_exception_fp_ieee_inexact 0
		.amdhsa_exception_int_div_zero 0
	.end_amdhsa_kernel
	.section	.text._ZN7rocprim17ROCPRIM_400000_NS6detail17trampoline_kernelINS0_14default_configENS1_20scan_config_selectorIiEEZZNS1_9scan_implILNS1_25lookback_scan_determinismE0ELb0ELb0ES3_N6thrust23THRUST_200600_302600_NS6detail15normal_iteratorINS9_10device_ptrIiEEEESE_i19const_ref_plus_mod3IiEiEEDaPvRmT3_T4_T5_mT6_P12ihipStream_tbENKUlT_T0_E_clISt17integral_constantIbLb1EEST_IbLb0EEEEDaSP_SQ_EUlSP_E_NS1_11comp_targetILNS1_3genE2ELNS1_11target_archE906ELNS1_3gpuE6ELNS1_3repE0EEENS1_30default_config_static_selectorELNS0_4arch9wavefront6targetE1EEEvT1_,"axG",@progbits,_ZN7rocprim17ROCPRIM_400000_NS6detail17trampoline_kernelINS0_14default_configENS1_20scan_config_selectorIiEEZZNS1_9scan_implILNS1_25lookback_scan_determinismE0ELb0ELb0ES3_N6thrust23THRUST_200600_302600_NS6detail15normal_iteratorINS9_10device_ptrIiEEEESE_i19const_ref_plus_mod3IiEiEEDaPvRmT3_T4_T5_mT6_P12ihipStream_tbENKUlT_T0_E_clISt17integral_constantIbLb1EEST_IbLb0EEEEDaSP_SQ_EUlSP_E_NS1_11comp_targetILNS1_3genE2ELNS1_11target_archE906ELNS1_3gpuE6ELNS1_3repE0EEENS1_30default_config_static_selectorELNS0_4arch9wavefront6targetE1EEEvT1_,comdat
.Lfunc_end7020:
	.size	_ZN7rocprim17ROCPRIM_400000_NS6detail17trampoline_kernelINS0_14default_configENS1_20scan_config_selectorIiEEZZNS1_9scan_implILNS1_25lookback_scan_determinismE0ELb0ELb0ES3_N6thrust23THRUST_200600_302600_NS6detail15normal_iteratorINS9_10device_ptrIiEEEESE_i19const_ref_plus_mod3IiEiEEDaPvRmT3_T4_T5_mT6_P12ihipStream_tbENKUlT_T0_E_clISt17integral_constantIbLb1EEST_IbLb0EEEEDaSP_SQ_EUlSP_E_NS1_11comp_targetILNS1_3genE2ELNS1_11target_archE906ELNS1_3gpuE6ELNS1_3repE0EEENS1_30default_config_static_selectorELNS0_4arch9wavefront6targetE1EEEvT1_, .Lfunc_end7020-_ZN7rocprim17ROCPRIM_400000_NS6detail17trampoline_kernelINS0_14default_configENS1_20scan_config_selectorIiEEZZNS1_9scan_implILNS1_25lookback_scan_determinismE0ELb0ELb0ES3_N6thrust23THRUST_200600_302600_NS6detail15normal_iteratorINS9_10device_ptrIiEEEESE_i19const_ref_plus_mod3IiEiEEDaPvRmT3_T4_T5_mT6_P12ihipStream_tbENKUlT_T0_E_clISt17integral_constantIbLb1EEST_IbLb0EEEEDaSP_SQ_EUlSP_E_NS1_11comp_targetILNS1_3genE2ELNS1_11target_archE906ELNS1_3gpuE6ELNS1_3repE0EEENS1_30default_config_static_selectorELNS0_4arch9wavefront6targetE1EEEvT1_
                                        ; -- End function
	.section	.AMDGPU.csdata,"",@progbits
; Kernel info:
; codeLenInByte = 0
; NumSgprs: 4
; NumVgprs: 0
; NumAgprs: 0
; TotalNumVgprs: 0
; ScratchSize: 0
; MemoryBound: 0
; FloatMode: 240
; IeeeMode: 1
; LDSByteSize: 0 bytes/workgroup (compile time only)
; SGPRBlocks: 0
; VGPRBlocks: 0
; NumSGPRsForWavesPerEU: 4
; NumVGPRsForWavesPerEU: 1
; AccumOffset: 4
; Occupancy: 8
; WaveLimiterHint : 0
; COMPUTE_PGM_RSRC2:SCRATCH_EN: 0
; COMPUTE_PGM_RSRC2:USER_SGPR: 6
; COMPUTE_PGM_RSRC2:TRAP_HANDLER: 0
; COMPUTE_PGM_RSRC2:TGID_X_EN: 1
; COMPUTE_PGM_RSRC2:TGID_Y_EN: 0
; COMPUTE_PGM_RSRC2:TGID_Z_EN: 0
; COMPUTE_PGM_RSRC2:TIDIG_COMP_CNT: 0
; COMPUTE_PGM_RSRC3_GFX90A:ACCUM_OFFSET: 0
; COMPUTE_PGM_RSRC3_GFX90A:TG_SPLIT: 0
	.section	.text._ZN7rocprim17ROCPRIM_400000_NS6detail17trampoline_kernelINS0_14default_configENS1_20scan_config_selectorIiEEZZNS1_9scan_implILNS1_25lookback_scan_determinismE0ELb0ELb0ES3_N6thrust23THRUST_200600_302600_NS6detail15normal_iteratorINS9_10device_ptrIiEEEESE_i19const_ref_plus_mod3IiEiEEDaPvRmT3_T4_T5_mT6_P12ihipStream_tbENKUlT_T0_E_clISt17integral_constantIbLb1EEST_IbLb0EEEEDaSP_SQ_EUlSP_E_NS1_11comp_targetILNS1_3genE10ELNS1_11target_archE1201ELNS1_3gpuE5ELNS1_3repE0EEENS1_30default_config_static_selectorELNS0_4arch9wavefront6targetE1EEEvT1_,"axG",@progbits,_ZN7rocprim17ROCPRIM_400000_NS6detail17trampoline_kernelINS0_14default_configENS1_20scan_config_selectorIiEEZZNS1_9scan_implILNS1_25lookback_scan_determinismE0ELb0ELb0ES3_N6thrust23THRUST_200600_302600_NS6detail15normal_iteratorINS9_10device_ptrIiEEEESE_i19const_ref_plus_mod3IiEiEEDaPvRmT3_T4_T5_mT6_P12ihipStream_tbENKUlT_T0_E_clISt17integral_constantIbLb1EEST_IbLb0EEEEDaSP_SQ_EUlSP_E_NS1_11comp_targetILNS1_3genE10ELNS1_11target_archE1201ELNS1_3gpuE5ELNS1_3repE0EEENS1_30default_config_static_selectorELNS0_4arch9wavefront6targetE1EEEvT1_,comdat
	.protected	_ZN7rocprim17ROCPRIM_400000_NS6detail17trampoline_kernelINS0_14default_configENS1_20scan_config_selectorIiEEZZNS1_9scan_implILNS1_25lookback_scan_determinismE0ELb0ELb0ES3_N6thrust23THRUST_200600_302600_NS6detail15normal_iteratorINS9_10device_ptrIiEEEESE_i19const_ref_plus_mod3IiEiEEDaPvRmT3_T4_T5_mT6_P12ihipStream_tbENKUlT_T0_E_clISt17integral_constantIbLb1EEST_IbLb0EEEEDaSP_SQ_EUlSP_E_NS1_11comp_targetILNS1_3genE10ELNS1_11target_archE1201ELNS1_3gpuE5ELNS1_3repE0EEENS1_30default_config_static_selectorELNS0_4arch9wavefront6targetE1EEEvT1_ ; -- Begin function _ZN7rocprim17ROCPRIM_400000_NS6detail17trampoline_kernelINS0_14default_configENS1_20scan_config_selectorIiEEZZNS1_9scan_implILNS1_25lookback_scan_determinismE0ELb0ELb0ES3_N6thrust23THRUST_200600_302600_NS6detail15normal_iteratorINS9_10device_ptrIiEEEESE_i19const_ref_plus_mod3IiEiEEDaPvRmT3_T4_T5_mT6_P12ihipStream_tbENKUlT_T0_E_clISt17integral_constantIbLb1EEST_IbLb0EEEEDaSP_SQ_EUlSP_E_NS1_11comp_targetILNS1_3genE10ELNS1_11target_archE1201ELNS1_3gpuE5ELNS1_3repE0EEENS1_30default_config_static_selectorELNS0_4arch9wavefront6targetE1EEEvT1_
	.globl	_ZN7rocprim17ROCPRIM_400000_NS6detail17trampoline_kernelINS0_14default_configENS1_20scan_config_selectorIiEEZZNS1_9scan_implILNS1_25lookback_scan_determinismE0ELb0ELb0ES3_N6thrust23THRUST_200600_302600_NS6detail15normal_iteratorINS9_10device_ptrIiEEEESE_i19const_ref_plus_mod3IiEiEEDaPvRmT3_T4_T5_mT6_P12ihipStream_tbENKUlT_T0_E_clISt17integral_constantIbLb1EEST_IbLb0EEEEDaSP_SQ_EUlSP_E_NS1_11comp_targetILNS1_3genE10ELNS1_11target_archE1201ELNS1_3gpuE5ELNS1_3repE0EEENS1_30default_config_static_selectorELNS0_4arch9wavefront6targetE1EEEvT1_
	.p2align	8
	.type	_ZN7rocprim17ROCPRIM_400000_NS6detail17trampoline_kernelINS0_14default_configENS1_20scan_config_selectorIiEEZZNS1_9scan_implILNS1_25lookback_scan_determinismE0ELb0ELb0ES3_N6thrust23THRUST_200600_302600_NS6detail15normal_iteratorINS9_10device_ptrIiEEEESE_i19const_ref_plus_mod3IiEiEEDaPvRmT3_T4_T5_mT6_P12ihipStream_tbENKUlT_T0_E_clISt17integral_constantIbLb1EEST_IbLb0EEEEDaSP_SQ_EUlSP_E_NS1_11comp_targetILNS1_3genE10ELNS1_11target_archE1201ELNS1_3gpuE5ELNS1_3repE0EEENS1_30default_config_static_selectorELNS0_4arch9wavefront6targetE1EEEvT1_,@function
_ZN7rocprim17ROCPRIM_400000_NS6detail17trampoline_kernelINS0_14default_configENS1_20scan_config_selectorIiEEZZNS1_9scan_implILNS1_25lookback_scan_determinismE0ELb0ELb0ES3_N6thrust23THRUST_200600_302600_NS6detail15normal_iteratorINS9_10device_ptrIiEEEESE_i19const_ref_plus_mod3IiEiEEDaPvRmT3_T4_T5_mT6_P12ihipStream_tbENKUlT_T0_E_clISt17integral_constantIbLb1EEST_IbLb0EEEEDaSP_SQ_EUlSP_E_NS1_11comp_targetILNS1_3genE10ELNS1_11target_archE1201ELNS1_3gpuE5ELNS1_3repE0EEENS1_30default_config_static_selectorELNS0_4arch9wavefront6targetE1EEEvT1_: ; @_ZN7rocprim17ROCPRIM_400000_NS6detail17trampoline_kernelINS0_14default_configENS1_20scan_config_selectorIiEEZZNS1_9scan_implILNS1_25lookback_scan_determinismE0ELb0ELb0ES3_N6thrust23THRUST_200600_302600_NS6detail15normal_iteratorINS9_10device_ptrIiEEEESE_i19const_ref_plus_mod3IiEiEEDaPvRmT3_T4_T5_mT6_P12ihipStream_tbENKUlT_T0_E_clISt17integral_constantIbLb1EEST_IbLb0EEEEDaSP_SQ_EUlSP_E_NS1_11comp_targetILNS1_3genE10ELNS1_11target_archE1201ELNS1_3gpuE5ELNS1_3repE0EEENS1_30default_config_static_selectorELNS0_4arch9wavefront6targetE1EEEvT1_
; %bb.0:
	.section	.rodata,"a",@progbits
	.p2align	6, 0x0
	.amdhsa_kernel _ZN7rocprim17ROCPRIM_400000_NS6detail17trampoline_kernelINS0_14default_configENS1_20scan_config_selectorIiEEZZNS1_9scan_implILNS1_25lookback_scan_determinismE0ELb0ELb0ES3_N6thrust23THRUST_200600_302600_NS6detail15normal_iteratorINS9_10device_ptrIiEEEESE_i19const_ref_plus_mod3IiEiEEDaPvRmT3_T4_T5_mT6_P12ihipStream_tbENKUlT_T0_E_clISt17integral_constantIbLb1EEST_IbLb0EEEEDaSP_SQ_EUlSP_E_NS1_11comp_targetILNS1_3genE10ELNS1_11target_archE1201ELNS1_3gpuE5ELNS1_3repE0EEENS1_30default_config_static_selectorELNS0_4arch9wavefront6targetE1EEEvT1_
		.amdhsa_group_segment_fixed_size 0
		.amdhsa_private_segment_fixed_size 0
		.amdhsa_kernarg_size 104
		.amdhsa_user_sgpr_count 6
		.amdhsa_user_sgpr_private_segment_buffer 1
		.amdhsa_user_sgpr_dispatch_ptr 0
		.amdhsa_user_sgpr_queue_ptr 0
		.amdhsa_user_sgpr_kernarg_segment_ptr 1
		.amdhsa_user_sgpr_dispatch_id 0
		.amdhsa_user_sgpr_flat_scratch_init 0
		.amdhsa_user_sgpr_kernarg_preload_length 0
		.amdhsa_user_sgpr_kernarg_preload_offset 0
		.amdhsa_user_sgpr_private_segment_size 0
		.amdhsa_uses_dynamic_stack 0
		.amdhsa_system_sgpr_private_segment_wavefront_offset 0
		.amdhsa_system_sgpr_workgroup_id_x 1
		.amdhsa_system_sgpr_workgroup_id_y 0
		.amdhsa_system_sgpr_workgroup_id_z 0
		.amdhsa_system_sgpr_workgroup_info 0
		.amdhsa_system_vgpr_workitem_id 0
		.amdhsa_next_free_vgpr 1
		.amdhsa_next_free_sgpr 0
		.amdhsa_accum_offset 4
		.amdhsa_reserve_vcc 0
		.amdhsa_reserve_flat_scratch 0
		.amdhsa_float_round_mode_32 0
		.amdhsa_float_round_mode_16_64 0
		.amdhsa_float_denorm_mode_32 3
		.amdhsa_float_denorm_mode_16_64 3
		.amdhsa_dx10_clamp 1
		.amdhsa_ieee_mode 1
		.amdhsa_fp16_overflow 0
		.amdhsa_tg_split 0
		.amdhsa_exception_fp_ieee_invalid_op 0
		.amdhsa_exception_fp_denorm_src 0
		.amdhsa_exception_fp_ieee_div_zero 0
		.amdhsa_exception_fp_ieee_overflow 0
		.amdhsa_exception_fp_ieee_underflow 0
		.amdhsa_exception_fp_ieee_inexact 0
		.amdhsa_exception_int_div_zero 0
	.end_amdhsa_kernel
	.section	.text._ZN7rocprim17ROCPRIM_400000_NS6detail17trampoline_kernelINS0_14default_configENS1_20scan_config_selectorIiEEZZNS1_9scan_implILNS1_25lookback_scan_determinismE0ELb0ELb0ES3_N6thrust23THRUST_200600_302600_NS6detail15normal_iteratorINS9_10device_ptrIiEEEESE_i19const_ref_plus_mod3IiEiEEDaPvRmT3_T4_T5_mT6_P12ihipStream_tbENKUlT_T0_E_clISt17integral_constantIbLb1EEST_IbLb0EEEEDaSP_SQ_EUlSP_E_NS1_11comp_targetILNS1_3genE10ELNS1_11target_archE1201ELNS1_3gpuE5ELNS1_3repE0EEENS1_30default_config_static_selectorELNS0_4arch9wavefront6targetE1EEEvT1_,"axG",@progbits,_ZN7rocprim17ROCPRIM_400000_NS6detail17trampoline_kernelINS0_14default_configENS1_20scan_config_selectorIiEEZZNS1_9scan_implILNS1_25lookback_scan_determinismE0ELb0ELb0ES3_N6thrust23THRUST_200600_302600_NS6detail15normal_iteratorINS9_10device_ptrIiEEEESE_i19const_ref_plus_mod3IiEiEEDaPvRmT3_T4_T5_mT6_P12ihipStream_tbENKUlT_T0_E_clISt17integral_constantIbLb1EEST_IbLb0EEEEDaSP_SQ_EUlSP_E_NS1_11comp_targetILNS1_3genE10ELNS1_11target_archE1201ELNS1_3gpuE5ELNS1_3repE0EEENS1_30default_config_static_selectorELNS0_4arch9wavefront6targetE1EEEvT1_,comdat
.Lfunc_end7021:
	.size	_ZN7rocprim17ROCPRIM_400000_NS6detail17trampoline_kernelINS0_14default_configENS1_20scan_config_selectorIiEEZZNS1_9scan_implILNS1_25lookback_scan_determinismE0ELb0ELb0ES3_N6thrust23THRUST_200600_302600_NS6detail15normal_iteratorINS9_10device_ptrIiEEEESE_i19const_ref_plus_mod3IiEiEEDaPvRmT3_T4_T5_mT6_P12ihipStream_tbENKUlT_T0_E_clISt17integral_constantIbLb1EEST_IbLb0EEEEDaSP_SQ_EUlSP_E_NS1_11comp_targetILNS1_3genE10ELNS1_11target_archE1201ELNS1_3gpuE5ELNS1_3repE0EEENS1_30default_config_static_selectorELNS0_4arch9wavefront6targetE1EEEvT1_, .Lfunc_end7021-_ZN7rocprim17ROCPRIM_400000_NS6detail17trampoline_kernelINS0_14default_configENS1_20scan_config_selectorIiEEZZNS1_9scan_implILNS1_25lookback_scan_determinismE0ELb0ELb0ES3_N6thrust23THRUST_200600_302600_NS6detail15normal_iteratorINS9_10device_ptrIiEEEESE_i19const_ref_plus_mod3IiEiEEDaPvRmT3_T4_T5_mT6_P12ihipStream_tbENKUlT_T0_E_clISt17integral_constantIbLb1EEST_IbLb0EEEEDaSP_SQ_EUlSP_E_NS1_11comp_targetILNS1_3genE10ELNS1_11target_archE1201ELNS1_3gpuE5ELNS1_3repE0EEENS1_30default_config_static_selectorELNS0_4arch9wavefront6targetE1EEEvT1_
                                        ; -- End function
	.section	.AMDGPU.csdata,"",@progbits
; Kernel info:
; codeLenInByte = 0
; NumSgprs: 4
; NumVgprs: 0
; NumAgprs: 0
; TotalNumVgprs: 0
; ScratchSize: 0
; MemoryBound: 0
; FloatMode: 240
; IeeeMode: 1
; LDSByteSize: 0 bytes/workgroup (compile time only)
; SGPRBlocks: 0
; VGPRBlocks: 0
; NumSGPRsForWavesPerEU: 4
; NumVGPRsForWavesPerEU: 1
; AccumOffset: 4
; Occupancy: 8
; WaveLimiterHint : 0
; COMPUTE_PGM_RSRC2:SCRATCH_EN: 0
; COMPUTE_PGM_RSRC2:USER_SGPR: 6
; COMPUTE_PGM_RSRC2:TRAP_HANDLER: 0
; COMPUTE_PGM_RSRC2:TGID_X_EN: 1
; COMPUTE_PGM_RSRC2:TGID_Y_EN: 0
; COMPUTE_PGM_RSRC2:TGID_Z_EN: 0
; COMPUTE_PGM_RSRC2:TIDIG_COMP_CNT: 0
; COMPUTE_PGM_RSRC3_GFX90A:ACCUM_OFFSET: 0
; COMPUTE_PGM_RSRC3_GFX90A:TG_SPLIT: 0
	.section	.text._ZN7rocprim17ROCPRIM_400000_NS6detail17trampoline_kernelINS0_14default_configENS1_20scan_config_selectorIiEEZZNS1_9scan_implILNS1_25lookback_scan_determinismE0ELb0ELb0ES3_N6thrust23THRUST_200600_302600_NS6detail15normal_iteratorINS9_10device_ptrIiEEEESE_i19const_ref_plus_mod3IiEiEEDaPvRmT3_T4_T5_mT6_P12ihipStream_tbENKUlT_T0_E_clISt17integral_constantIbLb1EEST_IbLb0EEEEDaSP_SQ_EUlSP_E_NS1_11comp_targetILNS1_3genE10ELNS1_11target_archE1200ELNS1_3gpuE4ELNS1_3repE0EEENS1_30default_config_static_selectorELNS0_4arch9wavefront6targetE1EEEvT1_,"axG",@progbits,_ZN7rocprim17ROCPRIM_400000_NS6detail17trampoline_kernelINS0_14default_configENS1_20scan_config_selectorIiEEZZNS1_9scan_implILNS1_25lookback_scan_determinismE0ELb0ELb0ES3_N6thrust23THRUST_200600_302600_NS6detail15normal_iteratorINS9_10device_ptrIiEEEESE_i19const_ref_plus_mod3IiEiEEDaPvRmT3_T4_T5_mT6_P12ihipStream_tbENKUlT_T0_E_clISt17integral_constantIbLb1EEST_IbLb0EEEEDaSP_SQ_EUlSP_E_NS1_11comp_targetILNS1_3genE10ELNS1_11target_archE1200ELNS1_3gpuE4ELNS1_3repE0EEENS1_30default_config_static_selectorELNS0_4arch9wavefront6targetE1EEEvT1_,comdat
	.protected	_ZN7rocprim17ROCPRIM_400000_NS6detail17trampoline_kernelINS0_14default_configENS1_20scan_config_selectorIiEEZZNS1_9scan_implILNS1_25lookback_scan_determinismE0ELb0ELb0ES3_N6thrust23THRUST_200600_302600_NS6detail15normal_iteratorINS9_10device_ptrIiEEEESE_i19const_ref_plus_mod3IiEiEEDaPvRmT3_T4_T5_mT6_P12ihipStream_tbENKUlT_T0_E_clISt17integral_constantIbLb1EEST_IbLb0EEEEDaSP_SQ_EUlSP_E_NS1_11comp_targetILNS1_3genE10ELNS1_11target_archE1200ELNS1_3gpuE4ELNS1_3repE0EEENS1_30default_config_static_selectorELNS0_4arch9wavefront6targetE1EEEvT1_ ; -- Begin function _ZN7rocprim17ROCPRIM_400000_NS6detail17trampoline_kernelINS0_14default_configENS1_20scan_config_selectorIiEEZZNS1_9scan_implILNS1_25lookback_scan_determinismE0ELb0ELb0ES3_N6thrust23THRUST_200600_302600_NS6detail15normal_iteratorINS9_10device_ptrIiEEEESE_i19const_ref_plus_mod3IiEiEEDaPvRmT3_T4_T5_mT6_P12ihipStream_tbENKUlT_T0_E_clISt17integral_constantIbLb1EEST_IbLb0EEEEDaSP_SQ_EUlSP_E_NS1_11comp_targetILNS1_3genE10ELNS1_11target_archE1200ELNS1_3gpuE4ELNS1_3repE0EEENS1_30default_config_static_selectorELNS0_4arch9wavefront6targetE1EEEvT1_
	.globl	_ZN7rocprim17ROCPRIM_400000_NS6detail17trampoline_kernelINS0_14default_configENS1_20scan_config_selectorIiEEZZNS1_9scan_implILNS1_25lookback_scan_determinismE0ELb0ELb0ES3_N6thrust23THRUST_200600_302600_NS6detail15normal_iteratorINS9_10device_ptrIiEEEESE_i19const_ref_plus_mod3IiEiEEDaPvRmT3_T4_T5_mT6_P12ihipStream_tbENKUlT_T0_E_clISt17integral_constantIbLb1EEST_IbLb0EEEEDaSP_SQ_EUlSP_E_NS1_11comp_targetILNS1_3genE10ELNS1_11target_archE1200ELNS1_3gpuE4ELNS1_3repE0EEENS1_30default_config_static_selectorELNS0_4arch9wavefront6targetE1EEEvT1_
	.p2align	8
	.type	_ZN7rocprim17ROCPRIM_400000_NS6detail17trampoline_kernelINS0_14default_configENS1_20scan_config_selectorIiEEZZNS1_9scan_implILNS1_25lookback_scan_determinismE0ELb0ELb0ES3_N6thrust23THRUST_200600_302600_NS6detail15normal_iteratorINS9_10device_ptrIiEEEESE_i19const_ref_plus_mod3IiEiEEDaPvRmT3_T4_T5_mT6_P12ihipStream_tbENKUlT_T0_E_clISt17integral_constantIbLb1EEST_IbLb0EEEEDaSP_SQ_EUlSP_E_NS1_11comp_targetILNS1_3genE10ELNS1_11target_archE1200ELNS1_3gpuE4ELNS1_3repE0EEENS1_30default_config_static_selectorELNS0_4arch9wavefront6targetE1EEEvT1_,@function
_ZN7rocprim17ROCPRIM_400000_NS6detail17trampoline_kernelINS0_14default_configENS1_20scan_config_selectorIiEEZZNS1_9scan_implILNS1_25lookback_scan_determinismE0ELb0ELb0ES3_N6thrust23THRUST_200600_302600_NS6detail15normal_iteratorINS9_10device_ptrIiEEEESE_i19const_ref_plus_mod3IiEiEEDaPvRmT3_T4_T5_mT6_P12ihipStream_tbENKUlT_T0_E_clISt17integral_constantIbLb1EEST_IbLb0EEEEDaSP_SQ_EUlSP_E_NS1_11comp_targetILNS1_3genE10ELNS1_11target_archE1200ELNS1_3gpuE4ELNS1_3repE0EEENS1_30default_config_static_selectorELNS0_4arch9wavefront6targetE1EEEvT1_: ; @_ZN7rocprim17ROCPRIM_400000_NS6detail17trampoline_kernelINS0_14default_configENS1_20scan_config_selectorIiEEZZNS1_9scan_implILNS1_25lookback_scan_determinismE0ELb0ELb0ES3_N6thrust23THRUST_200600_302600_NS6detail15normal_iteratorINS9_10device_ptrIiEEEESE_i19const_ref_plus_mod3IiEiEEDaPvRmT3_T4_T5_mT6_P12ihipStream_tbENKUlT_T0_E_clISt17integral_constantIbLb1EEST_IbLb0EEEEDaSP_SQ_EUlSP_E_NS1_11comp_targetILNS1_3genE10ELNS1_11target_archE1200ELNS1_3gpuE4ELNS1_3repE0EEENS1_30default_config_static_selectorELNS0_4arch9wavefront6targetE1EEEvT1_
; %bb.0:
	.section	.rodata,"a",@progbits
	.p2align	6, 0x0
	.amdhsa_kernel _ZN7rocprim17ROCPRIM_400000_NS6detail17trampoline_kernelINS0_14default_configENS1_20scan_config_selectorIiEEZZNS1_9scan_implILNS1_25lookback_scan_determinismE0ELb0ELb0ES3_N6thrust23THRUST_200600_302600_NS6detail15normal_iteratorINS9_10device_ptrIiEEEESE_i19const_ref_plus_mod3IiEiEEDaPvRmT3_T4_T5_mT6_P12ihipStream_tbENKUlT_T0_E_clISt17integral_constantIbLb1EEST_IbLb0EEEEDaSP_SQ_EUlSP_E_NS1_11comp_targetILNS1_3genE10ELNS1_11target_archE1200ELNS1_3gpuE4ELNS1_3repE0EEENS1_30default_config_static_selectorELNS0_4arch9wavefront6targetE1EEEvT1_
		.amdhsa_group_segment_fixed_size 0
		.amdhsa_private_segment_fixed_size 0
		.amdhsa_kernarg_size 104
		.amdhsa_user_sgpr_count 6
		.amdhsa_user_sgpr_private_segment_buffer 1
		.amdhsa_user_sgpr_dispatch_ptr 0
		.amdhsa_user_sgpr_queue_ptr 0
		.amdhsa_user_sgpr_kernarg_segment_ptr 1
		.amdhsa_user_sgpr_dispatch_id 0
		.amdhsa_user_sgpr_flat_scratch_init 0
		.amdhsa_user_sgpr_kernarg_preload_length 0
		.amdhsa_user_sgpr_kernarg_preload_offset 0
		.amdhsa_user_sgpr_private_segment_size 0
		.amdhsa_uses_dynamic_stack 0
		.amdhsa_system_sgpr_private_segment_wavefront_offset 0
		.amdhsa_system_sgpr_workgroup_id_x 1
		.amdhsa_system_sgpr_workgroup_id_y 0
		.amdhsa_system_sgpr_workgroup_id_z 0
		.amdhsa_system_sgpr_workgroup_info 0
		.amdhsa_system_vgpr_workitem_id 0
		.amdhsa_next_free_vgpr 1
		.amdhsa_next_free_sgpr 0
		.amdhsa_accum_offset 4
		.amdhsa_reserve_vcc 0
		.amdhsa_reserve_flat_scratch 0
		.amdhsa_float_round_mode_32 0
		.amdhsa_float_round_mode_16_64 0
		.amdhsa_float_denorm_mode_32 3
		.amdhsa_float_denorm_mode_16_64 3
		.amdhsa_dx10_clamp 1
		.amdhsa_ieee_mode 1
		.amdhsa_fp16_overflow 0
		.amdhsa_tg_split 0
		.amdhsa_exception_fp_ieee_invalid_op 0
		.amdhsa_exception_fp_denorm_src 0
		.amdhsa_exception_fp_ieee_div_zero 0
		.amdhsa_exception_fp_ieee_overflow 0
		.amdhsa_exception_fp_ieee_underflow 0
		.amdhsa_exception_fp_ieee_inexact 0
		.amdhsa_exception_int_div_zero 0
	.end_amdhsa_kernel
	.section	.text._ZN7rocprim17ROCPRIM_400000_NS6detail17trampoline_kernelINS0_14default_configENS1_20scan_config_selectorIiEEZZNS1_9scan_implILNS1_25lookback_scan_determinismE0ELb0ELb0ES3_N6thrust23THRUST_200600_302600_NS6detail15normal_iteratorINS9_10device_ptrIiEEEESE_i19const_ref_plus_mod3IiEiEEDaPvRmT3_T4_T5_mT6_P12ihipStream_tbENKUlT_T0_E_clISt17integral_constantIbLb1EEST_IbLb0EEEEDaSP_SQ_EUlSP_E_NS1_11comp_targetILNS1_3genE10ELNS1_11target_archE1200ELNS1_3gpuE4ELNS1_3repE0EEENS1_30default_config_static_selectorELNS0_4arch9wavefront6targetE1EEEvT1_,"axG",@progbits,_ZN7rocprim17ROCPRIM_400000_NS6detail17trampoline_kernelINS0_14default_configENS1_20scan_config_selectorIiEEZZNS1_9scan_implILNS1_25lookback_scan_determinismE0ELb0ELb0ES3_N6thrust23THRUST_200600_302600_NS6detail15normal_iteratorINS9_10device_ptrIiEEEESE_i19const_ref_plus_mod3IiEiEEDaPvRmT3_T4_T5_mT6_P12ihipStream_tbENKUlT_T0_E_clISt17integral_constantIbLb1EEST_IbLb0EEEEDaSP_SQ_EUlSP_E_NS1_11comp_targetILNS1_3genE10ELNS1_11target_archE1200ELNS1_3gpuE4ELNS1_3repE0EEENS1_30default_config_static_selectorELNS0_4arch9wavefront6targetE1EEEvT1_,comdat
.Lfunc_end7022:
	.size	_ZN7rocprim17ROCPRIM_400000_NS6detail17trampoline_kernelINS0_14default_configENS1_20scan_config_selectorIiEEZZNS1_9scan_implILNS1_25lookback_scan_determinismE0ELb0ELb0ES3_N6thrust23THRUST_200600_302600_NS6detail15normal_iteratorINS9_10device_ptrIiEEEESE_i19const_ref_plus_mod3IiEiEEDaPvRmT3_T4_T5_mT6_P12ihipStream_tbENKUlT_T0_E_clISt17integral_constantIbLb1EEST_IbLb0EEEEDaSP_SQ_EUlSP_E_NS1_11comp_targetILNS1_3genE10ELNS1_11target_archE1200ELNS1_3gpuE4ELNS1_3repE0EEENS1_30default_config_static_selectorELNS0_4arch9wavefront6targetE1EEEvT1_, .Lfunc_end7022-_ZN7rocprim17ROCPRIM_400000_NS6detail17trampoline_kernelINS0_14default_configENS1_20scan_config_selectorIiEEZZNS1_9scan_implILNS1_25lookback_scan_determinismE0ELb0ELb0ES3_N6thrust23THRUST_200600_302600_NS6detail15normal_iteratorINS9_10device_ptrIiEEEESE_i19const_ref_plus_mod3IiEiEEDaPvRmT3_T4_T5_mT6_P12ihipStream_tbENKUlT_T0_E_clISt17integral_constantIbLb1EEST_IbLb0EEEEDaSP_SQ_EUlSP_E_NS1_11comp_targetILNS1_3genE10ELNS1_11target_archE1200ELNS1_3gpuE4ELNS1_3repE0EEENS1_30default_config_static_selectorELNS0_4arch9wavefront6targetE1EEEvT1_
                                        ; -- End function
	.section	.AMDGPU.csdata,"",@progbits
; Kernel info:
; codeLenInByte = 0
; NumSgprs: 4
; NumVgprs: 0
; NumAgprs: 0
; TotalNumVgprs: 0
; ScratchSize: 0
; MemoryBound: 0
; FloatMode: 240
; IeeeMode: 1
; LDSByteSize: 0 bytes/workgroup (compile time only)
; SGPRBlocks: 0
; VGPRBlocks: 0
; NumSGPRsForWavesPerEU: 4
; NumVGPRsForWavesPerEU: 1
; AccumOffset: 4
; Occupancy: 8
; WaveLimiterHint : 0
; COMPUTE_PGM_RSRC2:SCRATCH_EN: 0
; COMPUTE_PGM_RSRC2:USER_SGPR: 6
; COMPUTE_PGM_RSRC2:TRAP_HANDLER: 0
; COMPUTE_PGM_RSRC2:TGID_X_EN: 1
; COMPUTE_PGM_RSRC2:TGID_Y_EN: 0
; COMPUTE_PGM_RSRC2:TGID_Z_EN: 0
; COMPUTE_PGM_RSRC2:TIDIG_COMP_CNT: 0
; COMPUTE_PGM_RSRC3_GFX90A:ACCUM_OFFSET: 0
; COMPUTE_PGM_RSRC3_GFX90A:TG_SPLIT: 0
	.section	.text._ZN7rocprim17ROCPRIM_400000_NS6detail17trampoline_kernelINS0_14default_configENS1_20scan_config_selectorIiEEZZNS1_9scan_implILNS1_25lookback_scan_determinismE0ELb0ELb0ES3_N6thrust23THRUST_200600_302600_NS6detail15normal_iteratorINS9_10device_ptrIiEEEESE_i19const_ref_plus_mod3IiEiEEDaPvRmT3_T4_T5_mT6_P12ihipStream_tbENKUlT_T0_E_clISt17integral_constantIbLb1EEST_IbLb0EEEEDaSP_SQ_EUlSP_E_NS1_11comp_targetILNS1_3genE9ELNS1_11target_archE1100ELNS1_3gpuE3ELNS1_3repE0EEENS1_30default_config_static_selectorELNS0_4arch9wavefront6targetE1EEEvT1_,"axG",@progbits,_ZN7rocprim17ROCPRIM_400000_NS6detail17trampoline_kernelINS0_14default_configENS1_20scan_config_selectorIiEEZZNS1_9scan_implILNS1_25lookback_scan_determinismE0ELb0ELb0ES3_N6thrust23THRUST_200600_302600_NS6detail15normal_iteratorINS9_10device_ptrIiEEEESE_i19const_ref_plus_mod3IiEiEEDaPvRmT3_T4_T5_mT6_P12ihipStream_tbENKUlT_T0_E_clISt17integral_constantIbLb1EEST_IbLb0EEEEDaSP_SQ_EUlSP_E_NS1_11comp_targetILNS1_3genE9ELNS1_11target_archE1100ELNS1_3gpuE3ELNS1_3repE0EEENS1_30default_config_static_selectorELNS0_4arch9wavefront6targetE1EEEvT1_,comdat
	.protected	_ZN7rocprim17ROCPRIM_400000_NS6detail17trampoline_kernelINS0_14default_configENS1_20scan_config_selectorIiEEZZNS1_9scan_implILNS1_25lookback_scan_determinismE0ELb0ELb0ES3_N6thrust23THRUST_200600_302600_NS6detail15normal_iteratorINS9_10device_ptrIiEEEESE_i19const_ref_plus_mod3IiEiEEDaPvRmT3_T4_T5_mT6_P12ihipStream_tbENKUlT_T0_E_clISt17integral_constantIbLb1EEST_IbLb0EEEEDaSP_SQ_EUlSP_E_NS1_11comp_targetILNS1_3genE9ELNS1_11target_archE1100ELNS1_3gpuE3ELNS1_3repE0EEENS1_30default_config_static_selectorELNS0_4arch9wavefront6targetE1EEEvT1_ ; -- Begin function _ZN7rocprim17ROCPRIM_400000_NS6detail17trampoline_kernelINS0_14default_configENS1_20scan_config_selectorIiEEZZNS1_9scan_implILNS1_25lookback_scan_determinismE0ELb0ELb0ES3_N6thrust23THRUST_200600_302600_NS6detail15normal_iteratorINS9_10device_ptrIiEEEESE_i19const_ref_plus_mod3IiEiEEDaPvRmT3_T4_T5_mT6_P12ihipStream_tbENKUlT_T0_E_clISt17integral_constantIbLb1EEST_IbLb0EEEEDaSP_SQ_EUlSP_E_NS1_11comp_targetILNS1_3genE9ELNS1_11target_archE1100ELNS1_3gpuE3ELNS1_3repE0EEENS1_30default_config_static_selectorELNS0_4arch9wavefront6targetE1EEEvT1_
	.globl	_ZN7rocprim17ROCPRIM_400000_NS6detail17trampoline_kernelINS0_14default_configENS1_20scan_config_selectorIiEEZZNS1_9scan_implILNS1_25lookback_scan_determinismE0ELb0ELb0ES3_N6thrust23THRUST_200600_302600_NS6detail15normal_iteratorINS9_10device_ptrIiEEEESE_i19const_ref_plus_mod3IiEiEEDaPvRmT3_T4_T5_mT6_P12ihipStream_tbENKUlT_T0_E_clISt17integral_constantIbLb1EEST_IbLb0EEEEDaSP_SQ_EUlSP_E_NS1_11comp_targetILNS1_3genE9ELNS1_11target_archE1100ELNS1_3gpuE3ELNS1_3repE0EEENS1_30default_config_static_selectorELNS0_4arch9wavefront6targetE1EEEvT1_
	.p2align	8
	.type	_ZN7rocprim17ROCPRIM_400000_NS6detail17trampoline_kernelINS0_14default_configENS1_20scan_config_selectorIiEEZZNS1_9scan_implILNS1_25lookback_scan_determinismE0ELb0ELb0ES3_N6thrust23THRUST_200600_302600_NS6detail15normal_iteratorINS9_10device_ptrIiEEEESE_i19const_ref_plus_mod3IiEiEEDaPvRmT3_T4_T5_mT6_P12ihipStream_tbENKUlT_T0_E_clISt17integral_constantIbLb1EEST_IbLb0EEEEDaSP_SQ_EUlSP_E_NS1_11comp_targetILNS1_3genE9ELNS1_11target_archE1100ELNS1_3gpuE3ELNS1_3repE0EEENS1_30default_config_static_selectorELNS0_4arch9wavefront6targetE1EEEvT1_,@function
_ZN7rocprim17ROCPRIM_400000_NS6detail17trampoline_kernelINS0_14default_configENS1_20scan_config_selectorIiEEZZNS1_9scan_implILNS1_25lookback_scan_determinismE0ELb0ELb0ES3_N6thrust23THRUST_200600_302600_NS6detail15normal_iteratorINS9_10device_ptrIiEEEESE_i19const_ref_plus_mod3IiEiEEDaPvRmT3_T4_T5_mT6_P12ihipStream_tbENKUlT_T0_E_clISt17integral_constantIbLb1EEST_IbLb0EEEEDaSP_SQ_EUlSP_E_NS1_11comp_targetILNS1_3genE9ELNS1_11target_archE1100ELNS1_3gpuE3ELNS1_3repE0EEENS1_30default_config_static_selectorELNS0_4arch9wavefront6targetE1EEEvT1_: ; @_ZN7rocprim17ROCPRIM_400000_NS6detail17trampoline_kernelINS0_14default_configENS1_20scan_config_selectorIiEEZZNS1_9scan_implILNS1_25lookback_scan_determinismE0ELb0ELb0ES3_N6thrust23THRUST_200600_302600_NS6detail15normal_iteratorINS9_10device_ptrIiEEEESE_i19const_ref_plus_mod3IiEiEEDaPvRmT3_T4_T5_mT6_P12ihipStream_tbENKUlT_T0_E_clISt17integral_constantIbLb1EEST_IbLb0EEEEDaSP_SQ_EUlSP_E_NS1_11comp_targetILNS1_3genE9ELNS1_11target_archE1100ELNS1_3gpuE3ELNS1_3repE0EEENS1_30default_config_static_selectorELNS0_4arch9wavefront6targetE1EEEvT1_
; %bb.0:
	.section	.rodata,"a",@progbits
	.p2align	6, 0x0
	.amdhsa_kernel _ZN7rocprim17ROCPRIM_400000_NS6detail17trampoline_kernelINS0_14default_configENS1_20scan_config_selectorIiEEZZNS1_9scan_implILNS1_25lookback_scan_determinismE0ELb0ELb0ES3_N6thrust23THRUST_200600_302600_NS6detail15normal_iteratorINS9_10device_ptrIiEEEESE_i19const_ref_plus_mod3IiEiEEDaPvRmT3_T4_T5_mT6_P12ihipStream_tbENKUlT_T0_E_clISt17integral_constantIbLb1EEST_IbLb0EEEEDaSP_SQ_EUlSP_E_NS1_11comp_targetILNS1_3genE9ELNS1_11target_archE1100ELNS1_3gpuE3ELNS1_3repE0EEENS1_30default_config_static_selectorELNS0_4arch9wavefront6targetE1EEEvT1_
		.amdhsa_group_segment_fixed_size 0
		.amdhsa_private_segment_fixed_size 0
		.amdhsa_kernarg_size 104
		.amdhsa_user_sgpr_count 6
		.amdhsa_user_sgpr_private_segment_buffer 1
		.amdhsa_user_sgpr_dispatch_ptr 0
		.amdhsa_user_sgpr_queue_ptr 0
		.amdhsa_user_sgpr_kernarg_segment_ptr 1
		.amdhsa_user_sgpr_dispatch_id 0
		.amdhsa_user_sgpr_flat_scratch_init 0
		.amdhsa_user_sgpr_kernarg_preload_length 0
		.amdhsa_user_sgpr_kernarg_preload_offset 0
		.amdhsa_user_sgpr_private_segment_size 0
		.amdhsa_uses_dynamic_stack 0
		.amdhsa_system_sgpr_private_segment_wavefront_offset 0
		.amdhsa_system_sgpr_workgroup_id_x 1
		.amdhsa_system_sgpr_workgroup_id_y 0
		.amdhsa_system_sgpr_workgroup_id_z 0
		.amdhsa_system_sgpr_workgroup_info 0
		.amdhsa_system_vgpr_workitem_id 0
		.amdhsa_next_free_vgpr 1
		.amdhsa_next_free_sgpr 0
		.amdhsa_accum_offset 4
		.amdhsa_reserve_vcc 0
		.amdhsa_reserve_flat_scratch 0
		.amdhsa_float_round_mode_32 0
		.amdhsa_float_round_mode_16_64 0
		.amdhsa_float_denorm_mode_32 3
		.amdhsa_float_denorm_mode_16_64 3
		.amdhsa_dx10_clamp 1
		.amdhsa_ieee_mode 1
		.amdhsa_fp16_overflow 0
		.amdhsa_tg_split 0
		.amdhsa_exception_fp_ieee_invalid_op 0
		.amdhsa_exception_fp_denorm_src 0
		.amdhsa_exception_fp_ieee_div_zero 0
		.amdhsa_exception_fp_ieee_overflow 0
		.amdhsa_exception_fp_ieee_underflow 0
		.amdhsa_exception_fp_ieee_inexact 0
		.amdhsa_exception_int_div_zero 0
	.end_amdhsa_kernel
	.section	.text._ZN7rocprim17ROCPRIM_400000_NS6detail17trampoline_kernelINS0_14default_configENS1_20scan_config_selectorIiEEZZNS1_9scan_implILNS1_25lookback_scan_determinismE0ELb0ELb0ES3_N6thrust23THRUST_200600_302600_NS6detail15normal_iteratorINS9_10device_ptrIiEEEESE_i19const_ref_plus_mod3IiEiEEDaPvRmT3_T4_T5_mT6_P12ihipStream_tbENKUlT_T0_E_clISt17integral_constantIbLb1EEST_IbLb0EEEEDaSP_SQ_EUlSP_E_NS1_11comp_targetILNS1_3genE9ELNS1_11target_archE1100ELNS1_3gpuE3ELNS1_3repE0EEENS1_30default_config_static_selectorELNS0_4arch9wavefront6targetE1EEEvT1_,"axG",@progbits,_ZN7rocprim17ROCPRIM_400000_NS6detail17trampoline_kernelINS0_14default_configENS1_20scan_config_selectorIiEEZZNS1_9scan_implILNS1_25lookback_scan_determinismE0ELb0ELb0ES3_N6thrust23THRUST_200600_302600_NS6detail15normal_iteratorINS9_10device_ptrIiEEEESE_i19const_ref_plus_mod3IiEiEEDaPvRmT3_T4_T5_mT6_P12ihipStream_tbENKUlT_T0_E_clISt17integral_constantIbLb1EEST_IbLb0EEEEDaSP_SQ_EUlSP_E_NS1_11comp_targetILNS1_3genE9ELNS1_11target_archE1100ELNS1_3gpuE3ELNS1_3repE0EEENS1_30default_config_static_selectorELNS0_4arch9wavefront6targetE1EEEvT1_,comdat
.Lfunc_end7023:
	.size	_ZN7rocprim17ROCPRIM_400000_NS6detail17trampoline_kernelINS0_14default_configENS1_20scan_config_selectorIiEEZZNS1_9scan_implILNS1_25lookback_scan_determinismE0ELb0ELb0ES3_N6thrust23THRUST_200600_302600_NS6detail15normal_iteratorINS9_10device_ptrIiEEEESE_i19const_ref_plus_mod3IiEiEEDaPvRmT3_T4_T5_mT6_P12ihipStream_tbENKUlT_T0_E_clISt17integral_constantIbLb1EEST_IbLb0EEEEDaSP_SQ_EUlSP_E_NS1_11comp_targetILNS1_3genE9ELNS1_11target_archE1100ELNS1_3gpuE3ELNS1_3repE0EEENS1_30default_config_static_selectorELNS0_4arch9wavefront6targetE1EEEvT1_, .Lfunc_end7023-_ZN7rocprim17ROCPRIM_400000_NS6detail17trampoline_kernelINS0_14default_configENS1_20scan_config_selectorIiEEZZNS1_9scan_implILNS1_25lookback_scan_determinismE0ELb0ELb0ES3_N6thrust23THRUST_200600_302600_NS6detail15normal_iteratorINS9_10device_ptrIiEEEESE_i19const_ref_plus_mod3IiEiEEDaPvRmT3_T4_T5_mT6_P12ihipStream_tbENKUlT_T0_E_clISt17integral_constantIbLb1EEST_IbLb0EEEEDaSP_SQ_EUlSP_E_NS1_11comp_targetILNS1_3genE9ELNS1_11target_archE1100ELNS1_3gpuE3ELNS1_3repE0EEENS1_30default_config_static_selectorELNS0_4arch9wavefront6targetE1EEEvT1_
                                        ; -- End function
	.section	.AMDGPU.csdata,"",@progbits
; Kernel info:
; codeLenInByte = 0
; NumSgprs: 4
; NumVgprs: 0
; NumAgprs: 0
; TotalNumVgprs: 0
; ScratchSize: 0
; MemoryBound: 0
; FloatMode: 240
; IeeeMode: 1
; LDSByteSize: 0 bytes/workgroup (compile time only)
; SGPRBlocks: 0
; VGPRBlocks: 0
; NumSGPRsForWavesPerEU: 4
; NumVGPRsForWavesPerEU: 1
; AccumOffset: 4
; Occupancy: 8
; WaveLimiterHint : 0
; COMPUTE_PGM_RSRC2:SCRATCH_EN: 0
; COMPUTE_PGM_RSRC2:USER_SGPR: 6
; COMPUTE_PGM_RSRC2:TRAP_HANDLER: 0
; COMPUTE_PGM_RSRC2:TGID_X_EN: 1
; COMPUTE_PGM_RSRC2:TGID_Y_EN: 0
; COMPUTE_PGM_RSRC2:TGID_Z_EN: 0
; COMPUTE_PGM_RSRC2:TIDIG_COMP_CNT: 0
; COMPUTE_PGM_RSRC3_GFX90A:ACCUM_OFFSET: 0
; COMPUTE_PGM_RSRC3_GFX90A:TG_SPLIT: 0
	.section	.text._ZN7rocprim17ROCPRIM_400000_NS6detail17trampoline_kernelINS0_14default_configENS1_20scan_config_selectorIiEEZZNS1_9scan_implILNS1_25lookback_scan_determinismE0ELb0ELb0ES3_N6thrust23THRUST_200600_302600_NS6detail15normal_iteratorINS9_10device_ptrIiEEEESE_i19const_ref_plus_mod3IiEiEEDaPvRmT3_T4_T5_mT6_P12ihipStream_tbENKUlT_T0_E_clISt17integral_constantIbLb1EEST_IbLb0EEEEDaSP_SQ_EUlSP_E_NS1_11comp_targetILNS1_3genE8ELNS1_11target_archE1030ELNS1_3gpuE2ELNS1_3repE0EEENS1_30default_config_static_selectorELNS0_4arch9wavefront6targetE1EEEvT1_,"axG",@progbits,_ZN7rocprim17ROCPRIM_400000_NS6detail17trampoline_kernelINS0_14default_configENS1_20scan_config_selectorIiEEZZNS1_9scan_implILNS1_25lookback_scan_determinismE0ELb0ELb0ES3_N6thrust23THRUST_200600_302600_NS6detail15normal_iteratorINS9_10device_ptrIiEEEESE_i19const_ref_plus_mod3IiEiEEDaPvRmT3_T4_T5_mT6_P12ihipStream_tbENKUlT_T0_E_clISt17integral_constantIbLb1EEST_IbLb0EEEEDaSP_SQ_EUlSP_E_NS1_11comp_targetILNS1_3genE8ELNS1_11target_archE1030ELNS1_3gpuE2ELNS1_3repE0EEENS1_30default_config_static_selectorELNS0_4arch9wavefront6targetE1EEEvT1_,comdat
	.protected	_ZN7rocprim17ROCPRIM_400000_NS6detail17trampoline_kernelINS0_14default_configENS1_20scan_config_selectorIiEEZZNS1_9scan_implILNS1_25lookback_scan_determinismE0ELb0ELb0ES3_N6thrust23THRUST_200600_302600_NS6detail15normal_iteratorINS9_10device_ptrIiEEEESE_i19const_ref_plus_mod3IiEiEEDaPvRmT3_T4_T5_mT6_P12ihipStream_tbENKUlT_T0_E_clISt17integral_constantIbLb1EEST_IbLb0EEEEDaSP_SQ_EUlSP_E_NS1_11comp_targetILNS1_3genE8ELNS1_11target_archE1030ELNS1_3gpuE2ELNS1_3repE0EEENS1_30default_config_static_selectorELNS0_4arch9wavefront6targetE1EEEvT1_ ; -- Begin function _ZN7rocprim17ROCPRIM_400000_NS6detail17trampoline_kernelINS0_14default_configENS1_20scan_config_selectorIiEEZZNS1_9scan_implILNS1_25lookback_scan_determinismE0ELb0ELb0ES3_N6thrust23THRUST_200600_302600_NS6detail15normal_iteratorINS9_10device_ptrIiEEEESE_i19const_ref_plus_mod3IiEiEEDaPvRmT3_T4_T5_mT6_P12ihipStream_tbENKUlT_T0_E_clISt17integral_constantIbLb1EEST_IbLb0EEEEDaSP_SQ_EUlSP_E_NS1_11comp_targetILNS1_3genE8ELNS1_11target_archE1030ELNS1_3gpuE2ELNS1_3repE0EEENS1_30default_config_static_selectorELNS0_4arch9wavefront6targetE1EEEvT1_
	.globl	_ZN7rocprim17ROCPRIM_400000_NS6detail17trampoline_kernelINS0_14default_configENS1_20scan_config_selectorIiEEZZNS1_9scan_implILNS1_25lookback_scan_determinismE0ELb0ELb0ES3_N6thrust23THRUST_200600_302600_NS6detail15normal_iteratorINS9_10device_ptrIiEEEESE_i19const_ref_plus_mod3IiEiEEDaPvRmT3_T4_T5_mT6_P12ihipStream_tbENKUlT_T0_E_clISt17integral_constantIbLb1EEST_IbLb0EEEEDaSP_SQ_EUlSP_E_NS1_11comp_targetILNS1_3genE8ELNS1_11target_archE1030ELNS1_3gpuE2ELNS1_3repE0EEENS1_30default_config_static_selectorELNS0_4arch9wavefront6targetE1EEEvT1_
	.p2align	8
	.type	_ZN7rocprim17ROCPRIM_400000_NS6detail17trampoline_kernelINS0_14default_configENS1_20scan_config_selectorIiEEZZNS1_9scan_implILNS1_25lookback_scan_determinismE0ELb0ELb0ES3_N6thrust23THRUST_200600_302600_NS6detail15normal_iteratorINS9_10device_ptrIiEEEESE_i19const_ref_plus_mod3IiEiEEDaPvRmT3_T4_T5_mT6_P12ihipStream_tbENKUlT_T0_E_clISt17integral_constantIbLb1EEST_IbLb0EEEEDaSP_SQ_EUlSP_E_NS1_11comp_targetILNS1_3genE8ELNS1_11target_archE1030ELNS1_3gpuE2ELNS1_3repE0EEENS1_30default_config_static_selectorELNS0_4arch9wavefront6targetE1EEEvT1_,@function
_ZN7rocprim17ROCPRIM_400000_NS6detail17trampoline_kernelINS0_14default_configENS1_20scan_config_selectorIiEEZZNS1_9scan_implILNS1_25lookback_scan_determinismE0ELb0ELb0ES3_N6thrust23THRUST_200600_302600_NS6detail15normal_iteratorINS9_10device_ptrIiEEEESE_i19const_ref_plus_mod3IiEiEEDaPvRmT3_T4_T5_mT6_P12ihipStream_tbENKUlT_T0_E_clISt17integral_constantIbLb1EEST_IbLb0EEEEDaSP_SQ_EUlSP_E_NS1_11comp_targetILNS1_3genE8ELNS1_11target_archE1030ELNS1_3gpuE2ELNS1_3repE0EEENS1_30default_config_static_selectorELNS0_4arch9wavefront6targetE1EEEvT1_: ; @_ZN7rocprim17ROCPRIM_400000_NS6detail17trampoline_kernelINS0_14default_configENS1_20scan_config_selectorIiEEZZNS1_9scan_implILNS1_25lookback_scan_determinismE0ELb0ELb0ES3_N6thrust23THRUST_200600_302600_NS6detail15normal_iteratorINS9_10device_ptrIiEEEESE_i19const_ref_plus_mod3IiEiEEDaPvRmT3_T4_T5_mT6_P12ihipStream_tbENKUlT_T0_E_clISt17integral_constantIbLb1EEST_IbLb0EEEEDaSP_SQ_EUlSP_E_NS1_11comp_targetILNS1_3genE8ELNS1_11target_archE1030ELNS1_3gpuE2ELNS1_3repE0EEENS1_30default_config_static_selectorELNS0_4arch9wavefront6targetE1EEEvT1_
; %bb.0:
	.section	.rodata,"a",@progbits
	.p2align	6, 0x0
	.amdhsa_kernel _ZN7rocprim17ROCPRIM_400000_NS6detail17trampoline_kernelINS0_14default_configENS1_20scan_config_selectorIiEEZZNS1_9scan_implILNS1_25lookback_scan_determinismE0ELb0ELb0ES3_N6thrust23THRUST_200600_302600_NS6detail15normal_iteratorINS9_10device_ptrIiEEEESE_i19const_ref_plus_mod3IiEiEEDaPvRmT3_T4_T5_mT6_P12ihipStream_tbENKUlT_T0_E_clISt17integral_constantIbLb1EEST_IbLb0EEEEDaSP_SQ_EUlSP_E_NS1_11comp_targetILNS1_3genE8ELNS1_11target_archE1030ELNS1_3gpuE2ELNS1_3repE0EEENS1_30default_config_static_selectorELNS0_4arch9wavefront6targetE1EEEvT1_
		.amdhsa_group_segment_fixed_size 0
		.amdhsa_private_segment_fixed_size 0
		.amdhsa_kernarg_size 104
		.amdhsa_user_sgpr_count 6
		.amdhsa_user_sgpr_private_segment_buffer 1
		.amdhsa_user_sgpr_dispatch_ptr 0
		.amdhsa_user_sgpr_queue_ptr 0
		.amdhsa_user_sgpr_kernarg_segment_ptr 1
		.amdhsa_user_sgpr_dispatch_id 0
		.amdhsa_user_sgpr_flat_scratch_init 0
		.amdhsa_user_sgpr_kernarg_preload_length 0
		.amdhsa_user_sgpr_kernarg_preload_offset 0
		.amdhsa_user_sgpr_private_segment_size 0
		.amdhsa_uses_dynamic_stack 0
		.amdhsa_system_sgpr_private_segment_wavefront_offset 0
		.amdhsa_system_sgpr_workgroup_id_x 1
		.amdhsa_system_sgpr_workgroup_id_y 0
		.amdhsa_system_sgpr_workgroup_id_z 0
		.amdhsa_system_sgpr_workgroup_info 0
		.amdhsa_system_vgpr_workitem_id 0
		.amdhsa_next_free_vgpr 1
		.amdhsa_next_free_sgpr 0
		.amdhsa_accum_offset 4
		.amdhsa_reserve_vcc 0
		.amdhsa_reserve_flat_scratch 0
		.amdhsa_float_round_mode_32 0
		.amdhsa_float_round_mode_16_64 0
		.amdhsa_float_denorm_mode_32 3
		.amdhsa_float_denorm_mode_16_64 3
		.amdhsa_dx10_clamp 1
		.amdhsa_ieee_mode 1
		.amdhsa_fp16_overflow 0
		.amdhsa_tg_split 0
		.amdhsa_exception_fp_ieee_invalid_op 0
		.amdhsa_exception_fp_denorm_src 0
		.amdhsa_exception_fp_ieee_div_zero 0
		.amdhsa_exception_fp_ieee_overflow 0
		.amdhsa_exception_fp_ieee_underflow 0
		.amdhsa_exception_fp_ieee_inexact 0
		.amdhsa_exception_int_div_zero 0
	.end_amdhsa_kernel
	.section	.text._ZN7rocprim17ROCPRIM_400000_NS6detail17trampoline_kernelINS0_14default_configENS1_20scan_config_selectorIiEEZZNS1_9scan_implILNS1_25lookback_scan_determinismE0ELb0ELb0ES3_N6thrust23THRUST_200600_302600_NS6detail15normal_iteratorINS9_10device_ptrIiEEEESE_i19const_ref_plus_mod3IiEiEEDaPvRmT3_T4_T5_mT6_P12ihipStream_tbENKUlT_T0_E_clISt17integral_constantIbLb1EEST_IbLb0EEEEDaSP_SQ_EUlSP_E_NS1_11comp_targetILNS1_3genE8ELNS1_11target_archE1030ELNS1_3gpuE2ELNS1_3repE0EEENS1_30default_config_static_selectorELNS0_4arch9wavefront6targetE1EEEvT1_,"axG",@progbits,_ZN7rocprim17ROCPRIM_400000_NS6detail17trampoline_kernelINS0_14default_configENS1_20scan_config_selectorIiEEZZNS1_9scan_implILNS1_25lookback_scan_determinismE0ELb0ELb0ES3_N6thrust23THRUST_200600_302600_NS6detail15normal_iteratorINS9_10device_ptrIiEEEESE_i19const_ref_plus_mod3IiEiEEDaPvRmT3_T4_T5_mT6_P12ihipStream_tbENKUlT_T0_E_clISt17integral_constantIbLb1EEST_IbLb0EEEEDaSP_SQ_EUlSP_E_NS1_11comp_targetILNS1_3genE8ELNS1_11target_archE1030ELNS1_3gpuE2ELNS1_3repE0EEENS1_30default_config_static_selectorELNS0_4arch9wavefront6targetE1EEEvT1_,comdat
.Lfunc_end7024:
	.size	_ZN7rocprim17ROCPRIM_400000_NS6detail17trampoline_kernelINS0_14default_configENS1_20scan_config_selectorIiEEZZNS1_9scan_implILNS1_25lookback_scan_determinismE0ELb0ELb0ES3_N6thrust23THRUST_200600_302600_NS6detail15normal_iteratorINS9_10device_ptrIiEEEESE_i19const_ref_plus_mod3IiEiEEDaPvRmT3_T4_T5_mT6_P12ihipStream_tbENKUlT_T0_E_clISt17integral_constantIbLb1EEST_IbLb0EEEEDaSP_SQ_EUlSP_E_NS1_11comp_targetILNS1_3genE8ELNS1_11target_archE1030ELNS1_3gpuE2ELNS1_3repE0EEENS1_30default_config_static_selectorELNS0_4arch9wavefront6targetE1EEEvT1_, .Lfunc_end7024-_ZN7rocprim17ROCPRIM_400000_NS6detail17trampoline_kernelINS0_14default_configENS1_20scan_config_selectorIiEEZZNS1_9scan_implILNS1_25lookback_scan_determinismE0ELb0ELb0ES3_N6thrust23THRUST_200600_302600_NS6detail15normal_iteratorINS9_10device_ptrIiEEEESE_i19const_ref_plus_mod3IiEiEEDaPvRmT3_T4_T5_mT6_P12ihipStream_tbENKUlT_T0_E_clISt17integral_constantIbLb1EEST_IbLb0EEEEDaSP_SQ_EUlSP_E_NS1_11comp_targetILNS1_3genE8ELNS1_11target_archE1030ELNS1_3gpuE2ELNS1_3repE0EEENS1_30default_config_static_selectorELNS0_4arch9wavefront6targetE1EEEvT1_
                                        ; -- End function
	.section	.AMDGPU.csdata,"",@progbits
; Kernel info:
; codeLenInByte = 0
; NumSgprs: 4
; NumVgprs: 0
; NumAgprs: 0
; TotalNumVgprs: 0
; ScratchSize: 0
; MemoryBound: 0
; FloatMode: 240
; IeeeMode: 1
; LDSByteSize: 0 bytes/workgroup (compile time only)
; SGPRBlocks: 0
; VGPRBlocks: 0
; NumSGPRsForWavesPerEU: 4
; NumVGPRsForWavesPerEU: 1
; AccumOffset: 4
; Occupancy: 8
; WaveLimiterHint : 0
; COMPUTE_PGM_RSRC2:SCRATCH_EN: 0
; COMPUTE_PGM_RSRC2:USER_SGPR: 6
; COMPUTE_PGM_RSRC2:TRAP_HANDLER: 0
; COMPUTE_PGM_RSRC2:TGID_X_EN: 1
; COMPUTE_PGM_RSRC2:TGID_Y_EN: 0
; COMPUTE_PGM_RSRC2:TGID_Z_EN: 0
; COMPUTE_PGM_RSRC2:TIDIG_COMP_CNT: 0
; COMPUTE_PGM_RSRC3_GFX90A:ACCUM_OFFSET: 0
; COMPUTE_PGM_RSRC3_GFX90A:TG_SPLIT: 0
	.section	.text._ZN7rocprim17ROCPRIM_400000_NS6detail17trampoline_kernelINS0_14default_configENS1_20scan_config_selectorIiEEZZNS1_9scan_implILNS1_25lookback_scan_determinismE0ELb0ELb0ES3_N6thrust23THRUST_200600_302600_NS6detail15normal_iteratorINS9_10device_ptrIiEEEESE_i19const_ref_plus_mod3IiEiEEDaPvRmT3_T4_T5_mT6_P12ihipStream_tbENKUlT_T0_E_clISt17integral_constantIbLb1EEST_IbLb0EEEEDaSP_SQ_EUlSP_E0_NS1_11comp_targetILNS1_3genE0ELNS1_11target_archE4294967295ELNS1_3gpuE0ELNS1_3repE0EEENS1_30default_config_static_selectorELNS0_4arch9wavefront6targetE1EEEvT1_,"axG",@progbits,_ZN7rocprim17ROCPRIM_400000_NS6detail17trampoline_kernelINS0_14default_configENS1_20scan_config_selectorIiEEZZNS1_9scan_implILNS1_25lookback_scan_determinismE0ELb0ELb0ES3_N6thrust23THRUST_200600_302600_NS6detail15normal_iteratorINS9_10device_ptrIiEEEESE_i19const_ref_plus_mod3IiEiEEDaPvRmT3_T4_T5_mT6_P12ihipStream_tbENKUlT_T0_E_clISt17integral_constantIbLb1EEST_IbLb0EEEEDaSP_SQ_EUlSP_E0_NS1_11comp_targetILNS1_3genE0ELNS1_11target_archE4294967295ELNS1_3gpuE0ELNS1_3repE0EEENS1_30default_config_static_selectorELNS0_4arch9wavefront6targetE1EEEvT1_,comdat
	.protected	_ZN7rocprim17ROCPRIM_400000_NS6detail17trampoline_kernelINS0_14default_configENS1_20scan_config_selectorIiEEZZNS1_9scan_implILNS1_25lookback_scan_determinismE0ELb0ELb0ES3_N6thrust23THRUST_200600_302600_NS6detail15normal_iteratorINS9_10device_ptrIiEEEESE_i19const_ref_plus_mod3IiEiEEDaPvRmT3_T4_T5_mT6_P12ihipStream_tbENKUlT_T0_E_clISt17integral_constantIbLb1EEST_IbLb0EEEEDaSP_SQ_EUlSP_E0_NS1_11comp_targetILNS1_3genE0ELNS1_11target_archE4294967295ELNS1_3gpuE0ELNS1_3repE0EEENS1_30default_config_static_selectorELNS0_4arch9wavefront6targetE1EEEvT1_ ; -- Begin function _ZN7rocprim17ROCPRIM_400000_NS6detail17trampoline_kernelINS0_14default_configENS1_20scan_config_selectorIiEEZZNS1_9scan_implILNS1_25lookback_scan_determinismE0ELb0ELb0ES3_N6thrust23THRUST_200600_302600_NS6detail15normal_iteratorINS9_10device_ptrIiEEEESE_i19const_ref_plus_mod3IiEiEEDaPvRmT3_T4_T5_mT6_P12ihipStream_tbENKUlT_T0_E_clISt17integral_constantIbLb1EEST_IbLb0EEEEDaSP_SQ_EUlSP_E0_NS1_11comp_targetILNS1_3genE0ELNS1_11target_archE4294967295ELNS1_3gpuE0ELNS1_3repE0EEENS1_30default_config_static_selectorELNS0_4arch9wavefront6targetE1EEEvT1_
	.globl	_ZN7rocprim17ROCPRIM_400000_NS6detail17trampoline_kernelINS0_14default_configENS1_20scan_config_selectorIiEEZZNS1_9scan_implILNS1_25lookback_scan_determinismE0ELb0ELb0ES3_N6thrust23THRUST_200600_302600_NS6detail15normal_iteratorINS9_10device_ptrIiEEEESE_i19const_ref_plus_mod3IiEiEEDaPvRmT3_T4_T5_mT6_P12ihipStream_tbENKUlT_T0_E_clISt17integral_constantIbLb1EEST_IbLb0EEEEDaSP_SQ_EUlSP_E0_NS1_11comp_targetILNS1_3genE0ELNS1_11target_archE4294967295ELNS1_3gpuE0ELNS1_3repE0EEENS1_30default_config_static_selectorELNS0_4arch9wavefront6targetE1EEEvT1_
	.p2align	8
	.type	_ZN7rocprim17ROCPRIM_400000_NS6detail17trampoline_kernelINS0_14default_configENS1_20scan_config_selectorIiEEZZNS1_9scan_implILNS1_25lookback_scan_determinismE0ELb0ELb0ES3_N6thrust23THRUST_200600_302600_NS6detail15normal_iteratorINS9_10device_ptrIiEEEESE_i19const_ref_plus_mod3IiEiEEDaPvRmT3_T4_T5_mT6_P12ihipStream_tbENKUlT_T0_E_clISt17integral_constantIbLb1EEST_IbLb0EEEEDaSP_SQ_EUlSP_E0_NS1_11comp_targetILNS1_3genE0ELNS1_11target_archE4294967295ELNS1_3gpuE0ELNS1_3repE0EEENS1_30default_config_static_selectorELNS0_4arch9wavefront6targetE1EEEvT1_,@function
_ZN7rocprim17ROCPRIM_400000_NS6detail17trampoline_kernelINS0_14default_configENS1_20scan_config_selectorIiEEZZNS1_9scan_implILNS1_25lookback_scan_determinismE0ELb0ELb0ES3_N6thrust23THRUST_200600_302600_NS6detail15normal_iteratorINS9_10device_ptrIiEEEESE_i19const_ref_plus_mod3IiEiEEDaPvRmT3_T4_T5_mT6_P12ihipStream_tbENKUlT_T0_E_clISt17integral_constantIbLb1EEST_IbLb0EEEEDaSP_SQ_EUlSP_E0_NS1_11comp_targetILNS1_3genE0ELNS1_11target_archE4294967295ELNS1_3gpuE0ELNS1_3repE0EEENS1_30default_config_static_selectorELNS0_4arch9wavefront6targetE1EEEvT1_: ; @_ZN7rocprim17ROCPRIM_400000_NS6detail17trampoline_kernelINS0_14default_configENS1_20scan_config_selectorIiEEZZNS1_9scan_implILNS1_25lookback_scan_determinismE0ELb0ELb0ES3_N6thrust23THRUST_200600_302600_NS6detail15normal_iteratorINS9_10device_ptrIiEEEESE_i19const_ref_plus_mod3IiEiEEDaPvRmT3_T4_T5_mT6_P12ihipStream_tbENKUlT_T0_E_clISt17integral_constantIbLb1EEST_IbLb0EEEEDaSP_SQ_EUlSP_E0_NS1_11comp_targetILNS1_3genE0ELNS1_11target_archE4294967295ELNS1_3gpuE0ELNS1_3repE0EEENS1_30default_config_static_selectorELNS0_4arch9wavefront6targetE1EEEvT1_
; %bb.0:
	.section	.rodata,"a",@progbits
	.p2align	6, 0x0
	.amdhsa_kernel _ZN7rocprim17ROCPRIM_400000_NS6detail17trampoline_kernelINS0_14default_configENS1_20scan_config_selectorIiEEZZNS1_9scan_implILNS1_25lookback_scan_determinismE0ELb0ELb0ES3_N6thrust23THRUST_200600_302600_NS6detail15normal_iteratorINS9_10device_ptrIiEEEESE_i19const_ref_plus_mod3IiEiEEDaPvRmT3_T4_T5_mT6_P12ihipStream_tbENKUlT_T0_E_clISt17integral_constantIbLb1EEST_IbLb0EEEEDaSP_SQ_EUlSP_E0_NS1_11comp_targetILNS1_3genE0ELNS1_11target_archE4294967295ELNS1_3gpuE0ELNS1_3repE0EEENS1_30default_config_static_selectorELNS0_4arch9wavefront6targetE1EEEvT1_
		.amdhsa_group_segment_fixed_size 0
		.amdhsa_private_segment_fixed_size 0
		.amdhsa_kernarg_size 40
		.amdhsa_user_sgpr_count 6
		.amdhsa_user_sgpr_private_segment_buffer 1
		.amdhsa_user_sgpr_dispatch_ptr 0
		.amdhsa_user_sgpr_queue_ptr 0
		.amdhsa_user_sgpr_kernarg_segment_ptr 1
		.amdhsa_user_sgpr_dispatch_id 0
		.amdhsa_user_sgpr_flat_scratch_init 0
		.amdhsa_user_sgpr_kernarg_preload_length 0
		.amdhsa_user_sgpr_kernarg_preload_offset 0
		.amdhsa_user_sgpr_private_segment_size 0
		.amdhsa_uses_dynamic_stack 0
		.amdhsa_system_sgpr_private_segment_wavefront_offset 0
		.amdhsa_system_sgpr_workgroup_id_x 1
		.amdhsa_system_sgpr_workgroup_id_y 0
		.amdhsa_system_sgpr_workgroup_id_z 0
		.amdhsa_system_sgpr_workgroup_info 0
		.amdhsa_system_vgpr_workitem_id 0
		.amdhsa_next_free_vgpr 1
		.amdhsa_next_free_sgpr 0
		.amdhsa_accum_offset 4
		.amdhsa_reserve_vcc 0
		.amdhsa_reserve_flat_scratch 0
		.amdhsa_float_round_mode_32 0
		.amdhsa_float_round_mode_16_64 0
		.amdhsa_float_denorm_mode_32 3
		.amdhsa_float_denorm_mode_16_64 3
		.amdhsa_dx10_clamp 1
		.amdhsa_ieee_mode 1
		.amdhsa_fp16_overflow 0
		.amdhsa_tg_split 0
		.amdhsa_exception_fp_ieee_invalid_op 0
		.amdhsa_exception_fp_denorm_src 0
		.amdhsa_exception_fp_ieee_div_zero 0
		.amdhsa_exception_fp_ieee_overflow 0
		.amdhsa_exception_fp_ieee_underflow 0
		.amdhsa_exception_fp_ieee_inexact 0
		.amdhsa_exception_int_div_zero 0
	.end_amdhsa_kernel
	.section	.text._ZN7rocprim17ROCPRIM_400000_NS6detail17trampoline_kernelINS0_14default_configENS1_20scan_config_selectorIiEEZZNS1_9scan_implILNS1_25lookback_scan_determinismE0ELb0ELb0ES3_N6thrust23THRUST_200600_302600_NS6detail15normal_iteratorINS9_10device_ptrIiEEEESE_i19const_ref_plus_mod3IiEiEEDaPvRmT3_T4_T5_mT6_P12ihipStream_tbENKUlT_T0_E_clISt17integral_constantIbLb1EEST_IbLb0EEEEDaSP_SQ_EUlSP_E0_NS1_11comp_targetILNS1_3genE0ELNS1_11target_archE4294967295ELNS1_3gpuE0ELNS1_3repE0EEENS1_30default_config_static_selectorELNS0_4arch9wavefront6targetE1EEEvT1_,"axG",@progbits,_ZN7rocprim17ROCPRIM_400000_NS6detail17trampoline_kernelINS0_14default_configENS1_20scan_config_selectorIiEEZZNS1_9scan_implILNS1_25lookback_scan_determinismE0ELb0ELb0ES3_N6thrust23THRUST_200600_302600_NS6detail15normal_iteratorINS9_10device_ptrIiEEEESE_i19const_ref_plus_mod3IiEiEEDaPvRmT3_T4_T5_mT6_P12ihipStream_tbENKUlT_T0_E_clISt17integral_constantIbLb1EEST_IbLb0EEEEDaSP_SQ_EUlSP_E0_NS1_11comp_targetILNS1_3genE0ELNS1_11target_archE4294967295ELNS1_3gpuE0ELNS1_3repE0EEENS1_30default_config_static_selectorELNS0_4arch9wavefront6targetE1EEEvT1_,comdat
.Lfunc_end7025:
	.size	_ZN7rocprim17ROCPRIM_400000_NS6detail17trampoline_kernelINS0_14default_configENS1_20scan_config_selectorIiEEZZNS1_9scan_implILNS1_25lookback_scan_determinismE0ELb0ELb0ES3_N6thrust23THRUST_200600_302600_NS6detail15normal_iteratorINS9_10device_ptrIiEEEESE_i19const_ref_plus_mod3IiEiEEDaPvRmT3_T4_T5_mT6_P12ihipStream_tbENKUlT_T0_E_clISt17integral_constantIbLb1EEST_IbLb0EEEEDaSP_SQ_EUlSP_E0_NS1_11comp_targetILNS1_3genE0ELNS1_11target_archE4294967295ELNS1_3gpuE0ELNS1_3repE0EEENS1_30default_config_static_selectorELNS0_4arch9wavefront6targetE1EEEvT1_, .Lfunc_end7025-_ZN7rocprim17ROCPRIM_400000_NS6detail17trampoline_kernelINS0_14default_configENS1_20scan_config_selectorIiEEZZNS1_9scan_implILNS1_25lookback_scan_determinismE0ELb0ELb0ES3_N6thrust23THRUST_200600_302600_NS6detail15normal_iteratorINS9_10device_ptrIiEEEESE_i19const_ref_plus_mod3IiEiEEDaPvRmT3_T4_T5_mT6_P12ihipStream_tbENKUlT_T0_E_clISt17integral_constantIbLb1EEST_IbLb0EEEEDaSP_SQ_EUlSP_E0_NS1_11comp_targetILNS1_3genE0ELNS1_11target_archE4294967295ELNS1_3gpuE0ELNS1_3repE0EEENS1_30default_config_static_selectorELNS0_4arch9wavefront6targetE1EEEvT1_
                                        ; -- End function
	.section	.AMDGPU.csdata,"",@progbits
; Kernel info:
; codeLenInByte = 0
; NumSgprs: 4
; NumVgprs: 0
; NumAgprs: 0
; TotalNumVgprs: 0
; ScratchSize: 0
; MemoryBound: 0
; FloatMode: 240
; IeeeMode: 1
; LDSByteSize: 0 bytes/workgroup (compile time only)
; SGPRBlocks: 0
; VGPRBlocks: 0
; NumSGPRsForWavesPerEU: 4
; NumVGPRsForWavesPerEU: 1
; AccumOffset: 4
; Occupancy: 8
; WaveLimiterHint : 0
; COMPUTE_PGM_RSRC2:SCRATCH_EN: 0
; COMPUTE_PGM_RSRC2:USER_SGPR: 6
; COMPUTE_PGM_RSRC2:TRAP_HANDLER: 0
; COMPUTE_PGM_RSRC2:TGID_X_EN: 1
; COMPUTE_PGM_RSRC2:TGID_Y_EN: 0
; COMPUTE_PGM_RSRC2:TGID_Z_EN: 0
; COMPUTE_PGM_RSRC2:TIDIG_COMP_CNT: 0
; COMPUTE_PGM_RSRC3_GFX90A:ACCUM_OFFSET: 0
; COMPUTE_PGM_RSRC3_GFX90A:TG_SPLIT: 0
	.section	.text._ZN7rocprim17ROCPRIM_400000_NS6detail17trampoline_kernelINS0_14default_configENS1_20scan_config_selectorIiEEZZNS1_9scan_implILNS1_25lookback_scan_determinismE0ELb0ELb0ES3_N6thrust23THRUST_200600_302600_NS6detail15normal_iteratorINS9_10device_ptrIiEEEESE_i19const_ref_plus_mod3IiEiEEDaPvRmT3_T4_T5_mT6_P12ihipStream_tbENKUlT_T0_E_clISt17integral_constantIbLb1EEST_IbLb0EEEEDaSP_SQ_EUlSP_E0_NS1_11comp_targetILNS1_3genE5ELNS1_11target_archE942ELNS1_3gpuE9ELNS1_3repE0EEENS1_30default_config_static_selectorELNS0_4arch9wavefront6targetE1EEEvT1_,"axG",@progbits,_ZN7rocprim17ROCPRIM_400000_NS6detail17trampoline_kernelINS0_14default_configENS1_20scan_config_selectorIiEEZZNS1_9scan_implILNS1_25lookback_scan_determinismE0ELb0ELb0ES3_N6thrust23THRUST_200600_302600_NS6detail15normal_iteratorINS9_10device_ptrIiEEEESE_i19const_ref_plus_mod3IiEiEEDaPvRmT3_T4_T5_mT6_P12ihipStream_tbENKUlT_T0_E_clISt17integral_constantIbLb1EEST_IbLb0EEEEDaSP_SQ_EUlSP_E0_NS1_11comp_targetILNS1_3genE5ELNS1_11target_archE942ELNS1_3gpuE9ELNS1_3repE0EEENS1_30default_config_static_selectorELNS0_4arch9wavefront6targetE1EEEvT1_,comdat
	.protected	_ZN7rocprim17ROCPRIM_400000_NS6detail17trampoline_kernelINS0_14default_configENS1_20scan_config_selectorIiEEZZNS1_9scan_implILNS1_25lookback_scan_determinismE0ELb0ELb0ES3_N6thrust23THRUST_200600_302600_NS6detail15normal_iteratorINS9_10device_ptrIiEEEESE_i19const_ref_plus_mod3IiEiEEDaPvRmT3_T4_T5_mT6_P12ihipStream_tbENKUlT_T0_E_clISt17integral_constantIbLb1EEST_IbLb0EEEEDaSP_SQ_EUlSP_E0_NS1_11comp_targetILNS1_3genE5ELNS1_11target_archE942ELNS1_3gpuE9ELNS1_3repE0EEENS1_30default_config_static_selectorELNS0_4arch9wavefront6targetE1EEEvT1_ ; -- Begin function _ZN7rocprim17ROCPRIM_400000_NS6detail17trampoline_kernelINS0_14default_configENS1_20scan_config_selectorIiEEZZNS1_9scan_implILNS1_25lookback_scan_determinismE0ELb0ELb0ES3_N6thrust23THRUST_200600_302600_NS6detail15normal_iteratorINS9_10device_ptrIiEEEESE_i19const_ref_plus_mod3IiEiEEDaPvRmT3_T4_T5_mT6_P12ihipStream_tbENKUlT_T0_E_clISt17integral_constantIbLb1EEST_IbLb0EEEEDaSP_SQ_EUlSP_E0_NS1_11comp_targetILNS1_3genE5ELNS1_11target_archE942ELNS1_3gpuE9ELNS1_3repE0EEENS1_30default_config_static_selectorELNS0_4arch9wavefront6targetE1EEEvT1_
	.globl	_ZN7rocprim17ROCPRIM_400000_NS6detail17trampoline_kernelINS0_14default_configENS1_20scan_config_selectorIiEEZZNS1_9scan_implILNS1_25lookback_scan_determinismE0ELb0ELb0ES3_N6thrust23THRUST_200600_302600_NS6detail15normal_iteratorINS9_10device_ptrIiEEEESE_i19const_ref_plus_mod3IiEiEEDaPvRmT3_T4_T5_mT6_P12ihipStream_tbENKUlT_T0_E_clISt17integral_constantIbLb1EEST_IbLb0EEEEDaSP_SQ_EUlSP_E0_NS1_11comp_targetILNS1_3genE5ELNS1_11target_archE942ELNS1_3gpuE9ELNS1_3repE0EEENS1_30default_config_static_selectorELNS0_4arch9wavefront6targetE1EEEvT1_
	.p2align	8
	.type	_ZN7rocprim17ROCPRIM_400000_NS6detail17trampoline_kernelINS0_14default_configENS1_20scan_config_selectorIiEEZZNS1_9scan_implILNS1_25lookback_scan_determinismE0ELb0ELb0ES3_N6thrust23THRUST_200600_302600_NS6detail15normal_iteratorINS9_10device_ptrIiEEEESE_i19const_ref_plus_mod3IiEiEEDaPvRmT3_T4_T5_mT6_P12ihipStream_tbENKUlT_T0_E_clISt17integral_constantIbLb1EEST_IbLb0EEEEDaSP_SQ_EUlSP_E0_NS1_11comp_targetILNS1_3genE5ELNS1_11target_archE942ELNS1_3gpuE9ELNS1_3repE0EEENS1_30default_config_static_selectorELNS0_4arch9wavefront6targetE1EEEvT1_,@function
_ZN7rocprim17ROCPRIM_400000_NS6detail17trampoline_kernelINS0_14default_configENS1_20scan_config_selectorIiEEZZNS1_9scan_implILNS1_25lookback_scan_determinismE0ELb0ELb0ES3_N6thrust23THRUST_200600_302600_NS6detail15normal_iteratorINS9_10device_ptrIiEEEESE_i19const_ref_plus_mod3IiEiEEDaPvRmT3_T4_T5_mT6_P12ihipStream_tbENKUlT_T0_E_clISt17integral_constantIbLb1EEST_IbLb0EEEEDaSP_SQ_EUlSP_E0_NS1_11comp_targetILNS1_3genE5ELNS1_11target_archE942ELNS1_3gpuE9ELNS1_3repE0EEENS1_30default_config_static_selectorELNS0_4arch9wavefront6targetE1EEEvT1_: ; @_ZN7rocprim17ROCPRIM_400000_NS6detail17trampoline_kernelINS0_14default_configENS1_20scan_config_selectorIiEEZZNS1_9scan_implILNS1_25lookback_scan_determinismE0ELb0ELb0ES3_N6thrust23THRUST_200600_302600_NS6detail15normal_iteratorINS9_10device_ptrIiEEEESE_i19const_ref_plus_mod3IiEiEEDaPvRmT3_T4_T5_mT6_P12ihipStream_tbENKUlT_T0_E_clISt17integral_constantIbLb1EEST_IbLb0EEEEDaSP_SQ_EUlSP_E0_NS1_11comp_targetILNS1_3genE5ELNS1_11target_archE942ELNS1_3gpuE9ELNS1_3repE0EEENS1_30default_config_static_selectorELNS0_4arch9wavefront6targetE1EEEvT1_
; %bb.0:
	.section	.rodata,"a",@progbits
	.p2align	6, 0x0
	.amdhsa_kernel _ZN7rocprim17ROCPRIM_400000_NS6detail17trampoline_kernelINS0_14default_configENS1_20scan_config_selectorIiEEZZNS1_9scan_implILNS1_25lookback_scan_determinismE0ELb0ELb0ES3_N6thrust23THRUST_200600_302600_NS6detail15normal_iteratorINS9_10device_ptrIiEEEESE_i19const_ref_plus_mod3IiEiEEDaPvRmT3_T4_T5_mT6_P12ihipStream_tbENKUlT_T0_E_clISt17integral_constantIbLb1EEST_IbLb0EEEEDaSP_SQ_EUlSP_E0_NS1_11comp_targetILNS1_3genE5ELNS1_11target_archE942ELNS1_3gpuE9ELNS1_3repE0EEENS1_30default_config_static_selectorELNS0_4arch9wavefront6targetE1EEEvT1_
		.amdhsa_group_segment_fixed_size 0
		.amdhsa_private_segment_fixed_size 0
		.amdhsa_kernarg_size 40
		.amdhsa_user_sgpr_count 6
		.amdhsa_user_sgpr_private_segment_buffer 1
		.amdhsa_user_sgpr_dispatch_ptr 0
		.amdhsa_user_sgpr_queue_ptr 0
		.amdhsa_user_sgpr_kernarg_segment_ptr 1
		.amdhsa_user_sgpr_dispatch_id 0
		.amdhsa_user_sgpr_flat_scratch_init 0
		.amdhsa_user_sgpr_kernarg_preload_length 0
		.amdhsa_user_sgpr_kernarg_preload_offset 0
		.amdhsa_user_sgpr_private_segment_size 0
		.amdhsa_uses_dynamic_stack 0
		.amdhsa_system_sgpr_private_segment_wavefront_offset 0
		.amdhsa_system_sgpr_workgroup_id_x 1
		.amdhsa_system_sgpr_workgroup_id_y 0
		.amdhsa_system_sgpr_workgroup_id_z 0
		.amdhsa_system_sgpr_workgroup_info 0
		.amdhsa_system_vgpr_workitem_id 0
		.amdhsa_next_free_vgpr 1
		.amdhsa_next_free_sgpr 0
		.amdhsa_accum_offset 4
		.amdhsa_reserve_vcc 0
		.amdhsa_reserve_flat_scratch 0
		.amdhsa_float_round_mode_32 0
		.amdhsa_float_round_mode_16_64 0
		.amdhsa_float_denorm_mode_32 3
		.amdhsa_float_denorm_mode_16_64 3
		.amdhsa_dx10_clamp 1
		.amdhsa_ieee_mode 1
		.amdhsa_fp16_overflow 0
		.amdhsa_tg_split 0
		.amdhsa_exception_fp_ieee_invalid_op 0
		.amdhsa_exception_fp_denorm_src 0
		.amdhsa_exception_fp_ieee_div_zero 0
		.amdhsa_exception_fp_ieee_overflow 0
		.amdhsa_exception_fp_ieee_underflow 0
		.amdhsa_exception_fp_ieee_inexact 0
		.amdhsa_exception_int_div_zero 0
	.end_amdhsa_kernel
	.section	.text._ZN7rocprim17ROCPRIM_400000_NS6detail17trampoline_kernelINS0_14default_configENS1_20scan_config_selectorIiEEZZNS1_9scan_implILNS1_25lookback_scan_determinismE0ELb0ELb0ES3_N6thrust23THRUST_200600_302600_NS6detail15normal_iteratorINS9_10device_ptrIiEEEESE_i19const_ref_plus_mod3IiEiEEDaPvRmT3_T4_T5_mT6_P12ihipStream_tbENKUlT_T0_E_clISt17integral_constantIbLb1EEST_IbLb0EEEEDaSP_SQ_EUlSP_E0_NS1_11comp_targetILNS1_3genE5ELNS1_11target_archE942ELNS1_3gpuE9ELNS1_3repE0EEENS1_30default_config_static_selectorELNS0_4arch9wavefront6targetE1EEEvT1_,"axG",@progbits,_ZN7rocprim17ROCPRIM_400000_NS6detail17trampoline_kernelINS0_14default_configENS1_20scan_config_selectorIiEEZZNS1_9scan_implILNS1_25lookback_scan_determinismE0ELb0ELb0ES3_N6thrust23THRUST_200600_302600_NS6detail15normal_iteratorINS9_10device_ptrIiEEEESE_i19const_ref_plus_mod3IiEiEEDaPvRmT3_T4_T5_mT6_P12ihipStream_tbENKUlT_T0_E_clISt17integral_constantIbLb1EEST_IbLb0EEEEDaSP_SQ_EUlSP_E0_NS1_11comp_targetILNS1_3genE5ELNS1_11target_archE942ELNS1_3gpuE9ELNS1_3repE0EEENS1_30default_config_static_selectorELNS0_4arch9wavefront6targetE1EEEvT1_,comdat
.Lfunc_end7026:
	.size	_ZN7rocprim17ROCPRIM_400000_NS6detail17trampoline_kernelINS0_14default_configENS1_20scan_config_selectorIiEEZZNS1_9scan_implILNS1_25lookback_scan_determinismE0ELb0ELb0ES3_N6thrust23THRUST_200600_302600_NS6detail15normal_iteratorINS9_10device_ptrIiEEEESE_i19const_ref_plus_mod3IiEiEEDaPvRmT3_T4_T5_mT6_P12ihipStream_tbENKUlT_T0_E_clISt17integral_constantIbLb1EEST_IbLb0EEEEDaSP_SQ_EUlSP_E0_NS1_11comp_targetILNS1_3genE5ELNS1_11target_archE942ELNS1_3gpuE9ELNS1_3repE0EEENS1_30default_config_static_selectorELNS0_4arch9wavefront6targetE1EEEvT1_, .Lfunc_end7026-_ZN7rocprim17ROCPRIM_400000_NS6detail17trampoline_kernelINS0_14default_configENS1_20scan_config_selectorIiEEZZNS1_9scan_implILNS1_25lookback_scan_determinismE0ELb0ELb0ES3_N6thrust23THRUST_200600_302600_NS6detail15normal_iteratorINS9_10device_ptrIiEEEESE_i19const_ref_plus_mod3IiEiEEDaPvRmT3_T4_T5_mT6_P12ihipStream_tbENKUlT_T0_E_clISt17integral_constantIbLb1EEST_IbLb0EEEEDaSP_SQ_EUlSP_E0_NS1_11comp_targetILNS1_3genE5ELNS1_11target_archE942ELNS1_3gpuE9ELNS1_3repE0EEENS1_30default_config_static_selectorELNS0_4arch9wavefront6targetE1EEEvT1_
                                        ; -- End function
	.section	.AMDGPU.csdata,"",@progbits
; Kernel info:
; codeLenInByte = 0
; NumSgprs: 4
; NumVgprs: 0
; NumAgprs: 0
; TotalNumVgprs: 0
; ScratchSize: 0
; MemoryBound: 0
; FloatMode: 240
; IeeeMode: 1
; LDSByteSize: 0 bytes/workgroup (compile time only)
; SGPRBlocks: 0
; VGPRBlocks: 0
; NumSGPRsForWavesPerEU: 4
; NumVGPRsForWavesPerEU: 1
; AccumOffset: 4
; Occupancy: 8
; WaveLimiterHint : 0
; COMPUTE_PGM_RSRC2:SCRATCH_EN: 0
; COMPUTE_PGM_RSRC2:USER_SGPR: 6
; COMPUTE_PGM_RSRC2:TRAP_HANDLER: 0
; COMPUTE_PGM_RSRC2:TGID_X_EN: 1
; COMPUTE_PGM_RSRC2:TGID_Y_EN: 0
; COMPUTE_PGM_RSRC2:TGID_Z_EN: 0
; COMPUTE_PGM_RSRC2:TIDIG_COMP_CNT: 0
; COMPUTE_PGM_RSRC3_GFX90A:ACCUM_OFFSET: 0
; COMPUTE_PGM_RSRC3_GFX90A:TG_SPLIT: 0
	.section	.text._ZN7rocprim17ROCPRIM_400000_NS6detail17trampoline_kernelINS0_14default_configENS1_20scan_config_selectorIiEEZZNS1_9scan_implILNS1_25lookback_scan_determinismE0ELb0ELb0ES3_N6thrust23THRUST_200600_302600_NS6detail15normal_iteratorINS9_10device_ptrIiEEEESE_i19const_ref_plus_mod3IiEiEEDaPvRmT3_T4_T5_mT6_P12ihipStream_tbENKUlT_T0_E_clISt17integral_constantIbLb1EEST_IbLb0EEEEDaSP_SQ_EUlSP_E0_NS1_11comp_targetILNS1_3genE4ELNS1_11target_archE910ELNS1_3gpuE8ELNS1_3repE0EEENS1_30default_config_static_selectorELNS0_4arch9wavefront6targetE1EEEvT1_,"axG",@progbits,_ZN7rocprim17ROCPRIM_400000_NS6detail17trampoline_kernelINS0_14default_configENS1_20scan_config_selectorIiEEZZNS1_9scan_implILNS1_25lookback_scan_determinismE0ELb0ELb0ES3_N6thrust23THRUST_200600_302600_NS6detail15normal_iteratorINS9_10device_ptrIiEEEESE_i19const_ref_plus_mod3IiEiEEDaPvRmT3_T4_T5_mT6_P12ihipStream_tbENKUlT_T0_E_clISt17integral_constantIbLb1EEST_IbLb0EEEEDaSP_SQ_EUlSP_E0_NS1_11comp_targetILNS1_3genE4ELNS1_11target_archE910ELNS1_3gpuE8ELNS1_3repE0EEENS1_30default_config_static_selectorELNS0_4arch9wavefront6targetE1EEEvT1_,comdat
	.protected	_ZN7rocprim17ROCPRIM_400000_NS6detail17trampoline_kernelINS0_14default_configENS1_20scan_config_selectorIiEEZZNS1_9scan_implILNS1_25lookback_scan_determinismE0ELb0ELb0ES3_N6thrust23THRUST_200600_302600_NS6detail15normal_iteratorINS9_10device_ptrIiEEEESE_i19const_ref_plus_mod3IiEiEEDaPvRmT3_T4_T5_mT6_P12ihipStream_tbENKUlT_T0_E_clISt17integral_constantIbLb1EEST_IbLb0EEEEDaSP_SQ_EUlSP_E0_NS1_11comp_targetILNS1_3genE4ELNS1_11target_archE910ELNS1_3gpuE8ELNS1_3repE0EEENS1_30default_config_static_selectorELNS0_4arch9wavefront6targetE1EEEvT1_ ; -- Begin function _ZN7rocprim17ROCPRIM_400000_NS6detail17trampoline_kernelINS0_14default_configENS1_20scan_config_selectorIiEEZZNS1_9scan_implILNS1_25lookback_scan_determinismE0ELb0ELb0ES3_N6thrust23THRUST_200600_302600_NS6detail15normal_iteratorINS9_10device_ptrIiEEEESE_i19const_ref_plus_mod3IiEiEEDaPvRmT3_T4_T5_mT6_P12ihipStream_tbENKUlT_T0_E_clISt17integral_constantIbLb1EEST_IbLb0EEEEDaSP_SQ_EUlSP_E0_NS1_11comp_targetILNS1_3genE4ELNS1_11target_archE910ELNS1_3gpuE8ELNS1_3repE0EEENS1_30default_config_static_selectorELNS0_4arch9wavefront6targetE1EEEvT1_
	.globl	_ZN7rocprim17ROCPRIM_400000_NS6detail17trampoline_kernelINS0_14default_configENS1_20scan_config_selectorIiEEZZNS1_9scan_implILNS1_25lookback_scan_determinismE0ELb0ELb0ES3_N6thrust23THRUST_200600_302600_NS6detail15normal_iteratorINS9_10device_ptrIiEEEESE_i19const_ref_plus_mod3IiEiEEDaPvRmT3_T4_T5_mT6_P12ihipStream_tbENKUlT_T0_E_clISt17integral_constantIbLb1EEST_IbLb0EEEEDaSP_SQ_EUlSP_E0_NS1_11comp_targetILNS1_3genE4ELNS1_11target_archE910ELNS1_3gpuE8ELNS1_3repE0EEENS1_30default_config_static_selectorELNS0_4arch9wavefront6targetE1EEEvT1_
	.p2align	8
	.type	_ZN7rocprim17ROCPRIM_400000_NS6detail17trampoline_kernelINS0_14default_configENS1_20scan_config_selectorIiEEZZNS1_9scan_implILNS1_25lookback_scan_determinismE0ELb0ELb0ES3_N6thrust23THRUST_200600_302600_NS6detail15normal_iteratorINS9_10device_ptrIiEEEESE_i19const_ref_plus_mod3IiEiEEDaPvRmT3_T4_T5_mT6_P12ihipStream_tbENKUlT_T0_E_clISt17integral_constantIbLb1EEST_IbLb0EEEEDaSP_SQ_EUlSP_E0_NS1_11comp_targetILNS1_3genE4ELNS1_11target_archE910ELNS1_3gpuE8ELNS1_3repE0EEENS1_30default_config_static_selectorELNS0_4arch9wavefront6targetE1EEEvT1_,@function
_ZN7rocprim17ROCPRIM_400000_NS6detail17trampoline_kernelINS0_14default_configENS1_20scan_config_selectorIiEEZZNS1_9scan_implILNS1_25lookback_scan_determinismE0ELb0ELb0ES3_N6thrust23THRUST_200600_302600_NS6detail15normal_iteratorINS9_10device_ptrIiEEEESE_i19const_ref_plus_mod3IiEiEEDaPvRmT3_T4_T5_mT6_P12ihipStream_tbENKUlT_T0_E_clISt17integral_constantIbLb1EEST_IbLb0EEEEDaSP_SQ_EUlSP_E0_NS1_11comp_targetILNS1_3genE4ELNS1_11target_archE910ELNS1_3gpuE8ELNS1_3repE0EEENS1_30default_config_static_selectorELNS0_4arch9wavefront6targetE1EEEvT1_: ; @_ZN7rocprim17ROCPRIM_400000_NS6detail17trampoline_kernelINS0_14default_configENS1_20scan_config_selectorIiEEZZNS1_9scan_implILNS1_25lookback_scan_determinismE0ELb0ELb0ES3_N6thrust23THRUST_200600_302600_NS6detail15normal_iteratorINS9_10device_ptrIiEEEESE_i19const_ref_plus_mod3IiEiEEDaPvRmT3_T4_T5_mT6_P12ihipStream_tbENKUlT_T0_E_clISt17integral_constantIbLb1EEST_IbLb0EEEEDaSP_SQ_EUlSP_E0_NS1_11comp_targetILNS1_3genE4ELNS1_11target_archE910ELNS1_3gpuE8ELNS1_3repE0EEENS1_30default_config_static_selectorELNS0_4arch9wavefront6targetE1EEEvT1_
; %bb.0:
	s_load_dwordx4 s[24:27], s[4:5], 0x0
	v_lshlrev_b32_e32 v16, 2, v0
	s_waitcnt lgkmcnt(0)
	s_load_dword s27, s[24:25], 0x0
	v_cmp_gt_u32_e32 vcc, s26, v0
	s_waitcnt lgkmcnt(0)
	v_mov_b32_e32 v1, s27
	s_and_saveexec_b64 s[0:1], vcc
	s_cbranch_execz .LBB7027_2
; %bb.1:
	global_load_dword v1, v16, s[24:25]
.LBB7027_2:
	s_or_b64 exec, exec, s[0:1]
	v_or_b32_e32 v2, 0x80, v0
	v_cmp_gt_u32_e64 s[0:1], s26, v2
	v_mov_b32_e32 v2, s27
	s_and_saveexec_b64 s[2:3], s[0:1]
	s_cbranch_execz .LBB7027_4
; %bb.3:
	global_load_dword v2, v16, s[24:25] offset:512
.LBB7027_4:
	s_or_b64 exec, exec, s[2:3]
	v_or_b32_e32 v3, 0x100, v0
	v_cmp_gt_u32_e64 s[2:3], s26, v3
	v_mov_b32_e32 v3, s27
	s_and_saveexec_b64 s[6:7], s[2:3]
	s_cbranch_execz .LBB7027_6
; %bb.5:
	global_load_dword v3, v16, s[24:25] offset:1024
.LBB7027_6:
	;; [unrolled: 9-line block ×7, first 2 shown]
	s_or_b64 exec, exec, s[14:15]
	v_or_b32_e32 v10, 0x400, v0
	v_cmp_gt_u32_e64 s[14:15], s26, v10
	v_mov_b32_e32 v9, s27
	s_and_saveexec_b64 s[16:17], s[14:15]
	s_cbranch_execz .LBB7027_18
; %bb.17:
	v_lshlrev_b32_e32 v9, 2, v10
	global_load_dword v9, v9, s[24:25]
.LBB7027_18:
	s_or_b64 exec, exec, s[16:17]
	s_load_dwordx4 s[20:23], s[4:5], 0x18
	v_or_b32_e32 v11, 0x480, v0
	v_cmp_gt_u32_e64 s[16:17], s26, v11
	v_mov_b32_e32 v10, s27
	s_and_saveexec_b64 s[4:5], s[16:17]
	s_cbranch_execz .LBB7027_20
; %bb.19:
	v_lshlrev_b32_e32 v10, 2, v11
	global_load_dword v10, v10, s[24:25]
.LBB7027_20:
	s_or_b64 exec, exec, s[4:5]
	s_waitcnt vmcnt(0)
	ds_write2st64_b32 v16, v1, v2 offset1:2
	ds_write2st64_b32 v16, v3, v4 offset0:4 offset1:6
	ds_write2st64_b32 v16, v5, v6 offset0:8 offset1:10
	;; [unrolled: 1-line block ×4, first 2 shown]
	v_mad_u32_u24 v1, v0, 36, v16
	s_waitcnt lgkmcnt(0)
	s_barrier
	ds_read2_b64 v[2:5], v1 offset1:1
	ds_read2_b64 v[6:9], v1 offset0:2 offset1:3
	ds_read_b64 v[10:11], v1 offset:32
	v_mov_b32_e32 v1, s21
	s_waitcnt lgkmcnt(0)
	v_add_u32_e32 v12, v3, v2
	v_ashrrev_i32_e32 v13, 31, v12
	v_lshlrev_b64 v[14:15], 2, v[12:13]
	v_add_co_u32_e64 v14, s[4:5], s20, v14
	v_addc_co_u32_e64 v15, s[4:5], v1, v15, s[4:5]
	s_barrier
	global_load_dword v1, v[14:15], off
	v_mov_b32_e32 v17, s21
	s_waitcnt vmcnt(0)
	v_add_u32_e32 v14, v1, v4
	v_ashrrev_i32_e32 v15, 31, v14
	v_lshlrev_b64 v[14:15], 2, v[14:15]
	v_add_co_u32_e64 v14, s[4:5], s20, v14
	v_addc_co_u32_e64 v15, s[4:5], v17, v15, s[4:5]
	global_load_dword v1, v[14:15], off
	s_waitcnt vmcnt(0)
	v_add_u32_e32 v14, v1, v5
	v_ashrrev_i32_e32 v15, 31, v14
	v_lshlrev_b64 v[14:15], 2, v[14:15]
	v_add_co_u32_e64 v14, s[4:5], s20, v14
	v_addc_co_u32_e64 v15, s[4:5], v17, v15, s[4:5]
	global_load_dword v1, v[14:15], off
	;; [unrolled: 7-line block ×8, first 2 shown]
	v_lshrrev_b32_e32 v14, 3, v0
	v_and_b32_e32 v14, 12, v14
	v_add_u32_e32 v14, v16, v14
	v_cmp_gt_u32_e64 s[4:5], 64, v0
	s_waitcnt vmcnt(0)
	ds_write_b32 v14, v1
	s_waitcnt lgkmcnt(0)
	s_barrier
	s_and_saveexec_b64 s[24:25], s[4:5]
	s_cbranch_execz .LBB7027_34
; %bb.21:
	v_lshlrev_b32_e32 v14, 1, v0
	v_lshrrev_b32_e32 v15, 4, v0
	v_add_lshl_u32 v17, v15, v14, 2
	ds_read2_b32 v[14:15], v17 offset1:1
	v_mov_b32_e32 v20, s21
	s_waitcnt lgkmcnt(0)
	v_add_u32_e32 v18, v15, v14
	v_ashrrev_i32_e32 v19, 31, v18
	v_lshlrev_b64 v[18:19], 2, v[18:19]
	v_add_co_u32_e64 v18, s[4:5], s20, v18
	v_addc_co_u32_e64 v19, s[4:5], v20, v19, s[4:5]
	global_load_dword v18, v[18:19], off
	v_mbcnt_lo_u32_b32 v15, -1, 0
	v_mbcnt_hi_u32_b32 v15, -1, v15
	v_and_b32_e32 v19, 15, v15
	v_cmp_ne_u32_e64 s[4:5], 0, v19
	s_waitcnt vmcnt(0)
	v_mov_b32_dpp v20, v18 row_shr:1 row_mask:0xf bank_mask:0xf
	s_and_saveexec_b64 s[26:27], s[4:5]
	s_cbranch_execz .LBB7027_23
; %bb.22:
	v_add_u32_e32 v20, v20, v18
	v_ashrrev_i32_e32 v21, 31, v20
	v_lshlrev_b64 v[20:21], 2, v[20:21]
	v_mov_b32_e32 v18, s21
	v_add_co_u32_e64 v20, s[4:5], s20, v20
	v_addc_co_u32_e64 v21, s[4:5], v18, v21, s[4:5]
	global_load_dword v18, v[20:21], off
.LBB7027_23:
	s_or_b64 exec, exec, s[26:27]
	s_waitcnt vmcnt(0)
	v_mov_b32_dpp v20, v18 row_shr:2 row_mask:0xf bank_mask:0xf
	v_cmp_lt_u32_e64 s[4:5], 1, v19
	s_and_saveexec_b64 s[26:27], s[4:5]
	s_cbranch_execz .LBB7027_25
; %bb.24:
	v_add_u32_e32 v20, v20, v18
	v_ashrrev_i32_e32 v21, 31, v20
	v_lshlrev_b64 v[20:21], 2, v[20:21]
	v_mov_b32_e32 v18, s21
	v_add_co_u32_e64 v20, s[4:5], s20, v20
	v_addc_co_u32_e64 v21, s[4:5], v18, v21, s[4:5]
	global_load_dword v18, v[20:21], off
.LBB7027_25:
	s_or_b64 exec, exec, s[26:27]
	s_waitcnt vmcnt(0)
	v_mov_b32_dpp v20, v18 row_shr:4 row_mask:0xf bank_mask:0xf
	v_cmp_lt_u32_e64 s[4:5], 3, v19
	;; [unrolled: 15-line block ×3, first 2 shown]
	s_and_saveexec_b64 s[26:27], s[4:5]
	s_cbranch_execz .LBB7027_29
; %bb.28:
	v_add_u32_e32 v18, v20, v18
	v_ashrrev_i32_e32 v19, 31, v18
	v_lshlrev_b64 v[18:19], 2, v[18:19]
	v_mov_b32_e32 v20, s21
	v_add_co_u32_e64 v18, s[4:5], s20, v18
	v_addc_co_u32_e64 v19, s[4:5], v20, v19, s[4:5]
	global_load_dword v18, v[18:19], off
.LBB7027_29:
	s_or_b64 exec, exec, s[26:27]
	v_and_b32_e32 v20, 16, v15
	s_waitcnt vmcnt(0)
	v_mov_b32_dpp v19, v18 row_bcast:15 row_mask:0xf bank_mask:0xf
	v_cmp_ne_u32_e64 s[4:5], 0, v20
	s_and_saveexec_b64 s[26:27], s[4:5]
	s_cbranch_execz .LBB7027_31
; %bb.30:
	v_add_u32_e32 v18, v19, v18
	v_ashrrev_i32_e32 v19, 31, v18
	v_lshlrev_b64 v[18:19], 2, v[18:19]
	v_mov_b32_e32 v20, s21
	v_add_co_u32_e64 v18, s[4:5], s20, v18
	v_addc_co_u32_e64 v19, s[4:5], v20, v19, s[4:5]
	global_load_dword v18, v[18:19], off
.LBB7027_31:
	s_or_b64 exec, exec, s[26:27]
	s_waitcnt vmcnt(0)
	v_mov_b32_dpp v19, v18 row_bcast:31 row_mask:0xf bank_mask:0xf
	v_cmp_lt_u32_e64 s[4:5], 31, v15
	s_and_saveexec_b64 s[26:27], s[4:5]
	s_cbranch_execz .LBB7027_33
; %bb.32:
	v_add_u32_e32 v18, v19, v18
	v_ashrrev_i32_e32 v19, 31, v18
	v_lshlrev_b64 v[18:19], 2, v[18:19]
	v_mov_b32_e32 v20, s21
	v_add_co_u32_e64 v18, s[4:5], s20, v18
	v_addc_co_u32_e64 v19, s[4:5], v20, v19, s[4:5]
	global_load_dword v18, v[18:19], off
.LBB7027_33:
	s_or_b64 exec, exec, s[26:27]
	v_add_u32_e32 v19, -1, v15
	v_and_b32_e32 v20, 64, v15
	v_cmp_lt_i32_e64 s[4:5], v19, v20
	v_cndmask_b32_e64 v15, v19, v15, s[4:5]
	v_lshlrev_b32_e32 v15, 2, v15
	s_waitcnt vmcnt(0)
	ds_bpermute_b32 v15, v15, v18
	v_mov_b32_e32 v18, s21
	s_waitcnt lgkmcnt(0)
	v_add_u32_e32 v14, v15, v14
	v_ashrrev_i32_e32 v15, 31, v14
	v_lshlrev_b64 v[14:15], 2, v[14:15]
	v_add_co_u32_e64 v14, s[4:5], s20, v14
	v_addc_co_u32_e64 v15, s[4:5], v18, v15, s[4:5]
	global_load_dword v14, v[14:15], off
	v_cmp_eq_u32_e64 s[4:5], 0, v0
	; wave barrier
	s_waitcnt vmcnt(0)
	v_cndmask_b32_e64 v14, v14, v1, s[4:5]
	ds_write_b32 v17, v14
	; wave barrier
	ds_read_b32 v15, v17 offset:4
	s_waitcnt lgkmcnt(0)
	v_add_u32_e32 v14, v15, v14
	v_ashrrev_i32_e32 v15, 31, v14
	v_lshlrev_b64 v[14:15], 2, v[14:15]
	v_add_co_u32_e64 v14, s[4:5], s20, v14
	v_addc_co_u32_e64 v15, s[4:5], v18, v15, s[4:5]
	global_load_dword v14, v[14:15], off
	s_waitcnt vmcnt(0)
	ds_write_b32 v17, v14 offset:4
.LBB7027_34:
	s_or_b64 exec, exec, s[24:25]
	v_mul_u32_u24_e32 v14, 36, v0
	v_cmp_ne_u32_e64 s[4:5], 0, v0
	s_waitcnt lgkmcnt(0)
	s_barrier
	s_and_saveexec_b64 s[24:25], s[4:5]
	s_cbranch_execz .LBB7027_36
; %bb.35:
	v_add_u32_e32 v0, -1, v0
	v_lshrrev_b32_e32 v1, 5, v0
	v_add_lshl_u32 v0, v1, v0, 2
	ds_read_b32 v1, v0
.LBB7027_36:
	s_or_b64 exec, exec, s[24:25]
	s_and_saveexec_b64 s[24:25], s[4:5]
	s_cbranch_execz .LBB7027_38
; %bb.37:
	s_waitcnt lgkmcnt(0)
	v_add_u32_e32 v0, v1, v2
	v_ashrrev_i32_e32 v1, 31, v0
	v_lshlrev_b64 v[0:1], 2, v[0:1]
	v_mov_b32_e32 v2, s21
	v_add_co_u32_e64 v0, s[4:5], s20, v0
	v_addc_co_u32_e64 v1, s[4:5], v2, v1, s[4:5]
	global_load_dword v2, v[0:1], off
	;;#ASMSTART
	;;#ASMEND
	s_waitcnt vmcnt(0)
	v_add_u32_e32 v12, v2, v3
	v_ashrrev_i32_e32 v13, 31, v12
.LBB7027_38:
	s_or_b64 exec, exec, s[24:25]
	s_waitcnt lgkmcnt(0)
	v_lshlrev_b64 v[0:1], 2, v[12:13]
	v_mov_b32_e32 v3, s21
	v_add_co_u32_e64 v0, s[4:5], s20, v0
	v_addc_co_u32_e64 v1, s[4:5], v3, v1, s[4:5]
	global_load_dword v12, v[0:1], off
	s_waitcnt vmcnt(0)
	v_add_u32_e32 v0, v12, v4
	v_ashrrev_i32_e32 v1, 31, v0
	v_lshlrev_b64 v[0:1], 2, v[0:1]
	v_add_co_u32_e64 v0, s[4:5], s20, v0
	v_addc_co_u32_e64 v1, s[4:5], v3, v1, s[4:5]
	global_load_dword v4, v[0:1], off
	s_waitcnt vmcnt(0)
	v_add_u32_e32 v0, v4, v5
	v_ashrrev_i32_e32 v1, 31, v0
	v_lshlrev_b64 v[0:1], 2, v[0:1]
	;; [unrolled: 7-line block ×8, first 2 shown]
	v_add_co_u32_e64 v0, s[4:5], s20, v0
	v_addc_co_u32_e64 v1, s[4:5], v3, v1, s[4:5]
	global_load_dword v0, v[0:1], off
	v_add_u32_e32 v1, v16, v14
	s_barrier
	ds_write2_b32 v1, v12, v4 offset0:1 offset1:2
	ds_write2_b32 v1, v5, v6 offset0:3 offset1:4
	;; [unrolled: 1-line block ×4, first 2 shown]
	s_waitcnt vmcnt(0)
	ds_write2_b32 v1, v2, v0 offset1:9
	s_waitcnt lgkmcnt(0)
	s_barrier
	ds_read2st64_b32 v[8:9], v16 offset0:2 offset1:4
	ds_read2st64_b32 v[6:7], v16 offset0:6 offset1:8
	ds_read2st64_b32 v[4:5], v16 offset0:10 offset1:12
	ds_read2st64_b32 v[2:3], v16 offset0:14 offset1:16
	ds_read_b32 v10, v16 offset:4608
	v_mov_b32_e32 v1, s23
	v_add_co_u32_e64 v0, s[4:5], s22, v16
	v_addc_co_u32_e64 v1, s[4:5], 0, v1, s[4:5]
	s_and_saveexec_b64 s[4:5], vcc
	s_cbranch_execnz .LBB7027_49
; %bb.39:
	s_or_b64 exec, exec, s[4:5]
	s_and_saveexec_b64 s[4:5], s[0:1]
	s_cbranch_execnz .LBB7027_50
.LBB7027_40:
	s_or_b64 exec, exec, s[4:5]
	s_and_saveexec_b64 s[0:1], s[2:3]
	s_cbranch_execnz .LBB7027_51
.LBB7027_41:
	s_or_b64 exec, exec, s[0:1]
	s_and_saveexec_b64 s[0:1], s[18:19]
	s_cbranch_execnz .LBB7027_52
.LBB7027_42:
	s_or_b64 exec, exec, s[0:1]
	s_and_saveexec_b64 s[0:1], s[6:7]
	s_cbranch_execnz .LBB7027_53
.LBB7027_43:
	s_or_b64 exec, exec, s[0:1]
	s_and_saveexec_b64 s[0:1], s[8:9]
	s_cbranch_execnz .LBB7027_54
.LBB7027_44:
	s_or_b64 exec, exec, s[0:1]
	s_and_saveexec_b64 s[0:1], s[10:11]
	s_cbranch_execnz .LBB7027_55
.LBB7027_45:
	s_or_b64 exec, exec, s[0:1]
	s_and_saveexec_b64 s[0:1], s[12:13]
	s_cbranch_execnz .LBB7027_56
.LBB7027_46:
	s_or_b64 exec, exec, s[0:1]
	s_and_saveexec_b64 s[0:1], s[14:15]
	s_cbranch_execnz .LBB7027_57
.LBB7027_47:
	s_or_b64 exec, exec, s[0:1]
	s_and_saveexec_b64 s[0:1], s[16:17]
	s_cbranch_execnz .LBB7027_58
.LBB7027_48:
	s_endpgm
.LBB7027_49:
	ds_read_b32 v11, v16
	s_waitcnt lgkmcnt(0)
	global_store_dword v[0:1], v11, off
	s_or_b64 exec, exec, s[4:5]
	s_and_saveexec_b64 s[4:5], s[0:1]
	s_cbranch_execz .LBB7027_40
.LBB7027_50:
	s_waitcnt lgkmcnt(4)
	global_store_dword v[0:1], v8, off offset:512
	s_or_b64 exec, exec, s[4:5]
	s_and_saveexec_b64 s[0:1], s[2:3]
	s_cbranch_execz .LBB7027_41
.LBB7027_51:
	s_waitcnt lgkmcnt(4)
	global_store_dword v[0:1], v9, off offset:1024
	s_or_b64 exec, exec, s[0:1]
	s_and_saveexec_b64 s[0:1], s[18:19]
	s_cbranch_execz .LBB7027_42
.LBB7027_52:
	s_waitcnt lgkmcnt(3)
	global_store_dword v[0:1], v6, off offset:1536
	s_or_b64 exec, exec, s[0:1]
	s_and_saveexec_b64 s[0:1], s[6:7]
	s_cbranch_execz .LBB7027_43
.LBB7027_53:
	s_waitcnt lgkmcnt(3)
	global_store_dword v[0:1], v7, off offset:2048
	s_or_b64 exec, exec, s[0:1]
	s_and_saveexec_b64 s[0:1], s[8:9]
	s_cbranch_execz .LBB7027_44
.LBB7027_54:
	s_waitcnt lgkmcnt(2)
	global_store_dword v[0:1], v4, off offset:2560
	s_or_b64 exec, exec, s[0:1]
	s_and_saveexec_b64 s[0:1], s[10:11]
	s_cbranch_execz .LBB7027_45
.LBB7027_55:
	s_waitcnt lgkmcnt(2)
	global_store_dword v[0:1], v5, off offset:3072
	s_or_b64 exec, exec, s[0:1]
	s_and_saveexec_b64 s[0:1], s[12:13]
	s_cbranch_execz .LBB7027_46
.LBB7027_56:
	s_waitcnt lgkmcnt(1)
	global_store_dword v[0:1], v2, off offset:3584
	s_or_b64 exec, exec, s[0:1]
	s_and_saveexec_b64 s[0:1], s[14:15]
	s_cbranch_execz .LBB7027_47
.LBB7027_57:
	s_waitcnt lgkmcnt(2)
	v_add_co_u32_e32 v4, vcc, 0x1000, v0
	v_addc_co_u32_e32 v5, vcc, 0, v1, vcc
	s_waitcnt lgkmcnt(1)
	global_store_dword v[4:5], v3, off
	s_or_b64 exec, exec, s[0:1]
	s_and_saveexec_b64 s[0:1], s[16:17]
	s_cbranch_execz .LBB7027_48
.LBB7027_58:
	v_add_co_u32_e32 v0, vcc, 0x1000, v0
	v_addc_co_u32_e32 v1, vcc, 0, v1, vcc
	s_waitcnt lgkmcnt(0)
	global_store_dword v[0:1], v10, off offset:512
	s_endpgm
	.section	.rodata,"a",@progbits
	.p2align	6, 0x0
	.amdhsa_kernel _ZN7rocprim17ROCPRIM_400000_NS6detail17trampoline_kernelINS0_14default_configENS1_20scan_config_selectorIiEEZZNS1_9scan_implILNS1_25lookback_scan_determinismE0ELb0ELb0ES3_N6thrust23THRUST_200600_302600_NS6detail15normal_iteratorINS9_10device_ptrIiEEEESE_i19const_ref_plus_mod3IiEiEEDaPvRmT3_T4_T5_mT6_P12ihipStream_tbENKUlT_T0_E_clISt17integral_constantIbLb1EEST_IbLb0EEEEDaSP_SQ_EUlSP_E0_NS1_11comp_targetILNS1_3genE4ELNS1_11target_archE910ELNS1_3gpuE8ELNS1_3repE0EEENS1_30default_config_static_selectorELNS0_4arch9wavefront6targetE1EEEvT1_
		.amdhsa_group_segment_fixed_size 5120
		.amdhsa_private_segment_fixed_size 0
		.amdhsa_kernarg_size 40
		.amdhsa_user_sgpr_count 6
		.amdhsa_user_sgpr_private_segment_buffer 1
		.amdhsa_user_sgpr_dispatch_ptr 0
		.amdhsa_user_sgpr_queue_ptr 0
		.amdhsa_user_sgpr_kernarg_segment_ptr 1
		.amdhsa_user_sgpr_dispatch_id 0
		.amdhsa_user_sgpr_flat_scratch_init 0
		.amdhsa_user_sgpr_kernarg_preload_length 0
		.amdhsa_user_sgpr_kernarg_preload_offset 0
		.amdhsa_user_sgpr_private_segment_size 0
		.amdhsa_uses_dynamic_stack 0
		.amdhsa_system_sgpr_private_segment_wavefront_offset 0
		.amdhsa_system_sgpr_workgroup_id_x 1
		.amdhsa_system_sgpr_workgroup_id_y 0
		.amdhsa_system_sgpr_workgroup_id_z 0
		.amdhsa_system_sgpr_workgroup_info 0
		.amdhsa_system_vgpr_workitem_id 0
		.amdhsa_next_free_vgpr 22
		.amdhsa_next_free_sgpr 28
		.amdhsa_accum_offset 24
		.amdhsa_reserve_vcc 1
		.amdhsa_reserve_flat_scratch 0
		.amdhsa_float_round_mode_32 0
		.amdhsa_float_round_mode_16_64 0
		.amdhsa_float_denorm_mode_32 3
		.amdhsa_float_denorm_mode_16_64 3
		.amdhsa_dx10_clamp 1
		.amdhsa_ieee_mode 1
		.amdhsa_fp16_overflow 0
		.amdhsa_tg_split 0
		.amdhsa_exception_fp_ieee_invalid_op 0
		.amdhsa_exception_fp_denorm_src 0
		.amdhsa_exception_fp_ieee_div_zero 0
		.amdhsa_exception_fp_ieee_overflow 0
		.amdhsa_exception_fp_ieee_underflow 0
		.amdhsa_exception_fp_ieee_inexact 0
		.amdhsa_exception_int_div_zero 0
	.end_amdhsa_kernel
	.section	.text._ZN7rocprim17ROCPRIM_400000_NS6detail17trampoline_kernelINS0_14default_configENS1_20scan_config_selectorIiEEZZNS1_9scan_implILNS1_25lookback_scan_determinismE0ELb0ELb0ES3_N6thrust23THRUST_200600_302600_NS6detail15normal_iteratorINS9_10device_ptrIiEEEESE_i19const_ref_plus_mod3IiEiEEDaPvRmT3_T4_T5_mT6_P12ihipStream_tbENKUlT_T0_E_clISt17integral_constantIbLb1EEST_IbLb0EEEEDaSP_SQ_EUlSP_E0_NS1_11comp_targetILNS1_3genE4ELNS1_11target_archE910ELNS1_3gpuE8ELNS1_3repE0EEENS1_30default_config_static_selectorELNS0_4arch9wavefront6targetE1EEEvT1_,"axG",@progbits,_ZN7rocprim17ROCPRIM_400000_NS6detail17trampoline_kernelINS0_14default_configENS1_20scan_config_selectorIiEEZZNS1_9scan_implILNS1_25lookback_scan_determinismE0ELb0ELb0ES3_N6thrust23THRUST_200600_302600_NS6detail15normal_iteratorINS9_10device_ptrIiEEEESE_i19const_ref_plus_mod3IiEiEEDaPvRmT3_T4_T5_mT6_P12ihipStream_tbENKUlT_T0_E_clISt17integral_constantIbLb1EEST_IbLb0EEEEDaSP_SQ_EUlSP_E0_NS1_11comp_targetILNS1_3genE4ELNS1_11target_archE910ELNS1_3gpuE8ELNS1_3repE0EEENS1_30default_config_static_selectorELNS0_4arch9wavefront6targetE1EEEvT1_,comdat
.Lfunc_end7027:
	.size	_ZN7rocprim17ROCPRIM_400000_NS6detail17trampoline_kernelINS0_14default_configENS1_20scan_config_selectorIiEEZZNS1_9scan_implILNS1_25lookback_scan_determinismE0ELb0ELb0ES3_N6thrust23THRUST_200600_302600_NS6detail15normal_iteratorINS9_10device_ptrIiEEEESE_i19const_ref_plus_mod3IiEiEEDaPvRmT3_T4_T5_mT6_P12ihipStream_tbENKUlT_T0_E_clISt17integral_constantIbLb1EEST_IbLb0EEEEDaSP_SQ_EUlSP_E0_NS1_11comp_targetILNS1_3genE4ELNS1_11target_archE910ELNS1_3gpuE8ELNS1_3repE0EEENS1_30default_config_static_selectorELNS0_4arch9wavefront6targetE1EEEvT1_, .Lfunc_end7027-_ZN7rocprim17ROCPRIM_400000_NS6detail17trampoline_kernelINS0_14default_configENS1_20scan_config_selectorIiEEZZNS1_9scan_implILNS1_25lookback_scan_determinismE0ELb0ELb0ES3_N6thrust23THRUST_200600_302600_NS6detail15normal_iteratorINS9_10device_ptrIiEEEESE_i19const_ref_plus_mod3IiEiEEDaPvRmT3_T4_T5_mT6_P12ihipStream_tbENKUlT_T0_E_clISt17integral_constantIbLb1EEST_IbLb0EEEEDaSP_SQ_EUlSP_E0_NS1_11comp_targetILNS1_3genE4ELNS1_11target_archE910ELNS1_3gpuE8ELNS1_3repE0EEENS1_30default_config_static_selectorELNS0_4arch9wavefront6targetE1EEEvT1_
                                        ; -- End function
	.section	.AMDGPU.csdata,"",@progbits
; Kernel info:
; codeLenInByte = 2736
; NumSgprs: 32
; NumVgprs: 22
; NumAgprs: 0
; TotalNumVgprs: 22
; ScratchSize: 0
; MemoryBound: 0
; FloatMode: 240
; IeeeMode: 1
; LDSByteSize: 5120 bytes/workgroup (compile time only)
; SGPRBlocks: 3
; VGPRBlocks: 2
; NumSGPRsForWavesPerEU: 32
; NumVGPRsForWavesPerEU: 22
; AccumOffset: 24
; Occupancy: 6
; WaveLimiterHint : 1
; COMPUTE_PGM_RSRC2:SCRATCH_EN: 0
; COMPUTE_PGM_RSRC2:USER_SGPR: 6
; COMPUTE_PGM_RSRC2:TRAP_HANDLER: 0
; COMPUTE_PGM_RSRC2:TGID_X_EN: 1
; COMPUTE_PGM_RSRC2:TGID_Y_EN: 0
; COMPUTE_PGM_RSRC2:TGID_Z_EN: 0
; COMPUTE_PGM_RSRC2:TIDIG_COMP_CNT: 0
; COMPUTE_PGM_RSRC3_GFX90A:ACCUM_OFFSET: 5
; COMPUTE_PGM_RSRC3_GFX90A:TG_SPLIT: 0
	.section	.text._ZN7rocprim17ROCPRIM_400000_NS6detail17trampoline_kernelINS0_14default_configENS1_20scan_config_selectorIiEEZZNS1_9scan_implILNS1_25lookback_scan_determinismE0ELb0ELb0ES3_N6thrust23THRUST_200600_302600_NS6detail15normal_iteratorINS9_10device_ptrIiEEEESE_i19const_ref_plus_mod3IiEiEEDaPvRmT3_T4_T5_mT6_P12ihipStream_tbENKUlT_T0_E_clISt17integral_constantIbLb1EEST_IbLb0EEEEDaSP_SQ_EUlSP_E0_NS1_11comp_targetILNS1_3genE3ELNS1_11target_archE908ELNS1_3gpuE7ELNS1_3repE0EEENS1_30default_config_static_selectorELNS0_4arch9wavefront6targetE1EEEvT1_,"axG",@progbits,_ZN7rocprim17ROCPRIM_400000_NS6detail17trampoline_kernelINS0_14default_configENS1_20scan_config_selectorIiEEZZNS1_9scan_implILNS1_25lookback_scan_determinismE0ELb0ELb0ES3_N6thrust23THRUST_200600_302600_NS6detail15normal_iteratorINS9_10device_ptrIiEEEESE_i19const_ref_plus_mod3IiEiEEDaPvRmT3_T4_T5_mT6_P12ihipStream_tbENKUlT_T0_E_clISt17integral_constantIbLb1EEST_IbLb0EEEEDaSP_SQ_EUlSP_E0_NS1_11comp_targetILNS1_3genE3ELNS1_11target_archE908ELNS1_3gpuE7ELNS1_3repE0EEENS1_30default_config_static_selectorELNS0_4arch9wavefront6targetE1EEEvT1_,comdat
	.protected	_ZN7rocprim17ROCPRIM_400000_NS6detail17trampoline_kernelINS0_14default_configENS1_20scan_config_selectorIiEEZZNS1_9scan_implILNS1_25lookback_scan_determinismE0ELb0ELb0ES3_N6thrust23THRUST_200600_302600_NS6detail15normal_iteratorINS9_10device_ptrIiEEEESE_i19const_ref_plus_mod3IiEiEEDaPvRmT3_T4_T5_mT6_P12ihipStream_tbENKUlT_T0_E_clISt17integral_constantIbLb1EEST_IbLb0EEEEDaSP_SQ_EUlSP_E0_NS1_11comp_targetILNS1_3genE3ELNS1_11target_archE908ELNS1_3gpuE7ELNS1_3repE0EEENS1_30default_config_static_selectorELNS0_4arch9wavefront6targetE1EEEvT1_ ; -- Begin function _ZN7rocprim17ROCPRIM_400000_NS6detail17trampoline_kernelINS0_14default_configENS1_20scan_config_selectorIiEEZZNS1_9scan_implILNS1_25lookback_scan_determinismE0ELb0ELb0ES3_N6thrust23THRUST_200600_302600_NS6detail15normal_iteratorINS9_10device_ptrIiEEEESE_i19const_ref_plus_mod3IiEiEEDaPvRmT3_T4_T5_mT6_P12ihipStream_tbENKUlT_T0_E_clISt17integral_constantIbLb1EEST_IbLb0EEEEDaSP_SQ_EUlSP_E0_NS1_11comp_targetILNS1_3genE3ELNS1_11target_archE908ELNS1_3gpuE7ELNS1_3repE0EEENS1_30default_config_static_selectorELNS0_4arch9wavefront6targetE1EEEvT1_
	.globl	_ZN7rocprim17ROCPRIM_400000_NS6detail17trampoline_kernelINS0_14default_configENS1_20scan_config_selectorIiEEZZNS1_9scan_implILNS1_25lookback_scan_determinismE0ELb0ELb0ES3_N6thrust23THRUST_200600_302600_NS6detail15normal_iteratorINS9_10device_ptrIiEEEESE_i19const_ref_plus_mod3IiEiEEDaPvRmT3_T4_T5_mT6_P12ihipStream_tbENKUlT_T0_E_clISt17integral_constantIbLb1EEST_IbLb0EEEEDaSP_SQ_EUlSP_E0_NS1_11comp_targetILNS1_3genE3ELNS1_11target_archE908ELNS1_3gpuE7ELNS1_3repE0EEENS1_30default_config_static_selectorELNS0_4arch9wavefront6targetE1EEEvT1_
	.p2align	8
	.type	_ZN7rocprim17ROCPRIM_400000_NS6detail17trampoline_kernelINS0_14default_configENS1_20scan_config_selectorIiEEZZNS1_9scan_implILNS1_25lookback_scan_determinismE0ELb0ELb0ES3_N6thrust23THRUST_200600_302600_NS6detail15normal_iteratorINS9_10device_ptrIiEEEESE_i19const_ref_plus_mod3IiEiEEDaPvRmT3_T4_T5_mT6_P12ihipStream_tbENKUlT_T0_E_clISt17integral_constantIbLb1EEST_IbLb0EEEEDaSP_SQ_EUlSP_E0_NS1_11comp_targetILNS1_3genE3ELNS1_11target_archE908ELNS1_3gpuE7ELNS1_3repE0EEENS1_30default_config_static_selectorELNS0_4arch9wavefront6targetE1EEEvT1_,@function
_ZN7rocprim17ROCPRIM_400000_NS6detail17trampoline_kernelINS0_14default_configENS1_20scan_config_selectorIiEEZZNS1_9scan_implILNS1_25lookback_scan_determinismE0ELb0ELb0ES3_N6thrust23THRUST_200600_302600_NS6detail15normal_iteratorINS9_10device_ptrIiEEEESE_i19const_ref_plus_mod3IiEiEEDaPvRmT3_T4_T5_mT6_P12ihipStream_tbENKUlT_T0_E_clISt17integral_constantIbLb1EEST_IbLb0EEEEDaSP_SQ_EUlSP_E0_NS1_11comp_targetILNS1_3genE3ELNS1_11target_archE908ELNS1_3gpuE7ELNS1_3repE0EEENS1_30default_config_static_selectorELNS0_4arch9wavefront6targetE1EEEvT1_: ; @_ZN7rocprim17ROCPRIM_400000_NS6detail17trampoline_kernelINS0_14default_configENS1_20scan_config_selectorIiEEZZNS1_9scan_implILNS1_25lookback_scan_determinismE0ELb0ELb0ES3_N6thrust23THRUST_200600_302600_NS6detail15normal_iteratorINS9_10device_ptrIiEEEESE_i19const_ref_plus_mod3IiEiEEDaPvRmT3_T4_T5_mT6_P12ihipStream_tbENKUlT_T0_E_clISt17integral_constantIbLb1EEST_IbLb0EEEEDaSP_SQ_EUlSP_E0_NS1_11comp_targetILNS1_3genE3ELNS1_11target_archE908ELNS1_3gpuE7ELNS1_3repE0EEENS1_30default_config_static_selectorELNS0_4arch9wavefront6targetE1EEEvT1_
; %bb.0:
	.section	.rodata,"a",@progbits
	.p2align	6, 0x0
	.amdhsa_kernel _ZN7rocprim17ROCPRIM_400000_NS6detail17trampoline_kernelINS0_14default_configENS1_20scan_config_selectorIiEEZZNS1_9scan_implILNS1_25lookback_scan_determinismE0ELb0ELb0ES3_N6thrust23THRUST_200600_302600_NS6detail15normal_iteratorINS9_10device_ptrIiEEEESE_i19const_ref_plus_mod3IiEiEEDaPvRmT3_T4_T5_mT6_P12ihipStream_tbENKUlT_T0_E_clISt17integral_constantIbLb1EEST_IbLb0EEEEDaSP_SQ_EUlSP_E0_NS1_11comp_targetILNS1_3genE3ELNS1_11target_archE908ELNS1_3gpuE7ELNS1_3repE0EEENS1_30default_config_static_selectorELNS0_4arch9wavefront6targetE1EEEvT1_
		.amdhsa_group_segment_fixed_size 0
		.amdhsa_private_segment_fixed_size 0
		.amdhsa_kernarg_size 40
		.amdhsa_user_sgpr_count 6
		.amdhsa_user_sgpr_private_segment_buffer 1
		.amdhsa_user_sgpr_dispatch_ptr 0
		.amdhsa_user_sgpr_queue_ptr 0
		.amdhsa_user_sgpr_kernarg_segment_ptr 1
		.amdhsa_user_sgpr_dispatch_id 0
		.amdhsa_user_sgpr_flat_scratch_init 0
		.amdhsa_user_sgpr_kernarg_preload_length 0
		.amdhsa_user_sgpr_kernarg_preload_offset 0
		.amdhsa_user_sgpr_private_segment_size 0
		.amdhsa_uses_dynamic_stack 0
		.amdhsa_system_sgpr_private_segment_wavefront_offset 0
		.amdhsa_system_sgpr_workgroup_id_x 1
		.amdhsa_system_sgpr_workgroup_id_y 0
		.amdhsa_system_sgpr_workgroup_id_z 0
		.amdhsa_system_sgpr_workgroup_info 0
		.amdhsa_system_vgpr_workitem_id 0
		.amdhsa_next_free_vgpr 1
		.amdhsa_next_free_sgpr 0
		.amdhsa_accum_offset 4
		.amdhsa_reserve_vcc 0
		.amdhsa_reserve_flat_scratch 0
		.amdhsa_float_round_mode_32 0
		.amdhsa_float_round_mode_16_64 0
		.amdhsa_float_denorm_mode_32 3
		.amdhsa_float_denorm_mode_16_64 3
		.amdhsa_dx10_clamp 1
		.amdhsa_ieee_mode 1
		.amdhsa_fp16_overflow 0
		.amdhsa_tg_split 0
		.amdhsa_exception_fp_ieee_invalid_op 0
		.amdhsa_exception_fp_denorm_src 0
		.amdhsa_exception_fp_ieee_div_zero 0
		.amdhsa_exception_fp_ieee_overflow 0
		.amdhsa_exception_fp_ieee_underflow 0
		.amdhsa_exception_fp_ieee_inexact 0
		.amdhsa_exception_int_div_zero 0
	.end_amdhsa_kernel
	.section	.text._ZN7rocprim17ROCPRIM_400000_NS6detail17trampoline_kernelINS0_14default_configENS1_20scan_config_selectorIiEEZZNS1_9scan_implILNS1_25lookback_scan_determinismE0ELb0ELb0ES3_N6thrust23THRUST_200600_302600_NS6detail15normal_iteratorINS9_10device_ptrIiEEEESE_i19const_ref_plus_mod3IiEiEEDaPvRmT3_T4_T5_mT6_P12ihipStream_tbENKUlT_T0_E_clISt17integral_constantIbLb1EEST_IbLb0EEEEDaSP_SQ_EUlSP_E0_NS1_11comp_targetILNS1_3genE3ELNS1_11target_archE908ELNS1_3gpuE7ELNS1_3repE0EEENS1_30default_config_static_selectorELNS0_4arch9wavefront6targetE1EEEvT1_,"axG",@progbits,_ZN7rocprim17ROCPRIM_400000_NS6detail17trampoline_kernelINS0_14default_configENS1_20scan_config_selectorIiEEZZNS1_9scan_implILNS1_25lookback_scan_determinismE0ELb0ELb0ES3_N6thrust23THRUST_200600_302600_NS6detail15normal_iteratorINS9_10device_ptrIiEEEESE_i19const_ref_plus_mod3IiEiEEDaPvRmT3_T4_T5_mT6_P12ihipStream_tbENKUlT_T0_E_clISt17integral_constantIbLb1EEST_IbLb0EEEEDaSP_SQ_EUlSP_E0_NS1_11comp_targetILNS1_3genE3ELNS1_11target_archE908ELNS1_3gpuE7ELNS1_3repE0EEENS1_30default_config_static_selectorELNS0_4arch9wavefront6targetE1EEEvT1_,comdat
.Lfunc_end7028:
	.size	_ZN7rocprim17ROCPRIM_400000_NS6detail17trampoline_kernelINS0_14default_configENS1_20scan_config_selectorIiEEZZNS1_9scan_implILNS1_25lookback_scan_determinismE0ELb0ELb0ES3_N6thrust23THRUST_200600_302600_NS6detail15normal_iteratorINS9_10device_ptrIiEEEESE_i19const_ref_plus_mod3IiEiEEDaPvRmT3_T4_T5_mT6_P12ihipStream_tbENKUlT_T0_E_clISt17integral_constantIbLb1EEST_IbLb0EEEEDaSP_SQ_EUlSP_E0_NS1_11comp_targetILNS1_3genE3ELNS1_11target_archE908ELNS1_3gpuE7ELNS1_3repE0EEENS1_30default_config_static_selectorELNS0_4arch9wavefront6targetE1EEEvT1_, .Lfunc_end7028-_ZN7rocprim17ROCPRIM_400000_NS6detail17trampoline_kernelINS0_14default_configENS1_20scan_config_selectorIiEEZZNS1_9scan_implILNS1_25lookback_scan_determinismE0ELb0ELb0ES3_N6thrust23THRUST_200600_302600_NS6detail15normal_iteratorINS9_10device_ptrIiEEEESE_i19const_ref_plus_mod3IiEiEEDaPvRmT3_T4_T5_mT6_P12ihipStream_tbENKUlT_T0_E_clISt17integral_constantIbLb1EEST_IbLb0EEEEDaSP_SQ_EUlSP_E0_NS1_11comp_targetILNS1_3genE3ELNS1_11target_archE908ELNS1_3gpuE7ELNS1_3repE0EEENS1_30default_config_static_selectorELNS0_4arch9wavefront6targetE1EEEvT1_
                                        ; -- End function
	.section	.AMDGPU.csdata,"",@progbits
; Kernel info:
; codeLenInByte = 0
; NumSgprs: 4
; NumVgprs: 0
; NumAgprs: 0
; TotalNumVgprs: 0
; ScratchSize: 0
; MemoryBound: 0
; FloatMode: 240
; IeeeMode: 1
; LDSByteSize: 0 bytes/workgroup (compile time only)
; SGPRBlocks: 0
; VGPRBlocks: 0
; NumSGPRsForWavesPerEU: 4
; NumVGPRsForWavesPerEU: 1
; AccumOffset: 4
; Occupancy: 8
; WaveLimiterHint : 0
; COMPUTE_PGM_RSRC2:SCRATCH_EN: 0
; COMPUTE_PGM_RSRC2:USER_SGPR: 6
; COMPUTE_PGM_RSRC2:TRAP_HANDLER: 0
; COMPUTE_PGM_RSRC2:TGID_X_EN: 1
; COMPUTE_PGM_RSRC2:TGID_Y_EN: 0
; COMPUTE_PGM_RSRC2:TGID_Z_EN: 0
; COMPUTE_PGM_RSRC2:TIDIG_COMP_CNT: 0
; COMPUTE_PGM_RSRC3_GFX90A:ACCUM_OFFSET: 0
; COMPUTE_PGM_RSRC3_GFX90A:TG_SPLIT: 0
	.section	.text._ZN7rocprim17ROCPRIM_400000_NS6detail17trampoline_kernelINS0_14default_configENS1_20scan_config_selectorIiEEZZNS1_9scan_implILNS1_25lookback_scan_determinismE0ELb0ELb0ES3_N6thrust23THRUST_200600_302600_NS6detail15normal_iteratorINS9_10device_ptrIiEEEESE_i19const_ref_plus_mod3IiEiEEDaPvRmT3_T4_T5_mT6_P12ihipStream_tbENKUlT_T0_E_clISt17integral_constantIbLb1EEST_IbLb0EEEEDaSP_SQ_EUlSP_E0_NS1_11comp_targetILNS1_3genE2ELNS1_11target_archE906ELNS1_3gpuE6ELNS1_3repE0EEENS1_30default_config_static_selectorELNS0_4arch9wavefront6targetE1EEEvT1_,"axG",@progbits,_ZN7rocprim17ROCPRIM_400000_NS6detail17trampoline_kernelINS0_14default_configENS1_20scan_config_selectorIiEEZZNS1_9scan_implILNS1_25lookback_scan_determinismE0ELb0ELb0ES3_N6thrust23THRUST_200600_302600_NS6detail15normal_iteratorINS9_10device_ptrIiEEEESE_i19const_ref_plus_mod3IiEiEEDaPvRmT3_T4_T5_mT6_P12ihipStream_tbENKUlT_T0_E_clISt17integral_constantIbLb1EEST_IbLb0EEEEDaSP_SQ_EUlSP_E0_NS1_11comp_targetILNS1_3genE2ELNS1_11target_archE906ELNS1_3gpuE6ELNS1_3repE0EEENS1_30default_config_static_selectorELNS0_4arch9wavefront6targetE1EEEvT1_,comdat
	.protected	_ZN7rocprim17ROCPRIM_400000_NS6detail17trampoline_kernelINS0_14default_configENS1_20scan_config_selectorIiEEZZNS1_9scan_implILNS1_25lookback_scan_determinismE0ELb0ELb0ES3_N6thrust23THRUST_200600_302600_NS6detail15normal_iteratorINS9_10device_ptrIiEEEESE_i19const_ref_plus_mod3IiEiEEDaPvRmT3_T4_T5_mT6_P12ihipStream_tbENKUlT_T0_E_clISt17integral_constantIbLb1EEST_IbLb0EEEEDaSP_SQ_EUlSP_E0_NS1_11comp_targetILNS1_3genE2ELNS1_11target_archE906ELNS1_3gpuE6ELNS1_3repE0EEENS1_30default_config_static_selectorELNS0_4arch9wavefront6targetE1EEEvT1_ ; -- Begin function _ZN7rocprim17ROCPRIM_400000_NS6detail17trampoline_kernelINS0_14default_configENS1_20scan_config_selectorIiEEZZNS1_9scan_implILNS1_25lookback_scan_determinismE0ELb0ELb0ES3_N6thrust23THRUST_200600_302600_NS6detail15normal_iteratorINS9_10device_ptrIiEEEESE_i19const_ref_plus_mod3IiEiEEDaPvRmT3_T4_T5_mT6_P12ihipStream_tbENKUlT_T0_E_clISt17integral_constantIbLb1EEST_IbLb0EEEEDaSP_SQ_EUlSP_E0_NS1_11comp_targetILNS1_3genE2ELNS1_11target_archE906ELNS1_3gpuE6ELNS1_3repE0EEENS1_30default_config_static_selectorELNS0_4arch9wavefront6targetE1EEEvT1_
	.globl	_ZN7rocprim17ROCPRIM_400000_NS6detail17trampoline_kernelINS0_14default_configENS1_20scan_config_selectorIiEEZZNS1_9scan_implILNS1_25lookback_scan_determinismE0ELb0ELb0ES3_N6thrust23THRUST_200600_302600_NS6detail15normal_iteratorINS9_10device_ptrIiEEEESE_i19const_ref_plus_mod3IiEiEEDaPvRmT3_T4_T5_mT6_P12ihipStream_tbENKUlT_T0_E_clISt17integral_constantIbLb1EEST_IbLb0EEEEDaSP_SQ_EUlSP_E0_NS1_11comp_targetILNS1_3genE2ELNS1_11target_archE906ELNS1_3gpuE6ELNS1_3repE0EEENS1_30default_config_static_selectorELNS0_4arch9wavefront6targetE1EEEvT1_
	.p2align	8
	.type	_ZN7rocprim17ROCPRIM_400000_NS6detail17trampoline_kernelINS0_14default_configENS1_20scan_config_selectorIiEEZZNS1_9scan_implILNS1_25lookback_scan_determinismE0ELb0ELb0ES3_N6thrust23THRUST_200600_302600_NS6detail15normal_iteratorINS9_10device_ptrIiEEEESE_i19const_ref_plus_mod3IiEiEEDaPvRmT3_T4_T5_mT6_P12ihipStream_tbENKUlT_T0_E_clISt17integral_constantIbLb1EEST_IbLb0EEEEDaSP_SQ_EUlSP_E0_NS1_11comp_targetILNS1_3genE2ELNS1_11target_archE906ELNS1_3gpuE6ELNS1_3repE0EEENS1_30default_config_static_selectorELNS0_4arch9wavefront6targetE1EEEvT1_,@function
_ZN7rocprim17ROCPRIM_400000_NS6detail17trampoline_kernelINS0_14default_configENS1_20scan_config_selectorIiEEZZNS1_9scan_implILNS1_25lookback_scan_determinismE0ELb0ELb0ES3_N6thrust23THRUST_200600_302600_NS6detail15normal_iteratorINS9_10device_ptrIiEEEESE_i19const_ref_plus_mod3IiEiEEDaPvRmT3_T4_T5_mT6_P12ihipStream_tbENKUlT_T0_E_clISt17integral_constantIbLb1EEST_IbLb0EEEEDaSP_SQ_EUlSP_E0_NS1_11comp_targetILNS1_3genE2ELNS1_11target_archE906ELNS1_3gpuE6ELNS1_3repE0EEENS1_30default_config_static_selectorELNS0_4arch9wavefront6targetE1EEEvT1_: ; @_ZN7rocprim17ROCPRIM_400000_NS6detail17trampoline_kernelINS0_14default_configENS1_20scan_config_selectorIiEEZZNS1_9scan_implILNS1_25lookback_scan_determinismE0ELb0ELb0ES3_N6thrust23THRUST_200600_302600_NS6detail15normal_iteratorINS9_10device_ptrIiEEEESE_i19const_ref_plus_mod3IiEiEEDaPvRmT3_T4_T5_mT6_P12ihipStream_tbENKUlT_T0_E_clISt17integral_constantIbLb1EEST_IbLb0EEEEDaSP_SQ_EUlSP_E0_NS1_11comp_targetILNS1_3genE2ELNS1_11target_archE906ELNS1_3gpuE6ELNS1_3repE0EEENS1_30default_config_static_selectorELNS0_4arch9wavefront6targetE1EEEvT1_
; %bb.0:
	.section	.rodata,"a",@progbits
	.p2align	6, 0x0
	.amdhsa_kernel _ZN7rocprim17ROCPRIM_400000_NS6detail17trampoline_kernelINS0_14default_configENS1_20scan_config_selectorIiEEZZNS1_9scan_implILNS1_25lookback_scan_determinismE0ELb0ELb0ES3_N6thrust23THRUST_200600_302600_NS6detail15normal_iteratorINS9_10device_ptrIiEEEESE_i19const_ref_plus_mod3IiEiEEDaPvRmT3_T4_T5_mT6_P12ihipStream_tbENKUlT_T0_E_clISt17integral_constantIbLb1EEST_IbLb0EEEEDaSP_SQ_EUlSP_E0_NS1_11comp_targetILNS1_3genE2ELNS1_11target_archE906ELNS1_3gpuE6ELNS1_3repE0EEENS1_30default_config_static_selectorELNS0_4arch9wavefront6targetE1EEEvT1_
		.amdhsa_group_segment_fixed_size 0
		.amdhsa_private_segment_fixed_size 0
		.amdhsa_kernarg_size 40
		.amdhsa_user_sgpr_count 6
		.amdhsa_user_sgpr_private_segment_buffer 1
		.amdhsa_user_sgpr_dispatch_ptr 0
		.amdhsa_user_sgpr_queue_ptr 0
		.amdhsa_user_sgpr_kernarg_segment_ptr 1
		.amdhsa_user_sgpr_dispatch_id 0
		.amdhsa_user_sgpr_flat_scratch_init 0
		.amdhsa_user_sgpr_kernarg_preload_length 0
		.amdhsa_user_sgpr_kernarg_preload_offset 0
		.amdhsa_user_sgpr_private_segment_size 0
		.amdhsa_uses_dynamic_stack 0
		.amdhsa_system_sgpr_private_segment_wavefront_offset 0
		.amdhsa_system_sgpr_workgroup_id_x 1
		.amdhsa_system_sgpr_workgroup_id_y 0
		.amdhsa_system_sgpr_workgroup_id_z 0
		.amdhsa_system_sgpr_workgroup_info 0
		.amdhsa_system_vgpr_workitem_id 0
		.amdhsa_next_free_vgpr 1
		.amdhsa_next_free_sgpr 0
		.amdhsa_accum_offset 4
		.amdhsa_reserve_vcc 0
		.amdhsa_reserve_flat_scratch 0
		.amdhsa_float_round_mode_32 0
		.amdhsa_float_round_mode_16_64 0
		.amdhsa_float_denorm_mode_32 3
		.amdhsa_float_denorm_mode_16_64 3
		.amdhsa_dx10_clamp 1
		.amdhsa_ieee_mode 1
		.amdhsa_fp16_overflow 0
		.amdhsa_tg_split 0
		.amdhsa_exception_fp_ieee_invalid_op 0
		.amdhsa_exception_fp_denorm_src 0
		.amdhsa_exception_fp_ieee_div_zero 0
		.amdhsa_exception_fp_ieee_overflow 0
		.amdhsa_exception_fp_ieee_underflow 0
		.amdhsa_exception_fp_ieee_inexact 0
		.amdhsa_exception_int_div_zero 0
	.end_amdhsa_kernel
	.section	.text._ZN7rocprim17ROCPRIM_400000_NS6detail17trampoline_kernelINS0_14default_configENS1_20scan_config_selectorIiEEZZNS1_9scan_implILNS1_25lookback_scan_determinismE0ELb0ELb0ES3_N6thrust23THRUST_200600_302600_NS6detail15normal_iteratorINS9_10device_ptrIiEEEESE_i19const_ref_plus_mod3IiEiEEDaPvRmT3_T4_T5_mT6_P12ihipStream_tbENKUlT_T0_E_clISt17integral_constantIbLb1EEST_IbLb0EEEEDaSP_SQ_EUlSP_E0_NS1_11comp_targetILNS1_3genE2ELNS1_11target_archE906ELNS1_3gpuE6ELNS1_3repE0EEENS1_30default_config_static_selectorELNS0_4arch9wavefront6targetE1EEEvT1_,"axG",@progbits,_ZN7rocprim17ROCPRIM_400000_NS6detail17trampoline_kernelINS0_14default_configENS1_20scan_config_selectorIiEEZZNS1_9scan_implILNS1_25lookback_scan_determinismE0ELb0ELb0ES3_N6thrust23THRUST_200600_302600_NS6detail15normal_iteratorINS9_10device_ptrIiEEEESE_i19const_ref_plus_mod3IiEiEEDaPvRmT3_T4_T5_mT6_P12ihipStream_tbENKUlT_T0_E_clISt17integral_constantIbLb1EEST_IbLb0EEEEDaSP_SQ_EUlSP_E0_NS1_11comp_targetILNS1_3genE2ELNS1_11target_archE906ELNS1_3gpuE6ELNS1_3repE0EEENS1_30default_config_static_selectorELNS0_4arch9wavefront6targetE1EEEvT1_,comdat
.Lfunc_end7029:
	.size	_ZN7rocprim17ROCPRIM_400000_NS6detail17trampoline_kernelINS0_14default_configENS1_20scan_config_selectorIiEEZZNS1_9scan_implILNS1_25lookback_scan_determinismE0ELb0ELb0ES3_N6thrust23THRUST_200600_302600_NS6detail15normal_iteratorINS9_10device_ptrIiEEEESE_i19const_ref_plus_mod3IiEiEEDaPvRmT3_T4_T5_mT6_P12ihipStream_tbENKUlT_T0_E_clISt17integral_constantIbLb1EEST_IbLb0EEEEDaSP_SQ_EUlSP_E0_NS1_11comp_targetILNS1_3genE2ELNS1_11target_archE906ELNS1_3gpuE6ELNS1_3repE0EEENS1_30default_config_static_selectorELNS0_4arch9wavefront6targetE1EEEvT1_, .Lfunc_end7029-_ZN7rocprim17ROCPRIM_400000_NS6detail17trampoline_kernelINS0_14default_configENS1_20scan_config_selectorIiEEZZNS1_9scan_implILNS1_25lookback_scan_determinismE0ELb0ELb0ES3_N6thrust23THRUST_200600_302600_NS6detail15normal_iteratorINS9_10device_ptrIiEEEESE_i19const_ref_plus_mod3IiEiEEDaPvRmT3_T4_T5_mT6_P12ihipStream_tbENKUlT_T0_E_clISt17integral_constantIbLb1EEST_IbLb0EEEEDaSP_SQ_EUlSP_E0_NS1_11comp_targetILNS1_3genE2ELNS1_11target_archE906ELNS1_3gpuE6ELNS1_3repE0EEENS1_30default_config_static_selectorELNS0_4arch9wavefront6targetE1EEEvT1_
                                        ; -- End function
	.section	.AMDGPU.csdata,"",@progbits
; Kernel info:
; codeLenInByte = 0
; NumSgprs: 4
; NumVgprs: 0
; NumAgprs: 0
; TotalNumVgprs: 0
; ScratchSize: 0
; MemoryBound: 0
; FloatMode: 240
; IeeeMode: 1
; LDSByteSize: 0 bytes/workgroup (compile time only)
; SGPRBlocks: 0
; VGPRBlocks: 0
; NumSGPRsForWavesPerEU: 4
; NumVGPRsForWavesPerEU: 1
; AccumOffset: 4
; Occupancy: 8
; WaveLimiterHint : 0
; COMPUTE_PGM_RSRC2:SCRATCH_EN: 0
; COMPUTE_PGM_RSRC2:USER_SGPR: 6
; COMPUTE_PGM_RSRC2:TRAP_HANDLER: 0
; COMPUTE_PGM_RSRC2:TGID_X_EN: 1
; COMPUTE_PGM_RSRC2:TGID_Y_EN: 0
; COMPUTE_PGM_RSRC2:TGID_Z_EN: 0
; COMPUTE_PGM_RSRC2:TIDIG_COMP_CNT: 0
; COMPUTE_PGM_RSRC3_GFX90A:ACCUM_OFFSET: 0
; COMPUTE_PGM_RSRC3_GFX90A:TG_SPLIT: 0
	.section	.text._ZN7rocprim17ROCPRIM_400000_NS6detail17trampoline_kernelINS0_14default_configENS1_20scan_config_selectorIiEEZZNS1_9scan_implILNS1_25lookback_scan_determinismE0ELb0ELb0ES3_N6thrust23THRUST_200600_302600_NS6detail15normal_iteratorINS9_10device_ptrIiEEEESE_i19const_ref_plus_mod3IiEiEEDaPvRmT3_T4_T5_mT6_P12ihipStream_tbENKUlT_T0_E_clISt17integral_constantIbLb1EEST_IbLb0EEEEDaSP_SQ_EUlSP_E0_NS1_11comp_targetILNS1_3genE10ELNS1_11target_archE1201ELNS1_3gpuE5ELNS1_3repE0EEENS1_30default_config_static_selectorELNS0_4arch9wavefront6targetE1EEEvT1_,"axG",@progbits,_ZN7rocprim17ROCPRIM_400000_NS6detail17trampoline_kernelINS0_14default_configENS1_20scan_config_selectorIiEEZZNS1_9scan_implILNS1_25lookback_scan_determinismE0ELb0ELb0ES3_N6thrust23THRUST_200600_302600_NS6detail15normal_iteratorINS9_10device_ptrIiEEEESE_i19const_ref_plus_mod3IiEiEEDaPvRmT3_T4_T5_mT6_P12ihipStream_tbENKUlT_T0_E_clISt17integral_constantIbLb1EEST_IbLb0EEEEDaSP_SQ_EUlSP_E0_NS1_11comp_targetILNS1_3genE10ELNS1_11target_archE1201ELNS1_3gpuE5ELNS1_3repE0EEENS1_30default_config_static_selectorELNS0_4arch9wavefront6targetE1EEEvT1_,comdat
	.protected	_ZN7rocprim17ROCPRIM_400000_NS6detail17trampoline_kernelINS0_14default_configENS1_20scan_config_selectorIiEEZZNS1_9scan_implILNS1_25lookback_scan_determinismE0ELb0ELb0ES3_N6thrust23THRUST_200600_302600_NS6detail15normal_iteratorINS9_10device_ptrIiEEEESE_i19const_ref_plus_mod3IiEiEEDaPvRmT3_T4_T5_mT6_P12ihipStream_tbENKUlT_T0_E_clISt17integral_constantIbLb1EEST_IbLb0EEEEDaSP_SQ_EUlSP_E0_NS1_11comp_targetILNS1_3genE10ELNS1_11target_archE1201ELNS1_3gpuE5ELNS1_3repE0EEENS1_30default_config_static_selectorELNS0_4arch9wavefront6targetE1EEEvT1_ ; -- Begin function _ZN7rocprim17ROCPRIM_400000_NS6detail17trampoline_kernelINS0_14default_configENS1_20scan_config_selectorIiEEZZNS1_9scan_implILNS1_25lookback_scan_determinismE0ELb0ELb0ES3_N6thrust23THRUST_200600_302600_NS6detail15normal_iteratorINS9_10device_ptrIiEEEESE_i19const_ref_plus_mod3IiEiEEDaPvRmT3_T4_T5_mT6_P12ihipStream_tbENKUlT_T0_E_clISt17integral_constantIbLb1EEST_IbLb0EEEEDaSP_SQ_EUlSP_E0_NS1_11comp_targetILNS1_3genE10ELNS1_11target_archE1201ELNS1_3gpuE5ELNS1_3repE0EEENS1_30default_config_static_selectorELNS0_4arch9wavefront6targetE1EEEvT1_
	.globl	_ZN7rocprim17ROCPRIM_400000_NS6detail17trampoline_kernelINS0_14default_configENS1_20scan_config_selectorIiEEZZNS1_9scan_implILNS1_25lookback_scan_determinismE0ELb0ELb0ES3_N6thrust23THRUST_200600_302600_NS6detail15normal_iteratorINS9_10device_ptrIiEEEESE_i19const_ref_plus_mod3IiEiEEDaPvRmT3_T4_T5_mT6_P12ihipStream_tbENKUlT_T0_E_clISt17integral_constantIbLb1EEST_IbLb0EEEEDaSP_SQ_EUlSP_E0_NS1_11comp_targetILNS1_3genE10ELNS1_11target_archE1201ELNS1_3gpuE5ELNS1_3repE0EEENS1_30default_config_static_selectorELNS0_4arch9wavefront6targetE1EEEvT1_
	.p2align	8
	.type	_ZN7rocprim17ROCPRIM_400000_NS6detail17trampoline_kernelINS0_14default_configENS1_20scan_config_selectorIiEEZZNS1_9scan_implILNS1_25lookback_scan_determinismE0ELb0ELb0ES3_N6thrust23THRUST_200600_302600_NS6detail15normal_iteratorINS9_10device_ptrIiEEEESE_i19const_ref_plus_mod3IiEiEEDaPvRmT3_T4_T5_mT6_P12ihipStream_tbENKUlT_T0_E_clISt17integral_constantIbLb1EEST_IbLb0EEEEDaSP_SQ_EUlSP_E0_NS1_11comp_targetILNS1_3genE10ELNS1_11target_archE1201ELNS1_3gpuE5ELNS1_3repE0EEENS1_30default_config_static_selectorELNS0_4arch9wavefront6targetE1EEEvT1_,@function
_ZN7rocprim17ROCPRIM_400000_NS6detail17trampoline_kernelINS0_14default_configENS1_20scan_config_selectorIiEEZZNS1_9scan_implILNS1_25lookback_scan_determinismE0ELb0ELb0ES3_N6thrust23THRUST_200600_302600_NS6detail15normal_iteratorINS9_10device_ptrIiEEEESE_i19const_ref_plus_mod3IiEiEEDaPvRmT3_T4_T5_mT6_P12ihipStream_tbENKUlT_T0_E_clISt17integral_constantIbLb1EEST_IbLb0EEEEDaSP_SQ_EUlSP_E0_NS1_11comp_targetILNS1_3genE10ELNS1_11target_archE1201ELNS1_3gpuE5ELNS1_3repE0EEENS1_30default_config_static_selectorELNS0_4arch9wavefront6targetE1EEEvT1_: ; @_ZN7rocprim17ROCPRIM_400000_NS6detail17trampoline_kernelINS0_14default_configENS1_20scan_config_selectorIiEEZZNS1_9scan_implILNS1_25lookback_scan_determinismE0ELb0ELb0ES3_N6thrust23THRUST_200600_302600_NS6detail15normal_iteratorINS9_10device_ptrIiEEEESE_i19const_ref_plus_mod3IiEiEEDaPvRmT3_T4_T5_mT6_P12ihipStream_tbENKUlT_T0_E_clISt17integral_constantIbLb1EEST_IbLb0EEEEDaSP_SQ_EUlSP_E0_NS1_11comp_targetILNS1_3genE10ELNS1_11target_archE1201ELNS1_3gpuE5ELNS1_3repE0EEENS1_30default_config_static_selectorELNS0_4arch9wavefront6targetE1EEEvT1_
; %bb.0:
	.section	.rodata,"a",@progbits
	.p2align	6, 0x0
	.amdhsa_kernel _ZN7rocprim17ROCPRIM_400000_NS6detail17trampoline_kernelINS0_14default_configENS1_20scan_config_selectorIiEEZZNS1_9scan_implILNS1_25lookback_scan_determinismE0ELb0ELb0ES3_N6thrust23THRUST_200600_302600_NS6detail15normal_iteratorINS9_10device_ptrIiEEEESE_i19const_ref_plus_mod3IiEiEEDaPvRmT3_T4_T5_mT6_P12ihipStream_tbENKUlT_T0_E_clISt17integral_constantIbLb1EEST_IbLb0EEEEDaSP_SQ_EUlSP_E0_NS1_11comp_targetILNS1_3genE10ELNS1_11target_archE1201ELNS1_3gpuE5ELNS1_3repE0EEENS1_30default_config_static_selectorELNS0_4arch9wavefront6targetE1EEEvT1_
		.amdhsa_group_segment_fixed_size 0
		.amdhsa_private_segment_fixed_size 0
		.amdhsa_kernarg_size 40
		.amdhsa_user_sgpr_count 6
		.amdhsa_user_sgpr_private_segment_buffer 1
		.amdhsa_user_sgpr_dispatch_ptr 0
		.amdhsa_user_sgpr_queue_ptr 0
		.amdhsa_user_sgpr_kernarg_segment_ptr 1
		.amdhsa_user_sgpr_dispatch_id 0
		.amdhsa_user_sgpr_flat_scratch_init 0
		.amdhsa_user_sgpr_kernarg_preload_length 0
		.amdhsa_user_sgpr_kernarg_preload_offset 0
		.amdhsa_user_sgpr_private_segment_size 0
		.amdhsa_uses_dynamic_stack 0
		.amdhsa_system_sgpr_private_segment_wavefront_offset 0
		.amdhsa_system_sgpr_workgroup_id_x 1
		.amdhsa_system_sgpr_workgroup_id_y 0
		.amdhsa_system_sgpr_workgroup_id_z 0
		.amdhsa_system_sgpr_workgroup_info 0
		.amdhsa_system_vgpr_workitem_id 0
		.amdhsa_next_free_vgpr 1
		.amdhsa_next_free_sgpr 0
		.amdhsa_accum_offset 4
		.amdhsa_reserve_vcc 0
		.amdhsa_reserve_flat_scratch 0
		.amdhsa_float_round_mode_32 0
		.amdhsa_float_round_mode_16_64 0
		.amdhsa_float_denorm_mode_32 3
		.amdhsa_float_denorm_mode_16_64 3
		.amdhsa_dx10_clamp 1
		.amdhsa_ieee_mode 1
		.amdhsa_fp16_overflow 0
		.amdhsa_tg_split 0
		.amdhsa_exception_fp_ieee_invalid_op 0
		.amdhsa_exception_fp_denorm_src 0
		.amdhsa_exception_fp_ieee_div_zero 0
		.amdhsa_exception_fp_ieee_overflow 0
		.amdhsa_exception_fp_ieee_underflow 0
		.amdhsa_exception_fp_ieee_inexact 0
		.amdhsa_exception_int_div_zero 0
	.end_amdhsa_kernel
	.section	.text._ZN7rocprim17ROCPRIM_400000_NS6detail17trampoline_kernelINS0_14default_configENS1_20scan_config_selectorIiEEZZNS1_9scan_implILNS1_25lookback_scan_determinismE0ELb0ELb0ES3_N6thrust23THRUST_200600_302600_NS6detail15normal_iteratorINS9_10device_ptrIiEEEESE_i19const_ref_plus_mod3IiEiEEDaPvRmT3_T4_T5_mT6_P12ihipStream_tbENKUlT_T0_E_clISt17integral_constantIbLb1EEST_IbLb0EEEEDaSP_SQ_EUlSP_E0_NS1_11comp_targetILNS1_3genE10ELNS1_11target_archE1201ELNS1_3gpuE5ELNS1_3repE0EEENS1_30default_config_static_selectorELNS0_4arch9wavefront6targetE1EEEvT1_,"axG",@progbits,_ZN7rocprim17ROCPRIM_400000_NS6detail17trampoline_kernelINS0_14default_configENS1_20scan_config_selectorIiEEZZNS1_9scan_implILNS1_25lookback_scan_determinismE0ELb0ELb0ES3_N6thrust23THRUST_200600_302600_NS6detail15normal_iteratorINS9_10device_ptrIiEEEESE_i19const_ref_plus_mod3IiEiEEDaPvRmT3_T4_T5_mT6_P12ihipStream_tbENKUlT_T0_E_clISt17integral_constantIbLb1EEST_IbLb0EEEEDaSP_SQ_EUlSP_E0_NS1_11comp_targetILNS1_3genE10ELNS1_11target_archE1201ELNS1_3gpuE5ELNS1_3repE0EEENS1_30default_config_static_selectorELNS0_4arch9wavefront6targetE1EEEvT1_,comdat
.Lfunc_end7030:
	.size	_ZN7rocprim17ROCPRIM_400000_NS6detail17trampoline_kernelINS0_14default_configENS1_20scan_config_selectorIiEEZZNS1_9scan_implILNS1_25lookback_scan_determinismE0ELb0ELb0ES3_N6thrust23THRUST_200600_302600_NS6detail15normal_iteratorINS9_10device_ptrIiEEEESE_i19const_ref_plus_mod3IiEiEEDaPvRmT3_T4_T5_mT6_P12ihipStream_tbENKUlT_T0_E_clISt17integral_constantIbLb1EEST_IbLb0EEEEDaSP_SQ_EUlSP_E0_NS1_11comp_targetILNS1_3genE10ELNS1_11target_archE1201ELNS1_3gpuE5ELNS1_3repE0EEENS1_30default_config_static_selectorELNS0_4arch9wavefront6targetE1EEEvT1_, .Lfunc_end7030-_ZN7rocprim17ROCPRIM_400000_NS6detail17trampoline_kernelINS0_14default_configENS1_20scan_config_selectorIiEEZZNS1_9scan_implILNS1_25lookback_scan_determinismE0ELb0ELb0ES3_N6thrust23THRUST_200600_302600_NS6detail15normal_iteratorINS9_10device_ptrIiEEEESE_i19const_ref_plus_mod3IiEiEEDaPvRmT3_T4_T5_mT6_P12ihipStream_tbENKUlT_T0_E_clISt17integral_constantIbLb1EEST_IbLb0EEEEDaSP_SQ_EUlSP_E0_NS1_11comp_targetILNS1_3genE10ELNS1_11target_archE1201ELNS1_3gpuE5ELNS1_3repE0EEENS1_30default_config_static_selectorELNS0_4arch9wavefront6targetE1EEEvT1_
                                        ; -- End function
	.section	.AMDGPU.csdata,"",@progbits
; Kernel info:
; codeLenInByte = 0
; NumSgprs: 4
; NumVgprs: 0
; NumAgprs: 0
; TotalNumVgprs: 0
; ScratchSize: 0
; MemoryBound: 0
; FloatMode: 240
; IeeeMode: 1
; LDSByteSize: 0 bytes/workgroup (compile time only)
; SGPRBlocks: 0
; VGPRBlocks: 0
; NumSGPRsForWavesPerEU: 4
; NumVGPRsForWavesPerEU: 1
; AccumOffset: 4
; Occupancy: 8
; WaveLimiterHint : 0
; COMPUTE_PGM_RSRC2:SCRATCH_EN: 0
; COMPUTE_PGM_RSRC2:USER_SGPR: 6
; COMPUTE_PGM_RSRC2:TRAP_HANDLER: 0
; COMPUTE_PGM_RSRC2:TGID_X_EN: 1
; COMPUTE_PGM_RSRC2:TGID_Y_EN: 0
; COMPUTE_PGM_RSRC2:TGID_Z_EN: 0
; COMPUTE_PGM_RSRC2:TIDIG_COMP_CNT: 0
; COMPUTE_PGM_RSRC3_GFX90A:ACCUM_OFFSET: 0
; COMPUTE_PGM_RSRC3_GFX90A:TG_SPLIT: 0
	.section	.text._ZN7rocprim17ROCPRIM_400000_NS6detail17trampoline_kernelINS0_14default_configENS1_20scan_config_selectorIiEEZZNS1_9scan_implILNS1_25lookback_scan_determinismE0ELb0ELb0ES3_N6thrust23THRUST_200600_302600_NS6detail15normal_iteratorINS9_10device_ptrIiEEEESE_i19const_ref_plus_mod3IiEiEEDaPvRmT3_T4_T5_mT6_P12ihipStream_tbENKUlT_T0_E_clISt17integral_constantIbLb1EEST_IbLb0EEEEDaSP_SQ_EUlSP_E0_NS1_11comp_targetILNS1_3genE10ELNS1_11target_archE1200ELNS1_3gpuE4ELNS1_3repE0EEENS1_30default_config_static_selectorELNS0_4arch9wavefront6targetE1EEEvT1_,"axG",@progbits,_ZN7rocprim17ROCPRIM_400000_NS6detail17trampoline_kernelINS0_14default_configENS1_20scan_config_selectorIiEEZZNS1_9scan_implILNS1_25lookback_scan_determinismE0ELb0ELb0ES3_N6thrust23THRUST_200600_302600_NS6detail15normal_iteratorINS9_10device_ptrIiEEEESE_i19const_ref_plus_mod3IiEiEEDaPvRmT3_T4_T5_mT6_P12ihipStream_tbENKUlT_T0_E_clISt17integral_constantIbLb1EEST_IbLb0EEEEDaSP_SQ_EUlSP_E0_NS1_11comp_targetILNS1_3genE10ELNS1_11target_archE1200ELNS1_3gpuE4ELNS1_3repE0EEENS1_30default_config_static_selectorELNS0_4arch9wavefront6targetE1EEEvT1_,comdat
	.protected	_ZN7rocprim17ROCPRIM_400000_NS6detail17trampoline_kernelINS0_14default_configENS1_20scan_config_selectorIiEEZZNS1_9scan_implILNS1_25lookback_scan_determinismE0ELb0ELb0ES3_N6thrust23THRUST_200600_302600_NS6detail15normal_iteratorINS9_10device_ptrIiEEEESE_i19const_ref_plus_mod3IiEiEEDaPvRmT3_T4_T5_mT6_P12ihipStream_tbENKUlT_T0_E_clISt17integral_constantIbLb1EEST_IbLb0EEEEDaSP_SQ_EUlSP_E0_NS1_11comp_targetILNS1_3genE10ELNS1_11target_archE1200ELNS1_3gpuE4ELNS1_3repE0EEENS1_30default_config_static_selectorELNS0_4arch9wavefront6targetE1EEEvT1_ ; -- Begin function _ZN7rocprim17ROCPRIM_400000_NS6detail17trampoline_kernelINS0_14default_configENS1_20scan_config_selectorIiEEZZNS1_9scan_implILNS1_25lookback_scan_determinismE0ELb0ELb0ES3_N6thrust23THRUST_200600_302600_NS6detail15normal_iteratorINS9_10device_ptrIiEEEESE_i19const_ref_plus_mod3IiEiEEDaPvRmT3_T4_T5_mT6_P12ihipStream_tbENKUlT_T0_E_clISt17integral_constantIbLb1EEST_IbLb0EEEEDaSP_SQ_EUlSP_E0_NS1_11comp_targetILNS1_3genE10ELNS1_11target_archE1200ELNS1_3gpuE4ELNS1_3repE0EEENS1_30default_config_static_selectorELNS0_4arch9wavefront6targetE1EEEvT1_
	.globl	_ZN7rocprim17ROCPRIM_400000_NS6detail17trampoline_kernelINS0_14default_configENS1_20scan_config_selectorIiEEZZNS1_9scan_implILNS1_25lookback_scan_determinismE0ELb0ELb0ES3_N6thrust23THRUST_200600_302600_NS6detail15normal_iteratorINS9_10device_ptrIiEEEESE_i19const_ref_plus_mod3IiEiEEDaPvRmT3_T4_T5_mT6_P12ihipStream_tbENKUlT_T0_E_clISt17integral_constantIbLb1EEST_IbLb0EEEEDaSP_SQ_EUlSP_E0_NS1_11comp_targetILNS1_3genE10ELNS1_11target_archE1200ELNS1_3gpuE4ELNS1_3repE0EEENS1_30default_config_static_selectorELNS0_4arch9wavefront6targetE1EEEvT1_
	.p2align	8
	.type	_ZN7rocprim17ROCPRIM_400000_NS6detail17trampoline_kernelINS0_14default_configENS1_20scan_config_selectorIiEEZZNS1_9scan_implILNS1_25lookback_scan_determinismE0ELb0ELb0ES3_N6thrust23THRUST_200600_302600_NS6detail15normal_iteratorINS9_10device_ptrIiEEEESE_i19const_ref_plus_mod3IiEiEEDaPvRmT3_T4_T5_mT6_P12ihipStream_tbENKUlT_T0_E_clISt17integral_constantIbLb1EEST_IbLb0EEEEDaSP_SQ_EUlSP_E0_NS1_11comp_targetILNS1_3genE10ELNS1_11target_archE1200ELNS1_3gpuE4ELNS1_3repE0EEENS1_30default_config_static_selectorELNS0_4arch9wavefront6targetE1EEEvT1_,@function
_ZN7rocprim17ROCPRIM_400000_NS6detail17trampoline_kernelINS0_14default_configENS1_20scan_config_selectorIiEEZZNS1_9scan_implILNS1_25lookback_scan_determinismE0ELb0ELb0ES3_N6thrust23THRUST_200600_302600_NS6detail15normal_iteratorINS9_10device_ptrIiEEEESE_i19const_ref_plus_mod3IiEiEEDaPvRmT3_T4_T5_mT6_P12ihipStream_tbENKUlT_T0_E_clISt17integral_constantIbLb1EEST_IbLb0EEEEDaSP_SQ_EUlSP_E0_NS1_11comp_targetILNS1_3genE10ELNS1_11target_archE1200ELNS1_3gpuE4ELNS1_3repE0EEENS1_30default_config_static_selectorELNS0_4arch9wavefront6targetE1EEEvT1_: ; @_ZN7rocprim17ROCPRIM_400000_NS6detail17trampoline_kernelINS0_14default_configENS1_20scan_config_selectorIiEEZZNS1_9scan_implILNS1_25lookback_scan_determinismE0ELb0ELb0ES3_N6thrust23THRUST_200600_302600_NS6detail15normal_iteratorINS9_10device_ptrIiEEEESE_i19const_ref_plus_mod3IiEiEEDaPvRmT3_T4_T5_mT6_P12ihipStream_tbENKUlT_T0_E_clISt17integral_constantIbLb1EEST_IbLb0EEEEDaSP_SQ_EUlSP_E0_NS1_11comp_targetILNS1_3genE10ELNS1_11target_archE1200ELNS1_3gpuE4ELNS1_3repE0EEENS1_30default_config_static_selectorELNS0_4arch9wavefront6targetE1EEEvT1_
; %bb.0:
	.section	.rodata,"a",@progbits
	.p2align	6, 0x0
	.amdhsa_kernel _ZN7rocprim17ROCPRIM_400000_NS6detail17trampoline_kernelINS0_14default_configENS1_20scan_config_selectorIiEEZZNS1_9scan_implILNS1_25lookback_scan_determinismE0ELb0ELb0ES3_N6thrust23THRUST_200600_302600_NS6detail15normal_iteratorINS9_10device_ptrIiEEEESE_i19const_ref_plus_mod3IiEiEEDaPvRmT3_T4_T5_mT6_P12ihipStream_tbENKUlT_T0_E_clISt17integral_constantIbLb1EEST_IbLb0EEEEDaSP_SQ_EUlSP_E0_NS1_11comp_targetILNS1_3genE10ELNS1_11target_archE1200ELNS1_3gpuE4ELNS1_3repE0EEENS1_30default_config_static_selectorELNS0_4arch9wavefront6targetE1EEEvT1_
		.amdhsa_group_segment_fixed_size 0
		.amdhsa_private_segment_fixed_size 0
		.amdhsa_kernarg_size 40
		.amdhsa_user_sgpr_count 6
		.amdhsa_user_sgpr_private_segment_buffer 1
		.amdhsa_user_sgpr_dispatch_ptr 0
		.amdhsa_user_sgpr_queue_ptr 0
		.amdhsa_user_sgpr_kernarg_segment_ptr 1
		.amdhsa_user_sgpr_dispatch_id 0
		.amdhsa_user_sgpr_flat_scratch_init 0
		.amdhsa_user_sgpr_kernarg_preload_length 0
		.amdhsa_user_sgpr_kernarg_preload_offset 0
		.amdhsa_user_sgpr_private_segment_size 0
		.amdhsa_uses_dynamic_stack 0
		.amdhsa_system_sgpr_private_segment_wavefront_offset 0
		.amdhsa_system_sgpr_workgroup_id_x 1
		.amdhsa_system_sgpr_workgroup_id_y 0
		.amdhsa_system_sgpr_workgroup_id_z 0
		.amdhsa_system_sgpr_workgroup_info 0
		.amdhsa_system_vgpr_workitem_id 0
		.amdhsa_next_free_vgpr 1
		.amdhsa_next_free_sgpr 0
		.amdhsa_accum_offset 4
		.amdhsa_reserve_vcc 0
		.amdhsa_reserve_flat_scratch 0
		.amdhsa_float_round_mode_32 0
		.amdhsa_float_round_mode_16_64 0
		.amdhsa_float_denorm_mode_32 3
		.amdhsa_float_denorm_mode_16_64 3
		.amdhsa_dx10_clamp 1
		.amdhsa_ieee_mode 1
		.amdhsa_fp16_overflow 0
		.amdhsa_tg_split 0
		.amdhsa_exception_fp_ieee_invalid_op 0
		.amdhsa_exception_fp_denorm_src 0
		.amdhsa_exception_fp_ieee_div_zero 0
		.amdhsa_exception_fp_ieee_overflow 0
		.amdhsa_exception_fp_ieee_underflow 0
		.amdhsa_exception_fp_ieee_inexact 0
		.amdhsa_exception_int_div_zero 0
	.end_amdhsa_kernel
	.section	.text._ZN7rocprim17ROCPRIM_400000_NS6detail17trampoline_kernelINS0_14default_configENS1_20scan_config_selectorIiEEZZNS1_9scan_implILNS1_25lookback_scan_determinismE0ELb0ELb0ES3_N6thrust23THRUST_200600_302600_NS6detail15normal_iteratorINS9_10device_ptrIiEEEESE_i19const_ref_plus_mod3IiEiEEDaPvRmT3_T4_T5_mT6_P12ihipStream_tbENKUlT_T0_E_clISt17integral_constantIbLb1EEST_IbLb0EEEEDaSP_SQ_EUlSP_E0_NS1_11comp_targetILNS1_3genE10ELNS1_11target_archE1200ELNS1_3gpuE4ELNS1_3repE0EEENS1_30default_config_static_selectorELNS0_4arch9wavefront6targetE1EEEvT1_,"axG",@progbits,_ZN7rocprim17ROCPRIM_400000_NS6detail17trampoline_kernelINS0_14default_configENS1_20scan_config_selectorIiEEZZNS1_9scan_implILNS1_25lookback_scan_determinismE0ELb0ELb0ES3_N6thrust23THRUST_200600_302600_NS6detail15normal_iteratorINS9_10device_ptrIiEEEESE_i19const_ref_plus_mod3IiEiEEDaPvRmT3_T4_T5_mT6_P12ihipStream_tbENKUlT_T0_E_clISt17integral_constantIbLb1EEST_IbLb0EEEEDaSP_SQ_EUlSP_E0_NS1_11comp_targetILNS1_3genE10ELNS1_11target_archE1200ELNS1_3gpuE4ELNS1_3repE0EEENS1_30default_config_static_selectorELNS0_4arch9wavefront6targetE1EEEvT1_,comdat
.Lfunc_end7031:
	.size	_ZN7rocprim17ROCPRIM_400000_NS6detail17trampoline_kernelINS0_14default_configENS1_20scan_config_selectorIiEEZZNS1_9scan_implILNS1_25lookback_scan_determinismE0ELb0ELb0ES3_N6thrust23THRUST_200600_302600_NS6detail15normal_iteratorINS9_10device_ptrIiEEEESE_i19const_ref_plus_mod3IiEiEEDaPvRmT3_T4_T5_mT6_P12ihipStream_tbENKUlT_T0_E_clISt17integral_constantIbLb1EEST_IbLb0EEEEDaSP_SQ_EUlSP_E0_NS1_11comp_targetILNS1_3genE10ELNS1_11target_archE1200ELNS1_3gpuE4ELNS1_3repE0EEENS1_30default_config_static_selectorELNS0_4arch9wavefront6targetE1EEEvT1_, .Lfunc_end7031-_ZN7rocprim17ROCPRIM_400000_NS6detail17trampoline_kernelINS0_14default_configENS1_20scan_config_selectorIiEEZZNS1_9scan_implILNS1_25lookback_scan_determinismE0ELb0ELb0ES3_N6thrust23THRUST_200600_302600_NS6detail15normal_iteratorINS9_10device_ptrIiEEEESE_i19const_ref_plus_mod3IiEiEEDaPvRmT3_T4_T5_mT6_P12ihipStream_tbENKUlT_T0_E_clISt17integral_constantIbLb1EEST_IbLb0EEEEDaSP_SQ_EUlSP_E0_NS1_11comp_targetILNS1_3genE10ELNS1_11target_archE1200ELNS1_3gpuE4ELNS1_3repE0EEENS1_30default_config_static_selectorELNS0_4arch9wavefront6targetE1EEEvT1_
                                        ; -- End function
	.section	.AMDGPU.csdata,"",@progbits
; Kernel info:
; codeLenInByte = 0
; NumSgprs: 4
; NumVgprs: 0
; NumAgprs: 0
; TotalNumVgprs: 0
; ScratchSize: 0
; MemoryBound: 0
; FloatMode: 240
; IeeeMode: 1
; LDSByteSize: 0 bytes/workgroup (compile time only)
; SGPRBlocks: 0
; VGPRBlocks: 0
; NumSGPRsForWavesPerEU: 4
; NumVGPRsForWavesPerEU: 1
; AccumOffset: 4
; Occupancy: 8
; WaveLimiterHint : 0
; COMPUTE_PGM_RSRC2:SCRATCH_EN: 0
; COMPUTE_PGM_RSRC2:USER_SGPR: 6
; COMPUTE_PGM_RSRC2:TRAP_HANDLER: 0
; COMPUTE_PGM_RSRC2:TGID_X_EN: 1
; COMPUTE_PGM_RSRC2:TGID_Y_EN: 0
; COMPUTE_PGM_RSRC2:TGID_Z_EN: 0
; COMPUTE_PGM_RSRC2:TIDIG_COMP_CNT: 0
; COMPUTE_PGM_RSRC3_GFX90A:ACCUM_OFFSET: 0
; COMPUTE_PGM_RSRC3_GFX90A:TG_SPLIT: 0
	.section	.text._ZN7rocprim17ROCPRIM_400000_NS6detail17trampoline_kernelINS0_14default_configENS1_20scan_config_selectorIiEEZZNS1_9scan_implILNS1_25lookback_scan_determinismE0ELb0ELb0ES3_N6thrust23THRUST_200600_302600_NS6detail15normal_iteratorINS9_10device_ptrIiEEEESE_i19const_ref_plus_mod3IiEiEEDaPvRmT3_T4_T5_mT6_P12ihipStream_tbENKUlT_T0_E_clISt17integral_constantIbLb1EEST_IbLb0EEEEDaSP_SQ_EUlSP_E0_NS1_11comp_targetILNS1_3genE9ELNS1_11target_archE1100ELNS1_3gpuE3ELNS1_3repE0EEENS1_30default_config_static_selectorELNS0_4arch9wavefront6targetE1EEEvT1_,"axG",@progbits,_ZN7rocprim17ROCPRIM_400000_NS6detail17trampoline_kernelINS0_14default_configENS1_20scan_config_selectorIiEEZZNS1_9scan_implILNS1_25lookback_scan_determinismE0ELb0ELb0ES3_N6thrust23THRUST_200600_302600_NS6detail15normal_iteratorINS9_10device_ptrIiEEEESE_i19const_ref_plus_mod3IiEiEEDaPvRmT3_T4_T5_mT6_P12ihipStream_tbENKUlT_T0_E_clISt17integral_constantIbLb1EEST_IbLb0EEEEDaSP_SQ_EUlSP_E0_NS1_11comp_targetILNS1_3genE9ELNS1_11target_archE1100ELNS1_3gpuE3ELNS1_3repE0EEENS1_30default_config_static_selectorELNS0_4arch9wavefront6targetE1EEEvT1_,comdat
	.protected	_ZN7rocprim17ROCPRIM_400000_NS6detail17trampoline_kernelINS0_14default_configENS1_20scan_config_selectorIiEEZZNS1_9scan_implILNS1_25lookback_scan_determinismE0ELb0ELb0ES3_N6thrust23THRUST_200600_302600_NS6detail15normal_iteratorINS9_10device_ptrIiEEEESE_i19const_ref_plus_mod3IiEiEEDaPvRmT3_T4_T5_mT6_P12ihipStream_tbENKUlT_T0_E_clISt17integral_constantIbLb1EEST_IbLb0EEEEDaSP_SQ_EUlSP_E0_NS1_11comp_targetILNS1_3genE9ELNS1_11target_archE1100ELNS1_3gpuE3ELNS1_3repE0EEENS1_30default_config_static_selectorELNS0_4arch9wavefront6targetE1EEEvT1_ ; -- Begin function _ZN7rocprim17ROCPRIM_400000_NS6detail17trampoline_kernelINS0_14default_configENS1_20scan_config_selectorIiEEZZNS1_9scan_implILNS1_25lookback_scan_determinismE0ELb0ELb0ES3_N6thrust23THRUST_200600_302600_NS6detail15normal_iteratorINS9_10device_ptrIiEEEESE_i19const_ref_plus_mod3IiEiEEDaPvRmT3_T4_T5_mT6_P12ihipStream_tbENKUlT_T0_E_clISt17integral_constantIbLb1EEST_IbLb0EEEEDaSP_SQ_EUlSP_E0_NS1_11comp_targetILNS1_3genE9ELNS1_11target_archE1100ELNS1_3gpuE3ELNS1_3repE0EEENS1_30default_config_static_selectorELNS0_4arch9wavefront6targetE1EEEvT1_
	.globl	_ZN7rocprim17ROCPRIM_400000_NS6detail17trampoline_kernelINS0_14default_configENS1_20scan_config_selectorIiEEZZNS1_9scan_implILNS1_25lookback_scan_determinismE0ELb0ELb0ES3_N6thrust23THRUST_200600_302600_NS6detail15normal_iteratorINS9_10device_ptrIiEEEESE_i19const_ref_plus_mod3IiEiEEDaPvRmT3_T4_T5_mT6_P12ihipStream_tbENKUlT_T0_E_clISt17integral_constantIbLb1EEST_IbLb0EEEEDaSP_SQ_EUlSP_E0_NS1_11comp_targetILNS1_3genE9ELNS1_11target_archE1100ELNS1_3gpuE3ELNS1_3repE0EEENS1_30default_config_static_selectorELNS0_4arch9wavefront6targetE1EEEvT1_
	.p2align	8
	.type	_ZN7rocprim17ROCPRIM_400000_NS6detail17trampoline_kernelINS0_14default_configENS1_20scan_config_selectorIiEEZZNS1_9scan_implILNS1_25lookback_scan_determinismE0ELb0ELb0ES3_N6thrust23THRUST_200600_302600_NS6detail15normal_iteratorINS9_10device_ptrIiEEEESE_i19const_ref_plus_mod3IiEiEEDaPvRmT3_T4_T5_mT6_P12ihipStream_tbENKUlT_T0_E_clISt17integral_constantIbLb1EEST_IbLb0EEEEDaSP_SQ_EUlSP_E0_NS1_11comp_targetILNS1_3genE9ELNS1_11target_archE1100ELNS1_3gpuE3ELNS1_3repE0EEENS1_30default_config_static_selectorELNS0_4arch9wavefront6targetE1EEEvT1_,@function
_ZN7rocprim17ROCPRIM_400000_NS6detail17trampoline_kernelINS0_14default_configENS1_20scan_config_selectorIiEEZZNS1_9scan_implILNS1_25lookback_scan_determinismE0ELb0ELb0ES3_N6thrust23THRUST_200600_302600_NS6detail15normal_iteratorINS9_10device_ptrIiEEEESE_i19const_ref_plus_mod3IiEiEEDaPvRmT3_T4_T5_mT6_P12ihipStream_tbENKUlT_T0_E_clISt17integral_constantIbLb1EEST_IbLb0EEEEDaSP_SQ_EUlSP_E0_NS1_11comp_targetILNS1_3genE9ELNS1_11target_archE1100ELNS1_3gpuE3ELNS1_3repE0EEENS1_30default_config_static_selectorELNS0_4arch9wavefront6targetE1EEEvT1_: ; @_ZN7rocprim17ROCPRIM_400000_NS6detail17trampoline_kernelINS0_14default_configENS1_20scan_config_selectorIiEEZZNS1_9scan_implILNS1_25lookback_scan_determinismE0ELb0ELb0ES3_N6thrust23THRUST_200600_302600_NS6detail15normal_iteratorINS9_10device_ptrIiEEEESE_i19const_ref_plus_mod3IiEiEEDaPvRmT3_T4_T5_mT6_P12ihipStream_tbENKUlT_T0_E_clISt17integral_constantIbLb1EEST_IbLb0EEEEDaSP_SQ_EUlSP_E0_NS1_11comp_targetILNS1_3genE9ELNS1_11target_archE1100ELNS1_3gpuE3ELNS1_3repE0EEENS1_30default_config_static_selectorELNS0_4arch9wavefront6targetE1EEEvT1_
; %bb.0:
	.section	.rodata,"a",@progbits
	.p2align	6, 0x0
	.amdhsa_kernel _ZN7rocprim17ROCPRIM_400000_NS6detail17trampoline_kernelINS0_14default_configENS1_20scan_config_selectorIiEEZZNS1_9scan_implILNS1_25lookback_scan_determinismE0ELb0ELb0ES3_N6thrust23THRUST_200600_302600_NS6detail15normal_iteratorINS9_10device_ptrIiEEEESE_i19const_ref_plus_mod3IiEiEEDaPvRmT3_T4_T5_mT6_P12ihipStream_tbENKUlT_T0_E_clISt17integral_constantIbLb1EEST_IbLb0EEEEDaSP_SQ_EUlSP_E0_NS1_11comp_targetILNS1_3genE9ELNS1_11target_archE1100ELNS1_3gpuE3ELNS1_3repE0EEENS1_30default_config_static_selectorELNS0_4arch9wavefront6targetE1EEEvT1_
		.amdhsa_group_segment_fixed_size 0
		.amdhsa_private_segment_fixed_size 0
		.amdhsa_kernarg_size 40
		.amdhsa_user_sgpr_count 6
		.amdhsa_user_sgpr_private_segment_buffer 1
		.amdhsa_user_sgpr_dispatch_ptr 0
		.amdhsa_user_sgpr_queue_ptr 0
		.amdhsa_user_sgpr_kernarg_segment_ptr 1
		.amdhsa_user_sgpr_dispatch_id 0
		.amdhsa_user_sgpr_flat_scratch_init 0
		.amdhsa_user_sgpr_kernarg_preload_length 0
		.amdhsa_user_sgpr_kernarg_preload_offset 0
		.amdhsa_user_sgpr_private_segment_size 0
		.amdhsa_uses_dynamic_stack 0
		.amdhsa_system_sgpr_private_segment_wavefront_offset 0
		.amdhsa_system_sgpr_workgroup_id_x 1
		.amdhsa_system_sgpr_workgroup_id_y 0
		.amdhsa_system_sgpr_workgroup_id_z 0
		.amdhsa_system_sgpr_workgroup_info 0
		.amdhsa_system_vgpr_workitem_id 0
		.amdhsa_next_free_vgpr 1
		.amdhsa_next_free_sgpr 0
		.amdhsa_accum_offset 4
		.amdhsa_reserve_vcc 0
		.amdhsa_reserve_flat_scratch 0
		.amdhsa_float_round_mode_32 0
		.amdhsa_float_round_mode_16_64 0
		.amdhsa_float_denorm_mode_32 3
		.amdhsa_float_denorm_mode_16_64 3
		.amdhsa_dx10_clamp 1
		.amdhsa_ieee_mode 1
		.amdhsa_fp16_overflow 0
		.amdhsa_tg_split 0
		.amdhsa_exception_fp_ieee_invalid_op 0
		.amdhsa_exception_fp_denorm_src 0
		.amdhsa_exception_fp_ieee_div_zero 0
		.amdhsa_exception_fp_ieee_overflow 0
		.amdhsa_exception_fp_ieee_underflow 0
		.amdhsa_exception_fp_ieee_inexact 0
		.amdhsa_exception_int_div_zero 0
	.end_amdhsa_kernel
	.section	.text._ZN7rocprim17ROCPRIM_400000_NS6detail17trampoline_kernelINS0_14default_configENS1_20scan_config_selectorIiEEZZNS1_9scan_implILNS1_25lookback_scan_determinismE0ELb0ELb0ES3_N6thrust23THRUST_200600_302600_NS6detail15normal_iteratorINS9_10device_ptrIiEEEESE_i19const_ref_plus_mod3IiEiEEDaPvRmT3_T4_T5_mT6_P12ihipStream_tbENKUlT_T0_E_clISt17integral_constantIbLb1EEST_IbLb0EEEEDaSP_SQ_EUlSP_E0_NS1_11comp_targetILNS1_3genE9ELNS1_11target_archE1100ELNS1_3gpuE3ELNS1_3repE0EEENS1_30default_config_static_selectorELNS0_4arch9wavefront6targetE1EEEvT1_,"axG",@progbits,_ZN7rocprim17ROCPRIM_400000_NS6detail17trampoline_kernelINS0_14default_configENS1_20scan_config_selectorIiEEZZNS1_9scan_implILNS1_25lookback_scan_determinismE0ELb0ELb0ES3_N6thrust23THRUST_200600_302600_NS6detail15normal_iteratorINS9_10device_ptrIiEEEESE_i19const_ref_plus_mod3IiEiEEDaPvRmT3_T4_T5_mT6_P12ihipStream_tbENKUlT_T0_E_clISt17integral_constantIbLb1EEST_IbLb0EEEEDaSP_SQ_EUlSP_E0_NS1_11comp_targetILNS1_3genE9ELNS1_11target_archE1100ELNS1_3gpuE3ELNS1_3repE0EEENS1_30default_config_static_selectorELNS0_4arch9wavefront6targetE1EEEvT1_,comdat
.Lfunc_end7032:
	.size	_ZN7rocprim17ROCPRIM_400000_NS6detail17trampoline_kernelINS0_14default_configENS1_20scan_config_selectorIiEEZZNS1_9scan_implILNS1_25lookback_scan_determinismE0ELb0ELb0ES3_N6thrust23THRUST_200600_302600_NS6detail15normal_iteratorINS9_10device_ptrIiEEEESE_i19const_ref_plus_mod3IiEiEEDaPvRmT3_T4_T5_mT6_P12ihipStream_tbENKUlT_T0_E_clISt17integral_constantIbLb1EEST_IbLb0EEEEDaSP_SQ_EUlSP_E0_NS1_11comp_targetILNS1_3genE9ELNS1_11target_archE1100ELNS1_3gpuE3ELNS1_3repE0EEENS1_30default_config_static_selectorELNS0_4arch9wavefront6targetE1EEEvT1_, .Lfunc_end7032-_ZN7rocprim17ROCPRIM_400000_NS6detail17trampoline_kernelINS0_14default_configENS1_20scan_config_selectorIiEEZZNS1_9scan_implILNS1_25lookback_scan_determinismE0ELb0ELb0ES3_N6thrust23THRUST_200600_302600_NS6detail15normal_iteratorINS9_10device_ptrIiEEEESE_i19const_ref_plus_mod3IiEiEEDaPvRmT3_T4_T5_mT6_P12ihipStream_tbENKUlT_T0_E_clISt17integral_constantIbLb1EEST_IbLb0EEEEDaSP_SQ_EUlSP_E0_NS1_11comp_targetILNS1_3genE9ELNS1_11target_archE1100ELNS1_3gpuE3ELNS1_3repE0EEENS1_30default_config_static_selectorELNS0_4arch9wavefront6targetE1EEEvT1_
                                        ; -- End function
	.section	.AMDGPU.csdata,"",@progbits
; Kernel info:
; codeLenInByte = 0
; NumSgprs: 4
; NumVgprs: 0
; NumAgprs: 0
; TotalNumVgprs: 0
; ScratchSize: 0
; MemoryBound: 0
; FloatMode: 240
; IeeeMode: 1
; LDSByteSize: 0 bytes/workgroup (compile time only)
; SGPRBlocks: 0
; VGPRBlocks: 0
; NumSGPRsForWavesPerEU: 4
; NumVGPRsForWavesPerEU: 1
; AccumOffset: 4
; Occupancy: 8
; WaveLimiterHint : 0
; COMPUTE_PGM_RSRC2:SCRATCH_EN: 0
; COMPUTE_PGM_RSRC2:USER_SGPR: 6
; COMPUTE_PGM_RSRC2:TRAP_HANDLER: 0
; COMPUTE_PGM_RSRC2:TGID_X_EN: 1
; COMPUTE_PGM_RSRC2:TGID_Y_EN: 0
; COMPUTE_PGM_RSRC2:TGID_Z_EN: 0
; COMPUTE_PGM_RSRC2:TIDIG_COMP_CNT: 0
; COMPUTE_PGM_RSRC3_GFX90A:ACCUM_OFFSET: 0
; COMPUTE_PGM_RSRC3_GFX90A:TG_SPLIT: 0
	.section	.text._ZN7rocprim17ROCPRIM_400000_NS6detail17trampoline_kernelINS0_14default_configENS1_20scan_config_selectorIiEEZZNS1_9scan_implILNS1_25lookback_scan_determinismE0ELb0ELb0ES3_N6thrust23THRUST_200600_302600_NS6detail15normal_iteratorINS9_10device_ptrIiEEEESE_i19const_ref_plus_mod3IiEiEEDaPvRmT3_T4_T5_mT6_P12ihipStream_tbENKUlT_T0_E_clISt17integral_constantIbLb1EEST_IbLb0EEEEDaSP_SQ_EUlSP_E0_NS1_11comp_targetILNS1_3genE8ELNS1_11target_archE1030ELNS1_3gpuE2ELNS1_3repE0EEENS1_30default_config_static_selectorELNS0_4arch9wavefront6targetE1EEEvT1_,"axG",@progbits,_ZN7rocprim17ROCPRIM_400000_NS6detail17trampoline_kernelINS0_14default_configENS1_20scan_config_selectorIiEEZZNS1_9scan_implILNS1_25lookback_scan_determinismE0ELb0ELb0ES3_N6thrust23THRUST_200600_302600_NS6detail15normal_iteratorINS9_10device_ptrIiEEEESE_i19const_ref_plus_mod3IiEiEEDaPvRmT3_T4_T5_mT6_P12ihipStream_tbENKUlT_T0_E_clISt17integral_constantIbLb1EEST_IbLb0EEEEDaSP_SQ_EUlSP_E0_NS1_11comp_targetILNS1_3genE8ELNS1_11target_archE1030ELNS1_3gpuE2ELNS1_3repE0EEENS1_30default_config_static_selectorELNS0_4arch9wavefront6targetE1EEEvT1_,comdat
	.protected	_ZN7rocprim17ROCPRIM_400000_NS6detail17trampoline_kernelINS0_14default_configENS1_20scan_config_selectorIiEEZZNS1_9scan_implILNS1_25lookback_scan_determinismE0ELb0ELb0ES3_N6thrust23THRUST_200600_302600_NS6detail15normal_iteratorINS9_10device_ptrIiEEEESE_i19const_ref_plus_mod3IiEiEEDaPvRmT3_T4_T5_mT6_P12ihipStream_tbENKUlT_T0_E_clISt17integral_constantIbLb1EEST_IbLb0EEEEDaSP_SQ_EUlSP_E0_NS1_11comp_targetILNS1_3genE8ELNS1_11target_archE1030ELNS1_3gpuE2ELNS1_3repE0EEENS1_30default_config_static_selectorELNS0_4arch9wavefront6targetE1EEEvT1_ ; -- Begin function _ZN7rocprim17ROCPRIM_400000_NS6detail17trampoline_kernelINS0_14default_configENS1_20scan_config_selectorIiEEZZNS1_9scan_implILNS1_25lookback_scan_determinismE0ELb0ELb0ES3_N6thrust23THRUST_200600_302600_NS6detail15normal_iteratorINS9_10device_ptrIiEEEESE_i19const_ref_plus_mod3IiEiEEDaPvRmT3_T4_T5_mT6_P12ihipStream_tbENKUlT_T0_E_clISt17integral_constantIbLb1EEST_IbLb0EEEEDaSP_SQ_EUlSP_E0_NS1_11comp_targetILNS1_3genE8ELNS1_11target_archE1030ELNS1_3gpuE2ELNS1_3repE0EEENS1_30default_config_static_selectorELNS0_4arch9wavefront6targetE1EEEvT1_
	.globl	_ZN7rocprim17ROCPRIM_400000_NS6detail17trampoline_kernelINS0_14default_configENS1_20scan_config_selectorIiEEZZNS1_9scan_implILNS1_25lookback_scan_determinismE0ELb0ELb0ES3_N6thrust23THRUST_200600_302600_NS6detail15normal_iteratorINS9_10device_ptrIiEEEESE_i19const_ref_plus_mod3IiEiEEDaPvRmT3_T4_T5_mT6_P12ihipStream_tbENKUlT_T0_E_clISt17integral_constantIbLb1EEST_IbLb0EEEEDaSP_SQ_EUlSP_E0_NS1_11comp_targetILNS1_3genE8ELNS1_11target_archE1030ELNS1_3gpuE2ELNS1_3repE0EEENS1_30default_config_static_selectorELNS0_4arch9wavefront6targetE1EEEvT1_
	.p2align	8
	.type	_ZN7rocprim17ROCPRIM_400000_NS6detail17trampoline_kernelINS0_14default_configENS1_20scan_config_selectorIiEEZZNS1_9scan_implILNS1_25lookback_scan_determinismE0ELb0ELb0ES3_N6thrust23THRUST_200600_302600_NS6detail15normal_iteratorINS9_10device_ptrIiEEEESE_i19const_ref_plus_mod3IiEiEEDaPvRmT3_T4_T5_mT6_P12ihipStream_tbENKUlT_T0_E_clISt17integral_constantIbLb1EEST_IbLb0EEEEDaSP_SQ_EUlSP_E0_NS1_11comp_targetILNS1_3genE8ELNS1_11target_archE1030ELNS1_3gpuE2ELNS1_3repE0EEENS1_30default_config_static_selectorELNS0_4arch9wavefront6targetE1EEEvT1_,@function
_ZN7rocprim17ROCPRIM_400000_NS6detail17trampoline_kernelINS0_14default_configENS1_20scan_config_selectorIiEEZZNS1_9scan_implILNS1_25lookback_scan_determinismE0ELb0ELb0ES3_N6thrust23THRUST_200600_302600_NS6detail15normal_iteratorINS9_10device_ptrIiEEEESE_i19const_ref_plus_mod3IiEiEEDaPvRmT3_T4_T5_mT6_P12ihipStream_tbENKUlT_T0_E_clISt17integral_constantIbLb1EEST_IbLb0EEEEDaSP_SQ_EUlSP_E0_NS1_11comp_targetILNS1_3genE8ELNS1_11target_archE1030ELNS1_3gpuE2ELNS1_3repE0EEENS1_30default_config_static_selectorELNS0_4arch9wavefront6targetE1EEEvT1_: ; @_ZN7rocprim17ROCPRIM_400000_NS6detail17trampoline_kernelINS0_14default_configENS1_20scan_config_selectorIiEEZZNS1_9scan_implILNS1_25lookback_scan_determinismE0ELb0ELb0ES3_N6thrust23THRUST_200600_302600_NS6detail15normal_iteratorINS9_10device_ptrIiEEEESE_i19const_ref_plus_mod3IiEiEEDaPvRmT3_T4_T5_mT6_P12ihipStream_tbENKUlT_T0_E_clISt17integral_constantIbLb1EEST_IbLb0EEEEDaSP_SQ_EUlSP_E0_NS1_11comp_targetILNS1_3genE8ELNS1_11target_archE1030ELNS1_3gpuE2ELNS1_3repE0EEENS1_30default_config_static_selectorELNS0_4arch9wavefront6targetE1EEEvT1_
; %bb.0:
	.section	.rodata,"a",@progbits
	.p2align	6, 0x0
	.amdhsa_kernel _ZN7rocprim17ROCPRIM_400000_NS6detail17trampoline_kernelINS0_14default_configENS1_20scan_config_selectorIiEEZZNS1_9scan_implILNS1_25lookback_scan_determinismE0ELb0ELb0ES3_N6thrust23THRUST_200600_302600_NS6detail15normal_iteratorINS9_10device_ptrIiEEEESE_i19const_ref_plus_mod3IiEiEEDaPvRmT3_T4_T5_mT6_P12ihipStream_tbENKUlT_T0_E_clISt17integral_constantIbLb1EEST_IbLb0EEEEDaSP_SQ_EUlSP_E0_NS1_11comp_targetILNS1_3genE8ELNS1_11target_archE1030ELNS1_3gpuE2ELNS1_3repE0EEENS1_30default_config_static_selectorELNS0_4arch9wavefront6targetE1EEEvT1_
		.amdhsa_group_segment_fixed_size 0
		.amdhsa_private_segment_fixed_size 0
		.amdhsa_kernarg_size 40
		.amdhsa_user_sgpr_count 6
		.amdhsa_user_sgpr_private_segment_buffer 1
		.amdhsa_user_sgpr_dispatch_ptr 0
		.amdhsa_user_sgpr_queue_ptr 0
		.amdhsa_user_sgpr_kernarg_segment_ptr 1
		.amdhsa_user_sgpr_dispatch_id 0
		.amdhsa_user_sgpr_flat_scratch_init 0
		.amdhsa_user_sgpr_kernarg_preload_length 0
		.amdhsa_user_sgpr_kernarg_preload_offset 0
		.amdhsa_user_sgpr_private_segment_size 0
		.amdhsa_uses_dynamic_stack 0
		.amdhsa_system_sgpr_private_segment_wavefront_offset 0
		.amdhsa_system_sgpr_workgroup_id_x 1
		.amdhsa_system_sgpr_workgroup_id_y 0
		.amdhsa_system_sgpr_workgroup_id_z 0
		.amdhsa_system_sgpr_workgroup_info 0
		.amdhsa_system_vgpr_workitem_id 0
		.amdhsa_next_free_vgpr 1
		.amdhsa_next_free_sgpr 0
		.amdhsa_accum_offset 4
		.amdhsa_reserve_vcc 0
		.amdhsa_reserve_flat_scratch 0
		.amdhsa_float_round_mode_32 0
		.amdhsa_float_round_mode_16_64 0
		.amdhsa_float_denorm_mode_32 3
		.amdhsa_float_denorm_mode_16_64 3
		.amdhsa_dx10_clamp 1
		.amdhsa_ieee_mode 1
		.amdhsa_fp16_overflow 0
		.amdhsa_tg_split 0
		.amdhsa_exception_fp_ieee_invalid_op 0
		.amdhsa_exception_fp_denorm_src 0
		.amdhsa_exception_fp_ieee_div_zero 0
		.amdhsa_exception_fp_ieee_overflow 0
		.amdhsa_exception_fp_ieee_underflow 0
		.amdhsa_exception_fp_ieee_inexact 0
		.amdhsa_exception_int_div_zero 0
	.end_amdhsa_kernel
	.section	.text._ZN7rocprim17ROCPRIM_400000_NS6detail17trampoline_kernelINS0_14default_configENS1_20scan_config_selectorIiEEZZNS1_9scan_implILNS1_25lookback_scan_determinismE0ELb0ELb0ES3_N6thrust23THRUST_200600_302600_NS6detail15normal_iteratorINS9_10device_ptrIiEEEESE_i19const_ref_plus_mod3IiEiEEDaPvRmT3_T4_T5_mT6_P12ihipStream_tbENKUlT_T0_E_clISt17integral_constantIbLb1EEST_IbLb0EEEEDaSP_SQ_EUlSP_E0_NS1_11comp_targetILNS1_3genE8ELNS1_11target_archE1030ELNS1_3gpuE2ELNS1_3repE0EEENS1_30default_config_static_selectorELNS0_4arch9wavefront6targetE1EEEvT1_,"axG",@progbits,_ZN7rocprim17ROCPRIM_400000_NS6detail17trampoline_kernelINS0_14default_configENS1_20scan_config_selectorIiEEZZNS1_9scan_implILNS1_25lookback_scan_determinismE0ELb0ELb0ES3_N6thrust23THRUST_200600_302600_NS6detail15normal_iteratorINS9_10device_ptrIiEEEESE_i19const_ref_plus_mod3IiEiEEDaPvRmT3_T4_T5_mT6_P12ihipStream_tbENKUlT_T0_E_clISt17integral_constantIbLb1EEST_IbLb0EEEEDaSP_SQ_EUlSP_E0_NS1_11comp_targetILNS1_3genE8ELNS1_11target_archE1030ELNS1_3gpuE2ELNS1_3repE0EEENS1_30default_config_static_selectorELNS0_4arch9wavefront6targetE1EEEvT1_,comdat
.Lfunc_end7033:
	.size	_ZN7rocprim17ROCPRIM_400000_NS6detail17trampoline_kernelINS0_14default_configENS1_20scan_config_selectorIiEEZZNS1_9scan_implILNS1_25lookback_scan_determinismE0ELb0ELb0ES3_N6thrust23THRUST_200600_302600_NS6detail15normal_iteratorINS9_10device_ptrIiEEEESE_i19const_ref_plus_mod3IiEiEEDaPvRmT3_T4_T5_mT6_P12ihipStream_tbENKUlT_T0_E_clISt17integral_constantIbLb1EEST_IbLb0EEEEDaSP_SQ_EUlSP_E0_NS1_11comp_targetILNS1_3genE8ELNS1_11target_archE1030ELNS1_3gpuE2ELNS1_3repE0EEENS1_30default_config_static_selectorELNS0_4arch9wavefront6targetE1EEEvT1_, .Lfunc_end7033-_ZN7rocprim17ROCPRIM_400000_NS6detail17trampoline_kernelINS0_14default_configENS1_20scan_config_selectorIiEEZZNS1_9scan_implILNS1_25lookback_scan_determinismE0ELb0ELb0ES3_N6thrust23THRUST_200600_302600_NS6detail15normal_iteratorINS9_10device_ptrIiEEEESE_i19const_ref_plus_mod3IiEiEEDaPvRmT3_T4_T5_mT6_P12ihipStream_tbENKUlT_T0_E_clISt17integral_constantIbLb1EEST_IbLb0EEEEDaSP_SQ_EUlSP_E0_NS1_11comp_targetILNS1_3genE8ELNS1_11target_archE1030ELNS1_3gpuE2ELNS1_3repE0EEENS1_30default_config_static_selectorELNS0_4arch9wavefront6targetE1EEEvT1_
                                        ; -- End function
	.section	.AMDGPU.csdata,"",@progbits
; Kernel info:
; codeLenInByte = 0
; NumSgprs: 4
; NumVgprs: 0
; NumAgprs: 0
; TotalNumVgprs: 0
; ScratchSize: 0
; MemoryBound: 0
; FloatMode: 240
; IeeeMode: 1
; LDSByteSize: 0 bytes/workgroup (compile time only)
; SGPRBlocks: 0
; VGPRBlocks: 0
; NumSGPRsForWavesPerEU: 4
; NumVGPRsForWavesPerEU: 1
; AccumOffset: 4
; Occupancy: 8
; WaveLimiterHint : 0
; COMPUTE_PGM_RSRC2:SCRATCH_EN: 0
; COMPUTE_PGM_RSRC2:USER_SGPR: 6
; COMPUTE_PGM_RSRC2:TRAP_HANDLER: 0
; COMPUTE_PGM_RSRC2:TGID_X_EN: 1
; COMPUTE_PGM_RSRC2:TGID_Y_EN: 0
; COMPUTE_PGM_RSRC2:TGID_Z_EN: 0
; COMPUTE_PGM_RSRC2:TIDIG_COMP_CNT: 0
; COMPUTE_PGM_RSRC3_GFX90A:ACCUM_OFFSET: 0
; COMPUTE_PGM_RSRC3_GFX90A:TG_SPLIT: 0
	.section	.text._ZN7rocprim17ROCPRIM_400000_NS6detail17trampoline_kernelINS0_14default_configENS1_20scan_config_selectorIiEEZZNS1_9scan_implILNS1_25lookback_scan_determinismE0ELb0ELb0ES3_N6thrust23THRUST_200600_302600_NS6detail15normal_iteratorINS9_10device_ptrIiEEEESE_i19const_ref_plus_mod3IiEiEEDaPvRmT3_T4_T5_mT6_P12ihipStream_tbENKUlT_T0_E_clISt17integral_constantIbLb0EEST_IbLb1EEEEDaSP_SQ_EUlSP_E_NS1_11comp_targetILNS1_3genE0ELNS1_11target_archE4294967295ELNS1_3gpuE0ELNS1_3repE0EEENS1_30default_config_static_selectorELNS0_4arch9wavefront6targetE1EEEvT1_,"axG",@progbits,_ZN7rocprim17ROCPRIM_400000_NS6detail17trampoline_kernelINS0_14default_configENS1_20scan_config_selectorIiEEZZNS1_9scan_implILNS1_25lookback_scan_determinismE0ELb0ELb0ES3_N6thrust23THRUST_200600_302600_NS6detail15normal_iteratorINS9_10device_ptrIiEEEESE_i19const_ref_plus_mod3IiEiEEDaPvRmT3_T4_T5_mT6_P12ihipStream_tbENKUlT_T0_E_clISt17integral_constantIbLb0EEST_IbLb1EEEEDaSP_SQ_EUlSP_E_NS1_11comp_targetILNS1_3genE0ELNS1_11target_archE4294967295ELNS1_3gpuE0ELNS1_3repE0EEENS1_30default_config_static_selectorELNS0_4arch9wavefront6targetE1EEEvT1_,comdat
	.protected	_ZN7rocprim17ROCPRIM_400000_NS6detail17trampoline_kernelINS0_14default_configENS1_20scan_config_selectorIiEEZZNS1_9scan_implILNS1_25lookback_scan_determinismE0ELb0ELb0ES3_N6thrust23THRUST_200600_302600_NS6detail15normal_iteratorINS9_10device_ptrIiEEEESE_i19const_ref_plus_mod3IiEiEEDaPvRmT3_T4_T5_mT6_P12ihipStream_tbENKUlT_T0_E_clISt17integral_constantIbLb0EEST_IbLb1EEEEDaSP_SQ_EUlSP_E_NS1_11comp_targetILNS1_3genE0ELNS1_11target_archE4294967295ELNS1_3gpuE0ELNS1_3repE0EEENS1_30default_config_static_selectorELNS0_4arch9wavefront6targetE1EEEvT1_ ; -- Begin function _ZN7rocprim17ROCPRIM_400000_NS6detail17trampoline_kernelINS0_14default_configENS1_20scan_config_selectorIiEEZZNS1_9scan_implILNS1_25lookback_scan_determinismE0ELb0ELb0ES3_N6thrust23THRUST_200600_302600_NS6detail15normal_iteratorINS9_10device_ptrIiEEEESE_i19const_ref_plus_mod3IiEiEEDaPvRmT3_T4_T5_mT6_P12ihipStream_tbENKUlT_T0_E_clISt17integral_constantIbLb0EEST_IbLb1EEEEDaSP_SQ_EUlSP_E_NS1_11comp_targetILNS1_3genE0ELNS1_11target_archE4294967295ELNS1_3gpuE0ELNS1_3repE0EEENS1_30default_config_static_selectorELNS0_4arch9wavefront6targetE1EEEvT1_
	.globl	_ZN7rocprim17ROCPRIM_400000_NS6detail17trampoline_kernelINS0_14default_configENS1_20scan_config_selectorIiEEZZNS1_9scan_implILNS1_25lookback_scan_determinismE0ELb0ELb0ES3_N6thrust23THRUST_200600_302600_NS6detail15normal_iteratorINS9_10device_ptrIiEEEESE_i19const_ref_plus_mod3IiEiEEDaPvRmT3_T4_T5_mT6_P12ihipStream_tbENKUlT_T0_E_clISt17integral_constantIbLb0EEST_IbLb1EEEEDaSP_SQ_EUlSP_E_NS1_11comp_targetILNS1_3genE0ELNS1_11target_archE4294967295ELNS1_3gpuE0ELNS1_3repE0EEENS1_30default_config_static_selectorELNS0_4arch9wavefront6targetE1EEEvT1_
	.p2align	8
	.type	_ZN7rocprim17ROCPRIM_400000_NS6detail17trampoline_kernelINS0_14default_configENS1_20scan_config_selectorIiEEZZNS1_9scan_implILNS1_25lookback_scan_determinismE0ELb0ELb0ES3_N6thrust23THRUST_200600_302600_NS6detail15normal_iteratorINS9_10device_ptrIiEEEESE_i19const_ref_plus_mod3IiEiEEDaPvRmT3_T4_T5_mT6_P12ihipStream_tbENKUlT_T0_E_clISt17integral_constantIbLb0EEST_IbLb1EEEEDaSP_SQ_EUlSP_E_NS1_11comp_targetILNS1_3genE0ELNS1_11target_archE4294967295ELNS1_3gpuE0ELNS1_3repE0EEENS1_30default_config_static_selectorELNS0_4arch9wavefront6targetE1EEEvT1_,@function
_ZN7rocprim17ROCPRIM_400000_NS6detail17trampoline_kernelINS0_14default_configENS1_20scan_config_selectorIiEEZZNS1_9scan_implILNS1_25lookback_scan_determinismE0ELb0ELb0ES3_N6thrust23THRUST_200600_302600_NS6detail15normal_iteratorINS9_10device_ptrIiEEEESE_i19const_ref_plus_mod3IiEiEEDaPvRmT3_T4_T5_mT6_P12ihipStream_tbENKUlT_T0_E_clISt17integral_constantIbLb0EEST_IbLb1EEEEDaSP_SQ_EUlSP_E_NS1_11comp_targetILNS1_3genE0ELNS1_11target_archE4294967295ELNS1_3gpuE0ELNS1_3repE0EEENS1_30default_config_static_selectorELNS0_4arch9wavefront6targetE1EEEvT1_: ; @_ZN7rocprim17ROCPRIM_400000_NS6detail17trampoline_kernelINS0_14default_configENS1_20scan_config_selectorIiEEZZNS1_9scan_implILNS1_25lookback_scan_determinismE0ELb0ELb0ES3_N6thrust23THRUST_200600_302600_NS6detail15normal_iteratorINS9_10device_ptrIiEEEESE_i19const_ref_plus_mod3IiEiEEDaPvRmT3_T4_T5_mT6_P12ihipStream_tbENKUlT_T0_E_clISt17integral_constantIbLb0EEST_IbLb1EEEEDaSP_SQ_EUlSP_E_NS1_11comp_targetILNS1_3genE0ELNS1_11target_archE4294967295ELNS1_3gpuE0ELNS1_3repE0EEENS1_30default_config_static_selectorELNS0_4arch9wavefront6targetE1EEEvT1_
; %bb.0:
	.section	.rodata,"a",@progbits
	.p2align	6, 0x0
	.amdhsa_kernel _ZN7rocprim17ROCPRIM_400000_NS6detail17trampoline_kernelINS0_14default_configENS1_20scan_config_selectorIiEEZZNS1_9scan_implILNS1_25lookback_scan_determinismE0ELb0ELb0ES3_N6thrust23THRUST_200600_302600_NS6detail15normal_iteratorINS9_10device_ptrIiEEEESE_i19const_ref_plus_mod3IiEiEEDaPvRmT3_T4_T5_mT6_P12ihipStream_tbENKUlT_T0_E_clISt17integral_constantIbLb0EEST_IbLb1EEEEDaSP_SQ_EUlSP_E_NS1_11comp_targetILNS1_3genE0ELNS1_11target_archE4294967295ELNS1_3gpuE0ELNS1_3repE0EEENS1_30default_config_static_selectorELNS0_4arch9wavefront6targetE1EEEvT1_
		.amdhsa_group_segment_fixed_size 0
		.amdhsa_private_segment_fixed_size 0
		.amdhsa_kernarg_size 104
		.amdhsa_user_sgpr_count 6
		.amdhsa_user_sgpr_private_segment_buffer 1
		.amdhsa_user_sgpr_dispatch_ptr 0
		.amdhsa_user_sgpr_queue_ptr 0
		.amdhsa_user_sgpr_kernarg_segment_ptr 1
		.amdhsa_user_sgpr_dispatch_id 0
		.amdhsa_user_sgpr_flat_scratch_init 0
		.amdhsa_user_sgpr_kernarg_preload_length 0
		.amdhsa_user_sgpr_kernarg_preload_offset 0
		.amdhsa_user_sgpr_private_segment_size 0
		.amdhsa_uses_dynamic_stack 0
		.amdhsa_system_sgpr_private_segment_wavefront_offset 0
		.amdhsa_system_sgpr_workgroup_id_x 1
		.amdhsa_system_sgpr_workgroup_id_y 0
		.amdhsa_system_sgpr_workgroup_id_z 0
		.amdhsa_system_sgpr_workgroup_info 0
		.amdhsa_system_vgpr_workitem_id 0
		.amdhsa_next_free_vgpr 1
		.amdhsa_next_free_sgpr 0
		.amdhsa_accum_offset 4
		.amdhsa_reserve_vcc 0
		.amdhsa_reserve_flat_scratch 0
		.amdhsa_float_round_mode_32 0
		.amdhsa_float_round_mode_16_64 0
		.amdhsa_float_denorm_mode_32 3
		.amdhsa_float_denorm_mode_16_64 3
		.amdhsa_dx10_clamp 1
		.amdhsa_ieee_mode 1
		.amdhsa_fp16_overflow 0
		.amdhsa_tg_split 0
		.amdhsa_exception_fp_ieee_invalid_op 0
		.amdhsa_exception_fp_denorm_src 0
		.amdhsa_exception_fp_ieee_div_zero 0
		.amdhsa_exception_fp_ieee_overflow 0
		.amdhsa_exception_fp_ieee_underflow 0
		.amdhsa_exception_fp_ieee_inexact 0
		.amdhsa_exception_int_div_zero 0
	.end_amdhsa_kernel
	.section	.text._ZN7rocprim17ROCPRIM_400000_NS6detail17trampoline_kernelINS0_14default_configENS1_20scan_config_selectorIiEEZZNS1_9scan_implILNS1_25lookback_scan_determinismE0ELb0ELb0ES3_N6thrust23THRUST_200600_302600_NS6detail15normal_iteratorINS9_10device_ptrIiEEEESE_i19const_ref_plus_mod3IiEiEEDaPvRmT3_T4_T5_mT6_P12ihipStream_tbENKUlT_T0_E_clISt17integral_constantIbLb0EEST_IbLb1EEEEDaSP_SQ_EUlSP_E_NS1_11comp_targetILNS1_3genE0ELNS1_11target_archE4294967295ELNS1_3gpuE0ELNS1_3repE0EEENS1_30default_config_static_selectorELNS0_4arch9wavefront6targetE1EEEvT1_,"axG",@progbits,_ZN7rocprim17ROCPRIM_400000_NS6detail17trampoline_kernelINS0_14default_configENS1_20scan_config_selectorIiEEZZNS1_9scan_implILNS1_25lookback_scan_determinismE0ELb0ELb0ES3_N6thrust23THRUST_200600_302600_NS6detail15normal_iteratorINS9_10device_ptrIiEEEESE_i19const_ref_plus_mod3IiEiEEDaPvRmT3_T4_T5_mT6_P12ihipStream_tbENKUlT_T0_E_clISt17integral_constantIbLb0EEST_IbLb1EEEEDaSP_SQ_EUlSP_E_NS1_11comp_targetILNS1_3genE0ELNS1_11target_archE4294967295ELNS1_3gpuE0ELNS1_3repE0EEENS1_30default_config_static_selectorELNS0_4arch9wavefront6targetE1EEEvT1_,comdat
.Lfunc_end7034:
	.size	_ZN7rocprim17ROCPRIM_400000_NS6detail17trampoline_kernelINS0_14default_configENS1_20scan_config_selectorIiEEZZNS1_9scan_implILNS1_25lookback_scan_determinismE0ELb0ELb0ES3_N6thrust23THRUST_200600_302600_NS6detail15normal_iteratorINS9_10device_ptrIiEEEESE_i19const_ref_plus_mod3IiEiEEDaPvRmT3_T4_T5_mT6_P12ihipStream_tbENKUlT_T0_E_clISt17integral_constantIbLb0EEST_IbLb1EEEEDaSP_SQ_EUlSP_E_NS1_11comp_targetILNS1_3genE0ELNS1_11target_archE4294967295ELNS1_3gpuE0ELNS1_3repE0EEENS1_30default_config_static_selectorELNS0_4arch9wavefront6targetE1EEEvT1_, .Lfunc_end7034-_ZN7rocprim17ROCPRIM_400000_NS6detail17trampoline_kernelINS0_14default_configENS1_20scan_config_selectorIiEEZZNS1_9scan_implILNS1_25lookback_scan_determinismE0ELb0ELb0ES3_N6thrust23THRUST_200600_302600_NS6detail15normal_iteratorINS9_10device_ptrIiEEEESE_i19const_ref_plus_mod3IiEiEEDaPvRmT3_T4_T5_mT6_P12ihipStream_tbENKUlT_T0_E_clISt17integral_constantIbLb0EEST_IbLb1EEEEDaSP_SQ_EUlSP_E_NS1_11comp_targetILNS1_3genE0ELNS1_11target_archE4294967295ELNS1_3gpuE0ELNS1_3repE0EEENS1_30default_config_static_selectorELNS0_4arch9wavefront6targetE1EEEvT1_
                                        ; -- End function
	.section	.AMDGPU.csdata,"",@progbits
; Kernel info:
; codeLenInByte = 0
; NumSgprs: 4
; NumVgprs: 0
; NumAgprs: 0
; TotalNumVgprs: 0
; ScratchSize: 0
; MemoryBound: 0
; FloatMode: 240
; IeeeMode: 1
; LDSByteSize: 0 bytes/workgroup (compile time only)
; SGPRBlocks: 0
; VGPRBlocks: 0
; NumSGPRsForWavesPerEU: 4
; NumVGPRsForWavesPerEU: 1
; AccumOffset: 4
; Occupancy: 8
; WaveLimiterHint : 0
; COMPUTE_PGM_RSRC2:SCRATCH_EN: 0
; COMPUTE_PGM_RSRC2:USER_SGPR: 6
; COMPUTE_PGM_RSRC2:TRAP_HANDLER: 0
; COMPUTE_PGM_RSRC2:TGID_X_EN: 1
; COMPUTE_PGM_RSRC2:TGID_Y_EN: 0
; COMPUTE_PGM_RSRC2:TGID_Z_EN: 0
; COMPUTE_PGM_RSRC2:TIDIG_COMP_CNT: 0
; COMPUTE_PGM_RSRC3_GFX90A:ACCUM_OFFSET: 0
; COMPUTE_PGM_RSRC3_GFX90A:TG_SPLIT: 0
	.section	.text._ZN7rocprim17ROCPRIM_400000_NS6detail17trampoline_kernelINS0_14default_configENS1_20scan_config_selectorIiEEZZNS1_9scan_implILNS1_25lookback_scan_determinismE0ELb0ELb0ES3_N6thrust23THRUST_200600_302600_NS6detail15normal_iteratorINS9_10device_ptrIiEEEESE_i19const_ref_plus_mod3IiEiEEDaPvRmT3_T4_T5_mT6_P12ihipStream_tbENKUlT_T0_E_clISt17integral_constantIbLb0EEST_IbLb1EEEEDaSP_SQ_EUlSP_E_NS1_11comp_targetILNS1_3genE5ELNS1_11target_archE942ELNS1_3gpuE9ELNS1_3repE0EEENS1_30default_config_static_selectorELNS0_4arch9wavefront6targetE1EEEvT1_,"axG",@progbits,_ZN7rocprim17ROCPRIM_400000_NS6detail17trampoline_kernelINS0_14default_configENS1_20scan_config_selectorIiEEZZNS1_9scan_implILNS1_25lookback_scan_determinismE0ELb0ELb0ES3_N6thrust23THRUST_200600_302600_NS6detail15normal_iteratorINS9_10device_ptrIiEEEESE_i19const_ref_plus_mod3IiEiEEDaPvRmT3_T4_T5_mT6_P12ihipStream_tbENKUlT_T0_E_clISt17integral_constantIbLb0EEST_IbLb1EEEEDaSP_SQ_EUlSP_E_NS1_11comp_targetILNS1_3genE5ELNS1_11target_archE942ELNS1_3gpuE9ELNS1_3repE0EEENS1_30default_config_static_selectorELNS0_4arch9wavefront6targetE1EEEvT1_,comdat
	.protected	_ZN7rocprim17ROCPRIM_400000_NS6detail17trampoline_kernelINS0_14default_configENS1_20scan_config_selectorIiEEZZNS1_9scan_implILNS1_25lookback_scan_determinismE0ELb0ELb0ES3_N6thrust23THRUST_200600_302600_NS6detail15normal_iteratorINS9_10device_ptrIiEEEESE_i19const_ref_plus_mod3IiEiEEDaPvRmT3_T4_T5_mT6_P12ihipStream_tbENKUlT_T0_E_clISt17integral_constantIbLb0EEST_IbLb1EEEEDaSP_SQ_EUlSP_E_NS1_11comp_targetILNS1_3genE5ELNS1_11target_archE942ELNS1_3gpuE9ELNS1_3repE0EEENS1_30default_config_static_selectorELNS0_4arch9wavefront6targetE1EEEvT1_ ; -- Begin function _ZN7rocprim17ROCPRIM_400000_NS6detail17trampoline_kernelINS0_14default_configENS1_20scan_config_selectorIiEEZZNS1_9scan_implILNS1_25lookback_scan_determinismE0ELb0ELb0ES3_N6thrust23THRUST_200600_302600_NS6detail15normal_iteratorINS9_10device_ptrIiEEEESE_i19const_ref_plus_mod3IiEiEEDaPvRmT3_T4_T5_mT6_P12ihipStream_tbENKUlT_T0_E_clISt17integral_constantIbLb0EEST_IbLb1EEEEDaSP_SQ_EUlSP_E_NS1_11comp_targetILNS1_3genE5ELNS1_11target_archE942ELNS1_3gpuE9ELNS1_3repE0EEENS1_30default_config_static_selectorELNS0_4arch9wavefront6targetE1EEEvT1_
	.globl	_ZN7rocprim17ROCPRIM_400000_NS6detail17trampoline_kernelINS0_14default_configENS1_20scan_config_selectorIiEEZZNS1_9scan_implILNS1_25lookback_scan_determinismE0ELb0ELb0ES3_N6thrust23THRUST_200600_302600_NS6detail15normal_iteratorINS9_10device_ptrIiEEEESE_i19const_ref_plus_mod3IiEiEEDaPvRmT3_T4_T5_mT6_P12ihipStream_tbENKUlT_T0_E_clISt17integral_constantIbLb0EEST_IbLb1EEEEDaSP_SQ_EUlSP_E_NS1_11comp_targetILNS1_3genE5ELNS1_11target_archE942ELNS1_3gpuE9ELNS1_3repE0EEENS1_30default_config_static_selectorELNS0_4arch9wavefront6targetE1EEEvT1_
	.p2align	8
	.type	_ZN7rocprim17ROCPRIM_400000_NS6detail17trampoline_kernelINS0_14default_configENS1_20scan_config_selectorIiEEZZNS1_9scan_implILNS1_25lookback_scan_determinismE0ELb0ELb0ES3_N6thrust23THRUST_200600_302600_NS6detail15normal_iteratorINS9_10device_ptrIiEEEESE_i19const_ref_plus_mod3IiEiEEDaPvRmT3_T4_T5_mT6_P12ihipStream_tbENKUlT_T0_E_clISt17integral_constantIbLb0EEST_IbLb1EEEEDaSP_SQ_EUlSP_E_NS1_11comp_targetILNS1_3genE5ELNS1_11target_archE942ELNS1_3gpuE9ELNS1_3repE0EEENS1_30default_config_static_selectorELNS0_4arch9wavefront6targetE1EEEvT1_,@function
_ZN7rocprim17ROCPRIM_400000_NS6detail17trampoline_kernelINS0_14default_configENS1_20scan_config_selectorIiEEZZNS1_9scan_implILNS1_25lookback_scan_determinismE0ELb0ELb0ES3_N6thrust23THRUST_200600_302600_NS6detail15normal_iteratorINS9_10device_ptrIiEEEESE_i19const_ref_plus_mod3IiEiEEDaPvRmT3_T4_T5_mT6_P12ihipStream_tbENKUlT_T0_E_clISt17integral_constantIbLb0EEST_IbLb1EEEEDaSP_SQ_EUlSP_E_NS1_11comp_targetILNS1_3genE5ELNS1_11target_archE942ELNS1_3gpuE9ELNS1_3repE0EEENS1_30default_config_static_selectorELNS0_4arch9wavefront6targetE1EEEvT1_: ; @_ZN7rocprim17ROCPRIM_400000_NS6detail17trampoline_kernelINS0_14default_configENS1_20scan_config_selectorIiEEZZNS1_9scan_implILNS1_25lookback_scan_determinismE0ELb0ELb0ES3_N6thrust23THRUST_200600_302600_NS6detail15normal_iteratorINS9_10device_ptrIiEEEESE_i19const_ref_plus_mod3IiEiEEDaPvRmT3_T4_T5_mT6_P12ihipStream_tbENKUlT_T0_E_clISt17integral_constantIbLb0EEST_IbLb1EEEEDaSP_SQ_EUlSP_E_NS1_11comp_targetILNS1_3genE5ELNS1_11target_archE942ELNS1_3gpuE9ELNS1_3repE0EEENS1_30default_config_static_selectorELNS0_4arch9wavefront6targetE1EEEvT1_
; %bb.0:
	.section	.rodata,"a",@progbits
	.p2align	6, 0x0
	.amdhsa_kernel _ZN7rocprim17ROCPRIM_400000_NS6detail17trampoline_kernelINS0_14default_configENS1_20scan_config_selectorIiEEZZNS1_9scan_implILNS1_25lookback_scan_determinismE0ELb0ELb0ES3_N6thrust23THRUST_200600_302600_NS6detail15normal_iteratorINS9_10device_ptrIiEEEESE_i19const_ref_plus_mod3IiEiEEDaPvRmT3_T4_T5_mT6_P12ihipStream_tbENKUlT_T0_E_clISt17integral_constantIbLb0EEST_IbLb1EEEEDaSP_SQ_EUlSP_E_NS1_11comp_targetILNS1_3genE5ELNS1_11target_archE942ELNS1_3gpuE9ELNS1_3repE0EEENS1_30default_config_static_selectorELNS0_4arch9wavefront6targetE1EEEvT1_
		.amdhsa_group_segment_fixed_size 0
		.amdhsa_private_segment_fixed_size 0
		.amdhsa_kernarg_size 104
		.amdhsa_user_sgpr_count 6
		.amdhsa_user_sgpr_private_segment_buffer 1
		.amdhsa_user_sgpr_dispatch_ptr 0
		.amdhsa_user_sgpr_queue_ptr 0
		.amdhsa_user_sgpr_kernarg_segment_ptr 1
		.amdhsa_user_sgpr_dispatch_id 0
		.amdhsa_user_sgpr_flat_scratch_init 0
		.amdhsa_user_sgpr_kernarg_preload_length 0
		.amdhsa_user_sgpr_kernarg_preload_offset 0
		.amdhsa_user_sgpr_private_segment_size 0
		.amdhsa_uses_dynamic_stack 0
		.amdhsa_system_sgpr_private_segment_wavefront_offset 0
		.amdhsa_system_sgpr_workgroup_id_x 1
		.amdhsa_system_sgpr_workgroup_id_y 0
		.amdhsa_system_sgpr_workgroup_id_z 0
		.amdhsa_system_sgpr_workgroup_info 0
		.amdhsa_system_vgpr_workitem_id 0
		.amdhsa_next_free_vgpr 1
		.amdhsa_next_free_sgpr 0
		.amdhsa_accum_offset 4
		.amdhsa_reserve_vcc 0
		.amdhsa_reserve_flat_scratch 0
		.amdhsa_float_round_mode_32 0
		.amdhsa_float_round_mode_16_64 0
		.amdhsa_float_denorm_mode_32 3
		.amdhsa_float_denorm_mode_16_64 3
		.amdhsa_dx10_clamp 1
		.amdhsa_ieee_mode 1
		.amdhsa_fp16_overflow 0
		.amdhsa_tg_split 0
		.amdhsa_exception_fp_ieee_invalid_op 0
		.amdhsa_exception_fp_denorm_src 0
		.amdhsa_exception_fp_ieee_div_zero 0
		.amdhsa_exception_fp_ieee_overflow 0
		.amdhsa_exception_fp_ieee_underflow 0
		.amdhsa_exception_fp_ieee_inexact 0
		.amdhsa_exception_int_div_zero 0
	.end_amdhsa_kernel
	.section	.text._ZN7rocprim17ROCPRIM_400000_NS6detail17trampoline_kernelINS0_14default_configENS1_20scan_config_selectorIiEEZZNS1_9scan_implILNS1_25lookback_scan_determinismE0ELb0ELb0ES3_N6thrust23THRUST_200600_302600_NS6detail15normal_iteratorINS9_10device_ptrIiEEEESE_i19const_ref_plus_mod3IiEiEEDaPvRmT3_T4_T5_mT6_P12ihipStream_tbENKUlT_T0_E_clISt17integral_constantIbLb0EEST_IbLb1EEEEDaSP_SQ_EUlSP_E_NS1_11comp_targetILNS1_3genE5ELNS1_11target_archE942ELNS1_3gpuE9ELNS1_3repE0EEENS1_30default_config_static_selectorELNS0_4arch9wavefront6targetE1EEEvT1_,"axG",@progbits,_ZN7rocprim17ROCPRIM_400000_NS6detail17trampoline_kernelINS0_14default_configENS1_20scan_config_selectorIiEEZZNS1_9scan_implILNS1_25lookback_scan_determinismE0ELb0ELb0ES3_N6thrust23THRUST_200600_302600_NS6detail15normal_iteratorINS9_10device_ptrIiEEEESE_i19const_ref_plus_mod3IiEiEEDaPvRmT3_T4_T5_mT6_P12ihipStream_tbENKUlT_T0_E_clISt17integral_constantIbLb0EEST_IbLb1EEEEDaSP_SQ_EUlSP_E_NS1_11comp_targetILNS1_3genE5ELNS1_11target_archE942ELNS1_3gpuE9ELNS1_3repE0EEENS1_30default_config_static_selectorELNS0_4arch9wavefront6targetE1EEEvT1_,comdat
.Lfunc_end7035:
	.size	_ZN7rocprim17ROCPRIM_400000_NS6detail17trampoline_kernelINS0_14default_configENS1_20scan_config_selectorIiEEZZNS1_9scan_implILNS1_25lookback_scan_determinismE0ELb0ELb0ES3_N6thrust23THRUST_200600_302600_NS6detail15normal_iteratorINS9_10device_ptrIiEEEESE_i19const_ref_plus_mod3IiEiEEDaPvRmT3_T4_T5_mT6_P12ihipStream_tbENKUlT_T0_E_clISt17integral_constantIbLb0EEST_IbLb1EEEEDaSP_SQ_EUlSP_E_NS1_11comp_targetILNS1_3genE5ELNS1_11target_archE942ELNS1_3gpuE9ELNS1_3repE0EEENS1_30default_config_static_selectorELNS0_4arch9wavefront6targetE1EEEvT1_, .Lfunc_end7035-_ZN7rocprim17ROCPRIM_400000_NS6detail17trampoline_kernelINS0_14default_configENS1_20scan_config_selectorIiEEZZNS1_9scan_implILNS1_25lookback_scan_determinismE0ELb0ELb0ES3_N6thrust23THRUST_200600_302600_NS6detail15normal_iteratorINS9_10device_ptrIiEEEESE_i19const_ref_plus_mod3IiEiEEDaPvRmT3_T4_T5_mT6_P12ihipStream_tbENKUlT_T0_E_clISt17integral_constantIbLb0EEST_IbLb1EEEEDaSP_SQ_EUlSP_E_NS1_11comp_targetILNS1_3genE5ELNS1_11target_archE942ELNS1_3gpuE9ELNS1_3repE0EEENS1_30default_config_static_selectorELNS0_4arch9wavefront6targetE1EEEvT1_
                                        ; -- End function
	.section	.AMDGPU.csdata,"",@progbits
; Kernel info:
; codeLenInByte = 0
; NumSgprs: 4
; NumVgprs: 0
; NumAgprs: 0
; TotalNumVgprs: 0
; ScratchSize: 0
; MemoryBound: 0
; FloatMode: 240
; IeeeMode: 1
; LDSByteSize: 0 bytes/workgroup (compile time only)
; SGPRBlocks: 0
; VGPRBlocks: 0
; NumSGPRsForWavesPerEU: 4
; NumVGPRsForWavesPerEU: 1
; AccumOffset: 4
; Occupancy: 8
; WaveLimiterHint : 0
; COMPUTE_PGM_RSRC2:SCRATCH_EN: 0
; COMPUTE_PGM_RSRC2:USER_SGPR: 6
; COMPUTE_PGM_RSRC2:TRAP_HANDLER: 0
; COMPUTE_PGM_RSRC2:TGID_X_EN: 1
; COMPUTE_PGM_RSRC2:TGID_Y_EN: 0
; COMPUTE_PGM_RSRC2:TGID_Z_EN: 0
; COMPUTE_PGM_RSRC2:TIDIG_COMP_CNT: 0
; COMPUTE_PGM_RSRC3_GFX90A:ACCUM_OFFSET: 0
; COMPUTE_PGM_RSRC3_GFX90A:TG_SPLIT: 0
	.section	.text._ZN7rocprim17ROCPRIM_400000_NS6detail17trampoline_kernelINS0_14default_configENS1_20scan_config_selectorIiEEZZNS1_9scan_implILNS1_25lookback_scan_determinismE0ELb0ELb0ES3_N6thrust23THRUST_200600_302600_NS6detail15normal_iteratorINS9_10device_ptrIiEEEESE_i19const_ref_plus_mod3IiEiEEDaPvRmT3_T4_T5_mT6_P12ihipStream_tbENKUlT_T0_E_clISt17integral_constantIbLb0EEST_IbLb1EEEEDaSP_SQ_EUlSP_E_NS1_11comp_targetILNS1_3genE4ELNS1_11target_archE910ELNS1_3gpuE8ELNS1_3repE0EEENS1_30default_config_static_selectorELNS0_4arch9wavefront6targetE1EEEvT1_,"axG",@progbits,_ZN7rocprim17ROCPRIM_400000_NS6detail17trampoline_kernelINS0_14default_configENS1_20scan_config_selectorIiEEZZNS1_9scan_implILNS1_25lookback_scan_determinismE0ELb0ELb0ES3_N6thrust23THRUST_200600_302600_NS6detail15normal_iteratorINS9_10device_ptrIiEEEESE_i19const_ref_plus_mod3IiEiEEDaPvRmT3_T4_T5_mT6_P12ihipStream_tbENKUlT_T0_E_clISt17integral_constantIbLb0EEST_IbLb1EEEEDaSP_SQ_EUlSP_E_NS1_11comp_targetILNS1_3genE4ELNS1_11target_archE910ELNS1_3gpuE8ELNS1_3repE0EEENS1_30default_config_static_selectorELNS0_4arch9wavefront6targetE1EEEvT1_,comdat
	.protected	_ZN7rocprim17ROCPRIM_400000_NS6detail17trampoline_kernelINS0_14default_configENS1_20scan_config_selectorIiEEZZNS1_9scan_implILNS1_25lookback_scan_determinismE0ELb0ELb0ES3_N6thrust23THRUST_200600_302600_NS6detail15normal_iteratorINS9_10device_ptrIiEEEESE_i19const_ref_plus_mod3IiEiEEDaPvRmT3_T4_T5_mT6_P12ihipStream_tbENKUlT_T0_E_clISt17integral_constantIbLb0EEST_IbLb1EEEEDaSP_SQ_EUlSP_E_NS1_11comp_targetILNS1_3genE4ELNS1_11target_archE910ELNS1_3gpuE8ELNS1_3repE0EEENS1_30default_config_static_selectorELNS0_4arch9wavefront6targetE1EEEvT1_ ; -- Begin function _ZN7rocprim17ROCPRIM_400000_NS6detail17trampoline_kernelINS0_14default_configENS1_20scan_config_selectorIiEEZZNS1_9scan_implILNS1_25lookback_scan_determinismE0ELb0ELb0ES3_N6thrust23THRUST_200600_302600_NS6detail15normal_iteratorINS9_10device_ptrIiEEEESE_i19const_ref_plus_mod3IiEiEEDaPvRmT3_T4_T5_mT6_P12ihipStream_tbENKUlT_T0_E_clISt17integral_constantIbLb0EEST_IbLb1EEEEDaSP_SQ_EUlSP_E_NS1_11comp_targetILNS1_3genE4ELNS1_11target_archE910ELNS1_3gpuE8ELNS1_3repE0EEENS1_30default_config_static_selectorELNS0_4arch9wavefront6targetE1EEEvT1_
	.globl	_ZN7rocprim17ROCPRIM_400000_NS6detail17trampoline_kernelINS0_14default_configENS1_20scan_config_selectorIiEEZZNS1_9scan_implILNS1_25lookback_scan_determinismE0ELb0ELb0ES3_N6thrust23THRUST_200600_302600_NS6detail15normal_iteratorINS9_10device_ptrIiEEEESE_i19const_ref_plus_mod3IiEiEEDaPvRmT3_T4_T5_mT6_P12ihipStream_tbENKUlT_T0_E_clISt17integral_constantIbLb0EEST_IbLb1EEEEDaSP_SQ_EUlSP_E_NS1_11comp_targetILNS1_3genE4ELNS1_11target_archE910ELNS1_3gpuE8ELNS1_3repE0EEENS1_30default_config_static_selectorELNS0_4arch9wavefront6targetE1EEEvT1_
	.p2align	8
	.type	_ZN7rocprim17ROCPRIM_400000_NS6detail17trampoline_kernelINS0_14default_configENS1_20scan_config_selectorIiEEZZNS1_9scan_implILNS1_25lookback_scan_determinismE0ELb0ELb0ES3_N6thrust23THRUST_200600_302600_NS6detail15normal_iteratorINS9_10device_ptrIiEEEESE_i19const_ref_plus_mod3IiEiEEDaPvRmT3_T4_T5_mT6_P12ihipStream_tbENKUlT_T0_E_clISt17integral_constantIbLb0EEST_IbLb1EEEEDaSP_SQ_EUlSP_E_NS1_11comp_targetILNS1_3genE4ELNS1_11target_archE910ELNS1_3gpuE8ELNS1_3repE0EEENS1_30default_config_static_selectorELNS0_4arch9wavefront6targetE1EEEvT1_,@function
_ZN7rocprim17ROCPRIM_400000_NS6detail17trampoline_kernelINS0_14default_configENS1_20scan_config_selectorIiEEZZNS1_9scan_implILNS1_25lookback_scan_determinismE0ELb0ELb0ES3_N6thrust23THRUST_200600_302600_NS6detail15normal_iteratorINS9_10device_ptrIiEEEESE_i19const_ref_plus_mod3IiEiEEDaPvRmT3_T4_T5_mT6_P12ihipStream_tbENKUlT_T0_E_clISt17integral_constantIbLb0EEST_IbLb1EEEEDaSP_SQ_EUlSP_E_NS1_11comp_targetILNS1_3genE4ELNS1_11target_archE910ELNS1_3gpuE8ELNS1_3repE0EEENS1_30default_config_static_selectorELNS0_4arch9wavefront6targetE1EEEvT1_: ; @_ZN7rocprim17ROCPRIM_400000_NS6detail17trampoline_kernelINS0_14default_configENS1_20scan_config_selectorIiEEZZNS1_9scan_implILNS1_25lookback_scan_determinismE0ELb0ELb0ES3_N6thrust23THRUST_200600_302600_NS6detail15normal_iteratorINS9_10device_ptrIiEEEESE_i19const_ref_plus_mod3IiEiEEDaPvRmT3_T4_T5_mT6_P12ihipStream_tbENKUlT_T0_E_clISt17integral_constantIbLb0EEST_IbLb1EEEEDaSP_SQ_EUlSP_E_NS1_11comp_targetILNS1_3genE4ELNS1_11target_archE910ELNS1_3gpuE8ELNS1_3repE0EEENS1_30default_config_static_selectorELNS0_4arch9wavefront6targetE1EEEvT1_
; %bb.0:
	v_cmp_ne_u32_e64 s[0:1], 0, v0
	v_cmp_eq_u32_e64 s[2:3], 0, v0
	s_and_saveexec_b64 s[6:7], s[2:3]
	s_cbranch_execz .LBB7036_4
; %bb.1:
	s_mov_b64 s[10:11], exec
	v_mbcnt_lo_u32_b32 v1, s10, 0
	v_mbcnt_hi_u32_b32 v1, s11, v1
	v_cmp_eq_u32_e32 vcc, 0, v1
                                        ; implicit-def: $vgpr2
	s_and_saveexec_b64 s[8:9], vcc
	s_cbranch_execz .LBB7036_3
; %bb.2:
	s_load_dwordx2 s[12:13], s[4:5], 0x60
	s_bcnt1_i32_b64 s10, s[10:11]
	v_mov_b32_e32 v2, 0
	v_mov_b32_e32 v3, s10
	s_waitcnt lgkmcnt(0)
	global_atomic_add v2, v2, v3, s[12:13] glc
.LBB7036_3:
	s_or_b64 exec, exec, s[8:9]
	s_waitcnt vmcnt(0)
	v_readfirstlane_b32 s8, v2
	v_add_u32_e32 v1, s8, v1
	v_mov_b32_e32 v2, 0
	ds_write_b32 v2, v1
.LBB7036_4:
	s_or_b64 exec, exec, s[6:7]
	s_load_dwordx8 s[16:23], s[4:5], 0x0
	s_load_dwordx4 s[24:27], s[4:5], 0x28
	s_load_dword s28, s[4:5], 0x38
	s_load_dwordx8 s[8:15], s[4:5], 0x40
	v_mov_b32_e32 v1, 0
	s_waitcnt lgkmcnt(0)
	s_barrier
	ds_read_b32 v1, v1
	s_lshl_b64 s[6:7], s[18:19], 2
	s_add_u32 s29, s16, s6
	s_addc_u32 s30, s17, s7
	s_add_i32 s16, s28, -1
	s_mul_i32 s17, s16, 0x500
	s_sub_u32 s33, s22, s17
	s_waitcnt lgkmcnt(0)
	v_readfirstlane_b32 s41, v1
	s_subb_u32 s40, s23, 0
	s_mul_i32 s4, s41, 0x500
	s_mov_b32 s5, 0
	s_cmp_lg_u32 s41, s16
	s_cselect_b64 s[16:17], -1, 0
	s_lshl_b64 s[18:19], s[4:5], 2
	s_add_u32 s22, s29, s18
	s_addc_u32 s23, s30, s19
	s_mov_b64 s[4:5], -1
	s_and_b64 vcc, exec, s[16:17]
	v_lshlrev_b32_e32 v22, 2, v0
	s_barrier
	s_cbranch_vccz .LBB7036_6
; %bb.5:
	v_mov_b32_e32 v1, s23
	v_add_co_u32_e32 v2, vcc, s22, v22
	v_addc_co_u32_e32 v3, vcc, 0, v1, vcc
	flat_load_dword v1, v[2:3]
	flat_load_dword v4, v[2:3] offset:512
	flat_load_dword v5, v[2:3] offset:1024
	;; [unrolled: 1-line block ×7, first 2 shown]
	v_add_co_u32_e32 v2, vcc, 0x1000, v2
	v_addc_co_u32_e32 v3, vcc, 0, v3, vcc
	flat_load_dword v11, v[2:3]
	flat_load_dword v12, v[2:3] offset:512
	s_mov_b64 s[4:5], 0
	s_waitcnt vmcnt(0) lgkmcnt(0)
	ds_write2st64_b32 v22, v1, v4 offset1:2
	ds_write2st64_b32 v22, v5, v6 offset0:4 offset1:6
	ds_write2st64_b32 v22, v7, v8 offset0:8 offset1:10
	;; [unrolled: 1-line block ×4, first 2 shown]
	s_waitcnt lgkmcnt(0)
	s_barrier
.LBB7036_6:
	s_andn2_b64 vcc, exec, s[4:5]
	v_cmp_gt_u32_e64 s[4:5], s33, v0
	s_cbranch_vccnz .LBB7036_28
; %bb.7:
	v_pk_mov_b32 v[2:3], s[22:23], s[22:23] op_sel:[0,1]
	flat_load_dword v1, v[2:3]
	s_waitcnt vmcnt(0) lgkmcnt(0)
	v_mov_b32_e32 v2, v1
	v_mov_b32_e32 v3, v1
	;; [unrolled: 1-line block ×9, first 2 shown]
	s_and_saveexec_b64 s[28:29], s[4:5]
	s_cbranch_execz .LBB7036_9
; %bb.8:
	v_mov_b32_e32 v11, s23
	v_add_co_u32_e32 v10, vcc, s22, v22
	v_addc_co_u32_e32 v11, vcc, 0, v11, vcc
	flat_load_dword v10, v[10:11]
.LBB7036_9:
	s_or_b64 exec, exec, s[28:29]
	v_or_b32_e32 v11, 0x80, v0
	v_cmp_gt_u32_e32 vcc, s33, v11
	s_and_saveexec_b64 s[4:5], vcc
	s_cbranch_execz .LBB7036_11
; %bb.10:
	v_mov_b32_e32 v1, s23
	v_add_co_u32_e32 v12, vcc, s22, v22
	v_addc_co_u32_e32 v13, vcc, 0, v1, vcc
	flat_load_dword v1, v[12:13] offset:512
.LBB7036_11:
	s_or_b64 exec, exec, s[4:5]
	v_or_b32_e32 v11, 0x100, v0
	v_cmp_gt_u32_e32 vcc, s33, v11
	s_and_saveexec_b64 s[4:5], vcc
	s_cbranch_execz .LBB7036_13
; %bb.12:
	v_mov_b32_e32 v2, s23
	v_add_co_u32_e32 v12, vcc, s22, v22
	v_addc_co_u32_e32 v13, vcc, 0, v2, vcc
	flat_load_dword v2, v[12:13] offset:1024
.LBB7036_13:
	;; [unrolled: 11-line block ×7, first 2 shown]
	s_or_b64 exec, exec, s[4:5]
	v_or_b32_e32 v11, 0x400, v0
	v_cmp_gt_u32_e32 vcc, s33, v11
	s_and_saveexec_b64 s[4:5], vcc
	s_cbranch_execz .LBB7036_25
; %bb.24:
	v_lshlrev_b32_e32 v8, 2, v11
	v_mov_b32_e32 v11, s23
	v_add_co_u32_e32 v12, vcc, s22, v8
	v_addc_co_u32_e32 v13, vcc, 0, v11, vcc
	flat_load_dword v8, v[12:13]
.LBB7036_25:
	s_or_b64 exec, exec, s[4:5]
	v_or_b32_e32 v11, 0x480, v0
	v_cmp_gt_u32_e32 vcc, s33, v11
	s_and_saveexec_b64 s[4:5], vcc
	s_cbranch_execz .LBB7036_27
; %bb.26:
	v_lshlrev_b32_e32 v9, 2, v11
	v_mov_b32_e32 v11, s23
	v_add_co_u32_e32 v12, vcc, s22, v9
	v_addc_co_u32_e32 v13, vcc, 0, v11, vcc
	flat_load_dword v9, v[12:13]
.LBB7036_27:
	s_or_b64 exec, exec, s[4:5]
	s_waitcnt vmcnt(0) lgkmcnt(0)
	ds_write2st64_b32 v22, v10, v1 offset1:2
	ds_write2st64_b32 v22, v2, v3 offset0:4 offset1:6
	ds_write2st64_b32 v22, v4, v5 offset0:8 offset1:10
	;; [unrolled: 1-line block ×4, first 2 shown]
	s_waitcnt lgkmcnt(0)
	s_barrier
.LBB7036_28:
	v_mul_u32_u24_e32 v23, 10, v0
	v_lshlrev_b32_e32 v1, 2, v23
	ds_read2_b64 v[2:5], v1 offset1:1
	ds_read2_b64 v[16:19], v1 offset0:2 offset1:3
	ds_read_b64 v[20:21], v1 offset:32
	s_cmp_lg_u32 s41, 0
	v_lshrrev_b32_e32 v24, 5, v0
	v_cmp_gt_u32_e32 vcc, 64, v0
	s_waitcnt lgkmcnt(0)
	s_barrier
	s_cbranch_scc0 .LBB7036_94
; %bb.29:
	v_add_u32_e32 v6, v3, v2
	v_ashrrev_i32_e32 v7, 31, v6
	v_lshlrev_b64 v[6:7], 2, v[6:7]
	v_mov_b32_e32 v8, s25
	v_add_co_u32_e64 v6, s[4:5], s24, v6
	v_addc_co_u32_e64 v7, s[4:5], v8, v7, s[4:5]
	global_load_dword v6, v[6:7], off
	s_waitcnt vmcnt(0)
	v_add_u32_e32 v6, v6, v4
	v_ashrrev_i32_e32 v7, 31, v6
	v_lshlrev_b64 v[6:7], 2, v[6:7]
	v_add_co_u32_e64 v6, s[4:5], s24, v6
	v_addc_co_u32_e64 v7, s[4:5], v8, v7, s[4:5]
	global_load_dword v6, v[6:7], off
	s_waitcnt vmcnt(0)
	v_add_u32_e32 v6, v6, v5
	v_ashrrev_i32_e32 v7, 31, v6
	v_lshlrev_b64 v[6:7], 2, v[6:7]
	;; [unrolled: 7-line block ×8, first 2 shown]
	v_add_co_u32_e64 v6, s[4:5], s24, v6
	v_addc_co_u32_e64 v7, s[4:5], v8, v7, s[4:5]
	global_load_dword v25, v[6:7], off
	v_add_lshl_u32 v6, v24, v0, 2
	s_waitcnt vmcnt(0)
	ds_write_b32 v6, v25
	s_waitcnt lgkmcnt(0)
	s_barrier
	s_and_saveexec_b64 s[22:23], vcc
	s_cbranch_execz .LBB7036_43
; %bb.30:
	v_lshlrev_b32_e32 v6, 1, v0
	v_lshrrev_b32_e32 v7, 4, v0
	v_add_lshl_u32 v8, v7, v6, 2
	ds_read2_b32 v[6:7], v8 offset1:1
	v_mov_b32_e32 v9, s25
	s_waitcnt lgkmcnt(0)
	v_add_u32_e32 v10, v7, v6
	v_ashrrev_i32_e32 v11, 31, v10
	v_lshlrev_b64 v[10:11], 2, v[10:11]
	v_add_co_u32_e64 v10, s[4:5], s24, v10
	v_addc_co_u32_e64 v11, s[4:5], v9, v11, s[4:5]
	global_load_dword v9, v[10:11], off
	v_mbcnt_lo_u32_b32 v7, -1, 0
	v_mbcnt_hi_u32_b32 v7, -1, v7
	v_and_b32_e32 v10, 15, v7
	v_cmp_ne_u32_e64 s[4:5], 0, v10
	s_waitcnt vmcnt(0)
	v_mov_b32_dpp v11, v9 row_shr:1 row_mask:0xf bank_mask:0xf
	s_and_saveexec_b64 s[28:29], s[4:5]
	s_cbranch_execz .LBB7036_32
; %bb.31:
	v_add_u32_e32 v12, v11, v9
	v_ashrrev_i32_e32 v13, 31, v12
	v_lshlrev_b64 v[12:13], 2, v[12:13]
	v_mov_b32_e32 v9, s25
	v_add_co_u32_e64 v12, s[4:5], s24, v12
	v_addc_co_u32_e64 v13, s[4:5], v9, v13, s[4:5]
	global_load_dword v9, v[12:13], off
.LBB7036_32:
	s_or_b64 exec, exec, s[28:29]
	s_waitcnt vmcnt(0)
	v_mov_b32_dpp v11, v9 row_shr:2 row_mask:0xf bank_mask:0xf
	v_cmp_lt_u32_e64 s[4:5], 1, v10
	s_and_saveexec_b64 s[28:29], s[4:5]
	s_cbranch_execz .LBB7036_34
; %bb.33:
	v_add_u32_e32 v12, v11, v9
	v_ashrrev_i32_e32 v13, 31, v12
	v_lshlrev_b64 v[12:13], 2, v[12:13]
	v_mov_b32_e32 v9, s25
	v_add_co_u32_e64 v12, s[4:5], s24, v12
	v_addc_co_u32_e64 v13, s[4:5], v9, v13, s[4:5]
	global_load_dword v9, v[12:13], off
.LBB7036_34:
	s_or_b64 exec, exec, s[28:29]
	s_waitcnt vmcnt(0)
	v_mov_b32_dpp v11, v9 row_shr:4 row_mask:0xf bank_mask:0xf
	v_cmp_lt_u32_e64 s[4:5], 3, v10
	;; [unrolled: 15-line block ×3, first 2 shown]
	s_and_saveexec_b64 s[28:29], s[4:5]
	s_cbranch_execz .LBB7036_38
; %bb.37:
	v_add_u32_e32 v10, v11, v9
	v_ashrrev_i32_e32 v11, 31, v10
	v_lshlrev_b64 v[10:11], 2, v[10:11]
	v_mov_b32_e32 v9, s25
	v_add_co_u32_e64 v10, s[4:5], s24, v10
	v_addc_co_u32_e64 v11, s[4:5], v9, v11, s[4:5]
	global_load_dword v9, v[10:11], off
.LBB7036_38:
	s_or_b64 exec, exec, s[28:29]
	v_and_b32_e32 v11, 16, v7
	s_waitcnt vmcnt(0)
	v_mov_b32_dpp v10, v9 row_bcast:15 row_mask:0xf bank_mask:0xf
	v_cmp_ne_u32_e64 s[4:5], 0, v11
	s_and_saveexec_b64 s[28:29], s[4:5]
	s_cbranch_execz .LBB7036_40
; %bb.39:
	v_add_u32_e32 v10, v10, v9
	v_ashrrev_i32_e32 v11, 31, v10
	v_lshlrev_b64 v[10:11], 2, v[10:11]
	v_mov_b32_e32 v9, s25
	v_add_co_u32_e64 v10, s[4:5], s24, v10
	v_addc_co_u32_e64 v11, s[4:5], v9, v11, s[4:5]
	global_load_dword v9, v[10:11], off
.LBB7036_40:
	s_or_b64 exec, exec, s[28:29]
	s_waitcnt vmcnt(0)
	v_mov_b32_dpp v10, v9 row_bcast:31 row_mask:0xf bank_mask:0xf
	v_cmp_lt_u32_e64 s[4:5], 31, v7
	s_and_saveexec_b64 s[28:29], s[4:5]
	s_cbranch_execz .LBB7036_42
; %bb.41:
	v_add_u32_e32 v10, v10, v9
	v_ashrrev_i32_e32 v11, 31, v10
	v_lshlrev_b64 v[10:11], 2, v[10:11]
	v_mov_b32_e32 v9, s25
	v_add_co_u32_e64 v10, s[4:5], s24, v10
	v_addc_co_u32_e64 v11, s[4:5], v9, v11, s[4:5]
	global_load_dword v9, v[10:11], off
.LBB7036_42:
	s_or_b64 exec, exec, s[28:29]
	v_add_u32_e32 v10, -1, v7
	v_and_b32_e32 v11, 64, v7
	v_cmp_lt_i32_e64 s[4:5], v10, v11
	v_cndmask_b32_e64 v7, v10, v7, s[4:5]
	v_lshlrev_b32_e32 v7, 2, v7
	s_waitcnt vmcnt(0)
	ds_bpermute_b32 v7, v7, v9
	v_mov_b32_e32 v9, s25
	s_waitcnt lgkmcnt(0)
	v_add_u32_e32 v6, v7, v6
	v_ashrrev_i32_e32 v7, 31, v6
	v_lshlrev_b64 v[6:7], 2, v[6:7]
	v_add_co_u32_e64 v6, s[4:5], s24, v6
	v_addc_co_u32_e64 v7, s[4:5], v9, v7, s[4:5]
	global_load_dword v6, v[6:7], off
	; wave barrier
	s_waitcnt vmcnt(0)
	v_cndmask_b32_e64 v6, v6, v25, s[2:3]
	ds_write_b32 v8, v6
	; wave barrier
	ds_read_b32 v7, v8 offset:4
	s_waitcnt lgkmcnt(0)
	v_add_u32_e32 v6, v7, v6
	v_ashrrev_i32_e32 v7, 31, v6
	v_lshlrev_b64 v[6:7], 2, v[6:7]
	v_add_co_u32_e64 v6, s[4:5], s24, v6
	v_addc_co_u32_e64 v7, s[4:5], v9, v7, s[4:5]
	global_load_dword v6, v[6:7], off
	s_waitcnt vmcnt(0)
	ds_write_b32 v8, v6 offset:4
.LBB7036_43:
	s_or_b64 exec, exec, s[22:23]
	s_waitcnt lgkmcnt(0)
	s_barrier
	s_and_saveexec_b64 s[4:5], s[0:1]
	s_cbranch_execz .LBB7036_45
; %bb.44:
	v_add_u32_e32 v6, -1, v0
	v_lshrrev_b32_e32 v7, 5, v6
	v_add_lshl_u32 v6, v7, v6, 2
	ds_read_b32 v25, v6
.LBB7036_45:
	s_or_b64 exec, exec, s[4:5]
	s_and_saveexec_b64 s[22:23], vcc
	s_cbranch_execz .LBB7036_91
; %bb.46:
	v_mov_b32_e32 v13, 0
	ds_read_b32 v6, v13 offset:520
	v_mbcnt_lo_u32_b32 v7, -1, 0
	v_mbcnt_hi_u32_b32 v9, -1, v7
	s_mov_b32 s31, 0
	v_cmp_eq_u32_e64 s[4:5], 0, v9
	s_and_saveexec_b64 s[28:29], s[4:5]
	s_cbranch_execz .LBB7036_48
; %bb.47:
	s_add_i32 s30, s41, 64
	s_lshl_b64 s[30:31], s[30:31], 3
	s_add_u32 s30, s26, s30
	v_mov_b32_e32 v7, 1
	s_addc_u32 s31, s27, s31
	s_waitcnt lgkmcnt(0)
	global_store_dwordx2 v13, v[6:7], s[30:31]
.LBB7036_48:
	s_or_b64 exec, exec, s[28:29]
	v_xad_u32 v8, v9, -1, s41
	v_add_u32_e32 v12, 64, v8
	v_lshlrev_b64 v[10:11], 3, v[12:13]
	v_mov_b32_e32 v7, s27
	v_add_co_u32_e32 v14, vcc, s26, v10
	v_addc_co_u32_e32 v15, vcc, v7, v11, vcc
	global_load_dwordx2 v[10:11], v[14:15], off glc
	s_waitcnt vmcnt(0)
	v_cmp_eq_u16_sdwa s[30:31], v11, v13 src0_sel:BYTE_0 src1_sel:DWORD
	s_and_saveexec_b64 s[28:29], s[30:31]
	s_cbranch_execz .LBB7036_52
; %bb.49:
	s_mov_b64 s[30:31], 0
	v_mov_b32_e32 v7, 0
.LBB7036_50:                            ; =>This Inner Loop Header: Depth=1
	global_load_dwordx2 v[10:11], v[14:15], off glc
	s_waitcnt vmcnt(0)
	v_cmp_ne_u16_sdwa s[34:35], v11, v7 src0_sel:BYTE_0 src1_sel:DWORD
	s_or_b64 s[30:31], s[34:35], s[30:31]
	s_andn2_b64 exec, exec, s[30:31]
	s_cbranch_execnz .LBB7036_50
; %bb.51:
	s_or_b64 exec, exec, s[30:31]
.LBB7036_52:
	s_or_b64 exec, exec, s[28:29]
	v_mov_b32_e32 v7, 2
	v_cmp_eq_u16_sdwa s[28:29], v11, v7 src0_sel:BYTE_0 src1_sel:DWORD
	v_lshlrev_b64 v[12:13], v9, -1
	v_and_b32_e32 v7, s29, v13
	v_or_b32_e32 v7, 0x80000000, v7
	v_ffbl_b32_e32 v27, v7
	v_and_b32_e32 v7, 63, v9
	v_cmp_ne_u32_e32 vcc, 63, v7
	v_addc_co_u32_e32 v15, vcc, 0, v9, vcc
	v_lshlrev_b32_e32 v26, 2, v15
	ds_bpermute_b32 v15, v26, v10
	v_and_b32_e32 v14, s28, v12
	v_add_u32_e32 v27, 32, v27
	v_ffbl_b32_e32 v14, v14
	v_min_u32_e32 v14, v14, v27
	v_cmp_lt_u32_e32 vcc, v7, v14
	s_and_saveexec_b64 s[28:29], vcc
	s_cbranch_execz .LBB7036_54
; %bb.53:
	s_waitcnt lgkmcnt(0)
	v_add_u32_e32 v28, v15, v10
	v_ashrrev_i32_e32 v29, 31, v28
	v_lshlrev_b64 v[28:29], 2, v[28:29]
	v_mov_b32_e32 v10, s25
	v_add_co_u32_e32 v28, vcc, s24, v28
	v_addc_co_u32_e32 v29, vcc, v10, v29, vcc
	global_load_dword v10, v[28:29], off
.LBB7036_54:
	s_or_b64 exec, exec, s[28:29]
	v_cmp_gt_u32_e32 vcc, 62, v7
	s_waitcnt lgkmcnt(0)
	v_cndmask_b32_e64 v15, 0, 1, vcc
	v_lshlrev_b32_e32 v15, 1, v15
	v_add_lshl_u32 v27, v15, v9, 2
	s_waitcnt vmcnt(0)
	ds_bpermute_b32 v15, v27, v10
	v_add_u32_e32 v28, 2, v7
	v_cmp_le_u32_e32 vcc, v28, v14
	s_and_saveexec_b64 s[28:29], vcc
	s_cbranch_execz .LBB7036_56
; %bb.55:
	s_waitcnt lgkmcnt(0)
	v_add_u32_e32 v30, v15, v10
	v_ashrrev_i32_e32 v31, 31, v30
	v_lshlrev_b64 v[30:31], 2, v[30:31]
	v_mov_b32_e32 v10, s25
	v_add_co_u32_e32 v30, vcc, s24, v30
	v_addc_co_u32_e32 v31, vcc, v10, v31, vcc
	global_load_dword v10, v[30:31], off
.LBB7036_56:
	s_or_b64 exec, exec, s[28:29]
	v_cmp_gt_u32_e32 vcc, 60, v7
	s_waitcnt lgkmcnt(0)
	v_cndmask_b32_e64 v15, 0, 1, vcc
	v_lshlrev_b32_e32 v15, 2, v15
	v_add_lshl_u32 v29, v15, v9, 2
	s_waitcnt vmcnt(0)
	ds_bpermute_b32 v15, v29, v10
	v_add_u32_e32 v30, 4, v7
	v_cmp_le_u32_e32 vcc, v30, v14
	;; [unrolled: 22-line block ×5, first 2 shown]
	s_mov_b64 s[28:29], -1
                                        ; implicit-def: $vgpr14
	s_and_saveexec_b64 s[30:31], vcc
	s_cbranch_execz .LBB7036_64
; %bb.63:
	s_waitcnt lgkmcnt(0)
	v_add_u32_e32 v14, v9, v10
	s_xor_b64 s[28:29], exec, -1
.LBB7036_64:
	s_or_b64 exec, exec, s[30:31]
	s_mov_b64 s[30:31], 0
	s_waitcnt lgkmcnt(0)
	v_mov_b32_e32 v9, 0
	v_mov_b32_e32 v38, 2
                                        ; implicit-def: $sgpr34_sgpr35
	s_branch .LBB7036_66
.LBB7036_65:                            ;   in Loop: Header=BB7036_66 Depth=1
	s_or_b64 exec, exec, s[28:29]
	v_subrev_u32_e32 v8, 64, v8
	s_waitcnt vmcnt(0)
	v_add_u32_e32 v14, v10, v37
	s_mov_b64 s[28:29], 0
	s_mov_b64 s[30:31], 0
                                        ; implicit-def: $sgpr34_sgpr35
.LBB7036_66:                            ; =>This Loop Header: Depth=1
                                        ;     Child Loop BB7036_72 Depth 2
	s_waitcnt vmcnt(0)
	v_mov_b32_e32 v37, v10
	s_xor_b64 s[38:39], s[28:29], -1
	s_or_b64 s[34:35], s[34:35], exec
                                        ; implicit-def: $sgpr36_sgpr37
	s_and_saveexec_b64 s[42:43], s[38:39]
	s_xor_b64 s[38:39], exec, s[42:43]
	s_cbranch_execz .LBB7036_68
; %bb.67:                               ;   in Loop: Header=BB7036_66 Depth=1
	s_waitcnt lgkmcnt(0)
	v_ashrrev_i32_e32 v15, 31, v14
	v_lshlrev_b64 v[40:41], 2, v[14:15]
	v_mov_b32_e32 v10, s25
	v_add_co_u32_e32 v40, vcc, s24, v40
	v_addc_co_u32_e32 v41, vcc, v10, v41, vcc
	global_load_dword v10, v[40:41], off
	s_mov_b64 s[36:37], -1
	s_andn2_b64 s[34:35], s[34:35], exec
                                        ; implicit-def: $sgpr28_sgpr29
.LBB7036_68:                            ;   in Loop: Header=BB7036_66 Depth=1
	s_or_b64 exec, exec, s[38:39]
	s_and_b64 s[38:39], exec, s[34:35]
	s_or_b64 s[30:31], s[38:39], s[30:31]
	s_andn2_b64 s[28:29], s[28:29], exec
	s_and_b64 s[36:37], s[36:37], exec
	s_or_b64 s[28:29], s[28:29], s[36:37]
	s_andn2_b64 exec, exec, s[30:31]
	s_cbranch_execnz .LBB7036_66
; %bb.69:                               ;   in Loop: Header=BB7036_66 Depth=1
	s_or_b64 exec, exec, s[30:31]
	v_cmp_ne_u16_sdwa s[28:29], v11, v38 src0_sel:BYTE_0 src1_sel:DWORD
	s_waitcnt vmcnt(0)
	v_cndmask_b32_e64 v10, 0, 1, s[28:29]
	;;#ASMSTART
	;;#ASMEND
	v_cmp_ne_u32_e32 vcc, 0, v10
	s_cmp_lg_u64 vcc, exec
	s_cbranch_scc1 .LBB7036_86
; %bb.70:                               ;   in Loop: Header=BB7036_66 Depth=1
	v_lshlrev_b64 v[10:11], 3, v[8:9]
	s_waitcnt lgkmcnt(0)
	v_mov_b32_e32 v15, s27
	v_add_co_u32_e32 v14, vcc, s26, v10
	v_addc_co_u32_e32 v15, vcc, v15, v11, vcc
	global_load_dwordx2 v[10:11], v[14:15], off glc
	s_waitcnt vmcnt(0)
	v_cmp_eq_u16_sdwa s[30:31], v11, v9 src0_sel:BYTE_0 src1_sel:DWORD
	s_and_saveexec_b64 s[28:29], s[30:31]
	s_cbranch_execz .LBB7036_74
; %bb.71:                               ;   in Loop: Header=BB7036_66 Depth=1
	s_mov_b64 s[30:31], 0
.LBB7036_72:                            ;   Parent Loop BB7036_66 Depth=1
                                        ; =>  This Inner Loop Header: Depth=2
	global_load_dwordx2 v[10:11], v[14:15], off glc
	s_waitcnt vmcnt(0)
	v_cmp_ne_u16_sdwa s[34:35], v11, v9 src0_sel:BYTE_0 src1_sel:DWORD
	s_or_b64 s[30:31], s[34:35], s[30:31]
	s_andn2_b64 exec, exec, s[30:31]
	s_cbranch_execnz .LBB7036_72
; %bb.73:                               ;   in Loop: Header=BB7036_66 Depth=1
	s_or_b64 exec, exec, s[30:31]
.LBB7036_74:                            ;   in Loop: Header=BB7036_66 Depth=1
	s_or_b64 exec, exec, s[28:29]
	v_cmp_eq_u16_sdwa s[28:29], v11, v38 src0_sel:BYTE_0 src1_sel:DWORD
	v_and_b32_e32 v14, s29, v13
	v_or_b32_e32 v14, 0x80000000, v14
	ds_bpermute_b32 v15, v26, v10
	v_and_b32_e32 v39, s28, v12
	v_ffbl_b32_e32 v14, v14
	v_add_u32_e32 v14, 32, v14
	v_ffbl_b32_e32 v39, v39
	v_min_u32_e32 v14, v39, v14
	v_cmp_lt_u32_e32 vcc, v7, v14
	s_and_saveexec_b64 s[28:29], vcc
	s_cbranch_execz .LBB7036_76
; %bb.75:                               ;   in Loop: Header=BB7036_66 Depth=1
	s_waitcnt lgkmcnt(0)
	v_add_u32_e32 v40, v15, v10
	v_ashrrev_i32_e32 v41, 31, v40
	v_lshlrev_b64 v[40:41], 2, v[40:41]
	v_mov_b32_e32 v10, s25
	v_add_co_u32_e32 v40, vcc, s24, v40
	v_addc_co_u32_e32 v41, vcc, v10, v41, vcc
	global_load_dword v10, v[40:41], off
.LBB7036_76:                            ;   in Loop: Header=BB7036_66 Depth=1
	s_or_b64 exec, exec, s[28:29]
	s_waitcnt vmcnt(0) lgkmcnt(0)
	ds_bpermute_b32 v15, v27, v10
	v_cmp_le_u32_e32 vcc, v28, v14
	s_and_saveexec_b64 s[28:29], vcc
	s_cbranch_execz .LBB7036_78
; %bb.77:                               ;   in Loop: Header=BB7036_66 Depth=1
	s_waitcnt lgkmcnt(0)
	v_add_u32_e32 v40, v15, v10
	v_ashrrev_i32_e32 v41, 31, v40
	v_lshlrev_b64 v[40:41], 2, v[40:41]
	v_mov_b32_e32 v10, s25
	v_add_co_u32_e32 v40, vcc, s24, v40
	v_addc_co_u32_e32 v41, vcc, v10, v41, vcc
	global_load_dword v10, v[40:41], off
.LBB7036_78:                            ;   in Loop: Header=BB7036_66 Depth=1
	s_or_b64 exec, exec, s[28:29]
	s_waitcnt vmcnt(0) lgkmcnt(0)
	ds_bpermute_b32 v15, v29, v10
	v_cmp_le_u32_e32 vcc, v30, v14
	;; [unrolled: 16-line block ×5, first 2 shown]
	s_and_saveexec_b64 s[28:29], vcc
	s_cbranch_execz .LBB7036_65
; %bb.85:                               ;   in Loop: Header=BB7036_66 Depth=1
	s_waitcnt lgkmcnt(0)
	v_add_u32_e32 v14, v15, v10
	v_ashrrev_i32_e32 v15, 31, v14
	v_lshlrev_b64 v[14:15], 2, v[14:15]
	v_mov_b32_e32 v10, s25
	v_add_co_u32_e32 v14, vcc, s24, v14
	v_addc_co_u32_e32 v15, vcc, v10, v15, vcc
	global_load_dword v10, v[14:15], off
	s_branch .LBB7036_65
.LBB7036_86:                            ;   in Loop: Header=BB7036_66 Depth=1
	s_mov_b64 s[28:29], -1
                                        ; implicit-def: $vgpr14
                                        ; implicit-def: $vgpr11
	s_mov_b64 s[30:31], 0
                                        ; implicit-def: $sgpr34_sgpr35
	s_cbranch_execz .LBB7036_66
; %bb.87:
	s_and_saveexec_b64 s[28:29], s[4:5]
	s_cbranch_execz .LBB7036_89
; %bb.88:
	v_add_u32_e32 v6, v37, v6
	v_ashrrev_i32_e32 v7, 31, v6
	v_lshlrev_b64 v[6:7], 2, v[6:7]
	v_mov_b32_e32 v8, s25
	v_add_co_u32_e32 v6, vcc, s24, v6
	v_addc_co_u32_e32 v7, vcc, v8, v7, vcc
	global_load_dword v6, v[6:7], off
	s_add_i32 s4, s41, 64
	s_mov_b32 s5, 0
	s_lshl_b64 s[4:5], s[4:5], 3
	s_add_u32 s4, s26, s4
	s_addc_u32 s5, s27, s5
	v_mov_b32_e32 v8, 0
	v_mov_b32_e32 v7, 2
	s_waitcnt vmcnt(0)
	global_store_dwordx2 v8, v[6:7], s[4:5]
.LBB7036_89:
	s_or_b64 exec, exec, s[28:29]
	s_and_b64 exec, exec, s[2:3]
	s_cbranch_execz .LBB7036_91
; %bb.90:
	v_mov_b32_e32 v6, 0
	ds_write_b32 v6, v37
.LBB7036_91:
	s_or_b64 exec, exec, s[22:23]
	v_mov_b32_e32 v6, 0
	s_waitcnt lgkmcnt(0)
	s_barrier
	ds_read_b32 v6, v6
	v_mov_b32_e32 v7, v2
	s_and_saveexec_b64 s[4:5], s[0:1]
	s_cbranch_execz .LBB7036_93
; %bb.92:
	v_add_u32_e32 v8, v25, v2
	v_ashrrev_i32_e32 v9, 31, v8
	v_lshlrev_b64 v[8:9], 2, v[8:9]
	v_mov_b32_e32 v7, s25
	v_add_co_u32_e32 v8, vcc, s24, v8
	v_addc_co_u32_e32 v9, vcc, v7, v9, vcc
	global_load_dword v7, v[8:9], off
.LBB7036_93:
	s_or_b64 exec, exec, s[4:5]
	s_waitcnt vmcnt(0) lgkmcnt(0)
	v_add_u32_e32 v6, v7, v6
	v_ashrrev_i32_e32 v7, 31, v6
	v_lshlrev_b64 v[6:7], 2, v[6:7]
	v_mov_b32_e32 v8, s25
	v_add_co_u32_e32 v6, vcc, s24, v6
	v_addc_co_u32_e32 v7, vcc, v8, v7, vcc
	global_load_dword v6, v[6:7], off
	v_mov_b32_e32 v7, s25
	v_mov_b32_e32 v10, s25
	;; [unrolled: 1-line block ×5, first 2 shown]
	s_waitcnt vmcnt(0)
	v_add_u32_e32 v8, v6, v3
	v_ashrrev_i32_e32 v9, 31, v8
	v_lshlrev_b64 v[8:9], 2, v[8:9]
	v_add_co_u32_e32 v8, vcc, s24, v8
	v_addc_co_u32_e32 v9, vcc, v7, v9, vcc
	global_load_dword v7, v[8:9], off
	s_waitcnt vmcnt(0)
	v_add_u32_e32 v8, v7, v4
	v_ashrrev_i32_e32 v9, 31, v8
	v_lshlrev_b64 v[8:9], 2, v[8:9]
	v_add_co_u32_e32 v8, vcc, s24, v8
	v_addc_co_u32_e32 v9, vcc, v10, v9, vcc
	global_load_dword v8, v[8:9], off
	v_mov_b32_e32 v9, s25
	s_waitcnt vmcnt(0)
	v_add_u32_e32 v10, v8, v5
	v_ashrrev_i32_e32 v11, 31, v10
	v_lshlrev_b64 v[10:11], 2, v[10:11]
	v_add_co_u32_e32 v10, vcc, s24, v10
	v_addc_co_u32_e32 v11, vcc, v9, v11, vcc
	global_load_dword v9, v[10:11], off
	s_waitcnt vmcnt(0)
	v_add_u32_e32 v10, v9, v16
	v_ashrrev_i32_e32 v11, 31, v10
	v_lshlrev_b64 v[10:11], 2, v[10:11]
	v_add_co_u32_e32 v10, vcc, s24, v10
	v_addc_co_u32_e32 v11, vcc, v12, v11, vcc
	global_load_dword v10, v[10:11], off
	v_mov_b32_e32 v11, s25
	s_waitcnt vmcnt(0)
	v_add_u32_e32 v12, v10, v17
	v_ashrrev_i32_e32 v13, 31, v12
	v_lshlrev_b64 v[12:13], 2, v[12:13]
	v_add_co_u32_e32 v12, vcc, s24, v12
	v_addc_co_u32_e32 v13, vcc, v11, v13, vcc
	global_load_dword v11, v[12:13], off
	s_waitcnt vmcnt(0)
	v_add_u32_e32 v12, v11, v18
	v_ashrrev_i32_e32 v13, 31, v12
	v_lshlrev_b64 v[12:13], 2, v[12:13]
	v_add_co_u32_e32 v12, vcc, s24, v12
	v_addc_co_u32_e32 v13, vcc, v14, v13, vcc
	global_load_dword v12, v[12:13], off
	v_mov_b32_e32 v13, s25
	s_waitcnt vmcnt(0)
	v_add_u32_e32 v14, v12, v19
	v_ashrrev_i32_e32 v15, 31, v14
	v_lshlrev_b64 v[14:15], 2, v[14:15]
	v_add_co_u32_e32 v14, vcc, s24, v14
	v_addc_co_u32_e32 v15, vcc, v13, v15, vcc
	global_load_dword v13, v[14:15], off
	s_waitcnt vmcnt(0)
	v_add_u32_e32 v14, v13, v20
	v_ashrrev_i32_e32 v15, 31, v14
	v_lshlrev_b64 v[14:15], 2, v[14:15]
	v_add_co_u32_e32 v14, vcc, s24, v14
	v_addc_co_u32_e32 v15, vcc, v25, v15, vcc
	global_load_dword v14, v[14:15], off
	v_mov_b32_e32 v15, s25
	s_waitcnt vmcnt(0)
	v_add_u32_e32 v26, v14, v21
	v_ashrrev_i32_e32 v27, 31, v26
	v_lshlrev_b64 v[26:27], 2, v[26:27]
	v_add_co_u32_e32 v26, vcc, s24, v26
	v_addc_co_u32_e32 v27, vcc, v15, v27, vcc
	global_load_dword v15, v[26:27], off
	s_branch .LBB7036_118
.LBB7036_94:
                                        ; implicit-def: $vgpr6_vgpr7_vgpr8_vgpr9_vgpr10_vgpr11_vgpr12_vgpr13_vgpr14_vgpr15
	s_cbranch_execz .LBB7036_118
; %bb.95:
	s_cmp_lg_u64 s[12:13], 0
	s_cselect_b64 s[4:5], -1, 0
	s_waitcnt vmcnt(0)
	v_pk_mov_b32 v[14:15], v[10:11], v[10:11] op_sel:[0,1]
	s_and_b64 s[12:13], s[2:3], s[4:5]
	v_pk_mov_b32 v[12:13], v[8:9], v[8:9] op_sel:[0,1]
	v_pk_mov_b32 v[10:11], v[6:7], v[6:7] op_sel:[0,1]
	;; [unrolled: 1-line block ×4, first 2 shown]
	s_and_saveexec_b64 s[4:5], s[12:13]
	s_cbranch_execz .LBB7036_97
; %bb.96:
	v_mov_b32_e32 v6, 0
	global_load_dword v6, v6, s[8:9]
	v_mov_b32_e32 v8, s25
	s_waitcnt vmcnt(0)
	v_add_u32_e32 v6, v6, v2
	v_ashrrev_i32_e32 v7, 31, v6
	v_lshlrev_b64 v[6:7], 2, v[6:7]
	v_add_co_u32_e32 v6, vcc, s24, v6
	v_addc_co_u32_e32 v7, vcc, v8, v7, vcc
	global_load_dword v6, v[6:7], off
	s_waitcnt vmcnt(0)
	v_mov_b32_e32 v2, v6
.LBB7036_97:
	s_or_b64 exec, exec, s[4:5]
	v_add_u32_e32 v8, v3, v2
	v_ashrrev_i32_e32 v9, 31, v8
	v_lshlrev_b64 v[10:11], 2, v[8:9]
	v_mov_b32_e32 v7, s25
	v_add_co_u32_e32 v10, vcc, s24, v10
	v_addc_co_u32_e32 v11, vcc, v7, v11, vcc
	global_load_dword v7, v[10:11], off
	v_mov_b32_e32 v12, s25
	s_waitcnt vmcnt(0)
	v_add_u32_e32 v10, v4, v7
	v_ashrrev_i32_e32 v11, 31, v10
	v_lshlrev_b64 v[10:11], 2, v[10:11]
	v_add_co_u32_e32 v10, vcc, s24, v10
	v_addc_co_u32_e32 v11, vcc, v12, v11, vcc
	global_load_dword v7, v[10:11], off
	s_waitcnt vmcnt(0)
	v_add_u32_e32 v10, v7, v5
	v_ashrrev_i32_e32 v11, 31, v10
	v_lshlrev_b64 v[10:11], 2, v[10:11]
	v_add_co_u32_e32 v10, vcc, s24, v10
	v_addc_co_u32_e32 v11, vcc, v12, v11, vcc
	global_load_dword v7, v[10:11], off
	;; [unrolled: 7-line block ×8, first 2 shown]
	v_add_lshl_u32 v10, v24, v0, 2
	v_cmp_gt_u32_e32 vcc, 64, v0
	s_waitcnt vmcnt(0)
	ds_write_b32 v10, v7
	s_waitcnt lgkmcnt(0)
	s_barrier
	s_and_saveexec_b64 s[4:5], vcc
	s_cbranch_execz .LBB7036_111
; %bb.98:
	v_lshlrev_b32_e32 v10, 1, v0
	v_lshrrev_b32_e32 v11, 4, v0
	v_add_lshl_u32 v12, v11, v10, 2
	ds_read2_b32 v[10:11], v12 offset1:1
	v_mov_b32_e32 v13, s25
	s_waitcnt lgkmcnt(0)
	v_add_u32_e32 v14, v11, v10
	v_ashrrev_i32_e32 v15, 31, v14
	v_lshlrev_b64 v[14:15], 2, v[14:15]
	v_add_co_u32_e32 v14, vcc, s24, v14
	v_addc_co_u32_e32 v15, vcc, v13, v15, vcc
	global_load_dword v13, v[14:15], off
	v_mbcnt_lo_u32_b32 v11, -1, 0
	v_mbcnt_hi_u32_b32 v11, -1, v11
	v_and_b32_e32 v14, 15, v11
	v_cmp_ne_u32_e32 vcc, 0, v14
	s_waitcnt vmcnt(0)
	v_mov_b32_dpp v15, v13 row_shr:1 row_mask:0xf bank_mask:0xf
	s_and_saveexec_b64 s[8:9], vcc
	s_cbranch_execz .LBB7036_100
; %bb.99:
	v_add_u32_e32 v24, v15, v13
	v_ashrrev_i32_e32 v25, 31, v24
	v_lshlrev_b64 v[24:25], 2, v[24:25]
	v_mov_b32_e32 v13, s25
	v_add_co_u32_e32 v24, vcc, s24, v24
	v_addc_co_u32_e32 v25, vcc, v13, v25, vcc
	global_load_dword v13, v[24:25], off
.LBB7036_100:
	s_or_b64 exec, exec, s[8:9]
	s_waitcnt vmcnt(0)
	v_mov_b32_dpp v15, v13 row_shr:2 row_mask:0xf bank_mask:0xf
	v_cmp_lt_u32_e32 vcc, 1, v14
	s_and_saveexec_b64 s[8:9], vcc
	s_cbranch_execz .LBB7036_102
; %bb.101:
	v_add_u32_e32 v24, v15, v13
	v_ashrrev_i32_e32 v25, 31, v24
	v_lshlrev_b64 v[24:25], 2, v[24:25]
	v_mov_b32_e32 v13, s25
	v_add_co_u32_e32 v24, vcc, s24, v24
	v_addc_co_u32_e32 v25, vcc, v13, v25, vcc
	global_load_dword v13, v[24:25], off
.LBB7036_102:
	s_or_b64 exec, exec, s[8:9]
	s_waitcnt vmcnt(0)
	v_mov_b32_dpp v15, v13 row_shr:4 row_mask:0xf bank_mask:0xf
	v_cmp_lt_u32_e32 vcc, 3, v14
	s_and_saveexec_b64 s[8:9], vcc
	s_cbranch_execz .LBB7036_104
; %bb.103:
	v_add_u32_e32 v24, v15, v13
	v_ashrrev_i32_e32 v25, 31, v24
	v_lshlrev_b64 v[24:25], 2, v[24:25]
	v_mov_b32_e32 v13, s25
	v_add_co_u32_e32 v24, vcc, s24, v24
	v_addc_co_u32_e32 v25, vcc, v13, v25, vcc
	global_load_dword v13, v[24:25], off
.LBB7036_104:
	s_or_b64 exec, exec, s[8:9]
	s_waitcnt vmcnt(0)
	v_mov_b32_dpp v15, v13 row_shr:8 row_mask:0xf bank_mask:0xf
	v_cmp_lt_u32_e32 vcc, 7, v14
	s_and_saveexec_b64 s[8:9], vcc
	s_cbranch_execz .LBB7036_106
; %bb.105:
	v_add_u32_e32 v14, v15, v13
	v_ashrrev_i32_e32 v15, 31, v14
	v_lshlrev_b64 v[14:15], 2, v[14:15]
	v_mov_b32_e32 v13, s25
	v_add_co_u32_e32 v14, vcc, s24, v14
	v_addc_co_u32_e32 v15, vcc, v13, v15, vcc
	global_load_dword v13, v[14:15], off
.LBB7036_106:
	s_or_b64 exec, exec, s[8:9]
	v_and_b32_e32 v15, 16, v11
	s_waitcnt vmcnt(0)
	v_mov_b32_dpp v14, v13 row_bcast:15 row_mask:0xf bank_mask:0xf
	v_cmp_ne_u32_e32 vcc, 0, v15
	s_and_saveexec_b64 s[8:9], vcc
	s_cbranch_execz .LBB7036_108
; %bb.107:
	v_add_u32_e32 v14, v14, v13
	v_ashrrev_i32_e32 v15, 31, v14
	v_lshlrev_b64 v[14:15], 2, v[14:15]
	v_mov_b32_e32 v13, s25
	v_add_co_u32_e32 v14, vcc, s24, v14
	v_addc_co_u32_e32 v15, vcc, v13, v15, vcc
	global_load_dword v13, v[14:15], off
.LBB7036_108:
	s_or_b64 exec, exec, s[8:9]
	s_waitcnt vmcnt(0)
	v_mov_b32_dpp v14, v13 row_bcast:31 row_mask:0xf bank_mask:0xf
	v_cmp_lt_u32_e32 vcc, 31, v11
	s_and_saveexec_b64 s[8:9], vcc
	s_cbranch_execz .LBB7036_110
; %bb.109:
	v_add_u32_e32 v14, v14, v13
	v_ashrrev_i32_e32 v15, 31, v14
	v_lshlrev_b64 v[14:15], 2, v[14:15]
	v_mov_b32_e32 v13, s25
	v_add_co_u32_e32 v14, vcc, s24, v14
	v_addc_co_u32_e32 v15, vcc, v13, v15, vcc
	global_load_dword v13, v[14:15], off
.LBB7036_110:
	s_or_b64 exec, exec, s[8:9]
	v_add_u32_e32 v14, -1, v11
	v_and_b32_e32 v15, 64, v11
	v_cmp_lt_i32_e32 vcc, v14, v15
	v_cndmask_b32_e32 v11, v14, v11, vcc
	v_lshlrev_b32_e32 v11, 2, v11
	s_waitcnt vmcnt(0)
	ds_bpermute_b32 v11, v11, v13
	v_mov_b32_e32 v13, s25
	s_waitcnt lgkmcnt(0)
	v_add_u32_e32 v10, v11, v10
	v_ashrrev_i32_e32 v11, 31, v10
	v_lshlrev_b64 v[10:11], 2, v[10:11]
	v_add_co_u32_e32 v10, vcc, s24, v10
	v_addc_co_u32_e32 v11, vcc, v13, v11, vcc
	global_load_dword v10, v[10:11], off
	; wave barrier
	s_waitcnt vmcnt(0)
	v_cndmask_b32_e64 v10, v10, v7, s[2:3]
	ds_write_b32 v12, v10
	; wave barrier
	ds_read_b32 v11, v12 offset:4
	s_waitcnt lgkmcnt(0)
	v_add_u32_e32 v10, v11, v10
	v_ashrrev_i32_e32 v11, 31, v10
	v_lshlrev_b64 v[10:11], 2, v[10:11]
	v_add_co_u32_e32 v10, vcc, s24, v10
	v_addc_co_u32_e32 v11, vcc, v13, v11, vcc
	global_load_dword v10, v[10:11], off
	s_waitcnt vmcnt(0)
	ds_write_b32 v12, v10 offset:4
.LBB7036_111:
	s_or_b64 exec, exec, s[4:5]
	s_waitcnt lgkmcnt(0)
	s_barrier
	s_and_saveexec_b64 s[2:3], s[0:1]
	s_cbranch_execz .LBB7036_113
; %bb.112:
	v_add_u32_e32 v7, -1, v0
	v_lshrrev_b32_e32 v10, 5, v7
	v_add_lshl_u32 v7, v10, v7, 2
	ds_read_b32 v7, v7
.LBB7036_113:
	s_or_b64 exec, exec, s[2:3]
	s_and_saveexec_b64 s[2:3], s[0:1]
	s_cbranch_execz .LBB7036_115
; %bb.114:
	s_waitcnt lgkmcnt(0)
	v_add_u32_e32 v6, v7, v2
	v_ashrrev_i32_e32 v7, 31, v6
	v_lshlrev_b64 v[6:7], 2, v[6:7]
	v_mov_b32_e32 v2, s25
	v_add_co_u32_e32 v6, vcc, s24, v6
	v_addc_co_u32_e32 v7, vcc, v2, v7, vcc
	global_load_dword v6, v[6:7], off
	;;#ASMSTART
	;;#ASMEND
	s_waitcnt vmcnt(0)
	v_add_u32_e32 v8, v6, v3
	v_ashrrev_i32_e32 v9, 31, v8
.LBB7036_115:
	s_or_b64 exec, exec, s[2:3]
	v_lshlrev_b64 v[2:3], 2, v[8:9]
	s_waitcnt lgkmcnt(0)
	v_mov_b32_e32 v7, s25
	v_add_co_u32_e32 v2, vcc, s24, v2
	v_addc_co_u32_e32 v3, vcc, v7, v3, vcc
	global_load_dword v7, v[2:3], off
	v_mov_b32_e32 v8, s25
	s_movk_i32 s0, 0x7f
	s_waitcnt vmcnt(0)
	v_add_u32_e32 v2, v7, v4
	v_ashrrev_i32_e32 v3, 31, v2
	v_lshlrev_b64 v[2:3], 2, v[2:3]
	v_add_co_u32_e32 v2, vcc, s24, v2
	v_addc_co_u32_e32 v3, vcc, v8, v3, vcc
	global_load_dword v8, v[2:3], off
	v_mov_b32_e32 v4, s25
	s_waitcnt vmcnt(0)
	v_add_u32_e32 v2, v8, v5
	v_ashrrev_i32_e32 v3, 31, v2
	v_lshlrev_b64 v[2:3], 2, v[2:3]
	v_add_co_u32_e32 v2, vcc, s24, v2
	v_addc_co_u32_e32 v3, vcc, v4, v3, vcc
	global_load_dword v9, v[2:3], off
	s_waitcnt vmcnt(0)
	v_add_u32_e32 v2, v9, v16
	v_ashrrev_i32_e32 v3, 31, v2
	v_lshlrev_b64 v[2:3], 2, v[2:3]
	v_add_co_u32_e32 v2, vcc, s24, v2
	v_addc_co_u32_e32 v3, vcc, v4, v3, vcc
	global_load_dword v10, v[2:3], off
	;; [unrolled: 7-line block ×7, first 2 shown]
	v_cmp_eq_u32_e32 vcc, s0, v0
	s_and_saveexec_b64 s[0:1], vcc
	s_cbranch_execz .LBB7036_117
; %bb.116:
	v_mov_b32_e32 v4, 0
	v_mov_b32_e32 v3, 2
	s_waitcnt vmcnt(0)
	v_mov_b32_e32 v2, v15
	global_store_dwordx2 v4, v[2:3], s[26:27] offset:512
.LBB7036_117:
	s_or_b64 exec, exec, s[0:1]
.LBB7036_118:
	s_add_u32 s0, s20, s6
	s_addc_u32 s1, s21, s7
	s_add_u32 s2, s0, s18
	s_addc_u32 s3, s1, s19
	s_mov_b64 s[0:1], -1
	s_and_b64 vcc, exec, s[16:17]
	s_barrier
	s_cbranch_vccz .LBB7036_120
; %bb.119:
	ds_write2_b64 v1, v[6:7], v[8:9] offset1:1
	ds_write2_b64 v1, v[10:11], v[12:13] offset0:2 offset1:3
	s_waitcnt vmcnt(0)
	ds_write_b64 v1, v[14:15] offset:32
	s_waitcnt lgkmcnt(0)
	s_barrier
	ds_read2st64_b32 v[2:3], v22 offset1:2
	ds_read2st64_b32 v[4:5], v22 offset0:4 offset1:6
	ds_read2st64_b32 v[16:17], v22 offset0:8 offset1:10
	;; [unrolled: 1-line block ×4, first 2 shown]
	v_mov_b32_e32 v25, s3
	v_add_co_u32_e32 v24, vcc, s2, v22
	v_addc_co_u32_e32 v25, vcc, 0, v25, vcc
	s_waitcnt lgkmcnt(4)
	flat_store_dword v[24:25], v2
	flat_store_dword v[24:25], v3 offset:512
	s_waitcnt lgkmcnt(0)
	flat_store_dword v[24:25], v4 offset:1024
	flat_store_dword v[24:25], v5 offset:1536
	;; [unrolled: 1-line block ×6, first 2 shown]
	v_add_co_u32_e32 v2, vcc, 0x1000, v24
	v_addc_co_u32_e32 v3, vcc, 0, v25, vcc
	flat_store_dword v[2:3], v20
	flat_store_dword v[2:3], v21 offset:512
	s_mov_b64 s[0:1], 0
.LBB7036_120:
	s_andn2_b64 vcc, exec, s[0:1]
	s_cbranch_vccnz .LBB7036_176
; %bb.121:
	ds_write2_b64 v1, v[6:7], v[8:9] offset1:1
	ds_write2_b64 v1, v[10:11], v[12:13] offset0:2 offset1:3
	s_waitcnt vmcnt(0)
	ds_write_b64 v1, v[14:15] offset:32
	s_waitcnt lgkmcnt(0)
	s_barrier
	ds_read2st64_b32 v[2:3], v22 offset1:2
	ds_read2st64_b32 v[6:7], v22 offset0:4 offset1:6
	ds_read2st64_b32 v[4:5], v22 offset0:8 offset1:10
	;; [unrolled: 1-line block ×4, first 2 shown]
	v_mov_b32_e32 v13, s3
	v_add_co_u32_e32 v12, vcc, s2, v22
	v_addc_co_u32_e32 v13, vcc, 0, v13, vcc
	v_mov_b32_e32 v1, 0
	v_cmp_gt_u32_e32 vcc, s33, v0
	s_and_saveexec_b64 s[0:1], vcc
	s_cbranch_execz .LBB7036_123
; %bb.122:
	s_waitcnt lgkmcnt(4)
	flat_store_dword v[12:13], v2
.LBB7036_123:
	s_or_b64 exec, exec, s[0:1]
	v_or_b32_e32 v14, 0x80, v0
	v_cmp_gt_u32_e32 vcc, s33, v14
	s_and_saveexec_b64 s[0:1], vcc
	s_cbranch_execz .LBB7036_125
; %bb.124:
	s_waitcnt lgkmcnt(0)
	flat_store_dword v[12:13], v3 offset:512
.LBB7036_125:
	s_or_b64 exec, exec, s[0:1]
	v_or_b32_e32 v14, 0x100, v0
	v_cmp_gt_u32_e32 vcc, s33, v14
	s_and_saveexec_b64 s[0:1], vcc
	s_cbranch_execz .LBB7036_127
; %bb.126:
	s_waitcnt lgkmcnt(0)
	flat_store_dword v[12:13], v6 offset:1024
.LBB7036_127:
	;; [unrolled: 9-line block ×7, first 2 shown]
	s_or_b64 exec, exec, s[0:1]
	v_or_b32_e32 v14, 0x400, v0
	v_cmp_gt_u32_e32 vcc, s33, v14
	s_and_saveexec_b64 s[0:1], vcc
	s_cbranch_execz .LBB7036_139
; %bb.138:
	v_add_co_u32_e32 v14, vcc, 0x1000, v12
	v_addc_co_u32_e32 v15, vcc, 0, v13, vcc
	s_waitcnt lgkmcnt(0)
	flat_store_dword v[14:15], v10
.LBB7036_139:
	s_or_b64 exec, exec, s[0:1]
	v_or_b32_e32 v14, 0x480, v0
	v_cmp_gt_u32_e32 vcc, s33, v14
	s_and_saveexec_b64 s[0:1], vcc
	s_cbranch_execz .LBB7036_141
; %bb.140:
	v_add_co_u32_e32 v12, vcc, 0x1000, v12
	v_addc_co_u32_e32 v13, vcc, 0, v13, vcc
	s_waitcnt lgkmcnt(0)
	flat_store_dword v[12:13], v11 offset:512
.LBB7036_141:
	s_or_b64 exec, exec, s[0:1]
	v_cmp_lt_u64_e64 s[0:1], s[14:15], 2
	s_and_b64 vcc, exec, s[0:1]
	s_cbranch_vccnz .LBB7036_176
; %bb.142:
	s_add_u32 s0, s33, -1
	s_addc_u32 s1, s40, -1
	s_add_u32 s2, 0, 0x99986000
	s_addc_u32 s3, 0, 0x59
	s_add_i32 s3, s3, 0x19999940
	s_mul_hi_u32 s7, s2, -10
	s_sub_i32 s7, s7, s2
	s_mul_i32 s8, s3, -10
	s_mul_i32 s4, s2, -10
	s_add_i32 s7, s7, s8
	s_mul_hi_u32 s5, s3, s4
	s_mul_i32 s6, s3, s4
	s_mul_i32 s9, s2, s7
	s_mul_hi_u32 s4, s2, s4
	s_mul_hi_u32 s8, s2, s7
	s_add_u32 s4, s4, s9
	s_addc_u32 s8, 0, s8
	s_add_u32 s4, s4, s6
	s_mul_hi_u32 s9, s3, s7
	s_addc_u32 s4, s8, s5
	s_addc_u32 s5, s9, 0
	s_mul_i32 s6, s3, s7
	s_add_u32 s4, s4, s6
	v_mov_b32_e32 v12, s4
	s_addc_u32 s5, 0, s5
	v_add_co_u32_e32 v12, vcc, s2, v12
	s_cmp_lg_u64 vcc, 0
	s_addc_u32 s2, s3, s5
	v_readfirstlane_b32 s5, v12
	s_mul_i32 s4, s0, s2
	s_mul_hi_u32 s6, s0, s5
	s_mul_hi_u32 s3, s0, s2
	s_add_u32 s4, s6, s4
	s_addc_u32 s3, 0, s3
	s_mul_hi_u32 s7, s1, s5
	s_mul_i32 s5, s1, s5
	s_add_u32 s4, s4, s5
	s_mul_hi_u32 s6, s1, s2
	s_addc_u32 s3, s3, s7
	s_addc_u32 s4, s6, 0
	s_mul_i32 s2, s1, s2
	s_add_u32 s2, s3, s2
	s_addc_u32 s3, 0, s4
	s_add_u32 s4, s2, 1
	s_addc_u32 s5, s3, 0
	s_add_u32 s6, s2, 2
	s_mul_i32 s8, s3, 10
	s_mul_hi_u32 s9, s2, 10
	s_addc_u32 s7, s3, 0
	s_add_i32 s9, s9, s8
	s_mul_i32 s8, s2, 10
	v_mov_b32_e32 v12, s8
	v_sub_co_u32_e32 v12, vcc, s0, v12
	s_cmp_lg_u64 vcc, 0
	s_subb_u32 s8, s1, s9
	v_subrev_co_u32_e32 v13, vcc, 10, v12
	s_cmp_lg_u64 vcc, 0
	s_subb_u32 s9, s8, 0
	v_readfirstlane_b32 s12, v13
	s_cmp_gt_u32 s12, 9
	s_cselect_b32 s12, -1, 0
	s_cmp_eq_u32 s9, 0
	s_cselect_b32 s9, s12, -1
	s_cmp_lg_u32 s9, 0
	s_cselect_b32 s4, s6, s4
	v_readfirstlane_b32 s6, v12
	s_cselect_b32 s5, s7, s5
	s_cmp_gt_u32 s6, 9
	s_cselect_b32 s6, -1, 0
	s_cmp_eq_u32 s8, 0
	s_cselect_b32 s6, s6, -1
	s_cmp_lg_u32 s6, 0
	s_cselect_b32 s3, s5, s3
	s_cselect_b32 s2, s4, s2
	v_cmp_eq_u64_e32 vcc, s[2:3], v[0:1]
	s_and_saveexec_b64 s[2:3], vcc
	s_cbranch_execz .LBB7036_176
; %bb.143:
	v_mul_hi_u32_u24_e32 v1, 10, v0
	v_mov_b32_e32 v12, s1
	v_sub_co_u32_e32 v0, vcc, s0, v23
	v_subb_co_u32_e32 v1, vcc, v12, v1, vcc
	v_cmp_lt_i64_e32 vcc, 4, v[0:1]
	s_and_saveexec_b64 s[0:1], vcc
	s_xor_b64 s[0:1], exec, s[0:1]
	s_cbranch_execz .LBB7036_161
; %bb.144:
	v_cmp_lt_i64_e32 vcc, 6, v[0:1]
	s_and_saveexec_b64 s[2:3], vcc
	s_xor_b64 s[2:3], exec, s[2:3]
	s_cbranch_execz .LBB7036_154
; %bb.145:
	;; [unrolled: 5-line block ×4, first 2 shown]
	v_mov_b32_e32 v0, 0
	s_waitcnt lgkmcnt(0)
	global_store_dword v0, v11, s[10:11]
                                        ; implicit-def: $vgpr10_vgpr11
.LBB7036_148:
	s_andn2_saveexec_b64 s[6:7], s[6:7]
	s_cbranch_execz .LBB7036_150
; %bb.149:
	v_mov_b32_e32 v0, 0
	s_waitcnt lgkmcnt(0)
	global_store_dword v0, v10, s[10:11]
.LBB7036_150:
	s_or_b64 exec, exec, s[6:7]
                                        ; implicit-def: $vgpr8_vgpr9
.LBB7036_151:
	s_andn2_saveexec_b64 s[4:5], s[4:5]
	s_cbranch_execz .LBB7036_153
; %bb.152:
	v_mov_b32_e32 v0, 0
	s_waitcnt lgkmcnt(0)
	global_store_dword v0, v9, s[10:11]
.LBB7036_153:
	s_or_b64 exec, exec, s[4:5]
                                        ; implicit-def: $vgpr4_vgpr5
                                        ; implicit-def: $vgpr0_vgpr1
                                        ; implicit-def: $vgpr8_vgpr9
.LBB7036_154:
	s_andn2_saveexec_b64 s[2:3], s[2:3]
	s_cbranch_execz .LBB7036_160
; %bb.155:
	v_cmp_lt_i64_e32 vcc, 5, v[0:1]
	s_and_saveexec_b64 s[4:5], vcc
	s_xor_b64 s[4:5], exec, s[4:5]
	s_cbranch_execz .LBB7036_157
; %bb.156:
	v_mov_b32_e32 v0, 0
	s_waitcnt lgkmcnt(0)
	global_store_dword v0, v8, s[10:11]
                                        ; implicit-def: $vgpr4_vgpr5
.LBB7036_157:
	s_andn2_saveexec_b64 s[4:5], s[4:5]
	s_cbranch_execz .LBB7036_159
; %bb.158:
	v_mov_b32_e32 v0, 0
	s_waitcnt lgkmcnt(0)
	global_store_dword v0, v5, s[10:11]
.LBB7036_159:
	s_or_b64 exec, exec, s[4:5]
.LBB7036_160:
	s_or_b64 exec, exec, s[2:3]
                                        ; implicit-def: $vgpr0_vgpr1
                                        ; implicit-def: $vgpr6_vgpr7
                                        ; implicit-def: $vgpr2_vgpr3
                                        ; implicit-def: $vgpr4_vgpr5
.LBB7036_161:
	s_andn2_saveexec_b64 s[0:1], s[0:1]
	s_cbranch_execz .LBB7036_176
; %bb.162:
	v_cmp_lt_i64_e32 vcc, 2, v[0:1]
	s_and_saveexec_b64 s[0:1], vcc
	s_xor_b64 s[0:1], exec, s[0:1]
	s_cbranch_execz .LBB7036_168
; %bb.163:
	v_cmp_lt_i64_e32 vcc, 3, v[0:1]
	s_and_saveexec_b64 s[2:3], vcc
	s_xor_b64 s[2:3], exec, s[2:3]
	s_cbranch_execz .LBB7036_165
; %bb.164:
	v_mov_b32_e32 v0, 0
	s_waitcnt lgkmcnt(0)
	global_store_dword v0, v4, s[10:11]
                                        ; implicit-def: $vgpr6_vgpr7
.LBB7036_165:
	s_andn2_saveexec_b64 s[2:3], s[2:3]
	s_cbranch_execz .LBB7036_167
; %bb.166:
	v_mov_b32_e32 v0, 0
	s_waitcnt lgkmcnt(0)
	global_store_dword v0, v7, s[10:11]
.LBB7036_167:
	s_or_b64 exec, exec, s[2:3]
                                        ; implicit-def: $vgpr0_vgpr1
                                        ; implicit-def: $vgpr6_vgpr7
                                        ; implicit-def: $vgpr2_vgpr3
.LBB7036_168:
	s_andn2_saveexec_b64 s[0:1], s[0:1]
	s_cbranch_execz .LBB7036_176
; %bb.169:
	v_cmp_lt_i64_e32 vcc, 1, v[0:1]
	s_and_saveexec_b64 s[0:1], vcc
	s_xor_b64 s[0:1], exec, s[0:1]
	s_cbranch_execz .LBB7036_171
; %bb.170:
	v_mov_b32_e32 v0, 0
	s_waitcnt lgkmcnt(0)
	global_store_dword v0, v6, s[10:11]
                                        ; implicit-def: $vgpr2_vgpr3
                                        ; implicit-def: $vgpr0_vgpr1
.LBB7036_171:
	s_andn2_saveexec_b64 s[0:1], s[0:1]
	s_cbranch_execz .LBB7036_176
; %bb.172:
	v_cmp_ne_u64_e32 vcc, 1, v[0:1]
	s_and_saveexec_b64 s[0:1], vcc
	s_xor_b64 s[0:1], exec, s[0:1]
	s_cbranch_execz .LBB7036_174
; %bb.173:
	v_mov_b32_e32 v0, 0
	s_waitcnt lgkmcnt(0)
	global_store_dword v0, v2, s[10:11]
                                        ; implicit-def: $vgpr2_vgpr3
.LBB7036_174:
	s_andn2_saveexec_b64 s[0:1], s[0:1]
	s_cbranch_execz .LBB7036_176
; %bb.175:
	v_mov_b32_e32 v0, 0
	s_waitcnt lgkmcnt(0)
	global_store_dword v0, v3, s[10:11]
.LBB7036_176:
	s_endpgm
	.section	.rodata,"a",@progbits
	.p2align	6, 0x0
	.amdhsa_kernel _ZN7rocprim17ROCPRIM_400000_NS6detail17trampoline_kernelINS0_14default_configENS1_20scan_config_selectorIiEEZZNS1_9scan_implILNS1_25lookback_scan_determinismE0ELb0ELb0ES3_N6thrust23THRUST_200600_302600_NS6detail15normal_iteratorINS9_10device_ptrIiEEEESE_i19const_ref_plus_mod3IiEiEEDaPvRmT3_T4_T5_mT6_P12ihipStream_tbENKUlT_T0_E_clISt17integral_constantIbLb0EEST_IbLb1EEEEDaSP_SQ_EUlSP_E_NS1_11comp_targetILNS1_3genE4ELNS1_11target_archE910ELNS1_3gpuE8ELNS1_3repE0EEENS1_30default_config_static_selectorELNS0_4arch9wavefront6targetE1EEEvT1_
		.amdhsa_group_segment_fixed_size 5120
		.amdhsa_private_segment_fixed_size 0
		.amdhsa_kernarg_size 104
		.amdhsa_user_sgpr_count 6
		.amdhsa_user_sgpr_private_segment_buffer 1
		.amdhsa_user_sgpr_dispatch_ptr 0
		.amdhsa_user_sgpr_queue_ptr 0
		.amdhsa_user_sgpr_kernarg_segment_ptr 1
		.amdhsa_user_sgpr_dispatch_id 0
		.amdhsa_user_sgpr_flat_scratch_init 0
		.amdhsa_user_sgpr_kernarg_preload_length 0
		.amdhsa_user_sgpr_kernarg_preload_offset 0
		.amdhsa_user_sgpr_private_segment_size 0
		.amdhsa_uses_dynamic_stack 0
		.amdhsa_system_sgpr_private_segment_wavefront_offset 0
		.amdhsa_system_sgpr_workgroup_id_x 1
		.amdhsa_system_sgpr_workgroup_id_y 0
		.amdhsa_system_sgpr_workgroup_id_z 0
		.amdhsa_system_sgpr_workgroup_info 0
		.amdhsa_system_vgpr_workitem_id 0
		.amdhsa_next_free_vgpr 42
		.amdhsa_next_free_sgpr 44
		.amdhsa_accum_offset 44
		.amdhsa_reserve_vcc 1
		.amdhsa_reserve_flat_scratch 0
		.amdhsa_float_round_mode_32 0
		.amdhsa_float_round_mode_16_64 0
		.amdhsa_float_denorm_mode_32 3
		.amdhsa_float_denorm_mode_16_64 3
		.amdhsa_dx10_clamp 1
		.amdhsa_ieee_mode 1
		.amdhsa_fp16_overflow 0
		.amdhsa_tg_split 0
		.amdhsa_exception_fp_ieee_invalid_op 0
		.amdhsa_exception_fp_denorm_src 0
		.amdhsa_exception_fp_ieee_div_zero 0
		.amdhsa_exception_fp_ieee_overflow 0
		.amdhsa_exception_fp_ieee_underflow 0
		.amdhsa_exception_fp_ieee_inexact 0
		.amdhsa_exception_int_div_zero 0
	.end_amdhsa_kernel
	.section	.text._ZN7rocprim17ROCPRIM_400000_NS6detail17trampoline_kernelINS0_14default_configENS1_20scan_config_selectorIiEEZZNS1_9scan_implILNS1_25lookback_scan_determinismE0ELb0ELb0ES3_N6thrust23THRUST_200600_302600_NS6detail15normal_iteratorINS9_10device_ptrIiEEEESE_i19const_ref_plus_mod3IiEiEEDaPvRmT3_T4_T5_mT6_P12ihipStream_tbENKUlT_T0_E_clISt17integral_constantIbLb0EEST_IbLb1EEEEDaSP_SQ_EUlSP_E_NS1_11comp_targetILNS1_3genE4ELNS1_11target_archE910ELNS1_3gpuE8ELNS1_3repE0EEENS1_30default_config_static_selectorELNS0_4arch9wavefront6targetE1EEEvT1_,"axG",@progbits,_ZN7rocprim17ROCPRIM_400000_NS6detail17trampoline_kernelINS0_14default_configENS1_20scan_config_selectorIiEEZZNS1_9scan_implILNS1_25lookback_scan_determinismE0ELb0ELb0ES3_N6thrust23THRUST_200600_302600_NS6detail15normal_iteratorINS9_10device_ptrIiEEEESE_i19const_ref_plus_mod3IiEiEEDaPvRmT3_T4_T5_mT6_P12ihipStream_tbENKUlT_T0_E_clISt17integral_constantIbLb0EEST_IbLb1EEEEDaSP_SQ_EUlSP_E_NS1_11comp_targetILNS1_3genE4ELNS1_11target_archE910ELNS1_3gpuE8ELNS1_3repE0EEENS1_30default_config_static_selectorELNS0_4arch9wavefront6targetE1EEEvT1_,comdat
.Lfunc_end7036:
	.size	_ZN7rocprim17ROCPRIM_400000_NS6detail17trampoline_kernelINS0_14default_configENS1_20scan_config_selectorIiEEZZNS1_9scan_implILNS1_25lookback_scan_determinismE0ELb0ELb0ES3_N6thrust23THRUST_200600_302600_NS6detail15normal_iteratorINS9_10device_ptrIiEEEESE_i19const_ref_plus_mod3IiEiEEDaPvRmT3_T4_T5_mT6_P12ihipStream_tbENKUlT_T0_E_clISt17integral_constantIbLb0EEST_IbLb1EEEEDaSP_SQ_EUlSP_E_NS1_11comp_targetILNS1_3genE4ELNS1_11target_archE910ELNS1_3gpuE8ELNS1_3repE0EEENS1_30default_config_static_selectorELNS0_4arch9wavefront6targetE1EEEvT1_, .Lfunc_end7036-_ZN7rocprim17ROCPRIM_400000_NS6detail17trampoline_kernelINS0_14default_configENS1_20scan_config_selectorIiEEZZNS1_9scan_implILNS1_25lookback_scan_determinismE0ELb0ELb0ES3_N6thrust23THRUST_200600_302600_NS6detail15normal_iteratorINS9_10device_ptrIiEEEESE_i19const_ref_plus_mod3IiEiEEDaPvRmT3_T4_T5_mT6_P12ihipStream_tbENKUlT_T0_E_clISt17integral_constantIbLb0EEST_IbLb1EEEEDaSP_SQ_EUlSP_E_NS1_11comp_targetILNS1_3genE4ELNS1_11target_archE910ELNS1_3gpuE8ELNS1_3repE0EEENS1_30default_config_static_selectorELNS0_4arch9wavefront6targetE1EEEvT1_
                                        ; -- End function
	.section	.AMDGPU.csdata,"",@progbits
; Kernel info:
; codeLenInByte = 7432
; NumSgprs: 48
; NumVgprs: 42
; NumAgprs: 0
; TotalNumVgprs: 42
; ScratchSize: 0
; MemoryBound: 0
; FloatMode: 240
; IeeeMode: 1
; LDSByteSize: 5120 bytes/workgroup (compile time only)
; SGPRBlocks: 5
; VGPRBlocks: 5
; NumSGPRsForWavesPerEU: 48
; NumVGPRsForWavesPerEU: 42
; AccumOffset: 44
; Occupancy: 6
; WaveLimiterHint : 1
; COMPUTE_PGM_RSRC2:SCRATCH_EN: 0
; COMPUTE_PGM_RSRC2:USER_SGPR: 6
; COMPUTE_PGM_RSRC2:TRAP_HANDLER: 0
; COMPUTE_PGM_RSRC2:TGID_X_EN: 1
; COMPUTE_PGM_RSRC2:TGID_Y_EN: 0
; COMPUTE_PGM_RSRC2:TGID_Z_EN: 0
; COMPUTE_PGM_RSRC2:TIDIG_COMP_CNT: 0
; COMPUTE_PGM_RSRC3_GFX90A:ACCUM_OFFSET: 10
; COMPUTE_PGM_RSRC3_GFX90A:TG_SPLIT: 0
	.section	.text._ZN7rocprim17ROCPRIM_400000_NS6detail17trampoline_kernelINS0_14default_configENS1_20scan_config_selectorIiEEZZNS1_9scan_implILNS1_25lookback_scan_determinismE0ELb0ELb0ES3_N6thrust23THRUST_200600_302600_NS6detail15normal_iteratorINS9_10device_ptrIiEEEESE_i19const_ref_plus_mod3IiEiEEDaPvRmT3_T4_T5_mT6_P12ihipStream_tbENKUlT_T0_E_clISt17integral_constantIbLb0EEST_IbLb1EEEEDaSP_SQ_EUlSP_E_NS1_11comp_targetILNS1_3genE3ELNS1_11target_archE908ELNS1_3gpuE7ELNS1_3repE0EEENS1_30default_config_static_selectorELNS0_4arch9wavefront6targetE1EEEvT1_,"axG",@progbits,_ZN7rocprim17ROCPRIM_400000_NS6detail17trampoline_kernelINS0_14default_configENS1_20scan_config_selectorIiEEZZNS1_9scan_implILNS1_25lookback_scan_determinismE0ELb0ELb0ES3_N6thrust23THRUST_200600_302600_NS6detail15normal_iteratorINS9_10device_ptrIiEEEESE_i19const_ref_plus_mod3IiEiEEDaPvRmT3_T4_T5_mT6_P12ihipStream_tbENKUlT_T0_E_clISt17integral_constantIbLb0EEST_IbLb1EEEEDaSP_SQ_EUlSP_E_NS1_11comp_targetILNS1_3genE3ELNS1_11target_archE908ELNS1_3gpuE7ELNS1_3repE0EEENS1_30default_config_static_selectorELNS0_4arch9wavefront6targetE1EEEvT1_,comdat
	.protected	_ZN7rocprim17ROCPRIM_400000_NS6detail17trampoline_kernelINS0_14default_configENS1_20scan_config_selectorIiEEZZNS1_9scan_implILNS1_25lookback_scan_determinismE0ELb0ELb0ES3_N6thrust23THRUST_200600_302600_NS6detail15normal_iteratorINS9_10device_ptrIiEEEESE_i19const_ref_plus_mod3IiEiEEDaPvRmT3_T4_T5_mT6_P12ihipStream_tbENKUlT_T0_E_clISt17integral_constantIbLb0EEST_IbLb1EEEEDaSP_SQ_EUlSP_E_NS1_11comp_targetILNS1_3genE3ELNS1_11target_archE908ELNS1_3gpuE7ELNS1_3repE0EEENS1_30default_config_static_selectorELNS0_4arch9wavefront6targetE1EEEvT1_ ; -- Begin function _ZN7rocprim17ROCPRIM_400000_NS6detail17trampoline_kernelINS0_14default_configENS1_20scan_config_selectorIiEEZZNS1_9scan_implILNS1_25lookback_scan_determinismE0ELb0ELb0ES3_N6thrust23THRUST_200600_302600_NS6detail15normal_iteratorINS9_10device_ptrIiEEEESE_i19const_ref_plus_mod3IiEiEEDaPvRmT3_T4_T5_mT6_P12ihipStream_tbENKUlT_T0_E_clISt17integral_constantIbLb0EEST_IbLb1EEEEDaSP_SQ_EUlSP_E_NS1_11comp_targetILNS1_3genE3ELNS1_11target_archE908ELNS1_3gpuE7ELNS1_3repE0EEENS1_30default_config_static_selectorELNS0_4arch9wavefront6targetE1EEEvT1_
	.globl	_ZN7rocprim17ROCPRIM_400000_NS6detail17trampoline_kernelINS0_14default_configENS1_20scan_config_selectorIiEEZZNS1_9scan_implILNS1_25lookback_scan_determinismE0ELb0ELb0ES3_N6thrust23THRUST_200600_302600_NS6detail15normal_iteratorINS9_10device_ptrIiEEEESE_i19const_ref_plus_mod3IiEiEEDaPvRmT3_T4_T5_mT6_P12ihipStream_tbENKUlT_T0_E_clISt17integral_constantIbLb0EEST_IbLb1EEEEDaSP_SQ_EUlSP_E_NS1_11comp_targetILNS1_3genE3ELNS1_11target_archE908ELNS1_3gpuE7ELNS1_3repE0EEENS1_30default_config_static_selectorELNS0_4arch9wavefront6targetE1EEEvT1_
	.p2align	8
	.type	_ZN7rocprim17ROCPRIM_400000_NS6detail17trampoline_kernelINS0_14default_configENS1_20scan_config_selectorIiEEZZNS1_9scan_implILNS1_25lookback_scan_determinismE0ELb0ELb0ES3_N6thrust23THRUST_200600_302600_NS6detail15normal_iteratorINS9_10device_ptrIiEEEESE_i19const_ref_plus_mod3IiEiEEDaPvRmT3_T4_T5_mT6_P12ihipStream_tbENKUlT_T0_E_clISt17integral_constantIbLb0EEST_IbLb1EEEEDaSP_SQ_EUlSP_E_NS1_11comp_targetILNS1_3genE3ELNS1_11target_archE908ELNS1_3gpuE7ELNS1_3repE0EEENS1_30default_config_static_selectorELNS0_4arch9wavefront6targetE1EEEvT1_,@function
_ZN7rocprim17ROCPRIM_400000_NS6detail17trampoline_kernelINS0_14default_configENS1_20scan_config_selectorIiEEZZNS1_9scan_implILNS1_25lookback_scan_determinismE0ELb0ELb0ES3_N6thrust23THRUST_200600_302600_NS6detail15normal_iteratorINS9_10device_ptrIiEEEESE_i19const_ref_plus_mod3IiEiEEDaPvRmT3_T4_T5_mT6_P12ihipStream_tbENKUlT_T0_E_clISt17integral_constantIbLb0EEST_IbLb1EEEEDaSP_SQ_EUlSP_E_NS1_11comp_targetILNS1_3genE3ELNS1_11target_archE908ELNS1_3gpuE7ELNS1_3repE0EEENS1_30default_config_static_selectorELNS0_4arch9wavefront6targetE1EEEvT1_: ; @_ZN7rocprim17ROCPRIM_400000_NS6detail17trampoline_kernelINS0_14default_configENS1_20scan_config_selectorIiEEZZNS1_9scan_implILNS1_25lookback_scan_determinismE0ELb0ELb0ES3_N6thrust23THRUST_200600_302600_NS6detail15normal_iteratorINS9_10device_ptrIiEEEESE_i19const_ref_plus_mod3IiEiEEDaPvRmT3_T4_T5_mT6_P12ihipStream_tbENKUlT_T0_E_clISt17integral_constantIbLb0EEST_IbLb1EEEEDaSP_SQ_EUlSP_E_NS1_11comp_targetILNS1_3genE3ELNS1_11target_archE908ELNS1_3gpuE7ELNS1_3repE0EEENS1_30default_config_static_selectorELNS0_4arch9wavefront6targetE1EEEvT1_
; %bb.0:
	.section	.rodata,"a",@progbits
	.p2align	6, 0x0
	.amdhsa_kernel _ZN7rocprim17ROCPRIM_400000_NS6detail17trampoline_kernelINS0_14default_configENS1_20scan_config_selectorIiEEZZNS1_9scan_implILNS1_25lookback_scan_determinismE0ELb0ELb0ES3_N6thrust23THRUST_200600_302600_NS6detail15normal_iteratorINS9_10device_ptrIiEEEESE_i19const_ref_plus_mod3IiEiEEDaPvRmT3_T4_T5_mT6_P12ihipStream_tbENKUlT_T0_E_clISt17integral_constantIbLb0EEST_IbLb1EEEEDaSP_SQ_EUlSP_E_NS1_11comp_targetILNS1_3genE3ELNS1_11target_archE908ELNS1_3gpuE7ELNS1_3repE0EEENS1_30default_config_static_selectorELNS0_4arch9wavefront6targetE1EEEvT1_
		.amdhsa_group_segment_fixed_size 0
		.amdhsa_private_segment_fixed_size 0
		.amdhsa_kernarg_size 104
		.amdhsa_user_sgpr_count 6
		.amdhsa_user_sgpr_private_segment_buffer 1
		.amdhsa_user_sgpr_dispatch_ptr 0
		.amdhsa_user_sgpr_queue_ptr 0
		.amdhsa_user_sgpr_kernarg_segment_ptr 1
		.amdhsa_user_sgpr_dispatch_id 0
		.amdhsa_user_sgpr_flat_scratch_init 0
		.amdhsa_user_sgpr_kernarg_preload_length 0
		.amdhsa_user_sgpr_kernarg_preload_offset 0
		.amdhsa_user_sgpr_private_segment_size 0
		.amdhsa_uses_dynamic_stack 0
		.amdhsa_system_sgpr_private_segment_wavefront_offset 0
		.amdhsa_system_sgpr_workgroup_id_x 1
		.amdhsa_system_sgpr_workgroup_id_y 0
		.amdhsa_system_sgpr_workgroup_id_z 0
		.amdhsa_system_sgpr_workgroup_info 0
		.amdhsa_system_vgpr_workitem_id 0
		.amdhsa_next_free_vgpr 1
		.amdhsa_next_free_sgpr 0
		.amdhsa_accum_offset 4
		.amdhsa_reserve_vcc 0
		.amdhsa_reserve_flat_scratch 0
		.amdhsa_float_round_mode_32 0
		.amdhsa_float_round_mode_16_64 0
		.amdhsa_float_denorm_mode_32 3
		.amdhsa_float_denorm_mode_16_64 3
		.amdhsa_dx10_clamp 1
		.amdhsa_ieee_mode 1
		.amdhsa_fp16_overflow 0
		.amdhsa_tg_split 0
		.amdhsa_exception_fp_ieee_invalid_op 0
		.amdhsa_exception_fp_denorm_src 0
		.amdhsa_exception_fp_ieee_div_zero 0
		.amdhsa_exception_fp_ieee_overflow 0
		.amdhsa_exception_fp_ieee_underflow 0
		.amdhsa_exception_fp_ieee_inexact 0
		.amdhsa_exception_int_div_zero 0
	.end_amdhsa_kernel
	.section	.text._ZN7rocprim17ROCPRIM_400000_NS6detail17trampoline_kernelINS0_14default_configENS1_20scan_config_selectorIiEEZZNS1_9scan_implILNS1_25lookback_scan_determinismE0ELb0ELb0ES3_N6thrust23THRUST_200600_302600_NS6detail15normal_iteratorINS9_10device_ptrIiEEEESE_i19const_ref_plus_mod3IiEiEEDaPvRmT3_T4_T5_mT6_P12ihipStream_tbENKUlT_T0_E_clISt17integral_constantIbLb0EEST_IbLb1EEEEDaSP_SQ_EUlSP_E_NS1_11comp_targetILNS1_3genE3ELNS1_11target_archE908ELNS1_3gpuE7ELNS1_3repE0EEENS1_30default_config_static_selectorELNS0_4arch9wavefront6targetE1EEEvT1_,"axG",@progbits,_ZN7rocprim17ROCPRIM_400000_NS6detail17trampoline_kernelINS0_14default_configENS1_20scan_config_selectorIiEEZZNS1_9scan_implILNS1_25lookback_scan_determinismE0ELb0ELb0ES3_N6thrust23THRUST_200600_302600_NS6detail15normal_iteratorINS9_10device_ptrIiEEEESE_i19const_ref_plus_mod3IiEiEEDaPvRmT3_T4_T5_mT6_P12ihipStream_tbENKUlT_T0_E_clISt17integral_constantIbLb0EEST_IbLb1EEEEDaSP_SQ_EUlSP_E_NS1_11comp_targetILNS1_3genE3ELNS1_11target_archE908ELNS1_3gpuE7ELNS1_3repE0EEENS1_30default_config_static_selectorELNS0_4arch9wavefront6targetE1EEEvT1_,comdat
.Lfunc_end7037:
	.size	_ZN7rocprim17ROCPRIM_400000_NS6detail17trampoline_kernelINS0_14default_configENS1_20scan_config_selectorIiEEZZNS1_9scan_implILNS1_25lookback_scan_determinismE0ELb0ELb0ES3_N6thrust23THRUST_200600_302600_NS6detail15normal_iteratorINS9_10device_ptrIiEEEESE_i19const_ref_plus_mod3IiEiEEDaPvRmT3_T4_T5_mT6_P12ihipStream_tbENKUlT_T0_E_clISt17integral_constantIbLb0EEST_IbLb1EEEEDaSP_SQ_EUlSP_E_NS1_11comp_targetILNS1_3genE3ELNS1_11target_archE908ELNS1_3gpuE7ELNS1_3repE0EEENS1_30default_config_static_selectorELNS0_4arch9wavefront6targetE1EEEvT1_, .Lfunc_end7037-_ZN7rocprim17ROCPRIM_400000_NS6detail17trampoline_kernelINS0_14default_configENS1_20scan_config_selectorIiEEZZNS1_9scan_implILNS1_25lookback_scan_determinismE0ELb0ELb0ES3_N6thrust23THRUST_200600_302600_NS6detail15normal_iteratorINS9_10device_ptrIiEEEESE_i19const_ref_plus_mod3IiEiEEDaPvRmT3_T4_T5_mT6_P12ihipStream_tbENKUlT_T0_E_clISt17integral_constantIbLb0EEST_IbLb1EEEEDaSP_SQ_EUlSP_E_NS1_11comp_targetILNS1_3genE3ELNS1_11target_archE908ELNS1_3gpuE7ELNS1_3repE0EEENS1_30default_config_static_selectorELNS0_4arch9wavefront6targetE1EEEvT1_
                                        ; -- End function
	.section	.AMDGPU.csdata,"",@progbits
; Kernel info:
; codeLenInByte = 0
; NumSgprs: 4
; NumVgprs: 0
; NumAgprs: 0
; TotalNumVgprs: 0
; ScratchSize: 0
; MemoryBound: 0
; FloatMode: 240
; IeeeMode: 1
; LDSByteSize: 0 bytes/workgroup (compile time only)
; SGPRBlocks: 0
; VGPRBlocks: 0
; NumSGPRsForWavesPerEU: 4
; NumVGPRsForWavesPerEU: 1
; AccumOffset: 4
; Occupancy: 8
; WaveLimiterHint : 0
; COMPUTE_PGM_RSRC2:SCRATCH_EN: 0
; COMPUTE_PGM_RSRC2:USER_SGPR: 6
; COMPUTE_PGM_RSRC2:TRAP_HANDLER: 0
; COMPUTE_PGM_RSRC2:TGID_X_EN: 1
; COMPUTE_PGM_RSRC2:TGID_Y_EN: 0
; COMPUTE_PGM_RSRC2:TGID_Z_EN: 0
; COMPUTE_PGM_RSRC2:TIDIG_COMP_CNT: 0
; COMPUTE_PGM_RSRC3_GFX90A:ACCUM_OFFSET: 0
; COMPUTE_PGM_RSRC3_GFX90A:TG_SPLIT: 0
	.section	.text._ZN7rocprim17ROCPRIM_400000_NS6detail17trampoline_kernelINS0_14default_configENS1_20scan_config_selectorIiEEZZNS1_9scan_implILNS1_25lookback_scan_determinismE0ELb0ELb0ES3_N6thrust23THRUST_200600_302600_NS6detail15normal_iteratorINS9_10device_ptrIiEEEESE_i19const_ref_plus_mod3IiEiEEDaPvRmT3_T4_T5_mT6_P12ihipStream_tbENKUlT_T0_E_clISt17integral_constantIbLb0EEST_IbLb1EEEEDaSP_SQ_EUlSP_E_NS1_11comp_targetILNS1_3genE2ELNS1_11target_archE906ELNS1_3gpuE6ELNS1_3repE0EEENS1_30default_config_static_selectorELNS0_4arch9wavefront6targetE1EEEvT1_,"axG",@progbits,_ZN7rocprim17ROCPRIM_400000_NS6detail17trampoline_kernelINS0_14default_configENS1_20scan_config_selectorIiEEZZNS1_9scan_implILNS1_25lookback_scan_determinismE0ELb0ELb0ES3_N6thrust23THRUST_200600_302600_NS6detail15normal_iteratorINS9_10device_ptrIiEEEESE_i19const_ref_plus_mod3IiEiEEDaPvRmT3_T4_T5_mT6_P12ihipStream_tbENKUlT_T0_E_clISt17integral_constantIbLb0EEST_IbLb1EEEEDaSP_SQ_EUlSP_E_NS1_11comp_targetILNS1_3genE2ELNS1_11target_archE906ELNS1_3gpuE6ELNS1_3repE0EEENS1_30default_config_static_selectorELNS0_4arch9wavefront6targetE1EEEvT1_,comdat
	.protected	_ZN7rocprim17ROCPRIM_400000_NS6detail17trampoline_kernelINS0_14default_configENS1_20scan_config_selectorIiEEZZNS1_9scan_implILNS1_25lookback_scan_determinismE0ELb0ELb0ES3_N6thrust23THRUST_200600_302600_NS6detail15normal_iteratorINS9_10device_ptrIiEEEESE_i19const_ref_plus_mod3IiEiEEDaPvRmT3_T4_T5_mT6_P12ihipStream_tbENKUlT_T0_E_clISt17integral_constantIbLb0EEST_IbLb1EEEEDaSP_SQ_EUlSP_E_NS1_11comp_targetILNS1_3genE2ELNS1_11target_archE906ELNS1_3gpuE6ELNS1_3repE0EEENS1_30default_config_static_selectorELNS0_4arch9wavefront6targetE1EEEvT1_ ; -- Begin function _ZN7rocprim17ROCPRIM_400000_NS6detail17trampoline_kernelINS0_14default_configENS1_20scan_config_selectorIiEEZZNS1_9scan_implILNS1_25lookback_scan_determinismE0ELb0ELb0ES3_N6thrust23THRUST_200600_302600_NS6detail15normal_iteratorINS9_10device_ptrIiEEEESE_i19const_ref_plus_mod3IiEiEEDaPvRmT3_T4_T5_mT6_P12ihipStream_tbENKUlT_T0_E_clISt17integral_constantIbLb0EEST_IbLb1EEEEDaSP_SQ_EUlSP_E_NS1_11comp_targetILNS1_3genE2ELNS1_11target_archE906ELNS1_3gpuE6ELNS1_3repE0EEENS1_30default_config_static_selectorELNS0_4arch9wavefront6targetE1EEEvT1_
	.globl	_ZN7rocprim17ROCPRIM_400000_NS6detail17trampoline_kernelINS0_14default_configENS1_20scan_config_selectorIiEEZZNS1_9scan_implILNS1_25lookback_scan_determinismE0ELb0ELb0ES3_N6thrust23THRUST_200600_302600_NS6detail15normal_iteratorINS9_10device_ptrIiEEEESE_i19const_ref_plus_mod3IiEiEEDaPvRmT3_T4_T5_mT6_P12ihipStream_tbENKUlT_T0_E_clISt17integral_constantIbLb0EEST_IbLb1EEEEDaSP_SQ_EUlSP_E_NS1_11comp_targetILNS1_3genE2ELNS1_11target_archE906ELNS1_3gpuE6ELNS1_3repE0EEENS1_30default_config_static_selectorELNS0_4arch9wavefront6targetE1EEEvT1_
	.p2align	8
	.type	_ZN7rocprim17ROCPRIM_400000_NS6detail17trampoline_kernelINS0_14default_configENS1_20scan_config_selectorIiEEZZNS1_9scan_implILNS1_25lookback_scan_determinismE0ELb0ELb0ES3_N6thrust23THRUST_200600_302600_NS6detail15normal_iteratorINS9_10device_ptrIiEEEESE_i19const_ref_plus_mod3IiEiEEDaPvRmT3_T4_T5_mT6_P12ihipStream_tbENKUlT_T0_E_clISt17integral_constantIbLb0EEST_IbLb1EEEEDaSP_SQ_EUlSP_E_NS1_11comp_targetILNS1_3genE2ELNS1_11target_archE906ELNS1_3gpuE6ELNS1_3repE0EEENS1_30default_config_static_selectorELNS0_4arch9wavefront6targetE1EEEvT1_,@function
_ZN7rocprim17ROCPRIM_400000_NS6detail17trampoline_kernelINS0_14default_configENS1_20scan_config_selectorIiEEZZNS1_9scan_implILNS1_25lookback_scan_determinismE0ELb0ELb0ES3_N6thrust23THRUST_200600_302600_NS6detail15normal_iteratorINS9_10device_ptrIiEEEESE_i19const_ref_plus_mod3IiEiEEDaPvRmT3_T4_T5_mT6_P12ihipStream_tbENKUlT_T0_E_clISt17integral_constantIbLb0EEST_IbLb1EEEEDaSP_SQ_EUlSP_E_NS1_11comp_targetILNS1_3genE2ELNS1_11target_archE906ELNS1_3gpuE6ELNS1_3repE0EEENS1_30default_config_static_selectorELNS0_4arch9wavefront6targetE1EEEvT1_: ; @_ZN7rocprim17ROCPRIM_400000_NS6detail17trampoline_kernelINS0_14default_configENS1_20scan_config_selectorIiEEZZNS1_9scan_implILNS1_25lookback_scan_determinismE0ELb0ELb0ES3_N6thrust23THRUST_200600_302600_NS6detail15normal_iteratorINS9_10device_ptrIiEEEESE_i19const_ref_plus_mod3IiEiEEDaPvRmT3_T4_T5_mT6_P12ihipStream_tbENKUlT_T0_E_clISt17integral_constantIbLb0EEST_IbLb1EEEEDaSP_SQ_EUlSP_E_NS1_11comp_targetILNS1_3genE2ELNS1_11target_archE906ELNS1_3gpuE6ELNS1_3repE0EEENS1_30default_config_static_selectorELNS0_4arch9wavefront6targetE1EEEvT1_
; %bb.0:
	.section	.rodata,"a",@progbits
	.p2align	6, 0x0
	.amdhsa_kernel _ZN7rocprim17ROCPRIM_400000_NS6detail17trampoline_kernelINS0_14default_configENS1_20scan_config_selectorIiEEZZNS1_9scan_implILNS1_25lookback_scan_determinismE0ELb0ELb0ES3_N6thrust23THRUST_200600_302600_NS6detail15normal_iteratorINS9_10device_ptrIiEEEESE_i19const_ref_plus_mod3IiEiEEDaPvRmT3_T4_T5_mT6_P12ihipStream_tbENKUlT_T0_E_clISt17integral_constantIbLb0EEST_IbLb1EEEEDaSP_SQ_EUlSP_E_NS1_11comp_targetILNS1_3genE2ELNS1_11target_archE906ELNS1_3gpuE6ELNS1_3repE0EEENS1_30default_config_static_selectorELNS0_4arch9wavefront6targetE1EEEvT1_
		.amdhsa_group_segment_fixed_size 0
		.amdhsa_private_segment_fixed_size 0
		.amdhsa_kernarg_size 104
		.amdhsa_user_sgpr_count 6
		.amdhsa_user_sgpr_private_segment_buffer 1
		.amdhsa_user_sgpr_dispatch_ptr 0
		.amdhsa_user_sgpr_queue_ptr 0
		.amdhsa_user_sgpr_kernarg_segment_ptr 1
		.amdhsa_user_sgpr_dispatch_id 0
		.amdhsa_user_sgpr_flat_scratch_init 0
		.amdhsa_user_sgpr_kernarg_preload_length 0
		.amdhsa_user_sgpr_kernarg_preload_offset 0
		.amdhsa_user_sgpr_private_segment_size 0
		.amdhsa_uses_dynamic_stack 0
		.amdhsa_system_sgpr_private_segment_wavefront_offset 0
		.amdhsa_system_sgpr_workgroup_id_x 1
		.amdhsa_system_sgpr_workgroup_id_y 0
		.amdhsa_system_sgpr_workgroup_id_z 0
		.amdhsa_system_sgpr_workgroup_info 0
		.amdhsa_system_vgpr_workitem_id 0
		.amdhsa_next_free_vgpr 1
		.amdhsa_next_free_sgpr 0
		.amdhsa_accum_offset 4
		.amdhsa_reserve_vcc 0
		.amdhsa_reserve_flat_scratch 0
		.amdhsa_float_round_mode_32 0
		.amdhsa_float_round_mode_16_64 0
		.amdhsa_float_denorm_mode_32 3
		.amdhsa_float_denorm_mode_16_64 3
		.amdhsa_dx10_clamp 1
		.amdhsa_ieee_mode 1
		.amdhsa_fp16_overflow 0
		.amdhsa_tg_split 0
		.amdhsa_exception_fp_ieee_invalid_op 0
		.amdhsa_exception_fp_denorm_src 0
		.amdhsa_exception_fp_ieee_div_zero 0
		.amdhsa_exception_fp_ieee_overflow 0
		.amdhsa_exception_fp_ieee_underflow 0
		.amdhsa_exception_fp_ieee_inexact 0
		.amdhsa_exception_int_div_zero 0
	.end_amdhsa_kernel
	.section	.text._ZN7rocprim17ROCPRIM_400000_NS6detail17trampoline_kernelINS0_14default_configENS1_20scan_config_selectorIiEEZZNS1_9scan_implILNS1_25lookback_scan_determinismE0ELb0ELb0ES3_N6thrust23THRUST_200600_302600_NS6detail15normal_iteratorINS9_10device_ptrIiEEEESE_i19const_ref_plus_mod3IiEiEEDaPvRmT3_T4_T5_mT6_P12ihipStream_tbENKUlT_T0_E_clISt17integral_constantIbLb0EEST_IbLb1EEEEDaSP_SQ_EUlSP_E_NS1_11comp_targetILNS1_3genE2ELNS1_11target_archE906ELNS1_3gpuE6ELNS1_3repE0EEENS1_30default_config_static_selectorELNS0_4arch9wavefront6targetE1EEEvT1_,"axG",@progbits,_ZN7rocprim17ROCPRIM_400000_NS6detail17trampoline_kernelINS0_14default_configENS1_20scan_config_selectorIiEEZZNS1_9scan_implILNS1_25lookback_scan_determinismE0ELb0ELb0ES3_N6thrust23THRUST_200600_302600_NS6detail15normal_iteratorINS9_10device_ptrIiEEEESE_i19const_ref_plus_mod3IiEiEEDaPvRmT3_T4_T5_mT6_P12ihipStream_tbENKUlT_T0_E_clISt17integral_constantIbLb0EEST_IbLb1EEEEDaSP_SQ_EUlSP_E_NS1_11comp_targetILNS1_3genE2ELNS1_11target_archE906ELNS1_3gpuE6ELNS1_3repE0EEENS1_30default_config_static_selectorELNS0_4arch9wavefront6targetE1EEEvT1_,comdat
.Lfunc_end7038:
	.size	_ZN7rocprim17ROCPRIM_400000_NS6detail17trampoline_kernelINS0_14default_configENS1_20scan_config_selectorIiEEZZNS1_9scan_implILNS1_25lookback_scan_determinismE0ELb0ELb0ES3_N6thrust23THRUST_200600_302600_NS6detail15normal_iteratorINS9_10device_ptrIiEEEESE_i19const_ref_plus_mod3IiEiEEDaPvRmT3_T4_T5_mT6_P12ihipStream_tbENKUlT_T0_E_clISt17integral_constantIbLb0EEST_IbLb1EEEEDaSP_SQ_EUlSP_E_NS1_11comp_targetILNS1_3genE2ELNS1_11target_archE906ELNS1_3gpuE6ELNS1_3repE0EEENS1_30default_config_static_selectorELNS0_4arch9wavefront6targetE1EEEvT1_, .Lfunc_end7038-_ZN7rocprim17ROCPRIM_400000_NS6detail17trampoline_kernelINS0_14default_configENS1_20scan_config_selectorIiEEZZNS1_9scan_implILNS1_25lookback_scan_determinismE0ELb0ELb0ES3_N6thrust23THRUST_200600_302600_NS6detail15normal_iteratorINS9_10device_ptrIiEEEESE_i19const_ref_plus_mod3IiEiEEDaPvRmT3_T4_T5_mT6_P12ihipStream_tbENKUlT_T0_E_clISt17integral_constantIbLb0EEST_IbLb1EEEEDaSP_SQ_EUlSP_E_NS1_11comp_targetILNS1_3genE2ELNS1_11target_archE906ELNS1_3gpuE6ELNS1_3repE0EEENS1_30default_config_static_selectorELNS0_4arch9wavefront6targetE1EEEvT1_
                                        ; -- End function
	.section	.AMDGPU.csdata,"",@progbits
; Kernel info:
; codeLenInByte = 0
; NumSgprs: 4
; NumVgprs: 0
; NumAgprs: 0
; TotalNumVgprs: 0
; ScratchSize: 0
; MemoryBound: 0
; FloatMode: 240
; IeeeMode: 1
; LDSByteSize: 0 bytes/workgroup (compile time only)
; SGPRBlocks: 0
; VGPRBlocks: 0
; NumSGPRsForWavesPerEU: 4
; NumVGPRsForWavesPerEU: 1
; AccumOffset: 4
; Occupancy: 8
; WaveLimiterHint : 0
; COMPUTE_PGM_RSRC2:SCRATCH_EN: 0
; COMPUTE_PGM_RSRC2:USER_SGPR: 6
; COMPUTE_PGM_RSRC2:TRAP_HANDLER: 0
; COMPUTE_PGM_RSRC2:TGID_X_EN: 1
; COMPUTE_PGM_RSRC2:TGID_Y_EN: 0
; COMPUTE_PGM_RSRC2:TGID_Z_EN: 0
; COMPUTE_PGM_RSRC2:TIDIG_COMP_CNT: 0
; COMPUTE_PGM_RSRC3_GFX90A:ACCUM_OFFSET: 0
; COMPUTE_PGM_RSRC3_GFX90A:TG_SPLIT: 0
	.section	.text._ZN7rocprim17ROCPRIM_400000_NS6detail17trampoline_kernelINS0_14default_configENS1_20scan_config_selectorIiEEZZNS1_9scan_implILNS1_25lookback_scan_determinismE0ELb0ELb0ES3_N6thrust23THRUST_200600_302600_NS6detail15normal_iteratorINS9_10device_ptrIiEEEESE_i19const_ref_plus_mod3IiEiEEDaPvRmT3_T4_T5_mT6_P12ihipStream_tbENKUlT_T0_E_clISt17integral_constantIbLb0EEST_IbLb1EEEEDaSP_SQ_EUlSP_E_NS1_11comp_targetILNS1_3genE10ELNS1_11target_archE1201ELNS1_3gpuE5ELNS1_3repE0EEENS1_30default_config_static_selectorELNS0_4arch9wavefront6targetE1EEEvT1_,"axG",@progbits,_ZN7rocprim17ROCPRIM_400000_NS6detail17trampoline_kernelINS0_14default_configENS1_20scan_config_selectorIiEEZZNS1_9scan_implILNS1_25lookback_scan_determinismE0ELb0ELb0ES3_N6thrust23THRUST_200600_302600_NS6detail15normal_iteratorINS9_10device_ptrIiEEEESE_i19const_ref_plus_mod3IiEiEEDaPvRmT3_T4_T5_mT6_P12ihipStream_tbENKUlT_T0_E_clISt17integral_constantIbLb0EEST_IbLb1EEEEDaSP_SQ_EUlSP_E_NS1_11comp_targetILNS1_3genE10ELNS1_11target_archE1201ELNS1_3gpuE5ELNS1_3repE0EEENS1_30default_config_static_selectorELNS0_4arch9wavefront6targetE1EEEvT1_,comdat
	.protected	_ZN7rocprim17ROCPRIM_400000_NS6detail17trampoline_kernelINS0_14default_configENS1_20scan_config_selectorIiEEZZNS1_9scan_implILNS1_25lookback_scan_determinismE0ELb0ELb0ES3_N6thrust23THRUST_200600_302600_NS6detail15normal_iteratorINS9_10device_ptrIiEEEESE_i19const_ref_plus_mod3IiEiEEDaPvRmT3_T4_T5_mT6_P12ihipStream_tbENKUlT_T0_E_clISt17integral_constantIbLb0EEST_IbLb1EEEEDaSP_SQ_EUlSP_E_NS1_11comp_targetILNS1_3genE10ELNS1_11target_archE1201ELNS1_3gpuE5ELNS1_3repE0EEENS1_30default_config_static_selectorELNS0_4arch9wavefront6targetE1EEEvT1_ ; -- Begin function _ZN7rocprim17ROCPRIM_400000_NS6detail17trampoline_kernelINS0_14default_configENS1_20scan_config_selectorIiEEZZNS1_9scan_implILNS1_25lookback_scan_determinismE0ELb0ELb0ES3_N6thrust23THRUST_200600_302600_NS6detail15normal_iteratorINS9_10device_ptrIiEEEESE_i19const_ref_plus_mod3IiEiEEDaPvRmT3_T4_T5_mT6_P12ihipStream_tbENKUlT_T0_E_clISt17integral_constantIbLb0EEST_IbLb1EEEEDaSP_SQ_EUlSP_E_NS1_11comp_targetILNS1_3genE10ELNS1_11target_archE1201ELNS1_3gpuE5ELNS1_3repE0EEENS1_30default_config_static_selectorELNS0_4arch9wavefront6targetE1EEEvT1_
	.globl	_ZN7rocprim17ROCPRIM_400000_NS6detail17trampoline_kernelINS0_14default_configENS1_20scan_config_selectorIiEEZZNS1_9scan_implILNS1_25lookback_scan_determinismE0ELb0ELb0ES3_N6thrust23THRUST_200600_302600_NS6detail15normal_iteratorINS9_10device_ptrIiEEEESE_i19const_ref_plus_mod3IiEiEEDaPvRmT3_T4_T5_mT6_P12ihipStream_tbENKUlT_T0_E_clISt17integral_constantIbLb0EEST_IbLb1EEEEDaSP_SQ_EUlSP_E_NS1_11comp_targetILNS1_3genE10ELNS1_11target_archE1201ELNS1_3gpuE5ELNS1_3repE0EEENS1_30default_config_static_selectorELNS0_4arch9wavefront6targetE1EEEvT1_
	.p2align	8
	.type	_ZN7rocprim17ROCPRIM_400000_NS6detail17trampoline_kernelINS0_14default_configENS1_20scan_config_selectorIiEEZZNS1_9scan_implILNS1_25lookback_scan_determinismE0ELb0ELb0ES3_N6thrust23THRUST_200600_302600_NS6detail15normal_iteratorINS9_10device_ptrIiEEEESE_i19const_ref_plus_mod3IiEiEEDaPvRmT3_T4_T5_mT6_P12ihipStream_tbENKUlT_T0_E_clISt17integral_constantIbLb0EEST_IbLb1EEEEDaSP_SQ_EUlSP_E_NS1_11comp_targetILNS1_3genE10ELNS1_11target_archE1201ELNS1_3gpuE5ELNS1_3repE0EEENS1_30default_config_static_selectorELNS0_4arch9wavefront6targetE1EEEvT1_,@function
_ZN7rocprim17ROCPRIM_400000_NS6detail17trampoline_kernelINS0_14default_configENS1_20scan_config_selectorIiEEZZNS1_9scan_implILNS1_25lookback_scan_determinismE0ELb0ELb0ES3_N6thrust23THRUST_200600_302600_NS6detail15normal_iteratorINS9_10device_ptrIiEEEESE_i19const_ref_plus_mod3IiEiEEDaPvRmT3_T4_T5_mT6_P12ihipStream_tbENKUlT_T0_E_clISt17integral_constantIbLb0EEST_IbLb1EEEEDaSP_SQ_EUlSP_E_NS1_11comp_targetILNS1_3genE10ELNS1_11target_archE1201ELNS1_3gpuE5ELNS1_3repE0EEENS1_30default_config_static_selectorELNS0_4arch9wavefront6targetE1EEEvT1_: ; @_ZN7rocprim17ROCPRIM_400000_NS6detail17trampoline_kernelINS0_14default_configENS1_20scan_config_selectorIiEEZZNS1_9scan_implILNS1_25lookback_scan_determinismE0ELb0ELb0ES3_N6thrust23THRUST_200600_302600_NS6detail15normal_iteratorINS9_10device_ptrIiEEEESE_i19const_ref_plus_mod3IiEiEEDaPvRmT3_T4_T5_mT6_P12ihipStream_tbENKUlT_T0_E_clISt17integral_constantIbLb0EEST_IbLb1EEEEDaSP_SQ_EUlSP_E_NS1_11comp_targetILNS1_3genE10ELNS1_11target_archE1201ELNS1_3gpuE5ELNS1_3repE0EEENS1_30default_config_static_selectorELNS0_4arch9wavefront6targetE1EEEvT1_
; %bb.0:
	.section	.rodata,"a",@progbits
	.p2align	6, 0x0
	.amdhsa_kernel _ZN7rocprim17ROCPRIM_400000_NS6detail17trampoline_kernelINS0_14default_configENS1_20scan_config_selectorIiEEZZNS1_9scan_implILNS1_25lookback_scan_determinismE0ELb0ELb0ES3_N6thrust23THRUST_200600_302600_NS6detail15normal_iteratorINS9_10device_ptrIiEEEESE_i19const_ref_plus_mod3IiEiEEDaPvRmT3_T4_T5_mT6_P12ihipStream_tbENKUlT_T0_E_clISt17integral_constantIbLb0EEST_IbLb1EEEEDaSP_SQ_EUlSP_E_NS1_11comp_targetILNS1_3genE10ELNS1_11target_archE1201ELNS1_3gpuE5ELNS1_3repE0EEENS1_30default_config_static_selectorELNS0_4arch9wavefront6targetE1EEEvT1_
		.amdhsa_group_segment_fixed_size 0
		.amdhsa_private_segment_fixed_size 0
		.amdhsa_kernarg_size 104
		.amdhsa_user_sgpr_count 6
		.amdhsa_user_sgpr_private_segment_buffer 1
		.amdhsa_user_sgpr_dispatch_ptr 0
		.amdhsa_user_sgpr_queue_ptr 0
		.amdhsa_user_sgpr_kernarg_segment_ptr 1
		.amdhsa_user_sgpr_dispatch_id 0
		.amdhsa_user_sgpr_flat_scratch_init 0
		.amdhsa_user_sgpr_kernarg_preload_length 0
		.amdhsa_user_sgpr_kernarg_preload_offset 0
		.amdhsa_user_sgpr_private_segment_size 0
		.amdhsa_uses_dynamic_stack 0
		.amdhsa_system_sgpr_private_segment_wavefront_offset 0
		.amdhsa_system_sgpr_workgroup_id_x 1
		.amdhsa_system_sgpr_workgroup_id_y 0
		.amdhsa_system_sgpr_workgroup_id_z 0
		.amdhsa_system_sgpr_workgroup_info 0
		.amdhsa_system_vgpr_workitem_id 0
		.amdhsa_next_free_vgpr 1
		.amdhsa_next_free_sgpr 0
		.amdhsa_accum_offset 4
		.amdhsa_reserve_vcc 0
		.amdhsa_reserve_flat_scratch 0
		.amdhsa_float_round_mode_32 0
		.amdhsa_float_round_mode_16_64 0
		.amdhsa_float_denorm_mode_32 3
		.amdhsa_float_denorm_mode_16_64 3
		.amdhsa_dx10_clamp 1
		.amdhsa_ieee_mode 1
		.amdhsa_fp16_overflow 0
		.amdhsa_tg_split 0
		.amdhsa_exception_fp_ieee_invalid_op 0
		.amdhsa_exception_fp_denorm_src 0
		.amdhsa_exception_fp_ieee_div_zero 0
		.amdhsa_exception_fp_ieee_overflow 0
		.amdhsa_exception_fp_ieee_underflow 0
		.amdhsa_exception_fp_ieee_inexact 0
		.amdhsa_exception_int_div_zero 0
	.end_amdhsa_kernel
	.section	.text._ZN7rocprim17ROCPRIM_400000_NS6detail17trampoline_kernelINS0_14default_configENS1_20scan_config_selectorIiEEZZNS1_9scan_implILNS1_25lookback_scan_determinismE0ELb0ELb0ES3_N6thrust23THRUST_200600_302600_NS6detail15normal_iteratorINS9_10device_ptrIiEEEESE_i19const_ref_plus_mod3IiEiEEDaPvRmT3_T4_T5_mT6_P12ihipStream_tbENKUlT_T0_E_clISt17integral_constantIbLb0EEST_IbLb1EEEEDaSP_SQ_EUlSP_E_NS1_11comp_targetILNS1_3genE10ELNS1_11target_archE1201ELNS1_3gpuE5ELNS1_3repE0EEENS1_30default_config_static_selectorELNS0_4arch9wavefront6targetE1EEEvT1_,"axG",@progbits,_ZN7rocprim17ROCPRIM_400000_NS6detail17trampoline_kernelINS0_14default_configENS1_20scan_config_selectorIiEEZZNS1_9scan_implILNS1_25lookback_scan_determinismE0ELb0ELb0ES3_N6thrust23THRUST_200600_302600_NS6detail15normal_iteratorINS9_10device_ptrIiEEEESE_i19const_ref_plus_mod3IiEiEEDaPvRmT3_T4_T5_mT6_P12ihipStream_tbENKUlT_T0_E_clISt17integral_constantIbLb0EEST_IbLb1EEEEDaSP_SQ_EUlSP_E_NS1_11comp_targetILNS1_3genE10ELNS1_11target_archE1201ELNS1_3gpuE5ELNS1_3repE0EEENS1_30default_config_static_selectorELNS0_4arch9wavefront6targetE1EEEvT1_,comdat
.Lfunc_end7039:
	.size	_ZN7rocprim17ROCPRIM_400000_NS6detail17trampoline_kernelINS0_14default_configENS1_20scan_config_selectorIiEEZZNS1_9scan_implILNS1_25lookback_scan_determinismE0ELb0ELb0ES3_N6thrust23THRUST_200600_302600_NS6detail15normal_iteratorINS9_10device_ptrIiEEEESE_i19const_ref_plus_mod3IiEiEEDaPvRmT3_T4_T5_mT6_P12ihipStream_tbENKUlT_T0_E_clISt17integral_constantIbLb0EEST_IbLb1EEEEDaSP_SQ_EUlSP_E_NS1_11comp_targetILNS1_3genE10ELNS1_11target_archE1201ELNS1_3gpuE5ELNS1_3repE0EEENS1_30default_config_static_selectorELNS0_4arch9wavefront6targetE1EEEvT1_, .Lfunc_end7039-_ZN7rocprim17ROCPRIM_400000_NS6detail17trampoline_kernelINS0_14default_configENS1_20scan_config_selectorIiEEZZNS1_9scan_implILNS1_25lookback_scan_determinismE0ELb0ELb0ES3_N6thrust23THRUST_200600_302600_NS6detail15normal_iteratorINS9_10device_ptrIiEEEESE_i19const_ref_plus_mod3IiEiEEDaPvRmT3_T4_T5_mT6_P12ihipStream_tbENKUlT_T0_E_clISt17integral_constantIbLb0EEST_IbLb1EEEEDaSP_SQ_EUlSP_E_NS1_11comp_targetILNS1_3genE10ELNS1_11target_archE1201ELNS1_3gpuE5ELNS1_3repE0EEENS1_30default_config_static_selectorELNS0_4arch9wavefront6targetE1EEEvT1_
                                        ; -- End function
	.section	.AMDGPU.csdata,"",@progbits
; Kernel info:
; codeLenInByte = 0
; NumSgprs: 4
; NumVgprs: 0
; NumAgprs: 0
; TotalNumVgprs: 0
; ScratchSize: 0
; MemoryBound: 0
; FloatMode: 240
; IeeeMode: 1
; LDSByteSize: 0 bytes/workgroup (compile time only)
; SGPRBlocks: 0
; VGPRBlocks: 0
; NumSGPRsForWavesPerEU: 4
; NumVGPRsForWavesPerEU: 1
; AccumOffset: 4
; Occupancy: 8
; WaveLimiterHint : 0
; COMPUTE_PGM_RSRC2:SCRATCH_EN: 0
; COMPUTE_PGM_RSRC2:USER_SGPR: 6
; COMPUTE_PGM_RSRC2:TRAP_HANDLER: 0
; COMPUTE_PGM_RSRC2:TGID_X_EN: 1
; COMPUTE_PGM_RSRC2:TGID_Y_EN: 0
; COMPUTE_PGM_RSRC2:TGID_Z_EN: 0
; COMPUTE_PGM_RSRC2:TIDIG_COMP_CNT: 0
; COMPUTE_PGM_RSRC3_GFX90A:ACCUM_OFFSET: 0
; COMPUTE_PGM_RSRC3_GFX90A:TG_SPLIT: 0
	.section	.text._ZN7rocprim17ROCPRIM_400000_NS6detail17trampoline_kernelINS0_14default_configENS1_20scan_config_selectorIiEEZZNS1_9scan_implILNS1_25lookback_scan_determinismE0ELb0ELb0ES3_N6thrust23THRUST_200600_302600_NS6detail15normal_iteratorINS9_10device_ptrIiEEEESE_i19const_ref_plus_mod3IiEiEEDaPvRmT3_T4_T5_mT6_P12ihipStream_tbENKUlT_T0_E_clISt17integral_constantIbLb0EEST_IbLb1EEEEDaSP_SQ_EUlSP_E_NS1_11comp_targetILNS1_3genE10ELNS1_11target_archE1200ELNS1_3gpuE4ELNS1_3repE0EEENS1_30default_config_static_selectorELNS0_4arch9wavefront6targetE1EEEvT1_,"axG",@progbits,_ZN7rocprim17ROCPRIM_400000_NS6detail17trampoline_kernelINS0_14default_configENS1_20scan_config_selectorIiEEZZNS1_9scan_implILNS1_25lookback_scan_determinismE0ELb0ELb0ES3_N6thrust23THRUST_200600_302600_NS6detail15normal_iteratorINS9_10device_ptrIiEEEESE_i19const_ref_plus_mod3IiEiEEDaPvRmT3_T4_T5_mT6_P12ihipStream_tbENKUlT_T0_E_clISt17integral_constantIbLb0EEST_IbLb1EEEEDaSP_SQ_EUlSP_E_NS1_11comp_targetILNS1_3genE10ELNS1_11target_archE1200ELNS1_3gpuE4ELNS1_3repE0EEENS1_30default_config_static_selectorELNS0_4arch9wavefront6targetE1EEEvT1_,comdat
	.protected	_ZN7rocprim17ROCPRIM_400000_NS6detail17trampoline_kernelINS0_14default_configENS1_20scan_config_selectorIiEEZZNS1_9scan_implILNS1_25lookback_scan_determinismE0ELb0ELb0ES3_N6thrust23THRUST_200600_302600_NS6detail15normal_iteratorINS9_10device_ptrIiEEEESE_i19const_ref_plus_mod3IiEiEEDaPvRmT3_T4_T5_mT6_P12ihipStream_tbENKUlT_T0_E_clISt17integral_constantIbLb0EEST_IbLb1EEEEDaSP_SQ_EUlSP_E_NS1_11comp_targetILNS1_3genE10ELNS1_11target_archE1200ELNS1_3gpuE4ELNS1_3repE0EEENS1_30default_config_static_selectorELNS0_4arch9wavefront6targetE1EEEvT1_ ; -- Begin function _ZN7rocprim17ROCPRIM_400000_NS6detail17trampoline_kernelINS0_14default_configENS1_20scan_config_selectorIiEEZZNS1_9scan_implILNS1_25lookback_scan_determinismE0ELb0ELb0ES3_N6thrust23THRUST_200600_302600_NS6detail15normal_iteratorINS9_10device_ptrIiEEEESE_i19const_ref_plus_mod3IiEiEEDaPvRmT3_T4_T5_mT6_P12ihipStream_tbENKUlT_T0_E_clISt17integral_constantIbLb0EEST_IbLb1EEEEDaSP_SQ_EUlSP_E_NS1_11comp_targetILNS1_3genE10ELNS1_11target_archE1200ELNS1_3gpuE4ELNS1_3repE0EEENS1_30default_config_static_selectorELNS0_4arch9wavefront6targetE1EEEvT1_
	.globl	_ZN7rocprim17ROCPRIM_400000_NS6detail17trampoline_kernelINS0_14default_configENS1_20scan_config_selectorIiEEZZNS1_9scan_implILNS1_25lookback_scan_determinismE0ELb0ELb0ES3_N6thrust23THRUST_200600_302600_NS6detail15normal_iteratorINS9_10device_ptrIiEEEESE_i19const_ref_plus_mod3IiEiEEDaPvRmT3_T4_T5_mT6_P12ihipStream_tbENKUlT_T0_E_clISt17integral_constantIbLb0EEST_IbLb1EEEEDaSP_SQ_EUlSP_E_NS1_11comp_targetILNS1_3genE10ELNS1_11target_archE1200ELNS1_3gpuE4ELNS1_3repE0EEENS1_30default_config_static_selectorELNS0_4arch9wavefront6targetE1EEEvT1_
	.p2align	8
	.type	_ZN7rocprim17ROCPRIM_400000_NS6detail17trampoline_kernelINS0_14default_configENS1_20scan_config_selectorIiEEZZNS1_9scan_implILNS1_25lookback_scan_determinismE0ELb0ELb0ES3_N6thrust23THRUST_200600_302600_NS6detail15normal_iteratorINS9_10device_ptrIiEEEESE_i19const_ref_plus_mod3IiEiEEDaPvRmT3_T4_T5_mT6_P12ihipStream_tbENKUlT_T0_E_clISt17integral_constantIbLb0EEST_IbLb1EEEEDaSP_SQ_EUlSP_E_NS1_11comp_targetILNS1_3genE10ELNS1_11target_archE1200ELNS1_3gpuE4ELNS1_3repE0EEENS1_30default_config_static_selectorELNS0_4arch9wavefront6targetE1EEEvT1_,@function
_ZN7rocprim17ROCPRIM_400000_NS6detail17trampoline_kernelINS0_14default_configENS1_20scan_config_selectorIiEEZZNS1_9scan_implILNS1_25lookback_scan_determinismE0ELb0ELb0ES3_N6thrust23THRUST_200600_302600_NS6detail15normal_iteratorINS9_10device_ptrIiEEEESE_i19const_ref_plus_mod3IiEiEEDaPvRmT3_T4_T5_mT6_P12ihipStream_tbENKUlT_T0_E_clISt17integral_constantIbLb0EEST_IbLb1EEEEDaSP_SQ_EUlSP_E_NS1_11comp_targetILNS1_3genE10ELNS1_11target_archE1200ELNS1_3gpuE4ELNS1_3repE0EEENS1_30default_config_static_selectorELNS0_4arch9wavefront6targetE1EEEvT1_: ; @_ZN7rocprim17ROCPRIM_400000_NS6detail17trampoline_kernelINS0_14default_configENS1_20scan_config_selectorIiEEZZNS1_9scan_implILNS1_25lookback_scan_determinismE0ELb0ELb0ES3_N6thrust23THRUST_200600_302600_NS6detail15normal_iteratorINS9_10device_ptrIiEEEESE_i19const_ref_plus_mod3IiEiEEDaPvRmT3_T4_T5_mT6_P12ihipStream_tbENKUlT_T0_E_clISt17integral_constantIbLb0EEST_IbLb1EEEEDaSP_SQ_EUlSP_E_NS1_11comp_targetILNS1_3genE10ELNS1_11target_archE1200ELNS1_3gpuE4ELNS1_3repE0EEENS1_30default_config_static_selectorELNS0_4arch9wavefront6targetE1EEEvT1_
; %bb.0:
	.section	.rodata,"a",@progbits
	.p2align	6, 0x0
	.amdhsa_kernel _ZN7rocprim17ROCPRIM_400000_NS6detail17trampoline_kernelINS0_14default_configENS1_20scan_config_selectorIiEEZZNS1_9scan_implILNS1_25lookback_scan_determinismE0ELb0ELb0ES3_N6thrust23THRUST_200600_302600_NS6detail15normal_iteratorINS9_10device_ptrIiEEEESE_i19const_ref_plus_mod3IiEiEEDaPvRmT3_T4_T5_mT6_P12ihipStream_tbENKUlT_T0_E_clISt17integral_constantIbLb0EEST_IbLb1EEEEDaSP_SQ_EUlSP_E_NS1_11comp_targetILNS1_3genE10ELNS1_11target_archE1200ELNS1_3gpuE4ELNS1_3repE0EEENS1_30default_config_static_selectorELNS0_4arch9wavefront6targetE1EEEvT1_
		.amdhsa_group_segment_fixed_size 0
		.amdhsa_private_segment_fixed_size 0
		.amdhsa_kernarg_size 104
		.amdhsa_user_sgpr_count 6
		.amdhsa_user_sgpr_private_segment_buffer 1
		.amdhsa_user_sgpr_dispatch_ptr 0
		.amdhsa_user_sgpr_queue_ptr 0
		.amdhsa_user_sgpr_kernarg_segment_ptr 1
		.amdhsa_user_sgpr_dispatch_id 0
		.amdhsa_user_sgpr_flat_scratch_init 0
		.amdhsa_user_sgpr_kernarg_preload_length 0
		.amdhsa_user_sgpr_kernarg_preload_offset 0
		.amdhsa_user_sgpr_private_segment_size 0
		.amdhsa_uses_dynamic_stack 0
		.amdhsa_system_sgpr_private_segment_wavefront_offset 0
		.amdhsa_system_sgpr_workgroup_id_x 1
		.amdhsa_system_sgpr_workgroup_id_y 0
		.amdhsa_system_sgpr_workgroup_id_z 0
		.amdhsa_system_sgpr_workgroup_info 0
		.amdhsa_system_vgpr_workitem_id 0
		.amdhsa_next_free_vgpr 1
		.amdhsa_next_free_sgpr 0
		.amdhsa_accum_offset 4
		.amdhsa_reserve_vcc 0
		.amdhsa_reserve_flat_scratch 0
		.amdhsa_float_round_mode_32 0
		.amdhsa_float_round_mode_16_64 0
		.amdhsa_float_denorm_mode_32 3
		.amdhsa_float_denorm_mode_16_64 3
		.amdhsa_dx10_clamp 1
		.amdhsa_ieee_mode 1
		.amdhsa_fp16_overflow 0
		.amdhsa_tg_split 0
		.amdhsa_exception_fp_ieee_invalid_op 0
		.amdhsa_exception_fp_denorm_src 0
		.amdhsa_exception_fp_ieee_div_zero 0
		.amdhsa_exception_fp_ieee_overflow 0
		.amdhsa_exception_fp_ieee_underflow 0
		.amdhsa_exception_fp_ieee_inexact 0
		.amdhsa_exception_int_div_zero 0
	.end_amdhsa_kernel
	.section	.text._ZN7rocprim17ROCPRIM_400000_NS6detail17trampoline_kernelINS0_14default_configENS1_20scan_config_selectorIiEEZZNS1_9scan_implILNS1_25lookback_scan_determinismE0ELb0ELb0ES3_N6thrust23THRUST_200600_302600_NS6detail15normal_iteratorINS9_10device_ptrIiEEEESE_i19const_ref_plus_mod3IiEiEEDaPvRmT3_T4_T5_mT6_P12ihipStream_tbENKUlT_T0_E_clISt17integral_constantIbLb0EEST_IbLb1EEEEDaSP_SQ_EUlSP_E_NS1_11comp_targetILNS1_3genE10ELNS1_11target_archE1200ELNS1_3gpuE4ELNS1_3repE0EEENS1_30default_config_static_selectorELNS0_4arch9wavefront6targetE1EEEvT1_,"axG",@progbits,_ZN7rocprim17ROCPRIM_400000_NS6detail17trampoline_kernelINS0_14default_configENS1_20scan_config_selectorIiEEZZNS1_9scan_implILNS1_25lookback_scan_determinismE0ELb0ELb0ES3_N6thrust23THRUST_200600_302600_NS6detail15normal_iteratorINS9_10device_ptrIiEEEESE_i19const_ref_plus_mod3IiEiEEDaPvRmT3_T4_T5_mT6_P12ihipStream_tbENKUlT_T0_E_clISt17integral_constantIbLb0EEST_IbLb1EEEEDaSP_SQ_EUlSP_E_NS1_11comp_targetILNS1_3genE10ELNS1_11target_archE1200ELNS1_3gpuE4ELNS1_3repE0EEENS1_30default_config_static_selectorELNS0_4arch9wavefront6targetE1EEEvT1_,comdat
.Lfunc_end7040:
	.size	_ZN7rocprim17ROCPRIM_400000_NS6detail17trampoline_kernelINS0_14default_configENS1_20scan_config_selectorIiEEZZNS1_9scan_implILNS1_25lookback_scan_determinismE0ELb0ELb0ES3_N6thrust23THRUST_200600_302600_NS6detail15normal_iteratorINS9_10device_ptrIiEEEESE_i19const_ref_plus_mod3IiEiEEDaPvRmT3_T4_T5_mT6_P12ihipStream_tbENKUlT_T0_E_clISt17integral_constantIbLb0EEST_IbLb1EEEEDaSP_SQ_EUlSP_E_NS1_11comp_targetILNS1_3genE10ELNS1_11target_archE1200ELNS1_3gpuE4ELNS1_3repE0EEENS1_30default_config_static_selectorELNS0_4arch9wavefront6targetE1EEEvT1_, .Lfunc_end7040-_ZN7rocprim17ROCPRIM_400000_NS6detail17trampoline_kernelINS0_14default_configENS1_20scan_config_selectorIiEEZZNS1_9scan_implILNS1_25lookback_scan_determinismE0ELb0ELb0ES3_N6thrust23THRUST_200600_302600_NS6detail15normal_iteratorINS9_10device_ptrIiEEEESE_i19const_ref_plus_mod3IiEiEEDaPvRmT3_T4_T5_mT6_P12ihipStream_tbENKUlT_T0_E_clISt17integral_constantIbLb0EEST_IbLb1EEEEDaSP_SQ_EUlSP_E_NS1_11comp_targetILNS1_3genE10ELNS1_11target_archE1200ELNS1_3gpuE4ELNS1_3repE0EEENS1_30default_config_static_selectorELNS0_4arch9wavefront6targetE1EEEvT1_
                                        ; -- End function
	.section	.AMDGPU.csdata,"",@progbits
; Kernel info:
; codeLenInByte = 0
; NumSgprs: 4
; NumVgprs: 0
; NumAgprs: 0
; TotalNumVgprs: 0
; ScratchSize: 0
; MemoryBound: 0
; FloatMode: 240
; IeeeMode: 1
; LDSByteSize: 0 bytes/workgroup (compile time only)
; SGPRBlocks: 0
; VGPRBlocks: 0
; NumSGPRsForWavesPerEU: 4
; NumVGPRsForWavesPerEU: 1
; AccumOffset: 4
; Occupancy: 8
; WaveLimiterHint : 0
; COMPUTE_PGM_RSRC2:SCRATCH_EN: 0
; COMPUTE_PGM_RSRC2:USER_SGPR: 6
; COMPUTE_PGM_RSRC2:TRAP_HANDLER: 0
; COMPUTE_PGM_RSRC2:TGID_X_EN: 1
; COMPUTE_PGM_RSRC2:TGID_Y_EN: 0
; COMPUTE_PGM_RSRC2:TGID_Z_EN: 0
; COMPUTE_PGM_RSRC2:TIDIG_COMP_CNT: 0
; COMPUTE_PGM_RSRC3_GFX90A:ACCUM_OFFSET: 0
; COMPUTE_PGM_RSRC3_GFX90A:TG_SPLIT: 0
	.section	.text._ZN7rocprim17ROCPRIM_400000_NS6detail17trampoline_kernelINS0_14default_configENS1_20scan_config_selectorIiEEZZNS1_9scan_implILNS1_25lookback_scan_determinismE0ELb0ELb0ES3_N6thrust23THRUST_200600_302600_NS6detail15normal_iteratorINS9_10device_ptrIiEEEESE_i19const_ref_plus_mod3IiEiEEDaPvRmT3_T4_T5_mT6_P12ihipStream_tbENKUlT_T0_E_clISt17integral_constantIbLb0EEST_IbLb1EEEEDaSP_SQ_EUlSP_E_NS1_11comp_targetILNS1_3genE9ELNS1_11target_archE1100ELNS1_3gpuE3ELNS1_3repE0EEENS1_30default_config_static_selectorELNS0_4arch9wavefront6targetE1EEEvT1_,"axG",@progbits,_ZN7rocprim17ROCPRIM_400000_NS6detail17trampoline_kernelINS0_14default_configENS1_20scan_config_selectorIiEEZZNS1_9scan_implILNS1_25lookback_scan_determinismE0ELb0ELb0ES3_N6thrust23THRUST_200600_302600_NS6detail15normal_iteratorINS9_10device_ptrIiEEEESE_i19const_ref_plus_mod3IiEiEEDaPvRmT3_T4_T5_mT6_P12ihipStream_tbENKUlT_T0_E_clISt17integral_constantIbLb0EEST_IbLb1EEEEDaSP_SQ_EUlSP_E_NS1_11comp_targetILNS1_3genE9ELNS1_11target_archE1100ELNS1_3gpuE3ELNS1_3repE0EEENS1_30default_config_static_selectorELNS0_4arch9wavefront6targetE1EEEvT1_,comdat
	.protected	_ZN7rocprim17ROCPRIM_400000_NS6detail17trampoline_kernelINS0_14default_configENS1_20scan_config_selectorIiEEZZNS1_9scan_implILNS1_25lookback_scan_determinismE0ELb0ELb0ES3_N6thrust23THRUST_200600_302600_NS6detail15normal_iteratorINS9_10device_ptrIiEEEESE_i19const_ref_plus_mod3IiEiEEDaPvRmT3_T4_T5_mT6_P12ihipStream_tbENKUlT_T0_E_clISt17integral_constantIbLb0EEST_IbLb1EEEEDaSP_SQ_EUlSP_E_NS1_11comp_targetILNS1_3genE9ELNS1_11target_archE1100ELNS1_3gpuE3ELNS1_3repE0EEENS1_30default_config_static_selectorELNS0_4arch9wavefront6targetE1EEEvT1_ ; -- Begin function _ZN7rocprim17ROCPRIM_400000_NS6detail17trampoline_kernelINS0_14default_configENS1_20scan_config_selectorIiEEZZNS1_9scan_implILNS1_25lookback_scan_determinismE0ELb0ELb0ES3_N6thrust23THRUST_200600_302600_NS6detail15normal_iteratorINS9_10device_ptrIiEEEESE_i19const_ref_plus_mod3IiEiEEDaPvRmT3_T4_T5_mT6_P12ihipStream_tbENKUlT_T0_E_clISt17integral_constantIbLb0EEST_IbLb1EEEEDaSP_SQ_EUlSP_E_NS1_11comp_targetILNS1_3genE9ELNS1_11target_archE1100ELNS1_3gpuE3ELNS1_3repE0EEENS1_30default_config_static_selectorELNS0_4arch9wavefront6targetE1EEEvT1_
	.globl	_ZN7rocprim17ROCPRIM_400000_NS6detail17trampoline_kernelINS0_14default_configENS1_20scan_config_selectorIiEEZZNS1_9scan_implILNS1_25lookback_scan_determinismE0ELb0ELb0ES3_N6thrust23THRUST_200600_302600_NS6detail15normal_iteratorINS9_10device_ptrIiEEEESE_i19const_ref_plus_mod3IiEiEEDaPvRmT3_T4_T5_mT6_P12ihipStream_tbENKUlT_T0_E_clISt17integral_constantIbLb0EEST_IbLb1EEEEDaSP_SQ_EUlSP_E_NS1_11comp_targetILNS1_3genE9ELNS1_11target_archE1100ELNS1_3gpuE3ELNS1_3repE0EEENS1_30default_config_static_selectorELNS0_4arch9wavefront6targetE1EEEvT1_
	.p2align	8
	.type	_ZN7rocprim17ROCPRIM_400000_NS6detail17trampoline_kernelINS0_14default_configENS1_20scan_config_selectorIiEEZZNS1_9scan_implILNS1_25lookback_scan_determinismE0ELb0ELb0ES3_N6thrust23THRUST_200600_302600_NS6detail15normal_iteratorINS9_10device_ptrIiEEEESE_i19const_ref_plus_mod3IiEiEEDaPvRmT3_T4_T5_mT6_P12ihipStream_tbENKUlT_T0_E_clISt17integral_constantIbLb0EEST_IbLb1EEEEDaSP_SQ_EUlSP_E_NS1_11comp_targetILNS1_3genE9ELNS1_11target_archE1100ELNS1_3gpuE3ELNS1_3repE0EEENS1_30default_config_static_selectorELNS0_4arch9wavefront6targetE1EEEvT1_,@function
_ZN7rocprim17ROCPRIM_400000_NS6detail17trampoline_kernelINS0_14default_configENS1_20scan_config_selectorIiEEZZNS1_9scan_implILNS1_25lookback_scan_determinismE0ELb0ELb0ES3_N6thrust23THRUST_200600_302600_NS6detail15normal_iteratorINS9_10device_ptrIiEEEESE_i19const_ref_plus_mod3IiEiEEDaPvRmT3_T4_T5_mT6_P12ihipStream_tbENKUlT_T0_E_clISt17integral_constantIbLb0EEST_IbLb1EEEEDaSP_SQ_EUlSP_E_NS1_11comp_targetILNS1_3genE9ELNS1_11target_archE1100ELNS1_3gpuE3ELNS1_3repE0EEENS1_30default_config_static_selectorELNS0_4arch9wavefront6targetE1EEEvT1_: ; @_ZN7rocprim17ROCPRIM_400000_NS6detail17trampoline_kernelINS0_14default_configENS1_20scan_config_selectorIiEEZZNS1_9scan_implILNS1_25lookback_scan_determinismE0ELb0ELb0ES3_N6thrust23THRUST_200600_302600_NS6detail15normal_iteratorINS9_10device_ptrIiEEEESE_i19const_ref_plus_mod3IiEiEEDaPvRmT3_T4_T5_mT6_P12ihipStream_tbENKUlT_T0_E_clISt17integral_constantIbLb0EEST_IbLb1EEEEDaSP_SQ_EUlSP_E_NS1_11comp_targetILNS1_3genE9ELNS1_11target_archE1100ELNS1_3gpuE3ELNS1_3repE0EEENS1_30default_config_static_selectorELNS0_4arch9wavefront6targetE1EEEvT1_
; %bb.0:
	.section	.rodata,"a",@progbits
	.p2align	6, 0x0
	.amdhsa_kernel _ZN7rocprim17ROCPRIM_400000_NS6detail17trampoline_kernelINS0_14default_configENS1_20scan_config_selectorIiEEZZNS1_9scan_implILNS1_25lookback_scan_determinismE0ELb0ELb0ES3_N6thrust23THRUST_200600_302600_NS6detail15normal_iteratorINS9_10device_ptrIiEEEESE_i19const_ref_plus_mod3IiEiEEDaPvRmT3_T4_T5_mT6_P12ihipStream_tbENKUlT_T0_E_clISt17integral_constantIbLb0EEST_IbLb1EEEEDaSP_SQ_EUlSP_E_NS1_11comp_targetILNS1_3genE9ELNS1_11target_archE1100ELNS1_3gpuE3ELNS1_3repE0EEENS1_30default_config_static_selectorELNS0_4arch9wavefront6targetE1EEEvT1_
		.amdhsa_group_segment_fixed_size 0
		.amdhsa_private_segment_fixed_size 0
		.amdhsa_kernarg_size 104
		.amdhsa_user_sgpr_count 6
		.amdhsa_user_sgpr_private_segment_buffer 1
		.amdhsa_user_sgpr_dispatch_ptr 0
		.amdhsa_user_sgpr_queue_ptr 0
		.amdhsa_user_sgpr_kernarg_segment_ptr 1
		.amdhsa_user_sgpr_dispatch_id 0
		.amdhsa_user_sgpr_flat_scratch_init 0
		.amdhsa_user_sgpr_kernarg_preload_length 0
		.amdhsa_user_sgpr_kernarg_preload_offset 0
		.amdhsa_user_sgpr_private_segment_size 0
		.amdhsa_uses_dynamic_stack 0
		.amdhsa_system_sgpr_private_segment_wavefront_offset 0
		.amdhsa_system_sgpr_workgroup_id_x 1
		.amdhsa_system_sgpr_workgroup_id_y 0
		.amdhsa_system_sgpr_workgroup_id_z 0
		.amdhsa_system_sgpr_workgroup_info 0
		.amdhsa_system_vgpr_workitem_id 0
		.amdhsa_next_free_vgpr 1
		.amdhsa_next_free_sgpr 0
		.amdhsa_accum_offset 4
		.amdhsa_reserve_vcc 0
		.amdhsa_reserve_flat_scratch 0
		.amdhsa_float_round_mode_32 0
		.amdhsa_float_round_mode_16_64 0
		.amdhsa_float_denorm_mode_32 3
		.amdhsa_float_denorm_mode_16_64 3
		.amdhsa_dx10_clamp 1
		.amdhsa_ieee_mode 1
		.amdhsa_fp16_overflow 0
		.amdhsa_tg_split 0
		.amdhsa_exception_fp_ieee_invalid_op 0
		.amdhsa_exception_fp_denorm_src 0
		.amdhsa_exception_fp_ieee_div_zero 0
		.amdhsa_exception_fp_ieee_overflow 0
		.amdhsa_exception_fp_ieee_underflow 0
		.amdhsa_exception_fp_ieee_inexact 0
		.amdhsa_exception_int_div_zero 0
	.end_amdhsa_kernel
	.section	.text._ZN7rocprim17ROCPRIM_400000_NS6detail17trampoline_kernelINS0_14default_configENS1_20scan_config_selectorIiEEZZNS1_9scan_implILNS1_25lookback_scan_determinismE0ELb0ELb0ES3_N6thrust23THRUST_200600_302600_NS6detail15normal_iteratorINS9_10device_ptrIiEEEESE_i19const_ref_plus_mod3IiEiEEDaPvRmT3_T4_T5_mT6_P12ihipStream_tbENKUlT_T0_E_clISt17integral_constantIbLb0EEST_IbLb1EEEEDaSP_SQ_EUlSP_E_NS1_11comp_targetILNS1_3genE9ELNS1_11target_archE1100ELNS1_3gpuE3ELNS1_3repE0EEENS1_30default_config_static_selectorELNS0_4arch9wavefront6targetE1EEEvT1_,"axG",@progbits,_ZN7rocprim17ROCPRIM_400000_NS6detail17trampoline_kernelINS0_14default_configENS1_20scan_config_selectorIiEEZZNS1_9scan_implILNS1_25lookback_scan_determinismE0ELb0ELb0ES3_N6thrust23THRUST_200600_302600_NS6detail15normal_iteratorINS9_10device_ptrIiEEEESE_i19const_ref_plus_mod3IiEiEEDaPvRmT3_T4_T5_mT6_P12ihipStream_tbENKUlT_T0_E_clISt17integral_constantIbLb0EEST_IbLb1EEEEDaSP_SQ_EUlSP_E_NS1_11comp_targetILNS1_3genE9ELNS1_11target_archE1100ELNS1_3gpuE3ELNS1_3repE0EEENS1_30default_config_static_selectorELNS0_4arch9wavefront6targetE1EEEvT1_,comdat
.Lfunc_end7041:
	.size	_ZN7rocprim17ROCPRIM_400000_NS6detail17trampoline_kernelINS0_14default_configENS1_20scan_config_selectorIiEEZZNS1_9scan_implILNS1_25lookback_scan_determinismE0ELb0ELb0ES3_N6thrust23THRUST_200600_302600_NS6detail15normal_iteratorINS9_10device_ptrIiEEEESE_i19const_ref_plus_mod3IiEiEEDaPvRmT3_T4_T5_mT6_P12ihipStream_tbENKUlT_T0_E_clISt17integral_constantIbLb0EEST_IbLb1EEEEDaSP_SQ_EUlSP_E_NS1_11comp_targetILNS1_3genE9ELNS1_11target_archE1100ELNS1_3gpuE3ELNS1_3repE0EEENS1_30default_config_static_selectorELNS0_4arch9wavefront6targetE1EEEvT1_, .Lfunc_end7041-_ZN7rocprim17ROCPRIM_400000_NS6detail17trampoline_kernelINS0_14default_configENS1_20scan_config_selectorIiEEZZNS1_9scan_implILNS1_25lookback_scan_determinismE0ELb0ELb0ES3_N6thrust23THRUST_200600_302600_NS6detail15normal_iteratorINS9_10device_ptrIiEEEESE_i19const_ref_plus_mod3IiEiEEDaPvRmT3_T4_T5_mT6_P12ihipStream_tbENKUlT_T0_E_clISt17integral_constantIbLb0EEST_IbLb1EEEEDaSP_SQ_EUlSP_E_NS1_11comp_targetILNS1_3genE9ELNS1_11target_archE1100ELNS1_3gpuE3ELNS1_3repE0EEENS1_30default_config_static_selectorELNS0_4arch9wavefront6targetE1EEEvT1_
                                        ; -- End function
	.section	.AMDGPU.csdata,"",@progbits
; Kernel info:
; codeLenInByte = 0
; NumSgprs: 4
; NumVgprs: 0
; NumAgprs: 0
; TotalNumVgprs: 0
; ScratchSize: 0
; MemoryBound: 0
; FloatMode: 240
; IeeeMode: 1
; LDSByteSize: 0 bytes/workgroup (compile time only)
; SGPRBlocks: 0
; VGPRBlocks: 0
; NumSGPRsForWavesPerEU: 4
; NumVGPRsForWavesPerEU: 1
; AccumOffset: 4
; Occupancy: 8
; WaveLimiterHint : 0
; COMPUTE_PGM_RSRC2:SCRATCH_EN: 0
; COMPUTE_PGM_RSRC2:USER_SGPR: 6
; COMPUTE_PGM_RSRC2:TRAP_HANDLER: 0
; COMPUTE_PGM_RSRC2:TGID_X_EN: 1
; COMPUTE_PGM_RSRC2:TGID_Y_EN: 0
; COMPUTE_PGM_RSRC2:TGID_Z_EN: 0
; COMPUTE_PGM_RSRC2:TIDIG_COMP_CNT: 0
; COMPUTE_PGM_RSRC3_GFX90A:ACCUM_OFFSET: 0
; COMPUTE_PGM_RSRC3_GFX90A:TG_SPLIT: 0
	.section	.text._ZN7rocprim17ROCPRIM_400000_NS6detail17trampoline_kernelINS0_14default_configENS1_20scan_config_selectorIiEEZZNS1_9scan_implILNS1_25lookback_scan_determinismE0ELb0ELb0ES3_N6thrust23THRUST_200600_302600_NS6detail15normal_iteratorINS9_10device_ptrIiEEEESE_i19const_ref_plus_mod3IiEiEEDaPvRmT3_T4_T5_mT6_P12ihipStream_tbENKUlT_T0_E_clISt17integral_constantIbLb0EEST_IbLb1EEEEDaSP_SQ_EUlSP_E_NS1_11comp_targetILNS1_3genE8ELNS1_11target_archE1030ELNS1_3gpuE2ELNS1_3repE0EEENS1_30default_config_static_selectorELNS0_4arch9wavefront6targetE1EEEvT1_,"axG",@progbits,_ZN7rocprim17ROCPRIM_400000_NS6detail17trampoline_kernelINS0_14default_configENS1_20scan_config_selectorIiEEZZNS1_9scan_implILNS1_25lookback_scan_determinismE0ELb0ELb0ES3_N6thrust23THRUST_200600_302600_NS6detail15normal_iteratorINS9_10device_ptrIiEEEESE_i19const_ref_plus_mod3IiEiEEDaPvRmT3_T4_T5_mT6_P12ihipStream_tbENKUlT_T0_E_clISt17integral_constantIbLb0EEST_IbLb1EEEEDaSP_SQ_EUlSP_E_NS1_11comp_targetILNS1_3genE8ELNS1_11target_archE1030ELNS1_3gpuE2ELNS1_3repE0EEENS1_30default_config_static_selectorELNS0_4arch9wavefront6targetE1EEEvT1_,comdat
	.protected	_ZN7rocprim17ROCPRIM_400000_NS6detail17trampoline_kernelINS0_14default_configENS1_20scan_config_selectorIiEEZZNS1_9scan_implILNS1_25lookback_scan_determinismE0ELb0ELb0ES3_N6thrust23THRUST_200600_302600_NS6detail15normal_iteratorINS9_10device_ptrIiEEEESE_i19const_ref_plus_mod3IiEiEEDaPvRmT3_T4_T5_mT6_P12ihipStream_tbENKUlT_T0_E_clISt17integral_constantIbLb0EEST_IbLb1EEEEDaSP_SQ_EUlSP_E_NS1_11comp_targetILNS1_3genE8ELNS1_11target_archE1030ELNS1_3gpuE2ELNS1_3repE0EEENS1_30default_config_static_selectorELNS0_4arch9wavefront6targetE1EEEvT1_ ; -- Begin function _ZN7rocprim17ROCPRIM_400000_NS6detail17trampoline_kernelINS0_14default_configENS1_20scan_config_selectorIiEEZZNS1_9scan_implILNS1_25lookback_scan_determinismE0ELb0ELb0ES3_N6thrust23THRUST_200600_302600_NS6detail15normal_iteratorINS9_10device_ptrIiEEEESE_i19const_ref_plus_mod3IiEiEEDaPvRmT3_T4_T5_mT6_P12ihipStream_tbENKUlT_T0_E_clISt17integral_constantIbLb0EEST_IbLb1EEEEDaSP_SQ_EUlSP_E_NS1_11comp_targetILNS1_3genE8ELNS1_11target_archE1030ELNS1_3gpuE2ELNS1_3repE0EEENS1_30default_config_static_selectorELNS0_4arch9wavefront6targetE1EEEvT1_
	.globl	_ZN7rocprim17ROCPRIM_400000_NS6detail17trampoline_kernelINS0_14default_configENS1_20scan_config_selectorIiEEZZNS1_9scan_implILNS1_25lookback_scan_determinismE0ELb0ELb0ES3_N6thrust23THRUST_200600_302600_NS6detail15normal_iteratorINS9_10device_ptrIiEEEESE_i19const_ref_plus_mod3IiEiEEDaPvRmT3_T4_T5_mT6_P12ihipStream_tbENKUlT_T0_E_clISt17integral_constantIbLb0EEST_IbLb1EEEEDaSP_SQ_EUlSP_E_NS1_11comp_targetILNS1_3genE8ELNS1_11target_archE1030ELNS1_3gpuE2ELNS1_3repE0EEENS1_30default_config_static_selectorELNS0_4arch9wavefront6targetE1EEEvT1_
	.p2align	8
	.type	_ZN7rocprim17ROCPRIM_400000_NS6detail17trampoline_kernelINS0_14default_configENS1_20scan_config_selectorIiEEZZNS1_9scan_implILNS1_25lookback_scan_determinismE0ELb0ELb0ES3_N6thrust23THRUST_200600_302600_NS6detail15normal_iteratorINS9_10device_ptrIiEEEESE_i19const_ref_plus_mod3IiEiEEDaPvRmT3_T4_T5_mT6_P12ihipStream_tbENKUlT_T0_E_clISt17integral_constantIbLb0EEST_IbLb1EEEEDaSP_SQ_EUlSP_E_NS1_11comp_targetILNS1_3genE8ELNS1_11target_archE1030ELNS1_3gpuE2ELNS1_3repE0EEENS1_30default_config_static_selectorELNS0_4arch9wavefront6targetE1EEEvT1_,@function
_ZN7rocprim17ROCPRIM_400000_NS6detail17trampoline_kernelINS0_14default_configENS1_20scan_config_selectorIiEEZZNS1_9scan_implILNS1_25lookback_scan_determinismE0ELb0ELb0ES3_N6thrust23THRUST_200600_302600_NS6detail15normal_iteratorINS9_10device_ptrIiEEEESE_i19const_ref_plus_mod3IiEiEEDaPvRmT3_T4_T5_mT6_P12ihipStream_tbENKUlT_T0_E_clISt17integral_constantIbLb0EEST_IbLb1EEEEDaSP_SQ_EUlSP_E_NS1_11comp_targetILNS1_3genE8ELNS1_11target_archE1030ELNS1_3gpuE2ELNS1_3repE0EEENS1_30default_config_static_selectorELNS0_4arch9wavefront6targetE1EEEvT1_: ; @_ZN7rocprim17ROCPRIM_400000_NS6detail17trampoline_kernelINS0_14default_configENS1_20scan_config_selectorIiEEZZNS1_9scan_implILNS1_25lookback_scan_determinismE0ELb0ELb0ES3_N6thrust23THRUST_200600_302600_NS6detail15normal_iteratorINS9_10device_ptrIiEEEESE_i19const_ref_plus_mod3IiEiEEDaPvRmT3_T4_T5_mT6_P12ihipStream_tbENKUlT_T0_E_clISt17integral_constantIbLb0EEST_IbLb1EEEEDaSP_SQ_EUlSP_E_NS1_11comp_targetILNS1_3genE8ELNS1_11target_archE1030ELNS1_3gpuE2ELNS1_3repE0EEENS1_30default_config_static_selectorELNS0_4arch9wavefront6targetE1EEEvT1_
; %bb.0:
	.section	.rodata,"a",@progbits
	.p2align	6, 0x0
	.amdhsa_kernel _ZN7rocprim17ROCPRIM_400000_NS6detail17trampoline_kernelINS0_14default_configENS1_20scan_config_selectorIiEEZZNS1_9scan_implILNS1_25lookback_scan_determinismE0ELb0ELb0ES3_N6thrust23THRUST_200600_302600_NS6detail15normal_iteratorINS9_10device_ptrIiEEEESE_i19const_ref_plus_mod3IiEiEEDaPvRmT3_T4_T5_mT6_P12ihipStream_tbENKUlT_T0_E_clISt17integral_constantIbLb0EEST_IbLb1EEEEDaSP_SQ_EUlSP_E_NS1_11comp_targetILNS1_3genE8ELNS1_11target_archE1030ELNS1_3gpuE2ELNS1_3repE0EEENS1_30default_config_static_selectorELNS0_4arch9wavefront6targetE1EEEvT1_
		.amdhsa_group_segment_fixed_size 0
		.amdhsa_private_segment_fixed_size 0
		.amdhsa_kernarg_size 104
		.amdhsa_user_sgpr_count 6
		.amdhsa_user_sgpr_private_segment_buffer 1
		.amdhsa_user_sgpr_dispatch_ptr 0
		.amdhsa_user_sgpr_queue_ptr 0
		.amdhsa_user_sgpr_kernarg_segment_ptr 1
		.amdhsa_user_sgpr_dispatch_id 0
		.amdhsa_user_sgpr_flat_scratch_init 0
		.amdhsa_user_sgpr_kernarg_preload_length 0
		.amdhsa_user_sgpr_kernarg_preload_offset 0
		.amdhsa_user_sgpr_private_segment_size 0
		.amdhsa_uses_dynamic_stack 0
		.amdhsa_system_sgpr_private_segment_wavefront_offset 0
		.amdhsa_system_sgpr_workgroup_id_x 1
		.amdhsa_system_sgpr_workgroup_id_y 0
		.amdhsa_system_sgpr_workgroup_id_z 0
		.amdhsa_system_sgpr_workgroup_info 0
		.amdhsa_system_vgpr_workitem_id 0
		.amdhsa_next_free_vgpr 1
		.amdhsa_next_free_sgpr 0
		.amdhsa_accum_offset 4
		.amdhsa_reserve_vcc 0
		.amdhsa_reserve_flat_scratch 0
		.amdhsa_float_round_mode_32 0
		.amdhsa_float_round_mode_16_64 0
		.amdhsa_float_denorm_mode_32 3
		.amdhsa_float_denorm_mode_16_64 3
		.amdhsa_dx10_clamp 1
		.amdhsa_ieee_mode 1
		.amdhsa_fp16_overflow 0
		.amdhsa_tg_split 0
		.amdhsa_exception_fp_ieee_invalid_op 0
		.amdhsa_exception_fp_denorm_src 0
		.amdhsa_exception_fp_ieee_div_zero 0
		.amdhsa_exception_fp_ieee_overflow 0
		.amdhsa_exception_fp_ieee_underflow 0
		.amdhsa_exception_fp_ieee_inexact 0
		.amdhsa_exception_int_div_zero 0
	.end_amdhsa_kernel
	.section	.text._ZN7rocprim17ROCPRIM_400000_NS6detail17trampoline_kernelINS0_14default_configENS1_20scan_config_selectorIiEEZZNS1_9scan_implILNS1_25lookback_scan_determinismE0ELb0ELb0ES3_N6thrust23THRUST_200600_302600_NS6detail15normal_iteratorINS9_10device_ptrIiEEEESE_i19const_ref_plus_mod3IiEiEEDaPvRmT3_T4_T5_mT6_P12ihipStream_tbENKUlT_T0_E_clISt17integral_constantIbLb0EEST_IbLb1EEEEDaSP_SQ_EUlSP_E_NS1_11comp_targetILNS1_3genE8ELNS1_11target_archE1030ELNS1_3gpuE2ELNS1_3repE0EEENS1_30default_config_static_selectorELNS0_4arch9wavefront6targetE1EEEvT1_,"axG",@progbits,_ZN7rocprim17ROCPRIM_400000_NS6detail17trampoline_kernelINS0_14default_configENS1_20scan_config_selectorIiEEZZNS1_9scan_implILNS1_25lookback_scan_determinismE0ELb0ELb0ES3_N6thrust23THRUST_200600_302600_NS6detail15normal_iteratorINS9_10device_ptrIiEEEESE_i19const_ref_plus_mod3IiEiEEDaPvRmT3_T4_T5_mT6_P12ihipStream_tbENKUlT_T0_E_clISt17integral_constantIbLb0EEST_IbLb1EEEEDaSP_SQ_EUlSP_E_NS1_11comp_targetILNS1_3genE8ELNS1_11target_archE1030ELNS1_3gpuE2ELNS1_3repE0EEENS1_30default_config_static_selectorELNS0_4arch9wavefront6targetE1EEEvT1_,comdat
.Lfunc_end7042:
	.size	_ZN7rocprim17ROCPRIM_400000_NS6detail17trampoline_kernelINS0_14default_configENS1_20scan_config_selectorIiEEZZNS1_9scan_implILNS1_25lookback_scan_determinismE0ELb0ELb0ES3_N6thrust23THRUST_200600_302600_NS6detail15normal_iteratorINS9_10device_ptrIiEEEESE_i19const_ref_plus_mod3IiEiEEDaPvRmT3_T4_T5_mT6_P12ihipStream_tbENKUlT_T0_E_clISt17integral_constantIbLb0EEST_IbLb1EEEEDaSP_SQ_EUlSP_E_NS1_11comp_targetILNS1_3genE8ELNS1_11target_archE1030ELNS1_3gpuE2ELNS1_3repE0EEENS1_30default_config_static_selectorELNS0_4arch9wavefront6targetE1EEEvT1_, .Lfunc_end7042-_ZN7rocprim17ROCPRIM_400000_NS6detail17trampoline_kernelINS0_14default_configENS1_20scan_config_selectorIiEEZZNS1_9scan_implILNS1_25lookback_scan_determinismE0ELb0ELb0ES3_N6thrust23THRUST_200600_302600_NS6detail15normal_iteratorINS9_10device_ptrIiEEEESE_i19const_ref_plus_mod3IiEiEEDaPvRmT3_T4_T5_mT6_P12ihipStream_tbENKUlT_T0_E_clISt17integral_constantIbLb0EEST_IbLb1EEEEDaSP_SQ_EUlSP_E_NS1_11comp_targetILNS1_3genE8ELNS1_11target_archE1030ELNS1_3gpuE2ELNS1_3repE0EEENS1_30default_config_static_selectorELNS0_4arch9wavefront6targetE1EEEvT1_
                                        ; -- End function
	.section	.AMDGPU.csdata,"",@progbits
; Kernel info:
; codeLenInByte = 0
; NumSgprs: 4
; NumVgprs: 0
; NumAgprs: 0
; TotalNumVgprs: 0
; ScratchSize: 0
; MemoryBound: 0
; FloatMode: 240
; IeeeMode: 1
; LDSByteSize: 0 bytes/workgroup (compile time only)
; SGPRBlocks: 0
; VGPRBlocks: 0
; NumSGPRsForWavesPerEU: 4
; NumVGPRsForWavesPerEU: 1
; AccumOffset: 4
; Occupancy: 8
; WaveLimiterHint : 0
; COMPUTE_PGM_RSRC2:SCRATCH_EN: 0
; COMPUTE_PGM_RSRC2:USER_SGPR: 6
; COMPUTE_PGM_RSRC2:TRAP_HANDLER: 0
; COMPUTE_PGM_RSRC2:TGID_X_EN: 1
; COMPUTE_PGM_RSRC2:TGID_Y_EN: 0
; COMPUTE_PGM_RSRC2:TGID_Z_EN: 0
; COMPUTE_PGM_RSRC2:TIDIG_COMP_CNT: 0
; COMPUTE_PGM_RSRC3_GFX90A:ACCUM_OFFSET: 0
; COMPUTE_PGM_RSRC3_GFX90A:TG_SPLIT: 0
	.section	.text._ZN7rocprim17ROCPRIM_400000_NS6detail17trampoline_kernelINS0_14default_configENS1_20scan_config_selectorIiEEZZNS1_9scan_implILNS1_25lookback_scan_determinismE0ELb0ELb0ES3_N6thrust23THRUST_200600_302600_NS6detail15normal_iteratorINS9_10device_ptrIiEEEESE_i19const_ref_plus_mod3IiEiEEDaPvRmT3_T4_T5_mT6_P12ihipStream_tbENKUlT_T0_E_clISt17integral_constantIbLb0EEST_IbLb1EEEEDaSP_SQ_EUlSP_E0_NS1_11comp_targetILNS1_3genE0ELNS1_11target_archE4294967295ELNS1_3gpuE0ELNS1_3repE0EEENS1_30default_config_static_selectorELNS0_4arch9wavefront6targetE1EEEvT1_,"axG",@progbits,_ZN7rocprim17ROCPRIM_400000_NS6detail17trampoline_kernelINS0_14default_configENS1_20scan_config_selectorIiEEZZNS1_9scan_implILNS1_25lookback_scan_determinismE0ELb0ELb0ES3_N6thrust23THRUST_200600_302600_NS6detail15normal_iteratorINS9_10device_ptrIiEEEESE_i19const_ref_plus_mod3IiEiEEDaPvRmT3_T4_T5_mT6_P12ihipStream_tbENKUlT_T0_E_clISt17integral_constantIbLb0EEST_IbLb1EEEEDaSP_SQ_EUlSP_E0_NS1_11comp_targetILNS1_3genE0ELNS1_11target_archE4294967295ELNS1_3gpuE0ELNS1_3repE0EEENS1_30default_config_static_selectorELNS0_4arch9wavefront6targetE1EEEvT1_,comdat
	.protected	_ZN7rocprim17ROCPRIM_400000_NS6detail17trampoline_kernelINS0_14default_configENS1_20scan_config_selectorIiEEZZNS1_9scan_implILNS1_25lookback_scan_determinismE0ELb0ELb0ES3_N6thrust23THRUST_200600_302600_NS6detail15normal_iteratorINS9_10device_ptrIiEEEESE_i19const_ref_plus_mod3IiEiEEDaPvRmT3_T4_T5_mT6_P12ihipStream_tbENKUlT_T0_E_clISt17integral_constantIbLb0EEST_IbLb1EEEEDaSP_SQ_EUlSP_E0_NS1_11comp_targetILNS1_3genE0ELNS1_11target_archE4294967295ELNS1_3gpuE0ELNS1_3repE0EEENS1_30default_config_static_selectorELNS0_4arch9wavefront6targetE1EEEvT1_ ; -- Begin function _ZN7rocprim17ROCPRIM_400000_NS6detail17trampoline_kernelINS0_14default_configENS1_20scan_config_selectorIiEEZZNS1_9scan_implILNS1_25lookback_scan_determinismE0ELb0ELb0ES3_N6thrust23THRUST_200600_302600_NS6detail15normal_iteratorINS9_10device_ptrIiEEEESE_i19const_ref_plus_mod3IiEiEEDaPvRmT3_T4_T5_mT6_P12ihipStream_tbENKUlT_T0_E_clISt17integral_constantIbLb0EEST_IbLb1EEEEDaSP_SQ_EUlSP_E0_NS1_11comp_targetILNS1_3genE0ELNS1_11target_archE4294967295ELNS1_3gpuE0ELNS1_3repE0EEENS1_30default_config_static_selectorELNS0_4arch9wavefront6targetE1EEEvT1_
	.globl	_ZN7rocprim17ROCPRIM_400000_NS6detail17trampoline_kernelINS0_14default_configENS1_20scan_config_selectorIiEEZZNS1_9scan_implILNS1_25lookback_scan_determinismE0ELb0ELb0ES3_N6thrust23THRUST_200600_302600_NS6detail15normal_iteratorINS9_10device_ptrIiEEEESE_i19const_ref_plus_mod3IiEiEEDaPvRmT3_T4_T5_mT6_P12ihipStream_tbENKUlT_T0_E_clISt17integral_constantIbLb0EEST_IbLb1EEEEDaSP_SQ_EUlSP_E0_NS1_11comp_targetILNS1_3genE0ELNS1_11target_archE4294967295ELNS1_3gpuE0ELNS1_3repE0EEENS1_30default_config_static_selectorELNS0_4arch9wavefront6targetE1EEEvT1_
	.p2align	8
	.type	_ZN7rocprim17ROCPRIM_400000_NS6detail17trampoline_kernelINS0_14default_configENS1_20scan_config_selectorIiEEZZNS1_9scan_implILNS1_25lookback_scan_determinismE0ELb0ELb0ES3_N6thrust23THRUST_200600_302600_NS6detail15normal_iteratorINS9_10device_ptrIiEEEESE_i19const_ref_plus_mod3IiEiEEDaPvRmT3_T4_T5_mT6_P12ihipStream_tbENKUlT_T0_E_clISt17integral_constantIbLb0EEST_IbLb1EEEEDaSP_SQ_EUlSP_E0_NS1_11comp_targetILNS1_3genE0ELNS1_11target_archE4294967295ELNS1_3gpuE0ELNS1_3repE0EEENS1_30default_config_static_selectorELNS0_4arch9wavefront6targetE1EEEvT1_,@function
_ZN7rocprim17ROCPRIM_400000_NS6detail17trampoline_kernelINS0_14default_configENS1_20scan_config_selectorIiEEZZNS1_9scan_implILNS1_25lookback_scan_determinismE0ELb0ELb0ES3_N6thrust23THRUST_200600_302600_NS6detail15normal_iteratorINS9_10device_ptrIiEEEESE_i19const_ref_plus_mod3IiEiEEDaPvRmT3_T4_T5_mT6_P12ihipStream_tbENKUlT_T0_E_clISt17integral_constantIbLb0EEST_IbLb1EEEEDaSP_SQ_EUlSP_E0_NS1_11comp_targetILNS1_3genE0ELNS1_11target_archE4294967295ELNS1_3gpuE0ELNS1_3repE0EEENS1_30default_config_static_selectorELNS0_4arch9wavefront6targetE1EEEvT1_: ; @_ZN7rocprim17ROCPRIM_400000_NS6detail17trampoline_kernelINS0_14default_configENS1_20scan_config_selectorIiEEZZNS1_9scan_implILNS1_25lookback_scan_determinismE0ELb0ELb0ES3_N6thrust23THRUST_200600_302600_NS6detail15normal_iteratorINS9_10device_ptrIiEEEESE_i19const_ref_plus_mod3IiEiEEDaPvRmT3_T4_T5_mT6_P12ihipStream_tbENKUlT_T0_E_clISt17integral_constantIbLb0EEST_IbLb1EEEEDaSP_SQ_EUlSP_E0_NS1_11comp_targetILNS1_3genE0ELNS1_11target_archE4294967295ELNS1_3gpuE0ELNS1_3repE0EEENS1_30default_config_static_selectorELNS0_4arch9wavefront6targetE1EEEvT1_
; %bb.0:
	.section	.rodata,"a",@progbits
	.p2align	6, 0x0
	.amdhsa_kernel _ZN7rocprim17ROCPRIM_400000_NS6detail17trampoline_kernelINS0_14default_configENS1_20scan_config_selectorIiEEZZNS1_9scan_implILNS1_25lookback_scan_determinismE0ELb0ELb0ES3_N6thrust23THRUST_200600_302600_NS6detail15normal_iteratorINS9_10device_ptrIiEEEESE_i19const_ref_plus_mod3IiEiEEDaPvRmT3_T4_T5_mT6_P12ihipStream_tbENKUlT_T0_E_clISt17integral_constantIbLb0EEST_IbLb1EEEEDaSP_SQ_EUlSP_E0_NS1_11comp_targetILNS1_3genE0ELNS1_11target_archE4294967295ELNS1_3gpuE0ELNS1_3repE0EEENS1_30default_config_static_selectorELNS0_4arch9wavefront6targetE1EEEvT1_
		.amdhsa_group_segment_fixed_size 0
		.amdhsa_private_segment_fixed_size 0
		.amdhsa_kernarg_size 40
		.amdhsa_user_sgpr_count 6
		.amdhsa_user_sgpr_private_segment_buffer 1
		.amdhsa_user_sgpr_dispatch_ptr 0
		.amdhsa_user_sgpr_queue_ptr 0
		.amdhsa_user_sgpr_kernarg_segment_ptr 1
		.amdhsa_user_sgpr_dispatch_id 0
		.amdhsa_user_sgpr_flat_scratch_init 0
		.amdhsa_user_sgpr_kernarg_preload_length 0
		.amdhsa_user_sgpr_kernarg_preload_offset 0
		.amdhsa_user_sgpr_private_segment_size 0
		.amdhsa_uses_dynamic_stack 0
		.amdhsa_system_sgpr_private_segment_wavefront_offset 0
		.amdhsa_system_sgpr_workgroup_id_x 1
		.amdhsa_system_sgpr_workgroup_id_y 0
		.amdhsa_system_sgpr_workgroup_id_z 0
		.amdhsa_system_sgpr_workgroup_info 0
		.amdhsa_system_vgpr_workitem_id 0
		.amdhsa_next_free_vgpr 1
		.amdhsa_next_free_sgpr 0
		.amdhsa_accum_offset 4
		.amdhsa_reserve_vcc 0
		.amdhsa_reserve_flat_scratch 0
		.amdhsa_float_round_mode_32 0
		.amdhsa_float_round_mode_16_64 0
		.amdhsa_float_denorm_mode_32 3
		.amdhsa_float_denorm_mode_16_64 3
		.amdhsa_dx10_clamp 1
		.amdhsa_ieee_mode 1
		.amdhsa_fp16_overflow 0
		.amdhsa_tg_split 0
		.amdhsa_exception_fp_ieee_invalid_op 0
		.amdhsa_exception_fp_denorm_src 0
		.amdhsa_exception_fp_ieee_div_zero 0
		.amdhsa_exception_fp_ieee_overflow 0
		.amdhsa_exception_fp_ieee_underflow 0
		.amdhsa_exception_fp_ieee_inexact 0
		.amdhsa_exception_int_div_zero 0
	.end_amdhsa_kernel
	.section	.text._ZN7rocprim17ROCPRIM_400000_NS6detail17trampoline_kernelINS0_14default_configENS1_20scan_config_selectorIiEEZZNS1_9scan_implILNS1_25lookback_scan_determinismE0ELb0ELb0ES3_N6thrust23THRUST_200600_302600_NS6detail15normal_iteratorINS9_10device_ptrIiEEEESE_i19const_ref_plus_mod3IiEiEEDaPvRmT3_T4_T5_mT6_P12ihipStream_tbENKUlT_T0_E_clISt17integral_constantIbLb0EEST_IbLb1EEEEDaSP_SQ_EUlSP_E0_NS1_11comp_targetILNS1_3genE0ELNS1_11target_archE4294967295ELNS1_3gpuE0ELNS1_3repE0EEENS1_30default_config_static_selectorELNS0_4arch9wavefront6targetE1EEEvT1_,"axG",@progbits,_ZN7rocprim17ROCPRIM_400000_NS6detail17trampoline_kernelINS0_14default_configENS1_20scan_config_selectorIiEEZZNS1_9scan_implILNS1_25lookback_scan_determinismE0ELb0ELb0ES3_N6thrust23THRUST_200600_302600_NS6detail15normal_iteratorINS9_10device_ptrIiEEEESE_i19const_ref_plus_mod3IiEiEEDaPvRmT3_T4_T5_mT6_P12ihipStream_tbENKUlT_T0_E_clISt17integral_constantIbLb0EEST_IbLb1EEEEDaSP_SQ_EUlSP_E0_NS1_11comp_targetILNS1_3genE0ELNS1_11target_archE4294967295ELNS1_3gpuE0ELNS1_3repE0EEENS1_30default_config_static_selectorELNS0_4arch9wavefront6targetE1EEEvT1_,comdat
.Lfunc_end7043:
	.size	_ZN7rocprim17ROCPRIM_400000_NS6detail17trampoline_kernelINS0_14default_configENS1_20scan_config_selectorIiEEZZNS1_9scan_implILNS1_25lookback_scan_determinismE0ELb0ELb0ES3_N6thrust23THRUST_200600_302600_NS6detail15normal_iteratorINS9_10device_ptrIiEEEESE_i19const_ref_plus_mod3IiEiEEDaPvRmT3_T4_T5_mT6_P12ihipStream_tbENKUlT_T0_E_clISt17integral_constantIbLb0EEST_IbLb1EEEEDaSP_SQ_EUlSP_E0_NS1_11comp_targetILNS1_3genE0ELNS1_11target_archE4294967295ELNS1_3gpuE0ELNS1_3repE0EEENS1_30default_config_static_selectorELNS0_4arch9wavefront6targetE1EEEvT1_, .Lfunc_end7043-_ZN7rocprim17ROCPRIM_400000_NS6detail17trampoline_kernelINS0_14default_configENS1_20scan_config_selectorIiEEZZNS1_9scan_implILNS1_25lookback_scan_determinismE0ELb0ELb0ES3_N6thrust23THRUST_200600_302600_NS6detail15normal_iteratorINS9_10device_ptrIiEEEESE_i19const_ref_plus_mod3IiEiEEDaPvRmT3_T4_T5_mT6_P12ihipStream_tbENKUlT_T0_E_clISt17integral_constantIbLb0EEST_IbLb1EEEEDaSP_SQ_EUlSP_E0_NS1_11comp_targetILNS1_3genE0ELNS1_11target_archE4294967295ELNS1_3gpuE0ELNS1_3repE0EEENS1_30default_config_static_selectorELNS0_4arch9wavefront6targetE1EEEvT1_
                                        ; -- End function
	.section	.AMDGPU.csdata,"",@progbits
; Kernel info:
; codeLenInByte = 0
; NumSgprs: 4
; NumVgprs: 0
; NumAgprs: 0
; TotalNumVgprs: 0
; ScratchSize: 0
; MemoryBound: 0
; FloatMode: 240
; IeeeMode: 1
; LDSByteSize: 0 bytes/workgroup (compile time only)
; SGPRBlocks: 0
; VGPRBlocks: 0
; NumSGPRsForWavesPerEU: 4
; NumVGPRsForWavesPerEU: 1
; AccumOffset: 4
; Occupancy: 8
; WaveLimiterHint : 0
; COMPUTE_PGM_RSRC2:SCRATCH_EN: 0
; COMPUTE_PGM_RSRC2:USER_SGPR: 6
; COMPUTE_PGM_RSRC2:TRAP_HANDLER: 0
; COMPUTE_PGM_RSRC2:TGID_X_EN: 1
; COMPUTE_PGM_RSRC2:TGID_Y_EN: 0
; COMPUTE_PGM_RSRC2:TGID_Z_EN: 0
; COMPUTE_PGM_RSRC2:TIDIG_COMP_CNT: 0
; COMPUTE_PGM_RSRC3_GFX90A:ACCUM_OFFSET: 0
; COMPUTE_PGM_RSRC3_GFX90A:TG_SPLIT: 0
	.section	.text._ZN7rocprim17ROCPRIM_400000_NS6detail17trampoline_kernelINS0_14default_configENS1_20scan_config_selectorIiEEZZNS1_9scan_implILNS1_25lookback_scan_determinismE0ELb0ELb0ES3_N6thrust23THRUST_200600_302600_NS6detail15normal_iteratorINS9_10device_ptrIiEEEESE_i19const_ref_plus_mod3IiEiEEDaPvRmT3_T4_T5_mT6_P12ihipStream_tbENKUlT_T0_E_clISt17integral_constantIbLb0EEST_IbLb1EEEEDaSP_SQ_EUlSP_E0_NS1_11comp_targetILNS1_3genE5ELNS1_11target_archE942ELNS1_3gpuE9ELNS1_3repE0EEENS1_30default_config_static_selectorELNS0_4arch9wavefront6targetE1EEEvT1_,"axG",@progbits,_ZN7rocprim17ROCPRIM_400000_NS6detail17trampoline_kernelINS0_14default_configENS1_20scan_config_selectorIiEEZZNS1_9scan_implILNS1_25lookback_scan_determinismE0ELb0ELb0ES3_N6thrust23THRUST_200600_302600_NS6detail15normal_iteratorINS9_10device_ptrIiEEEESE_i19const_ref_plus_mod3IiEiEEDaPvRmT3_T4_T5_mT6_P12ihipStream_tbENKUlT_T0_E_clISt17integral_constantIbLb0EEST_IbLb1EEEEDaSP_SQ_EUlSP_E0_NS1_11comp_targetILNS1_3genE5ELNS1_11target_archE942ELNS1_3gpuE9ELNS1_3repE0EEENS1_30default_config_static_selectorELNS0_4arch9wavefront6targetE1EEEvT1_,comdat
	.protected	_ZN7rocprim17ROCPRIM_400000_NS6detail17trampoline_kernelINS0_14default_configENS1_20scan_config_selectorIiEEZZNS1_9scan_implILNS1_25lookback_scan_determinismE0ELb0ELb0ES3_N6thrust23THRUST_200600_302600_NS6detail15normal_iteratorINS9_10device_ptrIiEEEESE_i19const_ref_plus_mod3IiEiEEDaPvRmT3_T4_T5_mT6_P12ihipStream_tbENKUlT_T0_E_clISt17integral_constantIbLb0EEST_IbLb1EEEEDaSP_SQ_EUlSP_E0_NS1_11comp_targetILNS1_3genE5ELNS1_11target_archE942ELNS1_3gpuE9ELNS1_3repE0EEENS1_30default_config_static_selectorELNS0_4arch9wavefront6targetE1EEEvT1_ ; -- Begin function _ZN7rocprim17ROCPRIM_400000_NS6detail17trampoline_kernelINS0_14default_configENS1_20scan_config_selectorIiEEZZNS1_9scan_implILNS1_25lookback_scan_determinismE0ELb0ELb0ES3_N6thrust23THRUST_200600_302600_NS6detail15normal_iteratorINS9_10device_ptrIiEEEESE_i19const_ref_plus_mod3IiEiEEDaPvRmT3_T4_T5_mT6_P12ihipStream_tbENKUlT_T0_E_clISt17integral_constantIbLb0EEST_IbLb1EEEEDaSP_SQ_EUlSP_E0_NS1_11comp_targetILNS1_3genE5ELNS1_11target_archE942ELNS1_3gpuE9ELNS1_3repE0EEENS1_30default_config_static_selectorELNS0_4arch9wavefront6targetE1EEEvT1_
	.globl	_ZN7rocprim17ROCPRIM_400000_NS6detail17trampoline_kernelINS0_14default_configENS1_20scan_config_selectorIiEEZZNS1_9scan_implILNS1_25lookback_scan_determinismE0ELb0ELb0ES3_N6thrust23THRUST_200600_302600_NS6detail15normal_iteratorINS9_10device_ptrIiEEEESE_i19const_ref_plus_mod3IiEiEEDaPvRmT3_T4_T5_mT6_P12ihipStream_tbENKUlT_T0_E_clISt17integral_constantIbLb0EEST_IbLb1EEEEDaSP_SQ_EUlSP_E0_NS1_11comp_targetILNS1_3genE5ELNS1_11target_archE942ELNS1_3gpuE9ELNS1_3repE0EEENS1_30default_config_static_selectorELNS0_4arch9wavefront6targetE1EEEvT1_
	.p2align	8
	.type	_ZN7rocprim17ROCPRIM_400000_NS6detail17trampoline_kernelINS0_14default_configENS1_20scan_config_selectorIiEEZZNS1_9scan_implILNS1_25lookback_scan_determinismE0ELb0ELb0ES3_N6thrust23THRUST_200600_302600_NS6detail15normal_iteratorINS9_10device_ptrIiEEEESE_i19const_ref_plus_mod3IiEiEEDaPvRmT3_T4_T5_mT6_P12ihipStream_tbENKUlT_T0_E_clISt17integral_constantIbLb0EEST_IbLb1EEEEDaSP_SQ_EUlSP_E0_NS1_11comp_targetILNS1_3genE5ELNS1_11target_archE942ELNS1_3gpuE9ELNS1_3repE0EEENS1_30default_config_static_selectorELNS0_4arch9wavefront6targetE1EEEvT1_,@function
_ZN7rocprim17ROCPRIM_400000_NS6detail17trampoline_kernelINS0_14default_configENS1_20scan_config_selectorIiEEZZNS1_9scan_implILNS1_25lookback_scan_determinismE0ELb0ELb0ES3_N6thrust23THRUST_200600_302600_NS6detail15normal_iteratorINS9_10device_ptrIiEEEESE_i19const_ref_plus_mod3IiEiEEDaPvRmT3_T4_T5_mT6_P12ihipStream_tbENKUlT_T0_E_clISt17integral_constantIbLb0EEST_IbLb1EEEEDaSP_SQ_EUlSP_E0_NS1_11comp_targetILNS1_3genE5ELNS1_11target_archE942ELNS1_3gpuE9ELNS1_3repE0EEENS1_30default_config_static_selectorELNS0_4arch9wavefront6targetE1EEEvT1_: ; @_ZN7rocprim17ROCPRIM_400000_NS6detail17trampoline_kernelINS0_14default_configENS1_20scan_config_selectorIiEEZZNS1_9scan_implILNS1_25lookback_scan_determinismE0ELb0ELb0ES3_N6thrust23THRUST_200600_302600_NS6detail15normal_iteratorINS9_10device_ptrIiEEEESE_i19const_ref_plus_mod3IiEiEEDaPvRmT3_T4_T5_mT6_P12ihipStream_tbENKUlT_T0_E_clISt17integral_constantIbLb0EEST_IbLb1EEEEDaSP_SQ_EUlSP_E0_NS1_11comp_targetILNS1_3genE5ELNS1_11target_archE942ELNS1_3gpuE9ELNS1_3repE0EEENS1_30default_config_static_selectorELNS0_4arch9wavefront6targetE1EEEvT1_
; %bb.0:
	.section	.rodata,"a",@progbits
	.p2align	6, 0x0
	.amdhsa_kernel _ZN7rocprim17ROCPRIM_400000_NS6detail17trampoline_kernelINS0_14default_configENS1_20scan_config_selectorIiEEZZNS1_9scan_implILNS1_25lookback_scan_determinismE0ELb0ELb0ES3_N6thrust23THRUST_200600_302600_NS6detail15normal_iteratorINS9_10device_ptrIiEEEESE_i19const_ref_plus_mod3IiEiEEDaPvRmT3_T4_T5_mT6_P12ihipStream_tbENKUlT_T0_E_clISt17integral_constantIbLb0EEST_IbLb1EEEEDaSP_SQ_EUlSP_E0_NS1_11comp_targetILNS1_3genE5ELNS1_11target_archE942ELNS1_3gpuE9ELNS1_3repE0EEENS1_30default_config_static_selectorELNS0_4arch9wavefront6targetE1EEEvT1_
		.amdhsa_group_segment_fixed_size 0
		.amdhsa_private_segment_fixed_size 0
		.amdhsa_kernarg_size 40
		.amdhsa_user_sgpr_count 6
		.amdhsa_user_sgpr_private_segment_buffer 1
		.amdhsa_user_sgpr_dispatch_ptr 0
		.amdhsa_user_sgpr_queue_ptr 0
		.amdhsa_user_sgpr_kernarg_segment_ptr 1
		.amdhsa_user_sgpr_dispatch_id 0
		.amdhsa_user_sgpr_flat_scratch_init 0
		.amdhsa_user_sgpr_kernarg_preload_length 0
		.amdhsa_user_sgpr_kernarg_preload_offset 0
		.amdhsa_user_sgpr_private_segment_size 0
		.amdhsa_uses_dynamic_stack 0
		.amdhsa_system_sgpr_private_segment_wavefront_offset 0
		.amdhsa_system_sgpr_workgroup_id_x 1
		.amdhsa_system_sgpr_workgroup_id_y 0
		.amdhsa_system_sgpr_workgroup_id_z 0
		.amdhsa_system_sgpr_workgroup_info 0
		.amdhsa_system_vgpr_workitem_id 0
		.amdhsa_next_free_vgpr 1
		.amdhsa_next_free_sgpr 0
		.amdhsa_accum_offset 4
		.amdhsa_reserve_vcc 0
		.amdhsa_reserve_flat_scratch 0
		.amdhsa_float_round_mode_32 0
		.amdhsa_float_round_mode_16_64 0
		.amdhsa_float_denorm_mode_32 3
		.amdhsa_float_denorm_mode_16_64 3
		.amdhsa_dx10_clamp 1
		.amdhsa_ieee_mode 1
		.amdhsa_fp16_overflow 0
		.amdhsa_tg_split 0
		.amdhsa_exception_fp_ieee_invalid_op 0
		.amdhsa_exception_fp_denorm_src 0
		.amdhsa_exception_fp_ieee_div_zero 0
		.amdhsa_exception_fp_ieee_overflow 0
		.amdhsa_exception_fp_ieee_underflow 0
		.amdhsa_exception_fp_ieee_inexact 0
		.amdhsa_exception_int_div_zero 0
	.end_amdhsa_kernel
	.section	.text._ZN7rocprim17ROCPRIM_400000_NS6detail17trampoline_kernelINS0_14default_configENS1_20scan_config_selectorIiEEZZNS1_9scan_implILNS1_25lookback_scan_determinismE0ELb0ELb0ES3_N6thrust23THRUST_200600_302600_NS6detail15normal_iteratorINS9_10device_ptrIiEEEESE_i19const_ref_plus_mod3IiEiEEDaPvRmT3_T4_T5_mT6_P12ihipStream_tbENKUlT_T0_E_clISt17integral_constantIbLb0EEST_IbLb1EEEEDaSP_SQ_EUlSP_E0_NS1_11comp_targetILNS1_3genE5ELNS1_11target_archE942ELNS1_3gpuE9ELNS1_3repE0EEENS1_30default_config_static_selectorELNS0_4arch9wavefront6targetE1EEEvT1_,"axG",@progbits,_ZN7rocprim17ROCPRIM_400000_NS6detail17trampoline_kernelINS0_14default_configENS1_20scan_config_selectorIiEEZZNS1_9scan_implILNS1_25lookback_scan_determinismE0ELb0ELb0ES3_N6thrust23THRUST_200600_302600_NS6detail15normal_iteratorINS9_10device_ptrIiEEEESE_i19const_ref_plus_mod3IiEiEEDaPvRmT3_T4_T5_mT6_P12ihipStream_tbENKUlT_T0_E_clISt17integral_constantIbLb0EEST_IbLb1EEEEDaSP_SQ_EUlSP_E0_NS1_11comp_targetILNS1_3genE5ELNS1_11target_archE942ELNS1_3gpuE9ELNS1_3repE0EEENS1_30default_config_static_selectorELNS0_4arch9wavefront6targetE1EEEvT1_,comdat
.Lfunc_end7044:
	.size	_ZN7rocprim17ROCPRIM_400000_NS6detail17trampoline_kernelINS0_14default_configENS1_20scan_config_selectorIiEEZZNS1_9scan_implILNS1_25lookback_scan_determinismE0ELb0ELb0ES3_N6thrust23THRUST_200600_302600_NS6detail15normal_iteratorINS9_10device_ptrIiEEEESE_i19const_ref_plus_mod3IiEiEEDaPvRmT3_T4_T5_mT6_P12ihipStream_tbENKUlT_T0_E_clISt17integral_constantIbLb0EEST_IbLb1EEEEDaSP_SQ_EUlSP_E0_NS1_11comp_targetILNS1_3genE5ELNS1_11target_archE942ELNS1_3gpuE9ELNS1_3repE0EEENS1_30default_config_static_selectorELNS0_4arch9wavefront6targetE1EEEvT1_, .Lfunc_end7044-_ZN7rocprim17ROCPRIM_400000_NS6detail17trampoline_kernelINS0_14default_configENS1_20scan_config_selectorIiEEZZNS1_9scan_implILNS1_25lookback_scan_determinismE0ELb0ELb0ES3_N6thrust23THRUST_200600_302600_NS6detail15normal_iteratorINS9_10device_ptrIiEEEESE_i19const_ref_plus_mod3IiEiEEDaPvRmT3_T4_T5_mT6_P12ihipStream_tbENKUlT_T0_E_clISt17integral_constantIbLb0EEST_IbLb1EEEEDaSP_SQ_EUlSP_E0_NS1_11comp_targetILNS1_3genE5ELNS1_11target_archE942ELNS1_3gpuE9ELNS1_3repE0EEENS1_30default_config_static_selectorELNS0_4arch9wavefront6targetE1EEEvT1_
                                        ; -- End function
	.section	.AMDGPU.csdata,"",@progbits
; Kernel info:
; codeLenInByte = 0
; NumSgprs: 4
; NumVgprs: 0
; NumAgprs: 0
; TotalNumVgprs: 0
; ScratchSize: 0
; MemoryBound: 0
; FloatMode: 240
; IeeeMode: 1
; LDSByteSize: 0 bytes/workgroup (compile time only)
; SGPRBlocks: 0
; VGPRBlocks: 0
; NumSGPRsForWavesPerEU: 4
; NumVGPRsForWavesPerEU: 1
; AccumOffset: 4
; Occupancy: 8
; WaveLimiterHint : 0
; COMPUTE_PGM_RSRC2:SCRATCH_EN: 0
; COMPUTE_PGM_RSRC2:USER_SGPR: 6
; COMPUTE_PGM_RSRC2:TRAP_HANDLER: 0
; COMPUTE_PGM_RSRC2:TGID_X_EN: 1
; COMPUTE_PGM_RSRC2:TGID_Y_EN: 0
; COMPUTE_PGM_RSRC2:TGID_Z_EN: 0
; COMPUTE_PGM_RSRC2:TIDIG_COMP_CNT: 0
; COMPUTE_PGM_RSRC3_GFX90A:ACCUM_OFFSET: 0
; COMPUTE_PGM_RSRC3_GFX90A:TG_SPLIT: 0
	.section	.text._ZN7rocprim17ROCPRIM_400000_NS6detail17trampoline_kernelINS0_14default_configENS1_20scan_config_selectorIiEEZZNS1_9scan_implILNS1_25lookback_scan_determinismE0ELb0ELb0ES3_N6thrust23THRUST_200600_302600_NS6detail15normal_iteratorINS9_10device_ptrIiEEEESE_i19const_ref_plus_mod3IiEiEEDaPvRmT3_T4_T5_mT6_P12ihipStream_tbENKUlT_T0_E_clISt17integral_constantIbLb0EEST_IbLb1EEEEDaSP_SQ_EUlSP_E0_NS1_11comp_targetILNS1_3genE4ELNS1_11target_archE910ELNS1_3gpuE8ELNS1_3repE0EEENS1_30default_config_static_selectorELNS0_4arch9wavefront6targetE1EEEvT1_,"axG",@progbits,_ZN7rocprim17ROCPRIM_400000_NS6detail17trampoline_kernelINS0_14default_configENS1_20scan_config_selectorIiEEZZNS1_9scan_implILNS1_25lookback_scan_determinismE0ELb0ELb0ES3_N6thrust23THRUST_200600_302600_NS6detail15normal_iteratorINS9_10device_ptrIiEEEESE_i19const_ref_plus_mod3IiEiEEDaPvRmT3_T4_T5_mT6_P12ihipStream_tbENKUlT_T0_E_clISt17integral_constantIbLb0EEST_IbLb1EEEEDaSP_SQ_EUlSP_E0_NS1_11comp_targetILNS1_3genE4ELNS1_11target_archE910ELNS1_3gpuE8ELNS1_3repE0EEENS1_30default_config_static_selectorELNS0_4arch9wavefront6targetE1EEEvT1_,comdat
	.protected	_ZN7rocprim17ROCPRIM_400000_NS6detail17trampoline_kernelINS0_14default_configENS1_20scan_config_selectorIiEEZZNS1_9scan_implILNS1_25lookback_scan_determinismE0ELb0ELb0ES3_N6thrust23THRUST_200600_302600_NS6detail15normal_iteratorINS9_10device_ptrIiEEEESE_i19const_ref_plus_mod3IiEiEEDaPvRmT3_T4_T5_mT6_P12ihipStream_tbENKUlT_T0_E_clISt17integral_constantIbLb0EEST_IbLb1EEEEDaSP_SQ_EUlSP_E0_NS1_11comp_targetILNS1_3genE4ELNS1_11target_archE910ELNS1_3gpuE8ELNS1_3repE0EEENS1_30default_config_static_selectorELNS0_4arch9wavefront6targetE1EEEvT1_ ; -- Begin function _ZN7rocprim17ROCPRIM_400000_NS6detail17trampoline_kernelINS0_14default_configENS1_20scan_config_selectorIiEEZZNS1_9scan_implILNS1_25lookback_scan_determinismE0ELb0ELb0ES3_N6thrust23THRUST_200600_302600_NS6detail15normal_iteratorINS9_10device_ptrIiEEEESE_i19const_ref_plus_mod3IiEiEEDaPvRmT3_T4_T5_mT6_P12ihipStream_tbENKUlT_T0_E_clISt17integral_constantIbLb0EEST_IbLb1EEEEDaSP_SQ_EUlSP_E0_NS1_11comp_targetILNS1_3genE4ELNS1_11target_archE910ELNS1_3gpuE8ELNS1_3repE0EEENS1_30default_config_static_selectorELNS0_4arch9wavefront6targetE1EEEvT1_
	.globl	_ZN7rocprim17ROCPRIM_400000_NS6detail17trampoline_kernelINS0_14default_configENS1_20scan_config_selectorIiEEZZNS1_9scan_implILNS1_25lookback_scan_determinismE0ELb0ELb0ES3_N6thrust23THRUST_200600_302600_NS6detail15normal_iteratorINS9_10device_ptrIiEEEESE_i19const_ref_plus_mod3IiEiEEDaPvRmT3_T4_T5_mT6_P12ihipStream_tbENKUlT_T0_E_clISt17integral_constantIbLb0EEST_IbLb1EEEEDaSP_SQ_EUlSP_E0_NS1_11comp_targetILNS1_3genE4ELNS1_11target_archE910ELNS1_3gpuE8ELNS1_3repE0EEENS1_30default_config_static_selectorELNS0_4arch9wavefront6targetE1EEEvT1_
	.p2align	8
	.type	_ZN7rocprim17ROCPRIM_400000_NS6detail17trampoline_kernelINS0_14default_configENS1_20scan_config_selectorIiEEZZNS1_9scan_implILNS1_25lookback_scan_determinismE0ELb0ELb0ES3_N6thrust23THRUST_200600_302600_NS6detail15normal_iteratorINS9_10device_ptrIiEEEESE_i19const_ref_plus_mod3IiEiEEDaPvRmT3_T4_T5_mT6_P12ihipStream_tbENKUlT_T0_E_clISt17integral_constantIbLb0EEST_IbLb1EEEEDaSP_SQ_EUlSP_E0_NS1_11comp_targetILNS1_3genE4ELNS1_11target_archE910ELNS1_3gpuE8ELNS1_3repE0EEENS1_30default_config_static_selectorELNS0_4arch9wavefront6targetE1EEEvT1_,@function
_ZN7rocprim17ROCPRIM_400000_NS6detail17trampoline_kernelINS0_14default_configENS1_20scan_config_selectorIiEEZZNS1_9scan_implILNS1_25lookback_scan_determinismE0ELb0ELb0ES3_N6thrust23THRUST_200600_302600_NS6detail15normal_iteratorINS9_10device_ptrIiEEEESE_i19const_ref_plus_mod3IiEiEEDaPvRmT3_T4_T5_mT6_P12ihipStream_tbENKUlT_T0_E_clISt17integral_constantIbLb0EEST_IbLb1EEEEDaSP_SQ_EUlSP_E0_NS1_11comp_targetILNS1_3genE4ELNS1_11target_archE910ELNS1_3gpuE8ELNS1_3repE0EEENS1_30default_config_static_selectorELNS0_4arch9wavefront6targetE1EEEvT1_: ; @_ZN7rocprim17ROCPRIM_400000_NS6detail17trampoline_kernelINS0_14default_configENS1_20scan_config_selectorIiEEZZNS1_9scan_implILNS1_25lookback_scan_determinismE0ELb0ELb0ES3_N6thrust23THRUST_200600_302600_NS6detail15normal_iteratorINS9_10device_ptrIiEEEESE_i19const_ref_plus_mod3IiEiEEDaPvRmT3_T4_T5_mT6_P12ihipStream_tbENKUlT_T0_E_clISt17integral_constantIbLb0EEST_IbLb1EEEEDaSP_SQ_EUlSP_E0_NS1_11comp_targetILNS1_3genE4ELNS1_11target_archE910ELNS1_3gpuE8ELNS1_3repE0EEENS1_30default_config_static_selectorELNS0_4arch9wavefront6targetE1EEEvT1_
; %bb.0:
	s_load_dwordx4 s[24:27], s[4:5], 0x0
	v_lshlrev_b32_e32 v16, 2, v0
	s_waitcnt lgkmcnt(0)
	s_load_dword s27, s[24:25], 0x0
	v_cmp_gt_u32_e32 vcc, s26, v0
	s_waitcnt lgkmcnt(0)
	v_mov_b32_e32 v1, s27
	s_and_saveexec_b64 s[0:1], vcc
	s_cbranch_execz .LBB7045_2
; %bb.1:
	global_load_dword v1, v16, s[24:25]
.LBB7045_2:
	s_or_b64 exec, exec, s[0:1]
	v_or_b32_e32 v2, 0x80, v0
	v_cmp_gt_u32_e64 s[0:1], s26, v2
	v_mov_b32_e32 v2, s27
	s_and_saveexec_b64 s[2:3], s[0:1]
	s_cbranch_execz .LBB7045_4
; %bb.3:
	global_load_dword v2, v16, s[24:25] offset:512
.LBB7045_4:
	s_or_b64 exec, exec, s[2:3]
	v_or_b32_e32 v3, 0x100, v0
	v_cmp_gt_u32_e64 s[2:3], s26, v3
	v_mov_b32_e32 v3, s27
	s_and_saveexec_b64 s[6:7], s[2:3]
	s_cbranch_execz .LBB7045_6
; %bb.5:
	global_load_dword v3, v16, s[24:25] offset:1024
.LBB7045_6:
	;; [unrolled: 9-line block ×7, first 2 shown]
	s_or_b64 exec, exec, s[14:15]
	v_or_b32_e32 v10, 0x400, v0
	v_cmp_gt_u32_e64 s[14:15], s26, v10
	v_mov_b32_e32 v9, s27
	s_and_saveexec_b64 s[16:17], s[14:15]
	s_cbranch_execz .LBB7045_18
; %bb.17:
	v_lshlrev_b32_e32 v9, 2, v10
	global_load_dword v9, v9, s[24:25]
.LBB7045_18:
	s_or_b64 exec, exec, s[16:17]
	s_load_dwordx4 s[20:23], s[4:5], 0x18
	v_or_b32_e32 v11, 0x480, v0
	v_cmp_gt_u32_e64 s[16:17], s26, v11
	v_mov_b32_e32 v10, s27
	s_and_saveexec_b64 s[4:5], s[16:17]
	s_cbranch_execz .LBB7045_20
; %bb.19:
	v_lshlrev_b32_e32 v10, 2, v11
	global_load_dword v10, v10, s[24:25]
.LBB7045_20:
	s_or_b64 exec, exec, s[4:5]
	s_waitcnt vmcnt(0)
	ds_write2st64_b32 v16, v1, v2 offset1:2
	ds_write2st64_b32 v16, v3, v4 offset0:4 offset1:6
	ds_write2st64_b32 v16, v5, v6 offset0:8 offset1:10
	;; [unrolled: 1-line block ×4, first 2 shown]
	v_mad_u32_u24 v1, v0, 36, v16
	s_waitcnt lgkmcnt(0)
	s_barrier
	ds_read2_b64 v[2:5], v1 offset1:1
	ds_read2_b64 v[6:9], v1 offset0:2 offset1:3
	ds_read_b64 v[10:11], v1 offset:32
	v_mov_b32_e32 v1, s21
	s_waitcnt lgkmcnt(0)
	v_add_u32_e32 v12, v3, v2
	v_ashrrev_i32_e32 v13, 31, v12
	v_lshlrev_b64 v[14:15], 2, v[12:13]
	v_add_co_u32_e64 v14, s[4:5], s20, v14
	v_addc_co_u32_e64 v15, s[4:5], v1, v15, s[4:5]
	s_barrier
	global_load_dword v1, v[14:15], off
	v_mov_b32_e32 v17, s21
	s_waitcnt vmcnt(0)
	v_add_u32_e32 v14, v1, v4
	v_ashrrev_i32_e32 v15, 31, v14
	v_lshlrev_b64 v[14:15], 2, v[14:15]
	v_add_co_u32_e64 v14, s[4:5], s20, v14
	v_addc_co_u32_e64 v15, s[4:5], v17, v15, s[4:5]
	global_load_dword v1, v[14:15], off
	s_waitcnt vmcnt(0)
	v_add_u32_e32 v14, v1, v5
	v_ashrrev_i32_e32 v15, 31, v14
	v_lshlrev_b64 v[14:15], 2, v[14:15]
	v_add_co_u32_e64 v14, s[4:5], s20, v14
	v_addc_co_u32_e64 v15, s[4:5], v17, v15, s[4:5]
	global_load_dword v1, v[14:15], off
	;; [unrolled: 7-line block ×8, first 2 shown]
	v_lshrrev_b32_e32 v14, 3, v0
	v_and_b32_e32 v14, 12, v14
	v_add_u32_e32 v14, v16, v14
	v_cmp_gt_u32_e64 s[4:5], 64, v0
	s_waitcnt vmcnt(0)
	ds_write_b32 v14, v1
	s_waitcnt lgkmcnt(0)
	s_barrier
	s_and_saveexec_b64 s[24:25], s[4:5]
	s_cbranch_execz .LBB7045_34
; %bb.21:
	v_lshlrev_b32_e32 v14, 1, v0
	v_lshrrev_b32_e32 v15, 4, v0
	v_add_lshl_u32 v17, v15, v14, 2
	ds_read2_b32 v[14:15], v17 offset1:1
	v_mov_b32_e32 v20, s21
	s_waitcnt lgkmcnt(0)
	v_add_u32_e32 v18, v15, v14
	v_ashrrev_i32_e32 v19, 31, v18
	v_lshlrev_b64 v[18:19], 2, v[18:19]
	v_add_co_u32_e64 v18, s[4:5], s20, v18
	v_addc_co_u32_e64 v19, s[4:5], v20, v19, s[4:5]
	global_load_dword v18, v[18:19], off
	v_mbcnt_lo_u32_b32 v15, -1, 0
	v_mbcnt_hi_u32_b32 v15, -1, v15
	v_and_b32_e32 v19, 15, v15
	v_cmp_ne_u32_e64 s[4:5], 0, v19
	s_waitcnt vmcnt(0)
	v_mov_b32_dpp v20, v18 row_shr:1 row_mask:0xf bank_mask:0xf
	s_and_saveexec_b64 s[26:27], s[4:5]
	s_cbranch_execz .LBB7045_23
; %bb.22:
	v_add_u32_e32 v20, v20, v18
	v_ashrrev_i32_e32 v21, 31, v20
	v_lshlrev_b64 v[20:21], 2, v[20:21]
	v_mov_b32_e32 v18, s21
	v_add_co_u32_e64 v20, s[4:5], s20, v20
	v_addc_co_u32_e64 v21, s[4:5], v18, v21, s[4:5]
	global_load_dword v18, v[20:21], off
.LBB7045_23:
	s_or_b64 exec, exec, s[26:27]
	s_waitcnt vmcnt(0)
	v_mov_b32_dpp v20, v18 row_shr:2 row_mask:0xf bank_mask:0xf
	v_cmp_lt_u32_e64 s[4:5], 1, v19
	s_and_saveexec_b64 s[26:27], s[4:5]
	s_cbranch_execz .LBB7045_25
; %bb.24:
	v_add_u32_e32 v20, v20, v18
	v_ashrrev_i32_e32 v21, 31, v20
	v_lshlrev_b64 v[20:21], 2, v[20:21]
	v_mov_b32_e32 v18, s21
	v_add_co_u32_e64 v20, s[4:5], s20, v20
	v_addc_co_u32_e64 v21, s[4:5], v18, v21, s[4:5]
	global_load_dword v18, v[20:21], off
.LBB7045_25:
	s_or_b64 exec, exec, s[26:27]
	s_waitcnt vmcnt(0)
	v_mov_b32_dpp v20, v18 row_shr:4 row_mask:0xf bank_mask:0xf
	v_cmp_lt_u32_e64 s[4:5], 3, v19
	;; [unrolled: 15-line block ×3, first 2 shown]
	s_and_saveexec_b64 s[26:27], s[4:5]
	s_cbranch_execz .LBB7045_29
; %bb.28:
	v_add_u32_e32 v18, v20, v18
	v_ashrrev_i32_e32 v19, 31, v18
	v_lshlrev_b64 v[18:19], 2, v[18:19]
	v_mov_b32_e32 v20, s21
	v_add_co_u32_e64 v18, s[4:5], s20, v18
	v_addc_co_u32_e64 v19, s[4:5], v20, v19, s[4:5]
	global_load_dword v18, v[18:19], off
.LBB7045_29:
	s_or_b64 exec, exec, s[26:27]
	v_and_b32_e32 v20, 16, v15
	s_waitcnt vmcnt(0)
	v_mov_b32_dpp v19, v18 row_bcast:15 row_mask:0xf bank_mask:0xf
	v_cmp_ne_u32_e64 s[4:5], 0, v20
	s_and_saveexec_b64 s[26:27], s[4:5]
	s_cbranch_execz .LBB7045_31
; %bb.30:
	v_add_u32_e32 v18, v19, v18
	v_ashrrev_i32_e32 v19, 31, v18
	v_lshlrev_b64 v[18:19], 2, v[18:19]
	v_mov_b32_e32 v20, s21
	v_add_co_u32_e64 v18, s[4:5], s20, v18
	v_addc_co_u32_e64 v19, s[4:5], v20, v19, s[4:5]
	global_load_dword v18, v[18:19], off
.LBB7045_31:
	s_or_b64 exec, exec, s[26:27]
	s_waitcnt vmcnt(0)
	v_mov_b32_dpp v19, v18 row_bcast:31 row_mask:0xf bank_mask:0xf
	v_cmp_lt_u32_e64 s[4:5], 31, v15
	s_and_saveexec_b64 s[26:27], s[4:5]
	s_cbranch_execz .LBB7045_33
; %bb.32:
	v_add_u32_e32 v18, v19, v18
	v_ashrrev_i32_e32 v19, 31, v18
	v_lshlrev_b64 v[18:19], 2, v[18:19]
	v_mov_b32_e32 v20, s21
	v_add_co_u32_e64 v18, s[4:5], s20, v18
	v_addc_co_u32_e64 v19, s[4:5], v20, v19, s[4:5]
	global_load_dword v18, v[18:19], off
.LBB7045_33:
	s_or_b64 exec, exec, s[26:27]
	v_add_u32_e32 v19, -1, v15
	v_and_b32_e32 v20, 64, v15
	v_cmp_lt_i32_e64 s[4:5], v19, v20
	v_cndmask_b32_e64 v15, v19, v15, s[4:5]
	v_lshlrev_b32_e32 v15, 2, v15
	s_waitcnt vmcnt(0)
	ds_bpermute_b32 v15, v15, v18
	v_mov_b32_e32 v18, s21
	s_waitcnt lgkmcnt(0)
	v_add_u32_e32 v14, v15, v14
	v_ashrrev_i32_e32 v15, 31, v14
	v_lshlrev_b64 v[14:15], 2, v[14:15]
	v_add_co_u32_e64 v14, s[4:5], s20, v14
	v_addc_co_u32_e64 v15, s[4:5], v18, v15, s[4:5]
	global_load_dword v14, v[14:15], off
	v_cmp_eq_u32_e64 s[4:5], 0, v0
	; wave barrier
	s_waitcnt vmcnt(0)
	v_cndmask_b32_e64 v14, v14, v1, s[4:5]
	ds_write_b32 v17, v14
	; wave barrier
	ds_read_b32 v15, v17 offset:4
	s_waitcnt lgkmcnt(0)
	v_add_u32_e32 v14, v15, v14
	v_ashrrev_i32_e32 v15, 31, v14
	v_lshlrev_b64 v[14:15], 2, v[14:15]
	v_add_co_u32_e64 v14, s[4:5], s20, v14
	v_addc_co_u32_e64 v15, s[4:5], v18, v15, s[4:5]
	global_load_dword v14, v[14:15], off
	s_waitcnt vmcnt(0)
	ds_write_b32 v17, v14 offset:4
.LBB7045_34:
	s_or_b64 exec, exec, s[24:25]
	v_mul_u32_u24_e32 v14, 36, v0
	v_cmp_ne_u32_e64 s[4:5], 0, v0
	s_waitcnt lgkmcnt(0)
	s_barrier
	s_and_saveexec_b64 s[24:25], s[4:5]
	s_cbranch_execz .LBB7045_36
; %bb.35:
	v_add_u32_e32 v0, -1, v0
	v_lshrrev_b32_e32 v1, 5, v0
	v_add_lshl_u32 v0, v1, v0, 2
	ds_read_b32 v1, v0
.LBB7045_36:
	s_or_b64 exec, exec, s[24:25]
	s_and_saveexec_b64 s[24:25], s[4:5]
	s_cbranch_execz .LBB7045_38
; %bb.37:
	s_waitcnt lgkmcnt(0)
	v_add_u32_e32 v0, v1, v2
	v_ashrrev_i32_e32 v1, 31, v0
	v_lshlrev_b64 v[0:1], 2, v[0:1]
	v_mov_b32_e32 v2, s21
	v_add_co_u32_e64 v0, s[4:5], s20, v0
	v_addc_co_u32_e64 v1, s[4:5], v2, v1, s[4:5]
	global_load_dword v2, v[0:1], off
	;;#ASMSTART
	;;#ASMEND
	s_waitcnt vmcnt(0)
	v_add_u32_e32 v12, v2, v3
	v_ashrrev_i32_e32 v13, 31, v12
.LBB7045_38:
	s_or_b64 exec, exec, s[24:25]
	s_waitcnt lgkmcnt(0)
	v_lshlrev_b64 v[0:1], 2, v[12:13]
	v_mov_b32_e32 v3, s21
	v_add_co_u32_e64 v0, s[4:5], s20, v0
	v_addc_co_u32_e64 v1, s[4:5], v3, v1, s[4:5]
	global_load_dword v12, v[0:1], off
	s_waitcnt vmcnt(0)
	v_add_u32_e32 v0, v12, v4
	v_ashrrev_i32_e32 v1, 31, v0
	v_lshlrev_b64 v[0:1], 2, v[0:1]
	v_add_co_u32_e64 v0, s[4:5], s20, v0
	v_addc_co_u32_e64 v1, s[4:5], v3, v1, s[4:5]
	global_load_dword v4, v[0:1], off
	s_waitcnt vmcnt(0)
	v_add_u32_e32 v0, v4, v5
	v_ashrrev_i32_e32 v1, 31, v0
	v_lshlrev_b64 v[0:1], 2, v[0:1]
	;; [unrolled: 7-line block ×8, first 2 shown]
	v_add_co_u32_e64 v0, s[4:5], s20, v0
	v_addc_co_u32_e64 v1, s[4:5], v3, v1, s[4:5]
	global_load_dword v0, v[0:1], off
	v_add_u32_e32 v1, v16, v14
	s_barrier
	ds_write2_b32 v1, v12, v4 offset0:1 offset1:2
	ds_write2_b32 v1, v5, v6 offset0:3 offset1:4
	;; [unrolled: 1-line block ×4, first 2 shown]
	s_waitcnt vmcnt(0)
	ds_write2_b32 v1, v2, v0 offset1:9
	s_waitcnt lgkmcnt(0)
	s_barrier
	ds_read2st64_b32 v[8:9], v16 offset0:2 offset1:4
	ds_read2st64_b32 v[6:7], v16 offset0:6 offset1:8
	;; [unrolled: 1-line block ×4, first 2 shown]
	ds_read_b32 v10, v16 offset:4608
	v_mov_b32_e32 v1, s23
	v_add_co_u32_e64 v0, s[4:5], s22, v16
	v_addc_co_u32_e64 v1, s[4:5], 0, v1, s[4:5]
	s_and_saveexec_b64 s[4:5], vcc
	s_cbranch_execnz .LBB7045_49
; %bb.39:
	s_or_b64 exec, exec, s[4:5]
	s_and_saveexec_b64 s[4:5], s[0:1]
	s_cbranch_execnz .LBB7045_50
.LBB7045_40:
	s_or_b64 exec, exec, s[4:5]
	s_and_saveexec_b64 s[0:1], s[2:3]
	s_cbranch_execnz .LBB7045_51
.LBB7045_41:
	s_or_b64 exec, exec, s[0:1]
	s_and_saveexec_b64 s[0:1], s[18:19]
	s_cbranch_execnz .LBB7045_52
.LBB7045_42:
	s_or_b64 exec, exec, s[0:1]
	s_and_saveexec_b64 s[0:1], s[6:7]
	s_cbranch_execnz .LBB7045_53
.LBB7045_43:
	s_or_b64 exec, exec, s[0:1]
	s_and_saveexec_b64 s[0:1], s[8:9]
	s_cbranch_execnz .LBB7045_54
.LBB7045_44:
	s_or_b64 exec, exec, s[0:1]
	s_and_saveexec_b64 s[0:1], s[10:11]
	s_cbranch_execnz .LBB7045_55
.LBB7045_45:
	s_or_b64 exec, exec, s[0:1]
	s_and_saveexec_b64 s[0:1], s[12:13]
	s_cbranch_execnz .LBB7045_56
.LBB7045_46:
	s_or_b64 exec, exec, s[0:1]
	s_and_saveexec_b64 s[0:1], s[14:15]
	s_cbranch_execnz .LBB7045_57
.LBB7045_47:
	s_or_b64 exec, exec, s[0:1]
	s_and_saveexec_b64 s[0:1], s[16:17]
	s_cbranch_execnz .LBB7045_58
.LBB7045_48:
	s_endpgm
.LBB7045_49:
	ds_read_b32 v11, v16
	s_waitcnt lgkmcnt(0)
	global_store_dword v[0:1], v11, off
	s_or_b64 exec, exec, s[4:5]
	s_and_saveexec_b64 s[4:5], s[0:1]
	s_cbranch_execz .LBB7045_40
.LBB7045_50:
	s_waitcnt lgkmcnt(4)
	global_store_dword v[0:1], v8, off offset:512
	s_or_b64 exec, exec, s[4:5]
	s_and_saveexec_b64 s[0:1], s[2:3]
	s_cbranch_execz .LBB7045_41
.LBB7045_51:
	s_waitcnt lgkmcnt(4)
	global_store_dword v[0:1], v9, off offset:1024
	s_or_b64 exec, exec, s[0:1]
	s_and_saveexec_b64 s[0:1], s[18:19]
	s_cbranch_execz .LBB7045_42
.LBB7045_52:
	s_waitcnt lgkmcnt(3)
	global_store_dword v[0:1], v6, off offset:1536
	s_or_b64 exec, exec, s[0:1]
	s_and_saveexec_b64 s[0:1], s[6:7]
	s_cbranch_execz .LBB7045_43
.LBB7045_53:
	s_waitcnt lgkmcnt(3)
	global_store_dword v[0:1], v7, off offset:2048
	s_or_b64 exec, exec, s[0:1]
	s_and_saveexec_b64 s[0:1], s[8:9]
	s_cbranch_execz .LBB7045_44
.LBB7045_54:
	s_waitcnt lgkmcnt(2)
	global_store_dword v[0:1], v4, off offset:2560
	s_or_b64 exec, exec, s[0:1]
	s_and_saveexec_b64 s[0:1], s[10:11]
	s_cbranch_execz .LBB7045_45
.LBB7045_55:
	s_waitcnt lgkmcnt(2)
	global_store_dword v[0:1], v5, off offset:3072
	s_or_b64 exec, exec, s[0:1]
	s_and_saveexec_b64 s[0:1], s[12:13]
	s_cbranch_execz .LBB7045_46
.LBB7045_56:
	s_waitcnt lgkmcnt(1)
	global_store_dword v[0:1], v2, off offset:3584
	s_or_b64 exec, exec, s[0:1]
	s_and_saveexec_b64 s[0:1], s[14:15]
	s_cbranch_execz .LBB7045_47
.LBB7045_57:
	s_waitcnt lgkmcnt(2)
	v_add_co_u32_e32 v4, vcc, 0x1000, v0
	v_addc_co_u32_e32 v5, vcc, 0, v1, vcc
	s_waitcnt lgkmcnt(1)
	global_store_dword v[4:5], v3, off
	s_or_b64 exec, exec, s[0:1]
	s_and_saveexec_b64 s[0:1], s[16:17]
	s_cbranch_execz .LBB7045_48
.LBB7045_58:
	v_add_co_u32_e32 v0, vcc, 0x1000, v0
	v_addc_co_u32_e32 v1, vcc, 0, v1, vcc
	s_waitcnt lgkmcnt(0)
	global_store_dword v[0:1], v10, off offset:512
	s_endpgm
	.section	.rodata,"a",@progbits
	.p2align	6, 0x0
	.amdhsa_kernel _ZN7rocprim17ROCPRIM_400000_NS6detail17trampoline_kernelINS0_14default_configENS1_20scan_config_selectorIiEEZZNS1_9scan_implILNS1_25lookback_scan_determinismE0ELb0ELb0ES3_N6thrust23THRUST_200600_302600_NS6detail15normal_iteratorINS9_10device_ptrIiEEEESE_i19const_ref_plus_mod3IiEiEEDaPvRmT3_T4_T5_mT6_P12ihipStream_tbENKUlT_T0_E_clISt17integral_constantIbLb0EEST_IbLb1EEEEDaSP_SQ_EUlSP_E0_NS1_11comp_targetILNS1_3genE4ELNS1_11target_archE910ELNS1_3gpuE8ELNS1_3repE0EEENS1_30default_config_static_selectorELNS0_4arch9wavefront6targetE1EEEvT1_
		.amdhsa_group_segment_fixed_size 5120
		.amdhsa_private_segment_fixed_size 0
		.amdhsa_kernarg_size 40
		.amdhsa_user_sgpr_count 6
		.amdhsa_user_sgpr_private_segment_buffer 1
		.amdhsa_user_sgpr_dispatch_ptr 0
		.amdhsa_user_sgpr_queue_ptr 0
		.amdhsa_user_sgpr_kernarg_segment_ptr 1
		.amdhsa_user_sgpr_dispatch_id 0
		.amdhsa_user_sgpr_flat_scratch_init 0
		.amdhsa_user_sgpr_kernarg_preload_length 0
		.amdhsa_user_sgpr_kernarg_preload_offset 0
		.amdhsa_user_sgpr_private_segment_size 0
		.amdhsa_uses_dynamic_stack 0
		.amdhsa_system_sgpr_private_segment_wavefront_offset 0
		.amdhsa_system_sgpr_workgroup_id_x 1
		.amdhsa_system_sgpr_workgroup_id_y 0
		.amdhsa_system_sgpr_workgroup_id_z 0
		.amdhsa_system_sgpr_workgroup_info 0
		.amdhsa_system_vgpr_workitem_id 0
		.amdhsa_next_free_vgpr 22
		.amdhsa_next_free_sgpr 28
		.amdhsa_accum_offset 24
		.amdhsa_reserve_vcc 1
		.amdhsa_reserve_flat_scratch 0
		.amdhsa_float_round_mode_32 0
		.amdhsa_float_round_mode_16_64 0
		.amdhsa_float_denorm_mode_32 3
		.amdhsa_float_denorm_mode_16_64 3
		.amdhsa_dx10_clamp 1
		.amdhsa_ieee_mode 1
		.amdhsa_fp16_overflow 0
		.amdhsa_tg_split 0
		.amdhsa_exception_fp_ieee_invalid_op 0
		.amdhsa_exception_fp_denorm_src 0
		.amdhsa_exception_fp_ieee_div_zero 0
		.amdhsa_exception_fp_ieee_overflow 0
		.amdhsa_exception_fp_ieee_underflow 0
		.amdhsa_exception_fp_ieee_inexact 0
		.amdhsa_exception_int_div_zero 0
	.end_amdhsa_kernel
	.section	.text._ZN7rocprim17ROCPRIM_400000_NS6detail17trampoline_kernelINS0_14default_configENS1_20scan_config_selectorIiEEZZNS1_9scan_implILNS1_25lookback_scan_determinismE0ELb0ELb0ES3_N6thrust23THRUST_200600_302600_NS6detail15normal_iteratorINS9_10device_ptrIiEEEESE_i19const_ref_plus_mod3IiEiEEDaPvRmT3_T4_T5_mT6_P12ihipStream_tbENKUlT_T0_E_clISt17integral_constantIbLb0EEST_IbLb1EEEEDaSP_SQ_EUlSP_E0_NS1_11comp_targetILNS1_3genE4ELNS1_11target_archE910ELNS1_3gpuE8ELNS1_3repE0EEENS1_30default_config_static_selectorELNS0_4arch9wavefront6targetE1EEEvT1_,"axG",@progbits,_ZN7rocprim17ROCPRIM_400000_NS6detail17trampoline_kernelINS0_14default_configENS1_20scan_config_selectorIiEEZZNS1_9scan_implILNS1_25lookback_scan_determinismE0ELb0ELb0ES3_N6thrust23THRUST_200600_302600_NS6detail15normal_iteratorINS9_10device_ptrIiEEEESE_i19const_ref_plus_mod3IiEiEEDaPvRmT3_T4_T5_mT6_P12ihipStream_tbENKUlT_T0_E_clISt17integral_constantIbLb0EEST_IbLb1EEEEDaSP_SQ_EUlSP_E0_NS1_11comp_targetILNS1_3genE4ELNS1_11target_archE910ELNS1_3gpuE8ELNS1_3repE0EEENS1_30default_config_static_selectorELNS0_4arch9wavefront6targetE1EEEvT1_,comdat
.Lfunc_end7045:
	.size	_ZN7rocprim17ROCPRIM_400000_NS6detail17trampoline_kernelINS0_14default_configENS1_20scan_config_selectorIiEEZZNS1_9scan_implILNS1_25lookback_scan_determinismE0ELb0ELb0ES3_N6thrust23THRUST_200600_302600_NS6detail15normal_iteratorINS9_10device_ptrIiEEEESE_i19const_ref_plus_mod3IiEiEEDaPvRmT3_T4_T5_mT6_P12ihipStream_tbENKUlT_T0_E_clISt17integral_constantIbLb0EEST_IbLb1EEEEDaSP_SQ_EUlSP_E0_NS1_11comp_targetILNS1_3genE4ELNS1_11target_archE910ELNS1_3gpuE8ELNS1_3repE0EEENS1_30default_config_static_selectorELNS0_4arch9wavefront6targetE1EEEvT1_, .Lfunc_end7045-_ZN7rocprim17ROCPRIM_400000_NS6detail17trampoline_kernelINS0_14default_configENS1_20scan_config_selectorIiEEZZNS1_9scan_implILNS1_25lookback_scan_determinismE0ELb0ELb0ES3_N6thrust23THRUST_200600_302600_NS6detail15normal_iteratorINS9_10device_ptrIiEEEESE_i19const_ref_plus_mod3IiEiEEDaPvRmT3_T4_T5_mT6_P12ihipStream_tbENKUlT_T0_E_clISt17integral_constantIbLb0EEST_IbLb1EEEEDaSP_SQ_EUlSP_E0_NS1_11comp_targetILNS1_3genE4ELNS1_11target_archE910ELNS1_3gpuE8ELNS1_3repE0EEENS1_30default_config_static_selectorELNS0_4arch9wavefront6targetE1EEEvT1_
                                        ; -- End function
	.section	.AMDGPU.csdata,"",@progbits
; Kernel info:
; codeLenInByte = 2736
; NumSgprs: 32
; NumVgprs: 22
; NumAgprs: 0
; TotalNumVgprs: 22
; ScratchSize: 0
; MemoryBound: 0
; FloatMode: 240
; IeeeMode: 1
; LDSByteSize: 5120 bytes/workgroup (compile time only)
; SGPRBlocks: 3
; VGPRBlocks: 2
; NumSGPRsForWavesPerEU: 32
; NumVGPRsForWavesPerEU: 22
; AccumOffset: 24
; Occupancy: 6
; WaveLimiterHint : 1
; COMPUTE_PGM_RSRC2:SCRATCH_EN: 0
; COMPUTE_PGM_RSRC2:USER_SGPR: 6
; COMPUTE_PGM_RSRC2:TRAP_HANDLER: 0
; COMPUTE_PGM_RSRC2:TGID_X_EN: 1
; COMPUTE_PGM_RSRC2:TGID_Y_EN: 0
; COMPUTE_PGM_RSRC2:TGID_Z_EN: 0
; COMPUTE_PGM_RSRC2:TIDIG_COMP_CNT: 0
; COMPUTE_PGM_RSRC3_GFX90A:ACCUM_OFFSET: 5
; COMPUTE_PGM_RSRC3_GFX90A:TG_SPLIT: 0
	.section	.text._ZN7rocprim17ROCPRIM_400000_NS6detail17trampoline_kernelINS0_14default_configENS1_20scan_config_selectorIiEEZZNS1_9scan_implILNS1_25lookback_scan_determinismE0ELb0ELb0ES3_N6thrust23THRUST_200600_302600_NS6detail15normal_iteratorINS9_10device_ptrIiEEEESE_i19const_ref_plus_mod3IiEiEEDaPvRmT3_T4_T5_mT6_P12ihipStream_tbENKUlT_T0_E_clISt17integral_constantIbLb0EEST_IbLb1EEEEDaSP_SQ_EUlSP_E0_NS1_11comp_targetILNS1_3genE3ELNS1_11target_archE908ELNS1_3gpuE7ELNS1_3repE0EEENS1_30default_config_static_selectorELNS0_4arch9wavefront6targetE1EEEvT1_,"axG",@progbits,_ZN7rocprim17ROCPRIM_400000_NS6detail17trampoline_kernelINS0_14default_configENS1_20scan_config_selectorIiEEZZNS1_9scan_implILNS1_25lookback_scan_determinismE0ELb0ELb0ES3_N6thrust23THRUST_200600_302600_NS6detail15normal_iteratorINS9_10device_ptrIiEEEESE_i19const_ref_plus_mod3IiEiEEDaPvRmT3_T4_T5_mT6_P12ihipStream_tbENKUlT_T0_E_clISt17integral_constantIbLb0EEST_IbLb1EEEEDaSP_SQ_EUlSP_E0_NS1_11comp_targetILNS1_3genE3ELNS1_11target_archE908ELNS1_3gpuE7ELNS1_3repE0EEENS1_30default_config_static_selectorELNS0_4arch9wavefront6targetE1EEEvT1_,comdat
	.protected	_ZN7rocprim17ROCPRIM_400000_NS6detail17trampoline_kernelINS0_14default_configENS1_20scan_config_selectorIiEEZZNS1_9scan_implILNS1_25lookback_scan_determinismE0ELb0ELb0ES3_N6thrust23THRUST_200600_302600_NS6detail15normal_iteratorINS9_10device_ptrIiEEEESE_i19const_ref_plus_mod3IiEiEEDaPvRmT3_T4_T5_mT6_P12ihipStream_tbENKUlT_T0_E_clISt17integral_constantIbLb0EEST_IbLb1EEEEDaSP_SQ_EUlSP_E0_NS1_11comp_targetILNS1_3genE3ELNS1_11target_archE908ELNS1_3gpuE7ELNS1_3repE0EEENS1_30default_config_static_selectorELNS0_4arch9wavefront6targetE1EEEvT1_ ; -- Begin function _ZN7rocprim17ROCPRIM_400000_NS6detail17trampoline_kernelINS0_14default_configENS1_20scan_config_selectorIiEEZZNS1_9scan_implILNS1_25lookback_scan_determinismE0ELb0ELb0ES3_N6thrust23THRUST_200600_302600_NS6detail15normal_iteratorINS9_10device_ptrIiEEEESE_i19const_ref_plus_mod3IiEiEEDaPvRmT3_T4_T5_mT6_P12ihipStream_tbENKUlT_T0_E_clISt17integral_constantIbLb0EEST_IbLb1EEEEDaSP_SQ_EUlSP_E0_NS1_11comp_targetILNS1_3genE3ELNS1_11target_archE908ELNS1_3gpuE7ELNS1_3repE0EEENS1_30default_config_static_selectorELNS0_4arch9wavefront6targetE1EEEvT1_
	.globl	_ZN7rocprim17ROCPRIM_400000_NS6detail17trampoline_kernelINS0_14default_configENS1_20scan_config_selectorIiEEZZNS1_9scan_implILNS1_25lookback_scan_determinismE0ELb0ELb0ES3_N6thrust23THRUST_200600_302600_NS6detail15normal_iteratorINS9_10device_ptrIiEEEESE_i19const_ref_plus_mod3IiEiEEDaPvRmT3_T4_T5_mT6_P12ihipStream_tbENKUlT_T0_E_clISt17integral_constantIbLb0EEST_IbLb1EEEEDaSP_SQ_EUlSP_E0_NS1_11comp_targetILNS1_3genE3ELNS1_11target_archE908ELNS1_3gpuE7ELNS1_3repE0EEENS1_30default_config_static_selectorELNS0_4arch9wavefront6targetE1EEEvT1_
	.p2align	8
	.type	_ZN7rocprim17ROCPRIM_400000_NS6detail17trampoline_kernelINS0_14default_configENS1_20scan_config_selectorIiEEZZNS1_9scan_implILNS1_25lookback_scan_determinismE0ELb0ELb0ES3_N6thrust23THRUST_200600_302600_NS6detail15normal_iteratorINS9_10device_ptrIiEEEESE_i19const_ref_plus_mod3IiEiEEDaPvRmT3_T4_T5_mT6_P12ihipStream_tbENKUlT_T0_E_clISt17integral_constantIbLb0EEST_IbLb1EEEEDaSP_SQ_EUlSP_E0_NS1_11comp_targetILNS1_3genE3ELNS1_11target_archE908ELNS1_3gpuE7ELNS1_3repE0EEENS1_30default_config_static_selectorELNS0_4arch9wavefront6targetE1EEEvT1_,@function
_ZN7rocprim17ROCPRIM_400000_NS6detail17trampoline_kernelINS0_14default_configENS1_20scan_config_selectorIiEEZZNS1_9scan_implILNS1_25lookback_scan_determinismE0ELb0ELb0ES3_N6thrust23THRUST_200600_302600_NS6detail15normal_iteratorINS9_10device_ptrIiEEEESE_i19const_ref_plus_mod3IiEiEEDaPvRmT3_T4_T5_mT6_P12ihipStream_tbENKUlT_T0_E_clISt17integral_constantIbLb0EEST_IbLb1EEEEDaSP_SQ_EUlSP_E0_NS1_11comp_targetILNS1_3genE3ELNS1_11target_archE908ELNS1_3gpuE7ELNS1_3repE0EEENS1_30default_config_static_selectorELNS0_4arch9wavefront6targetE1EEEvT1_: ; @_ZN7rocprim17ROCPRIM_400000_NS6detail17trampoline_kernelINS0_14default_configENS1_20scan_config_selectorIiEEZZNS1_9scan_implILNS1_25lookback_scan_determinismE0ELb0ELb0ES3_N6thrust23THRUST_200600_302600_NS6detail15normal_iteratorINS9_10device_ptrIiEEEESE_i19const_ref_plus_mod3IiEiEEDaPvRmT3_T4_T5_mT6_P12ihipStream_tbENKUlT_T0_E_clISt17integral_constantIbLb0EEST_IbLb1EEEEDaSP_SQ_EUlSP_E0_NS1_11comp_targetILNS1_3genE3ELNS1_11target_archE908ELNS1_3gpuE7ELNS1_3repE0EEENS1_30default_config_static_selectorELNS0_4arch9wavefront6targetE1EEEvT1_
; %bb.0:
	.section	.rodata,"a",@progbits
	.p2align	6, 0x0
	.amdhsa_kernel _ZN7rocprim17ROCPRIM_400000_NS6detail17trampoline_kernelINS0_14default_configENS1_20scan_config_selectorIiEEZZNS1_9scan_implILNS1_25lookback_scan_determinismE0ELb0ELb0ES3_N6thrust23THRUST_200600_302600_NS6detail15normal_iteratorINS9_10device_ptrIiEEEESE_i19const_ref_plus_mod3IiEiEEDaPvRmT3_T4_T5_mT6_P12ihipStream_tbENKUlT_T0_E_clISt17integral_constantIbLb0EEST_IbLb1EEEEDaSP_SQ_EUlSP_E0_NS1_11comp_targetILNS1_3genE3ELNS1_11target_archE908ELNS1_3gpuE7ELNS1_3repE0EEENS1_30default_config_static_selectorELNS0_4arch9wavefront6targetE1EEEvT1_
		.amdhsa_group_segment_fixed_size 0
		.amdhsa_private_segment_fixed_size 0
		.amdhsa_kernarg_size 40
		.amdhsa_user_sgpr_count 6
		.amdhsa_user_sgpr_private_segment_buffer 1
		.amdhsa_user_sgpr_dispatch_ptr 0
		.amdhsa_user_sgpr_queue_ptr 0
		.amdhsa_user_sgpr_kernarg_segment_ptr 1
		.amdhsa_user_sgpr_dispatch_id 0
		.amdhsa_user_sgpr_flat_scratch_init 0
		.amdhsa_user_sgpr_kernarg_preload_length 0
		.amdhsa_user_sgpr_kernarg_preload_offset 0
		.amdhsa_user_sgpr_private_segment_size 0
		.amdhsa_uses_dynamic_stack 0
		.amdhsa_system_sgpr_private_segment_wavefront_offset 0
		.amdhsa_system_sgpr_workgroup_id_x 1
		.amdhsa_system_sgpr_workgroup_id_y 0
		.amdhsa_system_sgpr_workgroup_id_z 0
		.amdhsa_system_sgpr_workgroup_info 0
		.amdhsa_system_vgpr_workitem_id 0
		.amdhsa_next_free_vgpr 1
		.amdhsa_next_free_sgpr 0
		.amdhsa_accum_offset 4
		.amdhsa_reserve_vcc 0
		.amdhsa_reserve_flat_scratch 0
		.amdhsa_float_round_mode_32 0
		.amdhsa_float_round_mode_16_64 0
		.amdhsa_float_denorm_mode_32 3
		.amdhsa_float_denorm_mode_16_64 3
		.amdhsa_dx10_clamp 1
		.amdhsa_ieee_mode 1
		.amdhsa_fp16_overflow 0
		.amdhsa_tg_split 0
		.amdhsa_exception_fp_ieee_invalid_op 0
		.amdhsa_exception_fp_denorm_src 0
		.amdhsa_exception_fp_ieee_div_zero 0
		.amdhsa_exception_fp_ieee_overflow 0
		.amdhsa_exception_fp_ieee_underflow 0
		.amdhsa_exception_fp_ieee_inexact 0
		.amdhsa_exception_int_div_zero 0
	.end_amdhsa_kernel
	.section	.text._ZN7rocprim17ROCPRIM_400000_NS6detail17trampoline_kernelINS0_14default_configENS1_20scan_config_selectorIiEEZZNS1_9scan_implILNS1_25lookback_scan_determinismE0ELb0ELb0ES3_N6thrust23THRUST_200600_302600_NS6detail15normal_iteratorINS9_10device_ptrIiEEEESE_i19const_ref_plus_mod3IiEiEEDaPvRmT3_T4_T5_mT6_P12ihipStream_tbENKUlT_T0_E_clISt17integral_constantIbLb0EEST_IbLb1EEEEDaSP_SQ_EUlSP_E0_NS1_11comp_targetILNS1_3genE3ELNS1_11target_archE908ELNS1_3gpuE7ELNS1_3repE0EEENS1_30default_config_static_selectorELNS0_4arch9wavefront6targetE1EEEvT1_,"axG",@progbits,_ZN7rocprim17ROCPRIM_400000_NS6detail17trampoline_kernelINS0_14default_configENS1_20scan_config_selectorIiEEZZNS1_9scan_implILNS1_25lookback_scan_determinismE0ELb0ELb0ES3_N6thrust23THRUST_200600_302600_NS6detail15normal_iteratorINS9_10device_ptrIiEEEESE_i19const_ref_plus_mod3IiEiEEDaPvRmT3_T4_T5_mT6_P12ihipStream_tbENKUlT_T0_E_clISt17integral_constantIbLb0EEST_IbLb1EEEEDaSP_SQ_EUlSP_E0_NS1_11comp_targetILNS1_3genE3ELNS1_11target_archE908ELNS1_3gpuE7ELNS1_3repE0EEENS1_30default_config_static_selectorELNS0_4arch9wavefront6targetE1EEEvT1_,comdat
.Lfunc_end7046:
	.size	_ZN7rocprim17ROCPRIM_400000_NS6detail17trampoline_kernelINS0_14default_configENS1_20scan_config_selectorIiEEZZNS1_9scan_implILNS1_25lookback_scan_determinismE0ELb0ELb0ES3_N6thrust23THRUST_200600_302600_NS6detail15normal_iteratorINS9_10device_ptrIiEEEESE_i19const_ref_plus_mod3IiEiEEDaPvRmT3_T4_T5_mT6_P12ihipStream_tbENKUlT_T0_E_clISt17integral_constantIbLb0EEST_IbLb1EEEEDaSP_SQ_EUlSP_E0_NS1_11comp_targetILNS1_3genE3ELNS1_11target_archE908ELNS1_3gpuE7ELNS1_3repE0EEENS1_30default_config_static_selectorELNS0_4arch9wavefront6targetE1EEEvT1_, .Lfunc_end7046-_ZN7rocprim17ROCPRIM_400000_NS6detail17trampoline_kernelINS0_14default_configENS1_20scan_config_selectorIiEEZZNS1_9scan_implILNS1_25lookback_scan_determinismE0ELb0ELb0ES3_N6thrust23THRUST_200600_302600_NS6detail15normal_iteratorINS9_10device_ptrIiEEEESE_i19const_ref_plus_mod3IiEiEEDaPvRmT3_T4_T5_mT6_P12ihipStream_tbENKUlT_T0_E_clISt17integral_constantIbLb0EEST_IbLb1EEEEDaSP_SQ_EUlSP_E0_NS1_11comp_targetILNS1_3genE3ELNS1_11target_archE908ELNS1_3gpuE7ELNS1_3repE0EEENS1_30default_config_static_selectorELNS0_4arch9wavefront6targetE1EEEvT1_
                                        ; -- End function
	.section	.AMDGPU.csdata,"",@progbits
; Kernel info:
; codeLenInByte = 0
; NumSgprs: 4
; NumVgprs: 0
; NumAgprs: 0
; TotalNumVgprs: 0
; ScratchSize: 0
; MemoryBound: 0
; FloatMode: 240
; IeeeMode: 1
; LDSByteSize: 0 bytes/workgroup (compile time only)
; SGPRBlocks: 0
; VGPRBlocks: 0
; NumSGPRsForWavesPerEU: 4
; NumVGPRsForWavesPerEU: 1
; AccumOffset: 4
; Occupancy: 8
; WaveLimiterHint : 0
; COMPUTE_PGM_RSRC2:SCRATCH_EN: 0
; COMPUTE_PGM_RSRC2:USER_SGPR: 6
; COMPUTE_PGM_RSRC2:TRAP_HANDLER: 0
; COMPUTE_PGM_RSRC2:TGID_X_EN: 1
; COMPUTE_PGM_RSRC2:TGID_Y_EN: 0
; COMPUTE_PGM_RSRC2:TGID_Z_EN: 0
; COMPUTE_PGM_RSRC2:TIDIG_COMP_CNT: 0
; COMPUTE_PGM_RSRC3_GFX90A:ACCUM_OFFSET: 0
; COMPUTE_PGM_RSRC3_GFX90A:TG_SPLIT: 0
	.section	.text._ZN7rocprim17ROCPRIM_400000_NS6detail17trampoline_kernelINS0_14default_configENS1_20scan_config_selectorIiEEZZNS1_9scan_implILNS1_25lookback_scan_determinismE0ELb0ELb0ES3_N6thrust23THRUST_200600_302600_NS6detail15normal_iteratorINS9_10device_ptrIiEEEESE_i19const_ref_plus_mod3IiEiEEDaPvRmT3_T4_T5_mT6_P12ihipStream_tbENKUlT_T0_E_clISt17integral_constantIbLb0EEST_IbLb1EEEEDaSP_SQ_EUlSP_E0_NS1_11comp_targetILNS1_3genE2ELNS1_11target_archE906ELNS1_3gpuE6ELNS1_3repE0EEENS1_30default_config_static_selectorELNS0_4arch9wavefront6targetE1EEEvT1_,"axG",@progbits,_ZN7rocprim17ROCPRIM_400000_NS6detail17trampoline_kernelINS0_14default_configENS1_20scan_config_selectorIiEEZZNS1_9scan_implILNS1_25lookback_scan_determinismE0ELb0ELb0ES3_N6thrust23THRUST_200600_302600_NS6detail15normal_iteratorINS9_10device_ptrIiEEEESE_i19const_ref_plus_mod3IiEiEEDaPvRmT3_T4_T5_mT6_P12ihipStream_tbENKUlT_T0_E_clISt17integral_constantIbLb0EEST_IbLb1EEEEDaSP_SQ_EUlSP_E0_NS1_11comp_targetILNS1_3genE2ELNS1_11target_archE906ELNS1_3gpuE6ELNS1_3repE0EEENS1_30default_config_static_selectorELNS0_4arch9wavefront6targetE1EEEvT1_,comdat
	.protected	_ZN7rocprim17ROCPRIM_400000_NS6detail17trampoline_kernelINS0_14default_configENS1_20scan_config_selectorIiEEZZNS1_9scan_implILNS1_25lookback_scan_determinismE0ELb0ELb0ES3_N6thrust23THRUST_200600_302600_NS6detail15normal_iteratorINS9_10device_ptrIiEEEESE_i19const_ref_plus_mod3IiEiEEDaPvRmT3_T4_T5_mT6_P12ihipStream_tbENKUlT_T0_E_clISt17integral_constantIbLb0EEST_IbLb1EEEEDaSP_SQ_EUlSP_E0_NS1_11comp_targetILNS1_3genE2ELNS1_11target_archE906ELNS1_3gpuE6ELNS1_3repE0EEENS1_30default_config_static_selectorELNS0_4arch9wavefront6targetE1EEEvT1_ ; -- Begin function _ZN7rocprim17ROCPRIM_400000_NS6detail17trampoline_kernelINS0_14default_configENS1_20scan_config_selectorIiEEZZNS1_9scan_implILNS1_25lookback_scan_determinismE0ELb0ELb0ES3_N6thrust23THRUST_200600_302600_NS6detail15normal_iteratorINS9_10device_ptrIiEEEESE_i19const_ref_plus_mod3IiEiEEDaPvRmT3_T4_T5_mT6_P12ihipStream_tbENKUlT_T0_E_clISt17integral_constantIbLb0EEST_IbLb1EEEEDaSP_SQ_EUlSP_E0_NS1_11comp_targetILNS1_3genE2ELNS1_11target_archE906ELNS1_3gpuE6ELNS1_3repE0EEENS1_30default_config_static_selectorELNS0_4arch9wavefront6targetE1EEEvT1_
	.globl	_ZN7rocprim17ROCPRIM_400000_NS6detail17trampoline_kernelINS0_14default_configENS1_20scan_config_selectorIiEEZZNS1_9scan_implILNS1_25lookback_scan_determinismE0ELb0ELb0ES3_N6thrust23THRUST_200600_302600_NS6detail15normal_iteratorINS9_10device_ptrIiEEEESE_i19const_ref_plus_mod3IiEiEEDaPvRmT3_T4_T5_mT6_P12ihipStream_tbENKUlT_T0_E_clISt17integral_constantIbLb0EEST_IbLb1EEEEDaSP_SQ_EUlSP_E0_NS1_11comp_targetILNS1_3genE2ELNS1_11target_archE906ELNS1_3gpuE6ELNS1_3repE0EEENS1_30default_config_static_selectorELNS0_4arch9wavefront6targetE1EEEvT1_
	.p2align	8
	.type	_ZN7rocprim17ROCPRIM_400000_NS6detail17trampoline_kernelINS0_14default_configENS1_20scan_config_selectorIiEEZZNS1_9scan_implILNS1_25lookback_scan_determinismE0ELb0ELb0ES3_N6thrust23THRUST_200600_302600_NS6detail15normal_iteratorINS9_10device_ptrIiEEEESE_i19const_ref_plus_mod3IiEiEEDaPvRmT3_T4_T5_mT6_P12ihipStream_tbENKUlT_T0_E_clISt17integral_constantIbLb0EEST_IbLb1EEEEDaSP_SQ_EUlSP_E0_NS1_11comp_targetILNS1_3genE2ELNS1_11target_archE906ELNS1_3gpuE6ELNS1_3repE0EEENS1_30default_config_static_selectorELNS0_4arch9wavefront6targetE1EEEvT1_,@function
_ZN7rocprim17ROCPRIM_400000_NS6detail17trampoline_kernelINS0_14default_configENS1_20scan_config_selectorIiEEZZNS1_9scan_implILNS1_25lookback_scan_determinismE0ELb0ELb0ES3_N6thrust23THRUST_200600_302600_NS6detail15normal_iteratorINS9_10device_ptrIiEEEESE_i19const_ref_plus_mod3IiEiEEDaPvRmT3_T4_T5_mT6_P12ihipStream_tbENKUlT_T0_E_clISt17integral_constantIbLb0EEST_IbLb1EEEEDaSP_SQ_EUlSP_E0_NS1_11comp_targetILNS1_3genE2ELNS1_11target_archE906ELNS1_3gpuE6ELNS1_3repE0EEENS1_30default_config_static_selectorELNS0_4arch9wavefront6targetE1EEEvT1_: ; @_ZN7rocprim17ROCPRIM_400000_NS6detail17trampoline_kernelINS0_14default_configENS1_20scan_config_selectorIiEEZZNS1_9scan_implILNS1_25lookback_scan_determinismE0ELb0ELb0ES3_N6thrust23THRUST_200600_302600_NS6detail15normal_iteratorINS9_10device_ptrIiEEEESE_i19const_ref_plus_mod3IiEiEEDaPvRmT3_T4_T5_mT6_P12ihipStream_tbENKUlT_T0_E_clISt17integral_constantIbLb0EEST_IbLb1EEEEDaSP_SQ_EUlSP_E0_NS1_11comp_targetILNS1_3genE2ELNS1_11target_archE906ELNS1_3gpuE6ELNS1_3repE0EEENS1_30default_config_static_selectorELNS0_4arch9wavefront6targetE1EEEvT1_
; %bb.0:
	.section	.rodata,"a",@progbits
	.p2align	6, 0x0
	.amdhsa_kernel _ZN7rocprim17ROCPRIM_400000_NS6detail17trampoline_kernelINS0_14default_configENS1_20scan_config_selectorIiEEZZNS1_9scan_implILNS1_25lookback_scan_determinismE0ELb0ELb0ES3_N6thrust23THRUST_200600_302600_NS6detail15normal_iteratorINS9_10device_ptrIiEEEESE_i19const_ref_plus_mod3IiEiEEDaPvRmT3_T4_T5_mT6_P12ihipStream_tbENKUlT_T0_E_clISt17integral_constantIbLb0EEST_IbLb1EEEEDaSP_SQ_EUlSP_E0_NS1_11comp_targetILNS1_3genE2ELNS1_11target_archE906ELNS1_3gpuE6ELNS1_3repE0EEENS1_30default_config_static_selectorELNS0_4arch9wavefront6targetE1EEEvT1_
		.amdhsa_group_segment_fixed_size 0
		.amdhsa_private_segment_fixed_size 0
		.amdhsa_kernarg_size 40
		.amdhsa_user_sgpr_count 6
		.amdhsa_user_sgpr_private_segment_buffer 1
		.amdhsa_user_sgpr_dispatch_ptr 0
		.amdhsa_user_sgpr_queue_ptr 0
		.amdhsa_user_sgpr_kernarg_segment_ptr 1
		.amdhsa_user_sgpr_dispatch_id 0
		.amdhsa_user_sgpr_flat_scratch_init 0
		.amdhsa_user_sgpr_kernarg_preload_length 0
		.amdhsa_user_sgpr_kernarg_preload_offset 0
		.amdhsa_user_sgpr_private_segment_size 0
		.amdhsa_uses_dynamic_stack 0
		.amdhsa_system_sgpr_private_segment_wavefront_offset 0
		.amdhsa_system_sgpr_workgroup_id_x 1
		.amdhsa_system_sgpr_workgroup_id_y 0
		.amdhsa_system_sgpr_workgroup_id_z 0
		.amdhsa_system_sgpr_workgroup_info 0
		.amdhsa_system_vgpr_workitem_id 0
		.amdhsa_next_free_vgpr 1
		.amdhsa_next_free_sgpr 0
		.amdhsa_accum_offset 4
		.amdhsa_reserve_vcc 0
		.amdhsa_reserve_flat_scratch 0
		.amdhsa_float_round_mode_32 0
		.amdhsa_float_round_mode_16_64 0
		.amdhsa_float_denorm_mode_32 3
		.amdhsa_float_denorm_mode_16_64 3
		.amdhsa_dx10_clamp 1
		.amdhsa_ieee_mode 1
		.amdhsa_fp16_overflow 0
		.amdhsa_tg_split 0
		.amdhsa_exception_fp_ieee_invalid_op 0
		.amdhsa_exception_fp_denorm_src 0
		.amdhsa_exception_fp_ieee_div_zero 0
		.amdhsa_exception_fp_ieee_overflow 0
		.amdhsa_exception_fp_ieee_underflow 0
		.amdhsa_exception_fp_ieee_inexact 0
		.amdhsa_exception_int_div_zero 0
	.end_amdhsa_kernel
	.section	.text._ZN7rocprim17ROCPRIM_400000_NS6detail17trampoline_kernelINS0_14default_configENS1_20scan_config_selectorIiEEZZNS1_9scan_implILNS1_25lookback_scan_determinismE0ELb0ELb0ES3_N6thrust23THRUST_200600_302600_NS6detail15normal_iteratorINS9_10device_ptrIiEEEESE_i19const_ref_plus_mod3IiEiEEDaPvRmT3_T4_T5_mT6_P12ihipStream_tbENKUlT_T0_E_clISt17integral_constantIbLb0EEST_IbLb1EEEEDaSP_SQ_EUlSP_E0_NS1_11comp_targetILNS1_3genE2ELNS1_11target_archE906ELNS1_3gpuE6ELNS1_3repE0EEENS1_30default_config_static_selectorELNS0_4arch9wavefront6targetE1EEEvT1_,"axG",@progbits,_ZN7rocprim17ROCPRIM_400000_NS6detail17trampoline_kernelINS0_14default_configENS1_20scan_config_selectorIiEEZZNS1_9scan_implILNS1_25lookback_scan_determinismE0ELb0ELb0ES3_N6thrust23THRUST_200600_302600_NS6detail15normal_iteratorINS9_10device_ptrIiEEEESE_i19const_ref_plus_mod3IiEiEEDaPvRmT3_T4_T5_mT6_P12ihipStream_tbENKUlT_T0_E_clISt17integral_constantIbLb0EEST_IbLb1EEEEDaSP_SQ_EUlSP_E0_NS1_11comp_targetILNS1_3genE2ELNS1_11target_archE906ELNS1_3gpuE6ELNS1_3repE0EEENS1_30default_config_static_selectorELNS0_4arch9wavefront6targetE1EEEvT1_,comdat
.Lfunc_end7047:
	.size	_ZN7rocprim17ROCPRIM_400000_NS6detail17trampoline_kernelINS0_14default_configENS1_20scan_config_selectorIiEEZZNS1_9scan_implILNS1_25lookback_scan_determinismE0ELb0ELb0ES3_N6thrust23THRUST_200600_302600_NS6detail15normal_iteratorINS9_10device_ptrIiEEEESE_i19const_ref_plus_mod3IiEiEEDaPvRmT3_T4_T5_mT6_P12ihipStream_tbENKUlT_T0_E_clISt17integral_constantIbLb0EEST_IbLb1EEEEDaSP_SQ_EUlSP_E0_NS1_11comp_targetILNS1_3genE2ELNS1_11target_archE906ELNS1_3gpuE6ELNS1_3repE0EEENS1_30default_config_static_selectorELNS0_4arch9wavefront6targetE1EEEvT1_, .Lfunc_end7047-_ZN7rocprim17ROCPRIM_400000_NS6detail17trampoline_kernelINS0_14default_configENS1_20scan_config_selectorIiEEZZNS1_9scan_implILNS1_25lookback_scan_determinismE0ELb0ELb0ES3_N6thrust23THRUST_200600_302600_NS6detail15normal_iteratorINS9_10device_ptrIiEEEESE_i19const_ref_plus_mod3IiEiEEDaPvRmT3_T4_T5_mT6_P12ihipStream_tbENKUlT_T0_E_clISt17integral_constantIbLb0EEST_IbLb1EEEEDaSP_SQ_EUlSP_E0_NS1_11comp_targetILNS1_3genE2ELNS1_11target_archE906ELNS1_3gpuE6ELNS1_3repE0EEENS1_30default_config_static_selectorELNS0_4arch9wavefront6targetE1EEEvT1_
                                        ; -- End function
	.section	.AMDGPU.csdata,"",@progbits
; Kernel info:
; codeLenInByte = 0
; NumSgprs: 4
; NumVgprs: 0
; NumAgprs: 0
; TotalNumVgprs: 0
; ScratchSize: 0
; MemoryBound: 0
; FloatMode: 240
; IeeeMode: 1
; LDSByteSize: 0 bytes/workgroup (compile time only)
; SGPRBlocks: 0
; VGPRBlocks: 0
; NumSGPRsForWavesPerEU: 4
; NumVGPRsForWavesPerEU: 1
; AccumOffset: 4
; Occupancy: 8
; WaveLimiterHint : 0
; COMPUTE_PGM_RSRC2:SCRATCH_EN: 0
; COMPUTE_PGM_RSRC2:USER_SGPR: 6
; COMPUTE_PGM_RSRC2:TRAP_HANDLER: 0
; COMPUTE_PGM_RSRC2:TGID_X_EN: 1
; COMPUTE_PGM_RSRC2:TGID_Y_EN: 0
; COMPUTE_PGM_RSRC2:TGID_Z_EN: 0
; COMPUTE_PGM_RSRC2:TIDIG_COMP_CNT: 0
; COMPUTE_PGM_RSRC3_GFX90A:ACCUM_OFFSET: 0
; COMPUTE_PGM_RSRC3_GFX90A:TG_SPLIT: 0
	.section	.text._ZN7rocprim17ROCPRIM_400000_NS6detail17trampoline_kernelINS0_14default_configENS1_20scan_config_selectorIiEEZZNS1_9scan_implILNS1_25lookback_scan_determinismE0ELb0ELb0ES3_N6thrust23THRUST_200600_302600_NS6detail15normal_iteratorINS9_10device_ptrIiEEEESE_i19const_ref_plus_mod3IiEiEEDaPvRmT3_T4_T5_mT6_P12ihipStream_tbENKUlT_T0_E_clISt17integral_constantIbLb0EEST_IbLb1EEEEDaSP_SQ_EUlSP_E0_NS1_11comp_targetILNS1_3genE10ELNS1_11target_archE1201ELNS1_3gpuE5ELNS1_3repE0EEENS1_30default_config_static_selectorELNS0_4arch9wavefront6targetE1EEEvT1_,"axG",@progbits,_ZN7rocprim17ROCPRIM_400000_NS6detail17trampoline_kernelINS0_14default_configENS1_20scan_config_selectorIiEEZZNS1_9scan_implILNS1_25lookback_scan_determinismE0ELb0ELb0ES3_N6thrust23THRUST_200600_302600_NS6detail15normal_iteratorINS9_10device_ptrIiEEEESE_i19const_ref_plus_mod3IiEiEEDaPvRmT3_T4_T5_mT6_P12ihipStream_tbENKUlT_T0_E_clISt17integral_constantIbLb0EEST_IbLb1EEEEDaSP_SQ_EUlSP_E0_NS1_11comp_targetILNS1_3genE10ELNS1_11target_archE1201ELNS1_3gpuE5ELNS1_3repE0EEENS1_30default_config_static_selectorELNS0_4arch9wavefront6targetE1EEEvT1_,comdat
	.protected	_ZN7rocprim17ROCPRIM_400000_NS6detail17trampoline_kernelINS0_14default_configENS1_20scan_config_selectorIiEEZZNS1_9scan_implILNS1_25lookback_scan_determinismE0ELb0ELb0ES3_N6thrust23THRUST_200600_302600_NS6detail15normal_iteratorINS9_10device_ptrIiEEEESE_i19const_ref_plus_mod3IiEiEEDaPvRmT3_T4_T5_mT6_P12ihipStream_tbENKUlT_T0_E_clISt17integral_constantIbLb0EEST_IbLb1EEEEDaSP_SQ_EUlSP_E0_NS1_11comp_targetILNS1_3genE10ELNS1_11target_archE1201ELNS1_3gpuE5ELNS1_3repE0EEENS1_30default_config_static_selectorELNS0_4arch9wavefront6targetE1EEEvT1_ ; -- Begin function _ZN7rocprim17ROCPRIM_400000_NS6detail17trampoline_kernelINS0_14default_configENS1_20scan_config_selectorIiEEZZNS1_9scan_implILNS1_25lookback_scan_determinismE0ELb0ELb0ES3_N6thrust23THRUST_200600_302600_NS6detail15normal_iteratorINS9_10device_ptrIiEEEESE_i19const_ref_plus_mod3IiEiEEDaPvRmT3_T4_T5_mT6_P12ihipStream_tbENKUlT_T0_E_clISt17integral_constantIbLb0EEST_IbLb1EEEEDaSP_SQ_EUlSP_E0_NS1_11comp_targetILNS1_3genE10ELNS1_11target_archE1201ELNS1_3gpuE5ELNS1_3repE0EEENS1_30default_config_static_selectorELNS0_4arch9wavefront6targetE1EEEvT1_
	.globl	_ZN7rocprim17ROCPRIM_400000_NS6detail17trampoline_kernelINS0_14default_configENS1_20scan_config_selectorIiEEZZNS1_9scan_implILNS1_25lookback_scan_determinismE0ELb0ELb0ES3_N6thrust23THRUST_200600_302600_NS6detail15normal_iteratorINS9_10device_ptrIiEEEESE_i19const_ref_plus_mod3IiEiEEDaPvRmT3_T4_T5_mT6_P12ihipStream_tbENKUlT_T0_E_clISt17integral_constantIbLb0EEST_IbLb1EEEEDaSP_SQ_EUlSP_E0_NS1_11comp_targetILNS1_3genE10ELNS1_11target_archE1201ELNS1_3gpuE5ELNS1_3repE0EEENS1_30default_config_static_selectorELNS0_4arch9wavefront6targetE1EEEvT1_
	.p2align	8
	.type	_ZN7rocprim17ROCPRIM_400000_NS6detail17trampoline_kernelINS0_14default_configENS1_20scan_config_selectorIiEEZZNS1_9scan_implILNS1_25lookback_scan_determinismE0ELb0ELb0ES3_N6thrust23THRUST_200600_302600_NS6detail15normal_iteratorINS9_10device_ptrIiEEEESE_i19const_ref_plus_mod3IiEiEEDaPvRmT3_T4_T5_mT6_P12ihipStream_tbENKUlT_T0_E_clISt17integral_constantIbLb0EEST_IbLb1EEEEDaSP_SQ_EUlSP_E0_NS1_11comp_targetILNS1_3genE10ELNS1_11target_archE1201ELNS1_3gpuE5ELNS1_3repE0EEENS1_30default_config_static_selectorELNS0_4arch9wavefront6targetE1EEEvT1_,@function
_ZN7rocprim17ROCPRIM_400000_NS6detail17trampoline_kernelINS0_14default_configENS1_20scan_config_selectorIiEEZZNS1_9scan_implILNS1_25lookback_scan_determinismE0ELb0ELb0ES3_N6thrust23THRUST_200600_302600_NS6detail15normal_iteratorINS9_10device_ptrIiEEEESE_i19const_ref_plus_mod3IiEiEEDaPvRmT3_T4_T5_mT6_P12ihipStream_tbENKUlT_T0_E_clISt17integral_constantIbLb0EEST_IbLb1EEEEDaSP_SQ_EUlSP_E0_NS1_11comp_targetILNS1_3genE10ELNS1_11target_archE1201ELNS1_3gpuE5ELNS1_3repE0EEENS1_30default_config_static_selectorELNS0_4arch9wavefront6targetE1EEEvT1_: ; @_ZN7rocprim17ROCPRIM_400000_NS6detail17trampoline_kernelINS0_14default_configENS1_20scan_config_selectorIiEEZZNS1_9scan_implILNS1_25lookback_scan_determinismE0ELb0ELb0ES3_N6thrust23THRUST_200600_302600_NS6detail15normal_iteratorINS9_10device_ptrIiEEEESE_i19const_ref_plus_mod3IiEiEEDaPvRmT3_T4_T5_mT6_P12ihipStream_tbENKUlT_T0_E_clISt17integral_constantIbLb0EEST_IbLb1EEEEDaSP_SQ_EUlSP_E0_NS1_11comp_targetILNS1_3genE10ELNS1_11target_archE1201ELNS1_3gpuE5ELNS1_3repE0EEENS1_30default_config_static_selectorELNS0_4arch9wavefront6targetE1EEEvT1_
; %bb.0:
	.section	.rodata,"a",@progbits
	.p2align	6, 0x0
	.amdhsa_kernel _ZN7rocprim17ROCPRIM_400000_NS6detail17trampoline_kernelINS0_14default_configENS1_20scan_config_selectorIiEEZZNS1_9scan_implILNS1_25lookback_scan_determinismE0ELb0ELb0ES3_N6thrust23THRUST_200600_302600_NS6detail15normal_iteratorINS9_10device_ptrIiEEEESE_i19const_ref_plus_mod3IiEiEEDaPvRmT3_T4_T5_mT6_P12ihipStream_tbENKUlT_T0_E_clISt17integral_constantIbLb0EEST_IbLb1EEEEDaSP_SQ_EUlSP_E0_NS1_11comp_targetILNS1_3genE10ELNS1_11target_archE1201ELNS1_3gpuE5ELNS1_3repE0EEENS1_30default_config_static_selectorELNS0_4arch9wavefront6targetE1EEEvT1_
		.amdhsa_group_segment_fixed_size 0
		.amdhsa_private_segment_fixed_size 0
		.amdhsa_kernarg_size 40
		.amdhsa_user_sgpr_count 6
		.amdhsa_user_sgpr_private_segment_buffer 1
		.amdhsa_user_sgpr_dispatch_ptr 0
		.amdhsa_user_sgpr_queue_ptr 0
		.amdhsa_user_sgpr_kernarg_segment_ptr 1
		.amdhsa_user_sgpr_dispatch_id 0
		.amdhsa_user_sgpr_flat_scratch_init 0
		.amdhsa_user_sgpr_kernarg_preload_length 0
		.amdhsa_user_sgpr_kernarg_preload_offset 0
		.amdhsa_user_sgpr_private_segment_size 0
		.amdhsa_uses_dynamic_stack 0
		.amdhsa_system_sgpr_private_segment_wavefront_offset 0
		.amdhsa_system_sgpr_workgroup_id_x 1
		.amdhsa_system_sgpr_workgroup_id_y 0
		.amdhsa_system_sgpr_workgroup_id_z 0
		.amdhsa_system_sgpr_workgroup_info 0
		.amdhsa_system_vgpr_workitem_id 0
		.amdhsa_next_free_vgpr 1
		.amdhsa_next_free_sgpr 0
		.amdhsa_accum_offset 4
		.amdhsa_reserve_vcc 0
		.amdhsa_reserve_flat_scratch 0
		.amdhsa_float_round_mode_32 0
		.amdhsa_float_round_mode_16_64 0
		.amdhsa_float_denorm_mode_32 3
		.amdhsa_float_denorm_mode_16_64 3
		.amdhsa_dx10_clamp 1
		.amdhsa_ieee_mode 1
		.amdhsa_fp16_overflow 0
		.amdhsa_tg_split 0
		.amdhsa_exception_fp_ieee_invalid_op 0
		.amdhsa_exception_fp_denorm_src 0
		.amdhsa_exception_fp_ieee_div_zero 0
		.amdhsa_exception_fp_ieee_overflow 0
		.amdhsa_exception_fp_ieee_underflow 0
		.amdhsa_exception_fp_ieee_inexact 0
		.amdhsa_exception_int_div_zero 0
	.end_amdhsa_kernel
	.section	.text._ZN7rocprim17ROCPRIM_400000_NS6detail17trampoline_kernelINS0_14default_configENS1_20scan_config_selectorIiEEZZNS1_9scan_implILNS1_25lookback_scan_determinismE0ELb0ELb0ES3_N6thrust23THRUST_200600_302600_NS6detail15normal_iteratorINS9_10device_ptrIiEEEESE_i19const_ref_plus_mod3IiEiEEDaPvRmT3_T4_T5_mT6_P12ihipStream_tbENKUlT_T0_E_clISt17integral_constantIbLb0EEST_IbLb1EEEEDaSP_SQ_EUlSP_E0_NS1_11comp_targetILNS1_3genE10ELNS1_11target_archE1201ELNS1_3gpuE5ELNS1_3repE0EEENS1_30default_config_static_selectorELNS0_4arch9wavefront6targetE1EEEvT1_,"axG",@progbits,_ZN7rocprim17ROCPRIM_400000_NS6detail17trampoline_kernelINS0_14default_configENS1_20scan_config_selectorIiEEZZNS1_9scan_implILNS1_25lookback_scan_determinismE0ELb0ELb0ES3_N6thrust23THRUST_200600_302600_NS6detail15normal_iteratorINS9_10device_ptrIiEEEESE_i19const_ref_plus_mod3IiEiEEDaPvRmT3_T4_T5_mT6_P12ihipStream_tbENKUlT_T0_E_clISt17integral_constantIbLb0EEST_IbLb1EEEEDaSP_SQ_EUlSP_E0_NS1_11comp_targetILNS1_3genE10ELNS1_11target_archE1201ELNS1_3gpuE5ELNS1_3repE0EEENS1_30default_config_static_selectorELNS0_4arch9wavefront6targetE1EEEvT1_,comdat
.Lfunc_end7048:
	.size	_ZN7rocprim17ROCPRIM_400000_NS6detail17trampoline_kernelINS0_14default_configENS1_20scan_config_selectorIiEEZZNS1_9scan_implILNS1_25lookback_scan_determinismE0ELb0ELb0ES3_N6thrust23THRUST_200600_302600_NS6detail15normal_iteratorINS9_10device_ptrIiEEEESE_i19const_ref_plus_mod3IiEiEEDaPvRmT3_T4_T5_mT6_P12ihipStream_tbENKUlT_T0_E_clISt17integral_constantIbLb0EEST_IbLb1EEEEDaSP_SQ_EUlSP_E0_NS1_11comp_targetILNS1_3genE10ELNS1_11target_archE1201ELNS1_3gpuE5ELNS1_3repE0EEENS1_30default_config_static_selectorELNS0_4arch9wavefront6targetE1EEEvT1_, .Lfunc_end7048-_ZN7rocprim17ROCPRIM_400000_NS6detail17trampoline_kernelINS0_14default_configENS1_20scan_config_selectorIiEEZZNS1_9scan_implILNS1_25lookback_scan_determinismE0ELb0ELb0ES3_N6thrust23THRUST_200600_302600_NS6detail15normal_iteratorINS9_10device_ptrIiEEEESE_i19const_ref_plus_mod3IiEiEEDaPvRmT3_T4_T5_mT6_P12ihipStream_tbENKUlT_T0_E_clISt17integral_constantIbLb0EEST_IbLb1EEEEDaSP_SQ_EUlSP_E0_NS1_11comp_targetILNS1_3genE10ELNS1_11target_archE1201ELNS1_3gpuE5ELNS1_3repE0EEENS1_30default_config_static_selectorELNS0_4arch9wavefront6targetE1EEEvT1_
                                        ; -- End function
	.section	.AMDGPU.csdata,"",@progbits
; Kernel info:
; codeLenInByte = 0
; NumSgprs: 4
; NumVgprs: 0
; NumAgprs: 0
; TotalNumVgprs: 0
; ScratchSize: 0
; MemoryBound: 0
; FloatMode: 240
; IeeeMode: 1
; LDSByteSize: 0 bytes/workgroup (compile time only)
; SGPRBlocks: 0
; VGPRBlocks: 0
; NumSGPRsForWavesPerEU: 4
; NumVGPRsForWavesPerEU: 1
; AccumOffset: 4
; Occupancy: 8
; WaveLimiterHint : 0
; COMPUTE_PGM_RSRC2:SCRATCH_EN: 0
; COMPUTE_PGM_RSRC2:USER_SGPR: 6
; COMPUTE_PGM_RSRC2:TRAP_HANDLER: 0
; COMPUTE_PGM_RSRC2:TGID_X_EN: 1
; COMPUTE_PGM_RSRC2:TGID_Y_EN: 0
; COMPUTE_PGM_RSRC2:TGID_Z_EN: 0
; COMPUTE_PGM_RSRC2:TIDIG_COMP_CNT: 0
; COMPUTE_PGM_RSRC3_GFX90A:ACCUM_OFFSET: 0
; COMPUTE_PGM_RSRC3_GFX90A:TG_SPLIT: 0
	.section	.text._ZN7rocprim17ROCPRIM_400000_NS6detail17trampoline_kernelINS0_14default_configENS1_20scan_config_selectorIiEEZZNS1_9scan_implILNS1_25lookback_scan_determinismE0ELb0ELb0ES3_N6thrust23THRUST_200600_302600_NS6detail15normal_iteratorINS9_10device_ptrIiEEEESE_i19const_ref_plus_mod3IiEiEEDaPvRmT3_T4_T5_mT6_P12ihipStream_tbENKUlT_T0_E_clISt17integral_constantIbLb0EEST_IbLb1EEEEDaSP_SQ_EUlSP_E0_NS1_11comp_targetILNS1_3genE10ELNS1_11target_archE1200ELNS1_3gpuE4ELNS1_3repE0EEENS1_30default_config_static_selectorELNS0_4arch9wavefront6targetE1EEEvT1_,"axG",@progbits,_ZN7rocprim17ROCPRIM_400000_NS6detail17trampoline_kernelINS0_14default_configENS1_20scan_config_selectorIiEEZZNS1_9scan_implILNS1_25lookback_scan_determinismE0ELb0ELb0ES3_N6thrust23THRUST_200600_302600_NS6detail15normal_iteratorINS9_10device_ptrIiEEEESE_i19const_ref_plus_mod3IiEiEEDaPvRmT3_T4_T5_mT6_P12ihipStream_tbENKUlT_T0_E_clISt17integral_constantIbLb0EEST_IbLb1EEEEDaSP_SQ_EUlSP_E0_NS1_11comp_targetILNS1_3genE10ELNS1_11target_archE1200ELNS1_3gpuE4ELNS1_3repE0EEENS1_30default_config_static_selectorELNS0_4arch9wavefront6targetE1EEEvT1_,comdat
	.protected	_ZN7rocprim17ROCPRIM_400000_NS6detail17trampoline_kernelINS0_14default_configENS1_20scan_config_selectorIiEEZZNS1_9scan_implILNS1_25lookback_scan_determinismE0ELb0ELb0ES3_N6thrust23THRUST_200600_302600_NS6detail15normal_iteratorINS9_10device_ptrIiEEEESE_i19const_ref_plus_mod3IiEiEEDaPvRmT3_T4_T5_mT6_P12ihipStream_tbENKUlT_T0_E_clISt17integral_constantIbLb0EEST_IbLb1EEEEDaSP_SQ_EUlSP_E0_NS1_11comp_targetILNS1_3genE10ELNS1_11target_archE1200ELNS1_3gpuE4ELNS1_3repE0EEENS1_30default_config_static_selectorELNS0_4arch9wavefront6targetE1EEEvT1_ ; -- Begin function _ZN7rocprim17ROCPRIM_400000_NS6detail17trampoline_kernelINS0_14default_configENS1_20scan_config_selectorIiEEZZNS1_9scan_implILNS1_25lookback_scan_determinismE0ELb0ELb0ES3_N6thrust23THRUST_200600_302600_NS6detail15normal_iteratorINS9_10device_ptrIiEEEESE_i19const_ref_plus_mod3IiEiEEDaPvRmT3_T4_T5_mT6_P12ihipStream_tbENKUlT_T0_E_clISt17integral_constantIbLb0EEST_IbLb1EEEEDaSP_SQ_EUlSP_E0_NS1_11comp_targetILNS1_3genE10ELNS1_11target_archE1200ELNS1_3gpuE4ELNS1_3repE0EEENS1_30default_config_static_selectorELNS0_4arch9wavefront6targetE1EEEvT1_
	.globl	_ZN7rocprim17ROCPRIM_400000_NS6detail17trampoline_kernelINS0_14default_configENS1_20scan_config_selectorIiEEZZNS1_9scan_implILNS1_25lookback_scan_determinismE0ELb0ELb0ES3_N6thrust23THRUST_200600_302600_NS6detail15normal_iteratorINS9_10device_ptrIiEEEESE_i19const_ref_plus_mod3IiEiEEDaPvRmT3_T4_T5_mT6_P12ihipStream_tbENKUlT_T0_E_clISt17integral_constantIbLb0EEST_IbLb1EEEEDaSP_SQ_EUlSP_E0_NS1_11comp_targetILNS1_3genE10ELNS1_11target_archE1200ELNS1_3gpuE4ELNS1_3repE0EEENS1_30default_config_static_selectorELNS0_4arch9wavefront6targetE1EEEvT1_
	.p2align	8
	.type	_ZN7rocprim17ROCPRIM_400000_NS6detail17trampoline_kernelINS0_14default_configENS1_20scan_config_selectorIiEEZZNS1_9scan_implILNS1_25lookback_scan_determinismE0ELb0ELb0ES3_N6thrust23THRUST_200600_302600_NS6detail15normal_iteratorINS9_10device_ptrIiEEEESE_i19const_ref_plus_mod3IiEiEEDaPvRmT3_T4_T5_mT6_P12ihipStream_tbENKUlT_T0_E_clISt17integral_constantIbLb0EEST_IbLb1EEEEDaSP_SQ_EUlSP_E0_NS1_11comp_targetILNS1_3genE10ELNS1_11target_archE1200ELNS1_3gpuE4ELNS1_3repE0EEENS1_30default_config_static_selectorELNS0_4arch9wavefront6targetE1EEEvT1_,@function
_ZN7rocprim17ROCPRIM_400000_NS6detail17trampoline_kernelINS0_14default_configENS1_20scan_config_selectorIiEEZZNS1_9scan_implILNS1_25lookback_scan_determinismE0ELb0ELb0ES3_N6thrust23THRUST_200600_302600_NS6detail15normal_iteratorINS9_10device_ptrIiEEEESE_i19const_ref_plus_mod3IiEiEEDaPvRmT3_T4_T5_mT6_P12ihipStream_tbENKUlT_T0_E_clISt17integral_constantIbLb0EEST_IbLb1EEEEDaSP_SQ_EUlSP_E0_NS1_11comp_targetILNS1_3genE10ELNS1_11target_archE1200ELNS1_3gpuE4ELNS1_3repE0EEENS1_30default_config_static_selectorELNS0_4arch9wavefront6targetE1EEEvT1_: ; @_ZN7rocprim17ROCPRIM_400000_NS6detail17trampoline_kernelINS0_14default_configENS1_20scan_config_selectorIiEEZZNS1_9scan_implILNS1_25lookback_scan_determinismE0ELb0ELb0ES3_N6thrust23THRUST_200600_302600_NS6detail15normal_iteratorINS9_10device_ptrIiEEEESE_i19const_ref_plus_mod3IiEiEEDaPvRmT3_T4_T5_mT6_P12ihipStream_tbENKUlT_T0_E_clISt17integral_constantIbLb0EEST_IbLb1EEEEDaSP_SQ_EUlSP_E0_NS1_11comp_targetILNS1_3genE10ELNS1_11target_archE1200ELNS1_3gpuE4ELNS1_3repE0EEENS1_30default_config_static_selectorELNS0_4arch9wavefront6targetE1EEEvT1_
; %bb.0:
	.section	.rodata,"a",@progbits
	.p2align	6, 0x0
	.amdhsa_kernel _ZN7rocprim17ROCPRIM_400000_NS6detail17trampoline_kernelINS0_14default_configENS1_20scan_config_selectorIiEEZZNS1_9scan_implILNS1_25lookback_scan_determinismE0ELb0ELb0ES3_N6thrust23THRUST_200600_302600_NS6detail15normal_iteratorINS9_10device_ptrIiEEEESE_i19const_ref_plus_mod3IiEiEEDaPvRmT3_T4_T5_mT6_P12ihipStream_tbENKUlT_T0_E_clISt17integral_constantIbLb0EEST_IbLb1EEEEDaSP_SQ_EUlSP_E0_NS1_11comp_targetILNS1_3genE10ELNS1_11target_archE1200ELNS1_3gpuE4ELNS1_3repE0EEENS1_30default_config_static_selectorELNS0_4arch9wavefront6targetE1EEEvT1_
		.amdhsa_group_segment_fixed_size 0
		.amdhsa_private_segment_fixed_size 0
		.amdhsa_kernarg_size 40
		.amdhsa_user_sgpr_count 6
		.amdhsa_user_sgpr_private_segment_buffer 1
		.amdhsa_user_sgpr_dispatch_ptr 0
		.amdhsa_user_sgpr_queue_ptr 0
		.amdhsa_user_sgpr_kernarg_segment_ptr 1
		.amdhsa_user_sgpr_dispatch_id 0
		.amdhsa_user_sgpr_flat_scratch_init 0
		.amdhsa_user_sgpr_kernarg_preload_length 0
		.amdhsa_user_sgpr_kernarg_preload_offset 0
		.amdhsa_user_sgpr_private_segment_size 0
		.amdhsa_uses_dynamic_stack 0
		.amdhsa_system_sgpr_private_segment_wavefront_offset 0
		.amdhsa_system_sgpr_workgroup_id_x 1
		.amdhsa_system_sgpr_workgroup_id_y 0
		.amdhsa_system_sgpr_workgroup_id_z 0
		.amdhsa_system_sgpr_workgroup_info 0
		.amdhsa_system_vgpr_workitem_id 0
		.amdhsa_next_free_vgpr 1
		.amdhsa_next_free_sgpr 0
		.amdhsa_accum_offset 4
		.amdhsa_reserve_vcc 0
		.amdhsa_reserve_flat_scratch 0
		.amdhsa_float_round_mode_32 0
		.amdhsa_float_round_mode_16_64 0
		.amdhsa_float_denorm_mode_32 3
		.amdhsa_float_denorm_mode_16_64 3
		.amdhsa_dx10_clamp 1
		.amdhsa_ieee_mode 1
		.amdhsa_fp16_overflow 0
		.amdhsa_tg_split 0
		.amdhsa_exception_fp_ieee_invalid_op 0
		.amdhsa_exception_fp_denorm_src 0
		.amdhsa_exception_fp_ieee_div_zero 0
		.amdhsa_exception_fp_ieee_overflow 0
		.amdhsa_exception_fp_ieee_underflow 0
		.amdhsa_exception_fp_ieee_inexact 0
		.amdhsa_exception_int_div_zero 0
	.end_amdhsa_kernel
	.section	.text._ZN7rocprim17ROCPRIM_400000_NS6detail17trampoline_kernelINS0_14default_configENS1_20scan_config_selectorIiEEZZNS1_9scan_implILNS1_25lookback_scan_determinismE0ELb0ELb0ES3_N6thrust23THRUST_200600_302600_NS6detail15normal_iteratorINS9_10device_ptrIiEEEESE_i19const_ref_plus_mod3IiEiEEDaPvRmT3_T4_T5_mT6_P12ihipStream_tbENKUlT_T0_E_clISt17integral_constantIbLb0EEST_IbLb1EEEEDaSP_SQ_EUlSP_E0_NS1_11comp_targetILNS1_3genE10ELNS1_11target_archE1200ELNS1_3gpuE4ELNS1_3repE0EEENS1_30default_config_static_selectorELNS0_4arch9wavefront6targetE1EEEvT1_,"axG",@progbits,_ZN7rocprim17ROCPRIM_400000_NS6detail17trampoline_kernelINS0_14default_configENS1_20scan_config_selectorIiEEZZNS1_9scan_implILNS1_25lookback_scan_determinismE0ELb0ELb0ES3_N6thrust23THRUST_200600_302600_NS6detail15normal_iteratorINS9_10device_ptrIiEEEESE_i19const_ref_plus_mod3IiEiEEDaPvRmT3_T4_T5_mT6_P12ihipStream_tbENKUlT_T0_E_clISt17integral_constantIbLb0EEST_IbLb1EEEEDaSP_SQ_EUlSP_E0_NS1_11comp_targetILNS1_3genE10ELNS1_11target_archE1200ELNS1_3gpuE4ELNS1_3repE0EEENS1_30default_config_static_selectorELNS0_4arch9wavefront6targetE1EEEvT1_,comdat
.Lfunc_end7049:
	.size	_ZN7rocprim17ROCPRIM_400000_NS6detail17trampoline_kernelINS0_14default_configENS1_20scan_config_selectorIiEEZZNS1_9scan_implILNS1_25lookback_scan_determinismE0ELb0ELb0ES3_N6thrust23THRUST_200600_302600_NS6detail15normal_iteratorINS9_10device_ptrIiEEEESE_i19const_ref_plus_mod3IiEiEEDaPvRmT3_T4_T5_mT6_P12ihipStream_tbENKUlT_T0_E_clISt17integral_constantIbLb0EEST_IbLb1EEEEDaSP_SQ_EUlSP_E0_NS1_11comp_targetILNS1_3genE10ELNS1_11target_archE1200ELNS1_3gpuE4ELNS1_3repE0EEENS1_30default_config_static_selectorELNS0_4arch9wavefront6targetE1EEEvT1_, .Lfunc_end7049-_ZN7rocprim17ROCPRIM_400000_NS6detail17trampoline_kernelINS0_14default_configENS1_20scan_config_selectorIiEEZZNS1_9scan_implILNS1_25lookback_scan_determinismE0ELb0ELb0ES3_N6thrust23THRUST_200600_302600_NS6detail15normal_iteratorINS9_10device_ptrIiEEEESE_i19const_ref_plus_mod3IiEiEEDaPvRmT3_T4_T5_mT6_P12ihipStream_tbENKUlT_T0_E_clISt17integral_constantIbLb0EEST_IbLb1EEEEDaSP_SQ_EUlSP_E0_NS1_11comp_targetILNS1_3genE10ELNS1_11target_archE1200ELNS1_3gpuE4ELNS1_3repE0EEENS1_30default_config_static_selectorELNS0_4arch9wavefront6targetE1EEEvT1_
                                        ; -- End function
	.section	.AMDGPU.csdata,"",@progbits
; Kernel info:
; codeLenInByte = 0
; NumSgprs: 4
; NumVgprs: 0
; NumAgprs: 0
; TotalNumVgprs: 0
; ScratchSize: 0
; MemoryBound: 0
; FloatMode: 240
; IeeeMode: 1
; LDSByteSize: 0 bytes/workgroup (compile time only)
; SGPRBlocks: 0
; VGPRBlocks: 0
; NumSGPRsForWavesPerEU: 4
; NumVGPRsForWavesPerEU: 1
; AccumOffset: 4
; Occupancy: 8
; WaveLimiterHint : 0
; COMPUTE_PGM_RSRC2:SCRATCH_EN: 0
; COMPUTE_PGM_RSRC2:USER_SGPR: 6
; COMPUTE_PGM_RSRC2:TRAP_HANDLER: 0
; COMPUTE_PGM_RSRC2:TGID_X_EN: 1
; COMPUTE_PGM_RSRC2:TGID_Y_EN: 0
; COMPUTE_PGM_RSRC2:TGID_Z_EN: 0
; COMPUTE_PGM_RSRC2:TIDIG_COMP_CNT: 0
; COMPUTE_PGM_RSRC3_GFX90A:ACCUM_OFFSET: 0
; COMPUTE_PGM_RSRC3_GFX90A:TG_SPLIT: 0
	.section	.text._ZN7rocprim17ROCPRIM_400000_NS6detail17trampoline_kernelINS0_14default_configENS1_20scan_config_selectorIiEEZZNS1_9scan_implILNS1_25lookback_scan_determinismE0ELb0ELb0ES3_N6thrust23THRUST_200600_302600_NS6detail15normal_iteratorINS9_10device_ptrIiEEEESE_i19const_ref_plus_mod3IiEiEEDaPvRmT3_T4_T5_mT6_P12ihipStream_tbENKUlT_T0_E_clISt17integral_constantIbLb0EEST_IbLb1EEEEDaSP_SQ_EUlSP_E0_NS1_11comp_targetILNS1_3genE9ELNS1_11target_archE1100ELNS1_3gpuE3ELNS1_3repE0EEENS1_30default_config_static_selectorELNS0_4arch9wavefront6targetE1EEEvT1_,"axG",@progbits,_ZN7rocprim17ROCPRIM_400000_NS6detail17trampoline_kernelINS0_14default_configENS1_20scan_config_selectorIiEEZZNS1_9scan_implILNS1_25lookback_scan_determinismE0ELb0ELb0ES3_N6thrust23THRUST_200600_302600_NS6detail15normal_iteratorINS9_10device_ptrIiEEEESE_i19const_ref_plus_mod3IiEiEEDaPvRmT3_T4_T5_mT6_P12ihipStream_tbENKUlT_T0_E_clISt17integral_constantIbLb0EEST_IbLb1EEEEDaSP_SQ_EUlSP_E0_NS1_11comp_targetILNS1_3genE9ELNS1_11target_archE1100ELNS1_3gpuE3ELNS1_3repE0EEENS1_30default_config_static_selectorELNS0_4arch9wavefront6targetE1EEEvT1_,comdat
	.protected	_ZN7rocprim17ROCPRIM_400000_NS6detail17trampoline_kernelINS0_14default_configENS1_20scan_config_selectorIiEEZZNS1_9scan_implILNS1_25lookback_scan_determinismE0ELb0ELb0ES3_N6thrust23THRUST_200600_302600_NS6detail15normal_iteratorINS9_10device_ptrIiEEEESE_i19const_ref_plus_mod3IiEiEEDaPvRmT3_T4_T5_mT6_P12ihipStream_tbENKUlT_T0_E_clISt17integral_constantIbLb0EEST_IbLb1EEEEDaSP_SQ_EUlSP_E0_NS1_11comp_targetILNS1_3genE9ELNS1_11target_archE1100ELNS1_3gpuE3ELNS1_3repE0EEENS1_30default_config_static_selectorELNS0_4arch9wavefront6targetE1EEEvT1_ ; -- Begin function _ZN7rocprim17ROCPRIM_400000_NS6detail17trampoline_kernelINS0_14default_configENS1_20scan_config_selectorIiEEZZNS1_9scan_implILNS1_25lookback_scan_determinismE0ELb0ELb0ES3_N6thrust23THRUST_200600_302600_NS6detail15normal_iteratorINS9_10device_ptrIiEEEESE_i19const_ref_plus_mod3IiEiEEDaPvRmT3_T4_T5_mT6_P12ihipStream_tbENKUlT_T0_E_clISt17integral_constantIbLb0EEST_IbLb1EEEEDaSP_SQ_EUlSP_E0_NS1_11comp_targetILNS1_3genE9ELNS1_11target_archE1100ELNS1_3gpuE3ELNS1_3repE0EEENS1_30default_config_static_selectorELNS0_4arch9wavefront6targetE1EEEvT1_
	.globl	_ZN7rocprim17ROCPRIM_400000_NS6detail17trampoline_kernelINS0_14default_configENS1_20scan_config_selectorIiEEZZNS1_9scan_implILNS1_25lookback_scan_determinismE0ELb0ELb0ES3_N6thrust23THRUST_200600_302600_NS6detail15normal_iteratorINS9_10device_ptrIiEEEESE_i19const_ref_plus_mod3IiEiEEDaPvRmT3_T4_T5_mT6_P12ihipStream_tbENKUlT_T0_E_clISt17integral_constantIbLb0EEST_IbLb1EEEEDaSP_SQ_EUlSP_E0_NS1_11comp_targetILNS1_3genE9ELNS1_11target_archE1100ELNS1_3gpuE3ELNS1_3repE0EEENS1_30default_config_static_selectorELNS0_4arch9wavefront6targetE1EEEvT1_
	.p2align	8
	.type	_ZN7rocprim17ROCPRIM_400000_NS6detail17trampoline_kernelINS0_14default_configENS1_20scan_config_selectorIiEEZZNS1_9scan_implILNS1_25lookback_scan_determinismE0ELb0ELb0ES3_N6thrust23THRUST_200600_302600_NS6detail15normal_iteratorINS9_10device_ptrIiEEEESE_i19const_ref_plus_mod3IiEiEEDaPvRmT3_T4_T5_mT6_P12ihipStream_tbENKUlT_T0_E_clISt17integral_constantIbLb0EEST_IbLb1EEEEDaSP_SQ_EUlSP_E0_NS1_11comp_targetILNS1_3genE9ELNS1_11target_archE1100ELNS1_3gpuE3ELNS1_3repE0EEENS1_30default_config_static_selectorELNS0_4arch9wavefront6targetE1EEEvT1_,@function
_ZN7rocprim17ROCPRIM_400000_NS6detail17trampoline_kernelINS0_14default_configENS1_20scan_config_selectorIiEEZZNS1_9scan_implILNS1_25lookback_scan_determinismE0ELb0ELb0ES3_N6thrust23THRUST_200600_302600_NS6detail15normal_iteratorINS9_10device_ptrIiEEEESE_i19const_ref_plus_mod3IiEiEEDaPvRmT3_T4_T5_mT6_P12ihipStream_tbENKUlT_T0_E_clISt17integral_constantIbLb0EEST_IbLb1EEEEDaSP_SQ_EUlSP_E0_NS1_11comp_targetILNS1_3genE9ELNS1_11target_archE1100ELNS1_3gpuE3ELNS1_3repE0EEENS1_30default_config_static_selectorELNS0_4arch9wavefront6targetE1EEEvT1_: ; @_ZN7rocprim17ROCPRIM_400000_NS6detail17trampoline_kernelINS0_14default_configENS1_20scan_config_selectorIiEEZZNS1_9scan_implILNS1_25lookback_scan_determinismE0ELb0ELb0ES3_N6thrust23THRUST_200600_302600_NS6detail15normal_iteratorINS9_10device_ptrIiEEEESE_i19const_ref_plus_mod3IiEiEEDaPvRmT3_T4_T5_mT6_P12ihipStream_tbENKUlT_T0_E_clISt17integral_constantIbLb0EEST_IbLb1EEEEDaSP_SQ_EUlSP_E0_NS1_11comp_targetILNS1_3genE9ELNS1_11target_archE1100ELNS1_3gpuE3ELNS1_3repE0EEENS1_30default_config_static_selectorELNS0_4arch9wavefront6targetE1EEEvT1_
; %bb.0:
	.section	.rodata,"a",@progbits
	.p2align	6, 0x0
	.amdhsa_kernel _ZN7rocprim17ROCPRIM_400000_NS6detail17trampoline_kernelINS0_14default_configENS1_20scan_config_selectorIiEEZZNS1_9scan_implILNS1_25lookback_scan_determinismE0ELb0ELb0ES3_N6thrust23THRUST_200600_302600_NS6detail15normal_iteratorINS9_10device_ptrIiEEEESE_i19const_ref_plus_mod3IiEiEEDaPvRmT3_T4_T5_mT6_P12ihipStream_tbENKUlT_T0_E_clISt17integral_constantIbLb0EEST_IbLb1EEEEDaSP_SQ_EUlSP_E0_NS1_11comp_targetILNS1_3genE9ELNS1_11target_archE1100ELNS1_3gpuE3ELNS1_3repE0EEENS1_30default_config_static_selectorELNS0_4arch9wavefront6targetE1EEEvT1_
		.amdhsa_group_segment_fixed_size 0
		.amdhsa_private_segment_fixed_size 0
		.amdhsa_kernarg_size 40
		.amdhsa_user_sgpr_count 6
		.amdhsa_user_sgpr_private_segment_buffer 1
		.amdhsa_user_sgpr_dispatch_ptr 0
		.amdhsa_user_sgpr_queue_ptr 0
		.amdhsa_user_sgpr_kernarg_segment_ptr 1
		.amdhsa_user_sgpr_dispatch_id 0
		.amdhsa_user_sgpr_flat_scratch_init 0
		.amdhsa_user_sgpr_kernarg_preload_length 0
		.amdhsa_user_sgpr_kernarg_preload_offset 0
		.amdhsa_user_sgpr_private_segment_size 0
		.amdhsa_uses_dynamic_stack 0
		.amdhsa_system_sgpr_private_segment_wavefront_offset 0
		.amdhsa_system_sgpr_workgroup_id_x 1
		.amdhsa_system_sgpr_workgroup_id_y 0
		.amdhsa_system_sgpr_workgroup_id_z 0
		.amdhsa_system_sgpr_workgroup_info 0
		.amdhsa_system_vgpr_workitem_id 0
		.amdhsa_next_free_vgpr 1
		.amdhsa_next_free_sgpr 0
		.amdhsa_accum_offset 4
		.amdhsa_reserve_vcc 0
		.amdhsa_reserve_flat_scratch 0
		.amdhsa_float_round_mode_32 0
		.amdhsa_float_round_mode_16_64 0
		.amdhsa_float_denorm_mode_32 3
		.amdhsa_float_denorm_mode_16_64 3
		.amdhsa_dx10_clamp 1
		.amdhsa_ieee_mode 1
		.amdhsa_fp16_overflow 0
		.amdhsa_tg_split 0
		.amdhsa_exception_fp_ieee_invalid_op 0
		.amdhsa_exception_fp_denorm_src 0
		.amdhsa_exception_fp_ieee_div_zero 0
		.amdhsa_exception_fp_ieee_overflow 0
		.amdhsa_exception_fp_ieee_underflow 0
		.amdhsa_exception_fp_ieee_inexact 0
		.amdhsa_exception_int_div_zero 0
	.end_amdhsa_kernel
	.section	.text._ZN7rocprim17ROCPRIM_400000_NS6detail17trampoline_kernelINS0_14default_configENS1_20scan_config_selectorIiEEZZNS1_9scan_implILNS1_25lookback_scan_determinismE0ELb0ELb0ES3_N6thrust23THRUST_200600_302600_NS6detail15normal_iteratorINS9_10device_ptrIiEEEESE_i19const_ref_plus_mod3IiEiEEDaPvRmT3_T4_T5_mT6_P12ihipStream_tbENKUlT_T0_E_clISt17integral_constantIbLb0EEST_IbLb1EEEEDaSP_SQ_EUlSP_E0_NS1_11comp_targetILNS1_3genE9ELNS1_11target_archE1100ELNS1_3gpuE3ELNS1_3repE0EEENS1_30default_config_static_selectorELNS0_4arch9wavefront6targetE1EEEvT1_,"axG",@progbits,_ZN7rocprim17ROCPRIM_400000_NS6detail17trampoline_kernelINS0_14default_configENS1_20scan_config_selectorIiEEZZNS1_9scan_implILNS1_25lookback_scan_determinismE0ELb0ELb0ES3_N6thrust23THRUST_200600_302600_NS6detail15normal_iteratorINS9_10device_ptrIiEEEESE_i19const_ref_plus_mod3IiEiEEDaPvRmT3_T4_T5_mT6_P12ihipStream_tbENKUlT_T0_E_clISt17integral_constantIbLb0EEST_IbLb1EEEEDaSP_SQ_EUlSP_E0_NS1_11comp_targetILNS1_3genE9ELNS1_11target_archE1100ELNS1_3gpuE3ELNS1_3repE0EEENS1_30default_config_static_selectorELNS0_4arch9wavefront6targetE1EEEvT1_,comdat
.Lfunc_end7050:
	.size	_ZN7rocprim17ROCPRIM_400000_NS6detail17trampoline_kernelINS0_14default_configENS1_20scan_config_selectorIiEEZZNS1_9scan_implILNS1_25lookback_scan_determinismE0ELb0ELb0ES3_N6thrust23THRUST_200600_302600_NS6detail15normal_iteratorINS9_10device_ptrIiEEEESE_i19const_ref_plus_mod3IiEiEEDaPvRmT3_T4_T5_mT6_P12ihipStream_tbENKUlT_T0_E_clISt17integral_constantIbLb0EEST_IbLb1EEEEDaSP_SQ_EUlSP_E0_NS1_11comp_targetILNS1_3genE9ELNS1_11target_archE1100ELNS1_3gpuE3ELNS1_3repE0EEENS1_30default_config_static_selectorELNS0_4arch9wavefront6targetE1EEEvT1_, .Lfunc_end7050-_ZN7rocprim17ROCPRIM_400000_NS6detail17trampoline_kernelINS0_14default_configENS1_20scan_config_selectorIiEEZZNS1_9scan_implILNS1_25lookback_scan_determinismE0ELb0ELb0ES3_N6thrust23THRUST_200600_302600_NS6detail15normal_iteratorINS9_10device_ptrIiEEEESE_i19const_ref_plus_mod3IiEiEEDaPvRmT3_T4_T5_mT6_P12ihipStream_tbENKUlT_T0_E_clISt17integral_constantIbLb0EEST_IbLb1EEEEDaSP_SQ_EUlSP_E0_NS1_11comp_targetILNS1_3genE9ELNS1_11target_archE1100ELNS1_3gpuE3ELNS1_3repE0EEENS1_30default_config_static_selectorELNS0_4arch9wavefront6targetE1EEEvT1_
                                        ; -- End function
	.section	.AMDGPU.csdata,"",@progbits
; Kernel info:
; codeLenInByte = 0
; NumSgprs: 4
; NumVgprs: 0
; NumAgprs: 0
; TotalNumVgprs: 0
; ScratchSize: 0
; MemoryBound: 0
; FloatMode: 240
; IeeeMode: 1
; LDSByteSize: 0 bytes/workgroup (compile time only)
; SGPRBlocks: 0
; VGPRBlocks: 0
; NumSGPRsForWavesPerEU: 4
; NumVGPRsForWavesPerEU: 1
; AccumOffset: 4
; Occupancy: 8
; WaveLimiterHint : 0
; COMPUTE_PGM_RSRC2:SCRATCH_EN: 0
; COMPUTE_PGM_RSRC2:USER_SGPR: 6
; COMPUTE_PGM_RSRC2:TRAP_HANDLER: 0
; COMPUTE_PGM_RSRC2:TGID_X_EN: 1
; COMPUTE_PGM_RSRC2:TGID_Y_EN: 0
; COMPUTE_PGM_RSRC2:TGID_Z_EN: 0
; COMPUTE_PGM_RSRC2:TIDIG_COMP_CNT: 0
; COMPUTE_PGM_RSRC3_GFX90A:ACCUM_OFFSET: 0
; COMPUTE_PGM_RSRC3_GFX90A:TG_SPLIT: 0
	.section	.text._ZN7rocprim17ROCPRIM_400000_NS6detail17trampoline_kernelINS0_14default_configENS1_20scan_config_selectorIiEEZZNS1_9scan_implILNS1_25lookback_scan_determinismE0ELb0ELb0ES3_N6thrust23THRUST_200600_302600_NS6detail15normal_iteratorINS9_10device_ptrIiEEEESE_i19const_ref_plus_mod3IiEiEEDaPvRmT3_T4_T5_mT6_P12ihipStream_tbENKUlT_T0_E_clISt17integral_constantIbLb0EEST_IbLb1EEEEDaSP_SQ_EUlSP_E0_NS1_11comp_targetILNS1_3genE8ELNS1_11target_archE1030ELNS1_3gpuE2ELNS1_3repE0EEENS1_30default_config_static_selectorELNS0_4arch9wavefront6targetE1EEEvT1_,"axG",@progbits,_ZN7rocprim17ROCPRIM_400000_NS6detail17trampoline_kernelINS0_14default_configENS1_20scan_config_selectorIiEEZZNS1_9scan_implILNS1_25lookback_scan_determinismE0ELb0ELb0ES3_N6thrust23THRUST_200600_302600_NS6detail15normal_iteratorINS9_10device_ptrIiEEEESE_i19const_ref_plus_mod3IiEiEEDaPvRmT3_T4_T5_mT6_P12ihipStream_tbENKUlT_T0_E_clISt17integral_constantIbLb0EEST_IbLb1EEEEDaSP_SQ_EUlSP_E0_NS1_11comp_targetILNS1_3genE8ELNS1_11target_archE1030ELNS1_3gpuE2ELNS1_3repE0EEENS1_30default_config_static_selectorELNS0_4arch9wavefront6targetE1EEEvT1_,comdat
	.protected	_ZN7rocprim17ROCPRIM_400000_NS6detail17trampoline_kernelINS0_14default_configENS1_20scan_config_selectorIiEEZZNS1_9scan_implILNS1_25lookback_scan_determinismE0ELb0ELb0ES3_N6thrust23THRUST_200600_302600_NS6detail15normal_iteratorINS9_10device_ptrIiEEEESE_i19const_ref_plus_mod3IiEiEEDaPvRmT3_T4_T5_mT6_P12ihipStream_tbENKUlT_T0_E_clISt17integral_constantIbLb0EEST_IbLb1EEEEDaSP_SQ_EUlSP_E0_NS1_11comp_targetILNS1_3genE8ELNS1_11target_archE1030ELNS1_3gpuE2ELNS1_3repE0EEENS1_30default_config_static_selectorELNS0_4arch9wavefront6targetE1EEEvT1_ ; -- Begin function _ZN7rocprim17ROCPRIM_400000_NS6detail17trampoline_kernelINS0_14default_configENS1_20scan_config_selectorIiEEZZNS1_9scan_implILNS1_25lookback_scan_determinismE0ELb0ELb0ES3_N6thrust23THRUST_200600_302600_NS6detail15normal_iteratorINS9_10device_ptrIiEEEESE_i19const_ref_plus_mod3IiEiEEDaPvRmT3_T4_T5_mT6_P12ihipStream_tbENKUlT_T0_E_clISt17integral_constantIbLb0EEST_IbLb1EEEEDaSP_SQ_EUlSP_E0_NS1_11comp_targetILNS1_3genE8ELNS1_11target_archE1030ELNS1_3gpuE2ELNS1_3repE0EEENS1_30default_config_static_selectorELNS0_4arch9wavefront6targetE1EEEvT1_
	.globl	_ZN7rocprim17ROCPRIM_400000_NS6detail17trampoline_kernelINS0_14default_configENS1_20scan_config_selectorIiEEZZNS1_9scan_implILNS1_25lookback_scan_determinismE0ELb0ELb0ES3_N6thrust23THRUST_200600_302600_NS6detail15normal_iteratorINS9_10device_ptrIiEEEESE_i19const_ref_plus_mod3IiEiEEDaPvRmT3_T4_T5_mT6_P12ihipStream_tbENKUlT_T0_E_clISt17integral_constantIbLb0EEST_IbLb1EEEEDaSP_SQ_EUlSP_E0_NS1_11comp_targetILNS1_3genE8ELNS1_11target_archE1030ELNS1_3gpuE2ELNS1_3repE0EEENS1_30default_config_static_selectorELNS0_4arch9wavefront6targetE1EEEvT1_
	.p2align	8
	.type	_ZN7rocprim17ROCPRIM_400000_NS6detail17trampoline_kernelINS0_14default_configENS1_20scan_config_selectorIiEEZZNS1_9scan_implILNS1_25lookback_scan_determinismE0ELb0ELb0ES3_N6thrust23THRUST_200600_302600_NS6detail15normal_iteratorINS9_10device_ptrIiEEEESE_i19const_ref_plus_mod3IiEiEEDaPvRmT3_T4_T5_mT6_P12ihipStream_tbENKUlT_T0_E_clISt17integral_constantIbLb0EEST_IbLb1EEEEDaSP_SQ_EUlSP_E0_NS1_11comp_targetILNS1_3genE8ELNS1_11target_archE1030ELNS1_3gpuE2ELNS1_3repE0EEENS1_30default_config_static_selectorELNS0_4arch9wavefront6targetE1EEEvT1_,@function
_ZN7rocprim17ROCPRIM_400000_NS6detail17trampoline_kernelINS0_14default_configENS1_20scan_config_selectorIiEEZZNS1_9scan_implILNS1_25lookback_scan_determinismE0ELb0ELb0ES3_N6thrust23THRUST_200600_302600_NS6detail15normal_iteratorINS9_10device_ptrIiEEEESE_i19const_ref_plus_mod3IiEiEEDaPvRmT3_T4_T5_mT6_P12ihipStream_tbENKUlT_T0_E_clISt17integral_constantIbLb0EEST_IbLb1EEEEDaSP_SQ_EUlSP_E0_NS1_11comp_targetILNS1_3genE8ELNS1_11target_archE1030ELNS1_3gpuE2ELNS1_3repE0EEENS1_30default_config_static_selectorELNS0_4arch9wavefront6targetE1EEEvT1_: ; @_ZN7rocprim17ROCPRIM_400000_NS6detail17trampoline_kernelINS0_14default_configENS1_20scan_config_selectorIiEEZZNS1_9scan_implILNS1_25lookback_scan_determinismE0ELb0ELb0ES3_N6thrust23THRUST_200600_302600_NS6detail15normal_iteratorINS9_10device_ptrIiEEEESE_i19const_ref_plus_mod3IiEiEEDaPvRmT3_T4_T5_mT6_P12ihipStream_tbENKUlT_T0_E_clISt17integral_constantIbLb0EEST_IbLb1EEEEDaSP_SQ_EUlSP_E0_NS1_11comp_targetILNS1_3genE8ELNS1_11target_archE1030ELNS1_3gpuE2ELNS1_3repE0EEENS1_30default_config_static_selectorELNS0_4arch9wavefront6targetE1EEEvT1_
; %bb.0:
	.section	.rodata,"a",@progbits
	.p2align	6, 0x0
	.amdhsa_kernel _ZN7rocprim17ROCPRIM_400000_NS6detail17trampoline_kernelINS0_14default_configENS1_20scan_config_selectorIiEEZZNS1_9scan_implILNS1_25lookback_scan_determinismE0ELb0ELb0ES3_N6thrust23THRUST_200600_302600_NS6detail15normal_iteratorINS9_10device_ptrIiEEEESE_i19const_ref_plus_mod3IiEiEEDaPvRmT3_T4_T5_mT6_P12ihipStream_tbENKUlT_T0_E_clISt17integral_constantIbLb0EEST_IbLb1EEEEDaSP_SQ_EUlSP_E0_NS1_11comp_targetILNS1_3genE8ELNS1_11target_archE1030ELNS1_3gpuE2ELNS1_3repE0EEENS1_30default_config_static_selectorELNS0_4arch9wavefront6targetE1EEEvT1_
		.amdhsa_group_segment_fixed_size 0
		.amdhsa_private_segment_fixed_size 0
		.amdhsa_kernarg_size 40
		.amdhsa_user_sgpr_count 6
		.amdhsa_user_sgpr_private_segment_buffer 1
		.amdhsa_user_sgpr_dispatch_ptr 0
		.amdhsa_user_sgpr_queue_ptr 0
		.amdhsa_user_sgpr_kernarg_segment_ptr 1
		.amdhsa_user_sgpr_dispatch_id 0
		.amdhsa_user_sgpr_flat_scratch_init 0
		.amdhsa_user_sgpr_kernarg_preload_length 0
		.amdhsa_user_sgpr_kernarg_preload_offset 0
		.amdhsa_user_sgpr_private_segment_size 0
		.amdhsa_uses_dynamic_stack 0
		.amdhsa_system_sgpr_private_segment_wavefront_offset 0
		.amdhsa_system_sgpr_workgroup_id_x 1
		.amdhsa_system_sgpr_workgroup_id_y 0
		.amdhsa_system_sgpr_workgroup_id_z 0
		.amdhsa_system_sgpr_workgroup_info 0
		.amdhsa_system_vgpr_workitem_id 0
		.amdhsa_next_free_vgpr 1
		.amdhsa_next_free_sgpr 0
		.amdhsa_accum_offset 4
		.amdhsa_reserve_vcc 0
		.amdhsa_reserve_flat_scratch 0
		.amdhsa_float_round_mode_32 0
		.amdhsa_float_round_mode_16_64 0
		.amdhsa_float_denorm_mode_32 3
		.amdhsa_float_denorm_mode_16_64 3
		.amdhsa_dx10_clamp 1
		.amdhsa_ieee_mode 1
		.amdhsa_fp16_overflow 0
		.amdhsa_tg_split 0
		.amdhsa_exception_fp_ieee_invalid_op 0
		.amdhsa_exception_fp_denorm_src 0
		.amdhsa_exception_fp_ieee_div_zero 0
		.amdhsa_exception_fp_ieee_overflow 0
		.amdhsa_exception_fp_ieee_underflow 0
		.amdhsa_exception_fp_ieee_inexact 0
		.amdhsa_exception_int_div_zero 0
	.end_amdhsa_kernel
	.section	.text._ZN7rocprim17ROCPRIM_400000_NS6detail17trampoline_kernelINS0_14default_configENS1_20scan_config_selectorIiEEZZNS1_9scan_implILNS1_25lookback_scan_determinismE0ELb0ELb0ES3_N6thrust23THRUST_200600_302600_NS6detail15normal_iteratorINS9_10device_ptrIiEEEESE_i19const_ref_plus_mod3IiEiEEDaPvRmT3_T4_T5_mT6_P12ihipStream_tbENKUlT_T0_E_clISt17integral_constantIbLb0EEST_IbLb1EEEEDaSP_SQ_EUlSP_E0_NS1_11comp_targetILNS1_3genE8ELNS1_11target_archE1030ELNS1_3gpuE2ELNS1_3repE0EEENS1_30default_config_static_selectorELNS0_4arch9wavefront6targetE1EEEvT1_,"axG",@progbits,_ZN7rocprim17ROCPRIM_400000_NS6detail17trampoline_kernelINS0_14default_configENS1_20scan_config_selectorIiEEZZNS1_9scan_implILNS1_25lookback_scan_determinismE0ELb0ELb0ES3_N6thrust23THRUST_200600_302600_NS6detail15normal_iteratorINS9_10device_ptrIiEEEESE_i19const_ref_plus_mod3IiEiEEDaPvRmT3_T4_T5_mT6_P12ihipStream_tbENKUlT_T0_E_clISt17integral_constantIbLb0EEST_IbLb1EEEEDaSP_SQ_EUlSP_E0_NS1_11comp_targetILNS1_3genE8ELNS1_11target_archE1030ELNS1_3gpuE2ELNS1_3repE0EEENS1_30default_config_static_selectorELNS0_4arch9wavefront6targetE1EEEvT1_,comdat
.Lfunc_end7051:
	.size	_ZN7rocprim17ROCPRIM_400000_NS6detail17trampoline_kernelINS0_14default_configENS1_20scan_config_selectorIiEEZZNS1_9scan_implILNS1_25lookback_scan_determinismE0ELb0ELb0ES3_N6thrust23THRUST_200600_302600_NS6detail15normal_iteratorINS9_10device_ptrIiEEEESE_i19const_ref_plus_mod3IiEiEEDaPvRmT3_T4_T5_mT6_P12ihipStream_tbENKUlT_T0_E_clISt17integral_constantIbLb0EEST_IbLb1EEEEDaSP_SQ_EUlSP_E0_NS1_11comp_targetILNS1_3genE8ELNS1_11target_archE1030ELNS1_3gpuE2ELNS1_3repE0EEENS1_30default_config_static_selectorELNS0_4arch9wavefront6targetE1EEEvT1_, .Lfunc_end7051-_ZN7rocprim17ROCPRIM_400000_NS6detail17trampoline_kernelINS0_14default_configENS1_20scan_config_selectorIiEEZZNS1_9scan_implILNS1_25lookback_scan_determinismE0ELb0ELb0ES3_N6thrust23THRUST_200600_302600_NS6detail15normal_iteratorINS9_10device_ptrIiEEEESE_i19const_ref_plus_mod3IiEiEEDaPvRmT3_T4_T5_mT6_P12ihipStream_tbENKUlT_T0_E_clISt17integral_constantIbLb0EEST_IbLb1EEEEDaSP_SQ_EUlSP_E0_NS1_11comp_targetILNS1_3genE8ELNS1_11target_archE1030ELNS1_3gpuE2ELNS1_3repE0EEENS1_30default_config_static_selectorELNS0_4arch9wavefront6targetE1EEEvT1_
                                        ; -- End function
	.section	.AMDGPU.csdata,"",@progbits
; Kernel info:
; codeLenInByte = 0
; NumSgprs: 4
; NumVgprs: 0
; NumAgprs: 0
; TotalNumVgprs: 0
; ScratchSize: 0
; MemoryBound: 0
; FloatMode: 240
; IeeeMode: 1
; LDSByteSize: 0 bytes/workgroup (compile time only)
; SGPRBlocks: 0
; VGPRBlocks: 0
; NumSGPRsForWavesPerEU: 4
; NumVGPRsForWavesPerEU: 1
; AccumOffset: 4
; Occupancy: 8
; WaveLimiterHint : 0
; COMPUTE_PGM_RSRC2:SCRATCH_EN: 0
; COMPUTE_PGM_RSRC2:USER_SGPR: 6
; COMPUTE_PGM_RSRC2:TRAP_HANDLER: 0
; COMPUTE_PGM_RSRC2:TGID_X_EN: 1
; COMPUTE_PGM_RSRC2:TGID_Y_EN: 0
; COMPUTE_PGM_RSRC2:TGID_Z_EN: 0
; COMPUTE_PGM_RSRC2:TIDIG_COMP_CNT: 0
; COMPUTE_PGM_RSRC3_GFX90A:ACCUM_OFFSET: 0
; COMPUTE_PGM_RSRC3_GFX90A:TG_SPLIT: 0
	.text
	.p2alignl 6, 3212836864
	.fill 256, 4, 3212836864
	.type	__hip_cuid_3aa4be49b31db1a7,@object ; @__hip_cuid_3aa4be49b31db1a7
	.section	.bss,"aw",@nobits
	.globl	__hip_cuid_3aa4be49b31db1a7
__hip_cuid_3aa4be49b31db1a7:
	.byte	0                               ; 0x0
	.size	__hip_cuid_3aa4be49b31db1a7, 1

	.ident	"AMD clang version 19.0.0git (https://github.com/RadeonOpenCompute/llvm-project roc-6.4.0 25133 c7fe45cf4b819c5991fe208aaa96edf142730f1d)"
	.section	".note.GNU-stack","",@progbits
	.addrsig
	.addrsig_sym __hip_cuid_3aa4be49b31db1a7
	.amdgpu_metadata
---
amdhsa.kernels:
  - .agpr_count:     0
    .args:
      - .offset:         0
        .size:           4
        .value_kind:     by_value
      - .address_space:  global
        .offset:         8
        .size:           8
        .value_kind:     global_buffer
      - .address_space:  global
        .offset:         16
        .size:           8
        .value_kind:     global_buffer
    .group_segment_fixed_size: 0
    .kernarg_segment_align: 8
    .kernarg_segment_size: 24
    .language:       OpenCL C
    .language_version:
      - 2
      - 0
    .max_flat_workgroup_size: 256
    .name:           _Z19InclusiveScanKerneliPiS_
    .private_segment_fixed_size: 0
    .sgpr_count:     14
    .sgpr_spill_count: 0
    .symbol:         _Z19InclusiveScanKerneliPiS_.kd
    .uniform_work_group_size: 1
    .uses_dynamic_stack: false
    .vgpr_count:     3
    .vgpr_spill_count: 0
    .wavefront_size: 64
  - .agpr_count:     0
    .args:
      - .offset:         0
        .size:           4
        .value_kind:     by_value
      - .address_space:  global
        .offset:         8
        .size:           8
        .value_kind:     global_buffer
      - .address_space:  global
        .offset:         16
        .size:           8
        .value_kind:     global_buffer
    .group_segment_fixed_size: 0
    .kernarg_segment_align: 8
    .kernarg_segment_size: 24
    .language:       OpenCL C
    .language_version:
      - 2
      - 0
    .max_flat_workgroup_size: 256
    .name:           _Z19ExclusiveScanKerneliPiS_
    .private_segment_fixed_size: 0
    .sgpr_count:     14
    .sgpr_spill_count: 0
    .symbol:         _Z19ExclusiveScanKerneliPiS_.kd
    .uniform_work_group_size: 1
    .uses_dynamic_stack: false
    .vgpr_count:     3
    .vgpr_spill_count: 0
    .wavefront_size: 64
  - .agpr_count:     0
    .args:
      - .offset:         0
        .size:           16
        .value_kind:     by_value
      - .offset:         16
        .size:           8
        .value_kind:     by_value
      - .offset:         24
        .size:           8
        .value_kind:     by_value
    .group_segment_fixed_size: 0
    .kernarg_segment_align: 8
    .kernarg_segment_size: 32
    .language:       OpenCL C
    .language_version:
      - 2
      - 0
    .max_flat_workgroup_size: 256
    .name:           _ZN6thrust23THRUST_200600_302600_NS11hip_rocprim14__parallel_for6kernelILj256ENS1_20__uninitialized_fill7functorINS0_10device_ptrIxEExEEmLj1EEEvT0_T1_SA_
    .private_segment_fixed_size: 0
    .sgpr_count:     20
    .sgpr_spill_count: 0
    .symbol:         _ZN6thrust23THRUST_200600_302600_NS11hip_rocprim14__parallel_for6kernelILj256ENS1_20__uninitialized_fill7functorINS0_10device_ptrIxEExEEmLj1EEEvT0_T1_SA_.kd
    .uniform_work_group_size: 1
    .uses_dynamic_stack: false
    .vgpr_count:     5
    .vgpr_spill_count: 0
    .wavefront_size: 64
  - .agpr_count:     0
    .args:
      - .address_space:  global
        .offset:         0
        .size:           8
        .value_kind:     global_buffer
      - .offset:         8
        .size:           4
        .value_kind:     by_value
      - .offset:         12
        .size:           1
        .value_kind:     by_value
      - .offset:         16
        .size:           4
        .value_kind:     by_value
      - .address_space:  global
        .offset:         24
        .size:           8
        .value_kind:     global_buffer
      - .offset:         32
        .size:           4
        .value_kind:     hidden_block_count_x
      - .offset:         36
        .size:           4
        .value_kind:     hidden_block_count_y
      - .offset:         40
        .size:           4
        .value_kind:     hidden_block_count_z
      - .offset:         44
        .size:           2
        .value_kind:     hidden_group_size_x
      - .offset:         46
        .size:           2
        .value_kind:     hidden_group_size_y
      - .offset:         48
        .size:           2
        .value_kind:     hidden_group_size_z
      - .offset:         50
        .size:           2
        .value_kind:     hidden_remainder_x
      - .offset:         52
        .size:           2
        .value_kind:     hidden_remainder_y
      - .offset:         54
        .size:           2
        .value_kind:     hidden_remainder_z
      - .offset:         72
        .size:           8
        .value_kind:     hidden_global_offset_x
      - .offset:         80
        .size:           8
        .value_kind:     hidden_global_offset_y
      - .offset:         88
        .size:           8
        .value_kind:     hidden_global_offset_z
      - .offset:         96
        .size:           2
        .value_kind:     hidden_grid_dims
    .group_segment_fixed_size: 0
    .kernarg_segment_align: 8
    .kernarg_segment_size: 288
    .language:       OpenCL C
    .language_version:
      - 2
      - 0
    .max_flat_workgroup_size: 256
    .name:           _ZN7rocprim17ROCPRIM_400000_NS6detail31init_lookback_scan_state_kernelINS1_19lookback_scan_stateIxLb0ELb1EEENS1_16block_id_wrapperIjLb0EEEEEvT_jT0_jPNS7_10value_typeE
    .private_segment_fixed_size: 0
    .sgpr_count:     17
    .sgpr_spill_count: 0
    .symbol:         _ZN7rocprim17ROCPRIM_400000_NS6detail31init_lookback_scan_state_kernelINS1_19lookback_scan_stateIxLb0ELb1EEENS1_16block_id_wrapperIjLb0EEEEEvT_jT0_jPNS7_10value_typeE.kd
    .uniform_work_group_size: 1
    .uses_dynamic_stack: false
    .vgpr_count:     10
    .vgpr_spill_count: 0
    .wavefront_size: 64
  - .agpr_count:     0
    .args:
      - .offset:         0
        .size:           104
        .value_kind:     by_value
    .group_segment_fixed_size: 0
    .kernarg_segment_align: 8
    .kernarg_segment_size: 104
    .language:       OpenCL C
    .language_version:
      - 2
      - 0
    .max_flat_workgroup_size: 256
    .name:           _ZN7rocprim17ROCPRIM_400000_NS6detail17trampoline_kernelINS0_14default_configENS1_20scan_config_selectorIxEEZZNS1_9scan_implILNS1_25lookback_scan_determinismE0ELb0ELb0ES3_N6thrust23THRUST_200600_302600_NS6detail15normal_iteratorINS9_10device_ptrIxEEEESE_xNS9_4plusIvEExEEDaPvRmT3_T4_T5_mT6_P12ihipStream_tbENKUlT_T0_E_clISt17integral_constantIbLb0EESU_EEDaSP_SQ_EUlSP_E_NS1_11comp_targetILNS1_3genE0ELNS1_11target_archE4294967295ELNS1_3gpuE0ELNS1_3repE0EEENS1_30default_config_static_selectorELNS0_4arch9wavefront6targetE1EEEvT1_
    .private_segment_fixed_size: 0
    .sgpr_count:     4
    .sgpr_spill_count: 0
    .symbol:         _ZN7rocprim17ROCPRIM_400000_NS6detail17trampoline_kernelINS0_14default_configENS1_20scan_config_selectorIxEEZZNS1_9scan_implILNS1_25lookback_scan_determinismE0ELb0ELb0ES3_N6thrust23THRUST_200600_302600_NS6detail15normal_iteratorINS9_10device_ptrIxEEEESE_xNS9_4plusIvEExEEDaPvRmT3_T4_T5_mT6_P12ihipStream_tbENKUlT_T0_E_clISt17integral_constantIbLb0EESU_EEDaSP_SQ_EUlSP_E_NS1_11comp_targetILNS1_3genE0ELNS1_11target_archE4294967295ELNS1_3gpuE0ELNS1_3repE0EEENS1_30default_config_static_selectorELNS0_4arch9wavefront6targetE1EEEvT1_.kd
    .uniform_work_group_size: 1
    .uses_dynamic_stack: false
    .vgpr_count:     0
    .vgpr_spill_count: 0
    .wavefront_size: 64
  - .agpr_count:     0
    .args:
      - .offset:         0
        .size:           104
        .value_kind:     by_value
    .group_segment_fixed_size: 0
    .kernarg_segment_align: 8
    .kernarg_segment_size: 104
    .language:       OpenCL C
    .language_version:
      - 2
      - 0
    .max_flat_workgroup_size: 256
    .name:           _ZN7rocprim17ROCPRIM_400000_NS6detail17trampoline_kernelINS0_14default_configENS1_20scan_config_selectorIxEEZZNS1_9scan_implILNS1_25lookback_scan_determinismE0ELb0ELb0ES3_N6thrust23THRUST_200600_302600_NS6detail15normal_iteratorINS9_10device_ptrIxEEEESE_xNS9_4plusIvEExEEDaPvRmT3_T4_T5_mT6_P12ihipStream_tbENKUlT_T0_E_clISt17integral_constantIbLb0EESU_EEDaSP_SQ_EUlSP_E_NS1_11comp_targetILNS1_3genE5ELNS1_11target_archE942ELNS1_3gpuE9ELNS1_3repE0EEENS1_30default_config_static_selectorELNS0_4arch9wavefront6targetE1EEEvT1_
    .private_segment_fixed_size: 0
    .sgpr_count:     4
    .sgpr_spill_count: 0
    .symbol:         _ZN7rocprim17ROCPRIM_400000_NS6detail17trampoline_kernelINS0_14default_configENS1_20scan_config_selectorIxEEZZNS1_9scan_implILNS1_25lookback_scan_determinismE0ELb0ELb0ES3_N6thrust23THRUST_200600_302600_NS6detail15normal_iteratorINS9_10device_ptrIxEEEESE_xNS9_4plusIvEExEEDaPvRmT3_T4_T5_mT6_P12ihipStream_tbENKUlT_T0_E_clISt17integral_constantIbLb0EESU_EEDaSP_SQ_EUlSP_E_NS1_11comp_targetILNS1_3genE5ELNS1_11target_archE942ELNS1_3gpuE9ELNS1_3repE0EEENS1_30default_config_static_selectorELNS0_4arch9wavefront6targetE1EEEvT1_.kd
    .uniform_work_group_size: 1
    .uses_dynamic_stack: false
    .vgpr_count:     0
    .vgpr_spill_count: 0
    .wavefront_size: 64
  - .agpr_count:     0
    .args:
      - .offset:         0
        .size:           104
        .value_kind:     by_value
    .group_segment_fixed_size: 7168
    .kernarg_segment_align: 8
    .kernarg_segment_size: 104
    .language:       OpenCL C
    .language_version:
      - 2
      - 0
    .max_flat_workgroup_size: 128
    .name:           _ZN7rocprim17ROCPRIM_400000_NS6detail17trampoline_kernelINS0_14default_configENS1_20scan_config_selectorIxEEZZNS1_9scan_implILNS1_25lookback_scan_determinismE0ELb0ELb0ES3_N6thrust23THRUST_200600_302600_NS6detail15normal_iteratorINS9_10device_ptrIxEEEESE_xNS9_4plusIvEExEEDaPvRmT3_T4_T5_mT6_P12ihipStream_tbENKUlT_T0_E_clISt17integral_constantIbLb0EESU_EEDaSP_SQ_EUlSP_E_NS1_11comp_targetILNS1_3genE4ELNS1_11target_archE910ELNS1_3gpuE8ELNS1_3repE0EEENS1_30default_config_static_selectorELNS0_4arch9wavefront6targetE1EEEvT1_
    .private_segment_fixed_size: 0
    .sgpr_count:     32
    .sgpr_spill_count: 0
    .symbol:         _ZN7rocprim17ROCPRIM_400000_NS6detail17trampoline_kernelINS0_14default_configENS1_20scan_config_selectorIxEEZZNS1_9scan_implILNS1_25lookback_scan_determinismE0ELb0ELb0ES3_N6thrust23THRUST_200600_302600_NS6detail15normal_iteratorINS9_10device_ptrIxEEEESE_xNS9_4plusIvEExEEDaPvRmT3_T4_T5_mT6_P12ihipStream_tbENKUlT_T0_E_clISt17integral_constantIbLb0EESU_EEDaSP_SQ_EUlSP_E_NS1_11comp_targetILNS1_3genE4ELNS1_11target_archE910ELNS1_3gpuE8ELNS1_3repE0EEENS1_30default_config_static_selectorELNS0_4arch9wavefront6targetE1EEEvT1_.kd
    .uniform_work_group_size: 1
    .uses_dynamic_stack: false
    .vgpr_count:     51
    .vgpr_spill_count: 0
    .wavefront_size: 64
  - .agpr_count:     0
    .args:
      - .offset:         0
        .size:           104
        .value_kind:     by_value
    .group_segment_fixed_size: 0
    .kernarg_segment_align: 8
    .kernarg_segment_size: 104
    .language:       OpenCL C
    .language_version:
      - 2
      - 0
    .max_flat_workgroup_size: 256
    .name:           _ZN7rocprim17ROCPRIM_400000_NS6detail17trampoline_kernelINS0_14default_configENS1_20scan_config_selectorIxEEZZNS1_9scan_implILNS1_25lookback_scan_determinismE0ELb0ELb0ES3_N6thrust23THRUST_200600_302600_NS6detail15normal_iteratorINS9_10device_ptrIxEEEESE_xNS9_4plusIvEExEEDaPvRmT3_T4_T5_mT6_P12ihipStream_tbENKUlT_T0_E_clISt17integral_constantIbLb0EESU_EEDaSP_SQ_EUlSP_E_NS1_11comp_targetILNS1_3genE3ELNS1_11target_archE908ELNS1_3gpuE7ELNS1_3repE0EEENS1_30default_config_static_selectorELNS0_4arch9wavefront6targetE1EEEvT1_
    .private_segment_fixed_size: 0
    .sgpr_count:     4
    .sgpr_spill_count: 0
    .symbol:         _ZN7rocprim17ROCPRIM_400000_NS6detail17trampoline_kernelINS0_14default_configENS1_20scan_config_selectorIxEEZZNS1_9scan_implILNS1_25lookback_scan_determinismE0ELb0ELb0ES3_N6thrust23THRUST_200600_302600_NS6detail15normal_iteratorINS9_10device_ptrIxEEEESE_xNS9_4plusIvEExEEDaPvRmT3_T4_T5_mT6_P12ihipStream_tbENKUlT_T0_E_clISt17integral_constantIbLb0EESU_EEDaSP_SQ_EUlSP_E_NS1_11comp_targetILNS1_3genE3ELNS1_11target_archE908ELNS1_3gpuE7ELNS1_3repE0EEENS1_30default_config_static_selectorELNS0_4arch9wavefront6targetE1EEEvT1_.kd
    .uniform_work_group_size: 1
    .uses_dynamic_stack: false
    .vgpr_count:     0
    .vgpr_spill_count: 0
    .wavefront_size: 64
  - .agpr_count:     0
    .args:
      - .offset:         0
        .size:           104
        .value_kind:     by_value
    .group_segment_fixed_size: 0
    .kernarg_segment_align: 8
    .kernarg_segment_size: 104
    .language:       OpenCL C
    .language_version:
      - 2
      - 0
    .max_flat_workgroup_size: 64
    .name:           _ZN7rocprim17ROCPRIM_400000_NS6detail17trampoline_kernelINS0_14default_configENS1_20scan_config_selectorIxEEZZNS1_9scan_implILNS1_25lookback_scan_determinismE0ELb0ELb0ES3_N6thrust23THRUST_200600_302600_NS6detail15normal_iteratorINS9_10device_ptrIxEEEESE_xNS9_4plusIvEExEEDaPvRmT3_T4_T5_mT6_P12ihipStream_tbENKUlT_T0_E_clISt17integral_constantIbLb0EESU_EEDaSP_SQ_EUlSP_E_NS1_11comp_targetILNS1_3genE2ELNS1_11target_archE906ELNS1_3gpuE6ELNS1_3repE0EEENS1_30default_config_static_selectorELNS0_4arch9wavefront6targetE1EEEvT1_
    .private_segment_fixed_size: 0
    .sgpr_count:     4
    .sgpr_spill_count: 0
    .symbol:         _ZN7rocprim17ROCPRIM_400000_NS6detail17trampoline_kernelINS0_14default_configENS1_20scan_config_selectorIxEEZZNS1_9scan_implILNS1_25lookback_scan_determinismE0ELb0ELb0ES3_N6thrust23THRUST_200600_302600_NS6detail15normal_iteratorINS9_10device_ptrIxEEEESE_xNS9_4plusIvEExEEDaPvRmT3_T4_T5_mT6_P12ihipStream_tbENKUlT_T0_E_clISt17integral_constantIbLb0EESU_EEDaSP_SQ_EUlSP_E_NS1_11comp_targetILNS1_3genE2ELNS1_11target_archE906ELNS1_3gpuE6ELNS1_3repE0EEENS1_30default_config_static_selectorELNS0_4arch9wavefront6targetE1EEEvT1_.kd
    .uniform_work_group_size: 1
    .uses_dynamic_stack: false
    .vgpr_count:     0
    .vgpr_spill_count: 0
    .wavefront_size: 64
  - .agpr_count:     0
    .args:
      - .offset:         0
        .size:           104
        .value_kind:     by_value
    .group_segment_fixed_size: 0
    .kernarg_segment_align: 8
    .kernarg_segment_size: 104
    .language:       OpenCL C
    .language_version:
      - 2
      - 0
    .max_flat_workgroup_size: 256
    .name:           _ZN7rocprim17ROCPRIM_400000_NS6detail17trampoline_kernelINS0_14default_configENS1_20scan_config_selectorIxEEZZNS1_9scan_implILNS1_25lookback_scan_determinismE0ELb0ELb0ES3_N6thrust23THRUST_200600_302600_NS6detail15normal_iteratorINS9_10device_ptrIxEEEESE_xNS9_4plusIvEExEEDaPvRmT3_T4_T5_mT6_P12ihipStream_tbENKUlT_T0_E_clISt17integral_constantIbLb0EESU_EEDaSP_SQ_EUlSP_E_NS1_11comp_targetILNS1_3genE10ELNS1_11target_archE1201ELNS1_3gpuE5ELNS1_3repE0EEENS1_30default_config_static_selectorELNS0_4arch9wavefront6targetE1EEEvT1_
    .private_segment_fixed_size: 0
    .sgpr_count:     4
    .sgpr_spill_count: 0
    .symbol:         _ZN7rocprim17ROCPRIM_400000_NS6detail17trampoline_kernelINS0_14default_configENS1_20scan_config_selectorIxEEZZNS1_9scan_implILNS1_25lookback_scan_determinismE0ELb0ELb0ES3_N6thrust23THRUST_200600_302600_NS6detail15normal_iteratorINS9_10device_ptrIxEEEESE_xNS9_4plusIvEExEEDaPvRmT3_T4_T5_mT6_P12ihipStream_tbENKUlT_T0_E_clISt17integral_constantIbLb0EESU_EEDaSP_SQ_EUlSP_E_NS1_11comp_targetILNS1_3genE10ELNS1_11target_archE1201ELNS1_3gpuE5ELNS1_3repE0EEENS1_30default_config_static_selectorELNS0_4arch9wavefront6targetE1EEEvT1_.kd
    .uniform_work_group_size: 1
    .uses_dynamic_stack: false
    .vgpr_count:     0
    .vgpr_spill_count: 0
    .wavefront_size: 64
  - .agpr_count:     0
    .args:
      - .offset:         0
        .size:           104
        .value_kind:     by_value
    .group_segment_fixed_size: 0
    .kernarg_segment_align: 8
    .kernarg_segment_size: 104
    .language:       OpenCL C
    .language_version:
      - 2
      - 0
    .max_flat_workgroup_size: 256
    .name:           _ZN7rocprim17ROCPRIM_400000_NS6detail17trampoline_kernelINS0_14default_configENS1_20scan_config_selectorIxEEZZNS1_9scan_implILNS1_25lookback_scan_determinismE0ELb0ELb0ES3_N6thrust23THRUST_200600_302600_NS6detail15normal_iteratorINS9_10device_ptrIxEEEESE_xNS9_4plusIvEExEEDaPvRmT3_T4_T5_mT6_P12ihipStream_tbENKUlT_T0_E_clISt17integral_constantIbLb0EESU_EEDaSP_SQ_EUlSP_E_NS1_11comp_targetILNS1_3genE10ELNS1_11target_archE1200ELNS1_3gpuE4ELNS1_3repE0EEENS1_30default_config_static_selectorELNS0_4arch9wavefront6targetE1EEEvT1_
    .private_segment_fixed_size: 0
    .sgpr_count:     4
    .sgpr_spill_count: 0
    .symbol:         _ZN7rocprim17ROCPRIM_400000_NS6detail17trampoline_kernelINS0_14default_configENS1_20scan_config_selectorIxEEZZNS1_9scan_implILNS1_25lookback_scan_determinismE0ELb0ELb0ES3_N6thrust23THRUST_200600_302600_NS6detail15normal_iteratorINS9_10device_ptrIxEEEESE_xNS9_4plusIvEExEEDaPvRmT3_T4_T5_mT6_P12ihipStream_tbENKUlT_T0_E_clISt17integral_constantIbLb0EESU_EEDaSP_SQ_EUlSP_E_NS1_11comp_targetILNS1_3genE10ELNS1_11target_archE1200ELNS1_3gpuE4ELNS1_3repE0EEENS1_30default_config_static_selectorELNS0_4arch9wavefront6targetE1EEEvT1_.kd
    .uniform_work_group_size: 1
    .uses_dynamic_stack: false
    .vgpr_count:     0
    .vgpr_spill_count: 0
    .wavefront_size: 64
  - .agpr_count:     0
    .args:
      - .offset:         0
        .size:           104
        .value_kind:     by_value
    .group_segment_fixed_size: 0
    .kernarg_segment_align: 8
    .kernarg_segment_size: 104
    .language:       OpenCL C
    .language_version:
      - 2
      - 0
    .max_flat_workgroup_size: 256
    .name:           _ZN7rocprim17ROCPRIM_400000_NS6detail17trampoline_kernelINS0_14default_configENS1_20scan_config_selectorIxEEZZNS1_9scan_implILNS1_25lookback_scan_determinismE0ELb0ELb0ES3_N6thrust23THRUST_200600_302600_NS6detail15normal_iteratorINS9_10device_ptrIxEEEESE_xNS9_4plusIvEExEEDaPvRmT3_T4_T5_mT6_P12ihipStream_tbENKUlT_T0_E_clISt17integral_constantIbLb0EESU_EEDaSP_SQ_EUlSP_E_NS1_11comp_targetILNS1_3genE9ELNS1_11target_archE1100ELNS1_3gpuE3ELNS1_3repE0EEENS1_30default_config_static_selectorELNS0_4arch9wavefront6targetE1EEEvT1_
    .private_segment_fixed_size: 0
    .sgpr_count:     4
    .sgpr_spill_count: 0
    .symbol:         _ZN7rocprim17ROCPRIM_400000_NS6detail17trampoline_kernelINS0_14default_configENS1_20scan_config_selectorIxEEZZNS1_9scan_implILNS1_25lookback_scan_determinismE0ELb0ELb0ES3_N6thrust23THRUST_200600_302600_NS6detail15normal_iteratorINS9_10device_ptrIxEEEESE_xNS9_4plusIvEExEEDaPvRmT3_T4_T5_mT6_P12ihipStream_tbENKUlT_T0_E_clISt17integral_constantIbLb0EESU_EEDaSP_SQ_EUlSP_E_NS1_11comp_targetILNS1_3genE9ELNS1_11target_archE1100ELNS1_3gpuE3ELNS1_3repE0EEENS1_30default_config_static_selectorELNS0_4arch9wavefront6targetE1EEEvT1_.kd
    .uniform_work_group_size: 1
    .uses_dynamic_stack: false
    .vgpr_count:     0
    .vgpr_spill_count: 0
    .wavefront_size: 64
  - .agpr_count:     0
    .args:
      - .offset:         0
        .size:           104
        .value_kind:     by_value
    .group_segment_fixed_size: 0
    .kernarg_segment_align: 8
    .kernarg_segment_size: 104
    .language:       OpenCL C
    .language_version:
      - 2
      - 0
    .max_flat_workgroup_size: 256
    .name:           _ZN7rocprim17ROCPRIM_400000_NS6detail17trampoline_kernelINS0_14default_configENS1_20scan_config_selectorIxEEZZNS1_9scan_implILNS1_25lookback_scan_determinismE0ELb0ELb0ES3_N6thrust23THRUST_200600_302600_NS6detail15normal_iteratorINS9_10device_ptrIxEEEESE_xNS9_4plusIvEExEEDaPvRmT3_T4_T5_mT6_P12ihipStream_tbENKUlT_T0_E_clISt17integral_constantIbLb0EESU_EEDaSP_SQ_EUlSP_E_NS1_11comp_targetILNS1_3genE8ELNS1_11target_archE1030ELNS1_3gpuE2ELNS1_3repE0EEENS1_30default_config_static_selectorELNS0_4arch9wavefront6targetE1EEEvT1_
    .private_segment_fixed_size: 0
    .sgpr_count:     4
    .sgpr_spill_count: 0
    .symbol:         _ZN7rocprim17ROCPRIM_400000_NS6detail17trampoline_kernelINS0_14default_configENS1_20scan_config_selectorIxEEZZNS1_9scan_implILNS1_25lookback_scan_determinismE0ELb0ELb0ES3_N6thrust23THRUST_200600_302600_NS6detail15normal_iteratorINS9_10device_ptrIxEEEESE_xNS9_4plusIvEExEEDaPvRmT3_T4_T5_mT6_P12ihipStream_tbENKUlT_T0_E_clISt17integral_constantIbLb0EESU_EEDaSP_SQ_EUlSP_E_NS1_11comp_targetILNS1_3genE8ELNS1_11target_archE1030ELNS1_3gpuE2ELNS1_3repE0EEENS1_30default_config_static_selectorELNS0_4arch9wavefront6targetE1EEEvT1_.kd
    .uniform_work_group_size: 1
    .uses_dynamic_stack: false
    .vgpr_count:     0
    .vgpr_spill_count: 0
    .wavefront_size: 64
  - .agpr_count:     0
    .args:
      - .offset:         0
        .size:           40
        .value_kind:     by_value
    .group_segment_fixed_size: 0
    .kernarg_segment_align: 8
    .kernarg_segment_size: 40
    .language:       OpenCL C
    .language_version:
      - 2
      - 0
    .max_flat_workgroup_size: 128
    .name:           _ZN7rocprim17ROCPRIM_400000_NS6detail17trampoline_kernelINS0_14default_configENS1_25transform_config_selectorIxLb1EEEZNS1_14transform_implILb1ES3_S5_PxS7_NS0_8identityIxEEEE10hipError_tT2_T3_mT4_P12ihipStream_tbEUlT_E_NS1_11comp_targetILNS1_3genE0ELNS1_11target_archE4294967295ELNS1_3gpuE0ELNS1_3repE0EEENS1_30default_config_static_selectorELNS0_4arch9wavefront6targetE1EEEvT1_
    .private_segment_fixed_size: 0
    .sgpr_count:     4
    .sgpr_spill_count: 0
    .symbol:         _ZN7rocprim17ROCPRIM_400000_NS6detail17trampoline_kernelINS0_14default_configENS1_25transform_config_selectorIxLb1EEEZNS1_14transform_implILb1ES3_S5_PxS7_NS0_8identityIxEEEE10hipError_tT2_T3_mT4_P12ihipStream_tbEUlT_E_NS1_11comp_targetILNS1_3genE0ELNS1_11target_archE4294967295ELNS1_3gpuE0ELNS1_3repE0EEENS1_30default_config_static_selectorELNS0_4arch9wavefront6targetE1EEEvT1_.kd
    .uniform_work_group_size: 1
    .uses_dynamic_stack: false
    .vgpr_count:     0
    .vgpr_spill_count: 0
    .wavefront_size: 64
  - .agpr_count:     0
    .args:
      - .offset:         0
        .size:           40
        .value_kind:     by_value
    .group_segment_fixed_size: 0
    .kernarg_segment_align: 8
    .kernarg_segment_size: 40
    .language:       OpenCL C
    .language_version:
      - 2
      - 0
    .max_flat_workgroup_size: 1024
    .name:           _ZN7rocprim17ROCPRIM_400000_NS6detail17trampoline_kernelINS0_14default_configENS1_25transform_config_selectorIxLb1EEEZNS1_14transform_implILb1ES3_S5_PxS7_NS0_8identityIxEEEE10hipError_tT2_T3_mT4_P12ihipStream_tbEUlT_E_NS1_11comp_targetILNS1_3genE10ELNS1_11target_archE1201ELNS1_3gpuE5ELNS1_3repE0EEENS1_30default_config_static_selectorELNS0_4arch9wavefront6targetE1EEEvT1_
    .private_segment_fixed_size: 0
    .sgpr_count:     4
    .sgpr_spill_count: 0
    .symbol:         _ZN7rocprim17ROCPRIM_400000_NS6detail17trampoline_kernelINS0_14default_configENS1_25transform_config_selectorIxLb1EEEZNS1_14transform_implILb1ES3_S5_PxS7_NS0_8identityIxEEEE10hipError_tT2_T3_mT4_P12ihipStream_tbEUlT_E_NS1_11comp_targetILNS1_3genE10ELNS1_11target_archE1201ELNS1_3gpuE5ELNS1_3repE0EEENS1_30default_config_static_selectorELNS0_4arch9wavefront6targetE1EEEvT1_.kd
    .uniform_work_group_size: 1
    .uses_dynamic_stack: false
    .vgpr_count:     0
    .vgpr_spill_count: 0
    .wavefront_size: 64
  - .agpr_count:     0
    .args:
      - .offset:         0
        .size:           40
        .value_kind:     by_value
    .group_segment_fixed_size: 0
    .kernarg_segment_align: 8
    .kernarg_segment_size: 40
    .language:       OpenCL C
    .language_version:
      - 2
      - 0
    .max_flat_workgroup_size: 512
    .name:           _ZN7rocprim17ROCPRIM_400000_NS6detail17trampoline_kernelINS0_14default_configENS1_25transform_config_selectorIxLb1EEEZNS1_14transform_implILb1ES3_S5_PxS7_NS0_8identityIxEEEE10hipError_tT2_T3_mT4_P12ihipStream_tbEUlT_E_NS1_11comp_targetILNS1_3genE5ELNS1_11target_archE942ELNS1_3gpuE9ELNS1_3repE0EEENS1_30default_config_static_selectorELNS0_4arch9wavefront6targetE1EEEvT1_
    .private_segment_fixed_size: 0
    .sgpr_count:     4
    .sgpr_spill_count: 0
    .symbol:         _ZN7rocprim17ROCPRIM_400000_NS6detail17trampoline_kernelINS0_14default_configENS1_25transform_config_selectorIxLb1EEEZNS1_14transform_implILb1ES3_S5_PxS7_NS0_8identityIxEEEE10hipError_tT2_T3_mT4_P12ihipStream_tbEUlT_E_NS1_11comp_targetILNS1_3genE5ELNS1_11target_archE942ELNS1_3gpuE9ELNS1_3repE0EEENS1_30default_config_static_selectorELNS0_4arch9wavefront6targetE1EEEvT1_.kd
    .uniform_work_group_size: 1
    .uses_dynamic_stack: false
    .vgpr_count:     0
    .vgpr_spill_count: 0
    .wavefront_size: 64
  - .agpr_count:     0
    .args:
      - .offset:         0
        .size:           40
        .value_kind:     by_value
      - .offset:         40
        .size:           4
        .value_kind:     hidden_block_count_x
      - .offset:         44
        .size:           4
        .value_kind:     hidden_block_count_y
      - .offset:         48
        .size:           4
        .value_kind:     hidden_block_count_z
      - .offset:         52
        .size:           2
        .value_kind:     hidden_group_size_x
      - .offset:         54
        .size:           2
        .value_kind:     hidden_group_size_y
      - .offset:         56
        .size:           2
        .value_kind:     hidden_group_size_z
      - .offset:         58
        .size:           2
        .value_kind:     hidden_remainder_x
      - .offset:         60
        .size:           2
        .value_kind:     hidden_remainder_y
      - .offset:         62
        .size:           2
        .value_kind:     hidden_remainder_z
      - .offset:         80
        .size:           8
        .value_kind:     hidden_global_offset_x
      - .offset:         88
        .size:           8
        .value_kind:     hidden_global_offset_y
      - .offset:         96
        .size:           8
        .value_kind:     hidden_global_offset_z
      - .offset:         104
        .size:           2
        .value_kind:     hidden_grid_dims
    .group_segment_fixed_size: 0
    .kernarg_segment_align: 8
    .kernarg_segment_size: 296
    .language:       OpenCL C
    .language_version:
      - 2
      - 0
    .max_flat_workgroup_size: 1024
    .name:           _ZN7rocprim17ROCPRIM_400000_NS6detail17trampoline_kernelINS0_14default_configENS1_25transform_config_selectorIxLb1EEEZNS1_14transform_implILb1ES3_S5_PxS7_NS0_8identityIxEEEE10hipError_tT2_T3_mT4_P12ihipStream_tbEUlT_E_NS1_11comp_targetILNS1_3genE4ELNS1_11target_archE910ELNS1_3gpuE8ELNS1_3repE0EEENS1_30default_config_static_selectorELNS0_4arch9wavefront6targetE1EEEvT1_
    .private_segment_fixed_size: 0
    .sgpr_count:     20
    .sgpr_spill_count: 0
    .symbol:         _ZN7rocprim17ROCPRIM_400000_NS6detail17trampoline_kernelINS0_14default_configENS1_25transform_config_selectorIxLb1EEEZNS1_14transform_implILb1ES3_S5_PxS7_NS0_8identityIxEEEE10hipError_tT2_T3_mT4_P12ihipStream_tbEUlT_E_NS1_11comp_targetILNS1_3genE4ELNS1_11target_archE910ELNS1_3gpuE8ELNS1_3repE0EEENS1_30default_config_static_selectorELNS0_4arch9wavefront6targetE1EEEvT1_.kd
    .uniform_work_group_size: 1
    .uses_dynamic_stack: false
    .vgpr_count:     7
    .vgpr_spill_count: 0
    .wavefront_size: 64
  - .agpr_count:     0
    .args:
      - .offset:         0
        .size:           40
        .value_kind:     by_value
    .group_segment_fixed_size: 0
    .kernarg_segment_align: 8
    .kernarg_segment_size: 40
    .language:       OpenCL C
    .language_version:
      - 2
      - 0
    .max_flat_workgroup_size: 128
    .name:           _ZN7rocprim17ROCPRIM_400000_NS6detail17trampoline_kernelINS0_14default_configENS1_25transform_config_selectorIxLb1EEEZNS1_14transform_implILb1ES3_S5_PxS7_NS0_8identityIxEEEE10hipError_tT2_T3_mT4_P12ihipStream_tbEUlT_E_NS1_11comp_targetILNS1_3genE3ELNS1_11target_archE908ELNS1_3gpuE7ELNS1_3repE0EEENS1_30default_config_static_selectorELNS0_4arch9wavefront6targetE1EEEvT1_
    .private_segment_fixed_size: 0
    .sgpr_count:     4
    .sgpr_spill_count: 0
    .symbol:         _ZN7rocprim17ROCPRIM_400000_NS6detail17trampoline_kernelINS0_14default_configENS1_25transform_config_selectorIxLb1EEEZNS1_14transform_implILb1ES3_S5_PxS7_NS0_8identityIxEEEE10hipError_tT2_T3_mT4_P12ihipStream_tbEUlT_E_NS1_11comp_targetILNS1_3genE3ELNS1_11target_archE908ELNS1_3gpuE7ELNS1_3repE0EEENS1_30default_config_static_selectorELNS0_4arch9wavefront6targetE1EEEvT1_.kd
    .uniform_work_group_size: 1
    .uses_dynamic_stack: false
    .vgpr_count:     0
    .vgpr_spill_count: 0
    .wavefront_size: 64
  - .agpr_count:     0
    .args:
      - .offset:         0
        .size:           40
        .value_kind:     by_value
    .group_segment_fixed_size: 0
    .kernarg_segment_align: 8
    .kernarg_segment_size: 40
    .language:       OpenCL C
    .language_version:
      - 2
      - 0
    .max_flat_workgroup_size: 512
    .name:           _ZN7rocprim17ROCPRIM_400000_NS6detail17trampoline_kernelINS0_14default_configENS1_25transform_config_selectorIxLb1EEEZNS1_14transform_implILb1ES3_S5_PxS7_NS0_8identityIxEEEE10hipError_tT2_T3_mT4_P12ihipStream_tbEUlT_E_NS1_11comp_targetILNS1_3genE2ELNS1_11target_archE906ELNS1_3gpuE6ELNS1_3repE0EEENS1_30default_config_static_selectorELNS0_4arch9wavefront6targetE1EEEvT1_
    .private_segment_fixed_size: 0
    .sgpr_count:     4
    .sgpr_spill_count: 0
    .symbol:         _ZN7rocprim17ROCPRIM_400000_NS6detail17trampoline_kernelINS0_14default_configENS1_25transform_config_selectorIxLb1EEEZNS1_14transform_implILb1ES3_S5_PxS7_NS0_8identityIxEEEE10hipError_tT2_T3_mT4_P12ihipStream_tbEUlT_E_NS1_11comp_targetILNS1_3genE2ELNS1_11target_archE906ELNS1_3gpuE6ELNS1_3repE0EEENS1_30default_config_static_selectorELNS0_4arch9wavefront6targetE1EEEvT1_.kd
    .uniform_work_group_size: 1
    .uses_dynamic_stack: false
    .vgpr_count:     0
    .vgpr_spill_count: 0
    .wavefront_size: 64
  - .agpr_count:     0
    .args:
      - .offset:         0
        .size:           40
        .value_kind:     by_value
    .group_segment_fixed_size: 0
    .kernarg_segment_align: 8
    .kernarg_segment_size: 40
    .language:       OpenCL C
    .language_version:
      - 2
      - 0
    .max_flat_workgroup_size: 1024
    .name:           _ZN7rocprim17ROCPRIM_400000_NS6detail17trampoline_kernelINS0_14default_configENS1_25transform_config_selectorIxLb1EEEZNS1_14transform_implILb1ES3_S5_PxS7_NS0_8identityIxEEEE10hipError_tT2_T3_mT4_P12ihipStream_tbEUlT_E_NS1_11comp_targetILNS1_3genE9ELNS1_11target_archE1100ELNS1_3gpuE3ELNS1_3repE0EEENS1_30default_config_static_selectorELNS0_4arch9wavefront6targetE1EEEvT1_
    .private_segment_fixed_size: 0
    .sgpr_count:     4
    .sgpr_spill_count: 0
    .symbol:         _ZN7rocprim17ROCPRIM_400000_NS6detail17trampoline_kernelINS0_14default_configENS1_25transform_config_selectorIxLb1EEEZNS1_14transform_implILb1ES3_S5_PxS7_NS0_8identityIxEEEE10hipError_tT2_T3_mT4_P12ihipStream_tbEUlT_E_NS1_11comp_targetILNS1_3genE9ELNS1_11target_archE1100ELNS1_3gpuE3ELNS1_3repE0EEENS1_30default_config_static_selectorELNS0_4arch9wavefront6targetE1EEEvT1_.kd
    .uniform_work_group_size: 1
    .uses_dynamic_stack: false
    .vgpr_count:     0
    .vgpr_spill_count: 0
    .wavefront_size: 64
  - .agpr_count:     0
    .args:
      - .offset:         0
        .size:           40
        .value_kind:     by_value
    .group_segment_fixed_size: 0
    .kernarg_segment_align: 8
    .kernarg_segment_size: 40
    .language:       OpenCL C
    .language_version:
      - 2
      - 0
    .max_flat_workgroup_size: 1024
    .name:           _ZN7rocprim17ROCPRIM_400000_NS6detail17trampoline_kernelINS0_14default_configENS1_25transform_config_selectorIxLb1EEEZNS1_14transform_implILb1ES3_S5_PxS7_NS0_8identityIxEEEE10hipError_tT2_T3_mT4_P12ihipStream_tbEUlT_E_NS1_11comp_targetILNS1_3genE8ELNS1_11target_archE1030ELNS1_3gpuE2ELNS1_3repE0EEENS1_30default_config_static_selectorELNS0_4arch9wavefront6targetE1EEEvT1_
    .private_segment_fixed_size: 0
    .sgpr_count:     4
    .sgpr_spill_count: 0
    .symbol:         _ZN7rocprim17ROCPRIM_400000_NS6detail17trampoline_kernelINS0_14default_configENS1_25transform_config_selectorIxLb1EEEZNS1_14transform_implILb1ES3_S5_PxS7_NS0_8identityIxEEEE10hipError_tT2_T3_mT4_P12ihipStream_tbEUlT_E_NS1_11comp_targetILNS1_3genE8ELNS1_11target_archE1030ELNS1_3gpuE2ELNS1_3repE0EEENS1_30default_config_static_selectorELNS0_4arch9wavefront6targetE1EEEvT1_.kd
    .uniform_work_group_size: 1
    .uses_dynamic_stack: false
    .vgpr_count:     0
    .vgpr_spill_count: 0
    .wavefront_size: 64
  - .agpr_count:     0
    .args:
      - .offset:         0
        .size:           40
        .value_kind:     by_value
    .group_segment_fixed_size: 0
    .kernarg_segment_align: 8
    .kernarg_segment_size: 40
    .language:       OpenCL C
    .language_version:
      - 2
      - 0
    .max_flat_workgroup_size: 256
    .name:           _ZN7rocprim17ROCPRIM_400000_NS6detail17trampoline_kernelINS0_14default_configENS1_20scan_config_selectorIxEEZZNS1_9scan_implILNS1_25lookback_scan_determinismE0ELb0ELb0ES3_N6thrust23THRUST_200600_302600_NS6detail15normal_iteratorINS9_10device_ptrIxEEEESE_xNS9_4plusIvEExEEDaPvRmT3_T4_T5_mT6_P12ihipStream_tbENKUlT_T0_E_clISt17integral_constantIbLb0EESU_EEDaSP_SQ_EUlSP_E0_NS1_11comp_targetILNS1_3genE0ELNS1_11target_archE4294967295ELNS1_3gpuE0ELNS1_3repE0EEENS1_30default_config_static_selectorELNS0_4arch9wavefront6targetE1EEEvT1_
    .private_segment_fixed_size: 0
    .sgpr_count:     4
    .sgpr_spill_count: 0
    .symbol:         _ZN7rocprim17ROCPRIM_400000_NS6detail17trampoline_kernelINS0_14default_configENS1_20scan_config_selectorIxEEZZNS1_9scan_implILNS1_25lookback_scan_determinismE0ELb0ELb0ES3_N6thrust23THRUST_200600_302600_NS6detail15normal_iteratorINS9_10device_ptrIxEEEESE_xNS9_4plusIvEExEEDaPvRmT3_T4_T5_mT6_P12ihipStream_tbENKUlT_T0_E_clISt17integral_constantIbLb0EESU_EEDaSP_SQ_EUlSP_E0_NS1_11comp_targetILNS1_3genE0ELNS1_11target_archE4294967295ELNS1_3gpuE0ELNS1_3repE0EEENS1_30default_config_static_selectorELNS0_4arch9wavefront6targetE1EEEvT1_.kd
    .uniform_work_group_size: 1
    .uses_dynamic_stack: false
    .vgpr_count:     0
    .vgpr_spill_count: 0
    .wavefront_size: 64
  - .agpr_count:     0
    .args:
      - .offset:         0
        .size:           40
        .value_kind:     by_value
    .group_segment_fixed_size: 0
    .kernarg_segment_align: 8
    .kernarg_segment_size: 40
    .language:       OpenCL C
    .language_version:
      - 2
      - 0
    .max_flat_workgroup_size: 256
    .name:           _ZN7rocprim17ROCPRIM_400000_NS6detail17trampoline_kernelINS0_14default_configENS1_20scan_config_selectorIxEEZZNS1_9scan_implILNS1_25lookback_scan_determinismE0ELb0ELb0ES3_N6thrust23THRUST_200600_302600_NS6detail15normal_iteratorINS9_10device_ptrIxEEEESE_xNS9_4plusIvEExEEDaPvRmT3_T4_T5_mT6_P12ihipStream_tbENKUlT_T0_E_clISt17integral_constantIbLb0EESU_EEDaSP_SQ_EUlSP_E0_NS1_11comp_targetILNS1_3genE5ELNS1_11target_archE942ELNS1_3gpuE9ELNS1_3repE0EEENS1_30default_config_static_selectorELNS0_4arch9wavefront6targetE1EEEvT1_
    .private_segment_fixed_size: 0
    .sgpr_count:     4
    .sgpr_spill_count: 0
    .symbol:         _ZN7rocprim17ROCPRIM_400000_NS6detail17trampoline_kernelINS0_14default_configENS1_20scan_config_selectorIxEEZZNS1_9scan_implILNS1_25lookback_scan_determinismE0ELb0ELb0ES3_N6thrust23THRUST_200600_302600_NS6detail15normal_iteratorINS9_10device_ptrIxEEEESE_xNS9_4plusIvEExEEDaPvRmT3_T4_T5_mT6_P12ihipStream_tbENKUlT_T0_E_clISt17integral_constantIbLb0EESU_EEDaSP_SQ_EUlSP_E0_NS1_11comp_targetILNS1_3genE5ELNS1_11target_archE942ELNS1_3gpuE9ELNS1_3repE0EEENS1_30default_config_static_selectorELNS0_4arch9wavefront6targetE1EEEvT1_.kd
    .uniform_work_group_size: 1
    .uses_dynamic_stack: false
    .vgpr_count:     0
    .vgpr_spill_count: 0
    .wavefront_size: 64
  - .agpr_count:     0
    .args:
      - .offset:         0
        .size:           40
        .value_kind:     by_value
    .group_segment_fixed_size: 7168
    .kernarg_segment_align: 8
    .kernarg_segment_size: 40
    .language:       OpenCL C
    .language_version:
      - 2
      - 0
    .max_flat_workgroup_size: 128
    .name:           _ZN7rocprim17ROCPRIM_400000_NS6detail17trampoline_kernelINS0_14default_configENS1_20scan_config_selectorIxEEZZNS1_9scan_implILNS1_25lookback_scan_determinismE0ELb0ELb0ES3_N6thrust23THRUST_200600_302600_NS6detail15normal_iteratorINS9_10device_ptrIxEEEESE_xNS9_4plusIvEExEEDaPvRmT3_T4_T5_mT6_P12ihipStream_tbENKUlT_T0_E_clISt17integral_constantIbLb0EESU_EEDaSP_SQ_EUlSP_E0_NS1_11comp_targetILNS1_3genE4ELNS1_11target_archE910ELNS1_3gpuE8ELNS1_3repE0EEENS1_30default_config_static_selectorELNS0_4arch9wavefront6targetE1EEEvT1_
    .private_segment_fixed_size: 0
    .sgpr_count:     26
    .sgpr_spill_count: 0
    .symbol:         _ZN7rocprim17ROCPRIM_400000_NS6detail17trampoline_kernelINS0_14default_configENS1_20scan_config_selectorIxEEZZNS1_9scan_implILNS1_25lookback_scan_determinismE0ELb0ELb0ES3_N6thrust23THRUST_200600_302600_NS6detail15normal_iteratorINS9_10device_ptrIxEEEESE_xNS9_4plusIvEExEEDaPvRmT3_T4_T5_mT6_P12ihipStream_tbENKUlT_T0_E_clISt17integral_constantIbLb0EESU_EEDaSP_SQ_EUlSP_E0_NS1_11comp_targetILNS1_3genE4ELNS1_11target_archE910ELNS1_3gpuE8ELNS1_3repE0EEENS1_30default_config_static_selectorELNS0_4arch9wavefront6targetE1EEEvT1_.kd
    .uniform_work_group_size: 1
    .uses_dynamic_stack: false
    .vgpr_count:     41
    .vgpr_spill_count: 0
    .wavefront_size: 64
  - .agpr_count:     0
    .args:
      - .offset:         0
        .size:           40
        .value_kind:     by_value
    .group_segment_fixed_size: 0
    .kernarg_segment_align: 8
    .kernarg_segment_size: 40
    .language:       OpenCL C
    .language_version:
      - 2
      - 0
    .max_flat_workgroup_size: 256
    .name:           _ZN7rocprim17ROCPRIM_400000_NS6detail17trampoline_kernelINS0_14default_configENS1_20scan_config_selectorIxEEZZNS1_9scan_implILNS1_25lookback_scan_determinismE0ELb0ELb0ES3_N6thrust23THRUST_200600_302600_NS6detail15normal_iteratorINS9_10device_ptrIxEEEESE_xNS9_4plusIvEExEEDaPvRmT3_T4_T5_mT6_P12ihipStream_tbENKUlT_T0_E_clISt17integral_constantIbLb0EESU_EEDaSP_SQ_EUlSP_E0_NS1_11comp_targetILNS1_3genE3ELNS1_11target_archE908ELNS1_3gpuE7ELNS1_3repE0EEENS1_30default_config_static_selectorELNS0_4arch9wavefront6targetE1EEEvT1_
    .private_segment_fixed_size: 0
    .sgpr_count:     4
    .sgpr_spill_count: 0
    .symbol:         _ZN7rocprim17ROCPRIM_400000_NS6detail17trampoline_kernelINS0_14default_configENS1_20scan_config_selectorIxEEZZNS1_9scan_implILNS1_25lookback_scan_determinismE0ELb0ELb0ES3_N6thrust23THRUST_200600_302600_NS6detail15normal_iteratorINS9_10device_ptrIxEEEESE_xNS9_4plusIvEExEEDaPvRmT3_T4_T5_mT6_P12ihipStream_tbENKUlT_T0_E_clISt17integral_constantIbLb0EESU_EEDaSP_SQ_EUlSP_E0_NS1_11comp_targetILNS1_3genE3ELNS1_11target_archE908ELNS1_3gpuE7ELNS1_3repE0EEENS1_30default_config_static_selectorELNS0_4arch9wavefront6targetE1EEEvT1_.kd
    .uniform_work_group_size: 1
    .uses_dynamic_stack: false
    .vgpr_count:     0
    .vgpr_spill_count: 0
    .wavefront_size: 64
  - .agpr_count:     0
    .args:
      - .offset:         0
        .size:           40
        .value_kind:     by_value
    .group_segment_fixed_size: 0
    .kernarg_segment_align: 8
    .kernarg_segment_size: 40
    .language:       OpenCL C
    .language_version:
      - 2
      - 0
    .max_flat_workgroup_size: 64
    .name:           _ZN7rocprim17ROCPRIM_400000_NS6detail17trampoline_kernelINS0_14default_configENS1_20scan_config_selectorIxEEZZNS1_9scan_implILNS1_25lookback_scan_determinismE0ELb0ELb0ES3_N6thrust23THRUST_200600_302600_NS6detail15normal_iteratorINS9_10device_ptrIxEEEESE_xNS9_4plusIvEExEEDaPvRmT3_T4_T5_mT6_P12ihipStream_tbENKUlT_T0_E_clISt17integral_constantIbLb0EESU_EEDaSP_SQ_EUlSP_E0_NS1_11comp_targetILNS1_3genE2ELNS1_11target_archE906ELNS1_3gpuE6ELNS1_3repE0EEENS1_30default_config_static_selectorELNS0_4arch9wavefront6targetE1EEEvT1_
    .private_segment_fixed_size: 0
    .sgpr_count:     4
    .sgpr_spill_count: 0
    .symbol:         _ZN7rocprim17ROCPRIM_400000_NS6detail17trampoline_kernelINS0_14default_configENS1_20scan_config_selectorIxEEZZNS1_9scan_implILNS1_25lookback_scan_determinismE0ELb0ELb0ES3_N6thrust23THRUST_200600_302600_NS6detail15normal_iteratorINS9_10device_ptrIxEEEESE_xNS9_4plusIvEExEEDaPvRmT3_T4_T5_mT6_P12ihipStream_tbENKUlT_T0_E_clISt17integral_constantIbLb0EESU_EEDaSP_SQ_EUlSP_E0_NS1_11comp_targetILNS1_3genE2ELNS1_11target_archE906ELNS1_3gpuE6ELNS1_3repE0EEENS1_30default_config_static_selectorELNS0_4arch9wavefront6targetE1EEEvT1_.kd
    .uniform_work_group_size: 1
    .uses_dynamic_stack: false
    .vgpr_count:     0
    .vgpr_spill_count: 0
    .wavefront_size: 64
  - .agpr_count:     0
    .args:
      - .offset:         0
        .size:           40
        .value_kind:     by_value
    .group_segment_fixed_size: 0
    .kernarg_segment_align: 8
    .kernarg_segment_size: 40
    .language:       OpenCL C
    .language_version:
      - 2
      - 0
    .max_flat_workgroup_size: 256
    .name:           _ZN7rocprim17ROCPRIM_400000_NS6detail17trampoline_kernelINS0_14default_configENS1_20scan_config_selectorIxEEZZNS1_9scan_implILNS1_25lookback_scan_determinismE0ELb0ELb0ES3_N6thrust23THRUST_200600_302600_NS6detail15normal_iteratorINS9_10device_ptrIxEEEESE_xNS9_4plusIvEExEEDaPvRmT3_T4_T5_mT6_P12ihipStream_tbENKUlT_T0_E_clISt17integral_constantIbLb0EESU_EEDaSP_SQ_EUlSP_E0_NS1_11comp_targetILNS1_3genE10ELNS1_11target_archE1201ELNS1_3gpuE5ELNS1_3repE0EEENS1_30default_config_static_selectorELNS0_4arch9wavefront6targetE1EEEvT1_
    .private_segment_fixed_size: 0
    .sgpr_count:     4
    .sgpr_spill_count: 0
    .symbol:         _ZN7rocprim17ROCPRIM_400000_NS6detail17trampoline_kernelINS0_14default_configENS1_20scan_config_selectorIxEEZZNS1_9scan_implILNS1_25lookback_scan_determinismE0ELb0ELb0ES3_N6thrust23THRUST_200600_302600_NS6detail15normal_iteratorINS9_10device_ptrIxEEEESE_xNS9_4plusIvEExEEDaPvRmT3_T4_T5_mT6_P12ihipStream_tbENKUlT_T0_E_clISt17integral_constantIbLb0EESU_EEDaSP_SQ_EUlSP_E0_NS1_11comp_targetILNS1_3genE10ELNS1_11target_archE1201ELNS1_3gpuE5ELNS1_3repE0EEENS1_30default_config_static_selectorELNS0_4arch9wavefront6targetE1EEEvT1_.kd
    .uniform_work_group_size: 1
    .uses_dynamic_stack: false
    .vgpr_count:     0
    .vgpr_spill_count: 0
    .wavefront_size: 64
  - .agpr_count:     0
    .args:
      - .offset:         0
        .size:           40
        .value_kind:     by_value
    .group_segment_fixed_size: 0
    .kernarg_segment_align: 8
    .kernarg_segment_size: 40
    .language:       OpenCL C
    .language_version:
      - 2
      - 0
    .max_flat_workgroup_size: 256
    .name:           _ZN7rocprim17ROCPRIM_400000_NS6detail17trampoline_kernelINS0_14default_configENS1_20scan_config_selectorIxEEZZNS1_9scan_implILNS1_25lookback_scan_determinismE0ELb0ELb0ES3_N6thrust23THRUST_200600_302600_NS6detail15normal_iteratorINS9_10device_ptrIxEEEESE_xNS9_4plusIvEExEEDaPvRmT3_T4_T5_mT6_P12ihipStream_tbENKUlT_T0_E_clISt17integral_constantIbLb0EESU_EEDaSP_SQ_EUlSP_E0_NS1_11comp_targetILNS1_3genE10ELNS1_11target_archE1200ELNS1_3gpuE4ELNS1_3repE0EEENS1_30default_config_static_selectorELNS0_4arch9wavefront6targetE1EEEvT1_
    .private_segment_fixed_size: 0
    .sgpr_count:     4
    .sgpr_spill_count: 0
    .symbol:         _ZN7rocprim17ROCPRIM_400000_NS6detail17trampoline_kernelINS0_14default_configENS1_20scan_config_selectorIxEEZZNS1_9scan_implILNS1_25lookback_scan_determinismE0ELb0ELb0ES3_N6thrust23THRUST_200600_302600_NS6detail15normal_iteratorINS9_10device_ptrIxEEEESE_xNS9_4plusIvEExEEDaPvRmT3_T4_T5_mT6_P12ihipStream_tbENKUlT_T0_E_clISt17integral_constantIbLb0EESU_EEDaSP_SQ_EUlSP_E0_NS1_11comp_targetILNS1_3genE10ELNS1_11target_archE1200ELNS1_3gpuE4ELNS1_3repE0EEENS1_30default_config_static_selectorELNS0_4arch9wavefront6targetE1EEEvT1_.kd
    .uniform_work_group_size: 1
    .uses_dynamic_stack: false
    .vgpr_count:     0
    .vgpr_spill_count: 0
    .wavefront_size: 64
  - .agpr_count:     0
    .args:
      - .offset:         0
        .size:           40
        .value_kind:     by_value
    .group_segment_fixed_size: 0
    .kernarg_segment_align: 8
    .kernarg_segment_size: 40
    .language:       OpenCL C
    .language_version:
      - 2
      - 0
    .max_flat_workgroup_size: 256
    .name:           _ZN7rocprim17ROCPRIM_400000_NS6detail17trampoline_kernelINS0_14default_configENS1_20scan_config_selectorIxEEZZNS1_9scan_implILNS1_25lookback_scan_determinismE0ELb0ELb0ES3_N6thrust23THRUST_200600_302600_NS6detail15normal_iteratorINS9_10device_ptrIxEEEESE_xNS9_4plusIvEExEEDaPvRmT3_T4_T5_mT6_P12ihipStream_tbENKUlT_T0_E_clISt17integral_constantIbLb0EESU_EEDaSP_SQ_EUlSP_E0_NS1_11comp_targetILNS1_3genE9ELNS1_11target_archE1100ELNS1_3gpuE3ELNS1_3repE0EEENS1_30default_config_static_selectorELNS0_4arch9wavefront6targetE1EEEvT1_
    .private_segment_fixed_size: 0
    .sgpr_count:     4
    .sgpr_spill_count: 0
    .symbol:         _ZN7rocprim17ROCPRIM_400000_NS6detail17trampoline_kernelINS0_14default_configENS1_20scan_config_selectorIxEEZZNS1_9scan_implILNS1_25lookback_scan_determinismE0ELb0ELb0ES3_N6thrust23THRUST_200600_302600_NS6detail15normal_iteratorINS9_10device_ptrIxEEEESE_xNS9_4plusIvEExEEDaPvRmT3_T4_T5_mT6_P12ihipStream_tbENKUlT_T0_E_clISt17integral_constantIbLb0EESU_EEDaSP_SQ_EUlSP_E0_NS1_11comp_targetILNS1_3genE9ELNS1_11target_archE1100ELNS1_3gpuE3ELNS1_3repE0EEENS1_30default_config_static_selectorELNS0_4arch9wavefront6targetE1EEEvT1_.kd
    .uniform_work_group_size: 1
    .uses_dynamic_stack: false
    .vgpr_count:     0
    .vgpr_spill_count: 0
    .wavefront_size: 64
  - .agpr_count:     0
    .args:
      - .offset:         0
        .size:           40
        .value_kind:     by_value
    .group_segment_fixed_size: 0
    .kernarg_segment_align: 8
    .kernarg_segment_size: 40
    .language:       OpenCL C
    .language_version:
      - 2
      - 0
    .max_flat_workgroup_size: 256
    .name:           _ZN7rocprim17ROCPRIM_400000_NS6detail17trampoline_kernelINS0_14default_configENS1_20scan_config_selectorIxEEZZNS1_9scan_implILNS1_25lookback_scan_determinismE0ELb0ELb0ES3_N6thrust23THRUST_200600_302600_NS6detail15normal_iteratorINS9_10device_ptrIxEEEESE_xNS9_4plusIvEExEEDaPvRmT3_T4_T5_mT6_P12ihipStream_tbENKUlT_T0_E_clISt17integral_constantIbLb0EESU_EEDaSP_SQ_EUlSP_E0_NS1_11comp_targetILNS1_3genE8ELNS1_11target_archE1030ELNS1_3gpuE2ELNS1_3repE0EEENS1_30default_config_static_selectorELNS0_4arch9wavefront6targetE1EEEvT1_
    .private_segment_fixed_size: 0
    .sgpr_count:     4
    .sgpr_spill_count: 0
    .symbol:         _ZN7rocprim17ROCPRIM_400000_NS6detail17trampoline_kernelINS0_14default_configENS1_20scan_config_selectorIxEEZZNS1_9scan_implILNS1_25lookback_scan_determinismE0ELb0ELb0ES3_N6thrust23THRUST_200600_302600_NS6detail15normal_iteratorINS9_10device_ptrIxEEEESE_xNS9_4plusIvEExEEDaPvRmT3_T4_T5_mT6_P12ihipStream_tbENKUlT_T0_E_clISt17integral_constantIbLb0EESU_EEDaSP_SQ_EUlSP_E0_NS1_11comp_targetILNS1_3genE8ELNS1_11target_archE1030ELNS1_3gpuE2ELNS1_3repE0EEENS1_30default_config_static_selectorELNS0_4arch9wavefront6targetE1EEEvT1_.kd
    .uniform_work_group_size: 1
    .uses_dynamic_stack: false
    .vgpr_count:     0
    .vgpr_spill_count: 0
    .wavefront_size: 64
  - .agpr_count:     0
    .args:
      - .address_space:  global
        .offset:         0
        .size:           8
        .value_kind:     global_buffer
      - .offset:         8
        .size:           4
        .value_kind:     by_value
      - .address_space:  global
        .offset:         16
        .size:           8
        .value_kind:     global_buffer
      - .offset:         24
        .size:           4
        .value_kind:     by_value
      - .address_space:  global
        .offset:         32
        .size:           8
        .value_kind:     global_buffer
      - .offset:         40
        .size:           4
        .value_kind:     hidden_block_count_x
      - .offset:         44
        .size:           4
        .value_kind:     hidden_block_count_y
      - .offset:         48
        .size:           4
        .value_kind:     hidden_block_count_z
      - .offset:         52
        .size:           2
        .value_kind:     hidden_group_size_x
      - .offset:         54
        .size:           2
        .value_kind:     hidden_group_size_y
      - .offset:         56
        .size:           2
        .value_kind:     hidden_group_size_z
      - .offset:         58
        .size:           2
        .value_kind:     hidden_remainder_x
      - .offset:         60
        .size:           2
        .value_kind:     hidden_remainder_y
      - .offset:         62
        .size:           2
        .value_kind:     hidden_remainder_z
      - .offset:         80
        .size:           8
        .value_kind:     hidden_global_offset_x
      - .offset:         88
        .size:           8
        .value_kind:     hidden_global_offset_y
      - .offset:         96
        .size:           8
        .value_kind:     hidden_global_offset_z
      - .offset:         104
        .size:           2
        .value_kind:     hidden_grid_dims
    .group_segment_fixed_size: 0
    .kernarg_segment_align: 8
    .kernarg_segment_size: 296
    .language:       OpenCL C
    .language_version:
      - 2
      - 0
    .max_flat_workgroup_size: 256
    .name:           _ZN7rocprim17ROCPRIM_400000_NS6detail31init_lookback_scan_state_kernelINS1_19lookback_scan_stateIxLb1ELb1EEENS1_16block_id_wrapperIjLb1EEEEEvT_jT0_jPNS7_10value_typeE
    .private_segment_fixed_size: 0
    .sgpr_count:     20
    .sgpr_spill_count: 0
    .symbol:         _ZN7rocprim17ROCPRIM_400000_NS6detail31init_lookback_scan_state_kernelINS1_19lookback_scan_stateIxLb1ELb1EEENS1_16block_id_wrapperIjLb1EEEEEvT_jT0_jPNS7_10value_typeE.kd
    .uniform_work_group_size: 1
    .uses_dynamic_stack: false
    .vgpr_count:     10
    .vgpr_spill_count: 0
    .wavefront_size: 64
  - .agpr_count:     0
    .args:
      - .offset:         0
        .size:           104
        .value_kind:     by_value
    .group_segment_fixed_size: 0
    .kernarg_segment_align: 8
    .kernarg_segment_size: 104
    .language:       OpenCL C
    .language_version:
      - 2
      - 0
    .max_flat_workgroup_size: 256
    .name:           _ZN7rocprim17ROCPRIM_400000_NS6detail17trampoline_kernelINS0_14default_configENS1_20scan_config_selectorIxEEZZNS1_9scan_implILNS1_25lookback_scan_determinismE0ELb0ELb0ES3_N6thrust23THRUST_200600_302600_NS6detail15normal_iteratorINS9_10device_ptrIxEEEESE_xNS9_4plusIvEExEEDaPvRmT3_T4_T5_mT6_P12ihipStream_tbENKUlT_T0_E_clISt17integral_constantIbLb1EESU_EEDaSP_SQ_EUlSP_E_NS1_11comp_targetILNS1_3genE0ELNS1_11target_archE4294967295ELNS1_3gpuE0ELNS1_3repE0EEENS1_30default_config_static_selectorELNS0_4arch9wavefront6targetE1EEEvT1_
    .private_segment_fixed_size: 0
    .sgpr_count:     4
    .sgpr_spill_count: 0
    .symbol:         _ZN7rocprim17ROCPRIM_400000_NS6detail17trampoline_kernelINS0_14default_configENS1_20scan_config_selectorIxEEZZNS1_9scan_implILNS1_25lookback_scan_determinismE0ELb0ELb0ES3_N6thrust23THRUST_200600_302600_NS6detail15normal_iteratorINS9_10device_ptrIxEEEESE_xNS9_4plusIvEExEEDaPvRmT3_T4_T5_mT6_P12ihipStream_tbENKUlT_T0_E_clISt17integral_constantIbLb1EESU_EEDaSP_SQ_EUlSP_E_NS1_11comp_targetILNS1_3genE0ELNS1_11target_archE4294967295ELNS1_3gpuE0ELNS1_3repE0EEENS1_30default_config_static_selectorELNS0_4arch9wavefront6targetE1EEEvT1_.kd
    .uniform_work_group_size: 1
    .uses_dynamic_stack: false
    .vgpr_count:     0
    .vgpr_spill_count: 0
    .wavefront_size: 64
  - .agpr_count:     0
    .args:
      - .offset:         0
        .size:           104
        .value_kind:     by_value
    .group_segment_fixed_size: 0
    .kernarg_segment_align: 8
    .kernarg_segment_size: 104
    .language:       OpenCL C
    .language_version:
      - 2
      - 0
    .max_flat_workgroup_size: 256
    .name:           _ZN7rocprim17ROCPRIM_400000_NS6detail17trampoline_kernelINS0_14default_configENS1_20scan_config_selectorIxEEZZNS1_9scan_implILNS1_25lookback_scan_determinismE0ELb0ELb0ES3_N6thrust23THRUST_200600_302600_NS6detail15normal_iteratorINS9_10device_ptrIxEEEESE_xNS9_4plusIvEExEEDaPvRmT3_T4_T5_mT6_P12ihipStream_tbENKUlT_T0_E_clISt17integral_constantIbLb1EESU_EEDaSP_SQ_EUlSP_E_NS1_11comp_targetILNS1_3genE5ELNS1_11target_archE942ELNS1_3gpuE9ELNS1_3repE0EEENS1_30default_config_static_selectorELNS0_4arch9wavefront6targetE1EEEvT1_
    .private_segment_fixed_size: 0
    .sgpr_count:     4
    .sgpr_spill_count: 0
    .symbol:         _ZN7rocprim17ROCPRIM_400000_NS6detail17trampoline_kernelINS0_14default_configENS1_20scan_config_selectorIxEEZZNS1_9scan_implILNS1_25lookback_scan_determinismE0ELb0ELb0ES3_N6thrust23THRUST_200600_302600_NS6detail15normal_iteratorINS9_10device_ptrIxEEEESE_xNS9_4plusIvEExEEDaPvRmT3_T4_T5_mT6_P12ihipStream_tbENKUlT_T0_E_clISt17integral_constantIbLb1EESU_EEDaSP_SQ_EUlSP_E_NS1_11comp_targetILNS1_3genE5ELNS1_11target_archE942ELNS1_3gpuE9ELNS1_3repE0EEENS1_30default_config_static_selectorELNS0_4arch9wavefront6targetE1EEEvT1_.kd
    .uniform_work_group_size: 1
    .uses_dynamic_stack: false
    .vgpr_count:     0
    .vgpr_spill_count: 0
    .wavefront_size: 64
  - .agpr_count:     0
    .args:
      - .offset:         0
        .size:           104
        .value_kind:     by_value
    .group_segment_fixed_size: 7168
    .kernarg_segment_align: 8
    .kernarg_segment_size: 104
    .language:       OpenCL C
    .language_version:
      - 2
      - 0
    .max_flat_workgroup_size: 128
    .name:           _ZN7rocprim17ROCPRIM_400000_NS6detail17trampoline_kernelINS0_14default_configENS1_20scan_config_selectorIxEEZZNS1_9scan_implILNS1_25lookback_scan_determinismE0ELb0ELb0ES3_N6thrust23THRUST_200600_302600_NS6detail15normal_iteratorINS9_10device_ptrIxEEEESE_xNS9_4plusIvEExEEDaPvRmT3_T4_T5_mT6_P12ihipStream_tbENKUlT_T0_E_clISt17integral_constantIbLb1EESU_EEDaSP_SQ_EUlSP_E_NS1_11comp_targetILNS1_3genE4ELNS1_11target_archE910ELNS1_3gpuE8ELNS1_3repE0EEENS1_30default_config_static_selectorELNS0_4arch9wavefront6targetE1EEEvT1_
    .private_segment_fixed_size: 0
    .sgpr_count:     42
    .sgpr_spill_count: 0
    .symbol:         _ZN7rocprim17ROCPRIM_400000_NS6detail17trampoline_kernelINS0_14default_configENS1_20scan_config_selectorIxEEZZNS1_9scan_implILNS1_25lookback_scan_determinismE0ELb0ELb0ES3_N6thrust23THRUST_200600_302600_NS6detail15normal_iteratorINS9_10device_ptrIxEEEESE_xNS9_4plusIvEExEEDaPvRmT3_T4_T5_mT6_P12ihipStream_tbENKUlT_T0_E_clISt17integral_constantIbLb1EESU_EEDaSP_SQ_EUlSP_E_NS1_11comp_targetILNS1_3genE4ELNS1_11target_archE910ELNS1_3gpuE8ELNS1_3repE0EEENS1_30default_config_static_selectorELNS0_4arch9wavefront6targetE1EEEvT1_.kd
    .uniform_work_group_size: 1
    .uses_dynamic_stack: false
    .vgpr_count:     51
    .vgpr_spill_count: 0
    .wavefront_size: 64
  - .agpr_count:     0
    .args:
      - .offset:         0
        .size:           104
        .value_kind:     by_value
    .group_segment_fixed_size: 0
    .kernarg_segment_align: 8
    .kernarg_segment_size: 104
    .language:       OpenCL C
    .language_version:
      - 2
      - 0
    .max_flat_workgroup_size: 256
    .name:           _ZN7rocprim17ROCPRIM_400000_NS6detail17trampoline_kernelINS0_14default_configENS1_20scan_config_selectorIxEEZZNS1_9scan_implILNS1_25lookback_scan_determinismE0ELb0ELb0ES3_N6thrust23THRUST_200600_302600_NS6detail15normal_iteratorINS9_10device_ptrIxEEEESE_xNS9_4plusIvEExEEDaPvRmT3_T4_T5_mT6_P12ihipStream_tbENKUlT_T0_E_clISt17integral_constantIbLb1EESU_EEDaSP_SQ_EUlSP_E_NS1_11comp_targetILNS1_3genE3ELNS1_11target_archE908ELNS1_3gpuE7ELNS1_3repE0EEENS1_30default_config_static_selectorELNS0_4arch9wavefront6targetE1EEEvT1_
    .private_segment_fixed_size: 0
    .sgpr_count:     4
    .sgpr_spill_count: 0
    .symbol:         _ZN7rocprim17ROCPRIM_400000_NS6detail17trampoline_kernelINS0_14default_configENS1_20scan_config_selectorIxEEZZNS1_9scan_implILNS1_25lookback_scan_determinismE0ELb0ELb0ES3_N6thrust23THRUST_200600_302600_NS6detail15normal_iteratorINS9_10device_ptrIxEEEESE_xNS9_4plusIvEExEEDaPvRmT3_T4_T5_mT6_P12ihipStream_tbENKUlT_T0_E_clISt17integral_constantIbLb1EESU_EEDaSP_SQ_EUlSP_E_NS1_11comp_targetILNS1_3genE3ELNS1_11target_archE908ELNS1_3gpuE7ELNS1_3repE0EEENS1_30default_config_static_selectorELNS0_4arch9wavefront6targetE1EEEvT1_.kd
    .uniform_work_group_size: 1
    .uses_dynamic_stack: false
    .vgpr_count:     0
    .vgpr_spill_count: 0
    .wavefront_size: 64
  - .agpr_count:     0
    .args:
      - .offset:         0
        .size:           104
        .value_kind:     by_value
    .group_segment_fixed_size: 0
    .kernarg_segment_align: 8
    .kernarg_segment_size: 104
    .language:       OpenCL C
    .language_version:
      - 2
      - 0
    .max_flat_workgroup_size: 64
    .name:           _ZN7rocprim17ROCPRIM_400000_NS6detail17trampoline_kernelINS0_14default_configENS1_20scan_config_selectorIxEEZZNS1_9scan_implILNS1_25lookback_scan_determinismE0ELb0ELb0ES3_N6thrust23THRUST_200600_302600_NS6detail15normal_iteratorINS9_10device_ptrIxEEEESE_xNS9_4plusIvEExEEDaPvRmT3_T4_T5_mT6_P12ihipStream_tbENKUlT_T0_E_clISt17integral_constantIbLb1EESU_EEDaSP_SQ_EUlSP_E_NS1_11comp_targetILNS1_3genE2ELNS1_11target_archE906ELNS1_3gpuE6ELNS1_3repE0EEENS1_30default_config_static_selectorELNS0_4arch9wavefront6targetE1EEEvT1_
    .private_segment_fixed_size: 0
    .sgpr_count:     4
    .sgpr_spill_count: 0
    .symbol:         _ZN7rocprim17ROCPRIM_400000_NS6detail17trampoline_kernelINS0_14default_configENS1_20scan_config_selectorIxEEZZNS1_9scan_implILNS1_25lookback_scan_determinismE0ELb0ELb0ES3_N6thrust23THRUST_200600_302600_NS6detail15normal_iteratorINS9_10device_ptrIxEEEESE_xNS9_4plusIvEExEEDaPvRmT3_T4_T5_mT6_P12ihipStream_tbENKUlT_T0_E_clISt17integral_constantIbLb1EESU_EEDaSP_SQ_EUlSP_E_NS1_11comp_targetILNS1_3genE2ELNS1_11target_archE906ELNS1_3gpuE6ELNS1_3repE0EEENS1_30default_config_static_selectorELNS0_4arch9wavefront6targetE1EEEvT1_.kd
    .uniform_work_group_size: 1
    .uses_dynamic_stack: false
    .vgpr_count:     0
    .vgpr_spill_count: 0
    .wavefront_size: 64
  - .agpr_count:     0
    .args:
      - .offset:         0
        .size:           104
        .value_kind:     by_value
    .group_segment_fixed_size: 0
    .kernarg_segment_align: 8
    .kernarg_segment_size: 104
    .language:       OpenCL C
    .language_version:
      - 2
      - 0
    .max_flat_workgroup_size: 256
    .name:           _ZN7rocprim17ROCPRIM_400000_NS6detail17trampoline_kernelINS0_14default_configENS1_20scan_config_selectorIxEEZZNS1_9scan_implILNS1_25lookback_scan_determinismE0ELb0ELb0ES3_N6thrust23THRUST_200600_302600_NS6detail15normal_iteratorINS9_10device_ptrIxEEEESE_xNS9_4plusIvEExEEDaPvRmT3_T4_T5_mT6_P12ihipStream_tbENKUlT_T0_E_clISt17integral_constantIbLb1EESU_EEDaSP_SQ_EUlSP_E_NS1_11comp_targetILNS1_3genE10ELNS1_11target_archE1201ELNS1_3gpuE5ELNS1_3repE0EEENS1_30default_config_static_selectorELNS0_4arch9wavefront6targetE1EEEvT1_
    .private_segment_fixed_size: 0
    .sgpr_count:     4
    .sgpr_spill_count: 0
    .symbol:         _ZN7rocprim17ROCPRIM_400000_NS6detail17trampoline_kernelINS0_14default_configENS1_20scan_config_selectorIxEEZZNS1_9scan_implILNS1_25lookback_scan_determinismE0ELb0ELb0ES3_N6thrust23THRUST_200600_302600_NS6detail15normal_iteratorINS9_10device_ptrIxEEEESE_xNS9_4plusIvEExEEDaPvRmT3_T4_T5_mT6_P12ihipStream_tbENKUlT_T0_E_clISt17integral_constantIbLb1EESU_EEDaSP_SQ_EUlSP_E_NS1_11comp_targetILNS1_3genE10ELNS1_11target_archE1201ELNS1_3gpuE5ELNS1_3repE0EEENS1_30default_config_static_selectorELNS0_4arch9wavefront6targetE1EEEvT1_.kd
    .uniform_work_group_size: 1
    .uses_dynamic_stack: false
    .vgpr_count:     0
    .vgpr_spill_count: 0
    .wavefront_size: 64
  - .agpr_count:     0
    .args:
      - .offset:         0
        .size:           104
        .value_kind:     by_value
    .group_segment_fixed_size: 0
    .kernarg_segment_align: 8
    .kernarg_segment_size: 104
    .language:       OpenCL C
    .language_version:
      - 2
      - 0
    .max_flat_workgroup_size: 256
    .name:           _ZN7rocprim17ROCPRIM_400000_NS6detail17trampoline_kernelINS0_14default_configENS1_20scan_config_selectorIxEEZZNS1_9scan_implILNS1_25lookback_scan_determinismE0ELb0ELb0ES3_N6thrust23THRUST_200600_302600_NS6detail15normal_iteratorINS9_10device_ptrIxEEEESE_xNS9_4plusIvEExEEDaPvRmT3_T4_T5_mT6_P12ihipStream_tbENKUlT_T0_E_clISt17integral_constantIbLb1EESU_EEDaSP_SQ_EUlSP_E_NS1_11comp_targetILNS1_3genE10ELNS1_11target_archE1200ELNS1_3gpuE4ELNS1_3repE0EEENS1_30default_config_static_selectorELNS0_4arch9wavefront6targetE1EEEvT1_
    .private_segment_fixed_size: 0
    .sgpr_count:     4
    .sgpr_spill_count: 0
    .symbol:         _ZN7rocprim17ROCPRIM_400000_NS6detail17trampoline_kernelINS0_14default_configENS1_20scan_config_selectorIxEEZZNS1_9scan_implILNS1_25lookback_scan_determinismE0ELb0ELb0ES3_N6thrust23THRUST_200600_302600_NS6detail15normal_iteratorINS9_10device_ptrIxEEEESE_xNS9_4plusIvEExEEDaPvRmT3_T4_T5_mT6_P12ihipStream_tbENKUlT_T0_E_clISt17integral_constantIbLb1EESU_EEDaSP_SQ_EUlSP_E_NS1_11comp_targetILNS1_3genE10ELNS1_11target_archE1200ELNS1_3gpuE4ELNS1_3repE0EEENS1_30default_config_static_selectorELNS0_4arch9wavefront6targetE1EEEvT1_.kd
    .uniform_work_group_size: 1
    .uses_dynamic_stack: false
    .vgpr_count:     0
    .vgpr_spill_count: 0
    .wavefront_size: 64
  - .agpr_count:     0
    .args:
      - .offset:         0
        .size:           104
        .value_kind:     by_value
    .group_segment_fixed_size: 0
    .kernarg_segment_align: 8
    .kernarg_segment_size: 104
    .language:       OpenCL C
    .language_version:
      - 2
      - 0
    .max_flat_workgroup_size: 256
    .name:           _ZN7rocprim17ROCPRIM_400000_NS6detail17trampoline_kernelINS0_14default_configENS1_20scan_config_selectorIxEEZZNS1_9scan_implILNS1_25lookback_scan_determinismE0ELb0ELb0ES3_N6thrust23THRUST_200600_302600_NS6detail15normal_iteratorINS9_10device_ptrIxEEEESE_xNS9_4plusIvEExEEDaPvRmT3_T4_T5_mT6_P12ihipStream_tbENKUlT_T0_E_clISt17integral_constantIbLb1EESU_EEDaSP_SQ_EUlSP_E_NS1_11comp_targetILNS1_3genE9ELNS1_11target_archE1100ELNS1_3gpuE3ELNS1_3repE0EEENS1_30default_config_static_selectorELNS0_4arch9wavefront6targetE1EEEvT1_
    .private_segment_fixed_size: 0
    .sgpr_count:     4
    .sgpr_spill_count: 0
    .symbol:         _ZN7rocprim17ROCPRIM_400000_NS6detail17trampoline_kernelINS0_14default_configENS1_20scan_config_selectorIxEEZZNS1_9scan_implILNS1_25lookback_scan_determinismE0ELb0ELb0ES3_N6thrust23THRUST_200600_302600_NS6detail15normal_iteratorINS9_10device_ptrIxEEEESE_xNS9_4plusIvEExEEDaPvRmT3_T4_T5_mT6_P12ihipStream_tbENKUlT_T0_E_clISt17integral_constantIbLb1EESU_EEDaSP_SQ_EUlSP_E_NS1_11comp_targetILNS1_3genE9ELNS1_11target_archE1100ELNS1_3gpuE3ELNS1_3repE0EEENS1_30default_config_static_selectorELNS0_4arch9wavefront6targetE1EEEvT1_.kd
    .uniform_work_group_size: 1
    .uses_dynamic_stack: false
    .vgpr_count:     0
    .vgpr_spill_count: 0
    .wavefront_size: 64
  - .agpr_count:     0
    .args:
      - .offset:         0
        .size:           104
        .value_kind:     by_value
    .group_segment_fixed_size: 0
    .kernarg_segment_align: 8
    .kernarg_segment_size: 104
    .language:       OpenCL C
    .language_version:
      - 2
      - 0
    .max_flat_workgroup_size: 256
    .name:           _ZN7rocprim17ROCPRIM_400000_NS6detail17trampoline_kernelINS0_14default_configENS1_20scan_config_selectorIxEEZZNS1_9scan_implILNS1_25lookback_scan_determinismE0ELb0ELb0ES3_N6thrust23THRUST_200600_302600_NS6detail15normal_iteratorINS9_10device_ptrIxEEEESE_xNS9_4plusIvEExEEDaPvRmT3_T4_T5_mT6_P12ihipStream_tbENKUlT_T0_E_clISt17integral_constantIbLb1EESU_EEDaSP_SQ_EUlSP_E_NS1_11comp_targetILNS1_3genE8ELNS1_11target_archE1030ELNS1_3gpuE2ELNS1_3repE0EEENS1_30default_config_static_selectorELNS0_4arch9wavefront6targetE1EEEvT1_
    .private_segment_fixed_size: 0
    .sgpr_count:     4
    .sgpr_spill_count: 0
    .symbol:         _ZN7rocprim17ROCPRIM_400000_NS6detail17trampoline_kernelINS0_14default_configENS1_20scan_config_selectorIxEEZZNS1_9scan_implILNS1_25lookback_scan_determinismE0ELb0ELb0ES3_N6thrust23THRUST_200600_302600_NS6detail15normal_iteratorINS9_10device_ptrIxEEEESE_xNS9_4plusIvEExEEDaPvRmT3_T4_T5_mT6_P12ihipStream_tbENKUlT_T0_E_clISt17integral_constantIbLb1EESU_EEDaSP_SQ_EUlSP_E_NS1_11comp_targetILNS1_3genE8ELNS1_11target_archE1030ELNS1_3gpuE2ELNS1_3repE0EEENS1_30default_config_static_selectorELNS0_4arch9wavefront6targetE1EEEvT1_.kd
    .uniform_work_group_size: 1
    .uses_dynamic_stack: false
    .vgpr_count:     0
    .vgpr_spill_count: 0
    .wavefront_size: 64
  - .agpr_count:     0
    .args:
      - .offset:         0
        .size:           40
        .value_kind:     by_value
    .group_segment_fixed_size: 0
    .kernarg_segment_align: 8
    .kernarg_segment_size: 40
    .language:       OpenCL C
    .language_version:
      - 2
      - 0
    .max_flat_workgroup_size: 256
    .name:           _ZN7rocprim17ROCPRIM_400000_NS6detail17trampoline_kernelINS0_14default_configENS1_20scan_config_selectorIxEEZZNS1_9scan_implILNS1_25lookback_scan_determinismE0ELb0ELb0ES3_N6thrust23THRUST_200600_302600_NS6detail15normal_iteratorINS9_10device_ptrIxEEEESE_xNS9_4plusIvEExEEDaPvRmT3_T4_T5_mT6_P12ihipStream_tbENKUlT_T0_E_clISt17integral_constantIbLb1EESU_EEDaSP_SQ_EUlSP_E0_NS1_11comp_targetILNS1_3genE0ELNS1_11target_archE4294967295ELNS1_3gpuE0ELNS1_3repE0EEENS1_30default_config_static_selectorELNS0_4arch9wavefront6targetE1EEEvT1_
    .private_segment_fixed_size: 0
    .sgpr_count:     4
    .sgpr_spill_count: 0
    .symbol:         _ZN7rocprim17ROCPRIM_400000_NS6detail17trampoline_kernelINS0_14default_configENS1_20scan_config_selectorIxEEZZNS1_9scan_implILNS1_25lookback_scan_determinismE0ELb0ELb0ES3_N6thrust23THRUST_200600_302600_NS6detail15normal_iteratorINS9_10device_ptrIxEEEESE_xNS9_4plusIvEExEEDaPvRmT3_T4_T5_mT6_P12ihipStream_tbENKUlT_T0_E_clISt17integral_constantIbLb1EESU_EEDaSP_SQ_EUlSP_E0_NS1_11comp_targetILNS1_3genE0ELNS1_11target_archE4294967295ELNS1_3gpuE0ELNS1_3repE0EEENS1_30default_config_static_selectorELNS0_4arch9wavefront6targetE1EEEvT1_.kd
    .uniform_work_group_size: 1
    .uses_dynamic_stack: false
    .vgpr_count:     0
    .vgpr_spill_count: 0
    .wavefront_size: 64
  - .agpr_count:     0
    .args:
      - .offset:         0
        .size:           40
        .value_kind:     by_value
    .group_segment_fixed_size: 0
    .kernarg_segment_align: 8
    .kernarg_segment_size: 40
    .language:       OpenCL C
    .language_version:
      - 2
      - 0
    .max_flat_workgroup_size: 256
    .name:           _ZN7rocprim17ROCPRIM_400000_NS6detail17trampoline_kernelINS0_14default_configENS1_20scan_config_selectorIxEEZZNS1_9scan_implILNS1_25lookback_scan_determinismE0ELb0ELb0ES3_N6thrust23THRUST_200600_302600_NS6detail15normal_iteratorINS9_10device_ptrIxEEEESE_xNS9_4plusIvEExEEDaPvRmT3_T4_T5_mT6_P12ihipStream_tbENKUlT_T0_E_clISt17integral_constantIbLb1EESU_EEDaSP_SQ_EUlSP_E0_NS1_11comp_targetILNS1_3genE5ELNS1_11target_archE942ELNS1_3gpuE9ELNS1_3repE0EEENS1_30default_config_static_selectorELNS0_4arch9wavefront6targetE1EEEvT1_
    .private_segment_fixed_size: 0
    .sgpr_count:     4
    .sgpr_spill_count: 0
    .symbol:         _ZN7rocprim17ROCPRIM_400000_NS6detail17trampoline_kernelINS0_14default_configENS1_20scan_config_selectorIxEEZZNS1_9scan_implILNS1_25lookback_scan_determinismE0ELb0ELb0ES3_N6thrust23THRUST_200600_302600_NS6detail15normal_iteratorINS9_10device_ptrIxEEEESE_xNS9_4plusIvEExEEDaPvRmT3_T4_T5_mT6_P12ihipStream_tbENKUlT_T0_E_clISt17integral_constantIbLb1EESU_EEDaSP_SQ_EUlSP_E0_NS1_11comp_targetILNS1_3genE5ELNS1_11target_archE942ELNS1_3gpuE9ELNS1_3repE0EEENS1_30default_config_static_selectorELNS0_4arch9wavefront6targetE1EEEvT1_.kd
    .uniform_work_group_size: 1
    .uses_dynamic_stack: false
    .vgpr_count:     0
    .vgpr_spill_count: 0
    .wavefront_size: 64
  - .agpr_count:     0
    .args:
      - .offset:         0
        .size:           40
        .value_kind:     by_value
    .group_segment_fixed_size: 7168
    .kernarg_segment_align: 8
    .kernarg_segment_size: 40
    .language:       OpenCL C
    .language_version:
      - 2
      - 0
    .max_flat_workgroup_size: 128
    .name:           _ZN7rocprim17ROCPRIM_400000_NS6detail17trampoline_kernelINS0_14default_configENS1_20scan_config_selectorIxEEZZNS1_9scan_implILNS1_25lookback_scan_determinismE0ELb0ELb0ES3_N6thrust23THRUST_200600_302600_NS6detail15normal_iteratorINS9_10device_ptrIxEEEESE_xNS9_4plusIvEExEEDaPvRmT3_T4_T5_mT6_P12ihipStream_tbENKUlT_T0_E_clISt17integral_constantIbLb1EESU_EEDaSP_SQ_EUlSP_E0_NS1_11comp_targetILNS1_3genE4ELNS1_11target_archE910ELNS1_3gpuE8ELNS1_3repE0EEENS1_30default_config_static_selectorELNS0_4arch9wavefront6targetE1EEEvT1_
    .private_segment_fixed_size: 0
    .sgpr_count:     26
    .sgpr_spill_count: 0
    .symbol:         _ZN7rocprim17ROCPRIM_400000_NS6detail17trampoline_kernelINS0_14default_configENS1_20scan_config_selectorIxEEZZNS1_9scan_implILNS1_25lookback_scan_determinismE0ELb0ELb0ES3_N6thrust23THRUST_200600_302600_NS6detail15normal_iteratorINS9_10device_ptrIxEEEESE_xNS9_4plusIvEExEEDaPvRmT3_T4_T5_mT6_P12ihipStream_tbENKUlT_T0_E_clISt17integral_constantIbLb1EESU_EEDaSP_SQ_EUlSP_E0_NS1_11comp_targetILNS1_3genE4ELNS1_11target_archE910ELNS1_3gpuE8ELNS1_3repE0EEENS1_30default_config_static_selectorELNS0_4arch9wavefront6targetE1EEEvT1_.kd
    .uniform_work_group_size: 1
    .uses_dynamic_stack: false
    .vgpr_count:     41
    .vgpr_spill_count: 0
    .wavefront_size: 64
  - .agpr_count:     0
    .args:
      - .offset:         0
        .size:           40
        .value_kind:     by_value
    .group_segment_fixed_size: 0
    .kernarg_segment_align: 8
    .kernarg_segment_size: 40
    .language:       OpenCL C
    .language_version:
      - 2
      - 0
    .max_flat_workgroup_size: 256
    .name:           _ZN7rocprim17ROCPRIM_400000_NS6detail17trampoline_kernelINS0_14default_configENS1_20scan_config_selectorIxEEZZNS1_9scan_implILNS1_25lookback_scan_determinismE0ELb0ELb0ES3_N6thrust23THRUST_200600_302600_NS6detail15normal_iteratorINS9_10device_ptrIxEEEESE_xNS9_4plusIvEExEEDaPvRmT3_T4_T5_mT6_P12ihipStream_tbENKUlT_T0_E_clISt17integral_constantIbLb1EESU_EEDaSP_SQ_EUlSP_E0_NS1_11comp_targetILNS1_3genE3ELNS1_11target_archE908ELNS1_3gpuE7ELNS1_3repE0EEENS1_30default_config_static_selectorELNS0_4arch9wavefront6targetE1EEEvT1_
    .private_segment_fixed_size: 0
    .sgpr_count:     4
    .sgpr_spill_count: 0
    .symbol:         _ZN7rocprim17ROCPRIM_400000_NS6detail17trampoline_kernelINS0_14default_configENS1_20scan_config_selectorIxEEZZNS1_9scan_implILNS1_25lookback_scan_determinismE0ELb0ELb0ES3_N6thrust23THRUST_200600_302600_NS6detail15normal_iteratorINS9_10device_ptrIxEEEESE_xNS9_4plusIvEExEEDaPvRmT3_T4_T5_mT6_P12ihipStream_tbENKUlT_T0_E_clISt17integral_constantIbLb1EESU_EEDaSP_SQ_EUlSP_E0_NS1_11comp_targetILNS1_3genE3ELNS1_11target_archE908ELNS1_3gpuE7ELNS1_3repE0EEENS1_30default_config_static_selectorELNS0_4arch9wavefront6targetE1EEEvT1_.kd
    .uniform_work_group_size: 1
    .uses_dynamic_stack: false
    .vgpr_count:     0
    .vgpr_spill_count: 0
    .wavefront_size: 64
  - .agpr_count:     0
    .args:
      - .offset:         0
        .size:           40
        .value_kind:     by_value
    .group_segment_fixed_size: 0
    .kernarg_segment_align: 8
    .kernarg_segment_size: 40
    .language:       OpenCL C
    .language_version:
      - 2
      - 0
    .max_flat_workgroup_size: 64
    .name:           _ZN7rocprim17ROCPRIM_400000_NS6detail17trampoline_kernelINS0_14default_configENS1_20scan_config_selectorIxEEZZNS1_9scan_implILNS1_25lookback_scan_determinismE0ELb0ELb0ES3_N6thrust23THRUST_200600_302600_NS6detail15normal_iteratorINS9_10device_ptrIxEEEESE_xNS9_4plusIvEExEEDaPvRmT3_T4_T5_mT6_P12ihipStream_tbENKUlT_T0_E_clISt17integral_constantIbLb1EESU_EEDaSP_SQ_EUlSP_E0_NS1_11comp_targetILNS1_3genE2ELNS1_11target_archE906ELNS1_3gpuE6ELNS1_3repE0EEENS1_30default_config_static_selectorELNS0_4arch9wavefront6targetE1EEEvT1_
    .private_segment_fixed_size: 0
    .sgpr_count:     4
    .sgpr_spill_count: 0
    .symbol:         _ZN7rocprim17ROCPRIM_400000_NS6detail17trampoline_kernelINS0_14default_configENS1_20scan_config_selectorIxEEZZNS1_9scan_implILNS1_25lookback_scan_determinismE0ELb0ELb0ES3_N6thrust23THRUST_200600_302600_NS6detail15normal_iteratorINS9_10device_ptrIxEEEESE_xNS9_4plusIvEExEEDaPvRmT3_T4_T5_mT6_P12ihipStream_tbENKUlT_T0_E_clISt17integral_constantIbLb1EESU_EEDaSP_SQ_EUlSP_E0_NS1_11comp_targetILNS1_3genE2ELNS1_11target_archE906ELNS1_3gpuE6ELNS1_3repE0EEENS1_30default_config_static_selectorELNS0_4arch9wavefront6targetE1EEEvT1_.kd
    .uniform_work_group_size: 1
    .uses_dynamic_stack: false
    .vgpr_count:     0
    .vgpr_spill_count: 0
    .wavefront_size: 64
  - .agpr_count:     0
    .args:
      - .offset:         0
        .size:           40
        .value_kind:     by_value
    .group_segment_fixed_size: 0
    .kernarg_segment_align: 8
    .kernarg_segment_size: 40
    .language:       OpenCL C
    .language_version:
      - 2
      - 0
    .max_flat_workgroup_size: 256
    .name:           _ZN7rocprim17ROCPRIM_400000_NS6detail17trampoline_kernelINS0_14default_configENS1_20scan_config_selectorIxEEZZNS1_9scan_implILNS1_25lookback_scan_determinismE0ELb0ELb0ES3_N6thrust23THRUST_200600_302600_NS6detail15normal_iteratorINS9_10device_ptrIxEEEESE_xNS9_4plusIvEExEEDaPvRmT3_T4_T5_mT6_P12ihipStream_tbENKUlT_T0_E_clISt17integral_constantIbLb1EESU_EEDaSP_SQ_EUlSP_E0_NS1_11comp_targetILNS1_3genE10ELNS1_11target_archE1201ELNS1_3gpuE5ELNS1_3repE0EEENS1_30default_config_static_selectorELNS0_4arch9wavefront6targetE1EEEvT1_
    .private_segment_fixed_size: 0
    .sgpr_count:     4
    .sgpr_spill_count: 0
    .symbol:         _ZN7rocprim17ROCPRIM_400000_NS6detail17trampoline_kernelINS0_14default_configENS1_20scan_config_selectorIxEEZZNS1_9scan_implILNS1_25lookback_scan_determinismE0ELb0ELb0ES3_N6thrust23THRUST_200600_302600_NS6detail15normal_iteratorINS9_10device_ptrIxEEEESE_xNS9_4plusIvEExEEDaPvRmT3_T4_T5_mT6_P12ihipStream_tbENKUlT_T0_E_clISt17integral_constantIbLb1EESU_EEDaSP_SQ_EUlSP_E0_NS1_11comp_targetILNS1_3genE10ELNS1_11target_archE1201ELNS1_3gpuE5ELNS1_3repE0EEENS1_30default_config_static_selectorELNS0_4arch9wavefront6targetE1EEEvT1_.kd
    .uniform_work_group_size: 1
    .uses_dynamic_stack: false
    .vgpr_count:     0
    .vgpr_spill_count: 0
    .wavefront_size: 64
  - .agpr_count:     0
    .args:
      - .offset:         0
        .size:           40
        .value_kind:     by_value
    .group_segment_fixed_size: 0
    .kernarg_segment_align: 8
    .kernarg_segment_size: 40
    .language:       OpenCL C
    .language_version:
      - 2
      - 0
    .max_flat_workgroup_size: 256
    .name:           _ZN7rocprim17ROCPRIM_400000_NS6detail17trampoline_kernelINS0_14default_configENS1_20scan_config_selectorIxEEZZNS1_9scan_implILNS1_25lookback_scan_determinismE0ELb0ELb0ES3_N6thrust23THRUST_200600_302600_NS6detail15normal_iteratorINS9_10device_ptrIxEEEESE_xNS9_4plusIvEExEEDaPvRmT3_T4_T5_mT6_P12ihipStream_tbENKUlT_T0_E_clISt17integral_constantIbLb1EESU_EEDaSP_SQ_EUlSP_E0_NS1_11comp_targetILNS1_3genE10ELNS1_11target_archE1200ELNS1_3gpuE4ELNS1_3repE0EEENS1_30default_config_static_selectorELNS0_4arch9wavefront6targetE1EEEvT1_
    .private_segment_fixed_size: 0
    .sgpr_count:     4
    .sgpr_spill_count: 0
    .symbol:         _ZN7rocprim17ROCPRIM_400000_NS6detail17trampoline_kernelINS0_14default_configENS1_20scan_config_selectorIxEEZZNS1_9scan_implILNS1_25lookback_scan_determinismE0ELb0ELb0ES3_N6thrust23THRUST_200600_302600_NS6detail15normal_iteratorINS9_10device_ptrIxEEEESE_xNS9_4plusIvEExEEDaPvRmT3_T4_T5_mT6_P12ihipStream_tbENKUlT_T0_E_clISt17integral_constantIbLb1EESU_EEDaSP_SQ_EUlSP_E0_NS1_11comp_targetILNS1_3genE10ELNS1_11target_archE1200ELNS1_3gpuE4ELNS1_3repE0EEENS1_30default_config_static_selectorELNS0_4arch9wavefront6targetE1EEEvT1_.kd
    .uniform_work_group_size: 1
    .uses_dynamic_stack: false
    .vgpr_count:     0
    .vgpr_spill_count: 0
    .wavefront_size: 64
  - .agpr_count:     0
    .args:
      - .offset:         0
        .size:           40
        .value_kind:     by_value
    .group_segment_fixed_size: 0
    .kernarg_segment_align: 8
    .kernarg_segment_size: 40
    .language:       OpenCL C
    .language_version:
      - 2
      - 0
    .max_flat_workgroup_size: 256
    .name:           _ZN7rocprim17ROCPRIM_400000_NS6detail17trampoline_kernelINS0_14default_configENS1_20scan_config_selectorIxEEZZNS1_9scan_implILNS1_25lookback_scan_determinismE0ELb0ELb0ES3_N6thrust23THRUST_200600_302600_NS6detail15normal_iteratorINS9_10device_ptrIxEEEESE_xNS9_4plusIvEExEEDaPvRmT3_T4_T5_mT6_P12ihipStream_tbENKUlT_T0_E_clISt17integral_constantIbLb1EESU_EEDaSP_SQ_EUlSP_E0_NS1_11comp_targetILNS1_3genE9ELNS1_11target_archE1100ELNS1_3gpuE3ELNS1_3repE0EEENS1_30default_config_static_selectorELNS0_4arch9wavefront6targetE1EEEvT1_
    .private_segment_fixed_size: 0
    .sgpr_count:     4
    .sgpr_spill_count: 0
    .symbol:         _ZN7rocprim17ROCPRIM_400000_NS6detail17trampoline_kernelINS0_14default_configENS1_20scan_config_selectorIxEEZZNS1_9scan_implILNS1_25lookback_scan_determinismE0ELb0ELb0ES3_N6thrust23THRUST_200600_302600_NS6detail15normal_iteratorINS9_10device_ptrIxEEEESE_xNS9_4plusIvEExEEDaPvRmT3_T4_T5_mT6_P12ihipStream_tbENKUlT_T0_E_clISt17integral_constantIbLb1EESU_EEDaSP_SQ_EUlSP_E0_NS1_11comp_targetILNS1_3genE9ELNS1_11target_archE1100ELNS1_3gpuE3ELNS1_3repE0EEENS1_30default_config_static_selectorELNS0_4arch9wavefront6targetE1EEEvT1_.kd
    .uniform_work_group_size: 1
    .uses_dynamic_stack: false
    .vgpr_count:     0
    .vgpr_spill_count: 0
    .wavefront_size: 64
  - .agpr_count:     0
    .args:
      - .offset:         0
        .size:           40
        .value_kind:     by_value
    .group_segment_fixed_size: 0
    .kernarg_segment_align: 8
    .kernarg_segment_size: 40
    .language:       OpenCL C
    .language_version:
      - 2
      - 0
    .max_flat_workgroup_size: 256
    .name:           _ZN7rocprim17ROCPRIM_400000_NS6detail17trampoline_kernelINS0_14default_configENS1_20scan_config_selectorIxEEZZNS1_9scan_implILNS1_25lookback_scan_determinismE0ELb0ELb0ES3_N6thrust23THRUST_200600_302600_NS6detail15normal_iteratorINS9_10device_ptrIxEEEESE_xNS9_4plusIvEExEEDaPvRmT3_T4_T5_mT6_P12ihipStream_tbENKUlT_T0_E_clISt17integral_constantIbLb1EESU_EEDaSP_SQ_EUlSP_E0_NS1_11comp_targetILNS1_3genE8ELNS1_11target_archE1030ELNS1_3gpuE2ELNS1_3repE0EEENS1_30default_config_static_selectorELNS0_4arch9wavefront6targetE1EEEvT1_
    .private_segment_fixed_size: 0
    .sgpr_count:     4
    .sgpr_spill_count: 0
    .symbol:         _ZN7rocprim17ROCPRIM_400000_NS6detail17trampoline_kernelINS0_14default_configENS1_20scan_config_selectorIxEEZZNS1_9scan_implILNS1_25lookback_scan_determinismE0ELb0ELb0ES3_N6thrust23THRUST_200600_302600_NS6detail15normal_iteratorINS9_10device_ptrIxEEEESE_xNS9_4plusIvEExEEDaPvRmT3_T4_T5_mT6_P12ihipStream_tbENKUlT_T0_E_clISt17integral_constantIbLb1EESU_EEDaSP_SQ_EUlSP_E0_NS1_11comp_targetILNS1_3genE8ELNS1_11target_archE1030ELNS1_3gpuE2ELNS1_3repE0EEENS1_30default_config_static_selectorELNS0_4arch9wavefront6targetE1EEEvT1_.kd
    .uniform_work_group_size: 1
    .uses_dynamic_stack: false
    .vgpr_count:     0
    .vgpr_spill_count: 0
    .wavefront_size: 64
  - .agpr_count:     0
    .args:
      - .address_space:  global
        .offset:         0
        .size:           8
        .value_kind:     global_buffer
      - .offset:         8
        .size:           4
        .value_kind:     by_value
      - .offset:         12
        .size:           1
        .value_kind:     by_value
      - .offset:         16
        .size:           4
        .value_kind:     by_value
      - .address_space:  global
        .offset:         24
        .size:           8
        .value_kind:     global_buffer
      - .offset:         32
        .size:           4
        .value_kind:     hidden_block_count_x
      - .offset:         36
        .size:           4
        .value_kind:     hidden_block_count_y
      - .offset:         40
        .size:           4
        .value_kind:     hidden_block_count_z
      - .offset:         44
        .size:           2
        .value_kind:     hidden_group_size_x
      - .offset:         46
        .size:           2
        .value_kind:     hidden_group_size_y
      - .offset:         48
        .size:           2
        .value_kind:     hidden_group_size_z
      - .offset:         50
        .size:           2
        .value_kind:     hidden_remainder_x
      - .offset:         52
        .size:           2
        .value_kind:     hidden_remainder_y
      - .offset:         54
        .size:           2
        .value_kind:     hidden_remainder_z
      - .offset:         72
        .size:           8
        .value_kind:     hidden_global_offset_x
      - .offset:         80
        .size:           8
        .value_kind:     hidden_global_offset_y
      - .offset:         88
        .size:           8
        .value_kind:     hidden_global_offset_z
      - .offset:         96
        .size:           2
        .value_kind:     hidden_grid_dims
    .group_segment_fixed_size: 0
    .kernarg_segment_align: 8
    .kernarg_segment_size: 288
    .language:       OpenCL C
    .language_version:
      - 2
      - 0
    .max_flat_workgroup_size: 256
    .name:           _ZN7rocprim17ROCPRIM_400000_NS6detail31init_lookback_scan_state_kernelINS1_19lookback_scan_stateIxLb1ELb1EEENS1_16block_id_wrapperIjLb0EEEEEvT_jT0_jPNS7_10value_typeE
    .private_segment_fixed_size: 0
    .sgpr_count:     18
    .sgpr_spill_count: 0
    .symbol:         _ZN7rocprim17ROCPRIM_400000_NS6detail31init_lookback_scan_state_kernelINS1_19lookback_scan_stateIxLb1ELb1EEENS1_16block_id_wrapperIjLb0EEEEEvT_jT0_jPNS7_10value_typeE.kd
    .uniform_work_group_size: 1
    .uses_dynamic_stack: false
    .vgpr_count:     10
    .vgpr_spill_count: 0
    .wavefront_size: 64
  - .agpr_count:     0
    .args:
      - .offset:         0
        .size:           104
        .value_kind:     by_value
    .group_segment_fixed_size: 0
    .kernarg_segment_align: 8
    .kernarg_segment_size: 104
    .language:       OpenCL C
    .language_version:
      - 2
      - 0
    .max_flat_workgroup_size: 256
    .name:           _ZN7rocprim17ROCPRIM_400000_NS6detail17trampoline_kernelINS0_14default_configENS1_20scan_config_selectorIxEEZZNS1_9scan_implILNS1_25lookback_scan_determinismE0ELb0ELb0ES3_N6thrust23THRUST_200600_302600_NS6detail15normal_iteratorINS9_10device_ptrIxEEEESE_xNS9_4plusIvEExEEDaPvRmT3_T4_T5_mT6_P12ihipStream_tbENKUlT_T0_E_clISt17integral_constantIbLb1EEST_IbLb0EEEEDaSP_SQ_EUlSP_E_NS1_11comp_targetILNS1_3genE0ELNS1_11target_archE4294967295ELNS1_3gpuE0ELNS1_3repE0EEENS1_30default_config_static_selectorELNS0_4arch9wavefront6targetE1EEEvT1_
    .private_segment_fixed_size: 0
    .sgpr_count:     4
    .sgpr_spill_count: 0
    .symbol:         _ZN7rocprim17ROCPRIM_400000_NS6detail17trampoline_kernelINS0_14default_configENS1_20scan_config_selectorIxEEZZNS1_9scan_implILNS1_25lookback_scan_determinismE0ELb0ELb0ES3_N6thrust23THRUST_200600_302600_NS6detail15normal_iteratorINS9_10device_ptrIxEEEESE_xNS9_4plusIvEExEEDaPvRmT3_T4_T5_mT6_P12ihipStream_tbENKUlT_T0_E_clISt17integral_constantIbLb1EEST_IbLb0EEEEDaSP_SQ_EUlSP_E_NS1_11comp_targetILNS1_3genE0ELNS1_11target_archE4294967295ELNS1_3gpuE0ELNS1_3repE0EEENS1_30default_config_static_selectorELNS0_4arch9wavefront6targetE1EEEvT1_.kd
    .uniform_work_group_size: 1
    .uses_dynamic_stack: false
    .vgpr_count:     0
    .vgpr_spill_count: 0
    .wavefront_size: 64
  - .agpr_count:     0
    .args:
      - .offset:         0
        .size:           104
        .value_kind:     by_value
    .group_segment_fixed_size: 0
    .kernarg_segment_align: 8
    .kernarg_segment_size: 104
    .language:       OpenCL C
    .language_version:
      - 2
      - 0
    .max_flat_workgroup_size: 256
    .name:           _ZN7rocprim17ROCPRIM_400000_NS6detail17trampoline_kernelINS0_14default_configENS1_20scan_config_selectorIxEEZZNS1_9scan_implILNS1_25lookback_scan_determinismE0ELb0ELb0ES3_N6thrust23THRUST_200600_302600_NS6detail15normal_iteratorINS9_10device_ptrIxEEEESE_xNS9_4plusIvEExEEDaPvRmT3_T4_T5_mT6_P12ihipStream_tbENKUlT_T0_E_clISt17integral_constantIbLb1EEST_IbLb0EEEEDaSP_SQ_EUlSP_E_NS1_11comp_targetILNS1_3genE5ELNS1_11target_archE942ELNS1_3gpuE9ELNS1_3repE0EEENS1_30default_config_static_selectorELNS0_4arch9wavefront6targetE1EEEvT1_
    .private_segment_fixed_size: 0
    .sgpr_count:     4
    .sgpr_spill_count: 0
    .symbol:         _ZN7rocprim17ROCPRIM_400000_NS6detail17trampoline_kernelINS0_14default_configENS1_20scan_config_selectorIxEEZZNS1_9scan_implILNS1_25lookback_scan_determinismE0ELb0ELb0ES3_N6thrust23THRUST_200600_302600_NS6detail15normal_iteratorINS9_10device_ptrIxEEEESE_xNS9_4plusIvEExEEDaPvRmT3_T4_T5_mT6_P12ihipStream_tbENKUlT_T0_E_clISt17integral_constantIbLb1EEST_IbLb0EEEEDaSP_SQ_EUlSP_E_NS1_11comp_targetILNS1_3genE5ELNS1_11target_archE942ELNS1_3gpuE9ELNS1_3repE0EEENS1_30default_config_static_selectorELNS0_4arch9wavefront6targetE1EEEvT1_.kd
    .uniform_work_group_size: 1
    .uses_dynamic_stack: false
    .vgpr_count:     0
    .vgpr_spill_count: 0
    .wavefront_size: 64
  - .agpr_count:     0
    .args:
      - .offset:         0
        .size:           104
        .value_kind:     by_value
    .group_segment_fixed_size: 7168
    .kernarg_segment_align: 8
    .kernarg_segment_size: 104
    .language:       OpenCL C
    .language_version:
      - 2
      - 0
    .max_flat_workgroup_size: 128
    .name:           _ZN7rocprim17ROCPRIM_400000_NS6detail17trampoline_kernelINS0_14default_configENS1_20scan_config_selectorIxEEZZNS1_9scan_implILNS1_25lookback_scan_determinismE0ELb0ELb0ES3_N6thrust23THRUST_200600_302600_NS6detail15normal_iteratorINS9_10device_ptrIxEEEESE_xNS9_4plusIvEExEEDaPvRmT3_T4_T5_mT6_P12ihipStream_tbENKUlT_T0_E_clISt17integral_constantIbLb1EEST_IbLb0EEEEDaSP_SQ_EUlSP_E_NS1_11comp_targetILNS1_3genE4ELNS1_11target_archE910ELNS1_3gpuE8ELNS1_3repE0EEENS1_30default_config_static_selectorELNS0_4arch9wavefront6targetE1EEEvT1_
    .private_segment_fixed_size: 0
    .sgpr_count:     32
    .sgpr_spill_count: 0
    .symbol:         _ZN7rocprim17ROCPRIM_400000_NS6detail17trampoline_kernelINS0_14default_configENS1_20scan_config_selectorIxEEZZNS1_9scan_implILNS1_25lookback_scan_determinismE0ELb0ELb0ES3_N6thrust23THRUST_200600_302600_NS6detail15normal_iteratorINS9_10device_ptrIxEEEESE_xNS9_4plusIvEExEEDaPvRmT3_T4_T5_mT6_P12ihipStream_tbENKUlT_T0_E_clISt17integral_constantIbLb1EEST_IbLb0EEEEDaSP_SQ_EUlSP_E_NS1_11comp_targetILNS1_3genE4ELNS1_11target_archE910ELNS1_3gpuE8ELNS1_3repE0EEENS1_30default_config_static_selectorELNS0_4arch9wavefront6targetE1EEEvT1_.kd
    .uniform_work_group_size: 1
    .uses_dynamic_stack: false
    .vgpr_count:     51
    .vgpr_spill_count: 0
    .wavefront_size: 64
  - .agpr_count:     0
    .args:
      - .offset:         0
        .size:           104
        .value_kind:     by_value
    .group_segment_fixed_size: 0
    .kernarg_segment_align: 8
    .kernarg_segment_size: 104
    .language:       OpenCL C
    .language_version:
      - 2
      - 0
    .max_flat_workgroup_size: 256
    .name:           _ZN7rocprim17ROCPRIM_400000_NS6detail17trampoline_kernelINS0_14default_configENS1_20scan_config_selectorIxEEZZNS1_9scan_implILNS1_25lookback_scan_determinismE0ELb0ELb0ES3_N6thrust23THRUST_200600_302600_NS6detail15normal_iteratorINS9_10device_ptrIxEEEESE_xNS9_4plusIvEExEEDaPvRmT3_T4_T5_mT6_P12ihipStream_tbENKUlT_T0_E_clISt17integral_constantIbLb1EEST_IbLb0EEEEDaSP_SQ_EUlSP_E_NS1_11comp_targetILNS1_3genE3ELNS1_11target_archE908ELNS1_3gpuE7ELNS1_3repE0EEENS1_30default_config_static_selectorELNS0_4arch9wavefront6targetE1EEEvT1_
    .private_segment_fixed_size: 0
    .sgpr_count:     4
    .sgpr_spill_count: 0
    .symbol:         _ZN7rocprim17ROCPRIM_400000_NS6detail17trampoline_kernelINS0_14default_configENS1_20scan_config_selectorIxEEZZNS1_9scan_implILNS1_25lookback_scan_determinismE0ELb0ELb0ES3_N6thrust23THRUST_200600_302600_NS6detail15normal_iteratorINS9_10device_ptrIxEEEESE_xNS9_4plusIvEExEEDaPvRmT3_T4_T5_mT6_P12ihipStream_tbENKUlT_T0_E_clISt17integral_constantIbLb1EEST_IbLb0EEEEDaSP_SQ_EUlSP_E_NS1_11comp_targetILNS1_3genE3ELNS1_11target_archE908ELNS1_3gpuE7ELNS1_3repE0EEENS1_30default_config_static_selectorELNS0_4arch9wavefront6targetE1EEEvT1_.kd
    .uniform_work_group_size: 1
    .uses_dynamic_stack: false
    .vgpr_count:     0
    .vgpr_spill_count: 0
    .wavefront_size: 64
  - .agpr_count:     0
    .args:
      - .offset:         0
        .size:           104
        .value_kind:     by_value
    .group_segment_fixed_size: 0
    .kernarg_segment_align: 8
    .kernarg_segment_size: 104
    .language:       OpenCL C
    .language_version:
      - 2
      - 0
    .max_flat_workgroup_size: 64
    .name:           _ZN7rocprim17ROCPRIM_400000_NS6detail17trampoline_kernelINS0_14default_configENS1_20scan_config_selectorIxEEZZNS1_9scan_implILNS1_25lookback_scan_determinismE0ELb0ELb0ES3_N6thrust23THRUST_200600_302600_NS6detail15normal_iteratorINS9_10device_ptrIxEEEESE_xNS9_4plusIvEExEEDaPvRmT3_T4_T5_mT6_P12ihipStream_tbENKUlT_T0_E_clISt17integral_constantIbLb1EEST_IbLb0EEEEDaSP_SQ_EUlSP_E_NS1_11comp_targetILNS1_3genE2ELNS1_11target_archE906ELNS1_3gpuE6ELNS1_3repE0EEENS1_30default_config_static_selectorELNS0_4arch9wavefront6targetE1EEEvT1_
    .private_segment_fixed_size: 0
    .sgpr_count:     4
    .sgpr_spill_count: 0
    .symbol:         _ZN7rocprim17ROCPRIM_400000_NS6detail17trampoline_kernelINS0_14default_configENS1_20scan_config_selectorIxEEZZNS1_9scan_implILNS1_25lookback_scan_determinismE0ELb0ELb0ES3_N6thrust23THRUST_200600_302600_NS6detail15normal_iteratorINS9_10device_ptrIxEEEESE_xNS9_4plusIvEExEEDaPvRmT3_T4_T5_mT6_P12ihipStream_tbENKUlT_T0_E_clISt17integral_constantIbLb1EEST_IbLb0EEEEDaSP_SQ_EUlSP_E_NS1_11comp_targetILNS1_3genE2ELNS1_11target_archE906ELNS1_3gpuE6ELNS1_3repE0EEENS1_30default_config_static_selectorELNS0_4arch9wavefront6targetE1EEEvT1_.kd
    .uniform_work_group_size: 1
    .uses_dynamic_stack: false
    .vgpr_count:     0
    .vgpr_spill_count: 0
    .wavefront_size: 64
  - .agpr_count:     0
    .args:
      - .offset:         0
        .size:           104
        .value_kind:     by_value
    .group_segment_fixed_size: 0
    .kernarg_segment_align: 8
    .kernarg_segment_size: 104
    .language:       OpenCL C
    .language_version:
      - 2
      - 0
    .max_flat_workgroup_size: 256
    .name:           _ZN7rocprim17ROCPRIM_400000_NS6detail17trampoline_kernelINS0_14default_configENS1_20scan_config_selectorIxEEZZNS1_9scan_implILNS1_25lookback_scan_determinismE0ELb0ELb0ES3_N6thrust23THRUST_200600_302600_NS6detail15normal_iteratorINS9_10device_ptrIxEEEESE_xNS9_4plusIvEExEEDaPvRmT3_T4_T5_mT6_P12ihipStream_tbENKUlT_T0_E_clISt17integral_constantIbLb1EEST_IbLb0EEEEDaSP_SQ_EUlSP_E_NS1_11comp_targetILNS1_3genE10ELNS1_11target_archE1201ELNS1_3gpuE5ELNS1_3repE0EEENS1_30default_config_static_selectorELNS0_4arch9wavefront6targetE1EEEvT1_
    .private_segment_fixed_size: 0
    .sgpr_count:     4
    .sgpr_spill_count: 0
    .symbol:         _ZN7rocprim17ROCPRIM_400000_NS6detail17trampoline_kernelINS0_14default_configENS1_20scan_config_selectorIxEEZZNS1_9scan_implILNS1_25lookback_scan_determinismE0ELb0ELb0ES3_N6thrust23THRUST_200600_302600_NS6detail15normal_iteratorINS9_10device_ptrIxEEEESE_xNS9_4plusIvEExEEDaPvRmT3_T4_T5_mT6_P12ihipStream_tbENKUlT_T0_E_clISt17integral_constantIbLb1EEST_IbLb0EEEEDaSP_SQ_EUlSP_E_NS1_11comp_targetILNS1_3genE10ELNS1_11target_archE1201ELNS1_3gpuE5ELNS1_3repE0EEENS1_30default_config_static_selectorELNS0_4arch9wavefront6targetE1EEEvT1_.kd
    .uniform_work_group_size: 1
    .uses_dynamic_stack: false
    .vgpr_count:     0
    .vgpr_spill_count: 0
    .wavefront_size: 64
  - .agpr_count:     0
    .args:
      - .offset:         0
        .size:           104
        .value_kind:     by_value
    .group_segment_fixed_size: 0
    .kernarg_segment_align: 8
    .kernarg_segment_size: 104
    .language:       OpenCL C
    .language_version:
      - 2
      - 0
    .max_flat_workgroup_size: 256
    .name:           _ZN7rocprim17ROCPRIM_400000_NS6detail17trampoline_kernelINS0_14default_configENS1_20scan_config_selectorIxEEZZNS1_9scan_implILNS1_25lookback_scan_determinismE0ELb0ELb0ES3_N6thrust23THRUST_200600_302600_NS6detail15normal_iteratorINS9_10device_ptrIxEEEESE_xNS9_4plusIvEExEEDaPvRmT3_T4_T5_mT6_P12ihipStream_tbENKUlT_T0_E_clISt17integral_constantIbLb1EEST_IbLb0EEEEDaSP_SQ_EUlSP_E_NS1_11comp_targetILNS1_3genE10ELNS1_11target_archE1200ELNS1_3gpuE4ELNS1_3repE0EEENS1_30default_config_static_selectorELNS0_4arch9wavefront6targetE1EEEvT1_
    .private_segment_fixed_size: 0
    .sgpr_count:     4
    .sgpr_spill_count: 0
    .symbol:         _ZN7rocprim17ROCPRIM_400000_NS6detail17trampoline_kernelINS0_14default_configENS1_20scan_config_selectorIxEEZZNS1_9scan_implILNS1_25lookback_scan_determinismE0ELb0ELb0ES3_N6thrust23THRUST_200600_302600_NS6detail15normal_iteratorINS9_10device_ptrIxEEEESE_xNS9_4plusIvEExEEDaPvRmT3_T4_T5_mT6_P12ihipStream_tbENKUlT_T0_E_clISt17integral_constantIbLb1EEST_IbLb0EEEEDaSP_SQ_EUlSP_E_NS1_11comp_targetILNS1_3genE10ELNS1_11target_archE1200ELNS1_3gpuE4ELNS1_3repE0EEENS1_30default_config_static_selectorELNS0_4arch9wavefront6targetE1EEEvT1_.kd
    .uniform_work_group_size: 1
    .uses_dynamic_stack: false
    .vgpr_count:     0
    .vgpr_spill_count: 0
    .wavefront_size: 64
  - .agpr_count:     0
    .args:
      - .offset:         0
        .size:           104
        .value_kind:     by_value
    .group_segment_fixed_size: 0
    .kernarg_segment_align: 8
    .kernarg_segment_size: 104
    .language:       OpenCL C
    .language_version:
      - 2
      - 0
    .max_flat_workgroup_size: 256
    .name:           _ZN7rocprim17ROCPRIM_400000_NS6detail17trampoline_kernelINS0_14default_configENS1_20scan_config_selectorIxEEZZNS1_9scan_implILNS1_25lookback_scan_determinismE0ELb0ELb0ES3_N6thrust23THRUST_200600_302600_NS6detail15normal_iteratorINS9_10device_ptrIxEEEESE_xNS9_4plusIvEExEEDaPvRmT3_T4_T5_mT6_P12ihipStream_tbENKUlT_T0_E_clISt17integral_constantIbLb1EEST_IbLb0EEEEDaSP_SQ_EUlSP_E_NS1_11comp_targetILNS1_3genE9ELNS1_11target_archE1100ELNS1_3gpuE3ELNS1_3repE0EEENS1_30default_config_static_selectorELNS0_4arch9wavefront6targetE1EEEvT1_
    .private_segment_fixed_size: 0
    .sgpr_count:     4
    .sgpr_spill_count: 0
    .symbol:         _ZN7rocprim17ROCPRIM_400000_NS6detail17trampoline_kernelINS0_14default_configENS1_20scan_config_selectorIxEEZZNS1_9scan_implILNS1_25lookback_scan_determinismE0ELb0ELb0ES3_N6thrust23THRUST_200600_302600_NS6detail15normal_iteratorINS9_10device_ptrIxEEEESE_xNS9_4plusIvEExEEDaPvRmT3_T4_T5_mT6_P12ihipStream_tbENKUlT_T0_E_clISt17integral_constantIbLb1EEST_IbLb0EEEEDaSP_SQ_EUlSP_E_NS1_11comp_targetILNS1_3genE9ELNS1_11target_archE1100ELNS1_3gpuE3ELNS1_3repE0EEENS1_30default_config_static_selectorELNS0_4arch9wavefront6targetE1EEEvT1_.kd
    .uniform_work_group_size: 1
    .uses_dynamic_stack: false
    .vgpr_count:     0
    .vgpr_spill_count: 0
    .wavefront_size: 64
  - .agpr_count:     0
    .args:
      - .offset:         0
        .size:           104
        .value_kind:     by_value
    .group_segment_fixed_size: 0
    .kernarg_segment_align: 8
    .kernarg_segment_size: 104
    .language:       OpenCL C
    .language_version:
      - 2
      - 0
    .max_flat_workgroup_size: 256
    .name:           _ZN7rocprim17ROCPRIM_400000_NS6detail17trampoline_kernelINS0_14default_configENS1_20scan_config_selectorIxEEZZNS1_9scan_implILNS1_25lookback_scan_determinismE0ELb0ELb0ES3_N6thrust23THRUST_200600_302600_NS6detail15normal_iteratorINS9_10device_ptrIxEEEESE_xNS9_4plusIvEExEEDaPvRmT3_T4_T5_mT6_P12ihipStream_tbENKUlT_T0_E_clISt17integral_constantIbLb1EEST_IbLb0EEEEDaSP_SQ_EUlSP_E_NS1_11comp_targetILNS1_3genE8ELNS1_11target_archE1030ELNS1_3gpuE2ELNS1_3repE0EEENS1_30default_config_static_selectorELNS0_4arch9wavefront6targetE1EEEvT1_
    .private_segment_fixed_size: 0
    .sgpr_count:     4
    .sgpr_spill_count: 0
    .symbol:         _ZN7rocprim17ROCPRIM_400000_NS6detail17trampoline_kernelINS0_14default_configENS1_20scan_config_selectorIxEEZZNS1_9scan_implILNS1_25lookback_scan_determinismE0ELb0ELb0ES3_N6thrust23THRUST_200600_302600_NS6detail15normal_iteratorINS9_10device_ptrIxEEEESE_xNS9_4plusIvEExEEDaPvRmT3_T4_T5_mT6_P12ihipStream_tbENKUlT_T0_E_clISt17integral_constantIbLb1EEST_IbLb0EEEEDaSP_SQ_EUlSP_E_NS1_11comp_targetILNS1_3genE8ELNS1_11target_archE1030ELNS1_3gpuE2ELNS1_3repE0EEENS1_30default_config_static_selectorELNS0_4arch9wavefront6targetE1EEEvT1_.kd
    .uniform_work_group_size: 1
    .uses_dynamic_stack: false
    .vgpr_count:     0
    .vgpr_spill_count: 0
    .wavefront_size: 64
  - .agpr_count:     0
    .args:
      - .offset:         0
        .size:           40
        .value_kind:     by_value
    .group_segment_fixed_size: 0
    .kernarg_segment_align: 8
    .kernarg_segment_size: 40
    .language:       OpenCL C
    .language_version:
      - 2
      - 0
    .max_flat_workgroup_size: 256
    .name:           _ZN7rocprim17ROCPRIM_400000_NS6detail17trampoline_kernelINS0_14default_configENS1_20scan_config_selectorIxEEZZNS1_9scan_implILNS1_25lookback_scan_determinismE0ELb0ELb0ES3_N6thrust23THRUST_200600_302600_NS6detail15normal_iteratorINS9_10device_ptrIxEEEESE_xNS9_4plusIvEExEEDaPvRmT3_T4_T5_mT6_P12ihipStream_tbENKUlT_T0_E_clISt17integral_constantIbLb1EEST_IbLb0EEEEDaSP_SQ_EUlSP_E0_NS1_11comp_targetILNS1_3genE0ELNS1_11target_archE4294967295ELNS1_3gpuE0ELNS1_3repE0EEENS1_30default_config_static_selectorELNS0_4arch9wavefront6targetE1EEEvT1_
    .private_segment_fixed_size: 0
    .sgpr_count:     4
    .sgpr_spill_count: 0
    .symbol:         _ZN7rocprim17ROCPRIM_400000_NS6detail17trampoline_kernelINS0_14default_configENS1_20scan_config_selectorIxEEZZNS1_9scan_implILNS1_25lookback_scan_determinismE0ELb0ELb0ES3_N6thrust23THRUST_200600_302600_NS6detail15normal_iteratorINS9_10device_ptrIxEEEESE_xNS9_4plusIvEExEEDaPvRmT3_T4_T5_mT6_P12ihipStream_tbENKUlT_T0_E_clISt17integral_constantIbLb1EEST_IbLb0EEEEDaSP_SQ_EUlSP_E0_NS1_11comp_targetILNS1_3genE0ELNS1_11target_archE4294967295ELNS1_3gpuE0ELNS1_3repE0EEENS1_30default_config_static_selectorELNS0_4arch9wavefront6targetE1EEEvT1_.kd
    .uniform_work_group_size: 1
    .uses_dynamic_stack: false
    .vgpr_count:     0
    .vgpr_spill_count: 0
    .wavefront_size: 64
  - .agpr_count:     0
    .args:
      - .offset:         0
        .size:           40
        .value_kind:     by_value
    .group_segment_fixed_size: 0
    .kernarg_segment_align: 8
    .kernarg_segment_size: 40
    .language:       OpenCL C
    .language_version:
      - 2
      - 0
    .max_flat_workgroup_size: 256
    .name:           _ZN7rocprim17ROCPRIM_400000_NS6detail17trampoline_kernelINS0_14default_configENS1_20scan_config_selectorIxEEZZNS1_9scan_implILNS1_25lookback_scan_determinismE0ELb0ELb0ES3_N6thrust23THRUST_200600_302600_NS6detail15normal_iteratorINS9_10device_ptrIxEEEESE_xNS9_4plusIvEExEEDaPvRmT3_T4_T5_mT6_P12ihipStream_tbENKUlT_T0_E_clISt17integral_constantIbLb1EEST_IbLb0EEEEDaSP_SQ_EUlSP_E0_NS1_11comp_targetILNS1_3genE5ELNS1_11target_archE942ELNS1_3gpuE9ELNS1_3repE0EEENS1_30default_config_static_selectorELNS0_4arch9wavefront6targetE1EEEvT1_
    .private_segment_fixed_size: 0
    .sgpr_count:     4
    .sgpr_spill_count: 0
    .symbol:         _ZN7rocprim17ROCPRIM_400000_NS6detail17trampoline_kernelINS0_14default_configENS1_20scan_config_selectorIxEEZZNS1_9scan_implILNS1_25lookback_scan_determinismE0ELb0ELb0ES3_N6thrust23THRUST_200600_302600_NS6detail15normal_iteratorINS9_10device_ptrIxEEEESE_xNS9_4plusIvEExEEDaPvRmT3_T4_T5_mT6_P12ihipStream_tbENKUlT_T0_E_clISt17integral_constantIbLb1EEST_IbLb0EEEEDaSP_SQ_EUlSP_E0_NS1_11comp_targetILNS1_3genE5ELNS1_11target_archE942ELNS1_3gpuE9ELNS1_3repE0EEENS1_30default_config_static_selectorELNS0_4arch9wavefront6targetE1EEEvT1_.kd
    .uniform_work_group_size: 1
    .uses_dynamic_stack: false
    .vgpr_count:     0
    .vgpr_spill_count: 0
    .wavefront_size: 64
  - .agpr_count:     0
    .args:
      - .offset:         0
        .size:           40
        .value_kind:     by_value
    .group_segment_fixed_size: 7168
    .kernarg_segment_align: 8
    .kernarg_segment_size: 40
    .language:       OpenCL C
    .language_version:
      - 2
      - 0
    .max_flat_workgroup_size: 128
    .name:           _ZN7rocprim17ROCPRIM_400000_NS6detail17trampoline_kernelINS0_14default_configENS1_20scan_config_selectorIxEEZZNS1_9scan_implILNS1_25lookback_scan_determinismE0ELb0ELb0ES3_N6thrust23THRUST_200600_302600_NS6detail15normal_iteratorINS9_10device_ptrIxEEEESE_xNS9_4plusIvEExEEDaPvRmT3_T4_T5_mT6_P12ihipStream_tbENKUlT_T0_E_clISt17integral_constantIbLb1EEST_IbLb0EEEEDaSP_SQ_EUlSP_E0_NS1_11comp_targetILNS1_3genE4ELNS1_11target_archE910ELNS1_3gpuE8ELNS1_3repE0EEENS1_30default_config_static_selectorELNS0_4arch9wavefront6targetE1EEEvT1_
    .private_segment_fixed_size: 0
    .sgpr_count:     26
    .sgpr_spill_count: 0
    .symbol:         _ZN7rocprim17ROCPRIM_400000_NS6detail17trampoline_kernelINS0_14default_configENS1_20scan_config_selectorIxEEZZNS1_9scan_implILNS1_25lookback_scan_determinismE0ELb0ELb0ES3_N6thrust23THRUST_200600_302600_NS6detail15normal_iteratorINS9_10device_ptrIxEEEESE_xNS9_4plusIvEExEEDaPvRmT3_T4_T5_mT6_P12ihipStream_tbENKUlT_T0_E_clISt17integral_constantIbLb1EEST_IbLb0EEEEDaSP_SQ_EUlSP_E0_NS1_11comp_targetILNS1_3genE4ELNS1_11target_archE910ELNS1_3gpuE8ELNS1_3repE0EEENS1_30default_config_static_selectorELNS0_4arch9wavefront6targetE1EEEvT1_.kd
    .uniform_work_group_size: 1
    .uses_dynamic_stack: false
    .vgpr_count:     41
    .vgpr_spill_count: 0
    .wavefront_size: 64
  - .agpr_count:     0
    .args:
      - .offset:         0
        .size:           40
        .value_kind:     by_value
    .group_segment_fixed_size: 0
    .kernarg_segment_align: 8
    .kernarg_segment_size: 40
    .language:       OpenCL C
    .language_version:
      - 2
      - 0
    .max_flat_workgroup_size: 256
    .name:           _ZN7rocprim17ROCPRIM_400000_NS6detail17trampoline_kernelINS0_14default_configENS1_20scan_config_selectorIxEEZZNS1_9scan_implILNS1_25lookback_scan_determinismE0ELb0ELb0ES3_N6thrust23THRUST_200600_302600_NS6detail15normal_iteratorINS9_10device_ptrIxEEEESE_xNS9_4plusIvEExEEDaPvRmT3_T4_T5_mT6_P12ihipStream_tbENKUlT_T0_E_clISt17integral_constantIbLb1EEST_IbLb0EEEEDaSP_SQ_EUlSP_E0_NS1_11comp_targetILNS1_3genE3ELNS1_11target_archE908ELNS1_3gpuE7ELNS1_3repE0EEENS1_30default_config_static_selectorELNS0_4arch9wavefront6targetE1EEEvT1_
    .private_segment_fixed_size: 0
    .sgpr_count:     4
    .sgpr_spill_count: 0
    .symbol:         _ZN7rocprim17ROCPRIM_400000_NS6detail17trampoline_kernelINS0_14default_configENS1_20scan_config_selectorIxEEZZNS1_9scan_implILNS1_25lookback_scan_determinismE0ELb0ELb0ES3_N6thrust23THRUST_200600_302600_NS6detail15normal_iteratorINS9_10device_ptrIxEEEESE_xNS9_4plusIvEExEEDaPvRmT3_T4_T5_mT6_P12ihipStream_tbENKUlT_T0_E_clISt17integral_constantIbLb1EEST_IbLb0EEEEDaSP_SQ_EUlSP_E0_NS1_11comp_targetILNS1_3genE3ELNS1_11target_archE908ELNS1_3gpuE7ELNS1_3repE0EEENS1_30default_config_static_selectorELNS0_4arch9wavefront6targetE1EEEvT1_.kd
    .uniform_work_group_size: 1
    .uses_dynamic_stack: false
    .vgpr_count:     0
    .vgpr_spill_count: 0
    .wavefront_size: 64
  - .agpr_count:     0
    .args:
      - .offset:         0
        .size:           40
        .value_kind:     by_value
    .group_segment_fixed_size: 0
    .kernarg_segment_align: 8
    .kernarg_segment_size: 40
    .language:       OpenCL C
    .language_version:
      - 2
      - 0
    .max_flat_workgroup_size: 64
    .name:           _ZN7rocprim17ROCPRIM_400000_NS6detail17trampoline_kernelINS0_14default_configENS1_20scan_config_selectorIxEEZZNS1_9scan_implILNS1_25lookback_scan_determinismE0ELb0ELb0ES3_N6thrust23THRUST_200600_302600_NS6detail15normal_iteratorINS9_10device_ptrIxEEEESE_xNS9_4plusIvEExEEDaPvRmT3_T4_T5_mT6_P12ihipStream_tbENKUlT_T0_E_clISt17integral_constantIbLb1EEST_IbLb0EEEEDaSP_SQ_EUlSP_E0_NS1_11comp_targetILNS1_3genE2ELNS1_11target_archE906ELNS1_3gpuE6ELNS1_3repE0EEENS1_30default_config_static_selectorELNS0_4arch9wavefront6targetE1EEEvT1_
    .private_segment_fixed_size: 0
    .sgpr_count:     4
    .sgpr_spill_count: 0
    .symbol:         _ZN7rocprim17ROCPRIM_400000_NS6detail17trampoline_kernelINS0_14default_configENS1_20scan_config_selectorIxEEZZNS1_9scan_implILNS1_25lookback_scan_determinismE0ELb0ELb0ES3_N6thrust23THRUST_200600_302600_NS6detail15normal_iteratorINS9_10device_ptrIxEEEESE_xNS9_4plusIvEExEEDaPvRmT3_T4_T5_mT6_P12ihipStream_tbENKUlT_T0_E_clISt17integral_constantIbLb1EEST_IbLb0EEEEDaSP_SQ_EUlSP_E0_NS1_11comp_targetILNS1_3genE2ELNS1_11target_archE906ELNS1_3gpuE6ELNS1_3repE0EEENS1_30default_config_static_selectorELNS0_4arch9wavefront6targetE1EEEvT1_.kd
    .uniform_work_group_size: 1
    .uses_dynamic_stack: false
    .vgpr_count:     0
    .vgpr_spill_count: 0
    .wavefront_size: 64
  - .agpr_count:     0
    .args:
      - .offset:         0
        .size:           40
        .value_kind:     by_value
    .group_segment_fixed_size: 0
    .kernarg_segment_align: 8
    .kernarg_segment_size: 40
    .language:       OpenCL C
    .language_version:
      - 2
      - 0
    .max_flat_workgroup_size: 256
    .name:           _ZN7rocprim17ROCPRIM_400000_NS6detail17trampoline_kernelINS0_14default_configENS1_20scan_config_selectorIxEEZZNS1_9scan_implILNS1_25lookback_scan_determinismE0ELb0ELb0ES3_N6thrust23THRUST_200600_302600_NS6detail15normal_iteratorINS9_10device_ptrIxEEEESE_xNS9_4plusIvEExEEDaPvRmT3_T4_T5_mT6_P12ihipStream_tbENKUlT_T0_E_clISt17integral_constantIbLb1EEST_IbLb0EEEEDaSP_SQ_EUlSP_E0_NS1_11comp_targetILNS1_3genE10ELNS1_11target_archE1201ELNS1_3gpuE5ELNS1_3repE0EEENS1_30default_config_static_selectorELNS0_4arch9wavefront6targetE1EEEvT1_
    .private_segment_fixed_size: 0
    .sgpr_count:     4
    .sgpr_spill_count: 0
    .symbol:         _ZN7rocprim17ROCPRIM_400000_NS6detail17trampoline_kernelINS0_14default_configENS1_20scan_config_selectorIxEEZZNS1_9scan_implILNS1_25lookback_scan_determinismE0ELb0ELb0ES3_N6thrust23THRUST_200600_302600_NS6detail15normal_iteratorINS9_10device_ptrIxEEEESE_xNS9_4plusIvEExEEDaPvRmT3_T4_T5_mT6_P12ihipStream_tbENKUlT_T0_E_clISt17integral_constantIbLb1EEST_IbLb0EEEEDaSP_SQ_EUlSP_E0_NS1_11comp_targetILNS1_3genE10ELNS1_11target_archE1201ELNS1_3gpuE5ELNS1_3repE0EEENS1_30default_config_static_selectorELNS0_4arch9wavefront6targetE1EEEvT1_.kd
    .uniform_work_group_size: 1
    .uses_dynamic_stack: false
    .vgpr_count:     0
    .vgpr_spill_count: 0
    .wavefront_size: 64
  - .agpr_count:     0
    .args:
      - .offset:         0
        .size:           40
        .value_kind:     by_value
    .group_segment_fixed_size: 0
    .kernarg_segment_align: 8
    .kernarg_segment_size: 40
    .language:       OpenCL C
    .language_version:
      - 2
      - 0
    .max_flat_workgroup_size: 256
    .name:           _ZN7rocprim17ROCPRIM_400000_NS6detail17trampoline_kernelINS0_14default_configENS1_20scan_config_selectorIxEEZZNS1_9scan_implILNS1_25lookback_scan_determinismE0ELb0ELb0ES3_N6thrust23THRUST_200600_302600_NS6detail15normal_iteratorINS9_10device_ptrIxEEEESE_xNS9_4plusIvEExEEDaPvRmT3_T4_T5_mT6_P12ihipStream_tbENKUlT_T0_E_clISt17integral_constantIbLb1EEST_IbLb0EEEEDaSP_SQ_EUlSP_E0_NS1_11comp_targetILNS1_3genE10ELNS1_11target_archE1200ELNS1_3gpuE4ELNS1_3repE0EEENS1_30default_config_static_selectorELNS0_4arch9wavefront6targetE1EEEvT1_
    .private_segment_fixed_size: 0
    .sgpr_count:     4
    .sgpr_spill_count: 0
    .symbol:         _ZN7rocprim17ROCPRIM_400000_NS6detail17trampoline_kernelINS0_14default_configENS1_20scan_config_selectorIxEEZZNS1_9scan_implILNS1_25lookback_scan_determinismE0ELb0ELb0ES3_N6thrust23THRUST_200600_302600_NS6detail15normal_iteratorINS9_10device_ptrIxEEEESE_xNS9_4plusIvEExEEDaPvRmT3_T4_T5_mT6_P12ihipStream_tbENKUlT_T0_E_clISt17integral_constantIbLb1EEST_IbLb0EEEEDaSP_SQ_EUlSP_E0_NS1_11comp_targetILNS1_3genE10ELNS1_11target_archE1200ELNS1_3gpuE4ELNS1_3repE0EEENS1_30default_config_static_selectorELNS0_4arch9wavefront6targetE1EEEvT1_.kd
    .uniform_work_group_size: 1
    .uses_dynamic_stack: false
    .vgpr_count:     0
    .vgpr_spill_count: 0
    .wavefront_size: 64
  - .agpr_count:     0
    .args:
      - .offset:         0
        .size:           40
        .value_kind:     by_value
    .group_segment_fixed_size: 0
    .kernarg_segment_align: 8
    .kernarg_segment_size: 40
    .language:       OpenCL C
    .language_version:
      - 2
      - 0
    .max_flat_workgroup_size: 256
    .name:           _ZN7rocprim17ROCPRIM_400000_NS6detail17trampoline_kernelINS0_14default_configENS1_20scan_config_selectorIxEEZZNS1_9scan_implILNS1_25lookback_scan_determinismE0ELb0ELb0ES3_N6thrust23THRUST_200600_302600_NS6detail15normal_iteratorINS9_10device_ptrIxEEEESE_xNS9_4plusIvEExEEDaPvRmT3_T4_T5_mT6_P12ihipStream_tbENKUlT_T0_E_clISt17integral_constantIbLb1EEST_IbLb0EEEEDaSP_SQ_EUlSP_E0_NS1_11comp_targetILNS1_3genE9ELNS1_11target_archE1100ELNS1_3gpuE3ELNS1_3repE0EEENS1_30default_config_static_selectorELNS0_4arch9wavefront6targetE1EEEvT1_
    .private_segment_fixed_size: 0
    .sgpr_count:     4
    .sgpr_spill_count: 0
    .symbol:         _ZN7rocprim17ROCPRIM_400000_NS6detail17trampoline_kernelINS0_14default_configENS1_20scan_config_selectorIxEEZZNS1_9scan_implILNS1_25lookback_scan_determinismE0ELb0ELb0ES3_N6thrust23THRUST_200600_302600_NS6detail15normal_iteratorINS9_10device_ptrIxEEEESE_xNS9_4plusIvEExEEDaPvRmT3_T4_T5_mT6_P12ihipStream_tbENKUlT_T0_E_clISt17integral_constantIbLb1EEST_IbLb0EEEEDaSP_SQ_EUlSP_E0_NS1_11comp_targetILNS1_3genE9ELNS1_11target_archE1100ELNS1_3gpuE3ELNS1_3repE0EEENS1_30default_config_static_selectorELNS0_4arch9wavefront6targetE1EEEvT1_.kd
    .uniform_work_group_size: 1
    .uses_dynamic_stack: false
    .vgpr_count:     0
    .vgpr_spill_count: 0
    .wavefront_size: 64
  - .agpr_count:     0
    .args:
      - .offset:         0
        .size:           40
        .value_kind:     by_value
    .group_segment_fixed_size: 0
    .kernarg_segment_align: 8
    .kernarg_segment_size: 40
    .language:       OpenCL C
    .language_version:
      - 2
      - 0
    .max_flat_workgroup_size: 256
    .name:           _ZN7rocprim17ROCPRIM_400000_NS6detail17trampoline_kernelINS0_14default_configENS1_20scan_config_selectorIxEEZZNS1_9scan_implILNS1_25lookback_scan_determinismE0ELb0ELb0ES3_N6thrust23THRUST_200600_302600_NS6detail15normal_iteratorINS9_10device_ptrIxEEEESE_xNS9_4plusIvEExEEDaPvRmT3_T4_T5_mT6_P12ihipStream_tbENKUlT_T0_E_clISt17integral_constantIbLb1EEST_IbLb0EEEEDaSP_SQ_EUlSP_E0_NS1_11comp_targetILNS1_3genE8ELNS1_11target_archE1030ELNS1_3gpuE2ELNS1_3repE0EEENS1_30default_config_static_selectorELNS0_4arch9wavefront6targetE1EEEvT1_
    .private_segment_fixed_size: 0
    .sgpr_count:     4
    .sgpr_spill_count: 0
    .symbol:         _ZN7rocprim17ROCPRIM_400000_NS6detail17trampoline_kernelINS0_14default_configENS1_20scan_config_selectorIxEEZZNS1_9scan_implILNS1_25lookback_scan_determinismE0ELb0ELb0ES3_N6thrust23THRUST_200600_302600_NS6detail15normal_iteratorINS9_10device_ptrIxEEEESE_xNS9_4plusIvEExEEDaPvRmT3_T4_T5_mT6_P12ihipStream_tbENKUlT_T0_E_clISt17integral_constantIbLb1EEST_IbLb0EEEEDaSP_SQ_EUlSP_E0_NS1_11comp_targetILNS1_3genE8ELNS1_11target_archE1030ELNS1_3gpuE2ELNS1_3repE0EEENS1_30default_config_static_selectorELNS0_4arch9wavefront6targetE1EEEvT1_.kd
    .uniform_work_group_size: 1
    .uses_dynamic_stack: false
    .vgpr_count:     0
    .vgpr_spill_count: 0
    .wavefront_size: 64
  - .agpr_count:     0
    .args:
      - .address_space:  global
        .offset:         0
        .size:           8
        .value_kind:     global_buffer
      - .offset:         8
        .size:           4
        .value_kind:     by_value
      - .address_space:  global
        .offset:         16
        .size:           8
        .value_kind:     global_buffer
      - .offset:         24
        .size:           4
        .value_kind:     by_value
      - .address_space:  global
        .offset:         32
        .size:           8
        .value_kind:     global_buffer
      - .offset:         40
        .size:           4
        .value_kind:     hidden_block_count_x
      - .offset:         44
        .size:           4
        .value_kind:     hidden_block_count_y
      - .offset:         48
        .size:           4
        .value_kind:     hidden_block_count_z
      - .offset:         52
        .size:           2
        .value_kind:     hidden_group_size_x
      - .offset:         54
        .size:           2
        .value_kind:     hidden_group_size_y
      - .offset:         56
        .size:           2
        .value_kind:     hidden_group_size_z
      - .offset:         58
        .size:           2
        .value_kind:     hidden_remainder_x
      - .offset:         60
        .size:           2
        .value_kind:     hidden_remainder_y
      - .offset:         62
        .size:           2
        .value_kind:     hidden_remainder_z
      - .offset:         80
        .size:           8
        .value_kind:     hidden_global_offset_x
      - .offset:         88
        .size:           8
        .value_kind:     hidden_global_offset_y
      - .offset:         96
        .size:           8
        .value_kind:     hidden_global_offset_z
      - .offset:         104
        .size:           2
        .value_kind:     hidden_grid_dims
    .group_segment_fixed_size: 0
    .kernarg_segment_align: 8
    .kernarg_segment_size: 296
    .language:       OpenCL C
    .language_version:
      - 2
      - 0
    .max_flat_workgroup_size: 256
    .name:           _ZN7rocprim17ROCPRIM_400000_NS6detail31init_lookback_scan_state_kernelINS1_19lookback_scan_stateIxLb0ELb1EEENS1_16block_id_wrapperIjLb1EEEEEvT_jT0_jPNS7_10value_typeE
    .private_segment_fixed_size: 0
    .sgpr_count:     19
    .sgpr_spill_count: 0
    .symbol:         _ZN7rocprim17ROCPRIM_400000_NS6detail31init_lookback_scan_state_kernelINS1_19lookback_scan_stateIxLb0ELb1EEENS1_16block_id_wrapperIjLb1EEEEEvT_jT0_jPNS7_10value_typeE.kd
    .uniform_work_group_size: 1
    .uses_dynamic_stack: false
    .vgpr_count:     10
    .vgpr_spill_count: 0
    .wavefront_size: 64
  - .agpr_count:     0
    .args:
      - .offset:         0
        .size:           104
        .value_kind:     by_value
    .group_segment_fixed_size: 0
    .kernarg_segment_align: 8
    .kernarg_segment_size: 104
    .language:       OpenCL C
    .language_version:
      - 2
      - 0
    .max_flat_workgroup_size: 256
    .name:           _ZN7rocprim17ROCPRIM_400000_NS6detail17trampoline_kernelINS0_14default_configENS1_20scan_config_selectorIxEEZZNS1_9scan_implILNS1_25lookback_scan_determinismE0ELb0ELb0ES3_N6thrust23THRUST_200600_302600_NS6detail15normal_iteratorINS9_10device_ptrIxEEEESE_xNS9_4plusIvEExEEDaPvRmT3_T4_T5_mT6_P12ihipStream_tbENKUlT_T0_E_clISt17integral_constantIbLb0EEST_IbLb1EEEEDaSP_SQ_EUlSP_E_NS1_11comp_targetILNS1_3genE0ELNS1_11target_archE4294967295ELNS1_3gpuE0ELNS1_3repE0EEENS1_30default_config_static_selectorELNS0_4arch9wavefront6targetE1EEEvT1_
    .private_segment_fixed_size: 0
    .sgpr_count:     4
    .sgpr_spill_count: 0
    .symbol:         _ZN7rocprim17ROCPRIM_400000_NS6detail17trampoline_kernelINS0_14default_configENS1_20scan_config_selectorIxEEZZNS1_9scan_implILNS1_25lookback_scan_determinismE0ELb0ELb0ES3_N6thrust23THRUST_200600_302600_NS6detail15normal_iteratorINS9_10device_ptrIxEEEESE_xNS9_4plusIvEExEEDaPvRmT3_T4_T5_mT6_P12ihipStream_tbENKUlT_T0_E_clISt17integral_constantIbLb0EEST_IbLb1EEEEDaSP_SQ_EUlSP_E_NS1_11comp_targetILNS1_3genE0ELNS1_11target_archE4294967295ELNS1_3gpuE0ELNS1_3repE0EEENS1_30default_config_static_selectorELNS0_4arch9wavefront6targetE1EEEvT1_.kd
    .uniform_work_group_size: 1
    .uses_dynamic_stack: false
    .vgpr_count:     0
    .vgpr_spill_count: 0
    .wavefront_size: 64
  - .agpr_count:     0
    .args:
      - .offset:         0
        .size:           104
        .value_kind:     by_value
    .group_segment_fixed_size: 0
    .kernarg_segment_align: 8
    .kernarg_segment_size: 104
    .language:       OpenCL C
    .language_version:
      - 2
      - 0
    .max_flat_workgroup_size: 256
    .name:           _ZN7rocprim17ROCPRIM_400000_NS6detail17trampoline_kernelINS0_14default_configENS1_20scan_config_selectorIxEEZZNS1_9scan_implILNS1_25lookback_scan_determinismE0ELb0ELb0ES3_N6thrust23THRUST_200600_302600_NS6detail15normal_iteratorINS9_10device_ptrIxEEEESE_xNS9_4plusIvEExEEDaPvRmT3_T4_T5_mT6_P12ihipStream_tbENKUlT_T0_E_clISt17integral_constantIbLb0EEST_IbLb1EEEEDaSP_SQ_EUlSP_E_NS1_11comp_targetILNS1_3genE5ELNS1_11target_archE942ELNS1_3gpuE9ELNS1_3repE0EEENS1_30default_config_static_selectorELNS0_4arch9wavefront6targetE1EEEvT1_
    .private_segment_fixed_size: 0
    .sgpr_count:     4
    .sgpr_spill_count: 0
    .symbol:         _ZN7rocprim17ROCPRIM_400000_NS6detail17trampoline_kernelINS0_14default_configENS1_20scan_config_selectorIxEEZZNS1_9scan_implILNS1_25lookback_scan_determinismE0ELb0ELb0ES3_N6thrust23THRUST_200600_302600_NS6detail15normal_iteratorINS9_10device_ptrIxEEEESE_xNS9_4plusIvEExEEDaPvRmT3_T4_T5_mT6_P12ihipStream_tbENKUlT_T0_E_clISt17integral_constantIbLb0EEST_IbLb1EEEEDaSP_SQ_EUlSP_E_NS1_11comp_targetILNS1_3genE5ELNS1_11target_archE942ELNS1_3gpuE9ELNS1_3repE0EEENS1_30default_config_static_selectorELNS0_4arch9wavefront6targetE1EEEvT1_.kd
    .uniform_work_group_size: 1
    .uses_dynamic_stack: false
    .vgpr_count:     0
    .vgpr_spill_count: 0
    .wavefront_size: 64
  - .agpr_count:     0
    .args:
      - .offset:         0
        .size:           104
        .value_kind:     by_value
    .group_segment_fixed_size: 7168
    .kernarg_segment_align: 8
    .kernarg_segment_size: 104
    .language:       OpenCL C
    .language_version:
      - 2
      - 0
    .max_flat_workgroup_size: 128
    .name:           _ZN7rocprim17ROCPRIM_400000_NS6detail17trampoline_kernelINS0_14default_configENS1_20scan_config_selectorIxEEZZNS1_9scan_implILNS1_25lookback_scan_determinismE0ELb0ELb0ES3_N6thrust23THRUST_200600_302600_NS6detail15normal_iteratorINS9_10device_ptrIxEEEESE_xNS9_4plusIvEExEEDaPvRmT3_T4_T5_mT6_P12ihipStream_tbENKUlT_T0_E_clISt17integral_constantIbLb0EEST_IbLb1EEEEDaSP_SQ_EUlSP_E_NS1_11comp_targetILNS1_3genE4ELNS1_11target_archE910ELNS1_3gpuE8ELNS1_3repE0EEENS1_30default_config_static_selectorELNS0_4arch9wavefront6targetE1EEEvT1_
    .private_segment_fixed_size: 0
    .sgpr_count:     40
    .sgpr_spill_count: 0
    .symbol:         _ZN7rocprim17ROCPRIM_400000_NS6detail17trampoline_kernelINS0_14default_configENS1_20scan_config_selectorIxEEZZNS1_9scan_implILNS1_25lookback_scan_determinismE0ELb0ELb0ES3_N6thrust23THRUST_200600_302600_NS6detail15normal_iteratorINS9_10device_ptrIxEEEESE_xNS9_4plusIvEExEEDaPvRmT3_T4_T5_mT6_P12ihipStream_tbENKUlT_T0_E_clISt17integral_constantIbLb0EEST_IbLb1EEEEDaSP_SQ_EUlSP_E_NS1_11comp_targetILNS1_3genE4ELNS1_11target_archE910ELNS1_3gpuE8ELNS1_3repE0EEENS1_30default_config_static_selectorELNS0_4arch9wavefront6targetE1EEEvT1_.kd
    .uniform_work_group_size: 1
    .uses_dynamic_stack: false
    .vgpr_count:     51
    .vgpr_spill_count: 0
    .wavefront_size: 64
  - .agpr_count:     0
    .args:
      - .offset:         0
        .size:           104
        .value_kind:     by_value
    .group_segment_fixed_size: 0
    .kernarg_segment_align: 8
    .kernarg_segment_size: 104
    .language:       OpenCL C
    .language_version:
      - 2
      - 0
    .max_flat_workgroup_size: 256
    .name:           _ZN7rocprim17ROCPRIM_400000_NS6detail17trampoline_kernelINS0_14default_configENS1_20scan_config_selectorIxEEZZNS1_9scan_implILNS1_25lookback_scan_determinismE0ELb0ELb0ES3_N6thrust23THRUST_200600_302600_NS6detail15normal_iteratorINS9_10device_ptrIxEEEESE_xNS9_4plusIvEExEEDaPvRmT3_T4_T5_mT6_P12ihipStream_tbENKUlT_T0_E_clISt17integral_constantIbLb0EEST_IbLb1EEEEDaSP_SQ_EUlSP_E_NS1_11comp_targetILNS1_3genE3ELNS1_11target_archE908ELNS1_3gpuE7ELNS1_3repE0EEENS1_30default_config_static_selectorELNS0_4arch9wavefront6targetE1EEEvT1_
    .private_segment_fixed_size: 0
    .sgpr_count:     4
    .sgpr_spill_count: 0
    .symbol:         _ZN7rocprim17ROCPRIM_400000_NS6detail17trampoline_kernelINS0_14default_configENS1_20scan_config_selectorIxEEZZNS1_9scan_implILNS1_25lookback_scan_determinismE0ELb0ELb0ES3_N6thrust23THRUST_200600_302600_NS6detail15normal_iteratorINS9_10device_ptrIxEEEESE_xNS9_4plusIvEExEEDaPvRmT3_T4_T5_mT6_P12ihipStream_tbENKUlT_T0_E_clISt17integral_constantIbLb0EEST_IbLb1EEEEDaSP_SQ_EUlSP_E_NS1_11comp_targetILNS1_3genE3ELNS1_11target_archE908ELNS1_3gpuE7ELNS1_3repE0EEENS1_30default_config_static_selectorELNS0_4arch9wavefront6targetE1EEEvT1_.kd
    .uniform_work_group_size: 1
    .uses_dynamic_stack: false
    .vgpr_count:     0
    .vgpr_spill_count: 0
    .wavefront_size: 64
  - .agpr_count:     0
    .args:
      - .offset:         0
        .size:           104
        .value_kind:     by_value
    .group_segment_fixed_size: 0
    .kernarg_segment_align: 8
    .kernarg_segment_size: 104
    .language:       OpenCL C
    .language_version:
      - 2
      - 0
    .max_flat_workgroup_size: 64
    .name:           _ZN7rocprim17ROCPRIM_400000_NS6detail17trampoline_kernelINS0_14default_configENS1_20scan_config_selectorIxEEZZNS1_9scan_implILNS1_25lookback_scan_determinismE0ELb0ELb0ES3_N6thrust23THRUST_200600_302600_NS6detail15normal_iteratorINS9_10device_ptrIxEEEESE_xNS9_4plusIvEExEEDaPvRmT3_T4_T5_mT6_P12ihipStream_tbENKUlT_T0_E_clISt17integral_constantIbLb0EEST_IbLb1EEEEDaSP_SQ_EUlSP_E_NS1_11comp_targetILNS1_3genE2ELNS1_11target_archE906ELNS1_3gpuE6ELNS1_3repE0EEENS1_30default_config_static_selectorELNS0_4arch9wavefront6targetE1EEEvT1_
    .private_segment_fixed_size: 0
    .sgpr_count:     4
    .sgpr_spill_count: 0
    .symbol:         _ZN7rocprim17ROCPRIM_400000_NS6detail17trampoline_kernelINS0_14default_configENS1_20scan_config_selectorIxEEZZNS1_9scan_implILNS1_25lookback_scan_determinismE0ELb0ELb0ES3_N6thrust23THRUST_200600_302600_NS6detail15normal_iteratorINS9_10device_ptrIxEEEESE_xNS9_4plusIvEExEEDaPvRmT3_T4_T5_mT6_P12ihipStream_tbENKUlT_T0_E_clISt17integral_constantIbLb0EEST_IbLb1EEEEDaSP_SQ_EUlSP_E_NS1_11comp_targetILNS1_3genE2ELNS1_11target_archE906ELNS1_3gpuE6ELNS1_3repE0EEENS1_30default_config_static_selectorELNS0_4arch9wavefront6targetE1EEEvT1_.kd
    .uniform_work_group_size: 1
    .uses_dynamic_stack: false
    .vgpr_count:     0
    .vgpr_spill_count: 0
    .wavefront_size: 64
  - .agpr_count:     0
    .args:
      - .offset:         0
        .size:           104
        .value_kind:     by_value
    .group_segment_fixed_size: 0
    .kernarg_segment_align: 8
    .kernarg_segment_size: 104
    .language:       OpenCL C
    .language_version:
      - 2
      - 0
    .max_flat_workgroup_size: 256
    .name:           _ZN7rocprim17ROCPRIM_400000_NS6detail17trampoline_kernelINS0_14default_configENS1_20scan_config_selectorIxEEZZNS1_9scan_implILNS1_25lookback_scan_determinismE0ELb0ELb0ES3_N6thrust23THRUST_200600_302600_NS6detail15normal_iteratorINS9_10device_ptrIxEEEESE_xNS9_4plusIvEExEEDaPvRmT3_T4_T5_mT6_P12ihipStream_tbENKUlT_T0_E_clISt17integral_constantIbLb0EEST_IbLb1EEEEDaSP_SQ_EUlSP_E_NS1_11comp_targetILNS1_3genE10ELNS1_11target_archE1201ELNS1_3gpuE5ELNS1_3repE0EEENS1_30default_config_static_selectorELNS0_4arch9wavefront6targetE1EEEvT1_
    .private_segment_fixed_size: 0
    .sgpr_count:     4
    .sgpr_spill_count: 0
    .symbol:         _ZN7rocprim17ROCPRIM_400000_NS6detail17trampoline_kernelINS0_14default_configENS1_20scan_config_selectorIxEEZZNS1_9scan_implILNS1_25lookback_scan_determinismE0ELb0ELb0ES3_N6thrust23THRUST_200600_302600_NS6detail15normal_iteratorINS9_10device_ptrIxEEEESE_xNS9_4plusIvEExEEDaPvRmT3_T4_T5_mT6_P12ihipStream_tbENKUlT_T0_E_clISt17integral_constantIbLb0EEST_IbLb1EEEEDaSP_SQ_EUlSP_E_NS1_11comp_targetILNS1_3genE10ELNS1_11target_archE1201ELNS1_3gpuE5ELNS1_3repE0EEENS1_30default_config_static_selectorELNS0_4arch9wavefront6targetE1EEEvT1_.kd
    .uniform_work_group_size: 1
    .uses_dynamic_stack: false
    .vgpr_count:     0
    .vgpr_spill_count: 0
    .wavefront_size: 64
  - .agpr_count:     0
    .args:
      - .offset:         0
        .size:           104
        .value_kind:     by_value
    .group_segment_fixed_size: 0
    .kernarg_segment_align: 8
    .kernarg_segment_size: 104
    .language:       OpenCL C
    .language_version:
      - 2
      - 0
    .max_flat_workgroup_size: 256
    .name:           _ZN7rocprim17ROCPRIM_400000_NS6detail17trampoline_kernelINS0_14default_configENS1_20scan_config_selectorIxEEZZNS1_9scan_implILNS1_25lookback_scan_determinismE0ELb0ELb0ES3_N6thrust23THRUST_200600_302600_NS6detail15normal_iteratorINS9_10device_ptrIxEEEESE_xNS9_4plusIvEExEEDaPvRmT3_T4_T5_mT6_P12ihipStream_tbENKUlT_T0_E_clISt17integral_constantIbLb0EEST_IbLb1EEEEDaSP_SQ_EUlSP_E_NS1_11comp_targetILNS1_3genE10ELNS1_11target_archE1200ELNS1_3gpuE4ELNS1_3repE0EEENS1_30default_config_static_selectorELNS0_4arch9wavefront6targetE1EEEvT1_
    .private_segment_fixed_size: 0
    .sgpr_count:     4
    .sgpr_spill_count: 0
    .symbol:         _ZN7rocprim17ROCPRIM_400000_NS6detail17trampoline_kernelINS0_14default_configENS1_20scan_config_selectorIxEEZZNS1_9scan_implILNS1_25lookback_scan_determinismE0ELb0ELb0ES3_N6thrust23THRUST_200600_302600_NS6detail15normal_iteratorINS9_10device_ptrIxEEEESE_xNS9_4plusIvEExEEDaPvRmT3_T4_T5_mT6_P12ihipStream_tbENKUlT_T0_E_clISt17integral_constantIbLb0EEST_IbLb1EEEEDaSP_SQ_EUlSP_E_NS1_11comp_targetILNS1_3genE10ELNS1_11target_archE1200ELNS1_3gpuE4ELNS1_3repE0EEENS1_30default_config_static_selectorELNS0_4arch9wavefront6targetE1EEEvT1_.kd
    .uniform_work_group_size: 1
    .uses_dynamic_stack: false
    .vgpr_count:     0
    .vgpr_spill_count: 0
    .wavefront_size: 64
  - .agpr_count:     0
    .args:
      - .offset:         0
        .size:           104
        .value_kind:     by_value
    .group_segment_fixed_size: 0
    .kernarg_segment_align: 8
    .kernarg_segment_size: 104
    .language:       OpenCL C
    .language_version:
      - 2
      - 0
    .max_flat_workgroup_size: 256
    .name:           _ZN7rocprim17ROCPRIM_400000_NS6detail17trampoline_kernelINS0_14default_configENS1_20scan_config_selectorIxEEZZNS1_9scan_implILNS1_25lookback_scan_determinismE0ELb0ELb0ES3_N6thrust23THRUST_200600_302600_NS6detail15normal_iteratorINS9_10device_ptrIxEEEESE_xNS9_4plusIvEExEEDaPvRmT3_T4_T5_mT6_P12ihipStream_tbENKUlT_T0_E_clISt17integral_constantIbLb0EEST_IbLb1EEEEDaSP_SQ_EUlSP_E_NS1_11comp_targetILNS1_3genE9ELNS1_11target_archE1100ELNS1_3gpuE3ELNS1_3repE0EEENS1_30default_config_static_selectorELNS0_4arch9wavefront6targetE1EEEvT1_
    .private_segment_fixed_size: 0
    .sgpr_count:     4
    .sgpr_spill_count: 0
    .symbol:         _ZN7rocprim17ROCPRIM_400000_NS6detail17trampoline_kernelINS0_14default_configENS1_20scan_config_selectorIxEEZZNS1_9scan_implILNS1_25lookback_scan_determinismE0ELb0ELb0ES3_N6thrust23THRUST_200600_302600_NS6detail15normal_iteratorINS9_10device_ptrIxEEEESE_xNS9_4plusIvEExEEDaPvRmT3_T4_T5_mT6_P12ihipStream_tbENKUlT_T0_E_clISt17integral_constantIbLb0EEST_IbLb1EEEEDaSP_SQ_EUlSP_E_NS1_11comp_targetILNS1_3genE9ELNS1_11target_archE1100ELNS1_3gpuE3ELNS1_3repE0EEENS1_30default_config_static_selectorELNS0_4arch9wavefront6targetE1EEEvT1_.kd
    .uniform_work_group_size: 1
    .uses_dynamic_stack: false
    .vgpr_count:     0
    .vgpr_spill_count: 0
    .wavefront_size: 64
  - .agpr_count:     0
    .args:
      - .offset:         0
        .size:           104
        .value_kind:     by_value
    .group_segment_fixed_size: 0
    .kernarg_segment_align: 8
    .kernarg_segment_size: 104
    .language:       OpenCL C
    .language_version:
      - 2
      - 0
    .max_flat_workgroup_size: 256
    .name:           _ZN7rocprim17ROCPRIM_400000_NS6detail17trampoline_kernelINS0_14default_configENS1_20scan_config_selectorIxEEZZNS1_9scan_implILNS1_25lookback_scan_determinismE0ELb0ELb0ES3_N6thrust23THRUST_200600_302600_NS6detail15normal_iteratorINS9_10device_ptrIxEEEESE_xNS9_4plusIvEExEEDaPvRmT3_T4_T5_mT6_P12ihipStream_tbENKUlT_T0_E_clISt17integral_constantIbLb0EEST_IbLb1EEEEDaSP_SQ_EUlSP_E_NS1_11comp_targetILNS1_3genE8ELNS1_11target_archE1030ELNS1_3gpuE2ELNS1_3repE0EEENS1_30default_config_static_selectorELNS0_4arch9wavefront6targetE1EEEvT1_
    .private_segment_fixed_size: 0
    .sgpr_count:     4
    .sgpr_spill_count: 0
    .symbol:         _ZN7rocprim17ROCPRIM_400000_NS6detail17trampoline_kernelINS0_14default_configENS1_20scan_config_selectorIxEEZZNS1_9scan_implILNS1_25lookback_scan_determinismE0ELb0ELb0ES3_N6thrust23THRUST_200600_302600_NS6detail15normal_iteratorINS9_10device_ptrIxEEEESE_xNS9_4plusIvEExEEDaPvRmT3_T4_T5_mT6_P12ihipStream_tbENKUlT_T0_E_clISt17integral_constantIbLb0EEST_IbLb1EEEEDaSP_SQ_EUlSP_E_NS1_11comp_targetILNS1_3genE8ELNS1_11target_archE1030ELNS1_3gpuE2ELNS1_3repE0EEENS1_30default_config_static_selectorELNS0_4arch9wavefront6targetE1EEEvT1_.kd
    .uniform_work_group_size: 1
    .uses_dynamic_stack: false
    .vgpr_count:     0
    .vgpr_spill_count: 0
    .wavefront_size: 64
  - .agpr_count:     0
    .args:
      - .offset:         0
        .size:           40
        .value_kind:     by_value
    .group_segment_fixed_size: 0
    .kernarg_segment_align: 8
    .kernarg_segment_size: 40
    .language:       OpenCL C
    .language_version:
      - 2
      - 0
    .max_flat_workgroup_size: 256
    .name:           _ZN7rocprim17ROCPRIM_400000_NS6detail17trampoline_kernelINS0_14default_configENS1_20scan_config_selectorIxEEZZNS1_9scan_implILNS1_25lookback_scan_determinismE0ELb0ELb0ES3_N6thrust23THRUST_200600_302600_NS6detail15normal_iteratorINS9_10device_ptrIxEEEESE_xNS9_4plusIvEExEEDaPvRmT3_T4_T5_mT6_P12ihipStream_tbENKUlT_T0_E_clISt17integral_constantIbLb0EEST_IbLb1EEEEDaSP_SQ_EUlSP_E0_NS1_11comp_targetILNS1_3genE0ELNS1_11target_archE4294967295ELNS1_3gpuE0ELNS1_3repE0EEENS1_30default_config_static_selectorELNS0_4arch9wavefront6targetE1EEEvT1_
    .private_segment_fixed_size: 0
    .sgpr_count:     4
    .sgpr_spill_count: 0
    .symbol:         _ZN7rocprim17ROCPRIM_400000_NS6detail17trampoline_kernelINS0_14default_configENS1_20scan_config_selectorIxEEZZNS1_9scan_implILNS1_25lookback_scan_determinismE0ELb0ELb0ES3_N6thrust23THRUST_200600_302600_NS6detail15normal_iteratorINS9_10device_ptrIxEEEESE_xNS9_4plusIvEExEEDaPvRmT3_T4_T5_mT6_P12ihipStream_tbENKUlT_T0_E_clISt17integral_constantIbLb0EEST_IbLb1EEEEDaSP_SQ_EUlSP_E0_NS1_11comp_targetILNS1_3genE0ELNS1_11target_archE4294967295ELNS1_3gpuE0ELNS1_3repE0EEENS1_30default_config_static_selectorELNS0_4arch9wavefront6targetE1EEEvT1_.kd
    .uniform_work_group_size: 1
    .uses_dynamic_stack: false
    .vgpr_count:     0
    .vgpr_spill_count: 0
    .wavefront_size: 64
  - .agpr_count:     0
    .args:
      - .offset:         0
        .size:           40
        .value_kind:     by_value
    .group_segment_fixed_size: 0
    .kernarg_segment_align: 8
    .kernarg_segment_size: 40
    .language:       OpenCL C
    .language_version:
      - 2
      - 0
    .max_flat_workgroup_size: 256
    .name:           _ZN7rocprim17ROCPRIM_400000_NS6detail17trampoline_kernelINS0_14default_configENS1_20scan_config_selectorIxEEZZNS1_9scan_implILNS1_25lookback_scan_determinismE0ELb0ELb0ES3_N6thrust23THRUST_200600_302600_NS6detail15normal_iteratorINS9_10device_ptrIxEEEESE_xNS9_4plusIvEExEEDaPvRmT3_T4_T5_mT6_P12ihipStream_tbENKUlT_T0_E_clISt17integral_constantIbLb0EEST_IbLb1EEEEDaSP_SQ_EUlSP_E0_NS1_11comp_targetILNS1_3genE5ELNS1_11target_archE942ELNS1_3gpuE9ELNS1_3repE0EEENS1_30default_config_static_selectorELNS0_4arch9wavefront6targetE1EEEvT1_
    .private_segment_fixed_size: 0
    .sgpr_count:     4
    .sgpr_spill_count: 0
    .symbol:         _ZN7rocprim17ROCPRIM_400000_NS6detail17trampoline_kernelINS0_14default_configENS1_20scan_config_selectorIxEEZZNS1_9scan_implILNS1_25lookback_scan_determinismE0ELb0ELb0ES3_N6thrust23THRUST_200600_302600_NS6detail15normal_iteratorINS9_10device_ptrIxEEEESE_xNS9_4plusIvEExEEDaPvRmT3_T4_T5_mT6_P12ihipStream_tbENKUlT_T0_E_clISt17integral_constantIbLb0EEST_IbLb1EEEEDaSP_SQ_EUlSP_E0_NS1_11comp_targetILNS1_3genE5ELNS1_11target_archE942ELNS1_3gpuE9ELNS1_3repE0EEENS1_30default_config_static_selectorELNS0_4arch9wavefront6targetE1EEEvT1_.kd
    .uniform_work_group_size: 1
    .uses_dynamic_stack: false
    .vgpr_count:     0
    .vgpr_spill_count: 0
    .wavefront_size: 64
  - .agpr_count:     0
    .args:
      - .offset:         0
        .size:           40
        .value_kind:     by_value
    .group_segment_fixed_size: 7168
    .kernarg_segment_align: 8
    .kernarg_segment_size: 40
    .language:       OpenCL C
    .language_version:
      - 2
      - 0
    .max_flat_workgroup_size: 128
    .name:           _ZN7rocprim17ROCPRIM_400000_NS6detail17trampoline_kernelINS0_14default_configENS1_20scan_config_selectorIxEEZZNS1_9scan_implILNS1_25lookback_scan_determinismE0ELb0ELb0ES3_N6thrust23THRUST_200600_302600_NS6detail15normal_iteratorINS9_10device_ptrIxEEEESE_xNS9_4plusIvEExEEDaPvRmT3_T4_T5_mT6_P12ihipStream_tbENKUlT_T0_E_clISt17integral_constantIbLb0EEST_IbLb1EEEEDaSP_SQ_EUlSP_E0_NS1_11comp_targetILNS1_3genE4ELNS1_11target_archE910ELNS1_3gpuE8ELNS1_3repE0EEENS1_30default_config_static_selectorELNS0_4arch9wavefront6targetE1EEEvT1_
    .private_segment_fixed_size: 0
    .sgpr_count:     26
    .sgpr_spill_count: 0
    .symbol:         _ZN7rocprim17ROCPRIM_400000_NS6detail17trampoline_kernelINS0_14default_configENS1_20scan_config_selectorIxEEZZNS1_9scan_implILNS1_25lookback_scan_determinismE0ELb0ELb0ES3_N6thrust23THRUST_200600_302600_NS6detail15normal_iteratorINS9_10device_ptrIxEEEESE_xNS9_4plusIvEExEEDaPvRmT3_T4_T5_mT6_P12ihipStream_tbENKUlT_T0_E_clISt17integral_constantIbLb0EEST_IbLb1EEEEDaSP_SQ_EUlSP_E0_NS1_11comp_targetILNS1_3genE4ELNS1_11target_archE910ELNS1_3gpuE8ELNS1_3repE0EEENS1_30default_config_static_selectorELNS0_4arch9wavefront6targetE1EEEvT1_.kd
    .uniform_work_group_size: 1
    .uses_dynamic_stack: false
    .vgpr_count:     41
    .vgpr_spill_count: 0
    .wavefront_size: 64
  - .agpr_count:     0
    .args:
      - .offset:         0
        .size:           40
        .value_kind:     by_value
    .group_segment_fixed_size: 0
    .kernarg_segment_align: 8
    .kernarg_segment_size: 40
    .language:       OpenCL C
    .language_version:
      - 2
      - 0
    .max_flat_workgroup_size: 256
    .name:           _ZN7rocprim17ROCPRIM_400000_NS6detail17trampoline_kernelINS0_14default_configENS1_20scan_config_selectorIxEEZZNS1_9scan_implILNS1_25lookback_scan_determinismE0ELb0ELb0ES3_N6thrust23THRUST_200600_302600_NS6detail15normal_iteratorINS9_10device_ptrIxEEEESE_xNS9_4plusIvEExEEDaPvRmT3_T4_T5_mT6_P12ihipStream_tbENKUlT_T0_E_clISt17integral_constantIbLb0EEST_IbLb1EEEEDaSP_SQ_EUlSP_E0_NS1_11comp_targetILNS1_3genE3ELNS1_11target_archE908ELNS1_3gpuE7ELNS1_3repE0EEENS1_30default_config_static_selectorELNS0_4arch9wavefront6targetE1EEEvT1_
    .private_segment_fixed_size: 0
    .sgpr_count:     4
    .sgpr_spill_count: 0
    .symbol:         _ZN7rocprim17ROCPRIM_400000_NS6detail17trampoline_kernelINS0_14default_configENS1_20scan_config_selectorIxEEZZNS1_9scan_implILNS1_25lookback_scan_determinismE0ELb0ELb0ES3_N6thrust23THRUST_200600_302600_NS6detail15normal_iteratorINS9_10device_ptrIxEEEESE_xNS9_4plusIvEExEEDaPvRmT3_T4_T5_mT6_P12ihipStream_tbENKUlT_T0_E_clISt17integral_constantIbLb0EEST_IbLb1EEEEDaSP_SQ_EUlSP_E0_NS1_11comp_targetILNS1_3genE3ELNS1_11target_archE908ELNS1_3gpuE7ELNS1_3repE0EEENS1_30default_config_static_selectorELNS0_4arch9wavefront6targetE1EEEvT1_.kd
    .uniform_work_group_size: 1
    .uses_dynamic_stack: false
    .vgpr_count:     0
    .vgpr_spill_count: 0
    .wavefront_size: 64
  - .agpr_count:     0
    .args:
      - .offset:         0
        .size:           40
        .value_kind:     by_value
    .group_segment_fixed_size: 0
    .kernarg_segment_align: 8
    .kernarg_segment_size: 40
    .language:       OpenCL C
    .language_version:
      - 2
      - 0
    .max_flat_workgroup_size: 64
    .name:           _ZN7rocprim17ROCPRIM_400000_NS6detail17trampoline_kernelINS0_14default_configENS1_20scan_config_selectorIxEEZZNS1_9scan_implILNS1_25lookback_scan_determinismE0ELb0ELb0ES3_N6thrust23THRUST_200600_302600_NS6detail15normal_iteratorINS9_10device_ptrIxEEEESE_xNS9_4plusIvEExEEDaPvRmT3_T4_T5_mT6_P12ihipStream_tbENKUlT_T0_E_clISt17integral_constantIbLb0EEST_IbLb1EEEEDaSP_SQ_EUlSP_E0_NS1_11comp_targetILNS1_3genE2ELNS1_11target_archE906ELNS1_3gpuE6ELNS1_3repE0EEENS1_30default_config_static_selectorELNS0_4arch9wavefront6targetE1EEEvT1_
    .private_segment_fixed_size: 0
    .sgpr_count:     4
    .sgpr_spill_count: 0
    .symbol:         _ZN7rocprim17ROCPRIM_400000_NS6detail17trampoline_kernelINS0_14default_configENS1_20scan_config_selectorIxEEZZNS1_9scan_implILNS1_25lookback_scan_determinismE0ELb0ELb0ES3_N6thrust23THRUST_200600_302600_NS6detail15normal_iteratorINS9_10device_ptrIxEEEESE_xNS9_4plusIvEExEEDaPvRmT3_T4_T5_mT6_P12ihipStream_tbENKUlT_T0_E_clISt17integral_constantIbLb0EEST_IbLb1EEEEDaSP_SQ_EUlSP_E0_NS1_11comp_targetILNS1_3genE2ELNS1_11target_archE906ELNS1_3gpuE6ELNS1_3repE0EEENS1_30default_config_static_selectorELNS0_4arch9wavefront6targetE1EEEvT1_.kd
    .uniform_work_group_size: 1
    .uses_dynamic_stack: false
    .vgpr_count:     0
    .vgpr_spill_count: 0
    .wavefront_size: 64
  - .agpr_count:     0
    .args:
      - .offset:         0
        .size:           40
        .value_kind:     by_value
    .group_segment_fixed_size: 0
    .kernarg_segment_align: 8
    .kernarg_segment_size: 40
    .language:       OpenCL C
    .language_version:
      - 2
      - 0
    .max_flat_workgroup_size: 256
    .name:           _ZN7rocprim17ROCPRIM_400000_NS6detail17trampoline_kernelINS0_14default_configENS1_20scan_config_selectorIxEEZZNS1_9scan_implILNS1_25lookback_scan_determinismE0ELb0ELb0ES3_N6thrust23THRUST_200600_302600_NS6detail15normal_iteratorINS9_10device_ptrIxEEEESE_xNS9_4plusIvEExEEDaPvRmT3_T4_T5_mT6_P12ihipStream_tbENKUlT_T0_E_clISt17integral_constantIbLb0EEST_IbLb1EEEEDaSP_SQ_EUlSP_E0_NS1_11comp_targetILNS1_3genE10ELNS1_11target_archE1201ELNS1_3gpuE5ELNS1_3repE0EEENS1_30default_config_static_selectorELNS0_4arch9wavefront6targetE1EEEvT1_
    .private_segment_fixed_size: 0
    .sgpr_count:     4
    .sgpr_spill_count: 0
    .symbol:         _ZN7rocprim17ROCPRIM_400000_NS6detail17trampoline_kernelINS0_14default_configENS1_20scan_config_selectorIxEEZZNS1_9scan_implILNS1_25lookback_scan_determinismE0ELb0ELb0ES3_N6thrust23THRUST_200600_302600_NS6detail15normal_iteratorINS9_10device_ptrIxEEEESE_xNS9_4plusIvEExEEDaPvRmT3_T4_T5_mT6_P12ihipStream_tbENKUlT_T0_E_clISt17integral_constantIbLb0EEST_IbLb1EEEEDaSP_SQ_EUlSP_E0_NS1_11comp_targetILNS1_3genE10ELNS1_11target_archE1201ELNS1_3gpuE5ELNS1_3repE0EEENS1_30default_config_static_selectorELNS0_4arch9wavefront6targetE1EEEvT1_.kd
    .uniform_work_group_size: 1
    .uses_dynamic_stack: false
    .vgpr_count:     0
    .vgpr_spill_count: 0
    .wavefront_size: 64
  - .agpr_count:     0
    .args:
      - .offset:         0
        .size:           40
        .value_kind:     by_value
    .group_segment_fixed_size: 0
    .kernarg_segment_align: 8
    .kernarg_segment_size: 40
    .language:       OpenCL C
    .language_version:
      - 2
      - 0
    .max_flat_workgroup_size: 256
    .name:           _ZN7rocprim17ROCPRIM_400000_NS6detail17trampoline_kernelINS0_14default_configENS1_20scan_config_selectorIxEEZZNS1_9scan_implILNS1_25lookback_scan_determinismE0ELb0ELb0ES3_N6thrust23THRUST_200600_302600_NS6detail15normal_iteratorINS9_10device_ptrIxEEEESE_xNS9_4plusIvEExEEDaPvRmT3_T4_T5_mT6_P12ihipStream_tbENKUlT_T0_E_clISt17integral_constantIbLb0EEST_IbLb1EEEEDaSP_SQ_EUlSP_E0_NS1_11comp_targetILNS1_3genE10ELNS1_11target_archE1200ELNS1_3gpuE4ELNS1_3repE0EEENS1_30default_config_static_selectorELNS0_4arch9wavefront6targetE1EEEvT1_
    .private_segment_fixed_size: 0
    .sgpr_count:     4
    .sgpr_spill_count: 0
    .symbol:         _ZN7rocprim17ROCPRIM_400000_NS6detail17trampoline_kernelINS0_14default_configENS1_20scan_config_selectorIxEEZZNS1_9scan_implILNS1_25lookback_scan_determinismE0ELb0ELb0ES3_N6thrust23THRUST_200600_302600_NS6detail15normal_iteratorINS9_10device_ptrIxEEEESE_xNS9_4plusIvEExEEDaPvRmT3_T4_T5_mT6_P12ihipStream_tbENKUlT_T0_E_clISt17integral_constantIbLb0EEST_IbLb1EEEEDaSP_SQ_EUlSP_E0_NS1_11comp_targetILNS1_3genE10ELNS1_11target_archE1200ELNS1_3gpuE4ELNS1_3repE0EEENS1_30default_config_static_selectorELNS0_4arch9wavefront6targetE1EEEvT1_.kd
    .uniform_work_group_size: 1
    .uses_dynamic_stack: false
    .vgpr_count:     0
    .vgpr_spill_count: 0
    .wavefront_size: 64
  - .agpr_count:     0
    .args:
      - .offset:         0
        .size:           40
        .value_kind:     by_value
    .group_segment_fixed_size: 0
    .kernarg_segment_align: 8
    .kernarg_segment_size: 40
    .language:       OpenCL C
    .language_version:
      - 2
      - 0
    .max_flat_workgroup_size: 256
    .name:           _ZN7rocprim17ROCPRIM_400000_NS6detail17trampoline_kernelINS0_14default_configENS1_20scan_config_selectorIxEEZZNS1_9scan_implILNS1_25lookback_scan_determinismE0ELb0ELb0ES3_N6thrust23THRUST_200600_302600_NS6detail15normal_iteratorINS9_10device_ptrIxEEEESE_xNS9_4plusIvEExEEDaPvRmT3_T4_T5_mT6_P12ihipStream_tbENKUlT_T0_E_clISt17integral_constantIbLb0EEST_IbLb1EEEEDaSP_SQ_EUlSP_E0_NS1_11comp_targetILNS1_3genE9ELNS1_11target_archE1100ELNS1_3gpuE3ELNS1_3repE0EEENS1_30default_config_static_selectorELNS0_4arch9wavefront6targetE1EEEvT1_
    .private_segment_fixed_size: 0
    .sgpr_count:     4
    .sgpr_spill_count: 0
    .symbol:         _ZN7rocprim17ROCPRIM_400000_NS6detail17trampoline_kernelINS0_14default_configENS1_20scan_config_selectorIxEEZZNS1_9scan_implILNS1_25lookback_scan_determinismE0ELb0ELb0ES3_N6thrust23THRUST_200600_302600_NS6detail15normal_iteratorINS9_10device_ptrIxEEEESE_xNS9_4plusIvEExEEDaPvRmT3_T4_T5_mT6_P12ihipStream_tbENKUlT_T0_E_clISt17integral_constantIbLb0EEST_IbLb1EEEEDaSP_SQ_EUlSP_E0_NS1_11comp_targetILNS1_3genE9ELNS1_11target_archE1100ELNS1_3gpuE3ELNS1_3repE0EEENS1_30default_config_static_selectorELNS0_4arch9wavefront6targetE1EEEvT1_.kd
    .uniform_work_group_size: 1
    .uses_dynamic_stack: false
    .vgpr_count:     0
    .vgpr_spill_count: 0
    .wavefront_size: 64
  - .agpr_count:     0
    .args:
      - .offset:         0
        .size:           40
        .value_kind:     by_value
    .group_segment_fixed_size: 0
    .kernarg_segment_align: 8
    .kernarg_segment_size: 40
    .language:       OpenCL C
    .language_version:
      - 2
      - 0
    .max_flat_workgroup_size: 256
    .name:           _ZN7rocprim17ROCPRIM_400000_NS6detail17trampoline_kernelINS0_14default_configENS1_20scan_config_selectorIxEEZZNS1_9scan_implILNS1_25lookback_scan_determinismE0ELb0ELb0ES3_N6thrust23THRUST_200600_302600_NS6detail15normal_iteratorINS9_10device_ptrIxEEEESE_xNS9_4plusIvEExEEDaPvRmT3_T4_T5_mT6_P12ihipStream_tbENKUlT_T0_E_clISt17integral_constantIbLb0EEST_IbLb1EEEEDaSP_SQ_EUlSP_E0_NS1_11comp_targetILNS1_3genE8ELNS1_11target_archE1030ELNS1_3gpuE2ELNS1_3repE0EEENS1_30default_config_static_selectorELNS0_4arch9wavefront6targetE1EEEvT1_
    .private_segment_fixed_size: 0
    .sgpr_count:     4
    .sgpr_spill_count: 0
    .symbol:         _ZN7rocprim17ROCPRIM_400000_NS6detail17trampoline_kernelINS0_14default_configENS1_20scan_config_selectorIxEEZZNS1_9scan_implILNS1_25lookback_scan_determinismE0ELb0ELb0ES3_N6thrust23THRUST_200600_302600_NS6detail15normal_iteratorINS9_10device_ptrIxEEEESE_xNS9_4plusIvEExEEDaPvRmT3_T4_T5_mT6_P12ihipStream_tbENKUlT_T0_E_clISt17integral_constantIbLb0EEST_IbLb1EEEEDaSP_SQ_EUlSP_E0_NS1_11comp_targetILNS1_3genE8ELNS1_11target_archE1030ELNS1_3gpuE2ELNS1_3repE0EEENS1_30default_config_static_selectorELNS0_4arch9wavefront6targetE1EEEvT1_.kd
    .uniform_work_group_size: 1
    .uses_dynamic_stack: false
    .vgpr_count:     0
    .vgpr_spill_count: 0
    .wavefront_size: 64
  - .agpr_count:     0
    .args:
      - .offset:         0
        .size:           72
        .value_kind:     by_value
    .group_segment_fixed_size: 0
    .kernarg_segment_align: 8
    .kernarg_segment_size: 72
    .language:       OpenCL C
    .language_version:
      - 2
      - 0
    .max_flat_workgroup_size: 128
    .name:           _ZN7rocprim17ROCPRIM_400000_NS6detail17trampoline_kernelINS0_14default_configENS1_22reduce_config_selectorIN6thrust23THRUST_200600_302600_NS5tupleIblNS6_9null_typeES8_S8_S8_S8_S8_S8_S8_EEEEZNS1_11reduce_implILb1ES3_PS9_SC_S9_NS6_11hip_rocprim9__find_if7functorIS9_EEEE10hipError_tPvRmT1_T2_T3_mT4_P12ihipStream_tbEUlT_E0_NS1_11comp_targetILNS1_3genE0ELNS1_11target_archE4294967295ELNS1_3gpuE0ELNS1_3repE0EEENS1_30default_config_static_selectorELNS0_4arch9wavefront6targetE1EEEvSK_
    .private_segment_fixed_size: 0
    .sgpr_count:     4
    .sgpr_spill_count: 0
    .symbol:         _ZN7rocprim17ROCPRIM_400000_NS6detail17trampoline_kernelINS0_14default_configENS1_22reduce_config_selectorIN6thrust23THRUST_200600_302600_NS5tupleIblNS6_9null_typeES8_S8_S8_S8_S8_S8_S8_EEEEZNS1_11reduce_implILb1ES3_PS9_SC_S9_NS6_11hip_rocprim9__find_if7functorIS9_EEEE10hipError_tPvRmT1_T2_T3_mT4_P12ihipStream_tbEUlT_E0_NS1_11comp_targetILNS1_3genE0ELNS1_11target_archE4294967295ELNS1_3gpuE0ELNS1_3repE0EEENS1_30default_config_static_selectorELNS0_4arch9wavefront6targetE1EEEvSK_.kd
    .uniform_work_group_size: 1
    .uses_dynamic_stack: false
    .vgpr_count:     0
    .vgpr_spill_count: 0
    .wavefront_size: 64
  - .agpr_count:     0
    .args:
      - .offset:         0
        .size:           72
        .value_kind:     by_value
    .group_segment_fixed_size: 0
    .kernarg_segment_align: 8
    .kernarg_segment_size: 72
    .language:       OpenCL C
    .language_version:
      - 2
      - 0
    .max_flat_workgroup_size: 256
    .name:           _ZN7rocprim17ROCPRIM_400000_NS6detail17trampoline_kernelINS0_14default_configENS1_22reduce_config_selectorIN6thrust23THRUST_200600_302600_NS5tupleIblNS6_9null_typeES8_S8_S8_S8_S8_S8_S8_EEEEZNS1_11reduce_implILb1ES3_PS9_SC_S9_NS6_11hip_rocprim9__find_if7functorIS9_EEEE10hipError_tPvRmT1_T2_T3_mT4_P12ihipStream_tbEUlT_E0_NS1_11comp_targetILNS1_3genE5ELNS1_11target_archE942ELNS1_3gpuE9ELNS1_3repE0EEENS1_30default_config_static_selectorELNS0_4arch9wavefront6targetE1EEEvSK_
    .private_segment_fixed_size: 0
    .sgpr_count:     4
    .sgpr_spill_count: 0
    .symbol:         _ZN7rocprim17ROCPRIM_400000_NS6detail17trampoline_kernelINS0_14default_configENS1_22reduce_config_selectorIN6thrust23THRUST_200600_302600_NS5tupleIblNS6_9null_typeES8_S8_S8_S8_S8_S8_S8_EEEEZNS1_11reduce_implILb1ES3_PS9_SC_S9_NS6_11hip_rocprim9__find_if7functorIS9_EEEE10hipError_tPvRmT1_T2_T3_mT4_P12ihipStream_tbEUlT_E0_NS1_11comp_targetILNS1_3genE5ELNS1_11target_archE942ELNS1_3gpuE9ELNS1_3repE0EEENS1_30default_config_static_selectorELNS0_4arch9wavefront6targetE1EEEvSK_.kd
    .uniform_work_group_size: 1
    .uses_dynamic_stack: false
    .vgpr_count:     0
    .vgpr_spill_count: 0
    .wavefront_size: 64
  - .agpr_count:     0
    .args:
      - .offset:         0
        .size:           72
        .value_kind:     by_value
    .group_segment_fixed_size: 128
    .kernarg_segment_align: 8
    .kernarg_segment_size: 72
    .language:       OpenCL C
    .language_version:
      - 2
      - 0
    .max_flat_workgroup_size: 256
    .name:           _ZN7rocprim17ROCPRIM_400000_NS6detail17trampoline_kernelINS0_14default_configENS1_22reduce_config_selectorIN6thrust23THRUST_200600_302600_NS5tupleIblNS6_9null_typeES8_S8_S8_S8_S8_S8_S8_EEEEZNS1_11reduce_implILb1ES3_PS9_SC_S9_NS6_11hip_rocprim9__find_if7functorIS9_EEEE10hipError_tPvRmT1_T2_T3_mT4_P12ihipStream_tbEUlT_E0_NS1_11comp_targetILNS1_3genE4ELNS1_11target_archE910ELNS1_3gpuE8ELNS1_3repE0EEENS1_30default_config_static_selectorELNS0_4arch9wavefront6targetE1EEEvSK_
    .private_segment_fixed_size: 0
    .sgpr_count:     26
    .sgpr_spill_count: 0
    .symbol:         _ZN7rocprim17ROCPRIM_400000_NS6detail17trampoline_kernelINS0_14default_configENS1_22reduce_config_selectorIN6thrust23THRUST_200600_302600_NS5tupleIblNS6_9null_typeES8_S8_S8_S8_S8_S8_S8_EEEEZNS1_11reduce_implILb1ES3_PS9_SC_S9_NS6_11hip_rocprim9__find_if7functorIS9_EEEE10hipError_tPvRmT1_T2_T3_mT4_P12ihipStream_tbEUlT_E0_NS1_11comp_targetILNS1_3genE4ELNS1_11target_archE910ELNS1_3gpuE8ELNS1_3repE0EEENS1_30default_config_static_selectorELNS0_4arch9wavefront6targetE1EEEvSK_.kd
    .uniform_work_group_size: 1
    .uses_dynamic_stack: false
    .vgpr_count:     12
    .vgpr_spill_count: 0
    .wavefront_size: 64
  - .agpr_count:     0
    .args:
      - .offset:         0
        .size:           72
        .value_kind:     by_value
    .group_segment_fixed_size: 0
    .kernarg_segment_align: 8
    .kernarg_segment_size: 72
    .language:       OpenCL C
    .language_version:
      - 2
      - 0
    .max_flat_workgroup_size: 128
    .name:           _ZN7rocprim17ROCPRIM_400000_NS6detail17trampoline_kernelINS0_14default_configENS1_22reduce_config_selectorIN6thrust23THRUST_200600_302600_NS5tupleIblNS6_9null_typeES8_S8_S8_S8_S8_S8_S8_EEEEZNS1_11reduce_implILb1ES3_PS9_SC_S9_NS6_11hip_rocprim9__find_if7functorIS9_EEEE10hipError_tPvRmT1_T2_T3_mT4_P12ihipStream_tbEUlT_E0_NS1_11comp_targetILNS1_3genE3ELNS1_11target_archE908ELNS1_3gpuE7ELNS1_3repE0EEENS1_30default_config_static_selectorELNS0_4arch9wavefront6targetE1EEEvSK_
    .private_segment_fixed_size: 0
    .sgpr_count:     4
    .sgpr_spill_count: 0
    .symbol:         _ZN7rocprim17ROCPRIM_400000_NS6detail17trampoline_kernelINS0_14default_configENS1_22reduce_config_selectorIN6thrust23THRUST_200600_302600_NS5tupleIblNS6_9null_typeES8_S8_S8_S8_S8_S8_S8_EEEEZNS1_11reduce_implILb1ES3_PS9_SC_S9_NS6_11hip_rocprim9__find_if7functorIS9_EEEE10hipError_tPvRmT1_T2_T3_mT4_P12ihipStream_tbEUlT_E0_NS1_11comp_targetILNS1_3genE3ELNS1_11target_archE908ELNS1_3gpuE7ELNS1_3repE0EEENS1_30default_config_static_selectorELNS0_4arch9wavefront6targetE1EEEvSK_.kd
    .uniform_work_group_size: 1
    .uses_dynamic_stack: false
    .vgpr_count:     0
    .vgpr_spill_count: 0
    .wavefront_size: 64
  - .agpr_count:     0
    .args:
      - .offset:         0
        .size:           72
        .value_kind:     by_value
    .group_segment_fixed_size: 0
    .kernarg_segment_align: 8
    .kernarg_segment_size: 72
    .language:       OpenCL C
    .language_version:
      - 2
      - 0
    .max_flat_workgroup_size: 128
    .name:           _ZN7rocprim17ROCPRIM_400000_NS6detail17trampoline_kernelINS0_14default_configENS1_22reduce_config_selectorIN6thrust23THRUST_200600_302600_NS5tupleIblNS6_9null_typeES8_S8_S8_S8_S8_S8_S8_EEEEZNS1_11reduce_implILb1ES3_PS9_SC_S9_NS6_11hip_rocprim9__find_if7functorIS9_EEEE10hipError_tPvRmT1_T2_T3_mT4_P12ihipStream_tbEUlT_E0_NS1_11comp_targetILNS1_3genE2ELNS1_11target_archE906ELNS1_3gpuE6ELNS1_3repE0EEENS1_30default_config_static_selectorELNS0_4arch9wavefront6targetE1EEEvSK_
    .private_segment_fixed_size: 0
    .sgpr_count:     4
    .sgpr_spill_count: 0
    .symbol:         _ZN7rocprim17ROCPRIM_400000_NS6detail17trampoline_kernelINS0_14default_configENS1_22reduce_config_selectorIN6thrust23THRUST_200600_302600_NS5tupleIblNS6_9null_typeES8_S8_S8_S8_S8_S8_S8_EEEEZNS1_11reduce_implILb1ES3_PS9_SC_S9_NS6_11hip_rocprim9__find_if7functorIS9_EEEE10hipError_tPvRmT1_T2_T3_mT4_P12ihipStream_tbEUlT_E0_NS1_11comp_targetILNS1_3genE2ELNS1_11target_archE906ELNS1_3gpuE6ELNS1_3repE0EEENS1_30default_config_static_selectorELNS0_4arch9wavefront6targetE1EEEvSK_.kd
    .uniform_work_group_size: 1
    .uses_dynamic_stack: false
    .vgpr_count:     0
    .vgpr_spill_count: 0
    .wavefront_size: 64
  - .agpr_count:     0
    .args:
      - .offset:         0
        .size:           72
        .value_kind:     by_value
    .group_segment_fixed_size: 0
    .kernarg_segment_align: 8
    .kernarg_segment_size: 72
    .language:       OpenCL C
    .language_version:
      - 2
      - 0
    .max_flat_workgroup_size: 256
    .name:           _ZN7rocprim17ROCPRIM_400000_NS6detail17trampoline_kernelINS0_14default_configENS1_22reduce_config_selectorIN6thrust23THRUST_200600_302600_NS5tupleIblNS6_9null_typeES8_S8_S8_S8_S8_S8_S8_EEEEZNS1_11reduce_implILb1ES3_PS9_SC_S9_NS6_11hip_rocprim9__find_if7functorIS9_EEEE10hipError_tPvRmT1_T2_T3_mT4_P12ihipStream_tbEUlT_E0_NS1_11comp_targetILNS1_3genE10ELNS1_11target_archE1201ELNS1_3gpuE5ELNS1_3repE0EEENS1_30default_config_static_selectorELNS0_4arch9wavefront6targetE1EEEvSK_
    .private_segment_fixed_size: 0
    .sgpr_count:     4
    .sgpr_spill_count: 0
    .symbol:         _ZN7rocprim17ROCPRIM_400000_NS6detail17trampoline_kernelINS0_14default_configENS1_22reduce_config_selectorIN6thrust23THRUST_200600_302600_NS5tupleIblNS6_9null_typeES8_S8_S8_S8_S8_S8_S8_EEEEZNS1_11reduce_implILb1ES3_PS9_SC_S9_NS6_11hip_rocprim9__find_if7functorIS9_EEEE10hipError_tPvRmT1_T2_T3_mT4_P12ihipStream_tbEUlT_E0_NS1_11comp_targetILNS1_3genE10ELNS1_11target_archE1201ELNS1_3gpuE5ELNS1_3repE0EEENS1_30default_config_static_selectorELNS0_4arch9wavefront6targetE1EEEvSK_.kd
    .uniform_work_group_size: 1
    .uses_dynamic_stack: false
    .vgpr_count:     0
    .vgpr_spill_count: 0
    .wavefront_size: 64
  - .agpr_count:     0
    .args:
      - .offset:         0
        .size:           72
        .value_kind:     by_value
    .group_segment_fixed_size: 0
    .kernarg_segment_align: 8
    .kernarg_segment_size: 72
    .language:       OpenCL C
    .language_version:
      - 2
      - 0
    .max_flat_workgroup_size: 256
    .name:           _ZN7rocprim17ROCPRIM_400000_NS6detail17trampoline_kernelINS0_14default_configENS1_22reduce_config_selectorIN6thrust23THRUST_200600_302600_NS5tupleIblNS6_9null_typeES8_S8_S8_S8_S8_S8_S8_EEEEZNS1_11reduce_implILb1ES3_PS9_SC_S9_NS6_11hip_rocprim9__find_if7functorIS9_EEEE10hipError_tPvRmT1_T2_T3_mT4_P12ihipStream_tbEUlT_E0_NS1_11comp_targetILNS1_3genE10ELNS1_11target_archE1200ELNS1_3gpuE4ELNS1_3repE0EEENS1_30default_config_static_selectorELNS0_4arch9wavefront6targetE1EEEvSK_
    .private_segment_fixed_size: 0
    .sgpr_count:     4
    .sgpr_spill_count: 0
    .symbol:         _ZN7rocprim17ROCPRIM_400000_NS6detail17trampoline_kernelINS0_14default_configENS1_22reduce_config_selectorIN6thrust23THRUST_200600_302600_NS5tupleIblNS6_9null_typeES8_S8_S8_S8_S8_S8_S8_EEEEZNS1_11reduce_implILb1ES3_PS9_SC_S9_NS6_11hip_rocprim9__find_if7functorIS9_EEEE10hipError_tPvRmT1_T2_T3_mT4_P12ihipStream_tbEUlT_E0_NS1_11comp_targetILNS1_3genE10ELNS1_11target_archE1200ELNS1_3gpuE4ELNS1_3repE0EEENS1_30default_config_static_selectorELNS0_4arch9wavefront6targetE1EEEvSK_.kd
    .uniform_work_group_size: 1
    .uses_dynamic_stack: false
    .vgpr_count:     0
    .vgpr_spill_count: 0
    .wavefront_size: 64
  - .agpr_count:     0
    .args:
      - .offset:         0
        .size:           72
        .value_kind:     by_value
    .group_segment_fixed_size: 0
    .kernarg_segment_align: 8
    .kernarg_segment_size: 72
    .language:       OpenCL C
    .language_version:
      - 2
      - 0
    .max_flat_workgroup_size: 256
    .name:           _ZN7rocprim17ROCPRIM_400000_NS6detail17trampoline_kernelINS0_14default_configENS1_22reduce_config_selectorIN6thrust23THRUST_200600_302600_NS5tupleIblNS6_9null_typeES8_S8_S8_S8_S8_S8_S8_EEEEZNS1_11reduce_implILb1ES3_PS9_SC_S9_NS6_11hip_rocprim9__find_if7functorIS9_EEEE10hipError_tPvRmT1_T2_T3_mT4_P12ihipStream_tbEUlT_E0_NS1_11comp_targetILNS1_3genE9ELNS1_11target_archE1100ELNS1_3gpuE3ELNS1_3repE0EEENS1_30default_config_static_selectorELNS0_4arch9wavefront6targetE1EEEvSK_
    .private_segment_fixed_size: 0
    .sgpr_count:     4
    .sgpr_spill_count: 0
    .symbol:         _ZN7rocprim17ROCPRIM_400000_NS6detail17trampoline_kernelINS0_14default_configENS1_22reduce_config_selectorIN6thrust23THRUST_200600_302600_NS5tupleIblNS6_9null_typeES8_S8_S8_S8_S8_S8_S8_EEEEZNS1_11reduce_implILb1ES3_PS9_SC_S9_NS6_11hip_rocprim9__find_if7functorIS9_EEEE10hipError_tPvRmT1_T2_T3_mT4_P12ihipStream_tbEUlT_E0_NS1_11comp_targetILNS1_3genE9ELNS1_11target_archE1100ELNS1_3gpuE3ELNS1_3repE0EEENS1_30default_config_static_selectorELNS0_4arch9wavefront6targetE1EEEvSK_.kd
    .uniform_work_group_size: 1
    .uses_dynamic_stack: false
    .vgpr_count:     0
    .vgpr_spill_count: 0
    .wavefront_size: 64
  - .agpr_count:     0
    .args:
      - .offset:         0
        .size:           72
        .value_kind:     by_value
    .group_segment_fixed_size: 0
    .kernarg_segment_align: 8
    .kernarg_segment_size: 72
    .language:       OpenCL C
    .language_version:
      - 2
      - 0
    .max_flat_workgroup_size: 256
    .name:           _ZN7rocprim17ROCPRIM_400000_NS6detail17trampoline_kernelINS0_14default_configENS1_22reduce_config_selectorIN6thrust23THRUST_200600_302600_NS5tupleIblNS6_9null_typeES8_S8_S8_S8_S8_S8_S8_EEEEZNS1_11reduce_implILb1ES3_PS9_SC_S9_NS6_11hip_rocprim9__find_if7functorIS9_EEEE10hipError_tPvRmT1_T2_T3_mT4_P12ihipStream_tbEUlT_E0_NS1_11comp_targetILNS1_3genE8ELNS1_11target_archE1030ELNS1_3gpuE2ELNS1_3repE0EEENS1_30default_config_static_selectorELNS0_4arch9wavefront6targetE1EEEvSK_
    .private_segment_fixed_size: 0
    .sgpr_count:     4
    .sgpr_spill_count: 0
    .symbol:         _ZN7rocprim17ROCPRIM_400000_NS6detail17trampoline_kernelINS0_14default_configENS1_22reduce_config_selectorIN6thrust23THRUST_200600_302600_NS5tupleIblNS6_9null_typeES8_S8_S8_S8_S8_S8_S8_EEEEZNS1_11reduce_implILb1ES3_PS9_SC_S9_NS6_11hip_rocprim9__find_if7functorIS9_EEEE10hipError_tPvRmT1_T2_T3_mT4_P12ihipStream_tbEUlT_E0_NS1_11comp_targetILNS1_3genE8ELNS1_11target_archE1030ELNS1_3gpuE2ELNS1_3repE0EEENS1_30default_config_static_selectorELNS0_4arch9wavefront6targetE1EEEvSK_.kd
    .uniform_work_group_size: 1
    .uses_dynamic_stack: false
    .vgpr_count:     0
    .vgpr_spill_count: 0
    .wavefront_size: 64
  - .agpr_count:     0
    .args:
      - .offset:         0
        .size:           56
        .value_kind:     by_value
    .group_segment_fixed_size: 0
    .kernarg_segment_align: 8
    .kernarg_segment_size: 56
    .language:       OpenCL C
    .language_version:
      - 2
      - 0
    .max_flat_workgroup_size: 128
    .name:           _ZN7rocprim17ROCPRIM_400000_NS6detail17trampoline_kernelINS0_14default_configENS1_22reduce_config_selectorIN6thrust23THRUST_200600_302600_NS5tupleIblNS6_9null_typeES8_S8_S8_S8_S8_S8_S8_EEEEZNS1_11reduce_implILb1ES3_PS9_SC_S9_NS6_11hip_rocprim9__find_if7functorIS9_EEEE10hipError_tPvRmT1_T2_T3_mT4_P12ihipStream_tbEUlT_E1_NS1_11comp_targetILNS1_3genE0ELNS1_11target_archE4294967295ELNS1_3gpuE0ELNS1_3repE0EEENS1_30default_config_static_selectorELNS0_4arch9wavefront6targetE1EEEvSK_
    .private_segment_fixed_size: 0
    .sgpr_count:     4
    .sgpr_spill_count: 0
    .symbol:         _ZN7rocprim17ROCPRIM_400000_NS6detail17trampoline_kernelINS0_14default_configENS1_22reduce_config_selectorIN6thrust23THRUST_200600_302600_NS5tupleIblNS6_9null_typeES8_S8_S8_S8_S8_S8_S8_EEEEZNS1_11reduce_implILb1ES3_PS9_SC_S9_NS6_11hip_rocprim9__find_if7functorIS9_EEEE10hipError_tPvRmT1_T2_T3_mT4_P12ihipStream_tbEUlT_E1_NS1_11comp_targetILNS1_3genE0ELNS1_11target_archE4294967295ELNS1_3gpuE0ELNS1_3repE0EEENS1_30default_config_static_selectorELNS0_4arch9wavefront6targetE1EEEvSK_.kd
    .uniform_work_group_size: 1
    .uses_dynamic_stack: false
    .vgpr_count:     0
    .vgpr_spill_count: 0
    .wavefront_size: 64
  - .agpr_count:     0
    .args:
      - .offset:         0
        .size:           56
        .value_kind:     by_value
    .group_segment_fixed_size: 0
    .kernarg_segment_align: 8
    .kernarg_segment_size: 56
    .language:       OpenCL C
    .language_version:
      - 2
      - 0
    .max_flat_workgroup_size: 256
    .name:           _ZN7rocprim17ROCPRIM_400000_NS6detail17trampoline_kernelINS0_14default_configENS1_22reduce_config_selectorIN6thrust23THRUST_200600_302600_NS5tupleIblNS6_9null_typeES8_S8_S8_S8_S8_S8_S8_EEEEZNS1_11reduce_implILb1ES3_PS9_SC_S9_NS6_11hip_rocprim9__find_if7functorIS9_EEEE10hipError_tPvRmT1_T2_T3_mT4_P12ihipStream_tbEUlT_E1_NS1_11comp_targetILNS1_3genE5ELNS1_11target_archE942ELNS1_3gpuE9ELNS1_3repE0EEENS1_30default_config_static_selectorELNS0_4arch9wavefront6targetE1EEEvSK_
    .private_segment_fixed_size: 0
    .sgpr_count:     4
    .sgpr_spill_count: 0
    .symbol:         _ZN7rocprim17ROCPRIM_400000_NS6detail17trampoline_kernelINS0_14default_configENS1_22reduce_config_selectorIN6thrust23THRUST_200600_302600_NS5tupleIblNS6_9null_typeES8_S8_S8_S8_S8_S8_S8_EEEEZNS1_11reduce_implILb1ES3_PS9_SC_S9_NS6_11hip_rocprim9__find_if7functorIS9_EEEE10hipError_tPvRmT1_T2_T3_mT4_P12ihipStream_tbEUlT_E1_NS1_11comp_targetILNS1_3genE5ELNS1_11target_archE942ELNS1_3gpuE9ELNS1_3repE0EEENS1_30default_config_static_selectorELNS0_4arch9wavefront6targetE1EEEvSK_.kd
    .uniform_work_group_size: 1
    .uses_dynamic_stack: false
    .vgpr_count:     0
    .vgpr_spill_count: 0
    .wavefront_size: 64
  - .agpr_count:     0
    .args:
      - .offset:         0
        .size:           56
        .value_kind:     by_value
    .group_segment_fixed_size: 320
    .kernarg_segment_align: 8
    .kernarg_segment_size: 56
    .language:       OpenCL C
    .language_version:
      - 2
      - 0
    .max_flat_workgroup_size: 256
    .name:           _ZN7rocprim17ROCPRIM_400000_NS6detail17trampoline_kernelINS0_14default_configENS1_22reduce_config_selectorIN6thrust23THRUST_200600_302600_NS5tupleIblNS6_9null_typeES8_S8_S8_S8_S8_S8_S8_EEEEZNS1_11reduce_implILb1ES3_PS9_SC_S9_NS6_11hip_rocprim9__find_if7functorIS9_EEEE10hipError_tPvRmT1_T2_T3_mT4_P12ihipStream_tbEUlT_E1_NS1_11comp_targetILNS1_3genE4ELNS1_11target_archE910ELNS1_3gpuE8ELNS1_3repE0EEENS1_30default_config_static_selectorELNS0_4arch9wavefront6targetE1EEEvSK_
    .private_segment_fixed_size: 0
    .sgpr_count:     35
    .sgpr_spill_count: 0
    .symbol:         _ZN7rocprim17ROCPRIM_400000_NS6detail17trampoline_kernelINS0_14default_configENS1_22reduce_config_selectorIN6thrust23THRUST_200600_302600_NS5tupleIblNS6_9null_typeES8_S8_S8_S8_S8_S8_S8_EEEEZNS1_11reduce_implILb1ES3_PS9_SC_S9_NS6_11hip_rocprim9__find_if7functorIS9_EEEE10hipError_tPvRmT1_T2_T3_mT4_P12ihipStream_tbEUlT_E1_NS1_11comp_targetILNS1_3genE4ELNS1_11target_archE910ELNS1_3gpuE8ELNS1_3repE0EEENS1_30default_config_static_selectorELNS0_4arch9wavefront6targetE1EEEvSK_.kd
    .uniform_work_group_size: 1
    .uses_dynamic_stack: false
    .vgpr_count:     30
    .vgpr_spill_count: 0
    .wavefront_size: 64
  - .agpr_count:     0
    .args:
      - .offset:         0
        .size:           56
        .value_kind:     by_value
    .group_segment_fixed_size: 0
    .kernarg_segment_align: 8
    .kernarg_segment_size: 56
    .language:       OpenCL C
    .language_version:
      - 2
      - 0
    .max_flat_workgroup_size: 128
    .name:           _ZN7rocprim17ROCPRIM_400000_NS6detail17trampoline_kernelINS0_14default_configENS1_22reduce_config_selectorIN6thrust23THRUST_200600_302600_NS5tupleIblNS6_9null_typeES8_S8_S8_S8_S8_S8_S8_EEEEZNS1_11reduce_implILb1ES3_PS9_SC_S9_NS6_11hip_rocprim9__find_if7functorIS9_EEEE10hipError_tPvRmT1_T2_T3_mT4_P12ihipStream_tbEUlT_E1_NS1_11comp_targetILNS1_3genE3ELNS1_11target_archE908ELNS1_3gpuE7ELNS1_3repE0EEENS1_30default_config_static_selectorELNS0_4arch9wavefront6targetE1EEEvSK_
    .private_segment_fixed_size: 0
    .sgpr_count:     4
    .sgpr_spill_count: 0
    .symbol:         _ZN7rocprim17ROCPRIM_400000_NS6detail17trampoline_kernelINS0_14default_configENS1_22reduce_config_selectorIN6thrust23THRUST_200600_302600_NS5tupleIblNS6_9null_typeES8_S8_S8_S8_S8_S8_S8_EEEEZNS1_11reduce_implILb1ES3_PS9_SC_S9_NS6_11hip_rocprim9__find_if7functorIS9_EEEE10hipError_tPvRmT1_T2_T3_mT4_P12ihipStream_tbEUlT_E1_NS1_11comp_targetILNS1_3genE3ELNS1_11target_archE908ELNS1_3gpuE7ELNS1_3repE0EEENS1_30default_config_static_selectorELNS0_4arch9wavefront6targetE1EEEvSK_.kd
    .uniform_work_group_size: 1
    .uses_dynamic_stack: false
    .vgpr_count:     0
    .vgpr_spill_count: 0
    .wavefront_size: 64
  - .agpr_count:     0
    .args:
      - .offset:         0
        .size:           56
        .value_kind:     by_value
    .group_segment_fixed_size: 0
    .kernarg_segment_align: 8
    .kernarg_segment_size: 56
    .language:       OpenCL C
    .language_version:
      - 2
      - 0
    .max_flat_workgroup_size: 128
    .name:           _ZN7rocprim17ROCPRIM_400000_NS6detail17trampoline_kernelINS0_14default_configENS1_22reduce_config_selectorIN6thrust23THRUST_200600_302600_NS5tupleIblNS6_9null_typeES8_S8_S8_S8_S8_S8_S8_EEEEZNS1_11reduce_implILb1ES3_PS9_SC_S9_NS6_11hip_rocprim9__find_if7functorIS9_EEEE10hipError_tPvRmT1_T2_T3_mT4_P12ihipStream_tbEUlT_E1_NS1_11comp_targetILNS1_3genE2ELNS1_11target_archE906ELNS1_3gpuE6ELNS1_3repE0EEENS1_30default_config_static_selectorELNS0_4arch9wavefront6targetE1EEEvSK_
    .private_segment_fixed_size: 0
    .sgpr_count:     4
    .sgpr_spill_count: 0
    .symbol:         _ZN7rocprim17ROCPRIM_400000_NS6detail17trampoline_kernelINS0_14default_configENS1_22reduce_config_selectorIN6thrust23THRUST_200600_302600_NS5tupleIblNS6_9null_typeES8_S8_S8_S8_S8_S8_S8_EEEEZNS1_11reduce_implILb1ES3_PS9_SC_S9_NS6_11hip_rocprim9__find_if7functorIS9_EEEE10hipError_tPvRmT1_T2_T3_mT4_P12ihipStream_tbEUlT_E1_NS1_11comp_targetILNS1_3genE2ELNS1_11target_archE906ELNS1_3gpuE6ELNS1_3repE0EEENS1_30default_config_static_selectorELNS0_4arch9wavefront6targetE1EEEvSK_.kd
    .uniform_work_group_size: 1
    .uses_dynamic_stack: false
    .vgpr_count:     0
    .vgpr_spill_count: 0
    .wavefront_size: 64
  - .agpr_count:     0
    .args:
      - .offset:         0
        .size:           56
        .value_kind:     by_value
    .group_segment_fixed_size: 0
    .kernarg_segment_align: 8
    .kernarg_segment_size: 56
    .language:       OpenCL C
    .language_version:
      - 2
      - 0
    .max_flat_workgroup_size: 256
    .name:           _ZN7rocprim17ROCPRIM_400000_NS6detail17trampoline_kernelINS0_14default_configENS1_22reduce_config_selectorIN6thrust23THRUST_200600_302600_NS5tupleIblNS6_9null_typeES8_S8_S8_S8_S8_S8_S8_EEEEZNS1_11reduce_implILb1ES3_PS9_SC_S9_NS6_11hip_rocprim9__find_if7functorIS9_EEEE10hipError_tPvRmT1_T2_T3_mT4_P12ihipStream_tbEUlT_E1_NS1_11comp_targetILNS1_3genE10ELNS1_11target_archE1201ELNS1_3gpuE5ELNS1_3repE0EEENS1_30default_config_static_selectorELNS0_4arch9wavefront6targetE1EEEvSK_
    .private_segment_fixed_size: 0
    .sgpr_count:     4
    .sgpr_spill_count: 0
    .symbol:         _ZN7rocprim17ROCPRIM_400000_NS6detail17trampoline_kernelINS0_14default_configENS1_22reduce_config_selectorIN6thrust23THRUST_200600_302600_NS5tupleIblNS6_9null_typeES8_S8_S8_S8_S8_S8_S8_EEEEZNS1_11reduce_implILb1ES3_PS9_SC_S9_NS6_11hip_rocprim9__find_if7functorIS9_EEEE10hipError_tPvRmT1_T2_T3_mT4_P12ihipStream_tbEUlT_E1_NS1_11comp_targetILNS1_3genE10ELNS1_11target_archE1201ELNS1_3gpuE5ELNS1_3repE0EEENS1_30default_config_static_selectorELNS0_4arch9wavefront6targetE1EEEvSK_.kd
    .uniform_work_group_size: 1
    .uses_dynamic_stack: false
    .vgpr_count:     0
    .vgpr_spill_count: 0
    .wavefront_size: 64
  - .agpr_count:     0
    .args:
      - .offset:         0
        .size:           56
        .value_kind:     by_value
    .group_segment_fixed_size: 0
    .kernarg_segment_align: 8
    .kernarg_segment_size: 56
    .language:       OpenCL C
    .language_version:
      - 2
      - 0
    .max_flat_workgroup_size: 256
    .name:           _ZN7rocprim17ROCPRIM_400000_NS6detail17trampoline_kernelINS0_14default_configENS1_22reduce_config_selectorIN6thrust23THRUST_200600_302600_NS5tupleIblNS6_9null_typeES8_S8_S8_S8_S8_S8_S8_EEEEZNS1_11reduce_implILb1ES3_PS9_SC_S9_NS6_11hip_rocprim9__find_if7functorIS9_EEEE10hipError_tPvRmT1_T2_T3_mT4_P12ihipStream_tbEUlT_E1_NS1_11comp_targetILNS1_3genE10ELNS1_11target_archE1200ELNS1_3gpuE4ELNS1_3repE0EEENS1_30default_config_static_selectorELNS0_4arch9wavefront6targetE1EEEvSK_
    .private_segment_fixed_size: 0
    .sgpr_count:     4
    .sgpr_spill_count: 0
    .symbol:         _ZN7rocprim17ROCPRIM_400000_NS6detail17trampoline_kernelINS0_14default_configENS1_22reduce_config_selectorIN6thrust23THRUST_200600_302600_NS5tupleIblNS6_9null_typeES8_S8_S8_S8_S8_S8_S8_EEEEZNS1_11reduce_implILb1ES3_PS9_SC_S9_NS6_11hip_rocprim9__find_if7functorIS9_EEEE10hipError_tPvRmT1_T2_T3_mT4_P12ihipStream_tbEUlT_E1_NS1_11comp_targetILNS1_3genE10ELNS1_11target_archE1200ELNS1_3gpuE4ELNS1_3repE0EEENS1_30default_config_static_selectorELNS0_4arch9wavefront6targetE1EEEvSK_.kd
    .uniform_work_group_size: 1
    .uses_dynamic_stack: false
    .vgpr_count:     0
    .vgpr_spill_count: 0
    .wavefront_size: 64
  - .agpr_count:     0
    .args:
      - .offset:         0
        .size:           56
        .value_kind:     by_value
    .group_segment_fixed_size: 0
    .kernarg_segment_align: 8
    .kernarg_segment_size: 56
    .language:       OpenCL C
    .language_version:
      - 2
      - 0
    .max_flat_workgroup_size: 256
    .name:           _ZN7rocprim17ROCPRIM_400000_NS6detail17trampoline_kernelINS0_14default_configENS1_22reduce_config_selectorIN6thrust23THRUST_200600_302600_NS5tupleIblNS6_9null_typeES8_S8_S8_S8_S8_S8_S8_EEEEZNS1_11reduce_implILb1ES3_PS9_SC_S9_NS6_11hip_rocprim9__find_if7functorIS9_EEEE10hipError_tPvRmT1_T2_T3_mT4_P12ihipStream_tbEUlT_E1_NS1_11comp_targetILNS1_3genE9ELNS1_11target_archE1100ELNS1_3gpuE3ELNS1_3repE0EEENS1_30default_config_static_selectorELNS0_4arch9wavefront6targetE1EEEvSK_
    .private_segment_fixed_size: 0
    .sgpr_count:     4
    .sgpr_spill_count: 0
    .symbol:         _ZN7rocprim17ROCPRIM_400000_NS6detail17trampoline_kernelINS0_14default_configENS1_22reduce_config_selectorIN6thrust23THRUST_200600_302600_NS5tupleIblNS6_9null_typeES8_S8_S8_S8_S8_S8_S8_EEEEZNS1_11reduce_implILb1ES3_PS9_SC_S9_NS6_11hip_rocprim9__find_if7functorIS9_EEEE10hipError_tPvRmT1_T2_T3_mT4_P12ihipStream_tbEUlT_E1_NS1_11comp_targetILNS1_3genE9ELNS1_11target_archE1100ELNS1_3gpuE3ELNS1_3repE0EEENS1_30default_config_static_selectorELNS0_4arch9wavefront6targetE1EEEvSK_.kd
    .uniform_work_group_size: 1
    .uses_dynamic_stack: false
    .vgpr_count:     0
    .vgpr_spill_count: 0
    .wavefront_size: 64
  - .agpr_count:     0
    .args:
      - .offset:         0
        .size:           56
        .value_kind:     by_value
    .group_segment_fixed_size: 0
    .kernarg_segment_align: 8
    .kernarg_segment_size: 56
    .language:       OpenCL C
    .language_version:
      - 2
      - 0
    .max_flat_workgroup_size: 256
    .name:           _ZN7rocprim17ROCPRIM_400000_NS6detail17trampoline_kernelINS0_14default_configENS1_22reduce_config_selectorIN6thrust23THRUST_200600_302600_NS5tupleIblNS6_9null_typeES8_S8_S8_S8_S8_S8_S8_EEEEZNS1_11reduce_implILb1ES3_PS9_SC_S9_NS6_11hip_rocprim9__find_if7functorIS9_EEEE10hipError_tPvRmT1_T2_T3_mT4_P12ihipStream_tbEUlT_E1_NS1_11comp_targetILNS1_3genE8ELNS1_11target_archE1030ELNS1_3gpuE2ELNS1_3repE0EEENS1_30default_config_static_selectorELNS0_4arch9wavefront6targetE1EEEvSK_
    .private_segment_fixed_size: 0
    .sgpr_count:     4
    .sgpr_spill_count: 0
    .symbol:         _ZN7rocprim17ROCPRIM_400000_NS6detail17trampoline_kernelINS0_14default_configENS1_22reduce_config_selectorIN6thrust23THRUST_200600_302600_NS5tupleIblNS6_9null_typeES8_S8_S8_S8_S8_S8_S8_EEEEZNS1_11reduce_implILb1ES3_PS9_SC_S9_NS6_11hip_rocprim9__find_if7functorIS9_EEEE10hipError_tPvRmT1_T2_T3_mT4_P12ihipStream_tbEUlT_E1_NS1_11comp_targetILNS1_3genE8ELNS1_11target_archE1030ELNS1_3gpuE2ELNS1_3repE0EEENS1_30default_config_static_selectorELNS0_4arch9wavefront6targetE1EEEvSK_.kd
    .uniform_work_group_size: 1
    .uses_dynamic_stack: false
    .vgpr_count:     0
    .vgpr_spill_count: 0
    .wavefront_size: 64
  - .agpr_count:     0
    .args:
      - .offset:         0
        .size:           104
        .value_kind:     by_value
    .group_segment_fixed_size: 0
    .kernarg_segment_align: 8
    .kernarg_segment_size: 104
    .language:       OpenCL C
    .language_version:
      - 2
      - 0
    .max_flat_workgroup_size: 128
    .name:           _ZN7rocprim17ROCPRIM_400000_NS6detail17trampoline_kernelINS0_14default_configENS1_22reduce_config_selectorIN6thrust23THRUST_200600_302600_NS5tupleIblNS6_9null_typeES8_S8_S8_S8_S8_S8_S8_EEEEZNS1_11reduce_implILb1ES3_NS6_12zip_iteratorINS7_INS6_11hip_rocprim26transform_input_iterator_tIbNSD_35transform_pair_of_input_iterators_tIbNS6_6detail15normal_iteratorINS6_10device_ptrIKxEEEESL_NS6_8equal_toIxEEEENSG_9not_fun_tINSD_8identityEEEEENSD_19counting_iterator_tIlEES8_S8_S8_S8_S8_S8_S8_S8_EEEEPS9_S9_NSD_9__find_if7functorIS9_EEEE10hipError_tPvRmT1_T2_T3_mT4_P12ihipStream_tbEUlT_E0_NS1_11comp_targetILNS1_3genE0ELNS1_11target_archE4294967295ELNS1_3gpuE0ELNS1_3repE0EEENS1_30default_config_static_selectorELNS0_4arch9wavefront6targetE1EEEvS14_
    .private_segment_fixed_size: 0
    .sgpr_count:     4
    .sgpr_spill_count: 0
    .symbol:         _ZN7rocprim17ROCPRIM_400000_NS6detail17trampoline_kernelINS0_14default_configENS1_22reduce_config_selectorIN6thrust23THRUST_200600_302600_NS5tupleIblNS6_9null_typeES8_S8_S8_S8_S8_S8_S8_EEEEZNS1_11reduce_implILb1ES3_NS6_12zip_iteratorINS7_INS6_11hip_rocprim26transform_input_iterator_tIbNSD_35transform_pair_of_input_iterators_tIbNS6_6detail15normal_iteratorINS6_10device_ptrIKxEEEESL_NS6_8equal_toIxEEEENSG_9not_fun_tINSD_8identityEEEEENSD_19counting_iterator_tIlEES8_S8_S8_S8_S8_S8_S8_S8_EEEEPS9_S9_NSD_9__find_if7functorIS9_EEEE10hipError_tPvRmT1_T2_T3_mT4_P12ihipStream_tbEUlT_E0_NS1_11comp_targetILNS1_3genE0ELNS1_11target_archE4294967295ELNS1_3gpuE0ELNS1_3repE0EEENS1_30default_config_static_selectorELNS0_4arch9wavefront6targetE1EEEvS14_.kd
    .uniform_work_group_size: 1
    .uses_dynamic_stack: false
    .vgpr_count:     0
    .vgpr_spill_count: 0
    .wavefront_size: 64
  - .agpr_count:     0
    .args:
      - .offset:         0
        .size:           104
        .value_kind:     by_value
    .group_segment_fixed_size: 0
    .kernarg_segment_align: 8
    .kernarg_segment_size: 104
    .language:       OpenCL C
    .language_version:
      - 2
      - 0
    .max_flat_workgroup_size: 256
    .name:           _ZN7rocprim17ROCPRIM_400000_NS6detail17trampoline_kernelINS0_14default_configENS1_22reduce_config_selectorIN6thrust23THRUST_200600_302600_NS5tupleIblNS6_9null_typeES8_S8_S8_S8_S8_S8_S8_EEEEZNS1_11reduce_implILb1ES3_NS6_12zip_iteratorINS7_INS6_11hip_rocprim26transform_input_iterator_tIbNSD_35transform_pair_of_input_iterators_tIbNS6_6detail15normal_iteratorINS6_10device_ptrIKxEEEESL_NS6_8equal_toIxEEEENSG_9not_fun_tINSD_8identityEEEEENSD_19counting_iterator_tIlEES8_S8_S8_S8_S8_S8_S8_S8_EEEEPS9_S9_NSD_9__find_if7functorIS9_EEEE10hipError_tPvRmT1_T2_T3_mT4_P12ihipStream_tbEUlT_E0_NS1_11comp_targetILNS1_3genE5ELNS1_11target_archE942ELNS1_3gpuE9ELNS1_3repE0EEENS1_30default_config_static_selectorELNS0_4arch9wavefront6targetE1EEEvS14_
    .private_segment_fixed_size: 0
    .sgpr_count:     4
    .sgpr_spill_count: 0
    .symbol:         _ZN7rocprim17ROCPRIM_400000_NS6detail17trampoline_kernelINS0_14default_configENS1_22reduce_config_selectorIN6thrust23THRUST_200600_302600_NS5tupleIblNS6_9null_typeES8_S8_S8_S8_S8_S8_S8_EEEEZNS1_11reduce_implILb1ES3_NS6_12zip_iteratorINS7_INS6_11hip_rocprim26transform_input_iterator_tIbNSD_35transform_pair_of_input_iterators_tIbNS6_6detail15normal_iteratorINS6_10device_ptrIKxEEEESL_NS6_8equal_toIxEEEENSG_9not_fun_tINSD_8identityEEEEENSD_19counting_iterator_tIlEES8_S8_S8_S8_S8_S8_S8_S8_EEEEPS9_S9_NSD_9__find_if7functorIS9_EEEE10hipError_tPvRmT1_T2_T3_mT4_P12ihipStream_tbEUlT_E0_NS1_11comp_targetILNS1_3genE5ELNS1_11target_archE942ELNS1_3gpuE9ELNS1_3repE0EEENS1_30default_config_static_selectorELNS0_4arch9wavefront6targetE1EEEvS14_.kd
    .uniform_work_group_size: 1
    .uses_dynamic_stack: false
    .vgpr_count:     0
    .vgpr_spill_count: 0
    .wavefront_size: 64
  - .agpr_count:     0
    .args:
      - .offset:         0
        .size:           104
        .value_kind:     by_value
    .group_segment_fixed_size: 128
    .kernarg_segment_align: 8
    .kernarg_segment_size: 104
    .language:       OpenCL C
    .language_version:
      - 2
      - 0
    .max_flat_workgroup_size: 256
    .name:           _ZN7rocprim17ROCPRIM_400000_NS6detail17trampoline_kernelINS0_14default_configENS1_22reduce_config_selectorIN6thrust23THRUST_200600_302600_NS5tupleIblNS6_9null_typeES8_S8_S8_S8_S8_S8_S8_EEEEZNS1_11reduce_implILb1ES3_NS6_12zip_iteratorINS7_INS6_11hip_rocprim26transform_input_iterator_tIbNSD_35transform_pair_of_input_iterators_tIbNS6_6detail15normal_iteratorINS6_10device_ptrIKxEEEESL_NS6_8equal_toIxEEEENSG_9not_fun_tINSD_8identityEEEEENSD_19counting_iterator_tIlEES8_S8_S8_S8_S8_S8_S8_S8_EEEEPS9_S9_NSD_9__find_if7functorIS9_EEEE10hipError_tPvRmT1_T2_T3_mT4_P12ihipStream_tbEUlT_E0_NS1_11comp_targetILNS1_3genE4ELNS1_11target_archE910ELNS1_3gpuE8ELNS1_3repE0EEENS1_30default_config_static_selectorELNS0_4arch9wavefront6targetE1EEEvS14_
    .private_segment_fixed_size: 0
    .sgpr_count:     32
    .sgpr_spill_count: 0
    .symbol:         _ZN7rocprim17ROCPRIM_400000_NS6detail17trampoline_kernelINS0_14default_configENS1_22reduce_config_selectorIN6thrust23THRUST_200600_302600_NS5tupleIblNS6_9null_typeES8_S8_S8_S8_S8_S8_S8_EEEEZNS1_11reduce_implILb1ES3_NS6_12zip_iteratorINS7_INS6_11hip_rocprim26transform_input_iterator_tIbNSD_35transform_pair_of_input_iterators_tIbNS6_6detail15normal_iteratorINS6_10device_ptrIKxEEEESL_NS6_8equal_toIxEEEENSG_9not_fun_tINSD_8identityEEEEENSD_19counting_iterator_tIlEES8_S8_S8_S8_S8_S8_S8_S8_EEEEPS9_S9_NSD_9__find_if7functorIS9_EEEE10hipError_tPvRmT1_T2_T3_mT4_P12ihipStream_tbEUlT_E0_NS1_11comp_targetILNS1_3genE4ELNS1_11target_archE910ELNS1_3gpuE8ELNS1_3repE0EEENS1_30default_config_static_selectorELNS0_4arch9wavefront6targetE1EEEvS14_.kd
    .uniform_work_group_size: 1
    .uses_dynamic_stack: false
    .vgpr_count:     14
    .vgpr_spill_count: 0
    .wavefront_size: 64
  - .agpr_count:     0
    .args:
      - .offset:         0
        .size:           104
        .value_kind:     by_value
    .group_segment_fixed_size: 0
    .kernarg_segment_align: 8
    .kernarg_segment_size: 104
    .language:       OpenCL C
    .language_version:
      - 2
      - 0
    .max_flat_workgroup_size: 128
    .name:           _ZN7rocprim17ROCPRIM_400000_NS6detail17trampoline_kernelINS0_14default_configENS1_22reduce_config_selectorIN6thrust23THRUST_200600_302600_NS5tupleIblNS6_9null_typeES8_S8_S8_S8_S8_S8_S8_EEEEZNS1_11reduce_implILb1ES3_NS6_12zip_iteratorINS7_INS6_11hip_rocprim26transform_input_iterator_tIbNSD_35transform_pair_of_input_iterators_tIbNS6_6detail15normal_iteratorINS6_10device_ptrIKxEEEESL_NS6_8equal_toIxEEEENSG_9not_fun_tINSD_8identityEEEEENSD_19counting_iterator_tIlEES8_S8_S8_S8_S8_S8_S8_S8_EEEEPS9_S9_NSD_9__find_if7functorIS9_EEEE10hipError_tPvRmT1_T2_T3_mT4_P12ihipStream_tbEUlT_E0_NS1_11comp_targetILNS1_3genE3ELNS1_11target_archE908ELNS1_3gpuE7ELNS1_3repE0EEENS1_30default_config_static_selectorELNS0_4arch9wavefront6targetE1EEEvS14_
    .private_segment_fixed_size: 0
    .sgpr_count:     4
    .sgpr_spill_count: 0
    .symbol:         _ZN7rocprim17ROCPRIM_400000_NS6detail17trampoline_kernelINS0_14default_configENS1_22reduce_config_selectorIN6thrust23THRUST_200600_302600_NS5tupleIblNS6_9null_typeES8_S8_S8_S8_S8_S8_S8_EEEEZNS1_11reduce_implILb1ES3_NS6_12zip_iteratorINS7_INS6_11hip_rocprim26transform_input_iterator_tIbNSD_35transform_pair_of_input_iterators_tIbNS6_6detail15normal_iteratorINS6_10device_ptrIKxEEEESL_NS6_8equal_toIxEEEENSG_9not_fun_tINSD_8identityEEEEENSD_19counting_iterator_tIlEES8_S8_S8_S8_S8_S8_S8_S8_EEEEPS9_S9_NSD_9__find_if7functorIS9_EEEE10hipError_tPvRmT1_T2_T3_mT4_P12ihipStream_tbEUlT_E0_NS1_11comp_targetILNS1_3genE3ELNS1_11target_archE908ELNS1_3gpuE7ELNS1_3repE0EEENS1_30default_config_static_selectorELNS0_4arch9wavefront6targetE1EEEvS14_.kd
    .uniform_work_group_size: 1
    .uses_dynamic_stack: false
    .vgpr_count:     0
    .vgpr_spill_count: 0
    .wavefront_size: 64
  - .agpr_count:     0
    .args:
      - .offset:         0
        .size:           104
        .value_kind:     by_value
    .group_segment_fixed_size: 0
    .kernarg_segment_align: 8
    .kernarg_segment_size: 104
    .language:       OpenCL C
    .language_version:
      - 2
      - 0
    .max_flat_workgroup_size: 128
    .name:           _ZN7rocprim17ROCPRIM_400000_NS6detail17trampoline_kernelINS0_14default_configENS1_22reduce_config_selectorIN6thrust23THRUST_200600_302600_NS5tupleIblNS6_9null_typeES8_S8_S8_S8_S8_S8_S8_EEEEZNS1_11reduce_implILb1ES3_NS6_12zip_iteratorINS7_INS6_11hip_rocprim26transform_input_iterator_tIbNSD_35transform_pair_of_input_iterators_tIbNS6_6detail15normal_iteratorINS6_10device_ptrIKxEEEESL_NS6_8equal_toIxEEEENSG_9not_fun_tINSD_8identityEEEEENSD_19counting_iterator_tIlEES8_S8_S8_S8_S8_S8_S8_S8_EEEEPS9_S9_NSD_9__find_if7functorIS9_EEEE10hipError_tPvRmT1_T2_T3_mT4_P12ihipStream_tbEUlT_E0_NS1_11comp_targetILNS1_3genE2ELNS1_11target_archE906ELNS1_3gpuE6ELNS1_3repE0EEENS1_30default_config_static_selectorELNS0_4arch9wavefront6targetE1EEEvS14_
    .private_segment_fixed_size: 0
    .sgpr_count:     4
    .sgpr_spill_count: 0
    .symbol:         _ZN7rocprim17ROCPRIM_400000_NS6detail17trampoline_kernelINS0_14default_configENS1_22reduce_config_selectorIN6thrust23THRUST_200600_302600_NS5tupleIblNS6_9null_typeES8_S8_S8_S8_S8_S8_S8_EEEEZNS1_11reduce_implILb1ES3_NS6_12zip_iteratorINS7_INS6_11hip_rocprim26transform_input_iterator_tIbNSD_35transform_pair_of_input_iterators_tIbNS6_6detail15normal_iteratorINS6_10device_ptrIKxEEEESL_NS6_8equal_toIxEEEENSG_9not_fun_tINSD_8identityEEEEENSD_19counting_iterator_tIlEES8_S8_S8_S8_S8_S8_S8_S8_EEEEPS9_S9_NSD_9__find_if7functorIS9_EEEE10hipError_tPvRmT1_T2_T3_mT4_P12ihipStream_tbEUlT_E0_NS1_11comp_targetILNS1_3genE2ELNS1_11target_archE906ELNS1_3gpuE6ELNS1_3repE0EEENS1_30default_config_static_selectorELNS0_4arch9wavefront6targetE1EEEvS14_.kd
    .uniform_work_group_size: 1
    .uses_dynamic_stack: false
    .vgpr_count:     0
    .vgpr_spill_count: 0
    .wavefront_size: 64
  - .agpr_count:     0
    .args:
      - .offset:         0
        .size:           104
        .value_kind:     by_value
    .group_segment_fixed_size: 0
    .kernarg_segment_align: 8
    .kernarg_segment_size: 104
    .language:       OpenCL C
    .language_version:
      - 2
      - 0
    .max_flat_workgroup_size: 256
    .name:           _ZN7rocprim17ROCPRIM_400000_NS6detail17trampoline_kernelINS0_14default_configENS1_22reduce_config_selectorIN6thrust23THRUST_200600_302600_NS5tupleIblNS6_9null_typeES8_S8_S8_S8_S8_S8_S8_EEEEZNS1_11reduce_implILb1ES3_NS6_12zip_iteratorINS7_INS6_11hip_rocprim26transform_input_iterator_tIbNSD_35transform_pair_of_input_iterators_tIbNS6_6detail15normal_iteratorINS6_10device_ptrIKxEEEESL_NS6_8equal_toIxEEEENSG_9not_fun_tINSD_8identityEEEEENSD_19counting_iterator_tIlEES8_S8_S8_S8_S8_S8_S8_S8_EEEEPS9_S9_NSD_9__find_if7functorIS9_EEEE10hipError_tPvRmT1_T2_T3_mT4_P12ihipStream_tbEUlT_E0_NS1_11comp_targetILNS1_3genE10ELNS1_11target_archE1201ELNS1_3gpuE5ELNS1_3repE0EEENS1_30default_config_static_selectorELNS0_4arch9wavefront6targetE1EEEvS14_
    .private_segment_fixed_size: 0
    .sgpr_count:     4
    .sgpr_spill_count: 0
    .symbol:         _ZN7rocprim17ROCPRIM_400000_NS6detail17trampoline_kernelINS0_14default_configENS1_22reduce_config_selectorIN6thrust23THRUST_200600_302600_NS5tupleIblNS6_9null_typeES8_S8_S8_S8_S8_S8_S8_EEEEZNS1_11reduce_implILb1ES3_NS6_12zip_iteratorINS7_INS6_11hip_rocprim26transform_input_iterator_tIbNSD_35transform_pair_of_input_iterators_tIbNS6_6detail15normal_iteratorINS6_10device_ptrIKxEEEESL_NS6_8equal_toIxEEEENSG_9not_fun_tINSD_8identityEEEEENSD_19counting_iterator_tIlEES8_S8_S8_S8_S8_S8_S8_S8_EEEEPS9_S9_NSD_9__find_if7functorIS9_EEEE10hipError_tPvRmT1_T2_T3_mT4_P12ihipStream_tbEUlT_E0_NS1_11comp_targetILNS1_3genE10ELNS1_11target_archE1201ELNS1_3gpuE5ELNS1_3repE0EEENS1_30default_config_static_selectorELNS0_4arch9wavefront6targetE1EEEvS14_.kd
    .uniform_work_group_size: 1
    .uses_dynamic_stack: false
    .vgpr_count:     0
    .vgpr_spill_count: 0
    .wavefront_size: 64
  - .agpr_count:     0
    .args:
      - .offset:         0
        .size:           104
        .value_kind:     by_value
    .group_segment_fixed_size: 0
    .kernarg_segment_align: 8
    .kernarg_segment_size: 104
    .language:       OpenCL C
    .language_version:
      - 2
      - 0
    .max_flat_workgroup_size: 256
    .name:           _ZN7rocprim17ROCPRIM_400000_NS6detail17trampoline_kernelINS0_14default_configENS1_22reduce_config_selectorIN6thrust23THRUST_200600_302600_NS5tupleIblNS6_9null_typeES8_S8_S8_S8_S8_S8_S8_EEEEZNS1_11reduce_implILb1ES3_NS6_12zip_iteratorINS7_INS6_11hip_rocprim26transform_input_iterator_tIbNSD_35transform_pair_of_input_iterators_tIbNS6_6detail15normal_iteratorINS6_10device_ptrIKxEEEESL_NS6_8equal_toIxEEEENSG_9not_fun_tINSD_8identityEEEEENSD_19counting_iterator_tIlEES8_S8_S8_S8_S8_S8_S8_S8_EEEEPS9_S9_NSD_9__find_if7functorIS9_EEEE10hipError_tPvRmT1_T2_T3_mT4_P12ihipStream_tbEUlT_E0_NS1_11comp_targetILNS1_3genE10ELNS1_11target_archE1200ELNS1_3gpuE4ELNS1_3repE0EEENS1_30default_config_static_selectorELNS0_4arch9wavefront6targetE1EEEvS14_
    .private_segment_fixed_size: 0
    .sgpr_count:     4
    .sgpr_spill_count: 0
    .symbol:         _ZN7rocprim17ROCPRIM_400000_NS6detail17trampoline_kernelINS0_14default_configENS1_22reduce_config_selectorIN6thrust23THRUST_200600_302600_NS5tupleIblNS6_9null_typeES8_S8_S8_S8_S8_S8_S8_EEEEZNS1_11reduce_implILb1ES3_NS6_12zip_iteratorINS7_INS6_11hip_rocprim26transform_input_iterator_tIbNSD_35transform_pair_of_input_iterators_tIbNS6_6detail15normal_iteratorINS6_10device_ptrIKxEEEESL_NS6_8equal_toIxEEEENSG_9not_fun_tINSD_8identityEEEEENSD_19counting_iterator_tIlEES8_S8_S8_S8_S8_S8_S8_S8_EEEEPS9_S9_NSD_9__find_if7functorIS9_EEEE10hipError_tPvRmT1_T2_T3_mT4_P12ihipStream_tbEUlT_E0_NS1_11comp_targetILNS1_3genE10ELNS1_11target_archE1200ELNS1_3gpuE4ELNS1_3repE0EEENS1_30default_config_static_selectorELNS0_4arch9wavefront6targetE1EEEvS14_.kd
    .uniform_work_group_size: 1
    .uses_dynamic_stack: false
    .vgpr_count:     0
    .vgpr_spill_count: 0
    .wavefront_size: 64
  - .agpr_count:     0
    .args:
      - .offset:         0
        .size:           104
        .value_kind:     by_value
    .group_segment_fixed_size: 0
    .kernarg_segment_align: 8
    .kernarg_segment_size: 104
    .language:       OpenCL C
    .language_version:
      - 2
      - 0
    .max_flat_workgroup_size: 256
    .name:           _ZN7rocprim17ROCPRIM_400000_NS6detail17trampoline_kernelINS0_14default_configENS1_22reduce_config_selectorIN6thrust23THRUST_200600_302600_NS5tupleIblNS6_9null_typeES8_S8_S8_S8_S8_S8_S8_EEEEZNS1_11reduce_implILb1ES3_NS6_12zip_iteratorINS7_INS6_11hip_rocprim26transform_input_iterator_tIbNSD_35transform_pair_of_input_iterators_tIbNS6_6detail15normal_iteratorINS6_10device_ptrIKxEEEESL_NS6_8equal_toIxEEEENSG_9not_fun_tINSD_8identityEEEEENSD_19counting_iterator_tIlEES8_S8_S8_S8_S8_S8_S8_S8_EEEEPS9_S9_NSD_9__find_if7functorIS9_EEEE10hipError_tPvRmT1_T2_T3_mT4_P12ihipStream_tbEUlT_E0_NS1_11comp_targetILNS1_3genE9ELNS1_11target_archE1100ELNS1_3gpuE3ELNS1_3repE0EEENS1_30default_config_static_selectorELNS0_4arch9wavefront6targetE1EEEvS14_
    .private_segment_fixed_size: 0
    .sgpr_count:     4
    .sgpr_spill_count: 0
    .symbol:         _ZN7rocprim17ROCPRIM_400000_NS6detail17trampoline_kernelINS0_14default_configENS1_22reduce_config_selectorIN6thrust23THRUST_200600_302600_NS5tupleIblNS6_9null_typeES8_S8_S8_S8_S8_S8_S8_EEEEZNS1_11reduce_implILb1ES3_NS6_12zip_iteratorINS7_INS6_11hip_rocprim26transform_input_iterator_tIbNSD_35transform_pair_of_input_iterators_tIbNS6_6detail15normal_iteratorINS6_10device_ptrIKxEEEESL_NS6_8equal_toIxEEEENSG_9not_fun_tINSD_8identityEEEEENSD_19counting_iterator_tIlEES8_S8_S8_S8_S8_S8_S8_S8_EEEEPS9_S9_NSD_9__find_if7functorIS9_EEEE10hipError_tPvRmT1_T2_T3_mT4_P12ihipStream_tbEUlT_E0_NS1_11comp_targetILNS1_3genE9ELNS1_11target_archE1100ELNS1_3gpuE3ELNS1_3repE0EEENS1_30default_config_static_selectorELNS0_4arch9wavefront6targetE1EEEvS14_.kd
    .uniform_work_group_size: 1
    .uses_dynamic_stack: false
    .vgpr_count:     0
    .vgpr_spill_count: 0
    .wavefront_size: 64
  - .agpr_count:     0
    .args:
      - .offset:         0
        .size:           104
        .value_kind:     by_value
    .group_segment_fixed_size: 0
    .kernarg_segment_align: 8
    .kernarg_segment_size: 104
    .language:       OpenCL C
    .language_version:
      - 2
      - 0
    .max_flat_workgroup_size: 256
    .name:           _ZN7rocprim17ROCPRIM_400000_NS6detail17trampoline_kernelINS0_14default_configENS1_22reduce_config_selectorIN6thrust23THRUST_200600_302600_NS5tupleIblNS6_9null_typeES8_S8_S8_S8_S8_S8_S8_EEEEZNS1_11reduce_implILb1ES3_NS6_12zip_iteratorINS7_INS6_11hip_rocprim26transform_input_iterator_tIbNSD_35transform_pair_of_input_iterators_tIbNS6_6detail15normal_iteratorINS6_10device_ptrIKxEEEESL_NS6_8equal_toIxEEEENSG_9not_fun_tINSD_8identityEEEEENSD_19counting_iterator_tIlEES8_S8_S8_S8_S8_S8_S8_S8_EEEEPS9_S9_NSD_9__find_if7functorIS9_EEEE10hipError_tPvRmT1_T2_T3_mT4_P12ihipStream_tbEUlT_E0_NS1_11comp_targetILNS1_3genE8ELNS1_11target_archE1030ELNS1_3gpuE2ELNS1_3repE0EEENS1_30default_config_static_selectorELNS0_4arch9wavefront6targetE1EEEvS14_
    .private_segment_fixed_size: 0
    .sgpr_count:     4
    .sgpr_spill_count: 0
    .symbol:         _ZN7rocprim17ROCPRIM_400000_NS6detail17trampoline_kernelINS0_14default_configENS1_22reduce_config_selectorIN6thrust23THRUST_200600_302600_NS5tupleIblNS6_9null_typeES8_S8_S8_S8_S8_S8_S8_EEEEZNS1_11reduce_implILb1ES3_NS6_12zip_iteratorINS7_INS6_11hip_rocprim26transform_input_iterator_tIbNSD_35transform_pair_of_input_iterators_tIbNS6_6detail15normal_iteratorINS6_10device_ptrIKxEEEESL_NS6_8equal_toIxEEEENSG_9not_fun_tINSD_8identityEEEEENSD_19counting_iterator_tIlEES8_S8_S8_S8_S8_S8_S8_S8_EEEEPS9_S9_NSD_9__find_if7functorIS9_EEEE10hipError_tPvRmT1_T2_T3_mT4_P12ihipStream_tbEUlT_E0_NS1_11comp_targetILNS1_3genE8ELNS1_11target_archE1030ELNS1_3gpuE2ELNS1_3repE0EEENS1_30default_config_static_selectorELNS0_4arch9wavefront6targetE1EEEvS14_.kd
    .uniform_work_group_size: 1
    .uses_dynamic_stack: false
    .vgpr_count:     0
    .vgpr_spill_count: 0
    .wavefront_size: 64
  - .agpr_count:     0
    .args:
      - .offset:         0
        .size:           88
        .value_kind:     by_value
    .group_segment_fixed_size: 0
    .kernarg_segment_align: 8
    .kernarg_segment_size: 88
    .language:       OpenCL C
    .language_version:
      - 2
      - 0
    .max_flat_workgroup_size: 128
    .name:           _ZN7rocprim17ROCPRIM_400000_NS6detail17trampoline_kernelINS0_14default_configENS1_22reduce_config_selectorIN6thrust23THRUST_200600_302600_NS5tupleIblNS6_9null_typeES8_S8_S8_S8_S8_S8_S8_EEEEZNS1_11reduce_implILb1ES3_NS6_12zip_iteratorINS7_INS6_11hip_rocprim26transform_input_iterator_tIbNSD_35transform_pair_of_input_iterators_tIbNS6_6detail15normal_iteratorINS6_10device_ptrIKxEEEESL_NS6_8equal_toIxEEEENSG_9not_fun_tINSD_8identityEEEEENSD_19counting_iterator_tIlEES8_S8_S8_S8_S8_S8_S8_S8_EEEEPS9_S9_NSD_9__find_if7functorIS9_EEEE10hipError_tPvRmT1_T2_T3_mT4_P12ihipStream_tbEUlT_E1_NS1_11comp_targetILNS1_3genE0ELNS1_11target_archE4294967295ELNS1_3gpuE0ELNS1_3repE0EEENS1_30default_config_static_selectorELNS0_4arch9wavefront6targetE1EEEvS14_
    .private_segment_fixed_size: 0
    .sgpr_count:     4
    .sgpr_spill_count: 0
    .symbol:         _ZN7rocprim17ROCPRIM_400000_NS6detail17trampoline_kernelINS0_14default_configENS1_22reduce_config_selectorIN6thrust23THRUST_200600_302600_NS5tupleIblNS6_9null_typeES8_S8_S8_S8_S8_S8_S8_EEEEZNS1_11reduce_implILb1ES3_NS6_12zip_iteratorINS7_INS6_11hip_rocprim26transform_input_iterator_tIbNSD_35transform_pair_of_input_iterators_tIbNS6_6detail15normal_iteratorINS6_10device_ptrIKxEEEESL_NS6_8equal_toIxEEEENSG_9not_fun_tINSD_8identityEEEEENSD_19counting_iterator_tIlEES8_S8_S8_S8_S8_S8_S8_S8_EEEEPS9_S9_NSD_9__find_if7functorIS9_EEEE10hipError_tPvRmT1_T2_T3_mT4_P12ihipStream_tbEUlT_E1_NS1_11comp_targetILNS1_3genE0ELNS1_11target_archE4294967295ELNS1_3gpuE0ELNS1_3repE0EEENS1_30default_config_static_selectorELNS0_4arch9wavefront6targetE1EEEvS14_.kd
    .uniform_work_group_size: 1
    .uses_dynamic_stack: false
    .vgpr_count:     0
    .vgpr_spill_count: 0
    .wavefront_size: 64
  - .agpr_count:     0
    .args:
      - .offset:         0
        .size:           88
        .value_kind:     by_value
    .group_segment_fixed_size: 0
    .kernarg_segment_align: 8
    .kernarg_segment_size: 88
    .language:       OpenCL C
    .language_version:
      - 2
      - 0
    .max_flat_workgroup_size: 256
    .name:           _ZN7rocprim17ROCPRIM_400000_NS6detail17trampoline_kernelINS0_14default_configENS1_22reduce_config_selectorIN6thrust23THRUST_200600_302600_NS5tupleIblNS6_9null_typeES8_S8_S8_S8_S8_S8_S8_EEEEZNS1_11reduce_implILb1ES3_NS6_12zip_iteratorINS7_INS6_11hip_rocprim26transform_input_iterator_tIbNSD_35transform_pair_of_input_iterators_tIbNS6_6detail15normal_iteratorINS6_10device_ptrIKxEEEESL_NS6_8equal_toIxEEEENSG_9not_fun_tINSD_8identityEEEEENSD_19counting_iterator_tIlEES8_S8_S8_S8_S8_S8_S8_S8_EEEEPS9_S9_NSD_9__find_if7functorIS9_EEEE10hipError_tPvRmT1_T2_T3_mT4_P12ihipStream_tbEUlT_E1_NS1_11comp_targetILNS1_3genE5ELNS1_11target_archE942ELNS1_3gpuE9ELNS1_3repE0EEENS1_30default_config_static_selectorELNS0_4arch9wavefront6targetE1EEEvS14_
    .private_segment_fixed_size: 0
    .sgpr_count:     4
    .sgpr_spill_count: 0
    .symbol:         _ZN7rocprim17ROCPRIM_400000_NS6detail17trampoline_kernelINS0_14default_configENS1_22reduce_config_selectorIN6thrust23THRUST_200600_302600_NS5tupleIblNS6_9null_typeES8_S8_S8_S8_S8_S8_S8_EEEEZNS1_11reduce_implILb1ES3_NS6_12zip_iteratorINS7_INS6_11hip_rocprim26transform_input_iterator_tIbNSD_35transform_pair_of_input_iterators_tIbNS6_6detail15normal_iteratorINS6_10device_ptrIKxEEEESL_NS6_8equal_toIxEEEENSG_9not_fun_tINSD_8identityEEEEENSD_19counting_iterator_tIlEES8_S8_S8_S8_S8_S8_S8_S8_EEEEPS9_S9_NSD_9__find_if7functorIS9_EEEE10hipError_tPvRmT1_T2_T3_mT4_P12ihipStream_tbEUlT_E1_NS1_11comp_targetILNS1_3genE5ELNS1_11target_archE942ELNS1_3gpuE9ELNS1_3repE0EEENS1_30default_config_static_selectorELNS0_4arch9wavefront6targetE1EEEvS14_.kd
    .uniform_work_group_size: 1
    .uses_dynamic_stack: false
    .vgpr_count:     0
    .vgpr_spill_count: 0
    .wavefront_size: 64
  - .agpr_count:     0
    .args:
      - .offset:         0
        .size:           88
        .value_kind:     by_value
    .group_segment_fixed_size: 320
    .kernarg_segment_align: 8
    .kernarg_segment_size: 88
    .language:       OpenCL C
    .language_version:
      - 2
      - 0
    .max_flat_workgroup_size: 256
    .name:           _ZN7rocprim17ROCPRIM_400000_NS6detail17trampoline_kernelINS0_14default_configENS1_22reduce_config_selectorIN6thrust23THRUST_200600_302600_NS5tupleIblNS6_9null_typeES8_S8_S8_S8_S8_S8_S8_EEEEZNS1_11reduce_implILb1ES3_NS6_12zip_iteratorINS7_INS6_11hip_rocprim26transform_input_iterator_tIbNSD_35transform_pair_of_input_iterators_tIbNS6_6detail15normal_iteratorINS6_10device_ptrIKxEEEESL_NS6_8equal_toIxEEEENSG_9not_fun_tINSD_8identityEEEEENSD_19counting_iterator_tIlEES8_S8_S8_S8_S8_S8_S8_S8_EEEEPS9_S9_NSD_9__find_if7functorIS9_EEEE10hipError_tPvRmT1_T2_T3_mT4_P12ihipStream_tbEUlT_E1_NS1_11comp_targetILNS1_3genE4ELNS1_11target_archE910ELNS1_3gpuE8ELNS1_3repE0EEENS1_30default_config_static_selectorELNS0_4arch9wavefront6targetE1EEEvS14_
    .private_segment_fixed_size: 0
    .sgpr_count:     44
    .sgpr_spill_count: 0
    .symbol:         _ZN7rocprim17ROCPRIM_400000_NS6detail17trampoline_kernelINS0_14default_configENS1_22reduce_config_selectorIN6thrust23THRUST_200600_302600_NS5tupleIblNS6_9null_typeES8_S8_S8_S8_S8_S8_S8_EEEEZNS1_11reduce_implILb1ES3_NS6_12zip_iteratorINS7_INS6_11hip_rocprim26transform_input_iterator_tIbNSD_35transform_pair_of_input_iterators_tIbNS6_6detail15normal_iteratorINS6_10device_ptrIKxEEEESL_NS6_8equal_toIxEEEENSG_9not_fun_tINSD_8identityEEEEENSD_19counting_iterator_tIlEES8_S8_S8_S8_S8_S8_S8_S8_EEEEPS9_S9_NSD_9__find_if7functorIS9_EEEE10hipError_tPvRmT1_T2_T3_mT4_P12ihipStream_tbEUlT_E1_NS1_11comp_targetILNS1_3genE4ELNS1_11target_archE910ELNS1_3gpuE8ELNS1_3repE0EEENS1_30default_config_static_selectorELNS0_4arch9wavefront6targetE1EEEvS14_.kd
    .uniform_work_group_size: 1
    .uses_dynamic_stack: false
    .vgpr_count:     44
    .vgpr_spill_count: 0
    .wavefront_size: 64
  - .agpr_count:     0
    .args:
      - .offset:         0
        .size:           88
        .value_kind:     by_value
    .group_segment_fixed_size: 0
    .kernarg_segment_align: 8
    .kernarg_segment_size: 88
    .language:       OpenCL C
    .language_version:
      - 2
      - 0
    .max_flat_workgroup_size: 128
    .name:           _ZN7rocprim17ROCPRIM_400000_NS6detail17trampoline_kernelINS0_14default_configENS1_22reduce_config_selectorIN6thrust23THRUST_200600_302600_NS5tupleIblNS6_9null_typeES8_S8_S8_S8_S8_S8_S8_EEEEZNS1_11reduce_implILb1ES3_NS6_12zip_iteratorINS7_INS6_11hip_rocprim26transform_input_iterator_tIbNSD_35transform_pair_of_input_iterators_tIbNS6_6detail15normal_iteratorINS6_10device_ptrIKxEEEESL_NS6_8equal_toIxEEEENSG_9not_fun_tINSD_8identityEEEEENSD_19counting_iterator_tIlEES8_S8_S8_S8_S8_S8_S8_S8_EEEEPS9_S9_NSD_9__find_if7functorIS9_EEEE10hipError_tPvRmT1_T2_T3_mT4_P12ihipStream_tbEUlT_E1_NS1_11comp_targetILNS1_3genE3ELNS1_11target_archE908ELNS1_3gpuE7ELNS1_3repE0EEENS1_30default_config_static_selectorELNS0_4arch9wavefront6targetE1EEEvS14_
    .private_segment_fixed_size: 0
    .sgpr_count:     4
    .sgpr_spill_count: 0
    .symbol:         _ZN7rocprim17ROCPRIM_400000_NS6detail17trampoline_kernelINS0_14default_configENS1_22reduce_config_selectorIN6thrust23THRUST_200600_302600_NS5tupleIblNS6_9null_typeES8_S8_S8_S8_S8_S8_S8_EEEEZNS1_11reduce_implILb1ES3_NS6_12zip_iteratorINS7_INS6_11hip_rocprim26transform_input_iterator_tIbNSD_35transform_pair_of_input_iterators_tIbNS6_6detail15normal_iteratorINS6_10device_ptrIKxEEEESL_NS6_8equal_toIxEEEENSG_9not_fun_tINSD_8identityEEEEENSD_19counting_iterator_tIlEES8_S8_S8_S8_S8_S8_S8_S8_EEEEPS9_S9_NSD_9__find_if7functorIS9_EEEE10hipError_tPvRmT1_T2_T3_mT4_P12ihipStream_tbEUlT_E1_NS1_11comp_targetILNS1_3genE3ELNS1_11target_archE908ELNS1_3gpuE7ELNS1_3repE0EEENS1_30default_config_static_selectorELNS0_4arch9wavefront6targetE1EEEvS14_.kd
    .uniform_work_group_size: 1
    .uses_dynamic_stack: false
    .vgpr_count:     0
    .vgpr_spill_count: 0
    .wavefront_size: 64
  - .agpr_count:     0
    .args:
      - .offset:         0
        .size:           88
        .value_kind:     by_value
    .group_segment_fixed_size: 0
    .kernarg_segment_align: 8
    .kernarg_segment_size: 88
    .language:       OpenCL C
    .language_version:
      - 2
      - 0
    .max_flat_workgroup_size: 128
    .name:           _ZN7rocprim17ROCPRIM_400000_NS6detail17trampoline_kernelINS0_14default_configENS1_22reduce_config_selectorIN6thrust23THRUST_200600_302600_NS5tupleIblNS6_9null_typeES8_S8_S8_S8_S8_S8_S8_EEEEZNS1_11reduce_implILb1ES3_NS6_12zip_iteratorINS7_INS6_11hip_rocprim26transform_input_iterator_tIbNSD_35transform_pair_of_input_iterators_tIbNS6_6detail15normal_iteratorINS6_10device_ptrIKxEEEESL_NS6_8equal_toIxEEEENSG_9not_fun_tINSD_8identityEEEEENSD_19counting_iterator_tIlEES8_S8_S8_S8_S8_S8_S8_S8_EEEEPS9_S9_NSD_9__find_if7functorIS9_EEEE10hipError_tPvRmT1_T2_T3_mT4_P12ihipStream_tbEUlT_E1_NS1_11comp_targetILNS1_3genE2ELNS1_11target_archE906ELNS1_3gpuE6ELNS1_3repE0EEENS1_30default_config_static_selectorELNS0_4arch9wavefront6targetE1EEEvS14_
    .private_segment_fixed_size: 0
    .sgpr_count:     4
    .sgpr_spill_count: 0
    .symbol:         _ZN7rocprim17ROCPRIM_400000_NS6detail17trampoline_kernelINS0_14default_configENS1_22reduce_config_selectorIN6thrust23THRUST_200600_302600_NS5tupleIblNS6_9null_typeES8_S8_S8_S8_S8_S8_S8_EEEEZNS1_11reduce_implILb1ES3_NS6_12zip_iteratorINS7_INS6_11hip_rocprim26transform_input_iterator_tIbNSD_35transform_pair_of_input_iterators_tIbNS6_6detail15normal_iteratorINS6_10device_ptrIKxEEEESL_NS6_8equal_toIxEEEENSG_9not_fun_tINSD_8identityEEEEENSD_19counting_iterator_tIlEES8_S8_S8_S8_S8_S8_S8_S8_EEEEPS9_S9_NSD_9__find_if7functorIS9_EEEE10hipError_tPvRmT1_T2_T3_mT4_P12ihipStream_tbEUlT_E1_NS1_11comp_targetILNS1_3genE2ELNS1_11target_archE906ELNS1_3gpuE6ELNS1_3repE0EEENS1_30default_config_static_selectorELNS0_4arch9wavefront6targetE1EEEvS14_.kd
    .uniform_work_group_size: 1
    .uses_dynamic_stack: false
    .vgpr_count:     0
    .vgpr_spill_count: 0
    .wavefront_size: 64
  - .agpr_count:     0
    .args:
      - .offset:         0
        .size:           88
        .value_kind:     by_value
    .group_segment_fixed_size: 0
    .kernarg_segment_align: 8
    .kernarg_segment_size: 88
    .language:       OpenCL C
    .language_version:
      - 2
      - 0
    .max_flat_workgroup_size: 256
    .name:           _ZN7rocprim17ROCPRIM_400000_NS6detail17trampoline_kernelINS0_14default_configENS1_22reduce_config_selectorIN6thrust23THRUST_200600_302600_NS5tupleIblNS6_9null_typeES8_S8_S8_S8_S8_S8_S8_EEEEZNS1_11reduce_implILb1ES3_NS6_12zip_iteratorINS7_INS6_11hip_rocprim26transform_input_iterator_tIbNSD_35transform_pair_of_input_iterators_tIbNS6_6detail15normal_iteratorINS6_10device_ptrIKxEEEESL_NS6_8equal_toIxEEEENSG_9not_fun_tINSD_8identityEEEEENSD_19counting_iterator_tIlEES8_S8_S8_S8_S8_S8_S8_S8_EEEEPS9_S9_NSD_9__find_if7functorIS9_EEEE10hipError_tPvRmT1_T2_T3_mT4_P12ihipStream_tbEUlT_E1_NS1_11comp_targetILNS1_3genE10ELNS1_11target_archE1201ELNS1_3gpuE5ELNS1_3repE0EEENS1_30default_config_static_selectorELNS0_4arch9wavefront6targetE1EEEvS14_
    .private_segment_fixed_size: 0
    .sgpr_count:     4
    .sgpr_spill_count: 0
    .symbol:         _ZN7rocprim17ROCPRIM_400000_NS6detail17trampoline_kernelINS0_14default_configENS1_22reduce_config_selectorIN6thrust23THRUST_200600_302600_NS5tupleIblNS6_9null_typeES8_S8_S8_S8_S8_S8_S8_EEEEZNS1_11reduce_implILb1ES3_NS6_12zip_iteratorINS7_INS6_11hip_rocprim26transform_input_iterator_tIbNSD_35transform_pair_of_input_iterators_tIbNS6_6detail15normal_iteratorINS6_10device_ptrIKxEEEESL_NS6_8equal_toIxEEEENSG_9not_fun_tINSD_8identityEEEEENSD_19counting_iterator_tIlEES8_S8_S8_S8_S8_S8_S8_S8_EEEEPS9_S9_NSD_9__find_if7functorIS9_EEEE10hipError_tPvRmT1_T2_T3_mT4_P12ihipStream_tbEUlT_E1_NS1_11comp_targetILNS1_3genE10ELNS1_11target_archE1201ELNS1_3gpuE5ELNS1_3repE0EEENS1_30default_config_static_selectorELNS0_4arch9wavefront6targetE1EEEvS14_.kd
    .uniform_work_group_size: 1
    .uses_dynamic_stack: false
    .vgpr_count:     0
    .vgpr_spill_count: 0
    .wavefront_size: 64
  - .agpr_count:     0
    .args:
      - .offset:         0
        .size:           88
        .value_kind:     by_value
    .group_segment_fixed_size: 0
    .kernarg_segment_align: 8
    .kernarg_segment_size: 88
    .language:       OpenCL C
    .language_version:
      - 2
      - 0
    .max_flat_workgroup_size: 256
    .name:           _ZN7rocprim17ROCPRIM_400000_NS6detail17trampoline_kernelINS0_14default_configENS1_22reduce_config_selectorIN6thrust23THRUST_200600_302600_NS5tupleIblNS6_9null_typeES8_S8_S8_S8_S8_S8_S8_EEEEZNS1_11reduce_implILb1ES3_NS6_12zip_iteratorINS7_INS6_11hip_rocprim26transform_input_iterator_tIbNSD_35transform_pair_of_input_iterators_tIbNS6_6detail15normal_iteratorINS6_10device_ptrIKxEEEESL_NS6_8equal_toIxEEEENSG_9not_fun_tINSD_8identityEEEEENSD_19counting_iterator_tIlEES8_S8_S8_S8_S8_S8_S8_S8_EEEEPS9_S9_NSD_9__find_if7functorIS9_EEEE10hipError_tPvRmT1_T2_T3_mT4_P12ihipStream_tbEUlT_E1_NS1_11comp_targetILNS1_3genE10ELNS1_11target_archE1200ELNS1_3gpuE4ELNS1_3repE0EEENS1_30default_config_static_selectorELNS0_4arch9wavefront6targetE1EEEvS14_
    .private_segment_fixed_size: 0
    .sgpr_count:     4
    .sgpr_spill_count: 0
    .symbol:         _ZN7rocprim17ROCPRIM_400000_NS6detail17trampoline_kernelINS0_14default_configENS1_22reduce_config_selectorIN6thrust23THRUST_200600_302600_NS5tupleIblNS6_9null_typeES8_S8_S8_S8_S8_S8_S8_EEEEZNS1_11reduce_implILb1ES3_NS6_12zip_iteratorINS7_INS6_11hip_rocprim26transform_input_iterator_tIbNSD_35transform_pair_of_input_iterators_tIbNS6_6detail15normal_iteratorINS6_10device_ptrIKxEEEESL_NS6_8equal_toIxEEEENSG_9not_fun_tINSD_8identityEEEEENSD_19counting_iterator_tIlEES8_S8_S8_S8_S8_S8_S8_S8_EEEEPS9_S9_NSD_9__find_if7functorIS9_EEEE10hipError_tPvRmT1_T2_T3_mT4_P12ihipStream_tbEUlT_E1_NS1_11comp_targetILNS1_3genE10ELNS1_11target_archE1200ELNS1_3gpuE4ELNS1_3repE0EEENS1_30default_config_static_selectorELNS0_4arch9wavefront6targetE1EEEvS14_.kd
    .uniform_work_group_size: 1
    .uses_dynamic_stack: false
    .vgpr_count:     0
    .vgpr_spill_count: 0
    .wavefront_size: 64
  - .agpr_count:     0
    .args:
      - .offset:         0
        .size:           88
        .value_kind:     by_value
    .group_segment_fixed_size: 0
    .kernarg_segment_align: 8
    .kernarg_segment_size: 88
    .language:       OpenCL C
    .language_version:
      - 2
      - 0
    .max_flat_workgroup_size: 256
    .name:           _ZN7rocprim17ROCPRIM_400000_NS6detail17trampoline_kernelINS0_14default_configENS1_22reduce_config_selectorIN6thrust23THRUST_200600_302600_NS5tupleIblNS6_9null_typeES8_S8_S8_S8_S8_S8_S8_EEEEZNS1_11reduce_implILb1ES3_NS6_12zip_iteratorINS7_INS6_11hip_rocprim26transform_input_iterator_tIbNSD_35transform_pair_of_input_iterators_tIbNS6_6detail15normal_iteratorINS6_10device_ptrIKxEEEESL_NS6_8equal_toIxEEEENSG_9not_fun_tINSD_8identityEEEEENSD_19counting_iterator_tIlEES8_S8_S8_S8_S8_S8_S8_S8_EEEEPS9_S9_NSD_9__find_if7functorIS9_EEEE10hipError_tPvRmT1_T2_T3_mT4_P12ihipStream_tbEUlT_E1_NS1_11comp_targetILNS1_3genE9ELNS1_11target_archE1100ELNS1_3gpuE3ELNS1_3repE0EEENS1_30default_config_static_selectorELNS0_4arch9wavefront6targetE1EEEvS14_
    .private_segment_fixed_size: 0
    .sgpr_count:     4
    .sgpr_spill_count: 0
    .symbol:         _ZN7rocprim17ROCPRIM_400000_NS6detail17trampoline_kernelINS0_14default_configENS1_22reduce_config_selectorIN6thrust23THRUST_200600_302600_NS5tupleIblNS6_9null_typeES8_S8_S8_S8_S8_S8_S8_EEEEZNS1_11reduce_implILb1ES3_NS6_12zip_iteratorINS7_INS6_11hip_rocprim26transform_input_iterator_tIbNSD_35transform_pair_of_input_iterators_tIbNS6_6detail15normal_iteratorINS6_10device_ptrIKxEEEESL_NS6_8equal_toIxEEEENSG_9not_fun_tINSD_8identityEEEEENSD_19counting_iterator_tIlEES8_S8_S8_S8_S8_S8_S8_S8_EEEEPS9_S9_NSD_9__find_if7functorIS9_EEEE10hipError_tPvRmT1_T2_T3_mT4_P12ihipStream_tbEUlT_E1_NS1_11comp_targetILNS1_3genE9ELNS1_11target_archE1100ELNS1_3gpuE3ELNS1_3repE0EEENS1_30default_config_static_selectorELNS0_4arch9wavefront6targetE1EEEvS14_.kd
    .uniform_work_group_size: 1
    .uses_dynamic_stack: false
    .vgpr_count:     0
    .vgpr_spill_count: 0
    .wavefront_size: 64
  - .agpr_count:     0
    .args:
      - .offset:         0
        .size:           88
        .value_kind:     by_value
    .group_segment_fixed_size: 0
    .kernarg_segment_align: 8
    .kernarg_segment_size: 88
    .language:       OpenCL C
    .language_version:
      - 2
      - 0
    .max_flat_workgroup_size: 256
    .name:           _ZN7rocprim17ROCPRIM_400000_NS6detail17trampoline_kernelINS0_14default_configENS1_22reduce_config_selectorIN6thrust23THRUST_200600_302600_NS5tupleIblNS6_9null_typeES8_S8_S8_S8_S8_S8_S8_EEEEZNS1_11reduce_implILb1ES3_NS6_12zip_iteratorINS7_INS6_11hip_rocprim26transform_input_iterator_tIbNSD_35transform_pair_of_input_iterators_tIbNS6_6detail15normal_iteratorINS6_10device_ptrIKxEEEESL_NS6_8equal_toIxEEEENSG_9not_fun_tINSD_8identityEEEEENSD_19counting_iterator_tIlEES8_S8_S8_S8_S8_S8_S8_S8_EEEEPS9_S9_NSD_9__find_if7functorIS9_EEEE10hipError_tPvRmT1_T2_T3_mT4_P12ihipStream_tbEUlT_E1_NS1_11comp_targetILNS1_3genE8ELNS1_11target_archE1030ELNS1_3gpuE2ELNS1_3repE0EEENS1_30default_config_static_selectorELNS0_4arch9wavefront6targetE1EEEvS14_
    .private_segment_fixed_size: 0
    .sgpr_count:     4
    .sgpr_spill_count: 0
    .symbol:         _ZN7rocprim17ROCPRIM_400000_NS6detail17trampoline_kernelINS0_14default_configENS1_22reduce_config_selectorIN6thrust23THRUST_200600_302600_NS5tupleIblNS6_9null_typeES8_S8_S8_S8_S8_S8_S8_EEEEZNS1_11reduce_implILb1ES3_NS6_12zip_iteratorINS7_INS6_11hip_rocprim26transform_input_iterator_tIbNSD_35transform_pair_of_input_iterators_tIbNS6_6detail15normal_iteratorINS6_10device_ptrIKxEEEESL_NS6_8equal_toIxEEEENSG_9not_fun_tINSD_8identityEEEEENSD_19counting_iterator_tIlEES8_S8_S8_S8_S8_S8_S8_S8_EEEEPS9_S9_NSD_9__find_if7functorIS9_EEEE10hipError_tPvRmT1_T2_T3_mT4_P12ihipStream_tbEUlT_E1_NS1_11comp_targetILNS1_3genE8ELNS1_11target_archE1030ELNS1_3gpuE2ELNS1_3repE0EEENS1_30default_config_static_selectorELNS0_4arch9wavefront6targetE1EEEvS14_.kd
    .uniform_work_group_size: 1
    .uses_dynamic_stack: false
    .vgpr_count:     0
    .vgpr_spill_count: 0
    .wavefront_size: 64
  - .agpr_count:     0
    .args:
      - .offset:         0
        .size:           16
        .value_kind:     by_value
      - .offset:         16
        .size:           8
        .value_kind:     by_value
      - .offset:         24
        .size:           8
        .value_kind:     by_value
    .group_segment_fixed_size: 0
    .kernarg_segment_align: 8
    .kernarg_segment_size: 32
    .language:       OpenCL C
    .language_version:
      - 2
      - 0
    .max_flat_workgroup_size: 256
    .name:           _ZN6thrust23THRUST_200600_302600_NS11hip_rocprim14__parallel_for6kernelILj256ENS1_10for_each_fINS0_7pointerINS0_5tupleIblNS0_9null_typeES7_S7_S7_S7_S7_S7_S7_EENS1_3tagENS0_11use_defaultESA_EENS0_6detail16wrapped_functionINSC_23allocator_traits_detail24construct1_via_allocatorINSC_18no_throw_allocatorINSC_19temporary_allocatorIS8_S9_EEEEEEvEEEEmLj1EEEvT0_T1_SO_
    .private_segment_fixed_size: 0
    .sgpr_count:     16
    .sgpr_spill_count: 0
    .symbol:         _ZN6thrust23THRUST_200600_302600_NS11hip_rocprim14__parallel_for6kernelILj256ENS1_10for_each_fINS0_7pointerINS0_5tupleIblNS0_9null_typeES7_S7_S7_S7_S7_S7_S7_EENS1_3tagENS0_11use_defaultESA_EENS0_6detail16wrapped_functionINSC_23allocator_traits_detail24construct1_via_allocatorINSC_18no_throw_allocatorINSC_19temporary_allocatorIS8_S9_EEEEEEvEEEEmLj1EEEvT0_T1_SO_.kd
    .uniform_work_group_size: 1
    .uses_dynamic_stack: false
    .vgpr_count:     4
    .vgpr_spill_count: 0
    .wavefront_size: 64
  - .agpr_count:     0
    .args:
      - .offset:         0
        .size:           16
        .value_kind:     by_value
      - .offset:         16
        .size:           8
        .value_kind:     by_value
      - .offset:         24
        .size:           8
        .value_kind:     by_value
    .group_segment_fixed_size: 0
    .kernarg_segment_align: 8
    .kernarg_segment_size: 32
    .language:       OpenCL C
    .language_version:
      - 2
      - 0
    .max_flat_workgroup_size: 256
    .name:           _ZN6thrust23THRUST_200600_302600_NS11hip_rocprim14__parallel_for6kernelILj256ENS1_10for_each_fINS0_7pointerINS0_5tupleIblNS0_9null_typeES7_S7_S7_S7_S7_S7_S7_EENS1_3tagENS0_11use_defaultESA_EENS0_6detail16wrapped_functionINSC_23allocator_traits_detail5gozerEvEEEElLj1EEEvT0_T1_SJ_
    .private_segment_fixed_size: 0
    .sgpr_count:     4
    .sgpr_spill_count: 0
    .symbol:         _ZN6thrust23THRUST_200600_302600_NS11hip_rocprim14__parallel_for6kernelILj256ENS1_10for_each_fINS0_7pointerINS0_5tupleIblNS0_9null_typeES7_S7_S7_S7_S7_S7_S7_EENS1_3tagENS0_11use_defaultESA_EENS0_6detail16wrapped_functionINSC_23allocator_traits_detail5gozerEvEEEElLj1EEEvT0_T1_SJ_.kd
    .uniform_work_group_size: 1
    .uses_dynamic_stack: false
    .vgpr_count:     0
    .vgpr_spill_count: 0
    .wavefront_size: 64
  - .agpr_count:     0
    .args:
      - .offset:         0
        .size:           16
        .value_kind:     by_value
      - .offset:         16
        .size:           8
        .value_kind:     by_value
      - .offset:         24
        .size:           8
        .value_kind:     by_value
    .group_segment_fixed_size: 0
    .kernarg_segment_align: 8
    .kernarg_segment_size: 32
    .language:       OpenCL C
    .language_version:
      - 2
      - 0
    .max_flat_workgroup_size: 256
    .name:           _ZN6thrust23THRUST_200600_302600_NS11hip_rocprim14__parallel_for6kernelILj256ENS1_20__uninitialized_copy7functorIPNS0_5tupleIblNS0_9null_typeES7_S7_S7_S7_S7_S7_S7_EENS0_7pointerIS8_NS1_3tagENS0_11use_defaultESC_EEEEmLj1EEEvT0_T1_SG_
    .private_segment_fixed_size: 0
    .sgpr_count:     20
    .sgpr_spill_count: 0
    .symbol:         _ZN6thrust23THRUST_200600_302600_NS11hip_rocprim14__parallel_for6kernelILj256ENS1_20__uninitialized_copy7functorIPNS0_5tupleIblNS0_9null_typeES7_S7_S7_S7_S7_S7_S7_EENS0_7pointerIS8_NS1_3tagENS0_11use_defaultESC_EEEEmLj1EEEvT0_T1_SG_.kd
    .uniform_work_group_size: 1
    .uses_dynamic_stack: false
    .vgpr_count:     8
    .vgpr_spill_count: 0
    .wavefront_size: 64
  - .agpr_count:     0
    .args:
      - .offset:         0
        .size:           104
        .value_kind:     by_value
    .group_segment_fixed_size: 0
    .kernarg_segment_align: 8
    .kernarg_segment_size: 104
    .language:       OpenCL C
    .language_version:
      - 2
      - 0
    .max_flat_workgroup_size: 256
    .name:           _ZN7rocprim17ROCPRIM_400000_NS6detail17trampoline_kernelINS0_14default_configENS1_20scan_config_selectorIxEEZZNS1_9scan_implILNS1_25lookback_scan_determinismE0ELb1ELb1ES3_N6thrust23THRUST_200600_302600_NS6detail15normal_iteratorINS9_10device_ptrIxEEEESE_xNS9_4plusIvEExEEDaPvRmT3_T4_T5_mT6_P12ihipStream_tbENKUlT_T0_E_clISt17integral_constantIbLb0EESU_EEDaSP_SQ_EUlSP_E_NS1_11comp_targetILNS1_3genE0ELNS1_11target_archE4294967295ELNS1_3gpuE0ELNS1_3repE0EEENS1_30default_config_static_selectorELNS0_4arch9wavefront6targetE1EEEvT1_
    .private_segment_fixed_size: 0
    .sgpr_count:     4
    .sgpr_spill_count: 0
    .symbol:         _ZN7rocprim17ROCPRIM_400000_NS6detail17trampoline_kernelINS0_14default_configENS1_20scan_config_selectorIxEEZZNS1_9scan_implILNS1_25lookback_scan_determinismE0ELb1ELb1ES3_N6thrust23THRUST_200600_302600_NS6detail15normal_iteratorINS9_10device_ptrIxEEEESE_xNS9_4plusIvEExEEDaPvRmT3_T4_T5_mT6_P12ihipStream_tbENKUlT_T0_E_clISt17integral_constantIbLb0EESU_EEDaSP_SQ_EUlSP_E_NS1_11comp_targetILNS1_3genE0ELNS1_11target_archE4294967295ELNS1_3gpuE0ELNS1_3repE0EEENS1_30default_config_static_selectorELNS0_4arch9wavefront6targetE1EEEvT1_.kd
    .uniform_work_group_size: 1
    .uses_dynamic_stack: false
    .vgpr_count:     0
    .vgpr_spill_count: 0
    .wavefront_size: 64
  - .agpr_count:     0
    .args:
      - .offset:         0
        .size:           104
        .value_kind:     by_value
    .group_segment_fixed_size: 0
    .kernarg_segment_align: 8
    .kernarg_segment_size: 104
    .language:       OpenCL C
    .language_version:
      - 2
      - 0
    .max_flat_workgroup_size: 256
    .name:           _ZN7rocprim17ROCPRIM_400000_NS6detail17trampoline_kernelINS0_14default_configENS1_20scan_config_selectorIxEEZZNS1_9scan_implILNS1_25lookback_scan_determinismE0ELb1ELb1ES3_N6thrust23THRUST_200600_302600_NS6detail15normal_iteratorINS9_10device_ptrIxEEEESE_xNS9_4plusIvEExEEDaPvRmT3_T4_T5_mT6_P12ihipStream_tbENKUlT_T0_E_clISt17integral_constantIbLb0EESU_EEDaSP_SQ_EUlSP_E_NS1_11comp_targetILNS1_3genE5ELNS1_11target_archE942ELNS1_3gpuE9ELNS1_3repE0EEENS1_30default_config_static_selectorELNS0_4arch9wavefront6targetE1EEEvT1_
    .private_segment_fixed_size: 0
    .sgpr_count:     4
    .sgpr_spill_count: 0
    .symbol:         _ZN7rocprim17ROCPRIM_400000_NS6detail17trampoline_kernelINS0_14default_configENS1_20scan_config_selectorIxEEZZNS1_9scan_implILNS1_25lookback_scan_determinismE0ELb1ELb1ES3_N6thrust23THRUST_200600_302600_NS6detail15normal_iteratorINS9_10device_ptrIxEEEESE_xNS9_4plusIvEExEEDaPvRmT3_T4_T5_mT6_P12ihipStream_tbENKUlT_T0_E_clISt17integral_constantIbLb0EESU_EEDaSP_SQ_EUlSP_E_NS1_11comp_targetILNS1_3genE5ELNS1_11target_archE942ELNS1_3gpuE9ELNS1_3repE0EEENS1_30default_config_static_selectorELNS0_4arch9wavefront6targetE1EEEvT1_.kd
    .uniform_work_group_size: 1
    .uses_dynamic_stack: false
    .vgpr_count:     0
    .vgpr_spill_count: 0
    .wavefront_size: 64
  - .agpr_count:     0
    .args:
      - .offset:         0
        .size:           104
        .value_kind:     by_value
    .group_segment_fixed_size: 7168
    .kernarg_segment_align: 8
    .kernarg_segment_size: 104
    .language:       OpenCL C
    .language_version:
      - 2
      - 0
    .max_flat_workgroup_size: 128
    .name:           _ZN7rocprim17ROCPRIM_400000_NS6detail17trampoline_kernelINS0_14default_configENS1_20scan_config_selectorIxEEZZNS1_9scan_implILNS1_25lookback_scan_determinismE0ELb1ELb1ES3_N6thrust23THRUST_200600_302600_NS6detail15normal_iteratorINS9_10device_ptrIxEEEESE_xNS9_4plusIvEExEEDaPvRmT3_T4_T5_mT6_P12ihipStream_tbENKUlT_T0_E_clISt17integral_constantIbLb0EESU_EEDaSP_SQ_EUlSP_E_NS1_11comp_targetILNS1_3genE4ELNS1_11target_archE910ELNS1_3gpuE8ELNS1_3repE0EEENS1_30default_config_static_selectorELNS0_4arch9wavefront6targetE1EEEvT1_
    .private_segment_fixed_size: 0
    .sgpr_count:     36
    .sgpr_spill_count: 0
    .symbol:         _ZN7rocprim17ROCPRIM_400000_NS6detail17trampoline_kernelINS0_14default_configENS1_20scan_config_selectorIxEEZZNS1_9scan_implILNS1_25lookback_scan_determinismE0ELb1ELb1ES3_N6thrust23THRUST_200600_302600_NS6detail15normal_iteratorINS9_10device_ptrIxEEEESE_xNS9_4plusIvEExEEDaPvRmT3_T4_T5_mT6_P12ihipStream_tbENKUlT_T0_E_clISt17integral_constantIbLb0EESU_EEDaSP_SQ_EUlSP_E_NS1_11comp_targetILNS1_3genE4ELNS1_11target_archE910ELNS1_3gpuE8ELNS1_3repE0EEENS1_30default_config_static_selectorELNS0_4arch9wavefront6targetE1EEEvT1_.kd
    .uniform_work_group_size: 1
    .uses_dynamic_stack: false
    .vgpr_count:     51
    .vgpr_spill_count: 0
    .wavefront_size: 64
  - .agpr_count:     0
    .args:
      - .offset:         0
        .size:           104
        .value_kind:     by_value
    .group_segment_fixed_size: 0
    .kernarg_segment_align: 8
    .kernarg_segment_size: 104
    .language:       OpenCL C
    .language_version:
      - 2
      - 0
    .max_flat_workgroup_size: 256
    .name:           _ZN7rocprim17ROCPRIM_400000_NS6detail17trampoline_kernelINS0_14default_configENS1_20scan_config_selectorIxEEZZNS1_9scan_implILNS1_25lookback_scan_determinismE0ELb1ELb1ES3_N6thrust23THRUST_200600_302600_NS6detail15normal_iteratorINS9_10device_ptrIxEEEESE_xNS9_4plusIvEExEEDaPvRmT3_T4_T5_mT6_P12ihipStream_tbENKUlT_T0_E_clISt17integral_constantIbLb0EESU_EEDaSP_SQ_EUlSP_E_NS1_11comp_targetILNS1_3genE3ELNS1_11target_archE908ELNS1_3gpuE7ELNS1_3repE0EEENS1_30default_config_static_selectorELNS0_4arch9wavefront6targetE1EEEvT1_
    .private_segment_fixed_size: 0
    .sgpr_count:     4
    .sgpr_spill_count: 0
    .symbol:         _ZN7rocprim17ROCPRIM_400000_NS6detail17trampoline_kernelINS0_14default_configENS1_20scan_config_selectorIxEEZZNS1_9scan_implILNS1_25lookback_scan_determinismE0ELb1ELb1ES3_N6thrust23THRUST_200600_302600_NS6detail15normal_iteratorINS9_10device_ptrIxEEEESE_xNS9_4plusIvEExEEDaPvRmT3_T4_T5_mT6_P12ihipStream_tbENKUlT_T0_E_clISt17integral_constantIbLb0EESU_EEDaSP_SQ_EUlSP_E_NS1_11comp_targetILNS1_3genE3ELNS1_11target_archE908ELNS1_3gpuE7ELNS1_3repE0EEENS1_30default_config_static_selectorELNS0_4arch9wavefront6targetE1EEEvT1_.kd
    .uniform_work_group_size: 1
    .uses_dynamic_stack: false
    .vgpr_count:     0
    .vgpr_spill_count: 0
    .wavefront_size: 64
  - .agpr_count:     0
    .args:
      - .offset:         0
        .size:           104
        .value_kind:     by_value
    .group_segment_fixed_size: 0
    .kernarg_segment_align: 8
    .kernarg_segment_size: 104
    .language:       OpenCL C
    .language_version:
      - 2
      - 0
    .max_flat_workgroup_size: 64
    .name:           _ZN7rocprim17ROCPRIM_400000_NS6detail17trampoline_kernelINS0_14default_configENS1_20scan_config_selectorIxEEZZNS1_9scan_implILNS1_25lookback_scan_determinismE0ELb1ELb1ES3_N6thrust23THRUST_200600_302600_NS6detail15normal_iteratorINS9_10device_ptrIxEEEESE_xNS9_4plusIvEExEEDaPvRmT3_T4_T5_mT6_P12ihipStream_tbENKUlT_T0_E_clISt17integral_constantIbLb0EESU_EEDaSP_SQ_EUlSP_E_NS1_11comp_targetILNS1_3genE2ELNS1_11target_archE906ELNS1_3gpuE6ELNS1_3repE0EEENS1_30default_config_static_selectorELNS0_4arch9wavefront6targetE1EEEvT1_
    .private_segment_fixed_size: 0
    .sgpr_count:     4
    .sgpr_spill_count: 0
    .symbol:         _ZN7rocprim17ROCPRIM_400000_NS6detail17trampoline_kernelINS0_14default_configENS1_20scan_config_selectorIxEEZZNS1_9scan_implILNS1_25lookback_scan_determinismE0ELb1ELb1ES3_N6thrust23THRUST_200600_302600_NS6detail15normal_iteratorINS9_10device_ptrIxEEEESE_xNS9_4plusIvEExEEDaPvRmT3_T4_T5_mT6_P12ihipStream_tbENKUlT_T0_E_clISt17integral_constantIbLb0EESU_EEDaSP_SQ_EUlSP_E_NS1_11comp_targetILNS1_3genE2ELNS1_11target_archE906ELNS1_3gpuE6ELNS1_3repE0EEENS1_30default_config_static_selectorELNS0_4arch9wavefront6targetE1EEEvT1_.kd
    .uniform_work_group_size: 1
    .uses_dynamic_stack: false
    .vgpr_count:     0
    .vgpr_spill_count: 0
    .wavefront_size: 64
  - .agpr_count:     0
    .args:
      - .offset:         0
        .size:           104
        .value_kind:     by_value
    .group_segment_fixed_size: 0
    .kernarg_segment_align: 8
    .kernarg_segment_size: 104
    .language:       OpenCL C
    .language_version:
      - 2
      - 0
    .max_flat_workgroup_size: 256
    .name:           _ZN7rocprim17ROCPRIM_400000_NS6detail17trampoline_kernelINS0_14default_configENS1_20scan_config_selectorIxEEZZNS1_9scan_implILNS1_25lookback_scan_determinismE0ELb1ELb1ES3_N6thrust23THRUST_200600_302600_NS6detail15normal_iteratorINS9_10device_ptrIxEEEESE_xNS9_4plusIvEExEEDaPvRmT3_T4_T5_mT6_P12ihipStream_tbENKUlT_T0_E_clISt17integral_constantIbLb0EESU_EEDaSP_SQ_EUlSP_E_NS1_11comp_targetILNS1_3genE10ELNS1_11target_archE1201ELNS1_3gpuE5ELNS1_3repE0EEENS1_30default_config_static_selectorELNS0_4arch9wavefront6targetE1EEEvT1_
    .private_segment_fixed_size: 0
    .sgpr_count:     4
    .sgpr_spill_count: 0
    .symbol:         _ZN7rocprim17ROCPRIM_400000_NS6detail17trampoline_kernelINS0_14default_configENS1_20scan_config_selectorIxEEZZNS1_9scan_implILNS1_25lookback_scan_determinismE0ELb1ELb1ES3_N6thrust23THRUST_200600_302600_NS6detail15normal_iteratorINS9_10device_ptrIxEEEESE_xNS9_4plusIvEExEEDaPvRmT3_T4_T5_mT6_P12ihipStream_tbENKUlT_T0_E_clISt17integral_constantIbLb0EESU_EEDaSP_SQ_EUlSP_E_NS1_11comp_targetILNS1_3genE10ELNS1_11target_archE1201ELNS1_3gpuE5ELNS1_3repE0EEENS1_30default_config_static_selectorELNS0_4arch9wavefront6targetE1EEEvT1_.kd
    .uniform_work_group_size: 1
    .uses_dynamic_stack: false
    .vgpr_count:     0
    .vgpr_spill_count: 0
    .wavefront_size: 64
  - .agpr_count:     0
    .args:
      - .offset:         0
        .size:           104
        .value_kind:     by_value
    .group_segment_fixed_size: 0
    .kernarg_segment_align: 8
    .kernarg_segment_size: 104
    .language:       OpenCL C
    .language_version:
      - 2
      - 0
    .max_flat_workgroup_size: 256
    .name:           _ZN7rocprim17ROCPRIM_400000_NS6detail17trampoline_kernelINS0_14default_configENS1_20scan_config_selectorIxEEZZNS1_9scan_implILNS1_25lookback_scan_determinismE0ELb1ELb1ES3_N6thrust23THRUST_200600_302600_NS6detail15normal_iteratorINS9_10device_ptrIxEEEESE_xNS9_4plusIvEExEEDaPvRmT3_T4_T5_mT6_P12ihipStream_tbENKUlT_T0_E_clISt17integral_constantIbLb0EESU_EEDaSP_SQ_EUlSP_E_NS1_11comp_targetILNS1_3genE10ELNS1_11target_archE1200ELNS1_3gpuE4ELNS1_3repE0EEENS1_30default_config_static_selectorELNS0_4arch9wavefront6targetE1EEEvT1_
    .private_segment_fixed_size: 0
    .sgpr_count:     4
    .sgpr_spill_count: 0
    .symbol:         _ZN7rocprim17ROCPRIM_400000_NS6detail17trampoline_kernelINS0_14default_configENS1_20scan_config_selectorIxEEZZNS1_9scan_implILNS1_25lookback_scan_determinismE0ELb1ELb1ES3_N6thrust23THRUST_200600_302600_NS6detail15normal_iteratorINS9_10device_ptrIxEEEESE_xNS9_4plusIvEExEEDaPvRmT3_T4_T5_mT6_P12ihipStream_tbENKUlT_T0_E_clISt17integral_constantIbLb0EESU_EEDaSP_SQ_EUlSP_E_NS1_11comp_targetILNS1_3genE10ELNS1_11target_archE1200ELNS1_3gpuE4ELNS1_3repE0EEENS1_30default_config_static_selectorELNS0_4arch9wavefront6targetE1EEEvT1_.kd
    .uniform_work_group_size: 1
    .uses_dynamic_stack: false
    .vgpr_count:     0
    .vgpr_spill_count: 0
    .wavefront_size: 64
  - .agpr_count:     0
    .args:
      - .offset:         0
        .size:           104
        .value_kind:     by_value
    .group_segment_fixed_size: 0
    .kernarg_segment_align: 8
    .kernarg_segment_size: 104
    .language:       OpenCL C
    .language_version:
      - 2
      - 0
    .max_flat_workgroup_size: 256
    .name:           _ZN7rocprim17ROCPRIM_400000_NS6detail17trampoline_kernelINS0_14default_configENS1_20scan_config_selectorIxEEZZNS1_9scan_implILNS1_25lookback_scan_determinismE0ELb1ELb1ES3_N6thrust23THRUST_200600_302600_NS6detail15normal_iteratorINS9_10device_ptrIxEEEESE_xNS9_4plusIvEExEEDaPvRmT3_T4_T5_mT6_P12ihipStream_tbENKUlT_T0_E_clISt17integral_constantIbLb0EESU_EEDaSP_SQ_EUlSP_E_NS1_11comp_targetILNS1_3genE9ELNS1_11target_archE1100ELNS1_3gpuE3ELNS1_3repE0EEENS1_30default_config_static_selectorELNS0_4arch9wavefront6targetE1EEEvT1_
    .private_segment_fixed_size: 0
    .sgpr_count:     4
    .sgpr_spill_count: 0
    .symbol:         _ZN7rocprim17ROCPRIM_400000_NS6detail17trampoline_kernelINS0_14default_configENS1_20scan_config_selectorIxEEZZNS1_9scan_implILNS1_25lookback_scan_determinismE0ELb1ELb1ES3_N6thrust23THRUST_200600_302600_NS6detail15normal_iteratorINS9_10device_ptrIxEEEESE_xNS9_4plusIvEExEEDaPvRmT3_T4_T5_mT6_P12ihipStream_tbENKUlT_T0_E_clISt17integral_constantIbLb0EESU_EEDaSP_SQ_EUlSP_E_NS1_11comp_targetILNS1_3genE9ELNS1_11target_archE1100ELNS1_3gpuE3ELNS1_3repE0EEENS1_30default_config_static_selectorELNS0_4arch9wavefront6targetE1EEEvT1_.kd
    .uniform_work_group_size: 1
    .uses_dynamic_stack: false
    .vgpr_count:     0
    .vgpr_spill_count: 0
    .wavefront_size: 64
  - .agpr_count:     0
    .args:
      - .offset:         0
        .size:           104
        .value_kind:     by_value
    .group_segment_fixed_size: 0
    .kernarg_segment_align: 8
    .kernarg_segment_size: 104
    .language:       OpenCL C
    .language_version:
      - 2
      - 0
    .max_flat_workgroup_size: 256
    .name:           _ZN7rocprim17ROCPRIM_400000_NS6detail17trampoline_kernelINS0_14default_configENS1_20scan_config_selectorIxEEZZNS1_9scan_implILNS1_25lookback_scan_determinismE0ELb1ELb1ES3_N6thrust23THRUST_200600_302600_NS6detail15normal_iteratorINS9_10device_ptrIxEEEESE_xNS9_4plusIvEExEEDaPvRmT3_T4_T5_mT6_P12ihipStream_tbENKUlT_T0_E_clISt17integral_constantIbLb0EESU_EEDaSP_SQ_EUlSP_E_NS1_11comp_targetILNS1_3genE8ELNS1_11target_archE1030ELNS1_3gpuE2ELNS1_3repE0EEENS1_30default_config_static_selectorELNS0_4arch9wavefront6targetE1EEEvT1_
    .private_segment_fixed_size: 0
    .sgpr_count:     4
    .sgpr_spill_count: 0
    .symbol:         _ZN7rocprim17ROCPRIM_400000_NS6detail17trampoline_kernelINS0_14default_configENS1_20scan_config_selectorIxEEZZNS1_9scan_implILNS1_25lookback_scan_determinismE0ELb1ELb1ES3_N6thrust23THRUST_200600_302600_NS6detail15normal_iteratorINS9_10device_ptrIxEEEESE_xNS9_4plusIvEExEEDaPvRmT3_T4_T5_mT6_P12ihipStream_tbENKUlT_T0_E_clISt17integral_constantIbLb0EESU_EEDaSP_SQ_EUlSP_E_NS1_11comp_targetILNS1_3genE8ELNS1_11target_archE1030ELNS1_3gpuE2ELNS1_3repE0EEENS1_30default_config_static_selectorELNS0_4arch9wavefront6targetE1EEEvT1_.kd
    .uniform_work_group_size: 1
    .uses_dynamic_stack: false
    .vgpr_count:     0
    .vgpr_spill_count: 0
    .wavefront_size: 64
  - .agpr_count:     0
    .args:
      - .offset:         0
        .size:           40
        .value_kind:     by_value
    .group_segment_fixed_size: 0
    .kernarg_segment_align: 8
    .kernarg_segment_size: 40
    .language:       OpenCL C
    .language_version:
      - 2
      - 0
    .max_flat_workgroup_size: 256
    .name:           _ZN7rocprim17ROCPRIM_400000_NS6detail17trampoline_kernelINS0_14default_configENS1_20scan_config_selectorIxEEZZNS1_9scan_implILNS1_25lookback_scan_determinismE0ELb1ELb1ES3_N6thrust23THRUST_200600_302600_NS6detail15normal_iteratorINS9_10device_ptrIxEEEESE_xNS9_4plusIvEExEEDaPvRmT3_T4_T5_mT6_P12ihipStream_tbENKUlT_T0_E_clISt17integral_constantIbLb0EESU_EEDaSP_SQ_EUlSP_E0_NS1_11comp_targetILNS1_3genE0ELNS1_11target_archE4294967295ELNS1_3gpuE0ELNS1_3repE0EEENS1_30default_config_static_selectorELNS0_4arch9wavefront6targetE1EEEvT1_
    .private_segment_fixed_size: 0
    .sgpr_count:     4
    .sgpr_spill_count: 0
    .symbol:         _ZN7rocprim17ROCPRIM_400000_NS6detail17trampoline_kernelINS0_14default_configENS1_20scan_config_selectorIxEEZZNS1_9scan_implILNS1_25lookback_scan_determinismE0ELb1ELb1ES3_N6thrust23THRUST_200600_302600_NS6detail15normal_iteratorINS9_10device_ptrIxEEEESE_xNS9_4plusIvEExEEDaPvRmT3_T4_T5_mT6_P12ihipStream_tbENKUlT_T0_E_clISt17integral_constantIbLb0EESU_EEDaSP_SQ_EUlSP_E0_NS1_11comp_targetILNS1_3genE0ELNS1_11target_archE4294967295ELNS1_3gpuE0ELNS1_3repE0EEENS1_30default_config_static_selectorELNS0_4arch9wavefront6targetE1EEEvT1_.kd
    .uniform_work_group_size: 1
    .uses_dynamic_stack: false
    .vgpr_count:     0
    .vgpr_spill_count: 0
    .wavefront_size: 64
  - .agpr_count:     0
    .args:
      - .offset:         0
        .size:           40
        .value_kind:     by_value
    .group_segment_fixed_size: 0
    .kernarg_segment_align: 8
    .kernarg_segment_size: 40
    .language:       OpenCL C
    .language_version:
      - 2
      - 0
    .max_flat_workgroup_size: 256
    .name:           _ZN7rocprim17ROCPRIM_400000_NS6detail17trampoline_kernelINS0_14default_configENS1_20scan_config_selectorIxEEZZNS1_9scan_implILNS1_25lookback_scan_determinismE0ELb1ELb1ES3_N6thrust23THRUST_200600_302600_NS6detail15normal_iteratorINS9_10device_ptrIxEEEESE_xNS9_4plusIvEExEEDaPvRmT3_T4_T5_mT6_P12ihipStream_tbENKUlT_T0_E_clISt17integral_constantIbLb0EESU_EEDaSP_SQ_EUlSP_E0_NS1_11comp_targetILNS1_3genE5ELNS1_11target_archE942ELNS1_3gpuE9ELNS1_3repE0EEENS1_30default_config_static_selectorELNS0_4arch9wavefront6targetE1EEEvT1_
    .private_segment_fixed_size: 0
    .sgpr_count:     4
    .sgpr_spill_count: 0
    .symbol:         _ZN7rocprim17ROCPRIM_400000_NS6detail17trampoline_kernelINS0_14default_configENS1_20scan_config_selectorIxEEZZNS1_9scan_implILNS1_25lookback_scan_determinismE0ELb1ELb1ES3_N6thrust23THRUST_200600_302600_NS6detail15normal_iteratorINS9_10device_ptrIxEEEESE_xNS9_4plusIvEExEEDaPvRmT3_T4_T5_mT6_P12ihipStream_tbENKUlT_T0_E_clISt17integral_constantIbLb0EESU_EEDaSP_SQ_EUlSP_E0_NS1_11comp_targetILNS1_3genE5ELNS1_11target_archE942ELNS1_3gpuE9ELNS1_3repE0EEENS1_30default_config_static_selectorELNS0_4arch9wavefront6targetE1EEEvT1_.kd
    .uniform_work_group_size: 1
    .uses_dynamic_stack: false
    .vgpr_count:     0
    .vgpr_spill_count: 0
    .wavefront_size: 64
  - .agpr_count:     0
    .args:
      - .offset:         0
        .size:           40
        .value_kind:     by_value
    .group_segment_fixed_size: 7168
    .kernarg_segment_align: 8
    .kernarg_segment_size: 40
    .language:       OpenCL C
    .language_version:
      - 2
      - 0
    .max_flat_workgroup_size: 128
    .name:           _ZN7rocprim17ROCPRIM_400000_NS6detail17trampoline_kernelINS0_14default_configENS1_20scan_config_selectorIxEEZZNS1_9scan_implILNS1_25lookback_scan_determinismE0ELb1ELb1ES3_N6thrust23THRUST_200600_302600_NS6detail15normal_iteratorINS9_10device_ptrIxEEEESE_xNS9_4plusIvEExEEDaPvRmT3_T4_T5_mT6_P12ihipStream_tbENKUlT_T0_E_clISt17integral_constantIbLb0EESU_EEDaSP_SQ_EUlSP_E0_NS1_11comp_targetILNS1_3genE4ELNS1_11target_archE910ELNS1_3gpuE8ELNS1_3repE0EEENS1_30default_config_static_selectorELNS0_4arch9wavefront6targetE1EEEvT1_
    .private_segment_fixed_size: 0
    .sgpr_count:     28
    .sgpr_spill_count: 0
    .symbol:         _ZN7rocprim17ROCPRIM_400000_NS6detail17trampoline_kernelINS0_14default_configENS1_20scan_config_selectorIxEEZZNS1_9scan_implILNS1_25lookback_scan_determinismE0ELb1ELb1ES3_N6thrust23THRUST_200600_302600_NS6detail15normal_iteratorINS9_10device_ptrIxEEEESE_xNS9_4plusIvEExEEDaPvRmT3_T4_T5_mT6_P12ihipStream_tbENKUlT_T0_E_clISt17integral_constantIbLb0EESU_EEDaSP_SQ_EUlSP_E0_NS1_11comp_targetILNS1_3genE4ELNS1_11target_archE910ELNS1_3gpuE8ELNS1_3repE0EEENS1_30default_config_static_selectorELNS0_4arch9wavefront6targetE1EEEvT1_.kd
    .uniform_work_group_size: 1
    .uses_dynamic_stack: false
    .vgpr_count:     29
    .vgpr_spill_count: 0
    .wavefront_size: 64
  - .agpr_count:     0
    .args:
      - .offset:         0
        .size:           40
        .value_kind:     by_value
    .group_segment_fixed_size: 0
    .kernarg_segment_align: 8
    .kernarg_segment_size: 40
    .language:       OpenCL C
    .language_version:
      - 2
      - 0
    .max_flat_workgroup_size: 256
    .name:           _ZN7rocprim17ROCPRIM_400000_NS6detail17trampoline_kernelINS0_14default_configENS1_20scan_config_selectorIxEEZZNS1_9scan_implILNS1_25lookback_scan_determinismE0ELb1ELb1ES3_N6thrust23THRUST_200600_302600_NS6detail15normal_iteratorINS9_10device_ptrIxEEEESE_xNS9_4plusIvEExEEDaPvRmT3_T4_T5_mT6_P12ihipStream_tbENKUlT_T0_E_clISt17integral_constantIbLb0EESU_EEDaSP_SQ_EUlSP_E0_NS1_11comp_targetILNS1_3genE3ELNS1_11target_archE908ELNS1_3gpuE7ELNS1_3repE0EEENS1_30default_config_static_selectorELNS0_4arch9wavefront6targetE1EEEvT1_
    .private_segment_fixed_size: 0
    .sgpr_count:     4
    .sgpr_spill_count: 0
    .symbol:         _ZN7rocprim17ROCPRIM_400000_NS6detail17trampoline_kernelINS0_14default_configENS1_20scan_config_selectorIxEEZZNS1_9scan_implILNS1_25lookback_scan_determinismE0ELb1ELb1ES3_N6thrust23THRUST_200600_302600_NS6detail15normal_iteratorINS9_10device_ptrIxEEEESE_xNS9_4plusIvEExEEDaPvRmT3_T4_T5_mT6_P12ihipStream_tbENKUlT_T0_E_clISt17integral_constantIbLb0EESU_EEDaSP_SQ_EUlSP_E0_NS1_11comp_targetILNS1_3genE3ELNS1_11target_archE908ELNS1_3gpuE7ELNS1_3repE0EEENS1_30default_config_static_selectorELNS0_4arch9wavefront6targetE1EEEvT1_.kd
    .uniform_work_group_size: 1
    .uses_dynamic_stack: false
    .vgpr_count:     0
    .vgpr_spill_count: 0
    .wavefront_size: 64
  - .agpr_count:     0
    .args:
      - .offset:         0
        .size:           40
        .value_kind:     by_value
    .group_segment_fixed_size: 0
    .kernarg_segment_align: 8
    .kernarg_segment_size: 40
    .language:       OpenCL C
    .language_version:
      - 2
      - 0
    .max_flat_workgroup_size: 64
    .name:           _ZN7rocprim17ROCPRIM_400000_NS6detail17trampoline_kernelINS0_14default_configENS1_20scan_config_selectorIxEEZZNS1_9scan_implILNS1_25lookback_scan_determinismE0ELb1ELb1ES3_N6thrust23THRUST_200600_302600_NS6detail15normal_iteratorINS9_10device_ptrIxEEEESE_xNS9_4plusIvEExEEDaPvRmT3_T4_T5_mT6_P12ihipStream_tbENKUlT_T0_E_clISt17integral_constantIbLb0EESU_EEDaSP_SQ_EUlSP_E0_NS1_11comp_targetILNS1_3genE2ELNS1_11target_archE906ELNS1_3gpuE6ELNS1_3repE0EEENS1_30default_config_static_selectorELNS0_4arch9wavefront6targetE1EEEvT1_
    .private_segment_fixed_size: 0
    .sgpr_count:     4
    .sgpr_spill_count: 0
    .symbol:         _ZN7rocprim17ROCPRIM_400000_NS6detail17trampoline_kernelINS0_14default_configENS1_20scan_config_selectorIxEEZZNS1_9scan_implILNS1_25lookback_scan_determinismE0ELb1ELb1ES3_N6thrust23THRUST_200600_302600_NS6detail15normal_iteratorINS9_10device_ptrIxEEEESE_xNS9_4plusIvEExEEDaPvRmT3_T4_T5_mT6_P12ihipStream_tbENKUlT_T0_E_clISt17integral_constantIbLb0EESU_EEDaSP_SQ_EUlSP_E0_NS1_11comp_targetILNS1_3genE2ELNS1_11target_archE906ELNS1_3gpuE6ELNS1_3repE0EEENS1_30default_config_static_selectorELNS0_4arch9wavefront6targetE1EEEvT1_.kd
    .uniform_work_group_size: 1
    .uses_dynamic_stack: false
    .vgpr_count:     0
    .vgpr_spill_count: 0
    .wavefront_size: 64
  - .agpr_count:     0
    .args:
      - .offset:         0
        .size:           40
        .value_kind:     by_value
    .group_segment_fixed_size: 0
    .kernarg_segment_align: 8
    .kernarg_segment_size: 40
    .language:       OpenCL C
    .language_version:
      - 2
      - 0
    .max_flat_workgroup_size: 256
    .name:           _ZN7rocprim17ROCPRIM_400000_NS6detail17trampoline_kernelINS0_14default_configENS1_20scan_config_selectorIxEEZZNS1_9scan_implILNS1_25lookback_scan_determinismE0ELb1ELb1ES3_N6thrust23THRUST_200600_302600_NS6detail15normal_iteratorINS9_10device_ptrIxEEEESE_xNS9_4plusIvEExEEDaPvRmT3_T4_T5_mT6_P12ihipStream_tbENKUlT_T0_E_clISt17integral_constantIbLb0EESU_EEDaSP_SQ_EUlSP_E0_NS1_11comp_targetILNS1_3genE10ELNS1_11target_archE1201ELNS1_3gpuE5ELNS1_3repE0EEENS1_30default_config_static_selectorELNS0_4arch9wavefront6targetE1EEEvT1_
    .private_segment_fixed_size: 0
    .sgpr_count:     4
    .sgpr_spill_count: 0
    .symbol:         _ZN7rocprim17ROCPRIM_400000_NS6detail17trampoline_kernelINS0_14default_configENS1_20scan_config_selectorIxEEZZNS1_9scan_implILNS1_25lookback_scan_determinismE0ELb1ELb1ES3_N6thrust23THRUST_200600_302600_NS6detail15normal_iteratorINS9_10device_ptrIxEEEESE_xNS9_4plusIvEExEEDaPvRmT3_T4_T5_mT6_P12ihipStream_tbENKUlT_T0_E_clISt17integral_constantIbLb0EESU_EEDaSP_SQ_EUlSP_E0_NS1_11comp_targetILNS1_3genE10ELNS1_11target_archE1201ELNS1_3gpuE5ELNS1_3repE0EEENS1_30default_config_static_selectorELNS0_4arch9wavefront6targetE1EEEvT1_.kd
    .uniform_work_group_size: 1
    .uses_dynamic_stack: false
    .vgpr_count:     0
    .vgpr_spill_count: 0
    .wavefront_size: 64
  - .agpr_count:     0
    .args:
      - .offset:         0
        .size:           40
        .value_kind:     by_value
    .group_segment_fixed_size: 0
    .kernarg_segment_align: 8
    .kernarg_segment_size: 40
    .language:       OpenCL C
    .language_version:
      - 2
      - 0
    .max_flat_workgroup_size: 256
    .name:           _ZN7rocprim17ROCPRIM_400000_NS6detail17trampoline_kernelINS0_14default_configENS1_20scan_config_selectorIxEEZZNS1_9scan_implILNS1_25lookback_scan_determinismE0ELb1ELb1ES3_N6thrust23THRUST_200600_302600_NS6detail15normal_iteratorINS9_10device_ptrIxEEEESE_xNS9_4plusIvEExEEDaPvRmT3_T4_T5_mT6_P12ihipStream_tbENKUlT_T0_E_clISt17integral_constantIbLb0EESU_EEDaSP_SQ_EUlSP_E0_NS1_11comp_targetILNS1_3genE10ELNS1_11target_archE1200ELNS1_3gpuE4ELNS1_3repE0EEENS1_30default_config_static_selectorELNS0_4arch9wavefront6targetE1EEEvT1_
    .private_segment_fixed_size: 0
    .sgpr_count:     4
    .sgpr_spill_count: 0
    .symbol:         _ZN7rocprim17ROCPRIM_400000_NS6detail17trampoline_kernelINS0_14default_configENS1_20scan_config_selectorIxEEZZNS1_9scan_implILNS1_25lookback_scan_determinismE0ELb1ELb1ES3_N6thrust23THRUST_200600_302600_NS6detail15normal_iteratorINS9_10device_ptrIxEEEESE_xNS9_4plusIvEExEEDaPvRmT3_T4_T5_mT6_P12ihipStream_tbENKUlT_T0_E_clISt17integral_constantIbLb0EESU_EEDaSP_SQ_EUlSP_E0_NS1_11comp_targetILNS1_3genE10ELNS1_11target_archE1200ELNS1_3gpuE4ELNS1_3repE0EEENS1_30default_config_static_selectorELNS0_4arch9wavefront6targetE1EEEvT1_.kd
    .uniform_work_group_size: 1
    .uses_dynamic_stack: false
    .vgpr_count:     0
    .vgpr_spill_count: 0
    .wavefront_size: 64
  - .agpr_count:     0
    .args:
      - .offset:         0
        .size:           40
        .value_kind:     by_value
    .group_segment_fixed_size: 0
    .kernarg_segment_align: 8
    .kernarg_segment_size: 40
    .language:       OpenCL C
    .language_version:
      - 2
      - 0
    .max_flat_workgroup_size: 256
    .name:           _ZN7rocprim17ROCPRIM_400000_NS6detail17trampoline_kernelINS0_14default_configENS1_20scan_config_selectorIxEEZZNS1_9scan_implILNS1_25lookback_scan_determinismE0ELb1ELb1ES3_N6thrust23THRUST_200600_302600_NS6detail15normal_iteratorINS9_10device_ptrIxEEEESE_xNS9_4plusIvEExEEDaPvRmT3_T4_T5_mT6_P12ihipStream_tbENKUlT_T0_E_clISt17integral_constantIbLb0EESU_EEDaSP_SQ_EUlSP_E0_NS1_11comp_targetILNS1_3genE9ELNS1_11target_archE1100ELNS1_3gpuE3ELNS1_3repE0EEENS1_30default_config_static_selectorELNS0_4arch9wavefront6targetE1EEEvT1_
    .private_segment_fixed_size: 0
    .sgpr_count:     4
    .sgpr_spill_count: 0
    .symbol:         _ZN7rocprim17ROCPRIM_400000_NS6detail17trampoline_kernelINS0_14default_configENS1_20scan_config_selectorIxEEZZNS1_9scan_implILNS1_25lookback_scan_determinismE0ELb1ELb1ES3_N6thrust23THRUST_200600_302600_NS6detail15normal_iteratorINS9_10device_ptrIxEEEESE_xNS9_4plusIvEExEEDaPvRmT3_T4_T5_mT6_P12ihipStream_tbENKUlT_T0_E_clISt17integral_constantIbLb0EESU_EEDaSP_SQ_EUlSP_E0_NS1_11comp_targetILNS1_3genE9ELNS1_11target_archE1100ELNS1_3gpuE3ELNS1_3repE0EEENS1_30default_config_static_selectorELNS0_4arch9wavefront6targetE1EEEvT1_.kd
    .uniform_work_group_size: 1
    .uses_dynamic_stack: false
    .vgpr_count:     0
    .vgpr_spill_count: 0
    .wavefront_size: 64
  - .agpr_count:     0
    .args:
      - .offset:         0
        .size:           40
        .value_kind:     by_value
    .group_segment_fixed_size: 0
    .kernarg_segment_align: 8
    .kernarg_segment_size: 40
    .language:       OpenCL C
    .language_version:
      - 2
      - 0
    .max_flat_workgroup_size: 256
    .name:           _ZN7rocprim17ROCPRIM_400000_NS6detail17trampoline_kernelINS0_14default_configENS1_20scan_config_selectorIxEEZZNS1_9scan_implILNS1_25lookback_scan_determinismE0ELb1ELb1ES3_N6thrust23THRUST_200600_302600_NS6detail15normal_iteratorINS9_10device_ptrIxEEEESE_xNS9_4plusIvEExEEDaPvRmT3_T4_T5_mT6_P12ihipStream_tbENKUlT_T0_E_clISt17integral_constantIbLb0EESU_EEDaSP_SQ_EUlSP_E0_NS1_11comp_targetILNS1_3genE8ELNS1_11target_archE1030ELNS1_3gpuE2ELNS1_3repE0EEENS1_30default_config_static_selectorELNS0_4arch9wavefront6targetE1EEEvT1_
    .private_segment_fixed_size: 0
    .sgpr_count:     4
    .sgpr_spill_count: 0
    .symbol:         _ZN7rocprim17ROCPRIM_400000_NS6detail17trampoline_kernelINS0_14default_configENS1_20scan_config_selectorIxEEZZNS1_9scan_implILNS1_25lookback_scan_determinismE0ELb1ELb1ES3_N6thrust23THRUST_200600_302600_NS6detail15normal_iteratorINS9_10device_ptrIxEEEESE_xNS9_4plusIvEExEEDaPvRmT3_T4_T5_mT6_P12ihipStream_tbENKUlT_T0_E_clISt17integral_constantIbLb0EESU_EEDaSP_SQ_EUlSP_E0_NS1_11comp_targetILNS1_3genE8ELNS1_11target_archE1030ELNS1_3gpuE2ELNS1_3repE0EEENS1_30default_config_static_selectorELNS0_4arch9wavefront6targetE1EEEvT1_.kd
    .uniform_work_group_size: 1
    .uses_dynamic_stack: false
    .vgpr_count:     0
    .vgpr_spill_count: 0
    .wavefront_size: 64
  - .agpr_count:     0
    .args:
      - .offset:         0
        .size:           104
        .value_kind:     by_value
    .group_segment_fixed_size: 0
    .kernarg_segment_align: 8
    .kernarg_segment_size: 104
    .language:       OpenCL C
    .language_version:
      - 2
      - 0
    .max_flat_workgroup_size: 256
    .name:           _ZN7rocprim17ROCPRIM_400000_NS6detail17trampoline_kernelINS0_14default_configENS1_20scan_config_selectorIxEEZZNS1_9scan_implILNS1_25lookback_scan_determinismE0ELb1ELb1ES3_N6thrust23THRUST_200600_302600_NS6detail15normal_iteratorINS9_10device_ptrIxEEEESE_xNS9_4plusIvEExEEDaPvRmT3_T4_T5_mT6_P12ihipStream_tbENKUlT_T0_E_clISt17integral_constantIbLb1EESU_EEDaSP_SQ_EUlSP_E_NS1_11comp_targetILNS1_3genE0ELNS1_11target_archE4294967295ELNS1_3gpuE0ELNS1_3repE0EEENS1_30default_config_static_selectorELNS0_4arch9wavefront6targetE1EEEvT1_
    .private_segment_fixed_size: 0
    .sgpr_count:     4
    .sgpr_spill_count: 0
    .symbol:         _ZN7rocprim17ROCPRIM_400000_NS6detail17trampoline_kernelINS0_14default_configENS1_20scan_config_selectorIxEEZZNS1_9scan_implILNS1_25lookback_scan_determinismE0ELb1ELb1ES3_N6thrust23THRUST_200600_302600_NS6detail15normal_iteratorINS9_10device_ptrIxEEEESE_xNS9_4plusIvEExEEDaPvRmT3_T4_T5_mT6_P12ihipStream_tbENKUlT_T0_E_clISt17integral_constantIbLb1EESU_EEDaSP_SQ_EUlSP_E_NS1_11comp_targetILNS1_3genE0ELNS1_11target_archE4294967295ELNS1_3gpuE0ELNS1_3repE0EEENS1_30default_config_static_selectorELNS0_4arch9wavefront6targetE1EEEvT1_.kd
    .uniform_work_group_size: 1
    .uses_dynamic_stack: false
    .vgpr_count:     0
    .vgpr_spill_count: 0
    .wavefront_size: 64
  - .agpr_count:     0
    .args:
      - .offset:         0
        .size:           104
        .value_kind:     by_value
    .group_segment_fixed_size: 0
    .kernarg_segment_align: 8
    .kernarg_segment_size: 104
    .language:       OpenCL C
    .language_version:
      - 2
      - 0
    .max_flat_workgroup_size: 256
    .name:           _ZN7rocprim17ROCPRIM_400000_NS6detail17trampoline_kernelINS0_14default_configENS1_20scan_config_selectorIxEEZZNS1_9scan_implILNS1_25lookback_scan_determinismE0ELb1ELb1ES3_N6thrust23THRUST_200600_302600_NS6detail15normal_iteratorINS9_10device_ptrIxEEEESE_xNS9_4plusIvEExEEDaPvRmT3_T4_T5_mT6_P12ihipStream_tbENKUlT_T0_E_clISt17integral_constantIbLb1EESU_EEDaSP_SQ_EUlSP_E_NS1_11comp_targetILNS1_3genE5ELNS1_11target_archE942ELNS1_3gpuE9ELNS1_3repE0EEENS1_30default_config_static_selectorELNS0_4arch9wavefront6targetE1EEEvT1_
    .private_segment_fixed_size: 0
    .sgpr_count:     4
    .sgpr_spill_count: 0
    .symbol:         _ZN7rocprim17ROCPRIM_400000_NS6detail17trampoline_kernelINS0_14default_configENS1_20scan_config_selectorIxEEZZNS1_9scan_implILNS1_25lookback_scan_determinismE0ELb1ELb1ES3_N6thrust23THRUST_200600_302600_NS6detail15normal_iteratorINS9_10device_ptrIxEEEESE_xNS9_4plusIvEExEEDaPvRmT3_T4_T5_mT6_P12ihipStream_tbENKUlT_T0_E_clISt17integral_constantIbLb1EESU_EEDaSP_SQ_EUlSP_E_NS1_11comp_targetILNS1_3genE5ELNS1_11target_archE942ELNS1_3gpuE9ELNS1_3repE0EEENS1_30default_config_static_selectorELNS0_4arch9wavefront6targetE1EEEvT1_.kd
    .uniform_work_group_size: 1
    .uses_dynamic_stack: false
    .vgpr_count:     0
    .vgpr_spill_count: 0
    .wavefront_size: 64
  - .agpr_count:     0
    .args:
      - .offset:         0
        .size:           104
        .value_kind:     by_value
    .group_segment_fixed_size: 7168
    .kernarg_segment_align: 8
    .kernarg_segment_size: 104
    .language:       OpenCL C
    .language_version:
      - 2
      - 0
    .max_flat_workgroup_size: 128
    .name:           _ZN7rocprim17ROCPRIM_400000_NS6detail17trampoline_kernelINS0_14default_configENS1_20scan_config_selectorIxEEZZNS1_9scan_implILNS1_25lookback_scan_determinismE0ELb1ELb1ES3_N6thrust23THRUST_200600_302600_NS6detail15normal_iteratorINS9_10device_ptrIxEEEESE_xNS9_4plusIvEExEEDaPvRmT3_T4_T5_mT6_P12ihipStream_tbENKUlT_T0_E_clISt17integral_constantIbLb1EESU_EEDaSP_SQ_EUlSP_E_NS1_11comp_targetILNS1_3genE4ELNS1_11target_archE910ELNS1_3gpuE8ELNS1_3repE0EEENS1_30default_config_static_selectorELNS0_4arch9wavefront6targetE1EEEvT1_
    .private_segment_fixed_size: 0
    .sgpr_count:     46
    .sgpr_spill_count: 0
    .symbol:         _ZN7rocprim17ROCPRIM_400000_NS6detail17trampoline_kernelINS0_14default_configENS1_20scan_config_selectorIxEEZZNS1_9scan_implILNS1_25lookback_scan_determinismE0ELb1ELb1ES3_N6thrust23THRUST_200600_302600_NS6detail15normal_iteratorINS9_10device_ptrIxEEEESE_xNS9_4plusIvEExEEDaPvRmT3_T4_T5_mT6_P12ihipStream_tbENKUlT_T0_E_clISt17integral_constantIbLb1EESU_EEDaSP_SQ_EUlSP_E_NS1_11comp_targetILNS1_3genE4ELNS1_11target_archE910ELNS1_3gpuE8ELNS1_3repE0EEENS1_30default_config_static_selectorELNS0_4arch9wavefront6targetE1EEEvT1_.kd
    .uniform_work_group_size: 1
    .uses_dynamic_stack: false
    .vgpr_count:     51
    .vgpr_spill_count: 0
    .wavefront_size: 64
  - .agpr_count:     0
    .args:
      - .offset:         0
        .size:           104
        .value_kind:     by_value
    .group_segment_fixed_size: 0
    .kernarg_segment_align: 8
    .kernarg_segment_size: 104
    .language:       OpenCL C
    .language_version:
      - 2
      - 0
    .max_flat_workgroup_size: 256
    .name:           _ZN7rocprim17ROCPRIM_400000_NS6detail17trampoline_kernelINS0_14default_configENS1_20scan_config_selectorIxEEZZNS1_9scan_implILNS1_25lookback_scan_determinismE0ELb1ELb1ES3_N6thrust23THRUST_200600_302600_NS6detail15normal_iteratorINS9_10device_ptrIxEEEESE_xNS9_4plusIvEExEEDaPvRmT3_T4_T5_mT6_P12ihipStream_tbENKUlT_T0_E_clISt17integral_constantIbLb1EESU_EEDaSP_SQ_EUlSP_E_NS1_11comp_targetILNS1_3genE3ELNS1_11target_archE908ELNS1_3gpuE7ELNS1_3repE0EEENS1_30default_config_static_selectorELNS0_4arch9wavefront6targetE1EEEvT1_
    .private_segment_fixed_size: 0
    .sgpr_count:     4
    .sgpr_spill_count: 0
    .symbol:         _ZN7rocprim17ROCPRIM_400000_NS6detail17trampoline_kernelINS0_14default_configENS1_20scan_config_selectorIxEEZZNS1_9scan_implILNS1_25lookback_scan_determinismE0ELb1ELb1ES3_N6thrust23THRUST_200600_302600_NS6detail15normal_iteratorINS9_10device_ptrIxEEEESE_xNS9_4plusIvEExEEDaPvRmT3_T4_T5_mT6_P12ihipStream_tbENKUlT_T0_E_clISt17integral_constantIbLb1EESU_EEDaSP_SQ_EUlSP_E_NS1_11comp_targetILNS1_3genE3ELNS1_11target_archE908ELNS1_3gpuE7ELNS1_3repE0EEENS1_30default_config_static_selectorELNS0_4arch9wavefront6targetE1EEEvT1_.kd
    .uniform_work_group_size: 1
    .uses_dynamic_stack: false
    .vgpr_count:     0
    .vgpr_spill_count: 0
    .wavefront_size: 64
  - .agpr_count:     0
    .args:
      - .offset:         0
        .size:           104
        .value_kind:     by_value
    .group_segment_fixed_size: 0
    .kernarg_segment_align: 8
    .kernarg_segment_size: 104
    .language:       OpenCL C
    .language_version:
      - 2
      - 0
    .max_flat_workgroup_size: 64
    .name:           _ZN7rocprim17ROCPRIM_400000_NS6detail17trampoline_kernelINS0_14default_configENS1_20scan_config_selectorIxEEZZNS1_9scan_implILNS1_25lookback_scan_determinismE0ELb1ELb1ES3_N6thrust23THRUST_200600_302600_NS6detail15normal_iteratorINS9_10device_ptrIxEEEESE_xNS9_4plusIvEExEEDaPvRmT3_T4_T5_mT6_P12ihipStream_tbENKUlT_T0_E_clISt17integral_constantIbLb1EESU_EEDaSP_SQ_EUlSP_E_NS1_11comp_targetILNS1_3genE2ELNS1_11target_archE906ELNS1_3gpuE6ELNS1_3repE0EEENS1_30default_config_static_selectorELNS0_4arch9wavefront6targetE1EEEvT1_
    .private_segment_fixed_size: 0
    .sgpr_count:     4
    .sgpr_spill_count: 0
    .symbol:         _ZN7rocprim17ROCPRIM_400000_NS6detail17trampoline_kernelINS0_14default_configENS1_20scan_config_selectorIxEEZZNS1_9scan_implILNS1_25lookback_scan_determinismE0ELb1ELb1ES3_N6thrust23THRUST_200600_302600_NS6detail15normal_iteratorINS9_10device_ptrIxEEEESE_xNS9_4plusIvEExEEDaPvRmT3_T4_T5_mT6_P12ihipStream_tbENKUlT_T0_E_clISt17integral_constantIbLb1EESU_EEDaSP_SQ_EUlSP_E_NS1_11comp_targetILNS1_3genE2ELNS1_11target_archE906ELNS1_3gpuE6ELNS1_3repE0EEENS1_30default_config_static_selectorELNS0_4arch9wavefront6targetE1EEEvT1_.kd
    .uniform_work_group_size: 1
    .uses_dynamic_stack: false
    .vgpr_count:     0
    .vgpr_spill_count: 0
    .wavefront_size: 64
  - .agpr_count:     0
    .args:
      - .offset:         0
        .size:           104
        .value_kind:     by_value
    .group_segment_fixed_size: 0
    .kernarg_segment_align: 8
    .kernarg_segment_size: 104
    .language:       OpenCL C
    .language_version:
      - 2
      - 0
    .max_flat_workgroup_size: 256
    .name:           _ZN7rocprim17ROCPRIM_400000_NS6detail17trampoline_kernelINS0_14default_configENS1_20scan_config_selectorIxEEZZNS1_9scan_implILNS1_25lookback_scan_determinismE0ELb1ELb1ES3_N6thrust23THRUST_200600_302600_NS6detail15normal_iteratorINS9_10device_ptrIxEEEESE_xNS9_4plusIvEExEEDaPvRmT3_T4_T5_mT6_P12ihipStream_tbENKUlT_T0_E_clISt17integral_constantIbLb1EESU_EEDaSP_SQ_EUlSP_E_NS1_11comp_targetILNS1_3genE10ELNS1_11target_archE1201ELNS1_3gpuE5ELNS1_3repE0EEENS1_30default_config_static_selectorELNS0_4arch9wavefront6targetE1EEEvT1_
    .private_segment_fixed_size: 0
    .sgpr_count:     4
    .sgpr_spill_count: 0
    .symbol:         _ZN7rocprim17ROCPRIM_400000_NS6detail17trampoline_kernelINS0_14default_configENS1_20scan_config_selectorIxEEZZNS1_9scan_implILNS1_25lookback_scan_determinismE0ELb1ELb1ES3_N6thrust23THRUST_200600_302600_NS6detail15normal_iteratorINS9_10device_ptrIxEEEESE_xNS9_4plusIvEExEEDaPvRmT3_T4_T5_mT6_P12ihipStream_tbENKUlT_T0_E_clISt17integral_constantIbLb1EESU_EEDaSP_SQ_EUlSP_E_NS1_11comp_targetILNS1_3genE10ELNS1_11target_archE1201ELNS1_3gpuE5ELNS1_3repE0EEENS1_30default_config_static_selectorELNS0_4arch9wavefront6targetE1EEEvT1_.kd
    .uniform_work_group_size: 1
    .uses_dynamic_stack: false
    .vgpr_count:     0
    .vgpr_spill_count: 0
    .wavefront_size: 64
  - .agpr_count:     0
    .args:
      - .offset:         0
        .size:           104
        .value_kind:     by_value
    .group_segment_fixed_size: 0
    .kernarg_segment_align: 8
    .kernarg_segment_size: 104
    .language:       OpenCL C
    .language_version:
      - 2
      - 0
    .max_flat_workgroup_size: 256
    .name:           _ZN7rocprim17ROCPRIM_400000_NS6detail17trampoline_kernelINS0_14default_configENS1_20scan_config_selectorIxEEZZNS1_9scan_implILNS1_25lookback_scan_determinismE0ELb1ELb1ES3_N6thrust23THRUST_200600_302600_NS6detail15normal_iteratorINS9_10device_ptrIxEEEESE_xNS9_4plusIvEExEEDaPvRmT3_T4_T5_mT6_P12ihipStream_tbENKUlT_T0_E_clISt17integral_constantIbLb1EESU_EEDaSP_SQ_EUlSP_E_NS1_11comp_targetILNS1_3genE10ELNS1_11target_archE1200ELNS1_3gpuE4ELNS1_3repE0EEENS1_30default_config_static_selectorELNS0_4arch9wavefront6targetE1EEEvT1_
    .private_segment_fixed_size: 0
    .sgpr_count:     4
    .sgpr_spill_count: 0
    .symbol:         _ZN7rocprim17ROCPRIM_400000_NS6detail17trampoline_kernelINS0_14default_configENS1_20scan_config_selectorIxEEZZNS1_9scan_implILNS1_25lookback_scan_determinismE0ELb1ELb1ES3_N6thrust23THRUST_200600_302600_NS6detail15normal_iteratorINS9_10device_ptrIxEEEESE_xNS9_4plusIvEExEEDaPvRmT3_T4_T5_mT6_P12ihipStream_tbENKUlT_T0_E_clISt17integral_constantIbLb1EESU_EEDaSP_SQ_EUlSP_E_NS1_11comp_targetILNS1_3genE10ELNS1_11target_archE1200ELNS1_3gpuE4ELNS1_3repE0EEENS1_30default_config_static_selectorELNS0_4arch9wavefront6targetE1EEEvT1_.kd
    .uniform_work_group_size: 1
    .uses_dynamic_stack: false
    .vgpr_count:     0
    .vgpr_spill_count: 0
    .wavefront_size: 64
  - .agpr_count:     0
    .args:
      - .offset:         0
        .size:           104
        .value_kind:     by_value
    .group_segment_fixed_size: 0
    .kernarg_segment_align: 8
    .kernarg_segment_size: 104
    .language:       OpenCL C
    .language_version:
      - 2
      - 0
    .max_flat_workgroup_size: 256
    .name:           _ZN7rocprim17ROCPRIM_400000_NS6detail17trampoline_kernelINS0_14default_configENS1_20scan_config_selectorIxEEZZNS1_9scan_implILNS1_25lookback_scan_determinismE0ELb1ELb1ES3_N6thrust23THRUST_200600_302600_NS6detail15normal_iteratorINS9_10device_ptrIxEEEESE_xNS9_4plusIvEExEEDaPvRmT3_T4_T5_mT6_P12ihipStream_tbENKUlT_T0_E_clISt17integral_constantIbLb1EESU_EEDaSP_SQ_EUlSP_E_NS1_11comp_targetILNS1_3genE9ELNS1_11target_archE1100ELNS1_3gpuE3ELNS1_3repE0EEENS1_30default_config_static_selectorELNS0_4arch9wavefront6targetE1EEEvT1_
    .private_segment_fixed_size: 0
    .sgpr_count:     4
    .sgpr_spill_count: 0
    .symbol:         _ZN7rocprim17ROCPRIM_400000_NS6detail17trampoline_kernelINS0_14default_configENS1_20scan_config_selectorIxEEZZNS1_9scan_implILNS1_25lookback_scan_determinismE0ELb1ELb1ES3_N6thrust23THRUST_200600_302600_NS6detail15normal_iteratorINS9_10device_ptrIxEEEESE_xNS9_4plusIvEExEEDaPvRmT3_T4_T5_mT6_P12ihipStream_tbENKUlT_T0_E_clISt17integral_constantIbLb1EESU_EEDaSP_SQ_EUlSP_E_NS1_11comp_targetILNS1_3genE9ELNS1_11target_archE1100ELNS1_3gpuE3ELNS1_3repE0EEENS1_30default_config_static_selectorELNS0_4arch9wavefront6targetE1EEEvT1_.kd
    .uniform_work_group_size: 1
    .uses_dynamic_stack: false
    .vgpr_count:     0
    .vgpr_spill_count: 0
    .wavefront_size: 64
  - .agpr_count:     0
    .args:
      - .offset:         0
        .size:           104
        .value_kind:     by_value
    .group_segment_fixed_size: 0
    .kernarg_segment_align: 8
    .kernarg_segment_size: 104
    .language:       OpenCL C
    .language_version:
      - 2
      - 0
    .max_flat_workgroup_size: 256
    .name:           _ZN7rocprim17ROCPRIM_400000_NS6detail17trampoline_kernelINS0_14default_configENS1_20scan_config_selectorIxEEZZNS1_9scan_implILNS1_25lookback_scan_determinismE0ELb1ELb1ES3_N6thrust23THRUST_200600_302600_NS6detail15normal_iteratorINS9_10device_ptrIxEEEESE_xNS9_4plusIvEExEEDaPvRmT3_T4_T5_mT6_P12ihipStream_tbENKUlT_T0_E_clISt17integral_constantIbLb1EESU_EEDaSP_SQ_EUlSP_E_NS1_11comp_targetILNS1_3genE8ELNS1_11target_archE1030ELNS1_3gpuE2ELNS1_3repE0EEENS1_30default_config_static_selectorELNS0_4arch9wavefront6targetE1EEEvT1_
    .private_segment_fixed_size: 0
    .sgpr_count:     4
    .sgpr_spill_count: 0
    .symbol:         _ZN7rocprim17ROCPRIM_400000_NS6detail17trampoline_kernelINS0_14default_configENS1_20scan_config_selectorIxEEZZNS1_9scan_implILNS1_25lookback_scan_determinismE0ELb1ELb1ES3_N6thrust23THRUST_200600_302600_NS6detail15normal_iteratorINS9_10device_ptrIxEEEESE_xNS9_4plusIvEExEEDaPvRmT3_T4_T5_mT6_P12ihipStream_tbENKUlT_T0_E_clISt17integral_constantIbLb1EESU_EEDaSP_SQ_EUlSP_E_NS1_11comp_targetILNS1_3genE8ELNS1_11target_archE1030ELNS1_3gpuE2ELNS1_3repE0EEENS1_30default_config_static_selectorELNS0_4arch9wavefront6targetE1EEEvT1_.kd
    .uniform_work_group_size: 1
    .uses_dynamic_stack: false
    .vgpr_count:     0
    .vgpr_spill_count: 0
    .wavefront_size: 64
  - .agpr_count:     0
    .args:
      - .offset:         0
        .size:           40
        .value_kind:     by_value
    .group_segment_fixed_size: 0
    .kernarg_segment_align: 8
    .kernarg_segment_size: 40
    .language:       OpenCL C
    .language_version:
      - 2
      - 0
    .max_flat_workgroup_size: 256
    .name:           _ZN7rocprim17ROCPRIM_400000_NS6detail17trampoline_kernelINS0_14default_configENS1_20scan_config_selectorIxEEZZNS1_9scan_implILNS1_25lookback_scan_determinismE0ELb1ELb1ES3_N6thrust23THRUST_200600_302600_NS6detail15normal_iteratorINS9_10device_ptrIxEEEESE_xNS9_4plusIvEExEEDaPvRmT3_T4_T5_mT6_P12ihipStream_tbENKUlT_T0_E_clISt17integral_constantIbLb1EESU_EEDaSP_SQ_EUlSP_E0_NS1_11comp_targetILNS1_3genE0ELNS1_11target_archE4294967295ELNS1_3gpuE0ELNS1_3repE0EEENS1_30default_config_static_selectorELNS0_4arch9wavefront6targetE1EEEvT1_
    .private_segment_fixed_size: 0
    .sgpr_count:     4
    .sgpr_spill_count: 0
    .symbol:         _ZN7rocprim17ROCPRIM_400000_NS6detail17trampoline_kernelINS0_14default_configENS1_20scan_config_selectorIxEEZZNS1_9scan_implILNS1_25lookback_scan_determinismE0ELb1ELb1ES3_N6thrust23THRUST_200600_302600_NS6detail15normal_iteratorINS9_10device_ptrIxEEEESE_xNS9_4plusIvEExEEDaPvRmT3_T4_T5_mT6_P12ihipStream_tbENKUlT_T0_E_clISt17integral_constantIbLb1EESU_EEDaSP_SQ_EUlSP_E0_NS1_11comp_targetILNS1_3genE0ELNS1_11target_archE4294967295ELNS1_3gpuE0ELNS1_3repE0EEENS1_30default_config_static_selectorELNS0_4arch9wavefront6targetE1EEEvT1_.kd
    .uniform_work_group_size: 1
    .uses_dynamic_stack: false
    .vgpr_count:     0
    .vgpr_spill_count: 0
    .wavefront_size: 64
  - .agpr_count:     0
    .args:
      - .offset:         0
        .size:           40
        .value_kind:     by_value
    .group_segment_fixed_size: 0
    .kernarg_segment_align: 8
    .kernarg_segment_size: 40
    .language:       OpenCL C
    .language_version:
      - 2
      - 0
    .max_flat_workgroup_size: 256
    .name:           _ZN7rocprim17ROCPRIM_400000_NS6detail17trampoline_kernelINS0_14default_configENS1_20scan_config_selectorIxEEZZNS1_9scan_implILNS1_25lookback_scan_determinismE0ELb1ELb1ES3_N6thrust23THRUST_200600_302600_NS6detail15normal_iteratorINS9_10device_ptrIxEEEESE_xNS9_4plusIvEExEEDaPvRmT3_T4_T5_mT6_P12ihipStream_tbENKUlT_T0_E_clISt17integral_constantIbLb1EESU_EEDaSP_SQ_EUlSP_E0_NS1_11comp_targetILNS1_3genE5ELNS1_11target_archE942ELNS1_3gpuE9ELNS1_3repE0EEENS1_30default_config_static_selectorELNS0_4arch9wavefront6targetE1EEEvT1_
    .private_segment_fixed_size: 0
    .sgpr_count:     4
    .sgpr_spill_count: 0
    .symbol:         _ZN7rocprim17ROCPRIM_400000_NS6detail17trampoline_kernelINS0_14default_configENS1_20scan_config_selectorIxEEZZNS1_9scan_implILNS1_25lookback_scan_determinismE0ELb1ELb1ES3_N6thrust23THRUST_200600_302600_NS6detail15normal_iteratorINS9_10device_ptrIxEEEESE_xNS9_4plusIvEExEEDaPvRmT3_T4_T5_mT6_P12ihipStream_tbENKUlT_T0_E_clISt17integral_constantIbLb1EESU_EEDaSP_SQ_EUlSP_E0_NS1_11comp_targetILNS1_3genE5ELNS1_11target_archE942ELNS1_3gpuE9ELNS1_3repE0EEENS1_30default_config_static_selectorELNS0_4arch9wavefront6targetE1EEEvT1_.kd
    .uniform_work_group_size: 1
    .uses_dynamic_stack: false
    .vgpr_count:     0
    .vgpr_spill_count: 0
    .wavefront_size: 64
  - .agpr_count:     0
    .args:
      - .offset:         0
        .size:           40
        .value_kind:     by_value
    .group_segment_fixed_size: 7168
    .kernarg_segment_align: 8
    .kernarg_segment_size: 40
    .language:       OpenCL C
    .language_version:
      - 2
      - 0
    .max_flat_workgroup_size: 128
    .name:           _ZN7rocprim17ROCPRIM_400000_NS6detail17trampoline_kernelINS0_14default_configENS1_20scan_config_selectorIxEEZZNS1_9scan_implILNS1_25lookback_scan_determinismE0ELb1ELb1ES3_N6thrust23THRUST_200600_302600_NS6detail15normal_iteratorINS9_10device_ptrIxEEEESE_xNS9_4plusIvEExEEDaPvRmT3_T4_T5_mT6_P12ihipStream_tbENKUlT_T0_E_clISt17integral_constantIbLb1EESU_EEDaSP_SQ_EUlSP_E0_NS1_11comp_targetILNS1_3genE4ELNS1_11target_archE910ELNS1_3gpuE8ELNS1_3repE0EEENS1_30default_config_static_selectorELNS0_4arch9wavefront6targetE1EEEvT1_
    .private_segment_fixed_size: 0
    .sgpr_count:     28
    .sgpr_spill_count: 0
    .symbol:         _ZN7rocprim17ROCPRIM_400000_NS6detail17trampoline_kernelINS0_14default_configENS1_20scan_config_selectorIxEEZZNS1_9scan_implILNS1_25lookback_scan_determinismE0ELb1ELb1ES3_N6thrust23THRUST_200600_302600_NS6detail15normal_iteratorINS9_10device_ptrIxEEEESE_xNS9_4plusIvEExEEDaPvRmT3_T4_T5_mT6_P12ihipStream_tbENKUlT_T0_E_clISt17integral_constantIbLb1EESU_EEDaSP_SQ_EUlSP_E0_NS1_11comp_targetILNS1_3genE4ELNS1_11target_archE910ELNS1_3gpuE8ELNS1_3repE0EEENS1_30default_config_static_selectorELNS0_4arch9wavefront6targetE1EEEvT1_.kd
    .uniform_work_group_size: 1
    .uses_dynamic_stack: false
    .vgpr_count:     29
    .vgpr_spill_count: 0
    .wavefront_size: 64
  - .agpr_count:     0
    .args:
      - .offset:         0
        .size:           40
        .value_kind:     by_value
    .group_segment_fixed_size: 0
    .kernarg_segment_align: 8
    .kernarg_segment_size: 40
    .language:       OpenCL C
    .language_version:
      - 2
      - 0
    .max_flat_workgroup_size: 256
    .name:           _ZN7rocprim17ROCPRIM_400000_NS6detail17trampoline_kernelINS0_14default_configENS1_20scan_config_selectorIxEEZZNS1_9scan_implILNS1_25lookback_scan_determinismE0ELb1ELb1ES3_N6thrust23THRUST_200600_302600_NS6detail15normal_iteratorINS9_10device_ptrIxEEEESE_xNS9_4plusIvEExEEDaPvRmT3_T4_T5_mT6_P12ihipStream_tbENKUlT_T0_E_clISt17integral_constantIbLb1EESU_EEDaSP_SQ_EUlSP_E0_NS1_11comp_targetILNS1_3genE3ELNS1_11target_archE908ELNS1_3gpuE7ELNS1_3repE0EEENS1_30default_config_static_selectorELNS0_4arch9wavefront6targetE1EEEvT1_
    .private_segment_fixed_size: 0
    .sgpr_count:     4
    .sgpr_spill_count: 0
    .symbol:         _ZN7rocprim17ROCPRIM_400000_NS6detail17trampoline_kernelINS0_14default_configENS1_20scan_config_selectorIxEEZZNS1_9scan_implILNS1_25lookback_scan_determinismE0ELb1ELb1ES3_N6thrust23THRUST_200600_302600_NS6detail15normal_iteratorINS9_10device_ptrIxEEEESE_xNS9_4plusIvEExEEDaPvRmT3_T4_T5_mT6_P12ihipStream_tbENKUlT_T0_E_clISt17integral_constantIbLb1EESU_EEDaSP_SQ_EUlSP_E0_NS1_11comp_targetILNS1_3genE3ELNS1_11target_archE908ELNS1_3gpuE7ELNS1_3repE0EEENS1_30default_config_static_selectorELNS0_4arch9wavefront6targetE1EEEvT1_.kd
    .uniform_work_group_size: 1
    .uses_dynamic_stack: false
    .vgpr_count:     0
    .vgpr_spill_count: 0
    .wavefront_size: 64
  - .agpr_count:     0
    .args:
      - .offset:         0
        .size:           40
        .value_kind:     by_value
    .group_segment_fixed_size: 0
    .kernarg_segment_align: 8
    .kernarg_segment_size: 40
    .language:       OpenCL C
    .language_version:
      - 2
      - 0
    .max_flat_workgroup_size: 64
    .name:           _ZN7rocprim17ROCPRIM_400000_NS6detail17trampoline_kernelINS0_14default_configENS1_20scan_config_selectorIxEEZZNS1_9scan_implILNS1_25lookback_scan_determinismE0ELb1ELb1ES3_N6thrust23THRUST_200600_302600_NS6detail15normal_iteratorINS9_10device_ptrIxEEEESE_xNS9_4plusIvEExEEDaPvRmT3_T4_T5_mT6_P12ihipStream_tbENKUlT_T0_E_clISt17integral_constantIbLb1EESU_EEDaSP_SQ_EUlSP_E0_NS1_11comp_targetILNS1_3genE2ELNS1_11target_archE906ELNS1_3gpuE6ELNS1_3repE0EEENS1_30default_config_static_selectorELNS0_4arch9wavefront6targetE1EEEvT1_
    .private_segment_fixed_size: 0
    .sgpr_count:     4
    .sgpr_spill_count: 0
    .symbol:         _ZN7rocprim17ROCPRIM_400000_NS6detail17trampoline_kernelINS0_14default_configENS1_20scan_config_selectorIxEEZZNS1_9scan_implILNS1_25lookback_scan_determinismE0ELb1ELb1ES3_N6thrust23THRUST_200600_302600_NS6detail15normal_iteratorINS9_10device_ptrIxEEEESE_xNS9_4plusIvEExEEDaPvRmT3_T4_T5_mT6_P12ihipStream_tbENKUlT_T0_E_clISt17integral_constantIbLb1EESU_EEDaSP_SQ_EUlSP_E0_NS1_11comp_targetILNS1_3genE2ELNS1_11target_archE906ELNS1_3gpuE6ELNS1_3repE0EEENS1_30default_config_static_selectorELNS0_4arch9wavefront6targetE1EEEvT1_.kd
    .uniform_work_group_size: 1
    .uses_dynamic_stack: false
    .vgpr_count:     0
    .vgpr_spill_count: 0
    .wavefront_size: 64
  - .agpr_count:     0
    .args:
      - .offset:         0
        .size:           40
        .value_kind:     by_value
    .group_segment_fixed_size: 0
    .kernarg_segment_align: 8
    .kernarg_segment_size: 40
    .language:       OpenCL C
    .language_version:
      - 2
      - 0
    .max_flat_workgroup_size: 256
    .name:           _ZN7rocprim17ROCPRIM_400000_NS6detail17trampoline_kernelINS0_14default_configENS1_20scan_config_selectorIxEEZZNS1_9scan_implILNS1_25lookback_scan_determinismE0ELb1ELb1ES3_N6thrust23THRUST_200600_302600_NS6detail15normal_iteratorINS9_10device_ptrIxEEEESE_xNS9_4plusIvEExEEDaPvRmT3_T4_T5_mT6_P12ihipStream_tbENKUlT_T0_E_clISt17integral_constantIbLb1EESU_EEDaSP_SQ_EUlSP_E0_NS1_11comp_targetILNS1_3genE10ELNS1_11target_archE1201ELNS1_3gpuE5ELNS1_3repE0EEENS1_30default_config_static_selectorELNS0_4arch9wavefront6targetE1EEEvT1_
    .private_segment_fixed_size: 0
    .sgpr_count:     4
    .sgpr_spill_count: 0
    .symbol:         _ZN7rocprim17ROCPRIM_400000_NS6detail17trampoline_kernelINS0_14default_configENS1_20scan_config_selectorIxEEZZNS1_9scan_implILNS1_25lookback_scan_determinismE0ELb1ELb1ES3_N6thrust23THRUST_200600_302600_NS6detail15normal_iteratorINS9_10device_ptrIxEEEESE_xNS9_4plusIvEExEEDaPvRmT3_T4_T5_mT6_P12ihipStream_tbENKUlT_T0_E_clISt17integral_constantIbLb1EESU_EEDaSP_SQ_EUlSP_E0_NS1_11comp_targetILNS1_3genE10ELNS1_11target_archE1201ELNS1_3gpuE5ELNS1_3repE0EEENS1_30default_config_static_selectorELNS0_4arch9wavefront6targetE1EEEvT1_.kd
    .uniform_work_group_size: 1
    .uses_dynamic_stack: false
    .vgpr_count:     0
    .vgpr_spill_count: 0
    .wavefront_size: 64
  - .agpr_count:     0
    .args:
      - .offset:         0
        .size:           40
        .value_kind:     by_value
    .group_segment_fixed_size: 0
    .kernarg_segment_align: 8
    .kernarg_segment_size: 40
    .language:       OpenCL C
    .language_version:
      - 2
      - 0
    .max_flat_workgroup_size: 256
    .name:           _ZN7rocprim17ROCPRIM_400000_NS6detail17trampoline_kernelINS0_14default_configENS1_20scan_config_selectorIxEEZZNS1_9scan_implILNS1_25lookback_scan_determinismE0ELb1ELb1ES3_N6thrust23THRUST_200600_302600_NS6detail15normal_iteratorINS9_10device_ptrIxEEEESE_xNS9_4plusIvEExEEDaPvRmT3_T4_T5_mT6_P12ihipStream_tbENKUlT_T0_E_clISt17integral_constantIbLb1EESU_EEDaSP_SQ_EUlSP_E0_NS1_11comp_targetILNS1_3genE10ELNS1_11target_archE1200ELNS1_3gpuE4ELNS1_3repE0EEENS1_30default_config_static_selectorELNS0_4arch9wavefront6targetE1EEEvT1_
    .private_segment_fixed_size: 0
    .sgpr_count:     4
    .sgpr_spill_count: 0
    .symbol:         _ZN7rocprim17ROCPRIM_400000_NS6detail17trampoline_kernelINS0_14default_configENS1_20scan_config_selectorIxEEZZNS1_9scan_implILNS1_25lookback_scan_determinismE0ELb1ELb1ES3_N6thrust23THRUST_200600_302600_NS6detail15normal_iteratorINS9_10device_ptrIxEEEESE_xNS9_4plusIvEExEEDaPvRmT3_T4_T5_mT6_P12ihipStream_tbENKUlT_T0_E_clISt17integral_constantIbLb1EESU_EEDaSP_SQ_EUlSP_E0_NS1_11comp_targetILNS1_3genE10ELNS1_11target_archE1200ELNS1_3gpuE4ELNS1_3repE0EEENS1_30default_config_static_selectorELNS0_4arch9wavefront6targetE1EEEvT1_.kd
    .uniform_work_group_size: 1
    .uses_dynamic_stack: false
    .vgpr_count:     0
    .vgpr_spill_count: 0
    .wavefront_size: 64
  - .agpr_count:     0
    .args:
      - .offset:         0
        .size:           40
        .value_kind:     by_value
    .group_segment_fixed_size: 0
    .kernarg_segment_align: 8
    .kernarg_segment_size: 40
    .language:       OpenCL C
    .language_version:
      - 2
      - 0
    .max_flat_workgroup_size: 256
    .name:           _ZN7rocprim17ROCPRIM_400000_NS6detail17trampoline_kernelINS0_14default_configENS1_20scan_config_selectorIxEEZZNS1_9scan_implILNS1_25lookback_scan_determinismE0ELb1ELb1ES3_N6thrust23THRUST_200600_302600_NS6detail15normal_iteratorINS9_10device_ptrIxEEEESE_xNS9_4plusIvEExEEDaPvRmT3_T4_T5_mT6_P12ihipStream_tbENKUlT_T0_E_clISt17integral_constantIbLb1EESU_EEDaSP_SQ_EUlSP_E0_NS1_11comp_targetILNS1_3genE9ELNS1_11target_archE1100ELNS1_3gpuE3ELNS1_3repE0EEENS1_30default_config_static_selectorELNS0_4arch9wavefront6targetE1EEEvT1_
    .private_segment_fixed_size: 0
    .sgpr_count:     4
    .sgpr_spill_count: 0
    .symbol:         _ZN7rocprim17ROCPRIM_400000_NS6detail17trampoline_kernelINS0_14default_configENS1_20scan_config_selectorIxEEZZNS1_9scan_implILNS1_25lookback_scan_determinismE0ELb1ELb1ES3_N6thrust23THRUST_200600_302600_NS6detail15normal_iteratorINS9_10device_ptrIxEEEESE_xNS9_4plusIvEExEEDaPvRmT3_T4_T5_mT6_P12ihipStream_tbENKUlT_T0_E_clISt17integral_constantIbLb1EESU_EEDaSP_SQ_EUlSP_E0_NS1_11comp_targetILNS1_3genE9ELNS1_11target_archE1100ELNS1_3gpuE3ELNS1_3repE0EEENS1_30default_config_static_selectorELNS0_4arch9wavefront6targetE1EEEvT1_.kd
    .uniform_work_group_size: 1
    .uses_dynamic_stack: false
    .vgpr_count:     0
    .vgpr_spill_count: 0
    .wavefront_size: 64
  - .agpr_count:     0
    .args:
      - .offset:         0
        .size:           40
        .value_kind:     by_value
    .group_segment_fixed_size: 0
    .kernarg_segment_align: 8
    .kernarg_segment_size: 40
    .language:       OpenCL C
    .language_version:
      - 2
      - 0
    .max_flat_workgroup_size: 256
    .name:           _ZN7rocprim17ROCPRIM_400000_NS6detail17trampoline_kernelINS0_14default_configENS1_20scan_config_selectorIxEEZZNS1_9scan_implILNS1_25lookback_scan_determinismE0ELb1ELb1ES3_N6thrust23THRUST_200600_302600_NS6detail15normal_iteratorINS9_10device_ptrIxEEEESE_xNS9_4plusIvEExEEDaPvRmT3_T4_T5_mT6_P12ihipStream_tbENKUlT_T0_E_clISt17integral_constantIbLb1EESU_EEDaSP_SQ_EUlSP_E0_NS1_11comp_targetILNS1_3genE8ELNS1_11target_archE1030ELNS1_3gpuE2ELNS1_3repE0EEENS1_30default_config_static_selectorELNS0_4arch9wavefront6targetE1EEEvT1_
    .private_segment_fixed_size: 0
    .sgpr_count:     4
    .sgpr_spill_count: 0
    .symbol:         _ZN7rocprim17ROCPRIM_400000_NS6detail17trampoline_kernelINS0_14default_configENS1_20scan_config_selectorIxEEZZNS1_9scan_implILNS1_25lookback_scan_determinismE0ELb1ELb1ES3_N6thrust23THRUST_200600_302600_NS6detail15normal_iteratorINS9_10device_ptrIxEEEESE_xNS9_4plusIvEExEEDaPvRmT3_T4_T5_mT6_P12ihipStream_tbENKUlT_T0_E_clISt17integral_constantIbLb1EESU_EEDaSP_SQ_EUlSP_E0_NS1_11comp_targetILNS1_3genE8ELNS1_11target_archE1030ELNS1_3gpuE2ELNS1_3repE0EEENS1_30default_config_static_selectorELNS0_4arch9wavefront6targetE1EEEvT1_.kd
    .uniform_work_group_size: 1
    .uses_dynamic_stack: false
    .vgpr_count:     0
    .vgpr_spill_count: 0
    .wavefront_size: 64
  - .agpr_count:     0
    .args:
      - .offset:         0
        .size:           104
        .value_kind:     by_value
    .group_segment_fixed_size: 0
    .kernarg_segment_align: 8
    .kernarg_segment_size: 104
    .language:       OpenCL C
    .language_version:
      - 2
      - 0
    .max_flat_workgroup_size: 256
    .name:           _ZN7rocprim17ROCPRIM_400000_NS6detail17trampoline_kernelINS0_14default_configENS1_20scan_config_selectorIxEEZZNS1_9scan_implILNS1_25lookback_scan_determinismE0ELb1ELb1ES3_N6thrust23THRUST_200600_302600_NS6detail15normal_iteratorINS9_10device_ptrIxEEEESE_xNS9_4plusIvEExEEDaPvRmT3_T4_T5_mT6_P12ihipStream_tbENKUlT_T0_E_clISt17integral_constantIbLb1EEST_IbLb0EEEEDaSP_SQ_EUlSP_E_NS1_11comp_targetILNS1_3genE0ELNS1_11target_archE4294967295ELNS1_3gpuE0ELNS1_3repE0EEENS1_30default_config_static_selectorELNS0_4arch9wavefront6targetE1EEEvT1_
    .private_segment_fixed_size: 0
    .sgpr_count:     4
    .sgpr_spill_count: 0
    .symbol:         _ZN7rocprim17ROCPRIM_400000_NS6detail17trampoline_kernelINS0_14default_configENS1_20scan_config_selectorIxEEZZNS1_9scan_implILNS1_25lookback_scan_determinismE0ELb1ELb1ES3_N6thrust23THRUST_200600_302600_NS6detail15normal_iteratorINS9_10device_ptrIxEEEESE_xNS9_4plusIvEExEEDaPvRmT3_T4_T5_mT6_P12ihipStream_tbENKUlT_T0_E_clISt17integral_constantIbLb1EEST_IbLb0EEEEDaSP_SQ_EUlSP_E_NS1_11comp_targetILNS1_3genE0ELNS1_11target_archE4294967295ELNS1_3gpuE0ELNS1_3repE0EEENS1_30default_config_static_selectorELNS0_4arch9wavefront6targetE1EEEvT1_.kd
    .uniform_work_group_size: 1
    .uses_dynamic_stack: false
    .vgpr_count:     0
    .vgpr_spill_count: 0
    .wavefront_size: 64
  - .agpr_count:     0
    .args:
      - .offset:         0
        .size:           104
        .value_kind:     by_value
    .group_segment_fixed_size: 0
    .kernarg_segment_align: 8
    .kernarg_segment_size: 104
    .language:       OpenCL C
    .language_version:
      - 2
      - 0
    .max_flat_workgroup_size: 256
    .name:           _ZN7rocprim17ROCPRIM_400000_NS6detail17trampoline_kernelINS0_14default_configENS1_20scan_config_selectorIxEEZZNS1_9scan_implILNS1_25lookback_scan_determinismE0ELb1ELb1ES3_N6thrust23THRUST_200600_302600_NS6detail15normal_iteratorINS9_10device_ptrIxEEEESE_xNS9_4plusIvEExEEDaPvRmT3_T4_T5_mT6_P12ihipStream_tbENKUlT_T0_E_clISt17integral_constantIbLb1EEST_IbLb0EEEEDaSP_SQ_EUlSP_E_NS1_11comp_targetILNS1_3genE5ELNS1_11target_archE942ELNS1_3gpuE9ELNS1_3repE0EEENS1_30default_config_static_selectorELNS0_4arch9wavefront6targetE1EEEvT1_
    .private_segment_fixed_size: 0
    .sgpr_count:     4
    .sgpr_spill_count: 0
    .symbol:         _ZN7rocprim17ROCPRIM_400000_NS6detail17trampoline_kernelINS0_14default_configENS1_20scan_config_selectorIxEEZZNS1_9scan_implILNS1_25lookback_scan_determinismE0ELb1ELb1ES3_N6thrust23THRUST_200600_302600_NS6detail15normal_iteratorINS9_10device_ptrIxEEEESE_xNS9_4plusIvEExEEDaPvRmT3_T4_T5_mT6_P12ihipStream_tbENKUlT_T0_E_clISt17integral_constantIbLb1EEST_IbLb0EEEEDaSP_SQ_EUlSP_E_NS1_11comp_targetILNS1_3genE5ELNS1_11target_archE942ELNS1_3gpuE9ELNS1_3repE0EEENS1_30default_config_static_selectorELNS0_4arch9wavefront6targetE1EEEvT1_.kd
    .uniform_work_group_size: 1
    .uses_dynamic_stack: false
    .vgpr_count:     0
    .vgpr_spill_count: 0
    .wavefront_size: 64
  - .agpr_count:     0
    .args:
      - .offset:         0
        .size:           104
        .value_kind:     by_value
    .group_segment_fixed_size: 7168
    .kernarg_segment_align: 8
    .kernarg_segment_size: 104
    .language:       OpenCL C
    .language_version:
      - 2
      - 0
    .max_flat_workgroup_size: 128
    .name:           _ZN7rocprim17ROCPRIM_400000_NS6detail17trampoline_kernelINS0_14default_configENS1_20scan_config_selectorIxEEZZNS1_9scan_implILNS1_25lookback_scan_determinismE0ELb1ELb1ES3_N6thrust23THRUST_200600_302600_NS6detail15normal_iteratorINS9_10device_ptrIxEEEESE_xNS9_4plusIvEExEEDaPvRmT3_T4_T5_mT6_P12ihipStream_tbENKUlT_T0_E_clISt17integral_constantIbLb1EEST_IbLb0EEEEDaSP_SQ_EUlSP_E_NS1_11comp_targetILNS1_3genE4ELNS1_11target_archE910ELNS1_3gpuE8ELNS1_3repE0EEENS1_30default_config_static_selectorELNS0_4arch9wavefront6targetE1EEEvT1_
    .private_segment_fixed_size: 0
    .sgpr_count:     36
    .sgpr_spill_count: 0
    .symbol:         _ZN7rocprim17ROCPRIM_400000_NS6detail17trampoline_kernelINS0_14default_configENS1_20scan_config_selectorIxEEZZNS1_9scan_implILNS1_25lookback_scan_determinismE0ELb1ELb1ES3_N6thrust23THRUST_200600_302600_NS6detail15normal_iteratorINS9_10device_ptrIxEEEESE_xNS9_4plusIvEExEEDaPvRmT3_T4_T5_mT6_P12ihipStream_tbENKUlT_T0_E_clISt17integral_constantIbLb1EEST_IbLb0EEEEDaSP_SQ_EUlSP_E_NS1_11comp_targetILNS1_3genE4ELNS1_11target_archE910ELNS1_3gpuE8ELNS1_3repE0EEENS1_30default_config_static_selectorELNS0_4arch9wavefront6targetE1EEEvT1_.kd
    .uniform_work_group_size: 1
    .uses_dynamic_stack: false
    .vgpr_count:     51
    .vgpr_spill_count: 0
    .wavefront_size: 64
  - .agpr_count:     0
    .args:
      - .offset:         0
        .size:           104
        .value_kind:     by_value
    .group_segment_fixed_size: 0
    .kernarg_segment_align: 8
    .kernarg_segment_size: 104
    .language:       OpenCL C
    .language_version:
      - 2
      - 0
    .max_flat_workgroup_size: 256
    .name:           _ZN7rocprim17ROCPRIM_400000_NS6detail17trampoline_kernelINS0_14default_configENS1_20scan_config_selectorIxEEZZNS1_9scan_implILNS1_25lookback_scan_determinismE0ELb1ELb1ES3_N6thrust23THRUST_200600_302600_NS6detail15normal_iteratorINS9_10device_ptrIxEEEESE_xNS9_4plusIvEExEEDaPvRmT3_T4_T5_mT6_P12ihipStream_tbENKUlT_T0_E_clISt17integral_constantIbLb1EEST_IbLb0EEEEDaSP_SQ_EUlSP_E_NS1_11comp_targetILNS1_3genE3ELNS1_11target_archE908ELNS1_3gpuE7ELNS1_3repE0EEENS1_30default_config_static_selectorELNS0_4arch9wavefront6targetE1EEEvT1_
    .private_segment_fixed_size: 0
    .sgpr_count:     4
    .sgpr_spill_count: 0
    .symbol:         _ZN7rocprim17ROCPRIM_400000_NS6detail17trampoline_kernelINS0_14default_configENS1_20scan_config_selectorIxEEZZNS1_9scan_implILNS1_25lookback_scan_determinismE0ELb1ELb1ES3_N6thrust23THRUST_200600_302600_NS6detail15normal_iteratorINS9_10device_ptrIxEEEESE_xNS9_4plusIvEExEEDaPvRmT3_T4_T5_mT6_P12ihipStream_tbENKUlT_T0_E_clISt17integral_constantIbLb1EEST_IbLb0EEEEDaSP_SQ_EUlSP_E_NS1_11comp_targetILNS1_3genE3ELNS1_11target_archE908ELNS1_3gpuE7ELNS1_3repE0EEENS1_30default_config_static_selectorELNS0_4arch9wavefront6targetE1EEEvT1_.kd
    .uniform_work_group_size: 1
    .uses_dynamic_stack: false
    .vgpr_count:     0
    .vgpr_spill_count: 0
    .wavefront_size: 64
  - .agpr_count:     0
    .args:
      - .offset:         0
        .size:           104
        .value_kind:     by_value
    .group_segment_fixed_size: 0
    .kernarg_segment_align: 8
    .kernarg_segment_size: 104
    .language:       OpenCL C
    .language_version:
      - 2
      - 0
    .max_flat_workgroup_size: 64
    .name:           _ZN7rocprim17ROCPRIM_400000_NS6detail17trampoline_kernelINS0_14default_configENS1_20scan_config_selectorIxEEZZNS1_9scan_implILNS1_25lookback_scan_determinismE0ELb1ELb1ES3_N6thrust23THRUST_200600_302600_NS6detail15normal_iteratorINS9_10device_ptrIxEEEESE_xNS9_4plusIvEExEEDaPvRmT3_T4_T5_mT6_P12ihipStream_tbENKUlT_T0_E_clISt17integral_constantIbLb1EEST_IbLb0EEEEDaSP_SQ_EUlSP_E_NS1_11comp_targetILNS1_3genE2ELNS1_11target_archE906ELNS1_3gpuE6ELNS1_3repE0EEENS1_30default_config_static_selectorELNS0_4arch9wavefront6targetE1EEEvT1_
    .private_segment_fixed_size: 0
    .sgpr_count:     4
    .sgpr_spill_count: 0
    .symbol:         _ZN7rocprim17ROCPRIM_400000_NS6detail17trampoline_kernelINS0_14default_configENS1_20scan_config_selectorIxEEZZNS1_9scan_implILNS1_25lookback_scan_determinismE0ELb1ELb1ES3_N6thrust23THRUST_200600_302600_NS6detail15normal_iteratorINS9_10device_ptrIxEEEESE_xNS9_4plusIvEExEEDaPvRmT3_T4_T5_mT6_P12ihipStream_tbENKUlT_T0_E_clISt17integral_constantIbLb1EEST_IbLb0EEEEDaSP_SQ_EUlSP_E_NS1_11comp_targetILNS1_3genE2ELNS1_11target_archE906ELNS1_3gpuE6ELNS1_3repE0EEENS1_30default_config_static_selectorELNS0_4arch9wavefront6targetE1EEEvT1_.kd
    .uniform_work_group_size: 1
    .uses_dynamic_stack: false
    .vgpr_count:     0
    .vgpr_spill_count: 0
    .wavefront_size: 64
  - .agpr_count:     0
    .args:
      - .offset:         0
        .size:           104
        .value_kind:     by_value
    .group_segment_fixed_size: 0
    .kernarg_segment_align: 8
    .kernarg_segment_size: 104
    .language:       OpenCL C
    .language_version:
      - 2
      - 0
    .max_flat_workgroup_size: 256
    .name:           _ZN7rocprim17ROCPRIM_400000_NS6detail17trampoline_kernelINS0_14default_configENS1_20scan_config_selectorIxEEZZNS1_9scan_implILNS1_25lookback_scan_determinismE0ELb1ELb1ES3_N6thrust23THRUST_200600_302600_NS6detail15normal_iteratorINS9_10device_ptrIxEEEESE_xNS9_4plusIvEExEEDaPvRmT3_T4_T5_mT6_P12ihipStream_tbENKUlT_T0_E_clISt17integral_constantIbLb1EEST_IbLb0EEEEDaSP_SQ_EUlSP_E_NS1_11comp_targetILNS1_3genE10ELNS1_11target_archE1201ELNS1_3gpuE5ELNS1_3repE0EEENS1_30default_config_static_selectorELNS0_4arch9wavefront6targetE1EEEvT1_
    .private_segment_fixed_size: 0
    .sgpr_count:     4
    .sgpr_spill_count: 0
    .symbol:         _ZN7rocprim17ROCPRIM_400000_NS6detail17trampoline_kernelINS0_14default_configENS1_20scan_config_selectorIxEEZZNS1_9scan_implILNS1_25lookback_scan_determinismE0ELb1ELb1ES3_N6thrust23THRUST_200600_302600_NS6detail15normal_iteratorINS9_10device_ptrIxEEEESE_xNS9_4plusIvEExEEDaPvRmT3_T4_T5_mT6_P12ihipStream_tbENKUlT_T0_E_clISt17integral_constantIbLb1EEST_IbLb0EEEEDaSP_SQ_EUlSP_E_NS1_11comp_targetILNS1_3genE10ELNS1_11target_archE1201ELNS1_3gpuE5ELNS1_3repE0EEENS1_30default_config_static_selectorELNS0_4arch9wavefront6targetE1EEEvT1_.kd
    .uniform_work_group_size: 1
    .uses_dynamic_stack: false
    .vgpr_count:     0
    .vgpr_spill_count: 0
    .wavefront_size: 64
  - .agpr_count:     0
    .args:
      - .offset:         0
        .size:           104
        .value_kind:     by_value
    .group_segment_fixed_size: 0
    .kernarg_segment_align: 8
    .kernarg_segment_size: 104
    .language:       OpenCL C
    .language_version:
      - 2
      - 0
    .max_flat_workgroup_size: 256
    .name:           _ZN7rocprim17ROCPRIM_400000_NS6detail17trampoline_kernelINS0_14default_configENS1_20scan_config_selectorIxEEZZNS1_9scan_implILNS1_25lookback_scan_determinismE0ELb1ELb1ES3_N6thrust23THRUST_200600_302600_NS6detail15normal_iteratorINS9_10device_ptrIxEEEESE_xNS9_4plusIvEExEEDaPvRmT3_T4_T5_mT6_P12ihipStream_tbENKUlT_T0_E_clISt17integral_constantIbLb1EEST_IbLb0EEEEDaSP_SQ_EUlSP_E_NS1_11comp_targetILNS1_3genE10ELNS1_11target_archE1200ELNS1_3gpuE4ELNS1_3repE0EEENS1_30default_config_static_selectorELNS0_4arch9wavefront6targetE1EEEvT1_
    .private_segment_fixed_size: 0
    .sgpr_count:     4
    .sgpr_spill_count: 0
    .symbol:         _ZN7rocprim17ROCPRIM_400000_NS6detail17trampoline_kernelINS0_14default_configENS1_20scan_config_selectorIxEEZZNS1_9scan_implILNS1_25lookback_scan_determinismE0ELb1ELb1ES3_N6thrust23THRUST_200600_302600_NS6detail15normal_iteratorINS9_10device_ptrIxEEEESE_xNS9_4plusIvEExEEDaPvRmT3_T4_T5_mT6_P12ihipStream_tbENKUlT_T0_E_clISt17integral_constantIbLb1EEST_IbLb0EEEEDaSP_SQ_EUlSP_E_NS1_11comp_targetILNS1_3genE10ELNS1_11target_archE1200ELNS1_3gpuE4ELNS1_3repE0EEENS1_30default_config_static_selectorELNS0_4arch9wavefront6targetE1EEEvT1_.kd
    .uniform_work_group_size: 1
    .uses_dynamic_stack: false
    .vgpr_count:     0
    .vgpr_spill_count: 0
    .wavefront_size: 64
  - .agpr_count:     0
    .args:
      - .offset:         0
        .size:           104
        .value_kind:     by_value
    .group_segment_fixed_size: 0
    .kernarg_segment_align: 8
    .kernarg_segment_size: 104
    .language:       OpenCL C
    .language_version:
      - 2
      - 0
    .max_flat_workgroup_size: 256
    .name:           _ZN7rocprim17ROCPRIM_400000_NS6detail17trampoline_kernelINS0_14default_configENS1_20scan_config_selectorIxEEZZNS1_9scan_implILNS1_25lookback_scan_determinismE0ELb1ELb1ES3_N6thrust23THRUST_200600_302600_NS6detail15normal_iteratorINS9_10device_ptrIxEEEESE_xNS9_4plusIvEExEEDaPvRmT3_T4_T5_mT6_P12ihipStream_tbENKUlT_T0_E_clISt17integral_constantIbLb1EEST_IbLb0EEEEDaSP_SQ_EUlSP_E_NS1_11comp_targetILNS1_3genE9ELNS1_11target_archE1100ELNS1_3gpuE3ELNS1_3repE0EEENS1_30default_config_static_selectorELNS0_4arch9wavefront6targetE1EEEvT1_
    .private_segment_fixed_size: 0
    .sgpr_count:     4
    .sgpr_spill_count: 0
    .symbol:         _ZN7rocprim17ROCPRIM_400000_NS6detail17trampoline_kernelINS0_14default_configENS1_20scan_config_selectorIxEEZZNS1_9scan_implILNS1_25lookback_scan_determinismE0ELb1ELb1ES3_N6thrust23THRUST_200600_302600_NS6detail15normal_iteratorINS9_10device_ptrIxEEEESE_xNS9_4plusIvEExEEDaPvRmT3_T4_T5_mT6_P12ihipStream_tbENKUlT_T0_E_clISt17integral_constantIbLb1EEST_IbLb0EEEEDaSP_SQ_EUlSP_E_NS1_11comp_targetILNS1_3genE9ELNS1_11target_archE1100ELNS1_3gpuE3ELNS1_3repE0EEENS1_30default_config_static_selectorELNS0_4arch9wavefront6targetE1EEEvT1_.kd
    .uniform_work_group_size: 1
    .uses_dynamic_stack: false
    .vgpr_count:     0
    .vgpr_spill_count: 0
    .wavefront_size: 64
  - .agpr_count:     0
    .args:
      - .offset:         0
        .size:           104
        .value_kind:     by_value
    .group_segment_fixed_size: 0
    .kernarg_segment_align: 8
    .kernarg_segment_size: 104
    .language:       OpenCL C
    .language_version:
      - 2
      - 0
    .max_flat_workgroup_size: 256
    .name:           _ZN7rocprim17ROCPRIM_400000_NS6detail17trampoline_kernelINS0_14default_configENS1_20scan_config_selectorIxEEZZNS1_9scan_implILNS1_25lookback_scan_determinismE0ELb1ELb1ES3_N6thrust23THRUST_200600_302600_NS6detail15normal_iteratorINS9_10device_ptrIxEEEESE_xNS9_4plusIvEExEEDaPvRmT3_T4_T5_mT6_P12ihipStream_tbENKUlT_T0_E_clISt17integral_constantIbLb1EEST_IbLb0EEEEDaSP_SQ_EUlSP_E_NS1_11comp_targetILNS1_3genE8ELNS1_11target_archE1030ELNS1_3gpuE2ELNS1_3repE0EEENS1_30default_config_static_selectorELNS0_4arch9wavefront6targetE1EEEvT1_
    .private_segment_fixed_size: 0
    .sgpr_count:     4
    .sgpr_spill_count: 0
    .symbol:         _ZN7rocprim17ROCPRIM_400000_NS6detail17trampoline_kernelINS0_14default_configENS1_20scan_config_selectorIxEEZZNS1_9scan_implILNS1_25lookback_scan_determinismE0ELb1ELb1ES3_N6thrust23THRUST_200600_302600_NS6detail15normal_iteratorINS9_10device_ptrIxEEEESE_xNS9_4plusIvEExEEDaPvRmT3_T4_T5_mT6_P12ihipStream_tbENKUlT_T0_E_clISt17integral_constantIbLb1EEST_IbLb0EEEEDaSP_SQ_EUlSP_E_NS1_11comp_targetILNS1_3genE8ELNS1_11target_archE1030ELNS1_3gpuE2ELNS1_3repE0EEENS1_30default_config_static_selectorELNS0_4arch9wavefront6targetE1EEEvT1_.kd
    .uniform_work_group_size: 1
    .uses_dynamic_stack: false
    .vgpr_count:     0
    .vgpr_spill_count: 0
    .wavefront_size: 64
  - .agpr_count:     0
    .args:
      - .offset:         0
        .size:           40
        .value_kind:     by_value
    .group_segment_fixed_size: 0
    .kernarg_segment_align: 8
    .kernarg_segment_size: 40
    .language:       OpenCL C
    .language_version:
      - 2
      - 0
    .max_flat_workgroup_size: 256
    .name:           _ZN7rocprim17ROCPRIM_400000_NS6detail17trampoline_kernelINS0_14default_configENS1_20scan_config_selectorIxEEZZNS1_9scan_implILNS1_25lookback_scan_determinismE0ELb1ELb1ES3_N6thrust23THRUST_200600_302600_NS6detail15normal_iteratorINS9_10device_ptrIxEEEESE_xNS9_4plusIvEExEEDaPvRmT3_T4_T5_mT6_P12ihipStream_tbENKUlT_T0_E_clISt17integral_constantIbLb1EEST_IbLb0EEEEDaSP_SQ_EUlSP_E0_NS1_11comp_targetILNS1_3genE0ELNS1_11target_archE4294967295ELNS1_3gpuE0ELNS1_3repE0EEENS1_30default_config_static_selectorELNS0_4arch9wavefront6targetE1EEEvT1_
    .private_segment_fixed_size: 0
    .sgpr_count:     4
    .sgpr_spill_count: 0
    .symbol:         _ZN7rocprim17ROCPRIM_400000_NS6detail17trampoline_kernelINS0_14default_configENS1_20scan_config_selectorIxEEZZNS1_9scan_implILNS1_25lookback_scan_determinismE0ELb1ELb1ES3_N6thrust23THRUST_200600_302600_NS6detail15normal_iteratorINS9_10device_ptrIxEEEESE_xNS9_4plusIvEExEEDaPvRmT3_T4_T5_mT6_P12ihipStream_tbENKUlT_T0_E_clISt17integral_constantIbLb1EEST_IbLb0EEEEDaSP_SQ_EUlSP_E0_NS1_11comp_targetILNS1_3genE0ELNS1_11target_archE4294967295ELNS1_3gpuE0ELNS1_3repE0EEENS1_30default_config_static_selectorELNS0_4arch9wavefront6targetE1EEEvT1_.kd
    .uniform_work_group_size: 1
    .uses_dynamic_stack: false
    .vgpr_count:     0
    .vgpr_spill_count: 0
    .wavefront_size: 64
  - .agpr_count:     0
    .args:
      - .offset:         0
        .size:           40
        .value_kind:     by_value
    .group_segment_fixed_size: 0
    .kernarg_segment_align: 8
    .kernarg_segment_size: 40
    .language:       OpenCL C
    .language_version:
      - 2
      - 0
    .max_flat_workgroup_size: 256
    .name:           _ZN7rocprim17ROCPRIM_400000_NS6detail17trampoline_kernelINS0_14default_configENS1_20scan_config_selectorIxEEZZNS1_9scan_implILNS1_25lookback_scan_determinismE0ELb1ELb1ES3_N6thrust23THRUST_200600_302600_NS6detail15normal_iteratorINS9_10device_ptrIxEEEESE_xNS9_4plusIvEExEEDaPvRmT3_T4_T5_mT6_P12ihipStream_tbENKUlT_T0_E_clISt17integral_constantIbLb1EEST_IbLb0EEEEDaSP_SQ_EUlSP_E0_NS1_11comp_targetILNS1_3genE5ELNS1_11target_archE942ELNS1_3gpuE9ELNS1_3repE0EEENS1_30default_config_static_selectorELNS0_4arch9wavefront6targetE1EEEvT1_
    .private_segment_fixed_size: 0
    .sgpr_count:     4
    .sgpr_spill_count: 0
    .symbol:         _ZN7rocprim17ROCPRIM_400000_NS6detail17trampoline_kernelINS0_14default_configENS1_20scan_config_selectorIxEEZZNS1_9scan_implILNS1_25lookback_scan_determinismE0ELb1ELb1ES3_N6thrust23THRUST_200600_302600_NS6detail15normal_iteratorINS9_10device_ptrIxEEEESE_xNS9_4plusIvEExEEDaPvRmT3_T4_T5_mT6_P12ihipStream_tbENKUlT_T0_E_clISt17integral_constantIbLb1EEST_IbLb0EEEEDaSP_SQ_EUlSP_E0_NS1_11comp_targetILNS1_3genE5ELNS1_11target_archE942ELNS1_3gpuE9ELNS1_3repE0EEENS1_30default_config_static_selectorELNS0_4arch9wavefront6targetE1EEEvT1_.kd
    .uniform_work_group_size: 1
    .uses_dynamic_stack: false
    .vgpr_count:     0
    .vgpr_spill_count: 0
    .wavefront_size: 64
  - .agpr_count:     0
    .args:
      - .offset:         0
        .size:           40
        .value_kind:     by_value
    .group_segment_fixed_size: 7168
    .kernarg_segment_align: 8
    .kernarg_segment_size: 40
    .language:       OpenCL C
    .language_version:
      - 2
      - 0
    .max_flat_workgroup_size: 128
    .name:           _ZN7rocprim17ROCPRIM_400000_NS6detail17trampoline_kernelINS0_14default_configENS1_20scan_config_selectorIxEEZZNS1_9scan_implILNS1_25lookback_scan_determinismE0ELb1ELb1ES3_N6thrust23THRUST_200600_302600_NS6detail15normal_iteratorINS9_10device_ptrIxEEEESE_xNS9_4plusIvEExEEDaPvRmT3_T4_T5_mT6_P12ihipStream_tbENKUlT_T0_E_clISt17integral_constantIbLb1EEST_IbLb0EEEEDaSP_SQ_EUlSP_E0_NS1_11comp_targetILNS1_3genE4ELNS1_11target_archE910ELNS1_3gpuE8ELNS1_3repE0EEENS1_30default_config_static_selectorELNS0_4arch9wavefront6targetE1EEEvT1_
    .private_segment_fixed_size: 0
    .sgpr_count:     28
    .sgpr_spill_count: 0
    .symbol:         _ZN7rocprim17ROCPRIM_400000_NS6detail17trampoline_kernelINS0_14default_configENS1_20scan_config_selectorIxEEZZNS1_9scan_implILNS1_25lookback_scan_determinismE0ELb1ELb1ES3_N6thrust23THRUST_200600_302600_NS6detail15normal_iteratorINS9_10device_ptrIxEEEESE_xNS9_4plusIvEExEEDaPvRmT3_T4_T5_mT6_P12ihipStream_tbENKUlT_T0_E_clISt17integral_constantIbLb1EEST_IbLb0EEEEDaSP_SQ_EUlSP_E0_NS1_11comp_targetILNS1_3genE4ELNS1_11target_archE910ELNS1_3gpuE8ELNS1_3repE0EEENS1_30default_config_static_selectorELNS0_4arch9wavefront6targetE1EEEvT1_.kd
    .uniform_work_group_size: 1
    .uses_dynamic_stack: false
    .vgpr_count:     29
    .vgpr_spill_count: 0
    .wavefront_size: 64
  - .agpr_count:     0
    .args:
      - .offset:         0
        .size:           40
        .value_kind:     by_value
    .group_segment_fixed_size: 0
    .kernarg_segment_align: 8
    .kernarg_segment_size: 40
    .language:       OpenCL C
    .language_version:
      - 2
      - 0
    .max_flat_workgroup_size: 256
    .name:           _ZN7rocprim17ROCPRIM_400000_NS6detail17trampoline_kernelINS0_14default_configENS1_20scan_config_selectorIxEEZZNS1_9scan_implILNS1_25lookback_scan_determinismE0ELb1ELb1ES3_N6thrust23THRUST_200600_302600_NS6detail15normal_iteratorINS9_10device_ptrIxEEEESE_xNS9_4plusIvEExEEDaPvRmT3_T4_T5_mT6_P12ihipStream_tbENKUlT_T0_E_clISt17integral_constantIbLb1EEST_IbLb0EEEEDaSP_SQ_EUlSP_E0_NS1_11comp_targetILNS1_3genE3ELNS1_11target_archE908ELNS1_3gpuE7ELNS1_3repE0EEENS1_30default_config_static_selectorELNS0_4arch9wavefront6targetE1EEEvT1_
    .private_segment_fixed_size: 0
    .sgpr_count:     4
    .sgpr_spill_count: 0
    .symbol:         _ZN7rocprim17ROCPRIM_400000_NS6detail17trampoline_kernelINS0_14default_configENS1_20scan_config_selectorIxEEZZNS1_9scan_implILNS1_25lookback_scan_determinismE0ELb1ELb1ES3_N6thrust23THRUST_200600_302600_NS6detail15normal_iteratorINS9_10device_ptrIxEEEESE_xNS9_4plusIvEExEEDaPvRmT3_T4_T5_mT6_P12ihipStream_tbENKUlT_T0_E_clISt17integral_constantIbLb1EEST_IbLb0EEEEDaSP_SQ_EUlSP_E0_NS1_11comp_targetILNS1_3genE3ELNS1_11target_archE908ELNS1_3gpuE7ELNS1_3repE0EEENS1_30default_config_static_selectorELNS0_4arch9wavefront6targetE1EEEvT1_.kd
    .uniform_work_group_size: 1
    .uses_dynamic_stack: false
    .vgpr_count:     0
    .vgpr_spill_count: 0
    .wavefront_size: 64
  - .agpr_count:     0
    .args:
      - .offset:         0
        .size:           40
        .value_kind:     by_value
    .group_segment_fixed_size: 0
    .kernarg_segment_align: 8
    .kernarg_segment_size: 40
    .language:       OpenCL C
    .language_version:
      - 2
      - 0
    .max_flat_workgroup_size: 64
    .name:           _ZN7rocprim17ROCPRIM_400000_NS6detail17trampoline_kernelINS0_14default_configENS1_20scan_config_selectorIxEEZZNS1_9scan_implILNS1_25lookback_scan_determinismE0ELb1ELb1ES3_N6thrust23THRUST_200600_302600_NS6detail15normal_iteratorINS9_10device_ptrIxEEEESE_xNS9_4plusIvEExEEDaPvRmT3_T4_T5_mT6_P12ihipStream_tbENKUlT_T0_E_clISt17integral_constantIbLb1EEST_IbLb0EEEEDaSP_SQ_EUlSP_E0_NS1_11comp_targetILNS1_3genE2ELNS1_11target_archE906ELNS1_3gpuE6ELNS1_3repE0EEENS1_30default_config_static_selectorELNS0_4arch9wavefront6targetE1EEEvT1_
    .private_segment_fixed_size: 0
    .sgpr_count:     4
    .sgpr_spill_count: 0
    .symbol:         _ZN7rocprim17ROCPRIM_400000_NS6detail17trampoline_kernelINS0_14default_configENS1_20scan_config_selectorIxEEZZNS1_9scan_implILNS1_25lookback_scan_determinismE0ELb1ELb1ES3_N6thrust23THRUST_200600_302600_NS6detail15normal_iteratorINS9_10device_ptrIxEEEESE_xNS9_4plusIvEExEEDaPvRmT3_T4_T5_mT6_P12ihipStream_tbENKUlT_T0_E_clISt17integral_constantIbLb1EEST_IbLb0EEEEDaSP_SQ_EUlSP_E0_NS1_11comp_targetILNS1_3genE2ELNS1_11target_archE906ELNS1_3gpuE6ELNS1_3repE0EEENS1_30default_config_static_selectorELNS0_4arch9wavefront6targetE1EEEvT1_.kd
    .uniform_work_group_size: 1
    .uses_dynamic_stack: false
    .vgpr_count:     0
    .vgpr_spill_count: 0
    .wavefront_size: 64
  - .agpr_count:     0
    .args:
      - .offset:         0
        .size:           40
        .value_kind:     by_value
    .group_segment_fixed_size: 0
    .kernarg_segment_align: 8
    .kernarg_segment_size: 40
    .language:       OpenCL C
    .language_version:
      - 2
      - 0
    .max_flat_workgroup_size: 256
    .name:           _ZN7rocprim17ROCPRIM_400000_NS6detail17trampoline_kernelINS0_14default_configENS1_20scan_config_selectorIxEEZZNS1_9scan_implILNS1_25lookback_scan_determinismE0ELb1ELb1ES3_N6thrust23THRUST_200600_302600_NS6detail15normal_iteratorINS9_10device_ptrIxEEEESE_xNS9_4plusIvEExEEDaPvRmT3_T4_T5_mT6_P12ihipStream_tbENKUlT_T0_E_clISt17integral_constantIbLb1EEST_IbLb0EEEEDaSP_SQ_EUlSP_E0_NS1_11comp_targetILNS1_3genE10ELNS1_11target_archE1201ELNS1_3gpuE5ELNS1_3repE0EEENS1_30default_config_static_selectorELNS0_4arch9wavefront6targetE1EEEvT1_
    .private_segment_fixed_size: 0
    .sgpr_count:     4
    .sgpr_spill_count: 0
    .symbol:         _ZN7rocprim17ROCPRIM_400000_NS6detail17trampoline_kernelINS0_14default_configENS1_20scan_config_selectorIxEEZZNS1_9scan_implILNS1_25lookback_scan_determinismE0ELb1ELb1ES3_N6thrust23THRUST_200600_302600_NS6detail15normal_iteratorINS9_10device_ptrIxEEEESE_xNS9_4plusIvEExEEDaPvRmT3_T4_T5_mT6_P12ihipStream_tbENKUlT_T0_E_clISt17integral_constantIbLb1EEST_IbLb0EEEEDaSP_SQ_EUlSP_E0_NS1_11comp_targetILNS1_3genE10ELNS1_11target_archE1201ELNS1_3gpuE5ELNS1_3repE0EEENS1_30default_config_static_selectorELNS0_4arch9wavefront6targetE1EEEvT1_.kd
    .uniform_work_group_size: 1
    .uses_dynamic_stack: false
    .vgpr_count:     0
    .vgpr_spill_count: 0
    .wavefront_size: 64
  - .agpr_count:     0
    .args:
      - .offset:         0
        .size:           40
        .value_kind:     by_value
    .group_segment_fixed_size: 0
    .kernarg_segment_align: 8
    .kernarg_segment_size: 40
    .language:       OpenCL C
    .language_version:
      - 2
      - 0
    .max_flat_workgroup_size: 256
    .name:           _ZN7rocprim17ROCPRIM_400000_NS6detail17trampoline_kernelINS0_14default_configENS1_20scan_config_selectorIxEEZZNS1_9scan_implILNS1_25lookback_scan_determinismE0ELb1ELb1ES3_N6thrust23THRUST_200600_302600_NS6detail15normal_iteratorINS9_10device_ptrIxEEEESE_xNS9_4plusIvEExEEDaPvRmT3_T4_T5_mT6_P12ihipStream_tbENKUlT_T0_E_clISt17integral_constantIbLb1EEST_IbLb0EEEEDaSP_SQ_EUlSP_E0_NS1_11comp_targetILNS1_3genE10ELNS1_11target_archE1200ELNS1_3gpuE4ELNS1_3repE0EEENS1_30default_config_static_selectorELNS0_4arch9wavefront6targetE1EEEvT1_
    .private_segment_fixed_size: 0
    .sgpr_count:     4
    .sgpr_spill_count: 0
    .symbol:         _ZN7rocprim17ROCPRIM_400000_NS6detail17trampoline_kernelINS0_14default_configENS1_20scan_config_selectorIxEEZZNS1_9scan_implILNS1_25lookback_scan_determinismE0ELb1ELb1ES3_N6thrust23THRUST_200600_302600_NS6detail15normal_iteratorINS9_10device_ptrIxEEEESE_xNS9_4plusIvEExEEDaPvRmT3_T4_T5_mT6_P12ihipStream_tbENKUlT_T0_E_clISt17integral_constantIbLb1EEST_IbLb0EEEEDaSP_SQ_EUlSP_E0_NS1_11comp_targetILNS1_3genE10ELNS1_11target_archE1200ELNS1_3gpuE4ELNS1_3repE0EEENS1_30default_config_static_selectorELNS0_4arch9wavefront6targetE1EEEvT1_.kd
    .uniform_work_group_size: 1
    .uses_dynamic_stack: false
    .vgpr_count:     0
    .vgpr_spill_count: 0
    .wavefront_size: 64
  - .agpr_count:     0
    .args:
      - .offset:         0
        .size:           40
        .value_kind:     by_value
    .group_segment_fixed_size: 0
    .kernarg_segment_align: 8
    .kernarg_segment_size: 40
    .language:       OpenCL C
    .language_version:
      - 2
      - 0
    .max_flat_workgroup_size: 256
    .name:           _ZN7rocprim17ROCPRIM_400000_NS6detail17trampoline_kernelINS0_14default_configENS1_20scan_config_selectorIxEEZZNS1_9scan_implILNS1_25lookback_scan_determinismE0ELb1ELb1ES3_N6thrust23THRUST_200600_302600_NS6detail15normal_iteratorINS9_10device_ptrIxEEEESE_xNS9_4plusIvEExEEDaPvRmT3_T4_T5_mT6_P12ihipStream_tbENKUlT_T0_E_clISt17integral_constantIbLb1EEST_IbLb0EEEEDaSP_SQ_EUlSP_E0_NS1_11comp_targetILNS1_3genE9ELNS1_11target_archE1100ELNS1_3gpuE3ELNS1_3repE0EEENS1_30default_config_static_selectorELNS0_4arch9wavefront6targetE1EEEvT1_
    .private_segment_fixed_size: 0
    .sgpr_count:     4
    .sgpr_spill_count: 0
    .symbol:         _ZN7rocprim17ROCPRIM_400000_NS6detail17trampoline_kernelINS0_14default_configENS1_20scan_config_selectorIxEEZZNS1_9scan_implILNS1_25lookback_scan_determinismE0ELb1ELb1ES3_N6thrust23THRUST_200600_302600_NS6detail15normal_iteratorINS9_10device_ptrIxEEEESE_xNS9_4plusIvEExEEDaPvRmT3_T4_T5_mT6_P12ihipStream_tbENKUlT_T0_E_clISt17integral_constantIbLb1EEST_IbLb0EEEEDaSP_SQ_EUlSP_E0_NS1_11comp_targetILNS1_3genE9ELNS1_11target_archE1100ELNS1_3gpuE3ELNS1_3repE0EEENS1_30default_config_static_selectorELNS0_4arch9wavefront6targetE1EEEvT1_.kd
    .uniform_work_group_size: 1
    .uses_dynamic_stack: false
    .vgpr_count:     0
    .vgpr_spill_count: 0
    .wavefront_size: 64
  - .agpr_count:     0
    .args:
      - .offset:         0
        .size:           40
        .value_kind:     by_value
    .group_segment_fixed_size: 0
    .kernarg_segment_align: 8
    .kernarg_segment_size: 40
    .language:       OpenCL C
    .language_version:
      - 2
      - 0
    .max_flat_workgroup_size: 256
    .name:           _ZN7rocprim17ROCPRIM_400000_NS6detail17trampoline_kernelINS0_14default_configENS1_20scan_config_selectorIxEEZZNS1_9scan_implILNS1_25lookback_scan_determinismE0ELb1ELb1ES3_N6thrust23THRUST_200600_302600_NS6detail15normal_iteratorINS9_10device_ptrIxEEEESE_xNS9_4plusIvEExEEDaPvRmT3_T4_T5_mT6_P12ihipStream_tbENKUlT_T0_E_clISt17integral_constantIbLb1EEST_IbLb0EEEEDaSP_SQ_EUlSP_E0_NS1_11comp_targetILNS1_3genE8ELNS1_11target_archE1030ELNS1_3gpuE2ELNS1_3repE0EEENS1_30default_config_static_selectorELNS0_4arch9wavefront6targetE1EEEvT1_
    .private_segment_fixed_size: 0
    .sgpr_count:     4
    .sgpr_spill_count: 0
    .symbol:         _ZN7rocprim17ROCPRIM_400000_NS6detail17trampoline_kernelINS0_14default_configENS1_20scan_config_selectorIxEEZZNS1_9scan_implILNS1_25lookback_scan_determinismE0ELb1ELb1ES3_N6thrust23THRUST_200600_302600_NS6detail15normal_iteratorINS9_10device_ptrIxEEEESE_xNS9_4plusIvEExEEDaPvRmT3_T4_T5_mT6_P12ihipStream_tbENKUlT_T0_E_clISt17integral_constantIbLb1EEST_IbLb0EEEEDaSP_SQ_EUlSP_E0_NS1_11comp_targetILNS1_3genE8ELNS1_11target_archE1030ELNS1_3gpuE2ELNS1_3repE0EEENS1_30default_config_static_selectorELNS0_4arch9wavefront6targetE1EEEvT1_.kd
    .uniform_work_group_size: 1
    .uses_dynamic_stack: false
    .vgpr_count:     0
    .vgpr_spill_count: 0
    .wavefront_size: 64
  - .agpr_count:     0
    .args:
      - .offset:         0
        .size:           104
        .value_kind:     by_value
    .group_segment_fixed_size: 0
    .kernarg_segment_align: 8
    .kernarg_segment_size: 104
    .language:       OpenCL C
    .language_version:
      - 2
      - 0
    .max_flat_workgroup_size: 256
    .name:           _ZN7rocprim17ROCPRIM_400000_NS6detail17trampoline_kernelINS0_14default_configENS1_20scan_config_selectorIxEEZZNS1_9scan_implILNS1_25lookback_scan_determinismE0ELb1ELb1ES3_N6thrust23THRUST_200600_302600_NS6detail15normal_iteratorINS9_10device_ptrIxEEEESE_xNS9_4plusIvEExEEDaPvRmT3_T4_T5_mT6_P12ihipStream_tbENKUlT_T0_E_clISt17integral_constantIbLb0EEST_IbLb1EEEEDaSP_SQ_EUlSP_E_NS1_11comp_targetILNS1_3genE0ELNS1_11target_archE4294967295ELNS1_3gpuE0ELNS1_3repE0EEENS1_30default_config_static_selectorELNS0_4arch9wavefront6targetE1EEEvT1_
    .private_segment_fixed_size: 0
    .sgpr_count:     4
    .sgpr_spill_count: 0
    .symbol:         _ZN7rocprim17ROCPRIM_400000_NS6detail17trampoline_kernelINS0_14default_configENS1_20scan_config_selectorIxEEZZNS1_9scan_implILNS1_25lookback_scan_determinismE0ELb1ELb1ES3_N6thrust23THRUST_200600_302600_NS6detail15normal_iteratorINS9_10device_ptrIxEEEESE_xNS9_4plusIvEExEEDaPvRmT3_T4_T5_mT6_P12ihipStream_tbENKUlT_T0_E_clISt17integral_constantIbLb0EEST_IbLb1EEEEDaSP_SQ_EUlSP_E_NS1_11comp_targetILNS1_3genE0ELNS1_11target_archE4294967295ELNS1_3gpuE0ELNS1_3repE0EEENS1_30default_config_static_selectorELNS0_4arch9wavefront6targetE1EEEvT1_.kd
    .uniform_work_group_size: 1
    .uses_dynamic_stack: false
    .vgpr_count:     0
    .vgpr_spill_count: 0
    .wavefront_size: 64
  - .agpr_count:     0
    .args:
      - .offset:         0
        .size:           104
        .value_kind:     by_value
    .group_segment_fixed_size: 0
    .kernarg_segment_align: 8
    .kernarg_segment_size: 104
    .language:       OpenCL C
    .language_version:
      - 2
      - 0
    .max_flat_workgroup_size: 256
    .name:           _ZN7rocprim17ROCPRIM_400000_NS6detail17trampoline_kernelINS0_14default_configENS1_20scan_config_selectorIxEEZZNS1_9scan_implILNS1_25lookback_scan_determinismE0ELb1ELb1ES3_N6thrust23THRUST_200600_302600_NS6detail15normal_iteratorINS9_10device_ptrIxEEEESE_xNS9_4plusIvEExEEDaPvRmT3_T4_T5_mT6_P12ihipStream_tbENKUlT_T0_E_clISt17integral_constantIbLb0EEST_IbLb1EEEEDaSP_SQ_EUlSP_E_NS1_11comp_targetILNS1_3genE5ELNS1_11target_archE942ELNS1_3gpuE9ELNS1_3repE0EEENS1_30default_config_static_selectorELNS0_4arch9wavefront6targetE1EEEvT1_
    .private_segment_fixed_size: 0
    .sgpr_count:     4
    .sgpr_spill_count: 0
    .symbol:         _ZN7rocprim17ROCPRIM_400000_NS6detail17trampoline_kernelINS0_14default_configENS1_20scan_config_selectorIxEEZZNS1_9scan_implILNS1_25lookback_scan_determinismE0ELb1ELb1ES3_N6thrust23THRUST_200600_302600_NS6detail15normal_iteratorINS9_10device_ptrIxEEEESE_xNS9_4plusIvEExEEDaPvRmT3_T4_T5_mT6_P12ihipStream_tbENKUlT_T0_E_clISt17integral_constantIbLb0EEST_IbLb1EEEEDaSP_SQ_EUlSP_E_NS1_11comp_targetILNS1_3genE5ELNS1_11target_archE942ELNS1_3gpuE9ELNS1_3repE0EEENS1_30default_config_static_selectorELNS0_4arch9wavefront6targetE1EEEvT1_.kd
    .uniform_work_group_size: 1
    .uses_dynamic_stack: false
    .vgpr_count:     0
    .vgpr_spill_count: 0
    .wavefront_size: 64
  - .agpr_count:     0
    .args:
      - .offset:         0
        .size:           104
        .value_kind:     by_value
    .group_segment_fixed_size: 7168
    .kernarg_segment_align: 8
    .kernarg_segment_size: 104
    .language:       OpenCL C
    .language_version:
      - 2
      - 0
    .max_flat_workgroup_size: 128
    .name:           _ZN7rocprim17ROCPRIM_400000_NS6detail17trampoline_kernelINS0_14default_configENS1_20scan_config_selectorIxEEZZNS1_9scan_implILNS1_25lookback_scan_determinismE0ELb1ELb1ES3_N6thrust23THRUST_200600_302600_NS6detail15normal_iteratorINS9_10device_ptrIxEEEESE_xNS9_4plusIvEExEEDaPvRmT3_T4_T5_mT6_P12ihipStream_tbENKUlT_T0_E_clISt17integral_constantIbLb0EEST_IbLb1EEEEDaSP_SQ_EUlSP_E_NS1_11comp_targetILNS1_3genE4ELNS1_11target_archE910ELNS1_3gpuE8ELNS1_3repE0EEENS1_30default_config_static_selectorELNS0_4arch9wavefront6targetE1EEEvT1_
    .private_segment_fixed_size: 0
    .sgpr_count:     44
    .sgpr_spill_count: 0
    .symbol:         _ZN7rocprim17ROCPRIM_400000_NS6detail17trampoline_kernelINS0_14default_configENS1_20scan_config_selectorIxEEZZNS1_9scan_implILNS1_25lookback_scan_determinismE0ELb1ELb1ES3_N6thrust23THRUST_200600_302600_NS6detail15normal_iteratorINS9_10device_ptrIxEEEESE_xNS9_4plusIvEExEEDaPvRmT3_T4_T5_mT6_P12ihipStream_tbENKUlT_T0_E_clISt17integral_constantIbLb0EEST_IbLb1EEEEDaSP_SQ_EUlSP_E_NS1_11comp_targetILNS1_3genE4ELNS1_11target_archE910ELNS1_3gpuE8ELNS1_3repE0EEENS1_30default_config_static_selectorELNS0_4arch9wavefront6targetE1EEEvT1_.kd
    .uniform_work_group_size: 1
    .uses_dynamic_stack: false
    .vgpr_count:     51
    .vgpr_spill_count: 0
    .wavefront_size: 64
  - .agpr_count:     0
    .args:
      - .offset:         0
        .size:           104
        .value_kind:     by_value
    .group_segment_fixed_size: 0
    .kernarg_segment_align: 8
    .kernarg_segment_size: 104
    .language:       OpenCL C
    .language_version:
      - 2
      - 0
    .max_flat_workgroup_size: 256
    .name:           _ZN7rocprim17ROCPRIM_400000_NS6detail17trampoline_kernelINS0_14default_configENS1_20scan_config_selectorIxEEZZNS1_9scan_implILNS1_25lookback_scan_determinismE0ELb1ELb1ES3_N6thrust23THRUST_200600_302600_NS6detail15normal_iteratorINS9_10device_ptrIxEEEESE_xNS9_4plusIvEExEEDaPvRmT3_T4_T5_mT6_P12ihipStream_tbENKUlT_T0_E_clISt17integral_constantIbLb0EEST_IbLb1EEEEDaSP_SQ_EUlSP_E_NS1_11comp_targetILNS1_3genE3ELNS1_11target_archE908ELNS1_3gpuE7ELNS1_3repE0EEENS1_30default_config_static_selectorELNS0_4arch9wavefront6targetE1EEEvT1_
    .private_segment_fixed_size: 0
    .sgpr_count:     4
    .sgpr_spill_count: 0
    .symbol:         _ZN7rocprim17ROCPRIM_400000_NS6detail17trampoline_kernelINS0_14default_configENS1_20scan_config_selectorIxEEZZNS1_9scan_implILNS1_25lookback_scan_determinismE0ELb1ELb1ES3_N6thrust23THRUST_200600_302600_NS6detail15normal_iteratorINS9_10device_ptrIxEEEESE_xNS9_4plusIvEExEEDaPvRmT3_T4_T5_mT6_P12ihipStream_tbENKUlT_T0_E_clISt17integral_constantIbLb0EEST_IbLb1EEEEDaSP_SQ_EUlSP_E_NS1_11comp_targetILNS1_3genE3ELNS1_11target_archE908ELNS1_3gpuE7ELNS1_3repE0EEENS1_30default_config_static_selectorELNS0_4arch9wavefront6targetE1EEEvT1_.kd
    .uniform_work_group_size: 1
    .uses_dynamic_stack: false
    .vgpr_count:     0
    .vgpr_spill_count: 0
    .wavefront_size: 64
  - .agpr_count:     0
    .args:
      - .offset:         0
        .size:           104
        .value_kind:     by_value
    .group_segment_fixed_size: 0
    .kernarg_segment_align: 8
    .kernarg_segment_size: 104
    .language:       OpenCL C
    .language_version:
      - 2
      - 0
    .max_flat_workgroup_size: 64
    .name:           _ZN7rocprim17ROCPRIM_400000_NS6detail17trampoline_kernelINS0_14default_configENS1_20scan_config_selectorIxEEZZNS1_9scan_implILNS1_25lookback_scan_determinismE0ELb1ELb1ES3_N6thrust23THRUST_200600_302600_NS6detail15normal_iteratorINS9_10device_ptrIxEEEESE_xNS9_4plusIvEExEEDaPvRmT3_T4_T5_mT6_P12ihipStream_tbENKUlT_T0_E_clISt17integral_constantIbLb0EEST_IbLb1EEEEDaSP_SQ_EUlSP_E_NS1_11comp_targetILNS1_3genE2ELNS1_11target_archE906ELNS1_3gpuE6ELNS1_3repE0EEENS1_30default_config_static_selectorELNS0_4arch9wavefront6targetE1EEEvT1_
    .private_segment_fixed_size: 0
    .sgpr_count:     4
    .sgpr_spill_count: 0
    .symbol:         _ZN7rocprim17ROCPRIM_400000_NS6detail17trampoline_kernelINS0_14default_configENS1_20scan_config_selectorIxEEZZNS1_9scan_implILNS1_25lookback_scan_determinismE0ELb1ELb1ES3_N6thrust23THRUST_200600_302600_NS6detail15normal_iteratorINS9_10device_ptrIxEEEESE_xNS9_4plusIvEExEEDaPvRmT3_T4_T5_mT6_P12ihipStream_tbENKUlT_T0_E_clISt17integral_constantIbLb0EEST_IbLb1EEEEDaSP_SQ_EUlSP_E_NS1_11comp_targetILNS1_3genE2ELNS1_11target_archE906ELNS1_3gpuE6ELNS1_3repE0EEENS1_30default_config_static_selectorELNS0_4arch9wavefront6targetE1EEEvT1_.kd
    .uniform_work_group_size: 1
    .uses_dynamic_stack: false
    .vgpr_count:     0
    .vgpr_spill_count: 0
    .wavefront_size: 64
  - .agpr_count:     0
    .args:
      - .offset:         0
        .size:           104
        .value_kind:     by_value
    .group_segment_fixed_size: 0
    .kernarg_segment_align: 8
    .kernarg_segment_size: 104
    .language:       OpenCL C
    .language_version:
      - 2
      - 0
    .max_flat_workgroup_size: 256
    .name:           _ZN7rocprim17ROCPRIM_400000_NS6detail17trampoline_kernelINS0_14default_configENS1_20scan_config_selectorIxEEZZNS1_9scan_implILNS1_25lookback_scan_determinismE0ELb1ELb1ES3_N6thrust23THRUST_200600_302600_NS6detail15normal_iteratorINS9_10device_ptrIxEEEESE_xNS9_4plusIvEExEEDaPvRmT3_T4_T5_mT6_P12ihipStream_tbENKUlT_T0_E_clISt17integral_constantIbLb0EEST_IbLb1EEEEDaSP_SQ_EUlSP_E_NS1_11comp_targetILNS1_3genE10ELNS1_11target_archE1201ELNS1_3gpuE5ELNS1_3repE0EEENS1_30default_config_static_selectorELNS0_4arch9wavefront6targetE1EEEvT1_
    .private_segment_fixed_size: 0
    .sgpr_count:     4
    .sgpr_spill_count: 0
    .symbol:         _ZN7rocprim17ROCPRIM_400000_NS6detail17trampoline_kernelINS0_14default_configENS1_20scan_config_selectorIxEEZZNS1_9scan_implILNS1_25lookback_scan_determinismE0ELb1ELb1ES3_N6thrust23THRUST_200600_302600_NS6detail15normal_iteratorINS9_10device_ptrIxEEEESE_xNS9_4plusIvEExEEDaPvRmT3_T4_T5_mT6_P12ihipStream_tbENKUlT_T0_E_clISt17integral_constantIbLb0EEST_IbLb1EEEEDaSP_SQ_EUlSP_E_NS1_11comp_targetILNS1_3genE10ELNS1_11target_archE1201ELNS1_3gpuE5ELNS1_3repE0EEENS1_30default_config_static_selectorELNS0_4arch9wavefront6targetE1EEEvT1_.kd
    .uniform_work_group_size: 1
    .uses_dynamic_stack: false
    .vgpr_count:     0
    .vgpr_spill_count: 0
    .wavefront_size: 64
  - .agpr_count:     0
    .args:
      - .offset:         0
        .size:           104
        .value_kind:     by_value
    .group_segment_fixed_size: 0
    .kernarg_segment_align: 8
    .kernarg_segment_size: 104
    .language:       OpenCL C
    .language_version:
      - 2
      - 0
    .max_flat_workgroup_size: 256
    .name:           _ZN7rocprim17ROCPRIM_400000_NS6detail17trampoline_kernelINS0_14default_configENS1_20scan_config_selectorIxEEZZNS1_9scan_implILNS1_25lookback_scan_determinismE0ELb1ELb1ES3_N6thrust23THRUST_200600_302600_NS6detail15normal_iteratorINS9_10device_ptrIxEEEESE_xNS9_4plusIvEExEEDaPvRmT3_T4_T5_mT6_P12ihipStream_tbENKUlT_T0_E_clISt17integral_constantIbLb0EEST_IbLb1EEEEDaSP_SQ_EUlSP_E_NS1_11comp_targetILNS1_3genE10ELNS1_11target_archE1200ELNS1_3gpuE4ELNS1_3repE0EEENS1_30default_config_static_selectorELNS0_4arch9wavefront6targetE1EEEvT1_
    .private_segment_fixed_size: 0
    .sgpr_count:     4
    .sgpr_spill_count: 0
    .symbol:         _ZN7rocprim17ROCPRIM_400000_NS6detail17trampoline_kernelINS0_14default_configENS1_20scan_config_selectorIxEEZZNS1_9scan_implILNS1_25lookback_scan_determinismE0ELb1ELb1ES3_N6thrust23THRUST_200600_302600_NS6detail15normal_iteratorINS9_10device_ptrIxEEEESE_xNS9_4plusIvEExEEDaPvRmT3_T4_T5_mT6_P12ihipStream_tbENKUlT_T0_E_clISt17integral_constantIbLb0EEST_IbLb1EEEEDaSP_SQ_EUlSP_E_NS1_11comp_targetILNS1_3genE10ELNS1_11target_archE1200ELNS1_3gpuE4ELNS1_3repE0EEENS1_30default_config_static_selectorELNS0_4arch9wavefront6targetE1EEEvT1_.kd
    .uniform_work_group_size: 1
    .uses_dynamic_stack: false
    .vgpr_count:     0
    .vgpr_spill_count: 0
    .wavefront_size: 64
  - .agpr_count:     0
    .args:
      - .offset:         0
        .size:           104
        .value_kind:     by_value
    .group_segment_fixed_size: 0
    .kernarg_segment_align: 8
    .kernarg_segment_size: 104
    .language:       OpenCL C
    .language_version:
      - 2
      - 0
    .max_flat_workgroup_size: 256
    .name:           _ZN7rocprim17ROCPRIM_400000_NS6detail17trampoline_kernelINS0_14default_configENS1_20scan_config_selectorIxEEZZNS1_9scan_implILNS1_25lookback_scan_determinismE0ELb1ELb1ES3_N6thrust23THRUST_200600_302600_NS6detail15normal_iteratorINS9_10device_ptrIxEEEESE_xNS9_4plusIvEExEEDaPvRmT3_T4_T5_mT6_P12ihipStream_tbENKUlT_T0_E_clISt17integral_constantIbLb0EEST_IbLb1EEEEDaSP_SQ_EUlSP_E_NS1_11comp_targetILNS1_3genE9ELNS1_11target_archE1100ELNS1_3gpuE3ELNS1_3repE0EEENS1_30default_config_static_selectorELNS0_4arch9wavefront6targetE1EEEvT1_
    .private_segment_fixed_size: 0
    .sgpr_count:     4
    .sgpr_spill_count: 0
    .symbol:         _ZN7rocprim17ROCPRIM_400000_NS6detail17trampoline_kernelINS0_14default_configENS1_20scan_config_selectorIxEEZZNS1_9scan_implILNS1_25lookback_scan_determinismE0ELb1ELb1ES3_N6thrust23THRUST_200600_302600_NS6detail15normal_iteratorINS9_10device_ptrIxEEEESE_xNS9_4plusIvEExEEDaPvRmT3_T4_T5_mT6_P12ihipStream_tbENKUlT_T0_E_clISt17integral_constantIbLb0EEST_IbLb1EEEEDaSP_SQ_EUlSP_E_NS1_11comp_targetILNS1_3genE9ELNS1_11target_archE1100ELNS1_3gpuE3ELNS1_3repE0EEENS1_30default_config_static_selectorELNS0_4arch9wavefront6targetE1EEEvT1_.kd
    .uniform_work_group_size: 1
    .uses_dynamic_stack: false
    .vgpr_count:     0
    .vgpr_spill_count: 0
    .wavefront_size: 64
  - .agpr_count:     0
    .args:
      - .offset:         0
        .size:           104
        .value_kind:     by_value
    .group_segment_fixed_size: 0
    .kernarg_segment_align: 8
    .kernarg_segment_size: 104
    .language:       OpenCL C
    .language_version:
      - 2
      - 0
    .max_flat_workgroup_size: 256
    .name:           _ZN7rocprim17ROCPRIM_400000_NS6detail17trampoline_kernelINS0_14default_configENS1_20scan_config_selectorIxEEZZNS1_9scan_implILNS1_25lookback_scan_determinismE0ELb1ELb1ES3_N6thrust23THRUST_200600_302600_NS6detail15normal_iteratorINS9_10device_ptrIxEEEESE_xNS9_4plusIvEExEEDaPvRmT3_T4_T5_mT6_P12ihipStream_tbENKUlT_T0_E_clISt17integral_constantIbLb0EEST_IbLb1EEEEDaSP_SQ_EUlSP_E_NS1_11comp_targetILNS1_3genE8ELNS1_11target_archE1030ELNS1_3gpuE2ELNS1_3repE0EEENS1_30default_config_static_selectorELNS0_4arch9wavefront6targetE1EEEvT1_
    .private_segment_fixed_size: 0
    .sgpr_count:     4
    .sgpr_spill_count: 0
    .symbol:         _ZN7rocprim17ROCPRIM_400000_NS6detail17trampoline_kernelINS0_14default_configENS1_20scan_config_selectorIxEEZZNS1_9scan_implILNS1_25lookback_scan_determinismE0ELb1ELb1ES3_N6thrust23THRUST_200600_302600_NS6detail15normal_iteratorINS9_10device_ptrIxEEEESE_xNS9_4plusIvEExEEDaPvRmT3_T4_T5_mT6_P12ihipStream_tbENKUlT_T0_E_clISt17integral_constantIbLb0EEST_IbLb1EEEEDaSP_SQ_EUlSP_E_NS1_11comp_targetILNS1_3genE8ELNS1_11target_archE1030ELNS1_3gpuE2ELNS1_3repE0EEENS1_30default_config_static_selectorELNS0_4arch9wavefront6targetE1EEEvT1_.kd
    .uniform_work_group_size: 1
    .uses_dynamic_stack: false
    .vgpr_count:     0
    .vgpr_spill_count: 0
    .wavefront_size: 64
  - .agpr_count:     0
    .args:
      - .offset:         0
        .size:           40
        .value_kind:     by_value
    .group_segment_fixed_size: 0
    .kernarg_segment_align: 8
    .kernarg_segment_size: 40
    .language:       OpenCL C
    .language_version:
      - 2
      - 0
    .max_flat_workgroup_size: 256
    .name:           _ZN7rocprim17ROCPRIM_400000_NS6detail17trampoline_kernelINS0_14default_configENS1_20scan_config_selectorIxEEZZNS1_9scan_implILNS1_25lookback_scan_determinismE0ELb1ELb1ES3_N6thrust23THRUST_200600_302600_NS6detail15normal_iteratorINS9_10device_ptrIxEEEESE_xNS9_4plusIvEExEEDaPvRmT3_T4_T5_mT6_P12ihipStream_tbENKUlT_T0_E_clISt17integral_constantIbLb0EEST_IbLb1EEEEDaSP_SQ_EUlSP_E0_NS1_11comp_targetILNS1_3genE0ELNS1_11target_archE4294967295ELNS1_3gpuE0ELNS1_3repE0EEENS1_30default_config_static_selectorELNS0_4arch9wavefront6targetE1EEEvT1_
    .private_segment_fixed_size: 0
    .sgpr_count:     4
    .sgpr_spill_count: 0
    .symbol:         _ZN7rocprim17ROCPRIM_400000_NS6detail17trampoline_kernelINS0_14default_configENS1_20scan_config_selectorIxEEZZNS1_9scan_implILNS1_25lookback_scan_determinismE0ELb1ELb1ES3_N6thrust23THRUST_200600_302600_NS6detail15normal_iteratorINS9_10device_ptrIxEEEESE_xNS9_4plusIvEExEEDaPvRmT3_T4_T5_mT6_P12ihipStream_tbENKUlT_T0_E_clISt17integral_constantIbLb0EEST_IbLb1EEEEDaSP_SQ_EUlSP_E0_NS1_11comp_targetILNS1_3genE0ELNS1_11target_archE4294967295ELNS1_3gpuE0ELNS1_3repE0EEENS1_30default_config_static_selectorELNS0_4arch9wavefront6targetE1EEEvT1_.kd
    .uniform_work_group_size: 1
    .uses_dynamic_stack: false
    .vgpr_count:     0
    .vgpr_spill_count: 0
    .wavefront_size: 64
  - .agpr_count:     0
    .args:
      - .offset:         0
        .size:           40
        .value_kind:     by_value
    .group_segment_fixed_size: 0
    .kernarg_segment_align: 8
    .kernarg_segment_size: 40
    .language:       OpenCL C
    .language_version:
      - 2
      - 0
    .max_flat_workgroup_size: 256
    .name:           _ZN7rocprim17ROCPRIM_400000_NS6detail17trampoline_kernelINS0_14default_configENS1_20scan_config_selectorIxEEZZNS1_9scan_implILNS1_25lookback_scan_determinismE0ELb1ELb1ES3_N6thrust23THRUST_200600_302600_NS6detail15normal_iteratorINS9_10device_ptrIxEEEESE_xNS9_4plusIvEExEEDaPvRmT3_T4_T5_mT6_P12ihipStream_tbENKUlT_T0_E_clISt17integral_constantIbLb0EEST_IbLb1EEEEDaSP_SQ_EUlSP_E0_NS1_11comp_targetILNS1_3genE5ELNS1_11target_archE942ELNS1_3gpuE9ELNS1_3repE0EEENS1_30default_config_static_selectorELNS0_4arch9wavefront6targetE1EEEvT1_
    .private_segment_fixed_size: 0
    .sgpr_count:     4
    .sgpr_spill_count: 0
    .symbol:         _ZN7rocprim17ROCPRIM_400000_NS6detail17trampoline_kernelINS0_14default_configENS1_20scan_config_selectorIxEEZZNS1_9scan_implILNS1_25lookback_scan_determinismE0ELb1ELb1ES3_N6thrust23THRUST_200600_302600_NS6detail15normal_iteratorINS9_10device_ptrIxEEEESE_xNS9_4plusIvEExEEDaPvRmT3_T4_T5_mT6_P12ihipStream_tbENKUlT_T0_E_clISt17integral_constantIbLb0EEST_IbLb1EEEEDaSP_SQ_EUlSP_E0_NS1_11comp_targetILNS1_3genE5ELNS1_11target_archE942ELNS1_3gpuE9ELNS1_3repE0EEENS1_30default_config_static_selectorELNS0_4arch9wavefront6targetE1EEEvT1_.kd
    .uniform_work_group_size: 1
    .uses_dynamic_stack: false
    .vgpr_count:     0
    .vgpr_spill_count: 0
    .wavefront_size: 64
  - .agpr_count:     0
    .args:
      - .offset:         0
        .size:           40
        .value_kind:     by_value
    .group_segment_fixed_size: 7168
    .kernarg_segment_align: 8
    .kernarg_segment_size: 40
    .language:       OpenCL C
    .language_version:
      - 2
      - 0
    .max_flat_workgroup_size: 128
    .name:           _ZN7rocprim17ROCPRIM_400000_NS6detail17trampoline_kernelINS0_14default_configENS1_20scan_config_selectorIxEEZZNS1_9scan_implILNS1_25lookback_scan_determinismE0ELb1ELb1ES3_N6thrust23THRUST_200600_302600_NS6detail15normal_iteratorINS9_10device_ptrIxEEEESE_xNS9_4plusIvEExEEDaPvRmT3_T4_T5_mT6_P12ihipStream_tbENKUlT_T0_E_clISt17integral_constantIbLb0EEST_IbLb1EEEEDaSP_SQ_EUlSP_E0_NS1_11comp_targetILNS1_3genE4ELNS1_11target_archE910ELNS1_3gpuE8ELNS1_3repE0EEENS1_30default_config_static_selectorELNS0_4arch9wavefront6targetE1EEEvT1_
    .private_segment_fixed_size: 0
    .sgpr_count:     28
    .sgpr_spill_count: 0
    .symbol:         _ZN7rocprim17ROCPRIM_400000_NS6detail17trampoline_kernelINS0_14default_configENS1_20scan_config_selectorIxEEZZNS1_9scan_implILNS1_25lookback_scan_determinismE0ELb1ELb1ES3_N6thrust23THRUST_200600_302600_NS6detail15normal_iteratorINS9_10device_ptrIxEEEESE_xNS9_4plusIvEExEEDaPvRmT3_T4_T5_mT6_P12ihipStream_tbENKUlT_T0_E_clISt17integral_constantIbLb0EEST_IbLb1EEEEDaSP_SQ_EUlSP_E0_NS1_11comp_targetILNS1_3genE4ELNS1_11target_archE910ELNS1_3gpuE8ELNS1_3repE0EEENS1_30default_config_static_selectorELNS0_4arch9wavefront6targetE1EEEvT1_.kd
    .uniform_work_group_size: 1
    .uses_dynamic_stack: false
    .vgpr_count:     29
    .vgpr_spill_count: 0
    .wavefront_size: 64
  - .agpr_count:     0
    .args:
      - .offset:         0
        .size:           40
        .value_kind:     by_value
    .group_segment_fixed_size: 0
    .kernarg_segment_align: 8
    .kernarg_segment_size: 40
    .language:       OpenCL C
    .language_version:
      - 2
      - 0
    .max_flat_workgroup_size: 256
    .name:           _ZN7rocprim17ROCPRIM_400000_NS6detail17trampoline_kernelINS0_14default_configENS1_20scan_config_selectorIxEEZZNS1_9scan_implILNS1_25lookback_scan_determinismE0ELb1ELb1ES3_N6thrust23THRUST_200600_302600_NS6detail15normal_iteratorINS9_10device_ptrIxEEEESE_xNS9_4plusIvEExEEDaPvRmT3_T4_T5_mT6_P12ihipStream_tbENKUlT_T0_E_clISt17integral_constantIbLb0EEST_IbLb1EEEEDaSP_SQ_EUlSP_E0_NS1_11comp_targetILNS1_3genE3ELNS1_11target_archE908ELNS1_3gpuE7ELNS1_3repE0EEENS1_30default_config_static_selectorELNS0_4arch9wavefront6targetE1EEEvT1_
    .private_segment_fixed_size: 0
    .sgpr_count:     4
    .sgpr_spill_count: 0
    .symbol:         _ZN7rocprim17ROCPRIM_400000_NS6detail17trampoline_kernelINS0_14default_configENS1_20scan_config_selectorIxEEZZNS1_9scan_implILNS1_25lookback_scan_determinismE0ELb1ELb1ES3_N6thrust23THRUST_200600_302600_NS6detail15normal_iteratorINS9_10device_ptrIxEEEESE_xNS9_4plusIvEExEEDaPvRmT3_T4_T5_mT6_P12ihipStream_tbENKUlT_T0_E_clISt17integral_constantIbLb0EEST_IbLb1EEEEDaSP_SQ_EUlSP_E0_NS1_11comp_targetILNS1_3genE3ELNS1_11target_archE908ELNS1_3gpuE7ELNS1_3repE0EEENS1_30default_config_static_selectorELNS0_4arch9wavefront6targetE1EEEvT1_.kd
    .uniform_work_group_size: 1
    .uses_dynamic_stack: false
    .vgpr_count:     0
    .vgpr_spill_count: 0
    .wavefront_size: 64
  - .agpr_count:     0
    .args:
      - .offset:         0
        .size:           40
        .value_kind:     by_value
    .group_segment_fixed_size: 0
    .kernarg_segment_align: 8
    .kernarg_segment_size: 40
    .language:       OpenCL C
    .language_version:
      - 2
      - 0
    .max_flat_workgroup_size: 64
    .name:           _ZN7rocprim17ROCPRIM_400000_NS6detail17trampoline_kernelINS0_14default_configENS1_20scan_config_selectorIxEEZZNS1_9scan_implILNS1_25lookback_scan_determinismE0ELb1ELb1ES3_N6thrust23THRUST_200600_302600_NS6detail15normal_iteratorINS9_10device_ptrIxEEEESE_xNS9_4plusIvEExEEDaPvRmT3_T4_T5_mT6_P12ihipStream_tbENKUlT_T0_E_clISt17integral_constantIbLb0EEST_IbLb1EEEEDaSP_SQ_EUlSP_E0_NS1_11comp_targetILNS1_3genE2ELNS1_11target_archE906ELNS1_3gpuE6ELNS1_3repE0EEENS1_30default_config_static_selectorELNS0_4arch9wavefront6targetE1EEEvT1_
    .private_segment_fixed_size: 0
    .sgpr_count:     4
    .sgpr_spill_count: 0
    .symbol:         _ZN7rocprim17ROCPRIM_400000_NS6detail17trampoline_kernelINS0_14default_configENS1_20scan_config_selectorIxEEZZNS1_9scan_implILNS1_25lookback_scan_determinismE0ELb1ELb1ES3_N6thrust23THRUST_200600_302600_NS6detail15normal_iteratorINS9_10device_ptrIxEEEESE_xNS9_4plusIvEExEEDaPvRmT3_T4_T5_mT6_P12ihipStream_tbENKUlT_T0_E_clISt17integral_constantIbLb0EEST_IbLb1EEEEDaSP_SQ_EUlSP_E0_NS1_11comp_targetILNS1_3genE2ELNS1_11target_archE906ELNS1_3gpuE6ELNS1_3repE0EEENS1_30default_config_static_selectorELNS0_4arch9wavefront6targetE1EEEvT1_.kd
    .uniform_work_group_size: 1
    .uses_dynamic_stack: false
    .vgpr_count:     0
    .vgpr_spill_count: 0
    .wavefront_size: 64
  - .agpr_count:     0
    .args:
      - .offset:         0
        .size:           40
        .value_kind:     by_value
    .group_segment_fixed_size: 0
    .kernarg_segment_align: 8
    .kernarg_segment_size: 40
    .language:       OpenCL C
    .language_version:
      - 2
      - 0
    .max_flat_workgroup_size: 256
    .name:           _ZN7rocprim17ROCPRIM_400000_NS6detail17trampoline_kernelINS0_14default_configENS1_20scan_config_selectorIxEEZZNS1_9scan_implILNS1_25lookback_scan_determinismE0ELb1ELb1ES3_N6thrust23THRUST_200600_302600_NS6detail15normal_iteratorINS9_10device_ptrIxEEEESE_xNS9_4plusIvEExEEDaPvRmT3_T4_T5_mT6_P12ihipStream_tbENKUlT_T0_E_clISt17integral_constantIbLb0EEST_IbLb1EEEEDaSP_SQ_EUlSP_E0_NS1_11comp_targetILNS1_3genE10ELNS1_11target_archE1201ELNS1_3gpuE5ELNS1_3repE0EEENS1_30default_config_static_selectorELNS0_4arch9wavefront6targetE1EEEvT1_
    .private_segment_fixed_size: 0
    .sgpr_count:     4
    .sgpr_spill_count: 0
    .symbol:         _ZN7rocprim17ROCPRIM_400000_NS6detail17trampoline_kernelINS0_14default_configENS1_20scan_config_selectorIxEEZZNS1_9scan_implILNS1_25lookback_scan_determinismE0ELb1ELb1ES3_N6thrust23THRUST_200600_302600_NS6detail15normal_iteratorINS9_10device_ptrIxEEEESE_xNS9_4plusIvEExEEDaPvRmT3_T4_T5_mT6_P12ihipStream_tbENKUlT_T0_E_clISt17integral_constantIbLb0EEST_IbLb1EEEEDaSP_SQ_EUlSP_E0_NS1_11comp_targetILNS1_3genE10ELNS1_11target_archE1201ELNS1_3gpuE5ELNS1_3repE0EEENS1_30default_config_static_selectorELNS0_4arch9wavefront6targetE1EEEvT1_.kd
    .uniform_work_group_size: 1
    .uses_dynamic_stack: false
    .vgpr_count:     0
    .vgpr_spill_count: 0
    .wavefront_size: 64
  - .agpr_count:     0
    .args:
      - .offset:         0
        .size:           40
        .value_kind:     by_value
    .group_segment_fixed_size: 0
    .kernarg_segment_align: 8
    .kernarg_segment_size: 40
    .language:       OpenCL C
    .language_version:
      - 2
      - 0
    .max_flat_workgroup_size: 256
    .name:           _ZN7rocprim17ROCPRIM_400000_NS6detail17trampoline_kernelINS0_14default_configENS1_20scan_config_selectorIxEEZZNS1_9scan_implILNS1_25lookback_scan_determinismE0ELb1ELb1ES3_N6thrust23THRUST_200600_302600_NS6detail15normal_iteratorINS9_10device_ptrIxEEEESE_xNS9_4plusIvEExEEDaPvRmT3_T4_T5_mT6_P12ihipStream_tbENKUlT_T0_E_clISt17integral_constantIbLb0EEST_IbLb1EEEEDaSP_SQ_EUlSP_E0_NS1_11comp_targetILNS1_3genE10ELNS1_11target_archE1200ELNS1_3gpuE4ELNS1_3repE0EEENS1_30default_config_static_selectorELNS0_4arch9wavefront6targetE1EEEvT1_
    .private_segment_fixed_size: 0
    .sgpr_count:     4
    .sgpr_spill_count: 0
    .symbol:         _ZN7rocprim17ROCPRIM_400000_NS6detail17trampoline_kernelINS0_14default_configENS1_20scan_config_selectorIxEEZZNS1_9scan_implILNS1_25lookback_scan_determinismE0ELb1ELb1ES3_N6thrust23THRUST_200600_302600_NS6detail15normal_iteratorINS9_10device_ptrIxEEEESE_xNS9_4plusIvEExEEDaPvRmT3_T4_T5_mT6_P12ihipStream_tbENKUlT_T0_E_clISt17integral_constantIbLb0EEST_IbLb1EEEEDaSP_SQ_EUlSP_E0_NS1_11comp_targetILNS1_3genE10ELNS1_11target_archE1200ELNS1_3gpuE4ELNS1_3repE0EEENS1_30default_config_static_selectorELNS0_4arch9wavefront6targetE1EEEvT1_.kd
    .uniform_work_group_size: 1
    .uses_dynamic_stack: false
    .vgpr_count:     0
    .vgpr_spill_count: 0
    .wavefront_size: 64
  - .agpr_count:     0
    .args:
      - .offset:         0
        .size:           40
        .value_kind:     by_value
    .group_segment_fixed_size: 0
    .kernarg_segment_align: 8
    .kernarg_segment_size: 40
    .language:       OpenCL C
    .language_version:
      - 2
      - 0
    .max_flat_workgroup_size: 256
    .name:           _ZN7rocprim17ROCPRIM_400000_NS6detail17trampoline_kernelINS0_14default_configENS1_20scan_config_selectorIxEEZZNS1_9scan_implILNS1_25lookback_scan_determinismE0ELb1ELb1ES3_N6thrust23THRUST_200600_302600_NS6detail15normal_iteratorINS9_10device_ptrIxEEEESE_xNS9_4plusIvEExEEDaPvRmT3_T4_T5_mT6_P12ihipStream_tbENKUlT_T0_E_clISt17integral_constantIbLb0EEST_IbLb1EEEEDaSP_SQ_EUlSP_E0_NS1_11comp_targetILNS1_3genE9ELNS1_11target_archE1100ELNS1_3gpuE3ELNS1_3repE0EEENS1_30default_config_static_selectorELNS0_4arch9wavefront6targetE1EEEvT1_
    .private_segment_fixed_size: 0
    .sgpr_count:     4
    .sgpr_spill_count: 0
    .symbol:         _ZN7rocprim17ROCPRIM_400000_NS6detail17trampoline_kernelINS0_14default_configENS1_20scan_config_selectorIxEEZZNS1_9scan_implILNS1_25lookback_scan_determinismE0ELb1ELb1ES3_N6thrust23THRUST_200600_302600_NS6detail15normal_iteratorINS9_10device_ptrIxEEEESE_xNS9_4plusIvEExEEDaPvRmT3_T4_T5_mT6_P12ihipStream_tbENKUlT_T0_E_clISt17integral_constantIbLb0EEST_IbLb1EEEEDaSP_SQ_EUlSP_E0_NS1_11comp_targetILNS1_3genE9ELNS1_11target_archE1100ELNS1_3gpuE3ELNS1_3repE0EEENS1_30default_config_static_selectorELNS0_4arch9wavefront6targetE1EEEvT1_.kd
    .uniform_work_group_size: 1
    .uses_dynamic_stack: false
    .vgpr_count:     0
    .vgpr_spill_count: 0
    .wavefront_size: 64
  - .agpr_count:     0
    .args:
      - .offset:         0
        .size:           40
        .value_kind:     by_value
    .group_segment_fixed_size: 0
    .kernarg_segment_align: 8
    .kernarg_segment_size: 40
    .language:       OpenCL C
    .language_version:
      - 2
      - 0
    .max_flat_workgroup_size: 256
    .name:           _ZN7rocprim17ROCPRIM_400000_NS6detail17trampoline_kernelINS0_14default_configENS1_20scan_config_selectorIxEEZZNS1_9scan_implILNS1_25lookback_scan_determinismE0ELb1ELb1ES3_N6thrust23THRUST_200600_302600_NS6detail15normal_iteratorINS9_10device_ptrIxEEEESE_xNS9_4plusIvEExEEDaPvRmT3_T4_T5_mT6_P12ihipStream_tbENKUlT_T0_E_clISt17integral_constantIbLb0EEST_IbLb1EEEEDaSP_SQ_EUlSP_E0_NS1_11comp_targetILNS1_3genE8ELNS1_11target_archE1030ELNS1_3gpuE2ELNS1_3repE0EEENS1_30default_config_static_selectorELNS0_4arch9wavefront6targetE1EEEvT1_
    .private_segment_fixed_size: 0
    .sgpr_count:     4
    .sgpr_spill_count: 0
    .symbol:         _ZN7rocprim17ROCPRIM_400000_NS6detail17trampoline_kernelINS0_14default_configENS1_20scan_config_selectorIxEEZZNS1_9scan_implILNS1_25lookback_scan_determinismE0ELb1ELb1ES3_N6thrust23THRUST_200600_302600_NS6detail15normal_iteratorINS9_10device_ptrIxEEEESE_xNS9_4plusIvEExEEDaPvRmT3_T4_T5_mT6_P12ihipStream_tbENKUlT_T0_E_clISt17integral_constantIbLb0EEST_IbLb1EEEEDaSP_SQ_EUlSP_E0_NS1_11comp_targetILNS1_3genE8ELNS1_11target_archE1030ELNS1_3gpuE2ELNS1_3repE0EEENS1_30default_config_static_selectorELNS0_4arch9wavefront6targetE1EEEvT1_.kd
    .uniform_work_group_size: 1
    .uses_dynamic_stack: false
    .vgpr_count:     0
    .vgpr_spill_count: 0
    .wavefront_size: 64
  - .agpr_count:     0
    .args:
      - .offset:         0
        .size:           104
        .value_kind:     by_value
    .group_segment_fixed_size: 0
    .kernarg_segment_align: 8
    .kernarg_segment_size: 104
    .language:       OpenCL C
    .language_version:
      - 2
      - 0
    .max_flat_workgroup_size: 256
    .name:           _ZN7rocprim17ROCPRIM_400000_NS6detail17trampoline_kernelINS0_14default_configENS1_20scan_config_selectorIxEEZZNS1_9scan_implILNS1_25lookback_scan_determinismE0ELb0ELb0ES3_N6thrust23THRUST_200600_302600_NS6detail15normal_iteratorINS9_10device_ptrIxEEEESE_xNS9_4plusIxEExEEDaPvRmT3_T4_T5_mT6_P12ihipStream_tbENKUlT_T0_E_clISt17integral_constantIbLb0EESU_EEDaSP_SQ_EUlSP_E_NS1_11comp_targetILNS1_3genE0ELNS1_11target_archE4294967295ELNS1_3gpuE0ELNS1_3repE0EEENS1_30default_config_static_selectorELNS0_4arch9wavefront6targetE1EEEvT1_
    .private_segment_fixed_size: 0
    .sgpr_count:     4
    .sgpr_spill_count: 0
    .symbol:         _ZN7rocprim17ROCPRIM_400000_NS6detail17trampoline_kernelINS0_14default_configENS1_20scan_config_selectorIxEEZZNS1_9scan_implILNS1_25lookback_scan_determinismE0ELb0ELb0ES3_N6thrust23THRUST_200600_302600_NS6detail15normal_iteratorINS9_10device_ptrIxEEEESE_xNS9_4plusIxEExEEDaPvRmT3_T4_T5_mT6_P12ihipStream_tbENKUlT_T0_E_clISt17integral_constantIbLb0EESU_EEDaSP_SQ_EUlSP_E_NS1_11comp_targetILNS1_3genE0ELNS1_11target_archE4294967295ELNS1_3gpuE0ELNS1_3repE0EEENS1_30default_config_static_selectorELNS0_4arch9wavefront6targetE1EEEvT1_.kd
    .uniform_work_group_size: 1
    .uses_dynamic_stack: false
    .vgpr_count:     0
    .vgpr_spill_count: 0
    .wavefront_size: 64
  - .agpr_count:     0
    .args:
      - .offset:         0
        .size:           104
        .value_kind:     by_value
    .group_segment_fixed_size: 0
    .kernarg_segment_align: 8
    .kernarg_segment_size: 104
    .language:       OpenCL C
    .language_version:
      - 2
      - 0
    .max_flat_workgroup_size: 256
    .name:           _ZN7rocprim17ROCPRIM_400000_NS6detail17trampoline_kernelINS0_14default_configENS1_20scan_config_selectorIxEEZZNS1_9scan_implILNS1_25lookback_scan_determinismE0ELb0ELb0ES3_N6thrust23THRUST_200600_302600_NS6detail15normal_iteratorINS9_10device_ptrIxEEEESE_xNS9_4plusIxEExEEDaPvRmT3_T4_T5_mT6_P12ihipStream_tbENKUlT_T0_E_clISt17integral_constantIbLb0EESU_EEDaSP_SQ_EUlSP_E_NS1_11comp_targetILNS1_3genE5ELNS1_11target_archE942ELNS1_3gpuE9ELNS1_3repE0EEENS1_30default_config_static_selectorELNS0_4arch9wavefront6targetE1EEEvT1_
    .private_segment_fixed_size: 0
    .sgpr_count:     4
    .sgpr_spill_count: 0
    .symbol:         _ZN7rocprim17ROCPRIM_400000_NS6detail17trampoline_kernelINS0_14default_configENS1_20scan_config_selectorIxEEZZNS1_9scan_implILNS1_25lookback_scan_determinismE0ELb0ELb0ES3_N6thrust23THRUST_200600_302600_NS6detail15normal_iteratorINS9_10device_ptrIxEEEESE_xNS9_4plusIxEExEEDaPvRmT3_T4_T5_mT6_P12ihipStream_tbENKUlT_T0_E_clISt17integral_constantIbLb0EESU_EEDaSP_SQ_EUlSP_E_NS1_11comp_targetILNS1_3genE5ELNS1_11target_archE942ELNS1_3gpuE9ELNS1_3repE0EEENS1_30default_config_static_selectorELNS0_4arch9wavefront6targetE1EEEvT1_.kd
    .uniform_work_group_size: 1
    .uses_dynamic_stack: false
    .vgpr_count:     0
    .vgpr_spill_count: 0
    .wavefront_size: 64
  - .agpr_count:     0
    .args:
      - .offset:         0
        .size:           104
        .value_kind:     by_value
    .group_segment_fixed_size: 7168
    .kernarg_segment_align: 8
    .kernarg_segment_size: 104
    .language:       OpenCL C
    .language_version:
      - 2
      - 0
    .max_flat_workgroup_size: 128
    .name:           _ZN7rocprim17ROCPRIM_400000_NS6detail17trampoline_kernelINS0_14default_configENS1_20scan_config_selectorIxEEZZNS1_9scan_implILNS1_25lookback_scan_determinismE0ELb0ELb0ES3_N6thrust23THRUST_200600_302600_NS6detail15normal_iteratorINS9_10device_ptrIxEEEESE_xNS9_4plusIxEExEEDaPvRmT3_T4_T5_mT6_P12ihipStream_tbENKUlT_T0_E_clISt17integral_constantIbLb0EESU_EEDaSP_SQ_EUlSP_E_NS1_11comp_targetILNS1_3genE4ELNS1_11target_archE910ELNS1_3gpuE8ELNS1_3repE0EEENS1_30default_config_static_selectorELNS0_4arch9wavefront6targetE1EEEvT1_
    .private_segment_fixed_size: 0
    .sgpr_count:     32
    .sgpr_spill_count: 0
    .symbol:         _ZN7rocprim17ROCPRIM_400000_NS6detail17trampoline_kernelINS0_14default_configENS1_20scan_config_selectorIxEEZZNS1_9scan_implILNS1_25lookback_scan_determinismE0ELb0ELb0ES3_N6thrust23THRUST_200600_302600_NS6detail15normal_iteratorINS9_10device_ptrIxEEEESE_xNS9_4plusIxEExEEDaPvRmT3_T4_T5_mT6_P12ihipStream_tbENKUlT_T0_E_clISt17integral_constantIbLb0EESU_EEDaSP_SQ_EUlSP_E_NS1_11comp_targetILNS1_3genE4ELNS1_11target_archE910ELNS1_3gpuE8ELNS1_3repE0EEENS1_30default_config_static_selectorELNS0_4arch9wavefront6targetE1EEEvT1_.kd
    .uniform_work_group_size: 1
    .uses_dynamic_stack: false
    .vgpr_count:     51
    .vgpr_spill_count: 0
    .wavefront_size: 64
  - .agpr_count:     0
    .args:
      - .offset:         0
        .size:           104
        .value_kind:     by_value
    .group_segment_fixed_size: 0
    .kernarg_segment_align: 8
    .kernarg_segment_size: 104
    .language:       OpenCL C
    .language_version:
      - 2
      - 0
    .max_flat_workgroup_size: 256
    .name:           _ZN7rocprim17ROCPRIM_400000_NS6detail17trampoline_kernelINS0_14default_configENS1_20scan_config_selectorIxEEZZNS1_9scan_implILNS1_25lookback_scan_determinismE0ELb0ELb0ES3_N6thrust23THRUST_200600_302600_NS6detail15normal_iteratorINS9_10device_ptrIxEEEESE_xNS9_4plusIxEExEEDaPvRmT3_T4_T5_mT6_P12ihipStream_tbENKUlT_T0_E_clISt17integral_constantIbLb0EESU_EEDaSP_SQ_EUlSP_E_NS1_11comp_targetILNS1_3genE3ELNS1_11target_archE908ELNS1_3gpuE7ELNS1_3repE0EEENS1_30default_config_static_selectorELNS0_4arch9wavefront6targetE1EEEvT1_
    .private_segment_fixed_size: 0
    .sgpr_count:     4
    .sgpr_spill_count: 0
    .symbol:         _ZN7rocprim17ROCPRIM_400000_NS6detail17trampoline_kernelINS0_14default_configENS1_20scan_config_selectorIxEEZZNS1_9scan_implILNS1_25lookback_scan_determinismE0ELb0ELb0ES3_N6thrust23THRUST_200600_302600_NS6detail15normal_iteratorINS9_10device_ptrIxEEEESE_xNS9_4plusIxEExEEDaPvRmT3_T4_T5_mT6_P12ihipStream_tbENKUlT_T0_E_clISt17integral_constantIbLb0EESU_EEDaSP_SQ_EUlSP_E_NS1_11comp_targetILNS1_3genE3ELNS1_11target_archE908ELNS1_3gpuE7ELNS1_3repE0EEENS1_30default_config_static_selectorELNS0_4arch9wavefront6targetE1EEEvT1_.kd
    .uniform_work_group_size: 1
    .uses_dynamic_stack: false
    .vgpr_count:     0
    .vgpr_spill_count: 0
    .wavefront_size: 64
  - .agpr_count:     0
    .args:
      - .offset:         0
        .size:           104
        .value_kind:     by_value
    .group_segment_fixed_size: 0
    .kernarg_segment_align: 8
    .kernarg_segment_size: 104
    .language:       OpenCL C
    .language_version:
      - 2
      - 0
    .max_flat_workgroup_size: 64
    .name:           _ZN7rocprim17ROCPRIM_400000_NS6detail17trampoline_kernelINS0_14default_configENS1_20scan_config_selectorIxEEZZNS1_9scan_implILNS1_25lookback_scan_determinismE0ELb0ELb0ES3_N6thrust23THRUST_200600_302600_NS6detail15normal_iteratorINS9_10device_ptrIxEEEESE_xNS9_4plusIxEExEEDaPvRmT3_T4_T5_mT6_P12ihipStream_tbENKUlT_T0_E_clISt17integral_constantIbLb0EESU_EEDaSP_SQ_EUlSP_E_NS1_11comp_targetILNS1_3genE2ELNS1_11target_archE906ELNS1_3gpuE6ELNS1_3repE0EEENS1_30default_config_static_selectorELNS0_4arch9wavefront6targetE1EEEvT1_
    .private_segment_fixed_size: 0
    .sgpr_count:     4
    .sgpr_spill_count: 0
    .symbol:         _ZN7rocprim17ROCPRIM_400000_NS6detail17trampoline_kernelINS0_14default_configENS1_20scan_config_selectorIxEEZZNS1_9scan_implILNS1_25lookback_scan_determinismE0ELb0ELb0ES3_N6thrust23THRUST_200600_302600_NS6detail15normal_iteratorINS9_10device_ptrIxEEEESE_xNS9_4plusIxEExEEDaPvRmT3_T4_T5_mT6_P12ihipStream_tbENKUlT_T0_E_clISt17integral_constantIbLb0EESU_EEDaSP_SQ_EUlSP_E_NS1_11comp_targetILNS1_3genE2ELNS1_11target_archE906ELNS1_3gpuE6ELNS1_3repE0EEENS1_30default_config_static_selectorELNS0_4arch9wavefront6targetE1EEEvT1_.kd
    .uniform_work_group_size: 1
    .uses_dynamic_stack: false
    .vgpr_count:     0
    .vgpr_spill_count: 0
    .wavefront_size: 64
  - .agpr_count:     0
    .args:
      - .offset:         0
        .size:           104
        .value_kind:     by_value
    .group_segment_fixed_size: 0
    .kernarg_segment_align: 8
    .kernarg_segment_size: 104
    .language:       OpenCL C
    .language_version:
      - 2
      - 0
    .max_flat_workgroup_size: 256
    .name:           _ZN7rocprim17ROCPRIM_400000_NS6detail17trampoline_kernelINS0_14default_configENS1_20scan_config_selectorIxEEZZNS1_9scan_implILNS1_25lookback_scan_determinismE0ELb0ELb0ES3_N6thrust23THRUST_200600_302600_NS6detail15normal_iteratorINS9_10device_ptrIxEEEESE_xNS9_4plusIxEExEEDaPvRmT3_T4_T5_mT6_P12ihipStream_tbENKUlT_T0_E_clISt17integral_constantIbLb0EESU_EEDaSP_SQ_EUlSP_E_NS1_11comp_targetILNS1_3genE10ELNS1_11target_archE1201ELNS1_3gpuE5ELNS1_3repE0EEENS1_30default_config_static_selectorELNS0_4arch9wavefront6targetE1EEEvT1_
    .private_segment_fixed_size: 0
    .sgpr_count:     4
    .sgpr_spill_count: 0
    .symbol:         _ZN7rocprim17ROCPRIM_400000_NS6detail17trampoline_kernelINS0_14default_configENS1_20scan_config_selectorIxEEZZNS1_9scan_implILNS1_25lookback_scan_determinismE0ELb0ELb0ES3_N6thrust23THRUST_200600_302600_NS6detail15normal_iteratorINS9_10device_ptrIxEEEESE_xNS9_4plusIxEExEEDaPvRmT3_T4_T5_mT6_P12ihipStream_tbENKUlT_T0_E_clISt17integral_constantIbLb0EESU_EEDaSP_SQ_EUlSP_E_NS1_11comp_targetILNS1_3genE10ELNS1_11target_archE1201ELNS1_3gpuE5ELNS1_3repE0EEENS1_30default_config_static_selectorELNS0_4arch9wavefront6targetE1EEEvT1_.kd
    .uniform_work_group_size: 1
    .uses_dynamic_stack: false
    .vgpr_count:     0
    .vgpr_spill_count: 0
    .wavefront_size: 64
  - .agpr_count:     0
    .args:
      - .offset:         0
        .size:           104
        .value_kind:     by_value
    .group_segment_fixed_size: 0
    .kernarg_segment_align: 8
    .kernarg_segment_size: 104
    .language:       OpenCL C
    .language_version:
      - 2
      - 0
    .max_flat_workgroup_size: 256
    .name:           _ZN7rocprim17ROCPRIM_400000_NS6detail17trampoline_kernelINS0_14default_configENS1_20scan_config_selectorIxEEZZNS1_9scan_implILNS1_25lookback_scan_determinismE0ELb0ELb0ES3_N6thrust23THRUST_200600_302600_NS6detail15normal_iteratorINS9_10device_ptrIxEEEESE_xNS9_4plusIxEExEEDaPvRmT3_T4_T5_mT6_P12ihipStream_tbENKUlT_T0_E_clISt17integral_constantIbLb0EESU_EEDaSP_SQ_EUlSP_E_NS1_11comp_targetILNS1_3genE10ELNS1_11target_archE1200ELNS1_3gpuE4ELNS1_3repE0EEENS1_30default_config_static_selectorELNS0_4arch9wavefront6targetE1EEEvT1_
    .private_segment_fixed_size: 0
    .sgpr_count:     4
    .sgpr_spill_count: 0
    .symbol:         _ZN7rocprim17ROCPRIM_400000_NS6detail17trampoline_kernelINS0_14default_configENS1_20scan_config_selectorIxEEZZNS1_9scan_implILNS1_25lookback_scan_determinismE0ELb0ELb0ES3_N6thrust23THRUST_200600_302600_NS6detail15normal_iteratorINS9_10device_ptrIxEEEESE_xNS9_4plusIxEExEEDaPvRmT3_T4_T5_mT6_P12ihipStream_tbENKUlT_T0_E_clISt17integral_constantIbLb0EESU_EEDaSP_SQ_EUlSP_E_NS1_11comp_targetILNS1_3genE10ELNS1_11target_archE1200ELNS1_3gpuE4ELNS1_3repE0EEENS1_30default_config_static_selectorELNS0_4arch9wavefront6targetE1EEEvT1_.kd
    .uniform_work_group_size: 1
    .uses_dynamic_stack: false
    .vgpr_count:     0
    .vgpr_spill_count: 0
    .wavefront_size: 64
  - .agpr_count:     0
    .args:
      - .offset:         0
        .size:           104
        .value_kind:     by_value
    .group_segment_fixed_size: 0
    .kernarg_segment_align: 8
    .kernarg_segment_size: 104
    .language:       OpenCL C
    .language_version:
      - 2
      - 0
    .max_flat_workgroup_size: 256
    .name:           _ZN7rocprim17ROCPRIM_400000_NS6detail17trampoline_kernelINS0_14default_configENS1_20scan_config_selectorIxEEZZNS1_9scan_implILNS1_25lookback_scan_determinismE0ELb0ELb0ES3_N6thrust23THRUST_200600_302600_NS6detail15normal_iteratorINS9_10device_ptrIxEEEESE_xNS9_4plusIxEExEEDaPvRmT3_T4_T5_mT6_P12ihipStream_tbENKUlT_T0_E_clISt17integral_constantIbLb0EESU_EEDaSP_SQ_EUlSP_E_NS1_11comp_targetILNS1_3genE9ELNS1_11target_archE1100ELNS1_3gpuE3ELNS1_3repE0EEENS1_30default_config_static_selectorELNS0_4arch9wavefront6targetE1EEEvT1_
    .private_segment_fixed_size: 0
    .sgpr_count:     4
    .sgpr_spill_count: 0
    .symbol:         _ZN7rocprim17ROCPRIM_400000_NS6detail17trampoline_kernelINS0_14default_configENS1_20scan_config_selectorIxEEZZNS1_9scan_implILNS1_25lookback_scan_determinismE0ELb0ELb0ES3_N6thrust23THRUST_200600_302600_NS6detail15normal_iteratorINS9_10device_ptrIxEEEESE_xNS9_4plusIxEExEEDaPvRmT3_T4_T5_mT6_P12ihipStream_tbENKUlT_T0_E_clISt17integral_constantIbLb0EESU_EEDaSP_SQ_EUlSP_E_NS1_11comp_targetILNS1_3genE9ELNS1_11target_archE1100ELNS1_3gpuE3ELNS1_3repE0EEENS1_30default_config_static_selectorELNS0_4arch9wavefront6targetE1EEEvT1_.kd
    .uniform_work_group_size: 1
    .uses_dynamic_stack: false
    .vgpr_count:     0
    .vgpr_spill_count: 0
    .wavefront_size: 64
  - .agpr_count:     0
    .args:
      - .offset:         0
        .size:           104
        .value_kind:     by_value
    .group_segment_fixed_size: 0
    .kernarg_segment_align: 8
    .kernarg_segment_size: 104
    .language:       OpenCL C
    .language_version:
      - 2
      - 0
    .max_flat_workgroup_size: 256
    .name:           _ZN7rocprim17ROCPRIM_400000_NS6detail17trampoline_kernelINS0_14default_configENS1_20scan_config_selectorIxEEZZNS1_9scan_implILNS1_25lookback_scan_determinismE0ELb0ELb0ES3_N6thrust23THRUST_200600_302600_NS6detail15normal_iteratorINS9_10device_ptrIxEEEESE_xNS9_4plusIxEExEEDaPvRmT3_T4_T5_mT6_P12ihipStream_tbENKUlT_T0_E_clISt17integral_constantIbLb0EESU_EEDaSP_SQ_EUlSP_E_NS1_11comp_targetILNS1_3genE8ELNS1_11target_archE1030ELNS1_3gpuE2ELNS1_3repE0EEENS1_30default_config_static_selectorELNS0_4arch9wavefront6targetE1EEEvT1_
    .private_segment_fixed_size: 0
    .sgpr_count:     4
    .sgpr_spill_count: 0
    .symbol:         _ZN7rocprim17ROCPRIM_400000_NS6detail17trampoline_kernelINS0_14default_configENS1_20scan_config_selectorIxEEZZNS1_9scan_implILNS1_25lookback_scan_determinismE0ELb0ELb0ES3_N6thrust23THRUST_200600_302600_NS6detail15normal_iteratorINS9_10device_ptrIxEEEESE_xNS9_4plusIxEExEEDaPvRmT3_T4_T5_mT6_P12ihipStream_tbENKUlT_T0_E_clISt17integral_constantIbLb0EESU_EEDaSP_SQ_EUlSP_E_NS1_11comp_targetILNS1_3genE8ELNS1_11target_archE1030ELNS1_3gpuE2ELNS1_3repE0EEENS1_30default_config_static_selectorELNS0_4arch9wavefront6targetE1EEEvT1_.kd
    .uniform_work_group_size: 1
    .uses_dynamic_stack: false
    .vgpr_count:     0
    .vgpr_spill_count: 0
    .wavefront_size: 64
  - .agpr_count:     0
    .args:
      - .offset:         0
        .size:           40
        .value_kind:     by_value
    .group_segment_fixed_size: 0
    .kernarg_segment_align: 8
    .kernarg_segment_size: 40
    .language:       OpenCL C
    .language_version:
      - 2
      - 0
    .max_flat_workgroup_size: 256
    .name:           _ZN7rocprim17ROCPRIM_400000_NS6detail17trampoline_kernelINS0_14default_configENS1_20scan_config_selectorIxEEZZNS1_9scan_implILNS1_25lookback_scan_determinismE0ELb0ELb0ES3_N6thrust23THRUST_200600_302600_NS6detail15normal_iteratorINS9_10device_ptrIxEEEESE_xNS9_4plusIxEExEEDaPvRmT3_T4_T5_mT6_P12ihipStream_tbENKUlT_T0_E_clISt17integral_constantIbLb0EESU_EEDaSP_SQ_EUlSP_E0_NS1_11comp_targetILNS1_3genE0ELNS1_11target_archE4294967295ELNS1_3gpuE0ELNS1_3repE0EEENS1_30default_config_static_selectorELNS0_4arch9wavefront6targetE1EEEvT1_
    .private_segment_fixed_size: 0
    .sgpr_count:     4
    .sgpr_spill_count: 0
    .symbol:         _ZN7rocprim17ROCPRIM_400000_NS6detail17trampoline_kernelINS0_14default_configENS1_20scan_config_selectorIxEEZZNS1_9scan_implILNS1_25lookback_scan_determinismE0ELb0ELb0ES3_N6thrust23THRUST_200600_302600_NS6detail15normal_iteratorINS9_10device_ptrIxEEEESE_xNS9_4plusIxEExEEDaPvRmT3_T4_T5_mT6_P12ihipStream_tbENKUlT_T0_E_clISt17integral_constantIbLb0EESU_EEDaSP_SQ_EUlSP_E0_NS1_11comp_targetILNS1_3genE0ELNS1_11target_archE4294967295ELNS1_3gpuE0ELNS1_3repE0EEENS1_30default_config_static_selectorELNS0_4arch9wavefront6targetE1EEEvT1_.kd
    .uniform_work_group_size: 1
    .uses_dynamic_stack: false
    .vgpr_count:     0
    .vgpr_spill_count: 0
    .wavefront_size: 64
  - .agpr_count:     0
    .args:
      - .offset:         0
        .size:           40
        .value_kind:     by_value
    .group_segment_fixed_size: 0
    .kernarg_segment_align: 8
    .kernarg_segment_size: 40
    .language:       OpenCL C
    .language_version:
      - 2
      - 0
    .max_flat_workgroup_size: 256
    .name:           _ZN7rocprim17ROCPRIM_400000_NS6detail17trampoline_kernelINS0_14default_configENS1_20scan_config_selectorIxEEZZNS1_9scan_implILNS1_25lookback_scan_determinismE0ELb0ELb0ES3_N6thrust23THRUST_200600_302600_NS6detail15normal_iteratorINS9_10device_ptrIxEEEESE_xNS9_4plusIxEExEEDaPvRmT3_T4_T5_mT6_P12ihipStream_tbENKUlT_T0_E_clISt17integral_constantIbLb0EESU_EEDaSP_SQ_EUlSP_E0_NS1_11comp_targetILNS1_3genE5ELNS1_11target_archE942ELNS1_3gpuE9ELNS1_3repE0EEENS1_30default_config_static_selectorELNS0_4arch9wavefront6targetE1EEEvT1_
    .private_segment_fixed_size: 0
    .sgpr_count:     4
    .sgpr_spill_count: 0
    .symbol:         _ZN7rocprim17ROCPRIM_400000_NS6detail17trampoline_kernelINS0_14default_configENS1_20scan_config_selectorIxEEZZNS1_9scan_implILNS1_25lookback_scan_determinismE0ELb0ELb0ES3_N6thrust23THRUST_200600_302600_NS6detail15normal_iteratorINS9_10device_ptrIxEEEESE_xNS9_4plusIxEExEEDaPvRmT3_T4_T5_mT6_P12ihipStream_tbENKUlT_T0_E_clISt17integral_constantIbLb0EESU_EEDaSP_SQ_EUlSP_E0_NS1_11comp_targetILNS1_3genE5ELNS1_11target_archE942ELNS1_3gpuE9ELNS1_3repE0EEENS1_30default_config_static_selectorELNS0_4arch9wavefront6targetE1EEEvT1_.kd
    .uniform_work_group_size: 1
    .uses_dynamic_stack: false
    .vgpr_count:     0
    .vgpr_spill_count: 0
    .wavefront_size: 64
  - .agpr_count:     0
    .args:
      - .offset:         0
        .size:           40
        .value_kind:     by_value
    .group_segment_fixed_size: 7168
    .kernarg_segment_align: 8
    .kernarg_segment_size: 40
    .language:       OpenCL C
    .language_version:
      - 2
      - 0
    .max_flat_workgroup_size: 128
    .name:           _ZN7rocprim17ROCPRIM_400000_NS6detail17trampoline_kernelINS0_14default_configENS1_20scan_config_selectorIxEEZZNS1_9scan_implILNS1_25lookback_scan_determinismE0ELb0ELb0ES3_N6thrust23THRUST_200600_302600_NS6detail15normal_iteratorINS9_10device_ptrIxEEEESE_xNS9_4plusIxEExEEDaPvRmT3_T4_T5_mT6_P12ihipStream_tbENKUlT_T0_E_clISt17integral_constantIbLb0EESU_EEDaSP_SQ_EUlSP_E0_NS1_11comp_targetILNS1_3genE4ELNS1_11target_archE910ELNS1_3gpuE8ELNS1_3repE0EEENS1_30default_config_static_selectorELNS0_4arch9wavefront6targetE1EEEvT1_
    .private_segment_fixed_size: 0
    .sgpr_count:     26
    .sgpr_spill_count: 0
    .symbol:         _ZN7rocprim17ROCPRIM_400000_NS6detail17trampoline_kernelINS0_14default_configENS1_20scan_config_selectorIxEEZZNS1_9scan_implILNS1_25lookback_scan_determinismE0ELb0ELb0ES3_N6thrust23THRUST_200600_302600_NS6detail15normal_iteratorINS9_10device_ptrIxEEEESE_xNS9_4plusIxEExEEDaPvRmT3_T4_T5_mT6_P12ihipStream_tbENKUlT_T0_E_clISt17integral_constantIbLb0EESU_EEDaSP_SQ_EUlSP_E0_NS1_11comp_targetILNS1_3genE4ELNS1_11target_archE910ELNS1_3gpuE8ELNS1_3repE0EEENS1_30default_config_static_selectorELNS0_4arch9wavefront6targetE1EEEvT1_.kd
    .uniform_work_group_size: 1
    .uses_dynamic_stack: false
    .vgpr_count:     41
    .vgpr_spill_count: 0
    .wavefront_size: 64
  - .agpr_count:     0
    .args:
      - .offset:         0
        .size:           40
        .value_kind:     by_value
    .group_segment_fixed_size: 0
    .kernarg_segment_align: 8
    .kernarg_segment_size: 40
    .language:       OpenCL C
    .language_version:
      - 2
      - 0
    .max_flat_workgroup_size: 256
    .name:           _ZN7rocprim17ROCPRIM_400000_NS6detail17trampoline_kernelINS0_14default_configENS1_20scan_config_selectorIxEEZZNS1_9scan_implILNS1_25lookback_scan_determinismE0ELb0ELb0ES3_N6thrust23THRUST_200600_302600_NS6detail15normal_iteratorINS9_10device_ptrIxEEEESE_xNS9_4plusIxEExEEDaPvRmT3_T4_T5_mT6_P12ihipStream_tbENKUlT_T0_E_clISt17integral_constantIbLb0EESU_EEDaSP_SQ_EUlSP_E0_NS1_11comp_targetILNS1_3genE3ELNS1_11target_archE908ELNS1_3gpuE7ELNS1_3repE0EEENS1_30default_config_static_selectorELNS0_4arch9wavefront6targetE1EEEvT1_
    .private_segment_fixed_size: 0
    .sgpr_count:     4
    .sgpr_spill_count: 0
    .symbol:         _ZN7rocprim17ROCPRIM_400000_NS6detail17trampoline_kernelINS0_14default_configENS1_20scan_config_selectorIxEEZZNS1_9scan_implILNS1_25lookback_scan_determinismE0ELb0ELb0ES3_N6thrust23THRUST_200600_302600_NS6detail15normal_iteratorINS9_10device_ptrIxEEEESE_xNS9_4plusIxEExEEDaPvRmT3_T4_T5_mT6_P12ihipStream_tbENKUlT_T0_E_clISt17integral_constantIbLb0EESU_EEDaSP_SQ_EUlSP_E0_NS1_11comp_targetILNS1_3genE3ELNS1_11target_archE908ELNS1_3gpuE7ELNS1_3repE0EEENS1_30default_config_static_selectorELNS0_4arch9wavefront6targetE1EEEvT1_.kd
    .uniform_work_group_size: 1
    .uses_dynamic_stack: false
    .vgpr_count:     0
    .vgpr_spill_count: 0
    .wavefront_size: 64
  - .agpr_count:     0
    .args:
      - .offset:         0
        .size:           40
        .value_kind:     by_value
    .group_segment_fixed_size: 0
    .kernarg_segment_align: 8
    .kernarg_segment_size: 40
    .language:       OpenCL C
    .language_version:
      - 2
      - 0
    .max_flat_workgroup_size: 64
    .name:           _ZN7rocprim17ROCPRIM_400000_NS6detail17trampoline_kernelINS0_14default_configENS1_20scan_config_selectorIxEEZZNS1_9scan_implILNS1_25lookback_scan_determinismE0ELb0ELb0ES3_N6thrust23THRUST_200600_302600_NS6detail15normal_iteratorINS9_10device_ptrIxEEEESE_xNS9_4plusIxEExEEDaPvRmT3_T4_T5_mT6_P12ihipStream_tbENKUlT_T0_E_clISt17integral_constantIbLb0EESU_EEDaSP_SQ_EUlSP_E0_NS1_11comp_targetILNS1_3genE2ELNS1_11target_archE906ELNS1_3gpuE6ELNS1_3repE0EEENS1_30default_config_static_selectorELNS0_4arch9wavefront6targetE1EEEvT1_
    .private_segment_fixed_size: 0
    .sgpr_count:     4
    .sgpr_spill_count: 0
    .symbol:         _ZN7rocprim17ROCPRIM_400000_NS6detail17trampoline_kernelINS0_14default_configENS1_20scan_config_selectorIxEEZZNS1_9scan_implILNS1_25lookback_scan_determinismE0ELb0ELb0ES3_N6thrust23THRUST_200600_302600_NS6detail15normal_iteratorINS9_10device_ptrIxEEEESE_xNS9_4plusIxEExEEDaPvRmT3_T4_T5_mT6_P12ihipStream_tbENKUlT_T0_E_clISt17integral_constantIbLb0EESU_EEDaSP_SQ_EUlSP_E0_NS1_11comp_targetILNS1_3genE2ELNS1_11target_archE906ELNS1_3gpuE6ELNS1_3repE0EEENS1_30default_config_static_selectorELNS0_4arch9wavefront6targetE1EEEvT1_.kd
    .uniform_work_group_size: 1
    .uses_dynamic_stack: false
    .vgpr_count:     0
    .vgpr_spill_count: 0
    .wavefront_size: 64
  - .agpr_count:     0
    .args:
      - .offset:         0
        .size:           40
        .value_kind:     by_value
    .group_segment_fixed_size: 0
    .kernarg_segment_align: 8
    .kernarg_segment_size: 40
    .language:       OpenCL C
    .language_version:
      - 2
      - 0
    .max_flat_workgroup_size: 256
    .name:           _ZN7rocprim17ROCPRIM_400000_NS6detail17trampoline_kernelINS0_14default_configENS1_20scan_config_selectorIxEEZZNS1_9scan_implILNS1_25lookback_scan_determinismE0ELb0ELb0ES3_N6thrust23THRUST_200600_302600_NS6detail15normal_iteratorINS9_10device_ptrIxEEEESE_xNS9_4plusIxEExEEDaPvRmT3_T4_T5_mT6_P12ihipStream_tbENKUlT_T0_E_clISt17integral_constantIbLb0EESU_EEDaSP_SQ_EUlSP_E0_NS1_11comp_targetILNS1_3genE10ELNS1_11target_archE1201ELNS1_3gpuE5ELNS1_3repE0EEENS1_30default_config_static_selectorELNS0_4arch9wavefront6targetE1EEEvT1_
    .private_segment_fixed_size: 0
    .sgpr_count:     4
    .sgpr_spill_count: 0
    .symbol:         _ZN7rocprim17ROCPRIM_400000_NS6detail17trampoline_kernelINS0_14default_configENS1_20scan_config_selectorIxEEZZNS1_9scan_implILNS1_25lookback_scan_determinismE0ELb0ELb0ES3_N6thrust23THRUST_200600_302600_NS6detail15normal_iteratorINS9_10device_ptrIxEEEESE_xNS9_4plusIxEExEEDaPvRmT3_T4_T5_mT6_P12ihipStream_tbENKUlT_T0_E_clISt17integral_constantIbLb0EESU_EEDaSP_SQ_EUlSP_E0_NS1_11comp_targetILNS1_3genE10ELNS1_11target_archE1201ELNS1_3gpuE5ELNS1_3repE0EEENS1_30default_config_static_selectorELNS0_4arch9wavefront6targetE1EEEvT1_.kd
    .uniform_work_group_size: 1
    .uses_dynamic_stack: false
    .vgpr_count:     0
    .vgpr_spill_count: 0
    .wavefront_size: 64
  - .agpr_count:     0
    .args:
      - .offset:         0
        .size:           40
        .value_kind:     by_value
    .group_segment_fixed_size: 0
    .kernarg_segment_align: 8
    .kernarg_segment_size: 40
    .language:       OpenCL C
    .language_version:
      - 2
      - 0
    .max_flat_workgroup_size: 256
    .name:           _ZN7rocprim17ROCPRIM_400000_NS6detail17trampoline_kernelINS0_14default_configENS1_20scan_config_selectorIxEEZZNS1_9scan_implILNS1_25lookback_scan_determinismE0ELb0ELb0ES3_N6thrust23THRUST_200600_302600_NS6detail15normal_iteratorINS9_10device_ptrIxEEEESE_xNS9_4plusIxEExEEDaPvRmT3_T4_T5_mT6_P12ihipStream_tbENKUlT_T0_E_clISt17integral_constantIbLb0EESU_EEDaSP_SQ_EUlSP_E0_NS1_11comp_targetILNS1_3genE10ELNS1_11target_archE1200ELNS1_3gpuE4ELNS1_3repE0EEENS1_30default_config_static_selectorELNS0_4arch9wavefront6targetE1EEEvT1_
    .private_segment_fixed_size: 0
    .sgpr_count:     4
    .sgpr_spill_count: 0
    .symbol:         _ZN7rocprim17ROCPRIM_400000_NS6detail17trampoline_kernelINS0_14default_configENS1_20scan_config_selectorIxEEZZNS1_9scan_implILNS1_25lookback_scan_determinismE0ELb0ELb0ES3_N6thrust23THRUST_200600_302600_NS6detail15normal_iteratorINS9_10device_ptrIxEEEESE_xNS9_4plusIxEExEEDaPvRmT3_T4_T5_mT6_P12ihipStream_tbENKUlT_T0_E_clISt17integral_constantIbLb0EESU_EEDaSP_SQ_EUlSP_E0_NS1_11comp_targetILNS1_3genE10ELNS1_11target_archE1200ELNS1_3gpuE4ELNS1_3repE0EEENS1_30default_config_static_selectorELNS0_4arch9wavefront6targetE1EEEvT1_.kd
    .uniform_work_group_size: 1
    .uses_dynamic_stack: false
    .vgpr_count:     0
    .vgpr_spill_count: 0
    .wavefront_size: 64
  - .agpr_count:     0
    .args:
      - .offset:         0
        .size:           40
        .value_kind:     by_value
    .group_segment_fixed_size: 0
    .kernarg_segment_align: 8
    .kernarg_segment_size: 40
    .language:       OpenCL C
    .language_version:
      - 2
      - 0
    .max_flat_workgroup_size: 256
    .name:           _ZN7rocprim17ROCPRIM_400000_NS6detail17trampoline_kernelINS0_14default_configENS1_20scan_config_selectorIxEEZZNS1_9scan_implILNS1_25lookback_scan_determinismE0ELb0ELb0ES3_N6thrust23THRUST_200600_302600_NS6detail15normal_iteratorINS9_10device_ptrIxEEEESE_xNS9_4plusIxEExEEDaPvRmT3_T4_T5_mT6_P12ihipStream_tbENKUlT_T0_E_clISt17integral_constantIbLb0EESU_EEDaSP_SQ_EUlSP_E0_NS1_11comp_targetILNS1_3genE9ELNS1_11target_archE1100ELNS1_3gpuE3ELNS1_3repE0EEENS1_30default_config_static_selectorELNS0_4arch9wavefront6targetE1EEEvT1_
    .private_segment_fixed_size: 0
    .sgpr_count:     4
    .sgpr_spill_count: 0
    .symbol:         _ZN7rocprim17ROCPRIM_400000_NS6detail17trampoline_kernelINS0_14default_configENS1_20scan_config_selectorIxEEZZNS1_9scan_implILNS1_25lookback_scan_determinismE0ELb0ELb0ES3_N6thrust23THRUST_200600_302600_NS6detail15normal_iteratorINS9_10device_ptrIxEEEESE_xNS9_4plusIxEExEEDaPvRmT3_T4_T5_mT6_P12ihipStream_tbENKUlT_T0_E_clISt17integral_constantIbLb0EESU_EEDaSP_SQ_EUlSP_E0_NS1_11comp_targetILNS1_3genE9ELNS1_11target_archE1100ELNS1_3gpuE3ELNS1_3repE0EEENS1_30default_config_static_selectorELNS0_4arch9wavefront6targetE1EEEvT1_.kd
    .uniform_work_group_size: 1
    .uses_dynamic_stack: false
    .vgpr_count:     0
    .vgpr_spill_count: 0
    .wavefront_size: 64
  - .agpr_count:     0
    .args:
      - .offset:         0
        .size:           40
        .value_kind:     by_value
    .group_segment_fixed_size: 0
    .kernarg_segment_align: 8
    .kernarg_segment_size: 40
    .language:       OpenCL C
    .language_version:
      - 2
      - 0
    .max_flat_workgroup_size: 256
    .name:           _ZN7rocprim17ROCPRIM_400000_NS6detail17trampoline_kernelINS0_14default_configENS1_20scan_config_selectorIxEEZZNS1_9scan_implILNS1_25lookback_scan_determinismE0ELb0ELb0ES3_N6thrust23THRUST_200600_302600_NS6detail15normal_iteratorINS9_10device_ptrIxEEEESE_xNS9_4plusIxEExEEDaPvRmT3_T4_T5_mT6_P12ihipStream_tbENKUlT_T0_E_clISt17integral_constantIbLb0EESU_EEDaSP_SQ_EUlSP_E0_NS1_11comp_targetILNS1_3genE8ELNS1_11target_archE1030ELNS1_3gpuE2ELNS1_3repE0EEENS1_30default_config_static_selectorELNS0_4arch9wavefront6targetE1EEEvT1_
    .private_segment_fixed_size: 0
    .sgpr_count:     4
    .sgpr_spill_count: 0
    .symbol:         _ZN7rocprim17ROCPRIM_400000_NS6detail17trampoline_kernelINS0_14default_configENS1_20scan_config_selectorIxEEZZNS1_9scan_implILNS1_25lookback_scan_determinismE0ELb0ELb0ES3_N6thrust23THRUST_200600_302600_NS6detail15normal_iteratorINS9_10device_ptrIxEEEESE_xNS9_4plusIxEExEEDaPvRmT3_T4_T5_mT6_P12ihipStream_tbENKUlT_T0_E_clISt17integral_constantIbLb0EESU_EEDaSP_SQ_EUlSP_E0_NS1_11comp_targetILNS1_3genE8ELNS1_11target_archE1030ELNS1_3gpuE2ELNS1_3repE0EEENS1_30default_config_static_selectorELNS0_4arch9wavefront6targetE1EEEvT1_.kd
    .uniform_work_group_size: 1
    .uses_dynamic_stack: false
    .vgpr_count:     0
    .vgpr_spill_count: 0
    .wavefront_size: 64
  - .agpr_count:     0
    .args:
      - .offset:         0
        .size:           104
        .value_kind:     by_value
    .group_segment_fixed_size: 0
    .kernarg_segment_align: 8
    .kernarg_segment_size: 104
    .language:       OpenCL C
    .language_version:
      - 2
      - 0
    .max_flat_workgroup_size: 256
    .name:           _ZN7rocprim17ROCPRIM_400000_NS6detail17trampoline_kernelINS0_14default_configENS1_20scan_config_selectorIxEEZZNS1_9scan_implILNS1_25lookback_scan_determinismE0ELb0ELb0ES3_N6thrust23THRUST_200600_302600_NS6detail15normal_iteratorINS9_10device_ptrIxEEEESE_xNS9_4plusIxEExEEDaPvRmT3_T4_T5_mT6_P12ihipStream_tbENKUlT_T0_E_clISt17integral_constantIbLb1EESU_EEDaSP_SQ_EUlSP_E_NS1_11comp_targetILNS1_3genE0ELNS1_11target_archE4294967295ELNS1_3gpuE0ELNS1_3repE0EEENS1_30default_config_static_selectorELNS0_4arch9wavefront6targetE1EEEvT1_
    .private_segment_fixed_size: 0
    .sgpr_count:     4
    .sgpr_spill_count: 0
    .symbol:         _ZN7rocprim17ROCPRIM_400000_NS6detail17trampoline_kernelINS0_14default_configENS1_20scan_config_selectorIxEEZZNS1_9scan_implILNS1_25lookback_scan_determinismE0ELb0ELb0ES3_N6thrust23THRUST_200600_302600_NS6detail15normal_iteratorINS9_10device_ptrIxEEEESE_xNS9_4plusIxEExEEDaPvRmT3_T4_T5_mT6_P12ihipStream_tbENKUlT_T0_E_clISt17integral_constantIbLb1EESU_EEDaSP_SQ_EUlSP_E_NS1_11comp_targetILNS1_3genE0ELNS1_11target_archE4294967295ELNS1_3gpuE0ELNS1_3repE0EEENS1_30default_config_static_selectorELNS0_4arch9wavefront6targetE1EEEvT1_.kd
    .uniform_work_group_size: 1
    .uses_dynamic_stack: false
    .vgpr_count:     0
    .vgpr_spill_count: 0
    .wavefront_size: 64
  - .agpr_count:     0
    .args:
      - .offset:         0
        .size:           104
        .value_kind:     by_value
    .group_segment_fixed_size: 0
    .kernarg_segment_align: 8
    .kernarg_segment_size: 104
    .language:       OpenCL C
    .language_version:
      - 2
      - 0
    .max_flat_workgroup_size: 256
    .name:           _ZN7rocprim17ROCPRIM_400000_NS6detail17trampoline_kernelINS0_14default_configENS1_20scan_config_selectorIxEEZZNS1_9scan_implILNS1_25lookback_scan_determinismE0ELb0ELb0ES3_N6thrust23THRUST_200600_302600_NS6detail15normal_iteratorINS9_10device_ptrIxEEEESE_xNS9_4plusIxEExEEDaPvRmT3_T4_T5_mT6_P12ihipStream_tbENKUlT_T0_E_clISt17integral_constantIbLb1EESU_EEDaSP_SQ_EUlSP_E_NS1_11comp_targetILNS1_3genE5ELNS1_11target_archE942ELNS1_3gpuE9ELNS1_3repE0EEENS1_30default_config_static_selectorELNS0_4arch9wavefront6targetE1EEEvT1_
    .private_segment_fixed_size: 0
    .sgpr_count:     4
    .sgpr_spill_count: 0
    .symbol:         _ZN7rocprim17ROCPRIM_400000_NS6detail17trampoline_kernelINS0_14default_configENS1_20scan_config_selectorIxEEZZNS1_9scan_implILNS1_25lookback_scan_determinismE0ELb0ELb0ES3_N6thrust23THRUST_200600_302600_NS6detail15normal_iteratorINS9_10device_ptrIxEEEESE_xNS9_4plusIxEExEEDaPvRmT3_T4_T5_mT6_P12ihipStream_tbENKUlT_T0_E_clISt17integral_constantIbLb1EESU_EEDaSP_SQ_EUlSP_E_NS1_11comp_targetILNS1_3genE5ELNS1_11target_archE942ELNS1_3gpuE9ELNS1_3repE0EEENS1_30default_config_static_selectorELNS0_4arch9wavefront6targetE1EEEvT1_.kd
    .uniform_work_group_size: 1
    .uses_dynamic_stack: false
    .vgpr_count:     0
    .vgpr_spill_count: 0
    .wavefront_size: 64
  - .agpr_count:     0
    .args:
      - .offset:         0
        .size:           104
        .value_kind:     by_value
    .group_segment_fixed_size: 7168
    .kernarg_segment_align: 8
    .kernarg_segment_size: 104
    .language:       OpenCL C
    .language_version:
      - 2
      - 0
    .max_flat_workgroup_size: 128
    .name:           _ZN7rocprim17ROCPRIM_400000_NS6detail17trampoline_kernelINS0_14default_configENS1_20scan_config_selectorIxEEZZNS1_9scan_implILNS1_25lookback_scan_determinismE0ELb0ELb0ES3_N6thrust23THRUST_200600_302600_NS6detail15normal_iteratorINS9_10device_ptrIxEEEESE_xNS9_4plusIxEExEEDaPvRmT3_T4_T5_mT6_P12ihipStream_tbENKUlT_T0_E_clISt17integral_constantIbLb1EESU_EEDaSP_SQ_EUlSP_E_NS1_11comp_targetILNS1_3genE4ELNS1_11target_archE910ELNS1_3gpuE8ELNS1_3repE0EEENS1_30default_config_static_selectorELNS0_4arch9wavefront6targetE1EEEvT1_
    .private_segment_fixed_size: 0
    .sgpr_count:     42
    .sgpr_spill_count: 0
    .symbol:         _ZN7rocprim17ROCPRIM_400000_NS6detail17trampoline_kernelINS0_14default_configENS1_20scan_config_selectorIxEEZZNS1_9scan_implILNS1_25lookback_scan_determinismE0ELb0ELb0ES3_N6thrust23THRUST_200600_302600_NS6detail15normal_iteratorINS9_10device_ptrIxEEEESE_xNS9_4plusIxEExEEDaPvRmT3_T4_T5_mT6_P12ihipStream_tbENKUlT_T0_E_clISt17integral_constantIbLb1EESU_EEDaSP_SQ_EUlSP_E_NS1_11comp_targetILNS1_3genE4ELNS1_11target_archE910ELNS1_3gpuE8ELNS1_3repE0EEENS1_30default_config_static_selectorELNS0_4arch9wavefront6targetE1EEEvT1_.kd
    .uniform_work_group_size: 1
    .uses_dynamic_stack: false
    .vgpr_count:     51
    .vgpr_spill_count: 0
    .wavefront_size: 64
  - .agpr_count:     0
    .args:
      - .offset:         0
        .size:           104
        .value_kind:     by_value
    .group_segment_fixed_size: 0
    .kernarg_segment_align: 8
    .kernarg_segment_size: 104
    .language:       OpenCL C
    .language_version:
      - 2
      - 0
    .max_flat_workgroup_size: 256
    .name:           _ZN7rocprim17ROCPRIM_400000_NS6detail17trampoline_kernelINS0_14default_configENS1_20scan_config_selectorIxEEZZNS1_9scan_implILNS1_25lookback_scan_determinismE0ELb0ELb0ES3_N6thrust23THRUST_200600_302600_NS6detail15normal_iteratorINS9_10device_ptrIxEEEESE_xNS9_4plusIxEExEEDaPvRmT3_T4_T5_mT6_P12ihipStream_tbENKUlT_T0_E_clISt17integral_constantIbLb1EESU_EEDaSP_SQ_EUlSP_E_NS1_11comp_targetILNS1_3genE3ELNS1_11target_archE908ELNS1_3gpuE7ELNS1_3repE0EEENS1_30default_config_static_selectorELNS0_4arch9wavefront6targetE1EEEvT1_
    .private_segment_fixed_size: 0
    .sgpr_count:     4
    .sgpr_spill_count: 0
    .symbol:         _ZN7rocprim17ROCPRIM_400000_NS6detail17trampoline_kernelINS0_14default_configENS1_20scan_config_selectorIxEEZZNS1_9scan_implILNS1_25lookback_scan_determinismE0ELb0ELb0ES3_N6thrust23THRUST_200600_302600_NS6detail15normal_iteratorINS9_10device_ptrIxEEEESE_xNS9_4plusIxEExEEDaPvRmT3_T4_T5_mT6_P12ihipStream_tbENKUlT_T0_E_clISt17integral_constantIbLb1EESU_EEDaSP_SQ_EUlSP_E_NS1_11comp_targetILNS1_3genE3ELNS1_11target_archE908ELNS1_3gpuE7ELNS1_3repE0EEENS1_30default_config_static_selectorELNS0_4arch9wavefront6targetE1EEEvT1_.kd
    .uniform_work_group_size: 1
    .uses_dynamic_stack: false
    .vgpr_count:     0
    .vgpr_spill_count: 0
    .wavefront_size: 64
  - .agpr_count:     0
    .args:
      - .offset:         0
        .size:           104
        .value_kind:     by_value
    .group_segment_fixed_size: 0
    .kernarg_segment_align: 8
    .kernarg_segment_size: 104
    .language:       OpenCL C
    .language_version:
      - 2
      - 0
    .max_flat_workgroup_size: 64
    .name:           _ZN7rocprim17ROCPRIM_400000_NS6detail17trampoline_kernelINS0_14default_configENS1_20scan_config_selectorIxEEZZNS1_9scan_implILNS1_25lookback_scan_determinismE0ELb0ELb0ES3_N6thrust23THRUST_200600_302600_NS6detail15normal_iteratorINS9_10device_ptrIxEEEESE_xNS9_4plusIxEExEEDaPvRmT3_T4_T5_mT6_P12ihipStream_tbENKUlT_T0_E_clISt17integral_constantIbLb1EESU_EEDaSP_SQ_EUlSP_E_NS1_11comp_targetILNS1_3genE2ELNS1_11target_archE906ELNS1_3gpuE6ELNS1_3repE0EEENS1_30default_config_static_selectorELNS0_4arch9wavefront6targetE1EEEvT1_
    .private_segment_fixed_size: 0
    .sgpr_count:     4
    .sgpr_spill_count: 0
    .symbol:         _ZN7rocprim17ROCPRIM_400000_NS6detail17trampoline_kernelINS0_14default_configENS1_20scan_config_selectorIxEEZZNS1_9scan_implILNS1_25lookback_scan_determinismE0ELb0ELb0ES3_N6thrust23THRUST_200600_302600_NS6detail15normal_iteratorINS9_10device_ptrIxEEEESE_xNS9_4plusIxEExEEDaPvRmT3_T4_T5_mT6_P12ihipStream_tbENKUlT_T0_E_clISt17integral_constantIbLb1EESU_EEDaSP_SQ_EUlSP_E_NS1_11comp_targetILNS1_3genE2ELNS1_11target_archE906ELNS1_3gpuE6ELNS1_3repE0EEENS1_30default_config_static_selectorELNS0_4arch9wavefront6targetE1EEEvT1_.kd
    .uniform_work_group_size: 1
    .uses_dynamic_stack: false
    .vgpr_count:     0
    .vgpr_spill_count: 0
    .wavefront_size: 64
  - .agpr_count:     0
    .args:
      - .offset:         0
        .size:           104
        .value_kind:     by_value
    .group_segment_fixed_size: 0
    .kernarg_segment_align: 8
    .kernarg_segment_size: 104
    .language:       OpenCL C
    .language_version:
      - 2
      - 0
    .max_flat_workgroup_size: 256
    .name:           _ZN7rocprim17ROCPRIM_400000_NS6detail17trampoline_kernelINS0_14default_configENS1_20scan_config_selectorIxEEZZNS1_9scan_implILNS1_25lookback_scan_determinismE0ELb0ELb0ES3_N6thrust23THRUST_200600_302600_NS6detail15normal_iteratorINS9_10device_ptrIxEEEESE_xNS9_4plusIxEExEEDaPvRmT3_T4_T5_mT6_P12ihipStream_tbENKUlT_T0_E_clISt17integral_constantIbLb1EESU_EEDaSP_SQ_EUlSP_E_NS1_11comp_targetILNS1_3genE10ELNS1_11target_archE1201ELNS1_3gpuE5ELNS1_3repE0EEENS1_30default_config_static_selectorELNS0_4arch9wavefront6targetE1EEEvT1_
    .private_segment_fixed_size: 0
    .sgpr_count:     4
    .sgpr_spill_count: 0
    .symbol:         _ZN7rocprim17ROCPRIM_400000_NS6detail17trampoline_kernelINS0_14default_configENS1_20scan_config_selectorIxEEZZNS1_9scan_implILNS1_25lookback_scan_determinismE0ELb0ELb0ES3_N6thrust23THRUST_200600_302600_NS6detail15normal_iteratorINS9_10device_ptrIxEEEESE_xNS9_4plusIxEExEEDaPvRmT3_T4_T5_mT6_P12ihipStream_tbENKUlT_T0_E_clISt17integral_constantIbLb1EESU_EEDaSP_SQ_EUlSP_E_NS1_11comp_targetILNS1_3genE10ELNS1_11target_archE1201ELNS1_3gpuE5ELNS1_3repE0EEENS1_30default_config_static_selectorELNS0_4arch9wavefront6targetE1EEEvT1_.kd
    .uniform_work_group_size: 1
    .uses_dynamic_stack: false
    .vgpr_count:     0
    .vgpr_spill_count: 0
    .wavefront_size: 64
  - .agpr_count:     0
    .args:
      - .offset:         0
        .size:           104
        .value_kind:     by_value
    .group_segment_fixed_size: 0
    .kernarg_segment_align: 8
    .kernarg_segment_size: 104
    .language:       OpenCL C
    .language_version:
      - 2
      - 0
    .max_flat_workgroup_size: 256
    .name:           _ZN7rocprim17ROCPRIM_400000_NS6detail17trampoline_kernelINS0_14default_configENS1_20scan_config_selectorIxEEZZNS1_9scan_implILNS1_25lookback_scan_determinismE0ELb0ELb0ES3_N6thrust23THRUST_200600_302600_NS6detail15normal_iteratorINS9_10device_ptrIxEEEESE_xNS9_4plusIxEExEEDaPvRmT3_T4_T5_mT6_P12ihipStream_tbENKUlT_T0_E_clISt17integral_constantIbLb1EESU_EEDaSP_SQ_EUlSP_E_NS1_11comp_targetILNS1_3genE10ELNS1_11target_archE1200ELNS1_3gpuE4ELNS1_3repE0EEENS1_30default_config_static_selectorELNS0_4arch9wavefront6targetE1EEEvT1_
    .private_segment_fixed_size: 0
    .sgpr_count:     4
    .sgpr_spill_count: 0
    .symbol:         _ZN7rocprim17ROCPRIM_400000_NS6detail17trampoline_kernelINS0_14default_configENS1_20scan_config_selectorIxEEZZNS1_9scan_implILNS1_25lookback_scan_determinismE0ELb0ELb0ES3_N6thrust23THRUST_200600_302600_NS6detail15normal_iteratorINS9_10device_ptrIxEEEESE_xNS9_4plusIxEExEEDaPvRmT3_T4_T5_mT6_P12ihipStream_tbENKUlT_T0_E_clISt17integral_constantIbLb1EESU_EEDaSP_SQ_EUlSP_E_NS1_11comp_targetILNS1_3genE10ELNS1_11target_archE1200ELNS1_3gpuE4ELNS1_3repE0EEENS1_30default_config_static_selectorELNS0_4arch9wavefront6targetE1EEEvT1_.kd
    .uniform_work_group_size: 1
    .uses_dynamic_stack: false
    .vgpr_count:     0
    .vgpr_spill_count: 0
    .wavefront_size: 64
  - .agpr_count:     0
    .args:
      - .offset:         0
        .size:           104
        .value_kind:     by_value
    .group_segment_fixed_size: 0
    .kernarg_segment_align: 8
    .kernarg_segment_size: 104
    .language:       OpenCL C
    .language_version:
      - 2
      - 0
    .max_flat_workgroup_size: 256
    .name:           _ZN7rocprim17ROCPRIM_400000_NS6detail17trampoline_kernelINS0_14default_configENS1_20scan_config_selectorIxEEZZNS1_9scan_implILNS1_25lookback_scan_determinismE0ELb0ELb0ES3_N6thrust23THRUST_200600_302600_NS6detail15normal_iteratorINS9_10device_ptrIxEEEESE_xNS9_4plusIxEExEEDaPvRmT3_T4_T5_mT6_P12ihipStream_tbENKUlT_T0_E_clISt17integral_constantIbLb1EESU_EEDaSP_SQ_EUlSP_E_NS1_11comp_targetILNS1_3genE9ELNS1_11target_archE1100ELNS1_3gpuE3ELNS1_3repE0EEENS1_30default_config_static_selectorELNS0_4arch9wavefront6targetE1EEEvT1_
    .private_segment_fixed_size: 0
    .sgpr_count:     4
    .sgpr_spill_count: 0
    .symbol:         _ZN7rocprim17ROCPRIM_400000_NS6detail17trampoline_kernelINS0_14default_configENS1_20scan_config_selectorIxEEZZNS1_9scan_implILNS1_25lookback_scan_determinismE0ELb0ELb0ES3_N6thrust23THRUST_200600_302600_NS6detail15normal_iteratorINS9_10device_ptrIxEEEESE_xNS9_4plusIxEExEEDaPvRmT3_T4_T5_mT6_P12ihipStream_tbENKUlT_T0_E_clISt17integral_constantIbLb1EESU_EEDaSP_SQ_EUlSP_E_NS1_11comp_targetILNS1_3genE9ELNS1_11target_archE1100ELNS1_3gpuE3ELNS1_3repE0EEENS1_30default_config_static_selectorELNS0_4arch9wavefront6targetE1EEEvT1_.kd
    .uniform_work_group_size: 1
    .uses_dynamic_stack: false
    .vgpr_count:     0
    .vgpr_spill_count: 0
    .wavefront_size: 64
  - .agpr_count:     0
    .args:
      - .offset:         0
        .size:           104
        .value_kind:     by_value
    .group_segment_fixed_size: 0
    .kernarg_segment_align: 8
    .kernarg_segment_size: 104
    .language:       OpenCL C
    .language_version:
      - 2
      - 0
    .max_flat_workgroup_size: 256
    .name:           _ZN7rocprim17ROCPRIM_400000_NS6detail17trampoline_kernelINS0_14default_configENS1_20scan_config_selectorIxEEZZNS1_9scan_implILNS1_25lookback_scan_determinismE0ELb0ELb0ES3_N6thrust23THRUST_200600_302600_NS6detail15normal_iteratorINS9_10device_ptrIxEEEESE_xNS9_4plusIxEExEEDaPvRmT3_T4_T5_mT6_P12ihipStream_tbENKUlT_T0_E_clISt17integral_constantIbLb1EESU_EEDaSP_SQ_EUlSP_E_NS1_11comp_targetILNS1_3genE8ELNS1_11target_archE1030ELNS1_3gpuE2ELNS1_3repE0EEENS1_30default_config_static_selectorELNS0_4arch9wavefront6targetE1EEEvT1_
    .private_segment_fixed_size: 0
    .sgpr_count:     4
    .sgpr_spill_count: 0
    .symbol:         _ZN7rocprim17ROCPRIM_400000_NS6detail17trampoline_kernelINS0_14default_configENS1_20scan_config_selectorIxEEZZNS1_9scan_implILNS1_25lookback_scan_determinismE0ELb0ELb0ES3_N6thrust23THRUST_200600_302600_NS6detail15normal_iteratorINS9_10device_ptrIxEEEESE_xNS9_4plusIxEExEEDaPvRmT3_T4_T5_mT6_P12ihipStream_tbENKUlT_T0_E_clISt17integral_constantIbLb1EESU_EEDaSP_SQ_EUlSP_E_NS1_11comp_targetILNS1_3genE8ELNS1_11target_archE1030ELNS1_3gpuE2ELNS1_3repE0EEENS1_30default_config_static_selectorELNS0_4arch9wavefront6targetE1EEEvT1_.kd
    .uniform_work_group_size: 1
    .uses_dynamic_stack: false
    .vgpr_count:     0
    .vgpr_spill_count: 0
    .wavefront_size: 64
  - .agpr_count:     0
    .args:
      - .offset:         0
        .size:           40
        .value_kind:     by_value
    .group_segment_fixed_size: 0
    .kernarg_segment_align: 8
    .kernarg_segment_size: 40
    .language:       OpenCL C
    .language_version:
      - 2
      - 0
    .max_flat_workgroup_size: 256
    .name:           _ZN7rocprim17ROCPRIM_400000_NS6detail17trampoline_kernelINS0_14default_configENS1_20scan_config_selectorIxEEZZNS1_9scan_implILNS1_25lookback_scan_determinismE0ELb0ELb0ES3_N6thrust23THRUST_200600_302600_NS6detail15normal_iteratorINS9_10device_ptrIxEEEESE_xNS9_4plusIxEExEEDaPvRmT3_T4_T5_mT6_P12ihipStream_tbENKUlT_T0_E_clISt17integral_constantIbLb1EESU_EEDaSP_SQ_EUlSP_E0_NS1_11comp_targetILNS1_3genE0ELNS1_11target_archE4294967295ELNS1_3gpuE0ELNS1_3repE0EEENS1_30default_config_static_selectorELNS0_4arch9wavefront6targetE1EEEvT1_
    .private_segment_fixed_size: 0
    .sgpr_count:     4
    .sgpr_spill_count: 0
    .symbol:         _ZN7rocprim17ROCPRIM_400000_NS6detail17trampoline_kernelINS0_14default_configENS1_20scan_config_selectorIxEEZZNS1_9scan_implILNS1_25lookback_scan_determinismE0ELb0ELb0ES3_N6thrust23THRUST_200600_302600_NS6detail15normal_iteratorINS9_10device_ptrIxEEEESE_xNS9_4plusIxEExEEDaPvRmT3_T4_T5_mT6_P12ihipStream_tbENKUlT_T0_E_clISt17integral_constantIbLb1EESU_EEDaSP_SQ_EUlSP_E0_NS1_11comp_targetILNS1_3genE0ELNS1_11target_archE4294967295ELNS1_3gpuE0ELNS1_3repE0EEENS1_30default_config_static_selectorELNS0_4arch9wavefront6targetE1EEEvT1_.kd
    .uniform_work_group_size: 1
    .uses_dynamic_stack: false
    .vgpr_count:     0
    .vgpr_spill_count: 0
    .wavefront_size: 64
  - .agpr_count:     0
    .args:
      - .offset:         0
        .size:           40
        .value_kind:     by_value
    .group_segment_fixed_size: 0
    .kernarg_segment_align: 8
    .kernarg_segment_size: 40
    .language:       OpenCL C
    .language_version:
      - 2
      - 0
    .max_flat_workgroup_size: 256
    .name:           _ZN7rocprim17ROCPRIM_400000_NS6detail17trampoline_kernelINS0_14default_configENS1_20scan_config_selectorIxEEZZNS1_9scan_implILNS1_25lookback_scan_determinismE0ELb0ELb0ES3_N6thrust23THRUST_200600_302600_NS6detail15normal_iteratorINS9_10device_ptrIxEEEESE_xNS9_4plusIxEExEEDaPvRmT3_T4_T5_mT6_P12ihipStream_tbENKUlT_T0_E_clISt17integral_constantIbLb1EESU_EEDaSP_SQ_EUlSP_E0_NS1_11comp_targetILNS1_3genE5ELNS1_11target_archE942ELNS1_3gpuE9ELNS1_3repE0EEENS1_30default_config_static_selectorELNS0_4arch9wavefront6targetE1EEEvT1_
    .private_segment_fixed_size: 0
    .sgpr_count:     4
    .sgpr_spill_count: 0
    .symbol:         _ZN7rocprim17ROCPRIM_400000_NS6detail17trampoline_kernelINS0_14default_configENS1_20scan_config_selectorIxEEZZNS1_9scan_implILNS1_25lookback_scan_determinismE0ELb0ELb0ES3_N6thrust23THRUST_200600_302600_NS6detail15normal_iteratorINS9_10device_ptrIxEEEESE_xNS9_4plusIxEExEEDaPvRmT3_T4_T5_mT6_P12ihipStream_tbENKUlT_T0_E_clISt17integral_constantIbLb1EESU_EEDaSP_SQ_EUlSP_E0_NS1_11comp_targetILNS1_3genE5ELNS1_11target_archE942ELNS1_3gpuE9ELNS1_3repE0EEENS1_30default_config_static_selectorELNS0_4arch9wavefront6targetE1EEEvT1_.kd
    .uniform_work_group_size: 1
    .uses_dynamic_stack: false
    .vgpr_count:     0
    .vgpr_spill_count: 0
    .wavefront_size: 64
  - .agpr_count:     0
    .args:
      - .offset:         0
        .size:           40
        .value_kind:     by_value
    .group_segment_fixed_size: 7168
    .kernarg_segment_align: 8
    .kernarg_segment_size: 40
    .language:       OpenCL C
    .language_version:
      - 2
      - 0
    .max_flat_workgroup_size: 128
    .name:           _ZN7rocprim17ROCPRIM_400000_NS6detail17trampoline_kernelINS0_14default_configENS1_20scan_config_selectorIxEEZZNS1_9scan_implILNS1_25lookback_scan_determinismE0ELb0ELb0ES3_N6thrust23THRUST_200600_302600_NS6detail15normal_iteratorINS9_10device_ptrIxEEEESE_xNS9_4plusIxEExEEDaPvRmT3_T4_T5_mT6_P12ihipStream_tbENKUlT_T0_E_clISt17integral_constantIbLb1EESU_EEDaSP_SQ_EUlSP_E0_NS1_11comp_targetILNS1_3genE4ELNS1_11target_archE910ELNS1_3gpuE8ELNS1_3repE0EEENS1_30default_config_static_selectorELNS0_4arch9wavefront6targetE1EEEvT1_
    .private_segment_fixed_size: 0
    .sgpr_count:     26
    .sgpr_spill_count: 0
    .symbol:         _ZN7rocprim17ROCPRIM_400000_NS6detail17trampoline_kernelINS0_14default_configENS1_20scan_config_selectorIxEEZZNS1_9scan_implILNS1_25lookback_scan_determinismE0ELb0ELb0ES3_N6thrust23THRUST_200600_302600_NS6detail15normal_iteratorINS9_10device_ptrIxEEEESE_xNS9_4plusIxEExEEDaPvRmT3_T4_T5_mT6_P12ihipStream_tbENKUlT_T0_E_clISt17integral_constantIbLb1EESU_EEDaSP_SQ_EUlSP_E0_NS1_11comp_targetILNS1_3genE4ELNS1_11target_archE910ELNS1_3gpuE8ELNS1_3repE0EEENS1_30default_config_static_selectorELNS0_4arch9wavefront6targetE1EEEvT1_.kd
    .uniform_work_group_size: 1
    .uses_dynamic_stack: false
    .vgpr_count:     41
    .vgpr_spill_count: 0
    .wavefront_size: 64
  - .agpr_count:     0
    .args:
      - .offset:         0
        .size:           40
        .value_kind:     by_value
    .group_segment_fixed_size: 0
    .kernarg_segment_align: 8
    .kernarg_segment_size: 40
    .language:       OpenCL C
    .language_version:
      - 2
      - 0
    .max_flat_workgroup_size: 256
    .name:           _ZN7rocprim17ROCPRIM_400000_NS6detail17trampoline_kernelINS0_14default_configENS1_20scan_config_selectorIxEEZZNS1_9scan_implILNS1_25lookback_scan_determinismE0ELb0ELb0ES3_N6thrust23THRUST_200600_302600_NS6detail15normal_iteratorINS9_10device_ptrIxEEEESE_xNS9_4plusIxEExEEDaPvRmT3_T4_T5_mT6_P12ihipStream_tbENKUlT_T0_E_clISt17integral_constantIbLb1EESU_EEDaSP_SQ_EUlSP_E0_NS1_11comp_targetILNS1_3genE3ELNS1_11target_archE908ELNS1_3gpuE7ELNS1_3repE0EEENS1_30default_config_static_selectorELNS0_4arch9wavefront6targetE1EEEvT1_
    .private_segment_fixed_size: 0
    .sgpr_count:     4
    .sgpr_spill_count: 0
    .symbol:         _ZN7rocprim17ROCPRIM_400000_NS6detail17trampoline_kernelINS0_14default_configENS1_20scan_config_selectorIxEEZZNS1_9scan_implILNS1_25lookback_scan_determinismE0ELb0ELb0ES3_N6thrust23THRUST_200600_302600_NS6detail15normal_iteratorINS9_10device_ptrIxEEEESE_xNS9_4plusIxEExEEDaPvRmT3_T4_T5_mT6_P12ihipStream_tbENKUlT_T0_E_clISt17integral_constantIbLb1EESU_EEDaSP_SQ_EUlSP_E0_NS1_11comp_targetILNS1_3genE3ELNS1_11target_archE908ELNS1_3gpuE7ELNS1_3repE0EEENS1_30default_config_static_selectorELNS0_4arch9wavefront6targetE1EEEvT1_.kd
    .uniform_work_group_size: 1
    .uses_dynamic_stack: false
    .vgpr_count:     0
    .vgpr_spill_count: 0
    .wavefront_size: 64
  - .agpr_count:     0
    .args:
      - .offset:         0
        .size:           40
        .value_kind:     by_value
    .group_segment_fixed_size: 0
    .kernarg_segment_align: 8
    .kernarg_segment_size: 40
    .language:       OpenCL C
    .language_version:
      - 2
      - 0
    .max_flat_workgroup_size: 64
    .name:           _ZN7rocprim17ROCPRIM_400000_NS6detail17trampoline_kernelINS0_14default_configENS1_20scan_config_selectorIxEEZZNS1_9scan_implILNS1_25lookback_scan_determinismE0ELb0ELb0ES3_N6thrust23THRUST_200600_302600_NS6detail15normal_iteratorINS9_10device_ptrIxEEEESE_xNS9_4plusIxEExEEDaPvRmT3_T4_T5_mT6_P12ihipStream_tbENKUlT_T0_E_clISt17integral_constantIbLb1EESU_EEDaSP_SQ_EUlSP_E0_NS1_11comp_targetILNS1_3genE2ELNS1_11target_archE906ELNS1_3gpuE6ELNS1_3repE0EEENS1_30default_config_static_selectorELNS0_4arch9wavefront6targetE1EEEvT1_
    .private_segment_fixed_size: 0
    .sgpr_count:     4
    .sgpr_spill_count: 0
    .symbol:         _ZN7rocprim17ROCPRIM_400000_NS6detail17trampoline_kernelINS0_14default_configENS1_20scan_config_selectorIxEEZZNS1_9scan_implILNS1_25lookback_scan_determinismE0ELb0ELb0ES3_N6thrust23THRUST_200600_302600_NS6detail15normal_iteratorINS9_10device_ptrIxEEEESE_xNS9_4plusIxEExEEDaPvRmT3_T4_T5_mT6_P12ihipStream_tbENKUlT_T0_E_clISt17integral_constantIbLb1EESU_EEDaSP_SQ_EUlSP_E0_NS1_11comp_targetILNS1_3genE2ELNS1_11target_archE906ELNS1_3gpuE6ELNS1_3repE0EEENS1_30default_config_static_selectorELNS0_4arch9wavefront6targetE1EEEvT1_.kd
    .uniform_work_group_size: 1
    .uses_dynamic_stack: false
    .vgpr_count:     0
    .vgpr_spill_count: 0
    .wavefront_size: 64
  - .agpr_count:     0
    .args:
      - .offset:         0
        .size:           40
        .value_kind:     by_value
    .group_segment_fixed_size: 0
    .kernarg_segment_align: 8
    .kernarg_segment_size: 40
    .language:       OpenCL C
    .language_version:
      - 2
      - 0
    .max_flat_workgroup_size: 256
    .name:           _ZN7rocprim17ROCPRIM_400000_NS6detail17trampoline_kernelINS0_14default_configENS1_20scan_config_selectorIxEEZZNS1_9scan_implILNS1_25lookback_scan_determinismE0ELb0ELb0ES3_N6thrust23THRUST_200600_302600_NS6detail15normal_iteratorINS9_10device_ptrIxEEEESE_xNS9_4plusIxEExEEDaPvRmT3_T4_T5_mT6_P12ihipStream_tbENKUlT_T0_E_clISt17integral_constantIbLb1EESU_EEDaSP_SQ_EUlSP_E0_NS1_11comp_targetILNS1_3genE10ELNS1_11target_archE1201ELNS1_3gpuE5ELNS1_3repE0EEENS1_30default_config_static_selectorELNS0_4arch9wavefront6targetE1EEEvT1_
    .private_segment_fixed_size: 0
    .sgpr_count:     4
    .sgpr_spill_count: 0
    .symbol:         _ZN7rocprim17ROCPRIM_400000_NS6detail17trampoline_kernelINS0_14default_configENS1_20scan_config_selectorIxEEZZNS1_9scan_implILNS1_25lookback_scan_determinismE0ELb0ELb0ES3_N6thrust23THRUST_200600_302600_NS6detail15normal_iteratorINS9_10device_ptrIxEEEESE_xNS9_4plusIxEExEEDaPvRmT3_T4_T5_mT6_P12ihipStream_tbENKUlT_T0_E_clISt17integral_constantIbLb1EESU_EEDaSP_SQ_EUlSP_E0_NS1_11comp_targetILNS1_3genE10ELNS1_11target_archE1201ELNS1_3gpuE5ELNS1_3repE0EEENS1_30default_config_static_selectorELNS0_4arch9wavefront6targetE1EEEvT1_.kd
    .uniform_work_group_size: 1
    .uses_dynamic_stack: false
    .vgpr_count:     0
    .vgpr_spill_count: 0
    .wavefront_size: 64
  - .agpr_count:     0
    .args:
      - .offset:         0
        .size:           40
        .value_kind:     by_value
    .group_segment_fixed_size: 0
    .kernarg_segment_align: 8
    .kernarg_segment_size: 40
    .language:       OpenCL C
    .language_version:
      - 2
      - 0
    .max_flat_workgroup_size: 256
    .name:           _ZN7rocprim17ROCPRIM_400000_NS6detail17trampoline_kernelINS0_14default_configENS1_20scan_config_selectorIxEEZZNS1_9scan_implILNS1_25lookback_scan_determinismE0ELb0ELb0ES3_N6thrust23THRUST_200600_302600_NS6detail15normal_iteratorINS9_10device_ptrIxEEEESE_xNS9_4plusIxEExEEDaPvRmT3_T4_T5_mT6_P12ihipStream_tbENKUlT_T0_E_clISt17integral_constantIbLb1EESU_EEDaSP_SQ_EUlSP_E0_NS1_11comp_targetILNS1_3genE10ELNS1_11target_archE1200ELNS1_3gpuE4ELNS1_3repE0EEENS1_30default_config_static_selectorELNS0_4arch9wavefront6targetE1EEEvT1_
    .private_segment_fixed_size: 0
    .sgpr_count:     4
    .sgpr_spill_count: 0
    .symbol:         _ZN7rocprim17ROCPRIM_400000_NS6detail17trampoline_kernelINS0_14default_configENS1_20scan_config_selectorIxEEZZNS1_9scan_implILNS1_25lookback_scan_determinismE0ELb0ELb0ES3_N6thrust23THRUST_200600_302600_NS6detail15normal_iteratorINS9_10device_ptrIxEEEESE_xNS9_4plusIxEExEEDaPvRmT3_T4_T5_mT6_P12ihipStream_tbENKUlT_T0_E_clISt17integral_constantIbLb1EESU_EEDaSP_SQ_EUlSP_E0_NS1_11comp_targetILNS1_3genE10ELNS1_11target_archE1200ELNS1_3gpuE4ELNS1_3repE0EEENS1_30default_config_static_selectorELNS0_4arch9wavefront6targetE1EEEvT1_.kd
    .uniform_work_group_size: 1
    .uses_dynamic_stack: false
    .vgpr_count:     0
    .vgpr_spill_count: 0
    .wavefront_size: 64
  - .agpr_count:     0
    .args:
      - .offset:         0
        .size:           40
        .value_kind:     by_value
    .group_segment_fixed_size: 0
    .kernarg_segment_align: 8
    .kernarg_segment_size: 40
    .language:       OpenCL C
    .language_version:
      - 2
      - 0
    .max_flat_workgroup_size: 256
    .name:           _ZN7rocprim17ROCPRIM_400000_NS6detail17trampoline_kernelINS0_14default_configENS1_20scan_config_selectorIxEEZZNS1_9scan_implILNS1_25lookback_scan_determinismE0ELb0ELb0ES3_N6thrust23THRUST_200600_302600_NS6detail15normal_iteratorINS9_10device_ptrIxEEEESE_xNS9_4plusIxEExEEDaPvRmT3_T4_T5_mT6_P12ihipStream_tbENKUlT_T0_E_clISt17integral_constantIbLb1EESU_EEDaSP_SQ_EUlSP_E0_NS1_11comp_targetILNS1_3genE9ELNS1_11target_archE1100ELNS1_3gpuE3ELNS1_3repE0EEENS1_30default_config_static_selectorELNS0_4arch9wavefront6targetE1EEEvT1_
    .private_segment_fixed_size: 0
    .sgpr_count:     4
    .sgpr_spill_count: 0
    .symbol:         _ZN7rocprim17ROCPRIM_400000_NS6detail17trampoline_kernelINS0_14default_configENS1_20scan_config_selectorIxEEZZNS1_9scan_implILNS1_25lookback_scan_determinismE0ELb0ELb0ES3_N6thrust23THRUST_200600_302600_NS6detail15normal_iteratorINS9_10device_ptrIxEEEESE_xNS9_4plusIxEExEEDaPvRmT3_T4_T5_mT6_P12ihipStream_tbENKUlT_T0_E_clISt17integral_constantIbLb1EESU_EEDaSP_SQ_EUlSP_E0_NS1_11comp_targetILNS1_3genE9ELNS1_11target_archE1100ELNS1_3gpuE3ELNS1_3repE0EEENS1_30default_config_static_selectorELNS0_4arch9wavefront6targetE1EEEvT1_.kd
    .uniform_work_group_size: 1
    .uses_dynamic_stack: false
    .vgpr_count:     0
    .vgpr_spill_count: 0
    .wavefront_size: 64
  - .agpr_count:     0
    .args:
      - .offset:         0
        .size:           40
        .value_kind:     by_value
    .group_segment_fixed_size: 0
    .kernarg_segment_align: 8
    .kernarg_segment_size: 40
    .language:       OpenCL C
    .language_version:
      - 2
      - 0
    .max_flat_workgroup_size: 256
    .name:           _ZN7rocprim17ROCPRIM_400000_NS6detail17trampoline_kernelINS0_14default_configENS1_20scan_config_selectorIxEEZZNS1_9scan_implILNS1_25lookback_scan_determinismE0ELb0ELb0ES3_N6thrust23THRUST_200600_302600_NS6detail15normal_iteratorINS9_10device_ptrIxEEEESE_xNS9_4plusIxEExEEDaPvRmT3_T4_T5_mT6_P12ihipStream_tbENKUlT_T0_E_clISt17integral_constantIbLb1EESU_EEDaSP_SQ_EUlSP_E0_NS1_11comp_targetILNS1_3genE8ELNS1_11target_archE1030ELNS1_3gpuE2ELNS1_3repE0EEENS1_30default_config_static_selectorELNS0_4arch9wavefront6targetE1EEEvT1_
    .private_segment_fixed_size: 0
    .sgpr_count:     4
    .sgpr_spill_count: 0
    .symbol:         _ZN7rocprim17ROCPRIM_400000_NS6detail17trampoline_kernelINS0_14default_configENS1_20scan_config_selectorIxEEZZNS1_9scan_implILNS1_25lookback_scan_determinismE0ELb0ELb0ES3_N6thrust23THRUST_200600_302600_NS6detail15normal_iteratorINS9_10device_ptrIxEEEESE_xNS9_4plusIxEExEEDaPvRmT3_T4_T5_mT6_P12ihipStream_tbENKUlT_T0_E_clISt17integral_constantIbLb1EESU_EEDaSP_SQ_EUlSP_E0_NS1_11comp_targetILNS1_3genE8ELNS1_11target_archE1030ELNS1_3gpuE2ELNS1_3repE0EEENS1_30default_config_static_selectorELNS0_4arch9wavefront6targetE1EEEvT1_.kd
    .uniform_work_group_size: 1
    .uses_dynamic_stack: false
    .vgpr_count:     0
    .vgpr_spill_count: 0
    .wavefront_size: 64
  - .agpr_count:     0
    .args:
      - .offset:         0
        .size:           104
        .value_kind:     by_value
    .group_segment_fixed_size: 0
    .kernarg_segment_align: 8
    .kernarg_segment_size: 104
    .language:       OpenCL C
    .language_version:
      - 2
      - 0
    .max_flat_workgroup_size: 256
    .name:           _ZN7rocprim17ROCPRIM_400000_NS6detail17trampoline_kernelINS0_14default_configENS1_20scan_config_selectorIxEEZZNS1_9scan_implILNS1_25lookback_scan_determinismE0ELb0ELb0ES3_N6thrust23THRUST_200600_302600_NS6detail15normal_iteratorINS9_10device_ptrIxEEEESE_xNS9_4plusIxEExEEDaPvRmT3_T4_T5_mT6_P12ihipStream_tbENKUlT_T0_E_clISt17integral_constantIbLb1EEST_IbLb0EEEEDaSP_SQ_EUlSP_E_NS1_11comp_targetILNS1_3genE0ELNS1_11target_archE4294967295ELNS1_3gpuE0ELNS1_3repE0EEENS1_30default_config_static_selectorELNS0_4arch9wavefront6targetE1EEEvT1_
    .private_segment_fixed_size: 0
    .sgpr_count:     4
    .sgpr_spill_count: 0
    .symbol:         _ZN7rocprim17ROCPRIM_400000_NS6detail17trampoline_kernelINS0_14default_configENS1_20scan_config_selectorIxEEZZNS1_9scan_implILNS1_25lookback_scan_determinismE0ELb0ELb0ES3_N6thrust23THRUST_200600_302600_NS6detail15normal_iteratorINS9_10device_ptrIxEEEESE_xNS9_4plusIxEExEEDaPvRmT3_T4_T5_mT6_P12ihipStream_tbENKUlT_T0_E_clISt17integral_constantIbLb1EEST_IbLb0EEEEDaSP_SQ_EUlSP_E_NS1_11comp_targetILNS1_3genE0ELNS1_11target_archE4294967295ELNS1_3gpuE0ELNS1_3repE0EEENS1_30default_config_static_selectorELNS0_4arch9wavefront6targetE1EEEvT1_.kd
    .uniform_work_group_size: 1
    .uses_dynamic_stack: false
    .vgpr_count:     0
    .vgpr_spill_count: 0
    .wavefront_size: 64
  - .agpr_count:     0
    .args:
      - .offset:         0
        .size:           104
        .value_kind:     by_value
    .group_segment_fixed_size: 0
    .kernarg_segment_align: 8
    .kernarg_segment_size: 104
    .language:       OpenCL C
    .language_version:
      - 2
      - 0
    .max_flat_workgroup_size: 256
    .name:           _ZN7rocprim17ROCPRIM_400000_NS6detail17trampoline_kernelINS0_14default_configENS1_20scan_config_selectorIxEEZZNS1_9scan_implILNS1_25lookback_scan_determinismE0ELb0ELb0ES3_N6thrust23THRUST_200600_302600_NS6detail15normal_iteratorINS9_10device_ptrIxEEEESE_xNS9_4plusIxEExEEDaPvRmT3_T4_T5_mT6_P12ihipStream_tbENKUlT_T0_E_clISt17integral_constantIbLb1EEST_IbLb0EEEEDaSP_SQ_EUlSP_E_NS1_11comp_targetILNS1_3genE5ELNS1_11target_archE942ELNS1_3gpuE9ELNS1_3repE0EEENS1_30default_config_static_selectorELNS0_4arch9wavefront6targetE1EEEvT1_
    .private_segment_fixed_size: 0
    .sgpr_count:     4
    .sgpr_spill_count: 0
    .symbol:         _ZN7rocprim17ROCPRIM_400000_NS6detail17trampoline_kernelINS0_14default_configENS1_20scan_config_selectorIxEEZZNS1_9scan_implILNS1_25lookback_scan_determinismE0ELb0ELb0ES3_N6thrust23THRUST_200600_302600_NS6detail15normal_iteratorINS9_10device_ptrIxEEEESE_xNS9_4plusIxEExEEDaPvRmT3_T4_T5_mT6_P12ihipStream_tbENKUlT_T0_E_clISt17integral_constantIbLb1EEST_IbLb0EEEEDaSP_SQ_EUlSP_E_NS1_11comp_targetILNS1_3genE5ELNS1_11target_archE942ELNS1_3gpuE9ELNS1_3repE0EEENS1_30default_config_static_selectorELNS0_4arch9wavefront6targetE1EEEvT1_.kd
    .uniform_work_group_size: 1
    .uses_dynamic_stack: false
    .vgpr_count:     0
    .vgpr_spill_count: 0
    .wavefront_size: 64
  - .agpr_count:     0
    .args:
      - .offset:         0
        .size:           104
        .value_kind:     by_value
    .group_segment_fixed_size: 7168
    .kernarg_segment_align: 8
    .kernarg_segment_size: 104
    .language:       OpenCL C
    .language_version:
      - 2
      - 0
    .max_flat_workgroup_size: 128
    .name:           _ZN7rocprim17ROCPRIM_400000_NS6detail17trampoline_kernelINS0_14default_configENS1_20scan_config_selectorIxEEZZNS1_9scan_implILNS1_25lookback_scan_determinismE0ELb0ELb0ES3_N6thrust23THRUST_200600_302600_NS6detail15normal_iteratorINS9_10device_ptrIxEEEESE_xNS9_4plusIxEExEEDaPvRmT3_T4_T5_mT6_P12ihipStream_tbENKUlT_T0_E_clISt17integral_constantIbLb1EEST_IbLb0EEEEDaSP_SQ_EUlSP_E_NS1_11comp_targetILNS1_3genE4ELNS1_11target_archE910ELNS1_3gpuE8ELNS1_3repE0EEENS1_30default_config_static_selectorELNS0_4arch9wavefront6targetE1EEEvT1_
    .private_segment_fixed_size: 0
    .sgpr_count:     32
    .sgpr_spill_count: 0
    .symbol:         _ZN7rocprim17ROCPRIM_400000_NS6detail17trampoline_kernelINS0_14default_configENS1_20scan_config_selectorIxEEZZNS1_9scan_implILNS1_25lookback_scan_determinismE0ELb0ELb0ES3_N6thrust23THRUST_200600_302600_NS6detail15normal_iteratorINS9_10device_ptrIxEEEESE_xNS9_4plusIxEExEEDaPvRmT3_T4_T5_mT6_P12ihipStream_tbENKUlT_T0_E_clISt17integral_constantIbLb1EEST_IbLb0EEEEDaSP_SQ_EUlSP_E_NS1_11comp_targetILNS1_3genE4ELNS1_11target_archE910ELNS1_3gpuE8ELNS1_3repE0EEENS1_30default_config_static_selectorELNS0_4arch9wavefront6targetE1EEEvT1_.kd
    .uniform_work_group_size: 1
    .uses_dynamic_stack: false
    .vgpr_count:     51
    .vgpr_spill_count: 0
    .wavefront_size: 64
  - .agpr_count:     0
    .args:
      - .offset:         0
        .size:           104
        .value_kind:     by_value
    .group_segment_fixed_size: 0
    .kernarg_segment_align: 8
    .kernarg_segment_size: 104
    .language:       OpenCL C
    .language_version:
      - 2
      - 0
    .max_flat_workgroup_size: 256
    .name:           _ZN7rocprim17ROCPRIM_400000_NS6detail17trampoline_kernelINS0_14default_configENS1_20scan_config_selectorIxEEZZNS1_9scan_implILNS1_25lookback_scan_determinismE0ELb0ELb0ES3_N6thrust23THRUST_200600_302600_NS6detail15normal_iteratorINS9_10device_ptrIxEEEESE_xNS9_4plusIxEExEEDaPvRmT3_T4_T5_mT6_P12ihipStream_tbENKUlT_T0_E_clISt17integral_constantIbLb1EEST_IbLb0EEEEDaSP_SQ_EUlSP_E_NS1_11comp_targetILNS1_3genE3ELNS1_11target_archE908ELNS1_3gpuE7ELNS1_3repE0EEENS1_30default_config_static_selectorELNS0_4arch9wavefront6targetE1EEEvT1_
    .private_segment_fixed_size: 0
    .sgpr_count:     4
    .sgpr_spill_count: 0
    .symbol:         _ZN7rocprim17ROCPRIM_400000_NS6detail17trampoline_kernelINS0_14default_configENS1_20scan_config_selectorIxEEZZNS1_9scan_implILNS1_25lookback_scan_determinismE0ELb0ELb0ES3_N6thrust23THRUST_200600_302600_NS6detail15normal_iteratorINS9_10device_ptrIxEEEESE_xNS9_4plusIxEExEEDaPvRmT3_T4_T5_mT6_P12ihipStream_tbENKUlT_T0_E_clISt17integral_constantIbLb1EEST_IbLb0EEEEDaSP_SQ_EUlSP_E_NS1_11comp_targetILNS1_3genE3ELNS1_11target_archE908ELNS1_3gpuE7ELNS1_3repE0EEENS1_30default_config_static_selectorELNS0_4arch9wavefront6targetE1EEEvT1_.kd
    .uniform_work_group_size: 1
    .uses_dynamic_stack: false
    .vgpr_count:     0
    .vgpr_spill_count: 0
    .wavefront_size: 64
  - .agpr_count:     0
    .args:
      - .offset:         0
        .size:           104
        .value_kind:     by_value
    .group_segment_fixed_size: 0
    .kernarg_segment_align: 8
    .kernarg_segment_size: 104
    .language:       OpenCL C
    .language_version:
      - 2
      - 0
    .max_flat_workgroup_size: 64
    .name:           _ZN7rocprim17ROCPRIM_400000_NS6detail17trampoline_kernelINS0_14default_configENS1_20scan_config_selectorIxEEZZNS1_9scan_implILNS1_25lookback_scan_determinismE0ELb0ELb0ES3_N6thrust23THRUST_200600_302600_NS6detail15normal_iteratorINS9_10device_ptrIxEEEESE_xNS9_4plusIxEExEEDaPvRmT3_T4_T5_mT6_P12ihipStream_tbENKUlT_T0_E_clISt17integral_constantIbLb1EEST_IbLb0EEEEDaSP_SQ_EUlSP_E_NS1_11comp_targetILNS1_3genE2ELNS1_11target_archE906ELNS1_3gpuE6ELNS1_3repE0EEENS1_30default_config_static_selectorELNS0_4arch9wavefront6targetE1EEEvT1_
    .private_segment_fixed_size: 0
    .sgpr_count:     4
    .sgpr_spill_count: 0
    .symbol:         _ZN7rocprim17ROCPRIM_400000_NS6detail17trampoline_kernelINS0_14default_configENS1_20scan_config_selectorIxEEZZNS1_9scan_implILNS1_25lookback_scan_determinismE0ELb0ELb0ES3_N6thrust23THRUST_200600_302600_NS6detail15normal_iteratorINS9_10device_ptrIxEEEESE_xNS9_4plusIxEExEEDaPvRmT3_T4_T5_mT6_P12ihipStream_tbENKUlT_T0_E_clISt17integral_constantIbLb1EEST_IbLb0EEEEDaSP_SQ_EUlSP_E_NS1_11comp_targetILNS1_3genE2ELNS1_11target_archE906ELNS1_3gpuE6ELNS1_3repE0EEENS1_30default_config_static_selectorELNS0_4arch9wavefront6targetE1EEEvT1_.kd
    .uniform_work_group_size: 1
    .uses_dynamic_stack: false
    .vgpr_count:     0
    .vgpr_spill_count: 0
    .wavefront_size: 64
  - .agpr_count:     0
    .args:
      - .offset:         0
        .size:           104
        .value_kind:     by_value
    .group_segment_fixed_size: 0
    .kernarg_segment_align: 8
    .kernarg_segment_size: 104
    .language:       OpenCL C
    .language_version:
      - 2
      - 0
    .max_flat_workgroup_size: 256
    .name:           _ZN7rocprim17ROCPRIM_400000_NS6detail17trampoline_kernelINS0_14default_configENS1_20scan_config_selectorIxEEZZNS1_9scan_implILNS1_25lookback_scan_determinismE0ELb0ELb0ES3_N6thrust23THRUST_200600_302600_NS6detail15normal_iteratorINS9_10device_ptrIxEEEESE_xNS9_4plusIxEExEEDaPvRmT3_T4_T5_mT6_P12ihipStream_tbENKUlT_T0_E_clISt17integral_constantIbLb1EEST_IbLb0EEEEDaSP_SQ_EUlSP_E_NS1_11comp_targetILNS1_3genE10ELNS1_11target_archE1201ELNS1_3gpuE5ELNS1_3repE0EEENS1_30default_config_static_selectorELNS0_4arch9wavefront6targetE1EEEvT1_
    .private_segment_fixed_size: 0
    .sgpr_count:     4
    .sgpr_spill_count: 0
    .symbol:         _ZN7rocprim17ROCPRIM_400000_NS6detail17trampoline_kernelINS0_14default_configENS1_20scan_config_selectorIxEEZZNS1_9scan_implILNS1_25lookback_scan_determinismE0ELb0ELb0ES3_N6thrust23THRUST_200600_302600_NS6detail15normal_iteratorINS9_10device_ptrIxEEEESE_xNS9_4plusIxEExEEDaPvRmT3_T4_T5_mT6_P12ihipStream_tbENKUlT_T0_E_clISt17integral_constantIbLb1EEST_IbLb0EEEEDaSP_SQ_EUlSP_E_NS1_11comp_targetILNS1_3genE10ELNS1_11target_archE1201ELNS1_3gpuE5ELNS1_3repE0EEENS1_30default_config_static_selectorELNS0_4arch9wavefront6targetE1EEEvT1_.kd
    .uniform_work_group_size: 1
    .uses_dynamic_stack: false
    .vgpr_count:     0
    .vgpr_spill_count: 0
    .wavefront_size: 64
  - .agpr_count:     0
    .args:
      - .offset:         0
        .size:           104
        .value_kind:     by_value
    .group_segment_fixed_size: 0
    .kernarg_segment_align: 8
    .kernarg_segment_size: 104
    .language:       OpenCL C
    .language_version:
      - 2
      - 0
    .max_flat_workgroup_size: 256
    .name:           _ZN7rocprim17ROCPRIM_400000_NS6detail17trampoline_kernelINS0_14default_configENS1_20scan_config_selectorIxEEZZNS1_9scan_implILNS1_25lookback_scan_determinismE0ELb0ELb0ES3_N6thrust23THRUST_200600_302600_NS6detail15normal_iteratorINS9_10device_ptrIxEEEESE_xNS9_4plusIxEExEEDaPvRmT3_T4_T5_mT6_P12ihipStream_tbENKUlT_T0_E_clISt17integral_constantIbLb1EEST_IbLb0EEEEDaSP_SQ_EUlSP_E_NS1_11comp_targetILNS1_3genE10ELNS1_11target_archE1200ELNS1_3gpuE4ELNS1_3repE0EEENS1_30default_config_static_selectorELNS0_4arch9wavefront6targetE1EEEvT1_
    .private_segment_fixed_size: 0
    .sgpr_count:     4
    .sgpr_spill_count: 0
    .symbol:         _ZN7rocprim17ROCPRIM_400000_NS6detail17trampoline_kernelINS0_14default_configENS1_20scan_config_selectorIxEEZZNS1_9scan_implILNS1_25lookback_scan_determinismE0ELb0ELb0ES3_N6thrust23THRUST_200600_302600_NS6detail15normal_iteratorINS9_10device_ptrIxEEEESE_xNS9_4plusIxEExEEDaPvRmT3_T4_T5_mT6_P12ihipStream_tbENKUlT_T0_E_clISt17integral_constantIbLb1EEST_IbLb0EEEEDaSP_SQ_EUlSP_E_NS1_11comp_targetILNS1_3genE10ELNS1_11target_archE1200ELNS1_3gpuE4ELNS1_3repE0EEENS1_30default_config_static_selectorELNS0_4arch9wavefront6targetE1EEEvT1_.kd
    .uniform_work_group_size: 1
    .uses_dynamic_stack: false
    .vgpr_count:     0
    .vgpr_spill_count: 0
    .wavefront_size: 64
  - .agpr_count:     0
    .args:
      - .offset:         0
        .size:           104
        .value_kind:     by_value
    .group_segment_fixed_size: 0
    .kernarg_segment_align: 8
    .kernarg_segment_size: 104
    .language:       OpenCL C
    .language_version:
      - 2
      - 0
    .max_flat_workgroup_size: 256
    .name:           _ZN7rocprim17ROCPRIM_400000_NS6detail17trampoline_kernelINS0_14default_configENS1_20scan_config_selectorIxEEZZNS1_9scan_implILNS1_25lookback_scan_determinismE0ELb0ELb0ES3_N6thrust23THRUST_200600_302600_NS6detail15normal_iteratorINS9_10device_ptrIxEEEESE_xNS9_4plusIxEExEEDaPvRmT3_T4_T5_mT6_P12ihipStream_tbENKUlT_T0_E_clISt17integral_constantIbLb1EEST_IbLb0EEEEDaSP_SQ_EUlSP_E_NS1_11comp_targetILNS1_3genE9ELNS1_11target_archE1100ELNS1_3gpuE3ELNS1_3repE0EEENS1_30default_config_static_selectorELNS0_4arch9wavefront6targetE1EEEvT1_
    .private_segment_fixed_size: 0
    .sgpr_count:     4
    .sgpr_spill_count: 0
    .symbol:         _ZN7rocprim17ROCPRIM_400000_NS6detail17trampoline_kernelINS0_14default_configENS1_20scan_config_selectorIxEEZZNS1_9scan_implILNS1_25lookback_scan_determinismE0ELb0ELb0ES3_N6thrust23THRUST_200600_302600_NS6detail15normal_iteratorINS9_10device_ptrIxEEEESE_xNS9_4plusIxEExEEDaPvRmT3_T4_T5_mT6_P12ihipStream_tbENKUlT_T0_E_clISt17integral_constantIbLb1EEST_IbLb0EEEEDaSP_SQ_EUlSP_E_NS1_11comp_targetILNS1_3genE9ELNS1_11target_archE1100ELNS1_3gpuE3ELNS1_3repE0EEENS1_30default_config_static_selectorELNS0_4arch9wavefront6targetE1EEEvT1_.kd
    .uniform_work_group_size: 1
    .uses_dynamic_stack: false
    .vgpr_count:     0
    .vgpr_spill_count: 0
    .wavefront_size: 64
  - .agpr_count:     0
    .args:
      - .offset:         0
        .size:           104
        .value_kind:     by_value
    .group_segment_fixed_size: 0
    .kernarg_segment_align: 8
    .kernarg_segment_size: 104
    .language:       OpenCL C
    .language_version:
      - 2
      - 0
    .max_flat_workgroup_size: 256
    .name:           _ZN7rocprim17ROCPRIM_400000_NS6detail17trampoline_kernelINS0_14default_configENS1_20scan_config_selectorIxEEZZNS1_9scan_implILNS1_25lookback_scan_determinismE0ELb0ELb0ES3_N6thrust23THRUST_200600_302600_NS6detail15normal_iteratorINS9_10device_ptrIxEEEESE_xNS9_4plusIxEExEEDaPvRmT3_T4_T5_mT6_P12ihipStream_tbENKUlT_T0_E_clISt17integral_constantIbLb1EEST_IbLb0EEEEDaSP_SQ_EUlSP_E_NS1_11comp_targetILNS1_3genE8ELNS1_11target_archE1030ELNS1_3gpuE2ELNS1_3repE0EEENS1_30default_config_static_selectorELNS0_4arch9wavefront6targetE1EEEvT1_
    .private_segment_fixed_size: 0
    .sgpr_count:     4
    .sgpr_spill_count: 0
    .symbol:         _ZN7rocprim17ROCPRIM_400000_NS6detail17trampoline_kernelINS0_14default_configENS1_20scan_config_selectorIxEEZZNS1_9scan_implILNS1_25lookback_scan_determinismE0ELb0ELb0ES3_N6thrust23THRUST_200600_302600_NS6detail15normal_iteratorINS9_10device_ptrIxEEEESE_xNS9_4plusIxEExEEDaPvRmT3_T4_T5_mT6_P12ihipStream_tbENKUlT_T0_E_clISt17integral_constantIbLb1EEST_IbLb0EEEEDaSP_SQ_EUlSP_E_NS1_11comp_targetILNS1_3genE8ELNS1_11target_archE1030ELNS1_3gpuE2ELNS1_3repE0EEENS1_30default_config_static_selectorELNS0_4arch9wavefront6targetE1EEEvT1_.kd
    .uniform_work_group_size: 1
    .uses_dynamic_stack: false
    .vgpr_count:     0
    .vgpr_spill_count: 0
    .wavefront_size: 64
  - .agpr_count:     0
    .args:
      - .offset:         0
        .size:           40
        .value_kind:     by_value
    .group_segment_fixed_size: 0
    .kernarg_segment_align: 8
    .kernarg_segment_size: 40
    .language:       OpenCL C
    .language_version:
      - 2
      - 0
    .max_flat_workgroup_size: 256
    .name:           _ZN7rocprim17ROCPRIM_400000_NS6detail17trampoline_kernelINS0_14default_configENS1_20scan_config_selectorIxEEZZNS1_9scan_implILNS1_25lookback_scan_determinismE0ELb0ELb0ES3_N6thrust23THRUST_200600_302600_NS6detail15normal_iteratorINS9_10device_ptrIxEEEESE_xNS9_4plusIxEExEEDaPvRmT3_T4_T5_mT6_P12ihipStream_tbENKUlT_T0_E_clISt17integral_constantIbLb1EEST_IbLb0EEEEDaSP_SQ_EUlSP_E0_NS1_11comp_targetILNS1_3genE0ELNS1_11target_archE4294967295ELNS1_3gpuE0ELNS1_3repE0EEENS1_30default_config_static_selectorELNS0_4arch9wavefront6targetE1EEEvT1_
    .private_segment_fixed_size: 0
    .sgpr_count:     4
    .sgpr_spill_count: 0
    .symbol:         _ZN7rocprim17ROCPRIM_400000_NS6detail17trampoline_kernelINS0_14default_configENS1_20scan_config_selectorIxEEZZNS1_9scan_implILNS1_25lookback_scan_determinismE0ELb0ELb0ES3_N6thrust23THRUST_200600_302600_NS6detail15normal_iteratorINS9_10device_ptrIxEEEESE_xNS9_4plusIxEExEEDaPvRmT3_T4_T5_mT6_P12ihipStream_tbENKUlT_T0_E_clISt17integral_constantIbLb1EEST_IbLb0EEEEDaSP_SQ_EUlSP_E0_NS1_11comp_targetILNS1_3genE0ELNS1_11target_archE4294967295ELNS1_3gpuE0ELNS1_3repE0EEENS1_30default_config_static_selectorELNS0_4arch9wavefront6targetE1EEEvT1_.kd
    .uniform_work_group_size: 1
    .uses_dynamic_stack: false
    .vgpr_count:     0
    .vgpr_spill_count: 0
    .wavefront_size: 64
  - .agpr_count:     0
    .args:
      - .offset:         0
        .size:           40
        .value_kind:     by_value
    .group_segment_fixed_size: 0
    .kernarg_segment_align: 8
    .kernarg_segment_size: 40
    .language:       OpenCL C
    .language_version:
      - 2
      - 0
    .max_flat_workgroup_size: 256
    .name:           _ZN7rocprim17ROCPRIM_400000_NS6detail17trampoline_kernelINS0_14default_configENS1_20scan_config_selectorIxEEZZNS1_9scan_implILNS1_25lookback_scan_determinismE0ELb0ELb0ES3_N6thrust23THRUST_200600_302600_NS6detail15normal_iteratorINS9_10device_ptrIxEEEESE_xNS9_4plusIxEExEEDaPvRmT3_T4_T5_mT6_P12ihipStream_tbENKUlT_T0_E_clISt17integral_constantIbLb1EEST_IbLb0EEEEDaSP_SQ_EUlSP_E0_NS1_11comp_targetILNS1_3genE5ELNS1_11target_archE942ELNS1_3gpuE9ELNS1_3repE0EEENS1_30default_config_static_selectorELNS0_4arch9wavefront6targetE1EEEvT1_
    .private_segment_fixed_size: 0
    .sgpr_count:     4
    .sgpr_spill_count: 0
    .symbol:         _ZN7rocprim17ROCPRIM_400000_NS6detail17trampoline_kernelINS0_14default_configENS1_20scan_config_selectorIxEEZZNS1_9scan_implILNS1_25lookback_scan_determinismE0ELb0ELb0ES3_N6thrust23THRUST_200600_302600_NS6detail15normal_iteratorINS9_10device_ptrIxEEEESE_xNS9_4plusIxEExEEDaPvRmT3_T4_T5_mT6_P12ihipStream_tbENKUlT_T0_E_clISt17integral_constantIbLb1EEST_IbLb0EEEEDaSP_SQ_EUlSP_E0_NS1_11comp_targetILNS1_3genE5ELNS1_11target_archE942ELNS1_3gpuE9ELNS1_3repE0EEENS1_30default_config_static_selectorELNS0_4arch9wavefront6targetE1EEEvT1_.kd
    .uniform_work_group_size: 1
    .uses_dynamic_stack: false
    .vgpr_count:     0
    .vgpr_spill_count: 0
    .wavefront_size: 64
  - .agpr_count:     0
    .args:
      - .offset:         0
        .size:           40
        .value_kind:     by_value
    .group_segment_fixed_size: 7168
    .kernarg_segment_align: 8
    .kernarg_segment_size: 40
    .language:       OpenCL C
    .language_version:
      - 2
      - 0
    .max_flat_workgroup_size: 128
    .name:           _ZN7rocprim17ROCPRIM_400000_NS6detail17trampoline_kernelINS0_14default_configENS1_20scan_config_selectorIxEEZZNS1_9scan_implILNS1_25lookback_scan_determinismE0ELb0ELb0ES3_N6thrust23THRUST_200600_302600_NS6detail15normal_iteratorINS9_10device_ptrIxEEEESE_xNS9_4plusIxEExEEDaPvRmT3_T4_T5_mT6_P12ihipStream_tbENKUlT_T0_E_clISt17integral_constantIbLb1EEST_IbLb0EEEEDaSP_SQ_EUlSP_E0_NS1_11comp_targetILNS1_3genE4ELNS1_11target_archE910ELNS1_3gpuE8ELNS1_3repE0EEENS1_30default_config_static_selectorELNS0_4arch9wavefront6targetE1EEEvT1_
    .private_segment_fixed_size: 0
    .sgpr_count:     26
    .sgpr_spill_count: 0
    .symbol:         _ZN7rocprim17ROCPRIM_400000_NS6detail17trampoline_kernelINS0_14default_configENS1_20scan_config_selectorIxEEZZNS1_9scan_implILNS1_25lookback_scan_determinismE0ELb0ELb0ES3_N6thrust23THRUST_200600_302600_NS6detail15normal_iteratorINS9_10device_ptrIxEEEESE_xNS9_4plusIxEExEEDaPvRmT3_T4_T5_mT6_P12ihipStream_tbENKUlT_T0_E_clISt17integral_constantIbLb1EEST_IbLb0EEEEDaSP_SQ_EUlSP_E0_NS1_11comp_targetILNS1_3genE4ELNS1_11target_archE910ELNS1_3gpuE8ELNS1_3repE0EEENS1_30default_config_static_selectorELNS0_4arch9wavefront6targetE1EEEvT1_.kd
    .uniform_work_group_size: 1
    .uses_dynamic_stack: false
    .vgpr_count:     41
    .vgpr_spill_count: 0
    .wavefront_size: 64
  - .agpr_count:     0
    .args:
      - .offset:         0
        .size:           40
        .value_kind:     by_value
    .group_segment_fixed_size: 0
    .kernarg_segment_align: 8
    .kernarg_segment_size: 40
    .language:       OpenCL C
    .language_version:
      - 2
      - 0
    .max_flat_workgroup_size: 256
    .name:           _ZN7rocprim17ROCPRIM_400000_NS6detail17trampoline_kernelINS0_14default_configENS1_20scan_config_selectorIxEEZZNS1_9scan_implILNS1_25lookback_scan_determinismE0ELb0ELb0ES3_N6thrust23THRUST_200600_302600_NS6detail15normal_iteratorINS9_10device_ptrIxEEEESE_xNS9_4plusIxEExEEDaPvRmT3_T4_T5_mT6_P12ihipStream_tbENKUlT_T0_E_clISt17integral_constantIbLb1EEST_IbLb0EEEEDaSP_SQ_EUlSP_E0_NS1_11comp_targetILNS1_3genE3ELNS1_11target_archE908ELNS1_3gpuE7ELNS1_3repE0EEENS1_30default_config_static_selectorELNS0_4arch9wavefront6targetE1EEEvT1_
    .private_segment_fixed_size: 0
    .sgpr_count:     4
    .sgpr_spill_count: 0
    .symbol:         _ZN7rocprim17ROCPRIM_400000_NS6detail17trampoline_kernelINS0_14default_configENS1_20scan_config_selectorIxEEZZNS1_9scan_implILNS1_25lookback_scan_determinismE0ELb0ELb0ES3_N6thrust23THRUST_200600_302600_NS6detail15normal_iteratorINS9_10device_ptrIxEEEESE_xNS9_4plusIxEExEEDaPvRmT3_T4_T5_mT6_P12ihipStream_tbENKUlT_T0_E_clISt17integral_constantIbLb1EEST_IbLb0EEEEDaSP_SQ_EUlSP_E0_NS1_11comp_targetILNS1_3genE3ELNS1_11target_archE908ELNS1_3gpuE7ELNS1_3repE0EEENS1_30default_config_static_selectorELNS0_4arch9wavefront6targetE1EEEvT1_.kd
    .uniform_work_group_size: 1
    .uses_dynamic_stack: false
    .vgpr_count:     0
    .vgpr_spill_count: 0
    .wavefront_size: 64
  - .agpr_count:     0
    .args:
      - .offset:         0
        .size:           40
        .value_kind:     by_value
    .group_segment_fixed_size: 0
    .kernarg_segment_align: 8
    .kernarg_segment_size: 40
    .language:       OpenCL C
    .language_version:
      - 2
      - 0
    .max_flat_workgroup_size: 64
    .name:           _ZN7rocprim17ROCPRIM_400000_NS6detail17trampoline_kernelINS0_14default_configENS1_20scan_config_selectorIxEEZZNS1_9scan_implILNS1_25lookback_scan_determinismE0ELb0ELb0ES3_N6thrust23THRUST_200600_302600_NS6detail15normal_iteratorINS9_10device_ptrIxEEEESE_xNS9_4plusIxEExEEDaPvRmT3_T4_T5_mT6_P12ihipStream_tbENKUlT_T0_E_clISt17integral_constantIbLb1EEST_IbLb0EEEEDaSP_SQ_EUlSP_E0_NS1_11comp_targetILNS1_3genE2ELNS1_11target_archE906ELNS1_3gpuE6ELNS1_3repE0EEENS1_30default_config_static_selectorELNS0_4arch9wavefront6targetE1EEEvT1_
    .private_segment_fixed_size: 0
    .sgpr_count:     4
    .sgpr_spill_count: 0
    .symbol:         _ZN7rocprim17ROCPRIM_400000_NS6detail17trampoline_kernelINS0_14default_configENS1_20scan_config_selectorIxEEZZNS1_9scan_implILNS1_25lookback_scan_determinismE0ELb0ELb0ES3_N6thrust23THRUST_200600_302600_NS6detail15normal_iteratorINS9_10device_ptrIxEEEESE_xNS9_4plusIxEExEEDaPvRmT3_T4_T5_mT6_P12ihipStream_tbENKUlT_T0_E_clISt17integral_constantIbLb1EEST_IbLb0EEEEDaSP_SQ_EUlSP_E0_NS1_11comp_targetILNS1_3genE2ELNS1_11target_archE906ELNS1_3gpuE6ELNS1_3repE0EEENS1_30default_config_static_selectorELNS0_4arch9wavefront6targetE1EEEvT1_.kd
    .uniform_work_group_size: 1
    .uses_dynamic_stack: false
    .vgpr_count:     0
    .vgpr_spill_count: 0
    .wavefront_size: 64
  - .agpr_count:     0
    .args:
      - .offset:         0
        .size:           40
        .value_kind:     by_value
    .group_segment_fixed_size: 0
    .kernarg_segment_align: 8
    .kernarg_segment_size: 40
    .language:       OpenCL C
    .language_version:
      - 2
      - 0
    .max_flat_workgroup_size: 256
    .name:           _ZN7rocprim17ROCPRIM_400000_NS6detail17trampoline_kernelINS0_14default_configENS1_20scan_config_selectorIxEEZZNS1_9scan_implILNS1_25lookback_scan_determinismE0ELb0ELb0ES3_N6thrust23THRUST_200600_302600_NS6detail15normal_iteratorINS9_10device_ptrIxEEEESE_xNS9_4plusIxEExEEDaPvRmT3_T4_T5_mT6_P12ihipStream_tbENKUlT_T0_E_clISt17integral_constantIbLb1EEST_IbLb0EEEEDaSP_SQ_EUlSP_E0_NS1_11comp_targetILNS1_3genE10ELNS1_11target_archE1201ELNS1_3gpuE5ELNS1_3repE0EEENS1_30default_config_static_selectorELNS0_4arch9wavefront6targetE1EEEvT1_
    .private_segment_fixed_size: 0
    .sgpr_count:     4
    .sgpr_spill_count: 0
    .symbol:         _ZN7rocprim17ROCPRIM_400000_NS6detail17trampoline_kernelINS0_14default_configENS1_20scan_config_selectorIxEEZZNS1_9scan_implILNS1_25lookback_scan_determinismE0ELb0ELb0ES3_N6thrust23THRUST_200600_302600_NS6detail15normal_iteratorINS9_10device_ptrIxEEEESE_xNS9_4plusIxEExEEDaPvRmT3_T4_T5_mT6_P12ihipStream_tbENKUlT_T0_E_clISt17integral_constantIbLb1EEST_IbLb0EEEEDaSP_SQ_EUlSP_E0_NS1_11comp_targetILNS1_3genE10ELNS1_11target_archE1201ELNS1_3gpuE5ELNS1_3repE0EEENS1_30default_config_static_selectorELNS0_4arch9wavefront6targetE1EEEvT1_.kd
    .uniform_work_group_size: 1
    .uses_dynamic_stack: false
    .vgpr_count:     0
    .vgpr_spill_count: 0
    .wavefront_size: 64
  - .agpr_count:     0
    .args:
      - .offset:         0
        .size:           40
        .value_kind:     by_value
    .group_segment_fixed_size: 0
    .kernarg_segment_align: 8
    .kernarg_segment_size: 40
    .language:       OpenCL C
    .language_version:
      - 2
      - 0
    .max_flat_workgroup_size: 256
    .name:           _ZN7rocprim17ROCPRIM_400000_NS6detail17trampoline_kernelINS0_14default_configENS1_20scan_config_selectorIxEEZZNS1_9scan_implILNS1_25lookback_scan_determinismE0ELb0ELb0ES3_N6thrust23THRUST_200600_302600_NS6detail15normal_iteratorINS9_10device_ptrIxEEEESE_xNS9_4plusIxEExEEDaPvRmT3_T4_T5_mT6_P12ihipStream_tbENKUlT_T0_E_clISt17integral_constantIbLb1EEST_IbLb0EEEEDaSP_SQ_EUlSP_E0_NS1_11comp_targetILNS1_3genE10ELNS1_11target_archE1200ELNS1_3gpuE4ELNS1_3repE0EEENS1_30default_config_static_selectorELNS0_4arch9wavefront6targetE1EEEvT1_
    .private_segment_fixed_size: 0
    .sgpr_count:     4
    .sgpr_spill_count: 0
    .symbol:         _ZN7rocprim17ROCPRIM_400000_NS6detail17trampoline_kernelINS0_14default_configENS1_20scan_config_selectorIxEEZZNS1_9scan_implILNS1_25lookback_scan_determinismE0ELb0ELb0ES3_N6thrust23THRUST_200600_302600_NS6detail15normal_iteratorINS9_10device_ptrIxEEEESE_xNS9_4plusIxEExEEDaPvRmT3_T4_T5_mT6_P12ihipStream_tbENKUlT_T0_E_clISt17integral_constantIbLb1EEST_IbLb0EEEEDaSP_SQ_EUlSP_E0_NS1_11comp_targetILNS1_3genE10ELNS1_11target_archE1200ELNS1_3gpuE4ELNS1_3repE0EEENS1_30default_config_static_selectorELNS0_4arch9wavefront6targetE1EEEvT1_.kd
    .uniform_work_group_size: 1
    .uses_dynamic_stack: false
    .vgpr_count:     0
    .vgpr_spill_count: 0
    .wavefront_size: 64
  - .agpr_count:     0
    .args:
      - .offset:         0
        .size:           40
        .value_kind:     by_value
    .group_segment_fixed_size: 0
    .kernarg_segment_align: 8
    .kernarg_segment_size: 40
    .language:       OpenCL C
    .language_version:
      - 2
      - 0
    .max_flat_workgroup_size: 256
    .name:           _ZN7rocprim17ROCPRIM_400000_NS6detail17trampoline_kernelINS0_14default_configENS1_20scan_config_selectorIxEEZZNS1_9scan_implILNS1_25lookback_scan_determinismE0ELb0ELb0ES3_N6thrust23THRUST_200600_302600_NS6detail15normal_iteratorINS9_10device_ptrIxEEEESE_xNS9_4plusIxEExEEDaPvRmT3_T4_T5_mT6_P12ihipStream_tbENKUlT_T0_E_clISt17integral_constantIbLb1EEST_IbLb0EEEEDaSP_SQ_EUlSP_E0_NS1_11comp_targetILNS1_3genE9ELNS1_11target_archE1100ELNS1_3gpuE3ELNS1_3repE0EEENS1_30default_config_static_selectorELNS0_4arch9wavefront6targetE1EEEvT1_
    .private_segment_fixed_size: 0
    .sgpr_count:     4
    .sgpr_spill_count: 0
    .symbol:         _ZN7rocprim17ROCPRIM_400000_NS6detail17trampoline_kernelINS0_14default_configENS1_20scan_config_selectorIxEEZZNS1_9scan_implILNS1_25lookback_scan_determinismE0ELb0ELb0ES3_N6thrust23THRUST_200600_302600_NS6detail15normal_iteratorINS9_10device_ptrIxEEEESE_xNS9_4plusIxEExEEDaPvRmT3_T4_T5_mT6_P12ihipStream_tbENKUlT_T0_E_clISt17integral_constantIbLb1EEST_IbLb0EEEEDaSP_SQ_EUlSP_E0_NS1_11comp_targetILNS1_3genE9ELNS1_11target_archE1100ELNS1_3gpuE3ELNS1_3repE0EEENS1_30default_config_static_selectorELNS0_4arch9wavefront6targetE1EEEvT1_.kd
    .uniform_work_group_size: 1
    .uses_dynamic_stack: false
    .vgpr_count:     0
    .vgpr_spill_count: 0
    .wavefront_size: 64
  - .agpr_count:     0
    .args:
      - .offset:         0
        .size:           40
        .value_kind:     by_value
    .group_segment_fixed_size: 0
    .kernarg_segment_align: 8
    .kernarg_segment_size: 40
    .language:       OpenCL C
    .language_version:
      - 2
      - 0
    .max_flat_workgroup_size: 256
    .name:           _ZN7rocprim17ROCPRIM_400000_NS6detail17trampoline_kernelINS0_14default_configENS1_20scan_config_selectorIxEEZZNS1_9scan_implILNS1_25lookback_scan_determinismE0ELb0ELb0ES3_N6thrust23THRUST_200600_302600_NS6detail15normal_iteratorINS9_10device_ptrIxEEEESE_xNS9_4plusIxEExEEDaPvRmT3_T4_T5_mT6_P12ihipStream_tbENKUlT_T0_E_clISt17integral_constantIbLb1EEST_IbLb0EEEEDaSP_SQ_EUlSP_E0_NS1_11comp_targetILNS1_3genE8ELNS1_11target_archE1030ELNS1_3gpuE2ELNS1_3repE0EEENS1_30default_config_static_selectorELNS0_4arch9wavefront6targetE1EEEvT1_
    .private_segment_fixed_size: 0
    .sgpr_count:     4
    .sgpr_spill_count: 0
    .symbol:         _ZN7rocprim17ROCPRIM_400000_NS6detail17trampoline_kernelINS0_14default_configENS1_20scan_config_selectorIxEEZZNS1_9scan_implILNS1_25lookback_scan_determinismE0ELb0ELb0ES3_N6thrust23THRUST_200600_302600_NS6detail15normal_iteratorINS9_10device_ptrIxEEEESE_xNS9_4plusIxEExEEDaPvRmT3_T4_T5_mT6_P12ihipStream_tbENKUlT_T0_E_clISt17integral_constantIbLb1EEST_IbLb0EEEEDaSP_SQ_EUlSP_E0_NS1_11comp_targetILNS1_3genE8ELNS1_11target_archE1030ELNS1_3gpuE2ELNS1_3repE0EEENS1_30default_config_static_selectorELNS0_4arch9wavefront6targetE1EEEvT1_.kd
    .uniform_work_group_size: 1
    .uses_dynamic_stack: false
    .vgpr_count:     0
    .vgpr_spill_count: 0
    .wavefront_size: 64
  - .agpr_count:     0
    .args:
      - .offset:         0
        .size:           104
        .value_kind:     by_value
    .group_segment_fixed_size: 0
    .kernarg_segment_align: 8
    .kernarg_segment_size: 104
    .language:       OpenCL C
    .language_version:
      - 2
      - 0
    .max_flat_workgroup_size: 256
    .name:           _ZN7rocprim17ROCPRIM_400000_NS6detail17trampoline_kernelINS0_14default_configENS1_20scan_config_selectorIxEEZZNS1_9scan_implILNS1_25lookback_scan_determinismE0ELb0ELb0ES3_N6thrust23THRUST_200600_302600_NS6detail15normal_iteratorINS9_10device_ptrIxEEEESE_xNS9_4plusIxEExEEDaPvRmT3_T4_T5_mT6_P12ihipStream_tbENKUlT_T0_E_clISt17integral_constantIbLb0EEST_IbLb1EEEEDaSP_SQ_EUlSP_E_NS1_11comp_targetILNS1_3genE0ELNS1_11target_archE4294967295ELNS1_3gpuE0ELNS1_3repE0EEENS1_30default_config_static_selectorELNS0_4arch9wavefront6targetE1EEEvT1_
    .private_segment_fixed_size: 0
    .sgpr_count:     4
    .sgpr_spill_count: 0
    .symbol:         _ZN7rocprim17ROCPRIM_400000_NS6detail17trampoline_kernelINS0_14default_configENS1_20scan_config_selectorIxEEZZNS1_9scan_implILNS1_25lookback_scan_determinismE0ELb0ELb0ES3_N6thrust23THRUST_200600_302600_NS6detail15normal_iteratorINS9_10device_ptrIxEEEESE_xNS9_4plusIxEExEEDaPvRmT3_T4_T5_mT6_P12ihipStream_tbENKUlT_T0_E_clISt17integral_constantIbLb0EEST_IbLb1EEEEDaSP_SQ_EUlSP_E_NS1_11comp_targetILNS1_3genE0ELNS1_11target_archE4294967295ELNS1_3gpuE0ELNS1_3repE0EEENS1_30default_config_static_selectorELNS0_4arch9wavefront6targetE1EEEvT1_.kd
    .uniform_work_group_size: 1
    .uses_dynamic_stack: false
    .vgpr_count:     0
    .vgpr_spill_count: 0
    .wavefront_size: 64
  - .agpr_count:     0
    .args:
      - .offset:         0
        .size:           104
        .value_kind:     by_value
    .group_segment_fixed_size: 0
    .kernarg_segment_align: 8
    .kernarg_segment_size: 104
    .language:       OpenCL C
    .language_version:
      - 2
      - 0
    .max_flat_workgroup_size: 256
    .name:           _ZN7rocprim17ROCPRIM_400000_NS6detail17trampoline_kernelINS0_14default_configENS1_20scan_config_selectorIxEEZZNS1_9scan_implILNS1_25lookback_scan_determinismE0ELb0ELb0ES3_N6thrust23THRUST_200600_302600_NS6detail15normal_iteratorINS9_10device_ptrIxEEEESE_xNS9_4plusIxEExEEDaPvRmT3_T4_T5_mT6_P12ihipStream_tbENKUlT_T0_E_clISt17integral_constantIbLb0EEST_IbLb1EEEEDaSP_SQ_EUlSP_E_NS1_11comp_targetILNS1_3genE5ELNS1_11target_archE942ELNS1_3gpuE9ELNS1_3repE0EEENS1_30default_config_static_selectorELNS0_4arch9wavefront6targetE1EEEvT1_
    .private_segment_fixed_size: 0
    .sgpr_count:     4
    .sgpr_spill_count: 0
    .symbol:         _ZN7rocprim17ROCPRIM_400000_NS6detail17trampoline_kernelINS0_14default_configENS1_20scan_config_selectorIxEEZZNS1_9scan_implILNS1_25lookback_scan_determinismE0ELb0ELb0ES3_N6thrust23THRUST_200600_302600_NS6detail15normal_iteratorINS9_10device_ptrIxEEEESE_xNS9_4plusIxEExEEDaPvRmT3_T4_T5_mT6_P12ihipStream_tbENKUlT_T0_E_clISt17integral_constantIbLb0EEST_IbLb1EEEEDaSP_SQ_EUlSP_E_NS1_11comp_targetILNS1_3genE5ELNS1_11target_archE942ELNS1_3gpuE9ELNS1_3repE0EEENS1_30default_config_static_selectorELNS0_4arch9wavefront6targetE1EEEvT1_.kd
    .uniform_work_group_size: 1
    .uses_dynamic_stack: false
    .vgpr_count:     0
    .vgpr_spill_count: 0
    .wavefront_size: 64
  - .agpr_count:     0
    .args:
      - .offset:         0
        .size:           104
        .value_kind:     by_value
    .group_segment_fixed_size: 7168
    .kernarg_segment_align: 8
    .kernarg_segment_size: 104
    .language:       OpenCL C
    .language_version:
      - 2
      - 0
    .max_flat_workgroup_size: 128
    .name:           _ZN7rocprim17ROCPRIM_400000_NS6detail17trampoline_kernelINS0_14default_configENS1_20scan_config_selectorIxEEZZNS1_9scan_implILNS1_25lookback_scan_determinismE0ELb0ELb0ES3_N6thrust23THRUST_200600_302600_NS6detail15normal_iteratorINS9_10device_ptrIxEEEESE_xNS9_4plusIxEExEEDaPvRmT3_T4_T5_mT6_P12ihipStream_tbENKUlT_T0_E_clISt17integral_constantIbLb0EEST_IbLb1EEEEDaSP_SQ_EUlSP_E_NS1_11comp_targetILNS1_3genE4ELNS1_11target_archE910ELNS1_3gpuE8ELNS1_3repE0EEENS1_30default_config_static_selectorELNS0_4arch9wavefront6targetE1EEEvT1_
    .private_segment_fixed_size: 0
    .sgpr_count:     40
    .sgpr_spill_count: 0
    .symbol:         _ZN7rocprim17ROCPRIM_400000_NS6detail17trampoline_kernelINS0_14default_configENS1_20scan_config_selectorIxEEZZNS1_9scan_implILNS1_25lookback_scan_determinismE0ELb0ELb0ES3_N6thrust23THRUST_200600_302600_NS6detail15normal_iteratorINS9_10device_ptrIxEEEESE_xNS9_4plusIxEExEEDaPvRmT3_T4_T5_mT6_P12ihipStream_tbENKUlT_T0_E_clISt17integral_constantIbLb0EEST_IbLb1EEEEDaSP_SQ_EUlSP_E_NS1_11comp_targetILNS1_3genE4ELNS1_11target_archE910ELNS1_3gpuE8ELNS1_3repE0EEENS1_30default_config_static_selectorELNS0_4arch9wavefront6targetE1EEEvT1_.kd
    .uniform_work_group_size: 1
    .uses_dynamic_stack: false
    .vgpr_count:     51
    .vgpr_spill_count: 0
    .wavefront_size: 64
  - .agpr_count:     0
    .args:
      - .offset:         0
        .size:           104
        .value_kind:     by_value
    .group_segment_fixed_size: 0
    .kernarg_segment_align: 8
    .kernarg_segment_size: 104
    .language:       OpenCL C
    .language_version:
      - 2
      - 0
    .max_flat_workgroup_size: 256
    .name:           _ZN7rocprim17ROCPRIM_400000_NS6detail17trampoline_kernelINS0_14default_configENS1_20scan_config_selectorIxEEZZNS1_9scan_implILNS1_25lookback_scan_determinismE0ELb0ELb0ES3_N6thrust23THRUST_200600_302600_NS6detail15normal_iteratorINS9_10device_ptrIxEEEESE_xNS9_4plusIxEExEEDaPvRmT3_T4_T5_mT6_P12ihipStream_tbENKUlT_T0_E_clISt17integral_constantIbLb0EEST_IbLb1EEEEDaSP_SQ_EUlSP_E_NS1_11comp_targetILNS1_3genE3ELNS1_11target_archE908ELNS1_3gpuE7ELNS1_3repE0EEENS1_30default_config_static_selectorELNS0_4arch9wavefront6targetE1EEEvT1_
    .private_segment_fixed_size: 0
    .sgpr_count:     4
    .sgpr_spill_count: 0
    .symbol:         _ZN7rocprim17ROCPRIM_400000_NS6detail17trampoline_kernelINS0_14default_configENS1_20scan_config_selectorIxEEZZNS1_9scan_implILNS1_25lookback_scan_determinismE0ELb0ELb0ES3_N6thrust23THRUST_200600_302600_NS6detail15normal_iteratorINS9_10device_ptrIxEEEESE_xNS9_4plusIxEExEEDaPvRmT3_T4_T5_mT6_P12ihipStream_tbENKUlT_T0_E_clISt17integral_constantIbLb0EEST_IbLb1EEEEDaSP_SQ_EUlSP_E_NS1_11comp_targetILNS1_3genE3ELNS1_11target_archE908ELNS1_3gpuE7ELNS1_3repE0EEENS1_30default_config_static_selectorELNS0_4arch9wavefront6targetE1EEEvT1_.kd
    .uniform_work_group_size: 1
    .uses_dynamic_stack: false
    .vgpr_count:     0
    .vgpr_spill_count: 0
    .wavefront_size: 64
  - .agpr_count:     0
    .args:
      - .offset:         0
        .size:           104
        .value_kind:     by_value
    .group_segment_fixed_size: 0
    .kernarg_segment_align: 8
    .kernarg_segment_size: 104
    .language:       OpenCL C
    .language_version:
      - 2
      - 0
    .max_flat_workgroup_size: 64
    .name:           _ZN7rocprim17ROCPRIM_400000_NS6detail17trampoline_kernelINS0_14default_configENS1_20scan_config_selectorIxEEZZNS1_9scan_implILNS1_25lookback_scan_determinismE0ELb0ELb0ES3_N6thrust23THRUST_200600_302600_NS6detail15normal_iteratorINS9_10device_ptrIxEEEESE_xNS9_4plusIxEExEEDaPvRmT3_T4_T5_mT6_P12ihipStream_tbENKUlT_T0_E_clISt17integral_constantIbLb0EEST_IbLb1EEEEDaSP_SQ_EUlSP_E_NS1_11comp_targetILNS1_3genE2ELNS1_11target_archE906ELNS1_3gpuE6ELNS1_3repE0EEENS1_30default_config_static_selectorELNS0_4arch9wavefront6targetE1EEEvT1_
    .private_segment_fixed_size: 0
    .sgpr_count:     4
    .sgpr_spill_count: 0
    .symbol:         _ZN7rocprim17ROCPRIM_400000_NS6detail17trampoline_kernelINS0_14default_configENS1_20scan_config_selectorIxEEZZNS1_9scan_implILNS1_25lookback_scan_determinismE0ELb0ELb0ES3_N6thrust23THRUST_200600_302600_NS6detail15normal_iteratorINS9_10device_ptrIxEEEESE_xNS9_4plusIxEExEEDaPvRmT3_T4_T5_mT6_P12ihipStream_tbENKUlT_T0_E_clISt17integral_constantIbLb0EEST_IbLb1EEEEDaSP_SQ_EUlSP_E_NS1_11comp_targetILNS1_3genE2ELNS1_11target_archE906ELNS1_3gpuE6ELNS1_3repE0EEENS1_30default_config_static_selectorELNS0_4arch9wavefront6targetE1EEEvT1_.kd
    .uniform_work_group_size: 1
    .uses_dynamic_stack: false
    .vgpr_count:     0
    .vgpr_spill_count: 0
    .wavefront_size: 64
  - .agpr_count:     0
    .args:
      - .offset:         0
        .size:           104
        .value_kind:     by_value
    .group_segment_fixed_size: 0
    .kernarg_segment_align: 8
    .kernarg_segment_size: 104
    .language:       OpenCL C
    .language_version:
      - 2
      - 0
    .max_flat_workgroup_size: 256
    .name:           _ZN7rocprim17ROCPRIM_400000_NS6detail17trampoline_kernelINS0_14default_configENS1_20scan_config_selectorIxEEZZNS1_9scan_implILNS1_25lookback_scan_determinismE0ELb0ELb0ES3_N6thrust23THRUST_200600_302600_NS6detail15normal_iteratorINS9_10device_ptrIxEEEESE_xNS9_4plusIxEExEEDaPvRmT3_T4_T5_mT6_P12ihipStream_tbENKUlT_T0_E_clISt17integral_constantIbLb0EEST_IbLb1EEEEDaSP_SQ_EUlSP_E_NS1_11comp_targetILNS1_3genE10ELNS1_11target_archE1201ELNS1_3gpuE5ELNS1_3repE0EEENS1_30default_config_static_selectorELNS0_4arch9wavefront6targetE1EEEvT1_
    .private_segment_fixed_size: 0
    .sgpr_count:     4
    .sgpr_spill_count: 0
    .symbol:         _ZN7rocprim17ROCPRIM_400000_NS6detail17trampoline_kernelINS0_14default_configENS1_20scan_config_selectorIxEEZZNS1_9scan_implILNS1_25lookback_scan_determinismE0ELb0ELb0ES3_N6thrust23THRUST_200600_302600_NS6detail15normal_iteratorINS9_10device_ptrIxEEEESE_xNS9_4plusIxEExEEDaPvRmT3_T4_T5_mT6_P12ihipStream_tbENKUlT_T0_E_clISt17integral_constantIbLb0EEST_IbLb1EEEEDaSP_SQ_EUlSP_E_NS1_11comp_targetILNS1_3genE10ELNS1_11target_archE1201ELNS1_3gpuE5ELNS1_3repE0EEENS1_30default_config_static_selectorELNS0_4arch9wavefront6targetE1EEEvT1_.kd
    .uniform_work_group_size: 1
    .uses_dynamic_stack: false
    .vgpr_count:     0
    .vgpr_spill_count: 0
    .wavefront_size: 64
  - .agpr_count:     0
    .args:
      - .offset:         0
        .size:           104
        .value_kind:     by_value
    .group_segment_fixed_size: 0
    .kernarg_segment_align: 8
    .kernarg_segment_size: 104
    .language:       OpenCL C
    .language_version:
      - 2
      - 0
    .max_flat_workgroup_size: 256
    .name:           _ZN7rocprim17ROCPRIM_400000_NS6detail17trampoline_kernelINS0_14default_configENS1_20scan_config_selectorIxEEZZNS1_9scan_implILNS1_25lookback_scan_determinismE0ELb0ELb0ES3_N6thrust23THRUST_200600_302600_NS6detail15normal_iteratorINS9_10device_ptrIxEEEESE_xNS9_4plusIxEExEEDaPvRmT3_T4_T5_mT6_P12ihipStream_tbENKUlT_T0_E_clISt17integral_constantIbLb0EEST_IbLb1EEEEDaSP_SQ_EUlSP_E_NS1_11comp_targetILNS1_3genE10ELNS1_11target_archE1200ELNS1_3gpuE4ELNS1_3repE0EEENS1_30default_config_static_selectorELNS0_4arch9wavefront6targetE1EEEvT1_
    .private_segment_fixed_size: 0
    .sgpr_count:     4
    .sgpr_spill_count: 0
    .symbol:         _ZN7rocprim17ROCPRIM_400000_NS6detail17trampoline_kernelINS0_14default_configENS1_20scan_config_selectorIxEEZZNS1_9scan_implILNS1_25lookback_scan_determinismE0ELb0ELb0ES3_N6thrust23THRUST_200600_302600_NS6detail15normal_iteratorINS9_10device_ptrIxEEEESE_xNS9_4plusIxEExEEDaPvRmT3_T4_T5_mT6_P12ihipStream_tbENKUlT_T0_E_clISt17integral_constantIbLb0EEST_IbLb1EEEEDaSP_SQ_EUlSP_E_NS1_11comp_targetILNS1_3genE10ELNS1_11target_archE1200ELNS1_3gpuE4ELNS1_3repE0EEENS1_30default_config_static_selectorELNS0_4arch9wavefront6targetE1EEEvT1_.kd
    .uniform_work_group_size: 1
    .uses_dynamic_stack: false
    .vgpr_count:     0
    .vgpr_spill_count: 0
    .wavefront_size: 64
  - .agpr_count:     0
    .args:
      - .offset:         0
        .size:           104
        .value_kind:     by_value
    .group_segment_fixed_size: 0
    .kernarg_segment_align: 8
    .kernarg_segment_size: 104
    .language:       OpenCL C
    .language_version:
      - 2
      - 0
    .max_flat_workgroup_size: 256
    .name:           _ZN7rocprim17ROCPRIM_400000_NS6detail17trampoline_kernelINS0_14default_configENS1_20scan_config_selectorIxEEZZNS1_9scan_implILNS1_25lookback_scan_determinismE0ELb0ELb0ES3_N6thrust23THRUST_200600_302600_NS6detail15normal_iteratorINS9_10device_ptrIxEEEESE_xNS9_4plusIxEExEEDaPvRmT3_T4_T5_mT6_P12ihipStream_tbENKUlT_T0_E_clISt17integral_constantIbLb0EEST_IbLb1EEEEDaSP_SQ_EUlSP_E_NS1_11comp_targetILNS1_3genE9ELNS1_11target_archE1100ELNS1_3gpuE3ELNS1_3repE0EEENS1_30default_config_static_selectorELNS0_4arch9wavefront6targetE1EEEvT1_
    .private_segment_fixed_size: 0
    .sgpr_count:     4
    .sgpr_spill_count: 0
    .symbol:         _ZN7rocprim17ROCPRIM_400000_NS6detail17trampoline_kernelINS0_14default_configENS1_20scan_config_selectorIxEEZZNS1_9scan_implILNS1_25lookback_scan_determinismE0ELb0ELb0ES3_N6thrust23THRUST_200600_302600_NS6detail15normal_iteratorINS9_10device_ptrIxEEEESE_xNS9_4plusIxEExEEDaPvRmT3_T4_T5_mT6_P12ihipStream_tbENKUlT_T0_E_clISt17integral_constantIbLb0EEST_IbLb1EEEEDaSP_SQ_EUlSP_E_NS1_11comp_targetILNS1_3genE9ELNS1_11target_archE1100ELNS1_3gpuE3ELNS1_3repE0EEENS1_30default_config_static_selectorELNS0_4arch9wavefront6targetE1EEEvT1_.kd
    .uniform_work_group_size: 1
    .uses_dynamic_stack: false
    .vgpr_count:     0
    .vgpr_spill_count: 0
    .wavefront_size: 64
  - .agpr_count:     0
    .args:
      - .offset:         0
        .size:           104
        .value_kind:     by_value
    .group_segment_fixed_size: 0
    .kernarg_segment_align: 8
    .kernarg_segment_size: 104
    .language:       OpenCL C
    .language_version:
      - 2
      - 0
    .max_flat_workgroup_size: 256
    .name:           _ZN7rocprim17ROCPRIM_400000_NS6detail17trampoline_kernelINS0_14default_configENS1_20scan_config_selectorIxEEZZNS1_9scan_implILNS1_25lookback_scan_determinismE0ELb0ELb0ES3_N6thrust23THRUST_200600_302600_NS6detail15normal_iteratorINS9_10device_ptrIxEEEESE_xNS9_4plusIxEExEEDaPvRmT3_T4_T5_mT6_P12ihipStream_tbENKUlT_T0_E_clISt17integral_constantIbLb0EEST_IbLb1EEEEDaSP_SQ_EUlSP_E_NS1_11comp_targetILNS1_3genE8ELNS1_11target_archE1030ELNS1_3gpuE2ELNS1_3repE0EEENS1_30default_config_static_selectorELNS0_4arch9wavefront6targetE1EEEvT1_
    .private_segment_fixed_size: 0
    .sgpr_count:     4
    .sgpr_spill_count: 0
    .symbol:         _ZN7rocprim17ROCPRIM_400000_NS6detail17trampoline_kernelINS0_14default_configENS1_20scan_config_selectorIxEEZZNS1_9scan_implILNS1_25lookback_scan_determinismE0ELb0ELb0ES3_N6thrust23THRUST_200600_302600_NS6detail15normal_iteratorINS9_10device_ptrIxEEEESE_xNS9_4plusIxEExEEDaPvRmT3_T4_T5_mT6_P12ihipStream_tbENKUlT_T0_E_clISt17integral_constantIbLb0EEST_IbLb1EEEEDaSP_SQ_EUlSP_E_NS1_11comp_targetILNS1_3genE8ELNS1_11target_archE1030ELNS1_3gpuE2ELNS1_3repE0EEENS1_30default_config_static_selectorELNS0_4arch9wavefront6targetE1EEEvT1_.kd
    .uniform_work_group_size: 1
    .uses_dynamic_stack: false
    .vgpr_count:     0
    .vgpr_spill_count: 0
    .wavefront_size: 64
  - .agpr_count:     0
    .args:
      - .offset:         0
        .size:           40
        .value_kind:     by_value
    .group_segment_fixed_size: 0
    .kernarg_segment_align: 8
    .kernarg_segment_size: 40
    .language:       OpenCL C
    .language_version:
      - 2
      - 0
    .max_flat_workgroup_size: 256
    .name:           _ZN7rocprim17ROCPRIM_400000_NS6detail17trampoline_kernelINS0_14default_configENS1_20scan_config_selectorIxEEZZNS1_9scan_implILNS1_25lookback_scan_determinismE0ELb0ELb0ES3_N6thrust23THRUST_200600_302600_NS6detail15normal_iteratorINS9_10device_ptrIxEEEESE_xNS9_4plusIxEExEEDaPvRmT3_T4_T5_mT6_P12ihipStream_tbENKUlT_T0_E_clISt17integral_constantIbLb0EEST_IbLb1EEEEDaSP_SQ_EUlSP_E0_NS1_11comp_targetILNS1_3genE0ELNS1_11target_archE4294967295ELNS1_3gpuE0ELNS1_3repE0EEENS1_30default_config_static_selectorELNS0_4arch9wavefront6targetE1EEEvT1_
    .private_segment_fixed_size: 0
    .sgpr_count:     4
    .sgpr_spill_count: 0
    .symbol:         _ZN7rocprim17ROCPRIM_400000_NS6detail17trampoline_kernelINS0_14default_configENS1_20scan_config_selectorIxEEZZNS1_9scan_implILNS1_25lookback_scan_determinismE0ELb0ELb0ES3_N6thrust23THRUST_200600_302600_NS6detail15normal_iteratorINS9_10device_ptrIxEEEESE_xNS9_4plusIxEExEEDaPvRmT3_T4_T5_mT6_P12ihipStream_tbENKUlT_T0_E_clISt17integral_constantIbLb0EEST_IbLb1EEEEDaSP_SQ_EUlSP_E0_NS1_11comp_targetILNS1_3genE0ELNS1_11target_archE4294967295ELNS1_3gpuE0ELNS1_3repE0EEENS1_30default_config_static_selectorELNS0_4arch9wavefront6targetE1EEEvT1_.kd
    .uniform_work_group_size: 1
    .uses_dynamic_stack: false
    .vgpr_count:     0
    .vgpr_spill_count: 0
    .wavefront_size: 64
  - .agpr_count:     0
    .args:
      - .offset:         0
        .size:           40
        .value_kind:     by_value
    .group_segment_fixed_size: 0
    .kernarg_segment_align: 8
    .kernarg_segment_size: 40
    .language:       OpenCL C
    .language_version:
      - 2
      - 0
    .max_flat_workgroup_size: 256
    .name:           _ZN7rocprim17ROCPRIM_400000_NS6detail17trampoline_kernelINS0_14default_configENS1_20scan_config_selectorIxEEZZNS1_9scan_implILNS1_25lookback_scan_determinismE0ELb0ELb0ES3_N6thrust23THRUST_200600_302600_NS6detail15normal_iteratorINS9_10device_ptrIxEEEESE_xNS9_4plusIxEExEEDaPvRmT3_T4_T5_mT6_P12ihipStream_tbENKUlT_T0_E_clISt17integral_constantIbLb0EEST_IbLb1EEEEDaSP_SQ_EUlSP_E0_NS1_11comp_targetILNS1_3genE5ELNS1_11target_archE942ELNS1_3gpuE9ELNS1_3repE0EEENS1_30default_config_static_selectorELNS0_4arch9wavefront6targetE1EEEvT1_
    .private_segment_fixed_size: 0
    .sgpr_count:     4
    .sgpr_spill_count: 0
    .symbol:         _ZN7rocprim17ROCPRIM_400000_NS6detail17trampoline_kernelINS0_14default_configENS1_20scan_config_selectorIxEEZZNS1_9scan_implILNS1_25lookback_scan_determinismE0ELb0ELb0ES3_N6thrust23THRUST_200600_302600_NS6detail15normal_iteratorINS9_10device_ptrIxEEEESE_xNS9_4plusIxEExEEDaPvRmT3_T4_T5_mT6_P12ihipStream_tbENKUlT_T0_E_clISt17integral_constantIbLb0EEST_IbLb1EEEEDaSP_SQ_EUlSP_E0_NS1_11comp_targetILNS1_3genE5ELNS1_11target_archE942ELNS1_3gpuE9ELNS1_3repE0EEENS1_30default_config_static_selectorELNS0_4arch9wavefront6targetE1EEEvT1_.kd
    .uniform_work_group_size: 1
    .uses_dynamic_stack: false
    .vgpr_count:     0
    .vgpr_spill_count: 0
    .wavefront_size: 64
  - .agpr_count:     0
    .args:
      - .offset:         0
        .size:           40
        .value_kind:     by_value
    .group_segment_fixed_size: 7168
    .kernarg_segment_align: 8
    .kernarg_segment_size: 40
    .language:       OpenCL C
    .language_version:
      - 2
      - 0
    .max_flat_workgroup_size: 128
    .name:           _ZN7rocprim17ROCPRIM_400000_NS6detail17trampoline_kernelINS0_14default_configENS1_20scan_config_selectorIxEEZZNS1_9scan_implILNS1_25lookback_scan_determinismE0ELb0ELb0ES3_N6thrust23THRUST_200600_302600_NS6detail15normal_iteratorINS9_10device_ptrIxEEEESE_xNS9_4plusIxEExEEDaPvRmT3_T4_T5_mT6_P12ihipStream_tbENKUlT_T0_E_clISt17integral_constantIbLb0EEST_IbLb1EEEEDaSP_SQ_EUlSP_E0_NS1_11comp_targetILNS1_3genE4ELNS1_11target_archE910ELNS1_3gpuE8ELNS1_3repE0EEENS1_30default_config_static_selectorELNS0_4arch9wavefront6targetE1EEEvT1_
    .private_segment_fixed_size: 0
    .sgpr_count:     26
    .sgpr_spill_count: 0
    .symbol:         _ZN7rocprim17ROCPRIM_400000_NS6detail17trampoline_kernelINS0_14default_configENS1_20scan_config_selectorIxEEZZNS1_9scan_implILNS1_25lookback_scan_determinismE0ELb0ELb0ES3_N6thrust23THRUST_200600_302600_NS6detail15normal_iteratorINS9_10device_ptrIxEEEESE_xNS9_4plusIxEExEEDaPvRmT3_T4_T5_mT6_P12ihipStream_tbENKUlT_T0_E_clISt17integral_constantIbLb0EEST_IbLb1EEEEDaSP_SQ_EUlSP_E0_NS1_11comp_targetILNS1_3genE4ELNS1_11target_archE910ELNS1_3gpuE8ELNS1_3repE0EEENS1_30default_config_static_selectorELNS0_4arch9wavefront6targetE1EEEvT1_.kd
    .uniform_work_group_size: 1
    .uses_dynamic_stack: false
    .vgpr_count:     41
    .vgpr_spill_count: 0
    .wavefront_size: 64
  - .agpr_count:     0
    .args:
      - .offset:         0
        .size:           40
        .value_kind:     by_value
    .group_segment_fixed_size: 0
    .kernarg_segment_align: 8
    .kernarg_segment_size: 40
    .language:       OpenCL C
    .language_version:
      - 2
      - 0
    .max_flat_workgroup_size: 256
    .name:           _ZN7rocprim17ROCPRIM_400000_NS6detail17trampoline_kernelINS0_14default_configENS1_20scan_config_selectorIxEEZZNS1_9scan_implILNS1_25lookback_scan_determinismE0ELb0ELb0ES3_N6thrust23THRUST_200600_302600_NS6detail15normal_iteratorINS9_10device_ptrIxEEEESE_xNS9_4plusIxEExEEDaPvRmT3_T4_T5_mT6_P12ihipStream_tbENKUlT_T0_E_clISt17integral_constantIbLb0EEST_IbLb1EEEEDaSP_SQ_EUlSP_E0_NS1_11comp_targetILNS1_3genE3ELNS1_11target_archE908ELNS1_3gpuE7ELNS1_3repE0EEENS1_30default_config_static_selectorELNS0_4arch9wavefront6targetE1EEEvT1_
    .private_segment_fixed_size: 0
    .sgpr_count:     4
    .sgpr_spill_count: 0
    .symbol:         _ZN7rocprim17ROCPRIM_400000_NS6detail17trampoline_kernelINS0_14default_configENS1_20scan_config_selectorIxEEZZNS1_9scan_implILNS1_25lookback_scan_determinismE0ELb0ELb0ES3_N6thrust23THRUST_200600_302600_NS6detail15normal_iteratorINS9_10device_ptrIxEEEESE_xNS9_4plusIxEExEEDaPvRmT3_T4_T5_mT6_P12ihipStream_tbENKUlT_T0_E_clISt17integral_constantIbLb0EEST_IbLb1EEEEDaSP_SQ_EUlSP_E0_NS1_11comp_targetILNS1_3genE3ELNS1_11target_archE908ELNS1_3gpuE7ELNS1_3repE0EEENS1_30default_config_static_selectorELNS0_4arch9wavefront6targetE1EEEvT1_.kd
    .uniform_work_group_size: 1
    .uses_dynamic_stack: false
    .vgpr_count:     0
    .vgpr_spill_count: 0
    .wavefront_size: 64
  - .agpr_count:     0
    .args:
      - .offset:         0
        .size:           40
        .value_kind:     by_value
    .group_segment_fixed_size: 0
    .kernarg_segment_align: 8
    .kernarg_segment_size: 40
    .language:       OpenCL C
    .language_version:
      - 2
      - 0
    .max_flat_workgroup_size: 64
    .name:           _ZN7rocprim17ROCPRIM_400000_NS6detail17trampoline_kernelINS0_14default_configENS1_20scan_config_selectorIxEEZZNS1_9scan_implILNS1_25lookback_scan_determinismE0ELb0ELb0ES3_N6thrust23THRUST_200600_302600_NS6detail15normal_iteratorINS9_10device_ptrIxEEEESE_xNS9_4plusIxEExEEDaPvRmT3_T4_T5_mT6_P12ihipStream_tbENKUlT_T0_E_clISt17integral_constantIbLb0EEST_IbLb1EEEEDaSP_SQ_EUlSP_E0_NS1_11comp_targetILNS1_3genE2ELNS1_11target_archE906ELNS1_3gpuE6ELNS1_3repE0EEENS1_30default_config_static_selectorELNS0_4arch9wavefront6targetE1EEEvT1_
    .private_segment_fixed_size: 0
    .sgpr_count:     4
    .sgpr_spill_count: 0
    .symbol:         _ZN7rocprim17ROCPRIM_400000_NS6detail17trampoline_kernelINS0_14default_configENS1_20scan_config_selectorIxEEZZNS1_9scan_implILNS1_25lookback_scan_determinismE0ELb0ELb0ES3_N6thrust23THRUST_200600_302600_NS6detail15normal_iteratorINS9_10device_ptrIxEEEESE_xNS9_4plusIxEExEEDaPvRmT3_T4_T5_mT6_P12ihipStream_tbENKUlT_T0_E_clISt17integral_constantIbLb0EEST_IbLb1EEEEDaSP_SQ_EUlSP_E0_NS1_11comp_targetILNS1_3genE2ELNS1_11target_archE906ELNS1_3gpuE6ELNS1_3repE0EEENS1_30default_config_static_selectorELNS0_4arch9wavefront6targetE1EEEvT1_.kd
    .uniform_work_group_size: 1
    .uses_dynamic_stack: false
    .vgpr_count:     0
    .vgpr_spill_count: 0
    .wavefront_size: 64
  - .agpr_count:     0
    .args:
      - .offset:         0
        .size:           40
        .value_kind:     by_value
    .group_segment_fixed_size: 0
    .kernarg_segment_align: 8
    .kernarg_segment_size: 40
    .language:       OpenCL C
    .language_version:
      - 2
      - 0
    .max_flat_workgroup_size: 256
    .name:           _ZN7rocprim17ROCPRIM_400000_NS6detail17trampoline_kernelINS0_14default_configENS1_20scan_config_selectorIxEEZZNS1_9scan_implILNS1_25lookback_scan_determinismE0ELb0ELb0ES3_N6thrust23THRUST_200600_302600_NS6detail15normal_iteratorINS9_10device_ptrIxEEEESE_xNS9_4plusIxEExEEDaPvRmT3_T4_T5_mT6_P12ihipStream_tbENKUlT_T0_E_clISt17integral_constantIbLb0EEST_IbLb1EEEEDaSP_SQ_EUlSP_E0_NS1_11comp_targetILNS1_3genE10ELNS1_11target_archE1201ELNS1_3gpuE5ELNS1_3repE0EEENS1_30default_config_static_selectorELNS0_4arch9wavefront6targetE1EEEvT1_
    .private_segment_fixed_size: 0
    .sgpr_count:     4
    .sgpr_spill_count: 0
    .symbol:         _ZN7rocprim17ROCPRIM_400000_NS6detail17trampoline_kernelINS0_14default_configENS1_20scan_config_selectorIxEEZZNS1_9scan_implILNS1_25lookback_scan_determinismE0ELb0ELb0ES3_N6thrust23THRUST_200600_302600_NS6detail15normal_iteratorINS9_10device_ptrIxEEEESE_xNS9_4plusIxEExEEDaPvRmT3_T4_T5_mT6_P12ihipStream_tbENKUlT_T0_E_clISt17integral_constantIbLb0EEST_IbLb1EEEEDaSP_SQ_EUlSP_E0_NS1_11comp_targetILNS1_3genE10ELNS1_11target_archE1201ELNS1_3gpuE5ELNS1_3repE0EEENS1_30default_config_static_selectorELNS0_4arch9wavefront6targetE1EEEvT1_.kd
    .uniform_work_group_size: 1
    .uses_dynamic_stack: false
    .vgpr_count:     0
    .vgpr_spill_count: 0
    .wavefront_size: 64
  - .agpr_count:     0
    .args:
      - .offset:         0
        .size:           40
        .value_kind:     by_value
    .group_segment_fixed_size: 0
    .kernarg_segment_align: 8
    .kernarg_segment_size: 40
    .language:       OpenCL C
    .language_version:
      - 2
      - 0
    .max_flat_workgroup_size: 256
    .name:           _ZN7rocprim17ROCPRIM_400000_NS6detail17trampoline_kernelINS0_14default_configENS1_20scan_config_selectorIxEEZZNS1_9scan_implILNS1_25lookback_scan_determinismE0ELb0ELb0ES3_N6thrust23THRUST_200600_302600_NS6detail15normal_iteratorINS9_10device_ptrIxEEEESE_xNS9_4plusIxEExEEDaPvRmT3_T4_T5_mT6_P12ihipStream_tbENKUlT_T0_E_clISt17integral_constantIbLb0EEST_IbLb1EEEEDaSP_SQ_EUlSP_E0_NS1_11comp_targetILNS1_3genE10ELNS1_11target_archE1200ELNS1_3gpuE4ELNS1_3repE0EEENS1_30default_config_static_selectorELNS0_4arch9wavefront6targetE1EEEvT1_
    .private_segment_fixed_size: 0
    .sgpr_count:     4
    .sgpr_spill_count: 0
    .symbol:         _ZN7rocprim17ROCPRIM_400000_NS6detail17trampoline_kernelINS0_14default_configENS1_20scan_config_selectorIxEEZZNS1_9scan_implILNS1_25lookback_scan_determinismE0ELb0ELb0ES3_N6thrust23THRUST_200600_302600_NS6detail15normal_iteratorINS9_10device_ptrIxEEEESE_xNS9_4plusIxEExEEDaPvRmT3_T4_T5_mT6_P12ihipStream_tbENKUlT_T0_E_clISt17integral_constantIbLb0EEST_IbLb1EEEEDaSP_SQ_EUlSP_E0_NS1_11comp_targetILNS1_3genE10ELNS1_11target_archE1200ELNS1_3gpuE4ELNS1_3repE0EEENS1_30default_config_static_selectorELNS0_4arch9wavefront6targetE1EEEvT1_.kd
    .uniform_work_group_size: 1
    .uses_dynamic_stack: false
    .vgpr_count:     0
    .vgpr_spill_count: 0
    .wavefront_size: 64
  - .agpr_count:     0
    .args:
      - .offset:         0
        .size:           40
        .value_kind:     by_value
    .group_segment_fixed_size: 0
    .kernarg_segment_align: 8
    .kernarg_segment_size: 40
    .language:       OpenCL C
    .language_version:
      - 2
      - 0
    .max_flat_workgroup_size: 256
    .name:           _ZN7rocprim17ROCPRIM_400000_NS6detail17trampoline_kernelINS0_14default_configENS1_20scan_config_selectorIxEEZZNS1_9scan_implILNS1_25lookback_scan_determinismE0ELb0ELb0ES3_N6thrust23THRUST_200600_302600_NS6detail15normal_iteratorINS9_10device_ptrIxEEEESE_xNS9_4plusIxEExEEDaPvRmT3_T4_T5_mT6_P12ihipStream_tbENKUlT_T0_E_clISt17integral_constantIbLb0EEST_IbLb1EEEEDaSP_SQ_EUlSP_E0_NS1_11comp_targetILNS1_3genE9ELNS1_11target_archE1100ELNS1_3gpuE3ELNS1_3repE0EEENS1_30default_config_static_selectorELNS0_4arch9wavefront6targetE1EEEvT1_
    .private_segment_fixed_size: 0
    .sgpr_count:     4
    .sgpr_spill_count: 0
    .symbol:         _ZN7rocprim17ROCPRIM_400000_NS6detail17trampoline_kernelINS0_14default_configENS1_20scan_config_selectorIxEEZZNS1_9scan_implILNS1_25lookback_scan_determinismE0ELb0ELb0ES3_N6thrust23THRUST_200600_302600_NS6detail15normal_iteratorINS9_10device_ptrIxEEEESE_xNS9_4plusIxEExEEDaPvRmT3_T4_T5_mT6_P12ihipStream_tbENKUlT_T0_E_clISt17integral_constantIbLb0EEST_IbLb1EEEEDaSP_SQ_EUlSP_E0_NS1_11comp_targetILNS1_3genE9ELNS1_11target_archE1100ELNS1_3gpuE3ELNS1_3repE0EEENS1_30default_config_static_selectorELNS0_4arch9wavefront6targetE1EEEvT1_.kd
    .uniform_work_group_size: 1
    .uses_dynamic_stack: false
    .vgpr_count:     0
    .vgpr_spill_count: 0
    .wavefront_size: 64
  - .agpr_count:     0
    .args:
      - .offset:         0
        .size:           40
        .value_kind:     by_value
    .group_segment_fixed_size: 0
    .kernarg_segment_align: 8
    .kernarg_segment_size: 40
    .language:       OpenCL C
    .language_version:
      - 2
      - 0
    .max_flat_workgroup_size: 256
    .name:           _ZN7rocprim17ROCPRIM_400000_NS6detail17trampoline_kernelINS0_14default_configENS1_20scan_config_selectorIxEEZZNS1_9scan_implILNS1_25lookback_scan_determinismE0ELb0ELb0ES3_N6thrust23THRUST_200600_302600_NS6detail15normal_iteratorINS9_10device_ptrIxEEEESE_xNS9_4plusIxEExEEDaPvRmT3_T4_T5_mT6_P12ihipStream_tbENKUlT_T0_E_clISt17integral_constantIbLb0EEST_IbLb1EEEEDaSP_SQ_EUlSP_E0_NS1_11comp_targetILNS1_3genE8ELNS1_11target_archE1030ELNS1_3gpuE2ELNS1_3repE0EEENS1_30default_config_static_selectorELNS0_4arch9wavefront6targetE1EEEvT1_
    .private_segment_fixed_size: 0
    .sgpr_count:     4
    .sgpr_spill_count: 0
    .symbol:         _ZN7rocprim17ROCPRIM_400000_NS6detail17trampoline_kernelINS0_14default_configENS1_20scan_config_selectorIxEEZZNS1_9scan_implILNS1_25lookback_scan_determinismE0ELb0ELb0ES3_N6thrust23THRUST_200600_302600_NS6detail15normal_iteratorINS9_10device_ptrIxEEEESE_xNS9_4plusIxEExEEDaPvRmT3_T4_T5_mT6_P12ihipStream_tbENKUlT_T0_E_clISt17integral_constantIbLb0EEST_IbLb1EEEEDaSP_SQ_EUlSP_E0_NS1_11comp_targetILNS1_3genE8ELNS1_11target_archE1030ELNS1_3gpuE2ELNS1_3repE0EEENS1_30default_config_static_selectorELNS0_4arch9wavefront6targetE1EEEvT1_.kd
    .uniform_work_group_size: 1
    .uses_dynamic_stack: false
    .vgpr_count:     0
    .vgpr_spill_count: 0
    .wavefront_size: 64
  - .agpr_count:     0
    .args:
      - .offset:         0
        .size:           104
        .value_kind:     by_value
    .group_segment_fixed_size: 0
    .kernarg_segment_align: 8
    .kernarg_segment_size: 104
    .language:       OpenCL C
    .language_version:
      - 2
      - 0
    .max_flat_workgroup_size: 256
    .name:           _ZN7rocprim17ROCPRIM_400000_NS6detail17trampoline_kernelINS0_14default_configENS1_20scan_config_selectorIxEEZZNS1_9scan_implILNS1_25lookback_scan_determinismE0ELb0ELb1ES3_N6thrust23THRUST_200600_302600_NS6detail15normal_iteratorINS9_10device_ptrIxEEEESE_xNS9_10multipliesIxEExEEDaPvRmT3_T4_T5_mT6_P12ihipStream_tbENKUlT_T0_E_clISt17integral_constantIbLb0EESU_EEDaSP_SQ_EUlSP_E_NS1_11comp_targetILNS1_3genE0ELNS1_11target_archE4294967295ELNS1_3gpuE0ELNS1_3repE0EEENS1_30default_config_static_selectorELNS0_4arch9wavefront6targetE1EEEvT1_
    .private_segment_fixed_size: 0
    .sgpr_count:     4
    .sgpr_spill_count: 0
    .symbol:         _ZN7rocprim17ROCPRIM_400000_NS6detail17trampoline_kernelINS0_14default_configENS1_20scan_config_selectorIxEEZZNS1_9scan_implILNS1_25lookback_scan_determinismE0ELb0ELb1ES3_N6thrust23THRUST_200600_302600_NS6detail15normal_iteratorINS9_10device_ptrIxEEEESE_xNS9_10multipliesIxEExEEDaPvRmT3_T4_T5_mT6_P12ihipStream_tbENKUlT_T0_E_clISt17integral_constantIbLb0EESU_EEDaSP_SQ_EUlSP_E_NS1_11comp_targetILNS1_3genE0ELNS1_11target_archE4294967295ELNS1_3gpuE0ELNS1_3repE0EEENS1_30default_config_static_selectorELNS0_4arch9wavefront6targetE1EEEvT1_.kd
    .uniform_work_group_size: 1
    .uses_dynamic_stack: false
    .vgpr_count:     0
    .vgpr_spill_count: 0
    .wavefront_size: 64
  - .agpr_count:     0
    .args:
      - .offset:         0
        .size:           104
        .value_kind:     by_value
    .group_segment_fixed_size: 0
    .kernarg_segment_align: 8
    .kernarg_segment_size: 104
    .language:       OpenCL C
    .language_version:
      - 2
      - 0
    .max_flat_workgroup_size: 256
    .name:           _ZN7rocprim17ROCPRIM_400000_NS6detail17trampoline_kernelINS0_14default_configENS1_20scan_config_selectorIxEEZZNS1_9scan_implILNS1_25lookback_scan_determinismE0ELb0ELb1ES3_N6thrust23THRUST_200600_302600_NS6detail15normal_iteratorINS9_10device_ptrIxEEEESE_xNS9_10multipliesIxEExEEDaPvRmT3_T4_T5_mT6_P12ihipStream_tbENKUlT_T0_E_clISt17integral_constantIbLb0EESU_EEDaSP_SQ_EUlSP_E_NS1_11comp_targetILNS1_3genE5ELNS1_11target_archE942ELNS1_3gpuE9ELNS1_3repE0EEENS1_30default_config_static_selectorELNS0_4arch9wavefront6targetE1EEEvT1_
    .private_segment_fixed_size: 0
    .sgpr_count:     4
    .sgpr_spill_count: 0
    .symbol:         _ZN7rocprim17ROCPRIM_400000_NS6detail17trampoline_kernelINS0_14default_configENS1_20scan_config_selectorIxEEZZNS1_9scan_implILNS1_25lookback_scan_determinismE0ELb0ELb1ES3_N6thrust23THRUST_200600_302600_NS6detail15normal_iteratorINS9_10device_ptrIxEEEESE_xNS9_10multipliesIxEExEEDaPvRmT3_T4_T5_mT6_P12ihipStream_tbENKUlT_T0_E_clISt17integral_constantIbLb0EESU_EEDaSP_SQ_EUlSP_E_NS1_11comp_targetILNS1_3genE5ELNS1_11target_archE942ELNS1_3gpuE9ELNS1_3repE0EEENS1_30default_config_static_selectorELNS0_4arch9wavefront6targetE1EEEvT1_.kd
    .uniform_work_group_size: 1
    .uses_dynamic_stack: false
    .vgpr_count:     0
    .vgpr_spill_count: 0
    .wavefront_size: 64
  - .agpr_count:     0
    .args:
      - .offset:         0
        .size:           104
        .value_kind:     by_value
    .group_segment_fixed_size: 7168
    .kernarg_segment_align: 8
    .kernarg_segment_size: 104
    .language:       OpenCL C
    .language_version:
      - 2
      - 0
    .max_flat_workgroup_size: 128
    .name:           _ZN7rocprim17ROCPRIM_400000_NS6detail17trampoline_kernelINS0_14default_configENS1_20scan_config_selectorIxEEZZNS1_9scan_implILNS1_25lookback_scan_determinismE0ELb0ELb1ES3_N6thrust23THRUST_200600_302600_NS6detail15normal_iteratorINS9_10device_ptrIxEEEESE_xNS9_10multipliesIxEExEEDaPvRmT3_T4_T5_mT6_P12ihipStream_tbENKUlT_T0_E_clISt17integral_constantIbLb0EESU_EEDaSP_SQ_EUlSP_E_NS1_11comp_targetILNS1_3genE4ELNS1_11target_archE910ELNS1_3gpuE8ELNS1_3repE0EEENS1_30default_config_static_selectorELNS0_4arch9wavefront6targetE1EEEvT1_
    .private_segment_fixed_size: 0
    .sgpr_count:     34
    .sgpr_spill_count: 0
    .symbol:         _ZN7rocprim17ROCPRIM_400000_NS6detail17trampoline_kernelINS0_14default_configENS1_20scan_config_selectorIxEEZZNS1_9scan_implILNS1_25lookback_scan_determinismE0ELb0ELb1ES3_N6thrust23THRUST_200600_302600_NS6detail15normal_iteratorINS9_10device_ptrIxEEEESE_xNS9_10multipliesIxEExEEDaPvRmT3_T4_T5_mT6_P12ihipStream_tbENKUlT_T0_E_clISt17integral_constantIbLb0EESU_EEDaSP_SQ_EUlSP_E_NS1_11comp_targetILNS1_3genE4ELNS1_11target_archE910ELNS1_3gpuE8ELNS1_3repE0EEENS1_30default_config_static_selectorELNS0_4arch9wavefront6targetE1EEEvT1_.kd
    .uniform_work_group_size: 1
    .uses_dynamic_stack: false
    .vgpr_count:     50
    .vgpr_spill_count: 0
    .wavefront_size: 64
  - .agpr_count:     0
    .args:
      - .offset:         0
        .size:           104
        .value_kind:     by_value
    .group_segment_fixed_size: 0
    .kernarg_segment_align: 8
    .kernarg_segment_size: 104
    .language:       OpenCL C
    .language_version:
      - 2
      - 0
    .max_flat_workgroup_size: 256
    .name:           _ZN7rocprim17ROCPRIM_400000_NS6detail17trampoline_kernelINS0_14default_configENS1_20scan_config_selectorIxEEZZNS1_9scan_implILNS1_25lookback_scan_determinismE0ELb0ELb1ES3_N6thrust23THRUST_200600_302600_NS6detail15normal_iteratorINS9_10device_ptrIxEEEESE_xNS9_10multipliesIxEExEEDaPvRmT3_T4_T5_mT6_P12ihipStream_tbENKUlT_T0_E_clISt17integral_constantIbLb0EESU_EEDaSP_SQ_EUlSP_E_NS1_11comp_targetILNS1_3genE3ELNS1_11target_archE908ELNS1_3gpuE7ELNS1_3repE0EEENS1_30default_config_static_selectorELNS0_4arch9wavefront6targetE1EEEvT1_
    .private_segment_fixed_size: 0
    .sgpr_count:     4
    .sgpr_spill_count: 0
    .symbol:         _ZN7rocprim17ROCPRIM_400000_NS6detail17trampoline_kernelINS0_14default_configENS1_20scan_config_selectorIxEEZZNS1_9scan_implILNS1_25lookback_scan_determinismE0ELb0ELb1ES3_N6thrust23THRUST_200600_302600_NS6detail15normal_iteratorINS9_10device_ptrIxEEEESE_xNS9_10multipliesIxEExEEDaPvRmT3_T4_T5_mT6_P12ihipStream_tbENKUlT_T0_E_clISt17integral_constantIbLb0EESU_EEDaSP_SQ_EUlSP_E_NS1_11comp_targetILNS1_3genE3ELNS1_11target_archE908ELNS1_3gpuE7ELNS1_3repE0EEENS1_30default_config_static_selectorELNS0_4arch9wavefront6targetE1EEEvT1_.kd
    .uniform_work_group_size: 1
    .uses_dynamic_stack: false
    .vgpr_count:     0
    .vgpr_spill_count: 0
    .wavefront_size: 64
  - .agpr_count:     0
    .args:
      - .offset:         0
        .size:           104
        .value_kind:     by_value
    .group_segment_fixed_size: 0
    .kernarg_segment_align: 8
    .kernarg_segment_size: 104
    .language:       OpenCL C
    .language_version:
      - 2
      - 0
    .max_flat_workgroup_size: 64
    .name:           _ZN7rocprim17ROCPRIM_400000_NS6detail17trampoline_kernelINS0_14default_configENS1_20scan_config_selectorIxEEZZNS1_9scan_implILNS1_25lookback_scan_determinismE0ELb0ELb1ES3_N6thrust23THRUST_200600_302600_NS6detail15normal_iteratorINS9_10device_ptrIxEEEESE_xNS9_10multipliesIxEExEEDaPvRmT3_T4_T5_mT6_P12ihipStream_tbENKUlT_T0_E_clISt17integral_constantIbLb0EESU_EEDaSP_SQ_EUlSP_E_NS1_11comp_targetILNS1_3genE2ELNS1_11target_archE906ELNS1_3gpuE6ELNS1_3repE0EEENS1_30default_config_static_selectorELNS0_4arch9wavefront6targetE1EEEvT1_
    .private_segment_fixed_size: 0
    .sgpr_count:     4
    .sgpr_spill_count: 0
    .symbol:         _ZN7rocprim17ROCPRIM_400000_NS6detail17trampoline_kernelINS0_14default_configENS1_20scan_config_selectorIxEEZZNS1_9scan_implILNS1_25lookback_scan_determinismE0ELb0ELb1ES3_N6thrust23THRUST_200600_302600_NS6detail15normal_iteratorINS9_10device_ptrIxEEEESE_xNS9_10multipliesIxEExEEDaPvRmT3_T4_T5_mT6_P12ihipStream_tbENKUlT_T0_E_clISt17integral_constantIbLb0EESU_EEDaSP_SQ_EUlSP_E_NS1_11comp_targetILNS1_3genE2ELNS1_11target_archE906ELNS1_3gpuE6ELNS1_3repE0EEENS1_30default_config_static_selectorELNS0_4arch9wavefront6targetE1EEEvT1_.kd
    .uniform_work_group_size: 1
    .uses_dynamic_stack: false
    .vgpr_count:     0
    .vgpr_spill_count: 0
    .wavefront_size: 64
  - .agpr_count:     0
    .args:
      - .offset:         0
        .size:           104
        .value_kind:     by_value
    .group_segment_fixed_size: 0
    .kernarg_segment_align: 8
    .kernarg_segment_size: 104
    .language:       OpenCL C
    .language_version:
      - 2
      - 0
    .max_flat_workgroup_size: 256
    .name:           _ZN7rocprim17ROCPRIM_400000_NS6detail17trampoline_kernelINS0_14default_configENS1_20scan_config_selectorIxEEZZNS1_9scan_implILNS1_25lookback_scan_determinismE0ELb0ELb1ES3_N6thrust23THRUST_200600_302600_NS6detail15normal_iteratorINS9_10device_ptrIxEEEESE_xNS9_10multipliesIxEExEEDaPvRmT3_T4_T5_mT6_P12ihipStream_tbENKUlT_T0_E_clISt17integral_constantIbLb0EESU_EEDaSP_SQ_EUlSP_E_NS1_11comp_targetILNS1_3genE10ELNS1_11target_archE1201ELNS1_3gpuE5ELNS1_3repE0EEENS1_30default_config_static_selectorELNS0_4arch9wavefront6targetE1EEEvT1_
    .private_segment_fixed_size: 0
    .sgpr_count:     4
    .sgpr_spill_count: 0
    .symbol:         _ZN7rocprim17ROCPRIM_400000_NS6detail17trampoline_kernelINS0_14default_configENS1_20scan_config_selectorIxEEZZNS1_9scan_implILNS1_25lookback_scan_determinismE0ELb0ELb1ES3_N6thrust23THRUST_200600_302600_NS6detail15normal_iteratorINS9_10device_ptrIxEEEESE_xNS9_10multipliesIxEExEEDaPvRmT3_T4_T5_mT6_P12ihipStream_tbENKUlT_T0_E_clISt17integral_constantIbLb0EESU_EEDaSP_SQ_EUlSP_E_NS1_11comp_targetILNS1_3genE10ELNS1_11target_archE1201ELNS1_3gpuE5ELNS1_3repE0EEENS1_30default_config_static_selectorELNS0_4arch9wavefront6targetE1EEEvT1_.kd
    .uniform_work_group_size: 1
    .uses_dynamic_stack: false
    .vgpr_count:     0
    .vgpr_spill_count: 0
    .wavefront_size: 64
  - .agpr_count:     0
    .args:
      - .offset:         0
        .size:           104
        .value_kind:     by_value
    .group_segment_fixed_size: 0
    .kernarg_segment_align: 8
    .kernarg_segment_size: 104
    .language:       OpenCL C
    .language_version:
      - 2
      - 0
    .max_flat_workgroup_size: 256
    .name:           _ZN7rocprim17ROCPRIM_400000_NS6detail17trampoline_kernelINS0_14default_configENS1_20scan_config_selectorIxEEZZNS1_9scan_implILNS1_25lookback_scan_determinismE0ELb0ELb1ES3_N6thrust23THRUST_200600_302600_NS6detail15normal_iteratorINS9_10device_ptrIxEEEESE_xNS9_10multipliesIxEExEEDaPvRmT3_T4_T5_mT6_P12ihipStream_tbENKUlT_T0_E_clISt17integral_constantIbLb0EESU_EEDaSP_SQ_EUlSP_E_NS1_11comp_targetILNS1_3genE10ELNS1_11target_archE1200ELNS1_3gpuE4ELNS1_3repE0EEENS1_30default_config_static_selectorELNS0_4arch9wavefront6targetE1EEEvT1_
    .private_segment_fixed_size: 0
    .sgpr_count:     4
    .sgpr_spill_count: 0
    .symbol:         _ZN7rocprim17ROCPRIM_400000_NS6detail17trampoline_kernelINS0_14default_configENS1_20scan_config_selectorIxEEZZNS1_9scan_implILNS1_25lookback_scan_determinismE0ELb0ELb1ES3_N6thrust23THRUST_200600_302600_NS6detail15normal_iteratorINS9_10device_ptrIxEEEESE_xNS9_10multipliesIxEExEEDaPvRmT3_T4_T5_mT6_P12ihipStream_tbENKUlT_T0_E_clISt17integral_constantIbLb0EESU_EEDaSP_SQ_EUlSP_E_NS1_11comp_targetILNS1_3genE10ELNS1_11target_archE1200ELNS1_3gpuE4ELNS1_3repE0EEENS1_30default_config_static_selectorELNS0_4arch9wavefront6targetE1EEEvT1_.kd
    .uniform_work_group_size: 1
    .uses_dynamic_stack: false
    .vgpr_count:     0
    .vgpr_spill_count: 0
    .wavefront_size: 64
  - .agpr_count:     0
    .args:
      - .offset:         0
        .size:           104
        .value_kind:     by_value
    .group_segment_fixed_size: 0
    .kernarg_segment_align: 8
    .kernarg_segment_size: 104
    .language:       OpenCL C
    .language_version:
      - 2
      - 0
    .max_flat_workgroup_size: 256
    .name:           _ZN7rocprim17ROCPRIM_400000_NS6detail17trampoline_kernelINS0_14default_configENS1_20scan_config_selectorIxEEZZNS1_9scan_implILNS1_25lookback_scan_determinismE0ELb0ELb1ES3_N6thrust23THRUST_200600_302600_NS6detail15normal_iteratorINS9_10device_ptrIxEEEESE_xNS9_10multipliesIxEExEEDaPvRmT3_T4_T5_mT6_P12ihipStream_tbENKUlT_T0_E_clISt17integral_constantIbLb0EESU_EEDaSP_SQ_EUlSP_E_NS1_11comp_targetILNS1_3genE9ELNS1_11target_archE1100ELNS1_3gpuE3ELNS1_3repE0EEENS1_30default_config_static_selectorELNS0_4arch9wavefront6targetE1EEEvT1_
    .private_segment_fixed_size: 0
    .sgpr_count:     4
    .sgpr_spill_count: 0
    .symbol:         _ZN7rocprim17ROCPRIM_400000_NS6detail17trampoline_kernelINS0_14default_configENS1_20scan_config_selectorIxEEZZNS1_9scan_implILNS1_25lookback_scan_determinismE0ELb0ELb1ES3_N6thrust23THRUST_200600_302600_NS6detail15normal_iteratorINS9_10device_ptrIxEEEESE_xNS9_10multipliesIxEExEEDaPvRmT3_T4_T5_mT6_P12ihipStream_tbENKUlT_T0_E_clISt17integral_constantIbLb0EESU_EEDaSP_SQ_EUlSP_E_NS1_11comp_targetILNS1_3genE9ELNS1_11target_archE1100ELNS1_3gpuE3ELNS1_3repE0EEENS1_30default_config_static_selectorELNS0_4arch9wavefront6targetE1EEEvT1_.kd
    .uniform_work_group_size: 1
    .uses_dynamic_stack: false
    .vgpr_count:     0
    .vgpr_spill_count: 0
    .wavefront_size: 64
  - .agpr_count:     0
    .args:
      - .offset:         0
        .size:           104
        .value_kind:     by_value
    .group_segment_fixed_size: 0
    .kernarg_segment_align: 8
    .kernarg_segment_size: 104
    .language:       OpenCL C
    .language_version:
      - 2
      - 0
    .max_flat_workgroup_size: 256
    .name:           _ZN7rocprim17ROCPRIM_400000_NS6detail17trampoline_kernelINS0_14default_configENS1_20scan_config_selectorIxEEZZNS1_9scan_implILNS1_25lookback_scan_determinismE0ELb0ELb1ES3_N6thrust23THRUST_200600_302600_NS6detail15normal_iteratorINS9_10device_ptrIxEEEESE_xNS9_10multipliesIxEExEEDaPvRmT3_T4_T5_mT6_P12ihipStream_tbENKUlT_T0_E_clISt17integral_constantIbLb0EESU_EEDaSP_SQ_EUlSP_E_NS1_11comp_targetILNS1_3genE8ELNS1_11target_archE1030ELNS1_3gpuE2ELNS1_3repE0EEENS1_30default_config_static_selectorELNS0_4arch9wavefront6targetE1EEEvT1_
    .private_segment_fixed_size: 0
    .sgpr_count:     4
    .sgpr_spill_count: 0
    .symbol:         _ZN7rocprim17ROCPRIM_400000_NS6detail17trampoline_kernelINS0_14default_configENS1_20scan_config_selectorIxEEZZNS1_9scan_implILNS1_25lookback_scan_determinismE0ELb0ELb1ES3_N6thrust23THRUST_200600_302600_NS6detail15normal_iteratorINS9_10device_ptrIxEEEESE_xNS9_10multipliesIxEExEEDaPvRmT3_T4_T5_mT6_P12ihipStream_tbENKUlT_T0_E_clISt17integral_constantIbLb0EESU_EEDaSP_SQ_EUlSP_E_NS1_11comp_targetILNS1_3genE8ELNS1_11target_archE1030ELNS1_3gpuE2ELNS1_3repE0EEENS1_30default_config_static_selectorELNS0_4arch9wavefront6targetE1EEEvT1_.kd
    .uniform_work_group_size: 1
    .uses_dynamic_stack: false
    .vgpr_count:     0
    .vgpr_spill_count: 0
    .wavefront_size: 64
  - .agpr_count:     0
    .args:
      - .offset:         0
        .size:           40
        .value_kind:     by_value
    .group_segment_fixed_size: 0
    .kernarg_segment_align: 8
    .kernarg_segment_size: 40
    .language:       OpenCL C
    .language_version:
      - 2
      - 0
    .max_flat_workgroup_size: 256
    .name:           _ZN7rocprim17ROCPRIM_400000_NS6detail17trampoline_kernelINS0_14default_configENS1_20scan_config_selectorIxEEZZNS1_9scan_implILNS1_25lookback_scan_determinismE0ELb0ELb1ES3_N6thrust23THRUST_200600_302600_NS6detail15normal_iteratorINS9_10device_ptrIxEEEESE_xNS9_10multipliesIxEExEEDaPvRmT3_T4_T5_mT6_P12ihipStream_tbENKUlT_T0_E_clISt17integral_constantIbLb0EESU_EEDaSP_SQ_EUlSP_E0_NS1_11comp_targetILNS1_3genE0ELNS1_11target_archE4294967295ELNS1_3gpuE0ELNS1_3repE0EEENS1_30default_config_static_selectorELNS0_4arch9wavefront6targetE1EEEvT1_
    .private_segment_fixed_size: 0
    .sgpr_count:     4
    .sgpr_spill_count: 0
    .symbol:         _ZN7rocprim17ROCPRIM_400000_NS6detail17trampoline_kernelINS0_14default_configENS1_20scan_config_selectorIxEEZZNS1_9scan_implILNS1_25lookback_scan_determinismE0ELb0ELb1ES3_N6thrust23THRUST_200600_302600_NS6detail15normal_iteratorINS9_10device_ptrIxEEEESE_xNS9_10multipliesIxEExEEDaPvRmT3_T4_T5_mT6_P12ihipStream_tbENKUlT_T0_E_clISt17integral_constantIbLb0EESU_EEDaSP_SQ_EUlSP_E0_NS1_11comp_targetILNS1_3genE0ELNS1_11target_archE4294967295ELNS1_3gpuE0ELNS1_3repE0EEENS1_30default_config_static_selectorELNS0_4arch9wavefront6targetE1EEEvT1_.kd
    .uniform_work_group_size: 1
    .uses_dynamic_stack: false
    .vgpr_count:     0
    .vgpr_spill_count: 0
    .wavefront_size: 64
  - .agpr_count:     0
    .args:
      - .offset:         0
        .size:           40
        .value_kind:     by_value
    .group_segment_fixed_size: 0
    .kernarg_segment_align: 8
    .kernarg_segment_size: 40
    .language:       OpenCL C
    .language_version:
      - 2
      - 0
    .max_flat_workgroup_size: 256
    .name:           _ZN7rocprim17ROCPRIM_400000_NS6detail17trampoline_kernelINS0_14default_configENS1_20scan_config_selectorIxEEZZNS1_9scan_implILNS1_25lookback_scan_determinismE0ELb0ELb1ES3_N6thrust23THRUST_200600_302600_NS6detail15normal_iteratorINS9_10device_ptrIxEEEESE_xNS9_10multipliesIxEExEEDaPvRmT3_T4_T5_mT6_P12ihipStream_tbENKUlT_T0_E_clISt17integral_constantIbLb0EESU_EEDaSP_SQ_EUlSP_E0_NS1_11comp_targetILNS1_3genE5ELNS1_11target_archE942ELNS1_3gpuE9ELNS1_3repE0EEENS1_30default_config_static_selectorELNS0_4arch9wavefront6targetE1EEEvT1_
    .private_segment_fixed_size: 0
    .sgpr_count:     4
    .sgpr_spill_count: 0
    .symbol:         _ZN7rocprim17ROCPRIM_400000_NS6detail17trampoline_kernelINS0_14default_configENS1_20scan_config_selectorIxEEZZNS1_9scan_implILNS1_25lookback_scan_determinismE0ELb0ELb1ES3_N6thrust23THRUST_200600_302600_NS6detail15normal_iteratorINS9_10device_ptrIxEEEESE_xNS9_10multipliesIxEExEEDaPvRmT3_T4_T5_mT6_P12ihipStream_tbENKUlT_T0_E_clISt17integral_constantIbLb0EESU_EEDaSP_SQ_EUlSP_E0_NS1_11comp_targetILNS1_3genE5ELNS1_11target_archE942ELNS1_3gpuE9ELNS1_3repE0EEENS1_30default_config_static_selectorELNS0_4arch9wavefront6targetE1EEEvT1_.kd
    .uniform_work_group_size: 1
    .uses_dynamic_stack: false
    .vgpr_count:     0
    .vgpr_spill_count: 0
    .wavefront_size: 64
  - .agpr_count:     0
    .args:
      - .offset:         0
        .size:           40
        .value_kind:     by_value
    .group_segment_fixed_size: 7168
    .kernarg_segment_align: 8
    .kernarg_segment_size: 40
    .language:       OpenCL C
    .language_version:
      - 2
      - 0
    .max_flat_workgroup_size: 128
    .name:           _ZN7rocprim17ROCPRIM_400000_NS6detail17trampoline_kernelINS0_14default_configENS1_20scan_config_selectorIxEEZZNS1_9scan_implILNS1_25lookback_scan_determinismE0ELb0ELb1ES3_N6thrust23THRUST_200600_302600_NS6detail15normal_iteratorINS9_10device_ptrIxEEEESE_xNS9_10multipliesIxEExEEDaPvRmT3_T4_T5_mT6_P12ihipStream_tbENKUlT_T0_E_clISt17integral_constantIbLb0EESU_EEDaSP_SQ_EUlSP_E0_NS1_11comp_targetILNS1_3genE4ELNS1_11target_archE910ELNS1_3gpuE8ELNS1_3repE0EEENS1_30default_config_static_selectorELNS0_4arch9wavefront6targetE1EEEvT1_
    .private_segment_fixed_size: 0
    .sgpr_count:     26
    .sgpr_spill_count: 0
    .symbol:         _ZN7rocprim17ROCPRIM_400000_NS6detail17trampoline_kernelINS0_14default_configENS1_20scan_config_selectorIxEEZZNS1_9scan_implILNS1_25lookback_scan_determinismE0ELb0ELb1ES3_N6thrust23THRUST_200600_302600_NS6detail15normal_iteratorINS9_10device_ptrIxEEEESE_xNS9_10multipliesIxEExEEDaPvRmT3_T4_T5_mT6_P12ihipStream_tbENKUlT_T0_E_clISt17integral_constantIbLb0EESU_EEDaSP_SQ_EUlSP_E0_NS1_11comp_targetILNS1_3genE4ELNS1_11target_archE910ELNS1_3gpuE8ELNS1_3repE0EEENS1_30default_config_static_selectorELNS0_4arch9wavefront6targetE1EEEvT1_.kd
    .uniform_work_group_size: 1
    .uses_dynamic_stack: false
    .vgpr_count:     36
    .vgpr_spill_count: 0
    .wavefront_size: 64
  - .agpr_count:     0
    .args:
      - .offset:         0
        .size:           40
        .value_kind:     by_value
    .group_segment_fixed_size: 0
    .kernarg_segment_align: 8
    .kernarg_segment_size: 40
    .language:       OpenCL C
    .language_version:
      - 2
      - 0
    .max_flat_workgroup_size: 256
    .name:           _ZN7rocprim17ROCPRIM_400000_NS6detail17trampoline_kernelINS0_14default_configENS1_20scan_config_selectorIxEEZZNS1_9scan_implILNS1_25lookback_scan_determinismE0ELb0ELb1ES3_N6thrust23THRUST_200600_302600_NS6detail15normal_iteratorINS9_10device_ptrIxEEEESE_xNS9_10multipliesIxEExEEDaPvRmT3_T4_T5_mT6_P12ihipStream_tbENKUlT_T0_E_clISt17integral_constantIbLb0EESU_EEDaSP_SQ_EUlSP_E0_NS1_11comp_targetILNS1_3genE3ELNS1_11target_archE908ELNS1_3gpuE7ELNS1_3repE0EEENS1_30default_config_static_selectorELNS0_4arch9wavefront6targetE1EEEvT1_
    .private_segment_fixed_size: 0
    .sgpr_count:     4
    .sgpr_spill_count: 0
    .symbol:         _ZN7rocprim17ROCPRIM_400000_NS6detail17trampoline_kernelINS0_14default_configENS1_20scan_config_selectorIxEEZZNS1_9scan_implILNS1_25lookback_scan_determinismE0ELb0ELb1ES3_N6thrust23THRUST_200600_302600_NS6detail15normal_iteratorINS9_10device_ptrIxEEEESE_xNS9_10multipliesIxEExEEDaPvRmT3_T4_T5_mT6_P12ihipStream_tbENKUlT_T0_E_clISt17integral_constantIbLb0EESU_EEDaSP_SQ_EUlSP_E0_NS1_11comp_targetILNS1_3genE3ELNS1_11target_archE908ELNS1_3gpuE7ELNS1_3repE0EEENS1_30default_config_static_selectorELNS0_4arch9wavefront6targetE1EEEvT1_.kd
    .uniform_work_group_size: 1
    .uses_dynamic_stack: false
    .vgpr_count:     0
    .vgpr_spill_count: 0
    .wavefront_size: 64
  - .agpr_count:     0
    .args:
      - .offset:         0
        .size:           40
        .value_kind:     by_value
    .group_segment_fixed_size: 0
    .kernarg_segment_align: 8
    .kernarg_segment_size: 40
    .language:       OpenCL C
    .language_version:
      - 2
      - 0
    .max_flat_workgroup_size: 64
    .name:           _ZN7rocprim17ROCPRIM_400000_NS6detail17trampoline_kernelINS0_14default_configENS1_20scan_config_selectorIxEEZZNS1_9scan_implILNS1_25lookback_scan_determinismE0ELb0ELb1ES3_N6thrust23THRUST_200600_302600_NS6detail15normal_iteratorINS9_10device_ptrIxEEEESE_xNS9_10multipliesIxEExEEDaPvRmT3_T4_T5_mT6_P12ihipStream_tbENKUlT_T0_E_clISt17integral_constantIbLb0EESU_EEDaSP_SQ_EUlSP_E0_NS1_11comp_targetILNS1_3genE2ELNS1_11target_archE906ELNS1_3gpuE6ELNS1_3repE0EEENS1_30default_config_static_selectorELNS0_4arch9wavefront6targetE1EEEvT1_
    .private_segment_fixed_size: 0
    .sgpr_count:     4
    .sgpr_spill_count: 0
    .symbol:         _ZN7rocprim17ROCPRIM_400000_NS6detail17trampoline_kernelINS0_14default_configENS1_20scan_config_selectorIxEEZZNS1_9scan_implILNS1_25lookback_scan_determinismE0ELb0ELb1ES3_N6thrust23THRUST_200600_302600_NS6detail15normal_iteratorINS9_10device_ptrIxEEEESE_xNS9_10multipliesIxEExEEDaPvRmT3_T4_T5_mT6_P12ihipStream_tbENKUlT_T0_E_clISt17integral_constantIbLb0EESU_EEDaSP_SQ_EUlSP_E0_NS1_11comp_targetILNS1_3genE2ELNS1_11target_archE906ELNS1_3gpuE6ELNS1_3repE0EEENS1_30default_config_static_selectorELNS0_4arch9wavefront6targetE1EEEvT1_.kd
    .uniform_work_group_size: 1
    .uses_dynamic_stack: false
    .vgpr_count:     0
    .vgpr_spill_count: 0
    .wavefront_size: 64
  - .agpr_count:     0
    .args:
      - .offset:         0
        .size:           40
        .value_kind:     by_value
    .group_segment_fixed_size: 0
    .kernarg_segment_align: 8
    .kernarg_segment_size: 40
    .language:       OpenCL C
    .language_version:
      - 2
      - 0
    .max_flat_workgroup_size: 256
    .name:           _ZN7rocprim17ROCPRIM_400000_NS6detail17trampoline_kernelINS0_14default_configENS1_20scan_config_selectorIxEEZZNS1_9scan_implILNS1_25lookback_scan_determinismE0ELb0ELb1ES3_N6thrust23THRUST_200600_302600_NS6detail15normal_iteratorINS9_10device_ptrIxEEEESE_xNS9_10multipliesIxEExEEDaPvRmT3_T4_T5_mT6_P12ihipStream_tbENKUlT_T0_E_clISt17integral_constantIbLb0EESU_EEDaSP_SQ_EUlSP_E0_NS1_11comp_targetILNS1_3genE10ELNS1_11target_archE1201ELNS1_3gpuE5ELNS1_3repE0EEENS1_30default_config_static_selectorELNS0_4arch9wavefront6targetE1EEEvT1_
    .private_segment_fixed_size: 0
    .sgpr_count:     4
    .sgpr_spill_count: 0
    .symbol:         _ZN7rocprim17ROCPRIM_400000_NS6detail17trampoline_kernelINS0_14default_configENS1_20scan_config_selectorIxEEZZNS1_9scan_implILNS1_25lookback_scan_determinismE0ELb0ELb1ES3_N6thrust23THRUST_200600_302600_NS6detail15normal_iteratorINS9_10device_ptrIxEEEESE_xNS9_10multipliesIxEExEEDaPvRmT3_T4_T5_mT6_P12ihipStream_tbENKUlT_T0_E_clISt17integral_constantIbLb0EESU_EEDaSP_SQ_EUlSP_E0_NS1_11comp_targetILNS1_3genE10ELNS1_11target_archE1201ELNS1_3gpuE5ELNS1_3repE0EEENS1_30default_config_static_selectorELNS0_4arch9wavefront6targetE1EEEvT1_.kd
    .uniform_work_group_size: 1
    .uses_dynamic_stack: false
    .vgpr_count:     0
    .vgpr_spill_count: 0
    .wavefront_size: 64
  - .agpr_count:     0
    .args:
      - .offset:         0
        .size:           40
        .value_kind:     by_value
    .group_segment_fixed_size: 0
    .kernarg_segment_align: 8
    .kernarg_segment_size: 40
    .language:       OpenCL C
    .language_version:
      - 2
      - 0
    .max_flat_workgroup_size: 256
    .name:           _ZN7rocprim17ROCPRIM_400000_NS6detail17trampoline_kernelINS0_14default_configENS1_20scan_config_selectorIxEEZZNS1_9scan_implILNS1_25lookback_scan_determinismE0ELb0ELb1ES3_N6thrust23THRUST_200600_302600_NS6detail15normal_iteratorINS9_10device_ptrIxEEEESE_xNS9_10multipliesIxEExEEDaPvRmT3_T4_T5_mT6_P12ihipStream_tbENKUlT_T0_E_clISt17integral_constantIbLb0EESU_EEDaSP_SQ_EUlSP_E0_NS1_11comp_targetILNS1_3genE10ELNS1_11target_archE1200ELNS1_3gpuE4ELNS1_3repE0EEENS1_30default_config_static_selectorELNS0_4arch9wavefront6targetE1EEEvT1_
    .private_segment_fixed_size: 0
    .sgpr_count:     4
    .sgpr_spill_count: 0
    .symbol:         _ZN7rocprim17ROCPRIM_400000_NS6detail17trampoline_kernelINS0_14default_configENS1_20scan_config_selectorIxEEZZNS1_9scan_implILNS1_25lookback_scan_determinismE0ELb0ELb1ES3_N6thrust23THRUST_200600_302600_NS6detail15normal_iteratorINS9_10device_ptrIxEEEESE_xNS9_10multipliesIxEExEEDaPvRmT3_T4_T5_mT6_P12ihipStream_tbENKUlT_T0_E_clISt17integral_constantIbLb0EESU_EEDaSP_SQ_EUlSP_E0_NS1_11comp_targetILNS1_3genE10ELNS1_11target_archE1200ELNS1_3gpuE4ELNS1_3repE0EEENS1_30default_config_static_selectorELNS0_4arch9wavefront6targetE1EEEvT1_.kd
    .uniform_work_group_size: 1
    .uses_dynamic_stack: false
    .vgpr_count:     0
    .vgpr_spill_count: 0
    .wavefront_size: 64
  - .agpr_count:     0
    .args:
      - .offset:         0
        .size:           40
        .value_kind:     by_value
    .group_segment_fixed_size: 0
    .kernarg_segment_align: 8
    .kernarg_segment_size: 40
    .language:       OpenCL C
    .language_version:
      - 2
      - 0
    .max_flat_workgroup_size: 256
    .name:           _ZN7rocprim17ROCPRIM_400000_NS6detail17trampoline_kernelINS0_14default_configENS1_20scan_config_selectorIxEEZZNS1_9scan_implILNS1_25lookback_scan_determinismE0ELb0ELb1ES3_N6thrust23THRUST_200600_302600_NS6detail15normal_iteratorINS9_10device_ptrIxEEEESE_xNS9_10multipliesIxEExEEDaPvRmT3_T4_T5_mT6_P12ihipStream_tbENKUlT_T0_E_clISt17integral_constantIbLb0EESU_EEDaSP_SQ_EUlSP_E0_NS1_11comp_targetILNS1_3genE9ELNS1_11target_archE1100ELNS1_3gpuE3ELNS1_3repE0EEENS1_30default_config_static_selectorELNS0_4arch9wavefront6targetE1EEEvT1_
    .private_segment_fixed_size: 0
    .sgpr_count:     4
    .sgpr_spill_count: 0
    .symbol:         _ZN7rocprim17ROCPRIM_400000_NS6detail17trampoline_kernelINS0_14default_configENS1_20scan_config_selectorIxEEZZNS1_9scan_implILNS1_25lookback_scan_determinismE0ELb0ELb1ES3_N6thrust23THRUST_200600_302600_NS6detail15normal_iteratorINS9_10device_ptrIxEEEESE_xNS9_10multipliesIxEExEEDaPvRmT3_T4_T5_mT6_P12ihipStream_tbENKUlT_T0_E_clISt17integral_constantIbLb0EESU_EEDaSP_SQ_EUlSP_E0_NS1_11comp_targetILNS1_3genE9ELNS1_11target_archE1100ELNS1_3gpuE3ELNS1_3repE0EEENS1_30default_config_static_selectorELNS0_4arch9wavefront6targetE1EEEvT1_.kd
    .uniform_work_group_size: 1
    .uses_dynamic_stack: false
    .vgpr_count:     0
    .vgpr_spill_count: 0
    .wavefront_size: 64
  - .agpr_count:     0
    .args:
      - .offset:         0
        .size:           40
        .value_kind:     by_value
    .group_segment_fixed_size: 0
    .kernarg_segment_align: 8
    .kernarg_segment_size: 40
    .language:       OpenCL C
    .language_version:
      - 2
      - 0
    .max_flat_workgroup_size: 256
    .name:           _ZN7rocprim17ROCPRIM_400000_NS6detail17trampoline_kernelINS0_14default_configENS1_20scan_config_selectorIxEEZZNS1_9scan_implILNS1_25lookback_scan_determinismE0ELb0ELb1ES3_N6thrust23THRUST_200600_302600_NS6detail15normal_iteratorINS9_10device_ptrIxEEEESE_xNS9_10multipliesIxEExEEDaPvRmT3_T4_T5_mT6_P12ihipStream_tbENKUlT_T0_E_clISt17integral_constantIbLb0EESU_EEDaSP_SQ_EUlSP_E0_NS1_11comp_targetILNS1_3genE8ELNS1_11target_archE1030ELNS1_3gpuE2ELNS1_3repE0EEENS1_30default_config_static_selectorELNS0_4arch9wavefront6targetE1EEEvT1_
    .private_segment_fixed_size: 0
    .sgpr_count:     4
    .sgpr_spill_count: 0
    .symbol:         _ZN7rocprim17ROCPRIM_400000_NS6detail17trampoline_kernelINS0_14default_configENS1_20scan_config_selectorIxEEZZNS1_9scan_implILNS1_25lookback_scan_determinismE0ELb0ELb1ES3_N6thrust23THRUST_200600_302600_NS6detail15normal_iteratorINS9_10device_ptrIxEEEESE_xNS9_10multipliesIxEExEEDaPvRmT3_T4_T5_mT6_P12ihipStream_tbENKUlT_T0_E_clISt17integral_constantIbLb0EESU_EEDaSP_SQ_EUlSP_E0_NS1_11comp_targetILNS1_3genE8ELNS1_11target_archE1030ELNS1_3gpuE2ELNS1_3repE0EEENS1_30default_config_static_selectorELNS0_4arch9wavefront6targetE1EEEvT1_.kd
    .uniform_work_group_size: 1
    .uses_dynamic_stack: false
    .vgpr_count:     0
    .vgpr_spill_count: 0
    .wavefront_size: 64
  - .agpr_count:     0
    .args:
      - .offset:         0
        .size:           104
        .value_kind:     by_value
    .group_segment_fixed_size: 0
    .kernarg_segment_align: 8
    .kernarg_segment_size: 104
    .language:       OpenCL C
    .language_version:
      - 2
      - 0
    .max_flat_workgroup_size: 256
    .name:           _ZN7rocprim17ROCPRIM_400000_NS6detail17trampoline_kernelINS0_14default_configENS1_20scan_config_selectorIxEEZZNS1_9scan_implILNS1_25lookback_scan_determinismE0ELb0ELb1ES3_N6thrust23THRUST_200600_302600_NS6detail15normal_iteratorINS9_10device_ptrIxEEEESE_xNS9_10multipliesIxEExEEDaPvRmT3_T4_T5_mT6_P12ihipStream_tbENKUlT_T0_E_clISt17integral_constantIbLb1EESU_EEDaSP_SQ_EUlSP_E_NS1_11comp_targetILNS1_3genE0ELNS1_11target_archE4294967295ELNS1_3gpuE0ELNS1_3repE0EEENS1_30default_config_static_selectorELNS0_4arch9wavefront6targetE1EEEvT1_
    .private_segment_fixed_size: 0
    .sgpr_count:     4
    .sgpr_spill_count: 0
    .symbol:         _ZN7rocprim17ROCPRIM_400000_NS6detail17trampoline_kernelINS0_14default_configENS1_20scan_config_selectorIxEEZZNS1_9scan_implILNS1_25lookback_scan_determinismE0ELb0ELb1ES3_N6thrust23THRUST_200600_302600_NS6detail15normal_iteratorINS9_10device_ptrIxEEEESE_xNS9_10multipliesIxEExEEDaPvRmT3_T4_T5_mT6_P12ihipStream_tbENKUlT_T0_E_clISt17integral_constantIbLb1EESU_EEDaSP_SQ_EUlSP_E_NS1_11comp_targetILNS1_3genE0ELNS1_11target_archE4294967295ELNS1_3gpuE0ELNS1_3repE0EEENS1_30default_config_static_selectorELNS0_4arch9wavefront6targetE1EEEvT1_.kd
    .uniform_work_group_size: 1
    .uses_dynamic_stack: false
    .vgpr_count:     0
    .vgpr_spill_count: 0
    .wavefront_size: 64
  - .agpr_count:     0
    .args:
      - .offset:         0
        .size:           104
        .value_kind:     by_value
    .group_segment_fixed_size: 0
    .kernarg_segment_align: 8
    .kernarg_segment_size: 104
    .language:       OpenCL C
    .language_version:
      - 2
      - 0
    .max_flat_workgroup_size: 256
    .name:           _ZN7rocprim17ROCPRIM_400000_NS6detail17trampoline_kernelINS0_14default_configENS1_20scan_config_selectorIxEEZZNS1_9scan_implILNS1_25lookback_scan_determinismE0ELb0ELb1ES3_N6thrust23THRUST_200600_302600_NS6detail15normal_iteratorINS9_10device_ptrIxEEEESE_xNS9_10multipliesIxEExEEDaPvRmT3_T4_T5_mT6_P12ihipStream_tbENKUlT_T0_E_clISt17integral_constantIbLb1EESU_EEDaSP_SQ_EUlSP_E_NS1_11comp_targetILNS1_3genE5ELNS1_11target_archE942ELNS1_3gpuE9ELNS1_3repE0EEENS1_30default_config_static_selectorELNS0_4arch9wavefront6targetE1EEEvT1_
    .private_segment_fixed_size: 0
    .sgpr_count:     4
    .sgpr_spill_count: 0
    .symbol:         _ZN7rocprim17ROCPRIM_400000_NS6detail17trampoline_kernelINS0_14default_configENS1_20scan_config_selectorIxEEZZNS1_9scan_implILNS1_25lookback_scan_determinismE0ELb0ELb1ES3_N6thrust23THRUST_200600_302600_NS6detail15normal_iteratorINS9_10device_ptrIxEEEESE_xNS9_10multipliesIxEExEEDaPvRmT3_T4_T5_mT6_P12ihipStream_tbENKUlT_T0_E_clISt17integral_constantIbLb1EESU_EEDaSP_SQ_EUlSP_E_NS1_11comp_targetILNS1_3genE5ELNS1_11target_archE942ELNS1_3gpuE9ELNS1_3repE0EEENS1_30default_config_static_selectorELNS0_4arch9wavefront6targetE1EEEvT1_.kd
    .uniform_work_group_size: 1
    .uses_dynamic_stack: false
    .vgpr_count:     0
    .vgpr_spill_count: 0
    .wavefront_size: 64
  - .agpr_count:     0
    .args:
      - .offset:         0
        .size:           104
        .value_kind:     by_value
    .group_segment_fixed_size: 7168
    .kernarg_segment_align: 8
    .kernarg_segment_size: 104
    .language:       OpenCL C
    .language_version:
      - 2
      - 0
    .max_flat_workgroup_size: 128
    .name:           _ZN7rocprim17ROCPRIM_400000_NS6detail17trampoline_kernelINS0_14default_configENS1_20scan_config_selectorIxEEZZNS1_9scan_implILNS1_25lookback_scan_determinismE0ELb0ELb1ES3_N6thrust23THRUST_200600_302600_NS6detail15normal_iteratorINS9_10device_ptrIxEEEESE_xNS9_10multipliesIxEExEEDaPvRmT3_T4_T5_mT6_P12ihipStream_tbENKUlT_T0_E_clISt17integral_constantIbLb1EESU_EEDaSP_SQ_EUlSP_E_NS1_11comp_targetILNS1_3genE4ELNS1_11target_archE910ELNS1_3gpuE8ELNS1_3repE0EEENS1_30default_config_static_selectorELNS0_4arch9wavefront6targetE1EEEvT1_
    .private_segment_fixed_size: 0
    .sgpr_count:     44
    .sgpr_spill_count: 0
    .symbol:         _ZN7rocprim17ROCPRIM_400000_NS6detail17trampoline_kernelINS0_14default_configENS1_20scan_config_selectorIxEEZZNS1_9scan_implILNS1_25lookback_scan_determinismE0ELb0ELb1ES3_N6thrust23THRUST_200600_302600_NS6detail15normal_iteratorINS9_10device_ptrIxEEEESE_xNS9_10multipliesIxEExEEDaPvRmT3_T4_T5_mT6_P12ihipStream_tbENKUlT_T0_E_clISt17integral_constantIbLb1EESU_EEDaSP_SQ_EUlSP_E_NS1_11comp_targetILNS1_3genE4ELNS1_11target_archE910ELNS1_3gpuE8ELNS1_3repE0EEENS1_30default_config_static_selectorELNS0_4arch9wavefront6targetE1EEEvT1_.kd
    .uniform_work_group_size: 1
    .uses_dynamic_stack: false
    .vgpr_count:     50
    .vgpr_spill_count: 0
    .wavefront_size: 64
  - .agpr_count:     0
    .args:
      - .offset:         0
        .size:           104
        .value_kind:     by_value
    .group_segment_fixed_size: 0
    .kernarg_segment_align: 8
    .kernarg_segment_size: 104
    .language:       OpenCL C
    .language_version:
      - 2
      - 0
    .max_flat_workgroup_size: 256
    .name:           _ZN7rocprim17ROCPRIM_400000_NS6detail17trampoline_kernelINS0_14default_configENS1_20scan_config_selectorIxEEZZNS1_9scan_implILNS1_25lookback_scan_determinismE0ELb0ELb1ES3_N6thrust23THRUST_200600_302600_NS6detail15normal_iteratorINS9_10device_ptrIxEEEESE_xNS9_10multipliesIxEExEEDaPvRmT3_T4_T5_mT6_P12ihipStream_tbENKUlT_T0_E_clISt17integral_constantIbLb1EESU_EEDaSP_SQ_EUlSP_E_NS1_11comp_targetILNS1_3genE3ELNS1_11target_archE908ELNS1_3gpuE7ELNS1_3repE0EEENS1_30default_config_static_selectorELNS0_4arch9wavefront6targetE1EEEvT1_
    .private_segment_fixed_size: 0
    .sgpr_count:     4
    .sgpr_spill_count: 0
    .symbol:         _ZN7rocprim17ROCPRIM_400000_NS6detail17trampoline_kernelINS0_14default_configENS1_20scan_config_selectorIxEEZZNS1_9scan_implILNS1_25lookback_scan_determinismE0ELb0ELb1ES3_N6thrust23THRUST_200600_302600_NS6detail15normal_iteratorINS9_10device_ptrIxEEEESE_xNS9_10multipliesIxEExEEDaPvRmT3_T4_T5_mT6_P12ihipStream_tbENKUlT_T0_E_clISt17integral_constantIbLb1EESU_EEDaSP_SQ_EUlSP_E_NS1_11comp_targetILNS1_3genE3ELNS1_11target_archE908ELNS1_3gpuE7ELNS1_3repE0EEENS1_30default_config_static_selectorELNS0_4arch9wavefront6targetE1EEEvT1_.kd
    .uniform_work_group_size: 1
    .uses_dynamic_stack: false
    .vgpr_count:     0
    .vgpr_spill_count: 0
    .wavefront_size: 64
  - .agpr_count:     0
    .args:
      - .offset:         0
        .size:           104
        .value_kind:     by_value
    .group_segment_fixed_size: 0
    .kernarg_segment_align: 8
    .kernarg_segment_size: 104
    .language:       OpenCL C
    .language_version:
      - 2
      - 0
    .max_flat_workgroup_size: 64
    .name:           _ZN7rocprim17ROCPRIM_400000_NS6detail17trampoline_kernelINS0_14default_configENS1_20scan_config_selectorIxEEZZNS1_9scan_implILNS1_25lookback_scan_determinismE0ELb0ELb1ES3_N6thrust23THRUST_200600_302600_NS6detail15normal_iteratorINS9_10device_ptrIxEEEESE_xNS9_10multipliesIxEExEEDaPvRmT3_T4_T5_mT6_P12ihipStream_tbENKUlT_T0_E_clISt17integral_constantIbLb1EESU_EEDaSP_SQ_EUlSP_E_NS1_11comp_targetILNS1_3genE2ELNS1_11target_archE906ELNS1_3gpuE6ELNS1_3repE0EEENS1_30default_config_static_selectorELNS0_4arch9wavefront6targetE1EEEvT1_
    .private_segment_fixed_size: 0
    .sgpr_count:     4
    .sgpr_spill_count: 0
    .symbol:         _ZN7rocprim17ROCPRIM_400000_NS6detail17trampoline_kernelINS0_14default_configENS1_20scan_config_selectorIxEEZZNS1_9scan_implILNS1_25lookback_scan_determinismE0ELb0ELb1ES3_N6thrust23THRUST_200600_302600_NS6detail15normal_iteratorINS9_10device_ptrIxEEEESE_xNS9_10multipliesIxEExEEDaPvRmT3_T4_T5_mT6_P12ihipStream_tbENKUlT_T0_E_clISt17integral_constantIbLb1EESU_EEDaSP_SQ_EUlSP_E_NS1_11comp_targetILNS1_3genE2ELNS1_11target_archE906ELNS1_3gpuE6ELNS1_3repE0EEENS1_30default_config_static_selectorELNS0_4arch9wavefront6targetE1EEEvT1_.kd
    .uniform_work_group_size: 1
    .uses_dynamic_stack: false
    .vgpr_count:     0
    .vgpr_spill_count: 0
    .wavefront_size: 64
  - .agpr_count:     0
    .args:
      - .offset:         0
        .size:           104
        .value_kind:     by_value
    .group_segment_fixed_size: 0
    .kernarg_segment_align: 8
    .kernarg_segment_size: 104
    .language:       OpenCL C
    .language_version:
      - 2
      - 0
    .max_flat_workgroup_size: 256
    .name:           _ZN7rocprim17ROCPRIM_400000_NS6detail17trampoline_kernelINS0_14default_configENS1_20scan_config_selectorIxEEZZNS1_9scan_implILNS1_25lookback_scan_determinismE0ELb0ELb1ES3_N6thrust23THRUST_200600_302600_NS6detail15normal_iteratorINS9_10device_ptrIxEEEESE_xNS9_10multipliesIxEExEEDaPvRmT3_T4_T5_mT6_P12ihipStream_tbENKUlT_T0_E_clISt17integral_constantIbLb1EESU_EEDaSP_SQ_EUlSP_E_NS1_11comp_targetILNS1_3genE10ELNS1_11target_archE1201ELNS1_3gpuE5ELNS1_3repE0EEENS1_30default_config_static_selectorELNS0_4arch9wavefront6targetE1EEEvT1_
    .private_segment_fixed_size: 0
    .sgpr_count:     4
    .sgpr_spill_count: 0
    .symbol:         _ZN7rocprim17ROCPRIM_400000_NS6detail17trampoline_kernelINS0_14default_configENS1_20scan_config_selectorIxEEZZNS1_9scan_implILNS1_25lookback_scan_determinismE0ELb0ELb1ES3_N6thrust23THRUST_200600_302600_NS6detail15normal_iteratorINS9_10device_ptrIxEEEESE_xNS9_10multipliesIxEExEEDaPvRmT3_T4_T5_mT6_P12ihipStream_tbENKUlT_T0_E_clISt17integral_constantIbLb1EESU_EEDaSP_SQ_EUlSP_E_NS1_11comp_targetILNS1_3genE10ELNS1_11target_archE1201ELNS1_3gpuE5ELNS1_3repE0EEENS1_30default_config_static_selectorELNS0_4arch9wavefront6targetE1EEEvT1_.kd
    .uniform_work_group_size: 1
    .uses_dynamic_stack: false
    .vgpr_count:     0
    .vgpr_spill_count: 0
    .wavefront_size: 64
  - .agpr_count:     0
    .args:
      - .offset:         0
        .size:           104
        .value_kind:     by_value
    .group_segment_fixed_size: 0
    .kernarg_segment_align: 8
    .kernarg_segment_size: 104
    .language:       OpenCL C
    .language_version:
      - 2
      - 0
    .max_flat_workgroup_size: 256
    .name:           _ZN7rocprim17ROCPRIM_400000_NS6detail17trampoline_kernelINS0_14default_configENS1_20scan_config_selectorIxEEZZNS1_9scan_implILNS1_25lookback_scan_determinismE0ELb0ELb1ES3_N6thrust23THRUST_200600_302600_NS6detail15normal_iteratorINS9_10device_ptrIxEEEESE_xNS9_10multipliesIxEExEEDaPvRmT3_T4_T5_mT6_P12ihipStream_tbENKUlT_T0_E_clISt17integral_constantIbLb1EESU_EEDaSP_SQ_EUlSP_E_NS1_11comp_targetILNS1_3genE10ELNS1_11target_archE1200ELNS1_3gpuE4ELNS1_3repE0EEENS1_30default_config_static_selectorELNS0_4arch9wavefront6targetE1EEEvT1_
    .private_segment_fixed_size: 0
    .sgpr_count:     4
    .sgpr_spill_count: 0
    .symbol:         _ZN7rocprim17ROCPRIM_400000_NS6detail17trampoline_kernelINS0_14default_configENS1_20scan_config_selectorIxEEZZNS1_9scan_implILNS1_25lookback_scan_determinismE0ELb0ELb1ES3_N6thrust23THRUST_200600_302600_NS6detail15normal_iteratorINS9_10device_ptrIxEEEESE_xNS9_10multipliesIxEExEEDaPvRmT3_T4_T5_mT6_P12ihipStream_tbENKUlT_T0_E_clISt17integral_constantIbLb1EESU_EEDaSP_SQ_EUlSP_E_NS1_11comp_targetILNS1_3genE10ELNS1_11target_archE1200ELNS1_3gpuE4ELNS1_3repE0EEENS1_30default_config_static_selectorELNS0_4arch9wavefront6targetE1EEEvT1_.kd
    .uniform_work_group_size: 1
    .uses_dynamic_stack: false
    .vgpr_count:     0
    .vgpr_spill_count: 0
    .wavefront_size: 64
  - .agpr_count:     0
    .args:
      - .offset:         0
        .size:           104
        .value_kind:     by_value
    .group_segment_fixed_size: 0
    .kernarg_segment_align: 8
    .kernarg_segment_size: 104
    .language:       OpenCL C
    .language_version:
      - 2
      - 0
    .max_flat_workgroup_size: 256
    .name:           _ZN7rocprim17ROCPRIM_400000_NS6detail17trampoline_kernelINS0_14default_configENS1_20scan_config_selectorIxEEZZNS1_9scan_implILNS1_25lookback_scan_determinismE0ELb0ELb1ES3_N6thrust23THRUST_200600_302600_NS6detail15normal_iteratorINS9_10device_ptrIxEEEESE_xNS9_10multipliesIxEExEEDaPvRmT3_T4_T5_mT6_P12ihipStream_tbENKUlT_T0_E_clISt17integral_constantIbLb1EESU_EEDaSP_SQ_EUlSP_E_NS1_11comp_targetILNS1_3genE9ELNS1_11target_archE1100ELNS1_3gpuE3ELNS1_3repE0EEENS1_30default_config_static_selectorELNS0_4arch9wavefront6targetE1EEEvT1_
    .private_segment_fixed_size: 0
    .sgpr_count:     4
    .sgpr_spill_count: 0
    .symbol:         _ZN7rocprim17ROCPRIM_400000_NS6detail17trampoline_kernelINS0_14default_configENS1_20scan_config_selectorIxEEZZNS1_9scan_implILNS1_25lookback_scan_determinismE0ELb0ELb1ES3_N6thrust23THRUST_200600_302600_NS6detail15normal_iteratorINS9_10device_ptrIxEEEESE_xNS9_10multipliesIxEExEEDaPvRmT3_T4_T5_mT6_P12ihipStream_tbENKUlT_T0_E_clISt17integral_constantIbLb1EESU_EEDaSP_SQ_EUlSP_E_NS1_11comp_targetILNS1_3genE9ELNS1_11target_archE1100ELNS1_3gpuE3ELNS1_3repE0EEENS1_30default_config_static_selectorELNS0_4arch9wavefront6targetE1EEEvT1_.kd
    .uniform_work_group_size: 1
    .uses_dynamic_stack: false
    .vgpr_count:     0
    .vgpr_spill_count: 0
    .wavefront_size: 64
  - .agpr_count:     0
    .args:
      - .offset:         0
        .size:           104
        .value_kind:     by_value
    .group_segment_fixed_size: 0
    .kernarg_segment_align: 8
    .kernarg_segment_size: 104
    .language:       OpenCL C
    .language_version:
      - 2
      - 0
    .max_flat_workgroup_size: 256
    .name:           _ZN7rocprim17ROCPRIM_400000_NS6detail17trampoline_kernelINS0_14default_configENS1_20scan_config_selectorIxEEZZNS1_9scan_implILNS1_25lookback_scan_determinismE0ELb0ELb1ES3_N6thrust23THRUST_200600_302600_NS6detail15normal_iteratorINS9_10device_ptrIxEEEESE_xNS9_10multipliesIxEExEEDaPvRmT3_T4_T5_mT6_P12ihipStream_tbENKUlT_T0_E_clISt17integral_constantIbLb1EESU_EEDaSP_SQ_EUlSP_E_NS1_11comp_targetILNS1_3genE8ELNS1_11target_archE1030ELNS1_3gpuE2ELNS1_3repE0EEENS1_30default_config_static_selectorELNS0_4arch9wavefront6targetE1EEEvT1_
    .private_segment_fixed_size: 0
    .sgpr_count:     4
    .sgpr_spill_count: 0
    .symbol:         _ZN7rocprim17ROCPRIM_400000_NS6detail17trampoline_kernelINS0_14default_configENS1_20scan_config_selectorIxEEZZNS1_9scan_implILNS1_25lookback_scan_determinismE0ELb0ELb1ES3_N6thrust23THRUST_200600_302600_NS6detail15normal_iteratorINS9_10device_ptrIxEEEESE_xNS9_10multipliesIxEExEEDaPvRmT3_T4_T5_mT6_P12ihipStream_tbENKUlT_T0_E_clISt17integral_constantIbLb1EESU_EEDaSP_SQ_EUlSP_E_NS1_11comp_targetILNS1_3genE8ELNS1_11target_archE1030ELNS1_3gpuE2ELNS1_3repE0EEENS1_30default_config_static_selectorELNS0_4arch9wavefront6targetE1EEEvT1_.kd
    .uniform_work_group_size: 1
    .uses_dynamic_stack: false
    .vgpr_count:     0
    .vgpr_spill_count: 0
    .wavefront_size: 64
  - .agpr_count:     0
    .args:
      - .offset:         0
        .size:           40
        .value_kind:     by_value
    .group_segment_fixed_size: 0
    .kernarg_segment_align: 8
    .kernarg_segment_size: 40
    .language:       OpenCL C
    .language_version:
      - 2
      - 0
    .max_flat_workgroup_size: 256
    .name:           _ZN7rocprim17ROCPRIM_400000_NS6detail17trampoline_kernelINS0_14default_configENS1_20scan_config_selectorIxEEZZNS1_9scan_implILNS1_25lookback_scan_determinismE0ELb0ELb1ES3_N6thrust23THRUST_200600_302600_NS6detail15normal_iteratorINS9_10device_ptrIxEEEESE_xNS9_10multipliesIxEExEEDaPvRmT3_T4_T5_mT6_P12ihipStream_tbENKUlT_T0_E_clISt17integral_constantIbLb1EESU_EEDaSP_SQ_EUlSP_E0_NS1_11comp_targetILNS1_3genE0ELNS1_11target_archE4294967295ELNS1_3gpuE0ELNS1_3repE0EEENS1_30default_config_static_selectorELNS0_4arch9wavefront6targetE1EEEvT1_
    .private_segment_fixed_size: 0
    .sgpr_count:     4
    .sgpr_spill_count: 0
    .symbol:         _ZN7rocprim17ROCPRIM_400000_NS6detail17trampoline_kernelINS0_14default_configENS1_20scan_config_selectorIxEEZZNS1_9scan_implILNS1_25lookback_scan_determinismE0ELb0ELb1ES3_N6thrust23THRUST_200600_302600_NS6detail15normal_iteratorINS9_10device_ptrIxEEEESE_xNS9_10multipliesIxEExEEDaPvRmT3_T4_T5_mT6_P12ihipStream_tbENKUlT_T0_E_clISt17integral_constantIbLb1EESU_EEDaSP_SQ_EUlSP_E0_NS1_11comp_targetILNS1_3genE0ELNS1_11target_archE4294967295ELNS1_3gpuE0ELNS1_3repE0EEENS1_30default_config_static_selectorELNS0_4arch9wavefront6targetE1EEEvT1_.kd
    .uniform_work_group_size: 1
    .uses_dynamic_stack: false
    .vgpr_count:     0
    .vgpr_spill_count: 0
    .wavefront_size: 64
  - .agpr_count:     0
    .args:
      - .offset:         0
        .size:           40
        .value_kind:     by_value
    .group_segment_fixed_size: 0
    .kernarg_segment_align: 8
    .kernarg_segment_size: 40
    .language:       OpenCL C
    .language_version:
      - 2
      - 0
    .max_flat_workgroup_size: 256
    .name:           _ZN7rocprim17ROCPRIM_400000_NS6detail17trampoline_kernelINS0_14default_configENS1_20scan_config_selectorIxEEZZNS1_9scan_implILNS1_25lookback_scan_determinismE0ELb0ELb1ES3_N6thrust23THRUST_200600_302600_NS6detail15normal_iteratorINS9_10device_ptrIxEEEESE_xNS9_10multipliesIxEExEEDaPvRmT3_T4_T5_mT6_P12ihipStream_tbENKUlT_T0_E_clISt17integral_constantIbLb1EESU_EEDaSP_SQ_EUlSP_E0_NS1_11comp_targetILNS1_3genE5ELNS1_11target_archE942ELNS1_3gpuE9ELNS1_3repE0EEENS1_30default_config_static_selectorELNS0_4arch9wavefront6targetE1EEEvT1_
    .private_segment_fixed_size: 0
    .sgpr_count:     4
    .sgpr_spill_count: 0
    .symbol:         _ZN7rocprim17ROCPRIM_400000_NS6detail17trampoline_kernelINS0_14default_configENS1_20scan_config_selectorIxEEZZNS1_9scan_implILNS1_25lookback_scan_determinismE0ELb0ELb1ES3_N6thrust23THRUST_200600_302600_NS6detail15normal_iteratorINS9_10device_ptrIxEEEESE_xNS9_10multipliesIxEExEEDaPvRmT3_T4_T5_mT6_P12ihipStream_tbENKUlT_T0_E_clISt17integral_constantIbLb1EESU_EEDaSP_SQ_EUlSP_E0_NS1_11comp_targetILNS1_3genE5ELNS1_11target_archE942ELNS1_3gpuE9ELNS1_3repE0EEENS1_30default_config_static_selectorELNS0_4arch9wavefront6targetE1EEEvT1_.kd
    .uniform_work_group_size: 1
    .uses_dynamic_stack: false
    .vgpr_count:     0
    .vgpr_spill_count: 0
    .wavefront_size: 64
  - .agpr_count:     0
    .args:
      - .offset:         0
        .size:           40
        .value_kind:     by_value
    .group_segment_fixed_size: 7168
    .kernarg_segment_align: 8
    .kernarg_segment_size: 40
    .language:       OpenCL C
    .language_version:
      - 2
      - 0
    .max_flat_workgroup_size: 128
    .name:           _ZN7rocprim17ROCPRIM_400000_NS6detail17trampoline_kernelINS0_14default_configENS1_20scan_config_selectorIxEEZZNS1_9scan_implILNS1_25lookback_scan_determinismE0ELb0ELb1ES3_N6thrust23THRUST_200600_302600_NS6detail15normal_iteratorINS9_10device_ptrIxEEEESE_xNS9_10multipliesIxEExEEDaPvRmT3_T4_T5_mT6_P12ihipStream_tbENKUlT_T0_E_clISt17integral_constantIbLb1EESU_EEDaSP_SQ_EUlSP_E0_NS1_11comp_targetILNS1_3genE4ELNS1_11target_archE910ELNS1_3gpuE8ELNS1_3repE0EEENS1_30default_config_static_selectorELNS0_4arch9wavefront6targetE1EEEvT1_
    .private_segment_fixed_size: 0
    .sgpr_count:     26
    .sgpr_spill_count: 0
    .symbol:         _ZN7rocprim17ROCPRIM_400000_NS6detail17trampoline_kernelINS0_14default_configENS1_20scan_config_selectorIxEEZZNS1_9scan_implILNS1_25lookback_scan_determinismE0ELb0ELb1ES3_N6thrust23THRUST_200600_302600_NS6detail15normal_iteratorINS9_10device_ptrIxEEEESE_xNS9_10multipliesIxEExEEDaPvRmT3_T4_T5_mT6_P12ihipStream_tbENKUlT_T0_E_clISt17integral_constantIbLb1EESU_EEDaSP_SQ_EUlSP_E0_NS1_11comp_targetILNS1_3genE4ELNS1_11target_archE910ELNS1_3gpuE8ELNS1_3repE0EEENS1_30default_config_static_selectorELNS0_4arch9wavefront6targetE1EEEvT1_.kd
    .uniform_work_group_size: 1
    .uses_dynamic_stack: false
    .vgpr_count:     36
    .vgpr_spill_count: 0
    .wavefront_size: 64
  - .agpr_count:     0
    .args:
      - .offset:         0
        .size:           40
        .value_kind:     by_value
    .group_segment_fixed_size: 0
    .kernarg_segment_align: 8
    .kernarg_segment_size: 40
    .language:       OpenCL C
    .language_version:
      - 2
      - 0
    .max_flat_workgroup_size: 256
    .name:           _ZN7rocprim17ROCPRIM_400000_NS6detail17trampoline_kernelINS0_14default_configENS1_20scan_config_selectorIxEEZZNS1_9scan_implILNS1_25lookback_scan_determinismE0ELb0ELb1ES3_N6thrust23THRUST_200600_302600_NS6detail15normal_iteratorINS9_10device_ptrIxEEEESE_xNS9_10multipliesIxEExEEDaPvRmT3_T4_T5_mT6_P12ihipStream_tbENKUlT_T0_E_clISt17integral_constantIbLb1EESU_EEDaSP_SQ_EUlSP_E0_NS1_11comp_targetILNS1_3genE3ELNS1_11target_archE908ELNS1_3gpuE7ELNS1_3repE0EEENS1_30default_config_static_selectorELNS0_4arch9wavefront6targetE1EEEvT1_
    .private_segment_fixed_size: 0
    .sgpr_count:     4
    .sgpr_spill_count: 0
    .symbol:         _ZN7rocprim17ROCPRIM_400000_NS6detail17trampoline_kernelINS0_14default_configENS1_20scan_config_selectorIxEEZZNS1_9scan_implILNS1_25lookback_scan_determinismE0ELb0ELb1ES3_N6thrust23THRUST_200600_302600_NS6detail15normal_iteratorINS9_10device_ptrIxEEEESE_xNS9_10multipliesIxEExEEDaPvRmT3_T4_T5_mT6_P12ihipStream_tbENKUlT_T0_E_clISt17integral_constantIbLb1EESU_EEDaSP_SQ_EUlSP_E0_NS1_11comp_targetILNS1_3genE3ELNS1_11target_archE908ELNS1_3gpuE7ELNS1_3repE0EEENS1_30default_config_static_selectorELNS0_4arch9wavefront6targetE1EEEvT1_.kd
    .uniform_work_group_size: 1
    .uses_dynamic_stack: false
    .vgpr_count:     0
    .vgpr_spill_count: 0
    .wavefront_size: 64
  - .agpr_count:     0
    .args:
      - .offset:         0
        .size:           40
        .value_kind:     by_value
    .group_segment_fixed_size: 0
    .kernarg_segment_align: 8
    .kernarg_segment_size: 40
    .language:       OpenCL C
    .language_version:
      - 2
      - 0
    .max_flat_workgroup_size: 64
    .name:           _ZN7rocprim17ROCPRIM_400000_NS6detail17trampoline_kernelINS0_14default_configENS1_20scan_config_selectorIxEEZZNS1_9scan_implILNS1_25lookback_scan_determinismE0ELb0ELb1ES3_N6thrust23THRUST_200600_302600_NS6detail15normal_iteratorINS9_10device_ptrIxEEEESE_xNS9_10multipliesIxEExEEDaPvRmT3_T4_T5_mT6_P12ihipStream_tbENKUlT_T0_E_clISt17integral_constantIbLb1EESU_EEDaSP_SQ_EUlSP_E0_NS1_11comp_targetILNS1_3genE2ELNS1_11target_archE906ELNS1_3gpuE6ELNS1_3repE0EEENS1_30default_config_static_selectorELNS0_4arch9wavefront6targetE1EEEvT1_
    .private_segment_fixed_size: 0
    .sgpr_count:     4
    .sgpr_spill_count: 0
    .symbol:         _ZN7rocprim17ROCPRIM_400000_NS6detail17trampoline_kernelINS0_14default_configENS1_20scan_config_selectorIxEEZZNS1_9scan_implILNS1_25lookback_scan_determinismE0ELb0ELb1ES3_N6thrust23THRUST_200600_302600_NS6detail15normal_iteratorINS9_10device_ptrIxEEEESE_xNS9_10multipliesIxEExEEDaPvRmT3_T4_T5_mT6_P12ihipStream_tbENKUlT_T0_E_clISt17integral_constantIbLb1EESU_EEDaSP_SQ_EUlSP_E0_NS1_11comp_targetILNS1_3genE2ELNS1_11target_archE906ELNS1_3gpuE6ELNS1_3repE0EEENS1_30default_config_static_selectorELNS0_4arch9wavefront6targetE1EEEvT1_.kd
    .uniform_work_group_size: 1
    .uses_dynamic_stack: false
    .vgpr_count:     0
    .vgpr_spill_count: 0
    .wavefront_size: 64
  - .agpr_count:     0
    .args:
      - .offset:         0
        .size:           40
        .value_kind:     by_value
    .group_segment_fixed_size: 0
    .kernarg_segment_align: 8
    .kernarg_segment_size: 40
    .language:       OpenCL C
    .language_version:
      - 2
      - 0
    .max_flat_workgroup_size: 256
    .name:           _ZN7rocprim17ROCPRIM_400000_NS6detail17trampoline_kernelINS0_14default_configENS1_20scan_config_selectorIxEEZZNS1_9scan_implILNS1_25lookback_scan_determinismE0ELb0ELb1ES3_N6thrust23THRUST_200600_302600_NS6detail15normal_iteratorINS9_10device_ptrIxEEEESE_xNS9_10multipliesIxEExEEDaPvRmT3_T4_T5_mT6_P12ihipStream_tbENKUlT_T0_E_clISt17integral_constantIbLb1EESU_EEDaSP_SQ_EUlSP_E0_NS1_11comp_targetILNS1_3genE10ELNS1_11target_archE1201ELNS1_3gpuE5ELNS1_3repE0EEENS1_30default_config_static_selectorELNS0_4arch9wavefront6targetE1EEEvT1_
    .private_segment_fixed_size: 0
    .sgpr_count:     4
    .sgpr_spill_count: 0
    .symbol:         _ZN7rocprim17ROCPRIM_400000_NS6detail17trampoline_kernelINS0_14default_configENS1_20scan_config_selectorIxEEZZNS1_9scan_implILNS1_25lookback_scan_determinismE0ELb0ELb1ES3_N6thrust23THRUST_200600_302600_NS6detail15normal_iteratorINS9_10device_ptrIxEEEESE_xNS9_10multipliesIxEExEEDaPvRmT3_T4_T5_mT6_P12ihipStream_tbENKUlT_T0_E_clISt17integral_constantIbLb1EESU_EEDaSP_SQ_EUlSP_E0_NS1_11comp_targetILNS1_3genE10ELNS1_11target_archE1201ELNS1_3gpuE5ELNS1_3repE0EEENS1_30default_config_static_selectorELNS0_4arch9wavefront6targetE1EEEvT1_.kd
    .uniform_work_group_size: 1
    .uses_dynamic_stack: false
    .vgpr_count:     0
    .vgpr_spill_count: 0
    .wavefront_size: 64
  - .agpr_count:     0
    .args:
      - .offset:         0
        .size:           40
        .value_kind:     by_value
    .group_segment_fixed_size: 0
    .kernarg_segment_align: 8
    .kernarg_segment_size: 40
    .language:       OpenCL C
    .language_version:
      - 2
      - 0
    .max_flat_workgroup_size: 256
    .name:           _ZN7rocprim17ROCPRIM_400000_NS6detail17trampoline_kernelINS0_14default_configENS1_20scan_config_selectorIxEEZZNS1_9scan_implILNS1_25lookback_scan_determinismE0ELb0ELb1ES3_N6thrust23THRUST_200600_302600_NS6detail15normal_iteratorINS9_10device_ptrIxEEEESE_xNS9_10multipliesIxEExEEDaPvRmT3_T4_T5_mT6_P12ihipStream_tbENKUlT_T0_E_clISt17integral_constantIbLb1EESU_EEDaSP_SQ_EUlSP_E0_NS1_11comp_targetILNS1_3genE10ELNS1_11target_archE1200ELNS1_3gpuE4ELNS1_3repE0EEENS1_30default_config_static_selectorELNS0_4arch9wavefront6targetE1EEEvT1_
    .private_segment_fixed_size: 0
    .sgpr_count:     4
    .sgpr_spill_count: 0
    .symbol:         _ZN7rocprim17ROCPRIM_400000_NS6detail17trampoline_kernelINS0_14default_configENS1_20scan_config_selectorIxEEZZNS1_9scan_implILNS1_25lookback_scan_determinismE0ELb0ELb1ES3_N6thrust23THRUST_200600_302600_NS6detail15normal_iteratorINS9_10device_ptrIxEEEESE_xNS9_10multipliesIxEExEEDaPvRmT3_T4_T5_mT6_P12ihipStream_tbENKUlT_T0_E_clISt17integral_constantIbLb1EESU_EEDaSP_SQ_EUlSP_E0_NS1_11comp_targetILNS1_3genE10ELNS1_11target_archE1200ELNS1_3gpuE4ELNS1_3repE0EEENS1_30default_config_static_selectorELNS0_4arch9wavefront6targetE1EEEvT1_.kd
    .uniform_work_group_size: 1
    .uses_dynamic_stack: false
    .vgpr_count:     0
    .vgpr_spill_count: 0
    .wavefront_size: 64
  - .agpr_count:     0
    .args:
      - .offset:         0
        .size:           40
        .value_kind:     by_value
    .group_segment_fixed_size: 0
    .kernarg_segment_align: 8
    .kernarg_segment_size: 40
    .language:       OpenCL C
    .language_version:
      - 2
      - 0
    .max_flat_workgroup_size: 256
    .name:           _ZN7rocprim17ROCPRIM_400000_NS6detail17trampoline_kernelINS0_14default_configENS1_20scan_config_selectorIxEEZZNS1_9scan_implILNS1_25lookback_scan_determinismE0ELb0ELb1ES3_N6thrust23THRUST_200600_302600_NS6detail15normal_iteratorINS9_10device_ptrIxEEEESE_xNS9_10multipliesIxEExEEDaPvRmT3_T4_T5_mT6_P12ihipStream_tbENKUlT_T0_E_clISt17integral_constantIbLb1EESU_EEDaSP_SQ_EUlSP_E0_NS1_11comp_targetILNS1_3genE9ELNS1_11target_archE1100ELNS1_3gpuE3ELNS1_3repE0EEENS1_30default_config_static_selectorELNS0_4arch9wavefront6targetE1EEEvT1_
    .private_segment_fixed_size: 0
    .sgpr_count:     4
    .sgpr_spill_count: 0
    .symbol:         _ZN7rocprim17ROCPRIM_400000_NS6detail17trampoline_kernelINS0_14default_configENS1_20scan_config_selectorIxEEZZNS1_9scan_implILNS1_25lookback_scan_determinismE0ELb0ELb1ES3_N6thrust23THRUST_200600_302600_NS6detail15normal_iteratorINS9_10device_ptrIxEEEESE_xNS9_10multipliesIxEExEEDaPvRmT3_T4_T5_mT6_P12ihipStream_tbENKUlT_T0_E_clISt17integral_constantIbLb1EESU_EEDaSP_SQ_EUlSP_E0_NS1_11comp_targetILNS1_3genE9ELNS1_11target_archE1100ELNS1_3gpuE3ELNS1_3repE0EEENS1_30default_config_static_selectorELNS0_4arch9wavefront6targetE1EEEvT1_.kd
    .uniform_work_group_size: 1
    .uses_dynamic_stack: false
    .vgpr_count:     0
    .vgpr_spill_count: 0
    .wavefront_size: 64
  - .agpr_count:     0
    .args:
      - .offset:         0
        .size:           40
        .value_kind:     by_value
    .group_segment_fixed_size: 0
    .kernarg_segment_align: 8
    .kernarg_segment_size: 40
    .language:       OpenCL C
    .language_version:
      - 2
      - 0
    .max_flat_workgroup_size: 256
    .name:           _ZN7rocprim17ROCPRIM_400000_NS6detail17trampoline_kernelINS0_14default_configENS1_20scan_config_selectorIxEEZZNS1_9scan_implILNS1_25lookback_scan_determinismE0ELb0ELb1ES3_N6thrust23THRUST_200600_302600_NS6detail15normal_iteratorINS9_10device_ptrIxEEEESE_xNS9_10multipliesIxEExEEDaPvRmT3_T4_T5_mT6_P12ihipStream_tbENKUlT_T0_E_clISt17integral_constantIbLb1EESU_EEDaSP_SQ_EUlSP_E0_NS1_11comp_targetILNS1_3genE8ELNS1_11target_archE1030ELNS1_3gpuE2ELNS1_3repE0EEENS1_30default_config_static_selectorELNS0_4arch9wavefront6targetE1EEEvT1_
    .private_segment_fixed_size: 0
    .sgpr_count:     4
    .sgpr_spill_count: 0
    .symbol:         _ZN7rocprim17ROCPRIM_400000_NS6detail17trampoline_kernelINS0_14default_configENS1_20scan_config_selectorIxEEZZNS1_9scan_implILNS1_25lookback_scan_determinismE0ELb0ELb1ES3_N6thrust23THRUST_200600_302600_NS6detail15normal_iteratorINS9_10device_ptrIxEEEESE_xNS9_10multipliesIxEExEEDaPvRmT3_T4_T5_mT6_P12ihipStream_tbENKUlT_T0_E_clISt17integral_constantIbLb1EESU_EEDaSP_SQ_EUlSP_E0_NS1_11comp_targetILNS1_3genE8ELNS1_11target_archE1030ELNS1_3gpuE2ELNS1_3repE0EEENS1_30default_config_static_selectorELNS0_4arch9wavefront6targetE1EEEvT1_.kd
    .uniform_work_group_size: 1
    .uses_dynamic_stack: false
    .vgpr_count:     0
    .vgpr_spill_count: 0
    .wavefront_size: 64
  - .agpr_count:     0
    .args:
      - .offset:         0
        .size:           104
        .value_kind:     by_value
    .group_segment_fixed_size: 0
    .kernarg_segment_align: 8
    .kernarg_segment_size: 104
    .language:       OpenCL C
    .language_version:
      - 2
      - 0
    .max_flat_workgroup_size: 256
    .name:           _ZN7rocprim17ROCPRIM_400000_NS6detail17trampoline_kernelINS0_14default_configENS1_20scan_config_selectorIxEEZZNS1_9scan_implILNS1_25lookback_scan_determinismE0ELb0ELb1ES3_N6thrust23THRUST_200600_302600_NS6detail15normal_iteratorINS9_10device_ptrIxEEEESE_xNS9_10multipliesIxEExEEDaPvRmT3_T4_T5_mT6_P12ihipStream_tbENKUlT_T0_E_clISt17integral_constantIbLb1EEST_IbLb0EEEEDaSP_SQ_EUlSP_E_NS1_11comp_targetILNS1_3genE0ELNS1_11target_archE4294967295ELNS1_3gpuE0ELNS1_3repE0EEENS1_30default_config_static_selectorELNS0_4arch9wavefront6targetE1EEEvT1_
    .private_segment_fixed_size: 0
    .sgpr_count:     4
    .sgpr_spill_count: 0
    .symbol:         _ZN7rocprim17ROCPRIM_400000_NS6detail17trampoline_kernelINS0_14default_configENS1_20scan_config_selectorIxEEZZNS1_9scan_implILNS1_25lookback_scan_determinismE0ELb0ELb1ES3_N6thrust23THRUST_200600_302600_NS6detail15normal_iteratorINS9_10device_ptrIxEEEESE_xNS9_10multipliesIxEExEEDaPvRmT3_T4_T5_mT6_P12ihipStream_tbENKUlT_T0_E_clISt17integral_constantIbLb1EEST_IbLb0EEEEDaSP_SQ_EUlSP_E_NS1_11comp_targetILNS1_3genE0ELNS1_11target_archE4294967295ELNS1_3gpuE0ELNS1_3repE0EEENS1_30default_config_static_selectorELNS0_4arch9wavefront6targetE1EEEvT1_.kd
    .uniform_work_group_size: 1
    .uses_dynamic_stack: false
    .vgpr_count:     0
    .vgpr_spill_count: 0
    .wavefront_size: 64
  - .agpr_count:     0
    .args:
      - .offset:         0
        .size:           104
        .value_kind:     by_value
    .group_segment_fixed_size: 0
    .kernarg_segment_align: 8
    .kernarg_segment_size: 104
    .language:       OpenCL C
    .language_version:
      - 2
      - 0
    .max_flat_workgroup_size: 256
    .name:           _ZN7rocprim17ROCPRIM_400000_NS6detail17trampoline_kernelINS0_14default_configENS1_20scan_config_selectorIxEEZZNS1_9scan_implILNS1_25lookback_scan_determinismE0ELb0ELb1ES3_N6thrust23THRUST_200600_302600_NS6detail15normal_iteratorINS9_10device_ptrIxEEEESE_xNS9_10multipliesIxEExEEDaPvRmT3_T4_T5_mT6_P12ihipStream_tbENKUlT_T0_E_clISt17integral_constantIbLb1EEST_IbLb0EEEEDaSP_SQ_EUlSP_E_NS1_11comp_targetILNS1_3genE5ELNS1_11target_archE942ELNS1_3gpuE9ELNS1_3repE0EEENS1_30default_config_static_selectorELNS0_4arch9wavefront6targetE1EEEvT1_
    .private_segment_fixed_size: 0
    .sgpr_count:     4
    .sgpr_spill_count: 0
    .symbol:         _ZN7rocprim17ROCPRIM_400000_NS6detail17trampoline_kernelINS0_14default_configENS1_20scan_config_selectorIxEEZZNS1_9scan_implILNS1_25lookback_scan_determinismE0ELb0ELb1ES3_N6thrust23THRUST_200600_302600_NS6detail15normal_iteratorINS9_10device_ptrIxEEEESE_xNS9_10multipliesIxEExEEDaPvRmT3_T4_T5_mT6_P12ihipStream_tbENKUlT_T0_E_clISt17integral_constantIbLb1EEST_IbLb0EEEEDaSP_SQ_EUlSP_E_NS1_11comp_targetILNS1_3genE5ELNS1_11target_archE942ELNS1_3gpuE9ELNS1_3repE0EEENS1_30default_config_static_selectorELNS0_4arch9wavefront6targetE1EEEvT1_.kd
    .uniform_work_group_size: 1
    .uses_dynamic_stack: false
    .vgpr_count:     0
    .vgpr_spill_count: 0
    .wavefront_size: 64
  - .agpr_count:     0
    .args:
      - .offset:         0
        .size:           104
        .value_kind:     by_value
    .group_segment_fixed_size: 7168
    .kernarg_segment_align: 8
    .kernarg_segment_size: 104
    .language:       OpenCL C
    .language_version:
      - 2
      - 0
    .max_flat_workgroup_size: 128
    .name:           _ZN7rocprim17ROCPRIM_400000_NS6detail17trampoline_kernelINS0_14default_configENS1_20scan_config_selectorIxEEZZNS1_9scan_implILNS1_25lookback_scan_determinismE0ELb0ELb1ES3_N6thrust23THRUST_200600_302600_NS6detail15normal_iteratorINS9_10device_ptrIxEEEESE_xNS9_10multipliesIxEExEEDaPvRmT3_T4_T5_mT6_P12ihipStream_tbENKUlT_T0_E_clISt17integral_constantIbLb1EEST_IbLb0EEEEDaSP_SQ_EUlSP_E_NS1_11comp_targetILNS1_3genE4ELNS1_11target_archE910ELNS1_3gpuE8ELNS1_3repE0EEENS1_30default_config_static_selectorELNS0_4arch9wavefront6targetE1EEEvT1_
    .private_segment_fixed_size: 0
    .sgpr_count:     34
    .sgpr_spill_count: 0
    .symbol:         _ZN7rocprim17ROCPRIM_400000_NS6detail17trampoline_kernelINS0_14default_configENS1_20scan_config_selectorIxEEZZNS1_9scan_implILNS1_25lookback_scan_determinismE0ELb0ELb1ES3_N6thrust23THRUST_200600_302600_NS6detail15normal_iteratorINS9_10device_ptrIxEEEESE_xNS9_10multipliesIxEExEEDaPvRmT3_T4_T5_mT6_P12ihipStream_tbENKUlT_T0_E_clISt17integral_constantIbLb1EEST_IbLb0EEEEDaSP_SQ_EUlSP_E_NS1_11comp_targetILNS1_3genE4ELNS1_11target_archE910ELNS1_3gpuE8ELNS1_3repE0EEENS1_30default_config_static_selectorELNS0_4arch9wavefront6targetE1EEEvT1_.kd
    .uniform_work_group_size: 1
    .uses_dynamic_stack: false
    .vgpr_count:     50
    .vgpr_spill_count: 0
    .wavefront_size: 64
  - .agpr_count:     0
    .args:
      - .offset:         0
        .size:           104
        .value_kind:     by_value
    .group_segment_fixed_size: 0
    .kernarg_segment_align: 8
    .kernarg_segment_size: 104
    .language:       OpenCL C
    .language_version:
      - 2
      - 0
    .max_flat_workgroup_size: 256
    .name:           _ZN7rocprim17ROCPRIM_400000_NS6detail17trampoline_kernelINS0_14default_configENS1_20scan_config_selectorIxEEZZNS1_9scan_implILNS1_25lookback_scan_determinismE0ELb0ELb1ES3_N6thrust23THRUST_200600_302600_NS6detail15normal_iteratorINS9_10device_ptrIxEEEESE_xNS9_10multipliesIxEExEEDaPvRmT3_T4_T5_mT6_P12ihipStream_tbENKUlT_T0_E_clISt17integral_constantIbLb1EEST_IbLb0EEEEDaSP_SQ_EUlSP_E_NS1_11comp_targetILNS1_3genE3ELNS1_11target_archE908ELNS1_3gpuE7ELNS1_3repE0EEENS1_30default_config_static_selectorELNS0_4arch9wavefront6targetE1EEEvT1_
    .private_segment_fixed_size: 0
    .sgpr_count:     4
    .sgpr_spill_count: 0
    .symbol:         _ZN7rocprim17ROCPRIM_400000_NS6detail17trampoline_kernelINS0_14default_configENS1_20scan_config_selectorIxEEZZNS1_9scan_implILNS1_25lookback_scan_determinismE0ELb0ELb1ES3_N6thrust23THRUST_200600_302600_NS6detail15normal_iteratorINS9_10device_ptrIxEEEESE_xNS9_10multipliesIxEExEEDaPvRmT3_T4_T5_mT6_P12ihipStream_tbENKUlT_T0_E_clISt17integral_constantIbLb1EEST_IbLb0EEEEDaSP_SQ_EUlSP_E_NS1_11comp_targetILNS1_3genE3ELNS1_11target_archE908ELNS1_3gpuE7ELNS1_3repE0EEENS1_30default_config_static_selectorELNS0_4arch9wavefront6targetE1EEEvT1_.kd
    .uniform_work_group_size: 1
    .uses_dynamic_stack: false
    .vgpr_count:     0
    .vgpr_spill_count: 0
    .wavefront_size: 64
  - .agpr_count:     0
    .args:
      - .offset:         0
        .size:           104
        .value_kind:     by_value
    .group_segment_fixed_size: 0
    .kernarg_segment_align: 8
    .kernarg_segment_size: 104
    .language:       OpenCL C
    .language_version:
      - 2
      - 0
    .max_flat_workgroup_size: 64
    .name:           _ZN7rocprim17ROCPRIM_400000_NS6detail17trampoline_kernelINS0_14default_configENS1_20scan_config_selectorIxEEZZNS1_9scan_implILNS1_25lookback_scan_determinismE0ELb0ELb1ES3_N6thrust23THRUST_200600_302600_NS6detail15normal_iteratorINS9_10device_ptrIxEEEESE_xNS9_10multipliesIxEExEEDaPvRmT3_T4_T5_mT6_P12ihipStream_tbENKUlT_T0_E_clISt17integral_constantIbLb1EEST_IbLb0EEEEDaSP_SQ_EUlSP_E_NS1_11comp_targetILNS1_3genE2ELNS1_11target_archE906ELNS1_3gpuE6ELNS1_3repE0EEENS1_30default_config_static_selectorELNS0_4arch9wavefront6targetE1EEEvT1_
    .private_segment_fixed_size: 0
    .sgpr_count:     4
    .sgpr_spill_count: 0
    .symbol:         _ZN7rocprim17ROCPRIM_400000_NS6detail17trampoline_kernelINS0_14default_configENS1_20scan_config_selectorIxEEZZNS1_9scan_implILNS1_25lookback_scan_determinismE0ELb0ELb1ES3_N6thrust23THRUST_200600_302600_NS6detail15normal_iteratorINS9_10device_ptrIxEEEESE_xNS9_10multipliesIxEExEEDaPvRmT3_T4_T5_mT6_P12ihipStream_tbENKUlT_T0_E_clISt17integral_constantIbLb1EEST_IbLb0EEEEDaSP_SQ_EUlSP_E_NS1_11comp_targetILNS1_3genE2ELNS1_11target_archE906ELNS1_3gpuE6ELNS1_3repE0EEENS1_30default_config_static_selectorELNS0_4arch9wavefront6targetE1EEEvT1_.kd
    .uniform_work_group_size: 1
    .uses_dynamic_stack: false
    .vgpr_count:     0
    .vgpr_spill_count: 0
    .wavefront_size: 64
  - .agpr_count:     0
    .args:
      - .offset:         0
        .size:           104
        .value_kind:     by_value
    .group_segment_fixed_size: 0
    .kernarg_segment_align: 8
    .kernarg_segment_size: 104
    .language:       OpenCL C
    .language_version:
      - 2
      - 0
    .max_flat_workgroup_size: 256
    .name:           _ZN7rocprim17ROCPRIM_400000_NS6detail17trampoline_kernelINS0_14default_configENS1_20scan_config_selectorIxEEZZNS1_9scan_implILNS1_25lookback_scan_determinismE0ELb0ELb1ES3_N6thrust23THRUST_200600_302600_NS6detail15normal_iteratorINS9_10device_ptrIxEEEESE_xNS9_10multipliesIxEExEEDaPvRmT3_T4_T5_mT6_P12ihipStream_tbENKUlT_T0_E_clISt17integral_constantIbLb1EEST_IbLb0EEEEDaSP_SQ_EUlSP_E_NS1_11comp_targetILNS1_3genE10ELNS1_11target_archE1201ELNS1_3gpuE5ELNS1_3repE0EEENS1_30default_config_static_selectorELNS0_4arch9wavefront6targetE1EEEvT1_
    .private_segment_fixed_size: 0
    .sgpr_count:     4
    .sgpr_spill_count: 0
    .symbol:         _ZN7rocprim17ROCPRIM_400000_NS6detail17trampoline_kernelINS0_14default_configENS1_20scan_config_selectorIxEEZZNS1_9scan_implILNS1_25lookback_scan_determinismE0ELb0ELb1ES3_N6thrust23THRUST_200600_302600_NS6detail15normal_iteratorINS9_10device_ptrIxEEEESE_xNS9_10multipliesIxEExEEDaPvRmT3_T4_T5_mT6_P12ihipStream_tbENKUlT_T0_E_clISt17integral_constantIbLb1EEST_IbLb0EEEEDaSP_SQ_EUlSP_E_NS1_11comp_targetILNS1_3genE10ELNS1_11target_archE1201ELNS1_3gpuE5ELNS1_3repE0EEENS1_30default_config_static_selectorELNS0_4arch9wavefront6targetE1EEEvT1_.kd
    .uniform_work_group_size: 1
    .uses_dynamic_stack: false
    .vgpr_count:     0
    .vgpr_spill_count: 0
    .wavefront_size: 64
  - .agpr_count:     0
    .args:
      - .offset:         0
        .size:           104
        .value_kind:     by_value
    .group_segment_fixed_size: 0
    .kernarg_segment_align: 8
    .kernarg_segment_size: 104
    .language:       OpenCL C
    .language_version:
      - 2
      - 0
    .max_flat_workgroup_size: 256
    .name:           _ZN7rocprim17ROCPRIM_400000_NS6detail17trampoline_kernelINS0_14default_configENS1_20scan_config_selectorIxEEZZNS1_9scan_implILNS1_25lookback_scan_determinismE0ELb0ELb1ES3_N6thrust23THRUST_200600_302600_NS6detail15normal_iteratorINS9_10device_ptrIxEEEESE_xNS9_10multipliesIxEExEEDaPvRmT3_T4_T5_mT6_P12ihipStream_tbENKUlT_T0_E_clISt17integral_constantIbLb1EEST_IbLb0EEEEDaSP_SQ_EUlSP_E_NS1_11comp_targetILNS1_3genE10ELNS1_11target_archE1200ELNS1_3gpuE4ELNS1_3repE0EEENS1_30default_config_static_selectorELNS0_4arch9wavefront6targetE1EEEvT1_
    .private_segment_fixed_size: 0
    .sgpr_count:     4
    .sgpr_spill_count: 0
    .symbol:         _ZN7rocprim17ROCPRIM_400000_NS6detail17trampoline_kernelINS0_14default_configENS1_20scan_config_selectorIxEEZZNS1_9scan_implILNS1_25lookback_scan_determinismE0ELb0ELb1ES3_N6thrust23THRUST_200600_302600_NS6detail15normal_iteratorINS9_10device_ptrIxEEEESE_xNS9_10multipliesIxEExEEDaPvRmT3_T4_T5_mT6_P12ihipStream_tbENKUlT_T0_E_clISt17integral_constantIbLb1EEST_IbLb0EEEEDaSP_SQ_EUlSP_E_NS1_11comp_targetILNS1_3genE10ELNS1_11target_archE1200ELNS1_3gpuE4ELNS1_3repE0EEENS1_30default_config_static_selectorELNS0_4arch9wavefront6targetE1EEEvT1_.kd
    .uniform_work_group_size: 1
    .uses_dynamic_stack: false
    .vgpr_count:     0
    .vgpr_spill_count: 0
    .wavefront_size: 64
  - .agpr_count:     0
    .args:
      - .offset:         0
        .size:           104
        .value_kind:     by_value
    .group_segment_fixed_size: 0
    .kernarg_segment_align: 8
    .kernarg_segment_size: 104
    .language:       OpenCL C
    .language_version:
      - 2
      - 0
    .max_flat_workgroup_size: 256
    .name:           _ZN7rocprim17ROCPRIM_400000_NS6detail17trampoline_kernelINS0_14default_configENS1_20scan_config_selectorIxEEZZNS1_9scan_implILNS1_25lookback_scan_determinismE0ELb0ELb1ES3_N6thrust23THRUST_200600_302600_NS6detail15normal_iteratorINS9_10device_ptrIxEEEESE_xNS9_10multipliesIxEExEEDaPvRmT3_T4_T5_mT6_P12ihipStream_tbENKUlT_T0_E_clISt17integral_constantIbLb1EEST_IbLb0EEEEDaSP_SQ_EUlSP_E_NS1_11comp_targetILNS1_3genE9ELNS1_11target_archE1100ELNS1_3gpuE3ELNS1_3repE0EEENS1_30default_config_static_selectorELNS0_4arch9wavefront6targetE1EEEvT1_
    .private_segment_fixed_size: 0
    .sgpr_count:     4
    .sgpr_spill_count: 0
    .symbol:         _ZN7rocprim17ROCPRIM_400000_NS6detail17trampoline_kernelINS0_14default_configENS1_20scan_config_selectorIxEEZZNS1_9scan_implILNS1_25lookback_scan_determinismE0ELb0ELb1ES3_N6thrust23THRUST_200600_302600_NS6detail15normal_iteratorINS9_10device_ptrIxEEEESE_xNS9_10multipliesIxEExEEDaPvRmT3_T4_T5_mT6_P12ihipStream_tbENKUlT_T0_E_clISt17integral_constantIbLb1EEST_IbLb0EEEEDaSP_SQ_EUlSP_E_NS1_11comp_targetILNS1_3genE9ELNS1_11target_archE1100ELNS1_3gpuE3ELNS1_3repE0EEENS1_30default_config_static_selectorELNS0_4arch9wavefront6targetE1EEEvT1_.kd
    .uniform_work_group_size: 1
    .uses_dynamic_stack: false
    .vgpr_count:     0
    .vgpr_spill_count: 0
    .wavefront_size: 64
  - .agpr_count:     0
    .args:
      - .offset:         0
        .size:           104
        .value_kind:     by_value
    .group_segment_fixed_size: 0
    .kernarg_segment_align: 8
    .kernarg_segment_size: 104
    .language:       OpenCL C
    .language_version:
      - 2
      - 0
    .max_flat_workgroup_size: 256
    .name:           _ZN7rocprim17ROCPRIM_400000_NS6detail17trampoline_kernelINS0_14default_configENS1_20scan_config_selectorIxEEZZNS1_9scan_implILNS1_25lookback_scan_determinismE0ELb0ELb1ES3_N6thrust23THRUST_200600_302600_NS6detail15normal_iteratorINS9_10device_ptrIxEEEESE_xNS9_10multipliesIxEExEEDaPvRmT3_T4_T5_mT6_P12ihipStream_tbENKUlT_T0_E_clISt17integral_constantIbLb1EEST_IbLb0EEEEDaSP_SQ_EUlSP_E_NS1_11comp_targetILNS1_3genE8ELNS1_11target_archE1030ELNS1_3gpuE2ELNS1_3repE0EEENS1_30default_config_static_selectorELNS0_4arch9wavefront6targetE1EEEvT1_
    .private_segment_fixed_size: 0
    .sgpr_count:     4
    .sgpr_spill_count: 0
    .symbol:         _ZN7rocprim17ROCPRIM_400000_NS6detail17trampoline_kernelINS0_14default_configENS1_20scan_config_selectorIxEEZZNS1_9scan_implILNS1_25lookback_scan_determinismE0ELb0ELb1ES3_N6thrust23THRUST_200600_302600_NS6detail15normal_iteratorINS9_10device_ptrIxEEEESE_xNS9_10multipliesIxEExEEDaPvRmT3_T4_T5_mT6_P12ihipStream_tbENKUlT_T0_E_clISt17integral_constantIbLb1EEST_IbLb0EEEEDaSP_SQ_EUlSP_E_NS1_11comp_targetILNS1_3genE8ELNS1_11target_archE1030ELNS1_3gpuE2ELNS1_3repE0EEENS1_30default_config_static_selectorELNS0_4arch9wavefront6targetE1EEEvT1_.kd
    .uniform_work_group_size: 1
    .uses_dynamic_stack: false
    .vgpr_count:     0
    .vgpr_spill_count: 0
    .wavefront_size: 64
  - .agpr_count:     0
    .args:
      - .offset:         0
        .size:           40
        .value_kind:     by_value
    .group_segment_fixed_size: 0
    .kernarg_segment_align: 8
    .kernarg_segment_size: 40
    .language:       OpenCL C
    .language_version:
      - 2
      - 0
    .max_flat_workgroup_size: 256
    .name:           _ZN7rocprim17ROCPRIM_400000_NS6detail17trampoline_kernelINS0_14default_configENS1_20scan_config_selectorIxEEZZNS1_9scan_implILNS1_25lookback_scan_determinismE0ELb0ELb1ES3_N6thrust23THRUST_200600_302600_NS6detail15normal_iteratorINS9_10device_ptrIxEEEESE_xNS9_10multipliesIxEExEEDaPvRmT3_T4_T5_mT6_P12ihipStream_tbENKUlT_T0_E_clISt17integral_constantIbLb1EEST_IbLb0EEEEDaSP_SQ_EUlSP_E0_NS1_11comp_targetILNS1_3genE0ELNS1_11target_archE4294967295ELNS1_3gpuE0ELNS1_3repE0EEENS1_30default_config_static_selectorELNS0_4arch9wavefront6targetE1EEEvT1_
    .private_segment_fixed_size: 0
    .sgpr_count:     4
    .sgpr_spill_count: 0
    .symbol:         _ZN7rocprim17ROCPRIM_400000_NS6detail17trampoline_kernelINS0_14default_configENS1_20scan_config_selectorIxEEZZNS1_9scan_implILNS1_25lookback_scan_determinismE0ELb0ELb1ES3_N6thrust23THRUST_200600_302600_NS6detail15normal_iteratorINS9_10device_ptrIxEEEESE_xNS9_10multipliesIxEExEEDaPvRmT3_T4_T5_mT6_P12ihipStream_tbENKUlT_T0_E_clISt17integral_constantIbLb1EEST_IbLb0EEEEDaSP_SQ_EUlSP_E0_NS1_11comp_targetILNS1_3genE0ELNS1_11target_archE4294967295ELNS1_3gpuE0ELNS1_3repE0EEENS1_30default_config_static_selectorELNS0_4arch9wavefront6targetE1EEEvT1_.kd
    .uniform_work_group_size: 1
    .uses_dynamic_stack: false
    .vgpr_count:     0
    .vgpr_spill_count: 0
    .wavefront_size: 64
  - .agpr_count:     0
    .args:
      - .offset:         0
        .size:           40
        .value_kind:     by_value
    .group_segment_fixed_size: 0
    .kernarg_segment_align: 8
    .kernarg_segment_size: 40
    .language:       OpenCL C
    .language_version:
      - 2
      - 0
    .max_flat_workgroup_size: 256
    .name:           _ZN7rocprim17ROCPRIM_400000_NS6detail17trampoline_kernelINS0_14default_configENS1_20scan_config_selectorIxEEZZNS1_9scan_implILNS1_25lookback_scan_determinismE0ELb0ELb1ES3_N6thrust23THRUST_200600_302600_NS6detail15normal_iteratorINS9_10device_ptrIxEEEESE_xNS9_10multipliesIxEExEEDaPvRmT3_T4_T5_mT6_P12ihipStream_tbENKUlT_T0_E_clISt17integral_constantIbLb1EEST_IbLb0EEEEDaSP_SQ_EUlSP_E0_NS1_11comp_targetILNS1_3genE5ELNS1_11target_archE942ELNS1_3gpuE9ELNS1_3repE0EEENS1_30default_config_static_selectorELNS0_4arch9wavefront6targetE1EEEvT1_
    .private_segment_fixed_size: 0
    .sgpr_count:     4
    .sgpr_spill_count: 0
    .symbol:         _ZN7rocprim17ROCPRIM_400000_NS6detail17trampoline_kernelINS0_14default_configENS1_20scan_config_selectorIxEEZZNS1_9scan_implILNS1_25lookback_scan_determinismE0ELb0ELb1ES3_N6thrust23THRUST_200600_302600_NS6detail15normal_iteratorINS9_10device_ptrIxEEEESE_xNS9_10multipliesIxEExEEDaPvRmT3_T4_T5_mT6_P12ihipStream_tbENKUlT_T0_E_clISt17integral_constantIbLb1EEST_IbLb0EEEEDaSP_SQ_EUlSP_E0_NS1_11comp_targetILNS1_3genE5ELNS1_11target_archE942ELNS1_3gpuE9ELNS1_3repE0EEENS1_30default_config_static_selectorELNS0_4arch9wavefront6targetE1EEEvT1_.kd
    .uniform_work_group_size: 1
    .uses_dynamic_stack: false
    .vgpr_count:     0
    .vgpr_spill_count: 0
    .wavefront_size: 64
  - .agpr_count:     0
    .args:
      - .offset:         0
        .size:           40
        .value_kind:     by_value
    .group_segment_fixed_size: 7168
    .kernarg_segment_align: 8
    .kernarg_segment_size: 40
    .language:       OpenCL C
    .language_version:
      - 2
      - 0
    .max_flat_workgroup_size: 128
    .name:           _ZN7rocprim17ROCPRIM_400000_NS6detail17trampoline_kernelINS0_14default_configENS1_20scan_config_selectorIxEEZZNS1_9scan_implILNS1_25lookback_scan_determinismE0ELb0ELb1ES3_N6thrust23THRUST_200600_302600_NS6detail15normal_iteratorINS9_10device_ptrIxEEEESE_xNS9_10multipliesIxEExEEDaPvRmT3_T4_T5_mT6_P12ihipStream_tbENKUlT_T0_E_clISt17integral_constantIbLb1EEST_IbLb0EEEEDaSP_SQ_EUlSP_E0_NS1_11comp_targetILNS1_3genE4ELNS1_11target_archE910ELNS1_3gpuE8ELNS1_3repE0EEENS1_30default_config_static_selectorELNS0_4arch9wavefront6targetE1EEEvT1_
    .private_segment_fixed_size: 0
    .sgpr_count:     26
    .sgpr_spill_count: 0
    .symbol:         _ZN7rocprim17ROCPRIM_400000_NS6detail17trampoline_kernelINS0_14default_configENS1_20scan_config_selectorIxEEZZNS1_9scan_implILNS1_25lookback_scan_determinismE0ELb0ELb1ES3_N6thrust23THRUST_200600_302600_NS6detail15normal_iteratorINS9_10device_ptrIxEEEESE_xNS9_10multipliesIxEExEEDaPvRmT3_T4_T5_mT6_P12ihipStream_tbENKUlT_T0_E_clISt17integral_constantIbLb1EEST_IbLb0EEEEDaSP_SQ_EUlSP_E0_NS1_11comp_targetILNS1_3genE4ELNS1_11target_archE910ELNS1_3gpuE8ELNS1_3repE0EEENS1_30default_config_static_selectorELNS0_4arch9wavefront6targetE1EEEvT1_.kd
    .uniform_work_group_size: 1
    .uses_dynamic_stack: false
    .vgpr_count:     36
    .vgpr_spill_count: 0
    .wavefront_size: 64
  - .agpr_count:     0
    .args:
      - .offset:         0
        .size:           40
        .value_kind:     by_value
    .group_segment_fixed_size: 0
    .kernarg_segment_align: 8
    .kernarg_segment_size: 40
    .language:       OpenCL C
    .language_version:
      - 2
      - 0
    .max_flat_workgroup_size: 256
    .name:           _ZN7rocprim17ROCPRIM_400000_NS6detail17trampoline_kernelINS0_14default_configENS1_20scan_config_selectorIxEEZZNS1_9scan_implILNS1_25lookback_scan_determinismE0ELb0ELb1ES3_N6thrust23THRUST_200600_302600_NS6detail15normal_iteratorINS9_10device_ptrIxEEEESE_xNS9_10multipliesIxEExEEDaPvRmT3_T4_T5_mT6_P12ihipStream_tbENKUlT_T0_E_clISt17integral_constantIbLb1EEST_IbLb0EEEEDaSP_SQ_EUlSP_E0_NS1_11comp_targetILNS1_3genE3ELNS1_11target_archE908ELNS1_3gpuE7ELNS1_3repE0EEENS1_30default_config_static_selectorELNS0_4arch9wavefront6targetE1EEEvT1_
    .private_segment_fixed_size: 0
    .sgpr_count:     4
    .sgpr_spill_count: 0
    .symbol:         _ZN7rocprim17ROCPRIM_400000_NS6detail17trampoline_kernelINS0_14default_configENS1_20scan_config_selectorIxEEZZNS1_9scan_implILNS1_25lookback_scan_determinismE0ELb0ELb1ES3_N6thrust23THRUST_200600_302600_NS6detail15normal_iteratorINS9_10device_ptrIxEEEESE_xNS9_10multipliesIxEExEEDaPvRmT3_T4_T5_mT6_P12ihipStream_tbENKUlT_T0_E_clISt17integral_constantIbLb1EEST_IbLb0EEEEDaSP_SQ_EUlSP_E0_NS1_11comp_targetILNS1_3genE3ELNS1_11target_archE908ELNS1_3gpuE7ELNS1_3repE0EEENS1_30default_config_static_selectorELNS0_4arch9wavefront6targetE1EEEvT1_.kd
    .uniform_work_group_size: 1
    .uses_dynamic_stack: false
    .vgpr_count:     0
    .vgpr_spill_count: 0
    .wavefront_size: 64
  - .agpr_count:     0
    .args:
      - .offset:         0
        .size:           40
        .value_kind:     by_value
    .group_segment_fixed_size: 0
    .kernarg_segment_align: 8
    .kernarg_segment_size: 40
    .language:       OpenCL C
    .language_version:
      - 2
      - 0
    .max_flat_workgroup_size: 64
    .name:           _ZN7rocprim17ROCPRIM_400000_NS6detail17trampoline_kernelINS0_14default_configENS1_20scan_config_selectorIxEEZZNS1_9scan_implILNS1_25lookback_scan_determinismE0ELb0ELb1ES3_N6thrust23THRUST_200600_302600_NS6detail15normal_iteratorINS9_10device_ptrIxEEEESE_xNS9_10multipliesIxEExEEDaPvRmT3_T4_T5_mT6_P12ihipStream_tbENKUlT_T0_E_clISt17integral_constantIbLb1EEST_IbLb0EEEEDaSP_SQ_EUlSP_E0_NS1_11comp_targetILNS1_3genE2ELNS1_11target_archE906ELNS1_3gpuE6ELNS1_3repE0EEENS1_30default_config_static_selectorELNS0_4arch9wavefront6targetE1EEEvT1_
    .private_segment_fixed_size: 0
    .sgpr_count:     4
    .sgpr_spill_count: 0
    .symbol:         _ZN7rocprim17ROCPRIM_400000_NS6detail17trampoline_kernelINS0_14default_configENS1_20scan_config_selectorIxEEZZNS1_9scan_implILNS1_25lookback_scan_determinismE0ELb0ELb1ES3_N6thrust23THRUST_200600_302600_NS6detail15normal_iteratorINS9_10device_ptrIxEEEESE_xNS9_10multipliesIxEExEEDaPvRmT3_T4_T5_mT6_P12ihipStream_tbENKUlT_T0_E_clISt17integral_constantIbLb1EEST_IbLb0EEEEDaSP_SQ_EUlSP_E0_NS1_11comp_targetILNS1_3genE2ELNS1_11target_archE906ELNS1_3gpuE6ELNS1_3repE0EEENS1_30default_config_static_selectorELNS0_4arch9wavefront6targetE1EEEvT1_.kd
    .uniform_work_group_size: 1
    .uses_dynamic_stack: false
    .vgpr_count:     0
    .vgpr_spill_count: 0
    .wavefront_size: 64
  - .agpr_count:     0
    .args:
      - .offset:         0
        .size:           40
        .value_kind:     by_value
    .group_segment_fixed_size: 0
    .kernarg_segment_align: 8
    .kernarg_segment_size: 40
    .language:       OpenCL C
    .language_version:
      - 2
      - 0
    .max_flat_workgroup_size: 256
    .name:           _ZN7rocprim17ROCPRIM_400000_NS6detail17trampoline_kernelINS0_14default_configENS1_20scan_config_selectorIxEEZZNS1_9scan_implILNS1_25lookback_scan_determinismE0ELb0ELb1ES3_N6thrust23THRUST_200600_302600_NS6detail15normal_iteratorINS9_10device_ptrIxEEEESE_xNS9_10multipliesIxEExEEDaPvRmT3_T4_T5_mT6_P12ihipStream_tbENKUlT_T0_E_clISt17integral_constantIbLb1EEST_IbLb0EEEEDaSP_SQ_EUlSP_E0_NS1_11comp_targetILNS1_3genE10ELNS1_11target_archE1201ELNS1_3gpuE5ELNS1_3repE0EEENS1_30default_config_static_selectorELNS0_4arch9wavefront6targetE1EEEvT1_
    .private_segment_fixed_size: 0
    .sgpr_count:     4
    .sgpr_spill_count: 0
    .symbol:         _ZN7rocprim17ROCPRIM_400000_NS6detail17trampoline_kernelINS0_14default_configENS1_20scan_config_selectorIxEEZZNS1_9scan_implILNS1_25lookback_scan_determinismE0ELb0ELb1ES3_N6thrust23THRUST_200600_302600_NS6detail15normal_iteratorINS9_10device_ptrIxEEEESE_xNS9_10multipliesIxEExEEDaPvRmT3_T4_T5_mT6_P12ihipStream_tbENKUlT_T0_E_clISt17integral_constantIbLb1EEST_IbLb0EEEEDaSP_SQ_EUlSP_E0_NS1_11comp_targetILNS1_3genE10ELNS1_11target_archE1201ELNS1_3gpuE5ELNS1_3repE0EEENS1_30default_config_static_selectorELNS0_4arch9wavefront6targetE1EEEvT1_.kd
    .uniform_work_group_size: 1
    .uses_dynamic_stack: false
    .vgpr_count:     0
    .vgpr_spill_count: 0
    .wavefront_size: 64
  - .agpr_count:     0
    .args:
      - .offset:         0
        .size:           40
        .value_kind:     by_value
    .group_segment_fixed_size: 0
    .kernarg_segment_align: 8
    .kernarg_segment_size: 40
    .language:       OpenCL C
    .language_version:
      - 2
      - 0
    .max_flat_workgroup_size: 256
    .name:           _ZN7rocprim17ROCPRIM_400000_NS6detail17trampoline_kernelINS0_14default_configENS1_20scan_config_selectorIxEEZZNS1_9scan_implILNS1_25lookback_scan_determinismE0ELb0ELb1ES3_N6thrust23THRUST_200600_302600_NS6detail15normal_iteratorINS9_10device_ptrIxEEEESE_xNS9_10multipliesIxEExEEDaPvRmT3_T4_T5_mT6_P12ihipStream_tbENKUlT_T0_E_clISt17integral_constantIbLb1EEST_IbLb0EEEEDaSP_SQ_EUlSP_E0_NS1_11comp_targetILNS1_3genE10ELNS1_11target_archE1200ELNS1_3gpuE4ELNS1_3repE0EEENS1_30default_config_static_selectorELNS0_4arch9wavefront6targetE1EEEvT1_
    .private_segment_fixed_size: 0
    .sgpr_count:     4
    .sgpr_spill_count: 0
    .symbol:         _ZN7rocprim17ROCPRIM_400000_NS6detail17trampoline_kernelINS0_14default_configENS1_20scan_config_selectorIxEEZZNS1_9scan_implILNS1_25lookback_scan_determinismE0ELb0ELb1ES3_N6thrust23THRUST_200600_302600_NS6detail15normal_iteratorINS9_10device_ptrIxEEEESE_xNS9_10multipliesIxEExEEDaPvRmT3_T4_T5_mT6_P12ihipStream_tbENKUlT_T0_E_clISt17integral_constantIbLb1EEST_IbLb0EEEEDaSP_SQ_EUlSP_E0_NS1_11comp_targetILNS1_3genE10ELNS1_11target_archE1200ELNS1_3gpuE4ELNS1_3repE0EEENS1_30default_config_static_selectorELNS0_4arch9wavefront6targetE1EEEvT1_.kd
    .uniform_work_group_size: 1
    .uses_dynamic_stack: false
    .vgpr_count:     0
    .vgpr_spill_count: 0
    .wavefront_size: 64
  - .agpr_count:     0
    .args:
      - .offset:         0
        .size:           40
        .value_kind:     by_value
    .group_segment_fixed_size: 0
    .kernarg_segment_align: 8
    .kernarg_segment_size: 40
    .language:       OpenCL C
    .language_version:
      - 2
      - 0
    .max_flat_workgroup_size: 256
    .name:           _ZN7rocprim17ROCPRIM_400000_NS6detail17trampoline_kernelINS0_14default_configENS1_20scan_config_selectorIxEEZZNS1_9scan_implILNS1_25lookback_scan_determinismE0ELb0ELb1ES3_N6thrust23THRUST_200600_302600_NS6detail15normal_iteratorINS9_10device_ptrIxEEEESE_xNS9_10multipliesIxEExEEDaPvRmT3_T4_T5_mT6_P12ihipStream_tbENKUlT_T0_E_clISt17integral_constantIbLb1EEST_IbLb0EEEEDaSP_SQ_EUlSP_E0_NS1_11comp_targetILNS1_3genE9ELNS1_11target_archE1100ELNS1_3gpuE3ELNS1_3repE0EEENS1_30default_config_static_selectorELNS0_4arch9wavefront6targetE1EEEvT1_
    .private_segment_fixed_size: 0
    .sgpr_count:     4
    .sgpr_spill_count: 0
    .symbol:         _ZN7rocprim17ROCPRIM_400000_NS6detail17trampoline_kernelINS0_14default_configENS1_20scan_config_selectorIxEEZZNS1_9scan_implILNS1_25lookback_scan_determinismE0ELb0ELb1ES3_N6thrust23THRUST_200600_302600_NS6detail15normal_iteratorINS9_10device_ptrIxEEEESE_xNS9_10multipliesIxEExEEDaPvRmT3_T4_T5_mT6_P12ihipStream_tbENKUlT_T0_E_clISt17integral_constantIbLb1EEST_IbLb0EEEEDaSP_SQ_EUlSP_E0_NS1_11comp_targetILNS1_3genE9ELNS1_11target_archE1100ELNS1_3gpuE3ELNS1_3repE0EEENS1_30default_config_static_selectorELNS0_4arch9wavefront6targetE1EEEvT1_.kd
    .uniform_work_group_size: 1
    .uses_dynamic_stack: false
    .vgpr_count:     0
    .vgpr_spill_count: 0
    .wavefront_size: 64
  - .agpr_count:     0
    .args:
      - .offset:         0
        .size:           40
        .value_kind:     by_value
    .group_segment_fixed_size: 0
    .kernarg_segment_align: 8
    .kernarg_segment_size: 40
    .language:       OpenCL C
    .language_version:
      - 2
      - 0
    .max_flat_workgroup_size: 256
    .name:           _ZN7rocprim17ROCPRIM_400000_NS6detail17trampoline_kernelINS0_14default_configENS1_20scan_config_selectorIxEEZZNS1_9scan_implILNS1_25lookback_scan_determinismE0ELb0ELb1ES3_N6thrust23THRUST_200600_302600_NS6detail15normal_iteratorINS9_10device_ptrIxEEEESE_xNS9_10multipliesIxEExEEDaPvRmT3_T4_T5_mT6_P12ihipStream_tbENKUlT_T0_E_clISt17integral_constantIbLb1EEST_IbLb0EEEEDaSP_SQ_EUlSP_E0_NS1_11comp_targetILNS1_3genE8ELNS1_11target_archE1030ELNS1_3gpuE2ELNS1_3repE0EEENS1_30default_config_static_selectorELNS0_4arch9wavefront6targetE1EEEvT1_
    .private_segment_fixed_size: 0
    .sgpr_count:     4
    .sgpr_spill_count: 0
    .symbol:         _ZN7rocprim17ROCPRIM_400000_NS6detail17trampoline_kernelINS0_14default_configENS1_20scan_config_selectorIxEEZZNS1_9scan_implILNS1_25lookback_scan_determinismE0ELb0ELb1ES3_N6thrust23THRUST_200600_302600_NS6detail15normal_iteratorINS9_10device_ptrIxEEEESE_xNS9_10multipliesIxEExEEDaPvRmT3_T4_T5_mT6_P12ihipStream_tbENKUlT_T0_E_clISt17integral_constantIbLb1EEST_IbLb0EEEEDaSP_SQ_EUlSP_E0_NS1_11comp_targetILNS1_3genE8ELNS1_11target_archE1030ELNS1_3gpuE2ELNS1_3repE0EEENS1_30default_config_static_selectorELNS0_4arch9wavefront6targetE1EEEvT1_.kd
    .uniform_work_group_size: 1
    .uses_dynamic_stack: false
    .vgpr_count:     0
    .vgpr_spill_count: 0
    .wavefront_size: 64
  - .agpr_count:     0
    .args:
      - .offset:         0
        .size:           104
        .value_kind:     by_value
    .group_segment_fixed_size: 0
    .kernarg_segment_align: 8
    .kernarg_segment_size: 104
    .language:       OpenCL C
    .language_version:
      - 2
      - 0
    .max_flat_workgroup_size: 256
    .name:           _ZN7rocprim17ROCPRIM_400000_NS6detail17trampoline_kernelINS0_14default_configENS1_20scan_config_selectorIxEEZZNS1_9scan_implILNS1_25lookback_scan_determinismE0ELb0ELb1ES3_N6thrust23THRUST_200600_302600_NS6detail15normal_iteratorINS9_10device_ptrIxEEEESE_xNS9_10multipliesIxEExEEDaPvRmT3_T4_T5_mT6_P12ihipStream_tbENKUlT_T0_E_clISt17integral_constantIbLb0EEST_IbLb1EEEEDaSP_SQ_EUlSP_E_NS1_11comp_targetILNS1_3genE0ELNS1_11target_archE4294967295ELNS1_3gpuE0ELNS1_3repE0EEENS1_30default_config_static_selectorELNS0_4arch9wavefront6targetE1EEEvT1_
    .private_segment_fixed_size: 0
    .sgpr_count:     4
    .sgpr_spill_count: 0
    .symbol:         _ZN7rocprim17ROCPRIM_400000_NS6detail17trampoline_kernelINS0_14default_configENS1_20scan_config_selectorIxEEZZNS1_9scan_implILNS1_25lookback_scan_determinismE0ELb0ELb1ES3_N6thrust23THRUST_200600_302600_NS6detail15normal_iteratorINS9_10device_ptrIxEEEESE_xNS9_10multipliesIxEExEEDaPvRmT3_T4_T5_mT6_P12ihipStream_tbENKUlT_T0_E_clISt17integral_constantIbLb0EEST_IbLb1EEEEDaSP_SQ_EUlSP_E_NS1_11comp_targetILNS1_3genE0ELNS1_11target_archE4294967295ELNS1_3gpuE0ELNS1_3repE0EEENS1_30default_config_static_selectorELNS0_4arch9wavefront6targetE1EEEvT1_.kd
    .uniform_work_group_size: 1
    .uses_dynamic_stack: false
    .vgpr_count:     0
    .vgpr_spill_count: 0
    .wavefront_size: 64
  - .agpr_count:     0
    .args:
      - .offset:         0
        .size:           104
        .value_kind:     by_value
    .group_segment_fixed_size: 0
    .kernarg_segment_align: 8
    .kernarg_segment_size: 104
    .language:       OpenCL C
    .language_version:
      - 2
      - 0
    .max_flat_workgroup_size: 256
    .name:           _ZN7rocprim17ROCPRIM_400000_NS6detail17trampoline_kernelINS0_14default_configENS1_20scan_config_selectorIxEEZZNS1_9scan_implILNS1_25lookback_scan_determinismE0ELb0ELb1ES3_N6thrust23THRUST_200600_302600_NS6detail15normal_iteratorINS9_10device_ptrIxEEEESE_xNS9_10multipliesIxEExEEDaPvRmT3_T4_T5_mT6_P12ihipStream_tbENKUlT_T0_E_clISt17integral_constantIbLb0EEST_IbLb1EEEEDaSP_SQ_EUlSP_E_NS1_11comp_targetILNS1_3genE5ELNS1_11target_archE942ELNS1_3gpuE9ELNS1_3repE0EEENS1_30default_config_static_selectorELNS0_4arch9wavefront6targetE1EEEvT1_
    .private_segment_fixed_size: 0
    .sgpr_count:     4
    .sgpr_spill_count: 0
    .symbol:         _ZN7rocprim17ROCPRIM_400000_NS6detail17trampoline_kernelINS0_14default_configENS1_20scan_config_selectorIxEEZZNS1_9scan_implILNS1_25lookback_scan_determinismE0ELb0ELb1ES3_N6thrust23THRUST_200600_302600_NS6detail15normal_iteratorINS9_10device_ptrIxEEEESE_xNS9_10multipliesIxEExEEDaPvRmT3_T4_T5_mT6_P12ihipStream_tbENKUlT_T0_E_clISt17integral_constantIbLb0EEST_IbLb1EEEEDaSP_SQ_EUlSP_E_NS1_11comp_targetILNS1_3genE5ELNS1_11target_archE942ELNS1_3gpuE9ELNS1_3repE0EEENS1_30default_config_static_selectorELNS0_4arch9wavefront6targetE1EEEvT1_.kd
    .uniform_work_group_size: 1
    .uses_dynamic_stack: false
    .vgpr_count:     0
    .vgpr_spill_count: 0
    .wavefront_size: 64
  - .agpr_count:     0
    .args:
      - .offset:         0
        .size:           104
        .value_kind:     by_value
    .group_segment_fixed_size: 7168
    .kernarg_segment_align: 8
    .kernarg_segment_size: 104
    .language:       OpenCL C
    .language_version:
      - 2
      - 0
    .max_flat_workgroup_size: 128
    .name:           _ZN7rocprim17ROCPRIM_400000_NS6detail17trampoline_kernelINS0_14default_configENS1_20scan_config_selectorIxEEZZNS1_9scan_implILNS1_25lookback_scan_determinismE0ELb0ELb1ES3_N6thrust23THRUST_200600_302600_NS6detail15normal_iteratorINS9_10device_ptrIxEEEESE_xNS9_10multipliesIxEExEEDaPvRmT3_T4_T5_mT6_P12ihipStream_tbENKUlT_T0_E_clISt17integral_constantIbLb0EEST_IbLb1EEEEDaSP_SQ_EUlSP_E_NS1_11comp_targetILNS1_3genE4ELNS1_11target_archE910ELNS1_3gpuE8ELNS1_3repE0EEENS1_30default_config_static_selectorELNS0_4arch9wavefront6targetE1EEEvT1_
    .private_segment_fixed_size: 0
    .sgpr_count:     42
    .sgpr_spill_count: 0
    .symbol:         _ZN7rocprim17ROCPRIM_400000_NS6detail17trampoline_kernelINS0_14default_configENS1_20scan_config_selectorIxEEZZNS1_9scan_implILNS1_25lookback_scan_determinismE0ELb0ELb1ES3_N6thrust23THRUST_200600_302600_NS6detail15normal_iteratorINS9_10device_ptrIxEEEESE_xNS9_10multipliesIxEExEEDaPvRmT3_T4_T5_mT6_P12ihipStream_tbENKUlT_T0_E_clISt17integral_constantIbLb0EEST_IbLb1EEEEDaSP_SQ_EUlSP_E_NS1_11comp_targetILNS1_3genE4ELNS1_11target_archE910ELNS1_3gpuE8ELNS1_3repE0EEENS1_30default_config_static_selectorELNS0_4arch9wavefront6targetE1EEEvT1_.kd
    .uniform_work_group_size: 1
    .uses_dynamic_stack: false
    .vgpr_count:     50
    .vgpr_spill_count: 0
    .wavefront_size: 64
  - .agpr_count:     0
    .args:
      - .offset:         0
        .size:           104
        .value_kind:     by_value
    .group_segment_fixed_size: 0
    .kernarg_segment_align: 8
    .kernarg_segment_size: 104
    .language:       OpenCL C
    .language_version:
      - 2
      - 0
    .max_flat_workgroup_size: 256
    .name:           _ZN7rocprim17ROCPRIM_400000_NS6detail17trampoline_kernelINS0_14default_configENS1_20scan_config_selectorIxEEZZNS1_9scan_implILNS1_25lookback_scan_determinismE0ELb0ELb1ES3_N6thrust23THRUST_200600_302600_NS6detail15normal_iteratorINS9_10device_ptrIxEEEESE_xNS9_10multipliesIxEExEEDaPvRmT3_T4_T5_mT6_P12ihipStream_tbENKUlT_T0_E_clISt17integral_constantIbLb0EEST_IbLb1EEEEDaSP_SQ_EUlSP_E_NS1_11comp_targetILNS1_3genE3ELNS1_11target_archE908ELNS1_3gpuE7ELNS1_3repE0EEENS1_30default_config_static_selectorELNS0_4arch9wavefront6targetE1EEEvT1_
    .private_segment_fixed_size: 0
    .sgpr_count:     4
    .sgpr_spill_count: 0
    .symbol:         _ZN7rocprim17ROCPRIM_400000_NS6detail17trampoline_kernelINS0_14default_configENS1_20scan_config_selectorIxEEZZNS1_9scan_implILNS1_25lookback_scan_determinismE0ELb0ELb1ES3_N6thrust23THRUST_200600_302600_NS6detail15normal_iteratorINS9_10device_ptrIxEEEESE_xNS9_10multipliesIxEExEEDaPvRmT3_T4_T5_mT6_P12ihipStream_tbENKUlT_T0_E_clISt17integral_constantIbLb0EEST_IbLb1EEEEDaSP_SQ_EUlSP_E_NS1_11comp_targetILNS1_3genE3ELNS1_11target_archE908ELNS1_3gpuE7ELNS1_3repE0EEENS1_30default_config_static_selectorELNS0_4arch9wavefront6targetE1EEEvT1_.kd
    .uniform_work_group_size: 1
    .uses_dynamic_stack: false
    .vgpr_count:     0
    .vgpr_spill_count: 0
    .wavefront_size: 64
  - .agpr_count:     0
    .args:
      - .offset:         0
        .size:           104
        .value_kind:     by_value
    .group_segment_fixed_size: 0
    .kernarg_segment_align: 8
    .kernarg_segment_size: 104
    .language:       OpenCL C
    .language_version:
      - 2
      - 0
    .max_flat_workgroup_size: 64
    .name:           _ZN7rocprim17ROCPRIM_400000_NS6detail17trampoline_kernelINS0_14default_configENS1_20scan_config_selectorIxEEZZNS1_9scan_implILNS1_25lookback_scan_determinismE0ELb0ELb1ES3_N6thrust23THRUST_200600_302600_NS6detail15normal_iteratorINS9_10device_ptrIxEEEESE_xNS9_10multipliesIxEExEEDaPvRmT3_T4_T5_mT6_P12ihipStream_tbENKUlT_T0_E_clISt17integral_constantIbLb0EEST_IbLb1EEEEDaSP_SQ_EUlSP_E_NS1_11comp_targetILNS1_3genE2ELNS1_11target_archE906ELNS1_3gpuE6ELNS1_3repE0EEENS1_30default_config_static_selectorELNS0_4arch9wavefront6targetE1EEEvT1_
    .private_segment_fixed_size: 0
    .sgpr_count:     4
    .sgpr_spill_count: 0
    .symbol:         _ZN7rocprim17ROCPRIM_400000_NS6detail17trampoline_kernelINS0_14default_configENS1_20scan_config_selectorIxEEZZNS1_9scan_implILNS1_25lookback_scan_determinismE0ELb0ELb1ES3_N6thrust23THRUST_200600_302600_NS6detail15normal_iteratorINS9_10device_ptrIxEEEESE_xNS9_10multipliesIxEExEEDaPvRmT3_T4_T5_mT6_P12ihipStream_tbENKUlT_T0_E_clISt17integral_constantIbLb0EEST_IbLb1EEEEDaSP_SQ_EUlSP_E_NS1_11comp_targetILNS1_3genE2ELNS1_11target_archE906ELNS1_3gpuE6ELNS1_3repE0EEENS1_30default_config_static_selectorELNS0_4arch9wavefront6targetE1EEEvT1_.kd
    .uniform_work_group_size: 1
    .uses_dynamic_stack: false
    .vgpr_count:     0
    .vgpr_spill_count: 0
    .wavefront_size: 64
  - .agpr_count:     0
    .args:
      - .offset:         0
        .size:           104
        .value_kind:     by_value
    .group_segment_fixed_size: 0
    .kernarg_segment_align: 8
    .kernarg_segment_size: 104
    .language:       OpenCL C
    .language_version:
      - 2
      - 0
    .max_flat_workgroup_size: 256
    .name:           _ZN7rocprim17ROCPRIM_400000_NS6detail17trampoline_kernelINS0_14default_configENS1_20scan_config_selectorIxEEZZNS1_9scan_implILNS1_25lookback_scan_determinismE0ELb0ELb1ES3_N6thrust23THRUST_200600_302600_NS6detail15normal_iteratorINS9_10device_ptrIxEEEESE_xNS9_10multipliesIxEExEEDaPvRmT3_T4_T5_mT6_P12ihipStream_tbENKUlT_T0_E_clISt17integral_constantIbLb0EEST_IbLb1EEEEDaSP_SQ_EUlSP_E_NS1_11comp_targetILNS1_3genE10ELNS1_11target_archE1201ELNS1_3gpuE5ELNS1_3repE0EEENS1_30default_config_static_selectorELNS0_4arch9wavefront6targetE1EEEvT1_
    .private_segment_fixed_size: 0
    .sgpr_count:     4
    .sgpr_spill_count: 0
    .symbol:         _ZN7rocprim17ROCPRIM_400000_NS6detail17trampoline_kernelINS0_14default_configENS1_20scan_config_selectorIxEEZZNS1_9scan_implILNS1_25lookback_scan_determinismE0ELb0ELb1ES3_N6thrust23THRUST_200600_302600_NS6detail15normal_iteratorINS9_10device_ptrIxEEEESE_xNS9_10multipliesIxEExEEDaPvRmT3_T4_T5_mT6_P12ihipStream_tbENKUlT_T0_E_clISt17integral_constantIbLb0EEST_IbLb1EEEEDaSP_SQ_EUlSP_E_NS1_11comp_targetILNS1_3genE10ELNS1_11target_archE1201ELNS1_3gpuE5ELNS1_3repE0EEENS1_30default_config_static_selectorELNS0_4arch9wavefront6targetE1EEEvT1_.kd
    .uniform_work_group_size: 1
    .uses_dynamic_stack: false
    .vgpr_count:     0
    .vgpr_spill_count: 0
    .wavefront_size: 64
  - .agpr_count:     0
    .args:
      - .offset:         0
        .size:           104
        .value_kind:     by_value
    .group_segment_fixed_size: 0
    .kernarg_segment_align: 8
    .kernarg_segment_size: 104
    .language:       OpenCL C
    .language_version:
      - 2
      - 0
    .max_flat_workgroup_size: 256
    .name:           _ZN7rocprim17ROCPRIM_400000_NS6detail17trampoline_kernelINS0_14default_configENS1_20scan_config_selectorIxEEZZNS1_9scan_implILNS1_25lookback_scan_determinismE0ELb0ELb1ES3_N6thrust23THRUST_200600_302600_NS6detail15normal_iteratorINS9_10device_ptrIxEEEESE_xNS9_10multipliesIxEExEEDaPvRmT3_T4_T5_mT6_P12ihipStream_tbENKUlT_T0_E_clISt17integral_constantIbLb0EEST_IbLb1EEEEDaSP_SQ_EUlSP_E_NS1_11comp_targetILNS1_3genE10ELNS1_11target_archE1200ELNS1_3gpuE4ELNS1_3repE0EEENS1_30default_config_static_selectorELNS0_4arch9wavefront6targetE1EEEvT1_
    .private_segment_fixed_size: 0
    .sgpr_count:     4
    .sgpr_spill_count: 0
    .symbol:         _ZN7rocprim17ROCPRIM_400000_NS6detail17trampoline_kernelINS0_14default_configENS1_20scan_config_selectorIxEEZZNS1_9scan_implILNS1_25lookback_scan_determinismE0ELb0ELb1ES3_N6thrust23THRUST_200600_302600_NS6detail15normal_iteratorINS9_10device_ptrIxEEEESE_xNS9_10multipliesIxEExEEDaPvRmT3_T4_T5_mT6_P12ihipStream_tbENKUlT_T0_E_clISt17integral_constantIbLb0EEST_IbLb1EEEEDaSP_SQ_EUlSP_E_NS1_11comp_targetILNS1_3genE10ELNS1_11target_archE1200ELNS1_3gpuE4ELNS1_3repE0EEENS1_30default_config_static_selectorELNS0_4arch9wavefront6targetE1EEEvT1_.kd
    .uniform_work_group_size: 1
    .uses_dynamic_stack: false
    .vgpr_count:     0
    .vgpr_spill_count: 0
    .wavefront_size: 64
  - .agpr_count:     0
    .args:
      - .offset:         0
        .size:           104
        .value_kind:     by_value
    .group_segment_fixed_size: 0
    .kernarg_segment_align: 8
    .kernarg_segment_size: 104
    .language:       OpenCL C
    .language_version:
      - 2
      - 0
    .max_flat_workgroup_size: 256
    .name:           _ZN7rocprim17ROCPRIM_400000_NS6detail17trampoline_kernelINS0_14default_configENS1_20scan_config_selectorIxEEZZNS1_9scan_implILNS1_25lookback_scan_determinismE0ELb0ELb1ES3_N6thrust23THRUST_200600_302600_NS6detail15normal_iteratorINS9_10device_ptrIxEEEESE_xNS9_10multipliesIxEExEEDaPvRmT3_T4_T5_mT6_P12ihipStream_tbENKUlT_T0_E_clISt17integral_constantIbLb0EEST_IbLb1EEEEDaSP_SQ_EUlSP_E_NS1_11comp_targetILNS1_3genE9ELNS1_11target_archE1100ELNS1_3gpuE3ELNS1_3repE0EEENS1_30default_config_static_selectorELNS0_4arch9wavefront6targetE1EEEvT1_
    .private_segment_fixed_size: 0
    .sgpr_count:     4
    .sgpr_spill_count: 0
    .symbol:         _ZN7rocprim17ROCPRIM_400000_NS6detail17trampoline_kernelINS0_14default_configENS1_20scan_config_selectorIxEEZZNS1_9scan_implILNS1_25lookback_scan_determinismE0ELb0ELb1ES3_N6thrust23THRUST_200600_302600_NS6detail15normal_iteratorINS9_10device_ptrIxEEEESE_xNS9_10multipliesIxEExEEDaPvRmT3_T4_T5_mT6_P12ihipStream_tbENKUlT_T0_E_clISt17integral_constantIbLb0EEST_IbLb1EEEEDaSP_SQ_EUlSP_E_NS1_11comp_targetILNS1_3genE9ELNS1_11target_archE1100ELNS1_3gpuE3ELNS1_3repE0EEENS1_30default_config_static_selectorELNS0_4arch9wavefront6targetE1EEEvT1_.kd
    .uniform_work_group_size: 1
    .uses_dynamic_stack: false
    .vgpr_count:     0
    .vgpr_spill_count: 0
    .wavefront_size: 64
  - .agpr_count:     0
    .args:
      - .offset:         0
        .size:           104
        .value_kind:     by_value
    .group_segment_fixed_size: 0
    .kernarg_segment_align: 8
    .kernarg_segment_size: 104
    .language:       OpenCL C
    .language_version:
      - 2
      - 0
    .max_flat_workgroup_size: 256
    .name:           _ZN7rocprim17ROCPRIM_400000_NS6detail17trampoline_kernelINS0_14default_configENS1_20scan_config_selectorIxEEZZNS1_9scan_implILNS1_25lookback_scan_determinismE0ELb0ELb1ES3_N6thrust23THRUST_200600_302600_NS6detail15normal_iteratorINS9_10device_ptrIxEEEESE_xNS9_10multipliesIxEExEEDaPvRmT3_T4_T5_mT6_P12ihipStream_tbENKUlT_T0_E_clISt17integral_constantIbLb0EEST_IbLb1EEEEDaSP_SQ_EUlSP_E_NS1_11comp_targetILNS1_3genE8ELNS1_11target_archE1030ELNS1_3gpuE2ELNS1_3repE0EEENS1_30default_config_static_selectorELNS0_4arch9wavefront6targetE1EEEvT1_
    .private_segment_fixed_size: 0
    .sgpr_count:     4
    .sgpr_spill_count: 0
    .symbol:         _ZN7rocprim17ROCPRIM_400000_NS6detail17trampoline_kernelINS0_14default_configENS1_20scan_config_selectorIxEEZZNS1_9scan_implILNS1_25lookback_scan_determinismE0ELb0ELb1ES3_N6thrust23THRUST_200600_302600_NS6detail15normal_iteratorINS9_10device_ptrIxEEEESE_xNS9_10multipliesIxEExEEDaPvRmT3_T4_T5_mT6_P12ihipStream_tbENKUlT_T0_E_clISt17integral_constantIbLb0EEST_IbLb1EEEEDaSP_SQ_EUlSP_E_NS1_11comp_targetILNS1_3genE8ELNS1_11target_archE1030ELNS1_3gpuE2ELNS1_3repE0EEENS1_30default_config_static_selectorELNS0_4arch9wavefront6targetE1EEEvT1_.kd
    .uniform_work_group_size: 1
    .uses_dynamic_stack: false
    .vgpr_count:     0
    .vgpr_spill_count: 0
    .wavefront_size: 64
  - .agpr_count:     0
    .args:
      - .offset:         0
        .size:           40
        .value_kind:     by_value
    .group_segment_fixed_size: 0
    .kernarg_segment_align: 8
    .kernarg_segment_size: 40
    .language:       OpenCL C
    .language_version:
      - 2
      - 0
    .max_flat_workgroup_size: 256
    .name:           _ZN7rocprim17ROCPRIM_400000_NS6detail17trampoline_kernelINS0_14default_configENS1_20scan_config_selectorIxEEZZNS1_9scan_implILNS1_25lookback_scan_determinismE0ELb0ELb1ES3_N6thrust23THRUST_200600_302600_NS6detail15normal_iteratorINS9_10device_ptrIxEEEESE_xNS9_10multipliesIxEExEEDaPvRmT3_T4_T5_mT6_P12ihipStream_tbENKUlT_T0_E_clISt17integral_constantIbLb0EEST_IbLb1EEEEDaSP_SQ_EUlSP_E0_NS1_11comp_targetILNS1_3genE0ELNS1_11target_archE4294967295ELNS1_3gpuE0ELNS1_3repE0EEENS1_30default_config_static_selectorELNS0_4arch9wavefront6targetE1EEEvT1_
    .private_segment_fixed_size: 0
    .sgpr_count:     4
    .sgpr_spill_count: 0
    .symbol:         _ZN7rocprim17ROCPRIM_400000_NS6detail17trampoline_kernelINS0_14default_configENS1_20scan_config_selectorIxEEZZNS1_9scan_implILNS1_25lookback_scan_determinismE0ELb0ELb1ES3_N6thrust23THRUST_200600_302600_NS6detail15normal_iteratorINS9_10device_ptrIxEEEESE_xNS9_10multipliesIxEExEEDaPvRmT3_T4_T5_mT6_P12ihipStream_tbENKUlT_T0_E_clISt17integral_constantIbLb0EEST_IbLb1EEEEDaSP_SQ_EUlSP_E0_NS1_11comp_targetILNS1_3genE0ELNS1_11target_archE4294967295ELNS1_3gpuE0ELNS1_3repE0EEENS1_30default_config_static_selectorELNS0_4arch9wavefront6targetE1EEEvT1_.kd
    .uniform_work_group_size: 1
    .uses_dynamic_stack: false
    .vgpr_count:     0
    .vgpr_spill_count: 0
    .wavefront_size: 64
  - .agpr_count:     0
    .args:
      - .offset:         0
        .size:           40
        .value_kind:     by_value
    .group_segment_fixed_size: 0
    .kernarg_segment_align: 8
    .kernarg_segment_size: 40
    .language:       OpenCL C
    .language_version:
      - 2
      - 0
    .max_flat_workgroup_size: 256
    .name:           _ZN7rocprim17ROCPRIM_400000_NS6detail17trampoline_kernelINS0_14default_configENS1_20scan_config_selectorIxEEZZNS1_9scan_implILNS1_25lookback_scan_determinismE0ELb0ELb1ES3_N6thrust23THRUST_200600_302600_NS6detail15normal_iteratorINS9_10device_ptrIxEEEESE_xNS9_10multipliesIxEExEEDaPvRmT3_T4_T5_mT6_P12ihipStream_tbENKUlT_T0_E_clISt17integral_constantIbLb0EEST_IbLb1EEEEDaSP_SQ_EUlSP_E0_NS1_11comp_targetILNS1_3genE5ELNS1_11target_archE942ELNS1_3gpuE9ELNS1_3repE0EEENS1_30default_config_static_selectorELNS0_4arch9wavefront6targetE1EEEvT1_
    .private_segment_fixed_size: 0
    .sgpr_count:     4
    .sgpr_spill_count: 0
    .symbol:         _ZN7rocprim17ROCPRIM_400000_NS6detail17trampoline_kernelINS0_14default_configENS1_20scan_config_selectorIxEEZZNS1_9scan_implILNS1_25lookback_scan_determinismE0ELb0ELb1ES3_N6thrust23THRUST_200600_302600_NS6detail15normal_iteratorINS9_10device_ptrIxEEEESE_xNS9_10multipliesIxEExEEDaPvRmT3_T4_T5_mT6_P12ihipStream_tbENKUlT_T0_E_clISt17integral_constantIbLb0EEST_IbLb1EEEEDaSP_SQ_EUlSP_E0_NS1_11comp_targetILNS1_3genE5ELNS1_11target_archE942ELNS1_3gpuE9ELNS1_3repE0EEENS1_30default_config_static_selectorELNS0_4arch9wavefront6targetE1EEEvT1_.kd
    .uniform_work_group_size: 1
    .uses_dynamic_stack: false
    .vgpr_count:     0
    .vgpr_spill_count: 0
    .wavefront_size: 64
  - .agpr_count:     0
    .args:
      - .offset:         0
        .size:           40
        .value_kind:     by_value
    .group_segment_fixed_size: 7168
    .kernarg_segment_align: 8
    .kernarg_segment_size: 40
    .language:       OpenCL C
    .language_version:
      - 2
      - 0
    .max_flat_workgroup_size: 128
    .name:           _ZN7rocprim17ROCPRIM_400000_NS6detail17trampoline_kernelINS0_14default_configENS1_20scan_config_selectorIxEEZZNS1_9scan_implILNS1_25lookback_scan_determinismE0ELb0ELb1ES3_N6thrust23THRUST_200600_302600_NS6detail15normal_iteratorINS9_10device_ptrIxEEEESE_xNS9_10multipliesIxEExEEDaPvRmT3_T4_T5_mT6_P12ihipStream_tbENKUlT_T0_E_clISt17integral_constantIbLb0EEST_IbLb1EEEEDaSP_SQ_EUlSP_E0_NS1_11comp_targetILNS1_3genE4ELNS1_11target_archE910ELNS1_3gpuE8ELNS1_3repE0EEENS1_30default_config_static_selectorELNS0_4arch9wavefront6targetE1EEEvT1_
    .private_segment_fixed_size: 0
    .sgpr_count:     26
    .sgpr_spill_count: 0
    .symbol:         _ZN7rocprim17ROCPRIM_400000_NS6detail17trampoline_kernelINS0_14default_configENS1_20scan_config_selectorIxEEZZNS1_9scan_implILNS1_25lookback_scan_determinismE0ELb0ELb1ES3_N6thrust23THRUST_200600_302600_NS6detail15normal_iteratorINS9_10device_ptrIxEEEESE_xNS9_10multipliesIxEExEEDaPvRmT3_T4_T5_mT6_P12ihipStream_tbENKUlT_T0_E_clISt17integral_constantIbLb0EEST_IbLb1EEEEDaSP_SQ_EUlSP_E0_NS1_11comp_targetILNS1_3genE4ELNS1_11target_archE910ELNS1_3gpuE8ELNS1_3repE0EEENS1_30default_config_static_selectorELNS0_4arch9wavefront6targetE1EEEvT1_.kd
    .uniform_work_group_size: 1
    .uses_dynamic_stack: false
    .vgpr_count:     36
    .vgpr_spill_count: 0
    .wavefront_size: 64
  - .agpr_count:     0
    .args:
      - .offset:         0
        .size:           40
        .value_kind:     by_value
    .group_segment_fixed_size: 0
    .kernarg_segment_align: 8
    .kernarg_segment_size: 40
    .language:       OpenCL C
    .language_version:
      - 2
      - 0
    .max_flat_workgroup_size: 256
    .name:           _ZN7rocprim17ROCPRIM_400000_NS6detail17trampoline_kernelINS0_14default_configENS1_20scan_config_selectorIxEEZZNS1_9scan_implILNS1_25lookback_scan_determinismE0ELb0ELb1ES3_N6thrust23THRUST_200600_302600_NS6detail15normal_iteratorINS9_10device_ptrIxEEEESE_xNS9_10multipliesIxEExEEDaPvRmT3_T4_T5_mT6_P12ihipStream_tbENKUlT_T0_E_clISt17integral_constantIbLb0EEST_IbLb1EEEEDaSP_SQ_EUlSP_E0_NS1_11comp_targetILNS1_3genE3ELNS1_11target_archE908ELNS1_3gpuE7ELNS1_3repE0EEENS1_30default_config_static_selectorELNS0_4arch9wavefront6targetE1EEEvT1_
    .private_segment_fixed_size: 0
    .sgpr_count:     4
    .sgpr_spill_count: 0
    .symbol:         _ZN7rocprim17ROCPRIM_400000_NS6detail17trampoline_kernelINS0_14default_configENS1_20scan_config_selectorIxEEZZNS1_9scan_implILNS1_25lookback_scan_determinismE0ELb0ELb1ES3_N6thrust23THRUST_200600_302600_NS6detail15normal_iteratorINS9_10device_ptrIxEEEESE_xNS9_10multipliesIxEExEEDaPvRmT3_T4_T5_mT6_P12ihipStream_tbENKUlT_T0_E_clISt17integral_constantIbLb0EEST_IbLb1EEEEDaSP_SQ_EUlSP_E0_NS1_11comp_targetILNS1_3genE3ELNS1_11target_archE908ELNS1_3gpuE7ELNS1_3repE0EEENS1_30default_config_static_selectorELNS0_4arch9wavefront6targetE1EEEvT1_.kd
    .uniform_work_group_size: 1
    .uses_dynamic_stack: false
    .vgpr_count:     0
    .vgpr_spill_count: 0
    .wavefront_size: 64
  - .agpr_count:     0
    .args:
      - .offset:         0
        .size:           40
        .value_kind:     by_value
    .group_segment_fixed_size: 0
    .kernarg_segment_align: 8
    .kernarg_segment_size: 40
    .language:       OpenCL C
    .language_version:
      - 2
      - 0
    .max_flat_workgroup_size: 64
    .name:           _ZN7rocprim17ROCPRIM_400000_NS6detail17trampoline_kernelINS0_14default_configENS1_20scan_config_selectorIxEEZZNS1_9scan_implILNS1_25lookback_scan_determinismE0ELb0ELb1ES3_N6thrust23THRUST_200600_302600_NS6detail15normal_iteratorINS9_10device_ptrIxEEEESE_xNS9_10multipliesIxEExEEDaPvRmT3_T4_T5_mT6_P12ihipStream_tbENKUlT_T0_E_clISt17integral_constantIbLb0EEST_IbLb1EEEEDaSP_SQ_EUlSP_E0_NS1_11comp_targetILNS1_3genE2ELNS1_11target_archE906ELNS1_3gpuE6ELNS1_3repE0EEENS1_30default_config_static_selectorELNS0_4arch9wavefront6targetE1EEEvT1_
    .private_segment_fixed_size: 0
    .sgpr_count:     4
    .sgpr_spill_count: 0
    .symbol:         _ZN7rocprim17ROCPRIM_400000_NS6detail17trampoline_kernelINS0_14default_configENS1_20scan_config_selectorIxEEZZNS1_9scan_implILNS1_25lookback_scan_determinismE0ELb0ELb1ES3_N6thrust23THRUST_200600_302600_NS6detail15normal_iteratorINS9_10device_ptrIxEEEESE_xNS9_10multipliesIxEExEEDaPvRmT3_T4_T5_mT6_P12ihipStream_tbENKUlT_T0_E_clISt17integral_constantIbLb0EEST_IbLb1EEEEDaSP_SQ_EUlSP_E0_NS1_11comp_targetILNS1_3genE2ELNS1_11target_archE906ELNS1_3gpuE6ELNS1_3repE0EEENS1_30default_config_static_selectorELNS0_4arch9wavefront6targetE1EEEvT1_.kd
    .uniform_work_group_size: 1
    .uses_dynamic_stack: false
    .vgpr_count:     0
    .vgpr_spill_count: 0
    .wavefront_size: 64
  - .agpr_count:     0
    .args:
      - .offset:         0
        .size:           40
        .value_kind:     by_value
    .group_segment_fixed_size: 0
    .kernarg_segment_align: 8
    .kernarg_segment_size: 40
    .language:       OpenCL C
    .language_version:
      - 2
      - 0
    .max_flat_workgroup_size: 256
    .name:           _ZN7rocprim17ROCPRIM_400000_NS6detail17trampoline_kernelINS0_14default_configENS1_20scan_config_selectorIxEEZZNS1_9scan_implILNS1_25lookback_scan_determinismE0ELb0ELb1ES3_N6thrust23THRUST_200600_302600_NS6detail15normal_iteratorINS9_10device_ptrIxEEEESE_xNS9_10multipliesIxEExEEDaPvRmT3_T4_T5_mT6_P12ihipStream_tbENKUlT_T0_E_clISt17integral_constantIbLb0EEST_IbLb1EEEEDaSP_SQ_EUlSP_E0_NS1_11comp_targetILNS1_3genE10ELNS1_11target_archE1201ELNS1_3gpuE5ELNS1_3repE0EEENS1_30default_config_static_selectorELNS0_4arch9wavefront6targetE1EEEvT1_
    .private_segment_fixed_size: 0
    .sgpr_count:     4
    .sgpr_spill_count: 0
    .symbol:         _ZN7rocprim17ROCPRIM_400000_NS6detail17trampoline_kernelINS0_14default_configENS1_20scan_config_selectorIxEEZZNS1_9scan_implILNS1_25lookback_scan_determinismE0ELb0ELb1ES3_N6thrust23THRUST_200600_302600_NS6detail15normal_iteratorINS9_10device_ptrIxEEEESE_xNS9_10multipliesIxEExEEDaPvRmT3_T4_T5_mT6_P12ihipStream_tbENKUlT_T0_E_clISt17integral_constantIbLb0EEST_IbLb1EEEEDaSP_SQ_EUlSP_E0_NS1_11comp_targetILNS1_3genE10ELNS1_11target_archE1201ELNS1_3gpuE5ELNS1_3repE0EEENS1_30default_config_static_selectorELNS0_4arch9wavefront6targetE1EEEvT1_.kd
    .uniform_work_group_size: 1
    .uses_dynamic_stack: false
    .vgpr_count:     0
    .vgpr_spill_count: 0
    .wavefront_size: 64
  - .agpr_count:     0
    .args:
      - .offset:         0
        .size:           40
        .value_kind:     by_value
    .group_segment_fixed_size: 0
    .kernarg_segment_align: 8
    .kernarg_segment_size: 40
    .language:       OpenCL C
    .language_version:
      - 2
      - 0
    .max_flat_workgroup_size: 256
    .name:           _ZN7rocprim17ROCPRIM_400000_NS6detail17trampoline_kernelINS0_14default_configENS1_20scan_config_selectorIxEEZZNS1_9scan_implILNS1_25lookback_scan_determinismE0ELb0ELb1ES3_N6thrust23THRUST_200600_302600_NS6detail15normal_iteratorINS9_10device_ptrIxEEEESE_xNS9_10multipliesIxEExEEDaPvRmT3_T4_T5_mT6_P12ihipStream_tbENKUlT_T0_E_clISt17integral_constantIbLb0EEST_IbLb1EEEEDaSP_SQ_EUlSP_E0_NS1_11comp_targetILNS1_3genE10ELNS1_11target_archE1200ELNS1_3gpuE4ELNS1_3repE0EEENS1_30default_config_static_selectorELNS0_4arch9wavefront6targetE1EEEvT1_
    .private_segment_fixed_size: 0
    .sgpr_count:     4
    .sgpr_spill_count: 0
    .symbol:         _ZN7rocprim17ROCPRIM_400000_NS6detail17trampoline_kernelINS0_14default_configENS1_20scan_config_selectorIxEEZZNS1_9scan_implILNS1_25lookback_scan_determinismE0ELb0ELb1ES3_N6thrust23THRUST_200600_302600_NS6detail15normal_iteratorINS9_10device_ptrIxEEEESE_xNS9_10multipliesIxEExEEDaPvRmT3_T4_T5_mT6_P12ihipStream_tbENKUlT_T0_E_clISt17integral_constantIbLb0EEST_IbLb1EEEEDaSP_SQ_EUlSP_E0_NS1_11comp_targetILNS1_3genE10ELNS1_11target_archE1200ELNS1_3gpuE4ELNS1_3repE0EEENS1_30default_config_static_selectorELNS0_4arch9wavefront6targetE1EEEvT1_.kd
    .uniform_work_group_size: 1
    .uses_dynamic_stack: false
    .vgpr_count:     0
    .vgpr_spill_count: 0
    .wavefront_size: 64
  - .agpr_count:     0
    .args:
      - .offset:         0
        .size:           40
        .value_kind:     by_value
    .group_segment_fixed_size: 0
    .kernarg_segment_align: 8
    .kernarg_segment_size: 40
    .language:       OpenCL C
    .language_version:
      - 2
      - 0
    .max_flat_workgroup_size: 256
    .name:           _ZN7rocprim17ROCPRIM_400000_NS6detail17trampoline_kernelINS0_14default_configENS1_20scan_config_selectorIxEEZZNS1_9scan_implILNS1_25lookback_scan_determinismE0ELb0ELb1ES3_N6thrust23THRUST_200600_302600_NS6detail15normal_iteratorINS9_10device_ptrIxEEEESE_xNS9_10multipliesIxEExEEDaPvRmT3_T4_T5_mT6_P12ihipStream_tbENKUlT_T0_E_clISt17integral_constantIbLb0EEST_IbLb1EEEEDaSP_SQ_EUlSP_E0_NS1_11comp_targetILNS1_3genE9ELNS1_11target_archE1100ELNS1_3gpuE3ELNS1_3repE0EEENS1_30default_config_static_selectorELNS0_4arch9wavefront6targetE1EEEvT1_
    .private_segment_fixed_size: 0
    .sgpr_count:     4
    .sgpr_spill_count: 0
    .symbol:         _ZN7rocprim17ROCPRIM_400000_NS6detail17trampoline_kernelINS0_14default_configENS1_20scan_config_selectorIxEEZZNS1_9scan_implILNS1_25lookback_scan_determinismE0ELb0ELb1ES3_N6thrust23THRUST_200600_302600_NS6detail15normal_iteratorINS9_10device_ptrIxEEEESE_xNS9_10multipliesIxEExEEDaPvRmT3_T4_T5_mT6_P12ihipStream_tbENKUlT_T0_E_clISt17integral_constantIbLb0EEST_IbLb1EEEEDaSP_SQ_EUlSP_E0_NS1_11comp_targetILNS1_3genE9ELNS1_11target_archE1100ELNS1_3gpuE3ELNS1_3repE0EEENS1_30default_config_static_selectorELNS0_4arch9wavefront6targetE1EEEvT1_.kd
    .uniform_work_group_size: 1
    .uses_dynamic_stack: false
    .vgpr_count:     0
    .vgpr_spill_count: 0
    .wavefront_size: 64
  - .agpr_count:     0
    .args:
      - .offset:         0
        .size:           40
        .value_kind:     by_value
    .group_segment_fixed_size: 0
    .kernarg_segment_align: 8
    .kernarg_segment_size: 40
    .language:       OpenCL C
    .language_version:
      - 2
      - 0
    .max_flat_workgroup_size: 256
    .name:           _ZN7rocprim17ROCPRIM_400000_NS6detail17trampoline_kernelINS0_14default_configENS1_20scan_config_selectorIxEEZZNS1_9scan_implILNS1_25lookback_scan_determinismE0ELb0ELb1ES3_N6thrust23THRUST_200600_302600_NS6detail15normal_iteratorINS9_10device_ptrIxEEEESE_xNS9_10multipliesIxEExEEDaPvRmT3_T4_T5_mT6_P12ihipStream_tbENKUlT_T0_E_clISt17integral_constantIbLb0EEST_IbLb1EEEEDaSP_SQ_EUlSP_E0_NS1_11comp_targetILNS1_3genE8ELNS1_11target_archE1030ELNS1_3gpuE2ELNS1_3repE0EEENS1_30default_config_static_selectorELNS0_4arch9wavefront6targetE1EEEvT1_
    .private_segment_fixed_size: 0
    .sgpr_count:     4
    .sgpr_spill_count: 0
    .symbol:         _ZN7rocprim17ROCPRIM_400000_NS6detail17trampoline_kernelINS0_14default_configENS1_20scan_config_selectorIxEEZZNS1_9scan_implILNS1_25lookback_scan_determinismE0ELb0ELb1ES3_N6thrust23THRUST_200600_302600_NS6detail15normal_iteratorINS9_10device_ptrIxEEEESE_xNS9_10multipliesIxEExEEDaPvRmT3_T4_T5_mT6_P12ihipStream_tbENKUlT_T0_E_clISt17integral_constantIbLb0EEST_IbLb1EEEEDaSP_SQ_EUlSP_E0_NS1_11comp_targetILNS1_3genE8ELNS1_11target_archE1030ELNS1_3gpuE2ELNS1_3repE0EEENS1_30default_config_static_selectorELNS0_4arch9wavefront6targetE1EEEvT1_.kd
    .uniform_work_group_size: 1
    .uses_dynamic_stack: false
    .vgpr_count:     0
    .vgpr_spill_count: 0
    .wavefront_size: 64
  - .agpr_count:     0
    .args:
      - .offset:         0
        .size:           104
        .value_kind:     by_value
    .group_segment_fixed_size: 0
    .kernarg_segment_align: 8
    .kernarg_segment_size: 104
    .language:       OpenCL C
    .language_version:
      - 2
      - 0
    .max_flat_workgroup_size: 256
    .name:           _ZN7rocprim17ROCPRIM_400000_NS6detail17trampoline_kernelINS0_14default_configENS1_20scan_config_selectorIxEEZZNS1_9scan_implILNS1_25lookback_scan_determinismE0ELb1ELb1ES3_N6thrust23THRUST_200600_302600_NS6detail15normal_iteratorINS9_10device_ptrIxEEEESE_xNS9_4plusIxEExEEDaPvRmT3_T4_T5_mT6_P12ihipStream_tbENKUlT_T0_E_clISt17integral_constantIbLb0EESU_EEDaSP_SQ_EUlSP_E_NS1_11comp_targetILNS1_3genE0ELNS1_11target_archE4294967295ELNS1_3gpuE0ELNS1_3repE0EEENS1_30default_config_static_selectorELNS0_4arch9wavefront6targetE1EEEvT1_
    .private_segment_fixed_size: 0
    .sgpr_count:     4
    .sgpr_spill_count: 0
    .symbol:         _ZN7rocprim17ROCPRIM_400000_NS6detail17trampoline_kernelINS0_14default_configENS1_20scan_config_selectorIxEEZZNS1_9scan_implILNS1_25lookback_scan_determinismE0ELb1ELb1ES3_N6thrust23THRUST_200600_302600_NS6detail15normal_iteratorINS9_10device_ptrIxEEEESE_xNS9_4plusIxEExEEDaPvRmT3_T4_T5_mT6_P12ihipStream_tbENKUlT_T0_E_clISt17integral_constantIbLb0EESU_EEDaSP_SQ_EUlSP_E_NS1_11comp_targetILNS1_3genE0ELNS1_11target_archE4294967295ELNS1_3gpuE0ELNS1_3repE0EEENS1_30default_config_static_selectorELNS0_4arch9wavefront6targetE1EEEvT1_.kd
    .uniform_work_group_size: 1
    .uses_dynamic_stack: false
    .vgpr_count:     0
    .vgpr_spill_count: 0
    .wavefront_size: 64
  - .agpr_count:     0
    .args:
      - .offset:         0
        .size:           104
        .value_kind:     by_value
    .group_segment_fixed_size: 0
    .kernarg_segment_align: 8
    .kernarg_segment_size: 104
    .language:       OpenCL C
    .language_version:
      - 2
      - 0
    .max_flat_workgroup_size: 256
    .name:           _ZN7rocprim17ROCPRIM_400000_NS6detail17trampoline_kernelINS0_14default_configENS1_20scan_config_selectorIxEEZZNS1_9scan_implILNS1_25lookback_scan_determinismE0ELb1ELb1ES3_N6thrust23THRUST_200600_302600_NS6detail15normal_iteratorINS9_10device_ptrIxEEEESE_xNS9_4plusIxEExEEDaPvRmT3_T4_T5_mT6_P12ihipStream_tbENKUlT_T0_E_clISt17integral_constantIbLb0EESU_EEDaSP_SQ_EUlSP_E_NS1_11comp_targetILNS1_3genE5ELNS1_11target_archE942ELNS1_3gpuE9ELNS1_3repE0EEENS1_30default_config_static_selectorELNS0_4arch9wavefront6targetE1EEEvT1_
    .private_segment_fixed_size: 0
    .sgpr_count:     4
    .sgpr_spill_count: 0
    .symbol:         _ZN7rocprim17ROCPRIM_400000_NS6detail17trampoline_kernelINS0_14default_configENS1_20scan_config_selectorIxEEZZNS1_9scan_implILNS1_25lookback_scan_determinismE0ELb1ELb1ES3_N6thrust23THRUST_200600_302600_NS6detail15normal_iteratorINS9_10device_ptrIxEEEESE_xNS9_4plusIxEExEEDaPvRmT3_T4_T5_mT6_P12ihipStream_tbENKUlT_T0_E_clISt17integral_constantIbLb0EESU_EEDaSP_SQ_EUlSP_E_NS1_11comp_targetILNS1_3genE5ELNS1_11target_archE942ELNS1_3gpuE9ELNS1_3repE0EEENS1_30default_config_static_selectorELNS0_4arch9wavefront6targetE1EEEvT1_.kd
    .uniform_work_group_size: 1
    .uses_dynamic_stack: false
    .vgpr_count:     0
    .vgpr_spill_count: 0
    .wavefront_size: 64
  - .agpr_count:     0
    .args:
      - .offset:         0
        .size:           104
        .value_kind:     by_value
    .group_segment_fixed_size: 7168
    .kernarg_segment_align: 8
    .kernarg_segment_size: 104
    .language:       OpenCL C
    .language_version:
      - 2
      - 0
    .max_flat_workgroup_size: 128
    .name:           _ZN7rocprim17ROCPRIM_400000_NS6detail17trampoline_kernelINS0_14default_configENS1_20scan_config_selectorIxEEZZNS1_9scan_implILNS1_25lookback_scan_determinismE0ELb1ELb1ES3_N6thrust23THRUST_200600_302600_NS6detail15normal_iteratorINS9_10device_ptrIxEEEESE_xNS9_4plusIxEExEEDaPvRmT3_T4_T5_mT6_P12ihipStream_tbENKUlT_T0_E_clISt17integral_constantIbLb0EESU_EEDaSP_SQ_EUlSP_E_NS1_11comp_targetILNS1_3genE4ELNS1_11target_archE910ELNS1_3gpuE8ELNS1_3repE0EEENS1_30default_config_static_selectorELNS0_4arch9wavefront6targetE1EEEvT1_
    .private_segment_fixed_size: 0
    .sgpr_count:     36
    .sgpr_spill_count: 0
    .symbol:         _ZN7rocprim17ROCPRIM_400000_NS6detail17trampoline_kernelINS0_14default_configENS1_20scan_config_selectorIxEEZZNS1_9scan_implILNS1_25lookback_scan_determinismE0ELb1ELb1ES3_N6thrust23THRUST_200600_302600_NS6detail15normal_iteratorINS9_10device_ptrIxEEEESE_xNS9_4plusIxEExEEDaPvRmT3_T4_T5_mT6_P12ihipStream_tbENKUlT_T0_E_clISt17integral_constantIbLb0EESU_EEDaSP_SQ_EUlSP_E_NS1_11comp_targetILNS1_3genE4ELNS1_11target_archE910ELNS1_3gpuE8ELNS1_3repE0EEENS1_30default_config_static_selectorELNS0_4arch9wavefront6targetE1EEEvT1_.kd
    .uniform_work_group_size: 1
    .uses_dynamic_stack: false
    .vgpr_count:     51
    .vgpr_spill_count: 0
    .wavefront_size: 64
  - .agpr_count:     0
    .args:
      - .offset:         0
        .size:           104
        .value_kind:     by_value
    .group_segment_fixed_size: 0
    .kernarg_segment_align: 8
    .kernarg_segment_size: 104
    .language:       OpenCL C
    .language_version:
      - 2
      - 0
    .max_flat_workgroup_size: 256
    .name:           _ZN7rocprim17ROCPRIM_400000_NS6detail17trampoline_kernelINS0_14default_configENS1_20scan_config_selectorIxEEZZNS1_9scan_implILNS1_25lookback_scan_determinismE0ELb1ELb1ES3_N6thrust23THRUST_200600_302600_NS6detail15normal_iteratorINS9_10device_ptrIxEEEESE_xNS9_4plusIxEExEEDaPvRmT3_T4_T5_mT6_P12ihipStream_tbENKUlT_T0_E_clISt17integral_constantIbLb0EESU_EEDaSP_SQ_EUlSP_E_NS1_11comp_targetILNS1_3genE3ELNS1_11target_archE908ELNS1_3gpuE7ELNS1_3repE0EEENS1_30default_config_static_selectorELNS0_4arch9wavefront6targetE1EEEvT1_
    .private_segment_fixed_size: 0
    .sgpr_count:     4
    .sgpr_spill_count: 0
    .symbol:         _ZN7rocprim17ROCPRIM_400000_NS6detail17trampoline_kernelINS0_14default_configENS1_20scan_config_selectorIxEEZZNS1_9scan_implILNS1_25lookback_scan_determinismE0ELb1ELb1ES3_N6thrust23THRUST_200600_302600_NS6detail15normal_iteratorINS9_10device_ptrIxEEEESE_xNS9_4plusIxEExEEDaPvRmT3_T4_T5_mT6_P12ihipStream_tbENKUlT_T0_E_clISt17integral_constantIbLb0EESU_EEDaSP_SQ_EUlSP_E_NS1_11comp_targetILNS1_3genE3ELNS1_11target_archE908ELNS1_3gpuE7ELNS1_3repE0EEENS1_30default_config_static_selectorELNS0_4arch9wavefront6targetE1EEEvT1_.kd
    .uniform_work_group_size: 1
    .uses_dynamic_stack: false
    .vgpr_count:     0
    .vgpr_spill_count: 0
    .wavefront_size: 64
  - .agpr_count:     0
    .args:
      - .offset:         0
        .size:           104
        .value_kind:     by_value
    .group_segment_fixed_size: 0
    .kernarg_segment_align: 8
    .kernarg_segment_size: 104
    .language:       OpenCL C
    .language_version:
      - 2
      - 0
    .max_flat_workgroup_size: 64
    .name:           _ZN7rocprim17ROCPRIM_400000_NS6detail17trampoline_kernelINS0_14default_configENS1_20scan_config_selectorIxEEZZNS1_9scan_implILNS1_25lookback_scan_determinismE0ELb1ELb1ES3_N6thrust23THRUST_200600_302600_NS6detail15normal_iteratorINS9_10device_ptrIxEEEESE_xNS9_4plusIxEExEEDaPvRmT3_T4_T5_mT6_P12ihipStream_tbENKUlT_T0_E_clISt17integral_constantIbLb0EESU_EEDaSP_SQ_EUlSP_E_NS1_11comp_targetILNS1_3genE2ELNS1_11target_archE906ELNS1_3gpuE6ELNS1_3repE0EEENS1_30default_config_static_selectorELNS0_4arch9wavefront6targetE1EEEvT1_
    .private_segment_fixed_size: 0
    .sgpr_count:     4
    .sgpr_spill_count: 0
    .symbol:         _ZN7rocprim17ROCPRIM_400000_NS6detail17trampoline_kernelINS0_14default_configENS1_20scan_config_selectorIxEEZZNS1_9scan_implILNS1_25lookback_scan_determinismE0ELb1ELb1ES3_N6thrust23THRUST_200600_302600_NS6detail15normal_iteratorINS9_10device_ptrIxEEEESE_xNS9_4plusIxEExEEDaPvRmT3_T4_T5_mT6_P12ihipStream_tbENKUlT_T0_E_clISt17integral_constantIbLb0EESU_EEDaSP_SQ_EUlSP_E_NS1_11comp_targetILNS1_3genE2ELNS1_11target_archE906ELNS1_3gpuE6ELNS1_3repE0EEENS1_30default_config_static_selectorELNS0_4arch9wavefront6targetE1EEEvT1_.kd
    .uniform_work_group_size: 1
    .uses_dynamic_stack: false
    .vgpr_count:     0
    .vgpr_spill_count: 0
    .wavefront_size: 64
  - .agpr_count:     0
    .args:
      - .offset:         0
        .size:           104
        .value_kind:     by_value
    .group_segment_fixed_size: 0
    .kernarg_segment_align: 8
    .kernarg_segment_size: 104
    .language:       OpenCL C
    .language_version:
      - 2
      - 0
    .max_flat_workgroup_size: 256
    .name:           _ZN7rocprim17ROCPRIM_400000_NS6detail17trampoline_kernelINS0_14default_configENS1_20scan_config_selectorIxEEZZNS1_9scan_implILNS1_25lookback_scan_determinismE0ELb1ELb1ES3_N6thrust23THRUST_200600_302600_NS6detail15normal_iteratorINS9_10device_ptrIxEEEESE_xNS9_4plusIxEExEEDaPvRmT3_T4_T5_mT6_P12ihipStream_tbENKUlT_T0_E_clISt17integral_constantIbLb0EESU_EEDaSP_SQ_EUlSP_E_NS1_11comp_targetILNS1_3genE10ELNS1_11target_archE1201ELNS1_3gpuE5ELNS1_3repE0EEENS1_30default_config_static_selectorELNS0_4arch9wavefront6targetE1EEEvT1_
    .private_segment_fixed_size: 0
    .sgpr_count:     4
    .sgpr_spill_count: 0
    .symbol:         _ZN7rocprim17ROCPRIM_400000_NS6detail17trampoline_kernelINS0_14default_configENS1_20scan_config_selectorIxEEZZNS1_9scan_implILNS1_25lookback_scan_determinismE0ELb1ELb1ES3_N6thrust23THRUST_200600_302600_NS6detail15normal_iteratorINS9_10device_ptrIxEEEESE_xNS9_4plusIxEExEEDaPvRmT3_T4_T5_mT6_P12ihipStream_tbENKUlT_T0_E_clISt17integral_constantIbLb0EESU_EEDaSP_SQ_EUlSP_E_NS1_11comp_targetILNS1_3genE10ELNS1_11target_archE1201ELNS1_3gpuE5ELNS1_3repE0EEENS1_30default_config_static_selectorELNS0_4arch9wavefront6targetE1EEEvT1_.kd
    .uniform_work_group_size: 1
    .uses_dynamic_stack: false
    .vgpr_count:     0
    .vgpr_spill_count: 0
    .wavefront_size: 64
  - .agpr_count:     0
    .args:
      - .offset:         0
        .size:           104
        .value_kind:     by_value
    .group_segment_fixed_size: 0
    .kernarg_segment_align: 8
    .kernarg_segment_size: 104
    .language:       OpenCL C
    .language_version:
      - 2
      - 0
    .max_flat_workgroup_size: 256
    .name:           _ZN7rocprim17ROCPRIM_400000_NS6detail17trampoline_kernelINS0_14default_configENS1_20scan_config_selectorIxEEZZNS1_9scan_implILNS1_25lookback_scan_determinismE0ELb1ELb1ES3_N6thrust23THRUST_200600_302600_NS6detail15normal_iteratorINS9_10device_ptrIxEEEESE_xNS9_4plusIxEExEEDaPvRmT3_T4_T5_mT6_P12ihipStream_tbENKUlT_T0_E_clISt17integral_constantIbLb0EESU_EEDaSP_SQ_EUlSP_E_NS1_11comp_targetILNS1_3genE10ELNS1_11target_archE1200ELNS1_3gpuE4ELNS1_3repE0EEENS1_30default_config_static_selectorELNS0_4arch9wavefront6targetE1EEEvT1_
    .private_segment_fixed_size: 0
    .sgpr_count:     4
    .sgpr_spill_count: 0
    .symbol:         _ZN7rocprim17ROCPRIM_400000_NS6detail17trampoline_kernelINS0_14default_configENS1_20scan_config_selectorIxEEZZNS1_9scan_implILNS1_25lookback_scan_determinismE0ELb1ELb1ES3_N6thrust23THRUST_200600_302600_NS6detail15normal_iteratorINS9_10device_ptrIxEEEESE_xNS9_4plusIxEExEEDaPvRmT3_T4_T5_mT6_P12ihipStream_tbENKUlT_T0_E_clISt17integral_constantIbLb0EESU_EEDaSP_SQ_EUlSP_E_NS1_11comp_targetILNS1_3genE10ELNS1_11target_archE1200ELNS1_3gpuE4ELNS1_3repE0EEENS1_30default_config_static_selectorELNS0_4arch9wavefront6targetE1EEEvT1_.kd
    .uniform_work_group_size: 1
    .uses_dynamic_stack: false
    .vgpr_count:     0
    .vgpr_spill_count: 0
    .wavefront_size: 64
  - .agpr_count:     0
    .args:
      - .offset:         0
        .size:           104
        .value_kind:     by_value
    .group_segment_fixed_size: 0
    .kernarg_segment_align: 8
    .kernarg_segment_size: 104
    .language:       OpenCL C
    .language_version:
      - 2
      - 0
    .max_flat_workgroup_size: 256
    .name:           _ZN7rocprim17ROCPRIM_400000_NS6detail17trampoline_kernelINS0_14default_configENS1_20scan_config_selectorIxEEZZNS1_9scan_implILNS1_25lookback_scan_determinismE0ELb1ELb1ES3_N6thrust23THRUST_200600_302600_NS6detail15normal_iteratorINS9_10device_ptrIxEEEESE_xNS9_4plusIxEExEEDaPvRmT3_T4_T5_mT6_P12ihipStream_tbENKUlT_T0_E_clISt17integral_constantIbLb0EESU_EEDaSP_SQ_EUlSP_E_NS1_11comp_targetILNS1_3genE9ELNS1_11target_archE1100ELNS1_3gpuE3ELNS1_3repE0EEENS1_30default_config_static_selectorELNS0_4arch9wavefront6targetE1EEEvT1_
    .private_segment_fixed_size: 0
    .sgpr_count:     4
    .sgpr_spill_count: 0
    .symbol:         _ZN7rocprim17ROCPRIM_400000_NS6detail17trampoline_kernelINS0_14default_configENS1_20scan_config_selectorIxEEZZNS1_9scan_implILNS1_25lookback_scan_determinismE0ELb1ELb1ES3_N6thrust23THRUST_200600_302600_NS6detail15normal_iteratorINS9_10device_ptrIxEEEESE_xNS9_4plusIxEExEEDaPvRmT3_T4_T5_mT6_P12ihipStream_tbENKUlT_T0_E_clISt17integral_constantIbLb0EESU_EEDaSP_SQ_EUlSP_E_NS1_11comp_targetILNS1_3genE9ELNS1_11target_archE1100ELNS1_3gpuE3ELNS1_3repE0EEENS1_30default_config_static_selectorELNS0_4arch9wavefront6targetE1EEEvT1_.kd
    .uniform_work_group_size: 1
    .uses_dynamic_stack: false
    .vgpr_count:     0
    .vgpr_spill_count: 0
    .wavefront_size: 64
  - .agpr_count:     0
    .args:
      - .offset:         0
        .size:           104
        .value_kind:     by_value
    .group_segment_fixed_size: 0
    .kernarg_segment_align: 8
    .kernarg_segment_size: 104
    .language:       OpenCL C
    .language_version:
      - 2
      - 0
    .max_flat_workgroup_size: 256
    .name:           _ZN7rocprim17ROCPRIM_400000_NS6detail17trampoline_kernelINS0_14default_configENS1_20scan_config_selectorIxEEZZNS1_9scan_implILNS1_25lookback_scan_determinismE0ELb1ELb1ES3_N6thrust23THRUST_200600_302600_NS6detail15normal_iteratorINS9_10device_ptrIxEEEESE_xNS9_4plusIxEExEEDaPvRmT3_T4_T5_mT6_P12ihipStream_tbENKUlT_T0_E_clISt17integral_constantIbLb0EESU_EEDaSP_SQ_EUlSP_E_NS1_11comp_targetILNS1_3genE8ELNS1_11target_archE1030ELNS1_3gpuE2ELNS1_3repE0EEENS1_30default_config_static_selectorELNS0_4arch9wavefront6targetE1EEEvT1_
    .private_segment_fixed_size: 0
    .sgpr_count:     4
    .sgpr_spill_count: 0
    .symbol:         _ZN7rocprim17ROCPRIM_400000_NS6detail17trampoline_kernelINS0_14default_configENS1_20scan_config_selectorIxEEZZNS1_9scan_implILNS1_25lookback_scan_determinismE0ELb1ELb1ES3_N6thrust23THRUST_200600_302600_NS6detail15normal_iteratorINS9_10device_ptrIxEEEESE_xNS9_4plusIxEExEEDaPvRmT3_T4_T5_mT6_P12ihipStream_tbENKUlT_T0_E_clISt17integral_constantIbLb0EESU_EEDaSP_SQ_EUlSP_E_NS1_11comp_targetILNS1_3genE8ELNS1_11target_archE1030ELNS1_3gpuE2ELNS1_3repE0EEENS1_30default_config_static_selectorELNS0_4arch9wavefront6targetE1EEEvT1_.kd
    .uniform_work_group_size: 1
    .uses_dynamic_stack: false
    .vgpr_count:     0
    .vgpr_spill_count: 0
    .wavefront_size: 64
  - .agpr_count:     0
    .args:
      - .offset:         0
        .size:           40
        .value_kind:     by_value
    .group_segment_fixed_size: 0
    .kernarg_segment_align: 8
    .kernarg_segment_size: 40
    .language:       OpenCL C
    .language_version:
      - 2
      - 0
    .max_flat_workgroup_size: 256
    .name:           _ZN7rocprim17ROCPRIM_400000_NS6detail17trampoline_kernelINS0_14default_configENS1_20scan_config_selectorIxEEZZNS1_9scan_implILNS1_25lookback_scan_determinismE0ELb1ELb1ES3_N6thrust23THRUST_200600_302600_NS6detail15normal_iteratorINS9_10device_ptrIxEEEESE_xNS9_4plusIxEExEEDaPvRmT3_T4_T5_mT6_P12ihipStream_tbENKUlT_T0_E_clISt17integral_constantIbLb0EESU_EEDaSP_SQ_EUlSP_E0_NS1_11comp_targetILNS1_3genE0ELNS1_11target_archE4294967295ELNS1_3gpuE0ELNS1_3repE0EEENS1_30default_config_static_selectorELNS0_4arch9wavefront6targetE1EEEvT1_
    .private_segment_fixed_size: 0
    .sgpr_count:     4
    .sgpr_spill_count: 0
    .symbol:         _ZN7rocprim17ROCPRIM_400000_NS6detail17trampoline_kernelINS0_14default_configENS1_20scan_config_selectorIxEEZZNS1_9scan_implILNS1_25lookback_scan_determinismE0ELb1ELb1ES3_N6thrust23THRUST_200600_302600_NS6detail15normal_iteratorINS9_10device_ptrIxEEEESE_xNS9_4plusIxEExEEDaPvRmT3_T4_T5_mT6_P12ihipStream_tbENKUlT_T0_E_clISt17integral_constantIbLb0EESU_EEDaSP_SQ_EUlSP_E0_NS1_11comp_targetILNS1_3genE0ELNS1_11target_archE4294967295ELNS1_3gpuE0ELNS1_3repE0EEENS1_30default_config_static_selectorELNS0_4arch9wavefront6targetE1EEEvT1_.kd
    .uniform_work_group_size: 1
    .uses_dynamic_stack: false
    .vgpr_count:     0
    .vgpr_spill_count: 0
    .wavefront_size: 64
  - .agpr_count:     0
    .args:
      - .offset:         0
        .size:           40
        .value_kind:     by_value
    .group_segment_fixed_size: 0
    .kernarg_segment_align: 8
    .kernarg_segment_size: 40
    .language:       OpenCL C
    .language_version:
      - 2
      - 0
    .max_flat_workgroup_size: 256
    .name:           _ZN7rocprim17ROCPRIM_400000_NS6detail17trampoline_kernelINS0_14default_configENS1_20scan_config_selectorIxEEZZNS1_9scan_implILNS1_25lookback_scan_determinismE0ELb1ELb1ES3_N6thrust23THRUST_200600_302600_NS6detail15normal_iteratorINS9_10device_ptrIxEEEESE_xNS9_4plusIxEExEEDaPvRmT3_T4_T5_mT6_P12ihipStream_tbENKUlT_T0_E_clISt17integral_constantIbLb0EESU_EEDaSP_SQ_EUlSP_E0_NS1_11comp_targetILNS1_3genE5ELNS1_11target_archE942ELNS1_3gpuE9ELNS1_3repE0EEENS1_30default_config_static_selectorELNS0_4arch9wavefront6targetE1EEEvT1_
    .private_segment_fixed_size: 0
    .sgpr_count:     4
    .sgpr_spill_count: 0
    .symbol:         _ZN7rocprim17ROCPRIM_400000_NS6detail17trampoline_kernelINS0_14default_configENS1_20scan_config_selectorIxEEZZNS1_9scan_implILNS1_25lookback_scan_determinismE0ELb1ELb1ES3_N6thrust23THRUST_200600_302600_NS6detail15normal_iteratorINS9_10device_ptrIxEEEESE_xNS9_4plusIxEExEEDaPvRmT3_T4_T5_mT6_P12ihipStream_tbENKUlT_T0_E_clISt17integral_constantIbLb0EESU_EEDaSP_SQ_EUlSP_E0_NS1_11comp_targetILNS1_3genE5ELNS1_11target_archE942ELNS1_3gpuE9ELNS1_3repE0EEENS1_30default_config_static_selectorELNS0_4arch9wavefront6targetE1EEEvT1_.kd
    .uniform_work_group_size: 1
    .uses_dynamic_stack: false
    .vgpr_count:     0
    .vgpr_spill_count: 0
    .wavefront_size: 64
  - .agpr_count:     0
    .args:
      - .offset:         0
        .size:           40
        .value_kind:     by_value
    .group_segment_fixed_size: 7168
    .kernarg_segment_align: 8
    .kernarg_segment_size: 40
    .language:       OpenCL C
    .language_version:
      - 2
      - 0
    .max_flat_workgroup_size: 128
    .name:           _ZN7rocprim17ROCPRIM_400000_NS6detail17trampoline_kernelINS0_14default_configENS1_20scan_config_selectorIxEEZZNS1_9scan_implILNS1_25lookback_scan_determinismE0ELb1ELb1ES3_N6thrust23THRUST_200600_302600_NS6detail15normal_iteratorINS9_10device_ptrIxEEEESE_xNS9_4plusIxEExEEDaPvRmT3_T4_T5_mT6_P12ihipStream_tbENKUlT_T0_E_clISt17integral_constantIbLb0EESU_EEDaSP_SQ_EUlSP_E0_NS1_11comp_targetILNS1_3genE4ELNS1_11target_archE910ELNS1_3gpuE8ELNS1_3repE0EEENS1_30default_config_static_selectorELNS0_4arch9wavefront6targetE1EEEvT1_
    .private_segment_fixed_size: 0
    .sgpr_count:     28
    .sgpr_spill_count: 0
    .symbol:         _ZN7rocprim17ROCPRIM_400000_NS6detail17trampoline_kernelINS0_14default_configENS1_20scan_config_selectorIxEEZZNS1_9scan_implILNS1_25lookback_scan_determinismE0ELb1ELb1ES3_N6thrust23THRUST_200600_302600_NS6detail15normal_iteratorINS9_10device_ptrIxEEEESE_xNS9_4plusIxEExEEDaPvRmT3_T4_T5_mT6_P12ihipStream_tbENKUlT_T0_E_clISt17integral_constantIbLb0EESU_EEDaSP_SQ_EUlSP_E0_NS1_11comp_targetILNS1_3genE4ELNS1_11target_archE910ELNS1_3gpuE8ELNS1_3repE0EEENS1_30default_config_static_selectorELNS0_4arch9wavefront6targetE1EEEvT1_.kd
    .uniform_work_group_size: 1
    .uses_dynamic_stack: false
    .vgpr_count:     29
    .vgpr_spill_count: 0
    .wavefront_size: 64
  - .agpr_count:     0
    .args:
      - .offset:         0
        .size:           40
        .value_kind:     by_value
    .group_segment_fixed_size: 0
    .kernarg_segment_align: 8
    .kernarg_segment_size: 40
    .language:       OpenCL C
    .language_version:
      - 2
      - 0
    .max_flat_workgroup_size: 256
    .name:           _ZN7rocprim17ROCPRIM_400000_NS6detail17trampoline_kernelINS0_14default_configENS1_20scan_config_selectorIxEEZZNS1_9scan_implILNS1_25lookback_scan_determinismE0ELb1ELb1ES3_N6thrust23THRUST_200600_302600_NS6detail15normal_iteratorINS9_10device_ptrIxEEEESE_xNS9_4plusIxEExEEDaPvRmT3_T4_T5_mT6_P12ihipStream_tbENKUlT_T0_E_clISt17integral_constantIbLb0EESU_EEDaSP_SQ_EUlSP_E0_NS1_11comp_targetILNS1_3genE3ELNS1_11target_archE908ELNS1_3gpuE7ELNS1_3repE0EEENS1_30default_config_static_selectorELNS0_4arch9wavefront6targetE1EEEvT1_
    .private_segment_fixed_size: 0
    .sgpr_count:     4
    .sgpr_spill_count: 0
    .symbol:         _ZN7rocprim17ROCPRIM_400000_NS6detail17trampoline_kernelINS0_14default_configENS1_20scan_config_selectorIxEEZZNS1_9scan_implILNS1_25lookback_scan_determinismE0ELb1ELb1ES3_N6thrust23THRUST_200600_302600_NS6detail15normal_iteratorINS9_10device_ptrIxEEEESE_xNS9_4plusIxEExEEDaPvRmT3_T4_T5_mT6_P12ihipStream_tbENKUlT_T0_E_clISt17integral_constantIbLb0EESU_EEDaSP_SQ_EUlSP_E0_NS1_11comp_targetILNS1_3genE3ELNS1_11target_archE908ELNS1_3gpuE7ELNS1_3repE0EEENS1_30default_config_static_selectorELNS0_4arch9wavefront6targetE1EEEvT1_.kd
    .uniform_work_group_size: 1
    .uses_dynamic_stack: false
    .vgpr_count:     0
    .vgpr_spill_count: 0
    .wavefront_size: 64
  - .agpr_count:     0
    .args:
      - .offset:         0
        .size:           40
        .value_kind:     by_value
    .group_segment_fixed_size: 0
    .kernarg_segment_align: 8
    .kernarg_segment_size: 40
    .language:       OpenCL C
    .language_version:
      - 2
      - 0
    .max_flat_workgroup_size: 64
    .name:           _ZN7rocprim17ROCPRIM_400000_NS6detail17trampoline_kernelINS0_14default_configENS1_20scan_config_selectorIxEEZZNS1_9scan_implILNS1_25lookback_scan_determinismE0ELb1ELb1ES3_N6thrust23THRUST_200600_302600_NS6detail15normal_iteratorINS9_10device_ptrIxEEEESE_xNS9_4plusIxEExEEDaPvRmT3_T4_T5_mT6_P12ihipStream_tbENKUlT_T0_E_clISt17integral_constantIbLb0EESU_EEDaSP_SQ_EUlSP_E0_NS1_11comp_targetILNS1_3genE2ELNS1_11target_archE906ELNS1_3gpuE6ELNS1_3repE0EEENS1_30default_config_static_selectorELNS0_4arch9wavefront6targetE1EEEvT1_
    .private_segment_fixed_size: 0
    .sgpr_count:     4
    .sgpr_spill_count: 0
    .symbol:         _ZN7rocprim17ROCPRIM_400000_NS6detail17trampoline_kernelINS0_14default_configENS1_20scan_config_selectorIxEEZZNS1_9scan_implILNS1_25lookback_scan_determinismE0ELb1ELb1ES3_N6thrust23THRUST_200600_302600_NS6detail15normal_iteratorINS9_10device_ptrIxEEEESE_xNS9_4plusIxEExEEDaPvRmT3_T4_T5_mT6_P12ihipStream_tbENKUlT_T0_E_clISt17integral_constantIbLb0EESU_EEDaSP_SQ_EUlSP_E0_NS1_11comp_targetILNS1_3genE2ELNS1_11target_archE906ELNS1_3gpuE6ELNS1_3repE0EEENS1_30default_config_static_selectorELNS0_4arch9wavefront6targetE1EEEvT1_.kd
    .uniform_work_group_size: 1
    .uses_dynamic_stack: false
    .vgpr_count:     0
    .vgpr_spill_count: 0
    .wavefront_size: 64
  - .agpr_count:     0
    .args:
      - .offset:         0
        .size:           40
        .value_kind:     by_value
    .group_segment_fixed_size: 0
    .kernarg_segment_align: 8
    .kernarg_segment_size: 40
    .language:       OpenCL C
    .language_version:
      - 2
      - 0
    .max_flat_workgroup_size: 256
    .name:           _ZN7rocprim17ROCPRIM_400000_NS6detail17trampoline_kernelINS0_14default_configENS1_20scan_config_selectorIxEEZZNS1_9scan_implILNS1_25lookback_scan_determinismE0ELb1ELb1ES3_N6thrust23THRUST_200600_302600_NS6detail15normal_iteratorINS9_10device_ptrIxEEEESE_xNS9_4plusIxEExEEDaPvRmT3_T4_T5_mT6_P12ihipStream_tbENKUlT_T0_E_clISt17integral_constantIbLb0EESU_EEDaSP_SQ_EUlSP_E0_NS1_11comp_targetILNS1_3genE10ELNS1_11target_archE1201ELNS1_3gpuE5ELNS1_3repE0EEENS1_30default_config_static_selectorELNS0_4arch9wavefront6targetE1EEEvT1_
    .private_segment_fixed_size: 0
    .sgpr_count:     4
    .sgpr_spill_count: 0
    .symbol:         _ZN7rocprim17ROCPRIM_400000_NS6detail17trampoline_kernelINS0_14default_configENS1_20scan_config_selectorIxEEZZNS1_9scan_implILNS1_25lookback_scan_determinismE0ELb1ELb1ES3_N6thrust23THRUST_200600_302600_NS6detail15normal_iteratorINS9_10device_ptrIxEEEESE_xNS9_4plusIxEExEEDaPvRmT3_T4_T5_mT6_P12ihipStream_tbENKUlT_T0_E_clISt17integral_constantIbLb0EESU_EEDaSP_SQ_EUlSP_E0_NS1_11comp_targetILNS1_3genE10ELNS1_11target_archE1201ELNS1_3gpuE5ELNS1_3repE0EEENS1_30default_config_static_selectorELNS0_4arch9wavefront6targetE1EEEvT1_.kd
    .uniform_work_group_size: 1
    .uses_dynamic_stack: false
    .vgpr_count:     0
    .vgpr_spill_count: 0
    .wavefront_size: 64
  - .agpr_count:     0
    .args:
      - .offset:         0
        .size:           40
        .value_kind:     by_value
    .group_segment_fixed_size: 0
    .kernarg_segment_align: 8
    .kernarg_segment_size: 40
    .language:       OpenCL C
    .language_version:
      - 2
      - 0
    .max_flat_workgroup_size: 256
    .name:           _ZN7rocprim17ROCPRIM_400000_NS6detail17trampoline_kernelINS0_14default_configENS1_20scan_config_selectorIxEEZZNS1_9scan_implILNS1_25lookback_scan_determinismE0ELb1ELb1ES3_N6thrust23THRUST_200600_302600_NS6detail15normal_iteratorINS9_10device_ptrIxEEEESE_xNS9_4plusIxEExEEDaPvRmT3_T4_T5_mT6_P12ihipStream_tbENKUlT_T0_E_clISt17integral_constantIbLb0EESU_EEDaSP_SQ_EUlSP_E0_NS1_11comp_targetILNS1_3genE10ELNS1_11target_archE1200ELNS1_3gpuE4ELNS1_3repE0EEENS1_30default_config_static_selectorELNS0_4arch9wavefront6targetE1EEEvT1_
    .private_segment_fixed_size: 0
    .sgpr_count:     4
    .sgpr_spill_count: 0
    .symbol:         _ZN7rocprim17ROCPRIM_400000_NS6detail17trampoline_kernelINS0_14default_configENS1_20scan_config_selectorIxEEZZNS1_9scan_implILNS1_25lookback_scan_determinismE0ELb1ELb1ES3_N6thrust23THRUST_200600_302600_NS6detail15normal_iteratorINS9_10device_ptrIxEEEESE_xNS9_4plusIxEExEEDaPvRmT3_T4_T5_mT6_P12ihipStream_tbENKUlT_T0_E_clISt17integral_constantIbLb0EESU_EEDaSP_SQ_EUlSP_E0_NS1_11comp_targetILNS1_3genE10ELNS1_11target_archE1200ELNS1_3gpuE4ELNS1_3repE0EEENS1_30default_config_static_selectorELNS0_4arch9wavefront6targetE1EEEvT1_.kd
    .uniform_work_group_size: 1
    .uses_dynamic_stack: false
    .vgpr_count:     0
    .vgpr_spill_count: 0
    .wavefront_size: 64
  - .agpr_count:     0
    .args:
      - .offset:         0
        .size:           40
        .value_kind:     by_value
    .group_segment_fixed_size: 0
    .kernarg_segment_align: 8
    .kernarg_segment_size: 40
    .language:       OpenCL C
    .language_version:
      - 2
      - 0
    .max_flat_workgroup_size: 256
    .name:           _ZN7rocprim17ROCPRIM_400000_NS6detail17trampoline_kernelINS0_14default_configENS1_20scan_config_selectorIxEEZZNS1_9scan_implILNS1_25lookback_scan_determinismE0ELb1ELb1ES3_N6thrust23THRUST_200600_302600_NS6detail15normal_iteratorINS9_10device_ptrIxEEEESE_xNS9_4plusIxEExEEDaPvRmT3_T4_T5_mT6_P12ihipStream_tbENKUlT_T0_E_clISt17integral_constantIbLb0EESU_EEDaSP_SQ_EUlSP_E0_NS1_11comp_targetILNS1_3genE9ELNS1_11target_archE1100ELNS1_3gpuE3ELNS1_3repE0EEENS1_30default_config_static_selectorELNS0_4arch9wavefront6targetE1EEEvT1_
    .private_segment_fixed_size: 0
    .sgpr_count:     4
    .sgpr_spill_count: 0
    .symbol:         _ZN7rocprim17ROCPRIM_400000_NS6detail17trampoline_kernelINS0_14default_configENS1_20scan_config_selectorIxEEZZNS1_9scan_implILNS1_25lookback_scan_determinismE0ELb1ELb1ES3_N6thrust23THRUST_200600_302600_NS6detail15normal_iteratorINS9_10device_ptrIxEEEESE_xNS9_4plusIxEExEEDaPvRmT3_T4_T5_mT6_P12ihipStream_tbENKUlT_T0_E_clISt17integral_constantIbLb0EESU_EEDaSP_SQ_EUlSP_E0_NS1_11comp_targetILNS1_3genE9ELNS1_11target_archE1100ELNS1_3gpuE3ELNS1_3repE0EEENS1_30default_config_static_selectorELNS0_4arch9wavefront6targetE1EEEvT1_.kd
    .uniform_work_group_size: 1
    .uses_dynamic_stack: false
    .vgpr_count:     0
    .vgpr_spill_count: 0
    .wavefront_size: 64
  - .agpr_count:     0
    .args:
      - .offset:         0
        .size:           40
        .value_kind:     by_value
    .group_segment_fixed_size: 0
    .kernarg_segment_align: 8
    .kernarg_segment_size: 40
    .language:       OpenCL C
    .language_version:
      - 2
      - 0
    .max_flat_workgroup_size: 256
    .name:           _ZN7rocprim17ROCPRIM_400000_NS6detail17trampoline_kernelINS0_14default_configENS1_20scan_config_selectorIxEEZZNS1_9scan_implILNS1_25lookback_scan_determinismE0ELb1ELb1ES3_N6thrust23THRUST_200600_302600_NS6detail15normal_iteratorINS9_10device_ptrIxEEEESE_xNS9_4plusIxEExEEDaPvRmT3_T4_T5_mT6_P12ihipStream_tbENKUlT_T0_E_clISt17integral_constantIbLb0EESU_EEDaSP_SQ_EUlSP_E0_NS1_11comp_targetILNS1_3genE8ELNS1_11target_archE1030ELNS1_3gpuE2ELNS1_3repE0EEENS1_30default_config_static_selectorELNS0_4arch9wavefront6targetE1EEEvT1_
    .private_segment_fixed_size: 0
    .sgpr_count:     4
    .sgpr_spill_count: 0
    .symbol:         _ZN7rocprim17ROCPRIM_400000_NS6detail17trampoline_kernelINS0_14default_configENS1_20scan_config_selectorIxEEZZNS1_9scan_implILNS1_25lookback_scan_determinismE0ELb1ELb1ES3_N6thrust23THRUST_200600_302600_NS6detail15normal_iteratorINS9_10device_ptrIxEEEESE_xNS9_4plusIxEExEEDaPvRmT3_T4_T5_mT6_P12ihipStream_tbENKUlT_T0_E_clISt17integral_constantIbLb0EESU_EEDaSP_SQ_EUlSP_E0_NS1_11comp_targetILNS1_3genE8ELNS1_11target_archE1030ELNS1_3gpuE2ELNS1_3repE0EEENS1_30default_config_static_selectorELNS0_4arch9wavefront6targetE1EEEvT1_.kd
    .uniform_work_group_size: 1
    .uses_dynamic_stack: false
    .vgpr_count:     0
    .vgpr_spill_count: 0
    .wavefront_size: 64
  - .agpr_count:     0
    .args:
      - .offset:         0
        .size:           104
        .value_kind:     by_value
    .group_segment_fixed_size: 0
    .kernarg_segment_align: 8
    .kernarg_segment_size: 104
    .language:       OpenCL C
    .language_version:
      - 2
      - 0
    .max_flat_workgroup_size: 256
    .name:           _ZN7rocprim17ROCPRIM_400000_NS6detail17trampoline_kernelINS0_14default_configENS1_20scan_config_selectorIxEEZZNS1_9scan_implILNS1_25lookback_scan_determinismE0ELb1ELb1ES3_N6thrust23THRUST_200600_302600_NS6detail15normal_iteratorINS9_10device_ptrIxEEEESE_xNS9_4plusIxEExEEDaPvRmT3_T4_T5_mT6_P12ihipStream_tbENKUlT_T0_E_clISt17integral_constantIbLb1EESU_EEDaSP_SQ_EUlSP_E_NS1_11comp_targetILNS1_3genE0ELNS1_11target_archE4294967295ELNS1_3gpuE0ELNS1_3repE0EEENS1_30default_config_static_selectorELNS0_4arch9wavefront6targetE1EEEvT1_
    .private_segment_fixed_size: 0
    .sgpr_count:     4
    .sgpr_spill_count: 0
    .symbol:         _ZN7rocprim17ROCPRIM_400000_NS6detail17trampoline_kernelINS0_14default_configENS1_20scan_config_selectorIxEEZZNS1_9scan_implILNS1_25lookback_scan_determinismE0ELb1ELb1ES3_N6thrust23THRUST_200600_302600_NS6detail15normal_iteratorINS9_10device_ptrIxEEEESE_xNS9_4plusIxEExEEDaPvRmT3_T4_T5_mT6_P12ihipStream_tbENKUlT_T0_E_clISt17integral_constantIbLb1EESU_EEDaSP_SQ_EUlSP_E_NS1_11comp_targetILNS1_3genE0ELNS1_11target_archE4294967295ELNS1_3gpuE0ELNS1_3repE0EEENS1_30default_config_static_selectorELNS0_4arch9wavefront6targetE1EEEvT1_.kd
    .uniform_work_group_size: 1
    .uses_dynamic_stack: false
    .vgpr_count:     0
    .vgpr_spill_count: 0
    .wavefront_size: 64
  - .agpr_count:     0
    .args:
      - .offset:         0
        .size:           104
        .value_kind:     by_value
    .group_segment_fixed_size: 0
    .kernarg_segment_align: 8
    .kernarg_segment_size: 104
    .language:       OpenCL C
    .language_version:
      - 2
      - 0
    .max_flat_workgroup_size: 256
    .name:           _ZN7rocprim17ROCPRIM_400000_NS6detail17trampoline_kernelINS0_14default_configENS1_20scan_config_selectorIxEEZZNS1_9scan_implILNS1_25lookback_scan_determinismE0ELb1ELb1ES3_N6thrust23THRUST_200600_302600_NS6detail15normal_iteratorINS9_10device_ptrIxEEEESE_xNS9_4plusIxEExEEDaPvRmT3_T4_T5_mT6_P12ihipStream_tbENKUlT_T0_E_clISt17integral_constantIbLb1EESU_EEDaSP_SQ_EUlSP_E_NS1_11comp_targetILNS1_3genE5ELNS1_11target_archE942ELNS1_3gpuE9ELNS1_3repE0EEENS1_30default_config_static_selectorELNS0_4arch9wavefront6targetE1EEEvT1_
    .private_segment_fixed_size: 0
    .sgpr_count:     4
    .sgpr_spill_count: 0
    .symbol:         _ZN7rocprim17ROCPRIM_400000_NS6detail17trampoline_kernelINS0_14default_configENS1_20scan_config_selectorIxEEZZNS1_9scan_implILNS1_25lookback_scan_determinismE0ELb1ELb1ES3_N6thrust23THRUST_200600_302600_NS6detail15normal_iteratorINS9_10device_ptrIxEEEESE_xNS9_4plusIxEExEEDaPvRmT3_T4_T5_mT6_P12ihipStream_tbENKUlT_T0_E_clISt17integral_constantIbLb1EESU_EEDaSP_SQ_EUlSP_E_NS1_11comp_targetILNS1_3genE5ELNS1_11target_archE942ELNS1_3gpuE9ELNS1_3repE0EEENS1_30default_config_static_selectorELNS0_4arch9wavefront6targetE1EEEvT1_.kd
    .uniform_work_group_size: 1
    .uses_dynamic_stack: false
    .vgpr_count:     0
    .vgpr_spill_count: 0
    .wavefront_size: 64
  - .agpr_count:     0
    .args:
      - .offset:         0
        .size:           104
        .value_kind:     by_value
    .group_segment_fixed_size: 7168
    .kernarg_segment_align: 8
    .kernarg_segment_size: 104
    .language:       OpenCL C
    .language_version:
      - 2
      - 0
    .max_flat_workgroup_size: 128
    .name:           _ZN7rocprim17ROCPRIM_400000_NS6detail17trampoline_kernelINS0_14default_configENS1_20scan_config_selectorIxEEZZNS1_9scan_implILNS1_25lookback_scan_determinismE0ELb1ELb1ES3_N6thrust23THRUST_200600_302600_NS6detail15normal_iteratorINS9_10device_ptrIxEEEESE_xNS9_4plusIxEExEEDaPvRmT3_T4_T5_mT6_P12ihipStream_tbENKUlT_T0_E_clISt17integral_constantIbLb1EESU_EEDaSP_SQ_EUlSP_E_NS1_11comp_targetILNS1_3genE4ELNS1_11target_archE910ELNS1_3gpuE8ELNS1_3repE0EEENS1_30default_config_static_selectorELNS0_4arch9wavefront6targetE1EEEvT1_
    .private_segment_fixed_size: 0
    .sgpr_count:     46
    .sgpr_spill_count: 0
    .symbol:         _ZN7rocprim17ROCPRIM_400000_NS6detail17trampoline_kernelINS0_14default_configENS1_20scan_config_selectorIxEEZZNS1_9scan_implILNS1_25lookback_scan_determinismE0ELb1ELb1ES3_N6thrust23THRUST_200600_302600_NS6detail15normal_iteratorINS9_10device_ptrIxEEEESE_xNS9_4plusIxEExEEDaPvRmT3_T4_T5_mT6_P12ihipStream_tbENKUlT_T0_E_clISt17integral_constantIbLb1EESU_EEDaSP_SQ_EUlSP_E_NS1_11comp_targetILNS1_3genE4ELNS1_11target_archE910ELNS1_3gpuE8ELNS1_3repE0EEENS1_30default_config_static_selectorELNS0_4arch9wavefront6targetE1EEEvT1_.kd
    .uniform_work_group_size: 1
    .uses_dynamic_stack: false
    .vgpr_count:     51
    .vgpr_spill_count: 0
    .wavefront_size: 64
  - .agpr_count:     0
    .args:
      - .offset:         0
        .size:           104
        .value_kind:     by_value
    .group_segment_fixed_size: 0
    .kernarg_segment_align: 8
    .kernarg_segment_size: 104
    .language:       OpenCL C
    .language_version:
      - 2
      - 0
    .max_flat_workgroup_size: 256
    .name:           _ZN7rocprim17ROCPRIM_400000_NS6detail17trampoline_kernelINS0_14default_configENS1_20scan_config_selectorIxEEZZNS1_9scan_implILNS1_25lookback_scan_determinismE0ELb1ELb1ES3_N6thrust23THRUST_200600_302600_NS6detail15normal_iteratorINS9_10device_ptrIxEEEESE_xNS9_4plusIxEExEEDaPvRmT3_T4_T5_mT6_P12ihipStream_tbENKUlT_T0_E_clISt17integral_constantIbLb1EESU_EEDaSP_SQ_EUlSP_E_NS1_11comp_targetILNS1_3genE3ELNS1_11target_archE908ELNS1_3gpuE7ELNS1_3repE0EEENS1_30default_config_static_selectorELNS0_4arch9wavefront6targetE1EEEvT1_
    .private_segment_fixed_size: 0
    .sgpr_count:     4
    .sgpr_spill_count: 0
    .symbol:         _ZN7rocprim17ROCPRIM_400000_NS6detail17trampoline_kernelINS0_14default_configENS1_20scan_config_selectorIxEEZZNS1_9scan_implILNS1_25lookback_scan_determinismE0ELb1ELb1ES3_N6thrust23THRUST_200600_302600_NS6detail15normal_iteratorINS9_10device_ptrIxEEEESE_xNS9_4plusIxEExEEDaPvRmT3_T4_T5_mT6_P12ihipStream_tbENKUlT_T0_E_clISt17integral_constantIbLb1EESU_EEDaSP_SQ_EUlSP_E_NS1_11comp_targetILNS1_3genE3ELNS1_11target_archE908ELNS1_3gpuE7ELNS1_3repE0EEENS1_30default_config_static_selectorELNS0_4arch9wavefront6targetE1EEEvT1_.kd
    .uniform_work_group_size: 1
    .uses_dynamic_stack: false
    .vgpr_count:     0
    .vgpr_spill_count: 0
    .wavefront_size: 64
  - .agpr_count:     0
    .args:
      - .offset:         0
        .size:           104
        .value_kind:     by_value
    .group_segment_fixed_size: 0
    .kernarg_segment_align: 8
    .kernarg_segment_size: 104
    .language:       OpenCL C
    .language_version:
      - 2
      - 0
    .max_flat_workgroup_size: 64
    .name:           _ZN7rocprim17ROCPRIM_400000_NS6detail17trampoline_kernelINS0_14default_configENS1_20scan_config_selectorIxEEZZNS1_9scan_implILNS1_25lookback_scan_determinismE0ELb1ELb1ES3_N6thrust23THRUST_200600_302600_NS6detail15normal_iteratorINS9_10device_ptrIxEEEESE_xNS9_4plusIxEExEEDaPvRmT3_T4_T5_mT6_P12ihipStream_tbENKUlT_T0_E_clISt17integral_constantIbLb1EESU_EEDaSP_SQ_EUlSP_E_NS1_11comp_targetILNS1_3genE2ELNS1_11target_archE906ELNS1_3gpuE6ELNS1_3repE0EEENS1_30default_config_static_selectorELNS0_4arch9wavefront6targetE1EEEvT1_
    .private_segment_fixed_size: 0
    .sgpr_count:     4
    .sgpr_spill_count: 0
    .symbol:         _ZN7rocprim17ROCPRIM_400000_NS6detail17trampoline_kernelINS0_14default_configENS1_20scan_config_selectorIxEEZZNS1_9scan_implILNS1_25lookback_scan_determinismE0ELb1ELb1ES3_N6thrust23THRUST_200600_302600_NS6detail15normal_iteratorINS9_10device_ptrIxEEEESE_xNS9_4plusIxEExEEDaPvRmT3_T4_T5_mT6_P12ihipStream_tbENKUlT_T0_E_clISt17integral_constantIbLb1EESU_EEDaSP_SQ_EUlSP_E_NS1_11comp_targetILNS1_3genE2ELNS1_11target_archE906ELNS1_3gpuE6ELNS1_3repE0EEENS1_30default_config_static_selectorELNS0_4arch9wavefront6targetE1EEEvT1_.kd
    .uniform_work_group_size: 1
    .uses_dynamic_stack: false
    .vgpr_count:     0
    .vgpr_spill_count: 0
    .wavefront_size: 64
  - .agpr_count:     0
    .args:
      - .offset:         0
        .size:           104
        .value_kind:     by_value
    .group_segment_fixed_size: 0
    .kernarg_segment_align: 8
    .kernarg_segment_size: 104
    .language:       OpenCL C
    .language_version:
      - 2
      - 0
    .max_flat_workgroup_size: 256
    .name:           _ZN7rocprim17ROCPRIM_400000_NS6detail17trampoline_kernelINS0_14default_configENS1_20scan_config_selectorIxEEZZNS1_9scan_implILNS1_25lookback_scan_determinismE0ELb1ELb1ES3_N6thrust23THRUST_200600_302600_NS6detail15normal_iteratorINS9_10device_ptrIxEEEESE_xNS9_4plusIxEExEEDaPvRmT3_T4_T5_mT6_P12ihipStream_tbENKUlT_T0_E_clISt17integral_constantIbLb1EESU_EEDaSP_SQ_EUlSP_E_NS1_11comp_targetILNS1_3genE10ELNS1_11target_archE1201ELNS1_3gpuE5ELNS1_3repE0EEENS1_30default_config_static_selectorELNS0_4arch9wavefront6targetE1EEEvT1_
    .private_segment_fixed_size: 0
    .sgpr_count:     4
    .sgpr_spill_count: 0
    .symbol:         _ZN7rocprim17ROCPRIM_400000_NS6detail17trampoline_kernelINS0_14default_configENS1_20scan_config_selectorIxEEZZNS1_9scan_implILNS1_25lookback_scan_determinismE0ELb1ELb1ES3_N6thrust23THRUST_200600_302600_NS6detail15normal_iteratorINS9_10device_ptrIxEEEESE_xNS9_4plusIxEExEEDaPvRmT3_T4_T5_mT6_P12ihipStream_tbENKUlT_T0_E_clISt17integral_constantIbLb1EESU_EEDaSP_SQ_EUlSP_E_NS1_11comp_targetILNS1_3genE10ELNS1_11target_archE1201ELNS1_3gpuE5ELNS1_3repE0EEENS1_30default_config_static_selectorELNS0_4arch9wavefront6targetE1EEEvT1_.kd
    .uniform_work_group_size: 1
    .uses_dynamic_stack: false
    .vgpr_count:     0
    .vgpr_spill_count: 0
    .wavefront_size: 64
  - .agpr_count:     0
    .args:
      - .offset:         0
        .size:           104
        .value_kind:     by_value
    .group_segment_fixed_size: 0
    .kernarg_segment_align: 8
    .kernarg_segment_size: 104
    .language:       OpenCL C
    .language_version:
      - 2
      - 0
    .max_flat_workgroup_size: 256
    .name:           _ZN7rocprim17ROCPRIM_400000_NS6detail17trampoline_kernelINS0_14default_configENS1_20scan_config_selectorIxEEZZNS1_9scan_implILNS1_25lookback_scan_determinismE0ELb1ELb1ES3_N6thrust23THRUST_200600_302600_NS6detail15normal_iteratorINS9_10device_ptrIxEEEESE_xNS9_4plusIxEExEEDaPvRmT3_T4_T5_mT6_P12ihipStream_tbENKUlT_T0_E_clISt17integral_constantIbLb1EESU_EEDaSP_SQ_EUlSP_E_NS1_11comp_targetILNS1_3genE10ELNS1_11target_archE1200ELNS1_3gpuE4ELNS1_3repE0EEENS1_30default_config_static_selectorELNS0_4arch9wavefront6targetE1EEEvT1_
    .private_segment_fixed_size: 0
    .sgpr_count:     4
    .sgpr_spill_count: 0
    .symbol:         _ZN7rocprim17ROCPRIM_400000_NS6detail17trampoline_kernelINS0_14default_configENS1_20scan_config_selectorIxEEZZNS1_9scan_implILNS1_25lookback_scan_determinismE0ELb1ELb1ES3_N6thrust23THRUST_200600_302600_NS6detail15normal_iteratorINS9_10device_ptrIxEEEESE_xNS9_4plusIxEExEEDaPvRmT3_T4_T5_mT6_P12ihipStream_tbENKUlT_T0_E_clISt17integral_constantIbLb1EESU_EEDaSP_SQ_EUlSP_E_NS1_11comp_targetILNS1_3genE10ELNS1_11target_archE1200ELNS1_3gpuE4ELNS1_3repE0EEENS1_30default_config_static_selectorELNS0_4arch9wavefront6targetE1EEEvT1_.kd
    .uniform_work_group_size: 1
    .uses_dynamic_stack: false
    .vgpr_count:     0
    .vgpr_spill_count: 0
    .wavefront_size: 64
  - .agpr_count:     0
    .args:
      - .offset:         0
        .size:           104
        .value_kind:     by_value
    .group_segment_fixed_size: 0
    .kernarg_segment_align: 8
    .kernarg_segment_size: 104
    .language:       OpenCL C
    .language_version:
      - 2
      - 0
    .max_flat_workgroup_size: 256
    .name:           _ZN7rocprim17ROCPRIM_400000_NS6detail17trampoline_kernelINS0_14default_configENS1_20scan_config_selectorIxEEZZNS1_9scan_implILNS1_25lookback_scan_determinismE0ELb1ELb1ES3_N6thrust23THRUST_200600_302600_NS6detail15normal_iteratorINS9_10device_ptrIxEEEESE_xNS9_4plusIxEExEEDaPvRmT3_T4_T5_mT6_P12ihipStream_tbENKUlT_T0_E_clISt17integral_constantIbLb1EESU_EEDaSP_SQ_EUlSP_E_NS1_11comp_targetILNS1_3genE9ELNS1_11target_archE1100ELNS1_3gpuE3ELNS1_3repE0EEENS1_30default_config_static_selectorELNS0_4arch9wavefront6targetE1EEEvT1_
    .private_segment_fixed_size: 0
    .sgpr_count:     4
    .sgpr_spill_count: 0
    .symbol:         _ZN7rocprim17ROCPRIM_400000_NS6detail17trampoline_kernelINS0_14default_configENS1_20scan_config_selectorIxEEZZNS1_9scan_implILNS1_25lookback_scan_determinismE0ELb1ELb1ES3_N6thrust23THRUST_200600_302600_NS6detail15normal_iteratorINS9_10device_ptrIxEEEESE_xNS9_4plusIxEExEEDaPvRmT3_T4_T5_mT6_P12ihipStream_tbENKUlT_T0_E_clISt17integral_constantIbLb1EESU_EEDaSP_SQ_EUlSP_E_NS1_11comp_targetILNS1_3genE9ELNS1_11target_archE1100ELNS1_3gpuE3ELNS1_3repE0EEENS1_30default_config_static_selectorELNS0_4arch9wavefront6targetE1EEEvT1_.kd
    .uniform_work_group_size: 1
    .uses_dynamic_stack: false
    .vgpr_count:     0
    .vgpr_spill_count: 0
    .wavefront_size: 64
  - .agpr_count:     0
    .args:
      - .offset:         0
        .size:           104
        .value_kind:     by_value
    .group_segment_fixed_size: 0
    .kernarg_segment_align: 8
    .kernarg_segment_size: 104
    .language:       OpenCL C
    .language_version:
      - 2
      - 0
    .max_flat_workgroup_size: 256
    .name:           _ZN7rocprim17ROCPRIM_400000_NS6detail17trampoline_kernelINS0_14default_configENS1_20scan_config_selectorIxEEZZNS1_9scan_implILNS1_25lookback_scan_determinismE0ELb1ELb1ES3_N6thrust23THRUST_200600_302600_NS6detail15normal_iteratorINS9_10device_ptrIxEEEESE_xNS9_4plusIxEExEEDaPvRmT3_T4_T5_mT6_P12ihipStream_tbENKUlT_T0_E_clISt17integral_constantIbLb1EESU_EEDaSP_SQ_EUlSP_E_NS1_11comp_targetILNS1_3genE8ELNS1_11target_archE1030ELNS1_3gpuE2ELNS1_3repE0EEENS1_30default_config_static_selectorELNS0_4arch9wavefront6targetE1EEEvT1_
    .private_segment_fixed_size: 0
    .sgpr_count:     4
    .sgpr_spill_count: 0
    .symbol:         _ZN7rocprim17ROCPRIM_400000_NS6detail17trampoline_kernelINS0_14default_configENS1_20scan_config_selectorIxEEZZNS1_9scan_implILNS1_25lookback_scan_determinismE0ELb1ELb1ES3_N6thrust23THRUST_200600_302600_NS6detail15normal_iteratorINS9_10device_ptrIxEEEESE_xNS9_4plusIxEExEEDaPvRmT3_T4_T5_mT6_P12ihipStream_tbENKUlT_T0_E_clISt17integral_constantIbLb1EESU_EEDaSP_SQ_EUlSP_E_NS1_11comp_targetILNS1_3genE8ELNS1_11target_archE1030ELNS1_3gpuE2ELNS1_3repE0EEENS1_30default_config_static_selectorELNS0_4arch9wavefront6targetE1EEEvT1_.kd
    .uniform_work_group_size: 1
    .uses_dynamic_stack: false
    .vgpr_count:     0
    .vgpr_spill_count: 0
    .wavefront_size: 64
  - .agpr_count:     0
    .args:
      - .offset:         0
        .size:           40
        .value_kind:     by_value
    .group_segment_fixed_size: 0
    .kernarg_segment_align: 8
    .kernarg_segment_size: 40
    .language:       OpenCL C
    .language_version:
      - 2
      - 0
    .max_flat_workgroup_size: 256
    .name:           _ZN7rocprim17ROCPRIM_400000_NS6detail17trampoline_kernelINS0_14default_configENS1_20scan_config_selectorIxEEZZNS1_9scan_implILNS1_25lookback_scan_determinismE0ELb1ELb1ES3_N6thrust23THRUST_200600_302600_NS6detail15normal_iteratorINS9_10device_ptrIxEEEESE_xNS9_4plusIxEExEEDaPvRmT3_T4_T5_mT6_P12ihipStream_tbENKUlT_T0_E_clISt17integral_constantIbLb1EESU_EEDaSP_SQ_EUlSP_E0_NS1_11comp_targetILNS1_3genE0ELNS1_11target_archE4294967295ELNS1_3gpuE0ELNS1_3repE0EEENS1_30default_config_static_selectorELNS0_4arch9wavefront6targetE1EEEvT1_
    .private_segment_fixed_size: 0
    .sgpr_count:     4
    .sgpr_spill_count: 0
    .symbol:         _ZN7rocprim17ROCPRIM_400000_NS6detail17trampoline_kernelINS0_14default_configENS1_20scan_config_selectorIxEEZZNS1_9scan_implILNS1_25lookback_scan_determinismE0ELb1ELb1ES3_N6thrust23THRUST_200600_302600_NS6detail15normal_iteratorINS9_10device_ptrIxEEEESE_xNS9_4plusIxEExEEDaPvRmT3_T4_T5_mT6_P12ihipStream_tbENKUlT_T0_E_clISt17integral_constantIbLb1EESU_EEDaSP_SQ_EUlSP_E0_NS1_11comp_targetILNS1_3genE0ELNS1_11target_archE4294967295ELNS1_3gpuE0ELNS1_3repE0EEENS1_30default_config_static_selectorELNS0_4arch9wavefront6targetE1EEEvT1_.kd
    .uniform_work_group_size: 1
    .uses_dynamic_stack: false
    .vgpr_count:     0
    .vgpr_spill_count: 0
    .wavefront_size: 64
  - .agpr_count:     0
    .args:
      - .offset:         0
        .size:           40
        .value_kind:     by_value
    .group_segment_fixed_size: 0
    .kernarg_segment_align: 8
    .kernarg_segment_size: 40
    .language:       OpenCL C
    .language_version:
      - 2
      - 0
    .max_flat_workgroup_size: 256
    .name:           _ZN7rocprim17ROCPRIM_400000_NS6detail17trampoline_kernelINS0_14default_configENS1_20scan_config_selectorIxEEZZNS1_9scan_implILNS1_25lookback_scan_determinismE0ELb1ELb1ES3_N6thrust23THRUST_200600_302600_NS6detail15normal_iteratorINS9_10device_ptrIxEEEESE_xNS9_4plusIxEExEEDaPvRmT3_T4_T5_mT6_P12ihipStream_tbENKUlT_T0_E_clISt17integral_constantIbLb1EESU_EEDaSP_SQ_EUlSP_E0_NS1_11comp_targetILNS1_3genE5ELNS1_11target_archE942ELNS1_3gpuE9ELNS1_3repE0EEENS1_30default_config_static_selectorELNS0_4arch9wavefront6targetE1EEEvT1_
    .private_segment_fixed_size: 0
    .sgpr_count:     4
    .sgpr_spill_count: 0
    .symbol:         _ZN7rocprim17ROCPRIM_400000_NS6detail17trampoline_kernelINS0_14default_configENS1_20scan_config_selectorIxEEZZNS1_9scan_implILNS1_25lookback_scan_determinismE0ELb1ELb1ES3_N6thrust23THRUST_200600_302600_NS6detail15normal_iteratorINS9_10device_ptrIxEEEESE_xNS9_4plusIxEExEEDaPvRmT3_T4_T5_mT6_P12ihipStream_tbENKUlT_T0_E_clISt17integral_constantIbLb1EESU_EEDaSP_SQ_EUlSP_E0_NS1_11comp_targetILNS1_3genE5ELNS1_11target_archE942ELNS1_3gpuE9ELNS1_3repE0EEENS1_30default_config_static_selectorELNS0_4arch9wavefront6targetE1EEEvT1_.kd
    .uniform_work_group_size: 1
    .uses_dynamic_stack: false
    .vgpr_count:     0
    .vgpr_spill_count: 0
    .wavefront_size: 64
  - .agpr_count:     0
    .args:
      - .offset:         0
        .size:           40
        .value_kind:     by_value
    .group_segment_fixed_size: 7168
    .kernarg_segment_align: 8
    .kernarg_segment_size: 40
    .language:       OpenCL C
    .language_version:
      - 2
      - 0
    .max_flat_workgroup_size: 128
    .name:           _ZN7rocprim17ROCPRIM_400000_NS6detail17trampoline_kernelINS0_14default_configENS1_20scan_config_selectorIxEEZZNS1_9scan_implILNS1_25lookback_scan_determinismE0ELb1ELb1ES3_N6thrust23THRUST_200600_302600_NS6detail15normal_iteratorINS9_10device_ptrIxEEEESE_xNS9_4plusIxEExEEDaPvRmT3_T4_T5_mT6_P12ihipStream_tbENKUlT_T0_E_clISt17integral_constantIbLb1EESU_EEDaSP_SQ_EUlSP_E0_NS1_11comp_targetILNS1_3genE4ELNS1_11target_archE910ELNS1_3gpuE8ELNS1_3repE0EEENS1_30default_config_static_selectorELNS0_4arch9wavefront6targetE1EEEvT1_
    .private_segment_fixed_size: 0
    .sgpr_count:     28
    .sgpr_spill_count: 0
    .symbol:         _ZN7rocprim17ROCPRIM_400000_NS6detail17trampoline_kernelINS0_14default_configENS1_20scan_config_selectorIxEEZZNS1_9scan_implILNS1_25lookback_scan_determinismE0ELb1ELb1ES3_N6thrust23THRUST_200600_302600_NS6detail15normal_iteratorINS9_10device_ptrIxEEEESE_xNS9_4plusIxEExEEDaPvRmT3_T4_T5_mT6_P12ihipStream_tbENKUlT_T0_E_clISt17integral_constantIbLb1EESU_EEDaSP_SQ_EUlSP_E0_NS1_11comp_targetILNS1_3genE4ELNS1_11target_archE910ELNS1_3gpuE8ELNS1_3repE0EEENS1_30default_config_static_selectorELNS0_4arch9wavefront6targetE1EEEvT1_.kd
    .uniform_work_group_size: 1
    .uses_dynamic_stack: false
    .vgpr_count:     29
    .vgpr_spill_count: 0
    .wavefront_size: 64
  - .agpr_count:     0
    .args:
      - .offset:         0
        .size:           40
        .value_kind:     by_value
    .group_segment_fixed_size: 0
    .kernarg_segment_align: 8
    .kernarg_segment_size: 40
    .language:       OpenCL C
    .language_version:
      - 2
      - 0
    .max_flat_workgroup_size: 256
    .name:           _ZN7rocprim17ROCPRIM_400000_NS6detail17trampoline_kernelINS0_14default_configENS1_20scan_config_selectorIxEEZZNS1_9scan_implILNS1_25lookback_scan_determinismE0ELb1ELb1ES3_N6thrust23THRUST_200600_302600_NS6detail15normal_iteratorINS9_10device_ptrIxEEEESE_xNS9_4plusIxEExEEDaPvRmT3_T4_T5_mT6_P12ihipStream_tbENKUlT_T0_E_clISt17integral_constantIbLb1EESU_EEDaSP_SQ_EUlSP_E0_NS1_11comp_targetILNS1_3genE3ELNS1_11target_archE908ELNS1_3gpuE7ELNS1_3repE0EEENS1_30default_config_static_selectorELNS0_4arch9wavefront6targetE1EEEvT1_
    .private_segment_fixed_size: 0
    .sgpr_count:     4
    .sgpr_spill_count: 0
    .symbol:         _ZN7rocprim17ROCPRIM_400000_NS6detail17trampoline_kernelINS0_14default_configENS1_20scan_config_selectorIxEEZZNS1_9scan_implILNS1_25lookback_scan_determinismE0ELb1ELb1ES3_N6thrust23THRUST_200600_302600_NS6detail15normal_iteratorINS9_10device_ptrIxEEEESE_xNS9_4plusIxEExEEDaPvRmT3_T4_T5_mT6_P12ihipStream_tbENKUlT_T0_E_clISt17integral_constantIbLb1EESU_EEDaSP_SQ_EUlSP_E0_NS1_11comp_targetILNS1_3genE3ELNS1_11target_archE908ELNS1_3gpuE7ELNS1_3repE0EEENS1_30default_config_static_selectorELNS0_4arch9wavefront6targetE1EEEvT1_.kd
    .uniform_work_group_size: 1
    .uses_dynamic_stack: false
    .vgpr_count:     0
    .vgpr_spill_count: 0
    .wavefront_size: 64
  - .agpr_count:     0
    .args:
      - .offset:         0
        .size:           40
        .value_kind:     by_value
    .group_segment_fixed_size: 0
    .kernarg_segment_align: 8
    .kernarg_segment_size: 40
    .language:       OpenCL C
    .language_version:
      - 2
      - 0
    .max_flat_workgroup_size: 64
    .name:           _ZN7rocprim17ROCPRIM_400000_NS6detail17trampoline_kernelINS0_14default_configENS1_20scan_config_selectorIxEEZZNS1_9scan_implILNS1_25lookback_scan_determinismE0ELb1ELb1ES3_N6thrust23THRUST_200600_302600_NS6detail15normal_iteratorINS9_10device_ptrIxEEEESE_xNS9_4plusIxEExEEDaPvRmT3_T4_T5_mT6_P12ihipStream_tbENKUlT_T0_E_clISt17integral_constantIbLb1EESU_EEDaSP_SQ_EUlSP_E0_NS1_11comp_targetILNS1_3genE2ELNS1_11target_archE906ELNS1_3gpuE6ELNS1_3repE0EEENS1_30default_config_static_selectorELNS0_4arch9wavefront6targetE1EEEvT1_
    .private_segment_fixed_size: 0
    .sgpr_count:     4
    .sgpr_spill_count: 0
    .symbol:         _ZN7rocprim17ROCPRIM_400000_NS6detail17trampoline_kernelINS0_14default_configENS1_20scan_config_selectorIxEEZZNS1_9scan_implILNS1_25lookback_scan_determinismE0ELb1ELb1ES3_N6thrust23THRUST_200600_302600_NS6detail15normal_iteratorINS9_10device_ptrIxEEEESE_xNS9_4plusIxEExEEDaPvRmT3_T4_T5_mT6_P12ihipStream_tbENKUlT_T0_E_clISt17integral_constantIbLb1EESU_EEDaSP_SQ_EUlSP_E0_NS1_11comp_targetILNS1_3genE2ELNS1_11target_archE906ELNS1_3gpuE6ELNS1_3repE0EEENS1_30default_config_static_selectorELNS0_4arch9wavefront6targetE1EEEvT1_.kd
    .uniform_work_group_size: 1
    .uses_dynamic_stack: false
    .vgpr_count:     0
    .vgpr_spill_count: 0
    .wavefront_size: 64
  - .agpr_count:     0
    .args:
      - .offset:         0
        .size:           40
        .value_kind:     by_value
    .group_segment_fixed_size: 0
    .kernarg_segment_align: 8
    .kernarg_segment_size: 40
    .language:       OpenCL C
    .language_version:
      - 2
      - 0
    .max_flat_workgroup_size: 256
    .name:           _ZN7rocprim17ROCPRIM_400000_NS6detail17trampoline_kernelINS0_14default_configENS1_20scan_config_selectorIxEEZZNS1_9scan_implILNS1_25lookback_scan_determinismE0ELb1ELb1ES3_N6thrust23THRUST_200600_302600_NS6detail15normal_iteratorINS9_10device_ptrIxEEEESE_xNS9_4plusIxEExEEDaPvRmT3_T4_T5_mT6_P12ihipStream_tbENKUlT_T0_E_clISt17integral_constantIbLb1EESU_EEDaSP_SQ_EUlSP_E0_NS1_11comp_targetILNS1_3genE10ELNS1_11target_archE1201ELNS1_3gpuE5ELNS1_3repE0EEENS1_30default_config_static_selectorELNS0_4arch9wavefront6targetE1EEEvT1_
    .private_segment_fixed_size: 0
    .sgpr_count:     4
    .sgpr_spill_count: 0
    .symbol:         _ZN7rocprim17ROCPRIM_400000_NS6detail17trampoline_kernelINS0_14default_configENS1_20scan_config_selectorIxEEZZNS1_9scan_implILNS1_25lookback_scan_determinismE0ELb1ELb1ES3_N6thrust23THRUST_200600_302600_NS6detail15normal_iteratorINS9_10device_ptrIxEEEESE_xNS9_4plusIxEExEEDaPvRmT3_T4_T5_mT6_P12ihipStream_tbENKUlT_T0_E_clISt17integral_constantIbLb1EESU_EEDaSP_SQ_EUlSP_E0_NS1_11comp_targetILNS1_3genE10ELNS1_11target_archE1201ELNS1_3gpuE5ELNS1_3repE0EEENS1_30default_config_static_selectorELNS0_4arch9wavefront6targetE1EEEvT1_.kd
    .uniform_work_group_size: 1
    .uses_dynamic_stack: false
    .vgpr_count:     0
    .vgpr_spill_count: 0
    .wavefront_size: 64
  - .agpr_count:     0
    .args:
      - .offset:         0
        .size:           40
        .value_kind:     by_value
    .group_segment_fixed_size: 0
    .kernarg_segment_align: 8
    .kernarg_segment_size: 40
    .language:       OpenCL C
    .language_version:
      - 2
      - 0
    .max_flat_workgroup_size: 256
    .name:           _ZN7rocprim17ROCPRIM_400000_NS6detail17trampoline_kernelINS0_14default_configENS1_20scan_config_selectorIxEEZZNS1_9scan_implILNS1_25lookback_scan_determinismE0ELb1ELb1ES3_N6thrust23THRUST_200600_302600_NS6detail15normal_iteratorINS9_10device_ptrIxEEEESE_xNS9_4plusIxEExEEDaPvRmT3_T4_T5_mT6_P12ihipStream_tbENKUlT_T0_E_clISt17integral_constantIbLb1EESU_EEDaSP_SQ_EUlSP_E0_NS1_11comp_targetILNS1_3genE10ELNS1_11target_archE1200ELNS1_3gpuE4ELNS1_3repE0EEENS1_30default_config_static_selectorELNS0_4arch9wavefront6targetE1EEEvT1_
    .private_segment_fixed_size: 0
    .sgpr_count:     4
    .sgpr_spill_count: 0
    .symbol:         _ZN7rocprim17ROCPRIM_400000_NS6detail17trampoline_kernelINS0_14default_configENS1_20scan_config_selectorIxEEZZNS1_9scan_implILNS1_25lookback_scan_determinismE0ELb1ELb1ES3_N6thrust23THRUST_200600_302600_NS6detail15normal_iteratorINS9_10device_ptrIxEEEESE_xNS9_4plusIxEExEEDaPvRmT3_T4_T5_mT6_P12ihipStream_tbENKUlT_T0_E_clISt17integral_constantIbLb1EESU_EEDaSP_SQ_EUlSP_E0_NS1_11comp_targetILNS1_3genE10ELNS1_11target_archE1200ELNS1_3gpuE4ELNS1_3repE0EEENS1_30default_config_static_selectorELNS0_4arch9wavefront6targetE1EEEvT1_.kd
    .uniform_work_group_size: 1
    .uses_dynamic_stack: false
    .vgpr_count:     0
    .vgpr_spill_count: 0
    .wavefront_size: 64
  - .agpr_count:     0
    .args:
      - .offset:         0
        .size:           40
        .value_kind:     by_value
    .group_segment_fixed_size: 0
    .kernarg_segment_align: 8
    .kernarg_segment_size: 40
    .language:       OpenCL C
    .language_version:
      - 2
      - 0
    .max_flat_workgroup_size: 256
    .name:           _ZN7rocprim17ROCPRIM_400000_NS6detail17trampoline_kernelINS0_14default_configENS1_20scan_config_selectorIxEEZZNS1_9scan_implILNS1_25lookback_scan_determinismE0ELb1ELb1ES3_N6thrust23THRUST_200600_302600_NS6detail15normal_iteratorINS9_10device_ptrIxEEEESE_xNS9_4plusIxEExEEDaPvRmT3_T4_T5_mT6_P12ihipStream_tbENKUlT_T0_E_clISt17integral_constantIbLb1EESU_EEDaSP_SQ_EUlSP_E0_NS1_11comp_targetILNS1_3genE9ELNS1_11target_archE1100ELNS1_3gpuE3ELNS1_3repE0EEENS1_30default_config_static_selectorELNS0_4arch9wavefront6targetE1EEEvT1_
    .private_segment_fixed_size: 0
    .sgpr_count:     4
    .sgpr_spill_count: 0
    .symbol:         _ZN7rocprim17ROCPRIM_400000_NS6detail17trampoline_kernelINS0_14default_configENS1_20scan_config_selectorIxEEZZNS1_9scan_implILNS1_25lookback_scan_determinismE0ELb1ELb1ES3_N6thrust23THRUST_200600_302600_NS6detail15normal_iteratorINS9_10device_ptrIxEEEESE_xNS9_4plusIxEExEEDaPvRmT3_T4_T5_mT6_P12ihipStream_tbENKUlT_T0_E_clISt17integral_constantIbLb1EESU_EEDaSP_SQ_EUlSP_E0_NS1_11comp_targetILNS1_3genE9ELNS1_11target_archE1100ELNS1_3gpuE3ELNS1_3repE0EEENS1_30default_config_static_selectorELNS0_4arch9wavefront6targetE1EEEvT1_.kd
    .uniform_work_group_size: 1
    .uses_dynamic_stack: false
    .vgpr_count:     0
    .vgpr_spill_count: 0
    .wavefront_size: 64
  - .agpr_count:     0
    .args:
      - .offset:         0
        .size:           40
        .value_kind:     by_value
    .group_segment_fixed_size: 0
    .kernarg_segment_align: 8
    .kernarg_segment_size: 40
    .language:       OpenCL C
    .language_version:
      - 2
      - 0
    .max_flat_workgroup_size: 256
    .name:           _ZN7rocprim17ROCPRIM_400000_NS6detail17trampoline_kernelINS0_14default_configENS1_20scan_config_selectorIxEEZZNS1_9scan_implILNS1_25lookback_scan_determinismE0ELb1ELb1ES3_N6thrust23THRUST_200600_302600_NS6detail15normal_iteratorINS9_10device_ptrIxEEEESE_xNS9_4plusIxEExEEDaPvRmT3_T4_T5_mT6_P12ihipStream_tbENKUlT_T0_E_clISt17integral_constantIbLb1EESU_EEDaSP_SQ_EUlSP_E0_NS1_11comp_targetILNS1_3genE8ELNS1_11target_archE1030ELNS1_3gpuE2ELNS1_3repE0EEENS1_30default_config_static_selectorELNS0_4arch9wavefront6targetE1EEEvT1_
    .private_segment_fixed_size: 0
    .sgpr_count:     4
    .sgpr_spill_count: 0
    .symbol:         _ZN7rocprim17ROCPRIM_400000_NS6detail17trampoline_kernelINS0_14default_configENS1_20scan_config_selectorIxEEZZNS1_9scan_implILNS1_25lookback_scan_determinismE0ELb1ELb1ES3_N6thrust23THRUST_200600_302600_NS6detail15normal_iteratorINS9_10device_ptrIxEEEESE_xNS9_4plusIxEExEEDaPvRmT3_T4_T5_mT6_P12ihipStream_tbENKUlT_T0_E_clISt17integral_constantIbLb1EESU_EEDaSP_SQ_EUlSP_E0_NS1_11comp_targetILNS1_3genE8ELNS1_11target_archE1030ELNS1_3gpuE2ELNS1_3repE0EEENS1_30default_config_static_selectorELNS0_4arch9wavefront6targetE1EEEvT1_.kd
    .uniform_work_group_size: 1
    .uses_dynamic_stack: false
    .vgpr_count:     0
    .vgpr_spill_count: 0
    .wavefront_size: 64
  - .agpr_count:     0
    .args:
      - .offset:         0
        .size:           104
        .value_kind:     by_value
    .group_segment_fixed_size: 0
    .kernarg_segment_align: 8
    .kernarg_segment_size: 104
    .language:       OpenCL C
    .language_version:
      - 2
      - 0
    .max_flat_workgroup_size: 256
    .name:           _ZN7rocprim17ROCPRIM_400000_NS6detail17trampoline_kernelINS0_14default_configENS1_20scan_config_selectorIxEEZZNS1_9scan_implILNS1_25lookback_scan_determinismE0ELb1ELb1ES3_N6thrust23THRUST_200600_302600_NS6detail15normal_iteratorINS9_10device_ptrIxEEEESE_xNS9_4plusIxEExEEDaPvRmT3_T4_T5_mT6_P12ihipStream_tbENKUlT_T0_E_clISt17integral_constantIbLb1EEST_IbLb0EEEEDaSP_SQ_EUlSP_E_NS1_11comp_targetILNS1_3genE0ELNS1_11target_archE4294967295ELNS1_3gpuE0ELNS1_3repE0EEENS1_30default_config_static_selectorELNS0_4arch9wavefront6targetE1EEEvT1_
    .private_segment_fixed_size: 0
    .sgpr_count:     4
    .sgpr_spill_count: 0
    .symbol:         _ZN7rocprim17ROCPRIM_400000_NS6detail17trampoline_kernelINS0_14default_configENS1_20scan_config_selectorIxEEZZNS1_9scan_implILNS1_25lookback_scan_determinismE0ELb1ELb1ES3_N6thrust23THRUST_200600_302600_NS6detail15normal_iteratorINS9_10device_ptrIxEEEESE_xNS9_4plusIxEExEEDaPvRmT3_T4_T5_mT6_P12ihipStream_tbENKUlT_T0_E_clISt17integral_constantIbLb1EEST_IbLb0EEEEDaSP_SQ_EUlSP_E_NS1_11comp_targetILNS1_3genE0ELNS1_11target_archE4294967295ELNS1_3gpuE0ELNS1_3repE0EEENS1_30default_config_static_selectorELNS0_4arch9wavefront6targetE1EEEvT1_.kd
    .uniform_work_group_size: 1
    .uses_dynamic_stack: false
    .vgpr_count:     0
    .vgpr_spill_count: 0
    .wavefront_size: 64
  - .agpr_count:     0
    .args:
      - .offset:         0
        .size:           104
        .value_kind:     by_value
    .group_segment_fixed_size: 0
    .kernarg_segment_align: 8
    .kernarg_segment_size: 104
    .language:       OpenCL C
    .language_version:
      - 2
      - 0
    .max_flat_workgroup_size: 256
    .name:           _ZN7rocprim17ROCPRIM_400000_NS6detail17trampoline_kernelINS0_14default_configENS1_20scan_config_selectorIxEEZZNS1_9scan_implILNS1_25lookback_scan_determinismE0ELb1ELb1ES3_N6thrust23THRUST_200600_302600_NS6detail15normal_iteratorINS9_10device_ptrIxEEEESE_xNS9_4plusIxEExEEDaPvRmT3_T4_T5_mT6_P12ihipStream_tbENKUlT_T0_E_clISt17integral_constantIbLb1EEST_IbLb0EEEEDaSP_SQ_EUlSP_E_NS1_11comp_targetILNS1_3genE5ELNS1_11target_archE942ELNS1_3gpuE9ELNS1_3repE0EEENS1_30default_config_static_selectorELNS0_4arch9wavefront6targetE1EEEvT1_
    .private_segment_fixed_size: 0
    .sgpr_count:     4
    .sgpr_spill_count: 0
    .symbol:         _ZN7rocprim17ROCPRIM_400000_NS6detail17trampoline_kernelINS0_14default_configENS1_20scan_config_selectorIxEEZZNS1_9scan_implILNS1_25lookback_scan_determinismE0ELb1ELb1ES3_N6thrust23THRUST_200600_302600_NS6detail15normal_iteratorINS9_10device_ptrIxEEEESE_xNS9_4plusIxEExEEDaPvRmT3_T4_T5_mT6_P12ihipStream_tbENKUlT_T0_E_clISt17integral_constantIbLb1EEST_IbLb0EEEEDaSP_SQ_EUlSP_E_NS1_11comp_targetILNS1_3genE5ELNS1_11target_archE942ELNS1_3gpuE9ELNS1_3repE0EEENS1_30default_config_static_selectorELNS0_4arch9wavefront6targetE1EEEvT1_.kd
    .uniform_work_group_size: 1
    .uses_dynamic_stack: false
    .vgpr_count:     0
    .vgpr_spill_count: 0
    .wavefront_size: 64
  - .agpr_count:     0
    .args:
      - .offset:         0
        .size:           104
        .value_kind:     by_value
    .group_segment_fixed_size: 7168
    .kernarg_segment_align: 8
    .kernarg_segment_size: 104
    .language:       OpenCL C
    .language_version:
      - 2
      - 0
    .max_flat_workgroup_size: 128
    .name:           _ZN7rocprim17ROCPRIM_400000_NS6detail17trampoline_kernelINS0_14default_configENS1_20scan_config_selectorIxEEZZNS1_9scan_implILNS1_25lookback_scan_determinismE0ELb1ELb1ES3_N6thrust23THRUST_200600_302600_NS6detail15normal_iteratorINS9_10device_ptrIxEEEESE_xNS9_4plusIxEExEEDaPvRmT3_T4_T5_mT6_P12ihipStream_tbENKUlT_T0_E_clISt17integral_constantIbLb1EEST_IbLb0EEEEDaSP_SQ_EUlSP_E_NS1_11comp_targetILNS1_3genE4ELNS1_11target_archE910ELNS1_3gpuE8ELNS1_3repE0EEENS1_30default_config_static_selectorELNS0_4arch9wavefront6targetE1EEEvT1_
    .private_segment_fixed_size: 0
    .sgpr_count:     36
    .sgpr_spill_count: 0
    .symbol:         _ZN7rocprim17ROCPRIM_400000_NS6detail17trampoline_kernelINS0_14default_configENS1_20scan_config_selectorIxEEZZNS1_9scan_implILNS1_25lookback_scan_determinismE0ELb1ELb1ES3_N6thrust23THRUST_200600_302600_NS6detail15normal_iteratorINS9_10device_ptrIxEEEESE_xNS9_4plusIxEExEEDaPvRmT3_T4_T5_mT6_P12ihipStream_tbENKUlT_T0_E_clISt17integral_constantIbLb1EEST_IbLb0EEEEDaSP_SQ_EUlSP_E_NS1_11comp_targetILNS1_3genE4ELNS1_11target_archE910ELNS1_3gpuE8ELNS1_3repE0EEENS1_30default_config_static_selectorELNS0_4arch9wavefront6targetE1EEEvT1_.kd
    .uniform_work_group_size: 1
    .uses_dynamic_stack: false
    .vgpr_count:     51
    .vgpr_spill_count: 0
    .wavefront_size: 64
  - .agpr_count:     0
    .args:
      - .offset:         0
        .size:           104
        .value_kind:     by_value
    .group_segment_fixed_size: 0
    .kernarg_segment_align: 8
    .kernarg_segment_size: 104
    .language:       OpenCL C
    .language_version:
      - 2
      - 0
    .max_flat_workgroup_size: 256
    .name:           _ZN7rocprim17ROCPRIM_400000_NS6detail17trampoline_kernelINS0_14default_configENS1_20scan_config_selectorIxEEZZNS1_9scan_implILNS1_25lookback_scan_determinismE0ELb1ELb1ES3_N6thrust23THRUST_200600_302600_NS6detail15normal_iteratorINS9_10device_ptrIxEEEESE_xNS9_4plusIxEExEEDaPvRmT3_T4_T5_mT6_P12ihipStream_tbENKUlT_T0_E_clISt17integral_constantIbLb1EEST_IbLb0EEEEDaSP_SQ_EUlSP_E_NS1_11comp_targetILNS1_3genE3ELNS1_11target_archE908ELNS1_3gpuE7ELNS1_3repE0EEENS1_30default_config_static_selectorELNS0_4arch9wavefront6targetE1EEEvT1_
    .private_segment_fixed_size: 0
    .sgpr_count:     4
    .sgpr_spill_count: 0
    .symbol:         _ZN7rocprim17ROCPRIM_400000_NS6detail17trampoline_kernelINS0_14default_configENS1_20scan_config_selectorIxEEZZNS1_9scan_implILNS1_25lookback_scan_determinismE0ELb1ELb1ES3_N6thrust23THRUST_200600_302600_NS6detail15normal_iteratorINS9_10device_ptrIxEEEESE_xNS9_4plusIxEExEEDaPvRmT3_T4_T5_mT6_P12ihipStream_tbENKUlT_T0_E_clISt17integral_constantIbLb1EEST_IbLb0EEEEDaSP_SQ_EUlSP_E_NS1_11comp_targetILNS1_3genE3ELNS1_11target_archE908ELNS1_3gpuE7ELNS1_3repE0EEENS1_30default_config_static_selectorELNS0_4arch9wavefront6targetE1EEEvT1_.kd
    .uniform_work_group_size: 1
    .uses_dynamic_stack: false
    .vgpr_count:     0
    .vgpr_spill_count: 0
    .wavefront_size: 64
  - .agpr_count:     0
    .args:
      - .offset:         0
        .size:           104
        .value_kind:     by_value
    .group_segment_fixed_size: 0
    .kernarg_segment_align: 8
    .kernarg_segment_size: 104
    .language:       OpenCL C
    .language_version:
      - 2
      - 0
    .max_flat_workgroup_size: 64
    .name:           _ZN7rocprim17ROCPRIM_400000_NS6detail17trampoline_kernelINS0_14default_configENS1_20scan_config_selectorIxEEZZNS1_9scan_implILNS1_25lookback_scan_determinismE0ELb1ELb1ES3_N6thrust23THRUST_200600_302600_NS6detail15normal_iteratorINS9_10device_ptrIxEEEESE_xNS9_4plusIxEExEEDaPvRmT3_T4_T5_mT6_P12ihipStream_tbENKUlT_T0_E_clISt17integral_constantIbLb1EEST_IbLb0EEEEDaSP_SQ_EUlSP_E_NS1_11comp_targetILNS1_3genE2ELNS1_11target_archE906ELNS1_3gpuE6ELNS1_3repE0EEENS1_30default_config_static_selectorELNS0_4arch9wavefront6targetE1EEEvT1_
    .private_segment_fixed_size: 0
    .sgpr_count:     4
    .sgpr_spill_count: 0
    .symbol:         _ZN7rocprim17ROCPRIM_400000_NS6detail17trampoline_kernelINS0_14default_configENS1_20scan_config_selectorIxEEZZNS1_9scan_implILNS1_25lookback_scan_determinismE0ELb1ELb1ES3_N6thrust23THRUST_200600_302600_NS6detail15normal_iteratorINS9_10device_ptrIxEEEESE_xNS9_4plusIxEExEEDaPvRmT3_T4_T5_mT6_P12ihipStream_tbENKUlT_T0_E_clISt17integral_constantIbLb1EEST_IbLb0EEEEDaSP_SQ_EUlSP_E_NS1_11comp_targetILNS1_3genE2ELNS1_11target_archE906ELNS1_3gpuE6ELNS1_3repE0EEENS1_30default_config_static_selectorELNS0_4arch9wavefront6targetE1EEEvT1_.kd
    .uniform_work_group_size: 1
    .uses_dynamic_stack: false
    .vgpr_count:     0
    .vgpr_spill_count: 0
    .wavefront_size: 64
  - .agpr_count:     0
    .args:
      - .offset:         0
        .size:           104
        .value_kind:     by_value
    .group_segment_fixed_size: 0
    .kernarg_segment_align: 8
    .kernarg_segment_size: 104
    .language:       OpenCL C
    .language_version:
      - 2
      - 0
    .max_flat_workgroup_size: 256
    .name:           _ZN7rocprim17ROCPRIM_400000_NS6detail17trampoline_kernelINS0_14default_configENS1_20scan_config_selectorIxEEZZNS1_9scan_implILNS1_25lookback_scan_determinismE0ELb1ELb1ES3_N6thrust23THRUST_200600_302600_NS6detail15normal_iteratorINS9_10device_ptrIxEEEESE_xNS9_4plusIxEExEEDaPvRmT3_T4_T5_mT6_P12ihipStream_tbENKUlT_T0_E_clISt17integral_constantIbLb1EEST_IbLb0EEEEDaSP_SQ_EUlSP_E_NS1_11comp_targetILNS1_3genE10ELNS1_11target_archE1201ELNS1_3gpuE5ELNS1_3repE0EEENS1_30default_config_static_selectorELNS0_4arch9wavefront6targetE1EEEvT1_
    .private_segment_fixed_size: 0
    .sgpr_count:     4
    .sgpr_spill_count: 0
    .symbol:         _ZN7rocprim17ROCPRIM_400000_NS6detail17trampoline_kernelINS0_14default_configENS1_20scan_config_selectorIxEEZZNS1_9scan_implILNS1_25lookback_scan_determinismE0ELb1ELb1ES3_N6thrust23THRUST_200600_302600_NS6detail15normal_iteratorINS9_10device_ptrIxEEEESE_xNS9_4plusIxEExEEDaPvRmT3_T4_T5_mT6_P12ihipStream_tbENKUlT_T0_E_clISt17integral_constantIbLb1EEST_IbLb0EEEEDaSP_SQ_EUlSP_E_NS1_11comp_targetILNS1_3genE10ELNS1_11target_archE1201ELNS1_3gpuE5ELNS1_3repE0EEENS1_30default_config_static_selectorELNS0_4arch9wavefront6targetE1EEEvT1_.kd
    .uniform_work_group_size: 1
    .uses_dynamic_stack: false
    .vgpr_count:     0
    .vgpr_spill_count: 0
    .wavefront_size: 64
  - .agpr_count:     0
    .args:
      - .offset:         0
        .size:           104
        .value_kind:     by_value
    .group_segment_fixed_size: 0
    .kernarg_segment_align: 8
    .kernarg_segment_size: 104
    .language:       OpenCL C
    .language_version:
      - 2
      - 0
    .max_flat_workgroup_size: 256
    .name:           _ZN7rocprim17ROCPRIM_400000_NS6detail17trampoline_kernelINS0_14default_configENS1_20scan_config_selectorIxEEZZNS1_9scan_implILNS1_25lookback_scan_determinismE0ELb1ELb1ES3_N6thrust23THRUST_200600_302600_NS6detail15normal_iteratorINS9_10device_ptrIxEEEESE_xNS9_4plusIxEExEEDaPvRmT3_T4_T5_mT6_P12ihipStream_tbENKUlT_T0_E_clISt17integral_constantIbLb1EEST_IbLb0EEEEDaSP_SQ_EUlSP_E_NS1_11comp_targetILNS1_3genE10ELNS1_11target_archE1200ELNS1_3gpuE4ELNS1_3repE0EEENS1_30default_config_static_selectorELNS0_4arch9wavefront6targetE1EEEvT1_
    .private_segment_fixed_size: 0
    .sgpr_count:     4
    .sgpr_spill_count: 0
    .symbol:         _ZN7rocprim17ROCPRIM_400000_NS6detail17trampoline_kernelINS0_14default_configENS1_20scan_config_selectorIxEEZZNS1_9scan_implILNS1_25lookback_scan_determinismE0ELb1ELb1ES3_N6thrust23THRUST_200600_302600_NS6detail15normal_iteratorINS9_10device_ptrIxEEEESE_xNS9_4plusIxEExEEDaPvRmT3_T4_T5_mT6_P12ihipStream_tbENKUlT_T0_E_clISt17integral_constantIbLb1EEST_IbLb0EEEEDaSP_SQ_EUlSP_E_NS1_11comp_targetILNS1_3genE10ELNS1_11target_archE1200ELNS1_3gpuE4ELNS1_3repE0EEENS1_30default_config_static_selectorELNS0_4arch9wavefront6targetE1EEEvT1_.kd
    .uniform_work_group_size: 1
    .uses_dynamic_stack: false
    .vgpr_count:     0
    .vgpr_spill_count: 0
    .wavefront_size: 64
  - .agpr_count:     0
    .args:
      - .offset:         0
        .size:           104
        .value_kind:     by_value
    .group_segment_fixed_size: 0
    .kernarg_segment_align: 8
    .kernarg_segment_size: 104
    .language:       OpenCL C
    .language_version:
      - 2
      - 0
    .max_flat_workgroup_size: 256
    .name:           _ZN7rocprim17ROCPRIM_400000_NS6detail17trampoline_kernelINS0_14default_configENS1_20scan_config_selectorIxEEZZNS1_9scan_implILNS1_25lookback_scan_determinismE0ELb1ELb1ES3_N6thrust23THRUST_200600_302600_NS6detail15normal_iteratorINS9_10device_ptrIxEEEESE_xNS9_4plusIxEExEEDaPvRmT3_T4_T5_mT6_P12ihipStream_tbENKUlT_T0_E_clISt17integral_constantIbLb1EEST_IbLb0EEEEDaSP_SQ_EUlSP_E_NS1_11comp_targetILNS1_3genE9ELNS1_11target_archE1100ELNS1_3gpuE3ELNS1_3repE0EEENS1_30default_config_static_selectorELNS0_4arch9wavefront6targetE1EEEvT1_
    .private_segment_fixed_size: 0
    .sgpr_count:     4
    .sgpr_spill_count: 0
    .symbol:         _ZN7rocprim17ROCPRIM_400000_NS6detail17trampoline_kernelINS0_14default_configENS1_20scan_config_selectorIxEEZZNS1_9scan_implILNS1_25lookback_scan_determinismE0ELb1ELb1ES3_N6thrust23THRUST_200600_302600_NS6detail15normal_iteratorINS9_10device_ptrIxEEEESE_xNS9_4plusIxEExEEDaPvRmT3_T4_T5_mT6_P12ihipStream_tbENKUlT_T0_E_clISt17integral_constantIbLb1EEST_IbLb0EEEEDaSP_SQ_EUlSP_E_NS1_11comp_targetILNS1_3genE9ELNS1_11target_archE1100ELNS1_3gpuE3ELNS1_3repE0EEENS1_30default_config_static_selectorELNS0_4arch9wavefront6targetE1EEEvT1_.kd
    .uniform_work_group_size: 1
    .uses_dynamic_stack: false
    .vgpr_count:     0
    .vgpr_spill_count: 0
    .wavefront_size: 64
  - .agpr_count:     0
    .args:
      - .offset:         0
        .size:           104
        .value_kind:     by_value
    .group_segment_fixed_size: 0
    .kernarg_segment_align: 8
    .kernarg_segment_size: 104
    .language:       OpenCL C
    .language_version:
      - 2
      - 0
    .max_flat_workgroup_size: 256
    .name:           _ZN7rocprim17ROCPRIM_400000_NS6detail17trampoline_kernelINS0_14default_configENS1_20scan_config_selectorIxEEZZNS1_9scan_implILNS1_25lookback_scan_determinismE0ELb1ELb1ES3_N6thrust23THRUST_200600_302600_NS6detail15normal_iteratorINS9_10device_ptrIxEEEESE_xNS9_4plusIxEExEEDaPvRmT3_T4_T5_mT6_P12ihipStream_tbENKUlT_T0_E_clISt17integral_constantIbLb1EEST_IbLb0EEEEDaSP_SQ_EUlSP_E_NS1_11comp_targetILNS1_3genE8ELNS1_11target_archE1030ELNS1_3gpuE2ELNS1_3repE0EEENS1_30default_config_static_selectorELNS0_4arch9wavefront6targetE1EEEvT1_
    .private_segment_fixed_size: 0
    .sgpr_count:     4
    .sgpr_spill_count: 0
    .symbol:         _ZN7rocprim17ROCPRIM_400000_NS6detail17trampoline_kernelINS0_14default_configENS1_20scan_config_selectorIxEEZZNS1_9scan_implILNS1_25lookback_scan_determinismE0ELb1ELb1ES3_N6thrust23THRUST_200600_302600_NS6detail15normal_iteratorINS9_10device_ptrIxEEEESE_xNS9_4plusIxEExEEDaPvRmT3_T4_T5_mT6_P12ihipStream_tbENKUlT_T0_E_clISt17integral_constantIbLb1EEST_IbLb0EEEEDaSP_SQ_EUlSP_E_NS1_11comp_targetILNS1_3genE8ELNS1_11target_archE1030ELNS1_3gpuE2ELNS1_3repE0EEENS1_30default_config_static_selectorELNS0_4arch9wavefront6targetE1EEEvT1_.kd
    .uniform_work_group_size: 1
    .uses_dynamic_stack: false
    .vgpr_count:     0
    .vgpr_spill_count: 0
    .wavefront_size: 64
  - .agpr_count:     0
    .args:
      - .offset:         0
        .size:           40
        .value_kind:     by_value
    .group_segment_fixed_size: 0
    .kernarg_segment_align: 8
    .kernarg_segment_size: 40
    .language:       OpenCL C
    .language_version:
      - 2
      - 0
    .max_flat_workgroup_size: 256
    .name:           _ZN7rocprim17ROCPRIM_400000_NS6detail17trampoline_kernelINS0_14default_configENS1_20scan_config_selectorIxEEZZNS1_9scan_implILNS1_25lookback_scan_determinismE0ELb1ELb1ES3_N6thrust23THRUST_200600_302600_NS6detail15normal_iteratorINS9_10device_ptrIxEEEESE_xNS9_4plusIxEExEEDaPvRmT3_T4_T5_mT6_P12ihipStream_tbENKUlT_T0_E_clISt17integral_constantIbLb1EEST_IbLb0EEEEDaSP_SQ_EUlSP_E0_NS1_11comp_targetILNS1_3genE0ELNS1_11target_archE4294967295ELNS1_3gpuE0ELNS1_3repE0EEENS1_30default_config_static_selectorELNS0_4arch9wavefront6targetE1EEEvT1_
    .private_segment_fixed_size: 0
    .sgpr_count:     4
    .sgpr_spill_count: 0
    .symbol:         _ZN7rocprim17ROCPRIM_400000_NS6detail17trampoline_kernelINS0_14default_configENS1_20scan_config_selectorIxEEZZNS1_9scan_implILNS1_25lookback_scan_determinismE0ELb1ELb1ES3_N6thrust23THRUST_200600_302600_NS6detail15normal_iteratorINS9_10device_ptrIxEEEESE_xNS9_4plusIxEExEEDaPvRmT3_T4_T5_mT6_P12ihipStream_tbENKUlT_T0_E_clISt17integral_constantIbLb1EEST_IbLb0EEEEDaSP_SQ_EUlSP_E0_NS1_11comp_targetILNS1_3genE0ELNS1_11target_archE4294967295ELNS1_3gpuE0ELNS1_3repE0EEENS1_30default_config_static_selectorELNS0_4arch9wavefront6targetE1EEEvT1_.kd
    .uniform_work_group_size: 1
    .uses_dynamic_stack: false
    .vgpr_count:     0
    .vgpr_spill_count: 0
    .wavefront_size: 64
  - .agpr_count:     0
    .args:
      - .offset:         0
        .size:           40
        .value_kind:     by_value
    .group_segment_fixed_size: 0
    .kernarg_segment_align: 8
    .kernarg_segment_size: 40
    .language:       OpenCL C
    .language_version:
      - 2
      - 0
    .max_flat_workgroup_size: 256
    .name:           _ZN7rocprim17ROCPRIM_400000_NS6detail17trampoline_kernelINS0_14default_configENS1_20scan_config_selectorIxEEZZNS1_9scan_implILNS1_25lookback_scan_determinismE0ELb1ELb1ES3_N6thrust23THRUST_200600_302600_NS6detail15normal_iteratorINS9_10device_ptrIxEEEESE_xNS9_4plusIxEExEEDaPvRmT3_T4_T5_mT6_P12ihipStream_tbENKUlT_T0_E_clISt17integral_constantIbLb1EEST_IbLb0EEEEDaSP_SQ_EUlSP_E0_NS1_11comp_targetILNS1_3genE5ELNS1_11target_archE942ELNS1_3gpuE9ELNS1_3repE0EEENS1_30default_config_static_selectorELNS0_4arch9wavefront6targetE1EEEvT1_
    .private_segment_fixed_size: 0
    .sgpr_count:     4
    .sgpr_spill_count: 0
    .symbol:         _ZN7rocprim17ROCPRIM_400000_NS6detail17trampoline_kernelINS0_14default_configENS1_20scan_config_selectorIxEEZZNS1_9scan_implILNS1_25lookback_scan_determinismE0ELb1ELb1ES3_N6thrust23THRUST_200600_302600_NS6detail15normal_iteratorINS9_10device_ptrIxEEEESE_xNS9_4plusIxEExEEDaPvRmT3_T4_T5_mT6_P12ihipStream_tbENKUlT_T0_E_clISt17integral_constantIbLb1EEST_IbLb0EEEEDaSP_SQ_EUlSP_E0_NS1_11comp_targetILNS1_3genE5ELNS1_11target_archE942ELNS1_3gpuE9ELNS1_3repE0EEENS1_30default_config_static_selectorELNS0_4arch9wavefront6targetE1EEEvT1_.kd
    .uniform_work_group_size: 1
    .uses_dynamic_stack: false
    .vgpr_count:     0
    .vgpr_spill_count: 0
    .wavefront_size: 64
  - .agpr_count:     0
    .args:
      - .offset:         0
        .size:           40
        .value_kind:     by_value
    .group_segment_fixed_size: 7168
    .kernarg_segment_align: 8
    .kernarg_segment_size: 40
    .language:       OpenCL C
    .language_version:
      - 2
      - 0
    .max_flat_workgroup_size: 128
    .name:           _ZN7rocprim17ROCPRIM_400000_NS6detail17trampoline_kernelINS0_14default_configENS1_20scan_config_selectorIxEEZZNS1_9scan_implILNS1_25lookback_scan_determinismE0ELb1ELb1ES3_N6thrust23THRUST_200600_302600_NS6detail15normal_iteratorINS9_10device_ptrIxEEEESE_xNS9_4plusIxEExEEDaPvRmT3_T4_T5_mT6_P12ihipStream_tbENKUlT_T0_E_clISt17integral_constantIbLb1EEST_IbLb0EEEEDaSP_SQ_EUlSP_E0_NS1_11comp_targetILNS1_3genE4ELNS1_11target_archE910ELNS1_3gpuE8ELNS1_3repE0EEENS1_30default_config_static_selectorELNS0_4arch9wavefront6targetE1EEEvT1_
    .private_segment_fixed_size: 0
    .sgpr_count:     28
    .sgpr_spill_count: 0
    .symbol:         _ZN7rocprim17ROCPRIM_400000_NS6detail17trampoline_kernelINS0_14default_configENS1_20scan_config_selectorIxEEZZNS1_9scan_implILNS1_25lookback_scan_determinismE0ELb1ELb1ES3_N6thrust23THRUST_200600_302600_NS6detail15normal_iteratorINS9_10device_ptrIxEEEESE_xNS9_4plusIxEExEEDaPvRmT3_T4_T5_mT6_P12ihipStream_tbENKUlT_T0_E_clISt17integral_constantIbLb1EEST_IbLb0EEEEDaSP_SQ_EUlSP_E0_NS1_11comp_targetILNS1_3genE4ELNS1_11target_archE910ELNS1_3gpuE8ELNS1_3repE0EEENS1_30default_config_static_selectorELNS0_4arch9wavefront6targetE1EEEvT1_.kd
    .uniform_work_group_size: 1
    .uses_dynamic_stack: false
    .vgpr_count:     29
    .vgpr_spill_count: 0
    .wavefront_size: 64
  - .agpr_count:     0
    .args:
      - .offset:         0
        .size:           40
        .value_kind:     by_value
    .group_segment_fixed_size: 0
    .kernarg_segment_align: 8
    .kernarg_segment_size: 40
    .language:       OpenCL C
    .language_version:
      - 2
      - 0
    .max_flat_workgroup_size: 256
    .name:           _ZN7rocprim17ROCPRIM_400000_NS6detail17trampoline_kernelINS0_14default_configENS1_20scan_config_selectorIxEEZZNS1_9scan_implILNS1_25lookback_scan_determinismE0ELb1ELb1ES3_N6thrust23THRUST_200600_302600_NS6detail15normal_iteratorINS9_10device_ptrIxEEEESE_xNS9_4plusIxEExEEDaPvRmT3_T4_T5_mT6_P12ihipStream_tbENKUlT_T0_E_clISt17integral_constantIbLb1EEST_IbLb0EEEEDaSP_SQ_EUlSP_E0_NS1_11comp_targetILNS1_3genE3ELNS1_11target_archE908ELNS1_3gpuE7ELNS1_3repE0EEENS1_30default_config_static_selectorELNS0_4arch9wavefront6targetE1EEEvT1_
    .private_segment_fixed_size: 0
    .sgpr_count:     4
    .sgpr_spill_count: 0
    .symbol:         _ZN7rocprim17ROCPRIM_400000_NS6detail17trampoline_kernelINS0_14default_configENS1_20scan_config_selectorIxEEZZNS1_9scan_implILNS1_25lookback_scan_determinismE0ELb1ELb1ES3_N6thrust23THRUST_200600_302600_NS6detail15normal_iteratorINS9_10device_ptrIxEEEESE_xNS9_4plusIxEExEEDaPvRmT3_T4_T5_mT6_P12ihipStream_tbENKUlT_T0_E_clISt17integral_constantIbLb1EEST_IbLb0EEEEDaSP_SQ_EUlSP_E0_NS1_11comp_targetILNS1_3genE3ELNS1_11target_archE908ELNS1_3gpuE7ELNS1_3repE0EEENS1_30default_config_static_selectorELNS0_4arch9wavefront6targetE1EEEvT1_.kd
    .uniform_work_group_size: 1
    .uses_dynamic_stack: false
    .vgpr_count:     0
    .vgpr_spill_count: 0
    .wavefront_size: 64
  - .agpr_count:     0
    .args:
      - .offset:         0
        .size:           40
        .value_kind:     by_value
    .group_segment_fixed_size: 0
    .kernarg_segment_align: 8
    .kernarg_segment_size: 40
    .language:       OpenCL C
    .language_version:
      - 2
      - 0
    .max_flat_workgroup_size: 64
    .name:           _ZN7rocprim17ROCPRIM_400000_NS6detail17trampoline_kernelINS0_14default_configENS1_20scan_config_selectorIxEEZZNS1_9scan_implILNS1_25lookback_scan_determinismE0ELb1ELb1ES3_N6thrust23THRUST_200600_302600_NS6detail15normal_iteratorINS9_10device_ptrIxEEEESE_xNS9_4plusIxEExEEDaPvRmT3_T4_T5_mT6_P12ihipStream_tbENKUlT_T0_E_clISt17integral_constantIbLb1EEST_IbLb0EEEEDaSP_SQ_EUlSP_E0_NS1_11comp_targetILNS1_3genE2ELNS1_11target_archE906ELNS1_3gpuE6ELNS1_3repE0EEENS1_30default_config_static_selectorELNS0_4arch9wavefront6targetE1EEEvT1_
    .private_segment_fixed_size: 0
    .sgpr_count:     4
    .sgpr_spill_count: 0
    .symbol:         _ZN7rocprim17ROCPRIM_400000_NS6detail17trampoline_kernelINS0_14default_configENS1_20scan_config_selectorIxEEZZNS1_9scan_implILNS1_25lookback_scan_determinismE0ELb1ELb1ES3_N6thrust23THRUST_200600_302600_NS6detail15normal_iteratorINS9_10device_ptrIxEEEESE_xNS9_4plusIxEExEEDaPvRmT3_T4_T5_mT6_P12ihipStream_tbENKUlT_T0_E_clISt17integral_constantIbLb1EEST_IbLb0EEEEDaSP_SQ_EUlSP_E0_NS1_11comp_targetILNS1_3genE2ELNS1_11target_archE906ELNS1_3gpuE6ELNS1_3repE0EEENS1_30default_config_static_selectorELNS0_4arch9wavefront6targetE1EEEvT1_.kd
    .uniform_work_group_size: 1
    .uses_dynamic_stack: false
    .vgpr_count:     0
    .vgpr_spill_count: 0
    .wavefront_size: 64
  - .agpr_count:     0
    .args:
      - .offset:         0
        .size:           40
        .value_kind:     by_value
    .group_segment_fixed_size: 0
    .kernarg_segment_align: 8
    .kernarg_segment_size: 40
    .language:       OpenCL C
    .language_version:
      - 2
      - 0
    .max_flat_workgroup_size: 256
    .name:           _ZN7rocprim17ROCPRIM_400000_NS6detail17trampoline_kernelINS0_14default_configENS1_20scan_config_selectorIxEEZZNS1_9scan_implILNS1_25lookback_scan_determinismE0ELb1ELb1ES3_N6thrust23THRUST_200600_302600_NS6detail15normal_iteratorINS9_10device_ptrIxEEEESE_xNS9_4plusIxEExEEDaPvRmT3_T4_T5_mT6_P12ihipStream_tbENKUlT_T0_E_clISt17integral_constantIbLb1EEST_IbLb0EEEEDaSP_SQ_EUlSP_E0_NS1_11comp_targetILNS1_3genE10ELNS1_11target_archE1201ELNS1_3gpuE5ELNS1_3repE0EEENS1_30default_config_static_selectorELNS0_4arch9wavefront6targetE1EEEvT1_
    .private_segment_fixed_size: 0
    .sgpr_count:     4
    .sgpr_spill_count: 0
    .symbol:         _ZN7rocprim17ROCPRIM_400000_NS6detail17trampoline_kernelINS0_14default_configENS1_20scan_config_selectorIxEEZZNS1_9scan_implILNS1_25lookback_scan_determinismE0ELb1ELb1ES3_N6thrust23THRUST_200600_302600_NS6detail15normal_iteratorINS9_10device_ptrIxEEEESE_xNS9_4plusIxEExEEDaPvRmT3_T4_T5_mT6_P12ihipStream_tbENKUlT_T0_E_clISt17integral_constantIbLb1EEST_IbLb0EEEEDaSP_SQ_EUlSP_E0_NS1_11comp_targetILNS1_3genE10ELNS1_11target_archE1201ELNS1_3gpuE5ELNS1_3repE0EEENS1_30default_config_static_selectorELNS0_4arch9wavefront6targetE1EEEvT1_.kd
    .uniform_work_group_size: 1
    .uses_dynamic_stack: false
    .vgpr_count:     0
    .vgpr_spill_count: 0
    .wavefront_size: 64
  - .agpr_count:     0
    .args:
      - .offset:         0
        .size:           40
        .value_kind:     by_value
    .group_segment_fixed_size: 0
    .kernarg_segment_align: 8
    .kernarg_segment_size: 40
    .language:       OpenCL C
    .language_version:
      - 2
      - 0
    .max_flat_workgroup_size: 256
    .name:           _ZN7rocprim17ROCPRIM_400000_NS6detail17trampoline_kernelINS0_14default_configENS1_20scan_config_selectorIxEEZZNS1_9scan_implILNS1_25lookback_scan_determinismE0ELb1ELb1ES3_N6thrust23THRUST_200600_302600_NS6detail15normal_iteratorINS9_10device_ptrIxEEEESE_xNS9_4plusIxEExEEDaPvRmT3_T4_T5_mT6_P12ihipStream_tbENKUlT_T0_E_clISt17integral_constantIbLb1EEST_IbLb0EEEEDaSP_SQ_EUlSP_E0_NS1_11comp_targetILNS1_3genE10ELNS1_11target_archE1200ELNS1_3gpuE4ELNS1_3repE0EEENS1_30default_config_static_selectorELNS0_4arch9wavefront6targetE1EEEvT1_
    .private_segment_fixed_size: 0
    .sgpr_count:     4
    .sgpr_spill_count: 0
    .symbol:         _ZN7rocprim17ROCPRIM_400000_NS6detail17trampoline_kernelINS0_14default_configENS1_20scan_config_selectorIxEEZZNS1_9scan_implILNS1_25lookback_scan_determinismE0ELb1ELb1ES3_N6thrust23THRUST_200600_302600_NS6detail15normal_iteratorINS9_10device_ptrIxEEEESE_xNS9_4plusIxEExEEDaPvRmT3_T4_T5_mT6_P12ihipStream_tbENKUlT_T0_E_clISt17integral_constantIbLb1EEST_IbLb0EEEEDaSP_SQ_EUlSP_E0_NS1_11comp_targetILNS1_3genE10ELNS1_11target_archE1200ELNS1_3gpuE4ELNS1_3repE0EEENS1_30default_config_static_selectorELNS0_4arch9wavefront6targetE1EEEvT1_.kd
    .uniform_work_group_size: 1
    .uses_dynamic_stack: false
    .vgpr_count:     0
    .vgpr_spill_count: 0
    .wavefront_size: 64
  - .agpr_count:     0
    .args:
      - .offset:         0
        .size:           40
        .value_kind:     by_value
    .group_segment_fixed_size: 0
    .kernarg_segment_align: 8
    .kernarg_segment_size: 40
    .language:       OpenCL C
    .language_version:
      - 2
      - 0
    .max_flat_workgroup_size: 256
    .name:           _ZN7rocprim17ROCPRIM_400000_NS6detail17trampoline_kernelINS0_14default_configENS1_20scan_config_selectorIxEEZZNS1_9scan_implILNS1_25lookback_scan_determinismE0ELb1ELb1ES3_N6thrust23THRUST_200600_302600_NS6detail15normal_iteratorINS9_10device_ptrIxEEEESE_xNS9_4plusIxEExEEDaPvRmT3_T4_T5_mT6_P12ihipStream_tbENKUlT_T0_E_clISt17integral_constantIbLb1EEST_IbLb0EEEEDaSP_SQ_EUlSP_E0_NS1_11comp_targetILNS1_3genE9ELNS1_11target_archE1100ELNS1_3gpuE3ELNS1_3repE0EEENS1_30default_config_static_selectorELNS0_4arch9wavefront6targetE1EEEvT1_
    .private_segment_fixed_size: 0
    .sgpr_count:     4
    .sgpr_spill_count: 0
    .symbol:         _ZN7rocprim17ROCPRIM_400000_NS6detail17trampoline_kernelINS0_14default_configENS1_20scan_config_selectorIxEEZZNS1_9scan_implILNS1_25lookback_scan_determinismE0ELb1ELb1ES3_N6thrust23THRUST_200600_302600_NS6detail15normal_iteratorINS9_10device_ptrIxEEEESE_xNS9_4plusIxEExEEDaPvRmT3_T4_T5_mT6_P12ihipStream_tbENKUlT_T0_E_clISt17integral_constantIbLb1EEST_IbLb0EEEEDaSP_SQ_EUlSP_E0_NS1_11comp_targetILNS1_3genE9ELNS1_11target_archE1100ELNS1_3gpuE3ELNS1_3repE0EEENS1_30default_config_static_selectorELNS0_4arch9wavefront6targetE1EEEvT1_.kd
    .uniform_work_group_size: 1
    .uses_dynamic_stack: false
    .vgpr_count:     0
    .vgpr_spill_count: 0
    .wavefront_size: 64
  - .agpr_count:     0
    .args:
      - .offset:         0
        .size:           40
        .value_kind:     by_value
    .group_segment_fixed_size: 0
    .kernarg_segment_align: 8
    .kernarg_segment_size: 40
    .language:       OpenCL C
    .language_version:
      - 2
      - 0
    .max_flat_workgroup_size: 256
    .name:           _ZN7rocprim17ROCPRIM_400000_NS6detail17trampoline_kernelINS0_14default_configENS1_20scan_config_selectorIxEEZZNS1_9scan_implILNS1_25lookback_scan_determinismE0ELb1ELb1ES3_N6thrust23THRUST_200600_302600_NS6detail15normal_iteratorINS9_10device_ptrIxEEEESE_xNS9_4plusIxEExEEDaPvRmT3_T4_T5_mT6_P12ihipStream_tbENKUlT_T0_E_clISt17integral_constantIbLb1EEST_IbLb0EEEEDaSP_SQ_EUlSP_E0_NS1_11comp_targetILNS1_3genE8ELNS1_11target_archE1030ELNS1_3gpuE2ELNS1_3repE0EEENS1_30default_config_static_selectorELNS0_4arch9wavefront6targetE1EEEvT1_
    .private_segment_fixed_size: 0
    .sgpr_count:     4
    .sgpr_spill_count: 0
    .symbol:         _ZN7rocprim17ROCPRIM_400000_NS6detail17trampoline_kernelINS0_14default_configENS1_20scan_config_selectorIxEEZZNS1_9scan_implILNS1_25lookback_scan_determinismE0ELb1ELb1ES3_N6thrust23THRUST_200600_302600_NS6detail15normal_iteratorINS9_10device_ptrIxEEEESE_xNS9_4plusIxEExEEDaPvRmT3_T4_T5_mT6_P12ihipStream_tbENKUlT_T0_E_clISt17integral_constantIbLb1EEST_IbLb0EEEEDaSP_SQ_EUlSP_E0_NS1_11comp_targetILNS1_3genE8ELNS1_11target_archE1030ELNS1_3gpuE2ELNS1_3repE0EEENS1_30default_config_static_selectorELNS0_4arch9wavefront6targetE1EEEvT1_.kd
    .uniform_work_group_size: 1
    .uses_dynamic_stack: false
    .vgpr_count:     0
    .vgpr_spill_count: 0
    .wavefront_size: 64
  - .agpr_count:     0
    .args:
      - .offset:         0
        .size:           104
        .value_kind:     by_value
    .group_segment_fixed_size: 0
    .kernarg_segment_align: 8
    .kernarg_segment_size: 104
    .language:       OpenCL C
    .language_version:
      - 2
      - 0
    .max_flat_workgroup_size: 256
    .name:           _ZN7rocprim17ROCPRIM_400000_NS6detail17trampoline_kernelINS0_14default_configENS1_20scan_config_selectorIxEEZZNS1_9scan_implILNS1_25lookback_scan_determinismE0ELb1ELb1ES3_N6thrust23THRUST_200600_302600_NS6detail15normal_iteratorINS9_10device_ptrIxEEEESE_xNS9_4plusIxEExEEDaPvRmT3_T4_T5_mT6_P12ihipStream_tbENKUlT_T0_E_clISt17integral_constantIbLb0EEST_IbLb1EEEEDaSP_SQ_EUlSP_E_NS1_11comp_targetILNS1_3genE0ELNS1_11target_archE4294967295ELNS1_3gpuE0ELNS1_3repE0EEENS1_30default_config_static_selectorELNS0_4arch9wavefront6targetE1EEEvT1_
    .private_segment_fixed_size: 0
    .sgpr_count:     4
    .sgpr_spill_count: 0
    .symbol:         _ZN7rocprim17ROCPRIM_400000_NS6detail17trampoline_kernelINS0_14default_configENS1_20scan_config_selectorIxEEZZNS1_9scan_implILNS1_25lookback_scan_determinismE0ELb1ELb1ES3_N6thrust23THRUST_200600_302600_NS6detail15normal_iteratorINS9_10device_ptrIxEEEESE_xNS9_4plusIxEExEEDaPvRmT3_T4_T5_mT6_P12ihipStream_tbENKUlT_T0_E_clISt17integral_constantIbLb0EEST_IbLb1EEEEDaSP_SQ_EUlSP_E_NS1_11comp_targetILNS1_3genE0ELNS1_11target_archE4294967295ELNS1_3gpuE0ELNS1_3repE0EEENS1_30default_config_static_selectorELNS0_4arch9wavefront6targetE1EEEvT1_.kd
    .uniform_work_group_size: 1
    .uses_dynamic_stack: false
    .vgpr_count:     0
    .vgpr_spill_count: 0
    .wavefront_size: 64
  - .agpr_count:     0
    .args:
      - .offset:         0
        .size:           104
        .value_kind:     by_value
    .group_segment_fixed_size: 0
    .kernarg_segment_align: 8
    .kernarg_segment_size: 104
    .language:       OpenCL C
    .language_version:
      - 2
      - 0
    .max_flat_workgroup_size: 256
    .name:           _ZN7rocprim17ROCPRIM_400000_NS6detail17trampoline_kernelINS0_14default_configENS1_20scan_config_selectorIxEEZZNS1_9scan_implILNS1_25lookback_scan_determinismE0ELb1ELb1ES3_N6thrust23THRUST_200600_302600_NS6detail15normal_iteratorINS9_10device_ptrIxEEEESE_xNS9_4plusIxEExEEDaPvRmT3_T4_T5_mT6_P12ihipStream_tbENKUlT_T0_E_clISt17integral_constantIbLb0EEST_IbLb1EEEEDaSP_SQ_EUlSP_E_NS1_11comp_targetILNS1_3genE5ELNS1_11target_archE942ELNS1_3gpuE9ELNS1_3repE0EEENS1_30default_config_static_selectorELNS0_4arch9wavefront6targetE1EEEvT1_
    .private_segment_fixed_size: 0
    .sgpr_count:     4
    .sgpr_spill_count: 0
    .symbol:         _ZN7rocprim17ROCPRIM_400000_NS6detail17trampoline_kernelINS0_14default_configENS1_20scan_config_selectorIxEEZZNS1_9scan_implILNS1_25lookback_scan_determinismE0ELb1ELb1ES3_N6thrust23THRUST_200600_302600_NS6detail15normal_iteratorINS9_10device_ptrIxEEEESE_xNS9_4plusIxEExEEDaPvRmT3_T4_T5_mT6_P12ihipStream_tbENKUlT_T0_E_clISt17integral_constantIbLb0EEST_IbLb1EEEEDaSP_SQ_EUlSP_E_NS1_11comp_targetILNS1_3genE5ELNS1_11target_archE942ELNS1_3gpuE9ELNS1_3repE0EEENS1_30default_config_static_selectorELNS0_4arch9wavefront6targetE1EEEvT1_.kd
    .uniform_work_group_size: 1
    .uses_dynamic_stack: false
    .vgpr_count:     0
    .vgpr_spill_count: 0
    .wavefront_size: 64
  - .agpr_count:     0
    .args:
      - .offset:         0
        .size:           104
        .value_kind:     by_value
    .group_segment_fixed_size: 7168
    .kernarg_segment_align: 8
    .kernarg_segment_size: 104
    .language:       OpenCL C
    .language_version:
      - 2
      - 0
    .max_flat_workgroup_size: 128
    .name:           _ZN7rocprim17ROCPRIM_400000_NS6detail17trampoline_kernelINS0_14default_configENS1_20scan_config_selectorIxEEZZNS1_9scan_implILNS1_25lookback_scan_determinismE0ELb1ELb1ES3_N6thrust23THRUST_200600_302600_NS6detail15normal_iteratorINS9_10device_ptrIxEEEESE_xNS9_4plusIxEExEEDaPvRmT3_T4_T5_mT6_P12ihipStream_tbENKUlT_T0_E_clISt17integral_constantIbLb0EEST_IbLb1EEEEDaSP_SQ_EUlSP_E_NS1_11comp_targetILNS1_3genE4ELNS1_11target_archE910ELNS1_3gpuE8ELNS1_3repE0EEENS1_30default_config_static_selectorELNS0_4arch9wavefront6targetE1EEEvT1_
    .private_segment_fixed_size: 0
    .sgpr_count:     44
    .sgpr_spill_count: 0
    .symbol:         _ZN7rocprim17ROCPRIM_400000_NS6detail17trampoline_kernelINS0_14default_configENS1_20scan_config_selectorIxEEZZNS1_9scan_implILNS1_25lookback_scan_determinismE0ELb1ELb1ES3_N6thrust23THRUST_200600_302600_NS6detail15normal_iteratorINS9_10device_ptrIxEEEESE_xNS9_4plusIxEExEEDaPvRmT3_T4_T5_mT6_P12ihipStream_tbENKUlT_T0_E_clISt17integral_constantIbLb0EEST_IbLb1EEEEDaSP_SQ_EUlSP_E_NS1_11comp_targetILNS1_3genE4ELNS1_11target_archE910ELNS1_3gpuE8ELNS1_3repE0EEENS1_30default_config_static_selectorELNS0_4arch9wavefront6targetE1EEEvT1_.kd
    .uniform_work_group_size: 1
    .uses_dynamic_stack: false
    .vgpr_count:     51
    .vgpr_spill_count: 0
    .wavefront_size: 64
  - .agpr_count:     0
    .args:
      - .offset:         0
        .size:           104
        .value_kind:     by_value
    .group_segment_fixed_size: 0
    .kernarg_segment_align: 8
    .kernarg_segment_size: 104
    .language:       OpenCL C
    .language_version:
      - 2
      - 0
    .max_flat_workgroup_size: 256
    .name:           _ZN7rocprim17ROCPRIM_400000_NS6detail17trampoline_kernelINS0_14default_configENS1_20scan_config_selectorIxEEZZNS1_9scan_implILNS1_25lookback_scan_determinismE0ELb1ELb1ES3_N6thrust23THRUST_200600_302600_NS6detail15normal_iteratorINS9_10device_ptrIxEEEESE_xNS9_4plusIxEExEEDaPvRmT3_T4_T5_mT6_P12ihipStream_tbENKUlT_T0_E_clISt17integral_constantIbLb0EEST_IbLb1EEEEDaSP_SQ_EUlSP_E_NS1_11comp_targetILNS1_3genE3ELNS1_11target_archE908ELNS1_3gpuE7ELNS1_3repE0EEENS1_30default_config_static_selectorELNS0_4arch9wavefront6targetE1EEEvT1_
    .private_segment_fixed_size: 0
    .sgpr_count:     4
    .sgpr_spill_count: 0
    .symbol:         _ZN7rocprim17ROCPRIM_400000_NS6detail17trampoline_kernelINS0_14default_configENS1_20scan_config_selectorIxEEZZNS1_9scan_implILNS1_25lookback_scan_determinismE0ELb1ELb1ES3_N6thrust23THRUST_200600_302600_NS6detail15normal_iteratorINS9_10device_ptrIxEEEESE_xNS9_4plusIxEExEEDaPvRmT3_T4_T5_mT6_P12ihipStream_tbENKUlT_T0_E_clISt17integral_constantIbLb0EEST_IbLb1EEEEDaSP_SQ_EUlSP_E_NS1_11comp_targetILNS1_3genE3ELNS1_11target_archE908ELNS1_3gpuE7ELNS1_3repE0EEENS1_30default_config_static_selectorELNS0_4arch9wavefront6targetE1EEEvT1_.kd
    .uniform_work_group_size: 1
    .uses_dynamic_stack: false
    .vgpr_count:     0
    .vgpr_spill_count: 0
    .wavefront_size: 64
  - .agpr_count:     0
    .args:
      - .offset:         0
        .size:           104
        .value_kind:     by_value
    .group_segment_fixed_size: 0
    .kernarg_segment_align: 8
    .kernarg_segment_size: 104
    .language:       OpenCL C
    .language_version:
      - 2
      - 0
    .max_flat_workgroup_size: 64
    .name:           _ZN7rocprim17ROCPRIM_400000_NS6detail17trampoline_kernelINS0_14default_configENS1_20scan_config_selectorIxEEZZNS1_9scan_implILNS1_25lookback_scan_determinismE0ELb1ELb1ES3_N6thrust23THRUST_200600_302600_NS6detail15normal_iteratorINS9_10device_ptrIxEEEESE_xNS9_4plusIxEExEEDaPvRmT3_T4_T5_mT6_P12ihipStream_tbENKUlT_T0_E_clISt17integral_constantIbLb0EEST_IbLb1EEEEDaSP_SQ_EUlSP_E_NS1_11comp_targetILNS1_3genE2ELNS1_11target_archE906ELNS1_3gpuE6ELNS1_3repE0EEENS1_30default_config_static_selectorELNS0_4arch9wavefront6targetE1EEEvT1_
    .private_segment_fixed_size: 0
    .sgpr_count:     4
    .sgpr_spill_count: 0
    .symbol:         _ZN7rocprim17ROCPRIM_400000_NS6detail17trampoline_kernelINS0_14default_configENS1_20scan_config_selectorIxEEZZNS1_9scan_implILNS1_25lookback_scan_determinismE0ELb1ELb1ES3_N6thrust23THRUST_200600_302600_NS6detail15normal_iteratorINS9_10device_ptrIxEEEESE_xNS9_4plusIxEExEEDaPvRmT3_T4_T5_mT6_P12ihipStream_tbENKUlT_T0_E_clISt17integral_constantIbLb0EEST_IbLb1EEEEDaSP_SQ_EUlSP_E_NS1_11comp_targetILNS1_3genE2ELNS1_11target_archE906ELNS1_3gpuE6ELNS1_3repE0EEENS1_30default_config_static_selectorELNS0_4arch9wavefront6targetE1EEEvT1_.kd
    .uniform_work_group_size: 1
    .uses_dynamic_stack: false
    .vgpr_count:     0
    .vgpr_spill_count: 0
    .wavefront_size: 64
  - .agpr_count:     0
    .args:
      - .offset:         0
        .size:           104
        .value_kind:     by_value
    .group_segment_fixed_size: 0
    .kernarg_segment_align: 8
    .kernarg_segment_size: 104
    .language:       OpenCL C
    .language_version:
      - 2
      - 0
    .max_flat_workgroup_size: 256
    .name:           _ZN7rocprim17ROCPRIM_400000_NS6detail17trampoline_kernelINS0_14default_configENS1_20scan_config_selectorIxEEZZNS1_9scan_implILNS1_25lookback_scan_determinismE0ELb1ELb1ES3_N6thrust23THRUST_200600_302600_NS6detail15normal_iteratorINS9_10device_ptrIxEEEESE_xNS9_4plusIxEExEEDaPvRmT3_T4_T5_mT6_P12ihipStream_tbENKUlT_T0_E_clISt17integral_constantIbLb0EEST_IbLb1EEEEDaSP_SQ_EUlSP_E_NS1_11comp_targetILNS1_3genE10ELNS1_11target_archE1201ELNS1_3gpuE5ELNS1_3repE0EEENS1_30default_config_static_selectorELNS0_4arch9wavefront6targetE1EEEvT1_
    .private_segment_fixed_size: 0
    .sgpr_count:     4
    .sgpr_spill_count: 0
    .symbol:         _ZN7rocprim17ROCPRIM_400000_NS6detail17trampoline_kernelINS0_14default_configENS1_20scan_config_selectorIxEEZZNS1_9scan_implILNS1_25lookback_scan_determinismE0ELb1ELb1ES3_N6thrust23THRUST_200600_302600_NS6detail15normal_iteratorINS9_10device_ptrIxEEEESE_xNS9_4plusIxEExEEDaPvRmT3_T4_T5_mT6_P12ihipStream_tbENKUlT_T0_E_clISt17integral_constantIbLb0EEST_IbLb1EEEEDaSP_SQ_EUlSP_E_NS1_11comp_targetILNS1_3genE10ELNS1_11target_archE1201ELNS1_3gpuE5ELNS1_3repE0EEENS1_30default_config_static_selectorELNS0_4arch9wavefront6targetE1EEEvT1_.kd
    .uniform_work_group_size: 1
    .uses_dynamic_stack: false
    .vgpr_count:     0
    .vgpr_spill_count: 0
    .wavefront_size: 64
  - .agpr_count:     0
    .args:
      - .offset:         0
        .size:           104
        .value_kind:     by_value
    .group_segment_fixed_size: 0
    .kernarg_segment_align: 8
    .kernarg_segment_size: 104
    .language:       OpenCL C
    .language_version:
      - 2
      - 0
    .max_flat_workgroup_size: 256
    .name:           _ZN7rocprim17ROCPRIM_400000_NS6detail17trampoline_kernelINS0_14default_configENS1_20scan_config_selectorIxEEZZNS1_9scan_implILNS1_25lookback_scan_determinismE0ELb1ELb1ES3_N6thrust23THRUST_200600_302600_NS6detail15normal_iteratorINS9_10device_ptrIxEEEESE_xNS9_4plusIxEExEEDaPvRmT3_T4_T5_mT6_P12ihipStream_tbENKUlT_T0_E_clISt17integral_constantIbLb0EEST_IbLb1EEEEDaSP_SQ_EUlSP_E_NS1_11comp_targetILNS1_3genE10ELNS1_11target_archE1200ELNS1_3gpuE4ELNS1_3repE0EEENS1_30default_config_static_selectorELNS0_4arch9wavefront6targetE1EEEvT1_
    .private_segment_fixed_size: 0
    .sgpr_count:     4
    .sgpr_spill_count: 0
    .symbol:         _ZN7rocprim17ROCPRIM_400000_NS6detail17trampoline_kernelINS0_14default_configENS1_20scan_config_selectorIxEEZZNS1_9scan_implILNS1_25lookback_scan_determinismE0ELb1ELb1ES3_N6thrust23THRUST_200600_302600_NS6detail15normal_iteratorINS9_10device_ptrIxEEEESE_xNS9_4plusIxEExEEDaPvRmT3_T4_T5_mT6_P12ihipStream_tbENKUlT_T0_E_clISt17integral_constantIbLb0EEST_IbLb1EEEEDaSP_SQ_EUlSP_E_NS1_11comp_targetILNS1_3genE10ELNS1_11target_archE1200ELNS1_3gpuE4ELNS1_3repE0EEENS1_30default_config_static_selectorELNS0_4arch9wavefront6targetE1EEEvT1_.kd
    .uniform_work_group_size: 1
    .uses_dynamic_stack: false
    .vgpr_count:     0
    .vgpr_spill_count: 0
    .wavefront_size: 64
  - .agpr_count:     0
    .args:
      - .offset:         0
        .size:           104
        .value_kind:     by_value
    .group_segment_fixed_size: 0
    .kernarg_segment_align: 8
    .kernarg_segment_size: 104
    .language:       OpenCL C
    .language_version:
      - 2
      - 0
    .max_flat_workgroup_size: 256
    .name:           _ZN7rocprim17ROCPRIM_400000_NS6detail17trampoline_kernelINS0_14default_configENS1_20scan_config_selectorIxEEZZNS1_9scan_implILNS1_25lookback_scan_determinismE0ELb1ELb1ES3_N6thrust23THRUST_200600_302600_NS6detail15normal_iteratorINS9_10device_ptrIxEEEESE_xNS9_4plusIxEExEEDaPvRmT3_T4_T5_mT6_P12ihipStream_tbENKUlT_T0_E_clISt17integral_constantIbLb0EEST_IbLb1EEEEDaSP_SQ_EUlSP_E_NS1_11comp_targetILNS1_3genE9ELNS1_11target_archE1100ELNS1_3gpuE3ELNS1_3repE0EEENS1_30default_config_static_selectorELNS0_4arch9wavefront6targetE1EEEvT1_
    .private_segment_fixed_size: 0
    .sgpr_count:     4
    .sgpr_spill_count: 0
    .symbol:         _ZN7rocprim17ROCPRIM_400000_NS6detail17trampoline_kernelINS0_14default_configENS1_20scan_config_selectorIxEEZZNS1_9scan_implILNS1_25lookback_scan_determinismE0ELb1ELb1ES3_N6thrust23THRUST_200600_302600_NS6detail15normal_iteratorINS9_10device_ptrIxEEEESE_xNS9_4plusIxEExEEDaPvRmT3_T4_T5_mT6_P12ihipStream_tbENKUlT_T0_E_clISt17integral_constantIbLb0EEST_IbLb1EEEEDaSP_SQ_EUlSP_E_NS1_11comp_targetILNS1_3genE9ELNS1_11target_archE1100ELNS1_3gpuE3ELNS1_3repE0EEENS1_30default_config_static_selectorELNS0_4arch9wavefront6targetE1EEEvT1_.kd
    .uniform_work_group_size: 1
    .uses_dynamic_stack: false
    .vgpr_count:     0
    .vgpr_spill_count: 0
    .wavefront_size: 64
  - .agpr_count:     0
    .args:
      - .offset:         0
        .size:           104
        .value_kind:     by_value
    .group_segment_fixed_size: 0
    .kernarg_segment_align: 8
    .kernarg_segment_size: 104
    .language:       OpenCL C
    .language_version:
      - 2
      - 0
    .max_flat_workgroup_size: 256
    .name:           _ZN7rocprim17ROCPRIM_400000_NS6detail17trampoline_kernelINS0_14default_configENS1_20scan_config_selectorIxEEZZNS1_9scan_implILNS1_25lookback_scan_determinismE0ELb1ELb1ES3_N6thrust23THRUST_200600_302600_NS6detail15normal_iteratorINS9_10device_ptrIxEEEESE_xNS9_4plusIxEExEEDaPvRmT3_T4_T5_mT6_P12ihipStream_tbENKUlT_T0_E_clISt17integral_constantIbLb0EEST_IbLb1EEEEDaSP_SQ_EUlSP_E_NS1_11comp_targetILNS1_3genE8ELNS1_11target_archE1030ELNS1_3gpuE2ELNS1_3repE0EEENS1_30default_config_static_selectorELNS0_4arch9wavefront6targetE1EEEvT1_
    .private_segment_fixed_size: 0
    .sgpr_count:     4
    .sgpr_spill_count: 0
    .symbol:         _ZN7rocprim17ROCPRIM_400000_NS6detail17trampoline_kernelINS0_14default_configENS1_20scan_config_selectorIxEEZZNS1_9scan_implILNS1_25lookback_scan_determinismE0ELb1ELb1ES3_N6thrust23THRUST_200600_302600_NS6detail15normal_iteratorINS9_10device_ptrIxEEEESE_xNS9_4plusIxEExEEDaPvRmT3_T4_T5_mT6_P12ihipStream_tbENKUlT_T0_E_clISt17integral_constantIbLb0EEST_IbLb1EEEEDaSP_SQ_EUlSP_E_NS1_11comp_targetILNS1_3genE8ELNS1_11target_archE1030ELNS1_3gpuE2ELNS1_3repE0EEENS1_30default_config_static_selectorELNS0_4arch9wavefront6targetE1EEEvT1_.kd
    .uniform_work_group_size: 1
    .uses_dynamic_stack: false
    .vgpr_count:     0
    .vgpr_spill_count: 0
    .wavefront_size: 64
  - .agpr_count:     0
    .args:
      - .offset:         0
        .size:           40
        .value_kind:     by_value
    .group_segment_fixed_size: 0
    .kernarg_segment_align: 8
    .kernarg_segment_size: 40
    .language:       OpenCL C
    .language_version:
      - 2
      - 0
    .max_flat_workgroup_size: 256
    .name:           _ZN7rocprim17ROCPRIM_400000_NS6detail17trampoline_kernelINS0_14default_configENS1_20scan_config_selectorIxEEZZNS1_9scan_implILNS1_25lookback_scan_determinismE0ELb1ELb1ES3_N6thrust23THRUST_200600_302600_NS6detail15normal_iteratorINS9_10device_ptrIxEEEESE_xNS9_4plusIxEExEEDaPvRmT3_T4_T5_mT6_P12ihipStream_tbENKUlT_T0_E_clISt17integral_constantIbLb0EEST_IbLb1EEEEDaSP_SQ_EUlSP_E0_NS1_11comp_targetILNS1_3genE0ELNS1_11target_archE4294967295ELNS1_3gpuE0ELNS1_3repE0EEENS1_30default_config_static_selectorELNS0_4arch9wavefront6targetE1EEEvT1_
    .private_segment_fixed_size: 0
    .sgpr_count:     4
    .sgpr_spill_count: 0
    .symbol:         _ZN7rocprim17ROCPRIM_400000_NS6detail17trampoline_kernelINS0_14default_configENS1_20scan_config_selectorIxEEZZNS1_9scan_implILNS1_25lookback_scan_determinismE0ELb1ELb1ES3_N6thrust23THRUST_200600_302600_NS6detail15normal_iteratorINS9_10device_ptrIxEEEESE_xNS9_4plusIxEExEEDaPvRmT3_T4_T5_mT6_P12ihipStream_tbENKUlT_T0_E_clISt17integral_constantIbLb0EEST_IbLb1EEEEDaSP_SQ_EUlSP_E0_NS1_11comp_targetILNS1_3genE0ELNS1_11target_archE4294967295ELNS1_3gpuE0ELNS1_3repE0EEENS1_30default_config_static_selectorELNS0_4arch9wavefront6targetE1EEEvT1_.kd
    .uniform_work_group_size: 1
    .uses_dynamic_stack: false
    .vgpr_count:     0
    .vgpr_spill_count: 0
    .wavefront_size: 64
  - .agpr_count:     0
    .args:
      - .offset:         0
        .size:           40
        .value_kind:     by_value
    .group_segment_fixed_size: 0
    .kernarg_segment_align: 8
    .kernarg_segment_size: 40
    .language:       OpenCL C
    .language_version:
      - 2
      - 0
    .max_flat_workgroup_size: 256
    .name:           _ZN7rocprim17ROCPRIM_400000_NS6detail17trampoline_kernelINS0_14default_configENS1_20scan_config_selectorIxEEZZNS1_9scan_implILNS1_25lookback_scan_determinismE0ELb1ELb1ES3_N6thrust23THRUST_200600_302600_NS6detail15normal_iteratorINS9_10device_ptrIxEEEESE_xNS9_4plusIxEExEEDaPvRmT3_T4_T5_mT6_P12ihipStream_tbENKUlT_T0_E_clISt17integral_constantIbLb0EEST_IbLb1EEEEDaSP_SQ_EUlSP_E0_NS1_11comp_targetILNS1_3genE5ELNS1_11target_archE942ELNS1_3gpuE9ELNS1_3repE0EEENS1_30default_config_static_selectorELNS0_4arch9wavefront6targetE1EEEvT1_
    .private_segment_fixed_size: 0
    .sgpr_count:     4
    .sgpr_spill_count: 0
    .symbol:         _ZN7rocprim17ROCPRIM_400000_NS6detail17trampoline_kernelINS0_14default_configENS1_20scan_config_selectorIxEEZZNS1_9scan_implILNS1_25lookback_scan_determinismE0ELb1ELb1ES3_N6thrust23THRUST_200600_302600_NS6detail15normal_iteratorINS9_10device_ptrIxEEEESE_xNS9_4plusIxEExEEDaPvRmT3_T4_T5_mT6_P12ihipStream_tbENKUlT_T0_E_clISt17integral_constantIbLb0EEST_IbLb1EEEEDaSP_SQ_EUlSP_E0_NS1_11comp_targetILNS1_3genE5ELNS1_11target_archE942ELNS1_3gpuE9ELNS1_3repE0EEENS1_30default_config_static_selectorELNS0_4arch9wavefront6targetE1EEEvT1_.kd
    .uniform_work_group_size: 1
    .uses_dynamic_stack: false
    .vgpr_count:     0
    .vgpr_spill_count: 0
    .wavefront_size: 64
  - .agpr_count:     0
    .args:
      - .offset:         0
        .size:           40
        .value_kind:     by_value
    .group_segment_fixed_size: 7168
    .kernarg_segment_align: 8
    .kernarg_segment_size: 40
    .language:       OpenCL C
    .language_version:
      - 2
      - 0
    .max_flat_workgroup_size: 128
    .name:           _ZN7rocprim17ROCPRIM_400000_NS6detail17trampoline_kernelINS0_14default_configENS1_20scan_config_selectorIxEEZZNS1_9scan_implILNS1_25lookback_scan_determinismE0ELb1ELb1ES3_N6thrust23THRUST_200600_302600_NS6detail15normal_iteratorINS9_10device_ptrIxEEEESE_xNS9_4plusIxEExEEDaPvRmT3_T4_T5_mT6_P12ihipStream_tbENKUlT_T0_E_clISt17integral_constantIbLb0EEST_IbLb1EEEEDaSP_SQ_EUlSP_E0_NS1_11comp_targetILNS1_3genE4ELNS1_11target_archE910ELNS1_3gpuE8ELNS1_3repE0EEENS1_30default_config_static_selectorELNS0_4arch9wavefront6targetE1EEEvT1_
    .private_segment_fixed_size: 0
    .sgpr_count:     28
    .sgpr_spill_count: 0
    .symbol:         _ZN7rocprim17ROCPRIM_400000_NS6detail17trampoline_kernelINS0_14default_configENS1_20scan_config_selectorIxEEZZNS1_9scan_implILNS1_25lookback_scan_determinismE0ELb1ELb1ES3_N6thrust23THRUST_200600_302600_NS6detail15normal_iteratorINS9_10device_ptrIxEEEESE_xNS9_4plusIxEExEEDaPvRmT3_T4_T5_mT6_P12ihipStream_tbENKUlT_T0_E_clISt17integral_constantIbLb0EEST_IbLb1EEEEDaSP_SQ_EUlSP_E0_NS1_11comp_targetILNS1_3genE4ELNS1_11target_archE910ELNS1_3gpuE8ELNS1_3repE0EEENS1_30default_config_static_selectorELNS0_4arch9wavefront6targetE1EEEvT1_.kd
    .uniform_work_group_size: 1
    .uses_dynamic_stack: false
    .vgpr_count:     29
    .vgpr_spill_count: 0
    .wavefront_size: 64
  - .agpr_count:     0
    .args:
      - .offset:         0
        .size:           40
        .value_kind:     by_value
    .group_segment_fixed_size: 0
    .kernarg_segment_align: 8
    .kernarg_segment_size: 40
    .language:       OpenCL C
    .language_version:
      - 2
      - 0
    .max_flat_workgroup_size: 256
    .name:           _ZN7rocprim17ROCPRIM_400000_NS6detail17trampoline_kernelINS0_14default_configENS1_20scan_config_selectorIxEEZZNS1_9scan_implILNS1_25lookback_scan_determinismE0ELb1ELb1ES3_N6thrust23THRUST_200600_302600_NS6detail15normal_iteratorINS9_10device_ptrIxEEEESE_xNS9_4plusIxEExEEDaPvRmT3_T4_T5_mT6_P12ihipStream_tbENKUlT_T0_E_clISt17integral_constantIbLb0EEST_IbLb1EEEEDaSP_SQ_EUlSP_E0_NS1_11comp_targetILNS1_3genE3ELNS1_11target_archE908ELNS1_3gpuE7ELNS1_3repE0EEENS1_30default_config_static_selectorELNS0_4arch9wavefront6targetE1EEEvT1_
    .private_segment_fixed_size: 0
    .sgpr_count:     4
    .sgpr_spill_count: 0
    .symbol:         _ZN7rocprim17ROCPRIM_400000_NS6detail17trampoline_kernelINS0_14default_configENS1_20scan_config_selectorIxEEZZNS1_9scan_implILNS1_25lookback_scan_determinismE0ELb1ELb1ES3_N6thrust23THRUST_200600_302600_NS6detail15normal_iteratorINS9_10device_ptrIxEEEESE_xNS9_4plusIxEExEEDaPvRmT3_T4_T5_mT6_P12ihipStream_tbENKUlT_T0_E_clISt17integral_constantIbLb0EEST_IbLb1EEEEDaSP_SQ_EUlSP_E0_NS1_11comp_targetILNS1_3genE3ELNS1_11target_archE908ELNS1_3gpuE7ELNS1_3repE0EEENS1_30default_config_static_selectorELNS0_4arch9wavefront6targetE1EEEvT1_.kd
    .uniform_work_group_size: 1
    .uses_dynamic_stack: false
    .vgpr_count:     0
    .vgpr_spill_count: 0
    .wavefront_size: 64
  - .agpr_count:     0
    .args:
      - .offset:         0
        .size:           40
        .value_kind:     by_value
    .group_segment_fixed_size: 0
    .kernarg_segment_align: 8
    .kernarg_segment_size: 40
    .language:       OpenCL C
    .language_version:
      - 2
      - 0
    .max_flat_workgroup_size: 64
    .name:           _ZN7rocprim17ROCPRIM_400000_NS6detail17trampoline_kernelINS0_14default_configENS1_20scan_config_selectorIxEEZZNS1_9scan_implILNS1_25lookback_scan_determinismE0ELb1ELb1ES3_N6thrust23THRUST_200600_302600_NS6detail15normal_iteratorINS9_10device_ptrIxEEEESE_xNS9_4plusIxEExEEDaPvRmT3_T4_T5_mT6_P12ihipStream_tbENKUlT_T0_E_clISt17integral_constantIbLb0EEST_IbLb1EEEEDaSP_SQ_EUlSP_E0_NS1_11comp_targetILNS1_3genE2ELNS1_11target_archE906ELNS1_3gpuE6ELNS1_3repE0EEENS1_30default_config_static_selectorELNS0_4arch9wavefront6targetE1EEEvT1_
    .private_segment_fixed_size: 0
    .sgpr_count:     4
    .sgpr_spill_count: 0
    .symbol:         _ZN7rocprim17ROCPRIM_400000_NS6detail17trampoline_kernelINS0_14default_configENS1_20scan_config_selectorIxEEZZNS1_9scan_implILNS1_25lookback_scan_determinismE0ELb1ELb1ES3_N6thrust23THRUST_200600_302600_NS6detail15normal_iteratorINS9_10device_ptrIxEEEESE_xNS9_4plusIxEExEEDaPvRmT3_T4_T5_mT6_P12ihipStream_tbENKUlT_T0_E_clISt17integral_constantIbLb0EEST_IbLb1EEEEDaSP_SQ_EUlSP_E0_NS1_11comp_targetILNS1_3genE2ELNS1_11target_archE906ELNS1_3gpuE6ELNS1_3repE0EEENS1_30default_config_static_selectorELNS0_4arch9wavefront6targetE1EEEvT1_.kd
    .uniform_work_group_size: 1
    .uses_dynamic_stack: false
    .vgpr_count:     0
    .vgpr_spill_count: 0
    .wavefront_size: 64
  - .agpr_count:     0
    .args:
      - .offset:         0
        .size:           40
        .value_kind:     by_value
    .group_segment_fixed_size: 0
    .kernarg_segment_align: 8
    .kernarg_segment_size: 40
    .language:       OpenCL C
    .language_version:
      - 2
      - 0
    .max_flat_workgroup_size: 256
    .name:           _ZN7rocprim17ROCPRIM_400000_NS6detail17trampoline_kernelINS0_14default_configENS1_20scan_config_selectorIxEEZZNS1_9scan_implILNS1_25lookback_scan_determinismE0ELb1ELb1ES3_N6thrust23THRUST_200600_302600_NS6detail15normal_iteratorINS9_10device_ptrIxEEEESE_xNS9_4plusIxEExEEDaPvRmT3_T4_T5_mT6_P12ihipStream_tbENKUlT_T0_E_clISt17integral_constantIbLb0EEST_IbLb1EEEEDaSP_SQ_EUlSP_E0_NS1_11comp_targetILNS1_3genE10ELNS1_11target_archE1201ELNS1_3gpuE5ELNS1_3repE0EEENS1_30default_config_static_selectorELNS0_4arch9wavefront6targetE1EEEvT1_
    .private_segment_fixed_size: 0
    .sgpr_count:     4
    .sgpr_spill_count: 0
    .symbol:         _ZN7rocprim17ROCPRIM_400000_NS6detail17trampoline_kernelINS0_14default_configENS1_20scan_config_selectorIxEEZZNS1_9scan_implILNS1_25lookback_scan_determinismE0ELb1ELb1ES3_N6thrust23THRUST_200600_302600_NS6detail15normal_iteratorINS9_10device_ptrIxEEEESE_xNS9_4plusIxEExEEDaPvRmT3_T4_T5_mT6_P12ihipStream_tbENKUlT_T0_E_clISt17integral_constantIbLb0EEST_IbLb1EEEEDaSP_SQ_EUlSP_E0_NS1_11comp_targetILNS1_3genE10ELNS1_11target_archE1201ELNS1_3gpuE5ELNS1_3repE0EEENS1_30default_config_static_selectorELNS0_4arch9wavefront6targetE1EEEvT1_.kd
    .uniform_work_group_size: 1
    .uses_dynamic_stack: false
    .vgpr_count:     0
    .vgpr_spill_count: 0
    .wavefront_size: 64
  - .agpr_count:     0
    .args:
      - .offset:         0
        .size:           40
        .value_kind:     by_value
    .group_segment_fixed_size: 0
    .kernarg_segment_align: 8
    .kernarg_segment_size: 40
    .language:       OpenCL C
    .language_version:
      - 2
      - 0
    .max_flat_workgroup_size: 256
    .name:           _ZN7rocprim17ROCPRIM_400000_NS6detail17trampoline_kernelINS0_14default_configENS1_20scan_config_selectorIxEEZZNS1_9scan_implILNS1_25lookback_scan_determinismE0ELb1ELb1ES3_N6thrust23THRUST_200600_302600_NS6detail15normal_iteratorINS9_10device_ptrIxEEEESE_xNS9_4plusIxEExEEDaPvRmT3_T4_T5_mT6_P12ihipStream_tbENKUlT_T0_E_clISt17integral_constantIbLb0EEST_IbLb1EEEEDaSP_SQ_EUlSP_E0_NS1_11comp_targetILNS1_3genE10ELNS1_11target_archE1200ELNS1_3gpuE4ELNS1_3repE0EEENS1_30default_config_static_selectorELNS0_4arch9wavefront6targetE1EEEvT1_
    .private_segment_fixed_size: 0
    .sgpr_count:     4
    .sgpr_spill_count: 0
    .symbol:         _ZN7rocprim17ROCPRIM_400000_NS6detail17trampoline_kernelINS0_14default_configENS1_20scan_config_selectorIxEEZZNS1_9scan_implILNS1_25lookback_scan_determinismE0ELb1ELb1ES3_N6thrust23THRUST_200600_302600_NS6detail15normal_iteratorINS9_10device_ptrIxEEEESE_xNS9_4plusIxEExEEDaPvRmT3_T4_T5_mT6_P12ihipStream_tbENKUlT_T0_E_clISt17integral_constantIbLb0EEST_IbLb1EEEEDaSP_SQ_EUlSP_E0_NS1_11comp_targetILNS1_3genE10ELNS1_11target_archE1200ELNS1_3gpuE4ELNS1_3repE0EEENS1_30default_config_static_selectorELNS0_4arch9wavefront6targetE1EEEvT1_.kd
    .uniform_work_group_size: 1
    .uses_dynamic_stack: false
    .vgpr_count:     0
    .vgpr_spill_count: 0
    .wavefront_size: 64
  - .agpr_count:     0
    .args:
      - .offset:         0
        .size:           40
        .value_kind:     by_value
    .group_segment_fixed_size: 0
    .kernarg_segment_align: 8
    .kernarg_segment_size: 40
    .language:       OpenCL C
    .language_version:
      - 2
      - 0
    .max_flat_workgroup_size: 256
    .name:           _ZN7rocprim17ROCPRIM_400000_NS6detail17trampoline_kernelINS0_14default_configENS1_20scan_config_selectorIxEEZZNS1_9scan_implILNS1_25lookback_scan_determinismE0ELb1ELb1ES3_N6thrust23THRUST_200600_302600_NS6detail15normal_iteratorINS9_10device_ptrIxEEEESE_xNS9_4plusIxEExEEDaPvRmT3_T4_T5_mT6_P12ihipStream_tbENKUlT_T0_E_clISt17integral_constantIbLb0EEST_IbLb1EEEEDaSP_SQ_EUlSP_E0_NS1_11comp_targetILNS1_3genE9ELNS1_11target_archE1100ELNS1_3gpuE3ELNS1_3repE0EEENS1_30default_config_static_selectorELNS0_4arch9wavefront6targetE1EEEvT1_
    .private_segment_fixed_size: 0
    .sgpr_count:     4
    .sgpr_spill_count: 0
    .symbol:         _ZN7rocprim17ROCPRIM_400000_NS6detail17trampoline_kernelINS0_14default_configENS1_20scan_config_selectorIxEEZZNS1_9scan_implILNS1_25lookback_scan_determinismE0ELb1ELb1ES3_N6thrust23THRUST_200600_302600_NS6detail15normal_iteratorINS9_10device_ptrIxEEEESE_xNS9_4plusIxEExEEDaPvRmT3_T4_T5_mT6_P12ihipStream_tbENKUlT_T0_E_clISt17integral_constantIbLb0EEST_IbLb1EEEEDaSP_SQ_EUlSP_E0_NS1_11comp_targetILNS1_3genE9ELNS1_11target_archE1100ELNS1_3gpuE3ELNS1_3repE0EEENS1_30default_config_static_selectorELNS0_4arch9wavefront6targetE1EEEvT1_.kd
    .uniform_work_group_size: 1
    .uses_dynamic_stack: false
    .vgpr_count:     0
    .vgpr_spill_count: 0
    .wavefront_size: 64
  - .agpr_count:     0
    .args:
      - .offset:         0
        .size:           40
        .value_kind:     by_value
    .group_segment_fixed_size: 0
    .kernarg_segment_align: 8
    .kernarg_segment_size: 40
    .language:       OpenCL C
    .language_version:
      - 2
      - 0
    .max_flat_workgroup_size: 256
    .name:           _ZN7rocprim17ROCPRIM_400000_NS6detail17trampoline_kernelINS0_14default_configENS1_20scan_config_selectorIxEEZZNS1_9scan_implILNS1_25lookback_scan_determinismE0ELb1ELb1ES3_N6thrust23THRUST_200600_302600_NS6detail15normal_iteratorINS9_10device_ptrIxEEEESE_xNS9_4plusIxEExEEDaPvRmT3_T4_T5_mT6_P12ihipStream_tbENKUlT_T0_E_clISt17integral_constantIbLb0EEST_IbLb1EEEEDaSP_SQ_EUlSP_E0_NS1_11comp_targetILNS1_3genE8ELNS1_11target_archE1030ELNS1_3gpuE2ELNS1_3repE0EEENS1_30default_config_static_selectorELNS0_4arch9wavefront6targetE1EEEvT1_
    .private_segment_fixed_size: 0
    .sgpr_count:     4
    .sgpr_spill_count: 0
    .symbol:         _ZN7rocprim17ROCPRIM_400000_NS6detail17trampoline_kernelINS0_14default_configENS1_20scan_config_selectorIxEEZZNS1_9scan_implILNS1_25lookback_scan_determinismE0ELb1ELb1ES3_N6thrust23THRUST_200600_302600_NS6detail15normal_iteratorINS9_10device_ptrIxEEEESE_xNS9_4plusIxEExEEDaPvRmT3_T4_T5_mT6_P12ihipStream_tbENKUlT_T0_E_clISt17integral_constantIbLb0EEST_IbLb1EEEEDaSP_SQ_EUlSP_E0_NS1_11comp_targetILNS1_3genE8ELNS1_11target_archE1030ELNS1_3gpuE2ELNS1_3repE0EEENS1_30default_config_static_selectorELNS0_4arch9wavefront6targetE1EEEvT1_.kd
    .uniform_work_group_size: 1
    .uses_dynamic_stack: false
    .vgpr_count:     0
    .vgpr_spill_count: 0
    .wavefront_size: 64
  - .agpr_count:     0
    .args:
      - .offset:         0
        .size:           104
        .value_kind:     by_value
    .group_segment_fixed_size: 0
    .kernarg_segment_align: 8
    .kernarg_segment_size: 104
    .language:       OpenCL C
    .language_version:
      - 2
      - 0
    .max_flat_workgroup_size: 256
    .name:           _ZN7rocprim17ROCPRIM_400000_NS6detail17trampoline_kernelINS0_14default_configENS1_20scan_config_selectorIxEEZZNS1_9scan_implILNS1_25lookback_scan_determinismE0ELb0ELb1ES3_N6thrust23THRUST_200600_302600_NS6detail15normal_iteratorINS9_10device_ptrIxEEEESE_xNS9_4plusIxEExEEDaPvRmT3_T4_T5_mT6_P12ihipStream_tbENKUlT_T0_E_clISt17integral_constantIbLb0EESU_EEDaSP_SQ_EUlSP_E_NS1_11comp_targetILNS1_3genE0ELNS1_11target_archE4294967295ELNS1_3gpuE0ELNS1_3repE0EEENS1_30default_config_static_selectorELNS0_4arch9wavefront6targetE1EEEvT1_
    .private_segment_fixed_size: 0
    .sgpr_count:     4
    .sgpr_spill_count: 0
    .symbol:         _ZN7rocprim17ROCPRIM_400000_NS6detail17trampoline_kernelINS0_14default_configENS1_20scan_config_selectorIxEEZZNS1_9scan_implILNS1_25lookback_scan_determinismE0ELb0ELb1ES3_N6thrust23THRUST_200600_302600_NS6detail15normal_iteratorINS9_10device_ptrIxEEEESE_xNS9_4plusIxEExEEDaPvRmT3_T4_T5_mT6_P12ihipStream_tbENKUlT_T0_E_clISt17integral_constantIbLb0EESU_EEDaSP_SQ_EUlSP_E_NS1_11comp_targetILNS1_3genE0ELNS1_11target_archE4294967295ELNS1_3gpuE0ELNS1_3repE0EEENS1_30default_config_static_selectorELNS0_4arch9wavefront6targetE1EEEvT1_.kd
    .uniform_work_group_size: 1
    .uses_dynamic_stack: false
    .vgpr_count:     0
    .vgpr_spill_count: 0
    .wavefront_size: 64
  - .agpr_count:     0
    .args:
      - .offset:         0
        .size:           104
        .value_kind:     by_value
    .group_segment_fixed_size: 0
    .kernarg_segment_align: 8
    .kernarg_segment_size: 104
    .language:       OpenCL C
    .language_version:
      - 2
      - 0
    .max_flat_workgroup_size: 256
    .name:           _ZN7rocprim17ROCPRIM_400000_NS6detail17trampoline_kernelINS0_14default_configENS1_20scan_config_selectorIxEEZZNS1_9scan_implILNS1_25lookback_scan_determinismE0ELb0ELb1ES3_N6thrust23THRUST_200600_302600_NS6detail15normal_iteratorINS9_10device_ptrIxEEEESE_xNS9_4plusIxEExEEDaPvRmT3_T4_T5_mT6_P12ihipStream_tbENKUlT_T0_E_clISt17integral_constantIbLb0EESU_EEDaSP_SQ_EUlSP_E_NS1_11comp_targetILNS1_3genE5ELNS1_11target_archE942ELNS1_3gpuE9ELNS1_3repE0EEENS1_30default_config_static_selectorELNS0_4arch9wavefront6targetE1EEEvT1_
    .private_segment_fixed_size: 0
    .sgpr_count:     4
    .sgpr_spill_count: 0
    .symbol:         _ZN7rocprim17ROCPRIM_400000_NS6detail17trampoline_kernelINS0_14default_configENS1_20scan_config_selectorIxEEZZNS1_9scan_implILNS1_25lookback_scan_determinismE0ELb0ELb1ES3_N6thrust23THRUST_200600_302600_NS6detail15normal_iteratorINS9_10device_ptrIxEEEESE_xNS9_4plusIxEExEEDaPvRmT3_T4_T5_mT6_P12ihipStream_tbENKUlT_T0_E_clISt17integral_constantIbLb0EESU_EEDaSP_SQ_EUlSP_E_NS1_11comp_targetILNS1_3genE5ELNS1_11target_archE942ELNS1_3gpuE9ELNS1_3repE0EEENS1_30default_config_static_selectorELNS0_4arch9wavefront6targetE1EEEvT1_.kd
    .uniform_work_group_size: 1
    .uses_dynamic_stack: false
    .vgpr_count:     0
    .vgpr_spill_count: 0
    .wavefront_size: 64
  - .agpr_count:     0
    .args:
      - .offset:         0
        .size:           104
        .value_kind:     by_value
    .group_segment_fixed_size: 7168
    .kernarg_segment_align: 8
    .kernarg_segment_size: 104
    .language:       OpenCL C
    .language_version:
      - 2
      - 0
    .max_flat_workgroup_size: 128
    .name:           _ZN7rocprim17ROCPRIM_400000_NS6detail17trampoline_kernelINS0_14default_configENS1_20scan_config_selectorIxEEZZNS1_9scan_implILNS1_25lookback_scan_determinismE0ELb0ELb1ES3_N6thrust23THRUST_200600_302600_NS6detail15normal_iteratorINS9_10device_ptrIxEEEESE_xNS9_4plusIxEExEEDaPvRmT3_T4_T5_mT6_P12ihipStream_tbENKUlT_T0_E_clISt17integral_constantIbLb0EESU_EEDaSP_SQ_EUlSP_E_NS1_11comp_targetILNS1_3genE4ELNS1_11target_archE910ELNS1_3gpuE8ELNS1_3repE0EEENS1_30default_config_static_selectorELNS0_4arch9wavefront6targetE1EEEvT1_
    .private_segment_fixed_size: 0
    .sgpr_count:     39
    .sgpr_spill_count: 0
    .symbol:         _ZN7rocprim17ROCPRIM_400000_NS6detail17trampoline_kernelINS0_14default_configENS1_20scan_config_selectorIxEEZZNS1_9scan_implILNS1_25lookback_scan_determinismE0ELb0ELb1ES3_N6thrust23THRUST_200600_302600_NS6detail15normal_iteratorINS9_10device_ptrIxEEEESE_xNS9_4plusIxEExEEDaPvRmT3_T4_T5_mT6_P12ihipStream_tbENKUlT_T0_E_clISt17integral_constantIbLb0EESU_EEDaSP_SQ_EUlSP_E_NS1_11comp_targetILNS1_3genE4ELNS1_11target_archE910ELNS1_3gpuE8ELNS1_3repE0EEENS1_30default_config_static_selectorELNS0_4arch9wavefront6targetE1EEEvT1_.kd
    .uniform_work_group_size: 1
    .uses_dynamic_stack: false
    .vgpr_count:     51
    .vgpr_spill_count: 0
    .wavefront_size: 64
  - .agpr_count:     0
    .args:
      - .offset:         0
        .size:           104
        .value_kind:     by_value
    .group_segment_fixed_size: 0
    .kernarg_segment_align: 8
    .kernarg_segment_size: 104
    .language:       OpenCL C
    .language_version:
      - 2
      - 0
    .max_flat_workgroup_size: 256
    .name:           _ZN7rocprim17ROCPRIM_400000_NS6detail17trampoline_kernelINS0_14default_configENS1_20scan_config_selectorIxEEZZNS1_9scan_implILNS1_25lookback_scan_determinismE0ELb0ELb1ES3_N6thrust23THRUST_200600_302600_NS6detail15normal_iteratorINS9_10device_ptrIxEEEESE_xNS9_4plusIxEExEEDaPvRmT3_T4_T5_mT6_P12ihipStream_tbENKUlT_T0_E_clISt17integral_constantIbLb0EESU_EEDaSP_SQ_EUlSP_E_NS1_11comp_targetILNS1_3genE3ELNS1_11target_archE908ELNS1_3gpuE7ELNS1_3repE0EEENS1_30default_config_static_selectorELNS0_4arch9wavefront6targetE1EEEvT1_
    .private_segment_fixed_size: 0
    .sgpr_count:     4
    .sgpr_spill_count: 0
    .symbol:         _ZN7rocprim17ROCPRIM_400000_NS6detail17trampoline_kernelINS0_14default_configENS1_20scan_config_selectorIxEEZZNS1_9scan_implILNS1_25lookback_scan_determinismE0ELb0ELb1ES3_N6thrust23THRUST_200600_302600_NS6detail15normal_iteratorINS9_10device_ptrIxEEEESE_xNS9_4plusIxEExEEDaPvRmT3_T4_T5_mT6_P12ihipStream_tbENKUlT_T0_E_clISt17integral_constantIbLb0EESU_EEDaSP_SQ_EUlSP_E_NS1_11comp_targetILNS1_3genE3ELNS1_11target_archE908ELNS1_3gpuE7ELNS1_3repE0EEENS1_30default_config_static_selectorELNS0_4arch9wavefront6targetE1EEEvT1_.kd
    .uniform_work_group_size: 1
    .uses_dynamic_stack: false
    .vgpr_count:     0
    .vgpr_spill_count: 0
    .wavefront_size: 64
  - .agpr_count:     0
    .args:
      - .offset:         0
        .size:           104
        .value_kind:     by_value
    .group_segment_fixed_size: 0
    .kernarg_segment_align: 8
    .kernarg_segment_size: 104
    .language:       OpenCL C
    .language_version:
      - 2
      - 0
    .max_flat_workgroup_size: 64
    .name:           _ZN7rocprim17ROCPRIM_400000_NS6detail17trampoline_kernelINS0_14default_configENS1_20scan_config_selectorIxEEZZNS1_9scan_implILNS1_25lookback_scan_determinismE0ELb0ELb1ES3_N6thrust23THRUST_200600_302600_NS6detail15normal_iteratorINS9_10device_ptrIxEEEESE_xNS9_4plusIxEExEEDaPvRmT3_T4_T5_mT6_P12ihipStream_tbENKUlT_T0_E_clISt17integral_constantIbLb0EESU_EEDaSP_SQ_EUlSP_E_NS1_11comp_targetILNS1_3genE2ELNS1_11target_archE906ELNS1_3gpuE6ELNS1_3repE0EEENS1_30default_config_static_selectorELNS0_4arch9wavefront6targetE1EEEvT1_
    .private_segment_fixed_size: 0
    .sgpr_count:     4
    .sgpr_spill_count: 0
    .symbol:         _ZN7rocprim17ROCPRIM_400000_NS6detail17trampoline_kernelINS0_14default_configENS1_20scan_config_selectorIxEEZZNS1_9scan_implILNS1_25lookback_scan_determinismE0ELb0ELb1ES3_N6thrust23THRUST_200600_302600_NS6detail15normal_iteratorINS9_10device_ptrIxEEEESE_xNS9_4plusIxEExEEDaPvRmT3_T4_T5_mT6_P12ihipStream_tbENKUlT_T0_E_clISt17integral_constantIbLb0EESU_EEDaSP_SQ_EUlSP_E_NS1_11comp_targetILNS1_3genE2ELNS1_11target_archE906ELNS1_3gpuE6ELNS1_3repE0EEENS1_30default_config_static_selectorELNS0_4arch9wavefront6targetE1EEEvT1_.kd
    .uniform_work_group_size: 1
    .uses_dynamic_stack: false
    .vgpr_count:     0
    .vgpr_spill_count: 0
    .wavefront_size: 64
  - .agpr_count:     0
    .args:
      - .offset:         0
        .size:           104
        .value_kind:     by_value
    .group_segment_fixed_size: 0
    .kernarg_segment_align: 8
    .kernarg_segment_size: 104
    .language:       OpenCL C
    .language_version:
      - 2
      - 0
    .max_flat_workgroup_size: 256
    .name:           _ZN7rocprim17ROCPRIM_400000_NS6detail17trampoline_kernelINS0_14default_configENS1_20scan_config_selectorIxEEZZNS1_9scan_implILNS1_25lookback_scan_determinismE0ELb0ELb1ES3_N6thrust23THRUST_200600_302600_NS6detail15normal_iteratorINS9_10device_ptrIxEEEESE_xNS9_4plusIxEExEEDaPvRmT3_T4_T5_mT6_P12ihipStream_tbENKUlT_T0_E_clISt17integral_constantIbLb0EESU_EEDaSP_SQ_EUlSP_E_NS1_11comp_targetILNS1_3genE10ELNS1_11target_archE1201ELNS1_3gpuE5ELNS1_3repE0EEENS1_30default_config_static_selectorELNS0_4arch9wavefront6targetE1EEEvT1_
    .private_segment_fixed_size: 0
    .sgpr_count:     4
    .sgpr_spill_count: 0
    .symbol:         _ZN7rocprim17ROCPRIM_400000_NS6detail17trampoline_kernelINS0_14default_configENS1_20scan_config_selectorIxEEZZNS1_9scan_implILNS1_25lookback_scan_determinismE0ELb0ELb1ES3_N6thrust23THRUST_200600_302600_NS6detail15normal_iteratorINS9_10device_ptrIxEEEESE_xNS9_4plusIxEExEEDaPvRmT3_T4_T5_mT6_P12ihipStream_tbENKUlT_T0_E_clISt17integral_constantIbLb0EESU_EEDaSP_SQ_EUlSP_E_NS1_11comp_targetILNS1_3genE10ELNS1_11target_archE1201ELNS1_3gpuE5ELNS1_3repE0EEENS1_30default_config_static_selectorELNS0_4arch9wavefront6targetE1EEEvT1_.kd
    .uniform_work_group_size: 1
    .uses_dynamic_stack: false
    .vgpr_count:     0
    .vgpr_spill_count: 0
    .wavefront_size: 64
  - .agpr_count:     0
    .args:
      - .offset:         0
        .size:           104
        .value_kind:     by_value
    .group_segment_fixed_size: 0
    .kernarg_segment_align: 8
    .kernarg_segment_size: 104
    .language:       OpenCL C
    .language_version:
      - 2
      - 0
    .max_flat_workgroup_size: 256
    .name:           _ZN7rocprim17ROCPRIM_400000_NS6detail17trampoline_kernelINS0_14default_configENS1_20scan_config_selectorIxEEZZNS1_9scan_implILNS1_25lookback_scan_determinismE0ELb0ELb1ES3_N6thrust23THRUST_200600_302600_NS6detail15normal_iteratorINS9_10device_ptrIxEEEESE_xNS9_4plusIxEExEEDaPvRmT3_T4_T5_mT6_P12ihipStream_tbENKUlT_T0_E_clISt17integral_constantIbLb0EESU_EEDaSP_SQ_EUlSP_E_NS1_11comp_targetILNS1_3genE10ELNS1_11target_archE1200ELNS1_3gpuE4ELNS1_3repE0EEENS1_30default_config_static_selectorELNS0_4arch9wavefront6targetE1EEEvT1_
    .private_segment_fixed_size: 0
    .sgpr_count:     4
    .sgpr_spill_count: 0
    .symbol:         _ZN7rocprim17ROCPRIM_400000_NS6detail17trampoline_kernelINS0_14default_configENS1_20scan_config_selectorIxEEZZNS1_9scan_implILNS1_25lookback_scan_determinismE0ELb0ELb1ES3_N6thrust23THRUST_200600_302600_NS6detail15normal_iteratorINS9_10device_ptrIxEEEESE_xNS9_4plusIxEExEEDaPvRmT3_T4_T5_mT6_P12ihipStream_tbENKUlT_T0_E_clISt17integral_constantIbLb0EESU_EEDaSP_SQ_EUlSP_E_NS1_11comp_targetILNS1_3genE10ELNS1_11target_archE1200ELNS1_3gpuE4ELNS1_3repE0EEENS1_30default_config_static_selectorELNS0_4arch9wavefront6targetE1EEEvT1_.kd
    .uniform_work_group_size: 1
    .uses_dynamic_stack: false
    .vgpr_count:     0
    .vgpr_spill_count: 0
    .wavefront_size: 64
  - .agpr_count:     0
    .args:
      - .offset:         0
        .size:           104
        .value_kind:     by_value
    .group_segment_fixed_size: 0
    .kernarg_segment_align: 8
    .kernarg_segment_size: 104
    .language:       OpenCL C
    .language_version:
      - 2
      - 0
    .max_flat_workgroup_size: 256
    .name:           _ZN7rocprim17ROCPRIM_400000_NS6detail17trampoline_kernelINS0_14default_configENS1_20scan_config_selectorIxEEZZNS1_9scan_implILNS1_25lookback_scan_determinismE0ELb0ELb1ES3_N6thrust23THRUST_200600_302600_NS6detail15normal_iteratorINS9_10device_ptrIxEEEESE_xNS9_4plusIxEExEEDaPvRmT3_T4_T5_mT6_P12ihipStream_tbENKUlT_T0_E_clISt17integral_constantIbLb0EESU_EEDaSP_SQ_EUlSP_E_NS1_11comp_targetILNS1_3genE9ELNS1_11target_archE1100ELNS1_3gpuE3ELNS1_3repE0EEENS1_30default_config_static_selectorELNS0_4arch9wavefront6targetE1EEEvT1_
    .private_segment_fixed_size: 0
    .sgpr_count:     4
    .sgpr_spill_count: 0
    .symbol:         _ZN7rocprim17ROCPRIM_400000_NS6detail17trampoline_kernelINS0_14default_configENS1_20scan_config_selectorIxEEZZNS1_9scan_implILNS1_25lookback_scan_determinismE0ELb0ELb1ES3_N6thrust23THRUST_200600_302600_NS6detail15normal_iteratorINS9_10device_ptrIxEEEESE_xNS9_4plusIxEExEEDaPvRmT3_T4_T5_mT6_P12ihipStream_tbENKUlT_T0_E_clISt17integral_constantIbLb0EESU_EEDaSP_SQ_EUlSP_E_NS1_11comp_targetILNS1_3genE9ELNS1_11target_archE1100ELNS1_3gpuE3ELNS1_3repE0EEENS1_30default_config_static_selectorELNS0_4arch9wavefront6targetE1EEEvT1_.kd
    .uniform_work_group_size: 1
    .uses_dynamic_stack: false
    .vgpr_count:     0
    .vgpr_spill_count: 0
    .wavefront_size: 64
  - .agpr_count:     0
    .args:
      - .offset:         0
        .size:           104
        .value_kind:     by_value
    .group_segment_fixed_size: 0
    .kernarg_segment_align: 8
    .kernarg_segment_size: 104
    .language:       OpenCL C
    .language_version:
      - 2
      - 0
    .max_flat_workgroup_size: 256
    .name:           _ZN7rocprim17ROCPRIM_400000_NS6detail17trampoline_kernelINS0_14default_configENS1_20scan_config_selectorIxEEZZNS1_9scan_implILNS1_25lookback_scan_determinismE0ELb0ELb1ES3_N6thrust23THRUST_200600_302600_NS6detail15normal_iteratorINS9_10device_ptrIxEEEESE_xNS9_4plusIxEExEEDaPvRmT3_T4_T5_mT6_P12ihipStream_tbENKUlT_T0_E_clISt17integral_constantIbLb0EESU_EEDaSP_SQ_EUlSP_E_NS1_11comp_targetILNS1_3genE8ELNS1_11target_archE1030ELNS1_3gpuE2ELNS1_3repE0EEENS1_30default_config_static_selectorELNS0_4arch9wavefront6targetE1EEEvT1_
    .private_segment_fixed_size: 0
    .sgpr_count:     4
    .sgpr_spill_count: 0
    .symbol:         _ZN7rocprim17ROCPRIM_400000_NS6detail17trampoline_kernelINS0_14default_configENS1_20scan_config_selectorIxEEZZNS1_9scan_implILNS1_25lookback_scan_determinismE0ELb0ELb1ES3_N6thrust23THRUST_200600_302600_NS6detail15normal_iteratorINS9_10device_ptrIxEEEESE_xNS9_4plusIxEExEEDaPvRmT3_T4_T5_mT6_P12ihipStream_tbENKUlT_T0_E_clISt17integral_constantIbLb0EESU_EEDaSP_SQ_EUlSP_E_NS1_11comp_targetILNS1_3genE8ELNS1_11target_archE1030ELNS1_3gpuE2ELNS1_3repE0EEENS1_30default_config_static_selectorELNS0_4arch9wavefront6targetE1EEEvT1_.kd
    .uniform_work_group_size: 1
    .uses_dynamic_stack: false
    .vgpr_count:     0
    .vgpr_spill_count: 0
    .wavefront_size: 64
  - .agpr_count:     0
    .args:
      - .offset:         0
        .size:           40
        .value_kind:     by_value
    .group_segment_fixed_size: 0
    .kernarg_segment_align: 8
    .kernarg_segment_size: 40
    .language:       OpenCL C
    .language_version:
      - 2
      - 0
    .max_flat_workgroup_size: 256
    .name:           _ZN7rocprim17ROCPRIM_400000_NS6detail17trampoline_kernelINS0_14default_configENS1_20scan_config_selectorIxEEZZNS1_9scan_implILNS1_25lookback_scan_determinismE0ELb0ELb1ES3_N6thrust23THRUST_200600_302600_NS6detail15normal_iteratorINS9_10device_ptrIxEEEESE_xNS9_4plusIxEExEEDaPvRmT3_T4_T5_mT6_P12ihipStream_tbENKUlT_T0_E_clISt17integral_constantIbLb0EESU_EEDaSP_SQ_EUlSP_E0_NS1_11comp_targetILNS1_3genE0ELNS1_11target_archE4294967295ELNS1_3gpuE0ELNS1_3repE0EEENS1_30default_config_static_selectorELNS0_4arch9wavefront6targetE1EEEvT1_
    .private_segment_fixed_size: 0
    .sgpr_count:     4
    .sgpr_spill_count: 0
    .symbol:         _ZN7rocprim17ROCPRIM_400000_NS6detail17trampoline_kernelINS0_14default_configENS1_20scan_config_selectorIxEEZZNS1_9scan_implILNS1_25lookback_scan_determinismE0ELb0ELb1ES3_N6thrust23THRUST_200600_302600_NS6detail15normal_iteratorINS9_10device_ptrIxEEEESE_xNS9_4plusIxEExEEDaPvRmT3_T4_T5_mT6_P12ihipStream_tbENKUlT_T0_E_clISt17integral_constantIbLb0EESU_EEDaSP_SQ_EUlSP_E0_NS1_11comp_targetILNS1_3genE0ELNS1_11target_archE4294967295ELNS1_3gpuE0ELNS1_3repE0EEENS1_30default_config_static_selectorELNS0_4arch9wavefront6targetE1EEEvT1_.kd
    .uniform_work_group_size: 1
    .uses_dynamic_stack: false
    .vgpr_count:     0
    .vgpr_spill_count: 0
    .wavefront_size: 64
  - .agpr_count:     0
    .args:
      - .offset:         0
        .size:           40
        .value_kind:     by_value
    .group_segment_fixed_size: 0
    .kernarg_segment_align: 8
    .kernarg_segment_size: 40
    .language:       OpenCL C
    .language_version:
      - 2
      - 0
    .max_flat_workgroup_size: 256
    .name:           _ZN7rocprim17ROCPRIM_400000_NS6detail17trampoline_kernelINS0_14default_configENS1_20scan_config_selectorIxEEZZNS1_9scan_implILNS1_25lookback_scan_determinismE0ELb0ELb1ES3_N6thrust23THRUST_200600_302600_NS6detail15normal_iteratorINS9_10device_ptrIxEEEESE_xNS9_4plusIxEExEEDaPvRmT3_T4_T5_mT6_P12ihipStream_tbENKUlT_T0_E_clISt17integral_constantIbLb0EESU_EEDaSP_SQ_EUlSP_E0_NS1_11comp_targetILNS1_3genE5ELNS1_11target_archE942ELNS1_3gpuE9ELNS1_3repE0EEENS1_30default_config_static_selectorELNS0_4arch9wavefront6targetE1EEEvT1_
    .private_segment_fixed_size: 0
    .sgpr_count:     4
    .sgpr_spill_count: 0
    .symbol:         _ZN7rocprim17ROCPRIM_400000_NS6detail17trampoline_kernelINS0_14default_configENS1_20scan_config_selectorIxEEZZNS1_9scan_implILNS1_25lookback_scan_determinismE0ELb0ELb1ES3_N6thrust23THRUST_200600_302600_NS6detail15normal_iteratorINS9_10device_ptrIxEEEESE_xNS9_4plusIxEExEEDaPvRmT3_T4_T5_mT6_P12ihipStream_tbENKUlT_T0_E_clISt17integral_constantIbLb0EESU_EEDaSP_SQ_EUlSP_E0_NS1_11comp_targetILNS1_3genE5ELNS1_11target_archE942ELNS1_3gpuE9ELNS1_3repE0EEENS1_30default_config_static_selectorELNS0_4arch9wavefront6targetE1EEEvT1_.kd
    .uniform_work_group_size: 1
    .uses_dynamic_stack: false
    .vgpr_count:     0
    .vgpr_spill_count: 0
    .wavefront_size: 64
  - .agpr_count:     0
    .args:
      - .offset:         0
        .size:           40
        .value_kind:     by_value
    .group_segment_fixed_size: 7168
    .kernarg_segment_align: 8
    .kernarg_segment_size: 40
    .language:       OpenCL C
    .language_version:
      - 2
      - 0
    .max_flat_workgroup_size: 128
    .name:           _ZN7rocprim17ROCPRIM_400000_NS6detail17trampoline_kernelINS0_14default_configENS1_20scan_config_selectorIxEEZZNS1_9scan_implILNS1_25lookback_scan_determinismE0ELb0ELb1ES3_N6thrust23THRUST_200600_302600_NS6detail15normal_iteratorINS9_10device_ptrIxEEEESE_xNS9_4plusIxEExEEDaPvRmT3_T4_T5_mT6_P12ihipStream_tbENKUlT_T0_E_clISt17integral_constantIbLb0EESU_EEDaSP_SQ_EUlSP_E0_NS1_11comp_targetILNS1_3genE4ELNS1_11target_archE910ELNS1_3gpuE8ELNS1_3repE0EEENS1_30default_config_static_selectorELNS0_4arch9wavefront6targetE1EEEvT1_
    .private_segment_fixed_size: 0
    .sgpr_count:     28
    .sgpr_spill_count: 0
    .symbol:         _ZN7rocprim17ROCPRIM_400000_NS6detail17trampoline_kernelINS0_14default_configENS1_20scan_config_selectorIxEEZZNS1_9scan_implILNS1_25lookback_scan_determinismE0ELb0ELb1ES3_N6thrust23THRUST_200600_302600_NS6detail15normal_iteratorINS9_10device_ptrIxEEEESE_xNS9_4plusIxEExEEDaPvRmT3_T4_T5_mT6_P12ihipStream_tbENKUlT_T0_E_clISt17integral_constantIbLb0EESU_EEDaSP_SQ_EUlSP_E0_NS1_11comp_targetILNS1_3genE4ELNS1_11target_archE910ELNS1_3gpuE8ELNS1_3repE0EEENS1_30default_config_static_selectorELNS0_4arch9wavefront6targetE1EEEvT1_.kd
    .uniform_work_group_size: 1
    .uses_dynamic_stack: false
    .vgpr_count:     39
    .vgpr_spill_count: 0
    .wavefront_size: 64
  - .agpr_count:     0
    .args:
      - .offset:         0
        .size:           40
        .value_kind:     by_value
    .group_segment_fixed_size: 0
    .kernarg_segment_align: 8
    .kernarg_segment_size: 40
    .language:       OpenCL C
    .language_version:
      - 2
      - 0
    .max_flat_workgroup_size: 256
    .name:           _ZN7rocprim17ROCPRIM_400000_NS6detail17trampoline_kernelINS0_14default_configENS1_20scan_config_selectorIxEEZZNS1_9scan_implILNS1_25lookback_scan_determinismE0ELb0ELb1ES3_N6thrust23THRUST_200600_302600_NS6detail15normal_iteratorINS9_10device_ptrIxEEEESE_xNS9_4plusIxEExEEDaPvRmT3_T4_T5_mT6_P12ihipStream_tbENKUlT_T0_E_clISt17integral_constantIbLb0EESU_EEDaSP_SQ_EUlSP_E0_NS1_11comp_targetILNS1_3genE3ELNS1_11target_archE908ELNS1_3gpuE7ELNS1_3repE0EEENS1_30default_config_static_selectorELNS0_4arch9wavefront6targetE1EEEvT1_
    .private_segment_fixed_size: 0
    .sgpr_count:     4
    .sgpr_spill_count: 0
    .symbol:         _ZN7rocprim17ROCPRIM_400000_NS6detail17trampoline_kernelINS0_14default_configENS1_20scan_config_selectorIxEEZZNS1_9scan_implILNS1_25lookback_scan_determinismE0ELb0ELb1ES3_N6thrust23THRUST_200600_302600_NS6detail15normal_iteratorINS9_10device_ptrIxEEEESE_xNS9_4plusIxEExEEDaPvRmT3_T4_T5_mT6_P12ihipStream_tbENKUlT_T0_E_clISt17integral_constantIbLb0EESU_EEDaSP_SQ_EUlSP_E0_NS1_11comp_targetILNS1_3genE3ELNS1_11target_archE908ELNS1_3gpuE7ELNS1_3repE0EEENS1_30default_config_static_selectorELNS0_4arch9wavefront6targetE1EEEvT1_.kd
    .uniform_work_group_size: 1
    .uses_dynamic_stack: false
    .vgpr_count:     0
    .vgpr_spill_count: 0
    .wavefront_size: 64
  - .agpr_count:     0
    .args:
      - .offset:         0
        .size:           40
        .value_kind:     by_value
    .group_segment_fixed_size: 0
    .kernarg_segment_align: 8
    .kernarg_segment_size: 40
    .language:       OpenCL C
    .language_version:
      - 2
      - 0
    .max_flat_workgroup_size: 64
    .name:           _ZN7rocprim17ROCPRIM_400000_NS6detail17trampoline_kernelINS0_14default_configENS1_20scan_config_selectorIxEEZZNS1_9scan_implILNS1_25lookback_scan_determinismE0ELb0ELb1ES3_N6thrust23THRUST_200600_302600_NS6detail15normal_iteratorINS9_10device_ptrIxEEEESE_xNS9_4plusIxEExEEDaPvRmT3_T4_T5_mT6_P12ihipStream_tbENKUlT_T0_E_clISt17integral_constantIbLb0EESU_EEDaSP_SQ_EUlSP_E0_NS1_11comp_targetILNS1_3genE2ELNS1_11target_archE906ELNS1_3gpuE6ELNS1_3repE0EEENS1_30default_config_static_selectorELNS0_4arch9wavefront6targetE1EEEvT1_
    .private_segment_fixed_size: 0
    .sgpr_count:     4
    .sgpr_spill_count: 0
    .symbol:         _ZN7rocprim17ROCPRIM_400000_NS6detail17trampoline_kernelINS0_14default_configENS1_20scan_config_selectorIxEEZZNS1_9scan_implILNS1_25lookback_scan_determinismE0ELb0ELb1ES3_N6thrust23THRUST_200600_302600_NS6detail15normal_iteratorINS9_10device_ptrIxEEEESE_xNS9_4plusIxEExEEDaPvRmT3_T4_T5_mT6_P12ihipStream_tbENKUlT_T0_E_clISt17integral_constantIbLb0EESU_EEDaSP_SQ_EUlSP_E0_NS1_11comp_targetILNS1_3genE2ELNS1_11target_archE906ELNS1_3gpuE6ELNS1_3repE0EEENS1_30default_config_static_selectorELNS0_4arch9wavefront6targetE1EEEvT1_.kd
    .uniform_work_group_size: 1
    .uses_dynamic_stack: false
    .vgpr_count:     0
    .vgpr_spill_count: 0
    .wavefront_size: 64
  - .agpr_count:     0
    .args:
      - .offset:         0
        .size:           40
        .value_kind:     by_value
    .group_segment_fixed_size: 0
    .kernarg_segment_align: 8
    .kernarg_segment_size: 40
    .language:       OpenCL C
    .language_version:
      - 2
      - 0
    .max_flat_workgroup_size: 256
    .name:           _ZN7rocprim17ROCPRIM_400000_NS6detail17trampoline_kernelINS0_14default_configENS1_20scan_config_selectorIxEEZZNS1_9scan_implILNS1_25lookback_scan_determinismE0ELb0ELb1ES3_N6thrust23THRUST_200600_302600_NS6detail15normal_iteratorINS9_10device_ptrIxEEEESE_xNS9_4plusIxEExEEDaPvRmT3_T4_T5_mT6_P12ihipStream_tbENKUlT_T0_E_clISt17integral_constantIbLb0EESU_EEDaSP_SQ_EUlSP_E0_NS1_11comp_targetILNS1_3genE10ELNS1_11target_archE1201ELNS1_3gpuE5ELNS1_3repE0EEENS1_30default_config_static_selectorELNS0_4arch9wavefront6targetE1EEEvT1_
    .private_segment_fixed_size: 0
    .sgpr_count:     4
    .sgpr_spill_count: 0
    .symbol:         _ZN7rocprim17ROCPRIM_400000_NS6detail17trampoline_kernelINS0_14default_configENS1_20scan_config_selectorIxEEZZNS1_9scan_implILNS1_25lookback_scan_determinismE0ELb0ELb1ES3_N6thrust23THRUST_200600_302600_NS6detail15normal_iteratorINS9_10device_ptrIxEEEESE_xNS9_4plusIxEExEEDaPvRmT3_T4_T5_mT6_P12ihipStream_tbENKUlT_T0_E_clISt17integral_constantIbLb0EESU_EEDaSP_SQ_EUlSP_E0_NS1_11comp_targetILNS1_3genE10ELNS1_11target_archE1201ELNS1_3gpuE5ELNS1_3repE0EEENS1_30default_config_static_selectorELNS0_4arch9wavefront6targetE1EEEvT1_.kd
    .uniform_work_group_size: 1
    .uses_dynamic_stack: false
    .vgpr_count:     0
    .vgpr_spill_count: 0
    .wavefront_size: 64
  - .agpr_count:     0
    .args:
      - .offset:         0
        .size:           40
        .value_kind:     by_value
    .group_segment_fixed_size: 0
    .kernarg_segment_align: 8
    .kernarg_segment_size: 40
    .language:       OpenCL C
    .language_version:
      - 2
      - 0
    .max_flat_workgroup_size: 256
    .name:           _ZN7rocprim17ROCPRIM_400000_NS6detail17trampoline_kernelINS0_14default_configENS1_20scan_config_selectorIxEEZZNS1_9scan_implILNS1_25lookback_scan_determinismE0ELb0ELb1ES3_N6thrust23THRUST_200600_302600_NS6detail15normal_iteratorINS9_10device_ptrIxEEEESE_xNS9_4plusIxEExEEDaPvRmT3_T4_T5_mT6_P12ihipStream_tbENKUlT_T0_E_clISt17integral_constantIbLb0EESU_EEDaSP_SQ_EUlSP_E0_NS1_11comp_targetILNS1_3genE10ELNS1_11target_archE1200ELNS1_3gpuE4ELNS1_3repE0EEENS1_30default_config_static_selectorELNS0_4arch9wavefront6targetE1EEEvT1_
    .private_segment_fixed_size: 0
    .sgpr_count:     4
    .sgpr_spill_count: 0
    .symbol:         _ZN7rocprim17ROCPRIM_400000_NS6detail17trampoline_kernelINS0_14default_configENS1_20scan_config_selectorIxEEZZNS1_9scan_implILNS1_25lookback_scan_determinismE0ELb0ELb1ES3_N6thrust23THRUST_200600_302600_NS6detail15normal_iteratorINS9_10device_ptrIxEEEESE_xNS9_4plusIxEExEEDaPvRmT3_T4_T5_mT6_P12ihipStream_tbENKUlT_T0_E_clISt17integral_constantIbLb0EESU_EEDaSP_SQ_EUlSP_E0_NS1_11comp_targetILNS1_3genE10ELNS1_11target_archE1200ELNS1_3gpuE4ELNS1_3repE0EEENS1_30default_config_static_selectorELNS0_4arch9wavefront6targetE1EEEvT1_.kd
    .uniform_work_group_size: 1
    .uses_dynamic_stack: false
    .vgpr_count:     0
    .vgpr_spill_count: 0
    .wavefront_size: 64
  - .agpr_count:     0
    .args:
      - .offset:         0
        .size:           40
        .value_kind:     by_value
    .group_segment_fixed_size: 0
    .kernarg_segment_align: 8
    .kernarg_segment_size: 40
    .language:       OpenCL C
    .language_version:
      - 2
      - 0
    .max_flat_workgroup_size: 256
    .name:           _ZN7rocprim17ROCPRIM_400000_NS6detail17trampoline_kernelINS0_14default_configENS1_20scan_config_selectorIxEEZZNS1_9scan_implILNS1_25lookback_scan_determinismE0ELb0ELb1ES3_N6thrust23THRUST_200600_302600_NS6detail15normal_iteratorINS9_10device_ptrIxEEEESE_xNS9_4plusIxEExEEDaPvRmT3_T4_T5_mT6_P12ihipStream_tbENKUlT_T0_E_clISt17integral_constantIbLb0EESU_EEDaSP_SQ_EUlSP_E0_NS1_11comp_targetILNS1_3genE9ELNS1_11target_archE1100ELNS1_3gpuE3ELNS1_3repE0EEENS1_30default_config_static_selectorELNS0_4arch9wavefront6targetE1EEEvT1_
    .private_segment_fixed_size: 0
    .sgpr_count:     4
    .sgpr_spill_count: 0
    .symbol:         _ZN7rocprim17ROCPRIM_400000_NS6detail17trampoline_kernelINS0_14default_configENS1_20scan_config_selectorIxEEZZNS1_9scan_implILNS1_25lookback_scan_determinismE0ELb0ELb1ES3_N6thrust23THRUST_200600_302600_NS6detail15normal_iteratorINS9_10device_ptrIxEEEESE_xNS9_4plusIxEExEEDaPvRmT3_T4_T5_mT6_P12ihipStream_tbENKUlT_T0_E_clISt17integral_constantIbLb0EESU_EEDaSP_SQ_EUlSP_E0_NS1_11comp_targetILNS1_3genE9ELNS1_11target_archE1100ELNS1_3gpuE3ELNS1_3repE0EEENS1_30default_config_static_selectorELNS0_4arch9wavefront6targetE1EEEvT1_.kd
    .uniform_work_group_size: 1
    .uses_dynamic_stack: false
    .vgpr_count:     0
    .vgpr_spill_count: 0
    .wavefront_size: 64
  - .agpr_count:     0
    .args:
      - .offset:         0
        .size:           40
        .value_kind:     by_value
    .group_segment_fixed_size: 0
    .kernarg_segment_align: 8
    .kernarg_segment_size: 40
    .language:       OpenCL C
    .language_version:
      - 2
      - 0
    .max_flat_workgroup_size: 256
    .name:           _ZN7rocprim17ROCPRIM_400000_NS6detail17trampoline_kernelINS0_14default_configENS1_20scan_config_selectorIxEEZZNS1_9scan_implILNS1_25lookback_scan_determinismE0ELb0ELb1ES3_N6thrust23THRUST_200600_302600_NS6detail15normal_iteratorINS9_10device_ptrIxEEEESE_xNS9_4plusIxEExEEDaPvRmT3_T4_T5_mT6_P12ihipStream_tbENKUlT_T0_E_clISt17integral_constantIbLb0EESU_EEDaSP_SQ_EUlSP_E0_NS1_11comp_targetILNS1_3genE8ELNS1_11target_archE1030ELNS1_3gpuE2ELNS1_3repE0EEENS1_30default_config_static_selectorELNS0_4arch9wavefront6targetE1EEEvT1_
    .private_segment_fixed_size: 0
    .sgpr_count:     4
    .sgpr_spill_count: 0
    .symbol:         _ZN7rocprim17ROCPRIM_400000_NS6detail17trampoline_kernelINS0_14default_configENS1_20scan_config_selectorIxEEZZNS1_9scan_implILNS1_25lookback_scan_determinismE0ELb0ELb1ES3_N6thrust23THRUST_200600_302600_NS6detail15normal_iteratorINS9_10device_ptrIxEEEESE_xNS9_4plusIxEExEEDaPvRmT3_T4_T5_mT6_P12ihipStream_tbENKUlT_T0_E_clISt17integral_constantIbLb0EESU_EEDaSP_SQ_EUlSP_E0_NS1_11comp_targetILNS1_3genE8ELNS1_11target_archE1030ELNS1_3gpuE2ELNS1_3repE0EEENS1_30default_config_static_selectorELNS0_4arch9wavefront6targetE1EEEvT1_.kd
    .uniform_work_group_size: 1
    .uses_dynamic_stack: false
    .vgpr_count:     0
    .vgpr_spill_count: 0
    .wavefront_size: 64
  - .agpr_count:     0
    .args:
      - .offset:         0
        .size:           104
        .value_kind:     by_value
    .group_segment_fixed_size: 0
    .kernarg_segment_align: 8
    .kernarg_segment_size: 104
    .language:       OpenCL C
    .language_version:
      - 2
      - 0
    .max_flat_workgroup_size: 256
    .name:           _ZN7rocprim17ROCPRIM_400000_NS6detail17trampoline_kernelINS0_14default_configENS1_20scan_config_selectorIxEEZZNS1_9scan_implILNS1_25lookback_scan_determinismE0ELb0ELb1ES3_N6thrust23THRUST_200600_302600_NS6detail15normal_iteratorINS9_10device_ptrIxEEEESE_xNS9_4plusIxEExEEDaPvRmT3_T4_T5_mT6_P12ihipStream_tbENKUlT_T0_E_clISt17integral_constantIbLb1EESU_EEDaSP_SQ_EUlSP_E_NS1_11comp_targetILNS1_3genE0ELNS1_11target_archE4294967295ELNS1_3gpuE0ELNS1_3repE0EEENS1_30default_config_static_selectorELNS0_4arch9wavefront6targetE1EEEvT1_
    .private_segment_fixed_size: 0
    .sgpr_count:     4
    .sgpr_spill_count: 0
    .symbol:         _ZN7rocprim17ROCPRIM_400000_NS6detail17trampoline_kernelINS0_14default_configENS1_20scan_config_selectorIxEEZZNS1_9scan_implILNS1_25lookback_scan_determinismE0ELb0ELb1ES3_N6thrust23THRUST_200600_302600_NS6detail15normal_iteratorINS9_10device_ptrIxEEEESE_xNS9_4plusIxEExEEDaPvRmT3_T4_T5_mT6_P12ihipStream_tbENKUlT_T0_E_clISt17integral_constantIbLb1EESU_EEDaSP_SQ_EUlSP_E_NS1_11comp_targetILNS1_3genE0ELNS1_11target_archE4294967295ELNS1_3gpuE0ELNS1_3repE0EEENS1_30default_config_static_selectorELNS0_4arch9wavefront6targetE1EEEvT1_.kd
    .uniform_work_group_size: 1
    .uses_dynamic_stack: false
    .vgpr_count:     0
    .vgpr_spill_count: 0
    .wavefront_size: 64
  - .agpr_count:     0
    .args:
      - .offset:         0
        .size:           104
        .value_kind:     by_value
    .group_segment_fixed_size: 0
    .kernarg_segment_align: 8
    .kernarg_segment_size: 104
    .language:       OpenCL C
    .language_version:
      - 2
      - 0
    .max_flat_workgroup_size: 256
    .name:           _ZN7rocprim17ROCPRIM_400000_NS6detail17trampoline_kernelINS0_14default_configENS1_20scan_config_selectorIxEEZZNS1_9scan_implILNS1_25lookback_scan_determinismE0ELb0ELb1ES3_N6thrust23THRUST_200600_302600_NS6detail15normal_iteratorINS9_10device_ptrIxEEEESE_xNS9_4plusIxEExEEDaPvRmT3_T4_T5_mT6_P12ihipStream_tbENKUlT_T0_E_clISt17integral_constantIbLb1EESU_EEDaSP_SQ_EUlSP_E_NS1_11comp_targetILNS1_3genE5ELNS1_11target_archE942ELNS1_3gpuE9ELNS1_3repE0EEENS1_30default_config_static_selectorELNS0_4arch9wavefront6targetE1EEEvT1_
    .private_segment_fixed_size: 0
    .sgpr_count:     4
    .sgpr_spill_count: 0
    .symbol:         _ZN7rocprim17ROCPRIM_400000_NS6detail17trampoline_kernelINS0_14default_configENS1_20scan_config_selectorIxEEZZNS1_9scan_implILNS1_25lookback_scan_determinismE0ELb0ELb1ES3_N6thrust23THRUST_200600_302600_NS6detail15normal_iteratorINS9_10device_ptrIxEEEESE_xNS9_4plusIxEExEEDaPvRmT3_T4_T5_mT6_P12ihipStream_tbENKUlT_T0_E_clISt17integral_constantIbLb1EESU_EEDaSP_SQ_EUlSP_E_NS1_11comp_targetILNS1_3genE5ELNS1_11target_archE942ELNS1_3gpuE9ELNS1_3repE0EEENS1_30default_config_static_selectorELNS0_4arch9wavefront6targetE1EEEvT1_.kd
    .uniform_work_group_size: 1
    .uses_dynamic_stack: false
    .vgpr_count:     0
    .vgpr_spill_count: 0
    .wavefront_size: 64
  - .agpr_count:     0
    .args:
      - .offset:         0
        .size:           104
        .value_kind:     by_value
    .group_segment_fixed_size: 7168
    .kernarg_segment_align: 8
    .kernarg_segment_size: 104
    .language:       OpenCL C
    .language_version:
      - 2
      - 0
    .max_flat_workgroup_size: 128
    .name:           _ZN7rocprim17ROCPRIM_400000_NS6detail17trampoline_kernelINS0_14default_configENS1_20scan_config_selectorIxEEZZNS1_9scan_implILNS1_25lookback_scan_determinismE0ELb0ELb1ES3_N6thrust23THRUST_200600_302600_NS6detail15normal_iteratorINS9_10device_ptrIxEEEESE_xNS9_4plusIxEExEEDaPvRmT3_T4_T5_mT6_P12ihipStream_tbENKUlT_T0_E_clISt17integral_constantIbLb1EESU_EEDaSP_SQ_EUlSP_E_NS1_11comp_targetILNS1_3genE4ELNS1_11target_archE910ELNS1_3gpuE8ELNS1_3repE0EEENS1_30default_config_static_selectorELNS0_4arch9wavefront6targetE1EEEvT1_
    .private_segment_fixed_size: 0
    .sgpr_count:     44
    .sgpr_spill_count: 0
    .symbol:         _ZN7rocprim17ROCPRIM_400000_NS6detail17trampoline_kernelINS0_14default_configENS1_20scan_config_selectorIxEEZZNS1_9scan_implILNS1_25lookback_scan_determinismE0ELb0ELb1ES3_N6thrust23THRUST_200600_302600_NS6detail15normal_iteratorINS9_10device_ptrIxEEEESE_xNS9_4plusIxEExEEDaPvRmT3_T4_T5_mT6_P12ihipStream_tbENKUlT_T0_E_clISt17integral_constantIbLb1EESU_EEDaSP_SQ_EUlSP_E_NS1_11comp_targetILNS1_3genE4ELNS1_11target_archE910ELNS1_3gpuE8ELNS1_3repE0EEENS1_30default_config_static_selectorELNS0_4arch9wavefront6targetE1EEEvT1_.kd
    .uniform_work_group_size: 1
    .uses_dynamic_stack: false
    .vgpr_count:     51
    .vgpr_spill_count: 0
    .wavefront_size: 64
  - .agpr_count:     0
    .args:
      - .offset:         0
        .size:           104
        .value_kind:     by_value
    .group_segment_fixed_size: 0
    .kernarg_segment_align: 8
    .kernarg_segment_size: 104
    .language:       OpenCL C
    .language_version:
      - 2
      - 0
    .max_flat_workgroup_size: 256
    .name:           _ZN7rocprim17ROCPRIM_400000_NS6detail17trampoline_kernelINS0_14default_configENS1_20scan_config_selectorIxEEZZNS1_9scan_implILNS1_25lookback_scan_determinismE0ELb0ELb1ES3_N6thrust23THRUST_200600_302600_NS6detail15normal_iteratorINS9_10device_ptrIxEEEESE_xNS9_4plusIxEExEEDaPvRmT3_T4_T5_mT6_P12ihipStream_tbENKUlT_T0_E_clISt17integral_constantIbLb1EESU_EEDaSP_SQ_EUlSP_E_NS1_11comp_targetILNS1_3genE3ELNS1_11target_archE908ELNS1_3gpuE7ELNS1_3repE0EEENS1_30default_config_static_selectorELNS0_4arch9wavefront6targetE1EEEvT1_
    .private_segment_fixed_size: 0
    .sgpr_count:     4
    .sgpr_spill_count: 0
    .symbol:         _ZN7rocprim17ROCPRIM_400000_NS6detail17trampoline_kernelINS0_14default_configENS1_20scan_config_selectorIxEEZZNS1_9scan_implILNS1_25lookback_scan_determinismE0ELb0ELb1ES3_N6thrust23THRUST_200600_302600_NS6detail15normal_iteratorINS9_10device_ptrIxEEEESE_xNS9_4plusIxEExEEDaPvRmT3_T4_T5_mT6_P12ihipStream_tbENKUlT_T0_E_clISt17integral_constantIbLb1EESU_EEDaSP_SQ_EUlSP_E_NS1_11comp_targetILNS1_3genE3ELNS1_11target_archE908ELNS1_3gpuE7ELNS1_3repE0EEENS1_30default_config_static_selectorELNS0_4arch9wavefront6targetE1EEEvT1_.kd
    .uniform_work_group_size: 1
    .uses_dynamic_stack: false
    .vgpr_count:     0
    .vgpr_spill_count: 0
    .wavefront_size: 64
  - .agpr_count:     0
    .args:
      - .offset:         0
        .size:           104
        .value_kind:     by_value
    .group_segment_fixed_size: 0
    .kernarg_segment_align: 8
    .kernarg_segment_size: 104
    .language:       OpenCL C
    .language_version:
      - 2
      - 0
    .max_flat_workgroup_size: 64
    .name:           _ZN7rocprim17ROCPRIM_400000_NS6detail17trampoline_kernelINS0_14default_configENS1_20scan_config_selectorIxEEZZNS1_9scan_implILNS1_25lookback_scan_determinismE0ELb0ELb1ES3_N6thrust23THRUST_200600_302600_NS6detail15normal_iteratorINS9_10device_ptrIxEEEESE_xNS9_4plusIxEExEEDaPvRmT3_T4_T5_mT6_P12ihipStream_tbENKUlT_T0_E_clISt17integral_constantIbLb1EESU_EEDaSP_SQ_EUlSP_E_NS1_11comp_targetILNS1_3genE2ELNS1_11target_archE906ELNS1_3gpuE6ELNS1_3repE0EEENS1_30default_config_static_selectorELNS0_4arch9wavefront6targetE1EEEvT1_
    .private_segment_fixed_size: 0
    .sgpr_count:     4
    .sgpr_spill_count: 0
    .symbol:         _ZN7rocprim17ROCPRIM_400000_NS6detail17trampoline_kernelINS0_14default_configENS1_20scan_config_selectorIxEEZZNS1_9scan_implILNS1_25lookback_scan_determinismE0ELb0ELb1ES3_N6thrust23THRUST_200600_302600_NS6detail15normal_iteratorINS9_10device_ptrIxEEEESE_xNS9_4plusIxEExEEDaPvRmT3_T4_T5_mT6_P12ihipStream_tbENKUlT_T0_E_clISt17integral_constantIbLb1EESU_EEDaSP_SQ_EUlSP_E_NS1_11comp_targetILNS1_3genE2ELNS1_11target_archE906ELNS1_3gpuE6ELNS1_3repE0EEENS1_30default_config_static_selectorELNS0_4arch9wavefront6targetE1EEEvT1_.kd
    .uniform_work_group_size: 1
    .uses_dynamic_stack: false
    .vgpr_count:     0
    .vgpr_spill_count: 0
    .wavefront_size: 64
  - .agpr_count:     0
    .args:
      - .offset:         0
        .size:           104
        .value_kind:     by_value
    .group_segment_fixed_size: 0
    .kernarg_segment_align: 8
    .kernarg_segment_size: 104
    .language:       OpenCL C
    .language_version:
      - 2
      - 0
    .max_flat_workgroup_size: 256
    .name:           _ZN7rocprim17ROCPRIM_400000_NS6detail17trampoline_kernelINS0_14default_configENS1_20scan_config_selectorIxEEZZNS1_9scan_implILNS1_25lookback_scan_determinismE0ELb0ELb1ES3_N6thrust23THRUST_200600_302600_NS6detail15normal_iteratorINS9_10device_ptrIxEEEESE_xNS9_4plusIxEExEEDaPvRmT3_T4_T5_mT6_P12ihipStream_tbENKUlT_T0_E_clISt17integral_constantIbLb1EESU_EEDaSP_SQ_EUlSP_E_NS1_11comp_targetILNS1_3genE10ELNS1_11target_archE1201ELNS1_3gpuE5ELNS1_3repE0EEENS1_30default_config_static_selectorELNS0_4arch9wavefront6targetE1EEEvT1_
    .private_segment_fixed_size: 0
    .sgpr_count:     4
    .sgpr_spill_count: 0
    .symbol:         _ZN7rocprim17ROCPRIM_400000_NS6detail17trampoline_kernelINS0_14default_configENS1_20scan_config_selectorIxEEZZNS1_9scan_implILNS1_25lookback_scan_determinismE0ELb0ELb1ES3_N6thrust23THRUST_200600_302600_NS6detail15normal_iteratorINS9_10device_ptrIxEEEESE_xNS9_4plusIxEExEEDaPvRmT3_T4_T5_mT6_P12ihipStream_tbENKUlT_T0_E_clISt17integral_constantIbLb1EESU_EEDaSP_SQ_EUlSP_E_NS1_11comp_targetILNS1_3genE10ELNS1_11target_archE1201ELNS1_3gpuE5ELNS1_3repE0EEENS1_30default_config_static_selectorELNS0_4arch9wavefront6targetE1EEEvT1_.kd
    .uniform_work_group_size: 1
    .uses_dynamic_stack: false
    .vgpr_count:     0
    .vgpr_spill_count: 0
    .wavefront_size: 64
  - .agpr_count:     0
    .args:
      - .offset:         0
        .size:           104
        .value_kind:     by_value
    .group_segment_fixed_size: 0
    .kernarg_segment_align: 8
    .kernarg_segment_size: 104
    .language:       OpenCL C
    .language_version:
      - 2
      - 0
    .max_flat_workgroup_size: 256
    .name:           _ZN7rocprim17ROCPRIM_400000_NS6detail17trampoline_kernelINS0_14default_configENS1_20scan_config_selectorIxEEZZNS1_9scan_implILNS1_25lookback_scan_determinismE0ELb0ELb1ES3_N6thrust23THRUST_200600_302600_NS6detail15normal_iteratorINS9_10device_ptrIxEEEESE_xNS9_4plusIxEExEEDaPvRmT3_T4_T5_mT6_P12ihipStream_tbENKUlT_T0_E_clISt17integral_constantIbLb1EESU_EEDaSP_SQ_EUlSP_E_NS1_11comp_targetILNS1_3genE10ELNS1_11target_archE1200ELNS1_3gpuE4ELNS1_3repE0EEENS1_30default_config_static_selectorELNS0_4arch9wavefront6targetE1EEEvT1_
    .private_segment_fixed_size: 0
    .sgpr_count:     4
    .sgpr_spill_count: 0
    .symbol:         _ZN7rocprim17ROCPRIM_400000_NS6detail17trampoline_kernelINS0_14default_configENS1_20scan_config_selectorIxEEZZNS1_9scan_implILNS1_25lookback_scan_determinismE0ELb0ELb1ES3_N6thrust23THRUST_200600_302600_NS6detail15normal_iteratorINS9_10device_ptrIxEEEESE_xNS9_4plusIxEExEEDaPvRmT3_T4_T5_mT6_P12ihipStream_tbENKUlT_T0_E_clISt17integral_constantIbLb1EESU_EEDaSP_SQ_EUlSP_E_NS1_11comp_targetILNS1_3genE10ELNS1_11target_archE1200ELNS1_3gpuE4ELNS1_3repE0EEENS1_30default_config_static_selectorELNS0_4arch9wavefront6targetE1EEEvT1_.kd
    .uniform_work_group_size: 1
    .uses_dynamic_stack: false
    .vgpr_count:     0
    .vgpr_spill_count: 0
    .wavefront_size: 64
  - .agpr_count:     0
    .args:
      - .offset:         0
        .size:           104
        .value_kind:     by_value
    .group_segment_fixed_size: 0
    .kernarg_segment_align: 8
    .kernarg_segment_size: 104
    .language:       OpenCL C
    .language_version:
      - 2
      - 0
    .max_flat_workgroup_size: 256
    .name:           _ZN7rocprim17ROCPRIM_400000_NS6detail17trampoline_kernelINS0_14default_configENS1_20scan_config_selectorIxEEZZNS1_9scan_implILNS1_25lookback_scan_determinismE0ELb0ELb1ES3_N6thrust23THRUST_200600_302600_NS6detail15normal_iteratorINS9_10device_ptrIxEEEESE_xNS9_4plusIxEExEEDaPvRmT3_T4_T5_mT6_P12ihipStream_tbENKUlT_T0_E_clISt17integral_constantIbLb1EESU_EEDaSP_SQ_EUlSP_E_NS1_11comp_targetILNS1_3genE9ELNS1_11target_archE1100ELNS1_3gpuE3ELNS1_3repE0EEENS1_30default_config_static_selectorELNS0_4arch9wavefront6targetE1EEEvT1_
    .private_segment_fixed_size: 0
    .sgpr_count:     4
    .sgpr_spill_count: 0
    .symbol:         _ZN7rocprim17ROCPRIM_400000_NS6detail17trampoline_kernelINS0_14default_configENS1_20scan_config_selectorIxEEZZNS1_9scan_implILNS1_25lookback_scan_determinismE0ELb0ELb1ES3_N6thrust23THRUST_200600_302600_NS6detail15normal_iteratorINS9_10device_ptrIxEEEESE_xNS9_4plusIxEExEEDaPvRmT3_T4_T5_mT6_P12ihipStream_tbENKUlT_T0_E_clISt17integral_constantIbLb1EESU_EEDaSP_SQ_EUlSP_E_NS1_11comp_targetILNS1_3genE9ELNS1_11target_archE1100ELNS1_3gpuE3ELNS1_3repE0EEENS1_30default_config_static_selectorELNS0_4arch9wavefront6targetE1EEEvT1_.kd
    .uniform_work_group_size: 1
    .uses_dynamic_stack: false
    .vgpr_count:     0
    .vgpr_spill_count: 0
    .wavefront_size: 64
  - .agpr_count:     0
    .args:
      - .offset:         0
        .size:           104
        .value_kind:     by_value
    .group_segment_fixed_size: 0
    .kernarg_segment_align: 8
    .kernarg_segment_size: 104
    .language:       OpenCL C
    .language_version:
      - 2
      - 0
    .max_flat_workgroup_size: 256
    .name:           _ZN7rocprim17ROCPRIM_400000_NS6detail17trampoline_kernelINS0_14default_configENS1_20scan_config_selectorIxEEZZNS1_9scan_implILNS1_25lookback_scan_determinismE0ELb0ELb1ES3_N6thrust23THRUST_200600_302600_NS6detail15normal_iteratorINS9_10device_ptrIxEEEESE_xNS9_4plusIxEExEEDaPvRmT3_T4_T5_mT6_P12ihipStream_tbENKUlT_T0_E_clISt17integral_constantIbLb1EESU_EEDaSP_SQ_EUlSP_E_NS1_11comp_targetILNS1_3genE8ELNS1_11target_archE1030ELNS1_3gpuE2ELNS1_3repE0EEENS1_30default_config_static_selectorELNS0_4arch9wavefront6targetE1EEEvT1_
    .private_segment_fixed_size: 0
    .sgpr_count:     4
    .sgpr_spill_count: 0
    .symbol:         _ZN7rocprim17ROCPRIM_400000_NS6detail17trampoline_kernelINS0_14default_configENS1_20scan_config_selectorIxEEZZNS1_9scan_implILNS1_25lookback_scan_determinismE0ELb0ELb1ES3_N6thrust23THRUST_200600_302600_NS6detail15normal_iteratorINS9_10device_ptrIxEEEESE_xNS9_4plusIxEExEEDaPvRmT3_T4_T5_mT6_P12ihipStream_tbENKUlT_T0_E_clISt17integral_constantIbLb1EESU_EEDaSP_SQ_EUlSP_E_NS1_11comp_targetILNS1_3genE8ELNS1_11target_archE1030ELNS1_3gpuE2ELNS1_3repE0EEENS1_30default_config_static_selectorELNS0_4arch9wavefront6targetE1EEEvT1_.kd
    .uniform_work_group_size: 1
    .uses_dynamic_stack: false
    .vgpr_count:     0
    .vgpr_spill_count: 0
    .wavefront_size: 64
  - .agpr_count:     0
    .args:
      - .offset:         0
        .size:           40
        .value_kind:     by_value
    .group_segment_fixed_size: 0
    .kernarg_segment_align: 8
    .kernarg_segment_size: 40
    .language:       OpenCL C
    .language_version:
      - 2
      - 0
    .max_flat_workgroup_size: 256
    .name:           _ZN7rocprim17ROCPRIM_400000_NS6detail17trampoline_kernelINS0_14default_configENS1_20scan_config_selectorIxEEZZNS1_9scan_implILNS1_25lookback_scan_determinismE0ELb0ELb1ES3_N6thrust23THRUST_200600_302600_NS6detail15normal_iteratorINS9_10device_ptrIxEEEESE_xNS9_4plusIxEExEEDaPvRmT3_T4_T5_mT6_P12ihipStream_tbENKUlT_T0_E_clISt17integral_constantIbLb1EESU_EEDaSP_SQ_EUlSP_E0_NS1_11comp_targetILNS1_3genE0ELNS1_11target_archE4294967295ELNS1_3gpuE0ELNS1_3repE0EEENS1_30default_config_static_selectorELNS0_4arch9wavefront6targetE1EEEvT1_
    .private_segment_fixed_size: 0
    .sgpr_count:     4
    .sgpr_spill_count: 0
    .symbol:         _ZN7rocprim17ROCPRIM_400000_NS6detail17trampoline_kernelINS0_14default_configENS1_20scan_config_selectorIxEEZZNS1_9scan_implILNS1_25lookback_scan_determinismE0ELb0ELb1ES3_N6thrust23THRUST_200600_302600_NS6detail15normal_iteratorINS9_10device_ptrIxEEEESE_xNS9_4plusIxEExEEDaPvRmT3_T4_T5_mT6_P12ihipStream_tbENKUlT_T0_E_clISt17integral_constantIbLb1EESU_EEDaSP_SQ_EUlSP_E0_NS1_11comp_targetILNS1_3genE0ELNS1_11target_archE4294967295ELNS1_3gpuE0ELNS1_3repE0EEENS1_30default_config_static_selectorELNS0_4arch9wavefront6targetE1EEEvT1_.kd
    .uniform_work_group_size: 1
    .uses_dynamic_stack: false
    .vgpr_count:     0
    .vgpr_spill_count: 0
    .wavefront_size: 64
  - .agpr_count:     0
    .args:
      - .offset:         0
        .size:           40
        .value_kind:     by_value
    .group_segment_fixed_size: 0
    .kernarg_segment_align: 8
    .kernarg_segment_size: 40
    .language:       OpenCL C
    .language_version:
      - 2
      - 0
    .max_flat_workgroup_size: 256
    .name:           _ZN7rocprim17ROCPRIM_400000_NS6detail17trampoline_kernelINS0_14default_configENS1_20scan_config_selectorIxEEZZNS1_9scan_implILNS1_25lookback_scan_determinismE0ELb0ELb1ES3_N6thrust23THRUST_200600_302600_NS6detail15normal_iteratorINS9_10device_ptrIxEEEESE_xNS9_4plusIxEExEEDaPvRmT3_T4_T5_mT6_P12ihipStream_tbENKUlT_T0_E_clISt17integral_constantIbLb1EESU_EEDaSP_SQ_EUlSP_E0_NS1_11comp_targetILNS1_3genE5ELNS1_11target_archE942ELNS1_3gpuE9ELNS1_3repE0EEENS1_30default_config_static_selectorELNS0_4arch9wavefront6targetE1EEEvT1_
    .private_segment_fixed_size: 0
    .sgpr_count:     4
    .sgpr_spill_count: 0
    .symbol:         _ZN7rocprim17ROCPRIM_400000_NS6detail17trampoline_kernelINS0_14default_configENS1_20scan_config_selectorIxEEZZNS1_9scan_implILNS1_25lookback_scan_determinismE0ELb0ELb1ES3_N6thrust23THRUST_200600_302600_NS6detail15normal_iteratorINS9_10device_ptrIxEEEESE_xNS9_4plusIxEExEEDaPvRmT3_T4_T5_mT6_P12ihipStream_tbENKUlT_T0_E_clISt17integral_constantIbLb1EESU_EEDaSP_SQ_EUlSP_E0_NS1_11comp_targetILNS1_3genE5ELNS1_11target_archE942ELNS1_3gpuE9ELNS1_3repE0EEENS1_30default_config_static_selectorELNS0_4arch9wavefront6targetE1EEEvT1_.kd
    .uniform_work_group_size: 1
    .uses_dynamic_stack: false
    .vgpr_count:     0
    .vgpr_spill_count: 0
    .wavefront_size: 64
  - .agpr_count:     0
    .args:
      - .offset:         0
        .size:           40
        .value_kind:     by_value
    .group_segment_fixed_size: 7168
    .kernarg_segment_align: 8
    .kernarg_segment_size: 40
    .language:       OpenCL C
    .language_version:
      - 2
      - 0
    .max_flat_workgroup_size: 128
    .name:           _ZN7rocprim17ROCPRIM_400000_NS6detail17trampoline_kernelINS0_14default_configENS1_20scan_config_selectorIxEEZZNS1_9scan_implILNS1_25lookback_scan_determinismE0ELb0ELb1ES3_N6thrust23THRUST_200600_302600_NS6detail15normal_iteratorINS9_10device_ptrIxEEEESE_xNS9_4plusIxEExEEDaPvRmT3_T4_T5_mT6_P12ihipStream_tbENKUlT_T0_E_clISt17integral_constantIbLb1EESU_EEDaSP_SQ_EUlSP_E0_NS1_11comp_targetILNS1_3genE4ELNS1_11target_archE910ELNS1_3gpuE8ELNS1_3repE0EEENS1_30default_config_static_selectorELNS0_4arch9wavefront6targetE1EEEvT1_
    .private_segment_fixed_size: 0
    .sgpr_count:     28
    .sgpr_spill_count: 0
    .symbol:         _ZN7rocprim17ROCPRIM_400000_NS6detail17trampoline_kernelINS0_14default_configENS1_20scan_config_selectorIxEEZZNS1_9scan_implILNS1_25lookback_scan_determinismE0ELb0ELb1ES3_N6thrust23THRUST_200600_302600_NS6detail15normal_iteratorINS9_10device_ptrIxEEEESE_xNS9_4plusIxEExEEDaPvRmT3_T4_T5_mT6_P12ihipStream_tbENKUlT_T0_E_clISt17integral_constantIbLb1EESU_EEDaSP_SQ_EUlSP_E0_NS1_11comp_targetILNS1_3genE4ELNS1_11target_archE910ELNS1_3gpuE8ELNS1_3repE0EEENS1_30default_config_static_selectorELNS0_4arch9wavefront6targetE1EEEvT1_.kd
    .uniform_work_group_size: 1
    .uses_dynamic_stack: false
    .vgpr_count:     39
    .vgpr_spill_count: 0
    .wavefront_size: 64
  - .agpr_count:     0
    .args:
      - .offset:         0
        .size:           40
        .value_kind:     by_value
    .group_segment_fixed_size: 0
    .kernarg_segment_align: 8
    .kernarg_segment_size: 40
    .language:       OpenCL C
    .language_version:
      - 2
      - 0
    .max_flat_workgroup_size: 256
    .name:           _ZN7rocprim17ROCPRIM_400000_NS6detail17trampoline_kernelINS0_14default_configENS1_20scan_config_selectorIxEEZZNS1_9scan_implILNS1_25lookback_scan_determinismE0ELb0ELb1ES3_N6thrust23THRUST_200600_302600_NS6detail15normal_iteratorINS9_10device_ptrIxEEEESE_xNS9_4plusIxEExEEDaPvRmT3_T4_T5_mT6_P12ihipStream_tbENKUlT_T0_E_clISt17integral_constantIbLb1EESU_EEDaSP_SQ_EUlSP_E0_NS1_11comp_targetILNS1_3genE3ELNS1_11target_archE908ELNS1_3gpuE7ELNS1_3repE0EEENS1_30default_config_static_selectorELNS0_4arch9wavefront6targetE1EEEvT1_
    .private_segment_fixed_size: 0
    .sgpr_count:     4
    .sgpr_spill_count: 0
    .symbol:         _ZN7rocprim17ROCPRIM_400000_NS6detail17trampoline_kernelINS0_14default_configENS1_20scan_config_selectorIxEEZZNS1_9scan_implILNS1_25lookback_scan_determinismE0ELb0ELb1ES3_N6thrust23THRUST_200600_302600_NS6detail15normal_iteratorINS9_10device_ptrIxEEEESE_xNS9_4plusIxEExEEDaPvRmT3_T4_T5_mT6_P12ihipStream_tbENKUlT_T0_E_clISt17integral_constantIbLb1EESU_EEDaSP_SQ_EUlSP_E0_NS1_11comp_targetILNS1_3genE3ELNS1_11target_archE908ELNS1_3gpuE7ELNS1_3repE0EEENS1_30default_config_static_selectorELNS0_4arch9wavefront6targetE1EEEvT1_.kd
    .uniform_work_group_size: 1
    .uses_dynamic_stack: false
    .vgpr_count:     0
    .vgpr_spill_count: 0
    .wavefront_size: 64
  - .agpr_count:     0
    .args:
      - .offset:         0
        .size:           40
        .value_kind:     by_value
    .group_segment_fixed_size: 0
    .kernarg_segment_align: 8
    .kernarg_segment_size: 40
    .language:       OpenCL C
    .language_version:
      - 2
      - 0
    .max_flat_workgroup_size: 64
    .name:           _ZN7rocprim17ROCPRIM_400000_NS6detail17trampoline_kernelINS0_14default_configENS1_20scan_config_selectorIxEEZZNS1_9scan_implILNS1_25lookback_scan_determinismE0ELb0ELb1ES3_N6thrust23THRUST_200600_302600_NS6detail15normal_iteratorINS9_10device_ptrIxEEEESE_xNS9_4plusIxEExEEDaPvRmT3_T4_T5_mT6_P12ihipStream_tbENKUlT_T0_E_clISt17integral_constantIbLb1EESU_EEDaSP_SQ_EUlSP_E0_NS1_11comp_targetILNS1_3genE2ELNS1_11target_archE906ELNS1_3gpuE6ELNS1_3repE0EEENS1_30default_config_static_selectorELNS0_4arch9wavefront6targetE1EEEvT1_
    .private_segment_fixed_size: 0
    .sgpr_count:     4
    .sgpr_spill_count: 0
    .symbol:         _ZN7rocprim17ROCPRIM_400000_NS6detail17trampoline_kernelINS0_14default_configENS1_20scan_config_selectorIxEEZZNS1_9scan_implILNS1_25lookback_scan_determinismE0ELb0ELb1ES3_N6thrust23THRUST_200600_302600_NS6detail15normal_iteratorINS9_10device_ptrIxEEEESE_xNS9_4plusIxEExEEDaPvRmT3_T4_T5_mT6_P12ihipStream_tbENKUlT_T0_E_clISt17integral_constantIbLb1EESU_EEDaSP_SQ_EUlSP_E0_NS1_11comp_targetILNS1_3genE2ELNS1_11target_archE906ELNS1_3gpuE6ELNS1_3repE0EEENS1_30default_config_static_selectorELNS0_4arch9wavefront6targetE1EEEvT1_.kd
    .uniform_work_group_size: 1
    .uses_dynamic_stack: false
    .vgpr_count:     0
    .vgpr_spill_count: 0
    .wavefront_size: 64
  - .agpr_count:     0
    .args:
      - .offset:         0
        .size:           40
        .value_kind:     by_value
    .group_segment_fixed_size: 0
    .kernarg_segment_align: 8
    .kernarg_segment_size: 40
    .language:       OpenCL C
    .language_version:
      - 2
      - 0
    .max_flat_workgroup_size: 256
    .name:           _ZN7rocprim17ROCPRIM_400000_NS6detail17trampoline_kernelINS0_14default_configENS1_20scan_config_selectorIxEEZZNS1_9scan_implILNS1_25lookback_scan_determinismE0ELb0ELb1ES3_N6thrust23THRUST_200600_302600_NS6detail15normal_iteratorINS9_10device_ptrIxEEEESE_xNS9_4plusIxEExEEDaPvRmT3_T4_T5_mT6_P12ihipStream_tbENKUlT_T0_E_clISt17integral_constantIbLb1EESU_EEDaSP_SQ_EUlSP_E0_NS1_11comp_targetILNS1_3genE10ELNS1_11target_archE1201ELNS1_3gpuE5ELNS1_3repE0EEENS1_30default_config_static_selectorELNS0_4arch9wavefront6targetE1EEEvT1_
    .private_segment_fixed_size: 0
    .sgpr_count:     4
    .sgpr_spill_count: 0
    .symbol:         _ZN7rocprim17ROCPRIM_400000_NS6detail17trampoline_kernelINS0_14default_configENS1_20scan_config_selectorIxEEZZNS1_9scan_implILNS1_25lookback_scan_determinismE0ELb0ELb1ES3_N6thrust23THRUST_200600_302600_NS6detail15normal_iteratorINS9_10device_ptrIxEEEESE_xNS9_4plusIxEExEEDaPvRmT3_T4_T5_mT6_P12ihipStream_tbENKUlT_T0_E_clISt17integral_constantIbLb1EESU_EEDaSP_SQ_EUlSP_E0_NS1_11comp_targetILNS1_3genE10ELNS1_11target_archE1201ELNS1_3gpuE5ELNS1_3repE0EEENS1_30default_config_static_selectorELNS0_4arch9wavefront6targetE1EEEvT1_.kd
    .uniform_work_group_size: 1
    .uses_dynamic_stack: false
    .vgpr_count:     0
    .vgpr_spill_count: 0
    .wavefront_size: 64
  - .agpr_count:     0
    .args:
      - .offset:         0
        .size:           40
        .value_kind:     by_value
    .group_segment_fixed_size: 0
    .kernarg_segment_align: 8
    .kernarg_segment_size: 40
    .language:       OpenCL C
    .language_version:
      - 2
      - 0
    .max_flat_workgroup_size: 256
    .name:           _ZN7rocprim17ROCPRIM_400000_NS6detail17trampoline_kernelINS0_14default_configENS1_20scan_config_selectorIxEEZZNS1_9scan_implILNS1_25lookback_scan_determinismE0ELb0ELb1ES3_N6thrust23THRUST_200600_302600_NS6detail15normal_iteratorINS9_10device_ptrIxEEEESE_xNS9_4plusIxEExEEDaPvRmT3_T4_T5_mT6_P12ihipStream_tbENKUlT_T0_E_clISt17integral_constantIbLb1EESU_EEDaSP_SQ_EUlSP_E0_NS1_11comp_targetILNS1_3genE10ELNS1_11target_archE1200ELNS1_3gpuE4ELNS1_3repE0EEENS1_30default_config_static_selectorELNS0_4arch9wavefront6targetE1EEEvT1_
    .private_segment_fixed_size: 0
    .sgpr_count:     4
    .sgpr_spill_count: 0
    .symbol:         _ZN7rocprim17ROCPRIM_400000_NS6detail17trampoline_kernelINS0_14default_configENS1_20scan_config_selectorIxEEZZNS1_9scan_implILNS1_25lookback_scan_determinismE0ELb0ELb1ES3_N6thrust23THRUST_200600_302600_NS6detail15normal_iteratorINS9_10device_ptrIxEEEESE_xNS9_4plusIxEExEEDaPvRmT3_T4_T5_mT6_P12ihipStream_tbENKUlT_T0_E_clISt17integral_constantIbLb1EESU_EEDaSP_SQ_EUlSP_E0_NS1_11comp_targetILNS1_3genE10ELNS1_11target_archE1200ELNS1_3gpuE4ELNS1_3repE0EEENS1_30default_config_static_selectorELNS0_4arch9wavefront6targetE1EEEvT1_.kd
    .uniform_work_group_size: 1
    .uses_dynamic_stack: false
    .vgpr_count:     0
    .vgpr_spill_count: 0
    .wavefront_size: 64
  - .agpr_count:     0
    .args:
      - .offset:         0
        .size:           40
        .value_kind:     by_value
    .group_segment_fixed_size: 0
    .kernarg_segment_align: 8
    .kernarg_segment_size: 40
    .language:       OpenCL C
    .language_version:
      - 2
      - 0
    .max_flat_workgroup_size: 256
    .name:           _ZN7rocprim17ROCPRIM_400000_NS6detail17trampoline_kernelINS0_14default_configENS1_20scan_config_selectorIxEEZZNS1_9scan_implILNS1_25lookback_scan_determinismE0ELb0ELb1ES3_N6thrust23THRUST_200600_302600_NS6detail15normal_iteratorINS9_10device_ptrIxEEEESE_xNS9_4plusIxEExEEDaPvRmT3_T4_T5_mT6_P12ihipStream_tbENKUlT_T0_E_clISt17integral_constantIbLb1EESU_EEDaSP_SQ_EUlSP_E0_NS1_11comp_targetILNS1_3genE9ELNS1_11target_archE1100ELNS1_3gpuE3ELNS1_3repE0EEENS1_30default_config_static_selectorELNS0_4arch9wavefront6targetE1EEEvT1_
    .private_segment_fixed_size: 0
    .sgpr_count:     4
    .sgpr_spill_count: 0
    .symbol:         _ZN7rocprim17ROCPRIM_400000_NS6detail17trampoline_kernelINS0_14default_configENS1_20scan_config_selectorIxEEZZNS1_9scan_implILNS1_25lookback_scan_determinismE0ELb0ELb1ES3_N6thrust23THRUST_200600_302600_NS6detail15normal_iteratorINS9_10device_ptrIxEEEESE_xNS9_4plusIxEExEEDaPvRmT3_T4_T5_mT6_P12ihipStream_tbENKUlT_T0_E_clISt17integral_constantIbLb1EESU_EEDaSP_SQ_EUlSP_E0_NS1_11comp_targetILNS1_3genE9ELNS1_11target_archE1100ELNS1_3gpuE3ELNS1_3repE0EEENS1_30default_config_static_selectorELNS0_4arch9wavefront6targetE1EEEvT1_.kd
    .uniform_work_group_size: 1
    .uses_dynamic_stack: false
    .vgpr_count:     0
    .vgpr_spill_count: 0
    .wavefront_size: 64
  - .agpr_count:     0
    .args:
      - .offset:         0
        .size:           40
        .value_kind:     by_value
    .group_segment_fixed_size: 0
    .kernarg_segment_align: 8
    .kernarg_segment_size: 40
    .language:       OpenCL C
    .language_version:
      - 2
      - 0
    .max_flat_workgroup_size: 256
    .name:           _ZN7rocprim17ROCPRIM_400000_NS6detail17trampoline_kernelINS0_14default_configENS1_20scan_config_selectorIxEEZZNS1_9scan_implILNS1_25lookback_scan_determinismE0ELb0ELb1ES3_N6thrust23THRUST_200600_302600_NS6detail15normal_iteratorINS9_10device_ptrIxEEEESE_xNS9_4plusIxEExEEDaPvRmT3_T4_T5_mT6_P12ihipStream_tbENKUlT_T0_E_clISt17integral_constantIbLb1EESU_EEDaSP_SQ_EUlSP_E0_NS1_11comp_targetILNS1_3genE8ELNS1_11target_archE1030ELNS1_3gpuE2ELNS1_3repE0EEENS1_30default_config_static_selectorELNS0_4arch9wavefront6targetE1EEEvT1_
    .private_segment_fixed_size: 0
    .sgpr_count:     4
    .sgpr_spill_count: 0
    .symbol:         _ZN7rocprim17ROCPRIM_400000_NS6detail17trampoline_kernelINS0_14default_configENS1_20scan_config_selectorIxEEZZNS1_9scan_implILNS1_25lookback_scan_determinismE0ELb0ELb1ES3_N6thrust23THRUST_200600_302600_NS6detail15normal_iteratorINS9_10device_ptrIxEEEESE_xNS9_4plusIxEExEEDaPvRmT3_T4_T5_mT6_P12ihipStream_tbENKUlT_T0_E_clISt17integral_constantIbLb1EESU_EEDaSP_SQ_EUlSP_E0_NS1_11comp_targetILNS1_3genE8ELNS1_11target_archE1030ELNS1_3gpuE2ELNS1_3repE0EEENS1_30default_config_static_selectorELNS0_4arch9wavefront6targetE1EEEvT1_.kd
    .uniform_work_group_size: 1
    .uses_dynamic_stack: false
    .vgpr_count:     0
    .vgpr_spill_count: 0
    .wavefront_size: 64
  - .agpr_count:     0
    .args:
      - .offset:         0
        .size:           104
        .value_kind:     by_value
    .group_segment_fixed_size: 0
    .kernarg_segment_align: 8
    .kernarg_segment_size: 104
    .language:       OpenCL C
    .language_version:
      - 2
      - 0
    .max_flat_workgroup_size: 256
    .name:           _ZN7rocprim17ROCPRIM_400000_NS6detail17trampoline_kernelINS0_14default_configENS1_20scan_config_selectorIxEEZZNS1_9scan_implILNS1_25lookback_scan_determinismE0ELb0ELb1ES3_N6thrust23THRUST_200600_302600_NS6detail15normal_iteratorINS9_10device_ptrIxEEEESE_xNS9_4plusIxEExEEDaPvRmT3_T4_T5_mT6_P12ihipStream_tbENKUlT_T0_E_clISt17integral_constantIbLb1EEST_IbLb0EEEEDaSP_SQ_EUlSP_E_NS1_11comp_targetILNS1_3genE0ELNS1_11target_archE4294967295ELNS1_3gpuE0ELNS1_3repE0EEENS1_30default_config_static_selectorELNS0_4arch9wavefront6targetE1EEEvT1_
    .private_segment_fixed_size: 0
    .sgpr_count:     4
    .sgpr_spill_count: 0
    .symbol:         _ZN7rocprim17ROCPRIM_400000_NS6detail17trampoline_kernelINS0_14default_configENS1_20scan_config_selectorIxEEZZNS1_9scan_implILNS1_25lookback_scan_determinismE0ELb0ELb1ES3_N6thrust23THRUST_200600_302600_NS6detail15normal_iteratorINS9_10device_ptrIxEEEESE_xNS9_4plusIxEExEEDaPvRmT3_T4_T5_mT6_P12ihipStream_tbENKUlT_T0_E_clISt17integral_constantIbLb1EEST_IbLb0EEEEDaSP_SQ_EUlSP_E_NS1_11comp_targetILNS1_3genE0ELNS1_11target_archE4294967295ELNS1_3gpuE0ELNS1_3repE0EEENS1_30default_config_static_selectorELNS0_4arch9wavefront6targetE1EEEvT1_.kd
    .uniform_work_group_size: 1
    .uses_dynamic_stack: false
    .vgpr_count:     0
    .vgpr_spill_count: 0
    .wavefront_size: 64
  - .agpr_count:     0
    .args:
      - .offset:         0
        .size:           104
        .value_kind:     by_value
    .group_segment_fixed_size: 0
    .kernarg_segment_align: 8
    .kernarg_segment_size: 104
    .language:       OpenCL C
    .language_version:
      - 2
      - 0
    .max_flat_workgroup_size: 256
    .name:           _ZN7rocprim17ROCPRIM_400000_NS6detail17trampoline_kernelINS0_14default_configENS1_20scan_config_selectorIxEEZZNS1_9scan_implILNS1_25lookback_scan_determinismE0ELb0ELb1ES3_N6thrust23THRUST_200600_302600_NS6detail15normal_iteratorINS9_10device_ptrIxEEEESE_xNS9_4plusIxEExEEDaPvRmT3_T4_T5_mT6_P12ihipStream_tbENKUlT_T0_E_clISt17integral_constantIbLb1EEST_IbLb0EEEEDaSP_SQ_EUlSP_E_NS1_11comp_targetILNS1_3genE5ELNS1_11target_archE942ELNS1_3gpuE9ELNS1_3repE0EEENS1_30default_config_static_selectorELNS0_4arch9wavefront6targetE1EEEvT1_
    .private_segment_fixed_size: 0
    .sgpr_count:     4
    .sgpr_spill_count: 0
    .symbol:         _ZN7rocprim17ROCPRIM_400000_NS6detail17trampoline_kernelINS0_14default_configENS1_20scan_config_selectorIxEEZZNS1_9scan_implILNS1_25lookback_scan_determinismE0ELb0ELb1ES3_N6thrust23THRUST_200600_302600_NS6detail15normal_iteratorINS9_10device_ptrIxEEEESE_xNS9_4plusIxEExEEDaPvRmT3_T4_T5_mT6_P12ihipStream_tbENKUlT_T0_E_clISt17integral_constantIbLb1EEST_IbLb0EEEEDaSP_SQ_EUlSP_E_NS1_11comp_targetILNS1_3genE5ELNS1_11target_archE942ELNS1_3gpuE9ELNS1_3repE0EEENS1_30default_config_static_selectorELNS0_4arch9wavefront6targetE1EEEvT1_.kd
    .uniform_work_group_size: 1
    .uses_dynamic_stack: false
    .vgpr_count:     0
    .vgpr_spill_count: 0
    .wavefront_size: 64
  - .agpr_count:     0
    .args:
      - .offset:         0
        .size:           104
        .value_kind:     by_value
    .group_segment_fixed_size: 7168
    .kernarg_segment_align: 8
    .kernarg_segment_size: 104
    .language:       OpenCL C
    .language_version:
      - 2
      - 0
    .max_flat_workgroup_size: 128
    .name:           _ZN7rocprim17ROCPRIM_400000_NS6detail17trampoline_kernelINS0_14default_configENS1_20scan_config_selectorIxEEZZNS1_9scan_implILNS1_25lookback_scan_determinismE0ELb0ELb1ES3_N6thrust23THRUST_200600_302600_NS6detail15normal_iteratorINS9_10device_ptrIxEEEESE_xNS9_4plusIxEExEEDaPvRmT3_T4_T5_mT6_P12ihipStream_tbENKUlT_T0_E_clISt17integral_constantIbLb1EEST_IbLb0EEEEDaSP_SQ_EUlSP_E_NS1_11comp_targetILNS1_3genE4ELNS1_11target_archE910ELNS1_3gpuE8ELNS1_3repE0EEENS1_30default_config_static_selectorELNS0_4arch9wavefront6targetE1EEEvT1_
    .private_segment_fixed_size: 0
    .sgpr_count:     39
    .sgpr_spill_count: 0
    .symbol:         _ZN7rocprim17ROCPRIM_400000_NS6detail17trampoline_kernelINS0_14default_configENS1_20scan_config_selectorIxEEZZNS1_9scan_implILNS1_25lookback_scan_determinismE0ELb0ELb1ES3_N6thrust23THRUST_200600_302600_NS6detail15normal_iteratorINS9_10device_ptrIxEEEESE_xNS9_4plusIxEExEEDaPvRmT3_T4_T5_mT6_P12ihipStream_tbENKUlT_T0_E_clISt17integral_constantIbLb1EEST_IbLb0EEEEDaSP_SQ_EUlSP_E_NS1_11comp_targetILNS1_3genE4ELNS1_11target_archE910ELNS1_3gpuE8ELNS1_3repE0EEENS1_30default_config_static_selectorELNS0_4arch9wavefront6targetE1EEEvT1_.kd
    .uniform_work_group_size: 1
    .uses_dynamic_stack: false
    .vgpr_count:     51
    .vgpr_spill_count: 0
    .wavefront_size: 64
  - .agpr_count:     0
    .args:
      - .offset:         0
        .size:           104
        .value_kind:     by_value
    .group_segment_fixed_size: 0
    .kernarg_segment_align: 8
    .kernarg_segment_size: 104
    .language:       OpenCL C
    .language_version:
      - 2
      - 0
    .max_flat_workgroup_size: 256
    .name:           _ZN7rocprim17ROCPRIM_400000_NS6detail17trampoline_kernelINS0_14default_configENS1_20scan_config_selectorIxEEZZNS1_9scan_implILNS1_25lookback_scan_determinismE0ELb0ELb1ES3_N6thrust23THRUST_200600_302600_NS6detail15normal_iteratorINS9_10device_ptrIxEEEESE_xNS9_4plusIxEExEEDaPvRmT3_T4_T5_mT6_P12ihipStream_tbENKUlT_T0_E_clISt17integral_constantIbLb1EEST_IbLb0EEEEDaSP_SQ_EUlSP_E_NS1_11comp_targetILNS1_3genE3ELNS1_11target_archE908ELNS1_3gpuE7ELNS1_3repE0EEENS1_30default_config_static_selectorELNS0_4arch9wavefront6targetE1EEEvT1_
    .private_segment_fixed_size: 0
    .sgpr_count:     4
    .sgpr_spill_count: 0
    .symbol:         _ZN7rocprim17ROCPRIM_400000_NS6detail17trampoline_kernelINS0_14default_configENS1_20scan_config_selectorIxEEZZNS1_9scan_implILNS1_25lookback_scan_determinismE0ELb0ELb1ES3_N6thrust23THRUST_200600_302600_NS6detail15normal_iteratorINS9_10device_ptrIxEEEESE_xNS9_4plusIxEExEEDaPvRmT3_T4_T5_mT6_P12ihipStream_tbENKUlT_T0_E_clISt17integral_constantIbLb1EEST_IbLb0EEEEDaSP_SQ_EUlSP_E_NS1_11comp_targetILNS1_3genE3ELNS1_11target_archE908ELNS1_3gpuE7ELNS1_3repE0EEENS1_30default_config_static_selectorELNS0_4arch9wavefront6targetE1EEEvT1_.kd
    .uniform_work_group_size: 1
    .uses_dynamic_stack: false
    .vgpr_count:     0
    .vgpr_spill_count: 0
    .wavefront_size: 64
  - .agpr_count:     0
    .args:
      - .offset:         0
        .size:           104
        .value_kind:     by_value
    .group_segment_fixed_size: 0
    .kernarg_segment_align: 8
    .kernarg_segment_size: 104
    .language:       OpenCL C
    .language_version:
      - 2
      - 0
    .max_flat_workgroup_size: 64
    .name:           _ZN7rocprim17ROCPRIM_400000_NS6detail17trampoline_kernelINS0_14default_configENS1_20scan_config_selectorIxEEZZNS1_9scan_implILNS1_25lookback_scan_determinismE0ELb0ELb1ES3_N6thrust23THRUST_200600_302600_NS6detail15normal_iteratorINS9_10device_ptrIxEEEESE_xNS9_4plusIxEExEEDaPvRmT3_T4_T5_mT6_P12ihipStream_tbENKUlT_T0_E_clISt17integral_constantIbLb1EEST_IbLb0EEEEDaSP_SQ_EUlSP_E_NS1_11comp_targetILNS1_3genE2ELNS1_11target_archE906ELNS1_3gpuE6ELNS1_3repE0EEENS1_30default_config_static_selectorELNS0_4arch9wavefront6targetE1EEEvT1_
    .private_segment_fixed_size: 0
    .sgpr_count:     4
    .sgpr_spill_count: 0
    .symbol:         _ZN7rocprim17ROCPRIM_400000_NS6detail17trampoline_kernelINS0_14default_configENS1_20scan_config_selectorIxEEZZNS1_9scan_implILNS1_25lookback_scan_determinismE0ELb0ELb1ES3_N6thrust23THRUST_200600_302600_NS6detail15normal_iteratorINS9_10device_ptrIxEEEESE_xNS9_4plusIxEExEEDaPvRmT3_T4_T5_mT6_P12ihipStream_tbENKUlT_T0_E_clISt17integral_constantIbLb1EEST_IbLb0EEEEDaSP_SQ_EUlSP_E_NS1_11comp_targetILNS1_3genE2ELNS1_11target_archE906ELNS1_3gpuE6ELNS1_3repE0EEENS1_30default_config_static_selectorELNS0_4arch9wavefront6targetE1EEEvT1_.kd
    .uniform_work_group_size: 1
    .uses_dynamic_stack: false
    .vgpr_count:     0
    .vgpr_spill_count: 0
    .wavefront_size: 64
  - .agpr_count:     0
    .args:
      - .offset:         0
        .size:           104
        .value_kind:     by_value
    .group_segment_fixed_size: 0
    .kernarg_segment_align: 8
    .kernarg_segment_size: 104
    .language:       OpenCL C
    .language_version:
      - 2
      - 0
    .max_flat_workgroup_size: 256
    .name:           _ZN7rocprim17ROCPRIM_400000_NS6detail17trampoline_kernelINS0_14default_configENS1_20scan_config_selectorIxEEZZNS1_9scan_implILNS1_25lookback_scan_determinismE0ELb0ELb1ES3_N6thrust23THRUST_200600_302600_NS6detail15normal_iteratorINS9_10device_ptrIxEEEESE_xNS9_4plusIxEExEEDaPvRmT3_T4_T5_mT6_P12ihipStream_tbENKUlT_T0_E_clISt17integral_constantIbLb1EEST_IbLb0EEEEDaSP_SQ_EUlSP_E_NS1_11comp_targetILNS1_3genE10ELNS1_11target_archE1201ELNS1_3gpuE5ELNS1_3repE0EEENS1_30default_config_static_selectorELNS0_4arch9wavefront6targetE1EEEvT1_
    .private_segment_fixed_size: 0
    .sgpr_count:     4
    .sgpr_spill_count: 0
    .symbol:         _ZN7rocprim17ROCPRIM_400000_NS6detail17trampoline_kernelINS0_14default_configENS1_20scan_config_selectorIxEEZZNS1_9scan_implILNS1_25lookback_scan_determinismE0ELb0ELb1ES3_N6thrust23THRUST_200600_302600_NS6detail15normal_iteratorINS9_10device_ptrIxEEEESE_xNS9_4plusIxEExEEDaPvRmT3_T4_T5_mT6_P12ihipStream_tbENKUlT_T0_E_clISt17integral_constantIbLb1EEST_IbLb0EEEEDaSP_SQ_EUlSP_E_NS1_11comp_targetILNS1_3genE10ELNS1_11target_archE1201ELNS1_3gpuE5ELNS1_3repE0EEENS1_30default_config_static_selectorELNS0_4arch9wavefront6targetE1EEEvT1_.kd
    .uniform_work_group_size: 1
    .uses_dynamic_stack: false
    .vgpr_count:     0
    .vgpr_spill_count: 0
    .wavefront_size: 64
  - .agpr_count:     0
    .args:
      - .offset:         0
        .size:           104
        .value_kind:     by_value
    .group_segment_fixed_size: 0
    .kernarg_segment_align: 8
    .kernarg_segment_size: 104
    .language:       OpenCL C
    .language_version:
      - 2
      - 0
    .max_flat_workgroup_size: 256
    .name:           _ZN7rocprim17ROCPRIM_400000_NS6detail17trampoline_kernelINS0_14default_configENS1_20scan_config_selectorIxEEZZNS1_9scan_implILNS1_25lookback_scan_determinismE0ELb0ELb1ES3_N6thrust23THRUST_200600_302600_NS6detail15normal_iteratorINS9_10device_ptrIxEEEESE_xNS9_4plusIxEExEEDaPvRmT3_T4_T5_mT6_P12ihipStream_tbENKUlT_T0_E_clISt17integral_constantIbLb1EEST_IbLb0EEEEDaSP_SQ_EUlSP_E_NS1_11comp_targetILNS1_3genE10ELNS1_11target_archE1200ELNS1_3gpuE4ELNS1_3repE0EEENS1_30default_config_static_selectorELNS0_4arch9wavefront6targetE1EEEvT1_
    .private_segment_fixed_size: 0
    .sgpr_count:     4
    .sgpr_spill_count: 0
    .symbol:         _ZN7rocprim17ROCPRIM_400000_NS6detail17trampoline_kernelINS0_14default_configENS1_20scan_config_selectorIxEEZZNS1_9scan_implILNS1_25lookback_scan_determinismE0ELb0ELb1ES3_N6thrust23THRUST_200600_302600_NS6detail15normal_iteratorINS9_10device_ptrIxEEEESE_xNS9_4plusIxEExEEDaPvRmT3_T4_T5_mT6_P12ihipStream_tbENKUlT_T0_E_clISt17integral_constantIbLb1EEST_IbLb0EEEEDaSP_SQ_EUlSP_E_NS1_11comp_targetILNS1_3genE10ELNS1_11target_archE1200ELNS1_3gpuE4ELNS1_3repE0EEENS1_30default_config_static_selectorELNS0_4arch9wavefront6targetE1EEEvT1_.kd
    .uniform_work_group_size: 1
    .uses_dynamic_stack: false
    .vgpr_count:     0
    .vgpr_spill_count: 0
    .wavefront_size: 64
  - .agpr_count:     0
    .args:
      - .offset:         0
        .size:           104
        .value_kind:     by_value
    .group_segment_fixed_size: 0
    .kernarg_segment_align: 8
    .kernarg_segment_size: 104
    .language:       OpenCL C
    .language_version:
      - 2
      - 0
    .max_flat_workgroup_size: 256
    .name:           _ZN7rocprim17ROCPRIM_400000_NS6detail17trampoline_kernelINS0_14default_configENS1_20scan_config_selectorIxEEZZNS1_9scan_implILNS1_25lookback_scan_determinismE0ELb0ELb1ES3_N6thrust23THRUST_200600_302600_NS6detail15normal_iteratorINS9_10device_ptrIxEEEESE_xNS9_4plusIxEExEEDaPvRmT3_T4_T5_mT6_P12ihipStream_tbENKUlT_T0_E_clISt17integral_constantIbLb1EEST_IbLb0EEEEDaSP_SQ_EUlSP_E_NS1_11comp_targetILNS1_3genE9ELNS1_11target_archE1100ELNS1_3gpuE3ELNS1_3repE0EEENS1_30default_config_static_selectorELNS0_4arch9wavefront6targetE1EEEvT1_
    .private_segment_fixed_size: 0
    .sgpr_count:     4
    .sgpr_spill_count: 0
    .symbol:         _ZN7rocprim17ROCPRIM_400000_NS6detail17trampoline_kernelINS0_14default_configENS1_20scan_config_selectorIxEEZZNS1_9scan_implILNS1_25lookback_scan_determinismE0ELb0ELb1ES3_N6thrust23THRUST_200600_302600_NS6detail15normal_iteratorINS9_10device_ptrIxEEEESE_xNS9_4plusIxEExEEDaPvRmT3_T4_T5_mT6_P12ihipStream_tbENKUlT_T0_E_clISt17integral_constantIbLb1EEST_IbLb0EEEEDaSP_SQ_EUlSP_E_NS1_11comp_targetILNS1_3genE9ELNS1_11target_archE1100ELNS1_3gpuE3ELNS1_3repE0EEENS1_30default_config_static_selectorELNS0_4arch9wavefront6targetE1EEEvT1_.kd
    .uniform_work_group_size: 1
    .uses_dynamic_stack: false
    .vgpr_count:     0
    .vgpr_spill_count: 0
    .wavefront_size: 64
  - .agpr_count:     0
    .args:
      - .offset:         0
        .size:           104
        .value_kind:     by_value
    .group_segment_fixed_size: 0
    .kernarg_segment_align: 8
    .kernarg_segment_size: 104
    .language:       OpenCL C
    .language_version:
      - 2
      - 0
    .max_flat_workgroup_size: 256
    .name:           _ZN7rocprim17ROCPRIM_400000_NS6detail17trampoline_kernelINS0_14default_configENS1_20scan_config_selectorIxEEZZNS1_9scan_implILNS1_25lookback_scan_determinismE0ELb0ELb1ES3_N6thrust23THRUST_200600_302600_NS6detail15normal_iteratorINS9_10device_ptrIxEEEESE_xNS9_4plusIxEExEEDaPvRmT3_T4_T5_mT6_P12ihipStream_tbENKUlT_T0_E_clISt17integral_constantIbLb1EEST_IbLb0EEEEDaSP_SQ_EUlSP_E_NS1_11comp_targetILNS1_3genE8ELNS1_11target_archE1030ELNS1_3gpuE2ELNS1_3repE0EEENS1_30default_config_static_selectorELNS0_4arch9wavefront6targetE1EEEvT1_
    .private_segment_fixed_size: 0
    .sgpr_count:     4
    .sgpr_spill_count: 0
    .symbol:         _ZN7rocprim17ROCPRIM_400000_NS6detail17trampoline_kernelINS0_14default_configENS1_20scan_config_selectorIxEEZZNS1_9scan_implILNS1_25lookback_scan_determinismE0ELb0ELb1ES3_N6thrust23THRUST_200600_302600_NS6detail15normal_iteratorINS9_10device_ptrIxEEEESE_xNS9_4plusIxEExEEDaPvRmT3_T4_T5_mT6_P12ihipStream_tbENKUlT_T0_E_clISt17integral_constantIbLb1EEST_IbLb0EEEEDaSP_SQ_EUlSP_E_NS1_11comp_targetILNS1_3genE8ELNS1_11target_archE1030ELNS1_3gpuE2ELNS1_3repE0EEENS1_30default_config_static_selectorELNS0_4arch9wavefront6targetE1EEEvT1_.kd
    .uniform_work_group_size: 1
    .uses_dynamic_stack: false
    .vgpr_count:     0
    .vgpr_spill_count: 0
    .wavefront_size: 64
  - .agpr_count:     0
    .args:
      - .offset:         0
        .size:           40
        .value_kind:     by_value
    .group_segment_fixed_size: 0
    .kernarg_segment_align: 8
    .kernarg_segment_size: 40
    .language:       OpenCL C
    .language_version:
      - 2
      - 0
    .max_flat_workgroup_size: 256
    .name:           _ZN7rocprim17ROCPRIM_400000_NS6detail17trampoline_kernelINS0_14default_configENS1_20scan_config_selectorIxEEZZNS1_9scan_implILNS1_25lookback_scan_determinismE0ELb0ELb1ES3_N6thrust23THRUST_200600_302600_NS6detail15normal_iteratorINS9_10device_ptrIxEEEESE_xNS9_4plusIxEExEEDaPvRmT3_T4_T5_mT6_P12ihipStream_tbENKUlT_T0_E_clISt17integral_constantIbLb1EEST_IbLb0EEEEDaSP_SQ_EUlSP_E0_NS1_11comp_targetILNS1_3genE0ELNS1_11target_archE4294967295ELNS1_3gpuE0ELNS1_3repE0EEENS1_30default_config_static_selectorELNS0_4arch9wavefront6targetE1EEEvT1_
    .private_segment_fixed_size: 0
    .sgpr_count:     4
    .sgpr_spill_count: 0
    .symbol:         _ZN7rocprim17ROCPRIM_400000_NS6detail17trampoline_kernelINS0_14default_configENS1_20scan_config_selectorIxEEZZNS1_9scan_implILNS1_25lookback_scan_determinismE0ELb0ELb1ES3_N6thrust23THRUST_200600_302600_NS6detail15normal_iteratorINS9_10device_ptrIxEEEESE_xNS9_4plusIxEExEEDaPvRmT3_T4_T5_mT6_P12ihipStream_tbENKUlT_T0_E_clISt17integral_constantIbLb1EEST_IbLb0EEEEDaSP_SQ_EUlSP_E0_NS1_11comp_targetILNS1_3genE0ELNS1_11target_archE4294967295ELNS1_3gpuE0ELNS1_3repE0EEENS1_30default_config_static_selectorELNS0_4arch9wavefront6targetE1EEEvT1_.kd
    .uniform_work_group_size: 1
    .uses_dynamic_stack: false
    .vgpr_count:     0
    .vgpr_spill_count: 0
    .wavefront_size: 64
  - .agpr_count:     0
    .args:
      - .offset:         0
        .size:           40
        .value_kind:     by_value
    .group_segment_fixed_size: 0
    .kernarg_segment_align: 8
    .kernarg_segment_size: 40
    .language:       OpenCL C
    .language_version:
      - 2
      - 0
    .max_flat_workgroup_size: 256
    .name:           _ZN7rocprim17ROCPRIM_400000_NS6detail17trampoline_kernelINS0_14default_configENS1_20scan_config_selectorIxEEZZNS1_9scan_implILNS1_25lookback_scan_determinismE0ELb0ELb1ES3_N6thrust23THRUST_200600_302600_NS6detail15normal_iteratorINS9_10device_ptrIxEEEESE_xNS9_4plusIxEExEEDaPvRmT3_T4_T5_mT6_P12ihipStream_tbENKUlT_T0_E_clISt17integral_constantIbLb1EEST_IbLb0EEEEDaSP_SQ_EUlSP_E0_NS1_11comp_targetILNS1_3genE5ELNS1_11target_archE942ELNS1_3gpuE9ELNS1_3repE0EEENS1_30default_config_static_selectorELNS0_4arch9wavefront6targetE1EEEvT1_
    .private_segment_fixed_size: 0
    .sgpr_count:     4
    .sgpr_spill_count: 0
    .symbol:         _ZN7rocprim17ROCPRIM_400000_NS6detail17trampoline_kernelINS0_14default_configENS1_20scan_config_selectorIxEEZZNS1_9scan_implILNS1_25lookback_scan_determinismE0ELb0ELb1ES3_N6thrust23THRUST_200600_302600_NS6detail15normal_iteratorINS9_10device_ptrIxEEEESE_xNS9_4plusIxEExEEDaPvRmT3_T4_T5_mT6_P12ihipStream_tbENKUlT_T0_E_clISt17integral_constantIbLb1EEST_IbLb0EEEEDaSP_SQ_EUlSP_E0_NS1_11comp_targetILNS1_3genE5ELNS1_11target_archE942ELNS1_3gpuE9ELNS1_3repE0EEENS1_30default_config_static_selectorELNS0_4arch9wavefront6targetE1EEEvT1_.kd
    .uniform_work_group_size: 1
    .uses_dynamic_stack: false
    .vgpr_count:     0
    .vgpr_spill_count: 0
    .wavefront_size: 64
  - .agpr_count:     0
    .args:
      - .offset:         0
        .size:           40
        .value_kind:     by_value
    .group_segment_fixed_size: 7168
    .kernarg_segment_align: 8
    .kernarg_segment_size: 40
    .language:       OpenCL C
    .language_version:
      - 2
      - 0
    .max_flat_workgroup_size: 128
    .name:           _ZN7rocprim17ROCPRIM_400000_NS6detail17trampoline_kernelINS0_14default_configENS1_20scan_config_selectorIxEEZZNS1_9scan_implILNS1_25lookback_scan_determinismE0ELb0ELb1ES3_N6thrust23THRUST_200600_302600_NS6detail15normal_iteratorINS9_10device_ptrIxEEEESE_xNS9_4plusIxEExEEDaPvRmT3_T4_T5_mT6_P12ihipStream_tbENKUlT_T0_E_clISt17integral_constantIbLb1EEST_IbLb0EEEEDaSP_SQ_EUlSP_E0_NS1_11comp_targetILNS1_3genE4ELNS1_11target_archE910ELNS1_3gpuE8ELNS1_3repE0EEENS1_30default_config_static_selectorELNS0_4arch9wavefront6targetE1EEEvT1_
    .private_segment_fixed_size: 0
    .sgpr_count:     28
    .sgpr_spill_count: 0
    .symbol:         _ZN7rocprim17ROCPRIM_400000_NS6detail17trampoline_kernelINS0_14default_configENS1_20scan_config_selectorIxEEZZNS1_9scan_implILNS1_25lookback_scan_determinismE0ELb0ELb1ES3_N6thrust23THRUST_200600_302600_NS6detail15normal_iteratorINS9_10device_ptrIxEEEESE_xNS9_4plusIxEExEEDaPvRmT3_T4_T5_mT6_P12ihipStream_tbENKUlT_T0_E_clISt17integral_constantIbLb1EEST_IbLb0EEEEDaSP_SQ_EUlSP_E0_NS1_11comp_targetILNS1_3genE4ELNS1_11target_archE910ELNS1_3gpuE8ELNS1_3repE0EEENS1_30default_config_static_selectorELNS0_4arch9wavefront6targetE1EEEvT1_.kd
    .uniform_work_group_size: 1
    .uses_dynamic_stack: false
    .vgpr_count:     39
    .vgpr_spill_count: 0
    .wavefront_size: 64
  - .agpr_count:     0
    .args:
      - .offset:         0
        .size:           40
        .value_kind:     by_value
    .group_segment_fixed_size: 0
    .kernarg_segment_align: 8
    .kernarg_segment_size: 40
    .language:       OpenCL C
    .language_version:
      - 2
      - 0
    .max_flat_workgroup_size: 256
    .name:           _ZN7rocprim17ROCPRIM_400000_NS6detail17trampoline_kernelINS0_14default_configENS1_20scan_config_selectorIxEEZZNS1_9scan_implILNS1_25lookback_scan_determinismE0ELb0ELb1ES3_N6thrust23THRUST_200600_302600_NS6detail15normal_iteratorINS9_10device_ptrIxEEEESE_xNS9_4plusIxEExEEDaPvRmT3_T4_T5_mT6_P12ihipStream_tbENKUlT_T0_E_clISt17integral_constantIbLb1EEST_IbLb0EEEEDaSP_SQ_EUlSP_E0_NS1_11comp_targetILNS1_3genE3ELNS1_11target_archE908ELNS1_3gpuE7ELNS1_3repE0EEENS1_30default_config_static_selectorELNS0_4arch9wavefront6targetE1EEEvT1_
    .private_segment_fixed_size: 0
    .sgpr_count:     4
    .sgpr_spill_count: 0
    .symbol:         _ZN7rocprim17ROCPRIM_400000_NS6detail17trampoline_kernelINS0_14default_configENS1_20scan_config_selectorIxEEZZNS1_9scan_implILNS1_25lookback_scan_determinismE0ELb0ELb1ES3_N6thrust23THRUST_200600_302600_NS6detail15normal_iteratorINS9_10device_ptrIxEEEESE_xNS9_4plusIxEExEEDaPvRmT3_T4_T5_mT6_P12ihipStream_tbENKUlT_T0_E_clISt17integral_constantIbLb1EEST_IbLb0EEEEDaSP_SQ_EUlSP_E0_NS1_11comp_targetILNS1_3genE3ELNS1_11target_archE908ELNS1_3gpuE7ELNS1_3repE0EEENS1_30default_config_static_selectorELNS0_4arch9wavefront6targetE1EEEvT1_.kd
    .uniform_work_group_size: 1
    .uses_dynamic_stack: false
    .vgpr_count:     0
    .vgpr_spill_count: 0
    .wavefront_size: 64
  - .agpr_count:     0
    .args:
      - .offset:         0
        .size:           40
        .value_kind:     by_value
    .group_segment_fixed_size: 0
    .kernarg_segment_align: 8
    .kernarg_segment_size: 40
    .language:       OpenCL C
    .language_version:
      - 2
      - 0
    .max_flat_workgroup_size: 64
    .name:           _ZN7rocprim17ROCPRIM_400000_NS6detail17trampoline_kernelINS0_14default_configENS1_20scan_config_selectorIxEEZZNS1_9scan_implILNS1_25lookback_scan_determinismE0ELb0ELb1ES3_N6thrust23THRUST_200600_302600_NS6detail15normal_iteratorINS9_10device_ptrIxEEEESE_xNS9_4plusIxEExEEDaPvRmT3_T4_T5_mT6_P12ihipStream_tbENKUlT_T0_E_clISt17integral_constantIbLb1EEST_IbLb0EEEEDaSP_SQ_EUlSP_E0_NS1_11comp_targetILNS1_3genE2ELNS1_11target_archE906ELNS1_3gpuE6ELNS1_3repE0EEENS1_30default_config_static_selectorELNS0_4arch9wavefront6targetE1EEEvT1_
    .private_segment_fixed_size: 0
    .sgpr_count:     4
    .sgpr_spill_count: 0
    .symbol:         _ZN7rocprim17ROCPRIM_400000_NS6detail17trampoline_kernelINS0_14default_configENS1_20scan_config_selectorIxEEZZNS1_9scan_implILNS1_25lookback_scan_determinismE0ELb0ELb1ES3_N6thrust23THRUST_200600_302600_NS6detail15normal_iteratorINS9_10device_ptrIxEEEESE_xNS9_4plusIxEExEEDaPvRmT3_T4_T5_mT6_P12ihipStream_tbENKUlT_T0_E_clISt17integral_constantIbLb1EEST_IbLb0EEEEDaSP_SQ_EUlSP_E0_NS1_11comp_targetILNS1_3genE2ELNS1_11target_archE906ELNS1_3gpuE6ELNS1_3repE0EEENS1_30default_config_static_selectorELNS0_4arch9wavefront6targetE1EEEvT1_.kd
    .uniform_work_group_size: 1
    .uses_dynamic_stack: false
    .vgpr_count:     0
    .vgpr_spill_count: 0
    .wavefront_size: 64
  - .agpr_count:     0
    .args:
      - .offset:         0
        .size:           40
        .value_kind:     by_value
    .group_segment_fixed_size: 0
    .kernarg_segment_align: 8
    .kernarg_segment_size: 40
    .language:       OpenCL C
    .language_version:
      - 2
      - 0
    .max_flat_workgroup_size: 256
    .name:           _ZN7rocprim17ROCPRIM_400000_NS6detail17trampoline_kernelINS0_14default_configENS1_20scan_config_selectorIxEEZZNS1_9scan_implILNS1_25lookback_scan_determinismE0ELb0ELb1ES3_N6thrust23THRUST_200600_302600_NS6detail15normal_iteratorINS9_10device_ptrIxEEEESE_xNS9_4plusIxEExEEDaPvRmT3_T4_T5_mT6_P12ihipStream_tbENKUlT_T0_E_clISt17integral_constantIbLb1EEST_IbLb0EEEEDaSP_SQ_EUlSP_E0_NS1_11comp_targetILNS1_3genE10ELNS1_11target_archE1201ELNS1_3gpuE5ELNS1_3repE0EEENS1_30default_config_static_selectorELNS0_4arch9wavefront6targetE1EEEvT1_
    .private_segment_fixed_size: 0
    .sgpr_count:     4
    .sgpr_spill_count: 0
    .symbol:         _ZN7rocprim17ROCPRIM_400000_NS6detail17trampoline_kernelINS0_14default_configENS1_20scan_config_selectorIxEEZZNS1_9scan_implILNS1_25lookback_scan_determinismE0ELb0ELb1ES3_N6thrust23THRUST_200600_302600_NS6detail15normal_iteratorINS9_10device_ptrIxEEEESE_xNS9_4plusIxEExEEDaPvRmT3_T4_T5_mT6_P12ihipStream_tbENKUlT_T0_E_clISt17integral_constantIbLb1EEST_IbLb0EEEEDaSP_SQ_EUlSP_E0_NS1_11comp_targetILNS1_3genE10ELNS1_11target_archE1201ELNS1_3gpuE5ELNS1_3repE0EEENS1_30default_config_static_selectorELNS0_4arch9wavefront6targetE1EEEvT1_.kd
    .uniform_work_group_size: 1
    .uses_dynamic_stack: false
    .vgpr_count:     0
    .vgpr_spill_count: 0
    .wavefront_size: 64
  - .agpr_count:     0
    .args:
      - .offset:         0
        .size:           40
        .value_kind:     by_value
    .group_segment_fixed_size: 0
    .kernarg_segment_align: 8
    .kernarg_segment_size: 40
    .language:       OpenCL C
    .language_version:
      - 2
      - 0
    .max_flat_workgroup_size: 256
    .name:           _ZN7rocprim17ROCPRIM_400000_NS6detail17trampoline_kernelINS0_14default_configENS1_20scan_config_selectorIxEEZZNS1_9scan_implILNS1_25lookback_scan_determinismE0ELb0ELb1ES3_N6thrust23THRUST_200600_302600_NS6detail15normal_iteratorINS9_10device_ptrIxEEEESE_xNS9_4plusIxEExEEDaPvRmT3_T4_T5_mT6_P12ihipStream_tbENKUlT_T0_E_clISt17integral_constantIbLb1EEST_IbLb0EEEEDaSP_SQ_EUlSP_E0_NS1_11comp_targetILNS1_3genE10ELNS1_11target_archE1200ELNS1_3gpuE4ELNS1_3repE0EEENS1_30default_config_static_selectorELNS0_4arch9wavefront6targetE1EEEvT1_
    .private_segment_fixed_size: 0
    .sgpr_count:     4
    .sgpr_spill_count: 0
    .symbol:         _ZN7rocprim17ROCPRIM_400000_NS6detail17trampoline_kernelINS0_14default_configENS1_20scan_config_selectorIxEEZZNS1_9scan_implILNS1_25lookback_scan_determinismE0ELb0ELb1ES3_N6thrust23THRUST_200600_302600_NS6detail15normal_iteratorINS9_10device_ptrIxEEEESE_xNS9_4plusIxEExEEDaPvRmT3_T4_T5_mT6_P12ihipStream_tbENKUlT_T0_E_clISt17integral_constantIbLb1EEST_IbLb0EEEEDaSP_SQ_EUlSP_E0_NS1_11comp_targetILNS1_3genE10ELNS1_11target_archE1200ELNS1_3gpuE4ELNS1_3repE0EEENS1_30default_config_static_selectorELNS0_4arch9wavefront6targetE1EEEvT1_.kd
    .uniform_work_group_size: 1
    .uses_dynamic_stack: false
    .vgpr_count:     0
    .vgpr_spill_count: 0
    .wavefront_size: 64
  - .agpr_count:     0
    .args:
      - .offset:         0
        .size:           40
        .value_kind:     by_value
    .group_segment_fixed_size: 0
    .kernarg_segment_align: 8
    .kernarg_segment_size: 40
    .language:       OpenCL C
    .language_version:
      - 2
      - 0
    .max_flat_workgroup_size: 256
    .name:           _ZN7rocprim17ROCPRIM_400000_NS6detail17trampoline_kernelINS0_14default_configENS1_20scan_config_selectorIxEEZZNS1_9scan_implILNS1_25lookback_scan_determinismE0ELb0ELb1ES3_N6thrust23THRUST_200600_302600_NS6detail15normal_iteratorINS9_10device_ptrIxEEEESE_xNS9_4plusIxEExEEDaPvRmT3_T4_T5_mT6_P12ihipStream_tbENKUlT_T0_E_clISt17integral_constantIbLb1EEST_IbLb0EEEEDaSP_SQ_EUlSP_E0_NS1_11comp_targetILNS1_3genE9ELNS1_11target_archE1100ELNS1_3gpuE3ELNS1_3repE0EEENS1_30default_config_static_selectorELNS0_4arch9wavefront6targetE1EEEvT1_
    .private_segment_fixed_size: 0
    .sgpr_count:     4
    .sgpr_spill_count: 0
    .symbol:         _ZN7rocprim17ROCPRIM_400000_NS6detail17trampoline_kernelINS0_14default_configENS1_20scan_config_selectorIxEEZZNS1_9scan_implILNS1_25lookback_scan_determinismE0ELb0ELb1ES3_N6thrust23THRUST_200600_302600_NS6detail15normal_iteratorINS9_10device_ptrIxEEEESE_xNS9_4plusIxEExEEDaPvRmT3_T4_T5_mT6_P12ihipStream_tbENKUlT_T0_E_clISt17integral_constantIbLb1EEST_IbLb0EEEEDaSP_SQ_EUlSP_E0_NS1_11comp_targetILNS1_3genE9ELNS1_11target_archE1100ELNS1_3gpuE3ELNS1_3repE0EEENS1_30default_config_static_selectorELNS0_4arch9wavefront6targetE1EEEvT1_.kd
    .uniform_work_group_size: 1
    .uses_dynamic_stack: false
    .vgpr_count:     0
    .vgpr_spill_count: 0
    .wavefront_size: 64
  - .agpr_count:     0
    .args:
      - .offset:         0
        .size:           40
        .value_kind:     by_value
    .group_segment_fixed_size: 0
    .kernarg_segment_align: 8
    .kernarg_segment_size: 40
    .language:       OpenCL C
    .language_version:
      - 2
      - 0
    .max_flat_workgroup_size: 256
    .name:           _ZN7rocprim17ROCPRIM_400000_NS6detail17trampoline_kernelINS0_14default_configENS1_20scan_config_selectorIxEEZZNS1_9scan_implILNS1_25lookback_scan_determinismE0ELb0ELb1ES3_N6thrust23THRUST_200600_302600_NS6detail15normal_iteratorINS9_10device_ptrIxEEEESE_xNS9_4plusIxEExEEDaPvRmT3_T4_T5_mT6_P12ihipStream_tbENKUlT_T0_E_clISt17integral_constantIbLb1EEST_IbLb0EEEEDaSP_SQ_EUlSP_E0_NS1_11comp_targetILNS1_3genE8ELNS1_11target_archE1030ELNS1_3gpuE2ELNS1_3repE0EEENS1_30default_config_static_selectorELNS0_4arch9wavefront6targetE1EEEvT1_
    .private_segment_fixed_size: 0
    .sgpr_count:     4
    .sgpr_spill_count: 0
    .symbol:         _ZN7rocprim17ROCPRIM_400000_NS6detail17trampoline_kernelINS0_14default_configENS1_20scan_config_selectorIxEEZZNS1_9scan_implILNS1_25lookback_scan_determinismE0ELb0ELb1ES3_N6thrust23THRUST_200600_302600_NS6detail15normal_iteratorINS9_10device_ptrIxEEEESE_xNS9_4plusIxEExEEDaPvRmT3_T4_T5_mT6_P12ihipStream_tbENKUlT_T0_E_clISt17integral_constantIbLb1EEST_IbLb0EEEEDaSP_SQ_EUlSP_E0_NS1_11comp_targetILNS1_3genE8ELNS1_11target_archE1030ELNS1_3gpuE2ELNS1_3repE0EEENS1_30default_config_static_selectorELNS0_4arch9wavefront6targetE1EEEvT1_.kd
    .uniform_work_group_size: 1
    .uses_dynamic_stack: false
    .vgpr_count:     0
    .vgpr_spill_count: 0
    .wavefront_size: 64
  - .agpr_count:     0
    .args:
      - .offset:         0
        .size:           104
        .value_kind:     by_value
    .group_segment_fixed_size: 0
    .kernarg_segment_align: 8
    .kernarg_segment_size: 104
    .language:       OpenCL C
    .language_version:
      - 2
      - 0
    .max_flat_workgroup_size: 256
    .name:           _ZN7rocprim17ROCPRIM_400000_NS6detail17trampoline_kernelINS0_14default_configENS1_20scan_config_selectorIxEEZZNS1_9scan_implILNS1_25lookback_scan_determinismE0ELb0ELb1ES3_N6thrust23THRUST_200600_302600_NS6detail15normal_iteratorINS9_10device_ptrIxEEEESE_xNS9_4plusIxEExEEDaPvRmT3_T4_T5_mT6_P12ihipStream_tbENKUlT_T0_E_clISt17integral_constantIbLb0EEST_IbLb1EEEEDaSP_SQ_EUlSP_E_NS1_11comp_targetILNS1_3genE0ELNS1_11target_archE4294967295ELNS1_3gpuE0ELNS1_3repE0EEENS1_30default_config_static_selectorELNS0_4arch9wavefront6targetE1EEEvT1_
    .private_segment_fixed_size: 0
    .sgpr_count:     4
    .sgpr_spill_count: 0
    .symbol:         _ZN7rocprim17ROCPRIM_400000_NS6detail17trampoline_kernelINS0_14default_configENS1_20scan_config_selectorIxEEZZNS1_9scan_implILNS1_25lookback_scan_determinismE0ELb0ELb1ES3_N6thrust23THRUST_200600_302600_NS6detail15normal_iteratorINS9_10device_ptrIxEEEESE_xNS9_4plusIxEExEEDaPvRmT3_T4_T5_mT6_P12ihipStream_tbENKUlT_T0_E_clISt17integral_constantIbLb0EEST_IbLb1EEEEDaSP_SQ_EUlSP_E_NS1_11comp_targetILNS1_3genE0ELNS1_11target_archE4294967295ELNS1_3gpuE0ELNS1_3repE0EEENS1_30default_config_static_selectorELNS0_4arch9wavefront6targetE1EEEvT1_.kd
    .uniform_work_group_size: 1
    .uses_dynamic_stack: false
    .vgpr_count:     0
    .vgpr_spill_count: 0
    .wavefront_size: 64
  - .agpr_count:     0
    .args:
      - .offset:         0
        .size:           104
        .value_kind:     by_value
    .group_segment_fixed_size: 0
    .kernarg_segment_align: 8
    .kernarg_segment_size: 104
    .language:       OpenCL C
    .language_version:
      - 2
      - 0
    .max_flat_workgroup_size: 256
    .name:           _ZN7rocprim17ROCPRIM_400000_NS6detail17trampoline_kernelINS0_14default_configENS1_20scan_config_selectorIxEEZZNS1_9scan_implILNS1_25lookback_scan_determinismE0ELb0ELb1ES3_N6thrust23THRUST_200600_302600_NS6detail15normal_iteratorINS9_10device_ptrIxEEEESE_xNS9_4plusIxEExEEDaPvRmT3_T4_T5_mT6_P12ihipStream_tbENKUlT_T0_E_clISt17integral_constantIbLb0EEST_IbLb1EEEEDaSP_SQ_EUlSP_E_NS1_11comp_targetILNS1_3genE5ELNS1_11target_archE942ELNS1_3gpuE9ELNS1_3repE0EEENS1_30default_config_static_selectorELNS0_4arch9wavefront6targetE1EEEvT1_
    .private_segment_fixed_size: 0
    .sgpr_count:     4
    .sgpr_spill_count: 0
    .symbol:         _ZN7rocprim17ROCPRIM_400000_NS6detail17trampoline_kernelINS0_14default_configENS1_20scan_config_selectorIxEEZZNS1_9scan_implILNS1_25lookback_scan_determinismE0ELb0ELb1ES3_N6thrust23THRUST_200600_302600_NS6detail15normal_iteratorINS9_10device_ptrIxEEEESE_xNS9_4plusIxEExEEDaPvRmT3_T4_T5_mT6_P12ihipStream_tbENKUlT_T0_E_clISt17integral_constantIbLb0EEST_IbLb1EEEEDaSP_SQ_EUlSP_E_NS1_11comp_targetILNS1_3genE5ELNS1_11target_archE942ELNS1_3gpuE9ELNS1_3repE0EEENS1_30default_config_static_selectorELNS0_4arch9wavefront6targetE1EEEvT1_.kd
    .uniform_work_group_size: 1
    .uses_dynamic_stack: false
    .vgpr_count:     0
    .vgpr_spill_count: 0
    .wavefront_size: 64
  - .agpr_count:     0
    .args:
      - .offset:         0
        .size:           104
        .value_kind:     by_value
    .group_segment_fixed_size: 7168
    .kernarg_segment_align: 8
    .kernarg_segment_size: 104
    .language:       OpenCL C
    .language_version:
      - 2
      - 0
    .max_flat_workgroup_size: 128
    .name:           _ZN7rocprim17ROCPRIM_400000_NS6detail17trampoline_kernelINS0_14default_configENS1_20scan_config_selectorIxEEZZNS1_9scan_implILNS1_25lookback_scan_determinismE0ELb0ELb1ES3_N6thrust23THRUST_200600_302600_NS6detail15normal_iteratorINS9_10device_ptrIxEEEESE_xNS9_4plusIxEExEEDaPvRmT3_T4_T5_mT6_P12ihipStream_tbENKUlT_T0_E_clISt17integral_constantIbLb0EEST_IbLb1EEEEDaSP_SQ_EUlSP_E_NS1_11comp_targetILNS1_3genE4ELNS1_11target_archE910ELNS1_3gpuE8ELNS1_3repE0EEENS1_30default_config_static_selectorELNS0_4arch9wavefront6targetE1EEEvT1_
    .private_segment_fixed_size: 0
    .sgpr_count:     42
    .sgpr_spill_count: 0
    .symbol:         _ZN7rocprim17ROCPRIM_400000_NS6detail17trampoline_kernelINS0_14default_configENS1_20scan_config_selectorIxEEZZNS1_9scan_implILNS1_25lookback_scan_determinismE0ELb0ELb1ES3_N6thrust23THRUST_200600_302600_NS6detail15normal_iteratorINS9_10device_ptrIxEEEESE_xNS9_4plusIxEExEEDaPvRmT3_T4_T5_mT6_P12ihipStream_tbENKUlT_T0_E_clISt17integral_constantIbLb0EEST_IbLb1EEEEDaSP_SQ_EUlSP_E_NS1_11comp_targetILNS1_3genE4ELNS1_11target_archE910ELNS1_3gpuE8ELNS1_3repE0EEENS1_30default_config_static_selectorELNS0_4arch9wavefront6targetE1EEEvT1_.kd
    .uniform_work_group_size: 1
    .uses_dynamic_stack: false
    .vgpr_count:     51
    .vgpr_spill_count: 0
    .wavefront_size: 64
  - .agpr_count:     0
    .args:
      - .offset:         0
        .size:           104
        .value_kind:     by_value
    .group_segment_fixed_size: 0
    .kernarg_segment_align: 8
    .kernarg_segment_size: 104
    .language:       OpenCL C
    .language_version:
      - 2
      - 0
    .max_flat_workgroup_size: 256
    .name:           _ZN7rocprim17ROCPRIM_400000_NS6detail17trampoline_kernelINS0_14default_configENS1_20scan_config_selectorIxEEZZNS1_9scan_implILNS1_25lookback_scan_determinismE0ELb0ELb1ES3_N6thrust23THRUST_200600_302600_NS6detail15normal_iteratorINS9_10device_ptrIxEEEESE_xNS9_4plusIxEExEEDaPvRmT3_T4_T5_mT6_P12ihipStream_tbENKUlT_T0_E_clISt17integral_constantIbLb0EEST_IbLb1EEEEDaSP_SQ_EUlSP_E_NS1_11comp_targetILNS1_3genE3ELNS1_11target_archE908ELNS1_3gpuE7ELNS1_3repE0EEENS1_30default_config_static_selectorELNS0_4arch9wavefront6targetE1EEEvT1_
    .private_segment_fixed_size: 0
    .sgpr_count:     4
    .sgpr_spill_count: 0
    .symbol:         _ZN7rocprim17ROCPRIM_400000_NS6detail17trampoline_kernelINS0_14default_configENS1_20scan_config_selectorIxEEZZNS1_9scan_implILNS1_25lookback_scan_determinismE0ELb0ELb1ES3_N6thrust23THRUST_200600_302600_NS6detail15normal_iteratorINS9_10device_ptrIxEEEESE_xNS9_4plusIxEExEEDaPvRmT3_T4_T5_mT6_P12ihipStream_tbENKUlT_T0_E_clISt17integral_constantIbLb0EEST_IbLb1EEEEDaSP_SQ_EUlSP_E_NS1_11comp_targetILNS1_3genE3ELNS1_11target_archE908ELNS1_3gpuE7ELNS1_3repE0EEENS1_30default_config_static_selectorELNS0_4arch9wavefront6targetE1EEEvT1_.kd
    .uniform_work_group_size: 1
    .uses_dynamic_stack: false
    .vgpr_count:     0
    .vgpr_spill_count: 0
    .wavefront_size: 64
  - .agpr_count:     0
    .args:
      - .offset:         0
        .size:           104
        .value_kind:     by_value
    .group_segment_fixed_size: 0
    .kernarg_segment_align: 8
    .kernarg_segment_size: 104
    .language:       OpenCL C
    .language_version:
      - 2
      - 0
    .max_flat_workgroup_size: 64
    .name:           _ZN7rocprim17ROCPRIM_400000_NS6detail17trampoline_kernelINS0_14default_configENS1_20scan_config_selectorIxEEZZNS1_9scan_implILNS1_25lookback_scan_determinismE0ELb0ELb1ES3_N6thrust23THRUST_200600_302600_NS6detail15normal_iteratorINS9_10device_ptrIxEEEESE_xNS9_4plusIxEExEEDaPvRmT3_T4_T5_mT6_P12ihipStream_tbENKUlT_T0_E_clISt17integral_constantIbLb0EEST_IbLb1EEEEDaSP_SQ_EUlSP_E_NS1_11comp_targetILNS1_3genE2ELNS1_11target_archE906ELNS1_3gpuE6ELNS1_3repE0EEENS1_30default_config_static_selectorELNS0_4arch9wavefront6targetE1EEEvT1_
    .private_segment_fixed_size: 0
    .sgpr_count:     4
    .sgpr_spill_count: 0
    .symbol:         _ZN7rocprim17ROCPRIM_400000_NS6detail17trampoline_kernelINS0_14default_configENS1_20scan_config_selectorIxEEZZNS1_9scan_implILNS1_25lookback_scan_determinismE0ELb0ELb1ES3_N6thrust23THRUST_200600_302600_NS6detail15normal_iteratorINS9_10device_ptrIxEEEESE_xNS9_4plusIxEExEEDaPvRmT3_T4_T5_mT6_P12ihipStream_tbENKUlT_T0_E_clISt17integral_constantIbLb0EEST_IbLb1EEEEDaSP_SQ_EUlSP_E_NS1_11comp_targetILNS1_3genE2ELNS1_11target_archE906ELNS1_3gpuE6ELNS1_3repE0EEENS1_30default_config_static_selectorELNS0_4arch9wavefront6targetE1EEEvT1_.kd
    .uniform_work_group_size: 1
    .uses_dynamic_stack: false
    .vgpr_count:     0
    .vgpr_spill_count: 0
    .wavefront_size: 64
  - .agpr_count:     0
    .args:
      - .offset:         0
        .size:           104
        .value_kind:     by_value
    .group_segment_fixed_size: 0
    .kernarg_segment_align: 8
    .kernarg_segment_size: 104
    .language:       OpenCL C
    .language_version:
      - 2
      - 0
    .max_flat_workgroup_size: 256
    .name:           _ZN7rocprim17ROCPRIM_400000_NS6detail17trampoline_kernelINS0_14default_configENS1_20scan_config_selectorIxEEZZNS1_9scan_implILNS1_25lookback_scan_determinismE0ELb0ELb1ES3_N6thrust23THRUST_200600_302600_NS6detail15normal_iteratorINS9_10device_ptrIxEEEESE_xNS9_4plusIxEExEEDaPvRmT3_T4_T5_mT6_P12ihipStream_tbENKUlT_T0_E_clISt17integral_constantIbLb0EEST_IbLb1EEEEDaSP_SQ_EUlSP_E_NS1_11comp_targetILNS1_3genE10ELNS1_11target_archE1201ELNS1_3gpuE5ELNS1_3repE0EEENS1_30default_config_static_selectorELNS0_4arch9wavefront6targetE1EEEvT1_
    .private_segment_fixed_size: 0
    .sgpr_count:     4
    .sgpr_spill_count: 0
    .symbol:         _ZN7rocprim17ROCPRIM_400000_NS6detail17trampoline_kernelINS0_14default_configENS1_20scan_config_selectorIxEEZZNS1_9scan_implILNS1_25lookback_scan_determinismE0ELb0ELb1ES3_N6thrust23THRUST_200600_302600_NS6detail15normal_iteratorINS9_10device_ptrIxEEEESE_xNS9_4plusIxEExEEDaPvRmT3_T4_T5_mT6_P12ihipStream_tbENKUlT_T0_E_clISt17integral_constantIbLb0EEST_IbLb1EEEEDaSP_SQ_EUlSP_E_NS1_11comp_targetILNS1_3genE10ELNS1_11target_archE1201ELNS1_3gpuE5ELNS1_3repE0EEENS1_30default_config_static_selectorELNS0_4arch9wavefront6targetE1EEEvT1_.kd
    .uniform_work_group_size: 1
    .uses_dynamic_stack: false
    .vgpr_count:     0
    .vgpr_spill_count: 0
    .wavefront_size: 64
  - .agpr_count:     0
    .args:
      - .offset:         0
        .size:           104
        .value_kind:     by_value
    .group_segment_fixed_size: 0
    .kernarg_segment_align: 8
    .kernarg_segment_size: 104
    .language:       OpenCL C
    .language_version:
      - 2
      - 0
    .max_flat_workgroup_size: 256
    .name:           _ZN7rocprim17ROCPRIM_400000_NS6detail17trampoline_kernelINS0_14default_configENS1_20scan_config_selectorIxEEZZNS1_9scan_implILNS1_25lookback_scan_determinismE0ELb0ELb1ES3_N6thrust23THRUST_200600_302600_NS6detail15normal_iteratorINS9_10device_ptrIxEEEESE_xNS9_4plusIxEExEEDaPvRmT3_T4_T5_mT6_P12ihipStream_tbENKUlT_T0_E_clISt17integral_constantIbLb0EEST_IbLb1EEEEDaSP_SQ_EUlSP_E_NS1_11comp_targetILNS1_3genE10ELNS1_11target_archE1200ELNS1_3gpuE4ELNS1_3repE0EEENS1_30default_config_static_selectorELNS0_4arch9wavefront6targetE1EEEvT1_
    .private_segment_fixed_size: 0
    .sgpr_count:     4
    .sgpr_spill_count: 0
    .symbol:         _ZN7rocprim17ROCPRIM_400000_NS6detail17trampoline_kernelINS0_14default_configENS1_20scan_config_selectorIxEEZZNS1_9scan_implILNS1_25lookback_scan_determinismE0ELb0ELb1ES3_N6thrust23THRUST_200600_302600_NS6detail15normal_iteratorINS9_10device_ptrIxEEEESE_xNS9_4plusIxEExEEDaPvRmT3_T4_T5_mT6_P12ihipStream_tbENKUlT_T0_E_clISt17integral_constantIbLb0EEST_IbLb1EEEEDaSP_SQ_EUlSP_E_NS1_11comp_targetILNS1_3genE10ELNS1_11target_archE1200ELNS1_3gpuE4ELNS1_3repE0EEENS1_30default_config_static_selectorELNS0_4arch9wavefront6targetE1EEEvT1_.kd
    .uniform_work_group_size: 1
    .uses_dynamic_stack: false
    .vgpr_count:     0
    .vgpr_spill_count: 0
    .wavefront_size: 64
  - .agpr_count:     0
    .args:
      - .offset:         0
        .size:           104
        .value_kind:     by_value
    .group_segment_fixed_size: 0
    .kernarg_segment_align: 8
    .kernarg_segment_size: 104
    .language:       OpenCL C
    .language_version:
      - 2
      - 0
    .max_flat_workgroup_size: 256
    .name:           _ZN7rocprim17ROCPRIM_400000_NS6detail17trampoline_kernelINS0_14default_configENS1_20scan_config_selectorIxEEZZNS1_9scan_implILNS1_25lookback_scan_determinismE0ELb0ELb1ES3_N6thrust23THRUST_200600_302600_NS6detail15normal_iteratorINS9_10device_ptrIxEEEESE_xNS9_4plusIxEExEEDaPvRmT3_T4_T5_mT6_P12ihipStream_tbENKUlT_T0_E_clISt17integral_constantIbLb0EEST_IbLb1EEEEDaSP_SQ_EUlSP_E_NS1_11comp_targetILNS1_3genE9ELNS1_11target_archE1100ELNS1_3gpuE3ELNS1_3repE0EEENS1_30default_config_static_selectorELNS0_4arch9wavefront6targetE1EEEvT1_
    .private_segment_fixed_size: 0
    .sgpr_count:     4
    .sgpr_spill_count: 0
    .symbol:         _ZN7rocprim17ROCPRIM_400000_NS6detail17trampoline_kernelINS0_14default_configENS1_20scan_config_selectorIxEEZZNS1_9scan_implILNS1_25lookback_scan_determinismE0ELb0ELb1ES3_N6thrust23THRUST_200600_302600_NS6detail15normal_iteratorINS9_10device_ptrIxEEEESE_xNS9_4plusIxEExEEDaPvRmT3_T4_T5_mT6_P12ihipStream_tbENKUlT_T0_E_clISt17integral_constantIbLb0EEST_IbLb1EEEEDaSP_SQ_EUlSP_E_NS1_11comp_targetILNS1_3genE9ELNS1_11target_archE1100ELNS1_3gpuE3ELNS1_3repE0EEENS1_30default_config_static_selectorELNS0_4arch9wavefront6targetE1EEEvT1_.kd
    .uniform_work_group_size: 1
    .uses_dynamic_stack: false
    .vgpr_count:     0
    .vgpr_spill_count: 0
    .wavefront_size: 64
  - .agpr_count:     0
    .args:
      - .offset:         0
        .size:           104
        .value_kind:     by_value
    .group_segment_fixed_size: 0
    .kernarg_segment_align: 8
    .kernarg_segment_size: 104
    .language:       OpenCL C
    .language_version:
      - 2
      - 0
    .max_flat_workgroup_size: 256
    .name:           _ZN7rocprim17ROCPRIM_400000_NS6detail17trampoline_kernelINS0_14default_configENS1_20scan_config_selectorIxEEZZNS1_9scan_implILNS1_25lookback_scan_determinismE0ELb0ELb1ES3_N6thrust23THRUST_200600_302600_NS6detail15normal_iteratorINS9_10device_ptrIxEEEESE_xNS9_4plusIxEExEEDaPvRmT3_T4_T5_mT6_P12ihipStream_tbENKUlT_T0_E_clISt17integral_constantIbLb0EEST_IbLb1EEEEDaSP_SQ_EUlSP_E_NS1_11comp_targetILNS1_3genE8ELNS1_11target_archE1030ELNS1_3gpuE2ELNS1_3repE0EEENS1_30default_config_static_selectorELNS0_4arch9wavefront6targetE1EEEvT1_
    .private_segment_fixed_size: 0
    .sgpr_count:     4
    .sgpr_spill_count: 0
    .symbol:         _ZN7rocprim17ROCPRIM_400000_NS6detail17trampoline_kernelINS0_14default_configENS1_20scan_config_selectorIxEEZZNS1_9scan_implILNS1_25lookback_scan_determinismE0ELb0ELb1ES3_N6thrust23THRUST_200600_302600_NS6detail15normal_iteratorINS9_10device_ptrIxEEEESE_xNS9_4plusIxEExEEDaPvRmT3_T4_T5_mT6_P12ihipStream_tbENKUlT_T0_E_clISt17integral_constantIbLb0EEST_IbLb1EEEEDaSP_SQ_EUlSP_E_NS1_11comp_targetILNS1_3genE8ELNS1_11target_archE1030ELNS1_3gpuE2ELNS1_3repE0EEENS1_30default_config_static_selectorELNS0_4arch9wavefront6targetE1EEEvT1_.kd
    .uniform_work_group_size: 1
    .uses_dynamic_stack: false
    .vgpr_count:     0
    .vgpr_spill_count: 0
    .wavefront_size: 64
  - .agpr_count:     0
    .args:
      - .offset:         0
        .size:           40
        .value_kind:     by_value
    .group_segment_fixed_size: 0
    .kernarg_segment_align: 8
    .kernarg_segment_size: 40
    .language:       OpenCL C
    .language_version:
      - 2
      - 0
    .max_flat_workgroup_size: 256
    .name:           _ZN7rocprim17ROCPRIM_400000_NS6detail17trampoline_kernelINS0_14default_configENS1_20scan_config_selectorIxEEZZNS1_9scan_implILNS1_25lookback_scan_determinismE0ELb0ELb1ES3_N6thrust23THRUST_200600_302600_NS6detail15normal_iteratorINS9_10device_ptrIxEEEESE_xNS9_4plusIxEExEEDaPvRmT3_T4_T5_mT6_P12ihipStream_tbENKUlT_T0_E_clISt17integral_constantIbLb0EEST_IbLb1EEEEDaSP_SQ_EUlSP_E0_NS1_11comp_targetILNS1_3genE0ELNS1_11target_archE4294967295ELNS1_3gpuE0ELNS1_3repE0EEENS1_30default_config_static_selectorELNS0_4arch9wavefront6targetE1EEEvT1_
    .private_segment_fixed_size: 0
    .sgpr_count:     4
    .sgpr_spill_count: 0
    .symbol:         _ZN7rocprim17ROCPRIM_400000_NS6detail17trampoline_kernelINS0_14default_configENS1_20scan_config_selectorIxEEZZNS1_9scan_implILNS1_25lookback_scan_determinismE0ELb0ELb1ES3_N6thrust23THRUST_200600_302600_NS6detail15normal_iteratorINS9_10device_ptrIxEEEESE_xNS9_4plusIxEExEEDaPvRmT3_T4_T5_mT6_P12ihipStream_tbENKUlT_T0_E_clISt17integral_constantIbLb0EEST_IbLb1EEEEDaSP_SQ_EUlSP_E0_NS1_11comp_targetILNS1_3genE0ELNS1_11target_archE4294967295ELNS1_3gpuE0ELNS1_3repE0EEENS1_30default_config_static_selectorELNS0_4arch9wavefront6targetE1EEEvT1_.kd
    .uniform_work_group_size: 1
    .uses_dynamic_stack: false
    .vgpr_count:     0
    .vgpr_spill_count: 0
    .wavefront_size: 64
  - .agpr_count:     0
    .args:
      - .offset:         0
        .size:           40
        .value_kind:     by_value
    .group_segment_fixed_size: 0
    .kernarg_segment_align: 8
    .kernarg_segment_size: 40
    .language:       OpenCL C
    .language_version:
      - 2
      - 0
    .max_flat_workgroup_size: 256
    .name:           _ZN7rocprim17ROCPRIM_400000_NS6detail17trampoline_kernelINS0_14default_configENS1_20scan_config_selectorIxEEZZNS1_9scan_implILNS1_25lookback_scan_determinismE0ELb0ELb1ES3_N6thrust23THRUST_200600_302600_NS6detail15normal_iteratorINS9_10device_ptrIxEEEESE_xNS9_4plusIxEExEEDaPvRmT3_T4_T5_mT6_P12ihipStream_tbENKUlT_T0_E_clISt17integral_constantIbLb0EEST_IbLb1EEEEDaSP_SQ_EUlSP_E0_NS1_11comp_targetILNS1_3genE5ELNS1_11target_archE942ELNS1_3gpuE9ELNS1_3repE0EEENS1_30default_config_static_selectorELNS0_4arch9wavefront6targetE1EEEvT1_
    .private_segment_fixed_size: 0
    .sgpr_count:     4
    .sgpr_spill_count: 0
    .symbol:         _ZN7rocprim17ROCPRIM_400000_NS6detail17trampoline_kernelINS0_14default_configENS1_20scan_config_selectorIxEEZZNS1_9scan_implILNS1_25lookback_scan_determinismE0ELb0ELb1ES3_N6thrust23THRUST_200600_302600_NS6detail15normal_iteratorINS9_10device_ptrIxEEEESE_xNS9_4plusIxEExEEDaPvRmT3_T4_T5_mT6_P12ihipStream_tbENKUlT_T0_E_clISt17integral_constantIbLb0EEST_IbLb1EEEEDaSP_SQ_EUlSP_E0_NS1_11comp_targetILNS1_3genE5ELNS1_11target_archE942ELNS1_3gpuE9ELNS1_3repE0EEENS1_30default_config_static_selectorELNS0_4arch9wavefront6targetE1EEEvT1_.kd
    .uniform_work_group_size: 1
    .uses_dynamic_stack: false
    .vgpr_count:     0
    .vgpr_spill_count: 0
    .wavefront_size: 64
  - .agpr_count:     0
    .args:
      - .offset:         0
        .size:           40
        .value_kind:     by_value
    .group_segment_fixed_size: 7168
    .kernarg_segment_align: 8
    .kernarg_segment_size: 40
    .language:       OpenCL C
    .language_version:
      - 2
      - 0
    .max_flat_workgroup_size: 128
    .name:           _ZN7rocprim17ROCPRIM_400000_NS6detail17trampoline_kernelINS0_14default_configENS1_20scan_config_selectorIxEEZZNS1_9scan_implILNS1_25lookback_scan_determinismE0ELb0ELb1ES3_N6thrust23THRUST_200600_302600_NS6detail15normal_iteratorINS9_10device_ptrIxEEEESE_xNS9_4plusIxEExEEDaPvRmT3_T4_T5_mT6_P12ihipStream_tbENKUlT_T0_E_clISt17integral_constantIbLb0EEST_IbLb1EEEEDaSP_SQ_EUlSP_E0_NS1_11comp_targetILNS1_3genE4ELNS1_11target_archE910ELNS1_3gpuE8ELNS1_3repE0EEENS1_30default_config_static_selectorELNS0_4arch9wavefront6targetE1EEEvT1_
    .private_segment_fixed_size: 0
    .sgpr_count:     28
    .sgpr_spill_count: 0
    .symbol:         _ZN7rocprim17ROCPRIM_400000_NS6detail17trampoline_kernelINS0_14default_configENS1_20scan_config_selectorIxEEZZNS1_9scan_implILNS1_25lookback_scan_determinismE0ELb0ELb1ES3_N6thrust23THRUST_200600_302600_NS6detail15normal_iteratorINS9_10device_ptrIxEEEESE_xNS9_4plusIxEExEEDaPvRmT3_T4_T5_mT6_P12ihipStream_tbENKUlT_T0_E_clISt17integral_constantIbLb0EEST_IbLb1EEEEDaSP_SQ_EUlSP_E0_NS1_11comp_targetILNS1_3genE4ELNS1_11target_archE910ELNS1_3gpuE8ELNS1_3repE0EEENS1_30default_config_static_selectorELNS0_4arch9wavefront6targetE1EEEvT1_.kd
    .uniform_work_group_size: 1
    .uses_dynamic_stack: false
    .vgpr_count:     39
    .vgpr_spill_count: 0
    .wavefront_size: 64
  - .agpr_count:     0
    .args:
      - .offset:         0
        .size:           40
        .value_kind:     by_value
    .group_segment_fixed_size: 0
    .kernarg_segment_align: 8
    .kernarg_segment_size: 40
    .language:       OpenCL C
    .language_version:
      - 2
      - 0
    .max_flat_workgroup_size: 256
    .name:           _ZN7rocprim17ROCPRIM_400000_NS6detail17trampoline_kernelINS0_14default_configENS1_20scan_config_selectorIxEEZZNS1_9scan_implILNS1_25lookback_scan_determinismE0ELb0ELb1ES3_N6thrust23THRUST_200600_302600_NS6detail15normal_iteratorINS9_10device_ptrIxEEEESE_xNS9_4plusIxEExEEDaPvRmT3_T4_T5_mT6_P12ihipStream_tbENKUlT_T0_E_clISt17integral_constantIbLb0EEST_IbLb1EEEEDaSP_SQ_EUlSP_E0_NS1_11comp_targetILNS1_3genE3ELNS1_11target_archE908ELNS1_3gpuE7ELNS1_3repE0EEENS1_30default_config_static_selectorELNS0_4arch9wavefront6targetE1EEEvT1_
    .private_segment_fixed_size: 0
    .sgpr_count:     4
    .sgpr_spill_count: 0
    .symbol:         _ZN7rocprim17ROCPRIM_400000_NS6detail17trampoline_kernelINS0_14default_configENS1_20scan_config_selectorIxEEZZNS1_9scan_implILNS1_25lookback_scan_determinismE0ELb0ELb1ES3_N6thrust23THRUST_200600_302600_NS6detail15normal_iteratorINS9_10device_ptrIxEEEESE_xNS9_4plusIxEExEEDaPvRmT3_T4_T5_mT6_P12ihipStream_tbENKUlT_T0_E_clISt17integral_constantIbLb0EEST_IbLb1EEEEDaSP_SQ_EUlSP_E0_NS1_11comp_targetILNS1_3genE3ELNS1_11target_archE908ELNS1_3gpuE7ELNS1_3repE0EEENS1_30default_config_static_selectorELNS0_4arch9wavefront6targetE1EEEvT1_.kd
    .uniform_work_group_size: 1
    .uses_dynamic_stack: false
    .vgpr_count:     0
    .vgpr_spill_count: 0
    .wavefront_size: 64
  - .agpr_count:     0
    .args:
      - .offset:         0
        .size:           40
        .value_kind:     by_value
    .group_segment_fixed_size: 0
    .kernarg_segment_align: 8
    .kernarg_segment_size: 40
    .language:       OpenCL C
    .language_version:
      - 2
      - 0
    .max_flat_workgroup_size: 64
    .name:           _ZN7rocprim17ROCPRIM_400000_NS6detail17trampoline_kernelINS0_14default_configENS1_20scan_config_selectorIxEEZZNS1_9scan_implILNS1_25lookback_scan_determinismE0ELb0ELb1ES3_N6thrust23THRUST_200600_302600_NS6detail15normal_iteratorINS9_10device_ptrIxEEEESE_xNS9_4plusIxEExEEDaPvRmT3_T4_T5_mT6_P12ihipStream_tbENKUlT_T0_E_clISt17integral_constantIbLb0EEST_IbLb1EEEEDaSP_SQ_EUlSP_E0_NS1_11comp_targetILNS1_3genE2ELNS1_11target_archE906ELNS1_3gpuE6ELNS1_3repE0EEENS1_30default_config_static_selectorELNS0_4arch9wavefront6targetE1EEEvT1_
    .private_segment_fixed_size: 0
    .sgpr_count:     4
    .sgpr_spill_count: 0
    .symbol:         _ZN7rocprim17ROCPRIM_400000_NS6detail17trampoline_kernelINS0_14default_configENS1_20scan_config_selectorIxEEZZNS1_9scan_implILNS1_25lookback_scan_determinismE0ELb0ELb1ES3_N6thrust23THRUST_200600_302600_NS6detail15normal_iteratorINS9_10device_ptrIxEEEESE_xNS9_4plusIxEExEEDaPvRmT3_T4_T5_mT6_P12ihipStream_tbENKUlT_T0_E_clISt17integral_constantIbLb0EEST_IbLb1EEEEDaSP_SQ_EUlSP_E0_NS1_11comp_targetILNS1_3genE2ELNS1_11target_archE906ELNS1_3gpuE6ELNS1_3repE0EEENS1_30default_config_static_selectorELNS0_4arch9wavefront6targetE1EEEvT1_.kd
    .uniform_work_group_size: 1
    .uses_dynamic_stack: false
    .vgpr_count:     0
    .vgpr_spill_count: 0
    .wavefront_size: 64
  - .agpr_count:     0
    .args:
      - .offset:         0
        .size:           40
        .value_kind:     by_value
    .group_segment_fixed_size: 0
    .kernarg_segment_align: 8
    .kernarg_segment_size: 40
    .language:       OpenCL C
    .language_version:
      - 2
      - 0
    .max_flat_workgroup_size: 256
    .name:           _ZN7rocprim17ROCPRIM_400000_NS6detail17trampoline_kernelINS0_14default_configENS1_20scan_config_selectorIxEEZZNS1_9scan_implILNS1_25lookback_scan_determinismE0ELb0ELb1ES3_N6thrust23THRUST_200600_302600_NS6detail15normal_iteratorINS9_10device_ptrIxEEEESE_xNS9_4plusIxEExEEDaPvRmT3_T4_T5_mT6_P12ihipStream_tbENKUlT_T0_E_clISt17integral_constantIbLb0EEST_IbLb1EEEEDaSP_SQ_EUlSP_E0_NS1_11comp_targetILNS1_3genE10ELNS1_11target_archE1201ELNS1_3gpuE5ELNS1_3repE0EEENS1_30default_config_static_selectorELNS0_4arch9wavefront6targetE1EEEvT1_
    .private_segment_fixed_size: 0
    .sgpr_count:     4
    .sgpr_spill_count: 0
    .symbol:         _ZN7rocprim17ROCPRIM_400000_NS6detail17trampoline_kernelINS0_14default_configENS1_20scan_config_selectorIxEEZZNS1_9scan_implILNS1_25lookback_scan_determinismE0ELb0ELb1ES3_N6thrust23THRUST_200600_302600_NS6detail15normal_iteratorINS9_10device_ptrIxEEEESE_xNS9_4plusIxEExEEDaPvRmT3_T4_T5_mT6_P12ihipStream_tbENKUlT_T0_E_clISt17integral_constantIbLb0EEST_IbLb1EEEEDaSP_SQ_EUlSP_E0_NS1_11comp_targetILNS1_3genE10ELNS1_11target_archE1201ELNS1_3gpuE5ELNS1_3repE0EEENS1_30default_config_static_selectorELNS0_4arch9wavefront6targetE1EEEvT1_.kd
    .uniform_work_group_size: 1
    .uses_dynamic_stack: false
    .vgpr_count:     0
    .vgpr_spill_count: 0
    .wavefront_size: 64
  - .agpr_count:     0
    .args:
      - .offset:         0
        .size:           40
        .value_kind:     by_value
    .group_segment_fixed_size: 0
    .kernarg_segment_align: 8
    .kernarg_segment_size: 40
    .language:       OpenCL C
    .language_version:
      - 2
      - 0
    .max_flat_workgroup_size: 256
    .name:           _ZN7rocprim17ROCPRIM_400000_NS6detail17trampoline_kernelINS0_14default_configENS1_20scan_config_selectorIxEEZZNS1_9scan_implILNS1_25lookback_scan_determinismE0ELb0ELb1ES3_N6thrust23THRUST_200600_302600_NS6detail15normal_iteratorINS9_10device_ptrIxEEEESE_xNS9_4plusIxEExEEDaPvRmT3_T4_T5_mT6_P12ihipStream_tbENKUlT_T0_E_clISt17integral_constantIbLb0EEST_IbLb1EEEEDaSP_SQ_EUlSP_E0_NS1_11comp_targetILNS1_3genE10ELNS1_11target_archE1200ELNS1_3gpuE4ELNS1_3repE0EEENS1_30default_config_static_selectorELNS0_4arch9wavefront6targetE1EEEvT1_
    .private_segment_fixed_size: 0
    .sgpr_count:     4
    .sgpr_spill_count: 0
    .symbol:         _ZN7rocprim17ROCPRIM_400000_NS6detail17trampoline_kernelINS0_14default_configENS1_20scan_config_selectorIxEEZZNS1_9scan_implILNS1_25lookback_scan_determinismE0ELb0ELb1ES3_N6thrust23THRUST_200600_302600_NS6detail15normal_iteratorINS9_10device_ptrIxEEEESE_xNS9_4plusIxEExEEDaPvRmT3_T4_T5_mT6_P12ihipStream_tbENKUlT_T0_E_clISt17integral_constantIbLb0EEST_IbLb1EEEEDaSP_SQ_EUlSP_E0_NS1_11comp_targetILNS1_3genE10ELNS1_11target_archE1200ELNS1_3gpuE4ELNS1_3repE0EEENS1_30default_config_static_selectorELNS0_4arch9wavefront6targetE1EEEvT1_.kd
    .uniform_work_group_size: 1
    .uses_dynamic_stack: false
    .vgpr_count:     0
    .vgpr_spill_count: 0
    .wavefront_size: 64
  - .agpr_count:     0
    .args:
      - .offset:         0
        .size:           40
        .value_kind:     by_value
    .group_segment_fixed_size: 0
    .kernarg_segment_align: 8
    .kernarg_segment_size: 40
    .language:       OpenCL C
    .language_version:
      - 2
      - 0
    .max_flat_workgroup_size: 256
    .name:           _ZN7rocprim17ROCPRIM_400000_NS6detail17trampoline_kernelINS0_14default_configENS1_20scan_config_selectorIxEEZZNS1_9scan_implILNS1_25lookback_scan_determinismE0ELb0ELb1ES3_N6thrust23THRUST_200600_302600_NS6detail15normal_iteratorINS9_10device_ptrIxEEEESE_xNS9_4plusIxEExEEDaPvRmT3_T4_T5_mT6_P12ihipStream_tbENKUlT_T0_E_clISt17integral_constantIbLb0EEST_IbLb1EEEEDaSP_SQ_EUlSP_E0_NS1_11comp_targetILNS1_3genE9ELNS1_11target_archE1100ELNS1_3gpuE3ELNS1_3repE0EEENS1_30default_config_static_selectorELNS0_4arch9wavefront6targetE1EEEvT1_
    .private_segment_fixed_size: 0
    .sgpr_count:     4
    .sgpr_spill_count: 0
    .symbol:         _ZN7rocprim17ROCPRIM_400000_NS6detail17trampoline_kernelINS0_14default_configENS1_20scan_config_selectorIxEEZZNS1_9scan_implILNS1_25lookback_scan_determinismE0ELb0ELb1ES3_N6thrust23THRUST_200600_302600_NS6detail15normal_iteratorINS9_10device_ptrIxEEEESE_xNS9_4plusIxEExEEDaPvRmT3_T4_T5_mT6_P12ihipStream_tbENKUlT_T0_E_clISt17integral_constantIbLb0EEST_IbLb1EEEEDaSP_SQ_EUlSP_E0_NS1_11comp_targetILNS1_3genE9ELNS1_11target_archE1100ELNS1_3gpuE3ELNS1_3repE0EEENS1_30default_config_static_selectorELNS0_4arch9wavefront6targetE1EEEvT1_.kd
    .uniform_work_group_size: 1
    .uses_dynamic_stack: false
    .vgpr_count:     0
    .vgpr_spill_count: 0
    .wavefront_size: 64
  - .agpr_count:     0
    .args:
      - .offset:         0
        .size:           40
        .value_kind:     by_value
    .group_segment_fixed_size: 0
    .kernarg_segment_align: 8
    .kernarg_segment_size: 40
    .language:       OpenCL C
    .language_version:
      - 2
      - 0
    .max_flat_workgroup_size: 256
    .name:           _ZN7rocprim17ROCPRIM_400000_NS6detail17trampoline_kernelINS0_14default_configENS1_20scan_config_selectorIxEEZZNS1_9scan_implILNS1_25lookback_scan_determinismE0ELb0ELb1ES3_N6thrust23THRUST_200600_302600_NS6detail15normal_iteratorINS9_10device_ptrIxEEEESE_xNS9_4plusIxEExEEDaPvRmT3_T4_T5_mT6_P12ihipStream_tbENKUlT_T0_E_clISt17integral_constantIbLb0EEST_IbLb1EEEEDaSP_SQ_EUlSP_E0_NS1_11comp_targetILNS1_3genE8ELNS1_11target_archE1030ELNS1_3gpuE2ELNS1_3repE0EEENS1_30default_config_static_selectorELNS0_4arch9wavefront6targetE1EEEvT1_
    .private_segment_fixed_size: 0
    .sgpr_count:     4
    .sgpr_spill_count: 0
    .symbol:         _ZN7rocprim17ROCPRIM_400000_NS6detail17trampoline_kernelINS0_14default_configENS1_20scan_config_selectorIxEEZZNS1_9scan_implILNS1_25lookback_scan_determinismE0ELb0ELb1ES3_N6thrust23THRUST_200600_302600_NS6detail15normal_iteratorINS9_10device_ptrIxEEEESE_xNS9_4plusIxEExEEDaPvRmT3_T4_T5_mT6_P12ihipStream_tbENKUlT_T0_E_clISt17integral_constantIbLb0EEST_IbLb1EEEEDaSP_SQ_EUlSP_E0_NS1_11comp_targetILNS1_3genE8ELNS1_11target_archE1030ELNS1_3gpuE2ELNS1_3repE0EEENS1_30default_config_static_selectorELNS0_4arch9wavefront6targetE1EEEvT1_.kd
    .uniform_work_group_size: 1
    .uses_dynamic_stack: false
    .vgpr_count:     0
    .vgpr_spill_count: 0
    .wavefront_size: 64
  - .agpr_count:     0
    .args:
      - .offset:         0
        .size:           104
        .value_kind:     by_value
    .group_segment_fixed_size: 0
    .kernarg_segment_align: 8
    .kernarg_segment_size: 104
    .language:       OpenCL C
    .language_version:
      - 2
      - 0
    .max_flat_workgroup_size: 128
    .name:           _ZN7rocprim17ROCPRIM_400000_NS6detail17trampoline_kernelINS0_14default_configENS1_22reduce_config_selectorIN6thrust23THRUST_200600_302600_NS5tupleIblNS6_9null_typeES8_S8_S8_S8_S8_S8_S8_EEEEZNS1_11reduce_implILb1ES3_NS6_12zip_iteratorINS7_INS6_11hip_rocprim26transform_input_iterator_tIbNSD_35transform_pair_of_input_iterators_tIbNS6_6detail15normal_iteratorINS6_10device_ptrIKiEEEESL_NS6_8equal_toIiEEEENSG_9not_fun_tINSD_8identityEEEEENSD_19counting_iterator_tIlEES8_S8_S8_S8_S8_S8_S8_S8_EEEEPS9_S9_NSD_9__find_if7functorIS9_EEEE10hipError_tPvRmT1_T2_T3_mT4_P12ihipStream_tbEUlT_E0_NS1_11comp_targetILNS1_3genE0ELNS1_11target_archE4294967295ELNS1_3gpuE0ELNS1_3repE0EEENS1_30default_config_static_selectorELNS0_4arch9wavefront6targetE1EEEvS14_
    .private_segment_fixed_size: 0
    .sgpr_count:     4
    .sgpr_spill_count: 0
    .symbol:         _ZN7rocprim17ROCPRIM_400000_NS6detail17trampoline_kernelINS0_14default_configENS1_22reduce_config_selectorIN6thrust23THRUST_200600_302600_NS5tupleIblNS6_9null_typeES8_S8_S8_S8_S8_S8_S8_EEEEZNS1_11reduce_implILb1ES3_NS6_12zip_iteratorINS7_INS6_11hip_rocprim26transform_input_iterator_tIbNSD_35transform_pair_of_input_iterators_tIbNS6_6detail15normal_iteratorINS6_10device_ptrIKiEEEESL_NS6_8equal_toIiEEEENSG_9not_fun_tINSD_8identityEEEEENSD_19counting_iterator_tIlEES8_S8_S8_S8_S8_S8_S8_S8_EEEEPS9_S9_NSD_9__find_if7functorIS9_EEEE10hipError_tPvRmT1_T2_T3_mT4_P12ihipStream_tbEUlT_E0_NS1_11comp_targetILNS1_3genE0ELNS1_11target_archE4294967295ELNS1_3gpuE0ELNS1_3repE0EEENS1_30default_config_static_selectorELNS0_4arch9wavefront6targetE1EEEvS14_.kd
    .uniform_work_group_size: 1
    .uses_dynamic_stack: false
    .vgpr_count:     0
    .vgpr_spill_count: 0
    .wavefront_size: 64
  - .agpr_count:     0
    .args:
      - .offset:         0
        .size:           104
        .value_kind:     by_value
    .group_segment_fixed_size: 0
    .kernarg_segment_align: 8
    .kernarg_segment_size: 104
    .language:       OpenCL C
    .language_version:
      - 2
      - 0
    .max_flat_workgroup_size: 256
    .name:           _ZN7rocprim17ROCPRIM_400000_NS6detail17trampoline_kernelINS0_14default_configENS1_22reduce_config_selectorIN6thrust23THRUST_200600_302600_NS5tupleIblNS6_9null_typeES8_S8_S8_S8_S8_S8_S8_EEEEZNS1_11reduce_implILb1ES3_NS6_12zip_iteratorINS7_INS6_11hip_rocprim26transform_input_iterator_tIbNSD_35transform_pair_of_input_iterators_tIbNS6_6detail15normal_iteratorINS6_10device_ptrIKiEEEESL_NS6_8equal_toIiEEEENSG_9not_fun_tINSD_8identityEEEEENSD_19counting_iterator_tIlEES8_S8_S8_S8_S8_S8_S8_S8_EEEEPS9_S9_NSD_9__find_if7functorIS9_EEEE10hipError_tPvRmT1_T2_T3_mT4_P12ihipStream_tbEUlT_E0_NS1_11comp_targetILNS1_3genE5ELNS1_11target_archE942ELNS1_3gpuE9ELNS1_3repE0EEENS1_30default_config_static_selectorELNS0_4arch9wavefront6targetE1EEEvS14_
    .private_segment_fixed_size: 0
    .sgpr_count:     4
    .sgpr_spill_count: 0
    .symbol:         _ZN7rocprim17ROCPRIM_400000_NS6detail17trampoline_kernelINS0_14default_configENS1_22reduce_config_selectorIN6thrust23THRUST_200600_302600_NS5tupleIblNS6_9null_typeES8_S8_S8_S8_S8_S8_S8_EEEEZNS1_11reduce_implILb1ES3_NS6_12zip_iteratorINS7_INS6_11hip_rocprim26transform_input_iterator_tIbNSD_35transform_pair_of_input_iterators_tIbNS6_6detail15normal_iteratorINS6_10device_ptrIKiEEEESL_NS6_8equal_toIiEEEENSG_9not_fun_tINSD_8identityEEEEENSD_19counting_iterator_tIlEES8_S8_S8_S8_S8_S8_S8_S8_EEEEPS9_S9_NSD_9__find_if7functorIS9_EEEE10hipError_tPvRmT1_T2_T3_mT4_P12ihipStream_tbEUlT_E0_NS1_11comp_targetILNS1_3genE5ELNS1_11target_archE942ELNS1_3gpuE9ELNS1_3repE0EEENS1_30default_config_static_selectorELNS0_4arch9wavefront6targetE1EEEvS14_.kd
    .uniform_work_group_size: 1
    .uses_dynamic_stack: false
    .vgpr_count:     0
    .vgpr_spill_count: 0
    .wavefront_size: 64
  - .agpr_count:     0
    .args:
      - .offset:         0
        .size:           104
        .value_kind:     by_value
    .group_segment_fixed_size: 128
    .kernarg_segment_align: 8
    .kernarg_segment_size: 104
    .language:       OpenCL C
    .language_version:
      - 2
      - 0
    .max_flat_workgroup_size: 256
    .name:           _ZN7rocprim17ROCPRIM_400000_NS6detail17trampoline_kernelINS0_14default_configENS1_22reduce_config_selectorIN6thrust23THRUST_200600_302600_NS5tupleIblNS6_9null_typeES8_S8_S8_S8_S8_S8_S8_EEEEZNS1_11reduce_implILb1ES3_NS6_12zip_iteratorINS7_INS6_11hip_rocprim26transform_input_iterator_tIbNSD_35transform_pair_of_input_iterators_tIbNS6_6detail15normal_iteratorINS6_10device_ptrIKiEEEESL_NS6_8equal_toIiEEEENSG_9not_fun_tINSD_8identityEEEEENSD_19counting_iterator_tIlEES8_S8_S8_S8_S8_S8_S8_S8_EEEEPS9_S9_NSD_9__find_if7functorIS9_EEEE10hipError_tPvRmT1_T2_T3_mT4_P12ihipStream_tbEUlT_E0_NS1_11comp_targetILNS1_3genE4ELNS1_11target_archE910ELNS1_3gpuE8ELNS1_3repE0EEENS1_30default_config_static_selectorELNS0_4arch9wavefront6targetE1EEEvS14_
    .private_segment_fixed_size: 0
    .sgpr_count:     32
    .sgpr_spill_count: 0
    .symbol:         _ZN7rocprim17ROCPRIM_400000_NS6detail17trampoline_kernelINS0_14default_configENS1_22reduce_config_selectorIN6thrust23THRUST_200600_302600_NS5tupleIblNS6_9null_typeES8_S8_S8_S8_S8_S8_S8_EEEEZNS1_11reduce_implILb1ES3_NS6_12zip_iteratorINS7_INS6_11hip_rocprim26transform_input_iterator_tIbNSD_35transform_pair_of_input_iterators_tIbNS6_6detail15normal_iteratorINS6_10device_ptrIKiEEEESL_NS6_8equal_toIiEEEENSG_9not_fun_tINSD_8identityEEEEENSD_19counting_iterator_tIlEES8_S8_S8_S8_S8_S8_S8_S8_EEEEPS9_S9_NSD_9__find_if7functorIS9_EEEE10hipError_tPvRmT1_T2_T3_mT4_P12ihipStream_tbEUlT_E0_NS1_11comp_targetILNS1_3genE4ELNS1_11target_archE910ELNS1_3gpuE8ELNS1_3repE0EEENS1_30default_config_static_selectorELNS0_4arch9wavefront6targetE1EEEvS14_.kd
    .uniform_work_group_size: 1
    .uses_dynamic_stack: false
    .vgpr_count:     12
    .vgpr_spill_count: 0
    .wavefront_size: 64
  - .agpr_count:     0
    .args:
      - .offset:         0
        .size:           104
        .value_kind:     by_value
    .group_segment_fixed_size: 0
    .kernarg_segment_align: 8
    .kernarg_segment_size: 104
    .language:       OpenCL C
    .language_version:
      - 2
      - 0
    .max_flat_workgroup_size: 128
    .name:           _ZN7rocprim17ROCPRIM_400000_NS6detail17trampoline_kernelINS0_14default_configENS1_22reduce_config_selectorIN6thrust23THRUST_200600_302600_NS5tupleIblNS6_9null_typeES8_S8_S8_S8_S8_S8_S8_EEEEZNS1_11reduce_implILb1ES3_NS6_12zip_iteratorINS7_INS6_11hip_rocprim26transform_input_iterator_tIbNSD_35transform_pair_of_input_iterators_tIbNS6_6detail15normal_iteratorINS6_10device_ptrIKiEEEESL_NS6_8equal_toIiEEEENSG_9not_fun_tINSD_8identityEEEEENSD_19counting_iterator_tIlEES8_S8_S8_S8_S8_S8_S8_S8_EEEEPS9_S9_NSD_9__find_if7functorIS9_EEEE10hipError_tPvRmT1_T2_T3_mT4_P12ihipStream_tbEUlT_E0_NS1_11comp_targetILNS1_3genE3ELNS1_11target_archE908ELNS1_3gpuE7ELNS1_3repE0EEENS1_30default_config_static_selectorELNS0_4arch9wavefront6targetE1EEEvS14_
    .private_segment_fixed_size: 0
    .sgpr_count:     4
    .sgpr_spill_count: 0
    .symbol:         _ZN7rocprim17ROCPRIM_400000_NS6detail17trampoline_kernelINS0_14default_configENS1_22reduce_config_selectorIN6thrust23THRUST_200600_302600_NS5tupleIblNS6_9null_typeES8_S8_S8_S8_S8_S8_S8_EEEEZNS1_11reduce_implILb1ES3_NS6_12zip_iteratorINS7_INS6_11hip_rocprim26transform_input_iterator_tIbNSD_35transform_pair_of_input_iterators_tIbNS6_6detail15normal_iteratorINS6_10device_ptrIKiEEEESL_NS6_8equal_toIiEEEENSG_9not_fun_tINSD_8identityEEEEENSD_19counting_iterator_tIlEES8_S8_S8_S8_S8_S8_S8_S8_EEEEPS9_S9_NSD_9__find_if7functorIS9_EEEE10hipError_tPvRmT1_T2_T3_mT4_P12ihipStream_tbEUlT_E0_NS1_11comp_targetILNS1_3genE3ELNS1_11target_archE908ELNS1_3gpuE7ELNS1_3repE0EEENS1_30default_config_static_selectorELNS0_4arch9wavefront6targetE1EEEvS14_.kd
    .uniform_work_group_size: 1
    .uses_dynamic_stack: false
    .vgpr_count:     0
    .vgpr_spill_count: 0
    .wavefront_size: 64
  - .agpr_count:     0
    .args:
      - .offset:         0
        .size:           104
        .value_kind:     by_value
    .group_segment_fixed_size: 0
    .kernarg_segment_align: 8
    .kernarg_segment_size: 104
    .language:       OpenCL C
    .language_version:
      - 2
      - 0
    .max_flat_workgroup_size: 128
    .name:           _ZN7rocprim17ROCPRIM_400000_NS6detail17trampoline_kernelINS0_14default_configENS1_22reduce_config_selectorIN6thrust23THRUST_200600_302600_NS5tupleIblNS6_9null_typeES8_S8_S8_S8_S8_S8_S8_EEEEZNS1_11reduce_implILb1ES3_NS6_12zip_iteratorINS7_INS6_11hip_rocprim26transform_input_iterator_tIbNSD_35transform_pair_of_input_iterators_tIbNS6_6detail15normal_iteratorINS6_10device_ptrIKiEEEESL_NS6_8equal_toIiEEEENSG_9not_fun_tINSD_8identityEEEEENSD_19counting_iterator_tIlEES8_S8_S8_S8_S8_S8_S8_S8_EEEEPS9_S9_NSD_9__find_if7functorIS9_EEEE10hipError_tPvRmT1_T2_T3_mT4_P12ihipStream_tbEUlT_E0_NS1_11comp_targetILNS1_3genE2ELNS1_11target_archE906ELNS1_3gpuE6ELNS1_3repE0EEENS1_30default_config_static_selectorELNS0_4arch9wavefront6targetE1EEEvS14_
    .private_segment_fixed_size: 0
    .sgpr_count:     4
    .sgpr_spill_count: 0
    .symbol:         _ZN7rocprim17ROCPRIM_400000_NS6detail17trampoline_kernelINS0_14default_configENS1_22reduce_config_selectorIN6thrust23THRUST_200600_302600_NS5tupleIblNS6_9null_typeES8_S8_S8_S8_S8_S8_S8_EEEEZNS1_11reduce_implILb1ES3_NS6_12zip_iteratorINS7_INS6_11hip_rocprim26transform_input_iterator_tIbNSD_35transform_pair_of_input_iterators_tIbNS6_6detail15normal_iteratorINS6_10device_ptrIKiEEEESL_NS6_8equal_toIiEEEENSG_9not_fun_tINSD_8identityEEEEENSD_19counting_iterator_tIlEES8_S8_S8_S8_S8_S8_S8_S8_EEEEPS9_S9_NSD_9__find_if7functorIS9_EEEE10hipError_tPvRmT1_T2_T3_mT4_P12ihipStream_tbEUlT_E0_NS1_11comp_targetILNS1_3genE2ELNS1_11target_archE906ELNS1_3gpuE6ELNS1_3repE0EEENS1_30default_config_static_selectorELNS0_4arch9wavefront6targetE1EEEvS14_.kd
    .uniform_work_group_size: 1
    .uses_dynamic_stack: false
    .vgpr_count:     0
    .vgpr_spill_count: 0
    .wavefront_size: 64
  - .agpr_count:     0
    .args:
      - .offset:         0
        .size:           104
        .value_kind:     by_value
    .group_segment_fixed_size: 0
    .kernarg_segment_align: 8
    .kernarg_segment_size: 104
    .language:       OpenCL C
    .language_version:
      - 2
      - 0
    .max_flat_workgroup_size: 256
    .name:           _ZN7rocprim17ROCPRIM_400000_NS6detail17trampoline_kernelINS0_14default_configENS1_22reduce_config_selectorIN6thrust23THRUST_200600_302600_NS5tupleIblNS6_9null_typeES8_S8_S8_S8_S8_S8_S8_EEEEZNS1_11reduce_implILb1ES3_NS6_12zip_iteratorINS7_INS6_11hip_rocprim26transform_input_iterator_tIbNSD_35transform_pair_of_input_iterators_tIbNS6_6detail15normal_iteratorINS6_10device_ptrIKiEEEESL_NS6_8equal_toIiEEEENSG_9not_fun_tINSD_8identityEEEEENSD_19counting_iterator_tIlEES8_S8_S8_S8_S8_S8_S8_S8_EEEEPS9_S9_NSD_9__find_if7functorIS9_EEEE10hipError_tPvRmT1_T2_T3_mT4_P12ihipStream_tbEUlT_E0_NS1_11comp_targetILNS1_3genE10ELNS1_11target_archE1201ELNS1_3gpuE5ELNS1_3repE0EEENS1_30default_config_static_selectorELNS0_4arch9wavefront6targetE1EEEvS14_
    .private_segment_fixed_size: 0
    .sgpr_count:     4
    .sgpr_spill_count: 0
    .symbol:         _ZN7rocprim17ROCPRIM_400000_NS6detail17trampoline_kernelINS0_14default_configENS1_22reduce_config_selectorIN6thrust23THRUST_200600_302600_NS5tupleIblNS6_9null_typeES8_S8_S8_S8_S8_S8_S8_EEEEZNS1_11reduce_implILb1ES3_NS6_12zip_iteratorINS7_INS6_11hip_rocprim26transform_input_iterator_tIbNSD_35transform_pair_of_input_iterators_tIbNS6_6detail15normal_iteratorINS6_10device_ptrIKiEEEESL_NS6_8equal_toIiEEEENSG_9not_fun_tINSD_8identityEEEEENSD_19counting_iterator_tIlEES8_S8_S8_S8_S8_S8_S8_S8_EEEEPS9_S9_NSD_9__find_if7functorIS9_EEEE10hipError_tPvRmT1_T2_T3_mT4_P12ihipStream_tbEUlT_E0_NS1_11comp_targetILNS1_3genE10ELNS1_11target_archE1201ELNS1_3gpuE5ELNS1_3repE0EEENS1_30default_config_static_selectorELNS0_4arch9wavefront6targetE1EEEvS14_.kd
    .uniform_work_group_size: 1
    .uses_dynamic_stack: false
    .vgpr_count:     0
    .vgpr_spill_count: 0
    .wavefront_size: 64
  - .agpr_count:     0
    .args:
      - .offset:         0
        .size:           104
        .value_kind:     by_value
    .group_segment_fixed_size: 0
    .kernarg_segment_align: 8
    .kernarg_segment_size: 104
    .language:       OpenCL C
    .language_version:
      - 2
      - 0
    .max_flat_workgroup_size: 256
    .name:           _ZN7rocprim17ROCPRIM_400000_NS6detail17trampoline_kernelINS0_14default_configENS1_22reduce_config_selectorIN6thrust23THRUST_200600_302600_NS5tupleIblNS6_9null_typeES8_S8_S8_S8_S8_S8_S8_EEEEZNS1_11reduce_implILb1ES3_NS6_12zip_iteratorINS7_INS6_11hip_rocprim26transform_input_iterator_tIbNSD_35transform_pair_of_input_iterators_tIbNS6_6detail15normal_iteratorINS6_10device_ptrIKiEEEESL_NS6_8equal_toIiEEEENSG_9not_fun_tINSD_8identityEEEEENSD_19counting_iterator_tIlEES8_S8_S8_S8_S8_S8_S8_S8_EEEEPS9_S9_NSD_9__find_if7functorIS9_EEEE10hipError_tPvRmT1_T2_T3_mT4_P12ihipStream_tbEUlT_E0_NS1_11comp_targetILNS1_3genE10ELNS1_11target_archE1200ELNS1_3gpuE4ELNS1_3repE0EEENS1_30default_config_static_selectorELNS0_4arch9wavefront6targetE1EEEvS14_
    .private_segment_fixed_size: 0
    .sgpr_count:     4
    .sgpr_spill_count: 0
    .symbol:         _ZN7rocprim17ROCPRIM_400000_NS6detail17trampoline_kernelINS0_14default_configENS1_22reduce_config_selectorIN6thrust23THRUST_200600_302600_NS5tupleIblNS6_9null_typeES8_S8_S8_S8_S8_S8_S8_EEEEZNS1_11reduce_implILb1ES3_NS6_12zip_iteratorINS7_INS6_11hip_rocprim26transform_input_iterator_tIbNSD_35transform_pair_of_input_iterators_tIbNS6_6detail15normal_iteratorINS6_10device_ptrIKiEEEESL_NS6_8equal_toIiEEEENSG_9not_fun_tINSD_8identityEEEEENSD_19counting_iterator_tIlEES8_S8_S8_S8_S8_S8_S8_S8_EEEEPS9_S9_NSD_9__find_if7functorIS9_EEEE10hipError_tPvRmT1_T2_T3_mT4_P12ihipStream_tbEUlT_E0_NS1_11comp_targetILNS1_3genE10ELNS1_11target_archE1200ELNS1_3gpuE4ELNS1_3repE0EEENS1_30default_config_static_selectorELNS0_4arch9wavefront6targetE1EEEvS14_.kd
    .uniform_work_group_size: 1
    .uses_dynamic_stack: false
    .vgpr_count:     0
    .vgpr_spill_count: 0
    .wavefront_size: 64
  - .agpr_count:     0
    .args:
      - .offset:         0
        .size:           104
        .value_kind:     by_value
    .group_segment_fixed_size: 0
    .kernarg_segment_align: 8
    .kernarg_segment_size: 104
    .language:       OpenCL C
    .language_version:
      - 2
      - 0
    .max_flat_workgroup_size: 256
    .name:           _ZN7rocprim17ROCPRIM_400000_NS6detail17trampoline_kernelINS0_14default_configENS1_22reduce_config_selectorIN6thrust23THRUST_200600_302600_NS5tupleIblNS6_9null_typeES8_S8_S8_S8_S8_S8_S8_EEEEZNS1_11reduce_implILb1ES3_NS6_12zip_iteratorINS7_INS6_11hip_rocprim26transform_input_iterator_tIbNSD_35transform_pair_of_input_iterators_tIbNS6_6detail15normal_iteratorINS6_10device_ptrIKiEEEESL_NS6_8equal_toIiEEEENSG_9not_fun_tINSD_8identityEEEEENSD_19counting_iterator_tIlEES8_S8_S8_S8_S8_S8_S8_S8_EEEEPS9_S9_NSD_9__find_if7functorIS9_EEEE10hipError_tPvRmT1_T2_T3_mT4_P12ihipStream_tbEUlT_E0_NS1_11comp_targetILNS1_3genE9ELNS1_11target_archE1100ELNS1_3gpuE3ELNS1_3repE0EEENS1_30default_config_static_selectorELNS0_4arch9wavefront6targetE1EEEvS14_
    .private_segment_fixed_size: 0
    .sgpr_count:     4
    .sgpr_spill_count: 0
    .symbol:         _ZN7rocprim17ROCPRIM_400000_NS6detail17trampoline_kernelINS0_14default_configENS1_22reduce_config_selectorIN6thrust23THRUST_200600_302600_NS5tupleIblNS6_9null_typeES8_S8_S8_S8_S8_S8_S8_EEEEZNS1_11reduce_implILb1ES3_NS6_12zip_iteratorINS7_INS6_11hip_rocprim26transform_input_iterator_tIbNSD_35transform_pair_of_input_iterators_tIbNS6_6detail15normal_iteratorINS6_10device_ptrIKiEEEESL_NS6_8equal_toIiEEEENSG_9not_fun_tINSD_8identityEEEEENSD_19counting_iterator_tIlEES8_S8_S8_S8_S8_S8_S8_S8_EEEEPS9_S9_NSD_9__find_if7functorIS9_EEEE10hipError_tPvRmT1_T2_T3_mT4_P12ihipStream_tbEUlT_E0_NS1_11comp_targetILNS1_3genE9ELNS1_11target_archE1100ELNS1_3gpuE3ELNS1_3repE0EEENS1_30default_config_static_selectorELNS0_4arch9wavefront6targetE1EEEvS14_.kd
    .uniform_work_group_size: 1
    .uses_dynamic_stack: false
    .vgpr_count:     0
    .vgpr_spill_count: 0
    .wavefront_size: 64
  - .agpr_count:     0
    .args:
      - .offset:         0
        .size:           104
        .value_kind:     by_value
    .group_segment_fixed_size: 0
    .kernarg_segment_align: 8
    .kernarg_segment_size: 104
    .language:       OpenCL C
    .language_version:
      - 2
      - 0
    .max_flat_workgroup_size: 256
    .name:           _ZN7rocprim17ROCPRIM_400000_NS6detail17trampoline_kernelINS0_14default_configENS1_22reduce_config_selectorIN6thrust23THRUST_200600_302600_NS5tupleIblNS6_9null_typeES8_S8_S8_S8_S8_S8_S8_EEEEZNS1_11reduce_implILb1ES3_NS6_12zip_iteratorINS7_INS6_11hip_rocprim26transform_input_iterator_tIbNSD_35transform_pair_of_input_iterators_tIbNS6_6detail15normal_iteratorINS6_10device_ptrIKiEEEESL_NS6_8equal_toIiEEEENSG_9not_fun_tINSD_8identityEEEEENSD_19counting_iterator_tIlEES8_S8_S8_S8_S8_S8_S8_S8_EEEEPS9_S9_NSD_9__find_if7functorIS9_EEEE10hipError_tPvRmT1_T2_T3_mT4_P12ihipStream_tbEUlT_E0_NS1_11comp_targetILNS1_3genE8ELNS1_11target_archE1030ELNS1_3gpuE2ELNS1_3repE0EEENS1_30default_config_static_selectorELNS0_4arch9wavefront6targetE1EEEvS14_
    .private_segment_fixed_size: 0
    .sgpr_count:     4
    .sgpr_spill_count: 0
    .symbol:         _ZN7rocprim17ROCPRIM_400000_NS6detail17trampoline_kernelINS0_14default_configENS1_22reduce_config_selectorIN6thrust23THRUST_200600_302600_NS5tupleIblNS6_9null_typeES8_S8_S8_S8_S8_S8_S8_EEEEZNS1_11reduce_implILb1ES3_NS6_12zip_iteratorINS7_INS6_11hip_rocprim26transform_input_iterator_tIbNSD_35transform_pair_of_input_iterators_tIbNS6_6detail15normal_iteratorINS6_10device_ptrIKiEEEESL_NS6_8equal_toIiEEEENSG_9not_fun_tINSD_8identityEEEEENSD_19counting_iterator_tIlEES8_S8_S8_S8_S8_S8_S8_S8_EEEEPS9_S9_NSD_9__find_if7functorIS9_EEEE10hipError_tPvRmT1_T2_T3_mT4_P12ihipStream_tbEUlT_E0_NS1_11comp_targetILNS1_3genE8ELNS1_11target_archE1030ELNS1_3gpuE2ELNS1_3repE0EEENS1_30default_config_static_selectorELNS0_4arch9wavefront6targetE1EEEvS14_.kd
    .uniform_work_group_size: 1
    .uses_dynamic_stack: false
    .vgpr_count:     0
    .vgpr_spill_count: 0
    .wavefront_size: 64
  - .agpr_count:     0
    .args:
      - .offset:         0
        .size:           88
        .value_kind:     by_value
    .group_segment_fixed_size: 0
    .kernarg_segment_align: 8
    .kernarg_segment_size: 88
    .language:       OpenCL C
    .language_version:
      - 2
      - 0
    .max_flat_workgroup_size: 128
    .name:           _ZN7rocprim17ROCPRIM_400000_NS6detail17trampoline_kernelINS0_14default_configENS1_22reduce_config_selectorIN6thrust23THRUST_200600_302600_NS5tupleIblNS6_9null_typeES8_S8_S8_S8_S8_S8_S8_EEEEZNS1_11reduce_implILb1ES3_NS6_12zip_iteratorINS7_INS6_11hip_rocprim26transform_input_iterator_tIbNSD_35transform_pair_of_input_iterators_tIbNS6_6detail15normal_iteratorINS6_10device_ptrIKiEEEESL_NS6_8equal_toIiEEEENSG_9not_fun_tINSD_8identityEEEEENSD_19counting_iterator_tIlEES8_S8_S8_S8_S8_S8_S8_S8_EEEEPS9_S9_NSD_9__find_if7functorIS9_EEEE10hipError_tPvRmT1_T2_T3_mT4_P12ihipStream_tbEUlT_E1_NS1_11comp_targetILNS1_3genE0ELNS1_11target_archE4294967295ELNS1_3gpuE0ELNS1_3repE0EEENS1_30default_config_static_selectorELNS0_4arch9wavefront6targetE1EEEvS14_
    .private_segment_fixed_size: 0
    .sgpr_count:     4
    .sgpr_spill_count: 0
    .symbol:         _ZN7rocprim17ROCPRIM_400000_NS6detail17trampoline_kernelINS0_14default_configENS1_22reduce_config_selectorIN6thrust23THRUST_200600_302600_NS5tupleIblNS6_9null_typeES8_S8_S8_S8_S8_S8_S8_EEEEZNS1_11reduce_implILb1ES3_NS6_12zip_iteratorINS7_INS6_11hip_rocprim26transform_input_iterator_tIbNSD_35transform_pair_of_input_iterators_tIbNS6_6detail15normal_iteratorINS6_10device_ptrIKiEEEESL_NS6_8equal_toIiEEEENSG_9not_fun_tINSD_8identityEEEEENSD_19counting_iterator_tIlEES8_S8_S8_S8_S8_S8_S8_S8_EEEEPS9_S9_NSD_9__find_if7functorIS9_EEEE10hipError_tPvRmT1_T2_T3_mT4_P12ihipStream_tbEUlT_E1_NS1_11comp_targetILNS1_3genE0ELNS1_11target_archE4294967295ELNS1_3gpuE0ELNS1_3repE0EEENS1_30default_config_static_selectorELNS0_4arch9wavefront6targetE1EEEvS14_.kd
    .uniform_work_group_size: 1
    .uses_dynamic_stack: false
    .vgpr_count:     0
    .vgpr_spill_count: 0
    .wavefront_size: 64
  - .agpr_count:     0
    .args:
      - .offset:         0
        .size:           88
        .value_kind:     by_value
    .group_segment_fixed_size: 0
    .kernarg_segment_align: 8
    .kernarg_segment_size: 88
    .language:       OpenCL C
    .language_version:
      - 2
      - 0
    .max_flat_workgroup_size: 256
    .name:           _ZN7rocprim17ROCPRIM_400000_NS6detail17trampoline_kernelINS0_14default_configENS1_22reduce_config_selectorIN6thrust23THRUST_200600_302600_NS5tupleIblNS6_9null_typeES8_S8_S8_S8_S8_S8_S8_EEEEZNS1_11reduce_implILb1ES3_NS6_12zip_iteratorINS7_INS6_11hip_rocprim26transform_input_iterator_tIbNSD_35transform_pair_of_input_iterators_tIbNS6_6detail15normal_iteratorINS6_10device_ptrIKiEEEESL_NS6_8equal_toIiEEEENSG_9not_fun_tINSD_8identityEEEEENSD_19counting_iterator_tIlEES8_S8_S8_S8_S8_S8_S8_S8_EEEEPS9_S9_NSD_9__find_if7functorIS9_EEEE10hipError_tPvRmT1_T2_T3_mT4_P12ihipStream_tbEUlT_E1_NS1_11comp_targetILNS1_3genE5ELNS1_11target_archE942ELNS1_3gpuE9ELNS1_3repE0EEENS1_30default_config_static_selectorELNS0_4arch9wavefront6targetE1EEEvS14_
    .private_segment_fixed_size: 0
    .sgpr_count:     4
    .sgpr_spill_count: 0
    .symbol:         _ZN7rocprim17ROCPRIM_400000_NS6detail17trampoline_kernelINS0_14default_configENS1_22reduce_config_selectorIN6thrust23THRUST_200600_302600_NS5tupleIblNS6_9null_typeES8_S8_S8_S8_S8_S8_S8_EEEEZNS1_11reduce_implILb1ES3_NS6_12zip_iteratorINS7_INS6_11hip_rocprim26transform_input_iterator_tIbNSD_35transform_pair_of_input_iterators_tIbNS6_6detail15normal_iteratorINS6_10device_ptrIKiEEEESL_NS6_8equal_toIiEEEENSG_9not_fun_tINSD_8identityEEEEENSD_19counting_iterator_tIlEES8_S8_S8_S8_S8_S8_S8_S8_EEEEPS9_S9_NSD_9__find_if7functorIS9_EEEE10hipError_tPvRmT1_T2_T3_mT4_P12ihipStream_tbEUlT_E1_NS1_11comp_targetILNS1_3genE5ELNS1_11target_archE942ELNS1_3gpuE9ELNS1_3repE0EEENS1_30default_config_static_selectorELNS0_4arch9wavefront6targetE1EEEvS14_.kd
    .uniform_work_group_size: 1
    .uses_dynamic_stack: false
    .vgpr_count:     0
    .vgpr_spill_count: 0
    .wavefront_size: 64
  - .agpr_count:     0
    .args:
      - .offset:         0
        .size:           88
        .value_kind:     by_value
    .group_segment_fixed_size: 320
    .kernarg_segment_align: 8
    .kernarg_segment_size: 88
    .language:       OpenCL C
    .language_version:
      - 2
      - 0
    .max_flat_workgroup_size: 256
    .name:           _ZN7rocprim17ROCPRIM_400000_NS6detail17trampoline_kernelINS0_14default_configENS1_22reduce_config_selectorIN6thrust23THRUST_200600_302600_NS5tupleIblNS6_9null_typeES8_S8_S8_S8_S8_S8_S8_EEEEZNS1_11reduce_implILb1ES3_NS6_12zip_iteratorINS7_INS6_11hip_rocprim26transform_input_iterator_tIbNSD_35transform_pair_of_input_iterators_tIbNS6_6detail15normal_iteratorINS6_10device_ptrIKiEEEESL_NS6_8equal_toIiEEEENSG_9not_fun_tINSD_8identityEEEEENSD_19counting_iterator_tIlEES8_S8_S8_S8_S8_S8_S8_S8_EEEEPS9_S9_NSD_9__find_if7functorIS9_EEEE10hipError_tPvRmT1_T2_T3_mT4_P12ihipStream_tbEUlT_E1_NS1_11comp_targetILNS1_3genE4ELNS1_11target_archE910ELNS1_3gpuE8ELNS1_3repE0EEENS1_30default_config_static_selectorELNS0_4arch9wavefront6targetE1EEEvS14_
    .private_segment_fixed_size: 0
    .sgpr_count:     44
    .sgpr_spill_count: 0
    .symbol:         _ZN7rocprim17ROCPRIM_400000_NS6detail17trampoline_kernelINS0_14default_configENS1_22reduce_config_selectorIN6thrust23THRUST_200600_302600_NS5tupleIblNS6_9null_typeES8_S8_S8_S8_S8_S8_S8_EEEEZNS1_11reduce_implILb1ES3_NS6_12zip_iteratorINS7_INS6_11hip_rocprim26transform_input_iterator_tIbNSD_35transform_pair_of_input_iterators_tIbNS6_6detail15normal_iteratorINS6_10device_ptrIKiEEEESL_NS6_8equal_toIiEEEENSG_9not_fun_tINSD_8identityEEEEENSD_19counting_iterator_tIlEES8_S8_S8_S8_S8_S8_S8_S8_EEEEPS9_S9_NSD_9__find_if7functorIS9_EEEE10hipError_tPvRmT1_T2_T3_mT4_P12ihipStream_tbEUlT_E1_NS1_11comp_targetILNS1_3genE4ELNS1_11target_archE910ELNS1_3gpuE8ELNS1_3repE0EEENS1_30default_config_static_selectorELNS0_4arch9wavefront6targetE1EEEvS14_.kd
    .uniform_work_group_size: 1
    .uses_dynamic_stack: false
    .vgpr_count:     27
    .vgpr_spill_count: 0
    .wavefront_size: 64
  - .agpr_count:     0
    .args:
      - .offset:         0
        .size:           88
        .value_kind:     by_value
    .group_segment_fixed_size: 0
    .kernarg_segment_align: 8
    .kernarg_segment_size: 88
    .language:       OpenCL C
    .language_version:
      - 2
      - 0
    .max_flat_workgroup_size: 128
    .name:           _ZN7rocprim17ROCPRIM_400000_NS6detail17trampoline_kernelINS0_14default_configENS1_22reduce_config_selectorIN6thrust23THRUST_200600_302600_NS5tupleIblNS6_9null_typeES8_S8_S8_S8_S8_S8_S8_EEEEZNS1_11reduce_implILb1ES3_NS6_12zip_iteratorINS7_INS6_11hip_rocprim26transform_input_iterator_tIbNSD_35transform_pair_of_input_iterators_tIbNS6_6detail15normal_iteratorINS6_10device_ptrIKiEEEESL_NS6_8equal_toIiEEEENSG_9not_fun_tINSD_8identityEEEEENSD_19counting_iterator_tIlEES8_S8_S8_S8_S8_S8_S8_S8_EEEEPS9_S9_NSD_9__find_if7functorIS9_EEEE10hipError_tPvRmT1_T2_T3_mT4_P12ihipStream_tbEUlT_E1_NS1_11comp_targetILNS1_3genE3ELNS1_11target_archE908ELNS1_3gpuE7ELNS1_3repE0EEENS1_30default_config_static_selectorELNS0_4arch9wavefront6targetE1EEEvS14_
    .private_segment_fixed_size: 0
    .sgpr_count:     4
    .sgpr_spill_count: 0
    .symbol:         _ZN7rocprim17ROCPRIM_400000_NS6detail17trampoline_kernelINS0_14default_configENS1_22reduce_config_selectorIN6thrust23THRUST_200600_302600_NS5tupleIblNS6_9null_typeES8_S8_S8_S8_S8_S8_S8_EEEEZNS1_11reduce_implILb1ES3_NS6_12zip_iteratorINS7_INS6_11hip_rocprim26transform_input_iterator_tIbNSD_35transform_pair_of_input_iterators_tIbNS6_6detail15normal_iteratorINS6_10device_ptrIKiEEEESL_NS6_8equal_toIiEEEENSG_9not_fun_tINSD_8identityEEEEENSD_19counting_iterator_tIlEES8_S8_S8_S8_S8_S8_S8_S8_EEEEPS9_S9_NSD_9__find_if7functorIS9_EEEE10hipError_tPvRmT1_T2_T3_mT4_P12ihipStream_tbEUlT_E1_NS1_11comp_targetILNS1_3genE3ELNS1_11target_archE908ELNS1_3gpuE7ELNS1_3repE0EEENS1_30default_config_static_selectorELNS0_4arch9wavefront6targetE1EEEvS14_.kd
    .uniform_work_group_size: 1
    .uses_dynamic_stack: false
    .vgpr_count:     0
    .vgpr_spill_count: 0
    .wavefront_size: 64
  - .agpr_count:     0
    .args:
      - .offset:         0
        .size:           88
        .value_kind:     by_value
    .group_segment_fixed_size: 0
    .kernarg_segment_align: 8
    .kernarg_segment_size: 88
    .language:       OpenCL C
    .language_version:
      - 2
      - 0
    .max_flat_workgroup_size: 128
    .name:           _ZN7rocprim17ROCPRIM_400000_NS6detail17trampoline_kernelINS0_14default_configENS1_22reduce_config_selectorIN6thrust23THRUST_200600_302600_NS5tupleIblNS6_9null_typeES8_S8_S8_S8_S8_S8_S8_EEEEZNS1_11reduce_implILb1ES3_NS6_12zip_iteratorINS7_INS6_11hip_rocprim26transform_input_iterator_tIbNSD_35transform_pair_of_input_iterators_tIbNS6_6detail15normal_iteratorINS6_10device_ptrIKiEEEESL_NS6_8equal_toIiEEEENSG_9not_fun_tINSD_8identityEEEEENSD_19counting_iterator_tIlEES8_S8_S8_S8_S8_S8_S8_S8_EEEEPS9_S9_NSD_9__find_if7functorIS9_EEEE10hipError_tPvRmT1_T2_T3_mT4_P12ihipStream_tbEUlT_E1_NS1_11comp_targetILNS1_3genE2ELNS1_11target_archE906ELNS1_3gpuE6ELNS1_3repE0EEENS1_30default_config_static_selectorELNS0_4arch9wavefront6targetE1EEEvS14_
    .private_segment_fixed_size: 0
    .sgpr_count:     4
    .sgpr_spill_count: 0
    .symbol:         _ZN7rocprim17ROCPRIM_400000_NS6detail17trampoline_kernelINS0_14default_configENS1_22reduce_config_selectorIN6thrust23THRUST_200600_302600_NS5tupleIblNS6_9null_typeES8_S8_S8_S8_S8_S8_S8_EEEEZNS1_11reduce_implILb1ES3_NS6_12zip_iteratorINS7_INS6_11hip_rocprim26transform_input_iterator_tIbNSD_35transform_pair_of_input_iterators_tIbNS6_6detail15normal_iteratorINS6_10device_ptrIKiEEEESL_NS6_8equal_toIiEEEENSG_9not_fun_tINSD_8identityEEEEENSD_19counting_iterator_tIlEES8_S8_S8_S8_S8_S8_S8_S8_EEEEPS9_S9_NSD_9__find_if7functorIS9_EEEE10hipError_tPvRmT1_T2_T3_mT4_P12ihipStream_tbEUlT_E1_NS1_11comp_targetILNS1_3genE2ELNS1_11target_archE906ELNS1_3gpuE6ELNS1_3repE0EEENS1_30default_config_static_selectorELNS0_4arch9wavefront6targetE1EEEvS14_.kd
    .uniform_work_group_size: 1
    .uses_dynamic_stack: false
    .vgpr_count:     0
    .vgpr_spill_count: 0
    .wavefront_size: 64
  - .agpr_count:     0
    .args:
      - .offset:         0
        .size:           88
        .value_kind:     by_value
    .group_segment_fixed_size: 0
    .kernarg_segment_align: 8
    .kernarg_segment_size: 88
    .language:       OpenCL C
    .language_version:
      - 2
      - 0
    .max_flat_workgroup_size: 256
    .name:           _ZN7rocprim17ROCPRIM_400000_NS6detail17trampoline_kernelINS0_14default_configENS1_22reduce_config_selectorIN6thrust23THRUST_200600_302600_NS5tupleIblNS6_9null_typeES8_S8_S8_S8_S8_S8_S8_EEEEZNS1_11reduce_implILb1ES3_NS6_12zip_iteratorINS7_INS6_11hip_rocprim26transform_input_iterator_tIbNSD_35transform_pair_of_input_iterators_tIbNS6_6detail15normal_iteratorINS6_10device_ptrIKiEEEESL_NS6_8equal_toIiEEEENSG_9not_fun_tINSD_8identityEEEEENSD_19counting_iterator_tIlEES8_S8_S8_S8_S8_S8_S8_S8_EEEEPS9_S9_NSD_9__find_if7functorIS9_EEEE10hipError_tPvRmT1_T2_T3_mT4_P12ihipStream_tbEUlT_E1_NS1_11comp_targetILNS1_3genE10ELNS1_11target_archE1201ELNS1_3gpuE5ELNS1_3repE0EEENS1_30default_config_static_selectorELNS0_4arch9wavefront6targetE1EEEvS14_
    .private_segment_fixed_size: 0
    .sgpr_count:     4
    .sgpr_spill_count: 0
    .symbol:         _ZN7rocprim17ROCPRIM_400000_NS6detail17trampoline_kernelINS0_14default_configENS1_22reduce_config_selectorIN6thrust23THRUST_200600_302600_NS5tupleIblNS6_9null_typeES8_S8_S8_S8_S8_S8_S8_EEEEZNS1_11reduce_implILb1ES3_NS6_12zip_iteratorINS7_INS6_11hip_rocprim26transform_input_iterator_tIbNSD_35transform_pair_of_input_iterators_tIbNS6_6detail15normal_iteratorINS6_10device_ptrIKiEEEESL_NS6_8equal_toIiEEEENSG_9not_fun_tINSD_8identityEEEEENSD_19counting_iterator_tIlEES8_S8_S8_S8_S8_S8_S8_S8_EEEEPS9_S9_NSD_9__find_if7functorIS9_EEEE10hipError_tPvRmT1_T2_T3_mT4_P12ihipStream_tbEUlT_E1_NS1_11comp_targetILNS1_3genE10ELNS1_11target_archE1201ELNS1_3gpuE5ELNS1_3repE0EEENS1_30default_config_static_selectorELNS0_4arch9wavefront6targetE1EEEvS14_.kd
    .uniform_work_group_size: 1
    .uses_dynamic_stack: false
    .vgpr_count:     0
    .vgpr_spill_count: 0
    .wavefront_size: 64
  - .agpr_count:     0
    .args:
      - .offset:         0
        .size:           88
        .value_kind:     by_value
    .group_segment_fixed_size: 0
    .kernarg_segment_align: 8
    .kernarg_segment_size: 88
    .language:       OpenCL C
    .language_version:
      - 2
      - 0
    .max_flat_workgroup_size: 256
    .name:           _ZN7rocprim17ROCPRIM_400000_NS6detail17trampoline_kernelINS0_14default_configENS1_22reduce_config_selectorIN6thrust23THRUST_200600_302600_NS5tupleIblNS6_9null_typeES8_S8_S8_S8_S8_S8_S8_EEEEZNS1_11reduce_implILb1ES3_NS6_12zip_iteratorINS7_INS6_11hip_rocprim26transform_input_iterator_tIbNSD_35transform_pair_of_input_iterators_tIbNS6_6detail15normal_iteratorINS6_10device_ptrIKiEEEESL_NS6_8equal_toIiEEEENSG_9not_fun_tINSD_8identityEEEEENSD_19counting_iterator_tIlEES8_S8_S8_S8_S8_S8_S8_S8_EEEEPS9_S9_NSD_9__find_if7functorIS9_EEEE10hipError_tPvRmT1_T2_T3_mT4_P12ihipStream_tbEUlT_E1_NS1_11comp_targetILNS1_3genE10ELNS1_11target_archE1200ELNS1_3gpuE4ELNS1_3repE0EEENS1_30default_config_static_selectorELNS0_4arch9wavefront6targetE1EEEvS14_
    .private_segment_fixed_size: 0
    .sgpr_count:     4
    .sgpr_spill_count: 0
    .symbol:         _ZN7rocprim17ROCPRIM_400000_NS6detail17trampoline_kernelINS0_14default_configENS1_22reduce_config_selectorIN6thrust23THRUST_200600_302600_NS5tupleIblNS6_9null_typeES8_S8_S8_S8_S8_S8_S8_EEEEZNS1_11reduce_implILb1ES3_NS6_12zip_iteratorINS7_INS6_11hip_rocprim26transform_input_iterator_tIbNSD_35transform_pair_of_input_iterators_tIbNS6_6detail15normal_iteratorINS6_10device_ptrIKiEEEESL_NS6_8equal_toIiEEEENSG_9not_fun_tINSD_8identityEEEEENSD_19counting_iterator_tIlEES8_S8_S8_S8_S8_S8_S8_S8_EEEEPS9_S9_NSD_9__find_if7functorIS9_EEEE10hipError_tPvRmT1_T2_T3_mT4_P12ihipStream_tbEUlT_E1_NS1_11comp_targetILNS1_3genE10ELNS1_11target_archE1200ELNS1_3gpuE4ELNS1_3repE0EEENS1_30default_config_static_selectorELNS0_4arch9wavefront6targetE1EEEvS14_.kd
    .uniform_work_group_size: 1
    .uses_dynamic_stack: false
    .vgpr_count:     0
    .vgpr_spill_count: 0
    .wavefront_size: 64
  - .agpr_count:     0
    .args:
      - .offset:         0
        .size:           88
        .value_kind:     by_value
    .group_segment_fixed_size: 0
    .kernarg_segment_align: 8
    .kernarg_segment_size: 88
    .language:       OpenCL C
    .language_version:
      - 2
      - 0
    .max_flat_workgroup_size: 256
    .name:           _ZN7rocprim17ROCPRIM_400000_NS6detail17trampoline_kernelINS0_14default_configENS1_22reduce_config_selectorIN6thrust23THRUST_200600_302600_NS5tupleIblNS6_9null_typeES8_S8_S8_S8_S8_S8_S8_EEEEZNS1_11reduce_implILb1ES3_NS6_12zip_iteratorINS7_INS6_11hip_rocprim26transform_input_iterator_tIbNSD_35transform_pair_of_input_iterators_tIbNS6_6detail15normal_iteratorINS6_10device_ptrIKiEEEESL_NS6_8equal_toIiEEEENSG_9not_fun_tINSD_8identityEEEEENSD_19counting_iterator_tIlEES8_S8_S8_S8_S8_S8_S8_S8_EEEEPS9_S9_NSD_9__find_if7functorIS9_EEEE10hipError_tPvRmT1_T2_T3_mT4_P12ihipStream_tbEUlT_E1_NS1_11comp_targetILNS1_3genE9ELNS1_11target_archE1100ELNS1_3gpuE3ELNS1_3repE0EEENS1_30default_config_static_selectorELNS0_4arch9wavefront6targetE1EEEvS14_
    .private_segment_fixed_size: 0
    .sgpr_count:     4
    .sgpr_spill_count: 0
    .symbol:         _ZN7rocprim17ROCPRIM_400000_NS6detail17trampoline_kernelINS0_14default_configENS1_22reduce_config_selectorIN6thrust23THRUST_200600_302600_NS5tupleIblNS6_9null_typeES8_S8_S8_S8_S8_S8_S8_EEEEZNS1_11reduce_implILb1ES3_NS6_12zip_iteratorINS7_INS6_11hip_rocprim26transform_input_iterator_tIbNSD_35transform_pair_of_input_iterators_tIbNS6_6detail15normal_iteratorINS6_10device_ptrIKiEEEESL_NS6_8equal_toIiEEEENSG_9not_fun_tINSD_8identityEEEEENSD_19counting_iterator_tIlEES8_S8_S8_S8_S8_S8_S8_S8_EEEEPS9_S9_NSD_9__find_if7functorIS9_EEEE10hipError_tPvRmT1_T2_T3_mT4_P12ihipStream_tbEUlT_E1_NS1_11comp_targetILNS1_3genE9ELNS1_11target_archE1100ELNS1_3gpuE3ELNS1_3repE0EEENS1_30default_config_static_selectorELNS0_4arch9wavefront6targetE1EEEvS14_.kd
    .uniform_work_group_size: 1
    .uses_dynamic_stack: false
    .vgpr_count:     0
    .vgpr_spill_count: 0
    .wavefront_size: 64
  - .agpr_count:     0
    .args:
      - .offset:         0
        .size:           88
        .value_kind:     by_value
    .group_segment_fixed_size: 0
    .kernarg_segment_align: 8
    .kernarg_segment_size: 88
    .language:       OpenCL C
    .language_version:
      - 2
      - 0
    .max_flat_workgroup_size: 256
    .name:           _ZN7rocprim17ROCPRIM_400000_NS6detail17trampoline_kernelINS0_14default_configENS1_22reduce_config_selectorIN6thrust23THRUST_200600_302600_NS5tupleIblNS6_9null_typeES8_S8_S8_S8_S8_S8_S8_EEEEZNS1_11reduce_implILb1ES3_NS6_12zip_iteratorINS7_INS6_11hip_rocprim26transform_input_iterator_tIbNSD_35transform_pair_of_input_iterators_tIbNS6_6detail15normal_iteratorINS6_10device_ptrIKiEEEESL_NS6_8equal_toIiEEEENSG_9not_fun_tINSD_8identityEEEEENSD_19counting_iterator_tIlEES8_S8_S8_S8_S8_S8_S8_S8_EEEEPS9_S9_NSD_9__find_if7functorIS9_EEEE10hipError_tPvRmT1_T2_T3_mT4_P12ihipStream_tbEUlT_E1_NS1_11comp_targetILNS1_3genE8ELNS1_11target_archE1030ELNS1_3gpuE2ELNS1_3repE0EEENS1_30default_config_static_selectorELNS0_4arch9wavefront6targetE1EEEvS14_
    .private_segment_fixed_size: 0
    .sgpr_count:     4
    .sgpr_spill_count: 0
    .symbol:         _ZN7rocprim17ROCPRIM_400000_NS6detail17trampoline_kernelINS0_14default_configENS1_22reduce_config_selectorIN6thrust23THRUST_200600_302600_NS5tupleIblNS6_9null_typeES8_S8_S8_S8_S8_S8_S8_EEEEZNS1_11reduce_implILb1ES3_NS6_12zip_iteratorINS7_INS6_11hip_rocprim26transform_input_iterator_tIbNSD_35transform_pair_of_input_iterators_tIbNS6_6detail15normal_iteratorINS6_10device_ptrIKiEEEESL_NS6_8equal_toIiEEEENSG_9not_fun_tINSD_8identityEEEEENSD_19counting_iterator_tIlEES8_S8_S8_S8_S8_S8_S8_S8_EEEEPS9_S9_NSD_9__find_if7functorIS9_EEEE10hipError_tPvRmT1_T2_T3_mT4_P12ihipStream_tbEUlT_E1_NS1_11comp_targetILNS1_3genE8ELNS1_11target_archE1030ELNS1_3gpuE2ELNS1_3repE0EEENS1_30default_config_static_selectorELNS0_4arch9wavefront6targetE1EEEvS14_.kd
    .uniform_work_group_size: 1
    .uses_dynamic_stack: false
    .vgpr_count:     0
    .vgpr_spill_count: 0
    .wavefront_size: 64
  - .agpr_count:     0
    .args:
      - .address_space:  global
        .offset:         0
        .size:           8
        .value_kind:     global_buffer
      - .offset:         8
        .size:           4
        .value_kind:     by_value
      - .offset:         12
        .size:           1
        .value_kind:     by_value
      - .offset:         16
        .size:           4
        .value_kind:     by_value
      - .address_space:  global
        .offset:         24
        .size:           8
        .value_kind:     global_buffer
      - .offset:         32
        .size:           4
        .value_kind:     hidden_block_count_x
      - .offset:         36
        .size:           4
        .value_kind:     hidden_block_count_y
      - .offset:         40
        .size:           4
        .value_kind:     hidden_block_count_z
      - .offset:         44
        .size:           2
        .value_kind:     hidden_group_size_x
      - .offset:         46
        .size:           2
        .value_kind:     hidden_group_size_y
      - .offset:         48
        .size:           2
        .value_kind:     hidden_group_size_z
      - .offset:         50
        .size:           2
        .value_kind:     hidden_remainder_x
      - .offset:         52
        .size:           2
        .value_kind:     hidden_remainder_y
      - .offset:         54
        .size:           2
        .value_kind:     hidden_remainder_z
      - .offset:         72
        .size:           8
        .value_kind:     hidden_global_offset_x
      - .offset:         80
        .size:           8
        .value_kind:     hidden_global_offset_y
      - .offset:         88
        .size:           8
        .value_kind:     hidden_global_offset_z
      - .offset:         96
        .size:           2
        .value_kind:     hidden_grid_dims
    .group_segment_fixed_size: 0
    .kernarg_segment_align: 8
    .kernarg_segment_size: 288
    .language:       OpenCL C
    .language_version:
      - 2
      - 0
    .max_flat_workgroup_size: 256
    .name:           _ZN7rocprim17ROCPRIM_400000_NS6detail31init_lookback_scan_state_kernelINS1_19lookback_scan_stateIiLb0ELb1EEENS1_16block_id_wrapperIjLb0EEEEEvT_jT0_jPNS7_10value_typeE
    .private_segment_fixed_size: 0
    .sgpr_count:     13
    .sgpr_spill_count: 0
    .symbol:         _ZN7rocprim17ROCPRIM_400000_NS6detail31init_lookback_scan_state_kernelINS1_19lookback_scan_stateIiLb0ELb1EEENS1_16block_id_wrapperIjLb0EEEEEvT_jT0_jPNS7_10value_typeE.kd
    .uniform_work_group_size: 1
    .uses_dynamic_stack: false
    .vgpr_count:     6
    .vgpr_spill_count: 0
    .wavefront_size: 64
  - .agpr_count:     0
    .args:
      - .offset:         0
        .size:           96
        .value_kind:     by_value
    .group_segment_fixed_size: 0
    .kernarg_segment_align: 8
    .kernarg_segment_size: 96
    .language:       OpenCL C
    .language_version:
      - 2
      - 0
    .max_flat_workgroup_size: 256
    .name:           _ZN7rocprim17ROCPRIM_400000_NS6detail17trampoline_kernelINS0_14default_configENS1_20scan_config_selectorIiEEZZNS1_9scan_implILNS1_25lookback_scan_determinismE0ELb0ELb0ES3_N6thrust23THRUST_200600_302600_NS6detail15normal_iteratorINS9_10device_ptrIiEEEESE_iNS9_4plusIiEEiEEDaPvRmT3_T4_T5_mT6_P12ihipStream_tbENKUlT_T0_E_clISt17integral_constantIbLb0EESU_EEDaSP_SQ_EUlSP_E_NS1_11comp_targetILNS1_3genE0ELNS1_11target_archE4294967295ELNS1_3gpuE0ELNS1_3repE0EEENS1_30default_config_static_selectorELNS0_4arch9wavefront6targetE1EEEvT1_
    .private_segment_fixed_size: 0
    .sgpr_count:     4
    .sgpr_spill_count: 0
    .symbol:         _ZN7rocprim17ROCPRIM_400000_NS6detail17trampoline_kernelINS0_14default_configENS1_20scan_config_selectorIiEEZZNS1_9scan_implILNS1_25lookback_scan_determinismE0ELb0ELb0ES3_N6thrust23THRUST_200600_302600_NS6detail15normal_iteratorINS9_10device_ptrIiEEEESE_iNS9_4plusIiEEiEEDaPvRmT3_T4_T5_mT6_P12ihipStream_tbENKUlT_T0_E_clISt17integral_constantIbLb0EESU_EEDaSP_SQ_EUlSP_E_NS1_11comp_targetILNS1_3genE0ELNS1_11target_archE4294967295ELNS1_3gpuE0ELNS1_3repE0EEENS1_30default_config_static_selectorELNS0_4arch9wavefront6targetE1EEEvT1_.kd
    .uniform_work_group_size: 1
    .uses_dynamic_stack: false
    .vgpr_count:     0
    .vgpr_spill_count: 0
    .wavefront_size: 64
  - .agpr_count:     0
    .args:
      - .offset:         0
        .size:           96
        .value_kind:     by_value
    .group_segment_fixed_size: 0
    .kernarg_segment_align: 8
    .kernarg_segment_size: 96
    .language:       OpenCL C
    .language_version:
      - 2
      - 0
    .max_flat_workgroup_size: 256
    .name:           _ZN7rocprim17ROCPRIM_400000_NS6detail17trampoline_kernelINS0_14default_configENS1_20scan_config_selectorIiEEZZNS1_9scan_implILNS1_25lookback_scan_determinismE0ELb0ELb0ES3_N6thrust23THRUST_200600_302600_NS6detail15normal_iteratorINS9_10device_ptrIiEEEESE_iNS9_4plusIiEEiEEDaPvRmT3_T4_T5_mT6_P12ihipStream_tbENKUlT_T0_E_clISt17integral_constantIbLb0EESU_EEDaSP_SQ_EUlSP_E_NS1_11comp_targetILNS1_3genE5ELNS1_11target_archE942ELNS1_3gpuE9ELNS1_3repE0EEENS1_30default_config_static_selectorELNS0_4arch9wavefront6targetE1EEEvT1_
    .private_segment_fixed_size: 0
    .sgpr_count:     4
    .sgpr_spill_count: 0
    .symbol:         _ZN7rocprim17ROCPRIM_400000_NS6detail17trampoline_kernelINS0_14default_configENS1_20scan_config_selectorIiEEZZNS1_9scan_implILNS1_25lookback_scan_determinismE0ELb0ELb0ES3_N6thrust23THRUST_200600_302600_NS6detail15normal_iteratorINS9_10device_ptrIiEEEESE_iNS9_4plusIiEEiEEDaPvRmT3_T4_T5_mT6_P12ihipStream_tbENKUlT_T0_E_clISt17integral_constantIbLb0EESU_EEDaSP_SQ_EUlSP_E_NS1_11comp_targetILNS1_3genE5ELNS1_11target_archE942ELNS1_3gpuE9ELNS1_3repE0EEENS1_30default_config_static_selectorELNS0_4arch9wavefront6targetE1EEEvT1_.kd
    .uniform_work_group_size: 1
    .uses_dynamic_stack: false
    .vgpr_count:     0
    .vgpr_spill_count: 0
    .wavefront_size: 64
  - .agpr_count:     0
    .args:
      - .offset:         0
        .size:           96
        .value_kind:     by_value
    .group_segment_fixed_size: 5120
    .kernarg_segment_align: 8
    .kernarg_segment_size: 96
    .language:       OpenCL C
    .language_version:
      - 2
      - 0
    .max_flat_workgroup_size: 128
    .name:           _ZN7rocprim17ROCPRIM_400000_NS6detail17trampoline_kernelINS0_14default_configENS1_20scan_config_selectorIiEEZZNS1_9scan_implILNS1_25lookback_scan_determinismE0ELb0ELb0ES3_N6thrust23THRUST_200600_302600_NS6detail15normal_iteratorINS9_10device_ptrIiEEEESE_iNS9_4plusIiEEiEEDaPvRmT3_T4_T5_mT6_P12ihipStream_tbENKUlT_T0_E_clISt17integral_constantIbLb0EESU_EEDaSP_SQ_EUlSP_E_NS1_11comp_targetILNS1_3genE4ELNS1_11target_archE910ELNS1_3gpuE8ELNS1_3repE0EEENS1_30default_config_static_selectorELNS0_4arch9wavefront6targetE1EEEvT1_
    .private_segment_fixed_size: 0
    .sgpr_count:     32
    .sgpr_spill_count: 0
    .symbol:         _ZN7rocprim17ROCPRIM_400000_NS6detail17trampoline_kernelINS0_14default_configENS1_20scan_config_selectorIiEEZZNS1_9scan_implILNS1_25lookback_scan_determinismE0ELb0ELb0ES3_N6thrust23THRUST_200600_302600_NS6detail15normal_iteratorINS9_10device_ptrIiEEEESE_iNS9_4plusIiEEiEEDaPvRmT3_T4_T5_mT6_P12ihipStream_tbENKUlT_T0_E_clISt17integral_constantIbLb0EESU_EEDaSP_SQ_EUlSP_E_NS1_11comp_targetILNS1_3genE4ELNS1_11target_archE910ELNS1_3gpuE8ELNS1_3repE0EEENS1_30default_config_static_selectorELNS0_4arch9wavefront6targetE1EEEvT1_.kd
    .uniform_work_group_size: 1
    .uses_dynamic_stack: false
    .vgpr_count:     40
    .vgpr_spill_count: 0
    .wavefront_size: 64
  - .agpr_count:     0
    .args:
      - .offset:         0
        .size:           96
        .value_kind:     by_value
    .group_segment_fixed_size: 0
    .kernarg_segment_align: 8
    .kernarg_segment_size: 96
    .language:       OpenCL C
    .language_version:
      - 2
      - 0
    .max_flat_workgroup_size: 256
    .name:           _ZN7rocprim17ROCPRIM_400000_NS6detail17trampoline_kernelINS0_14default_configENS1_20scan_config_selectorIiEEZZNS1_9scan_implILNS1_25lookback_scan_determinismE0ELb0ELb0ES3_N6thrust23THRUST_200600_302600_NS6detail15normal_iteratorINS9_10device_ptrIiEEEESE_iNS9_4plusIiEEiEEDaPvRmT3_T4_T5_mT6_P12ihipStream_tbENKUlT_T0_E_clISt17integral_constantIbLb0EESU_EEDaSP_SQ_EUlSP_E_NS1_11comp_targetILNS1_3genE3ELNS1_11target_archE908ELNS1_3gpuE7ELNS1_3repE0EEENS1_30default_config_static_selectorELNS0_4arch9wavefront6targetE1EEEvT1_
    .private_segment_fixed_size: 0
    .sgpr_count:     4
    .sgpr_spill_count: 0
    .symbol:         _ZN7rocprim17ROCPRIM_400000_NS6detail17trampoline_kernelINS0_14default_configENS1_20scan_config_selectorIiEEZZNS1_9scan_implILNS1_25lookback_scan_determinismE0ELb0ELb0ES3_N6thrust23THRUST_200600_302600_NS6detail15normal_iteratorINS9_10device_ptrIiEEEESE_iNS9_4plusIiEEiEEDaPvRmT3_T4_T5_mT6_P12ihipStream_tbENKUlT_T0_E_clISt17integral_constantIbLb0EESU_EEDaSP_SQ_EUlSP_E_NS1_11comp_targetILNS1_3genE3ELNS1_11target_archE908ELNS1_3gpuE7ELNS1_3repE0EEENS1_30default_config_static_selectorELNS0_4arch9wavefront6targetE1EEEvT1_.kd
    .uniform_work_group_size: 1
    .uses_dynamic_stack: false
    .vgpr_count:     0
    .vgpr_spill_count: 0
    .wavefront_size: 64
  - .agpr_count:     0
    .args:
      - .offset:         0
        .size:           96
        .value_kind:     by_value
    .group_segment_fixed_size: 0
    .kernarg_segment_align: 8
    .kernarg_segment_size: 96
    .language:       OpenCL C
    .language_version:
      - 2
      - 0
    .max_flat_workgroup_size: 256
    .name:           _ZN7rocprim17ROCPRIM_400000_NS6detail17trampoline_kernelINS0_14default_configENS1_20scan_config_selectorIiEEZZNS1_9scan_implILNS1_25lookback_scan_determinismE0ELb0ELb0ES3_N6thrust23THRUST_200600_302600_NS6detail15normal_iteratorINS9_10device_ptrIiEEEESE_iNS9_4plusIiEEiEEDaPvRmT3_T4_T5_mT6_P12ihipStream_tbENKUlT_T0_E_clISt17integral_constantIbLb0EESU_EEDaSP_SQ_EUlSP_E_NS1_11comp_targetILNS1_3genE2ELNS1_11target_archE906ELNS1_3gpuE6ELNS1_3repE0EEENS1_30default_config_static_selectorELNS0_4arch9wavefront6targetE1EEEvT1_
    .private_segment_fixed_size: 0
    .sgpr_count:     4
    .sgpr_spill_count: 0
    .symbol:         _ZN7rocprim17ROCPRIM_400000_NS6detail17trampoline_kernelINS0_14default_configENS1_20scan_config_selectorIiEEZZNS1_9scan_implILNS1_25lookback_scan_determinismE0ELb0ELb0ES3_N6thrust23THRUST_200600_302600_NS6detail15normal_iteratorINS9_10device_ptrIiEEEESE_iNS9_4plusIiEEiEEDaPvRmT3_T4_T5_mT6_P12ihipStream_tbENKUlT_T0_E_clISt17integral_constantIbLb0EESU_EEDaSP_SQ_EUlSP_E_NS1_11comp_targetILNS1_3genE2ELNS1_11target_archE906ELNS1_3gpuE6ELNS1_3repE0EEENS1_30default_config_static_selectorELNS0_4arch9wavefront6targetE1EEEvT1_.kd
    .uniform_work_group_size: 1
    .uses_dynamic_stack: false
    .vgpr_count:     0
    .vgpr_spill_count: 0
    .wavefront_size: 64
  - .agpr_count:     0
    .args:
      - .offset:         0
        .size:           96
        .value_kind:     by_value
    .group_segment_fixed_size: 0
    .kernarg_segment_align: 8
    .kernarg_segment_size: 96
    .language:       OpenCL C
    .language_version:
      - 2
      - 0
    .max_flat_workgroup_size: 256
    .name:           _ZN7rocprim17ROCPRIM_400000_NS6detail17trampoline_kernelINS0_14default_configENS1_20scan_config_selectorIiEEZZNS1_9scan_implILNS1_25lookback_scan_determinismE0ELb0ELb0ES3_N6thrust23THRUST_200600_302600_NS6detail15normal_iteratorINS9_10device_ptrIiEEEESE_iNS9_4plusIiEEiEEDaPvRmT3_T4_T5_mT6_P12ihipStream_tbENKUlT_T0_E_clISt17integral_constantIbLb0EESU_EEDaSP_SQ_EUlSP_E_NS1_11comp_targetILNS1_3genE10ELNS1_11target_archE1201ELNS1_3gpuE5ELNS1_3repE0EEENS1_30default_config_static_selectorELNS0_4arch9wavefront6targetE1EEEvT1_
    .private_segment_fixed_size: 0
    .sgpr_count:     4
    .sgpr_spill_count: 0
    .symbol:         _ZN7rocprim17ROCPRIM_400000_NS6detail17trampoline_kernelINS0_14default_configENS1_20scan_config_selectorIiEEZZNS1_9scan_implILNS1_25lookback_scan_determinismE0ELb0ELb0ES3_N6thrust23THRUST_200600_302600_NS6detail15normal_iteratorINS9_10device_ptrIiEEEESE_iNS9_4plusIiEEiEEDaPvRmT3_T4_T5_mT6_P12ihipStream_tbENKUlT_T0_E_clISt17integral_constantIbLb0EESU_EEDaSP_SQ_EUlSP_E_NS1_11comp_targetILNS1_3genE10ELNS1_11target_archE1201ELNS1_3gpuE5ELNS1_3repE0EEENS1_30default_config_static_selectorELNS0_4arch9wavefront6targetE1EEEvT1_.kd
    .uniform_work_group_size: 1
    .uses_dynamic_stack: false
    .vgpr_count:     0
    .vgpr_spill_count: 0
    .wavefront_size: 64
  - .agpr_count:     0
    .args:
      - .offset:         0
        .size:           96
        .value_kind:     by_value
    .group_segment_fixed_size: 0
    .kernarg_segment_align: 8
    .kernarg_segment_size: 96
    .language:       OpenCL C
    .language_version:
      - 2
      - 0
    .max_flat_workgroup_size: 256
    .name:           _ZN7rocprim17ROCPRIM_400000_NS6detail17trampoline_kernelINS0_14default_configENS1_20scan_config_selectorIiEEZZNS1_9scan_implILNS1_25lookback_scan_determinismE0ELb0ELb0ES3_N6thrust23THRUST_200600_302600_NS6detail15normal_iteratorINS9_10device_ptrIiEEEESE_iNS9_4plusIiEEiEEDaPvRmT3_T4_T5_mT6_P12ihipStream_tbENKUlT_T0_E_clISt17integral_constantIbLb0EESU_EEDaSP_SQ_EUlSP_E_NS1_11comp_targetILNS1_3genE10ELNS1_11target_archE1200ELNS1_3gpuE4ELNS1_3repE0EEENS1_30default_config_static_selectorELNS0_4arch9wavefront6targetE1EEEvT1_
    .private_segment_fixed_size: 0
    .sgpr_count:     4
    .sgpr_spill_count: 0
    .symbol:         _ZN7rocprim17ROCPRIM_400000_NS6detail17trampoline_kernelINS0_14default_configENS1_20scan_config_selectorIiEEZZNS1_9scan_implILNS1_25lookback_scan_determinismE0ELb0ELb0ES3_N6thrust23THRUST_200600_302600_NS6detail15normal_iteratorINS9_10device_ptrIiEEEESE_iNS9_4plusIiEEiEEDaPvRmT3_T4_T5_mT6_P12ihipStream_tbENKUlT_T0_E_clISt17integral_constantIbLb0EESU_EEDaSP_SQ_EUlSP_E_NS1_11comp_targetILNS1_3genE10ELNS1_11target_archE1200ELNS1_3gpuE4ELNS1_3repE0EEENS1_30default_config_static_selectorELNS0_4arch9wavefront6targetE1EEEvT1_.kd
    .uniform_work_group_size: 1
    .uses_dynamic_stack: false
    .vgpr_count:     0
    .vgpr_spill_count: 0
    .wavefront_size: 64
  - .agpr_count:     0
    .args:
      - .offset:         0
        .size:           96
        .value_kind:     by_value
    .group_segment_fixed_size: 0
    .kernarg_segment_align: 8
    .kernarg_segment_size: 96
    .language:       OpenCL C
    .language_version:
      - 2
      - 0
    .max_flat_workgroup_size: 256
    .name:           _ZN7rocprim17ROCPRIM_400000_NS6detail17trampoline_kernelINS0_14default_configENS1_20scan_config_selectorIiEEZZNS1_9scan_implILNS1_25lookback_scan_determinismE0ELb0ELb0ES3_N6thrust23THRUST_200600_302600_NS6detail15normal_iteratorINS9_10device_ptrIiEEEESE_iNS9_4plusIiEEiEEDaPvRmT3_T4_T5_mT6_P12ihipStream_tbENKUlT_T0_E_clISt17integral_constantIbLb0EESU_EEDaSP_SQ_EUlSP_E_NS1_11comp_targetILNS1_3genE9ELNS1_11target_archE1100ELNS1_3gpuE3ELNS1_3repE0EEENS1_30default_config_static_selectorELNS0_4arch9wavefront6targetE1EEEvT1_
    .private_segment_fixed_size: 0
    .sgpr_count:     4
    .sgpr_spill_count: 0
    .symbol:         _ZN7rocprim17ROCPRIM_400000_NS6detail17trampoline_kernelINS0_14default_configENS1_20scan_config_selectorIiEEZZNS1_9scan_implILNS1_25lookback_scan_determinismE0ELb0ELb0ES3_N6thrust23THRUST_200600_302600_NS6detail15normal_iteratorINS9_10device_ptrIiEEEESE_iNS9_4plusIiEEiEEDaPvRmT3_T4_T5_mT6_P12ihipStream_tbENKUlT_T0_E_clISt17integral_constantIbLb0EESU_EEDaSP_SQ_EUlSP_E_NS1_11comp_targetILNS1_3genE9ELNS1_11target_archE1100ELNS1_3gpuE3ELNS1_3repE0EEENS1_30default_config_static_selectorELNS0_4arch9wavefront6targetE1EEEvT1_.kd
    .uniform_work_group_size: 1
    .uses_dynamic_stack: false
    .vgpr_count:     0
    .vgpr_spill_count: 0
    .wavefront_size: 64
  - .agpr_count:     0
    .args:
      - .offset:         0
        .size:           96
        .value_kind:     by_value
    .group_segment_fixed_size: 0
    .kernarg_segment_align: 8
    .kernarg_segment_size: 96
    .language:       OpenCL C
    .language_version:
      - 2
      - 0
    .max_flat_workgroup_size: 64
    .name:           _ZN7rocprim17ROCPRIM_400000_NS6detail17trampoline_kernelINS0_14default_configENS1_20scan_config_selectorIiEEZZNS1_9scan_implILNS1_25lookback_scan_determinismE0ELb0ELb0ES3_N6thrust23THRUST_200600_302600_NS6detail15normal_iteratorINS9_10device_ptrIiEEEESE_iNS9_4plusIiEEiEEDaPvRmT3_T4_T5_mT6_P12ihipStream_tbENKUlT_T0_E_clISt17integral_constantIbLb0EESU_EEDaSP_SQ_EUlSP_E_NS1_11comp_targetILNS1_3genE8ELNS1_11target_archE1030ELNS1_3gpuE2ELNS1_3repE0EEENS1_30default_config_static_selectorELNS0_4arch9wavefront6targetE1EEEvT1_
    .private_segment_fixed_size: 0
    .sgpr_count:     4
    .sgpr_spill_count: 0
    .symbol:         _ZN7rocprim17ROCPRIM_400000_NS6detail17trampoline_kernelINS0_14default_configENS1_20scan_config_selectorIiEEZZNS1_9scan_implILNS1_25lookback_scan_determinismE0ELb0ELb0ES3_N6thrust23THRUST_200600_302600_NS6detail15normal_iteratorINS9_10device_ptrIiEEEESE_iNS9_4plusIiEEiEEDaPvRmT3_T4_T5_mT6_P12ihipStream_tbENKUlT_T0_E_clISt17integral_constantIbLb0EESU_EEDaSP_SQ_EUlSP_E_NS1_11comp_targetILNS1_3genE8ELNS1_11target_archE1030ELNS1_3gpuE2ELNS1_3repE0EEENS1_30default_config_static_selectorELNS0_4arch9wavefront6targetE1EEEvT1_.kd
    .uniform_work_group_size: 1
    .uses_dynamic_stack: false
    .vgpr_count:     0
    .vgpr_spill_count: 0
    .wavefront_size: 64
  - .agpr_count:     0
    .args:
      - .offset:         0
        .size:           40
        .value_kind:     by_value
    .group_segment_fixed_size: 0
    .kernarg_segment_align: 8
    .kernarg_segment_size: 40
    .language:       OpenCL C
    .language_version:
      - 2
      - 0
    .max_flat_workgroup_size: 128
    .name:           _ZN7rocprim17ROCPRIM_400000_NS6detail17trampoline_kernelINS0_14default_configENS1_25transform_config_selectorIiLb1EEEZNS1_14transform_implILb1ES3_S5_PiS7_NS0_8identityIiEEEE10hipError_tT2_T3_mT4_P12ihipStream_tbEUlT_E_NS1_11comp_targetILNS1_3genE0ELNS1_11target_archE4294967295ELNS1_3gpuE0ELNS1_3repE0EEENS1_30default_config_static_selectorELNS0_4arch9wavefront6targetE1EEEvT1_
    .private_segment_fixed_size: 0
    .sgpr_count:     4
    .sgpr_spill_count: 0
    .symbol:         _ZN7rocprim17ROCPRIM_400000_NS6detail17trampoline_kernelINS0_14default_configENS1_25transform_config_selectorIiLb1EEEZNS1_14transform_implILb1ES3_S5_PiS7_NS0_8identityIiEEEE10hipError_tT2_T3_mT4_P12ihipStream_tbEUlT_E_NS1_11comp_targetILNS1_3genE0ELNS1_11target_archE4294967295ELNS1_3gpuE0ELNS1_3repE0EEENS1_30default_config_static_selectorELNS0_4arch9wavefront6targetE1EEEvT1_.kd
    .uniform_work_group_size: 1
    .uses_dynamic_stack: false
    .vgpr_count:     0
    .vgpr_spill_count: 0
    .wavefront_size: 64
  - .agpr_count:     0
    .args:
      - .offset:         0
        .size:           40
        .value_kind:     by_value
    .group_segment_fixed_size: 0
    .kernarg_segment_align: 8
    .kernarg_segment_size: 40
    .language:       OpenCL C
    .language_version:
      - 2
      - 0
    .max_flat_workgroup_size: 1024
    .name:           _ZN7rocprim17ROCPRIM_400000_NS6detail17trampoline_kernelINS0_14default_configENS1_25transform_config_selectorIiLb1EEEZNS1_14transform_implILb1ES3_S5_PiS7_NS0_8identityIiEEEE10hipError_tT2_T3_mT4_P12ihipStream_tbEUlT_E_NS1_11comp_targetILNS1_3genE10ELNS1_11target_archE1201ELNS1_3gpuE5ELNS1_3repE0EEENS1_30default_config_static_selectorELNS0_4arch9wavefront6targetE1EEEvT1_
    .private_segment_fixed_size: 0
    .sgpr_count:     4
    .sgpr_spill_count: 0
    .symbol:         _ZN7rocprim17ROCPRIM_400000_NS6detail17trampoline_kernelINS0_14default_configENS1_25transform_config_selectorIiLb1EEEZNS1_14transform_implILb1ES3_S5_PiS7_NS0_8identityIiEEEE10hipError_tT2_T3_mT4_P12ihipStream_tbEUlT_E_NS1_11comp_targetILNS1_3genE10ELNS1_11target_archE1201ELNS1_3gpuE5ELNS1_3repE0EEENS1_30default_config_static_selectorELNS0_4arch9wavefront6targetE1EEEvT1_.kd
    .uniform_work_group_size: 1
    .uses_dynamic_stack: false
    .vgpr_count:     0
    .vgpr_spill_count: 0
    .wavefront_size: 64
  - .agpr_count:     0
    .args:
      - .offset:         0
        .size:           40
        .value_kind:     by_value
    .group_segment_fixed_size: 0
    .kernarg_segment_align: 8
    .kernarg_segment_size: 40
    .language:       OpenCL C
    .language_version:
      - 2
      - 0
    .max_flat_workgroup_size: 256
    .name:           _ZN7rocprim17ROCPRIM_400000_NS6detail17trampoline_kernelINS0_14default_configENS1_25transform_config_selectorIiLb1EEEZNS1_14transform_implILb1ES3_S5_PiS7_NS0_8identityIiEEEE10hipError_tT2_T3_mT4_P12ihipStream_tbEUlT_E_NS1_11comp_targetILNS1_3genE5ELNS1_11target_archE942ELNS1_3gpuE9ELNS1_3repE0EEENS1_30default_config_static_selectorELNS0_4arch9wavefront6targetE1EEEvT1_
    .private_segment_fixed_size: 0
    .sgpr_count:     4
    .sgpr_spill_count: 0
    .symbol:         _ZN7rocprim17ROCPRIM_400000_NS6detail17trampoline_kernelINS0_14default_configENS1_25transform_config_selectorIiLb1EEEZNS1_14transform_implILb1ES3_S5_PiS7_NS0_8identityIiEEEE10hipError_tT2_T3_mT4_P12ihipStream_tbEUlT_E_NS1_11comp_targetILNS1_3genE5ELNS1_11target_archE942ELNS1_3gpuE9ELNS1_3repE0EEENS1_30default_config_static_selectorELNS0_4arch9wavefront6targetE1EEEvT1_.kd
    .uniform_work_group_size: 1
    .uses_dynamic_stack: false
    .vgpr_count:     0
    .vgpr_spill_count: 0
    .wavefront_size: 64
  - .agpr_count:     0
    .args:
      - .offset:         0
        .size:           40
        .value_kind:     by_value
      - .offset:         40
        .size:           4
        .value_kind:     hidden_block_count_x
      - .offset:         44
        .size:           4
        .value_kind:     hidden_block_count_y
      - .offset:         48
        .size:           4
        .value_kind:     hidden_block_count_z
      - .offset:         52
        .size:           2
        .value_kind:     hidden_group_size_x
      - .offset:         54
        .size:           2
        .value_kind:     hidden_group_size_y
      - .offset:         56
        .size:           2
        .value_kind:     hidden_group_size_z
      - .offset:         58
        .size:           2
        .value_kind:     hidden_remainder_x
      - .offset:         60
        .size:           2
        .value_kind:     hidden_remainder_y
      - .offset:         62
        .size:           2
        .value_kind:     hidden_remainder_z
      - .offset:         80
        .size:           8
        .value_kind:     hidden_global_offset_x
      - .offset:         88
        .size:           8
        .value_kind:     hidden_global_offset_y
      - .offset:         96
        .size:           8
        .value_kind:     hidden_global_offset_z
      - .offset:         104
        .size:           2
        .value_kind:     hidden_grid_dims
    .group_segment_fixed_size: 0
    .kernarg_segment_align: 8
    .kernarg_segment_size: 296
    .language:       OpenCL C
    .language_version:
      - 2
      - 0
    .max_flat_workgroup_size: 1024
    .name:           _ZN7rocprim17ROCPRIM_400000_NS6detail17trampoline_kernelINS0_14default_configENS1_25transform_config_selectorIiLb1EEEZNS1_14transform_implILb1ES3_S5_PiS7_NS0_8identityIiEEEE10hipError_tT2_T3_mT4_P12ihipStream_tbEUlT_E_NS1_11comp_targetILNS1_3genE4ELNS1_11target_archE910ELNS1_3gpuE8ELNS1_3repE0EEENS1_30default_config_static_selectorELNS0_4arch9wavefront6targetE1EEEvT1_
    .private_segment_fixed_size: 0
    .sgpr_count:     20
    .sgpr_spill_count: 0
    .symbol:         _ZN7rocprim17ROCPRIM_400000_NS6detail17trampoline_kernelINS0_14default_configENS1_25transform_config_selectorIiLb1EEEZNS1_14transform_implILb1ES3_S5_PiS7_NS0_8identityIiEEEE10hipError_tT2_T3_mT4_P12ihipStream_tbEUlT_E_NS1_11comp_targetILNS1_3genE4ELNS1_11target_archE910ELNS1_3gpuE8ELNS1_3repE0EEENS1_30default_config_static_selectorELNS0_4arch9wavefront6targetE1EEEvT1_.kd
    .uniform_work_group_size: 1
    .uses_dynamic_stack: false
    .vgpr_count:     8
    .vgpr_spill_count: 0
    .wavefront_size: 64
  - .agpr_count:     0
    .args:
      - .offset:         0
        .size:           40
        .value_kind:     by_value
    .group_segment_fixed_size: 0
    .kernarg_segment_align: 8
    .kernarg_segment_size: 40
    .language:       OpenCL C
    .language_version:
      - 2
      - 0
    .max_flat_workgroup_size: 128
    .name:           _ZN7rocprim17ROCPRIM_400000_NS6detail17trampoline_kernelINS0_14default_configENS1_25transform_config_selectorIiLb1EEEZNS1_14transform_implILb1ES3_S5_PiS7_NS0_8identityIiEEEE10hipError_tT2_T3_mT4_P12ihipStream_tbEUlT_E_NS1_11comp_targetILNS1_3genE3ELNS1_11target_archE908ELNS1_3gpuE7ELNS1_3repE0EEENS1_30default_config_static_selectorELNS0_4arch9wavefront6targetE1EEEvT1_
    .private_segment_fixed_size: 0
    .sgpr_count:     4
    .sgpr_spill_count: 0
    .symbol:         _ZN7rocprim17ROCPRIM_400000_NS6detail17trampoline_kernelINS0_14default_configENS1_25transform_config_selectorIiLb1EEEZNS1_14transform_implILb1ES3_S5_PiS7_NS0_8identityIiEEEE10hipError_tT2_T3_mT4_P12ihipStream_tbEUlT_E_NS1_11comp_targetILNS1_3genE3ELNS1_11target_archE908ELNS1_3gpuE7ELNS1_3repE0EEENS1_30default_config_static_selectorELNS0_4arch9wavefront6targetE1EEEvT1_.kd
    .uniform_work_group_size: 1
    .uses_dynamic_stack: false
    .vgpr_count:     0
    .vgpr_spill_count: 0
    .wavefront_size: 64
  - .agpr_count:     0
    .args:
      - .offset:         0
        .size:           40
        .value_kind:     by_value
    .group_segment_fixed_size: 0
    .kernarg_segment_align: 8
    .kernarg_segment_size: 40
    .language:       OpenCL C
    .language_version:
      - 2
      - 0
    .max_flat_workgroup_size: 1024
    .name:           _ZN7rocprim17ROCPRIM_400000_NS6detail17trampoline_kernelINS0_14default_configENS1_25transform_config_selectorIiLb1EEEZNS1_14transform_implILb1ES3_S5_PiS7_NS0_8identityIiEEEE10hipError_tT2_T3_mT4_P12ihipStream_tbEUlT_E_NS1_11comp_targetILNS1_3genE2ELNS1_11target_archE906ELNS1_3gpuE6ELNS1_3repE0EEENS1_30default_config_static_selectorELNS0_4arch9wavefront6targetE1EEEvT1_
    .private_segment_fixed_size: 0
    .sgpr_count:     4
    .sgpr_spill_count: 0
    .symbol:         _ZN7rocprim17ROCPRIM_400000_NS6detail17trampoline_kernelINS0_14default_configENS1_25transform_config_selectorIiLb1EEEZNS1_14transform_implILb1ES3_S5_PiS7_NS0_8identityIiEEEE10hipError_tT2_T3_mT4_P12ihipStream_tbEUlT_E_NS1_11comp_targetILNS1_3genE2ELNS1_11target_archE906ELNS1_3gpuE6ELNS1_3repE0EEENS1_30default_config_static_selectorELNS0_4arch9wavefront6targetE1EEEvT1_.kd
    .uniform_work_group_size: 1
    .uses_dynamic_stack: false
    .vgpr_count:     0
    .vgpr_spill_count: 0
    .wavefront_size: 64
  - .agpr_count:     0
    .args:
      - .offset:         0
        .size:           40
        .value_kind:     by_value
    .group_segment_fixed_size: 0
    .kernarg_segment_align: 8
    .kernarg_segment_size: 40
    .language:       OpenCL C
    .language_version:
      - 2
      - 0
    .max_flat_workgroup_size: 1024
    .name:           _ZN7rocprim17ROCPRIM_400000_NS6detail17trampoline_kernelINS0_14default_configENS1_25transform_config_selectorIiLb1EEEZNS1_14transform_implILb1ES3_S5_PiS7_NS0_8identityIiEEEE10hipError_tT2_T3_mT4_P12ihipStream_tbEUlT_E_NS1_11comp_targetILNS1_3genE9ELNS1_11target_archE1100ELNS1_3gpuE3ELNS1_3repE0EEENS1_30default_config_static_selectorELNS0_4arch9wavefront6targetE1EEEvT1_
    .private_segment_fixed_size: 0
    .sgpr_count:     4
    .sgpr_spill_count: 0
    .symbol:         _ZN7rocprim17ROCPRIM_400000_NS6detail17trampoline_kernelINS0_14default_configENS1_25transform_config_selectorIiLb1EEEZNS1_14transform_implILb1ES3_S5_PiS7_NS0_8identityIiEEEE10hipError_tT2_T3_mT4_P12ihipStream_tbEUlT_E_NS1_11comp_targetILNS1_3genE9ELNS1_11target_archE1100ELNS1_3gpuE3ELNS1_3repE0EEENS1_30default_config_static_selectorELNS0_4arch9wavefront6targetE1EEEvT1_.kd
    .uniform_work_group_size: 1
    .uses_dynamic_stack: false
    .vgpr_count:     0
    .vgpr_spill_count: 0
    .wavefront_size: 64
  - .agpr_count:     0
    .args:
      - .offset:         0
        .size:           40
        .value_kind:     by_value
    .group_segment_fixed_size: 0
    .kernarg_segment_align: 8
    .kernarg_segment_size: 40
    .language:       OpenCL C
    .language_version:
      - 2
      - 0
    .max_flat_workgroup_size: 1024
    .name:           _ZN7rocprim17ROCPRIM_400000_NS6detail17trampoline_kernelINS0_14default_configENS1_25transform_config_selectorIiLb1EEEZNS1_14transform_implILb1ES3_S5_PiS7_NS0_8identityIiEEEE10hipError_tT2_T3_mT4_P12ihipStream_tbEUlT_E_NS1_11comp_targetILNS1_3genE8ELNS1_11target_archE1030ELNS1_3gpuE2ELNS1_3repE0EEENS1_30default_config_static_selectorELNS0_4arch9wavefront6targetE1EEEvT1_
    .private_segment_fixed_size: 0
    .sgpr_count:     4
    .sgpr_spill_count: 0
    .symbol:         _ZN7rocprim17ROCPRIM_400000_NS6detail17trampoline_kernelINS0_14default_configENS1_25transform_config_selectorIiLb1EEEZNS1_14transform_implILb1ES3_S5_PiS7_NS0_8identityIiEEEE10hipError_tT2_T3_mT4_P12ihipStream_tbEUlT_E_NS1_11comp_targetILNS1_3genE8ELNS1_11target_archE1030ELNS1_3gpuE2ELNS1_3repE0EEENS1_30default_config_static_selectorELNS0_4arch9wavefront6targetE1EEEvT1_.kd
    .uniform_work_group_size: 1
    .uses_dynamic_stack: false
    .vgpr_count:     0
    .vgpr_spill_count: 0
    .wavefront_size: 64
  - .agpr_count:     0
    .args:
      - .offset:         0
        .size:           32
        .value_kind:     by_value
    .group_segment_fixed_size: 0
    .kernarg_segment_align: 8
    .kernarg_segment_size: 32
    .language:       OpenCL C
    .language_version:
      - 2
      - 0
    .max_flat_workgroup_size: 256
    .name:           _ZN7rocprim17ROCPRIM_400000_NS6detail17trampoline_kernelINS0_14default_configENS1_20scan_config_selectorIiEEZZNS1_9scan_implILNS1_25lookback_scan_determinismE0ELb0ELb0ES3_N6thrust23THRUST_200600_302600_NS6detail15normal_iteratorINS9_10device_ptrIiEEEESE_iNS9_4plusIiEEiEEDaPvRmT3_T4_T5_mT6_P12ihipStream_tbENKUlT_T0_E_clISt17integral_constantIbLb0EESU_EEDaSP_SQ_EUlSP_E0_NS1_11comp_targetILNS1_3genE0ELNS1_11target_archE4294967295ELNS1_3gpuE0ELNS1_3repE0EEENS1_30default_config_static_selectorELNS0_4arch9wavefront6targetE1EEEvT1_
    .private_segment_fixed_size: 0
    .sgpr_count:     4
    .sgpr_spill_count: 0
    .symbol:         _ZN7rocprim17ROCPRIM_400000_NS6detail17trampoline_kernelINS0_14default_configENS1_20scan_config_selectorIiEEZZNS1_9scan_implILNS1_25lookback_scan_determinismE0ELb0ELb0ES3_N6thrust23THRUST_200600_302600_NS6detail15normal_iteratorINS9_10device_ptrIiEEEESE_iNS9_4plusIiEEiEEDaPvRmT3_T4_T5_mT6_P12ihipStream_tbENKUlT_T0_E_clISt17integral_constantIbLb0EESU_EEDaSP_SQ_EUlSP_E0_NS1_11comp_targetILNS1_3genE0ELNS1_11target_archE4294967295ELNS1_3gpuE0ELNS1_3repE0EEENS1_30default_config_static_selectorELNS0_4arch9wavefront6targetE1EEEvT1_.kd
    .uniform_work_group_size: 1
    .uses_dynamic_stack: false
    .vgpr_count:     0
    .vgpr_spill_count: 0
    .wavefront_size: 64
  - .agpr_count:     0
    .args:
      - .offset:         0
        .size:           32
        .value_kind:     by_value
    .group_segment_fixed_size: 0
    .kernarg_segment_align: 8
    .kernarg_segment_size: 32
    .language:       OpenCL C
    .language_version:
      - 2
      - 0
    .max_flat_workgroup_size: 256
    .name:           _ZN7rocprim17ROCPRIM_400000_NS6detail17trampoline_kernelINS0_14default_configENS1_20scan_config_selectorIiEEZZNS1_9scan_implILNS1_25lookback_scan_determinismE0ELb0ELb0ES3_N6thrust23THRUST_200600_302600_NS6detail15normal_iteratorINS9_10device_ptrIiEEEESE_iNS9_4plusIiEEiEEDaPvRmT3_T4_T5_mT6_P12ihipStream_tbENKUlT_T0_E_clISt17integral_constantIbLb0EESU_EEDaSP_SQ_EUlSP_E0_NS1_11comp_targetILNS1_3genE5ELNS1_11target_archE942ELNS1_3gpuE9ELNS1_3repE0EEENS1_30default_config_static_selectorELNS0_4arch9wavefront6targetE1EEEvT1_
    .private_segment_fixed_size: 0
    .sgpr_count:     4
    .sgpr_spill_count: 0
    .symbol:         _ZN7rocprim17ROCPRIM_400000_NS6detail17trampoline_kernelINS0_14default_configENS1_20scan_config_selectorIiEEZZNS1_9scan_implILNS1_25lookback_scan_determinismE0ELb0ELb0ES3_N6thrust23THRUST_200600_302600_NS6detail15normal_iteratorINS9_10device_ptrIiEEEESE_iNS9_4plusIiEEiEEDaPvRmT3_T4_T5_mT6_P12ihipStream_tbENKUlT_T0_E_clISt17integral_constantIbLb0EESU_EEDaSP_SQ_EUlSP_E0_NS1_11comp_targetILNS1_3genE5ELNS1_11target_archE942ELNS1_3gpuE9ELNS1_3repE0EEENS1_30default_config_static_selectorELNS0_4arch9wavefront6targetE1EEEvT1_.kd
    .uniform_work_group_size: 1
    .uses_dynamic_stack: false
    .vgpr_count:     0
    .vgpr_spill_count: 0
    .wavefront_size: 64
  - .agpr_count:     0
    .args:
      - .offset:         0
        .size:           32
        .value_kind:     by_value
    .group_segment_fixed_size: 5120
    .kernarg_segment_align: 8
    .kernarg_segment_size: 32
    .language:       OpenCL C
    .language_version:
      - 2
      - 0
    .max_flat_workgroup_size: 128
    .name:           _ZN7rocprim17ROCPRIM_400000_NS6detail17trampoline_kernelINS0_14default_configENS1_20scan_config_selectorIiEEZZNS1_9scan_implILNS1_25lookback_scan_determinismE0ELb0ELb0ES3_N6thrust23THRUST_200600_302600_NS6detail15normal_iteratorINS9_10device_ptrIiEEEESE_iNS9_4plusIiEEiEEDaPvRmT3_T4_T5_mT6_P12ihipStream_tbENKUlT_T0_E_clISt17integral_constantIbLb0EESU_EEDaSP_SQ_EUlSP_E0_NS1_11comp_targetILNS1_3genE4ELNS1_11target_archE910ELNS1_3gpuE8ELNS1_3repE0EEENS1_30default_config_static_selectorELNS0_4arch9wavefront6targetE1EEEvT1_
    .private_segment_fixed_size: 0
    .sgpr_count:     28
    .sgpr_spill_count: 0
    .symbol:         _ZN7rocprim17ROCPRIM_400000_NS6detail17trampoline_kernelINS0_14default_configENS1_20scan_config_selectorIiEEZZNS1_9scan_implILNS1_25lookback_scan_determinismE0ELb0ELb0ES3_N6thrust23THRUST_200600_302600_NS6detail15normal_iteratorINS9_10device_ptrIiEEEESE_iNS9_4plusIiEEiEEDaPvRmT3_T4_T5_mT6_P12ihipStream_tbENKUlT_T0_E_clISt17integral_constantIbLb0EESU_EEDaSP_SQ_EUlSP_E0_NS1_11comp_targetILNS1_3genE4ELNS1_11target_archE910ELNS1_3gpuE8ELNS1_3repE0EEENS1_30default_config_static_selectorELNS0_4arch9wavefront6targetE1EEEvT1_.kd
    .uniform_work_group_size: 1
    .uses_dynamic_stack: false
    .vgpr_count:     27
    .vgpr_spill_count: 0
    .wavefront_size: 64
  - .agpr_count:     0
    .args:
      - .offset:         0
        .size:           32
        .value_kind:     by_value
    .group_segment_fixed_size: 0
    .kernarg_segment_align: 8
    .kernarg_segment_size: 32
    .language:       OpenCL C
    .language_version:
      - 2
      - 0
    .max_flat_workgroup_size: 256
    .name:           _ZN7rocprim17ROCPRIM_400000_NS6detail17trampoline_kernelINS0_14default_configENS1_20scan_config_selectorIiEEZZNS1_9scan_implILNS1_25lookback_scan_determinismE0ELb0ELb0ES3_N6thrust23THRUST_200600_302600_NS6detail15normal_iteratorINS9_10device_ptrIiEEEESE_iNS9_4plusIiEEiEEDaPvRmT3_T4_T5_mT6_P12ihipStream_tbENKUlT_T0_E_clISt17integral_constantIbLb0EESU_EEDaSP_SQ_EUlSP_E0_NS1_11comp_targetILNS1_3genE3ELNS1_11target_archE908ELNS1_3gpuE7ELNS1_3repE0EEENS1_30default_config_static_selectorELNS0_4arch9wavefront6targetE1EEEvT1_
    .private_segment_fixed_size: 0
    .sgpr_count:     4
    .sgpr_spill_count: 0
    .symbol:         _ZN7rocprim17ROCPRIM_400000_NS6detail17trampoline_kernelINS0_14default_configENS1_20scan_config_selectorIiEEZZNS1_9scan_implILNS1_25lookback_scan_determinismE0ELb0ELb0ES3_N6thrust23THRUST_200600_302600_NS6detail15normal_iteratorINS9_10device_ptrIiEEEESE_iNS9_4plusIiEEiEEDaPvRmT3_T4_T5_mT6_P12ihipStream_tbENKUlT_T0_E_clISt17integral_constantIbLb0EESU_EEDaSP_SQ_EUlSP_E0_NS1_11comp_targetILNS1_3genE3ELNS1_11target_archE908ELNS1_3gpuE7ELNS1_3repE0EEENS1_30default_config_static_selectorELNS0_4arch9wavefront6targetE1EEEvT1_.kd
    .uniform_work_group_size: 1
    .uses_dynamic_stack: false
    .vgpr_count:     0
    .vgpr_spill_count: 0
    .wavefront_size: 64
  - .agpr_count:     0
    .args:
      - .offset:         0
        .size:           32
        .value_kind:     by_value
    .group_segment_fixed_size: 0
    .kernarg_segment_align: 8
    .kernarg_segment_size: 32
    .language:       OpenCL C
    .language_version:
      - 2
      - 0
    .max_flat_workgroup_size: 256
    .name:           _ZN7rocprim17ROCPRIM_400000_NS6detail17trampoline_kernelINS0_14default_configENS1_20scan_config_selectorIiEEZZNS1_9scan_implILNS1_25lookback_scan_determinismE0ELb0ELb0ES3_N6thrust23THRUST_200600_302600_NS6detail15normal_iteratorINS9_10device_ptrIiEEEESE_iNS9_4plusIiEEiEEDaPvRmT3_T4_T5_mT6_P12ihipStream_tbENKUlT_T0_E_clISt17integral_constantIbLb0EESU_EEDaSP_SQ_EUlSP_E0_NS1_11comp_targetILNS1_3genE2ELNS1_11target_archE906ELNS1_3gpuE6ELNS1_3repE0EEENS1_30default_config_static_selectorELNS0_4arch9wavefront6targetE1EEEvT1_
    .private_segment_fixed_size: 0
    .sgpr_count:     4
    .sgpr_spill_count: 0
    .symbol:         _ZN7rocprim17ROCPRIM_400000_NS6detail17trampoline_kernelINS0_14default_configENS1_20scan_config_selectorIiEEZZNS1_9scan_implILNS1_25lookback_scan_determinismE0ELb0ELb0ES3_N6thrust23THRUST_200600_302600_NS6detail15normal_iteratorINS9_10device_ptrIiEEEESE_iNS9_4plusIiEEiEEDaPvRmT3_T4_T5_mT6_P12ihipStream_tbENKUlT_T0_E_clISt17integral_constantIbLb0EESU_EEDaSP_SQ_EUlSP_E0_NS1_11comp_targetILNS1_3genE2ELNS1_11target_archE906ELNS1_3gpuE6ELNS1_3repE0EEENS1_30default_config_static_selectorELNS0_4arch9wavefront6targetE1EEEvT1_.kd
    .uniform_work_group_size: 1
    .uses_dynamic_stack: false
    .vgpr_count:     0
    .vgpr_spill_count: 0
    .wavefront_size: 64
  - .agpr_count:     0
    .args:
      - .offset:         0
        .size:           32
        .value_kind:     by_value
    .group_segment_fixed_size: 0
    .kernarg_segment_align: 8
    .kernarg_segment_size: 32
    .language:       OpenCL C
    .language_version:
      - 2
      - 0
    .max_flat_workgroup_size: 256
    .name:           _ZN7rocprim17ROCPRIM_400000_NS6detail17trampoline_kernelINS0_14default_configENS1_20scan_config_selectorIiEEZZNS1_9scan_implILNS1_25lookback_scan_determinismE0ELb0ELb0ES3_N6thrust23THRUST_200600_302600_NS6detail15normal_iteratorINS9_10device_ptrIiEEEESE_iNS9_4plusIiEEiEEDaPvRmT3_T4_T5_mT6_P12ihipStream_tbENKUlT_T0_E_clISt17integral_constantIbLb0EESU_EEDaSP_SQ_EUlSP_E0_NS1_11comp_targetILNS1_3genE10ELNS1_11target_archE1201ELNS1_3gpuE5ELNS1_3repE0EEENS1_30default_config_static_selectorELNS0_4arch9wavefront6targetE1EEEvT1_
    .private_segment_fixed_size: 0
    .sgpr_count:     4
    .sgpr_spill_count: 0
    .symbol:         _ZN7rocprim17ROCPRIM_400000_NS6detail17trampoline_kernelINS0_14default_configENS1_20scan_config_selectorIiEEZZNS1_9scan_implILNS1_25lookback_scan_determinismE0ELb0ELb0ES3_N6thrust23THRUST_200600_302600_NS6detail15normal_iteratorINS9_10device_ptrIiEEEESE_iNS9_4plusIiEEiEEDaPvRmT3_T4_T5_mT6_P12ihipStream_tbENKUlT_T0_E_clISt17integral_constantIbLb0EESU_EEDaSP_SQ_EUlSP_E0_NS1_11comp_targetILNS1_3genE10ELNS1_11target_archE1201ELNS1_3gpuE5ELNS1_3repE0EEENS1_30default_config_static_selectorELNS0_4arch9wavefront6targetE1EEEvT1_.kd
    .uniform_work_group_size: 1
    .uses_dynamic_stack: false
    .vgpr_count:     0
    .vgpr_spill_count: 0
    .wavefront_size: 64
  - .agpr_count:     0
    .args:
      - .offset:         0
        .size:           32
        .value_kind:     by_value
    .group_segment_fixed_size: 0
    .kernarg_segment_align: 8
    .kernarg_segment_size: 32
    .language:       OpenCL C
    .language_version:
      - 2
      - 0
    .max_flat_workgroup_size: 256
    .name:           _ZN7rocprim17ROCPRIM_400000_NS6detail17trampoline_kernelINS0_14default_configENS1_20scan_config_selectorIiEEZZNS1_9scan_implILNS1_25lookback_scan_determinismE0ELb0ELb0ES3_N6thrust23THRUST_200600_302600_NS6detail15normal_iteratorINS9_10device_ptrIiEEEESE_iNS9_4plusIiEEiEEDaPvRmT3_T4_T5_mT6_P12ihipStream_tbENKUlT_T0_E_clISt17integral_constantIbLb0EESU_EEDaSP_SQ_EUlSP_E0_NS1_11comp_targetILNS1_3genE10ELNS1_11target_archE1200ELNS1_3gpuE4ELNS1_3repE0EEENS1_30default_config_static_selectorELNS0_4arch9wavefront6targetE1EEEvT1_
    .private_segment_fixed_size: 0
    .sgpr_count:     4
    .sgpr_spill_count: 0
    .symbol:         _ZN7rocprim17ROCPRIM_400000_NS6detail17trampoline_kernelINS0_14default_configENS1_20scan_config_selectorIiEEZZNS1_9scan_implILNS1_25lookback_scan_determinismE0ELb0ELb0ES3_N6thrust23THRUST_200600_302600_NS6detail15normal_iteratorINS9_10device_ptrIiEEEESE_iNS9_4plusIiEEiEEDaPvRmT3_T4_T5_mT6_P12ihipStream_tbENKUlT_T0_E_clISt17integral_constantIbLb0EESU_EEDaSP_SQ_EUlSP_E0_NS1_11comp_targetILNS1_3genE10ELNS1_11target_archE1200ELNS1_3gpuE4ELNS1_3repE0EEENS1_30default_config_static_selectorELNS0_4arch9wavefront6targetE1EEEvT1_.kd
    .uniform_work_group_size: 1
    .uses_dynamic_stack: false
    .vgpr_count:     0
    .vgpr_spill_count: 0
    .wavefront_size: 64
  - .agpr_count:     0
    .args:
      - .offset:         0
        .size:           32
        .value_kind:     by_value
    .group_segment_fixed_size: 0
    .kernarg_segment_align: 8
    .kernarg_segment_size: 32
    .language:       OpenCL C
    .language_version:
      - 2
      - 0
    .max_flat_workgroup_size: 256
    .name:           _ZN7rocprim17ROCPRIM_400000_NS6detail17trampoline_kernelINS0_14default_configENS1_20scan_config_selectorIiEEZZNS1_9scan_implILNS1_25lookback_scan_determinismE0ELb0ELb0ES3_N6thrust23THRUST_200600_302600_NS6detail15normal_iteratorINS9_10device_ptrIiEEEESE_iNS9_4plusIiEEiEEDaPvRmT3_T4_T5_mT6_P12ihipStream_tbENKUlT_T0_E_clISt17integral_constantIbLb0EESU_EEDaSP_SQ_EUlSP_E0_NS1_11comp_targetILNS1_3genE9ELNS1_11target_archE1100ELNS1_3gpuE3ELNS1_3repE0EEENS1_30default_config_static_selectorELNS0_4arch9wavefront6targetE1EEEvT1_
    .private_segment_fixed_size: 0
    .sgpr_count:     4
    .sgpr_spill_count: 0
    .symbol:         _ZN7rocprim17ROCPRIM_400000_NS6detail17trampoline_kernelINS0_14default_configENS1_20scan_config_selectorIiEEZZNS1_9scan_implILNS1_25lookback_scan_determinismE0ELb0ELb0ES3_N6thrust23THRUST_200600_302600_NS6detail15normal_iteratorINS9_10device_ptrIiEEEESE_iNS9_4plusIiEEiEEDaPvRmT3_T4_T5_mT6_P12ihipStream_tbENKUlT_T0_E_clISt17integral_constantIbLb0EESU_EEDaSP_SQ_EUlSP_E0_NS1_11comp_targetILNS1_3genE9ELNS1_11target_archE1100ELNS1_3gpuE3ELNS1_3repE0EEENS1_30default_config_static_selectorELNS0_4arch9wavefront6targetE1EEEvT1_.kd
    .uniform_work_group_size: 1
    .uses_dynamic_stack: false
    .vgpr_count:     0
    .vgpr_spill_count: 0
    .wavefront_size: 64
  - .agpr_count:     0
    .args:
      - .offset:         0
        .size:           32
        .value_kind:     by_value
    .group_segment_fixed_size: 0
    .kernarg_segment_align: 8
    .kernarg_segment_size: 32
    .language:       OpenCL C
    .language_version:
      - 2
      - 0
    .max_flat_workgroup_size: 64
    .name:           _ZN7rocprim17ROCPRIM_400000_NS6detail17trampoline_kernelINS0_14default_configENS1_20scan_config_selectorIiEEZZNS1_9scan_implILNS1_25lookback_scan_determinismE0ELb0ELb0ES3_N6thrust23THRUST_200600_302600_NS6detail15normal_iteratorINS9_10device_ptrIiEEEESE_iNS9_4plusIiEEiEEDaPvRmT3_T4_T5_mT6_P12ihipStream_tbENKUlT_T0_E_clISt17integral_constantIbLb0EESU_EEDaSP_SQ_EUlSP_E0_NS1_11comp_targetILNS1_3genE8ELNS1_11target_archE1030ELNS1_3gpuE2ELNS1_3repE0EEENS1_30default_config_static_selectorELNS0_4arch9wavefront6targetE1EEEvT1_
    .private_segment_fixed_size: 0
    .sgpr_count:     4
    .sgpr_spill_count: 0
    .symbol:         _ZN7rocprim17ROCPRIM_400000_NS6detail17trampoline_kernelINS0_14default_configENS1_20scan_config_selectorIiEEZZNS1_9scan_implILNS1_25lookback_scan_determinismE0ELb0ELb0ES3_N6thrust23THRUST_200600_302600_NS6detail15normal_iteratorINS9_10device_ptrIiEEEESE_iNS9_4plusIiEEiEEDaPvRmT3_T4_T5_mT6_P12ihipStream_tbENKUlT_T0_E_clISt17integral_constantIbLb0EESU_EEDaSP_SQ_EUlSP_E0_NS1_11comp_targetILNS1_3genE8ELNS1_11target_archE1030ELNS1_3gpuE2ELNS1_3repE0EEENS1_30default_config_static_selectorELNS0_4arch9wavefront6targetE1EEEvT1_.kd
    .uniform_work_group_size: 1
    .uses_dynamic_stack: false
    .vgpr_count:     0
    .vgpr_spill_count: 0
    .wavefront_size: 64
  - .agpr_count:     0
    .args:
      - .address_space:  global
        .offset:         0
        .size:           8
        .value_kind:     global_buffer
      - .offset:         8
        .size:           4
        .value_kind:     by_value
      - .address_space:  global
        .offset:         16
        .size:           8
        .value_kind:     global_buffer
      - .offset:         24
        .size:           4
        .value_kind:     by_value
      - .address_space:  global
        .offset:         32
        .size:           8
        .value_kind:     global_buffer
      - .offset:         40
        .size:           4
        .value_kind:     hidden_block_count_x
      - .offset:         44
        .size:           4
        .value_kind:     hidden_block_count_y
      - .offset:         48
        .size:           4
        .value_kind:     hidden_block_count_z
      - .offset:         52
        .size:           2
        .value_kind:     hidden_group_size_x
      - .offset:         54
        .size:           2
        .value_kind:     hidden_group_size_y
      - .offset:         56
        .size:           2
        .value_kind:     hidden_group_size_z
      - .offset:         58
        .size:           2
        .value_kind:     hidden_remainder_x
      - .offset:         60
        .size:           2
        .value_kind:     hidden_remainder_y
      - .offset:         62
        .size:           2
        .value_kind:     hidden_remainder_z
      - .offset:         80
        .size:           8
        .value_kind:     hidden_global_offset_x
      - .offset:         88
        .size:           8
        .value_kind:     hidden_global_offset_y
      - .offset:         96
        .size:           8
        .value_kind:     hidden_global_offset_z
      - .offset:         104
        .size:           2
        .value_kind:     hidden_grid_dims
    .group_segment_fixed_size: 0
    .kernarg_segment_align: 8
    .kernarg_segment_size: 296
    .language:       OpenCL C
    .language_version:
      - 2
      - 0
    .max_flat_workgroup_size: 256
    .name:           _ZN7rocprim17ROCPRIM_400000_NS6detail31init_lookback_scan_state_kernelINS1_19lookback_scan_stateIiLb1ELb1EEENS1_16block_id_wrapperIjLb1EEEEEvT_jT0_jPNS7_10value_typeE
    .private_segment_fixed_size: 0
    .sgpr_count:     18
    .sgpr_spill_count: 0
    .symbol:         _ZN7rocprim17ROCPRIM_400000_NS6detail31init_lookback_scan_state_kernelINS1_19lookback_scan_stateIiLb1ELb1EEENS1_16block_id_wrapperIjLb1EEEEEvT_jT0_jPNS7_10value_typeE.kd
    .uniform_work_group_size: 1
    .uses_dynamic_stack: false
    .vgpr_count:     6
    .vgpr_spill_count: 0
    .wavefront_size: 64
  - .agpr_count:     0
    .args:
      - .offset:         0
        .size:           96
        .value_kind:     by_value
    .group_segment_fixed_size: 0
    .kernarg_segment_align: 8
    .kernarg_segment_size: 96
    .language:       OpenCL C
    .language_version:
      - 2
      - 0
    .max_flat_workgroup_size: 256
    .name:           _ZN7rocprim17ROCPRIM_400000_NS6detail17trampoline_kernelINS0_14default_configENS1_20scan_config_selectorIiEEZZNS1_9scan_implILNS1_25lookback_scan_determinismE0ELb0ELb0ES3_N6thrust23THRUST_200600_302600_NS6detail15normal_iteratorINS9_10device_ptrIiEEEESE_iNS9_4plusIiEEiEEDaPvRmT3_T4_T5_mT6_P12ihipStream_tbENKUlT_T0_E_clISt17integral_constantIbLb1EESU_EEDaSP_SQ_EUlSP_E_NS1_11comp_targetILNS1_3genE0ELNS1_11target_archE4294967295ELNS1_3gpuE0ELNS1_3repE0EEENS1_30default_config_static_selectorELNS0_4arch9wavefront6targetE1EEEvT1_
    .private_segment_fixed_size: 0
    .sgpr_count:     4
    .sgpr_spill_count: 0
    .symbol:         _ZN7rocprim17ROCPRIM_400000_NS6detail17trampoline_kernelINS0_14default_configENS1_20scan_config_selectorIiEEZZNS1_9scan_implILNS1_25lookback_scan_determinismE0ELb0ELb0ES3_N6thrust23THRUST_200600_302600_NS6detail15normal_iteratorINS9_10device_ptrIiEEEESE_iNS9_4plusIiEEiEEDaPvRmT3_T4_T5_mT6_P12ihipStream_tbENKUlT_T0_E_clISt17integral_constantIbLb1EESU_EEDaSP_SQ_EUlSP_E_NS1_11comp_targetILNS1_3genE0ELNS1_11target_archE4294967295ELNS1_3gpuE0ELNS1_3repE0EEENS1_30default_config_static_selectorELNS0_4arch9wavefront6targetE1EEEvT1_.kd
    .uniform_work_group_size: 1
    .uses_dynamic_stack: false
    .vgpr_count:     0
    .vgpr_spill_count: 0
    .wavefront_size: 64
  - .agpr_count:     0
    .args:
      - .offset:         0
        .size:           96
        .value_kind:     by_value
    .group_segment_fixed_size: 0
    .kernarg_segment_align: 8
    .kernarg_segment_size: 96
    .language:       OpenCL C
    .language_version:
      - 2
      - 0
    .max_flat_workgroup_size: 256
    .name:           _ZN7rocprim17ROCPRIM_400000_NS6detail17trampoline_kernelINS0_14default_configENS1_20scan_config_selectorIiEEZZNS1_9scan_implILNS1_25lookback_scan_determinismE0ELb0ELb0ES3_N6thrust23THRUST_200600_302600_NS6detail15normal_iteratorINS9_10device_ptrIiEEEESE_iNS9_4plusIiEEiEEDaPvRmT3_T4_T5_mT6_P12ihipStream_tbENKUlT_T0_E_clISt17integral_constantIbLb1EESU_EEDaSP_SQ_EUlSP_E_NS1_11comp_targetILNS1_3genE5ELNS1_11target_archE942ELNS1_3gpuE9ELNS1_3repE0EEENS1_30default_config_static_selectorELNS0_4arch9wavefront6targetE1EEEvT1_
    .private_segment_fixed_size: 0
    .sgpr_count:     4
    .sgpr_spill_count: 0
    .symbol:         _ZN7rocprim17ROCPRIM_400000_NS6detail17trampoline_kernelINS0_14default_configENS1_20scan_config_selectorIiEEZZNS1_9scan_implILNS1_25lookback_scan_determinismE0ELb0ELb0ES3_N6thrust23THRUST_200600_302600_NS6detail15normal_iteratorINS9_10device_ptrIiEEEESE_iNS9_4plusIiEEiEEDaPvRmT3_T4_T5_mT6_P12ihipStream_tbENKUlT_T0_E_clISt17integral_constantIbLb1EESU_EEDaSP_SQ_EUlSP_E_NS1_11comp_targetILNS1_3genE5ELNS1_11target_archE942ELNS1_3gpuE9ELNS1_3repE0EEENS1_30default_config_static_selectorELNS0_4arch9wavefront6targetE1EEEvT1_.kd
    .uniform_work_group_size: 1
    .uses_dynamic_stack: false
    .vgpr_count:     0
    .vgpr_spill_count: 0
    .wavefront_size: 64
  - .agpr_count:     0
    .args:
      - .offset:         0
        .size:           96
        .value_kind:     by_value
    .group_segment_fixed_size: 5120
    .kernarg_segment_align: 8
    .kernarg_segment_size: 96
    .language:       OpenCL C
    .language_version:
      - 2
      - 0
    .max_flat_workgroup_size: 128
    .name:           _ZN7rocprim17ROCPRIM_400000_NS6detail17trampoline_kernelINS0_14default_configENS1_20scan_config_selectorIiEEZZNS1_9scan_implILNS1_25lookback_scan_determinismE0ELb0ELb0ES3_N6thrust23THRUST_200600_302600_NS6detail15normal_iteratorINS9_10device_ptrIiEEEESE_iNS9_4plusIiEEiEEDaPvRmT3_T4_T5_mT6_P12ihipStream_tbENKUlT_T0_E_clISt17integral_constantIbLb1EESU_EEDaSP_SQ_EUlSP_E_NS1_11comp_targetILNS1_3genE4ELNS1_11target_archE910ELNS1_3gpuE8ELNS1_3repE0EEENS1_30default_config_static_selectorELNS0_4arch9wavefront6targetE1EEEvT1_
    .private_segment_fixed_size: 0
    .sgpr_count:     42
    .sgpr_spill_count: 0
    .symbol:         _ZN7rocprim17ROCPRIM_400000_NS6detail17trampoline_kernelINS0_14default_configENS1_20scan_config_selectorIiEEZZNS1_9scan_implILNS1_25lookback_scan_determinismE0ELb0ELb0ES3_N6thrust23THRUST_200600_302600_NS6detail15normal_iteratorINS9_10device_ptrIiEEEESE_iNS9_4plusIiEEiEEDaPvRmT3_T4_T5_mT6_P12ihipStream_tbENKUlT_T0_E_clISt17integral_constantIbLb1EESU_EEDaSP_SQ_EUlSP_E_NS1_11comp_targetILNS1_3genE4ELNS1_11target_archE910ELNS1_3gpuE8ELNS1_3repE0EEENS1_30default_config_static_selectorELNS0_4arch9wavefront6targetE1EEEvT1_.kd
    .uniform_work_group_size: 1
    .uses_dynamic_stack: false
    .vgpr_count:     40
    .vgpr_spill_count: 0
    .wavefront_size: 64
  - .agpr_count:     0
    .args:
      - .offset:         0
        .size:           96
        .value_kind:     by_value
    .group_segment_fixed_size: 0
    .kernarg_segment_align: 8
    .kernarg_segment_size: 96
    .language:       OpenCL C
    .language_version:
      - 2
      - 0
    .max_flat_workgroup_size: 256
    .name:           _ZN7rocprim17ROCPRIM_400000_NS6detail17trampoline_kernelINS0_14default_configENS1_20scan_config_selectorIiEEZZNS1_9scan_implILNS1_25lookback_scan_determinismE0ELb0ELb0ES3_N6thrust23THRUST_200600_302600_NS6detail15normal_iteratorINS9_10device_ptrIiEEEESE_iNS9_4plusIiEEiEEDaPvRmT3_T4_T5_mT6_P12ihipStream_tbENKUlT_T0_E_clISt17integral_constantIbLb1EESU_EEDaSP_SQ_EUlSP_E_NS1_11comp_targetILNS1_3genE3ELNS1_11target_archE908ELNS1_3gpuE7ELNS1_3repE0EEENS1_30default_config_static_selectorELNS0_4arch9wavefront6targetE1EEEvT1_
    .private_segment_fixed_size: 0
    .sgpr_count:     4
    .sgpr_spill_count: 0
    .symbol:         _ZN7rocprim17ROCPRIM_400000_NS6detail17trampoline_kernelINS0_14default_configENS1_20scan_config_selectorIiEEZZNS1_9scan_implILNS1_25lookback_scan_determinismE0ELb0ELb0ES3_N6thrust23THRUST_200600_302600_NS6detail15normal_iteratorINS9_10device_ptrIiEEEESE_iNS9_4plusIiEEiEEDaPvRmT3_T4_T5_mT6_P12ihipStream_tbENKUlT_T0_E_clISt17integral_constantIbLb1EESU_EEDaSP_SQ_EUlSP_E_NS1_11comp_targetILNS1_3genE3ELNS1_11target_archE908ELNS1_3gpuE7ELNS1_3repE0EEENS1_30default_config_static_selectorELNS0_4arch9wavefront6targetE1EEEvT1_.kd
    .uniform_work_group_size: 1
    .uses_dynamic_stack: false
    .vgpr_count:     0
    .vgpr_spill_count: 0
    .wavefront_size: 64
  - .agpr_count:     0
    .args:
      - .offset:         0
        .size:           96
        .value_kind:     by_value
    .group_segment_fixed_size: 0
    .kernarg_segment_align: 8
    .kernarg_segment_size: 96
    .language:       OpenCL C
    .language_version:
      - 2
      - 0
    .max_flat_workgroup_size: 256
    .name:           _ZN7rocprim17ROCPRIM_400000_NS6detail17trampoline_kernelINS0_14default_configENS1_20scan_config_selectorIiEEZZNS1_9scan_implILNS1_25lookback_scan_determinismE0ELb0ELb0ES3_N6thrust23THRUST_200600_302600_NS6detail15normal_iteratorINS9_10device_ptrIiEEEESE_iNS9_4plusIiEEiEEDaPvRmT3_T4_T5_mT6_P12ihipStream_tbENKUlT_T0_E_clISt17integral_constantIbLb1EESU_EEDaSP_SQ_EUlSP_E_NS1_11comp_targetILNS1_3genE2ELNS1_11target_archE906ELNS1_3gpuE6ELNS1_3repE0EEENS1_30default_config_static_selectorELNS0_4arch9wavefront6targetE1EEEvT1_
    .private_segment_fixed_size: 0
    .sgpr_count:     4
    .sgpr_spill_count: 0
    .symbol:         _ZN7rocprim17ROCPRIM_400000_NS6detail17trampoline_kernelINS0_14default_configENS1_20scan_config_selectorIiEEZZNS1_9scan_implILNS1_25lookback_scan_determinismE0ELb0ELb0ES3_N6thrust23THRUST_200600_302600_NS6detail15normal_iteratorINS9_10device_ptrIiEEEESE_iNS9_4plusIiEEiEEDaPvRmT3_T4_T5_mT6_P12ihipStream_tbENKUlT_T0_E_clISt17integral_constantIbLb1EESU_EEDaSP_SQ_EUlSP_E_NS1_11comp_targetILNS1_3genE2ELNS1_11target_archE906ELNS1_3gpuE6ELNS1_3repE0EEENS1_30default_config_static_selectorELNS0_4arch9wavefront6targetE1EEEvT1_.kd
    .uniform_work_group_size: 1
    .uses_dynamic_stack: false
    .vgpr_count:     0
    .vgpr_spill_count: 0
    .wavefront_size: 64
  - .agpr_count:     0
    .args:
      - .offset:         0
        .size:           96
        .value_kind:     by_value
    .group_segment_fixed_size: 0
    .kernarg_segment_align: 8
    .kernarg_segment_size: 96
    .language:       OpenCL C
    .language_version:
      - 2
      - 0
    .max_flat_workgroup_size: 256
    .name:           _ZN7rocprim17ROCPRIM_400000_NS6detail17trampoline_kernelINS0_14default_configENS1_20scan_config_selectorIiEEZZNS1_9scan_implILNS1_25lookback_scan_determinismE0ELb0ELb0ES3_N6thrust23THRUST_200600_302600_NS6detail15normal_iteratorINS9_10device_ptrIiEEEESE_iNS9_4plusIiEEiEEDaPvRmT3_T4_T5_mT6_P12ihipStream_tbENKUlT_T0_E_clISt17integral_constantIbLb1EESU_EEDaSP_SQ_EUlSP_E_NS1_11comp_targetILNS1_3genE10ELNS1_11target_archE1201ELNS1_3gpuE5ELNS1_3repE0EEENS1_30default_config_static_selectorELNS0_4arch9wavefront6targetE1EEEvT1_
    .private_segment_fixed_size: 0
    .sgpr_count:     4
    .sgpr_spill_count: 0
    .symbol:         _ZN7rocprim17ROCPRIM_400000_NS6detail17trampoline_kernelINS0_14default_configENS1_20scan_config_selectorIiEEZZNS1_9scan_implILNS1_25lookback_scan_determinismE0ELb0ELb0ES3_N6thrust23THRUST_200600_302600_NS6detail15normal_iteratorINS9_10device_ptrIiEEEESE_iNS9_4plusIiEEiEEDaPvRmT3_T4_T5_mT6_P12ihipStream_tbENKUlT_T0_E_clISt17integral_constantIbLb1EESU_EEDaSP_SQ_EUlSP_E_NS1_11comp_targetILNS1_3genE10ELNS1_11target_archE1201ELNS1_3gpuE5ELNS1_3repE0EEENS1_30default_config_static_selectorELNS0_4arch9wavefront6targetE1EEEvT1_.kd
    .uniform_work_group_size: 1
    .uses_dynamic_stack: false
    .vgpr_count:     0
    .vgpr_spill_count: 0
    .wavefront_size: 64
  - .agpr_count:     0
    .args:
      - .offset:         0
        .size:           96
        .value_kind:     by_value
    .group_segment_fixed_size: 0
    .kernarg_segment_align: 8
    .kernarg_segment_size: 96
    .language:       OpenCL C
    .language_version:
      - 2
      - 0
    .max_flat_workgroup_size: 256
    .name:           _ZN7rocprim17ROCPRIM_400000_NS6detail17trampoline_kernelINS0_14default_configENS1_20scan_config_selectorIiEEZZNS1_9scan_implILNS1_25lookback_scan_determinismE0ELb0ELb0ES3_N6thrust23THRUST_200600_302600_NS6detail15normal_iteratorINS9_10device_ptrIiEEEESE_iNS9_4plusIiEEiEEDaPvRmT3_T4_T5_mT6_P12ihipStream_tbENKUlT_T0_E_clISt17integral_constantIbLb1EESU_EEDaSP_SQ_EUlSP_E_NS1_11comp_targetILNS1_3genE10ELNS1_11target_archE1200ELNS1_3gpuE4ELNS1_3repE0EEENS1_30default_config_static_selectorELNS0_4arch9wavefront6targetE1EEEvT1_
    .private_segment_fixed_size: 0
    .sgpr_count:     4
    .sgpr_spill_count: 0
    .symbol:         _ZN7rocprim17ROCPRIM_400000_NS6detail17trampoline_kernelINS0_14default_configENS1_20scan_config_selectorIiEEZZNS1_9scan_implILNS1_25lookback_scan_determinismE0ELb0ELb0ES3_N6thrust23THRUST_200600_302600_NS6detail15normal_iteratorINS9_10device_ptrIiEEEESE_iNS9_4plusIiEEiEEDaPvRmT3_T4_T5_mT6_P12ihipStream_tbENKUlT_T0_E_clISt17integral_constantIbLb1EESU_EEDaSP_SQ_EUlSP_E_NS1_11comp_targetILNS1_3genE10ELNS1_11target_archE1200ELNS1_3gpuE4ELNS1_3repE0EEENS1_30default_config_static_selectorELNS0_4arch9wavefront6targetE1EEEvT1_.kd
    .uniform_work_group_size: 1
    .uses_dynamic_stack: false
    .vgpr_count:     0
    .vgpr_spill_count: 0
    .wavefront_size: 64
  - .agpr_count:     0
    .args:
      - .offset:         0
        .size:           96
        .value_kind:     by_value
    .group_segment_fixed_size: 0
    .kernarg_segment_align: 8
    .kernarg_segment_size: 96
    .language:       OpenCL C
    .language_version:
      - 2
      - 0
    .max_flat_workgroup_size: 256
    .name:           _ZN7rocprim17ROCPRIM_400000_NS6detail17trampoline_kernelINS0_14default_configENS1_20scan_config_selectorIiEEZZNS1_9scan_implILNS1_25lookback_scan_determinismE0ELb0ELb0ES3_N6thrust23THRUST_200600_302600_NS6detail15normal_iteratorINS9_10device_ptrIiEEEESE_iNS9_4plusIiEEiEEDaPvRmT3_T4_T5_mT6_P12ihipStream_tbENKUlT_T0_E_clISt17integral_constantIbLb1EESU_EEDaSP_SQ_EUlSP_E_NS1_11comp_targetILNS1_3genE9ELNS1_11target_archE1100ELNS1_3gpuE3ELNS1_3repE0EEENS1_30default_config_static_selectorELNS0_4arch9wavefront6targetE1EEEvT1_
    .private_segment_fixed_size: 0
    .sgpr_count:     4
    .sgpr_spill_count: 0
    .symbol:         _ZN7rocprim17ROCPRIM_400000_NS6detail17trampoline_kernelINS0_14default_configENS1_20scan_config_selectorIiEEZZNS1_9scan_implILNS1_25lookback_scan_determinismE0ELb0ELb0ES3_N6thrust23THRUST_200600_302600_NS6detail15normal_iteratorINS9_10device_ptrIiEEEESE_iNS9_4plusIiEEiEEDaPvRmT3_T4_T5_mT6_P12ihipStream_tbENKUlT_T0_E_clISt17integral_constantIbLb1EESU_EEDaSP_SQ_EUlSP_E_NS1_11comp_targetILNS1_3genE9ELNS1_11target_archE1100ELNS1_3gpuE3ELNS1_3repE0EEENS1_30default_config_static_selectorELNS0_4arch9wavefront6targetE1EEEvT1_.kd
    .uniform_work_group_size: 1
    .uses_dynamic_stack: false
    .vgpr_count:     0
    .vgpr_spill_count: 0
    .wavefront_size: 64
  - .agpr_count:     0
    .args:
      - .offset:         0
        .size:           96
        .value_kind:     by_value
    .group_segment_fixed_size: 0
    .kernarg_segment_align: 8
    .kernarg_segment_size: 96
    .language:       OpenCL C
    .language_version:
      - 2
      - 0
    .max_flat_workgroup_size: 64
    .name:           _ZN7rocprim17ROCPRIM_400000_NS6detail17trampoline_kernelINS0_14default_configENS1_20scan_config_selectorIiEEZZNS1_9scan_implILNS1_25lookback_scan_determinismE0ELb0ELb0ES3_N6thrust23THRUST_200600_302600_NS6detail15normal_iteratorINS9_10device_ptrIiEEEESE_iNS9_4plusIiEEiEEDaPvRmT3_T4_T5_mT6_P12ihipStream_tbENKUlT_T0_E_clISt17integral_constantIbLb1EESU_EEDaSP_SQ_EUlSP_E_NS1_11comp_targetILNS1_3genE8ELNS1_11target_archE1030ELNS1_3gpuE2ELNS1_3repE0EEENS1_30default_config_static_selectorELNS0_4arch9wavefront6targetE1EEEvT1_
    .private_segment_fixed_size: 0
    .sgpr_count:     4
    .sgpr_spill_count: 0
    .symbol:         _ZN7rocprim17ROCPRIM_400000_NS6detail17trampoline_kernelINS0_14default_configENS1_20scan_config_selectorIiEEZZNS1_9scan_implILNS1_25lookback_scan_determinismE0ELb0ELb0ES3_N6thrust23THRUST_200600_302600_NS6detail15normal_iteratorINS9_10device_ptrIiEEEESE_iNS9_4plusIiEEiEEDaPvRmT3_T4_T5_mT6_P12ihipStream_tbENKUlT_T0_E_clISt17integral_constantIbLb1EESU_EEDaSP_SQ_EUlSP_E_NS1_11comp_targetILNS1_3genE8ELNS1_11target_archE1030ELNS1_3gpuE2ELNS1_3repE0EEENS1_30default_config_static_selectorELNS0_4arch9wavefront6targetE1EEEvT1_.kd
    .uniform_work_group_size: 1
    .uses_dynamic_stack: false
    .vgpr_count:     0
    .vgpr_spill_count: 0
    .wavefront_size: 64
  - .agpr_count:     0
    .args:
      - .offset:         0
        .size:           32
        .value_kind:     by_value
    .group_segment_fixed_size: 0
    .kernarg_segment_align: 8
    .kernarg_segment_size: 32
    .language:       OpenCL C
    .language_version:
      - 2
      - 0
    .max_flat_workgroup_size: 256
    .name:           _ZN7rocprim17ROCPRIM_400000_NS6detail17trampoline_kernelINS0_14default_configENS1_20scan_config_selectorIiEEZZNS1_9scan_implILNS1_25lookback_scan_determinismE0ELb0ELb0ES3_N6thrust23THRUST_200600_302600_NS6detail15normal_iteratorINS9_10device_ptrIiEEEESE_iNS9_4plusIiEEiEEDaPvRmT3_T4_T5_mT6_P12ihipStream_tbENKUlT_T0_E_clISt17integral_constantIbLb1EESU_EEDaSP_SQ_EUlSP_E0_NS1_11comp_targetILNS1_3genE0ELNS1_11target_archE4294967295ELNS1_3gpuE0ELNS1_3repE0EEENS1_30default_config_static_selectorELNS0_4arch9wavefront6targetE1EEEvT1_
    .private_segment_fixed_size: 0
    .sgpr_count:     4
    .sgpr_spill_count: 0
    .symbol:         _ZN7rocprim17ROCPRIM_400000_NS6detail17trampoline_kernelINS0_14default_configENS1_20scan_config_selectorIiEEZZNS1_9scan_implILNS1_25lookback_scan_determinismE0ELb0ELb0ES3_N6thrust23THRUST_200600_302600_NS6detail15normal_iteratorINS9_10device_ptrIiEEEESE_iNS9_4plusIiEEiEEDaPvRmT3_T4_T5_mT6_P12ihipStream_tbENKUlT_T0_E_clISt17integral_constantIbLb1EESU_EEDaSP_SQ_EUlSP_E0_NS1_11comp_targetILNS1_3genE0ELNS1_11target_archE4294967295ELNS1_3gpuE0ELNS1_3repE0EEENS1_30default_config_static_selectorELNS0_4arch9wavefront6targetE1EEEvT1_.kd
    .uniform_work_group_size: 1
    .uses_dynamic_stack: false
    .vgpr_count:     0
    .vgpr_spill_count: 0
    .wavefront_size: 64
  - .agpr_count:     0
    .args:
      - .offset:         0
        .size:           32
        .value_kind:     by_value
    .group_segment_fixed_size: 0
    .kernarg_segment_align: 8
    .kernarg_segment_size: 32
    .language:       OpenCL C
    .language_version:
      - 2
      - 0
    .max_flat_workgroup_size: 256
    .name:           _ZN7rocprim17ROCPRIM_400000_NS6detail17trampoline_kernelINS0_14default_configENS1_20scan_config_selectorIiEEZZNS1_9scan_implILNS1_25lookback_scan_determinismE0ELb0ELb0ES3_N6thrust23THRUST_200600_302600_NS6detail15normal_iteratorINS9_10device_ptrIiEEEESE_iNS9_4plusIiEEiEEDaPvRmT3_T4_T5_mT6_P12ihipStream_tbENKUlT_T0_E_clISt17integral_constantIbLb1EESU_EEDaSP_SQ_EUlSP_E0_NS1_11comp_targetILNS1_3genE5ELNS1_11target_archE942ELNS1_3gpuE9ELNS1_3repE0EEENS1_30default_config_static_selectorELNS0_4arch9wavefront6targetE1EEEvT1_
    .private_segment_fixed_size: 0
    .sgpr_count:     4
    .sgpr_spill_count: 0
    .symbol:         _ZN7rocprim17ROCPRIM_400000_NS6detail17trampoline_kernelINS0_14default_configENS1_20scan_config_selectorIiEEZZNS1_9scan_implILNS1_25lookback_scan_determinismE0ELb0ELb0ES3_N6thrust23THRUST_200600_302600_NS6detail15normal_iteratorINS9_10device_ptrIiEEEESE_iNS9_4plusIiEEiEEDaPvRmT3_T4_T5_mT6_P12ihipStream_tbENKUlT_T0_E_clISt17integral_constantIbLb1EESU_EEDaSP_SQ_EUlSP_E0_NS1_11comp_targetILNS1_3genE5ELNS1_11target_archE942ELNS1_3gpuE9ELNS1_3repE0EEENS1_30default_config_static_selectorELNS0_4arch9wavefront6targetE1EEEvT1_.kd
    .uniform_work_group_size: 1
    .uses_dynamic_stack: false
    .vgpr_count:     0
    .vgpr_spill_count: 0
    .wavefront_size: 64
  - .agpr_count:     0
    .args:
      - .offset:         0
        .size:           32
        .value_kind:     by_value
    .group_segment_fixed_size: 5120
    .kernarg_segment_align: 8
    .kernarg_segment_size: 32
    .language:       OpenCL C
    .language_version:
      - 2
      - 0
    .max_flat_workgroup_size: 128
    .name:           _ZN7rocprim17ROCPRIM_400000_NS6detail17trampoline_kernelINS0_14default_configENS1_20scan_config_selectorIiEEZZNS1_9scan_implILNS1_25lookback_scan_determinismE0ELb0ELb0ES3_N6thrust23THRUST_200600_302600_NS6detail15normal_iteratorINS9_10device_ptrIiEEEESE_iNS9_4plusIiEEiEEDaPvRmT3_T4_T5_mT6_P12ihipStream_tbENKUlT_T0_E_clISt17integral_constantIbLb1EESU_EEDaSP_SQ_EUlSP_E0_NS1_11comp_targetILNS1_3genE4ELNS1_11target_archE910ELNS1_3gpuE8ELNS1_3repE0EEENS1_30default_config_static_selectorELNS0_4arch9wavefront6targetE1EEEvT1_
    .private_segment_fixed_size: 0
    .sgpr_count:     28
    .sgpr_spill_count: 0
    .symbol:         _ZN7rocprim17ROCPRIM_400000_NS6detail17trampoline_kernelINS0_14default_configENS1_20scan_config_selectorIiEEZZNS1_9scan_implILNS1_25lookback_scan_determinismE0ELb0ELb0ES3_N6thrust23THRUST_200600_302600_NS6detail15normal_iteratorINS9_10device_ptrIiEEEESE_iNS9_4plusIiEEiEEDaPvRmT3_T4_T5_mT6_P12ihipStream_tbENKUlT_T0_E_clISt17integral_constantIbLb1EESU_EEDaSP_SQ_EUlSP_E0_NS1_11comp_targetILNS1_3genE4ELNS1_11target_archE910ELNS1_3gpuE8ELNS1_3repE0EEENS1_30default_config_static_selectorELNS0_4arch9wavefront6targetE1EEEvT1_.kd
    .uniform_work_group_size: 1
    .uses_dynamic_stack: false
    .vgpr_count:     27
    .vgpr_spill_count: 0
    .wavefront_size: 64
  - .agpr_count:     0
    .args:
      - .offset:         0
        .size:           32
        .value_kind:     by_value
    .group_segment_fixed_size: 0
    .kernarg_segment_align: 8
    .kernarg_segment_size: 32
    .language:       OpenCL C
    .language_version:
      - 2
      - 0
    .max_flat_workgroup_size: 256
    .name:           _ZN7rocprim17ROCPRIM_400000_NS6detail17trampoline_kernelINS0_14default_configENS1_20scan_config_selectorIiEEZZNS1_9scan_implILNS1_25lookback_scan_determinismE0ELb0ELb0ES3_N6thrust23THRUST_200600_302600_NS6detail15normal_iteratorINS9_10device_ptrIiEEEESE_iNS9_4plusIiEEiEEDaPvRmT3_T4_T5_mT6_P12ihipStream_tbENKUlT_T0_E_clISt17integral_constantIbLb1EESU_EEDaSP_SQ_EUlSP_E0_NS1_11comp_targetILNS1_3genE3ELNS1_11target_archE908ELNS1_3gpuE7ELNS1_3repE0EEENS1_30default_config_static_selectorELNS0_4arch9wavefront6targetE1EEEvT1_
    .private_segment_fixed_size: 0
    .sgpr_count:     4
    .sgpr_spill_count: 0
    .symbol:         _ZN7rocprim17ROCPRIM_400000_NS6detail17trampoline_kernelINS0_14default_configENS1_20scan_config_selectorIiEEZZNS1_9scan_implILNS1_25lookback_scan_determinismE0ELb0ELb0ES3_N6thrust23THRUST_200600_302600_NS6detail15normal_iteratorINS9_10device_ptrIiEEEESE_iNS9_4plusIiEEiEEDaPvRmT3_T4_T5_mT6_P12ihipStream_tbENKUlT_T0_E_clISt17integral_constantIbLb1EESU_EEDaSP_SQ_EUlSP_E0_NS1_11comp_targetILNS1_3genE3ELNS1_11target_archE908ELNS1_3gpuE7ELNS1_3repE0EEENS1_30default_config_static_selectorELNS0_4arch9wavefront6targetE1EEEvT1_.kd
    .uniform_work_group_size: 1
    .uses_dynamic_stack: false
    .vgpr_count:     0
    .vgpr_spill_count: 0
    .wavefront_size: 64
  - .agpr_count:     0
    .args:
      - .offset:         0
        .size:           32
        .value_kind:     by_value
    .group_segment_fixed_size: 0
    .kernarg_segment_align: 8
    .kernarg_segment_size: 32
    .language:       OpenCL C
    .language_version:
      - 2
      - 0
    .max_flat_workgroup_size: 256
    .name:           _ZN7rocprim17ROCPRIM_400000_NS6detail17trampoline_kernelINS0_14default_configENS1_20scan_config_selectorIiEEZZNS1_9scan_implILNS1_25lookback_scan_determinismE0ELb0ELb0ES3_N6thrust23THRUST_200600_302600_NS6detail15normal_iteratorINS9_10device_ptrIiEEEESE_iNS9_4plusIiEEiEEDaPvRmT3_T4_T5_mT6_P12ihipStream_tbENKUlT_T0_E_clISt17integral_constantIbLb1EESU_EEDaSP_SQ_EUlSP_E0_NS1_11comp_targetILNS1_3genE2ELNS1_11target_archE906ELNS1_3gpuE6ELNS1_3repE0EEENS1_30default_config_static_selectorELNS0_4arch9wavefront6targetE1EEEvT1_
    .private_segment_fixed_size: 0
    .sgpr_count:     4
    .sgpr_spill_count: 0
    .symbol:         _ZN7rocprim17ROCPRIM_400000_NS6detail17trampoline_kernelINS0_14default_configENS1_20scan_config_selectorIiEEZZNS1_9scan_implILNS1_25lookback_scan_determinismE0ELb0ELb0ES3_N6thrust23THRUST_200600_302600_NS6detail15normal_iteratorINS9_10device_ptrIiEEEESE_iNS9_4plusIiEEiEEDaPvRmT3_T4_T5_mT6_P12ihipStream_tbENKUlT_T0_E_clISt17integral_constantIbLb1EESU_EEDaSP_SQ_EUlSP_E0_NS1_11comp_targetILNS1_3genE2ELNS1_11target_archE906ELNS1_3gpuE6ELNS1_3repE0EEENS1_30default_config_static_selectorELNS0_4arch9wavefront6targetE1EEEvT1_.kd
    .uniform_work_group_size: 1
    .uses_dynamic_stack: false
    .vgpr_count:     0
    .vgpr_spill_count: 0
    .wavefront_size: 64
  - .agpr_count:     0
    .args:
      - .offset:         0
        .size:           32
        .value_kind:     by_value
    .group_segment_fixed_size: 0
    .kernarg_segment_align: 8
    .kernarg_segment_size: 32
    .language:       OpenCL C
    .language_version:
      - 2
      - 0
    .max_flat_workgroup_size: 256
    .name:           _ZN7rocprim17ROCPRIM_400000_NS6detail17trampoline_kernelINS0_14default_configENS1_20scan_config_selectorIiEEZZNS1_9scan_implILNS1_25lookback_scan_determinismE0ELb0ELb0ES3_N6thrust23THRUST_200600_302600_NS6detail15normal_iteratorINS9_10device_ptrIiEEEESE_iNS9_4plusIiEEiEEDaPvRmT3_T4_T5_mT6_P12ihipStream_tbENKUlT_T0_E_clISt17integral_constantIbLb1EESU_EEDaSP_SQ_EUlSP_E0_NS1_11comp_targetILNS1_3genE10ELNS1_11target_archE1201ELNS1_3gpuE5ELNS1_3repE0EEENS1_30default_config_static_selectorELNS0_4arch9wavefront6targetE1EEEvT1_
    .private_segment_fixed_size: 0
    .sgpr_count:     4
    .sgpr_spill_count: 0
    .symbol:         _ZN7rocprim17ROCPRIM_400000_NS6detail17trampoline_kernelINS0_14default_configENS1_20scan_config_selectorIiEEZZNS1_9scan_implILNS1_25lookback_scan_determinismE0ELb0ELb0ES3_N6thrust23THRUST_200600_302600_NS6detail15normal_iteratorINS9_10device_ptrIiEEEESE_iNS9_4plusIiEEiEEDaPvRmT3_T4_T5_mT6_P12ihipStream_tbENKUlT_T0_E_clISt17integral_constantIbLb1EESU_EEDaSP_SQ_EUlSP_E0_NS1_11comp_targetILNS1_3genE10ELNS1_11target_archE1201ELNS1_3gpuE5ELNS1_3repE0EEENS1_30default_config_static_selectorELNS0_4arch9wavefront6targetE1EEEvT1_.kd
    .uniform_work_group_size: 1
    .uses_dynamic_stack: false
    .vgpr_count:     0
    .vgpr_spill_count: 0
    .wavefront_size: 64
  - .agpr_count:     0
    .args:
      - .offset:         0
        .size:           32
        .value_kind:     by_value
    .group_segment_fixed_size: 0
    .kernarg_segment_align: 8
    .kernarg_segment_size: 32
    .language:       OpenCL C
    .language_version:
      - 2
      - 0
    .max_flat_workgroup_size: 256
    .name:           _ZN7rocprim17ROCPRIM_400000_NS6detail17trampoline_kernelINS0_14default_configENS1_20scan_config_selectorIiEEZZNS1_9scan_implILNS1_25lookback_scan_determinismE0ELb0ELb0ES3_N6thrust23THRUST_200600_302600_NS6detail15normal_iteratorINS9_10device_ptrIiEEEESE_iNS9_4plusIiEEiEEDaPvRmT3_T4_T5_mT6_P12ihipStream_tbENKUlT_T0_E_clISt17integral_constantIbLb1EESU_EEDaSP_SQ_EUlSP_E0_NS1_11comp_targetILNS1_3genE10ELNS1_11target_archE1200ELNS1_3gpuE4ELNS1_3repE0EEENS1_30default_config_static_selectorELNS0_4arch9wavefront6targetE1EEEvT1_
    .private_segment_fixed_size: 0
    .sgpr_count:     4
    .sgpr_spill_count: 0
    .symbol:         _ZN7rocprim17ROCPRIM_400000_NS6detail17trampoline_kernelINS0_14default_configENS1_20scan_config_selectorIiEEZZNS1_9scan_implILNS1_25lookback_scan_determinismE0ELb0ELb0ES3_N6thrust23THRUST_200600_302600_NS6detail15normal_iteratorINS9_10device_ptrIiEEEESE_iNS9_4plusIiEEiEEDaPvRmT3_T4_T5_mT6_P12ihipStream_tbENKUlT_T0_E_clISt17integral_constantIbLb1EESU_EEDaSP_SQ_EUlSP_E0_NS1_11comp_targetILNS1_3genE10ELNS1_11target_archE1200ELNS1_3gpuE4ELNS1_3repE0EEENS1_30default_config_static_selectorELNS0_4arch9wavefront6targetE1EEEvT1_.kd
    .uniform_work_group_size: 1
    .uses_dynamic_stack: false
    .vgpr_count:     0
    .vgpr_spill_count: 0
    .wavefront_size: 64
  - .agpr_count:     0
    .args:
      - .offset:         0
        .size:           32
        .value_kind:     by_value
    .group_segment_fixed_size: 0
    .kernarg_segment_align: 8
    .kernarg_segment_size: 32
    .language:       OpenCL C
    .language_version:
      - 2
      - 0
    .max_flat_workgroup_size: 256
    .name:           _ZN7rocprim17ROCPRIM_400000_NS6detail17trampoline_kernelINS0_14default_configENS1_20scan_config_selectorIiEEZZNS1_9scan_implILNS1_25lookback_scan_determinismE0ELb0ELb0ES3_N6thrust23THRUST_200600_302600_NS6detail15normal_iteratorINS9_10device_ptrIiEEEESE_iNS9_4plusIiEEiEEDaPvRmT3_T4_T5_mT6_P12ihipStream_tbENKUlT_T0_E_clISt17integral_constantIbLb1EESU_EEDaSP_SQ_EUlSP_E0_NS1_11comp_targetILNS1_3genE9ELNS1_11target_archE1100ELNS1_3gpuE3ELNS1_3repE0EEENS1_30default_config_static_selectorELNS0_4arch9wavefront6targetE1EEEvT1_
    .private_segment_fixed_size: 0
    .sgpr_count:     4
    .sgpr_spill_count: 0
    .symbol:         _ZN7rocprim17ROCPRIM_400000_NS6detail17trampoline_kernelINS0_14default_configENS1_20scan_config_selectorIiEEZZNS1_9scan_implILNS1_25lookback_scan_determinismE0ELb0ELb0ES3_N6thrust23THRUST_200600_302600_NS6detail15normal_iteratorINS9_10device_ptrIiEEEESE_iNS9_4plusIiEEiEEDaPvRmT3_T4_T5_mT6_P12ihipStream_tbENKUlT_T0_E_clISt17integral_constantIbLb1EESU_EEDaSP_SQ_EUlSP_E0_NS1_11comp_targetILNS1_3genE9ELNS1_11target_archE1100ELNS1_3gpuE3ELNS1_3repE0EEENS1_30default_config_static_selectorELNS0_4arch9wavefront6targetE1EEEvT1_.kd
    .uniform_work_group_size: 1
    .uses_dynamic_stack: false
    .vgpr_count:     0
    .vgpr_spill_count: 0
    .wavefront_size: 64
  - .agpr_count:     0
    .args:
      - .offset:         0
        .size:           32
        .value_kind:     by_value
    .group_segment_fixed_size: 0
    .kernarg_segment_align: 8
    .kernarg_segment_size: 32
    .language:       OpenCL C
    .language_version:
      - 2
      - 0
    .max_flat_workgroup_size: 64
    .name:           _ZN7rocprim17ROCPRIM_400000_NS6detail17trampoline_kernelINS0_14default_configENS1_20scan_config_selectorIiEEZZNS1_9scan_implILNS1_25lookback_scan_determinismE0ELb0ELb0ES3_N6thrust23THRUST_200600_302600_NS6detail15normal_iteratorINS9_10device_ptrIiEEEESE_iNS9_4plusIiEEiEEDaPvRmT3_T4_T5_mT6_P12ihipStream_tbENKUlT_T0_E_clISt17integral_constantIbLb1EESU_EEDaSP_SQ_EUlSP_E0_NS1_11comp_targetILNS1_3genE8ELNS1_11target_archE1030ELNS1_3gpuE2ELNS1_3repE0EEENS1_30default_config_static_selectorELNS0_4arch9wavefront6targetE1EEEvT1_
    .private_segment_fixed_size: 0
    .sgpr_count:     4
    .sgpr_spill_count: 0
    .symbol:         _ZN7rocprim17ROCPRIM_400000_NS6detail17trampoline_kernelINS0_14default_configENS1_20scan_config_selectorIiEEZZNS1_9scan_implILNS1_25lookback_scan_determinismE0ELb0ELb0ES3_N6thrust23THRUST_200600_302600_NS6detail15normal_iteratorINS9_10device_ptrIiEEEESE_iNS9_4plusIiEEiEEDaPvRmT3_T4_T5_mT6_P12ihipStream_tbENKUlT_T0_E_clISt17integral_constantIbLb1EESU_EEDaSP_SQ_EUlSP_E0_NS1_11comp_targetILNS1_3genE8ELNS1_11target_archE1030ELNS1_3gpuE2ELNS1_3repE0EEENS1_30default_config_static_selectorELNS0_4arch9wavefront6targetE1EEEvT1_.kd
    .uniform_work_group_size: 1
    .uses_dynamic_stack: false
    .vgpr_count:     0
    .vgpr_spill_count: 0
    .wavefront_size: 64
  - .agpr_count:     0
    .args:
      - .address_space:  global
        .offset:         0
        .size:           8
        .value_kind:     global_buffer
      - .offset:         8
        .size:           4
        .value_kind:     by_value
      - .offset:         12
        .size:           1
        .value_kind:     by_value
      - .offset:         16
        .size:           4
        .value_kind:     by_value
      - .address_space:  global
        .offset:         24
        .size:           8
        .value_kind:     global_buffer
      - .offset:         32
        .size:           4
        .value_kind:     hidden_block_count_x
      - .offset:         36
        .size:           4
        .value_kind:     hidden_block_count_y
      - .offset:         40
        .size:           4
        .value_kind:     hidden_block_count_z
      - .offset:         44
        .size:           2
        .value_kind:     hidden_group_size_x
      - .offset:         46
        .size:           2
        .value_kind:     hidden_group_size_y
      - .offset:         48
        .size:           2
        .value_kind:     hidden_group_size_z
      - .offset:         50
        .size:           2
        .value_kind:     hidden_remainder_x
      - .offset:         52
        .size:           2
        .value_kind:     hidden_remainder_y
      - .offset:         54
        .size:           2
        .value_kind:     hidden_remainder_z
      - .offset:         72
        .size:           8
        .value_kind:     hidden_global_offset_x
      - .offset:         80
        .size:           8
        .value_kind:     hidden_global_offset_y
      - .offset:         88
        .size:           8
        .value_kind:     hidden_global_offset_z
      - .offset:         96
        .size:           2
        .value_kind:     hidden_grid_dims
    .group_segment_fixed_size: 0
    .kernarg_segment_align: 8
    .kernarg_segment_size: 288
    .language:       OpenCL C
    .language_version:
      - 2
      - 0
    .max_flat_workgroup_size: 256
    .name:           _ZN7rocprim17ROCPRIM_400000_NS6detail31init_lookback_scan_state_kernelINS1_19lookback_scan_stateIiLb1ELb1EEENS1_16block_id_wrapperIjLb0EEEEEvT_jT0_jPNS7_10value_typeE
    .private_segment_fixed_size: 0
    .sgpr_count:     16
    .sgpr_spill_count: 0
    .symbol:         _ZN7rocprim17ROCPRIM_400000_NS6detail31init_lookback_scan_state_kernelINS1_19lookback_scan_stateIiLb1ELb1EEENS1_16block_id_wrapperIjLb0EEEEEvT_jT0_jPNS7_10value_typeE.kd
    .uniform_work_group_size: 1
    .uses_dynamic_stack: false
    .vgpr_count:     6
    .vgpr_spill_count: 0
    .wavefront_size: 64
  - .agpr_count:     0
    .args:
      - .offset:         0
        .size:           96
        .value_kind:     by_value
    .group_segment_fixed_size: 0
    .kernarg_segment_align: 8
    .kernarg_segment_size: 96
    .language:       OpenCL C
    .language_version:
      - 2
      - 0
    .max_flat_workgroup_size: 256
    .name:           _ZN7rocprim17ROCPRIM_400000_NS6detail17trampoline_kernelINS0_14default_configENS1_20scan_config_selectorIiEEZZNS1_9scan_implILNS1_25lookback_scan_determinismE0ELb0ELb0ES3_N6thrust23THRUST_200600_302600_NS6detail15normal_iteratorINS9_10device_ptrIiEEEESE_iNS9_4plusIiEEiEEDaPvRmT3_T4_T5_mT6_P12ihipStream_tbENKUlT_T0_E_clISt17integral_constantIbLb1EEST_IbLb0EEEEDaSP_SQ_EUlSP_E_NS1_11comp_targetILNS1_3genE0ELNS1_11target_archE4294967295ELNS1_3gpuE0ELNS1_3repE0EEENS1_30default_config_static_selectorELNS0_4arch9wavefront6targetE1EEEvT1_
    .private_segment_fixed_size: 0
    .sgpr_count:     4
    .sgpr_spill_count: 0
    .symbol:         _ZN7rocprim17ROCPRIM_400000_NS6detail17trampoline_kernelINS0_14default_configENS1_20scan_config_selectorIiEEZZNS1_9scan_implILNS1_25lookback_scan_determinismE0ELb0ELb0ES3_N6thrust23THRUST_200600_302600_NS6detail15normal_iteratorINS9_10device_ptrIiEEEESE_iNS9_4plusIiEEiEEDaPvRmT3_T4_T5_mT6_P12ihipStream_tbENKUlT_T0_E_clISt17integral_constantIbLb1EEST_IbLb0EEEEDaSP_SQ_EUlSP_E_NS1_11comp_targetILNS1_3genE0ELNS1_11target_archE4294967295ELNS1_3gpuE0ELNS1_3repE0EEENS1_30default_config_static_selectorELNS0_4arch9wavefront6targetE1EEEvT1_.kd
    .uniform_work_group_size: 1
    .uses_dynamic_stack: false
    .vgpr_count:     0
    .vgpr_spill_count: 0
    .wavefront_size: 64
  - .agpr_count:     0
    .args:
      - .offset:         0
        .size:           96
        .value_kind:     by_value
    .group_segment_fixed_size: 0
    .kernarg_segment_align: 8
    .kernarg_segment_size: 96
    .language:       OpenCL C
    .language_version:
      - 2
      - 0
    .max_flat_workgroup_size: 256
    .name:           _ZN7rocprim17ROCPRIM_400000_NS6detail17trampoline_kernelINS0_14default_configENS1_20scan_config_selectorIiEEZZNS1_9scan_implILNS1_25lookback_scan_determinismE0ELb0ELb0ES3_N6thrust23THRUST_200600_302600_NS6detail15normal_iteratorINS9_10device_ptrIiEEEESE_iNS9_4plusIiEEiEEDaPvRmT3_T4_T5_mT6_P12ihipStream_tbENKUlT_T0_E_clISt17integral_constantIbLb1EEST_IbLb0EEEEDaSP_SQ_EUlSP_E_NS1_11comp_targetILNS1_3genE5ELNS1_11target_archE942ELNS1_3gpuE9ELNS1_3repE0EEENS1_30default_config_static_selectorELNS0_4arch9wavefront6targetE1EEEvT1_
    .private_segment_fixed_size: 0
    .sgpr_count:     4
    .sgpr_spill_count: 0
    .symbol:         _ZN7rocprim17ROCPRIM_400000_NS6detail17trampoline_kernelINS0_14default_configENS1_20scan_config_selectorIiEEZZNS1_9scan_implILNS1_25lookback_scan_determinismE0ELb0ELb0ES3_N6thrust23THRUST_200600_302600_NS6detail15normal_iteratorINS9_10device_ptrIiEEEESE_iNS9_4plusIiEEiEEDaPvRmT3_T4_T5_mT6_P12ihipStream_tbENKUlT_T0_E_clISt17integral_constantIbLb1EEST_IbLb0EEEEDaSP_SQ_EUlSP_E_NS1_11comp_targetILNS1_3genE5ELNS1_11target_archE942ELNS1_3gpuE9ELNS1_3repE0EEENS1_30default_config_static_selectorELNS0_4arch9wavefront6targetE1EEEvT1_.kd
    .uniform_work_group_size: 1
    .uses_dynamic_stack: false
    .vgpr_count:     0
    .vgpr_spill_count: 0
    .wavefront_size: 64
  - .agpr_count:     0
    .args:
      - .offset:         0
        .size:           96
        .value_kind:     by_value
    .group_segment_fixed_size: 5120
    .kernarg_segment_align: 8
    .kernarg_segment_size: 96
    .language:       OpenCL C
    .language_version:
      - 2
      - 0
    .max_flat_workgroup_size: 128
    .name:           _ZN7rocprim17ROCPRIM_400000_NS6detail17trampoline_kernelINS0_14default_configENS1_20scan_config_selectorIiEEZZNS1_9scan_implILNS1_25lookback_scan_determinismE0ELb0ELb0ES3_N6thrust23THRUST_200600_302600_NS6detail15normal_iteratorINS9_10device_ptrIiEEEESE_iNS9_4plusIiEEiEEDaPvRmT3_T4_T5_mT6_P12ihipStream_tbENKUlT_T0_E_clISt17integral_constantIbLb1EEST_IbLb0EEEEDaSP_SQ_EUlSP_E_NS1_11comp_targetILNS1_3genE4ELNS1_11target_archE910ELNS1_3gpuE8ELNS1_3repE0EEENS1_30default_config_static_selectorELNS0_4arch9wavefront6targetE1EEEvT1_
    .private_segment_fixed_size: 0
    .sgpr_count:     32
    .sgpr_spill_count: 0
    .symbol:         _ZN7rocprim17ROCPRIM_400000_NS6detail17trampoline_kernelINS0_14default_configENS1_20scan_config_selectorIiEEZZNS1_9scan_implILNS1_25lookback_scan_determinismE0ELb0ELb0ES3_N6thrust23THRUST_200600_302600_NS6detail15normal_iteratorINS9_10device_ptrIiEEEESE_iNS9_4plusIiEEiEEDaPvRmT3_T4_T5_mT6_P12ihipStream_tbENKUlT_T0_E_clISt17integral_constantIbLb1EEST_IbLb0EEEEDaSP_SQ_EUlSP_E_NS1_11comp_targetILNS1_3genE4ELNS1_11target_archE910ELNS1_3gpuE8ELNS1_3repE0EEENS1_30default_config_static_selectorELNS0_4arch9wavefront6targetE1EEEvT1_.kd
    .uniform_work_group_size: 1
    .uses_dynamic_stack: false
    .vgpr_count:     40
    .vgpr_spill_count: 0
    .wavefront_size: 64
  - .agpr_count:     0
    .args:
      - .offset:         0
        .size:           96
        .value_kind:     by_value
    .group_segment_fixed_size: 0
    .kernarg_segment_align: 8
    .kernarg_segment_size: 96
    .language:       OpenCL C
    .language_version:
      - 2
      - 0
    .max_flat_workgroup_size: 256
    .name:           _ZN7rocprim17ROCPRIM_400000_NS6detail17trampoline_kernelINS0_14default_configENS1_20scan_config_selectorIiEEZZNS1_9scan_implILNS1_25lookback_scan_determinismE0ELb0ELb0ES3_N6thrust23THRUST_200600_302600_NS6detail15normal_iteratorINS9_10device_ptrIiEEEESE_iNS9_4plusIiEEiEEDaPvRmT3_T4_T5_mT6_P12ihipStream_tbENKUlT_T0_E_clISt17integral_constantIbLb1EEST_IbLb0EEEEDaSP_SQ_EUlSP_E_NS1_11comp_targetILNS1_3genE3ELNS1_11target_archE908ELNS1_3gpuE7ELNS1_3repE0EEENS1_30default_config_static_selectorELNS0_4arch9wavefront6targetE1EEEvT1_
    .private_segment_fixed_size: 0
    .sgpr_count:     4
    .sgpr_spill_count: 0
    .symbol:         _ZN7rocprim17ROCPRIM_400000_NS6detail17trampoline_kernelINS0_14default_configENS1_20scan_config_selectorIiEEZZNS1_9scan_implILNS1_25lookback_scan_determinismE0ELb0ELb0ES3_N6thrust23THRUST_200600_302600_NS6detail15normal_iteratorINS9_10device_ptrIiEEEESE_iNS9_4plusIiEEiEEDaPvRmT3_T4_T5_mT6_P12ihipStream_tbENKUlT_T0_E_clISt17integral_constantIbLb1EEST_IbLb0EEEEDaSP_SQ_EUlSP_E_NS1_11comp_targetILNS1_3genE3ELNS1_11target_archE908ELNS1_3gpuE7ELNS1_3repE0EEENS1_30default_config_static_selectorELNS0_4arch9wavefront6targetE1EEEvT1_.kd
    .uniform_work_group_size: 1
    .uses_dynamic_stack: false
    .vgpr_count:     0
    .vgpr_spill_count: 0
    .wavefront_size: 64
  - .agpr_count:     0
    .args:
      - .offset:         0
        .size:           96
        .value_kind:     by_value
    .group_segment_fixed_size: 0
    .kernarg_segment_align: 8
    .kernarg_segment_size: 96
    .language:       OpenCL C
    .language_version:
      - 2
      - 0
    .max_flat_workgroup_size: 256
    .name:           _ZN7rocprim17ROCPRIM_400000_NS6detail17trampoline_kernelINS0_14default_configENS1_20scan_config_selectorIiEEZZNS1_9scan_implILNS1_25lookback_scan_determinismE0ELb0ELb0ES3_N6thrust23THRUST_200600_302600_NS6detail15normal_iteratorINS9_10device_ptrIiEEEESE_iNS9_4plusIiEEiEEDaPvRmT3_T4_T5_mT6_P12ihipStream_tbENKUlT_T0_E_clISt17integral_constantIbLb1EEST_IbLb0EEEEDaSP_SQ_EUlSP_E_NS1_11comp_targetILNS1_3genE2ELNS1_11target_archE906ELNS1_3gpuE6ELNS1_3repE0EEENS1_30default_config_static_selectorELNS0_4arch9wavefront6targetE1EEEvT1_
    .private_segment_fixed_size: 0
    .sgpr_count:     4
    .sgpr_spill_count: 0
    .symbol:         _ZN7rocprim17ROCPRIM_400000_NS6detail17trampoline_kernelINS0_14default_configENS1_20scan_config_selectorIiEEZZNS1_9scan_implILNS1_25lookback_scan_determinismE0ELb0ELb0ES3_N6thrust23THRUST_200600_302600_NS6detail15normal_iteratorINS9_10device_ptrIiEEEESE_iNS9_4plusIiEEiEEDaPvRmT3_T4_T5_mT6_P12ihipStream_tbENKUlT_T0_E_clISt17integral_constantIbLb1EEST_IbLb0EEEEDaSP_SQ_EUlSP_E_NS1_11comp_targetILNS1_3genE2ELNS1_11target_archE906ELNS1_3gpuE6ELNS1_3repE0EEENS1_30default_config_static_selectorELNS0_4arch9wavefront6targetE1EEEvT1_.kd
    .uniform_work_group_size: 1
    .uses_dynamic_stack: false
    .vgpr_count:     0
    .vgpr_spill_count: 0
    .wavefront_size: 64
  - .agpr_count:     0
    .args:
      - .offset:         0
        .size:           96
        .value_kind:     by_value
    .group_segment_fixed_size: 0
    .kernarg_segment_align: 8
    .kernarg_segment_size: 96
    .language:       OpenCL C
    .language_version:
      - 2
      - 0
    .max_flat_workgroup_size: 256
    .name:           _ZN7rocprim17ROCPRIM_400000_NS6detail17trampoline_kernelINS0_14default_configENS1_20scan_config_selectorIiEEZZNS1_9scan_implILNS1_25lookback_scan_determinismE0ELb0ELb0ES3_N6thrust23THRUST_200600_302600_NS6detail15normal_iteratorINS9_10device_ptrIiEEEESE_iNS9_4plusIiEEiEEDaPvRmT3_T4_T5_mT6_P12ihipStream_tbENKUlT_T0_E_clISt17integral_constantIbLb1EEST_IbLb0EEEEDaSP_SQ_EUlSP_E_NS1_11comp_targetILNS1_3genE10ELNS1_11target_archE1201ELNS1_3gpuE5ELNS1_3repE0EEENS1_30default_config_static_selectorELNS0_4arch9wavefront6targetE1EEEvT1_
    .private_segment_fixed_size: 0
    .sgpr_count:     4
    .sgpr_spill_count: 0
    .symbol:         _ZN7rocprim17ROCPRIM_400000_NS6detail17trampoline_kernelINS0_14default_configENS1_20scan_config_selectorIiEEZZNS1_9scan_implILNS1_25lookback_scan_determinismE0ELb0ELb0ES3_N6thrust23THRUST_200600_302600_NS6detail15normal_iteratorINS9_10device_ptrIiEEEESE_iNS9_4plusIiEEiEEDaPvRmT3_T4_T5_mT6_P12ihipStream_tbENKUlT_T0_E_clISt17integral_constantIbLb1EEST_IbLb0EEEEDaSP_SQ_EUlSP_E_NS1_11comp_targetILNS1_3genE10ELNS1_11target_archE1201ELNS1_3gpuE5ELNS1_3repE0EEENS1_30default_config_static_selectorELNS0_4arch9wavefront6targetE1EEEvT1_.kd
    .uniform_work_group_size: 1
    .uses_dynamic_stack: false
    .vgpr_count:     0
    .vgpr_spill_count: 0
    .wavefront_size: 64
  - .agpr_count:     0
    .args:
      - .offset:         0
        .size:           96
        .value_kind:     by_value
    .group_segment_fixed_size: 0
    .kernarg_segment_align: 8
    .kernarg_segment_size: 96
    .language:       OpenCL C
    .language_version:
      - 2
      - 0
    .max_flat_workgroup_size: 256
    .name:           _ZN7rocprim17ROCPRIM_400000_NS6detail17trampoline_kernelINS0_14default_configENS1_20scan_config_selectorIiEEZZNS1_9scan_implILNS1_25lookback_scan_determinismE0ELb0ELb0ES3_N6thrust23THRUST_200600_302600_NS6detail15normal_iteratorINS9_10device_ptrIiEEEESE_iNS9_4plusIiEEiEEDaPvRmT3_T4_T5_mT6_P12ihipStream_tbENKUlT_T0_E_clISt17integral_constantIbLb1EEST_IbLb0EEEEDaSP_SQ_EUlSP_E_NS1_11comp_targetILNS1_3genE10ELNS1_11target_archE1200ELNS1_3gpuE4ELNS1_3repE0EEENS1_30default_config_static_selectorELNS0_4arch9wavefront6targetE1EEEvT1_
    .private_segment_fixed_size: 0
    .sgpr_count:     4
    .sgpr_spill_count: 0
    .symbol:         _ZN7rocprim17ROCPRIM_400000_NS6detail17trampoline_kernelINS0_14default_configENS1_20scan_config_selectorIiEEZZNS1_9scan_implILNS1_25lookback_scan_determinismE0ELb0ELb0ES3_N6thrust23THRUST_200600_302600_NS6detail15normal_iteratorINS9_10device_ptrIiEEEESE_iNS9_4plusIiEEiEEDaPvRmT3_T4_T5_mT6_P12ihipStream_tbENKUlT_T0_E_clISt17integral_constantIbLb1EEST_IbLb0EEEEDaSP_SQ_EUlSP_E_NS1_11comp_targetILNS1_3genE10ELNS1_11target_archE1200ELNS1_3gpuE4ELNS1_3repE0EEENS1_30default_config_static_selectorELNS0_4arch9wavefront6targetE1EEEvT1_.kd
    .uniform_work_group_size: 1
    .uses_dynamic_stack: false
    .vgpr_count:     0
    .vgpr_spill_count: 0
    .wavefront_size: 64
  - .agpr_count:     0
    .args:
      - .offset:         0
        .size:           96
        .value_kind:     by_value
    .group_segment_fixed_size: 0
    .kernarg_segment_align: 8
    .kernarg_segment_size: 96
    .language:       OpenCL C
    .language_version:
      - 2
      - 0
    .max_flat_workgroup_size: 256
    .name:           _ZN7rocprim17ROCPRIM_400000_NS6detail17trampoline_kernelINS0_14default_configENS1_20scan_config_selectorIiEEZZNS1_9scan_implILNS1_25lookback_scan_determinismE0ELb0ELb0ES3_N6thrust23THRUST_200600_302600_NS6detail15normal_iteratorINS9_10device_ptrIiEEEESE_iNS9_4plusIiEEiEEDaPvRmT3_T4_T5_mT6_P12ihipStream_tbENKUlT_T0_E_clISt17integral_constantIbLb1EEST_IbLb0EEEEDaSP_SQ_EUlSP_E_NS1_11comp_targetILNS1_3genE9ELNS1_11target_archE1100ELNS1_3gpuE3ELNS1_3repE0EEENS1_30default_config_static_selectorELNS0_4arch9wavefront6targetE1EEEvT1_
    .private_segment_fixed_size: 0
    .sgpr_count:     4
    .sgpr_spill_count: 0
    .symbol:         _ZN7rocprim17ROCPRIM_400000_NS6detail17trampoline_kernelINS0_14default_configENS1_20scan_config_selectorIiEEZZNS1_9scan_implILNS1_25lookback_scan_determinismE0ELb0ELb0ES3_N6thrust23THRUST_200600_302600_NS6detail15normal_iteratorINS9_10device_ptrIiEEEESE_iNS9_4plusIiEEiEEDaPvRmT3_T4_T5_mT6_P12ihipStream_tbENKUlT_T0_E_clISt17integral_constantIbLb1EEST_IbLb0EEEEDaSP_SQ_EUlSP_E_NS1_11comp_targetILNS1_3genE9ELNS1_11target_archE1100ELNS1_3gpuE3ELNS1_3repE0EEENS1_30default_config_static_selectorELNS0_4arch9wavefront6targetE1EEEvT1_.kd
    .uniform_work_group_size: 1
    .uses_dynamic_stack: false
    .vgpr_count:     0
    .vgpr_spill_count: 0
    .wavefront_size: 64
  - .agpr_count:     0
    .args:
      - .offset:         0
        .size:           96
        .value_kind:     by_value
    .group_segment_fixed_size: 0
    .kernarg_segment_align: 8
    .kernarg_segment_size: 96
    .language:       OpenCL C
    .language_version:
      - 2
      - 0
    .max_flat_workgroup_size: 64
    .name:           _ZN7rocprim17ROCPRIM_400000_NS6detail17trampoline_kernelINS0_14default_configENS1_20scan_config_selectorIiEEZZNS1_9scan_implILNS1_25lookback_scan_determinismE0ELb0ELb0ES3_N6thrust23THRUST_200600_302600_NS6detail15normal_iteratorINS9_10device_ptrIiEEEESE_iNS9_4plusIiEEiEEDaPvRmT3_T4_T5_mT6_P12ihipStream_tbENKUlT_T0_E_clISt17integral_constantIbLb1EEST_IbLb0EEEEDaSP_SQ_EUlSP_E_NS1_11comp_targetILNS1_3genE8ELNS1_11target_archE1030ELNS1_3gpuE2ELNS1_3repE0EEENS1_30default_config_static_selectorELNS0_4arch9wavefront6targetE1EEEvT1_
    .private_segment_fixed_size: 0
    .sgpr_count:     4
    .sgpr_spill_count: 0
    .symbol:         _ZN7rocprim17ROCPRIM_400000_NS6detail17trampoline_kernelINS0_14default_configENS1_20scan_config_selectorIiEEZZNS1_9scan_implILNS1_25lookback_scan_determinismE0ELb0ELb0ES3_N6thrust23THRUST_200600_302600_NS6detail15normal_iteratorINS9_10device_ptrIiEEEESE_iNS9_4plusIiEEiEEDaPvRmT3_T4_T5_mT6_P12ihipStream_tbENKUlT_T0_E_clISt17integral_constantIbLb1EEST_IbLb0EEEEDaSP_SQ_EUlSP_E_NS1_11comp_targetILNS1_3genE8ELNS1_11target_archE1030ELNS1_3gpuE2ELNS1_3repE0EEENS1_30default_config_static_selectorELNS0_4arch9wavefront6targetE1EEEvT1_.kd
    .uniform_work_group_size: 1
    .uses_dynamic_stack: false
    .vgpr_count:     0
    .vgpr_spill_count: 0
    .wavefront_size: 64
  - .agpr_count:     0
    .args:
      - .offset:         0
        .size:           32
        .value_kind:     by_value
    .group_segment_fixed_size: 0
    .kernarg_segment_align: 8
    .kernarg_segment_size: 32
    .language:       OpenCL C
    .language_version:
      - 2
      - 0
    .max_flat_workgroup_size: 256
    .name:           _ZN7rocprim17ROCPRIM_400000_NS6detail17trampoline_kernelINS0_14default_configENS1_20scan_config_selectorIiEEZZNS1_9scan_implILNS1_25lookback_scan_determinismE0ELb0ELb0ES3_N6thrust23THRUST_200600_302600_NS6detail15normal_iteratorINS9_10device_ptrIiEEEESE_iNS9_4plusIiEEiEEDaPvRmT3_T4_T5_mT6_P12ihipStream_tbENKUlT_T0_E_clISt17integral_constantIbLb1EEST_IbLb0EEEEDaSP_SQ_EUlSP_E0_NS1_11comp_targetILNS1_3genE0ELNS1_11target_archE4294967295ELNS1_3gpuE0ELNS1_3repE0EEENS1_30default_config_static_selectorELNS0_4arch9wavefront6targetE1EEEvT1_
    .private_segment_fixed_size: 0
    .sgpr_count:     4
    .sgpr_spill_count: 0
    .symbol:         _ZN7rocprim17ROCPRIM_400000_NS6detail17trampoline_kernelINS0_14default_configENS1_20scan_config_selectorIiEEZZNS1_9scan_implILNS1_25lookback_scan_determinismE0ELb0ELb0ES3_N6thrust23THRUST_200600_302600_NS6detail15normal_iteratorINS9_10device_ptrIiEEEESE_iNS9_4plusIiEEiEEDaPvRmT3_T4_T5_mT6_P12ihipStream_tbENKUlT_T0_E_clISt17integral_constantIbLb1EEST_IbLb0EEEEDaSP_SQ_EUlSP_E0_NS1_11comp_targetILNS1_3genE0ELNS1_11target_archE4294967295ELNS1_3gpuE0ELNS1_3repE0EEENS1_30default_config_static_selectorELNS0_4arch9wavefront6targetE1EEEvT1_.kd
    .uniform_work_group_size: 1
    .uses_dynamic_stack: false
    .vgpr_count:     0
    .vgpr_spill_count: 0
    .wavefront_size: 64
  - .agpr_count:     0
    .args:
      - .offset:         0
        .size:           32
        .value_kind:     by_value
    .group_segment_fixed_size: 0
    .kernarg_segment_align: 8
    .kernarg_segment_size: 32
    .language:       OpenCL C
    .language_version:
      - 2
      - 0
    .max_flat_workgroup_size: 256
    .name:           _ZN7rocprim17ROCPRIM_400000_NS6detail17trampoline_kernelINS0_14default_configENS1_20scan_config_selectorIiEEZZNS1_9scan_implILNS1_25lookback_scan_determinismE0ELb0ELb0ES3_N6thrust23THRUST_200600_302600_NS6detail15normal_iteratorINS9_10device_ptrIiEEEESE_iNS9_4plusIiEEiEEDaPvRmT3_T4_T5_mT6_P12ihipStream_tbENKUlT_T0_E_clISt17integral_constantIbLb1EEST_IbLb0EEEEDaSP_SQ_EUlSP_E0_NS1_11comp_targetILNS1_3genE5ELNS1_11target_archE942ELNS1_3gpuE9ELNS1_3repE0EEENS1_30default_config_static_selectorELNS0_4arch9wavefront6targetE1EEEvT1_
    .private_segment_fixed_size: 0
    .sgpr_count:     4
    .sgpr_spill_count: 0
    .symbol:         _ZN7rocprim17ROCPRIM_400000_NS6detail17trampoline_kernelINS0_14default_configENS1_20scan_config_selectorIiEEZZNS1_9scan_implILNS1_25lookback_scan_determinismE0ELb0ELb0ES3_N6thrust23THRUST_200600_302600_NS6detail15normal_iteratorINS9_10device_ptrIiEEEESE_iNS9_4plusIiEEiEEDaPvRmT3_T4_T5_mT6_P12ihipStream_tbENKUlT_T0_E_clISt17integral_constantIbLb1EEST_IbLb0EEEEDaSP_SQ_EUlSP_E0_NS1_11comp_targetILNS1_3genE5ELNS1_11target_archE942ELNS1_3gpuE9ELNS1_3repE0EEENS1_30default_config_static_selectorELNS0_4arch9wavefront6targetE1EEEvT1_.kd
    .uniform_work_group_size: 1
    .uses_dynamic_stack: false
    .vgpr_count:     0
    .vgpr_spill_count: 0
    .wavefront_size: 64
  - .agpr_count:     0
    .args:
      - .offset:         0
        .size:           32
        .value_kind:     by_value
    .group_segment_fixed_size: 5120
    .kernarg_segment_align: 8
    .kernarg_segment_size: 32
    .language:       OpenCL C
    .language_version:
      - 2
      - 0
    .max_flat_workgroup_size: 128
    .name:           _ZN7rocprim17ROCPRIM_400000_NS6detail17trampoline_kernelINS0_14default_configENS1_20scan_config_selectorIiEEZZNS1_9scan_implILNS1_25lookback_scan_determinismE0ELb0ELb0ES3_N6thrust23THRUST_200600_302600_NS6detail15normal_iteratorINS9_10device_ptrIiEEEESE_iNS9_4plusIiEEiEEDaPvRmT3_T4_T5_mT6_P12ihipStream_tbENKUlT_T0_E_clISt17integral_constantIbLb1EEST_IbLb0EEEEDaSP_SQ_EUlSP_E0_NS1_11comp_targetILNS1_3genE4ELNS1_11target_archE910ELNS1_3gpuE8ELNS1_3repE0EEENS1_30default_config_static_selectorELNS0_4arch9wavefront6targetE1EEEvT1_
    .private_segment_fixed_size: 0
    .sgpr_count:     28
    .sgpr_spill_count: 0
    .symbol:         _ZN7rocprim17ROCPRIM_400000_NS6detail17trampoline_kernelINS0_14default_configENS1_20scan_config_selectorIiEEZZNS1_9scan_implILNS1_25lookback_scan_determinismE0ELb0ELb0ES3_N6thrust23THRUST_200600_302600_NS6detail15normal_iteratorINS9_10device_ptrIiEEEESE_iNS9_4plusIiEEiEEDaPvRmT3_T4_T5_mT6_P12ihipStream_tbENKUlT_T0_E_clISt17integral_constantIbLb1EEST_IbLb0EEEEDaSP_SQ_EUlSP_E0_NS1_11comp_targetILNS1_3genE4ELNS1_11target_archE910ELNS1_3gpuE8ELNS1_3repE0EEENS1_30default_config_static_selectorELNS0_4arch9wavefront6targetE1EEEvT1_.kd
    .uniform_work_group_size: 1
    .uses_dynamic_stack: false
    .vgpr_count:     27
    .vgpr_spill_count: 0
    .wavefront_size: 64
  - .agpr_count:     0
    .args:
      - .offset:         0
        .size:           32
        .value_kind:     by_value
    .group_segment_fixed_size: 0
    .kernarg_segment_align: 8
    .kernarg_segment_size: 32
    .language:       OpenCL C
    .language_version:
      - 2
      - 0
    .max_flat_workgroup_size: 256
    .name:           _ZN7rocprim17ROCPRIM_400000_NS6detail17trampoline_kernelINS0_14default_configENS1_20scan_config_selectorIiEEZZNS1_9scan_implILNS1_25lookback_scan_determinismE0ELb0ELb0ES3_N6thrust23THRUST_200600_302600_NS6detail15normal_iteratorINS9_10device_ptrIiEEEESE_iNS9_4plusIiEEiEEDaPvRmT3_T4_T5_mT6_P12ihipStream_tbENKUlT_T0_E_clISt17integral_constantIbLb1EEST_IbLb0EEEEDaSP_SQ_EUlSP_E0_NS1_11comp_targetILNS1_3genE3ELNS1_11target_archE908ELNS1_3gpuE7ELNS1_3repE0EEENS1_30default_config_static_selectorELNS0_4arch9wavefront6targetE1EEEvT1_
    .private_segment_fixed_size: 0
    .sgpr_count:     4
    .sgpr_spill_count: 0
    .symbol:         _ZN7rocprim17ROCPRIM_400000_NS6detail17trampoline_kernelINS0_14default_configENS1_20scan_config_selectorIiEEZZNS1_9scan_implILNS1_25lookback_scan_determinismE0ELb0ELb0ES3_N6thrust23THRUST_200600_302600_NS6detail15normal_iteratorINS9_10device_ptrIiEEEESE_iNS9_4plusIiEEiEEDaPvRmT3_T4_T5_mT6_P12ihipStream_tbENKUlT_T0_E_clISt17integral_constantIbLb1EEST_IbLb0EEEEDaSP_SQ_EUlSP_E0_NS1_11comp_targetILNS1_3genE3ELNS1_11target_archE908ELNS1_3gpuE7ELNS1_3repE0EEENS1_30default_config_static_selectorELNS0_4arch9wavefront6targetE1EEEvT1_.kd
    .uniform_work_group_size: 1
    .uses_dynamic_stack: false
    .vgpr_count:     0
    .vgpr_spill_count: 0
    .wavefront_size: 64
  - .agpr_count:     0
    .args:
      - .offset:         0
        .size:           32
        .value_kind:     by_value
    .group_segment_fixed_size: 0
    .kernarg_segment_align: 8
    .kernarg_segment_size: 32
    .language:       OpenCL C
    .language_version:
      - 2
      - 0
    .max_flat_workgroup_size: 256
    .name:           _ZN7rocprim17ROCPRIM_400000_NS6detail17trampoline_kernelINS0_14default_configENS1_20scan_config_selectorIiEEZZNS1_9scan_implILNS1_25lookback_scan_determinismE0ELb0ELb0ES3_N6thrust23THRUST_200600_302600_NS6detail15normal_iteratorINS9_10device_ptrIiEEEESE_iNS9_4plusIiEEiEEDaPvRmT3_T4_T5_mT6_P12ihipStream_tbENKUlT_T0_E_clISt17integral_constantIbLb1EEST_IbLb0EEEEDaSP_SQ_EUlSP_E0_NS1_11comp_targetILNS1_3genE2ELNS1_11target_archE906ELNS1_3gpuE6ELNS1_3repE0EEENS1_30default_config_static_selectorELNS0_4arch9wavefront6targetE1EEEvT1_
    .private_segment_fixed_size: 0
    .sgpr_count:     4
    .sgpr_spill_count: 0
    .symbol:         _ZN7rocprim17ROCPRIM_400000_NS6detail17trampoline_kernelINS0_14default_configENS1_20scan_config_selectorIiEEZZNS1_9scan_implILNS1_25lookback_scan_determinismE0ELb0ELb0ES3_N6thrust23THRUST_200600_302600_NS6detail15normal_iteratorINS9_10device_ptrIiEEEESE_iNS9_4plusIiEEiEEDaPvRmT3_T4_T5_mT6_P12ihipStream_tbENKUlT_T0_E_clISt17integral_constantIbLb1EEST_IbLb0EEEEDaSP_SQ_EUlSP_E0_NS1_11comp_targetILNS1_3genE2ELNS1_11target_archE906ELNS1_3gpuE6ELNS1_3repE0EEENS1_30default_config_static_selectorELNS0_4arch9wavefront6targetE1EEEvT1_.kd
    .uniform_work_group_size: 1
    .uses_dynamic_stack: false
    .vgpr_count:     0
    .vgpr_spill_count: 0
    .wavefront_size: 64
  - .agpr_count:     0
    .args:
      - .offset:         0
        .size:           32
        .value_kind:     by_value
    .group_segment_fixed_size: 0
    .kernarg_segment_align: 8
    .kernarg_segment_size: 32
    .language:       OpenCL C
    .language_version:
      - 2
      - 0
    .max_flat_workgroup_size: 256
    .name:           _ZN7rocprim17ROCPRIM_400000_NS6detail17trampoline_kernelINS0_14default_configENS1_20scan_config_selectorIiEEZZNS1_9scan_implILNS1_25lookback_scan_determinismE0ELb0ELb0ES3_N6thrust23THRUST_200600_302600_NS6detail15normal_iteratorINS9_10device_ptrIiEEEESE_iNS9_4plusIiEEiEEDaPvRmT3_T4_T5_mT6_P12ihipStream_tbENKUlT_T0_E_clISt17integral_constantIbLb1EEST_IbLb0EEEEDaSP_SQ_EUlSP_E0_NS1_11comp_targetILNS1_3genE10ELNS1_11target_archE1201ELNS1_3gpuE5ELNS1_3repE0EEENS1_30default_config_static_selectorELNS0_4arch9wavefront6targetE1EEEvT1_
    .private_segment_fixed_size: 0
    .sgpr_count:     4
    .sgpr_spill_count: 0
    .symbol:         _ZN7rocprim17ROCPRIM_400000_NS6detail17trampoline_kernelINS0_14default_configENS1_20scan_config_selectorIiEEZZNS1_9scan_implILNS1_25lookback_scan_determinismE0ELb0ELb0ES3_N6thrust23THRUST_200600_302600_NS6detail15normal_iteratorINS9_10device_ptrIiEEEESE_iNS9_4plusIiEEiEEDaPvRmT3_T4_T5_mT6_P12ihipStream_tbENKUlT_T0_E_clISt17integral_constantIbLb1EEST_IbLb0EEEEDaSP_SQ_EUlSP_E0_NS1_11comp_targetILNS1_3genE10ELNS1_11target_archE1201ELNS1_3gpuE5ELNS1_3repE0EEENS1_30default_config_static_selectorELNS0_4arch9wavefront6targetE1EEEvT1_.kd
    .uniform_work_group_size: 1
    .uses_dynamic_stack: false
    .vgpr_count:     0
    .vgpr_spill_count: 0
    .wavefront_size: 64
  - .agpr_count:     0
    .args:
      - .offset:         0
        .size:           32
        .value_kind:     by_value
    .group_segment_fixed_size: 0
    .kernarg_segment_align: 8
    .kernarg_segment_size: 32
    .language:       OpenCL C
    .language_version:
      - 2
      - 0
    .max_flat_workgroup_size: 256
    .name:           _ZN7rocprim17ROCPRIM_400000_NS6detail17trampoline_kernelINS0_14default_configENS1_20scan_config_selectorIiEEZZNS1_9scan_implILNS1_25lookback_scan_determinismE0ELb0ELb0ES3_N6thrust23THRUST_200600_302600_NS6detail15normal_iteratorINS9_10device_ptrIiEEEESE_iNS9_4plusIiEEiEEDaPvRmT3_T4_T5_mT6_P12ihipStream_tbENKUlT_T0_E_clISt17integral_constantIbLb1EEST_IbLb0EEEEDaSP_SQ_EUlSP_E0_NS1_11comp_targetILNS1_3genE10ELNS1_11target_archE1200ELNS1_3gpuE4ELNS1_3repE0EEENS1_30default_config_static_selectorELNS0_4arch9wavefront6targetE1EEEvT1_
    .private_segment_fixed_size: 0
    .sgpr_count:     4
    .sgpr_spill_count: 0
    .symbol:         _ZN7rocprim17ROCPRIM_400000_NS6detail17trampoline_kernelINS0_14default_configENS1_20scan_config_selectorIiEEZZNS1_9scan_implILNS1_25lookback_scan_determinismE0ELb0ELb0ES3_N6thrust23THRUST_200600_302600_NS6detail15normal_iteratorINS9_10device_ptrIiEEEESE_iNS9_4plusIiEEiEEDaPvRmT3_T4_T5_mT6_P12ihipStream_tbENKUlT_T0_E_clISt17integral_constantIbLb1EEST_IbLb0EEEEDaSP_SQ_EUlSP_E0_NS1_11comp_targetILNS1_3genE10ELNS1_11target_archE1200ELNS1_3gpuE4ELNS1_3repE0EEENS1_30default_config_static_selectorELNS0_4arch9wavefront6targetE1EEEvT1_.kd
    .uniform_work_group_size: 1
    .uses_dynamic_stack: false
    .vgpr_count:     0
    .vgpr_spill_count: 0
    .wavefront_size: 64
  - .agpr_count:     0
    .args:
      - .offset:         0
        .size:           32
        .value_kind:     by_value
    .group_segment_fixed_size: 0
    .kernarg_segment_align: 8
    .kernarg_segment_size: 32
    .language:       OpenCL C
    .language_version:
      - 2
      - 0
    .max_flat_workgroup_size: 256
    .name:           _ZN7rocprim17ROCPRIM_400000_NS6detail17trampoline_kernelINS0_14default_configENS1_20scan_config_selectorIiEEZZNS1_9scan_implILNS1_25lookback_scan_determinismE0ELb0ELb0ES3_N6thrust23THRUST_200600_302600_NS6detail15normal_iteratorINS9_10device_ptrIiEEEESE_iNS9_4plusIiEEiEEDaPvRmT3_T4_T5_mT6_P12ihipStream_tbENKUlT_T0_E_clISt17integral_constantIbLb1EEST_IbLb0EEEEDaSP_SQ_EUlSP_E0_NS1_11comp_targetILNS1_3genE9ELNS1_11target_archE1100ELNS1_3gpuE3ELNS1_3repE0EEENS1_30default_config_static_selectorELNS0_4arch9wavefront6targetE1EEEvT1_
    .private_segment_fixed_size: 0
    .sgpr_count:     4
    .sgpr_spill_count: 0
    .symbol:         _ZN7rocprim17ROCPRIM_400000_NS6detail17trampoline_kernelINS0_14default_configENS1_20scan_config_selectorIiEEZZNS1_9scan_implILNS1_25lookback_scan_determinismE0ELb0ELb0ES3_N6thrust23THRUST_200600_302600_NS6detail15normal_iteratorINS9_10device_ptrIiEEEESE_iNS9_4plusIiEEiEEDaPvRmT3_T4_T5_mT6_P12ihipStream_tbENKUlT_T0_E_clISt17integral_constantIbLb1EEST_IbLb0EEEEDaSP_SQ_EUlSP_E0_NS1_11comp_targetILNS1_3genE9ELNS1_11target_archE1100ELNS1_3gpuE3ELNS1_3repE0EEENS1_30default_config_static_selectorELNS0_4arch9wavefront6targetE1EEEvT1_.kd
    .uniform_work_group_size: 1
    .uses_dynamic_stack: false
    .vgpr_count:     0
    .vgpr_spill_count: 0
    .wavefront_size: 64
  - .agpr_count:     0
    .args:
      - .offset:         0
        .size:           32
        .value_kind:     by_value
    .group_segment_fixed_size: 0
    .kernarg_segment_align: 8
    .kernarg_segment_size: 32
    .language:       OpenCL C
    .language_version:
      - 2
      - 0
    .max_flat_workgroup_size: 64
    .name:           _ZN7rocprim17ROCPRIM_400000_NS6detail17trampoline_kernelINS0_14default_configENS1_20scan_config_selectorIiEEZZNS1_9scan_implILNS1_25lookback_scan_determinismE0ELb0ELb0ES3_N6thrust23THRUST_200600_302600_NS6detail15normal_iteratorINS9_10device_ptrIiEEEESE_iNS9_4plusIiEEiEEDaPvRmT3_T4_T5_mT6_P12ihipStream_tbENKUlT_T0_E_clISt17integral_constantIbLb1EEST_IbLb0EEEEDaSP_SQ_EUlSP_E0_NS1_11comp_targetILNS1_3genE8ELNS1_11target_archE1030ELNS1_3gpuE2ELNS1_3repE0EEENS1_30default_config_static_selectorELNS0_4arch9wavefront6targetE1EEEvT1_
    .private_segment_fixed_size: 0
    .sgpr_count:     4
    .sgpr_spill_count: 0
    .symbol:         _ZN7rocprim17ROCPRIM_400000_NS6detail17trampoline_kernelINS0_14default_configENS1_20scan_config_selectorIiEEZZNS1_9scan_implILNS1_25lookback_scan_determinismE0ELb0ELb0ES3_N6thrust23THRUST_200600_302600_NS6detail15normal_iteratorINS9_10device_ptrIiEEEESE_iNS9_4plusIiEEiEEDaPvRmT3_T4_T5_mT6_P12ihipStream_tbENKUlT_T0_E_clISt17integral_constantIbLb1EEST_IbLb0EEEEDaSP_SQ_EUlSP_E0_NS1_11comp_targetILNS1_3genE8ELNS1_11target_archE1030ELNS1_3gpuE2ELNS1_3repE0EEENS1_30default_config_static_selectorELNS0_4arch9wavefront6targetE1EEEvT1_.kd
    .uniform_work_group_size: 1
    .uses_dynamic_stack: false
    .vgpr_count:     0
    .vgpr_spill_count: 0
    .wavefront_size: 64
  - .agpr_count:     0
    .args:
      - .address_space:  global
        .offset:         0
        .size:           8
        .value_kind:     global_buffer
      - .offset:         8
        .size:           4
        .value_kind:     by_value
      - .address_space:  global
        .offset:         16
        .size:           8
        .value_kind:     global_buffer
      - .offset:         24
        .size:           4
        .value_kind:     by_value
      - .address_space:  global
        .offset:         32
        .size:           8
        .value_kind:     global_buffer
      - .offset:         40
        .size:           4
        .value_kind:     hidden_block_count_x
      - .offset:         44
        .size:           4
        .value_kind:     hidden_block_count_y
      - .offset:         48
        .size:           4
        .value_kind:     hidden_block_count_z
      - .offset:         52
        .size:           2
        .value_kind:     hidden_group_size_x
      - .offset:         54
        .size:           2
        .value_kind:     hidden_group_size_y
      - .offset:         56
        .size:           2
        .value_kind:     hidden_group_size_z
      - .offset:         58
        .size:           2
        .value_kind:     hidden_remainder_x
      - .offset:         60
        .size:           2
        .value_kind:     hidden_remainder_y
      - .offset:         62
        .size:           2
        .value_kind:     hidden_remainder_z
      - .offset:         80
        .size:           8
        .value_kind:     hidden_global_offset_x
      - .offset:         88
        .size:           8
        .value_kind:     hidden_global_offset_y
      - .offset:         96
        .size:           8
        .value_kind:     hidden_global_offset_z
      - .offset:         104
        .size:           2
        .value_kind:     hidden_grid_dims
    .group_segment_fixed_size: 0
    .kernarg_segment_align: 8
    .kernarg_segment_size: 296
    .language:       OpenCL C
    .language_version:
      - 2
      - 0
    .max_flat_workgroup_size: 256
    .name:           _ZN7rocprim17ROCPRIM_400000_NS6detail31init_lookback_scan_state_kernelINS1_19lookback_scan_stateIiLb0ELb1EEENS1_16block_id_wrapperIjLb1EEEEEvT_jT0_jPNS7_10value_typeE
    .private_segment_fixed_size: 0
    .sgpr_count:     15
    .sgpr_spill_count: 0
    .symbol:         _ZN7rocprim17ROCPRIM_400000_NS6detail31init_lookback_scan_state_kernelINS1_19lookback_scan_stateIiLb0ELb1EEENS1_16block_id_wrapperIjLb1EEEEEvT_jT0_jPNS7_10value_typeE.kd
    .uniform_work_group_size: 1
    .uses_dynamic_stack: false
    .vgpr_count:     6
    .vgpr_spill_count: 0
    .wavefront_size: 64
  - .agpr_count:     0
    .args:
      - .offset:         0
        .size:           96
        .value_kind:     by_value
    .group_segment_fixed_size: 0
    .kernarg_segment_align: 8
    .kernarg_segment_size: 96
    .language:       OpenCL C
    .language_version:
      - 2
      - 0
    .max_flat_workgroup_size: 256
    .name:           _ZN7rocprim17ROCPRIM_400000_NS6detail17trampoline_kernelINS0_14default_configENS1_20scan_config_selectorIiEEZZNS1_9scan_implILNS1_25lookback_scan_determinismE0ELb0ELb0ES3_N6thrust23THRUST_200600_302600_NS6detail15normal_iteratorINS9_10device_ptrIiEEEESE_iNS9_4plusIiEEiEEDaPvRmT3_T4_T5_mT6_P12ihipStream_tbENKUlT_T0_E_clISt17integral_constantIbLb0EEST_IbLb1EEEEDaSP_SQ_EUlSP_E_NS1_11comp_targetILNS1_3genE0ELNS1_11target_archE4294967295ELNS1_3gpuE0ELNS1_3repE0EEENS1_30default_config_static_selectorELNS0_4arch9wavefront6targetE1EEEvT1_
    .private_segment_fixed_size: 0
    .sgpr_count:     4
    .sgpr_spill_count: 0
    .symbol:         _ZN7rocprim17ROCPRIM_400000_NS6detail17trampoline_kernelINS0_14default_configENS1_20scan_config_selectorIiEEZZNS1_9scan_implILNS1_25lookback_scan_determinismE0ELb0ELb0ES3_N6thrust23THRUST_200600_302600_NS6detail15normal_iteratorINS9_10device_ptrIiEEEESE_iNS9_4plusIiEEiEEDaPvRmT3_T4_T5_mT6_P12ihipStream_tbENKUlT_T0_E_clISt17integral_constantIbLb0EEST_IbLb1EEEEDaSP_SQ_EUlSP_E_NS1_11comp_targetILNS1_3genE0ELNS1_11target_archE4294967295ELNS1_3gpuE0ELNS1_3repE0EEENS1_30default_config_static_selectorELNS0_4arch9wavefront6targetE1EEEvT1_.kd
    .uniform_work_group_size: 1
    .uses_dynamic_stack: false
    .vgpr_count:     0
    .vgpr_spill_count: 0
    .wavefront_size: 64
  - .agpr_count:     0
    .args:
      - .offset:         0
        .size:           96
        .value_kind:     by_value
    .group_segment_fixed_size: 0
    .kernarg_segment_align: 8
    .kernarg_segment_size: 96
    .language:       OpenCL C
    .language_version:
      - 2
      - 0
    .max_flat_workgroup_size: 256
    .name:           _ZN7rocprim17ROCPRIM_400000_NS6detail17trampoline_kernelINS0_14default_configENS1_20scan_config_selectorIiEEZZNS1_9scan_implILNS1_25lookback_scan_determinismE0ELb0ELb0ES3_N6thrust23THRUST_200600_302600_NS6detail15normal_iteratorINS9_10device_ptrIiEEEESE_iNS9_4plusIiEEiEEDaPvRmT3_T4_T5_mT6_P12ihipStream_tbENKUlT_T0_E_clISt17integral_constantIbLb0EEST_IbLb1EEEEDaSP_SQ_EUlSP_E_NS1_11comp_targetILNS1_3genE5ELNS1_11target_archE942ELNS1_3gpuE9ELNS1_3repE0EEENS1_30default_config_static_selectorELNS0_4arch9wavefront6targetE1EEEvT1_
    .private_segment_fixed_size: 0
    .sgpr_count:     4
    .sgpr_spill_count: 0
    .symbol:         _ZN7rocprim17ROCPRIM_400000_NS6detail17trampoline_kernelINS0_14default_configENS1_20scan_config_selectorIiEEZZNS1_9scan_implILNS1_25lookback_scan_determinismE0ELb0ELb0ES3_N6thrust23THRUST_200600_302600_NS6detail15normal_iteratorINS9_10device_ptrIiEEEESE_iNS9_4plusIiEEiEEDaPvRmT3_T4_T5_mT6_P12ihipStream_tbENKUlT_T0_E_clISt17integral_constantIbLb0EEST_IbLb1EEEEDaSP_SQ_EUlSP_E_NS1_11comp_targetILNS1_3genE5ELNS1_11target_archE942ELNS1_3gpuE9ELNS1_3repE0EEENS1_30default_config_static_selectorELNS0_4arch9wavefront6targetE1EEEvT1_.kd
    .uniform_work_group_size: 1
    .uses_dynamic_stack: false
    .vgpr_count:     0
    .vgpr_spill_count: 0
    .wavefront_size: 64
  - .agpr_count:     0
    .args:
      - .offset:         0
        .size:           96
        .value_kind:     by_value
    .group_segment_fixed_size: 5120
    .kernarg_segment_align: 8
    .kernarg_segment_size: 96
    .language:       OpenCL C
    .language_version:
      - 2
      - 0
    .max_flat_workgroup_size: 128
    .name:           _ZN7rocprim17ROCPRIM_400000_NS6detail17trampoline_kernelINS0_14default_configENS1_20scan_config_selectorIiEEZZNS1_9scan_implILNS1_25lookback_scan_determinismE0ELb0ELb0ES3_N6thrust23THRUST_200600_302600_NS6detail15normal_iteratorINS9_10device_ptrIiEEEESE_iNS9_4plusIiEEiEEDaPvRmT3_T4_T5_mT6_P12ihipStream_tbENKUlT_T0_E_clISt17integral_constantIbLb0EEST_IbLb1EEEEDaSP_SQ_EUlSP_E_NS1_11comp_targetILNS1_3genE4ELNS1_11target_archE910ELNS1_3gpuE8ELNS1_3repE0EEENS1_30default_config_static_selectorELNS0_4arch9wavefront6targetE1EEEvT1_
    .private_segment_fixed_size: 0
    .sgpr_count:     40
    .sgpr_spill_count: 0
    .symbol:         _ZN7rocprim17ROCPRIM_400000_NS6detail17trampoline_kernelINS0_14default_configENS1_20scan_config_selectorIiEEZZNS1_9scan_implILNS1_25lookback_scan_determinismE0ELb0ELb0ES3_N6thrust23THRUST_200600_302600_NS6detail15normal_iteratorINS9_10device_ptrIiEEEESE_iNS9_4plusIiEEiEEDaPvRmT3_T4_T5_mT6_P12ihipStream_tbENKUlT_T0_E_clISt17integral_constantIbLb0EEST_IbLb1EEEEDaSP_SQ_EUlSP_E_NS1_11comp_targetILNS1_3genE4ELNS1_11target_archE910ELNS1_3gpuE8ELNS1_3repE0EEENS1_30default_config_static_selectorELNS0_4arch9wavefront6targetE1EEEvT1_.kd
    .uniform_work_group_size: 1
    .uses_dynamic_stack: false
    .vgpr_count:     40
    .vgpr_spill_count: 0
    .wavefront_size: 64
  - .agpr_count:     0
    .args:
      - .offset:         0
        .size:           96
        .value_kind:     by_value
    .group_segment_fixed_size: 0
    .kernarg_segment_align: 8
    .kernarg_segment_size: 96
    .language:       OpenCL C
    .language_version:
      - 2
      - 0
    .max_flat_workgroup_size: 256
    .name:           _ZN7rocprim17ROCPRIM_400000_NS6detail17trampoline_kernelINS0_14default_configENS1_20scan_config_selectorIiEEZZNS1_9scan_implILNS1_25lookback_scan_determinismE0ELb0ELb0ES3_N6thrust23THRUST_200600_302600_NS6detail15normal_iteratorINS9_10device_ptrIiEEEESE_iNS9_4plusIiEEiEEDaPvRmT3_T4_T5_mT6_P12ihipStream_tbENKUlT_T0_E_clISt17integral_constantIbLb0EEST_IbLb1EEEEDaSP_SQ_EUlSP_E_NS1_11comp_targetILNS1_3genE3ELNS1_11target_archE908ELNS1_3gpuE7ELNS1_3repE0EEENS1_30default_config_static_selectorELNS0_4arch9wavefront6targetE1EEEvT1_
    .private_segment_fixed_size: 0
    .sgpr_count:     4
    .sgpr_spill_count: 0
    .symbol:         _ZN7rocprim17ROCPRIM_400000_NS6detail17trampoline_kernelINS0_14default_configENS1_20scan_config_selectorIiEEZZNS1_9scan_implILNS1_25lookback_scan_determinismE0ELb0ELb0ES3_N6thrust23THRUST_200600_302600_NS6detail15normal_iteratorINS9_10device_ptrIiEEEESE_iNS9_4plusIiEEiEEDaPvRmT3_T4_T5_mT6_P12ihipStream_tbENKUlT_T0_E_clISt17integral_constantIbLb0EEST_IbLb1EEEEDaSP_SQ_EUlSP_E_NS1_11comp_targetILNS1_3genE3ELNS1_11target_archE908ELNS1_3gpuE7ELNS1_3repE0EEENS1_30default_config_static_selectorELNS0_4arch9wavefront6targetE1EEEvT1_.kd
    .uniform_work_group_size: 1
    .uses_dynamic_stack: false
    .vgpr_count:     0
    .vgpr_spill_count: 0
    .wavefront_size: 64
  - .agpr_count:     0
    .args:
      - .offset:         0
        .size:           96
        .value_kind:     by_value
    .group_segment_fixed_size: 0
    .kernarg_segment_align: 8
    .kernarg_segment_size: 96
    .language:       OpenCL C
    .language_version:
      - 2
      - 0
    .max_flat_workgroup_size: 256
    .name:           _ZN7rocprim17ROCPRIM_400000_NS6detail17trampoline_kernelINS0_14default_configENS1_20scan_config_selectorIiEEZZNS1_9scan_implILNS1_25lookback_scan_determinismE0ELb0ELb0ES3_N6thrust23THRUST_200600_302600_NS6detail15normal_iteratorINS9_10device_ptrIiEEEESE_iNS9_4plusIiEEiEEDaPvRmT3_T4_T5_mT6_P12ihipStream_tbENKUlT_T0_E_clISt17integral_constantIbLb0EEST_IbLb1EEEEDaSP_SQ_EUlSP_E_NS1_11comp_targetILNS1_3genE2ELNS1_11target_archE906ELNS1_3gpuE6ELNS1_3repE0EEENS1_30default_config_static_selectorELNS0_4arch9wavefront6targetE1EEEvT1_
    .private_segment_fixed_size: 0
    .sgpr_count:     4
    .sgpr_spill_count: 0
    .symbol:         _ZN7rocprim17ROCPRIM_400000_NS6detail17trampoline_kernelINS0_14default_configENS1_20scan_config_selectorIiEEZZNS1_9scan_implILNS1_25lookback_scan_determinismE0ELb0ELb0ES3_N6thrust23THRUST_200600_302600_NS6detail15normal_iteratorINS9_10device_ptrIiEEEESE_iNS9_4plusIiEEiEEDaPvRmT3_T4_T5_mT6_P12ihipStream_tbENKUlT_T0_E_clISt17integral_constantIbLb0EEST_IbLb1EEEEDaSP_SQ_EUlSP_E_NS1_11comp_targetILNS1_3genE2ELNS1_11target_archE906ELNS1_3gpuE6ELNS1_3repE0EEENS1_30default_config_static_selectorELNS0_4arch9wavefront6targetE1EEEvT1_.kd
    .uniform_work_group_size: 1
    .uses_dynamic_stack: false
    .vgpr_count:     0
    .vgpr_spill_count: 0
    .wavefront_size: 64
  - .agpr_count:     0
    .args:
      - .offset:         0
        .size:           96
        .value_kind:     by_value
    .group_segment_fixed_size: 0
    .kernarg_segment_align: 8
    .kernarg_segment_size: 96
    .language:       OpenCL C
    .language_version:
      - 2
      - 0
    .max_flat_workgroup_size: 256
    .name:           _ZN7rocprim17ROCPRIM_400000_NS6detail17trampoline_kernelINS0_14default_configENS1_20scan_config_selectorIiEEZZNS1_9scan_implILNS1_25lookback_scan_determinismE0ELb0ELb0ES3_N6thrust23THRUST_200600_302600_NS6detail15normal_iteratorINS9_10device_ptrIiEEEESE_iNS9_4plusIiEEiEEDaPvRmT3_T4_T5_mT6_P12ihipStream_tbENKUlT_T0_E_clISt17integral_constantIbLb0EEST_IbLb1EEEEDaSP_SQ_EUlSP_E_NS1_11comp_targetILNS1_3genE10ELNS1_11target_archE1201ELNS1_3gpuE5ELNS1_3repE0EEENS1_30default_config_static_selectorELNS0_4arch9wavefront6targetE1EEEvT1_
    .private_segment_fixed_size: 0
    .sgpr_count:     4
    .sgpr_spill_count: 0
    .symbol:         _ZN7rocprim17ROCPRIM_400000_NS6detail17trampoline_kernelINS0_14default_configENS1_20scan_config_selectorIiEEZZNS1_9scan_implILNS1_25lookback_scan_determinismE0ELb0ELb0ES3_N6thrust23THRUST_200600_302600_NS6detail15normal_iteratorINS9_10device_ptrIiEEEESE_iNS9_4plusIiEEiEEDaPvRmT3_T4_T5_mT6_P12ihipStream_tbENKUlT_T0_E_clISt17integral_constantIbLb0EEST_IbLb1EEEEDaSP_SQ_EUlSP_E_NS1_11comp_targetILNS1_3genE10ELNS1_11target_archE1201ELNS1_3gpuE5ELNS1_3repE0EEENS1_30default_config_static_selectorELNS0_4arch9wavefront6targetE1EEEvT1_.kd
    .uniform_work_group_size: 1
    .uses_dynamic_stack: false
    .vgpr_count:     0
    .vgpr_spill_count: 0
    .wavefront_size: 64
  - .agpr_count:     0
    .args:
      - .offset:         0
        .size:           96
        .value_kind:     by_value
    .group_segment_fixed_size: 0
    .kernarg_segment_align: 8
    .kernarg_segment_size: 96
    .language:       OpenCL C
    .language_version:
      - 2
      - 0
    .max_flat_workgroup_size: 256
    .name:           _ZN7rocprim17ROCPRIM_400000_NS6detail17trampoline_kernelINS0_14default_configENS1_20scan_config_selectorIiEEZZNS1_9scan_implILNS1_25lookback_scan_determinismE0ELb0ELb0ES3_N6thrust23THRUST_200600_302600_NS6detail15normal_iteratorINS9_10device_ptrIiEEEESE_iNS9_4plusIiEEiEEDaPvRmT3_T4_T5_mT6_P12ihipStream_tbENKUlT_T0_E_clISt17integral_constantIbLb0EEST_IbLb1EEEEDaSP_SQ_EUlSP_E_NS1_11comp_targetILNS1_3genE10ELNS1_11target_archE1200ELNS1_3gpuE4ELNS1_3repE0EEENS1_30default_config_static_selectorELNS0_4arch9wavefront6targetE1EEEvT1_
    .private_segment_fixed_size: 0
    .sgpr_count:     4
    .sgpr_spill_count: 0
    .symbol:         _ZN7rocprim17ROCPRIM_400000_NS6detail17trampoline_kernelINS0_14default_configENS1_20scan_config_selectorIiEEZZNS1_9scan_implILNS1_25lookback_scan_determinismE0ELb0ELb0ES3_N6thrust23THRUST_200600_302600_NS6detail15normal_iteratorINS9_10device_ptrIiEEEESE_iNS9_4plusIiEEiEEDaPvRmT3_T4_T5_mT6_P12ihipStream_tbENKUlT_T0_E_clISt17integral_constantIbLb0EEST_IbLb1EEEEDaSP_SQ_EUlSP_E_NS1_11comp_targetILNS1_3genE10ELNS1_11target_archE1200ELNS1_3gpuE4ELNS1_3repE0EEENS1_30default_config_static_selectorELNS0_4arch9wavefront6targetE1EEEvT1_.kd
    .uniform_work_group_size: 1
    .uses_dynamic_stack: false
    .vgpr_count:     0
    .vgpr_spill_count: 0
    .wavefront_size: 64
  - .agpr_count:     0
    .args:
      - .offset:         0
        .size:           96
        .value_kind:     by_value
    .group_segment_fixed_size: 0
    .kernarg_segment_align: 8
    .kernarg_segment_size: 96
    .language:       OpenCL C
    .language_version:
      - 2
      - 0
    .max_flat_workgroup_size: 256
    .name:           _ZN7rocprim17ROCPRIM_400000_NS6detail17trampoline_kernelINS0_14default_configENS1_20scan_config_selectorIiEEZZNS1_9scan_implILNS1_25lookback_scan_determinismE0ELb0ELb0ES3_N6thrust23THRUST_200600_302600_NS6detail15normal_iteratorINS9_10device_ptrIiEEEESE_iNS9_4plusIiEEiEEDaPvRmT3_T4_T5_mT6_P12ihipStream_tbENKUlT_T0_E_clISt17integral_constantIbLb0EEST_IbLb1EEEEDaSP_SQ_EUlSP_E_NS1_11comp_targetILNS1_3genE9ELNS1_11target_archE1100ELNS1_3gpuE3ELNS1_3repE0EEENS1_30default_config_static_selectorELNS0_4arch9wavefront6targetE1EEEvT1_
    .private_segment_fixed_size: 0
    .sgpr_count:     4
    .sgpr_spill_count: 0
    .symbol:         _ZN7rocprim17ROCPRIM_400000_NS6detail17trampoline_kernelINS0_14default_configENS1_20scan_config_selectorIiEEZZNS1_9scan_implILNS1_25lookback_scan_determinismE0ELb0ELb0ES3_N6thrust23THRUST_200600_302600_NS6detail15normal_iteratorINS9_10device_ptrIiEEEESE_iNS9_4plusIiEEiEEDaPvRmT3_T4_T5_mT6_P12ihipStream_tbENKUlT_T0_E_clISt17integral_constantIbLb0EEST_IbLb1EEEEDaSP_SQ_EUlSP_E_NS1_11comp_targetILNS1_3genE9ELNS1_11target_archE1100ELNS1_3gpuE3ELNS1_3repE0EEENS1_30default_config_static_selectorELNS0_4arch9wavefront6targetE1EEEvT1_.kd
    .uniform_work_group_size: 1
    .uses_dynamic_stack: false
    .vgpr_count:     0
    .vgpr_spill_count: 0
    .wavefront_size: 64
  - .agpr_count:     0
    .args:
      - .offset:         0
        .size:           96
        .value_kind:     by_value
    .group_segment_fixed_size: 0
    .kernarg_segment_align: 8
    .kernarg_segment_size: 96
    .language:       OpenCL C
    .language_version:
      - 2
      - 0
    .max_flat_workgroup_size: 64
    .name:           _ZN7rocprim17ROCPRIM_400000_NS6detail17trampoline_kernelINS0_14default_configENS1_20scan_config_selectorIiEEZZNS1_9scan_implILNS1_25lookback_scan_determinismE0ELb0ELb0ES3_N6thrust23THRUST_200600_302600_NS6detail15normal_iteratorINS9_10device_ptrIiEEEESE_iNS9_4plusIiEEiEEDaPvRmT3_T4_T5_mT6_P12ihipStream_tbENKUlT_T0_E_clISt17integral_constantIbLb0EEST_IbLb1EEEEDaSP_SQ_EUlSP_E_NS1_11comp_targetILNS1_3genE8ELNS1_11target_archE1030ELNS1_3gpuE2ELNS1_3repE0EEENS1_30default_config_static_selectorELNS0_4arch9wavefront6targetE1EEEvT1_
    .private_segment_fixed_size: 0
    .sgpr_count:     4
    .sgpr_spill_count: 0
    .symbol:         _ZN7rocprim17ROCPRIM_400000_NS6detail17trampoline_kernelINS0_14default_configENS1_20scan_config_selectorIiEEZZNS1_9scan_implILNS1_25lookback_scan_determinismE0ELb0ELb0ES3_N6thrust23THRUST_200600_302600_NS6detail15normal_iteratorINS9_10device_ptrIiEEEESE_iNS9_4plusIiEEiEEDaPvRmT3_T4_T5_mT6_P12ihipStream_tbENKUlT_T0_E_clISt17integral_constantIbLb0EEST_IbLb1EEEEDaSP_SQ_EUlSP_E_NS1_11comp_targetILNS1_3genE8ELNS1_11target_archE1030ELNS1_3gpuE2ELNS1_3repE0EEENS1_30default_config_static_selectorELNS0_4arch9wavefront6targetE1EEEvT1_.kd
    .uniform_work_group_size: 1
    .uses_dynamic_stack: false
    .vgpr_count:     0
    .vgpr_spill_count: 0
    .wavefront_size: 64
  - .agpr_count:     0
    .args:
      - .offset:         0
        .size:           32
        .value_kind:     by_value
    .group_segment_fixed_size: 0
    .kernarg_segment_align: 8
    .kernarg_segment_size: 32
    .language:       OpenCL C
    .language_version:
      - 2
      - 0
    .max_flat_workgroup_size: 256
    .name:           _ZN7rocprim17ROCPRIM_400000_NS6detail17trampoline_kernelINS0_14default_configENS1_20scan_config_selectorIiEEZZNS1_9scan_implILNS1_25lookback_scan_determinismE0ELb0ELb0ES3_N6thrust23THRUST_200600_302600_NS6detail15normal_iteratorINS9_10device_ptrIiEEEESE_iNS9_4plusIiEEiEEDaPvRmT3_T4_T5_mT6_P12ihipStream_tbENKUlT_T0_E_clISt17integral_constantIbLb0EEST_IbLb1EEEEDaSP_SQ_EUlSP_E0_NS1_11comp_targetILNS1_3genE0ELNS1_11target_archE4294967295ELNS1_3gpuE0ELNS1_3repE0EEENS1_30default_config_static_selectorELNS0_4arch9wavefront6targetE1EEEvT1_
    .private_segment_fixed_size: 0
    .sgpr_count:     4
    .sgpr_spill_count: 0
    .symbol:         _ZN7rocprim17ROCPRIM_400000_NS6detail17trampoline_kernelINS0_14default_configENS1_20scan_config_selectorIiEEZZNS1_9scan_implILNS1_25lookback_scan_determinismE0ELb0ELb0ES3_N6thrust23THRUST_200600_302600_NS6detail15normal_iteratorINS9_10device_ptrIiEEEESE_iNS9_4plusIiEEiEEDaPvRmT3_T4_T5_mT6_P12ihipStream_tbENKUlT_T0_E_clISt17integral_constantIbLb0EEST_IbLb1EEEEDaSP_SQ_EUlSP_E0_NS1_11comp_targetILNS1_3genE0ELNS1_11target_archE4294967295ELNS1_3gpuE0ELNS1_3repE0EEENS1_30default_config_static_selectorELNS0_4arch9wavefront6targetE1EEEvT1_.kd
    .uniform_work_group_size: 1
    .uses_dynamic_stack: false
    .vgpr_count:     0
    .vgpr_spill_count: 0
    .wavefront_size: 64
  - .agpr_count:     0
    .args:
      - .offset:         0
        .size:           32
        .value_kind:     by_value
    .group_segment_fixed_size: 0
    .kernarg_segment_align: 8
    .kernarg_segment_size: 32
    .language:       OpenCL C
    .language_version:
      - 2
      - 0
    .max_flat_workgroup_size: 256
    .name:           _ZN7rocprim17ROCPRIM_400000_NS6detail17trampoline_kernelINS0_14default_configENS1_20scan_config_selectorIiEEZZNS1_9scan_implILNS1_25lookback_scan_determinismE0ELb0ELb0ES3_N6thrust23THRUST_200600_302600_NS6detail15normal_iteratorINS9_10device_ptrIiEEEESE_iNS9_4plusIiEEiEEDaPvRmT3_T4_T5_mT6_P12ihipStream_tbENKUlT_T0_E_clISt17integral_constantIbLb0EEST_IbLb1EEEEDaSP_SQ_EUlSP_E0_NS1_11comp_targetILNS1_3genE5ELNS1_11target_archE942ELNS1_3gpuE9ELNS1_3repE0EEENS1_30default_config_static_selectorELNS0_4arch9wavefront6targetE1EEEvT1_
    .private_segment_fixed_size: 0
    .sgpr_count:     4
    .sgpr_spill_count: 0
    .symbol:         _ZN7rocprim17ROCPRIM_400000_NS6detail17trampoline_kernelINS0_14default_configENS1_20scan_config_selectorIiEEZZNS1_9scan_implILNS1_25lookback_scan_determinismE0ELb0ELb0ES3_N6thrust23THRUST_200600_302600_NS6detail15normal_iteratorINS9_10device_ptrIiEEEESE_iNS9_4plusIiEEiEEDaPvRmT3_T4_T5_mT6_P12ihipStream_tbENKUlT_T0_E_clISt17integral_constantIbLb0EEST_IbLb1EEEEDaSP_SQ_EUlSP_E0_NS1_11comp_targetILNS1_3genE5ELNS1_11target_archE942ELNS1_3gpuE9ELNS1_3repE0EEENS1_30default_config_static_selectorELNS0_4arch9wavefront6targetE1EEEvT1_.kd
    .uniform_work_group_size: 1
    .uses_dynamic_stack: false
    .vgpr_count:     0
    .vgpr_spill_count: 0
    .wavefront_size: 64
  - .agpr_count:     0
    .args:
      - .offset:         0
        .size:           32
        .value_kind:     by_value
    .group_segment_fixed_size: 5120
    .kernarg_segment_align: 8
    .kernarg_segment_size: 32
    .language:       OpenCL C
    .language_version:
      - 2
      - 0
    .max_flat_workgroup_size: 128
    .name:           _ZN7rocprim17ROCPRIM_400000_NS6detail17trampoline_kernelINS0_14default_configENS1_20scan_config_selectorIiEEZZNS1_9scan_implILNS1_25lookback_scan_determinismE0ELb0ELb0ES3_N6thrust23THRUST_200600_302600_NS6detail15normal_iteratorINS9_10device_ptrIiEEEESE_iNS9_4plusIiEEiEEDaPvRmT3_T4_T5_mT6_P12ihipStream_tbENKUlT_T0_E_clISt17integral_constantIbLb0EEST_IbLb1EEEEDaSP_SQ_EUlSP_E0_NS1_11comp_targetILNS1_3genE4ELNS1_11target_archE910ELNS1_3gpuE8ELNS1_3repE0EEENS1_30default_config_static_selectorELNS0_4arch9wavefront6targetE1EEEvT1_
    .private_segment_fixed_size: 0
    .sgpr_count:     28
    .sgpr_spill_count: 0
    .symbol:         _ZN7rocprim17ROCPRIM_400000_NS6detail17trampoline_kernelINS0_14default_configENS1_20scan_config_selectorIiEEZZNS1_9scan_implILNS1_25lookback_scan_determinismE0ELb0ELb0ES3_N6thrust23THRUST_200600_302600_NS6detail15normal_iteratorINS9_10device_ptrIiEEEESE_iNS9_4plusIiEEiEEDaPvRmT3_T4_T5_mT6_P12ihipStream_tbENKUlT_T0_E_clISt17integral_constantIbLb0EEST_IbLb1EEEEDaSP_SQ_EUlSP_E0_NS1_11comp_targetILNS1_3genE4ELNS1_11target_archE910ELNS1_3gpuE8ELNS1_3repE0EEENS1_30default_config_static_selectorELNS0_4arch9wavefront6targetE1EEEvT1_.kd
    .uniform_work_group_size: 1
    .uses_dynamic_stack: false
    .vgpr_count:     27
    .vgpr_spill_count: 0
    .wavefront_size: 64
  - .agpr_count:     0
    .args:
      - .offset:         0
        .size:           32
        .value_kind:     by_value
    .group_segment_fixed_size: 0
    .kernarg_segment_align: 8
    .kernarg_segment_size: 32
    .language:       OpenCL C
    .language_version:
      - 2
      - 0
    .max_flat_workgroup_size: 256
    .name:           _ZN7rocprim17ROCPRIM_400000_NS6detail17trampoline_kernelINS0_14default_configENS1_20scan_config_selectorIiEEZZNS1_9scan_implILNS1_25lookback_scan_determinismE0ELb0ELb0ES3_N6thrust23THRUST_200600_302600_NS6detail15normal_iteratorINS9_10device_ptrIiEEEESE_iNS9_4plusIiEEiEEDaPvRmT3_T4_T5_mT6_P12ihipStream_tbENKUlT_T0_E_clISt17integral_constantIbLb0EEST_IbLb1EEEEDaSP_SQ_EUlSP_E0_NS1_11comp_targetILNS1_3genE3ELNS1_11target_archE908ELNS1_3gpuE7ELNS1_3repE0EEENS1_30default_config_static_selectorELNS0_4arch9wavefront6targetE1EEEvT1_
    .private_segment_fixed_size: 0
    .sgpr_count:     4
    .sgpr_spill_count: 0
    .symbol:         _ZN7rocprim17ROCPRIM_400000_NS6detail17trampoline_kernelINS0_14default_configENS1_20scan_config_selectorIiEEZZNS1_9scan_implILNS1_25lookback_scan_determinismE0ELb0ELb0ES3_N6thrust23THRUST_200600_302600_NS6detail15normal_iteratorINS9_10device_ptrIiEEEESE_iNS9_4plusIiEEiEEDaPvRmT3_T4_T5_mT6_P12ihipStream_tbENKUlT_T0_E_clISt17integral_constantIbLb0EEST_IbLb1EEEEDaSP_SQ_EUlSP_E0_NS1_11comp_targetILNS1_3genE3ELNS1_11target_archE908ELNS1_3gpuE7ELNS1_3repE0EEENS1_30default_config_static_selectorELNS0_4arch9wavefront6targetE1EEEvT1_.kd
    .uniform_work_group_size: 1
    .uses_dynamic_stack: false
    .vgpr_count:     0
    .vgpr_spill_count: 0
    .wavefront_size: 64
  - .agpr_count:     0
    .args:
      - .offset:         0
        .size:           32
        .value_kind:     by_value
    .group_segment_fixed_size: 0
    .kernarg_segment_align: 8
    .kernarg_segment_size: 32
    .language:       OpenCL C
    .language_version:
      - 2
      - 0
    .max_flat_workgroup_size: 256
    .name:           _ZN7rocprim17ROCPRIM_400000_NS6detail17trampoline_kernelINS0_14default_configENS1_20scan_config_selectorIiEEZZNS1_9scan_implILNS1_25lookback_scan_determinismE0ELb0ELb0ES3_N6thrust23THRUST_200600_302600_NS6detail15normal_iteratorINS9_10device_ptrIiEEEESE_iNS9_4plusIiEEiEEDaPvRmT3_T4_T5_mT6_P12ihipStream_tbENKUlT_T0_E_clISt17integral_constantIbLb0EEST_IbLb1EEEEDaSP_SQ_EUlSP_E0_NS1_11comp_targetILNS1_3genE2ELNS1_11target_archE906ELNS1_3gpuE6ELNS1_3repE0EEENS1_30default_config_static_selectorELNS0_4arch9wavefront6targetE1EEEvT1_
    .private_segment_fixed_size: 0
    .sgpr_count:     4
    .sgpr_spill_count: 0
    .symbol:         _ZN7rocprim17ROCPRIM_400000_NS6detail17trampoline_kernelINS0_14default_configENS1_20scan_config_selectorIiEEZZNS1_9scan_implILNS1_25lookback_scan_determinismE0ELb0ELb0ES3_N6thrust23THRUST_200600_302600_NS6detail15normal_iteratorINS9_10device_ptrIiEEEESE_iNS9_4plusIiEEiEEDaPvRmT3_T4_T5_mT6_P12ihipStream_tbENKUlT_T0_E_clISt17integral_constantIbLb0EEST_IbLb1EEEEDaSP_SQ_EUlSP_E0_NS1_11comp_targetILNS1_3genE2ELNS1_11target_archE906ELNS1_3gpuE6ELNS1_3repE0EEENS1_30default_config_static_selectorELNS0_4arch9wavefront6targetE1EEEvT1_.kd
    .uniform_work_group_size: 1
    .uses_dynamic_stack: false
    .vgpr_count:     0
    .vgpr_spill_count: 0
    .wavefront_size: 64
  - .agpr_count:     0
    .args:
      - .offset:         0
        .size:           32
        .value_kind:     by_value
    .group_segment_fixed_size: 0
    .kernarg_segment_align: 8
    .kernarg_segment_size: 32
    .language:       OpenCL C
    .language_version:
      - 2
      - 0
    .max_flat_workgroup_size: 256
    .name:           _ZN7rocprim17ROCPRIM_400000_NS6detail17trampoline_kernelINS0_14default_configENS1_20scan_config_selectorIiEEZZNS1_9scan_implILNS1_25lookback_scan_determinismE0ELb0ELb0ES3_N6thrust23THRUST_200600_302600_NS6detail15normal_iteratorINS9_10device_ptrIiEEEESE_iNS9_4plusIiEEiEEDaPvRmT3_T4_T5_mT6_P12ihipStream_tbENKUlT_T0_E_clISt17integral_constantIbLb0EEST_IbLb1EEEEDaSP_SQ_EUlSP_E0_NS1_11comp_targetILNS1_3genE10ELNS1_11target_archE1201ELNS1_3gpuE5ELNS1_3repE0EEENS1_30default_config_static_selectorELNS0_4arch9wavefront6targetE1EEEvT1_
    .private_segment_fixed_size: 0
    .sgpr_count:     4
    .sgpr_spill_count: 0
    .symbol:         _ZN7rocprim17ROCPRIM_400000_NS6detail17trampoline_kernelINS0_14default_configENS1_20scan_config_selectorIiEEZZNS1_9scan_implILNS1_25lookback_scan_determinismE0ELb0ELb0ES3_N6thrust23THRUST_200600_302600_NS6detail15normal_iteratorINS9_10device_ptrIiEEEESE_iNS9_4plusIiEEiEEDaPvRmT3_T4_T5_mT6_P12ihipStream_tbENKUlT_T0_E_clISt17integral_constantIbLb0EEST_IbLb1EEEEDaSP_SQ_EUlSP_E0_NS1_11comp_targetILNS1_3genE10ELNS1_11target_archE1201ELNS1_3gpuE5ELNS1_3repE0EEENS1_30default_config_static_selectorELNS0_4arch9wavefront6targetE1EEEvT1_.kd
    .uniform_work_group_size: 1
    .uses_dynamic_stack: false
    .vgpr_count:     0
    .vgpr_spill_count: 0
    .wavefront_size: 64
  - .agpr_count:     0
    .args:
      - .offset:         0
        .size:           32
        .value_kind:     by_value
    .group_segment_fixed_size: 0
    .kernarg_segment_align: 8
    .kernarg_segment_size: 32
    .language:       OpenCL C
    .language_version:
      - 2
      - 0
    .max_flat_workgroup_size: 256
    .name:           _ZN7rocprim17ROCPRIM_400000_NS6detail17trampoline_kernelINS0_14default_configENS1_20scan_config_selectorIiEEZZNS1_9scan_implILNS1_25lookback_scan_determinismE0ELb0ELb0ES3_N6thrust23THRUST_200600_302600_NS6detail15normal_iteratorINS9_10device_ptrIiEEEESE_iNS9_4plusIiEEiEEDaPvRmT3_T4_T5_mT6_P12ihipStream_tbENKUlT_T0_E_clISt17integral_constantIbLb0EEST_IbLb1EEEEDaSP_SQ_EUlSP_E0_NS1_11comp_targetILNS1_3genE10ELNS1_11target_archE1200ELNS1_3gpuE4ELNS1_3repE0EEENS1_30default_config_static_selectorELNS0_4arch9wavefront6targetE1EEEvT1_
    .private_segment_fixed_size: 0
    .sgpr_count:     4
    .sgpr_spill_count: 0
    .symbol:         _ZN7rocprim17ROCPRIM_400000_NS6detail17trampoline_kernelINS0_14default_configENS1_20scan_config_selectorIiEEZZNS1_9scan_implILNS1_25lookback_scan_determinismE0ELb0ELb0ES3_N6thrust23THRUST_200600_302600_NS6detail15normal_iteratorINS9_10device_ptrIiEEEESE_iNS9_4plusIiEEiEEDaPvRmT3_T4_T5_mT6_P12ihipStream_tbENKUlT_T0_E_clISt17integral_constantIbLb0EEST_IbLb1EEEEDaSP_SQ_EUlSP_E0_NS1_11comp_targetILNS1_3genE10ELNS1_11target_archE1200ELNS1_3gpuE4ELNS1_3repE0EEENS1_30default_config_static_selectorELNS0_4arch9wavefront6targetE1EEEvT1_.kd
    .uniform_work_group_size: 1
    .uses_dynamic_stack: false
    .vgpr_count:     0
    .vgpr_spill_count: 0
    .wavefront_size: 64
  - .agpr_count:     0
    .args:
      - .offset:         0
        .size:           32
        .value_kind:     by_value
    .group_segment_fixed_size: 0
    .kernarg_segment_align: 8
    .kernarg_segment_size: 32
    .language:       OpenCL C
    .language_version:
      - 2
      - 0
    .max_flat_workgroup_size: 256
    .name:           _ZN7rocprim17ROCPRIM_400000_NS6detail17trampoline_kernelINS0_14default_configENS1_20scan_config_selectorIiEEZZNS1_9scan_implILNS1_25lookback_scan_determinismE0ELb0ELb0ES3_N6thrust23THRUST_200600_302600_NS6detail15normal_iteratorINS9_10device_ptrIiEEEESE_iNS9_4plusIiEEiEEDaPvRmT3_T4_T5_mT6_P12ihipStream_tbENKUlT_T0_E_clISt17integral_constantIbLb0EEST_IbLb1EEEEDaSP_SQ_EUlSP_E0_NS1_11comp_targetILNS1_3genE9ELNS1_11target_archE1100ELNS1_3gpuE3ELNS1_3repE0EEENS1_30default_config_static_selectorELNS0_4arch9wavefront6targetE1EEEvT1_
    .private_segment_fixed_size: 0
    .sgpr_count:     4
    .sgpr_spill_count: 0
    .symbol:         _ZN7rocprim17ROCPRIM_400000_NS6detail17trampoline_kernelINS0_14default_configENS1_20scan_config_selectorIiEEZZNS1_9scan_implILNS1_25lookback_scan_determinismE0ELb0ELb0ES3_N6thrust23THRUST_200600_302600_NS6detail15normal_iteratorINS9_10device_ptrIiEEEESE_iNS9_4plusIiEEiEEDaPvRmT3_T4_T5_mT6_P12ihipStream_tbENKUlT_T0_E_clISt17integral_constantIbLb0EEST_IbLb1EEEEDaSP_SQ_EUlSP_E0_NS1_11comp_targetILNS1_3genE9ELNS1_11target_archE1100ELNS1_3gpuE3ELNS1_3repE0EEENS1_30default_config_static_selectorELNS0_4arch9wavefront6targetE1EEEvT1_.kd
    .uniform_work_group_size: 1
    .uses_dynamic_stack: false
    .vgpr_count:     0
    .vgpr_spill_count: 0
    .wavefront_size: 64
  - .agpr_count:     0
    .args:
      - .offset:         0
        .size:           32
        .value_kind:     by_value
    .group_segment_fixed_size: 0
    .kernarg_segment_align: 8
    .kernarg_segment_size: 32
    .language:       OpenCL C
    .language_version:
      - 2
      - 0
    .max_flat_workgroup_size: 64
    .name:           _ZN7rocprim17ROCPRIM_400000_NS6detail17trampoline_kernelINS0_14default_configENS1_20scan_config_selectorIiEEZZNS1_9scan_implILNS1_25lookback_scan_determinismE0ELb0ELb0ES3_N6thrust23THRUST_200600_302600_NS6detail15normal_iteratorINS9_10device_ptrIiEEEESE_iNS9_4plusIiEEiEEDaPvRmT3_T4_T5_mT6_P12ihipStream_tbENKUlT_T0_E_clISt17integral_constantIbLb0EEST_IbLb1EEEEDaSP_SQ_EUlSP_E0_NS1_11comp_targetILNS1_3genE8ELNS1_11target_archE1030ELNS1_3gpuE2ELNS1_3repE0EEENS1_30default_config_static_selectorELNS0_4arch9wavefront6targetE1EEEvT1_
    .private_segment_fixed_size: 0
    .sgpr_count:     4
    .sgpr_spill_count: 0
    .symbol:         _ZN7rocprim17ROCPRIM_400000_NS6detail17trampoline_kernelINS0_14default_configENS1_20scan_config_selectorIiEEZZNS1_9scan_implILNS1_25lookback_scan_determinismE0ELb0ELb0ES3_N6thrust23THRUST_200600_302600_NS6detail15normal_iteratorINS9_10device_ptrIiEEEESE_iNS9_4plusIiEEiEEDaPvRmT3_T4_T5_mT6_P12ihipStream_tbENKUlT_T0_E_clISt17integral_constantIbLb0EEST_IbLb1EEEEDaSP_SQ_EUlSP_E0_NS1_11comp_targetILNS1_3genE8ELNS1_11target_archE1030ELNS1_3gpuE2ELNS1_3repE0EEENS1_30default_config_static_selectorELNS0_4arch9wavefront6targetE1EEEvT1_.kd
    .uniform_work_group_size: 1
    .uses_dynamic_stack: false
    .vgpr_count:     0
    .vgpr_spill_count: 0
    .wavefront_size: 64
  - .agpr_count:     0
    .args:
      - .offset:         0
        .size:           96
        .value_kind:     by_value
    .group_segment_fixed_size: 0
    .kernarg_segment_align: 8
    .kernarg_segment_size: 96
    .language:       OpenCL C
    .language_version:
      - 2
      - 0
    .max_flat_workgroup_size: 256
    .name:           _ZN7rocprim17ROCPRIM_400000_NS6detail17trampoline_kernelINS0_14default_configENS1_20scan_config_selectorIiEEZZNS1_9scan_implILNS1_25lookback_scan_determinismE0ELb0ELb1ES3_N6thrust23THRUST_200600_302600_NS6detail15normal_iteratorINS9_10device_ptrIiEEEESE_iNS9_10multipliesIiEEiEEDaPvRmT3_T4_T5_mT6_P12ihipStream_tbENKUlT_T0_E_clISt17integral_constantIbLb0EESU_EEDaSP_SQ_EUlSP_E_NS1_11comp_targetILNS1_3genE0ELNS1_11target_archE4294967295ELNS1_3gpuE0ELNS1_3repE0EEENS1_30default_config_static_selectorELNS0_4arch9wavefront6targetE1EEEvT1_
    .private_segment_fixed_size: 0
    .sgpr_count:     4
    .sgpr_spill_count: 0
    .symbol:         _ZN7rocprim17ROCPRIM_400000_NS6detail17trampoline_kernelINS0_14default_configENS1_20scan_config_selectorIiEEZZNS1_9scan_implILNS1_25lookback_scan_determinismE0ELb0ELb1ES3_N6thrust23THRUST_200600_302600_NS6detail15normal_iteratorINS9_10device_ptrIiEEEESE_iNS9_10multipliesIiEEiEEDaPvRmT3_T4_T5_mT6_P12ihipStream_tbENKUlT_T0_E_clISt17integral_constantIbLb0EESU_EEDaSP_SQ_EUlSP_E_NS1_11comp_targetILNS1_3genE0ELNS1_11target_archE4294967295ELNS1_3gpuE0ELNS1_3repE0EEENS1_30default_config_static_selectorELNS0_4arch9wavefront6targetE1EEEvT1_.kd
    .uniform_work_group_size: 1
    .uses_dynamic_stack: false
    .vgpr_count:     0
    .vgpr_spill_count: 0
    .wavefront_size: 64
  - .agpr_count:     0
    .args:
      - .offset:         0
        .size:           96
        .value_kind:     by_value
    .group_segment_fixed_size: 0
    .kernarg_segment_align: 8
    .kernarg_segment_size: 96
    .language:       OpenCL C
    .language_version:
      - 2
      - 0
    .max_flat_workgroup_size: 256
    .name:           _ZN7rocprim17ROCPRIM_400000_NS6detail17trampoline_kernelINS0_14default_configENS1_20scan_config_selectorIiEEZZNS1_9scan_implILNS1_25lookback_scan_determinismE0ELb0ELb1ES3_N6thrust23THRUST_200600_302600_NS6detail15normal_iteratorINS9_10device_ptrIiEEEESE_iNS9_10multipliesIiEEiEEDaPvRmT3_T4_T5_mT6_P12ihipStream_tbENKUlT_T0_E_clISt17integral_constantIbLb0EESU_EEDaSP_SQ_EUlSP_E_NS1_11comp_targetILNS1_3genE5ELNS1_11target_archE942ELNS1_3gpuE9ELNS1_3repE0EEENS1_30default_config_static_selectorELNS0_4arch9wavefront6targetE1EEEvT1_
    .private_segment_fixed_size: 0
    .sgpr_count:     4
    .sgpr_spill_count: 0
    .symbol:         _ZN7rocprim17ROCPRIM_400000_NS6detail17trampoline_kernelINS0_14default_configENS1_20scan_config_selectorIiEEZZNS1_9scan_implILNS1_25lookback_scan_determinismE0ELb0ELb1ES3_N6thrust23THRUST_200600_302600_NS6detail15normal_iteratorINS9_10device_ptrIiEEEESE_iNS9_10multipliesIiEEiEEDaPvRmT3_T4_T5_mT6_P12ihipStream_tbENKUlT_T0_E_clISt17integral_constantIbLb0EESU_EEDaSP_SQ_EUlSP_E_NS1_11comp_targetILNS1_3genE5ELNS1_11target_archE942ELNS1_3gpuE9ELNS1_3repE0EEENS1_30default_config_static_selectorELNS0_4arch9wavefront6targetE1EEEvT1_.kd
    .uniform_work_group_size: 1
    .uses_dynamic_stack: false
    .vgpr_count:     0
    .vgpr_spill_count: 0
    .wavefront_size: 64
  - .agpr_count:     0
    .args:
      - .offset:         0
        .size:           96
        .value_kind:     by_value
    .group_segment_fixed_size: 5120
    .kernarg_segment_align: 8
    .kernarg_segment_size: 96
    .language:       OpenCL C
    .language_version:
      - 2
      - 0
    .max_flat_workgroup_size: 128
    .name:           _ZN7rocprim17ROCPRIM_400000_NS6detail17trampoline_kernelINS0_14default_configENS1_20scan_config_selectorIiEEZZNS1_9scan_implILNS1_25lookback_scan_determinismE0ELb0ELb1ES3_N6thrust23THRUST_200600_302600_NS6detail15normal_iteratorINS9_10device_ptrIiEEEESE_iNS9_10multipliesIiEEiEEDaPvRmT3_T4_T5_mT6_P12ihipStream_tbENKUlT_T0_E_clISt17integral_constantIbLb0EESU_EEDaSP_SQ_EUlSP_E_NS1_11comp_targetILNS1_3genE4ELNS1_11target_archE910ELNS1_3gpuE8ELNS1_3repE0EEENS1_30default_config_static_selectorELNS0_4arch9wavefront6targetE1EEEvT1_
    .private_segment_fixed_size: 0
    .sgpr_count:     34
    .sgpr_spill_count: 0
    .symbol:         _ZN7rocprim17ROCPRIM_400000_NS6detail17trampoline_kernelINS0_14default_configENS1_20scan_config_selectorIiEEZZNS1_9scan_implILNS1_25lookback_scan_determinismE0ELb0ELb1ES3_N6thrust23THRUST_200600_302600_NS6detail15normal_iteratorINS9_10device_ptrIiEEEESE_iNS9_10multipliesIiEEiEEDaPvRmT3_T4_T5_mT6_P12ihipStream_tbENKUlT_T0_E_clISt17integral_constantIbLb0EESU_EEDaSP_SQ_EUlSP_E_NS1_11comp_targetILNS1_3genE4ELNS1_11target_archE910ELNS1_3gpuE8ELNS1_3repE0EEENS1_30default_config_static_selectorELNS0_4arch9wavefront6targetE1EEEvT1_.kd
    .uniform_work_group_size: 1
    .uses_dynamic_stack: false
    .vgpr_count:     40
    .vgpr_spill_count: 0
    .wavefront_size: 64
  - .agpr_count:     0
    .args:
      - .offset:         0
        .size:           96
        .value_kind:     by_value
    .group_segment_fixed_size: 0
    .kernarg_segment_align: 8
    .kernarg_segment_size: 96
    .language:       OpenCL C
    .language_version:
      - 2
      - 0
    .max_flat_workgroup_size: 256
    .name:           _ZN7rocprim17ROCPRIM_400000_NS6detail17trampoline_kernelINS0_14default_configENS1_20scan_config_selectorIiEEZZNS1_9scan_implILNS1_25lookback_scan_determinismE0ELb0ELb1ES3_N6thrust23THRUST_200600_302600_NS6detail15normal_iteratorINS9_10device_ptrIiEEEESE_iNS9_10multipliesIiEEiEEDaPvRmT3_T4_T5_mT6_P12ihipStream_tbENKUlT_T0_E_clISt17integral_constantIbLb0EESU_EEDaSP_SQ_EUlSP_E_NS1_11comp_targetILNS1_3genE3ELNS1_11target_archE908ELNS1_3gpuE7ELNS1_3repE0EEENS1_30default_config_static_selectorELNS0_4arch9wavefront6targetE1EEEvT1_
    .private_segment_fixed_size: 0
    .sgpr_count:     4
    .sgpr_spill_count: 0
    .symbol:         _ZN7rocprim17ROCPRIM_400000_NS6detail17trampoline_kernelINS0_14default_configENS1_20scan_config_selectorIiEEZZNS1_9scan_implILNS1_25lookback_scan_determinismE0ELb0ELb1ES3_N6thrust23THRUST_200600_302600_NS6detail15normal_iteratorINS9_10device_ptrIiEEEESE_iNS9_10multipliesIiEEiEEDaPvRmT3_T4_T5_mT6_P12ihipStream_tbENKUlT_T0_E_clISt17integral_constantIbLb0EESU_EEDaSP_SQ_EUlSP_E_NS1_11comp_targetILNS1_3genE3ELNS1_11target_archE908ELNS1_3gpuE7ELNS1_3repE0EEENS1_30default_config_static_selectorELNS0_4arch9wavefront6targetE1EEEvT1_.kd
    .uniform_work_group_size: 1
    .uses_dynamic_stack: false
    .vgpr_count:     0
    .vgpr_spill_count: 0
    .wavefront_size: 64
  - .agpr_count:     0
    .args:
      - .offset:         0
        .size:           96
        .value_kind:     by_value
    .group_segment_fixed_size: 0
    .kernarg_segment_align: 8
    .kernarg_segment_size: 96
    .language:       OpenCL C
    .language_version:
      - 2
      - 0
    .max_flat_workgroup_size: 256
    .name:           _ZN7rocprim17ROCPRIM_400000_NS6detail17trampoline_kernelINS0_14default_configENS1_20scan_config_selectorIiEEZZNS1_9scan_implILNS1_25lookback_scan_determinismE0ELb0ELb1ES3_N6thrust23THRUST_200600_302600_NS6detail15normal_iteratorINS9_10device_ptrIiEEEESE_iNS9_10multipliesIiEEiEEDaPvRmT3_T4_T5_mT6_P12ihipStream_tbENKUlT_T0_E_clISt17integral_constantIbLb0EESU_EEDaSP_SQ_EUlSP_E_NS1_11comp_targetILNS1_3genE2ELNS1_11target_archE906ELNS1_3gpuE6ELNS1_3repE0EEENS1_30default_config_static_selectorELNS0_4arch9wavefront6targetE1EEEvT1_
    .private_segment_fixed_size: 0
    .sgpr_count:     4
    .sgpr_spill_count: 0
    .symbol:         _ZN7rocprim17ROCPRIM_400000_NS6detail17trampoline_kernelINS0_14default_configENS1_20scan_config_selectorIiEEZZNS1_9scan_implILNS1_25lookback_scan_determinismE0ELb0ELb1ES3_N6thrust23THRUST_200600_302600_NS6detail15normal_iteratorINS9_10device_ptrIiEEEESE_iNS9_10multipliesIiEEiEEDaPvRmT3_T4_T5_mT6_P12ihipStream_tbENKUlT_T0_E_clISt17integral_constantIbLb0EESU_EEDaSP_SQ_EUlSP_E_NS1_11comp_targetILNS1_3genE2ELNS1_11target_archE906ELNS1_3gpuE6ELNS1_3repE0EEENS1_30default_config_static_selectorELNS0_4arch9wavefront6targetE1EEEvT1_.kd
    .uniform_work_group_size: 1
    .uses_dynamic_stack: false
    .vgpr_count:     0
    .vgpr_spill_count: 0
    .wavefront_size: 64
  - .agpr_count:     0
    .args:
      - .offset:         0
        .size:           96
        .value_kind:     by_value
    .group_segment_fixed_size: 0
    .kernarg_segment_align: 8
    .kernarg_segment_size: 96
    .language:       OpenCL C
    .language_version:
      - 2
      - 0
    .max_flat_workgroup_size: 256
    .name:           _ZN7rocprim17ROCPRIM_400000_NS6detail17trampoline_kernelINS0_14default_configENS1_20scan_config_selectorIiEEZZNS1_9scan_implILNS1_25lookback_scan_determinismE0ELb0ELb1ES3_N6thrust23THRUST_200600_302600_NS6detail15normal_iteratorINS9_10device_ptrIiEEEESE_iNS9_10multipliesIiEEiEEDaPvRmT3_T4_T5_mT6_P12ihipStream_tbENKUlT_T0_E_clISt17integral_constantIbLb0EESU_EEDaSP_SQ_EUlSP_E_NS1_11comp_targetILNS1_3genE10ELNS1_11target_archE1201ELNS1_3gpuE5ELNS1_3repE0EEENS1_30default_config_static_selectorELNS0_4arch9wavefront6targetE1EEEvT1_
    .private_segment_fixed_size: 0
    .sgpr_count:     4
    .sgpr_spill_count: 0
    .symbol:         _ZN7rocprim17ROCPRIM_400000_NS6detail17trampoline_kernelINS0_14default_configENS1_20scan_config_selectorIiEEZZNS1_9scan_implILNS1_25lookback_scan_determinismE0ELb0ELb1ES3_N6thrust23THRUST_200600_302600_NS6detail15normal_iteratorINS9_10device_ptrIiEEEESE_iNS9_10multipliesIiEEiEEDaPvRmT3_T4_T5_mT6_P12ihipStream_tbENKUlT_T0_E_clISt17integral_constantIbLb0EESU_EEDaSP_SQ_EUlSP_E_NS1_11comp_targetILNS1_3genE10ELNS1_11target_archE1201ELNS1_3gpuE5ELNS1_3repE0EEENS1_30default_config_static_selectorELNS0_4arch9wavefront6targetE1EEEvT1_.kd
    .uniform_work_group_size: 1
    .uses_dynamic_stack: false
    .vgpr_count:     0
    .vgpr_spill_count: 0
    .wavefront_size: 64
  - .agpr_count:     0
    .args:
      - .offset:         0
        .size:           96
        .value_kind:     by_value
    .group_segment_fixed_size: 0
    .kernarg_segment_align: 8
    .kernarg_segment_size: 96
    .language:       OpenCL C
    .language_version:
      - 2
      - 0
    .max_flat_workgroup_size: 256
    .name:           _ZN7rocprim17ROCPRIM_400000_NS6detail17trampoline_kernelINS0_14default_configENS1_20scan_config_selectorIiEEZZNS1_9scan_implILNS1_25lookback_scan_determinismE0ELb0ELb1ES3_N6thrust23THRUST_200600_302600_NS6detail15normal_iteratorINS9_10device_ptrIiEEEESE_iNS9_10multipliesIiEEiEEDaPvRmT3_T4_T5_mT6_P12ihipStream_tbENKUlT_T0_E_clISt17integral_constantIbLb0EESU_EEDaSP_SQ_EUlSP_E_NS1_11comp_targetILNS1_3genE10ELNS1_11target_archE1200ELNS1_3gpuE4ELNS1_3repE0EEENS1_30default_config_static_selectorELNS0_4arch9wavefront6targetE1EEEvT1_
    .private_segment_fixed_size: 0
    .sgpr_count:     4
    .sgpr_spill_count: 0
    .symbol:         _ZN7rocprim17ROCPRIM_400000_NS6detail17trampoline_kernelINS0_14default_configENS1_20scan_config_selectorIiEEZZNS1_9scan_implILNS1_25lookback_scan_determinismE0ELb0ELb1ES3_N6thrust23THRUST_200600_302600_NS6detail15normal_iteratorINS9_10device_ptrIiEEEESE_iNS9_10multipliesIiEEiEEDaPvRmT3_T4_T5_mT6_P12ihipStream_tbENKUlT_T0_E_clISt17integral_constantIbLb0EESU_EEDaSP_SQ_EUlSP_E_NS1_11comp_targetILNS1_3genE10ELNS1_11target_archE1200ELNS1_3gpuE4ELNS1_3repE0EEENS1_30default_config_static_selectorELNS0_4arch9wavefront6targetE1EEEvT1_.kd
    .uniform_work_group_size: 1
    .uses_dynamic_stack: false
    .vgpr_count:     0
    .vgpr_spill_count: 0
    .wavefront_size: 64
  - .agpr_count:     0
    .args:
      - .offset:         0
        .size:           96
        .value_kind:     by_value
    .group_segment_fixed_size: 0
    .kernarg_segment_align: 8
    .kernarg_segment_size: 96
    .language:       OpenCL C
    .language_version:
      - 2
      - 0
    .max_flat_workgroup_size: 256
    .name:           _ZN7rocprim17ROCPRIM_400000_NS6detail17trampoline_kernelINS0_14default_configENS1_20scan_config_selectorIiEEZZNS1_9scan_implILNS1_25lookback_scan_determinismE0ELb0ELb1ES3_N6thrust23THRUST_200600_302600_NS6detail15normal_iteratorINS9_10device_ptrIiEEEESE_iNS9_10multipliesIiEEiEEDaPvRmT3_T4_T5_mT6_P12ihipStream_tbENKUlT_T0_E_clISt17integral_constantIbLb0EESU_EEDaSP_SQ_EUlSP_E_NS1_11comp_targetILNS1_3genE9ELNS1_11target_archE1100ELNS1_3gpuE3ELNS1_3repE0EEENS1_30default_config_static_selectorELNS0_4arch9wavefront6targetE1EEEvT1_
    .private_segment_fixed_size: 0
    .sgpr_count:     4
    .sgpr_spill_count: 0
    .symbol:         _ZN7rocprim17ROCPRIM_400000_NS6detail17trampoline_kernelINS0_14default_configENS1_20scan_config_selectorIiEEZZNS1_9scan_implILNS1_25lookback_scan_determinismE0ELb0ELb1ES3_N6thrust23THRUST_200600_302600_NS6detail15normal_iteratorINS9_10device_ptrIiEEEESE_iNS9_10multipliesIiEEiEEDaPvRmT3_T4_T5_mT6_P12ihipStream_tbENKUlT_T0_E_clISt17integral_constantIbLb0EESU_EEDaSP_SQ_EUlSP_E_NS1_11comp_targetILNS1_3genE9ELNS1_11target_archE1100ELNS1_3gpuE3ELNS1_3repE0EEENS1_30default_config_static_selectorELNS0_4arch9wavefront6targetE1EEEvT1_.kd
    .uniform_work_group_size: 1
    .uses_dynamic_stack: false
    .vgpr_count:     0
    .vgpr_spill_count: 0
    .wavefront_size: 64
  - .agpr_count:     0
    .args:
      - .offset:         0
        .size:           96
        .value_kind:     by_value
    .group_segment_fixed_size: 0
    .kernarg_segment_align: 8
    .kernarg_segment_size: 96
    .language:       OpenCL C
    .language_version:
      - 2
      - 0
    .max_flat_workgroup_size: 64
    .name:           _ZN7rocprim17ROCPRIM_400000_NS6detail17trampoline_kernelINS0_14default_configENS1_20scan_config_selectorIiEEZZNS1_9scan_implILNS1_25lookback_scan_determinismE0ELb0ELb1ES3_N6thrust23THRUST_200600_302600_NS6detail15normal_iteratorINS9_10device_ptrIiEEEESE_iNS9_10multipliesIiEEiEEDaPvRmT3_T4_T5_mT6_P12ihipStream_tbENKUlT_T0_E_clISt17integral_constantIbLb0EESU_EEDaSP_SQ_EUlSP_E_NS1_11comp_targetILNS1_3genE8ELNS1_11target_archE1030ELNS1_3gpuE2ELNS1_3repE0EEENS1_30default_config_static_selectorELNS0_4arch9wavefront6targetE1EEEvT1_
    .private_segment_fixed_size: 0
    .sgpr_count:     4
    .sgpr_spill_count: 0
    .symbol:         _ZN7rocprim17ROCPRIM_400000_NS6detail17trampoline_kernelINS0_14default_configENS1_20scan_config_selectorIiEEZZNS1_9scan_implILNS1_25lookback_scan_determinismE0ELb0ELb1ES3_N6thrust23THRUST_200600_302600_NS6detail15normal_iteratorINS9_10device_ptrIiEEEESE_iNS9_10multipliesIiEEiEEDaPvRmT3_T4_T5_mT6_P12ihipStream_tbENKUlT_T0_E_clISt17integral_constantIbLb0EESU_EEDaSP_SQ_EUlSP_E_NS1_11comp_targetILNS1_3genE8ELNS1_11target_archE1030ELNS1_3gpuE2ELNS1_3repE0EEENS1_30default_config_static_selectorELNS0_4arch9wavefront6targetE1EEEvT1_.kd
    .uniform_work_group_size: 1
    .uses_dynamic_stack: false
    .vgpr_count:     0
    .vgpr_spill_count: 0
    .wavefront_size: 64
  - .agpr_count:     0
    .args:
      - .offset:         0
        .size:           32
        .value_kind:     by_value
    .group_segment_fixed_size: 0
    .kernarg_segment_align: 8
    .kernarg_segment_size: 32
    .language:       OpenCL C
    .language_version:
      - 2
      - 0
    .max_flat_workgroup_size: 256
    .name:           _ZN7rocprim17ROCPRIM_400000_NS6detail17trampoline_kernelINS0_14default_configENS1_20scan_config_selectorIiEEZZNS1_9scan_implILNS1_25lookback_scan_determinismE0ELb0ELb1ES3_N6thrust23THRUST_200600_302600_NS6detail15normal_iteratorINS9_10device_ptrIiEEEESE_iNS9_10multipliesIiEEiEEDaPvRmT3_T4_T5_mT6_P12ihipStream_tbENKUlT_T0_E_clISt17integral_constantIbLb0EESU_EEDaSP_SQ_EUlSP_E0_NS1_11comp_targetILNS1_3genE0ELNS1_11target_archE4294967295ELNS1_3gpuE0ELNS1_3repE0EEENS1_30default_config_static_selectorELNS0_4arch9wavefront6targetE1EEEvT1_
    .private_segment_fixed_size: 0
    .sgpr_count:     4
    .sgpr_spill_count: 0
    .symbol:         _ZN7rocprim17ROCPRIM_400000_NS6detail17trampoline_kernelINS0_14default_configENS1_20scan_config_selectorIiEEZZNS1_9scan_implILNS1_25lookback_scan_determinismE0ELb0ELb1ES3_N6thrust23THRUST_200600_302600_NS6detail15normal_iteratorINS9_10device_ptrIiEEEESE_iNS9_10multipliesIiEEiEEDaPvRmT3_T4_T5_mT6_P12ihipStream_tbENKUlT_T0_E_clISt17integral_constantIbLb0EESU_EEDaSP_SQ_EUlSP_E0_NS1_11comp_targetILNS1_3genE0ELNS1_11target_archE4294967295ELNS1_3gpuE0ELNS1_3repE0EEENS1_30default_config_static_selectorELNS0_4arch9wavefront6targetE1EEEvT1_.kd
    .uniform_work_group_size: 1
    .uses_dynamic_stack: false
    .vgpr_count:     0
    .vgpr_spill_count: 0
    .wavefront_size: 64
  - .agpr_count:     0
    .args:
      - .offset:         0
        .size:           32
        .value_kind:     by_value
    .group_segment_fixed_size: 0
    .kernarg_segment_align: 8
    .kernarg_segment_size: 32
    .language:       OpenCL C
    .language_version:
      - 2
      - 0
    .max_flat_workgroup_size: 256
    .name:           _ZN7rocprim17ROCPRIM_400000_NS6detail17trampoline_kernelINS0_14default_configENS1_20scan_config_selectorIiEEZZNS1_9scan_implILNS1_25lookback_scan_determinismE0ELb0ELb1ES3_N6thrust23THRUST_200600_302600_NS6detail15normal_iteratorINS9_10device_ptrIiEEEESE_iNS9_10multipliesIiEEiEEDaPvRmT3_T4_T5_mT6_P12ihipStream_tbENKUlT_T0_E_clISt17integral_constantIbLb0EESU_EEDaSP_SQ_EUlSP_E0_NS1_11comp_targetILNS1_3genE5ELNS1_11target_archE942ELNS1_3gpuE9ELNS1_3repE0EEENS1_30default_config_static_selectorELNS0_4arch9wavefront6targetE1EEEvT1_
    .private_segment_fixed_size: 0
    .sgpr_count:     4
    .sgpr_spill_count: 0
    .symbol:         _ZN7rocprim17ROCPRIM_400000_NS6detail17trampoline_kernelINS0_14default_configENS1_20scan_config_selectorIiEEZZNS1_9scan_implILNS1_25lookback_scan_determinismE0ELb0ELb1ES3_N6thrust23THRUST_200600_302600_NS6detail15normal_iteratorINS9_10device_ptrIiEEEESE_iNS9_10multipliesIiEEiEEDaPvRmT3_T4_T5_mT6_P12ihipStream_tbENKUlT_T0_E_clISt17integral_constantIbLb0EESU_EEDaSP_SQ_EUlSP_E0_NS1_11comp_targetILNS1_3genE5ELNS1_11target_archE942ELNS1_3gpuE9ELNS1_3repE0EEENS1_30default_config_static_selectorELNS0_4arch9wavefront6targetE1EEEvT1_.kd
    .uniform_work_group_size: 1
    .uses_dynamic_stack: false
    .vgpr_count:     0
    .vgpr_spill_count: 0
    .wavefront_size: 64
  - .agpr_count:     0
    .args:
      - .offset:         0
        .size:           32
        .value_kind:     by_value
    .group_segment_fixed_size: 5120
    .kernarg_segment_align: 8
    .kernarg_segment_size: 32
    .language:       OpenCL C
    .language_version:
      - 2
      - 0
    .max_flat_workgroup_size: 128
    .name:           _ZN7rocprim17ROCPRIM_400000_NS6detail17trampoline_kernelINS0_14default_configENS1_20scan_config_selectorIiEEZZNS1_9scan_implILNS1_25lookback_scan_determinismE0ELb0ELb1ES3_N6thrust23THRUST_200600_302600_NS6detail15normal_iteratorINS9_10device_ptrIiEEEESE_iNS9_10multipliesIiEEiEEDaPvRmT3_T4_T5_mT6_P12ihipStream_tbENKUlT_T0_E_clISt17integral_constantIbLb0EESU_EEDaSP_SQ_EUlSP_E0_NS1_11comp_targetILNS1_3genE4ELNS1_11target_archE910ELNS1_3gpuE8ELNS1_3repE0EEENS1_30default_config_static_selectorELNS0_4arch9wavefront6targetE1EEEvT1_
    .private_segment_fixed_size: 0
    .sgpr_count:     30
    .sgpr_spill_count: 0
    .symbol:         _ZN7rocprim17ROCPRIM_400000_NS6detail17trampoline_kernelINS0_14default_configENS1_20scan_config_selectorIiEEZZNS1_9scan_implILNS1_25lookback_scan_determinismE0ELb0ELb1ES3_N6thrust23THRUST_200600_302600_NS6detail15normal_iteratorINS9_10device_ptrIiEEEESE_iNS9_10multipliesIiEEiEEDaPvRmT3_T4_T5_mT6_P12ihipStream_tbENKUlT_T0_E_clISt17integral_constantIbLb0EESU_EEDaSP_SQ_EUlSP_E0_NS1_11comp_targetILNS1_3genE4ELNS1_11target_archE910ELNS1_3gpuE8ELNS1_3repE0EEENS1_30default_config_static_selectorELNS0_4arch9wavefront6targetE1EEEvT1_.kd
    .uniform_work_group_size: 1
    .uses_dynamic_stack: false
    .vgpr_count:     26
    .vgpr_spill_count: 0
    .wavefront_size: 64
  - .agpr_count:     0
    .args:
      - .offset:         0
        .size:           32
        .value_kind:     by_value
    .group_segment_fixed_size: 0
    .kernarg_segment_align: 8
    .kernarg_segment_size: 32
    .language:       OpenCL C
    .language_version:
      - 2
      - 0
    .max_flat_workgroup_size: 256
    .name:           _ZN7rocprim17ROCPRIM_400000_NS6detail17trampoline_kernelINS0_14default_configENS1_20scan_config_selectorIiEEZZNS1_9scan_implILNS1_25lookback_scan_determinismE0ELb0ELb1ES3_N6thrust23THRUST_200600_302600_NS6detail15normal_iteratorINS9_10device_ptrIiEEEESE_iNS9_10multipliesIiEEiEEDaPvRmT3_T4_T5_mT6_P12ihipStream_tbENKUlT_T0_E_clISt17integral_constantIbLb0EESU_EEDaSP_SQ_EUlSP_E0_NS1_11comp_targetILNS1_3genE3ELNS1_11target_archE908ELNS1_3gpuE7ELNS1_3repE0EEENS1_30default_config_static_selectorELNS0_4arch9wavefront6targetE1EEEvT1_
    .private_segment_fixed_size: 0
    .sgpr_count:     4
    .sgpr_spill_count: 0
    .symbol:         _ZN7rocprim17ROCPRIM_400000_NS6detail17trampoline_kernelINS0_14default_configENS1_20scan_config_selectorIiEEZZNS1_9scan_implILNS1_25lookback_scan_determinismE0ELb0ELb1ES3_N6thrust23THRUST_200600_302600_NS6detail15normal_iteratorINS9_10device_ptrIiEEEESE_iNS9_10multipliesIiEEiEEDaPvRmT3_T4_T5_mT6_P12ihipStream_tbENKUlT_T0_E_clISt17integral_constantIbLb0EESU_EEDaSP_SQ_EUlSP_E0_NS1_11comp_targetILNS1_3genE3ELNS1_11target_archE908ELNS1_3gpuE7ELNS1_3repE0EEENS1_30default_config_static_selectorELNS0_4arch9wavefront6targetE1EEEvT1_.kd
    .uniform_work_group_size: 1
    .uses_dynamic_stack: false
    .vgpr_count:     0
    .vgpr_spill_count: 0
    .wavefront_size: 64
  - .agpr_count:     0
    .args:
      - .offset:         0
        .size:           32
        .value_kind:     by_value
    .group_segment_fixed_size: 0
    .kernarg_segment_align: 8
    .kernarg_segment_size: 32
    .language:       OpenCL C
    .language_version:
      - 2
      - 0
    .max_flat_workgroup_size: 256
    .name:           _ZN7rocprim17ROCPRIM_400000_NS6detail17trampoline_kernelINS0_14default_configENS1_20scan_config_selectorIiEEZZNS1_9scan_implILNS1_25lookback_scan_determinismE0ELb0ELb1ES3_N6thrust23THRUST_200600_302600_NS6detail15normal_iteratorINS9_10device_ptrIiEEEESE_iNS9_10multipliesIiEEiEEDaPvRmT3_T4_T5_mT6_P12ihipStream_tbENKUlT_T0_E_clISt17integral_constantIbLb0EESU_EEDaSP_SQ_EUlSP_E0_NS1_11comp_targetILNS1_3genE2ELNS1_11target_archE906ELNS1_3gpuE6ELNS1_3repE0EEENS1_30default_config_static_selectorELNS0_4arch9wavefront6targetE1EEEvT1_
    .private_segment_fixed_size: 0
    .sgpr_count:     4
    .sgpr_spill_count: 0
    .symbol:         _ZN7rocprim17ROCPRIM_400000_NS6detail17trampoline_kernelINS0_14default_configENS1_20scan_config_selectorIiEEZZNS1_9scan_implILNS1_25lookback_scan_determinismE0ELb0ELb1ES3_N6thrust23THRUST_200600_302600_NS6detail15normal_iteratorINS9_10device_ptrIiEEEESE_iNS9_10multipliesIiEEiEEDaPvRmT3_T4_T5_mT6_P12ihipStream_tbENKUlT_T0_E_clISt17integral_constantIbLb0EESU_EEDaSP_SQ_EUlSP_E0_NS1_11comp_targetILNS1_3genE2ELNS1_11target_archE906ELNS1_3gpuE6ELNS1_3repE0EEENS1_30default_config_static_selectorELNS0_4arch9wavefront6targetE1EEEvT1_.kd
    .uniform_work_group_size: 1
    .uses_dynamic_stack: false
    .vgpr_count:     0
    .vgpr_spill_count: 0
    .wavefront_size: 64
  - .agpr_count:     0
    .args:
      - .offset:         0
        .size:           32
        .value_kind:     by_value
    .group_segment_fixed_size: 0
    .kernarg_segment_align: 8
    .kernarg_segment_size: 32
    .language:       OpenCL C
    .language_version:
      - 2
      - 0
    .max_flat_workgroup_size: 256
    .name:           _ZN7rocprim17ROCPRIM_400000_NS6detail17trampoline_kernelINS0_14default_configENS1_20scan_config_selectorIiEEZZNS1_9scan_implILNS1_25lookback_scan_determinismE0ELb0ELb1ES3_N6thrust23THRUST_200600_302600_NS6detail15normal_iteratorINS9_10device_ptrIiEEEESE_iNS9_10multipliesIiEEiEEDaPvRmT3_T4_T5_mT6_P12ihipStream_tbENKUlT_T0_E_clISt17integral_constantIbLb0EESU_EEDaSP_SQ_EUlSP_E0_NS1_11comp_targetILNS1_3genE10ELNS1_11target_archE1201ELNS1_3gpuE5ELNS1_3repE0EEENS1_30default_config_static_selectorELNS0_4arch9wavefront6targetE1EEEvT1_
    .private_segment_fixed_size: 0
    .sgpr_count:     4
    .sgpr_spill_count: 0
    .symbol:         _ZN7rocprim17ROCPRIM_400000_NS6detail17trampoline_kernelINS0_14default_configENS1_20scan_config_selectorIiEEZZNS1_9scan_implILNS1_25lookback_scan_determinismE0ELb0ELb1ES3_N6thrust23THRUST_200600_302600_NS6detail15normal_iteratorINS9_10device_ptrIiEEEESE_iNS9_10multipliesIiEEiEEDaPvRmT3_T4_T5_mT6_P12ihipStream_tbENKUlT_T0_E_clISt17integral_constantIbLb0EESU_EEDaSP_SQ_EUlSP_E0_NS1_11comp_targetILNS1_3genE10ELNS1_11target_archE1201ELNS1_3gpuE5ELNS1_3repE0EEENS1_30default_config_static_selectorELNS0_4arch9wavefront6targetE1EEEvT1_.kd
    .uniform_work_group_size: 1
    .uses_dynamic_stack: false
    .vgpr_count:     0
    .vgpr_spill_count: 0
    .wavefront_size: 64
  - .agpr_count:     0
    .args:
      - .offset:         0
        .size:           32
        .value_kind:     by_value
    .group_segment_fixed_size: 0
    .kernarg_segment_align: 8
    .kernarg_segment_size: 32
    .language:       OpenCL C
    .language_version:
      - 2
      - 0
    .max_flat_workgroup_size: 256
    .name:           _ZN7rocprim17ROCPRIM_400000_NS6detail17trampoline_kernelINS0_14default_configENS1_20scan_config_selectorIiEEZZNS1_9scan_implILNS1_25lookback_scan_determinismE0ELb0ELb1ES3_N6thrust23THRUST_200600_302600_NS6detail15normal_iteratorINS9_10device_ptrIiEEEESE_iNS9_10multipliesIiEEiEEDaPvRmT3_T4_T5_mT6_P12ihipStream_tbENKUlT_T0_E_clISt17integral_constantIbLb0EESU_EEDaSP_SQ_EUlSP_E0_NS1_11comp_targetILNS1_3genE10ELNS1_11target_archE1200ELNS1_3gpuE4ELNS1_3repE0EEENS1_30default_config_static_selectorELNS0_4arch9wavefront6targetE1EEEvT1_
    .private_segment_fixed_size: 0
    .sgpr_count:     4
    .sgpr_spill_count: 0
    .symbol:         _ZN7rocprim17ROCPRIM_400000_NS6detail17trampoline_kernelINS0_14default_configENS1_20scan_config_selectorIiEEZZNS1_9scan_implILNS1_25lookback_scan_determinismE0ELb0ELb1ES3_N6thrust23THRUST_200600_302600_NS6detail15normal_iteratorINS9_10device_ptrIiEEEESE_iNS9_10multipliesIiEEiEEDaPvRmT3_T4_T5_mT6_P12ihipStream_tbENKUlT_T0_E_clISt17integral_constantIbLb0EESU_EEDaSP_SQ_EUlSP_E0_NS1_11comp_targetILNS1_3genE10ELNS1_11target_archE1200ELNS1_3gpuE4ELNS1_3repE0EEENS1_30default_config_static_selectorELNS0_4arch9wavefront6targetE1EEEvT1_.kd
    .uniform_work_group_size: 1
    .uses_dynamic_stack: false
    .vgpr_count:     0
    .vgpr_spill_count: 0
    .wavefront_size: 64
  - .agpr_count:     0
    .args:
      - .offset:         0
        .size:           32
        .value_kind:     by_value
    .group_segment_fixed_size: 0
    .kernarg_segment_align: 8
    .kernarg_segment_size: 32
    .language:       OpenCL C
    .language_version:
      - 2
      - 0
    .max_flat_workgroup_size: 256
    .name:           _ZN7rocprim17ROCPRIM_400000_NS6detail17trampoline_kernelINS0_14default_configENS1_20scan_config_selectorIiEEZZNS1_9scan_implILNS1_25lookback_scan_determinismE0ELb0ELb1ES3_N6thrust23THRUST_200600_302600_NS6detail15normal_iteratorINS9_10device_ptrIiEEEESE_iNS9_10multipliesIiEEiEEDaPvRmT3_T4_T5_mT6_P12ihipStream_tbENKUlT_T0_E_clISt17integral_constantIbLb0EESU_EEDaSP_SQ_EUlSP_E0_NS1_11comp_targetILNS1_3genE9ELNS1_11target_archE1100ELNS1_3gpuE3ELNS1_3repE0EEENS1_30default_config_static_selectorELNS0_4arch9wavefront6targetE1EEEvT1_
    .private_segment_fixed_size: 0
    .sgpr_count:     4
    .sgpr_spill_count: 0
    .symbol:         _ZN7rocprim17ROCPRIM_400000_NS6detail17trampoline_kernelINS0_14default_configENS1_20scan_config_selectorIiEEZZNS1_9scan_implILNS1_25lookback_scan_determinismE0ELb0ELb1ES3_N6thrust23THRUST_200600_302600_NS6detail15normal_iteratorINS9_10device_ptrIiEEEESE_iNS9_10multipliesIiEEiEEDaPvRmT3_T4_T5_mT6_P12ihipStream_tbENKUlT_T0_E_clISt17integral_constantIbLb0EESU_EEDaSP_SQ_EUlSP_E0_NS1_11comp_targetILNS1_3genE9ELNS1_11target_archE1100ELNS1_3gpuE3ELNS1_3repE0EEENS1_30default_config_static_selectorELNS0_4arch9wavefront6targetE1EEEvT1_.kd
    .uniform_work_group_size: 1
    .uses_dynamic_stack: false
    .vgpr_count:     0
    .vgpr_spill_count: 0
    .wavefront_size: 64
  - .agpr_count:     0
    .args:
      - .offset:         0
        .size:           32
        .value_kind:     by_value
    .group_segment_fixed_size: 0
    .kernarg_segment_align: 8
    .kernarg_segment_size: 32
    .language:       OpenCL C
    .language_version:
      - 2
      - 0
    .max_flat_workgroup_size: 64
    .name:           _ZN7rocprim17ROCPRIM_400000_NS6detail17trampoline_kernelINS0_14default_configENS1_20scan_config_selectorIiEEZZNS1_9scan_implILNS1_25lookback_scan_determinismE0ELb0ELb1ES3_N6thrust23THRUST_200600_302600_NS6detail15normal_iteratorINS9_10device_ptrIiEEEESE_iNS9_10multipliesIiEEiEEDaPvRmT3_T4_T5_mT6_P12ihipStream_tbENKUlT_T0_E_clISt17integral_constantIbLb0EESU_EEDaSP_SQ_EUlSP_E0_NS1_11comp_targetILNS1_3genE8ELNS1_11target_archE1030ELNS1_3gpuE2ELNS1_3repE0EEENS1_30default_config_static_selectorELNS0_4arch9wavefront6targetE1EEEvT1_
    .private_segment_fixed_size: 0
    .sgpr_count:     4
    .sgpr_spill_count: 0
    .symbol:         _ZN7rocprim17ROCPRIM_400000_NS6detail17trampoline_kernelINS0_14default_configENS1_20scan_config_selectorIiEEZZNS1_9scan_implILNS1_25lookback_scan_determinismE0ELb0ELb1ES3_N6thrust23THRUST_200600_302600_NS6detail15normal_iteratorINS9_10device_ptrIiEEEESE_iNS9_10multipliesIiEEiEEDaPvRmT3_T4_T5_mT6_P12ihipStream_tbENKUlT_T0_E_clISt17integral_constantIbLb0EESU_EEDaSP_SQ_EUlSP_E0_NS1_11comp_targetILNS1_3genE8ELNS1_11target_archE1030ELNS1_3gpuE2ELNS1_3repE0EEENS1_30default_config_static_selectorELNS0_4arch9wavefront6targetE1EEEvT1_.kd
    .uniform_work_group_size: 1
    .uses_dynamic_stack: false
    .vgpr_count:     0
    .vgpr_spill_count: 0
    .wavefront_size: 64
  - .agpr_count:     0
    .args:
      - .offset:         0
        .size:           96
        .value_kind:     by_value
    .group_segment_fixed_size: 0
    .kernarg_segment_align: 8
    .kernarg_segment_size: 96
    .language:       OpenCL C
    .language_version:
      - 2
      - 0
    .max_flat_workgroup_size: 256
    .name:           _ZN7rocprim17ROCPRIM_400000_NS6detail17trampoline_kernelINS0_14default_configENS1_20scan_config_selectorIiEEZZNS1_9scan_implILNS1_25lookback_scan_determinismE0ELb0ELb1ES3_N6thrust23THRUST_200600_302600_NS6detail15normal_iteratorINS9_10device_ptrIiEEEESE_iNS9_10multipliesIiEEiEEDaPvRmT3_T4_T5_mT6_P12ihipStream_tbENKUlT_T0_E_clISt17integral_constantIbLb1EESU_EEDaSP_SQ_EUlSP_E_NS1_11comp_targetILNS1_3genE0ELNS1_11target_archE4294967295ELNS1_3gpuE0ELNS1_3repE0EEENS1_30default_config_static_selectorELNS0_4arch9wavefront6targetE1EEEvT1_
    .private_segment_fixed_size: 0
    .sgpr_count:     4
    .sgpr_spill_count: 0
    .symbol:         _ZN7rocprim17ROCPRIM_400000_NS6detail17trampoline_kernelINS0_14default_configENS1_20scan_config_selectorIiEEZZNS1_9scan_implILNS1_25lookback_scan_determinismE0ELb0ELb1ES3_N6thrust23THRUST_200600_302600_NS6detail15normal_iteratorINS9_10device_ptrIiEEEESE_iNS9_10multipliesIiEEiEEDaPvRmT3_T4_T5_mT6_P12ihipStream_tbENKUlT_T0_E_clISt17integral_constantIbLb1EESU_EEDaSP_SQ_EUlSP_E_NS1_11comp_targetILNS1_3genE0ELNS1_11target_archE4294967295ELNS1_3gpuE0ELNS1_3repE0EEENS1_30default_config_static_selectorELNS0_4arch9wavefront6targetE1EEEvT1_.kd
    .uniform_work_group_size: 1
    .uses_dynamic_stack: false
    .vgpr_count:     0
    .vgpr_spill_count: 0
    .wavefront_size: 64
  - .agpr_count:     0
    .args:
      - .offset:         0
        .size:           96
        .value_kind:     by_value
    .group_segment_fixed_size: 0
    .kernarg_segment_align: 8
    .kernarg_segment_size: 96
    .language:       OpenCL C
    .language_version:
      - 2
      - 0
    .max_flat_workgroup_size: 256
    .name:           _ZN7rocprim17ROCPRIM_400000_NS6detail17trampoline_kernelINS0_14default_configENS1_20scan_config_selectorIiEEZZNS1_9scan_implILNS1_25lookback_scan_determinismE0ELb0ELb1ES3_N6thrust23THRUST_200600_302600_NS6detail15normal_iteratorINS9_10device_ptrIiEEEESE_iNS9_10multipliesIiEEiEEDaPvRmT3_T4_T5_mT6_P12ihipStream_tbENKUlT_T0_E_clISt17integral_constantIbLb1EESU_EEDaSP_SQ_EUlSP_E_NS1_11comp_targetILNS1_3genE5ELNS1_11target_archE942ELNS1_3gpuE9ELNS1_3repE0EEENS1_30default_config_static_selectorELNS0_4arch9wavefront6targetE1EEEvT1_
    .private_segment_fixed_size: 0
    .sgpr_count:     4
    .sgpr_spill_count: 0
    .symbol:         _ZN7rocprim17ROCPRIM_400000_NS6detail17trampoline_kernelINS0_14default_configENS1_20scan_config_selectorIiEEZZNS1_9scan_implILNS1_25lookback_scan_determinismE0ELb0ELb1ES3_N6thrust23THRUST_200600_302600_NS6detail15normal_iteratorINS9_10device_ptrIiEEEESE_iNS9_10multipliesIiEEiEEDaPvRmT3_T4_T5_mT6_P12ihipStream_tbENKUlT_T0_E_clISt17integral_constantIbLb1EESU_EEDaSP_SQ_EUlSP_E_NS1_11comp_targetILNS1_3genE5ELNS1_11target_archE942ELNS1_3gpuE9ELNS1_3repE0EEENS1_30default_config_static_selectorELNS0_4arch9wavefront6targetE1EEEvT1_.kd
    .uniform_work_group_size: 1
    .uses_dynamic_stack: false
    .vgpr_count:     0
    .vgpr_spill_count: 0
    .wavefront_size: 64
  - .agpr_count:     0
    .args:
      - .offset:         0
        .size:           96
        .value_kind:     by_value
    .group_segment_fixed_size: 5120
    .kernarg_segment_align: 8
    .kernarg_segment_size: 96
    .language:       OpenCL C
    .language_version:
      - 2
      - 0
    .max_flat_workgroup_size: 128
    .name:           _ZN7rocprim17ROCPRIM_400000_NS6detail17trampoline_kernelINS0_14default_configENS1_20scan_config_selectorIiEEZZNS1_9scan_implILNS1_25lookback_scan_determinismE0ELb0ELb1ES3_N6thrust23THRUST_200600_302600_NS6detail15normal_iteratorINS9_10device_ptrIiEEEESE_iNS9_10multipliesIiEEiEEDaPvRmT3_T4_T5_mT6_P12ihipStream_tbENKUlT_T0_E_clISt17integral_constantIbLb1EESU_EEDaSP_SQ_EUlSP_E_NS1_11comp_targetILNS1_3genE4ELNS1_11target_archE910ELNS1_3gpuE8ELNS1_3repE0EEENS1_30default_config_static_selectorELNS0_4arch9wavefront6targetE1EEEvT1_
    .private_segment_fixed_size: 0
    .sgpr_count:     42
    .sgpr_spill_count: 0
    .symbol:         _ZN7rocprim17ROCPRIM_400000_NS6detail17trampoline_kernelINS0_14default_configENS1_20scan_config_selectorIiEEZZNS1_9scan_implILNS1_25lookback_scan_determinismE0ELb0ELb1ES3_N6thrust23THRUST_200600_302600_NS6detail15normal_iteratorINS9_10device_ptrIiEEEESE_iNS9_10multipliesIiEEiEEDaPvRmT3_T4_T5_mT6_P12ihipStream_tbENKUlT_T0_E_clISt17integral_constantIbLb1EESU_EEDaSP_SQ_EUlSP_E_NS1_11comp_targetILNS1_3genE4ELNS1_11target_archE910ELNS1_3gpuE8ELNS1_3repE0EEENS1_30default_config_static_selectorELNS0_4arch9wavefront6targetE1EEEvT1_.kd
    .uniform_work_group_size: 1
    .uses_dynamic_stack: false
    .vgpr_count:     40
    .vgpr_spill_count: 0
    .wavefront_size: 64
  - .agpr_count:     0
    .args:
      - .offset:         0
        .size:           96
        .value_kind:     by_value
    .group_segment_fixed_size: 0
    .kernarg_segment_align: 8
    .kernarg_segment_size: 96
    .language:       OpenCL C
    .language_version:
      - 2
      - 0
    .max_flat_workgroup_size: 256
    .name:           _ZN7rocprim17ROCPRIM_400000_NS6detail17trampoline_kernelINS0_14default_configENS1_20scan_config_selectorIiEEZZNS1_9scan_implILNS1_25lookback_scan_determinismE0ELb0ELb1ES3_N6thrust23THRUST_200600_302600_NS6detail15normal_iteratorINS9_10device_ptrIiEEEESE_iNS9_10multipliesIiEEiEEDaPvRmT3_T4_T5_mT6_P12ihipStream_tbENKUlT_T0_E_clISt17integral_constantIbLb1EESU_EEDaSP_SQ_EUlSP_E_NS1_11comp_targetILNS1_3genE3ELNS1_11target_archE908ELNS1_3gpuE7ELNS1_3repE0EEENS1_30default_config_static_selectorELNS0_4arch9wavefront6targetE1EEEvT1_
    .private_segment_fixed_size: 0
    .sgpr_count:     4
    .sgpr_spill_count: 0
    .symbol:         _ZN7rocprim17ROCPRIM_400000_NS6detail17trampoline_kernelINS0_14default_configENS1_20scan_config_selectorIiEEZZNS1_9scan_implILNS1_25lookback_scan_determinismE0ELb0ELb1ES3_N6thrust23THRUST_200600_302600_NS6detail15normal_iteratorINS9_10device_ptrIiEEEESE_iNS9_10multipliesIiEEiEEDaPvRmT3_T4_T5_mT6_P12ihipStream_tbENKUlT_T0_E_clISt17integral_constantIbLb1EESU_EEDaSP_SQ_EUlSP_E_NS1_11comp_targetILNS1_3genE3ELNS1_11target_archE908ELNS1_3gpuE7ELNS1_3repE0EEENS1_30default_config_static_selectorELNS0_4arch9wavefront6targetE1EEEvT1_.kd
    .uniform_work_group_size: 1
    .uses_dynamic_stack: false
    .vgpr_count:     0
    .vgpr_spill_count: 0
    .wavefront_size: 64
  - .agpr_count:     0
    .args:
      - .offset:         0
        .size:           96
        .value_kind:     by_value
    .group_segment_fixed_size: 0
    .kernarg_segment_align: 8
    .kernarg_segment_size: 96
    .language:       OpenCL C
    .language_version:
      - 2
      - 0
    .max_flat_workgroup_size: 256
    .name:           _ZN7rocprim17ROCPRIM_400000_NS6detail17trampoline_kernelINS0_14default_configENS1_20scan_config_selectorIiEEZZNS1_9scan_implILNS1_25lookback_scan_determinismE0ELb0ELb1ES3_N6thrust23THRUST_200600_302600_NS6detail15normal_iteratorINS9_10device_ptrIiEEEESE_iNS9_10multipliesIiEEiEEDaPvRmT3_T4_T5_mT6_P12ihipStream_tbENKUlT_T0_E_clISt17integral_constantIbLb1EESU_EEDaSP_SQ_EUlSP_E_NS1_11comp_targetILNS1_3genE2ELNS1_11target_archE906ELNS1_3gpuE6ELNS1_3repE0EEENS1_30default_config_static_selectorELNS0_4arch9wavefront6targetE1EEEvT1_
    .private_segment_fixed_size: 0
    .sgpr_count:     4
    .sgpr_spill_count: 0
    .symbol:         _ZN7rocprim17ROCPRIM_400000_NS6detail17trampoline_kernelINS0_14default_configENS1_20scan_config_selectorIiEEZZNS1_9scan_implILNS1_25lookback_scan_determinismE0ELb0ELb1ES3_N6thrust23THRUST_200600_302600_NS6detail15normal_iteratorINS9_10device_ptrIiEEEESE_iNS9_10multipliesIiEEiEEDaPvRmT3_T4_T5_mT6_P12ihipStream_tbENKUlT_T0_E_clISt17integral_constantIbLb1EESU_EEDaSP_SQ_EUlSP_E_NS1_11comp_targetILNS1_3genE2ELNS1_11target_archE906ELNS1_3gpuE6ELNS1_3repE0EEENS1_30default_config_static_selectorELNS0_4arch9wavefront6targetE1EEEvT1_.kd
    .uniform_work_group_size: 1
    .uses_dynamic_stack: false
    .vgpr_count:     0
    .vgpr_spill_count: 0
    .wavefront_size: 64
  - .agpr_count:     0
    .args:
      - .offset:         0
        .size:           96
        .value_kind:     by_value
    .group_segment_fixed_size: 0
    .kernarg_segment_align: 8
    .kernarg_segment_size: 96
    .language:       OpenCL C
    .language_version:
      - 2
      - 0
    .max_flat_workgroup_size: 256
    .name:           _ZN7rocprim17ROCPRIM_400000_NS6detail17trampoline_kernelINS0_14default_configENS1_20scan_config_selectorIiEEZZNS1_9scan_implILNS1_25lookback_scan_determinismE0ELb0ELb1ES3_N6thrust23THRUST_200600_302600_NS6detail15normal_iteratorINS9_10device_ptrIiEEEESE_iNS9_10multipliesIiEEiEEDaPvRmT3_T4_T5_mT6_P12ihipStream_tbENKUlT_T0_E_clISt17integral_constantIbLb1EESU_EEDaSP_SQ_EUlSP_E_NS1_11comp_targetILNS1_3genE10ELNS1_11target_archE1201ELNS1_3gpuE5ELNS1_3repE0EEENS1_30default_config_static_selectorELNS0_4arch9wavefront6targetE1EEEvT1_
    .private_segment_fixed_size: 0
    .sgpr_count:     4
    .sgpr_spill_count: 0
    .symbol:         _ZN7rocprim17ROCPRIM_400000_NS6detail17trampoline_kernelINS0_14default_configENS1_20scan_config_selectorIiEEZZNS1_9scan_implILNS1_25lookback_scan_determinismE0ELb0ELb1ES3_N6thrust23THRUST_200600_302600_NS6detail15normal_iteratorINS9_10device_ptrIiEEEESE_iNS9_10multipliesIiEEiEEDaPvRmT3_T4_T5_mT6_P12ihipStream_tbENKUlT_T0_E_clISt17integral_constantIbLb1EESU_EEDaSP_SQ_EUlSP_E_NS1_11comp_targetILNS1_3genE10ELNS1_11target_archE1201ELNS1_3gpuE5ELNS1_3repE0EEENS1_30default_config_static_selectorELNS0_4arch9wavefront6targetE1EEEvT1_.kd
    .uniform_work_group_size: 1
    .uses_dynamic_stack: false
    .vgpr_count:     0
    .vgpr_spill_count: 0
    .wavefront_size: 64
  - .agpr_count:     0
    .args:
      - .offset:         0
        .size:           96
        .value_kind:     by_value
    .group_segment_fixed_size: 0
    .kernarg_segment_align: 8
    .kernarg_segment_size: 96
    .language:       OpenCL C
    .language_version:
      - 2
      - 0
    .max_flat_workgroup_size: 256
    .name:           _ZN7rocprim17ROCPRIM_400000_NS6detail17trampoline_kernelINS0_14default_configENS1_20scan_config_selectorIiEEZZNS1_9scan_implILNS1_25lookback_scan_determinismE0ELb0ELb1ES3_N6thrust23THRUST_200600_302600_NS6detail15normal_iteratorINS9_10device_ptrIiEEEESE_iNS9_10multipliesIiEEiEEDaPvRmT3_T4_T5_mT6_P12ihipStream_tbENKUlT_T0_E_clISt17integral_constantIbLb1EESU_EEDaSP_SQ_EUlSP_E_NS1_11comp_targetILNS1_3genE10ELNS1_11target_archE1200ELNS1_3gpuE4ELNS1_3repE0EEENS1_30default_config_static_selectorELNS0_4arch9wavefront6targetE1EEEvT1_
    .private_segment_fixed_size: 0
    .sgpr_count:     4
    .sgpr_spill_count: 0
    .symbol:         _ZN7rocprim17ROCPRIM_400000_NS6detail17trampoline_kernelINS0_14default_configENS1_20scan_config_selectorIiEEZZNS1_9scan_implILNS1_25lookback_scan_determinismE0ELb0ELb1ES3_N6thrust23THRUST_200600_302600_NS6detail15normal_iteratorINS9_10device_ptrIiEEEESE_iNS9_10multipliesIiEEiEEDaPvRmT3_T4_T5_mT6_P12ihipStream_tbENKUlT_T0_E_clISt17integral_constantIbLb1EESU_EEDaSP_SQ_EUlSP_E_NS1_11comp_targetILNS1_3genE10ELNS1_11target_archE1200ELNS1_3gpuE4ELNS1_3repE0EEENS1_30default_config_static_selectorELNS0_4arch9wavefront6targetE1EEEvT1_.kd
    .uniform_work_group_size: 1
    .uses_dynamic_stack: false
    .vgpr_count:     0
    .vgpr_spill_count: 0
    .wavefront_size: 64
  - .agpr_count:     0
    .args:
      - .offset:         0
        .size:           96
        .value_kind:     by_value
    .group_segment_fixed_size: 0
    .kernarg_segment_align: 8
    .kernarg_segment_size: 96
    .language:       OpenCL C
    .language_version:
      - 2
      - 0
    .max_flat_workgroup_size: 256
    .name:           _ZN7rocprim17ROCPRIM_400000_NS6detail17trampoline_kernelINS0_14default_configENS1_20scan_config_selectorIiEEZZNS1_9scan_implILNS1_25lookback_scan_determinismE0ELb0ELb1ES3_N6thrust23THRUST_200600_302600_NS6detail15normal_iteratorINS9_10device_ptrIiEEEESE_iNS9_10multipliesIiEEiEEDaPvRmT3_T4_T5_mT6_P12ihipStream_tbENKUlT_T0_E_clISt17integral_constantIbLb1EESU_EEDaSP_SQ_EUlSP_E_NS1_11comp_targetILNS1_3genE9ELNS1_11target_archE1100ELNS1_3gpuE3ELNS1_3repE0EEENS1_30default_config_static_selectorELNS0_4arch9wavefront6targetE1EEEvT1_
    .private_segment_fixed_size: 0
    .sgpr_count:     4
    .sgpr_spill_count: 0
    .symbol:         _ZN7rocprim17ROCPRIM_400000_NS6detail17trampoline_kernelINS0_14default_configENS1_20scan_config_selectorIiEEZZNS1_9scan_implILNS1_25lookback_scan_determinismE0ELb0ELb1ES3_N6thrust23THRUST_200600_302600_NS6detail15normal_iteratorINS9_10device_ptrIiEEEESE_iNS9_10multipliesIiEEiEEDaPvRmT3_T4_T5_mT6_P12ihipStream_tbENKUlT_T0_E_clISt17integral_constantIbLb1EESU_EEDaSP_SQ_EUlSP_E_NS1_11comp_targetILNS1_3genE9ELNS1_11target_archE1100ELNS1_3gpuE3ELNS1_3repE0EEENS1_30default_config_static_selectorELNS0_4arch9wavefront6targetE1EEEvT1_.kd
    .uniform_work_group_size: 1
    .uses_dynamic_stack: false
    .vgpr_count:     0
    .vgpr_spill_count: 0
    .wavefront_size: 64
  - .agpr_count:     0
    .args:
      - .offset:         0
        .size:           96
        .value_kind:     by_value
    .group_segment_fixed_size: 0
    .kernarg_segment_align: 8
    .kernarg_segment_size: 96
    .language:       OpenCL C
    .language_version:
      - 2
      - 0
    .max_flat_workgroup_size: 64
    .name:           _ZN7rocprim17ROCPRIM_400000_NS6detail17trampoline_kernelINS0_14default_configENS1_20scan_config_selectorIiEEZZNS1_9scan_implILNS1_25lookback_scan_determinismE0ELb0ELb1ES3_N6thrust23THRUST_200600_302600_NS6detail15normal_iteratorINS9_10device_ptrIiEEEESE_iNS9_10multipliesIiEEiEEDaPvRmT3_T4_T5_mT6_P12ihipStream_tbENKUlT_T0_E_clISt17integral_constantIbLb1EESU_EEDaSP_SQ_EUlSP_E_NS1_11comp_targetILNS1_3genE8ELNS1_11target_archE1030ELNS1_3gpuE2ELNS1_3repE0EEENS1_30default_config_static_selectorELNS0_4arch9wavefront6targetE1EEEvT1_
    .private_segment_fixed_size: 0
    .sgpr_count:     4
    .sgpr_spill_count: 0
    .symbol:         _ZN7rocprim17ROCPRIM_400000_NS6detail17trampoline_kernelINS0_14default_configENS1_20scan_config_selectorIiEEZZNS1_9scan_implILNS1_25lookback_scan_determinismE0ELb0ELb1ES3_N6thrust23THRUST_200600_302600_NS6detail15normal_iteratorINS9_10device_ptrIiEEEESE_iNS9_10multipliesIiEEiEEDaPvRmT3_T4_T5_mT6_P12ihipStream_tbENKUlT_T0_E_clISt17integral_constantIbLb1EESU_EEDaSP_SQ_EUlSP_E_NS1_11comp_targetILNS1_3genE8ELNS1_11target_archE1030ELNS1_3gpuE2ELNS1_3repE0EEENS1_30default_config_static_selectorELNS0_4arch9wavefront6targetE1EEEvT1_.kd
    .uniform_work_group_size: 1
    .uses_dynamic_stack: false
    .vgpr_count:     0
    .vgpr_spill_count: 0
    .wavefront_size: 64
  - .agpr_count:     0
    .args:
      - .offset:         0
        .size:           32
        .value_kind:     by_value
    .group_segment_fixed_size: 0
    .kernarg_segment_align: 8
    .kernarg_segment_size: 32
    .language:       OpenCL C
    .language_version:
      - 2
      - 0
    .max_flat_workgroup_size: 256
    .name:           _ZN7rocprim17ROCPRIM_400000_NS6detail17trampoline_kernelINS0_14default_configENS1_20scan_config_selectorIiEEZZNS1_9scan_implILNS1_25lookback_scan_determinismE0ELb0ELb1ES3_N6thrust23THRUST_200600_302600_NS6detail15normal_iteratorINS9_10device_ptrIiEEEESE_iNS9_10multipliesIiEEiEEDaPvRmT3_T4_T5_mT6_P12ihipStream_tbENKUlT_T0_E_clISt17integral_constantIbLb1EESU_EEDaSP_SQ_EUlSP_E0_NS1_11comp_targetILNS1_3genE0ELNS1_11target_archE4294967295ELNS1_3gpuE0ELNS1_3repE0EEENS1_30default_config_static_selectorELNS0_4arch9wavefront6targetE1EEEvT1_
    .private_segment_fixed_size: 0
    .sgpr_count:     4
    .sgpr_spill_count: 0
    .symbol:         _ZN7rocprim17ROCPRIM_400000_NS6detail17trampoline_kernelINS0_14default_configENS1_20scan_config_selectorIiEEZZNS1_9scan_implILNS1_25lookback_scan_determinismE0ELb0ELb1ES3_N6thrust23THRUST_200600_302600_NS6detail15normal_iteratorINS9_10device_ptrIiEEEESE_iNS9_10multipliesIiEEiEEDaPvRmT3_T4_T5_mT6_P12ihipStream_tbENKUlT_T0_E_clISt17integral_constantIbLb1EESU_EEDaSP_SQ_EUlSP_E0_NS1_11comp_targetILNS1_3genE0ELNS1_11target_archE4294967295ELNS1_3gpuE0ELNS1_3repE0EEENS1_30default_config_static_selectorELNS0_4arch9wavefront6targetE1EEEvT1_.kd
    .uniform_work_group_size: 1
    .uses_dynamic_stack: false
    .vgpr_count:     0
    .vgpr_spill_count: 0
    .wavefront_size: 64
  - .agpr_count:     0
    .args:
      - .offset:         0
        .size:           32
        .value_kind:     by_value
    .group_segment_fixed_size: 0
    .kernarg_segment_align: 8
    .kernarg_segment_size: 32
    .language:       OpenCL C
    .language_version:
      - 2
      - 0
    .max_flat_workgroup_size: 256
    .name:           _ZN7rocprim17ROCPRIM_400000_NS6detail17trampoline_kernelINS0_14default_configENS1_20scan_config_selectorIiEEZZNS1_9scan_implILNS1_25lookback_scan_determinismE0ELb0ELb1ES3_N6thrust23THRUST_200600_302600_NS6detail15normal_iteratorINS9_10device_ptrIiEEEESE_iNS9_10multipliesIiEEiEEDaPvRmT3_T4_T5_mT6_P12ihipStream_tbENKUlT_T0_E_clISt17integral_constantIbLb1EESU_EEDaSP_SQ_EUlSP_E0_NS1_11comp_targetILNS1_3genE5ELNS1_11target_archE942ELNS1_3gpuE9ELNS1_3repE0EEENS1_30default_config_static_selectorELNS0_4arch9wavefront6targetE1EEEvT1_
    .private_segment_fixed_size: 0
    .sgpr_count:     4
    .sgpr_spill_count: 0
    .symbol:         _ZN7rocprim17ROCPRIM_400000_NS6detail17trampoline_kernelINS0_14default_configENS1_20scan_config_selectorIiEEZZNS1_9scan_implILNS1_25lookback_scan_determinismE0ELb0ELb1ES3_N6thrust23THRUST_200600_302600_NS6detail15normal_iteratorINS9_10device_ptrIiEEEESE_iNS9_10multipliesIiEEiEEDaPvRmT3_T4_T5_mT6_P12ihipStream_tbENKUlT_T0_E_clISt17integral_constantIbLb1EESU_EEDaSP_SQ_EUlSP_E0_NS1_11comp_targetILNS1_3genE5ELNS1_11target_archE942ELNS1_3gpuE9ELNS1_3repE0EEENS1_30default_config_static_selectorELNS0_4arch9wavefront6targetE1EEEvT1_.kd
    .uniform_work_group_size: 1
    .uses_dynamic_stack: false
    .vgpr_count:     0
    .vgpr_spill_count: 0
    .wavefront_size: 64
  - .agpr_count:     0
    .args:
      - .offset:         0
        .size:           32
        .value_kind:     by_value
    .group_segment_fixed_size: 5120
    .kernarg_segment_align: 8
    .kernarg_segment_size: 32
    .language:       OpenCL C
    .language_version:
      - 2
      - 0
    .max_flat_workgroup_size: 128
    .name:           _ZN7rocprim17ROCPRIM_400000_NS6detail17trampoline_kernelINS0_14default_configENS1_20scan_config_selectorIiEEZZNS1_9scan_implILNS1_25lookback_scan_determinismE0ELb0ELb1ES3_N6thrust23THRUST_200600_302600_NS6detail15normal_iteratorINS9_10device_ptrIiEEEESE_iNS9_10multipliesIiEEiEEDaPvRmT3_T4_T5_mT6_P12ihipStream_tbENKUlT_T0_E_clISt17integral_constantIbLb1EESU_EEDaSP_SQ_EUlSP_E0_NS1_11comp_targetILNS1_3genE4ELNS1_11target_archE910ELNS1_3gpuE8ELNS1_3repE0EEENS1_30default_config_static_selectorELNS0_4arch9wavefront6targetE1EEEvT1_
    .private_segment_fixed_size: 0
    .sgpr_count:     30
    .sgpr_spill_count: 0
    .symbol:         _ZN7rocprim17ROCPRIM_400000_NS6detail17trampoline_kernelINS0_14default_configENS1_20scan_config_selectorIiEEZZNS1_9scan_implILNS1_25lookback_scan_determinismE0ELb0ELb1ES3_N6thrust23THRUST_200600_302600_NS6detail15normal_iteratorINS9_10device_ptrIiEEEESE_iNS9_10multipliesIiEEiEEDaPvRmT3_T4_T5_mT6_P12ihipStream_tbENKUlT_T0_E_clISt17integral_constantIbLb1EESU_EEDaSP_SQ_EUlSP_E0_NS1_11comp_targetILNS1_3genE4ELNS1_11target_archE910ELNS1_3gpuE8ELNS1_3repE0EEENS1_30default_config_static_selectorELNS0_4arch9wavefront6targetE1EEEvT1_.kd
    .uniform_work_group_size: 1
    .uses_dynamic_stack: false
    .vgpr_count:     26
    .vgpr_spill_count: 0
    .wavefront_size: 64
  - .agpr_count:     0
    .args:
      - .offset:         0
        .size:           32
        .value_kind:     by_value
    .group_segment_fixed_size: 0
    .kernarg_segment_align: 8
    .kernarg_segment_size: 32
    .language:       OpenCL C
    .language_version:
      - 2
      - 0
    .max_flat_workgroup_size: 256
    .name:           _ZN7rocprim17ROCPRIM_400000_NS6detail17trampoline_kernelINS0_14default_configENS1_20scan_config_selectorIiEEZZNS1_9scan_implILNS1_25lookback_scan_determinismE0ELb0ELb1ES3_N6thrust23THRUST_200600_302600_NS6detail15normal_iteratorINS9_10device_ptrIiEEEESE_iNS9_10multipliesIiEEiEEDaPvRmT3_T4_T5_mT6_P12ihipStream_tbENKUlT_T0_E_clISt17integral_constantIbLb1EESU_EEDaSP_SQ_EUlSP_E0_NS1_11comp_targetILNS1_3genE3ELNS1_11target_archE908ELNS1_3gpuE7ELNS1_3repE0EEENS1_30default_config_static_selectorELNS0_4arch9wavefront6targetE1EEEvT1_
    .private_segment_fixed_size: 0
    .sgpr_count:     4
    .sgpr_spill_count: 0
    .symbol:         _ZN7rocprim17ROCPRIM_400000_NS6detail17trampoline_kernelINS0_14default_configENS1_20scan_config_selectorIiEEZZNS1_9scan_implILNS1_25lookback_scan_determinismE0ELb0ELb1ES3_N6thrust23THRUST_200600_302600_NS6detail15normal_iteratorINS9_10device_ptrIiEEEESE_iNS9_10multipliesIiEEiEEDaPvRmT3_T4_T5_mT6_P12ihipStream_tbENKUlT_T0_E_clISt17integral_constantIbLb1EESU_EEDaSP_SQ_EUlSP_E0_NS1_11comp_targetILNS1_3genE3ELNS1_11target_archE908ELNS1_3gpuE7ELNS1_3repE0EEENS1_30default_config_static_selectorELNS0_4arch9wavefront6targetE1EEEvT1_.kd
    .uniform_work_group_size: 1
    .uses_dynamic_stack: false
    .vgpr_count:     0
    .vgpr_spill_count: 0
    .wavefront_size: 64
  - .agpr_count:     0
    .args:
      - .offset:         0
        .size:           32
        .value_kind:     by_value
    .group_segment_fixed_size: 0
    .kernarg_segment_align: 8
    .kernarg_segment_size: 32
    .language:       OpenCL C
    .language_version:
      - 2
      - 0
    .max_flat_workgroup_size: 256
    .name:           _ZN7rocprim17ROCPRIM_400000_NS6detail17trampoline_kernelINS0_14default_configENS1_20scan_config_selectorIiEEZZNS1_9scan_implILNS1_25lookback_scan_determinismE0ELb0ELb1ES3_N6thrust23THRUST_200600_302600_NS6detail15normal_iteratorINS9_10device_ptrIiEEEESE_iNS9_10multipliesIiEEiEEDaPvRmT3_T4_T5_mT6_P12ihipStream_tbENKUlT_T0_E_clISt17integral_constantIbLb1EESU_EEDaSP_SQ_EUlSP_E0_NS1_11comp_targetILNS1_3genE2ELNS1_11target_archE906ELNS1_3gpuE6ELNS1_3repE0EEENS1_30default_config_static_selectorELNS0_4arch9wavefront6targetE1EEEvT1_
    .private_segment_fixed_size: 0
    .sgpr_count:     4
    .sgpr_spill_count: 0
    .symbol:         _ZN7rocprim17ROCPRIM_400000_NS6detail17trampoline_kernelINS0_14default_configENS1_20scan_config_selectorIiEEZZNS1_9scan_implILNS1_25lookback_scan_determinismE0ELb0ELb1ES3_N6thrust23THRUST_200600_302600_NS6detail15normal_iteratorINS9_10device_ptrIiEEEESE_iNS9_10multipliesIiEEiEEDaPvRmT3_T4_T5_mT6_P12ihipStream_tbENKUlT_T0_E_clISt17integral_constantIbLb1EESU_EEDaSP_SQ_EUlSP_E0_NS1_11comp_targetILNS1_3genE2ELNS1_11target_archE906ELNS1_3gpuE6ELNS1_3repE0EEENS1_30default_config_static_selectorELNS0_4arch9wavefront6targetE1EEEvT1_.kd
    .uniform_work_group_size: 1
    .uses_dynamic_stack: false
    .vgpr_count:     0
    .vgpr_spill_count: 0
    .wavefront_size: 64
  - .agpr_count:     0
    .args:
      - .offset:         0
        .size:           32
        .value_kind:     by_value
    .group_segment_fixed_size: 0
    .kernarg_segment_align: 8
    .kernarg_segment_size: 32
    .language:       OpenCL C
    .language_version:
      - 2
      - 0
    .max_flat_workgroup_size: 256
    .name:           _ZN7rocprim17ROCPRIM_400000_NS6detail17trampoline_kernelINS0_14default_configENS1_20scan_config_selectorIiEEZZNS1_9scan_implILNS1_25lookback_scan_determinismE0ELb0ELb1ES3_N6thrust23THRUST_200600_302600_NS6detail15normal_iteratorINS9_10device_ptrIiEEEESE_iNS9_10multipliesIiEEiEEDaPvRmT3_T4_T5_mT6_P12ihipStream_tbENKUlT_T0_E_clISt17integral_constantIbLb1EESU_EEDaSP_SQ_EUlSP_E0_NS1_11comp_targetILNS1_3genE10ELNS1_11target_archE1201ELNS1_3gpuE5ELNS1_3repE0EEENS1_30default_config_static_selectorELNS0_4arch9wavefront6targetE1EEEvT1_
    .private_segment_fixed_size: 0
    .sgpr_count:     4
    .sgpr_spill_count: 0
    .symbol:         _ZN7rocprim17ROCPRIM_400000_NS6detail17trampoline_kernelINS0_14default_configENS1_20scan_config_selectorIiEEZZNS1_9scan_implILNS1_25lookback_scan_determinismE0ELb0ELb1ES3_N6thrust23THRUST_200600_302600_NS6detail15normal_iteratorINS9_10device_ptrIiEEEESE_iNS9_10multipliesIiEEiEEDaPvRmT3_T4_T5_mT6_P12ihipStream_tbENKUlT_T0_E_clISt17integral_constantIbLb1EESU_EEDaSP_SQ_EUlSP_E0_NS1_11comp_targetILNS1_3genE10ELNS1_11target_archE1201ELNS1_3gpuE5ELNS1_3repE0EEENS1_30default_config_static_selectorELNS0_4arch9wavefront6targetE1EEEvT1_.kd
    .uniform_work_group_size: 1
    .uses_dynamic_stack: false
    .vgpr_count:     0
    .vgpr_spill_count: 0
    .wavefront_size: 64
  - .agpr_count:     0
    .args:
      - .offset:         0
        .size:           32
        .value_kind:     by_value
    .group_segment_fixed_size: 0
    .kernarg_segment_align: 8
    .kernarg_segment_size: 32
    .language:       OpenCL C
    .language_version:
      - 2
      - 0
    .max_flat_workgroup_size: 256
    .name:           _ZN7rocprim17ROCPRIM_400000_NS6detail17trampoline_kernelINS0_14default_configENS1_20scan_config_selectorIiEEZZNS1_9scan_implILNS1_25lookback_scan_determinismE0ELb0ELb1ES3_N6thrust23THRUST_200600_302600_NS6detail15normal_iteratorINS9_10device_ptrIiEEEESE_iNS9_10multipliesIiEEiEEDaPvRmT3_T4_T5_mT6_P12ihipStream_tbENKUlT_T0_E_clISt17integral_constantIbLb1EESU_EEDaSP_SQ_EUlSP_E0_NS1_11comp_targetILNS1_3genE10ELNS1_11target_archE1200ELNS1_3gpuE4ELNS1_3repE0EEENS1_30default_config_static_selectorELNS0_4arch9wavefront6targetE1EEEvT1_
    .private_segment_fixed_size: 0
    .sgpr_count:     4
    .sgpr_spill_count: 0
    .symbol:         _ZN7rocprim17ROCPRIM_400000_NS6detail17trampoline_kernelINS0_14default_configENS1_20scan_config_selectorIiEEZZNS1_9scan_implILNS1_25lookback_scan_determinismE0ELb0ELb1ES3_N6thrust23THRUST_200600_302600_NS6detail15normal_iteratorINS9_10device_ptrIiEEEESE_iNS9_10multipliesIiEEiEEDaPvRmT3_T4_T5_mT6_P12ihipStream_tbENKUlT_T0_E_clISt17integral_constantIbLb1EESU_EEDaSP_SQ_EUlSP_E0_NS1_11comp_targetILNS1_3genE10ELNS1_11target_archE1200ELNS1_3gpuE4ELNS1_3repE0EEENS1_30default_config_static_selectorELNS0_4arch9wavefront6targetE1EEEvT1_.kd
    .uniform_work_group_size: 1
    .uses_dynamic_stack: false
    .vgpr_count:     0
    .vgpr_spill_count: 0
    .wavefront_size: 64
  - .agpr_count:     0
    .args:
      - .offset:         0
        .size:           32
        .value_kind:     by_value
    .group_segment_fixed_size: 0
    .kernarg_segment_align: 8
    .kernarg_segment_size: 32
    .language:       OpenCL C
    .language_version:
      - 2
      - 0
    .max_flat_workgroup_size: 256
    .name:           _ZN7rocprim17ROCPRIM_400000_NS6detail17trampoline_kernelINS0_14default_configENS1_20scan_config_selectorIiEEZZNS1_9scan_implILNS1_25lookback_scan_determinismE0ELb0ELb1ES3_N6thrust23THRUST_200600_302600_NS6detail15normal_iteratorINS9_10device_ptrIiEEEESE_iNS9_10multipliesIiEEiEEDaPvRmT3_T4_T5_mT6_P12ihipStream_tbENKUlT_T0_E_clISt17integral_constantIbLb1EESU_EEDaSP_SQ_EUlSP_E0_NS1_11comp_targetILNS1_3genE9ELNS1_11target_archE1100ELNS1_3gpuE3ELNS1_3repE0EEENS1_30default_config_static_selectorELNS0_4arch9wavefront6targetE1EEEvT1_
    .private_segment_fixed_size: 0
    .sgpr_count:     4
    .sgpr_spill_count: 0
    .symbol:         _ZN7rocprim17ROCPRIM_400000_NS6detail17trampoline_kernelINS0_14default_configENS1_20scan_config_selectorIiEEZZNS1_9scan_implILNS1_25lookback_scan_determinismE0ELb0ELb1ES3_N6thrust23THRUST_200600_302600_NS6detail15normal_iteratorINS9_10device_ptrIiEEEESE_iNS9_10multipliesIiEEiEEDaPvRmT3_T4_T5_mT6_P12ihipStream_tbENKUlT_T0_E_clISt17integral_constantIbLb1EESU_EEDaSP_SQ_EUlSP_E0_NS1_11comp_targetILNS1_3genE9ELNS1_11target_archE1100ELNS1_3gpuE3ELNS1_3repE0EEENS1_30default_config_static_selectorELNS0_4arch9wavefront6targetE1EEEvT1_.kd
    .uniform_work_group_size: 1
    .uses_dynamic_stack: false
    .vgpr_count:     0
    .vgpr_spill_count: 0
    .wavefront_size: 64
  - .agpr_count:     0
    .args:
      - .offset:         0
        .size:           32
        .value_kind:     by_value
    .group_segment_fixed_size: 0
    .kernarg_segment_align: 8
    .kernarg_segment_size: 32
    .language:       OpenCL C
    .language_version:
      - 2
      - 0
    .max_flat_workgroup_size: 64
    .name:           _ZN7rocprim17ROCPRIM_400000_NS6detail17trampoline_kernelINS0_14default_configENS1_20scan_config_selectorIiEEZZNS1_9scan_implILNS1_25lookback_scan_determinismE0ELb0ELb1ES3_N6thrust23THRUST_200600_302600_NS6detail15normal_iteratorINS9_10device_ptrIiEEEESE_iNS9_10multipliesIiEEiEEDaPvRmT3_T4_T5_mT6_P12ihipStream_tbENKUlT_T0_E_clISt17integral_constantIbLb1EESU_EEDaSP_SQ_EUlSP_E0_NS1_11comp_targetILNS1_3genE8ELNS1_11target_archE1030ELNS1_3gpuE2ELNS1_3repE0EEENS1_30default_config_static_selectorELNS0_4arch9wavefront6targetE1EEEvT1_
    .private_segment_fixed_size: 0
    .sgpr_count:     4
    .sgpr_spill_count: 0
    .symbol:         _ZN7rocprim17ROCPRIM_400000_NS6detail17trampoline_kernelINS0_14default_configENS1_20scan_config_selectorIiEEZZNS1_9scan_implILNS1_25lookback_scan_determinismE0ELb0ELb1ES3_N6thrust23THRUST_200600_302600_NS6detail15normal_iteratorINS9_10device_ptrIiEEEESE_iNS9_10multipliesIiEEiEEDaPvRmT3_T4_T5_mT6_P12ihipStream_tbENKUlT_T0_E_clISt17integral_constantIbLb1EESU_EEDaSP_SQ_EUlSP_E0_NS1_11comp_targetILNS1_3genE8ELNS1_11target_archE1030ELNS1_3gpuE2ELNS1_3repE0EEENS1_30default_config_static_selectorELNS0_4arch9wavefront6targetE1EEEvT1_.kd
    .uniform_work_group_size: 1
    .uses_dynamic_stack: false
    .vgpr_count:     0
    .vgpr_spill_count: 0
    .wavefront_size: 64
  - .agpr_count:     0
    .args:
      - .offset:         0
        .size:           96
        .value_kind:     by_value
    .group_segment_fixed_size: 0
    .kernarg_segment_align: 8
    .kernarg_segment_size: 96
    .language:       OpenCL C
    .language_version:
      - 2
      - 0
    .max_flat_workgroup_size: 256
    .name:           _ZN7rocprim17ROCPRIM_400000_NS6detail17trampoline_kernelINS0_14default_configENS1_20scan_config_selectorIiEEZZNS1_9scan_implILNS1_25lookback_scan_determinismE0ELb0ELb1ES3_N6thrust23THRUST_200600_302600_NS6detail15normal_iteratorINS9_10device_ptrIiEEEESE_iNS9_10multipliesIiEEiEEDaPvRmT3_T4_T5_mT6_P12ihipStream_tbENKUlT_T0_E_clISt17integral_constantIbLb1EEST_IbLb0EEEEDaSP_SQ_EUlSP_E_NS1_11comp_targetILNS1_3genE0ELNS1_11target_archE4294967295ELNS1_3gpuE0ELNS1_3repE0EEENS1_30default_config_static_selectorELNS0_4arch9wavefront6targetE1EEEvT1_
    .private_segment_fixed_size: 0
    .sgpr_count:     4
    .sgpr_spill_count: 0
    .symbol:         _ZN7rocprim17ROCPRIM_400000_NS6detail17trampoline_kernelINS0_14default_configENS1_20scan_config_selectorIiEEZZNS1_9scan_implILNS1_25lookback_scan_determinismE0ELb0ELb1ES3_N6thrust23THRUST_200600_302600_NS6detail15normal_iteratorINS9_10device_ptrIiEEEESE_iNS9_10multipliesIiEEiEEDaPvRmT3_T4_T5_mT6_P12ihipStream_tbENKUlT_T0_E_clISt17integral_constantIbLb1EEST_IbLb0EEEEDaSP_SQ_EUlSP_E_NS1_11comp_targetILNS1_3genE0ELNS1_11target_archE4294967295ELNS1_3gpuE0ELNS1_3repE0EEENS1_30default_config_static_selectorELNS0_4arch9wavefront6targetE1EEEvT1_.kd
    .uniform_work_group_size: 1
    .uses_dynamic_stack: false
    .vgpr_count:     0
    .vgpr_spill_count: 0
    .wavefront_size: 64
  - .agpr_count:     0
    .args:
      - .offset:         0
        .size:           96
        .value_kind:     by_value
    .group_segment_fixed_size: 0
    .kernarg_segment_align: 8
    .kernarg_segment_size: 96
    .language:       OpenCL C
    .language_version:
      - 2
      - 0
    .max_flat_workgroup_size: 256
    .name:           _ZN7rocprim17ROCPRIM_400000_NS6detail17trampoline_kernelINS0_14default_configENS1_20scan_config_selectorIiEEZZNS1_9scan_implILNS1_25lookback_scan_determinismE0ELb0ELb1ES3_N6thrust23THRUST_200600_302600_NS6detail15normal_iteratorINS9_10device_ptrIiEEEESE_iNS9_10multipliesIiEEiEEDaPvRmT3_T4_T5_mT6_P12ihipStream_tbENKUlT_T0_E_clISt17integral_constantIbLb1EEST_IbLb0EEEEDaSP_SQ_EUlSP_E_NS1_11comp_targetILNS1_3genE5ELNS1_11target_archE942ELNS1_3gpuE9ELNS1_3repE0EEENS1_30default_config_static_selectorELNS0_4arch9wavefront6targetE1EEEvT1_
    .private_segment_fixed_size: 0
    .sgpr_count:     4
    .sgpr_spill_count: 0
    .symbol:         _ZN7rocprim17ROCPRIM_400000_NS6detail17trampoline_kernelINS0_14default_configENS1_20scan_config_selectorIiEEZZNS1_9scan_implILNS1_25lookback_scan_determinismE0ELb0ELb1ES3_N6thrust23THRUST_200600_302600_NS6detail15normal_iteratorINS9_10device_ptrIiEEEESE_iNS9_10multipliesIiEEiEEDaPvRmT3_T4_T5_mT6_P12ihipStream_tbENKUlT_T0_E_clISt17integral_constantIbLb1EEST_IbLb0EEEEDaSP_SQ_EUlSP_E_NS1_11comp_targetILNS1_3genE5ELNS1_11target_archE942ELNS1_3gpuE9ELNS1_3repE0EEENS1_30default_config_static_selectorELNS0_4arch9wavefront6targetE1EEEvT1_.kd
    .uniform_work_group_size: 1
    .uses_dynamic_stack: false
    .vgpr_count:     0
    .vgpr_spill_count: 0
    .wavefront_size: 64
  - .agpr_count:     0
    .args:
      - .offset:         0
        .size:           96
        .value_kind:     by_value
    .group_segment_fixed_size: 5120
    .kernarg_segment_align: 8
    .kernarg_segment_size: 96
    .language:       OpenCL C
    .language_version:
      - 2
      - 0
    .max_flat_workgroup_size: 128
    .name:           _ZN7rocprim17ROCPRIM_400000_NS6detail17trampoline_kernelINS0_14default_configENS1_20scan_config_selectorIiEEZZNS1_9scan_implILNS1_25lookback_scan_determinismE0ELb0ELb1ES3_N6thrust23THRUST_200600_302600_NS6detail15normal_iteratorINS9_10device_ptrIiEEEESE_iNS9_10multipliesIiEEiEEDaPvRmT3_T4_T5_mT6_P12ihipStream_tbENKUlT_T0_E_clISt17integral_constantIbLb1EEST_IbLb0EEEEDaSP_SQ_EUlSP_E_NS1_11comp_targetILNS1_3genE4ELNS1_11target_archE910ELNS1_3gpuE8ELNS1_3repE0EEENS1_30default_config_static_selectorELNS0_4arch9wavefront6targetE1EEEvT1_
    .private_segment_fixed_size: 0
    .sgpr_count:     34
    .sgpr_spill_count: 0
    .symbol:         _ZN7rocprim17ROCPRIM_400000_NS6detail17trampoline_kernelINS0_14default_configENS1_20scan_config_selectorIiEEZZNS1_9scan_implILNS1_25lookback_scan_determinismE0ELb0ELb1ES3_N6thrust23THRUST_200600_302600_NS6detail15normal_iteratorINS9_10device_ptrIiEEEESE_iNS9_10multipliesIiEEiEEDaPvRmT3_T4_T5_mT6_P12ihipStream_tbENKUlT_T0_E_clISt17integral_constantIbLb1EEST_IbLb0EEEEDaSP_SQ_EUlSP_E_NS1_11comp_targetILNS1_3genE4ELNS1_11target_archE910ELNS1_3gpuE8ELNS1_3repE0EEENS1_30default_config_static_selectorELNS0_4arch9wavefront6targetE1EEEvT1_.kd
    .uniform_work_group_size: 1
    .uses_dynamic_stack: false
    .vgpr_count:     40
    .vgpr_spill_count: 0
    .wavefront_size: 64
  - .agpr_count:     0
    .args:
      - .offset:         0
        .size:           96
        .value_kind:     by_value
    .group_segment_fixed_size: 0
    .kernarg_segment_align: 8
    .kernarg_segment_size: 96
    .language:       OpenCL C
    .language_version:
      - 2
      - 0
    .max_flat_workgroup_size: 256
    .name:           _ZN7rocprim17ROCPRIM_400000_NS6detail17trampoline_kernelINS0_14default_configENS1_20scan_config_selectorIiEEZZNS1_9scan_implILNS1_25lookback_scan_determinismE0ELb0ELb1ES3_N6thrust23THRUST_200600_302600_NS6detail15normal_iteratorINS9_10device_ptrIiEEEESE_iNS9_10multipliesIiEEiEEDaPvRmT3_T4_T5_mT6_P12ihipStream_tbENKUlT_T0_E_clISt17integral_constantIbLb1EEST_IbLb0EEEEDaSP_SQ_EUlSP_E_NS1_11comp_targetILNS1_3genE3ELNS1_11target_archE908ELNS1_3gpuE7ELNS1_3repE0EEENS1_30default_config_static_selectorELNS0_4arch9wavefront6targetE1EEEvT1_
    .private_segment_fixed_size: 0
    .sgpr_count:     4
    .sgpr_spill_count: 0
    .symbol:         _ZN7rocprim17ROCPRIM_400000_NS6detail17trampoline_kernelINS0_14default_configENS1_20scan_config_selectorIiEEZZNS1_9scan_implILNS1_25lookback_scan_determinismE0ELb0ELb1ES3_N6thrust23THRUST_200600_302600_NS6detail15normal_iteratorINS9_10device_ptrIiEEEESE_iNS9_10multipliesIiEEiEEDaPvRmT3_T4_T5_mT6_P12ihipStream_tbENKUlT_T0_E_clISt17integral_constantIbLb1EEST_IbLb0EEEEDaSP_SQ_EUlSP_E_NS1_11comp_targetILNS1_3genE3ELNS1_11target_archE908ELNS1_3gpuE7ELNS1_3repE0EEENS1_30default_config_static_selectorELNS0_4arch9wavefront6targetE1EEEvT1_.kd
    .uniform_work_group_size: 1
    .uses_dynamic_stack: false
    .vgpr_count:     0
    .vgpr_spill_count: 0
    .wavefront_size: 64
  - .agpr_count:     0
    .args:
      - .offset:         0
        .size:           96
        .value_kind:     by_value
    .group_segment_fixed_size: 0
    .kernarg_segment_align: 8
    .kernarg_segment_size: 96
    .language:       OpenCL C
    .language_version:
      - 2
      - 0
    .max_flat_workgroup_size: 256
    .name:           _ZN7rocprim17ROCPRIM_400000_NS6detail17trampoline_kernelINS0_14default_configENS1_20scan_config_selectorIiEEZZNS1_9scan_implILNS1_25lookback_scan_determinismE0ELb0ELb1ES3_N6thrust23THRUST_200600_302600_NS6detail15normal_iteratorINS9_10device_ptrIiEEEESE_iNS9_10multipliesIiEEiEEDaPvRmT3_T4_T5_mT6_P12ihipStream_tbENKUlT_T0_E_clISt17integral_constantIbLb1EEST_IbLb0EEEEDaSP_SQ_EUlSP_E_NS1_11comp_targetILNS1_3genE2ELNS1_11target_archE906ELNS1_3gpuE6ELNS1_3repE0EEENS1_30default_config_static_selectorELNS0_4arch9wavefront6targetE1EEEvT1_
    .private_segment_fixed_size: 0
    .sgpr_count:     4
    .sgpr_spill_count: 0
    .symbol:         _ZN7rocprim17ROCPRIM_400000_NS6detail17trampoline_kernelINS0_14default_configENS1_20scan_config_selectorIiEEZZNS1_9scan_implILNS1_25lookback_scan_determinismE0ELb0ELb1ES3_N6thrust23THRUST_200600_302600_NS6detail15normal_iteratorINS9_10device_ptrIiEEEESE_iNS9_10multipliesIiEEiEEDaPvRmT3_T4_T5_mT6_P12ihipStream_tbENKUlT_T0_E_clISt17integral_constantIbLb1EEST_IbLb0EEEEDaSP_SQ_EUlSP_E_NS1_11comp_targetILNS1_3genE2ELNS1_11target_archE906ELNS1_3gpuE6ELNS1_3repE0EEENS1_30default_config_static_selectorELNS0_4arch9wavefront6targetE1EEEvT1_.kd
    .uniform_work_group_size: 1
    .uses_dynamic_stack: false
    .vgpr_count:     0
    .vgpr_spill_count: 0
    .wavefront_size: 64
  - .agpr_count:     0
    .args:
      - .offset:         0
        .size:           96
        .value_kind:     by_value
    .group_segment_fixed_size: 0
    .kernarg_segment_align: 8
    .kernarg_segment_size: 96
    .language:       OpenCL C
    .language_version:
      - 2
      - 0
    .max_flat_workgroup_size: 256
    .name:           _ZN7rocprim17ROCPRIM_400000_NS6detail17trampoline_kernelINS0_14default_configENS1_20scan_config_selectorIiEEZZNS1_9scan_implILNS1_25lookback_scan_determinismE0ELb0ELb1ES3_N6thrust23THRUST_200600_302600_NS6detail15normal_iteratorINS9_10device_ptrIiEEEESE_iNS9_10multipliesIiEEiEEDaPvRmT3_T4_T5_mT6_P12ihipStream_tbENKUlT_T0_E_clISt17integral_constantIbLb1EEST_IbLb0EEEEDaSP_SQ_EUlSP_E_NS1_11comp_targetILNS1_3genE10ELNS1_11target_archE1201ELNS1_3gpuE5ELNS1_3repE0EEENS1_30default_config_static_selectorELNS0_4arch9wavefront6targetE1EEEvT1_
    .private_segment_fixed_size: 0
    .sgpr_count:     4
    .sgpr_spill_count: 0
    .symbol:         _ZN7rocprim17ROCPRIM_400000_NS6detail17trampoline_kernelINS0_14default_configENS1_20scan_config_selectorIiEEZZNS1_9scan_implILNS1_25lookback_scan_determinismE0ELb0ELb1ES3_N6thrust23THRUST_200600_302600_NS6detail15normal_iteratorINS9_10device_ptrIiEEEESE_iNS9_10multipliesIiEEiEEDaPvRmT3_T4_T5_mT6_P12ihipStream_tbENKUlT_T0_E_clISt17integral_constantIbLb1EEST_IbLb0EEEEDaSP_SQ_EUlSP_E_NS1_11comp_targetILNS1_3genE10ELNS1_11target_archE1201ELNS1_3gpuE5ELNS1_3repE0EEENS1_30default_config_static_selectorELNS0_4arch9wavefront6targetE1EEEvT1_.kd
    .uniform_work_group_size: 1
    .uses_dynamic_stack: false
    .vgpr_count:     0
    .vgpr_spill_count: 0
    .wavefront_size: 64
  - .agpr_count:     0
    .args:
      - .offset:         0
        .size:           96
        .value_kind:     by_value
    .group_segment_fixed_size: 0
    .kernarg_segment_align: 8
    .kernarg_segment_size: 96
    .language:       OpenCL C
    .language_version:
      - 2
      - 0
    .max_flat_workgroup_size: 256
    .name:           _ZN7rocprim17ROCPRIM_400000_NS6detail17trampoline_kernelINS0_14default_configENS1_20scan_config_selectorIiEEZZNS1_9scan_implILNS1_25lookback_scan_determinismE0ELb0ELb1ES3_N6thrust23THRUST_200600_302600_NS6detail15normal_iteratorINS9_10device_ptrIiEEEESE_iNS9_10multipliesIiEEiEEDaPvRmT3_T4_T5_mT6_P12ihipStream_tbENKUlT_T0_E_clISt17integral_constantIbLb1EEST_IbLb0EEEEDaSP_SQ_EUlSP_E_NS1_11comp_targetILNS1_3genE10ELNS1_11target_archE1200ELNS1_3gpuE4ELNS1_3repE0EEENS1_30default_config_static_selectorELNS0_4arch9wavefront6targetE1EEEvT1_
    .private_segment_fixed_size: 0
    .sgpr_count:     4
    .sgpr_spill_count: 0
    .symbol:         _ZN7rocprim17ROCPRIM_400000_NS6detail17trampoline_kernelINS0_14default_configENS1_20scan_config_selectorIiEEZZNS1_9scan_implILNS1_25lookback_scan_determinismE0ELb0ELb1ES3_N6thrust23THRUST_200600_302600_NS6detail15normal_iteratorINS9_10device_ptrIiEEEESE_iNS9_10multipliesIiEEiEEDaPvRmT3_T4_T5_mT6_P12ihipStream_tbENKUlT_T0_E_clISt17integral_constantIbLb1EEST_IbLb0EEEEDaSP_SQ_EUlSP_E_NS1_11comp_targetILNS1_3genE10ELNS1_11target_archE1200ELNS1_3gpuE4ELNS1_3repE0EEENS1_30default_config_static_selectorELNS0_4arch9wavefront6targetE1EEEvT1_.kd
    .uniform_work_group_size: 1
    .uses_dynamic_stack: false
    .vgpr_count:     0
    .vgpr_spill_count: 0
    .wavefront_size: 64
  - .agpr_count:     0
    .args:
      - .offset:         0
        .size:           96
        .value_kind:     by_value
    .group_segment_fixed_size: 0
    .kernarg_segment_align: 8
    .kernarg_segment_size: 96
    .language:       OpenCL C
    .language_version:
      - 2
      - 0
    .max_flat_workgroup_size: 256
    .name:           _ZN7rocprim17ROCPRIM_400000_NS6detail17trampoline_kernelINS0_14default_configENS1_20scan_config_selectorIiEEZZNS1_9scan_implILNS1_25lookback_scan_determinismE0ELb0ELb1ES3_N6thrust23THRUST_200600_302600_NS6detail15normal_iteratorINS9_10device_ptrIiEEEESE_iNS9_10multipliesIiEEiEEDaPvRmT3_T4_T5_mT6_P12ihipStream_tbENKUlT_T0_E_clISt17integral_constantIbLb1EEST_IbLb0EEEEDaSP_SQ_EUlSP_E_NS1_11comp_targetILNS1_3genE9ELNS1_11target_archE1100ELNS1_3gpuE3ELNS1_3repE0EEENS1_30default_config_static_selectorELNS0_4arch9wavefront6targetE1EEEvT1_
    .private_segment_fixed_size: 0
    .sgpr_count:     4
    .sgpr_spill_count: 0
    .symbol:         _ZN7rocprim17ROCPRIM_400000_NS6detail17trampoline_kernelINS0_14default_configENS1_20scan_config_selectorIiEEZZNS1_9scan_implILNS1_25lookback_scan_determinismE0ELb0ELb1ES3_N6thrust23THRUST_200600_302600_NS6detail15normal_iteratorINS9_10device_ptrIiEEEESE_iNS9_10multipliesIiEEiEEDaPvRmT3_T4_T5_mT6_P12ihipStream_tbENKUlT_T0_E_clISt17integral_constantIbLb1EEST_IbLb0EEEEDaSP_SQ_EUlSP_E_NS1_11comp_targetILNS1_3genE9ELNS1_11target_archE1100ELNS1_3gpuE3ELNS1_3repE0EEENS1_30default_config_static_selectorELNS0_4arch9wavefront6targetE1EEEvT1_.kd
    .uniform_work_group_size: 1
    .uses_dynamic_stack: false
    .vgpr_count:     0
    .vgpr_spill_count: 0
    .wavefront_size: 64
  - .agpr_count:     0
    .args:
      - .offset:         0
        .size:           96
        .value_kind:     by_value
    .group_segment_fixed_size: 0
    .kernarg_segment_align: 8
    .kernarg_segment_size: 96
    .language:       OpenCL C
    .language_version:
      - 2
      - 0
    .max_flat_workgroup_size: 64
    .name:           _ZN7rocprim17ROCPRIM_400000_NS6detail17trampoline_kernelINS0_14default_configENS1_20scan_config_selectorIiEEZZNS1_9scan_implILNS1_25lookback_scan_determinismE0ELb0ELb1ES3_N6thrust23THRUST_200600_302600_NS6detail15normal_iteratorINS9_10device_ptrIiEEEESE_iNS9_10multipliesIiEEiEEDaPvRmT3_T4_T5_mT6_P12ihipStream_tbENKUlT_T0_E_clISt17integral_constantIbLb1EEST_IbLb0EEEEDaSP_SQ_EUlSP_E_NS1_11comp_targetILNS1_3genE8ELNS1_11target_archE1030ELNS1_3gpuE2ELNS1_3repE0EEENS1_30default_config_static_selectorELNS0_4arch9wavefront6targetE1EEEvT1_
    .private_segment_fixed_size: 0
    .sgpr_count:     4
    .sgpr_spill_count: 0
    .symbol:         _ZN7rocprim17ROCPRIM_400000_NS6detail17trampoline_kernelINS0_14default_configENS1_20scan_config_selectorIiEEZZNS1_9scan_implILNS1_25lookback_scan_determinismE0ELb0ELb1ES3_N6thrust23THRUST_200600_302600_NS6detail15normal_iteratorINS9_10device_ptrIiEEEESE_iNS9_10multipliesIiEEiEEDaPvRmT3_T4_T5_mT6_P12ihipStream_tbENKUlT_T0_E_clISt17integral_constantIbLb1EEST_IbLb0EEEEDaSP_SQ_EUlSP_E_NS1_11comp_targetILNS1_3genE8ELNS1_11target_archE1030ELNS1_3gpuE2ELNS1_3repE0EEENS1_30default_config_static_selectorELNS0_4arch9wavefront6targetE1EEEvT1_.kd
    .uniform_work_group_size: 1
    .uses_dynamic_stack: false
    .vgpr_count:     0
    .vgpr_spill_count: 0
    .wavefront_size: 64
  - .agpr_count:     0
    .args:
      - .offset:         0
        .size:           32
        .value_kind:     by_value
    .group_segment_fixed_size: 0
    .kernarg_segment_align: 8
    .kernarg_segment_size: 32
    .language:       OpenCL C
    .language_version:
      - 2
      - 0
    .max_flat_workgroup_size: 256
    .name:           _ZN7rocprim17ROCPRIM_400000_NS6detail17trampoline_kernelINS0_14default_configENS1_20scan_config_selectorIiEEZZNS1_9scan_implILNS1_25lookback_scan_determinismE0ELb0ELb1ES3_N6thrust23THRUST_200600_302600_NS6detail15normal_iteratorINS9_10device_ptrIiEEEESE_iNS9_10multipliesIiEEiEEDaPvRmT3_T4_T5_mT6_P12ihipStream_tbENKUlT_T0_E_clISt17integral_constantIbLb1EEST_IbLb0EEEEDaSP_SQ_EUlSP_E0_NS1_11comp_targetILNS1_3genE0ELNS1_11target_archE4294967295ELNS1_3gpuE0ELNS1_3repE0EEENS1_30default_config_static_selectorELNS0_4arch9wavefront6targetE1EEEvT1_
    .private_segment_fixed_size: 0
    .sgpr_count:     4
    .sgpr_spill_count: 0
    .symbol:         _ZN7rocprim17ROCPRIM_400000_NS6detail17trampoline_kernelINS0_14default_configENS1_20scan_config_selectorIiEEZZNS1_9scan_implILNS1_25lookback_scan_determinismE0ELb0ELb1ES3_N6thrust23THRUST_200600_302600_NS6detail15normal_iteratorINS9_10device_ptrIiEEEESE_iNS9_10multipliesIiEEiEEDaPvRmT3_T4_T5_mT6_P12ihipStream_tbENKUlT_T0_E_clISt17integral_constantIbLb1EEST_IbLb0EEEEDaSP_SQ_EUlSP_E0_NS1_11comp_targetILNS1_3genE0ELNS1_11target_archE4294967295ELNS1_3gpuE0ELNS1_3repE0EEENS1_30default_config_static_selectorELNS0_4arch9wavefront6targetE1EEEvT1_.kd
    .uniform_work_group_size: 1
    .uses_dynamic_stack: false
    .vgpr_count:     0
    .vgpr_spill_count: 0
    .wavefront_size: 64
  - .agpr_count:     0
    .args:
      - .offset:         0
        .size:           32
        .value_kind:     by_value
    .group_segment_fixed_size: 0
    .kernarg_segment_align: 8
    .kernarg_segment_size: 32
    .language:       OpenCL C
    .language_version:
      - 2
      - 0
    .max_flat_workgroup_size: 256
    .name:           _ZN7rocprim17ROCPRIM_400000_NS6detail17trampoline_kernelINS0_14default_configENS1_20scan_config_selectorIiEEZZNS1_9scan_implILNS1_25lookback_scan_determinismE0ELb0ELb1ES3_N6thrust23THRUST_200600_302600_NS6detail15normal_iteratorINS9_10device_ptrIiEEEESE_iNS9_10multipliesIiEEiEEDaPvRmT3_T4_T5_mT6_P12ihipStream_tbENKUlT_T0_E_clISt17integral_constantIbLb1EEST_IbLb0EEEEDaSP_SQ_EUlSP_E0_NS1_11comp_targetILNS1_3genE5ELNS1_11target_archE942ELNS1_3gpuE9ELNS1_3repE0EEENS1_30default_config_static_selectorELNS0_4arch9wavefront6targetE1EEEvT1_
    .private_segment_fixed_size: 0
    .sgpr_count:     4
    .sgpr_spill_count: 0
    .symbol:         _ZN7rocprim17ROCPRIM_400000_NS6detail17trampoline_kernelINS0_14default_configENS1_20scan_config_selectorIiEEZZNS1_9scan_implILNS1_25lookback_scan_determinismE0ELb0ELb1ES3_N6thrust23THRUST_200600_302600_NS6detail15normal_iteratorINS9_10device_ptrIiEEEESE_iNS9_10multipliesIiEEiEEDaPvRmT3_T4_T5_mT6_P12ihipStream_tbENKUlT_T0_E_clISt17integral_constantIbLb1EEST_IbLb0EEEEDaSP_SQ_EUlSP_E0_NS1_11comp_targetILNS1_3genE5ELNS1_11target_archE942ELNS1_3gpuE9ELNS1_3repE0EEENS1_30default_config_static_selectorELNS0_4arch9wavefront6targetE1EEEvT1_.kd
    .uniform_work_group_size: 1
    .uses_dynamic_stack: false
    .vgpr_count:     0
    .vgpr_spill_count: 0
    .wavefront_size: 64
  - .agpr_count:     0
    .args:
      - .offset:         0
        .size:           32
        .value_kind:     by_value
    .group_segment_fixed_size: 5120
    .kernarg_segment_align: 8
    .kernarg_segment_size: 32
    .language:       OpenCL C
    .language_version:
      - 2
      - 0
    .max_flat_workgroup_size: 128
    .name:           _ZN7rocprim17ROCPRIM_400000_NS6detail17trampoline_kernelINS0_14default_configENS1_20scan_config_selectorIiEEZZNS1_9scan_implILNS1_25lookback_scan_determinismE0ELb0ELb1ES3_N6thrust23THRUST_200600_302600_NS6detail15normal_iteratorINS9_10device_ptrIiEEEESE_iNS9_10multipliesIiEEiEEDaPvRmT3_T4_T5_mT6_P12ihipStream_tbENKUlT_T0_E_clISt17integral_constantIbLb1EEST_IbLb0EEEEDaSP_SQ_EUlSP_E0_NS1_11comp_targetILNS1_3genE4ELNS1_11target_archE910ELNS1_3gpuE8ELNS1_3repE0EEENS1_30default_config_static_selectorELNS0_4arch9wavefront6targetE1EEEvT1_
    .private_segment_fixed_size: 0
    .sgpr_count:     30
    .sgpr_spill_count: 0
    .symbol:         _ZN7rocprim17ROCPRIM_400000_NS6detail17trampoline_kernelINS0_14default_configENS1_20scan_config_selectorIiEEZZNS1_9scan_implILNS1_25lookback_scan_determinismE0ELb0ELb1ES3_N6thrust23THRUST_200600_302600_NS6detail15normal_iteratorINS9_10device_ptrIiEEEESE_iNS9_10multipliesIiEEiEEDaPvRmT3_T4_T5_mT6_P12ihipStream_tbENKUlT_T0_E_clISt17integral_constantIbLb1EEST_IbLb0EEEEDaSP_SQ_EUlSP_E0_NS1_11comp_targetILNS1_3genE4ELNS1_11target_archE910ELNS1_3gpuE8ELNS1_3repE0EEENS1_30default_config_static_selectorELNS0_4arch9wavefront6targetE1EEEvT1_.kd
    .uniform_work_group_size: 1
    .uses_dynamic_stack: false
    .vgpr_count:     26
    .vgpr_spill_count: 0
    .wavefront_size: 64
  - .agpr_count:     0
    .args:
      - .offset:         0
        .size:           32
        .value_kind:     by_value
    .group_segment_fixed_size: 0
    .kernarg_segment_align: 8
    .kernarg_segment_size: 32
    .language:       OpenCL C
    .language_version:
      - 2
      - 0
    .max_flat_workgroup_size: 256
    .name:           _ZN7rocprim17ROCPRIM_400000_NS6detail17trampoline_kernelINS0_14default_configENS1_20scan_config_selectorIiEEZZNS1_9scan_implILNS1_25lookback_scan_determinismE0ELb0ELb1ES3_N6thrust23THRUST_200600_302600_NS6detail15normal_iteratorINS9_10device_ptrIiEEEESE_iNS9_10multipliesIiEEiEEDaPvRmT3_T4_T5_mT6_P12ihipStream_tbENKUlT_T0_E_clISt17integral_constantIbLb1EEST_IbLb0EEEEDaSP_SQ_EUlSP_E0_NS1_11comp_targetILNS1_3genE3ELNS1_11target_archE908ELNS1_3gpuE7ELNS1_3repE0EEENS1_30default_config_static_selectorELNS0_4arch9wavefront6targetE1EEEvT1_
    .private_segment_fixed_size: 0
    .sgpr_count:     4
    .sgpr_spill_count: 0
    .symbol:         _ZN7rocprim17ROCPRIM_400000_NS6detail17trampoline_kernelINS0_14default_configENS1_20scan_config_selectorIiEEZZNS1_9scan_implILNS1_25lookback_scan_determinismE0ELb0ELb1ES3_N6thrust23THRUST_200600_302600_NS6detail15normal_iteratorINS9_10device_ptrIiEEEESE_iNS9_10multipliesIiEEiEEDaPvRmT3_T4_T5_mT6_P12ihipStream_tbENKUlT_T0_E_clISt17integral_constantIbLb1EEST_IbLb0EEEEDaSP_SQ_EUlSP_E0_NS1_11comp_targetILNS1_3genE3ELNS1_11target_archE908ELNS1_3gpuE7ELNS1_3repE0EEENS1_30default_config_static_selectorELNS0_4arch9wavefront6targetE1EEEvT1_.kd
    .uniform_work_group_size: 1
    .uses_dynamic_stack: false
    .vgpr_count:     0
    .vgpr_spill_count: 0
    .wavefront_size: 64
  - .agpr_count:     0
    .args:
      - .offset:         0
        .size:           32
        .value_kind:     by_value
    .group_segment_fixed_size: 0
    .kernarg_segment_align: 8
    .kernarg_segment_size: 32
    .language:       OpenCL C
    .language_version:
      - 2
      - 0
    .max_flat_workgroup_size: 256
    .name:           _ZN7rocprim17ROCPRIM_400000_NS6detail17trampoline_kernelINS0_14default_configENS1_20scan_config_selectorIiEEZZNS1_9scan_implILNS1_25lookback_scan_determinismE0ELb0ELb1ES3_N6thrust23THRUST_200600_302600_NS6detail15normal_iteratorINS9_10device_ptrIiEEEESE_iNS9_10multipliesIiEEiEEDaPvRmT3_T4_T5_mT6_P12ihipStream_tbENKUlT_T0_E_clISt17integral_constantIbLb1EEST_IbLb0EEEEDaSP_SQ_EUlSP_E0_NS1_11comp_targetILNS1_3genE2ELNS1_11target_archE906ELNS1_3gpuE6ELNS1_3repE0EEENS1_30default_config_static_selectorELNS0_4arch9wavefront6targetE1EEEvT1_
    .private_segment_fixed_size: 0
    .sgpr_count:     4
    .sgpr_spill_count: 0
    .symbol:         _ZN7rocprim17ROCPRIM_400000_NS6detail17trampoline_kernelINS0_14default_configENS1_20scan_config_selectorIiEEZZNS1_9scan_implILNS1_25lookback_scan_determinismE0ELb0ELb1ES3_N6thrust23THRUST_200600_302600_NS6detail15normal_iteratorINS9_10device_ptrIiEEEESE_iNS9_10multipliesIiEEiEEDaPvRmT3_T4_T5_mT6_P12ihipStream_tbENKUlT_T0_E_clISt17integral_constantIbLb1EEST_IbLb0EEEEDaSP_SQ_EUlSP_E0_NS1_11comp_targetILNS1_3genE2ELNS1_11target_archE906ELNS1_3gpuE6ELNS1_3repE0EEENS1_30default_config_static_selectorELNS0_4arch9wavefront6targetE1EEEvT1_.kd
    .uniform_work_group_size: 1
    .uses_dynamic_stack: false
    .vgpr_count:     0
    .vgpr_spill_count: 0
    .wavefront_size: 64
  - .agpr_count:     0
    .args:
      - .offset:         0
        .size:           32
        .value_kind:     by_value
    .group_segment_fixed_size: 0
    .kernarg_segment_align: 8
    .kernarg_segment_size: 32
    .language:       OpenCL C
    .language_version:
      - 2
      - 0
    .max_flat_workgroup_size: 256
    .name:           _ZN7rocprim17ROCPRIM_400000_NS6detail17trampoline_kernelINS0_14default_configENS1_20scan_config_selectorIiEEZZNS1_9scan_implILNS1_25lookback_scan_determinismE0ELb0ELb1ES3_N6thrust23THRUST_200600_302600_NS6detail15normal_iteratorINS9_10device_ptrIiEEEESE_iNS9_10multipliesIiEEiEEDaPvRmT3_T4_T5_mT6_P12ihipStream_tbENKUlT_T0_E_clISt17integral_constantIbLb1EEST_IbLb0EEEEDaSP_SQ_EUlSP_E0_NS1_11comp_targetILNS1_3genE10ELNS1_11target_archE1201ELNS1_3gpuE5ELNS1_3repE0EEENS1_30default_config_static_selectorELNS0_4arch9wavefront6targetE1EEEvT1_
    .private_segment_fixed_size: 0
    .sgpr_count:     4
    .sgpr_spill_count: 0
    .symbol:         _ZN7rocprim17ROCPRIM_400000_NS6detail17trampoline_kernelINS0_14default_configENS1_20scan_config_selectorIiEEZZNS1_9scan_implILNS1_25lookback_scan_determinismE0ELb0ELb1ES3_N6thrust23THRUST_200600_302600_NS6detail15normal_iteratorINS9_10device_ptrIiEEEESE_iNS9_10multipliesIiEEiEEDaPvRmT3_T4_T5_mT6_P12ihipStream_tbENKUlT_T0_E_clISt17integral_constantIbLb1EEST_IbLb0EEEEDaSP_SQ_EUlSP_E0_NS1_11comp_targetILNS1_3genE10ELNS1_11target_archE1201ELNS1_3gpuE5ELNS1_3repE0EEENS1_30default_config_static_selectorELNS0_4arch9wavefront6targetE1EEEvT1_.kd
    .uniform_work_group_size: 1
    .uses_dynamic_stack: false
    .vgpr_count:     0
    .vgpr_spill_count: 0
    .wavefront_size: 64
  - .agpr_count:     0
    .args:
      - .offset:         0
        .size:           32
        .value_kind:     by_value
    .group_segment_fixed_size: 0
    .kernarg_segment_align: 8
    .kernarg_segment_size: 32
    .language:       OpenCL C
    .language_version:
      - 2
      - 0
    .max_flat_workgroup_size: 256
    .name:           _ZN7rocprim17ROCPRIM_400000_NS6detail17trampoline_kernelINS0_14default_configENS1_20scan_config_selectorIiEEZZNS1_9scan_implILNS1_25lookback_scan_determinismE0ELb0ELb1ES3_N6thrust23THRUST_200600_302600_NS6detail15normal_iteratorINS9_10device_ptrIiEEEESE_iNS9_10multipliesIiEEiEEDaPvRmT3_T4_T5_mT6_P12ihipStream_tbENKUlT_T0_E_clISt17integral_constantIbLb1EEST_IbLb0EEEEDaSP_SQ_EUlSP_E0_NS1_11comp_targetILNS1_3genE10ELNS1_11target_archE1200ELNS1_3gpuE4ELNS1_3repE0EEENS1_30default_config_static_selectorELNS0_4arch9wavefront6targetE1EEEvT1_
    .private_segment_fixed_size: 0
    .sgpr_count:     4
    .sgpr_spill_count: 0
    .symbol:         _ZN7rocprim17ROCPRIM_400000_NS6detail17trampoline_kernelINS0_14default_configENS1_20scan_config_selectorIiEEZZNS1_9scan_implILNS1_25lookback_scan_determinismE0ELb0ELb1ES3_N6thrust23THRUST_200600_302600_NS6detail15normal_iteratorINS9_10device_ptrIiEEEESE_iNS9_10multipliesIiEEiEEDaPvRmT3_T4_T5_mT6_P12ihipStream_tbENKUlT_T0_E_clISt17integral_constantIbLb1EEST_IbLb0EEEEDaSP_SQ_EUlSP_E0_NS1_11comp_targetILNS1_3genE10ELNS1_11target_archE1200ELNS1_3gpuE4ELNS1_3repE0EEENS1_30default_config_static_selectorELNS0_4arch9wavefront6targetE1EEEvT1_.kd
    .uniform_work_group_size: 1
    .uses_dynamic_stack: false
    .vgpr_count:     0
    .vgpr_spill_count: 0
    .wavefront_size: 64
  - .agpr_count:     0
    .args:
      - .offset:         0
        .size:           32
        .value_kind:     by_value
    .group_segment_fixed_size: 0
    .kernarg_segment_align: 8
    .kernarg_segment_size: 32
    .language:       OpenCL C
    .language_version:
      - 2
      - 0
    .max_flat_workgroup_size: 256
    .name:           _ZN7rocprim17ROCPRIM_400000_NS6detail17trampoline_kernelINS0_14default_configENS1_20scan_config_selectorIiEEZZNS1_9scan_implILNS1_25lookback_scan_determinismE0ELb0ELb1ES3_N6thrust23THRUST_200600_302600_NS6detail15normal_iteratorINS9_10device_ptrIiEEEESE_iNS9_10multipliesIiEEiEEDaPvRmT3_T4_T5_mT6_P12ihipStream_tbENKUlT_T0_E_clISt17integral_constantIbLb1EEST_IbLb0EEEEDaSP_SQ_EUlSP_E0_NS1_11comp_targetILNS1_3genE9ELNS1_11target_archE1100ELNS1_3gpuE3ELNS1_3repE0EEENS1_30default_config_static_selectorELNS0_4arch9wavefront6targetE1EEEvT1_
    .private_segment_fixed_size: 0
    .sgpr_count:     4
    .sgpr_spill_count: 0
    .symbol:         _ZN7rocprim17ROCPRIM_400000_NS6detail17trampoline_kernelINS0_14default_configENS1_20scan_config_selectorIiEEZZNS1_9scan_implILNS1_25lookback_scan_determinismE0ELb0ELb1ES3_N6thrust23THRUST_200600_302600_NS6detail15normal_iteratorINS9_10device_ptrIiEEEESE_iNS9_10multipliesIiEEiEEDaPvRmT3_T4_T5_mT6_P12ihipStream_tbENKUlT_T0_E_clISt17integral_constantIbLb1EEST_IbLb0EEEEDaSP_SQ_EUlSP_E0_NS1_11comp_targetILNS1_3genE9ELNS1_11target_archE1100ELNS1_3gpuE3ELNS1_3repE0EEENS1_30default_config_static_selectorELNS0_4arch9wavefront6targetE1EEEvT1_.kd
    .uniform_work_group_size: 1
    .uses_dynamic_stack: false
    .vgpr_count:     0
    .vgpr_spill_count: 0
    .wavefront_size: 64
  - .agpr_count:     0
    .args:
      - .offset:         0
        .size:           32
        .value_kind:     by_value
    .group_segment_fixed_size: 0
    .kernarg_segment_align: 8
    .kernarg_segment_size: 32
    .language:       OpenCL C
    .language_version:
      - 2
      - 0
    .max_flat_workgroup_size: 64
    .name:           _ZN7rocprim17ROCPRIM_400000_NS6detail17trampoline_kernelINS0_14default_configENS1_20scan_config_selectorIiEEZZNS1_9scan_implILNS1_25lookback_scan_determinismE0ELb0ELb1ES3_N6thrust23THRUST_200600_302600_NS6detail15normal_iteratorINS9_10device_ptrIiEEEESE_iNS9_10multipliesIiEEiEEDaPvRmT3_T4_T5_mT6_P12ihipStream_tbENKUlT_T0_E_clISt17integral_constantIbLb1EEST_IbLb0EEEEDaSP_SQ_EUlSP_E0_NS1_11comp_targetILNS1_3genE8ELNS1_11target_archE1030ELNS1_3gpuE2ELNS1_3repE0EEENS1_30default_config_static_selectorELNS0_4arch9wavefront6targetE1EEEvT1_
    .private_segment_fixed_size: 0
    .sgpr_count:     4
    .sgpr_spill_count: 0
    .symbol:         _ZN7rocprim17ROCPRIM_400000_NS6detail17trampoline_kernelINS0_14default_configENS1_20scan_config_selectorIiEEZZNS1_9scan_implILNS1_25lookback_scan_determinismE0ELb0ELb1ES3_N6thrust23THRUST_200600_302600_NS6detail15normal_iteratorINS9_10device_ptrIiEEEESE_iNS9_10multipliesIiEEiEEDaPvRmT3_T4_T5_mT6_P12ihipStream_tbENKUlT_T0_E_clISt17integral_constantIbLb1EEST_IbLb0EEEEDaSP_SQ_EUlSP_E0_NS1_11comp_targetILNS1_3genE8ELNS1_11target_archE1030ELNS1_3gpuE2ELNS1_3repE0EEENS1_30default_config_static_selectorELNS0_4arch9wavefront6targetE1EEEvT1_.kd
    .uniform_work_group_size: 1
    .uses_dynamic_stack: false
    .vgpr_count:     0
    .vgpr_spill_count: 0
    .wavefront_size: 64
  - .agpr_count:     0
    .args:
      - .offset:         0
        .size:           96
        .value_kind:     by_value
    .group_segment_fixed_size: 0
    .kernarg_segment_align: 8
    .kernarg_segment_size: 96
    .language:       OpenCL C
    .language_version:
      - 2
      - 0
    .max_flat_workgroup_size: 256
    .name:           _ZN7rocprim17ROCPRIM_400000_NS6detail17trampoline_kernelINS0_14default_configENS1_20scan_config_selectorIiEEZZNS1_9scan_implILNS1_25lookback_scan_determinismE0ELb0ELb1ES3_N6thrust23THRUST_200600_302600_NS6detail15normal_iteratorINS9_10device_ptrIiEEEESE_iNS9_10multipliesIiEEiEEDaPvRmT3_T4_T5_mT6_P12ihipStream_tbENKUlT_T0_E_clISt17integral_constantIbLb0EEST_IbLb1EEEEDaSP_SQ_EUlSP_E_NS1_11comp_targetILNS1_3genE0ELNS1_11target_archE4294967295ELNS1_3gpuE0ELNS1_3repE0EEENS1_30default_config_static_selectorELNS0_4arch9wavefront6targetE1EEEvT1_
    .private_segment_fixed_size: 0
    .sgpr_count:     4
    .sgpr_spill_count: 0
    .symbol:         _ZN7rocprim17ROCPRIM_400000_NS6detail17trampoline_kernelINS0_14default_configENS1_20scan_config_selectorIiEEZZNS1_9scan_implILNS1_25lookback_scan_determinismE0ELb0ELb1ES3_N6thrust23THRUST_200600_302600_NS6detail15normal_iteratorINS9_10device_ptrIiEEEESE_iNS9_10multipliesIiEEiEEDaPvRmT3_T4_T5_mT6_P12ihipStream_tbENKUlT_T0_E_clISt17integral_constantIbLb0EEST_IbLb1EEEEDaSP_SQ_EUlSP_E_NS1_11comp_targetILNS1_3genE0ELNS1_11target_archE4294967295ELNS1_3gpuE0ELNS1_3repE0EEENS1_30default_config_static_selectorELNS0_4arch9wavefront6targetE1EEEvT1_.kd
    .uniform_work_group_size: 1
    .uses_dynamic_stack: false
    .vgpr_count:     0
    .vgpr_spill_count: 0
    .wavefront_size: 64
  - .agpr_count:     0
    .args:
      - .offset:         0
        .size:           96
        .value_kind:     by_value
    .group_segment_fixed_size: 0
    .kernarg_segment_align: 8
    .kernarg_segment_size: 96
    .language:       OpenCL C
    .language_version:
      - 2
      - 0
    .max_flat_workgroup_size: 256
    .name:           _ZN7rocprim17ROCPRIM_400000_NS6detail17trampoline_kernelINS0_14default_configENS1_20scan_config_selectorIiEEZZNS1_9scan_implILNS1_25lookback_scan_determinismE0ELb0ELb1ES3_N6thrust23THRUST_200600_302600_NS6detail15normal_iteratorINS9_10device_ptrIiEEEESE_iNS9_10multipliesIiEEiEEDaPvRmT3_T4_T5_mT6_P12ihipStream_tbENKUlT_T0_E_clISt17integral_constantIbLb0EEST_IbLb1EEEEDaSP_SQ_EUlSP_E_NS1_11comp_targetILNS1_3genE5ELNS1_11target_archE942ELNS1_3gpuE9ELNS1_3repE0EEENS1_30default_config_static_selectorELNS0_4arch9wavefront6targetE1EEEvT1_
    .private_segment_fixed_size: 0
    .sgpr_count:     4
    .sgpr_spill_count: 0
    .symbol:         _ZN7rocprim17ROCPRIM_400000_NS6detail17trampoline_kernelINS0_14default_configENS1_20scan_config_selectorIiEEZZNS1_9scan_implILNS1_25lookback_scan_determinismE0ELb0ELb1ES3_N6thrust23THRUST_200600_302600_NS6detail15normal_iteratorINS9_10device_ptrIiEEEESE_iNS9_10multipliesIiEEiEEDaPvRmT3_T4_T5_mT6_P12ihipStream_tbENKUlT_T0_E_clISt17integral_constantIbLb0EEST_IbLb1EEEEDaSP_SQ_EUlSP_E_NS1_11comp_targetILNS1_3genE5ELNS1_11target_archE942ELNS1_3gpuE9ELNS1_3repE0EEENS1_30default_config_static_selectorELNS0_4arch9wavefront6targetE1EEEvT1_.kd
    .uniform_work_group_size: 1
    .uses_dynamic_stack: false
    .vgpr_count:     0
    .vgpr_spill_count: 0
    .wavefront_size: 64
  - .agpr_count:     0
    .args:
      - .offset:         0
        .size:           96
        .value_kind:     by_value
    .group_segment_fixed_size: 5120
    .kernarg_segment_align: 8
    .kernarg_segment_size: 96
    .language:       OpenCL C
    .language_version:
      - 2
      - 0
    .max_flat_workgroup_size: 128
    .name:           _ZN7rocprim17ROCPRIM_400000_NS6detail17trampoline_kernelINS0_14default_configENS1_20scan_config_selectorIiEEZZNS1_9scan_implILNS1_25lookback_scan_determinismE0ELb0ELb1ES3_N6thrust23THRUST_200600_302600_NS6detail15normal_iteratorINS9_10device_ptrIiEEEESE_iNS9_10multipliesIiEEiEEDaPvRmT3_T4_T5_mT6_P12ihipStream_tbENKUlT_T0_E_clISt17integral_constantIbLb0EEST_IbLb1EEEEDaSP_SQ_EUlSP_E_NS1_11comp_targetILNS1_3genE4ELNS1_11target_archE910ELNS1_3gpuE8ELNS1_3repE0EEENS1_30default_config_static_selectorELNS0_4arch9wavefront6targetE1EEEvT1_
    .private_segment_fixed_size: 0
    .sgpr_count:     42
    .sgpr_spill_count: 0
    .symbol:         _ZN7rocprim17ROCPRIM_400000_NS6detail17trampoline_kernelINS0_14default_configENS1_20scan_config_selectorIiEEZZNS1_9scan_implILNS1_25lookback_scan_determinismE0ELb0ELb1ES3_N6thrust23THRUST_200600_302600_NS6detail15normal_iteratorINS9_10device_ptrIiEEEESE_iNS9_10multipliesIiEEiEEDaPvRmT3_T4_T5_mT6_P12ihipStream_tbENKUlT_T0_E_clISt17integral_constantIbLb0EEST_IbLb1EEEEDaSP_SQ_EUlSP_E_NS1_11comp_targetILNS1_3genE4ELNS1_11target_archE910ELNS1_3gpuE8ELNS1_3repE0EEENS1_30default_config_static_selectorELNS0_4arch9wavefront6targetE1EEEvT1_.kd
    .uniform_work_group_size: 1
    .uses_dynamic_stack: false
    .vgpr_count:     40
    .vgpr_spill_count: 0
    .wavefront_size: 64
  - .agpr_count:     0
    .args:
      - .offset:         0
        .size:           96
        .value_kind:     by_value
    .group_segment_fixed_size: 0
    .kernarg_segment_align: 8
    .kernarg_segment_size: 96
    .language:       OpenCL C
    .language_version:
      - 2
      - 0
    .max_flat_workgroup_size: 256
    .name:           _ZN7rocprim17ROCPRIM_400000_NS6detail17trampoline_kernelINS0_14default_configENS1_20scan_config_selectorIiEEZZNS1_9scan_implILNS1_25lookback_scan_determinismE0ELb0ELb1ES3_N6thrust23THRUST_200600_302600_NS6detail15normal_iteratorINS9_10device_ptrIiEEEESE_iNS9_10multipliesIiEEiEEDaPvRmT3_T4_T5_mT6_P12ihipStream_tbENKUlT_T0_E_clISt17integral_constantIbLb0EEST_IbLb1EEEEDaSP_SQ_EUlSP_E_NS1_11comp_targetILNS1_3genE3ELNS1_11target_archE908ELNS1_3gpuE7ELNS1_3repE0EEENS1_30default_config_static_selectorELNS0_4arch9wavefront6targetE1EEEvT1_
    .private_segment_fixed_size: 0
    .sgpr_count:     4
    .sgpr_spill_count: 0
    .symbol:         _ZN7rocprim17ROCPRIM_400000_NS6detail17trampoline_kernelINS0_14default_configENS1_20scan_config_selectorIiEEZZNS1_9scan_implILNS1_25lookback_scan_determinismE0ELb0ELb1ES3_N6thrust23THRUST_200600_302600_NS6detail15normal_iteratorINS9_10device_ptrIiEEEESE_iNS9_10multipliesIiEEiEEDaPvRmT3_T4_T5_mT6_P12ihipStream_tbENKUlT_T0_E_clISt17integral_constantIbLb0EEST_IbLb1EEEEDaSP_SQ_EUlSP_E_NS1_11comp_targetILNS1_3genE3ELNS1_11target_archE908ELNS1_3gpuE7ELNS1_3repE0EEENS1_30default_config_static_selectorELNS0_4arch9wavefront6targetE1EEEvT1_.kd
    .uniform_work_group_size: 1
    .uses_dynamic_stack: false
    .vgpr_count:     0
    .vgpr_spill_count: 0
    .wavefront_size: 64
  - .agpr_count:     0
    .args:
      - .offset:         0
        .size:           96
        .value_kind:     by_value
    .group_segment_fixed_size: 0
    .kernarg_segment_align: 8
    .kernarg_segment_size: 96
    .language:       OpenCL C
    .language_version:
      - 2
      - 0
    .max_flat_workgroup_size: 256
    .name:           _ZN7rocprim17ROCPRIM_400000_NS6detail17trampoline_kernelINS0_14default_configENS1_20scan_config_selectorIiEEZZNS1_9scan_implILNS1_25lookback_scan_determinismE0ELb0ELb1ES3_N6thrust23THRUST_200600_302600_NS6detail15normal_iteratorINS9_10device_ptrIiEEEESE_iNS9_10multipliesIiEEiEEDaPvRmT3_T4_T5_mT6_P12ihipStream_tbENKUlT_T0_E_clISt17integral_constantIbLb0EEST_IbLb1EEEEDaSP_SQ_EUlSP_E_NS1_11comp_targetILNS1_3genE2ELNS1_11target_archE906ELNS1_3gpuE6ELNS1_3repE0EEENS1_30default_config_static_selectorELNS0_4arch9wavefront6targetE1EEEvT1_
    .private_segment_fixed_size: 0
    .sgpr_count:     4
    .sgpr_spill_count: 0
    .symbol:         _ZN7rocprim17ROCPRIM_400000_NS6detail17trampoline_kernelINS0_14default_configENS1_20scan_config_selectorIiEEZZNS1_9scan_implILNS1_25lookback_scan_determinismE0ELb0ELb1ES3_N6thrust23THRUST_200600_302600_NS6detail15normal_iteratorINS9_10device_ptrIiEEEESE_iNS9_10multipliesIiEEiEEDaPvRmT3_T4_T5_mT6_P12ihipStream_tbENKUlT_T0_E_clISt17integral_constantIbLb0EEST_IbLb1EEEEDaSP_SQ_EUlSP_E_NS1_11comp_targetILNS1_3genE2ELNS1_11target_archE906ELNS1_3gpuE6ELNS1_3repE0EEENS1_30default_config_static_selectorELNS0_4arch9wavefront6targetE1EEEvT1_.kd
    .uniform_work_group_size: 1
    .uses_dynamic_stack: false
    .vgpr_count:     0
    .vgpr_spill_count: 0
    .wavefront_size: 64
  - .agpr_count:     0
    .args:
      - .offset:         0
        .size:           96
        .value_kind:     by_value
    .group_segment_fixed_size: 0
    .kernarg_segment_align: 8
    .kernarg_segment_size: 96
    .language:       OpenCL C
    .language_version:
      - 2
      - 0
    .max_flat_workgroup_size: 256
    .name:           _ZN7rocprim17ROCPRIM_400000_NS6detail17trampoline_kernelINS0_14default_configENS1_20scan_config_selectorIiEEZZNS1_9scan_implILNS1_25lookback_scan_determinismE0ELb0ELb1ES3_N6thrust23THRUST_200600_302600_NS6detail15normal_iteratorINS9_10device_ptrIiEEEESE_iNS9_10multipliesIiEEiEEDaPvRmT3_T4_T5_mT6_P12ihipStream_tbENKUlT_T0_E_clISt17integral_constantIbLb0EEST_IbLb1EEEEDaSP_SQ_EUlSP_E_NS1_11comp_targetILNS1_3genE10ELNS1_11target_archE1201ELNS1_3gpuE5ELNS1_3repE0EEENS1_30default_config_static_selectorELNS0_4arch9wavefront6targetE1EEEvT1_
    .private_segment_fixed_size: 0
    .sgpr_count:     4
    .sgpr_spill_count: 0
    .symbol:         _ZN7rocprim17ROCPRIM_400000_NS6detail17trampoline_kernelINS0_14default_configENS1_20scan_config_selectorIiEEZZNS1_9scan_implILNS1_25lookback_scan_determinismE0ELb0ELb1ES3_N6thrust23THRUST_200600_302600_NS6detail15normal_iteratorINS9_10device_ptrIiEEEESE_iNS9_10multipliesIiEEiEEDaPvRmT3_T4_T5_mT6_P12ihipStream_tbENKUlT_T0_E_clISt17integral_constantIbLb0EEST_IbLb1EEEEDaSP_SQ_EUlSP_E_NS1_11comp_targetILNS1_3genE10ELNS1_11target_archE1201ELNS1_3gpuE5ELNS1_3repE0EEENS1_30default_config_static_selectorELNS0_4arch9wavefront6targetE1EEEvT1_.kd
    .uniform_work_group_size: 1
    .uses_dynamic_stack: false
    .vgpr_count:     0
    .vgpr_spill_count: 0
    .wavefront_size: 64
  - .agpr_count:     0
    .args:
      - .offset:         0
        .size:           96
        .value_kind:     by_value
    .group_segment_fixed_size: 0
    .kernarg_segment_align: 8
    .kernarg_segment_size: 96
    .language:       OpenCL C
    .language_version:
      - 2
      - 0
    .max_flat_workgroup_size: 256
    .name:           _ZN7rocprim17ROCPRIM_400000_NS6detail17trampoline_kernelINS0_14default_configENS1_20scan_config_selectorIiEEZZNS1_9scan_implILNS1_25lookback_scan_determinismE0ELb0ELb1ES3_N6thrust23THRUST_200600_302600_NS6detail15normal_iteratorINS9_10device_ptrIiEEEESE_iNS9_10multipliesIiEEiEEDaPvRmT3_T4_T5_mT6_P12ihipStream_tbENKUlT_T0_E_clISt17integral_constantIbLb0EEST_IbLb1EEEEDaSP_SQ_EUlSP_E_NS1_11comp_targetILNS1_3genE10ELNS1_11target_archE1200ELNS1_3gpuE4ELNS1_3repE0EEENS1_30default_config_static_selectorELNS0_4arch9wavefront6targetE1EEEvT1_
    .private_segment_fixed_size: 0
    .sgpr_count:     4
    .sgpr_spill_count: 0
    .symbol:         _ZN7rocprim17ROCPRIM_400000_NS6detail17trampoline_kernelINS0_14default_configENS1_20scan_config_selectorIiEEZZNS1_9scan_implILNS1_25lookback_scan_determinismE0ELb0ELb1ES3_N6thrust23THRUST_200600_302600_NS6detail15normal_iteratorINS9_10device_ptrIiEEEESE_iNS9_10multipliesIiEEiEEDaPvRmT3_T4_T5_mT6_P12ihipStream_tbENKUlT_T0_E_clISt17integral_constantIbLb0EEST_IbLb1EEEEDaSP_SQ_EUlSP_E_NS1_11comp_targetILNS1_3genE10ELNS1_11target_archE1200ELNS1_3gpuE4ELNS1_3repE0EEENS1_30default_config_static_selectorELNS0_4arch9wavefront6targetE1EEEvT1_.kd
    .uniform_work_group_size: 1
    .uses_dynamic_stack: false
    .vgpr_count:     0
    .vgpr_spill_count: 0
    .wavefront_size: 64
  - .agpr_count:     0
    .args:
      - .offset:         0
        .size:           96
        .value_kind:     by_value
    .group_segment_fixed_size: 0
    .kernarg_segment_align: 8
    .kernarg_segment_size: 96
    .language:       OpenCL C
    .language_version:
      - 2
      - 0
    .max_flat_workgroup_size: 256
    .name:           _ZN7rocprim17ROCPRIM_400000_NS6detail17trampoline_kernelINS0_14default_configENS1_20scan_config_selectorIiEEZZNS1_9scan_implILNS1_25lookback_scan_determinismE0ELb0ELb1ES3_N6thrust23THRUST_200600_302600_NS6detail15normal_iteratorINS9_10device_ptrIiEEEESE_iNS9_10multipliesIiEEiEEDaPvRmT3_T4_T5_mT6_P12ihipStream_tbENKUlT_T0_E_clISt17integral_constantIbLb0EEST_IbLb1EEEEDaSP_SQ_EUlSP_E_NS1_11comp_targetILNS1_3genE9ELNS1_11target_archE1100ELNS1_3gpuE3ELNS1_3repE0EEENS1_30default_config_static_selectorELNS0_4arch9wavefront6targetE1EEEvT1_
    .private_segment_fixed_size: 0
    .sgpr_count:     4
    .sgpr_spill_count: 0
    .symbol:         _ZN7rocprim17ROCPRIM_400000_NS6detail17trampoline_kernelINS0_14default_configENS1_20scan_config_selectorIiEEZZNS1_9scan_implILNS1_25lookback_scan_determinismE0ELb0ELb1ES3_N6thrust23THRUST_200600_302600_NS6detail15normal_iteratorINS9_10device_ptrIiEEEESE_iNS9_10multipliesIiEEiEEDaPvRmT3_T4_T5_mT6_P12ihipStream_tbENKUlT_T0_E_clISt17integral_constantIbLb0EEST_IbLb1EEEEDaSP_SQ_EUlSP_E_NS1_11comp_targetILNS1_3genE9ELNS1_11target_archE1100ELNS1_3gpuE3ELNS1_3repE0EEENS1_30default_config_static_selectorELNS0_4arch9wavefront6targetE1EEEvT1_.kd
    .uniform_work_group_size: 1
    .uses_dynamic_stack: false
    .vgpr_count:     0
    .vgpr_spill_count: 0
    .wavefront_size: 64
  - .agpr_count:     0
    .args:
      - .offset:         0
        .size:           96
        .value_kind:     by_value
    .group_segment_fixed_size: 0
    .kernarg_segment_align: 8
    .kernarg_segment_size: 96
    .language:       OpenCL C
    .language_version:
      - 2
      - 0
    .max_flat_workgroup_size: 64
    .name:           _ZN7rocprim17ROCPRIM_400000_NS6detail17trampoline_kernelINS0_14default_configENS1_20scan_config_selectorIiEEZZNS1_9scan_implILNS1_25lookback_scan_determinismE0ELb0ELb1ES3_N6thrust23THRUST_200600_302600_NS6detail15normal_iteratorINS9_10device_ptrIiEEEESE_iNS9_10multipliesIiEEiEEDaPvRmT3_T4_T5_mT6_P12ihipStream_tbENKUlT_T0_E_clISt17integral_constantIbLb0EEST_IbLb1EEEEDaSP_SQ_EUlSP_E_NS1_11comp_targetILNS1_3genE8ELNS1_11target_archE1030ELNS1_3gpuE2ELNS1_3repE0EEENS1_30default_config_static_selectorELNS0_4arch9wavefront6targetE1EEEvT1_
    .private_segment_fixed_size: 0
    .sgpr_count:     4
    .sgpr_spill_count: 0
    .symbol:         _ZN7rocprim17ROCPRIM_400000_NS6detail17trampoline_kernelINS0_14default_configENS1_20scan_config_selectorIiEEZZNS1_9scan_implILNS1_25lookback_scan_determinismE0ELb0ELb1ES3_N6thrust23THRUST_200600_302600_NS6detail15normal_iteratorINS9_10device_ptrIiEEEESE_iNS9_10multipliesIiEEiEEDaPvRmT3_T4_T5_mT6_P12ihipStream_tbENKUlT_T0_E_clISt17integral_constantIbLb0EEST_IbLb1EEEEDaSP_SQ_EUlSP_E_NS1_11comp_targetILNS1_3genE8ELNS1_11target_archE1030ELNS1_3gpuE2ELNS1_3repE0EEENS1_30default_config_static_selectorELNS0_4arch9wavefront6targetE1EEEvT1_.kd
    .uniform_work_group_size: 1
    .uses_dynamic_stack: false
    .vgpr_count:     0
    .vgpr_spill_count: 0
    .wavefront_size: 64
  - .agpr_count:     0
    .args:
      - .offset:         0
        .size:           32
        .value_kind:     by_value
    .group_segment_fixed_size: 0
    .kernarg_segment_align: 8
    .kernarg_segment_size: 32
    .language:       OpenCL C
    .language_version:
      - 2
      - 0
    .max_flat_workgroup_size: 256
    .name:           _ZN7rocprim17ROCPRIM_400000_NS6detail17trampoline_kernelINS0_14default_configENS1_20scan_config_selectorIiEEZZNS1_9scan_implILNS1_25lookback_scan_determinismE0ELb0ELb1ES3_N6thrust23THRUST_200600_302600_NS6detail15normal_iteratorINS9_10device_ptrIiEEEESE_iNS9_10multipliesIiEEiEEDaPvRmT3_T4_T5_mT6_P12ihipStream_tbENKUlT_T0_E_clISt17integral_constantIbLb0EEST_IbLb1EEEEDaSP_SQ_EUlSP_E0_NS1_11comp_targetILNS1_3genE0ELNS1_11target_archE4294967295ELNS1_3gpuE0ELNS1_3repE0EEENS1_30default_config_static_selectorELNS0_4arch9wavefront6targetE1EEEvT1_
    .private_segment_fixed_size: 0
    .sgpr_count:     4
    .sgpr_spill_count: 0
    .symbol:         _ZN7rocprim17ROCPRIM_400000_NS6detail17trampoline_kernelINS0_14default_configENS1_20scan_config_selectorIiEEZZNS1_9scan_implILNS1_25lookback_scan_determinismE0ELb0ELb1ES3_N6thrust23THRUST_200600_302600_NS6detail15normal_iteratorINS9_10device_ptrIiEEEESE_iNS9_10multipliesIiEEiEEDaPvRmT3_T4_T5_mT6_P12ihipStream_tbENKUlT_T0_E_clISt17integral_constantIbLb0EEST_IbLb1EEEEDaSP_SQ_EUlSP_E0_NS1_11comp_targetILNS1_3genE0ELNS1_11target_archE4294967295ELNS1_3gpuE0ELNS1_3repE0EEENS1_30default_config_static_selectorELNS0_4arch9wavefront6targetE1EEEvT1_.kd
    .uniform_work_group_size: 1
    .uses_dynamic_stack: false
    .vgpr_count:     0
    .vgpr_spill_count: 0
    .wavefront_size: 64
  - .agpr_count:     0
    .args:
      - .offset:         0
        .size:           32
        .value_kind:     by_value
    .group_segment_fixed_size: 0
    .kernarg_segment_align: 8
    .kernarg_segment_size: 32
    .language:       OpenCL C
    .language_version:
      - 2
      - 0
    .max_flat_workgroup_size: 256
    .name:           _ZN7rocprim17ROCPRIM_400000_NS6detail17trampoline_kernelINS0_14default_configENS1_20scan_config_selectorIiEEZZNS1_9scan_implILNS1_25lookback_scan_determinismE0ELb0ELb1ES3_N6thrust23THRUST_200600_302600_NS6detail15normal_iteratorINS9_10device_ptrIiEEEESE_iNS9_10multipliesIiEEiEEDaPvRmT3_T4_T5_mT6_P12ihipStream_tbENKUlT_T0_E_clISt17integral_constantIbLb0EEST_IbLb1EEEEDaSP_SQ_EUlSP_E0_NS1_11comp_targetILNS1_3genE5ELNS1_11target_archE942ELNS1_3gpuE9ELNS1_3repE0EEENS1_30default_config_static_selectorELNS0_4arch9wavefront6targetE1EEEvT1_
    .private_segment_fixed_size: 0
    .sgpr_count:     4
    .sgpr_spill_count: 0
    .symbol:         _ZN7rocprim17ROCPRIM_400000_NS6detail17trampoline_kernelINS0_14default_configENS1_20scan_config_selectorIiEEZZNS1_9scan_implILNS1_25lookback_scan_determinismE0ELb0ELb1ES3_N6thrust23THRUST_200600_302600_NS6detail15normal_iteratorINS9_10device_ptrIiEEEESE_iNS9_10multipliesIiEEiEEDaPvRmT3_T4_T5_mT6_P12ihipStream_tbENKUlT_T0_E_clISt17integral_constantIbLb0EEST_IbLb1EEEEDaSP_SQ_EUlSP_E0_NS1_11comp_targetILNS1_3genE5ELNS1_11target_archE942ELNS1_3gpuE9ELNS1_3repE0EEENS1_30default_config_static_selectorELNS0_4arch9wavefront6targetE1EEEvT1_.kd
    .uniform_work_group_size: 1
    .uses_dynamic_stack: false
    .vgpr_count:     0
    .vgpr_spill_count: 0
    .wavefront_size: 64
  - .agpr_count:     0
    .args:
      - .offset:         0
        .size:           32
        .value_kind:     by_value
    .group_segment_fixed_size: 5120
    .kernarg_segment_align: 8
    .kernarg_segment_size: 32
    .language:       OpenCL C
    .language_version:
      - 2
      - 0
    .max_flat_workgroup_size: 128
    .name:           _ZN7rocprim17ROCPRIM_400000_NS6detail17trampoline_kernelINS0_14default_configENS1_20scan_config_selectorIiEEZZNS1_9scan_implILNS1_25lookback_scan_determinismE0ELb0ELb1ES3_N6thrust23THRUST_200600_302600_NS6detail15normal_iteratorINS9_10device_ptrIiEEEESE_iNS9_10multipliesIiEEiEEDaPvRmT3_T4_T5_mT6_P12ihipStream_tbENKUlT_T0_E_clISt17integral_constantIbLb0EEST_IbLb1EEEEDaSP_SQ_EUlSP_E0_NS1_11comp_targetILNS1_3genE4ELNS1_11target_archE910ELNS1_3gpuE8ELNS1_3repE0EEENS1_30default_config_static_selectorELNS0_4arch9wavefront6targetE1EEEvT1_
    .private_segment_fixed_size: 0
    .sgpr_count:     30
    .sgpr_spill_count: 0
    .symbol:         _ZN7rocprim17ROCPRIM_400000_NS6detail17trampoline_kernelINS0_14default_configENS1_20scan_config_selectorIiEEZZNS1_9scan_implILNS1_25lookback_scan_determinismE0ELb0ELb1ES3_N6thrust23THRUST_200600_302600_NS6detail15normal_iteratorINS9_10device_ptrIiEEEESE_iNS9_10multipliesIiEEiEEDaPvRmT3_T4_T5_mT6_P12ihipStream_tbENKUlT_T0_E_clISt17integral_constantIbLb0EEST_IbLb1EEEEDaSP_SQ_EUlSP_E0_NS1_11comp_targetILNS1_3genE4ELNS1_11target_archE910ELNS1_3gpuE8ELNS1_3repE0EEENS1_30default_config_static_selectorELNS0_4arch9wavefront6targetE1EEEvT1_.kd
    .uniform_work_group_size: 1
    .uses_dynamic_stack: false
    .vgpr_count:     26
    .vgpr_spill_count: 0
    .wavefront_size: 64
  - .agpr_count:     0
    .args:
      - .offset:         0
        .size:           32
        .value_kind:     by_value
    .group_segment_fixed_size: 0
    .kernarg_segment_align: 8
    .kernarg_segment_size: 32
    .language:       OpenCL C
    .language_version:
      - 2
      - 0
    .max_flat_workgroup_size: 256
    .name:           _ZN7rocprim17ROCPRIM_400000_NS6detail17trampoline_kernelINS0_14default_configENS1_20scan_config_selectorIiEEZZNS1_9scan_implILNS1_25lookback_scan_determinismE0ELb0ELb1ES3_N6thrust23THRUST_200600_302600_NS6detail15normal_iteratorINS9_10device_ptrIiEEEESE_iNS9_10multipliesIiEEiEEDaPvRmT3_T4_T5_mT6_P12ihipStream_tbENKUlT_T0_E_clISt17integral_constantIbLb0EEST_IbLb1EEEEDaSP_SQ_EUlSP_E0_NS1_11comp_targetILNS1_3genE3ELNS1_11target_archE908ELNS1_3gpuE7ELNS1_3repE0EEENS1_30default_config_static_selectorELNS0_4arch9wavefront6targetE1EEEvT1_
    .private_segment_fixed_size: 0
    .sgpr_count:     4
    .sgpr_spill_count: 0
    .symbol:         _ZN7rocprim17ROCPRIM_400000_NS6detail17trampoline_kernelINS0_14default_configENS1_20scan_config_selectorIiEEZZNS1_9scan_implILNS1_25lookback_scan_determinismE0ELb0ELb1ES3_N6thrust23THRUST_200600_302600_NS6detail15normal_iteratorINS9_10device_ptrIiEEEESE_iNS9_10multipliesIiEEiEEDaPvRmT3_T4_T5_mT6_P12ihipStream_tbENKUlT_T0_E_clISt17integral_constantIbLb0EEST_IbLb1EEEEDaSP_SQ_EUlSP_E0_NS1_11comp_targetILNS1_3genE3ELNS1_11target_archE908ELNS1_3gpuE7ELNS1_3repE0EEENS1_30default_config_static_selectorELNS0_4arch9wavefront6targetE1EEEvT1_.kd
    .uniform_work_group_size: 1
    .uses_dynamic_stack: false
    .vgpr_count:     0
    .vgpr_spill_count: 0
    .wavefront_size: 64
  - .agpr_count:     0
    .args:
      - .offset:         0
        .size:           32
        .value_kind:     by_value
    .group_segment_fixed_size: 0
    .kernarg_segment_align: 8
    .kernarg_segment_size: 32
    .language:       OpenCL C
    .language_version:
      - 2
      - 0
    .max_flat_workgroup_size: 256
    .name:           _ZN7rocprim17ROCPRIM_400000_NS6detail17trampoline_kernelINS0_14default_configENS1_20scan_config_selectorIiEEZZNS1_9scan_implILNS1_25lookback_scan_determinismE0ELb0ELb1ES3_N6thrust23THRUST_200600_302600_NS6detail15normal_iteratorINS9_10device_ptrIiEEEESE_iNS9_10multipliesIiEEiEEDaPvRmT3_T4_T5_mT6_P12ihipStream_tbENKUlT_T0_E_clISt17integral_constantIbLb0EEST_IbLb1EEEEDaSP_SQ_EUlSP_E0_NS1_11comp_targetILNS1_3genE2ELNS1_11target_archE906ELNS1_3gpuE6ELNS1_3repE0EEENS1_30default_config_static_selectorELNS0_4arch9wavefront6targetE1EEEvT1_
    .private_segment_fixed_size: 0
    .sgpr_count:     4
    .sgpr_spill_count: 0
    .symbol:         _ZN7rocprim17ROCPRIM_400000_NS6detail17trampoline_kernelINS0_14default_configENS1_20scan_config_selectorIiEEZZNS1_9scan_implILNS1_25lookback_scan_determinismE0ELb0ELb1ES3_N6thrust23THRUST_200600_302600_NS6detail15normal_iteratorINS9_10device_ptrIiEEEESE_iNS9_10multipliesIiEEiEEDaPvRmT3_T4_T5_mT6_P12ihipStream_tbENKUlT_T0_E_clISt17integral_constantIbLb0EEST_IbLb1EEEEDaSP_SQ_EUlSP_E0_NS1_11comp_targetILNS1_3genE2ELNS1_11target_archE906ELNS1_3gpuE6ELNS1_3repE0EEENS1_30default_config_static_selectorELNS0_4arch9wavefront6targetE1EEEvT1_.kd
    .uniform_work_group_size: 1
    .uses_dynamic_stack: false
    .vgpr_count:     0
    .vgpr_spill_count: 0
    .wavefront_size: 64
  - .agpr_count:     0
    .args:
      - .offset:         0
        .size:           32
        .value_kind:     by_value
    .group_segment_fixed_size: 0
    .kernarg_segment_align: 8
    .kernarg_segment_size: 32
    .language:       OpenCL C
    .language_version:
      - 2
      - 0
    .max_flat_workgroup_size: 256
    .name:           _ZN7rocprim17ROCPRIM_400000_NS6detail17trampoline_kernelINS0_14default_configENS1_20scan_config_selectorIiEEZZNS1_9scan_implILNS1_25lookback_scan_determinismE0ELb0ELb1ES3_N6thrust23THRUST_200600_302600_NS6detail15normal_iteratorINS9_10device_ptrIiEEEESE_iNS9_10multipliesIiEEiEEDaPvRmT3_T4_T5_mT6_P12ihipStream_tbENKUlT_T0_E_clISt17integral_constantIbLb0EEST_IbLb1EEEEDaSP_SQ_EUlSP_E0_NS1_11comp_targetILNS1_3genE10ELNS1_11target_archE1201ELNS1_3gpuE5ELNS1_3repE0EEENS1_30default_config_static_selectorELNS0_4arch9wavefront6targetE1EEEvT1_
    .private_segment_fixed_size: 0
    .sgpr_count:     4
    .sgpr_spill_count: 0
    .symbol:         _ZN7rocprim17ROCPRIM_400000_NS6detail17trampoline_kernelINS0_14default_configENS1_20scan_config_selectorIiEEZZNS1_9scan_implILNS1_25lookback_scan_determinismE0ELb0ELb1ES3_N6thrust23THRUST_200600_302600_NS6detail15normal_iteratorINS9_10device_ptrIiEEEESE_iNS9_10multipliesIiEEiEEDaPvRmT3_T4_T5_mT6_P12ihipStream_tbENKUlT_T0_E_clISt17integral_constantIbLb0EEST_IbLb1EEEEDaSP_SQ_EUlSP_E0_NS1_11comp_targetILNS1_3genE10ELNS1_11target_archE1201ELNS1_3gpuE5ELNS1_3repE0EEENS1_30default_config_static_selectorELNS0_4arch9wavefront6targetE1EEEvT1_.kd
    .uniform_work_group_size: 1
    .uses_dynamic_stack: false
    .vgpr_count:     0
    .vgpr_spill_count: 0
    .wavefront_size: 64
  - .agpr_count:     0
    .args:
      - .offset:         0
        .size:           32
        .value_kind:     by_value
    .group_segment_fixed_size: 0
    .kernarg_segment_align: 8
    .kernarg_segment_size: 32
    .language:       OpenCL C
    .language_version:
      - 2
      - 0
    .max_flat_workgroup_size: 256
    .name:           _ZN7rocprim17ROCPRIM_400000_NS6detail17trampoline_kernelINS0_14default_configENS1_20scan_config_selectorIiEEZZNS1_9scan_implILNS1_25lookback_scan_determinismE0ELb0ELb1ES3_N6thrust23THRUST_200600_302600_NS6detail15normal_iteratorINS9_10device_ptrIiEEEESE_iNS9_10multipliesIiEEiEEDaPvRmT3_T4_T5_mT6_P12ihipStream_tbENKUlT_T0_E_clISt17integral_constantIbLb0EEST_IbLb1EEEEDaSP_SQ_EUlSP_E0_NS1_11comp_targetILNS1_3genE10ELNS1_11target_archE1200ELNS1_3gpuE4ELNS1_3repE0EEENS1_30default_config_static_selectorELNS0_4arch9wavefront6targetE1EEEvT1_
    .private_segment_fixed_size: 0
    .sgpr_count:     4
    .sgpr_spill_count: 0
    .symbol:         _ZN7rocprim17ROCPRIM_400000_NS6detail17trampoline_kernelINS0_14default_configENS1_20scan_config_selectorIiEEZZNS1_9scan_implILNS1_25lookback_scan_determinismE0ELb0ELb1ES3_N6thrust23THRUST_200600_302600_NS6detail15normal_iteratorINS9_10device_ptrIiEEEESE_iNS9_10multipliesIiEEiEEDaPvRmT3_T4_T5_mT6_P12ihipStream_tbENKUlT_T0_E_clISt17integral_constantIbLb0EEST_IbLb1EEEEDaSP_SQ_EUlSP_E0_NS1_11comp_targetILNS1_3genE10ELNS1_11target_archE1200ELNS1_3gpuE4ELNS1_3repE0EEENS1_30default_config_static_selectorELNS0_4arch9wavefront6targetE1EEEvT1_.kd
    .uniform_work_group_size: 1
    .uses_dynamic_stack: false
    .vgpr_count:     0
    .vgpr_spill_count: 0
    .wavefront_size: 64
  - .agpr_count:     0
    .args:
      - .offset:         0
        .size:           32
        .value_kind:     by_value
    .group_segment_fixed_size: 0
    .kernarg_segment_align: 8
    .kernarg_segment_size: 32
    .language:       OpenCL C
    .language_version:
      - 2
      - 0
    .max_flat_workgroup_size: 256
    .name:           _ZN7rocprim17ROCPRIM_400000_NS6detail17trampoline_kernelINS0_14default_configENS1_20scan_config_selectorIiEEZZNS1_9scan_implILNS1_25lookback_scan_determinismE0ELb0ELb1ES3_N6thrust23THRUST_200600_302600_NS6detail15normal_iteratorINS9_10device_ptrIiEEEESE_iNS9_10multipliesIiEEiEEDaPvRmT3_T4_T5_mT6_P12ihipStream_tbENKUlT_T0_E_clISt17integral_constantIbLb0EEST_IbLb1EEEEDaSP_SQ_EUlSP_E0_NS1_11comp_targetILNS1_3genE9ELNS1_11target_archE1100ELNS1_3gpuE3ELNS1_3repE0EEENS1_30default_config_static_selectorELNS0_4arch9wavefront6targetE1EEEvT1_
    .private_segment_fixed_size: 0
    .sgpr_count:     4
    .sgpr_spill_count: 0
    .symbol:         _ZN7rocprim17ROCPRIM_400000_NS6detail17trampoline_kernelINS0_14default_configENS1_20scan_config_selectorIiEEZZNS1_9scan_implILNS1_25lookback_scan_determinismE0ELb0ELb1ES3_N6thrust23THRUST_200600_302600_NS6detail15normal_iteratorINS9_10device_ptrIiEEEESE_iNS9_10multipliesIiEEiEEDaPvRmT3_T4_T5_mT6_P12ihipStream_tbENKUlT_T0_E_clISt17integral_constantIbLb0EEST_IbLb1EEEEDaSP_SQ_EUlSP_E0_NS1_11comp_targetILNS1_3genE9ELNS1_11target_archE1100ELNS1_3gpuE3ELNS1_3repE0EEENS1_30default_config_static_selectorELNS0_4arch9wavefront6targetE1EEEvT1_.kd
    .uniform_work_group_size: 1
    .uses_dynamic_stack: false
    .vgpr_count:     0
    .vgpr_spill_count: 0
    .wavefront_size: 64
  - .agpr_count:     0
    .args:
      - .offset:         0
        .size:           32
        .value_kind:     by_value
    .group_segment_fixed_size: 0
    .kernarg_segment_align: 8
    .kernarg_segment_size: 32
    .language:       OpenCL C
    .language_version:
      - 2
      - 0
    .max_flat_workgroup_size: 64
    .name:           _ZN7rocprim17ROCPRIM_400000_NS6detail17trampoline_kernelINS0_14default_configENS1_20scan_config_selectorIiEEZZNS1_9scan_implILNS1_25lookback_scan_determinismE0ELb0ELb1ES3_N6thrust23THRUST_200600_302600_NS6detail15normal_iteratorINS9_10device_ptrIiEEEESE_iNS9_10multipliesIiEEiEEDaPvRmT3_T4_T5_mT6_P12ihipStream_tbENKUlT_T0_E_clISt17integral_constantIbLb0EEST_IbLb1EEEEDaSP_SQ_EUlSP_E0_NS1_11comp_targetILNS1_3genE8ELNS1_11target_archE1030ELNS1_3gpuE2ELNS1_3repE0EEENS1_30default_config_static_selectorELNS0_4arch9wavefront6targetE1EEEvT1_
    .private_segment_fixed_size: 0
    .sgpr_count:     4
    .sgpr_spill_count: 0
    .symbol:         _ZN7rocprim17ROCPRIM_400000_NS6detail17trampoline_kernelINS0_14default_configENS1_20scan_config_selectorIiEEZZNS1_9scan_implILNS1_25lookback_scan_determinismE0ELb0ELb1ES3_N6thrust23THRUST_200600_302600_NS6detail15normal_iteratorINS9_10device_ptrIiEEEESE_iNS9_10multipliesIiEEiEEDaPvRmT3_T4_T5_mT6_P12ihipStream_tbENKUlT_T0_E_clISt17integral_constantIbLb0EEST_IbLb1EEEEDaSP_SQ_EUlSP_E0_NS1_11comp_targetILNS1_3genE8ELNS1_11target_archE1030ELNS1_3gpuE2ELNS1_3repE0EEENS1_30default_config_static_selectorELNS0_4arch9wavefront6targetE1EEEvT1_.kd
    .uniform_work_group_size: 1
    .uses_dynamic_stack: false
    .vgpr_count:     0
    .vgpr_spill_count: 0
    .wavefront_size: 64
  - .agpr_count:     0
    .args:
      - .offset:         0
        .size:           96
        .value_kind:     by_value
    .group_segment_fixed_size: 0
    .kernarg_segment_align: 8
    .kernarg_segment_size: 96
    .language:       OpenCL C
    .language_version:
      - 2
      - 0
    .max_flat_workgroup_size: 256
    .name:           _ZN7rocprim17ROCPRIM_400000_NS6detail17trampoline_kernelINS0_14default_configENS1_20scan_config_selectorIiEEZZNS1_9scan_implILNS1_25lookback_scan_determinismE0ELb1ELb1ES3_N6thrust23THRUST_200600_302600_NS6detail15normal_iteratorINS9_10device_ptrIiEEEESE_iNS9_4plusIiEEiEEDaPvRmT3_T4_T5_mT6_P12ihipStream_tbENKUlT_T0_E_clISt17integral_constantIbLb0EESU_EEDaSP_SQ_EUlSP_E_NS1_11comp_targetILNS1_3genE0ELNS1_11target_archE4294967295ELNS1_3gpuE0ELNS1_3repE0EEENS1_30default_config_static_selectorELNS0_4arch9wavefront6targetE1EEEvT1_
    .private_segment_fixed_size: 0
    .sgpr_count:     4
    .sgpr_spill_count: 0
    .symbol:         _ZN7rocprim17ROCPRIM_400000_NS6detail17trampoline_kernelINS0_14default_configENS1_20scan_config_selectorIiEEZZNS1_9scan_implILNS1_25lookback_scan_determinismE0ELb1ELb1ES3_N6thrust23THRUST_200600_302600_NS6detail15normal_iteratorINS9_10device_ptrIiEEEESE_iNS9_4plusIiEEiEEDaPvRmT3_T4_T5_mT6_P12ihipStream_tbENKUlT_T0_E_clISt17integral_constantIbLb0EESU_EEDaSP_SQ_EUlSP_E_NS1_11comp_targetILNS1_3genE0ELNS1_11target_archE4294967295ELNS1_3gpuE0ELNS1_3repE0EEENS1_30default_config_static_selectorELNS0_4arch9wavefront6targetE1EEEvT1_.kd
    .uniform_work_group_size: 1
    .uses_dynamic_stack: false
    .vgpr_count:     0
    .vgpr_spill_count: 0
    .wavefront_size: 64
  - .agpr_count:     0
    .args:
      - .offset:         0
        .size:           96
        .value_kind:     by_value
    .group_segment_fixed_size: 0
    .kernarg_segment_align: 8
    .kernarg_segment_size: 96
    .language:       OpenCL C
    .language_version:
      - 2
      - 0
    .max_flat_workgroup_size: 256
    .name:           _ZN7rocprim17ROCPRIM_400000_NS6detail17trampoline_kernelINS0_14default_configENS1_20scan_config_selectorIiEEZZNS1_9scan_implILNS1_25lookback_scan_determinismE0ELb1ELb1ES3_N6thrust23THRUST_200600_302600_NS6detail15normal_iteratorINS9_10device_ptrIiEEEESE_iNS9_4plusIiEEiEEDaPvRmT3_T4_T5_mT6_P12ihipStream_tbENKUlT_T0_E_clISt17integral_constantIbLb0EESU_EEDaSP_SQ_EUlSP_E_NS1_11comp_targetILNS1_3genE5ELNS1_11target_archE942ELNS1_3gpuE9ELNS1_3repE0EEENS1_30default_config_static_selectorELNS0_4arch9wavefront6targetE1EEEvT1_
    .private_segment_fixed_size: 0
    .sgpr_count:     4
    .sgpr_spill_count: 0
    .symbol:         _ZN7rocprim17ROCPRIM_400000_NS6detail17trampoline_kernelINS0_14default_configENS1_20scan_config_selectorIiEEZZNS1_9scan_implILNS1_25lookback_scan_determinismE0ELb1ELb1ES3_N6thrust23THRUST_200600_302600_NS6detail15normal_iteratorINS9_10device_ptrIiEEEESE_iNS9_4plusIiEEiEEDaPvRmT3_T4_T5_mT6_P12ihipStream_tbENKUlT_T0_E_clISt17integral_constantIbLb0EESU_EEDaSP_SQ_EUlSP_E_NS1_11comp_targetILNS1_3genE5ELNS1_11target_archE942ELNS1_3gpuE9ELNS1_3repE0EEENS1_30default_config_static_selectorELNS0_4arch9wavefront6targetE1EEEvT1_.kd
    .uniform_work_group_size: 1
    .uses_dynamic_stack: false
    .vgpr_count:     0
    .vgpr_spill_count: 0
    .wavefront_size: 64
  - .agpr_count:     0
    .args:
      - .offset:         0
        .size:           96
        .value_kind:     by_value
    .group_segment_fixed_size: 5120
    .kernarg_segment_align: 8
    .kernarg_segment_size: 96
    .language:       OpenCL C
    .language_version:
      - 2
      - 0
    .max_flat_workgroup_size: 128
    .name:           _ZN7rocprim17ROCPRIM_400000_NS6detail17trampoline_kernelINS0_14default_configENS1_20scan_config_selectorIiEEZZNS1_9scan_implILNS1_25lookback_scan_determinismE0ELb1ELb1ES3_N6thrust23THRUST_200600_302600_NS6detail15normal_iteratorINS9_10device_ptrIiEEEESE_iNS9_4plusIiEEiEEDaPvRmT3_T4_T5_mT6_P12ihipStream_tbENKUlT_T0_E_clISt17integral_constantIbLb0EESU_EEDaSP_SQ_EUlSP_E_NS1_11comp_targetILNS1_3genE4ELNS1_11target_archE910ELNS1_3gpuE8ELNS1_3repE0EEENS1_30default_config_static_selectorELNS0_4arch9wavefront6targetE1EEEvT1_
    .private_segment_fixed_size: 0
    .sgpr_count:     33
    .sgpr_spill_count: 0
    .symbol:         _ZN7rocprim17ROCPRIM_400000_NS6detail17trampoline_kernelINS0_14default_configENS1_20scan_config_selectorIiEEZZNS1_9scan_implILNS1_25lookback_scan_determinismE0ELb1ELb1ES3_N6thrust23THRUST_200600_302600_NS6detail15normal_iteratorINS9_10device_ptrIiEEEESE_iNS9_4plusIiEEiEEDaPvRmT3_T4_T5_mT6_P12ihipStream_tbENKUlT_T0_E_clISt17integral_constantIbLb0EESU_EEDaSP_SQ_EUlSP_E_NS1_11comp_targetILNS1_3genE4ELNS1_11target_archE910ELNS1_3gpuE8ELNS1_3repE0EEENS1_30default_config_static_selectorELNS0_4arch9wavefront6targetE1EEEvT1_.kd
    .uniform_work_group_size: 1
    .uses_dynamic_stack: false
    .vgpr_count:     41
    .vgpr_spill_count: 0
    .wavefront_size: 64
  - .agpr_count:     0
    .args:
      - .offset:         0
        .size:           96
        .value_kind:     by_value
    .group_segment_fixed_size: 0
    .kernarg_segment_align: 8
    .kernarg_segment_size: 96
    .language:       OpenCL C
    .language_version:
      - 2
      - 0
    .max_flat_workgroup_size: 256
    .name:           _ZN7rocprim17ROCPRIM_400000_NS6detail17trampoline_kernelINS0_14default_configENS1_20scan_config_selectorIiEEZZNS1_9scan_implILNS1_25lookback_scan_determinismE0ELb1ELb1ES3_N6thrust23THRUST_200600_302600_NS6detail15normal_iteratorINS9_10device_ptrIiEEEESE_iNS9_4plusIiEEiEEDaPvRmT3_T4_T5_mT6_P12ihipStream_tbENKUlT_T0_E_clISt17integral_constantIbLb0EESU_EEDaSP_SQ_EUlSP_E_NS1_11comp_targetILNS1_3genE3ELNS1_11target_archE908ELNS1_3gpuE7ELNS1_3repE0EEENS1_30default_config_static_selectorELNS0_4arch9wavefront6targetE1EEEvT1_
    .private_segment_fixed_size: 0
    .sgpr_count:     4
    .sgpr_spill_count: 0
    .symbol:         _ZN7rocprim17ROCPRIM_400000_NS6detail17trampoline_kernelINS0_14default_configENS1_20scan_config_selectorIiEEZZNS1_9scan_implILNS1_25lookback_scan_determinismE0ELb1ELb1ES3_N6thrust23THRUST_200600_302600_NS6detail15normal_iteratorINS9_10device_ptrIiEEEESE_iNS9_4plusIiEEiEEDaPvRmT3_T4_T5_mT6_P12ihipStream_tbENKUlT_T0_E_clISt17integral_constantIbLb0EESU_EEDaSP_SQ_EUlSP_E_NS1_11comp_targetILNS1_3genE3ELNS1_11target_archE908ELNS1_3gpuE7ELNS1_3repE0EEENS1_30default_config_static_selectorELNS0_4arch9wavefront6targetE1EEEvT1_.kd
    .uniform_work_group_size: 1
    .uses_dynamic_stack: false
    .vgpr_count:     0
    .vgpr_spill_count: 0
    .wavefront_size: 64
  - .agpr_count:     0
    .args:
      - .offset:         0
        .size:           96
        .value_kind:     by_value
    .group_segment_fixed_size: 0
    .kernarg_segment_align: 8
    .kernarg_segment_size: 96
    .language:       OpenCL C
    .language_version:
      - 2
      - 0
    .max_flat_workgroup_size: 256
    .name:           _ZN7rocprim17ROCPRIM_400000_NS6detail17trampoline_kernelINS0_14default_configENS1_20scan_config_selectorIiEEZZNS1_9scan_implILNS1_25lookback_scan_determinismE0ELb1ELb1ES3_N6thrust23THRUST_200600_302600_NS6detail15normal_iteratorINS9_10device_ptrIiEEEESE_iNS9_4plusIiEEiEEDaPvRmT3_T4_T5_mT6_P12ihipStream_tbENKUlT_T0_E_clISt17integral_constantIbLb0EESU_EEDaSP_SQ_EUlSP_E_NS1_11comp_targetILNS1_3genE2ELNS1_11target_archE906ELNS1_3gpuE6ELNS1_3repE0EEENS1_30default_config_static_selectorELNS0_4arch9wavefront6targetE1EEEvT1_
    .private_segment_fixed_size: 0
    .sgpr_count:     4
    .sgpr_spill_count: 0
    .symbol:         _ZN7rocprim17ROCPRIM_400000_NS6detail17trampoline_kernelINS0_14default_configENS1_20scan_config_selectorIiEEZZNS1_9scan_implILNS1_25lookback_scan_determinismE0ELb1ELb1ES3_N6thrust23THRUST_200600_302600_NS6detail15normal_iteratorINS9_10device_ptrIiEEEESE_iNS9_4plusIiEEiEEDaPvRmT3_T4_T5_mT6_P12ihipStream_tbENKUlT_T0_E_clISt17integral_constantIbLb0EESU_EEDaSP_SQ_EUlSP_E_NS1_11comp_targetILNS1_3genE2ELNS1_11target_archE906ELNS1_3gpuE6ELNS1_3repE0EEENS1_30default_config_static_selectorELNS0_4arch9wavefront6targetE1EEEvT1_.kd
    .uniform_work_group_size: 1
    .uses_dynamic_stack: false
    .vgpr_count:     0
    .vgpr_spill_count: 0
    .wavefront_size: 64
  - .agpr_count:     0
    .args:
      - .offset:         0
        .size:           96
        .value_kind:     by_value
    .group_segment_fixed_size: 0
    .kernarg_segment_align: 8
    .kernarg_segment_size: 96
    .language:       OpenCL C
    .language_version:
      - 2
      - 0
    .max_flat_workgroup_size: 256
    .name:           _ZN7rocprim17ROCPRIM_400000_NS6detail17trampoline_kernelINS0_14default_configENS1_20scan_config_selectorIiEEZZNS1_9scan_implILNS1_25lookback_scan_determinismE0ELb1ELb1ES3_N6thrust23THRUST_200600_302600_NS6detail15normal_iteratorINS9_10device_ptrIiEEEESE_iNS9_4plusIiEEiEEDaPvRmT3_T4_T5_mT6_P12ihipStream_tbENKUlT_T0_E_clISt17integral_constantIbLb0EESU_EEDaSP_SQ_EUlSP_E_NS1_11comp_targetILNS1_3genE10ELNS1_11target_archE1201ELNS1_3gpuE5ELNS1_3repE0EEENS1_30default_config_static_selectorELNS0_4arch9wavefront6targetE1EEEvT1_
    .private_segment_fixed_size: 0
    .sgpr_count:     4
    .sgpr_spill_count: 0
    .symbol:         _ZN7rocprim17ROCPRIM_400000_NS6detail17trampoline_kernelINS0_14default_configENS1_20scan_config_selectorIiEEZZNS1_9scan_implILNS1_25lookback_scan_determinismE0ELb1ELb1ES3_N6thrust23THRUST_200600_302600_NS6detail15normal_iteratorINS9_10device_ptrIiEEEESE_iNS9_4plusIiEEiEEDaPvRmT3_T4_T5_mT6_P12ihipStream_tbENKUlT_T0_E_clISt17integral_constantIbLb0EESU_EEDaSP_SQ_EUlSP_E_NS1_11comp_targetILNS1_3genE10ELNS1_11target_archE1201ELNS1_3gpuE5ELNS1_3repE0EEENS1_30default_config_static_selectorELNS0_4arch9wavefront6targetE1EEEvT1_.kd
    .uniform_work_group_size: 1
    .uses_dynamic_stack: false
    .vgpr_count:     0
    .vgpr_spill_count: 0
    .wavefront_size: 64
  - .agpr_count:     0
    .args:
      - .offset:         0
        .size:           96
        .value_kind:     by_value
    .group_segment_fixed_size: 0
    .kernarg_segment_align: 8
    .kernarg_segment_size: 96
    .language:       OpenCL C
    .language_version:
      - 2
      - 0
    .max_flat_workgroup_size: 256
    .name:           _ZN7rocprim17ROCPRIM_400000_NS6detail17trampoline_kernelINS0_14default_configENS1_20scan_config_selectorIiEEZZNS1_9scan_implILNS1_25lookback_scan_determinismE0ELb1ELb1ES3_N6thrust23THRUST_200600_302600_NS6detail15normal_iteratorINS9_10device_ptrIiEEEESE_iNS9_4plusIiEEiEEDaPvRmT3_T4_T5_mT6_P12ihipStream_tbENKUlT_T0_E_clISt17integral_constantIbLb0EESU_EEDaSP_SQ_EUlSP_E_NS1_11comp_targetILNS1_3genE10ELNS1_11target_archE1200ELNS1_3gpuE4ELNS1_3repE0EEENS1_30default_config_static_selectorELNS0_4arch9wavefront6targetE1EEEvT1_
    .private_segment_fixed_size: 0
    .sgpr_count:     4
    .sgpr_spill_count: 0
    .symbol:         _ZN7rocprim17ROCPRIM_400000_NS6detail17trampoline_kernelINS0_14default_configENS1_20scan_config_selectorIiEEZZNS1_9scan_implILNS1_25lookback_scan_determinismE0ELb1ELb1ES3_N6thrust23THRUST_200600_302600_NS6detail15normal_iteratorINS9_10device_ptrIiEEEESE_iNS9_4plusIiEEiEEDaPvRmT3_T4_T5_mT6_P12ihipStream_tbENKUlT_T0_E_clISt17integral_constantIbLb0EESU_EEDaSP_SQ_EUlSP_E_NS1_11comp_targetILNS1_3genE10ELNS1_11target_archE1200ELNS1_3gpuE4ELNS1_3repE0EEENS1_30default_config_static_selectorELNS0_4arch9wavefront6targetE1EEEvT1_.kd
    .uniform_work_group_size: 1
    .uses_dynamic_stack: false
    .vgpr_count:     0
    .vgpr_spill_count: 0
    .wavefront_size: 64
  - .agpr_count:     0
    .args:
      - .offset:         0
        .size:           96
        .value_kind:     by_value
    .group_segment_fixed_size: 0
    .kernarg_segment_align: 8
    .kernarg_segment_size: 96
    .language:       OpenCL C
    .language_version:
      - 2
      - 0
    .max_flat_workgroup_size: 256
    .name:           _ZN7rocprim17ROCPRIM_400000_NS6detail17trampoline_kernelINS0_14default_configENS1_20scan_config_selectorIiEEZZNS1_9scan_implILNS1_25lookback_scan_determinismE0ELb1ELb1ES3_N6thrust23THRUST_200600_302600_NS6detail15normal_iteratorINS9_10device_ptrIiEEEESE_iNS9_4plusIiEEiEEDaPvRmT3_T4_T5_mT6_P12ihipStream_tbENKUlT_T0_E_clISt17integral_constantIbLb0EESU_EEDaSP_SQ_EUlSP_E_NS1_11comp_targetILNS1_3genE9ELNS1_11target_archE1100ELNS1_3gpuE3ELNS1_3repE0EEENS1_30default_config_static_selectorELNS0_4arch9wavefront6targetE1EEEvT1_
    .private_segment_fixed_size: 0
    .sgpr_count:     4
    .sgpr_spill_count: 0
    .symbol:         _ZN7rocprim17ROCPRIM_400000_NS6detail17trampoline_kernelINS0_14default_configENS1_20scan_config_selectorIiEEZZNS1_9scan_implILNS1_25lookback_scan_determinismE0ELb1ELb1ES3_N6thrust23THRUST_200600_302600_NS6detail15normal_iteratorINS9_10device_ptrIiEEEESE_iNS9_4plusIiEEiEEDaPvRmT3_T4_T5_mT6_P12ihipStream_tbENKUlT_T0_E_clISt17integral_constantIbLb0EESU_EEDaSP_SQ_EUlSP_E_NS1_11comp_targetILNS1_3genE9ELNS1_11target_archE1100ELNS1_3gpuE3ELNS1_3repE0EEENS1_30default_config_static_selectorELNS0_4arch9wavefront6targetE1EEEvT1_.kd
    .uniform_work_group_size: 1
    .uses_dynamic_stack: false
    .vgpr_count:     0
    .vgpr_spill_count: 0
    .wavefront_size: 64
  - .agpr_count:     0
    .args:
      - .offset:         0
        .size:           96
        .value_kind:     by_value
    .group_segment_fixed_size: 0
    .kernarg_segment_align: 8
    .kernarg_segment_size: 96
    .language:       OpenCL C
    .language_version:
      - 2
      - 0
    .max_flat_workgroup_size: 64
    .name:           _ZN7rocprim17ROCPRIM_400000_NS6detail17trampoline_kernelINS0_14default_configENS1_20scan_config_selectorIiEEZZNS1_9scan_implILNS1_25lookback_scan_determinismE0ELb1ELb1ES3_N6thrust23THRUST_200600_302600_NS6detail15normal_iteratorINS9_10device_ptrIiEEEESE_iNS9_4plusIiEEiEEDaPvRmT3_T4_T5_mT6_P12ihipStream_tbENKUlT_T0_E_clISt17integral_constantIbLb0EESU_EEDaSP_SQ_EUlSP_E_NS1_11comp_targetILNS1_3genE8ELNS1_11target_archE1030ELNS1_3gpuE2ELNS1_3repE0EEENS1_30default_config_static_selectorELNS0_4arch9wavefront6targetE1EEEvT1_
    .private_segment_fixed_size: 0
    .sgpr_count:     4
    .sgpr_spill_count: 0
    .symbol:         _ZN7rocprim17ROCPRIM_400000_NS6detail17trampoline_kernelINS0_14default_configENS1_20scan_config_selectorIiEEZZNS1_9scan_implILNS1_25lookback_scan_determinismE0ELb1ELb1ES3_N6thrust23THRUST_200600_302600_NS6detail15normal_iteratorINS9_10device_ptrIiEEEESE_iNS9_4plusIiEEiEEDaPvRmT3_T4_T5_mT6_P12ihipStream_tbENKUlT_T0_E_clISt17integral_constantIbLb0EESU_EEDaSP_SQ_EUlSP_E_NS1_11comp_targetILNS1_3genE8ELNS1_11target_archE1030ELNS1_3gpuE2ELNS1_3repE0EEENS1_30default_config_static_selectorELNS0_4arch9wavefront6targetE1EEEvT1_.kd
    .uniform_work_group_size: 1
    .uses_dynamic_stack: false
    .vgpr_count:     0
    .vgpr_spill_count: 0
    .wavefront_size: 64
  - .agpr_count:     0
    .args:
      - .offset:         0
        .size:           32
        .value_kind:     by_value
    .group_segment_fixed_size: 0
    .kernarg_segment_align: 8
    .kernarg_segment_size: 32
    .language:       OpenCL C
    .language_version:
      - 2
      - 0
    .max_flat_workgroup_size: 256
    .name:           _ZN7rocprim17ROCPRIM_400000_NS6detail17trampoline_kernelINS0_14default_configENS1_20scan_config_selectorIiEEZZNS1_9scan_implILNS1_25lookback_scan_determinismE0ELb1ELb1ES3_N6thrust23THRUST_200600_302600_NS6detail15normal_iteratorINS9_10device_ptrIiEEEESE_iNS9_4plusIiEEiEEDaPvRmT3_T4_T5_mT6_P12ihipStream_tbENKUlT_T0_E_clISt17integral_constantIbLb0EESU_EEDaSP_SQ_EUlSP_E0_NS1_11comp_targetILNS1_3genE0ELNS1_11target_archE4294967295ELNS1_3gpuE0ELNS1_3repE0EEENS1_30default_config_static_selectorELNS0_4arch9wavefront6targetE1EEEvT1_
    .private_segment_fixed_size: 0
    .sgpr_count:     4
    .sgpr_spill_count: 0
    .symbol:         _ZN7rocprim17ROCPRIM_400000_NS6detail17trampoline_kernelINS0_14default_configENS1_20scan_config_selectorIiEEZZNS1_9scan_implILNS1_25lookback_scan_determinismE0ELb1ELb1ES3_N6thrust23THRUST_200600_302600_NS6detail15normal_iteratorINS9_10device_ptrIiEEEESE_iNS9_4plusIiEEiEEDaPvRmT3_T4_T5_mT6_P12ihipStream_tbENKUlT_T0_E_clISt17integral_constantIbLb0EESU_EEDaSP_SQ_EUlSP_E0_NS1_11comp_targetILNS1_3genE0ELNS1_11target_archE4294967295ELNS1_3gpuE0ELNS1_3repE0EEENS1_30default_config_static_selectorELNS0_4arch9wavefront6targetE1EEEvT1_.kd
    .uniform_work_group_size: 1
    .uses_dynamic_stack: false
    .vgpr_count:     0
    .vgpr_spill_count: 0
    .wavefront_size: 64
  - .agpr_count:     0
    .args:
      - .offset:         0
        .size:           32
        .value_kind:     by_value
    .group_segment_fixed_size: 0
    .kernarg_segment_align: 8
    .kernarg_segment_size: 32
    .language:       OpenCL C
    .language_version:
      - 2
      - 0
    .max_flat_workgroup_size: 256
    .name:           _ZN7rocprim17ROCPRIM_400000_NS6detail17trampoline_kernelINS0_14default_configENS1_20scan_config_selectorIiEEZZNS1_9scan_implILNS1_25lookback_scan_determinismE0ELb1ELb1ES3_N6thrust23THRUST_200600_302600_NS6detail15normal_iteratorINS9_10device_ptrIiEEEESE_iNS9_4plusIiEEiEEDaPvRmT3_T4_T5_mT6_P12ihipStream_tbENKUlT_T0_E_clISt17integral_constantIbLb0EESU_EEDaSP_SQ_EUlSP_E0_NS1_11comp_targetILNS1_3genE5ELNS1_11target_archE942ELNS1_3gpuE9ELNS1_3repE0EEENS1_30default_config_static_selectorELNS0_4arch9wavefront6targetE1EEEvT1_
    .private_segment_fixed_size: 0
    .sgpr_count:     4
    .sgpr_spill_count: 0
    .symbol:         _ZN7rocprim17ROCPRIM_400000_NS6detail17trampoline_kernelINS0_14default_configENS1_20scan_config_selectorIiEEZZNS1_9scan_implILNS1_25lookback_scan_determinismE0ELb1ELb1ES3_N6thrust23THRUST_200600_302600_NS6detail15normal_iteratorINS9_10device_ptrIiEEEESE_iNS9_4plusIiEEiEEDaPvRmT3_T4_T5_mT6_P12ihipStream_tbENKUlT_T0_E_clISt17integral_constantIbLb0EESU_EEDaSP_SQ_EUlSP_E0_NS1_11comp_targetILNS1_3genE5ELNS1_11target_archE942ELNS1_3gpuE9ELNS1_3repE0EEENS1_30default_config_static_selectorELNS0_4arch9wavefront6targetE1EEEvT1_.kd
    .uniform_work_group_size: 1
    .uses_dynamic_stack: false
    .vgpr_count:     0
    .vgpr_spill_count: 0
    .wavefront_size: 64
  - .agpr_count:     0
    .args:
      - .offset:         0
        .size:           32
        .value_kind:     by_value
    .group_segment_fixed_size: 5120
    .kernarg_segment_align: 8
    .kernarg_segment_size: 32
    .language:       OpenCL C
    .language_version:
      - 2
      - 0
    .max_flat_workgroup_size: 128
    .name:           _ZN7rocprim17ROCPRIM_400000_NS6detail17trampoline_kernelINS0_14default_configENS1_20scan_config_selectorIiEEZZNS1_9scan_implILNS1_25lookback_scan_determinismE0ELb1ELb1ES3_N6thrust23THRUST_200600_302600_NS6detail15normal_iteratorINS9_10device_ptrIiEEEESE_iNS9_4plusIiEEiEEDaPvRmT3_T4_T5_mT6_P12ihipStream_tbENKUlT_T0_E_clISt17integral_constantIbLb0EESU_EEDaSP_SQ_EUlSP_E0_NS1_11comp_targetILNS1_3genE4ELNS1_11target_archE910ELNS1_3gpuE8ELNS1_3repE0EEENS1_30default_config_static_selectorELNS0_4arch9wavefront6targetE1EEEvT1_
    .private_segment_fixed_size: 0
    .sgpr_count:     29
    .sgpr_spill_count: 0
    .symbol:         _ZN7rocprim17ROCPRIM_400000_NS6detail17trampoline_kernelINS0_14default_configENS1_20scan_config_selectorIiEEZZNS1_9scan_implILNS1_25lookback_scan_determinismE0ELb1ELb1ES3_N6thrust23THRUST_200600_302600_NS6detail15normal_iteratorINS9_10device_ptrIiEEEESE_iNS9_4plusIiEEiEEDaPvRmT3_T4_T5_mT6_P12ihipStream_tbENKUlT_T0_E_clISt17integral_constantIbLb0EESU_EEDaSP_SQ_EUlSP_E0_NS1_11comp_targetILNS1_3genE4ELNS1_11target_archE910ELNS1_3gpuE8ELNS1_3repE0EEENS1_30default_config_static_selectorELNS0_4arch9wavefront6targetE1EEEvT1_.kd
    .uniform_work_group_size: 1
    .uses_dynamic_stack: false
    .vgpr_count:     18
    .vgpr_spill_count: 0
    .wavefront_size: 64
  - .agpr_count:     0
    .args:
      - .offset:         0
        .size:           32
        .value_kind:     by_value
    .group_segment_fixed_size: 0
    .kernarg_segment_align: 8
    .kernarg_segment_size: 32
    .language:       OpenCL C
    .language_version:
      - 2
      - 0
    .max_flat_workgroup_size: 256
    .name:           _ZN7rocprim17ROCPRIM_400000_NS6detail17trampoline_kernelINS0_14default_configENS1_20scan_config_selectorIiEEZZNS1_9scan_implILNS1_25lookback_scan_determinismE0ELb1ELb1ES3_N6thrust23THRUST_200600_302600_NS6detail15normal_iteratorINS9_10device_ptrIiEEEESE_iNS9_4plusIiEEiEEDaPvRmT3_T4_T5_mT6_P12ihipStream_tbENKUlT_T0_E_clISt17integral_constantIbLb0EESU_EEDaSP_SQ_EUlSP_E0_NS1_11comp_targetILNS1_3genE3ELNS1_11target_archE908ELNS1_3gpuE7ELNS1_3repE0EEENS1_30default_config_static_selectorELNS0_4arch9wavefront6targetE1EEEvT1_
    .private_segment_fixed_size: 0
    .sgpr_count:     4
    .sgpr_spill_count: 0
    .symbol:         _ZN7rocprim17ROCPRIM_400000_NS6detail17trampoline_kernelINS0_14default_configENS1_20scan_config_selectorIiEEZZNS1_9scan_implILNS1_25lookback_scan_determinismE0ELb1ELb1ES3_N6thrust23THRUST_200600_302600_NS6detail15normal_iteratorINS9_10device_ptrIiEEEESE_iNS9_4plusIiEEiEEDaPvRmT3_T4_T5_mT6_P12ihipStream_tbENKUlT_T0_E_clISt17integral_constantIbLb0EESU_EEDaSP_SQ_EUlSP_E0_NS1_11comp_targetILNS1_3genE3ELNS1_11target_archE908ELNS1_3gpuE7ELNS1_3repE0EEENS1_30default_config_static_selectorELNS0_4arch9wavefront6targetE1EEEvT1_.kd
    .uniform_work_group_size: 1
    .uses_dynamic_stack: false
    .vgpr_count:     0
    .vgpr_spill_count: 0
    .wavefront_size: 64
  - .agpr_count:     0
    .args:
      - .offset:         0
        .size:           32
        .value_kind:     by_value
    .group_segment_fixed_size: 0
    .kernarg_segment_align: 8
    .kernarg_segment_size: 32
    .language:       OpenCL C
    .language_version:
      - 2
      - 0
    .max_flat_workgroup_size: 256
    .name:           _ZN7rocprim17ROCPRIM_400000_NS6detail17trampoline_kernelINS0_14default_configENS1_20scan_config_selectorIiEEZZNS1_9scan_implILNS1_25lookback_scan_determinismE0ELb1ELb1ES3_N6thrust23THRUST_200600_302600_NS6detail15normal_iteratorINS9_10device_ptrIiEEEESE_iNS9_4plusIiEEiEEDaPvRmT3_T4_T5_mT6_P12ihipStream_tbENKUlT_T0_E_clISt17integral_constantIbLb0EESU_EEDaSP_SQ_EUlSP_E0_NS1_11comp_targetILNS1_3genE2ELNS1_11target_archE906ELNS1_3gpuE6ELNS1_3repE0EEENS1_30default_config_static_selectorELNS0_4arch9wavefront6targetE1EEEvT1_
    .private_segment_fixed_size: 0
    .sgpr_count:     4
    .sgpr_spill_count: 0
    .symbol:         _ZN7rocprim17ROCPRIM_400000_NS6detail17trampoline_kernelINS0_14default_configENS1_20scan_config_selectorIiEEZZNS1_9scan_implILNS1_25lookback_scan_determinismE0ELb1ELb1ES3_N6thrust23THRUST_200600_302600_NS6detail15normal_iteratorINS9_10device_ptrIiEEEESE_iNS9_4plusIiEEiEEDaPvRmT3_T4_T5_mT6_P12ihipStream_tbENKUlT_T0_E_clISt17integral_constantIbLb0EESU_EEDaSP_SQ_EUlSP_E0_NS1_11comp_targetILNS1_3genE2ELNS1_11target_archE906ELNS1_3gpuE6ELNS1_3repE0EEENS1_30default_config_static_selectorELNS0_4arch9wavefront6targetE1EEEvT1_.kd
    .uniform_work_group_size: 1
    .uses_dynamic_stack: false
    .vgpr_count:     0
    .vgpr_spill_count: 0
    .wavefront_size: 64
  - .agpr_count:     0
    .args:
      - .offset:         0
        .size:           32
        .value_kind:     by_value
    .group_segment_fixed_size: 0
    .kernarg_segment_align: 8
    .kernarg_segment_size: 32
    .language:       OpenCL C
    .language_version:
      - 2
      - 0
    .max_flat_workgroup_size: 256
    .name:           _ZN7rocprim17ROCPRIM_400000_NS6detail17trampoline_kernelINS0_14default_configENS1_20scan_config_selectorIiEEZZNS1_9scan_implILNS1_25lookback_scan_determinismE0ELb1ELb1ES3_N6thrust23THRUST_200600_302600_NS6detail15normal_iteratorINS9_10device_ptrIiEEEESE_iNS9_4plusIiEEiEEDaPvRmT3_T4_T5_mT6_P12ihipStream_tbENKUlT_T0_E_clISt17integral_constantIbLb0EESU_EEDaSP_SQ_EUlSP_E0_NS1_11comp_targetILNS1_3genE10ELNS1_11target_archE1201ELNS1_3gpuE5ELNS1_3repE0EEENS1_30default_config_static_selectorELNS0_4arch9wavefront6targetE1EEEvT1_
    .private_segment_fixed_size: 0
    .sgpr_count:     4
    .sgpr_spill_count: 0
    .symbol:         _ZN7rocprim17ROCPRIM_400000_NS6detail17trampoline_kernelINS0_14default_configENS1_20scan_config_selectorIiEEZZNS1_9scan_implILNS1_25lookback_scan_determinismE0ELb1ELb1ES3_N6thrust23THRUST_200600_302600_NS6detail15normal_iteratorINS9_10device_ptrIiEEEESE_iNS9_4plusIiEEiEEDaPvRmT3_T4_T5_mT6_P12ihipStream_tbENKUlT_T0_E_clISt17integral_constantIbLb0EESU_EEDaSP_SQ_EUlSP_E0_NS1_11comp_targetILNS1_3genE10ELNS1_11target_archE1201ELNS1_3gpuE5ELNS1_3repE0EEENS1_30default_config_static_selectorELNS0_4arch9wavefront6targetE1EEEvT1_.kd
    .uniform_work_group_size: 1
    .uses_dynamic_stack: false
    .vgpr_count:     0
    .vgpr_spill_count: 0
    .wavefront_size: 64
  - .agpr_count:     0
    .args:
      - .offset:         0
        .size:           32
        .value_kind:     by_value
    .group_segment_fixed_size: 0
    .kernarg_segment_align: 8
    .kernarg_segment_size: 32
    .language:       OpenCL C
    .language_version:
      - 2
      - 0
    .max_flat_workgroup_size: 256
    .name:           _ZN7rocprim17ROCPRIM_400000_NS6detail17trampoline_kernelINS0_14default_configENS1_20scan_config_selectorIiEEZZNS1_9scan_implILNS1_25lookback_scan_determinismE0ELb1ELb1ES3_N6thrust23THRUST_200600_302600_NS6detail15normal_iteratorINS9_10device_ptrIiEEEESE_iNS9_4plusIiEEiEEDaPvRmT3_T4_T5_mT6_P12ihipStream_tbENKUlT_T0_E_clISt17integral_constantIbLb0EESU_EEDaSP_SQ_EUlSP_E0_NS1_11comp_targetILNS1_3genE10ELNS1_11target_archE1200ELNS1_3gpuE4ELNS1_3repE0EEENS1_30default_config_static_selectorELNS0_4arch9wavefront6targetE1EEEvT1_
    .private_segment_fixed_size: 0
    .sgpr_count:     4
    .sgpr_spill_count: 0
    .symbol:         _ZN7rocprim17ROCPRIM_400000_NS6detail17trampoline_kernelINS0_14default_configENS1_20scan_config_selectorIiEEZZNS1_9scan_implILNS1_25lookback_scan_determinismE0ELb1ELb1ES3_N6thrust23THRUST_200600_302600_NS6detail15normal_iteratorINS9_10device_ptrIiEEEESE_iNS9_4plusIiEEiEEDaPvRmT3_T4_T5_mT6_P12ihipStream_tbENKUlT_T0_E_clISt17integral_constantIbLb0EESU_EEDaSP_SQ_EUlSP_E0_NS1_11comp_targetILNS1_3genE10ELNS1_11target_archE1200ELNS1_3gpuE4ELNS1_3repE0EEENS1_30default_config_static_selectorELNS0_4arch9wavefront6targetE1EEEvT1_.kd
    .uniform_work_group_size: 1
    .uses_dynamic_stack: false
    .vgpr_count:     0
    .vgpr_spill_count: 0
    .wavefront_size: 64
  - .agpr_count:     0
    .args:
      - .offset:         0
        .size:           32
        .value_kind:     by_value
    .group_segment_fixed_size: 0
    .kernarg_segment_align: 8
    .kernarg_segment_size: 32
    .language:       OpenCL C
    .language_version:
      - 2
      - 0
    .max_flat_workgroup_size: 256
    .name:           _ZN7rocprim17ROCPRIM_400000_NS6detail17trampoline_kernelINS0_14default_configENS1_20scan_config_selectorIiEEZZNS1_9scan_implILNS1_25lookback_scan_determinismE0ELb1ELb1ES3_N6thrust23THRUST_200600_302600_NS6detail15normal_iteratorINS9_10device_ptrIiEEEESE_iNS9_4plusIiEEiEEDaPvRmT3_T4_T5_mT6_P12ihipStream_tbENKUlT_T0_E_clISt17integral_constantIbLb0EESU_EEDaSP_SQ_EUlSP_E0_NS1_11comp_targetILNS1_3genE9ELNS1_11target_archE1100ELNS1_3gpuE3ELNS1_3repE0EEENS1_30default_config_static_selectorELNS0_4arch9wavefront6targetE1EEEvT1_
    .private_segment_fixed_size: 0
    .sgpr_count:     4
    .sgpr_spill_count: 0
    .symbol:         _ZN7rocprim17ROCPRIM_400000_NS6detail17trampoline_kernelINS0_14default_configENS1_20scan_config_selectorIiEEZZNS1_9scan_implILNS1_25lookback_scan_determinismE0ELb1ELb1ES3_N6thrust23THRUST_200600_302600_NS6detail15normal_iteratorINS9_10device_ptrIiEEEESE_iNS9_4plusIiEEiEEDaPvRmT3_T4_T5_mT6_P12ihipStream_tbENKUlT_T0_E_clISt17integral_constantIbLb0EESU_EEDaSP_SQ_EUlSP_E0_NS1_11comp_targetILNS1_3genE9ELNS1_11target_archE1100ELNS1_3gpuE3ELNS1_3repE0EEENS1_30default_config_static_selectorELNS0_4arch9wavefront6targetE1EEEvT1_.kd
    .uniform_work_group_size: 1
    .uses_dynamic_stack: false
    .vgpr_count:     0
    .vgpr_spill_count: 0
    .wavefront_size: 64
  - .agpr_count:     0
    .args:
      - .offset:         0
        .size:           32
        .value_kind:     by_value
    .group_segment_fixed_size: 0
    .kernarg_segment_align: 8
    .kernarg_segment_size: 32
    .language:       OpenCL C
    .language_version:
      - 2
      - 0
    .max_flat_workgroup_size: 64
    .name:           _ZN7rocprim17ROCPRIM_400000_NS6detail17trampoline_kernelINS0_14default_configENS1_20scan_config_selectorIiEEZZNS1_9scan_implILNS1_25lookback_scan_determinismE0ELb1ELb1ES3_N6thrust23THRUST_200600_302600_NS6detail15normal_iteratorINS9_10device_ptrIiEEEESE_iNS9_4plusIiEEiEEDaPvRmT3_T4_T5_mT6_P12ihipStream_tbENKUlT_T0_E_clISt17integral_constantIbLb0EESU_EEDaSP_SQ_EUlSP_E0_NS1_11comp_targetILNS1_3genE8ELNS1_11target_archE1030ELNS1_3gpuE2ELNS1_3repE0EEENS1_30default_config_static_selectorELNS0_4arch9wavefront6targetE1EEEvT1_
    .private_segment_fixed_size: 0
    .sgpr_count:     4
    .sgpr_spill_count: 0
    .symbol:         _ZN7rocprim17ROCPRIM_400000_NS6detail17trampoline_kernelINS0_14default_configENS1_20scan_config_selectorIiEEZZNS1_9scan_implILNS1_25lookback_scan_determinismE0ELb1ELb1ES3_N6thrust23THRUST_200600_302600_NS6detail15normal_iteratorINS9_10device_ptrIiEEEESE_iNS9_4plusIiEEiEEDaPvRmT3_T4_T5_mT6_P12ihipStream_tbENKUlT_T0_E_clISt17integral_constantIbLb0EESU_EEDaSP_SQ_EUlSP_E0_NS1_11comp_targetILNS1_3genE8ELNS1_11target_archE1030ELNS1_3gpuE2ELNS1_3repE0EEENS1_30default_config_static_selectorELNS0_4arch9wavefront6targetE1EEEvT1_.kd
    .uniform_work_group_size: 1
    .uses_dynamic_stack: false
    .vgpr_count:     0
    .vgpr_spill_count: 0
    .wavefront_size: 64
  - .agpr_count:     0
    .args:
      - .offset:         0
        .size:           96
        .value_kind:     by_value
    .group_segment_fixed_size: 0
    .kernarg_segment_align: 8
    .kernarg_segment_size: 96
    .language:       OpenCL C
    .language_version:
      - 2
      - 0
    .max_flat_workgroup_size: 256
    .name:           _ZN7rocprim17ROCPRIM_400000_NS6detail17trampoline_kernelINS0_14default_configENS1_20scan_config_selectorIiEEZZNS1_9scan_implILNS1_25lookback_scan_determinismE0ELb1ELb1ES3_N6thrust23THRUST_200600_302600_NS6detail15normal_iteratorINS9_10device_ptrIiEEEESE_iNS9_4plusIiEEiEEDaPvRmT3_T4_T5_mT6_P12ihipStream_tbENKUlT_T0_E_clISt17integral_constantIbLb1EESU_EEDaSP_SQ_EUlSP_E_NS1_11comp_targetILNS1_3genE0ELNS1_11target_archE4294967295ELNS1_3gpuE0ELNS1_3repE0EEENS1_30default_config_static_selectorELNS0_4arch9wavefront6targetE1EEEvT1_
    .private_segment_fixed_size: 0
    .sgpr_count:     4
    .sgpr_spill_count: 0
    .symbol:         _ZN7rocprim17ROCPRIM_400000_NS6detail17trampoline_kernelINS0_14default_configENS1_20scan_config_selectorIiEEZZNS1_9scan_implILNS1_25lookback_scan_determinismE0ELb1ELb1ES3_N6thrust23THRUST_200600_302600_NS6detail15normal_iteratorINS9_10device_ptrIiEEEESE_iNS9_4plusIiEEiEEDaPvRmT3_T4_T5_mT6_P12ihipStream_tbENKUlT_T0_E_clISt17integral_constantIbLb1EESU_EEDaSP_SQ_EUlSP_E_NS1_11comp_targetILNS1_3genE0ELNS1_11target_archE4294967295ELNS1_3gpuE0ELNS1_3repE0EEENS1_30default_config_static_selectorELNS0_4arch9wavefront6targetE1EEEvT1_.kd
    .uniform_work_group_size: 1
    .uses_dynamic_stack: false
    .vgpr_count:     0
    .vgpr_spill_count: 0
    .wavefront_size: 64
  - .agpr_count:     0
    .args:
      - .offset:         0
        .size:           96
        .value_kind:     by_value
    .group_segment_fixed_size: 0
    .kernarg_segment_align: 8
    .kernarg_segment_size: 96
    .language:       OpenCL C
    .language_version:
      - 2
      - 0
    .max_flat_workgroup_size: 256
    .name:           _ZN7rocprim17ROCPRIM_400000_NS6detail17trampoline_kernelINS0_14default_configENS1_20scan_config_selectorIiEEZZNS1_9scan_implILNS1_25lookback_scan_determinismE0ELb1ELb1ES3_N6thrust23THRUST_200600_302600_NS6detail15normal_iteratorINS9_10device_ptrIiEEEESE_iNS9_4plusIiEEiEEDaPvRmT3_T4_T5_mT6_P12ihipStream_tbENKUlT_T0_E_clISt17integral_constantIbLb1EESU_EEDaSP_SQ_EUlSP_E_NS1_11comp_targetILNS1_3genE5ELNS1_11target_archE942ELNS1_3gpuE9ELNS1_3repE0EEENS1_30default_config_static_selectorELNS0_4arch9wavefront6targetE1EEEvT1_
    .private_segment_fixed_size: 0
    .sgpr_count:     4
    .sgpr_spill_count: 0
    .symbol:         _ZN7rocprim17ROCPRIM_400000_NS6detail17trampoline_kernelINS0_14default_configENS1_20scan_config_selectorIiEEZZNS1_9scan_implILNS1_25lookback_scan_determinismE0ELb1ELb1ES3_N6thrust23THRUST_200600_302600_NS6detail15normal_iteratorINS9_10device_ptrIiEEEESE_iNS9_4plusIiEEiEEDaPvRmT3_T4_T5_mT6_P12ihipStream_tbENKUlT_T0_E_clISt17integral_constantIbLb1EESU_EEDaSP_SQ_EUlSP_E_NS1_11comp_targetILNS1_3genE5ELNS1_11target_archE942ELNS1_3gpuE9ELNS1_3repE0EEENS1_30default_config_static_selectorELNS0_4arch9wavefront6targetE1EEEvT1_.kd
    .uniform_work_group_size: 1
    .uses_dynamic_stack: false
    .vgpr_count:     0
    .vgpr_spill_count: 0
    .wavefront_size: 64
  - .agpr_count:     0
    .args:
      - .offset:         0
        .size:           96
        .value_kind:     by_value
    .group_segment_fixed_size: 5120
    .kernarg_segment_align: 8
    .kernarg_segment_size: 96
    .language:       OpenCL C
    .language_version:
      - 2
      - 0
    .max_flat_workgroup_size: 128
    .name:           _ZN7rocprim17ROCPRIM_400000_NS6detail17trampoline_kernelINS0_14default_configENS1_20scan_config_selectorIiEEZZNS1_9scan_implILNS1_25lookback_scan_determinismE0ELb1ELb1ES3_N6thrust23THRUST_200600_302600_NS6detail15normal_iteratorINS9_10device_ptrIiEEEESE_iNS9_4plusIiEEiEEDaPvRmT3_T4_T5_mT6_P12ihipStream_tbENKUlT_T0_E_clISt17integral_constantIbLb1EESU_EEDaSP_SQ_EUlSP_E_NS1_11comp_targetILNS1_3genE4ELNS1_11target_archE910ELNS1_3gpuE8ELNS1_3repE0EEENS1_30default_config_static_selectorELNS0_4arch9wavefront6targetE1EEEvT1_
    .private_segment_fixed_size: 0
    .sgpr_count:     44
    .sgpr_spill_count: 0
    .symbol:         _ZN7rocprim17ROCPRIM_400000_NS6detail17trampoline_kernelINS0_14default_configENS1_20scan_config_selectorIiEEZZNS1_9scan_implILNS1_25lookback_scan_determinismE0ELb1ELb1ES3_N6thrust23THRUST_200600_302600_NS6detail15normal_iteratorINS9_10device_ptrIiEEEESE_iNS9_4plusIiEEiEEDaPvRmT3_T4_T5_mT6_P12ihipStream_tbENKUlT_T0_E_clISt17integral_constantIbLb1EESU_EEDaSP_SQ_EUlSP_E_NS1_11comp_targetILNS1_3genE4ELNS1_11target_archE910ELNS1_3gpuE8ELNS1_3repE0EEENS1_30default_config_static_selectorELNS0_4arch9wavefront6targetE1EEEvT1_.kd
    .uniform_work_group_size: 1
    .uses_dynamic_stack: false
    .vgpr_count:     41
    .vgpr_spill_count: 0
    .wavefront_size: 64
  - .agpr_count:     0
    .args:
      - .offset:         0
        .size:           96
        .value_kind:     by_value
    .group_segment_fixed_size: 0
    .kernarg_segment_align: 8
    .kernarg_segment_size: 96
    .language:       OpenCL C
    .language_version:
      - 2
      - 0
    .max_flat_workgroup_size: 256
    .name:           _ZN7rocprim17ROCPRIM_400000_NS6detail17trampoline_kernelINS0_14default_configENS1_20scan_config_selectorIiEEZZNS1_9scan_implILNS1_25lookback_scan_determinismE0ELb1ELb1ES3_N6thrust23THRUST_200600_302600_NS6detail15normal_iteratorINS9_10device_ptrIiEEEESE_iNS9_4plusIiEEiEEDaPvRmT3_T4_T5_mT6_P12ihipStream_tbENKUlT_T0_E_clISt17integral_constantIbLb1EESU_EEDaSP_SQ_EUlSP_E_NS1_11comp_targetILNS1_3genE3ELNS1_11target_archE908ELNS1_3gpuE7ELNS1_3repE0EEENS1_30default_config_static_selectorELNS0_4arch9wavefront6targetE1EEEvT1_
    .private_segment_fixed_size: 0
    .sgpr_count:     4
    .sgpr_spill_count: 0
    .symbol:         _ZN7rocprim17ROCPRIM_400000_NS6detail17trampoline_kernelINS0_14default_configENS1_20scan_config_selectorIiEEZZNS1_9scan_implILNS1_25lookback_scan_determinismE0ELb1ELb1ES3_N6thrust23THRUST_200600_302600_NS6detail15normal_iteratorINS9_10device_ptrIiEEEESE_iNS9_4plusIiEEiEEDaPvRmT3_T4_T5_mT6_P12ihipStream_tbENKUlT_T0_E_clISt17integral_constantIbLb1EESU_EEDaSP_SQ_EUlSP_E_NS1_11comp_targetILNS1_3genE3ELNS1_11target_archE908ELNS1_3gpuE7ELNS1_3repE0EEENS1_30default_config_static_selectorELNS0_4arch9wavefront6targetE1EEEvT1_.kd
    .uniform_work_group_size: 1
    .uses_dynamic_stack: false
    .vgpr_count:     0
    .vgpr_spill_count: 0
    .wavefront_size: 64
  - .agpr_count:     0
    .args:
      - .offset:         0
        .size:           96
        .value_kind:     by_value
    .group_segment_fixed_size: 0
    .kernarg_segment_align: 8
    .kernarg_segment_size: 96
    .language:       OpenCL C
    .language_version:
      - 2
      - 0
    .max_flat_workgroup_size: 256
    .name:           _ZN7rocprim17ROCPRIM_400000_NS6detail17trampoline_kernelINS0_14default_configENS1_20scan_config_selectorIiEEZZNS1_9scan_implILNS1_25lookback_scan_determinismE0ELb1ELb1ES3_N6thrust23THRUST_200600_302600_NS6detail15normal_iteratorINS9_10device_ptrIiEEEESE_iNS9_4plusIiEEiEEDaPvRmT3_T4_T5_mT6_P12ihipStream_tbENKUlT_T0_E_clISt17integral_constantIbLb1EESU_EEDaSP_SQ_EUlSP_E_NS1_11comp_targetILNS1_3genE2ELNS1_11target_archE906ELNS1_3gpuE6ELNS1_3repE0EEENS1_30default_config_static_selectorELNS0_4arch9wavefront6targetE1EEEvT1_
    .private_segment_fixed_size: 0
    .sgpr_count:     4
    .sgpr_spill_count: 0
    .symbol:         _ZN7rocprim17ROCPRIM_400000_NS6detail17trampoline_kernelINS0_14default_configENS1_20scan_config_selectorIiEEZZNS1_9scan_implILNS1_25lookback_scan_determinismE0ELb1ELb1ES3_N6thrust23THRUST_200600_302600_NS6detail15normal_iteratorINS9_10device_ptrIiEEEESE_iNS9_4plusIiEEiEEDaPvRmT3_T4_T5_mT6_P12ihipStream_tbENKUlT_T0_E_clISt17integral_constantIbLb1EESU_EEDaSP_SQ_EUlSP_E_NS1_11comp_targetILNS1_3genE2ELNS1_11target_archE906ELNS1_3gpuE6ELNS1_3repE0EEENS1_30default_config_static_selectorELNS0_4arch9wavefront6targetE1EEEvT1_.kd
    .uniform_work_group_size: 1
    .uses_dynamic_stack: false
    .vgpr_count:     0
    .vgpr_spill_count: 0
    .wavefront_size: 64
  - .agpr_count:     0
    .args:
      - .offset:         0
        .size:           96
        .value_kind:     by_value
    .group_segment_fixed_size: 0
    .kernarg_segment_align: 8
    .kernarg_segment_size: 96
    .language:       OpenCL C
    .language_version:
      - 2
      - 0
    .max_flat_workgroup_size: 256
    .name:           _ZN7rocprim17ROCPRIM_400000_NS6detail17trampoline_kernelINS0_14default_configENS1_20scan_config_selectorIiEEZZNS1_9scan_implILNS1_25lookback_scan_determinismE0ELb1ELb1ES3_N6thrust23THRUST_200600_302600_NS6detail15normal_iteratorINS9_10device_ptrIiEEEESE_iNS9_4plusIiEEiEEDaPvRmT3_T4_T5_mT6_P12ihipStream_tbENKUlT_T0_E_clISt17integral_constantIbLb1EESU_EEDaSP_SQ_EUlSP_E_NS1_11comp_targetILNS1_3genE10ELNS1_11target_archE1201ELNS1_3gpuE5ELNS1_3repE0EEENS1_30default_config_static_selectorELNS0_4arch9wavefront6targetE1EEEvT1_
    .private_segment_fixed_size: 0
    .sgpr_count:     4
    .sgpr_spill_count: 0
    .symbol:         _ZN7rocprim17ROCPRIM_400000_NS6detail17trampoline_kernelINS0_14default_configENS1_20scan_config_selectorIiEEZZNS1_9scan_implILNS1_25lookback_scan_determinismE0ELb1ELb1ES3_N6thrust23THRUST_200600_302600_NS6detail15normal_iteratorINS9_10device_ptrIiEEEESE_iNS9_4plusIiEEiEEDaPvRmT3_T4_T5_mT6_P12ihipStream_tbENKUlT_T0_E_clISt17integral_constantIbLb1EESU_EEDaSP_SQ_EUlSP_E_NS1_11comp_targetILNS1_3genE10ELNS1_11target_archE1201ELNS1_3gpuE5ELNS1_3repE0EEENS1_30default_config_static_selectorELNS0_4arch9wavefront6targetE1EEEvT1_.kd
    .uniform_work_group_size: 1
    .uses_dynamic_stack: false
    .vgpr_count:     0
    .vgpr_spill_count: 0
    .wavefront_size: 64
  - .agpr_count:     0
    .args:
      - .offset:         0
        .size:           96
        .value_kind:     by_value
    .group_segment_fixed_size: 0
    .kernarg_segment_align: 8
    .kernarg_segment_size: 96
    .language:       OpenCL C
    .language_version:
      - 2
      - 0
    .max_flat_workgroup_size: 256
    .name:           _ZN7rocprim17ROCPRIM_400000_NS6detail17trampoline_kernelINS0_14default_configENS1_20scan_config_selectorIiEEZZNS1_9scan_implILNS1_25lookback_scan_determinismE0ELb1ELb1ES3_N6thrust23THRUST_200600_302600_NS6detail15normal_iteratorINS9_10device_ptrIiEEEESE_iNS9_4plusIiEEiEEDaPvRmT3_T4_T5_mT6_P12ihipStream_tbENKUlT_T0_E_clISt17integral_constantIbLb1EESU_EEDaSP_SQ_EUlSP_E_NS1_11comp_targetILNS1_3genE10ELNS1_11target_archE1200ELNS1_3gpuE4ELNS1_3repE0EEENS1_30default_config_static_selectorELNS0_4arch9wavefront6targetE1EEEvT1_
    .private_segment_fixed_size: 0
    .sgpr_count:     4
    .sgpr_spill_count: 0
    .symbol:         _ZN7rocprim17ROCPRIM_400000_NS6detail17trampoline_kernelINS0_14default_configENS1_20scan_config_selectorIiEEZZNS1_9scan_implILNS1_25lookback_scan_determinismE0ELb1ELb1ES3_N6thrust23THRUST_200600_302600_NS6detail15normal_iteratorINS9_10device_ptrIiEEEESE_iNS9_4plusIiEEiEEDaPvRmT3_T4_T5_mT6_P12ihipStream_tbENKUlT_T0_E_clISt17integral_constantIbLb1EESU_EEDaSP_SQ_EUlSP_E_NS1_11comp_targetILNS1_3genE10ELNS1_11target_archE1200ELNS1_3gpuE4ELNS1_3repE0EEENS1_30default_config_static_selectorELNS0_4arch9wavefront6targetE1EEEvT1_.kd
    .uniform_work_group_size: 1
    .uses_dynamic_stack: false
    .vgpr_count:     0
    .vgpr_spill_count: 0
    .wavefront_size: 64
  - .agpr_count:     0
    .args:
      - .offset:         0
        .size:           96
        .value_kind:     by_value
    .group_segment_fixed_size: 0
    .kernarg_segment_align: 8
    .kernarg_segment_size: 96
    .language:       OpenCL C
    .language_version:
      - 2
      - 0
    .max_flat_workgroup_size: 256
    .name:           _ZN7rocprim17ROCPRIM_400000_NS6detail17trampoline_kernelINS0_14default_configENS1_20scan_config_selectorIiEEZZNS1_9scan_implILNS1_25lookback_scan_determinismE0ELb1ELb1ES3_N6thrust23THRUST_200600_302600_NS6detail15normal_iteratorINS9_10device_ptrIiEEEESE_iNS9_4plusIiEEiEEDaPvRmT3_T4_T5_mT6_P12ihipStream_tbENKUlT_T0_E_clISt17integral_constantIbLb1EESU_EEDaSP_SQ_EUlSP_E_NS1_11comp_targetILNS1_3genE9ELNS1_11target_archE1100ELNS1_3gpuE3ELNS1_3repE0EEENS1_30default_config_static_selectorELNS0_4arch9wavefront6targetE1EEEvT1_
    .private_segment_fixed_size: 0
    .sgpr_count:     4
    .sgpr_spill_count: 0
    .symbol:         _ZN7rocprim17ROCPRIM_400000_NS6detail17trampoline_kernelINS0_14default_configENS1_20scan_config_selectorIiEEZZNS1_9scan_implILNS1_25lookback_scan_determinismE0ELb1ELb1ES3_N6thrust23THRUST_200600_302600_NS6detail15normal_iteratorINS9_10device_ptrIiEEEESE_iNS9_4plusIiEEiEEDaPvRmT3_T4_T5_mT6_P12ihipStream_tbENKUlT_T0_E_clISt17integral_constantIbLb1EESU_EEDaSP_SQ_EUlSP_E_NS1_11comp_targetILNS1_3genE9ELNS1_11target_archE1100ELNS1_3gpuE3ELNS1_3repE0EEENS1_30default_config_static_selectorELNS0_4arch9wavefront6targetE1EEEvT1_.kd
    .uniform_work_group_size: 1
    .uses_dynamic_stack: false
    .vgpr_count:     0
    .vgpr_spill_count: 0
    .wavefront_size: 64
  - .agpr_count:     0
    .args:
      - .offset:         0
        .size:           96
        .value_kind:     by_value
    .group_segment_fixed_size: 0
    .kernarg_segment_align: 8
    .kernarg_segment_size: 96
    .language:       OpenCL C
    .language_version:
      - 2
      - 0
    .max_flat_workgroup_size: 64
    .name:           _ZN7rocprim17ROCPRIM_400000_NS6detail17trampoline_kernelINS0_14default_configENS1_20scan_config_selectorIiEEZZNS1_9scan_implILNS1_25lookback_scan_determinismE0ELb1ELb1ES3_N6thrust23THRUST_200600_302600_NS6detail15normal_iteratorINS9_10device_ptrIiEEEESE_iNS9_4plusIiEEiEEDaPvRmT3_T4_T5_mT6_P12ihipStream_tbENKUlT_T0_E_clISt17integral_constantIbLb1EESU_EEDaSP_SQ_EUlSP_E_NS1_11comp_targetILNS1_3genE8ELNS1_11target_archE1030ELNS1_3gpuE2ELNS1_3repE0EEENS1_30default_config_static_selectorELNS0_4arch9wavefront6targetE1EEEvT1_
    .private_segment_fixed_size: 0
    .sgpr_count:     4
    .sgpr_spill_count: 0
    .symbol:         _ZN7rocprim17ROCPRIM_400000_NS6detail17trampoline_kernelINS0_14default_configENS1_20scan_config_selectorIiEEZZNS1_9scan_implILNS1_25lookback_scan_determinismE0ELb1ELb1ES3_N6thrust23THRUST_200600_302600_NS6detail15normal_iteratorINS9_10device_ptrIiEEEESE_iNS9_4plusIiEEiEEDaPvRmT3_T4_T5_mT6_P12ihipStream_tbENKUlT_T0_E_clISt17integral_constantIbLb1EESU_EEDaSP_SQ_EUlSP_E_NS1_11comp_targetILNS1_3genE8ELNS1_11target_archE1030ELNS1_3gpuE2ELNS1_3repE0EEENS1_30default_config_static_selectorELNS0_4arch9wavefront6targetE1EEEvT1_.kd
    .uniform_work_group_size: 1
    .uses_dynamic_stack: false
    .vgpr_count:     0
    .vgpr_spill_count: 0
    .wavefront_size: 64
  - .agpr_count:     0
    .args:
      - .offset:         0
        .size:           32
        .value_kind:     by_value
    .group_segment_fixed_size: 0
    .kernarg_segment_align: 8
    .kernarg_segment_size: 32
    .language:       OpenCL C
    .language_version:
      - 2
      - 0
    .max_flat_workgroup_size: 256
    .name:           _ZN7rocprim17ROCPRIM_400000_NS6detail17trampoline_kernelINS0_14default_configENS1_20scan_config_selectorIiEEZZNS1_9scan_implILNS1_25lookback_scan_determinismE0ELb1ELb1ES3_N6thrust23THRUST_200600_302600_NS6detail15normal_iteratorINS9_10device_ptrIiEEEESE_iNS9_4plusIiEEiEEDaPvRmT3_T4_T5_mT6_P12ihipStream_tbENKUlT_T0_E_clISt17integral_constantIbLb1EESU_EEDaSP_SQ_EUlSP_E0_NS1_11comp_targetILNS1_3genE0ELNS1_11target_archE4294967295ELNS1_3gpuE0ELNS1_3repE0EEENS1_30default_config_static_selectorELNS0_4arch9wavefront6targetE1EEEvT1_
    .private_segment_fixed_size: 0
    .sgpr_count:     4
    .sgpr_spill_count: 0
    .symbol:         _ZN7rocprim17ROCPRIM_400000_NS6detail17trampoline_kernelINS0_14default_configENS1_20scan_config_selectorIiEEZZNS1_9scan_implILNS1_25lookback_scan_determinismE0ELb1ELb1ES3_N6thrust23THRUST_200600_302600_NS6detail15normal_iteratorINS9_10device_ptrIiEEEESE_iNS9_4plusIiEEiEEDaPvRmT3_T4_T5_mT6_P12ihipStream_tbENKUlT_T0_E_clISt17integral_constantIbLb1EESU_EEDaSP_SQ_EUlSP_E0_NS1_11comp_targetILNS1_3genE0ELNS1_11target_archE4294967295ELNS1_3gpuE0ELNS1_3repE0EEENS1_30default_config_static_selectorELNS0_4arch9wavefront6targetE1EEEvT1_.kd
    .uniform_work_group_size: 1
    .uses_dynamic_stack: false
    .vgpr_count:     0
    .vgpr_spill_count: 0
    .wavefront_size: 64
  - .agpr_count:     0
    .args:
      - .offset:         0
        .size:           32
        .value_kind:     by_value
    .group_segment_fixed_size: 0
    .kernarg_segment_align: 8
    .kernarg_segment_size: 32
    .language:       OpenCL C
    .language_version:
      - 2
      - 0
    .max_flat_workgroup_size: 256
    .name:           _ZN7rocprim17ROCPRIM_400000_NS6detail17trampoline_kernelINS0_14default_configENS1_20scan_config_selectorIiEEZZNS1_9scan_implILNS1_25lookback_scan_determinismE0ELb1ELb1ES3_N6thrust23THRUST_200600_302600_NS6detail15normal_iteratorINS9_10device_ptrIiEEEESE_iNS9_4plusIiEEiEEDaPvRmT3_T4_T5_mT6_P12ihipStream_tbENKUlT_T0_E_clISt17integral_constantIbLb1EESU_EEDaSP_SQ_EUlSP_E0_NS1_11comp_targetILNS1_3genE5ELNS1_11target_archE942ELNS1_3gpuE9ELNS1_3repE0EEENS1_30default_config_static_selectorELNS0_4arch9wavefront6targetE1EEEvT1_
    .private_segment_fixed_size: 0
    .sgpr_count:     4
    .sgpr_spill_count: 0
    .symbol:         _ZN7rocprim17ROCPRIM_400000_NS6detail17trampoline_kernelINS0_14default_configENS1_20scan_config_selectorIiEEZZNS1_9scan_implILNS1_25lookback_scan_determinismE0ELb1ELb1ES3_N6thrust23THRUST_200600_302600_NS6detail15normal_iteratorINS9_10device_ptrIiEEEESE_iNS9_4plusIiEEiEEDaPvRmT3_T4_T5_mT6_P12ihipStream_tbENKUlT_T0_E_clISt17integral_constantIbLb1EESU_EEDaSP_SQ_EUlSP_E0_NS1_11comp_targetILNS1_3genE5ELNS1_11target_archE942ELNS1_3gpuE9ELNS1_3repE0EEENS1_30default_config_static_selectorELNS0_4arch9wavefront6targetE1EEEvT1_.kd
    .uniform_work_group_size: 1
    .uses_dynamic_stack: false
    .vgpr_count:     0
    .vgpr_spill_count: 0
    .wavefront_size: 64
  - .agpr_count:     0
    .args:
      - .offset:         0
        .size:           32
        .value_kind:     by_value
    .group_segment_fixed_size: 5120
    .kernarg_segment_align: 8
    .kernarg_segment_size: 32
    .language:       OpenCL C
    .language_version:
      - 2
      - 0
    .max_flat_workgroup_size: 128
    .name:           _ZN7rocprim17ROCPRIM_400000_NS6detail17trampoline_kernelINS0_14default_configENS1_20scan_config_selectorIiEEZZNS1_9scan_implILNS1_25lookback_scan_determinismE0ELb1ELb1ES3_N6thrust23THRUST_200600_302600_NS6detail15normal_iteratorINS9_10device_ptrIiEEEESE_iNS9_4plusIiEEiEEDaPvRmT3_T4_T5_mT6_P12ihipStream_tbENKUlT_T0_E_clISt17integral_constantIbLb1EESU_EEDaSP_SQ_EUlSP_E0_NS1_11comp_targetILNS1_3genE4ELNS1_11target_archE910ELNS1_3gpuE8ELNS1_3repE0EEENS1_30default_config_static_selectorELNS0_4arch9wavefront6targetE1EEEvT1_
    .private_segment_fixed_size: 0
    .sgpr_count:     29
    .sgpr_spill_count: 0
    .symbol:         _ZN7rocprim17ROCPRIM_400000_NS6detail17trampoline_kernelINS0_14default_configENS1_20scan_config_selectorIiEEZZNS1_9scan_implILNS1_25lookback_scan_determinismE0ELb1ELb1ES3_N6thrust23THRUST_200600_302600_NS6detail15normal_iteratorINS9_10device_ptrIiEEEESE_iNS9_4plusIiEEiEEDaPvRmT3_T4_T5_mT6_P12ihipStream_tbENKUlT_T0_E_clISt17integral_constantIbLb1EESU_EEDaSP_SQ_EUlSP_E0_NS1_11comp_targetILNS1_3genE4ELNS1_11target_archE910ELNS1_3gpuE8ELNS1_3repE0EEENS1_30default_config_static_selectorELNS0_4arch9wavefront6targetE1EEEvT1_.kd
    .uniform_work_group_size: 1
    .uses_dynamic_stack: false
    .vgpr_count:     18
    .vgpr_spill_count: 0
    .wavefront_size: 64
  - .agpr_count:     0
    .args:
      - .offset:         0
        .size:           32
        .value_kind:     by_value
    .group_segment_fixed_size: 0
    .kernarg_segment_align: 8
    .kernarg_segment_size: 32
    .language:       OpenCL C
    .language_version:
      - 2
      - 0
    .max_flat_workgroup_size: 256
    .name:           _ZN7rocprim17ROCPRIM_400000_NS6detail17trampoline_kernelINS0_14default_configENS1_20scan_config_selectorIiEEZZNS1_9scan_implILNS1_25lookback_scan_determinismE0ELb1ELb1ES3_N6thrust23THRUST_200600_302600_NS6detail15normal_iteratorINS9_10device_ptrIiEEEESE_iNS9_4plusIiEEiEEDaPvRmT3_T4_T5_mT6_P12ihipStream_tbENKUlT_T0_E_clISt17integral_constantIbLb1EESU_EEDaSP_SQ_EUlSP_E0_NS1_11comp_targetILNS1_3genE3ELNS1_11target_archE908ELNS1_3gpuE7ELNS1_3repE0EEENS1_30default_config_static_selectorELNS0_4arch9wavefront6targetE1EEEvT1_
    .private_segment_fixed_size: 0
    .sgpr_count:     4
    .sgpr_spill_count: 0
    .symbol:         _ZN7rocprim17ROCPRIM_400000_NS6detail17trampoline_kernelINS0_14default_configENS1_20scan_config_selectorIiEEZZNS1_9scan_implILNS1_25lookback_scan_determinismE0ELb1ELb1ES3_N6thrust23THRUST_200600_302600_NS6detail15normal_iteratorINS9_10device_ptrIiEEEESE_iNS9_4plusIiEEiEEDaPvRmT3_T4_T5_mT6_P12ihipStream_tbENKUlT_T0_E_clISt17integral_constantIbLb1EESU_EEDaSP_SQ_EUlSP_E0_NS1_11comp_targetILNS1_3genE3ELNS1_11target_archE908ELNS1_3gpuE7ELNS1_3repE0EEENS1_30default_config_static_selectorELNS0_4arch9wavefront6targetE1EEEvT1_.kd
    .uniform_work_group_size: 1
    .uses_dynamic_stack: false
    .vgpr_count:     0
    .vgpr_spill_count: 0
    .wavefront_size: 64
  - .agpr_count:     0
    .args:
      - .offset:         0
        .size:           32
        .value_kind:     by_value
    .group_segment_fixed_size: 0
    .kernarg_segment_align: 8
    .kernarg_segment_size: 32
    .language:       OpenCL C
    .language_version:
      - 2
      - 0
    .max_flat_workgroup_size: 256
    .name:           _ZN7rocprim17ROCPRIM_400000_NS6detail17trampoline_kernelINS0_14default_configENS1_20scan_config_selectorIiEEZZNS1_9scan_implILNS1_25lookback_scan_determinismE0ELb1ELb1ES3_N6thrust23THRUST_200600_302600_NS6detail15normal_iteratorINS9_10device_ptrIiEEEESE_iNS9_4plusIiEEiEEDaPvRmT3_T4_T5_mT6_P12ihipStream_tbENKUlT_T0_E_clISt17integral_constantIbLb1EESU_EEDaSP_SQ_EUlSP_E0_NS1_11comp_targetILNS1_3genE2ELNS1_11target_archE906ELNS1_3gpuE6ELNS1_3repE0EEENS1_30default_config_static_selectorELNS0_4arch9wavefront6targetE1EEEvT1_
    .private_segment_fixed_size: 0
    .sgpr_count:     4
    .sgpr_spill_count: 0
    .symbol:         _ZN7rocprim17ROCPRIM_400000_NS6detail17trampoline_kernelINS0_14default_configENS1_20scan_config_selectorIiEEZZNS1_9scan_implILNS1_25lookback_scan_determinismE0ELb1ELb1ES3_N6thrust23THRUST_200600_302600_NS6detail15normal_iteratorINS9_10device_ptrIiEEEESE_iNS9_4plusIiEEiEEDaPvRmT3_T4_T5_mT6_P12ihipStream_tbENKUlT_T0_E_clISt17integral_constantIbLb1EESU_EEDaSP_SQ_EUlSP_E0_NS1_11comp_targetILNS1_3genE2ELNS1_11target_archE906ELNS1_3gpuE6ELNS1_3repE0EEENS1_30default_config_static_selectorELNS0_4arch9wavefront6targetE1EEEvT1_.kd
    .uniform_work_group_size: 1
    .uses_dynamic_stack: false
    .vgpr_count:     0
    .vgpr_spill_count: 0
    .wavefront_size: 64
  - .agpr_count:     0
    .args:
      - .offset:         0
        .size:           32
        .value_kind:     by_value
    .group_segment_fixed_size: 0
    .kernarg_segment_align: 8
    .kernarg_segment_size: 32
    .language:       OpenCL C
    .language_version:
      - 2
      - 0
    .max_flat_workgroup_size: 256
    .name:           _ZN7rocprim17ROCPRIM_400000_NS6detail17trampoline_kernelINS0_14default_configENS1_20scan_config_selectorIiEEZZNS1_9scan_implILNS1_25lookback_scan_determinismE0ELb1ELb1ES3_N6thrust23THRUST_200600_302600_NS6detail15normal_iteratorINS9_10device_ptrIiEEEESE_iNS9_4plusIiEEiEEDaPvRmT3_T4_T5_mT6_P12ihipStream_tbENKUlT_T0_E_clISt17integral_constantIbLb1EESU_EEDaSP_SQ_EUlSP_E0_NS1_11comp_targetILNS1_3genE10ELNS1_11target_archE1201ELNS1_3gpuE5ELNS1_3repE0EEENS1_30default_config_static_selectorELNS0_4arch9wavefront6targetE1EEEvT1_
    .private_segment_fixed_size: 0
    .sgpr_count:     4
    .sgpr_spill_count: 0
    .symbol:         _ZN7rocprim17ROCPRIM_400000_NS6detail17trampoline_kernelINS0_14default_configENS1_20scan_config_selectorIiEEZZNS1_9scan_implILNS1_25lookback_scan_determinismE0ELb1ELb1ES3_N6thrust23THRUST_200600_302600_NS6detail15normal_iteratorINS9_10device_ptrIiEEEESE_iNS9_4plusIiEEiEEDaPvRmT3_T4_T5_mT6_P12ihipStream_tbENKUlT_T0_E_clISt17integral_constantIbLb1EESU_EEDaSP_SQ_EUlSP_E0_NS1_11comp_targetILNS1_3genE10ELNS1_11target_archE1201ELNS1_3gpuE5ELNS1_3repE0EEENS1_30default_config_static_selectorELNS0_4arch9wavefront6targetE1EEEvT1_.kd
    .uniform_work_group_size: 1
    .uses_dynamic_stack: false
    .vgpr_count:     0
    .vgpr_spill_count: 0
    .wavefront_size: 64
  - .agpr_count:     0
    .args:
      - .offset:         0
        .size:           32
        .value_kind:     by_value
    .group_segment_fixed_size: 0
    .kernarg_segment_align: 8
    .kernarg_segment_size: 32
    .language:       OpenCL C
    .language_version:
      - 2
      - 0
    .max_flat_workgroup_size: 256
    .name:           _ZN7rocprim17ROCPRIM_400000_NS6detail17trampoline_kernelINS0_14default_configENS1_20scan_config_selectorIiEEZZNS1_9scan_implILNS1_25lookback_scan_determinismE0ELb1ELb1ES3_N6thrust23THRUST_200600_302600_NS6detail15normal_iteratorINS9_10device_ptrIiEEEESE_iNS9_4plusIiEEiEEDaPvRmT3_T4_T5_mT6_P12ihipStream_tbENKUlT_T0_E_clISt17integral_constantIbLb1EESU_EEDaSP_SQ_EUlSP_E0_NS1_11comp_targetILNS1_3genE10ELNS1_11target_archE1200ELNS1_3gpuE4ELNS1_3repE0EEENS1_30default_config_static_selectorELNS0_4arch9wavefront6targetE1EEEvT1_
    .private_segment_fixed_size: 0
    .sgpr_count:     4
    .sgpr_spill_count: 0
    .symbol:         _ZN7rocprim17ROCPRIM_400000_NS6detail17trampoline_kernelINS0_14default_configENS1_20scan_config_selectorIiEEZZNS1_9scan_implILNS1_25lookback_scan_determinismE0ELb1ELb1ES3_N6thrust23THRUST_200600_302600_NS6detail15normal_iteratorINS9_10device_ptrIiEEEESE_iNS9_4plusIiEEiEEDaPvRmT3_T4_T5_mT6_P12ihipStream_tbENKUlT_T0_E_clISt17integral_constantIbLb1EESU_EEDaSP_SQ_EUlSP_E0_NS1_11comp_targetILNS1_3genE10ELNS1_11target_archE1200ELNS1_3gpuE4ELNS1_3repE0EEENS1_30default_config_static_selectorELNS0_4arch9wavefront6targetE1EEEvT1_.kd
    .uniform_work_group_size: 1
    .uses_dynamic_stack: false
    .vgpr_count:     0
    .vgpr_spill_count: 0
    .wavefront_size: 64
  - .agpr_count:     0
    .args:
      - .offset:         0
        .size:           32
        .value_kind:     by_value
    .group_segment_fixed_size: 0
    .kernarg_segment_align: 8
    .kernarg_segment_size: 32
    .language:       OpenCL C
    .language_version:
      - 2
      - 0
    .max_flat_workgroup_size: 256
    .name:           _ZN7rocprim17ROCPRIM_400000_NS6detail17trampoline_kernelINS0_14default_configENS1_20scan_config_selectorIiEEZZNS1_9scan_implILNS1_25lookback_scan_determinismE0ELb1ELb1ES3_N6thrust23THRUST_200600_302600_NS6detail15normal_iteratorINS9_10device_ptrIiEEEESE_iNS9_4plusIiEEiEEDaPvRmT3_T4_T5_mT6_P12ihipStream_tbENKUlT_T0_E_clISt17integral_constantIbLb1EESU_EEDaSP_SQ_EUlSP_E0_NS1_11comp_targetILNS1_3genE9ELNS1_11target_archE1100ELNS1_3gpuE3ELNS1_3repE0EEENS1_30default_config_static_selectorELNS0_4arch9wavefront6targetE1EEEvT1_
    .private_segment_fixed_size: 0
    .sgpr_count:     4
    .sgpr_spill_count: 0
    .symbol:         _ZN7rocprim17ROCPRIM_400000_NS6detail17trampoline_kernelINS0_14default_configENS1_20scan_config_selectorIiEEZZNS1_9scan_implILNS1_25lookback_scan_determinismE0ELb1ELb1ES3_N6thrust23THRUST_200600_302600_NS6detail15normal_iteratorINS9_10device_ptrIiEEEESE_iNS9_4plusIiEEiEEDaPvRmT3_T4_T5_mT6_P12ihipStream_tbENKUlT_T0_E_clISt17integral_constantIbLb1EESU_EEDaSP_SQ_EUlSP_E0_NS1_11comp_targetILNS1_3genE9ELNS1_11target_archE1100ELNS1_3gpuE3ELNS1_3repE0EEENS1_30default_config_static_selectorELNS0_4arch9wavefront6targetE1EEEvT1_.kd
    .uniform_work_group_size: 1
    .uses_dynamic_stack: false
    .vgpr_count:     0
    .vgpr_spill_count: 0
    .wavefront_size: 64
  - .agpr_count:     0
    .args:
      - .offset:         0
        .size:           32
        .value_kind:     by_value
    .group_segment_fixed_size: 0
    .kernarg_segment_align: 8
    .kernarg_segment_size: 32
    .language:       OpenCL C
    .language_version:
      - 2
      - 0
    .max_flat_workgroup_size: 64
    .name:           _ZN7rocprim17ROCPRIM_400000_NS6detail17trampoline_kernelINS0_14default_configENS1_20scan_config_selectorIiEEZZNS1_9scan_implILNS1_25lookback_scan_determinismE0ELb1ELb1ES3_N6thrust23THRUST_200600_302600_NS6detail15normal_iteratorINS9_10device_ptrIiEEEESE_iNS9_4plusIiEEiEEDaPvRmT3_T4_T5_mT6_P12ihipStream_tbENKUlT_T0_E_clISt17integral_constantIbLb1EESU_EEDaSP_SQ_EUlSP_E0_NS1_11comp_targetILNS1_3genE8ELNS1_11target_archE1030ELNS1_3gpuE2ELNS1_3repE0EEENS1_30default_config_static_selectorELNS0_4arch9wavefront6targetE1EEEvT1_
    .private_segment_fixed_size: 0
    .sgpr_count:     4
    .sgpr_spill_count: 0
    .symbol:         _ZN7rocprim17ROCPRIM_400000_NS6detail17trampoline_kernelINS0_14default_configENS1_20scan_config_selectorIiEEZZNS1_9scan_implILNS1_25lookback_scan_determinismE0ELb1ELb1ES3_N6thrust23THRUST_200600_302600_NS6detail15normal_iteratorINS9_10device_ptrIiEEEESE_iNS9_4plusIiEEiEEDaPvRmT3_T4_T5_mT6_P12ihipStream_tbENKUlT_T0_E_clISt17integral_constantIbLb1EESU_EEDaSP_SQ_EUlSP_E0_NS1_11comp_targetILNS1_3genE8ELNS1_11target_archE1030ELNS1_3gpuE2ELNS1_3repE0EEENS1_30default_config_static_selectorELNS0_4arch9wavefront6targetE1EEEvT1_.kd
    .uniform_work_group_size: 1
    .uses_dynamic_stack: false
    .vgpr_count:     0
    .vgpr_spill_count: 0
    .wavefront_size: 64
  - .agpr_count:     0
    .args:
      - .offset:         0
        .size:           96
        .value_kind:     by_value
    .group_segment_fixed_size: 0
    .kernarg_segment_align: 8
    .kernarg_segment_size: 96
    .language:       OpenCL C
    .language_version:
      - 2
      - 0
    .max_flat_workgroup_size: 256
    .name:           _ZN7rocprim17ROCPRIM_400000_NS6detail17trampoline_kernelINS0_14default_configENS1_20scan_config_selectorIiEEZZNS1_9scan_implILNS1_25lookback_scan_determinismE0ELb1ELb1ES3_N6thrust23THRUST_200600_302600_NS6detail15normal_iteratorINS9_10device_ptrIiEEEESE_iNS9_4plusIiEEiEEDaPvRmT3_T4_T5_mT6_P12ihipStream_tbENKUlT_T0_E_clISt17integral_constantIbLb1EEST_IbLb0EEEEDaSP_SQ_EUlSP_E_NS1_11comp_targetILNS1_3genE0ELNS1_11target_archE4294967295ELNS1_3gpuE0ELNS1_3repE0EEENS1_30default_config_static_selectorELNS0_4arch9wavefront6targetE1EEEvT1_
    .private_segment_fixed_size: 0
    .sgpr_count:     4
    .sgpr_spill_count: 0
    .symbol:         _ZN7rocprim17ROCPRIM_400000_NS6detail17trampoline_kernelINS0_14default_configENS1_20scan_config_selectorIiEEZZNS1_9scan_implILNS1_25lookback_scan_determinismE0ELb1ELb1ES3_N6thrust23THRUST_200600_302600_NS6detail15normal_iteratorINS9_10device_ptrIiEEEESE_iNS9_4plusIiEEiEEDaPvRmT3_T4_T5_mT6_P12ihipStream_tbENKUlT_T0_E_clISt17integral_constantIbLb1EEST_IbLb0EEEEDaSP_SQ_EUlSP_E_NS1_11comp_targetILNS1_3genE0ELNS1_11target_archE4294967295ELNS1_3gpuE0ELNS1_3repE0EEENS1_30default_config_static_selectorELNS0_4arch9wavefront6targetE1EEEvT1_.kd
    .uniform_work_group_size: 1
    .uses_dynamic_stack: false
    .vgpr_count:     0
    .vgpr_spill_count: 0
    .wavefront_size: 64
  - .agpr_count:     0
    .args:
      - .offset:         0
        .size:           96
        .value_kind:     by_value
    .group_segment_fixed_size: 0
    .kernarg_segment_align: 8
    .kernarg_segment_size: 96
    .language:       OpenCL C
    .language_version:
      - 2
      - 0
    .max_flat_workgroup_size: 256
    .name:           _ZN7rocprim17ROCPRIM_400000_NS6detail17trampoline_kernelINS0_14default_configENS1_20scan_config_selectorIiEEZZNS1_9scan_implILNS1_25lookback_scan_determinismE0ELb1ELb1ES3_N6thrust23THRUST_200600_302600_NS6detail15normal_iteratorINS9_10device_ptrIiEEEESE_iNS9_4plusIiEEiEEDaPvRmT3_T4_T5_mT6_P12ihipStream_tbENKUlT_T0_E_clISt17integral_constantIbLb1EEST_IbLb0EEEEDaSP_SQ_EUlSP_E_NS1_11comp_targetILNS1_3genE5ELNS1_11target_archE942ELNS1_3gpuE9ELNS1_3repE0EEENS1_30default_config_static_selectorELNS0_4arch9wavefront6targetE1EEEvT1_
    .private_segment_fixed_size: 0
    .sgpr_count:     4
    .sgpr_spill_count: 0
    .symbol:         _ZN7rocprim17ROCPRIM_400000_NS6detail17trampoline_kernelINS0_14default_configENS1_20scan_config_selectorIiEEZZNS1_9scan_implILNS1_25lookback_scan_determinismE0ELb1ELb1ES3_N6thrust23THRUST_200600_302600_NS6detail15normal_iteratorINS9_10device_ptrIiEEEESE_iNS9_4plusIiEEiEEDaPvRmT3_T4_T5_mT6_P12ihipStream_tbENKUlT_T0_E_clISt17integral_constantIbLb1EEST_IbLb0EEEEDaSP_SQ_EUlSP_E_NS1_11comp_targetILNS1_3genE5ELNS1_11target_archE942ELNS1_3gpuE9ELNS1_3repE0EEENS1_30default_config_static_selectorELNS0_4arch9wavefront6targetE1EEEvT1_.kd
    .uniform_work_group_size: 1
    .uses_dynamic_stack: false
    .vgpr_count:     0
    .vgpr_spill_count: 0
    .wavefront_size: 64
  - .agpr_count:     0
    .args:
      - .offset:         0
        .size:           96
        .value_kind:     by_value
    .group_segment_fixed_size: 5120
    .kernarg_segment_align: 8
    .kernarg_segment_size: 96
    .language:       OpenCL C
    .language_version:
      - 2
      - 0
    .max_flat_workgroup_size: 128
    .name:           _ZN7rocprim17ROCPRIM_400000_NS6detail17trampoline_kernelINS0_14default_configENS1_20scan_config_selectorIiEEZZNS1_9scan_implILNS1_25lookback_scan_determinismE0ELb1ELb1ES3_N6thrust23THRUST_200600_302600_NS6detail15normal_iteratorINS9_10device_ptrIiEEEESE_iNS9_4plusIiEEiEEDaPvRmT3_T4_T5_mT6_P12ihipStream_tbENKUlT_T0_E_clISt17integral_constantIbLb1EEST_IbLb0EEEEDaSP_SQ_EUlSP_E_NS1_11comp_targetILNS1_3genE4ELNS1_11target_archE910ELNS1_3gpuE8ELNS1_3repE0EEENS1_30default_config_static_selectorELNS0_4arch9wavefront6targetE1EEEvT1_
    .private_segment_fixed_size: 0
    .sgpr_count:     36
    .sgpr_spill_count: 0
    .symbol:         _ZN7rocprim17ROCPRIM_400000_NS6detail17trampoline_kernelINS0_14default_configENS1_20scan_config_selectorIiEEZZNS1_9scan_implILNS1_25lookback_scan_determinismE0ELb1ELb1ES3_N6thrust23THRUST_200600_302600_NS6detail15normal_iteratorINS9_10device_ptrIiEEEESE_iNS9_4plusIiEEiEEDaPvRmT3_T4_T5_mT6_P12ihipStream_tbENKUlT_T0_E_clISt17integral_constantIbLb1EEST_IbLb0EEEEDaSP_SQ_EUlSP_E_NS1_11comp_targetILNS1_3genE4ELNS1_11target_archE910ELNS1_3gpuE8ELNS1_3repE0EEENS1_30default_config_static_selectorELNS0_4arch9wavefront6targetE1EEEvT1_.kd
    .uniform_work_group_size: 1
    .uses_dynamic_stack: false
    .vgpr_count:     41
    .vgpr_spill_count: 0
    .wavefront_size: 64
  - .agpr_count:     0
    .args:
      - .offset:         0
        .size:           96
        .value_kind:     by_value
    .group_segment_fixed_size: 0
    .kernarg_segment_align: 8
    .kernarg_segment_size: 96
    .language:       OpenCL C
    .language_version:
      - 2
      - 0
    .max_flat_workgroup_size: 256
    .name:           _ZN7rocprim17ROCPRIM_400000_NS6detail17trampoline_kernelINS0_14default_configENS1_20scan_config_selectorIiEEZZNS1_9scan_implILNS1_25lookback_scan_determinismE0ELb1ELb1ES3_N6thrust23THRUST_200600_302600_NS6detail15normal_iteratorINS9_10device_ptrIiEEEESE_iNS9_4plusIiEEiEEDaPvRmT3_T4_T5_mT6_P12ihipStream_tbENKUlT_T0_E_clISt17integral_constantIbLb1EEST_IbLb0EEEEDaSP_SQ_EUlSP_E_NS1_11comp_targetILNS1_3genE3ELNS1_11target_archE908ELNS1_3gpuE7ELNS1_3repE0EEENS1_30default_config_static_selectorELNS0_4arch9wavefront6targetE1EEEvT1_
    .private_segment_fixed_size: 0
    .sgpr_count:     4
    .sgpr_spill_count: 0
    .symbol:         _ZN7rocprim17ROCPRIM_400000_NS6detail17trampoline_kernelINS0_14default_configENS1_20scan_config_selectorIiEEZZNS1_9scan_implILNS1_25lookback_scan_determinismE0ELb1ELb1ES3_N6thrust23THRUST_200600_302600_NS6detail15normal_iteratorINS9_10device_ptrIiEEEESE_iNS9_4plusIiEEiEEDaPvRmT3_T4_T5_mT6_P12ihipStream_tbENKUlT_T0_E_clISt17integral_constantIbLb1EEST_IbLb0EEEEDaSP_SQ_EUlSP_E_NS1_11comp_targetILNS1_3genE3ELNS1_11target_archE908ELNS1_3gpuE7ELNS1_3repE0EEENS1_30default_config_static_selectorELNS0_4arch9wavefront6targetE1EEEvT1_.kd
    .uniform_work_group_size: 1
    .uses_dynamic_stack: false
    .vgpr_count:     0
    .vgpr_spill_count: 0
    .wavefront_size: 64
  - .agpr_count:     0
    .args:
      - .offset:         0
        .size:           96
        .value_kind:     by_value
    .group_segment_fixed_size: 0
    .kernarg_segment_align: 8
    .kernarg_segment_size: 96
    .language:       OpenCL C
    .language_version:
      - 2
      - 0
    .max_flat_workgroup_size: 256
    .name:           _ZN7rocprim17ROCPRIM_400000_NS6detail17trampoline_kernelINS0_14default_configENS1_20scan_config_selectorIiEEZZNS1_9scan_implILNS1_25lookback_scan_determinismE0ELb1ELb1ES3_N6thrust23THRUST_200600_302600_NS6detail15normal_iteratorINS9_10device_ptrIiEEEESE_iNS9_4plusIiEEiEEDaPvRmT3_T4_T5_mT6_P12ihipStream_tbENKUlT_T0_E_clISt17integral_constantIbLb1EEST_IbLb0EEEEDaSP_SQ_EUlSP_E_NS1_11comp_targetILNS1_3genE2ELNS1_11target_archE906ELNS1_3gpuE6ELNS1_3repE0EEENS1_30default_config_static_selectorELNS0_4arch9wavefront6targetE1EEEvT1_
    .private_segment_fixed_size: 0
    .sgpr_count:     4
    .sgpr_spill_count: 0
    .symbol:         _ZN7rocprim17ROCPRIM_400000_NS6detail17trampoline_kernelINS0_14default_configENS1_20scan_config_selectorIiEEZZNS1_9scan_implILNS1_25lookback_scan_determinismE0ELb1ELb1ES3_N6thrust23THRUST_200600_302600_NS6detail15normal_iteratorINS9_10device_ptrIiEEEESE_iNS9_4plusIiEEiEEDaPvRmT3_T4_T5_mT6_P12ihipStream_tbENKUlT_T0_E_clISt17integral_constantIbLb1EEST_IbLb0EEEEDaSP_SQ_EUlSP_E_NS1_11comp_targetILNS1_3genE2ELNS1_11target_archE906ELNS1_3gpuE6ELNS1_3repE0EEENS1_30default_config_static_selectorELNS0_4arch9wavefront6targetE1EEEvT1_.kd
    .uniform_work_group_size: 1
    .uses_dynamic_stack: false
    .vgpr_count:     0
    .vgpr_spill_count: 0
    .wavefront_size: 64
  - .agpr_count:     0
    .args:
      - .offset:         0
        .size:           96
        .value_kind:     by_value
    .group_segment_fixed_size: 0
    .kernarg_segment_align: 8
    .kernarg_segment_size: 96
    .language:       OpenCL C
    .language_version:
      - 2
      - 0
    .max_flat_workgroup_size: 256
    .name:           _ZN7rocprim17ROCPRIM_400000_NS6detail17trampoline_kernelINS0_14default_configENS1_20scan_config_selectorIiEEZZNS1_9scan_implILNS1_25lookback_scan_determinismE0ELb1ELb1ES3_N6thrust23THRUST_200600_302600_NS6detail15normal_iteratorINS9_10device_ptrIiEEEESE_iNS9_4plusIiEEiEEDaPvRmT3_T4_T5_mT6_P12ihipStream_tbENKUlT_T0_E_clISt17integral_constantIbLb1EEST_IbLb0EEEEDaSP_SQ_EUlSP_E_NS1_11comp_targetILNS1_3genE10ELNS1_11target_archE1201ELNS1_3gpuE5ELNS1_3repE0EEENS1_30default_config_static_selectorELNS0_4arch9wavefront6targetE1EEEvT1_
    .private_segment_fixed_size: 0
    .sgpr_count:     4
    .sgpr_spill_count: 0
    .symbol:         _ZN7rocprim17ROCPRIM_400000_NS6detail17trampoline_kernelINS0_14default_configENS1_20scan_config_selectorIiEEZZNS1_9scan_implILNS1_25lookback_scan_determinismE0ELb1ELb1ES3_N6thrust23THRUST_200600_302600_NS6detail15normal_iteratorINS9_10device_ptrIiEEEESE_iNS9_4plusIiEEiEEDaPvRmT3_T4_T5_mT6_P12ihipStream_tbENKUlT_T0_E_clISt17integral_constantIbLb1EEST_IbLb0EEEEDaSP_SQ_EUlSP_E_NS1_11comp_targetILNS1_3genE10ELNS1_11target_archE1201ELNS1_3gpuE5ELNS1_3repE0EEENS1_30default_config_static_selectorELNS0_4arch9wavefront6targetE1EEEvT1_.kd
    .uniform_work_group_size: 1
    .uses_dynamic_stack: false
    .vgpr_count:     0
    .vgpr_spill_count: 0
    .wavefront_size: 64
  - .agpr_count:     0
    .args:
      - .offset:         0
        .size:           96
        .value_kind:     by_value
    .group_segment_fixed_size: 0
    .kernarg_segment_align: 8
    .kernarg_segment_size: 96
    .language:       OpenCL C
    .language_version:
      - 2
      - 0
    .max_flat_workgroup_size: 256
    .name:           _ZN7rocprim17ROCPRIM_400000_NS6detail17trampoline_kernelINS0_14default_configENS1_20scan_config_selectorIiEEZZNS1_9scan_implILNS1_25lookback_scan_determinismE0ELb1ELb1ES3_N6thrust23THRUST_200600_302600_NS6detail15normal_iteratorINS9_10device_ptrIiEEEESE_iNS9_4plusIiEEiEEDaPvRmT3_T4_T5_mT6_P12ihipStream_tbENKUlT_T0_E_clISt17integral_constantIbLb1EEST_IbLb0EEEEDaSP_SQ_EUlSP_E_NS1_11comp_targetILNS1_3genE10ELNS1_11target_archE1200ELNS1_3gpuE4ELNS1_3repE0EEENS1_30default_config_static_selectorELNS0_4arch9wavefront6targetE1EEEvT1_
    .private_segment_fixed_size: 0
    .sgpr_count:     4
    .sgpr_spill_count: 0
    .symbol:         _ZN7rocprim17ROCPRIM_400000_NS6detail17trampoline_kernelINS0_14default_configENS1_20scan_config_selectorIiEEZZNS1_9scan_implILNS1_25lookback_scan_determinismE0ELb1ELb1ES3_N6thrust23THRUST_200600_302600_NS6detail15normal_iteratorINS9_10device_ptrIiEEEESE_iNS9_4plusIiEEiEEDaPvRmT3_T4_T5_mT6_P12ihipStream_tbENKUlT_T0_E_clISt17integral_constantIbLb1EEST_IbLb0EEEEDaSP_SQ_EUlSP_E_NS1_11comp_targetILNS1_3genE10ELNS1_11target_archE1200ELNS1_3gpuE4ELNS1_3repE0EEENS1_30default_config_static_selectorELNS0_4arch9wavefront6targetE1EEEvT1_.kd
    .uniform_work_group_size: 1
    .uses_dynamic_stack: false
    .vgpr_count:     0
    .vgpr_spill_count: 0
    .wavefront_size: 64
  - .agpr_count:     0
    .args:
      - .offset:         0
        .size:           96
        .value_kind:     by_value
    .group_segment_fixed_size: 0
    .kernarg_segment_align: 8
    .kernarg_segment_size: 96
    .language:       OpenCL C
    .language_version:
      - 2
      - 0
    .max_flat_workgroup_size: 256
    .name:           _ZN7rocprim17ROCPRIM_400000_NS6detail17trampoline_kernelINS0_14default_configENS1_20scan_config_selectorIiEEZZNS1_9scan_implILNS1_25lookback_scan_determinismE0ELb1ELb1ES3_N6thrust23THRUST_200600_302600_NS6detail15normal_iteratorINS9_10device_ptrIiEEEESE_iNS9_4plusIiEEiEEDaPvRmT3_T4_T5_mT6_P12ihipStream_tbENKUlT_T0_E_clISt17integral_constantIbLb1EEST_IbLb0EEEEDaSP_SQ_EUlSP_E_NS1_11comp_targetILNS1_3genE9ELNS1_11target_archE1100ELNS1_3gpuE3ELNS1_3repE0EEENS1_30default_config_static_selectorELNS0_4arch9wavefront6targetE1EEEvT1_
    .private_segment_fixed_size: 0
    .sgpr_count:     4
    .sgpr_spill_count: 0
    .symbol:         _ZN7rocprim17ROCPRIM_400000_NS6detail17trampoline_kernelINS0_14default_configENS1_20scan_config_selectorIiEEZZNS1_9scan_implILNS1_25lookback_scan_determinismE0ELb1ELb1ES3_N6thrust23THRUST_200600_302600_NS6detail15normal_iteratorINS9_10device_ptrIiEEEESE_iNS9_4plusIiEEiEEDaPvRmT3_T4_T5_mT6_P12ihipStream_tbENKUlT_T0_E_clISt17integral_constantIbLb1EEST_IbLb0EEEEDaSP_SQ_EUlSP_E_NS1_11comp_targetILNS1_3genE9ELNS1_11target_archE1100ELNS1_3gpuE3ELNS1_3repE0EEENS1_30default_config_static_selectorELNS0_4arch9wavefront6targetE1EEEvT1_.kd
    .uniform_work_group_size: 1
    .uses_dynamic_stack: false
    .vgpr_count:     0
    .vgpr_spill_count: 0
    .wavefront_size: 64
  - .agpr_count:     0
    .args:
      - .offset:         0
        .size:           96
        .value_kind:     by_value
    .group_segment_fixed_size: 0
    .kernarg_segment_align: 8
    .kernarg_segment_size: 96
    .language:       OpenCL C
    .language_version:
      - 2
      - 0
    .max_flat_workgroup_size: 64
    .name:           _ZN7rocprim17ROCPRIM_400000_NS6detail17trampoline_kernelINS0_14default_configENS1_20scan_config_selectorIiEEZZNS1_9scan_implILNS1_25lookback_scan_determinismE0ELb1ELb1ES3_N6thrust23THRUST_200600_302600_NS6detail15normal_iteratorINS9_10device_ptrIiEEEESE_iNS9_4plusIiEEiEEDaPvRmT3_T4_T5_mT6_P12ihipStream_tbENKUlT_T0_E_clISt17integral_constantIbLb1EEST_IbLb0EEEEDaSP_SQ_EUlSP_E_NS1_11comp_targetILNS1_3genE8ELNS1_11target_archE1030ELNS1_3gpuE2ELNS1_3repE0EEENS1_30default_config_static_selectorELNS0_4arch9wavefront6targetE1EEEvT1_
    .private_segment_fixed_size: 0
    .sgpr_count:     4
    .sgpr_spill_count: 0
    .symbol:         _ZN7rocprim17ROCPRIM_400000_NS6detail17trampoline_kernelINS0_14default_configENS1_20scan_config_selectorIiEEZZNS1_9scan_implILNS1_25lookback_scan_determinismE0ELb1ELb1ES3_N6thrust23THRUST_200600_302600_NS6detail15normal_iteratorINS9_10device_ptrIiEEEESE_iNS9_4plusIiEEiEEDaPvRmT3_T4_T5_mT6_P12ihipStream_tbENKUlT_T0_E_clISt17integral_constantIbLb1EEST_IbLb0EEEEDaSP_SQ_EUlSP_E_NS1_11comp_targetILNS1_3genE8ELNS1_11target_archE1030ELNS1_3gpuE2ELNS1_3repE0EEENS1_30default_config_static_selectorELNS0_4arch9wavefront6targetE1EEEvT1_.kd
    .uniform_work_group_size: 1
    .uses_dynamic_stack: false
    .vgpr_count:     0
    .vgpr_spill_count: 0
    .wavefront_size: 64
  - .agpr_count:     0
    .args:
      - .offset:         0
        .size:           32
        .value_kind:     by_value
    .group_segment_fixed_size: 0
    .kernarg_segment_align: 8
    .kernarg_segment_size: 32
    .language:       OpenCL C
    .language_version:
      - 2
      - 0
    .max_flat_workgroup_size: 256
    .name:           _ZN7rocprim17ROCPRIM_400000_NS6detail17trampoline_kernelINS0_14default_configENS1_20scan_config_selectorIiEEZZNS1_9scan_implILNS1_25lookback_scan_determinismE0ELb1ELb1ES3_N6thrust23THRUST_200600_302600_NS6detail15normal_iteratorINS9_10device_ptrIiEEEESE_iNS9_4plusIiEEiEEDaPvRmT3_T4_T5_mT6_P12ihipStream_tbENKUlT_T0_E_clISt17integral_constantIbLb1EEST_IbLb0EEEEDaSP_SQ_EUlSP_E0_NS1_11comp_targetILNS1_3genE0ELNS1_11target_archE4294967295ELNS1_3gpuE0ELNS1_3repE0EEENS1_30default_config_static_selectorELNS0_4arch9wavefront6targetE1EEEvT1_
    .private_segment_fixed_size: 0
    .sgpr_count:     4
    .sgpr_spill_count: 0
    .symbol:         _ZN7rocprim17ROCPRIM_400000_NS6detail17trampoline_kernelINS0_14default_configENS1_20scan_config_selectorIiEEZZNS1_9scan_implILNS1_25lookback_scan_determinismE0ELb1ELb1ES3_N6thrust23THRUST_200600_302600_NS6detail15normal_iteratorINS9_10device_ptrIiEEEESE_iNS9_4plusIiEEiEEDaPvRmT3_T4_T5_mT6_P12ihipStream_tbENKUlT_T0_E_clISt17integral_constantIbLb1EEST_IbLb0EEEEDaSP_SQ_EUlSP_E0_NS1_11comp_targetILNS1_3genE0ELNS1_11target_archE4294967295ELNS1_3gpuE0ELNS1_3repE0EEENS1_30default_config_static_selectorELNS0_4arch9wavefront6targetE1EEEvT1_.kd
    .uniform_work_group_size: 1
    .uses_dynamic_stack: false
    .vgpr_count:     0
    .vgpr_spill_count: 0
    .wavefront_size: 64
  - .agpr_count:     0
    .args:
      - .offset:         0
        .size:           32
        .value_kind:     by_value
    .group_segment_fixed_size: 0
    .kernarg_segment_align: 8
    .kernarg_segment_size: 32
    .language:       OpenCL C
    .language_version:
      - 2
      - 0
    .max_flat_workgroup_size: 256
    .name:           _ZN7rocprim17ROCPRIM_400000_NS6detail17trampoline_kernelINS0_14default_configENS1_20scan_config_selectorIiEEZZNS1_9scan_implILNS1_25lookback_scan_determinismE0ELb1ELb1ES3_N6thrust23THRUST_200600_302600_NS6detail15normal_iteratorINS9_10device_ptrIiEEEESE_iNS9_4plusIiEEiEEDaPvRmT3_T4_T5_mT6_P12ihipStream_tbENKUlT_T0_E_clISt17integral_constantIbLb1EEST_IbLb0EEEEDaSP_SQ_EUlSP_E0_NS1_11comp_targetILNS1_3genE5ELNS1_11target_archE942ELNS1_3gpuE9ELNS1_3repE0EEENS1_30default_config_static_selectorELNS0_4arch9wavefront6targetE1EEEvT1_
    .private_segment_fixed_size: 0
    .sgpr_count:     4
    .sgpr_spill_count: 0
    .symbol:         _ZN7rocprim17ROCPRIM_400000_NS6detail17trampoline_kernelINS0_14default_configENS1_20scan_config_selectorIiEEZZNS1_9scan_implILNS1_25lookback_scan_determinismE0ELb1ELb1ES3_N6thrust23THRUST_200600_302600_NS6detail15normal_iteratorINS9_10device_ptrIiEEEESE_iNS9_4plusIiEEiEEDaPvRmT3_T4_T5_mT6_P12ihipStream_tbENKUlT_T0_E_clISt17integral_constantIbLb1EEST_IbLb0EEEEDaSP_SQ_EUlSP_E0_NS1_11comp_targetILNS1_3genE5ELNS1_11target_archE942ELNS1_3gpuE9ELNS1_3repE0EEENS1_30default_config_static_selectorELNS0_4arch9wavefront6targetE1EEEvT1_.kd
    .uniform_work_group_size: 1
    .uses_dynamic_stack: false
    .vgpr_count:     0
    .vgpr_spill_count: 0
    .wavefront_size: 64
  - .agpr_count:     0
    .args:
      - .offset:         0
        .size:           32
        .value_kind:     by_value
    .group_segment_fixed_size: 5120
    .kernarg_segment_align: 8
    .kernarg_segment_size: 32
    .language:       OpenCL C
    .language_version:
      - 2
      - 0
    .max_flat_workgroup_size: 128
    .name:           _ZN7rocprim17ROCPRIM_400000_NS6detail17trampoline_kernelINS0_14default_configENS1_20scan_config_selectorIiEEZZNS1_9scan_implILNS1_25lookback_scan_determinismE0ELb1ELb1ES3_N6thrust23THRUST_200600_302600_NS6detail15normal_iteratorINS9_10device_ptrIiEEEESE_iNS9_4plusIiEEiEEDaPvRmT3_T4_T5_mT6_P12ihipStream_tbENKUlT_T0_E_clISt17integral_constantIbLb1EEST_IbLb0EEEEDaSP_SQ_EUlSP_E0_NS1_11comp_targetILNS1_3genE4ELNS1_11target_archE910ELNS1_3gpuE8ELNS1_3repE0EEENS1_30default_config_static_selectorELNS0_4arch9wavefront6targetE1EEEvT1_
    .private_segment_fixed_size: 0
    .sgpr_count:     29
    .sgpr_spill_count: 0
    .symbol:         _ZN7rocprim17ROCPRIM_400000_NS6detail17trampoline_kernelINS0_14default_configENS1_20scan_config_selectorIiEEZZNS1_9scan_implILNS1_25lookback_scan_determinismE0ELb1ELb1ES3_N6thrust23THRUST_200600_302600_NS6detail15normal_iteratorINS9_10device_ptrIiEEEESE_iNS9_4plusIiEEiEEDaPvRmT3_T4_T5_mT6_P12ihipStream_tbENKUlT_T0_E_clISt17integral_constantIbLb1EEST_IbLb0EEEEDaSP_SQ_EUlSP_E0_NS1_11comp_targetILNS1_3genE4ELNS1_11target_archE910ELNS1_3gpuE8ELNS1_3repE0EEENS1_30default_config_static_selectorELNS0_4arch9wavefront6targetE1EEEvT1_.kd
    .uniform_work_group_size: 1
    .uses_dynamic_stack: false
    .vgpr_count:     18
    .vgpr_spill_count: 0
    .wavefront_size: 64
  - .agpr_count:     0
    .args:
      - .offset:         0
        .size:           32
        .value_kind:     by_value
    .group_segment_fixed_size: 0
    .kernarg_segment_align: 8
    .kernarg_segment_size: 32
    .language:       OpenCL C
    .language_version:
      - 2
      - 0
    .max_flat_workgroup_size: 256
    .name:           _ZN7rocprim17ROCPRIM_400000_NS6detail17trampoline_kernelINS0_14default_configENS1_20scan_config_selectorIiEEZZNS1_9scan_implILNS1_25lookback_scan_determinismE0ELb1ELb1ES3_N6thrust23THRUST_200600_302600_NS6detail15normal_iteratorINS9_10device_ptrIiEEEESE_iNS9_4plusIiEEiEEDaPvRmT3_T4_T5_mT6_P12ihipStream_tbENKUlT_T0_E_clISt17integral_constantIbLb1EEST_IbLb0EEEEDaSP_SQ_EUlSP_E0_NS1_11comp_targetILNS1_3genE3ELNS1_11target_archE908ELNS1_3gpuE7ELNS1_3repE0EEENS1_30default_config_static_selectorELNS0_4arch9wavefront6targetE1EEEvT1_
    .private_segment_fixed_size: 0
    .sgpr_count:     4
    .sgpr_spill_count: 0
    .symbol:         _ZN7rocprim17ROCPRIM_400000_NS6detail17trampoline_kernelINS0_14default_configENS1_20scan_config_selectorIiEEZZNS1_9scan_implILNS1_25lookback_scan_determinismE0ELb1ELb1ES3_N6thrust23THRUST_200600_302600_NS6detail15normal_iteratorINS9_10device_ptrIiEEEESE_iNS9_4plusIiEEiEEDaPvRmT3_T4_T5_mT6_P12ihipStream_tbENKUlT_T0_E_clISt17integral_constantIbLb1EEST_IbLb0EEEEDaSP_SQ_EUlSP_E0_NS1_11comp_targetILNS1_3genE3ELNS1_11target_archE908ELNS1_3gpuE7ELNS1_3repE0EEENS1_30default_config_static_selectorELNS0_4arch9wavefront6targetE1EEEvT1_.kd
    .uniform_work_group_size: 1
    .uses_dynamic_stack: false
    .vgpr_count:     0
    .vgpr_spill_count: 0
    .wavefront_size: 64
  - .agpr_count:     0
    .args:
      - .offset:         0
        .size:           32
        .value_kind:     by_value
    .group_segment_fixed_size: 0
    .kernarg_segment_align: 8
    .kernarg_segment_size: 32
    .language:       OpenCL C
    .language_version:
      - 2
      - 0
    .max_flat_workgroup_size: 256
    .name:           _ZN7rocprim17ROCPRIM_400000_NS6detail17trampoline_kernelINS0_14default_configENS1_20scan_config_selectorIiEEZZNS1_9scan_implILNS1_25lookback_scan_determinismE0ELb1ELb1ES3_N6thrust23THRUST_200600_302600_NS6detail15normal_iteratorINS9_10device_ptrIiEEEESE_iNS9_4plusIiEEiEEDaPvRmT3_T4_T5_mT6_P12ihipStream_tbENKUlT_T0_E_clISt17integral_constantIbLb1EEST_IbLb0EEEEDaSP_SQ_EUlSP_E0_NS1_11comp_targetILNS1_3genE2ELNS1_11target_archE906ELNS1_3gpuE6ELNS1_3repE0EEENS1_30default_config_static_selectorELNS0_4arch9wavefront6targetE1EEEvT1_
    .private_segment_fixed_size: 0
    .sgpr_count:     4
    .sgpr_spill_count: 0
    .symbol:         _ZN7rocprim17ROCPRIM_400000_NS6detail17trampoline_kernelINS0_14default_configENS1_20scan_config_selectorIiEEZZNS1_9scan_implILNS1_25lookback_scan_determinismE0ELb1ELb1ES3_N6thrust23THRUST_200600_302600_NS6detail15normal_iteratorINS9_10device_ptrIiEEEESE_iNS9_4plusIiEEiEEDaPvRmT3_T4_T5_mT6_P12ihipStream_tbENKUlT_T0_E_clISt17integral_constantIbLb1EEST_IbLb0EEEEDaSP_SQ_EUlSP_E0_NS1_11comp_targetILNS1_3genE2ELNS1_11target_archE906ELNS1_3gpuE6ELNS1_3repE0EEENS1_30default_config_static_selectorELNS0_4arch9wavefront6targetE1EEEvT1_.kd
    .uniform_work_group_size: 1
    .uses_dynamic_stack: false
    .vgpr_count:     0
    .vgpr_spill_count: 0
    .wavefront_size: 64
  - .agpr_count:     0
    .args:
      - .offset:         0
        .size:           32
        .value_kind:     by_value
    .group_segment_fixed_size: 0
    .kernarg_segment_align: 8
    .kernarg_segment_size: 32
    .language:       OpenCL C
    .language_version:
      - 2
      - 0
    .max_flat_workgroup_size: 256
    .name:           _ZN7rocprim17ROCPRIM_400000_NS6detail17trampoline_kernelINS0_14default_configENS1_20scan_config_selectorIiEEZZNS1_9scan_implILNS1_25lookback_scan_determinismE0ELb1ELb1ES3_N6thrust23THRUST_200600_302600_NS6detail15normal_iteratorINS9_10device_ptrIiEEEESE_iNS9_4plusIiEEiEEDaPvRmT3_T4_T5_mT6_P12ihipStream_tbENKUlT_T0_E_clISt17integral_constantIbLb1EEST_IbLb0EEEEDaSP_SQ_EUlSP_E0_NS1_11comp_targetILNS1_3genE10ELNS1_11target_archE1201ELNS1_3gpuE5ELNS1_3repE0EEENS1_30default_config_static_selectorELNS0_4arch9wavefront6targetE1EEEvT1_
    .private_segment_fixed_size: 0
    .sgpr_count:     4
    .sgpr_spill_count: 0
    .symbol:         _ZN7rocprim17ROCPRIM_400000_NS6detail17trampoline_kernelINS0_14default_configENS1_20scan_config_selectorIiEEZZNS1_9scan_implILNS1_25lookback_scan_determinismE0ELb1ELb1ES3_N6thrust23THRUST_200600_302600_NS6detail15normal_iteratorINS9_10device_ptrIiEEEESE_iNS9_4plusIiEEiEEDaPvRmT3_T4_T5_mT6_P12ihipStream_tbENKUlT_T0_E_clISt17integral_constantIbLb1EEST_IbLb0EEEEDaSP_SQ_EUlSP_E0_NS1_11comp_targetILNS1_3genE10ELNS1_11target_archE1201ELNS1_3gpuE5ELNS1_3repE0EEENS1_30default_config_static_selectorELNS0_4arch9wavefront6targetE1EEEvT1_.kd
    .uniform_work_group_size: 1
    .uses_dynamic_stack: false
    .vgpr_count:     0
    .vgpr_spill_count: 0
    .wavefront_size: 64
  - .agpr_count:     0
    .args:
      - .offset:         0
        .size:           32
        .value_kind:     by_value
    .group_segment_fixed_size: 0
    .kernarg_segment_align: 8
    .kernarg_segment_size: 32
    .language:       OpenCL C
    .language_version:
      - 2
      - 0
    .max_flat_workgroup_size: 256
    .name:           _ZN7rocprim17ROCPRIM_400000_NS6detail17trampoline_kernelINS0_14default_configENS1_20scan_config_selectorIiEEZZNS1_9scan_implILNS1_25lookback_scan_determinismE0ELb1ELb1ES3_N6thrust23THRUST_200600_302600_NS6detail15normal_iteratorINS9_10device_ptrIiEEEESE_iNS9_4plusIiEEiEEDaPvRmT3_T4_T5_mT6_P12ihipStream_tbENKUlT_T0_E_clISt17integral_constantIbLb1EEST_IbLb0EEEEDaSP_SQ_EUlSP_E0_NS1_11comp_targetILNS1_3genE10ELNS1_11target_archE1200ELNS1_3gpuE4ELNS1_3repE0EEENS1_30default_config_static_selectorELNS0_4arch9wavefront6targetE1EEEvT1_
    .private_segment_fixed_size: 0
    .sgpr_count:     4
    .sgpr_spill_count: 0
    .symbol:         _ZN7rocprim17ROCPRIM_400000_NS6detail17trampoline_kernelINS0_14default_configENS1_20scan_config_selectorIiEEZZNS1_9scan_implILNS1_25lookback_scan_determinismE0ELb1ELb1ES3_N6thrust23THRUST_200600_302600_NS6detail15normal_iteratorINS9_10device_ptrIiEEEESE_iNS9_4plusIiEEiEEDaPvRmT3_T4_T5_mT6_P12ihipStream_tbENKUlT_T0_E_clISt17integral_constantIbLb1EEST_IbLb0EEEEDaSP_SQ_EUlSP_E0_NS1_11comp_targetILNS1_3genE10ELNS1_11target_archE1200ELNS1_3gpuE4ELNS1_3repE0EEENS1_30default_config_static_selectorELNS0_4arch9wavefront6targetE1EEEvT1_.kd
    .uniform_work_group_size: 1
    .uses_dynamic_stack: false
    .vgpr_count:     0
    .vgpr_spill_count: 0
    .wavefront_size: 64
  - .agpr_count:     0
    .args:
      - .offset:         0
        .size:           32
        .value_kind:     by_value
    .group_segment_fixed_size: 0
    .kernarg_segment_align: 8
    .kernarg_segment_size: 32
    .language:       OpenCL C
    .language_version:
      - 2
      - 0
    .max_flat_workgroup_size: 256
    .name:           _ZN7rocprim17ROCPRIM_400000_NS6detail17trampoline_kernelINS0_14default_configENS1_20scan_config_selectorIiEEZZNS1_9scan_implILNS1_25lookback_scan_determinismE0ELb1ELb1ES3_N6thrust23THRUST_200600_302600_NS6detail15normal_iteratorINS9_10device_ptrIiEEEESE_iNS9_4plusIiEEiEEDaPvRmT3_T4_T5_mT6_P12ihipStream_tbENKUlT_T0_E_clISt17integral_constantIbLb1EEST_IbLb0EEEEDaSP_SQ_EUlSP_E0_NS1_11comp_targetILNS1_3genE9ELNS1_11target_archE1100ELNS1_3gpuE3ELNS1_3repE0EEENS1_30default_config_static_selectorELNS0_4arch9wavefront6targetE1EEEvT1_
    .private_segment_fixed_size: 0
    .sgpr_count:     4
    .sgpr_spill_count: 0
    .symbol:         _ZN7rocprim17ROCPRIM_400000_NS6detail17trampoline_kernelINS0_14default_configENS1_20scan_config_selectorIiEEZZNS1_9scan_implILNS1_25lookback_scan_determinismE0ELb1ELb1ES3_N6thrust23THRUST_200600_302600_NS6detail15normal_iteratorINS9_10device_ptrIiEEEESE_iNS9_4plusIiEEiEEDaPvRmT3_T4_T5_mT6_P12ihipStream_tbENKUlT_T0_E_clISt17integral_constantIbLb1EEST_IbLb0EEEEDaSP_SQ_EUlSP_E0_NS1_11comp_targetILNS1_3genE9ELNS1_11target_archE1100ELNS1_3gpuE3ELNS1_3repE0EEENS1_30default_config_static_selectorELNS0_4arch9wavefront6targetE1EEEvT1_.kd
    .uniform_work_group_size: 1
    .uses_dynamic_stack: false
    .vgpr_count:     0
    .vgpr_spill_count: 0
    .wavefront_size: 64
  - .agpr_count:     0
    .args:
      - .offset:         0
        .size:           32
        .value_kind:     by_value
    .group_segment_fixed_size: 0
    .kernarg_segment_align: 8
    .kernarg_segment_size: 32
    .language:       OpenCL C
    .language_version:
      - 2
      - 0
    .max_flat_workgroup_size: 64
    .name:           _ZN7rocprim17ROCPRIM_400000_NS6detail17trampoline_kernelINS0_14default_configENS1_20scan_config_selectorIiEEZZNS1_9scan_implILNS1_25lookback_scan_determinismE0ELb1ELb1ES3_N6thrust23THRUST_200600_302600_NS6detail15normal_iteratorINS9_10device_ptrIiEEEESE_iNS9_4plusIiEEiEEDaPvRmT3_T4_T5_mT6_P12ihipStream_tbENKUlT_T0_E_clISt17integral_constantIbLb1EEST_IbLb0EEEEDaSP_SQ_EUlSP_E0_NS1_11comp_targetILNS1_3genE8ELNS1_11target_archE1030ELNS1_3gpuE2ELNS1_3repE0EEENS1_30default_config_static_selectorELNS0_4arch9wavefront6targetE1EEEvT1_
    .private_segment_fixed_size: 0
    .sgpr_count:     4
    .sgpr_spill_count: 0
    .symbol:         _ZN7rocprim17ROCPRIM_400000_NS6detail17trampoline_kernelINS0_14default_configENS1_20scan_config_selectorIiEEZZNS1_9scan_implILNS1_25lookback_scan_determinismE0ELb1ELb1ES3_N6thrust23THRUST_200600_302600_NS6detail15normal_iteratorINS9_10device_ptrIiEEEESE_iNS9_4plusIiEEiEEDaPvRmT3_T4_T5_mT6_P12ihipStream_tbENKUlT_T0_E_clISt17integral_constantIbLb1EEST_IbLb0EEEEDaSP_SQ_EUlSP_E0_NS1_11comp_targetILNS1_3genE8ELNS1_11target_archE1030ELNS1_3gpuE2ELNS1_3repE0EEENS1_30default_config_static_selectorELNS0_4arch9wavefront6targetE1EEEvT1_.kd
    .uniform_work_group_size: 1
    .uses_dynamic_stack: false
    .vgpr_count:     0
    .vgpr_spill_count: 0
    .wavefront_size: 64
  - .agpr_count:     0
    .args:
      - .offset:         0
        .size:           96
        .value_kind:     by_value
    .group_segment_fixed_size: 0
    .kernarg_segment_align: 8
    .kernarg_segment_size: 96
    .language:       OpenCL C
    .language_version:
      - 2
      - 0
    .max_flat_workgroup_size: 256
    .name:           _ZN7rocprim17ROCPRIM_400000_NS6detail17trampoline_kernelINS0_14default_configENS1_20scan_config_selectorIiEEZZNS1_9scan_implILNS1_25lookback_scan_determinismE0ELb1ELb1ES3_N6thrust23THRUST_200600_302600_NS6detail15normal_iteratorINS9_10device_ptrIiEEEESE_iNS9_4plusIiEEiEEDaPvRmT3_T4_T5_mT6_P12ihipStream_tbENKUlT_T0_E_clISt17integral_constantIbLb0EEST_IbLb1EEEEDaSP_SQ_EUlSP_E_NS1_11comp_targetILNS1_3genE0ELNS1_11target_archE4294967295ELNS1_3gpuE0ELNS1_3repE0EEENS1_30default_config_static_selectorELNS0_4arch9wavefront6targetE1EEEvT1_
    .private_segment_fixed_size: 0
    .sgpr_count:     4
    .sgpr_spill_count: 0
    .symbol:         _ZN7rocprim17ROCPRIM_400000_NS6detail17trampoline_kernelINS0_14default_configENS1_20scan_config_selectorIiEEZZNS1_9scan_implILNS1_25lookback_scan_determinismE0ELb1ELb1ES3_N6thrust23THRUST_200600_302600_NS6detail15normal_iteratorINS9_10device_ptrIiEEEESE_iNS9_4plusIiEEiEEDaPvRmT3_T4_T5_mT6_P12ihipStream_tbENKUlT_T0_E_clISt17integral_constantIbLb0EEST_IbLb1EEEEDaSP_SQ_EUlSP_E_NS1_11comp_targetILNS1_3genE0ELNS1_11target_archE4294967295ELNS1_3gpuE0ELNS1_3repE0EEENS1_30default_config_static_selectorELNS0_4arch9wavefront6targetE1EEEvT1_.kd
    .uniform_work_group_size: 1
    .uses_dynamic_stack: false
    .vgpr_count:     0
    .vgpr_spill_count: 0
    .wavefront_size: 64
  - .agpr_count:     0
    .args:
      - .offset:         0
        .size:           96
        .value_kind:     by_value
    .group_segment_fixed_size: 0
    .kernarg_segment_align: 8
    .kernarg_segment_size: 96
    .language:       OpenCL C
    .language_version:
      - 2
      - 0
    .max_flat_workgroup_size: 256
    .name:           _ZN7rocprim17ROCPRIM_400000_NS6detail17trampoline_kernelINS0_14default_configENS1_20scan_config_selectorIiEEZZNS1_9scan_implILNS1_25lookback_scan_determinismE0ELb1ELb1ES3_N6thrust23THRUST_200600_302600_NS6detail15normal_iteratorINS9_10device_ptrIiEEEESE_iNS9_4plusIiEEiEEDaPvRmT3_T4_T5_mT6_P12ihipStream_tbENKUlT_T0_E_clISt17integral_constantIbLb0EEST_IbLb1EEEEDaSP_SQ_EUlSP_E_NS1_11comp_targetILNS1_3genE5ELNS1_11target_archE942ELNS1_3gpuE9ELNS1_3repE0EEENS1_30default_config_static_selectorELNS0_4arch9wavefront6targetE1EEEvT1_
    .private_segment_fixed_size: 0
    .sgpr_count:     4
    .sgpr_spill_count: 0
    .symbol:         _ZN7rocprim17ROCPRIM_400000_NS6detail17trampoline_kernelINS0_14default_configENS1_20scan_config_selectorIiEEZZNS1_9scan_implILNS1_25lookback_scan_determinismE0ELb1ELb1ES3_N6thrust23THRUST_200600_302600_NS6detail15normal_iteratorINS9_10device_ptrIiEEEESE_iNS9_4plusIiEEiEEDaPvRmT3_T4_T5_mT6_P12ihipStream_tbENKUlT_T0_E_clISt17integral_constantIbLb0EEST_IbLb1EEEEDaSP_SQ_EUlSP_E_NS1_11comp_targetILNS1_3genE5ELNS1_11target_archE942ELNS1_3gpuE9ELNS1_3repE0EEENS1_30default_config_static_selectorELNS0_4arch9wavefront6targetE1EEEvT1_.kd
    .uniform_work_group_size: 1
    .uses_dynamic_stack: false
    .vgpr_count:     0
    .vgpr_spill_count: 0
    .wavefront_size: 64
  - .agpr_count:     0
    .args:
      - .offset:         0
        .size:           96
        .value_kind:     by_value
    .group_segment_fixed_size: 5120
    .kernarg_segment_align: 8
    .kernarg_segment_size: 96
    .language:       OpenCL C
    .language_version:
      - 2
      - 0
    .max_flat_workgroup_size: 128
    .name:           _ZN7rocprim17ROCPRIM_400000_NS6detail17trampoline_kernelINS0_14default_configENS1_20scan_config_selectorIiEEZZNS1_9scan_implILNS1_25lookback_scan_determinismE0ELb1ELb1ES3_N6thrust23THRUST_200600_302600_NS6detail15normal_iteratorINS9_10device_ptrIiEEEESE_iNS9_4plusIiEEiEEDaPvRmT3_T4_T5_mT6_P12ihipStream_tbENKUlT_T0_E_clISt17integral_constantIbLb0EEST_IbLb1EEEEDaSP_SQ_EUlSP_E_NS1_11comp_targetILNS1_3genE4ELNS1_11target_archE910ELNS1_3gpuE8ELNS1_3repE0EEENS1_30default_config_static_selectorELNS0_4arch9wavefront6targetE1EEEvT1_
    .private_segment_fixed_size: 0
    .sgpr_count:     44
    .sgpr_spill_count: 0
    .symbol:         _ZN7rocprim17ROCPRIM_400000_NS6detail17trampoline_kernelINS0_14default_configENS1_20scan_config_selectorIiEEZZNS1_9scan_implILNS1_25lookback_scan_determinismE0ELb1ELb1ES3_N6thrust23THRUST_200600_302600_NS6detail15normal_iteratorINS9_10device_ptrIiEEEESE_iNS9_4plusIiEEiEEDaPvRmT3_T4_T5_mT6_P12ihipStream_tbENKUlT_T0_E_clISt17integral_constantIbLb0EEST_IbLb1EEEEDaSP_SQ_EUlSP_E_NS1_11comp_targetILNS1_3genE4ELNS1_11target_archE910ELNS1_3gpuE8ELNS1_3repE0EEENS1_30default_config_static_selectorELNS0_4arch9wavefront6targetE1EEEvT1_.kd
    .uniform_work_group_size: 1
    .uses_dynamic_stack: false
    .vgpr_count:     41
    .vgpr_spill_count: 0
    .wavefront_size: 64
  - .agpr_count:     0
    .args:
      - .offset:         0
        .size:           96
        .value_kind:     by_value
    .group_segment_fixed_size: 0
    .kernarg_segment_align: 8
    .kernarg_segment_size: 96
    .language:       OpenCL C
    .language_version:
      - 2
      - 0
    .max_flat_workgroup_size: 256
    .name:           _ZN7rocprim17ROCPRIM_400000_NS6detail17trampoline_kernelINS0_14default_configENS1_20scan_config_selectorIiEEZZNS1_9scan_implILNS1_25lookback_scan_determinismE0ELb1ELb1ES3_N6thrust23THRUST_200600_302600_NS6detail15normal_iteratorINS9_10device_ptrIiEEEESE_iNS9_4plusIiEEiEEDaPvRmT3_T4_T5_mT6_P12ihipStream_tbENKUlT_T0_E_clISt17integral_constantIbLb0EEST_IbLb1EEEEDaSP_SQ_EUlSP_E_NS1_11comp_targetILNS1_3genE3ELNS1_11target_archE908ELNS1_3gpuE7ELNS1_3repE0EEENS1_30default_config_static_selectorELNS0_4arch9wavefront6targetE1EEEvT1_
    .private_segment_fixed_size: 0
    .sgpr_count:     4
    .sgpr_spill_count: 0
    .symbol:         _ZN7rocprim17ROCPRIM_400000_NS6detail17trampoline_kernelINS0_14default_configENS1_20scan_config_selectorIiEEZZNS1_9scan_implILNS1_25lookback_scan_determinismE0ELb1ELb1ES3_N6thrust23THRUST_200600_302600_NS6detail15normal_iteratorINS9_10device_ptrIiEEEESE_iNS9_4plusIiEEiEEDaPvRmT3_T4_T5_mT6_P12ihipStream_tbENKUlT_T0_E_clISt17integral_constantIbLb0EEST_IbLb1EEEEDaSP_SQ_EUlSP_E_NS1_11comp_targetILNS1_3genE3ELNS1_11target_archE908ELNS1_3gpuE7ELNS1_3repE0EEENS1_30default_config_static_selectorELNS0_4arch9wavefront6targetE1EEEvT1_.kd
    .uniform_work_group_size: 1
    .uses_dynamic_stack: false
    .vgpr_count:     0
    .vgpr_spill_count: 0
    .wavefront_size: 64
  - .agpr_count:     0
    .args:
      - .offset:         0
        .size:           96
        .value_kind:     by_value
    .group_segment_fixed_size: 0
    .kernarg_segment_align: 8
    .kernarg_segment_size: 96
    .language:       OpenCL C
    .language_version:
      - 2
      - 0
    .max_flat_workgroup_size: 256
    .name:           _ZN7rocprim17ROCPRIM_400000_NS6detail17trampoline_kernelINS0_14default_configENS1_20scan_config_selectorIiEEZZNS1_9scan_implILNS1_25lookback_scan_determinismE0ELb1ELb1ES3_N6thrust23THRUST_200600_302600_NS6detail15normal_iteratorINS9_10device_ptrIiEEEESE_iNS9_4plusIiEEiEEDaPvRmT3_T4_T5_mT6_P12ihipStream_tbENKUlT_T0_E_clISt17integral_constantIbLb0EEST_IbLb1EEEEDaSP_SQ_EUlSP_E_NS1_11comp_targetILNS1_3genE2ELNS1_11target_archE906ELNS1_3gpuE6ELNS1_3repE0EEENS1_30default_config_static_selectorELNS0_4arch9wavefront6targetE1EEEvT1_
    .private_segment_fixed_size: 0
    .sgpr_count:     4
    .sgpr_spill_count: 0
    .symbol:         _ZN7rocprim17ROCPRIM_400000_NS6detail17trampoline_kernelINS0_14default_configENS1_20scan_config_selectorIiEEZZNS1_9scan_implILNS1_25lookback_scan_determinismE0ELb1ELb1ES3_N6thrust23THRUST_200600_302600_NS6detail15normal_iteratorINS9_10device_ptrIiEEEESE_iNS9_4plusIiEEiEEDaPvRmT3_T4_T5_mT6_P12ihipStream_tbENKUlT_T0_E_clISt17integral_constantIbLb0EEST_IbLb1EEEEDaSP_SQ_EUlSP_E_NS1_11comp_targetILNS1_3genE2ELNS1_11target_archE906ELNS1_3gpuE6ELNS1_3repE0EEENS1_30default_config_static_selectorELNS0_4arch9wavefront6targetE1EEEvT1_.kd
    .uniform_work_group_size: 1
    .uses_dynamic_stack: false
    .vgpr_count:     0
    .vgpr_spill_count: 0
    .wavefront_size: 64
  - .agpr_count:     0
    .args:
      - .offset:         0
        .size:           96
        .value_kind:     by_value
    .group_segment_fixed_size: 0
    .kernarg_segment_align: 8
    .kernarg_segment_size: 96
    .language:       OpenCL C
    .language_version:
      - 2
      - 0
    .max_flat_workgroup_size: 256
    .name:           _ZN7rocprim17ROCPRIM_400000_NS6detail17trampoline_kernelINS0_14default_configENS1_20scan_config_selectorIiEEZZNS1_9scan_implILNS1_25lookback_scan_determinismE0ELb1ELb1ES3_N6thrust23THRUST_200600_302600_NS6detail15normal_iteratorINS9_10device_ptrIiEEEESE_iNS9_4plusIiEEiEEDaPvRmT3_T4_T5_mT6_P12ihipStream_tbENKUlT_T0_E_clISt17integral_constantIbLb0EEST_IbLb1EEEEDaSP_SQ_EUlSP_E_NS1_11comp_targetILNS1_3genE10ELNS1_11target_archE1201ELNS1_3gpuE5ELNS1_3repE0EEENS1_30default_config_static_selectorELNS0_4arch9wavefront6targetE1EEEvT1_
    .private_segment_fixed_size: 0
    .sgpr_count:     4
    .sgpr_spill_count: 0
    .symbol:         _ZN7rocprim17ROCPRIM_400000_NS6detail17trampoline_kernelINS0_14default_configENS1_20scan_config_selectorIiEEZZNS1_9scan_implILNS1_25lookback_scan_determinismE0ELb1ELb1ES3_N6thrust23THRUST_200600_302600_NS6detail15normal_iteratorINS9_10device_ptrIiEEEESE_iNS9_4plusIiEEiEEDaPvRmT3_T4_T5_mT6_P12ihipStream_tbENKUlT_T0_E_clISt17integral_constantIbLb0EEST_IbLb1EEEEDaSP_SQ_EUlSP_E_NS1_11comp_targetILNS1_3genE10ELNS1_11target_archE1201ELNS1_3gpuE5ELNS1_3repE0EEENS1_30default_config_static_selectorELNS0_4arch9wavefront6targetE1EEEvT1_.kd
    .uniform_work_group_size: 1
    .uses_dynamic_stack: false
    .vgpr_count:     0
    .vgpr_spill_count: 0
    .wavefront_size: 64
  - .agpr_count:     0
    .args:
      - .offset:         0
        .size:           96
        .value_kind:     by_value
    .group_segment_fixed_size: 0
    .kernarg_segment_align: 8
    .kernarg_segment_size: 96
    .language:       OpenCL C
    .language_version:
      - 2
      - 0
    .max_flat_workgroup_size: 256
    .name:           _ZN7rocprim17ROCPRIM_400000_NS6detail17trampoline_kernelINS0_14default_configENS1_20scan_config_selectorIiEEZZNS1_9scan_implILNS1_25lookback_scan_determinismE0ELb1ELb1ES3_N6thrust23THRUST_200600_302600_NS6detail15normal_iteratorINS9_10device_ptrIiEEEESE_iNS9_4plusIiEEiEEDaPvRmT3_T4_T5_mT6_P12ihipStream_tbENKUlT_T0_E_clISt17integral_constantIbLb0EEST_IbLb1EEEEDaSP_SQ_EUlSP_E_NS1_11comp_targetILNS1_3genE10ELNS1_11target_archE1200ELNS1_3gpuE4ELNS1_3repE0EEENS1_30default_config_static_selectorELNS0_4arch9wavefront6targetE1EEEvT1_
    .private_segment_fixed_size: 0
    .sgpr_count:     4
    .sgpr_spill_count: 0
    .symbol:         _ZN7rocprim17ROCPRIM_400000_NS6detail17trampoline_kernelINS0_14default_configENS1_20scan_config_selectorIiEEZZNS1_9scan_implILNS1_25lookback_scan_determinismE0ELb1ELb1ES3_N6thrust23THRUST_200600_302600_NS6detail15normal_iteratorINS9_10device_ptrIiEEEESE_iNS9_4plusIiEEiEEDaPvRmT3_T4_T5_mT6_P12ihipStream_tbENKUlT_T0_E_clISt17integral_constantIbLb0EEST_IbLb1EEEEDaSP_SQ_EUlSP_E_NS1_11comp_targetILNS1_3genE10ELNS1_11target_archE1200ELNS1_3gpuE4ELNS1_3repE0EEENS1_30default_config_static_selectorELNS0_4arch9wavefront6targetE1EEEvT1_.kd
    .uniform_work_group_size: 1
    .uses_dynamic_stack: false
    .vgpr_count:     0
    .vgpr_spill_count: 0
    .wavefront_size: 64
  - .agpr_count:     0
    .args:
      - .offset:         0
        .size:           96
        .value_kind:     by_value
    .group_segment_fixed_size: 0
    .kernarg_segment_align: 8
    .kernarg_segment_size: 96
    .language:       OpenCL C
    .language_version:
      - 2
      - 0
    .max_flat_workgroup_size: 256
    .name:           _ZN7rocprim17ROCPRIM_400000_NS6detail17trampoline_kernelINS0_14default_configENS1_20scan_config_selectorIiEEZZNS1_9scan_implILNS1_25lookback_scan_determinismE0ELb1ELb1ES3_N6thrust23THRUST_200600_302600_NS6detail15normal_iteratorINS9_10device_ptrIiEEEESE_iNS9_4plusIiEEiEEDaPvRmT3_T4_T5_mT6_P12ihipStream_tbENKUlT_T0_E_clISt17integral_constantIbLb0EEST_IbLb1EEEEDaSP_SQ_EUlSP_E_NS1_11comp_targetILNS1_3genE9ELNS1_11target_archE1100ELNS1_3gpuE3ELNS1_3repE0EEENS1_30default_config_static_selectorELNS0_4arch9wavefront6targetE1EEEvT1_
    .private_segment_fixed_size: 0
    .sgpr_count:     4
    .sgpr_spill_count: 0
    .symbol:         _ZN7rocprim17ROCPRIM_400000_NS6detail17trampoline_kernelINS0_14default_configENS1_20scan_config_selectorIiEEZZNS1_9scan_implILNS1_25lookback_scan_determinismE0ELb1ELb1ES3_N6thrust23THRUST_200600_302600_NS6detail15normal_iteratorINS9_10device_ptrIiEEEESE_iNS9_4plusIiEEiEEDaPvRmT3_T4_T5_mT6_P12ihipStream_tbENKUlT_T0_E_clISt17integral_constantIbLb0EEST_IbLb1EEEEDaSP_SQ_EUlSP_E_NS1_11comp_targetILNS1_3genE9ELNS1_11target_archE1100ELNS1_3gpuE3ELNS1_3repE0EEENS1_30default_config_static_selectorELNS0_4arch9wavefront6targetE1EEEvT1_.kd
    .uniform_work_group_size: 1
    .uses_dynamic_stack: false
    .vgpr_count:     0
    .vgpr_spill_count: 0
    .wavefront_size: 64
  - .agpr_count:     0
    .args:
      - .offset:         0
        .size:           96
        .value_kind:     by_value
    .group_segment_fixed_size: 0
    .kernarg_segment_align: 8
    .kernarg_segment_size: 96
    .language:       OpenCL C
    .language_version:
      - 2
      - 0
    .max_flat_workgroup_size: 64
    .name:           _ZN7rocprim17ROCPRIM_400000_NS6detail17trampoline_kernelINS0_14default_configENS1_20scan_config_selectorIiEEZZNS1_9scan_implILNS1_25lookback_scan_determinismE0ELb1ELb1ES3_N6thrust23THRUST_200600_302600_NS6detail15normal_iteratorINS9_10device_ptrIiEEEESE_iNS9_4plusIiEEiEEDaPvRmT3_T4_T5_mT6_P12ihipStream_tbENKUlT_T0_E_clISt17integral_constantIbLb0EEST_IbLb1EEEEDaSP_SQ_EUlSP_E_NS1_11comp_targetILNS1_3genE8ELNS1_11target_archE1030ELNS1_3gpuE2ELNS1_3repE0EEENS1_30default_config_static_selectorELNS0_4arch9wavefront6targetE1EEEvT1_
    .private_segment_fixed_size: 0
    .sgpr_count:     4
    .sgpr_spill_count: 0
    .symbol:         _ZN7rocprim17ROCPRIM_400000_NS6detail17trampoline_kernelINS0_14default_configENS1_20scan_config_selectorIiEEZZNS1_9scan_implILNS1_25lookback_scan_determinismE0ELb1ELb1ES3_N6thrust23THRUST_200600_302600_NS6detail15normal_iteratorINS9_10device_ptrIiEEEESE_iNS9_4plusIiEEiEEDaPvRmT3_T4_T5_mT6_P12ihipStream_tbENKUlT_T0_E_clISt17integral_constantIbLb0EEST_IbLb1EEEEDaSP_SQ_EUlSP_E_NS1_11comp_targetILNS1_3genE8ELNS1_11target_archE1030ELNS1_3gpuE2ELNS1_3repE0EEENS1_30default_config_static_selectorELNS0_4arch9wavefront6targetE1EEEvT1_.kd
    .uniform_work_group_size: 1
    .uses_dynamic_stack: false
    .vgpr_count:     0
    .vgpr_spill_count: 0
    .wavefront_size: 64
  - .agpr_count:     0
    .args:
      - .offset:         0
        .size:           32
        .value_kind:     by_value
    .group_segment_fixed_size: 0
    .kernarg_segment_align: 8
    .kernarg_segment_size: 32
    .language:       OpenCL C
    .language_version:
      - 2
      - 0
    .max_flat_workgroup_size: 256
    .name:           _ZN7rocprim17ROCPRIM_400000_NS6detail17trampoline_kernelINS0_14default_configENS1_20scan_config_selectorIiEEZZNS1_9scan_implILNS1_25lookback_scan_determinismE0ELb1ELb1ES3_N6thrust23THRUST_200600_302600_NS6detail15normal_iteratorINS9_10device_ptrIiEEEESE_iNS9_4plusIiEEiEEDaPvRmT3_T4_T5_mT6_P12ihipStream_tbENKUlT_T0_E_clISt17integral_constantIbLb0EEST_IbLb1EEEEDaSP_SQ_EUlSP_E0_NS1_11comp_targetILNS1_3genE0ELNS1_11target_archE4294967295ELNS1_3gpuE0ELNS1_3repE0EEENS1_30default_config_static_selectorELNS0_4arch9wavefront6targetE1EEEvT1_
    .private_segment_fixed_size: 0
    .sgpr_count:     4
    .sgpr_spill_count: 0
    .symbol:         _ZN7rocprim17ROCPRIM_400000_NS6detail17trampoline_kernelINS0_14default_configENS1_20scan_config_selectorIiEEZZNS1_9scan_implILNS1_25lookback_scan_determinismE0ELb1ELb1ES3_N6thrust23THRUST_200600_302600_NS6detail15normal_iteratorINS9_10device_ptrIiEEEESE_iNS9_4plusIiEEiEEDaPvRmT3_T4_T5_mT6_P12ihipStream_tbENKUlT_T0_E_clISt17integral_constantIbLb0EEST_IbLb1EEEEDaSP_SQ_EUlSP_E0_NS1_11comp_targetILNS1_3genE0ELNS1_11target_archE4294967295ELNS1_3gpuE0ELNS1_3repE0EEENS1_30default_config_static_selectorELNS0_4arch9wavefront6targetE1EEEvT1_.kd
    .uniform_work_group_size: 1
    .uses_dynamic_stack: false
    .vgpr_count:     0
    .vgpr_spill_count: 0
    .wavefront_size: 64
  - .agpr_count:     0
    .args:
      - .offset:         0
        .size:           32
        .value_kind:     by_value
    .group_segment_fixed_size: 0
    .kernarg_segment_align: 8
    .kernarg_segment_size: 32
    .language:       OpenCL C
    .language_version:
      - 2
      - 0
    .max_flat_workgroup_size: 256
    .name:           _ZN7rocprim17ROCPRIM_400000_NS6detail17trampoline_kernelINS0_14default_configENS1_20scan_config_selectorIiEEZZNS1_9scan_implILNS1_25lookback_scan_determinismE0ELb1ELb1ES3_N6thrust23THRUST_200600_302600_NS6detail15normal_iteratorINS9_10device_ptrIiEEEESE_iNS9_4plusIiEEiEEDaPvRmT3_T4_T5_mT6_P12ihipStream_tbENKUlT_T0_E_clISt17integral_constantIbLb0EEST_IbLb1EEEEDaSP_SQ_EUlSP_E0_NS1_11comp_targetILNS1_3genE5ELNS1_11target_archE942ELNS1_3gpuE9ELNS1_3repE0EEENS1_30default_config_static_selectorELNS0_4arch9wavefront6targetE1EEEvT1_
    .private_segment_fixed_size: 0
    .sgpr_count:     4
    .sgpr_spill_count: 0
    .symbol:         _ZN7rocprim17ROCPRIM_400000_NS6detail17trampoline_kernelINS0_14default_configENS1_20scan_config_selectorIiEEZZNS1_9scan_implILNS1_25lookback_scan_determinismE0ELb1ELb1ES3_N6thrust23THRUST_200600_302600_NS6detail15normal_iteratorINS9_10device_ptrIiEEEESE_iNS9_4plusIiEEiEEDaPvRmT3_T4_T5_mT6_P12ihipStream_tbENKUlT_T0_E_clISt17integral_constantIbLb0EEST_IbLb1EEEEDaSP_SQ_EUlSP_E0_NS1_11comp_targetILNS1_3genE5ELNS1_11target_archE942ELNS1_3gpuE9ELNS1_3repE0EEENS1_30default_config_static_selectorELNS0_4arch9wavefront6targetE1EEEvT1_.kd
    .uniform_work_group_size: 1
    .uses_dynamic_stack: false
    .vgpr_count:     0
    .vgpr_spill_count: 0
    .wavefront_size: 64
  - .agpr_count:     0
    .args:
      - .offset:         0
        .size:           32
        .value_kind:     by_value
    .group_segment_fixed_size: 5120
    .kernarg_segment_align: 8
    .kernarg_segment_size: 32
    .language:       OpenCL C
    .language_version:
      - 2
      - 0
    .max_flat_workgroup_size: 128
    .name:           _ZN7rocprim17ROCPRIM_400000_NS6detail17trampoline_kernelINS0_14default_configENS1_20scan_config_selectorIiEEZZNS1_9scan_implILNS1_25lookback_scan_determinismE0ELb1ELb1ES3_N6thrust23THRUST_200600_302600_NS6detail15normal_iteratorINS9_10device_ptrIiEEEESE_iNS9_4plusIiEEiEEDaPvRmT3_T4_T5_mT6_P12ihipStream_tbENKUlT_T0_E_clISt17integral_constantIbLb0EEST_IbLb1EEEEDaSP_SQ_EUlSP_E0_NS1_11comp_targetILNS1_3genE4ELNS1_11target_archE910ELNS1_3gpuE8ELNS1_3repE0EEENS1_30default_config_static_selectorELNS0_4arch9wavefront6targetE1EEEvT1_
    .private_segment_fixed_size: 0
    .sgpr_count:     29
    .sgpr_spill_count: 0
    .symbol:         _ZN7rocprim17ROCPRIM_400000_NS6detail17trampoline_kernelINS0_14default_configENS1_20scan_config_selectorIiEEZZNS1_9scan_implILNS1_25lookback_scan_determinismE0ELb1ELb1ES3_N6thrust23THRUST_200600_302600_NS6detail15normal_iteratorINS9_10device_ptrIiEEEESE_iNS9_4plusIiEEiEEDaPvRmT3_T4_T5_mT6_P12ihipStream_tbENKUlT_T0_E_clISt17integral_constantIbLb0EEST_IbLb1EEEEDaSP_SQ_EUlSP_E0_NS1_11comp_targetILNS1_3genE4ELNS1_11target_archE910ELNS1_3gpuE8ELNS1_3repE0EEENS1_30default_config_static_selectorELNS0_4arch9wavefront6targetE1EEEvT1_.kd
    .uniform_work_group_size: 1
    .uses_dynamic_stack: false
    .vgpr_count:     18
    .vgpr_spill_count: 0
    .wavefront_size: 64
  - .agpr_count:     0
    .args:
      - .offset:         0
        .size:           32
        .value_kind:     by_value
    .group_segment_fixed_size: 0
    .kernarg_segment_align: 8
    .kernarg_segment_size: 32
    .language:       OpenCL C
    .language_version:
      - 2
      - 0
    .max_flat_workgroup_size: 256
    .name:           _ZN7rocprim17ROCPRIM_400000_NS6detail17trampoline_kernelINS0_14default_configENS1_20scan_config_selectorIiEEZZNS1_9scan_implILNS1_25lookback_scan_determinismE0ELb1ELb1ES3_N6thrust23THRUST_200600_302600_NS6detail15normal_iteratorINS9_10device_ptrIiEEEESE_iNS9_4plusIiEEiEEDaPvRmT3_T4_T5_mT6_P12ihipStream_tbENKUlT_T0_E_clISt17integral_constantIbLb0EEST_IbLb1EEEEDaSP_SQ_EUlSP_E0_NS1_11comp_targetILNS1_3genE3ELNS1_11target_archE908ELNS1_3gpuE7ELNS1_3repE0EEENS1_30default_config_static_selectorELNS0_4arch9wavefront6targetE1EEEvT1_
    .private_segment_fixed_size: 0
    .sgpr_count:     4
    .sgpr_spill_count: 0
    .symbol:         _ZN7rocprim17ROCPRIM_400000_NS6detail17trampoline_kernelINS0_14default_configENS1_20scan_config_selectorIiEEZZNS1_9scan_implILNS1_25lookback_scan_determinismE0ELb1ELb1ES3_N6thrust23THRUST_200600_302600_NS6detail15normal_iteratorINS9_10device_ptrIiEEEESE_iNS9_4plusIiEEiEEDaPvRmT3_T4_T5_mT6_P12ihipStream_tbENKUlT_T0_E_clISt17integral_constantIbLb0EEST_IbLb1EEEEDaSP_SQ_EUlSP_E0_NS1_11comp_targetILNS1_3genE3ELNS1_11target_archE908ELNS1_3gpuE7ELNS1_3repE0EEENS1_30default_config_static_selectorELNS0_4arch9wavefront6targetE1EEEvT1_.kd
    .uniform_work_group_size: 1
    .uses_dynamic_stack: false
    .vgpr_count:     0
    .vgpr_spill_count: 0
    .wavefront_size: 64
  - .agpr_count:     0
    .args:
      - .offset:         0
        .size:           32
        .value_kind:     by_value
    .group_segment_fixed_size: 0
    .kernarg_segment_align: 8
    .kernarg_segment_size: 32
    .language:       OpenCL C
    .language_version:
      - 2
      - 0
    .max_flat_workgroup_size: 256
    .name:           _ZN7rocprim17ROCPRIM_400000_NS6detail17trampoline_kernelINS0_14default_configENS1_20scan_config_selectorIiEEZZNS1_9scan_implILNS1_25lookback_scan_determinismE0ELb1ELb1ES3_N6thrust23THRUST_200600_302600_NS6detail15normal_iteratorINS9_10device_ptrIiEEEESE_iNS9_4plusIiEEiEEDaPvRmT3_T4_T5_mT6_P12ihipStream_tbENKUlT_T0_E_clISt17integral_constantIbLb0EEST_IbLb1EEEEDaSP_SQ_EUlSP_E0_NS1_11comp_targetILNS1_3genE2ELNS1_11target_archE906ELNS1_3gpuE6ELNS1_3repE0EEENS1_30default_config_static_selectorELNS0_4arch9wavefront6targetE1EEEvT1_
    .private_segment_fixed_size: 0
    .sgpr_count:     4
    .sgpr_spill_count: 0
    .symbol:         _ZN7rocprim17ROCPRIM_400000_NS6detail17trampoline_kernelINS0_14default_configENS1_20scan_config_selectorIiEEZZNS1_9scan_implILNS1_25lookback_scan_determinismE0ELb1ELb1ES3_N6thrust23THRUST_200600_302600_NS6detail15normal_iteratorINS9_10device_ptrIiEEEESE_iNS9_4plusIiEEiEEDaPvRmT3_T4_T5_mT6_P12ihipStream_tbENKUlT_T0_E_clISt17integral_constantIbLb0EEST_IbLb1EEEEDaSP_SQ_EUlSP_E0_NS1_11comp_targetILNS1_3genE2ELNS1_11target_archE906ELNS1_3gpuE6ELNS1_3repE0EEENS1_30default_config_static_selectorELNS0_4arch9wavefront6targetE1EEEvT1_.kd
    .uniform_work_group_size: 1
    .uses_dynamic_stack: false
    .vgpr_count:     0
    .vgpr_spill_count: 0
    .wavefront_size: 64
  - .agpr_count:     0
    .args:
      - .offset:         0
        .size:           32
        .value_kind:     by_value
    .group_segment_fixed_size: 0
    .kernarg_segment_align: 8
    .kernarg_segment_size: 32
    .language:       OpenCL C
    .language_version:
      - 2
      - 0
    .max_flat_workgroup_size: 256
    .name:           _ZN7rocprim17ROCPRIM_400000_NS6detail17trampoline_kernelINS0_14default_configENS1_20scan_config_selectorIiEEZZNS1_9scan_implILNS1_25lookback_scan_determinismE0ELb1ELb1ES3_N6thrust23THRUST_200600_302600_NS6detail15normal_iteratorINS9_10device_ptrIiEEEESE_iNS9_4plusIiEEiEEDaPvRmT3_T4_T5_mT6_P12ihipStream_tbENKUlT_T0_E_clISt17integral_constantIbLb0EEST_IbLb1EEEEDaSP_SQ_EUlSP_E0_NS1_11comp_targetILNS1_3genE10ELNS1_11target_archE1201ELNS1_3gpuE5ELNS1_3repE0EEENS1_30default_config_static_selectorELNS0_4arch9wavefront6targetE1EEEvT1_
    .private_segment_fixed_size: 0
    .sgpr_count:     4
    .sgpr_spill_count: 0
    .symbol:         _ZN7rocprim17ROCPRIM_400000_NS6detail17trampoline_kernelINS0_14default_configENS1_20scan_config_selectorIiEEZZNS1_9scan_implILNS1_25lookback_scan_determinismE0ELb1ELb1ES3_N6thrust23THRUST_200600_302600_NS6detail15normal_iteratorINS9_10device_ptrIiEEEESE_iNS9_4plusIiEEiEEDaPvRmT3_T4_T5_mT6_P12ihipStream_tbENKUlT_T0_E_clISt17integral_constantIbLb0EEST_IbLb1EEEEDaSP_SQ_EUlSP_E0_NS1_11comp_targetILNS1_3genE10ELNS1_11target_archE1201ELNS1_3gpuE5ELNS1_3repE0EEENS1_30default_config_static_selectorELNS0_4arch9wavefront6targetE1EEEvT1_.kd
    .uniform_work_group_size: 1
    .uses_dynamic_stack: false
    .vgpr_count:     0
    .vgpr_spill_count: 0
    .wavefront_size: 64
  - .agpr_count:     0
    .args:
      - .offset:         0
        .size:           32
        .value_kind:     by_value
    .group_segment_fixed_size: 0
    .kernarg_segment_align: 8
    .kernarg_segment_size: 32
    .language:       OpenCL C
    .language_version:
      - 2
      - 0
    .max_flat_workgroup_size: 256
    .name:           _ZN7rocprim17ROCPRIM_400000_NS6detail17trampoline_kernelINS0_14default_configENS1_20scan_config_selectorIiEEZZNS1_9scan_implILNS1_25lookback_scan_determinismE0ELb1ELb1ES3_N6thrust23THRUST_200600_302600_NS6detail15normal_iteratorINS9_10device_ptrIiEEEESE_iNS9_4plusIiEEiEEDaPvRmT3_T4_T5_mT6_P12ihipStream_tbENKUlT_T0_E_clISt17integral_constantIbLb0EEST_IbLb1EEEEDaSP_SQ_EUlSP_E0_NS1_11comp_targetILNS1_3genE10ELNS1_11target_archE1200ELNS1_3gpuE4ELNS1_3repE0EEENS1_30default_config_static_selectorELNS0_4arch9wavefront6targetE1EEEvT1_
    .private_segment_fixed_size: 0
    .sgpr_count:     4
    .sgpr_spill_count: 0
    .symbol:         _ZN7rocprim17ROCPRIM_400000_NS6detail17trampoline_kernelINS0_14default_configENS1_20scan_config_selectorIiEEZZNS1_9scan_implILNS1_25lookback_scan_determinismE0ELb1ELb1ES3_N6thrust23THRUST_200600_302600_NS6detail15normal_iteratorINS9_10device_ptrIiEEEESE_iNS9_4plusIiEEiEEDaPvRmT3_T4_T5_mT6_P12ihipStream_tbENKUlT_T0_E_clISt17integral_constantIbLb0EEST_IbLb1EEEEDaSP_SQ_EUlSP_E0_NS1_11comp_targetILNS1_3genE10ELNS1_11target_archE1200ELNS1_3gpuE4ELNS1_3repE0EEENS1_30default_config_static_selectorELNS0_4arch9wavefront6targetE1EEEvT1_.kd
    .uniform_work_group_size: 1
    .uses_dynamic_stack: false
    .vgpr_count:     0
    .vgpr_spill_count: 0
    .wavefront_size: 64
  - .agpr_count:     0
    .args:
      - .offset:         0
        .size:           32
        .value_kind:     by_value
    .group_segment_fixed_size: 0
    .kernarg_segment_align: 8
    .kernarg_segment_size: 32
    .language:       OpenCL C
    .language_version:
      - 2
      - 0
    .max_flat_workgroup_size: 256
    .name:           _ZN7rocprim17ROCPRIM_400000_NS6detail17trampoline_kernelINS0_14default_configENS1_20scan_config_selectorIiEEZZNS1_9scan_implILNS1_25lookback_scan_determinismE0ELb1ELb1ES3_N6thrust23THRUST_200600_302600_NS6detail15normal_iteratorINS9_10device_ptrIiEEEESE_iNS9_4plusIiEEiEEDaPvRmT3_T4_T5_mT6_P12ihipStream_tbENKUlT_T0_E_clISt17integral_constantIbLb0EEST_IbLb1EEEEDaSP_SQ_EUlSP_E0_NS1_11comp_targetILNS1_3genE9ELNS1_11target_archE1100ELNS1_3gpuE3ELNS1_3repE0EEENS1_30default_config_static_selectorELNS0_4arch9wavefront6targetE1EEEvT1_
    .private_segment_fixed_size: 0
    .sgpr_count:     4
    .sgpr_spill_count: 0
    .symbol:         _ZN7rocprim17ROCPRIM_400000_NS6detail17trampoline_kernelINS0_14default_configENS1_20scan_config_selectorIiEEZZNS1_9scan_implILNS1_25lookback_scan_determinismE0ELb1ELb1ES3_N6thrust23THRUST_200600_302600_NS6detail15normal_iteratorINS9_10device_ptrIiEEEESE_iNS9_4plusIiEEiEEDaPvRmT3_T4_T5_mT6_P12ihipStream_tbENKUlT_T0_E_clISt17integral_constantIbLb0EEST_IbLb1EEEEDaSP_SQ_EUlSP_E0_NS1_11comp_targetILNS1_3genE9ELNS1_11target_archE1100ELNS1_3gpuE3ELNS1_3repE0EEENS1_30default_config_static_selectorELNS0_4arch9wavefront6targetE1EEEvT1_.kd
    .uniform_work_group_size: 1
    .uses_dynamic_stack: false
    .vgpr_count:     0
    .vgpr_spill_count: 0
    .wavefront_size: 64
  - .agpr_count:     0
    .args:
      - .offset:         0
        .size:           32
        .value_kind:     by_value
    .group_segment_fixed_size: 0
    .kernarg_segment_align: 8
    .kernarg_segment_size: 32
    .language:       OpenCL C
    .language_version:
      - 2
      - 0
    .max_flat_workgroup_size: 64
    .name:           _ZN7rocprim17ROCPRIM_400000_NS6detail17trampoline_kernelINS0_14default_configENS1_20scan_config_selectorIiEEZZNS1_9scan_implILNS1_25lookback_scan_determinismE0ELb1ELb1ES3_N6thrust23THRUST_200600_302600_NS6detail15normal_iteratorINS9_10device_ptrIiEEEESE_iNS9_4plusIiEEiEEDaPvRmT3_T4_T5_mT6_P12ihipStream_tbENKUlT_T0_E_clISt17integral_constantIbLb0EEST_IbLb1EEEEDaSP_SQ_EUlSP_E0_NS1_11comp_targetILNS1_3genE8ELNS1_11target_archE1030ELNS1_3gpuE2ELNS1_3repE0EEENS1_30default_config_static_selectorELNS0_4arch9wavefront6targetE1EEEvT1_
    .private_segment_fixed_size: 0
    .sgpr_count:     4
    .sgpr_spill_count: 0
    .symbol:         _ZN7rocprim17ROCPRIM_400000_NS6detail17trampoline_kernelINS0_14default_configENS1_20scan_config_selectorIiEEZZNS1_9scan_implILNS1_25lookback_scan_determinismE0ELb1ELb1ES3_N6thrust23THRUST_200600_302600_NS6detail15normal_iteratorINS9_10device_ptrIiEEEESE_iNS9_4plusIiEEiEEDaPvRmT3_T4_T5_mT6_P12ihipStream_tbENKUlT_T0_E_clISt17integral_constantIbLb0EEST_IbLb1EEEEDaSP_SQ_EUlSP_E0_NS1_11comp_targetILNS1_3genE8ELNS1_11target_archE1030ELNS1_3gpuE2ELNS1_3repE0EEENS1_30default_config_static_selectorELNS0_4arch9wavefront6targetE1EEEvT1_.kd
    .uniform_work_group_size: 1
    .uses_dynamic_stack: false
    .vgpr_count:     0
    .vgpr_spill_count: 0
    .wavefront_size: 64
  - .agpr_count:     0
    .args:
      - .offset:         0
        .size:           96
        .value_kind:     by_value
    .group_segment_fixed_size: 0
    .kernarg_segment_align: 8
    .kernarg_segment_size: 96
    .language:       OpenCL C
    .language_version:
      - 2
      - 0
    .max_flat_workgroup_size: 256
    .name:           _ZN7rocprim17ROCPRIM_400000_NS6detail17trampoline_kernelINS0_14default_configENS1_20scan_config_selectorIiEEZZNS1_9scan_implILNS1_25lookback_scan_determinismE0ELb0ELb1ES3_N6thrust23THRUST_200600_302600_NS6detail15normal_iteratorINS9_10device_ptrIiEEEESE_iNS9_4plusIiEEiEEDaPvRmT3_T4_T5_mT6_P12ihipStream_tbENKUlT_T0_E_clISt17integral_constantIbLb0EESU_EEDaSP_SQ_EUlSP_E_NS1_11comp_targetILNS1_3genE0ELNS1_11target_archE4294967295ELNS1_3gpuE0ELNS1_3repE0EEENS1_30default_config_static_selectorELNS0_4arch9wavefront6targetE1EEEvT1_
    .private_segment_fixed_size: 0
    .sgpr_count:     4
    .sgpr_spill_count: 0
    .symbol:         _ZN7rocprim17ROCPRIM_400000_NS6detail17trampoline_kernelINS0_14default_configENS1_20scan_config_selectorIiEEZZNS1_9scan_implILNS1_25lookback_scan_determinismE0ELb0ELb1ES3_N6thrust23THRUST_200600_302600_NS6detail15normal_iteratorINS9_10device_ptrIiEEEESE_iNS9_4plusIiEEiEEDaPvRmT3_T4_T5_mT6_P12ihipStream_tbENKUlT_T0_E_clISt17integral_constantIbLb0EESU_EEDaSP_SQ_EUlSP_E_NS1_11comp_targetILNS1_3genE0ELNS1_11target_archE4294967295ELNS1_3gpuE0ELNS1_3repE0EEENS1_30default_config_static_selectorELNS0_4arch9wavefront6targetE1EEEvT1_.kd
    .uniform_work_group_size: 1
    .uses_dynamic_stack: false
    .vgpr_count:     0
    .vgpr_spill_count: 0
    .wavefront_size: 64
  - .agpr_count:     0
    .args:
      - .offset:         0
        .size:           96
        .value_kind:     by_value
    .group_segment_fixed_size: 0
    .kernarg_segment_align: 8
    .kernarg_segment_size: 96
    .language:       OpenCL C
    .language_version:
      - 2
      - 0
    .max_flat_workgroup_size: 256
    .name:           _ZN7rocprim17ROCPRIM_400000_NS6detail17trampoline_kernelINS0_14default_configENS1_20scan_config_selectorIiEEZZNS1_9scan_implILNS1_25lookback_scan_determinismE0ELb0ELb1ES3_N6thrust23THRUST_200600_302600_NS6detail15normal_iteratorINS9_10device_ptrIiEEEESE_iNS9_4plusIiEEiEEDaPvRmT3_T4_T5_mT6_P12ihipStream_tbENKUlT_T0_E_clISt17integral_constantIbLb0EESU_EEDaSP_SQ_EUlSP_E_NS1_11comp_targetILNS1_3genE5ELNS1_11target_archE942ELNS1_3gpuE9ELNS1_3repE0EEENS1_30default_config_static_selectorELNS0_4arch9wavefront6targetE1EEEvT1_
    .private_segment_fixed_size: 0
    .sgpr_count:     4
    .sgpr_spill_count: 0
    .symbol:         _ZN7rocprim17ROCPRIM_400000_NS6detail17trampoline_kernelINS0_14default_configENS1_20scan_config_selectorIiEEZZNS1_9scan_implILNS1_25lookback_scan_determinismE0ELb0ELb1ES3_N6thrust23THRUST_200600_302600_NS6detail15normal_iteratorINS9_10device_ptrIiEEEESE_iNS9_4plusIiEEiEEDaPvRmT3_T4_T5_mT6_P12ihipStream_tbENKUlT_T0_E_clISt17integral_constantIbLb0EESU_EEDaSP_SQ_EUlSP_E_NS1_11comp_targetILNS1_3genE5ELNS1_11target_archE942ELNS1_3gpuE9ELNS1_3repE0EEENS1_30default_config_static_selectorELNS0_4arch9wavefront6targetE1EEEvT1_.kd
    .uniform_work_group_size: 1
    .uses_dynamic_stack: false
    .vgpr_count:     0
    .vgpr_spill_count: 0
    .wavefront_size: 64
  - .agpr_count:     0
    .args:
      - .offset:         0
        .size:           96
        .value_kind:     by_value
    .group_segment_fixed_size: 5120
    .kernarg_segment_align: 8
    .kernarg_segment_size: 96
    .language:       OpenCL C
    .language_version:
      - 2
      - 0
    .max_flat_workgroup_size: 128
    .name:           _ZN7rocprim17ROCPRIM_400000_NS6detail17trampoline_kernelINS0_14default_configENS1_20scan_config_selectorIiEEZZNS1_9scan_implILNS1_25lookback_scan_determinismE0ELb0ELb1ES3_N6thrust23THRUST_200600_302600_NS6detail15normal_iteratorINS9_10device_ptrIiEEEESE_iNS9_4plusIiEEiEEDaPvRmT3_T4_T5_mT6_P12ihipStream_tbENKUlT_T0_E_clISt17integral_constantIbLb0EESU_EEDaSP_SQ_EUlSP_E_NS1_11comp_targetILNS1_3genE4ELNS1_11target_archE910ELNS1_3gpuE8ELNS1_3repE0EEENS1_30default_config_static_selectorELNS0_4arch9wavefront6targetE1EEEvT1_
    .private_segment_fixed_size: 0
    .sgpr_count:     34
    .sgpr_spill_count: 0
    .symbol:         _ZN7rocprim17ROCPRIM_400000_NS6detail17trampoline_kernelINS0_14default_configENS1_20scan_config_selectorIiEEZZNS1_9scan_implILNS1_25lookback_scan_determinismE0ELb0ELb1ES3_N6thrust23THRUST_200600_302600_NS6detail15normal_iteratorINS9_10device_ptrIiEEEESE_iNS9_4plusIiEEiEEDaPvRmT3_T4_T5_mT6_P12ihipStream_tbENKUlT_T0_E_clISt17integral_constantIbLb0EESU_EEDaSP_SQ_EUlSP_E_NS1_11comp_targetILNS1_3genE4ELNS1_11target_archE910ELNS1_3gpuE8ELNS1_3repE0EEENS1_30default_config_static_selectorELNS0_4arch9wavefront6targetE1EEEvT1_.kd
    .uniform_work_group_size: 1
    .uses_dynamic_stack: false
    .vgpr_count:     40
    .vgpr_spill_count: 0
    .wavefront_size: 64
  - .agpr_count:     0
    .args:
      - .offset:         0
        .size:           96
        .value_kind:     by_value
    .group_segment_fixed_size: 0
    .kernarg_segment_align: 8
    .kernarg_segment_size: 96
    .language:       OpenCL C
    .language_version:
      - 2
      - 0
    .max_flat_workgroup_size: 256
    .name:           _ZN7rocprim17ROCPRIM_400000_NS6detail17trampoline_kernelINS0_14default_configENS1_20scan_config_selectorIiEEZZNS1_9scan_implILNS1_25lookback_scan_determinismE0ELb0ELb1ES3_N6thrust23THRUST_200600_302600_NS6detail15normal_iteratorINS9_10device_ptrIiEEEESE_iNS9_4plusIiEEiEEDaPvRmT3_T4_T5_mT6_P12ihipStream_tbENKUlT_T0_E_clISt17integral_constantIbLb0EESU_EEDaSP_SQ_EUlSP_E_NS1_11comp_targetILNS1_3genE3ELNS1_11target_archE908ELNS1_3gpuE7ELNS1_3repE0EEENS1_30default_config_static_selectorELNS0_4arch9wavefront6targetE1EEEvT1_
    .private_segment_fixed_size: 0
    .sgpr_count:     4
    .sgpr_spill_count: 0
    .symbol:         _ZN7rocprim17ROCPRIM_400000_NS6detail17trampoline_kernelINS0_14default_configENS1_20scan_config_selectorIiEEZZNS1_9scan_implILNS1_25lookback_scan_determinismE0ELb0ELb1ES3_N6thrust23THRUST_200600_302600_NS6detail15normal_iteratorINS9_10device_ptrIiEEEESE_iNS9_4plusIiEEiEEDaPvRmT3_T4_T5_mT6_P12ihipStream_tbENKUlT_T0_E_clISt17integral_constantIbLb0EESU_EEDaSP_SQ_EUlSP_E_NS1_11comp_targetILNS1_3genE3ELNS1_11target_archE908ELNS1_3gpuE7ELNS1_3repE0EEENS1_30default_config_static_selectorELNS0_4arch9wavefront6targetE1EEEvT1_.kd
    .uniform_work_group_size: 1
    .uses_dynamic_stack: false
    .vgpr_count:     0
    .vgpr_spill_count: 0
    .wavefront_size: 64
  - .agpr_count:     0
    .args:
      - .offset:         0
        .size:           96
        .value_kind:     by_value
    .group_segment_fixed_size: 0
    .kernarg_segment_align: 8
    .kernarg_segment_size: 96
    .language:       OpenCL C
    .language_version:
      - 2
      - 0
    .max_flat_workgroup_size: 256
    .name:           _ZN7rocprim17ROCPRIM_400000_NS6detail17trampoline_kernelINS0_14default_configENS1_20scan_config_selectorIiEEZZNS1_9scan_implILNS1_25lookback_scan_determinismE0ELb0ELb1ES3_N6thrust23THRUST_200600_302600_NS6detail15normal_iteratorINS9_10device_ptrIiEEEESE_iNS9_4plusIiEEiEEDaPvRmT3_T4_T5_mT6_P12ihipStream_tbENKUlT_T0_E_clISt17integral_constantIbLb0EESU_EEDaSP_SQ_EUlSP_E_NS1_11comp_targetILNS1_3genE2ELNS1_11target_archE906ELNS1_3gpuE6ELNS1_3repE0EEENS1_30default_config_static_selectorELNS0_4arch9wavefront6targetE1EEEvT1_
    .private_segment_fixed_size: 0
    .sgpr_count:     4
    .sgpr_spill_count: 0
    .symbol:         _ZN7rocprim17ROCPRIM_400000_NS6detail17trampoline_kernelINS0_14default_configENS1_20scan_config_selectorIiEEZZNS1_9scan_implILNS1_25lookback_scan_determinismE0ELb0ELb1ES3_N6thrust23THRUST_200600_302600_NS6detail15normal_iteratorINS9_10device_ptrIiEEEESE_iNS9_4plusIiEEiEEDaPvRmT3_T4_T5_mT6_P12ihipStream_tbENKUlT_T0_E_clISt17integral_constantIbLb0EESU_EEDaSP_SQ_EUlSP_E_NS1_11comp_targetILNS1_3genE2ELNS1_11target_archE906ELNS1_3gpuE6ELNS1_3repE0EEENS1_30default_config_static_selectorELNS0_4arch9wavefront6targetE1EEEvT1_.kd
    .uniform_work_group_size: 1
    .uses_dynamic_stack: false
    .vgpr_count:     0
    .vgpr_spill_count: 0
    .wavefront_size: 64
  - .agpr_count:     0
    .args:
      - .offset:         0
        .size:           96
        .value_kind:     by_value
    .group_segment_fixed_size: 0
    .kernarg_segment_align: 8
    .kernarg_segment_size: 96
    .language:       OpenCL C
    .language_version:
      - 2
      - 0
    .max_flat_workgroup_size: 256
    .name:           _ZN7rocprim17ROCPRIM_400000_NS6detail17trampoline_kernelINS0_14default_configENS1_20scan_config_selectorIiEEZZNS1_9scan_implILNS1_25lookback_scan_determinismE0ELb0ELb1ES3_N6thrust23THRUST_200600_302600_NS6detail15normal_iteratorINS9_10device_ptrIiEEEESE_iNS9_4plusIiEEiEEDaPvRmT3_T4_T5_mT6_P12ihipStream_tbENKUlT_T0_E_clISt17integral_constantIbLb0EESU_EEDaSP_SQ_EUlSP_E_NS1_11comp_targetILNS1_3genE10ELNS1_11target_archE1201ELNS1_3gpuE5ELNS1_3repE0EEENS1_30default_config_static_selectorELNS0_4arch9wavefront6targetE1EEEvT1_
    .private_segment_fixed_size: 0
    .sgpr_count:     4
    .sgpr_spill_count: 0
    .symbol:         _ZN7rocprim17ROCPRIM_400000_NS6detail17trampoline_kernelINS0_14default_configENS1_20scan_config_selectorIiEEZZNS1_9scan_implILNS1_25lookback_scan_determinismE0ELb0ELb1ES3_N6thrust23THRUST_200600_302600_NS6detail15normal_iteratorINS9_10device_ptrIiEEEESE_iNS9_4plusIiEEiEEDaPvRmT3_T4_T5_mT6_P12ihipStream_tbENKUlT_T0_E_clISt17integral_constantIbLb0EESU_EEDaSP_SQ_EUlSP_E_NS1_11comp_targetILNS1_3genE10ELNS1_11target_archE1201ELNS1_3gpuE5ELNS1_3repE0EEENS1_30default_config_static_selectorELNS0_4arch9wavefront6targetE1EEEvT1_.kd
    .uniform_work_group_size: 1
    .uses_dynamic_stack: false
    .vgpr_count:     0
    .vgpr_spill_count: 0
    .wavefront_size: 64
  - .agpr_count:     0
    .args:
      - .offset:         0
        .size:           96
        .value_kind:     by_value
    .group_segment_fixed_size: 0
    .kernarg_segment_align: 8
    .kernarg_segment_size: 96
    .language:       OpenCL C
    .language_version:
      - 2
      - 0
    .max_flat_workgroup_size: 256
    .name:           _ZN7rocprim17ROCPRIM_400000_NS6detail17trampoline_kernelINS0_14default_configENS1_20scan_config_selectorIiEEZZNS1_9scan_implILNS1_25lookback_scan_determinismE0ELb0ELb1ES3_N6thrust23THRUST_200600_302600_NS6detail15normal_iteratorINS9_10device_ptrIiEEEESE_iNS9_4plusIiEEiEEDaPvRmT3_T4_T5_mT6_P12ihipStream_tbENKUlT_T0_E_clISt17integral_constantIbLb0EESU_EEDaSP_SQ_EUlSP_E_NS1_11comp_targetILNS1_3genE10ELNS1_11target_archE1200ELNS1_3gpuE4ELNS1_3repE0EEENS1_30default_config_static_selectorELNS0_4arch9wavefront6targetE1EEEvT1_
    .private_segment_fixed_size: 0
    .sgpr_count:     4
    .sgpr_spill_count: 0
    .symbol:         _ZN7rocprim17ROCPRIM_400000_NS6detail17trampoline_kernelINS0_14default_configENS1_20scan_config_selectorIiEEZZNS1_9scan_implILNS1_25lookback_scan_determinismE0ELb0ELb1ES3_N6thrust23THRUST_200600_302600_NS6detail15normal_iteratorINS9_10device_ptrIiEEEESE_iNS9_4plusIiEEiEEDaPvRmT3_T4_T5_mT6_P12ihipStream_tbENKUlT_T0_E_clISt17integral_constantIbLb0EESU_EEDaSP_SQ_EUlSP_E_NS1_11comp_targetILNS1_3genE10ELNS1_11target_archE1200ELNS1_3gpuE4ELNS1_3repE0EEENS1_30default_config_static_selectorELNS0_4arch9wavefront6targetE1EEEvT1_.kd
    .uniform_work_group_size: 1
    .uses_dynamic_stack: false
    .vgpr_count:     0
    .vgpr_spill_count: 0
    .wavefront_size: 64
  - .agpr_count:     0
    .args:
      - .offset:         0
        .size:           96
        .value_kind:     by_value
    .group_segment_fixed_size: 0
    .kernarg_segment_align: 8
    .kernarg_segment_size: 96
    .language:       OpenCL C
    .language_version:
      - 2
      - 0
    .max_flat_workgroup_size: 256
    .name:           _ZN7rocprim17ROCPRIM_400000_NS6detail17trampoline_kernelINS0_14default_configENS1_20scan_config_selectorIiEEZZNS1_9scan_implILNS1_25lookback_scan_determinismE0ELb0ELb1ES3_N6thrust23THRUST_200600_302600_NS6detail15normal_iteratorINS9_10device_ptrIiEEEESE_iNS9_4plusIiEEiEEDaPvRmT3_T4_T5_mT6_P12ihipStream_tbENKUlT_T0_E_clISt17integral_constantIbLb0EESU_EEDaSP_SQ_EUlSP_E_NS1_11comp_targetILNS1_3genE9ELNS1_11target_archE1100ELNS1_3gpuE3ELNS1_3repE0EEENS1_30default_config_static_selectorELNS0_4arch9wavefront6targetE1EEEvT1_
    .private_segment_fixed_size: 0
    .sgpr_count:     4
    .sgpr_spill_count: 0
    .symbol:         _ZN7rocprim17ROCPRIM_400000_NS6detail17trampoline_kernelINS0_14default_configENS1_20scan_config_selectorIiEEZZNS1_9scan_implILNS1_25lookback_scan_determinismE0ELb0ELb1ES3_N6thrust23THRUST_200600_302600_NS6detail15normal_iteratorINS9_10device_ptrIiEEEESE_iNS9_4plusIiEEiEEDaPvRmT3_T4_T5_mT6_P12ihipStream_tbENKUlT_T0_E_clISt17integral_constantIbLb0EESU_EEDaSP_SQ_EUlSP_E_NS1_11comp_targetILNS1_3genE9ELNS1_11target_archE1100ELNS1_3gpuE3ELNS1_3repE0EEENS1_30default_config_static_selectorELNS0_4arch9wavefront6targetE1EEEvT1_.kd
    .uniform_work_group_size: 1
    .uses_dynamic_stack: false
    .vgpr_count:     0
    .vgpr_spill_count: 0
    .wavefront_size: 64
  - .agpr_count:     0
    .args:
      - .offset:         0
        .size:           96
        .value_kind:     by_value
    .group_segment_fixed_size: 0
    .kernarg_segment_align: 8
    .kernarg_segment_size: 96
    .language:       OpenCL C
    .language_version:
      - 2
      - 0
    .max_flat_workgroup_size: 64
    .name:           _ZN7rocprim17ROCPRIM_400000_NS6detail17trampoline_kernelINS0_14default_configENS1_20scan_config_selectorIiEEZZNS1_9scan_implILNS1_25lookback_scan_determinismE0ELb0ELb1ES3_N6thrust23THRUST_200600_302600_NS6detail15normal_iteratorINS9_10device_ptrIiEEEESE_iNS9_4plusIiEEiEEDaPvRmT3_T4_T5_mT6_P12ihipStream_tbENKUlT_T0_E_clISt17integral_constantIbLb0EESU_EEDaSP_SQ_EUlSP_E_NS1_11comp_targetILNS1_3genE8ELNS1_11target_archE1030ELNS1_3gpuE2ELNS1_3repE0EEENS1_30default_config_static_selectorELNS0_4arch9wavefront6targetE1EEEvT1_
    .private_segment_fixed_size: 0
    .sgpr_count:     4
    .sgpr_spill_count: 0
    .symbol:         _ZN7rocprim17ROCPRIM_400000_NS6detail17trampoline_kernelINS0_14default_configENS1_20scan_config_selectorIiEEZZNS1_9scan_implILNS1_25lookback_scan_determinismE0ELb0ELb1ES3_N6thrust23THRUST_200600_302600_NS6detail15normal_iteratorINS9_10device_ptrIiEEEESE_iNS9_4plusIiEEiEEDaPvRmT3_T4_T5_mT6_P12ihipStream_tbENKUlT_T0_E_clISt17integral_constantIbLb0EESU_EEDaSP_SQ_EUlSP_E_NS1_11comp_targetILNS1_3genE8ELNS1_11target_archE1030ELNS1_3gpuE2ELNS1_3repE0EEENS1_30default_config_static_selectorELNS0_4arch9wavefront6targetE1EEEvT1_.kd
    .uniform_work_group_size: 1
    .uses_dynamic_stack: false
    .vgpr_count:     0
    .vgpr_spill_count: 0
    .wavefront_size: 64
  - .agpr_count:     0
    .args:
      - .offset:         0
        .size:           32
        .value_kind:     by_value
    .group_segment_fixed_size: 0
    .kernarg_segment_align: 8
    .kernarg_segment_size: 32
    .language:       OpenCL C
    .language_version:
      - 2
      - 0
    .max_flat_workgroup_size: 256
    .name:           _ZN7rocprim17ROCPRIM_400000_NS6detail17trampoline_kernelINS0_14default_configENS1_20scan_config_selectorIiEEZZNS1_9scan_implILNS1_25lookback_scan_determinismE0ELb0ELb1ES3_N6thrust23THRUST_200600_302600_NS6detail15normal_iteratorINS9_10device_ptrIiEEEESE_iNS9_4plusIiEEiEEDaPvRmT3_T4_T5_mT6_P12ihipStream_tbENKUlT_T0_E_clISt17integral_constantIbLb0EESU_EEDaSP_SQ_EUlSP_E0_NS1_11comp_targetILNS1_3genE0ELNS1_11target_archE4294967295ELNS1_3gpuE0ELNS1_3repE0EEENS1_30default_config_static_selectorELNS0_4arch9wavefront6targetE1EEEvT1_
    .private_segment_fixed_size: 0
    .sgpr_count:     4
    .sgpr_spill_count: 0
    .symbol:         _ZN7rocprim17ROCPRIM_400000_NS6detail17trampoline_kernelINS0_14default_configENS1_20scan_config_selectorIiEEZZNS1_9scan_implILNS1_25lookback_scan_determinismE0ELb0ELb1ES3_N6thrust23THRUST_200600_302600_NS6detail15normal_iteratorINS9_10device_ptrIiEEEESE_iNS9_4plusIiEEiEEDaPvRmT3_T4_T5_mT6_P12ihipStream_tbENKUlT_T0_E_clISt17integral_constantIbLb0EESU_EEDaSP_SQ_EUlSP_E0_NS1_11comp_targetILNS1_3genE0ELNS1_11target_archE4294967295ELNS1_3gpuE0ELNS1_3repE0EEENS1_30default_config_static_selectorELNS0_4arch9wavefront6targetE1EEEvT1_.kd
    .uniform_work_group_size: 1
    .uses_dynamic_stack: false
    .vgpr_count:     0
    .vgpr_spill_count: 0
    .wavefront_size: 64
  - .agpr_count:     0
    .args:
      - .offset:         0
        .size:           32
        .value_kind:     by_value
    .group_segment_fixed_size: 0
    .kernarg_segment_align: 8
    .kernarg_segment_size: 32
    .language:       OpenCL C
    .language_version:
      - 2
      - 0
    .max_flat_workgroup_size: 256
    .name:           _ZN7rocprim17ROCPRIM_400000_NS6detail17trampoline_kernelINS0_14default_configENS1_20scan_config_selectorIiEEZZNS1_9scan_implILNS1_25lookback_scan_determinismE0ELb0ELb1ES3_N6thrust23THRUST_200600_302600_NS6detail15normal_iteratorINS9_10device_ptrIiEEEESE_iNS9_4plusIiEEiEEDaPvRmT3_T4_T5_mT6_P12ihipStream_tbENKUlT_T0_E_clISt17integral_constantIbLb0EESU_EEDaSP_SQ_EUlSP_E0_NS1_11comp_targetILNS1_3genE5ELNS1_11target_archE942ELNS1_3gpuE9ELNS1_3repE0EEENS1_30default_config_static_selectorELNS0_4arch9wavefront6targetE1EEEvT1_
    .private_segment_fixed_size: 0
    .sgpr_count:     4
    .sgpr_spill_count: 0
    .symbol:         _ZN7rocprim17ROCPRIM_400000_NS6detail17trampoline_kernelINS0_14default_configENS1_20scan_config_selectorIiEEZZNS1_9scan_implILNS1_25lookback_scan_determinismE0ELb0ELb1ES3_N6thrust23THRUST_200600_302600_NS6detail15normal_iteratorINS9_10device_ptrIiEEEESE_iNS9_4plusIiEEiEEDaPvRmT3_T4_T5_mT6_P12ihipStream_tbENKUlT_T0_E_clISt17integral_constantIbLb0EESU_EEDaSP_SQ_EUlSP_E0_NS1_11comp_targetILNS1_3genE5ELNS1_11target_archE942ELNS1_3gpuE9ELNS1_3repE0EEENS1_30default_config_static_selectorELNS0_4arch9wavefront6targetE1EEEvT1_.kd
    .uniform_work_group_size: 1
    .uses_dynamic_stack: false
    .vgpr_count:     0
    .vgpr_spill_count: 0
    .wavefront_size: 64
  - .agpr_count:     0
    .args:
      - .offset:         0
        .size:           32
        .value_kind:     by_value
    .group_segment_fixed_size: 5120
    .kernarg_segment_align: 8
    .kernarg_segment_size: 32
    .language:       OpenCL C
    .language_version:
      - 2
      - 0
    .max_flat_workgroup_size: 128
    .name:           _ZN7rocprim17ROCPRIM_400000_NS6detail17trampoline_kernelINS0_14default_configENS1_20scan_config_selectorIiEEZZNS1_9scan_implILNS1_25lookback_scan_determinismE0ELb0ELb1ES3_N6thrust23THRUST_200600_302600_NS6detail15normal_iteratorINS9_10device_ptrIiEEEESE_iNS9_4plusIiEEiEEDaPvRmT3_T4_T5_mT6_P12ihipStream_tbENKUlT_T0_E_clISt17integral_constantIbLb0EESU_EEDaSP_SQ_EUlSP_E0_NS1_11comp_targetILNS1_3genE4ELNS1_11target_archE910ELNS1_3gpuE8ELNS1_3repE0EEENS1_30default_config_static_selectorELNS0_4arch9wavefront6targetE1EEEvT1_
    .private_segment_fixed_size: 0
    .sgpr_count:     30
    .sgpr_spill_count: 0
    .symbol:         _ZN7rocprim17ROCPRIM_400000_NS6detail17trampoline_kernelINS0_14default_configENS1_20scan_config_selectorIiEEZZNS1_9scan_implILNS1_25lookback_scan_determinismE0ELb0ELb1ES3_N6thrust23THRUST_200600_302600_NS6detail15normal_iteratorINS9_10device_ptrIiEEEESE_iNS9_4plusIiEEiEEDaPvRmT3_T4_T5_mT6_P12ihipStream_tbENKUlT_T0_E_clISt17integral_constantIbLb0EESU_EEDaSP_SQ_EUlSP_E0_NS1_11comp_targetILNS1_3genE4ELNS1_11target_archE910ELNS1_3gpuE8ELNS1_3repE0EEENS1_30default_config_static_selectorELNS0_4arch9wavefront6targetE1EEEvT1_.kd
    .uniform_work_group_size: 1
    .uses_dynamic_stack: false
    .vgpr_count:     26
    .vgpr_spill_count: 0
    .wavefront_size: 64
  - .agpr_count:     0
    .args:
      - .offset:         0
        .size:           32
        .value_kind:     by_value
    .group_segment_fixed_size: 0
    .kernarg_segment_align: 8
    .kernarg_segment_size: 32
    .language:       OpenCL C
    .language_version:
      - 2
      - 0
    .max_flat_workgroup_size: 256
    .name:           _ZN7rocprim17ROCPRIM_400000_NS6detail17trampoline_kernelINS0_14default_configENS1_20scan_config_selectorIiEEZZNS1_9scan_implILNS1_25lookback_scan_determinismE0ELb0ELb1ES3_N6thrust23THRUST_200600_302600_NS6detail15normal_iteratorINS9_10device_ptrIiEEEESE_iNS9_4plusIiEEiEEDaPvRmT3_T4_T5_mT6_P12ihipStream_tbENKUlT_T0_E_clISt17integral_constantIbLb0EESU_EEDaSP_SQ_EUlSP_E0_NS1_11comp_targetILNS1_3genE3ELNS1_11target_archE908ELNS1_3gpuE7ELNS1_3repE0EEENS1_30default_config_static_selectorELNS0_4arch9wavefront6targetE1EEEvT1_
    .private_segment_fixed_size: 0
    .sgpr_count:     4
    .sgpr_spill_count: 0
    .symbol:         _ZN7rocprim17ROCPRIM_400000_NS6detail17trampoline_kernelINS0_14default_configENS1_20scan_config_selectorIiEEZZNS1_9scan_implILNS1_25lookback_scan_determinismE0ELb0ELb1ES3_N6thrust23THRUST_200600_302600_NS6detail15normal_iteratorINS9_10device_ptrIiEEEESE_iNS9_4plusIiEEiEEDaPvRmT3_T4_T5_mT6_P12ihipStream_tbENKUlT_T0_E_clISt17integral_constantIbLb0EESU_EEDaSP_SQ_EUlSP_E0_NS1_11comp_targetILNS1_3genE3ELNS1_11target_archE908ELNS1_3gpuE7ELNS1_3repE0EEENS1_30default_config_static_selectorELNS0_4arch9wavefront6targetE1EEEvT1_.kd
    .uniform_work_group_size: 1
    .uses_dynamic_stack: false
    .vgpr_count:     0
    .vgpr_spill_count: 0
    .wavefront_size: 64
  - .agpr_count:     0
    .args:
      - .offset:         0
        .size:           32
        .value_kind:     by_value
    .group_segment_fixed_size: 0
    .kernarg_segment_align: 8
    .kernarg_segment_size: 32
    .language:       OpenCL C
    .language_version:
      - 2
      - 0
    .max_flat_workgroup_size: 256
    .name:           _ZN7rocprim17ROCPRIM_400000_NS6detail17trampoline_kernelINS0_14default_configENS1_20scan_config_selectorIiEEZZNS1_9scan_implILNS1_25lookback_scan_determinismE0ELb0ELb1ES3_N6thrust23THRUST_200600_302600_NS6detail15normal_iteratorINS9_10device_ptrIiEEEESE_iNS9_4plusIiEEiEEDaPvRmT3_T4_T5_mT6_P12ihipStream_tbENKUlT_T0_E_clISt17integral_constantIbLb0EESU_EEDaSP_SQ_EUlSP_E0_NS1_11comp_targetILNS1_3genE2ELNS1_11target_archE906ELNS1_3gpuE6ELNS1_3repE0EEENS1_30default_config_static_selectorELNS0_4arch9wavefront6targetE1EEEvT1_
    .private_segment_fixed_size: 0
    .sgpr_count:     4
    .sgpr_spill_count: 0
    .symbol:         _ZN7rocprim17ROCPRIM_400000_NS6detail17trampoline_kernelINS0_14default_configENS1_20scan_config_selectorIiEEZZNS1_9scan_implILNS1_25lookback_scan_determinismE0ELb0ELb1ES3_N6thrust23THRUST_200600_302600_NS6detail15normal_iteratorINS9_10device_ptrIiEEEESE_iNS9_4plusIiEEiEEDaPvRmT3_T4_T5_mT6_P12ihipStream_tbENKUlT_T0_E_clISt17integral_constantIbLb0EESU_EEDaSP_SQ_EUlSP_E0_NS1_11comp_targetILNS1_3genE2ELNS1_11target_archE906ELNS1_3gpuE6ELNS1_3repE0EEENS1_30default_config_static_selectorELNS0_4arch9wavefront6targetE1EEEvT1_.kd
    .uniform_work_group_size: 1
    .uses_dynamic_stack: false
    .vgpr_count:     0
    .vgpr_spill_count: 0
    .wavefront_size: 64
  - .agpr_count:     0
    .args:
      - .offset:         0
        .size:           32
        .value_kind:     by_value
    .group_segment_fixed_size: 0
    .kernarg_segment_align: 8
    .kernarg_segment_size: 32
    .language:       OpenCL C
    .language_version:
      - 2
      - 0
    .max_flat_workgroup_size: 256
    .name:           _ZN7rocprim17ROCPRIM_400000_NS6detail17trampoline_kernelINS0_14default_configENS1_20scan_config_selectorIiEEZZNS1_9scan_implILNS1_25lookback_scan_determinismE0ELb0ELb1ES3_N6thrust23THRUST_200600_302600_NS6detail15normal_iteratorINS9_10device_ptrIiEEEESE_iNS9_4plusIiEEiEEDaPvRmT3_T4_T5_mT6_P12ihipStream_tbENKUlT_T0_E_clISt17integral_constantIbLb0EESU_EEDaSP_SQ_EUlSP_E0_NS1_11comp_targetILNS1_3genE10ELNS1_11target_archE1201ELNS1_3gpuE5ELNS1_3repE0EEENS1_30default_config_static_selectorELNS0_4arch9wavefront6targetE1EEEvT1_
    .private_segment_fixed_size: 0
    .sgpr_count:     4
    .sgpr_spill_count: 0
    .symbol:         _ZN7rocprim17ROCPRIM_400000_NS6detail17trampoline_kernelINS0_14default_configENS1_20scan_config_selectorIiEEZZNS1_9scan_implILNS1_25lookback_scan_determinismE0ELb0ELb1ES3_N6thrust23THRUST_200600_302600_NS6detail15normal_iteratorINS9_10device_ptrIiEEEESE_iNS9_4plusIiEEiEEDaPvRmT3_T4_T5_mT6_P12ihipStream_tbENKUlT_T0_E_clISt17integral_constantIbLb0EESU_EEDaSP_SQ_EUlSP_E0_NS1_11comp_targetILNS1_3genE10ELNS1_11target_archE1201ELNS1_3gpuE5ELNS1_3repE0EEENS1_30default_config_static_selectorELNS0_4arch9wavefront6targetE1EEEvT1_.kd
    .uniform_work_group_size: 1
    .uses_dynamic_stack: false
    .vgpr_count:     0
    .vgpr_spill_count: 0
    .wavefront_size: 64
  - .agpr_count:     0
    .args:
      - .offset:         0
        .size:           32
        .value_kind:     by_value
    .group_segment_fixed_size: 0
    .kernarg_segment_align: 8
    .kernarg_segment_size: 32
    .language:       OpenCL C
    .language_version:
      - 2
      - 0
    .max_flat_workgroup_size: 256
    .name:           _ZN7rocprim17ROCPRIM_400000_NS6detail17trampoline_kernelINS0_14default_configENS1_20scan_config_selectorIiEEZZNS1_9scan_implILNS1_25lookback_scan_determinismE0ELb0ELb1ES3_N6thrust23THRUST_200600_302600_NS6detail15normal_iteratorINS9_10device_ptrIiEEEESE_iNS9_4plusIiEEiEEDaPvRmT3_T4_T5_mT6_P12ihipStream_tbENKUlT_T0_E_clISt17integral_constantIbLb0EESU_EEDaSP_SQ_EUlSP_E0_NS1_11comp_targetILNS1_3genE10ELNS1_11target_archE1200ELNS1_3gpuE4ELNS1_3repE0EEENS1_30default_config_static_selectorELNS0_4arch9wavefront6targetE1EEEvT1_
    .private_segment_fixed_size: 0
    .sgpr_count:     4
    .sgpr_spill_count: 0
    .symbol:         _ZN7rocprim17ROCPRIM_400000_NS6detail17trampoline_kernelINS0_14default_configENS1_20scan_config_selectorIiEEZZNS1_9scan_implILNS1_25lookback_scan_determinismE0ELb0ELb1ES3_N6thrust23THRUST_200600_302600_NS6detail15normal_iteratorINS9_10device_ptrIiEEEESE_iNS9_4plusIiEEiEEDaPvRmT3_T4_T5_mT6_P12ihipStream_tbENKUlT_T0_E_clISt17integral_constantIbLb0EESU_EEDaSP_SQ_EUlSP_E0_NS1_11comp_targetILNS1_3genE10ELNS1_11target_archE1200ELNS1_3gpuE4ELNS1_3repE0EEENS1_30default_config_static_selectorELNS0_4arch9wavefront6targetE1EEEvT1_.kd
    .uniform_work_group_size: 1
    .uses_dynamic_stack: false
    .vgpr_count:     0
    .vgpr_spill_count: 0
    .wavefront_size: 64
  - .agpr_count:     0
    .args:
      - .offset:         0
        .size:           32
        .value_kind:     by_value
    .group_segment_fixed_size: 0
    .kernarg_segment_align: 8
    .kernarg_segment_size: 32
    .language:       OpenCL C
    .language_version:
      - 2
      - 0
    .max_flat_workgroup_size: 256
    .name:           _ZN7rocprim17ROCPRIM_400000_NS6detail17trampoline_kernelINS0_14default_configENS1_20scan_config_selectorIiEEZZNS1_9scan_implILNS1_25lookback_scan_determinismE0ELb0ELb1ES3_N6thrust23THRUST_200600_302600_NS6detail15normal_iteratorINS9_10device_ptrIiEEEESE_iNS9_4plusIiEEiEEDaPvRmT3_T4_T5_mT6_P12ihipStream_tbENKUlT_T0_E_clISt17integral_constantIbLb0EESU_EEDaSP_SQ_EUlSP_E0_NS1_11comp_targetILNS1_3genE9ELNS1_11target_archE1100ELNS1_3gpuE3ELNS1_3repE0EEENS1_30default_config_static_selectorELNS0_4arch9wavefront6targetE1EEEvT1_
    .private_segment_fixed_size: 0
    .sgpr_count:     4
    .sgpr_spill_count: 0
    .symbol:         _ZN7rocprim17ROCPRIM_400000_NS6detail17trampoline_kernelINS0_14default_configENS1_20scan_config_selectorIiEEZZNS1_9scan_implILNS1_25lookback_scan_determinismE0ELb0ELb1ES3_N6thrust23THRUST_200600_302600_NS6detail15normal_iteratorINS9_10device_ptrIiEEEESE_iNS9_4plusIiEEiEEDaPvRmT3_T4_T5_mT6_P12ihipStream_tbENKUlT_T0_E_clISt17integral_constantIbLb0EESU_EEDaSP_SQ_EUlSP_E0_NS1_11comp_targetILNS1_3genE9ELNS1_11target_archE1100ELNS1_3gpuE3ELNS1_3repE0EEENS1_30default_config_static_selectorELNS0_4arch9wavefront6targetE1EEEvT1_.kd
    .uniform_work_group_size: 1
    .uses_dynamic_stack: false
    .vgpr_count:     0
    .vgpr_spill_count: 0
    .wavefront_size: 64
  - .agpr_count:     0
    .args:
      - .offset:         0
        .size:           32
        .value_kind:     by_value
    .group_segment_fixed_size: 0
    .kernarg_segment_align: 8
    .kernarg_segment_size: 32
    .language:       OpenCL C
    .language_version:
      - 2
      - 0
    .max_flat_workgroup_size: 64
    .name:           _ZN7rocprim17ROCPRIM_400000_NS6detail17trampoline_kernelINS0_14default_configENS1_20scan_config_selectorIiEEZZNS1_9scan_implILNS1_25lookback_scan_determinismE0ELb0ELb1ES3_N6thrust23THRUST_200600_302600_NS6detail15normal_iteratorINS9_10device_ptrIiEEEESE_iNS9_4plusIiEEiEEDaPvRmT3_T4_T5_mT6_P12ihipStream_tbENKUlT_T0_E_clISt17integral_constantIbLb0EESU_EEDaSP_SQ_EUlSP_E0_NS1_11comp_targetILNS1_3genE8ELNS1_11target_archE1030ELNS1_3gpuE2ELNS1_3repE0EEENS1_30default_config_static_selectorELNS0_4arch9wavefront6targetE1EEEvT1_
    .private_segment_fixed_size: 0
    .sgpr_count:     4
    .sgpr_spill_count: 0
    .symbol:         _ZN7rocprim17ROCPRIM_400000_NS6detail17trampoline_kernelINS0_14default_configENS1_20scan_config_selectorIiEEZZNS1_9scan_implILNS1_25lookback_scan_determinismE0ELb0ELb1ES3_N6thrust23THRUST_200600_302600_NS6detail15normal_iteratorINS9_10device_ptrIiEEEESE_iNS9_4plusIiEEiEEDaPvRmT3_T4_T5_mT6_P12ihipStream_tbENKUlT_T0_E_clISt17integral_constantIbLb0EESU_EEDaSP_SQ_EUlSP_E0_NS1_11comp_targetILNS1_3genE8ELNS1_11target_archE1030ELNS1_3gpuE2ELNS1_3repE0EEENS1_30default_config_static_selectorELNS0_4arch9wavefront6targetE1EEEvT1_.kd
    .uniform_work_group_size: 1
    .uses_dynamic_stack: false
    .vgpr_count:     0
    .vgpr_spill_count: 0
    .wavefront_size: 64
  - .agpr_count:     0
    .args:
      - .offset:         0
        .size:           96
        .value_kind:     by_value
    .group_segment_fixed_size: 0
    .kernarg_segment_align: 8
    .kernarg_segment_size: 96
    .language:       OpenCL C
    .language_version:
      - 2
      - 0
    .max_flat_workgroup_size: 256
    .name:           _ZN7rocprim17ROCPRIM_400000_NS6detail17trampoline_kernelINS0_14default_configENS1_20scan_config_selectorIiEEZZNS1_9scan_implILNS1_25lookback_scan_determinismE0ELb0ELb1ES3_N6thrust23THRUST_200600_302600_NS6detail15normal_iteratorINS9_10device_ptrIiEEEESE_iNS9_4plusIiEEiEEDaPvRmT3_T4_T5_mT6_P12ihipStream_tbENKUlT_T0_E_clISt17integral_constantIbLb1EESU_EEDaSP_SQ_EUlSP_E_NS1_11comp_targetILNS1_3genE0ELNS1_11target_archE4294967295ELNS1_3gpuE0ELNS1_3repE0EEENS1_30default_config_static_selectorELNS0_4arch9wavefront6targetE1EEEvT1_
    .private_segment_fixed_size: 0
    .sgpr_count:     4
    .sgpr_spill_count: 0
    .symbol:         _ZN7rocprim17ROCPRIM_400000_NS6detail17trampoline_kernelINS0_14default_configENS1_20scan_config_selectorIiEEZZNS1_9scan_implILNS1_25lookback_scan_determinismE0ELb0ELb1ES3_N6thrust23THRUST_200600_302600_NS6detail15normal_iteratorINS9_10device_ptrIiEEEESE_iNS9_4plusIiEEiEEDaPvRmT3_T4_T5_mT6_P12ihipStream_tbENKUlT_T0_E_clISt17integral_constantIbLb1EESU_EEDaSP_SQ_EUlSP_E_NS1_11comp_targetILNS1_3genE0ELNS1_11target_archE4294967295ELNS1_3gpuE0ELNS1_3repE0EEENS1_30default_config_static_selectorELNS0_4arch9wavefront6targetE1EEEvT1_.kd
    .uniform_work_group_size: 1
    .uses_dynamic_stack: false
    .vgpr_count:     0
    .vgpr_spill_count: 0
    .wavefront_size: 64
  - .agpr_count:     0
    .args:
      - .offset:         0
        .size:           96
        .value_kind:     by_value
    .group_segment_fixed_size: 0
    .kernarg_segment_align: 8
    .kernarg_segment_size: 96
    .language:       OpenCL C
    .language_version:
      - 2
      - 0
    .max_flat_workgroup_size: 256
    .name:           _ZN7rocprim17ROCPRIM_400000_NS6detail17trampoline_kernelINS0_14default_configENS1_20scan_config_selectorIiEEZZNS1_9scan_implILNS1_25lookback_scan_determinismE0ELb0ELb1ES3_N6thrust23THRUST_200600_302600_NS6detail15normal_iteratorINS9_10device_ptrIiEEEESE_iNS9_4plusIiEEiEEDaPvRmT3_T4_T5_mT6_P12ihipStream_tbENKUlT_T0_E_clISt17integral_constantIbLb1EESU_EEDaSP_SQ_EUlSP_E_NS1_11comp_targetILNS1_3genE5ELNS1_11target_archE942ELNS1_3gpuE9ELNS1_3repE0EEENS1_30default_config_static_selectorELNS0_4arch9wavefront6targetE1EEEvT1_
    .private_segment_fixed_size: 0
    .sgpr_count:     4
    .sgpr_spill_count: 0
    .symbol:         _ZN7rocprim17ROCPRIM_400000_NS6detail17trampoline_kernelINS0_14default_configENS1_20scan_config_selectorIiEEZZNS1_9scan_implILNS1_25lookback_scan_determinismE0ELb0ELb1ES3_N6thrust23THRUST_200600_302600_NS6detail15normal_iteratorINS9_10device_ptrIiEEEESE_iNS9_4plusIiEEiEEDaPvRmT3_T4_T5_mT6_P12ihipStream_tbENKUlT_T0_E_clISt17integral_constantIbLb1EESU_EEDaSP_SQ_EUlSP_E_NS1_11comp_targetILNS1_3genE5ELNS1_11target_archE942ELNS1_3gpuE9ELNS1_3repE0EEENS1_30default_config_static_selectorELNS0_4arch9wavefront6targetE1EEEvT1_.kd
    .uniform_work_group_size: 1
    .uses_dynamic_stack: false
    .vgpr_count:     0
    .vgpr_spill_count: 0
    .wavefront_size: 64
  - .agpr_count:     0
    .args:
      - .offset:         0
        .size:           96
        .value_kind:     by_value
    .group_segment_fixed_size: 5120
    .kernarg_segment_align: 8
    .kernarg_segment_size: 96
    .language:       OpenCL C
    .language_version:
      - 2
      - 0
    .max_flat_workgroup_size: 128
    .name:           _ZN7rocprim17ROCPRIM_400000_NS6detail17trampoline_kernelINS0_14default_configENS1_20scan_config_selectorIiEEZZNS1_9scan_implILNS1_25lookback_scan_determinismE0ELb0ELb1ES3_N6thrust23THRUST_200600_302600_NS6detail15normal_iteratorINS9_10device_ptrIiEEEESE_iNS9_4plusIiEEiEEDaPvRmT3_T4_T5_mT6_P12ihipStream_tbENKUlT_T0_E_clISt17integral_constantIbLb1EESU_EEDaSP_SQ_EUlSP_E_NS1_11comp_targetILNS1_3genE4ELNS1_11target_archE910ELNS1_3gpuE8ELNS1_3repE0EEENS1_30default_config_static_selectorELNS0_4arch9wavefront6targetE1EEEvT1_
    .private_segment_fixed_size: 0
    .sgpr_count:     42
    .sgpr_spill_count: 0
    .symbol:         _ZN7rocprim17ROCPRIM_400000_NS6detail17trampoline_kernelINS0_14default_configENS1_20scan_config_selectorIiEEZZNS1_9scan_implILNS1_25lookback_scan_determinismE0ELb0ELb1ES3_N6thrust23THRUST_200600_302600_NS6detail15normal_iteratorINS9_10device_ptrIiEEEESE_iNS9_4plusIiEEiEEDaPvRmT3_T4_T5_mT6_P12ihipStream_tbENKUlT_T0_E_clISt17integral_constantIbLb1EESU_EEDaSP_SQ_EUlSP_E_NS1_11comp_targetILNS1_3genE4ELNS1_11target_archE910ELNS1_3gpuE8ELNS1_3repE0EEENS1_30default_config_static_selectorELNS0_4arch9wavefront6targetE1EEEvT1_.kd
    .uniform_work_group_size: 1
    .uses_dynamic_stack: false
    .vgpr_count:     40
    .vgpr_spill_count: 0
    .wavefront_size: 64
  - .agpr_count:     0
    .args:
      - .offset:         0
        .size:           96
        .value_kind:     by_value
    .group_segment_fixed_size: 0
    .kernarg_segment_align: 8
    .kernarg_segment_size: 96
    .language:       OpenCL C
    .language_version:
      - 2
      - 0
    .max_flat_workgroup_size: 256
    .name:           _ZN7rocprim17ROCPRIM_400000_NS6detail17trampoline_kernelINS0_14default_configENS1_20scan_config_selectorIiEEZZNS1_9scan_implILNS1_25lookback_scan_determinismE0ELb0ELb1ES3_N6thrust23THRUST_200600_302600_NS6detail15normal_iteratorINS9_10device_ptrIiEEEESE_iNS9_4plusIiEEiEEDaPvRmT3_T4_T5_mT6_P12ihipStream_tbENKUlT_T0_E_clISt17integral_constantIbLb1EESU_EEDaSP_SQ_EUlSP_E_NS1_11comp_targetILNS1_3genE3ELNS1_11target_archE908ELNS1_3gpuE7ELNS1_3repE0EEENS1_30default_config_static_selectorELNS0_4arch9wavefront6targetE1EEEvT1_
    .private_segment_fixed_size: 0
    .sgpr_count:     4
    .sgpr_spill_count: 0
    .symbol:         _ZN7rocprim17ROCPRIM_400000_NS6detail17trampoline_kernelINS0_14default_configENS1_20scan_config_selectorIiEEZZNS1_9scan_implILNS1_25lookback_scan_determinismE0ELb0ELb1ES3_N6thrust23THRUST_200600_302600_NS6detail15normal_iteratorINS9_10device_ptrIiEEEESE_iNS9_4plusIiEEiEEDaPvRmT3_T4_T5_mT6_P12ihipStream_tbENKUlT_T0_E_clISt17integral_constantIbLb1EESU_EEDaSP_SQ_EUlSP_E_NS1_11comp_targetILNS1_3genE3ELNS1_11target_archE908ELNS1_3gpuE7ELNS1_3repE0EEENS1_30default_config_static_selectorELNS0_4arch9wavefront6targetE1EEEvT1_.kd
    .uniform_work_group_size: 1
    .uses_dynamic_stack: false
    .vgpr_count:     0
    .vgpr_spill_count: 0
    .wavefront_size: 64
  - .agpr_count:     0
    .args:
      - .offset:         0
        .size:           96
        .value_kind:     by_value
    .group_segment_fixed_size: 0
    .kernarg_segment_align: 8
    .kernarg_segment_size: 96
    .language:       OpenCL C
    .language_version:
      - 2
      - 0
    .max_flat_workgroup_size: 256
    .name:           _ZN7rocprim17ROCPRIM_400000_NS6detail17trampoline_kernelINS0_14default_configENS1_20scan_config_selectorIiEEZZNS1_9scan_implILNS1_25lookback_scan_determinismE0ELb0ELb1ES3_N6thrust23THRUST_200600_302600_NS6detail15normal_iteratorINS9_10device_ptrIiEEEESE_iNS9_4plusIiEEiEEDaPvRmT3_T4_T5_mT6_P12ihipStream_tbENKUlT_T0_E_clISt17integral_constantIbLb1EESU_EEDaSP_SQ_EUlSP_E_NS1_11comp_targetILNS1_3genE2ELNS1_11target_archE906ELNS1_3gpuE6ELNS1_3repE0EEENS1_30default_config_static_selectorELNS0_4arch9wavefront6targetE1EEEvT1_
    .private_segment_fixed_size: 0
    .sgpr_count:     4
    .sgpr_spill_count: 0
    .symbol:         _ZN7rocprim17ROCPRIM_400000_NS6detail17trampoline_kernelINS0_14default_configENS1_20scan_config_selectorIiEEZZNS1_9scan_implILNS1_25lookback_scan_determinismE0ELb0ELb1ES3_N6thrust23THRUST_200600_302600_NS6detail15normal_iteratorINS9_10device_ptrIiEEEESE_iNS9_4plusIiEEiEEDaPvRmT3_T4_T5_mT6_P12ihipStream_tbENKUlT_T0_E_clISt17integral_constantIbLb1EESU_EEDaSP_SQ_EUlSP_E_NS1_11comp_targetILNS1_3genE2ELNS1_11target_archE906ELNS1_3gpuE6ELNS1_3repE0EEENS1_30default_config_static_selectorELNS0_4arch9wavefront6targetE1EEEvT1_.kd
    .uniform_work_group_size: 1
    .uses_dynamic_stack: false
    .vgpr_count:     0
    .vgpr_spill_count: 0
    .wavefront_size: 64
  - .agpr_count:     0
    .args:
      - .offset:         0
        .size:           96
        .value_kind:     by_value
    .group_segment_fixed_size: 0
    .kernarg_segment_align: 8
    .kernarg_segment_size: 96
    .language:       OpenCL C
    .language_version:
      - 2
      - 0
    .max_flat_workgroup_size: 256
    .name:           _ZN7rocprim17ROCPRIM_400000_NS6detail17trampoline_kernelINS0_14default_configENS1_20scan_config_selectorIiEEZZNS1_9scan_implILNS1_25lookback_scan_determinismE0ELb0ELb1ES3_N6thrust23THRUST_200600_302600_NS6detail15normal_iteratorINS9_10device_ptrIiEEEESE_iNS9_4plusIiEEiEEDaPvRmT3_T4_T5_mT6_P12ihipStream_tbENKUlT_T0_E_clISt17integral_constantIbLb1EESU_EEDaSP_SQ_EUlSP_E_NS1_11comp_targetILNS1_3genE10ELNS1_11target_archE1201ELNS1_3gpuE5ELNS1_3repE0EEENS1_30default_config_static_selectorELNS0_4arch9wavefront6targetE1EEEvT1_
    .private_segment_fixed_size: 0
    .sgpr_count:     4
    .sgpr_spill_count: 0
    .symbol:         _ZN7rocprim17ROCPRIM_400000_NS6detail17trampoline_kernelINS0_14default_configENS1_20scan_config_selectorIiEEZZNS1_9scan_implILNS1_25lookback_scan_determinismE0ELb0ELb1ES3_N6thrust23THRUST_200600_302600_NS6detail15normal_iteratorINS9_10device_ptrIiEEEESE_iNS9_4plusIiEEiEEDaPvRmT3_T4_T5_mT6_P12ihipStream_tbENKUlT_T0_E_clISt17integral_constantIbLb1EESU_EEDaSP_SQ_EUlSP_E_NS1_11comp_targetILNS1_3genE10ELNS1_11target_archE1201ELNS1_3gpuE5ELNS1_3repE0EEENS1_30default_config_static_selectorELNS0_4arch9wavefront6targetE1EEEvT1_.kd
    .uniform_work_group_size: 1
    .uses_dynamic_stack: false
    .vgpr_count:     0
    .vgpr_spill_count: 0
    .wavefront_size: 64
  - .agpr_count:     0
    .args:
      - .offset:         0
        .size:           96
        .value_kind:     by_value
    .group_segment_fixed_size: 0
    .kernarg_segment_align: 8
    .kernarg_segment_size: 96
    .language:       OpenCL C
    .language_version:
      - 2
      - 0
    .max_flat_workgroup_size: 256
    .name:           _ZN7rocprim17ROCPRIM_400000_NS6detail17trampoline_kernelINS0_14default_configENS1_20scan_config_selectorIiEEZZNS1_9scan_implILNS1_25lookback_scan_determinismE0ELb0ELb1ES3_N6thrust23THRUST_200600_302600_NS6detail15normal_iteratorINS9_10device_ptrIiEEEESE_iNS9_4plusIiEEiEEDaPvRmT3_T4_T5_mT6_P12ihipStream_tbENKUlT_T0_E_clISt17integral_constantIbLb1EESU_EEDaSP_SQ_EUlSP_E_NS1_11comp_targetILNS1_3genE10ELNS1_11target_archE1200ELNS1_3gpuE4ELNS1_3repE0EEENS1_30default_config_static_selectorELNS0_4arch9wavefront6targetE1EEEvT1_
    .private_segment_fixed_size: 0
    .sgpr_count:     4
    .sgpr_spill_count: 0
    .symbol:         _ZN7rocprim17ROCPRIM_400000_NS6detail17trampoline_kernelINS0_14default_configENS1_20scan_config_selectorIiEEZZNS1_9scan_implILNS1_25lookback_scan_determinismE0ELb0ELb1ES3_N6thrust23THRUST_200600_302600_NS6detail15normal_iteratorINS9_10device_ptrIiEEEESE_iNS9_4plusIiEEiEEDaPvRmT3_T4_T5_mT6_P12ihipStream_tbENKUlT_T0_E_clISt17integral_constantIbLb1EESU_EEDaSP_SQ_EUlSP_E_NS1_11comp_targetILNS1_3genE10ELNS1_11target_archE1200ELNS1_3gpuE4ELNS1_3repE0EEENS1_30default_config_static_selectorELNS0_4arch9wavefront6targetE1EEEvT1_.kd
    .uniform_work_group_size: 1
    .uses_dynamic_stack: false
    .vgpr_count:     0
    .vgpr_spill_count: 0
    .wavefront_size: 64
  - .agpr_count:     0
    .args:
      - .offset:         0
        .size:           96
        .value_kind:     by_value
    .group_segment_fixed_size: 0
    .kernarg_segment_align: 8
    .kernarg_segment_size: 96
    .language:       OpenCL C
    .language_version:
      - 2
      - 0
    .max_flat_workgroup_size: 256
    .name:           _ZN7rocprim17ROCPRIM_400000_NS6detail17trampoline_kernelINS0_14default_configENS1_20scan_config_selectorIiEEZZNS1_9scan_implILNS1_25lookback_scan_determinismE0ELb0ELb1ES3_N6thrust23THRUST_200600_302600_NS6detail15normal_iteratorINS9_10device_ptrIiEEEESE_iNS9_4plusIiEEiEEDaPvRmT3_T4_T5_mT6_P12ihipStream_tbENKUlT_T0_E_clISt17integral_constantIbLb1EESU_EEDaSP_SQ_EUlSP_E_NS1_11comp_targetILNS1_3genE9ELNS1_11target_archE1100ELNS1_3gpuE3ELNS1_3repE0EEENS1_30default_config_static_selectorELNS0_4arch9wavefront6targetE1EEEvT1_
    .private_segment_fixed_size: 0
    .sgpr_count:     4
    .sgpr_spill_count: 0
    .symbol:         _ZN7rocprim17ROCPRIM_400000_NS6detail17trampoline_kernelINS0_14default_configENS1_20scan_config_selectorIiEEZZNS1_9scan_implILNS1_25lookback_scan_determinismE0ELb0ELb1ES3_N6thrust23THRUST_200600_302600_NS6detail15normal_iteratorINS9_10device_ptrIiEEEESE_iNS9_4plusIiEEiEEDaPvRmT3_T4_T5_mT6_P12ihipStream_tbENKUlT_T0_E_clISt17integral_constantIbLb1EESU_EEDaSP_SQ_EUlSP_E_NS1_11comp_targetILNS1_3genE9ELNS1_11target_archE1100ELNS1_3gpuE3ELNS1_3repE0EEENS1_30default_config_static_selectorELNS0_4arch9wavefront6targetE1EEEvT1_.kd
    .uniform_work_group_size: 1
    .uses_dynamic_stack: false
    .vgpr_count:     0
    .vgpr_spill_count: 0
    .wavefront_size: 64
  - .agpr_count:     0
    .args:
      - .offset:         0
        .size:           96
        .value_kind:     by_value
    .group_segment_fixed_size: 0
    .kernarg_segment_align: 8
    .kernarg_segment_size: 96
    .language:       OpenCL C
    .language_version:
      - 2
      - 0
    .max_flat_workgroup_size: 64
    .name:           _ZN7rocprim17ROCPRIM_400000_NS6detail17trampoline_kernelINS0_14default_configENS1_20scan_config_selectorIiEEZZNS1_9scan_implILNS1_25lookback_scan_determinismE0ELb0ELb1ES3_N6thrust23THRUST_200600_302600_NS6detail15normal_iteratorINS9_10device_ptrIiEEEESE_iNS9_4plusIiEEiEEDaPvRmT3_T4_T5_mT6_P12ihipStream_tbENKUlT_T0_E_clISt17integral_constantIbLb1EESU_EEDaSP_SQ_EUlSP_E_NS1_11comp_targetILNS1_3genE8ELNS1_11target_archE1030ELNS1_3gpuE2ELNS1_3repE0EEENS1_30default_config_static_selectorELNS0_4arch9wavefront6targetE1EEEvT1_
    .private_segment_fixed_size: 0
    .sgpr_count:     4
    .sgpr_spill_count: 0
    .symbol:         _ZN7rocprim17ROCPRIM_400000_NS6detail17trampoline_kernelINS0_14default_configENS1_20scan_config_selectorIiEEZZNS1_9scan_implILNS1_25lookback_scan_determinismE0ELb0ELb1ES3_N6thrust23THRUST_200600_302600_NS6detail15normal_iteratorINS9_10device_ptrIiEEEESE_iNS9_4plusIiEEiEEDaPvRmT3_T4_T5_mT6_P12ihipStream_tbENKUlT_T0_E_clISt17integral_constantIbLb1EESU_EEDaSP_SQ_EUlSP_E_NS1_11comp_targetILNS1_3genE8ELNS1_11target_archE1030ELNS1_3gpuE2ELNS1_3repE0EEENS1_30default_config_static_selectorELNS0_4arch9wavefront6targetE1EEEvT1_.kd
    .uniform_work_group_size: 1
    .uses_dynamic_stack: false
    .vgpr_count:     0
    .vgpr_spill_count: 0
    .wavefront_size: 64
  - .agpr_count:     0
    .args:
      - .offset:         0
        .size:           32
        .value_kind:     by_value
    .group_segment_fixed_size: 0
    .kernarg_segment_align: 8
    .kernarg_segment_size: 32
    .language:       OpenCL C
    .language_version:
      - 2
      - 0
    .max_flat_workgroup_size: 256
    .name:           _ZN7rocprim17ROCPRIM_400000_NS6detail17trampoline_kernelINS0_14default_configENS1_20scan_config_selectorIiEEZZNS1_9scan_implILNS1_25lookback_scan_determinismE0ELb0ELb1ES3_N6thrust23THRUST_200600_302600_NS6detail15normal_iteratorINS9_10device_ptrIiEEEESE_iNS9_4plusIiEEiEEDaPvRmT3_T4_T5_mT6_P12ihipStream_tbENKUlT_T0_E_clISt17integral_constantIbLb1EESU_EEDaSP_SQ_EUlSP_E0_NS1_11comp_targetILNS1_3genE0ELNS1_11target_archE4294967295ELNS1_3gpuE0ELNS1_3repE0EEENS1_30default_config_static_selectorELNS0_4arch9wavefront6targetE1EEEvT1_
    .private_segment_fixed_size: 0
    .sgpr_count:     4
    .sgpr_spill_count: 0
    .symbol:         _ZN7rocprim17ROCPRIM_400000_NS6detail17trampoline_kernelINS0_14default_configENS1_20scan_config_selectorIiEEZZNS1_9scan_implILNS1_25lookback_scan_determinismE0ELb0ELb1ES3_N6thrust23THRUST_200600_302600_NS6detail15normal_iteratorINS9_10device_ptrIiEEEESE_iNS9_4plusIiEEiEEDaPvRmT3_T4_T5_mT6_P12ihipStream_tbENKUlT_T0_E_clISt17integral_constantIbLb1EESU_EEDaSP_SQ_EUlSP_E0_NS1_11comp_targetILNS1_3genE0ELNS1_11target_archE4294967295ELNS1_3gpuE0ELNS1_3repE0EEENS1_30default_config_static_selectorELNS0_4arch9wavefront6targetE1EEEvT1_.kd
    .uniform_work_group_size: 1
    .uses_dynamic_stack: false
    .vgpr_count:     0
    .vgpr_spill_count: 0
    .wavefront_size: 64
  - .agpr_count:     0
    .args:
      - .offset:         0
        .size:           32
        .value_kind:     by_value
    .group_segment_fixed_size: 0
    .kernarg_segment_align: 8
    .kernarg_segment_size: 32
    .language:       OpenCL C
    .language_version:
      - 2
      - 0
    .max_flat_workgroup_size: 256
    .name:           _ZN7rocprim17ROCPRIM_400000_NS6detail17trampoline_kernelINS0_14default_configENS1_20scan_config_selectorIiEEZZNS1_9scan_implILNS1_25lookback_scan_determinismE0ELb0ELb1ES3_N6thrust23THRUST_200600_302600_NS6detail15normal_iteratorINS9_10device_ptrIiEEEESE_iNS9_4plusIiEEiEEDaPvRmT3_T4_T5_mT6_P12ihipStream_tbENKUlT_T0_E_clISt17integral_constantIbLb1EESU_EEDaSP_SQ_EUlSP_E0_NS1_11comp_targetILNS1_3genE5ELNS1_11target_archE942ELNS1_3gpuE9ELNS1_3repE0EEENS1_30default_config_static_selectorELNS0_4arch9wavefront6targetE1EEEvT1_
    .private_segment_fixed_size: 0
    .sgpr_count:     4
    .sgpr_spill_count: 0
    .symbol:         _ZN7rocprim17ROCPRIM_400000_NS6detail17trampoline_kernelINS0_14default_configENS1_20scan_config_selectorIiEEZZNS1_9scan_implILNS1_25lookback_scan_determinismE0ELb0ELb1ES3_N6thrust23THRUST_200600_302600_NS6detail15normal_iteratorINS9_10device_ptrIiEEEESE_iNS9_4plusIiEEiEEDaPvRmT3_T4_T5_mT6_P12ihipStream_tbENKUlT_T0_E_clISt17integral_constantIbLb1EESU_EEDaSP_SQ_EUlSP_E0_NS1_11comp_targetILNS1_3genE5ELNS1_11target_archE942ELNS1_3gpuE9ELNS1_3repE0EEENS1_30default_config_static_selectorELNS0_4arch9wavefront6targetE1EEEvT1_.kd
    .uniform_work_group_size: 1
    .uses_dynamic_stack: false
    .vgpr_count:     0
    .vgpr_spill_count: 0
    .wavefront_size: 64
  - .agpr_count:     0
    .args:
      - .offset:         0
        .size:           32
        .value_kind:     by_value
    .group_segment_fixed_size: 5120
    .kernarg_segment_align: 8
    .kernarg_segment_size: 32
    .language:       OpenCL C
    .language_version:
      - 2
      - 0
    .max_flat_workgroup_size: 128
    .name:           _ZN7rocprim17ROCPRIM_400000_NS6detail17trampoline_kernelINS0_14default_configENS1_20scan_config_selectorIiEEZZNS1_9scan_implILNS1_25lookback_scan_determinismE0ELb0ELb1ES3_N6thrust23THRUST_200600_302600_NS6detail15normal_iteratorINS9_10device_ptrIiEEEESE_iNS9_4plusIiEEiEEDaPvRmT3_T4_T5_mT6_P12ihipStream_tbENKUlT_T0_E_clISt17integral_constantIbLb1EESU_EEDaSP_SQ_EUlSP_E0_NS1_11comp_targetILNS1_3genE4ELNS1_11target_archE910ELNS1_3gpuE8ELNS1_3repE0EEENS1_30default_config_static_selectorELNS0_4arch9wavefront6targetE1EEEvT1_
    .private_segment_fixed_size: 0
    .sgpr_count:     30
    .sgpr_spill_count: 0
    .symbol:         _ZN7rocprim17ROCPRIM_400000_NS6detail17trampoline_kernelINS0_14default_configENS1_20scan_config_selectorIiEEZZNS1_9scan_implILNS1_25lookback_scan_determinismE0ELb0ELb1ES3_N6thrust23THRUST_200600_302600_NS6detail15normal_iteratorINS9_10device_ptrIiEEEESE_iNS9_4plusIiEEiEEDaPvRmT3_T4_T5_mT6_P12ihipStream_tbENKUlT_T0_E_clISt17integral_constantIbLb1EESU_EEDaSP_SQ_EUlSP_E0_NS1_11comp_targetILNS1_3genE4ELNS1_11target_archE910ELNS1_3gpuE8ELNS1_3repE0EEENS1_30default_config_static_selectorELNS0_4arch9wavefront6targetE1EEEvT1_.kd
    .uniform_work_group_size: 1
    .uses_dynamic_stack: false
    .vgpr_count:     26
    .vgpr_spill_count: 0
    .wavefront_size: 64
  - .agpr_count:     0
    .args:
      - .offset:         0
        .size:           32
        .value_kind:     by_value
    .group_segment_fixed_size: 0
    .kernarg_segment_align: 8
    .kernarg_segment_size: 32
    .language:       OpenCL C
    .language_version:
      - 2
      - 0
    .max_flat_workgroup_size: 256
    .name:           _ZN7rocprim17ROCPRIM_400000_NS6detail17trampoline_kernelINS0_14default_configENS1_20scan_config_selectorIiEEZZNS1_9scan_implILNS1_25lookback_scan_determinismE0ELb0ELb1ES3_N6thrust23THRUST_200600_302600_NS6detail15normal_iteratorINS9_10device_ptrIiEEEESE_iNS9_4plusIiEEiEEDaPvRmT3_T4_T5_mT6_P12ihipStream_tbENKUlT_T0_E_clISt17integral_constantIbLb1EESU_EEDaSP_SQ_EUlSP_E0_NS1_11comp_targetILNS1_3genE3ELNS1_11target_archE908ELNS1_3gpuE7ELNS1_3repE0EEENS1_30default_config_static_selectorELNS0_4arch9wavefront6targetE1EEEvT1_
    .private_segment_fixed_size: 0
    .sgpr_count:     4
    .sgpr_spill_count: 0
    .symbol:         _ZN7rocprim17ROCPRIM_400000_NS6detail17trampoline_kernelINS0_14default_configENS1_20scan_config_selectorIiEEZZNS1_9scan_implILNS1_25lookback_scan_determinismE0ELb0ELb1ES3_N6thrust23THRUST_200600_302600_NS6detail15normal_iteratorINS9_10device_ptrIiEEEESE_iNS9_4plusIiEEiEEDaPvRmT3_T4_T5_mT6_P12ihipStream_tbENKUlT_T0_E_clISt17integral_constantIbLb1EESU_EEDaSP_SQ_EUlSP_E0_NS1_11comp_targetILNS1_3genE3ELNS1_11target_archE908ELNS1_3gpuE7ELNS1_3repE0EEENS1_30default_config_static_selectorELNS0_4arch9wavefront6targetE1EEEvT1_.kd
    .uniform_work_group_size: 1
    .uses_dynamic_stack: false
    .vgpr_count:     0
    .vgpr_spill_count: 0
    .wavefront_size: 64
  - .agpr_count:     0
    .args:
      - .offset:         0
        .size:           32
        .value_kind:     by_value
    .group_segment_fixed_size: 0
    .kernarg_segment_align: 8
    .kernarg_segment_size: 32
    .language:       OpenCL C
    .language_version:
      - 2
      - 0
    .max_flat_workgroup_size: 256
    .name:           _ZN7rocprim17ROCPRIM_400000_NS6detail17trampoline_kernelINS0_14default_configENS1_20scan_config_selectorIiEEZZNS1_9scan_implILNS1_25lookback_scan_determinismE0ELb0ELb1ES3_N6thrust23THRUST_200600_302600_NS6detail15normal_iteratorINS9_10device_ptrIiEEEESE_iNS9_4plusIiEEiEEDaPvRmT3_T4_T5_mT6_P12ihipStream_tbENKUlT_T0_E_clISt17integral_constantIbLb1EESU_EEDaSP_SQ_EUlSP_E0_NS1_11comp_targetILNS1_3genE2ELNS1_11target_archE906ELNS1_3gpuE6ELNS1_3repE0EEENS1_30default_config_static_selectorELNS0_4arch9wavefront6targetE1EEEvT1_
    .private_segment_fixed_size: 0
    .sgpr_count:     4
    .sgpr_spill_count: 0
    .symbol:         _ZN7rocprim17ROCPRIM_400000_NS6detail17trampoline_kernelINS0_14default_configENS1_20scan_config_selectorIiEEZZNS1_9scan_implILNS1_25lookback_scan_determinismE0ELb0ELb1ES3_N6thrust23THRUST_200600_302600_NS6detail15normal_iteratorINS9_10device_ptrIiEEEESE_iNS9_4plusIiEEiEEDaPvRmT3_T4_T5_mT6_P12ihipStream_tbENKUlT_T0_E_clISt17integral_constantIbLb1EESU_EEDaSP_SQ_EUlSP_E0_NS1_11comp_targetILNS1_3genE2ELNS1_11target_archE906ELNS1_3gpuE6ELNS1_3repE0EEENS1_30default_config_static_selectorELNS0_4arch9wavefront6targetE1EEEvT1_.kd
    .uniform_work_group_size: 1
    .uses_dynamic_stack: false
    .vgpr_count:     0
    .vgpr_spill_count: 0
    .wavefront_size: 64
  - .agpr_count:     0
    .args:
      - .offset:         0
        .size:           32
        .value_kind:     by_value
    .group_segment_fixed_size: 0
    .kernarg_segment_align: 8
    .kernarg_segment_size: 32
    .language:       OpenCL C
    .language_version:
      - 2
      - 0
    .max_flat_workgroup_size: 256
    .name:           _ZN7rocprim17ROCPRIM_400000_NS6detail17trampoline_kernelINS0_14default_configENS1_20scan_config_selectorIiEEZZNS1_9scan_implILNS1_25lookback_scan_determinismE0ELb0ELb1ES3_N6thrust23THRUST_200600_302600_NS6detail15normal_iteratorINS9_10device_ptrIiEEEESE_iNS9_4plusIiEEiEEDaPvRmT3_T4_T5_mT6_P12ihipStream_tbENKUlT_T0_E_clISt17integral_constantIbLb1EESU_EEDaSP_SQ_EUlSP_E0_NS1_11comp_targetILNS1_3genE10ELNS1_11target_archE1201ELNS1_3gpuE5ELNS1_3repE0EEENS1_30default_config_static_selectorELNS0_4arch9wavefront6targetE1EEEvT1_
    .private_segment_fixed_size: 0
    .sgpr_count:     4
    .sgpr_spill_count: 0
    .symbol:         _ZN7rocprim17ROCPRIM_400000_NS6detail17trampoline_kernelINS0_14default_configENS1_20scan_config_selectorIiEEZZNS1_9scan_implILNS1_25lookback_scan_determinismE0ELb0ELb1ES3_N6thrust23THRUST_200600_302600_NS6detail15normal_iteratorINS9_10device_ptrIiEEEESE_iNS9_4plusIiEEiEEDaPvRmT3_T4_T5_mT6_P12ihipStream_tbENKUlT_T0_E_clISt17integral_constantIbLb1EESU_EEDaSP_SQ_EUlSP_E0_NS1_11comp_targetILNS1_3genE10ELNS1_11target_archE1201ELNS1_3gpuE5ELNS1_3repE0EEENS1_30default_config_static_selectorELNS0_4arch9wavefront6targetE1EEEvT1_.kd
    .uniform_work_group_size: 1
    .uses_dynamic_stack: false
    .vgpr_count:     0
    .vgpr_spill_count: 0
    .wavefront_size: 64
  - .agpr_count:     0
    .args:
      - .offset:         0
        .size:           32
        .value_kind:     by_value
    .group_segment_fixed_size: 0
    .kernarg_segment_align: 8
    .kernarg_segment_size: 32
    .language:       OpenCL C
    .language_version:
      - 2
      - 0
    .max_flat_workgroup_size: 256
    .name:           _ZN7rocprim17ROCPRIM_400000_NS6detail17trampoline_kernelINS0_14default_configENS1_20scan_config_selectorIiEEZZNS1_9scan_implILNS1_25lookback_scan_determinismE0ELb0ELb1ES3_N6thrust23THRUST_200600_302600_NS6detail15normal_iteratorINS9_10device_ptrIiEEEESE_iNS9_4plusIiEEiEEDaPvRmT3_T4_T5_mT6_P12ihipStream_tbENKUlT_T0_E_clISt17integral_constantIbLb1EESU_EEDaSP_SQ_EUlSP_E0_NS1_11comp_targetILNS1_3genE10ELNS1_11target_archE1200ELNS1_3gpuE4ELNS1_3repE0EEENS1_30default_config_static_selectorELNS0_4arch9wavefront6targetE1EEEvT1_
    .private_segment_fixed_size: 0
    .sgpr_count:     4
    .sgpr_spill_count: 0
    .symbol:         _ZN7rocprim17ROCPRIM_400000_NS6detail17trampoline_kernelINS0_14default_configENS1_20scan_config_selectorIiEEZZNS1_9scan_implILNS1_25lookback_scan_determinismE0ELb0ELb1ES3_N6thrust23THRUST_200600_302600_NS6detail15normal_iteratorINS9_10device_ptrIiEEEESE_iNS9_4plusIiEEiEEDaPvRmT3_T4_T5_mT6_P12ihipStream_tbENKUlT_T0_E_clISt17integral_constantIbLb1EESU_EEDaSP_SQ_EUlSP_E0_NS1_11comp_targetILNS1_3genE10ELNS1_11target_archE1200ELNS1_3gpuE4ELNS1_3repE0EEENS1_30default_config_static_selectorELNS0_4arch9wavefront6targetE1EEEvT1_.kd
    .uniform_work_group_size: 1
    .uses_dynamic_stack: false
    .vgpr_count:     0
    .vgpr_spill_count: 0
    .wavefront_size: 64
  - .agpr_count:     0
    .args:
      - .offset:         0
        .size:           32
        .value_kind:     by_value
    .group_segment_fixed_size: 0
    .kernarg_segment_align: 8
    .kernarg_segment_size: 32
    .language:       OpenCL C
    .language_version:
      - 2
      - 0
    .max_flat_workgroup_size: 256
    .name:           _ZN7rocprim17ROCPRIM_400000_NS6detail17trampoline_kernelINS0_14default_configENS1_20scan_config_selectorIiEEZZNS1_9scan_implILNS1_25lookback_scan_determinismE0ELb0ELb1ES3_N6thrust23THRUST_200600_302600_NS6detail15normal_iteratorINS9_10device_ptrIiEEEESE_iNS9_4plusIiEEiEEDaPvRmT3_T4_T5_mT6_P12ihipStream_tbENKUlT_T0_E_clISt17integral_constantIbLb1EESU_EEDaSP_SQ_EUlSP_E0_NS1_11comp_targetILNS1_3genE9ELNS1_11target_archE1100ELNS1_3gpuE3ELNS1_3repE0EEENS1_30default_config_static_selectorELNS0_4arch9wavefront6targetE1EEEvT1_
    .private_segment_fixed_size: 0
    .sgpr_count:     4
    .sgpr_spill_count: 0
    .symbol:         _ZN7rocprim17ROCPRIM_400000_NS6detail17trampoline_kernelINS0_14default_configENS1_20scan_config_selectorIiEEZZNS1_9scan_implILNS1_25lookback_scan_determinismE0ELb0ELb1ES3_N6thrust23THRUST_200600_302600_NS6detail15normal_iteratorINS9_10device_ptrIiEEEESE_iNS9_4plusIiEEiEEDaPvRmT3_T4_T5_mT6_P12ihipStream_tbENKUlT_T0_E_clISt17integral_constantIbLb1EESU_EEDaSP_SQ_EUlSP_E0_NS1_11comp_targetILNS1_3genE9ELNS1_11target_archE1100ELNS1_3gpuE3ELNS1_3repE0EEENS1_30default_config_static_selectorELNS0_4arch9wavefront6targetE1EEEvT1_.kd
    .uniform_work_group_size: 1
    .uses_dynamic_stack: false
    .vgpr_count:     0
    .vgpr_spill_count: 0
    .wavefront_size: 64
  - .agpr_count:     0
    .args:
      - .offset:         0
        .size:           32
        .value_kind:     by_value
    .group_segment_fixed_size: 0
    .kernarg_segment_align: 8
    .kernarg_segment_size: 32
    .language:       OpenCL C
    .language_version:
      - 2
      - 0
    .max_flat_workgroup_size: 64
    .name:           _ZN7rocprim17ROCPRIM_400000_NS6detail17trampoline_kernelINS0_14default_configENS1_20scan_config_selectorIiEEZZNS1_9scan_implILNS1_25lookback_scan_determinismE0ELb0ELb1ES3_N6thrust23THRUST_200600_302600_NS6detail15normal_iteratorINS9_10device_ptrIiEEEESE_iNS9_4plusIiEEiEEDaPvRmT3_T4_T5_mT6_P12ihipStream_tbENKUlT_T0_E_clISt17integral_constantIbLb1EESU_EEDaSP_SQ_EUlSP_E0_NS1_11comp_targetILNS1_3genE8ELNS1_11target_archE1030ELNS1_3gpuE2ELNS1_3repE0EEENS1_30default_config_static_selectorELNS0_4arch9wavefront6targetE1EEEvT1_
    .private_segment_fixed_size: 0
    .sgpr_count:     4
    .sgpr_spill_count: 0
    .symbol:         _ZN7rocprim17ROCPRIM_400000_NS6detail17trampoline_kernelINS0_14default_configENS1_20scan_config_selectorIiEEZZNS1_9scan_implILNS1_25lookback_scan_determinismE0ELb0ELb1ES3_N6thrust23THRUST_200600_302600_NS6detail15normal_iteratorINS9_10device_ptrIiEEEESE_iNS9_4plusIiEEiEEDaPvRmT3_T4_T5_mT6_P12ihipStream_tbENKUlT_T0_E_clISt17integral_constantIbLb1EESU_EEDaSP_SQ_EUlSP_E0_NS1_11comp_targetILNS1_3genE8ELNS1_11target_archE1030ELNS1_3gpuE2ELNS1_3repE0EEENS1_30default_config_static_selectorELNS0_4arch9wavefront6targetE1EEEvT1_.kd
    .uniform_work_group_size: 1
    .uses_dynamic_stack: false
    .vgpr_count:     0
    .vgpr_spill_count: 0
    .wavefront_size: 64
  - .agpr_count:     0
    .args:
      - .offset:         0
        .size:           96
        .value_kind:     by_value
    .group_segment_fixed_size: 0
    .kernarg_segment_align: 8
    .kernarg_segment_size: 96
    .language:       OpenCL C
    .language_version:
      - 2
      - 0
    .max_flat_workgroup_size: 256
    .name:           _ZN7rocprim17ROCPRIM_400000_NS6detail17trampoline_kernelINS0_14default_configENS1_20scan_config_selectorIiEEZZNS1_9scan_implILNS1_25lookback_scan_determinismE0ELb0ELb1ES3_N6thrust23THRUST_200600_302600_NS6detail15normal_iteratorINS9_10device_ptrIiEEEESE_iNS9_4plusIiEEiEEDaPvRmT3_T4_T5_mT6_P12ihipStream_tbENKUlT_T0_E_clISt17integral_constantIbLb1EEST_IbLb0EEEEDaSP_SQ_EUlSP_E_NS1_11comp_targetILNS1_3genE0ELNS1_11target_archE4294967295ELNS1_3gpuE0ELNS1_3repE0EEENS1_30default_config_static_selectorELNS0_4arch9wavefront6targetE1EEEvT1_
    .private_segment_fixed_size: 0
    .sgpr_count:     4
    .sgpr_spill_count: 0
    .symbol:         _ZN7rocprim17ROCPRIM_400000_NS6detail17trampoline_kernelINS0_14default_configENS1_20scan_config_selectorIiEEZZNS1_9scan_implILNS1_25lookback_scan_determinismE0ELb0ELb1ES3_N6thrust23THRUST_200600_302600_NS6detail15normal_iteratorINS9_10device_ptrIiEEEESE_iNS9_4plusIiEEiEEDaPvRmT3_T4_T5_mT6_P12ihipStream_tbENKUlT_T0_E_clISt17integral_constantIbLb1EEST_IbLb0EEEEDaSP_SQ_EUlSP_E_NS1_11comp_targetILNS1_3genE0ELNS1_11target_archE4294967295ELNS1_3gpuE0ELNS1_3repE0EEENS1_30default_config_static_selectorELNS0_4arch9wavefront6targetE1EEEvT1_.kd
    .uniform_work_group_size: 1
    .uses_dynamic_stack: false
    .vgpr_count:     0
    .vgpr_spill_count: 0
    .wavefront_size: 64
  - .agpr_count:     0
    .args:
      - .offset:         0
        .size:           96
        .value_kind:     by_value
    .group_segment_fixed_size: 0
    .kernarg_segment_align: 8
    .kernarg_segment_size: 96
    .language:       OpenCL C
    .language_version:
      - 2
      - 0
    .max_flat_workgroup_size: 256
    .name:           _ZN7rocprim17ROCPRIM_400000_NS6detail17trampoline_kernelINS0_14default_configENS1_20scan_config_selectorIiEEZZNS1_9scan_implILNS1_25lookback_scan_determinismE0ELb0ELb1ES3_N6thrust23THRUST_200600_302600_NS6detail15normal_iteratorINS9_10device_ptrIiEEEESE_iNS9_4plusIiEEiEEDaPvRmT3_T4_T5_mT6_P12ihipStream_tbENKUlT_T0_E_clISt17integral_constantIbLb1EEST_IbLb0EEEEDaSP_SQ_EUlSP_E_NS1_11comp_targetILNS1_3genE5ELNS1_11target_archE942ELNS1_3gpuE9ELNS1_3repE0EEENS1_30default_config_static_selectorELNS0_4arch9wavefront6targetE1EEEvT1_
    .private_segment_fixed_size: 0
    .sgpr_count:     4
    .sgpr_spill_count: 0
    .symbol:         _ZN7rocprim17ROCPRIM_400000_NS6detail17trampoline_kernelINS0_14default_configENS1_20scan_config_selectorIiEEZZNS1_9scan_implILNS1_25lookback_scan_determinismE0ELb0ELb1ES3_N6thrust23THRUST_200600_302600_NS6detail15normal_iteratorINS9_10device_ptrIiEEEESE_iNS9_4plusIiEEiEEDaPvRmT3_T4_T5_mT6_P12ihipStream_tbENKUlT_T0_E_clISt17integral_constantIbLb1EEST_IbLb0EEEEDaSP_SQ_EUlSP_E_NS1_11comp_targetILNS1_3genE5ELNS1_11target_archE942ELNS1_3gpuE9ELNS1_3repE0EEENS1_30default_config_static_selectorELNS0_4arch9wavefront6targetE1EEEvT1_.kd
    .uniform_work_group_size: 1
    .uses_dynamic_stack: false
    .vgpr_count:     0
    .vgpr_spill_count: 0
    .wavefront_size: 64
  - .agpr_count:     0
    .args:
      - .offset:         0
        .size:           96
        .value_kind:     by_value
    .group_segment_fixed_size: 5120
    .kernarg_segment_align: 8
    .kernarg_segment_size: 96
    .language:       OpenCL C
    .language_version:
      - 2
      - 0
    .max_flat_workgroup_size: 128
    .name:           _ZN7rocprim17ROCPRIM_400000_NS6detail17trampoline_kernelINS0_14default_configENS1_20scan_config_selectorIiEEZZNS1_9scan_implILNS1_25lookback_scan_determinismE0ELb0ELb1ES3_N6thrust23THRUST_200600_302600_NS6detail15normal_iteratorINS9_10device_ptrIiEEEESE_iNS9_4plusIiEEiEEDaPvRmT3_T4_T5_mT6_P12ihipStream_tbENKUlT_T0_E_clISt17integral_constantIbLb1EEST_IbLb0EEEEDaSP_SQ_EUlSP_E_NS1_11comp_targetILNS1_3genE4ELNS1_11target_archE910ELNS1_3gpuE8ELNS1_3repE0EEENS1_30default_config_static_selectorELNS0_4arch9wavefront6targetE1EEEvT1_
    .private_segment_fixed_size: 0
    .sgpr_count:     34
    .sgpr_spill_count: 0
    .symbol:         _ZN7rocprim17ROCPRIM_400000_NS6detail17trampoline_kernelINS0_14default_configENS1_20scan_config_selectorIiEEZZNS1_9scan_implILNS1_25lookback_scan_determinismE0ELb0ELb1ES3_N6thrust23THRUST_200600_302600_NS6detail15normal_iteratorINS9_10device_ptrIiEEEESE_iNS9_4plusIiEEiEEDaPvRmT3_T4_T5_mT6_P12ihipStream_tbENKUlT_T0_E_clISt17integral_constantIbLb1EEST_IbLb0EEEEDaSP_SQ_EUlSP_E_NS1_11comp_targetILNS1_3genE4ELNS1_11target_archE910ELNS1_3gpuE8ELNS1_3repE0EEENS1_30default_config_static_selectorELNS0_4arch9wavefront6targetE1EEEvT1_.kd
    .uniform_work_group_size: 1
    .uses_dynamic_stack: false
    .vgpr_count:     40
    .vgpr_spill_count: 0
    .wavefront_size: 64
  - .agpr_count:     0
    .args:
      - .offset:         0
        .size:           96
        .value_kind:     by_value
    .group_segment_fixed_size: 0
    .kernarg_segment_align: 8
    .kernarg_segment_size: 96
    .language:       OpenCL C
    .language_version:
      - 2
      - 0
    .max_flat_workgroup_size: 256
    .name:           _ZN7rocprim17ROCPRIM_400000_NS6detail17trampoline_kernelINS0_14default_configENS1_20scan_config_selectorIiEEZZNS1_9scan_implILNS1_25lookback_scan_determinismE0ELb0ELb1ES3_N6thrust23THRUST_200600_302600_NS6detail15normal_iteratorINS9_10device_ptrIiEEEESE_iNS9_4plusIiEEiEEDaPvRmT3_T4_T5_mT6_P12ihipStream_tbENKUlT_T0_E_clISt17integral_constantIbLb1EEST_IbLb0EEEEDaSP_SQ_EUlSP_E_NS1_11comp_targetILNS1_3genE3ELNS1_11target_archE908ELNS1_3gpuE7ELNS1_3repE0EEENS1_30default_config_static_selectorELNS0_4arch9wavefront6targetE1EEEvT1_
    .private_segment_fixed_size: 0
    .sgpr_count:     4
    .sgpr_spill_count: 0
    .symbol:         _ZN7rocprim17ROCPRIM_400000_NS6detail17trampoline_kernelINS0_14default_configENS1_20scan_config_selectorIiEEZZNS1_9scan_implILNS1_25lookback_scan_determinismE0ELb0ELb1ES3_N6thrust23THRUST_200600_302600_NS6detail15normal_iteratorINS9_10device_ptrIiEEEESE_iNS9_4plusIiEEiEEDaPvRmT3_T4_T5_mT6_P12ihipStream_tbENKUlT_T0_E_clISt17integral_constantIbLb1EEST_IbLb0EEEEDaSP_SQ_EUlSP_E_NS1_11comp_targetILNS1_3genE3ELNS1_11target_archE908ELNS1_3gpuE7ELNS1_3repE0EEENS1_30default_config_static_selectorELNS0_4arch9wavefront6targetE1EEEvT1_.kd
    .uniform_work_group_size: 1
    .uses_dynamic_stack: false
    .vgpr_count:     0
    .vgpr_spill_count: 0
    .wavefront_size: 64
  - .agpr_count:     0
    .args:
      - .offset:         0
        .size:           96
        .value_kind:     by_value
    .group_segment_fixed_size: 0
    .kernarg_segment_align: 8
    .kernarg_segment_size: 96
    .language:       OpenCL C
    .language_version:
      - 2
      - 0
    .max_flat_workgroup_size: 256
    .name:           _ZN7rocprim17ROCPRIM_400000_NS6detail17trampoline_kernelINS0_14default_configENS1_20scan_config_selectorIiEEZZNS1_9scan_implILNS1_25lookback_scan_determinismE0ELb0ELb1ES3_N6thrust23THRUST_200600_302600_NS6detail15normal_iteratorINS9_10device_ptrIiEEEESE_iNS9_4plusIiEEiEEDaPvRmT3_T4_T5_mT6_P12ihipStream_tbENKUlT_T0_E_clISt17integral_constantIbLb1EEST_IbLb0EEEEDaSP_SQ_EUlSP_E_NS1_11comp_targetILNS1_3genE2ELNS1_11target_archE906ELNS1_3gpuE6ELNS1_3repE0EEENS1_30default_config_static_selectorELNS0_4arch9wavefront6targetE1EEEvT1_
    .private_segment_fixed_size: 0
    .sgpr_count:     4
    .sgpr_spill_count: 0
    .symbol:         _ZN7rocprim17ROCPRIM_400000_NS6detail17trampoline_kernelINS0_14default_configENS1_20scan_config_selectorIiEEZZNS1_9scan_implILNS1_25lookback_scan_determinismE0ELb0ELb1ES3_N6thrust23THRUST_200600_302600_NS6detail15normal_iteratorINS9_10device_ptrIiEEEESE_iNS9_4plusIiEEiEEDaPvRmT3_T4_T5_mT6_P12ihipStream_tbENKUlT_T0_E_clISt17integral_constantIbLb1EEST_IbLb0EEEEDaSP_SQ_EUlSP_E_NS1_11comp_targetILNS1_3genE2ELNS1_11target_archE906ELNS1_3gpuE6ELNS1_3repE0EEENS1_30default_config_static_selectorELNS0_4arch9wavefront6targetE1EEEvT1_.kd
    .uniform_work_group_size: 1
    .uses_dynamic_stack: false
    .vgpr_count:     0
    .vgpr_spill_count: 0
    .wavefront_size: 64
  - .agpr_count:     0
    .args:
      - .offset:         0
        .size:           96
        .value_kind:     by_value
    .group_segment_fixed_size: 0
    .kernarg_segment_align: 8
    .kernarg_segment_size: 96
    .language:       OpenCL C
    .language_version:
      - 2
      - 0
    .max_flat_workgroup_size: 256
    .name:           _ZN7rocprim17ROCPRIM_400000_NS6detail17trampoline_kernelINS0_14default_configENS1_20scan_config_selectorIiEEZZNS1_9scan_implILNS1_25lookback_scan_determinismE0ELb0ELb1ES3_N6thrust23THRUST_200600_302600_NS6detail15normal_iteratorINS9_10device_ptrIiEEEESE_iNS9_4plusIiEEiEEDaPvRmT3_T4_T5_mT6_P12ihipStream_tbENKUlT_T0_E_clISt17integral_constantIbLb1EEST_IbLb0EEEEDaSP_SQ_EUlSP_E_NS1_11comp_targetILNS1_3genE10ELNS1_11target_archE1201ELNS1_3gpuE5ELNS1_3repE0EEENS1_30default_config_static_selectorELNS0_4arch9wavefront6targetE1EEEvT1_
    .private_segment_fixed_size: 0
    .sgpr_count:     4
    .sgpr_spill_count: 0
    .symbol:         _ZN7rocprim17ROCPRIM_400000_NS6detail17trampoline_kernelINS0_14default_configENS1_20scan_config_selectorIiEEZZNS1_9scan_implILNS1_25lookback_scan_determinismE0ELb0ELb1ES3_N6thrust23THRUST_200600_302600_NS6detail15normal_iteratorINS9_10device_ptrIiEEEESE_iNS9_4plusIiEEiEEDaPvRmT3_T4_T5_mT6_P12ihipStream_tbENKUlT_T0_E_clISt17integral_constantIbLb1EEST_IbLb0EEEEDaSP_SQ_EUlSP_E_NS1_11comp_targetILNS1_3genE10ELNS1_11target_archE1201ELNS1_3gpuE5ELNS1_3repE0EEENS1_30default_config_static_selectorELNS0_4arch9wavefront6targetE1EEEvT1_.kd
    .uniform_work_group_size: 1
    .uses_dynamic_stack: false
    .vgpr_count:     0
    .vgpr_spill_count: 0
    .wavefront_size: 64
  - .agpr_count:     0
    .args:
      - .offset:         0
        .size:           96
        .value_kind:     by_value
    .group_segment_fixed_size: 0
    .kernarg_segment_align: 8
    .kernarg_segment_size: 96
    .language:       OpenCL C
    .language_version:
      - 2
      - 0
    .max_flat_workgroup_size: 256
    .name:           _ZN7rocprim17ROCPRIM_400000_NS6detail17trampoline_kernelINS0_14default_configENS1_20scan_config_selectorIiEEZZNS1_9scan_implILNS1_25lookback_scan_determinismE0ELb0ELb1ES3_N6thrust23THRUST_200600_302600_NS6detail15normal_iteratorINS9_10device_ptrIiEEEESE_iNS9_4plusIiEEiEEDaPvRmT3_T4_T5_mT6_P12ihipStream_tbENKUlT_T0_E_clISt17integral_constantIbLb1EEST_IbLb0EEEEDaSP_SQ_EUlSP_E_NS1_11comp_targetILNS1_3genE10ELNS1_11target_archE1200ELNS1_3gpuE4ELNS1_3repE0EEENS1_30default_config_static_selectorELNS0_4arch9wavefront6targetE1EEEvT1_
    .private_segment_fixed_size: 0
    .sgpr_count:     4
    .sgpr_spill_count: 0
    .symbol:         _ZN7rocprim17ROCPRIM_400000_NS6detail17trampoline_kernelINS0_14default_configENS1_20scan_config_selectorIiEEZZNS1_9scan_implILNS1_25lookback_scan_determinismE0ELb0ELb1ES3_N6thrust23THRUST_200600_302600_NS6detail15normal_iteratorINS9_10device_ptrIiEEEESE_iNS9_4plusIiEEiEEDaPvRmT3_T4_T5_mT6_P12ihipStream_tbENKUlT_T0_E_clISt17integral_constantIbLb1EEST_IbLb0EEEEDaSP_SQ_EUlSP_E_NS1_11comp_targetILNS1_3genE10ELNS1_11target_archE1200ELNS1_3gpuE4ELNS1_3repE0EEENS1_30default_config_static_selectorELNS0_4arch9wavefront6targetE1EEEvT1_.kd
    .uniform_work_group_size: 1
    .uses_dynamic_stack: false
    .vgpr_count:     0
    .vgpr_spill_count: 0
    .wavefront_size: 64
  - .agpr_count:     0
    .args:
      - .offset:         0
        .size:           96
        .value_kind:     by_value
    .group_segment_fixed_size: 0
    .kernarg_segment_align: 8
    .kernarg_segment_size: 96
    .language:       OpenCL C
    .language_version:
      - 2
      - 0
    .max_flat_workgroup_size: 256
    .name:           _ZN7rocprim17ROCPRIM_400000_NS6detail17trampoline_kernelINS0_14default_configENS1_20scan_config_selectorIiEEZZNS1_9scan_implILNS1_25lookback_scan_determinismE0ELb0ELb1ES3_N6thrust23THRUST_200600_302600_NS6detail15normal_iteratorINS9_10device_ptrIiEEEESE_iNS9_4plusIiEEiEEDaPvRmT3_T4_T5_mT6_P12ihipStream_tbENKUlT_T0_E_clISt17integral_constantIbLb1EEST_IbLb0EEEEDaSP_SQ_EUlSP_E_NS1_11comp_targetILNS1_3genE9ELNS1_11target_archE1100ELNS1_3gpuE3ELNS1_3repE0EEENS1_30default_config_static_selectorELNS0_4arch9wavefront6targetE1EEEvT1_
    .private_segment_fixed_size: 0
    .sgpr_count:     4
    .sgpr_spill_count: 0
    .symbol:         _ZN7rocprim17ROCPRIM_400000_NS6detail17trampoline_kernelINS0_14default_configENS1_20scan_config_selectorIiEEZZNS1_9scan_implILNS1_25lookback_scan_determinismE0ELb0ELb1ES3_N6thrust23THRUST_200600_302600_NS6detail15normal_iteratorINS9_10device_ptrIiEEEESE_iNS9_4plusIiEEiEEDaPvRmT3_T4_T5_mT6_P12ihipStream_tbENKUlT_T0_E_clISt17integral_constantIbLb1EEST_IbLb0EEEEDaSP_SQ_EUlSP_E_NS1_11comp_targetILNS1_3genE9ELNS1_11target_archE1100ELNS1_3gpuE3ELNS1_3repE0EEENS1_30default_config_static_selectorELNS0_4arch9wavefront6targetE1EEEvT1_.kd
    .uniform_work_group_size: 1
    .uses_dynamic_stack: false
    .vgpr_count:     0
    .vgpr_spill_count: 0
    .wavefront_size: 64
  - .agpr_count:     0
    .args:
      - .offset:         0
        .size:           96
        .value_kind:     by_value
    .group_segment_fixed_size: 0
    .kernarg_segment_align: 8
    .kernarg_segment_size: 96
    .language:       OpenCL C
    .language_version:
      - 2
      - 0
    .max_flat_workgroup_size: 64
    .name:           _ZN7rocprim17ROCPRIM_400000_NS6detail17trampoline_kernelINS0_14default_configENS1_20scan_config_selectorIiEEZZNS1_9scan_implILNS1_25lookback_scan_determinismE0ELb0ELb1ES3_N6thrust23THRUST_200600_302600_NS6detail15normal_iteratorINS9_10device_ptrIiEEEESE_iNS9_4plusIiEEiEEDaPvRmT3_T4_T5_mT6_P12ihipStream_tbENKUlT_T0_E_clISt17integral_constantIbLb1EEST_IbLb0EEEEDaSP_SQ_EUlSP_E_NS1_11comp_targetILNS1_3genE8ELNS1_11target_archE1030ELNS1_3gpuE2ELNS1_3repE0EEENS1_30default_config_static_selectorELNS0_4arch9wavefront6targetE1EEEvT1_
    .private_segment_fixed_size: 0
    .sgpr_count:     4
    .sgpr_spill_count: 0
    .symbol:         _ZN7rocprim17ROCPRIM_400000_NS6detail17trampoline_kernelINS0_14default_configENS1_20scan_config_selectorIiEEZZNS1_9scan_implILNS1_25lookback_scan_determinismE0ELb0ELb1ES3_N6thrust23THRUST_200600_302600_NS6detail15normal_iteratorINS9_10device_ptrIiEEEESE_iNS9_4plusIiEEiEEDaPvRmT3_T4_T5_mT6_P12ihipStream_tbENKUlT_T0_E_clISt17integral_constantIbLb1EEST_IbLb0EEEEDaSP_SQ_EUlSP_E_NS1_11comp_targetILNS1_3genE8ELNS1_11target_archE1030ELNS1_3gpuE2ELNS1_3repE0EEENS1_30default_config_static_selectorELNS0_4arch9wavefront6targetE1EEEvT1_.kd
    .uniform_work_group_size: 1
    .uses_dynamic_stack: false
    .vgpr_count:     0
    .vgpr_spill_count: 0
    .wavefront_size: 64
  - .agpr_count:     0
    .args:
      - .offset:         0
        .size:           32
        .value_kind:     by_value
    .group_segment_fixed_size: 0
    .kernarg_segment_align: 8
    .kernarg_segment_size: 32
    .language:       OpenCL C
    .language_version:
      - 2
      - 0
    .max_flat_workgroup_size: 256
    .name:           _ZN7rocprim17ROCPRIM_400000_NS6detail17trampoline_kernelINS0_14default_configENS1_20scan_config_selectorIiEEZZNS1_9scan_implILNS1_25lookback_scan_determinismE0ELb0ELb1ES3_N6thrust23THRUST_200600_302600_NS6detail15normal_iteratorINS9_10device_ptrIiEEEESE_iNS9_4plusIiEEiEEDaPvRmT3_T4_T5_mT6_P12ihipStream_tbENKUlT_T0_E_clISt17integral_constantIbLb1EEST_IbLb0EEEEDaSP_SQ_EUlSP_E0_NS1_11comp_targetILNS1_3genE0ELNS1_11target_archE4294967295ELNS1_3gpuE0ELNS1_3repE0EEENS1_30default_config_static_selectorELNS0_4arch9wavefront6targetE1EEEvT1_
    .private_segment_fixed_size: 0
    .sgpr_count:     4
    .sgpr_spill_count: 0
    .symbol:         _ZN7rocprim17ROCPRIM_400000_NS6detail17trampoline_kernelINS0_14default_configENS1_20scan_config_selectorIiEEZZNS1_9scan_implILNS1_25lookback_scan_determinismE0ELb0ELb1ES3_N6thrust23THRUST_200600_302600_NS6detail15normal_iteratorINS9_10device_ptrIiEEEESE_iNS9_4plusIiEEiEEDaPvRmT3_T4_T5_mT6_P12ihipStream_tbENKUlT_T0_E_clISt17integral_constantIbLb1EEST_IbLb0EEEEDaSP_SQ_EUlSP_E0_NS1_11comp_targetILNS1_3genE0ELNS1_11target_archE4294967295ELNS1_3gpuE0ELNS1_3repE0EEENS1_30default_config_static_selectorELNS0_4arch9wavefront6targetE1EEEvT1_.kd
    .uniform_work_group_size: 1
    .uses_dynamic_stack: false
    .vgpr_count:     0
    .vgpr_spill_count: 0
    .wavefront_size: 64
  - .agpr_count:     0
    .args:
      - .offset:         0
        .size:           32
        .value_kind:     by_value
    .group_segment_fixed_size: 0
    .kernarg_segment_align: 8
    .kernarg_segment_size: 32
    .language:       OpenCL C
    .language_version:
      - 2
      - 0
    .max_flat_workgroup_size: 256
    .name:           _ZN7rocprim17ROCPRIM_400000_NS6detail17trampoline_kernelINS0_14default_configENS1_20scan_config_selectorIiEEZZNS1_9scan_implILNS1_25lookback_scan_determinismE0ELb0ELb1ES3_N6thrust23THRUST_200600_302600_NS6detail15normal_iteratorINS9_10device_ptrIiEEEESE_iNS9_4plusIiEEiEEDaPvRmT3_T4_T5_mT6_P12ihipStream_tbENKUlT_T0_E_clISt17integral_constantIbLb1EEST_IbLb0EEEEDaSP_SQ_EUlSP_E0_NS1_11comp_targetILNS1_3genE5ELNS1_11target_archE942ELNS1_3gpuE9ELNS1_3repE0EEENS1_30default_config_static_selectorELNS0_4arch9wavefront6targetE1EEEvT1_
    .private_segment_fixed_size: 0
    .sgpr_count:     4
    .sgpr_spill_count: 0
    .symbol:         _ZN7rocprim17ROCPRIM_400000_NS6detail17trampoline_kernelINS0_14default_configENS1_20scan_config_selectorIiEEZZNS1_9scan_implILNS1_25lookback_scan_determinismE0ELb0ELb1ES3_N6thrust23THRUST_200600_302600_NS6detail15normal_iteratorINS9_10device_ptrIiEEEESE_iNS9_4plusIiEEiEEDaPvRmT3_T4_T5_mT6_P12ihipStream_tbENKUlT_T0_E_clISt17integral_constantIbLb1EEST_IbLb0EEEEDaSP_SQ_EUlSP_E0_NS1_11comp_targetILNS1_3genE5ELNS1_11target_archE942ELNS1_3gpuE9ELNS1_3repE0EEENS1_30default_config_static_selectorELNS0_4arch9wavefront6targetE1EEEvT1_.kd
    .uniform_work_group_size: 1
    .uses_dynamic_stack: false
    .vgpr_count:     0
    .vgpr_spill_count: 0
    .wavefront_size: 64
  - .agpr_count:     0
    .args:
      - .offset:         0
        .size:           32
        .value_kind:     by_value
    .group_segment_fixed_size: 5120
    .kernarg_segment_align: 8
    .kernarg_segment_size: 32
    .language:       OpenCL C
    .language_version:
      - 2
      - 0
    .max_flat_workgroup_size: 128
    .name:           _ZN7rocprim17ROCPRIM_400000_NS6detail17trampoline_kernelINS0_14default_configENS1_20scan_config_selectorIiEEZZNS1_9scan_implILNS1_25lookback_scan_determinismE0ELb0ELb1ES3_N6thrust23THRUST_200600_302600_NS6detail15normal_iteratorINS9_10device_ptrIiEEEESE_iNS9_4plusIiEEiEEDaPvRmT3_T4_T5_mT6_P12ihipStream_tbENKUlT_T0_E_clISt17integral_constantIbLb1EEST_IbLb0EEEEDaSP_SQ_EUlSP_E0_NS1_11comp_targetILNS1_3genE4ELNS1_11target_archE910ELNS1_3gpuE8ELNS1_3repE0EEENS1_30default_config_static_selectorELNS0_4arch9wavefront6targetE1EEEvT1_
    .private_segment_fixed_size: 0
    .sgpr_count:     30
    .sgpr_spill_count: 0
    .symbol:         _ZN7rocprim17ROCPRIM_400000_NS6detail17trampoline_kernelINS0_14default_configENS1_20scan_config_selectorIiEEZZNS1_9scan_implILNS1_25lookback_scan_determinismE0ELb0ELb1ES3_N6thrust23THRUST_200600_302600_NS6detail15normal_iteratorINS9_10device_ptrIiEEEESE_iNS9_4plusIiEEiEEDaPvRmT3_T4_T5_mT6_P12ihipStream_tbENKUlT_T0_E_clISt17integral_constantIbLb1EEST_IbLb0EEEEDaSP_SQ_EUlSP_E0_NS1_11comp_targetILNS1_3genE4ELNS1_11target_archE910ELNS1_3gpuE8ELNS1_3repE0EEENS1_30default_config_static_selectorELNS0_4arch9wavefront6targetE1EEEvT1_.kd
    .uniform_work_group_size: 1
    .uses_dynamic_stack: false
    .vgpr_count:     26
    .vgpr_spill_count: 0
    .wavefront_size: 64
  - .agpr_count:     0
    .args:
      - .offset:         0
        .size:           32
        .value_kind:     by_value
    .group_segment_fixed_size: 0
    .kernarg_segment_align: 8
    .kernarg_segment_size: 32
    .language:       OpenCL C
    .language_version:
      - 2
      - 0
    .max_flat_workgroup_size: 256
    .name:           _ZN7rocprim17ROCPRIM_400000_NS6detail17trampoline_kernelINS0_14default_configENS1_20scan_config_selectorIiEEZZNS1_9scan_implILNS1_25lookback_scan_determinismE0ELb0ELb1ES3_N6thrust23THRUST_200600_302600_NS6detail15normal_iteratorINS9_10device_ptrIiEEEESE_iNS9_4plusIiEEiEEDaPvRmT3_T4_T5_mT6_P12ihipStream_tbENKUlT_T0_E_clISt17integral_constantIbLb1EEST_IbLb0EEEEDaSP_SQ_EUlSP_E0_NS1_11comp_targetILNS1_3genE3ELNS1_11target_archE908ELNS1_3gpuE7ELNS1_3repE0EEENS1_30default_config_static_selectorELNS0_4arch9wavefront6targetE1EEEvT1_
    .private_segment_fixed_size: 0
    .sgpr_count:     4
    .sgpr_spill_count: 0
    .symbol:         _ZN7rocprim17ROCPRIM_400000_NS6detail17trampoline_kernelINS0_14default_configENS1_20scan_config_selectorIiEEZZNS1_9scan_implILNS1_25lookback_scan_determinismE0ELb0ELb1ES3_N6thrust23THRUST_200600_302600_NS6detail15normal_iteratorINS9_10device_ptrIiEEEESE_iNS9_4plusIiEEiEEDaPvRmT3_T4_T5_mT6_P12ihipStream_tbENKUlT_T0_E_clISt17integral_constantIbLb1EEST_IbLb0EEEEDaSP_SQ_EUlSP_E0_NS1_11comp_targetILNS1_3genE3ELNS1_11target_archE908ELNS1_3gpuE7ELNS1_3repE0EEENS1_30default_config_static_selectorELNS0_4arch9wavefront6targetE1EEEvT1_.kd
    .uniform_work_group_size: 1
    .uses_dynamic_stack: false
    .vgpr_count:     0
    .vgpr_spill_count: 0
    .wavefront_size: 64
  - .agpr_count:     0
    .args:
      - .offset:         0
        .size:           32
        .value_kind:     by_value
    .group_segment_fixed_size: 0
    .kernarg_segment_align: 8
    .kernarg_segment_size: 32
    .language:       OpenCL C
    .language_version:
      - 2
      - 0
    .max_flat_workgroup_size: 256
    .name:           _ZN7rocprim17ROCPRIM_400000_NS6detail17trampoline_kernelINS0_14default_configENS1_20scan_config_selectorIiEEZZNS1_9scan_implILNS1_25lookback_scan_determinismE0ELb0ELb1ES3_N6thrust23THRUST_200600_302600_NS6detail15normal_iteratorINS9_10device_ptrIiEEEESE_iNS9_4plusIiEEiEEDaPvRmT3_T4_T5_mT6_P12ihipStream_tbENKUlT_T0_E_clISt17integral_constantIbLb1EEST_IbLb0EEEEDaSP_SQ_EUlSP_E0_NS1_11comp_targetILNS1_3genE2ELNS1_11target_archE906ELNS1_3gpuE6ELNS1_3repE0EEENS1_30default_config_static_selectorELNS0_4arch9wavefront6targetE1EEEvT1_
    .private_segment_fixed_size: 0
    .sgpr_count:     4
    .sgpr_spill_count: 0
    .symbol:         _ZN7rocprim17ROCPRIM_400000_NS6detail17trampoline_kernelINS0_14default_configENS1_20scan_config_selectorIiEEZZNS1_9scan_implILNS1_25lookback_scan_determinismE0ELb0ELb1ES3_N6thrust23THRUST_200600_302600_NS6detail15normal_iteratorINS9_10device_ptrIiEEEESE_iNS9_4plusIiEEiEEDaPvRmT3_T4_T5_mT6_P12ihipStream_tbENKUlT_T0_E_clISt17integral_constantIbLb1EEST_IbLb0EEEEDaSP_SQ_EUlSP_E0_NS1_11comp_targetILNS1_3genE2ELNS1_11target_archE906ELNS1_3gpuE6ELNS1_3repE0EEENS1_30default_config_static_selectorELNS0_4arch9wavefront6targetE1EEEvT1_.kd
    .uniform_work_group_size: 1
    .uses_dynamic_stack: false
    .vgpr_count:     0
    .vgpr_spill_count: 0
    .wavefront_size: 64
  - .agpr_count:     0
    .args:
      - .offset:         0
        .size:           32
        .value_kind:     by_value
    .group_segment_fixed_size: 0
    .kernarg_segment_align: 8
    .kernarg_segment_size: 32
    .language:       OpenCL C
    .language_version:
      - 2
      - 0
    .max_flat_workgroup_size: 256
    .name:           _ZN7rocprim17ROCPRIM_400000_NS6detail17trampoline_kernelINS0_14default_configENS1_20scan_config_selectorIiEEZZNS1_9scan_implILNS1_25lookback_scan_determinismE0ELb0ELb1ES3_N6thrust23THRUST_200600_302600_NS6detail15normal_iteratorINS9_10device_ptrIiEEEESE_iNS9_4plusIiEEiEEDaPvRmT3_T4_T5_mT6_P12ihipStream_tbENKUlT_T0_E_clISt17integral_constantIbLb1EEST_IbLb0EEEEDaSP_SQ_EUlSP_E0_NS1_11comp_targetILNS1_3genE10ELNS1_11target_archE1201ELNS1_3gpuE5ELNS1_3repE0EEENS1_30default_config_static_selectorELNS0_4arch9wavefront6targetE1EEEvT1_
    .private_segment_fixed_size: 0
    .sgpr_count:     4
    .sgpr_spill_count: 0
    .symbol:         _ZN7rocprim17ROCPRIM_400000_NS6detail17trampoline_kernelINS0_14default_configENS1_20scan_config_selectorIiEEZZNS1_9scan_implILNS1_25lookback_scan_determinismE0ELb0ELb1ES3_N6thrust23THRUST_200600_302600_NS6detail15normal_iteratorINS9_10device_ptrIiEEEESE_iNS9_4plusIiEEiEEDaPvRmT3_T4_T5_mT6_P12ihipStream_tbENKUlT_T0_E_clISt17integral_constantIbLb1EEST_IbLb0EEEEDaSP_SQ_EUlSP_E0_NS1_11comp_targetILNS1_3genE10ELNS1_11target_archE1201ELNS1_3gpuE5ELNS1_3repE0EEENS1_30default_config_static_selectorELNS0_4arch9wavefront6targetE1EEEvT1_.kd
    .uniform_work_group_size: 1
    .uses_dynamic_stack: false
    .vgpr_count:     0
    .vgpr_spill_count: 0
    .wavefront_size: 64
  - .agpr_count:     0
    .args:
      - .offset:         0
        .size:           32
        .value_kind:     by_value
    .group_segment_fixed_size: 0
    .kernarg_segment_align: 8
    .kernarg_segment_size: 32
    .language:       OpenCL C
    .language_version:
      - 2
      - 0
    .max_flat_workgroup_size: 256
    .name:           _ZN7rocprim17ROCPRIM_400000_NS6detail17trampoline_kernelINS0_14default_configENS1_20scan_config_selectorIiEEZZNS1_9scan_implILNS1_25lookback_scan_determinismE0ELb0ELb1ES3_N6thrust23THRUST_200600_302600_NS6detail15normal_iteratorINS9_10device_ptrIiEEEESE_iNS9_4plusIiEEiEEDaPvRmT3_T4_T5_mT6_P12ihipStream_tbENKUlT_T0_E_clISt17integral_constantIbLb1EEST_IbLb0EEEEDaSP_SQ_EUlSP_E0_NS1_11comp_targetILNS1_3genE10ELNS1_11target_archE1200ELNS1_3gpuE4ELNS1_3repE0EEENS1_30default_config_static_selectorELNS0_4arch9wavefront6targetE1EEEvT1_
    .private_segment_fixed_size: 0
    .sgpr_count:     4
    .sgpr_spill_count: 0
    .symbol:         _ZN7rocprim17ROCPRIM_400000_NS6detail17trampoline_kernelINS0_14default_configENS1_20scan_config_selectorIiEEZZNS1_9scan_implILNS1_25lookback_scan_determinismE0ELb0ELb1ES3_N6thrust23THRUST_200600_302600_NS6detail15normal_iteratorINS9_10device_ptrIiEEEESE_iNS9_4plusIiEEiEEDaPvRmT3_T4_T5_mT6_P12ihipStream_tbENKUlT_T0_E_clISt17integral_constantIbLb1EEST_IbLb0EEEEDaSP_SQ_EUlSP_E0_NS1_11comp_targetILNS1_3genE10ELNS1_11target_archE1200ELNS1_3gpuE4ELNS1_3repE0EEENS1_30default_config_static_selectorELNS0_4arch9wavefront6targetE1EEEvT1_.kd
    .uniform_work_group_size: 1
    .uses_dynamic_stack: false
    .vgpr_count:     0
    .vgpr_spill_count: 0
    .wavefront_size: 64
  - .agpr_count:     0
    .args:
      - .offset:         0
        .size:           32
        .value_kind:     by_value
    .group_segment_fixed_size: 0
    .kernarg_segment_align: 8
    .kernarg_segment_size: 32
    .language:       OpenCL C
    .language_version:
      - 2
      - 0
    .max_flat_workgroup_size: 256
    .name:           _ZN7rocprim17ROCPRIM_400000_NS6detail17trampoline_kernelINS0_14default_configENS1_20scan_config_selectorIiEEZZNS1_9scan_implILNS1_25lookback_scan_determinismE0ELb0ELb1ES3_N6thrust23THRUST_200600_302600_NS6detail15normal_iteratorINS9_10device_ptrIiEEEESE_iNS9_4plusIiEEiEEDaPvRmT3_T4_T5_mT6_P12ihipStream_tbENKUlT_T0_E_clISt17integral_constantIbLb1EEST_IbLb0EEEEDaSP_SQ_EUlSP_E0_NS1_11comp_targetILNS1_3genE9ELNS1_11target_archE1100ELNS1_3gpuE3ELNS1_3repE0EEENS1_30default_config_static_selectorELNS0_4arch9wavefront6targetE1EEEvT1_
    .private_segment_fixed_size: 0
    .sgpr_count:     4
    .sgpr_spill_count: 0
    .symbol:         _ZN7rocprim17ROCPRIM_400000_NS6detail17trampoline_kernelINS0_14default_configENS1_20scan_config_selectorIiEEZZNS1_9scan_implILNS1_25lookback_scan_determinismE0ELb0ELb1ES3_N6thrust23THRUST_200600_302600_NS6detail15normal_iteratorINS9_10device_ptrIiEEEESE_iNS9_4plusIiEEiEEDaPvRmT3_T4_T5_mT6_P12ihipStream_tbENKUlT_T0_E_clISt17integral_constantIbLb1EEST_IbLb0EEEEDaSP_SQ_EUlSP_E0_NS1_11comp_targetILNS1_3genE9ELNS1_11target_archE1100ELNS1_3gpuE3ELNS1_3repE0EEENS1_30default_config_static_selectorELNS0_4arch9wavefront6targetE1EEEvT1_.kd
    .uniform_work_group_size: 1
    .uses_dynamic_stack: false
    .vgpr_count:     0
    .vgpr_spill_count: 0
    .wavefront_size: 64
  - .agpr_count:     0
    .args:
      - .offset:         0
        .size:           32
        .value_kind:     by_value
    .group_segment_fixed_size: 0
    .kernarg_segment_align: 8
    .kernarg_segment_size: 32
    .language:       OpenCL C
    .language_version:
      - 2
      - 0
    .max_flat_workgroup_size: 64
    .name:           _ZN7rocprim17ROCPRIM_400000_NS6detail17trampoline_kernelINS0_14default_configENS1_20scan_config_selectorIiEEZZNS1_9scan_implILNS1_25lookback_scan_determinismE0ELb0ELb1ES3_N6thrust23THRUST_200600_302600_NS6detail15normal_iteratorINS9_10device_ptrIiEEEESE_iNS9_4plusIiEEiEEDaPvRmT3_T4_T5_mT6_P12ihipStream_tbENKUlT_T0_E_clISt17integral_constantIbLb1EEST_IbLb0EEEEDaSP_SQ_EUlSP_E0_NS1_11comp_targetILNS1_3genE8ELNS1_11target_archE1030ELNS1_3gpuE2ELNS1_3repE0EEENS1_30default_config_static_selectorELNS0_4arch9wavefront6targetE1EEEvT1_
    .private_segment_fixed_size: 0
    .sgpr_count:     4
    .sgpr_spill_count: 0
    .symbol:         _ZN7rocprim17ROCPRIM_400000_NS6detail17trampoline_kernelINS0_14default_configENS1_20scan_config_selectorIiEEZZNS1_9scan_implILNS1_25lookback_scan_determinismE0ELb0ELb1ES3_N6thrust23THRUST_200600_302600_NS6detail15normal_iteratorINS9_10device_ptrIiEEEESE_iNS9_4plusIiEEiEEDaPvRmT3_T4_T5_mT6_P12ihipStream_tbENKUlT_T0_E_clISt17integral_constantIbLb1EEST_IbLb0EEEEDaSP_SQ_EUlSP_E0_NS1_11comp_targetILNS1_3genE8ELNS1_11target_archE1030ELNS1_3gpuE2ELNS1_3repE0EEENS1_30default_config_static_selectorELNS0_4arch9wavefront6targetE1EEEvT1_.kd
    .uniform_work_group_size: 1
    .uses_dynamic_stack: false
    .vgpr_count:     0
    .vgpr_spill_count: 0
    .wavefront_size: 64
  - .agpr_count:     0
    .args:
      - .offset:         0
        .size:           96
        .value_kind:     by_value
    .group_segment_fixed_size: 0
    .kernarg_segment_align: 8
    .kernarg_segment_size: 96
    .language:       OpenCL C
    .language_version:
      - 2
      - 0
    .max_flat_workgroup_size: 256
    .name:           _ZN7rocprim17ROCPRIM_400000_NS6detail17trampoline_kernelINS0_14default_configENS1_20scan_config_selectorIiEEZZNS1_9scan_implILNS1_25lookback_scan_determinismE0ELb0ELb1ES3_N6thrust23THRUST_200600_302600_NS6detail15normal_iteratorINS9_10device_ptrIiEEEESE_iNS9_4plusIiEEiEEDaPvRmT3_T4_T5_mT6_P12ihipStream_tbENKUlT_T0_E_clISt17integral_constantIbLb0EEST_IbLb1EEEEDaSP_SQ_EUlSP_E_NS1_11comp_targetILNS1_3genE0ELNS1_11target_archE4294967295ELNS1_3gpuE0ELNS1_3repE0EEENS1_30default_config_static_selectorELNS0_4arch9wavefront6targetE1EEEvT1_
    .private_segment_fixed_size: 0
    .sgpr_count:     4
    .sgpr_spill_count: 0
    .symbol:         _ZN7rocprim17ROCPRIM_400000_NS6detail17trampoline_kernelINS0_14default_configENS1_20scan_config_selectorIiEEZZNS1_9scan_implILNS1_25lookback_scan_determinismE0ELb0ELb1ES3_N6thrust23THRUST_200600_302600_NS6detail15normal_iteratorINS9_10device_ptrIiEEEESE_iNS9_4plusIiEEiEEDaPvRmT3_T4_T5_mT6_P12ihipStream_tbENKUlT_T0_E_clISt17integral_constantIbLb0EEST_IbLb1EEEEDaSP_SQ_EUlSP_E_NS1_11comp_targetILNS1_3genE0ELNS1_11target_archE4294967295ELNS1_3gpuE0ELNS1_3repE0EEENS1_30default_config_static_selectorELNS0_4arch9wavefront6targetE1EEEvT1_.kd
    .uniform_work_group_size: 1
    .uses_dynamic_stack: false
    .vgpr_count:     0
    .vgpr_spill_count: 0
    .wavefront_size: 64
  - .agpr_count:     0
    .args:
      - .offset:         0
        .size:           96
        .value_kind:     by_value
    .group_segment_fixed_size: 0
    .kernarg_segment_align: 8
    .kernarg_segment_size: 96
    .language:       OpenCL C
    .language_version:
      - 2
      - 0
    .max_flat_workgroup_size: 256
    .name:           _ZN7rocprim17ROCPRIM_400000_NS6detail17trampoline_kernelINS0_14default_configENS1_20scan_config_selectorIiEEZZNS1_9scan_implILNS1_25lookback_scan_determinismE0ELb0ELb1ES3_N6thrust23THRUST_200600_302600_NS6detail15normal_iteratorINS9_10device_ptrIiEEEESE_iNS9_4plusIiEEiEEDaPvRmT3_T4_T5_mT6_P12ihipStream_tbENKUlT_T0_E_clISt17integral_constantIbLb0EEST_IbLb1EEEEDaSP_SQ_EUlSP_E_NS1_11comp_targetILNS1_3genE5ELNS1_11target_archE942ELNS1_3gpuE9ELNS1_3repE0EEENS1_30default_config_static_selectorELNS0_4arch9wavefront6targetE1EEEvT1_
    .private_segment_fixed_size: 0
    .sgpr_count:     4
    .sgpr_spill_count: 0
    .symbol:         _ZN7rocprim17ROCPRIM_400000_NS6detail17trampoline_kernelINS0_14default_configENS1_20scan_config_selectorIiEEZZNS1_9scan_implILNS1_25lookback_scan_determinismE0ELb0ELb1ES3_N6thrust23THRUST_200600_302600_NS6detail15normal_iteratorINS9_10device_ptrIiEEEESE_iNS9_4plusIiEEiEEDaPvRmT3_T4_T5_mT6_P12ihipStream_tbENKUlT_T0_E_clISt17integral_constantIbLb0EEST_IbLb1EEEEDaSP_SQ_EUlSP_E_NS1_11comp_targetILNS1_3genE5ELNS1_11target_archE942ELNS1_3gpuE9ELNS1_3repE0EEENS1_30default_config_static_selectorELNS0_4arch9wavefront6targetE1EEEvT1_.kd
    .uniform_work_group_size: 1
    .uses_dynamic_stack: false
    .vgpr_count:     0
    .vgpr_spill_count: 0
    .wavefront_size: 64
  - .agpr_count:     0
    .args:
      - .offset:         0
        .size:           96
        .value_kind:     by_value
    .group_segment_fixed_size: 5120
    .kernarg_segment_align: 8
    .kernarg_segment_size: 96
    .language:       OpenCL C
    .language_version:
      - 2
      - 0
    .max_flat_workgroup_size: 128
    .name:           _ZN7rocprim17ROCPRIM_400000_NS6detail17trampoline_kernelINS0_14default_configENS1_20scan_config_selectorIiEEZZNS1_9scan_implILNS1_25lookback_scan_determinismE0ELb0ELb1ES3_N6thrust23THRUST_200600_302600_NS6detail15normal_iteratorINS9_10device_ptrIiEEEESE_iNS9_4plusIiEEiEEDaPvRmT3_T4_T5_mT6_P12ihipStream_tbENKUlT_T0_E_clISt17integral_constantIbLb0EEST_IbLb1EEEEDaSP_SQ_EUlSP_E_NS1_11comp_targetILNS1_3genE4ELNS1_11target_archE910ELNS1_3gpuE8ELNS1_3repE0EEENS1_30default_config_static_selectorELNS0_4arch9wavefront6targetE1EEEvT1_
    .private_segment_fixed_size: 0
    .sgpr_count:     42
    .sgpr_spill_count: 0
    .symbol:         _ZN7rocprim17ROCPRIM_400000_NS6detail17trampoline_kernelINS0_14default_configENS1_20scan_config_selectorIiEEZZNS1_9scan_implILNS1_25lookback_scan_determinismE0ELb0ELb1ES3_N6thrust23THRUST_200600_302600_NS6detail15normal_iteratorINS9_10device_ptrIiEEEESE_iNS9_4plusIiEEiEEDaPvRmT3_T4_T5_mT6_P12ihipStream_tbENKUlT_T0_E_clISt17integral_constantIbLb0EEST_IbLb1EEEEDaSP_SQ_EUlSP_E_NS1_11comp_targetILNS1_3genE4ELNS1_11target_archE910ELNS1_3gpuE8ELNS1_3repE0EEENS1_30default_config_static_selectorELNS0_4arch9wavefront6targetE1EEEvT1_.kd
    .uniform_work_group_size: 1
    .uses_dynamic_stack: false
    .vgpr_count:     40
    .vgpr_spill_count: 0
    .wavefront_size: 64
  - .agpr_count:     0
    .args:
      - .offset:         0
        .size:           96
        .value_kind:     by_value
    .group_segment_fixed_size: 0
    .kernarg_segment_align: 8
    .kernarg_segment_size: 96
    .language:       OpenCL C
    .language_version:
      - 2
      - 0
    .max_flat_workgroup_size: 256
    .name:           _ZN7rocprim17ROCPRIM_400000_NS6detail17trampoline_kernelINS0_14default_configENS1_20scan_config_selectorIiEEZZNS1_9scan_implILNS1_25lookback_scan_determinismE0ELb0ELb1ES3_N6thrust23THRUST_200600_302600_NS6detail15normal_iteratorINS9_10device_ptrIiEEEESE_iNS9_4plusIiEEiEEDaPvRmT3_T4_T5_mT6_P12ihipStream_tbENKUlT_T0_E_clISt17integral_constantIbLb0EEST_IbLb1EEEEDaSP_SQ_EUlSP_E_NS1_11comp_targetILNS1_3genE3ELNS1_11target_archE908ELNS1_3gpuE7ELNS1_3repE0EEENS1_30default_config_static_selectorELNS0_4arch9wavefront6targetE1EEEvT1_
    .private_segment_fixed_size: 0
    .sgpr_count:     4
    .sgpr_spill_count: 0
    .symbol:         _ZN7rocprim17ROCPRIM_400000_NS6detail17trampoline_kernelINS0_14default_configENS1_20scan_config_selectorIiEEZZNS1_9scan_implILNS1_25lookback_scan_determinismE0ELb0ELb1ES3_N6thrust23THRUST_200600_302600_NS6detail15normal_iteratorINS9_10device_ptrIiEEEESE_iNS9_4plusIiEEiEEDaPvRmT3_T4_T5_mT6_P12ihipStream_tbENKUlT_T0_E_clISt17integral_constantIbLb0EEST_IbLb1EEEEDaSP_SQ_EUlSP_E_NS1_11comp_targetILNS1_3genE3ELNS1_11target_archE908ELNS1_3gpuE7ELNS1_3repE0EEENS1_30default_config_static_selectorELNS0_4arch9wavefront6targetE1EEEvT1_.kd
    .uniform_work_group_size: 1
    .uses_dynamic_stack: false
    .vgpr_count:     0
    .vgpr_spill_count: 0
    .wavefront_size: 64
  - .agpr_count:     0
    .args:
      - .offset:         0
        .size:           96
        .value_kind:     by_value
    .group_segment_fixed_size: 0
    .kernarg_segment_align: 8
    .kernarg_segment_size: 96
    .language:       OpenCL C
    .language_version:
      - 2
      - 0
    .max_flat_workgroup_size: 256
    .name:           _ZN7rocprim17ROCPRIM_400000_NS6detail17trampoline_kernelINS0_14default_configENS1_20scan_config_selectorIiEEZZNS1_9scan_implILNS1_25lookback_scan_determinismE0ELb0ELb1ES3_N6thrust23THRUST_200600_302600_NS6detail15normal_iteratorINS9_10device_ptrIiEEEESE_iNS9_4plusIiEEiEEDaPvRmT3_T4_T5_mT6_P12ihipStream_tbENKUlT_T0_E_clISt17integral_constantIbLb0EEST_IbLb1EEEEDaSP_SQ_EUlSP_E_NS1_11comp_targetILNS1_3genE2ELNS1_11target_archE906ELNS1_3gpuE6ELNS1_3repE0EEENS1_30default_config_static_selectorELNS0_4arch9wavefront6targetE1EEEvT1_
    .private_segment_fixed_size: 0
    .sgpr_count:     4
    .sgpr_spill_count: 0
    .symbol:         _ZN7rocprim17ROCPRIM_400000_NS6detail17trampoline_kernelINS0_14default_configENS1_20scan_config_selectorIiEEZZNS1_9scan_implILNS1_25lookback_scan_determinismE0ELb0ELb1ES3_N6thrust23THRUST_200600_302600_NS6detail15normal_iteratorINS9_10device_ptrIiEEEESE_iNS9_4plusIiEEiEEDaPvRmT3_T4_T5_mT6_P12ihipStream_tbENKUlT_T0_E_clISt17integral_constantIbLb0EEST_IbLb1EEEEDaSP_SQ_EUlSP_E_NS1_11comp_targetILNS1_3genE2ELNS1_11target_archE906ELNS1_3gpuE6ELNS1_3repE0EEENS1_30default_config_static_selectorELNS0_4arch9wavefront6targetE1EEEvT1_.kd
    .uniform_work_group_size: 1
    .uses_dynamic_stack: false
    .vgpr_count:     0
    .vgpr_spill_count: 0
    .wavefront_size: 64
  - .agpr_count:     0
    .args:
      - .offset:         0
        .size:           96
        .value_kind:     by_value
    .group_segment_fixed_size: 0
    .kernarg_segment_align: 8
    .kernarg_segment_size: 96
    .language:       OpenCL C
    .language_version:
      - 2
      - 0
    .max_flat_workgroup_size: 256
    .name:           _ZN7rocprim17ROCPRIM_400000_NS6detail17trampoline_kernelINS0_14default_configENS1_20scan_config_selectorIiEEZZNS1_9scan_implILNS1_25lookback_scan_determinismE0ELb0ELb1ES3_N6thrust23THRUST_200600_302600_NS6detail15normal_iteratorINS9_10device_ptrIiEEEESE_iNS9_4plusIiEEiEEDaPvRmT3_T4_T5_mT6_P12ihipStream_tbENKUlT_T0_E_clISt17integral_constantIbLb0EEST_IbLb1EEEEDaSP_SQ_EUlSP_E_NS1_11comp_targetILNS1_3genE10ELNS1_11target_archE1201ELNS1_3gpuE5ELNS1_3repE0EEENS1_30default_config_static_selectorELNS0_4arch9wavefront6targetE1EEEvT1_
    .private_segment_fixed_size: 0
    .sgpr_count:     4
    .sgpr_spill_count: 0
    .symbol:         _ZN7rocprim17ROCPRIM_400000_NS6detail17trampoline_kernelINS0_14default_configENS1_20scan_config_selectorIiEEZZNS1_9scan_implILNS1_25lookback_scan_determinismE0ELb0ELb1ES3_N6thrust23THRUST_200600_302600_NS6detail15normal_iteratorINS9_10device_ptrIiEEEESE_iNS9_4plusIiEEiEEDaPvRmT3_T4_T5_mT6_P12ihipStream_tbENKUlT_T0_E_clISt17integral_constantIbLb0EEST_IbLb1EEEEDaSP_SQ_EUlSP_E_NS1_11comp_targetILNS1_3genE10ELNS1_11target_archE1201ELNS1_3gpuE5ELNS1_3repE0EEENS1_30default_config_static_selectorELNS0_4arch9wavefront6targetE1EEEvT1_.kd
    .uniform_work_group_size: 1
    .uses_dynamic_stack: false
    .vgpr_count:     0
    .vgpr_spill_count: 0
    .wavefront_size: 64
  - .agpr_count:     0
    .args:
      - .offset:         0
        .size:           96
        .value_kind:     by_value
    .group_segment_fixed_size: 0
    .kernarg_segment_align: 8
    .kernarg_segment_size: 96
    .language:       OpenCL C
    .language_version:
      - 2
      - 0
    .max_flat_workgroup_size: 256
    .name:           _ZN7rocprim17ROCPRIM_400000_NS6detail17trampoline_kernelINS0_14default_configENS1_20scan_config_selectorIiEEZZNS1_9scan_implILNS1_25lookback_scan_determinismE0ELb0ELb1ES3_N6thrust23THRUST_200600_302600_NS6detail15normal_iteratorINS9_10device_ptrIiEEEESE_iNS9_4plusIiEEiEEDaPvRmT3_T4_T5_mT6_P12ihipStream_tbENKUlT_T0_E_clISt17integral_constantIbLb0EEST_IbLb1EEEEDaSP_SQ_EUlSP_E_NS1_11comp_targetILNS1_3genE10ELNS1_11target_archE1200ELNS1_3gpuE4ELNS1_3repE0EEENS1_30default_config_static_selectorELNS0_4arch9wavefront6targetE1EEEvT1_
    .private_segment_fixed_size: 0
    .sgpr_count:     4
    .sgpr_spill_count: 0
    .symbol:         _ZN7rocprim17ROCPRIM_400000_NS6detail17trampoline_kernelINS0_14default_configENS1_20scan_config_selectorIiEEZZNS1_9scan_implILNS1_25lookback_scan_determinismE0ELb0ELb1ES3_N6thrust23THRUST_200600_302600_NS6detail15normal_iteratorINS9_10device_ptrIiEEEESE_iNS9_4plusIiEEiEEDaPvRmT3_T4_T5_mT6_P12ihipStream_tbENKUlT_T0_E_clISt17integral_constantIbLb0EEST_IbLb1EEEEDaSP_SQ_EUlSP_E_NS1_11comp_targetILNS1_3genE10ELNS1_11target_archE1200ELNS1_3gpuE4ELNS1_3repE0EEENS1_30default_config_static_selectorELNS0_4arch9wavefront6targetE1EEEvT1_.kd
    .uniform_work_group_size: 1
    .uses_dynamic_stack: false
    .vgpr_count:     0
    .vgpr_spill_count: 0
    .wavefront_size: 64
  - .agpr_count:     0
    .args:
      - .offset:         0
        .size:           96
        .value_kind:     by_value
    .group_segment_fixed_size: 0
    .kernarg_segment_align: 8
    .kernarg_segment_size: 96
    .language:       OpenCL C
    .language_version:
      - 2
      - 0
    .max_flat_workgroup_size: 256
    .name:           _ZN7rocprim17ROCPRIM_400000_NS6detail17trampoline_kernelINS0_14default_configENS1_20scan_config_selectorIiEEZZNS1_9scan_implILNS1_25lookback_scan_determinismE0ELb0ELb1ES3_N6thrust23THRUST_200600_302600_NS6detail15normal_iteratorINS9_10device_ptrIiEEEESE_iNS9_4plusIiEEiEEDaPvRmT3_T4_T5_mT6_P12ihipStream_tbENKUlT_T0_E_clISt17integral_constantIbLb0EEST_IbLb1EEEEDaSP_SQ_EUlSP_E_NS1_11comp_targetILNS1_3genE9ELNS1_11target_archE1100ELNS1_3gpuE3ELNS1_3repE0EEENS1_30default_config_static_selectorELNS0_4arch9wavefront6targetE1EEEvT1_
    .private_segment_fixed_size: 0
    .sgpr_count:     4
    .sgpr_spill_count: 0
    .symbol:         _ZN7rocprim17ROCPRIM_400000_NS6detail17trampoline_kernelINS0_14default_configENS1_20scan_config_selectorIiEEZZNS1_9scan_implILNS1_25lookback_scan_determinismE0ELb0ELb1ES3_N6thrust23THRUST_200600_302600_NS6detail15normal_iteratorINS9_10device_ptrIiEEEESE_iNS9_4plusIiEEiEEDaPvRmT3_T4_T5_mT6_P12ihipStream_tbENKUlT_T0_E_clISt17integral_constantIbLb0EEST_IbLb1EEEEDaSP_SQ_EUlSP_E_NS1_11comp_targetILNS1_3genE9ELNS1_11target_archE1100ELNS1_3gpuE3ELNS1_3repE0EEENS1_30default_config_static_selectorELNS0_4arch9wavefront6targetE1EEEvT1_.kd
    .uniform_work_group_size: 1
    .uses_dynamic_stack: false
    .vgpr_count:     0
    .vgpr_spill_count: 0
    .wavefront_size: 64
  - .agpr_count:     0
    .args:
      - .offset:         0
        .size:           96
        .value_kind:     by_value
    .group_segment_fixed_size: 0
    .kernarg_segment_align: 8
    .kernarg_segment_size: 96
    .language:       OpenCL C
    .language_version:
      - 2
      - 0
    .max_flat_workgroup_size: 64
    .name:           _ZN7rocprim17ROCPRIM_400000_NS6detail17trampoline_kernelINS0_14default_configENS1_20scan_config_selectorIiEEZZNS1_9scan_implILNS1_25lookback_scan_determinismE0ELb0ELb1ES3_N6thrust23THRUST_200600_302600_NS6detail15normal_iteratorINS9_10device_ptrIiEEEESE_iNS9_4plusIiEEiEEDaPvRmT3_T4_T5_mT6_P12ihipStream_tbENKUlT_T0_E_clISt17integral_constantIbLb0EEST_IbLb1EEEEDaSP_SQ_EUlSP_E_NS1_11comp_targetILNS1_3genE8ELNS1_11target_archE1030ELNS1_3gpuE2ELNS1_3repE0EEENS1_30default_config_static_selectorELNS0_4arch9wavefront6targetE1EEEvT1_
    .private_segment_fixed_size: 0
    .sgpr_count:     4
    .sgpr_spill_count: 0
    .symbol:         _ZN7rocprim17ROCPRIM_400000_NS6detail17trampoline_kernelINS0_14default_configENS1_20scan_config_selectorIiEEZZNS1_9scan_implILNS1_25lookback_scan_determinismE0ELb0ELb1ES3_N6thrust23THRUST_200600_302600_NS6detail15normal_iteratorINS9_10device_ptrIiEEEESE_iNS9_4plusIiEEiEEDaPvRmT3_T4_T5_mT6_P12ihipStream_tbENKUlT_T0_E_clISt17integral_constantIbLb0EEST_IbLb1EEEEDaSP_SQ_EUlSP_E_NS1_11comp_targetILNS1_3genE8ELNS1_11target_archE1030ELNS1_3gpuE2ELNS1_3repE0EEENS1_30default_config_static_selectorELNS0_4arch9wavefront6targetE1EEEvT1_.kd
    .uniform_work_group_size: 1
    .uses_dynamic_stack: false
    .vgpr_count:     0
    .vgpr_spill_count: 0
    .wavefront_size: 64
  - .agpr_count:     0
    .args:
      - .offset:         0
        .size:           32
        .value_kind:     by_value
    .group_segment_fixed_size: 0
    .kernarg_segment_align: 8
    .kernarg_segment_size: 32
    .language:       OpenCL C
    .language_version:
      - 2
      - 0
    .max_flat_workgroup_size: 256
    .name:           _ZN7rocprim17ROCPRIM_400000_NS6detail17trampoline_kernelINS0_14default_configENS1_20scan_config_selectorIiEEZZNS1_9scan_implILNS1_25lookback_scan_determinismE0ELb0ELb1ES3_N6thrust23THRUST_200600_302600_NS6detail15normal_iteratorINS9_10device_ptrIiEEEESE_iNS9_4plusIiEEiEEDaPvRmT3_T4_T5_mT6_P12ihipStream_tbENKUlT_T0_E_clISt17integral_constantIbLb0EEST_IbLb1EEEEDaSP_SQ_EUlSP_E0_NS1_11comp_targetILNS1_3genE0ELNS1_11target_archE4294967295ELNS1_3gpuE0ELNS1_3repE0EEENS1_30default_config_static_selectorELNS0_4arch9wavefront6targetE1EEEvT1_
    .private_segment_fixed_size: 0
    .sgpr_count:     4
    .sgpr_spill_count: 0
    .symbol:         _ZN7rocprim17ROCPRIM_400000_NS6detail17trampoline_kernelINS0_14default_configENS1_20scan_config_selectorIiEEZZNS1_9scan_implILNS1_25lookback_scan_determinismE0ELb0ELb1ES3_N6thrust23THRUST_200600_302600_NS6detail15normal_iteratorINS9_10device_ptrIiEEEESE_iNS9_4plusIiEEiEEDaPvRmT3_T4_T5_mT6_P12ihipStream_tbENKUlT_T0_E_clISt17integral_constantIbLb0EEST_IbLb1EEEEDaSP_SQ_EUlSP_E0_NS1_11comp_targetILNS1_3genE0ELNS1_11target_archE4294967295ELNS1_3gpuE0ELNS1_3repE0EEENS1_30default_config_static_selectorELNS0_4arch9wavefront6targetE1EEEvT1_.kd
    .uniform_work_group_size: 1
    .uses_dynamic_stack: false
    .vgpr_count:     0
    .vgpr_spill_count: 0
    .wavefront_size: 64
  - .agpr_count:     0
    .args:
      - .offset:         0
        .size:           32
        .value_kind:     by_value
    .group_segment_fixed_size: 0
    .kernarg_segment_align: 8
    .kernarg_segment_size: 32
    .language:       OpenCL C
    .language_version:
      - 2
      - 0
    .max_flat_workgroup_size: 256
    .name:           _ZN7rocprim17ROCPRIM_400000_NS6detail17trampoline_kernelINS0_14default_configENS1_20scan_config_selectorIiEEZZNS1_9scan_implILNS1_25lookback_scan_determinismE0ELb0ELb1ES3_N6thrust23THRUST_200600_302600_NS6detail15normal_iteratorINS9_10device_ptrIiEEEESE_iNS9_4plusIiEEiEEDaPvRmT3_T4_T5_mT6_P12ihipStream_tbENKUlT_T0_E_clISt17integral_constantIbLb0EEST_IbLb1EEEEDaSP_SQ_EUlSP_E0_NS1_11comp_targetILNS1_3genE5ELNS1_11target_archE942ELNS1_3gpuE9ELNS1_3repE0EEENS1_30default_config_static_selectorELNS0_4arch9wavefront6targetE1EEEvT1_
    .private_segment_fixed_size: 0
    .sgpr_count:     4
    .sgpr_spill_count: 0
    .symbol:         _ZN7rocprim17ROCPRIM_400000_NS6detail17trampoline_kernelINS0_14default_configENS1_20scan_config_selectorIiEEZZNS1_9scan_implILNS1_25lookback_scan_determinismE0ELb0ELb1ES3_N6thrust23THRUST_200600_302600_NS6detail15normal_iteratorINS9_10device_ptrIiEEEESE_iNS9_4plusIiEEiEEDaPvRmT3_T4_T5_mT6_P12ihipStream_tbENKUlT_T0_E_clISt17integral_constantIbLb0EEST_IbLb1EEEEDaSP_SQ_EUlSP_E0_NS1_11comp_targetILNS1_3genE5ELNS1_11target_archE942ELNS1_3gpuE9ELNS1_3repE0EEENS1_30default_config_static_selectorELNS0_4arch9wavefront6targetE1EEEvT1_.kd
    .uniform_work_group_size: 1
    .uses_dynamic_stack: false
    .vgpr_count:     0
    .vgpr_spill_count: 0
    .wavefront_size: 64
  - .agpr_count:     0
    .args:
      - .offset:         0
        .size:           32
        .value_kind:     by_value
    .group_segment_fixed_size: 5120
    .kernarg_segment_align: 8
    .kernarg_segment_size: 32
    .language:       OpenCL C
    .language_version:
      - 2
      - 0
    .max_flat_workgroup_size: 128
    .name:           _ZN7rocprim17ROCPRIM_400000_NS6detail17trampoline_kernelINS0_14default_configENS1_20scan_config_selectorIiEEZZNS1_9scan_implILNS1_25lookback_scan_determinismE0ELb0ELb1ES3_N6thrust23THRUST_200600_302600_NS6detail15normal_iteratorINS9_10device_ptrIiEEEESE_iNS9_4plusIiEEiEEDaPvRmT3_T4_T5_mT6_P12ihipStream_tbENKUlT_T0_E_clISt17integral_constantIbLb0EEST_IbLb1EEEEDaSP_SQ_EUlSP_E0_NS1_11comp_targetILNS1_3genE4ELNS1_11target_archE910ELNS1_3gpuE8ELNS1_3repE0EEENS1_30default_config_static_selectorELNS0_4arch9wavefront6targetE1EEEvT1_
    .private_segment_fixed_size: 0
    .sgpr_count:     30
    .sgpr_spill_count: 0
    .symbol:         _ZN7rocprim17ROCPRIM_400000_NS6detail17trampoline_kernelINS0_14default_configENS1_20scan_config_selectorIiEEZZNS1_9scan_implILNS1_25lookback_scan_determinismE0ELb0ELb1ES3_N6thrust23THRUST_200600_302600_NS6detail15normal_iteratorINS9_10device_ptrIiEEEESE_iNS9_4plusIiEEiEEDaPvRmT3_T4_T5_mT6_P12ihipStream_tbENKUlT_T0_E_clISt17integral_constantIbLb0EEST_IbLb1EEEEDaSP_SQ_EUlSP_E0_NS1_11comp_targetILNS1_3genE4ELNS1_11target_archE910ELNS1_3gpuE8ELNS1_3repE0EEENS1_30default_config_static_selectorELNS0_4arch9wavefront6targetE1EEEvT1_.kd
    .uniform_work_group_size: 1
    .uses_dynamic_stack: false
    .vgpr_count:     26
    .vgpr_spill_count: 0
    .wavefront_size: 64
  - .agpr_count:     0
    .args:
      - .offset:         0
        .size:           32
        .value_kind:     by_value
    .group_segment_fixed_size: 0
    .kernarg_segment_align: 8
    .kernarg_segment_size: 32
    .language:       OpenCL C
    .language_version:
      - 2
      - 0
    .max_flat_workgroup_size: 256
    .name:           _ZN7rocprim17ROCPRIM_400000_NS6detail17trampoline_kernelINS0_14default_configENS1_20scan_config_selectorIiEEZZNS1_9scan_implILNS1_25lookback_scan_determinismE0ELb0ELb1ES3_N6thrust23THRUST_200600_302600_NS6detail15normal_iteratorINS9_10device_ptrIiEEEESE_iNS9_4plusIiEEiEEDaPvRmT3_T4_T5_mT6_P12ihipStream_tbENKUlT_T0_E_clISt17integral_constantIbLb0EEST_IbLb1EEEEDaSP_SQ_EUlSP_E0_NS1_11comp_targetILNS1_3genE3ELNS1_11target_archE908ELNS1_3gpuE7ELNS1_3repE0EEENS1_30default_config_static_selectorELNS0_4arch9wavefront6targetE1EEEvT1_
    .private_segment_fixed_size: 0
    .sgpr_count:     4
    .sgpr_spill_count: 0
    .symbol:         _ZN7rocprim17ROCPRIM_400000_NS6detail17trampoline_kernelINS0_14default_configENS1_20scan_config_selectorIiEEZZNS1_9scan_implILNS1_25lookback_scan_determinismE0ELb0ELb1ES3_N6thrust23THRUST_200600_302600_NS6detail15normal_iteratorINS9_10device_ptrIiEEEESE_iNS9_4plusIiEEiEEDaPvRmT3_T4_T5_mT6_P12ihipStream_tbENKUlT_T0_E_clISt17integral_constantIbLb0EEST_IbLb1EEEEDaSP_SQ_EUlSP_E0_NS1_11comp_targetILNS1_3genE3ELNS1_11target_archE908ELNS1_3gpuE7ELNS1_3repE0EEENS1_30default_config_static_selectorELNS0_4arch9wavefront6targetE1EEEvT1_.kd
    .uniform_work_group_size: 1
    .uses_dynamic_stack: false
    .vgpr_count:     0
    .vgpr_spill_count: 0
    .wavefront_size: 64
  - .agpr_count:     0
    .args:
      - .offset:         0
        .size:           32
        .value_kind:     by_value
    .group_segment_fixed_size: 0
    .kernarg_segment_align: 8
    .kernarg_segment_size: 32
    .language:       OpenCL C
    .language_version:
      - 2
      - 0
    .max_flat_workgroup_size: 256
    .name:           _ZN7rocprim17ROCPRIM_400000_NS6detail17trampoline_kernelINS0_14default_configENS1_20scan_config_selectorIiEEZZNS1_9scan_implILNS1_25lookback_scan_determinismE0ELb0ELb1ES3_N6thrust23THRUST_200600_302600_NS6detail15normal_iteratorINS9_10device_ptrIiEEEESE_iNS9_4plusIiEEiEEDaPvRmT3_T4_T5_mT6_P12ihipStream_tbENKUlT_T0_E_clISt17integral_constantIbLb0EEST_IbLb1EEEEDaSP_SQ_EUlSP_E0_NS1_11comp_targetILNS1_3genE2ELNS1_11target_archE906ELNS1_3gpuE6ELNS1_3repE0EEENS1_30default_config_static_selectorELNS0_4arch9wavefront6targetE1EEEvT1_
    .private_segment_fixed_size: 0
    .sgpr_count:     4
    .sgpr_spill_count: 0
    .symbol:         _ZN7rocprim17ROCPRIM_400000_NS6detail17trampoline_kernelINS0_14default_configENS1_20scan_config_selectorIiEEZZNS1_9scan_implILNS1_25lookback_scan_determinismE0ELb0ELb1ES3_N6thrust23THRUST_200600_302600_NS6detail15normal_iteratorINS9_10device_ptrIiEEEESE_iNS9_4plusIiEEiEEDaPvRmT3_T4_T5_mT6_P12ihipStream_tbENKUlT_T0_E_clISt17integral_constantIbLb0EEST_IbLb1EEEEDaSP_SQ_EUlSP_E0_NS1_11comp_targetILNS1_3genE2ELNS1_11target_archE906ELNS1_3gpuE6ELNS1_3repE0EEENS1_30default_config_static_selectorELNS0_4arch9wavefront6targetE1EEEvT1_.kd
    .uniform_work_group_size: 1
    .uses_dynamic_stack: false
    .vgpr_count:     0
    .vgpr_spill_count: 0
    .wavefront_size: 64
  - .agpr_count:     0
    .args:
      - .offset:         0
        .size:           32
        .value_kind:     by_value
    .group_segment_fixed_size: 0
    .kernarg_segment_align: 8
    .kernarg_segment_size: 32
    .language:       OpenCL C
    .language_version:
      - 2
      - 0
    .max_flat_workgroup_size: 256
    .name:           _ZN7rocprim17ROCPRIM_400000_NS6detail17trampoline_kernelINS0_14default_configENS1_20scan_config_selectorIiEEZZNS1_9scan_implILNS1_25lookback_scan_determinismE0ELb0ELb1ES3_N6thrust23THRUST_200600_302600_NS6detail15normal_iteratorINS9_10device_ptrIiEEEESE_iNS9_4plusIiEEiEEDaPvRmT3_T4_T5_mT6_P12ihipStream_tbENKUlT_T0_E_clISt17integral_constantIbLb0EEST_IbLb1EEEEDaSP_SQ_EUlSP_E0_NS1_11comp_targetILNS1_3genE10ELNS1_11target_archE1201ELNS1_3gpuE5ELNS1_3repE0EEENS1_30default_config_static_selectorELNS0_4arch9wavefront6targetE1EEEvT1_
    .private_segment_fixed_size: 0
    .sgpr_count:     4
    .sgpr_spill_count: 0
    .symbol:         _ZN7rocprim17ROCPRIM_400000_NS6detail17trampoline_kernelINS0_14default_configENS1_20scan_config_selectorIiEEZZNS1_9scan_implILNS1_25lookback_scan_determinismE0ELb0ELb1ES3_N6thrust23THRUST_200600_302600_NS6detail15normal_iteratorINS9_10device_ptrIiEEEESE_iNS9_4plusIiEEiEEDaPvRmT3_T4_T5_mT6_P12ihipStream_tbENKUlT_T0_E_clISt17integral_constantIbLb0EEST_IbLb1EEEEDaSP_SQ_EUlSP_E0_NS1_11comp_targetILNS1_3genE10ELNS1_11target_archE1201ELNS1_3gpuE5ELNS1_3repE0EEENS1_30default_config_static_selectorELNS0_4arch9wavefront6targetE1EEEvT1_.kd
    .uniform_work_group_size: 1
    .uses_dynamic_stack: false
    .vgpr_count:     0
    .vgpr_spill_count: 0
    .wavefront_size: 64
  - .agpr_count:     0
    .args:
      - .offset:         0
        .size:           32
        .value_kind:     by_value
    .group_segment_fixed_size: 0
    .kernarg_segment_align: 8
    .kernarg_segment_size: 32
    .language:       OpenCL C
    .language_version:
      - 2
      - 0
    .max_flat_workgroup_size: 256
    .name:           _ZN7rocprim17ROCPRIM_400000_NS6detail17trampoline_kernelINS0_14default_configENS1_20scan_config_selectorIiEEZZNS1_9scan_implILNS1_25lookback_scan_determinismE0ELb0ELb1ES3_N6thrust23THRUST_200600_302600_NS6detail15normal_iteratorINS9_10device_ptrIiEEEESE_iNS9_4plusIiEEiEEDaPvRmT3_T4_T5_mT6_P12ihipStream_tbENKUlT_T0_E_clISt17integral_constantIbLb0EEST_IbLb1EEEEDaSP_SQ_EUlSP_E0_NS1_11comp_targetILNS1_3genE10ELNS1_11target_archE1200ELNS1_3gpuE4ELNS1_3repE0EEENS1_30default_config_static_selectorELNS0_4arch9wavefront6targetE1EEEvT1_
    .private_segment_fixed_size: 0
    .sgpr_count:     4
    .sgpr_spill_count: 0
    .symbol:         _ZN7rocprim17ROCPRIM_400000_NS6detail17trampoline_kernelINS0_14default_configENS1_20scan_config_selectorIiEEZZNS1_9scan_implILNS1_25lookback_scan_determinismE0ELb0ELb1ES3_N6thrust23THRUST_200600_302600_NS6detail15normal_iteratorINS9_10device_ptrIiEEEESE_iNS9_4plusIiEEiEEDaPvRmT3_T4_T5_mT6_P12ihipStream_tbENKUlT_T0_E_clISt17integral_constantIbLb0EEST_IbLb1EEEEDaSP_SQ_EUlSP_E0_NS1_11comp_targetILNS1_3genE10ELNS1_11target_archE1200ELNS1_3gpuE4ELNS1_3repE0EEENS1_30default_config_static_selectorELNS0_4arch9wavefront6targetE1EEEvT1_.kd
    .uniform_work_group_size: 1
    .uses_dynamic_stack: false
    .vgpr_count:     0
    .vgpr_spill_count: 0
    .wavefront_size: 64
  - .agpr_count:     0
    .args:
      - .offset:         0
        .size:           32
        .value_kind:     by_value
    .group_segment_fixed_size: 0
    .kernarg_segment_align: 8
    .kernarg_segment_size: 32
    .language:       OpenCL C
    .language_version:
      - 2
      - 0
    .max_flat_workgroup_size: 256
    .name:           _ZN7rocprim17ROCPRIM_400000_NS6detail17trampoline_kernelINS0_14default_configENS1_20scan_config_selectorIiEEZZNS1_9scan_implILNS1_25lookback_scan_determinismE0ELb0ELb1ES3_N6thrust23THRUST_200600_302600_NS6detail15normal_iteratorINS9_10device_ptrIiEEEESE_iNS9_4plusIiEEiEEDaPvRmT3_T4_T5_mT6_P12ihipStream_tbENKUlT_T0_E_clISt17integral_constantIbLb0EEST_IbLb1EEEEDaSP_SQ_EUlSP_E0_NS1_11comp_targetILNS1_3genE9ELNS1_11target_archE1100ELNS1_3gpuE3ELNS1_3repE0EEENS1_30default_config_static_selectorELNS0_4arch9wavefront6targetE1EEEvT1_
    .private_segment_fixed_size: 0
    .sgpr_count:     4
    .sgpr_spill_count: 0
    .symbol:         _ZN7rocprim17ROCPRIM_400000_NS6detail17trampoline_kernelINS0_14default_configENS1_20scan_config_selectorIiEEZZNS1_9scan_implILNS1_25lookback_scan_determinismE0ELb0ELb1ES3_N6thrust23THRUST_200600_302600_NS6detail15normal_iteratorINS9_10device_ptrIiEEEESE_iNS9_4plusIiEEiEEDaPvRmT3_T4_T5_mT6_P12ihipStream_tbENKUlT_T0_E_clISt17integral_constantIbLb0EEST_IbLb1EEEEDaSP_SQ_EUlSP_E0_NS1_11comp_targetILNS1_3genE9ELNS1_11target_archE1100ELNS1_3gpuE3ELNS1_3repE0EEENS1_30default_config_static_selectorELNS0_4arch9wavefront6targetE1EEEvT1_.kd
    .uniform_work_group_size: 1
    .uses_dynamic_stack: false
    .vgpr_count:     0
    .vgpr_spill_count: 0
    .wavefront_size: 64
  - .agpr_count:     0
    .args:
      - .offset:         0
        .size:           32
        .value_kind:     by_value
    .group_segment_fixed_size: 0
    .kernarg_segment_align: 8
    .kernarg_segment_size: 32
    .language:       OpenCL C
    .language_version:
      - 2
      - 0
    .max_flat_workgroup_size: 64
    .name:           _ZN7rocprim17ROCPRIM_400000_NS6detail17trampoline_kernelINS0_14default_configENS1_20scan_config_selectorIiEEZZNS1_9scan_implILNS1_25lookback_scan_determinismE0ELb0ELb1ES3_N6thrust23THRUST_200600_302600_NS6detail15normal_iteratorINS9_10device_ptrIiEEEESE_iNS9_4plusIiEEiEEDaPvRmT3_T4_T5_mT6_P12ihipStream_tbENKUlT_T0_E_clISt17integral_constantIbLb0EEST_IbLb1EEEEDaSP_SQ_EUlSP_E0_NS1_11comp_targetILNS1_3genE8ELNS1_11target_archE1030ELNS1_3gpuE2ELNS1_3repE0EEENS1_30default_config_static_selectorELNS0_4arch9wavefront6targetE1EEEvT1_
    .private_segment_fixed_size: 0
    .sgpr_count:     4
    .sgpr_spill_count: 0
    .symbol:         _ZN7rocprim17ROCPRIM_400000_NS6detail17trampoline_kernelINS0_14default_configENS1_20scan_config_selectorIiEEZZNS1_9scan_implILNS1_25lookback_scan_determinismE0ELb0ELb1ES3_N6thrust23THRUST_200600_302600_NS6detail15normal_iteratorINS9_10device_ptrIiEEEESE_iNS9_4plusIiEEiEEDaPvRmT3_T4_T5_mT6_P12ihipStream_tbENKUlT_T0_E_clISt17integral_constantIbLb0EEST_IbLb1EEEEDaSP_SQ_EUlSP_E0_NS1_11comp_targetILNS1_3genE8ELNS1_11target_archE1030ELNS1_3gpuE2ELNS1_3repE0EEENS1_30default_config_static_selectorELNS0_4arch9wavefront6targetE1EEEvT1_.kd
    .uniform_work_group_size: 1
    .uses_dynamic_stack: false
    .vgpr_count:     0
    .vgpr_spill_count: 0
    .wavefront_size: 64
  - .agpr_count:     0
    .args:
      - .offset:         0
        .size:           96
        .value_kind:     by_value
    .group_segment_fixed_size: 0
    .kernarg_segment_align: 8
    .kernarg_segment_size: 96
    .language:       OpenCL C
    .language_version:
      - 2
      - 0
    .max_flat_workgroup_size: 256
    .name:           _ZN7rocprim17ROCPRIM_400000_NS6detail17trampoline_kernelINS0_14default_configENS1_20scan_config_selectorIiEEZZNS1_9scan_implILNS1_25lookback_scan_determinismE0ELb1ELb1ES3_N6thrust23THRUST_200600_302600_NS6detail15normal_iteratorINS9_10device_ptrIiEEEESE_iNS9_4plusIvEEiEEDaPvRmT3_T4_T5_mT6_P12ihipStream_tbENKUlT_T0_E_clISt17integral_constantIbLb0EESU_EEDaSP_SQ_EUlSP_E_NS1_11comp_targetILNS1_3genE0ELNS1_11target_archE4294967295ELNS1_3gpuE0ELNS1_3repE0EEENS1_30default_config_static_selectorELNS0_4arch9wavefront6targetE1EEEvT1_
    .private_segment_fixed_size: 0
    .sgpr_count:     4
    .sgpr_spill_count: 0
    .symbol:         _ZN7rocprim17ROCPRIM_400000_NS6detail17trampoline_kernelINS0_14default_configENS1_20scan_config_selectorIiEEZZNS1_9scan_implILNS1_25lookback_scan_determinismE0ELb1ELb1ES3_N6thrust23THRUST_200600_302600_NS6detail15normal_iteratorINS9_10device_ptrIiEEEESE_iNS9_4plusIvEEiEEDaPvRmT3_T4_T5_mT6_P12ihipStream_tbENKUlT_T0_E_clISt17integral_constantIbLb0EESU_EEDaSP_SQ_EUlSP_E_NS1_11comp_targetILNS1_3genE0ELNS1_11target_archE4294967295ELNS1_3gpuE0ELNS1_3repE0EEENS1_30default_config_static_selectorELNS0_4arch9wavefront6targetE1EEEvT1_.kd
    .uniform_work_group_size: 1
    .uses_dynamic_stack: false
    .vgpr_count:     0
    .vgpr_spill_count: 0
    .wavefront_size: 64
  - .agpr_count:     0
    .args:
      - .offset:         0
        .size:           96
        .value_kind:     by_value
    .group_segment_fixed_size: 0
    .kernarg_segment_align: 8
    .kernarg_segment_size: 96
    .language:       OpenCL C
    .language_version:
      - 2
      - 0
    .max_flat_workgroup_size: 256
    .name:           _ZN7rocprim17ROCPRIM_400000_NS6detail17trampoline_kernelINS0_14default_configENS1_20scan_config_selectorIiEEZZNS1_9scan_implILNS1_25lookback_scan_determinismE0ELb1ELb1ES3_N6thrust23THRUST_200600_302600_NS6detail15normal_iteratorINS9_10device_ptrIiEEEESE_iNS9_4plusIvEEiEEDaPvRmT3_T4_T5_mT6_P12ihipStream_tbENKUlT_T0_E_clISt17integral_constantIbLb0EESU_EEDaSP_SQ_EUlSP_E_NS1_11comp_targetILNS1_3genE5ELNS1_11target_archE942ELNS1_3gpuE9ELNS1_3repE0EEENS1_30default_config_static_selectorELNS0_4arch9wavefront6targetE1EEEvT1_
    .private_segment_fixed_size: 0
    .sgpr_count:     4
    .sgpr_spill_count: 0
    .symbol:         _ZN7rocprim17ROCPRIM_400000_NS6detail17trampoline_kernelINS0_14default_configENS1_20scan_config_selectorIiEEZZNS1_9scan_implILNS1_25lookback_scan_determinismE0ELb1ELb1ES3_N6thrust23THRUST_200600_302600_NS6detail15normal_iteratorINS9_10device_ptrIiEEEESE_iNS9_4plusIvEEiEEDaPvRmT3_T4_T5_mT6_P12ihipStream_tbENKUlT_T0_E_clISt17integral_constantIbLb0EESU_EEDaSP_SQ_EUlSP_E_NS1_11comp_targetILNS1_3genE5ELNS1_11target_archE942ELNS1_3gpuE9ELNS1_3repE0EEENS1_30default_config_static_selectorELNS0_4arch9wavefront6targetE1EEEvT1_.kd
    .uniform_work_group_size: 1
    .uses_dynamic_stack: false
    .vgpr_count:     0
    .vgpr_spill_count: 0
    .wavefront_size: 64
  - .agpr_count:     0
    .args:
      - .offset:         0
        .size:           96
        .value_kind:     by_value
    .group_segment_fixed_size: 5120
    .kernarg_segment_align: 8
    .kernarg_segment_size: 96
    .language:       OpenCL C
    .language_version:
      - 2
      - 0
    .max_flat_workgroup_size: 128
    .name:           _ZN7rocprim17ROCPRIM_400000_NS6detail17trampoline_kernelINS0_14default_configENS1_20scan_config_selectorIiEEZZNS1_9scan_implILNS1_25lookback_scan_determinismE0ELb1ELb1ES3_N6thrust23THRUST_200600_302600_NS6detail15normal_iteratorINS9_10device_ptrIiEEEESE_iNS9_4plusIvEEiEEDaPvRmT3_T4_T5_mT6_P12ihipStream_tbENKUlT_T0_E_clISt17integral_constantIbLb0EESU_EEDaSP_SQ_EUlSP_E_NS1_11comp_targetILNS1_3genE4ELNS1_11target_archE910ELNS1_3gpuE8ELNS1_3repE0EEENS1_30default_config_static_selectorELNS0_4arch9wavefront6targetE1EEEvT1_
    .private_segment_fixed_size: 0
    .sgpr_count:     33
    .sgpr_spill_count: 0
    .symbol:         _ZN7rocprim17ROCPRIM_400000_NS6detail17trampoline_kernelINS0_14default_configENS1_20scan_config_selectorIiEEZZNS1_9scan_implILNS1_25lookback_scan_determinismE0ELb1ELb1ES3_N6thrust23THRUST_200600_302600_NS6detail15normal_iteratorINS9_10device_ptrIiEEEESE_iNS9_4plusIvEEiEEDaPvRmT3_T4_T5_mT6_P12ihipStream_tbENKUlT_T0_E_clISt17integral_constantIbLb0EESU_EEDaSP_SQ_EUlSP_E_NS1_11comp_targetILNS1_3genE4ELNS1_11target_archE910ELNS1_3gpuE8ELNS1_3repE0EEENS1_30default_config_static_selectorELNS0_4arch9wavefront6targetE1EEEvT1_.kd
    .uniform_work_group_size: 1
    .uses_dynamic_stack: false
    .vgpr_count:     41
    .vgpr_spill_count: 0
    .wavefront_size: 64
  - .agpr_count:     0
    .args:
      - .offset:         0
        .size:           96
        .value_kind:     by_value
    .group_segment_fixed_size: 0
    .kernarg_segment_align: 8
    .kernarg_segment_size: 96
    .language:       OpenCL C
    .language_version:
      - 2
      - 0
    .max_flat_workgroup_size: 256
    .name:           _ZN7rocprim17ROCPRIM_400000_NS6detail17trampoline_kernelINS0_14default_configENS1_20scan_config_selectorIiEEZZNS1_9scan_implILNS1_25lookback_scan_determinismE0ELb1ELb1ES3_N6thrust23THRUST_200600_302600_NS6detail15normal_iteratorINS9_10device_ptrIiEEEESE_iNS9_4plusIvEEiEEDaPvRmT3_T4_T5_mT6_P12ihipStream_tbENKUlT_T0_E_clISt17integral_constantIbLb0EESU_EEDaSP_SQ_EUlSP_E_NS1_11comp_targetILNS1_3genE3ELNS1_11target_archE908ELNS1_3gpuE7ELNS1_3repE0EEENS1_30default_config_static_selectorELNS0_4arch9wavefront6targetE1EEEvT1_
    .private_segment_fixed_size: 0
    .sgpr_count:     4
    .sgpr_spill_count: 0
    .symbol:         _ZN7rocprim17ROCPRIM_400000_NS6detail17trampoline_kernelINS0_14default_configENS1_20scan_config_selectorIiEEZZNS1_9scan_implILNS1_25lookback_scan_determinismE0ELb1ELb1ES3_N6thrust23THRUST_200600_302600_NS6detail15normal_iteratorINS9_10device_ptrIiEEEESE_iNS9_4plusIvEEiEEDaPvRmT3_T4_T5_mT6_P12ihipStream_tbENKUlT_T0_E_clISt17integral_constantIbLb0EESU_EEDaSP_SQ_EUlSP_E_NS1_11comp_targetILNS1_3genE3ELNS1_11target_archE908ELNS1_3gpuE7ELNS1_3repE0EEENS1_30default_config_static_selectorELNS0_4arch9wavefront6targetE1EEEvT1_.kd
    .uniform_work_group_size: 1
    .uses_dynamic_stack: false
    .vgpr_count:     0
    .vgpr_spill_count: 0
    .wavefront_size: 64
  - .agpr_count:     0
    .args:
      - .offset:         0
        .size:           96
        .value_kind:     by_value
    .group_segment_fixed_size: 0
    .kernarg_segment_align: 8
    .kernarg_segment_size: 96
    .language:       OpenCL C
    .language_version:
      - 2
      - 0
    .max_flat_workgroup_size: 256
    .name:           _ZN7rocprim17ROCPRIM_400000_NS6detail17trampoline_kernelINS0_14default_configENS1_20scan_config_selectorIiEEZZNS1_9scan_implILNS1_25lookback_scan_determinismE0ELb1ELb1ES3_N6thrust23THRUST_200600_302600_NS6detail15normal_iteratorINS9_10device_ptrIiEEEESE_iNS9_4plusIvEEiEEDaPvRmT3_T4_T5_mT6_P12ihipStream_tbENKUlT_T0_E_clISt17integral_constantIbLb0EESU_EEDaSP_SQ_EUlSP_E_NS1_11comp_targetILNS1_3genE2ELNS1_11target_archE906ELNS1_3gpuE6ELNS1_3repE0EEENS1_30default_config_static_selectorELNS0_4arch9wavefront6targetE1EEEvT1_
    .private_segment_fixed_size: 0
    .sgpr_count:     4
    .sgpr_spill_count: 0
    .symbol:         _ZN7rocprim17ROCPRIM_400000_NS6detail17trampoline_kernelINS0_14default_configENS1_20scan_config_selectorIiEEZZNS1_9scan_implILNS1_25lookback_scan_determinismE0ELb1ELb1ES3_N6thrust23THRUST_200600_302600_NS6detail15normal_iteratorINS9_10device_ptrIiEEEESE_iNS9_4plusIvEEiEEDaPvRmT3_T4_T5_mT6_P12ihipStream_tbENKUlT_T0_E_clISt17integral_constantIbLb0EESU_EEDaSP_SQ_EUlSP_E_NS1_11comp_targetILNS1_3genE2ELNS1_11target_archE906ELNS1_3gpuE6ELNS1_3repE0EEENS1_30default_config_static_selectorELNS0_4arch9wavefront6targetE1EEEvT1_.kd
    .uniform_work_group_size: 1
    .uses_dynamic_stack: false
    .vgpr_count:     0
    .vgpr_spill_count: 0
    .wavefront_size: 64
  - .agpr_count:     0
    .args:
      - .offset:         0
        .size:           96
        .value_kind:     by_value
    .group_segment_fixed_size: 0
    .kernarg_segment_align: 8
    .kernarg_segment_size: 96
    .language:       OpenCL C
    .language_version:
      - 2
      - 0
    .max_flat_workgroup_size: 256
    .name:           _ZN7rocprim17ROCPRIM_400000_NS6detail17trampoline_kernelINS0_14default_configENS1_20scan_config_selectorIiEEZZNS1_9scan_implILNS1_25lookback_scan_determinismE0ELb1ELb1ES3_N6thrust23THRUST_200600_302600_NS6detail15normal_iteratorINS9_10device_ptrIiEEEESE_iNS9_4plusIvEEiEEDaPvRmT3_T4_T5_mT6_P12ihipStream_tbENKUlT_T0_E_clISt17integral_constantIbLb0EESU_EEDaSP_SQ_EUlSP_E_NS1_11comp_targetILNS1_3genE10ELNS1_11target_archE1201ELNS1_3gpuE5ELNS1_3repE0EEENS1_30default_config_static_selectorELNS0_4arch9wavefront6targetE1EEEvT1_
    .private_segment_fixed_size: 0
    .sgpr_count:     4
    .sgpr_spill_count: 0
    .symbol:         _ZN7rocprim17ROCPRIM_400000_NS6detail17trampoline_kernelINS0_14default_configENS1_20scan_config_selectorIiEEZZNS1_9scan_implILNS1_25lookback_scan_determinismE0ELb1ELb1ES3_N6thrust23THRUST_200600_302600_NS6detail15normal_iteratorINS9_10device_ptrIiEEEESE_iNS9_4plusIvEEiEEDaPvRmT3_T4_T5_mT6_P12ihipStream_tbENKUlT_T0_E_clISt17integral_constantIbLb0EESU_EEDaSP_SQ_EUlSP_E_NS1_11comp_targetILNS1_3genE10ELNS1_11target_archE1201ELNS1_3gpuE5ELNS1_3repE0EEENS1_30default_config_static_selectorELNS0_4arch9wavefront6targetE1EEEvT1_.kd
    .uniform_work_group_size: 1
    .uses_dynamic_stack: false
    .vgpr_count:     0
    .vgpr_spill_count: 0
    .wavefront_size: 64
  - .agpr_count:     0
    .args:
      - .offset:         0
        .size:           96
        .value_kind:     by_value
    .group_segment_fixed_size: 0
    .kernarg_segment_align: 8
    .kernarg_segment_size: 96
    .language:       OpenCL C
    .language_version:
      - 2
      - 0
    .max_flat_workgroup_size: 256
    .name:           _ZN7rocprim17ROCPRIM_400000_NS6detail17trampoline_kernelINS0_14default_configENS1_20scan_config_selectorIiEEZZNS1_9scan_implILNS1_25lookback_scan_determinismE0ELb1ELb1ES3_N6thrust23THRUST_200600_302600_NS6detail15normal_iteratorINS9_10device_ptrIiEEEESE_iNS9_4plusIvEEiEEDaPvRmT3_T4_T5_mT6_P12ihipStream_tbENKUlT_T0_E_clISt17integral_constantIbLb0EESU_EEDaSP_SQ_EUlSP_E_NS1_11comp_targetILNS1_3genE10ELNS1_11target_archE1200ELNS1_3gpuE4ELNS1_3repE0EEENS1_30default_config_static_selectorELNS0_4arch9wavefront6targetE1EEEvT1_
    .private_segment_fixed_size: 0
    .sgpr_count:     4
    .sgpr_spill_count: 0
    .symbol:         _ZN7rocprim17ROCPRIM_400000_NS6detail17trampoline_kernelINS0_14default_configENS1_20scan_config_selectorIiEEZZNS1_9scan_implILNS1_25lookback_scan_determinismE0ELb1ELb1ES3_N6thrust23THRUST_200600_302600_NS6detail15normal_iteratorINS9_10device_ptrIiEEEESE_iNS9_4plusIvEEiEEDaPvRmT3_T4_T5_mT6_P12ihipStream_tbENKUlT_T0_E_clISt17integral_constantIbLb0EESU_EEDaSP_SQ_EUlSP_E_NS1_11comp_targetILNS1_3genE10ELNS1_11target_archE1200ELNS1_3gpuE4ELNS1_3repE0EEENS1_30default_config_static_selectorELNS0_4arch9wavefront6targetE1EEEvT1_.kd
    .uniform_work_group_size: 1
    .uses_dynamic_stack: false
    .vgpr_count:     0
    .vgpr_spill_count: 0
    .wavefront_size: 64
  - .agpr_count:     0
    .args:
      - .offset:         0
        .size:           96
        .value_kind:     by_value
    .group_segment_fixed_size: 0
    .kernarg_segment_align: 8
    .kernarg_segment_size: 96
    .language:       OpenCL C
    .language_version:
      - 2
      - 0
    .max_flat_workgroup_size: 256
    .name:           _ZN7rocprim17ROCPRIM_400000_NS6detail17trampoline_kernelINS0_14default_configENS1_20scan_config_selectorIiEEZZNS1_9scan_implILNS1_25lookback_scan_determinismE0ELb1ELb1ES3_N6thrust23THRUST_200600_302600_NS6detail15normal_iteratorINS9_10device_ptrIiEEEESE_iNS9_4plusIvEEiEEDaPvRmT3_T4_T5_mT6_P12ihipStream_tbENKUlT_T0_E_clISt17integral_constantIbLb0EESU_EEDaSP_SQ_EUlSP_E_NS1_11comp_targetILNS1_3genE9ELNS1_11target_archE1100ELNS1_3gpuE3ELNS1_3repE0EEENS1_30default_config_static_selectorELNS0_4arch9wavefront6targetE1EEEvT1_
    .private_segment_fixed_size: 0
    .sgpr_count:     4
    .sgpr_spill_count: 0
    .symbol:         _ZN7rocprim17ROCPRIM_400000_NS6detail17trampoline_kernelINS0_14default_configENS1_20scan_config_selectorIiEEZZNS1_9scan_implILNS1_25lookback_scan_determinismE0ELb1ELb1ES3_N6thrust23THRUST_200600_302600_NS6detail15normal_iteratorINS9_10device_ptrIiEEEESE_iNS9_4plusIvEEiEEDaPvRmT3_T4_T5_mT6_P12ihipStream_tbENKUlT_T0_E_clISt17integral_constantIbLb0EESU_EEDaSP_SQ_EUlSP_E_NS1_11comp_targetILNS1_3genE9ELNS1_11target_archE1100ELNS1_3gpuE3ELNS1_3repE0EEENS1_30default_config_static_selectorELNS0_4arch9wavefront6targetE1EEEvT1_.kd
    .uniform_work_group_size: 1
    .uses_dynamic_stack: false
    .vgpr_count:     0
    .vgpr_spill_count: 0
    .wavefront_size: 64
  - .agpr_count:     0
    .args:
      - .offset:         0
        .size:           96
        .value_kind:     by_value
    .group_segment_fixed_size: 0
    .kernarg_segment_align: 8
    .kernarg_segment_size: 96
    .language:       OpenCL C
    .language_version:
      - 2
      - 0
    .max_flat_workgroup_size: 64
    .name:           _ZN7rocprim17ROCPRIM_400000_NS6detail17trampoline_kernelINS0_14default_configENS1_20scan_config_selectorIiEEZZNS1_9scan_implILNS1_25lookback_scan_determinismE0ELb1ELb1ES3_N6thrust23THRUST_200600_302600_NS6detail15normal_iteratorINS9_10device_ptrIiEEEESE_iNS9_4plusIvEEiEEDaPvRmT3_T4_T5_mT6_P12ihipStream_tbENKUlT_T0_E_clISt17integral_constantIbLb0EESU_EEDaSP_SQ_EUlSP_E_NS1_11comp_targetILNS1_3genE8ELNS1_11target_archE1030ELNS1_3gpuE2ELNS1_3repE0EEENS1_30default_config_static_selectorELNS0_4arch9wavefront6targetE1EEEvT1_
    .private_segment_fixed_size: 0
    .sgpr_count:     4
    .sgpr_spill_count: 0
    .symbol:         _ZN7rocprim17ROCPRIM_400000_NS6detail17trampoline_kernelINS0_14default_configENS1_20scan_config_selectorIiEEZZNS1_9scan_implILNS1_25lookback_scan_determinismE0ELb1ELb1ES3_N6thrust23THRUST_200600_302600_NS6detail15normal_iteratorINS9_10device_ptrIiEEEESE_iNS9_4plusIvEEiEEDaPvRmT3_T4_T5_mT6_P12ihipStream_tbENKUlT_T0_E_clISt17integral_constantIbLb0EESU_EEDaSP_SQ_EUlSP_E_NS1_11comp_targetILNS1_3genE8ELNS1_11target_archE1030ELNS1_3gpuE2ELNS1_3repE0EEENS1_30default_config_static_selectorELNS0_4arch9wavefront6targetE1EEEvT1_.kd
    .uniform_work_group_size: 1
    .uses_dynamic_stack: false
    .vgpr_count:     0
    .vgpr_spill_count: 0
    .wavefront_size: 64
  - .agpr_count:     0
    .args:
      - .offset:         0
        .size:           32
        .value_kind:     by_value
    .group_segment_fixed_size: 0
    .kernarg_segment_align: 8
    .kernarg_segment_size: 32
    .language:       OpenCL C
    .language_version:
      - 2
      - 0
    .max_flat_workgroup_size: 256
    .name:           _ZN7rocprim17ROCPRIM_400000_NS6detail17trampoline_kernelINS0_14default_configENS1_20scan_config_selectorIiEEZZNS1_9scan_implILNS1_25lookback_scan_determinismE0ELb1ELb1ES3_N6thrust23THRUST_200600_302600_NS6detail15normal_iteratorINS9_10device_ptrIiEEEESE_iNS9_4plusIvEEiEEDaPvRmT3_T4_T5_mT6_P12ihipStream_tbENKUlT_T0_E_clISt17integral_constantIbLb0EESU_EEDaSP_SQ_EUlSP_E0_NS1_11comp_targetILNS1_3genE0ELNS1_11target_archE4294967295ELNS1_3gpuE0ELNS1_3repE0EEENS1_30default_config_static_selectorELNS0_4arch9wavefront6targetE1EEEvT1_
    .private_segment_fixed_size: 0
    .sgpr_count:     4
    .sgpr_spill_count: 0
    .symbol:         _ZN7rocprim17ROCPRIM_400000_NS6detail17trampoline_kernelINS0_14default_configENS1_20scan_config_selectorIiEEZZNS1_9scan_implILNS1_25lookback_scan_determinismE0ELb1ELb1ES3_N6thrust23THRUST_200600_302600_NS6detail15normal_iteratorINS9_10device_ptrIiEEEESE_iNS9_4plusIvEEiEEDaPvRmT3_T4_T5_mT6_P12ihipStream_tbENKUlT_T0_E_clISt17integral_constantIbLb0EESU_EEDaSP_SQ_EUlSP_E0_NS1_11comp_targetILNS1_3genE0ELNS1_11target_archE4294967295ELNS1_3gpuE0ELNS1_3repE0EEENS1_30default_config_static_selectorELNS0_4arch9wavefront6targetE1EEEvT1_.kd
    .uniform_work_group_size: 1
    .uses_dynamic_stack: false
    .vgpr_count:     0
    .vgpr_spill_count: 0
    .wavefront_size: 64
  - .agpr_count:     0
    .args:
      - .offset:         0
        .size:           32
        .value_kind:     by_value
    .group_segment_fixed_size: 0
    .kernarg_segment_align: 8
    .kernarg_segment_size: 32
    .language:       OpenCL C
    .language_version:
      - 2
      - 0
    .max_flat_workgroup_size: 256
    .name:           _ZN7rocprim17ROCPRIM_400000_NS6detail17trampoline_kernelINS0_14default_configENS1_20scan_config_selectorIiEEZZNS1_9scan_implILNS1_25lookback_scan_determinismE0ELb1ELb1ES3_N6thrust23THRUST_200600_302600_NS6detail15normal_iteratorINS9_10device_ptrIiEEEESE_iNS9_4plusIvEEiEEDaPvRmT3_T4_T5_mT6_P12ihipStream_tbENKUlT_T0_E_clISt17integral_constantIbLb0EESU_EEDaSP_SQ_EUlSP_E0_NS1_11comp_targetILNS1_3genE5ELNS1_11target_archE942ELNS1_3gpuE9ELNS1_3repE0EEENS1_30default_config_static_selectorELNS0_4arch9wavefront6targetE1EEEvT1_
    .private_segment_fixed_size: 0
    .sgpr_count:     4
    .sgpr_spill_count: 0
    .symbol:         _ZN7rocprim17ROCPRIM_400000_NS6detail17trampoline_kernelINS0_14default_configENS1_20scan_config_selectorIiEEZZNS1_9scan_implILNS1_25lookback_scan_determinismE0ELb1ELb1ES3_N6thrust23THRUST_200600_302600_NS6detail15normal_iteratorINS9_10device_ptrIiEEEESE_iNS9_4plusIvEEiEEDaPvRmT3_T4_T5_mT6_P12ihipStream_tbENKUlT_T0_E_clISt17integral_constantIbLb0EESU_EEDaSP_SQ_EUlSP_E0_NS1_11comp_targetILNS1_3genE5ELNS1_11target_archE942ELNS1_3gpuE9ELNS1_3repE0EEENS1_30default_config_static_selectorELNS0_4arch9wavefront6targetE1EEEvT1_.kd
    .uniform_work_group_size: 1
    .uses_dynamic_stack: false
    .vgpr_count:     0
    .vgpr_spill_count: 0
    .wavefront_size: 64
  - .agpr_count:     0
    .args:
      - .offset:         0
        .size:           32
        .value_kind:     by_value
    .group_segment_fixed_size: 5120
    .kernarg_segment_align: 8
    .kernarg_segment_size: 32
    .language:       OpenCL C
    .language_version:
      - 2
      - 0
    .max_flat_workgroup_size: 128
    .name:           _ZN7rocprim17ROCPRIM_400000_NS6detail17trampoline_kernelINS0_14default_configENS1_20scan_config_selectorIiEEZZNS1_9scan_implILNS1_25lookback_scan_determinismE0ELb1ELb1ES3_N6thrust23THRUST_200600_302600_NS6detail15normal_iteratorINS9_10device_ptrIiEEEESE_iNS9_4plusIvEEiEEDaPvRmT3_T4_T5_mT6_P12ihipStream_tbENKUlT_T0_E_clISt17integral_constantIbLb0EESU_EEDaSP_SQ_EUlSP_E0_NS1_11comp_targetILNS1_3genE4ELNS1_11target_archE910ELNS1_3gpuE8ELNS1_3repE0EEENS1_30default_config_static_selectorELNS0_4arch9wavefront6targetE1EEEvT1_
    .private_segment_fixed_size: 0
    .sgpr_count:     29
    .sgpr_spill_count: 0
    .symbol:         _ZN7rocprim17ROCPRIM_400000_NS6detail17trampoline_kernelINS0_14default_configENS1_20scan_config_selectorIiEEZZNS1_9scan_implILNS1_25lookback_scan_determinismE0ELb1ELb1ES3_N6thrust23THRUST_200600_302600_NS6detail15normal_iteratorINS9_10device_ptrIiEEEESE_iNS9_4plusIvEEiEEDaPvRmT3_T4_T5_mT6_P12ihipStream_tbENKUlT_T0_E_clISt17integral_constantIbLb0EESU_EEDaSP_SQ_EUlSP_E0_NS1_11comp_targetILNS1_3genE4ELNS1_11target_archE910ELNS1_3gpuE8ELNS1_3repE0EEENS1_30default_config_static_selectorELNS0_4arch9wavefront6targetE1EEEvT1_.kd
    .uniform_work_group_size: 1
    .uses_dynamic_stack: false
    .vgpr_count:     18
    .vgpr_spill_count: 0
    .wavefront_size: 64
  - .agpr_count:     0
    .args:
      - .offset:         0
        .size:           32
        .value_kind:     by_value
    .group_segment_fixed_size: 0
    .kernarg_segment_align: 8
    .kernarg_segment_size: 32
    .language:       OpenCL C
    .language_version:
      - 2
      - 0
    .max_flat_workgroup_size: 256
    .name:           _ZN7rocprim17ROCPRIM_400000_NS6detail17trampoline_kernelINS0_14default_configENS1_20scan_config_selectorIiEEZZNS1_9scan_implILNS1_25lookback_scan_determinismE0ELb1ELb1ES3_N6thrust23THRUST_200600_302600_NS6detail15normal_iteratorINS9_10device_ptrIiEEEESE_iNS9_4plusIvEEiEEDaPvRmT3_T4_T5_mT6_P12ihipStream_tbENKUlT_T0_E_clISt17integral_constantIbLb0EESU_EEDaSP_SQ_EUlSP_E0_NS1_11comp_targetILNS1_3genE3ELNS1_11target_archE908ELNS1_3gpuE7ELNS1_3repE0EEENS1_30default_config_static_selectorELNS0_4arch9wavefront6targetE1EEEvT1_
    .private_segment_fixed_size: 0
    .sgpr_count:     4
    .sgpr_spill_count: 0
    .symbol:         _ZN7rocprim17ROCPRIM_400000_NS6detail17trampoline_kernelINS0_14default_configENS1_20scan_config_selectorIiEEZZNS1_9scan_implILNS1_25lookback_scan_determinismE0ELb1ELb1ES3_N6thrust23THRUST_200600_302600_NS6detail15normal_iteratorINS9_10device_ptrIiEEEESE_iNS9_4plusIvEEiEEDaPvRmT3_T4_T5_mT6_P12ihipStream_tbENKUlT_T0_E_clISt17integral_constantIbLb0EESU_EEDaSP_SQ_EUlSP_E0_NS1_11comp_targetILNS1_3genE3ELNS1_11target_archE908ELNS1_3gpuE7ELNS1_3repE0EEENS1_30default_config_static_selectorELNS0_4arch9wavefront6targetE1EEEvT1_.kd
    .uniform_work_group_size: 1
    .uses_dynamic_stack: false
    .vgpr_count:     0
    .vgpr_spill_count: 0
    .wavefront_size: 64
  - .agpr_count:     0
    .args:
      - .offset:         0
        .size:           32
        .value_kind:     by_value
    .group_segment_fixed_size: 0
    .kernarg_segment_align: 8
    .kernarg_segment_size: 32
    .language:       OpenCL C
    .language_version:
      - 2
      - 0
    .max_flat_workgroup_size: 256
    .name:           _ZN7rocprim17ROCPRIM_400000_NS6detail17trampoline_kernelINS0_14default_configENS1_20scan_config_selectorIiEEZZNS1_9scan_implILNS1_25lookback_scan_determinismE0ELb1ELb1ES3_N6thrust23THRUST_200600_302600_NS6detail15normal_iteratorINS9_10device_ptrIiEEEESE_iNS9_4plusIvEEiEEDaPvRmT3_T4_T5_mT6_P12ihipStream_tbENKUlT_T0_E_clISt17integral_constantIbLb0EESU_EEDaSP_SQ_EUlSP_E0_NS1_11comp_targetILNS1_3genE2ELNS1_11target_archE906ELNS1_3gpuE6ELNS1_3repE0EEENS1_30default_config_static_selectorELNS0_4arch9wavefront6targetE1EEEvT1_
    .private_segment_fixed_size: 0
    .sgpr_count:     4
    .sgpr_spill_count: 0
    .symbol:         _ZN7rocprim17ROCPRIM_400000_NS6detail17trampoline_kernelINS0_14default_configENS1_20scan_config_selectorIiEEZZNS1_9scan_implILNS1_25lookback_scan_determinismE0ELb1ELb1ES3_N6thrust23THRUST_200600_302600_NS6detail15normal_iteratorINS9_10device_ptrIiEEEESE_iNS9_4plusIvEEiEEDaPvRmT3_T4_T5_mT6_P12ihipStream_tbENKUlT_T0_E_clISt17integral_constantIbLb0EESU_EEDaSP_SQ_EUlSP_E0_NS1_11comp_targetILNS1_3genE2ELNS1_11target_archE906ELNS1_3gpuE6ELNS1_3repE0EEENS1_30default_config_static_selectorELNS0_4arch9wavefront6targetE1EEEvT1_.kd
    .uniform_work_group_size: 1
    .uses_dynamic_stack: false
    .vgpr_count:     0
    .vgpr_spill_count: 0
    .wavefront_size: 64
  - .agpr_count:     0
    .args:
      - .offset:         0
        .size:           32
        .value_kind:     by_value
    .group_segment_fixed_size: 0
    .kernarg_segment_align: 8
    .kernarg_segment_size: 32
    .language:       OpenCL C
    .language_version:
      - 2
      - 0
    .max_flat_workgroup_size: 256
    .name:           _ZN7rocprim17ROCPRIM_400000_NS6detail17trampoline_kernelINS0_14default_configENS1_20scan_config_selectorIiEEZZNS1_9scan_implILNS1_25lookback_scan_determinismE0ELb1ELb1ES3_N6thrust23THRUST_200600_302600_NS6detail15normal_iteratorINS9_10device_ptrIiEEEESE_iNS9_4plusIvEEiEEDaPvRmT3_T4_T5_mT6_P12ihipStream_tbENKUlT_T0_E_clISt17integral_constantIbLb0EESU_EEDaSP_SQ_EUlSP_E0_NS1_11comp_targetILNS1_3genE10ELNS1_11target_archE1201ELNS1_3gpuE5ELNS1_3repE0EEENS1_30default_config_static_selectorELNS0_4arch9wavefront6targetE1EEEvT1_
    .private_segment_fixed_size: 0
    .sgpr_count:     4
    .sgpr_spill_count: 0
    .symbol:         _ZN7rocprim17ROCPRIM_400000_NS6detail17trampoline_kernelINS0_14default_configENS1_20scan_config_selectorIiEEZZNS1_9scan_implILNS1_25lookback_scan_determinismE0ELb1ELb1ES3_N6thrust23THRUST_200600_302600_NS6detail15normal_iteratorINS9_10device_ptrIiEEEESE_iNS9_4plusIvEEiEEDaPvRmT3_T4_T5_mT6_P12ihipStream_tbENKUlT_T0_E_clISt17integral_constantIbLb0EESU_EEDaSP_SQ_EUlSP_E0_NS1_11comp_targetILNS1_3genE10ELNS1_11target_archE1201ELNS1_3gpuE5ELNS1_3repE0EEENS1_30default_config_static_selectorELNS0_4arch9wavefront6targetE1EEEvT1_.kd
    .uniform_work_group_size: 1
    .uses_dynamic_stack: false
    .vgpr_count:     0
    .vgpr_spill_count: 0
    .wavefront_size: 64
  - .agpr_count:     0
    .args:
      - .offset:         0
        .size:           32
        .value_kind:     by_value
    .group_segment_fixed_size: 0
    .kernarg_segment_align: 8
    .kernarg_segment_size: 32
    .language:       OpenCL C
    .language_version:
      - 2
      - 0
    .max_flat_workgroup_size: 256
    .name:           _ZN7rocprim17ROCPRIM_400000_NS6detail17trampoline_kernelINS0_14default_configENS1_20scan_config_selectorIiEEZZNS1_9scan_implILNS1_25lookback_scan_determinismE0ELb1ELb1ES3_N6thrust23THRUST_200600_302600_NS6detail15normal_iteratorINS9_10device_ptrIiEEEESE_iNS9_4plusIvEEiEEDaPvRmT3_T4_T5_mT6_P12ihipStream_tbENKUlT_T0_E_clISt17integral_constantIbLb0EESU_EEDaSP_SQ_EUlSP_E0_NS1_11comp_targetILNS1_3genE10ELNS1_11target_archE1200ELNS1_3gpuE4ELNS1_3repE0EEENS1_30default_config_static_selectorELNS0_4arch9wavefront6targetE1EEEvT1_
    .private_segment_fixed_size: 0
    .sgpr_count:     4
    .sgpr_spill_count: 0
    .symbol:         _ZN7rocprim17ROCPRIM_400000_NS6detail17trampoline_kernelINS0_14default_configENS1_20scan_config_selectorIiEEZZNS1_9scan_implILNS1_25lookback_scan_determinismE0ELb1ELb1ES3_N6thrust23THRUST_200600_302600_NS6detail15normal_iteratorINS9_10device_ptrIiEEEESE_iNS9_4plusIvEEiEEDaPvRmT3_T4_T5_mT6_P12ihipStream_tbENKUlT_T0_E_clISt17integral_constantIbLb0EESU_EEDaSP_SQ_EUlSP_E0_NS1_11comp_targetILNS1_3genE10ELNS1_11target_archE1200ELNS1_3gpuE4ELNS1_3repE0EEENS1_30default_config_static_selectorELNS0_4arch9wavefront6targetE1EEEvT1_.kd
    .uniform_work_group_size: 1
    .uses_dynamic_stack: false
    .vgpr_count:     0
    .vgpr_spill_count: 0
    .wavefront_size: 64
  - .agpr_count:     0
    .args:
      - .offset:         0
        .size:           32
        .value_kind:     by_value
    .group_segment_fixed_size: 0
    .kernarg_segment_align: 8
    .kernarg_segment_size: 32
    .language:       OpenCL C
    .language_version:
      - 2
      - 0
    .max_flat_workgroup_size: 256
    .name:           _ZN7rocprim17ROCPRIM_400000_NS6detail17trampoline_kernelINS0_14default_configENS1_20scan_config_selectorIiEEZZNS1_9scan_implILNS1_25lookback_scan_determinismE0ELb1ELb1ES3_N6thrust23THRUST_200600_302600_NS6detail15normal_iteratorINS9_10device_ptrIiEEEESE_iNS9_4plusIvEEiEEDaPvRmT3_T4_T5_mT6_P12ihipStream_tbENKUlT_T0_E_clISt17integral_constantIbLb0EESU_EEDaSP_SQ_EUlSP_E0_NS1_11comp_targetILNS1_3genE9ELNS1_11target_archE1100ELNS1_3gpuE3ELNS1_3repE0EEENS1_30default_config_static_selectorELNS0_4arch9wavefront6targetE1EEEvT1_
    .private_segment_fixed_size: 0
    .sgpr_count:     4
    .sgpr_spill_count: 0
    .symbol:         _ZN7rocprim17ROCPRIM_400000_NS6detail17trampoline_kernelINS0_14default_configENS1_20scan_config_selectorIiEEZZNS1_9scan_implILNS1_25lookback_scan_determinismE0ELb1ELb1ES3_N6thrust23THRUST_200600_302600_NS6detail15normal_iteratorINS9_10device_ptrIiEEEESE_iNS9_4plusIvEEiEEDaPvRmT3_T4_T5_mT6_P12ihipStream_tbENKUlT_T0_E_clISt17integral_constantIbLb0EESU_EEDaSP_SQ_EUlSP_E0_NS1_11comp_targetILNS1_3genE9ELNS1_11target_archE1100ELNS1_3gpuE3ELNS1_3repE0EEENS1_30default_config_static_selectorELNS0_4arch9wavefront6targetE1EEEvT1_.kd
    .uniform_work_group_size: 1
    .uses_dynamic_stack: false
    .vgpr_count:     0
    .vgpr_spill_count: 0
    .wavefront_size: 64
  - .agpr_count:     0
    .args:
      - .offset:         0
        .size:           32
        .value_kind:     by_value
    .group_segment_fixed_size: 0
    .kernarg_segment_align: 8
    .kernarg_segment_size: 32
    .language:       OpenCL C
    .language_version:
      - 2
      - 0
    .max_flat_workgroup_size: 64
    .name:           _ZN7rocprim17ROCPRIM_400000_NS6detail17trampoline_kernelINS0_14default_configENS1_20scan_config_selectorIiEEZZNS1_9scan_implILNS1_25lookback_scan_determinismE0ELb1ELb1ES3_N6thrust23THRUST_200600_302600_NS6detail15normal_iteratorINS9_10device_ptrIiEEEESE_iNS9_4plusIvEEiEEDaPvRmT3_T4_T5_mT6_P12ihipStream_tbENKUlT_T0_E_clISt17integral_constantIbLb0EESU_EEDaSP_SQ_EUlSP_E0_NS1_11comp_targetILNS1_3genE8ELNS1_11target_archE1030ELNS1_3gpuE2ELNS1_3repE0EEENS1_30default_config_static_selectorELNS0_4arch9wavefront6targetE1EEEvT1_
    .private_segment_fixed_size: 0
    .sgpr_count:     4
    .sgpr_spill_count: 0
    .symbol:         _ZN7rocprim17ROCPRIM_400000_NS6detail17trampoline_kernelINS0_14default_configENS1_20scan_config_selectorIiEEZZNS1_9scan_implILNS1_25lookback_scan_determinismE0ELb1ELb1ES3_N6thrust23THRUST_200600_302600_NS6detail15normal_iteratorINS9_10device_ptrIiEEEESE_iNS9_4plusIvEEiEEDaPvRmT3_T4_T5_mT6_P12ihipStream_tbENKUlT_T0_E_clISt17integral_constantIbLb0EESU_EEDaSP_SQ_EUlSP_E0_NS1_11comp_targetILNS1_3genE8ELNS1_11target_archE1030ELNS1_3gpuE2ELNS1_3repE0EEENS1_30default_config_static_selectorELNS0_4arch9wavefront6targetE1EEEvT1_.kd
    .uniform_work_group_size: 1
    .uses_dynamic_stack: false
    .vgpr_count:     0
    .vgpr_spill_count: 0
    .wavefront_size: 64
  - .agpr_count:     0
    .args:
      - .offset:         0
        .size:           96
        .value_kind:     by_value
    .group_segment_fixed_size: 0
    .kernarg_segment_align: 8
    .kernarg_segment_size: 96
    .language:       OpenCL C
    .language_version:
      - 2
      - 0
    .max_flat_workgroup_size: 256
    .name:           _ZN7rocprim17ROCPRIM_400000_NS6detail17trampoline_kernelINS0_14default_configENS1_20scan_config_selectorIiEEZZNS1_9scan_implILNS1_25lookback_scan_determinismE0ELb1ELb1ES3_N6thrust23THRUST_200600_302600_NS6detail15normal_iteratorINS9_10device_ptrIiEEEESE_iNS9_4plusIvEEiEEDaPvRmT3_T4_T5_mT6_P12ihipStream_tbENKUlT_T0_E_clISt17integral_constantIbLb1EESU_EEDaSP_SQ_EUlSP_E_NS1_11comp_targetILNS1_3genE0ELNS1_11target_archE4294967295ELNS1_3gpuE0ELNS1_3repE0EEENS1_30default_config_static_selectorELNS0_4arch9wavefront6targetE1EEEvT1_
    .private_segment_fixed_size: 0
    .sgpr_count:     4
    .sgpr_spill_count: 0
    .symbol:         _ZN7rocprim17ROCPRIM_400000_NS6detail17trampoline_kernelINS0_14default_configENS1_20scan_config_selectorIiEEZZNS1_9scan_implILNS1_25lookback_scan_determinismE0ELb1ELb1ES3_N6thrust23THRUST_200600_302600_NS6detail15normal_iteratorINS9_10device_ptrIiEEEESE_iNS9_4plusIvEEiEEDaPvRmT3_T4_T5_mT6_P12ihipStream_tbENKUlT_T0_E_clISt17integral_constantIbLb1EESU_EEDaSP_SQ_EUlSP_E_NS1_11comp_targetILNS1_3genE0ELNS1_11target_archE4294967295ELNS1_3gpuE0ELNS1_3repE0EEENS1_30default_config_static_selectorELNS0_4arch9wavefront6targetE1EEEvT1_.kd
    .uniform_work_group_size: 1
    .uses_dynamic_stack: false
    .vgpr_count:     0
    .vgpr_spill_count: 0
    .wavefront_size: 64
  - .agpr_count:     0
    .args:
      - .offset:         0
        .size:           96
        .value_kind:     by_value
    .group_segment_fixed_size: 0
    .kernarg_segment_align: 8
    .kernarg_segment_size: 96
    .language:       OpenCL C
    .language_version:
      - 2
      - 0
    .max_flat_workgroup_size: 256
    .name:           _ZN7rocprim17ROCPRIM_400000_NS6detail17trampoline_kernelINS0_14default_configENS1_20scan_config_selectorIiEEZZNS1_9scan_implILNS1_25lookback_scan_determinismE0ELb1ELb1ES3_N6thrust23THRUST_200600_302600_NS6detail15normal_iteratorINS9_10device_ptrIiEEEESE_iNS9_4plusIvEEiEEDaPvRmT3_T4_T5_mT6_P12ihipStream_tbENKUlT_T0_E_clISt17integral_constantIbLb1EESU_EEDaSP_SQ_EUlSP_E_NS1_11comp_targetILNS1_3genE5ELNS1_11target_archE942ELNS1_3gpuE9ELNS1_3repE0EEENS1_30default_config_static_selectorELNS0_4arch9wavefront6targetE1EEEvT1_
    .private_segment_fixed_size: 0
    .sgpr_count:     4
    .sgpr_spill_count: 0
    .symbol:         _ZN7rocprim17ROCPRIM_400000_NS6detail17trampoline_kernelINS0_14default_configENS1_20scan_config_selectorIiEEZZNS1_9scan_implILNS1_25lookback_scan_determinismE0ELb1ELb1ES3_N6thrust23THRUST_200600_302600_NS6detail15normal_iteratorINS9_10device_ptrIiEEEESE_iNS9_4plusIvEEiEEDaPvRmT3_T4_T5_mT6_P12ihipStream_tbENKUlT_T0_E_clISt17integral_constantIbLb1EESU_EEDaSP_SQ_EUlSP_E_NS1_11comp_targetILNS1_3genE5ELNS1_11target_archE942ELNS1_3gpuE9ELNS1_3repE0EEENS1_30default_config_static_selectorELNS0_4arch9wavefront6targetE1EEEvT1_.kd
    .uniform_work_group_size: 1
    .uses_dynamic_stack: false
    .vgpr_count:     0
    .vgpr_spill_count: 0
    .wavefront_size: 64
  - .agpr_count:     0
    .args:
      - .offset:         0
        .size:           96
        .value_kind:     by_value
    .group_segment_fixed_size: 5120
    .kernarg_segment_align: 8
    .kernarg_segment_size: 96
    .language:       OpenCL C
    .language_version:
      - 2
      - 0
    .max_flat_workgroup_size: 128
    .name:           _ZN7rocprim17ROCPRIM_400000_NS6detail17trampoline_kernelINS0_14default_configENS1_20scan_config_selectorIiEEZZNS1_9scan_implILNS1_25lookback_scan_determinismE0ELb1ELb1ES3_N6thrust23THRUST_200600_302600_NS6detail15normal_iteratorINS9_10device_ptrIiEEEESE_iNS9_4plusIvEEiEEDaPvRmT3_T4_T5_mT6_P12ihipStream_tbENKUlT_T0_E_clISt17integral_constantIbLb1EESU_EEDaSP_SQ_EUlSP_E_NS1_11comp_targetILNS1_3genE4ELNS1_11target_archE910ELNS1_3gpuE8ELNS1_3repE0EEENS1_30default_config_static_selectorELNS0_4arch9wavefront6targetE1EEEvT1_
    .private_segment_fixed_size: 0
    .sgpr_count:     44
    .sgpr_spill_count: 0
    .symbol:         _ZN7rocprim17ROCPRIM_400000_NS6detail17trampoline_kernelINS0_14default_configENS1_20scan_config_selectorIiEEZZNS1_9scan_implILNS1_25lookback_scan_determinismE0ELb1ELb1ES3_N6thrust23THRUST_200600_302600_NS6detail15normal_iteratorINS9_10device_ptrIiEEEESE_iNS9_4plusIvEEiEEDaPvRmT3_T4_T5_mT6_P12ihipStream_tbENKUlT_T0_E_clISt17integral_constantIbLb1EESU_EEDaSP_SQ_EUlSP_E_NS1_11comp_targetILNS1_3genE4ELNS1_11target_archE910ELNS1_3gpuE8ELNS1_3repE0EEENS1_30default_config_static_selectorELNS0_4arch9wavefront6targetE1EEEvT1_.kd
    .uniform_work_group_size: 1
    .uses_dynamic_stack: false
    .vgpr_count:     41
    .vgpr_spill_count: 0
    .wavefront_size: 64
  - .agpr_count:     0
    .args:
      - .offset:         0
        .size:           96
        .value_kind:     by_value
    .group_segment_fixed_size: 0
    .kernarg_segment_align: 8
    .kernarg_segment_size: 96
    .language:       OpenCL C
    .language_version:
      - 2
      - 0
    .max_flat_workgroup_size: 256
    .name:           _ZN7rocprim17ROCPRIM_400000_NS6detail17trampoline_kernelINS0_14default_configENS1_20scan_config_selectorIiEEZZNS1_9scan_implILNS1_25lookback_scan_determinismE0ELb1ELb1ES3_N6thrust23THRUST_200600_302600_NS6detail15normal_iteratorINS9_10device_ptrIiEEEESE_iNS9_4plusIvEEiEEDaPvRmT3_T4_T5_mT6_P12ihipStream_tbENKUlT_T0_E_clISt17integral_constantIbLb1EESU_EEDaSP_SQ_EUlSP_E_NS1_11comp_targetILNS1_3genE3ELNS1_11target_archE908ELNS1_3gpuE7ELNS1_3repE0EEENS1_30default_config_static_selectorELNS0_4arch9wavefront6targetE1EEEvT1_
    .private_segment_fixed_size: 0
    .sgpr_count:     4
    .sgpr_spill_count: 0
    .symbol:         _ZN7rocprim17ROCPRIM_400000_NS6detail17trampoline_kernelINS0_14default_configENS1_20scan_config_selectorIiEEZZNS1_9scan_implILNS1_25lookback_scan_determinismE0ELb1ELb1ES3_N6thrust23THRUST_200600_302600_NS6detail15normal_iteratorINS9_10device_ptrIiEEEESE_iNS9_4plusIvEEiEEDaPvRmT3_T4_T5_mT6_P12ihipStream_tbENKUlT_T0_E_clISt17integral_constantIbLb1EESU_EEDaSP_SQ_EUlSP_E_NS1_11comp_targetILNS1_3genE3ELNS1_11target_archE908ELNS1_3gpuE7ELNS1_3repE0EEENS1_30default_config_static_selectorELNS0_4arch9wavefront6targetE1EEEvT1_.kd
    .uniform_work_group_size: 1
    .uses_dynamic_stack: false
    .vgpr_count:     0
    .vgpr_spill_count: 0
    .wavefront_size: 64
  - .agpr_count:     0
    .args:
      - .offset:         0
        .size:           96
        .value_kind:     by_value
    .group_segment_fixed_size: 0
    .kernarg_segment_align: 8
    .kernarg_segment_size: 96
    .language:       OpenCL C
    .language_version:
      - 2
      - 0
    .max_flat_workgroup_size: 256
    .name:           _ZN7rocprim17ROCPRIM_400000_NS6detail17trampoline_kernelINS0_14default_configENS1_20scan_config_selectorIiEEZZNS1_9scan_implILNS1_25lookback_scan_determinismE0ELb1ELb1ES3_N6thrust23THRUST_200600_302600_NS6detail15normal_iteratorINS9_10device_ptrIiEEEESE_iNS9_4plusIvEEiEEDaPvRmT3_T4_T5_mT6_P12ihipStream_tbENKUlT_T0_E_clISt17integral_constantIbLb1EESU_EEDaSP_SQ_EUlSP_E_NS1_11comp_targetILNS1_3genE2ELNS1_11target_archE906ELNS1_3gpuE6ELNS1_3repE0EEENS1_30default_config_static_selectorELNS0_4arch9wavefront6targetE1EEEvT1_
    .private_segment_fixed_size: 0
    .sgpr_count:     4
    .sgpr_spill_count: 0
    .symbol:         _ZN7rocprim17ROCPRIM_400000_NS6detail17trampoline_kernelINS0_14default_configENS1_20scan_config_selectorIiEEZZNS1_9scan_implILNS1_25lookback_scan_determinismE0ELb1ELb1ES3_N6thrust23THRUST_200600_302600_NS6detail15normal_iteratorINS9_10device_ptrIiEEEESE_iNS9_4plusIvEEiEEDaPvRmT3_T4_T5_mT6_P12ihipStream_tbENKUlT_T0_E_clISt17integral_constantIbLb1EESU_EEDaSP_SQ_EUlSP_E_NS1_11comp_targetILNS1_3genE2ELNS1_11target_archE906ELNS1_3gpuE6ELNS1_3repE0EEENS1_30default_config_static_selectorELNS0_4arch9wavefront6targetE1EEEvT1_.kd
    .uniform_work_group_size: 1
    .uses_dynamic_stack: false
    .vgpr_count:     0
    .vgpr_spill_count: 0
    .wavefront_size: 64
  - .agpr_count:     0
    .args:
      - .offset:         0
        .size:           96
        .value_kind:     by_value
    .group_segment_fixed_size: 0
    .kernarg_segment_align: 8
    .kernarg_segment_size: 96
    .language:       OpenCL C
    .language_version:
      - 2
      - 0
    .max_flat_workgroup_size: 256
    .name:           _ZN7rocprim17ROCPRIM_400000_NS6detail17trampoline_kernelINS0_14default_configENS1_20scan_config_selectorIiEEZZNS1_9scan_implILNS1_25lookback_scan_determinismE0ELb1ELb1ES3_N6thrust23THRUST_200600_302600_NS6detail15normal_iteratorINS9_10device_ptrIiEEEESE_iNS9_4plusIvEEiEEDaPvRmT3_T4_T5_mT6_P12ihipStream_tbENKUlT_T0_E_clISt17integral_constantIbLb1EESU_EEDaSP_SQ_EUlSP_E_NS1_11comp_targetILNS1_3genE10ELNS1_11target_archE1201ELNS1_3gpuE5ELNS1_3repE0EEENS1_30default_config_static_selectorELNS0_4arch9wavefront6targetE1EEEvT1_
    .private_segment_fixed_size: 0
    .sgpr_count:     4
    .sgpr_spill_count: 0
    .symbol:         _ZN7rocprim17ROCPRIM_400000_NS6detail17trampoline_kernelINS0_14default_configENS1_20scan_config_selectorIiEEZZNS1_9scan_implILNS1_25lookback_scan_determinismE0ELb1ELb1ES3_N6thrust23THRUST_200600_302600_NS6detail15normal_iteratorINS9_10device_ptrIiEEEESE_iNS9_4plusIvEEiEEDaPvRmT3_T4_T5_mT6_P12ihipStream_tbENKUlT_T0_E_clISt17integral_constantIbLb1EESU_EEDaSP_SQ_EUlSP_E_NS1_11comp_targetILNS1_3genE10ELNS1_11target_archE1201ELNS1_3gpuE5ELNS1_3repE0EEENS1_30default_config_static_selectorELNS0_4arch9wavefront6targetE1EEEvT1_.kd
    .uniform_work_group_size: 1
    .uses_dynamic_stack: false
    .vgpr_count:     0
    .vgpr_spill_count: 0
    .wavefront_size: 64
  - .agpr_count:     0
    .args:
      - .offset:         0
        .size:           96
        .value_kind:     by_value
    .group_segment_fixed_size: 0
    .kernarg_segment_align: 8
    .kernarg_segment_size: 96
    .language:       OpenCL C
    .language_version:
      - 2
      - 0
    .max_flat_workgroup_size: 256
    .name:           _ZN7rocprim17ROCPRIM_400000_NS6detail17trampoline_kernelINS0_14default_configENS1_20scan_config_selectorIiEEZZNS1_9scan_implILNS1_25lookback_scan_determinismE0ELb1ELb1ES3_N6thrust23THRUST_200600_302600_NS6detail15normal_iteratorINS9_10device_ptrIiEEEESE_iNS9_4plusIvEEiEEDaPvRmT3_T4_T5_mT6_P12ihipStream_tbENKUlT_T0_E_clISt17integral_constantIbLb1EESU_EEDaSP_SQ_EUlSP_E_NS1_11comp_targetILNS1_3genE10ELNS1_11target_archE1200ELNS1_3gpuE4ELNS1_3repE0EEENS1_30default_config_static_selectorELNS0_4arch9wavefront6targetE1EEEvT1_
    .private_segment_fixed_size: 0
    .sgpr_count:     4
    .sgpr_spill_count: 0
    .symbol:         _ZN7rocprim17ROCPRIM_400000_NS6detail17trampoline_kernelINS0_14default_configENS1_20scan_config_selectorIiEEZZNS1_9scan_implILNS1_25lookback_scan_determinismE0ELb1ELb1ES3_N6thrust23THRUST_200600_302600_NS6detail15normal_iteratorINS9_10device_ptrIiEEEESE_iNS9_4plusIvEEiEEDaPvRmT3_T4_T5_mT6_P12ihipStream_tbENKUlT_T0_E_clISt17integral_constantIbLb1EESU_EEDaSP_SQ_EUlSP_E_NS1_11comp_targetILNS1_3genE10ELNS1_11target_archE1200ELNS1_3gpuE4ELNS1_3repE0EEENS1_30default_config_static_selectorELNS0_4arch9wavefront6targetE1EEEvT1_.kd
    .uniform_work_group_size: 1
    .uses_dynamic_stack: false
    .vgpr_count:     0
    .vgpr_spill_count: 0
    .wavefront_size: 64
  - .agpr_count:     0
    .args:
      - .offset:         0
        .size:           96
        .value_kind:     by_value
    .group_segment_fixed_size: 0
    .kernarg_segment_align: 8
    .kernarg_segment_size: 96
    .language:       OpenCL C
    .language_version:
      - 2
      - 0
    .max_flat_workgroup_size: 256
    .name:           _ZN7rocprim17ROCPRIM_400000_NS6detail17trampoline_kernelINS0_14default_configENS1_20scan_config_selectorIiEEZZNS1_9scan_implILNS1_25lookback_scan_determinismE0ELb1ELb1ES3_N6thrust23THRUST_200600_302600_NS6detail15normal_iteratorINS9_10device_ptrIiEEEESE_iNS9_4plusIvEEiEEDaPvRmT3_T4_T5_mT6_P12ihipStream_tbENKUlT_T0_E_clISt17integral_constantIbLb1EESU_EEDaSP_SQ_EUlSP_E_NS1_11comp_targetILNS1_3genE9ELNS1_11target_archE1100ELNS1_3gpuE3ELNS1_3repE0EEENS1_30default_config_static_selectorELNS0_4arch9wavefront6targetE1EEEvT1_
    .private_segment_fixed_size: 0
    .sgpr_count:     4
    .sgpr_spill_count: 0
    .symbol:         _ZN7rocprim17ROCPRIM_400000_NS6detail17trampoline_kernelINS0_14default_configENS1_20scan_config_selectorIiEEZZNS1_9scan_implILNS1_25lookback_scan_determinismE0ELb1ELb1ES3_N6thrust23THRUST_200600_302600_NS6detail15normal_iteratorINS9_10device_ptrIiEEEESE_iNS9_4plusIvEEiEEDaPvRmT3_T4_T5_mT6_P12ihipStream_tbENKUlT_T0_E_clISt17integral_constantIbLb1EESU_EEDaSP_SQ_EUlSP_E_NS1_11comp_targetILNS1_3genE9ELNS1_11target_archE1100ELNS1_3gpuE3ELNS1_3repE0EEENS1_30default_config_static_selectorELNS0_4arch9wavefront6targetE1EEEvT1_.kd
    .uniform_work_group_size: 1
    .uses_dynamic_stack: false
    .vgpr_count:     0
    .vgpr_spill_count: 0
    .wavefront_size: 64
  - .agpr_count:     0
    .args:
      - .offset:         0
        .size:           96
        .value_kind:     by_value
    .group_segment_fixed_size: 0
    .kernarg_segment_align: 8
    .kernarg_segment_size: 96
    .language:       OpenCL C
    .language_version:
      - 2
      - 0
    .max_flat_workgroup_size: 64
    .name:           _ZN7rocprim17ROCPRIM_400000_NS6detail17trampoline_kernelINS0_14default_configENS1_20scan_config_selectorIiEEZZNS1_9scan_implILNS1_25lookback_scan_determinismE0ELb1ELb1ES3_N6thrust23THRUST_200600_302600_NS6detail15normal_iteratorINS9_10device_ptrIiEEEESE_iNS9_4plusIvEEiEEDaPvRmT3_T4_T5_mT6_P12ihipStream_tbENKUlT_T0_E_clISt17integral_constantIbLb1EESU_EEDaSP_SQ_EUlSP_E_NS1_11comp_targetILNS1_3genE8ELNS1_11target_archE1030ELNS1_3gpuE2ELNS1_3repE0EEENS1_30default_config_static_selectorELNS0_4arch9wavefront6targetE1EEEvT1_
    .private_segment_fixed_size: 0
    .sgpr_count:     4
    .sgpr_spill_count: 0
    .symbol:         _ZN7rocprim17ROCPRIM_400000_NS6detail17trampoline_kernelINS0_14default_configENS1_20scan_config_selectorIiEEZZNS1_9scan_implILNS1_25lookback_scan_determinismE0ELb1ELb1ES3_N6thrust23THRUST_200600_302600_NS6detail15normal_iteratorINS9_10device_ptrIiEEEESE_iNS9_4plusIvEEiEEDaPvRmT3_T4_T5_mT6_P12ihipStream_tbENKUlT_T0_E_clISt17integral_constantIbLb1EESU_EEDaSP_SQ_EUlSP_E_NS1_11comp_targetILNS1_3genE8ELNS1_11target_archE1030ELNS1_3gpuE2ELNS1_3repE0EEENS1_30default_config_static_selectorELNS0_4arch9wavefront6targetE1EEEvT1_.kd
    .uniform_work_group_size: 1
    .uses_dynamic_stack: false
    .vgpr_count:     0
    .vgpr_spill_count: 0
    .wavefront_size: 64
  - .agpr_count:     0
    .args:
      - .offset:         0
        .size:           32
        .value_kind:     by_value
    .group_segment_fixed_size: 0
    .kernarg_segment_align: 8
    .kernarg_segment_size: 32
    .language:       OpenCL C
    .language_version:
      - 2
      - 0
    .max_flat_workgroup_size: 256
    .name:           _ZN7rocprim17ROCPRIM_400000_NS6detail17trampoline_kernelINS0_14default_configENS1_20scan_config_selectorIiEEZZNS1_9scan_implILNS1_25lookback_scan_determinismE0ELb1ELb1ES3_N6thrust23THRUST_200600_302600_NS6detail15normal_iteratorINS9_10device_ptrIiEEEESE_iNS9_4plusIvEEiEEDaPvRmT3_T4_T5_mT6_P12ihipStream_tbENKUlT_T0_E_clISt17integral_constantIbLb1EESU_EEDaSP_SQ_EUlSP_E0_NS1_11comp_targetILNS1_3genE0ELNS1_11target_archE4294967295ELNS1_3gpuE0ELNS1_3repE0EEENS1_30default_config_static_selectorELNS0_4arch9wavefront6targetE1EEEvT1_
    .private_segment_fixed_size: 0
    .sgpr_count:     4
    .sgpr_spill_count: 0
    .symbol:         _ZN7rocprim17ROCPRIM_400000_NS6detail17trampoline_kernelINS0_14default_configENS1_20scan_config_selectorIiEEZZNS1_9scan_implILNS1_25lookback_scan_determinismE0ELb1ELb1ES3_N6thrust23THRUST_200600_302600_NS6detail15normal_iteratorINS9_10device_ptrIiEEEESE_iNS9_4plusIvEEiEEDaPvRmT3_T4_T5_mT6_P12ihipStream_tbENKUlT_T0_E_clISt17integral_constantIbLb1EESU_EEDaSP_SQ_EUlSP_E0_NS1_11comp_targetILNS1_3genE0ELNS1_11target_archE4294967295ELNS1_3gpuE0ELNS1_3repE0EEENS1_30default_config_static_selectorELNS0_4arch9wavefront6targetE1EEEvT1_.kd
    .uniform_work_group_size: 1
    .uses_dynamic_stack: false
    .vgpr_count:     0
    .vgpr_spill_count: 0
    .wavefront_size: 64
  - .agpr_count:     0
    .args:
      - .offset:         0
        .size:           32
        .value_kind:     by_value
    .group_segment_fixed_size: 0
    .kernarg_segment_align: 8
    .kernarg_segment_size: 32
    .language:       OpenCL C
    .language_version:
      - 2
      - 0
    .max_flat_workgroup_size: 256
    .name:           _ZN7rocprim17ROCPRIM_400000_NS6detail17trampoline_kernelINS0_14default_configENS1_20scan_config_selectorIiEEZZNS1_9scan_implILNS1_25lookback_scan_determinismE0ELb1ELb1ES3_N6thrust23THRUST_200600_302600_NS6detail15normal_iteratorINS9_10device_ptrIiEEEESE_iNS9_4plusIvEEiEEDaPvRmT3_T4_T5_mT6_P12ihipStream_tbENKUlT_T0_E_clISt17integral_constantIbLb1EESU_EEDaSP_SQ_EUlSP_E0_NS1_11comp_targetILNS1_3genE5ELNS1_11target_archE942ELNS1_3gpuE9ELNS1_3repE0EEENS1_30default_config_static_selectorELNS0_4arch9wavefront6targetE1EEEvT1_
    .private_segment_fixed_size: 0
    .sgpr_count:     4
    .sgpr_spill_count: 0
    .symbol:         _ZN7rocprim17ROCPRIM_400000_NS6detail17trampoline_kernelINS0_14default_configENS1_20scan_config_selectorIiEEZZNS1_9scan_implILNS1_25lookback_scan_determinismE0ELb1ELb1ES3_N6thrust23THRUST_200600_302600_NS6detail15normal_iteratorINS9_10device_ptrIiEEEESE_iNS9_4plusIvEEiEEDaPvRmT3_T4_T5_mT6_P12ihipStream_tbENKUlT_T0_E_clISt17integral_constantIbLb1EESU_EEDaSP_SQ_EUlSP_E0_NS1_11comp_targetILNS1_3genE5ELNS1_11target_archE942ELNS1_3gpuE9ELNS1_3repE0EEENS1_30default_config_static_selectorELNS0_4arch9wavefront6targetE1EEEvT1_.kd
    .uniform_work_group_size: 1
    .uses_dynamic_stack: false
    .vgpr_count:     0
    .vgpr_spill_count: 0
    .wavefront_size: 64
  - .agpr_count:     0
    .args:
      - .offset:         0
        .size:           32
        .value_kind:     by_value
    .group_segment_fixed_size: 5120
    .kernarg_segment_align: 8
    .kernarg_segment_size: 32
    .language:       OpenCL C
    .language_version:
      - 2
      - 0
    .max_flat_workgroup_size: 128
    .name:           _ZN7rocprim17ROCPRIM_400000_NS6detail17trampoline_kernelINS0_14default_configENS1_20scan_config_selectorIiEEZZNS1_9scan_implILNS1_25lookback_scan_determinismE0ELb1ELb1ES3_N6thrust23THRUST_200600_302600_NS6detail15normal_iteratorINS9_10device_ptrIiEEEESE_iNS9_4plusIvEEiEEDaPvRmT3_T4_T5_mT6_P12ihipStream_tbENKUlT_T0_E_clISt17integral_constantIbLb1EESU_EEDaSP_SQ_EUlSP_E0_NS1_11comp_targetILNS1_3genE4ELNS1_11target_archE910ELNS1_3gpuE8ELNS1_3repE0EEENS1_30default_config_static_selectorELNS0_4arch9wavefront6targetE1EEEvT1_
    .private_segment_fixed_size: 0
    .sgpr_count:     29
    .sgpr_spill_count: 0
    .symbol:         _ZN7rocprim17ROCPRIM_400000_NS6detail17trampoline_kernelINS0_14default_configENS1_20scan_config_selectorIiEEZZNS1_9scan_implILNS1_25lookback_scan_determinismE0ELb1ELb1ES3_N6thrust23THRUST_200600_302600_NS6detail15normal_iteratorINS9_10device_ptrIiEEEESE_iNS9_4plusIvEEiEEDaPvRmT3_T4_T5_mT6_P12ihipStream_tbENKUlT_T0_E_clISt17integral_constantIbLb1EESU_EEDaSP_SQ_EUlSP_E0_NS1_11comp_targetILNS1_3genE4ELNS1_11target_archE910ELNS1_3gpuE8ELNS1_3repE0EEENS1_30default_config_static_selectorELNS0_4arch9wavefront6targetE1EEEvT1_.kd
    .uniform_work_group_size: 1
    .uses_dynamic_stack: false
    .vgpr_count:     18
    .vgpr_spill_count: 0
    .wavefront_size: 64
  - .agpr_count:     0
    .args:
      - .offset:         0
        .size:           32
        .value_kind:     by_value
    .group_segment_fixed_size: 0
    .kernarg_segment_align: 8
    .kernarg_segment_size: 32
    .language:       OpenCL C
    .language_version:
      - 2
      - 0
    .max_flat_workgroup_size: 256
    .name:           _ZN7rocprim17ROCPRIM_400000_NS6detail17trampoline_kernelINS0_14default_configENS1_20scan_config_selectorIiEEZZNS1_9scan_implILNS1_25lookback_scan_determinismE0ELb1ELb1ES3_N6thrust23THRUST_200600_302600_NS6detail15normal_iteratorINS9_10device_ptrIiEEEESE_iNS9_4plusIvEEiEEDaPvRmT3_T4_T5_mT6_P12ihipStream_tbENKUlT_T0_E_clISt17integral_constantIbLb1EESU_EEDaSP_SQ_EUlSP_E0_NS1_11comp_targetILNS1_3genE3ELNS1_11target_archE908ELNS1_3gpuE7ELNS1_3repE0EEENS1_30default_config_static_selectorELNS0_4arch9wavefront6targetE1EEEvT1_
    .private_segment_fixed_size: 0
    .sgpr_count:     4
    .sgpr_spill_count: 0
    .symbol:         _ZN7rocprim17ROCPRIM_400000_NS6detail17trampoline_kernelINS0_14default_configENS1_20scan_config_selectorIiEEZZNS1_9scan_implILNS1_25lookback_scan_determinismE0ELb1ELb1ES3_N6thrust23THRUST_200600_302600_NS6detail15normal_iteratorINS9_10device_ptrIiEEEESE_iNS9_4plusIvEEiEEDaPvRmT3_T4_T5_mT6_P12ihipStream_tbENKUlT_T0_E_clISt17integral_constantIbLb1EESU_EEDaSP_SQ_EUlSP_E0_NS1_11comp_targetILNS1_3genE3ELNS1_11target_archE908ELNS1_3gpuE7ELNS1_3repE0EEENS1_30default_config_static_selectorELNS0_4arch9wavefront6targetE1EEEvT1_.kd
    .uniform_work_group_size: 1
    .uses_dynamic_stack: false
    .vgpr_count:     0
    .vgpr_spill_count: 0
    .wavefront_size: 64
  - .agpr_count:     0
    .args:
      - .offset:         0
        .size:           32
        .value_kind:     by_value
    .group_segment_fixed_size: 0
    .kernarg_segment_align: 8
    .kernarg_segment_size: 32
    .language:       OpenCL C
    .language_version:
      - 2
      - 0
    .max_flat_workgroup_size: 256
    .name:           _ZN7rocprim17ROCPRIM_400000_NS6detail17trampoline_kernelINS0_14default_configENS1_20scan_config_selectorIiEEZZNS1_9scan_implILNS1_25lookback_scan_determinismE0ELb1ELb1ES3_N6thrust23THRUST_200600_302600_NS6detail15normal_iteratorINS9_10device_ptrIiEEEESE_iNS9_4plusIvEEiEEDaPvRmT3_T4_T5_mT6_P12ihipStream_tbENKUlT_T0_E_clISt17integral_constantIbLb1EESU_EEDaSP_SQ_EUlSP_E0_NS1_11comp_targetILNS1_3genE2ELNS1_11target_archE906ELNS1_3gpuE6ELNS1_3repE0EEENS1_30default_config_static_selectorELNS0_4arch9wavefront6targetE1EEEvT1_
    .private_segment_fixed_size: 0
    .sgpr_count:     4
    .sgpr_spill_count: 0
    .symbol:         _ZN7rocprim17ROCPRIM_400000_NS6detail17trampoline_kernelINS0_14default_configENS1_20scan_config_selectorIiEEZZNS1_9scan_implILNS1_25lookback_scan_determinismE0ELb1ELb1ES3_N6thrust23THRUST_200600_302600_NS6detail15normal_iteratorINS9_10device_ptrIiEEEESE_iNS9_4plusIvEEiEEDaPvRmT3_T4_T5_mT6_P12ihipStream_tbENKUlT_T0_E_clISt17integral_constantIbLb1EESU_EEDaSP_SQ_EUlSP_E0_NS1_11comp_targetILNS1_3genE2ELNS1_11target_archE906ELNS1_3gpuE6ELNS1_3repE0EEENS1_30default_config_static_selectorELNS0_4arch9wavefront6targetE1EEEvT1_.kd
    .uniform_work_group_size: 1
    .uses_dynamic_stack: false
    .vgpr_count:     0
    .vgpr_spill_count: 0
    .wavefront_size: 64
  - .agpr_count:     0
    .args:
      - .offset:         0
        .size:           32
        .value_kind:     by_value
    .group_segment_fixed_size: 0
    .kernarg_segment_align: 8
    .kernarg_segment_size: 32
    .language:       OpenCL C
    .language_version:
      - 2
      - 0
    .max_flat_workgroup_size: 256
    .name:           _ZN7rocprim17ROCPRIM_400000_NS6detail17trampoline_kernelINS0_14default_configENS1_20scan_config_selectorIiEEZZNS1_9scan_implILNS1_25lookback_scan_determinismE0ELb1ELb1ES3_N6thrust23THRUST_200600_302600_NS6detail15normal_iteratorINS9_10device_ptrIiEEEESE_iNS9_4plusIvEEiEEDaPvRmT3_T4_T5_mT6_P12ihipStream_tbENKUlT_T0_E_clISt17integral_constantIbLb1EESU_EEDaSP_SQ_EUlSP_E0_NS1_11comp_targetILNS1_3genE10ELNS1_11target_archE1201ELNS1_3gpuE5ELNS1_3repE0EEENS1_30default_config_static_selectorELNS0_4arch9wavefront6targetE1EEEvT1_
    .private_segment_fixed_size: 0
    .sgpr_count:     4
    .sgpr_spill_count: 0
    .symbol:         _ZN7rocprim17ROCPRIM_400000_NS6detail17trampoline_kernelINS0_14default_configENS1_20scan_config_selectorIiEEZZNS1_9scan_implILNS1_25lookback_scan_determinismE0ELb1ELb1ES3_N6thrust23THRUST_200600_302600_NS6detail15normal_iteratorINS9_10device_ptrIiEEEESE_iNS9_4plusIvEEiEEDaPvRmT3_T4_T5_mT6_P12ihipStream_tbENKUlT_T0_E_clISt17integral_constantIbLb1EESU_EEDaSP_SQ_EUlSP_E0_NS1_11comp_targetILNS1_3genE10ELNS1_11target_archE1201ELNS1_3gpuE5ELNS1_3repE0EEENS1_30default_config_static_selectorELNS0_4arch9wavefront6targetE1EEEvT1_.kd
    .uniform_work_group_size: 1
    .uses_dynamic_stack: false
    .vgpr_count:     0
    .vgpr_spill_count: 0
    .wavefront_size: 64
  - .agpr_count:     0
    .args:
      - .offset:         0
        .size:           32
        .value_kind:     by_value
    .group_segment_fixed_size: 0
    .kernarg_segment_align: 8
    .kernarg_segment_size: 32
    .language:       OpenCL C
    .language_version:
      - 2
      - 0
    .max_flat_workgroup_size: 256
    .name:           _ZN7rocprim17ROCPRIM_400000_NS6detail17trampoline_kernelINS0_14default_configENS1_20scan_config_selectorIiEEZZNS1_9scan_implILNS1_25lookback_scan_determinismE0ELb1ELb1ES3_N6thrust23THRUST_200600_302600_NS6detail15normal_iteratorINS9_10device_ptrIiEEEESE_iNS9_4plusIvEEiEEDaPvRmT3_T4_T5_mT6_P12ihipStream_tbENKUlT_T0_E_clISt17integral_constantIbLb1EESU_EEDaSP_SQ_EUlSP_E0_NS1_11comp_targetILNS1_3genE10ELNS1_11target_archE1200ELNS1_3gpuE4ELNS1_3repE0EEENS1_30default_config_static_selectorELNS0_4arch9wavefront6targetE1EEEvT1_
    .private_segment_fixed_size: 0
    .sgpr_count:     4
    .sgpr_spill_count: 0
    .symbol:         _ZN7rocprim17ROCPRIM_400000_NS6detail17trampoline_kernelINS0_14default_configENS1_20scan_config_selectorIiEEZZNS1_9scan_implILNS1_25lookback_scan_determinismE0ELb1ELb1ES3_N6thrust23THRUST_200600_302600_NS6detail15normal_iteratorINS9_10device_ptrIiEEEESE_iNS9_4plusIvEEiEEDaPvRmT3_T4_T5_mT6_P12ihipStream_tbENKUlT_T0_E_clISt17integral_constantIbLb1EESU_EEDaSP_SQ_EUlSP_E0_NS1_11comp_targetILNS1_3genE10ELNS1_11target_archE1200ELNS1_3gpuE4ELNS1_3repE0EEENS1_30default_config_static_selectorELNS0_4arch9wavefront6targetE1EEEvT1_.kd
    .uniform_work_group_size: 1
    .uses_dynamic_stack: false
    .vgpr_count:     0
    .vgpr_spill_count: 0
    .wavefront_size: 64
  - .agpr_count:     0
    .args:
      - .offset:         0
        .size:           32
        .value_kind:     by_value
    .group_segment_fixed_size: 0
    .kernarg_segment_align: 8
    .kernarg_segment_size: 32
    .language:       OpenCL C
    .language_version:
      - 2
      - 0
    .max_flat_workgroup_size: 256
    .name:           _ZN7rocprim17ROCPRIM_400000_NS6detail17trampoline_kernelINS0_14default_configENS1_20scan_config_selectorIiEEZZNS1_9scan_implILNS1_25lookback_scan_determinismE0ELb1ELb1ES3_N6thrust23THRUST_200600_302600_NS6detail15normal_iteratorINS9_10device_ptrIiEEEESE_iNS9_4plusIvEEiEEDaPvRmT3_T4_T5_mT6_P12ihipStream_tbENKUlT_T0_E_clISt17integral_constantIbLb1EESU_EEDaSP_SQ_EUlSP_E0_NS1_11comp_targetILNS1_3genE9ELNS1_11target_archE1100ELNS1_3gpuE3ELNS1_3repE0EEENS1_30default_config_static_selectorELNS0_4arch9wavefront6targetE1EEEvT1_
    .private_segment_fixed_size: 0
    .sgpr_count:     4
    .sgpr_spill_count: 0
    .symbol:         _ZN7rocprim17ROCPRIM_400000_NS6detail17trampoline_kernelINS0_14default_configENS1_20scan_config_selectorIiEEZZNS1_9scan_implILNS1_25lookback_scan_determinismE0ELb1ELb1ES3_N6thrust23THRUST_200600_302600_NS6detail15normal_iteratorINS9_10device_ptrIiEEEESE_iNS9_4plusIvEEiEEDaPvRmT3_T4_T5_mT6_P12ihipStream_tbENKUlT_T0_E_clISt17integral_constantIbLb1EESU_EEDaSP_SQ_EUlSP_E0_NS1_11comp_targetILNS1_3genE9ELNS1_11target_archE1100ELNS1_3gpuE3ELNS1_3repE0EEENS1_30default_config_static_selectorELNS0_4arch9wavefront6targetE1EEEvT1_.kd
    .uniform_work_group_size: 1
    .uses_dynamic_stack: false
    .vgpr_count:     0
    .vgpr_spill_count: 0
    .wavefront_size: 64
  - .agpr_count:     0
    .args:
      - .offset:         0
        .size:           32
        .value_kind:     by_value
    .group_segment_fixed_size: 0
    .kernarg_segment_align: 8
    .kernarg_segment_size: 32
    .language:       OpenCL C
    .language_version:
      - 2
      - 0
    .max_flat_workgroup_size: 64
    .name:           _ZN7rocprim17ROCPRIM_400000_NS6detail17trampoline_kernelINS0_14default_configENS1_20scan_config_selectorIiEEZZNS1_9scan_implILNS1_25lookback_scan_determinismE0ELb1ELb1ES3_N6thrust23THRUST_200600_302600_NS6detail15normal_iteratorINS9_10device_ptrIiEEEESE_iNS9_4plusIvEEiEEDaPvRmT3_T4_T5_mT6_P12ihipStream_tbENKUlT_T0_E_clISt17integral_constantIbLb1EESU_EEDaSP_SQ_EUlSP_E0_NS1_11comp_targetILNS1_3genE8ELNS1_11target_archE1030ELNS1_3gpuE2ELNS1_3repE0EEENS1_30default_config_static_selectorELNS0_4arch9wavefront6targetE1EEEvT1_
    .private_segment_fixed_size: 0
    .sgpr_count:     4
    .sgpr_spill_count: 0
    .symbol:         _ZN7rocprim17ROCPRIM_400000_NS6detail17trampoline_kernelINS0_14default_configENS1_20scan_config_selectorIiEEZZNS1_9scan_implILNS1_25lookback_scan_determinismE0ELb1ELb1ES3_N6thrust23THRUST_200600_302600_NS6detail15normal_iteratorINS9_10device_ptrIiEEEESE_iNS9_4plusIvEEiEEDaPvRmT3_T4_T5_mT6_P12ihipStream_tbENKUlT_T0_E_clISt17integral_constantIbLb1EESU_EEDaSP_SQ_EUlSP_E0_NS1_11comp_targetILNS1_3genE8ELNS1_11target_archE1030ELNS1_3gpuE2ELNS1_3repE0EEENS1_30default_config_static_selectorELNS0_4arch9wavefront6targetE1EEEvT1_.kd
    .uniform_work_group_size: 1
    .uses_dynamic_stack: false
    .vgpr_count:     0
    .vgpr_spill_count: 0
    .wavefront_size: 64
  - .agpr_count:     0
    .args:
      - .offset:         0
        .size:           96
        .value_kind:     by_value
    .group_segment_fixed_size: 0
    .kernarg_segment_align: 8
    .kernarg_segment_size: 96
    .language:       OpenCL C
    .language_version:
      - 2
      - 0
    .max_flat_workgroup_size: 256
    .name:           _ZN7rocprim17ROCPRIM_400000_NS6detail17trampoline_kernelINS0_14default_configENS1_20scan_config_selectorIiEEZZNS1_9scan_implILNS1_25lookback_scan_determinismE0ELb1ELb1ES3_N6thrust23THRUST_200600_302600_NS6detail15normal_iteratorINS9_10device_ptrIiEEEESE_iNS9_4plusIvEEiEEDaPvRmT3_T4_T5_mT6_P12ihipStream_tbENKUlT_T0_E_clISt17integral_constantIbLb1EEST_IbLb0EEEEDaSP_SQ_EUlSP_E_NS1_11comp_targetILNS1_3genE0ELNS1_11target_archE4294967295ELNS1_3gpuE0ELNS1_3repE0EEENS1_30default_config_static_selectorELNS0_4arch9wavefront6targetE1EEEvT1_
    .private_segment_fixed_size: 0
    .sgpr_count:     4
    .sgpr_spill_count: 0
    .symbol:         _ZN7rocprim17ROCPRIM_400000_NS6detail17trampoline_kernelINS0_14default_configENS1_20scan_config_selectorIiEEZZNS1_9scan_implILNS1_25lookback_scan_determinismE0ELb1ELb1ES3_N6thrust23THRUST_200600_302600_NS6detail15normal_iteratorINS9_10device_ptrIiEEEESE_iNS9_4plusIvEEiEEDaPvRmT3_T4_T5_mT6_P12ihipStream_tbENKUlT_T0_E_clISt17integral_constantIbLb1EEST_IbLb0EEEEDaSP_SQ_EUlSP_E_NS1_11comp_targetILNS1_3genE0ELNS1_11target_archE4294967295ELNS1_3gpuE0ELNS1_3repE0EEENS1_30default_config_static_selectorELNS0_4arch9wavefront6targetE1EEEvT1_.kd
    .uniform_work_group_size: 1
    .uses_dynamic_stack: false
    .vgpr_count:     0
    .vgpr_spill_count: 0
    .wavefront_size: 64
  - .agpr_count:     0
    .args:
      - .offset:         0
        .size:           96
        .value_kind:     by_value
    .group_segment_fixed_size: 0
    .kernarg_segment_align: 8
    .kernarg_segment_size: 96
    .language:       OpenCL C
    .language_version:
      - 2
      - 0
    .max_flat_workgroup_size: 256
    .name:           _ZN7rocprim17ROCPRIM_400000_NS6detail17trampoline_kernelINS0_14default_configENS1_20scan_config_selectorIiEEZZNS1_9scan_implILNS1_25lookback_scan_determinismE0ELb1ELb1ES3_N6thrust23THRUST_200600_302600_NS6detail15normal_iteratorINS9_10device_ptrIiEEEESE_iNS9_4plusIvEEiEEDaPvRmT3_T4_T5_mT6_P12ihipStream_tbENKUlT_T0_E_clISt17integral_constantIbLb1EEST_IbLb0EEEEDaSP_SQ_EUlSP_E_NS1_11comp_targetILNS1_3genE5ELNS1_11target_archE942ELNS1_3gpuE9ELNS1_3repE0EEENS1_30default_config_static_selectorELNS0_4arch9wavefront6targetE1EEEvT1_
    .private_segment_fixed_size: 0
    .sgpr_count:     4
    .sgpr_spill_count: 0
    .symbol:         _ZN7rocprim17ROCPRIM_400000_NS6detail17trampoline_kernelINS0_14default_configENS1_20scan_config_selectorIiEEZZNS1_9scan_implILNS1_25lookback_scan_determinismE0ELb1ELb1ES3_N6thrust23THRUST_200600_302600_NS6detail15normal_iteratorINS9_10device_ptrIiEEEESE_iNS9_4plusIvEEiEEDaPvRmT3_T4_T5_mT6_P12ihipStream_tbENKUlT_T0_E_clISt17integral_constantIbLb1EEST_IbLb0EEEEDaSP_SQ_EUlSP_E_NS1_11comp_targetILNS1_3genE5ELNS1_11target_archE942ELNS1_3gpuE9ELNS1_3repE0EEENS1_30default_config_static_selectorELNS0_4arch9wavefront6targetE1EEEvT1_.kd
    .uniform_work_group_size: 1
    .uses_dynamic_stack: false
    .vgpr_count:     0
    .vgpr_spill_count: 0
    .wavefront_size: 64
  - .agpr_count:     0
    .args:
      - .offset:         0
        .size:           96
        .value_kind:     by_value
    .group_segment_fixed_size: 5120
    .kernarg_segment_align: 8
    .kernarg_segment_size: 96
    .language:       OpenCL C
    .language_version:
      - 2
      - 0
    .max_flat_workgroup_size: 128
    .name:           _ZN7rocprim17ROCPRIM_400000_NS6detail17trampoline_kernelINS0_14default_configENS1_20scan_config_selectorIiEEZZNS1_9scan_implILNS1_25lookback_scan_determinismE0ELb1ELb1ES3_N6thrust23THRUST_200600_302600_NS6detail15normal_iteratorINS9_10device_ptrIiEEEESE_iNS9_4plusIvEEiEEDaPvRmT3_T4_T5_mT6_P12ihipStream_tbENKUlT_T0_E_clISt17integral_constantIbLb1EEST_IbLb0EEEEDaSP_SQ_EUlSP_E_NS1_11comp_targetILNS1_3genE4ELNS1_11target_archE910ELNS1_3gpuE8ELNS1_3repE0EEENS1_30default_config_static_selectorELNS0_4arch9wavefront6targetE1EEEvT1_
    .private_segment_fixed_size: 0
    .sgpr_count:     36
    .sgpr_spill_count: 0
    .symbol:         _ZN7rocprim17ROCPRIM_400000_NS6detail17trampoline_kernelINS0_14default_configENS1_20scan_config_selectorIiEEZZNS1_9scan_implILNS1_25lookback_scan_determinismE0ELb1ELb1ES3_N6thrust23THRUST_200600_302600_NS6detail15normal_iteratorINS9_10device_ptrIiEEEESE_iNS9_4plusIvEEiEEDaPvRmT3_T4_T5_mT6_P12ihipStream_tbENKUlT_T0_E_clISt17integral_constantIbLb1EEST_IbLb0EEEEDaSP_SQ_EUlSP_E_NS1_11comp_targetILNS1_3genE4ELNS1_11target_archE910ELNS1_3gpuE8ELNS1_3repE0EEENS1_30default_config_static_selectorELNS0_4arch9wavefront6targetE1EEEvT1_.kd
    .uniform_work_group_size: 1
    .uses_dynamic_stack: false
    .vgpr_count:     41
    .vgpr_spill_count: 0
    .wavefront_size: 64
  - .agpr_count:     0
    .args:
      - .offset:         0
        .size:           96
        .value_kind:     by_value
    .group_segment_fixed_size: 0
    .kernarg_segment_align: 8
    .kernarg_segment_size: 96
    .language:       OpenCL C
    .language_version:
      - 2
      - 0
    .max_flat_workgroup_size: 256
    .name:           _ZN7rocprim17ROCPRIM_400000_NS6detail17trampoline_kernelINS0_14default_configENS1_20scan_config_selectorIiEEZZNS1_9scan_implILNS1_25lookback_scan_determinismE0ELb1ELb1ES3_N6thrust23THRUST_200600_302600_NS6detail15normal_iteratorINS9_10device_ptrIiEEEESE_iNS9_4plusIvEEiEEDaPvRmT3_T4_T5_mT6_P12ihipStream_tbENKUlT_T0_E_clISt17integral_constantIbLb1EEST_IbLb0EEEEDaSP_SQ_EUlSP_E_NS1_11comp_targetILNS1_3genE3ELNS1_11target_archE908ELNS1_3gpuE7ELNS1_3repE0EEENS1_30default_config_static_selectorELNS0_4arch9wavefront6targetE1EEEvT1_
    .private_segment_fixed_size: 0
    .sgpr_count:     4
    .sgpr_spill_count: 0
    .symbol:         _ZN7rocprim17ROCPRIM_400000_NS6detail17trampoline_kernelINS0_14default_configENS1_20scan_config_selectorIiEEZZNS1_9scan_implILNS1_25lookback_scan_determinismE0ELb1ELb1ES3_N6thrust23THRUST_200600_302600_NS6detail15normal_iteratorINS9_10device_ptrIiEEEESE_iNS9_4plusIvEEiEEDaPvRmT3_T4_T5_mT6_P12ihipStream_tbENKUlT_T0_E_clISt17integral_constantIbLb1EEST_IbLb0EEEEDaSP_SQ_EUlSP_E_NS1_11comp_targetILNS1_3genE3ELNS1_11target_archE908ELNS1_3gpuE7ELNS1_3repE0EEENS1_30default_config_static_selectorELNS0_4arch9wavefront6targetE1EEEvT1_.kd
    .uniform_work_group_size: 1
    .uses_dynamic_stack: false
    .vgpr_count:     0
    .vgpr_spill_count: 0
    .wavefront_size: 64
  - .agpr_count:     0
    .args:
      - .offset:         0
        .size:           96
        .value_kind:     by_value
    .group_segment_fixed_size: 0
    .kernarg_segment_align: 8
    .kernarg_segment_size: 96
    .language:       OpenCL C
    .language_version:
      - 2
      - 0
    .max_flat_workgroup_size: 256
    .name:           _ZN7rocprim17ROCPRIM_400000_NS6detail17trampoline_kernelINS0_14default_configENS1_20scan_config_selectorIiEEZZNS1_9scan_implILNS1_25lookback_scan_determinismE0ELb1ELb1ES3_N6thrust23THRUST_200600_302600_NS6detail15normal_iteratorINS9_10device_ptrIiEEEESE_iNS9_4plusIvEEiEEDaPvRmT3_T4_T5_mT6_P12ihipStream_tbENKUlT_T0_E_clISt17integral_constantIbLb1EEST_IbLb0EEEEDaSP_SQ_EUlSP_E_NS1_11comp_targetILNS1_3genE2ELNS1_11target_archE906ELNS1_3gpuE6ELNS1_3repE0EEENS1_30default_config_static_selectorELNS0_4arch9wavefront6targetE1EEEvT1_
    .private_segment_fixed_size: 0
    .sgpr_count:     4
    .sgpr_spill_count: 0
    .symbol:         _ZN7rocprim17ROCPRIM_400000_NS6detail17trampoline_kernelINS0_14default_configENS1_20scan_config_selectorIiEEZZNS1_9scan_implILNS1_25lookback_scan_determinismE0ELb1ELb1ES3_N6thrust23THRUST_200600_302600_NS6detail15normal_iteratorINS9_10device_ptrIiEEEESE_iNS9_4plusIvEEiEEDaPvRmT3_T4_T5_mT6_P12ihipStream_tbENKUlT_T0_E_clISt17integral_constantIbLb1EEST_IbLb0EEEEDaSP_SQ_EUlSP_E_NS1_11comp_targetILNS1_3genE2ELNS1_11target_archE906ELNS1_3gpuE6ELNS1_3repE0EEENS1_30default_config_static_selectorELNS0_4arch9wavefront6targetE1EEEvT1_.kd
    .uniform_work_group_size: 1
    .uses_dynamic_stack: false
    .vgpr_count:     0
    .vgpr_spill_count: 0
    .wavefront_size: 64
  - .agpr_count:     0
    .args:
      - .offset:         0
        .size:           96
        .value_kind:     by_value
    .group_segment_fixed_size: 0
    .kernarg_segment_align: 8
    .kernarg_segment_size: 96
    .language:       OpenCL C
    .language_version:
      - 2
      - 0
    .max_flat_workgroup_size: 256
    .name:           _ZN7rocprim17ROCPRIM_400000_NS6detail17trampoline_kernelINS0_14default_configENS1_20scan_config_selectorIiEEZZNS1_9scan_implILNS1_25lookback_scan_determinismE0ELb1ELb1ES3_N6thrust23THRUST_200600_302600_NS6detail15normal_iteratorINS9_10device_ptrIiEEEESE_iNS9_4plusIvEEiEEDaPvRmT3_T4_T5_mT6_P12ihipStream_tbENKUlT_T0_E_clISt17integral_constantIbLb1EEST_IbLb0EEEEDaSP_SQ_EUlSP_E_NS1_11comp_targetILNS1_3genE10ELNS1_11target_archE1201ELNS1_3gpuE5ELNS1_3repE0EEENS1_30default_config_static_selectorELNS0_4arch9wavefront6targetE1EEEvT1_
    .private_segment_fixed_size: 0
    .sgpr_count:     4
    .sgpr_spill_count: 0
    .symbol:         _ZN7rocprim17ROCPRIM_400000_NS6detail17trampoline_kernelINS0_14default_configENS1_20scan_config_selectorIiEEZZNS1_9scan_implILNS1_25lookback_scan_determinismE0ELb1ELb1ES3_N6thrust23THRUST_200600_302600_NS6detail15normal_iteratorINS9_10device_ptrIiEEEESE_iNS9_4plusIvEEiEEDaPvRmT3_T4_T5_mT6_P12ihipStream_tbENKUlT_T0_E_clISt17integral_constantIbLb1EEST_IbLb0EEEEDaSP_SQ_EUlSP_E_NS1_11comp_targetILNS1_3genE10ELNS1_11target_archE1201ELNS1_3gpuE5ELNS1_3repE0EEENS1_30default_config_static_selectorELNS0_4arch9wavefront6targetE1EEEvT1_.kd
    .uniform_work_group_size: 1
    .uses_dynamic_stack: false
    .vgpr_count:     0
    .vgpr_spill_count: 0
    .wavefront_size: 64
  - .agpr_count:     0
    .args:
      - .offset:         0
        .size:           96
        .value_kind:     by_value
    .group_segment_fixed_size: 0
    .kernarg_segment_align: 8
    .kernarg_segment_size: 96
    .language:       OpenCL C
    .language_version:
      - 2
      - 0
    .max_flat_workgroup_size: 256
    .name:           _ZN7rocprim17ROCPRIM_400000_NS6detail17trampoline_kernelINS0_14default_configENS1_20scan_config_selectorIiEEZZNS1_9scan_implILNS1_25lookback_scan_determinismE0ELb1ELb1ES3_N6thrust23THRUST_200600_302600_NS6detail15normal_iteratorINS9_10device_ptrIiEEEESE_iNS9_4plusIvEEiEEDaPvRmT3_T4_T5_mT6_P12ihipStream_tbENKUlT_T0_E_clISt17integral_constantIbLb1EEST_IbLb0EEEEDaSP_SQ_EUlSP_E_NS1_11comp_targetILNS1_3genE10ELNS1_11target_archE1200ELNS1_3gpuE4ELNS1_3repE0EEENS1_30default_config_static_selectorELNS0_4arch9wavefront6targetE1EEEvT1_
    .private_segment_fixed_size: 0
    .sgpr_count:     4
    .sgpr_spill_count: 0
    .symbol:         _ZN7rocprim17ROCPRIM_400000_NS6detail17trampoline_kernelINS0_14default_configENS1_20scan_config_selectorIiEEZZNS1_9scan_implILNS1_25lookback_scan_determinismE0ELb1ELb1ES3_N6thrust23THRUST_200600_302600_NS6detail15normal_iteratorINS9_10device_ptrIiEEEESE_iNS9_4plusIvEEiEEDaPvRmT3_T4_T5_mT6_P12ihipStream_tbENKUlT_T0_E_clISt17integral_constantIbLb1EEST_IbLb0EEEEDaSP_SQ_EUlSP_E_NS1_11comp_targetILNS1_3genE10ELNS1_11target_archE1200ELNS1_3gpuE4ELNS1_3repE0EEENS1_30default_config_static_selectorELNS0_4arch9wavefront6targetE1EEEvT1_.kd
    .uniform_work_group_size: 1
    .uses_dynamic_stack: false
    .vgpr_count:     0
    .vgpr_spill_count: 0
    .wavefront_size: 64
  - .agpr_count:     0
    .args:
      - .offset:         0
        .size:           96
        .value_kind:     by_value
    .group_segment_fixed_size: 0
    .kernarg_segment_align: 8
    .kernarg_segment_size: 96
    .language:       OpenCL C
    .language_version:
      - 2
      - 0
    .max_flat_workgroup_size: 256
    .name:           _ZN7rocprim17ROCPRIM_400000_NS6detail17trampoline_kernelINS0_14default_configENS1_20scan_config_selectorIiEEZZNS1_9scan_implILNS1_25lookback_scan_determinismE0ELb1ELb1ES3_N6thrust23THRUST_200600_302600_NS6detail15normal_iteratorINS9_10device_ptrIiEEEESE_iNS9_4plusIvEEiEEDaPvRmT3_T4_T5_mT6_P12ihipStream_tbENKUlT_T0_E_clISt17integral_constantIbLb1EEST_IbLb0EEEEDaSP_SQ_EUlSP_E_NS1_11comp_targetILNS1_3genE9ELNS1_11target_archE1100ELNS1_3gpuE3ELNS1_3repE0EEENS1_30default_config_static_selectorELNS0_4arch9wavefront6targetE1EEEvT1_
    .private_segment_fixed_size: 0
    .sgpr_count:     4
    .sgpr_spill_count: 0
    .symbol:         _ZN7rocprim17ROCPRIM_400000_NS6detail17trampoline_kernelINS0_14default_configENS1_20scan_config_selectorIiEEZZNS1_9scan_implILNS1_25lookback_scan_determinismE0ELb1ELb1ES3_N6thrust23THRUST_200600_302600_NS6detail15normal_iteratorINS9_10device_ptrIiEEEESE_iNS9_4plusIvEEiEEDaPvRmT3_T4_T5_mT6_P12ihipStream_tbENKUlT_T0_E_clISt17integral_constantIbLb1EEST_IbLb0EEEEDaSP_SQ_EUlSP_E_NS1_11comp_targetILNS1_3genE9ELNS1_11target_archE1100ELNS1_3gpuE3ELNS1_3repE0EEENS1_30default_config_static_selectorELNS0_4arch9wavefront6targetE1EEEvT1_.kd
    .uniform_work_group_size: 1
    .uses_dynamic_stack: false
    .vgpr_count:     0
    .vgpr_spill_count: 0
    .wavefront_size: 64
  - .agpr_count:     0
    .args:
      - .offset:         0
        .size:           96
        .value_kind:     by_value
    .group_segment_fixed_size: 0
    .kernarg_segment_align: 8
    .kernarg_segment_size: 96
    .language:       OpenCL C
    .language_version:
      - 2
      - 0
    .max_flat_workgroup_size: 64
    .name:           _ZN7rocprim17ROCPRIM_400000_NS6detail17trampoline_kernelINS0_14default_configENS1_20scan_config_selectorIiEEZZNS1_9scan_implILNS1_25lookback_scan_determinismE0ELb1ELb1ES3_N6thrust23THRUST_200600_302600_NS6detail15normal_iteratorINS9_10device_ptrIiEEEESE_iNS9_4plusIvEEiEEDaPvRmT3_T4_T5_mT6_P12ihipStream_tbENKUlT_T0_E_clISt17integral_constantIbLb1EEST_IbLb0EEEEDaSP_SQ_EUlSP_E_NS1_11comp_targetILNS1_3genE8ELNS1_11target_archE1030ELNS1_3gpuE2ELNS1_3repE0EEENS1_30default_config_static_selectorELNS0_4arch9wavefront6targetE1EEEvT1_
    .private_segment_fixed_size: 0
    .sgpr_count:     4
    .sgpr_spill_count: 0
    .symbol:         _ZN7rocprim17ROCPRIM_400000_NS6detail17trampoline_kernelINS0_14default_configENS1_20scan_config_selectorIiEEZZNS1_9scan_implILNS1_25lookback_scan_determinismE0ELb1ELb1ES3_N6thrust23THRUST_200600_302600_NS6detail15normal_iteratorINS9_10device_ptrIiEEEESE_iNS9_4plusIvEEiEEDaPvRmT3_T4_T5_mT6_P12ihipStream_tbENKUlT_T0_E_clISt17integral_constantIbLb1EEST_IbLb0EEEEDaSP_SQ_EUlSP_E_NS1_11comp_targetILNS1_3genE8ELNS1_11target_archE1030ELNS1_3gpuE2ELNS1_3repE0EEENS1_30default_config_static_selectorELNS0_4arch9wavefront6targetE1EEEvT1_.kd
    .uniform_work_group_size: 1
    .uses_dynamic_stack: false
    .vgpr_count:     0
    .vgpr_spill_count: 0
    .wavefront_size: 64
  - .agpr_count:     0
    .args:
      - .offset:         0
        .size:           32
        .value_kind:     by_value
    .group_segment_fixed_size: 0
    .kernarg_segment_align: 8
    .kernarg_segment_size: 32
    .language:       OpenCL C
    .language_version:
      - 2
      - 0
    .max_flat_workgroup_size: 256
    .name:           _ZN7rocprim17ROCPRIM_400000_NS6detail17trampoline_kernelINS0_14default_configENS1_20scan_config_selectorIiEEZZNS1_9scan_implILNS1_25lookback_scan_determinismE0ELb1ELb1ES3_N6thrust23THRUST_200600_302600_NS6detail15normal_iteratorINS9_10device_ptrIiEEEESE_iNS9_4plusIvEEiEEDaPvRmT3_T4_T5_mT6_P12ihipStream_tbENKUlT_T0_E_clISt17integral_constantIbLb1EEST_IbLb0EEEEDaSP_SQ_EUlSP_E0_NS1_11comp_targetILNS1_3genE0ELNS1_11target_archE4294967295ELNS1_3gpuE0ELNS1_3repE0EEENS1_30default_config_static_selectorELNS0_4arch9wavefront6targetE1EEEvT1_
    .private_segment_fixed_size: 0
    .sgpr_count:     4
    .sgpr_spill_count: 0
    .symbol:         _ZN7rocprim17ROCPRIM_400000_NS6detail17trampoline_kernelINS0_14default_configENS1_20scan_config_selectorIiEEZZNS1_9scan_implILNS1_25lookback_scan_determinismE0ELb1ELb1ES3_N6thrust23THRUST_200600_302600_NS6detail15normal_iteratorINS9_10device_ptrIiEEEESE_iNS9_4plusIvEEiEEDaPvRmT3_T4_T5_mT6_P12ihipStream_tbENKUlT_T0_E_clISt17integral_constantIbLb1EEST_IbLb0EEEEDaSP_SQ_EUlSP_E0_NS1_11comp_targetILNS1_3genE0ELNS1_11target_archE4294967295ELNS1_3gpuE0ELNS1_3repE0EEENS1_30default_config_static_selectorELNS0_4arch9wavefront6targetE1EEEvT1_.kd
    .uniform_work_group_size: 1
    .uses_dynamic_stack: false
    .vgpr_count:     0
    .vgpr_spill_count: 0
    .wavefront_size: 64
  - .agpr_count:     0
    .args:
      - .offset:         0
        .size:           32
        .value_kind:     by_value
    .group_segment_fixed_size: 0
    .kernarg_segment_align: 8
    .kernarg_segment_size: 32
    .language:       OpenCL C
    .language_version:
      - 2
      - 0
    .max_flat_workgroup_size: 256
    .name:           _ZN7rocprim17ROCPRIM_400000_NS6detail17trampoline_kernelINS0_14default_configENS1_20scan_config_selectorIiEEZZNS1_9scan_implILNS1_25lookback_scan_determinismE0ELb1ELb1ES3_N6thrust23THRUST_200600_302600_NS6detail15normal_iteratorINS9_10device_ptrIiEEEESE_iNS9_4plusIvEEiEEDaPvRmT3_T4_T5_mT6_P12ihipStream_tbENKUlT_T0_E_clISt17integral_constantIbLb1EEST_IbLb0EEEEDaSP_SQ_EUlSP_E0_NS1_11comp_targetILNS1_3genE5ELNS1_11target_archE942ELNS1_3gpuE9ELNS1_3repE0EEENS1_30default_config_static_selectorELNS0_4arch9wavefront6targetE1EEEvT1_
    .private_segment_fixed_size: 0
    .sgpr_count:     4
    .sgpr_spill_count: 0
    .symbol:         _ZN7rocprim17ROCPRIM_400000_NS6detail17trampoline_kernelINS0_14default_configENS1_20scan_config_selectorIiEEZZNS1_9scan_implILNS1_25lookback_scan_determinismE0ELb1ELb1ES3_N6thrust23THRUST_200600_302600_NS6detail15normal_iteratorINS9_10device_ptrIiEEEESE_iNS9_4plusIvEEiEEDaPvRmT3_T4_T5_mT6_P12ihipStream_tbENKUlT_T0_E_clISt17integral_constantIbLb1EEST_IbLb0EEEEDaSP_SQ_EUlSP_E0_NS1_11comp_targetILNS1_3genE5ELNS1_11target_archE942ELNS1_3gpuE9ELNS1_3repE0EEENS1_30default_config_static_selectorELNS0_4arch9wavefront6targetE1EEEvT1_.kd
    .uniform_work_group_size: 1
    .uses_dynamic_stack: false
    .vgpr_count:     0
    .vgpr_spill_count: 0
    .wavefront_size: 64
  - .agpr_count:     0
    .args:
      - .offset:         0
        .size:           32
        .value_kind:     by_value
    .group_segment_fixed_size: 5120
    .kernarg_segment_align: 8
    .kernarg_segment_size: 32
    .language:       OpenCL C
    .language_version:
      - 2
      - 0
    .max_flat_workgroup_size: 128
    .name:           _ZN7rocprim17ROCPRIM_400000_NS6detail17trampoline_kernelINS0_14default_configENS1_20scan_config_selectorIiEEZZNS1_9scan_implILNS1_25lookback_scan_determinismE0ELb1ELb1ES3_N6thrust23THRUST_200600_302600_NS6detail15normal_iteratorINS9_10device_ptrIiEEEESE_iNS9_4plusIvEEiEEDaPvRmT3_T4_T5_mT6_P12ihipStream_tbENKUlT_T0_E_clISt17integral_constantIbLb1EEST_IbLb0EEEEDaSP_SQ_EUlSP_E0_NS1_11comp_targetILNS1_3genE4ELNS1_11target_archE910ELNS1_3gpuE8ELNS1_3repE0EEENS1_30default_config_static_selectorELNS0_4arch9wavefront6targetE1EEEvT1_
    .private_segment_fixed_size: 0
    .sgpr_count:     29
    .sgpr_spill_count: 0
    .symbol:         _ZN7rocprim17ROCPRIM_400000_NS6detail17trampoline_kernelINS0_14default_configENS1_20scan_config_selectorIiEEZZNS1_9scan_implILNS1_25lookback_scan_determinismE0ELb1ELb1ES3_N6thrust23THRUST_200600_302600_NS6detail15normal_iteratorINS9_10device_ptrIiEEEESE_iNS9_4plusIvEEiEEDaPvRmT3_T4_T5_mT6_P12ihipStream_tbENKUlT_T0_E_clISt17integral_constantIbLb1EEST_IbLb0EEEEDaSP_SQ_EUlSP_E0_NS1_11comp_targetILNS1_3genE4ELNS1_11target_archE910ELNS1_3gpuE8ELNS1_3repE0EEENS1_30default_config_static_selectorELNS0_4arch9wavefront6targetE1EEEvT1_.kd
    .uniform_work_group_size: 1
    .uses_dynamic_stack: false
    .vgpr_count:     18
    .vgpr_spill_count: 0
    .wavefront_size: 64
  - .agpr_count:     0
    .args:
      - .offset:         0
        .size:           32
        .value_kind:     by_value
    .group_segment_fixed_size: 0
    .kernarg_segment_align: 8
    .kernarg_segment_size: 32
    .language:       OpenCL C
    .language_version:
      - 2
      - 0
    .max_flat_workgroup_size: 256
    .name:           _ZN7rocprim17ROCPRIM_400000_NS6detail17trampoline_kernelINS0_14default_configENS1_20scan_config_selectorIiEEZZNS1_9scan_implILNS1_25lookback_scan_determinismE0ELb1ELb1ES3_N6thrust23THRUST_200600_302600_NS6detail15normal_iteratorINS9_10device_ptrIiEEEESE_iNS9_4plusIvEEiEEDaPvRmT3_T4_T5_mT6_P12ihipStream_tbENKUlT_T0_E_clISt17integral_constantIbLb1EEST_IbLb0EEEEDaSP_SQ_EUlSP_E0_NS1_11comp_targetILNS1_3genE3ELNS1_11target_archE908ELNS1_3gpuE7ELNS1_3repE0EEENS1_30default_config_static_selectorELNS0_4arch9wavefront6targetE1EEEvT1_
    .private_segment_fixed_size: 0
    .sgpr_count:     4
    .sgpr_spill_count: 0
    .symbol:         _ZN7rocprim17ROCPRIM_400000_NS6detail17trampoline_kernelINS0_14default_configENS1_20scan_config_selectorIiEEZZNS1_9scan_implILNS1_25lookback_scan_determinismE0ELb1ELb1ES3_N6thrust23THRUST_200600_302600_NS6detail15normal_iteratorINS9_10device_ptrIiEEEESE_iNS9_4plusIvEEiEEDaPvRmT3_T4_T5_mT6_P12ihipStream_tbENKUlT_T0_E_clISt17integral_constantIbLb1EEST_IbLb0EEEEDaSP_SQ_EUlSP_E0_NS1_11comp_targetILNS1_3genE3ELNS1_11target_archE908ELNS1_3gpuE7ELNS1_3repE0EEENS1_30default_config_static_selectorELNS0_4arch9wavefront6targetE1EEEvT1_.kd
    .uniform_work_group_size: 1
    .uses_dynamic_stack: false
    .vgpr_count:     0
    .vgpr_spill_count: 0
    .wavefront_size: 64
  - .agpr_count:     0
    .args:
      - .offset:         0
        .size:           32
        .value_kind:     by_value
    .group_segment_fixed_size: 0
    .kernarg_segment_align: 8
    .kernarg_segment_size: 32
    .language:       OpenCL C
    .language_version:
      - 2
      - 0
    .max_flat_workgroup_size: 256
    .name:           _ZN7rocprim17ROCPRIM_400000_NS6detail17trampoline_kernelINS0_14default_configENS1_20scan_config_selectorIiEEZZNS1_9scan_implILNS1_25lookback_scan_determinismE0ELb1ELb1ES3_N6thrust23THRUST_200600_302600_NS6detail15normal_iteratorINS9_10device_ptrIiEEEESE_iNS9_4plusIvEEiEEDaPvRmT3_T4_T5_mT6_P12ihipStream_tbENKUlT_T0_E_clISt17integral_constantIbLb1EEST_IbLb0EEEEDaSP_SQ_EUlSP_E0_NS1_11comp_targetILNS1_3genE2ELNS1_11target_archE906ELNS1_3gpuE6ELNS1_3repE0EEENS1_30default_config_static_selectorELNS0_4arch9wavefront6targetE1EEEvT1_
    .private_segment_fixed_size: 0
    .sgpr_count:     4
    .sgpr_spill_count: 0
    .symbol:         _ZN7rocprim17ROCPRIM_400000_NS6detail17trampoline_kernelINS0_14default_configENS1_20scan_config_selectorIiEEZZNS1_9scan_implILNS1_25lookback_scan_determinismE0ELb1ELb1ES3_N6thrust23THRUST_200600_302600_NS6detail15normal_iteratorINS9_10device_ptrIiEEEESE_iNS9_4plusIvEEiEEDaPvRmT3_T4_T5_mT6_P12ihipStream_tbENKUlT_T0_E_clISt17integral_constantIbLb1EEST_IbLb0EEEEDaSP_SQ_EUlSP_E0_NS1_11comp_targetILNS1_3genE2ELNS1_11target_archE906ELNS1_3gpuE6ELNS1_3repE0EEENS1_30default_config_static_selectorELNS0_4arch9wavefront6targetE1EEEvT1_.kd
    .uniform_work_group_size: 1
    .uses_dynamic_stack: false
    .vgpr_count:     0
    .vgpr_spill_count: 0
    .wavefront_size: 64
  - .agpr_count:     0
    .args:
      - .offset:         0
        .size:           32
        .value_kind:     by_value
    .group_segment_fixed_size: 0
    .kernarg_segment_align: 8
    .kernarg_segment_size: 32
    .language:       OpenCL C
    .language_version:
      - 2
      - 0
    .max_flat_workgroup_size: 256
    .name:           _ZN7rocprim17ROCPRIM_400000_NS6detail17trampoline_kernelINS0_14default_configENS1_20scan_config_selectorIiEEZZNS1_9scan_implILNS1_25lookback_scan_determinismE0ELb1ELb1ES3_N6thrust23THRUST_200600_302600_NS6detail15normal_iteratorINS9_10device_ptrIiEEEESE_iNS9_4plusIvEEiEEDaPvRmT3_T4_T5_mT6_P12ihipStream_tbENKUlT_T0_E_clISt17integral_constantIbLb1EEST_IbLb0EEEEDaSP_SQ_EUlSP_E0_NS1_11comp_targetILNS1_3genE10ELNS1_11target_archE1201ELNS1_3gpuE5ELNS1_3repE0EEENS1_30default_config_static_selectorELNS0_4arch9wavefront6targetE1EEEvT1_
    .private_segment_fixed_size: 0
    .sgpr_count:     4
    .sgpr_spill_count: 0
    .symbol:         _ZN7rocprim17ROCPRIM_400000_NS6detail17trampoline_kernelINS0_14default_configENS1_20scan_config_selectorIiEEZZNS1_9scan_implILNS1_25lookback_scan_determinismE0ELb1ELb1ES3_N6thrust23THRUST_200600_302600_NS6detail15normal_iteratorINS9_10device_ptrIiEEEESE_iNS9_4plusIvEEiEEDaPvRmT3_T4_T5_mT6_P12ihipStream_tbENKUlT_T0_E_clISt17integral_constantIbLb1EEST_IbLb0EEEEDaSP_SQ_EUlSP_E0_NS1_11comp_targetILNS1_3genE10ELNS1_11target_archE1201ELNS1_3gpuE5ELNS1_3repE0EEENS1_30default_config_static_selectorELNS0_4arch9wavefront6targetE1EEEvT1_.kd
    .uniform_work_group_size: 1
    .uses_dynamic_stack: false
    .vgpr_count:     0
    .vgpr_spill_count: 0
    .wavefront_size: 64
  - .agpr_count:     0
    .args:
      - .offset:         0
        .size:           32
        .value_kind:     by_value
    .group_segment_fixed_size: 0
    .kernarg_segment_align: 8
    .kernarg_segment_size: 32
    .language:       OpenCL C
    .language_version:
      - 2
      - 0
    .max_flat_workgroup_size: 256
    .name:           _ZN7rocprim17ROCPRIM_400000_NS6detail17trampoline_kernelINS0_14default_configENS1_20scan_config_selectorIiEEZZNS1_9scan_implILNS1_25lookback_scan_determinismE0ELb1ELb1ES3_N6thrust23THRUST_200600_302600_NS6detail15normal_iteratorINS9_10device_ptrIiEEEESE_iNS9_4plusIvEEiEEDaPvRmT3_T4_T5_mT6_P12ihipStream_tbENKUlT_T0_E_clISt17integral_constantIbLb1EEST_IbLb0EEEEDaSP_SQ_EUlSP_E0_NS1_11comp_targetILNS1_3genE10ELNS1_11target_archE1200ELNS1_3gpuE4ELNS1_3repE0EEENS1_30default_config_static_selectorELNS0_4arch9wavefront6targetE1EEEvT1_
    .private_segment_fixed_size: 0
    .sgpr_count:     4
    .sgpr_spill_count: 0
    .symbol:         _ZN7rocprim17ROCPRIM_400000_NS6detail17trampoline_kernelINS0_14default_configENS1_20scan_config_selectorIiEEZZNS1_9scan_implILNS1_25lookback_scan_determinismE0ELb1ELb1ES3_N6thrust23THRUST_200600_302600_NS6detail15normal_iteratorINS9_10device_ptrIiEEEESE_iNS9_4plusIvEEiEEDaPvRmT3_T4_T5_mT6_P12ihipStream_tbENKUlT_T0_E_clISt17integral_constantIbLb1EEST_IbLb0EEEEDaSP_SQ_EUlSP_E0_NS1_11comp_targetILNS1_3genE10ELNS1_11target_archE1200ELNS1_3gpuE4ELNS1_3repE0EEENS1_30default_config_static_selectorELNS0_4arch9wavefront6targetE1EEEvT1_.kd
    .uniform_work_group_size: 1
    .uses_dynamic_stack: false
    .vgpr_count:     0
    .vgpr_spill_count: 0
    .wavefront_size: 64
  - .agpr_count:     0
    .args:
      - .offset:         0
        .size:           32
        .value_kind:     by_value
    .group_segment_fixed_size: 0
    .kernarg_segment_align: 8
    .kernarg_segment_size: 32
    .language:       OpenCL C
    .language_version:
      - 2
      - 0
    .max_flat_workgroup_size: 256
    .name:           _ZN7rocprim17ROCPRIM_400000_NS6detail17trampoline_kernelINS0_14default_configENS1_20scan_config_selectorIiEEZZNS1_9scan_implILNS1_25lookback_scan_determinismE0ELb1ELb1ES3_N6thrust23THRUST_200600_302600_NS6detail15normal_iteratorINS9_10device_ptrIiEEEESE_iNS9_4plusIvEEiEEDaPvRmT3_T4_T5_mT6_P12ihipStream_tbENKUlT_T0_E_clISt17integral_constantIbLb1EEST_IbLb0EEEEDaSP_SQ_EUlSP_E0_NS1_11comp_targetILNS1_3genE9ELNS1_11target_archE1100ELNS1_3gpuE3ELNS1_3repE0EEENS1_30default_config_static_selectorELNS0_4arch9wavefront6targetE1EEEvT1_
    .private_segment_fixed_size: 0
    .sgpr_count:     4
    .sgpr_spill_count: 0
    .symbol:         _ZN7rocprim17ROCPRIM_400000_NS6detail17trampoline_kernelINS0_14default_configENS1_20scan_config_selectorIiEEZZNS1_9scan_implILNS1_25lookback_scan_determinismE0ELb1ELb1ES3_N6thrust23THRUST_200600_302600_NS6detail15normal_iteratorINS9_10device_ptrIiEEEESE_iNS9_4plusIvEEiEEDaPvRmT3_T4_T5_mT6_P12ihipStream_tbENKUlT_T0_E_clISt17integral_constantIbLb1EEST_IbLb0EEEEDaSP_SQ_EUlSP_E0_NS1_11comp_targetILNS1_3genE9ELNS1_11target_archE1100ELNS1_3gpuE3ELNS1_3repE0EEENS1_30default_config_static_selectorELNS0_4arch9wavefront6targetE1EEEvT1_.kd
    .uniform_work_group_size: 1
    .uses_dynamic_stack: false
    .vgpr_count:     0
    .vgpr_spill_count: 0
    .wavefront_size: 64
  - .agpr_count:     0
    .args:
      - .offset:         0
        .size:           32
        .value_kind:     by_value
    .group_segment_fixed_size: 0
    .kernarg_segment_align: 8
    .kernarg_segment_size: 32
    .language:       OpenCL C
    .language_version:
      - 2
      - 0
    .max_flat_workgroup_size: 64
    .name:           _ZN7rocprim17ROCPRIM_400000_NS6detail17trampoline_kernelINS0_14default_configENS1_20scan_config_selectorIiEEZZNS1_9scan_implILNS1_25lookback_scan_determinismE0ELb1ELb1ES3_N6thrust23THRUST_200600_302600_NS6detail15normal_iteratorINS9_10device_ptrIiEEEESE_iNS9_4plusIvEEiEEDaPvRmT3_T4_T5_mT6_P12ihipStream_tbENKUlT_T0_E_clISt17integral_constantIbLb1EEST_IbLb0EEEEDaSP_SQ_EUlSP_E0_NS1_11comp_targetILNS1_3genE8ELNS1_11target_archE1030ELNS1_3gpuE2ELNS1_3repE0EEENS1_30default_config_static_selectorELNS0_4arch9wavefront6targetE1EEEvT1_
    .private_segment_fixed_size: 0
    .sgpr_count:     4
    .sgpr_spill_count: 0
    .symbol:         _ZN7rocprim17ROCPRIM_400000_NS6detail17trampoline_kernelINS0_14default_configENS1_20scan_config_selectorIiEEZZNS1_9scan_implILNS1_25lookback_scan_determinismE0ELb1ELb1ES3_N6thrust23THRUST_200600_302600_NS6detail15normal_iteratorINS9_10device_ptrIiEEEESE_iNS9_4plusIvEEiEEDaPvRmT3_T4_T5_mT6_P12ihipStream_tbENKUlT_T0_E_clISt17integral_constantIbLb1EEST_IbLb0EEEEDaSP_SQ_EUlSP_E0_NS1_11comp_targetILNS1_3genE8ELNS1_11target_archE1030ELNS1_3gpuE2ELNS1_3repE0EEENS1_30default_config_static_selectorELNS0_4arch9wavefront6targetE1EEEvT1_.kd
    .uniform_work_group_size: 1
    .uses_dynamic_stack: false
    .vgpr_count:     0
    .vgpr_spill_count: 0
    .wavefront_size: 64
  - .agpr_count:     0
    .args:
      - .offset:         0
        .size:           96
        .value_kind:     by_value
    .group_segment_fixed_size: 0
    .kernarg_segment_align: 8
    .kernarg_segment_size: 96
    .language:       OpenCL C
    .language_version:
      - 2
      - 0
    .max_flat_workgroup_size: 256
    .name:           _ZN7rocprim17ROCPRIM_400000_NS6detail17trampoline_kernelINS0_14default_configENS1_20scan_config_selectorIiEEZZNS1_9scan_implILNS1_25lookback_scan_determinismE0ELb1ELb1ES3_N6thrust23THRUST_200600_302600_NS6detail15normal_iteratorINS9_10device_ptrIiEEEESE_iNS9_4plusIvEEiEEDaPvRmT3_T4_T5_mT6_P12ihipStream_tbENKUlT_T0_E_clISt17integral_constantIbLb0EEST_IbLb1EEEEDaSP_SQ_EUlSP_E_NS1_11comp_targetILNS1_3genE0ELNS1_11target_archE4294967295ELNS1_3gpuE0ELNS1_3repE0EEENS1_30default_config_static_selectorELNS0_4arch9wavefront6targetE1EEEvT1_
    .private_segment_fixed_size: 0
    .sgpr_count:     4
    .sgpr_spill_count: 0
    .symbol:         _ZN7rocprim17ROCPRIM_400000_NS6detail17trampoline_kernelINS0_14default_configENS1_20scan_config_selectorIiEEZZNS1_9scan_implILNS1_25lookback_scan_determinismE0ELb1ELb1ES3_N6thrust23THRUST_200600_302600_NS6detail15normal_iteratorINS9_10device_ptrIiEEEESE_iNS9_4plusIvEEiEEDaPvRmT3_T4_T5_mT6_P12ihipStream_tbENKUlT_T0_E_clISt17integral_constantIbLb0EEST_IbLb1EEEEDaSP_SQ_EUlSP_E_NS1_11comp_targetILNS1_3genE0ELNS1_11target_archE4294967295ELNS1_3gpuE0ELNS1_3repE0EEENS1_30default_config_static_selectorELNS0_4arch9wavefront6targetE1EEEvT1_.kd
    .uniform_work_group_size: 1
    .uses_dynamic_stack: false
    .vgpr_count:     0
    .vgpr_spill_count: 0
    .wavefront_size: 64
  - .agpr_count:     0
    .args:
      - .offset:         0
        .size:           96
        .value_kind:     by_value
    .group_segment_fixed_size: 0
    .kernarg_segment_align: 8
    .kernarg_segment_size: 96
    .language:       OpenCL C
    .language_version:
      - 2
      - 0
    .max_flat_workgroup_size: 256
    .name:           _ZN7rocprim17ROCPRIM_400000_NS6detail17trampoline_kernelINS0_14default_configENS1_20scan_config_selectorIiEEZZNS1_9scan_implILNS1_25lookback_scan_determinismE0ELb1ELb1ES3_N6thrust23THRUST_200600_302600_NS6detail15normal_iteratorINS9_10device_ptrIiEEEESE_iNS9_4plusIvEEiEEDaPvRmT3_T4_T5_mT6_P12ihipStream_tbENKUlT_T0_E_clISt17integral_constantIbLb0EEST_IbLb1EEEEDaSP_SQ_EUlSP_E_NS1_11comp_targetILNS1_3genE5ELNS1_11target_archE942ELNS1_3gpuE9ELNS1_3repE0EEENS1_30default_config_static_selectorELNS0_4arch9wavefront6targetE1EEEvT1_
    .private_segment_fixed_size: 0
    .sgpr_count:     4
    .sgpr_spill_count: 0
    .symbol:         _ZN7rocprim17ROCPRIM_400000_NS6detail17trampoline_kernelINS0_14default_configENS1_20scan_config_selectorIiEEZZNS1_9scan_implILNS1_25lookback_scan_determinismE0ELb1ELb1ES3_N6thrust23THRUST_200600_302600_NS6detail15normal_iteratorINS9_10device_ptrIiEEEESE_iNS9_4plusIvEEiEEDaPvRmT3_T4_T5_mT6_P12ihipStream_tbENKUlT_T0_E_clISt17integral_constantIbLb0EEST_IbLb1EEEEDaSP_SQ_EUlSP_E_NS1_11comp_targetILNS1_3genE5ELNS1_11target_archE942ELNS1_3gpuE9ELNS1_3repE0EEENS1_30default_config_static_selectorELNS0_4arch9wavefront6targetE1EEEvT1_.kd
    .uniform_work_group_size: 1
    .uses_dynamic_stack: false
    .vgpr_count:     0
    .vgpr_spill_count: 0
    .wavefront_size: 64
  - .agpr_count:     0
    .args:
      - .offset:         0
        .size:           96
        .value_kind:     by_value
    .group_segment_fixed_size: 5120
    .kernarg_segment_align: 8
    .kernarg_segment_size: 96
    .language:       OpenCL C
    .language_version:
      - 2
      - 0
    .max_flat_workgroup_size: 128
    .name:           _ZN7rocprim17ROCPRIM_400000_NS6detail17trampoline_kernelINS0_14default_configENS1_20scan_config_selectorIiEEZZNS1_9scan_implILNS1_25lookback_scan_determinismE0ELb1ELb1ES3_N6thrust23THRUST_200600_302600_NS6detail15normal_iteratorINS9_10device_ptrIiEEEESE_iNS9_4plusIvEEiEEDaPvRmT3_T4_T5_mT6_P12ihipStream_tbENKUlT_T0_E_clISt17integral_constantIbLb0EEST_IbLb1EEEEDaSP_SQ_EUlSP_E_NS1_11comp_targetILNS1_3genE4ELNS1_11target_archE910ELNS1_3gpuE8ELNS1_3repE0EEENS1_30default_config_static_selectorELNS0_4arch9wavefront6targetE1EEEvT1_
    .private_segment_fixed_size: 0
    .sgpr_count:     44
    .sgpr_spill_count: 0
    .symbol:         _ZN7rocprim17ROCPRIM_400000_NS6detail17trampoline_kernelINS0_14default_configENS1_20scan_config_selectorIiEEZZNS1_9scan_implILNS1_25lookback_scan_determinismE0ELb1ELb1ES3_N6thrust23THRUST_200600_302600_NS6detail15normal_iteratorINS9_10device_ptrIiEEEESE_iNS9_4plusIvEEiEEDaPvRmT3_T4_T5_mT6_P12ihipStream_tbENKUlT_T0_E_clISt17integral_constantIbLb0EEST_IbLb1EEEEDaSP_SQ_EUlSP_E_NS1_11comp_targetILNS1_3genE4ELNS1_11target_archE910ELNS1_3gpuE8ELNS1_3repE0EEENS1_30default_config_static_selectorELNS0_4arch9wavefront6targetE1EEEvT1_.kd
    .uniform_work_group_size: 1
    .uses_dynamic_stack: false
    .vgpr_count:     41
    .vgpr_spill_count: 0
    .wavefront_size: 64
  - .agpr_count:     0
    .args:
      - .offset:         0
        .size:           96
        .value_kind:     by_value
    .group_segment_fixed_size: 0
    .kernarg_segment_align: 8
    .kernarg_segment_size: 96
    .language:       OpenCL C
    .language_version:
      - 2
      - 0
    .max_flat_workgroup_size: 256
    .name:           _ZN7rocprim17ROCPRIM_400000_NS6detail17trampoline_kernelINS0_14default_configENS1_20scan_config_selectorIiEEZZNS1_9scan_implILNS1_25lookback_scan_determinismE0ELb1ELb1ES3_N6thrust23THRUST_200600_302600_NS6detail15normal_iteratorINS9_10device_ptrIiEEEESE_iNS9_4plusIvEEiEEDaPvRmT3_T4_T5_mT6_P12ihipStream_tbENKUlT_T0_E_clISt17integral_constantIbLb0EEST_IbLb1EEEEDaSP_SQ_EUlSP_E_NS1_11comp_targetILNS1_3genE3ELNS1_11target_archE908ELNS1_3gpuE7ELNS1_3repE0EEENS1_30default_config_static_selectorELNS0_4arch9wavefront6targetE1EEEvT1_
    .private_segment_fixed_size: 0
    .sgpr_count:     4
    .sgpr_spill_count: 0
    .symbol:         _ZN7rocprim17ROCPRIM_400000_NS6detail17trampoline_kernelINS0_14default_configENS1_20scan_config_selectorIiEEZZNS1_9scan_implILNS1_25lookback_scan_determinismE0ELb1ELb1ES3_N6thrust23THRUST_200600_302600_NS6detail15normal_iteratorINS9_10device_ptrIiEEEESE_iNS9_4plusIvEEiEEDaPvRmT3_T4_T5_mT6_P12ihipStream_tbENKUlT_T0_E_clISt17integral_constantIbLb0EEST_IbLb1EEEEDaSP_SQ_EUlSP_E_NS1_11comp_targetILNS1_3genE3ELNS1_11target_archE908ELNS1_3gpuE7ELNS1_3repE0EEENS1_30default_config_static_selectorELNS0_4arch9wavefront6targetE1EEEvT1_.kd
    .uniform_work_group_size: 1
    .uses_dynamic_stack: false
    .vgpr_count:     0
    .vgpr_spill_count: 0
    .wavefront_size: 64
  - .agpr_count:     0
    .args:
      - .offset:         0
        .size:           96
        .value_kind:     by_value
    .group_segment_fixed_size: 0
    .kernarg_segment_align: 8
    .kernarg_segment_size: 96
    .language:       OpenCL C
    .language_version:
      - 2
      - 0
    .max_flat_workgroup_size: 256
    .name:           _ZN7rocprim17ROCPRIM_400000_NS6detail17trampoline_kernelINS0_14default_configENS1_20scan_config_selectorIiEEZZNS1_9scan_implILNS1_25lookback_scan_determinismE0ELb1ELb1ES3_N6thrust23THRUST_200600_302600_NS6detail15normal_iteratorINS9_10device_ptrIiEEEESE_iNS9_4plusIvEEiEEDaPvRmT3_T4_T5_mT6_P12ihipStream_tbENKUlT_T0_E_clISt17integral_constantIbLb0EEST_IbLb1EEEEDaSP_SQ_EUlSP_E_NS1_11comp_targetILNS1_3genE2ELNS1_11target_archE906ELNS1_3gpuE6ELNS1_3repE0EEENS1_30default_config_static_selectorELNS0_4arch9wavefront6targetE1EEEvT1_
    .private_segment_fixed_size: 0
    .sgpr_count:     4
    .sgpr_spill_count: 0
    .symbol:         _ZN7rocprim17ROCPRIM_400000_NS6detail17trampoline_kernelINS0_14default_configENS1_20scan_config_selectorIiEEZZNS1_9scan_implILNS1_25lookback_scan_determinismE0ELb1ELb1ES3_N6thrust23THRUST_200600_302600_NS6detail15normal_iteratorINS9_10device_ptrIiEEEESE_iNS9_4plusIvEEiEEDaPvRmT3_T4_T5_mT6_P12ihipStream_tbENKUlT_T0_E_clISt17integral_constantIbLb0EEST_IbLb1EEEEDaSP_SQ_EUlSP_E_NS1_11comp_targetILNS1_3genE2ELNS1_11target_archE906ELNS1_3gpuE6ELNS1_3repE0EEENS1_30default_config_static_selectorELNS0_4arch9wavefront6targetE1EEEvT1_.kd
    .uniform_work_group_size: 1
    .uses_dynamic_stack: false
    .vgpr_count:     0
    .vgpr_spill_count: 0
    .wavefront_size: 64
  - .agpr_count:     0
    .args:
      - .offset:         0
        .size:           96
        .value_kind:     by_value
    .group_segment_fixed_size: 0
    .kernarg_segment_align: 8
    .kernarg_segment_size: 96
    .language:       OpenCL C
    .language_version:
      - 2
      - 0
    .max_flat_workgroup_size: 256
    .name:           _ZN7rocprim17ROCPRIM_400000_NS6detail17trampoline_kernelINS0_14default_configENS1_20scan_config_selectorIiEEZZNS1_9scan_implILNS1_25lookback_scan_determinismE0ELb1ELb1ES3_N6thrust23THRUST_200600_302600_NS6detail15normal_iteratorINS9_10device_ptrIiEEEESE_iNS9_4plusIvEEiEEDaPvRmT3_T4_T5_mT6_P12ihipStream_tbENKUlT_T0_E_clISt17integral_constantIbLb0EEST_IbLb1EEEEDaSP_SQ_EUlSP_E_NS1_11comp_targetILNS1_3genE10ELNS1_11target_archE1201ELNS1_3gpuE5ELNS1_3repE0EEENS1_30default_config_static_selectorELNS0_4arch9wavefront6targetE1EEEvT1_
    .private_segment_fixed_size: 0
    .sgpr_count:     4
    .sgpr_spill_count: 0
    .symbol:         _ZN7rocprim17ROCPRIM_400000_NS6detail17trampoline_kernelINS0_14default_configENS1_20scan_config_selectorIiEEZZNS1_9scan_implILNS1_25lookback_scan_determinismE0ELb1ELb1ES3_N6thrust23THRUST_200600_302600_NS6detail15normal_iteratorINS9_10device_ptrIiEEEESE_iNS9_4plusIvEEiEEDaPvRmT3_T4_T5_mT6_P12ihipStream_tbENKUlT_T0_E_clISt17integral_constantIbLb0EEST_IbLb1EEEEDaSP_SQ_EUlSP_E_NS1_11comp_targetILNS1_3genE10ELNS1_11target_archE1201ELNS1_3gpuE5ELNS1_3repE0EEENS1_30default_config_static_selectorELNS0_4arch9wavefront6targetE1EEEvT1_.kd
    .uniform_work_group_size: 1
    .uses_dynamic_stack: false
    .vgpr_count:     0
    .vgpr_spill_count: 0
    .wavefront_size: 64
  - .agpr_count:     0
    .args:
      - .offset:         0
        .size:           96
        .value_kind:     by_value
    .group_segment_fixed_size: 0
    .kernarg_segment_align: 8
    .kernarg_segment_size: 96
    .language:       OpenCL C
    .language_version:
      - 2
      - 0
    .max_flat_workgroup_size: 256
    .name:           _ZN7rocprim17ROCPRIM_400000_NS6detail17trampoline_kernelINS0_14default_configENS1_20scan_config_selectorIiEEZZNS1_9scan_implILNS1_25lookback_scan_determinismE0ELb1ELb1ES3_N6thrust23THRUST_200600_302600_NS6detail15normal_iteratorINS9_10device_ptrIiEEEESE_iNS9_4plusIvEEiEEDaPvRmT3_T4_T5_mT6_P12ihipStream_tbENKUlT_T0_E_clISt17integral_constantIbLb0EEST_IbLb1EEEEDaSP_SQ_EUlSP_E_NS1_11comp_targetILNS1_3genE10ELNS1_11target_archE1200ELNS1_3gpuE4ELNS1_3repE0EEENS1_30default_config_static_selectorELNS0_4arch9wavefront6targetE1EEEvT1_
    .private_segment_fixed_size: 0
    .sgpr_count:     4
    .sgpr_spill_count: 0
    .symbol:         _ZN7rocprim17ROCPRIM_400000_NS6detail17trampoline_kernelINS0_14default_configENS1_20scan_config_selectorIiEEZZNS1_9scan_implILNS1_25lookback_scan_determinismE0ELb1ELb1ES3_N6thrust23THRUST_200600_302600_NS6detail15normal_iteratorINS9_10device_ptrIiEEEESE_iNS9_4plusIvEEiEEDaPvRmT3_T4_T5_mT6_P12ihipStream_tbENKUlT_T0_E_clISt17integral_constantIbLb0EEST_IbLb1EEEEDaSP_SQ_EUlSP_E_NS1_11comp_targetILNS1_3genE10ELNS1_11target_archE1200ELNS1_3gpuE4ELNS1_3repE0EEENS1_30default_config_static_selectorELNS0_4arch9wavefront6targetE1EEEvT1_.kd
    .uniform_work_group_size: 1
    .uses_dynamic_stack: false
    .vgpr_count:     0
    .vgpr_spill_count: 0
    .wavefront_size: 64
  - .agpr_count:     0
    .args:
      - .offset:         0
        .size:           96
        .value_kind:     by_value
    .group_segment_fixed_size: 0
    .kernarg_segment_align: 8
    .kernarg_segment_size: 96
    .language:       OpenCL C
    .language_version:
      - 2
      - 0
    .max_flat_workgroup_size: 256
    .name:           _ZN7rocprim17ROCPRIM_400000_NS6detail17trampoline_kernelINS0_14default_configENS1_20scan_config_selectorIiEEZZNS1_9scan_implILNS1_25lookback_scan_determinismE0ELb1ELb1ES3_N6thrust23THRUST_200600_302600_NS6detail15normal_iteratorINS9_10device_ptrIiEEEESE_iNS9_4plusIvEEiEEDaPvRmT3_T4_T5_mT6_P12ihipStream_tbENKUlT_T0_E_clISt17integral_constantIbLb0EEST_IbLb1EEEEDaSP_SQ_EUlSP_E_NS1_11comp_targetILNS1_3genE9ELNS1_11target_archE1100ELNS1_3gpuE3ELNS1_3repE0EEENS1_30default_config_static_selectorELNS0_4arch9wavefront6targetE1EEEvT1_
    .private_segment_fixed_size: 0
    .sgpr_count:     4
    .sgpr_spill_count: 0
    .symbol:         _ZN7rocprim17ROCPRIM_400000_NS6detail17trampoline_kernelINS0_14default_configENS1_20scan_config_selectorIiEEZZNS1_9scan_implILNS1_25lookback_scan_determinismE0ELb1ELb1ES3_N6thrust23THRUST_200600_302600_NS6detail15normal_iteratorINS9_10device_ptrIiEEEESE_iNS9_4plusIvEEiEEDaPvRmT3_T4_T5_mT6_P12ihipStream_tbENKUlT_T0_E_clISt17integral_constantIbLb0EEST_IbLb1EEEEDaSP_SQ_EUlSP_E_NS1_11comp_targetILNS1_3genE9ELNS1_11target_archE1100ELNS1_3gpuE3ELNS1_3repE0EEENS1_30default_config_static_selectorELNS0_4arch9wavefront6targetE1EEEvT1_.kd
    .uniform_work_group_size: 1
    .uses_dynamic_stack: false
    .vgpr_count:     0
    .vgpr_spill_count: 0
    .wavefront_size: 64
  - .agpr_count:     0
    .args:
      - .offset:         0
        .size:           96
        .value_kind:     by_value
    .group_segment_fixed_size: 0
    .kernarg_segment_align: 8
    .kernarg_segment_size: 96
    .language:       OpenCL C
    .language_version:
      - 2
      - 0
    .max_flat_workgroup_size: 64
    .name:           _ZN7rocprim17ROCPRIM_400000_NS6detail17trampoline_kernelINS0_14default_configENS1_20scan_config_selectorIiEEZZNS1_9scan_implILNS1_25lookback_scan_determinismE0ELb1ELb1ES3_N6thrust23THRUST_200600_302600_NS6detail15normal_iteratorINS9_10device_ptrIiEEEESE_iNS9_4plusIvEEiEEDaPvRmT3_T4_T5_mT6_P12ihipStream_tbENKUlT_T0_E_clISt17integral_constantIbLb0EEST_IbLb1EEEEDaSP_SQ_EUlSP_E_NS1_11comp_targetILNS1_3genE8ELNS1_11target_archE1030ELNS1_3gpuE2ELNS1_3repE0EEENS1_30default_config_static_selectorELNS0_4arch9wavefront6targetE1EEEvT1_
    .private_segment_fixed_size: 0
    .sgpr_count:     4
    .sgpr_spill_count: 0
    .symbol:         _ZN7rocprim17ROCPRIM_400000_NS6detail17trampoline_kernelINS0_14default_configENS1_20scan_config_selectorIiEEZZNS1_9scan_implILNS1_25lookback_scan_determinismE0ELb1ELb1ES3_N6thrust23THRUST_200600_302600_NS6detail15normal_iteratorINS9_10device_ptrIiEEEESE_iNS9_4plusIvEEiEEDaPvRmT3_T4_T5_mT6_P12ihipStream_tbENKUlT_T0_E_clISt17integral_constantIbLb0EEST_IbLb1EEEEDaSP_SQ_EUlSP_E_NS1_11comp_targetILNS1_3genE8ELNS1_11target_archE1030ELNS1_3gpuE2ELNS1_3repE0EEENS1_30default_config_static_selectorELNS0_4arch9wavefront6targetE1EEEvT1_.kd
    .uniform_work_group_size: 1
    .uses_dynamic_stack: false
    .vgpr_count:     0
    .vgpr_spill_count: 0
    .wavefront_size: 64
  - .agpr_count:     0
    .args:
      - .offset:         0
        .size:           32
        .value_kind:     by_value
    .group_segment_fixed_size: 0
    .kernarg_segment_align: 8
    .kernarg_segment_size: 32
    .language:       OpenCL C
    .language_version:
      - 2
      - 0
    .max_flat_workgroup_size: 256
    .name:           _ZN7rocprim17ROCPRIM_400000_NS6detail17trampoline_kernelINS0_14default_configENS1_20scan_config_selectorIiEEZZNS1_9scan_implILNS1_25lookback_scan_determinismE0ELb1ELb1ES3_N6thrust23THRUST_200600_302600_NS6detail15normal_iteratorINS9_10device_ptrIiEEEESE_iNS9_4plusIvEEiEEDaPvRmT3_T4_T5_mT6_P12ihipStream_tbENKUlT_T0_E_clISt17integral_constantIbLb0EEST_IbLb1EEEEDaSP_SQ_EUlSP_E0_NS1_11comp_targetILNS1_3genE0ELNS1_11target_archE4294967295ELNS1_3gpuE0ELNS1_3repE0EEENS1_30default_config_static_selectorELNS0_4arch9wavefront6targetE1EEEvT1_
    .private_segment_fixed_size: 0
    .sgpr_count:     4
    .sgpr_spill_count: 0
    .symbol:         _ZN7rocprim17ROCPRIM_400000_NS6detail17trampoline_kernelINS0_14default_configENS1_20scan_config_selectorIiEEZZNS1_9scan_implILNS1_25lookback_scan_determinismE0ELb1ELb1ES3_N6thrust23THRUST_200600_302600_NS6detail15normal_iteratorINS9_10device_ptrIiEEEESE_iNS9_4plusIvEEiEEDaPvRmT3_T4_T5_mT6_P12ihipStream_tbENKUlT_T0_E_clISt17integral_constantIbLb0EEST_IbLb1EEEEDaSP_SQ_EUlSP_E0_NS1_11comp_targetILNS1_3genE0ELNS1_11target_archE4294967295ELNS1_3gpuE0ELNS1_3repE0EEENS1_30default_config_static_selectorELNS0_4arch9wavefront6targetE1EEEvT1_.kd
    .uniform_work_group_size: 1
    .uses_dynamic_stack: false
    .vgpr_count:     0
    .vgpr_spill_count: 0
    .wavefront_size: 64
  - .agpr_count:     0
    .args:
      - .offset:         0
        .size:           32
        .value_kind:     by_value
    .group_segment_fixed_size: 0
    .kernarg_segment_align: 8
    .kernarg_segment_size: 32
    .language:       OpenCL C
    .language_version:
      - 2
      - 0
    .max_flat_workgroup_size: 256
    .name:           _ZN7rocprim17ROCPRIM_400000_NS6detail17trampoline_kernelINS0_14default_configENS1_20scan_config_selectorIiEEZZNS1_9scan_implILNS1_25lookback_scan_determinismE0ELb1ELb1ES3_N6thrust23THRUST_200600_302600_NS6detail15normal_iteratorINS9_10device_ptrIiEEEESE_iNS9_4plusIvEEiEEDaPvRmT3_T4_T5_mT6_P12ihipStream_tbENKUlT_T0_E_clISt17integral_constantIbLb0EEST_IbLb1EEEEDaSP_SQ_EUlSP_E0_NS1_11comp_targetILNS1_3genE5ELNS1_11target_archE942ELNS1_3gpuE9ELNS1_3repE0EEENS1_30default_config_static_selectorELNS0_4arch9wavefront6targetE1EEEvT1_
    .private_segment_fixed_size: 0
    .sgpr_count:     4
    .sgpr_spill_count: 0
    .symbol:         _ZN7rocprim17ROCPRIM_400000_NS6detail17trampoline_kernelINS0_14default_configENS1_20scan_config_selectorIiEEZZNS1_9scan_implILNS1_25lookback_scan_determinismE0ELb1ELb1ES3_N6thrust23THRUST_200600_302600_NS6detail15normal_iteratorINS9_10device_ptrIiEEEESE_iNS9_4plusIvEEiEEDaPvRmT3_T4_T5_mT6_P12ihipStream_tbENKUlT_T0_E_clISt17integral_constantIbLb0EEST_IbLb1EEEEDaSP_SQ_EUlSP_E0_NS1_11comp_targetILNS1_3genE5ELNS1_11target_archE942ELNS1_3gpuE9ELNS1_3repE0EEENS1_30default_config_static_selectorELNS0_4arch9wavefront6targetE1EEEvT1_.kd
    .uniform_work_group_size: 1
    .uses_dynamic_stack: false
    .vgpr_count:     0
    .vgpr_spill_count: 0
    .wavefront_size: 64
  - .agpr_count:     0
    .args:
      - .offset:         0
        .size:           32
        .value_kind:     by_value
    .group_segment_fixed_size: 5120
    .kernarg_segment_align: 8
    .kernarg_segment_size: 32
    .language:       OpenCL C
    .language_version:
      - 2
      - 0
    .max_flat_workgroup_size: 128
    .name:           _ZN7rocprim17ROCPRIM_400000_NS6detail17trampoline_kernelINS0_14default_configENS1_20scan_config_selectorIiEEZZNS1_9scan_implILNS1_25lookback_scan_determinismE0ELb1ELb1ES3_N6thrust23THRUST_200600_302600_NS6detail15normal_iteratorINS9_10device_ptrIiEEEESE_iNS9_4plusIvEEiEEDaPvRmT3_T4_T5_mT6_P12ihipStream_tbENKUlT_T0_E_clISt17integral_constantIbLb0EEST_IbLb1EEEEDaSP_SQ_EUlSP_E0_NS1_11comp_targetILNS1_3genE4ELNS1_11target_archE910ELNS1_3gpuE8ELNS1_3repE0EEENS1_30default_config_static_selectorELNS0_4arch9wavefront6targetE1EEEvT1_
    .private_segment_fixed_size: 0
    .sgpr_count:     29
    .sgpr_spill_count: 0
    .symbol:         _ZN7rocprim17ROCPRIM_400000_NS6detail17trampoline_kernelINS0_14default_configENS1_20scan_config_selectorIiEEZZNS1_9scan_implILNS1_25lookback_scan_determinismE0ELb1ELb1ES3_N6thrust23THRUST_200600_302600_NS6detail15normal_iteratorINS9_10device_ptrIiEEEESE_iNS9_4plusIvEEiEEDaPvRmT3_T4_T5_mT6_P12ihipStream_tbENKUlT_T0_E_clISt17integral_constantIbLb0EEST_IbLb1EEEEDaSP_SQ_EUlSP_E0_NS1_11comp_targetILNS1_3genE4ELNS1_11target_archE910ELNS1_3gpuE8ELNS1_3repE0EEENS1_30default_config_static_selectorELNS0_4arch9wavefront6targetE1EEEvT1_.kd
    .uniform_work_group_size: 1
    .uses_dynamic_stack: false
    .vgpr_count:     18
    .vgpr_spill_count: 0
    .wavefront_size: 64
  - .agpr_count:     0
    .args:
      - .offset:         0
        .size:           32
        .value_kind:     by_value
    .group_segment_fixed_size: 0
    .kernarg_segment_align: 8
    .kernarg_segment_size: 32
    .language:       OpenCL C
    .language_version:
      - 2
      - 0
    .max_flat_workgroup_size: 256
    .name:           _ZN7rocprim17ROCPRIM_400000_NS6detail17trampoline_kernelINS0_14default_configENS1_20scan_config_selectorIiEEZZNS1_9scan_implILNS1_25lookback_scan_determinismE0ELb1ELb1ES3_N6thrust23THRUST_200600_302600_NS6detail15normal_iteratorINS9_10device_ptrIiEEEESE_iNS9_4plusIvEEiEEDaPvRmT3_T4_T5_mT6_P12ihipStream_tbENKUlT_T0_E_clISt17integral_constantIbLb0EEST_IbLb1EEEEDaSP_SQ_EUlSP_E0_NS1_11comp_targetILNS1_3genE3ELNS1_11target_archE908ELNS1_3gpuE7ELNS1_3repE0EEENS1_30default_config_static_selectorELNS0_4arch9wavefront6targetE1EEEvT1_
    .private_segment_fixed_size: 0
    .sgpr_count:     4
    .sgpr_spill_count: 0
    .symbol:         _ZN7rocprim17ROCPRIM_400000_NS6detail17trampoline_kernelINS0_14default_configENS1_20scan_config_selectorIiEEZZNS1_9scan_implILNS1_25lookback_scan_determinismE0ELb1ELb1ES3_N6thrust23THRUST_200600_302600_NS6detail15normal_iteratorINS9_10device_ptrIiEEEESE_iNS9_4plusIvEEiEEDaPvRmT3_T4_T5_mT6_P12ihipStream_tbENKUlT_T0_E_clISt17integral_constantIbLb0EEST_IbLb1EEEEDaSP_SQ_EUlSP_E0_NS1_11comp_targetILNS1_3genE3ELNS1_11target_archE908ELNS1_3gpuE7ELNS1_3repE0EEENS1_30default_config_static_selectorELNS0_4arch9wavefront6targetE1EEEvT1_.kd
    .uniform_work_group_size: 1
    .uses_dynamic_stack: false
    .vgpr_count:     0
    .vgpr_spill_count: 0
    .wavefront_size: 64
  - .agpr_count:     0
    .args:
      - .offset:         0
        .size:           32
        .value_kind:     by_value
    .group_segment_fixed_size: 0
    .kernarg_segment_align: 8
    .kernarg_segment_size: 32
    .language:       OpenCL C
    .language_version:
      - 2
      - 0
    .max_flat_workgroup_size: 256
    .name:           _ZN7rocprim17ROCPRIM_400000_NS6detail17trampoline_kernelINS0_14default_configENS1_20scan_config_selectorIiEEZZNS1_9scan_implILNS1_25lookback_scan_determinismE0ELb1ELb1ES3_N6thrust23THRUST_200600_302600_NS6detail15normal_iteratorINS9_10device_ptrIiEEEESE_iNS9_4plusIvEEiEEDaPvRmT3_T4_T5_mT6_P12ihipStream_tbENKUlT_T0_E_clISt17integral_constantIbLb0EEST_IbLb1EEEEDaSP_SQ_EUlSP_E0_NS1_11comp_targetILNS1_3genE2ELNS1_11target_archE906ELNS1_3gpuE6ELNS1_3repE0EEENS1_30default_config_static_selectorELNS0_4arch9wavefront6targetE1EEEvT1_
    .private_segment_fixed_size: 0
    .sgpr_count:     4
    .sgpr_spill_count: 0
    .symbol:         _ZN7rocprim17ROCPRIM_400000_NS6detail17trampoline_kernelINS0_14default_configENS1_20scan_config_selectorIiEEZZNS1_9scan_implILNS1_25lookback_scan_determinismE0ELb1ELb1ES3_N6thrust23THRUST_200600_302600_NS6detail15normal_iteratorINS9_10device_ptrIiEEEESE_iNS9_4plusIvEEiEEDaPvRmT3_T4_T5_mT6_P12ihipStream_tbENKUlT_T0_E_clISt17integral_constantIbLb0EEST_IbLb1EEEEDaSP_SQ_EUlSP_E0_NS1_11comp_targetILNS1_3genE2ELNS1_11target_archE906ELNS1_3gpuE6ELNS1_3repE0EEENS1_30default_config_static_selectorELNS0_4arch9wavefront6targetE1EEEvT1_.kd
    .uniform_work_group_size: 1
    .uses_dynamic_stack: false
    .vgpr_count:     0
    .vgpr_spill_count: 0
    .wavefront_size: 64
  - .agpr_count:     0
    .args:
      - .offset:         0
        .size:           32
        .value_kind:     by_value
    .group_segment_fixed_size: 0
    .kernarg_segment_align: 8
    .kernarg_segment_size: 32
    .language:       OpenCL C
    .language_version:
      - 2
      - 0
    .max_flat_workgroup_size: 256
    .name:           _ZN7rocprim17ROCPRIM_400000_NS6detail17trampoline_kernelINS0_14default_configENS1_20scan_config_selectorIiEEZZNS1_9scan_implILNS1_25lookback_scan_determinismE0ELb1ELb1ES3_N6thrust23THRUST_200600_302600_NS6detail15normal_iteratorINS9_10device_ptrIiEEEESE_iNS9_4plusIvEEiEEDaPvRmT3_T4_T5_mT6_P12ihipStream_tbENKUlT_T0_E_clISt17integral_constantIbLb0EEST_IbLb1EEEEDaSP_SQ_EUlSP_E0_NS1_11comp_targetILNS1_3genE10ELNS1_11target_archE1201ELNS1_3gpuE5ELNS1_3repE0EEENS1_30default_config_static_selectorELNS0_4arch9wavefront6targetE1EEEvT1_
    .private_segment_fixed_size: 0
    .sgpr_count:     4
    .sgpr_spill_count: 0
    .symbol:         _ZN7rocprim17ROCPRIM_400000_NS6detail17trampoline_kernelINS0_14default_configENS1_20scan_config_selectorIiEEZZNS1_9scan_implILNS1_25lookback_scan_determinismE0ELb1ELb1ES3_N6thrust23THRUST_200600_302600_NS6detail15normal_iteratorINS9_10device_ptrIiEEEESE_iNS9_4plusIvEEiEEDaPvRmT3_T4_T5_mT6_P12ihipStream_tbENKUlT_T0_E_clISt17integral_constantIbLb0EEST_IbLb1EEEEDaSP_SQ_EUlSP_E0_NS1_11comp_targetILNS1_3genE10ELNS1_11target_archE1201ELNS1_3gpuE5ELNS1_3repE0EEENS1_30default_config_static_selectorELNS0_4arch9wavefront6targetE1EEEvT1_.kd
    .uniform_work_group_size: 1
    .uses_dynamic_stack: false
    .vgpr_count:     0
    .vgpr_spill_count: 0
    .wavefront_size: 64
  - .agpr_count:     0
    .args:
      - .offset:         0
        .size:           32
        .value_kind:     by_value
    .group_segment_fixed_size: 0
    .kernarg_segment_align: 8
    .kernarg_segment_size: 32
    .language:       OpenCL C
    .language_version:
      - 2
      - 0
    .max_flat_workgroup_size: 256
    .name:           _ZN7rocprim17ROCPRIM_400000_NS6detail17trampoline_kernelINS0_14default_configENS1_20scan_config_selectorIiEEZZNS1_9scan_implILNS1_25lookback_scan_determinismE0ELb1ELb1ES3_N6thrust23THRUST_200600_302600_NS6detail15normal_iteratorINS9_10device_ptrIiEEEESE_iNS9_4plusIvEEiEEDaPvRmT3_T4_T5_mT6_P12ihipStream_tbENKUlT_T0_E_clISt17integral_constantIbLb0EEST_IbLb1EEEEDaSP_SQ_EUlSP_E0_NS1_11comp_targetILNS1_3genE10ELNS1_11target_archE1200ELNS1_3gpuE4ELNS1_3repE0EEENS1_30default_config_static_selectorELNS0_4arch9wavefront6targetE1EEEvT1_
    .private_segment_fixed_size: 0
    .sgpr_count:     4
    .sgpr_spill_count: 0
    .symbol:         _ZN7rocprim17ROCPRIM_400000_NS6detail17trampoline_kernelINS0_14default_configENS1_20scan_config_selectorIiEEZZNS1_9scan_implILNS1_25lookback_scan_determinismE0ELb1ELb1ES3_N6thrust23THRUST_200600_302600_NS6detail15normal_iteratorINS9_10device_ptrIiEEEESE_iNS9_4plusIvEEiEEDaPvRmT3_T4_T5_mT6_P12ihipStream_tbENKUlT_T0_E_clISt17integral_constantIbLb0EEST_IbLb1EEEEDaSP_SQ_EUlSP_E0_NS1_11comp_targetILNS1_3genE10ELNS1_11target_archE1200ELNS1_3gpuE4ELNS1_3repE0EEENS1_30default_config_static_selectorELNS0_4arch9wavefront6targetE1EEEvT1_.kd
    .uniform_work_group_size: 1
    .uses_dynamic_stack: false
    .vgpr_count:     0
    .vgpr_spill_count: 0
    .wavefront_size: 64
  - .agpr_count:     0
    .args:
      - .offset:         0
        .size:           32
        .value_kind:     by_value
    .group_segment_fixed_size: 0
    .kernarg_segment_align: 8
    .kernarg_segment_size: 32
    .language:       OpenCL C
    .language_version:
      - 2
      - 0
    .max_flat_workgroup_size: 256
    .name:           _ZN7rocprim17ROCPRIM_400000_NS6detail17trampoline_kernelINS0_14default_configENS1_20scan_config_selectorIiEEZZNS1_9scan_implILNS1_25lookback_scan_determinismE0ELb1ELb1ES3_N6thrust23THRUST_200600_302600_NS6detail15normal_iteratorINS9_10device_ptrIiEEEESE_iNS9_4plusIvEEiEEDaPvRmT3_T4_T5_mT6_P12ihipStream_tbENKUlT_T0_E_clISt17integral_constantIbLb0EEST_IbLb1EEEEDaSP_SQ_EUlSP_E0_NS1_11comp_targetILNS1_3genE9ELNS1_11target_archE1100ELNS1_3gpuE3ELNS1_3repE0EEENS1_30default_config_static_selectorELNS0_4arch9wavefront6targetE1EEEvT1_
    .private_segment_fixed_size: 0
    .sgpr_count:     4
    .sgpr_spill_count: 0
    .symbol:         _ZN7rocprim17ROCPRIM_400000_NS6detail17trampoline_kernelINS0_14default_configENS1_20scan_config_selectorIiEEZZNS1_9scan_implILNS1_25lookback_scan_determinismE0ELb1ELb1ES3_N6thrust23THRUST_200600_302600_NS6detail15normal_iteratorINS9_10device_ptrIiEEEESE_iNS9_4plusIvEEiEEDaPvRmT3_T4_T5_mT6_P12ihipStream_tbENKUlT_T0_E_clISt17integral_constantIbLb0EEST_IbLb1EEEEDaSP_SQ_EUlSP_E0_NS1_11comp_targetILNS1_3genE9ELNS1_11target_archE1100ELNS1_3gpuE3ELNS1_3repE0EEENS1_30default_config_static_selectorELNS0_4arch9wavefront6targetE1EEEvT1_.kd
    .uniform_work_group_size: 1
    .uses_dynamic_stack: false
    .vgpr_count:     0
    .vgpr_spill_count: 0
    .wavefront_size: 64
  - .agpr_count:     0
    .args:
      - .offset:         0
        .size:           32
        .value_kind:     by_value
    .group_segment_fixed_size: 0
    .kernarg_segment_align: 8
    .kernarg_segment_size: 32
    .language:       OpenCL C
    .language_version:
      - 2
      - 0
    .max_flat_workgroup_size: 64
    .name:           _ZN7rocprim17ROCPRIM_400000_NS6detail17trampoline_kernelINS0_14default_configENS1_20scan_config_selectorIiEEZZNS1_9scan_implILNS1_25lookback_scan_determinismE0ELb1ELb1ES3_N6thrust23THRUST_200600_302600_NS6detail15normal_iteratorINS9_10device_ptrIiEEEESE_iNS9_4plusIvEEiEEDaPvRmT3_T4_T5_mT6_P12ihipStream_tbENKUlT_T0_E_clISt17integral_constantIbLb0EEST_IbLb1EEEEDaSP_SQ_EUlSP_E0_NS1_11comp_targetILNS1_3genE8ELNS1_11target_archE1030ELNS1_3gpuE2ELNS1_3repE0EEENS1_30default_config_static_selectorELNS0_4arch9wavefront6targetE1EEEvT1_
    .private_segment_fixed_size: 0
    .sgpr_count:     4
    .sgpr_spill_count: 0
    .symbol:         _ZN7rocprim17ROCPRIM_400000_NS6detail17trampoline_kernelINS0_14default_configENS1_20scan_config_selectorIiEEZZNS1_9scan_implILNS1_25lookback_scan_determinismE0ELb1ELb1ES3_N6thrust23THRUST_200600_302600_NS6detail15normal_iteratorINS9_10device_ptrIiEEEESE_iNS9_4plusIvEEiEEDaPvRmT3_T4_T5_mT6_P12ihipStream_tbENKUlT_T0_E_clISt17integral_constantIbLb0EEST_IbLb1EEEEDaSP_SQ_EUlSP_E0_NS1_11comp_targetILNS1_3genE8ELNS1_11target_archE1030ELNS1_3gpuE2ELNS1_3repE0EEENS1_30default_config_static_selectorELNS0_4arch9wavefront6targetE1EEEvT1_.kd
    .uniform_work_group_size: 1
    .uses_dynamic_stack: false
    .vgpr_count:     0
    .vgpr_spill_count: 0
    .wavefront_size: 64
  - .agpr_count:     0
    .args:
      - .offset:         0
        .size:           16
        .value_kind:     by_value
      - .offset:         16
        .size:           8
        .value_kind:     by_value
      - .offset:         24
        .size:           8
        .value_kind:     by_value
    .group_segment_fixed_size: 0
    .kernarg_segment_align: 8
    .kernarg_segment_size: 32
    .language:       OpenCL C
    .language_version:
      - 2
      - 0
    .max_flat_workgroup_size: 256
    .name:           _ZN6thrust23THRUST_200600_302600_NS11hip_rocprim14__parallel_for6kernelILj256ENS1_20__uninitialized_fill7functorINS0_10device_ptrIsEEsEEmLj1EEEvT0_T1_SA_
    .private_segment_fixed_size: 0
    .sgpr_count:     16
    .sgpr_spill_count: 0
    .symbol:         _ZN6thrust23THRUST_200600_302600_NS11hip_rocprim14__parallel_for6kernelILj256ENS1_20__uninitialized_fill7functorINS0_10device_ptrIsEEsEEmLj1EEEvT0_T1_SA_.kd
    .uniform_work_group_size: 1
    .uses_dynamic_stack: false
    .vgpr_count:     4
    .vgpr_spill_count: 0
    .wavefront_size: 64
  - .agpr_count:     0
    .args:
      - .address_space:  global
        .offset:         0
        .size:           8
        .value_kind:     global_buffer
      - .offset:         8
        .size:           4
        .value_kind:     by_value
      - .offset:         12
        .size:           1
        .value_kind:     by_value
      - .offset:         16
        .size:           4
        .value_kind:     by_value
      - .address_space:  global
        .offset:         24
        .size:           8
        .value_kind:     global_buffer
      - .offset:         32
        .size:           4
        .value_kind:     hidden_block_count_x
      - .offset:         36
        .size:           4
        .value_kind:     hidden_block_count_y
      - .offset:         40
        .size:           4
        .value_kind:     hidden_block_count_z
      - .offset:         44
        .size:           2
        .value_kind:     hidden_group_size_x
      - .offset:         46
        .size:           2
        .value_kind:     hidden_group_size_y
      - .offset:         48
        .size:           2
        .value_kind:     hidden_group_size_z
      - .offset:         50
        .size:           2
        .value_kind:     hidden_remainder_x
      - .offset:         52
        .size:           2
        .value_kind:     hidden_remainder_y
      - .offset:         54
        .size:           2
        .value_kind:     hidden_remainder_z
      - .offset:         72
        .size:           8
        .value_kind:     hidden_global_offset_x
      - .offset:         80
        .size:           8
        .value_kind:     hidden_global_offset_y
      - .offset:         88
        .size:           8
        .value_kind:     hidden_global_offset_z
      - .offset:         96
        .size:           2
        .value_kind:     hidden_grid_dims
    .group_segment_fixed_size: 0
    .kernarg_segment_align: 8
    .kernarg_segment_size: 288
    .language:       OpenCL C
    .language_version:
      - 2
      - 0
    .max_flat_workgroup_size: 256
    .name:           _ZN7rocprim17ROCPRIM_400000_NS6detail31init_lookback_scan_state_kernelINS1_19lookback_scan_stateIsLb0ELb1EEENS1_16block_id_wrapperIjLb0EEEEEvT_jT0_jPNS7_10value_typeE
    .private_segment_fixed_size: 0
    .sgpr_count:     13
    .sgpr_spill_count: 0
    .symbol:         _ZN7rocprim17ROCPRIM_400000_NS6detail31init_lookback_scan_state_kernelINS1_19lookback_scan_stateIsLb0ELb1EEENS1_16block_id_wrapperIjLb0EEEEEvT_jT0_jPNS7_10value_typeE.kd
    .uniform_work_group_size: 1
    .uses_dynamic_stack: false
    .vgpr_count:     6
    .vgpr_spill_count: 0
    .wavefront_size: 64
  - .agpr_count:     0
    .args:
      - .offset:         0
        .size:           96
        .value_kind:     by_value
    .group_segment_fixed_size: 0
    .kernarg_segment_align: 8
    .kernarg_segment_size: 96
    .language:       OpenCL C
    .language_version:
      - 2
      - 0
    .max_flat_workgroup_size: 128
    .name:           _ZN7rocprim17ROCPRIM_400000_NS6detail17trampoline_kernelINS0_14default_configENS1_20scan_config_selectorIsEEZZNS1_9scan_implILNS1_25lookback_scan_determinismE0ELb0ELb0ES3_N6thrust23THRUST_200600_302600_NS6detail15normal_iteratorINS9_10device_ptrIsEEEESE_sNS9_4plusIvEEsEEDaPvRmT3_T4_T5_mT6_P12ihipStream_tbENKUlT_T0_E_clISt17integral_constantIbLb0EESU_EEDaSP_SQ_EUlSP_E_NS1_11comp_targetILNS1_3genE0ELNS1_11target_archE4294967295ELNS1_3gpuE0ELNS1_3repE0EEENS1_30default_config_static_selectorELNS0_4arch9wavefront6targetE1EEEvT1_
    .private_segment_fixed_size: 0
    .sgpr_count:     4
    .sgpr_spill_count: 0
    .symbol:         _ZN7rocprim17ROCPRIM_400000_NS6detail17trampoline_kernelINS0_14default_configENS1_20scan_config_selectorIsEEZZNS1_9scan_implILNS1_25lookback_scan_determinismE0ELb0ELb0ES3_N6thrust23THRUST_200600_302600_NS6detail15normal_iteratorINS9_10device_ptrIsEEEESE_sNS9_4plusIvEEsEEDaPvRmT3_T4_T5_mT6_P12ihipStream_tbENKUlT_T0_E_clISt17integral_constantIbLb0EESU_EEDaSP_SQ_EUlSP_E_NS1_11comp_targetILNS1_3genE0ELNS1_11target_archE4294967295ELNS1_3gpuE0ELNS1_3repE0EEENS1_30default_config_static_selectorELNS0_4arch9wavefront6targetE1EEEvT1_.kd
    .uniform_work_group_size: 1
    .uses_dynamic_stack: false
    .vgpr_count:     0
    .vgpr_spill_count: 0
    .wavefront_size: 64
  - .agpr_count:     0
    .args:
      - .offset:         0
        .size:           96
        .value_kind:     by_value
    .group_segment_fixed_size: 0
    .kernarg_segment_align: 8
    .kernarg_segment_size: 96
    .language:       OpenCL C
    .language_version:
      - 2
      - 0
    .max_flat_workgroup_size: 256
    .name:           _ZN7rocprim17ROCPRIM_400000_NS6detail17trampoline_kernelINS0_14default_configENS1_20scan_config_selectorIsEEZZNS1_9scan_implILNS1_25lookback_scan_determinismE0ELb0ELb0ES3_N6thrust23THRUST_200600_302600_NS6detail15normal_iteratorINS9_10device_ptrIsEEEESE_sNS9_4plusIvEEsEEDaPvRmT3_T4_T5_mT6_P12ihipStream_tbENKUlT_T0_E_clISt17integral_constantIbLb0EESU_EEDaSP_SQ_EUlSP_E_NS1_11comp_targetILNS1_3genE5ELNS1_11target_archE942ELNS1_3gpuE9ELNS1_3repE0EEENS1_30default_config_static_selectorELNS0_4arch9wavefront6targetE1EEEvT1_
    .private_segment_fixed_size: 0
    .sgpr_count:     4
    .sgpr_spill_count: 0
    .symbol:         _ZN7rocprim17ROCPRIM_400000_NS6detail17trampoline_kernelINS0_14default_configENS1_20scan_config_selectorIsEEZZNS1_9scan_implILNS1_25lookback_scan_determinismE0ELb0ELb0ES3_N6thrust23THRUST_200600_302600_NS6detail15normal_iteratorINS9_10device_ptrIsEEEESE_sNS9_4plusIvEEsEEDaPvRmT3_T4_T5_mT6_P12ihipStream_tbENKUlT_T0_E_clISt17integral_constantIbLb0EESU_EEDaSP_SQ_EUlSP_E_NS1_11comp_targetILNS1_3genE5ELNS1_11target_archE942ELNS1_3gpuE9ELNS1_3repE0EEENS1_30default_config_static_selectorELNS0_4arch9wavefront6targetE1EEEvT1_.kd
    .uniform_work_group_size: 1
    .uses_dynamic_stack: false
    .vgpr_count:     0
    .vgpr_spill_count: 0
    .wavefront_size: 64
  - .agpr_count:     0
    .args:
      - .offset:         0
        .size:           96
        .value_kind:     by_value
    .group_segment_fixed_size: 3072
    .kernarg_segment_align: 8
    .kernarg_segment_size: 96
    .language:       OpenCL C
    .language_version:
      - 2
      - 0
    .max_flat_workgroup_size: 64
    .name:           _ZN7rocprim17ROCPRIM_400000_NS6detail17trampoline_kernelINS0_14default_configENS1_20scan_config_selectorIsEEZZNS1_9scan_implILNS1_25lookback_scan_determinismE0ELb0ELb0ES3_N6thrust23THRUST_200600_302600_NS6detail15normal_iteratorINS9_10device_ptrIsEEEESE_sNS9_4plusIvEEsEEDaPvRmT3_T4_T5_mT6_P12ihipStream_tbENKUlT_T0_E_clISt17integral_constantIbLb0EESU_EEDaSP_SQ_EUlSP_E_NS1_11comp_targetILNS1_3genE4ELNS1_11target_archE910ELNS1_3gpuE8ELNS1_3repE0EEENS1_30default_config_static_selectorELNS0_4arch9wavefront6targetE1EEEvT1_
    .private_segment_fixed_size: 0
    .sgpr_count:     30
    .sgpr_spill_count: 0
    .symbol:         _ZN7rocprim17ROCPRIM_400000_NS6detail17trampoline_kernelINS0_14default_configENS1_20scan_config_selectorIsEEZZNS1_9scan_implILNS1_25lookback_scan_determinismE0ELb0ELb0ES3_N6thrust23THRUST_200600_302600_NS6detail15normal_iteratorINS9_10device_ptrIsEEEESE_sNS9_4plusIvEEsEEDaPvRmT3_T4_T5_mT6_P12ihipStream_tbENKUlT_T0_E_clISt17integral_constantIbLb0EESU_EEDaSP_SQ_EUlSP_E_NS1_11comp_targetILNS1_3genE4ELNS1_11target_archE910ELNS1_3gpuE8ELNS1_3repE0EEENS1_30default_config_static_selectorELNS0_4arch9wavefront6targetE1EEEvT1_.kd
    .uniform_work_group_size: 1
    .uses_dynamic_stack: false
    .vgpr_count:     54
    .vgpr_spill_count: 0
    .wavefront_size: 64
  - .agpr_count:     0
    .args:
      - .offset:         0
        .size:           96
        .value_kind:     by_value
    .group_segment_fixed_size: 0
    .kernarg_segment_align: 8
    .kernarg_segment_size: 96
    .language:       OpenCL C
    .language_version:
      - 2
      - 0
    .max_flat_workgroup_size: 128
    .name:           _ZN7rocprim17ROCPRIM_400000_NS6detail17trampoline_kernelINS0_14default_configENS1_20scan_config_selectorIsEEZZNS1_9scan_implILNS1_25lookback_scan_determinismE0ELb0ELb0ES3_N6thrust23THRUST_200600_302600_NS6detail15normal_iteratorINS9_10device_ptrIsEEEESE_sNS9_4plusIvEEsEEDaPvRmT3_T4_T5_mT6_P12ihipStream_tbENKUlT_T0_E_clISt17integral_constantIbLb0EESU_EEDaSP_SQ_EUlSP_E_NS1_11comp_targetILNS1_3genE3ELNS1_11target_archE908ELNS1_3gpuE7ELNS1_3repE0EEENS1_30default_config_static_selectorELNS0_4arch9wavefront6targetE1EEEvT1_
    .private_segment_fixed_size: 0
    .sgpr_count:     4
    .sgpr_spill_count: 0
    .symbol:         _ZN7rocprim17ROCPRIM_400000_NS6detail17trampoline_kernelINS0_14default_configENS1_20scan_config_selectorIsEEZZNS1_9scan_implILNS1_25lookback_scan_determinismE0ELb0ELb0ES3_N6thrust23THRUST_200600_302600_NS6detail15normal_iteratorINS9_10device_ptrIsEEEESE_sNS9_4plusIvEEsEEDaPvRmT3_T4_T5_mT6_P12ihipStream_tbENKUlT_T0_E_clISt17integral_constantIbLb0EESU_EEDaSP_SQ_EUlSP_E_NS1_11comp_targetILNS1_3genE3ELNS1_11target_archE908ELNS1_3gpuE7ELNS1_3repE0EEENS1_30default_config_static_selectorELNS0_4arch9wavefront6targetE1EEEvT1_.kd
    .uniform_work_group_size: 1
    .uses_dynamic_stack: false
    .vgpr_count:     0
    .vgpr_spill_count: 0
    .wavefront_size: 64
  - .agpr_count:     0
    .args:
      - .offset:         0
        .size:           96
        .value_kind:     by_value
    .group_segment_fixed_size: 0
    .kernarg_segment_align: 8
    .kernarg_segment_size: 96
    .language:       OpenCL C
    .language_version:
      - 2
      - 0
    .max_flat_workgroup_size: 256
    .name:           _ZN7rocprim17ROCPRIM_400000_NS6detail17trampoline_kernelINS0_14default_configENS1_20scan_config_selectorIsEEZZNS1_9scan_implILNS1_25lookback_scan_determinismE0ELb0ELb0ES3_N6thrust23THRUST_200600_302600_NS6detail15normal_iteratorINS9_10device_ptrIsEEEESE_sNS9_4plusIvEEsEEDaPvRmT3_T4_T5_mT6_P12ihipStream_tbENKUlT_T0_E_clISt17integral_constantIbLb0EESU_EEDaSP_SQ_EUlSP_E_NS1_11comp_targetILNS1_3genE2ELNS1_11target_archE906ELNS1_3gpuE6ELNS1_3repE0EEENS1_30default_config_static_selectorELNS0_4arch9wavefront6targetE1EEEvT1_
    .private_segment_fixed_size: 0
    .sgpr_count:     4
    .sgpr_spill_count: 0
    .symbol:         _ZN7rocprim17ROCPRIM_400000_NS6detail17trampoline_kernelINS0_14default_configENS1_20scan_config_selectorIsEEZZNS1_9scan_implILNS1_25lookback_scan_determinismE0ELb0ELb0ES3_N6thrust23THRUST_200600_302600_NS6detail15normal_iteratorINS9_10device_ptrIsEEEESE_sNS9_4plusIvEEsEEDaPvRmT3_T4_T5_mT6_P12ihipStream_tbENKUlT_T0_E_clISt17integral_constantIbLb0EESU_EEDaSP_SQ_EUlSP_E_NS1_11comp_targetILNS1_3genE2ELNS1_11target_archE906ELNS1_3gpuE6ELNS1_3repE0EEENS1_30default_config_static_selectorELNS0_4arch9wavefront6targetE1EEEvT1_.kd
    .uniform_work_group_size: 1
    .uses_dynamic_stack: false
    .vgpr_count:     0
    .vgpr_spill_count: 0
    .wavefront_size: 64
  - .agpr_count:     0
    .args:
      - .offset:         0
        .size:           96
        .value_kind:     by_value
    .group_segment_fixed_size: 0
    .kernarg_segment_align: 8
    .kernarg_segment_size: 96
    .language:       OpenCL C
    .language_version:
      - 2
      - 0
    .max_flat_workgroup_size: 256
    .name:           _ZN7rocprim17ROCPRIM_400000_NS6detail17trampoline_kernelINS0_14default_configENS1_20scan_config_selectorIsEEZZNS1_9scan_implILNS1_25lookback_scan_determinismE0ELb0ELb0ES3_N6thrust23THRUST_200600_302600_NS6detail15normal_iteratorINS9_10device_ptrIsEEEESE_sNS9_4plusIvEEsEEDaPvRmT3_T4_T5_mT6_P12ihipStream_tbENKUlT_T0_E_clISt17integral_constantIbLb0EESU_EEDaSP_SQ_EUlSP_E_NS1_11comp_targetILNS1_3genE10ELNS1_11target_archE1201ELNS1_3gpuE5ELNS1_3repE0EEENS1_30default_config_static_selectorELNS0_4arch9wavefront6targetE1EEEvT1_
    .private_segment_fixed_size: 0
    .sgpr_count:     4
    .sgpr_spill_count: 0
    .symbol:         _ZN7rocprim17ROCPRIM_400000_NS6detail17trampoline_kernelINS0_14default_configENS1_20scan_config_selectorIsEEZZNS1_9scan_implILNS1_25lookback_scan_determinismE0ELb0ELb0ES3_N6thrust23THRUST_200600_302600_NS6detail15normal_iteratorINS9_10device_ptrIsEEEESE_sNS9_4plusIvEEsEEDaPvRmT3_T4_T5_mT6_P12ihipStream_tbENKUlT_T0_E_clISt17integral_constantIbLb0EESU_EEDaSP_SQ_EUlSP_E_NS1_11comp_targetILNS1_3genE10ELNS1_11target_archE1201ELNS1_3gpuE5ELNS1_3repE0EEENS1_30default_config_static_selectorELNS0_4arch9wavefront6targetE1EEEvT1_.kd
    .uniform_work_group_size: 1
    .uses_dynamic_stack: false
    .vgpr_count:     0
    .vgpr_spill_count: 0
    .wavefront_size: 64
  - .agpr_count:     0
    .args:
      - .offset:         0
        .size:           96
        .value_kind:     by_value
    .group_segment_fixed_size: 0
    .kernarg_segment_align: 8
    .kernarg_segment_size: 96
    .language:       OpenCL C
    .language_version:
      - 2
      - 0
    .max_flat_workgroup_size: 256
    .name:           _ZN7rocprim17ROCPRIM_400000_NS6detail17trampoline_kernelINS0_14default_configENS1_20scan_config_selectorIsEEZZNS1_9scan_implILNS1_25lookback_scan_determinismE0ELb0ELb0ES3_N6thrust23THRUST_200600_302600_NS6detail15normal_iteratorINS9_10device_ptrIsEEEESE_sNS9_4plusIvEEsEEDaPvRmT3_T4_T5_mT6_P12ihipStream_tbENKUlT_T0_E_clISt17integral_constantIbLb0EESU_EEDaSP_SQ_EUlSP_E_NS1_11comp_targetILNS1_3genE10ELNS1_11target_archE1200ELNS1_3gpuE4ELNS1_3repE0EEENS1_30default_config_static_selectorELNS0_4arch9wavefront6targetE1EEEvT1_
    .private_segment_fixed_size: 0
    .sgpr_count:     4
    .sgpr_spill_count: 0
    .symbol:         _ZN7rocprim17ROCPRIM_400000_NS6detail17trampoline_kernelINS0_14default_configENS1_20scan_config_selectorIsEEZZNS1_9scan_implILNS1_25lookback_scan_determinismE0ELb0ELb0ES3_N6thrust23THRUST_200600_302600_NS6detail15normal_iteratorINS9_10device_ptrIsEEEESE_sNS9_4plusIvEEsEEDaPvRmT3_T4_T5_mT6_P12ihipStream_tbENKUlT_T0_E_clISt17integral_constantIbLb0EESU_EEDaSP_SQ_EUlSP_E_NS1_11comp_targetILNS1_3genE10ELNS1_11target_archE1200ELNS1_3gpuE4ELNS1_3repE0EEENS1_30default_config_static_selectorELNS0_4arch9wavefront6targetE1EEEvT1_.kd
    .uniform_work_group_size: 1
    .uses_dynamic_stack: false
    .vgpr_count:     0
    .vgpr_spill_count: 0
    .wavefront_size: 64
  - .agpr_count:     0
    .args:
      - .offset:         0
        .size:           96
        .value_kind:     by_value
    .group_segment_fixed_size: 0
    .kernarg_segment_align: 8
    .kernarg_segment_size: 96
    .language:       OpenCL C
    .language_version:
      - 2
      - 0
    .max_flat_workgroup_size: 64
    .name:           _ZN7rocprim17ROCPRIM_400000_NS6detail17trampoline_kernelINS0_14default_configENS1_20scan_config_selectorIsEEZZNS1_9scan_implILNS1_25lookback_scan_determinismE0ELb0ELb0ES3_N6thrust23THRUST_200600_302600_NS6detail15normal_iteratorINS9_10device_ptrIsEEEESE_sNS9_4plusIvEEsEEDaPvRmT3_T4_T5_mT6_P12ihipStream_tbENKUlT_T0_E_clISt17integral_constantIbLb0EESU_EEDaSP_SQ_EUlSP_E_NS1_11comp_targetILNS1_3genE9ELNS1_11target_archE1100ELNS1_3gpuE3ELNS1_3repE0EEENS1_30default_config_static_selectorELNS0_4arch9wavefront6targetE1EEEvT1_
    .private_segment_fixed_size: 0
    .sgpr_count:     4
    .sgpr_spill_count: 0
    .symbol:         _ZN7rocprim17ROCPRIM_400000_NS6detail17trampoline_kernelINS0_14default_configENS1_20scan_config_selectorIsEEZZNS1_9scan_implILNS1_25lookback_scan_determinismE0ELb0ELb0ES3_N6thrust23THRUST_200600_302600_NS6detail15normal_iteratorINS9_10device_ptrIsEEEESE_sNS9_4plusIvEEsEEDaPvRmT3_T4_T5_mT6_P12ihipStream_tbENKUlT_T0_E_clISt17integral_constantIbLb0EESU_EEDaSP_SQ_EUlSP_E_NS1_11comp_targetILNS1_3genE9ELNS1_11target_archE1100ELNS1_3gpuE3ELNS1_3repE0EEENS1_30default_config_static_selectorELNS0_4arch9wavefront6targetE1EEEvT1_.kd
    .uniform_work_group_size: 1
    .uses_dynamic_stack: false
    .vgpr_count:     0
    .vgpr_spill_count: 0
    .wavefront_size: 64
  - .agpr_count:     0
    .args:
      - .offset:         0
        .size:           96
        .value_kind:     by_value
    .group_segment_fixed_size: 0
    .kernarg_segment_align: 8
    .kernarg_segment_size: 96
    .language:       OpenCL C
    .language_version:
      - 2
      - 0
    .max_flat_workgroup_size: 64
    .name:           _ZN7rocprim17ROCPRIM_400000_NS6detail17trampoline_kernelINS0_14default_configENS1_20scan_config_selectorIsEEZZNS1_9scan_implILNS1_25lookback_scan_determinismE0ELb0ELb0ES3_N6thrust23THRUST_200600_302600_NS6detail15normal_iteratorINS9_10device_ptrIsEEEESE_sNS9_4plusIvEEsEEDaPvRmT3_T4_T5_mT6_P12ihipStream_tbENKUlT_T0_E_clISt17integral_constantIbLb0EESU_EEDaSP_SQ_EUlSP_E_NS1_11comp_targetILNS1_3genE8ELNS1_11target_archE1030ELNS1_3gpuE2ELNS1_3repE0EEENS1_30default_config_static_selectorELNS0_4arch9wavefront6targetE1EEEvT1_
    .private_segment_fixed_size: 0
    .sgpr_count:     4
    .sgpr_spill_count: 0
    .symbol:         _ZN7rocprim17ROCPRIM_400000_NS6detail17trampoline_kernelINS0_14default_configENS1_20scan_config_selectorIsEEZZNS1_9scan_implILNS1_25lookback_scan_determinismE0ELb0ELb0ES3_N6thrust23THRUST_200600_302600_NS6detail15normal_iteratorINS9_10device_ptrIsEEEESE_sNS9_4plusIvEEsEEDaPvRmT3_T4_T5_mT6_P12ihipStream_tbENKUlT_T0_E_clISt17integral_constantIbLb0EESU_EEDaSP_SQ_EUlSP_E_NS1_11comp_targetILNS1_3genE8ELNS1_11target_archE1030ELNS1_3gpuE2ELNS1_3repE0EEENS1_30default_config_static_selectorELNS0_4arch9wavefront6targetE1EEEvT1_.kd
    .uniform_work_group_size: 1
    .uses_dynamic_stack: false
    .vgpr_count:     0
    .vgpr_spill_count: 0
    .wavefront_size: 64
  - .agpr_count:     0
    .args:
      - .offset:         0
        .size:           40
        .value_kind:     by_value
    .group_segment_fixed_size: 0
    .kernarg_segment_align: 8
    .kernarg_segment_size: 40
    .language:       OpenCL C
    .language_version:
      - 2
      - 0
    .max_flat_workgroup_size: 128
    .name:           _ZN7rocprim17ROCPRIM_400000_NS6detail17trampoline_kernelINS0_14default_configENS1_25transform_config_selectorIsLb1EEEZNS1_14transform_implILb1ES3_S5_PsS7_NS0_8identityIsEEEE10hipError_tT2_T3_mT4_P12ihipStream_tbEUlT_E_NS1_11comp_targetILNS1_3genE0ELNS1_11target_archE4294967295ELNS1_3gpuE0ELNS1_3repE0EEENS1_30default_config_static_selectorELNS0_4arch9wavefront6targetE1EEEvT1_
    .private_segment_fixed_size: 0
    .sgpr_count:     4
    .sgpr_spill_count: 0
    .symbol:         _ZN7rocprim17ROCPRIM_400000_NS6detail17trampoline_kernelINS0_14default_configENS1_25transform_config_selectorIsLb1EEEZNS1_14transform_implILb1ES3_S5_PsS7_NS0_8identityIsEEEE10hipError_tT2_T3_mT4_P12ihipStream_tbEUlT_E_NS1_11comp_targetILNS1_3genE0ELNS1_11target_archE4294967295ELNS1_3gpuE0ELNS1_3repE0EEENS1_30default_config_static_selectorELNS0_4arch9wavefront6targetE1EEEvT1_.kd
    .uniform_work_group_size: 1
    .uses_dynamic_stack: false
    .vgpr_count:     0
    .vgpr_spill_count: 0
    .wavefront_size: 64
  - .agpr_count:     0
    .args:
      - .offset:         0
        .size:           40
        .value_kind:     by_value
    .group_segment_fixed_size: 0
    .kernarg_segment_align: 8
    .kernarg_segment_size: 40
    .language:       OpenCL C
    .language_version:
      - 2
      - 0
    .max_flat_workgroup_size: 64
    .name:           _ZN7rocprim17ROCPRIM_400000_NS6detail17trampoline_kernelINS0_14default_configENS1_25transform_config_selectorIsLb1EEEZNS1_14transform_implILb1ES3_S5_PsS7_NS0_8identityIsEEEE10hipError_tT2_T3_mT4_P12ihipStream_tbEUlT_E_NS1_11comp_targetILNS1_3genE10ELNS1_11target_archE1201ELNS1_3gpuE5ELNS1_3repE0EEENS1_30default_config_static_selectorELNS0_4arch9wavefront6targetE1EEEvT1_
    .private_segment_fixed_size: 0
    .sgpr_count:     4
    .sgpr_spill_count: 0
    .symbol:         _ZN7rocprim17ROCPRIM_400000_NS6detail17trampoline_kernelINS0_14default_configENS1_25transform_config_selectorIsLb1EEEZNS1_14transform_implILb1ES3_S5_PsS7_NS0_8identityIsEEEE10hipError_tT2_T3_mT4_P12ihipStream_tbEUlT_E_NS1_11comp_targetILNS1_3genE10ELNS1_11target_archE1201ELNS1_3gpuE5ELNS1_3repE0EEENS1_30default_config_static_selectorELNS0_4arch9wavefront6targetE1EEEvT1_.kd
    .uniform_work_group_size: 1
    .uses_dynamic_stack: false
    .vgpr_count:     0
    .vgpr_spill_count: 0
    .wavefront_size: 64
  - .agpr_count:     0
    .args:
      - .offset:         0
        .size:           40
        .value_kind:     by_value
    .group_segment_fixed_size: 0
    .kernarg_segment_align: 8
    .kernarg_segment_size: 40
    .language:       OpenCL C
    .language_version:
      - 2
      - 0
    .max_flat_workgroup_size: 256
    .name:           _ZN7rocprim17ROCPRIM_400000_NS6detail17trampoline_kernelINS0_14default_configENS1_25transform_config_selectorIsLb1EEEZNS1_14transform_implILb1ES3_S5_PsS7_NS0_8identityIsEEEE10hipError_tT2_T3_mT4_P12ihipStream_tbEUlT_E_NS1_11comp_targetILNS1_3genE5ELNS1_11target_archE942ELNS1_3gpuE9ELNS1_3repE0EEENS1_30default_config_static_selectorELNS0_4arch9wavefront6targetE1EEEvT1_
    .private_segment_fixed_size: 0
    .sgpr_count:     4
    .sgpr_spill_count: 0
    .symbol:         _ZN7rocprim17ROCPRIM_400000_NS6detail17trampoline_kernelINS0_14default_configENS1_25transform_config_selectorIsLb1EEEZNS1_14transform_implILb1ES3_S5_PsS7_NS0_8identityIsEEEE10hipError_tT2_T3_mT4_P12ihipStream_tbEUlT_E_NS1_11comp_targetILNS1_3genE5ELNS1_11target_archE942ELNS1_3gpuE9ELNS1_3repE0EEENS1_30default_config_static_selectorELNS0_4arch9wavefront6targetE1EEEvT1_.kd
    .uniform_work_group_size: 1
    .uses_dynamic_stack: false
    .vgpr_count:     0
    .vgpr_spill_count: 0
    .wavefront_size: 64
  - .agpr_count:     0
    .args:
      - .offset:         0
        .size:           40
        .value_kind:     by_value
      - .offset:         40
        .size:           4
        .value_kind:     hidden_block_count_x
      - .offset:         44
        .size:           4
        .value_kind:     hidden_block_count_y
      - .offset:         48
        .size:           4
        .value_kind:     hidden_block_count_z
      - .offset:         52
        .size:           2
        .value_kind:     hidden_group_size_x
      - .offset:         54
        .size:           2
        .value_kind:     hidden_group_size_y
      - .offset:         56
        .size:           2
        .value_kind:     hidden_group_size_z
      - .offset:         58
        .size:           2
        .value_kind:     hidden_remainder_x
      - .offset:         60
        .size:           2
        .value_kind:     hidden_remainder_y
      - .offset:         62
        .size:           2
        .value_kind:     hidden_remainder_z
      - .offset:         80
        .size:           8
        .value_kind:     hidden_global_offset_x
      - .offset:         88
        .size:           8
        .value_kind:     hidden_global_offset_y
      - .offset:         96
        .size:           8
        .value_kind:     hidden_global_offset_z
      - .offset:         104
        .size:           2
        .value_kind:     hidden_grid_dims
    .group_segment_fixed_size: 0
    .kernarg_segment_align: 8
    .kernarg_segment_size: 296
    .language:       OpenCL C
    .language_version:
      - 2
      - 0
    .max_flat_workgroup_size: 1024
    .name:           _ZN7rocprim17ROCPRIM_400000_NS6detail17trampoline_kernelINS0_14default_configENS1_25transform_config_selectorIsLb1EEEZNS1_14transform_implILb1ES3_S5_PsS7_NS0_8identityIsEEEE10hipError_tT2_T3_mT4_P12ihipStream_tbEUlT_E_NS1_11comp_targetILNS1_3genE4ELNS1_11target_archE910ELNS1_3gpuE8ELNS1_3repE0EEENS1_30default_config_static_selectorELNS0_4arch9wavefront6targetE1EEEvT1_
    .private_segment_fixed_size: 0
    .sgpr_count:     26
    .sgpr_spill_count: 0
    .symbol:         _ZN7rocprim17ROCPRIM_400000_NS6detail17trampoline_kernelINS0_14default_configENS1_25transform_config_selectorIsLb1EEEZNS1_14transform_implILb1ES3_S5_PsS7_NS0_8identityIsEEEE10hipError_tT2_T3_mT4_P12ihipStream_tbEUlT_E_NS1_11comp_targetILNS1_3genE4ELNS1_11target_archE910ELNS1_3gpuE8ELNS1_3repE0EEENS1_30default_config_static_selectorELNS0_4arch9wavefront6targetE1EEEvT1_.kd
    .uniform_work_group_size: 1
    .uses_dynamic_stack: false
    .vgpr_count:     8
    .vgpr_spill_count: 0
    .wavefront_size: 64
  - .agpr_count:     0
    .args:
      - .offset:         0
        .size:           40
        .value_kind:     by_value
    .group_segment_fixed_size: 0
    .kernarg_segment_align: 8
    .kernarg_segment_size: 40
    .language:       OpenCL C
    .language_version:
      - 2
      - 0
    .max_flat_workgroup_size: 128
    .name:           _ZN7rocprim17ROCPRIM_400000_NS6detail17trampoline_kernelINS0_14default_configENS1_25transform_config_selectorIsLb1EEEZNS1_14transform_implILb1ES3_S5_PsS7_NS0_8identityIsEEEE10hipError_tT2_T3_mT4_P12ihipStream_tbEUlT_E_NS1_11comp_targetILNS1_3genE3ELNS1_11target_archE908ELNS1_3gpuE7ELNS1_3repE0EEENS1_30default_config_static_selectorELNS0_4arch9wavefront6targetE1EEEvT1_
    .private_segment_fixed_size: 0
    .sgpr_count:     4
    .sgpr_spill_count: 0
    .symbol:         _ZN7rocprim17ROCPRIM_400000_NS6detail17trampoline_kernelINS0_14default_configENS1_25transform_config_selectorIsLb1EEEZNS1_14transform_implILb1ES3_S5_PsS7_NS0_8identityIsEEEE10hipError_tT2_T3_mT4_P12ihipStream_tbEUlT_E_NS1_11comp_targetILNS1_3genE3ELNS1_11target_archE908ELNS1_3gpuE7ELNS1_3repE0EEENS1_30default_config_static_selectorELNS0_4arch9wavefront6targetE1EEEvT1_.kd
    .uniform_work_group_size: 1
    .uses_dynamic_stack: false
    .vgpr_count:     0
    .vgpr_spill_count: 0
    .wavefront_size: 64
  - .agpr_count:     0
    .args:
      - .offset:         0
        .size:           40
        .value_kind:     by_value
    .group_segment_fixed_size: 0
    .kernarg_segment_align: 8
    .kernarg_segment_size: 40
    .language:       OpenCL C
    .language_version:
      - 2
      - 0
    .max_flat_workgroup_size: 1024
    .name:           _ZN7rocprim17ROCPRIM_400000_NS6detail17trampoline_kernelINS0_14default_configENS1_25transform_config_selectorIsLb1EEEZNS1_14transform_implILb1ES3_S5_PsS7_NS0_8identityIsEEEE10hipError_tT2_T3_mT4_P12ihipStream_tbEUlT_E_NS1_11comp_targetILNS1_3genE2ELNS1_11target_archE906ELNS1_3gpuE6ELNS1_3repE0EEENS1_30default_config_static_selectorELNS0_4arch9wavefront6targetE1EEEvT1_
    .private_segment_fixed_size: 0
    .sgpr_count:     4
    .sgpr_spill_count: 0
    .symbol:         _ZN7rocprim17ROCPRIM_400000_NS6detail17trampoline_kernelINS0_14default_configENS1_25transform_config_selectorIsLb1EEEZNS1_14transform_implILb1ES3_S5_PsS7_NS0_8identityIsEEEE10hipError_tT2_T3_mT4_P12ihipStream_tbEUlT_E_NS1_11comp_targetILNS1_3genE2ELNS1_11target_archE906ELNS1_3gpuE6ELNS1_3repE0EEENS1_30default_config_static_selectorELNS0_4arch9wavefront6targetE1EEEvT1_.kd
    .uniform_work_group_size: 1
    .uses_dynamic_stack: false
    .vgpr_count:     0
    .vgpr_spill_count: 0
    .wavefront_size: 64
  - .agpr_count:     0
    .args:
      - .offset:         0
        .size:           40
        .value_kind:     by_value
    .group_segment_fixed_size: 0
    .kernarg_segment_align: 8
    .kernarg_segment_size: 40
    .language:       OpenCL C
    .language_version:
      - 2
      - 0
    .max_flat_workgroup_size: 1024
    .name:           _ZN7rocprim17ROCPRIM_400000_NS6detail17trampoline_kernelINS0_14default_configENS1_25transform_config_selectorIsLb1EEEZNS1_14transform_implILb1ES3_S5_PsS7_NS0_8identityIsEEEE10hipError_tT2_T3_mT4_P12ihipStream_tbEUlT_E_NS1_11comp_targetILNS1_3genE9ELNS1_11target_archE1100ELNS1_3gpuE3ELNS1_3repE0EEENS1_30default_config_static_selectorELNS0_4arch9wavefront6targetE1EEEvT1_
    .private_segment_fixed_size: 0
    .sgpr_count:     4
    .sgpr_spill_count: 0
    .symbol:         _ZN7rocprim17ROCPRIM_400000_NS6detail17trampoline_kernelINS0_14default_configENS1_25transform_config_selectorIsLb1EEEZNS1_14transform_implILb1ES3_S5_PsS7_NS0_8identityIsEEEE10hipError_tT2_T3_mT4_P12ihipStream_tbEUlT_E_NS1_11comp_targetILNS1_3genE9ELNS1_11target_archE1100ELNS1_3gpuE3ELNS1_3repE0EEENS1_30default_config_static_selectorELNS0_4arch9wavefront6targetE1EEEvT1_.kd
    .uniform_work_group_size: 1
    .uses_dynamic_stack: false
    .vgpr_count:     0
    .vgpr_spill_count: 0
    .wavefront_size: 64
  - .agpr_count:     0
    .args:
      - .offset:         0
        .size:           40
        .value_kind:     by_value
    .group_segment_fixed_size: 0
    .kernarg_segment_align: 8
    .kernarg_segment_size: 40
    .language:       OpenCL C
    .language_version:
      - 2
      - 0
    .max_flat_workgroup_size: 1024
    .name:           _ZN7rocprim17ROCPRIM_400000_NS6detail17trampoline_kernelINS0_14default_configENS1_25transform_config_selectorIsLb1EEEZNS1_14transform_implILb1ES3_S5_PsS7_NS0_8identityIsEEEE10hipError_tT2_T3_mT4_P12ihipStream_tbEUlT_E_NS1_11comp_targetILNS1_3genE8ELNS1_11target_archE1030ELNS1_3gpuE2ELNS1_3repE0EEENS1_30default_config_static_selectorELNS0_4arch9wavefront6targetE1EEEvT1_
    .private_segment_fixed_size: 0
    .sgpr_count:     4
    .sgpr_spill_count: 0
    .symbol:         _ZN7rocprim17ROCPRIM_400000_NS6detail17trampoline_kernelINS0_14default_configENS1_25transform_config_selectorIsLb1EEEZNS1_14transform_implILb1ES3_S5_PsS7_NS0_8identityIsEEEE10hipError_tT2_T3_mT4_P12ihipStream_tbEUlT_E_NS1_11comp_targetILNS1_3genE8ELNS1_11target_archE1030ELNS1_3gpuE2ELNS1_3repE0EEENS1_30default_config_static_selectorELNS0_4arch9wavefront6targetE1EEEvT1_.kd
    .uniform_work_group_size: 1
    .uses_dynamic_stack: false
    .vgpr_count:     0
    .vgpr_spill_count: 0
    .wavefront_size: 64
  - .agpr_count:     0
    .args:
      - .offset:         0
        .size:           32
        .value_kind:     by_value
    .group_segment_fixed_size: 0
    .kernarg_segment_align: 8
    .kernarg_segment_size: 32
    .language:       OpenCL C
    .language_version:
      - 2
      - 0
    .max_flat_workgroup_size: 128
    .name:           _ZN7rocprim17ROCPRIM_400000_NS6detail17trampoline_kernelINS0_14default_configENS1_20scan_config_selectorIsEEZZNS1_9scan_implILNS1_25lookback_scan_determinismE0ELb0ELb0ES3_N6thrust23THRUST_200600_302600_NS6detail15normal_iteratorINS9_10device_ptrIsEEEESE_sNS9_4plusIvEEsEEDaPvRmT3_T4_T5_mT6_P12ihipStream_tbENKUlT_T0_E_clISt17integral_constantIbLb0EESU_EEDaSP_SQ_EUlSP_E0_NS1_11comp_targetILNS1_3genE0ELNS1_11target_archE4294967295ELNS1_3gpuE0ELNS1_3repE0EEENS1_30default_config_static_selectorELNS0_4arch9wavefront6targetE1EEEvT1_
    .private_segment_fixed_size: 0
    .sgpr_count:     4
    .sgpr_spill_count: 0
    .symbol:         _ZN7rocprim17ROCPRIM_400000_NS6detail17trampoline_kernelINS0_14default_configENS1_20scan_config_selectorIsEEZZNS1_9scan_implILNS1_25lookback_scan_determinismE0ELb0ELb0ES3_N6thrust23THRUST_200600_302600_NS6detail15normal_iteratorINS9_10device_ptrIsEEEESE_sNS9_4plusIvEEsEEDaPvRmT3_T4_T5_mT6_P12ihipStream_tbENKUlT_T0_E_clISt17integral_constantIbLb0EESU_EEDaSP_SQ_EUlSP_E0_NS1_11comp_targetILNS1_3genE0ELNS1_11target_archE4294967295ELNS1_3gpuE0ELNS1_3repE0EEENS1_30default_config_static_selectorELNS0_4arch9wavefront6targetE1EEEvT1_.kd
    .uniform_work_group_size: 1
    .uses_dynamic_stack: false
    .vgpr_count:     0
    .vgpr_spill_count: 0
    .wavefront_size: 64
  - .agpr_count:     0
    .args:
      - .offset:         0
        .size:           32
        .value_kind:     by_value
    .group_segment_fixed_size: 0
    .kernarg_segment_align: 8
    .kernarg_segment_size: 32
    .language:       OpenCL C
    .language_version:
      - 2
      - 0
    .max_flat_workgroup_size: 256
    .name:           _ZN7rocprim17ROCPRIM_400000_NS6detail17trampoline_kernelINS0_14default_configENS1_20scan_config_selectorIsEEZZNS1_9scan_implILNS1_25lookback_scan_determinismE0ELb0ELb0ES3_N6thrust23THRUST_200600_302600_NS6detail15normal_iteratorINS9_10device_ptrIsEEEESE_sNS9_4plusIvEEsEEDaPvRmT3_T4_T5_mT6_P12ihipStream_tbENKUlT_T0_E_clISt17integral_constantIbLb0EESU_EEDaSP_SQ_EUlSP_E0_NS1_11comp_targetILNS1_3genE5ELNS1_11target_archE942ELNS1_3gpuE9ELNS1_3repE0EEENS1_30default_config_static_selectorELNS0_4arch9wavefront6targetE1EEEvT1_
    .private_segment_fixed_size: 0
    .sgpr_count:     4
    .sgpr_spill_count: 0
    .symbol:         _ZN7rocprim17ROCPRIM_400000_NS6detail17trampoline_kernelINS0_14default_configENS1_20scan_config_selectorIsEEZZNS1_9scan_implILNS1_25lookback_scan_determinismE0ELb0ELb0ES3_N6thrust23THRUST_200600_302600_NS6detail15normal_iteratorINS9_10device_ptrIsEEEESE_sNS9_4plusIvEEsEEDaPvRmT3_T4_T5_mT6_P12ihipStream_tbENKUlT_T0_E_clISt17integral_constantIbLb0EESU_EEDaSP_SQ_EUlSP_E0_NS1_11comp_targetILNS1_3genE5ELNS1_11target_archE942ELNS1_3gpuE9ELNS1_3repE0EEENS1_30default_config_static_selectorELNS0_4arch9wavefront6targetE1EEEvT1_.kd
    .uniform_work_group_size: 1
    .uses_dynamic_stack: false
    .vgpr_count:     0
    .vgpr_spill_count: 0
    .wavefront_size: 64
  - .agpr_count:     0
    .args:
      - .offset:         0
        .size:           32
        .value_kind:     by_value
    .group_segment_fixed_size: 3072
    .kernarg_segment_align: 8
    .kernarg_segment_size: 32
    .language:       OpenCL C
    .language_version:
      - 2
      - 0
    .max_flat_workgroup_size: 64
    .name:           _ZN7rocprim17ROCPRIM_400000_NS6detail17trampoline_kernelINS0_14default_configENS1_20scan_config_selectorIsEEZZNS1_9scan_implILNS1_25lookback_scan_determinismE0ELb0ELb0ES3_N6thrust23THRUST_200600_302600_NS6detail15normal_iteratorINS9_10device_ptrIsEEEESE_sNS9_4plusIvEEsEEDaPvRmT3_T4_T5_mT6_P12ihipStream_tbENKUlT_T0_E_clISt17integral_constantIbLb0EESU_EEDaSP_SQ_EUlSP_E0_NS1_11comp_targetILNS1_3genE4ELNS1_11target_archE910ELNS1_3gpuE8ELNS1_3repE0EEENS1_30default_config_static_selectorELNS0_4arch9wavefront6targetE1EEEvT1_
    .private_segment_fixed_size: 0
    .sgpr_count:     60
    .sgpr_spill_count: 0
    .symbol:         _ZN7rocprim17ROCPRIM_400000_NS6detail17trampoline_kernelINS0_14default_configENS1_20scan_config_selectorIsEEZZNS1_9scan_implILNS1_25lookback_scan_determinismE0ELb0ELb0ES3_N6thrust23THRUST_200600_302600_NS6detail15normal_iteratorINS9_10device_ptrIsEEEESE_sNS9_4plusIvEEsEEDaPvRmT3_T4_T5_mT6_P12ihipStream_tbENKUlT_T0_E_clISt17integral_constantIbLb0EESU_EEDaSP_SQ_EUlSP_E0_NS1_11comp_targetILNS1_3genE4ELNS1_11target_archE910ELNS1_3gpuE8ELNS1_3repE0EEENS1_30default_config_static_selectorELNS0_4arch9wavefront6targetE1EEEvT1_.kd
    .uniform_work_group_size: 1
    .uses_dynamic_stack: false
    .vgpr_count:     42
    .vgpr_spill_count: 0
    .wavefront_size: 64
  - .agpr_count:     0
    .args:
      - .offset:         0
        .size:           32
        .value_kind:     by_value
    .group_segment_fixed_size: 0
    .kernarg_segment_align: 8
    .kernarg_segment_size: 32
    .language:       OpenCL C
    .language_version:
      - 2
      - 0
    .max_flat_workgroup_size: 128
    .name:           _ZN7rocprim17ROCPRIM_400000_NS6detail17trampoline_kernelINS0_14default_configENS1_20scan_config_selectorIsEEZZNS1_9scan_implILNS1_25lookback_scan_determinismE0ELb0ELb0ES3_N6thrust23THRUST_200600_302600_NS6detail15normal_iteratorINS9_10device_ptrIsEEEESE_sNS9_4plusIvEEsEEDaPvRmT3_T4_T5_mT6_P12ihipStream_tbENKUlT_T0_E_clISt17integral_constantIbLb0EESU_EEDaSP_SQ_EUlSP_E0_NS1_11comp_targetILNS1_3genE3ELNS1_11target_archE908ELNS1_3gpuE7ELNS1_3repE0EEENS1_30default_config_static_selectorELNS0_4arch9wavefront6targetE1EEEvT1_
    .private_segment_fixed_size: 0
    .sgpr_count:     4
    .sgpr_spill_count: 0
    .symbol:         _ZN7rocprim17ROCPRIM_400000_NS6detail17trampoline_kernelINS0_14default_configENS1_20scan_config_selectorIsEEZZNS1_9scan_implILNS1_25lookback_scan_determinismE0ELb0ELb0ES3_N6thrust23THRUST_200600_302600_NS6detail15normal_iteratorINS9_10device_ptrIsEEEESE_sNS9_4plusIvEEsEEDaPvRmT3_T4_T5_mT6_P12ihipStream_tbENKUlT_T0_E_clISt17integral_constantIbLb0EESU_EEDaSP_SQ_EUlSP_E0_NS1_11comp_targetILNS1_3genE3ELNS1_11target_archE908ELNS1_3gpuE7ELNS1_3repE0EEENS1_30default_config_static_selectorELNS0_4arch9wavefront6targetE1EEEvT1_.kd
    .uniform_work_group_size: 1
    .uses_dynamic_stack: false
    .vgpr_count:     0
    .vgpr_spill_count: 0
    .wavefront_size: 64
  - .agpr_count:     0
    .args:
      - .offset:         0
        .size:           32
        .value_kind:     by_value
    .group_segment_fixed_size: 0
    .kernarg_segment_align: 8
    .kernarg_segment_size: 32
    .language:       OpenCL C
    .language_version:
      - 2
      - 0
    .max_flat_workgroup_size: 256
    .name:           _ZN7rocprim17ROCPRIM_400000_NS6detail17trampoline_kernelINS0_14default_configENS1_20scan_config_selectorIsEEZZNS1_9scan_implILNS1_25lookback_scan_determinismE0ELb0ELb0ES3_N6thrust23THRUST_200600_302600_NS6detail15normal_iteratorINS9_10device_ptrIsEEEESE_sNS9_4plusIvEEsEEDaPvRmT3_T4_T5_mT6_P12ihipStream_tbENKUlT_T0_E_clISt17integral_constantIbLb0EESU_EEDaSP_SQ_EUlSP_E0_NS1_11comp_targetILNS1_3genE2ELNS1_11target_archE906ELNS1_3gpuE6ELNS1_3repE0EEENS1_30default_config_static_selectorELNS0_4arch9wavefront6targetE1EEEvT1_
    .private_segment_fixed_size: 0
    .sgpr_count:     4
    .sgpr_spill_count: 0
    .symbol:         _ZN7rocprim17ROCPRIM_400000_NS6detail17trampoline_kernelINS0_14default_configENS1_20scan_config_selectorIsEEZZNS1_9scan_implILNS1_25lookback_scan_determinismE0ELb0ELb0ES3_N6thrust23THRUST_200600_302600_NS6detail15normal_iteratorINS9_10device_ptrIsEEEESE_sNS9_4plusIvEEsEEDaPvRmT3_T4_T5_mT6_P12ihipStream_tbENKUlT_T0_E_clISt17integral_constantIbLb0EESU_EEDaSP_SQ_EUlSP_E0_NS1_11comp_targetILNS1_3genE2ELNS1_11target_archE906ELNS1_3gpuE6ELNS1_3repE0EEENS1_30default_config_static_selectorELNS0_4arch9wavefront6targetE1EEEvT1_.kd
    .uniform_work_group_size: 1
    .uses_dynamic_stack: false
    .vgpr_count:     0
    .vgpr_spill_count: 0
    .wavefront_size: 64
  - .agpr_count:     0
    .args:
      - .offset:         0
        .size:           32
        .value_kind:     by_value
    .group_segment_fixed_size: 0
    .kernarg_segment_align: 8
    .kernarg_segment_size: 32
    .language:       OpenCL C
    .language_version:
      - 2
      - 0
    .max_flat_workgroup_size: 256
    .name:           _ZN7rocprim17ROCPRIM_400000_NS6detail17trampoline_kernelINS0_14default_configENS1_20scan_config_selectorIsEEZZNS1_9scan_implILNS1_25lookback_scan_determinismE0ELb0ELb0ES3_N6thrust23THRUST_200600_302600_NS6detail15normal_iteratorINS9_10device_ptrIsEEEESE_sNS9_4plusIvEEsEEDaPvRmT3_T4_T5_mT6_P12ihipStream_tbENKUlT_T0_E_clISt17integral_constantIbLb0EESU_EEDaSP_SQ_EUlSP_E0_NS1_11comp_targetILNS1_3genE10ELNS1_11target_archE1201ELNS1_3gpuE5ELNS1_3repE0EEENS1_30default_config_static_selectorELNS0_4arch9wavefront6targetE1EEEvT1_
    .private_segment_fixed_size: 0
    .sgpr_count:     4
    .sgpr_spill_count: 0
    .symbol:         _ZN7rocprim17ROCPRIM_400000_NS6detail17trampoline_kernelINS0_14default_configENS1_20scan_config_selectorIsEEZZNS1_9scan_implILNS1_25lookback_scan_determinismE0ELb0ELb0ES3_N6thrust23THRUST_200600_302600_NS6detail15normal_iteratorINS9_10device_ptrIsEEEESE_sNS9_4plusIvEEsEEDaPvRmT3_T4_T5_mT6_P12ihipStream_tbENKUlT_T0_E_clISt17integral_constantIbLb0EESU_EEDaSP_SQ_EUlSP_E0_NS1_11comp_targetILNS1_3genE10ELNS1_11target_archE1201ELNS1_3gpuE5ELNS1_3repE0EEENS1_30default_config_static_selectorELNS0_4arch9wavefront6targetE1EEEvT1_.kd
    .uniform_work_group_size: 1
    .uses_dynamic_stack: false
    .vgpr_count:     0
    .vgpr_spill_count: 0
    .wavefront_size: 64
  - .agpr_count:     0
    .args:
      - .offset:         0
        .size:           32
        .value_kind:     by_value
    .group_segment_fixed_size: 0
    .kernarg_segment_align: 8
    .kernarg_segment_size: 32
    .language:       OpenCL C
    .language_version:
      - 2
      - 0
    .max_flat_workgroup_size: 256
    .name:           _ZN7rocprim17ROCPRIM_400000_NS6detail17trampoline_kernelINS0_14default_configENS1_20scan_config_selectorIsEEZZNS1_9scan_implILNS1_25lookback_scan_determinismE0ELb0ELb0ES3_N6thrust23THRUST_200600_302600_NS6detail15normal_iteratorINS9_10device_ptrIsEEEESE_sNS9_4plusIvEEsEEDaPvRmT3_T4_T5_mT6_P12ihipStream_tbENKUlT_T0_E_clISt17integral_constantIbLb0EESU_EEDaSP_SQ_EUlSP_E0_NS1_11comp_targetILNS1_3genE10ELNS1_11target_archE1200ELNS1_3gpuE4ELNS1_3repE0EEENS1_30default_config_static_selectorELNS0_4arch9wavefront6targetE1EEEvT1_
    .private_segment_fixed_size: 0
    .sgpr_count:     4
    .sgpr_spill_count: 0
    .symbol:         _ZN7rocprim17ROCPRIM_400000_NS6detail17trampoline_kernelINS0_14default_configENS1_20scan_config_selectorIsEEZZNS1_9scan_implILNS1_25lookback_scan_determinismE0ELb0ELb0ES3_N6thrust23THRUST_200600_302600_NS6detail15normal_iteratorINS9_10device_ptrIsEEEESE_sNS9_4plusIvEEsEEDaPvRmT3_T4_T5_mT6_P12ihipStream_tbENKUlT_T0_E_clISt17integral_constantIbLb0EESU_EEDaSP_SQ_EUlSP_E0_NS1_11comp_targetILNS1_3genE10ELNS1_11target_archE1200ELNS1_3gpuE4ELNS1_3repE0EEENS1_30default_config_static_selectorELNS0_4arch9wavefront6targetE1EEEvT1_.kd
    .uniform_work_group_size: 1
    .uses_dynamic_stack: false
    .vgpr_count:     0
    .vgpr_spill_count: 0
    .wavefront_size: 64
  - .agpr_count:     0
    .args:
      - .offset:         0
        .size:           32
        .value_kind:     by_value
    .group_segment_fixed_size: 0
    .kernarg_segment_align: 8
    .kernarg_segment_size: 32
    .language:       OpenCL C
    .language_version:
      - 2
      - 0
    .max_flat_workgroup_size: 64
    .name:           _ZN7rocprim17ROCPRIM_400000_NS6detail17trampoline_kernelINS0_14default_configENS1_20scan_config_selectorIsEEZZNS1_9scan_implILNS1_25lookback_scan_determinismE0ELb0ELb0ES3_N6thrust23THRUST_200600_302600_NS6detail15normal_iteratorINS9_10device_ptrIsEEEESE_sNS9_4plusIvEEsEEDaPvRmT3_T4_T5_mT6_P12ihipStream_tbENKUlT_T0_E_clISt17integral_constantIbLb0EESU_EEDaSP_SQ_EUlSP_E0_NS1_11comp_targetILNS1_3genE9ELNS1_11target_archE1100ELNS1_3gpuE3ELNS1_3repE0EEENS1_30default_config_static_selectorELNS0_4arch9wavefront6targetE1EEEvT1_
    .private_segment_fixed_size: 0
    .sgpr_count:     4
    .sgpr_spill_count: 0
    .symbol:         _ZN7rocprim17ROCPRIM_400000_NS6detail17trampoline_kernelINS0_14default_configENS1_20scan_config_selectorIsEEZZNS1_9scan_implILNS1_25lookback_scan_determinismE0ELb0ELb0ES3_N6thrust23THRUST_200600_302600_NS6detail15normal_iteratorINS9_10device_ptrIsEEEESE_sNS9_4plusIvEEsEEDaPvRmT3_T4_T5_mT6_P12ihipStream_tbENKUlT_T0_E_clISt17integral_constantIbLb0EESU_EEDaSP_SQ_EUlSP_E0_NS1_11comp_targetILNS1_3genE9ELNS1_11target_archE1100ELNS1_3gpuE3ELNS1_3repE0EEENS1_30default_config_static_selectorELNS0_4arch9wavefront6targetE1EEEvT1_.kd
    .uniform_work_group_size: 1
    .uses_dynamic_stack: false
    .vgpr_count:     0
    .vgpr_spill_count: 0
    .wavefront_size: 64
  - .agpr_count:     0
    .args:
      - .offset:         0
        .size:           32
        .value_kind:     by_value
    .group_segment_fixed_size: 0
    .kernarg_segment_align: 8
    .kernarg_segment_size: 32
    .language:       OpenCL C
    .language_version:
      - 2
      - 0
    .max_flat_workgroup_size: 64
    .name:           _ZN7rocprim17ROCPRIM_400000_NS6detail17trampoline_kernelINS0_14default_configENS1_20scan_config_selectorIsEEZZNS1_9scan_implILNS1_25lookback_scan_determinismE0ELb0ELb0ES3_N6thrust23THRUST_200600_302600_NS6detail15normal_iteratorINS9_10device_ptrIsEEEESE_sNS9_4plusIvEEsEEDaPvRmT3_T4_T5_mT6_P12ihipStream_tbENKUlT_T0_E_clISt17integral_constantIbLb0EESU_EEDaSP_SQ_EUlSP_E0_NS1_11comp_targetILNS1_3genE8ELNS1_11target_archE1030ELNS1_3gpuE2ELNS1_3repE0EEENS1_30default_config_static_selectorELNS0_4arch9wavefront6targetE1EEEvT1_
    .private_segment_fixed_size: 0
    .sgpr_count:     4
    .sgpr_spill_count: 0
    .symbol:         _ZN7rocprim17ROCPRIM_400000_NS6detail17trampoline_kernelINS0_14default_configENS1_20scan_config_selectorIsEEZZNS1_9scan_implILNS1_25lookback_scan_determinismE0ELb0ELb0ES3_N6thrust23THRUST_200600_302600_NS6detail15normal_iteratorINS9_10device_ptrIsEEEESE_sNS9_4plusIvEEsEEDaPvRmT3_T4_T5_mT6_P12ihipStream_tbENKUlT_T0_E_clISt17integral_constantIbLb0EESU_EEDaSP_SQ_EUlSP_E0_NS1_11comp_targetILNS1_3genE8ELNS1_11target_archE1030ELNS1_3gpuE2ELNS1_3repE0EEENS1_30default_config_static_selectorELNS0_4arch9wavefront6targetE1EEEvT1_.kd
    .uniform_work_group_size: 1
    .uses_dynamic_stack: false
    .vgpr_count:     0
    .vgpr_spill_count: 0
    .wavefront_size: 64
  - .agpr_count:     0
    .args:
      - .address_space:  global
        .offset:         0
        .size:           8
        .value_kind:     global_buffer
      - .offset:         8
        .size:           4
        .value_kind:     by_value
      - .address_space:  global
        .offset:         16
        .size:           8
        .value_kind:     global_buffer
      - .offset:         24
        .size:           4
        .value_kind:     by_value
      - .address_space:  global
        .offset:         32
        .size:           8
        .value_kind:     global_buffer
      - .offset:         40
        .size:           4
        .value_kind:     hidden_block_count_x
      - .offset:         44
        .size:           4
        .value_kind:     hidden_block_count_y
      - .offset:         48
        .size:           4
        .value_kind:     hidden_block_count_z
      - .offset:         52
        .size:           2
        .value_kind:     hidden_group_size_x
      - .offset:         54
        .size:           2
        .value_kind:     hidden_group_size_y
      - .offset:         56
        .size:           2
        .value_kind:     hidden_group_size_z
      - .offset:         58
        .size:           2
        .value_kind:     hidden_remainder_x
      - .offset:         60
        .size:           2
        .value_kind:     hidden_remainder_y
      - .offset:         62
        .size:           2
        .value_kind:     hidden_remainder_z
      - .offset:         80
        .size:           8
        .value_kind:     hidden_global_offset_x
      - .offset:         88
        .size:           8
        .value_kind:     hidden_global_offset_y
      - .offset:         96
        .size:           8
        .value_kind:     hidden_global_offset_z
      - .offset:         104
        .size:           2
        .value_kind:     hidden_grid_dims
    .group_segment_fixed_size: 0
    .kernarg_segment_align: 8
    .kernarg_segment_size: 296
    .language:       OpenCL C
    .language_version:
      - 2
      - 0
    .max_flat_workgroup_size: 256
    .name:           _ZN7rocprim17ROCPRIM_400000_NS6detail31init_lookback_scan_state_kernelINS1_19lookback_scan_stateIsLb1ELb1EEENS1_16block_id_wrapperIjLb1EEEEEvT_jT0_jPNS7_10value_typeE
    .private_segment_fixed_size: 0
    .sgpr_count:     18
    .sgpr_spill_count: 0
    .symbol:         _ZN7rocprim17ROCPRIM_400000_NS6detail31init_lookback_scan_state_kernelINS1_19lookback_scan_stateIsLb1ELb1EEENS1_16block_id_wrapperIjLb1EEEEEvT_jT0_jPNS7_10value_typeE.kd
    .uniform_work_group_size: 1
    .uses_dynamic_stack: false
    .vgpr_count:     6
    .vgpr_spill_count: 0
    .wavefront_size: 64
  - .agpr_count:     0
    .args:
      - .offset:         0
        .size:           96
        .value_kind:     by_value
    .group_segment_fixed_size: 0
    .kernarg_segment_align: 8
    .kernarg_segment_size: 96
    .language:       OpenCL C
    .language_version:
      - 2
      - 0
    .max_flat_workgroup_size: 128
    .name:           _ZN7rocprim17ROCPRIM_400000_NS6detail17trampoline_kernelINS0_14default_configENS1_20scan_config_selectorIsEEZZNS1_9scan_implILNS1_25lookback_scan_determinismE0ELb0ELb0ES3_N6thrust23THRUST_200600_302600_NS6detail15normal_iteratorINS9_10device_ptrIsEEEESE_sNS9_4plusIvEEsEEDaPvRmT3_T4_T5_mT6_P12ihipStream_tbENKUlT_T0_E_clISt17integral_constantIbLb1EESU_EEDaSP_SQ_EUlSP_E_NS1_11comp_targetILNS1_3genE0ELNS1_11target_archE4294967295ELNS1_3gpuE0ELNS1_3repE0EEENS1_30default_config_static_selectorELNS0_4arch9wavefront6targetE1EEEvT1_
    .private_segment_fixed_size: 0
    .sgpr_count:     4
    .sgpr_spill_count: 0
    .symbol:         _ZN7rocprim17ROCPRIM_400000_NS6detail17trampoline_kernelINS0_14default_configENS1_20scan_config_selectorIsEEZZNS1_9scan_implILNS1_25lookback_scan_determinismE0ELb0ELb0ES3_N6thrust23THRUST_200600_302600_NS6detail15normal_iteratorINS9_10device_ptrIsEEEESE_sNS9_4plusIvEEsEEDaPvRmT3_T4_T5_mT6_P12ihipStream_tbENKUlT_T0_E_clISt17integral_constantIbLb1EESU_EEDaSP_SQ_EUlSP_E_NS1_11comp_targetILNS1_3genE0ELNS1_11target_archE4294967295ELNS1_3gpuE0ELNS1_3repE0EEENS1_30default_config_static_selectorELNS0_4arch9wavefront6targetE1EEEvT1_.kd
    .uniform_work_group_size: 1
    .uses_dynamic_stack: false
    .vgpr_count:     0
    .vgpr_spill_count: 0
    .wavefront_size: 64
  - .agpr_count:     0
    .args:
      - .offset:         0
        .size:           96
        .value_kind:     by_value
    .group_segment_fixed_size: 0
    .kernarg_segment_align: 8
    .kernarg_segment_size: 96
    .language:       OpenCL C
    .language_version:
      - 2
      - 0
    .max_flat_workgroup_size: 256
    .name:           _ZN7rocprim17ROCPRIM_400000_NS6detail17trampoline_kernelINS0_14default_configENS1_20scan_config_selectorIsEEZZNS1_9scan_implILNS1_25lookback_scan_determinismE0ELb0ELb0ES3_N6thrust23THRUST_200600_302600_NS6detail15normal_iteratorINS9_10device_ptrIsEEEESE_sNS9_4plusIvEEsEEDaPvRmT3_T4_T5_mT6_P12ihipStream_tbENKUlT_T0_E_clISt17integral_constantIbLb1EESU_EEDaSP_SQ_EUlSP_E_NS1_11comp_targetILNS1_3genE5ELNS1_11target_archE942ELNS1_3gpuE9ELNS1_3repE0EEENS1_30default_config_static_selectorELNS0_4arch9wavefront6targetE1EEEvT1_
    .private_segment_fixed_size: 0
    .sgpr_count:     4
    .sgpr_spill_count: 0
    .symbol:         _ZN7rocprim17ROCPRIM_400000_NS6detail17trampoline_kernelINS0_14default_configENS1_20scan_config_selectorIsEEZZNS1_9scan_implILNS1_25lookback_scan_determinismE0ELb0ELb0ES3_N6thrust23THRUST_200600_302600_NS6detail15normal_iteratorINS9_10device_ptrIsEEEESE_sNS9_4plusIvEEsEEDaPvRmT3_T4_T5_mT6_P12ihipStream_tbENKUlT_T0_E_clISt17integral_constantIbLb1EESU_EEDaSP_SQ_EUlSP_E_NS1_11comp_targetILNS1_3genE5ELNS1_11target_archE942ELNS1_3gpuE9ELNS1_3repE0EEENS1_30default_config_static_selectorELNS0_4arch9wavefront6targetE1EEEvT1_.kd
    .uniform_work_group_size: 1
    .uses_dynamic_stack: false
    .vgpr_count:     0
    .vgpr_spill_count: 0
    .wavefront_size: 64
  - .agpr_count:     0
    .args:
      - .offset:         0
        .size:           96
        .value_kind:     by_value
    .group_segment_fixed_size: 3072
    .kernarg_segment_align: 8
    .kernarg_segment_size: 96
    .language:       OpenCL C
    .language_version:
      - 2
      - 0
    .max_flat_workgroup_size: 64
    .name:           _ZN7rocprim17ROCPRIM_400000_NS6detail17trampoline_kernelINS0_14default_configENS1_20scan_config_selectorIsEEZZNS1_9scan_implILNS1_25lookback_scan_determinismE0ELb0ELb0ES3_N6thrust23THRUST_200600_302600_NS6detail15normal_iteratorINS9_10device_ptrIsEEEESE_sNS9_4plusIvEEsEEDaPvRmT3_T4_T5_mT6_P12ihipStream_tbENKUlT_T0_E_clISt17integral_constantIbLb1EESU_EEDaSP_SQ_EUlSP_E_NS1_11comp_targetILNS1_3genE4ELNS1_11target_archE910ELNS1_3gpuE8ELNS1_3repE0EEENS1_30default_config_static_selectorELNS0_4arch9wavefront6targetE1EEEvT1_
    .private_segment_fixed_size: 0
    .sgpr_count:     42
    .sgpr_spill_count: 0
    .symbol:         _ZN7rocprim17ROCPRIM_400000_NS6detail17trampoline_kernelINS0_14default_configENS1_20scan_config_selectorIsEEZZNS1_9scan_implILNS1_25lookback_scan_determinismE0ELb0ELb0ES3_N6thrust23THRUST_200600_302600_NS6detail15normal_iteratorINS9_10device_ptrIsEEEESE_sNS9_4plusIvEEsEEDaPvRmT3_T4_T5_mT6_P12ihipStream_tbENKUlT_T0_E_clISt17integral_constantIbLb1EESU_EEDaSP_SQ_EUlSP_E_NS1_11comp_targetILNS1_3genE4ELNS1_11target_archE910ELNS1_3gpuE8ELNS1_3repE0EEENS1_30default_config_static_selectorELNS0_4arch9wavefront6targetE1EEEvT1_.kd
    .uniform_work_group_size: 1
    .uses_dynamic_stack: false
    .vgpr_count:     54
    .vgpr_spill_count: 0
    .wavefront_size: 64
  - .agpr_count:     0
    .args:
      - .offset:         0
        .size:           96
        .value_kind:     by_value
    .group_segment_fixed_size: 0
    .kernarg_segment_align: 8
    .kernarg_segment_size: 96
    .language:       OpenCL C
    .language_version:
      - 2
      - 0
    .max_flat_workgroup_size: 128
    .name:           _ZN7rocprim17ROCPRIM_400000_NS6detail17trampoline_kernelINS0_14default_configENS1_20scan_config_selectorIsEEZZNS1_9scan_implILNS1_25lookback_scan_determinismE0ELb0ELb0ES3_N6thrust23THRUST_200600_302600_NS6detail15normal_iteratorINS9_10device_ptrIsEEEESE_sNS9_4plusIvEEsEEDaPvRmT3_T4_T5_mT6_P12ihipStream_tbENKUlT_T0_E_clISt17integral_constantIbLb1EESU_EEDaSP_SQ_EUlSP_E_NS1_11comp_targetILNS1_3genE3ELNS1_11target_archE908ELNS1_3gpuE7ELNS1_3repE0EEENS1_30default_config_static_selectorELNS0_4arch9wavefront6targetE1EEEvT1_
    .private_segment_fixed_size: 0
    .sgpr_count:     4
    .sgpr_spill_count: 0
    .symbol:         _ZN7rocprim17ROCPRIM_400000_NS6detail17trampoline_kernelINS0_14default_configENS1_20scan_config_selectorIsEEZZNS1_9scan_implILNS1_25lookback_scan_determinismE0ELb0ELb0ES3_N6thrust23THRUST_200600_302600_NS6detail15normal_iteratorINS9_10device_ptrIsEEEESE_sNS9_4plusIvEEsEEDaPvRmT3_T4_T5_mT6_P12ihipStream_tbENKUlT_T0_E_clISt17integral_constantIbLb1EESU_EEDaSP_SQ_EUlSP_E_NS1_11comp_targetILNS1_3genE3ELNS1_11target_archE908ELNS1_3gpuE7ELNS1_3repE0EEENS1_30default_config_static_selectorELNS0_4arch9wavefront6targetE1EEEvT1_.kd
    .uniform_work_group_size: 1
    .uses_dynamic_stack: false
    .vgpr_count:     0
    .vgpr_spill_count: 0
    .wavefront_size: 64
  - .agpr_count:     0
    .args:
      - .offset:         0
        .size:           96
        .value_kind:     by_value
    .group_segment_fixed_size: 0
    .kernarg_segment_align: 8
    .kernarg_segment_size: 96
    .language:       OpenCL C
    .language_version:
      - 2
      - 0
    .max_flat_workgroup_size: 256
    .name:           _ZN7rocprim17ROCPRIM_400000_NS6detail17trampoline_kernelINS0_14default_configENS1_20scan_config_selectorIsEEZZNS1_9scan_implILNS1_25lookback_scan_determinismE0ELb0ELb0ES3_N6thrust23THRUST_200600_302600_NS6detail15normal_iteratorINS9_10device_ptrIsEEEESE_sNS9_4plusIvEEsEEDaPvRmT3_T4_T5_mT6_P12ihipStream_tbENKUlT_T0_E_clISt17integral_constantIbLb1EESU_EEDaSP_SQ_EUlSP_E_NS1_11comp_targetILNS1_3genE2ELNS1_11target_archE906ELNS1_3gpuE6ELNS1_3repE0EEENS1_30default_config_static_selectorELNS0_4arch9wavefront6targetE1EEEvT1_
    .private_segment_fixed_size: 0
    .sgpr_count:     4
    .sgpr_spill_count: 0
    .symbol:         _ZN7rocprim17ROCPRIM_400000_NS6detail17trampoline_kernelINS0_14default_configENS1_20scan_config_selectorIsEEZZNS1_9scan_implILNS1_25lookback_scan_determinismE0ELb0ELb0ES3_N6thrust23THRUST_200600_302600_NS6detail15normal_iteratorINS9_10device_ptrIsEEEESE_sNS9_4plusIvEEsEEDaPvRmT3_T4_T5_mT6_P12ihipStream_tbENKUlT_T0_E_clISt17integral_constantIbLb1EESU_EEDaSP_SQ_EUlSP_E_NS1_11comp_targetILNS1_3genE2ELNS1_11target_archE906ELNS1_3gpuE6ELNS1_3repE0EEENS1_30default_config_static_selectorELNS0_4arch9wavefront6targetE1EEEvT1_.kd
    .uniform_work_group_size: 1
    .uses_dynamic_stack: false
    .vgpr_count:     0
    .vgpr_spill_count: 0
    .wavefront_size: 64
  - .agpr_count:     0
    .args:
      - .offset:         0
        .size:           96
        .value_kind:     by_value
    .group_segment_fixed_size: 0
    .kernarg_segment_align: 8
    .kernarg_segment_size: 96
    .language:       OpenCL C
    .language_version:
      - 2
      - 0
    .max_flat_workgroup_size: 256
    .name:           _ZN7rocprim17ROCPRIM_400000_NS6detail17trampoline_kernelINS0_14default_configENS1_20scan_config_selectorIsEEZZNS1_9scan_implILNS1_25lookback_scan_determinismE0ELb0ELb0ES3_N6thrust23THRUST_200600_302600_NS6detail15normal_iteratorINS9_10device_ptrIsEEEESE_sNS9_4plusIvEEsEEDaPvRmT3_T4_T5_mT6_P12ihipStream_tbENKUlT_T0_E_clISt17integral_constantIbLb1EESU_EEDaSP_SQ_EUlSP_E_NS1_11comp_targetILNS1_3genE10ELNS1_11target_archE1201ELNS1_3gpuE5ELNS1_3repE0EEENS1_30default_config_static_selectorELNS0_4arch9wavefront6targetE1EEEvT1_
    .private_segment_fixed_size: 0
    .sgpr_count:     4
    .sgpr_spill_count: 0
    .symbol:         _ZN7rocprim17ROCPRIM_400000_NS6detail17trampoline_kernelINS0_14default_configENS1_20scan_config_selectorIsEEZZNS1_9scan_implILNS1_25lookback_scan_determinismE0ELb0ELb0ES3_N6thrust23THRUST_200600_302600_NS6detail15normal_iteratorINS9_10device_ptrIsEEEESE_sNS9_4plusIvEEsEEDaPvRmT3_T4_T5_mT6_P12ihipStream_tbENKUlT_T0_E_clISt17integral_constantIbLb1EESU_EEDaSP_SQ_EUlSP_E_NS1_11comp_targetILNS1_3genE10ELNS1_11target_archE1201ELNS1_3gpuE5ELNS1_3repE0EEENS1_30default_config_static_selectorELNS0_4arch9wavefront6targetE1EEEvT1_.kd
    .uniform_work_group_size: 1
    .uses_dynamic_stack: false
    .vgpr_count:     0
    .vgpr_spill_count: 0
    .wavefront_size: 64
  - .agpr_count:     0
    .args:
      - .offset:         0
        .size:           96
        .value_kind:     by_value
    .group_segment_fixed_size: 0
    .kernarg_segment_align: 8
    .kernarg_segment_size: 96
    .language:       OpenCL C
    .language_version:
      - 2
      - 0
    .max_flat_workgroup_size: 256
    .name:           _ZN7rocprim17ROCPRIM_400000_NS6detail17trampoline_kernelINS0_14default_configENS1_20scan_config_selectorIsEEZZNS1_9scan_implILNS1_25lookback_scan_determinismE0ELb0ELb0ES3_N6thrust23THRUST_200600_302600_NS6detail15normal_iteratorINS9_10device_ptrIsEEEESE_sNS9_4plusIvEEsEEDaPvRmT3_T4_T5_mT6_P12ihipStream_tbENKUlT_T0_E_clISt17integral_constantIbLb1EESU_EEDaSP_SQ_EUlSP_E_NS1_11comp_targetILNS1_3genE10ELNS1_11target_archE1200ELNS1_3gpuE4ELNS1_3repE0EEENS1_30default_config_static_selectorELNS0_4arch9wavefront6targetE1EEEvT1_
    .private_segment_fixed_size: 0
    .sgpr_count:     4
    .sgpr_spill_count: 0
    .symbol:         _ZN7rocprim17ROCPRIM_400000_NS6detail17trampoline_kernelINS0_14default_configENS1_20scan_config_selectorIsEEZZNS1_9scan_implILNS1_25lookback_scan_determinismE0ELb0ELb0ES3_N6thrust23THRUST_200600_302600_NS6detail15normal_iteratorINS9_10device_ptrIsEEEESE_sNS9_4plusIvEEsEEDaPvRmT3_T4_T5_mT6_P12ihipStream_tbENKUlT_T0_E_clISt17integral_constantIbLb1EESU_EEDaSP_SQ_EUlSP_E_NS1_11comp_targetILNS1_3genE10ELNS1_11target_archE1200ELNS1_3gpuE4ELNS1_3repE0EEENS1_30default_config_static_selectorELNS0_4arch9wavefront6targetE1EEEvT1_.kd
    .uniform_work_group_size: 1
    .uses_dynamic_stack: false
    .vgpr_count:     0
    .vgpr_spill_count: 0
    .wavefront_size: 64
  - .agpr_count:     0
    .args:
      - .offset:         0
        .size:           96
        .value_kind:     by_value
    .group_segment_fixed_size: 0
    .kernarg_segment_align: 8
    .kernarg_segment_size: 96
    .language:       OpenCL C
    .language_version:
      - 2
      - 0
    .max_flat_workgroup_size: 64
    .name:           _ZN7rocprim17ROCPRIM_400000_NS6detail17trampoline_kernelINS0_14default_configENS1_20scan_config_selectorIsEEZZNS1_9scan_implILNS1_25lookback_scan_determinismE0ELb0ELb0ES3_N6thrust23THRUST_200600_302600_NS6detail15normal_iteratorINS9_10device_ptrIsEEEESE_sNS9_4plusIvEEsEEDaPvRmT3_T4_T5_mT6_P12ihipStream_tbENKUlT_T0_E_clISt17integral_constantIbLb1EESU_EEDaSP_SQ_EUlSP_E_NS1_11comp_targetILNS1_3genE9ELNS1_11target_archE1100ELNS1_3gpuE3ELNS1_3repE0EEENS1_30default_config_static_selectorELNS0_4arch9wavefront6targetE1EEEvT1_
    .private_segment_fixed_size: 0
    .sgpr_count:     4
    .sgpr_spill_count: 0
    .symbol:         _ZN7rocprim17ROCPRIM_400000_NS6detail17trampoline_kernelINS0_14default_configENS1_20scan_config_selectorIsEEZZNS1_9scan_implILNS1_25lookback_scan_determinismE0ELb0ELb0ES3_N6thrust23THRUST_200600_302600_NS6detail15normal_iteratorINS9_10device_ptrIsEEEESE_sNS9_4plusIvEEsEEDaPvRmT3_T4_T5_mT6_P12ihipStream_tbENKUlT_T0_E_clISt17integral_constantIbLb1EESU_EEDaSP_SQ_EUlSP_E_NS1_11comp_targetILNS1_3genE9ELNS1_11target_archE1100ELNS1_3gpuE3ELNS1_3repE0EEENS1_30default_config_static_selectorELNS0_4arch9wavefront6targetE1EEEvT1_.kd
    .uniform_work_group_size: 1
    .uses_dynamic_stack: false
    .vgpr_count:     0
    .vgpr_spill_count: 0
    .wavefront_size: 64
  - .agpr_count:     0
    .args:
      - .offset:         0
        .size:           96
        .value_kind:     by_value
    .group_segment_fixed_size: 0
    .kernarg_segment_align: 8
    .kernarg_segment_size: 96
    .language:       OpenCL C
    .language_version:
      - 2
      - 0
    .max_flat_workgroup_size: 64
    .name:           _ZN7rocprim17ROCPRIM_400000_NS6detail17trampoline_kernelINS0_14default_configENS1_20scan_config_selectorIsEEZZNS1_9scan_implILNS1_25lookback_scan_determinismE0ELb0ELb0ES3_N6thrust23THRUST_200600_302600_NS6detail15normal_iteratorINS9_10device_ptrIsEEEESE_sNS9_4plusIvEEsEEDaPvRmT3_T4_T5_mT6_P12ihipStream_tbENKUlT_T0_E_clISt17integral_constantIbLb1EESU_EEDaSP_SQ_EUlSP_E_NS1_11comp_targetILNS1_3genE8ELNS1_11target_archE1030ELNS1_3gpuE2ELNS1_3repE0EEENS1_30default_config_static_selectorELNS0_4arch9wavefront6targetE1EEEvT1_
    .private_segment_fixed_size: 0
    .sgpr_count:     4
    .sgpr_spill_count: 0
    .symbol:         _ZN7rocprim17ROCPRIM_400000_NS6detail17trampoline_kernelINS0_14default_configENS1_20scan_config_selectorIsEEZZNS1_9scan_implILNS1_25lookback_scan_determinismE0ELb0ELb0ES3_N6thrust23THRUST_200600_302600_NS6detail15normal_iteratorINS9_10device_ptrIsEEEESE_sNS9_4plusIvEEsEEDaPvRmT3_T4_T5_mT6_P12ihipStream_tbENKUlT_T0_E_clISt17integral_constantIbLb1EESU_EEDaSP_SQ_EUlSP_E_NS1_11comp_targetILNS1_3genE8ELNS1_11target_archE1030ELNS1_3gpuE2ELNS1_3repE0EEENS1_30default_config_static_selectorELNS0_4arch9wavefront6targetE1EEEvT1_.kd
    .uniform_work_group_size: 1
    .uses_dynamic_stack: false
    .vgpr_count:     0
    .vgpr_spill_count: 0
    .wavefront_size: 64
  - .agpr_count:     0
    .args:
      - .offset:         0
        .size:           32
        .value_kind:     by_value
    .group_segment_fixed_size: 0
    .kernarg_segment_align: 8
    .kernarg_segment_size: 32
    .language:       OpenCL C
    .language_version:
      - 2
      - 0
    .max_flat_workgroup_size: 128
    .name:           _ZN7rocprim17ROCPRIM_400000_NS6detail17trampoline_kernelINS0_14default_configENS1_20scan_config_selectorIsEEZZNS1_9scan_implILNS1_25lookback_scan_determinismE0ELb0ELb0ES3_N6thrust23THRUST_200600_302600_NS6detail15normal_iteratorINS9_10device_ptrIsEEEESE_sNS9_4plusIvEEsEEDaPvRmT3_T4_T5_mT6_P12ihipStream_tbENKUlT_T0_E_clISt17integral_constantIbLb1EESU_EEDaSP_SQ_EUlSP_E0_NS1_11comp_targetILNS1_3genE0ELNS1_11target_archE4294967295ELNS1_3gpuE0ELNS1_3repE0EEENS1_30default_config_static_selectorELNS0_4arch9wavefront6targetE1EEEvT1_
    .private_segment_fixed_size: 0
    .sgpr_count:     4
    .sgpr_spill_count: 0
    .symbol:         _ZN7rocprim17ROCPRIM_400000_NS6detail17trampoline_kernelINS0_14default_configENS1_20scan_config_selectorIsEEZZNS1_9scan_implILNS1_25lookback_scan_determinismE0ELb0ELb0ES3_N6thrust23THRUST_200600_302600_NS6detail15normal_iteratorINS9_10device_ptrIsEEEESE_sNS9_4plusIvEEsEEDaPvRmT3_T4_T5_mT6_P12ihipStream_tbENKUlT_T0_E_clISt17integral_constantIbLb1EESU_EEDaSP_SQ_EUlSP_E0_NS1_11comp_targetILNS1_3genE0ELNS1_11target_archE4294967295ELNS1_3gpuE0ELNS1_3repE0EEENS1_30default_config_static_selectorELNS0_4arch9wavefront6targetE1EEEvT1_.kd
    .uniform_work_group_size: 1
    .uses_dynamic_stack: false
    .vgpr_count:     0
    .vgpr_spill_count: 0
    .wavefront_size: 64
  - .agpr_count:     0
    .args:
      - .offset:         0
        .size:           32
        .value_kind:     by_value
    .group_segment_fixed_size: 0
    .kernarg_segment_align: 8
    .kernarg_segment_size: 32
    .language:       OpenCL C
    .language_version:
      - 2
      - 0
    .max_flat_workgroup_size: 256
    .name:           _ZN7rocprim17ROCPRIM_400000_NS6detail17trampoline_kernelINS0_14default_configENS1_20scan_config_selectorIsEEZZNS1_9scan_implILNS1_25lookback_scan_determinismE0ELb0ELb0ES3_N6thrust23THRUST_200600_302600_NS6detail15normal_iteratorINS9_10device_ptrIsEEEESE_sNS9_4plusIvEEsEEDaPvRmT3_T4_T5_mT6_P12ihipStream_tbENKUlT_T0_E_clISt17integral_constantIbLb1EESU_EEDaSP_SQ_EUlSP_E0_NS1_11comp_targetILNS1_3genE5ELNS1_11target_archE942ELNS1_3gpuE9ELNS1_3repE0EEENS1_30default_config_static_selectorELNS0_4arch9wavefront6targetE1EEEvT1_
    .private_segment_fixed_size: 0
    .sgpr_count:     4
    .sgpr_spill_count: 0
    .symbol:         _ZN7rocprim17ROCPRIM_400000_NS6detail17trampoline_kernelINS0_14default_configENS1_20scan_config_selectorIsEEZZNS1_9scan_implILNS1_25lookback_scan_determinismE0ELb0ELb0ES3_N6thrust23THRUST_200600_302600_NS6detail15normal_iteratorINS9_10device_ptrIsEEEESE_sNS9_4plusIvEEsEEDaPvRmT3_T4_T5_mT6_P12ihipStream_tbENKUlT_T0_E_clISt17integral_constantIbLb1EESU_EEDaSP_SQ_EUlSP_E0_NS1_11comp_targetILNS1_3genE5ELNS1_11target_archE942ELNS1_3gpuE9ELNS1_3repE0EEENS1_30default_config_static_selectorELNS0_4arch9wavefront6targetE1EEEvT1_.kd
    .uniform_work_group_size: 1
    .uses_dynamic_stack: false
    .vgpr_count:     0
    .vgpr_spill_count: 0
    .wavefront_size: 64
  - .agpr_count:     0
    .args:
      - .offset:         0
        .size:           32
        .value_kind:     by_value
    .group_segment_fixed_size: 3072
    .kernarg_segment_align: 8
    .kernarg_segment_size: 32
    .language:       OpenCL C
    .language_version:
      - 2
      - 0
    .max_flat_workgroup_size: 64
    .name:           _ZN7rocprim17ROCPRIM_400000_NS6detail17trampoline_kernelINS0_14default_configENS1_20scan_config_selectorIsEEZZNS1_9scan_implILNS1_25lookback_scan_determinismE0ELb0ELb0ES3_N6thrust23THRUST_200600_302600_NS6detail15normal_iteratorINS9_10device_ptrIsEEEESE_sNS9_4plusIvEEsEEDaPvRmT3_T4_T5_mT6_P12ihipStream_tbENKUlT_T0_E_clISt17integral_constantIbLb1EESU_EEDaSP_SQ_EUlSP_E0_NS1_11comp_targetILNS1_3genE4ELNS1_11target_archE910ELNS1_3gpuE8ELNS1_3repE0EEENS1_30default_config_static_selectorELNS0_4arch9wavefront6targetE1EEEvT1_
    .private_segment_fixed_size: 0
    .sgpr_count:     60
    .sgpr_spill_count: 0
    .symbol:         _ZN7rocprim17ROCPRIM_400000_NS6detail17trampoline_kernelINS0_14default_configENS1_20scan_config_selectorIsEEZZNS1_9scan_implILNS1_25lookback_scan_determinismE0ELb0ELb0ES3_N6thrust23THRUST_200600_302600_NS6detail15normal_iteratorINS9_10device_ptrIsEEEESE_sNS9_4plusIvEEsEEDaPvRmT3_T4_T5_mT6_P12ihipStream_tbENKUlT_T0_E_clISt17integral_constantIbLb1EESU_EEDaSP_SQ_EUlSP_E0_NS1_11comp_targetILNS1_3genE4ELNS1_11target_archE910ELNS1_3gpuE8ELNS1_3repE0EEENS1_30default_config_static_selectorELNS0_4arch9wavefront6targetE1EEEvT1_.kd
    .uniform_work_group_size: 1
    .uses_dynamic_stack: false
    .vgpr_count:     42
    .vgpr_spill_count: 0
    .wavefront_size: 64
  - .agpr_count:     0
    .args:
      - .offset:         0
        .size:           32
        .value_kind:     by_value
    .group_segment_fixed_size: 0
    .kernarg_segment_align: 8
    .kernarg_segment_size: 32
    .language:       OpenCL C
    .language_version:
      - 2
      - 0
    .max_flat_workgroup_size: 128
    .name:           _ZN7rocprim17ROCPRIM_400000_NS6detail17trampoline_kernelINS0_14default_configENS1_20scan_config_selectorIsEEZZNS1_9scan_implILNS1_25lookback_scan_determinismE0ELb0ELb0ES3_N6thrust23THRUST_200600_302600_NS6detail15normal_iteratorINS9_10device_ptrIsEEEESE_sNS9_4plusIvEEsEEDaPvRmT3_T4_T5_mT6_P12ihipStream_tbENKUlT_T0_E_clISt17integral_constantIbLb1EESU_EEDaSP_SQ_EUlSP_E0_NS1_11comp_targetILNS1_3genE3ELNS1_11target_archE908ELNS1_3gpuE7ELNS1_3repE0EEENS1_30default_config_static_selectorELNS0_4arch9wavefront6targetE1EEEvT1_
    .private_segment_fixed_size: 0
    .sgpr_count:     4
    .sgpr_spill_count: 0
    .symbol:         _ZN7rocprim17ROCPRIM_400000_NS6detail17trampoline_kernelINS0_14default_configENS1_20scan_config_selectorIsEEZZNS1_9scan_implILNS1_25lookback_scan_determinismE0ELb0ELb0ES3_N6thrust23THRUST_200600_302600_NS6detail15normal_iteratorINS9_10device_ptrIsEEEESE_sNS9_4plusIvEEsEEDaPvRmT3_T4_T5_mT6_P12ihipStream_tbENKUlT_T0_E_clISt17integral_constantIbLb1EESU_EEDaSP_SQ_EUlSP_E0_NS1_11comp_targetILNS1_3genE3ELNS1_11target_archE908ELNS1_3gpuE7ELNS1_3repE0EEENS1_30default_config_static_selectorELNS0_4arch9wavefront6targetE1EEEvT1_.kd
    .uniform_work_group_size: 1
    .uses_dynamic_stack: false
    .vgpr_count:     0
    .vgpr_spill_count: 0
    .wavefront_size: 64
  - .agpr_count:     0
    .args:
      - .offset:         0
        .size:           32
        .value_kind:     by_value
    .group_segment_fixed_size: 0
    .kernarg_segment_align: 8
    .kernarg_segment_size: 32
    .language:       OpenCL C
    .language_version:
      - 2
      - 0
    .max_flat_workgroup_size: 256
    .name:           _ZN7rocprim17ROCPRIM_400000_NS6detail17trampoline_kernelINS0_14default_configENS1_20scan_config_selectorIsEEZZNS1_9scan_implILNS1_25lookback_scan_determinismE0ELb0ELb0ES3_N6thrust23THRUST_200600_302600_NS6detail15normal_iteratorINS9_10device_ptrIsEEEESE_sNS9_4plusIvEEsEEDaPvRmT3_T4_T5_mT6_P12ihipStream_tbENKUlT_T0_E_clISt17integral_constantIbLb1EESU_EEDaSP_SQ_EUlSP_E0_NS1_11comp_targetILNS1_3genE2ELNS1_11target_archE906ELNS1_3gpuE6ELNS1_3repE0EEENS1_30default_config_static_selectorELNS0_4arch9wavefront6targetE1EEEvT1_
    .private_segment_fixed_size: 0
    .sgpr_count:     4
    .sgpr_spill_count: 0
    .symbol:         _ZN7rocprim17ROCPRIM_400000_NS6detail17trampoline_kernelINS0_14default_configENS1_20scan_config_selectorIsEEZZNS1_9scan_implILNS1_25lookback_scan_determinismE0ELb0ELb0ES3_N6thrust23THRUST_200600_302600_NS6detail15normal_iteratorINS9_10device_ptrIsEEEESE_sNS9_4plusIvEEsEEDaPvRmT3_T4_T5_mT6_P12ihipStream_tbENKUlT_T0_E_clISt17integral_constantIbLb1EESU_EEDaSP_SQ_EUlSP_E0_NS1_11comp_targetILNS1_3genE2ELNS1_11target_archE906ELNS1_3gpuE6ELNS1_3repE0EEENS1_30default_config_static_selectorELNS0_4arch9wavefront6targetE1EEEvT1_.kd
    .uniform_work_group_size: 1
    .uses_dynamic_stack: false
    .vgpr_count:     0
    .vgpr_spill_count: 0
    .wavefront_size: 64
  - .agpr_count:     0
    .args:
      - .offset:         0
        .size:           32
        .value_kind:     by_value
    .group_segment_fixed_size: 0
    .kernarg_segment_align: 8
    .kernarg_segment_size: 32
    .language:       OpenCL C
    .language_version:
      - 2
      - 0
    .max_flat_workgroup_size: 256
    .name:           _ZN7rocprim17ROCPRIM_400000_NS6detail17trampoline_kernelINS0_14default_configENS1_20scan_config_selectorIsEEZZNS1_9scan_implILNS1_25lookback_scan_determinismE0ELb0ELb0ES3_N6thrust23THRUST_200600_302600_NS6detail15normal_iteratorINS9_10device_ptrIsEEEESE_sNS9_4plusIvEEsEEDaPvRmT3_T4_T5_mT6_P12ihipStream_tbENKUlT_T0_E_clISt17integral_constantIbLb1EESU_EEDaSP_SQ_EUlSP_E0_NS1_11comp_targetILNS1_3genE10ELNS1_11target_archE1201ELNS1_3gpuE5ELNS1_3repE0EEENS1_30default_config_static_selectorELNS0_4arch9wavefront6targetE1EEEvT1_
    .private_segment_fixed_size: 0
    .sgpr_count:     4
    .sgpr_spill_count: 0
    .symbol:         _ZN7rocprim17ROCPRIM_400000_NS6detail17trampoline_kernelINS0_14default_configENS1_20scan_config_selectorIsEEZZNS1_9scan_implILNS1_25lookback_scan_determinismE0ELb0ELb0ES3_N6thrust23THRUST_200600_302600_NS6detail15normal_iteratorINS9_10device_ptrIsEEEESE_sNS9_4plusIvEEsEEDaPvRmT3_T4_T5_mT6_P12ihipStream_tbENKUlT_T0_E_clISt17integral_constantIbLb1EESU_EEDaSP_SQ_EUlSP_E0_NS1_11comp_targetILNS1_3genE10ELNS1_11target_archE1201ELNS1_3gpuE5ELNS1_3repE0EEENS1_30default_config_static_selectorELNS0_4arch9wavefront6targetE1EEEvT1_.kd
    .uniform_work_group_size: 1
    .uses_dynamic_stack: false
    .vgpr_count:     0
    .vgpr_spill_count: 0
    .wavefront_size: 64
  - .agpr_count:     0
    .args:
      - .offset:         0
        .size:           32
        .value_kind:     by_value
    .group_segment_fixed_size: 0
    .kernarg_segment_align: 8
    .kernarg_segment_size: 32
    .language:       OpenCL C
    .language_version:
      - 2
      - 0
    .max_flat_workgroup_size: 256
    .name:           _ZN7rocprim17ROCPRIM_400000_NS6detail17trampoline_kernelINS0_14default_configENS1_20scan_config_selectorIsEEZZNS1_9scan_implILNS1_25lookback_scan_determinismE0ELb0ELb0ES3_N6thrust23THRUST_200600_302600_NS6detail15normal_iteratorINS9_10device_ptrIsEEEESE_sNS9_4plusIvEEsEEDaPvRmT3_T4_T5_mT6_P12ihipStream_tbENKUlT_T0_E_clISt17integral_constantIbLb1EESU_EEDaSP_SQ_EUlSP_E0_NS1_11comp_targetILNS1_3genE10ELNS1_11target_archE1200ELNS1_3gpuE4ELNS1_3repE0EEENS1_30default_config_static_selectorELNS0_4arch9wavefront6targetE1EEEvT1_
    .private_segment_fixed_size: 0
    .sgpr_count:     4
    .sgpr_spill_count: 0
    .symbol:         _ZN7rocprim17ROCPRIM_400000_NS6detail17trampoline_kernelINS0_14default_configENS1_20scan_config_selectorIsEEZZNS1_9scan_implILNS1_25lookback_scan_determinismE0ELb0ELb0ES3_N6thrust23THRUST_200600_302600_NS6detail15normal_iteratorINS9_10device_ptrIsEEEESE_sNS9_4plusIvEEsEEDaPvRmT3_T4_T5_mT6_P12ihipStream_tbENKUlT_T0_E_clISt17integral_constantIbLb1EESU_EEDaSP_SQ_EUlSP_E0_NS1_11comp_targetILNS1_3genE10ELNS1_11target_archE1200ELNS1_3gpuE4ELNS1_3repE0EEENS1_30default_config_static_selectorELNS0_4arch9wavefront6targetE1EEEvT1_.kd
    .uniform_work_group_size: 1
    .uses_dynamic_stack: false
    .vgpr_count:     0
    .vgpr_spill_count: 0
    .wavefront_size: 64
  - .agpr_count:     0
    .args:
      - .offset:         0
        .size:           32
        .value_kind:     by_value
    .group_segment_fixed_size: 0
    .kernarg_segment_align: 8
    .kernarg_segment_size: 32
    .language:       OpenCL C
    .language_version:
      - 2
      - 0
    .max_flat_workgroup_size: 64
    .name:           _ZN7rocprim17ROCPRIM_400000_NS6detail17trampoline_kernelINS0_14default_configENS1_20scan_config_selectorIsEEZZNS1_9scan_implILNS1_25lookback_scan_determinismE0ELb0ELb0ES3_N6thrust23THRUST_200600_302600_NS6detail15normal_iteratorINS9_10device_ptrIsEEEESE_sNS9_4plusIvEEsEEDaPvRmT3_T4_T5_mT6_P12ihipStream_tbENKUlT_T0_E_clISt17integral_constantIbLb1EESU_EEDaSP_SQ_EUlSP_E0_NS1_11comp_targetILNS1_3genE9ELNS1_11target_archE1100ELNS1_3gpuE3ELNS1_3repE0EEENS1_30default_config_static_selectorELNS0_4arch9wavefront6targetE1EEEvT1_
    .private_segment_fixed_size: 0
    .sgpr_count:     4
    .sgpr_spill_count: 0
    .symbol:         _ZN7rocprim17ROCPRIM_400000_NS6detail17trampoline_kernelINS0_14default_configENS1_20scan_config_selectorIsEEZZNS1_9scan_implILNS1_25lookback_scan_determinismE0ELb0ELb0ES3_N6thrust23THRUST_200600_302600_NS6detail15normal_iteratorINS9_10device_ptrIsEEEESE_sNS9_4plusIvEEsEEDaPvRmT3_T4_T5_mT6_P12ihipStream_tbENKUlT_T0_E_clISt17integral_constantIbLb1EESU_EEDaSP_SQ_EUlSP_E0_NS1_11comp_targetILNS1_3genE9ELNS1_11target_archE1100ELNS1_3gpuE3ELNS1_3repE0EEENS1_30default_config_static_selectorELNS0_4arch9wavefront6targetE1EEEvT1_.kd
    .uniform_work_group_size: 1
    .uses_dynamic_stack: false
    .vgpr_count:     0
    .vgpr_spill_count: 0
    .wavefront_size: 64
  - .agpr_count:     0
    .args:
      - .offset:         0
        .size:           32
        .value_kind:     by_value
    .group_segment_fixed_size: 0
    .kernarg_segment_align: 8
    .kernarg_segment_size: 32
    .language:       OpenCL C
    .language_version:
      - 2
      - 0
    .max_flat_workgroup_size: 64
    .name:           _ZN7rocprim17ROCPRIM_400000_NS6detail17trampoline_kernelINS0_14default_configENS1_20scan_config_selectorIsEEZZNS1_9scan_implILNS1_25lookback_scan_determinismE0ELb0ELb0ES3_N6thrust23THRUST_200600_302600_NS6detail15normal_iteratorINS9_10device_ptrIsEEEESE_sNS9_4plusIvEEsEEDaPvRmT3_T4_T5_mT6_P12ihipStream_tbENKUlT_T0_E_clISt17integral_constantIbLb1EESU_EEDaSP_SQ_EUlSP_E0_NS1_11comp_targetILNS1_3genE8ELNS1_11target_archE1030ELNS1_3gpuE2ELNS1_3repE0EEENS1_30default_config_static_selectorELNS0_4arch9wavefront6targetE1EEEvT1_
    .private_segment_fixed_size: 0
    .sgpr_count:     4
    .sgpr_spill_count: 0
    .symbol:         _ZN7rocprim17ROCPRIM_400000_NS6detail17trampoline_kernelINS0_14default_configENS1_20scan_config_selectorIsEEZZNS1_9scan_implILNS1_25lookback_scan_determinismE0ELb0ELb0ES3_N6thrust23THRUST_200600_302600_NS6detail15normal_iteratorINS9_10device_ptrIsEEEESE_sNS9_4plusIvEEsEEDaPvRmT3_T4_T5_mT6_P12ihipStream_tbENKUlT_T0_E_clISt17integral_constantIbLb1EESU_EEDaSP_SQ_EUlSP_E0_NS1_11comp_targetILNS1_3genE8ELNS1_11target_archE1030ELNS1_3gpuE2ELNS1_3repE0EEENS1_30default_config_static_selectorELNS0_4arch9wavefront6targetE1EEEvT1_.kd
    .uniform_work_group_size: 1
    .uses_dynamic_stack: false
    .vgpr_count:     0
    .vgpr_spill_count: 0
    .wavefront_size: 64
  - .agpr_count:     0
    .args:
      - .address_space:  global
        .offset:         0
        .size:           8
        .value_kind:     global_buffer
      - .offset:         8
        .size:           4
        .value_kind:     by_value
      - .offset:         12
        .size:           1
        .value_kind:     by_value
      - .offset:         16
        .size:           4
        .value_kind:     by_value
      - .address_space:  global
        .offset:         24
        .size:           8
        .value_kind:     global_buffer
      - .offset:         32
        .size:           4
        .value_kind:     hidden_block_count_x
      - .offset:         36
        .size:           4
        .value_kind:     hidden_block_count_y
      - .offset:         40
        .size:           4
        .value_kind:     hidden_block_count_z
      - .offset:         44
        .size:           2
        .value_kind:     hidden_group_size_x
      - .offset:         46
        .size:           2
        .value_kind:     hidden_group_size_y
      - .offset:         48
        .size:           2
        .value_kind:     hidden_group_size_z
      - .offset:         50
        .size:           2
        .value_kind:     hidden_remainder_x
      - .offset:         52
        .size:           2
        .value_kind:     hidden_remainder_y
      - .offset:         54
        .size:           2
        .value_kind:     hidden_remainder_z
      - .offset:         72
        .size:           8
        .value_kind:     hidden_global_offset_x
      - .offset:         80
        .size:           8
        .value_kind:     hidden_global_offset_y
      - .offset:         88
        .size:           8
        .value_kind:     hidden_global_offset_z
      - .offset:         96
        .size:           2
        .value_kind:     hidden_grid_dims
    .group_segment_fixed_size: 0
    .kernarg_segment_align: 8
    .kernarg_segment_size: 288
    .language:       OpenCL C
    .language_version:
      - 2
      - 0
    .max_flat_workgroup_size: 256
    .name:           _ZN7rocprim17ROCPRIM_400000_NS6detail31init_lookback_scan_state_kernelINS1_19lookback_scan_stateIsLb1ELb1EEENS1_16block_id_wrapperIjLb0EEEEEvT_jT0_jPNS7_10value_typeE
    .private_segment_fixed_size: 0
    .sgpr_count:     16
    .sgpr_spill_count: 0
    .symbol:         _ZN7rocprim17ROCPRIM_400000_NS6detail31init_lookback_scan_state_kernelINS1_19lookback_scan_stateIsLb1ELb1EEENS1_16block_id_wrapperIjLb0EEEEEvT_jT0_jPNS7_10value_typeE.kd
    .uniform_work_group_size: 1
    .uses_dynamic_stack: false
    .vgpr_count:     6
    .vgpr_spill_count: 0
    .wavefront_size: 64
  - .agpr_count:     0
    .args:
      - .offset:         0
        .size:           96
        .value_kind:     by_value
    .group_segment_fixed_size: 0
    .kernarg_segment_align: 8
    .kernarg_segment_size: 96
    .language:       OpenCL C
    .language_version:
      - 2
      - 0
    .max_flat_workgroup_size: 128
    .name:           _ZN7rocprim17ROCPRIM_400000_NS6detail17trampoline_kernelINS0_14default_configENS1_20scan_config_selectorIsEEZZNS1_9scan_implILNS1_25lookback_scan_determinismE0ELb0ELb0ES3_N6thrust23THRUST_200600_302600_NS6detail15normal_iteratorINS9_10device_ptrIsEEEESE_sNS9_4plusIvEEsEEDaPvRmT3_T4_T5_mT6_P12ihipStream_tbENKUlT_T0_E_clISt17integral_constantIbLb1EEST_IbLb0EEEEDaSP_SQ_EUlSP_E_NS1_11comp_targetILNS1_3genE0ELNS1_11target_archE4294967295ELNS1_3gpuE0ELNS1_3repE0EEENS1_30default_config_static_selectorELNS0_4arch9wavefront6targetE1EEEvT1_
    .private_segment_fixed_size: 0
    .sgpr_count:     4
    .sgpr_spill_count: 0
    .symbol:         _ZN7rocprim17ROCPRIM_400000_NS6detail17trampoline_kernelINS0_14default_configENS1_20scan_config_selectorIsEEZZNS1_9scan_implILNS1_25lookback_scan_determinismE0ELb0ELb0ES3_N6thrust23THRUST_200600_302600_NS6detail15normal_iteratorINS9_10device_ptrIsEEEESE_sNS9_4plusIvEEsEEDaPvRmT3_T4_T5_mT6_P12ihipStream_tbENKUlT_T0_E_clISt17integral_constantIbLb1EEST_IbLb0EEEEDaSP_SQ_EUlSP_E_NS1_11comp_targetILNS1_3genE0ELNS1_11target_archE4294967295ELNS1_3gpuE0ELNS1_3repE0EEENS1_30default_config_static_selectorELNS0_4arch9wavefront6targetE1EEEvT1_.kd
    .uniform_work_group_size: 1
    .uses_dynamic_stack: false
    .vgpr_count:     0
    .vgpr_spill_count: 0
    .wavefront_size: 64
  - .agpr_count:     0
    .args:
      - .offset:         0
        .size:           96
        .value_kind:     by_value
    .group_segment_fixed_size: 0
    .kernarg_segment_align: 8
    .kernarg_segment_size: 96
    .language:       OpenCL C
    .language_version:
      - 2
      - 0
    .max_flat_workgroup_size: 256
    .name:           _ZN7rocprim17ROCPRIM_400000_NS6detail17trampoline_kernelINS0_14default_configENS1_20scan_config_selectorIsEEZZNS1_9scan_implILNS1_25lookback_scan_determinismE0ELb0ELb0ES3_N6thrust23THRUST_200600_302600_NS6detail15normal_iteratorINS9_10device_ptrIsEEEESE_sNS9_4plusIvEEsEEDaPvRmT3_T4_T5_mT6_P12ihipStream_tbENKUlT_T0_E_clISt17integral_constantIbLb1EEST_IbLb0EEEEDaSP_SQ_EUlSP_E_NS1_11comp_targetILNS1_3genE5ELNS1_11target_archE942ELNS1_3gpuE9ELNS1_3repE0EEENS1_30default_config_static_selectorELNS0_4arch9wavefront6targetE1EEEvT1_
    .private_segment_fixed_size: 0
    .sgpr_count:     4
    .sgpr_spill_count: 0
    .symbol:         _ZN7rocprim17ROCPRIM_400000_NS6detail17trampoline_kernelINS0_14default_configENS1_20scan_config_selectorIsEEZZNS1_9scan_implILNS1_25lookback_scan_determinismE0ELb0ELb0ES3_N6thrust23THRUST_200600_302600_NS6detail15normal_iteratorINS9_10device_ptrIsEEEESE_sNS9_4plusIvEEsEEDaPvRmT3_T4_T5_mT6_P12ihipStream_tbENKUlT_T0_E_clISt17integral_constantIbLb1EEST_IbLb0EEEEDaSP_SQ_EUlSP_E_NS1_11comp_targetILNS1_3genE5ELNS1_11target_archE942ELNS1_3gpuE9ELNS1_3repE0EEENS1_30default_config_static_selectorELNS0_4arch9wavefront6targetE1EEEvT1_.kd
    .uniform_work_group_size: 1
    .uses_dynamic_stack: false
    .vgpr_count:     0
    .vgpr_spill_count: 0
    .wavefront_size: 64
  - .agpr_count:     0
    .args:
      - .offset:         0
        .size:           96
        .value_kind:     by_value
    .group_segment_fixed_size: 3072
    .kernarg_segment_align: 8
    .kernarg_segment_size: 96
    .language:       OpenCL C
    .language_version:
      - 2
      - 0
    .max_flat_workgroup_size: 64
    .name:           _ZN7rocprim17ROCPRIM_400000_NS6detail17trampoline_kernelINS0_14default_configENS1_20scan_config_selectorIsEEZZNS1_9scan_implILNS1_25lookback_scan_determinismE0ELb0ELb0ES3_N6thrust23THRUST_200600_302600_NS6detail15normal_iteratorINS9_10device_ptrIsEEEESE_sNS9_4plusIvEEsEEDaPvRmT3_T4_T5_mT6_P12ihipStream_tbENKUlT_T0_E_clISt17integral_constantIbLb1EEST_IbLb0EEEEDaSP_SQ_EUlSP_E_NS1_11comp_targetILNS1_3genE4ELNS1_11target_archE910ELNS1_3gpuE8ELNS1_3repE0EEENS1_30default_config_static_selectorELNS0_4arch9wavefront6targetE1EEEvT1_
    .private_segment_fixed_size: 0
    .sgpr_count:     30
    .sgpr_spill_count: 0
    .symbol:         _ZN7rocprim17ROCPRIM_400000_NS6detail17trampoline_kernelINS0_14default_configENS1_20scan_config_selectorIsEEZZNS1_9scan_implILNS1_25lookback_scan_determinismE0ELb0ELb0ES3_N6thrust23THRUST_200600_302600_NS6detail15normal_iteratorINS9_10device_ptrIsEEEESE_sNS9_4plusIvEEsEEDaPvRmT3_T4_T5_mT6_P12ihipStream_tbENKUlT_T0_E_clISt17integral_constantIbLb1EEST_IbLb0EEEEDaSP_SQ_EUlSP_E_NS1_11comp_targetILNS1_3genE4ELNS1_11target_archE910ELNS1_3gpuE8ELNS1_3repE0EEENS1_30default_config_static_selectorELNS0_4arch9wavefront6targetE1EEEvT1_.kd
    .uniform_work_group_size: 1
    .uses_dynamic_stack: false
    .vgpr_count:     54
    .vgpr_spill_count: 0
    .wavefront_size: 64
  - .agpr_count:     0
    .args:
      - .offset:         0
        .size:           96
        .value_kind:     by_value
    .group_segment_fixed_size: 0
    .kernarg_segment_align: 8
    .kernarg_segment_size: 96
    .language:       OpenCL C
    .language_version:
      - 2
      - 0
    .max_flat_workgroup_size: 128
    .name:           _ZN7rocprim17ROCPRIM_400000_NS6detail17trampoline_kernelINS0_14default_configENS1_20scan_config_selectorIsEEZZNS1_9scan_implILNS1_25lookback_scan_determinismE0ELb0ELb0ES3_N6thrust23THRUST_200600_302600_NS6detail15normal_iteratorINS9_10device_ptrIsEEEESE_sNS9_4plusIvEEsEEDaPvRmT3_T4_T5_mT6_P12ihipStream_tbENKUlT_T0_E_clISt17integral_constantIbLb1EEST_IbLb0EEEEDaSP_SQ_EUlSP_E_NS1_11comp_targetILNS1_3genE3ELNS1_11target_archE908ELNS1_3gpuE7ELNS1_3repE0EEENS1_30default_config_static_selectorELNS0_4arch9wavefront6targetE1EEEvT1_
    .private_segment_fixed_size: 0
    .sgpr_count:     4
    .sgpr_spill_count: 0
    .symbol:         _ZN7rocprim17ROCPRIM_400000_NS6detail17trampoline_kernelINS0_14default_configENS1_20scan_config_selectorIsEEZZNS1_9scan_implILNS1_25lookback_scan_determinismE0ELb0ELb0ES3_N6thrust23THRUST_200600_302600_NS6detail15normal_iteratorINS9_10device_ptrIsEEEESE_sNS9_4plusIvEEsEEDaPvRmT3_T4_T5_mT6_P12ihipStream_tbENKUlT_T0_E_clISt17integral_constantIbLb1EEST_IbLb0EEEEDaSP_SQ_EUlSP_E_NS1_11comp_targetILNS1_3genE3ELNS1_11target_archE908ELNS1_3gpuE7ELNS1_3repE0EEENS1_30default_config_static_selectorELNS0_4arch9wavefront6targetE1EEEvT1_.kd
    .uniform_work_group_size: 1
    .uses_dynamic_stack: false
    .vgpr_count:     0
    .vgpr_spill_count: 0
    .wavefront_size: 64
  - .agpr_count:     0
    .args:
      - .offset:         0
        .size:           96
        .value_kind:     by_value
    .group_segment_fixed_size: 0
    .kernarg_segment_align: 8
    .kernarg_segment_size: 96
    .language:       OpenCL C
    .language_version:
      - 2
      - 0
    .max_flat_workgroup_size: 256
    .name:           _ZN7rocprim17ROCPRIM_400000_NS6detail17trampoline_kernelINS0_14default_configENS1_20scan_config_selectorIsEEZZNS1_9scan_implILNS1_25lookback_scan_determinismE0ELb0ELb0ES3_N6thrust23THRUST_200600_302600_NS6detail15normal_iteratorINS9_10device_ptrIsEEEESE_sNS9_4plusIvEEsEEDaPvRmT3_T4_T5_mT6_P12ihipStream_tbENKUlT_T0_E_clISt17integral_constantIbLb1EEST_IbLb0EEEEDaSP_SQ_EUlSP_E_NS1_11comp_targetILNS1_3genE2ELNS1_11target_archE906ELNS1_3gpuE6ELNS1_3repE0EEENS1_30default_config_static_selectorELNS0_4arch9wavefront6targetE1EEEvT1_
    .private_segment_fixed_size: 0
    .sgpr_count:     4
    .sgpr_spill_count: 0
    .symbol:         _ZN7rocprim17ROCPRIM_400000_NS6detail17trampoline_kernelINS0_14default_configENS1_20scan_config_selectorIsEEZZNS1_9scan_implILNS1_25lookback_scan_determinismE0ELb0ELb0ES3_N6thrust23THRUST_200600_302600_NS6detail15normal_iteratorINS9_10device_ptrIsEEEESE_sNS9_4plusIvEEsEEDaPvRmT3_T4_T5_mT6_P12ihipStream_tbENKUlT_T0_E_clISt17integral_constantIbLb1EEST_IbLb0EEEEDaSP_SQ_EUlSP_E_NS1_11comp_targetILNS1_3genE2ELNS1_11target_archE906ELNS1_3gpuE6ELNS1_3repE0EEENS1_30default_config_static_selectorELNS0_4arch9wavefront6targetE1EEEvT1_.kd
    .uniform_work_group_size: 1
    .uses_dynamic_stack: false
    .vgpr_count:     0
    .vgpr_spill_count: 0
    .wavefront_size: 64
  - .agpr_count:     0
    .args:
      - .offset:         0
        .size:           96
        .value_kind:     by_value
    .group_segment_fixed_size: 0
    .kernarg_segment_align: 8
    .kernarg_segment_size: 96
    .language:       OpenCL C
    .language_version:
      - 2
      - 0
    .max_flat_workgroup_size: 256
    .name:           _ZN7rocprim17ROCPRIM_400000_NS6detail17trampoline_kernelINS0_14default_configENS1_20scan_config_selectorIsEEZZNS1_9scan_implILNS1_25lookback_scan_determinismE0ELb0ELb0ES3_N6thrust23THRUST_200600_302600_NS6detail15normal_iteratorINS9_10device_ptrIsEEEESE_sNS9_4plusIvEEsEEDaPvRmT3_T4_T5_mT6_P12ihipStream_tbENKUlT_T0_E_clISt17integral_constantIbLb1EEST_IbLb0EEEEDaSP_SQ_EUlSP_E_NS1_11comp_targetILNS1_3genE10ELNS1_11target_archE1201ELNS1_3gpuE5ELNS1_3repE0EEENS1_30default_config_static_selectorELNS0_4arch9wavefront6targetE1EEEvT1_
    .private_segment_fixed_size: 0
    .sgpr_count:     4
    .sgpr_spill_count: 0
    .symbol:         _ZN7rocprim17ROCPRIM_400000_NS6detail17trampoline_kernelINS0_14default_configENS1_20scan_config_selectorIsEEZZNS1_9scan_implILNS1_25lookback_scan_determinismE0ELb0ELb0ES3_N6thrust23THRUST_200600_302600_NS6detail15normal_iteratorINS9_10device_ptrIsEEEESE_sNS9_4plusIvEEsEEDaPvRmT3_T4_T5_mT6_P12ihipStream_tbENKUlT_T0_E_clISt17integral_constantIbLb1EEST_IbLb0EEEEDaSP_SQ_EUlSP_E_NS1_11comp_targetILNS1_3genE10ELNS1_11target_archE1201ELNS1_3gpuE5ELNS1_3repE0EEENS1_30default_config_static_selectorELNS0_4arch9wavefront6targetE1EEEvT1_.kd
    .uniform_work_group_size: 1
    .uses_dynamic_stack: false
    .vgpr_count:     0
    .vgpr_spill_count: 0
    .wavefront_size: 64
  - .agpr_count:     0
    .args:
      - .offset:         0
        .size:           96
        .value_kind:     by_value
    .group_segment_fixed_size: 0
    .kernarg_segment_align: 8
    .kernarg_segment_size: 96
    .language:       OpenCL C
    .language_version:
      - 2
      - 0
    .max_flat_workgroup_size: 256
    .name:           _ZN7rocprim17ROCPRIM_400000_NS6detail17trampoline_kernelINS0_14default_configENS1_20scan_config_selectorIsEEZZNS1_9scan_implILNS1_25lookback_scan_determinismE0ELb0ELb0ES3_N6thrust23THRUST_200600_302600_NS6detail15normal_iteratorINS9_10device_ptrIsEEEESE_sNS9_4plusIvEEsEEDaPvRmT3_T4_T5_mT6_P12ihipStream_tbENKUlT_T0_E_clISt17integral_constantIbLb1EEST_IbLb0EEEEDaSP_SQ_EUlSP_E_NS1_11comp_targetILNS1_3genE10ELNS1_11target_archE1200ELNS1_3gpuE4ELNS1_3repE0EEENS1_30default_config_static_selectorELNS0_4arch9wavefront6targetE1EEEvT1_
    .private_segment_fixed_size: 0
    .sgpr_count:     4
    .sgpr_spill_count: 0
    .symbol:         _ZN7rocprim17ROCPRIM_400000_NS6detail17trampoline_kernelINS0_14default_configENS1_20scan_config_selectorIsEEZZNS1_9scan_implILNS1_25lookback_scan_determinismE0ELb0ELb0ES3_N6thrust23THRUST_200600_302600_NS6detail15normal_iteratorINS9_10device_ptrIsEEEESE_sNS9_4plusIvEEsEEDaPvRmT3_T4_T5_mT6_P12ihipStream_tbENKUlT_T0_E_clISt17integral_constantIbLb1EEST_IbLb0EEEEDaSP_SQ_EUlSP_E_NS1_11comp_targetILNS1_3genE10ELNS1_11target_archE1200ELNS1_3gpuE4ELNS1_3repE0EEENS1_30default_config_static_selectorELNS0_4arch9wavefront6targetE1EEEvT1_.kd
    .uniform_work_group_size: 1
    .uses_dynamic_stack: false
    .vgpr_count:     0
    .vgpr_spill_count: 0
    .wavefront_size: 64
  - .agpr_count:     0
    .args:
      - .offset:         0
        .size:           96
        .value_kind:     by_value
    .group_segment_fixed_size: 0
    .kernarg_segment_align: 8
    .kernarg_segment_size: 96
    .language:       OpenCL C
    .language_version:
      - 2
      - 0
    .max_flat_workgroup_size: 64
    .name:           _ZN7rocprim17ROCPRIM_400000_NS6detail17trampoline_kernelINS0_14default_configENS1_20scan_config_selectorIsEEZZNS1_9scan_implILNS1_25lookback_scan_determinismE0ELb0ELb0ES3_N6thrust23THRUST_200600_302600_NS6detail15normal_iteratorINS9_10device_ptrIsEEEESE_sNS9_4plusIvEEsEEDaPvRmT3_T4_T5_mT6_P12ihipStream_tbENKUlT_T0_E_clISt17integral_constantIbLb1EEST_IbLb0EEEEDaSP_SQ_EUlSP_E_NS1_11comp_targetILNS1_3genE9ELNS1_11target_archE1100ELNS1_3gpuE3ELNS1_3repE0EEENS1_30default_config_static_selectorELNS0_4arch9wavefront6targetE1EEEvT1_
    .private_segment_fixed_size: 0
    .sgpr_count:     4
    .sgpr_spill_count: 0
    .symbol:         _ZN7rocprim17ROCPRIM_400000_NS6detail17trampoline_kernelINS0_14default_configENS1_20scan_config_selectorIsEEZZNS1_9scan_implILNS1_25lookback_scan_determinismE0ELb0ELb0ES3_N6thrust23THRUST_200600_302600_NS6detail15normal_iteratorINS9_10device_ptrIsEEEESE_sNS9_4plusIvEEsEEDaPvRmT3_T4_T5_mT6_P12ihipStream_tbENKUlT_T0_E_clISt17integral_constantIbLb1EEST_IbLb0EEEEDaSP_SQ_EUlSP_E_NS1_11comp_targetILNS1_3genE9ELNS1_11target_archE1100ELNS1_3gpuE3ELNS1_3repE0EEENS1_30default_config_static_selectorELNS0_4arch9wavefront6targetE1EEEvT1_.kd
    .uniform_work_group_size: 1
    .uses_dynamic_stack: false
    .vgpr_count:     0
    .vgpr_spill_count: 0
    .wavefront_size: 64
  - .agpr_count:     0
    .args:
      - .offset:         0
        .size:           96
        .value_kind:     by_value
    .group_segment_fixed_size: 0
    .kernarg_segment_align: 8
    .kernarg_segment_size: 96
    .language:       OpenCL C
    .language_version:
      - 2
      - 0
    .max_flat_workgroup_size: 64
    .name:           _ZN7rocprim17ROCPRIM_400000_NS6detail17trampoline_kernelINS0_14default_configENS1_20scan_config_selectorIsEEZZNS1_9scan_implILNS1_25lookback_scan_determinismE0ELb0ELb0ES3_N6thrust23THRUST_200600_302600_NS6detail15normal_iteratorINS9_10device_ptrIsEEEESE_sNS9_4plusIvEEsEEDaPvRmT3_T4_T5_mT6_P12ihipStream_tbENKUlT_T0_E_clISt17integral_constantIbLb1EEST_IbLb0EEEEDaSP_SQ_EUlSP_E_NS1_11comp_targetILNS1_3genE8ELNS1_11target_archE1030ELNS1_3gpuE2ELNS1_3repE0EEENS1_30default_config_static_selectorELNS0_4arch9wavefront6targetE1EEEvT1_
    .private_segment_fixed_size: 0
    .sgpr_count:     4
    .sgpr_spill_count: 0
    .symbol:         _ZN7rocprim17ROCPRIM_400000_NS6detail17trampoline_kernelINS0_14default_configENS1_20scan_config_selectorIsEEZZNS1_9scan_implILNS1_25lookback_scan_determinismE0ELb0ELb0ES3_N6thrust23THRUST_200600_302600_NS6detail15normal_iteratorINS9_10device_ptrIsEEEESE_sNS9_4plusIvEEsEEDaPvRmT3_T4_T5_mT6_P12ihipStream_tbENKUlT_T0_E_clISt17integral_constantIbLb1EEST_IbLb0EEEEDaSP_SQ_EUlSP_E_NS1_11comp_targetILNS1_3genE8ELNS1_11target_archE1030ELNS1_3gpuE2ELNS1_3repE0EEENS1_30default_config_static_selectorELNS0_4arch9wavefront6targetE1EEEvT1_.kd
    .uniform_work_group_size: 1
    .uses_dynamic_stack: false
    .vgpr_count:     0
    .vgpr_spill_count: 0
    .wavefront_size: 64
  - .agpr_count:     0
    .args:
      - .offset:         0
        .size:           32
        .value_kind:     by_value
    .group_segment_fixed_size: 0
    .kernarg_segment_align: 8
    .kernarg_segment_size: 32
    .language:       OpenCL C
    .language_version:
      - 2
      - 0
    .max_flat_workgroup_size: 128
    .name:           _ZN7rocprim17ROCPRIM_400000_NS6detail17trampoline_kernelINS0_14default_configENS1_20scan_config_selectorIsEEZZNS1_9scan_implILNS1_25lookback_scan_determinismE0ELb0ELb0ES3_N6thrust23THRUST_200600_302600_NS6detail15normal_iteratorINS9_10device_ptrIsEEEESE_sNS9_4plusIvEEsEEDaPvRmT3_T4_T5_mT6_P12ihipStream_tbENKUlT_T0_E_clISt17integral_constantIbLb1EEST_IbLb0EEEEDaSP_SQ_EUlSP_E0_NS1_11comp_targetILNS1_3genE0ELNS1_11target_archE4294967295ELNS1_3gpuE0ELNS1_3repE0EEENS1_30default_config_static_selectorELNS0_4arch9wavefront6targetE1EEEvT1_
    .private_segment_fixed_size: 0
    .sgpr_count:     4
    .sgpr_spill_count: 0
    .symbol:         _ZN7rocprim17ROCPRIM_400000_NS6detail17trampoline_kernelINS0_14default_configENS1_20scan_config_selectorIsEEZZNS1_9scan_implILNS1_25lookback_scan_determinismE0ELb0ELb0ES3_N6thrust23THRUST_200600_302600_NS6detail15normal_iteratorINS9_10device_ptrIsEEEESE_sNS9_4plusIvEEsEEDaPvRmT3_T4_T5_mT6_P12ihipStream_tbENKUlT_T0_E_clISt17integral_constantIbLb1EEST_IbLb0EEEEDaSP_SQ_EUlSP_E0_NS1_11comp_targetILNS1_3genE0ELNS1_11target_archE4294967295ELNS1_3gpuE0ELNS1_3repE0EEENS1_30default_config_static_selectorELNS0_4arch9wavefront6targetE1EEEvT1_.kd
    .uniform_work_group_size: 1
    .uses_dynamic_stack: false
    .vgpr_count:     0
    .vgpr_spill_count: 0
    .wavefront_size: 64
  - .agpr_count:     0
    .args:
      - .offset:         0
        .size:           32
        .value_kind:     by_value
    .group_segment_fixed_size: 0
    .kernarg_segment_align: 8
    .kernarg_segment_size: 32
    .language:       OpenCL C
    .language_version:
      - 2
      - 0
    .max_flat_workgroup_size: 256
    .name:           _ZN7rocprim17ROCPRIM_400000_NS6detail17trampoline_kernelINS0_14default_configENS1_20scan_config_selectorIsEEZZNS1_9scan_implILNS1_25lookback_scan_determinismE0ELb0ELb0ES3_N6thrust23THRUST_200600_302600_NS6detail15normal_iteratorINS9_10device_ptrIsEEEESE_sNS9_4plusIvEEsEEDaPvRmT3_T4_T5_mT6_P12ihipStream_tbENKUlT_T0_E_clISt17integral_constantIbLb1EEST_IbLb0EEEEDaSP_SQ_EUlSP_E0_NS1_11comp_targetILNS1_3genE5ELNS1_11target_archE942ELNS1_3gpuE9ELNS1_3repE0EEENS1_30default_config_static_selectorELNS0_4arch9wavefront6targetE1EEEvT1_
    .private_segment_fixed_size: 0
    .sgpr_count:     4
    .sgpr_spill_count: 0
    .symbol:         _ZN7rocprim17ROCPRIM_400000_NS6detail17trampoline_kernelINS0_14default_configENS1_20scan_config_selectorIsEEZZNS1_9scan_implILNS1_25lookback_scan_determinismE0ELb0ELb0ES3_N6thrust23THRUST_200600_302600_NS6detail15normal_iteratorINS9_10device_ptrIsEEEESE_sNS9_4plusIvEEsEEDaPvRmT3_T4_T5_mT6_P12ihipStream_tbENKUlT_T0_E_clISt17integral_constantIbLb1EEST_IbLb0EEEEDaSP_SQ_EUlSP_E0_NS1_11comp_targetILNS1_3genE5ELNS1_11target_archE942ELNS1_3gpuE9ELNS1_3repE0EEENS1_30default_config_static_selectorELNS0_4arch9wavefront6targetE1EEEvT1_.kd
    .uniform_work_group_size: 1
    .uses_dynamic_stack: false
    .vgpr_count:     0
    .vgpr_spill_count: 0
    .wavefront_size: 64
  - .agpr_count:     0
    .args:
      - .offset:         0
        .size:           32
        .value_kind:     by_value
    .group_segment_fixed_size: 3072
    .kernarg_segment_align: 8
    .kernarg_segment_size: 32
    .language:       OpenCL C
    .language_version:
      - 2
      - 0
    .max_flat_workgroup_size: 64
    .name:           _ZN7rocprim17ROCPRIM_400000_NS6detail17trampoline_kernelINS0_14default_configENS1_20scan_config_selectorIsEEZZNS1_9scan_implILNS1_25lookback_scan_determinismE0ELb0ELb0ES3_N6thrust23THRUST_200600_302600_NS6detail15normal_iteratorINS9_10device_ptrIsEEEESE_sNS9_4plusIvEEsEEDaPvRmT3_T4_T5_mT6_P12ihipStream_tbENKUlT_T0_E_clISt17integral_constantIbLb1EEST_IbLb0EEEEDaSP_SQ_EUlSP_E0_NS1_11comp_targetILNS1_3genE4ELNS1_11target_archE910ELNS1_3gpuE8ELNS1_3repE0EEENS1_30default_config_static_selectorELNS0_4arch9wavefront6targetE1EEEvT1_
    .private_segment_fixed_size: 0
    .sgpr_count:     60
    .sgpr_spill_count: 0
    .symbol:         _ZN7rocprim17ROCPRIM_400000_NS6detail17trampoline_kernelINS0_14default_configENS1_20scan_config_selectorIsEEZZNS1_9scan_implILNS1_25lookback_scan_determinismE0ELb0ELb0ES3_N6thrust23THRUST_200600_302600_NS6detail15normal_iteratorINS9_10device_ptrIsEEEESE_sNS9_4plusIvEEsEEDaPvRmT3_T4_T5_mT6_P12ihipStream_tbENKUlT_T0_E_clISt17integral_constantIbLb1EEST_IbLb0EEEEDaSP_SQ_EUlSP_E0_NS1_11comp_targetILNS1_3genE4ELNS1_11target_archE910ELNS1_3gpuE8ELNS1_3repE0EEENS1_30default_config_static_selectorELNS0_4arch9wavefront6targetE1EEEvT1_.kd
    .uniform_work_group_size: 1
    .uses_dynamic_stack: false
    .vgpr_count:     42
    .vgpr_spill_count: 0
    .wavefront_size: 64
  - .agpr_count:     0
    .args:
      - .offset:         0
        .size:           32
        .value_kind:     by_value
    .group_segment_fixed_size: 0
    .kernarg_segment_align: 8
    .kernarg_segment_size: 32
    .language:       OpenCL C
    .language_version:
      - 2
      - 0
    .max_flat_workgroup_size: 128
    .name:           _ZN7rocprim17ROCPRIM_400000_NS6detail17trampoline_kernelINS0_14default_configENS1_20scan_config_selectorIsEEZZNS1_9scan_implILNS1_25lookback_scan_determinismE0ELb0ELb0ES3_N6thrust23THRUST_200600_302600_NS6detail15normal_iteratorINS9_10device_ptrIsEEEESE_sNS9_4plusIvEEsEEDaPvRmT3_T4_T5_mT6_P12ihipStream_tbENKUlT_T0_E_clISt17integral_constantIbLb1EEST_IbLb0EEEEDaSP_SQ_EUlSP_E0_NS1_11comp_targetILNS1_3genE3ELNS1_11target_archE908ELNS1_3gpuE7ELNS1_3repE0EEENS1_30default_config_static_selectorELNS0_4arch9wavefront6targetE1EEEvT1_
    .private_segment_fixed_size: 0
    .sgpr_count:     4
    .sgpr_spill_count: 0
    .symbol:         _ZN7rocprim17ROCPRIM_400000_NS6detail17trampoline_kernelINS0_14default_configENS1_20scan_config_selectorIsEEZZNS1_9scan_implILNS1_25lookback_scan_determinismE0ELb0ELb0ES3_N6thrust23THRUST_200600_302600_NS6detail15normal_iteratorINS9_10device_ptrIsEEEESE_sNS9_4plusIvEEsEEDaPvRmT3_T4_T5_mT6_P12ihipStream_tbENKUlT_T0_E_clISt17integral_constantIbLb1EEST_IbLb0EEEEDaSP_SQ_EUlSP_E0_NS1_11comp_targetILNS1_3genE3ELNS1_11target_archE908ELNS1_3gpuE7ELNS1_3repE0EEENS1_30default_config_static_selectorELNS0_4arch9wavefront6targetE1EEEvT1_.kd
    .uniform_work_group_size: 1
    .uses_dynamic_stack: false
    .vgpr_count:     0
    .vgpr_spill_count: 0
    .wavefront_size: 64
  - .agpr_count:     0
    .args:
      - .offset:         0
        .size:           32
        .value_kind:     by_value
    .group_segment_fixed_size: 0
    .kernarg_segment_align: 8
    .kernarg_segment_size: 32
    .language:       OpenCL C
    .language_version:
      - 2
      - 0
    .max_flat_workgroup_size: 256
    .name:           _ZN7rocprim17ROCPRIM_400000_NS6detail17trampoline_kernelINS0_14default_configENS1_20scan_config_selectorIsEEZZNS1_9scan_implILNS1_25lookback_scan_determinismE0ELb0ELb0ES3_N6thrust23THRUST_200600_302600_NS6detail15normal_iteratorINS9_10device_ptrIsEEEESE_sNS9_4plusIvEEsEEDaPvRmT3_T4_T5_mT6_P12ihipStream_tbENKUlT_T0_E_clISt17integral_constantIbLb1EEST_IbLb0EEEEDaSP_SQ_EUlSP_E0_NS1_11comp_targetILNS1_3genE2ELNS1_11target_archE906ELNS1_3gpuE6ELNS1_3repE0EEENS1_30default_config_static_selectorELNS0_4arch9wavefront6targetE1EEEvT1_
    .private_segment_fixed_size: 0
    .sgpr_count:     4
    .sgpr_spill_count: 0
    .symbol:         _ZN7rocprim17ROCPRIM_400000_NS6detail17trampoline_kernelINS0_14default_configENS1_20scan_config_selectorIsEEZZNS1_9scan_implILNS1_25lookback_scan_determinismE0ELb0ELb0ES3_N6thrust23THRUST_200600_302600_NS6detail15normal_iteratorINS9_10device_ptrIsEEEESE_sNS9_4plusIvEEsEEDaPvRmT3_T4_T5_mT6_P12ihipStream_tbENKUlT_T0_E_clISt17integral_constantIbLb1EEST_IbLb0EEEEDaSP_SQ_EUlSP_E0_NS1_11comp_targetILNS1_3genE2ELNS1_11target_archE906ELNS1_3gpuE6ELNS1_3repE0EEENS1_30default_config_static_selectorELNS0_4arch9wavefront6targetE1EEEvT1_.kd
    .uniform_work_group_size: 1
    .uses_dynamic_stack: false
    .vgpr_count:     0
    .vgpr_spill_count: 0
    .wavefront_size: 64
  - .agpr_count:     0
    .args:
      - .offset:         0
        .size:           32
        .value_kind:     by_value
    .group_segment_fixed_size: 0
    .kernarg_segment_align: 8
    .kernarg_segment_size: 32
    .language:       OpenCL C
    .language_version:
      - 2
      - 0
    .max_flat_workgroup_size: 256
    .name:           _ZN7rocprim17ROCPRIM_400000_NS6detail17trampoline_kernelINS0_14default_configENS1_20scan_config_selectorIsEEZZNS1_9scan_implILNS1_25lookback_scan_determinismE0ELb0ELb0ES3_N6thrust23THRUST_200600_302600_NS6detail15normal_iteratorINS9_10device_ptrIsEEEESE_sNS9_4plusIvEEsEEDaPvRmT3_T4_T5_mT6_P12ihipStream_tbENKUlT_T0_E_clISt17integral_constantIbLb1EEST_IbLb0EEEEDaSP_SQ_EUlSP_E0_NS1_11comp_targetILNS1_3genE10ELNS1_11target_archE1201ELNS1_3gpuE5ELNS1_3repE0EEENS1_30default_config_static_selectorELNS0_4arch9wavefront6targetE1EEEvT1_
    .private_segment_fixed_size: 0
    .sgpr_count:     4
    .sgpr_spill_count: 0
    .symbol:         _ZN7rocprim17ROCPRIM_400000_NS6detail17trampoline_kernelINS0_14default_configENS1_20scan_config_selectorIsEEZZNS1_9scan_implILNS1_25lookback_scan_determinismE0ELb0ELb0ES3_N6thrust23THRUST_200600_302600_NS6detail15normal_iteratorINS9_10device_ptrIsEEEESE_sNS9_4plusIvEEsEEDaPvRmT3_T4_T5_mT6_P12ihipStream_tbENKUlT_T0_E_clISt17integral_constantIbLb1EEST_IbLb0EEEEDaSP_SQ_EUlSP_E0_NS1_11comp_targetILNS1_3genE10ELNS1_11target_archE1201ELNS1_3gpuE5ELNS1_3repE0EEENS1_30default_config_static_selectorELNS0_4arch9wavefront6targetE1EEEvT1_.kd
    .uniform_work_group_size: 1
    .uses_dynamic_stack: false
    .vgpr_count:     0
    .vgpr_spill_count: 0
    .wavefront_size: 64
  - .agpr_count:     0
    .args:
      - .offset:         0
        .size:           32
        .value_kind:     by_value
    .group_segment_fixed_size: 0
    .kernarg_segment_align: 8
    .kernarg_segment_size: 32
    .language:       OpenCL C
    .language_version:
      - 2
      - 0
    .max_flat_workgroup_size: 256
    .name:           _ZN7rocprim17ROCPRIM_400000_NS6detail17trampoline_kernelINS0_14default_configENS1_20scan_config_selectorIsEEZZNS1_9scan_implILNS1_25lookback_scan_determinismE0ELb0ELb0ES3_N6thrust23THRUST_200600_302600_NS6detail15normal_iteratorINS9_10device_ptrIsEEEESE_sNS9_4plusIvEEsEEDaPvRmT3_T4_T5_mT6_P12ihipStream_tbENKUlT_T0_E_clISt17integral_constantIbLb1EEST_IbLb0EEEEDaSP_SQ_EUlSP_E0_NS1_11comp_targetILNS1_3genE10ELNS1_11target_archE1200ELNS1_3gpuE4ELNS1_3repE0EEENS1_30default_config_static_selectorELNS0_4arch9wavefront6targetE1EEEvT1_
    .private_segment_fixed_size: 0
    .sgpr_count:     4
    .sgpr_spill_count: 0
    .symbol:         _ZN7rocprim17ROCPRIM_400000_NS6detail17trampoline_kernelINS0_14default_configENS1_20scan_config_selectorIsEEZZNS1_9scan_implILNS1_25lookback_scan_determinismE0ELb0ELb0ES3_N6thrust23THRUST_200600_302600_NS6detail15normal_iteratorINS9_10device_ptrIsEEEESE_sNS9_4plusIvEEsEEDaPvRmT3_T4_T5_mT6_P12ihipStream_tbENKUlT_T0_E_clISt17integral_constantIbLb1EEST_IbLb0EEEEDaSP_SQ_EUlSP_E0_NS1_11comp_targetILNS1_3genE10ELNS1_11target_archE1200ELNS1_3gpuE4ELNS1_3repE0EEENS1_30default_config_static_selectorELNS0_4arch9wavefront6targetE1EEEvT1_.kd
    .uniform_work_group_size: 1
    .uses_dynamic_stack: false
    .vgpr_count:     0
    .vgpr_spill_count: 0
    .wavefront_size: 64
  - .agpr_count:     0
    .args:
      - .offset:         0
        .size:           32
        .value_kind:     by_value
    .group_segment_fixed_size: 0
    .kernarg_segment_align: 8
    .kernarg_segment_size: 32
    .language:       OpenCL C
    .language_version:
      - 2
      - 0
    .max_flat_workgroup_size: 64
    .name:           _ZN7rocprim17ROCPRIM_400000_NS6detail17trampoline_kernelINS0_14default_configENS1_20scan_config_selectorIsEEZZNS1_9scan_implILNS1_25lookback_scan_determinismE0ELb0ELb0ES3_N6thrust23THRUST_200600_302600_NS6detail15normal_iteratorINS9_10device_ptrIsEEEESE_sNS9_4plusIvEEsEEDaPvRmT3_T4_T5_mT6_P12ihipStream_tbENKUlT_T0_E_clISt17integral_constantIbLb1EEST_IbLb0EEEEDaSP_SQ_EUlSP_E0_NS1_11comp_targetILNS1_3genE9ELNS1_11target_archE1100ELNS1_3gpuE3ELNS1_3repE0EEENS1_30default_config_static_selectorELNS0_4arch9wavefront6targetE1EEEvT1_
    .private_segment_fixed_size: 0
    .sgpr_count:     4
    .sgpr_spill_count: 0
    .symbol:         _ZN7rocprim17ROCPRIM_400000_NS6detail17trampoline_kernelINS0_14default_configENS1_20scan_config_selectorIsEEZZNS1_9scan_implILNS1_25lookback_scan_determinismE0ELb0ELb0ES3_N6thrust23THRUST_200600_302600_NS6detail15normal_iteratorINS9_10device_ptrIsEEEESE_sNS9_4plusIvEEsEEDaPvRmT3_T4_T5_mT6_P12ihipStream_tbENKUlT_T0_E_clISt17integral_constantIbLb1EEST_IbLb0EEEEDaSP_SQ_EUlSP_E0_NS1_11comp_targetILNS1_3genE9ELNS1_11target_archE1100ELNS1_3gpuE3ELNS1_3repE0EEENS1_30default_config_static_selectorELNS0_4arch9wavefront6targetE1EEEvT1_.kd
    .uniform_work_group_size: 1
    .uses_dynamic_stack: false
    .vgpr_count:     0
    .vgpr_spill_count: 0
    .wavefront_size: 64
  - .agpr_count:     0
    .args:
      - .offset:         0
        .size:           32
        .value_kind:     by_value
    .group_segment_fixed_size: 0
    .kernarg_segment_align: 8
    .kernarg_segment_size: 32
    .language:       OpenCL C
    .language_version:
      - 2
      - 0
    .max_flat_workgroup_size: 64
    .name:           _ZN7rocprim17ROCPRIM_400000_NS6detail17trampoline_kernelINS0_14default_configENS1_20scan_config_selectorIsEEZZNS1_9scan_implILNS1_25lookback_scan_determinismE0ELb0ELb0ES3_N6thrust23THRUST_200600_302600_NS6detail15normal_iteratorINS9_10device_ptrIsEEEESE_sNS9_4plusIvEEsEEDaPvRmT3_T4_T5_mT6_P12ihipStream_tbENKUlT_T0_E_clISt17integral_constantIbLb1EEST_IbLb0EEEEDaSP_SQ_EUlSP_E0_NS1_11comp_targetILNS1_3genE8ELNS1_11target_archE1030ELNS1_3gpuE2ELNS1_3repE0EEENS1_30default_config_static_selectorELNS0_4arch9wavefront6targetE1EEEvT1_
    .private_segment_fixed_size: 0
    .sgpr_count:     4
    .sgpr_spill_count: 0
    .symbol:         _ZN7rocprim17ROCPRIM_400000_NS6detail17trampoline_kernelINS0_14default_configENS1_20scan_config_selectorIsEEZZNS1_9scan_implILNS1_25lookback_scan_determinismE0ELb0ELb0ES3_N6thrust23THRUST_200600_302600_NS6detail15normal_iteratorINS9_10device_ptrIsEEEESE_sNS9_4plusIvEEsEEDaPvRmT3_T4_T5_mT6_P12ihipStream_tbENKUlT_T0_E_clISt17integral_constantIbLb1EEST_IbLb0EEEEDaSP_SQ_EUlSP_E0_NS1_11comp_targetILNS1_3genE8ELNS1_11target_archE1030ELNS1_3gpuE2ELNS1_3repE0EEENS1_30default_config_static_selectorELNS0_4arch9wavefront6targetE1EEEvT1_.kd
    .uniform_work_group_size: 1
    .uses_dynamic_stack: false
    .vgpr_count:     0
    .vgpr_spill_count: 0
    .wavefront_size: 64
  - .agpr_count:     0
    .args:
      - .address_space:  global
        .offset:         0
        .size:           8
        .value_kind:     global_buffer
      - .offset:         8
        .size:           4
        .value_kind:     by_value
      - .address_space:  global
        .offset:         16
        .size:           8
        .value_kind:     global_buffer
      - .offset:         24
        .size:           4
        .value_kind:     by_value
      - .address_space:  global
        .offset:         32
        .size:           8
        .value_kind:     global_buffer
      - .offset:         40
        .size:           4
        .value_kind:     hidden_block_count_x
      - .offset:         44
        .size:           4
        .value_kind:     hidden_block_count_y
      - .offset:         48
        .size:           4
        .value_kind:     hidden_block_count_z
      - .offset:         52
        .size:           2
        .value_kind:     hidden_group_size_x
      - .offset:         54
        .size:           2
        .value_kind:     hidden_group_size_y
      - .offset:         56
        .size:           2
        .value_kind:     hidden_group_size_z
      - .offset:         58
        .size:           2
        .value_kind:     hidden_remainder_x
      - .offset:         60
        .size:           2
        .value_kind:     hidden_remainder_y
      - .offset:         62
        .size:           2
        .value_kind:     hidden_remainder_z
      - .offset:         80
        .size:           8
        .value_kind:     hidden_global_offset_x
      - .offset:         88
        .size:           8
        .value_kind:     hidden_global_offset_y
      - .offset:         96
        .size:           8
        .value_kind:     hidden_global_offset_z
      - .offset:         104
        .size:           2
        .value_kind:     hidden_grid_dims
    .group_segment_fixed_size: 0
    .kernarg_segment_align: 8
    .kernarg_segment_size: 296
    .language:       OpenCL C
    .language_version:
      - 2
      - 0
    .max_flat_workgroup_size: 256
    .name:           _ZN7rocprim17ROCPRIM_400000_NS6detail31init_lookback_scan_state_kernelINS1_19lookback_scan_stateIsLb0ELb1EEENS1_16block_id_wrapperIjLb1EEEEEvT_jT0_jPNS7_10value_typeE
    .private_segment_fixed_size: 0
    .sgpr_count:     15
    .sgpr_spill_count: 0
    .symbol:         _ZN7rocprim17ROCPRIM_400000_NS6detail31init_lookback_scan_state_kernelINS1_19lookback_scan_stateIsLb0ELb1EEENS1_16block_id_wrapperIjLb1EEEEEvT_jT0_jPNS7_10value_typeE.kd
    .uniform_work_group_size: 1
    .uses_dynamic_stack: false
    .vgpr_count:     6
    .vgpr_spill_count: 0
    .wavefront_size: 64
  - .agpr_count:     0
    .args:
      - .offset:         0
        .size:           96
        .value_kind:     by_value
    .group_segment_fixed_size: 0
    .kernarg_segment_align: 8
    .kernarg_segment_size: 96
    .language:       OpenCL C
    .language_version:
      - 2
      - 0
    .max_flat_workgroup_size: 128
    .name:           _ZN7rocprim17ROCPRIM_400000_NS6detail17trampoline_kernelINS0_14default_configENS1_20scan_config_selectorIsEEZZNS1_9scan_implILNS1_25lookback_scan_determinismE0ELb0ELb0ES3_N6thrust23THRUST_200600_302600_NS6detail15normal_iteratorINS9_10device_ptrIsEEEESE_sNS9_4plusIvEEsEEDaPvRmT3_T4_T5_mT6_P12ihipStream_tbENKUlT_T0_E_clISt17integral_constantIbLb0EEST_IbLb1EEEEDaSP_SQ_EUlSP_E_NS1_11comp_targetILNS1_3genE0ELNS1_11target_archE4294967295ELNS1_3gpuE0ELNS1_3repE0EEENS1_30default_config_static_selectorELNS0_4arch9wavefront6targetE1EEEvT1_
    .private_segment_fixed_size: 0
    .sgpr_count:     4
    .sgpr_spill_count: 0
    .symbol:         _ZN7rocprim17ROCPRIM_400000_NS6detail17trampoline_kernelINS0_14default_configENS1_20scan_config_selectorIsEEZZNS1_9scan_implILNS1_25lookback_scan_determinismE0ELb0ELb0ES3_N6thrust23THRUST_200600_302600_NS6detail15normal_iteratorINS9_10device_ptrIsEEEESE_sNS9_4plusIvEEsEEDaPvRmT3_T4_T5_mT6_P12ihipStream_tbENKUlT_T0_E_clISt17integral_constantIbLb0EEST_IbLb1EEEEDaSP_SQ_EUlSP_E_NS1_11comp_targetILNS1_3genE0ELNS1_11target_archE4294967295ELNS1_3gpuE0ELNS1_3repE0EEENS1_30default_config_static_selectorELNS0_4arch9wavefront6targetE1EEEvT1_.kd
    .uniform_work_group_size: 1
    .uses_dynamic_stack: false
    .vgpr_count:     0
    .vgpr_spill_count: 0
    .wavefront_size: 64
  - .agpr_count:     0
    .args:
      - .offset:         0
        .size:           96
        .value_kind:     by_value
    .group_segment_fixed_size: 0
    .kernarg_segment_align: 8
    .kernarg_segment_size: 96
    .language:       OpenCL C
    .language_version:
      - 2
      - 0
    .max_flat_workgroup_size: 256
    .name:           _ZN7rocprim17ROCPRIM_400000_NS6detail17trampoline_kernelINS0_14default_configENS1_20scan_config_selectorIsEEZZNS1_9scan_implILNS1_25lookback_scan_determinismE0ELb0ELb0ES3_N6thrust23THRUST_200600_302600_NS6detail15normal_iteratorINS9_10device_ptrIsEEEESE_sNS9_4plusIvEEsEEDaPvRmT3_T4_T5_mT6_P12ihipStream_tbENKUlT_T0_E_clISt17integral_constantIbLb0EEST_IbLb1EEEEDaSP_SQ_EUlSP_E_NS1_11comp_targetILNS1_3genE5ELNS1_11target_archE942ELNS1_3gpuE9ELNS1_3repE0EEENS1_30default_config_static_selectorELNS0_4arch9wavefront6targetE1EEEvT1_
    .private_segment_fixed_size: 0
    .sgpr_count:     4
    .sgpr_spill_count: 0
    .symbol:         _ZN7rocprim17ROCPRIM_400000_NS6detail17trampoline_kernelINS0_14default_configENS1_20scan_config_selectorIsEEZZNS1_9scan_implILNS1_25lookback_scan_determinismE0ELb0ELb0ES3_N6thrust23THRUST_200600_302600_NS6detail15normal_iteratorINS9_10device_ptrIsEEEESE_sNS9_4plusIvEEsEEDaPvRmT3_T4_T5_mT6_P12ihipStream_tbENKUlT_T0_E_clISt17integral_constantIbLb0EEST_IbLb1EEEEDaSP_SQ_EUlSP_E_NS1_11comp_targetILNS1_3genE5ELNS1_11target_archE942ELNS1_3gpuE9ELNS1_3repE0EEENS1_30default_config_static_selectorELNS0_4arch9wavefront6targetE1EEEvT1_.kd
    .uniform_work_group_size: 1
    .uses_dynamic_stack: false
    .vgpr_count:     0
    .vgpr_spill_count: 0
    .wavefront_size: 64
  - .agpr_count:     0
    .args:
      - .offset:         0
        .size:           96
        .value_kind:     by_value
    .group_segment_fixed_size: 3072
    .kernarg_segment_align: 8
    .kernarg_segment_size: 96
    .language:       OpenCL C
    .language_version:
      - 2
      - 0
    .max_flat_workgroup_size: 64
    .name:           _ZN7rocprim17ROCPRIM_400000_NS6detail17trampoline_kernelINS0_14default_configENS1_20scan_config_selectorIsEEZZNS1_9scan_implILNS1_25lookback_scan_determinismE0ELb0ELb0ES3_N6thrust23THRUST_200600_302600_NS6detail15normal_iteratorINS9_10device_ptrIsEEEESE_sNS9_4plusIvEEsEEDaPvRmT3_T4_T5_mT6_P12ihipStream_tbENKUlT_T0_E_clISt17integral_constantIbLb0EEST_IbLb1EEEEDaSP_SQ_EUlSP_E_NS1_11comp_targetILNS1_3genE4ELNS1_11target_archE910ELNS1_3gpuE8ELNS1_3repE0EEENS1_30default_config_static_selectorELNS0_4arch9wavefront6targetE1EEEvT1_
    .private_segment_fixed_size: 0
    .sgpr_count:     40
    .sgpr_spill_count: 0
    .symbol:         _ZN7rocprim17ROCPRIM_400000_NS6detail17trampoline_kernelINS0_14default_configENS1_20scan_config_selectorIsEEZZNS1_9scan_implILNS1_25lookback_scan_determinismE0ELb0ELb0ES3_N6thrust23THRUST_200600_302600_NS6detail15normal_iteratorINS9_10device_ptrIsEEEESE_sNS9_4plusIvEEsEEDaPvRmT3_T4_T5_mT6_P12ihipStream_tbENKUlT_T0_E_clISt17integral_constantIbLb0EEST_IbLb1EEEEDaSP_SQ_EUlSP_E_NS1_11comp_targetILNS1_3genE4ELNS1_11target_archE910ELNS1_3gpuE8ELNS1_3repE0EEENS1_30default_config_static_selectorELNS0_4arch9wavefront6targetE1EEEvT1_.kd
    .uniform_work_group_size: 1
    .uses_dynamic_stack: false
    .vgpr_count:     54
    .vgpr_spill_count: 0
    .wavefront_size: 64
  - .agpr_count:     0
    .args:
      - .offset:         0
        .size:           96
        .value_kind:     by_value
    .group_segment_fixed_size: 0
    .kernarg_segment_align: 8
    .kernarg_segment_size: 96
    .language:       OpenCL C
    .language_version:
      - 2
      - 0
    .max_flat_workgroup_size: 128
    .name:           _ZN7rocprim17ROCPRIM_400000_NS6detail17trampoline_kernelINS0_14default_configENS1_20scan_config_selectorIsEEZZNS1_9scan_implILNS1_25lookback_scan_determinismE0ELb0ELb0ES3_N6thrust23THRUST_200600_302600_NS6detail15normal_iteratorINS9_10device_ptrIsEEEESE_sNS9_4plusIvEEsEEDaPvRmT3_T4_T5_mT6_P12ihipStream_tbENKUlT_T0_E_clISt17integral_constantIbLb0EEST_IbLb1EEEEDaSP_SQ_EUlSP_E_NS1_11comp_targetILNS1_3genE3ELNS1_11target_archE908ELNS1_3gpuE7ELNS1_3repE0EEENS1_30default_config_static_selectorELNS0_4arch9wavefront6targetE1EEEvT1_
    .private_segment_fixed_size: 0
    .sgpr_count:     4
    .sgpr_spill_count: 0
    .symbol:         _ZN7rocprim17ROCPRIM_400000_NS6detail17trampoline_kernelINS0_14default_configENS1_20scan_config_selectorIsEEZZNS1_9scan_implILNS1_25lookback_scan_determinismE0ELb0ELb0ES3_N6thrust23THRUST_200600_302600_NS6detail15normal_iteratorINS9_10device_ptrIsEEEESE_sNS9_4plusIvEEsEEDaPvRmT3_T4_T5_mT6_P12ihipStream_tbENKUlT_T0_E_clISt17integral_constantIbLb0EEST_IbLb1EEEEDaSP_SQ_EUlSP_E_NS1_11comp_targetILNS1_3genE3ELNS1_11target_archE908ELNS1_3gpuE7ELNS1_3repE0EEENS1_30default_config_static_selectorELNS0_4arch9wavefront6targetE1EEEvT1_.kd
    .uniform_work_group_size: 1
    .uses_dynamic_stack: false
    .vgpr_count:     0
    .vgpr_spill_count: 0
    .wavefront_size: 64
  - .agpr_count:     0
    .args:
      - .offset:         0
        .size:           96
        .value_kind:     by_value
    .group_segment_fixed_size: 0
    .kernarg_segment_align: 8
    .kernarg_segment_size: 96
    .language:       OpenCL C
    .language_version:
      - 2
      - 0
    .max_flat_workgroup_size: 256
    .name:           _ZN7rocprim17ROCPRIM_400000_NS6detail17trampoline_kernelINS0_14default_configENS1_20scan_config_selectorIsEEZZNS1_9scan_implILNS1_25lookback_scan_determinismE0ELb0ELb0ES3_N6thrust23THRUST_200600_302600_NS6detail15normal_iteratorINS9_10device_ptrIsEEEESE_sNS9_4plusIvEEsEEDaPvRmT3_T4_T5_mT6_P12ihipStream_tbENKUlT_T0_E_clISt17integral_constantIbLb0EEST_IbLb1EEEEDaSP_SQ_EUlSP_E_NS1_11comp_targetILNS1_3genE2ELNS1_11target_archE906ELNS1_3gpuE6ELNS1_3repE0EEENS1_30default_config_static_selectorELNS0_4arch9wavefront6targetE1EEEvT1_
    .private_segment_fixed_size: 0
    .sgpr_count:     4
    .sgpr_spill_count: 0
    .symbol:         _ZN7rocprim17ROCPRIM_400000_NS6detail17trampoline_kernelINS0_14default_configENS1_20scan_config_selectorIsEEZZNS1_9scan_implILNS1_25lookback_scan_determinismE0ELb0ELb0ES3_N6thrust23THRUST_200600_302600_NS6detail15normal_iteratorINS9_10device_ptrIsEEEESE_sNS9_4plusIvEEsEEDaPvRmT3_T4_T5_mT6_P12ihipStream_tbENKUlT_T0_E_clISt17integral_constantIbLb0EEST_IbLb1EEEEDaSP_SQ_EUlSP_E_NS1_11comp_targetILNS1_3genE2ELNS1_11target_archE906ELNS1_3gpuE6ELNS1_3repE0EEENS1_30default_config_static_selectorELNS0_4arch9wavefront6targetE1EEEvT1_.kd
    .uniform_work_group_size: 1
    .uses_dynamic_stack: false
    .vgpr_count:     0
    .vgpr_spill_count: 0
    .wavefront_size: 64
  - .agpr_count:     0
    .args:
      - .offset:         0
        .size:           96
        .value_kind:     by_value
    .group_segment_fixed_size: 0
    .kernarg_segment_align: 8
    .kernarg_segment_size: 96
    .language:       OpenCL C
    .language_version:
      - 2
      - 0
    .max_flat_workgroup_size: 256
    .name:           _ZN7rocprim17ROCPRIM_400000_NS6detail17trampoline_kernelINS0_14default_configENS1_20scan_config_selectorIsEEZZNS1_9scan_implILNS1_25lookback_scan_determinismE0ELb0ELb0ES3_N6thrust23THRUST_200600_302600_NS6detail15normal_iteratorINS9_10device_ptrIsEEEESE_sNS9_4plusIvEEsEEDaPvRmT3_T4_T5_mT6_P12ihipStream_tbENKUlT_T0_E_clISt17integral_constantIbLb0EEST_IbLb1EEEEDaSP_SQ_EUlSP_E_NS1_11comp_targetILNS1_3genE10ELNS1_11target_archE1201ELNS1_3gpuE5ELNS1_3repE0EEENS1_30default_config_static_selectorELNS0_4arch9wavefront6targetE1EEEvT1_
    .private_segment_fixed_size: 0
    .sgpr_count:     4
    .sgpr_spill_count: 0
    .symbol:         _ZN7rocprim17ROCPRIM_400000_NS6detail17trampoline_kernelINS0_14default_configENS1_20scan_config_selectorIsEEZZNS1_9scan_implILNS1_25lookback_scan_determinismE0ELb0ELb0ES3_N6thrust23THRUST_200600_302600_NS6detail15normal_iteratorINS9_10device_ptrIsEEEESE_sNS9_4plusIvEEsEEDaPvRmT3_T4_T5_mT6_P12ihipStream_tbENKUlT_T0_E_clISt17integral_constantIbLb0EEST_IbLb1EEEEDaSP_SQ_EUlSP_E_NS1_11comp_targetILNS1_3genE10ELNS1_11target_archE1201ELNS1_3gpuE5ELNS1_3repE0EEENS1_30default_config_static_selectorELNS0_4arch9wavefront6targetE1EEEvT1_.kd
    .uniform_work_group_size: 1
    .uses_dynamic_stack: false
    .vgpr_count:     0
    .vgpr_spill_count: 0
    .wavefront_size: 64
  - .agpr_count:     0
    .args:
      - .offset:         0
        .size:           96
        .value_kind:     by_value
    .group_segment_fixed_size: 0
    .kernarg_segment_align: 8
    .kernarg_segment_size: 96
    .language:       OpenCL C
    .language_version:
      - 2
      - 0
    .max_flat_workgroup_size: 256
    .name:           _ZN7rocprim17ROCPRIM_400000_NS6detail17trampoline_kernelINS0_14default_configENS1_20scan_config_selectorIsEEZZNS1_9scan_implILNS1_25lookback_scan_determinismE0ELb0ELb0ES3_N6thrust23THRUST_200600_302600_NS6detail15normal_iteratorINS9_10device_ptrIsEEEESE_sNS9_4plusIvEEsEEDaPvRmT3_T4_T5_mT6_P12ihipStream_tbENKUlT_T0_E_clISt17integral_constantIbLb0EEST_IbLb1EEEEDaSP_SQ_EUlSP_E_NS1_11comp_targetILNS1_3genE10ELNS1_11target_archE1200ELNS1_3gpuE4ELNS1_3repE0EEENS1_30default_config_static_selectorELNS0_4arch9wavefront6targetE1EEEvT1_
    .private_segment_fixed_size: 0
    .sgpr_count:     4
    .sgpr_spill_count: 0
    .symbol:         _ZN7rocprim17ROCPRIM_400000_NS6detail17trampoline_kernelINS0_14default_configENS1_20scan_config_selectorIsEEZZNS1_9scan_implILNS1_25lookback_scan_determinismE0ELb0ELb0ES3_N6thrust23THRUST_200600_302600_NS6detail15normal_iteratorINS9_10device_ptrIsEEEESE_sNS9_4plusIvEEsEEDaPvRmT3_T4_T5_mT6_P12ihipStream_tbENKUlT_T0_E_clISt17integral_constantIbLb0EEST_IbLb1EEEEDaSP_SQ_EUlSP_E_NS1_11comp_targetILNS1_3genE10ELNS1_11target_archE1200ELNS1_3gpuE4ELNS1_3repE0EEENS1_30default_config_static_selectorELNS0_4arch9wavefront6targetE1EEEvT1_.kd
    .uniform_work_group_size: 1
    .uses_dynamic_stack: false
    .vgpr_count:     0
    .vgpr_spill_count: 0
    .wavefront_size: 64
  - .agpr_count:     0
    .args:
      - .offset:         0
        .size:           96
        .value_kind:     by_value
    .group_segment_fixed_size: 0
    .kernarg_segment_align: 8
    .kernarg_segment_size: 96
    .language:       OpenCL C
    .language_version:
      - 2
      - 0
    .max_flat_workgroup_size: 64
    .name:           _ZN7rocprim17ROCPRIM_400000_NS6detail17trampoline_kernelINS0_14default_configENS1_20scan_config_selectorIsEEZZNS1_9scan_implILNS1_25lookback_scan_determinismE0ELb0ELb0ES3_N6thrust23THRUST_200600_302600_NS6detail15normal_iteratorINS9_10device_ptrIsEEEESE_sNS9_4plusIvEEsEEDaPvRmT3_T4_T5_mT6_P12ihipStream_tbENKUlT_T0_E_clISt17integral_constantIbLb0EEST_IbLb1EEEEDaSP_SQ_EUlSP_E_NS1_11comp_targetILNS1_3genE9ELNS1_11target_archE1100ELNS1_3gpuE3ELNS1_3repE0EEENS1_30default_config_static_selectorELNS0_4arch9wavefront6targetE1EEEvT1_
    .private_segment_fixed_size: 0
    .sgpr_count:     4
    .sgpr_spill_count: 0
    .symbol:         _ZN7rocprim17ROCPRIM_400000_NS6detail17trampoline_kernelINS0_14default_configENS1_20scan_config_selectorIsEEZZNS1_9scan_implILNS1_25lookback_scan_determinismE0ELb0ELb0ES3_N6thrust23THRUST_200600_302600_NS6detail15normal_iteratorINS9_10device_ptrIsEEEESE_sNS9_4plusIvEEsEEDaPvRmT3_T4_T5_mT6_P12ihipStream_tbENKUlT_T0_E_clISt17integral_constantIbLb0EEST_IbLb1EEEEDaSP_SQ_EUlSP_E_NS1_11comp_targetILNS1_3genE9ELNS1_11target_archE1100ELNS1_3gpuE3ELNS1_3repE0EEENS1_30default_config_static_selectorELNS0_4arch9wavefront6targetE1EEEvT1_.kd
    .uniform_work_group_size: 1
    .uses_dynamic_stack: false
    .vgpr_count:     0
    .vgpr_spill_count: 0
    .wavefront_size: 64
  - .agpr_count:     0
    .args:
      - .offset:         0
        .size:           96
        .value_kind:     by_value
    .group_segment_fixed_size: 0
    .kernarg_segment_align: 8
    .kernarg_segment_size: 96
    .language:       OpenCL C
    .language_version:
      - 2
      - 0
    .max_flat_workgroup_size: 64
    .name:           _ZN7rocprim17ROCPRIM_400000_NS6detail17trampoline_kernelINS0_14default_configENS1_20scan_config_selectorIsEEZZNS1_9scan_implILNS1_25lookback_scan_determinismE0ELb0ELb0ES3_N6thrust23THRUST_200600_302600_NS6detail15normal_iteratorINS9_10device_ptrIsEEEESE_sNS9_4plusIvEEsEEDaPvRmT3_T4_T5_mT6_P12ihipStream_tbENKUlT_T0_E_clISt17integral_constantIbLb0EEST_IbLb1EEEEDaSP_SQ_EUlSP_E_NS1_11comp_targetILNS1_3genE8ELNS1_11target_archE1030ELNS1_3gpuE2ELNS1_3repE0EEENS1_30default_config_static_selectorELNS0_4arch9wavefront6targetE1EEEvT1_
    .private_segment_fixed_size: 0
    .sgpr_count:     4
    .sgpr_spill_count: 0
    .symbol:         _ZN7rocprim17ROCPRIM_400000_NS6detail17trampoline_kernelINS0_14default_configENS1_20scan_config_selectorIsEEZZNS1_9scan_implILNS1_25lookback_scan_determinismE0ELb0ELb0ES3_N6thrust23THRUST_200600_302600_NS6detail15normal_iteratorINS9_10device_ptrIsEEEESE_sNS9_4plusIvEEsEEDaPvRmT3_T4_T5_mT6_P12ihipStream_tbENKUlT_T0_E_clISt17integral_constantIbLb0EEST_IbLb1EEEEDaSP_SQ_EUlSP_E_NS1_11comp_targetILNS1_3genE8ELNS1_11target_archE1030ELNS1_3gpuE2ELNS1_3repE0EEENS1_30default_config_static_selectorELNS0_4arch9wavefront6targetE1EEEvT1_.kd
    .uniform_work_group_size: 1
    .uses_dynamic_stack: false
    .vgpr_count:     0
    .vgpr_spill_count: 0
    .wavefront_size: 64
  - .agpr_count:     0
    .args:
      - .offset:         0
        .size:           32
        .value_kind:     by_value
    .group_segment_fixed_size: 0
    .kernarg_segment_align: 8
    .kernarg_segment_size: 32
    .language:       OpenCL C
    .language_version:
      - 2
      - 0
    .max_flat_workgroup_size: 128
    .name:           _ZN7rocprim17ROCPRIM_400000_NS6detail17trampoline_kernelINS0_14default_configENS1_20scan_config_selectorIsEEZZNS1_9scan_implILNS1_25lookback_scan_determinismE0ELb0ELb0ES3_N6thrust23THRUST_200600_302600_NS6detail15normal_iteratorINS9_10device_ptrIsEEEESE_sNS9_4plusIvEEsEEDaPvRmT3_T4_T5_mT6_P12ihipStream_tbENKUlT_T0_E_clISt17integral_constantIbLb0EEST_IbLb1EEEEDaSP_SQ_EUlSP_E0_NS1_11comp_targetILNS1_3genE0ELNS1_11target_archE4294967295ELNS1_3gpuE0ELNS1_3repE0EEENS1_30default_config_static_selectorELNS0_4arch9wavefront6targetE1EEEvT1_
    .private_segment_fixed_size: 0
    .sgpr_count:     4
    .sgpr_spill_count: 0
    .symbol:         _ZN7rocprim17ROCPRIM_400000_NS6detail17trampoline_kernelINS0_14default_configENS1_20scan_config_selectorIsEEZZNS1_9scan_implILNS1_25lookback_scan_determinismE0ELb0ELb0ES3_N6thrust23THRUST_200600_302600_NS6detail15normal_iteratorINS9_10device_ptrIsEEEESE_sNS9_4plusIvEEsEEDaPvRmT3_T4_T5_mT6_P12ihipStream_tbENKUlT_T0_E_clISt17integral_constantIbLb0EEST_IbLb1EEEEDaSP_SQ_EUlSP_E0_NS1_11comp_targetILNS1_3genE0ELNS1_11target_archE4294967295ELNS1_3gpuE0ELNS1_3repE0EEENS1_30default_config_static_selectorELNS0_4arch9wavefront6targetE1EEEvT1_.kd
    .uniform_work_group_size: 1
    .uses_dynamic_stack: false
    .vgpr_count:     0
    .vgpr_spill_count: 0
    .wavefront_size: 64
  - .agpr_count:     0
    .args:
      - .offset:         0
        .size:           32
        .value_kind:     by_value
    .group_segment_fixed_size: 0
    .kernarg_segment_align: 8
    .kernarg_segment_size: 32
    .language:       OpenCL C
    .language_version:
      - 2
      - 0
    .max_flat_workgroup_size: 256
    .name:           _ZN7rocprim17ROCPRIM_400000_NS6detail17trampoline_kernelINS0_14default_configENS1_20scan_config_selectorIsEEZZNS1_9scan_implILNS1_25lookback_scan_determinismE0ELb0ELb0ES3_N6thrust23THRUST_200600_302600_NS6detail15normal_iteratorINS9_10device_ptrIsEEEESE_sNS9_4plusIvEEsEEDaPvRmT3_T4_T5_mT6_P12ihipStream_tbENKUlT_T0_E_clISt17integral_constantIbLb0EEST_IbLb1EEEEDaSP_SQ_EUlSP_E0_NS1_11comp_targetILNS1_3genE5ELNS1_11target_archE942ELNS1_3gpuE9ELNS1_3repE0EEENS1_30default_config_static_selectorELNS0_4arch9wavefront6targetE1EEEvT1_
    .private_segment_fixed_size: 0
    .sgpr_count:     4
    .sgpr_spill_count: 0
    .symbol:         _ZN7rocprim17ROCPRIM_400000_NS6detail17trampoline_kernelINS0_14default_configENS1_20scan_config_selectorIsEEZZNS1_9scan_implILNS1_25lookback_scan_determinismE0ELb0ELb0ES3_N6thrust23THRUST_200600_302600_NS6detail15normal_iteratorINS9_10device_ptrIsEEEESE_sNS9_4plusIvEEsEEDaPvRmT3_T4_T5_mT6_P12ihipStream_tbENKUlT_T0_E_clISt17integral_constantIbLb0EEST_IbLb1EEEEDaSP_SQ_EUlSP_E0_NS1_11comp_targetILNS1_3genE5ELNS1_11target_archE942ELNS1_3gpuE9ELNS1_3repE0EEENS1_30default_config_static_selectorELNS0_4arch9wavefront6targetE1EEEvT1_.kd
    .uniform_work_group_size: 1
    .uses_dynamic_stack: false
    .vgpr_count:     0
    .vgpr_spill_count: 0
    .wavefront_size: 64
  - .agpr_count:     0
    .args:
      - .offset:         0
        .size:           32
        .value_kind:     by_value
    .group_segment_fixed_size: 3072
    .kernarg_segment_align: 8
    .kernarg_segment_size: 32
    .language:       OpenCL C
    .language_version:
      - 2
      - 0
    .max_flat_workgroup_size: 64
    .name:           _ZN7rocprim17ROCPRIM_400000_NS6detail17trampoline_kernelINS0_14default_configENS1_20scan_config_selectorIsEEZZNS1_9scan_implILNS1_25lookback_scan_determinismE0ELb0ELb0ES3_N6thrust23THRUST_200600_302600_NS6detail15normal_iteratorINS9_10device_ptrIsEEEESE_sNS9_4plusIvEEsEEDaPvRmT3_T4_T5_mT6_P12ihipStream_tbENKUlT_T0_E_clISt17integral_constantIbLb0EEST_IbLb1EEEEDaSP_SQ_EUlSP_E0_NS1_11comp_targetILNS1_3genE4ELNS1_11target_archE910ELNS1_3gpuE8ELNS1_3repE0EEENS1_30default_config_static_selectorELNS0_4arch9wavefront6targetE1EEEvT1_
    .private_segment_fixed_size: 0
    .sgpr_count:     60
    .sgpr_spill_count: 0
    .symbol:         _ZN7rocprim17ROCPRIM_400000_NS6detail17trampoline_kernelINS0_14default_configENS1_20scan_config_selectorIsEEZZNS1_9scan_implILNS1_25lookback_scan_determinismE0ELb0ELb0ES3_N6thrust23THRUST_200600_302600_NS6detail15normal_iteratorINS9_10device_ptrIsEEEESE_sNS9_4plusIvEEsEEDaPvRmT3_T4_T5_mT6_P12ihipStream_tbENKUlT_T0_E_clISt17integral_constantIbLb0EEST_IbLb1EEEEDaSP_SQ_EUlSP_E0_NS1_11comp_targetILNS1_3genE4ELNS1_11target_archE910ELNS1_3gpuE8ELNS1_3repE0EEENS1_30default_config_static_selectorELNS0_4arch9wavefront6targetE1EEEvT1_.kd
    .uniform_work_group_size: 1
    .uses_dynamic_stack: false
    .vgpr_count:     42
    .vgpr_spill_count: 0
    .wavefront_size: 64
  - .agpr_count:     0
    .args:
      - .offset:         0
        .size:           32
        .value_kind:     by_value
    .group_segment_fixed_size: 0
    .kernarg_segment_align: 8
    .kernarg_segment_size: 32
    .language:       OpenCL C
    .language_version:
      - 2
      - 0
    .max_flat_workgroup_size: 128
    .name:           _ZN7rocprim17ROCPRIM_400000_NS6detail17trampoline_kernelINS0_14default_configENS1_20scan_config_selectorIsEEZZNS1_9scan_implILNS1_25lookback_scan_determinismE0ELb0ELb0ES3_N6thrust23THRUST_200600_302600_NS6detail15normal_iteratorINS9_10device_ptrIsEEEESE_sNS9_4plusIvEEsEEDaPvRmT3_T4_T5_mT6_P12ihipStream_tbENKUlT_T0_E_clISt17integral_constantIbLb0EEST_IbLb1EEEEDaSP_SQ_EUlSP_E0_NS1_11comp_targetILNS1_3genE3ELNS1_11target_archE908ELNS1_3gpuE7ELNS1_3repE0EEENS1_30default_config_static_selectorELNS0_4arch9wavefront6targetE1EEEvT1_
    .private_segment_fixed_size: 0
    .sgpr_count:     4
    .sgpr_spill_count: 0
    .symbol:         _ZN7rocprim17ROCPRIM_400000_NS6detail17trampoline_kernelINS0_14default_configENS1_20scan_config_selectorIsEEZZNS1_9scan_implILNS1_25lookback_scan_determinismE0ELb0ELb0ES3_N6thrust23THRUST_200600_302600_NS6detail15normal_iteratorINS9_10device_ptrIsEEEESE_sNS9_4plusIvEEsEEDaPvRmT3_T4_T5_mT6_P12ihipStream_tbENKUlT_T0_E_clISt17integral_constantIbLb0EEST_IbLb1EEEEDaSP_SQ_EUlSP_E0_NS1_11comp_targetILNS1_3genE3ELNS1_11target_archE908ELNS1_3gpuE7ELNS1_3repE0EEENS1_30default_config_static_selectorELNS0_4arch9wavefront6targetE1EEEvT1_.kd
    .uniform_work_group_size: 1
    .uses_dynamic_stack: false
    .vgpr_count:     0
    .vgpr_spill_count: 0
    .wavefront_size: 64
  - .agpr_count:     0
    .args:
      - .offset:         0
        .size:           32
        .value_kind:     by_value
    .group_segment_fixed_size: 0
    .kernarg_segment_align: 8
    .kernarg_segment_size: 32
    .language:       OpenCL C
    .language_version:
      - 2
      - 0
    .max_flat_workgroup_size: 256
    .name:           _ZN7rocprim17ROCPRIM_400000_NS6detail17trampoline_kernelINS0_14default_configENS1_20scan_config_selectorIsEEZZNS1_9scan_implILNS1_25lookback_scan_determinismE0ELb0ELb0ES3_N6thrust23THRUST_200600_302600_NS6detail15normal_iteratorINS9_10device_ptrIsEEEESE_sNS9_4plusIvEEsEEDaPvRmT3_T4_T5_mT6_P12ihipStream_tbENKUlT_T0_E_clISt17integral_constantIbLb0EEST_IbLb1EEEEDaSP_SQ_EUlSP_E0_NS1_11comp_targetILNS1_3genE2ELNS1_11target_archE906ELNS1_3gpuE6ELNS1_3repE0EEENS1_30default_config_static_selectorELNS0_4arch9wavefront6targetE1EEEvT1_
    .private_segment_fixed_size: 0
    .sgpr_count:     4
    .sgpr_spill_count: 0
    .symbol:         _ZN7rocprim17ROCPRIM_400000_NS6detail17trampoline_kernelINS0_14default_configENS1_20scan_config_selectorIsEEZZNS1_9scan_implILNS1_25lookback_scan_determinismE0ELb0ELb0ES3_N6thrust23THRUST_200600_302600_NS6detail15normal_iteratorINS9_10device_ptrIsEEEESE_sNS9_4plusIvEEsEEDaPvRmT3_T4_T5_mT6_P12ihipStream_tbENKUlT_T0_E_clISt17integral_constantIbLb0EEST_IbLb1EEEEDaSP_SQ_EUlSP_E0_NS1_11comp_targetILNS1_3genE2ELNS1_11target_archE906ELNS1_3gpuE6ELNS1_3repE0EEENS1_30default_config_static_selectorELNS0_4arch9wavefront6targetE1EEEvT1_.kd
    .uniform_work_group_size: 1
    .uses_dynamic_stack: false
    .vgpr_count:     0
    .vgpr_spill_count: 0
    .wavefront_size: 64
  - .agpr_count:     0
    .args:
      - .offset:         0
        .size:           32
        .value_kind:     by_value
    .group_segment_fixed_size: 0
    .kernarg_segment_align: 8
    .kernarg_segment_size: 32
    .language:       OpenCL C
    .language_version:
      - 2
      - 0
    .max_flat_workgroup_size: 256
    .name:           _ZN7rocprim17ROCPRIM_400000_NS6detail17trampoline_kernelINS0_14default_configENS1_20scan_config_selectorIsEEZZNS1_9scan_implILNS1_25lookback_scan_determinismE0ELb0ELb0ES3_N6thrust23THRUST_200600_302600_NS6detail15normal_iteratorINS9_10device_ptrIsEEEESE_sNS9_4plusIvEEsEEDaPvRmT3_T4_T5_mT6_P12ihipStream_tbENKUlT_T0_E_clISt17integral_constantIbLb0EEST_IbLb1EEEEDaSP_SQ_EUlSP_E0_NS1_11comp_targetILNS1_3genE10ELNS1_11target_archE1201ELNS1_3gpuE5ELNS1_3repE0EEENS1_30default_config_static_selectorELNS0_4arch9wavefront6targetE1EEEvT1_
    .private_segment_fixed_size: 0
    .sgpr_count:     4
    .sgpr_spill_count: 0
    .symbol:         _ZN7rocprim17ROCPRIM_400000_NS6detail17trampoline_kernelINS0_14default_configENS1_20scan_config_selectorIsEEZZNS1_9scan_implILNS1_25lookback_scan_determinismE0ELb0ELb0ES3_N6thrust23THRUST_200600_302600_NS6detail15normal_iteratorINS9_10device_ptrIsEEEESE_sNS9_4plusIvEEsEEDaPvRmT3_T4_T5_mT6_P12ihipStream_tbENKUlT_T0_E_clISt17integral_constantIbLb0EEST_IbLb1EEEEDaSP_SQ_EUlSP_E0_NS1_11comp_targetILNS1_3genE10ELNS1_11target_archE1201ELNS1_3gpuE5ELNS1_3repE0EEENS1_30default_config_static_selectorELNS0_4arch9wavefront6targetE1EEEvT1_.kd
    .uniform_work_group_size: 1
    .uses_dynamic_stack: false
    .vgpr_count:     0
    .vgpr_spill_count: 0
    .wavefront_size: 64
  - .agpr_count:     0
    .args:
      - .offset:         0
        .size:           32
        .value_kind:     by_value
    .group_segment_fixed_size: 0
    .kernarg_segment_align: 8
    .kernarg_segment_size: 32
    .language:       OpenCL C
    .language_version:
      - 2
      - 0
    .max_flat_workgroup_size: 256
    .name:           _ZN7rocprim17ROCPRIM_400000_NS6detail17trampoline_kernelINS0_14default_configENS1_20scan_config_selectorIsEEZZNS1_9scan_implILNS1_25lookback_scan_determinismE0ELb0ELb0ES3_N6thrust23THRUST_200600_302600_NS6detail15normal_iteratorINS9_10device_ptrIsEEEESE_sNS9_4plusIvEEsEEDaPvRmT3_T4_T5_mT6_P12ihipStream_tbENKUlT_T0_E_clISt17integral_constantIbLb0EEST_IbLb1EEEEDaSP_SQ_EUlSP_E0_NS1_11comp_targetILNS1_3genE10ELNS1_11target_archE1200ELNS1_3gpuE4ELNS1_3repE0EEENS1_30default_config_static_selectorELNS0_4arch9wavefront6targetE1EEEvT1_
    .private_segment_fixed_size: 0
    .sgpr_count:     4
    .sgpr_spill_count: 0
    .symbol:         _ZN7rocprim17ROCPRIM_400000_NS6detail17trampoline_kernelINS0_14default_configENS1_20scan_config_selectorIsEEZZNS1_9scan_implILNS1_25lookback_scan_determinismE0ELb0ELb0ES3_N6thrust23THRUST_200600_302600_NS6detail15normal_iteratorINS9_10device_ptrIsEEEESE_sNS9_4plusIvEEsEEDaPvRmT3_T4_T5_mT6_P12ihipStream_tbENKUlT_T0_E_clISt17integral_constantIbLb0EEST_IbLb1EEEEDaSP_SQ_EUlSP_E0_NS1_11comp_targetILNS1_3genE10ELNS1_11target_archE1200ELNS1_3gpuE4ELNS1_3repE0EEENS1_30default_config_static_selectorELNS0_4arch9wavefront6targetE1EEEvT1_.kd
    .uniform_work_group_size: 1
    .uses_dynamic_stack: false
    .vgpr_count:     0
    .vgpr_spill_count: 0
    .wavefront_size: 64
  - .agpr_count:     0
    .args:
      - .offset:         0
        .size:           32
        .value_kind:     by_value
    .group_segment_fixed_size: 0
    .kernarg_segment_align: 8
    .kernarg_segment_size: 32
    .language:       OpenCL C
    .language_version:
      - 2
      - 0
    .max_flat_workgroup_size: 64
    .name:           _ZN7rocprim17ROCPRIM_400000_NS6detail17trampoline_kernelINS0_14default_configENS1_20scan_config_selectorIsEEZZNS1_9scan_implILNS1_25lookback_scan_determinismE0ELb0ELb0ES3_N6thrust23THRUST_200600_302600_NS6detail15normal_iteratorINS9_10device_ptrIsEEEESE_sNS9_4plusIvEEsEEDaPvRmT3_T4_T5_mT6_P12ihipStream_tbENKUlT_T0_E_clISt17integral_constantIbLb0EEST_IbLb1EEEEDaSP_SQ_EUlSP_E0_NS1_11comp_targetILNS1_3genE9ELNS1_11target_archE1100ELNS1_3gpuE3ELNS1_3repE0EEENS1_30default_config_static_selectorELNS0_4arch9wavefront6targetE1EEEvT1_
    .private_segment_fixed_size: 0
    .sgpr_count:     4
    .sgpr_spill_count: 0
    .symbol:         _ZN7rocprim17ROCPRIM_400000_NS6detail17trampoline_kernelINS0_14default_configENS1_20scan_config_selectorIsEEZZNS1_9scan_implILNS1_25lookback_scan_determinismE0ELb0ELb0ES3_N6thrust23THRUST_200600_302600_NS6detail15normal_iteratorINS9_10device_ptrIsEEEESE_sNS9_4plusIvEEsEEDaPvRmT3_T4_T5_mT6_P12ihipStream_tbENKUlT_T0_E_clISt17integral_constantIbLb0EEST_IbLb1EEEEDaSP_SQ_EUlSP_E0_NS1_11comp_targetILNS1_3genE9ELNS1_11target_archE1100ELNS1_3gpuE3ELNS1_3repE0EEENS1_30default_config_static_selectorELNS0_4arch9wavefront6targetE1EEEvT1_.kd
    .uniform_work_group_size: 1
    .uses_dynamic_stack: false
    .vgpr_count:     0
    .vgpr_spill_count: 0
    .wavefront_size: 64
  - .agpr_count:     0
    .args:
      - .offset:         0
        .size:           32
        .value_kind:     by_value
    .group_segment_fixed_size: 0
    .kernarg_segment_align: 8
    .kernarg_segment_size: 32
    .language:       OpenCL C
    .language_version:
      - 2
      - 0
    .max_flat_workgroup_size: 64
    .name:           _ZN7rocprim17ROCPRIM_400000_NS6detail17trampoline_kernelINS0_14default_configENS1_20scan_config_selectorIsEEZZNS1_9scan_implILNS1_25lookback_scan_determinismE0ELb0ELb0ES3_N6thrust23THRUST_200600_302600_NS6detail15normal_iteratorINS9_10device_ptrIsEEEESE_sNS9_4plusIvEEsEEDaPvRmT3_T4_T5_mT6_P12ihipStream_tbENKUlT_T0_E_clISt17integral_constantIbLb0EEST_IbLb1EEEEDaSP_SQ_EUlSP_E0_NS1_11comp_targetILNS1_3genE8ELNS1_11target_archE1030ELNS1_3gpuE2ELNS1_3repE0EEENS1_30default_config_static_selectorELNS0_4arch9wavefront6targetE1EEEvT1_
    .private_segment_fixed_size: 0
    .sgpr_count:     4
    .sgpr_spill_count: 0
    .symbol:         _ZN7rocprim17ROCPRIM_400000_NS6detail17trampoline_kernelINS0_14default_configENS1_20scan_config_selectorIsEEZZNS1_9scan_implILNS1_25lookback_scan_determinismE0ELb0ELb0ES3_N6thrust23THRUST_200600_302600_NS6detail15normal_iteratorINS9_10device_ptrIsEEEESE_sNS9_4plusIvEEsEEDaPvRmT3_T4_T5_mT6_P12ihipStream_tbENKUlT_T0_E_clISt17integral_constantIbLb0EEST_IbLb1EEEEDaSP_SQ_EUlSP_E0_NS1_11comp_targetILNS1_3genE8ELNS1_11target_archE1030ELNS1_3gpuE2ELNS1_3repE0EEENS1_30default_config_static_selectorELNS0_4arch9wavefront6targetE1EEEvT1_.kd
    .uniform_work_group_size: 1
    .uses_dynamic_stack: false
    .vgpr_count:     0
    .vgpr_spill_count: 0
    .wavefront_size: 64
  - .agpr_count:     0
    .args:
      - .offset:         0
        .size:           104
        .value_kind:     by_value
    .group_segment_fixed_size: 0
    .kernarg_segment_align: 8
    .kernarg_segment_size: 104
    .language:       OpenCL C
    .language_version:
      - 2
      - 0
    .max_flat_workgroup_size: 128
    .name:           _ZN7rocprim17ROCPRIM_400000_NS6detail17trampoline_kernelINS0_14default_configENS1_22reduce_config_selectorIN6thrust23THRUST_200600_302600_NS5tupleIblNS6_9null_typeES8_S8_S8_S8_S8_S8_S8_EEEEZNS1_11reduce_implILb1ES3_NS6_12zip_iteratorINS7_INS6_11hip_rocprim26transform_input_iterator_tIbNSD_35transform_pair_of_input_iterators_tIbNS6_6detail15normal_iteratorINS6_10device_ptrIKsEEEESL_NS6_8equal_toIsEEEENSG_9not_fun_tINSD_8identityEEEEENSD_19counting_iterator_tIlEES8_S8_S8_S8_S8_S8_S8_S8_EEEEPS9_S9_NSD_9__find_if7functorIS9_EEEE10hipError_tPvRmT1_T2_T3_mT4_P12ihipStream_tbEUlT_E0_NS1_11comp_targetILNS1_3genE0ELNS1_11target_archE4294967295ELNS1_3gpuE0ELNS1_3repE0EEENS1_30default_config_static_selectorELNS0_4arch9wavefront6targetE1EEEvS14_
    .private_segment_fixed_size: 0
    .sgpr_count:     4
    .sgpr_spill_count: 0
    .symbol:         _ZN7rocprim17ROCPRIM_400000_NS6detail17trampoline_kernelINS0_14default_configENS1_22reduce_config_selectorIN6thrust23THRUST_200600_302600_NS5tupleIblNS6_9null_typeES8_S8_S8_S8_S8_S8_S8_EEEEZNS1_11reduce_implILb1ES3_NS6_12zip_iteratorINS7_INS6_11hip_rocprim26transform_input_iterator_tIbNSD_35transform_pair_of_input_iterators_tIbNS6_6detail15normal_iteratorINS6_10device_ptrIKsEEEESL_NS6_8equal_toIsEEEENSG_9not_fun_tINSD_8identityEEEEENSD_19counting_iterator_tIlEES8_S8_S8_S8_S8_S8_S8_S8_EEEEPS9_S9_NSD_9__find_if7functorIS9_EEEE10hipError_tPvRmT1_T2_T3_mT4_P12ihipStream_tbEUlT_E0_NS1_11comp_targetILNS1_3genE0ELNS1_11target_archE4294967295ELNS1_3gpuE0ELNS1_3repE0EEENS1_30default_config_static_selectorELNS0_4arch9wavefront6targetE1EEEvS14_.kd
    .uniform_work_group_size: 1
    .uses_dynamic_stack: false
    .vgpr_count:     0
    .vgpr_spill_count: 0
    .wavefront_size: 64
  - .agpr_count:     0
    .args:
      - .offset:         0
        .size:           104
        .value_kind:     by_value
    .group_segment_fixed_size: 0
    .kernarg_segment_align: 8
    .kernarg_segment_size: 104
    .language:       OpenCL C
    .language_version:
      - 2
      - 0
    .max_flat_workgroup_size: 256
    .name:           _ZN7rocprim17ROCPRIM_400000_NS6detail17trampoline_kernelINS0_14default_configENS1_22reduce_config_selectorIN6thrust23THRUST_200600_302600_NS5tupleIblNS6_9null_typeES8_S8_S8_S8_S8_S8_S8_EEEEZNS1_11reduce_implILb1ES3_NS6_12zip_iteratorINS7_INS6_11hip_rocprim26transform_input_iterator_tIbNSD_35transform_pair_of_input_iterators_tIbNS6_6detail15normal_iteratorINS6_10device_ptrIKsEEEESL_NS6_8equal_toIsEEEENSG_9not_fun_tINSD_8identityEEEEENSD_19counting_iterator_tIlEES8_S8_S8_S8_S8_S8_S8_S8_EEEEPS9_S9_NSD_9__find_if7functorIS9_EEEE10hipError_tPvRmT1_T2_T3_mT4_P12ihipStream_tbEUlT_E0_NS1_11comp_targetILNS1_3genE5ELNS1_11target_archE942ELNS1_3gpuE9ELNS1_3repE0EEENS1_30default_config_static_selectorELNS0_4arch9wavefront6targetE1EEEvS14_
    .private_segment_fixed_size: 0
    .sgpr_count:     4
    .sgpr_spill_count: 0
    .symbol:         _ZN7rocprim17ROCPRIM_400000_NS6detail17trampoline_kernelINS0_14default_configENS1_22reduce_config_selectorIN6thrust23THRUST_200600_302600_NS5tupleIblNS6_9null_typeES8_S8_S8_S8_S8_S8_S8_EEEEZNS1_11reduce_implILb1ES3_NS6_12zip_iteratorINS7_INS6_11hip_rocprim26transform_input_iterator_tIbNSD_35transform_pair_of_input_iterators_tIbNS6_6detail15normal_iteratorINS6_10device_ptrIKsEEEESL_NS6_8equal_toIsEEEENSG_9not_fun_tINSD_8identityEEEEENSD_19counting_iterator_tIlEES8_S8_S8_S8_S8_S8_S8_S8_EEEEPS9_S9_NSD_9__find_if7functorIS9_EEEE10hipError_tPvRmT1_T2_T3_mT4_P12ihipStream_tbEUlT_E0_NS1_11comp_targetILNS1_3genE5ELNS1_11target_archE942ELNS1_3gpuE9ELNS1_3repE0EEENS1_30default_config_static_selectorELNS0_4arch9wavefront6targetE1EEEvS14_.kd
    .uniform_work_group_size: 1
    .uses_dynamic_stack: false
    .vgpr_count:     0
    .vgpr_spill_count: 0
    .wavefront_size: 64
  - .agpr_count:     0
    .args:
      - .offset:         0
        .size:           104
        .value_kind:     by_value
    .group_segment_fixed_size: 128
    .kernarg_segment_align: 8
    .kernarg_segment_size: 104
    .language:       OpenCL C
    .language_version:
      - 2
      - 0
    .max_flat_workgroup_size: 256
    .name:           _ZN7rocprim17ROCPRIM_400000_NS6detail17trampoline_kernelINS0_14default_configENS1_22reduce_config_selectorIN6thrust23THRUST_200600_302600_NS5tupleIblNS6_9null_typeES8_S8_S8_S8_S8_S8_S8_EEEEZNS1_11reduce_implILb1ES3_NS6_12zip_iteratorINS7_INS6_11hip_rocprim26transform_input_iterator_tIbNSD_35transform_pair_of_input_iterators_tIbNS6_6detail15normal_iteratorINS6_10device_ptrIKsEEEESL_NS6_8equal_toIsEEEENSG_9not_fun_tINSD_8identityEEEEENSD_19counting_iterator_tIlEES8_S8_S8_S8_S8_S8_S8_S8_EEEEPS9_S9_NSD_9__find_if7functorIS9_EEEE10hipError_tPvRmT1_T2_T3_mT4_P12ihipStream_tbEUlT_E0_NS1_11comp_targetILNS1_3genE4ELNS1_11target_archE910ELNS1_3gpuE8ELNS1_3repE0EEENS1_30default_config_static_selectorELNS0_4arch9wavefront6targetE1EEEvS14_
    .private_segment_fixed_size: 0
    .sgpr_count:     32
    .sgpr_spill_count: 0
    .symbol:         _ZN7rocprim17ROCPRIM_400000_NS6detail17trampoline_kernelINS0_14default_configENS1_22reduce_config_selectorIN6thrust23THRUST_200600_302600_NS5tupleIblNS6_9null_typeES8_S8_S8_S8_S8_S8_S8_EEEEZNS1_11reduce_implILb1ES3_NS6_12zip_iteratorINS7_INS6_11hip_rocprim26transform_input_iterator_tIbNSD_35transform_pair_of_input_iterators_tIbNS6_6detail15normal_iteratorINS6_10device_ptrIKsEEEESL_NS6_8equal_toIsEEEENSG_9not_fun_tINSD_8identityEEEEENSD_19counting_iterator_tIlEES8_S8_S8_S8_S8_S8_S8_S8_EEEEPS9_S9_NSD_9__find_if7functorIS9_EEEE10hipError_tPvRmT1_T2_T3_mT4_P12ihipStream_tbEUlT_E0_NS1_11comp_targetILNS1_3genE4ELNS1_11target_archE910ELNS1_3gpuE8ELNS1_3repE0EEENS1_30default_config_static_selectorELNS0_4arch9wavefront6targetE1EEEvS14_.kd
    .uniform_work_group_size: 1
    .uses_dynamic_stack: false
    .vgpr_count:     12
    .vgpr_spill_count: 0
    .wavefront_size: 64
  - .agpr_count:     0
    .args:
      - .offset:         0
        .size:           104
        .value_kind:     by_value
    .group_segment_fixed_size: 0
    .kernarg_segment_align: 8
    .kernarg_segment_size: 104
    .language:       OpenCL C
    .language_version:
      - 2
      - 0
    .max_flat_workgroup_size: 128
    .name:           _ZN7rocprim17ROCPRIM_400000_NS6detail17trampoline_kernelINS0_14default_configENS1_22reduce_config_selectorIN6thrust23THRUST_200600_302600_NS5tupleIblNS6_9null_typeES8_S8_S8_S8_S8_S8_S8_EEEEZNS1_11reduce_implILb1ES3_NS6_12zip_iteratorINS7_INS6_11hip_rocprim26transform_input_iterator_tIbNSD_35transform_pair_of_input_iterators_tIbNS6_6detail15normal_iteratorINS6_10device_ptrIKsEEEESL_NS6_8equal_toIsEEEENSG_9not_fun_tINSD_8identityEEEEENSD_19counting_iterator_tIlEES8_S8_S8_S8_S8_S8_S8_S8_EEEEPS9_S9_NSD_9__find_if7functorIS9_EEEE10hipError_tPvRmT1_T2_T3_mT4_P12ihipStream_tbEUlT_E0_NS1_11comp_targetILNS1_3genE3ELNS1_11target_archE908ELNS1_3gpuE7ELNS1_3repE0EEENS1_30default_config_static_selectorELNS0_4arch9wavefront6targetE1EEEvS14_
    .private_segment_fixed_size: 0
    .sgpr_count:     4
    .sgpr_spill_count: 0
    .symbol:         _ZN7rocprim17ROCPRIM_400000_NS6detail17trampoline_kernelINS0_14default_configENS1_22reduce_config_selectorIN6thrust23THRUST_200600_302600_NS5tupleIblNS6_9null_typeES8_S8_S8_S8_S8_S8_S8_EEEEZNS1_11reduce_implILb1ES3_NS6_12zip_iteratorINS7_INS6_11hip_rocprim26transform_input_iterator_tIbNSD_35transform_pair_of_input_iterators_tIbNS6_6detail15normal_iteratorINS6_10device_ptrIKsEEEESL_NS6_8equal_toIsEEEENSG_9not_fun_tINSD_8identityEEEEENSD_19counting_iterator_tIlEES8_S8_S8_S8_S8_S8_S8_S8_EEEEPS9_S9_NSD_9__find_if7functorIS9_EEEE10hipError_tPvRmT1_T2_T3_mT4_P12ihipStream_tbEUlT_E0_NS1_11comp_targetILNS1_3genE3ELNS1_11target_archE908ELNS1_3gpuE7ELNS1_3repE0EEENS1_30default_config_static_selectorELNS0_4arch9wavefront6targetE1EEEvS14_.kd
    .uniform_work_group_size: 1
    .uses_dynamic_stack: false
    .vgpr_count:     0
    .vgpr_spill_count: 0
    .wavefront_size: 64
  - .agpr_count:     0
    .args:
      - .offset:         0
        .size:           104
        .value_kind:     by_value
    .group_segment_fixed_size: 0
    .kernarg_segment_align: 8
    .kernarg_segment_size: 104
    .language:       OpenCL C
    .language_version:
      - 2
      - 0
    .max_flat_workgroup_size: 128
    .name:           _ZN7rocprim17ROCPRIM_400000_NS6detail17trampoline_kernelINS0_14default_configENS1_22reduce_config_selectorIN6thrust23THRUST_200600_302600_NS5tupleIblNS6_9null_typeES8_S8_S8_S8_S8_S8_S8_EEEEZNS1_11reduce_implILb1ES3_NS6_12zip_iteratorINS7_INS6_11hip_rocprim26transform_input_iterator_tIbNSD_35transform_pair_of_input_iterators_tIbNS6_6detail15normal_iteratorINS6_10device_ptrIKsEEEESL_NS6_8equal_toIsEEEENSG_9not_fun_tINSD_8identityEEEEENSD_19counting_iterator_tIlEES8_S8_S8_S8_S8_S8_S8_S8_EEEEPS9_S9_NSD_9__find_if7functorIS9_EEEE10hipError_tPvRmT1_T2_T3_mT4_P12ihipStream_tbEUlT_E0_NS1_11comp_targetILNS1_3genE2ELNS1_11target_archE906ELNS1_3gpuE6ELNS1_3repE0EEENS1_30default_config_static_selectorELNS0_4arch9wavefront6targetE1EEEvS14_
    .private_segment_fixed_size: 0
    .sgpr_count:     4
    .sgpr_spill_count: 0
    .symbol:         _ZN7rocprim17ROCPRIM_400000_NS6detail17trampoline_kernelINS0_14default_configENS1_22reduce_config_selectorIN6thrust23THRUST_200600_302600_NS5tupleIblNS6_9null_typeES8_S8_S8_S8_S8_S8_S8_EEEEZNS1_11reduce_implILb1ES3_NS6_12zip_iteratorINS7_INS6_11hip_rocprim26transform_input_iterator_tIbNSD_35transform_pair_of_input_iterators_tIbNS6_6detail15normal_iteratorINS6_10device_ptrIKsEEEESL_NS6_8equal_toIsEEEENSG_9not_fun_tINSD_8identityEEEEENSD_19counting_iterator_tIlEES8_S8_S8_S8_S8_S8_S8_S8_EEEEPS9_S9_NSD_9__find_if7functorIS9_EEEE10hipError_tPvRmT1_T2_T3_mT4_P12ihipStream_tbEUlT_E0_NS1_11comp_targetILNS1_3genE2ELNS1_11target_archE906ELNS1_3gpuE6ELNS1_3repE0EEENS1_30default_config_static_selectorELNS0_4arch9wavefront6targetE1EEEvS14_.kd
    .uniform_work_group_size: 1
    .uses_dynamic_stack: false
    .vgpr_count:     0
    .vgpr_spill_count: 0
    .wavefront_size: 64
  - .agpr_count:     0
    .args:
      - .offset:         0
        .size:           104
        .value_kind:     by_value
    .group_segment_fixed_size: 0
    .kernarg_segment_align: 8
    .kernarg_segment_size: 104
    .language:       OpenCL C
    .language_version:
      - 2
      - 0
    .max_flat_workgroup_size: 256
    .name:           _ZN7rocprim17ROCPRIM_400000_NS6detail17trampoline_kernelINS0_14default_configENS1_22reduce_config_selectorIN6thrust23THRUST_200600_302600_NS5tupleIblNS6_9null_typeES8_S8_S8_S8_S8_S8_S8_EEEEZNS1_11reduce_implILb1ES3_NS6_12zip_iteratorINS7_INS6_11hip_rocprim26transform_input_iterator_tIbNSD_35transform_pair_of_input_iterators_tIbNS6_6detail15normal_iteratorINS6_10device_ptrIKsEEEESL_NS6_8equal_toIsEEEENSG_9not_fun_tINSD_8identityEEEEENSD_19counting_iterator_tIlEES8_S8_S8_S8_S8_S8_S8_S8_EEEEPS9_S9_NSD_9__find_if7functorIS9_EEEE10hipError_tPvRmT1_T2_T3_mT4_P12ihipStream_tbEUlT_E0_NS1_11comp_targetILNS1_3genE10ELNS1_11target_archE1201ELNS1_3gpuE5ELNS1_3repE0EEENS1_30default_config_static_selectorELNS0_4arch9wavefront6targetE1EEEvS14_
    .private_segment_fixed_size: 0
    .sgpr_count:     4
    .sgpr_spill_count: 0
    .symbol:         _ZN7rocprim17ROCPRIM_400000_NS6detail17trampoline_kernelINS0_14default_configENS1_22reduce_config_selectorIN6thrust23THRUST_200600_302600_NS5tupleIblNS6_9null_typeES8_S8_S8_S8_S8_S8_S8_EEEEZNS1_11reduce_implILb1ES3_NS6_12zip_iteratorINS7_INS6_11hip_rocprim26transform_input_iterator_tIbNSD_35transform_pair_of_input_iterators_tIbNS6_6detail15normal_iteratorINS6_10device_ptrIKsEEEESL_NS6_8equal_toIsEEEENSG_9not_fun_tINSD_8identityEEEEENSD_19counting_iterator_tIlEES8_S8_S8_S8_S8_S8_S8_S8_EEEEPS9_S9_NSD_9__find_if7functorIS9_EEEE10hipError_tPvRmT1_T2_T3_mT4_P12ihipStream_tbEUlT_E0_NS1_11comp_targetILNS1_3genE10ELNS1_11target_archE1201ELNS1_3gpuE5ELNS1_3repE0EEENS1_30default_config_static_selectorELNS0_4arch9wavefront6targetE1EEEvS14_.kd
    .uniform_work_group_size: 1
    .uses_dynamic_stack: false
    .vgpr_count:     0
    .vgpr_spill_count: 0
    .wavefront_size: 64
  - .agpr_count:     0
    .args:
      - .offset:         0
        .size:           104
        .value_kind:     by_value
    .group_segment_fixed_size: 0
    .kernarg_segment_align: 8
    .kernarg_segment_size: 104
    .language:       OpenCL C
    .language_version:
      - 2
      - 0
    .max_flat_workgroup_size: 256
    .name:           _ZN7rocprim17ROCPRIM_400000_NS6detail17trampoline_kernelINS0_14default_configENS1_22reduce_config_selectorIN6thrust23THRUST_200600_302600_NS5tupleIblNS6_9null_typeES8_S8_S8_S8_S8_S8_S8_EEEEZNS1_11reduce_implILb1ES3_NS6_12zip_iteratorINS7_INS6_11hip_rocprim26transform_input_iterator_tIbNSD_35transform_pair_of_input_iterators_tIbNS6_6detail15normal_iteratorINS6_10device_ptrIKsEEEESL_NS6_8equal_toIsEEEENSG_9not_fun_tINSD_8identityEEEEENSD_19counting_iterator_tIlEES8_S8_S8_S8_S8_S8_S8_S8_EEEEPS9_S9_NSD_9__find_if7functorIS9_EEEE10hipError_tPvRmT1_T2_T3_mT4_P12ihipStream_tbEUlT_E0_NS1_11comp_targetILNS1_3genE10ELNS1_11target_archE1200ELNS1_3gpuE4ELNS1_3repE0EEENS1_30default_config_static_selectorELNS0_4arch9wavefront6targetE1EEEvS14_
    .private_segment_fixed_size: 0
    .sgpr_count:     4
    .sgpr_spill_count: 0
    .symbol:         _ZN7rocprim17ROCPRIM_400000_NS6detail17trampoline_kernelINS0_14default_configENS1_22reduce_config_selectorIN6thrust23THRUST_200600_302600_NS5tupleIblNS6_9null_typeES8_S8_S8_S8_S8_S8_S8_EEEEZNS1_11reduce_implILb1ES3_NS6_12zip_iteratorINS7_INS6_11hip_rocprim26transform_input_iterator_tIbNSD_35transform_pair_of_input_iterators_tIbNS6_6detail15normal_iteratorINS6_10device_ptrIKsEEEESL_NS6_8equal_toIsEEEENSG_9not_fun_tINSD_8identityEEEEENSD_19counting_iterator_tIlEES8_S8_S8_S8_S8_S8_S8_S8_EEEEPS9_S9_NSD_9__find_if7functorIS9_EEEE10hipError_tPvRmT1_T2_T3_mT4_P12ihipStream_tbEUlT_E0_NS1_11comp_targetILNS1_3genE10ELNS1_11target_archE1200ELNS1_3gpuE4ELNS1_3repE0EEENS1_30default_config_static_selectorELNS0_4arch9wavefront6targetE1EEEvS14_.kd
    .uniform_work_group_size: 1
    .uses_dynamic_stack: false
    .vgpr_count:     0
    .vgpr_spill_count: 0
    .wavefront_size: 64
  - .agpr_count:     0
    .args:
      - .offset:         0
        .size:           104
        .value_kind:     by_value
    .group_segment_fixed_size: 0
    .kernarg_segment_align: 8
    .kernarg_segment_size: 104
    .language:       OpenCL C
    .language_version:
      - 2
      - 0
    .max_flat_workgroup_size: 256
    .name:           _ZN7rocprim17ROCPRIM_400000_NS6detail17trampoline_kernelINS0_14default_configENS1_22reduce_config_selectorIN6thrust23THRUST_200600_302600_NS5tupleIblNS6_9null_typeES8_S8_S8_S8_S8_S8_S8_EEEEZNS1_11reduce_implILb1ES3_NS6_12zip_iteratorINS7_INS6_11hip_rocprim26transform_input_iterator_tIbNSD_35transform_pair_of_input_iterators_tIbNS6_6detail15normal_iteratorINS6_10device_ptrIKsEEEESL_NS6_8equal_toIsEEEENSG_9not_fun_tINSD_8identityEEEEENSD_19counting_iterator_tIlEES8_S8_S8_S8_S8_S8_S8_S8_EEEEPS9_S9_NSD_9__find_if7functorIS9_EEEE10hipError_tPvRmT1_T2_T3_mT4_P12ihipStream_tbEUlT_E0_NS1_11comp_targetILNS1_3genE9ELNS1_11target_archE1100ELNS1_3gpuE3ELNS1_3repE0EEENS1_30default_config_static_selectorELNS0_4arch9wavefront6targetE1EEEvS14_
    .private_segment_fixed_size: 0
    .sgpr_count:     4
    .sgpr_spill_count: 0
    .symbol:         _ZN7rocprim17ROCPRIM_400000_NS6detail17trampoline_kernelINS0_14default_configENS1_22reduce_config_selectorIN6thrust23THRUST_200600_302600_NS5tupleIblNS6_9null_typeES8_S8_S8_S8_S8_S8_S8_EEEEZNS1_11reduce_implILb1ES3_NS6_12zip_iteratorINS7_INS6_11hip_rocprim26transform_input_iterator_tIbNSD_35transform_pair_of_input_iterators_tIbNS6_6detail15normal_iteratorINS6_10device_ptrIKsEEEESL_NS6_8equal_toIsEEEENSG_9not_fun_tINSD_8identityEEEEENSD_19counting_iterator_tIlEES8_S8_S8_S8_S8_S8_S8_S8_EEEEPS9_S9_NSD_9__find_if7functorIS9_EEEE10hipError_tPvRmT1_T2_T3_mT4_P12ihipStream_tbEUlT_E0_NS1_11comp_targetILNS1_3genE9ELNS1_11target_archE1100ELNS1_3gpuE3ELNS1_3repE0EEENS1_30default_config_static_selectorELNS0_4arch9wavefront6targetE1EEEvS14_.kd
    .uniform_work_group_size: 1
    .uses_dynamic_stack: false
    .vgpr_count:     0
    .vgpr_spill_count: 0
    .wavefront_size: 64
  - .agpr_count:     0
    .args:
      - .offset:         0
        .size:           104
        .value_kind:     by_value
    .group_segment_fixed_size: 0
    .kernarg_segment_align: 8
    .kernarg_segment_size: 104
    .language:       OpenCL C
    .language_version:
      - 2
      - 0
    .max_flat_workgroup_size: 256
    .name:           _ZN7rocprim17ROCPRIM_400000_NS6detail17trampoline_kernelINS0_14default_configENS1_22reduce_config_selectorIN6thrust23THRUST_200600_302600_NS5tupleIblNS6_9null_typeES8_S8_S8_S8_S8_S8_S8_EEEEZNS1_11reduce_implILb1ES3_NS6_12zip_iteratorINS7_INS6_11hip_rocprim26transform_input_iterator_tIbNSD_35transform_pair_of_input_iterators_tIbNS6_6detail15normal_iteratorINS6_10device_ptrIKsEEEESL_NS6_8equal_toIsEEEENSG_9not_fun_tINSD_8identityEEEEENSD_19counting_iterator_tIlEES8_S8_S8_S8_S8_S8_S8_S8_EEEEPS9_S9_NSD_9__find_if7functorIS9_EEEE10hipError_tPvRmT1_T2_T3_mT4_P12ihipStream_tbEUlT_E0_NS1_11comp_targetILNS1_3genE8ELNS1_11target_archE1030ELNS1_3gpuE2ELNS1_3repE0EEENS1_30default_config_static_selectorELNS0_4arch9wavefront6targetE1EEEvS14_
    .private_segment_fixed_size: 0
    .sgpr_count:     4
    .sgpr_spill_count: 0
    .symbol:         _ZN7rocprim17ROCPRIM_400000_NS6detail17trampoline_kernelINS0_14default_configENS1_22reduce_config_selectorIN6thrust23THRUST_200600_302600_NS5tupleIblNS6_9null_typeES8_S8_S8_S8_S8_S8_S8_EEEEZNS1_11reduce_implILb1ES3_NS6_12zip_iteratorINS7_INS6_11hip_rocprim26transform_input_iterator_tIbNSD_35transform_pair_of_input_iterators_tIbNS6_6detail15normal_iteratorINS6_10device_ptrIKsEEEESL_NS6_8equal_toIsEEEENSG_9not_fun_tINSD_8identityEEEEENSD_19counting_iterator_tIlEES8_S8_S8_S8_S8_S8_S8_S8_EEEEPS9_S9_NSD_9__find_if7functorIS9_EEEE10hipError_tPvRmT1_T2_T3_mT4_P12ihipStream_tbEUlT_E0_NS1_11comp_targetILNS1_3genE8ELNS1_11target_archE1030ELNS1_3gpuE2ELNS1_3repE0EEENS1_30default_config_static_selectorELNS0_4arch9wavefront6targetE1EEEvS14_.kd
    .uniform_work_group_size: 1
    .uses_dynamic_stack: false
    .vgpr_count:     0
    .vgpr_spill_count: 0
    .wavefront_size: 64
  - .agpr_count:     0
    .args:
      - .offset:         0
        .size:           88
        .value_kind:     by_value
    .group_segment_fixed_size: 0
    .kernarg_segment_align: 8
    .kernarg_segment_size: 88
    .language:       OpenCL C
    .language_version:
      - 2
      - 0
    .max_flat_workgroup_size: 128
    .name:           _ZN7rocprim17ROCPRIM_400000_NS6detail17trampoline_kernelINS0_14default_configENS1_22reduce_config_selectorIN6thrust23THRUST_200600_302600_NS5tupleIblNS6_9null_typeES8_S8_S8_S8_S8_S8_S8_EEEEZNS1_11reduce_implILb1ES3_NS6_12zip_iteratorINS7_INS6_11hip_rocprim26transform_input_iterator_tIbNSD_35transform_pair_of_input_iterators_tIbNS6_6detail15normal_iteratorINS6_10device_ptrIKsEEEESL_NS6_8equal_toIsEEEENSG_9not_fun_tINSD_8identityEEEEENSD_19counting_iterator_tIlEES8_S8_S8_S8_S8_S8_S8_S8_EEEEPS9_S9_NSD_9__find_if7functorIS9_EEEE10hipError_tPvRmT1_T2_T3_mT4_P12ihipStream_tbEUlT_E1_NS1_11comp_targetILNS1_3genE0ELNS1_11target_archE4294967295ELNS1_3gpuE0ELNS1_3repE0EEENS1_30default_config_static_selectorELNS0_4arch9wavefront6targetE1EEEvS14_
    .private_segment_fixed_size: 0
    .sgpr_count:     4
    .sgpr_spill_count: 0
    .symbol:         _ZN7rocprim17ROCPRIM_400000_NS6detail17trampoline_kernelINS0_14default_configENS1_22reduce_config_selectorIN6thrust23THRUST_200600_302600_NS5tupleIblNS6_9null_typeES8_S8_S8_S8_S8_S8_S8_EEEEZNS1_11reduce_implILb1ES3_NS6_12zip_iteratorINS7_INS6_11hip_rocprim26transform_input_iterator_tIbNSD_35transform_pair_of_input_iterators_tIbNS6_6detail15normal_iteratorINS6_10device_ptrIKsEEEESL_NS6_8equal_toIsEEEENSG_9not_fun_tINSD_8identityEEEEENSD_19counting_iterator_tIlEES8_S8_S8_S8_S8_S8_S8_S8_EEEEPS9_S9_NSD_9__find_if7functorIS9_EEEE10hipError_tPvRmT1_T2_T3_mT4_P12ihipStream_tbEUlT_E1_NS1_11comp_targetILNS1_3genE0ELNS1_11target_archE4294967295ELNS1_3gpuE0ELNS1_3repE0EEENS1_30default_config_static_selectorELNS0_4arch9wavefront6targetE1EEEvS14_.kd
    .uniform_work_group_size: 1
    .uses_dynamic_stack: false
    .vgpr_count:     0
    .vgpr_spill_count: 0
    .wavefront_size: 64
  - .agpr_count:     0
    .args:
      - .offset:         0
        .size:           88
        .value_kind:     by_value
    .group_segment_fixed_size: 0
    .kernarg_segment_align: 8
    .kernarg_segment_size: 88
    .language:       OpenCL C
    .language_version:
      - 2
      - 0
    .max_flat_workgroup_size: 256
    .name:           _ZN7rocprim17ROCPRIM_400000_NS6detail17trampoline_kernelINS0_14default_configENS1_22reduce_config_selectorIN6thrust23THRUST_200600_302600_NS5tupleIblNS6_9null_typeES8_S8_S8_S8_S8_S8_S8_EEEEZNS1_11reduce_implILb1ES3_NS6_12zip_iteratorINS7_INS6_11hip_rocprim26transform_input_iterator_tIbNSD_35transform_pair_of_input_iterators_tIbNS6_6detail15normal_iteratorINS6_10device_ptrIKsEEEESL_NS6_8equal_toIsEEEENSG_9not_fun_tINSD_8identityEEEEENSD_19counting_iterator_tIlEES8_S8_S8_S8_S8_S8_S8_S8_EEEEPS9_S9_NSD_9__find_if7functorIS9_EEEE10hipError_tPvRmT1_T2_T3_mT4_P12ihipStream_tbEUlT_E1_NS1_11comp_targetILNS1_3genE5ELNS1_11target_archE942ELNS1_3gpuE9ELNS1_3repE0EEENS1_30default_config_static_selectorELNS0_4arch9wavefront6targetE1EEEvS14_
    .private_segment_fixed_size: 0
    .sgpr_count:     4
    .sgpr_spill_count: 0
    .symbol:         _ZN7rocprim17ROCPRIM_400000_NS6detail17trampoline_kernelINS0_14default_configENS1_22reduce_config_selectorIN6thrust23THRUST_200600_302600_NS5tupleIblNS6_9null_typeES8_S8_S8_S8_S8_S8_S8_EEEEZNS1_11reduce_implILb1ES3_NS6_12zip_iteratorINS7_INS6_11hip_rocprim26transform_input_iterator_tIbNSD_35transform_pair_of_input_iterators_tIbNS6_6detail15normal_iteratorINS6_10device_ptrIKsEEEESL_NS6_8equal_toIsEEEENSG_9not_fun_tINSD_8identityEEEEENSD_19counting_iterator_tIlEES8_S8_S8_S8_S8_S8_S8_S8_EEEEPS9_S9_NSD_9__find_if7functorIS9_EEEE10hipError_tPvRmT1_T2_T3_mT4_P12ihipStream_tbEUlT_E1_NS1_11comp_targetILNS1_3genE5ELNS1_11target_archE942ELNS1_3gpuE9ELNS1_3repE0EEENS1_30default_config_static_selectorELNS0_4arch9wavefront6targetE1EEEvS14_.kd
    .uniform_work_group_size: 1
    .uses_dynamic_stack: false
    .vgpr_count:     0
    .vgpr_spill_count: 0
    .wavefront_size: 64
  - .agpr_count:     0
    .args:
      - .offset:         0
        .size:           88
        .value_kind:     by_value
    .group_segment_fixed_size: 320
    .kernarg_segment_align: 8
    .kernarg_segment_size: 88
    .language:       OpenCL C
    .language_version:
      - 2
      - 0
    .max_flat_workgroup_size: 256
    .name:           _ZN7rocprim17ROCPRIM_400000_NS6detail17trampoline_kernelINS0_14default_configENS1_22reduce_config_selectorIN6thrust23THRUST_200600_302600_NS5tupleIblNS6_9null_typeES8_S8_S8_S8_S8_S8_S8_EEEEZNS1_11reduce_implILb1ES3_NS6_12zip_iteratorINS7_INS6_11hip_rocprim26transform_input_iterator_tIbNSD_35transform_pair_of_input_iterators_tIbNS6_6detail15normal_iteratorINS6_10device_ptrIKsEEEESL_NS6_8equal_toIsEEEENSG_9not_fun_tINSD_8identityEEEEENSD_19counting_iterator_tIlEES8_S8_S8_S8_S8_S8_S8_S8_EEEEPS9_S9_NSD_9__find_if7functorIS9_EEEE10hipError_tPvRmT1_T2_T3_mT4_P12ihipStream_tbEUlT_E1_NS1_11comp_targetILNS1_3genE4ELNS1_11target_archE910ELNS1_3gpuE8ELNS1_3repE0EEENS1_30default_config_static_selectorELNS0_4arch9wavefront6targetE1EEEvS14_
    .private_segment_fixed_size: 0
    .sgpr_count:     46
    .sgpr_spill_count: 0
    .symbol:         _ZN7rocprim17ROCPRIM_400000_NS6detail17trampoline_kernelINS0_14default_configENS1_22reduce_config_selectorIN6thrust23THRUST_200600_302600_NS5tupleIblNS6_9null_typeES8_S8_S8_S8_S8_S8_S8_EEEEZNS1_11reduce_implILb1ES3_NS6_12zip_iteratorINS7_INS6_11hip_rocprim26transform_input_iterator_tIbNSD_35transform_pair_of_input_iterators_tIbNS6_6detail15normal_iteratorINS6_10device_ptrIKsEEEESL_NS6_8equal_toIsEEEENSG_9not_fun_tINSD_8identityEEEEENSD_19counting_iterator_tIlEES8_S8_S8_S8_S8_S8_S8_S8_EEEEPS9_S9_NSD_9__find_if7functorIS9_EEEE10hipError_tPvRmT1_T2_T3_mT4_P12ihipStream_tbEUlT_E1_NS1_11comp_targetILNS1_3genE4ELNS1_11target_archE910ELNS1_3gpuE8ELNS1_3repE0EEENS1_30default_config_static_selectorELNS0_4arch9wavefront6targetE1EEEvS14_.kd
    .uniform_work_group_size: 1
    .uses_dynamic_stack: false
    .vgpr_count:     27
    .vgpr_spill_count: 0
    .wavefront_size: 64
  - .agpr_count:     0
    .args:
      - .offset:         0
        .size:           88
        .value_kind:     by_value
    .group_segment_fixed_size: 0
    .kernarg_segment_align: 8
    .kernarg_segment_size: 88
    .language:       OpenCL C
    .language_version:
      - 2
      - 0
    .max_flat_workgroup_size: 128
    .name:           _ZN7rocprim17ROCPRIM_400000_NS6detail17trampoline_kernelINS0_14default_configENS1_22reduce_config_selectorIN6thrust23THRUST_200600_302600_NS5tupleIblNS6_9null_typeES8_S8_S8_S8_S8_S8_S8_EEEEZNS1_11reduce_implILb1ES3_NS6_12zip_iteratorINS7_INS6_11hip_rocprim26transform_input_iterator_tIbNSD_35transform_pair_of_input_iterators_tIbNS6_6detail15normal_iteratorINS6_10device_ptrIKsEEEESL_NS6_8equal_toIsEEEENSG_9not_fun_tINSD_8identityEEEEENSD_19counting_iterator_tIlEES8_S8_S8_S8_S8_S8_S8_S8_EEEEPS9_S9_NSD_9__find_if7functorIS9_EEEE10hipError_tPvRmT1_T2_T3_mT4_P12ihipStream_tbEUlT_E1_NS1_11comp_targetILNS1_3genE3ELNS1_11target_archE908ELNS1_3gpuE7ELNS1_3repE0EEENS1_30default_config_static_selectorELNS0_4arch9wavefront6targetE1EEEvS14_
    .private_segment_fixed_size: 0
    .sgpr_count:     4
    .sgpr_spill_count: 0
    .symbol:         _ZN7rocprim17ROCPRIM_400000_NS6detail17trampoline_kernelINS0_14default_configENS1_22reduce_config_selectorIN6thrust23THRUST_200600_302600_NS5tupleIblNS6_9null_typeES8_S8_S8_S8_S8_S8_S8_EEEEZNS1_11reduce_implILb1ES3_NS6_12zip_iteratorINS7_INS6_11hip_rocprim26transform_input_iterator_tIbNSD_35transform_pair_of_input_iterators_tIbNS6_6detail15normal_iteratorINS6_10device_ptrIKsEEEESL_NS6_8equal_toIsEEEENSG_9not_fun_tINSD_8identityEEEEENSD_19counting_iterator_tIlEES8_S8_S8_S8_S8_S8_S8_S8_EEEEPS9_S9_NSD_9__find_if7functorIS9_EEEE10hipError_tPvRmT1_T2_T3_mT4_P12ihipStream_tbEUlT_E1_NS1_11comp_targetILNS1_3genE3ELNS1_11target_archE908ELNS1_3gpuE7ELNS1_3repE0EEENS1_30default_config_static_selectorELNS0_4arch9wavefront6targetE1EEEvS14_.kd
    .uniform_work_group_size: 1
    .uses_dynamic_stack: false
    .vgpr_count:     0
    .vgpr_spill_count: 0
    .wavefront_size: 64
  - .agpr_count:     0
    .args:
      - .offset:         0
        .size:           88
        .value_kind:     by_value
    .group_segment_fixed_size: 0
    .kernarg_segment_align: 8
    .kernarg_segment_size: 88
    .language:       OpenCL C
    .language_version:
      - 2
      - 0
    .max_flat_workgroup_size: 128
    .name:           _ZN7rocprim17ROCPRIM_400000_NS6detail17trampoline_kernelINS0_14default_configENS1_22reduce_config_selectorIN6thrust23THRUST_200600_302600_NS5tupleIblNS6_9null_typeES8_S8_S8_S8_S8_S8_S8_EEEEZNS1_11reduce_implILb1ES3_NS6_12zip_iteratorINS7_INS6_11hip_rocprim26transform_input_iterator_tIbNSD_35transform_pair_of_input_iterators_tIbNS6_6detail15normal_iteratorINS6_10device_ptrIKsEEEESL_NS6_8equal_toIsEEEENSG_9not_fun_tINSD_8identityEEEEENSD_19counting_iterator_tIlEES8_S8_S8_S8_S8_S8_S8_S8_EEEEPS9_S9_NSD_9__find_if7functorIS9_EEEE10hipError_tPvRmT1_T2_T3_mT4_P12ihipStream_tbEUlT_E1_NS1_11comp_targetILNS1_3genE2ELNS1_11target_archE906ELNS1_3gpuE6ELNS1_3repE0EEENS1_30default_config_static_selectorELNS0_4arch9wavefront6targetE1EEEvS14_
    .private_segment_fixed_size: 0
    .sgpr_count:     4
    .sgpr_spill_count: 0
    .symbol:         _ZN7rocprim17ROCPRIM_400000_NS6detail17trampoline_kernelINS0_14default_configENS1_22reduce_config_selectorIN6thrust23THRUST_200600_302600_NS5tupleIblNS6_9null_typeES8_S8_S8_S8_S8_S8_S8_EEEEZNS1_11reduce_implILb1ES3_NS6_12zip_iteratorINS7_INS6_11hip_rocprim26transform_input_iterator_tIbNSD_35transform_pair_of_input_iterators_tIbNS6_6detail15normal_iteratorINS6_10device_ptrIKsEEEESL_NS6_8equal_toIsEEEENSG_9not_fun_tINSD_8identityEEEEENSD_19counting_iterator_tIlEES8_S8_S8_S8_S8_S8_S8_S8_EEEEPS9_S9_NSD_9__find_if7functorIS9_EEEE10hipError_tPvRmT1_T2_T3_mT4_P12ihipStream_tbEUlT_E1_NS1_11comp_targetILNS1_3genE2ELNS1_11target_archE906ELNS1_3gpuE6ELNS1_3repE0EEENS1_30default_config_static_selectorELNS0_4arch9wavefront6targetE1EEEvS14_.kd
    .uniform_work_group_size: 1
    .uses_dynamic_stack: false
    .vgpr_count:     0
    .vgpr_spill_count: 0
    .wavefront_size: 64
  - .agpr_count:     0
    .args:
      - .offset:         0
        .size:           88
        .value_kind:     by_value
    .group_segment_fixed_size: 0
    .kernarg_segment_align: 8
    .kernarg_segment_size: 88
    .language:       OpenCL C
    .language_version:
      - 2
      - 0
    .max_flat_workgroup_size: 256
    .name:           _ZN7rocprim17ROCPRIM_400000_NS6detail17trampoline_kernelINS0_14default_configENS1_22reduce_config_selectorIN6thrust23THRUST_200600_302600_NS5tupleIblNS6_9null_typeES8_S8_S8_S8_S8_S8_S8_EEEEZNS1_11reduce_implILb1ES3_NS6_12zip_iteratorINS7_INS6_11hip_rocprim26transform_input_iterator_tIbNSD_35transform_pair_of_input_iterators_tIbNS6_6detail15normal_iteratorINS6_10device_ptrIKsEEEESL_NS6_8equal_toIsEEEENSG_9not_fun_tINSD_8identityEEEEENSD_19counting_iterator_tIlEES8_S8_S8_S8_S8_S8_S8_S8_EEEEPS9_S9_NSD_9__find_if7functorIS9_EEEE10hipError_tPvRmT1_T2_T3_mT4_P12ihipStream_tbEUlT_E1_NS1_11comp_targetILNS1_3genE10ELNS1_11target_archE1201ELNS1_3gpuE5ELNS1_3repE0EEENS1_30default_config_static_selectorELNS0_4arch9wavefront6targetE1EEEvS14_
    .private_segment_fixed_size: 0
    .sgpr_count:     4
    .sgpr_spill_count: 0
    .symbol:         _ZN7rocprim17ROCPRIM_400000_NS6detail17trampoline_kernelINS0_14default_configENS1_22reduce_config_selectorIN6thrust23THRUST_200600_302600_NS5tupleIblNS6_9null_typeES8_S8_S8_S8_S8_S8_S8_EEEEZNS1_11reduce_implILb1ES3_NS6_12zip_iteratorINS7_INS6_11hip_rocprim26transform_input_iterator_tIbNSD_35transform_pair_of_input_iterators_tIbNS6_6detail15normal_iteratorINS6_10device_ptrIKsEEEESL_NS6_8equal_toIsEEEENSG_9not_fun_tINSD_8identityEEEEENSD_19counting_iterator_tIlEES8_S8_S8_S8_S8_S8_S8_S8_EEEEPS9_S9_NSD_9__find_if7functorIS9_EEEE10hipError_tPvRmT1_T2_T3_mT4_P12ihipStream_tbEUlT_E1_NS1_11comp_targetILNS1_3genE10ELNS1_11target_archE1201ELNS1_3gpuE5ELNS1_3repE0EEENS1_30default_config_static_selectorELNS0_4arch9wavefront6targetE1EEEvS14_.kd
    .uniform_work_group_size: 1
    .uses_dynamic_stack: false
    .vgpr_count:     0
    .vgpr_spill_count: 0
    .wavefront_size: 64
  - .agpr_count:     0
    .args:
      - .offset:         0
        .size:           88
        .value_kind:     by_value
    .group_segment_fixed_size: 0
    .kernarg_segment_align: 8
    .kernarg_segment_size: 88
    .language:       OpenCL C
    .language_version:
      - 2
      - 0
    .max_flat_workgroup_size: 256
    .name:           _ZN7rocprim17ROCPRIM_400000_NS6detail17trampoline_kernelINS0_14default_configENS1_22reduce_config_selectorIN6thrust23THRUST_200600_302600_NS5tupleIblNS6_9null_typeES8_S8_S8_S8_S8_S8_S8_EEEEZNS1_11reduce_implILb1ES3_NS6_12zip_iteratorINS7_INS6_11hip_rocprim26transform_input_iterator_tIbNSD_35transform_pair_of_input_iterators_tIbNS6_6detail15normal_iteratorINS6_10device_ptrIKsEEEESL_NS6_8equal_toIsEEEENSG_9not_fun_tINSD_8identityEEEEENSD_19counting_iterator_tIlEES8_S8_S8_S8_S8_S8_S8_S8_EEEEPS9_S9_NSD_9__find_if7functorIS9_EEEE10hipError_tPvRmT1_T2_T3_mT4_P12ihipStream_tbEUlT_E1_NS1_11comp_targetILNS1_3genE10ELNS1_11target_archE1200ELNS1_3gpuE4ELNS1_3repE0EEENS1_30default_config_static_selectorELNS0_4arch9wavefront6targetE1EEEvS14_
    .private_segment_fixed_size: 0
    .sgpr_count:     4
    .sgpr_spill_count: 0
    .symbol:         _ZN7rocprim17ROCPRIM_400000_NS6detail17trampoline_kernelINS0_14default_configENS1_22reduce_config_selectorIN6thrust23THRUST_200600_302600_NS5tupleIblNS6_9null_typeES8_S8_S8_S8_S8_S8_S8_EEEEZNS1_11reduce_implILb1ES3_NS6_12zip_iteratorINS7_INS6_11hip_rocprim26transform_input_iterator_tIbNSD_35transform_pair_of_input_iterators_tIbNS6_6detail15normal_iteratorINS6_10device_ptrIKsEEEESL_NS6_8equal_toIsEEEENSG_9not_fun_tINSD_8identityEEEEENSD_19counting_iterator_tIlEES8_S8_S8_S8_S8_S8_S8_S8_EEEEPS9_S9_NSD_9__find_if7functorIS9_EEEE10hipError_tPvRmT1_T2_T3_mT4_P12ihipStream_tbEUlT_E1_NS1_11comp_targetILNS1_3genE10ELNS1_11target_archE1200ELNS1_3gpuE4ELNS1_3repE0EEENS1_30default_config_static_selectorELNS0_4arch9wavefront6targetE1EEEvS14_.kd
    .uniform_work_group_size: 1
    .uses_dynamic_stack: false
    .vgpr_count:     0
    .vgpr_spill_count: 0
    .wavefront_size: 64
  - .agpr_count:     0
    .args:
      - .offset:         0
        .size:           88
        .value_kind:     by_value
    .group_segment_fixed_size: 0
    .kernarg_segment_align: 8
    .kernarg_segment_size: 88
    .language:       OpenCL C
    .language_version:
      - 2
      - 0
    .max_flat_workgroup_size: 256
    .name:           _ZN7rocprim17ROCPRIM_400000_NS6detail17trampoline_kernelINS0_14default_configENS1_22reduce_config_selectorIN6thrust23THRUST_200600_302600_NS5tupleIblNS6_9null_typeES8_S8_S8_S8_S8_S8_S8_EEEEZNS1_11reduce_implILb1ES3_NS6_12zip_iteratorINS7_INS6_11hip_rocprim26transform_input_iterator_tIbNSD_35transform_pair_of_input_iterators_tIbNS6_6detail15normal_iteratorINS6_10device_ptrIKsEEEESL_NS6_8equal_toIsEEEENSG_9not_fun_tINSD_8identityEEEEENSD_19counting_iterator_tIlEES8_S8_S8_S8_S8_S8_S8_S8_EEEEPS9_S9_NSD_9__find_if7functorIS9_EEEE10hipError_tPvRmT1_T2_T3_mT4_P12ihipStream_tbEUlT_E1_NS1_11comp_targetILNS1_3genE9ELNS1_11target_archE1100ELNS1_3gpuE3ELNS1_3repE0EEENS1_30default_config_static_selectorELNS0_4arch9wavefront6targetE1EEEvS14_
    .private_segment_fixed_size: 0
    .sgpr_count:     4
    .sgpr_spill_count: 0
    .symbol:         _ZN7rocprim17ROCPRIM_400000_NS6detail17trampoline_kernelINS0_14default_configENS1_22reduce_config_selectorIN6thrust23THRUST_200600_302600_NS5tupleIblNS6_9null_typeES8_S8_S8_S8_S8_S8_S8_EEEEZNS1_11reduce_implILb1ES3_NS6_12zip_iteratorINS7_INS6_11hip_rocprim26transform_input_iterator_tIbNSD_35transform_pair_of_input_iterators_tIbNS6_6detail15normal_iteratorINS6_10device_ptrIKsEEEESL_NS6_8equal_toIsEEEENSG_9not_fun_tINSD_8identityEEEEENSD_19counting_iterator_tIlEES8_S8_S8_S8_S8_S8_S8_S8_EEEEPS9_S9_NSD_9__find_if7functorIS9_EEEE10hipError_tPvRmT1_T2_T3_mT4_P12ihipStream_tbEUlT_E1_NS1_11comp_targetILNS1_3genE9ELNS1_11target_archE1100ELNS1_3gpuE3ELNS1_3repE0EEENS1_30default_config_static_selectorELNS0_4arch9wavefront6targetE1EEEvS14_.kd
    .uniform_work_group_size: 1
    .uses_dynamic_stack: false
    .vgpr_count:     0
    .vgpr_spill_count: 0
    .wavefront_size: 64
  - .agpr_count:     0
    .args:
      - .offset:         0
        .size:           88
        .value_kind:     by_value
    .group_segment_fixed_size: 0
    .kernarg_segment_align: 8
    .kernarg_segment_size: 88
    .language:       OpenCL C
    .language_version:
      - 2
      - 0
    .max_flat_workgroup_size: 256
    .name:           _ZN7rocprim17ROCPRIM_400000_NS6detail17trampoline_kernelINS0_14default_configENS1_22reduce_config_selectorIN6thrust23THRUST_200600_302600_NS5tupleIblNS6_9null_typeES8_S8_S8_S8_S8_S8_S8_EEEEZNS1_11reduce_implILb1ES3_NS6_12zip_iteratorINS7_INS6_11hip_rocprim26transform_input_iterator_tIbNSD_35transform_pair_of_input_iterators_tIbNS6_6detail15normal_iteratorINS6_10device_ptrIKsEEEESL_NS6_8equal_toIsEEEENSG_9not_fun_tINSD_8identityEEEEENSD_19counting_iterator_tIlEES8_S8_S8_S8_S8_S8_S8_S8_EEEEPS9_S9_NSD_9__find_if7functorIS9_EEEE10hipError_tPvRmT1_T2_T3_mT4_P12ihipStream_tbEUlT_E1_NS1_11comp_targetILNS1_3genE8ELNS1_11target_archE1030ELNS1_3gpuE2ELNS1_3repE0EEENS1_30default_config_static_selectorELNS0_4arch9wavefront6targetE1EEEvS14_
    .private_segment_fixed_size: 0
    .sgpr_count:     4
    .sgpr_spill_count: 0
    .symbol:         _ZN7rocprim17ROCPRIM_400000_NS6detail17trampoline_kernelINS0_14default_configENS1_22reduce_config_selectorIN6thrust23THRUST_200600_302600_NS5tupleIblNS6_9null_typeES8_S8_S8_S8_S8_S8_S8_EEEEZNS1_11reduce_implILb1ES3_NS6_12zip_iteratorINS7_INS6_11hip_rocprim26transform_input_iterator_tIbNSD_35transform_pair_of_input_iterators_tIbNS6_6detail15normal_iteratorINS6_10device_ptrIKsEEEESL_NS6_8equal_toIsEEEENSG_9not_fun_tINSD_8identityEEEEENSD_19counting_iterator_tIlEES8_S8_S8_S8_S8_S8_S8_S8_EEEEPS9_S9_NSD_9__find_if7functorIS9_EEEE10hipError_tPvRmT1_T2_T3_mT4_P12ihipStream_tbEUlT_E1_NS1_11comp_targetILNS1_3genE8ELNS1_11target_archE1030ELNS1_3gpuE2ELNS1_3repE0EEENS1_30default_config_static_selectorELNS0_4arch9wavefront6targetE1EEEvS14_.kd
    .uniform_work_group_size: 1
    .uses_dynamic_stack: false
    .vgpr_count:     0
    .vgpr_spill_count: 0
    .wavefront_size: 64
  - .agpr_count:     0
    .args:
      - .offset:         0
        .size:           96
        .value_kind:     by_value
    .group_segment_fixed_size: 0
    .kernarg_segment_align: 8
    .kernarg_segment_size: 96
    .language:       OpenCL C
    .language_version:
      - 2
      - 0
    .max_flat_workgroup_size: 128
    .name:           _ZN7rocprim17ROCPRIM_400000_NS6detail17trampoline_kernelINS0_14default_configENS1_20scan_config_selectorIsEEZZNS1_9scan_implILNS1_25lookback_scan_determinismE0ELb1ELb1ES3_N6thrust23THRUST_200600_302600_NS6detail15normal_iteratorINS9_10device_ptrIsEEEESE_sNS9_4plusIvEEsEEDaPvRmT3_T4_T5_mT6_P12ihipStream_tbENKUlT_T0_E_clISt17integral_constantIbLb0EESU_EEDaSP_SQ_EUlSP_E_NS1_11comp_targetILNS1_3genE0ELNS1_11target_archE4294967295ELNS1_3gpuE0ELNS1_3repE0EEENS1_30default_config_static_selectorELNS0_4arch9wavefront6targetE1EEEvT1_
    .private_segment_fixed_size: 0
    .sgpr_count:     4
    .sgpr_spill_count: 0
    .symbol:         _ZN7rocprim17ROCPRIM_400000_NS6detail17trampoline_kernelINS0_14default_configENS1_20scan_config_selectorIsEEZZNS1_9scan_implILNS1_25lookback_scan_determinismE0ELb1ELb1ES3_N6thrust23THRUST_200600_302600_NS6detail15normal_iteratorINS9_10device_ptrIsEEEESE_sNS9_4plusIvEEsEEDaPvRmT3_T4_T5_mT6_P12ihipStream_tbENKUlT_T0_E_clISt17integral_constantIbLb0EESU_EEDaSP_SQ_EUlSP_E_NS1_11comp_targetILNS1_3genE0ELNS1_11target_archE4294967295ELNS1_3gpuE0ELNS1_3repE0EEENS1_30default_config_static_selectorELNS0_4arch9wavefront6targetE1EEEvT1_.kd
    .uniform_work_group_size: 1
    .uses_dynamic_stack: false
    .vgpr_count:     0
    .vgpr_spill_count: 0
    .wavefront_size: 64
  - .agpr_count:     0
    .args:
      - .offset:         0
        .size:           96
        .value_kind:     by_value
    .group_segment_fixed_size: 0
    .kernarg_segment_align: 8
    .kernarg_segment_size: 96
    .language:       OpenCL C
    .language_version:
      - 2
      - 0
    .max_flat_workgroup_size: 256
    .name:           _ZN7rocprim17ROCPRIM_400000_NS6detail17trampoline_kernelINS0_14default_configENS1_20scan_config_selectorIsEEZZNS1_9scan_implILNS1_25lookback_scan_determinismE0ELb1ELb1ES3_N6thrust23THRUST_200600_302600_NS6detail15normal_iteratorINS9_10device_ptrIsEEEESE_sNS9_4plusIvEEsEEDaPvRmT3_T4_T5_mT6_P12ihipStream_tbENKUlT_T0_E_clISt17integral_constantIbLb0EESU_EEDaSP_SQ_EUlSP_E_NS1_11comp_targetILNS1_3genE5ELNS1_11target_archE942ELNS1_3gpuE9ELNS1_3repE0EEENS1_30default_config_static_selectorELNS0_4arch9wavefront6targetE1EEEvT1_
    .private_segment_fixed_size: 0
    .sgpr_count:     4
    .sgpr_spill_count: 0
    .symbol:         _ZN7rocprim17ROCPRIM_400000_NS6detail17trampoline_kernelINS0_14default_configENS1_20scan_config_selectorIsEEZZNS1_9scan_implILNS1_25lookback_scan_determinismE0ELb1ELb1ES3_N6thrust23THRUST_200600_302600_NS6detail15normal_iteratorINS9_10device_ptrIsEEEESE_sNS9_4plusIvEEsEEDaPvRmT3_T4_T5_mT6_P12ihipStream_tbENKUlT_T0_E_clISt17integral_constantIbLb0EESU_EEDaSP_SQ_EUlSP_E_NS1_11comp_targetILNS1_3genE5ELNS1_11target_archE942ELNS1_3gpuE9ELNS1_3repE0EEENS1_30default_config_static_selectorELNS0_4arch9wavefront6targetE1EEEvT1_.kd
    .uniform_work_group_size: 1
    .uses_dynamic_stack: false
    .vgpr_count:     0
    .vgpr_spill_count: 0
    .wavefront_size: 64
  - .agpr_count:     0
    .args:
      - .offset:         0
        .size:           96
        .value_kind:     by_value
    .group_segment_fixed_size: 3072
    .kernarg_segment_align: 8
    .kernarg_segment_size: 96
    .language:       OpenCL C
    .language_version:
      - 2
      - 0
    .max_flat_workgroup_size: 64
    .name:           _ZN7rocprim17ROCPRIM_400000_NS6detail17trampoline_kernelINS0_14default_configENS1_20scan_config_selectorIsEEZZNS1_9scan_implILNS1_25lookback_scan_determinismE0ELb1ELb1ES3_N6thrust23THRUST_200600_302600_NS6detail15normal_iteratorINS9_10device_ptrIsEEEESE_sNS9_4plusIvEEsEEDaPvRmT3_T4_T5_mT6_P12ihipStream_tbENKUlT_T0_E_clISt17integral_constantIbLb0EESU_EEDaSP_SQ_EUlSP_E_NS1_11comp_targetILNS1_3genE4ELNS1_11target_archE910ELNS1_3gpuE8ELNS1_3repE0EEENS1_30default_config_static_selectorELNS0_4arch9wavefront6targetE1EEEvT1_
    .private_segment_fixed_size: 0
    .sgpr_count:     33
    .sgpr_spill_count: 0
    .symbol:         _ZN7rocprim17ROCPRIM_400000_NS6detail17trampoline_kernelINS0_14default_configENS1_20scan_config_selectorIsEEZZNS1_9scan_implILNS1_25lookback_scan_determinismE0ELb1ELb1ES3_N6thrust23THRUST_200600_302600_NS6detail15normal_iteratorINS9_10device_ptrIsEEEESE_sNS9_4plusIvEEsEEDaPvRmT3_T4_T5_mT6_P12ihipStream_tbENKUlT_T0_E_clISt17integral_constantIbLb0EESU_EEDaSP_SQ_EUlSP_E_NS1_11comp_targetILNS1_3genE4ELNS1_11target_archE910ELNS1_3gpuE8ELNS1_3repE0EEENS1_30default_config_static_selectorELNS0_4arch9wavefront6targetE1EEEvT1_.kd
    .uniform_work_group_size: 1
    .uses_dynamic_stack: false
    .vgpr_count:     54
    .vgpr_spill_count: 0
    .wavefront_size: 64
  - .agpr_count:     0
    .args:
      - .offset:         0
        .size:           96
        .value_kind:     by_value
    .group_segment_fixed_size: 0
    .kernarg_segment_align: 8
    .kernarg_segment_size: 96
    .language:       OpenCL C
    .language_version:
      - 2
      - 0
    .max_flat_workgroup_size: 128
    .name:           _ZN7rocprim17ROCPRIM_400000_NS6detail17trampoline_kernelINS0_14default_configENS1_20scan_config_selectorIsEEZZNS1_9scan_implILNS1_25lookback_scan_determinismE0ELb1ELb1ES3_N6thrust23THRUST_200600_302600_NS6detail15normal_iteratorINS9_10device_ptrIsEEEESE_sNS9_4plusIvEEsEEDaPvRmT3_T4_T5_mT6_P12ihipStream_tbENKUlT_T0_E_clISt17integral_constantIbLb0EESU_EEDaSP_SQ_EUlSP_E_NS1_11comp_targetILNS1_3genE3ELNS1_11target_archE908ELNS1_3gpuE7ELNS1_3repE0EEENS1_30default_config_static_selectorELNS0_4arch9wavefront6targetE1EEEvT1_
    .private_segment_fixed_size: 0
    .sgpr_count:     4
    .sgpr_spill_count: 0
    .symbol:         _ZN7rocprim17ROCPRIM_400000_NS6detail17trampoline_kernelINS0_14default_configENS1_20scan_config_selectorIsEEZZNS1_9scan_implILNS1_25lookback_scan_determinismE0ELb1ELb1ES3_N6thrust23THRUST_200600_302600_NS6detail15normal_iteratorINS9_10device_ptrIsEEEESE_sNS9_4plusIvEEsEEDaPvRmT3_T4_T5_mT6_P12ihipStream_tbENKUlT_T0_E_clISt17integral_constantIbLb0EESU_EEDaSP_SQ_EUlSP_E_NS1_11comp_targetILNS1_3genE3ELNS1_11target_archE908ELNS1_3gpuE7ELNS1_3repE0EEENS1_30default_config_static_selectorELNS0_4arch9wavefront6targetE1EEEvT1_.kd
    .uniform_work_group_size: 1
    .uses_dynamic_stack: false
    .vgpr_count:     0
    .vgpr_spill_count: 0
    .wavefront_size: 64
  - .agpr_count:     0
    .args:
      - .offset:         0
        .size:           96
        .value_kind:     by_value
    .group_segment_fixed_size: 0
    .kernarg_segment_align: 8
    .kernarg_segment_size: 96
    .language:       OpenCL C
    .language_version:
      - 2
      - 0
    .max_flat_workgroup_size: 256
    .name:           _ZN7rocprim17ROCPRIM_400000_NS6detail17trampoline_kernelINS0_14default_configENS1_20scan_config_selectorIsEEZZNS1_9scan_implILNS1_25lookback_scan_determinismE0ELb1ELb1ES3_N6thrust23THRUST_200600_302600_NS6detail15normal_iteratorINS9_10device_ptrIsEEEESE_sNS9_4plusIvEEsEEDaPvRmT3_T4_T5_mT6_P12ihipStream_tbENKUlT_T0_E_clISt17integral_constantIbLb0EESU_EEDaSP_SQ_EUlSP_E_NS1_11comp_targetILNS1_3genE2ELNS1_11target_archE906ELNS1_3gpuE6ELNS1_3repE0EEENS1_30default_config_static_selectorELNS0_4arch9wavefront6targetE1EEEvT1_
    .private_segment_fixed_size: 0
    .sgpr_count:     4
    .sgpr_spill_count: 0
    .symbol:         _ZN7rocprim17ROCPRIM_400000_NS6detail17trampoline_kernelINS0_14default_configENS1_20scan_config_selectorIsEEZZNS1_9scan_implILNS1_25lookback_scan_determinismE0ELb1ELb1ES3_N6thrust23THRUST_200600_302600_NS6detail15normal_iteratorINS9_10device_ptrIsEEEESE_sNS9_4plusIvEEsEEDaPvRmT3_T4_T5_mT6_P12ihipStream_tbENKUlT_T0_E_clISt17integral_constantIbLb0EESU_EEDaSP_SQ_EUlSP_E_NS1_11comp_targetILNS1_3genE2ELNS1_11target_archE906ELNS1_3gpuE6ELNS1_3repE0EEENS1_30default_config_static_selectorELNS0_4arch9wavefront6targetE1EEEvT1_.kd
    .uniform_work_group_size: 1
    .uses_dynamic_stack: false
    .vgpr_count:     0
    .vgpr_spill_count: 0
    .wavefront_size: 64
  - .agpr_count:     0
    .args:
      - .offset:         0
        .size:           96
        .value_kind:     by_value
    .group_segment_fixed_size: 0
    .kernarg_segment_align: 8
    .kernarg_segment_size: 96
    .language:       OpenCL C
    .language_version:
      - 2
      - 0
    .max_flat_workgroup_size: 256
    .name:           _ZN7rocprim17ROCPRIM_400000_NS6detail17trampoline_kernelINS0_14default_configENS1_20scan_config_selectorIsEEZZNS1_9scan_implILNS1_25lookback_scan_determinismE0ELb1ELb1ES3_N6thrust23THRUST_200600_302600_NS6detail15normal_iteratorINS9_10device_ptrIsEEEESE_sNS9_4plusIvEEsEEDaPvRmT3_T4_T5_mT6_P12ihipStream_tbENKUlT_T0_E_clISt17integral_constantIbLb0EESU_EEDaSP_SQ_EUlSP_E_NS1_11comp_targetILNS1_3genE10ELNS1_11target_archE1201ELNS1_3gpuE5ELNS1_3repE0EEENS1_30default_config_static_selectorELNS0_4arch9wavefront6targetE1EEEvT1_
    .private_segment_fixed_size: 0
    .sgpr_count:     4
    .sgpr_spill_count: 0
    .symbol:         _ZN7rocprim17ROCPRIM_400000_NS6detail17trampoline_kernelINS0_14default_configENS1_20scan_config_selectorIsEEZZNS1_9scan_implILNS1_25lookback_scan_determinismE0ELb1ELb1ES3_N6thrust23THRUST_200600_302600_NS6detail15normal_iteratorINS9_10device_ptrIsEEEESE_sNS9_4plusIvEEsEEDaPvRmT3_T4_T5_mT6_P12ihipStream_tbENKUlT_T0_E_clISt17integral_constantIbLb0EESU_EEDaSP_SQ_EUlSP_E_NS1_11comp_targetILNS1_3genE10ELNS1_11target_archE1201ELNS1_3gpuE5ELNS1_3repE0EEENS1_30default_config_static_selectorELNS0_4arch9wavefront6targetE1EEEvT1_.kd
    .uniform_work_group_size: 1
    .uses_dynamic_stack: false
    .vgpr_count:     0
    .vgpr_spill_count: 0
    .wavefront_size: 64
  - .agpr_count:     0
    .args:
      - .offset:         0
        .size:           96
        .value_kind:     by_value
    .group_segment_fixed_size: 0
    .kernarg_segment_align: 8
    .kernarg_segment_size: 96
    .language:       OpenCL C
    .language_version:
      - 2
      - 0
    .max_flat_workgroup_size: 256
    .name:           _ZN7rocprim17ROCPRIM_400000_NS6detail17trampoline_kernelINS0_14default_configENS1_20scan_config_selectorIsEEZZNS1_9scan_implILNS1_25lookback_scan_determinismE0ELb1ELb1ES3_N6thrust23THRUST_200600_302600_NS6detail15normal_iteratorINS9_10device_ptrIsEEEESE_sNS9_4plusIvEEsEEDaPvRmT3_T4_T5_mT6_P12ihipStream_tbENKUlT_T0_E_clISt17integral_constantIbLb0EESU_EEDaSP_SQ_EUlSP_E_NS1_11comp_targetILNS1_3genE10ELNS1_11target_archE1200ELNS1_3gpuE4ELNS1_3repE0EEENS1_30default_config_static_selectorELNS0_4arch9wavefront6targetE1EEEvT1_
    .private_segment_fixed_size: 0
    .sgpr_count:     4
    .sgpr_spill_count: 0
    .symbol:         _ZN7rocprim17ROCPRIM_400000_NS6detail17trampoline_kernelINS0_14default_configENS1_20scan_config_selectorIsEEZZNS1_9scan_implILNS1_25lookback_scan_determinismE0ELb1ELb1ES3_N6thrust23THRUST_200600_302600_NS6detail15normal_iteratorINS9_10device_ptrIsEEEESE_sNS9_4plusIvEEsEEDaPvRmT3_T4_T5_mT6_P12ihipStream_tbENKUlT_T0_E_clISt17integral_constantIbLb0EESU_EEDaSP_SQ_EUlSP_E_NS1_11comp_targetILNS1_3genE10ELNS1_11target_archE1200ELNS1_3gpuE4ELNS1_3repE0EEENS1_30default_config_static_selectorELNS0_4arch9wavefront6targetE1EEEvT1_.kd
    .uniform_work_group_size: 1
    .uses_dynamic_stack: false
    .vgpr_count:     0
    .vgpr_spill_count: 0
    .wavefront_size: 64
  - .agpr_count:     0
    .args:
      - .offset:         0
        .size:           96
        .value_kind:     by_value
    .group_segment_fixed_size: 0
    .kernarg_segment_align: 8
    .kernarg_segment_size: 96
    .language:       OpenCL C
    .language_version:
      - 2
      - 0
    .max_flat_workgroup_size: 64
    .name:           _ZN7rocprim17ROCPRIM_400000_NS6detail17trampoline_kernelINS0_14default_configENS1_20scan_config_selectorIsEEZZNS1_9scan_implILNS1_25lookback_scan_determinismE0ELb1ELb1ES3_N6thrust23THRUST_200600_302600_NS6detail15normal_iteratorINS9_10device_ptrIsEEEESE_sNS9_4plusIvEEsEEDaPvRmT3_T4_T5_mT6_P12ihipStream_tbENKUlT_T0_E_clISt17integral_constantIbLb0EESU_EEDaSP_SQ_EUlSP_E_NS1_11comp_targetILNS1_3genE9ELNS1_11target_archE1100ELNS1_3gpuE3ELNS1_3repE0EEENS1_30default_config_static_selectorELNS0_4arch9wavefront6targetE1EEEvT1_
    .private_segment_fixed_size: 0
    .sgpr_count:     4
    .sgpr_spill_count: 0
    .symbol:         _ZN7rocprim17ROCPRIM_400000_NS6detail17trampoline_kernelINS0_14default_configENS1_20scan_config_selectorIsEEZZNS1_9scan_implILNS1_25lookback_scan_determinismE0ELb1ELb1ES3_N6thrust23THRUST_200600_302600_NS6detail15normal_iteratorINS9_10device_ptrIsEEEESE_sNS9_4plusIvEEsEEDaPvRmT3_T4_T5_mT6_P12ihipStream_tbENKUlT_T0_E_clISt17integral_constantIbLb0EESU_EEDaSP_SQ_EUlSP_E_NS1_11comp_targetILNS1_3genE9ELNS1_11target_archE1100ELNS1_3gpuE3ELNS1_3repE0EEENS1_30default_config_static_selectorELNS0_4arch9wavefront6targetE1EEEvT1_.kd
    .uniform_work_group_size: 1
    .uses_dynamic_stack: false
    .vgpr_count:     0
    .vgpr_spill_count: 0
    .wavefront_size: 64
  - .agpr_count:     0
    .args:
      - .offset:         0
        .size:           96
        .value_kind:     by_value
    .group_segment_fixed_size: 0
    .kernarg_segment_align: 8
    .kernarg_segment_size: 96
    .language:       OpenCL C
    .language_version:
      - 2
      - 0
    .max_flat_workgroup_size: 64
    .name:           _ZN7rocprim17ROCPRIM_400000_NS6detail17trampoline_kernelINS0_14default_configENS1_20scan_config_selectorIsEEZZNS1_9scan_implILNS1_25lookback_scan_determinismE0ELb1ELb1ES3_N6thrust23THRUST_200600_302600_NS6detail15normal_iteratorINS9_10device_ptrIsEEEESE_sNS9_4plusIvEEsEEDaPvRmT3_T4_T5_mT6_P12ihipStream_tbENKUlT_T0_E_clISt17integral_constantIbLb0EESU_EEDaSP_SQ_EUlSP_E_NS1_11comp_targetILNS1_3genE8ELNS1_11target_archE1030ELNS1_3gpuE2ELNS1_3repE0EEENS1_30default_config_static_selectorELNS0_4arch9wavefront6targetE1EEEvT1_
    .private_segment_fixed_size: 0
    .sgpr_count:     4
    .sgpr_spill_count: 0
    .symbol:         _ZN7rocprim17ROCPRIM_400000_NS6detail17trampoline_kernelINS0_14default_configENS1_20scan_config_selectorIsEEZZNS1_9scan_implILNS1_25lookback_scan_determinismE0ELb1ELb1ES3_N6thrust23THRUST_200600_302600_NS6detail15normal_iteratorINS9_10device_ptrIsEEEESE_sNS9_4plusIvEEsEEDaPvRmT3_T4_T5_mT6_P12ihipStream_tbENKUlT_T0_E_clISt17integral_constantIbLb0EESU_EEDaSP_SQ_EUlSP_E_NS1_11comp_targetILNS1_3genE8ELNS1_11target_archE1030ELNS1_3gpuE2ELNS1_3repE0EEENS1_30default_config_static_selectorELNS0_4arch9wavefront6targetE1EEEvT1_.kd
    .uniform_work_group_size: 1
    .uses_dynamic_stack: false
    .vgpr_count:     0
    .vgpr_spill_count: 0
    .wavefront_size: 64
  - .agpr_count:     0
    .args:
      - .offset:         0
        .size:           32
        .value_kind:     by_value
    .group_segment_fixed_size: 0
    .kernarg_segment_align: 8
    .kernarg_segment_size: 32
    .language:       OpenCL C
    .language_version:
      - 2
      - 0
    .max_flat_workgroup_size: 128
    .name:           _ZN7rocprim17ROCPRIM_400000_NS6detail17trampoline_kernelINS0_14default_configENS1_20scan_config_selectorIsEEZZNS1_9scan_implILNS1_25lookback_scan_determinismE0ELb1ELb1ES3_N6thrust23THRUST_200600_302600_NS6detail15normal_iteratorINS9_10device_ptrIsEEEESE_sNS9_4plusIvEEsEEDaPvRmT3_T4_T5_mT6_P12ihipStream_tbENKUlT_T0_E_clISt17integral_constantIbLb0EESU_EEDaSP_SQ_EUlSP_E0_NS1_11comp_targetILNS1_3genE0ELNS1_11target_archE4294967295ELNS1_3gpuE0ELNS1_3repE0EEENS1_30default_config_static_selectorELNS0_4arch9wavefront6targetE1EEEvT1_
    .private_segment_fixed_size: 0
    .sgpr_count:     4
    .sgpr_spill_count: 0
    .symbol:         _ZN7rocprim17ROCPRIM_400000_NS6detail17trampoline_kernelINS0_14default_configENS1_20scan_config_selectorIsEEZZNS1_9scan_implILNS1_25lookback_scan_determinismE0ELb1ELb1ES3_N6thrust23THRUST_200600_302600_NS6detail15normal_iteratorINS9_10device_ptrIsEEEESE_sNS9_4plusIvEEsEEDaPvRmT3_T4_T5_mT6_P12ihipStream_tbENKUlT_T0_E_clISt17integral_constantIbLb0EESU_EEDaSP_SQ_EUlSP_E0_NS1_11comp_targetILNS1_3genE0ELNS1_11target_archE4294967295ELNS1_3gpuE0ELNS1_3repE0EEENS1_30default_config_static_selectorELNS0_4arch9wavefront6targetE1EEEvT1_.kd
    .uniform_work_group_size: 1
    .uses_dynamic_stack: false
    .vgpr_count:     0
    .vgpr_spill_count: 0
    .wavefront_size: 64
  - .agpr_count:     0
    .args:
      - .offset:         0
        .size:           32
        .value_kind:     by_value
    .group_segment_fixed_size: 0
    .kernarg_segment_align: 8
    .kernarg_segment_size: 32
    .language:       OpenCL C
    .language_version:
      - 2
      - 0
    .max_flat_workgroup_size: 256
    .name:           _ZN7rocprim17ROCPRIM_400000_NS6detail17trampoline_kernelINS0_14default_configENS1_20scan_config_selectorIsEEZZNS1_9scan_implILNS1_25lookback_scan_determinismE0ELb1ELb1ES3_N6thrust23THRUST_200600_302600_NS6detail15normal_iteratorINS9_10device_ptrIsEEEESE_sNS9_4plusIvEEsEEDaPvRmT3_T4_T5_mT6_P12ihipStream_tbENKUlT_T0_E_clISt17integral_constantIbLb0EESU_EEDaSP_SQ_EUlSP_E0_NS1_11comp_targetILNS1_3genE5ELNS1_11target_archE942ELNS1_3gpuE9ELNS1_3repE0EEENS1_30default_config_static_selectorELNS0_4arch9wavefront6targetE1EEEvT1_
    .private_segment_fixed_size: 0
    .sgpr_count:     4
    .sgpr_spill_count: 0
    .symbol:         _ZN7rocprim17ROCPRIM_400000_NS6detail17trampoline_kernelINS0_14default_configENS1_20scan_config_selectorIsEEZZNS1_9scan_implILNS1_25lookback_scan_determinismE0ELb1ELb1ES3_N6thrust23THRUST_200600_302600_NS6detail15normal_iteratorINS9_10device_ptrIsEEEESE_sNS9_4plusIvEEsEEDaPvRmT3_T4_T5_mT6_P12ihipStream_tbENKUlT_T0_E_clISt17integral_constantIbLb0EESU_EEDaSP_SQ_EUlSP_E0_NS1_11comp_targetILNS1_3genE5ELNS1_11target_archE942ELNS1_3gpuE9ELNS1_3repE0EEENS1_30default_config_static_selectorELNS0_4arch9wavefront6targetE1EEEvT1_.kd
    .uniform_work_group_size: 1
    .uses_dynamic_stack: false
    .vgpr_count:     0
    .vgpr_spill_count: 0
    .wavefront_size: 64
  - .agpr_count:     0
    .args:
      - .offset:         0
        .size:           32
        .value_kind:     by_value
    .group_segment_fixed_size: 3072
    .kernarg_segment_align: 8
    .kernarg_segment_size: 32
    .language:       OpenCL C
    .language_version:
      - 2
      - 0
    .max_flat_workgroup_size: 64
    .name:           _ZN7rocprim17ROCPRIM_400000_NS6detail17trampoline_kernelINS0_14default_configENS1_20scan_config_selectorIsEEZZNS1_9scan_implILNS1_25lookback_scan_determinismE0ELb1ELb1ES3_N6thrust23THRUST_200600_302600_NS6detail15normal_iteratorINS9_10device_ptrIsEEEESE_sNS9_4plusIvEEsEEDaPvRmT3_T4_T5_mT6_P12ihipStream_tbENKUlT_T0_E_clISt17integral_constantIbLb0EESU_EEDaSP_SQ_EUlSP_E0_NS1_11comp_targetILNS1_3genE4ELNS1_11target_archE910ELNS1_3gpuE8ELNS1_3repE0EEENS1_30default_config_static_selectorELNS0_4arch9wavefront6targetE1EEEvT1_
    .private_segment_fixed_size: 0
    .sgpr_count:     60
    .sgpr_spill_count: 0
    .symbol:         _ZN7rocprim17ROCPRIM_400000_NS6detail17trampoline_kernelINS0_14default_configENS1_20scan_config_selectorIsEEZZNS1_9scan_implILNS1_25lookback_scan_determinismE0ELb1ELb1ES3_N6thrust23THRUST_200600_302600_NS6detail15normal_iteratorINS9_10device_ptrIsEEEESE_sNS9_4plusIvEEsEEDaPvRmT3_T4_T5_mT6_P12ihipStream_tbENKUlT_T0_E_clISt17integral_constantIbLb0EESU_EEDaSP_SQ_EUlSP_E0_NS1_11comp_targetILNS1_3genE4ELNS1_11target_archE910ELNS1_3gpuE8ELNS1_3repE0EEENS1_30default_config_static_selectorELNS0_4arch9wavefront6targetE1EEEvT1_.kd
    .uniform_work_group_size: 1
    .uses_dynamic_stack: false
    .vgpr_count:     32
    .vgpr_spill_count: 0
    .wavefront_size: 64
  - .agpr_count:     0
    .args:
      - .offset:         0
        .size:           32
        .value_kind:     by_value
    .group_segment_fixed_size: 0
    .kernarg_segment_align: 8
    .kernarg_segment_size: 32
    .language:       OpenCL C
    .language_version:
      - 2
      - 0
    .max_flat_workgroup_size: 128
    .name:           _ZN7rocprim17ROCPRIM_400000_NS6detail17trampoline_kernelINS0_14default_configENS1_20scan_config_selectorIsEEZZNS1_9scan_implILNS1_25lookback_scan_determinismE0ELb1ELb1ES3_N6thrust23THRUST_200600_302600_NS6detail15normal_iteratorINS9_10device_ptrIsEEEESE_sNS9_4plusIvEEsEEDaPvRmT3_T4_T5_mT6_P12ihipStream_tbENKUlT_T0_E_clISt17integral_constantIbLb0EESU_EEDaSP_SQ_EUlSP_E0_NS1_11comp_targetILNS1_3genE3ELNS1_11target_archE908ELNS1_3gpuE7ELNS1_3repE0EEENS1_30default_config_static_selectorELNS0_4arch9wavefront6targetE1EEEvT1_
    .private_segment_fixed_size: 0
    .sgpr_count:     4
    .sgpr_spill_count: 0
    .symbol:         _ZN7rocprim17ROCPRIM_400000_NS6detail17trampoline_kernelINS0_14default_configENS1_20scan_config_selectorIsEEZZNS1_9scan_implILNS1_25lookback_scan_determinismE0ELb1ELb1ES3_N6thrust23THRUST_200600_302600_NS6detail15normal_iteratorINS9_10device_ptrIsEEEESE_sNS9_4plusIvEEsEEDaPvRmT3_T4_T5_mT6_P12ihipStream_tbENKUlT_T0_E_clISt17integral_constantIbLb0EESU_EEDaSP_SQ_EUlSP_E0_NS1_11comp_targetILNS1_3genE3ELNS1_11target_archE908ELNS1_3gpuE7ELNS1_3repE0EEENS1_30default_config_static_selectorELNS0_4arch9wavefront6targetE1EEEvT1_.kd
    .uniform_work_group_size: 1
    .uses_dynamic_stack: false
    .vgpr_count:     0
    .vgpr_spill_count: 0
    .wavefront_size: 64
  - .agpr_count:     0
    .args:
      - .offset:         0
        .size:           32
        .value_kind:     by_value
    .group_segment_fixed_size: 0
    .kernarg_segment_align: 8
    .kernarg_segment_size: 32
    .language:       OpenCL C
    .language_version:
      - 2
      - 0
    .max_flat_workgroup_size: 256
    .name:           _ZN7rocprim17ROCPRIM_400000_NS6detail17trampoline_kernelINS0_14default_configENS1_20scan_config_selectorIsEEZZNS1_9scan_implILNS1_25lookback_scan_determinismE0ELb1ELb1ES3_N6thrust23THRUST_200600_302600_NS6detail15normal_iteratorINS9_10device_ptrIsEEEESE_sNS9_4plusIvEEsEEDaPvRmT3_T4_T5_mT6_P12ihipStream_tbENKUlT_T0_E_clISt17integral_constantIbLb0EESU_EEDaSP_SQ_EUlSP_E0_NS1_11comp_targetILNS1_3genE2ELNS1_11target_archE906ELNS1_3gpuE6ELNS1_3repE0EEENS1_30default_config_static_selectorELNS0_4arch9wavefront6targetE1EEEvT1_
    .private_segment_fixed_size: 0
    .sgpr_count:     4
    .sgpr_spill_count: 0
    .symbol:         _ZN7rocprim17ROCPRIM_400000_NS6detail17trampoline_kernelINS0_14default_configENS1_20scan_config_selectorIsEEZZNS1_9scan_implILNS1_25lookback_scan_determinismE0ELb1ELb1ES3_N6thrust23THRUST_200600_302600_NS6detail15normal_iteratorINS9_10device_ptrIsEEEESE_sNS9_4plusIvEEsEEDaPvRmT3_T4_T5_mT6_P12ihipStream_tbENKUlT_T0_E_clISt17integral_constantIbLb0EESU_EEDaSP_SQ_EUlSP_E0_NS1_11comp_targetILNS1_3genE2ELNS1_11target_archE906ELNS1_3gpuE6ELNS1_3repE0EEENS1_30default_config_static_selectorELNS0_4arch9wavefront6targetE1EEEvT1_.kd
    .uniform_work_group_size: 1
    .uses_dynamic_stack: false
    .vgpr_count:     0
    .vgpr_spill_count: 0
    .wavefront_size: 64
  - .agpr_count:     0
    .args:
      - .offset:         0
        .size:           32
        .value_kind:     by_value
    .group_segment_fixed_size: 0
    .kernarg_segment_align: 8
    .kernarg_segment_size: 32
    .language:       OpenCL C
    .language_version:
      - 2
      - 0
    .max_flat_workgroup_size: 256
    .name:           _ZN7rocprim17ROCPRIM_400000_NS6detail17trampoline_kernelINS0_14default_configENS1_20scan_config_selectorIsEEZZNS1_9scan_implILNS1_25lookback_scan_determinismE0ELb1ELb1ES3_N6thrust23THRUST_200600_302600_NS6detail15normal_iteratorINS9_10device_ptrIsEEEESE_sNS9_4plusIvEEsEEDaPvRmT3_T4_T5_mT6_P12ihipStream_tbENKUlT_T0_E_clISt17integral_constantIbLb0EESU_EEDaSP_SQ_EUlSP_E0_NS1_11comp_targetILNS1_3genE10ELNS1_11target_archE1201ELNS1_3gpuE5ELNS1_3repE0EEENS1_30default_config_static_selectorELNS0_4arch9wavefront6targetE1EEEvT1_
    .private_segment_fixed_size: 0
    .sgpr_count:     4
    .sgpr_spill_count: 0
    .symbol:         _ZN7rocprim17ROCPRIM_400000_NS6detail17trampoline_kernelINS0_14default_configENS1_20scan_config_selectorIsEEZZNS1_9scan_implILNS1_25lookback_scan_determinismE0ELb1ELb1ES3_N6thrust23THRUST_200600_302600_NS6detail15normal_iteratorINS9_10device_ptrIsEEEESE_sNS9_4plusIvEEsEEDaPvRmT3_T4_T5_mT6_P12ihipStream_tbENKUlT_T0_E_clISt17integral_constantIbLb0EESU_EEDaSP_SQ_EUlSP_E0_NS1_11comp_targetILNS1_3genE10ELNS1_11target_archE1201ELNS1_3gpuE5ELNS1_3repE0EEENS1_30default_config_static_selectorELNS0_4arch9wavefront6targetE1EEEvT1_.kd
    .uniform_work_group_size: 1
    .uses_dynamic_stack: false
    .vgpr_count:     0
    .vgpr_spill_count: 0
    .wavefront_size: 64
  - .agpr_count:     0
    .args:
      - .offset:         0
        .size:           32
        .value_kind:     by_value
    .group_segment_fixed_size: 0
    .kernarg_segment_align: 8
    .kernarg_segment_size: 32
    .language:       OpenCL C
    .language_version:
      - 2
      - 0
    .max_flat_workgroup_size: 256
    .name:           _ZN7rocprim17ROCPRIM_400000_NS6detail17trampoline_kernelINS0_14default_configENS1_20scan_config_selectorIsEEZZNS1_9scan_implILNS1_25lookback_scan_determinismE0ELb1ELb1ES3_N6thrust23THRUST_200600_302600_NS6detail15normal_iteratorINS9_10device_ptrIsEEEESE_sNS9_4plusIvEEsEEDaPvRmT3_T4_T5_mT6_P12ihipStream_tbENKUlT_T0_E_clISt17integral_constantIbLb0EESU_EEDaSP_SQ_EUlSP_E0_NS1_11comp_targetILNS1_3genE10ELNS1_11target_archE1200ELNS1_3gpuE4ELNS1_3repE0EEENS1_30default_config_static_selectorELNS0_4arch9wavefront6targetE1EEEvT1_
    .private_segment_fixed_size: 0
    .sgpr_count:     4
    .sgpr_spill_count: 0
    .symbol:         _ZN7rocprim17ROCPRIM_400000_NS6detail17trampoline_kernelINS0_14default_configENS1_20scan_config_selectorIsEEZZNS1_9scan_implILNS1_25lookback_scan_determinismE0ELb1ELb1ES3_N6thrust23THRUST_200600_302600_NS6detail15normal_iteratorINS9_10device_ptrIsEEEESE_sNS9_4plusIvEEsEEDaPvRmT3_T4_T5_mT6_P12ihipStream_tbENKUlT_T0_E_clISt17integral_constantIbLb0EESU_EEDaSP_SQ_EUlSP_E0_NS1_11comp_targetILNS1_3genE10ELNS1_11target_archE1200ELNS1_3gpuE4ELNS1_3repE0EEENS1_30default_config_static_selectorELNS0_4arch9wavefront6targetE1EEEvT1_.kd
    .uniform_work_group_size: 1
    .uses_dynamic_stack: false
    .vgpr_count:     0
    .vgpr_spill_count: 0
    .wavefront_size: 64
  - .agpr_count:     0
    .args:
      - .offset:         0
        .size:           32
        .value_kind:     by_value
    .group_segment_fixed_size: 0
    .kernarg_segment_align: 8
    .kernarg_segment_size: 32
    .language:       OpenCL C
    .language_version:
      - 2
      - 0
    .max_flat_workgroup_size: 64
    .name:           _ZN7rocprim17ROCPRIM_400000_NS6detail17trampoline_kernelINS0_14default_configENS1_20scan_config_selectorIsEEZZNS1_9scan_implILNS1_25lookback_scan_determinismE0ELb1ELb1ES3_N6thrust23THRUST_200600_302600_NS6detail15normal_iteratorINS9_10device_ptrIsEEEESE_sNS9_4plusIvEEsEEDaPvRmT3_T4_T5_mT6_P12ihipStream_tbENKUlT_T0_E_clISt17integral_constantIbLb0EESU_EEDaSP_SQ_EUlSP_E0_NS1_11comp_targetILNS1_3genE9ELNS1_11target_archE1100ELNS1_3gpuE3ELNS1_3repE0EEENS1_30default_config_static_selectorELNS0_4arch9wavefront6targetE1EEEvT1_
    .private_segment_fixed_size: 0
    .sgpr_count:     4
    .sgpr_spill_count: 0
    .symbol:         _ZN7rocprim17ROCPRIM_400000_NS6detail17trampoline_kernelINS0_14default_configENS1_20scan_config_selectorIsEEZZNS1_9scan_implILNS1_25lookback_scan_determinismE0ELb1ELb1ES3_N6thrust23THRUST_200600_302600_NS6detail15normal_iteratorINS9_10device_ptrIsEEEESE_sNS9_4plusIvEEsEEDaPvRmT3_T4_T5_mT6_P12ihipStream_tbENKUlT_T0_E_clISt17integral_constantIbLb0EESU_EEDaSP_SQ_EUlSP_E0_NS1_11comp_targetILNS1_3genE9ELNS1_11target_archE1100ELNS1_3gpuE3ELNS1_3repE0EEENS1_30default_config_static_selectorELNS0_4arch9wavefront6targetE1EEEvT1_.kd
    .uniform_work_group_size: 1
    .uses_dynamic_stack: false
    .vgpr_count:     0
    .vgpr_spill_count: 0
    .wavefront_size: 64
  - .agpr_count:     0
    .args:
      - .offset:         0
        .size:           32
        .value_kind:     by_value
    .group_segment_fixed_size: 0
    .kernarg_segment_align: 8
    .kernarg_segment_size: 32
    .language:       OpenCL C
    .language_version:
      - 2
      - 0
    .max_flat_workgroup_size: 64
    .name:           _ZN7rocprim17ROCPRIM_400000_NS6detail17trampoline_kernelINS0_14default_configENS1_20scan_config_selectorIsEEZZNS1_9scan_implILNS1_25lookback_scan_determinismE0ELb1ELb1ES3_N6thrust23THRUST_200600_302600_NS6detail15normal_iteratorINS9_10device_ptrIsEEEESE_sNS9_4plusIvEEsEEDaPvRmT3_T4_T5_mT6_P12ihipStream_tbENKUlT_T0_E_clISt17integral_constantIbLb0EESU_EEDaSP_SQ_EUlSP_E0_NS1_11comp_targetILNS1_3genE8ELNS1_11target_archE1030ELNS1_3gpuE2ELNS1_3repE0EEENS1_30default_config_static_selectorELNS0_4arch9wavefront6targetE1EEEvT1_
    .private_segment_fixed_size: 0
    .sgpr_count:     4
    .sgpr_spill_count: 0
    .symbol:         _ZN7rocprim17ROCPRIM_400000_NS6detail17trampoline_kernelINS0_14default_configENS1_20scan_config_selectorIsEEZZNS1_9scan_implILNS1_25lookback_scan_determinismE0ELb1ELb1ES3_N6thrust23THRUST_200600_302600_NS6detail15normal_iteratorINS9_10device_ptrIsEEEESE_sNS9_4plusIvEEsEEDaPvRmT3_T4_T5_mT6_P12ihipStream_tbENKUlT_T0_E_clISt17integral_constantIbLb0EESU_EEDaSP_SQ_EUlSP_E0_NS1_11comp_targetILNS1_3genE8ELNS1_11target_archE1030ELNS1_3gpuE2ELNS1_3repE0EEENS1_30default_config_static_selectorELNS0_4arch9wavefront6targetE1EEEvT1_.kd
    .uniform_work_group_size: 1
    .uses_dynamic_stack: false
    .vgpr_count:     0
    .vgpr_spill_count: 0
    .wavefront_size: 64
  - .agpr_count:     0
    .args:
      - .offset:         0
        .size:           96
        .value_kind:     by_value
    .group_segment_fixed_size: 0
    .kernarg_segment_align: 8
    .kernarg_segment_size: 96
    .language:       OpenCL C
    .language_version:
      - 2
      - 0
    .max_flat_workgroup_size: 128
    .name:           _ZN7rocprim17ROCPRIM_400000_NS6detail17trampoline_kernelINS0_14default_configENS1_20scan_config_selectorIsEEZZNS1_9scan_implILNS1_25lookback_scan_determinismE0ELb1ELb1ES3_N6thrust23THRUST_200600_302600_NS6detail15normal_iteratorINS9_10device_ptrIsEEEESE_sNS9_4plusIvEEsEEDaPvRmT3_T4_T5_mT6_P12ihipStream_tbENKUlT_T0_E_clISt17integral_constantIbLb1EESU_EEDaSP_SQ_EUlSP_E_NS1_11comp_targetILNS1_3genE0ELNS1_11target_archE4294967295ELNS1_3gpuE0ELNS1_3repE0EEENS1_30default_config_static_selectorELNS0_4arch9wavefront6targetE1EEEvT1_
    .private_segment_fixed_size: 0
    .sgpr_count:     4
    .sgpr_spill_count: 0
    .symbol:         _ZN7rocprim17ROCPRIM_400000_NS6detail17trampoline_kernelINS0_14default_configENS1_20scan_config_selectorIsEEZZNS1_9scan_implILNS1_25lookback_scan_determinismE0ELb1ELb1ES3_N6thrust23THRUST_200600_302600_NS6detail15normal_iteratorINS9_10device_ptrIsEEEESE_sNS9_4plusIvEEsEEDaPvRmT3_T4_T5_mT6_P12ihipStream_tbENKUlT_T0_E_clISt17integral_constantIbLb1EESU_EEDaSP_SQ_EUlSP_E_NS1_11comp_targetILNS1_3genE0ELNS1_11target_archE4294967295ELNS1_3gpuE0ELNS1_3repE0EEENS1_30default_config_static_selectorELNS0_4arch9wavefront6targetE1EEEvT1_.kd
    .uniform_work_group_size: 1
    .uses_dynamic_stack: false
    .vgpr_count:     0
    .vgpr_spill_count: 0
    .wavefront_size: 64
  - .agpr_count:     0
    .args:
      - .offset:         0
        .size:           96
        .value_kind:     by_value
    .group_segment_fixed_size: 0
    .kernarg_segment_align: 8
    .kernarg_segment_size: 96
    .language:       OpenCL C
    .language_version:
      - 2
      - 0
    .max_flat_workgroup_size: 256
    .name:           _ZN7rocprim17ROCPRIM_400000_NS6detail17trampoline_kernelINS0_14default_configENS1_20scan_config_selectorIsEEZZNS1_9scan_implILNS1_25lookback_scan_determinismE0ELb1ELb1ES3_N6thrust23THRUST_200600_302600_NS6detail15normal_iteratorINS9_10device_ptrIsEEEESE_sNS9_4plusIvEEsEEDaPvRmT3_T4_T5_mT6_P12ihipStream_tbENKUlT_T0_E_clISt17integral_constantIbLb1EESU_EEDaSP_SQ_EUlSP_E_NS1_11comp_targetILNS1_3genE5ELNS1_11target_archE942ELNS1_3gpuE9ELNS1_3repE0EEENS1_30default_config_static_selectorELNS0_4arch9wavefront6targetE1EEEvT1_
    .private_segment_fixed_size: 0
    .sgpr_count:     4
    .sgpr_spill_count: 0
    .symbol:         _ZN7rocprim17ROCPRIM_400000_NS6detail17trampoline_kernelINS0_14default_configENS1_20scan_config_selectorIsEEZZNS1_9scan_implILNS1_25lookback_scan_determinismE0ELb1ELb1ES3_N6thrust23THRUST_200600_302600_NS6detail15normal_iteratorINS9_10device_ptrIsEEEESE_sNS9_4plusIvEEsEEDaPvRmT3_T4_T5_mT6_P12ihipStream_tbENKUlT_T0_E_clISt17integral_constantIbLb1EESU_EEDaSP_SQ_EUlSP_E_NS1_11comp_targetILNS1_3genE5ELNS1_11target_archE942ELNS1_3gpuE9ELNS1_3repE0EEENS1_30default_config_static_selectorELNS0_4arch9wavefront6targetE1EEEvT1_.kd
    .uniform_work_group_size: 1
    .uses_dynamic_stack: false
    .vgpr_count:     0
    .vgpr_spill_count: 0
    .wavefront_size: 64
  - .agpr_count:     0
    .args:
      - .offset:         0
        .size:           96
        .value_kind:     by_value
    .group_segment_fixed_size: 3072
    .kernarg_segment_align: 8
    .kernarg_segment_size: 96
    .language:       OpenCL C
    .language_version:
      - 2
      - 0
    .max_flat_workgroup_size: 64
    .name:           _ZN7rocprim17ROCPRIM_400000_NS6detail17trampoline_kernelINS0_14default_configENS1_20scan_config_selectorIsEEZZNS1_9scan_implILNS1_25lookback_scan_determinismE0ELb1ELb1ES3_N6thrust23THRUST_200600_302600_NS6detail15normal_iteratorINS9_10device_ptrIsEEEESE_sNS9_4plusIvEEsEEDaPvRmT3_T4_T5_mT6_P12ihipStream_tbENKUlT_T0_E_clISt17integral_constantIbLb1EESU_EEDaSP_SQ_EUlSP_E_NS1_11comp_targetILNS1_3genE4ELNS1_11target_archE910ELNS1_3gpuE8ELNS1_3repE0EEENS1_30default_config_static_selectorELNS0_4arch9wavefront6targetE1EEEvT1_
    .private_segment_fixed_size: 0
    .sgpr_count:     42
    .sgpr_spill_count: 0
    .symbol:         _ZN7rocprim17ROCPRIM_400000_NS6detail17trampoline_kernelINS0_14default_configENS1_20scan_config_selectorIsEEZZNS1_9scan_implILNS1_25lookback_scan_determinismE0ELb1ELb1ES3_N6thrust23THRUST_200600_302600_NS6detail15normal_iteratorINS9_10device_ptrIsEEEESE_sNS9_4plusIvEEsEEDaPvRmT3_T4_T5_mT6_P12ihipStream_tbENKUlT_T0_E_clISt17integral_constantIbLb1EESU_EEDaSP_SQ_EUlSP_E_NS1_11comp_targetILNS1_3genE4ELNS1_11target_archE910ELNS1_3gpuE8ELNS1_3repE0EEENS1_30default_config_static_selectorELNS0_4arch9wavefront6targetE1EEEvT1_.kd
    .uniform_work_group_size: 1
    .uses_dynamic_stack: false
    .vgpr_count:     54
    .vgpr_spill_count: 0
    .wavefront_size: 64
  - .agpr_count:     0
    .args:
      - .offset:         0
        .size:           96
        .value_kind:     by_value
    .group_segment_fixed_size: 0
    .kernarg_segment_align: 8
    .kernarg_segment_size: 96
    .language:       OpenCL C
    .language_version:
      - 2
      - 0
    .max_flat_workgroup_size: 128
    .name:           _ZN7rocprim17ROCPRIM_400000_NS6detail17trampoline_kernelINS0_14default_configENS1_20scan_config_selectorIsEEZZNS1_9scan_implILNS1_25lookback_scan_determinismE0ELb1ELb1ES3_N6thrust23THRUST_200600_302600_NS6detail15normal_iteratorINS9_10device_ptrIsEEEESE_sNS9_4plusIvEEsEEDaPvRmT3_T4_T5_mT6_P12ihipStream_tbENKUlT_T0_E_clISt17integral_constantIbLb1EESU_EEDaSP_SQ_EUlSP_E_NS1_11comp_targetILNS1_3genE3ELNS1_11target_archE908ELNS1_3gpuE7ELNS1_3repE0EEENS1_30default_config_static_selectorELNS0_4arch9wavefront6targetE1EEEvT1_
    .private_segment_fixed_size: 0
    .sgpr_count:     4
    .sgpr_spill_count: 0
    .symbol:         _ZN7rocprim17ROCPRIM_400000_NS6detail17trampoline_kernelINS0_14default_configENS1_20scan_config_selectorIsEEZZNS1_9scan_implILNS1_25lookback_scan_determinismE0ELb1ELb1ES3_N6thrust23THRUST_200600_302600_NS6detail15normal_iteratorINS9_10device_ptrIsEEEESE_sNS9_4plusIvEEsEEDaPvRmT3_T4_T5_mT6_P12ihipStream_tbENKUlT_T0_E_clISt17integral_constantIbLb1EESU_EEDaSP_SQ_EUlSP_E_NS1_11comp_targetILNS1_3genE3ELNS1_11target_archE908ELNS1_3gpuE7ELNS1_3repE0EEENS1_30default_config_static_selectorELNS0_4arch9wavefront6targetE1EEEvT1_.kd
    .uniform_work_group_size: 1
    .uses_dynamic_stack: false
    .vgpr_count:     0
    .vgpr_spill_count: 0
    .wavefront_size: 64
  - .agpr_count:     0
    .args:
      - .offset:         0
        .size:           96
        .value_kind:     by_value
    .group_segment_fixed_size: 0
    .kernarg_segment_align: 8
    .kernarg_segment_size: 96
    .language:       OpenCL C
    .language_version:
      - 2
      - 0
    .max_flat_workgroup_size: 256
    .name:           _ZN7rocprim17ROCPRIM_400000_NS6detail17trampoline_kernelINS0_14default_configENS1_20scan_config_selectorIsEEZZNS1_9scan_implILNS1_25lookback_scan_determinismE0ELb1ELb1ES3_N6thrust23THRUST_200600_302600_NS6detail15normal_iteratorINS9_10device_ptrIsEEEESE_sNS9_4plusIvEEsEEDaPvRmT3_T4_T5_mT6_P12ihipStream_tbENKUlT_T0_E_clISt17integral_constantIbLb1EESU_EEDaSP_SQ_EUlSP_E_NS1_11comp_targetILNS1_3genE2ELNS1_11target_archE906ELNS1_3gpuE6ELNS1_3repE0EEENS1_30default_config_static_selectorELNS0_4arch9wavefront6targetE1EEEvT1_
    .private_segment_fixed_size: 0
    .sgpr_count:     4
    .sgpr_spill_count: 0
    .symbol:         _ZN7rocprim17ROCPRIM_400000_NS6detail17trampoline_kernelINS0_14default_configENS1_20scan_config_selectorIsEEZZNS1_9scan_implILNS1_25lookback_scan_determinismE0ELb1ELb1ES3_N6thrust23THRUST_200600_302600_NS6detail15normal_iteratorINS9_10device_ptrIsEEEESE_sNS9_4plusIvEEsEEDaPvRmT3_T4_T5_mT6_P12ihipStream_tbENKUlT_T0_E_clISt17integral_constantIbLb1EESU_EEDaSP_SQ_EUlSP_E_NS1_11comp_targetILNS1_3genE2ELNS1_11target_archE906ELNS1_3gpuE6ELNS1_3repE0EEENS1_30default_config_static_selectorELNS0_4arch9wavefront6targetE1EEEvT1_.kd
    .uniform_work_group_size: 1
    .uses_dynamic_stack: false
    .vgpr_count:     0
    .vgpr_spill_count: 0
    .wavefront_size: 64
  - .agpr_count:     0
    .args:
      - .offset:         0
        .size:           96
        .value_kind:     by_value
    .group_segment_fixed_size: 0
    .kernarg_segment_align: 8
    .kernarg_segment_size: 96
    .language:       OpenCL C
    .language_version:
      - 2
      - 0
    .max_flat_workgroup_size: 256
    .name:           _ZN7rocprim17ROCPRIM_400000_NS6detail17trampoline_kernelINS0_14default_configENS1_20scan_config_selectorIsEEZZNS1_9scan_implILNS1_25lookback_scan_determinismE0ELb1ELb1ES3_N6thrust23THRUST_200600_302600_NS6detail15normal_iteratorINS9_10device_ptrIsEEEESE_sNS9_4plusIvEEsEEDaPvRmT3_T4_T5_mT6_P12ihipStream_tbENKUlT_T0_E_clISt17integral_constantIbLb1EESU_EEDaSP_SQ_EUlSP_E_NS1_11comp_targetILNS1_3genE10ELNS1_11target_archE1201ELNS1_3gpuE5ELNS1_3repE0EEENS1_30default_config_static_selectorELNS0_4arch9wavefront6targetE1EEEvT1_
    .private_segment_fixed_size: 0
    .sgpr_count:     4
    .sgpr_spill_count: 0
    .symbol:         _ZN7rocprim17ROCPRIM_400000_NS6detail17trampoline_kernelINS0_14default_configENS1_20scan_config_selectorIsEEZZNS1_9scan_implILNS1_25lookback_scan_determinismE0ELb1ELb1ES3_N6thrust23THRUST_200600_302600_NS6detail15normal_iteratorINS9_10device_ptrIsEEEESE_sNS9_4plusIvEEsEEDaPvRmT3_T4_T5_mT6_P12ihipStream_tbENKUlT_T0_E_clISt17integral_constantIbLb1EESU_EEDaSP_SQ_EUlSP_E_NS1_11comp_targetILNS1_3genE10ELNS1_11target_archE1201ELNS1_3gpuE5ELNS1_3repE0EEENS1_30default_config_static_selectorELNS0_4arch9wavefront6targetE1EEEvT1_.kd
    .uniform_work_group_size: 1
    .uses_dynamic_stack: false
    .vgpr_count:     0
    .vgpr_spill_count: 0
    .wavefront_size: 64
  - .agpr_count:     0
    .args:
      - .offset:         0
        .size:           96
        .value_kind:     by_value
    .group_segment_fixed_size: 0
    .kernarg_segment_align: 8
    .kernarg_segment_size: 96
    .language:       OpenCL C
    .language_version:
      - 2
      - 0
    .max_flat_workgroup_size: 256
    .name:           _ZN7rocprim17ROCPRIM_400000_NS6detail17trampoline_kernelINS0_14default_configENS1_20scan_config_selectorIsEEZZNS1_9scan_implILNS1_25lookback_scan_determinismE0ELb1ELb1ES3_N6thrust23THRUST_200600_302600_NS6detail15normal_iteratorINS9_10device_ptrIsEEEESE_sNS9_4plusIvEEsEEDaPvRmT3_T4_T5_mT6_P12ihipStream_tbENKUlT_T0_E_clISt17integral_constantIbLb1EESU_EEDaSP_SQ_EUlSP_E_NS1_11comp_targetILNS1_3genE10ELNS1_11target_archE1200ELNS1_3gpuE4ELNS1_3repE0EEENS1_30default_config_static_selectorELNS0_4arch9wavefront6targetE1EEEvT1_
    .private_segment_fixed_size: 0
    .sgpr_count:     4
    .sgpr_spill_count: 0
    .symbol:         _ZN7rocprim17ROCPRIM_400000_NS6detail17trampoline_kernelINS0_14default_configENS1_20scan_config_selectorIsEEZZNS1_9scan_implILNS1_25lookback_scan_determinismE0ELb1ELb1ES3_N6thrust23THRUST_200600_302600_NS6detail15normal_iteratorINS9_10device_ptrIsEEEESE_sNS9_4plusIvEEsEEDaPvRmT3_T4_T5_mT6_P12ihipStream_tbENKUlT_T0_E_clISt17integral_constantIbLb1EESU_EEDaSP_SQ_EUlSP_E_NS1_11comp_targetILNS1_3genE10ELNS1_11target_archE1200ELNS1_3gpuE4ELNS1_3repE0EEENS1_30default_config_static_selectorELNS0_4arch9wavefront6targetE1EEEvT1_.kd
    .uniform_work_group_size: 1
    .uses_dynamic_stack: false
    .vgpr_count:     0
    .vgpr_spill_count: 0
    .wavefront_size: 64
  - .agpr_count:     0
    .args:
      - .offset:         0
        .size:           96
        .value_kind:     by_value
    .group_segment_fixed_size: 0
    .kernarg_segment_align: 8
    .kernarg_segment_size: 96
    .language:       OpenCL C
    .language_version:
      - 2
      - 0
    .max_flat_workgroup_size: 64
    .name:           _ZN7rocprim17ROCPRIM_400000_NS6detail17trampoline_kernelINS0_14default_configENS1_20scan_config_selectorIsEEZZNS1_9scan_implILNS1_25lookback_scan_determinismE0ELb1ELb1ES3_N6thrust23THRUST_200600_302600_NS6detail15normal_iteratorINS9_10device_ptrIsEEEESE_sNS9_4plusIvEEsEEDaPvRmT3_T4_T5_mT6_P12ihipStream_tbENKUlT_T0_E_clISt17integral_constantIbLb1EESU_EEDaSP_SQ_EUlSP_E_NS1_11comp_targetILNS1_3genE9ELNS1_11target_archE1100ELNS1_3gpuE3ELNS1_3repE0EEENS1_30default_config_static_selectorELNS0_4arch9wavefront6targetE1EEEvT1_
    .private_segment_fixed_size: 0
    .sgpr_count:     4
    .sgpr_spill_count: 0
    .symbol:         _ZN7rocprim17ROCPRIM_400000_NS6detail17trampoline_kernelINS0_14default_configENS1_20scan_config_selectorIsEEZZNS1_9scan_implILNS1_25lookback_scan_determinismE0ELb1ELb1ES3_N6thrust23THRUST_200600_302600_NS6detail15normal_iteratorINS9_10device_ptrIsEEEESE_sNS9_4plusIvEEsEEDaPvRmT3_T4_T5_mT6_P12ihipStream_tbENKUlT_T0_E_clISt17integral_constantIbLb1EESU_EEDaSP_SQ_EUlSP_E_NS1_11comp_targetILNS1_3genE9ELNS1_11target_archE1100ELNS1_3gpuE3ELNS1_3repE0EEENS1_30default_config_static_selectorELNS0_4arch9wavefront6targetE1EEEvT1_.kd
    .uniform_work_group_size: 1
    .uses_dynamic_stack: false
    .vgpr_count:     0
    .vgpr_spill_count: 0
    .wavefront_size: 64
  - .agpr_count:     0
    .args:
      - .offset:         0
        .size:           96
        .value_kind:     by_value
    .group_segment_fixed_size: 0
    .kernarg_segment_align: 8
    .kernarg_segment_size: 96
    .language:       OpenCL C
    .language_version:
      - 2
      - 0
    .max_flat_workgroup_size: 64
    .name:           _ZN7rocprim17ROCPRIM_400000_NS6detail17trampoline_kernelINS0_14default_configENS1_20scan_config_selectorIsEEZZNS1_9scan_implILNS1_25lookback_scan_determinismE0ELb1ELb1ES3_N6thrust23THRUST_200600_302600_NS6detail15normal_iteratorINS9_10device_ptrIsEEEESE_sNS9_4plusIvEEsEEDaPvRmT3_T4_T5_mT6_P12ihipStream_tbENKUlT_T0_E_clISt17integral_constantIbLb1EESU_EEDaSP_SQ_EUlSP_E_NS1_11comp_targetILNS1_3genE8ELNS1_11target_archE1030ELNS1_3gpuE2ELNS1_3repE0EEENS1_30default_config_static_selectorELNS0_4arch9wavefront6targetE1EEEvT1_
    .private_segment_fixed_size: 0
    .sgpr_count:     4
    .sgpr_spill_count: 0
    .symbol:         _ZN7rocprim17ROCPRIM_400000_NS6detail17trampoline_kernelINS0_14default_configENS1_20scan_config_selectorIsEEZZNS1_9scan_implILNS1_25lookback_scan_determinismE0ELb1ELb1ES3_N6thrust23THRUST_200600_302600_NS6detail15normal_iteratorINS9_10device_ptrIsEEEESE_sNS9_4plusIvEEsEEDaPvRmT3_T4_T5_mT6_P12ihipStream_tbENKUlT_T0_E_clISt17integral_constantIbLb1EESU_EEDaSP_SQ_EUlSP_E_NS1_11comp_targetILNS1_3genE8ELNS1_11target_archE1030ELNS1_3gpuE2ELNS1_3repE0EEENS1_30default_config_static_selectorELNS0_4arch9wavefront6targetE1EEEvT1_.kd
    .uniform_work_group_size: 1
    .uses_dynamic_stack: false
    .vgpr_count:     0
    .vgpr_spill_count: 0
    .wavefront_size: 64
  - .agpr_count:     0
    .args:
      - .offset:         0
        .size:           32
        .value_kind:     by_value
    .group_segment_fixed_size: 0
    .kernarg_segment_align: 8
    .kernarg_segment_size: 32
    .language:       OpenCL C
    .language_version:
      - 2
      - 0
    .max_flat_workgroup_size: 128
    .name:           _ZN7rocprim17ROCPRIM_400000_NS6detail17trampoline_kernelINS0_14default_configENS1_20scan_config_selectorIsEEZZNS1_9scan_implILNS1_25lookback_scan_determinismE0ELb1ELb1ES3_N6thrust23THRUST_200600_302600_NS6detail15normal_iteratorINS9_10device_ptrIsEEEESE_sNS9_4plusIvEEsEEDaPvRmT3_T4_T5_mT6_P12ihipStream_tbENKUlT_T0_E_clISt17integral_constantIbLb1EESU_EEDaSP_SQ_EUlSP_E0_NS1_11comp_targetILNS1_3genE0ELNS1_11target_archE4294967295ELNS1_3gpuE0ELNS1_3repE0EEENS1_30default_config_static_selectorELNS0_4arch9wavefront6targetE1EEEvT1_
    .private_segment_fixed_size: 0
    .sgpr_count:     4
    .sgpr_spill_count: 0
    .symbol:         _ZN7rocprim17ROCPRIM_400000_NS6detail17trampoline_kernelINS0_14default_configENS1_20scan_config_selectorIsEEZZNS1_9scan_implILNS1_25lookback_scan_determinismE0ELb1ELb1ES3_N6thrust23THRUST_200600_302600_NS6detail15normal_iteratorINS9_10device_ptrIsEEEESE_sNS9_4plusIvEEsEEDaPvRmT3_T4_T5_mT6_P12ihipStream_tbENKUlT_T0_E_clISt17integral_constantIbLb1EESU_EEDaSP_SQ_EUlSP_E0_NS1_11comp_targetILNS1_3genE0ELNS1_11target_archE4294967295ELNS1_3gpuE0ELNS1_3repE0EEENS1_30default_config_static_selectorELNS0_4arch9wavefront6targetE1EEEvT1_.kd
    .uniform_work_group_size: 1
    .uses_dynamic_stack: false
    .vgpr_count:     0
    .vgpr_spill_count: 0
    .wavefront_size: 64
  - .agpr_count:     0
    .args:
      - .offset:         0
        .size:           32
        .value_kind:     by_value
    .group_segment_fixed_size: 0
    .kernarg_segment_align: 8
    .kernarg_segment_size: 32
    .language:       OpenCL C
    .language_version:
      - 2
      - 0
    .max_flat_workgroup_size: 256
    .name:           _ZN7rocprim17ROCPRIM_400000_NS6detail17trampoline_kernelINS0_14default_configENS1_20scan_config_selectorIsEEZZNS1_9scan_implILNS1_25lookback_scan_determinismE0ELb1ELb1ES3_N6thrust23THRUST_200600_302600_NS6detail15normal_iteratorINS9_10device_ptrIsEEEESE_sNS9_4plusIvEEsEEDaPvRmT3_T4_T5_mT6_P12ihipStream_tbENKUlT_T0_E_clISt17integral_constantIbLb1EESU_EEDaSP_SQ_EUlSP_E0_NS1_11comp_targetILNS1_3genE5ELNS1_11target_archE942ELNS1_3gpuE9ELNS1_3repE0EEENS1_30default_config_static_selectorELNS0_4arch9wavefront6targetE1EEEvT1_
    .private_segment_fixed_size: 0
    .sgpr_count:     4
    .sgpr_spill_count: 0
    .symbol:         _ZN7rocprim17ROCPRIM_400000_NS6detail17trampoline_kernelINS0_14default_configENS1_20scan_config_selectorIsEEZZNS1_9scan_implILNS1_25lookback_scan_determinismE0ELb1ELb1ES3_N6thrust23THRUST_200600_302600_NS6detail15normal_iteratorINS9_10device_ptrIsEEEESE_sNS9_4plusIvEEsEEDaPvRmT3_T4_T5_mT6_P12ihipStream_tbENKUlT_T0_E_clISt17integral_constantIbLb1EESU_EEDaSP_SQ_EUlSP_E0_NS1_11comp_targetILNS1_3genE5ELNS1_11target_archE942ELNS1_3gpuE9ELNS1_3repE0EEENS1_30default_config_static_selectorELNS0_4arch9wavefront6targetE1EEEvT1_.kd
    .uniform_work_group_size: 1
    .uses_dynamic_stack: false
    .vgpr_count:     0
    .vgpr_spill_count: 0
    .wavefront_size: 64
  - .agpr_count:     0
    .args:
      - .offset:         0
        .size:           32
        .value_kind:     by_value
    .group_segment_fixed_size: 3072
    .kernarg_segment_align: 8
    .kernarg_segment_size: 32
    .language:       OpenCL C
    .language_version:
      - 2
      - 0
    .max_flat_workgroup_size: 64
    .name:           _ZN7rocprim17ROCPRIM_400000_NS6detail17trampoline_kernelINS0_14default_configENS1_20scan_config_selectorIsEEZZNS1_9scan_implILNS1_25lookback_scan_determinismE0ELb1ELb1ES3_N6thrust23THRUST_200600_302600_NS6detail15normal_iteratorINS9_10device_ptrIsEEEESE_sNS9_4plusIvEEsEEDaPvRmT3_T4_T5_mT6_P12ihipStream_tbENKUlT_T0_E_clISt17integral_constantIbLb1EESU_EEDaSP_SQ_EUlSP_E0_NS1_11comp_targetILNS1_3genE4ELNS1_11target_archE910ELNS1_3gpuE8ELNS1_3repE0EEENS1_30default_config_static_selectorELNS0_4arch9wavefront6targetE1EEEvT1_
    .private_segment_fixed_size: 0
    .sgpr_count:     60
    .sgpr_spill_count: 0
    .symbol:         _ZN7rocprim17ROCPRIM_400000_NS6detail17trampoline_kernelINS0_14default_configENS1_20scan_config_selectorIsEEZZNS1_9scan_implILNS1_25lookback_scan_determinismE0ELb1ELb1ES3_N6thrust23THRUST_200600_302600_NS6detail15normal_iteratorINS9_10device_ptrIsEEEESE_sNS9_4plusIvEEsEEDaPvRmT3_T4_T5_mT6_P12ihipStream_tbENKUlT_T0_E_clISt17integral_constantIbLb1EESU_EEDaSP_SQ_EUlSP_E0_NS1_11comp_targetILNS1_3genE4ELNS1_11target_archE910ELNS1_3gpuE8ELNS1_3repE0EEENS1_30default_config_static_selectorELNS0_4arch9wavefront6targetE1EEEvT1_.kd
    .uniform_work_group_size: 1
    .uses_dynamic_stack: false
    .vgpr_count:     32
    .vgpr_spill_count: 0
    .wavefront_size: 64
  - .agpr_count:     0
    .args:
      - .offset:         0
        .size:           32
        .value_kind:     by_value
    .group_segment_fixed_size: 0
    .kernarg_segment_align: 8
    .kernarg_segment_size: 32
    .language:       OpenCL C
    .language_version:
      - 2
      - 0
    .max_flat_workgroup_size: 128
    .name:           _ZN7rocprim17ROCPRIM_400000_NS6detail17trampoline_kernelINS0_14default_configENS1_20scan_config_selectorIsEEZZNS1_9scan_implILNS1_25lookback_scan_determinismE0ELb1ELb1ES3_N6thrust23THRUST_200600_302600_NS6detail15normal_iteratorINS9_10device_ptrIsEEEESE_sNS9_4plusIvEEsEEDaPvRmT3_T4_T5_mT6_P12ihipStream_tbENKUlT_T0_E_clISt17integral_constantIbLb1EESU_EEDaSP_SQ_EUlSP_E0_NS1_11comp_targetILNS1_3genE3ELNS1_11target_archE908ELNS1_3gpuE7ELNS1_3repE0EEENS1_30default_config_static_selectorELNS0_4arch9wavefront6targetE1EEEvT1_
    .private_segment_fixed_size: 0
    .sgpr_count:     4
    .sgpr_spill_count: 0
    .symbol:         _ZN7rocprim17ROCPRIM_400000_NS6detail17trampoline_kernelINS0_14default_configENS1_20scan_config_selectorIsEEZZNS1_9scan_implILNS1_25lookback_scan_determinismE0ELb1ELb1ES3_N6thrust23THRUST_200600_302600_NS6detail15normal_iteratorINS9_10device_ptrIsEEEESE_sNS9_4plusIvEEsEEDaPvRmT3_T4_T5_mT6_P12ihipStream_tbENKUlT_T0_E_clISt17integral_constantIbLb1EESU_EEDaSP_SQ_EUlSP_E0_NS1_11comp_targetILNS1_3genE3ELNS1_11target_archE908ELNS1_3gpuE7ELNS1_3repE0EEENS1_30default_config_static_selectorELNS0_4arch9wavefront6targetE1EEEvT1_.kd
    .uniform_work_group_size: 1
    .uses_dynamic_stack: false
    .vgpr_count:     0
    .vgpr_spill_count: 0
    .wavefront_size: 64
  - .agpr_count:     0
    .args:
      - .offset:         0
        .size:           32
        .value_kind:     by_value
    .group_segment_fixed_size: 0
    .kernarg_segment_align: 8
    .kernarg_segment_size: 32
    .language:       OpenCL C
    .language_version:
      - 2
      - 0
    .max_flat_workgroup_size: 256
    .name:           _ZN7rocprim17ROCPRIM_400000_NS6detail17trampoline_kernelINS0_14default_configENS1_20scan_config_selectorIsEEZZNS1_9scan_implILNS1_25lookback_scan_determinismE0ELb1ELb1ES3_N6thrust23THRUST_200600_302600_NS6detail15normal_iteratorINS9_10device_ptrIsEEEESE_sNS9_4plusIvEEsEEDaPvRmT3_T4_T5_mT6_P12ihipStream_tbENKUlT_T0_E_clISt17integral_constantIbLb1EESU_EEDaSP_SQ_EUlSP_E0_NS1_11comp_targetILNS1_3genE2ELNS1_11target_archE906ELNS1_3gpuE6ELNS1_3repE0EEENS1_30default_config_static_selectorELNS0_4arch9wavefront6targetE1EEEvT1_
    .private_segment_fixed_size: 0
    .sgpr_count:     4
    .sgpr_spill_count: 0
    .symbol:         _ZN7rocprim17ROCPRIM_400000_NS6detail17trampoline_kernelINS0_14default_configENS1_20scan_config_selectorIsEEZZNS1_9scan_implILNS1_25lookback_scan_determinismE0ELb1ELb1ES3_N6thrust23THRUST_200600_302600_NS6detail15normal_iteratorINS9_10device_ptrIsEEEESE_sNS9_4plusIvEEsEEDaPvRmT3_T4_T5_mT6_P12ihipStream_tbENKUlT_T0_E_clISt17integral_constantIbLb1EESU_EEDaSP_SQ_EUlSP_E0_NS1_11comp_targetILNS1_3genE2ELNS1_11target_archE906ELNS1_3gpuE6ELNS1_3repE0EEENS1_30default_config_static_selectorELNS0_4arch9wavefront6targetE1EEEvT1_.kd
    .uniform_work_group_size: 1
    .uses_dynamic_stack: false
    .vgpr_count:     0
    .vgpr_spill_count: 0
    .wavefront_size: 64
  - .agpr_count:     0
    .args:
      - .offset:         0
        .size:           32
        .value_kind:     by_value
    .group_segment_fixed_size: 0
    .kernarg_segment_align: 8
    .kernarg_segment_size: 32
    .language:       OpenCL C
    .language_version:
      - 2
      - 0
    .max_flat_workgroup_size: 256
    .name:           _ZN7rocprim17ROCPRIM_400000_NS6detail17trampoline_kernelINS0_14default_configENS1_20scan_config_selectorIsEEZZNS1_9scan_implILNS1_25lookback_scan_determinismE0ELb1ELb1ES3_N6thrust23THRUST_200600_302600_NS6detail15normal_iteratorINS9_10device_ptrIsEEEESE_sNS9_4plusIvEEsEEDaPvRmT3_T4_T5_mT6_P12ihipStream_tbENKUlT_T0_E_clISt17integral_constantIbLb1EESU_EEDaSP_SQ_EUlSP_E0_NS1_11comp_targetILNS1_3genE10ELNS1_11target_archE1201ELNS1_3gpuE5ELNS1_3repE0EEENS1_30default_config_static_selectorELNS0_4arch9wavefront6targetE1EEEvT1_
    .private_segment_fixed_size: 0
    .sgpr_count:     4
    .sgpr_spill_count: 0
    .symbol:         _ZN7rocprim17ROCPRIM_400000_NS6detail17trampoline_kernelINS0_14default_configENS1_20scan_config_selectorIsEEZZNS1_9scan_implILNS1_25lookback_scan_determinismE0ELb1ELb1ES3_N6thrust23THRUST_200600_302600_NS6detail15normal_iteratorINS9_10device_ptrIsEEEESE_sNS9_4plusIvEEsEEDaPvRmT3_T4_T5_mT6_P12ihipStream_tbENKUlT_T0_E_clISt17integral_constantIbLb1EESU_EEDaSP_SQ_EUlSP_E0_NS1_11comp_targetILNS1_3genE10ELNS1_11target_archE1201ELNS1_3gpuE5ELNS1_3repE0EEENS1_30default_config_static_selectorELNS0_4arch9wavefront6targetE1EEEvT1_.kd
    .uniform_work_group_size: 1
    .uses_dynamic_stack: false
    .vgpr_count:     0
    .vgpr_spill_count: 0
    .wavefront_size: 64
  - .agpr_count:     0
    .args:
      - .offset:         0
        .size:           32
        .value_kind:     by_value
    .group_segment_fixed_size: 0
    .kernarg_segment_align: 8
    .kernarg_segment_size: 32
    .language:       OpenCL C
    .language_version:
      - 2
      - 0
    .max_flat_workgroup_size: 256
    .name:           _ZN7rocprim17ROCPRIM_400000_NS6detail17trampoline_kernelINS0_14default_configENS1_20scan_config_selectorIsEEZZNS1_9scan_implILNS1_25lookback_scan_determinismE0ELb1ELb1ES3_N6thrust23THRUST_200600_302600_NS6detail15normal_iteratorINS9_10device_ptrIsEEEESE_sNS9_4plusIvEEsEEDaPvRmT3_T4_T5_mT6_P12ihipStream_tbENKUlT_T0_E_clISt17integral_constantIbLb1EESU_EEDaSP_SQ_EUlSP_E0_NS1_11comp_targetILNS1_3genE10ELNS1_11target_archE1200ELNS1_3gpuE4ELNS1_3repE0EEENS1_30default_config_static_selectorELNS0_4arch9wavefront6targetE1EEEvT1_
    .private_segment_fixed_size: 0
    .sgpr_count:     4
    .sgpr_spill_count: 0
    .symbol:         _ZN7rocprim17ROCPRIM_400000_NS6detail17trampoline_kernelINS0_14default_configENS1_20scan_config_selectorIsEEZZNS1_9scan_implILNS1_25lookback_scan_determinismE0ELb1ELb1ES3_N6thrust23THRUST_200600_302600_NS6detail15normal_iteratorINS9_10device_ptrIsEEEESE_sNS9_4plusIvEEsEEDaPvRmT3_T4_T5_mT6_P12ihipStream_tbENKUlT_T0_E_clISt17integral_constantIbLb1EESU_EEDaSP_SQ_EUlSP_E0_NS1_11comp_targetILNS1_3genE10ELNS1_11target_archE1200ELNS1_3gpuE4ELNS1_3repE0EEENS1_30default_config_static_selectorELNS0_4arch9wavefront6targetE1EEEvT1_.kd
    .uniform_work_group_size: 1
    .uses_dynamic_stack: false
    .vgpr_count:     0
    .vgpr_spill_count: 0
    .wavefront_size: 64
  - .agpr_count:     0
    .args:
      - .offset:         0
        .size:           32
        .value_kind:     by_value
    .group_segment_fixed_size: 0
    .kernarg_segment_align: 8
    .kernarg_segment_size: 32
    .language:       OpenCL C
    .language_version:
      - 2
      - 0
    .max_flat_workgroup_size: 64
    .name:           _ZN7rocprim17ROCPRIM_400000_NS6detail17trampoline_kernelINS0_14default_configENS1_20scan_config_selectorIsEEZZNS1_9scan_implILNS1_25lookback_scan_determinismE0ELb1ELb1ES3_N6thrust23THRUST_200600_302600_NS6detail15normal_iteratorINS9_10device_ptrIsEEEESE_sNS9_4plusIvEEsEEDaPvRmT3_T4_T5_mT6_P12ihipStream_tbENKUlT_T0_E_clISt17integral_constantIbLb1EESU_EEDaSP_SQ_EUlSP_E0_NS1_11comp_targetILNS1_3genE9ELNS1_11target_archE1100ELNS1_3gpuE3ELNS1_3repE0EEENS1_30default_config_static_selectorELNS0_4arch9wavefront6targetE1EEEvT1_
    .private_segment_fixed_size: 0
    .sgpr_count:     4
    .sgpr_spill_count: 0
    .symbol:         _ZN7rocprim17ROCPRIM_400000_NS6detail17trampoline_kernelINS0_14default_configENS1_20scan_config_selectorIsEEZZNS1_9scan_implILNS1_25lookback_scan_determinismE0ELb1ELb1ES3_N6thrust23THRUST_200600_302600_NS6detail15normal_iteratorINS9_10device_ptrIsEEEESE_sNS9_4plusIvEEsEEDaPvRmT3_T4_T5_mT6_P12ihipStream_tbENKUlT_T0_E_clISt17integral_constantIbLb1EESU_EEDaSP_SQ_EUlSP_E0_NS1_11comp_targetILNS1_3genE9ELNS1_11target_archE1100ELNS1_3gpuE3ELNS1_3repE0EEENS1_30default_config_static_selectorELNS0_4arch9wavefront6targetE1EEEvT1_.kd
    .uniform_work_group_size: 1
    .uses_dynamic_stack: false
    .vgpr_count:     0
    .vgpr_spill_count: 0
    .wavefront_size: 64
  - .agpr_count:     0
    .args:
      - .offset:         0
        .size:           32
        .value_kind:     by_value
    .group_segment_fixed_size: 0
    .kernarg_segment_align: 8
    .kernarg_segment_size: 32
    .language:       OpenCL C
    .language_version:
      - 2
      - 0
    .max_flat_workgroup_size: 64
    .name:           _ZN7rocprim17ROCPRIM_400000_NS6detail17trampoline_kernelINS0_14default_configENS1_20scan_config_selectorIsEEZZNS1_9scan_implILNS1_25lookback_scan_determinismE0ELb1ELb1ES3_N6thrust23THRUST_200600_302600_NS6detail15normal_iteratorINS9_10device_ptrIsEEEESE_sNS9_4plusIvEEsEEDaPvRmT3_T4_T5_mT6_P12ihipStream_tbENKUlT_T0_E_clISt17integral_constantIbLb1EESU_EEDaSP_SQ_EUlSP_E0_NS1_11comp_targetILNS1_3genE8ELNS1_11target_archE1030ELNS1_3gpuE2ELNS1_3repE0EEENS1_30default_config_static_selectorELNS0_4arch9wavefront6targetE1EEEvT1_
    .private_segment_fixed_size: 0
    .sgpr_count:     4
    .sgpr_spill_count: 0
    .symbol:         _ZN7rocprim17ROCPRIM_400000_NS6detail17trampoline_kernelINS0_14default_configENS1_20scan_config_selectorIsEEZZNS1_9scan_implILNS1_25lookback_scan_determinismE0ELb1ELb1ES3_N6thrust23THRUST_200600_302600_NS6detail15normal_iteratorINS9_10device_ptrIsEEEESE_sNS9_4plusIvEEsEEDaPvRmT3_T4_T5_mT6_P12ihipStream_tbENKUlT_T0_E_clISt17integral_constantIbLb1EESU_EEDaSP_SQ_EUlSP_E0_NS1_11comp_targetILNS1_3genE8ELNS1_11target_archE1030ELNS1_3gpuE2ELNS1_3repE0EEENS1_30default_config_static_selectorELNS0_4arch9wavefront6targetE1EEEvT1_.kd
    .uniform_work_group_size: 1
    .uses_dynamic_stack: false
    .vgpr_count:     0
    .vgpr_spill_count: 0
    .wavefront_size: 64
  - .agpr_count:     0
    .args:
      - .offset:         0
        .size:           96
        .value_kind:     by_value
    .group_segment_fixed_size: 0
    .kernarg_segment_align: 8
    .kernarg_segment_size: 96
    .language:       OpenCL C
    .language_version:
      - 2
      - 0
    .max_flat_workgroup_size: 128
    .name:           _ZN7rocprim17ROCPRIM_400000_NS6detail17trampoline_kernelINS0_14default_configENS1_20scan_config_selectorIsEEZZNS1_9scan_implILNS1_25lookback_scan_determinismE0ELb1ELb1ES3_N6thrust23THRUST_200600_302600_NS6detail15normal_iteratorINS9_10device_ptrIsEEEESE_sNS9_4plusIvEEsEEDaPvRmT3_T4_T5_mT6_P12ihipStream_tbENKUlT_T0_E_clISt17integral_constantIbLb1EEST_IbLb0EEEEDaSP_SQ_EUlSP_E_NS1_11comp_targetILNS1_3genE0ELNS1_11target_archE4294967295ELNS1_3gpuE0ELNS1_3repE0EEENS1_30default_config_static_selectorELNS0_4arch9wavefront6targetE1EEEvT1_
    .private_segment_fixed_size: 0
    .sgpr_count:     4
    .sgpr_spill_count: 0
    .symbol:         _ZN7rocprim17ROCPRIM_400000_NS6detail17trampoline_kernelINS0_14default_configENS1_20scan_config_selectorIsEEZZNS1_9scan_implILNS1_25lookback_scan_determinismE0ELb1ELb1ES3_N6thrust23THRUST_200600_302600_NS6detail15normal_iteratorINS9_10device_ptrIsEEEESE_sNS9_4plusIvEEsEEDaPvRmT3_T4_T5_mT6_P12ihipStream_tbENKUlT_T0_E_clISt17integral_constantIbLb1EEST_IbLb0EEEEDaSP_SQ_EUlSP_E_NS1_11comp_targetILNS1_3genE0ELNS1_11target_archE4294967295ELNS1_3gpuE0ELNS1_3repE0EEENS1_30default_config_static_selectorELNS0_4arch9wavefront6targetE1EEEvT1_.kd
    .uniform_work_group_size: 1
    .uses_dynamic_stack: false
    .vgpr_count:     0
    .vgpr_spill_count: 0
    .wavefront_size: 64
  - .agpr_count:     0
    .args:
      - .offset:         0
        .size:           96
        .value_kind:     by_value
    .group_segment_fixed_size: 0
    .kernarg_segment_align: 8
    .kernarg_segment_size: 96
    .language:       OpenCL C
    .language_version:
      - 2
      - 0
    .max_flat_workgroup_size: 256
    .name:           _ZN7rocprim17ROCPRIM_400000_NS6detail17trampoline_kernelINS0_14default_configENS1_20scan_config_selectorIsEEZZNS1_9scan_implILNS1_25lookback_scan_determinismE0ELb1ELb1ES3_N6thrust23THRUST_200600_302600_NS6detail15normal_iteratorINS9_10device_ptrIsEEEESE_sNS9_4plusIvEEsEEDaPvRmT3_T4_T5_mT6_P12ihipStream_tbENKUlT_T0_E_clISt17integral_constantIbLb1EEST_IbLb0EEEEDaSP_SQ_EUlSP_E_NS1_11comp_targetILNS1_3genE5ELNS1_11target_archE942ELNS1_3gpuE9ELNS1_3repE0EEENS1_30default_config_static_selectorELNS0_4arch9wavefront6targetE1EEEvT1_
    .private_segment_fixed_size: 0
    .sgpr_count:     4
    .sgpr_spill_count: 0
    .symbol:         _ZN7rocprim17ROCPRIM_400000_NS6detail17trampoline_kernelINS0_14default_configENS1_20scan_config_selectorIsEEZZNS1_9scan_implILNS1_25lookback_scan_determinismE0ELb1ELb1ES3_N6thrust23THRUST_200600_302600_NS6detail15normal_iteratorINS9_10device_ptrIsEEEESE_sNS9_4plusIvEEsEEDaPvRmT3_T4_T5_mT6_P12ihipStream_tbENKUlT_T0_E_clISt17integral_constantIbLb1EEST_IbLb0EEEEDaSP_SQ_EUlSP_E_NS1_11comp_targetILNS1_3genE5ELNS1_11target_archE942ELNS1_3gpuE9ELNS1_3repE0EEENS1_30default_config_static_selectorELNS0_4arch9wavefront6targetE1EEEvT1_.kd
    .uniform_work_group_size: 1
    .uses_dynamic_stack: false
    .vgpr_count:     0
    .vgpr_spill_count: 0
    .wavefront_size: 64
  - .agpr_count:     0
    .args:
      - .offset:         0
        .size:           96
        .value_kind:     by_value
    .group_segment_fixed_size: 3072
    .kernarg_segment_align: 8
    .kernarg_segment_size: 96
    .language:       OpenCL C
    .language_version:
      - 2
      - 0
    .max_flat_workgroup_size: 64
    .name:           _ZN7rocprim17ROCPRIM_400000_NS6detail17trampoline_kernelINS0_14default_configENS1_20scan_config_selectorIsEEZZNS1_9scan_implILNS1_25lookback_scan_determinismE0ELb1ELb1ES3_N6thrust23THRUST_200600_302600_NS6detail15normal_iteratorINS9_10device_ptrIsEEEESE_sNS9_4plusIvEEsEEDaPvRmT3_T4_T5_mT6_P12ihipStream_tbENKUlT_T0_E_clISt17integral_constantIbLb1EEST_IbLb0EEEEDaSP_SQ_EUlSP_E_NS1_11comp_targetILNS1_3genE4ELNS1_11target_archE910ELNS1_3gpuE8ELNS1_3repE0EEENS1_30default_config_static_selectorELNS0_4arch9wavefront6targetE1EEEvT1_
    .private_segment_fixed_size: 0
    .sgpr_count:     33
    .sgpr_spill_count: 0
    .symbol:         _ZN7rocprim17ROCPRIM_400000_NS6detail17trampoline_kernelINS0_14default_configENS1_20scan_config_selectorIsEEZZNS1_9scan_implILNS1_25lookback_scan_determinismE0ELb1ELb1ES3_N6thrust23THRUST_200600_302600_NS6detail15normal_iteratorINS9_10device_ptrIsEEEESE_sNS9_4plusIvEEsEEDaPvRmT3_T4_T5_mT6_P12ihipStream_tbENKUlT_T0_E_clISt17integral_constantIbLb1EEST_IbLb0EEEEDaSP_SQ_EUlSP_E_NS1_11comp_targetILNS1_3genE4ELNS1_11target_archE910ELNS1_3gpuE8ELNS1_3repE0EEENS1_30default_config_static_selectorELNS0_4arch9wavefront6targetE1EEEvT1_.kd
    .uniform_work_group_size: 1
    .uses_dynamic_stack: false
    .vgpr_count:     54
    .vgpr_spill_count: 0
    .wavefront_size: 64
  - .agpr_count:     0
    .args:
      - .offset:         0
        .size:           96
        .value_kind:     by_value
    .group_segment_fixed_size: 0
    .kernarg_segment_align: 8
    .kernarg_segment_size: 96
    .language:       OpenCL C
    .language_version:
      - 2
      - 0
    .max_flat_workgroup_size: 128
    .name:           _ZN7rocprim17ROCPRIM_400000_NS6detail17trampoline_kernelINS0_14default_configENS1_20scan_config_selectorIsEEZZNS1_9scan_implILNS1_25lookback_scan_determinismE0ELb1ELb1ES3_N6thrust23THRUST_200600_302600_NS6detail15normal_iteratorINS9_10device_ptrIsEEEESE_sNS9_4plusIvEEsEEDaPvRmT3_T4_T5_mT6_P12ihipStream_tbENKUlT_T0_E_clISt17integral_constantIbLb1EEST_IbLb0EEEEDaSP_SQ_EUlSP_E_NS1_11comp_targetILNS1_3genE3ELNS1_11target_archE908ELNS1_3gpuE7ELNS1_3repE0EEENS1_30default_config_static_selectorELNS0_4arch9wavefront6targetE1EEEvT1_
    .private_segment_fixed_size: 0
    .sgpr_count:     4
    .sgpr_spill_count: 0
    .symbol:         _ZN7rocprim17ROCPRIM_400000_NS6detail17trampoline_kernelINS0_14default_configENS1_20scan_config_selectorIsEEZZNS1_9scan_implILNS1_25lookback_scan_determinismE0ELb1ELb1ES3_N6thrust23THRUST_200600_302600_NS6detail15normal_iteratorINS9_10device_ptrIsEEEESE_sNS9_4plusIvEEsEEDaPvRmT3_T4_T5_mT6_P12ihipStream_tbENKUlT_T0_E_clISt17integral_constantIbLb1EEST_IbLb0EEEEDaSP_SQ_EUlSP_E_NS1_11comp_targetILNS1_3genE3ELNS1_11target_archE908ELNS1_3gpuE7ELNS1_3repE0EEENS1_30default_config_static_selectorELNS0_4arch9wavefront6targetE1EEEvT1_.kd
    .uniform_work_group_size: 1
    .uses_dynamic_stack: false
    .vgpr_count:     0
    .vgpr_spill_count: 0
    .wavefront_size: 64
  - .agpr_count:     0
    .args:
      - .offset:         0
        .size:           96
        .value_kind:     by_value
    .group_segment_fixed_size: 0
    .kernarg_segment_align: 8
    .kernarg_segment_size: 96
    .language:       OpenCL C
    .language_version:
      - 2
      - 0
    .max_flat_workgroup_size: 256
    .name:           _ZN7rocprim17ROCPRIM_400000_NS6detail17trampoline_kernelINS0_14default_configENS1_20scan_config_selectorIsEEZZNS1_9scan_implILNS1_25lookback_scan_determinismE0ELb1ELb1ES3_N6thrust23THRUST_200600_302600_NS6detail15normal_iteratorINS9_10device_ptrIsEEEESE_sNS9_4plusIvEEsEEDaPvRmT3_T4_T5_mT6_P12ihipStream_tbENKUlT_T0_E_clISt17integral_constantIbLb1EEST_IbLb0EEEEDaSP_SQ_EUlSP_E_NS1_11comp_targetILNS1_3genE2ELNS1_11target_archE906ELNS1_3gpuE6ELNS1_3repE0EEENS1_30default_config_static_selectorELNS0_4arch9wavefront6targetE1EEEvT1_
    .private_segment_fixed_size: 0
    .sgpr_count:     4
    .sgpr_spill_count: 0
    .symbol:         _ZN7rocprim17ROCPRIM_400000_NS6detail17trampoline_kernelINS0_14default_configENS1_20scan_config_selectorIsEEZZNS1_9scan_implILNS1_25lookback_scan_determinismE0ELb1ELb1ES3_N6thrust23THRUST_200600_302600_NS6detail15normal_iteratorINS9_10device_ptrIsEEEESE_sNS9_4plusIvEEsEEDaPvRmT3_T4_T5_mT6_P12ihipStream_tbENKUlT_T0_E_clISt17integral_constantIbLb1EEST_IbLb0EEEEDaSP_SQ_EUlSP_E_NS1_11comp_targetILNS1_3genE2ELNS1_11target_archE906ELNS1_3gpuE6ELNS1_3repE0EEENS1_30default_config_static_selectorELNS0_4arch9wavefront6targetE1EEEvT1_.kd
    .uniform_work_group_size: 1
    .uses_dynamic_stack: false
    .vgpr_count:     0
    .vgpr_spill_count: 0
    .wavefront_size: 64
  - .agpr_count:     0
    .args:
      - .offset:         0
        .size:           96
        .value_kind:     by_value
    .group_segment_fixed_size: 0
    .kernarg_segment_align: 8
    .kernarg_segment_size: 96
    .language:       OpenCL C
    .language_version:
      - 2
      - 0
    .max_flat_workgroup_size: 256
    .name:           _ZN7rocprim17ROCPRIM_400000_NS6detail17trampoline_kernelINS0_14default_configENS1_20scan_config_selectorIsEEZZNS1_9scan_implILNS1_25lookback_scan_determinismE0ELb1ELb1ES3_N6thrust23THRUST_200600_302600_NS6detail15normal_iteratorINS9_10device_ptrIsEEEESE_sNS9_4plusIvEEsEEDaPvRmT3_T4_T5_mT6_P12ihipStream_tbENKUlT_T0_E_clISt17integral_constantIbLb1EEST_IbLb0EEEEDaSP_SQ_EUlSP_E_NS1_11comp_targetILNS1_3genE10ELNS1_11target_archE1201ELNS1_3gpuE5ELNS1_3repE0EEENS1_30default_config_static_selectorELNS0_4arch9wavefront6targetE1EEEvT1_
    .private_segment_fixed_size: 0
    .sgpr_count:     4
    .sgpr_spill_count: 0
    .symbol:         _ZN7rocprim17ROCPRIM_400000_NS6detail17trampoline_kernelINS0_14default_configENS1_20scan_config_selectorIsEEZZNS1_9scan_implILNS1_25lookback_scan_determinismE0ELb1ELb1ES3_N6thrust23THRUST_200600_302600_NS6detail15normal_iteratorINS9_10device_ptrIsEEEESE_sNS9_4plusIvEEsEEDaPvRmT3_T4_T5_mT6_P12ihipStream_tbENKUlT_T0_E_clISt17integral_constantIbLb1EEST_IbLb0EEEEDaSP_SQ_EUlSP_E_NS1_11comp_targetILNS1_3genE10ELNS1_11target_archE1201ELNS1_3gpuE5ELNS1_3repE0EEENS1_30default_config_static_selectorELNS0_4arch9wavefront6targetE1EEEvT1_.kd
    .uniform_work_group_size: 1
    .uses_dynamic_stack: false
    .vgpr_count:     0
    .vgpr_spill_count: 0
    .wavefront_size: 64
  - .agpr_count:     0
    .args:
      - .offset:         0
        .size:           96
        .value_kind:     by_value
    .group_segment_fixed_size: 0
    .kernarg_segment_align: 8
    .kernarg_segment_size: 96
    .language:       OpenCL C
    .language_version:
      - 2
      - 0
    .max_flat_workgroup_size: 256
    .name:           _ZN7rocprim17ROCPRIM_400000_NS6detail17trampoline_kernelINS0_14default_configENS1_20scan_config_selectorIsEEZZNS1_9scan_implILNS1_25lookback_scan_determinismE0ELb1ELb1ES3_N6thrust23THRUST_200600_302600_NS6detail15normal_iteratorINS9_10device_ptrIsEEEESE_sNS9_4plusIvEEsEEDaPvRmT3_T4_T5_mT6_P12ihipStream_tbENKUlT_T0_E_clISt17integral_constantIbLb1EEST_IbLb0EEEEDaSP_SQ_EUlSP_E_NS1_11comp_targetILNS1_3genE10ELNS1_11target_archE1200ELNS1_3gpuE4ELNS1_3repE0EEENS1_30default_config_static_selectorELNS0_4arch9wavefront6targetE1EEEvT1_
    .private_segment_fixed_size: 0
    .sgpr_count:     4
    .sgpr_spill_count: 0
    .symbol:         _ZN7rocprim17ROCPRIM_400000_NS6detail17trampoline_kernelINS0_14default_configENS1_20scan_config_selectorIsEEZZNS1_9scan_implILNS1_25lookback_scan_determinismE0ELb1ELb1ES3_N6thrust23THRUST_200600_302600_NS6detail15normal_iteratorINS9_10device_ptrIsEEEESE_sNS9_4plusIvEEsEEDaPvRmT3_T4_T5_mT6_P12ihipStream_tbENKUlT_T0_E_clISt17integral_constantIbLb1EEST_IbLb0EEEEDaSP_SQ_EUlSP_E_NS1_11comp_targetILNS1_3genE10ELNS1_11target_archE1200ELNS1_3gpuE4ELNS1_3repE0EEENS1_30default_config_static_selectorELNS0_4arch9wavefront6targetE1EEEvT1_.kd
    .uniform_work_group_size: 1
    .uses_dynamic_stack: false
    .vgpr_count:     0
    .vgpr_spill_count: 0
    .wavefront_size: 64
  - .agpr_count:     0
    .args:
      - .offset:         0
        .size:           96
        .value_kind:     by_value
    .group_segment_fixed_size: 0
    .kernarg_segment_align: 8
    .kernarg_segment_size: 96
    .language:       OpenCL C
    .language_version:
      - 2
      - 0
    .max_flat_workgroup_size: 64
    .name:           _ZN7rocprim17ROCPRIM_400000_NS6detail17trampoline_kernelINS0_14default_configENS1_20scan_config_selectorIsEEZZNS1_9scan_implILNS1_25lookback_scan_determinismE0ELb1ELb1ES3_N6thrust23THRUST_200600_302600_NS6detail15normal_iteratorINS9_10device_ptrIsEEEESE_sNS9_4plusIvEEsEEDaPvRmT3_T4_T5_mT6_P12ihipStream_tbENKUlT_T0_E_clISt17integral_constantIbLb1EEST_IbLb0EEEEDaSP_SQ_EUlSP_E_NS1_11comp_targetILNS1_3genE9ELNS1_11target_archE1100ELNS1_3gpuE3ELNS1_3repE0EEENS1_30default_config_static_selectorELNS0_4arch9wavefront6targetE1EEEvT1_
    .private_segment_fixed_size: 0
    .sgpr_count:     4
    .sgpr_spill_count: 0
    .symbol:         _ZN7rocprim17ROCPRIM_400000_NS6detail17trampoline_kernelINS0_14default_configENS1_20scan_config_selectorIsEEZZNS1_9scan_implILNS1_25lookback_scan_determinismE0ELb1ELb1ES3_N6thrust23THRUST_200600_302600_NS6detail15normal_iteratorINS9_10device_ptrIsEEEESE_sNS9_4plusIvEEsEEDaPvRmT3_T4_T5_mT6_P12ihipStream_tbENKUlT_T0_E_clISt17integral_constantIbLb1EEST_IbLb0EEEEDaSP_SQ_EUlSP_E_NS1_11comp_targetILNS1_3genE9ELNS1_11target_archE1100ELNS1_3gpuE3ELNS1_3repE0EEENS1_30default_config_static_selectorELNS0_4arch9wavefront6targetE1EEEvT1_.kd
    .uniform_work_group_size: 1
    .uses_dynamic_stack: false
    .vgpr_count:     0
    .vgpr_spill_count: 0
    .wavefront_size: 64
  - .agpr_count:     0
    .args:
      - .offset:         0
        .size:           96
        .value_kind:     by_value
    .group_segment_fixed_size: 0
    .kernarg_segment_align: 8
    .kernarg_segment_size: 96
    .language:       OpenCL C
    .language_version:
      - 2
      - 0
    .max_flat_workgroup_size: 64
    .name:           _ZN7rocprim17ROCPRIM_400000_NS6detail17trampoline_kernelINS0_14default_configENS1_20scan_config_selectorIsEEZZNS1_9scan_implILNS1_25lookback_scan_determinismE0ELb1ELb1ES3_N6thrust23THRUST_200600_302600_NS6detail15normal_iteratorINS9_10device_ptrIsEEEESE_sNS9_4plusIvEEsEEDaPvRmT3_T4_T5_mT6_P12ihipStream_tbENKUlT_T0_E_clISt17integral_constantIbLb1EEST_IbLb0EEEEDaSP_SQ_EUlSP_E_NS1_11comp_targetILNS1_3genE8ELNS1_11target_archE1030ELNS1_3gpuE2ELNS1_3repE0EEENS1_30default_config_static_selectorELNS0_4arch9wavefront6targetE1EEEvT1_
    .private_segment_fixed_size: 0
    .sgpr_count:     4
    .sgpr_spill_count: 0
    .symbol:         _ZN7rocprim17ROCPRIM_400000_NS6detail17trampoline_kernelINS0_14default_configENS1_20scan_config_selectorIsEEZZNS1_9scan_implILNS1_25lookback_scan_determinismE0ELb1ELb1ES3_N6thrust23THRUST_200600_302600_NS6detail15normal_iteratorINS9_10device_ptrIsEEEESE_sNS9_4plusIvEEsEEDaPvRmT3_T4_T5_mT6_P12ihipStream_tbENKUlT_T0_E_clISt17integral_constantIbLb1EEST_IbLb0EEEEDaSP_SQ_EUlSP_E_NS1_11comp_targetILNS1_3genE8ELNS1_11target_archE1030ELNS1_3gpuE2ELNS1_3repE0EEENS1_30default_config_static_selectorELNS0_4arch9wavefront6targetE1EEEvT1_.kd
    .uniform_work_group_size: 1
    .uses_dynamic_stack: false
    .vgpr_count:     0
    .vgpr_spill_count: 0
    .wavefront_size: 64
  - .agpr_count:     0
    .args:
      - .offset:         0
        .size:           32
        .value_kind:     by_value
    .group_segment_fixed_size: 0
    .kernarg_segment_align: 8
    .kernarg_segment_size: 32
    .language:       OpenCL C
    .language_version:
      - 2
      - 0
    .max_flat_workgroup_size: 128
    .name:           _ZN7rocprim17ROCPRIM_400000_NS6detail17trampoline_kernelINS0_14default_configENS1_20scan_config_selectorIsEEZZNS1_9scan_implILNS1_25lookback_scan_determinismE0ELb1ELb1ES3_N6thrust23THRUST_200600_302600_NS6detail15normal_iteratorINS9_10device_ptrIsEEEESE_sNS9_4plusIvEEsEEDaPvRmT3_T4_T5_mT6_P12ihipStream_tbENKUlT_T0_E_clISt17integral_constantIbLb1EEST_IbLb0EEEEDaSP_SQ_EUlSP_E0_NS1_11comp_targetILNS1_3genE0ELNS1_11target_archE4294967295ELNS1_3gpuE0ELNS1_3repE0EEENS1_30default_config_static_selectorELNS0_4arch9wavefront6targetE1EEEvT1_
    .private_segment_fixed_size: 0
    .sgpr_count:     4
    .sgpr_spill_count: 0
    .symbol:         _ZN7rocprim17ROCPRIM_400000_NS6detail17trampoline_kernelINS0_14default_configENS1_20scan_config_selectorIsEEZZNS1_9scan_implILNS1_25lookback_scan_determinismE0ELb1ELb1ES3_N6thrust23THRUST_200600_302600_NS6detail15normal_iteratorINS9_10device_ptrIsEEEESE_sNS9_4plusIvEEsEEDaPvRmT3_T4_T5_mT6_P12ihipStream_tbENKUlT_T0_E_clISt17integral_constantIbLb1EEST_IbLb0EEEEDaSP_SQ_EUlSP_E0_NS1_11comp_targetILNS1_3genE0ELNS1_11target_archE4294967295ELNS1_3gpuE0ELNS1_3repE0EEENS1_30default_config_static_selectorELNS0_4arch9wavefront6targetE1EEEvT1_.kd
    .uniform_work_group_size: 1
    .uses_dynamic_stack: false
    .vgpr_count:     0
    .vgpr_spill_count: 0
    .wavefront_size: 64
  - .agpr_count:     0
    .args:
      - .offset:         0
        .size:           32
        .value_kind:     by_value
    .group_segment_fixed_size: 0
    .kernarg_segment_align: 8
    .kernarg_segment_size: 32
    .language:       OpenCL C
    .language_version:
      - 2
      - 0
    .max_flat_workgroup_size: 256
    .name:           _ZN7rocprim17ROCPRIM_400000_NS6detail17trampoline_kernelINS0_14default_configENS1_20scan_config_selectorIsEEZZNS1_9scan_implILNS1_25lookback_scan_determinismE0ELb1ELb1ES3_N6thrust23THRUST_200600_302600_NS6detail15normal_iteratorINS9_10device_ptrIsEEEESE_sNS9_4plusIvEEsEEDaPvRmT3_T4_T5_mT6_P12ihipStream_tbENKUlT_T0_E_clISt17integral_constantIbLb1EEST_IbLb0EEEEDaSP_SQ_EUlSP_E0_NS1_11comp_targetILNS1_3genE5ELNS1_11target_archE942ELNS1_3gpuE9ELNS1_3repE0EEENS1_30default_config_static_selectorELNS0_4arch9wavefront6targetE1EEEvT1_
    .private_segment_fixed_size: 0
    .sgpr_count:     4
    .sgpr_spill_count: 0
    .symbol:         _ZN7rocprim17ROCPRIM_400000_NS6detail17trampoline_kernelINS0_14default_configENS1_20scan_config_selectorIsEEZZNS1_9scan_implILNS1_25lookback_scan_determinismE0ELb1ELb1ES3_N6thrust23THRUST_200600_302600_NS6detail15normal_iteratorINS9_10device_ptrIsEEEESE_sNS9_4plusIvEEsEEDaPvRmT3_T4_T5_mT6_P12ihipStream_tbENKUlT_T0_E_clISt17integral_constantIbLb1EEST_IbLb0EEEEDaSP_SQ_EUlSP_E0_NS1_11comp_targetILNS1_3genE5ELNS1_11target_archE942ELNS1_3gpuE9ELNS1_3repE0EEENS1_30default_config_static_selectorELNS0_4arch9wavefront6targetE1EEEvT1_.kd
    .uniform_work_group_size: 1
    .uses_dynamic_stack: false
    .vgpr_count:     0
    .vgpr_spill_count: 0
    .wavefront_size: 64
  - .agpr_count:     0
    .args:
      - .offset:         0
        .size:           32
        .value_kind:     by_value
    .group_segment_fixed_size: 3072
    .kernarg_segment_align: 8
    .kernarg_segment_size: 32
    .language:       OpenCL C
    .language_version:
      - 2
      - 0
    .max_flat_workgroup_size: 64
    .name:           _ZN7rocprim17ROCPRIM_400000_NS6detail17trampoline_kernelINS0_14default_configENS1_20scan_config_selectorIsEEZZNS1_9scan_implILNS1_25lookback_scan_determinismE0ELb1ELb1ES3_N6thrust23THRUST_200600_302600_NS6detail15normal_iteratorINS9_10device_ptrIsEEEESE_sNS9_4plusIvEEsEEDaPvRmT3_T4_T5_mT6_P12ihipStream_tbENKUlT_T0_E_clISt17integral_constantIbLb1EEST_IbLb0EEEEDaSP_SQ_EUlSP_E0_NS1_11comp_targetILNS1_3genE4ELNS1_11target_archE910ELNS1_3gpuE8ELNS1_3repE0EEENS1_30default_config_static_selectorELNS0_4arch9wavefront6targetE1EEEvT1_
    .private_segment_fixed_size: 0
    .sgpr_count:     60
    .sgpr_spill_count: 0
    .symbol:         _ZN7rocprim17ROCPRIM_400000_NS6detail17trampoline_kernelINS0_14default_configENS1_20scan_config_selectorIsEEZZNS1_9scan_implILNS1_25lookback_scan_determinismE0ELb1ELb1ES3_N6thrust23THRUST_200600_302600_NS6detail15normal_iteratorINS9_10device_ptrIsEEEESE_sNS9_4plusIvEEsEEDaPvRmT3_T4_T5_mT6_P12ihipStream_tbENKUlT_T0_E_clISt17integral_constantIbLb1EEST_IbLb0EEEEDaSP_SQ_EUlSP_E0_NS1_11comp_targetILNS1_3genE4ELNS1_11target_archE910ELNS1_3gpuE8ELNS1_3repE0EEENS1_30default_config_static_selectorELNS0_4arch9wavefront6targetE1EEEvT1_.kd
    .uniform_work_group_size: 1
    .uses_dynamic_stack: false
    .vgpr_count:     32
    .vgpr_spill_count: 0
    .wavefront_size: 64
  - .agpr_count:     0
    .args:
      - .offset:         0
        .size:           32
        .value_kind:     by_value
    .group_segment_fixed_size: 0
    .kernarg_segment_align: 8
    .kernarg_segment_size: 32
    .language:       OpenCL C
    .language_version:
      - 2
      - 0
    .max_flat_workgroup_size: 128
    .name:           _ZN7rocprim17ROCPRIM_400000_NS6detail17trampoline_kernelINS0_14default_configENS1_20scan_config_selectorIsEEZZNS1_9scan_implILNS1_25lookback_scan_determinismE0ELb1ELb1ES3_N6thrust23THRUST_200600_302600_NS6detail15normal_iteratorINS9_10device_ptrIsEEEESE_sNS9_4plusIvEEsEEDaPvRmT3_T4_T5_mT6_P12ihipStream_tbENKUlT_T0_E_clISt17integral_constantIbLb1EEST_IbLb0EEEEDaSP_SQ_EUlSP_E0_NS1_11comp_targetILNS1_3genE3ELNS1_11target_archE908ELNS1_3gpuE7ELNS1_3repE0EEENS1_30default_config_static_selectorELNS0_4arch9wavefront6targetE1EEEvT1_
    .private_segment_fixed_size: 0
    .sgpr_count:     4
    .sgpr_spill_count: 0
    .symbol:         _ZN7rocprim17ROCPRIM_400000_NS6detail17trampoline_kernelINS0_14default_configENS1_20scan_config_selectorIsEEZZNS1_9scan_implILNS1_25lookback_scan_determinismE0ELb1ELb1ES3_N6thrust23THRUST_200600_302600_NS6detail15normal_iteratorINS9_10device_ptrIsEEEESE_sNS9_4plusIvEEsEEDaPvRmT3_T4_T5_mT6_P12ihipStream_tbENKUlT_T0_E_clISt17integral_constantIbLb1EEST_IbLb0EEEEDaSP_SQ_EUlSP_E0_NS1_11comp_targetILNS1_3genE3ELNS1_11target_archE908ELNS1_3gpuE7ELNS1_3repE0EEENS1_30default_config_static_selectorELNS0_4arch9wavefront6targetE1EEEvT1_.kd
    .uniform_work_group_size: 1
    .uses_dynamic_stack: false
    .vgpr_count:     0
    .vgpr_spill_count: 0
    .wavefront_size: 64
  - .agpr_count:     0
    .args:
      - .offset:         0
        .size:           32
        .value_kind:     by_value
    .group_segment_fixed_size: 0
    .kernarg_segment_align: 8
    .kernarg_segment_size: 32
    .language:       OpenCL C
    .language_version:
      - 2
      - 0
    .max_flat_workgroup_size: 256
    .name:           _ZN7rocprim17ROCPRIM_400000_NS6detail17trampoline_kernelINS0_14default_configENS1_20scan_config_selectorIsEEZZNS1_9scan_implILNS1_25lookback_scan_determinismE0ELb1ELb1ES3_N6thrust23THRUST_200600_302600_NS6detail15normal_iteratorINS9_10device_ptrIsEEEESE_sNS9_4plusIvEEsEEDaPvRmT3_T4_T5_mT6_P12ihipStream_tbENKUlT_T0_E_clISt17integral_constantIbLb1EEST_IbLb0EEEEDaSP_SQ_EUlSP_E0_NS1_11comp_targetILNS1_3genE2ELNS1_11target_archE906ELNS1_3gpuE6ELNS1_3repE0EEENS1_30default_config_static_selectorELNS0_4arch9wavefront6targetE1EEEvT1_
    .private_segment_fixed_size: 0
    .sgpr_count:     4
    .sgpr_spill_count: 0
    .symbol:         _ZN7rocprim17ROCPRIM_400000_NS6detail17trampoline_kernelINS0_14default_configENS1_20scan_config_selectorIsEEZZNS1_9scan_implILNS1_25lookback_scan_determinismE0ELb1ELb1ES3_N6thrust23THRUST_200600_302600_NS6detail15normal_iteratorINS9_10device_ptrIsEEEESE_sNS9_4plusIvEEsEEDaPvRmT3_T4_T5_mT6_P12ihipStream_tbENKUlT_T0_E_clISt17integral_constantIbLb1EEST_IbLb0EEEEDaSP_SQ_EUlSP_E0_NS1_11comp_targetILNS1_3genE2ELNS1_11target_archE906ELNS1_3gpuE6ELNS1_3repE0EEENS1_30default_config_static_selectorELNS0_4arch9wavefront6targetE1EEEvT1_.kd
    .uniform_work_group_size: 1
    .uses_dynamic_stack: false
    .vgpr_count:     0
    .vgpr_spill_count: 0
    .wavefront_size: 64
  - .agpr_count:     0
    .args:
      - .offset:         0
        .size:           32
        .value_kind:     by_value
    .group_segment_fixed_size: 0
    .kernarg_segment_align: 8
    .kernarg_segment_size: 32
    .language:       OpenCL C
    .language_version:
      - 2
      - 0
    .max_flat_workgroup_size: 256
    .name:           _ZN7rocprim17ROCPRIM_400000_NS6detail17trampoline_kernelINS0_14default_configENS1_20scan_config_selectorIsEEZZNS1_9scan_implILNS1_25lookback_scan_determinismE0ELb1ELb1ES3_N6thrust23THRUST_200600_302600_NS6detail15normal_iteratorINS9_10device_ptrIsEEEESE_sNS9_4plusIvEEsEEDaPvRmT3_T4_T5_mT6_P12ihipStream_tbENKUlT_T0_E_clISt17integral_constantIbLb1EEST_IbLb0EEEEDaSP_SQ_EUlSP_E0_NS1_11comp_targetILNS1_3genE10ELNS1_11target_archE1201ELNS1_3gpuE5ELNS1_3repE0EEENS1_30default_config_static_selectorELNS0_4arch9wavefront6targetE1EEEvT1_
    .private_segment_fixed_size: 0
    .sgpr_count:     4
    .sgpr_spill_count: 0
    .symbol:         _ZN7rocprim17ROCPRIM_400000_NS6detail17trampoline_kernelINS0_14default_configENS1_20scan_config_selectorIsEEZZNS1_9scan_implILNS1_25lookback_scan_determinismE0ELb1ELb1ES3_N6thrust23THRUST_200600_302600_NS6detail15normal_iteratorINS9_10device_ptrIsEEEESE_sNS9_4plusIvEEsEEDaPvRmT3_T4_T5_mT6_P12ihipStream_tbENKUlT_T0_E_clISt17integral_constantIbLb1EEST_IbLb0EEEEDaSP_SQ_EUlSP_E0_NS1_11comp_targetILNS1_3genE10ELNS1_11target_archE1201ELNS1_3gpuE5ELNS1_3repE0EEENS1_30default_config_static_selectorELNS0_4arch9wavefront6targetE1EEEvT1_.kd
    .uniform_work_group_size: 1
    .uses_dynamic_stack: false
    .vgpr_count:     0
    .vgpr_spill_count: 0
    .wavefront_size: 64
  - .agpr_count:     0
    .args:
      - .offset:         0
        .size:           32
        .value_kind:     by_value
    .group_segment_fixed_size: 0
    .kernarg_segment_align: 8
    .kernarg_segment_size: 32
    .language:       OpenCL C
    .language_version:
      - 2
      - 0
    .max_flat_workgroup_size: 256
    .name:           _ZN7rocprim17ROCPRIM_400000_NS6detail17trampoline_kernelINS0_14default_configENS1_20scan_config_selectorIsEEZZNS1_9scan_implILNS1_25lookback_scan_determinismE0ELb1ELb1ES3_N6thrust23THRUST_200600_302600_NS6detail15normal_iteratorINS9_10device_ptrIsEEEESE_sNS9_4plusIvEEsEEDaPvRmT3_T4_T5_mT6_P12ihipStream_tbENKUlT_T0_E_clISt17integral_constantIbLb1EEST_IbLb0EEEEDaSP_SQ_EUlSP_E0_NS1_11comp_targetILNS1_3genE10ELNS1_11target_archE1200ELNS1_3gpuE4ELNS1_3repE0EEENS1_30default_config_static_selectorELNS0_4arch9wavefront6targetE1EEEvT1_
    .private_segment_fixed_size: 0
    .sgpr_count:     4
    .sgpr_spill_count: 0
    .symbol:         _ZN7rocprim17ROCPRIM_400000_NS6detail17trampoline_kernelINS0_14default_configENS1_20scan_config_selectorIsEEZZNS1_9scan_implILNS1_25lookback_scan_determinismE0ELb1ELb1ES3_N6thrust23THRUST_200600_302600_NS6detail15normal_iteratorINS9_10device_ptrIsEEEESE_sNS9_4plusIvEEsEEDaPvRmT3_T4_T5_mT6_P12ihipStream_tbENKUlT_T0_E_clISt17integral_constantIbLb1EEST_IbLb0EEEEDaSP_SQ_EUlSP_E0_NS1_11comp_targetILNS1_3genE10ELNS1_11target_archE1200ELNS1_3gpuE4ELNS1_3repE0EEENS1_30default_config_static_selectorELNS0_4arch9wavefront6targetE1EEEvT1_.kd
    .uniform_work_group_size: 1
    .uses_dynamic_stack: false
    .vgpr_count:     0
    .vgpr_spill_count: 0
    .wavefront_size: 64
  - .agpr_count:     0
    .args:
      - .offset:         0
        .size:           32
        .value_kind:     by_value
    .group_segment_fixed_size: 0
    .kernarg_segment_align: 8
    .kernarg_segment_size: 32
    .language:       OpenCL C
    .language_version:
      - 2
      - 0
    .max_flat_workgroup_size: 64
    .name:           _ZN7rocprim17ROCPRIM_400000_NS6detail17trampoline_kernelINS0_14default_configENS1_20scan_config_selectorIsEEZZNS1_9scan_implILNS1_25lookback_scan_determinismE0ELb1ELb1ES3_N6thrust23THRUST_200600_302600_NS6detail15normal_iteratorINS9_10device_ptrIsEEEESE_sNS9_4plusIvEEsEEDaPvRmT3_T4_T5_mT6_P12ihipStream_tbENKUlT_T0_E_clISt17integral_constantIbLb1EEST_IbLb0EEEEDaSP_SQ_EUlSP_E0_NS1_11comp_targetILNS1_3genE9ELNS1_11target_archE1100ELNS1_3gpuE3ELNS1_3repE0EEENS1_30default_config_static_selectorELNS0_4arch9wavefront6targetE1EEEvT1_
    .private_segment_fixed_size: 0
    .sgpr_count:     4
    .sgpr_spill_count: 0
    .symbol:         _ZN7rocprim17ROCPRIM_400000_NS6detail17trampoline_kernelINS0_14default_configENS1_20scan_config_selectorIsEEZZNS1_9scan_implILNS1_25lookback_scan_determinismE0ELb1ELb1ES3_N6thrust23THRUST_200600_302600_NS6detail15normal_iteratorINS9_10device_ptrIsEEEESE_sNS9_4plusIvEEsEEDaPvRmT3_T4_T5_mT6_P12ihipStream_tbENKUlT_T0_E_clISt17integral_constantIbLb1EEST_IbLb0EEEEDaSP_SQ_EUlSP_E0_NS1_11comp_targetILNS1_3genE9ELNS1_11target_archE1100ELNS1_3gpuE3ELNS1_3repE0EEENS1_30default_config_static_selectorELNS0_4arch9wavefront6targetE1EEEvT1_.kd
    .uniform_work_group_size: 1
    .uses_dynamic_stack: false
    .vgpr_count:     0
    .vgpr_spill_count: 0
    .wavefront_size: 64
  - .agpr_count:     0
    .args:
      - .offset:         0
        .size:           32
        .value_kind:     by_value
    .group_segment_fixed_size: 0
    .kernarg_segment_align: 8
    .kernarg_segment_size: 32
    .language:       OpenCL C
    .language_version:
      - 2
      - 0
    .max_flat_workgroup_size: 64
    .name:           _ZN7rocprim17ROCPRIM_400000_NS6detail17trampoline_kernelINS0_14default_configENS1_20scan_config_selectorIsEEZZNS1_9scan_implILNS1_25lookback_scan_determinismE0ELb1ELb1ES3_N6thrust23THRUST_200600_302600_NS6detail15normal_iteratorINS9_10device_ptrIsEEEESE_sNS9_4plusIvEEsEEDaPvRmT3_T4_T5_mT6_P12ihipStream_tbENKUlT_T0_E_clISt17integral_constantIbLb1EEST_IbLb0EEEEDaSP_SQ_EUlSP_E0_NS1_11comp_targetILNS1_3genE8ELNS1_11target_archE1030ELNS1_3gpuE2ELNS1_3repE0EEENS1_30default_config_static_selectorELNS0_4arch9wavefront6targetE1EEEvT1_
    .private_segment_fixed_size: 0
    .sgpr_count:     4
    .sgpr_spill_count: 0
    .symbol:         _ZN7rocprim17ROCPRIM_400000_NS6detail17trampoline_kernelINS0_14default_configENS1_20scan_config_selectorIsEEZZNS1_9scan_implILNS1_25lookback_scan_determinismE0ELb1ELb1ES3_N6thrust23THRUST_200600_302600_NS6detail15normal_iteratorINS9_10device_ptrIsEEEESE_sNS9_4plusIvEEsEEDaPvRmT3_T4_T5_mT6_P12ihipStream_tbENKUlT_T0_E_clISt17integral_constantIbLb1EEST_IbLb0EEEEDaSP_SQ_EUlSP_E0_NS1_11comp_targetILNS1_3genE8ELNS1_11target_archE1030ELNS1_3gpuE2ELNS1_3repE0EEENS1_30default_config_static_selectorELNS0_4arch9wavefront6targetE1EEEvT1_.kd
    .uniform_work_group_size: 1
    .uses_dynamic_stack: false
    .vgpr_count:     0
    .vgpr_spill_count: 0
    .wavefront_size: 64
  - .agpr_count:     0
    .args:
      - .offset:         0
        .size:           96
        .value_kind:     by_value
    .group_segment_fixed_size: 0
    .kernarg_segment_align: 8
    .kernarg_segment_size: 96
    .language:       OpenCL C
    .language_version:
      - 2
      - 0
    .max_flat_workgroup_size: 128
    .name:           _ZN7rocprim17ROCPRIM_400000_NS6detail17trampoline_kernelINS0_14default_configENS1_20scan_config_selectorIsEEZZNS1_9scan_implILNS1_25lookback_scan_determinismE0ELb1ELb1ES3_N6thrust23THRUST_200600_302600_NS6detail15normal_iteratorINS9_10device_ptrIsEEEESE_sNS9_4plusIvEEsEEDaPvRmT3_T4_T5_mT6_P12ihipStream_tbENKUlT_T0_E_clISt17integral_constantIbLb0EEST_IbLb1EEEEDaSP_SQ_EUlSP_E_NS1_11comp_targetILNS1_3genE0ELNS1_11target_archE4294967295ELNS1_3gpuE0ELNS1_3repE0EEENS1_30default_config_static_selectorELNS0_4arch9wavefront6targetE1EEEvT1_
    .private_segment_fixed_size: 0
    .sgpr_count:     4
    .sgpr_spill_count: 0
    .symbol:         _ZN7rocprim17ROCPRIM_400000_NS6detail17trampoline_kernelINS0_14default_configENS1_20scan_config_selectorIsEEZZNS1_9scan_implILNS1_25lookback_scan_determinismE0ELb1ELb1ES3_N6thrust23THRUST_200600_302600_NS6detail15normal_iteratorINS9_10device_ptrIsEEEESE_sNS9_4plusIvEEsEEDaPvRmT3_T4_T5_mT6_P12ihipStream_tbENKUlT_T0_E_clISt17integral_constantIbLb0EEST_IbLb1EEEEDaSP_SQ_EUlSP_E_NS1_11comp_targetILNS1_3genE0ELNS1_11target_archE4294967295ELNS1_3gpuE0ELNS1_3repE0EEENS1_30default_config_static_selectorELNS0_4arch9wavefront6targetE1EEEvT1_.kd
    .uniform_work_group_size: 1
    .uses_dynamic_stack: false
    .vgpr_count:     0
    .vgpr_spill_count: 0
    .wavefront_size: 64
  - .agpr_count:     0
    .args:
      - .offset:         0
        .size:           96
        .value_kind:     by_value
    .group_segment_fixed_size: 0
    .kernarg_segment_align: 8
    .kernarg_segment_size: 96
    .language:       OpenCL C
    .language_version:
      - 2
      - 0
    .max_flat_workgroup_size: 256
    .name:           _ZN7rocprim17ROCPRIM_400000_NS6detail17trampoline_kernelINS0_14default_configENS1_20scan_config_selectorIsEEZZNS1_9scan_implILNS1_25lookback_scan_determinismE0ELb1ELb1ES3_N6thrust23THRUST_200600_302600_NS6detail15normal_iteratorINS9_10device_ptrIsEEEESE_sNS9_4plusIvEEsEEDaPvRmT3_T4_T5_mT6_P12ihipStream_tbENKUlT_T0_E_clISt17integral_constantIbLb0EEST_IbLb1EEEEDaSP_SQ_EUlSP_E_NS1_11comp_targetILNS1_3genE5ELNS1_11target_archE942ELNS1_3gpuE9ELNS1_3repE0EEENS1_30default_config_static_selectorELNS0_4arch9wavefront6targetE1EEEvT1_
    .private_segment_fixed_size: 0
    .sgpr_count:     4
    .sgpr_spill_count: 0
    .symbol:         _ZN7rocprim17ROCPRIM_400000_NS6detail17trampoline_kernelINS0_14default_configENS1_20scan_config_selectorIsEEZZNS1_9scan_implILNS1_25lookback_scan_determinismE0ELb1ELb1ES3_N6thrust23THRUST_200600_302600_NS6detail15normal_iteratorINS9_10device_ptrIsEEEESE_sNS9_4plusIvEEsEEDaPvRmT3_T4_T5_mT6_P12ihipStream_tbENKUlT_T0_E_clISt17integral_constantIbLb0EEST_IbLb1EEEEDaSP_SQ_EUlSP_E_NS1_11comp_targetILNS1_3genE5ELNS1_11target_archE942ELNS1_3gpuE9ELNS1_3repE0EEENS1_30default_config_static_selectorELNS0_4arch9wavefront6targetE1EEEvT1_.kd
    .uniform_work_group_size: 1
    .uses_dynamic_stack: false
    .vgpr_count:     0
    .vgpr_spill_count: 0
    .wavefront_size: 64
  - .agpr_count:     0
    .args:
      - .offset:         0
        .size:           96
        .value_kind:     by_value
    .group_segment_fixed_size: 3072
    .kernarg_segment_align: 8
    .kernarg_segment_size: 96
    .language:       OpenCL C
    .language_version:
      - 2
      - 0
    .max_flat_workgroup_size: 64
    .name:           _ZN7rocprim17ROCPRIM_400000_NS6detail17trampoline_kernelINS0_14default_configENS1_20scan_config_selectorIsEEZZNS1_9scan_implILNS1_25lookback_scan_determinismE0ELb1ELb1ES3_N6thrust23THRUST_200600_302600_NS6detail15normal_iteratorINS9_10device_ptrIsEEEESE_sNS9_4plusIvEEsEEDaPvRmT3_T4_T5_mT6_P12ihipStream_tbENKUlT_T0_E_clISt17integral_constantIbLb0EEST_IbLb1EEEEDaSP_SQ_EUlSP_E_NS1_11comp_targetILNS1_3genE4ELNS1_11target_archE910ELNS1_3gpuE8ELNS1_3repE0EEENS1_30default_config_static_selectorELNS0_4arch9wavefront6targetE1EEEvT1_
    .private_segment_fixed_size: 0
    .sgpr_count:     42
    .sgpr_spill_count: 0
    .symbol:         _ZN7rocprim17ROCPRIM_400000_NS6detail17trampoline_kernelINS0_14default_configENS1_20scan_config_selectorIsEEZZNS1_9scan_implILNS1_25lookback_scan_determinismE0ELb1ELb1ES3_N6thrust23THRUST_200600_302600_NS6detail15normal_iteratorINS9_10device_ptrIsEEEESE_sNS9_4plusIvEEsEEDaPvRmT3_T4_T5_mT6_P12ihipStream_tbENKUlT_T0_E_clISt17integral_constantIbLb0EEST_IbLb1EEEEDaSP_SQ_EUlSP_E_NS1_11comp_targetILNS1_3genE4ELNS1_11target_archE910ELNS1_3gpuE8ELNS1_3repE0EEENS1_30default_config_static_selectorELNS0_4arch9wavefront6targetE1EEEvT1_.kd
    .uniform_work_group_size: 1
    .uses_dynamic_stack: false
    .vgpr_count:     54
    .vgpr_spill_count: 0
    .wavefront_size: 64
  - .agpr_count:     0
    .args:
      - .offset:         0
        .size:           96
        .value_kind:     by_value
    .group_segment_fixed_size: 0
    .kernarg_segment_align: 8
    .kernarg_segment_size: 96
    .language:       OpenCL C
    .language_version:
      - 2
      - 0
    .max_flat_workgroup_size: 128
    .name:           _ZN7rocprim17ROCPRIM_400000_NS6detail17trampoline_kernelINS0_14default_configENS1_20scan_config_selectorIsEEZZNS1_9scan_implILNS1_25lookback_scan_determinismE0ELb1ELb1ES3_N6thrust23THRUST_200600_302600_NS6detail15normal_iteratorINS9_10device_ptrIsEEEESE_sNS9_4plusIvEEsEEDaPvRmT3_T4_T5_mT6_P12ihipStream_tbENKUlT_T0_E_clISt17integral_constantIbLb0EEST_IbLb1EEEEDaSP_SQ_EUlSP_E_NS1_11comp_targetILNS1_3genE3ELNS1_11target_archE908ELNS1_3gpuE7ELNS1_3repE0EEENS1_30default_config_static_selectorELNS0_4arch9wavefront6targetE1EEEvT1_
    .private_segment_fixed_size: 0
    .sgpr_count:     4
    .sgpr_spill_count: 0
    .symbol:         _ZN7rocprim17ROCPRIM_400000_NS6detail17trampoline_kernelINS0_14default_configENS1_20scan_config_selectorIsEEZZNS1_9scan_implILNS1_25lookback_scan_determinismE0ELb1ELb1ES3_N6thrust23THRUST_200600_302600_NS6detail15normal_iteratorINS9_10device_ptrIsEEEESE_sNS9_4plusIvEEsEEDaPvRmT3_T4_T5_mT6_P12ihipStream_tbENKUlT_T0_E_clISt17integral_constantIbLb0EEST_IbLb1EEEEDaSP_SQ_EUlSP_E_NS1_11comp_targetILNS1_3genE3ELNS1_11target_archE908ELNS1_3gpuE7ELNS1_3repE0EEENS1_30default_config_static_selectorELNS0_4arch9wavefront6targetE1EEEvT1_.kd
    .uniform_work_group_size: 1
    .uses_dynamic_stack: false
    .vgpr_count:     0
    .vgpr_spill_count: 0
    .wavefront_size: 64
  - .agpr_count:     0
    .args:
      - .offset:         0
        .size:           96
        .value_kind:     by_value
    .group_segment_fixed_size: 0
    .kernarg_segment_align: 8
    .kernarg_segment_size: 96
    .language:       OpenCL C
    .language_version:
      - 2
      - 0
    .max_flat_workgroup_size: 256
    .name:           _ZN7rocprim17ROCPRIM_400000_NS6detail17trampoline_kernelINS0_14default_configENS1_20scan_config_selectorIsEEZZNS1_9scan_implILNS1_25lookback_scan_determinismE0ELb1ELb1ES3_N6thrust23THRUST_200600_302600_NS6detail15normal_iteratorINS9_10device_ptrIsEEEESE_sNS9_4plusIvEEsEEDaPvRmT3_T4_T5_mT6_P12ihipStream_tbENKUlT_T0_E_clISt17integral_constantIbLb0EEST_IbLb1EEEEDaSP_SQ_EUlSP_E_NS1_11comp_targetILNS1_3genE2ELNS1_11target_archE906ELNS1_3gpuE6ELNS1_3repE0EEENS1_30default_config_static_selectorELNS0_4arch9wavefront6targetE1EEEvT1_
    .private_segment_fixed_size: 0
    .sgpr_count:     4
    .sgpr_spill_count: 0
    .symbol:         _ZN7rocprim17ROCPRIM_400000_NS6detail17trampoline_kernelINS0_14default_configENS1_20scan_config_selectorIsEEZZNS1_9scan_implILNS1_25lookback_scan_determinismE0ELb1ELb1ES3_N6thrust23THRUST_200600_302600_NS6detail15normal_iteratorINS9_10device_ptrIsEEEESE_sNS9_4plusIvEEsEEDaPvRmT3_T4_T5_mT6_P12ihipStream_tbENKUlT_T0_E_clISt17integral_constantIbLb0EEST_IbLb1EEEEDaSP_SQ_EUlSP_E_NS1_11comp_targetILNS1_3genE2ELNS1_11target_archE906ELNS1_3gpuE6ELNS1_3repE0EEENS1_30default_config_static_selectorELNS0_4arch9wavefront6targetE1EEEvT1_.kd
    .uniform_work_group_size: 1
    .uses_dynamic_stack: false
    .vgpr_count:     0
    .vgpr_spill_count: 0
    .wavefront_size: 64
  - .agpr_count:     0
    .args:
      - .offset:         0
        .size:           96
        .value_kind:     by_value
    .group_segment_fixed_size: 0
    .kernarg_segment_align: 8
    .kernarg_segment_size: 96
    .language:       OpenCL C
    .language_version:
      - 2
      - 0
    .max_flat_workgroup_size: 256
    .name:           _ZN7rocprim17ROCPRIM_400000_NS6detail17trampoline_kernelINS0_14default_configENS1_20scan_config_selectorIsEEZZNS1_9scan_implILNS1_25lookback_scan_determinismE0ELb1ELb1ES3_N6thrust23THRUST_200600_302600_NS6detail15normal_iteratorINS9_10device_ptrIsEEEESE_sNS9_4plusIvEEsEEDaPvRmT3_T4_T5_mT6_P12ihipStream_tbENKUlT_T0_E_clISt17integral_constantIbLb0EEST_IbLb1EEEEDaSP_SQ_EUlSP_E_NS1_11comp_targetILNS1_3genE10ELNS1_11target_archE1201ELNS1_3gpuE5ELNS1_3repE0EEENS1_30default_config_static_selectorELNS0_4arch9wavefront6targetE1EEEvT1_
    .private_segment_fixed_size: 0
    .sgpr_count:     4
    .sgpr_spill_count: 0
    .symbol:         _ZN7rocprim17ROCPRIM_400000_NS6detail17trampoline_kernelINS0_14default_configENS1_20scan_config_selectorIsEEZZNS1_9scan_implILNS1_25lookback_scan_determinismE0ELb1ELb1ES3_N6thrust23THRUST_200600_302600_NS6detail15normal_iteratorINS9_10device_ptrIsEEEESE_sNS9_4plusIvEEsEEDaPvRmT3_T4_T5_mT6_P12ihipStream_tbENKUlT_T0_E_clISt17integral_constantIbLb0EEST_IbLb1EEEEDaSP_SQ_EUlSP_E_NS1_11comp_targetILNS1_3genE10ELNS1_11target_archE1201ELNS1_3gpuE5ELNS1_3repE0EEENS1_30default_config_static_selectorELNS0_4arch9wavefront6targetE1EEEvT1_.kd
    .uniform_work_group_size: 1
    .uses_dynamic_stack: false
    .vgpr_count:     0
    .vgpr_spill_count: 0
    .wavefront_size: 64
  - .agpr_count:     0
    .args:
      - .offset:         0
        .size:           96
        .value_kind:     by_value
    .group_segment_fixed_size: 0
    .kernarg_segment_align: 8
    .kernarg_segment_size: 96
    .language:       OpenCL C
    .language_version:
      - 2
      - 0
    .max_flat_workgroup_size: 256
    .name:           _ZN7rocprim17ROCPRIM_400000_NS6detail17trampoline_kernelINS0_14default_configENS1_20scan_config_selectorIsEEZZNS1_9scan_implILNS1_25lookback_scan_determinismE0ELb1ELb1ES3_N6thrust23THRUST_200600_302600_NS6detail15normal_iteratorINS9_10device_ptrIsEEEESE_sNS9_4plusIvEEsEEDaPvRmT3_T4_T5_mT6_P12ihipStream_tbENKUlT_T0_E_clISt17integral_constantIbLb0EEST_IbLb1EEEEDaSP_SQ_EUlSP_E_NS1_11comp_targetILNS1_3genE10ELNS1_11target_archE1200ELNS1_3gpuE4ELNS1_3repE0EEENS1_30default_config_static_selectorELNS0_4arch9wavefront6targetE1EEEvT1_
    .private_segment_fixed_size: 0
    .sgpr_count:     4
    .sgpr_spill_count: 0
    .symbol:         _ZN7rocprim17ROCPRIM_400000_NS6detail17trampoline_kernelINS0_14default_configENS1_20scan_config_selectorIsEEZZNS1_9scan_implILNS1_25lookback_scan_determinismE0ELb1ELb1ES3_N6thrust23THRUST_200600_302600_NS6detail15normal_iteratorINS9_10device_ptrIsEEEESE_sNS9_4plusIvEEsEEDaPvRmT3_T4_T5_mT6_P12ihipStream_tbENKUlT_T0_E_clISt17integral_constantIbLb0EEST_IbLb1EEEEDaSP_SQ_EUlSP_E_NS1_11comp_targetILNS1_3genE10ELNS1_11target_archE1200ELNS1_3gpuE4ELNS1_3repE0EEENS1_30default_config_static_selectorELNS0_4arch9wavefront6targetE1EEEvT1_.kd
    .uniform_work_group_size: 1
    .uses_dynamic_stack: false
    .vgpr_count:     0
    .vgpr_spill_count: 0
    .wavefront_size: 64
  - .agpr_count:     0
    .args:
      - .offset:         0
        .size:           96
        .value_kind:     by_value
    .group_segment_fixed_size: 0
    .kernarg_segment_align: 8
    .kernarg_segment_size: 96
    .language:       OpenCL C
    .language_version:
      - 2
      - 0
    .max_flat_workgroup_size: 64
    .name:           _ZN7rocprim17ROCPRIM_400000_NS6detail17trampoline_kernelINS0_14default_configENS1_20scan_config_selectorIsEEZZNS1_9scan_implILNS1_25lookback_scan_determinismE0ELb1ELb1ES3_N6thrust23THRUST_200600_302600_NS6detail15normal_iteratorINS9_10device_ptrIsEEEESE_sNS9_4plusIvEEsEEDaPvRmT3_T4_T5_mT6_P12ihipStream_tbENKUlT_T0_E_clISt17integral_constantIbLb0EEST_IbLb1EEEEDaSP_SQ_EUlSP_E_NS1_11comp_targetILNS1_3genE9ELNS1_11target_archE1100ELNS1_3gpuE3ELNS1_3repE0EEENS1_30default_config_static_selectorELNS0_4arch9wavefront6targetE1EEEvT1_
    .private_segment_fixed_size: 0
    .sgpr_count:     4
    .sgpr_spill_count: 0
    .symbol:         _ZN7rocprim17ROCPRIM_400000_NS6detail17trampoline_kernelINS0_14default_configENS1_20scan_config_selectorIsEEZZNS1_9scan_implILNS1_25lookback_scan_determinismE0ELb1ELb1ES3_N6thrust23THRUST_200600_302600_NS6detail15normal_iteratorINS9_10device_ptrIsEEEESE_sNS9_4plusIvEEsEEDaPvRmT3_T4_T5_mT6_P12ihipStream_tbENKUlT_T0_E_clISt17integral_constantIbLb0EEST_IbLb1EEEEDaSP_SQ_EUlSP_E_NS1_11comp_targetILNS1_3genE9ELNS1_11target_archE1100ELNS1_3gpuE3ELNS1_3repE0EEENS1_30default_config_static_selectorELNS0_4arch9wavefront6targetE1EEEvT1_.kd
    .uniform_work_group_size: 1
    .uses_dynamic_stack: false
    .vgpr_count:     0
    .vgpr_spill_count: 0
    .wavefront_size: 64
  - .agpr_count:     0
    .args:
      - .offset:         0
        .size:           96
        .value_kind:     by_value
    .group_segment_fixed_size: 0
    .kernarg_segment_align: 8
    .kernarg_segment_size: 96
    .language:       OpenCL C
    .language_version:
      - 2
      - 0
    .max_flat_workgroup_size: 64
    .name:           _ZN7rocprim17ROCPRIM_400000_NS6detail17trampoline_kernelINS0_14default_configENS1_20scan_config_selectorIsEEZZNS1_9scan_implILNS1_25lookback_scan_determinismE0ELb1ELb1ES3_N6thrust23THRUST_200600_302600_NS6detail15normal_iteratorINS9_10device_ptrIsEEEESE_sNS9_4plusIvEEsEEDaPvRmT3_T4_T5_mT6_P12ihipStream_tbENKUlT_T0_E_clISt17integral_constantIbLb0EEST_IbLb1EEEEDaSP_SQ_EUlSP_E_NS1_11comp_targetILNS1_3genE8ELNS1_11target_archE1030ELNS1_3gpuE2ELNS1_3repE0EEENS1_30default_config_static_selectorELNS0_4arch9wavefront6targetE1EEEvT1_
    .private_segment_fixed_size: 0
    .sgpr_count:     4
    .sgpr_spill_count: 0
    .symbol:         _ZN7rocprim17ROCPRIM_400000_NS6detail17trampoline_kernelINS0_14default_configENS1_20scan_config_selectorIsEEZZNS1_9scan_implILNS1_25lookback_scan_determinismE0ELb1ELb1ES3_N6thrust23THRUST_200600_302600_NS6detail15normal_iteratorINS9_10device_ptrIsEEEESE_sNS9_4plusIvEEsEEDaPvRmT3_T4_T5_mT6_P12ihipStream_tbENKUlT_T0_E_clISt17integral_constantIbLb0EEST_IbLb1EEEEDaSP_SQ_EUlSP_E_NS1_11comp_targetILNS1_3genE8ELNS1_11target_archE1030ELNS1_3gpuE2ELNS1_3repE0EEENS1_30default_config_static_selectorELNS0_4arch9wavefront6targetE1EEEvT1_.kd
    .uniform_work_group_size: 1
    .uses_dynamic_stack: false
    .vgpr_count:     0
    .vgpr_spill_count: 0
    .wavefront_size: 64
  - .agpr_count:     0
    .args:
      - .offset:         0
        .size:           32
        .value_kind:     by_value
    .group_segment_fixed_size: 0
    .kernarg_segment_align: 8
    .kernarg_segment_size: 32
    .language:       OpenCL C
    .language_version:
      - 2
      - 0
    .max_flat_workgroup_size: 128
    .name:           _ZN7rocprim17ROCPRIM_400000_NS6detail17trampoline_kernelINS0_14default_configENS1_20scan_config_selectorIsEEZZNS1_9scan_implILNS1_25lookback_scan_determinismE0ELb1ELb1ES3_N6thrust23THRUST_200600_302600_NS6detail15normal_iteratorINS9_10device_ptrIsEEEESE_sNS9_4plusIvEEsEEDaPvRmT3_T4_T5_mT6_P12ihipStream_tbENKUlT_T0_E_clISt17integral_constantIbLb0EEST_IbLb1EEEEDaSP_SQ_EUlSP_E0_NS1_11comp_targetILNS1_3genE0ELNS1_11target_archE4294967295ELNS1_3gpuE0ELNS1_3repE0EEENS1_30default_config_static_selectorELNS0_4arch9wavefront6targetE1EEEvT1_
    .private_segment_fixed_size: 0
    .sgpr_count:     4
    .sgpr_spill_count: 0
    .symbol:         _ZN7rocprim17ROCPRIM_400000_NS6detail17trampoline_kernelINS0_14default_configENS1_20scan_config_selectorIsEEZZNS1_9scan_implILNS1_25lookback_scan_determinismE0ELb1ELb1ES3_N6thrust23THRUST_200600_302600_NS6detail15normal_iteratorINS9_10device_ptrIsEEEESE_sNS9_4plusIvEEsEEDaPvRmT3_T4_T5_mT6_P12ihipStream_tbENKUlT_T0_E_clISt17integral_constantIbLb0EEST_IbLb1EEEEDaSP_SQ_EUlSP_E0_NS1_11comp_targetILNS1_3genE0ELNS1_11target_archE4294967295ELNS1_3gpuE0ELNS1_3repE0EEENS1_30default_config_static_selectorELNS0_4arch9wavefront6targetE1EEEvT1_.kd
    .uniform_work_group_size: 1
    .uses_dynamic_stack: false
    .vgpr_count:     0
    .vgpr_spill_count: 0
    .wavefront_size: 64
  - .agpr_count:     0
    .args:
      - .offset:         0
        .size:           32
        .value_kind:     by_value
    .group_segment_fixed_size: 0
    .kernarg_segment_align: 8
    .kernarg_segment_size: 32
    .language:       OpenCL C
    .language_version:
      - 2
      - 0
    .max_flat_workgroup_size: 256
    .name:           _ZN7rocprim17ROCPRIM_400000_NS6detail17trampoline_kernelINS0_14default_configENS1_20scan_config_selectorIsEEZZNS1_9scan_implILNS1_25lookback_scan_determinismE0ELb1ELb1ES3_N6thrust23THRUST_200600_302600_NS6detail15normal_iteratorINS9_10device_ptrIsEEEESE_sNS9_4plusIvEEsEEDaPvRmT3_T4_T5_mT6_P12ihipStream_tbENKUlT_T0_E_clISt17integral_constantIbLb0EEST_IbLb1EEEEDaSP_SQ_EUlSP_E0_NS1_11comp_targetILNS1_3genE5ELNS1_11target_archE942ELNS1_3gpuE9ELNS1_3repE0EEENS1_30default_config_static_selectorELNS0_4arch9wavefront6targetE1EEEvT1_
    .private_segment_fixed_size: 0
    .sgpr_count:     4
    .sgpr_spill_count: 0
    .symbol:         _ZN7rocprim17ROCPRIM_400000_NS6detail17trampoline_kernelINS0_14default_configENS1_20scan_config_selectorIsEEZZNS1_9scan_implILNS1_25lookback_scan_determinismE0ELb1ELb1ES3_N6thrust23THRUST_200600_302600_NS6detail15normal_iteratorINS9_10device_ptrIsEEEESE_sNS9_4plusIvEEsEEDaPvRmT3_T4_T5_mT6_P12ihipStream_tbENKUlT_T0_E_clISt17integral_constantIbLb0EEST_IbLb1EEEEDaSP_SQ_EUlSP_E0_NS1_11comp_targetILNS1_3genE5ELNS1_11target_archE942ELNS1_3gpuE9ELNS1_3repE0EEENS1_30default_config_static_selectorELNS0_4arch9wavefront6targetE1EEEvT1_.kd
    .uniform_work_group_size: 1
    .uses_dynamic_stack: false
    .vgpr_count:     0
    .vgpr_spill_count: 0
    .wavefront_size: 64
  - .agpr_count:     0
    .args:
      - .offset:         0
        .size:           32
        .value_kind:     by_value
    .group_segment_fixed_size: 3072
    .kernarg_segment_align: 8
    .kernarg_segment_size: 32
    .language:       OpenCL C
    .language_version:
      - 2
      - 0
    .max_flat_workgroup_size: 64
    .name:           _ZN7rocprim17ROCPRIM_400000_NS6detail17trampoline_kernelINS0_14default_configENS1_20scan_config_selectorIsEEZZNS1_9scan_implILNS1_25lookback_scan_determinismE0ELb1ELb1ES3_N6thrust23THRUST_200600_302600_NS6detail15normal_iteratorINS9_10device_ptrIsEEEESE_sNS9_4plusIvEEsEEDaPvRmT3_T4_T5_mT6_P12ihipStream_tbENKUlT_T0_E_clISt17integral_constantIbLb0EEST_IbLb1EEEEDaSP_SQ_EUlSP_E0_NS1_11comp_targetILNS1_3genE4ELNS1_11target_archE910ELNS1_3gpuE8ELNS1_3repE0EEENS1_30default_config_static_selectorELNS0_4arch9wavefront6targetE1EEEvT1_
    .private_segment_fixed_size: 0
    .sgpr_count:     60
    .sgpr_spill_count: 0
    .symbol:         _ZN7rocprim17ROCPRIM_400000_NS6detail17trampoline_kernelINS0_14default_configENS1_20scan_config_selectorIsEEZZNS1_9scan_implILNS1_25lookback_scan_determinismE0ELb1ELb1ES3_N6thrust23THRUST_200600_302600_NS6detail15normal_iteratorINS9_10device_ptrIsEEEESE_sNS9_4plusIvEEsEEDaPvRmT3_T4_T5_mT6_P12ihipStream_tbENKUlT_T0_E_clISt17integral_constantIbLb0EEST_IbLb1EEEEDaSP_SQ_EUlSP_E0_NS1_11comp_targetILNS1_3genE4ELNS1_11target_archE910ELNS1_3gpuE8ELNS1_3repE0EEENS1_30default_config_static_selectorELNS0_4arch9wavefront6targetE1EEEvT1_.kd
    .uniform_work_group_size: 1
    .uses_dynamic_stack: false
    .vgpr_count:     32
    .vgpr_spill_count: 0
    .wavefront_size: 64
  - .agpr_count:     0
    .args:
      - .offset:         0
        .size:           32
        .value_kind:     by_value
    .group_segment_fixed_size: 0
    .kernarg_segment_align: 8
    .kernarg_segment_size: 32
    .language:       OpenCL C
    .language_version:
      - 2
      - 0
    .max_flat_workgroup_size: 128
    .name:           _ZN7rocprim17ROCPRIM_400000_NS6detail17trampoline_kernelINS0_14default_configENS1_20scan_config_selectorIsEEZZNS1_9scan_implILNS1_25lookback_scan_determinismE0ELb1ELb1ES3_N6thrust23THRUST_200600_302600_NS6detail15normal_iteratorINS9_10device_ptrIsEEEESE_sNS9_4plusIvEEsEEDaPvRmT3_T4_T5_mT6_P12ihipStream_tbENKUlT_T0_E_clISt17integral_constantIbLb0EEST_IbLb1EEEEDaSP_SQ_EUlSP_E0_NS1_11comp_targetILNS1_3genE3ELNS1_11target_archE908ELNS1_3gpuE7ELNS1_3repE0EEENS1_30default_config_static_selectorELNS0_4arch9wavefront6targetE1EEEvT1_
    .private_segment_fixed_size: 0
    .sgpr_count:     4
    .sgpr_spill_count: 0
    .symbol:         _ZN7rocprim17ROCPRIM_400000_NS6detail17trampoline_kernelINS0_14default_configENS1_20scan_config_selectorIsEEZZNS1_9scan_implILNS1_25lookback_scan_determinismE0ELb1ELb1ES3_N6thrust23THRUST_200600_302600_NS6detail15normal_iteratorINS9_10device_ptrIsEEEESE_sNS9_4plusIvEEsEEDaPvRmT3_T4_T5_mT6_P12ihipStream_tbENKUlT_T0_E_clISt17integral_constantIbLb0EEST_IbLb1EEEEDaSP_SQ_EUlSP_E0_NS1_11comp_targetILNS1_3genE3ELNS1_11target_archE908ELNS1_3gpuE7ELNS1_3repE0EEENS1_30default_config_static_selectorELNS0_4arch9wavefront6targetE1EEEvT1_.kd
    .uniform_work_group_size: 1
    .uses_dynamic_stack: false
    .vgpr_count:     0
    .vgpr_spill_count: 0
    .wavefront_size: 64
  - .agpr_count:     0
    .args:
      - .offset:         0
        .size:           32
        .value_kind:     by_value
    .group_segment_fixed_size: 0
    .kernarg_segment_align: 8
    .kernarg_segment_size: 32
    .language:       OpenCL C
    .language_version:
      - 2
      - 0
    .max_flat_workgroup_size: 256
    .name:           _ZN7rocprim17ROCPRIM_400000_NS6detail17trampoline_kernelINS0_14default_configENS1_20scan_config_selectorIsEEZZNS1_9scan_implILNS1_25lookback_scan_determinismE0ELb1ELb1ES3_N6thrust23THRUST_200600_302600_NS6detail15normal_iteratorINS9_10device_ptrIsEEEESE_sNS9_4plusIvEEsEEDaPvRmT3_T4_T5_mT6_P12ihipStream_tbENKUlT_T0_E_clISt17integral_constantIbLb0EEST_IbLb1EEEEDaSP_SQ_EUlSP_E0_NS1_11comp_targetILNS1_3genE2ELNS1_11target_archE906ELNS1_3gpuE6ELNS1_3repE0EEENS1_30default_config_static_selectorELNS0_4arch9wavefront6targetE1EEEvT1_
    .private_segment_fixed_size: 0
    .sgpr_count:     4
    .sgpr_spill_count: 0
    .symbol:         _ZN7rocprim17ROCPRIM_400000_NS6detail17trampoline_kernelINS0_14default_configENS1_20scan_config_selectorIsEEZZNS1_9scan_implILNS1_25lookback_scan_determinismE0ELb1ELb1ES3_N6thrust23THRUST_200600_302600_NS6detail15normal_iteratorINS9_10device_ptrIsEEEESE_sNS9_4plusIvEEsEEDaPvRmT3_T4_T5_mT6_P12ihipStream_tbENKUlT_T0_E_clISt17integral_constantIbLb0EEST_IbLb1EEEEDaSP_SQ_EUlSP_E0_NS1_11comp_targetILNS1_3genE2ELNS1_11target_archE906ELNS1_3gpuE6ELNS1_3repE0EEENS1_30default_config_static_selectorELNS0_4arch9wavefront6targetE1EEEvT1_.kd
    .uniform_work_group_size: 1
    .uses_dynamic_stack: false
    .vgpr_count:     0
    .vgpr_spill_count: 0
    .wavefront_size: 64
  - .agpr_count:     0
    .args:
      - .offset:         0
        .size:           32
        .value_kind:     by_value
    .group_segment_fixed_size: 0
    .kernarg_segment_align: 8
    .kernarg_segment_size: 32
    .language:       OpenCL C
    .language_version:
      - 2
      - 0
    .max_flat_workgroup_size: 256
    .name:           _ZN7rocprim17ROCPRIM_400000_NS6detail17trampoline_kernelINS0_14default_configENS1_20scan_config_selectorIsEEZZNS1_9scan_implILNS1_25lookback_scan_determinismE0ELb1ELb1ES3_N6thrust23THRUST_200600_302600_NS6detail15normal_iteratorINS9_10device_ptrIsEEEESE_sNS9_4plusIvEEsEEDaPvRmT3_T4_T5_mT6_P12ihipStream_tbENKUlT_T0_E_clISt17integral_constantIbLb0EEST_IbLb1EEEEDaSP_SQ_EUlSP_E0_NS1_11comp_targetILNS1_3genE10ELNS1_11target_archE1201ELNS1_3gpuE5ELNS1_3repE0EEENS1_30default_config_static_selectorELNS0_4arch9wavefront6targetE1EEEvT1_
    .private_segment_fixed_size: 0
    .sgpr_count:     4
    .sgpr_spill_count: 0
    .symbol:         _ZN7rocprim17ROCPRIM_400000_NS6detail17trampoline_kernelINS0_14default_configENS1_20scan_config_selectorIsEEZZNS1_9scan_implILNS1_25lookback_scan_determinismE0ELb1ELb1ES3_N6thrust23THRUST_200600_302600_NS6detail15normal_iteratorINS9_10device_ptrIsEEEESE_sNS9_4plusIvEEsEEDaPvRmT3_T4_T5_mT6_P12ihipStream_tbENKUlT_T0_E_clISt17integral_constantIbLb0EEST_IbLb1EEEEDaSP_SQ_EUlSP_E0_NS1_11comp_targetILNS1_3genE10ELNS1_11target_archE1201ELNS1_3gpuE5ELNS1_3repE0EEENS1_30default_config_static_selectorELNS0_4arch9wavefront6targetE1EEEvT1_.kd
    .uniform_work_group_size: 1
    .uses_dynamic_stack: false
    .vgpr_count:     0
    .vgpr_spill_count: 0
    .wavefront_size: 64
  - .agpr_count:     0
    .args:
      - .offset:         0
        .size:           32
        .value_kind:     by_value
    .group_segment_fixed_size: 0
    .kernarg_segment_align: 8
    .kernarg_segment_size: 32
    .language:       OpenCL C
    .language_version:
      - 2
      - 0
    .max_flat_workgroup_size: 256
    .name:           _ZN7rocprim17ROCPRIM_400000_NS6detail17trampoline_kernelINS0_14default_configENS1_20scan_config_selectorIsEEZZNS1_9scan_implILNS1_25lookback_scan_determinismE0ELb1ELb1ES3_N6thrust23THRUST_200600_302600_NS6detail15normal_iteratorINS9_10device_ptrIsEEEESE_sNS9_4plusIvEEsEEDaPvRmT3_T4_T5_mT6_P12ihipStream_tbENKUlT_T0_E_clISt17integral_constantIbLb0EEST_IbLb1EEEEDaSP_SQ_EUlSP_E0_NS1_11comp_targetILNS1_3genE10ELNS1_11target_archE1200ELNS1_3gpuE4ELNS1_3repE0EEENS1_30default_config_static_selectorELNS0_4arch9wavefront6targetE1EEEvT1_
    .private_segment_fixed_size: 0
    .sgpr_count:     4
    .sgpr_spill_count: 0
    .symbol:         _ZN7rocprim17ROCPRIM_400000_NS6detail17trampoline_kernelINS0_14default_configENS1_20scan_config_selectorIsEEZZNS1_9scan_implILNS1_25lookback_scan_determinismE0ELb1ELb1ES3_N6thrust23THRUST_200600_302600_NS6detail15normal_iteratorINS9_10device_ptrIsEEEESE_sNS9_4plusIvEEsEEDaPvRmT3_T4_T5_mT6_P12ihipStream_tbENKUlT_T0_E_clISt17integral_constantIbLb0EEST_IbLb1EEEEDaSP_SQ_EUlSP_E0_NS1_11comp_targetILNS1_3genE10ELNS1_11target_archE1200ELNS1_3gpuE4ELNS1_3repE0EEENS1_30default_config_static_selectorELNS0_4arch9wavefront6targetE1EEEvT1_.kd
    .uniform_work_group_size: 1
    .uses_dynamic_stack: false
    .vgpr_count:     0
    .vgpr_spill_count: 0
    .wavefront_size: 64
  - .agpr_count:     0
    .args:
      - .offset:         0
        .size:           32
        .value_kind:     by_value
    .group_segment_fixed_size: 0
    .kernarg_segment_align: 8
    .kernarg_segment_size: 32
    .language:       OpenCL C
    .language_version:
      - 2
      - 0
    .max_flat_workgroup_size: 64
    .name:           _ZN7rocprim17ROCPRIM_400000_NS6detail17trampoline_kernelINS0_14default_configENS1_20scan_config_selectorIsEEZZNS1_9scan_implILNS1_25lookback_scan_determinismE0ELb1ELb1ES3_N6thrust23THRUST_200600_302600_NS6detail15normal_iteratorINS9_10device_ptrIsEEEESE_sNS9_4plusIvEEsEEDaPvRmT3_T4_T5_mT6_P12ihipStream_tbENKUlT_T0_E_clISt17integral_constantIbLb0EEST_IbLb1EEEEDaSP_SQ_EUlSP_E0_NS1_11comp_targetILNS1_3genE9ELNS1_11target_archE1100ELNS1_3gpuE3ELNS1_3repE0EEENS1_30default_config_static_selectorELNS0_4arch9wavefront6targetE1EEEvT1_
    .private_segment_fixed_size: 0
    .sgpr_count:     4
    .sgpr_spill_count: 0
    .symbol:         _ZN7rocprim17ROCPRIM_400000_NS6detail17trampoline_kernelINS0_14default_configENS1_20scan_config_selectorIsEEZZNS1_9scan_implILNS1_25lookback_scan_determinismE0ELb1ELb1ES3_N6thrust23THRUST_200600_302600_NS6detail15normal_iteratorINS9_10device_ptrIsEEEESE_sNS9_4plusIvEEsEEDaPvRmT3_T4_T5_mT6_P12ihipStream_tbENKUlT_T0_E_clISt17integral_constantIbLb0EEST_IbLb1EEEEDaSP_SQ_EUlSP_E0_NS1_11comp_targetILNS1_3genE9ELNS1_11target_archE1100ELNS1_3gpuE3ELNS1_3repE0EEENS1_30default_config_static_selectorELNS0_4arch9wavefront6targetE1EEEvT1_.kd
    .uniform_work_group_size: 1
    .uses_dynamic_stack: false
    .vgpr_count:     0
    .vgpr_spill_count: 0
    .wavefront_size: 64
  - .agpr_count:     0
    .args:
      - .offset:         0
        .size:           32
        .value_kind:     by_value
    .group_segment_fixed_size: 0
    .kernarg_segment_align: 8
    .kernarg_segment_size: 32
    .language:       OpenCL C
    .language_version:
      - 2
      - 0
    .max_flat_workgroup_size: 64
    .name:           _ZN7rocprim17ROCPRIM_400000_NS6detail17trampoline_kernelINS0_14default_configENS1_20scan_config_selectorIsEEZZNS1_9scan_implILNS1_25lookback_scan_determinismE0ELb1ELb1ES3_N6thrust23THRUST_200600_302600_NS6detail15normal_iteratorINS9_10device_ptrIsEEEESE_sNS9_4plusIvEEsEEDaPvRmT3_T4_T5_mT6_P12ihipStream_tbENKUlT_T0_E_clISt17integral_constantIbLb0EEST_IbLb1EEEEDaSP_SQ_EUlSP_E0_NS1_11comp_targetILNS1_3genE8ELNS1_11target_archE1030ELNS1_3gpuE2ELNS1_3repE0EEENS1_30default_config_static_selectorELNS0_4arch9wavefront6targetE1EEEvT1_
    .private_segment_fixed_size: 0
    .sgpr_count:     4
    .sgpr_spill_count: 0
    .symbol:         _ZN7rocprim17ROCPRIM_400000_NS6detail17trampoline_kernelINS0_14default_configENS1_20scan_config_selectorIsEEZZNS1_9scan_implILNS1_25lookback_scan_determinismE0ELb1ELb1ES3_N6thrust23THRUST_200600_302600_NS6detail15normal_iteratorINS9_10device_ptrIsEEEESE_sNS9_4plusIvEEsEEDaPvRmT3_T4_T5_mT6_P12ihipStream_tbENKUlT_T0_E_clISt17integral_constantIbLb0EEST_IbLb1EEEEDaSP_SQ_EUlSP_E0_NS1_11comp_targetILNS1_3genE8ELNS1_11target_archE1030ELNS1_3gpuE2ELNS1_3repE0EEENS1_30default_config_static_selectorELNS0_4arch9wavefront6targetE1EEEvT1_.kd
    .uniform_work_group_size: 1
    .uses_dynamic_stack: false
    .vgpr_count:     0
    .vgpr_spill_count: 0
    .wavefront_size: 64
  - .agpr_count:     0
    .args:
      - .offset:         0
        .size:           96
        .value_kind:     by_value
    .group_segment_fixed_size: 0
    .kernarg_segment_align: 8
    .kernarg_segment_size: 96
    .language:       OpenCL C
    .language_version:
      - 2
      - 0
    .max_flat_workgroup_size: 128
    .name:           _ZN7rocprim17ROCPRIM_400000_NS6detail17trampoline_kernelINS0_14default_configENS1_20scan_config_selectorIsEEZZNS1_9scan_implILNS1_25lookback_scan_determinismE0ELb0ELb0ES3_N6thrust23THRUST_200600_302600_NS6detail15normal_iteratorINS9_10device_ptrIsEEEESE_sNS9_4plusIsEEsEEDaPvRmT3_T4_T5_mT6_P12ihipStream_tbENKUlT_T0_E_clISt17integral_constantIbLb0EESU_EEDaSP_SQ_EUlSP_E_NS1_11comp_targetILNS1_3genE0ELNS1_11target_archE4294967295ELNS1_3gpuE0ELNS1_3repE0EEENS1_30default_config_static_selectorELNS0_4arch9wavefront6targetE1EEEvT1_
    .private_segment_fixed_size: 0
    .sgpr_count:     4
    .sgpr_spill_count: 0
    .symbol:         _ZN7rocprim17ROCPRIM_400000_NS6detail17trampoline_kernelINS0_14default_configENS1_20scan_config_selectorIsEEZZNS1_9scan_implILNS1_25lookback_scan_determinismE0ELb0ELb0ES3_N6thrust23THRUST_200600_302600_NS6detail15normal_iteratorINS9_10device_ptrIsEEEESE_sNS9_4plusIsEEsEEDaPvRmT3_T4_T5_mT6_P12ihipStream_tbENKUlT_T0_E_clISt17integral_constantIbLb0EESU_EEDaSP_SQ_EUlSP_E_NS1_11comp_targetILNS1_3genE0ELNS1_11target_archE4294967295ELNS1_3gpuE0ELNS1_3repE0EEENS1_30default_config_static_selectorELNS0_4arch9wavefront6targetE1EEEvT1_.kd
    .uniform_work_group_size: 1
    .uses_dynamic_stack: false
    .vgpr_count:     0
    .vgpr_spill_count: 0
    .wavefront_size: 64
  - .agpr_count:     0
    .args:
      - .offset:         0
        .size:           96
        .value_kind:     by_value
    .group_segment_fixed_size: 0
    .kernarg_segment_align: 8
    .kernarg_segment_size: 96
    .language:       OpenCL C
    .language_version:
      - 2
      - 0
    .max_flat_workgroup_size: 256
    .name:           _ZN7rocprim17ROCPRIM_400000_NS6detail17trampoline_kernelINS0_14default_configENS1_20scan_config_selectorIsEEZZNS1_9scan_implILNS1_25lookback_scan_determinismE0ELb0ELb0ES3_N6thrust23THRUST_200600_302600_NS6detail15normal_iteratorINS9_10device_ptrIsEEEESE_sNS9_4plusIsEEsEEDaPvRmT3_T4_T5_mT6_P12ihipStream_tbENKUlT_T0_E_clISt17integral_constantIbLb0EESU_EEDaSP_SQ_EUlSP_E_NS1_11comp_targetILNS1_3genE5ELNS1_11target_archE942ELNS1_3gpuE9ELNS1_3repE0EEENS1_30default_config_static_selectorELNS0_4arch9wavefront6targetE1EEEvT1_
    .private_segment_fixed_size: 0
    .sgpr_count:     4
    .sgpr_spill_count: 0
    .symbol:         _ZN7rocprim17ROCPRIM_400000_NS6detail17trampoline_kernelINS0_14default_configENS1_20scan_config_selectorIsEEZZNS1_9scan_implILNS1_25lookback_scan_determinismE0ELb0ELb0ES3_N6thrust23THRUST_200600_302600_NS6detail15normal_iteratorINS9_10device_ptrIsEEEESE_sNS9_4plusIsEEsEEDaPvRmT3_T4_T5_mT6_P12ihipStream_tbENKUlT_T0_E_clISt17integral_constantIbLb0EESU_EEDaSP_SQ_EUlSP_E_NS1_11comp_targetILNS1_3genE5ELNS1_11target_archE942ELNS1_3gpuE9ELNS1_3repE0EEENS1_30default_config_static_selectorELNS0_4arch9wavefront6targetE1EEEvT1_.kd
    .uniform_work_group_size: 1
    .uses_dynamic_stack: false
    .vgpr_count:     0
    .vgpr_spill_count: 0
    .wavefront_size: 64
  - .agpr_count:     0
    .args:
      - .offset:         0
        .size:           96
        .value_kind:     by_value
    .group_segment_fixed_size: 3072
    .kernarg_segment_align: 8
    .kernarg_segment_size: 96
    .language:       OpenCL C
    .language_version:
      - 2
      - 0
    .max_flat_workgroup_size: 64
    .name:           _ZN7rocprim17ROCPRIM_400000_NS6detail17trampoline_kernelINS0_14default_configENS1_20scan_config_selectorIsEEZZNS1_9scan_implILNS1_25lookback_scan_determinismE0ELb0ELb0ES3_N6thrust23THRUST_200600_302600_NS6detail15normal_iteratorINS9_10device_ptrIsEEEESE_sNS9_4plusIsEEsEEDaPvRmT3_T4_T5_mT6_P12ihipStream_tbENKUlT_T0_E_clISt17integral_constantIbLb0EESU_EEDaSP_SQ_EUlSP_E_NS1_11comp_targetILNS1_3genE4ELNS1_11target_archE910ELNS1_3gpuE8ELNS1_3repE0EEENS1_30default_config_static_selectorELNS0_4arch9wavefront6targetE1EEEvT1_
    .private_segment_fixed_size: 0
    .sgpr_count:     30
    .sgpr_spill_count: 0
    .symbol:         _ZN7rocprim17ROCPRIM_400000_NS6detail17trampoline_kernelINS0_14default_configENS1_20scan_config_selectorIsEEZZNS1_9scan_implILNS1_25lookback_scan_determinismE0ELb0ELb0ES3_N6thrust23THRUST_200600_302600_NS6detail15normal_iteratorINS9_10device_ptrIsEEEESE_sNS9_4plusIsEEsEEDaPvRmT3_T4_T5_mT6_P12ihipStream_tbENKUlT_T0_E_clISt17integral_constantIbLb0EESU_EEDaSP_SQ_EUlSP_E_NS1_11comp_targetILNS1_3genE4ELNS1_11target_archE910ELNS1_3gpuE8ELNS1_3repE0EEENS1_30default_config_static_selectorELNS0_4arch9wavefront6targetE1EEEvT1_.kd
    .uniform_work_group_size: 1
    .uses_dynamic_stack: false
    .vgpr_count:     54
    .vgpr_spill_count: 0
    .wavefront_size: 64
  - .agpr_count:     0
    .args:
      - .offset:         0
        .size:           96
        .value_kind:     by_value
    .group_segment_fixed_size: 0
    .kernarg_segment_align: 8
    .kernarg_segment_size: 96
    .language:       OpenCL C
    .language_version:
      - 2
      - 0
    .max_flat_workgroup_size: 128
    .name:           _ZN7rocprim17ROCPRIM_400000_NS6detail17trampoline_kernelINS0_14default_configENS1_20scan_config_selectorIsEEZZNS1_9scan_implILNS1_25lookback_scan_determinismE0ELb0ELb0ES3_N6thrust23THRUST_200600_302600_NS6detail15normal_iteratorINS9_10device_ptrIsEEEESE_sNS9_4plusIsEEsEEDaPvRmT3_T4_T5_mT6_P12ihipStream_tbENKUlT_T0_E_clISt17integral_constantIbLb0EESU_EEDaSP_SQ_EUlSP_E_NS1_11comp_targetILNS1_3genE3ELNS1_11target_archE908ELNS1_3gpuE7ELNS1_3repE0EEENS1_30default_config_static_selectorELNS0_4arch9wavefront6targetE1EEEvT1_
    .private_segment_fixed_size: 0
    .sgpr_count:     4
    .sgpr_spill_count: 0
    .symbol:         _ZN7rocprim17ROCPRIM_400000_NS6detail17trampoline_kernelINS0_14default_configENS1_20scan_config_selectorIsEEZZNS1_9scan_implILNS1_25lookback_scan_determinismE0ELb0ELb0ES3_N6thrust23THRUST_200600_302600_NS6detail15normal_iteratorINS9_10device_ptrIsEEEESE_sNS9_4plusIsEEsEEDaPvRmT3_T4_T5_mT6_P12ihipStream_tbENKUlT_T0_E_clISt17integral_constantIbLb0EESU_EEDaSP_SQ_EUlSP_E_NS1_11comp_targetILNS1_3genE3ELNS1_11target_archE908ELNS1_3gpuE7ELNS1_3repE0EEENS1_30default_config_static_selectorELNS0_4arch9wavefront6targetE1EEEvT1_.kd
    .uniform_work_group_size: 1
    .uses_dynamic_stack: false
    .vgpr_count:     0
    .vgpr_spill_count: 0
    .wavefront_size: 64
  - .agpr_count:     0
    .args:
      - .offset:         0
        .size:           96
        .value_kind:     by_value
    .group_segment_fixed_size: 0
    .kernarg_segment_align: 8
    .kernarg_segment_size: 96
    .language:       OpenCL C
    .language_version:
      - 2
      - 0
    .max_flat_workgroup_size: 256
    .name:           _ZN7rocprim17ROCPRIM_400000_NS6detail17trampoline_kernelINS0_14default_configENS1_20scan_config_selectorIsEEZZNS1_9scan_implILNS1_25lookback_scan_determinismE0ELb0ELb0ES3_N6thrust23THRUST_200600_302600_NS6detail15normal_iteratorINS9_10device_ptrIsEEEESE_sNS9_4plusIsEEsEEDaPvRmT3_T4_T5_mT6_P12ihipStream_tbENKUlT_T0_E_clISt17integral_constantIbLb0EESU_EEDaSP_SQ_EUlSP_E_NS1_11comp_targetILNS1_3genE2ELNS1_11target_archE906ELNS1_3gpuE6ELNS1_3repE0EEENS1_30default_config_static_selectorELNS0_4arch9wavefront6targetE1EEEvT1_
    .private_segment_fixed_size: 0
    .sgpr_count:     4
    .sgpr_spill_count: 0
    .symbol:         _ZN7rocprim17ROCPRIM_400000_NS6detail17trampoline_kernelINS0_14default_configENS1_20scan_config_selectorIsEEZZNS1_9scan_implILNS1_25lookback_scan_determinismE0ELb0ELb0ES3_N6thrust23THRUST_200600_302600_NS6detail15normal_iteratorINS9_10device_ptrIsEEEESE_sNS9_4plusIsEEsEEDaPvRmT3_T4_T5_mT6_P12ihipStream_tbENKUlT_T0_E_clISt17integral_constantIbLb0EESU_EEDaSP_SQ_EUlSP_E_NS1_11comp_targetILNS1_3genE2ELNS1_11target_archE906ELNS1_3gpuE6ELNS1_3repE0EEENS1_30default_config_static_selectorELNS0_4arch9wavefront6targetE1EEEvT1_.kd
    .uniform_work_group_size: 1
    .uses_dynamic_stack: false
    .vgpr_count:     0
    .vgpr_spill_count: 0
    .wavefront_size: 64
  - .agpr_count:     0
    .args:
      - .offset:         0
        .size:           96
        .value_kind:     by_value
    .group_segment_fixed_size: 0
    .kernarg_segment_align: 8
    .kernarg_segment_size: 96
    .language:       OpenCL C
    .language_version:
      - 2
      - 0
    .max_flat_workgroup_size: 256
    .name:           _ZN7rocprim17ROCPRIM_400000_NS6detail17trampoline_kernelINS0_14default_configENS1_20scan_config_selectorIsEEZZNS1_9scan_implILNS1_25lookback_scan_determinismE0ELb0ELb0ES3_N6thrust23THRUST_200600_302600_NS6detail15normal_iteratorINS9_10device_ptrIsEEEESE_sNS9_4plusIsEEsEEDaPvRmT3_T4_T5_mT6_P12ihipStream_tbENKUlT_T0_E_clISt17integral_constantIbLb0EESU_EEDaSP_SQ_EUlSP_E_NS1_11comp_targetILNS1_3genE10ELNS1_11target_archE1201ELNS1_3gpuE5ELNS1_3repE0EEENS1_30default_config_static_selectorELNS0_4arch9wavefront6targetE1EEEvT1_
    .private_segment_fixed_size: 0
    .sgpr_count:     4
    .sgpr_spill_count: 0
    .symbol:         _ZN7rocprim17ROCPRIM_400000_NS6detail17trampoline_kernelINS0_14default_configENS1_20scan_config_selectorIsEEZZNS1_9scan_implILNS1_25lookback_scan_determinismE0ELb0ELb0ES3_N6thrust23THRUST_200600_302600_NS6detail15normal_iteratorINS9_10device_ptrIsEEEESE_sNS9_4plusIsEEsEEDaPvRmT3_T4_T5_mT6_P12ihipStream_tbENKUlT_T0_E_clISt17integral_constantIbLb0EESU_EEDaSP_SQ_EUlSP_E_NS1_11comp_targetILNS1_3genE10ELNS1_11target_archE1201ELNS1_3gpuE5ELNS1_3repE0EEENS1_30default_config_static_selectorELNS0_4arch9wavefront6targetE1EEEvT1_.kd
    .uniform_work_group_size: 1
    .uses_dynamic_stack: false
    .vgpr_count:     0
    .vgpr_spill_count: 0
    .wavefront_size: 64
  - .agpr_count:     0
    .args:
      - .offset:         0
        .size:           96
        .value_kind:     by_value
    .group_segment_fixed_size: 0
    .kernarg_segment_align: 8
    .kernarg_segment_size: 96
    .language:       OpenCL C
    .language_version:
      - 2
      - 0
    .max_flat_workgroup_size: 256
    .name:           _ZN7rocprim17ROCPRIM_400000_NS6detail17trampoline_kernelINS0_14default_configENS1_20scan_config_selectorIsEEZZNS1_9scan_implILNS1_25lookback_scan_determinismE0ELb0ELb0ES3_N6thrust23THRUST_200600_302600_NS6detail15normal_iteratorINS9_10device_ptrIsEEEESE_sNS9_4plusIsEEsEEDaPvRmT3_T4_T5_mT6_P12ihipStream_tbENKUlT_T0_E_clISt17integral_constantIbLb0EESU_EEDaSP_SQ_EUlSP_E_NS1_11comp_targetILNS1_3genE10ELNS1_11target_archE1200ELNS1_3gpuE4ELNS1_3repE0EEENS1_30default_config_static_selectorELNS0_4arch9wavefront6targetE1EEEvT1_
    .private_segment_fixed_size: 0
    .sgpr_count:     4
    .sgpr_spill_count: 0
    .symbol:         _ZN7rocprim17ROCPRIM_400000_NS6detail17trampoline_kernelINS0_14default_configENS1_20scan_config_selectorIsEEZZNS1_9scan_implILNS1_25lookback_scan_determinismE0ELb0ELb0ES3_N6thrust23THRUST_200600_302600_NS6detail15normal_iteratorINS9_10device_ptrIsEEEESE_sNS9_4plusIsEEsEEDaPvRmT3_T4_T5_mT6_P12ihipStream_tbENKUlT_T0_E_clISt17integral_constantIbLb0EESU_EEDaSP_SQ_EUlSP_E_NS1_11comp_targetILNS1_3genE10ELNS1_11target_archE1200ELNS1_3gpuE4ELNS1_3repE0EEENS1_30default_config_static_selectorELNS0_4arch9wavefront6targetE1EEEvT1_.kd
    .uniform_work_group_size: 1
    .uses_dynamic_stack: false
    .vgpr_count:     0
    .vgpr_spill_count: 0
    .wavefront_size: 64
  - .agpr_count:     0
    .args:
      - .offset:         0
        .size:           96
        .value_kind:     by_value
    .group_segment_fixed_size: 0
    .kernarg_segment_align: 8
    .kernarg_segment_size: 96
    .language:       OpenCL C
    .language_version:
      - 2
      - 0
    .max_flat_workgroup_size: 64
    .name:           _ZN7rocprim17ROCPRIM_400000_NS6detail17trampoline_kernelINS0_14default_configENS1_20scan_config_selectorIsEEZZNS1_9scan_implILNS1_25lookback_scan_determinismE0ELb0ELb0ES3_N6thrust23THRUST_200600_302600_NS6detail15normal_iteratorINS9_10device_ptrIsEEEESE_sNS9_4plusIsEEsEEDaPvRmT3_T4_T5_mT6_P12ihipStream_tbENKUlT_T0_E_clISt17integral_constantIbLb0EESU_EEDaSP_SQ_EUlSP_E_NS1_11comp_targetILNS1_3genE9ELNS1_11target_archE1100ELNS1_3gpuE3ELNS1_3repE0EEENS1_30default_config_static_selectorELNS0_4arch9wavefront6targetE1EEEvT1_
    .private_segment_fixed_size: 0
    .sgpr_count:     4
    .sgpr_spill_count: 0
    .symbol:         _ZN7rocprim17ROCPRIM_400000_NS6detail17trampoline_kernelINS0_14default_configENS1_20scan_config_selectorIsEEZZNS1_9scan_implILNS1_25lookback_scan_determinismE0ELb0ELb0ES3_N6thrust23THRUST_200600_302600_NS6detail15normal_iteratorINS9_10device_ptrIsEEEESE_sNS9_4plusIsEEsEEDaPvRmT3_T4_T5_mT6_P12ihipStream_tbENKUlT_T0_E_clISt17integral_constantIbLb0EESU_EEDaSP_SQ_EUlSP_E_NS1_11comp_targetILNS1_3genE9ELNS1_11target_archE1100ELNS1_3gpuE3ELNS1_3repE0EEENS1_30default_config_static_selectorELNS0_4arch9wavefront6targetE1EEEvT1_.kd
    .uniform_work_group_size: 1
    .uses_dynamic_stack: false
    .vgpr_count:     0
    .vgpr_spill_count: 0
    .wavefront_size: 64
  - .agpr_count:     0
    .args:
      - .offset:         0
        .size:           96
        .value_kind:     by_value
    .group_segment_fixed_size: 0
    .kernarg_segment_align: 8
    .kernarg_segment_size: 96
    .language:       OpenCL C
    .language_version:
      - 2
      - 0
    .max_flat_workgroup_size: 64
    .name:           _ZN7rocprim17ROCPRIM_400000_NS6detail17trampoline_kernelINS0_14default_configENS1_20scan_config_selectorIsEEZZNS1_9scan_implILNS1_25lookback_scan_determinismE0ELb0ELb0ES3_N6thrust23THRUST_200600_302600_NS6detail15normal_iteratorINS9_10device_ptrIsEEEESE_sNS9_4plusIsEEsEEDaPvRmT3_T4_T5_mT6_P12ihipStream_tbENKUlT_T0_E_clISt17integral_constantIbLb0EESU_EEDaSP_SQ_EUlSP_E_NS1_11comp_targetILNS1_3genE8ELNS1_11target_archE1030ELNS1_3gpuE2ELNS1_3repE0EEENS1_30default_config_static_selectorELNS0_4arch9wavefront6targetE1EEEvT1_
    .private_segment_fixed_size: 0
    .sgpr_count:     4
    .sgpr_spill_count: 0
    .symbol:         _ZN7rocprim17ROCPRIM_400000_NS6detail17trampoline_kernelINS0_14default_configENS1_20scan_config_selectorIsEEZZNS1_9scan_implILNS1_25lookback_scan_determinismE0ELb0ELb0ES3_N6thrust23THRUST_200600_302600_NS6detail15normal_iteratorINS9_10device_ptrIsEEEESE_sNS9_4plusIsEEsEEDaPvRmT3_T4_T5_mT6_P12ihipStream_tbENKUlT_T0_E_clISt17integral_constantIbLb0EESU_EEDaSP_SQ_EUlSP_E_NS1_11comp_targetILNS1_3genE8ELNS1_11target_archE1030ELNS1_3gpuE2ELNS1_3repE0EEENS1_30default_config_static_selectorELNS0_4arch9wavefront6targetE1EEEvT1_.kd
    .uniform_work_group_size: 1
    .uses_dynamic_stack: false
    .vgpr_count:     0
    .vgpr_spill_count: 0
    .wavefront_size: 64
  - .agpr_count:     0
    .args:
      - .offset:         0
        .size:           32
        .value_kind:     by_value
    .group_segment_fixed_size: 0
    .kernarg_segment_align: 8
    .kernarg_segment_size: 32
    .language:       OpenCL C
    .language_version:
      - 2
      - 0
    .max_flat_workgroup_size: 128
    .name:           _ZN7rocprim17ROCPRIM_400000_NS6detail17trampoline_kernelINS0_14default_configENS1_20scan_config_selectorIsEEZZNS1_9scan_implILNS1_25lookback_scan_determinismE0ELb0ELb0ES3_N6thrust23THRUST_200600_302600_NS6detail15normal_iteratorINS9_10device_ptrIsEEEESE_sNS9_4plusIsEEsEEDaPvRmT3_T4_T5_mT6_P12ihipStream_tbENKUlT_T0_E_clISt17integral_constantIbLb0EESU_EEDaSP_SQ_EUlSP_E0_NS1_11comp_targetILNS1_3genE0ELNS1_11target_archE4294967295ELNS1_3gpuE0ELNS1_3repE0EEENS1_30default_config_static_selectorELNS0_4arch9wavefront6targetE1EEEvT1_
    .private_segment_fixed_size: 0
    .sgpr_count:     4
    .sgpr_spill_count: 0
    .symbol:         _ZN7rocprim17ROCPRIM_400000_NS6detail17trampoline_kernelINS0_14default_configENS1_20scan_config_selectorIsEEZZNS1_9scan_implILNS1_25lookback_scan_determinismE0ELb0ELb0ES3_N6thrust23THRUST_200600_302600_NS6detail15normal_iteratorINS9_10device_ptrIsEEEESE_sNS9_4plusIsEEsEEDaPvRmT3_T4_T5_mT6_P12ihipStream_tbENKUlT_T0_E_clISt17integral_constantIbLb0EESU_EEDaSP_SQ_EUlSP_E0_NS1_11comp_targetILNS1_3genE0ELNS1_11target_archE4294967295ELNS1_3gpuE0ELNS1_3repE0EEENS1_30default_config_static_selectorELNS0_4arch9wavefront6targetE1EEEvT1_.kd
    .uniform_work_group_size: 1
    .uses_dynamic_stack: false
    .vgpr_count:     0
    .vgpr_spill_count: 0
    .wavefront_size: 64
  - .agpr_count:     0
    .args:
      - .offset:         0
        .size:           32
        .value_kind:     by_value
    .group_segment_fixed_size: 0
    .kernarg_segment_align: 8
    .kernarg_segment_size: 32
    .language:       OpenCL C
    .language_version:
      - 2
      - 0
    .max_flat_workgroup_size: 256
    .name:           _ZN7rocprim17ROCPRIM_400000_NS6detail17trampoline_kernelINS0_14default_configENS1_20scan_config_selectorIsEEZZNS1_9scan_implILNS1_25lookback_scan_determinismE0ELb0ELb0ES3_N6thrust23THRUST_200600_302600_NS6detail15normal_iteratorINS9_10device_ptrIsEEEESE_sNS9_4plusIsEEsEEDaPvRmT3_T4_T5_mT6_P12ihipStream_tbENKUlT_T0_E_clISt17integral_constantIbLb0EESU_EEDaSP_SQ_EUlSP_E0_NS1_11comp_targetILNS1_3genE5ELNS1_11target_archE942ELNS1_3gpuE9ELNS1_3repE0EEENS1_30default_config_static_selectorELNS0_4arch9wavefront6targetE1EEEvT1_
    .private_segment_fixed_size: 0
    .sgpr_count:     4
    .sgpr_spill_count: 0
    .symbol:         _ZN7rocprim17ROCPRIM_400000_NS6detail17trampoline_kernelINS0_14default_configENS1_20scan_config_selectorIsEEZZNS1_9scan_implILNS1_25lookback_scan_determinismE0ELb0ELb0ES3_N6thrust23THRUST_200600_302600_NS6detail15normal_iteratorINS9_10device_ptrIsEEEESE_sNS9_4plusIsEEsEEDaPvRmT3_T4_T5_mT6_P12ihipStream_tbENKUlT_T0_E_clISt17integral_constantIbLb0EESU_EEDaSP_SQ_EUlSP_E0_NS1_11comp_targetILNS1_3genE5ELNS1_11target_archE942ELNS1_3gpuE9ELNS1_3repE0EEENS1_30default_config_static_selectorELNS0_4arch9wavefront6targetE1EEEvT1_.kd
    .uniform_work_group_size: 1
    .uses_dynamic_stack: false
    .vgpr_count:     0
    .vgpr_spill_count: 0
    .wavefront_size: 64
  - .agpr_count:     0
    .args:
      - .offset:         0
        .size:           32
        .value_kind:     by_value
    .group_segment_fixed_size: 3072
    .kernarg_segment_align: 8
    .kernarg_segment_size: 32
    .language:       OpenCL C
    .language_version:
      - 2
      - 0
    .max_flat_workgroup_size: 64
    .name:           _ZN7rocprim17ROCPRIM_400000_NS6detail17trampoline_kernelINS0_14default_configENS1_20scan_config_selectorIsEEZZNS1_9scan_implILNS1_25lookback_scan_determinismE0ELb0ELb0ES3_N6thrust23THRUST_200600_302600_NS6detail15normal_iteratorINS9_10device_ptrIsEEEESE_sNS9_4plusIsEEsEEDaPvRmT3_T4_T5_mT6_P12ihipStream_tbENKUlT_T0_E_clISt17integral_constantIbLb0EESU_EEDaSP_SQ_EUlSP_E0_NS1_11comp_targetILNS1_3genE4ELNS1_11target_archE910ELNS1_3gpuE8ELNS1_3repE0EEENS1_30default_config_static_selectorELNS0_4arch9wavefront6targetE1EEEvT1_
    .private_segment_fixed_size: 0
    .sgpr_count:     60
    .sgpr_spill_count: 0
    .symbol:         _ZN7rocprim17ROCPRIM_400000_NS6detail17trampoline_kernelINS0_14default_configENS1_20scan_config_selectorIsEEZZNS1_9scan_implILNS1_25lookback_scan_determinismE0ELb0ELb0ES3_N6thrust23THRUST_200600_302600_NS6detail15normal_iteratorINS9_10device_ptrIsEEEESE_sNS9_4plusIsEEsEEDaPvRmT3_T4_T5_mT6_P12ihipStream_tbENKUlT_T0_E_clISt17integral_constantIbLb0EESU_EEDaSP_SQ_EUlSP_E0_NS1_11comp_targetILNS1_3genE4ELNS1_11target_archE910ELNS1_3gpuE8ELNS1_3repE0EEENS1_30default_config_static_selectorELNS0_4arch9wavefront6targetE1EEEvT1_.kd
    .uniform_work_group_size: 1
    .uses_dynamic_stack: false
    .vgpr_count:     42
    .vgpr_spill_count: 0
    .wavefront_size: 64
  - .agpr_count:     0
    .args:
      - .offset:         0
        .size:           32
        .value_kind:     by_value
    .group_segment_fixed_size: 0
    .kernarg_segment_align: 8
    .kernarg_segment_size: 32
    .language:       OpenCL C
    .language_version:
      - 2
      - 0
    .max_flat_workgroup_size: 128
    .name:           _ZN7rocprim17ROCPRIM_400000_NS6detail17trampoline_kernelINS0_14default_configENS1_20scan_config_selectorIsEEZZNS1_9scan_implILNS1_25lookback_scan_determinismE0ELb0ELb0ES3_N6thrust23THRUST_200600_302600_NS6detail15normal_iteratorINS9_10device_ptrIsEEEESE_sNS9_4plusIsEEsEEDaPvRmT3_T4_T5_mT6_P12ihipStream_tbENKUlT_T0_E_clISt17integral_constantIbLb0EESU_EEDaSP_SQ_EUlSP_E0_NS1_11comp_targetILNS1_3genE3ELNS1_11target_archE908ELNS1_3gpuE7ELNS1_3repE0EEENS1_30default_config_static_selectorELNS0_4arch9wavefront6targetE1EEEvT1_
    .private_segment_fixed_size: 0
    .sgpr_count:     4
    .sgpr_spill_count: 0
    .symbol:         _ZN7rocprim17ROCPRIM_400000_NS6detail17trampoline_kernelINS0_14default_configENS1_20scan_config_selectorIsEEZZNS1_9scan_implILNS1_25lookback_scan_determinismE0ELb0ELb0ES3_N6thrust23THRUST_200600_302600_NS6detail15normal_iteratorINS9_10device_ptrIsEEEESE_sNS9_4plusIsEEsEEDaPvRmT3_T4_T5_mT6_P12ihipStream_tbENKUlT_T0_E_clISt17integral_constantIbLb0EESU_EEDaSP_SQ_EUlSP_E0_NS1_11comp_targetILNS1_3genE3ELNS1_11target_archE908ELNS1_3gpuE7ELNS1_3repE0EEENS1_30default_config_static_selectorELNS0_4arch9wavefront6targetE1EEEvT1_.kd
    .uniform_work_group_size: 1
    .uses_dynamic_stack: false
    .vgpr_count:     0
    .vgpr_spill_count: 0
    .wavefront_size: 64
  - .agpr_count:     0
    .args:
      - .offset:         0
        .size:           32
        .value_kind:     by_value
    .group_segment_fixed_size: 0
    .kernarg_segment_align: 8
    .kernarg_segment_size: 32
    .language:       OpenCL C
    .language_version:
      - 2
      - 0
    .max_flat_workgroup_size: 256
    .name:           _ZN7rocprim17ROCPRIM_400000_NS6detail17trampoline_kernelINS0_14default_configENS1_20scan_config_selectorIsEEZZNS1_9scan_implILNS1_25lookback_scan_determinismE0ELb0ELb0ES3_N6thrust23THRUST_200600_302600_NS6detail15normal_iteratorINS9_10device_ptrIsEEEESE_sNS9_4plusIsEEsEEDaPvRmT3_T4_T5_mT6_P12ihipStream_tbENKUlT_T0_E_clISt17integral_constantIbLb0EESU_EEDaSP_SQ_EUlSP_E0_NS1_11comp_targetILNS1_3genE2ELNS1_11target_archE906ELNS1_3gpuE6ELNS1_3repE0EEENS1_30default_config_static_selectorELNS0_4arch9wavefront6targetE1EEEvT1_
    .private_segment_fixed_size: 0
    .sgpr_count:     4
    .sgpr_spill_count: 0
    .symbol:         _ZN7rocprim17ROCPRIM_400000_NS6detail17trampoline_kernelINS0_14default_configENS1_20scan_config_selectorIsEEZZNS1_9scan_implILNS1_25lookback_scan_determinismE0ELb0ELb0ES3_N6thrust23THRUST_200600_302600_NS6detail15normal_iteratorINS9_10device_ptrIsEEEESE_sNS9_4plusIsEEsEEDaPvRmT3_T4_T5_mT6_P12ihipStream_tbENKUlT_T0_E_clISt17integral_constantIbLb0EESU_EEDaSP_SQ_EUlSP_E0_NS1_11comp_targetILNS1_3genE2ELNS1_11target_archE906ELNS1_3gpuE6ELNS1_3repE0EEENS1_30default_config_static_selectorELNS0_4arch9wavefront6targetE1EEEvT1_.kd
    .uniform_work_group_size: 1
    .uses_dynamic_stack: false
    .vgpr_count:     0
    .vgpr_spill_count: 0
    .wavefront_size: 64
  - .agpr_count:     0
    .args:
      - .offset:         0
        .size:           32
        .value_kind:     by_value
    .group_segment_fixed_size: 0
    .kernarg_segment_align: 8
    .kernarg_segment_size: 32
    .language:       OpenCL C
    .language_version:
      - 2
      - 0
    .max_flat_workgroup_size: 256
    .name:           _ZN7rocprim17ROCPRIM_400000_NS6detail17trampoline_kernelINS0_14default_configENS1_20scan_config_selectorIsEEZZNS1_9scan_implILNS1_25lookback_scan_determinismE0ELb0ELb0ES3_N6thrust23THRUST_200600_302600_NS6detail15normal_iteratorINS9_10device_ptrIsEEEESE_sNS9_4plusIsEEsEEDaPvRmT3_T4_T5_mT6_P12ihipStream_tbENKUlT_T0_E_clISt17integral_constantIbLb0EESU_EEDaSP_SQ_EUlSP_E0_NS1_11comp_targetILNS1_3genE10ELNS1_11target_archE1201ELNS1_3gpuE5ELNS1_3repE0EEENS1_30default_config_static_selectorELNS0_4arch9wavefront6targetE1EEEvT1_
    .private_segment_fixed_size: 0
    .sgpr_count:     4
    .sgpr_spill_count: 0
    .symbol:         _ZN7rocprim17ROCPRIM_400000_NS6detail17trampoline_kernelINS0_14default_configENS1_20scan_config_selectorIsEEZZNS1_9scan_implILNS1_25lookback_scan_determinismE0ELb0ELb0ES3_N6thrust23THRUST_200600_302600_NS6detail15normal_iteratorINS9_10device_ptrIsEEEESE_sNS9_4plusIsEEsEEDaPvRmT3_T4_T5_mT6_P12ihipStream_tbENKUlT_T0_E_clISt17integral_constantIbLb0EESU_EEDaSP_SQ_EUlSP_E0_NS1_11comp_targetILNS1_3genE10ELNS1_11target_archE1201ELNS1_3gpuE5ELNS1_3repE0EEENS1_30default_config_static_selectorELNS0_4arch9wavefront6targetE1EEEvT1_.kd
    .uniform_work_group_size: 1
    .uses_dynamic_stack: false
    .vgpr_count:     0
    .vgpr_spill_count: 0
    .wavefront_size: 64
  - .agpr_count:     0
    .args:
      - .offset:         0
        .size:           32
        .value_kind:     by_value
    .group_segment_fixed_size: 0
    .kernarg_segment_align: 8
    .kernarg_segment_size: 32
    .language:       OpenCL C
    .language_version:
      - 2
      - 0
    .max_flat_workgroup_size: 256
    .name:           _ZN7rocprim17ROCPRIM_400000_NS6detail17trampoline_kernelINS0_14default_configENS1_20scan_config_selectorIsEEZZNS1_9scan_implILNS1_25lookback_scan_determinismE0ELb0ELb0ES3_N6thrust23THRUST_200600_302600_NS6detail15normal_iteratorINS9_10device_ptrIsEEEESE_sNS9_4plusIsEEsEEDaPvRmT3_T4_T5_mT6_P12ihipStream_tbENKUlT_T0_E_clISt17integral_constantIbLb0EESU_EEDaSP_SQ_EUlSP_E0_NS1_11comp_targetILNS1_3genE10ELNS1_11target_archE1200ELNS1_3gpuE4ELNS1_3repE0EEENS1_30default_config_static_selectorELNS0_4arch9wavefront6targetE1EEEvT1_
    .private_segment_fixed_size: 0
    .sgpr_count:     4
    .sgpr_spill_count: 0
    .symbol:         _ZN7rocprim17ROCPRIM_400000_NS6detail17trampoline_kernelINS0_14default_configENS1_20scan_config_selectorIsEEZZNS1_9scan_implILNS1_25lookback_scan_determinismE0ELb0ELb0ES3_N6thrust23THRUST_200600_302600_NS6detail15normal_iteratorINS9_10device_ptrIsEEEESE_sNS9_4plusIsEEsEEDaPvRmT3_T4_T5_mT6_P12ihipStream_tbENKUlT_T0_E_clISt17integral_constantIbLb0EESU_EEDaSP_SQ_EUlSP_E0_NS1_11comp_targetILNS1_3genE10ELNS1_11target_archE1200ELNS1_3gpuE4ELNS1_3repE0EEENS1_30default_config_static_selectorELNS0_4arch9wavefront6targetE1EEEvT1_.kd
    .uniform_work_group_size: 1
    .uses_dynamic_stack: false
    .vgpr_count:     0
    .vgpr_spill_count: 0
    .wavefront_size: 64
  - .agpr_count:     0
    .args:
      - .offset:         0
        .size:           32
        .value_kind:     by_value
    .group_segment_fixed_size: 0
    .kernarg_segment_align: 8
    .kernarg_segment_size: 32
    .language:       OpenCL C
    .language_version:
      - 2
      - 0
    .max_flat_workgroup_size: 64
    .name:           _ZN7rocprim17ROCPRIM_400000_NS6detail17trampoline_kernelINS0_14default_configENS1_20scan_config_selectorIsEEZZNS1_9scan_implILNS1_25lookback_scan_determinismE0ELb0ELb0ES3_N6thrust23THRUST_200600_302600_NS6detail15normal_iteratorINS9_10device_ptrIsEEEESE_sNS9_4plusIsEEsEEDaPvRmT3_T4_T5_mT6_P12ihipStream_tbENKUlT_T0_E_clISt17integral_constantIbLb0EESU_EEDaSP_SQ_EUlSP_E0_NS1_11comp_targetILNS1_3genE9ELNS1_11target_archE1100ELNS1_3gpuE3ELNS1_3repE0EEENS1_30default_config_static_selectorELNS0_4arch9wavefront6targetE1EEEvT1_
    .private_segment_fixed_size: 0
    .sgpr_count:     4
    .sgpr_spill_count: 0
    .symbol:         _ZN7rocprim17ROCPRIM_400000_NS6detail17trampoline_kernelINS0_14default_configENS1_20scan_config_selectorIsEEZZNS1_9scan_implILNS1_25lookback_scan_determinismE0ELb0ELb0ES3_N6thrust23THRUST_200600_302600_NS6detail15normal_iteratorINS9_10device_ptrIsEEEESE_sNS9_4plusIsEEsEEDaPvRmT3_T4_T5_mT6_P12ihipStream_tbENKUlT_T0_E_clISt17integral_constantIbLb0EESU_EEDaSP_SQ_EUlSP_E0_NS1_11comp_targetILNS1_3genE9ELNS1_11target_archE1100ELNS1_3gpuE3ELNS1_3repE0EEENS1_30default_config_static_selectorELNS0_4arch9wavefront6targetE1EEEvT1_.kd
    .uniform_work_group_size: 1
    .uses_dynamic_stack: false
    .vgpr_count:     0
    .vgpr_spill_count: 0
    .wavefront_size: 64
  - .agpr_count:     0
    .args:
      - .offset:         0
        .size:           32
        .value_kind:     by_value
    .group_segment_fixed_size: 0
    .kernarg_segment_align: 8
    .kernarg_segment_size: 32
    .language:       OpenCL C
    .language_version:
      - 2
      - 0
    .max_flat_workgroup_size: 64
    .name:           _ZN7rocprim17ROCPRIM_400000_NS6detail17trampoline_kernelINS0_14default_configENS1_20scan_config_selectorIsEEZZNS1_9scan_implILNS1_25lookback_scan_determinismE0ELb0ELb0ES3_N6thrust23THRUST_200600_302600_NS6detail15normal_iteratorINS9_10device_ptrIsEEEESE_sNS9_4plusIsEEsEEDaPvRmT3_T4_T5_mT6_P12ihipStream_tbENKUlT_T0_E_clISt17integral_constantIbLb0EESU_EEDaSP_SQ_EUlSP_E0_NS1_11comp_targetILNS1_3genE8ELNS1_11target_archE1030ELNS1_3gpuE2ELNS1_3repE0EEENS1_30default_config_static_selectorELNS0_4arch9wavefront6targetE1EEEvT1_
    .private_segment_fixed_size: 0
    .sgpr_count:     4
    .sgpr_spill_count: 0
    .symbol:         _ZN7rocprim17ROCPRIM_400000_NS6detail17trampoline_kernelINS0_14default_configENS1_20scan_config_selectorIsEEZZNS1_9scan_implILNS1_25lookback_scan_determinismE0ELb0ELb0ES3_N6thrust23THRUST_200600_302600_NS6detail15normal_iteratorINS9_10device_ptrIsEEEESE_sNS9_4plusIsEEsEEDaPvRmT3_T4_T5_mT6_P12ihipStream_tbENKUlT_T0_E_clISt17integral_constantIbLb0EESU_EEDaSP_SQ_EUlSP_E0_NS1_11comp_targetILNS1_3genE8ELNS1_11target_archE1030ELNS1_3gpuE2ELNS1_3repE0EEENS1_30default_config_static_selectorELNS0_4arch9wavefront6targetE1EEEvT1_.kd
    .uniform_work_group_size: 1
    .uses_dynamic_stack: false
    .vgpr_count:     0
    .vgpr_spill_count: 0
    .wavefront_size: 64
  - .agpr_count:     0
    .args:
      - .offset:         0
        .size:           96
        .value_kind:     by_value
    .group_segment_fixed_size: 0
    .kernarg_segment_align: 8
    .kernarg_segment_size: 96
    .language:       OpenCL C
    .language_version:
      - 2
      - 0
    .max_flat_workgroup_size: 128
    .name:           _ZN7rocprim17ROCPRIM_400000_NS6detail17trampoline_kernelINS0_14default_configENS1_20scan_config_selectorIsEEZZNS1_9scan_implILNS1_25lookback_scan_determinismE0ELb0ELb0ES3_N6thrust23THRUST_200600_302600_NS6detail15normal_iteratorINS9_10device_ptrIsEEEESE_sNS9_4plusIsEEsEEDaPvRmT3_T4_T5_mT6_P12ihipStream_tbENKUlT_T0_E_clISt17integral_constantIbLb1EESU_EEDaSP_SQ_EUlSP_E_NS1_11comp_targetILNS1_3genE0ELNS1_11target_archE4294967295ELNS1_3gpuE0ELNS1_3repE0EEENS1_30default_config_static_selectorELNS0_4arch9wavefront6targetE1EEEvT1_
    .private_segment_fixed_size: 0
    .sgpr_count:     4
    .sgpr_spill_count: 0
    .symbol:         _ZN7rocprim17ROCPRIM_400000_NS6detail17trampoline_kernelINS0_14default_configENS1_20scan_config_selectorIsEEZZNS1_9scan_implILNS1_25lookback_scan_determinismE0ELb0ELb0ES3_N6thrust23THRUST_200600_302600_NS6detail15normal_iteratorINS9_10device_ptrIsEEEESE_sNS9_4plusIsEEsEEDaPvRmT3_T4_T5_mT6_P12ihipStream_tbENKUlT_T0_E_clISt17integral_constantIbLb1EESU_EEDaSP_SQ_EUlSP_E_NS1_11comp_targetILNS1_3genE0ELNS1_11target_archE4294967295ELNS1_3gpuE0ELNS1_3repE0EEENS1_30default_config_static_selectorELNS0_4arch9wavefront6targetE1EEEvT1_.kd
    .uniform_work_group_size: 1
    .uses_dynamic_stack: false
    .vgpr_count:     0
    .vgpr_spill_count: 0
    .wavefront_size: 64
  - .agpr_count:     0
    .args:
      - .offset:         0
        .size:           96
        .value_kind:     by_value
    .group_segment_fixed_size: 0
    .kernarg_segment_align: 8
    .kernarg_segment_size: 96
    .language:       OpenCL C
    .language_version:
      - 2
      - 0
    .max_flat_workgroup_size: 256
    .name:           _ZN7rocprim17ROCPRIM_400000_NS6detail17trampoline_kernelINS0_14default_configENS1_20scan_config_selectorIsEEZZNS1_9scan_implILNS1_25lookback_scan_determinismE0ELb0ELb0ES3_N6thrust23THRUST_200600_302600_NS6detail15normal_iteratorINS9_10device_ptrIsEEEESE_sNS9_4plusIsEEsEEDaPvRmT3_T4_T5_mT6_P12ihipStream_tbENKUlT_T0_E_clISt17integral_constantIbLb1EESU_EEDaSP_SQ_EUlSP_E_NS1_11comp_targetILNS1_3genE5ELNS1_11target_archE942ELNS1_3gpuE9ELNS1_3repE0EEENS1_30default_config_static_selectorELNS0_4arch9wavefront6targetE1EEEvT1_
    .private_segment_fixed_size: 0
    .sgpr_count:     4
    .sgpr_spill_count: 0
    .symbol:         _ZN7rocprim17ROCPRIM_400000_NS6detail17trampoline_kernelINS0_14default_configENS1_20scan_config_selectorIsEEZZNS1_9scan_implILNS1_25lookback_scan_determinismE0ELb0ELb0ES3_N6thrust23THRUST_200600_302600_NS6detail15normal_iteratorINS9_10device_ptrIsEEEESE_sNS9_4plusIsEEsEEDaPvRmT3_T4_T5_mT6_P12ihipStream_tbENKUlT_T0_E_clISt17integral_constantIbLb1EESU_EEDaSP_SQ_EUlSP_E_NS1_11comp_targetILNS1_3genE5ELNS1_11target_archE942ELNS1_3gpuE9ELNS1_3repE0EEENS1_30default_config_static_selectorELNS0_4arch9wavefront6targetE1EEEvT1_.kd
    .uniform_work_group_size: 1
    .uses_dynamic_stack: false
    .vgpr_count:     0
    .vgpr_spill_count: 0
    .wavefront_size: 64
  - .agpr_count:     0
    .args:
      - .offset:         0
        .size:           96
        .value_kind:     by_value
    .group_segment_fixed_size: 3072
    .kernarg_segment_align: 8
    .kernarg_segment_size: 96
    .language:       OpenCL C
    .language_version:
      - 2
      - 0
    .max_flat_workgroup_size: 64
    .name:           _ZN7rocprim17ROCPRIM_400000_NS6detail17trampoline_kernelINS0_14default_configENS1_20scan_config_selectorIsEEZZNS1_9scan_implILNS1_25lookback_scan_determinismE0ELb0ELb0ES3_N6thrust23THRUST_200600_302600_NS6detail15normal_iteratorINS9_10device_ptrIsEEEESE_sNS9_4plusIsEEsEEDaPvRmT3_T4_T5_mT6_P12ihipStream_tbENKUlT_T0_E_clISt17integral_constantIbLb1EESU_EEDaSP_SQ_EUlSP_E_NS1_11comp_targetILNS1_3genE4ELNS1_11target_archE910ELNS1_3gpuE8ELNS1_3repE0EEENS1_30default_config_static_selectorELNS0_4arch9wavefront6targetE1EEEvT1_
    .private_segment_fixed_size: 0
    .sgpr_count:     42
    .sgpr_spill_count: 0
    .symbol:         _ZN7rocprim17ROCPRIM_400000_NS6detail17trampoline_kernelINS0_14default_configENS1_20scan_config_selectorIsEEZZNS1_9scan_implILNS1_25lookback_scan_determinismE0ELb0ELb0ES3_N6thrust23THRUST_200600_302600_NS6detail15normal_iteratorINS9_10device_ptrIsEEEESE_sNS9_4plusIsEEsEEDaPvRmT3_T4_T5_mT6_P12ihipStream_tbENKUlT_T0_E_clISt17integral_constantIbLb1EESU_EEDaSP_SQ_EUlSP_E_NS1_11comp_targetILNS1_3genE4ELNS1_11target_archE910ELNS1_3gpuE8ELNS1_3repE0EEENS1_30default_config_static_selectorELNS0_4arch9wavefront6targetE1EEEvT1_.kd
    .uniform_work_group_size: 1
    .uses_dynamic_stack: false
    .vgpr_count:     54
    .vgpr_spill_count: 0
    .wavefront_size: 64
  - .agpr_count:     0
    .args:
      - .offset:         0
        .size:           96
        .value_kind:     by_value
    .group_segment_fixed_size: 0
    .kernarg_segment_align: 8
    .kernarg_segment_size: 96
    .language:       OpenCL C
    .language_version:
      - 2
      - 0
    .max_flat_workgroup_size: 128
    .name:           _ZN7rocprim17ROCPRIM_400000_NS6detail17trampoline_kernelINS0_14default_configENS1_20scan_config_selectorIsEEZZNS1_9scan_implILNS1_25lookback_scan_determinismE0ELb0ELb0ES3_N6thrust23THRUST_200600_302600_NS6detail15normal_iteratorINS9_10device_ptrIsEEEESE_sNS9_4plusIsEEsEEDaPvRmT3_T4_T5_mT6_P12ihipStream_tbENKUlT_T0_E_clISt17integral_constantIbLb1EESU_EEDaSP_SQ_EUlSP_E_NS1_11comp_targetILNS1_3genE3ELNS1_11target_archE908ELNS1_3gpuE7ELNS1_3repE0EEENS1_30default_config_static_selectorELNS0_4arch9wavefront6targetE1EEEvT1_
    .private_segment_fixed_size: 0
    .sgpr_count:     4
    .sgpr_spill_count: 0
    .symbol:         _ZN7rocprim17ROCPRIM_400000_NS6detail17trampoline_kernelINS0_14default_configENS1_20scan_config_selectorIsEEZZNS1_9scan_implILNS1_25lookback_scan_determinismE0ELb0ELb0ES3_N6thrust23THRUST_200600_302600_NS6detail15normal_iteratorINS9_10device_ptrIsEEEESE_sNS9_4plusIsEEsEEDaPvRmT3_T4_T5_mT6_P12ihipStream_tbENKUlT_T0_E_clISt17integral_constantIbLb1EESU_EEDaSP_SQ_EUlSP_E_NS1_11comp_targetILNS1_3genE3ELNS1_11target_archE908ELNS1_3gpuE7ELNS1_3repE0EEENS1_30default_config_static_selectorELNS0_4arch9wavefront6targetE1EEEvT1_.kd
    .uniform_work_group_size: 1
    .uses_dynamic_stack: false
    .vgpr_count:     0
    .vgpr_spill_count: 0
    .wavefront_size: 64
  - .agpr_count:     0
    .args:
      - .offset:         0
        .size:           96
        .value_kind:     by_value
    .group_segment_fixed_size: 0
    .kernarg_segment_align: 8
    .kernarg_segment_size: 96
    .language:       OpenCL C
    .language_version:
      - 2
      - 0
    .max_flat_workgroup_size: 256
    .name:           _ZN7rocprim17ROCPRIM_400000_NS6detail17trampoline_kernelINS0_14default_configENS1_20scan_config_selectorIsEEZZNS1_9scan_implILNS1_25lookback_scan_determinismE0ELb0ELb0ES3_N6thrust23THRUST_200600_302600_NS6detail15normal_iteratorINS9_10device_ptrIsEEEESE_sNS9_4plusIsEEsEEDaPvRmT3_T4_T5_mT6_P12ihipStream_tbENKUlT_T0_E_clISt17integral_constantIbLb1EESU_EEDaSP_SQ_EUlSP_E_NS1_11comp_targetILNS1_3genE2ELNS1_11target_archE906ELNS1_3gpuE6ELNS1_3repE0EEENS1_30default_config_static_selectorELNS0_4arch9wavefront6targetE1EEEvT1_
    .private_segment_fixed_size: 0
    .sgpr_count:     4
    .sgpr_spill_count: 0
    .symbol:         _ZN7rocprim17ROCPRIM_400000_NS6detail17trampoline_kernelINS0_14default_configENS1_20scan_config_selectorIsEEZZNS1_9scan_implILNS1_25lookback_scan_determinismE0ELb0ELb0ES3_N6thrust23THRUST_200600_302600_NS6detail15normal_iteratorINS9_10device_ptrIsEEEESE_sNS9_4plusIsEEsEEDaPvRmT3_T4_T5_mT6_P12ihipStream_tbENKUlT_T0_E_clISt17integral_constantIbLb1EESU_EEDaSP_SQ_EUlSP_E_NS1_11comp_targetILNS1_3genE2ELNS1_11target_archE906ELNS1_3gpuE6ELNS1_3repE0EEENS1_30default_config_static_selectorELNS0_4arch9wavefront6targetE1EEEvT1_.kd
    .uniform_work_group_size: 1
    .uses_dynamic_stack: false
    .vgpr_count:     0
    .vgpr_spill_count: 0
    .wavefront_size: 64
  - .agpr_count:     0
    .args:
      - .offset:         0
        .size:           96
        .value_kind:     by_value
    .group_segment_fixed_size: 0
    .kernarg_segment_align: 8
    .kernarg_segment_size: 96
    .language:       OpenCL C
    .language_version:
      - 2
      - 0
    .max_flat_workgroup_size: 256
    .name:           _ZN7rocprim17ROCPRIM_400000_NS6detail17trampoline_kernelINS0_14default_configENS1_20scan_config_selectorIsEEZZNS1_9scan_implILNS1_25lookback_scan_determinismE0ELb0ELb0ES3_N6thrust23THRUST_200600_302600_NS6detail15normal_iteratorINS9_10device_ptrIsEEEESE_sNS9_4plusIsEEsEEDaPvRmT3_T4_T5_mT6_P12ihipStream_tbENKUlT_T0_E_clISt17integral_constantIbLb1EESU_EEDaSP_SQ_EUlSP_E_NS1_11comp_targetILNS1_3genE10ELNS1_11target_archE1201ELNS1_3gpuE5ELNS1_3repE0EEENS1_30default_config_static_selectorELNS0_4arch9wavefront6targetE1EEEvT1_
    .private_segment_fixed_size: 0
    .sgpr_count:     4
    .sgpr_spill_count: 0
    .symbol:         _ZN7rocprim17ROCPRIM_400000_NS6detail17trampoline_kernelINS0_14default_configENS1_20scan_config_selectorIsEEZZNS1_9scan_implILNS1_25lookback_scan_determinismE0ELb0ELb0ES3_N6thrust23THRUST_200600_302600_NS6detail15normal_iteratorINS9_10device_ptrIsEEEESE_sNS9_4plusIsEEsEEDaPvRmT3_T4_T5_mT6_P12ihipStream_tbENKUlT_T0_E_clISt17integral_constantIbLb1EESU_EEDaSP_SQ_EUlSP_E_NS1_11comp_targetILNS1_3genE10ELNS1_11target_archE1201ELNS1_3gpuE5ELNS1_3repE0EEENS1_30default_config_static_selectorELNS0_4arch9wavefront6targetE1EEEvT1_.kd
    .uniform_work_group_size: 1
    .uses_dynamic_stack: false
    .vgpr_count:     0
    .vgpr_spill_count: 0
    .wavefront_size: 64
  - .agpr_count:     0
    .args:
      - .offset:         0
        .size:           96
        .value_kind:     by_value
    .group_segment_fixed_size: 0
    .kernarg_segment_align: 8
    .kernarg_segment_size: 96
    .language:       OpenCL C
    .language_version:
      - 2
      - 0
    .max_flat_workgroup_size: 256
    .name:           _ZN7rocprim17ROCPRIM_400000_NS6detail17trampoline_kernelINS0_14default_configENS1_20scan_config_selectorIsEEZZNS1_9scan_implILNS1_25lookback_scan_determinismE0ELb0ELb0ES3_N6thrust23THRUST_200600_302600_NS6detail15normal_iteratorINS9_10device_ptrIsEEEESE_sNS9_4plusIsEEsEEDaPvRmT3_T4_T5_mT6_P12ihipStream_tbENKUlT_T0_E_clISt17integral_constantIbLb1EESU_EEDaSP_SQ_EUlSP_E_NS1_11comp_targetILNS1_3genE10ELNS1_11target_archE1200ELNS1_3gpuE4ELNS1_3repE0EEENS1_30default_config_static_selectorELNS0_4arch9wavefront6targetE1EEEvT1_
    .private_segment_fixed_size: 0
    .sgpr_count:     4
    .sgpr_spill_count: 0
    .symbol:         _ZN7rocprim17ROCPRIM_400000_NS6detail17trampoline_kernelINS0_14default_configENS1_20scan_config_selectorIsEEZZNS1_9scan_implILNS1_25lookback_scan_determinismE0ELb0ELb0ES3_N6thrust23THRUST_200600_302600_NS6detail15normal_iteratorINS9_10device_ptrIsEEEESE_sNS9_4plusIsEEsEEDaPvRmT3_T4_T5_mT6_P12ihipStream_tbENKUlT_T0_E_clISt17integral_constantIbLb1EESU_EEDaSP_SQ_EUlSP_E_NS1_11comp_targetILNS1_3genE10ELNS1_11target_archE1200ELNS1_3gpuE4ELNS1_3repE0EEENS1_30default_config_static_selectorELNS0_4arch9wavefront6targetE1EEEvT1_.kd
    .uniform_work_group_size: 1
    .uses_dynamic_stack: false
    .vgpr_count:     0
    .vgpr_spill_count: 0
    .wavefront_size: 64
  - .agpr_count:     0
    .args:
      - .offset:         0
        .size:           96
        .value_kind:     by_value
    .group_segment_fixed_size: 0
    .kernarg_segment_align: 8
    .kernarg_segment_size: 96
    .language:       OpenCL C
    .language_version:
      - 2
      - 0
    .max_flat_workgroup_size: 64
    .name:           _ZN7rocprim17ROCPRIM_400000_NS6detail17trampoline_kernelINS0_14default_configENS1_20scan_config_selectorIsEEZZNS1_9scan_implILNS1_25lookback_scan_determinismE0ELb0ELb0ES3_N6thrust23THRUST_200600_302600_NS6detail15normal_iteratorINS9_10device_ptrIsEEEESE_sNS9_4plusIsEEsEEDaPvRmT3_T4_T5_mT6_P12ihipStream_tbENKUlT_T0_E_clISt17integral_constantIbLb1EESU_EEDaSP_SQ_EUlSP_E_NS1_11comp_targetILNS1_3genE9ELNS1_11target_archE1100ELNS1_3gpuE3ELNS1_3repE0EEENS1_30default_config_static_selectorELNS0_4arch9wavefront6targetE1EEEvT1_
    .private_segment_fixed_size: 0
    .sgpr_count:     4
    .sgpr_spill_count: 0
    .symbol:         _ZN7rocprim17ROCPRIM_400000_NS6detail17trampoline_kernelINS0_14default_configENS1_20scan_config_selectorIsEEZZNS1_9scan_implILNS1_25lookback_scan_determinismE0ELb0ELb0ES3_N6thrust23THRUST_200600_302600_NS6detail15normal_iteratorINS9_10device_ptrIsEEEESE_sNS9_4plusIsEEsEEDaPvRmT3_T4_T5_mT6_P12ihipStream_tbENKUlT_T0_E_clISt17integral_constantIbLb1EESU_EEDaSP_SQ_EUlSP_E_NS1_11comp_targetILNS1_3genE9ELNS1_11target_archE1100ELNS1_3gpuE3ELNS1_3repE0EEENS1_30default_config_static_selectorELNS0_4arch9wavefront6targetE1EEEvT1_.kd
    .uniform_work_group_size: 1
    .uses_dynamic_stack: false
    .vgpr_count:     0
    .vgpr_spill_count: 0
    .wavefront_size: 64
  - .agpr_count:     0
    .args:
      - .offset:         0
        .size:           96
        .value_kind:     by_value
    .group_segment_fixed_size: 0
    .kernarg_segment_align: 8
    .kernarg_segment_size: 96
    .language:       OpenCL C
    .language_version:
      - 2
      - 0
    .max_flat_workgroup_size: 64
    .name:           _ZN7rocprim17ROCPRIM_400000_NS6detail17trampoline_kernelINS0_14default_configENS1_20scan_config_selectorIsEEZZNS1_9scan_implILNS1_25lookback_scan_determinismE0ELb0ELb0ES3_N6thrust23THRUST_200600_302600_NS6detail15normal_iteratorINS9_10device_ptrIsEEEESE_sNS9_4plusIsEEsEEDaPvRmT3_T4_T5_mT6_P12ihipStream_tbENKUlT_T0_E_clISt17integral_constantIbLb1EESU_EEDaSP_SQ_EUlSP_E_NS1_11comp_targetILNS1_3genE8ELNS1_11target_archE1030ELNS1_3gpuE2ELNS1_3repE0EEENS1_30default_config_static_selectorELNS0_4arch9wavefront6targetE1EEEvT1_
    .private_segment_fixed_size: 0
    .sgpr_count:     4
    .sgpr_spill_count: 0
    .symbol:         _ZN7rocprim17ROCPRIM_400000_NS6detail17trampoline_kernelINS0_14default_configENS1_20scan_config_selectorIsEEZZNS1_9scan_implILNS1_25lookback_scan_determinismE0ELb0ELb0ES3_N6thrust23THRUST_200600_302600_NS6detail15normal_iteratorINS9_10device_ptrIsEEEESE_sNS9_4plusIsEEsEEDaPvRmT3_T4_T5_mT6_P12ihipStream_tbENKUlT_T0_E_clISt17integral_constantIbLb1EESU_EEDaSP_SQ_EUlSP_E_NS1_11comp_targetILNS1_3genE8ELNS1_11target_archE1030ELNS1_3gpuE2ELNS1_3repE0EEENS1_30default_config_static_selectorELNS0_4arch9wavefront6targetE1EEEvT1_.kd
    .uniform_work_group_size: 1
    .uses_dynamic_stack: false
    .vgpr_count:     0
    .vgpr_spill_count: 0
    .wavefront_size: 64
  - .agpr_count:     0
    .args:
      - .offset:         0
        .size:           32
        .value_kind:     by_value
    .group_segment_fixed_size: 0
    .kernarg_segment_align: 8
    .kernarg_segment_size: 32
    .language:       OpenCL C
    .language_version:
      - 2
      - 0
    .max_flat_workgroup_size: 128
    .name:           _ZN7rocprim17ROCPRIM_400000_NS6detail17trampoline_kernelINS0_14default_configENS1_20scan_config_selectorIsEEZZNS1_9scan_implILNS1_25lookback_scan_determinismE0ELb0ELb0ES3_N6thrust23THRUST_200600_302600_NS6detail15normal_iteratorINS9_10device_ptrIsEEEESE_sNS9_4plusIsEEsEEDaPvRmT3_T4_T5_mT6_P12ihipStream_tbENKUlT_T0_E_clISt17integral_constantIbLb1EESU_EEDaSP_SQ_EUlSP_E0_NS1_11comp_targetILNS1_3genE0ELNS1_11target_archE4294967295ELNS1_3gpuE0ELNS1_3repE0EEENS1_30default_config_static_selectorELNS0_4arch9wavefront6targetE1EEEvT1_
    .private_segment_fixed_size: 0
    .sgpr_count:     4
    .sgpr_spill_count: 0
    .symbol:         _ZN7rocprim17ROCPRIM_400000_NS6detail17trampoline_kernelINS0_14default_configENS1_20scan_config_selectorIsEEZZNS1_9scan_implILNS1_25lookback_scan_determinismE0ELb0ELb0ES3_N6thrust23THRUST_200600_302600_NS6detail15normal_iteratorINS9_10device_ptrIsEEEESE_sNS9_4plusIsEEsEEDaPvRmT3_T4_T5_mT6_P12ihipStream_tbENKUlT_T0_E_clISt17integral_constantIbLb1EESU_EEDaSP_SQ_EUlSP_E0_NS1_11comp_targetILNS1_3genE0ELNS1_11target_archE4294967295ELNS1_3gpuE0ELNS1_3repE0EEENS1_30default_config_static_selectorELNS0_4arch9wavefront6targetE1EEEvT1_.kd
    .uniform_work_group_size: 1
    .uses_dynamic_stack: false
    .vgpr_count:     0
    .vgpr_spill_count: 0
    .wavefront_size: 64
  - .agpr_count:     0
    .args:
      - .offset:         0
        .size:           32
        .value_kind:     by_value
    .group_segment_fixed_size: 0
    .kernarg_segment_align: 8
    .kernarg_segment_size: 32
    .language:       OpenCL C
    .language_version:
      - 2
      - 0
    .max_flat_workgroup_size: 256
    .name:           _ZN7rocprim17ROCPRIM_400000_NS6detail17trampoline_kernelINS0_14default_configENS1_20scan_config_selectorIsEEZZNS1_9scan_implILNS1_25lookback_scan_determinismE0ELb0ELb0ES3_N6thrust23THRUST_200600_302600_NS6detail15normal_iteratorINS9_10device_ptrIsEEEESE_sNS9_4plusIsEEsEEDaPvRmT3_T4_T5_mT6_P12ihipStream_tbENKUlT_T0_E_clISt17integral_constantIbLb1EESU_EEDaSP_SQ_EUlSP_E0_NS1_11comp_targetILNS1_3genE5ELNS1_11target_archE942ELNS1_3gpuE9ELNS1_3repE0EEENS1_30default_config_static_selectorELNS0_4arch9wavefront6targetE1EEEvT1_
    .private_segment_fixed_size: 0
    .sgpr_count:     4
    .sgpr_spill_count: 0
    .symbol:         _ZN7rocprim17ROCPRIM_400000_NS6detail17trampoline_kernelINS0_14default_configENS1_20scan_config_selectorIsEEZZNS1_9scan_implILNS1_25lookback_scan_determinismE0ELb0ELb0ES3_N6thrust23THRUST_200600_302600_NS6detail15normal_iteratorINS9_10device_ptrIsEEEESE_sNS9_4plusIsEEsEEDaPvRmT3_T4_T5_mT6_P12ihipStream_tbENKUlT_T0_E_clISt17integral_constantIbLb1EESU_EEDaSP_SQ_EUlSP_E0_NS1_11comp_targetILNS1_3genE5ELNS1_11target_archE942ELNS1_3gpuE9ELNS1_3repE0EEENS1_30default_config_static_selectorELNS0_4arch9wavefront6targetE1EEEvT1_.kd
    .uniform_work_group_size: 1
    .uses_dynamic_stack: false
    .vgpr_count:     0
    .vgpr_spill_count: 0
    .wavefront_size: 64
  - .agpr_count:     0
    .args:
      - .offset:         0
        .size:           32
        .value_kind:     by_value
    .group_segment_fixed_size: 3072
    .kernarg_segment_align: 8
    .kernarg_segment_size: 32
    .language:       OpenCL C
    .language_version:
      - 2
      - 0
    .max_flat_workgroup_size: 64
    .name:           _ZN7rocprim17ROCPRIM_400000_NS6detail17trampoline_kernelINS0_14default_configENS1_20scan_config_selectorIsEEZZNS1_9scan_implILNS1_25lookback_scan_determinismE0ELb0ELb0ES3_N6thrust23THRUST_200600_302600_NS6detail15normal_iteratorINS9_10device_ptrIsEEEESE_sNS9_4plusIsEEsEEDaPvRmT3_T4_T5_mT6_P12ihipStream_tbENKUlT_T0_E_clISt17integral_constantIbLb1EESU_EEDaSP_SQ_EUlSP_E0_NS1_11comp_targetILNS1_3genE4ELNS1_11target_archE910ELNS1_3gpuE8ELNS1_3repE0EEENS1_30default_config_static_selectorELNS0_4arch9wavefront6targetE1EEEvT1_
    .private_segment_fixed_size: 0
    .sgpr_count:     60
    .sgpr_spill_count: 0
    .symbol:         _ZN7rocprim17ROCPRIM_400000_NS6detail17trampoline_kernelINS0_14default_configENS1_20scan_config_selectorIsEEZZNS1_9scan_implILNS1_25lookback_scan_determinismE0ELb0ELb0ES3_N6thrust23THRUST_200600_302600_NS6detail15normal_iteratorINS9_10device_ptrIsEEEESE_sNS9_4plusIsEEsEEDaPvRmT3_T4_T5_mT6_P12ihipStream_tbENKUlT_T0_E_clISt17integral_constantIbLb1EESU_EEDaSP_SQ_EUlSP_E0_NS1_11comp_targetILNS1_3genE4ELNS1_11target_archE910ELNS1_3gpuE8ELNS1_3repE0EEENS1_30default_config_static_selectorELNS0_4arch9wavefront6targetE1EEEvT1_.kd
    .uniform_work_group_size: 1
    .uses_dynamic_stack: false
    .vgpr_count:     42
    .vgpr_spill_count: 0
    .wavefront_size: 64
  - .agpr_count:     0
    .args:
      - .offset:         0
        .size:           32
        .value_kind:     by_value
    .group_segment_fixed_size: 0
    .kernarg_segment_align: 8
    .kernarg_segment_size: 32
    .language:       OpenCL C
    .language_version:
      - 2
      - 0
    .max_flat_workgroup_size: 128
    .name:           _ZN7rocprim17ROCPRIM_400000_NS6detail17trampoline_kernelINS0_14default_configENS1_20scan_config_selectorIsEEZZNS1_9scan_implILNS1_25lookback_scan_determinismE0ELb0ELb0ES3_N6thrust23THRUST_200600_302600_NS6detail15normal_iteratorINS9_10device_ptrIsEEEESE_sNS9_4plusIsEEsEEDaPvRmT3_T4_T5_mT6_P12ihipStream_tbENKUlT_T0_E_clISt17integral_constantIbLb1EESU_EEDaSP_SQ_EUlSP_E0_NS1_11comp_targetILNS1_3genE3ELNS1_11target_archE908ELNS1_3gpuE7ELNS1_3repE0EEENS1_30default_config_static_selectorELNS0_4arch9wavefront6targetE1EEEvT1_
    .private_segment_fixed_size: 0
    .sgpr_count:     4
    .sgpr_spill_count: 0
    .symbol:         _ZN7rocprim17ROCPRIM_400000_NS6detail17trampoline_kernelINS0_14default_configENS1_20scan_config_selectorIsEEZZNS1_9scan_implILNS1_25lookback_scan_determinismE0ELb0ELb0ES3_N6thrust23THRUST_200600_302600_NS6detail15normal_iteratorINS9_10device_ptrIsEEEESE_sNS9_4plusIsEEsEEDaPvRmT3_T4_T5_mT6_P12ihipStream_tbENKUlT_T0_E_clISt17integral_constantIbLb1EESU_EEDaSP_SQ_EUlSP_E0_NS1_11comp_targetILNS1_3genE3ELNS1_11target_archE908ELNS1_3gpuE7ELNS1_3repE0EEENS1_30default_config_static_selectorELNS0_4arch9wavefront6targetE1EEEvT1_.kd
    .uniform_work_group_size: 1
    .uses_dynamic_stack: false
    .vgpr_count:     0
    .vgpr_spill_count: 0
    .wavefront_size: 64
  - .agpr_count:     0
    .args:
      - .offset:         0
        .size:           32
        .value_kind:     by_value
    .group_segment_fixed_size: 0
    .kernarg_segment_align: 8
    .kernarg_segment_size: 32
    .language:       OpenCL C
    .language_version:
      - 2
      - 0
    .max_flat_workgroup_size: 256
    .name:           _ZN7rocprim17ROCPRIM_400000_NS6detail17trampoline_kernelINS0_14default_configENS1_20scan_config_selectorIsEEZZNS1_9scan_implILNS1_25lookback_scan_determinismE0ELb0ELb0ES3_N6thrust23THRUST_200600_302600_NS6detail15normal_iteratorINS9_10device_ptrIsEEEESE_sNS9_4plusIsEEsEEDaPvRmT3_T4_T5_mT6_P12ihipStream_tbENKUlT_T0_E_clISt17integral_constantIbLb1EESU_EEDaSP_SQ_EUlSP_E0_NS1_11comp_targetILNS1_3genE2ELNS1_11target_archE906ELNS1_3gpuE6ELNS1_3repE0EEENS1_30default_config_static_selectorELNS0_4arch9wavefront6targetE1EEEvT1_
    .private_segment_fixed_size: 0
    .sgpr_count:     4
    .sgpr_spill_count: 0
    .symbol:         _ZN7rocprim17ROCPRIM_400000_NS6detail17trampoline_kernelINS0_14default_configENS1_20scan_config_selectorIsEEZZNS1_9scan_implILNS1_25lookback_scan_determinismE0ELb0ELb0ES3_N6thrust23THRUST_200600_302600_NS6detail15normal_iteratorINS9_10device_ptrIsEEEESE_sNS9_4plusIsEEsEEDaPvRmT3_T4_T5_mT6_P12ihipStream_tbENKUlT_T0_E_clISt17integral_constantIbLb1EESU_EEDaSP_SQ_EUlSP_E0_NS1_11comp_targetILNS1_3genE2ELNS1_11target_archE906ELNS1_3gpuE6ELNS1_3repE0EEENS1_30default_config_static_selectorELNS0_4arch9wavefront6targetE1EEEvT1_.kd
    .uniform_work_group_size: 1
    .uses_dynamic_stack: false
    .vgpr_count:     0
    .vgpr_spill_count: 0
    .wavefront_size: 64
  - .agpr_count:     0
    .args:
      - .offset:         0
        .size:           32
        .value_kind:     by_value
    .group_segment_fixed_size: 0
    .kernarg_segment_align: 8
    .kernarg_segment_size: 32
    .language:       OpenCL C
    .language_version:
      - 2
      - 0
    .max_flat_workgroup_size: 256
    .name:           _ZN7rocprim17ROCPRIM_400000_NS6detail17trampoline_kernelINS0_14default_configENS1_20scan_config_selectorIsEEZZNS1_9scan_implILNS1_25lookback_scan_determinismE0ELb0ELb0ES3_N6thrust23THRUST_200600_302600_NS6detail15normal_iteratorINS9_10device_ptrIsEEEESE_sNS9_4plusIsEEsEEDaPvRmT3_T4_T5_mT6_P12ihipStream_tbENKUlT_T0_E_clISt17integral_constantIbLb1EESU_EEDaSP_SQ_EUlSP_E0_NS1_11comp_targetILNS1_3genE10ELNS1_11target_archE1201ELNS1_3gpuE5ELNS1_3repE0EEENS1_30default_config_static_selectorELNS0_4arch9wavefront6targetE1EEEvT1_
    .private_segment_fixed_size: 0
    .sgpr_count:     4
    .sgpr_spill_count: 0
    .symbol:         _ZN7rocprim17ROCPRIM_400000_NS6detail17trampoline_kernelINS0_14default_configENS1_20scan_config_selectorIsEEZZNS1_9scan_implILNS1_25lookback_scan_determinismE0ELb0ELb0ES3_N6thrust23THRUST_200600_302600_NS6detail15normal_iteratorINS9_10device_ptrIsEEEESE_sNS9_4plusIsEEsEEDaPvRmT3_T4_T5_mT6_P12ihipStream_tbENKUlT_T0_E_clISt17integral_constantIbLb1EESU_EEDaSP_SQ_EUlSP_E0_NS1_11comp_targetILNS1_3genE10ELNS1_11target_archE1201ELNS1_3gpuE5ELNS1_3repE0EEENS1_30default_config_static_selectorELNS0_4arch9wavefront6targetE1EEEvT1_.kd
    .uniform_work_group_size: 1
    .uses_dynamic_stack: false
    .vgpr_count:     0
    .vgpr_spill_count: 0
    .wavefront_size: 64
  - .agpr_count:     0
    .args:
      - .offset:         0
        .size:           32
        .value_kind:     by_value
    .group_segment_fixed_size: 0
    .kernarg_segment_align: 8
    .kernarg_segment_size: 32
    .language:       OpenCL C
    .language_version:
      - 2
      - 0
    .max_flat_workgroup_size: 256
    .name:           _ZN7rocprim17ROCPRIM_400000_NS6detail17trampoline_kernelINS0_14default_configENS1_20scan_config_selectorIsEEZZNS1_9scan_implILNS1_25lookback_scan_determinismE0ELb0ELb0ES3_N6thrust23THRUST_200600_302600_NS6detail15normal_iteratorINS9_10device_ptrIsEEEESE_sNS9_4plusIsEEsEEDaPvRmT3_T4_T5_mT6_P12ihipStream_tbENKUlT_T0_E_clISt17integral_constantIbLb1EESU_EEDaSP_SQ_EUlSP_E0_NS1_11comp_targetILNS1_3genE10ELNS1_11target_archE1200ELNS1_3gpuE4ELNS1_3repE0EEENS1_30default_config_static_selectorELNS0_4arch9wavefront6targetE1EEEvT1_
    .private_segment_fixed_size: 0
    .sgpr_count:     4
    .sgpr_spill_count: 0
    .symbol:         _ZN7rocprim17ROCPRIM_400000_NS6detail17trampoline_kernelINS0_14default_configENS1_20scan_config_selectorIsEEZZNS1_9scan_implILNS1_25lookback_scan_determinismE0ELb0ELb0ES3_N6thrust23THRUST_200600_302600_NS6detail15normal_iteratorINS9_10device_ptrIsEEEESE_sNS9_4plusIsEEsEEDaPvRmT3_T4_T5_mT6_P12ihipStream_tbENKUlT_T0_E_clISt17integral_constantIbLb1EESU_EEDaSP_SQ_EUlSP_E0_NS1_11comp_targetILNS1_3genE10ELNS1_11target_archE1200ELNS1_3gpuE4ELNS1_3repE0EEENS1_30default_config_static_selectorELNS0_4arch9wavefront6targetE1EEEvT1_.kd
    .uniform_work_group_size: 1
    .uses_dynamic_stack: false
    .vgpr_count:     0
    .vgpr_spill_count: 0
    .wavefront_size: 64
  - .agpr_count:     0
    .args:
      - .offset:         0
        .size:           32
        .value_kind:     by_value
    .group_segment_fixed_size: 0
    .kernarg_segment_align: 8
    .kernarg_segment_size: 32
    .language:       OpenCL C
    .language_version:
      - 2
      - 0
    .max_flat_workgroup_size: 64
    .name:           _ZN7rocprim17ROCPRIM_400000_NS6detail17trampoline_kernelINS0_14default_configENS1_20scan_config_selectorIsEEZZNS1_9scan_implILNS1_25lookback_scan_determinismE0ELb0ELb0ES3_N6thrust23THRUST_200600_302600_NS6detail15normal_iteratorINS9_10device_ptrIsEEEESE_sNS9_4plusIsEEsEEDaPvRmT3_T4_T5_mT6_P12ihipStream_tbENKUlT_T0_E_clISt17integral_constantIbLb1EESU_EEDaSP_SQ_EUlSP_E0_NS1_11comp_targetILNS1_3genE9ELNS1_11target_archE1100ELNS1_3gpuE3ELNS1_3repE0EEENS1_30default_config_static_selectorELNS0_4arch9wavefront6targetE1EEEvT1_
    .private_segment_fixed_size: 0
    .sgpr_count:     4
    .sgpr_spill_count: 0
    .symbol:         _ZN7rocprim17ROCPRIM_400000_NS6detail17trampoline_kernelINS0_14default_configENS1_20scan_config_selectorIsEEZZNS1_9scan_implILNS1_25lookback_scan_determinismE0ELb0ELb0ES3_N6thrust23THRUST_200600_302600_NS6detail15normal_iteratorINS9_10device_ptrIsEEEESE_sNS9_4plusIsEEsEEDaPvRmT3_T4_T5_mT6_P12ihipStream_tbENKUlT_T0_E_clISt17integral_constantIbLb1EESU_EEDaSP_SQ_EUlSP_E0_NS1_11comp_targetILNS1_3genE9ELNS1_11target_archE1100ELNS1_3gpuE3ELNS1_3repE0EEENS1_30default_config_static_selectorELNS0_4arch9wavefront6targetE1EEEvT1_.kd
    .uniform_work_group_size: 1
    .uses_dynamic_stack: false
    .vgpr_count:     0
    .vgpr_spill_count: 0
    .wavefront_size: 64
  - .agpr_count:     0
    .args:
      - .offset:         0
        .size:           32
        .value_kind:     by_value
    .group_segment_fixed_size: 0
    .kernarg_segment_align: 8
    .kernarg_segment_size: 32
    .language:       OpenCL C
    .language_version:
      - 2
      - 0
    .max_flat_workgroup_size: 64
    .name:           _ZN7rocprim17ROCPRIM_400000_NS6detail17trampoline_kernelINS0_14default_configENS1_20scan_config_selectorIsEEZZNS1_9scan_implILNS1_25lookback_scan_determinismE0ELb0ELb0ES3_N6thrust23THRUST_200600_302600_NS6detail15normal_iteratorINS9_10device_ptrIsEEEESE_sNS9_4plusIsEEsEEDaPvRmT3_T4_T5_mT6_P12ihipStream_tbENKUlT_T0_E_clISt17integral_constantIbLb1EESU_EEDaSP_SQ_EUlSP_E0_NS1_11comp_targetILNS1_3genE8ELNS1_11target_archE1030ELNS1_3gpuE2ELNS1_3repE0EEENS1_30default_config_static_selectorELNS0_4arch9wavefront6targetE1EEEvT1_
    .private_segment_fixed_size: 0
    .sgpr_count:     4
    .sgpr_spill_count: 0
    .symbol:         _ZN7rocprim17ROCPRIM_400000_NS6detail17trampoline_kernelINS0_14default_configENS1_20scan_config_selectorIsEEZZNS1_9scan_implILNS1_25lookback_scan_determinismE0ELb0ELb0ES3_N6thrust23THRUST_200600_302600_NS6detail15normal_iteratorINS9_10device_ptrIsEEEESE_sNS9_4plusIsEEsEEDaPvRmT3_T4_T5_mT6_P12ihipStream_tbENKUlT_T0_E_clISt17integral_constantIbLb1EESU_EEDaSP_SQ_EUlSP_E0_NS1_11comp_targetILNS1_3genE8ELNS1_11target_archE1030ELNS1_3gpuE2ELNS1_3repE0EEENS1_30default_config_static_selectorELNS0_4arch9wavefront6targetE1EEEvT1_.kd
    .uniform_work_group_size: 1
    .uses_dynamic_stack: false
    .vgpr_count:     0
    .vgpr_spill_count: 0
    .wavefront_size: 64
  - .agpr_count:     0
    .args:
      - .offset:         0
        .size:           96
        .value_kind:     by_value
    .group_segment_fixed_size: 0
    .kernarg_segment_align: 8
    .kernarg_segment_size: 96
    .language:       OpenCL C
    .language_version:
      - 2
      - 0
    .max_flat_workgroup_size: 128
    .name:           _ZN7rocprim17ROCPRIM_400000_NS6detail17trampoline_kernelINS0_14default_configENS1_20scan_config_selectorIsEEZZNS1_9scan_implILNS1_25lookback_scan_determinismE0ELb0ELb0ES3_N6thrust23THRUST_200600_302600_NS6detail15normal_iteratorINS9_10device_ptrIsEEEESE_sNS9_4plusIsEEsEEDaPvRmT3_T4_T5_mT6_P12ihipStream_tbENKUlT_T0_E_clISt17integral_constantIbLb1EEST_IbLb0EEEEDaSP_SQ_EUlSP_E_NS1_11comp_targetILNS1_3genE0ELNS1_11target_archE4294967295ELNS1_3gpuE0ELNS1_3repE0EEENS1_30default_config_static_selectorELNS0_4arch9wavefront6targetE1EEEvT1_
    .private_segment_fixed_size: 0
    .sgpr_count:     4
    .sgpr_spill_count: 0
    .symbol:         _ZN7rocprim17ROCPRIM_400000_NS6detail17trampoline_kernelINS0_14default_configENS1_20scan_config_selectorIsEEZZNS1_9scan_implILNS1_25lookback_scan_determinismE0ELb0ELb0ES3_N6thrust23THRUST_200600_302600_NS6detail15normal_iteratorINS9_10device_ptrIsEEEESE_sNS9_4plusIsEEsEEDaPvRmT3_T4_T5_mT6_P12ihipStream_tbENKUlT_T0_E_clISt17integral_constantIbLb1EEST_IbLb0EEEEDaSP_SQ_EUlSP_E_NS1_11comp_targetILNS1_3genE0ELNS1_11target_archE4294967295ELNS1_3gpuE0ELNS1_3repE0EEENS1_30default_config_static_selectorELNS0_4arch9wavefront6targetE1EEEvT1_.kd
    .uniform_work_group_size: 1
    .uses_dynamic_stack: false
    .vgpr_count:     0
    .vgpr_spill_count: 0
    .wavefront_size: 64
  - .agpr_count:     0
    .args:
      - .offset:         0
        .size:           96
        .value_kind:     by_value
    .group_segment_fixed_size: 0
    .kernarg_segment_align: 8
    .kernarg_segment_size: 96
    .language:       OpenCL C
    .language_version:
      - 2
      - 0
    .max_flat_workgroup_size: 256
    .name:           _ZN7rocprim17ROCPRIM_400000_NS6detail17trampoline_kernelINS0_14default_configENS1_20scan_config_selectorIsEEZZNS1_9scan_implILNS1_25lookback_scan_determinismE0ELb0ELb0ES3_N6thrust23THRUST_200600_302600_NS6detail15normal_iteratorINS9_10device_ptrIsEEEESE_sNS9_4plusIsEEsEEDaPvRmT3_T4_T5_mT6_P12ihipStream_tbENKUlT_T0_E_clISt17integral_constantIbLb1EEST_IbLb0EEEEDaSP_SQ_EUlSP_E_NS1_11comp_targetILNS1_3genE5ELNS1_11target_archE942ELNS1_3gpuE9ELNS1_3repE0EEENS1_30default_config_static_selectorELNS0_4arch9wavefront6targetE1EEEvT1_
    .private_segment_fixed_size: 0
    .sgpr_count:     4
    .sgpr_spill_count: 0
    .symbol:         _ZN7rocprim17ROCPRIM_400000_NS6detail17trampoline_kernelINS0_14default_configENS1_20scan_config_selectorIsEEZZNS1_9scan_implILNS1_25lookback_scan_determinismE0ELb0ELb0ES3_N6thrust23THRUST_200600_302600_NS6detail15normal_iteratorINS9_10device_ptrIsEEEESE_sNS9_4plusIsEEsEEDaPvRmT3_T4_T5_mT6_P12ihipStream_tbENKUlT_T0_E_clISt17integral_constantIbLb1EEST_IbLb0EEEEDaSP_SQ_EUlSP_E_NS1_11comp_targetILNS1_3genE5ELNS1_11target_archE942ELNS1_3gpuE9ELNS1_3repE0EEENS1_30default_config_static_selectorELNS0_4arch9wavefront6targetE1EEEvT1_.kd
    .uniform_work_group_size: 1
    .uses_dynamic_stack: false
    .vgpr_count:     0
    .vgpr_spill_count: 0
    .wavefront_size: 64
  - .agpr_count:     0
    .args:
      - .offset:         0
        .size:           96
        .value_kind:     by_value
    .group_segment_fixed_size: 3072
    .kernarg_segment_align: 8
    .kernarg_segment_size: 96
    .language:       OpenCL C
    .language_version:
      - 2
      - 0
    .max_flat_workgroup_size: 64
    .name:           _ZN7rocprim17ROCPRIM_400000_NS6detail17trampoline_kernelINS0_14default_configENS1_20scan_config_selectorIsEEZZNS1_9scan_implILNS1_25lookback_scan_determinismE0ELb0ELb0ES3_N6thrust23THRUST_200600_302600_NS6detail15normal_iteratorINS9_10device_ptrIsEEEESE_sNS9_4plusIsEEsEEDaPvRmT3_T4_T5_mT6_P12ihipStream_tbENKUlT_T0_E_clISt17integral_constantIbLb1EEST_IbLb0EEEEDaSP_SQ_EUlSP_E_NS1_11comp_targetILNS1_3genE4ELNS1_11target_archE910ELNS1_3gpuE8ELNS1_3repE0EEENS1_30default_config_static_selectorELNS0_4arch9wavefront6targetE1EEEvT1_
    .private_segment_fixed_size: 0
    .sgpr_count:     30
    .sgpr_spill_count: 0
    .symbol:         _ZN7rocprim17ROCPRIM_400000_NS6detail17trampoline_kernelINS0_14default_configENS1_20scan_config_selectorIsEEZZNS1_9scan_implILNS1_25lookback_scan_determinismE0ELb0ELb0ES3_N6thrust23THRUST_200600_302600_NS6detail15normal_iteratorINS9_10device_ptrIsEEEESE_sNS9_4plusIsEEsEEDaPvRmT3_T4_T5_mT6_P12ihipStream_tbENKUlT_T0_E_clISt17integral_constantIbLb1EEST_IbLb0EEEEDaSP_SQ_EUlSP_E_NS1_11comp_targetILNS1_3genE4ELNS1_11target_archE910ELNS1_3gpuE8ELNS1_3repE0EEENS1_30default_config_static_selectorELNS0_4arch9wavefront6targetE1EEEvT1_.kd
    .uniform_work_group_size: 1
    .uses_dynamic_stack: false
    .vgpr_count:     54
    .vgpr_spill_count: 0
    .wavefront_size: 64
  - .agpr_count:     0
    .args:
      - .offset:         0
        .size:           96
        .value_kind:     by_value
    .group_segment_fixed_size: 0
    .kernarg_segment_align: 8
    .kernarg_segment_size: 96
    .language:       OpenCL C
    .language_version:
      - 2
      - 0
    .max_flat_workgroup_size: 128
    .name:           _ZN7rocprim17ROCPRIM_400000_NS6detail17trampoline_kernelINS0_14default_configENS1_20scan_config_selectorIsEEZZNS1_9scan_implILNS1_25lookback_scan_determinismE0ELb0ELb0ES3_N6thrust23THRUST_200600_302600_NS6detail15normal_iteratorINS9_10device_ptrIsEEEESE_sNS9_4plusIsEEsEEDaPvRmT3_T4_T5_mT6_P12ihipStream_tbENKUlT_T0_E_clISt17integral_constantIbLb1EEST_IbLb0EEEEDaSP_SQ_EUlSP_E_NS1_11comp_targetILNS1_3genE3ELNS1_11target_archE908ELNS1_3gpuE7ELNS1_3repE0EEENS1_30default_config_static_selectorELNS0_4arch9wavefront6targetE1EEEvT1_
    .private_segment_fixed_size: 0
    .sgpr_count:     4
    .sgpr_spill_count: 0
    .symbol:         _ZN7rocprim17ROCPRIM_400000_NS6detail17trampoline_kernelINS0_14default_configENS1_20scan_config_selectorIsEEZZNS1_9scan_implILNS1_25lookback_scan_determinismE0ELb0ELb0ES3_N6thrust23THRUST_200600_302600_NS6detail15normal_iteratorINS9_10device_ptrIsEEEESE_sNS9_4plusIsEEsEEDaPvRmT3_T4_T5_mT6_P12ihipStream_tbENKUlT_T0_E_clISt17integral_constantIbLb1EEST_IbLb0EEEEDaSP_SQ_EUlSP_E_NS1_11comp_targetILNS1_3genE3ELNS1_11target_archE908ELNS1_3gpuE7ELNS1_3repE0EEENS1_30default_config_static_selectorELNS0_4arch9wavefront6targetE1EEEvT1_.kd
    .uniform_work_group_size: 1
    .uses_dynamic_stack: false
    .vgpr_count:     0
    .vgpr_spill_count: 0
    .wavefront_size: 64
  - .agpr_count:     0
    .args:
      - .offset:         0
        .size:           96
        .value_kind:     by_value
    .group_segment_fixed_size: 0
    .kernarg_segment_align: 8
    .kernarg_segment_size: 96
    .language:       OpenCL C
    .language_version:
      - 2
      - 0
    .max_flat_workgroup_size: 256
    .name:           _ZN7rocprim17ROCPRIM_400000_NS6detail17trampoline_kernelINS0_14default_configENS1_20scan_config_selectorIsEEZZNS1_9scan_implILNS1_25lookback_scan_determinismE0ELb0ELb0ES3_N6thrust23THRUST_200600_302600_NS6detail15normal_iteratorINS9_10device_ptrIsEEEESE_sNS9_4plusIsEEsEEDaPvRmT3_T4_T5_mT6_P12ihipStream_tbENKUlT_T0_E_clISt17integral_constantIbLb1EEST_IbLb0EEEEDaSP_SQ_EUlSP_E_NS1_11comp_targetILNS1_3genE2ELNS1_11target_archE906ELNS1_3gpuE6ELNS1_3repE0EEENS1_30default_config_static_selectorELNS0_4arch9wavefront6targetE1EEEvT1_
    .private_segment_fixed_size: 0
    .sgpr_count:     4
    .sgpr_spill_count: 0
    .symbol:         _ZN7rocprim17ROCPRIM_400000_NS6detail17trampoline_kernelINS0_14default_configENS1_20scan_config_selectorIsEEZZNS1_9scan_implILNS1_25lookback_scan_determinismE0ELb0ELb0ES3_N6thrust23THRUST_200600_302600_NS6detail15normal_iteratorINS9_10device_ptrIsEEEESE_sNS9_4plusIsEEsEEDaPvRmT3_T4_T5_mT6_P12ihipStream_tbENKUlT_T0_E_clISt17integral_constantIbLb1EEST_IbLb0EEEEDaSP_SQ_EUlSP_E_NS1_11comp_targetILNS1_3genE2ELNS1_11target_archE906ELNS1_3gpuE6ELNS1_3repE0EEENS1_30default_config_static_selectorELNS0_4arch9wavefront6targetE1EEEvT1_.kd
    .uniform_work_group_size: 1
    .uses_dynamic_stack: false
    .vgpr_count:     0
    .vgpr_spill_count: 0
    .wavefront_size: 64
  - .agpr_count:     0
    .args:
      - .offset:         0
        .size:           96
        .value_kind:     by_value
    .group_segment_fixed_size: 0
    .kernarg_segment_align: 8
    .kernarg_segment_size: 96
    .language:       OpenCL C
    .language_version:
      - 2
      - 0
    .max_flat_workgroup_size: 256
    .name:           _ZN7rocprim17ROCPRIM_400000_NS6detail17trampoline_kernelINS0_14default_configENS1_20scan_config_selectorIsEEZZNS1_9scan_implILNS1_25lookback_scan_determinismE0ELb0ELb0ES3_N6thrust23THRUST_200600_302600_NS6detail15normal_iteratorINS9_10device_ptrIsEEEESE_sNS9_4plusIsEEsEEDaPvRmT3_T4_T5_mT6_P12ihipStream_tbENKUlT_T0_E_clISt17integral_constantIbLb1EEST_IbLb0EEEEDaSP_SQ_EUlSP_E_NS1_11comp_targetILNS1_3genE10ELNS1_11target_archE1201ELNS1_3gpuE5ELNS1_3repE0EEENS1_30default_config_static_selectorELNS0_4arch9wavefront6targetE1EEEvT1_
    .private_segment_fixed_size: 0
    .sgpr_count:     4
    .sgpr_spill_count: 0
    .symbol:         _ZN7rocprim17ROCPRIM_400000_NS6detail17trampoline_kernelINS0_14default_configENS1_20scan_config_selectorIsEEZZNS1_9scan_implILNS1_25lookback_scan_determinismE0ELb0ELb0ES3_N6thrust23THRUST_200600_302600_NS6detail15normal_iteratorINS9_10device_ptrIsEEEESE_sNS9_4plusIsEEsEEDaPvRmT3_T4_T5_mT6_P12ihipStream_tbENKUlT_T0_E_clISt17integral_constantIbLb1EEST_IbLb0EEEEDaSP_SQ_EUlSP_E_NS1_11comp_targetILNS1_3genE10ELNS1_11target_archE1201ELNS1_3gpuE5ELNS1_3repE0EEENS1_30default_config_static_selectorELNS0_4arch9wavefront6targetE1EEEvT1_.kd
    .uniform_work_group_size: 1
    .uses_dynamic_stack: false
    .vgpr_count:     0
    .vgpr_spill_count: 0
    .wavefront_size: 64
  - .agpr_count:     0
    .args:
      - .offset:         0
        .size:           96
        .value_kind:     by_value
    .group_segment_fixed_size: 0
    .kernarg_segment_align: 8
    .kernarg_segment_size: 96
    .language:       OpenCL C
    .language_version:
      - 2
      - 0
    .max_flat_workgroup_size: 256
    .name:           _ZN7rocprim17ROCPRIM_400000_NS6detail17trampoline_kernelINS0_14default_configENS1_20scan_config_selectorIsEEZZNS1_9scan_implILNS1_25lookback_scan_determinismE0ELb0ELb0ES3_N6thrust23THRUST_200600_302600_NS6detail15normal_iteratorINS9_10device_ptrIsEEEESE_sNS9_4plusIsEEsEEDaPvRmT3_T4_T5_mT6_P12ihipStream_tbENKUlT_T0_E_clISt17integral_constantIbLb1EEST_IbLb0EEEEDaSP_SQ_EUlSP_E_NS1_11comp_targetILNS1_3genE10ELNS1_11target_archE1200ELNS1_3gpuE4ELNS1_3repE0EEENS1_30default_config_static_selectorELNS0_4arch9wavefront6targetE1EEEvT1_
    .private_segment_fixed_size: 0
    .sgpr_count:     4
    .sgpr_spill_count: 0
    .symbol:         _ZN7rocprim17ROCPRIM_400000_NS6detail17trampoline_kernelINS0_14default_configENS1_20scan_config_selectorIsEEZZNS1_9scan_implILNS1_25lookback_scan_determinismE0ELb0ELb0ES3_N6thrust23THRUST_200600_302600_NS6detail15normal_iteratorINS9_10device_ptrIsEEEESE_sNS9_4plusIsEEsEEDaPvRmT3_T4_T5_mT6_P12ihipStream_tbENKUlT_T0_E_clISt17integral_constantIbLb1EEST_IbLb0EEEEDaSP_SQ_EUlSP_E_NS1_11comp_targetILNS1_3genE10ELNS1_11target_archE1200ELNS1_3gpuE4ELNS1_3repE0EEENS1_30default_config_static_selectorELNS0_4arch9wavefront6targetE1EEEvT1_.kd
    .uniform_work_group_size: 1
    .uses_dynamic_stack: false
    .vgpr_count:     0
    .vgpr_spill_count: 0
    .wavefront_size: 64
  - .agpr_count:     0
    .args:
      - .offset:         0
        .size:           96
        .value_kind:     by_value
    .group_segment_fixed_size: 0
    .kernarg_segment_align: 8
    .kernarg_segment_size: 96
    .language:       OpenCL C
    .language_version:
      - 2
      - 0
    .max_flat_workgroup_size: 64
    .name:           _ZN7rocprim17ROCPRIM_400000_NS6detail17trampoline_kernelINS0_14default_configENS1_20scan_config_selectorIsEEZZNS1_9scan_implILNS1_25lookback_scan_determinismE0ELb0ELb0ES3_N6thrust23THRUST_200600_302600_NS6detail15normal_iteratorINS9_10device_ptrIsEEEESE_sNS9_4plusIsEEsEEDaPvRmT3_T4_T5_mT6_P12ihipStream_tbENKUlT_T0_E_clISt17integral_constantIbLb1EEST_IbLb0EEEEDaSP_SQ_EUlSP_E_NS1_11comp_targetILNS1_3genE9ELNS1_11target_archE1100ELNS1_3gpuE3ELNS1_3repE0EEENS1_30default_config_static_selectorELNS0_4arch9wavefront6targetE1EEEvT1_
    .private_segment_fixed_size: 0
    .sgpr_count:     4
    .sgpr_spill_count: 0
    .symbol:         _ZN7rocprim17ROCPRIM_400000_NS6detail17trampoline_kernelINS0_14default_configENS1_20scan_config_selectorIsEEZZNS1_9scan_implILNS1_25lookback_scan_determinismE0ELb0ELb0ES3_N6thrust23THRUST_200600_302600_NS6detail15normal_iteratorINS9_10device_ptrIsEEEESE_sNS9_4plusIsEEsEEDaPvRmT3_T4_T5_mT6_P12ihipStream_tbENKUlT_T0_E_clISt17integral_constantIbLb1EEST_IbLb0EEEEDaSP_SQ_EUlSP_E_NS1_11comp_targetILNS1_3genE9ELNS1_11target_archE1100ELNS1_3gpuE3ELNS1_3repE0EEENS1_30default_config_static_selectorELNS0_4arch9wavefront6targetE1EEEvT1_.kd
    .uniform_work_group_size: 1
    .uses_dynamic_stack: false
    .vgpr_count:     0
    .vgpr_spill_count: 0
    .wavefront_size: 64
  - .agpr_count:     0
    .args:
      - .offset:         0
        .size:           96
        .value_kind:     by_value
    .group_segment_fixed_size: 0
    .kernarg_segment_align: 8
    .kernarg_segment_size: 96
    .language:       OpenCL C
    .language_version:
      - 2
      - 0
    .max_flat_workgroup_size: 64
    .name:           _ZN7rocprim17ROCPRIM_400000_NS6detail17trampoline_kernelINS0_14default_configENS1_20scan_config_selectorIsEEZZNS1_9scan_implILNS1_25lookback_scan_determinismE0ELb0ELb0ES3_N6thrust23THRUST_200600_302600_NS6detail15normal_iteratorINS9_10device_ptrIsEEEESE_sNS9_4plusIsEEsEEDaPvRmT3_T4_T5_mT6_P12ihipStream_tbENKUlT_T0_E_clISt17integral_constantIbLb1EEST_IbLb0EEEEDaSP_SQ_EUlSP_E_NS1_11comp_targetILNS1_3genE8ELNS1_11target_archE1030ELNS1_3gpuE2ELNS1_3repE0EEENS1_30default_config_static_selectorELNS0_4arch9wavefront6targetE1EEEvT1_
    .private_segment_fixed_size: 0
    .sgpr_count:     4
    .sgpr_spill_count: 0
    .symbol:         _ZN7rocprim17ROCPRIM_400000_NS6detail17trampoline_kernelINS0_14default_configENS1_20scan_config_selectorIsEEZZNS1_9scan_implILNS1_25lookback_scan_determinismE0ELb0ELb0ES3_N6thrust23THRUST_200600_302600_NS6detail15normal_iteratorINS9_10device_ptrIsEEEESE_sNS9_4plusIsEEsEEDaPvRmT3_T4_T5_mT6_P12ihipStream_tbENKUlT_T0_E_clISt17integral_constantIbLb1EEST_IbLb0EEEEDaSP_SQ_EUlSP_E_NS1_11comp_targetILNS1_3genE8ELNS1_11target_archE1030ELNS1_3gpuE2ELNS1_3repE0EEENS1_30default_config_static_selectorELNS0_4arch9wavefront6targetE1EEEvT1_.kd
    .uniform_work_group_size: 1
    .uses_dynamic_stack: false
    .vgpr_count:     0
    .vgpr_spill_count: 0
    .wavefront_size: 64
  - .agpr_count:     0
    .args:
      - .offset:         0
        .size:           32
        .value_kind:     by_value
    .group_segment_fixed_size: 0
    .kernarg_segment_align: 8
    .kernarg_segment_size: 32
    .language:       OpenCL C
    .language_version:
      - 2
      - 0
    .max_flat_workgroup_size: 128
    .name:           _ZN7rocprim17ROCPRIM_400000_NS6detail17trampoline_kernelINS0_14default_configENS1_20scan_config_selectorIsEEZZNS1_9scan_implILNS1_25lookback_scan_determinismE0ELb0ELb0ES3_N6thrust23THRUST_200600_302600_NS6detail15normal_iteratorINS9_10device_ptrIsEEEESE_sNS9_4plusIsEEsEEDaPvRmT3_T4_T5_mT6_P12ihipStream_tbENKUlT_T0_E_clISt17integral_constantIbLb1EEST_IbLb0EEEEDaSP_SQ_EUlSP_E0_NS1_11comp_targetILNS1_3genE0ELNS1_11target_archE4294967295ELNS1_3gpuE0ELNS1_3repE0EEENS1_30default_config_static_selectorELNS0_4arch9wavefront6targetE1EEEvT1_
    .private_segment_fixed_size: 0
    .sgpr_count:     4
    .sgpr_spill_count: 0
    .symbol:         _ZN7rocprim17ROCPRIM_400000_NS6detail17trampoline_kernelINS0_14default_configENS1_20scan_config_selectorIsEEZZNS1_9scan_implILNS1_25lookback_scan_determinismE0ELb0ELb0ES3_N6thrust23THRUST_200600_302600_NS6detail15normal_iteratorINS9_10device_ptrIsEEEESE_sNS9_4plusIsEEsEEDaPvRmT3_T4_T5_mT6_P12ihipStream_tbENKUlT_T0_E_clISt17integral_constantIbLb1EEST_IbLb0EEEEDaSP_SQ_EUlSP_E0_NS1_11comp_targetILNS1_3genE0ELNS1_11target_archE4294967295ELNS1_3gpuE0ELNS1_3repE0EEENS1_30default_config_static_selectorELNS0_4arch9wavefront6targetE1EEEvT1_.kd
    .uniform_work_group_size: 1
    .uses_dynamic_stack: false
    .vgpr_count:     0
    .vgpr_spill_count: 0
    .wavefront_size: 64
  - .agpr_count:     0
    .args:
      - .offset:         0
        .size:           32
        .value_kind:     by_value
    .group_segment_fixed_size: 0
    .kernarg_segment_align: 8
    .kernarg_segment_size: 32
    .language:       OpenCL C
    .language_version:
      - 2
      - 0
    .max_flat_workgroup_size: 256
    .name:           _ZN7rocprim17ROCPRIM_400000_NS6detail17trampoline_kernelINS0_14default_configENS1_20scan_config_selectorIsEEZZNS1_9scan_implILNS1_25lookback_scan_determinismE0ELb0ELb0ES3_N6thrust23THRUST_200600_302600_NS6detail15normal_iteratorINS9_10device_ptrIsEEEESE_sNS9_4plusIsEEsEEDaPvRmT3_T4_T5_mT6_P12ihipStream_tbENKUlT_T0_E_clISt17integral_constantIbLb1EEST_IbLb0EEEEDaSP_SQ_EUlSP_E0_NS1_11comp_targetILNS1_3genE5ELNS1_11target_archE942ELNS1_3gpuE9ELNS1_3repE0EEENS1_30default_config_static_selectorELNS0_4arch9wavefront6targetE1EEEvT1_
    .private_segment_fixed_size: 0
    .sgpr_count:     4
    .sgpr_spill_count: 0
    .symbol:         _ZN7rocprim17ROCPRIM_400000_NS6detail17trampoline_kernelINS0_14default_configENS1_20scan_config_selectorIsEEZZNS1_9scan_implILNS1_25lookback_scan_determinismE0ELb0ELb0ES3_N6thrust23THRUST_200600_302600_NS6detail15normal_iteratorINS9_10device_ptrIsEEEESE_sNS9_4plusIsEEsEEDaPvRmT3_T4_T5_mT6_P12ihipStream_tbENKUlT_T0_E_clISt17integral_constantIbLb1EEST_IbLb0EEEEDaSP_SQ_EUlSP_E0_NS1_11comp_targetILNS1_3genE5ELNS1_11target_archE942ELNS1_3gpuE9ELNS1_3repE0EEENS1_30default_config_static_selectorELNS0_4arch9wavefront6targetE1EEEvT1_.kd
    .uniform_work_group_size: 1
    .uses_dynamic_stack: false
    .vgpr_count:     0
    .vgpr_spill_count: 0
    .wavefront_size: 64
  - .agpr_count:     0
    .args:
      - .offset:         0
        .size:           32
        .value_kind:     by_value
    .group_segment_fixed_size: 3072
    .kernarg_segment_align: 8
    .kernarg_segment_size: 32
    .language:       OpenCL C
    .language_version:
      - 2
      - 0
    .max_flat_workgroup_size: 64
    .name:           _ZN7rocprim17ROCPRIM_400000_NS6detail17trampoline_kernelINS0_14default_configENS1_20scan_config_selectorIsEEZZNS1_9scan_implILNS1_25lookback_scan_determinismE0ELb0ELb0ES3_N6thrust23THRUST_200600_302600_NS6detail15normal_iteratorINS9_10device_ptrIsEEEESE_sNS9_4plusIsEEsEEDaPvRmT3_T4_T5_mT6_P12ihipStream_tbENKUlT_T0_E_clISt17integral_constantIbLb1EEST_IbLb0EEEEDaSP_SQ_EUlSP_E0_NS1_11comp_targetILNS1_3genE4ELNS1_11target_archE910ELNS1_3gpuE8ELNS1_3repE0EEENS1_30default_config_static_selectorELNS0_4arch9wavefront6targetE1EEEvT1_
    .private_segment_fixed_size: 0
    .sgpr_count:     60
    .sgpr_spill_count: 0
    .symbol:         _ZN7rocprim17ROCPRIM_400000_NS6detail17trampoline_kernelINS0_14default_configENS1_20scan_config_selectorIsEEZZNS1_9scan_implILNS1_25lookback_scan_determinismE0ELb0ELb0ES3_N6thrust23THRUST_200600_302600_NS6detail15normal_iteratorINS9_10device_ptrIsEEEESE_sNS9_4plusIsEEsEEDaPvRmT3_T4_T5_mT6_P12ihipStream_tbENKUlT_T0_E_clISt17integral_constantIbLb1EEST_IbLb0EEEEDaSP_SQ_EUlSP_E0_NS1_11comp_targetILNS1_3genE4ELNS1_11target_archE910ELNS1_3gpuE8ELNS1_3repE0EEENS1_30default_config_static_selectorELNS0_4arch9wavefront6targetE1EEEvT1_.kd
    .uniform_work_group_size: 1
    .uses_dynamic_stack: false
    .vgpr_count:     42
    .vgpr_spill_count: 0
    .wavefront_size: 64
  - .agpr_count:     0
    .args:
      - .offset:         0
        .size:           32
        .value_kind:     by_value
    .group_segment_fixed_size: 0
    .kernarg_segment_align: 8
    .kernarg_segment_size: 32
    .language:       OpenCL C
    .language_version:
      - 2
      - 0
    .max_flat_workgroup_size: 128
    .name:           _ZN7rocprim17ROCPRIM_400000_NS6detail17trampoline_kernelINS0_14default_configENS1_20scan_config_selectorIsEEZZNS1_9scan_implILNS1_25lookback_scan_determinismE0ELb0ELb0ES3_N6thrust23THRUST_200600_302600_NS6detail15normal_iteratorINS9_10device_ptrIsEEEESE_sNS9_4plusIsEEsEEDaPvRmT3_T4_T5_mT6_P12ihipStream_tbENKUlT_T0_E_clISt17integral_constantIbLb1EEST_IbLb0EEEEDaSP_SQ_EUlSP_E0_NS1_11comp_targetILNS1_3genE3ELNS1_11target_archE908ELNS1_3gpuE7ELNS1_3repE0EEENS1_30default_config_static_selectorELNS0_4arch9wavefront6targetE1EEEvT1_
    .private_segment_fixed_size: 0
    .sgpr_count:     4
    .sgpr_spill_count: 0
    .symbol:         _ZN7rocprim17ROCPRIM_400000_NS6detail17trampoline_kernelINS0_14default_configENS1_20scan_config_selectorIsEEZZNS1_9scan_implILNS1_25lookback_scan_determinismE0ELb0ELb0ES3_N6thrust23THRUST_200600_302600_NS6detail15normal_iteratorINS9_10device_ptrIsEEEESE_sNS9_4plusIsEEsEEDaPvRmT3_T4_T5_mT6_P12ihipStream_tbENKUlT_T0_E_clISt17integral_constantIbLb1EEST_IbLb0EEEEDaSP_SQ_EUlSP_E0_NS1_11comp_targetILNS1_3genE3ELNS1_11target_archE908ELNS1_3gpuE7ELNS1_3repE0EEENS1_30default_config_static_selectorELNS0_4arch9wavefront6targetE1EEEvT1_.kd
    .uniform_work_group_size: 1
    .uses_dynamic_stack: false
    .vgpr_count:     0
    .vgpr_spill_count: 0
    .wavefront_size: 64
  - .agpr_count:     0
    .args:
      - .offset:         0
        .size:           32
        .value_kind:     by_value
    .group_segment_fixed_size: 0
    .kernarg_segment_align: 8
    .kernarg_segment_size: 32
    .language:       OpenCL C
    .language_version:
      - 2
      - 0
    .max_flat_workgroup_size: 256
    .name:           _ZN7rocprim17ROCPRIM_400000_NS6detail17trampoline_kernelINS0_14default_configENS1_20scan_config_selectorIsEEZZNS1_9scan_implILNS1_25lookback_scan_determinismE0ELb0ELb0ES3_N6thrust23THRUST_200600_302600_NS6detail15normal_iteratorINS9_10device_ptrIsEEEESE_sNS9_4plusIsEEsEEDaPvRmT3_T4_T5_mT6_P12ihipStream_tbENKUlT_T0_E_clISt17integral_constantIbLb1EEST_IbLb0EEEEDaSP_SQ_EUlSP_E0_NS1_11comp_targetILNS1_3genE2ELNS1_11target_archE906ELNS1_3gpuE6ELNS1_3repE0EEENS1_30default_config_static_selectorELNS0_4arch9wavefront6targetE1EEEvT1_
    .private_segment_fixed_size: 0
    .sgpr_count:     4
    .sgpr_spill_count: 0
    .symbol:         _ZN7rocprim17ROCPRIM_400000_NS6detail17trampoline_kernelINS0_14default_configENS1_20scan_config_selectorIsEEZZNS1_9scan_implILNS1_25lookback_scan_determinismE0ELb0ELb0ES3_N6thrust23THRUST_200600_302600_NS6detail15normal_iteratorINS9_10device_ptrIsEEEESE_sNS9_4plusIsEEsEEDaPvRmT3_T4_T5_mT6_P12ihipStream_tbENKUlT_T0_E_clISt17integral_constantIbLb1EEST_IbLb0EEEEDaSP_SQ_EUlSP_E0_NS1_11comp_targetILNS1_3genE2ELNS1_11target_archE906ELNS1_3gpuE6ELNS1_3repE0EEENS1_30default_config_static_selectorELNS0_4arch9wavefront6targetE1EEEvT1_.kd
    .uniform_work_group_size: 1
    .uses_dynamic_stack: false
    .vgpr_count:     0
    .vgpr_spill_count: 0
    .wavefront_size: 64
  - .agpr_count:     0
    .args:
      - .offset:         0
        .size:           32
        .value_kind:     by_value
    .group_segment_fixed_size: 0
    .kernarg_segment_align: 8
    .kernarg_segment_size: 32
    .language:       OpenCL C
    .language_version:
      - 2
      - 0
    .max_flat_workgroup_size: 256
    .name:           _ZN7rocprim17ROCPRIM_400000_NS6detail17trampoline_kernelINS0_14default_configENS1_20scan_config_selectorIsEEZZNS1_9scan_implILNS1_25lookback_scan_determinismE0ELb0ELb0ES3_N6thrust23THRUST_200600_302600_NS6detail15normal_iteratorINS9_10device_ptrIsEEEESE_sNS9_4plusIsEEsEEDaPvRmT3_T4_T5_mT6_P12ihipStream_tbENKUlT_T0_E_clISt17integral_constantIbLb1EEST_IbLb0EEEEDaSP_SQ_EUlSP_E0_NS1_11comp_targetILNS1_3genE10ELNS1_11target_archE1201ELNS1_3gpuE5ELNS1_3repE0EEENS1_30default_config_static_selectorELNS0_4arch9wavefront6targetE1EEEvT1_
    .private_segment_fixed_size: 0
    .sgpr_count:     4
    .sgpr_spill_count: 0
    .symbol:         _ZN7rocprim17ROCPRIM_400000_NS6detail17trampoline_kernelINS0_14default_configENS1_20scan_config_selectorIsEEZZNS1_9scan_implILNS1_25lookback_scan_determinismE0ELb0ELb0ES3_N6thrust23THRUST_200600_302600_NS6detail15normal_iteratorINS9_10device_ptrIsEEEESE_sNS9_4plusIsEEsEEDaPvRmT3_T4_T5_mT6_P12ihipStream_tbENKUlT_T0_E_clISt17integral_constantIbLb1EEST_IbLb0EEEEDaSP_SQ_EUlSP_E0_NS1_11comp_targetILNS1_3genE10ELNS1_11target_archE1201ELNS1_3gpuE5ELNS1_3repE0EEENS1_30default_config_static_selectorELNS0_4arch9wavefront6targetE1EEEvT1_.kd
    .uniform_work_group_size: 1
    .uses_dynamic_stack: false
    .vgpr_count:     0
    .vgpr_spill_count: 0
    .wavefront_size: 64
  - .agpr_count:     0
    .args:
      - .offset:         0
        .size:           32
        .value_kind:     by_value
    .group_segment_fixed_size: 0
    .kernarg_segment_align: 8
    .kernarg_segment_size: 32
    .language:       OpenCL C
    .language_version:
      - 2
      - 0
    .max_flat_workgroup_size: 256
    .name:           _ZN7rocprim17ROCPRIM_400000_NS6detail17trampoline_kernelINS0_14default_configENS1_20scan_config_selectorIsEEZZNS1_9scan_implILNS1_25lookback_scan_determinismE0ELb0ELb0ES3_N6thrust23THRUST_200600_302600_NS6detail15normal_iteratorINS9_10device_ptrIsEEEESE_sNS9_4plusIsEEsEEDaPvRmT3_T4_T5_mT6_P12ihipStream_tbENKUlT_T0_E_clISt17integral_constantIbLb1EEST_IbLb0EEEEDaSP_SQ_EUlSP_E0_NS1_11comp_targetILNS1_3genE10ELNS1_11target_archE1200ELNS1_3gpuE4ELNS1_3repE0EEENS1_30default_config_static_selectorELNS0_4arch9wavefront6targetE1EEEvT1_
    .private_segment_fixed_size: 0
    .sgpr_count:     4
    .sgpr_spill_count: 0
    .symbol:         _ZN7rocprim17ROCPRIM_400000_NS6detail17trampoline_kernelINS0_14default_configENS1_20scan_config_selectorIsEEZZNS1_9scan_implILNS1_25lookback_scan_determinismE0ELb0ELb0ES3_N6thrust23THRUST_200600_302600_NS6detail15normal_iteratorINS9_10device_ptrIsEEEESE_sNS9_4plusIsEEsEEDaPvRmT3_T4_T5_mT6_P12ihipStream_tbENKUlT_T0_E_clISt17integral_constantIbLb1EEST_IbLb0EEEEDaSP_SQ_EUlSP_E0_NS1_11comp_targetILNS1_3genE10ELNS1_11target_archE1200ELNS1_3gpuE4ELNS1_3repE0EEENS1_30default_config_static_selectorELNS0_4arch9wavefront6targetE1EEEvT1_.kd
    .uniform_work_group_size: 1
    .uses_dynamic_stack: false
    .vgpr_count:     0
    .vgpr_spill_count: 0
    .wavefront_size: 64
  - .agpr_count:     0
    .args:
      - .offset:         0
        .size:           32
        .value_kind:     by_value
    .group_segment_fixed_size: 0
    .kernarg_segment_align: 8
    .kernarg_segment_size: 32
    .language:       OpenCL C
    .language_version:
      - 2
      - 0
    .max_flat_workgroup_size: 64
    .name:           _ZN7rocprim17ROCPRIM_400000_NS6detail17trampoline_kernelINS0_14default_configENS1_20scan_config_selectorIsEEZZNS1_9scan_implILNS1_25lookback_scan_determinismE0ELb0ELb0ES3_N6thrust23THRUST_200600_302600_NS6detail15normal_iteratorINS9_10device_ptrIsEEEESE_sNS9_4plusIsEEsEEDaPvRmT3_T4_T5_mT6_P12ihipStream_tbENKUlT_T0_E_clISt17integral_constantIbLb1EEST_IbLb0EEEEDaSP_SQ_EUlSP_E0_NS1_11comp_targetILNS1_3genE9ELNS1_11target_archE1100ELNS1_3gpuE3ELNS1_3repE0EEENS1_30default_config_static_selectorELNS0_4arch9wavefront6targetE1EEEvT1_
    .private_segment_fixed_size: 0
    .sgpr_count:     4
    .sgpr_spill_count: 0
    .symbol:         _ZN7rocprim17ROCPRIM_400000_NS6detail17trampoline_kernelINS0_14default_configENS1_20scan_config_selectorIsEEZZNS1_9scan_implILNS1_25lookback_scan_determinismE0ELb0ELb0ES3_N6thrust23THRUST_200600_302600_NS6detail15normal_iteratorINS9_10device_ptrIsEEEESE_sNS9_4plusIsEEsEEDaPvRmT3_T4_T5_mT6_P12ihipStream_tbENKUlT_T0_E_clISt17integral_constantIbLb1EEST_IbLb0EEEEDaSP_SQ_EUlSP_E0_NS1_11comp_targetILNS1_3genE9ELNS1_11target_archE1100ELNS1_3gpuE3ELNS1_3repE0EEENS1_30default_config_static_selectorELNS0_4arch9wavefront6targetE1EEEvT1_.kd
    .uniform_work_group_size: 1
    .uses_dynamic_stack: false
    .vgpr_count:     0
    .vgpr_spill_count: 0
    .wavefront_size: 64
  - .agpr_count:     0
    .args:
      - .offset:         0
        .size:           32
        .value_kind:     by_value
    .group_segment_fixed_size: 0
    .kernarg_segment_align: 8
    .kernarg_segment_size: 32
    .language:       OpenCL C
    .language_version:
      - 2
      - 0
    .max_flat_workgroup_size: 64
    .name:           _ZN7rocprim17ROCPRIM_400000_NS6detail17trampoline_kernelINS0_14default_configENS1_20scan_config_selectorIsEEZZNS1_9scan_implILNS1_25lookback_scan_determinismE0ELb0ELb0ES3_N6thrust23THRUST_200600_302600_NS6detail15normal_iteratorINS9_10device_ptrIsEEEESE_sNS9_4plusIsEEsEEDaPvRmT3_T4_T5_mT6_P12ihipStream_tbENKUlT_T0_E_clISt17integral_constantIbLb1EEST_IbLb0EEEEDaSP_SQ_EUlSP_E0_NS1_11comp_targetILNS1_3genE8ELNS1_11target_archE1030ELNS1_3gpuE2ELNS1_3repE0EEENS1_30default_config_static_selectorELNS0_4arch9wavefront6targetE1EEEvT1_
    .private_segment_fixed_size: 0
    .sgpr_count:     4
    .sgpr_spill_count: 0
    .symbol:         _ZN7rocprim17ROCPRIM_400000_NS6detail17trampoline_kernelINS0_14default_configENS1_20scan_config_selectorIsEEZZNS1_9scan_implILNS1_25lookback_scan_determinismE0ELb0ELb0ES3_N6thrust23THRUST_200600_302600_NS6detail15normal_iteratorINS9_10device_ptrIsEEEESE_sNS9_4plusIsEEsEEDaPvRmT3_T4_T5_mT6_P12ihipStream_tbENKUlT_T0_E_clISt17integral_constantIbLb1EEST_IbLb0EEEEDaSP_SQ_EUlSP_E0_NS1_11comp_targetILNS1_3genE8ELNS1_11target_archE1030ELNS1_3gpuE2ELNS1_3repE0EEENS1_30default_config_static_selectorELNS0_4arch9wavefront6targetE1EEEvT1_.kd
    .uniform_work_group_size: 1
    .uses_dynamic_stack: false
    .vgpr_count:     0
    .vgpr_spill_count: 0
    .wavefront_size: 64
  - .agpr_count:     0
    .args:
      - .offset:         0
        .size:           96
        .value_kind:     by_value
    .group_segment_fixed_size: 0
    .kernarg_segment_align: 8
    .kernarg_segment_size: 96
    .language:       OpenCL C
    .language_version:
      - 2
      - 0
    .max_flat_workgroup_size: 128
    .name:           _ZN7rocprim17ROCPRIM_400000_NS6detail17trampoline_kernelINS0_14default_configENS1_20scan_config_selectorIsEEZZNS1_9scan_implILNS1_25lookback_scan_determinismE0ELb0ELb0ES3_N6thrust23THRUST_200600_302600_NS6detail15normal_iteratorINS9_10device_ptrIsEEEESE_sNS9_4plusIsEEsEEDaPvRmT3_T4_T5_mT6_P12ihipStream_tbENKUlT_T0_E_clISt17integral_constantIbLb0EEST_IbLb1EEEEDaSP_SQ_EUlSP_E_NS1_11comp_targetILNS1_3genE0ELNS1_11target_archE4294967295ELNS1_3gpuE0ELNS1_3repE0EEENS1_30default_config_static_selectorELNS0_4arch9wavefront6targetE1EEEvT1_
    .private_segment_fixed_size: 0
    .sgpr_count:     4
    .sgpr_spill_count: 0
    .symbol:         _ZN7rocprim17ROCPRIM_400000_NS6detail17trampoline_kernelINS0_14default_configENS1_20scan_config_selectorIsEEZZNS1_9scan_implILNS1_25lookback_scan_determinismE0ELb0ELb0ES3_N6thrust23THRUST_200600_302600_NS6detail15normal_iteratorINS9_10device_ptrIsEEEESE_sNS9_4plusIsEEsEEDaPvRmT3_T4_T5_mT6_P12ihipStream_tbENKUlT_T0_E_clISt17integral_constantIbLb0EEST_IbLb1EEEEDaSP_SQ_EUlSP_E_NS1_11comp_targetILNS1_3genE0ELNS1_11target_archE4294967295ELNS1_3gpuE0ELNS1_3repE0EEENS1_30default_config_static_selectorELNS0_4arch9wavefront6targetE1EEEvT1_.kd
    .uniform_work_group_size: 1
    .uses_dynamic_stack: false
    .vgpr_count:     0
    .vgpr_spill_count: 0
    .wavefront_size: 64
  - .agpr_count:     0
    .args:
      - .offset:         0
        .size:           96
        .value_kind:     by_value
    .group_segment_fixed_size: 0
    .kernarg_segment_align: 8
    .kernarg_segment_size: 96
    .language:       OpenCL C
    .language_version:
      - 2
      - 0
    .max_flat_workgroup_size: 256
    .name:           _ZN7rocprim17ROCPRIM_400000_NS6detail17trampoline_kernelINS0_14default_configENS1_20scan_config_selectorIsEEZZNS1_9scan_implILNS1_25lookback_scan_determinismE0ELb0ELb0ES3_N6thrust23THRUST_200600_302600_NS6detail15normal_iteratorINS9_10device_ptrIsEEEESE_sNS9_4plusIsEEsEEDaPvRmT3_T4_T5_mT6_P12ihipStream_tbENKUlT_T0_E_clISt17integral_constantIbLb0EEST_IbLb1EEEEDaSP_SQ_EUlSP_E_NS1_11comp_targetILNS1_3genE5ELNS1_11target_archE942ELNS1_3gpuE9ELNS1_3repE0EEENS1_30default_config_static_selectorELNS0_4arch9wavefront6targetE1EEEvT1_
    .private_segment_fixed_size: 0
    .sgpr_count:     4
    .sgpr_spill_count: 0
    .symbol:         _ZN7rocprim17ROCPRIM_400000_NS6detail17trampoline_kernelINS0_14default_configENS1_20scan_config_selectorIsEEZZNS1_9scan_implILNS1_25lookback_scan_determinismE0ELb0ELb0ES3_N6thrust23THRUST_200600_302600_NS6detail15normal_iteratorINS9_10device_ptrIsEEEESE_sNS9_4plusIsEEsEEDaPvRmT3_T4_T5_mT6_P12ihipStream_tbENKUlT_T0_E_clISt17integral_constantIbLb0EEST_IbLb1EEEEDaSP_SQ_EUlSP_E_NS1_11comp_targetILNS1_3genE5ELNS1_11target_archE942ELNS1_3gpuE9ELNS1_3repE0EEENS1_30default_config_static_selectorELNS0_4arch9wavefront6targetE1EEEvT1_.kd
    .uniform_work_group_size: 1
    .uses_dynamic_stack: false
    .vgpr_count:     0
    .vgpr_spill_count: 0
    .wavefront_size: 64
  - .agpr_count:     0
    .args:
      - .offset:         0
        .size:           96
        .value_kind:     by_value
    .group_segment_fixed_size: 3072
    .kernarg_segment_align: 8
    .kernarg_segment_size: 96
    .language:       OpenCL C
    .language_version:
      - 2
      - 0
    .max_flat_workgroup_size: 64
    .name:           _ZN7rocprim17ROCPRIM_400000_NS6detail17trampoline_kernelINS0_14default_configENS1_20scan_config_selectorIsEEZZNS1_9scan_implILNS1_25lookback_scan_determinismE0ELb0ELb0ES3_N6thrust23THRUST_200600_302600_NS6detail15normal_iteratorINS9_10device_ptrIsEEEESE_sNS9_4plusIsEEsEEDaPvRmT3_T4_T5_mT6_P12ihipStream_tbENKUlT_T0_E_clISt17integral_constantIbLb0EEST_IbLb1EEEEDaSP_SQ_EUlSP_E_NS1_11comp_targetILNS1_3genE4ELNS1_11target_archE910ELNS1_3gpuE8ELNS1_3repE0EEENS1_30default_config_static_selectorELNS0_4arch9wavefront6targetE1EEEvT1_
    .private_segment_fixed_size: 0
    .sgpr_count:     40
    .sgpr_spill_count: 0
    .symbol:         _ZN7rocprim17ROCPRIM_400000_NS6detail17trampoline_kernelINS0_14default_configENS1_20scan_config_selectorIsEEZZNS1_9scan_implILNS1_25lookback_scan_determinismE0ELb0ELb0ES3_N6thrust23THRUST_200600_302600_NS6detail15normal_iteratorINS9_10device_ptrIsEEEESE_sNS9_4plusIsEEsEEDaPvRmT3_T4_T5_mT6_P12ihipStream_tbENKUlT_T0_E_clISt17integral_constantIbLb0EEST_IbLb1EEEEDaSP_SQ_EUlSP_E_NS1_11comp_targetILNS1_3genE4ELNS1_11target_archE910ELNS1_3gpuE8ELNS1_3repE0EEENS1_30default_config_static_selectorELNS0_4arch9wavefront6targetE1EEEvT1_.kd
    .uniform_work_group_size: 1
    .uses_dynamic_stack: false
    .vgpr_count:     54
    .vgpr_spill_count: 0
    .wavefront_size: 64
  - .agpr_count:     0
    .args:
      - .offset:         0
        .size:           96
        .value_kind:     by_value
    .group_segment_fixed_size: 0
    .kernarg_segment_align: 8
    .kernarg_segment_size: 96
    .language:       OpenCL C
    .language_version:
      - 2
      - 0
    .max_flat_workgroup_size: 128
    .name:           _ZN7rocprim17ROCPRIM_400000_NS6detail17trampoline_kernelINS0_14default_configENS1_20scan_config_selectorIsEEZZNS1_9scan_implILNS1_25lookback_scan_determinismE0ELb0ELb0ES3_N6thrust23THRUST_200600_302600_NS6detail15normal_iteratorINS9_10device_ptrIsEEEESE_sNS9_4plusIsEEsEEDaPvRmT3_T4_T5_mT6_P12ihipStream_tbENKUlT_T0_E_clISt17integral_constantIbLb0EEST_IbLb1EEEEDaSP_SQ_EUlSP_E_NS1_11comp_targetILNS1_3genE3ELNS1_11target_archE908ELNS1_3gpuE7ELNS1_3repE0EEENS1_30default_config_static_selectorELNS0_4arch9wavefront6targetE1EEEvT1_
    .private_segment_fixed_size: 0
    .sgpr_count:     4
    .sgpr_spill_count: 0
    .symbol:         _ZN7rocprim17ROCPRIM_400000_NS6detail17trampoline_kernelINS0_14default_configENS1_20scan_config_selectorIsEEZZNS1_9scan_implILNS1_25lookback_scan_determinismE0ELb0ELb0ES3_N6thrust23THRUST_200600_302600_NS6detail15normal_iteratorINS9_10device_ptrIsEEEESE_sNS9_4plusIsEEsEEDaPvRmT3_T4_T5_mT6_P12ihipStream_tbENKUlT_T0_E_clISt17integral_constantIbLb0EEST_IbLb1EEEEDaSP_SQ_EUlSP_E_NS1_11comp_targetILNS1_3genE3ELNS1_11target_archE908ELNS1_3gpuE7ELNS1_3repE0EEENS1_30default_config_static_selectorELNS0_4arch9wavefront6targetE1EEEvT1_.kd
    .uniform_work_group_size: 1
    .uses_dynamic_stack: false
    .vgpr_count:     0
    .vgpr_spill_count: 0
    .wavefront_size: 64
  - .agpr_count:     0
    .args:
      - .offset:         0
        .size:           96
        .value_kind:     by_value
    .group_segment_fixed_size: 0
    .kernarg_segment_align: 8
    .kernarg_segment_size: 96
    .language:       OpenCL C
    .language_version:
      - 2
      - 0
    .max_flat_workgroup_size: 256
    .name:           _ZN7rocprim17ROCPRIM_400000_NS6detail17trampoline_kernelINS0_14default_configENS1_20scan_config_selectorIsEEZZNS1_9scan_implILNS1_25lookback_scan_determinismE0ELb0ELb0ES3_N6thrust23THRUST_200600_302600_NS6detail15normal_iteratorINS9_10device_ptrIsEEEESE_sNS9_4plusIsEEsEEDaPvRmT3_T4_T5_mT6_P12ihipStream_tbENKUlT_T0_E_clISt17integral_constantIbLb0EEST_IbLb1EEEEDaSP_SQ_EUlSP_E_NS1_11comp_targetILNS1_3genE2ELNS1_11target_archE906ELNS1_3gpuE6ELNS1_3repE0EEENS1_30default_config_static_selectorELNS0_4arch9wavefront6targetE1EEEvT1_
    .private_segment_fixed_size: 0
    .sgpr_count:     4
    .sgpr_spill_count: 0
    .symbol:         _ZN7rocprim17ROCPRIM_400000_NS6detail17trampoline_kernelINS0_14default_configENS1_20scan_config_selectorIsEEZZNS1_9scan_implILNS1_25lookback_scan_determinismE0ELb0ELb0ES3_N6thrust23THRUST_200600_302600_NS6detail15normal_iteratorINS9_10device_ptrIsEEEESE_sNS9_4plusIsEEsEEDaPvRmT3_T4_T5_mT6_P12ihipStream_tbENKUlT_T0_E_clISt17integral_constantIbLb0EEST_IbLb1EEEEDaSP_SQ_EUlSP_E_NS1_11comp_targetILNS1_3genE2ELNS1_11target_archE906ELNS1_3gpuE6ELNS1_3repE0EEENS1_30default_config_static_selectorELNS0_4arch9wavefront6targetE1EEEvT1_.kd
    .uniform_work_group_size: 1
    .uses_dynamic_stack: false
    .vgpr_count:     0
    .vgpr_spill_count: 0
    .wavefront_size: 64
  - .agpr_count:     0
    .args:
      - .offset:         0
        .size:           96
        .value_kind:     by_value
    .group_segment_fixed_size: 0
    .kernarg_segment_align: 8
    .kernarg_segment_size: 96
    .language:       OpenCL C
    .language_version:
      - 2
      - 0
    .max_flat_workgroup_size: 256
    .name:           _ZN7rocprim17ROCPRIM_400000_NS6detail17trampoline_kernelINS0_14default_configENS1_20scan_config_selectorIsEEZZNS1_9scan_implILNS1_25lookback_scan_determinismE0ELb0ELb0ES3_N6thrust23THRUST_200600_302600_NS6detail15normal_iteratorINS9_10device_ptrIsEEEESE_sNS9_4plusIsEEsEEDaPvRmT3_T4_T5_mT6_P12ihipStream_tbENKUlT_T0_E_clISt17integral_constantIbLb0EEST_IbLb1EEEEDaSP_SQ_EUlSP_E_NS1_11comp_targetILNS1_3genE10ELNS1_11target_archE1201ELNS1_3gpuE5ELNS1_3repE0EEENS1_30default_config_static_selectorELNS0_4arch9wavefront6targetE1EEEvT1_
    .private_segment_fixed_size: 0
    .sgpr_count:     4
    .sgpr_spill_count: 0
    .symbol:         _ZN7rocprim17ROCPRIM_400000_NS6detail17trampoline_kernelINS0_14default_configENS1_20scan_config_selectorIsEEZZNS1_9scan_implILNS1_25lookback_scan_determinismE0ELb0ELb0ES3_N6thrust23THRUST_200600_302600_NS6detail15normal_iteratorINS9_10device_ptrIsEEEESE_sNS9_4plusIsEEsEEDaPvRmT3_T4_T5_mT6_P12ihipStream_tbENKUlT_T0_E_clISt17integral_constantIbLb0EEST_IbLb1EEEEDaSP_SQ_EUlSP_E_NS1_11comp_targetILNS1_3genE10ELNS1_11target_archE1201ELNS1_3gpuE5ELNS1_3repE0EEENS1_30default_config_static_selectorELNS0_4arch9wavefront6targetE1EEEvT1_.kd
    .uniform_work_group_size: 1
    .uses_dynamic_stack: false
    .vgpr_count:     0
    .vgpr_spill_count: 0
    .wavefront_size: 64
  - .agpr_count:     0
    .args:
      - .offset:         0
        .size:           96
        .value_kind:     by_value
    .group_segment_fixed_size: 0
    .kernarg_segment_align: 8
    .kernarg_segment_size: 96
    .language:       OpenCL C
    .language_version:
      - 2
      - 0
    .max_flat_workgroup_size: 256
    .name:           _ZN7rocprim17ROCPRIM_400000_NS6detail17trampoline_kernelINS0_14default_configENS1_20scan_config_selectorIsEEZZNS1_9scan_implILNS1_25lookback_scan_determinismE0ELb0ELb0ES3_N6thrust23THRUST_200600_302600_NS6detail15normal_iteratorINS9_10device_ptrIsEEEESE_sNS9_4plusIsEEsEEDaPvRmT3_T4_T5_mT6_P12ihipStream_tbENKUlT_T0_E_clISt17integral_constantIbLb0EEST_IbLb1EEEEDaSP_SQ_EUlSP_E_NS1_11comp_targetILNS1_3genE10ELNS1_11target_archE1200ELNS1_3gpuE4ELNS1_3repE0EEENS1_30default_config_static_selectorELNS0_4arch9wavefront6targetE1EEEvT1_
    .private_segment_fixed_size: 0
    .sgpr_count:     4
    .sgpr_spill_count: 0
    .symbol:         _ZN7rocprim17ROCPRIM_400000_NS6detail17trampoline_kernelINS0_14default_configENS1_20scan_config_selectorIsEEZZNS1_9scan_implILNS1_25lookback_scan_determinismE0ELb0ELb0ES3_N6thrust23THRUST_200600_302600_NS6detail15normal_iteratorINS9_10device_ptrIsEEEESE_sNS9_4plusIsEEsEEDaPvRmT3_T4_T5_mT6_P12ihipStream_tbENKUlT_T0_E_clISt17integral_constantIbLb0EEST_IbLb1EEEEDaSP_SQ_EUlSP_E_NS1_11comp_targetILNS1_3genE10ELNS1_11target_archE1200ELNS1_3gpuE4ELNS1_3repE0EEENS1_30default_config_static_selectorELNS0_4arch9wavefront6targetE1EEEvT1_.kd
    .uniform_work_group_size: 1
    .uses_dynamic_stack: false
    .vgpr_count:     0
    .vgpr_spill_count: 0
    .wavefront_size: 64
  - .agpr_count:     0
    .args:
      - .offset:         0
        .size:           96
        .value_kind:     by_value
    .group_segment_fixed_size: 0
    .kernarg_segment_align: 8
    .kernarg_segment_size: 96
    .language:       OpenCL C
    .language_version:
      - 2
      - 0
    .max_flat_workgroup_size: 64
    .name:           _ZN7rocprim17ROCPRIM_400000_NS6detail17trampoline_kernelINS0_14default_configENS1_20scan_config_selectorIsEEZZNS1_9scan_implILNS1_25lookback_scan_determinismE0ELb0ELb0ES3_N6thrust23THRUST_200600_302600_NS6detail15normal_iteratorINS9_10device_ptrIsEEEESE_sNS9_4plusIsEEsEEDaPvRmT3_T4_T5_mT6_P12ihipStream_tbENKUlT_T0_E_clISt17integral_constantIbLb0EEST_IbLb1EEEEDaSP_SQ_EUlSP_E_NS1_11comp_targetILNS1_3genE9ELNS1_11target_archE1100ELNS1_3gpuE3ELNS1_3repE0EEENS1_30default_config_static_selectorELNS0_4arch9wavefront6targetE1EEEvT1_
    .private_segment_fixed_size: 0
    .sgpr_count:     4
    .sgpr_spill_count: 0
    .symbol:         _ZN7rocprim17ROCPRIM_400000_NS6detail17trampoline_kernelINS0_14default_configENS1_20scan_config_selectorIsEEZZNS1_9scan_implILNS1_25lookback_scan_determinismE0ELb0ELb0ES3_N6thrust23THRUST_200600_302600_NS6detail15normal_iteratorINS9_10device_ptrIsEEEESE_sNS9_4plusIsEEsEEDaPvRmT3_T4_T5_mT6_P12ihipStream_tbENKUlT_T0_E_clISt17integral_constantIbLb0EEST_IbLb1EEEEDaSP_SQ_EUlSP_E_NS1_11comp_targetILNS1_3genE9ELNS1_11target_archE1100ELNS1_3gpuE3ELNS1_3repE0EEENS1_30default_config_static_selectorELNS0_4arch9wavefront6targetE1EEEvT1_.kd
    .uniform_work_group_size: 1
    .uses_dynamic_stack: false
    .vgpr_count:     0
    .vgpr_spill_count: 0
    .wavefront_size: 64
  - .agpr_count:     0
    .args:
      - .offset:         0
        .size:           96
        .value_kind:     by_value
    .group_segment_fixed_size: 0
    .kernarg_segment_align: 8
    .kernarg_segment_size: 96
    .language:       OpenCL C
    .language_version:
      - 2
      - 0
    .max_flat_workgroup_size: 64
    .name:           _ZN7rocprim17ROCPRIM_400000_NS6detail17trampoline_kernelINS0_14default_configENS1_20scan_config_selectorIsEEZZNS1_9scan_implILNS1_25lookback_scan_determinismE0ELb0ELb0ES3_N6thrust23THRUST_200600_302600_NS6detail15normal_iteratorINS9_10device_ptrIsEEEESE_sNS9_4plusIsEEsEEDaPvRmT3_T4_T5_mT6_P12ihipStream_tbENKUlT_T0_E_clISt17integral_constantIbLb0EEST_IbLb1EEEEDaSP_SQ_EUlSP_E_NS1_11comp_targetILNS1_3genE8ELNS1_11target_archE1030ELNS1_3gpuE2ELNS1_3repE0EEENS1_30default_config_static_selectorELNS0_4arch9wavefront6targetE1EEEvT1_
    .private_segment_fixed_size: 0
    .sgpr_count:     4
    .sgpr_spill_count: 0
    .symbol:         _ZN7rocprim17ROCPRIM_400000_NS6detail17trampoline_kernelINS0_14default_configENS1_20scan_config_selectorIsEEZZNS1_9scan_implILNS1_25lookback_scan_determinismE0ELb0ELb0ES3_N6thrust23THRUST_200600_302600_NS6detail15normal_iteratorINS9_10device_ptrIsEEEESE_sNS9_4plusIsEEsEEDaPvRmT3_T4_T5_mT6_P12ihipStream_tbENKUlT_T0_E_clISt17integral_constantIbLb0EEST_IbLb1EEEEDaSP_SQ_EUlSP_E_NS1_11comp_targetILNS1_3genE8ELNS1_11target_archE1030ELNS1_3gpuE2ELNS1_3repE0EEENS1_30default_config_static_selectorELNS0_4arch9wavefront6targetE1EEEvT1_.kd
    .uniform_work_group_size: 1
    .uses_dynamic_stack: false
    .vgpr_count:     0
    .vgpr_spill_count: 0
    .wavefront_size: 64
  - .agpr_count:     0
    .args:
      - .offset:         0
        .size:           32
        .value_kind:     by_value
    .group_segment_fixed_size: 0
    .kernarg_segment_align: 8
    .kernarg_segment_size: 32
    .language:       OpenCL C
    .language_version:
      - 2
      - 0
    .max_flat_workgroup_size: 128
    .name:           _ZN7rocprim17ROCPRIM_400000_NS6detail17trampoline_kernelINS0_14default_configENS1_20scan_config_selectorIsEEZZNS1_9scan_implILNS1_25lookback_scan_determinismE0ELb0ELb0ES3_N6thrust23THRUST_200600_302600_NS6detail15normal_iteratorINS9_10device_ptrIsEEEESE_sNS9_4plusIsEEsEEDaPvRmT3_T4_T5_mT6_P12ihipStream_tbENKUlT_T0_E_clISt17integral_constantIbLb0EEST_IbLb1EEEEDaSP_SQ_EUlSP_E0_NS1_11comp_targetILNS1_3genE0ELNS1_11target_archE4294967295ELNS1_3gpuE0ELNS1_3repE0EEENS1_30default_config_static_selectorELNS0_4arch9wavefront6targetE1EEEvT1_
    .private_segment_fixed_size: 0
    .sgpr_count:     4
    .sgpr_spill_count: 0
    .symbol:         _ZN7rocprim17ROCPRIM_400000_NS6detail17trampoline_kernelINS0_14default_configENS1_20scan_config_selectorIsEEZZNS1_9scan_implILNS1_25lookback_scan_determinismE0ELb0ELb0ES3_N6thrust23THRUST_200600_302600_NS6detail15normal_iteratorINS9_10device_ptrIsEEEESE_sNS9_4plusIsEEsEEDaPvRmT3_T4_T5_mT6_P12ihipStream_tbENKUlT_T0_E_clISt17integral_constantIbLb0EEST_IbLb1EEEEDaSP_SQ_EUlSP_E0_NS1_11comp_targetILNS1_3genE0ELNS1_11target_archE4294967295ELNS1_3gpuE0ELNS1_3repE0EEENS1_30default_config_static_selectorELNS0_4arch9wavefront6targetE1EEEvT1_.kd
    .uniform_work_group_size: 1
    .uses_dynamic_stack: false
    .vgpr_count:     0
    .vgpr_spill_count: 0
    .wavefront_size: 64
  - .agpr_count:     0
    .args:
      - .offset:         0
        .size:           32
        .value_kind:     by_value
    .group_segment_fixed_size: 0
    .kernarg_segment_align: 8
    .kernarg_segment_size: 32
    .language:       OpenCL C
    .language_version:
      - 2
      - 0
    .max_flat_workgroup_size: 256
    .name:           _ZN7rocprim17ROCPRIM_400000_NS6detail17trampoline_kernelINS0_14default_configENS1_20scan_config_selectorIsEEZZNS1_9scan_implILNS1_25lookback_scan_determinismE0ELb0ELb0ES3_N6thrust23THRUST_200600_302600_NS6detail15normal_iteratorINS9_10device_ptrIsEEEESE_sNS9_4plusIsEEsEEDaPvRmT3_T4_T5_mT6_P12ihipStream_tbENKUlT_T0_E_clISt17integral_constantIbLb0EEST_IbLb1EEEEDaSP_SQ_EUlSP_E0_NS1_11comp_targetILNS1_3genE5ELNS1_11target_archE942ELNS1_3gpuE9ELNS1_3repE0EEENS1_30default_config_static_selectorELNS0_4arch9wavefront6targetE1EEEvT1_
    .private_segment_fixed_size: 0
    .sgpr_count:     4
    .sgpr_spill_count: 0
    .symbol:         _ZN7rocprim17ROCPRIM_400000_NS6detail17trampoline_kernelINS0_14default_configENS1_20scan_config_selectorIsEEZZNS1_9scan_implILNS1_25lookback_scan_determinismE0ELb0ELb0ES3_N6thrust23THRUST_200600_302600_NS6detail15normal_iteratorINS9_10device_ptrIsEEEESE_sNS9_4plusIsEEsEEDaPvRmT3_T4_T5_mT6_P12ihipStream_tbENKUlT_T0_E_clISt17integral_constantIbLb0EEST_IbLb1EEEEDaSP_SQ_EUlSP_E0_NS1_11comp_targetILNS1_3genE5ELNS1_11target_archE942ELNS1_3gpuE9ELNS1_3repE0EEENS1_30default_config_static_selectorELNS0_4arch9wavefront6targetE1EEEvT1_.kd
    .uniform_work_group_size: 1
    .uses_dynamic_stack: false
    .vgpr_count:     0
    .vgpr_spill_count: 0
    .wavefront_size: 64
  - .agpr_count:     0
    .args:
      - .offset:         0
        .size:           32
        .value_kind:     by_value
    .group_segment_fixed_size: 3072
    .kernarg_segment_align: 8
    .kernarg_segment_size: 32
    .language:       OpenCL C
    .language_version:
      - 2
      - 0
    .max_flat_workgroup_size: 64
    .name:           _ZN7rocprim17ROCPRIM_400000_NS6detail17trampoline_kernelINS0_14default_configENS1_20scan_config_selectorIsEEZZNS1_9scan_implILNS1_25lookback_scan_determinismE0ELb0ELb0ES3_N6thrust23THRUST_200600_302600_NS6detail15normal_iteratorINS9_10device_ptrIsEEEESE_sNS9_4plusIsEEsEEDaPvRmT3_T4_T5_mT6_P12ihipStream_tbENKUlT_T0_E_clISt17integral_constantIbLb0EEST_IbLb1EEEEDaSP_SQ_EUlSP_E0_NS1_11comp_targetILNS1_3genE4ELNS1_11target_archE910ELNS1_3gpuE8ELNS1_3repE0EEENS1_30default_config_static_selectorELNS0_4arch9wavefront6targetE1EEEvT1_
    .private_segment_fixed_size: 0
    .sgpr_count:     60
    .sgpr_spill_count: 0
    .symbol:         _ZN7rocprim17ROCPRIM_400000_NS6detail17trampoline_kernelINS0_14default_configENS1_20scan_config_selectorIsEEZZNS1_9scan_implILNS1_25lookback_scan_determinismE0ELb0ELb0ES3_N6thrust23THRUST_200600_302600_NS6detail15normal_iteratorINS9_10device_ptrIsEEEESE_sNS9_4plusIsEEsEEDaPvRmT3_T4_T5_mT6_P12ihipStream_tbENKUlT_T0_E_clISt17integral_constantIbLb0EEST_IbLb1EEEEDaSP_SQ_EUlSP_E0_NS1_11comp_targetILNS1_3genE4ELNS1_11target_archE910ELNS1_3gpuE8ELNS1_3repE0EEENS1_30default_config_static_selectorELNS0_4arch9wavefront6targetE1EEEvT1_.kd
    .uniform_work_group_size: 1
    .uses_dynamic_stack: false
    .vgpr_count:     42
    .vgpr_spill_count: 0
    .wavefront_size: 64
  - .agpr_count:     0
    .args:
      - .offset:         0
        .size:           32
        .value_kind:     by_value
    .group_segment_fixed_size: 0
    .kernarg_segment_align: 8
    .kernarg_segment_size: 32
    .language:       OpenCL C
    .language_version:
      - 2
      - 0
    .max_flat_workgroup_size: 128
    .name:           _ZN7rocprim17ROCPRIM_400000_NS6detail17trampoline_kernelINS0_14default_configENS1_20scan_config_selectorIsEEZZNS1_9scan_implILNS1_25lookback_scan_determinismE0ELb0ELb0ES3_N6thrust23THRUST_200600_302600_NS6detail15normal_iteratorINS9_10device_ptrIsEEEESE_sNS9_4plusIsEEsEEDaPvRmT3_T4_T5_mT6_P12ihipStream_tbENKUlT_T0_E_clISt17integral_constantIbLb0EEST_IbLb1EEEEDaSP_SQ_EUlSP_E0_NS1_11comp_targetILNS1_3genE3ELNS1_11target_archE908ELNS1_3gpuE7ELNS1_3repE0EEENS1_30default_config_static_selectorELNS0_4arch9wavefront6targetE1EEEvT1_
    .private_segment_fixed_size: 0
    .sgpr_count:     4
    .sgpr_spill_count: 0
    .symbol:         _ZN7rocprim17ROCPRIM_400000_NS6detail17trampoline_kernelINS0_14default_configENS1_20scan_config_selectorIsEEZZNS1_9scan_implILNS1_25lookback_scan_determinismE0ELb0ELb0ES3_N6thrust23THRUST_200600_302600_NS6detail15normal_iteratorINS9_10device_ptrIsEEEESE_sNS9_4plusIsEEsEEDaPvRmT3_T4_T5_mT6_P12ihipStream_tbENKUlT_T0_E_clISt17integral_constantIbLb0EEST_IbLb1EEEEDaSP_SQ_EUlSP_E0_NS1_11comp_targetILNS1_3genE3ELNS1_11target_archE908ELNS1_3gpuE7ELNS1_3repE0EEENS1_30default_config_static_selectorELNS0_4arch9wavefront6targetE1EEEvT1_.kd
    .uniform_work_group_size: 1
    .uses_dynamic_stack: false
    .vgpr_count:     0
    .vgpr_spill_count: 0
    .wavefront_size: 64
  - .agpr_count:     0
    .args:
      - .offset:         0
        .size:           32
        .value_kind:     by_value
    .group_segment_fixed_size: 0
    .kernarg_segment_align: 8
    .kernarg_segment_size: 32
    .language:       OpenCL C
    .language_version:
      - 2
      - 0
    .max_flat_workgroup_size: 256
    .name:           _ZN7rocprim17ROCPRIM_400000_NS6detail17trampoline_kernelINS0_14default_configENS1_20scan_config_selectorIsEEZZNS1_9scan_implILNS1_25lookback_scan_determinismE0ELb0ELb0ES3_N6thrust23THRUST_200600_302600_NS6detail15normal_iteratorINS9_10device_ptrIsEEEESE_sNS9_4plusIsEEsEEDaPvRmT3_T4_T5_mT6_P12ihipStream_tbENKUlT_T0_E_clISt17integral_constantIbLb0EEST_IbLb1EEEEDaSP_SQ_EUlSP_E0_NS1_11comp_targetILNS1_3genE2ELNS1_11target_archE906ELNS1_3gpuE6ELNS1_3repE0EEENS1_30default_config_static_selectorELNS0_4arch9wavefront6targetE1EEEvT1_
    .private_segment_fixed_size: 0
    .sgpr_count:     4
    .sgpr_spill_count: 0
    .symbol:         _ZN7rocprim17ROCPRIM_400000_NS6detail17trampoline_kernelINS0_14default_configENS1_20scan_config_selectorIsEEZZNS1_9scan_implILNS1_25lookback_scan_determinismE0ELb0ELb0ES3_N6thrust23THRUST_200600_302600_NS6detail15normal_iteratorINS9_10device_ptrIsEEEESE_sNS9_4plusIsEEsEEDaPvRmT3_T4_T5_mT6_P12ihipStream_tbENKUlT_T0_E_clISt17integral_constantIbLb0EEST_IbLb1EEEEDaSP_SQ_EUlSP_E0_NS1_11comp_targetILNS1_3genE2ELNS1_11target_archE906ELNS1_3gpuE6ELNS1_3repE0EEENS1_30default_config_static_selectorELNS0_4arch9wavefront6targetE1EEEvT1_.kd
    .uniform_work_group_size: 1
    .uses_dynamic_stack: false
    .vgpr_count:     0
    .vgpr_spill_count: 0
    .wavefront_size: 64
  - .agpr_count:     0
    .args:
      - .offset:         0
        .size:           32
        .value_kind:     by_value
    .group_segment_fixed_size: 0
    .kernarg_segment_align: 8
    .kernarg_segment_size: 32
    .language:       OpenCL C
    .language_version:
      - 2
      - 0
    .max_flat_workgroup_size: 256
    .name:           _ZN7rocprim17ROCPRIM_400000_NS6detail17trampoline_kernelINS0_14default_configENS1_20scan_config_selectorIsEEZZNS1_9scan_implILNS1_25lookback_scan_determinismE0ELb0ELb0ES3_N6thrust23THRUST_200600_302600_NS6detail15normal_iteratorINS9_10device_ptrIsEEEESE_sNS9_4plusIsEEsEEDaPvRmT3_T4_T5_mT6_P12ihipStream_tbENKUlT_T0_E_clISt17integral_constantIbLb0EEST_IbLb1EEEEDaSP_SQ_EUlSP_E0_NS1_11comp_targetILNS1_3genE10ELNS1_11target_archE1201ELNS1_3gpuE5ELNS1_3repE0EEENS1_30default_config_static_selectorELNS0_4arch9wavefront6targetE1EEEvT1_
    .private_segment_fixed_size: 0
    .sgpr_count:     4
    .sgpr_spill_count: 0
    .symbol:         _ZN7rocprim17ROCPRIM_400000_NS6detail17trampoline_kernelINS0_14default_configENS1_20scan_config_selectorIsEEZZNS1_9scan_implILNS1_25lookback_scan_determinismE0ELb0ELb0ES3_N6thrust23THRUST_200600_302600_NS6detail15normal_iteratorINS9_10device_ptrIsEEEESE_sNS9_4plusIsEEsEEDaPvRmT3_T4_T5_mT6_P12ihipStream_tbENKUlT_T0_E_clISt17integral_constantIbLb0EEST_IbLb1EEEEDaSP_SQ_EUlSP_E0_NS1_11comp_targetILNS1_3genE10ELNS1_11target_archE1201ELNS1_3gpuE5ELNS1_3repE0EEENS1_30default_config_static_selectorELNS0_4arch9wavefront6targetE1EEEvT1_.kd
    .uniform_work_group_size: 1
    .uses_dynamic_stack: false
    .vgpr_count:     0
    .vgpr_spill_count: 0
    .wavefront_size: 64
  - .agpr_count:     0
    .args:
      - .offset:         0
        .size:           32
        .value_kind:     by_value
    .group_segment_fixed_size: 0
    .kernarg_segment_align: 8
    .kernarg_segment_size: 32
    .language:       OpenCL C
    .language_version:
      - 2
      - 0
    .max_flat_workgroup_size: 256
    .name:           _ZN7rocprim17ROCPRIM_400000_NS6detail17trampoline_kernelINS0_14default_configENS1_20scan_config_selectorIsEEZZNS1_9scan_implILNS1_25lookback_scan_determinismE0ELb0ELb0ES3_N6thrust23THRUST_200600_302600_NS6detail15normal_iteratorINS9_10device_ptrIsEEEESE_sNS9_4plusIsEEsEEDaPvRmT3_T4_T5_mT6_P12ihipStream_tbENKUlT_T0_E_clISt17integral_constantIbLb0EEST_IbLb1EEEEDaSP_SQ_EUlSP_E0_NS1_11comp_targetILNS1_3genE10ELNS1_11target_archE1200ELNS1_3gpuE4ELNS1_3repE0EEENS1_30default_config_static_selectorELNS0_4arch9wavefront6targetE1EEEvT1_
    .private_segment_fixed_size: 0
    .sgpr_count:     4
    .sgpr_spill_count: 0
    .symbol:         _ZN7rocprim17ROCPRIM_400000_NS6detail17trampoline_kernelINS0_14default_configENS1_20scan_config_selectorIsEEZZNS1_9scan_implILNS1_25lookback_scan_determinismE0ELb0ELb0ES3_N6thrust23THRUST_200600_302600_NS6detail15normal_iteratorINS9_10device_ptrIsEEEESE_sNS9_4plusIsEEsEEDaPvRmT3_T4_T5_mT6_P12ihipStream_tbENKUlT_T0_E_clISt17integral_constantIbLb0EEST_IbLb1EEEEDaSP_SQ_EUlSP_E0_NS1_11comp_targetILNS1_3genE10ELNS1_11target_archE1200ELNS1_3gpuE4ELNS1_3repE0EEENS1_30default_config_static_selectorELNS0_4arch9wavefront6targetE1EEEvT1_.kd
    .uniform_work_group_size: 1
    .uses_dynamic_stack: false
    .vgpr_count:     0
    .vgpr_spill_count: 0
    .wavefront_size: 64
  - .agpr_count:     0
    .args:
      - .offset:         0
        .size:           32
        .value_kind:     by_value
    .group_segment_fixed_size: 0
    .kernarg_segment_align: 8
    .kernarg_segment_size: 32
    .language:       OpenCL C
    .language_version:
      - 2
      - 0
    .max_flat_workgroup_size: 64
    .name:           _ZN7rocprim17ROCPRIM_400000_NS6detail17trampoline_kernelINS0_14default_configENS1_20scan_config_selectorIsEEZZNS1_9scan_implILNS1_25lookback_scan_determinismE0ELb0ELb0ES3_N6thrust23THRUST_200600_302600_NS6detail15normal_iteratorINS9_10device_ptrIsEEEESE_sNS9_4plusIsEEsEEDaPvRmT3_T4_T5_mT6_P12ihipStream_tbENKUlT_T0_E_clISt17integral_constantIbLb0EEST_IbLb1EEEEDaSP_SQ_EUlSP_E0_NS1_11comp_targetILNS1_3genE9ELNS1_11target_archE1100ELNS1_3gpuE3ELNS1_3repE0EEENS1_30default_config_static_selectorELNS0_4arch9wavefront6targetE1EEEvT1_
    .private_segment_fixed_size: 0
    .sgpr_count:     4
    .sgpr_spill_count: 0
    .symbol:         _ZN7rocprim17ROCPRIM_400000_NS6detail17trampoline_kernelINS0_14default_configENS1_20scan_config_selectorIsEEZZNS1_9scan_implILNS1_25lookback_scan_determinismE0ELb0ELb0ES3_N6thrust23THRUST_200600_302600_NS6detail15normal_iteratorINS9_10device_ptrIsEEEESE_sNS9_4plusIsEEsEEDaPvRmT3_T4_T5_mT6_P12ihipStream_tbENKUlT_T0_E_clISt17integral_constantIbLb0EEST_IbLb1EEEEDaSP_SQ_EUlSP_E0_NS1_11comp_targetILNS1_3genE9ELNS1_11target_archE1100ELNS1_3gpuE3ELNS1_3repE0EEENS1_30default_config_static_selectorELNS0_4arch9wavefront6targetE1EEEvT1_.kd
    .uniform_work_group_size: 1
    .uses_dynamic_stack: false
    .vgpr_count:     0
    .vgpr_spill_count: 0
    .wavefront_size: 64
  - .agpr_count:     0
    .args:
      - .offset:         0
        .size:           32
        .value_kind:     by_value
    .group_segment_fixed_size: 0
    .kernarg_segment_align: 8
    .kernarg_segment_size: 32
    .language:       OpenCL C
    .language_version:
      - 2
      - 0
    .max_flat_workgroup_size: 64
    .name:           _ZN7rocprim17ROCPRIM_400000_NS6detail17trampoline_kernelINS0_14default_configENS1_20scan_config_selectorIsEEZZNS1_9scan_implILNS1_25lookback_scan_determinismE0ELb0ELb0ES3_N6thrust23THRUST_200600_302600_NS6detail15normal_iteratorINS9_10device_ptrIsEEEESE_sNS9_4plusIsEEsEEDaPvRmT3_T4_T5_mT6_P12ihipStream_tbENKUlT_T0_E_clISt17integral_constantIbLb0EEST_IbLb1EEEEDaSP_SQ_EUlSP_E0_NS1_11comp_targetILNS1_3genE8ELNS1_11target_archE1030ELNS1_3gpuE2ELNS1_3repE0EEENS1_30default_config_static_selectorELNS0_4arch9wavefront6targetE1EEEvT1_
    .private_segment_fixed_size: 0
    .sgpr_count:     4
    .sgpr_spill_count: 0
    .symbol:         _ZN7rocprim17ROCPRIM_400000_NS6detail17trampoline_kernelINS0_14default_configENS1_20scan_config_selectorIsEEZZNS1_9scan_implILNS1_25lookback_scan_determinismE0ELb0ELb0ES3_N6thrust23THRUST_200600_302600_NS6detail15normal_iteratorINS9_10device_ptrIsEEEESE_sNS9_4plusIsEEsEEDaPvRmT3_T4_T5_mT6_P12ihipStream_tbENKUlT_T0_E_clISt17integral_constantIbLb0EEST_IbLb1EEEEDaSP_SQ_EUlSP_E0_NS1_11comp_targetILNS1_3genE8ELNS1_11target_archE1030ELNS1_3gpuE2ELNS1_3repE0EEENS1_30default_config_static_selectorELNS0_4arch9wavefront6targetE1EEEvT1_.kd
    .uniform_work_group_size: 1
    .uses_dynamic_stack: false
    .vgpr_count:     0
    .vgpr_spill_count: 0
    .wavefront_size: 64
  - .agpr_count:     0
    .args:
      - .offset:         0
        .size:           96
        .value_kind:     by_value
    .group_segment_fixed_size: 0
    .kernarg_segment_align: 8
    .kernarg_segment_size: 96
    .language:       OpenCL C
    .language_version:
      - 2
      - 0
    .max_flat_workgroup_size: 128
    .name:           _ZN7rocprim17ROCPRIM_400000_NS6detail17trampoline_kernelINS0_14default_configENS1_20scan_config_selectorIsEEZZNS1_9scan_implILNS1_25lookback_scan_determinismE0ELb0ELb1ES3_N6thrust23THRUST_200600_302600_NS6detail15normal_iteratorINS9_10device_ptrIsEEEESE_sNS9_10multipliesIsEEsEEDaPvRmT3_T4_T5_mT6_P12ihipStream_tbENKUlT_T0_E_clISt17integral_constantIbLb0EESU_EEDaSP_SQ_EUlSP_E_NS1_11comp_targetILNS1_3genE0ELNS1_11target_archE4294967295ELNS1_3gpuE0ELNS1_3repE0EEENS1_30default_config_static_selectorELNS0_4arch9wavefront6targetE1EEEvT1_
    .private_segment_fixed_size: 0
    .sgpr_count:     4
    .sgpr_spill_count: 0
    .symbol:         _ZN7rocprim17ROCPRIM_400000_NS6detail17trampoline_kernelINS0_14default_configENS1_20scan_config_selectorIsEEZZNS1_9scan_implILNS1_25lookback_scan_determinismE0ELb0ELb1ES3_N6thrust23THRUST_200600_302600_NS6detail15normal_iteratorINS9_10device_ptrIsEEEESE_sNS9_10multipliesIsEEsEEDaPvRmT3_T4_T5_mT6_P12ihipStream_tbENKUlT_T0_E_clISt17integral_constantIbLb0EESU_EEDaSP_SQ_EUlSP_E_NS1_11comp_targetILNS1_3genE0ELNS1_11target_archE4294967295ELNS1_3gpuE0ELNS1_3repE0EEENS1_30default_config_static_selectorELNS0_4arch9wavefront6targetE1EEEvT1_.kd
    .uniform_work_group_size: 1
    .uses_dynamic_stack: false
    .vgpr_count:     0
    .vgpr_spill_count: 0
    .wavefront_size: 64
  - .agpr_count:     0
    .args:
      - .offset:         0
        .size:           96
        .value_kind:     by_value
    .group_segment_fixed_size: 0
    .kernarg_segment_align: 8
    .kernarg_segment_size: 96
    .language:       OpenCL C
    .language_version:
      - 2
      - 0
    .max_flat_workgroup_size: 256
    .name:           _ZN7rocprim17ROCPRIM_400000_NS6detail17trampoline_kernelINS0_14default_configENS1_20scan_config_selectorIsEEZZNS1_9scan_implILNS1_25lookback_scan_determinismE0ELb0ELb1ES3_N6thrust23THRUST_200600_302600_NS6detail15normal_iteratorINS9_10device_ptrIsEEEESE_sNS9_10multipliesIsEEsEEDaPvRmT3_T4_T5_mT6_P12ihipStream_tbENKUlT_T0_E_clISt17integral_constantIbLb0EESU_EEDaSP_SQ_EUlSP_E_NS1_11comp_targetILNS1_3genE5ELNS1_11target_archE942ELNS1_3gpuE9ELNS1_3repE0EEENS1_30default_config_static_selectorELNS0_4arch9wavefront6targetE1EEEvT1_
    .private_segment_fixed_size: 0
    .sgpr_count:     4
    .sgpr_spill_count: 0
    .symbol:         _ZN7rocprim17ROCPRIM_400000_NS6detail17trampoline_kernelINS0_14default_configENS1_20scan_config_selectorIsEEZZNS1_9scan_implILNS1_25lookback_scan_determinismE0ELb0ELb1ES3_N6thrust23THRUST_200600_302600_NS6detail15normal_iteratorINS9_10device_ptrIsEEEESE_sNS9_10multipliesIsEEsEEDaPvRmT3_T4_T5_mT6_P12ihipStream_tbENKUlT_T0_E_clISt17integral_constantIbLb0EESU_EEDaSP_SQ_EUlSP_E_NS1_11comp_targetILNS1_3genE5ELNS1_11target_archE942ELNS1_3gpuE9ELNS1_3repE0EEENS1_30default_config_static_selectorELNS0_4arch9wavefront6targetE1EEEvT1_.kd
    .uniform_work_group_size: 1
    .uses_dynamic_stack: false
    .vgpr_count:     0
    .vgpr_spill_count: 0
    .wavefront_size: 64
  - .agpr_count:     0
    .args:
      - .offset:         0
        .size:           96
        .value_kind:     by_value
    .group_segment_fixed_size: 3072
    .kernarg_segment_align: 8
    .kernarg_segment_size: 96
    .language:       OpenCL C
    .language_version:
      - 2
      - 0
    .max_flat_workgroup_size: 64
    .name:           _ZN7rocprim17ROCPRIM_400000_NS6detail17trampoline_kernelINS0_14default_configENS1_20scan_config_selectorIsEEZZNS1_9scan_implILNS1_25lookback_scan_determinismE0ELb0ELb1ES3_N6thrust23THRUST_200600_302600_NS6detail15normal_iteratorINS9_10device_ptrIsEEEESE_sNS9_10multipliesIsEEsEEDaPvRmT3_T4_T5_mT6_P12ihipStream_tbENKUlT_T0_E_clISt17integral_constantIbLb0EESU_EEDaSP_SQ_EUlSP_E_NS1_11comp_targetILNS1_3genE4ELNS1_11target_archE910ELNS1_3gpuE8ELNS1_3repE0EEENS1_30default_config_static_selectorELNS0_4arch9wavefront6targetE1EEEvT1_
    .private_segment_fixed_size: 0
    .sgpr_count:     36
    .sgpr_spill_count: 0
    .symbol:         _ZN7rocprim17ROCPRIM_400000_NS6detail17trampoline_kernelINS0_14default_configENS1_20scan_config_selectorIsEEZZNS1_9scan_implILNS1_25lookback_scan_determinismE0ELb0ELb1ES3_N6thrust23THRUST_200600_302600_NS6detail15normal_iteratorINS9_10device_ptrIsEEEESE_sNS9_10multipliesIsEEsEEDaPvRmT3_T4_T5_mT6_P12ihipStream_tbENKUlT_T0_E_clISt17integral_constantIbLb0EESU_EEDaSP_SQ_EUlSP_E_NS1_11comp_targetILNS1_3genE4ELNS1_11target_archE910ELNS1_3gpuE8ELNS1_3repE0EEENS1_30default_config_static_selectorELNS0_4arch9wavefront6targetE1EEEvT1_.kd
    .uniform_work_group_size: 1
    .uses_dynamic_stack: false
    .vgpr_count:     68
    .vgpr_spill_count: 0
    .wavefront_size: 64
  - .agpr_count:     0
    .args:
      - .offset:         0
        .size:           96
        .value_kind:     by_value
    .group_segment_fixed_size: 0
    .kernarg_segment_align: 8
    .kernarg_segment_size: 96
    .language:       OpenCL C
    .language_version:
      - 2
      - 0
    .max_flat_workgroup_size: 128
    .name:           _ZN7rocprim17ROCPRIM_400000_NS6detail17trampoline_kernelINS0_14default_configENS1_20scan_config_selectorIsEEZZNS1_9scan_implILNS1_25lookback_scan_determinismE0ELb0ELb1ES3_N6thrust23THRUST_200600_302600_NS6detail15normal_iteratorINS9_10device_ptrIsEEEESE_sNS9_10multipliesIsEEsEEDaPvRmT3_T4_T5_mT6_P12ihipStream_tbENKUlT_T0_E_clISt17integral_constantIbLb0EESU_EEDaSP_SQ_EUlSP_E_NS1_11comp_targetILNS1_3genE3ELNS1_11target_archE908ELNS1_3gpuE7ELNS1_3repE0EEENS1_30default_config_static_selectorELNS0_4arch9wavefront6targetE1EEEvT1_
    .private_segment_fixed_size: 0
    .sgpr_count:     4
    .sgpr_spill_count: 0
    .symbol:         _ZN7rocprim17ROCPRIM_400000_NS6detail17trampoline_kernelINS0_14default_configENS1_20scan_config_selectorIsEEZZNS1_9scan_implILNS1_25lookback_scan_determinismE0ELb0ELb1ES3_N6thrust23THRUST_200600_302600_NS6detail15normal_iteratorINS9_10device_ptrIsEEEESE_sNS9_10multipliesIsEEsEEDaPvRmT3_T4_T5_mT6_P12ihipStream_tbENKUlT_T0_E_clISt17integral_constantIbLb0EESU_EEDaSP_SQ_EUlSP_E_NS1_11comp_targetILNS1_3genE3ELNS1_11target_archE908ELNS1_3gpuE7ELNS1_3repE0EEENS1_30default_config_static_selectorELNS0_4arch9wavefront6targetE1EEEvT1_.kd
    .uniform_work_group_size: 1
    .uses_dynamic_stack: false
    .vgpr_count:     0
    .vgpr_spill_count: 0
    .wavefront_size: 64
  - .agpr_count:     0
    .args:
      - .offset:         0
        .size:           96
        .value_kind:     by_value
    .group_segment_fixed_size: 0
    .kernarg_segment_align: 8
    .kernarg_segment_size: 96
    .language:       OpenCL C
    .language_version:
      - 2
      - 0
    .max_flat_workgroup_size: 256
    .name:           _ZN7rocprim17ROCPRIM_400000_NS6detail17trampoline_kernelINS0_14default_configENS1_20scan_config_selectorIsEEZZNS1_9scan_implILNS1_25lookback_scan_determinismE0ELb0ELb1ES3_N6thrust23THRUST_200600_302600_NS6detail15normal_iteratorINS9_10device_ptrIsEEEESE_sNS9_10multipliesIsEEsEEDaPvRmT3_T4_T5_mT6_P12ihipStream_tbENKUlT_T0_E_clISt17integral_constantIbLb0EESU_EEDaSP_SQ_EUlSP_E_NS1_11comp_targetILNS1_3genE2ELNS1_11target_archE906ELNS1_3gpuE6ELNS1_3repE0EEENS1_30default_config_static_selectorELNS0_4arch9wavefront6targetE1EEEvT1_
    .private_segment_fixed_size: 0
    .sgpr_count:     4
    .sgpr_spill_count: 0
    .symbol:         _ZN7rocprim17ROCPRIM_400000_NS6detail17trampoline_kernelINS0_14default_configENS1_20scan_config_selectorIsEEZZNS1_9scan_implILNS1_25lookback_scan_determinismE0ELb0ELb1ES3_N6thrust23THRUST_200600_302600_NS6detail15normal_iteratorINS9_10device_ptrIsEEEESE_sNS9_10multipliesIsEEsEEDaPvRmT3_T4_T5_mT6_P12ihipStream_tbENKUlT_T0_E_clISt17integral_constantIbLb0EESU_EEDaSP_SQ_EUlSP_E_NS1_11comp_targetILNS1_3genE2ELNS1_11target_archE906ELNS1_3gpuE6ELNS1_3repE0EEENS1_30default_config_static_selectorELNS0_4arch9wavefront6targetE1EEEvT1_.kd
    .uniform_work_group_size: 1
    .uses_dynamic_stack: false
    .vgpr_count:     0
    .vgpr_spill_count: 0
    .wavefront_size: 64
  - .agpr_count:     0
    .args:
      - .offset:         0
        .size:           96
        .value_kind:     by_value
    .group_segment_fixed_size: 0
    .kernarg_segment_align: 8
    .kernarg_segment_size: 96
    .language:       OpenCL C
    .language_version:
      - 2
      - 0
    .max_flat_workgroup_size: 256
    .name:           _ZN7rocprim17ROCPRIM_400000_NS6detail17trampoline_kernelINS0_14default_configENS1_20scan_config_selectorIsEEZZNS1_9scan_implILNS1_25lookback_scan_determinismE0ELb0ELb1ES3_N6thrust23THRUST_200600_302600_NS6detail15normal_iteratorINS9_10device_ptrIsEEEESE_sNS9_10multipliesIsEEsEEDaPvRmT3_T4_T5_mT6_P12ihipStream_tbENKUlT_T0_E_clISt17integral_constantIbLb0EESU_EEDaSP_SQ_EUlSP_E_NS1_11comp_targetILNS1_3genE10ELNS1_11target_archE1201ELNS1_3gpuE5ELNS1_3repE0EEENS1_30default_config_static_selectorELNS0_4arch9wavefront6targetE1EEEvT1_
    .private_segment_fixed_size: 0
    .sgpr_count:     4
    .sgpr_spill_count: 0
    .symbol:         _ZN7rocprim17ROCPRIM_400000_NS6detail17trampoline_kernelINS0_14default_configENS1_20scan_config_selectorIsEEZZNS1_9scan_implILNS1_25lookback_scan_determinismE0ELb0ELb1ES3_N6thrust23THRUST_200600_302600_NS6detail15normal_iteratorINS9_10device_ptrIsEEEESE_sNS9_10multipliesIsEEsEEDaPvRmT3_T4_T5_mT6_P12ihipStream_tbENKUlT_T0_E_clISt17integral_constantIbLb0EESU_EEDaSP_SQ_EUlSP_E_NS1_11comp_targetILNS1_3genE10ELNS1_11target_archE1201ELNS1_3gpuE5ELNS1_3repE0EEENS1_30default_config_static_selectorELNS0_4arch9wavefront6targetE1EEEvT1_.kd
    .uniform_work_group_size: 1
    .uses_dynamic_stack: false
    .vgpr_count:     0
    .vgpr_spill_count: 0
    .wavefront_size: 64
  - .agpr_count:     0
    .args:
      - .offset:         0
        .size:           96
        .value_kind:     by_value
    .group_segment_fixed_size: 0
    .kernarg_segment_align: 8
    .kernarg_segment_size: 96
    .language:       OpenCL C
    .language_version:
      - 2
      - 0
    .max_flat_workgroup_size: 256
    .name:           _ZN7rocprim17ROCPRIM_400000_NS6detail17trampoline_kernelINS0_14default_configENS1_20scan_config_selectorIsEEZZNS1_9scan_implILNS1_25lookback_scan_determinismE0ELb0ELb1ES3_N6thrust23THRUST_200600_302600_NS6detail15normal_iteratorINS9_10device_ptrIsEEEESE_sNS9_10multipliesIsEEsEEDaPvRmT3_T4_T5_mT6_P12ihipStream_tbENKUlT_T0_E_clISt17integral_constantIbLb0EESU_EEDaSP_SQ_EUlSP_E_NS1_11comp_targetILNS1_3genE10ELNS1_11target_archE1200ELNS1_3gpuE4ELNS1_3repE0EEENS1_30default_config_static_selectorELNS0_4arch9wavefront6targetE1EEEvT1_
    .private_segment_fixed_size: 0
    .sgpr_count:     4
    .sgpr_spill_count: 0
    .symbol:         _ZN7rocprim17ROCPRIM_400000_NS6detail17trampoline_kernelINS0_14default_configENS1_20scan_config_selectorIsEEZZNS1_9scan_implILNS1_25lookback_scan_determinismE0ELb0ELb1ES3_N6thrust23THRUST_200600_302600_NS6detail15normal_iteratorINS9_10device_ptrIsEEEESE_sNS9_10multipliesIsEEsEEDaPvRmT3_T4_T5_mT6_P12ihipStream_tbENKUlT_T0_E_clISt17integral_constantIbLb0EESU_EEDaSP_SQ_EUlSP_E_NS1_11comp_targetILNS1_3genE10ELNS1_11target_archE1200ELNS1_3gpuE4ELNS1_3repE0EEENS1_30default_config_static_selectorELNS0_4arch9wavefront6targetE1EEEvT1_.kd
    .uniform_work_group_size: 1
    .uses_dynamic_stack: false
    .vgpr_count:     0
    .vgpr_spill_count: 0
    .wavefront_size: 64
  - .agpr_count:     0
    .args:
      - .offset:         0
        .size:           96
        .value_kind:     by_value
    .group_segment_fixed_size: 0
    .kernarg_segment_align: 8
    .kernarg_segment_size: 96
    .language:       OpenCL C
    .language_version:
      - 2
      - 0
    .max_flat_workgroup_size: 64
    .name:           _ZN7rocprim17ROCPRIM_400000_NS6detail17trampoline_kernelINS0_14default_configENS1_20scan_config_selectorIsEEZZNS1_9scan_implILNS1_25lookback_scan_determinismE0ELb0ELb1ES3_N6thrust23THRUST_200600_302600_NS6detail15normal_iteratorINS9_10device_ptrIsEEEESE_sNS9_10multipliesIsEEsEEDaPvRmT3_T4_T5_mT6_P12ihipStream_tbENKUlT_T0_E_clISt17integral_constantIbLb0EESU_EEDaSP_SQ_EUlSP_E_NS1_11comp_targetILNS1_3genE9ELNS1_11target_archE1100ELNS1_3gpuE3ELNS1_3repE0EEENS1_30default_config_static_selectorELNS0_4arch9wavefront6targetE1EEEvT1_
    .private_segment_fixed_size: 0
    .sgpr_count:     4
    .sgpr_spill_count: 0
    .symbol:         _ZN7rocprim17ROCPRIM_400000_NS6detail17trampoline_kernelINS0_14default_configENS1_20scan_config_selectorIsEEZZNS1_9scan_implILNS1_25lookback_scan_determinismE0ELb0ELb1ES3_N6thrust23THRUST_200600_302600_NS6detail15normal_iteratorINS9_10device_ptrIsEEEESE_sNS9_10multipliesIsEEsEEDaPvRmT3_T4_T5_mT6_P12ihipStream_tbENKUlT_T0_E_clISt17integral_constantIbLb0EESU_EEDaSP_SQ_EUlSP_E_NS1_11comp_targetILNS1_3genE9ELNS1_11target_archE1100ELNS1_3gpuE3ELNS1_3repE0EEENS1_30default_config_static_selectorELNS0_4arch9wavefront6targetE1EEEvT1_.kd
    .uniform_work_group_size: 1
    .uses_dynamic_stack: false
    .vgpr_count:     0
    .vgpr_spill_count: 0
    .wavefront_size: 64
  - .agpr_count:     0
    .args:
      - .offset:         0
        .size:           96
        .value_kind:     by_value
    .group_segment_fixed_size: 0
    .kernarg_segment_align: 8
    .kernarg_segment_size: 96
    .language:       OpenCL C
    .language_version:
      - 2
      - 0
    .max_flat_workgroup_size: 64
    .name:           _ZN7rocprim17ROCPRIM_400000_NS6detail17trampoline_kernelINS0_14default_configENS1_20scan_config_selectorIsEEZZNS1_9scan_implILNS1_25lookback_scan_determinismE0ELb0ELb1ES3_N6thrust23THRUST_200600_302600_NS6detail15normal_iteratorINS9_10device_ptrIsEEEESE_sNS9_10multipliesIsEEsEEDaPvRmT3_T4_T5_mT6_P12ihipStream_tbENKUlT_T0_E_clISt17integral_constantIbLb0EESU_EEDaSP_SQ_EUlSP_E_NS1_11comp_targetILNS1_3genE8ELNS1_11target_archE1030ELNS1_3gpuE2ELNS1_3repE0EEENS1_30default_config_static_selectorELNS0_4arch9wavefront6targetE1EEEvT1_
    .private_segment_fixed_size: 0
    .sgpr_count:     4
    .sgpr_spill_count: 0
    .symbol:         _ZN7rocprim17ROCPRIM_400000_NS6detail17trampoline_kernelINS0_14default_configENS1_20scan_config_selectorIsEEZZNS1_9scan_implILNS1_25lookback_scan_determinismE0ELb0ELb1ES3_N6thrust23THRUST_200600_302600_NS6detail15normal_iteratorINS9_10device_ptrIsEEEESE_sNS9_10multipliesIsEEsEEDaPvRmT3_T4_T5_mT6_P12ihipStream_tbENKUlT_T0_E_clISt17integral_constantIbLb0EESU_EEDaSP_SQ_EUlSP_E_NS1_11comp_targetILNS1_3genE8ELNS1_11target_archE1030ELNS1_3gpuE2ELNS1_3repE0EEENS1_30default_config_static_selectorELNS0_4arch9wavefront6targetE1EEEvT1_.kd
    .uniform_work_group_size: 1
    .uses_dynamic_stack: false
    .vgpr_count:     0
    .vgpr_spill_count: 0
    .wavefront_size: 64
  - .agpr_count:     0
    .args:
      - .offset:         0
        .size:           32
        .value_kind:     by_value
    .group_segment_fixed_size: 0
    .kernarg_segment_align: 8
    .kernarg_segment_size: 32
    .language:       OpenCL C
    .language_version:
      - 2
      - 0
    .max_flat_workgroup_size: 128
    .name:           _ZN7rocprim17ROCPRIM_400000_NS6detail17trampoline_kernelINS0_14default_configENS1_20scan_config_selectorIsEEZZNS1_9scan_implILNS1_25lookback_scan_determinismE0ELb0ELb1ES3_N6thrust23THRUST_200600_302600_NS6detail15normal_iteratorINS9_10device_ptrIsEEEESE_sNS9_10multipliesIsEEsEEDaPvRmT3_T4_T5_mT6_P12ihipStream_tbENKUlT_T0_E_clISt17integral_constantIbLb0EESU_EEDaSP_SQ_EUlSP_E0_NS1_11comp_targetILNS1_3genE0ELNS1_11target_archE4294967295ELNS1_3gpuE0ELNS1_3repE0EEENS1_30default_config_static_selectorELNS0_4arch9wavefront6targetE1EEEvT1_
    .private_segment_fixed_size: 0
    .sgpr_count:     4
    .sgpr_spill_count: 0
    .symbol:         _ZN7rocprim17ROCPRIM_400000_NS6detail17trampoline_kernelINS0_14default_configENS1_20scan_config_selectorIsEEZZNS1_9scan_implILNS1_25lookback_scan_determinismE0ELb0ELb1ES3_N6thrust23THRUST_200600_302600_NS6detail15normal_iteratorINS9_10device_ptrIsEEEESE_sNS9_10multipliesIsEEsEEDaPvRmT3_T4_T5_mT6_P12ihipStream_tbENKUlT_T0_E_clISt17integral_constantIbLb0EESU_EEDaSP_SQ_EUlSP_E0_NS1_11comp_targetILNS1_3genE0ELNS1_11target_archE4294967295ELNS1_3gpuE0ELNS1_3repE0EEENS1_30default_config_static_selectorELNS0_4arch9wavefront6targetE1EEEvT1_.kd
    .uniform_work_group_size: 1
    .uses_dynamic_stack: false
    .vgpr_count:     0
    .vgpr_spill_count: 0
    .wavefront_size: 64
  - .agpr_count:     0
    .args:
      - .offset:         0
        .size:           32
        .value_kind:     by_value
    .group_segment_fixed_size: 0
    .kernarg_segment_align: 8
    .kernarg_segment_size: 32
    .language:       OpenCL C
    .language_version:
      - 2
      - 0
    .max_flat_workgroup_size: 256
    .name:           _ZN7rocprim17ROCPRIM_400000_NS6detail17trampoline_kernelINS0_14default_configENS1_20scan_config_selectorIsEEZZNS1_9scan_implILNS1_25lookback_scan_determinismE0ELb0ELb1ES3_N6thrust23THRUST_200600_302600_NS6detail15normal_iteratorINS9_10device_ptrIsEEEESE_sNS9_10multipliesIsEEsEEDaPvRmT3_T4_T5_mT6_P12ihipStream_tbENKUlT_T0_E_clISt17integral_constantIbLb0EESU_EEDaSP_SQ_EUlSP_E0_NS1_11comp_targetILNS1_3genE5ELNS1_11target_archE942ELNS1_3gpuE9ELNS1_3repE0EEENS1_30default_config_static_selectorELNS0_4arch9wavefront6targetE1EEEvT1_
    .private_segment_fixed_size: 0
    .sgpr_count:     4
    .sgpr_spill_count: 0
    .symbol:         _ZN7rocprim17ROCPRIM_400000_NS6detail17trampoline_kernelINS0_14default_configENS1_20scan_config_selectorIsEEZZNS1_9scan_implILNS1_25lookback_scan_determinismE0ELb0ELb1ES3_N6thrust23THRUST_200600_302600_NS6detail15normal_iteratorINS9_10device_ptrIsEEEESE_sNS9_10multipliesIsEEsEEDaPvRmT3_T4_T5_mT6_P12ihipStream_tbENKUlT_T0_E_clISt17integral_constantIbLb0EESU_EEDaSP_SQ_EUlSP_E0_NS1_11comp_targetILNS1_3genE5ELNS1_11target_archE942ELNS1_3gpuE9ELNS1_3repE0EEENS1_30default_config_static_selectorELNS0_4arch9wavefront6targetE1EEEvT1_.kd
    .uniform_work_group_size: 1
    .uses_dynamic_stack: false
    .vgpr_count:     0
    .vgpr_spill_count: 0
    .wavefront_size: 64
  - .agpr_count:     0
    .args:
      - .offset:         0
        .size:           32
        .value_kind:     by_value
    .group_segment_fixed_size: 3072
    .kernarg_segment_align: 8
    .kernarg_segment_size: 32
    .language:       OpenCL C
    .language_version:
      - 2
      - 0
    .max_flat_workgroup_size: 64
    .name:           _ZN7rocprim17ROCPRIM_400000_NS6detail17trampoline_kernelINS0_14default_configENS1_20scan_config_selectorIsEEZZNS1_9scan_implILNS1_25lookback_scan_determinismE0ELb0ELb1ES3_N6thrust23THRUST_200600_302600_NS6detail15normal_iteratorINS9_10device_ptrIsEEEESE_sNS9_10multipliesIsEEsEEDaPvRmT3_T4_T5_mT6_P12ihipStream_tbENKUlT_T0_E_clISt17integral_constantIbLb0EESU_EEDaSP_SQ_EUlSP_E0_NS1_11comp_targetILNS1_3genE4ELNS1_11target_archE910ELNS1_3gpuE8ELNS1_3repE0EEENS1_30default_config_static_selectorELNS0_4arch9wavefront6targetE1EEEvT1_
    .private_segment_fixed_size: 0
    .sgpr_count:     60
    .sgpr_spill_count: 0
    .symbol:         _ZN7rocprim17ROCPRIM_400000_NS6detail17trampoline_kernelINS0_14default_configENS1_20scan_config_selectorIsEEZZNS1_9scan_implILNS1_25lookback_scan_determinismE0ELb0ELb1ES3_N6thrust23THRUST_200600_302600_NS6detail15normal_iteratorINS9_10device_ptrIsEEEESE_sNS9_10multipliesIsEEsEEDaPvRmT3_T4_T5_mT6_P12ihipStream_tbENKUlT_T0_E_clISt17integral_constantIbLb0EESU_EEDaSP_SQ_EUlSP_E0_NS1_11comp_targetILNS1_3genE4ELNS1_11target_archE910ELNS1_3gpuE8ELNS1_3repE0EEENS1_30default_config_static_selectorELNS0_4arch9wavefront6targetE1EEEvT1_.kd
    .uniform_work_group_size: 1
    .uses_dynamic_stack: false
    .vgpr_count:     41
    .vgpr_spill_count: 0
    .wavefront_size: 64
  - .agpr_count:     0
    .args:
      - .offset:         0
        .size:           32
        .value_kind:     by_value
    .group_segment_fixed_size: 0
    .kernarg_segment_align: 8
    .kernarg_segment_size: 32
    .language:       OpenCL C
    .language_version:
      - 2
      - 0
    .max_flat_workgroup_size: 128
    .name:           _ZN7rocprim17ROCPRIM_400000_NS6detail17trampoline_kernelINS0_14default_configENS1_20scan_config_selectorIsEEZZNS1_9scan_implILNS1_25lookback_scan_determinismE0ELb0ELb1ES3_N6thrust23THRUST_200600_302600_NS6detail15normal_iteratorINS9_10device_ptrIsEEEESE_sNS9_10multipliesIsEEsEEDaPvRmT3_T4_T5_mT6_P12ihipStream_tbENKUlT_T0_E_clISt17integral_constantIbLb0EESU_EEDaSP_SQ_EUlSP_E0_NS1_11comp_targetILNS1_3genE3ELNS1_11target_archE908ELNS1_3gpuE7ELNS1_3repE0EEENS1_30default_config_static_selectorELNS0_4arch9wavefront6targetE1EEEvT1_
    .private_segment_fixed_size: 0
    .sgpr_count:     4
    .sgpr_spill_count: 0
    .symbol:         _ZN7rocprim17ROCPRIM_400000_NS6detail17trampoline_kernelINS0_14default_configENS1_20scan_config_selectorIsEEZZNS1_9scan_implILNS1_25lookback_scan_determinismE0ELb0ELb1ES3_N6thrust23THRUST_200600_302600_NS6detail15normal_iteratorINS9_10device_ptrIsEEEESE_sNS9_10multipliesIsEEsEEDaPvRmT3_T4_T5_mT6_P12ihipStream_tbENKUlT_T0_E_clISt17integral_constantIbLb0EESU_EEDaSP_SQ_EUlSP_E0_NS1_11comp_targetILNS1_3genE3ELNS1_11target_archE908ELNS1_3gpuE7ELNS1_3repE0EEENS1_30default_config_static_selectorELNS0_4arch9wavefront6targetE1EEEvT1_.kd
    .uniform_work_group_size: 1
    .uses_dynamic_stack: false
    .vgpr_count:     0
    .vgpr_spill_count: 0
    .wavefront_size: 64
  - .agpr_count:     0
    .args:
      - .offset:         0
        .size:           32
        .value_kind:     by_value
    .group_segment_fixed_size: 0
    .kernarg_segment_align: 8
    .kernarg_segment_size: 32
    .language:       OpenCL C
    .language_version:
      - 2
      - 0
    .max_flat_workgroup_size: 256
    .name:           _ZN7rocprim17ROCPRIM_400000_NS6detail17trampoline_kernelINS0_14default_configENS1_20scan_config_selectorIsEEZZNS1_9scan_implILNS1_25lookback_scan_determinismE0ELb0ELb1ES3_N6thrust23THRUST_200600_302600_NS6detail15normal_iteratorINS9_10device_ptrIsEEEESE_sNS9_10multipliesIsEEsEEDaPvRmT3_T4_T5_mT6_P12ihipStream_tbENKUlT_T0_E_clISt17integral_constantIbLb0EESU_EEDaSP_SQ_EUlSP_E0_NS1_11comp_targetILNS1_3genE2ELNS1_11target_archE906ELNS1_3gpuE6ELNS1_3repE0EEENS1_30default_config_static_selectorELNS0_4arch9wavefront6targetE1EEEvT1_
    .private_segment_fixed_size: 0
    .sgpr_count:     4
    .sgpr_spill_count: 0
    .symbol:         _ZN7rocprim17ROCPRIM_400000_NS6detail17trampoline_kernelINS0_14default_configENS1_20scan_config_selectorIsEEZZNS1_9scan_implILNS1_25lookback_scan_determinismE0ELb0ELb1ES3_N6thrust23THRUST_200600_302600_NS6detail15normal_iteratorINS9_10device_ptrIsEEEESE_sNS9_10multipliesIsEEsEEDaPvRmT3_T4_T5_mT6_P12ihipStream_tbENKUlT_T0_E_clISt17integral_constantIbLb0EESU_EEDaSP_SQ_EUlSP_E0_NS1_11comp_targetILNS1_3genE2ELNS1_11target_archE906ELNS1_3gpuE6ELNS1_3repE0EEENS1_30default_config_static_selectorELNS0_4arch9wavefront6targetE1EEEvT1_.kd
    .uniform_work_group_size: 1
    .uses_dynamic_stack: false
    .vgpr_count:     0
    .vgpr_spill_count: 0
    .wavefront_size: 64
  - .agpr_count:     0
    .args:
      - .offset:         0
        .size:           32
        .value_kind:     by_value
    .group_segment_fixed_size: 0
    .kernarg_segment_align: 8
    .kernarg_segment_size: 32
    .language:       OpenCL C
    .language_version:
      - 2
      - 0
    .max_flat_workgroup_size: 256
    .name:           _ZN7rocprim17ROCPRIM_400000_NS6detail17trampoline_kernelINS0_14default_configENS1_20scan_config_selectorIsEEZZNS1_9scan_implILNS1_25lookback_scan_determinismE0ELb0ELb1ES3_N6thrust23THRUST_200600_302600_NS6detail15normal_iteratorINS9_10device_ptrIsEEEESE_sNS9_10multipliesIsEEsEEDaPvRmT3_T4_T5_mT6_P12ihipStream_tbENKUlT_T0_E_clISt17integral_constantIbLb0EESU_EEDaSP_SQ_EUlSP_E0_NS1_11comp_targetILNS1_3genE10ELNS1_11target_archE1201ELNS1_3gpuE5ELNS1_3repE0EEENS1_30default_config_static_selectorELNS0_4arch9wavefront6targetE1EEEvT1_
    .private_segment_fixed_size: 0
    .sgpr_count:     4
    .sgpr_spill_count: 0
    .symbol:         _ZN7rocprim17ROCPRIM_400000_NS6detail17trampoline_kernelINS0_14default_configENS1_20scan_config_selectorIsEEZZNS1_9scan_implILNS1_25lookback_scan_determinismE0ELb0ELb1ES3_N6thrust23THRUST_200600_302600_NS6detail15normal_iteratorINS9_10device_ptrIsEEEESE_sNS9_10multipliesIsEEsEEDaPvRmT3_T4_T5_mT6_P12ihipStream_tbENKUlT_T0_E_clISt17integral_constantIbLb0EESU_EEDaSP_SQ_EUlSP_E0_NS1_11comp_targetILNS1_3genE10ELNS1_11target_archE1201ELNS1_3gpuE5ELNS1_3repE0EEENS1_30default_config_static_selectorELNS0_4arch9wavefront6targetE1EEEvT1_.kd
    .uniform_work_group_size: 1
    .uses_dynamic_stack: false
    .vgpr_count:     0
    .vgpr_spill_count: 0
    .wavefront_size: 64
  - .agpr_count:     0
    .args:
      - .offset:         0
        .size:           32
        .value_kind:     by_value
    .group_segment_fixed_size: 0
    .kernarg_segment_align: 8
    .kernarg_segment_size: 32
    .language:       OpenCL C
    .language_version:
      - 2
      - 0
    .max_flat_workgroup_size: 256
    .name:           _ZN7rocprim17ROCPRIM_400000_NS6detail17trampoline_kernelINS0_14default_configENS1_20scan_config_selectorIsEEZZNS1_9scan_implILNS1_25lookback_scan_determinismE0ELb0ELb1ES3_N6thrust23THRUST_200600_302600_NS6detail15normal_iteratorINS9_10device_ptrIsEEEESE_sNS9_10multipliesIsEEsEEDaPvRmT3_T4_T5_mT6_P12ihipStream_tbENKUlT_T0_E_clISt17integral_constantIbLb0EESU_EEDaSP_SQ_EUlSP_E0_NS1_11comp_targetILNS1_3genE10ELNS1_11target_archE1200ELNS1_3gpuE4ELNS1_3repE0EEENS1_30default_config_static_selectorELNS0_4arch9wavefront6targetE1EEEvT1_
    .private_segment_fixed_size: 0
    .sgpr_count:     4
    .sgpr_spill_count: 0
    .symbol:         _ZN7rocprim17ROCPRIM_400000_NS6detail17trampoline_kernelINS0_14default_configENS1_20scan_config_selectorIsEEZZNS1_9scan_implILNS1_25lookback_scan_determinismE0ELb0ELb1ES3_N6thrust23THRUST_200600_302600_NS6detail15normal_iteratorINS9_10device_ptrIsEEEESE_sNS9_10multipliesIsEEsEEDaPvRmT3_T4_T5_mT6_P12ihipStream_tbENKUlT_T0_E_clISt17integral_constantIbLb0EESU_EEDaSP_SQ_EUlSP_E0_NS1_11comp_targetILNS1_3genE10ELNS1_11target_archE1200ELNS1_3gpuE4ELNS1_3repE0EEENS1_30default_config_static_selectorELNS0_4arch9wavefront6targetE1EEEvT1_.kd
    .uniform_work_group_size: 1
    .uses_dynamic_stack: false
    .vgpr_count:     0
    .vgpr_spill_count: 0
    .wavefront_size: 64
  - .agpr_count:     0
    .args:
      - .offset:         0
        .size:           32
        .value_kind:     by_value
    .group_segment_fixed_size: 0
    .kernarg_segment_align: 8
    .kernarg_segment_size: 32
    .language:       OpenCL C
    .language_version:
      - 2
      - 0
    .max_flat_workgroup_size: 64
    .name:           _ZN7rocprim17ROCPRIM_400000_NS6detail17trampoline_kernelINS0_14default_configENS1_20scan_config_selectorIsEEZZNS1_9scan_implILNS1_25lookback_scan_determinismE0ELb0ELb1ES3_N6thrust23THRUST_200600_302600_NS6detail15normal_iteratorINS9_10device_ptrIsEEEESE_sNS9_10multipliesIsEEsEEDaPvRmT3_T4_T5_mT6_P12ihipStream_tbENKUlT_T0_E_clISt17integral_constantIbLb0EESU_EEDaSP_SQ_EUlSP_E0_NS1_11comp_targetILNS1_3genE9ELNS1_11target_archE1100ELNS1_3gpuE3ELNS1_3repE0EEENS1_30default_config_static_selectorELNS0_4arch9wavefront6targetE1EEEvT1_
    .private_segment_fixed_size: 0
    .sgpr_count:     4
    .sgpr_spill_count: 0
    .symbol:         _ZN7rocprim17ROCPRIM_400000_NS6detail17trampoline_kernelINS0_14default_configENS1_20scan_config_selectorIsEEZZNS1_9scan_implILNS1_25lookback_scan_determinismE0ELb0ELb1ES3_N6thrust23THRUST_200600_302600_NS6detail15normal_iteratorINS9_10device_ptrIsEEEESE_sNS9_10multipliesIsEEsEEDaPvRmT3_T4_T5_mT6_P12ihipStream_tbENKUlT_T0_E_clISt17integral_constantIbLb0EESU_EEDaSP_SQ_EUlSP_E0_NS1_11comp_targetILNS1_3genE9ELNS1_11target_archE1100ELNS1_3gpuE3ELNS1_3repE0EEENS1_30default_config_static_selectorELNS0_4arch9wavefront6targetE1EEEvT1_.kd
    .uniform_work_group_size: 1
    .uses_dynamic_stack: false
    .vgpr_count:     0
    .vgpr_spill_count: 0
    .wavefront_size: 64
  - .agpr_count:     0
    .args:
      - .offset:         0
        .size:           32
        .value_kind:     by_value
    .group_segment_fixed_size: 0
    .kernarg_segment_align: 8
    .kernarg_segment_size: 32
    .language:       OpenCL C
    .language_version:
      - 2
      - 0
    .max_flat_workgroup_size: 64
    .name:           _ZN7rocprim17ROCPRIM_400000_NS6detail17trampoline_kernelINS0_14default_configENS1_20scan_config_selectorIsEEZZNS1_9scan_implILNS1_25lookback_scan_determinismE0ELb0ELb1ES3_N6thrust23THRUST_200600_302600_NS6detail15normal_iteratorINS9_10device_ptrIsEEEESE_sNS9_10multipliesIsEEsEEDaPvRmT3_T4_T5_mT6_P12ihipStream_tbENKUlT_T0_E_clISt17integral_constantIbLb0EESU_EEDaSP_SQ_EUlSP_E0_NS1_11comp_targetILNS1_3genE8ELNS1_11target_archE1030ELNS1_3gpuE2ELNS1_3repE0EEENS1_30default_config_static_selectorELNS0_4arch9wavefront6targetE1EEEvT1_
    .private_segment_fixed_size: 0
    .sgpr_count:     4
    .sgpr_spill_count: 0
    .symbol:         _ZN7rocprim17ROCPRIM_400000_NS6detail17trampoline_kernelINS0_14default_configENS1_20scan_config_selectorIsEEZZNS1_9scan_implILNS1_25lookback_scan_determinismE0ELb0ELb1ES3_N6thrust23THRUST_200600_302600_NS6detail15normal_iteratorINS9_10device_ptrIsEEEESE_sNS9_10multipliesIsEEsEEDaPvRmT3_T4_T5_mT6_P12ihipStream_tbENKUlT_T0_E_clISt17integral_constantIbLb0EESU_EEDaSP_SQ_EUlSP_E0_NS1_11comp_targetILNS1_3genE8ELNS1_11target_archE1030ELNS1_3gpuE2ELNS1_3repE0EEENS1_30default_config_static_selectorELNS0_4arch9wavefront6targetE1EEEvT1_.kd
    .uniform_work_group_size: 1
    .uses_dynamic_stack: false
    .vgpr_count:     0
    .vgpr_spill_count: 0
    .wavefront_size: 64
  - .agpr_count:     0
    .args:
      - .offset:         0
        .size:           96
        .value_kind:     by_value
    .group_segment_fixed_size: 0
    .kernarg_segment_align: 8
    .kernarg_segment_size: 96
    .language:       OpenCL C
    .language_version:
      - 2
      - 0
    .max_flat_workgroup_size: 128
    .name:           _ZN7rocprim17ROCPRIM_400000_NS6detail17trampoline_kernelINS0_14default_configENS1_20scan_config_selectorIsEEZZNS1_9scan_implILNS1_25lookback_scan_determinismE0ELb0ELb1ES3_N6thrust23THRUST_200600_302600_NS6detail15normal_iteratorINS9_10device_ptrIsEEEESE_sNS9_10multipliesIsEEsEEDaPvRmT3_T4_T5_mT6_P12ihipStream_tbENKUlT_T0_E_clISt17integral_constantIbLb1EESU_EEDaSP_SQ_EUlSP_E_NS1_11comp_targetILNS1_3genE0ELNS1_11target_archE4294967295ELNS1_3gpuE0ELNS1_3repE0EEENS1_30default_config_static_selectorELNS0_4arch9wavefront6targetE1EEEvT1_
    .private_segment_fixed_size: 0
    .sgpr_count:     4
    .sgpr_spill_count: 0
    .symbol:         _ZN7rocprim17ROCPRIM_400000_NS6detail17trampoline_kernelINS0_14default_configENS1_20scan_config_selectorIsEEZZNS1_9scan_implILNS1_25lookback_scan_determinismE0ELb0ELb1ES3_N6thrust23THRUST_200600_302600_NS6detail15normal_iteratorINS9_10device_ptrIsEEEESE_sNS9_10multipliesIsEEsEEDaPvRmT3_T4_T5_mT6_P12ihipStream_tbENKUlT_T0_E_clISt17integral_constantIbLb1EESU_EEDaSP_SQ_EUlSP_E_NS1_11comp_targetILNS1_3genE0ELNS1_11target_archE4294967295ELNS1_3gpuE0ELNS1_3repE0EEENS1_30default_config_static_selectorELNS0_4arch9wavefront6targetE1EEEvT1_.kd
    .uniform_work_group_size: 1
    .uses_dynamic_stack: false
    .vgpr_count:     0
    .vgpr_spill_count: 0
    .wavefront_size: 64
  - .agpr_count:     0
    .args:
      - .offset:         0
        .size:           96
        .value_kind:     by_value
    .group_segment_fixed_size: 0
    .kernarg_segment_align: 8
    .kernarg_segment_size: 96
    .language:       OpenCL C
    .language_version:
      - 2
      - 0
    .max_flat_workgroup_size: 256
    .name:           _ZN7rocprim17ROCPRIM_400000_NS6detail17trampoline_kernelINS0_14default_configENS1_20scan_config_selectorIsEEZZNS1_9scan_implILNS1_25lookback_scan_determinismE0ELb0ELb1ES3_N6thrust23THRUST_200600_302600_NS6detail15normal_iteratorINS9_10device_ptrIsEEEESE_sNS9_10multipliesIsEEsEEDaPvRmT3_T4_T5_mT6_P12ihipStream_tbENKUlT_T0_E_clISt17integral_constantIbLb1EESU_EEDaSP_SQ_EUlSP_E_NS1_11comp_targetILNS1_3genE5ELNS1_11target_archE942ELNS1_3gpuE9ELNS1_3repE0EEENS1_30default_config_static_selectorELNS0_4arch9wavefront6targetE1EEEvT1_
    .private_segment_fixed_size: 0
    .sgpr_count:     4
    .sgpr_spill_count: 0
    .symbol:         _ZN7rocprim17ROCPRIM_400000_NS6detail17trampoline_kernelINS0_14default_configENS1_20scan_config_selectorIsEEZZNS1_9scan_implILNS1_25lookback_scan_determinismE0ELb0ELb1ES3_N6thrust23THRUST_200600_302600_NS6detail15normal_iteratorINS9_10device_ptrIsEEEESE_sNS9_10multipliesIsEEsEEDaPvRmT3_T4_T5_mT6_P12ihipStream_tbENKUlT_T0_E_clISt17integral_constantIbLb1EESU_EEDaSP_SQ_EUlSP_E_NS1_11comp_targetILNS1_3genE5ELNS1_11target_archE942ELNS1_3gpuE9ELNS1_3repE0EEENS1_30default_config_static_selectorELNS0_4arch9wavefront6targetE1EEEvT1_.kd
    .uniform_work_group_size: 1
    .uses_dynamic_stack: false
    .vgpr_count:     0
    .vgpr_spill_count: 0
    .wavefront_size: 64
  - .agpr_count:     0
    .args:
      - .offset:         0
        .size:           96
        .value_kind:     by_value
    .group_segment_fixed_size: 3072
    .kernarg_segment_align: 8
    .kernarg_segment_size: 96
    .language:       OpenCL C
    .language_version:
      - 2
      - 0
    .max_flat_workgroup_size: 64
    .name:           _ZN7rocprim17ROCPRIM_400000_NS6detail17trampoline_kernelINS0_14default_configENS1_20scan_config_selectorIsEEZZNS1_9scan_implILNS1_25lookback_scan_determinismE0ELb0ELb1ES3_N6thrust23THRUST_200600_302600_NS6detail15normal_iteratorINS9_10device_ptrIsEEEESE_sNS9_10multipliesIsEEsEEDaPvRmT3_T4_T5_mT6_P12ihipStream_tbENKUlT_T0_E_clISt17integral_constantIbLb1EESU_EEDaSP_SQ_EUlSP_E_NS1_11comp_targetILNS1_3genE4ELNS1_11target_archE910ELNS1_3gpuE8ELNS1_3repE0EEENS1_30default_config_static_selectorELNS0_4arch9wavefront6targetE1EEEvT1_
    .private_segment_fixed_size: 0
    .sgpr_count:     42
    .sgpr_spill_count: 0
    .symbol:         _ZN7rocprim17ROCPRIM_400000_NS6detail17trampoline_kernelINS0_14default_configENS1_20scan_config_selectorIsEEZZNS1_9scan_implILNS1_25lookback_scan_determinismE0ELb0ELb1ES3_N6thrust23THRUST_200600_302600_NS6detail15normal_iteratorINS9_10device_ptrIsEEEESE_sNS9_10multipliesIsEEsEEDaPvRmT3_T4_T5_mT6_P12ihipStream_tbENKUlT_T0_E_clISt17integral_constantIbLb1EESU_EEDaSP_SQ_EUlSP_E_NS1_11comp_targetILNS1_3genE4ELNS1_11target_archE910ELNS1_3gpuE8ELNS1_3repE0EEENS1_30default_config_static_selectorELNS0_4arch9wavefront6targetE1EEEvT1_.kd
    .uniform_work_group_size: 1
    .uses_dynamic_stack: false
    .vgpr_count:     67
    .vgpr_spill_count: 0
    .wavefront_size: 64
  - .agpr_count:     0
    .args:
      - .offset:         0
        .size:           96
        .value_kind:     by_value
    .group_segment_fixed_size: 0
    .kernarg_segment_align: 8
    .kernarg_segment_size: 96
    .language:       OpenCL C
    .language_version:
      - 2
      - 0
    .max_flat_workgroup_size: 128
    .name:           _ZN7rocprim17ROCPRIM_400000_NS6detail17trampoline_kernelINS0_14default_configENS1_20scan_config_selectorIsEEZZNS1_9scan_implILNS1_25lookback_scan_determinismE0ELb0ELb1ES3_N6thrust23THRUST_200600_302600_NS6detail15normal_iteratorINS9_10device_ptrIsEEEESE_sNS9_10multipliesIsEEsEEDaPvRmT3_T4_T5_mT6_P12ihipStream_tbENKUlT_T0_E_clISt17integral_constantIbLb1EESU_EEDaSP_SQ_EUlSP_E_NS1_11comp_targetILNS1_3genE3ELNS1_11target_archE908ELNS1_3gpuE7ELNS1_3repE0EEENS1_30default_config_static_selectorELNS0_4arch9wavefront6targetE1EEEvT1_
    .private_segment_fixed_size: 0
    .sgpr_count:     4
    .sgpr_spill_count: 0
    .symbol:         _ZN7rocprim17ROCPRIM_400000_NS6detail17trampoline_kernelINS0_14default_configENS1_20scan_config_selectorIsEEZZNS1_9scan_implILNS1_25lookback_scan_determinismE0ELb0ELb1ES3_N6thrust23THRUST_200600_302600_NS6detail15normal_iteratorINS9_10device_ptrIsEEEESE_sNS9_10multipliesIsEEsEEDaPvRmT3_T4_T5_mT6_P12ihipStream_tbENKUlT_T0_E_clISt17integral_constantIbLb1EESU_EEDaSP_SQ_EUlSP_E_NS1_11comp_targetILNS1_3genE3ELNS1_11target_archE908ELNS1_3gpuE7ELNS1_3repE0EEENS1_30default_config_static_selectorELNS0_4arch9wavefront6targetE1EEEvT1_.kd
    .uniform_work_group_size: 1
    .uses_dynamic_stack: false
    .vgpr_count:     0
    .vgpr_spill_count: 0
    .wavefront_size: 64
  - .agpr_count:     0
    .args:
      - .offset:         0
        .size:           96
        .value_kind:     by_value
    .group_segment_fixed_size: 0
    .kernarg_segment_align: 8
    .kernarg_segment_size: 96
    .language:       OpenCL C
    .language_version:
      - 2
      - 0
    .max_flat_workgroup_size: 256
    .name:           _ZN7rocprim17ROCPRIM_400000_NS6detail17trampoline_kernelINS0_14default_configENS1_20scan_config_selectorIsEEZZNS1_9scan_implILNS1_25lookback_scan_determinismE0ELb0ELb1ES3_N6thrust23THRUST_200600_302600_NS6detail15normal_iteratorINS9_10device_ptrIsEEEESE_sNS9_10multipliesIsEEsEEDaPvRmT3_T4_T5_mT6_P12ihipStream_tbENKUlT_T0_E_clISt17integral_constantIbLb1EESU_EEDaSP_SQ_EUlSP_E_NS1_11comp_targetILNS1_3genE2ELNS1_11target_archE906ELNS1_3gpuE6ELNS1_3repE0EEENS1_30default_config_static_selectorELNS0_4arch9wavefront6targetE1EEEvT1_
    .private_segment_fixed_size: 0
    .sgpr_count:     4
    .sgpr_spill_count: 0
    .symbol:         _ZN7rocprim17ROCPRIM_400000_NS6detail17trampoline_kernelINS0_14default_configENS1_20scan_config_selectorIsEEZZNS1_9scan_implILNS1_25lookback_scan_determinismE0ELb0ELb1ES3_N6thrust23THRUST_200600_302600_NS6detail15normal_iteratorINS9_10device_ptrIsEEEESE_sNS9_10multipliesIsEEsEEDaPvRmT3_T4_T5_mT6_P12ihipStream_tbENKUlT_T0_E_clISt17integral_constantIbLb1EESU_EEDaSP_SQ_EUlSP_E_NS1_11comp_targetILNS1_3genE2ELNS1_11target_archE906ELNS1_3gpuE6ELNS1_3repE0EEENS1_30default_config_static_selectorELNS0_4arch9wavefront6targetE1EEEvT1_.kd
    .uniform_work_group_size: 1
    .uses_dynamic_stack: false
    .vgpr_count:     0
    .vgpr_spill_count: 0
    .wavefront_size: 64
  - .agpr_count:     0
    .args:
      - .offset:         0
        .size:           96
        .value_kind:     by_value
    .group_segment_fixed_size: 0
    .kernarg_segment_align: 8
    .kernarg_segment_size: 96
    .language:       OpenCL C
    .language_version:
      - 2
      - 0
    .max_flat_workgroup_size: 256
    .name:           _ZN7rocprim17ROCPRIM_400000_NS6detail17trampoline_kernelINS0_14default_configENS1_20scan_config_selectorIsEEZZNS1_9scan_implILNS1_25lookback_scan_determinismE0ELb0ELb1ES3_N6thrust23THRUST_200600_302600_NS6detail15normal_iteratorINS9_10device_ptrIsEEEESE_sNS9_10multipliesIsEEsEEDaPvRmT3_T4_T5_mT6_P12ihipStream_tbENKUlT_T0_E_clISt17integral_constantIbLb1EESU_EEDaSP_SQ_EUlSP_E_NS1_11comp_targetILNS1_3genE10ELNS1_11target_archE1201ELNS1_3gpuE5ELNS1_3repE0EEENS1_30default_config_static_selectorELNS0_4arch9wavefront6targetE1EEEvT1_
    .private_segment_fixed_size: 0
    .sgpr_count:     4
    .sgpr_spill_count: 0
    .symbol:         _ZN7rocprim17ROCPRIM_400000_NS6detail17trampoline_kernelINS0_14default_configENS1_20scan_config_selectorIsEEZZNS1_9scan_implILNS1_25lookback_scan_determinismE0ELb0ELb1ES3_N6thrust23THRUST_200600_302600_NS6detail15normal_iteratorINS9_10device_ptrIsEEEESE_sNS9_10multipliesIsEEsEEDaPvRmT3_T4_T5_mT6_P12ihipStream_tbENKUlT_T0_E_clISt17integral_constantIbLb1EESU_EEDaSP_SQ_EUlSP_E_NS1_11comp_targetILNS1_3genE10ELNS1_11target_archE1201ELNS1_3gpuE5ELNS1_3repE0EEENS1_30default_config_static_selectorELNS0_4arch9wavefront6targetE1EEEvT1_.kd
    .uniform_work_group_size: 1
    .uses_dynamic_stack: false
    .vgpr_count:     0
    .vgpr_spill_count: 0
    .wavefront_size: 64
  - .agpr_count:     0
    .args:
      - .offset:         0
        .size:           96
        .value_kind:     by_value
    .group_segment_fixed_size: 0
    .kernarg_segment_align: 8
    .kernarg_segment_size: 96
    .language:       OpenCL C
    .language_version:
      - 2
      - 0
    .max_flat_workgroup_size: 256
    .name:           _ZN7rocprim17ROCPRIM_400000_NS6detail17trampoline_kernelINS0_14default_configENS1_20scan_config_selectorIsEEZZNS1_9scan_implILNS1_25lookback_scan_determinismE0ELb0ELb1ES3_N6thrust23THRUST_200600_302600_NS6detail15normal_iteratorINS9_10device_ptrIsEEEESE_sNS9_10multipliesIsEEsEEDaPvRmT3_T4_T5_mT6_P12ihipStream_tbENKUlT_T0_E_clISt17integral_constantIbLb1EESU_EEDaSP_SQ_EUlSP_E_NS1_11comp_targetILNS1_3genE10ELNS1_11target_archE1200ELNS1_3gpuE4ELNS1_3repE0EEENS1_30default_config_static_selectorELNS0_4arch9wavefront6targetE1EEEvT1_
    .private_segment_fixed_size: 0
    .sgpr_count:     4
    .sgpr_spill_count: 0
    .symbol:         _ZN7rocprim17ROCPRIM_400000_NS6detail17trampoline_kernelINS0_14default_configENS1_20scan_config_selectorIsEEZZNS1_9scan_implILNS1_25lookback_scan_determinismE0ELb0ELb1ES3_N6thrust23THRUST_200600_302600_NS6detail15normal_iteratorINS9_10device_ptrIsEEEESE_sNS9_10multipliesIsEEsEEDaPvRmT3_T4_T5_mT6_P12ihipStream_tbENKUlT_T0_E_clISt17integral_constantIbLb1EESU_EEDaSP_SQ_EUlSP_E_NS1_11comp_targetILNS1_3genE10ELNS1_11target_archE1200ELNS1_3gpuE4ELNS1_3repE0EEENS1_30default_config_static_selectorELNS0_4arch9wavefront6targetE1EEEvT1_.kd
    .uniform_work_group_size: 1
    .uses_dynamic_stack: false
    .vgpr_count:     0
    .vgpr_spill_count: 0
    .wavefront_size: 64
  - .agpr_count:     0
    .args:
      - .offset:         0
        .size:           96
        .value_kind:     by_value
    .group_segment_fixed_size: 0
    .kernarg_segment_align: 8
    .kernarg_segment_size: 96
    .language:       OpenCL C
    .language_version:
      - 2
      - 0
    .max_flat_workgroup_size: 64
    .name:           _ZN7rocprim17ROCPRIM_400000_NS6detail17trampoline_kernelINS0_14default_configENS1_20scan_config_selectorIsEEZZNS1_9scan_implILNS1_25lookback_scan_determinismE0ELb0ELb1ES3_N6thrust23THRUST_200600_302600_NS6detail15normal_iteratorINS9_10device_ptrIsEEEESE_sNS9_10multipliesIsEEsEEDaPvRmT3_T4_T5_mT6_P12ihipStream_tbENKUlT_T0_E_clISt17integral_constantIbLb1EESU_EEDaSP_SQ_EUlSP_E_NS1_11comp_targetILNS1_3genE9ELNS1_11target_archE1100ELNS1_3gpuE3ELNS1_3repE0EEENS1_30default_config_static_selectorELNS0_4arch9wavefront6targetE1EEEvT1_
    .private_segment_fixed_size: 0
    .sgpr_count:     4
    .sgpr_spill_count: 0
    .symbol:         _ZN7rocprim17ROCPRIM_400000_NS6detail17trampoline_kernelINS0_14default_configENS1_20scan_config_selectorIsEEZZNS1_9scan_implILNS1_25lookback_scan_determinismE0ELb0ELb1ES3_N6thrust23THRUST_200600_302600_NS6detail15normal_iteratorINS9_10device_ptrIsEEEESE_sNS9_10multipliesIsEEsEEDaPvRmT3_T4_T5_mT6_P12ihipStream_tbENKUlT_T0_E_clISt17integral_constantIbLb1EESU_EEDaSP_SQ_EUlSP_E_NS1_11comp_targetILNS1_3genE9ELNS1_11target_archE1100ELNS1_3gpuE3ELNS1_3repE0EEENS1_30default_config_static_selectorELNS0_4arch9wavefront6targetE1EEEvT1_.kd
    .uniform_work_group_size: 1
    .uses_dynamic_stack: false
    .vgpr_count:     0
    .vgpr_spill_count: 0
    .wavefront_size: 64
  - .agpr_count:     0
    .args:
      - .offset:         0
        .size:           96
        .value_kind:     by_value
    .group_segment_fixed_size: 0
    .kernarg_segment_align: 8
    .kernarg_segment_size: 96
    .language:       OpenCL C
    .language_version:
      - 2
      - 0
    .max_flat_workgroup_size: 64
    .name:           _ZN7rocprim17ROCPRIM_400000_NS6detail17trampoline_kernelINS0_14default_configENS1_20scan_config_selectorIsEEZZNS1_9scan_implILNS1_25lookback_scan_determinismE0ELb0ELb1ES3_N6thrust23THRUST_200600_302600_NS6detail15normal_iteratorINS9_10device_ptrIsEEEESE_sNS9_10multipliesIsEEsEEDaPvRmT3_T4_T5_mT6_P12ihipStream_tbENKUlT_T0_E_clISt17integral_constantIbLb1EESU_EEDaSP_SQ_EUlSP_E_NS1_11comp_targetILNS1_3genE8ELNS1_11target_archE1030ELNS1_3gpuE2ELNS1_3repE0EEENS1_30default_config_static_selectorELNS0_4arch9wavefront6targetE1EEEvT1_
    .private_segment_fixed_size: 0
    .sgpr_count:     4
    .sgpr_spill_count: 0
    .symbol:         _ZN7rocprim17ROCPRIM_400000_NS6detail17trampoline_kernelINS0_14default_configENS1_20scan_config_selectorIsEEZZNS1_9scan_implILNS1_25lookback_scan_determinismE0ELb0ELb1ES3_N6thrust23THRUST_200600_302600_NS6detail15normal_iteratorINS9_10device_ptrIsEEEESE_sNS9_10multipliesIsEEsEEDaPvRmT3_T4_T5_mT6_P12ihipStream_tbENKUlT_T0_E_clISt17integral_constantIbLb1EESU_EEDaSP_SQ_EUlSP_E_NS1_11comp_targetILNS1_3genE8ELNS1_11target_archE1030ELNS1_3gpuE2ELNS1_3repE0EEENS1_30default_config_static_selectorELNS0_4arch9wavefront6targetE1EEEvT1_.kd
    .uniform_work_group_size: 1
    .uses_dynamic_stack: false
    .vgpr_count:     0
    .vgpr_spill_count: 0
    .wavefront_size: 64
  - .agpr_count:     0
    .args:
      - .offset:         0
        .size:           32
        .value_kind:     by_value
    .group_segment_fixed_size: 0
    .kernarg_segment_align: 8
    .kernarg_segment_size: 32
    .language:       OpenCL C
    .language_version:
      - 2
      - 0
    .max_flat_workgroup_size: 128
    .name:           _ZN7rocprim17ROCPRIM_400000_NS6detail17trampoline_kernelINS0_14default_configENS1_20scan_config_selectorIsEEZZNS1_9scan_implILNS1_25lookback_scan_determinismE0ELb0ELb1ES3_N6thrust23THRUST_200600_302600_NS6detail15normal_iteratorINS9_10device_ptrIsEEEESE_sNS9_10multipliesIsEEsEEDaPvRmT3_T4_T5_mT6_P12ihipStream_tbENKUlT_T0_E_clISt17integral_constantIbLb1EESU_EEDaSP_SQ_EUlSP_E0_NS1_11comp_targetILNS1_3genE0ELNS1_11target_archE4294967295ELNS1_3gpuE0ELNS1_3repE0EEENS1_30default_config_static_selectorELNS0_4arch9wavefront6targetE1EEEvT1_
    .private_segment_fixed_size: 0
    .sgpr_count:     4
    .sgpr_spill_count: 0
    .symbol:         _ZN7rocprim17ROCPRIM_400000_NS6detail17trampoline_kernelINS0_14default_configENS1_20scan_config_selectorIsEEZZNS1_9scan_implILNS1_25lookback_scan_determinismE0ELb0ELb1ES3_N6thrust23THRUST_200600_302600_NS6detail15normal_iteratorINS9_10device_ptrIsEEEESE_sNS9_10multipliesIsEEsEEDaPvRmT3_T4_T5_mT6_P12ihipStream_tbENKUlT_T0_E_clISt17integral_constantIbLb1EESU_EEDaSP_SQ_EUlSP_E0_NS1_11comp_targetILNS1_3genE0ELNS1_11target_archE4294967295ELNS1_3gpuE0ELNS1_3repE0EEENS1_30default_config_static_selectorELNS0_4arch9wavefront6targetE1EEEvT1_.kd
    .uniform_work_group_size: 1
    .uses_dynamic_stack: false
    .vgpr_count:     0
    .vgpr_spill_count: 0
    .wavefront_size: 64
  - .agpr_count:     0
    .args:
      - .offset:         0
        .size:           32
        .value_kind:     by_value
    .group_segment_fixed_size: 0
    .kernarg_segment_align: 8
    .kernarg_segment_size: 32
    .language:       OpenCL C
    .language_version:
      - 2
      - 0
    .max_flat_workgroup_size: 256
    .name:           _ZN7rocprim17ROCPRIM_400000_NS6detail17trampoline_kernelINS0_14default_configENS1_20scan_config_selectorIsEEZZNS1_9scan_implILNS1_25lookback_scan_determinismE0ELb0ELb1ES3_N6thrust23THRUST_200600_302600_NS6detail15normal_iteratorINS9_10device_ptrIsEEEESE_sNS9_10multipliesIsEEsEEDaPvRmT3_T4_T5_mT6_P12ihipStream_tbENKUlT_T0_E_clISt17integral_constantIbLb1EESU_EEDaSP_SQ_EUlSP_E0_NS1_11comp_targetILNS1_3genE5ELNS1_11target_archE942ELNS1_3gpuE9ELNS1_3repE0EEENS1_30default_config_static_selectorELNS0_4arch9wavefront6targetE1EEEvT1_
    .private_segment_fixed_size: 0
    .sgpr_count:     4
    .sgpr_spill_count: 0
    .symbol:         _ZN7rocprim17ROCPRIM_400000_NS6detail17trampoline_kernelINS0_14default_configENS1_20scan_config_selectorIsEEZZNS1_9scan_implILNS1_25lookback_scan_determinismE0ELb0ELb1ES3_N6thrust23THRUST_200600_302600_NS6detail15normal_iteratorINS9_10device_ptrIsEEEESE_sNS9_10multipliesIsEEsEEDaPvRmT3_T4_T5_mT6_P12ihipStream_tbENKUlT_T0_E_clISt17integral_constantIbLb1EESU_EEDaSP_SQ_EUlSP_E0_NS1_11comp_targetILNS1_3genE5ELNS1_11target_archE942ELNS1_3gpuE9ELNS1_3repE0EEENS1_30default_config_static_selectorELNS0_4arch9wavefront6targetE1EEEvT1_.kd
    .uniform_work_group_size: 1
    .uses_dynamic_stack: false
    .vgpr_count:     0
    .vgpr_spill_count: 0
    .wavefront_size: 64
  - .agpr_count:     0
    .args:
      - .offset:         0
        .size:           32
        .value_kind:     by_value
    .group_segment_fixed_size: 3072
    .kernarg_segment_align: 8
    .kernarg_segment_size: 32
    .language:       OpenCL C
    .language_version:
      - 2
      - 0
    .max_flat_workgroup_size: 64
    .name:           _ZN7rocprim17ROCPRIM_400000_NS6detail17trampoline_kernelINS0_14default_configENS1_20scan_config_selectorIsEEZZNS1_9scan_implILNS1_25lookback_scan_determinismE0ELb0ELb1ES3_N6thrust23THRUST_200600_302600_NS6detail15normal_iteratorINS9_10device_ptrIsEEEESE_sNS9_10multipliesIsEEsEEDaPvRmT3_T4_T5_mT6_P12ihipStream_tbENKUlT_T0_E_clISt17integral_constantIbLb1EESU_EEDaSP_SQ_EUlSP_E0_NS1_11comp_targetILNS1_3genE4ELNS1_11target_archE910ELNS1_3gpuE8ELNS1_3repE0EEENS1_30default_config_static_selectorELNS0_4arch9wavefront6targetE1EEEvT1_
    .private_segment_fixed_size: 0
    .sgpr_count:     60
    .sgpr_spill_count: 0
    .symbol:         _ZN7rocprim17ROCPRIM_400000_NS6detail17trampoline_kernelINS0_14default_configENS1_20scan_config_selectorIsEEZZNS1_9scan_implILNS1_25lookback_scan_determinismE0ELb0ELb1ES3_N6thrust23THRUST_200600_302600_NS6detail15normal_iteratorINS9_10device_ptrIsEEEESE_sNS9_10multipliesIsEEsEEDaPvRmT3_T4_T5_mT6_P12ihipStream_tbENKUlT_T0_E_clISt17integral_constantIbLb1EESU_EEDaSP_SQ_EUlSP_E0_NS1_11comp_targetILNS1_3genE4ELNS1_11target_archE910ELNS1_3gpuE8ELNS1_3repE0EEENS1_30default_config_static_selectorELNS0_4arch9wavefront6targetE1EEEvT1_.kd
    .uniform_work_group_size: 1
    .uses_dynamic_stack: false
    .vgpr_count:     41
    .vgpr_spill_count: 0
    .wavefront_size: 64
  - .agpr_count:     0
    .args:
      - .offset:         0
        .size:           32
        .value_kind:     by_value
    .group_segment_fixed_size: 0
    .kernarg_segment_align: 8
    .kernarg_segment_size: 32
    .language:       OpenCL C
    .language_version:
      - 2
      - 0
    .max_flat_workgroup_size: 128
    .name:           _ZN7rocprim17ROCPRIM_400000_NS6detail17trampoline_kernelINS0_14default_configENS1_20scan_config_selectorIsEEZZNS1_9scan_implILNS1_25lookback_scan_determinismE0ELb0ELb1ES3_N6thrust23THRUST_200600_302600_NS6detail15normal_iteratorINS9_10device_ptrIsEEEESE_sNS9_10multipliesIsEEsEEDaPvRmT3_T4_T5_mT6_P12ihipStream_tbENKUlT_T0_E_clISt17integral_constantIbLb1EESU_EEDaSP_SQ_EUlSP_E0_NS1_11comp_targetILNS1_3genE3ELNS1_11target_archE908ELNS1_3gpuE7ELNS1_3repE0EEENS1_30default_config_static_selectorELNS0_4arch9wavefront6targetE1EEEvT1_
    .private_segment_fixed_size: 0
    .sgpr_count:     4
    .sgpr_spill_count: 0
    .symbol:         _ZN7rocprim17ROCPRIM_400000_NS6detail17trampoline_kernelINS0_14default_configENS1_20scan_config_selectorIsEEZZNS1_9scan_implILNS1_25lookback_scan_determinismE0ELb0ELb1ES3_N6thrust23THRUST_200600_302600_NS6detail15normal_iteratorINS9_10device_ptrIsEEEESE_sNS9_10multipliesIsEEsEEDaPvRmT3_T4_T5_mT6_P12ihipStream_tbENKUlT_T0_E_clISt17integral_constantIbLb1EESU_EEDaSP_SQ_EUlSP_E0_NS1_11comp_targetILNS1_3genE3ELNS1_11target_archE908ELNS1_3gpuE7ELNS1_3repE0EEENS1_30default_config_static_selectorELNS0_4arch9wavefront6targetE1EEEvT1_.kd
    .uniform_work_group_size: 1
    .uses_dynamic_stack: false
    .vgpr_count:     0
    .vgpr_spill_count: 0
    .wavefront_size: 64
  - .agpr_count:     0
    .args:
      - .offset:         0
        .size:           32
        .value_kind:     by_value
    .group_segment_fixed_size: 0
    .kernarg_segment_align: 8
    .kernarg_segment_size: 32
    .language:       OpenCL C
    .language_version:
      - 2
      - 0
    .max_flat_workgroup_size: 256
    .name:           _ZN7rocprim17ROCPRIM_400000_NS6detail17trampoline_kernelINS0_14default_configENS1_20scan_config_selectorIsEEZZNS1_9scan_implILNS1_25lookback_scan_determinismE0ELb0ELb1ES3_N6thrust23THRUST_200600_302600_NS6detail15normal_iteratorINS9_10device_ptrIsEEEESE_sNS9_10multipliesIsEEsEEDaPvRmT3_T4_T5_mT6_P12ihipStream_tbENKUlT_T0_E_clISt17integral_constantIbLb1EESU_EEDaSP_SQ_EUlSP_E0_NS1_11comp_targetILNS1_3genE2ELNS1_11target_archE906ELNS1_3gpuE6ELNS1_3repE0EEENS1_30default_config_static_selectorELNS0_4arch9wavefront6targetE1EEEvT1_
    .private_segment_fixed_size: 0
    .sgpr_count:     4
    .sgpr_spill_count: 0
    .symbol:         _ZN7rocprim17ROCPRIM_400000_NS6detail17trampoline_kernelINS0_14default_configENS1_20scan_config_selectorIsEEZZNS1_9scan_implILNS1_25lookback_scan_determinismE0ELb0ELb1ES3_N6thrust23THRUST_200600_302600_NS6detail15normal_iteratorINS9_10device_ptrIsEEEESE_sNS9_10multipliesIsEEsEEDaPvRmT3_T4_T5_mT6_P12ihipStream_tbENKUlT_T0_E_clISt17integral_constantIbLb1EESU_EEDaSP_SQ_EUlSP_E0_NS1_11comp_targetILNS1_3genE2ELNS1_11target_archE906ELNS1_3gpuE6ELNS1_3repE0EEENS1_30default_config_static_selectorELNS0_4arch9wavefront6targetE1EEEvT1_.kd
    .uniform_work_group_size: 1
    .uses_dynamic_stack: false
    .vgpr_count:     0
    .vgpr_spill_count: 0
    .wavefront_size: 64
  - .agpr_count:     0
    .args:
      - .offset:         0
        .size:           32
        .value_kind:     by_value
    .group_segment_fixed_size: 0
    .kernarg_segment_align: 8
    .kernarg_segment_size: 32
    .language:       OpenCL C
    .language_version:
      - 2
      - 0
    .max_flat_workgroup_size: 256
    .name:           _ZN7rocprim17ROCPRIM_400000_NS6detail17trampoline_kernelINS0_14default_configENS1_20scan_config_selectorIsEEZZNS1_9scan_implILNS1_25lookback_scan_determinismE0ELb0ELb1ES3_N6thrust23THRUST_200600_302600_NS6detail15normal_iteratorINS9_10device_ptrIsEEEESE_sNS9_10multipliesIsEEsEEDaPvRmT3_T4_T5_mT6_P12ihipStream_tbENKUlT_T0_E_clISt17integral_constantIbLb1EESU_EEDaSP_SQ_EUlSP_E0_NS1_11comp_targetILNS1_3genE10ELNS1_11target_archE1201ELNS1_3gpuE5ELNS1_3repE0EEENS1_30default_config_static_selectorELNS0_4arch9wavefront6targetE1EEEvT1_
    .private_segment_fixed_size: 0
    .sgpr_count:     4
    .sgpr_spill_count: 0
    .symbol:         _ZN7rocprim17ROCPRIM_400000_NS6detail17trampoline_kernelINS0_14default_configENS1_20scan_config_selectorIsEEZZNS1_9scan_implILNS1_25lookback_scan_determinismE0ELb0ELb1ES3_N6thrust23THRUST_200600_302600_NS6detail15normal_iteratorINS9_10device_ptrIsEEEESE_sNS9_10multipliesIsEEsEEDaPvRmT3_T4_T5_mT6_P12ihipStream_tbENKUlT_T0_E_clISt17integral_constantIbLb1EESU_EEDaSP_SQ_EUlSP_E0_NS1_11comp_targetILNS1_3genE10ELNS1_11target_archE1201ELNS1_3gpuE5ELNS1_3repE0EEENS1_30default_config_static_selectorELNS0_4arch9wavefront6targetE1EEEvT1_.kd
    .uniform_work_group_size: 1
    .uses_dynamic_stack: false
    .vgpr_count:     0
    .vgpr_spill_count: 0
    .wavefront_size: 64
  - .agpr_count:     0
    .args:
      - .offset:         0
        .size:           32
        .value_kind:     by_value
    .group_segment_fixed_size: 0
    .kernarg_segment_align: 8
    .kernarg_segment_size: 32
    .language:       OpenCL C
    .language_version:
      - 2
      - 0
    .max_flat_workgroup_size: 256
    .name:           _ZN7rocprim17ROCPRIM_400000_NS6detail17trampoline_kernelINS0_14default_configENS1_20scan_config_selectorIsEEZZNS1_9scan_implILNS1_25lookback_scan_determinismE0ELb0ELb1ES3_N6thrust23THRUST_200600_302600_NS6detail15normal_iteratorINS9_10device_ptrIsEEEESE_sNS9_10multipliesIsEEsEEDaPvRmT3_T4_T5_mT6_P12ihipStream_tbENKUlT_T0_E_clISt17integral_constantIbLb1EESU_EEDaSP_SQ_EUlSP_E0_NS1_11comp_targetILNS1_3genE10ELNS1_11target_archE1200ELNS1_3gpuE4ELNS1_3repE0EEENS1_30default_config_static_selectorELNS0_4arch9wavefront6targetE1EEEvT1_
    .private_segment_fixed_size: 0
    .sgpr_count:     4
    .sgpr_spill_count: 0
    .symbol:         _ZN7rocprim17ROCPRIM_400000_NS6detail17trampoline_kernelINS0_14default_configENS1_20scan_config_selectorIsEEZZNS1_9scan_implILNS1_25lookback_scan_determinismE0ELb0ELb1ES3_N6thrust23THRUST_200600_302600_NS6detail15normal_iteratorINS9_10device_ptrIsEEEESE_sNS9_10multipliesIsEEsEEDaPvRmT3_T4_T5_mT6_P12ihipStream_tbENKUlT_T0_E_clISt17integral_constantIbLb1EESU_EEDaSP_SQ_EUlSP_E0_NS1_11comp_targetILNS1_3genE10ELNS1_11target_archE1200ELNS1_3gpuE4ELNS1_3repE0EEENS1_30default_config_static_selectorELNS0_4arch9wavefront6targetE1EEEvT1_.kd
    .uniform_work_group_size: 1
    .uses_dynamic_stack: false
    .vgpr_count:     0
    .vgpr_spill_count: 0
    .wavefront_size: 64
  - .agpr_count:     0
    .args:
      - .offset:         0
        .size:           32
        .value_kind:     by_value
    .group_segment_fixed_size: 0
    .kernarg_segment_align: 8
    .kernarg_segment_size: 32
    .language:       OpenCL C
    .language_version:
      - 2
      - 0
    .max_flat_workgroup_size: 64
    .name:           _ZN7rocprim17ROCPRIM_400000_NS6detail17trampoline_kernelINS0_14default_configENS1_20scan_config_selectorIsEEZZNS1_9scan_implILNS1_25lookback_scan_determinismE0ELb0ELb1ES3_N6thrust23THRUST_200600_302600_NS6detail15normal_iteratorINS9_10device_ptrIsEEEESE_sNS9_10multipliesIsEEsEEDaPvRmT3_T4_T5_mT6_P12ihipStream_tbENKUlT_T0_E_clISt17integral_constantIbLb1EESU_EEDaSP_SQ_EUlSP_E0_NS1_11comp_targetILNS1_3genE9ELNS1_11target_archE1100ELNS1_3gpuE3ELNS1_3repE0EEENS1_30default_config_static_selectorELNS0_4arch9wavefront6targetE1EEEvT1_
    .private_segment_fixed_size: 0
    .sgpr_count:     4
    .sgpr_spill_count: 0
    .symbol:         _ZN7rocprim17ROCPRIM_400000_NS6detail17trampoline_kernelINS0_14default_configENS1_20scan_config_selectorIsEEZZNS1_9scan_implILNS1_25lookback_scan_determinismE0ELb0ELb1ES3_N6thrust23THRUST_200600_302600_NS6detail15normal_iteratorINS9_10device_ptrIsEEEESE_sNS9_10multipliesIsEEsEEDaPvRmT3_T4_T5_mT6_P12ihipStream_tbENKUlT_T0_E_clISt17integral_constantIbLb1EESU_EEDaSP_SQ_EUlSP_E0_NS1_11comp_targetILNS1_3genE9ELNS1_11target_archE1100ELNS1_3gpuE3ELNS1_3repE0EEENS1_30default_config_static_selectorELNS0_4arch9wavefront6targetE1EEEvT1_.kd
    .uniform_work_group_size: 1
    .uses_dynamic_stack: false
    .vgpr_count:     0
    .vgpr_spill_count: 0
    .wavefront_size: 64
  - .agpr_count:     0
    .args:
      - .offset:         0
        .size:           32
        .value_kind:     by_value
    .group_segment_fixed_size: 0
    .kernarg_segment_align: 8
    .kernarg_segment_size: 32
    .language:       OpenCL C
    .language_version:
      - 2
      - 0
    .max_flat_workgroup_size: 64
    .name:           _ZN7rocprim17ROCPRIM_400000_NS6detail17trampoline_kernelINS0_14default_configENS1_20scan_config_selectorIsEEZZNS1_9scan_implILNS1_25lookback_scan_determinismE0ELb0ELb1ES3_N6thrust23THRUST_200600_302600_NS6detail15normal_iteratorINS9_10device_ptrIsEEEESE_sNS9_10multipliesIsEEsEEDaPvRmT3_T4_T5_mT6_P12ihipStream_tbENKUlT_T0_E_clISt17integral_constantIbLb1EESU_EEDaSP_SQ_EUlSP_E0_NS1_11comp_targetILNS1_3genE8ELNS1_11target_archE1030ELNS1_3gpuE2ELNS1_3repE0EEENS1_30default_config_static_selectorELNS0_4arch9wavefront6targetE1EEEvT1_
    .private_segment_fixed_size: 0
    .sgpr_count:     4
    .sgpr_spill_count: 0
    .symbol:         _ZN7rocprim17ROCPRIM_400000_NS6detail17trampoline_kernelINS0_14default_configENS1_20scan_config_selectorIsEEZZNS1_9scan_implILNS1_25lookback_scan_determinismE0ELb0ELb1ES3_N6thrust23THRUST_200600_302600_NS6detail15normal_iteratorINS9_10device_ptrIsEEEESE_sNS9_10multipliesIsEEsEEDaPvRmT3_T4_T5_mT6_P12ihipStream_tbENKUlT_T0_E_clISt17integral_constantIbLb1EESU_EEDaSP_SQ_EUlSP_E0_NS1_11comp_targetILNS1_3genE8ELNS1_11target_archE1030ELNS1_3gpuE2ELNS1_3repE0EEENS1_30default_config_static_selectorELNS0_4arch9wavefront6targetE1EEEvT1_.kd
    .uniform_work_group_size: 1
    .uses_dynamic_stack: false
    .vgpr_count:     0
    .vgpr_spill_count: 0
    .wavefront_size: 64
  - .agpr_count:     0
    .args:
      - .offset:         0
        .size:           96
        .value_kind:     by_value
    .group_segment_fixed_size: 0
    .kernarg_segment_align: 8
    .kernarg_segment_size: 96
    .language:       OpenCL C
    .language_version:
      - 2
      - 0
    .max_flat_workgroup_size: 128
    .name:           _ZN7rocprim17ROCPRIM_400000_NS6detail17trampoline_kernelINS0_14default_configENS1_20scan_config_selectorIsEEZZNS1_9scan_implILNS1_25lookback_scan_determinismE0ELb0ELb1ES3_N6thrust23THRUST_200600_302600_NS6detail15normal_iteratorINS9_10device_ptrIsEEEESE_sNS9_10multipliesIsEEsEEDaPvRmT3_T4_T5_mT6_P12ihipStream_tbENKUlT_T0_E_clISt17integral_constantIbLb1EEST_IbLb0EEEEDaSP_SQ_EUlSP_E_NS1_11comp_targetILNS1_3genE0ELNS1_11target_archE4294967295ELNS1_3gpuE0ELNS1_3repE0EEENS1_30default_config_static_selectorELNS0_4arch9wavefront6targetE1EEEvT1_
    .private_segment_fixed_size: 0
    .sgpr_count:     4
    .sgpr_spill_count: 0
    .symbol:         _ZN7rocprim17ROCPRIM_400000_NS6detail17trampoline_kernelINS0_14default_configENS1_20scan_config_selectorIsEEZZNS1_9scan_implILNS1_25lookback_scan_determinismE0ELb0ELb1ES3_N6thrust23THRUST_200600_302600_NS6detail15normal_iteratorINS9_10device_ptrIsEEEESE_sNS9_10multipliesIsEEsEEDaPvRmT3_T4_T5_mT6_P12ihipStream_tbENKUlT_T0_E_clISt17integral_constantIbLb1EEST_IbLb0EEEEDaSP_SQ_EUlSP_E_NS1_11comp_targetILNS1_3genE0ELNS1_11target_archE4294967295ELNS1_3gpuE0ELNS1_3repE0EEENS1_30default_config_static_selectorELNS0_4arch9wavefront6targetE1EEEvT1_.kd
    .uniform_work_group_size: 1
    .uses_dynamic_stack: false
    .vgpr_count:     0
    .vgpr_spill_count: 0
    .wavefront_size: 64
  - .agpr_count:     0
    .args:
      - .offset:         0
        .size:           96
        .value_kind:     by_value
    .group_segment_fixed_size: 0
    .kernarg_segment_align: 8
    .kernarg_segment_size: 96
    .language:       OpenCL C
    .language_version:
      - 2
      - 0
    .max_flat_workgroup_size: 256
    .name:           _ZN7rocprim17ROCPRIM_400000_NS6detail17trampoline_kernelINS0_14default_configENS1_20scan_config_selectorIsEEZZNS1_9scan_implILNS1_25lookback_scan_determinismE0ELb0ELb1ES3_N6thrust23THRUST_200600_302600_NS6detail15normal_iteratorINS9_10device_ptrIsEEEESE_sNS9_10multipliesIsEEsEEDaPvRmT3_T4_T5_mT6_P12ihipStream_tbENKUlT_T0_E_clISt17integral_constantIbLb1EEST_IbLb0EEEEDaSP_SQ_EUlSP_E_NS1_11comp_targetILNS1_3genE5ELNS1_11target_archE942ELNS1_3gpuE9ELNS1_3repE0EEENS1_30default_config_static_selectorELNS0_4arch9wavefront6targetE1EEEvT1_
    .private_segment_fixed_size: 0
    .sgpr_count:     4
    .sgpr_spill_count: 0
    .symbol:         _ZN7rocprim17ROCPRIM_400000_NS6detail17trampoline_kernelINS0_14default_configENS1_20scan_config_selectorIsEEZZNS1_9scan_implILNS1_25lookback_scan_determinismE0ELb0ELb1ES3_N6thrust23THRUST_200600_302600_NS6detail15normal_iteratorINS9_10device_ptrIsEEEESE_sNS9_10multipliesIsEEsEEDaPvRmT3_T4_T5_mT6_P12ihipStream_tbENKUlT_T0_E_clISt17integral_constantIbLb1EEST_IbLb0EEEEDaSP_SQ_EUlSP_E_NS1_11comp_targetILNS1_3genE5ELNS1_11target_archE942ELNS1_3gpuE9ELNS1_3repE0EEENS1_30default_config_static_selectorELNS0_4arch9wavefront6targetE1EEEvT1_.kd
    .uniform_work_group_size: 1
    .uses_dynamic_stack: false
    .vgpr_count:     0
    .vgpr_spill_count: 0
    .wavefront_size: 64
  - .agpr_count:     0
    .args:
      - .offset:         0
        .size:           96
        .value_kind:     by_value
    .group_segment_fixed_size: 3072
    .kernarg_segment_align: 8
    .kernarg_segment_size: 96
    .language:       OpenCL C
    .language_version:
      - 2
      - 0
    .max_flat_workgroup_size: 64
    .name:           _ZN7rocprim17ROCPRIM_400000_NS6detail17trampoline_kernelINS0_14default_configENS1_20scan_config_selectorIsEEZZNS1_9scan_implILNS1_25lookback_scan_determinismE0ELb0ELb1ES3_N6thrust23THRUST_200600_302600_NS6detail15normal_iteratorINS9_10device_ptrIsEEEESE_sNS9_10multipliesIsEEsEEDaPvRmT3_T4_T5_mT6_P12ihipStream_tbENKUlT_T0_E_clISt17integral_constantIbLb1EEST_IbLb0EEEEDaSP_SQ_EUlSP_E_NS1_11comp_targetILNS1_3genE4ELNS1_11target_archE910ELNS1_3gpuE8ELNS1_3repE0EEENS1_30default_config_static_selectorELNS0_4arch9wavefront6targetE1EEEvT1_
    .private_segment_fixed_size: 0
    .sgpr_count:     36
    .sgpr_spill_count: 0
    .symbol:         _ZN7rocprim17ROCPRIM_400000_NS6detail17trampoline_kernelINS0_14default_configENS1_20scan_config_selectorIsEEZZNS1_9scan_implILNS1_25lookback_scan_determinismE0ELb0ELb1ES3_N6thrust23THRUST_200600_302600_NS6detail15normal_iteratorINS9_10device_ptrIsEEEESE_sNS9_10multipliesIsEEsEEDaPvRmT3_T4_T5_mT6_P12ihipStream_tbENKUlT_T0_E_clISt17integral_constantIbLb1EEST_IbLb0EEEEDaSP_SQ_EUlSP_E_NS1_11comp_targetILNS1_3genE4ELNS1_11target_archE910ELNS1_3gpuE8ELNS1_3repE0EEENS1_30default_config_static_selectorELNS0_4arch9wavefront6targetE1EEEvT1_.kd
    .uniform_work_group_size: 1
    .uses_dynamic_stack: false
    .vgpr_count:     67
    .vgpr_spill_count: 0
    .wavefront_size: 64
  - .agpr_count:     0
    .args:
      - .offset:         0
        .size:           96
        .value_kind:     by_value
    .group_segment_fixed_size: 0
    .kernarg_segment_align: 8
    .kernarg_segment_size: 96
    .language:       OpenCL C
    .language_version:
      - 2
      - 0
    .max_flat_workgroup_size: 128
    .name:           _ZN7rocprim17ROCPRIM_400000_NS6detail17trampoline_kernelINS0_14default_configENS1_20scan_config_selectorIsEEZZNS1_9scan_implILNS1_25lookback_scan_determinismE0ELb0ELb1ES3_N6thrust23THRUST_200600_302600_NS6detail15normal_iteratorINS9_10device_ptrIsEEEESE_sNS9_10multipliesIsEEsEEDaPvRmT3_T4_T5_mT6_P12ihipStream_tbENKUlT_T0_E_clISt17integral_constantIbLb1EEST_IbLb0EEEEDaSP_SQ_EUlSP_E_NS1_11comp_targetILNS1_3genE3ELNS1_11target_archE908ELNS1_3gpuE7ELNS1_3repE0EEENS1_30default_config_static_selectorELNS0_4arch9wavefront6targetE1EEEvT1_
    .private_segment_fixed_size: 0
    .sgpr_count:     4
    .sgpr_spill_count: 0
    .symbol:         _ZN7rocprim17ROCPRIM_400000_NS6detail17trampoline_kernelINS0_14default_configENS1_20scan_config_selectorIsEEZZNS1_9scan_implILNS1_25lookback_scan_determinismE0ELb0ELb1ES3_N6thrust23THRUST_200600_302600_NS6detail15normal_iteratorINS9_10device_ptrIsEEEESE_sNS9_10multipliesIsEEsEEDaPvRmT3_T4_T5_mT6_P12ihipStream_tbENKUlT_T0_E_clISt17integral_constantIbLb1EEST_IbLb0EEEEDaSP_SQ_EUlSP_E_NS1_11comp_targetILNS1_3genE3ELNS1_11target_archE908ELNS1_3gpuE7ELNS1_3repE0EEENS1_30default_config_static_selectorELNS0_4arch9wavefront6targetE1EEEvT1_.kd
    .uniform_work_group_size: 1
    .uses_dynamic_stack: false
    .vgpr_count:     0
    .vgpr_spill_count: 0
    .wavefront_size: 64
  - .agpr_count:     0
    .args:
      - .offset:         0
        .size:           96
        .value_kind:     by_value
    .group_segment_fixed_size: 0
    .kernarg_segment_align: 8
    .kernarg_segment_size: 96
    .language:       OpenCL C
    .language_version:
      - 2
      - 0
    .max_flat_workgroup_size: 256
    .name:           _ZN7rocprim17ROCPRIM_400000_NS6detail17trampoline_kernelINS0_14default_configENS1_20scan_config_selectorIsEEZZNS1_9scan_implILNS1_25lookback_scan_determinismE0ELb0ELb1ES3_N6thrust23THRUST_200600_302600_NS6detail15normal_iteratorINS9_10device_ptrIsEEEESE_sNS9_10multipliesIsEEsEEDaPvRmT3_T4_T5_mT6_P12ihipStream_tbENKUlT_T0_E_clISt17integral_constantIbLb1EEST_IbLb0EEEEDaSP_SQ_EUlSP_E_NS1_11comp_targetILNS1_3genE2ELNS1_11target_archE906ELNS1_3gpuE6ELNS1_3repE0EEENS1_30default_config_static_selectorELNS0_4arch9wavefront6targetE1EEEvT1_
    .private_segment_fixed_size: 0
    .sgpr_count:     4
    .sgpr_spill_count: 0
    .symbol:         _ZN7rocprim17ROCPRIM_400000_NS6detail17trampoline_kernelINS0_14default_configENS1_20scan_config_selectorIsEEZZNS1_9scan_implILNS1_25lookback_scan_determinismE0ELb0ELb1ES3_N6thrust23THRUST_200600_302600_NS6detail15normal_iteratorINS9_10device_ptrIsEEEESE_sNS9_10multipliesIsEEsEEDaPvRmT3_T4_T5_mT6_P12ihipStream_tbENKUlT_T0_E_clISt17integral_constantIbLb1EEST_IbLb0EEEEDaSP_SQ_EUlSP_E_NS1_11comp_targetILNS1_3genE2ELNS1_11target_archE906ELNS1_3gpuE6ELNS1_3repE0EEENS1_30default_config_static_selectorELNS0_4arch9wavefront6targetE1EEEvT1_.kd
    .uniform_work_group_size: 1
    .uses_dynamic_stack: false
    .vgpr_count:     0
    .vgpr_spill_count: 0
    .wavefront_size: 64
  - .agpr_count:     0
    .args:
      - .offset:         0
        .size:           96
        .value_kind:     by_value
    .group_segment_fixed_size: 0
    .kernarg_segment_align: 8
    .kernarg_segment_size: 96
    .language:       OpenCL C
    .language_version:
      - 2
      - 0
    .max_flat_workgroup_size: 256
    .name:           _ZN7rocprim17ROCPRIM_400000_NS6detail17trampoline_kernelINS0_14default_configENS1_20scan_config_selectorIsEEZZNS1_9scan_implILNS1_25lookback_scan_determinismE0ELb0ELb1ES3_N6thrust23THRUST_200600_302600_NS6detail15normal_iteratorINS9_10device_ptrIsEEEESE_sNS9_10multipliesIsEEsEEDaPvRmT3_T4_T5_mT6_P12ihipStream_tbENKUlT_T0_E_clISt17integral_constantIbLb1EEST_IbLb0EEEEDaSP_SQ_EUlSP_E_NS1_11comp_targetILNS1_3genE10ELNS1_11target_archE1201ELNS1_3gpuE5ELNS1_3repE0EEENS1_30default_config_static_selectorELNS0_4arch9wavefront6targetE1EEEvT1_
    .private_segment_fixed_size: 0
    .sgpr_count:     4
    .sgpr_spill_count: 0
    .symbol:         _ZN7rocprim17ROCPRIM_400000_NS6detail17trampoline_kernelINS0_14default_configENS1_20scan_config_selectorIsEEZZNS1_9scan_implILNS1_25lookback_scan_determinismE0ELb0ELb1ES3_N6thrust23THRUST_200600_302600_NS6detail15normal_iteratorINS9_10device_ptrIsEEEESE_sNS9_10multipliesIsEEsEEDaPvRmT3_T4_T5_mT6_P12ihipStream_tbENKUlT_T0_E_clISt17integral_constantIbLb1EEST_IbLb0EEEEDaSP_SQ_EUlSP_E_NS1_11comp_targetILNS1_3genE10ELNS1_11target_archE1201ELNS1_3gpuE5ELNS1_3repE0EEENS1_30default_config_static_selectorELNS0_4arch9wavefront6targetE1EEEvT1_.kd
    .uniform_work_group_size: 1
    .uses_dynamic_stack: false
    .vgpr_count:     0
    .vgpr_spill_count: 0
    .wavefront_size: 64
  - .agpr_count:     0
    .args:
      - .offset:         0
        .size:           96
        .value_kind:     by_value
    .group_segment_fixed_size: 0
    .kernarg_segment_align: 8
    .kernarg_segment_size: 96
    .language:       OpenCL C
    .language_version:
      - 2
      - 0
    .max_flat_workgroup_size: 256
    .name:           _ZN7rocprim17ROCPRIM_400000_NS6detail17trampoline_kernelINS0_14default_configENS1_20scan_config_selectorIsEEZZNS1_9scan_implILNS1_25lookback_scan_determinismE0ELb0ELb1ES3_N6thrust23THRUST_200600_302600_NS6detail15normal_iteratorINS9_10device_ptrIsEEEESE_sNS9_10multipliesIsEEsEEDaPvRmT3_T4_T5_mT6_P12ihipStream_tbENKUlT_T0_E_clISt17integral_constantIbLb1EEST_IbLb0EEEEDaSP_SQ_EUlSP_E_NS1_11comp_targetILNS1_3genE10ELNS1_11target_archE1200ELNS1_3gpuE4ELNS1_3repE0EEENS1_30default_config_static_selectorELNS0_4arch9wavefront6targetE1EEEvT1_
    .private_segment_fixed_size: 0
    .sgpr_count:     4
    .sgpr_spill_count: 0
    .symbol:         _ZN7rocprim17ROCPRIM_400000_NS6detail17trampoline_kernelINS0_14default_configENS1_20scan_config_selectorIsEEZZNS1_9scan_implILNS1_25lookback_scan_determinismE0ELb0ELb1ES3_N6thrust23THRUST_200600_302600_NS6detail15normal_iteratorINS9_10device_ptrIsEEEESE_sNS9_10multipliesIsEEsEEDaPvRmT3_T4_T5_mT6_P12ihipStream_tbENKUlT_T0_E_clISt17integral_constantIbLb1EEST_IbLb0EEEEDaSP_SQ_EUlSP_E_NS1_11comp_targetILNS1_3genE10ELNS1_11target_archE1200ELNS1_3gpuE4ELNS1_3repE0EEENS1_30default_config_static_selectorELNS0_4arch9wavefront6targetE1EEEvT1_.kd
    .uniform_work_group_size: 1
    .uses_dynamic_stack: false
    .vgpr_count:     0
    .vgpr_spill_count: 0
    .wavefront_size: 64
  - .agpr_count:     0
    .args:
      - .offset:         0
        .size:           96
        .value_kind:     by_value
    .group_segment_fixed_size: 0
    .kernarg_segment_align: 8
    .kernarg_segment_size: 96
    .language:       OpenCL C
    .language_version:
      - 2
      - 0
    .max_flat_workgroup_size: 64
    .name:           _ZN7rocprim17ROCPRIM_400000_NS6detail17trampoline_kernelINS0_14default_configENS1_20scan_config_selectorIsEEZZNS1_9scan_implILNS1_25lookback_scan_determinismE0ELb0ELb1ES3_N6thrust23THRUST_200600_302600_NS6detail15normal_iteratorINS9_10device_ptrIsEEEESE_sNS9_10multipliesIsEEsEEDaPvRmT3_T4_T5_mT6_P12ihipStream_tbENKUlT_T0_E_clISt17integral_constantIbLb1EEST_IbLb0EEEEDaSP_SQ_EUlSP_E_NS1_11comp_targetILNS1_3genE9ELNS1_11target_archE1100ELNS1_3gpuE3ELNS1_3repE0EEENS1_30default_config_static_selectorELNS0_4arch9wavefront6targetE1EEEvT1_
    .private_segment_fixed_size: 0
    .sgpr_count:     4
    .sgpr_spill_count: 0
    .symbol:         _ZN7rocprim17ROCPRIM_400000_NS6detail17trampoline_kernelINS0_14default_configENS1_20scan_config_selectorIsEEZZNS1_9scan_implILNS1_25lookback_scan_determinismE0ELb0ELb1ES3_N6thrust23THRUST_200600_302600_NS6detail15normal_iteratorINS9_10device_ptrIsEEEESE_sNS9_10multipliesIsEEsEEDaPvRmT3_T4_T5_mT6_P12ihipStream_tbENKUlT_T0_E_clISt17integral_constantIbLb1EEST_IbLb0EEEEDaSP_SQ_EUlSP_E_NS1_11comp_targetILNS1_3genE9ELNS1_11target_archE1100ELNS1_3gpuE3ELNS1_3repE0EEENS1_30default_config_static_selectorELNS0_4arch9wavefront6targetE1EEEvT1_.kd
    .uniform_work_group_size: 1
    .uses_dynamic_stack: false
    .vgpr_count:     0
    .vgpr_spill_count: 0
    .wavefront_size: 64
  - .agpr_count:     0
    .args:
      - .offset:         0
        .size:           96
        .value_kind:     by_value
    .group_segment_fixed_size: 0
    .kernarg_segment_align: 8
    .kernarg_segment_size: 96
    .language:       OpenCL C
    .language_version:
      - 2
      - 0
    .max_flat_workgroup_size: 64
    .name:           _ZN7rocprim17ROCPRIM_400000_NS6detail17trampoline_kernelINS0_14default_configENS1_20scan_config_selectorIsEEZZNS1_9scan_implILNS1_25lookback_scan_determinismE0ELb0ELb1ES3_N6thrust23THRUST_200600_302600_NS6detail15normal_iteratorINS9_10device_ptrIsEEEESE_sNS9_10multipliesIsEEsEEDaPvRmT3_T4_T5_mT6_P12ihipStream_tbENKUlT_T0_E_clISt17integral_constantIbLb1EEST_IbLb0EEEEDaSP_SQ_EUlSP_E_NS1_11comp_targetILNS1_3genE8ELNS1_11target_archE1030ELNS1_3gpuE2ELNS1_3repE0EEENS1_30default_config_static_selectorELNS0_4arch9wavefront6targetE1EEEvT1_
    .private_segment_fixed_size: 0
    .sgpr_count:     4
    .sgpr_spill_count: 0
    .symbol:         _ZN7rocprim17ROCPRIM_400000_NS6detail17trampoline_kernelINS0_14default_configENS1_20scan_config_selectorIsEEZZNS1_9scan_implILNS1_25lookback_scan_determinismE0ELb0ELb1ES3_N6thrust23THRUST_200600_302600_NS6detail15normal_iteratorINS9_10device_ptrIsEEEESE_sNS9_10multipliesIsEEsEEDaPvRmT3_T4_T5_mT6_P12ihipStream_tbENKUlT_T0_E_clISt17integral_constantIbLb1EEST_IbLb0EEEEDaSP_SQ_EUlSP_E_NS1_11comp_targetILNS1_3genE8ELNS1_11target_archE1030ELNS1_3gpuE2ELNS1_3repE0EEENS1_30default_config_static_selectorELNS0_4arch9wavefront6targetE1EEEvT1_.kd
    .uniform_work_group_size: 1
    .uses_dynamic_stack: false
    .vgpr_count:     0
    .vgpr_spill_count: 0
    .wavefront_size: 64
  - .agpr_count:     0
    .args:
      - .offset:         0
        .size:           32
        .value_kind:     by_value
    .group_segment_fixed_size: 0
    .kernarg_segment_align: 8
    .kernarg_segment_size: 32
    .language:       OpenCL C
    .language_version:
      - 2
      - 0
    .max_flat_workgroup_size: 128
    .name:           _ZN7rocprim17ROCPRIM_400000_NS6detail17trampoline_kernelINS0_14default_configENS1_20scan_config_selectorIsEEZZNS1_9scan_implILNS1_25lookback_scan_determinismE0ELb0ELb1ES3_N6thrust23THRUST_200600_302600_NS6detail15normal_iteratorINS9_10device_ptrIsEEEESE_sNS9_10multipliesIsEEsEEDaPvRmT3_T4_T5_mT6_P12ihipStream_tbENKUlT_T0_E_clISt17integral_constantIbLb1EEST_IbLb0EEEEDaSP_SQ_EUlSP_E0_NS1_11comp_targetILNS1_3genE0ELNS1_11target_archE4294967295ELNS1_3gpuE0ELNS1_3repE0EEENS1_30default_config_static_selectorELNS0_4arch9wavefront6targetE1EEEvT1_
    .private_segment_fixed_size: 0
    .sgpr_count:     4
    .sgpr_spill_count: 0
    .symbol:         _ZN7rocprim17ROCPRIM_400000_NS6detail17trampoline_kernelINS0_14default_configENS1_20scan_config_selectorIsEEZZNS1_9scan_implILNS1_25lookback_scan_determinismE0ELb0ELb1ES3_N6thrust23THRUST_200600_302600_NS6detail15normal_iteratorINS9_10device_ptrIsEEEESE_sNS9_10multipliesIsEEsEEDaPvRmT3_T4_T5_mT6_P12ihipStream_tbENKUlT_T0_E_clISt17integral_constantIbLb1EEST_IbLb0EEEEDaSP_SQ_EUlSP_E0_NS1_11comp_targetILNS1_3genE0ELNS1_11target_archE4294967295ELNS1_3gpuE0ELNS1_3repE0EEENS1_30default_config_static_selectorELNS0_4arch9wavefront6targetE1EEEvT1_.kd
    .uniform_work_group_size: 1
    .uses_dynamic_stack: false
    .vgpr_count:     0
    .vgpr_spill_count: 0
    .wavefront_size: 64
  - .agpr_count:     0
    .args:
      - .offset:         0
        .size:           32
        .value_kind:     by_value
    .group_segment_fixed_size: 0
    .kernarg_segment_align: 8
    .kernarg_segment_size: 32
    .language:       OpenCL C
    .language_version:
      - 2
      - 0
    .max_flat_workgroup_size: 256
    .name:           _ZN7rocprim17ROCPRIM_400000_NS6detail17trampoline_kernelINS0_14default_configENS1_20scan_config_selectorIsEEZZNS1_9scan_implILNS1_25lookback_scan_determinismE0ELb0ELb1ES3_N6thrust23THRUST_200600_302600_NS6detail15normal_iteratorINS9_10device_ptrIsEEEESE_sNS9_10multipliesIsEEsEEDaPvRmT3_T4_T5_mT6_P12ihipStream_tbENKUlT_T0_E_clISt17integral_constantIbLb1EEST_IbLb0EEEEDaSP_SQ_EUlSP_E0_NS1_11comp_targetILNS1_3genE5ELNS1_11target_archE942ELNS1_3gpuE9ELNS1_3repE0EEENS1_30default_config_static_selectorELNS0_4arch9wavefront6targetE1EEEvT1_
    .private_segment_fixed_size: 0
    .sgpr_count:     4
    .sgpr_spill_count: 0
    .symbol:         _ZN7rocprim17ROCPRIM_400000_NS6detail17trampoline_kernelINS0_14default_configENS1_20scan_config_selectorIsEEZZNS1_9scan_implILNS1_25lookback_scan_determinismE0ELb0ELb1ES3_N6thrust23THRUST_200600_302600_NS6detail15normal_iteratorINS9_10device_ptrIsEEEESE_sNS9_10multipliesIsEEsEEDaPvRmT3_T4_T5_mT6_P12ihipStream_tbENKUlT_T0_E_clISt17integral_constantIbLb1EEST_IbLb0EEEEDaSP_SQ_EUlSP_E0_NS1_11comp_targetILNS1_3genE5ELNS1_11target_archE942ELNS1_3gpuE9ELNS1_3repE0EEENS1_30default_config_static_selectorELNS0_4arch9wavefront6targetE1EEEvT1_.kd
    .uniform_work_group_size: 1
    .uses_dynamic_stack: false
    .vgpr_count:     0
    .vgpr_spill_count: 0
    .wavefront_size: 64
  - .agpr_count:     0
    .args:
      - .offset:         0
        .size:           32
        .value_kind:     by_value
    .group_segment_fixed_size: 3072
    .kernarg_segment_align: 8
    .kernarg_segment_size: 32
    .language:       OpenCL C
    .language_version:
      - 2
      - 0
    .max_flat_workgroup_size: 64
    .name:           _ZN7rocprim17ROCPRIM_400000_NS6detail17trampoline_kernelINS0_14default_configENS1_20scan_config_selectorIsEEZZNS1_9scan_implILNS1_25lookback_scan_determinismE0ELb0ELb1ES3_N6thrust23THRUST_200600_302600_NS6detail15normal_iteratorINS9_10device_ptrIsEEEESE_sNS9_10multipliesIsEEsEEDaPvRmT3_T4_T5_mT6_P12ihipStream_tbENKUlT_T0_E_clISt17integral_constantIbLb1EEST_IbLb0EEEEDaSP_SQ_EUlSP_E0_NS1_11comp_targetILNS1_3genE4ELNS1_11target_archE910ELNS1_3gpuE8ELNS1_3repE0EEENS1_30default_config_static_selectorELNS0_4arch9wavefront6targetE1EEEvT1_
    .private_segment_fixed_size: 0
    .sgpr_count:     60
    .sgpr_spill_count: 0
    .symbol:         _ZN7rocprim17ROCPRIM_400000_NS6detail17trampoline_kernelINS0_14default_configENS1_20scan_config_selectorIsEEZZNS1_9scan_implILNS1_25lookback_scan_determinismE0ELb0ELb1ES3_N6thrust23THRUST_200600_302600_NS6detail15normal_iteratorINS9_10device_ptrIsEEEESE_sNS9_10multipliesIsEEsEEDaPvRmT3_T4_T5_mT6_P12ihipStream_tbENKUlT_T0_E_clISt17integral_constantIbLb1EEST_IbLb0EEEEDaSP_SQ_EUlSP_E0_NS1_11comp_targetILNS1_3genE4ELNS1_11target_archE910ELNS1_3gpuE8ELNS1_3repE0EEENS1_30default_config_static_selectorELNS0_4arch9wavefront6targetE1EEEvT1_.kd
    .uniform_work_group_size: 1
    .uses_dynamic_stack: false
    .vgpr_count:     41
    .vgpr_spill_count: 0
    .wavefront_size: 64
  - .agpr_count:     0
    .args:
      - .offset:         0
        .size:           32
        .value_kind:     by_value
    .group_segment_fixed_size: 0
    .kernarg_segment_align: 8
    .kernarg_segment_size: 32
    .language:       OpenCL C
    .language_version:
      - 2
      - 0
    .max_flat_workgroup_size: 128
    .name:           _ZN7rocprim17ROCPRIM_400000_NS6detail17trampoline_kernelINS0_14default_configENS1_20scan_config_selectorIsEEZZNS1_9scan_implILNS1_25lookback_scan_determinismE0ELb0ELb1ES3_N6thrust23THRUST_200600_302600_NS6detail15normal_iteratorINS9_10device_ptrIsEEEESE_sNS9_10multipliesIsEEsEEDaPvRmT3_T4_T5_mT6_P12ihipStream_tbENKUlT_T0_E_clISt17integral_constantIbLb1EEST_IbLb0EEEEDaSP_SQ_EUlSP_E0_NS1_11comp_targetILNS1_3genE3ELNS1_11target_archE908ELNS1_3gpuE7ELNS1_3repE0EEENS1_30default_config_static_selectorELNS0_4arch9wavefront6targetE1EEEvT1_
    .private_segment_fixed_size: 0
    .sgpr_count:     4
    .sgpr_spill_count: 0
    .symbol:         _ZN7rocprim17ROCPRIM_400000_NS6detail17trampoline_kernelINS0_14default_configENS1_20scan_config_selectorIsEEZZNS1_9scan_implILNS1_25lookback_scan_determinismE0ELb0ELb1ES3_N6thrust23THRUST_200600_302600_NS6detail15normal_iteratorINS9_10device_ptrIsEEEESE_sNS9_10multipliesIsEEsEEDaPvRmT3_T4_T5_mT6_P12ihipStream_tbENKUlT_T0_E_clISt17integral_constantIbLb1EEST_IbLb0EEEEDaSP_SQ_EUlSP_E0_NS1_11comp_targetILNS1_3genE3ELNS1_11target_archE908ELNS1_3gpuE7ELNS1_3repE0EEENS1_30default_config_static_selectorELNS0_4arch9wavefront6targetE1EEEvT1_.kd
    .uniform_work_group_size: 1
    .uses_dynamic_stack: false
    .vgpr_count:     0
    .vgpr_spill_count: 0
    .wavefront_size: 64
  - .agpr_count:     0
    .args:
      - .offset:         0
        .size:           32
        .value_kind:     by_value
    .group_segment_fixed_size: 0
    .kernarg_segment_align: 8
    .kernarg_segment_size: 32
    .language:       OpenCL C
    .language_version:
      - 2
      - 0
    .max_flat_workgroup_size: 256
    .name:           _ZN7rocprim17ROCPRIM_400000_NS6detail17trampoline_kernelINS0_14default_configENS1_20scan_config_selectorIsEEZZNS1_9scan_implILNS1_25lookback_scan_determinismE0ELb0ELb1ES3_N6thrust23THRUST_200600_302600_NS6detail15normal_iteratorINS9_10device_ptrIsEEEESE_sNS9_10multipliesIsEEsEEDaPvRmT3_T4_T5_mT6_P12ihipStream_tbENKUlT_T0_E_clISt17integral_constantIbLb1EEST_IbLb0EEEEDaSP_SQ_EUlSP_E0_NS1_11comp_targetILNS1_3genE2ELNS1_11target_archE906ELNS1_3gpuE6ELNS1_3repE0EEENS1_30default_config_static_selectorELNS0_4arch9wavefront6targetE1EEEvT1_
    .private_segment_fixed_size: 0
    .sgpr_count:     4
    .sgpr_spill_count: 0
    .symbol:         _ZN7rocprim17ROCPRIM_400000_NS6detail17trampoline_kernelINS0_14default_configENS1_20scan_config_selectorIsEEZZNS1_9scan_implILNS1_25lookback_scan_determinismE0ELb0ELb1ES3_N6thrust23THRUST_200600_302600_NS6detail15normal_iteratorINS9_10device_ptrIsEEEESE_sNS9_10multipliesIsEEsEEDaPvRmT3_T4_T5_mT6_P12ihipStream_tbENKUlT_T0_E_clISt17integral_constantIbLb1EEST_IbLb0EEEEDaSP_SQ_EUlSP_E0_NS1_11comp_targetILNS1_3genE2ELNS1_11target_archE906ELNS1_3gpuE6ELNS1_3repE0EEENS1_30default_config_static_selectorELNS0_4arch9wavefront6targetE1EEEvT1_.kd
    .uniform_work_group_size: 1
    .uses_dynamic_stack: false
    .vgpr_count:     0
    .vgpr_spill_count: 0
    .wavefront_size: 64
  - .agpr_count:     0
    .args:
      - .offset:         0
        .size:           32
        .value_kind:     by_value
    .group_segment_fixed_size: 0
    .kernarg_segment_align: 8
    .kernarg_segment_size: 32
    .language:       OpenCL C
    .language_version:
      - 2
      - 0
    .max_flat_workgroup_size: 256
    .name:           _ZN7rocprim17ROCPRIM_400000_NS6detail17trampoline_kernelINS0_14default_configENS1_20scan_config_selectorIsEEZZNS1_9scan_implILNS1_25lookback_scan_determinismE0ELb0ELb1ES3_N6thrust23THRUST_200600_302600_NS6detail15normal_iteratorINS9_10device_ptrIsEEEESE_sNS9_10multipliesIsEEsEEDaPvRmT3_T4_T5_mT6_P12ihipStream_tbENKUlT_T0_E_clISt17integral_constantIbLb1EEST_IbLb0EEEEDaSP_SQ_EUlSP_E0_NS1_11comp_targetILNS1_3genE10ELNS1_11target_archE1201ELNS1_3gpuE5ELNS1_3repE0EEENS1_30default_config_static_selectorELNS0_4arch9wavefront6targetE1EEEvT1_
    .private_segment_fixed_size: 0
    .sgpr_count:     4
    .sgpr_spill_count: 0
    .symbol:         _ZN7rocprim17ROCPRIM_400000_NS6detail17trampoline_kernelINS0_14default_configENS1_20scan_config_selectorIsEEZZNS1_9scan_implILNS1_25lookback_scan_determinismE0ELb0ELb1ES3_N6thrust23THRUST_200600_302600_NS6detail15normal_iteratorINS9_10device_ptrIsEEEESE_sNS9_10multipliesIsEEsEEDaPvRmT3_T4_T5_mT6_P12ihipStream_tbENKUlT_T0_E_clISt17integral_constantIbLb1EEST_IbLb0EEEEDaSP_SQ_EUlSP_E0_NS1_11comp_targetILNS1_3genE10ELNS1_11target_archE1201ELNS1_3gpuE5ELNS1_3repE0EEENS1_30default_config_static_selectorELNS0_4arch9wavefront6targetE1EEEvT1_.kd
    .uniform_work_group_size: 1
    .uses_dynamic_stack: false
    .vgpr_count:     0
    .vgpr_spill_count: 0
    .wavefront_size: 64
  - .agpr_count:     0
    .args:
      - .offset:         0
        .size:           32
        .value_kind:     by_value
    .group_segment_fixed_size: 0
    .kernarg_segment_align: 8
    .kernarg_segment_size: 32
    .language:       OpenCL C
    .language_version:
      - 2
      - 0
    .max_flat_workgroup_size: 256
    .name:           _ZN7rocprim17ROCPRIM_400000_NS6detail17trampoline_kernelINS0_14default_configENS1_20scan_config_selectorIsEEZZNS1_9scan_implILNS1_25lookback_scan_determinismE0ELb0ELb1ES3_N6thrust23THRUST_200600_302600_NS6detail15normal_iteratorINS9_10device_ptrIsEEEESE_sNS9_10multipliesIsEEsEEDaPvRmT3_T4_T5_mT6_P12ihipStream_tbENKUlT_T0_E_clISt17integral_constantIbLb1EEST_IbLb0EEEEDaSP_SQ_EUlSP_E0_NS1_11comp_targetILNS1_3genE10ELNS1_11target_archE1200ELNS1_3gpuE4ELNS1_3repE0EEENS1_30default_config_static_selectorELNS0_4arch9wavefront6targetE1EEEvT1_
    .private_segment_fixed_size: 0
    .sgpr_count:     4
    .sgpr_spill_count: 0
    .symbol:         _ZN7rocprim17ROCPRIM_400000_NS6detail17trampoline_kernelINS0_14default_configENS1_20scan_config_selectorIsEEZZNS1_9scan_implILNS1_25lookback_scan_determinismE0ELb0ELb1ES3_N6thrust23THRUST_200600_302600_NS6detail15normal_iteratorINS9_10device_ptrIsEEEESE_sNS9_10multipliesIsEEsEEDaPvRmT3_T4_T5_mT6_P12ihipStream_tbENKUlT_T0_E_clISt17integral_constantIbLb1EEST_IbLb0EEEEDaSP_SQ_EUlSP_E0_NS1_11comp_targetILNS1_3genE10ELNS1_11target_archE1200ELNS1_3gpuE4ELNS1_3repE0EEENS1_30default_config_static_selectorELNS0_4arch9wavefront6targetE1EEEvT1_.kd
    .uniform_work_group_size: 1
    .uses_dynamic_stack: false
    .vgpr_count:     0
    .vgpr_spill_count: 0
    .wavefront_size: 64
  - .agpr_count:     0
    .args:
      - .offset:         0
        .size:           32
        .value_kind:     by_value
    .group_segment_fixed_size: 0
    .kernarg_segment_align: 8
    .kernarg_segment_size: 32
    .language:       OpenCL C
    .language_version:
      - 2
      - 0
    .max_flat_workgroup_size: 64
    .name:           _ZN7rocprim17ROCPRIM_400000_NS6detail17trampoline_kernelINS0_14default_configENS1_20scan_config_selectorIsEEZZNS1_9scan_implILNS1_25lookback_scan_determinismE0ELb0ELb1ES3_N6thrust23THRUST_200600_302600_NS6detail15normal_iteratorINS9_10device_ptrIsEEEESE_sNS9_10multipliesIsEEsEEDaPvRmT3_T4_T5_mT6_P12ihipStream_tbENKUlT_T0_E_clISt17integral_constantIbLb1EEST_IbLb0EEEEDaSP_SQ_EUlSP_E0_NS1_11comp_targetILNS1_3genE9ELNS1_11target_archE1100ELNS1_3gpuE3ELNS1_3repE0EEENS1_30default_config_static_selectorELNS0_4arch9wavefront6targetE1EEEvT1_
    .private_segment_fixed_size: 0
    .sgpr_count:     4
    .sgpr_spill_count: 0
    .symbol:         _ZN7rocprim17ROCPRIM_400000_NS6detail17trampoline_kernelINS0_14default_configENS1_20scan_config_selectorIsEEZZNS1_9scan_implILNS1_25lookback_scan_determinismE0ELb0ELb1ES3_N6thrust23THRUST_200600_302600_NS6detail15normal_iteratorINS9_10device_ptrIsEEEESE_sNS9_10multipliesIsEEsEEDaPvRmT3_T4_T5_mT6_P12ihipStream_tbENKUlT_T0_E_clISt17integral_constantIbLb1EEST_IbLb0EEEEDaSP_SQ_EUlSP_E0_NS1_11comp_targetILNS1_3genE9ELNS1_11target_archE1100ELNS1_3gpuE3ELNS1_3repE0EEENS1_30default_config_static_selectorELNS0_4arch9wavefront6targetE1EEEvT1_.kd
    .uniform_work_group_size: 1
    .uses_dynamic_stack: false
    .vgpr_count:     0
    .vgpr_spill_count: 0
    .wavefront_size: 64
  - .agpr_count:     0
    .args:
      - .offset:         0
        .size:           32
        .value_kind:     by_value
    .group_segment_fixed_size: 0
    .kernarg_segment_align: 8
    .kernarg_segment_size: 32
    .language:       OpenCL C
    .language_version:
      - 2
      - 0
    .max_flat_workgroup_size: 64
    .name:           _ZN7rocprim17ROCPRIM_400000_NS6detail17trampoline_kernelINS0_14default_configENS1_20scan_config_selectorIsEEZZNS1_9scan_implILNS1_25lookback_scan_determinismE0ELb0ELb1ES3_N6thrust23THRUST_200600_302600_NS6detail15normal_iteratorINS9_10device_ptrIsEEEESE_sNS9_10multipliesIsEEsEEDaPvRmT3_T4_T5_mT6_P12ihipStream_tbENKUlT_T0_E_clISt17integral_constantIbLb1EEST_IbLb0EEEEDaSP_SQ_EUlSP_E0_NS1_11comp_targetILNS1_3genE8ELNS1_11target_archE1030ELNS1_3gpuE2ELNS1_3repE0EEENS1_30default_config_static_selectorELNS0_4arch9wavefront6targetE1EEEvT1_
    .private_segment_fixed_size: 0
    .sgpr_count:     4
    .sgpr_spill_count: 0
    .symbol:         _ZN7rocprim17ROCPRIM_400000_NS6detail17trampoline_kernelINS0_14default_configENS1_20scan_config_selectorIsEEZZNS1_9scan_implILNS1_25lookback_scan_determinismE0ELb0ELb1ES3_N6thrust23THRUST_200600_302600_NS6detail15normal_iteratorINS9_10device_ptrIsEEEESE_sNS9_10multipliesIsEEsEEDaPvRmT3_T4_T5_mT6_P12ihipStream_tbENKUlT_T0_E_clISt17integral_constantIbLb1EEST_IbLb0EEEEDaSP_SQ_EUlSP_E0_NS1_11comp_targetILNS1_3genE8ELNS1_11target_archE1030ELNS1_3gpuE2ELNS1_3repE0EEENS1_30default_config_static_selectorELNS0_4arch9wavefront6targetE1EEEvT1_.kd
    .uniform_work_group_size: 1
    .uses_dynamic_stack: false
    .vgpr_count:     0
    .vgpr_spill_count: 0
    .wavefront_size: 64
  - .agpr_count:     0
    .args:
      - .offset:         0
        .size:           96
        .value_kind:     by_value
    .group_segment_fixed_size: 0
    .kernarg_segment_align: 8
    .kernarg_segment_size: 96
    .language:       OpenCL C
    .language_version:
      - 2
      - 0
    .max_flat_workgroup_size: 128
    .name:           _ZN7rocprim17ROCPRIM_400000_NS6detail17trampoline_kernelINS0_14default_configENS1_20scan_config_selectorIsEEZZNS1_9scan_implILNS1_25lookback_scan_determinismE0ELb0ELb1ES3_N6thrust23THRUST_200600_302600_NS6detail15normal_iteratorINS9_10device_ptrIsEEEESE_sNS9_10multipliesIsEEsEEDaPvRmT3_T4_T5_mT6_P12ihipStream_tbENKUlT_T0_E_clISt17integral_constantIbLb0EEST_IbLb1EEEEDaSP_SQ_EUlSP_E_NS1_11comp_targetILNS1_3genE0ELNS1_11target_archE4294967295ELNS1_3gpuE0ELNS1_3repE0EEENS1_30default_config_static_selectorELNS0_4arch9wavefront6targetE1EEEvT1_
    .private_segment_fixed_size: 0
    .sgpr_count:     4
    .sgpr_spill_count: 0
    .symbol:         _ZN7rocprim17ROCPRIM_400000_NS6detail17trampoline_kernelINS0_14default_configENS1_20scan_config_selectorIsEEZZNS1_9scan_implILNS1_25lookback_scan_determinismE0ELb0ELb1ES3_N6thrust23THRUST_200600_302600_NS6detail15normal_iteratorINS9_10device_ptrIsEEEESE_sNS9_10multipliesIsEEsEEDaPvRmT3_T4_T5_mT6_P12ihipStream_tbENKUlT_T0_E_clISt17integral_constantIbLb0EEST_IbLb1EEEEDaSP_SQ_EUlSP_E_NS1_11comp_targetILNS1_3genE0ELNS1_11target_archE4294967295ELNS1_3gpuE0ELNS1_3repE0EEENS1_30default_config_static_selectorELNS0_4arch9wavefront6targetE1EEEvT1_.kd
    .uniform_work_group_size: 1
    .uses_dynamic_stack: false
    .vgpr_count:     0
    .vgpr_spill_count: 0
    .wavefront_size: 64
  - .agpr_count:     0
    .args:
      - .offset:         0
        .size:           96
        .value_kind:     by_value
    .group_segment_fixed_size: 0
    .kernarg_segment_align: 8
    .kernarg_segment_size: 96
    .language:       OpenCL C
    .language_version:
      - 2
      - 0
    .max_flat_workgroup_size: 256
    .name:           _ZN7rocprim17ROCPRIM_400000_NS6detail17trampoline_kernelINS0_14default_configENS1_20scan_config_selectorIsEEZZNS1_9scan_implILNS1_25lookback_scan_determinismE0ELb0ELb1ES3_N6thrust23THRUST_200600_302600_NS6detail15normal_iteratorINS9_10device_ptrIsEEEESE_sNS9_10multipliesIsEEsEEDaPvRmT3_T4_T5_mT6_P12ihipStream_tbENKUlT_T0_E_clISt17integral_constantIbLb0EEST_IbLb1EEEEDaSP_SQ_EUlSP_E_NS1_11comp_targetILNS1_3genE5ELNS1_11target_archE942ELNS1_3gpuE9ELNS1_3repE0EEENS1_30default_config_static_selectorELNS0_4arch9wavefront6targetE1EEEvT1_
    .private_segment_fixed_size: 0
    .sgpr_count:     4
    .sgpr_spill_count: 0
    .symbol:         _ZN7rocprim17ROCPRIM_400000_NS6detail17trampoline_kernelINS0_14default_configENS1_20scan_config_selectorIsEEZZNS1_9scan_implILNS1_25lookback_scan_determinismE0ELb0ELb1ES3_N6thrust23THRUST_200600_302600_NS6detail15normal_iteratorINS9_10device_ptrIsEEEESE_sNS9_10multipliesIsEEsEEDaPvRmT3_T4_T5_mT6_P12ihipStream_tbENKUlT_T0_E_clISt17integral_constantIbLb0EEST_IbLb1EEEEDaSP_SQ_EUlSP_E_NS1_11comp_targetILNS1_3genE5ELNS1_11target_archE942ELNS1_3gpuE9ELNS1_3repE0EEENS1_30default_config_static_selectorELNS0_4arch9wavefront6targetE1EEEvT1_.kd
    .uniform_work_group_size: 1
    .uses_dynamic_stack: false
    .vgpr_count:     0
    .vgpr_spill_count: 0
    .wavefront_size: 64
  - .agpr_count:     0
    .args:
      - .offset:         0
        .size:           96
        .value_kind:     by_value
    .group_segment_fixed_size: 3072
    .kernarg_segment_align: 8
    .kernarg_segment_size: 96
    .language:       OpenCL C
    .language_version:
      - 2
      - 0
    .max_flat_workgroup_size: 64
    .name:           _ZN7rocprim17ROCPRIM_400000_NS6detail17trampoline_kernelINS0_14default_configENS1_20scan_config_selectorIsEEZZNS1_9scan_implILNS1_25lookback_scan_determinismE0ELb0ELb1ES3_N6thrust23THRUST_200600_302600_NS6detail15normal_iteratorINS9_10device_ptrIsEEEESE_sNS9_10multipliesIsEEsEEDaPvRmT3_T4_T5_mT6_P12ihipStream_tbENKUlT_T0_E_clISt17integral_constantIbLb0EEST_IbLb1EEEEDaSP_SQ_EUlSP_E_NS1_11comp_targetILNS1_3genE4ELNS1_11target_archE910ELNS1_3gpuE8ELNS1_3repE0EEENS1_30default_config_static_selectorELNS0_4arch9wavefront6targetE1EEEvT1_
    .private_segment_fixed_size: 0
    .sgpr_count:     42
    .sgpr_spill_count: 0
    .symbol:         _ZN7rocprim17ROCPRIM_400000_NS6detail17trampoline_kernelINS0_14default_configENS1_20scan_config_selectorIsEEZZNS1_9scan_implILNS1_25lookback_scan_determinismE0ELb0ELb1ES3_N6thrust23THRUST_200600_302600_NS6detail15normal_iteratorINS9_10device_ptrIsEEEESE_sNS9_10multipliesIsEEsEEDaPvRmT3_T4_T5_mT6_P12ihipStream_tbENKUlT_T0_E_clISt17integral_constantIbLb0EEST_IbLb1EEEEDaSP_SQ_EUlSP_E_NS1_11comp_targetILNS1_3genE4ELNS1_11target_archE910ELNS1_3gpuE8ELNS1_3repE0EEENS1_30default_config_static_selectorELNS0_4arch9wavefront6targetE1EEEvT1_.kd
    .uniform_work_group_size: 1
    .uses_dynamic_stack: false
    .vgpr_count:     68
    .vgpr_spill_count: 0
    .wavefront_size: 64
  - .agpr_count:     0
    .args:
      - .offset:         0
        .size:           96
        .value_kind:     by_value
    .group_segment_fixed_size: 0
    .kernarg_segment_align: 8
    .kernarg_segment_size: 96
    .language:       OpenCL C
    .language_version:
      - 2
      - 0
    .max_flat_workgroup_size: 128
    .name:           _ZN7rocprim17ROCPRIM_400000_NS6detail17trampoline_kernelINS0_14default_configENS1_20scan_config_selectorIsEEZZNS1_9scan_implILNS1_25lookback_scan_determinismE0ELb0ELb1ES3_N6thrust23THRUST_200600_302600_NS6detail15normal_iteratorINS9_10device_ptrIsEEEESE_sNS9_10multipliesIsEEsEEDaPvRmT3_T4_T5_mT6_P12ihipStream_tbENKUlT_T0_E_clISt17integral_constantIbLb0EEST_IbLb1EEEEDaSP_SQ_EUlSP_E_NS1_11comp_targetILNS1_3genE3ELNS1_11target_archE908ELNS1_3gpuE7ELNS1_3repE0EEENS1_30default_config_static_selectorELNS0_4arch9wavefront6targetE1EEEvT1_
    .private_segment_fixed_size: 0
    .sgpr_count:     4
    .sgpr_spill_count: 0
    .symbol:         _ZN7rocprim17ROCPRIM_400000_NS6detail17trampoline_kernelINS0_14default_configENS1_20scan_config_selectorIsEEZZNS1_9scan_implILNS1_25lookback_scan_determinismE0ELb0ELb1ES3_N6thrust23THRUST_200600_302600_NS6detail15normal_iteratorINS9_10device_ptrIsEEEESE_sNS9_10multipliesIsEEsEEDaPvRmT3_T4_T5_mT6_P12ihipStream_tbENKUlT_T0_E_clISt17integral_constantIbLb0EEST_IbLb1EEEEDaSP_SQ_EUlSP_E_NS1_11comp_targetILNS1_3genE3ELNS1_11target_archE908ELNS1_3gpuE7ELNS1_3repE0EEENS1_30default_config_static_selectorELNS0_4arch9wavefront6targetE1EEEvT1_.kd
    .uniform_work_group_size: 1
    .uses_dynamic_stack: false
    .vgpr_count:     0
    .vgpr_spill_count: 0
    .wavefront_size: 64
  - .agpr_count:     0
    .args:
      - .offset:         0
        .size:           96
        .value_kind:     by_value
    .group_segment_fixed_size: 0
    .kernarg_segment_align: 8
    .kernarg_segment_size: 96
    .language:       OpenCL C
    .language_version:
      - 2
      - 0
    .max_flat_workgroup_size: 256
    .name:           _ZN7rocprim17ROCPRIM_400000_NS6detail17trampoline_kernelINS0_14default_configENS1_20scan_config_selectorIsEEZZNS1_9scan_implILNS1_25lookback_scan_determinismE0ELb0ELb1ES3_N6thrust23THRUST_200600_302600_NS6detail15normal_iteratorINS9_10device_ptrIsEEEESE_sNS9_10multipliesIsEEsEEDaPvRmT3_T4_T5_mT6_P12ihipStream_tbENKUlT_T0_E_clISt17integral_constantIbLb0EEST_IbLb1EEEEDaSP_SQ_EUlSP_E_NS1_11comp_targetILNS1_3genE2ELNS1_11target_archE906ELNS1_3gpuE6ELNS1_3repE0EEENS1_30default_config_static_selectorELNS0_4arch9wavefront6targetE1EEEvT1_
    .private_segment_fixed_size: 0
    .sgpr_count:     4
    .sgpr_spill_count: 0
    .symbol:         _ZN7rocprim17ROCPRIM_400000_NS6detail17trampoline_kernelINS0_14default_configENS1_20scan_config_selectorIsEEZZNS1_9scan_implILNS1_25lookback_scan_determinismE0ELb0ELb1ES3_N6thrust23THRUST_200600_302600_NS6detail15normal_iteratorINS9_10device_ptrIsEEEESE_sNS9_10multipliesIsEEsEEDaPvRmT3_T4_T5_mT6_P12ihipStream_tbENKUlT_T0_E_clISt17integral_constantIbLb0EEST_IbLb1EEEEDaSP_SQ_EUlSP_E_NS1_11comp_targetILNS1_3genE2ELNS1_11target_archE906ELNS1_3gpuE6ELNS1_3repE0EEENS1_30default_config_static_selectorELNS0_4arch9wavefront6targetE1EEEvT1_.kd
    .uniform_work_group_size: 1
    .uses_dynamic_stack: false
    .vgpr_count:     0
    .vgpr_spill_count: 0
    .wavefront_size: 64
  - .agpr_count:     0
    .args:
      - .offset:         0
        .size:           96
        .value_kind:     by_value
    .group_segment_fixed_size: 0
    .kernarg_segment_align: 8
    .kernarg_segment_size: 96
    .language:       OpenCL C
    .language_version:
      - 2
      - 0
    .max_flat_workgroup_size: 256
    .name:           _ZN7rocprim17ROCPRIM_400000_NS6detail17trampoline_kernelINS0_14default_configENS1_20scan_config_selectorIsEEZZNS1_9scan_implILNS1_25lookback_scan_determinismE0ELb0ELb1ES3_N6thrust23THRUST_200600_302600_NS6detail15normal_iteratorINS9_10device_ptrIsEEEESE_sNS9_10multipliesIsEEsEEDaPvRmT3_T4_T5_mT6_P12ihipStream_tbENKUlT_T0_E_clISt17integral_constantIbLb0EEST_IbLb1EEEEDaSP_SQ_EUlSP_E_NS1_11comp_targetILNS1_3genE10ELNS1_11target_archE1201ELNS1_3gpuE5ELNS1_3repE0EEENS1_30default_config_static_selectorELNS0_4arch9wavefront6targetE1EEEvT1_
    .private_segment_fixed_size: 0
    .sgpr_count:     4
    .sgpr_spill_count: 0
    .symbol:         _ZN7rocprim17ROCPRIM_400000_NS6detail17trampoline_kernelINS0_14default_configENS1_20scan_config_selectorIsEEZZNS1_9scan_implILNS1_25lookback_scan_determinismE0ELb0ELb1ES3_N6thrust23THRUST_200600_302600_NS6detail15normal_iteratorINS9_10device_ptrIsEEEESE_sNS9_10multipliesIsEEsEEDaPvRmT3_T4_T5_mT6_P12ihipStream_tbENKUlT_T0_E_clISt17integral_constantIbLb0EEST_IbLb1EEEEDaSP_SQ_EUlSP_E_NS1_11comp_targetILNS1_3genE10ELNS1_11target_archE1201ELNS1_3gpuE5ELNS1_3repE0EEENS1_30default_config_static_selectorELNS0_4arch9wavefront6targetE1EEEvT1_.kd
    .uniform_work_group_size: 1
    .uses_dynamic_stack: false
    .vgpr_count:     0
    .vgpr_spill_count: 0
    .wavefront_size: 64
  - .agpr_count:     0
    .args:
      - .offset:         0
        .size:           96
        .value_kind:     by_value
    .group_segment_fixed_size: 0
    .kernarg_segment_align: 8
    .kernarg_segment_size: 96
    .language:       OpenCL C
    .language_version:
      - 2
      - 0
    .max_flat_workgroup_size: 256
    .name:           _ZN7rocprim17ROCPRIM_400000_NS6detail17trampoline_kernelINS0_14default_configENS1_20scan_config_selectorIsEEZZNS1_9scan_implILNS1_25lookback_scan_determinismE0ELb0ELb1ES3_N6thrust23THRUST_200600_302600_NS6detail15normal_iteratorINS9_10device_ptrIsEEEESE_sNS9_10multipliesIsEEsEEDaPvRmT3_T4_T5_mT6_P12ihipStream_tbENKUlT_T0_E_clISt17integral_constantIbLb0EEST_IbLb1EEEEDaSP_SQ_EUlSP_E_NS1_11comp_targetILNS1_3genE10ELNS1_11target_archE1200ELNS1_3gpuE4ELNS1_3repE0EEENS1_30default_config_static_selectorELNS0_4arch9wavefront6targetE1EEEvT1_
    .private_segment_fixed_size: 0
    .sgpr_count:     4
    .sgpr_spill_count: 0
    .symbol:         _ZN7rocprim17ROCPRIM_400000_NS6detail17trampoline_kernelINS0_14default_configENS1_20scan_config_selectorIsEEZZNS1_9scan_implILNS1_25lookback_scan_determinismE0ELb0ELb1ES3_N6thrust23THRUST_200600_302600_NS6detail15normal_iteratorINS9_10device_ptrIsEEEESE_sNS9_10multipliesIsEEsEEDaPvRmT3_T4_T5_mT6_P12ihipStream_tbENKUlT_T0_E_clISt17integral_constantIbLb0EEST_IbLb1EEEEDaSP_SQ_EUlSP_E_NS1_11comp_targetILNS1_3genE10ELNS1_11target_archE1200ELNS1_3gpuE4ELNS1_3repE0EEENS1_30default_config_static_selectorELNS0_4arch9wavefront6targetE1EEEvT1_.kd
    .uniform_work_group_size: 1
    .uses_dynamic_stack: false
    .vgpr_count:     0
    .vgpr_spill_count: 0
    .wavefront_size: 64
  - .agpr_count:     0
    .args:
      - .offset:         0
        .size:           96
        .value_kind:     by_value
    .group_segment_fixed_size: 0
    .kernarg_segment_align: 8
    .kernarg_segment_size: 96
    .language:       OpenCL C
    .language_version:
      - 2
      - 0
    .max_flat_workgroup_size: 64
    .name:           _ZN7rocprim17ROCPRIM_400000_NS6detail17trampoline_kernelINS0_14default_configENS1_20scan_config_selectorIsEEZZNS1_9scan_implILNS1_25lookback_scan_determinismE0ELb0ELb1ES3_N6thrust23THRUST_200600_302600_NS6detail15normal_iteratorINS9_10device_ptrIsEEEESE_sNS9_10multipliesIsEEsEEDaPvRmT3_T4_T5_mT6_P12ihipStream_tbENKUlT_T0_E_clISt17integral_constantIbLb0EEST_IbLb1EEEEDaSP_SQ_EUlSP_E_NS1_11comp_targetILNS1_3genE9ELNS1_11target_archE1100ELNS1_3gpuE3ELNS1_3repE0EEENS1_30default_config_static_selectorELNS0_4arch9wavefront6targetE1EEEvT1_
    .private_segment_fixed_size: 0
    .sgpr_count:     4
    .sgpr_spill_count: 0
    .symbol:         _ZN7rocprim17ROCPRIM_400000_NS6detail17trampoline_kernelINS0_14default_configENS1_20scan_config_selectorIsEEZZNS1_9scan_implILNS1_25lookback_scan_determinismE0ELb0ELb1ES3_N6thrust23THRUST_200600_302600_NS6detail15normal_iteratorINS9_10device_ptrIsEEEESE_sNS9_10multipliesIsEEsEEDaPvRmT3_T4_T5_mT6_P12ihipStream_tbENKUlT_T0_E_clISt17integral_constantIbLb0EEST_IbLb1EEEEDaSP_SQ_EUlSP_E_NS1_11comp_targetILNS1_3genE9ELNS1_11target_archE1100ELNS1_3gpuE3ELNS1_3repE0EEENS1_30default_config_static_selectorELNS0_4arch9wavefront6targetE1EEEvT1_.kd
    .uniform_work_group_size: 1
    .uses_dynamic_stack: false
    .vgpr_count:     0
    .vgpr_spill_count: 0
    .wavefront_size: 64
  - .agpr_count:     0
    .args:
      - .offset:         0
        .size:           96
        .value_kind:     by_value
    .group_segment_fixed_size: 0
    .kernarg_segment_align: 8
    .kernarg_segment_size: 96
    .language:       OpenCL C
    .language_version:
      - 2
      - 0
    .max_flat_workgroup_size: 64
    .name:           _ZN7rocprim17ROCPRIM_400000_NS6detail17trampoline_kernelINS0_14default_configENS1_20scan_config_selectorIsEEZZNS1_9scan_implILNS1_25lookback_scan_determinismE0ELb0ELb1ES3_N6thrust23THRUST_200600_302600_NS6detail15normal_iteratorINS9_10device_ptrIsEEEESE_sNS9_10multipliesIsEEsEEDaPvRmT3_T4_T5_mT6_P12ihipStream_tbENKUlT_T0_E_clISt17integral_constantIbLb0EEST_IbLb1EEEEDaSP_SQ_EUlSP_E_NS1_11comp_targetILNS1_3genE8ELNS1_11target_archE1030ELNS1_3gpuE2ELNS1_3repE0EEENS1_30default_config_static_selectorELNS0_4arch9wavefront6targetE1EEEvT1_
    .private_segment_fixed_size: 0
    .sgpr_count:     4
    .sgpr_spill_count: 0
    .symbol:         _ZN7rocprim17ROCPRIM_400000_NS6detail17trampoline_kernelINS0_14default_configENS1_20scan_config_selectorIsEEZZNS1_9scan_implILNS1_25lookback_scan_determinismE0ELb0ELb1ES3_N6thrust23THRUST_200600_302600_NS6detail15normal_iteratorINS9_10device_ptrIsEEEESE_sNS9_10multipliesIsEEsEEDaPvRmT3_T4_T5_mT6_P12ihipStream_tbENKUlT_T0_E_clISt17integral_constantIbLb0EEST_IbLb1EEEEDaSP_SQ_EUlSP_E_NS1_11comp_targetILNS1_3genE8ELNS1_11target_archE1030ELNS1_3gpuE2ELNS1_3repE0EEENS1_30default_config_static_selectorELNS0_4arch9wavefront6targetE1EEEvT1_.kd
    .uniform_work_group_size: 1
    .uses_dynamic_stack: false
    .vgpr_count:     0
    .vgpr_spill_count: 0
    .wavefront_size: 64
  - .agpr_count:     0
    .args:
      - .offset:         0
        .size:           32
        .value_kind:     by_value
    .group_segment_fixed_size: 0
    .kernarg_segment_align: 8
    .kernarg_segment_size: 32
    .language:       OpenCL C
    .language_version:
      - 2
      - 0
    .max_flat_workgroup_size: 128
    .name:           _ZN7rocprim17ROCPRIM_400000_NS6detail17trampoline_kernelINS0_14default_configENS1_20scan_config_selectorIsEEZZNS1_9scan_implILNS1_25lookback_scan_determinismE0ELb0ELb1ES3_N6thrust23THRUST_200600_302600_NS6detail15normal_iteratorINS9_10device_ptrIsEEEESE_sNS9_10multipliesIsEEsEEDaPvRmT3_T4_T5_mT6_P12ihipStream_tbENKUlT_T0_E_clISt17integral_constantIbLb0EEST_IbLb1EEEEDaSP_SQ_EUlSP_E0_NS1_11comp_targetILNS1_3genE0ELNS1_11target_archE4294967295ELNS1_3gpuE0ELNS1_3repE0EEENS1_30default_config_static_selectorELNS0_4arch9wavefront6targetE1EEEvT1_
    .private_segment_fixed_size: 0
    .sgpr_count:     4
    .sgpr_spill_count: 0
    .symbol:         _ZN7rocprim17ROCPRIM_400000_NS6detail17trampoline_kernelINS0_14default_configENS1_20scan_config_selectorIsEEZZNS1_9scan_implILNS1_25lookback_scan_determinismE0ELb0ELb1ES3_N6thrust23THRUST_200600_302600_NS6detail15normal_iteratorINS9_10device_ptrIsEEEESE_sNS9_10multipliesIsEEsEEDaPvRmT3_T4_T5_mT6_P12ihipStream_tbENKUlT_T0_E_clISt17integral_constantIbLb0EEST_IbLb1EEEEDaSP_SQ_EUlSP_E0_NS1_11comp_targetILNS1_3genE0ELNS1_11target_archE4294967295ELNS1_3gpuE0ELNS1_3repE0EEENS1_30default_config_static_selectorELNS0_4arch9wavefront6targetE1EEEvT1_.kd
    .uniform_work_group_size: 1
    .uses_dynamic_stack: false
    .vgpr_count:     0
    .vgpr_spill_count: 0
    .wavefront_size: 64
  - .agpr_count:     0
    .args:
      - .offset:         0
        .size:           32
        .value_kind:     by_value
    .group_segment_fixed_size: 0
    .kernarg_segment_align: 8
    .kernarg_segment_size: 32
    .language:       OpenCL C
    .language_version:
      - 2
      - 0
    .max_flat_workgroup_size: 256
    .name:           _ZN7rocprim17ROCPRIM_400000_NS6detail17trampoline_kernelINS0_14default_configENS1_20scan_config_selectorIsEEZZNS1_9scan_implILNS1_25lookback_scan_determinismE0ELb0ELb1ES3_N6thrust23THRUST_200600_302600_NS6detail15normal_iteratorINS9_10device_ptrIsEEEESE_sNS9_10multipliesIsEEsEEDaPvRmT3_T4_T5_mT6_P12ihipStream_tbENKUlT_T0_E_clISt17integral_constantIbLb0EEST_IbLb1EEEEDaSP_SQ_EUlSP_E0_NS1_11comp_targetILNS1_3genE5ELNS1_11target_archE942ELNS1_3gpuE9ELNS1_3repE0EEENS1_30default_config_static_selectorELNS0_4arch9wavefront6targetE1EEEvT1_
    .private_segment_fixed_size: 0
    .sgpr_count:     4
    .sgpr_spill_count: 0
    .symbol:         _ZN7rocprim17ROCPRIM_400000_NS6detail17trampoline_kernelINS0_14default_configENS1_20scan_config_selectorIsEEZZNS1_9scan_implILNS1_25lookback_scan_determinismE0ELb0ELb1ES3_N6thrust23THRUST_200600_302600_NS6detail15normal_iteratorINS9_10device_ptrIsEEEESE_sNS9_10multipliesIsEEsEEDaPvRmT3_T4_T5_mT6_P12ihipStream_tbENKUlT_T0_E_clISt17integral_constantIbLb0EEST_IbLb1EEEEDaSP_SQ_EUlSP_E0_NS1_11comp_targetILNS1_3genE5ELNS1_11target_archE942ELNS1_3gpuE9ELNS1_3repE0EEENS1_30default_config_static_selectorELNS0_4arch9wavefront6targetE1EEEvT1_.kd
    .uniform_work_group_size: 1
    .uses_dynamic_stack: false
    .vgpr_count:     0
    .vgpr_spill_count: 0
    .wavefront_size: 64
  - .agpr_count:     0
    .args:
      - .offset:         0
        .size:           32
        .value_kind:     by_value
    .group_segment_fixed_size: 3072
    .kernarg_segment_align: 8
    .kernarg_segment_size: 32
    .language:       OpenCL C
    .language_version:
      - 2
      - 0
    .max_flat_workgroup_size: 64
    .name:           _ZN7rocprim17ROCPRIM_400000_NS6detail17trampoline_kernelINS0_14default_configENS1_20scan_config_selectorIsEEZZNS1_9scan_implILNS1_25lookback_scan_determinismE0ELb0ELb1ES3_N6thrust23THRUST_200600_302600_NS6detail15normal_iteratorINS9_10device_ptrIsEEEESE_sNS9_10multipliesIsEEsEEDaPvRmT3_T4_T5_mT6_P12ihipStream_tbENKUlT_T0_E_clISt17integral_constantIbLb0EEST_IbLb1EEEEDaSP_SQ_EUlSP_E0_NS1_11comp_targetILNS1_3genE4ELNS1_11target_archE910ELNS1_3gpuE8ELNS1_3repE0EEENS1_30default_config_static_selectorELNS0_4arch9wavefront6targetE1EEEvT1_
    .private_segment_fixed_size: 0
    .sgpr_count:     60
    .sgpr_spill_count: 0
    .symbol:         _ZN7rocprim17ROCPRIM_400000_NS6detail17trampoline_kernelINS0_14default_configENS1_20scan_config_selectorIsEEZZNS1_9scan_implILNS1_25lookback_scan_determinismE0ELb0ELb1ES3_N6thrust23THRUST_200600_302600_NS6detail15normal_iteratorINS9_10device_ptrIsEEEESE_sNS9_10multipliesIsEEsEEDaPvRmT3_T4_T5_mT6_P12ihipStream_tbENKUlT_T0_E_clISt17integral_constantIbLb0EEST_IbLb1EEEEDaSP_SQ_EUlSP_E0_NS1_11comp_targetILNS1_3genE4ELNS1_11target_archE910ELNS1_3gpuE8ELNS1_3repE0EEENS1_30default_config_static_selectorELNS0_4arch9wavefront6targetE1EEEvT1_.kd
    .uniform_work_group_size: 1
    .uses_dynamic_stack: false
    .vgpr_count:     41
    .vgpr_spill_count: 0
    .wavefront_size: 64
  - .agpr_count:     0
    .args:
      - .offset:         0
        .size:           32
        .value_kind:     by_value
    .group_segment_fixed_size: 0
    .kernarg_segment_align: 8
    .kernarg_segment_size: 32
    .language:       OpenCL C
    .language_version:
      - 2
      - 0
    .max_flat_workgroup_size: 128
    .name:           _ZN7rocprim17ROCPRIM_400000_NS6detail17trampoline_kernelINS0_14default_configENS1_20scan_config_selectorIsEEZZNS1_9scan_implILNS1_25lookback_scan_determinismE0ELb0ELb1ES3_N6thrust23THRUST_200600_302600_NS6detail15normal_iteratorINS9_10device_ptrIsEEEESE_sNS9_10multipliesIsEEsEEDaPvRmT3_T4_T5_mT6_P12ihipStream_tbENKUlT_T0_E_clISt17integral_constantIbLb0EEST_IbLb1EEEEDaSP_SQ_EUlSP_E0_NS1_11comp_targetILNS1_3genE3ELNS1_11target_archE908ELNS1_3gpuE7ELNS1_3repE0EEENS1_30default_config_static_selectorELNS0_4arch9wavefront6targetE1EEEvT1_
    .private_segment_fixed_size: 0
    .sgpr_count:     4
    .sgpr_spill_count: 0
    .symbol:         _ZN7rocprim17ROCPRIM_400000_NS6detail17trampoline_kernelINS0_14default_configENS1_20scan_config_selectorIsEEZZNS1_9scan_implILNS1_25lookback_scan_determinismE0ELb0ELb1ES3_N6thrust23THRUST_200600_302600_NS6detail15normal_iteratorINS9_10device_ptrIsEEEESE_sNS9_10multipliesIsEEsEEDaPvRmT3_T4_T5_mT6_P12ihipStream_tbENKUlT_T0_E_clISt17integral_constantIbLb0EEST_IbLb1EEEEDaSP_SQ_EUlSP_E0_NS1_11comp_targetILNS1_3genE3ELNS1_11target_archE908ELNS1_3gpuE7ELNS1_3repE0EEENS1_30default_config_static_selectorELNS0_4arch9wavefront6targetE1EEEvT1_.kd
    .uniform_work_group_size: 1
    .uses_dynamic_stack: false
    .vgpr_count:     0
    .vgpr_spill_count: 0
    .wavefront_size: 64
  - .agpr_count:     0
    .args:
      - .offset:         0
        .size:           32
        .value_kind:     by_value
    .group_segment_fixed_size: 0
    .kernarg_segment_align: 8
    .kernarg_segment_size: 32
    .language:       OpenCL C
    .language_version:
      - 2
      - 0
    .max_flat_workgroup_size: 256
    .name:           _ZN7rocprim17ROCPRIM_400000_NS6detail17trampoline_kernelINS0_14default_configENS1_20scan_config_selectorIsEEZZNS1_9scan_implILNS1_25lookback_scan_determinismE0ELb0ELb1ES3_N6thrust23THRUST_200600_302600_NS6detail15normal_iteratorINS9_10device_ptrIsEEEESE_sNS9_10multipliesIsEEsEEDaPvRmT3_T4_T5_mT6_P12ihipStream_tbENKUlT_T0_E_clISt17integral_constantIbLb0EEST_IbLb1EEEEDaSP_SQ_EUlSP_E0_NS1_11comp_targetILNS1_3genE2ELNS1_11target_archE906ELNS1_3gpuE6ELNS1_3repE0EEENS1_30default_config_static_selectorELNS0_4arch9wavefront6targetE1EEEvT1_
    .private_segment_fixed_size: 0
    .sgpr_count:     4
    .sgpr_spill_count: 0
    .symbol:         _ZN7rocprim17ROCPRIM_400000_NS6detail17trampoline_kernelINS0_14default_configENS1_20scan_config_selectorIsEEZZNS1_9scan_implILNS1_25lookback_scan_determinismE0ELb0ELb1ES3_N6thrust23THRUST_200600_302600_NS6detail15normal_iteratorINS9_10device_ptrIsEEEESE_sNS9_10multipliesIsEEsEEDaPvRmT3_T4_T5_mT6_P12ihipStream_tbENKUlT_T0_E_clISt17integral_constantIbLb0EEST_IbLb1EEEEDaSP_SQ_EUlSP_E0_NS1_11comp_targetILNS1_3genE2ELNS1_11target_archE906ELNS1_3gpuE6ELNS1_3repE0EEENS1_30default_config_static_selectorELNS0_4arch9wavefront6targetE1EEEvT1_.kd
    .uniform_work_group_size: 1
    .uses_dynamic_stack: false
    .vgpr_count:     0
    .vgpr_spill_count: 0
    .wavefront_size: 64
  - .agpr_count:     0
    .args:
      - .offset:         0
        .size:           32
        .value_kind:     by_value
    .group_segment_fixed_size: 0
    .kernarg_segment_align: 8
    .kernarg_segment_size: 32
    .language:       OpenCL C
    .language_version:
      - 2
      - 0
    .max_flat_workgroup_size: 256
    .name:           _ZN7rocprim17ROCPRIM_400000_NS6detail17trampoline_kernelINS0_14default_configENS1_20scan_config_selectorIsEEZZNS1_9scan_implILNS1_25lookback_scan_determinismE0ELb0ELb1ES3_N6thrust23THRUST_200600_302600_NS6detail15normal_iteratorINS9_10device_ptrIsEEEESE_sNS9_10multipliesIsEEsEEDaPvRmT3_T4_T5_mT6_P12ihipStream_tbENKUlT_T0_E_clISt17integral_constantIbLb0EEST_IbLb1EEEEDaSP_SQ_EUlSP_E0_NS1_11comp_targetILNS1_3genE10ELNS1_11target_archE1201ELNS1_3gpuE5ELNS1_3repE0EEENS1_30default_config_static_selectorELNS0_4arch9wavefront6targetE1EEEvT1_
    .private_segment_fixed_size: 0
    .sgpr_count:     4
    .sgpr_spill_count: 0
    .symbol:         _ZN7rocprim17ROCPRIM_400000_NS6detail17trampoline_kernelINS0_14default_configENS1_20scan_config_selectorIsEEZZNS1_9scan_implILNS1_25lookback_scan_determinismE0ELb0ELb1ES3_N6thrust23THRUST_200600_302600_NS6detail15normal_iteratorINS9_10device_ptrIsEEEESE_sNS9_10multipliesIsEEsEEDaPvRmT3_T4_T5_mT6_P12ihipStream_tbENKUlT_T0_E_clISt17integral_constantIbLb0EEST_IbLb1EEEEDaSP_SQ_EUlSP_E0_NS1_11comp_targetILNS1_3genE10ELNS1_11target_archE1201ELNS1_3gpuE5ELNS1_3repE0EEENS1_30default_config_static_selectorELNS0_4arch9wavefront6targetE1EEEvT1_.kd
    .uniform_work_group_size: 1
    .uses_dynamic_stack: false
    .vgpr_count:     0
    .vgpr_spill_count: 0
    .wavefront_size: 64
  - .agpr_count:     0
    .args:
      - .offset:         0
        .size:           32
        .value_kind:     by_value
    .group_segment_fixed_size: 0
    .kernarg_segment_align: 8
    .kernarg_segment_size: 32
    .language:       OpenCL C
    .language_version:
      - 2
      - 0
    .max_flat_workgroup_size: 256
    .name:           _ZN7rocprim17ROCPRIM_400000_NS6detail17trampoline_kernelINS0_14default_configENS1_20scan_config_selectorIsEEZZNS1_9scan_implILNS1_25lookback_scan_determinismE0ELb0ELb1ES3_N6thrust23THRUST_200600_302600_NS6detail15normal_iteratorINS9_10device_ptrIsEEEESE_sNS9_10multipliesIsEEsEEDaPvRmT3_T4_T5_mT6_P12ihipStream_tbENKUlT_T0_E_clISt17integral_constantIbLb0EEST_IbLb1EEEEDaSP_SQ_EUlSP_E0_NS1_11comp_targetILNS1_3genE10ELNS1_11target_archE1200ELNS1_3gpuE4ELNS1_3repE0EEENS1_30default_config_static_selectorELNS0_4arch9wavefront6targetE1EEEvT1_
    .private_segment_fixed_size: 0
    .sgpr_count:     4
    .sgpr_spill_count: 0
    .symbol:         _ZN7rocprim17ROCPRIM_400000_NS6detail17trampoline_kernelINS0_14default_configENS1_20scan_config_selectorIsEEZZNS1_9scan_implILNS1_25lookback_scan_determinismE0ELb0ELb1ES3_N6thrust23THRUST_200600_302600_NS6detail15normal_iteratorINS9_10device_ptrIsEEEESE_sNS9_10multipliesIsEEsEEDaPvRmT3_T4_T5_mT6_P12ihipStream_tbENKUlT_T0_E_clISt17integral_constantIbLb0EEST_IbLb1EEEEDaSP_SQ_EUlSP_E0_NS1_11comp_targetILNS1_3genE10ELNS1_11target_archE1200ELNS1_3gpuE4ELNS1_3repE0EEENS1_30default_config_static_selectorELNS0_4arch9wavefront6targetE1EEEvT1_.kd
    .uniform_work_group_size: 1
    .uses_dynamic_stack: false
    .vgpr_count:     0
    .vgpr_spill_count: 0
    .wavefront_size: 64
  - .agpr_count:     0
    .args:
      - .offset:         0
        .size:           32
        .value_kind:     by_value
    .group_segment_fixed_size: 0
    .kernarg_segment_align: 8
    .kernarg_segment_size: 32
    .language:       OpenCL C
    .language_version:
      - 2
      - 0
    .max_flat_workgroup_size: 64
    .name:           _ZN7rocprim17ROCPRIM_400000_NS6detail17trampoline_kernelINS0_14default_configENS1_20scan_config_selectorIsEEZZNS1_9scan_implILNS1_25lookback_scan_determinismE0ELb0ELb1ES3_N6thrust23THRUST_200600_302600_NS6detail15normal_iteratorINS9_10device_ptrIsEEEESE_sNS9_10multipliesIsEEsEEDaPvRmT3_T4_T5_mT6_P12ihipStream_tbENKUlT_T0_E_clISt17integral_constantIbLb0EEST_IbLb1EEEEDaSP_SQ_EUlSP_E0_NS1_11comp_targetILNS1_3genE9ELNS1_11target_archE1100ELNS1_3gpuE3ELNS1_3repE0EEENS1_30default_config_static_selectorELNS0_4arch9wavefront6targetE1EEEvT1_
    .private_segment_fixed_size: 0
    .sgpr_count:     4
    .sgpr_spill_count: 0
    .symbol:         _ZN7rocprim17ROCPRIM_400000_NS6detail17trampoline_kernelINS0_14default_configENS1_20scan_config_selectorIsEEZZNS1_9scan_implILNS1_25lookback_scan_determinismE0ELb0ELb1ES3_N6thrust23THRUST_200600_302600_NS6detail15normal_iteratorINS9_10device_ptrIsEEEESE_sNS9_10multipliesIsEEsEEDaPvRmT3_T4_T5_mT6_P12ihipStream_tbENKUlT_T0_E_clISt17integral_constantIbLb0EEST_IbLb1EEEEDaSP_SQ_EUlSP_E0_NS1_11comp_targetILNS1_3genE9ELNS1_11target_archE1100ELNS1_3gpuE3ELNS1_3repE0EEENS1_30default_config_static_selectorELNS0_4arch9wavefront6targetE1EEEvT1_.kd
    .uniform_work_group_size: 1
    .uses_dynamic_stack: false
    .vgpr_count:     0
    .vgpr_spill_count: 0
    .wavefront_size: 64
  - .agpr_count:     0
    .args:
      - .offset:         0
        .size:           32
        .value_kind:     by_value
    .group_segment_fixed_size: 0
    .kernarg_segment_align: 8
    .kernarg_segment_size: 32
    .language:       OpenCL C
    .language_version:
      - 2
      - 0
    .max_flat_workgroup_size: 64
    .name:           _ZN7rocprim17ROCPRIM_400000_NS6detail17trampoline_kernelINS0_14default_configENS1_20scan_config_selectorIsEEZZNS1_9scan_implILNS1_25lookback_scan_determinismE0ELb0ELb1ES3_N6thrust23THRUST_200600_302600_NS6detail15normal_iteratorINS9_10device_ptrIsEEEESE_sNS9_10multipliesIsEEsEEDaPvRmT3_T4_T5_mT6_P12ihipStream_tbENKUlT_T0_E_clISt17integral_constantIbLb0EEST_IbLb1EEEEDaSP_SQ_EUlSP_E0_NS1_11comp_targetILNS1_3genE8ELNS1_11target_archE1030ELNS1_3gpuE2ELNS1_3repE0EEENS1_30default_config_static_selectorELNS0_4arch9wavefront6targetE1EEEvT1_
    .private_segment_fixed_size: 0
    .sgpr_count:     4
    .sgpr_spill_count: 0
    .symbol:         _ZN7rocprim17ROCPRIM_400000_NS6detail17trampoline_kernelINS0_14default_configENS1_20scan_config_selectorIsEEZZNS1_9scan_implILNS1_25lookback_scan_determinismE0ELb0ELb1ES3_N6thrust23THRUST_200600_302600_NS6detail15normal_iteratorINS9_10device_ptrIsEEEESE_sNS9_10multipliesIsEEsEEDaPvRmT3_T4_T5_mT6_P12ihipStream_tbENKUlT_T0_E_clISt17integral_constantIbLb0EEST_IbLb1EEEEDaSP_SQ_EUlSP_E0_NS1_11comp_targetILNS1_3genE8ELNS1_11target_archE1030ELNS1_3gpuE2ELNS1_3repE0EEENS1_30default_config_static_selectorELNS0_4arch9wavefront6targetE1EEEvT1_.kd
    .uniform_work_group_size: 1
    .uses_dynamic_stack: false
    .vgpr_count:     0
    .vgpr_spill_count: 0
    .wavefront_size: 64
  - .agpr_count:     0
    .args:
      - .offset:         0
        .size:           96
        .value_kind:     by_value
    .group_segment_fixed_size: 0
    .kernarg_segment_align: 8
    .kernarg_segment_size: 96
    .language:       OpenCL C
    .language_version:
      - 2
      - 0
    .max_flat_workgroup_size: 128
    .name:           _ZN7rocprim17ROCPRIM_400000_NS6detail17trampoline_kernelINS0_14default_configENS1_20scan_config_selectorIsEEZZNS1_9scan_implILNS1_25lookback_scan_determinismE0ELb1ELb1ES3_N6thrust23THRUST_200600_302600_NS6detail15normal_iteratorINS9_10device_ptrIsEEEESE_sNS9_4plusIsEEsEEDaPvRmT3_T4_T5_mT6_P12ihipStream_tbENKUlT_T0_E_clISt17integral_constantIbLb0EESU_EEDaSP_SQ_EUlSP_E_NS1_11comp_targetILNS1_3genE0ELNS1_11target_archE4294967295ELNS1_3gpuE0ELNS1_3repE0EEENS1_30default_config_static_selectorELNS0_4arch9wavefront6targetE1EEEvT1_
    .private_segment_fixed_size: 0
    .sgpr_count:     4
    .sgpr_spill_count: 0
    .symbol:         _ZN7rocprim17ROCPRIM_400000_NS6detail17trampoline_kernelINS0_14default_configENS1_20scan_config_selectorIsEEZZNS1_9scan_implILNS1_25lookback_scan_determinismE0ELb1ELb1ES3_N6thrust23THRUST_200600_302600_NS6detail15normal_iteratorINS9_10device_ptrIsEEEESE_sNS9_4plusIsEEsEEDaPvRmT3_T4_T5_mT6_P12ihipStream_tbENKUlT_T0_E_clISt17integral_constantIbLb0EESU_EEDaSP_SQ_EUlSP_E_NS1_11comp_targetILNS1_3genE0ELNS1_11target_archE4294967295ELNS1_3gpuE0ELNS1_3repE0EEENS1_30default_config_static_selectorELNS0_4arch9wavefront6targetE1EEEvT1_.kd
    .uniform_work_group_size: 1
    .uses_dynamic_stack: false
    .vgpr_count:     0
    .vgpr_spill_count: 0
    .wavefront_size: 64
  - .agpr_count:     0
    .args:
      - .offset:         0
        .size:           96
        .value_kind:     by_value
    .group_segment_fixed_size: 0
    .kernarg_segment_align: 8
    .kernarg_segment_size: 96
    .language:       OpenCL C
    .language_version:
      - 2
      - 0
    .max_flat_workgroup_size: 256
    .name:           _ZN7rocprim17ROCPRIM_400000_NS6detail17trampoline_kernelINS0_14default_configENS1_20scan_config_selectorIsEEZZNS1_9scan_implILNS1_25lookback_scan_determinismE0ELb1ELb1ES3_N6thrust23THRUST_200600_302600_NS6detail15normal_iteratorINS9_10device_ptrIsEEEESE_sNS9_4plusIsEEsEEDaPvRmT3_T4_T5_mT6_P12ihipStream_tbENKUlT_T0_E_clISt17integral_constantIbLb0EESU_EEDaSP_SQ_EUlSP_E_NS1_11comp_targetILNS1_3genE5ELNS1_11target_archE942ELNS1_3gpuE9ELNS1_3repE0EEENS1_30default_config_static_selectorELNS0_4arch9wavefront6targetE1EEEvT1_
    .private_segment_fixed_size: 0
    .sgpr_count:     4
    .sgpr_spill_count: 0
    .symbol:         _ZN7rocprim17ROCPRIM_400000_NS6detail17trampoline_kernelINS0_14default_configENS1_20scan_config_selectorIsEEZZNS1_9scan_implILNS1_25lookback_scan_determinismE0ELb1ELb1ES3_N6thrust23THRUST_200600_302600_NS6detail15normal_iteratorINS9_10device_ptrIsEEEESE_sNS9_4plusIsEEsEEDaPvRmT3_T4_T5_mT6_P12ihipStream_tbENKUlT_T0_E_clISt17integral_constantIbLb0EESU_EEDaSP_SQ_EUlSP_E_NS1_11comp_targetILNS1_3genE5ELNS1_11target_archE942ELNS1_3gpuE9ELNS1_3repE0EEENS1_30default_config_static_selectorELNS0_4arch9wavefront6targetE1EEEvT1_.kd
    .uniform_work_group_size: 1
    .uses_dynamic_stack: false
    .vgpr_count:     0
    .vgpr_spill_count: 0
    .wavefront_size: 64
  - .agpr_count:     0
    .args:
      - .offset:         0
        .size:           96
        .value_kind:     by_value
    .group_segment_fixed_size: 3072
    .kernarg_segment_align: 8
    .kernarg_segment_size: 96
    .language:       OpenCL C
    .language_version:
      - 2
      - 0
    .max_flat_workgroup_size: 64
    .name:           _ZN7rocprim17ROCPRIM_400000_NS6detail17trampoline_kernelINS0_14default_configENS1_20scan_config_selectorIsEEZZNS1_9scan_implILNS1_25lookback_scan_determinismE0ELb1ELb1ES3_N6thrust23THRUST_200600_302600_NS6detail15normal_iteratorINS9_10device_ptrIsEEEESE_sNS9_4plusIsEEsEEDaPvRmT3_T4_T5_mT6_P12ihipStream_tbENKUlT_T0_E_clISt17integral_constantIbLb0EESU_EEDaSP_SQ_EUlSP_E_NS1_11comp_targetILNS1_3genE4ELNS1_11target_archE910ELNS1_3gpuE8ELNS1_3repE0EEENS1_30default_config_static_selectorELNS0_4arch9wavefront6targetE1EEEvT1_
    .private_segment_fixed_size: 0
    .sgpr_count:     33
    .sgpr_spill_count: 0
    .symbol:         _ZN7rocprim17ROCPRIM_400000_NS6detail17trampoline_kernelINS0_14default_configENS1_20scan_config_selectorIsEEZZNS1_9scan_implILNS1_25lookback_scan_determinismE0ELb1ELb1ES3_N6thrust23THRUST_200600_302600_NS6detail15normal_iteratorINS9_10device_ptrIsEEEESE_sNS9_4plusIsEEsEEDaPvRmT3_T4_T5_mT6_P12ihipStream_tbENKUlT_T0_E_clISt17integral_constantIbLb0EESU_EEDaSP_SQ_EUlSP_E_NS1_11comp_targetILNS1_3genE4ELNS1_11target_archE910ELNS1_3gpuE8ELNS1_3repE0EEENS1_30default_config_static_selectorELNS0_4arch9wavefront6targetE1EEEvT1_.kd
    .uniform_work_group_size: 1
    .uses_dynamic_stack: false
    .vgpr_count:     54
    .vgpr_spill_count: 0
    .wavefront_size: 64
  - .agpr_count:     0
    .args:
      - .offset:         0
        .size:           96
        .value_kind:     by_value
    .group_segment_fixed_size: 0
    .kernarg_segment_align: 8
    .kernarg_segment_size: 96
    .language:       OpenCL C
    .language_version:
      - 2
      - 0
    .max_flat_workgroup_size: 128
    .name:           _ZN7rocprim17ROCPRIM_400000_NS6detail17trampoline_kernelINS0_14default_configENS1_20scan_config_selectorIsEEZZNS1_9scan_implILNS1_25lookback_scan_determinismE0ELb1ELb1ES3_N6thrust23THRUST_200600_302600_NS6detail15normal_iteratorINS9_10device_ptrIsEEEESE_sNS9_4plusIsEEsEEDaPvRmT3_T4_T5_mT6_P12ihipStream_tbENKUlT_T0_E_clISt17integral_constantIbLb0EESU_EEDaSP_SQ_EUlSP_E_NS1_11comp_targetILNS1_3genE3ELNS1_11target_archE908ELNS1_3gpuE7ELNS1_3repE0EEENS1_30default_config_static_selectorELNS0_4arch9wavefront6targetE1EEEvT1_
    .private_segment_fixed_size: 0
    .sgpr_count:     4
    .sgpr_spill_count: 0
    .symbol:         _ZN7rocprim17ROCPRIM_400000_NS6detail17trampoline_kernelINS0_14default_configENS1_20scan_config_selectorIsEEZZNS1_9scan_implILNS1_25lookback_scan_determinismE0ELb1ELb1ES3_N6thrust23THRUST_200600_302600_NS6detail15normal_iteratorINS9_10device_ptrIsEEEESE_sNS9_4plusIsEEsEEDaPvRmT3_T4_T5_mT6_P12ihipStream_tbENKUlT_T0_E_clISt17integral_constantIbLb0EESU_EEDaSP_SQ_EUlSP_E_NS1_11comp_targetILNS1_3genE3ELNS1_11target_archE908ELNS1_3gpuE7ELNS1_3repE0EEENS1_30default_config_static_selectorELNS0_4arch9wavefront6targetE1EEEvT1_.kd
    .uniform_work_group_size: 1
    .uses_dynamic_stack: false
    .vgpr_count:     0
    .vgpr_spill_count: 0
    .wavefront_size: 64
  - .agpr_count:     0
    .args:
      - .offset:         0
        .size:           96
        .value_kind:     by_value
    .group_segment_fixed_size: 0
    .kernarg_segment_align: 8
    .kernarg_segment_size: 96
    .language:       OpenCL C
    .language_version:
      - 2
      - 0
    .max_flat_workgroup_size: 256
    .name:           _ZN7rocprim17ROCPRIM_400000_NS6detail17trampoline_kernelINS0_14default_configENS1_20scan_config_selectorIsEEZZNS1_9scan_implILNS1_25lookback_scan_determinismE0ELb1ELb1ES3_N6thrust23THRUST_200600_302600_NS6detail15normal_iteratorINS9_10device_ptrIsEEEESE_sNS9_4plusIsEEsEEDaPvRmT3_T4_T5_mT6_P12ihipStream_tbENKUlT_T0_E_clISt17integral_constantIbLb0EESU_EEDaSP_SQ_EUlSP_E_NS1_11comp_targetILNS1_3genE2ELNS1_11target_archE906ELNS1_3gpuE6ELNS1_3repE0EEENS1_30default_config_static_selectorELNS0_4arch9wavefront6targetE1EEEvT1_
    .private_segment_fixed_size: 0
    .sgpr_count:     4
    .sgpr_spill_count: 0
    .symbol:         _ZN7rocprim17ROCPRIM_400000_NS6detail17trampoline_kernelINS0_14default_configENS1_20scan_config_selectorIsEEZZNS1_9scan_implILNS1_25lookback_scan_determinismE0ELb1ELb1ES3_N6thrust23THRUST_200600_302600_NS6detail15normal_iteratorINS9_10device_ptrIsEEEESE_sNS9_4plusIsEEsEEDaPvRmT3_T4_T5_mT6_P12ihipStream_tbENKUlT_T0_E_clISt17integral_constantIbLb0EESU_EEDaSP_SQ_EUlSP_E_NS1_11comp_targetILNS1_3genE2ELNS1_11target_archE906ELNS1_3gpuE6ELNS1_3repE0EEENS1_30default_config_static_selectorELNS0_4arch9wavefront6targetE1EEEvT1_.kd
    .uniform_work_group_size: 1
    .uses_dynamic_stack: false
    .vgpr_count:     0
    .vgpr_spill_count: 0
    .wavefront_size: 64
  - .agpr_count:     0
    .args:
      - .offset:         0
        .size:           96
        .value_kind:     by_value
    .group_segment_fixed_size: 0
    .kernarg_segment_align: 8
    .kernarg_segment_size: 96
    .language:       OpenCL C
    .language_version:
      - 2
      - 0
    .max_flat_workgroup_size: 256
    .name:           _ZN7rocprim17ROCPRIM_400000_NS6detail17trampoline_kernelINS0_14default_configENS1_20scan_config_selectorIsEEZZNS1_9scan_implILNS1_25lookback_scan_determinismE0ELb1ELb1ES3_N6thrust23THRUST_200600_302600_NS6detail15normal_iteratorINS9_10device_ptrIsEEEESE_sNS9_4plusIsEEsEEDaPvRmT3_T4_T5_mT6_P12ihipStream_tbENKUlT_T0_E_clISt17integral_constantIbLb0EESU_EEDaSP_SQ_EUlSP_E_NS1_11comp_targetILNS1_3genE10ELNS1_11target_archE1201ELNS1_3gpuE5ELNS1_3repE0EEENS1_30default_config_static_selectorELNS0_4arch9wavefront6targetE1EEEvT1_
    .private_segment_fixed_size: 0
    .sgpr_count:     4
    .sgpr_spill_count: 0
    .symbol:         _ZN7rocprim17ROCPRIM_400000_NS6detail17trampoline_kernelINS0_14default_configENS1_20scan_config_selectorIsEEZZNS1_9scan_implILNS1_25lookback_scan_determinismE0ELb1ELb1ES3_N6thrust23THRUST_200600_302600_NS6detail15normal_iteratorINS9_10device_ptrIsEEEESE_sNS9_4plusIsEEsEEDaPvRmT3_T4_T5_mT6_P12ihipStream_tbENKUlT_T0_E_clISt17integral_constantIbLb0EESU_EEDaSP_SQ_EUlSP_E_NS1_11comp_targetILNS1_3genE10ELNS1_11target_archE1201ELNS1_3gpuE5ELNS1_3repE0EEENS1_30default_config_static_selectorELNS0_4arch9wavefront6targetE1EEEvT1_.kd
    .uniform_work_group_size: 1
    .uses_dynamic_stack: false
    .vgpr_count:     0
    .vgpr_spill_count: 0
    .wavefront_size: 64
  - .agpr_count:     0
    .args:
      - .offset:         0
        .size:           96
        .value_kind:     by_value
    .group_segment_fixed_size: 0
    .kernarg_segment_align: 8
    .kernarg_segment_size: 96
    .language:       OpenCL C
    .language_version:
      - 2
      - 0
    .max_flat_workgroup_size: 256
    .name:           _ZN7rocprim17ROCPRIM_400000_NS6detail17trampoline_kernelINS0_14default_configENS1_20scan_config_selectorIsEEZZNS1_9scan_implILNS1_25lookback_scan_determinismE0ELb1ELb1ES3_N6thrust23THRUST_200600_302600_NS6detail15normal_iteratorINS9_10device_ptrIsEEEESE_sNS9_4plusIsEEsEEDaPvRmT3_T4_T5_mT6_P12ihipStream_tbENKUlT_T0_E_clISt17integral_constantIbLb0EESU_EEDaSP_SQ_EUlSP_E_NS1_11comp_targetILNS1_3genE10ELNS1_11target_archE1200ELNS1_3gpuE4ELNS1_3repE0EEENS1_30default_config_static_selectorELNS0_4arch9wavefront6targetE1EEEvT1_
    .private_segment_fixed_size: 0
    .sgpr_count:     4
    .sgpr_spill_count: 0
    .symbol:         _ZN7rocprim17ROCPRIM_400000_NS6detail17trampoline_kernelINS0_14default_configENS1_20scan_config_selectorIsEEZZNS1_9scan_implILNS1_25lookback_scan_determinismE0ELb1ELb1ES3_N6thrust23THRUST_200600_302600_NS6detail15normal_iteratorINS9_10device_ptrIsEEEESE_sNS9_4plusIsEEsEEDaPvRmT3_T4_T5_mT6_P12ihipStream_tbENKUlT_T0_E_clISt17integral_constantIbLb0EESU_EEDaSP_SQ_EUlSP_E_NS1_11comp_targetILNS1_3genE10ELNS1_11target_archE1200ELNS1_3gpuE4ELNS1_3repE0EEENS1_30default_config_static_selectorELNS0_4arch9wavefront6targetE1EEEvT1_.kd
    .uniform_work_group_size: 1
    .uses_dynamic_stack: false
    .vgpr_count:     0
    .vgpr_spill_count: 0
    .wavefront_size: 64
  - .agpr_count:     0
    .args:
      - .offset:         0
        .size:           96
        .value_kind:     by_value
    .group_segment_fixed_size: 0
    .kernarg_segment_align: 8
    .kernarg_segment_size: 96
    .language:       OpenCL C
    .language_version:
      - 2
      - 0
    .max_flat_workgroup_size: 64
    .name:           _ZN7rocprim17ROCPRIM_400000_NS6detail17trampoline_kernelINS0_14default_configENS1_20scan_config_selectorIsEEZZNS1_9scan_implILNS1_25lookback_scan_determinismE0ELb1ELb1ES3_N6thrust23THRUST_200600_302600_NS6detail15normal_iteratorINS9_10device_ptrIsEEEESE_sNS9_4plusIsEEsEEDaPvRmT3_T4_T5_mT6_P12ihipStream_tbENKUlT_T0_E_clISt17integral_constantIbLb0EESU_EEDaSP_SQ_EUlSP_E_NS1_11comp_targetILNS1_3genE9ELNS1_11target_archE1100ELNS1_3gpuE3ELNS1_3repE0EEENS1_30default_config_static_selectorELNS0_4arch9wavefront6targetE1EEEvT1_
    .private_segment_fixed_size: 0
    .sgpr_count:     4
    .sgpr_spill_count: 0
    .symbol:         _ZN7rocprim17ROCPRIM_400000_NS6detail17trampoline_kernelINS0_14default_configENS1_20scan_config_selectorIsEEZZNS1_9scan_implILNS1_25lookback_scan_determinismE0ELb1ELb1ES3_N6thrust23THRUST_200600_302600_NS6detail15normal_iteratorINS9_10device_ptrIsEEEESE_sNS9_4plusIsEEsEEDaPvRmT3_T4_T5_mT6_P12ihipStream_tbENKUlT_T0_E_clISt17integral_constantIbLb0EESU_EEDaSP_SQ_EUlSP_E_NS1_11comp_targetILNS1_3genE9ELNS1_11target_archE1100ELNS1_3gpuE3ELNS1_3repE0EEENS1_30default_config_static_selectorELNS0_4arch9wavefront6targetE1EEEvT1_.kd
    .uniform_work_group_size: 1
    .uses_dynamic_stack: false
    .vgpr_count:     0
    .vgpr_spill_count: 0
    .wavefront_size: 64
  - .agpr_count:     0
    .args:
      - .offset:         0
        .size:           96
        .value_kind:     by_value
    .group_segment_fixed_size: 0
    .kernarg_segment_align: 8
    .kernarg_segment_size: 96
    .language:       OpenCL C
    .language_version:
      - 2
      - 0
    .max_flat_workgroup_size: 64
    .name:           _ZN7rocprim17ROCPRIM_400000_NS6detail17trampoline_kernelINS0_14default_configENS1_20scan_config_selectorIsEEZZNS1_9scan_implILNS1_25lookback_scan_determinismE0ELb1ELb1ES3_N6thrust23THRUST_200600_302600_NS6detail15normal_iteratorINS9_10device_ptrIsEEEESE_sNS9_4plusIsEEsEEDaPvRmT3_T4_T5_mT6_P12ihipStream_tbENKUlT_T0_E_clISt17integral_constantIbLb0EESU_EEDaSP_SQ_EUlSP_E_NS1_11comp_targetILNS1_3genE8ELNS1_11target_archE1030ELNS1_3gpuE2ELNS1_3repE0EEENS1_30default_config_static_selectorELNS0_4arch9wavefront6targetE1EEEvT1_
    .private_segment_fixed_size: 0
    .sgpr_count:     4
    .sgpr_spill_count: 0
    .symbol:         _ZN7rocprim17ROCPRIM_400000_NS6detail17trampoline_kernelINS0_14default_configENS1_20scan_config_selectorIsEEZZNS1_9scan_implILNS1_25lookback_scan_determinismE0ELb1ELb1ES3_N6thrust23THRUST_200600_302600_NS6detail15normal_iteratorINS9_10device_ptrIsEEEESE_sNS9_4plusIsEEsEEDaPvRmT3_T4_T5_mT6_P12ihipStream_tbENKUlT_T0_E_clISt17integral_constantIbLb0EESU_EEDaSP_SQ_EUlSP_E_NS1_11comp_targetILNS1_3genE8ELNS1_11target_archE1030ELNS1_3gpuE2ELNS1_3repE0EEENS1_30default_config_static_selectorELNS0_4arch9wavefront6targetE1EEEvT1_.kd
    .uniform_work_group_size: 1
    .uses_dynamic_stack: false
    .vgpr_count:     0
    .vgpr_spill_count: 0
    .wavefront_size: 64
  - .agpr_count:     0
    .args:
      - .offset:         0
        .size:           32
        .value_kind:     by_value
    .group_segment_fixed_size: 0
    .kernarg_segment_align: 8
    .kernarg_segment_size: 32
    .language:       OpenCL C
    .language_version:
      - 2
      - 0
    .max_flat_workgroup_size: 128
    .name:           _ZN7rocprim17ROCPRIM_400000_NS6detail17trampoline_kernelINS0_14default_configENS1_20scan_config_selectorIsEEZZNS1_9scan_implILNS1_25lookback_scan_determinismE0ELb1ELb1ES3_N6thrust23THRUST_200600_302600_NS6detail15normal_iteratorINS9_10device_ptrIsEEEESE_sNS9_4plusIsEEsEEDaPvRmT3_T4_T5_mT6_P12ihipStream_tbENKUlT_T0_E_clISt17integral_constantIbLb0EESU_EEDaSP_SQ_EUlSP_E0_NS1_11comp_targetILNS1_3genE0ELNS1_11target_archE4294967295ELNS1_3gpuE0ELNS1_3repE0EEENS1_30default_config_static_selectorELNS0_4arch9wavefront6targetE1EEEvT1_
    .private_segment_fixed_size: 0
    .sgpr_count:     4
    .sgpr_spill_count: 0
    .symbol:         _ZN7rocprim17ROCPRIM_400000_NS6detail17trampoline_kernelINS0_14default_configENS1_20scan_config_selectorIsEEZZNS1_9scan_implILNS1_25lookback_scan_determinismE0ELb1ELb1ES3_N6thrust23THRUST_200600_302600_NS6detail15normal_iteratorINS9_10device_ptrIsEEEESE_sNS9_4plusIsEEsEEDaPvRmT3_T4_T5_mT6_P12ihipStream_tbENKUlT_T0_E_clISt17integral_constantIbLb0EESU_EEDaSP_SQ_EUlSP_E0_NS1_11comp_targetILNS1_3genE0ELNS1_11target_archE4294967295ELNS1_3gpuE0ELNS1_3repE0EEENS1_30default_config_static_selectorELNS0_4arch9wavefront6targetE1EEEvT1_.kd
    .uniform_work_group_size: 1
    .uses_dynamic_stack: false
    .vgpr_count:     0
    .vgpr_spill_count: 0
    .wavefront_size: 64
  - .agpr_count:     0
    .args:
      - .offset:         0
        .size:           32
        .value_kind:     by_value
    .group_segment_fixed_size: 0
    .kernarg_segment_align: 8
    .kernarg_segment_size: 32
    .language:       OpenCL C
    .language_version:
      - 2
      - 0
    .max_flat_workgroup_size: 256
    .name:           _ZN7rocprim17ROCPRIM_400000_NS6detail17trampoline_kernelINS0_14default_configENS1_20scan_config_selectorIsEEZZNS1_9scan_implILNS1_25lookback_scan_determinismE0ELb1ELb1ES3_N6thrust23THRUST_200600_302600_NS6detail15normal_iteratorINS9_10device_ptrIsEEEESE_sNS9_4plusIsEEsEEDaPvRmT3_T4_T5_mT6_P12ihipStream_tbENKUlT_T0_E_clISt17integral_constantIbLb0EESU_EEDaSP_SQ_EUlSP_E0_NS1_11comp_targetILNS1_3genE5ELNS1_11target_archE942ELNS1_3gpuE9ELNS1_3repE0EEENS1_30default_config_static_selectorELNS0_4arch9wavefront6targetE1EEEvT1_
    .private_segment_fixed_size: 0
    .sgpr_count:     4
    .sgpr_spill_count: 0
    .symbol:         _ZN7rocprim17ROCPRIM_400000_NS6detail17trampoline_kernelINS0_14default_configENS1_20scan_config_selectorIsEEZZNS1_9scan_implILNS1_25lookback_scan_determinismE0ELb1ELb1ES3_N6thrust23THRUST_200600_302600_NS6detail15normal_iteratorINS9_10device_ptrIsEEEESE_sNS9_4plusIsEEsEEDaPvRmT3_T4_T5_mT6_P12ihipStream_tbENKUlT_T0_E_clISt17integral_constantIbLb0EESU_EEDaSP_SQ_EUlSP_E0_NS1_11comp_targetILNS1_3genE5ELNS1_11target_archE942ELNS1_3gpuE9ELNS1_3repE0EEENS1_30default_config_static_selectorELNS0_4arch9wavefront6targetE1EEEvT1_.kd
    .uniform_work_group_size: 1
    .uses_dynamic_stack: false
    .vgpr_count:     0
    .vgpr_spill_count: 0
    .wavefront_size: 64
  - .agpr_count:     0
    .args:
      - .offset:         0
        .size:           32
        .value_kind:     by_value
    .group_segment_fixed_size: 3072
    .kernarg_segment_align: 8
    .kernarg_segment_size: 32
    .language:       OpenCL C
    .language_version:
      - 2
      - 0
    .max_flat_workgroup_size: 64
    .name:           _ZN7rocprim17ROCPRIM_400000_NS6detail17trampoline_kernelINS0_14default_configENS1_20scan_config_selectorIsEEZZNS1_9scan_implILNS1_25lookback_scan_determinismE0ELb1ELb1ES3_N6thrust23THRUST_200600_302600_NS6detail15normal_iteratorINS9_10device_ptrIsEEEESE_sNS9_4plusIsEEsEEDaPvRmT3_T4_T5_mT6_P12ihipStream_tbENKUlT_T0_E_clISt17integral_constantIbLb0EESU_EEDaSP_SQ_EUlSP_E0_NS1_11comp_targetILNS1_3genE4ELNS1_11target_archE910ELNS1_3gpuE8ELNS1_3repE0EEENS1_30default_config_static_selectorELNS0_4arch9wavefront6targetE1EEEvT1_
    .private_segment_fixed_size: 0
    .sgpr_count:     60
    .sgpr_spill_count: 0
    .symbol:         _ZN7rocprim17ROCPRIM_400000_NS6detail17trampoline_kernelINS0_14default_configENS1_20scan_config_selectorIsEEZZNS1_9scan_implILNS1_25lookback_scan_determinismE0ELb1ELb1ES3_N6thrust23THRUST_200600_302600_NS6detail15normal_iteratorINS9_10device_ptrIsEEEESE_sNS9_4plusIsEEsEEDaPvRmT3_T4_T5_mT6_P12ihipStream_tbENKUlT_T0_E_clISt17integral_constantIbLb0EESU_EEDaSP_SQ_EUlSP_E0_NS1_11comp_targetILNS1_3genE4ELNS1_11target_archE910ELNS1_3gpuE8ELNS1_3repE0EEENS1_30default_config_static_selectorELNS0_4arch9wavefront6targetE1EEEvT1_.kd
    .uniform_work_group_size: 1
    .uses_dynamic_stack: false
    .vgpr_count:     32
    .vgpr_spill_count: 0
    .wavefront_size: 64
  - .agpr_count:     0
    .args:
      - .offset:         0
        .size:           32
        .value_kind:     by_value
    .group_segment_fixed_size: 0
    .kernarg_segment_align: 8
    .kernarg_segment_size: 32
    .language:       OpenCL C
    .language_version:
      - 2
      - 0
    .max_flat_workgroup_size: 128
    .name:           _ZN7rocprim17ROCPRIM_400000_NS6detail17trampoline_kernelINS0_14default_configENS1_20scan_config_selectorIsEEZZNS1_9scan_implILNS1_25lookback_scan_determinismE0ELb1ELb1ES3_N6thrust23THRUST_200600_302600_NS6detail15normal_iteratorINS9_10device_ptrIsEEEESE_sNS9_4plusIsEEsEEDaPvRmT3_T4_T5_mT6_P12ihipStream_tbENKUlT_T0_E_clISt17integral_constantIbLb0EESU_EEDaSP_SQ_EUlSP_E0_NS1_11comp_targetILNS1_3genE3ELNS1_11target_archE908ELNS1_3gpuE7ELNS1_3repE0EEENS1_30default_config_static_selectorELNS0_4arch9wavefront6targetE1EEEvT1_
    .private_segment_fixed_size: 0
    .sgpr_count:     4
    .sgpr_spill_count: 0
    .symbol:         _ZN7rocprim17ROCPRIM_400000_NS6detail17trampoline_kernelINS0_14default_configENS1_20scan_config_selectorIsEEZZNS1_9scan_implILNS1_25lookback_scan_determinismE0ELb1ELb1ES3_N6thrust23THRUST_200600_302600_NS6detail15normal_iteratorINS9_10device_ptrIsEEEESE_sNS9_4plusIsEEsEEDaPvRmT3_T4_T5_mT6_P12ihipStream_tbENKUlT_T0_E_clISt17integral_constantIbLb0EESU_EEDaSP_SQ_EUlSP_E0_NS1_11comp_targetILNS1_3genE3ELNS1_11target_archE908ELNS1_3gpuE7ELNS1_3repE0EEENS1_30default_config_static_selectorELNS0_4arch9wavefront6targetE1EEEvT1_.kd
    .uniform_work_group_size: 1
    .uses_dynamic_stack: false
    .vgpr_count:     0
    .vgpr_spill_count: 0
    .wavefront_size: 64
  - .agpr_count:     0
    .args:
      - .offset:         0
        .size:           32
        .value_kind:     by_value
    .group_segment_fixed_size: 0
    .kernarg_segment_align: 8
    .kernarg_segment_size: 32
    .language:       OpenCL C
    .language_version:
      - 2
      - 0
    .max_flat_workgroup_size: 256
    .name:           _ZN7rocprim17ROCPRIM_400000_NS6detail17trampoline_kernelINS0_14default_configENS1_20scan_config_selectorIsEEZZNS1_9scan_implILNS1_25lookback_scan_determinismE0ELb1ELb1ES3_N6thrust23THRUST_200600_302600_NS6detail15normal_iteratorINS9_10device_ptrIsEEEESE_sNS9_4plusIsEEsEEDaPvRmT3_T4_T5_mT6_P12ihipStream_tbENKUlT_T0_E_clISt17integral_constantIbLb0EESU_EEDaSP_SQ_EUlSP_E0_NS1_11comp_targetILNS1_3genE2ELNS1_11target_archE906ELNS1_3gpuE6ELNS1_3repE0EEENS1_30default_config_static_selectorELNS0_4arch9wavefront6targetE1EEEvT1_
    .private_segment_fixed_size: 0
    .sgpr_count:     4
    .sgpr_spill_count: 0
    .symbol:         _ZN7rocprim17ROCPRIM_400000_NS6detail17trampoline_kernelINS0_14default_configENS1_20scan_config_selectorIsEEZZNS1_9scan_implILNS1_25lookback_scan_determinismE0ELb1ELb1ES3_N6thrust23THRUST_200600_302600_NS6detail15normal_iteratorINS9_10device_ptrIsEEEESE_sNS9_4plusIsEEsEEDaPvRmT3_T4_T5_mT6_P12ihipStream_tbENKUlT_T0_E_clISt17integral_constantIbLb0EESU_EEDaSP_SQ_EUlSP_E0_NS1_11comp_targetILNS1_3genE2ELNS1_11target_archE906ELNS1_3gpuE6ELNS1_3repE0EEENS1_30default_config_static_selectorELNS0_4arch9wavefront6targetE1EEEvT1_.kd
    .uniform_work_group_size: 1
    .uses_dynamic_stack: false
    .vgpr_count:     0
    .vgpr_spill_count: 0
    .wavefront_size: 64
  - .agpr_count:     0
    .args:
      - .offset:         0
        .size:           32
        .value_kind:     by_value
    .group_segment_fixed_size: 0
    .kernarg_segment_align: 8
    .kernarg_segment_size: 32
    .language:       OpenCL C
    .language_version:
      - 2
      - 0
    .max_flat_workgroup_size: 256
    .name:           _ZN7rocprim17ROCPRIM_400000_NS6detail17trampoline_kernelINS0_14default_configENS1_20scan_config_selectorIsEEZZNS1_9scan_implILNS1_25lookback_scan_determinismE0ELb1ELb1ES3_N6thrust23THRUST_200600_302600_NS6detail15normal_iteratorINS9_10device_ptrIsEEEESE_sNS9_4plusIsEEsEEDaPvRmT3_T4_T5_mT6_P12ihipStream_tbENKUlT_T0_E_clISt17integral_constantIbLb0EESU_EEDaSP_SQ_EUlSP_E0_NS1_11comp_targetILNS1_3genE10ELNS1_11target_archE1201ELNS1_3gpuE5ELNS1_3repE0EEENS1_30default_config_static_selectorELNS0_4arch9wavefront6targetE1EEEvT1_
    .private_segment_fixed_size: 0
    .sgpr_count:     4
    .sgpr_spill_count: 0
    .symbol:         _ZN7rocprim17ROCPRIM_400000_NS6detail17trampoline_kernelINS0_14default_configENS1_20scan_config_selectorIsEEZZNS1_9scan_implILNS1_25lookback_scan_determinismE0ELb1ELb1ES3_N6thrust23THRUST_200600_302600_NS6detail15normal_iteratorINS9_10device_ptrIsEEEESE_sNS9_4plusIsEEsEEDaPvRmT3_T4_T5_mT6_P12ihipStream_tbENKUlT_T0_E_clISt17integral_constantIbLb0EESU_EEDaSP_SQ_EUlSP_E0_NS1_11comp_targetILNS1_3genE10ELNS1_11target_archE1201ELNS1_3gpuE5ELNS1_3repE0EEENS1_30default_config_static_selectorELNS0_4arch9wavefront6targetE1EEEvT1_.kd
    .uniform_work_group_size: 1
    .uses_dynamic_stack: false
    .vgpr_count:     0
    .vgpr_spill_count: 0
    .wavefront_size: 64
  - .agpr_count:     0
    .args:
      - .offset:         0
        .size:           32
        .value_kind:     by_value
    .group_segment_fixed_size: 0
    .kernarg_segment_align: 8
    .kernarg_segment_size: 32
    .language:       OpenCL C
    .language_version:
      - 2
      - 0
    .max_flat_workgroup_size: 256
    .name:           _ZN7rocprim17ROCPRIM_400000_NS6detail17trampoline_kernelINS0_14default_configENS1_20scan_config_selectorIsEEZZNS1_9scan_implILNS1_25lookback_scan_determinismE0ELb1ELb1ES3_N6thrust23THRUST_200600_302600_NS6detail15normal_iteratorINS9_10device_ptrIsEEEESE_sNS9_4plusIsEEsEEDaPvRmT3_T4_T5_mT6_P12ihipStream_tbENKUlT_T0_E_clISt17integral_constantIbLb0EESU_EEDaSP_SQ_EUlSP_E0_NS1_11comp_targetILNS1_3genE10ELNS1_11target_archE1200ELNS1_3gpuE4ELNS1_3repE0EEENS1_30default_config_static_selectorELNS0_4arch9wavefront6targetE1EEEvT1_
    .private_segment_fixed_size: 0
    .sgpr_count:     4
    .sgpr_spill_count: 0
    .symbol:         _ZN7rocprim17ROCPRIM_400000_NS6detail17trampoline_kernelINS0_14default_configENS1_20scan_config_selectorIsEEZZNS1_9scan_implILNS1_25lookback_scan_determinismE0ELb1ELb1ES3_N6thrust23THRUST_200600_302600_NS6detail15normal_iteratorINS9_10device_ptrIsEEEESE_sNS9_4plusIsEEsEEDaPvRmT3_T4_T5_mT6_P12ihipStream_tbENKUlT_T0_E_clISt17integral_constantIbLb0EESU_EEDaSP_SQ_EUlSP_E0_NS1_11comp_targetILNS1_3genE10ELNS1_11target_archE1200ELNS1_3gpuE4ELNS1_3repE0EEENS1_30default_config_static_selectorELNS0_4arch9wavefront6targetE1EEEvT1_.kd
    .uniform_work_group_size: 1
    .uses_dynamic_stack: false
    .vgpr_count:     0
    .vgpr_spill_count: 0
    .wavefront_size: 64
  - .agpr_count:     0
    .args:
      - .offset:         0
        .size:           32
        .value_kind:     by_value
    .group_segment_fixed_size: 0
    .kernarg_segment_align: 8
    .kernarg_segment_size: 32
    .language:       OpenCL C
    .language_version:
      - 2
      - 0
    .max_flat_workgroup_size: 64
    .name:           _ZN7rocprim17ROCPRIM_400000_NS6detail17trampoline_kernelINS0_14default_configENS1_20scan_config_selectorIsEEZZNS1_9scan_implILNS1_25lookback_scan_determinismE0ELb1ELb1ES3_N6thrust23THRUST_200600_302600_NS6detail15normal_iteratorINS9_10device_ptrIsEEEESE_sNS9_4plusIsEEsEEDaPvRmT3_T4_T5_mT6_P12ihipStream_tbENKUlT_T0_E_clISt17integral_constantIbLb0EESU_EEDaSP_SQ_EUlSP_E0_NS1_11comp_targetILNS1_3genE9ELNS1_11target_archE1100ELNS1_3gpuE3ELNS1_3repE0EEENS1_30default_config_static_selectorELNS0_4arch9wavefront6targetE1EEEvT1_
    .private_segment_fixed_size: 0
    .sgpr_count:     4
    .sgpr_spill_count: 0
    .symbol:         _ZN7rocprim17ROCPRIM_400000_NS6detail17trampoline_kernelINS0_14default_configENS1_20scan_config_selectorIsEEZZNS1_9scan_implILNS1_25lookback_scan_determinismE0ELb1ELb1ES3_N6thrust23THRUST_200600_302600_NS6detail15normal_iteratorINS9_10device_ptrIsEEEESE_sNS9_4plusIsEEsEEDaPvRmT3_T4_T5_mT6_P12ihipStream_tbENKUlT_T0_E_clISt17integral_constantIbLb0EESU_EEDaSP_SQ_EUlSP_E0_NS1_11comp_targetILNS1_3genE9ELNS1_11target_archE1100ELNS1_3gpuE3ELNS1_3repE0EEENS1_30default_config_static_selectorELNS0_4arch9wavefront6targetE1EEEvT1_.kd
    .uniform_work_group_size: 1
    .uses_dynamic_stack: false
    .vgpr_count:     0
    .vgpr_spill_count: 0
    .wavefront_size: 64
  - .agpr_count:     0
    .args:
      - .offset:         0
        .size:           32
        .value_kind:     by_value
    .group_segment_fixed_size: 0
    .kernarg_segment_align: 8
    .kernarg_segment_size: 32
    .language:       OpenCL C
    .language_version:
      - 2
      - 0
    .max_flat_workgroup_size: 64
    .name:           _ZN7rocprim17ROCPRIM_400000_NS6detail17trampoline_kernelINS0_14default_configENS1_20scan_config_selectorIsEEZZNS1_9scan_implILNS1_25lookback_scan_determinismE0ELb1ELb1ES3_N6thrust23THRUST_200600_302600_NS6detail15normal_iteratorINS9_10device_ptrIsEEEESE_sNS9_4plusIsEEsEEDaPvRmT3_T4_T5_mT6_P12ihipStream_tbENKUlT_T0_E_clISt17integral_constantIbLb0EESU_EEDaSP_SQ_EUlSP_E0_NS1_11comp_targetILNS1_3genE8ELNS1_11target_archE1030ELNS1_3gpuE2ELNS1_3repE0EEENS1_30default_config_static_selectorELNS0_4arch9wavefront6targetE1EEEvT1_
    .private_segment_fixed_size: 0
    .sgpr_count:     4
    .sgpr_spill_count: 0
    .symbol:         _ZN7rocprim17ROCPRIM_400000_NS6detail17trampoline_kernelINS0_14default_configENS1_20scan_config_selectorIsEEZZNS1_9scan_implILNS1_25lookback_scan_determinismE0ELb1ELb1ES3_N6thrust23THRUST_200600_302600_NS6detail15normal_iteratorINS9_10device_ptrIsEEEESE_sNS9_4plusIsEEsEEDaPvRmT3_T4_T5_mT6_P12ihipStream_tbENKUlT_T0_E_clISt17integral_constantIbLb0EESU_EEDaSP_SQ_EUlSP_E0_NS1_11comp_targetILNS1_3genE8ELNS1_11target_archE1030ELNS1_3gpuE2ELNS1_3repE0EEENS1_30default_config_static_selectorELNS0_4arch9wavefront6targetE1EEEvT1_.kd
    .uniform_work_group_size: 1
    .uses_dynamic_stack: false
    .vgpr_count:     0
    .vgpr_spill_count: 0
    .wavefront_size: 64
  - .agpr_count:     0
    .args:
      - .offset:         0
        .size:           96
        .value_kind:     by_value
    .group_segment_fixed_size: 0
    .kernarg_segment_align: 8
    .kernarg_segment_size: 96
    .language:       OpenCL C
    .language_version:
      - 2
      - 0
    .max_flat_workgroup_size: 128
    .name:           _ZN7rocprim17ROCPRIM_400000_NS6detail17trampoline_kernelINS0_14default_configENS1_20scan_config_selectorIsEEZZNS1_9scan_implILNS1_25lookback_scan_determinismE0ELb1ELb1ES3_N6thrust23THRUST_200600_302600_NS6detail15normal_iteratorINS9_10device_ptrIsEEEESE_sNS9_4plusIsEEsEEDaPvRmT3_T4_T5_mT6_P12ihipStream_tbENKUlT_T0_E_clISt17integral_constantIbLb1EESU_EEDaSP_SQ_EUlSP_E_NS1_11comp_targetILNS1_3genE0ELNS1_11target_archE4294967295ELNS1_3gpuE0ELNS1_3repE0EEENS1_30default_config_static_selectorELNS0_4arch9wavefront6targetE1EEEvT1_
    .private_segment_fixed_size: 0
    .sgpr_count:     4
    .sgpr_spill_count: 0
    .symbol:         _ZN7rocprim17ROCPRIM_400000_NS6detail17trampoline_kernelINS0_14default_configENS1_20scan_config_selectorIsEEZZNS1_9scan_implILNS1_25lookback_scan_determinismE0ELb1ELb1ES3_N6thrust23THRUST_200600_302600_NS6detail15normal_iteratorINS9_10device_ptrIsEEEESE_sNS9_4plusIsEEsEEDaPvRmT3_T4_T5_mT6_P12ihipStream_tbENKUlT_T0_E_clISt17integral_constantIbLb1EESU_EEDaSP_SQ_EUlSP_E_NS1_11comp_targetILNS1_3genE0ELNS1_11target_archE4294967295ELNS1_3gpuE0ELNS1_3repE0EEENS1_30default_config_static_selectorELNS0_4arch9wavefront6targetE1EEEvT1_.kd
    .uniform_work_group_size: 1
    .uses_dynamic_stack: false
    .vgpr_count:     0
    .vgpr_spill_count: 0
    .wavefront_size: 64
  - .agpr_count:     0
    .args:
      - .offset:         0
        .size:           96
        .value_kind:     by_value
    .group_segment_fixed_size: 0
    .kernarg_segment_align: 8
    .kernarg_segment_size: 96
    .language:       OpenCL C
    .language_version:
      - 2
      - 0
    .max_flat_workgroup_size: 256
    .name:           _ZN7rocprim17ROCPRIM_400000_NS6detail17trampoline_kernelINS0_14default_configENS1_20scan_config_selectorIsEEZZNS1_9scan_implILNS1_25lookback_scan_determinismE0ELb1ELb1ES3_N6thrust23THRUST_200600_302600_NS6detail15normal_iteratorINS9_10device_ptrIsEEEESE_sNS9_4plusIsEEsEEDaPvRmT3_T4_T5_mT6_P12ihipStream_tbENKUlT_T0_E_clISt17integral_constantIbLb1EESU_EEDaSP_SQ_EUlSP_E_NS1_11comp_targetILNS1_3genE5ELNS1_11target_archE942ELNS1_3gpuE9ELNS1_3repE0EEENS1_30default_config_static_selectorELNS0_4arch9wavefront6targetE1EEEvT1_
    .private_segment_fixed_size: 0
    .sgpr_count:     4
    .sgpr_spill_count: 0
    .symbol:         _ZN7rocprim17ROCPRIM_400000_NS6detail17trampoline_kernelINS0_14default_configENS1_20scan_config_selectorIsEEZZNS1_9scan_implILNS1_25lookback_scan_determinismE0ELb1ELb1ES3_N6thrust23THRUST_200600_302600_NS6detail15normal_iteratorINS9_10device_ptrIsEEEESE_sNS9_4plusIsEEsEEDaPvRmT3_T4_T5_mT6_P12ihipStream_tbENKUlT_T0_E_clISt17integral_constantIbLb1EESU_EEDaSP_SQ_EUlSP_E_NS1_11comp_targetILNS1_3genE5ELNS1_11target_archE942ELNS1_3gpuE9ELNS1_3repE0EEENS1_30default_config_static_selectorELNS0_4arch9wavefront6targetE1EEEvT1_.kd
    .uniform_work_group_size: 1
    .uses_dynamic_stack: false
    .vgpr_count:     0
    .vgpr_spill_count: 0
    .wavefront_size: 64
  - .agpr_count:     0
    .args:
      - .offset:         0
        .size:           96
        .value_kind:     by_value
    .group_segment_fixed_size: 3072
    .kernarg_segment_align: 8
    .kernarg_segment_size: 96
    .language:       OpenCL C
    .language_version:
      - 2
      - 0
    .max_flat_workgroup_size: 64
    .name:           _ZN7rocprim17ROCPRIM_400000_NS6detail17trampoline_kernelINS0_14default_configENS1_20scan_config_selectorIsEEZZNS1_9scan_implILNS1_25lookback_scan_determinismE0ELb1ELb1ES3_N6thrust23THRUST_200600_302600_NS6detail15normal_iteratorINS9_10device_ptrIsEEEESE_sNS9_4plusIsEEsEEDaPvRmT3_T4_T5_mT6_P12ihipStream_tbENKUlT_T0_E_clISt17integral_constantIbLb1EESU_EEDaSP_SQ_EUlSP_E_NS1_11comp_targetILNS1_3genE4ELNS1_11target_archE910ELNS1_3gpuE8ELNS1_3repE0EEENS1_30default_config_static_selectorELNS0_4arch9wavefront6targetE1EEEvT1_
    .private_segment_fixed_size: 0
    .sgpr_count:     42
    .sgpr_spill_count: 0
    .symbol:         _ZN7rocprim17ROCPRIM_400000_NS6detail17trampoline_kernelINS0_14default_configENS1_20scan_config_selectorIsEEZZNS1_9scan_implILNS1_25lookback_scan_determinismE0ELb1ELb1ES3_N6thrust23THRUST_200600_302600_NS6detail15normal_iteratorINS9_10device_ptrIsEEEESE_sNS9_4plusIsEEsEEDaPvRmT3_T4_T5_mT6_P12ihipStream_tbENKUlT_T0_E_clISt17integral_constantIbLb1EESU_EEDaSP_SQ_EUlSP_E_NS1_11comp_targetILNS1_3genE4ELNS1_11target_archE910ELNS1_3gpuE8ELNS1_3repE0EEENS1_30default_config_static_selectorELNS0_4arch9wavefront6targetE1EEEvT1_.kd
    .uniform_work_group_size: 1
    .uses_dynamic_stack: false
    .vgpr_count:     54
    .vgpr_spill_count: 0
    .wavefront_size: 64
  - .agpr_count:     0
    .args:
      - .offset:         0
        .size:           96
        .value_kind:     by_value
    .group_segment_fixed_size: 0
    .kernarg_segment_align: 8
    .kernarg_segment_size: 96
    .language:       OpenCL C
    .language_version:
      - 2
      - 0
    .max_flat_workgroup_size: 128
    .name:           _ZN7rocprim17ROCPRIM_400000_NS6detail17trampoline_kernelINS0_14default_configENS1_20scan_config_selectorIsEEZZNS1_9scan_implILNS1_25lookback_scan_determinismE0ELb1ELb1ES3_N6thrust23THRUST_200600_302600_NS6detail15normal_iteratorINS9_10device_ptrIsEEEESE_sNS9_4plusIsEEsEEDaPvRmT3_T4_T5_mT6_P12ihipStream_tbENKUlT_T0_E_clISt17integral_constantIbLb1EESU_EEDaSP_SQ_EUlSP_E_NS1_11comp_targetILNS1_3genE3ELNS1_11target_archE908ELNS1_3gpuE7ELNS1_3repE0EEENS1_30default_config_static_selectorELNS0_4arch9wavefront6targetE1EEEvT1_
    .private_segment_fixed_size: 0
    .sgpr_count:     4
    .sgpr_spill_count: 0
    .symbol:         _ZN7rocprim17ROCPRIM_400000_NS6detail17trampoline_kernelINS0_14default_configENS1_20scan_config_selectorIsEEZZNS1_9scan_implILNS1_25lookback_scan_determinismE0ELb1ELb1ES3_N6thrust23THRUST_200600_302600_NS6detail15normal_iteratorINS9_10device_ptrIsEEEESE_sNS9_4plusIsEEsEEDaPvRmT3_T4_T5_mT6_P12ihipStream_tbENKUlT_T0_E_clISt17integral_constantIbLb1EESU_EEDaSP_SQ_EUlSP_E_NS1_11comp_targetILNS1_3genE3ELNS1_11target_archE908ELNS1_3gpuE7ELNS1_3repE0EEENS1_30default_config_static_selectorELNS0_4arch9wavefront6targetE1EEEvT1_.kd
    .uniform_work_group_size: 1
    .uses_dynamic_stack: false
    .vgpr_count:     0
    .vgpr_spill_count: 0
    .wavefront_size: 64
  - .agpr_count:     0
    .args:
      - .offset:         0
        .size:           96
        .value_kind:     by_value
    .group_segment_fixed_size: 0
    .kernarg_segment_align: 8
    .kernarg_segment_size: 96
    .language:       OpenCL C
    .language_version:
      - 2
      - 0
    .max_flat_workgroup_size: 256
    .name:           _ZN7rocprim17ROCPRIM_400000_NS6detail17trampoline_kernelINS0_14default_configENS1_20scan_config_selectorIsEEZZNS1_9scan_implILNS1_25lookback_scan_determinismE0ELb1ELb1ES3_N6thrust23THRUST_200600_302600_NS6detail15normal_iteratorINS9_10device_ptrIsEEEESE_sNS9_4plusIsEEsEEDaPvRmT3_T4_T5_mT6_P12ihipStream_tbENKUlT_T0_E_clISt17integral_constantIbLb1EESU_EEDaSP_SQ_EUlSP_E_NS1_11comp_targetILNS1_3genE2ELNS1_11target_archE906ELNS1_3gpuE6ELNS1_3repE0EEENS1_30default_config_static_selectorELNS0_4arch9wavefront6targetE1EEEvT1_
    .private_segment_fixed_size: 0
    .sgpr_count:     4
    .sgpr_spill_count: 0
    .symbol:         _ZN7rocprim17ROCPRIM_400000_NS6detail17trampoline_kernelINS0_14default_configENS1_20scan_config_selectorIsEEZZNS1_9scan_implILNS1_25lookback_scan_determinismE0ELb1ELb1ES3_N6thrust23THRUST_200600_302600_NS6detail15normal_iteratorINS9_10device_ptrIsEEEESE_sNS9_4plusIsEEsEEDaPvRmT3_T4_T5_mT6_P12ihipStream_tbENKUlT_T0_E_clISt17integral_constantIbLb1EESU_EEDaSP_SQ_EUlSP_E_NS1_11comp_targetILNS1_3genE2ELNS1_11target_archE906ELNS1_3gpuE6ELNS1_3repE0EEENS1_30default_config_static_selectorELNS0_4arch9wavefront6targetE1EEEvT1_.kd
    .uniform_work_group_size: 1
    .uses_dynamic_stack: false
    .vgpr_count:     0
    .vgpr_spill_count: 0
    .wavefront_size: 64
  - .agpr_count:     0
    .args:
      - .offset:         0
        .size:           96
        .value_kind:     by_value
    .group_segment_fixed_size: 0
    .kernarg_segment_align: 8
    .kernarg_segment_size: 96
    .language:       OpenCL C
    .language_version:
      - 2
      - 0
    .max_flat_workgroup_size: 256
    .name:           _ZN7rocprim17ROCPRIM_400000_NS6detail17trampoline_kernelINS0_14default_configENS1_20scan_config_selectorIsEEZZNS1_9scan_implILNS1_25lookback_scan_determinismE0ELb1ELb1ES3_N6thrust23THRUST_200600_302600_NS6detail15normal_iteratorINS9_10device_ptrIsEEEESE_sNS9_4plusIsEEsEEDaPvRmT3_T4_T5_mT6_P12ihipStream_tbENKUlT_T0_E_clISt17integral_constantIbLb1EESU_EEDaSP_SQ_EUlSP_E_NS1_11comp_targetILNS1_3genE10ELNS1_11target_archE1201ELNS1_3gpuE5ELNS1_3repE0EEENS1_30default_config_static_selectorELNS0_4arch9wavefront6targetE1EEEvT1_
    .private_segment_fixed_size: 0
    .sgpr_count:     4
    .sgpr_spill_count: 0
    .symbol:         _ZN7rocprim17ROCPRIM_400000_NS6detail17trampoline_kernelINS0_14default_configENS1_20scan_config_selectorIsEEZZNS1_9scan_implILNS1_25lookback_scan_determinismE0ELb1ELb1ES3_N6thrust23THRUST_200600_302600_NS6detail15normal_iteratorINS9_10device_ptrIsEEEESE_sNS9_4plusIsEEsEEDaPvRmT3_T4_T5_mT6_P12ihipStream_tbENKUlT_T0_E_clISt17integral_constantIbLb1EESU_EEDaSP_SQ_EUlSP_E_NS1_11comp_targetILNS1_3genE10ELNS1_11target_archE1201ELNS1_3gpuE5ELNS1_3repE0EEENS1_30default_config_static_selectorELNS0_4arch9wavefront6targetE1EEEvT1_.kd
    .uniform_work_group_size: 1
    .uses_dynamic_stack: false
    .vgpr_count:     0
    .vgpr_spill_count: 0
    .wavefront_size: 64
  - .agpr_count:     0
    .args:
      - .offset:         0
        .size:           96
        .value_kind:     by_value
    .group_segment_fixed_size: 0
    .kernarg_segment_align: 8
    .kernarg_segment_size: 96
    .language:       OpenCL C
    .language_version:
      - 2
      - 0
    .max_flat_workgroup_size: 256
    .name:           _ZN7rocprim17ROCPRIM_400000_NS6detail17trampoline_kernelINS0_14default_configENS1_20scan_config_selectorIsEEZZNS1_9scan_implILNS1_25lookback_scan_determinismE0ELb1ELb1ES3_N6thrust23THRUST_200600_302600_NS6detail15normal_iteratorINS9_10device_ptrIsEEEESE_sNS9_4plusIsEEsEEDaPvRmT3_T4_T5_mT6_P12ihipStream_tbENKUlT_T0_E_clISt17integral_constantIbLb1EESU_EEDaSP_SQ_EUlSP_E_NS1_11comp_targetILNS1_3genE10ELNS1_11target_archE1200ELNS1_3gpuE4ELNS1_3repE0EEENS1_30default_config_static_selectorELNS0_4arch9wavefront6targetE1EEEvT1_
    .private_segment_fixed_size: 0
    .sgpr_count:     4
    .sgpr_spill_count: 0
    .symbol:         _ZN7rocprim17ROCPRIM_400000_NS6detail17trampoline_kernelINS0_14default_configENS1_20scan_config_selectorIsEEZZNS1_9scan_implILNS1_25lookback_scan_determinismE0ELb1ELb1ES3_N6thrust23THRUST_200600_302600_NS6detail15normal_iteratorINS9_10device_ptrIsEEEESE_sNS9_4plusIsEEsEEDaPvRmT3_T4_T5_mT6_P12ihipStream_tbENKUlT_T0_E_clISt17integral_constantIbLb1EESU_EEDaSP_SQ_EUlSP_E_NS1_11comp_targetILNS1_3genE10ELNS1_11target_archE1200ELNS1_3gpuE4ELNS1_3repE0EEENS1_30default_config_static_selectorELNS0_4arch9wavefront6targetE1EEEvT1_.kd
    .uniform_work_group_size: 1
    .uses_dynamic_stack: false
    .vgpr_count:     0
    .vgpr_spill_count: 0
    .wavefront_size: 64
  - .agpr_count:     0
    .args:
      - .offset:         0
        .size:           96
        .value_kind:     by_value
    .group_segment_fixed_size: 0
    .kernarg_segment_align: 8
    .kernarg_segment_size: 96
    .language:       OpenCL C
    .language_version:
      - 2
      - 0
    .max_flat_workgroup_size: 64
    .name:           _ZN7rocprim17ROCPRIM_400000_NS6detail17trampoline_kernelINS0_14default_configENS1_20scan_config_selectorIsEEZZNS1_9scan_implILNS1_25lookback_scan_determinismE0ELb1ELb1ES3_N6thrust23THRUST_200600_302600_NS6detail15normal_iteratorINS9_10device_ptrIsEEEESE_sNS9_4plusIsEEsEEDaPvRmT3_T4_T5_mT6_P12ihipStream_tbENKUlT_T0_E_clISt17integral_constantIbLb1EESU_EEDaSP_SQ_EUlSP_E_NS1_11comp_targetILNS1_3genE9ELNS1_11target_archE1100ELNS1_3gpuE3ELNS1_3repE0EEENS1_30default_config_static_selectorELNS0_4arch9wavefront6targetE1EEEvT1_
    .private_segment_fixed_size: 0
    .sgpr_count:     4
    .sgpr_spill_count: 0
    .symbol:         _ZN7rocprim17ROCPRIM_400000_NS6detail17trampoline_kernelINS0_14default_configENS1_20scan_config_selectorIsEEZZNS1_9scan_implILNS1_25lookback_scan_determinismE0ELb1ELb1ES3_N6thrust23THRUST_200600_302600_NS6detail15normal_iteratorINS9_10device_ptrIsEEEESE_sNS9_4plusIsEEsEEDaPvRmT3_T4_T5_mT6_P12ihipStream_tbENKUlT_T0_E_clISt17integral_constantIbLb1EESU_EEDaSP_SQ_EUlSP_E_NS1_11comp_targetILNS1_3genE9ELNS1_11target_archE1100ELNS1_3gpuE3ELNS1_3repE0EEENS1_30default_config_static_selectorELNS0_4arch9wavefront6targetE1EEEvT1_.kd
    .uniform_work_group_size: 1
    .uses_dynamic_stack: false
    .vgpr_count:     0
    .vgpr_spill_count: 0
    .wavefront_size: 64
  - .agpr_count:     0
    .args:
      - .offset:         0
        .size:           96
        .value_kind:     by_value
    .group_segment_fixed_size: 0
    .kernarg_segment_align: 8
    .kernarg_segment_size: 96
    .language:       OpenCL C
    .language_version:
      - 2
      - 0
    .max_flat_workgroup_size: 64
    .name:           _ZN7rocprim17ROCPRIM_400000_NS6detail17trampoline_kernelINS0_14default_configENS1_20scan_config_selectorIsEEZZNS1_9scan_implILNS1_25lookback_scan_determinismE0ELb1ELb1ES3_N6thrust23THRUST_200600_302600_NS6detail15normal_iteratorINS9_10device_ptrIsEEEESE_sNS9_4plusIsEEsEEDaPvRmT3_T4_T5_mT6_P12ihipStream_tbENKUlT_T0_E_clISt17integral_constantIbLb1EESU_EEDaSP_SQ_EUlSP_E_NS1_11comp_targetILNS1_3genE8ELNS1_11target_archE1030ELNS1_3gpuE2ELNS1_3repE0EEENS1_30default_config_static_selectorELNS0_4arch9wavefront6targetE1EEEvT1_
    .private_segment_fixed_size: 0
    .sgpr_count:     4
    .sgpr_spill_count: 0
    .symbol:         _ZN7rocprim17ROCPRIM_400000_NS6detail17trampoline_kernelINS0_14default_configENS1_20scan_config_selectorIsEEZZNS1_9scan_implILNS1_25lookback_scan_determinismE0ELb1ELb1ES3_N6thrust23THRUST_200600_302600_NS6detail15normal_iteratorINS9_10device_ptrIsEEEESE_sNS9_4plusIsEEsEEDaPvRmT3_T4_T5_mT6_P12ihipStream_tbENKUlT_T0_E_clISt17integral_constantIbLb1EESU_EEDaSP_SQ_EUlSP_E_NS1_11comp_targetILNS1_3genE8ELNS1_11target_archE1030ELNS1_3gpuE2ELNS1_3repE0EEENS1_30default_config_static_selectorELNS0_4arch9wavefront6targetE1EEEvT1_.kd
    .uniform_work_group_size: 1
    .uses_dynamic_stack: false
    .vgpr_count:     0
    .vgpr_spill_count: 0
    .wavefront_size: 64
  - .agpr_count:     0
    .args:
      - .offset:         0
        .size:           32
        .value_kind:     by_value
    .group_segment_fixed_size: 0
    .kernarg_segment_align: 8
    .kernarg_segment_size: 32
    .language:       OpenCL C
    .language_version:
      - 2
      - 0
    .max_flat_workgroup_size: 128
    .name:           _ZN7rocprim17ROCPRIM_400000_NS6detail17trampoline_kernelINS0_14default_configENS1_20scan_config_selectorIsEEZZNS1_9scan_implILNS1_25lookback_scan_determinismE0ELb1ELb1ES3_N6thrust23THRUST_200600_302600_NS6detail15normal_iteratorINS9_10device_ptrIsEEEESE_sNS9_4plusIsEEsEEDaPvRmT3_T4_T5_mT6_P12ihipStream_tbENKUlT_T0_E_clISt17integral_constantIbLb1EESU_EEDaSP_SQ_EUlSP_E0_NS1_11comp_targetILNS1_3genE0ELNS1_11target_archE4294967295ELNS1_3gpuE0ELNS1_3repE0EEENS1_30default_config_static_selectorELNS0_4arch9wavefront6targetE1EEEvT1_
    .private_segment_fixed_size: 0
    .sgpr_count:     4
    .sgpr_spill_count: 0
    .symbol:         _ZN7rocprim17ROCPRIM_400000_NS6detail17trampoline_kernelINS0_14default_configENS1_20scan_config_selectorIsEEZZNS1_9scan_implILNS1_25lookback_scan_determinismE0ELb1ELb1ES3_N6thrust23THRUST_200600_302600_NS6detail15normal_iteratorINS9_10device_ptrIsEEEESE_sNS9_4plusIsEEsEEDaPvRmT3_T4_T5_mT6_P12ihipStream_tbENKUlT_T0_E_clISt17integral_constantIbLb1EESU_EEDaSP_SQ_EUlSP_E0_NS1_11comp_targetILNS1_3genE0ELNS1_11target_archE4294967295ELNS1_3gpuE0ELNS1_3repE0EEENS1_30default_config_static_selectorELNS0_4arch9wavefront6targetE1EEEvT1_.kd
    .uniform_work_group_size: 1
    .uses_dynamic_stack: false
    .vgpr_count:     0
    .vgpr_spill_count: 0
    .wavefront_size: 64
  - .agpr_count:     0
    .args:
      - .offset:         0
        .size:           32
        .value_kind:     by_value
    .group_segment_fixed_size: 0
    .kernarg_segment_align: 8
    .kernarg_segment_size: 32
    .language:       OpenCL C
    .language_version:
      - 2
      - 0
    .max_flat_workgroup_size: 256
    .name:           _ZN7rocprim17ROCPRIM_400000_NS6detail17trampoline_kernelINS0_14default_configENS1_20scan_config_selectorIsEEZZNS1_9scan_implILNS1_25lookback_scan_determinismE0ELb1ELb1ES3_N6thrust23THRUST_200600_302600_NS6detail15normal_iteratorINS9_10device_ptrIsEEEESE_sNS9_4plusIsEEsEEDaPvRmT3_T4_T5_mT6_P12ihipStream_tbENKUlT_T0_E_clISt17integral_constantIbLb1EESU_EEDaSP_SQ_EUlSP_E0_NS1_11comp_targetILNS1_3genE5ELNS1_11target_archE942ELNS1_3gpuE9ELNS1_3repE0EEENS1_30default_config_static_selectorELNS0_4arch9wavefront6targetE1EEEvT1_
    .private_segment_fixed_size: 0
    .sgpr_count:     4
    .sgpr_spill_count: 0
    .symbol:         _ZN7rocprim17ROCPRIM_400000_NS6detail17trampoline_kernelINS0_14default_configENS1_20scan_config_selectorIsEEZZNS1_9scan_implILNS1_25lookback_scan_determinismE0ELb1ELb1ES3_N6thrust23THRUST_200600_302600_NS6detail15normal_iteratorINS9_10device_ptrIsEEEESE_sNS9_4plusIsEEsEEDaPvRmT3_T4_T5_mT6_P12ihipStream_tbENKUlT_T0_E_clISt17integral_constantIbLb1EESU_EEDaSP_SQ_EUlSP_E0_NS1_11comp_targetILNS1_3genE5ELNS1_11target_archE942ELNS1_3gpuE9ELNS1_3repE0EEENS1_30default_config_static_selectorELNS0_4arch9wavefront6targetE1EEEvT1_.kd
    .uniform_work_group_size: 1
    .uses_dynamic_stack: false
    .vgpr_count:     0
    .vgpr_spill_count: 0
    .wavefront_size: 64
  - .agpr_count:     0
    .args:
      - .offset:         0
        .size:           32
        .value_kind:     by_value
    .group_segment_fixed_size: 3072
    .kernarg_segment_align: 8
    .kernarg_segment_size: 32
    .language:       OpenCL C
    .language_version:
      - 2
      - 0
    .max_flat_workgroup_size: 64
    .name:           _ZN7rocprim17ROCPRIM_400000_NS6detail17trampoline_kernelINS0_14default_configENS1_20scan_config_selectorIsEEZZNS1_9scan_implILNS1_25lookback_scan_determinismE0ELb1ELb1ES3_N6thrust23THRUST_200600_302600_NS6detail15normal_iteratorINS9_10device_ptrIsEEEESE_sNS9_4plusIsEEsEEDaPvRmT3_T4_T5_mT6_P12ihipStream_tbENKUlT_T0_E_clISt17integral_constantIbLb1EESU_EEDaSP_SQ_EUlSP_E0_NS1_11comp_targetILNS1_3genE4ELNS1_11target_archE910ELNS1_3gpuE8ELNS1_3repE0EEENS1_30default_config_static_selectorELNS0_4arch9wavefront6targetE1EEEvT1_
    .private_segment_fixed_size: 0
    .sgpr_count:     60
    .sgpr_spill_count: 0
    .symbol:         _ZN7rocprim17ROCPRIM_400000_NS6detail17trampoline_kernelINS0_14default_configENS1_20scan_config_selectorIsEEZZNS1_9scan_implILNS1_25lookback_scan_determinismE0ELb1ELb1ES3_N6thrust23THRUST_200600_302600_NS6detail15normal_iteratorINS9_10device_ptrIsEEEESE_sNS9_4plusIsEEsEEDaPvRmT3_T4_T5_mT6_P12ihipStream_tbENKUlT_T0_E_clISt17integral_constantIbLb1EESU_EEDaSP_SQ_EUlSP_E0_NS1_11comp_targetILNS1_3genE4ELNS1_11target_archE910ELNS1_3gpuE8ELNS1_3repE0EEENS1_30default_config_static_selectorELNS0_4arch9wavefront6targetE1EEEvT1_.kd
    .uniform_work_group_size: 1
    .uses_dynamic_stack: false
    .vgpr_count:     32
    .vgpr_spill_count: 0
    .wavefront_size: 64
  - .agpr_count:     0
    .args:
      - .offset:         0
        .size:           32
        .value_kind:     by_value
    .group_segment_fixed_size: 0
    .kernarg_segment_align: 8
    .kernarg_segment_size: 32
    .language:       OpenCL C
    .language_version:
      - 2
      - 0
    .max_flat_workgroup_size: 128
    .name:           _ZN7rocprim17ROCPRIM_400000_NS6detail17trampoline_kernelINS0_14default_configENS1_20scan_config_selectorIsEEZZNS1_9scan_implILNS1_25lookback_scan_determinismE0ELb1ELb1ES3_N6thrust23THRUST_200600_302600_NS6detail15normal_iteratorINS9_10device_ptrIsEEEESE_sNS9_4plusIsEEsEEDaPvRmT3_T4_T5_mT6_P12ihipStream_tbENKUlT_T0_E_clISt17integral_constantIbLb1EESU_EEDaSP_SQ_EUlSP_E0_NS1_11comp_targetILNS1_3genE3ELNS1_11target_archE908ELNS1_3gpuE7ELNS1_3repE0EEENS1_30default_config_static_selectorELNS0_4arch9wavefront6targetE1EEEvT1_
    .private_segment_fixed_size: 0
    .sgpr_count:     4
    .sgpr_spill_count: 0
    .symbol:         _ZN7rocprim17ROCPRIM_400000_NS6detail17trampoline_kernelINS0_14default_configENS1_20scan_config_selectorIsEEZZNS1_9scan_implILNS1_25lookback_scan_determinismE0ELb1ELb1ES3_N6thrust23THRUST_200600_302600_NS6detail15normal_iteratorINS9_10device_ptrIsEEEESE_sNS9_4plusIsEEsEEDaPvRmT3_T4_T5_mT6_P12ihipStream_tbENKUlT_T0_E_clISt17integral_constantIbLb1EESU_EEDaSP_SQ_EUlSP_E0_NS1_11comp_targetILNS1_3genE3ELNS1_11target_archE908ELNS1_3gpuE7ELNS1_3repE0EEENS1_30default_config_static_selectorELNS0_4arch9wavefront6targetE1EEEvT1_.kd
    .uniform_work_group_size: 1
    .uses_dynamic_stack: false
    .vgpr_count:     0
    .vgpr_spill_count: 0
    .wavefront_size: 64
  - .agpr_count:     0
    .args:
      - .offset:         0
        .size:           32
        .value_kind:     by_value
    .group_segment_fixed_size: 0
    .kernarg_segment_align: 8
    .kernarg_segment_size: 32
    .language:       OpenCL C
    .language_version:
      - 2
      - 0
    .max_flat_workgroup_size: 256
    .name:           _ZN7rocprim17ROCPRIM_400000_NS6detail17trampoline_kernelINS0_14default_configENS1_20scan_config_selectorIsEEZZNS1_9scan_implILNS1_25lookback_scan_determinismE0ELb1ELb1ES3_N6thrust23THRUST_200600_302600_NS6detail15normal_iteratorINS9_10device_ptrIsEEEESE_sNS9_4plusIsEEsEEDaPvRmT3_T4_T5_mT6_P12ihipStream_tbENKUlT_T0_E_clISt17integral_constantIbLb1EESU_EEDaSP_SQ_EUlSP_E0_NS1_11comp_targetILNS1_3genE2ELNS1_11target_archE906ELNS1_3gpuE6ELNS1_3repE0EEENS1_30default_config_static_selectorELNS0_4arch9wavefront6targetE1EEEvT1_
    .private_segment_fixed_size: 0
    .sgpr_count:     4
    .sgpr_spill_count: 0
    .symbol:         _ZN7rocprim17ROCPRIM_400000_NS6detail17trampoline_kernelINS0_14default_configENS1_20scan_config_selectorIsEEZZNS1_9scan_implILNS1_25lookback_scan_determinismE0ELb1ELb1ES3_N6thrust23THRUST_200600_302600_NS6detail15normal_iteratorINS9_10device_ptrIsEEEESE_sNS9_4plusIsEEsEEDaPvRmT3_T4_T5_mT6_P12ihipStream_tbENKUlT_T0_E_clISt17integral_constantIbLb1EESU_EEDaSP_SQ_EUlSP_E0_NS1_11comp_targetILNS1_3genE2ELNS1_11target_archE906ELNS1_3gpuE6ELNS1_3repE0EEENS1_30default_config_static_selectorELNS0_4arch9wavefront6targetE1EEEvT1_.kd
    .uniform_work_group_size: 1
    .uses_dynamic_stack: false
    .vgpr_count:     0
    .vgpr_spill_count: 0
    .wavefront_size: 64
  - .agpr_count:     0
    .args:
      - .offset:         0
        .size:           32
        .value_kind:     by_value
    .group_segment_fixed_size: 0
    .kernarg_segment_align: 8
    .kernarg_segment_size: 32
    .language:       OpenCL C
    .language_version:
      - 2
      - 0
    .max_flat_workgroup_size: 256
    .name:           _ZN7rocprim17ROCPRIM_400000_NS6detail17trampoline_kernelINS0_14default_configENS1_20scan_config_selectorIsEEZZNS1_9scan_implILNS1_25lookback_scan_determinismE0ELb1ELb1ES3_N6thrust23THRUST_200600_302600_NS6detail15normal_iteratorINS9_10device_ptrIsEEEESE_sNS9_4plusIsEEsEEDaPvRmT3_T4_T5_mT6_P12ihipStream_tbENKUlT_T0_E_clISt17integral_constantIbLb1EESU_EEDaSP_SQ_EUlSP_E0_NS1_11comp_targetILNS1_3genE10ELNS1_11target_archE1201ELNS1_3gpuE5ELNS1_3repE0EEENS1_30default_config_static_selectorELNS0_4arch9wavefront6targetE1EEEvT1_
    .private_segment_fixed_size: 0
    .sgpr_count:     4
    .sgpr_spill_count: 0
    .symbol:         _ZN7rocprim17ROCPRIM_400000_NS6detail17trampoline_kernelINS0_14default_configENS1_20scan_config_selectorIsEEZZNS1_9scan_implILNS1_25lookback_scan_determinismE0ELb1ELb1ES3_N6thrust23THRUST_200600_302600_NS6detail15normal_iteratorINS9_10device_ptrIsEEEESE_sNS9_4plusIsEEsEEDaPvRmT3_T4_T5_mT6_P12ihipStream_tbENKUlT_T0_E_clISt17integral_constantIbLb1EESU_EEDaSP_SQ_EUlSP_E0_NS1_11comp_targetILNS1_3genE10ELNS1_11target_archE1201ELNS1_3gpuE5ELNS1_3repE0EEENS1_30default_config_static_selectorELNS0_4arch9wavefront6targetE1EEEvT1_.kd
    .uniform_work_group_size: 1
    .uses_dynamic_stack: false
    .vgpr_count:     0
    .vgpr_spill_count: 0
    .wavefront_size: 64
  - .agpr_count:     0
    .args:
      - .offset:         0
        .size:           32
        .value_kind:     by_value
    .group_segment_fixed_size: 0
    .kernarg_segment_align: 8
    .kernarg_segment_size: 32
    .language:       OpenCL C
    .language_version:
      - 2
      - 0
    .max_flat_workgroup_size: 256
    .name:           _ZN7rocprim17ROCPRIM_400000_NS6detail17trampoline_kernelINS0_14default_configENS1_20scan_config_selectorIsEEZZNS1_9scan_implILNS1_25lookback_scan_determinismE0ELb1ELb1ES3_N6thrust23THRUST_200600_302600_NS6detail15normal_iteratorINS9_10device_ptrIsEEEESE_sNS9_4plusIsEEsEEDaPvRmT3_T4_T5_mT6_P12ihipStream_tbENKUlT_T0_E_clISt17integral_constantIbLb1EESU_EEDaSP_SQ_EUlSP_E0_NS1_11comp_targetILNS1_3genE10ELNS1_11target_archE1200ELNS1_3gpuE4ELNS1_3repE0EEENS1_30default_config_static_selectorELNS0_4arch9wavefront6targetE1EEEvT1_
    .private_segment_fixed_size: 0
    .sgpr_count:     4
    .sgpr_spill_count: 0
    .symbol:         _ZN7rocprim17ROCPRIM_400000_NS6detail17trampoline_kernelINS0_14default_configENS1_20scan_config_selectorIsEEZZNS1_9scan_implILNS1_25lookback_scan_determinismE0ELb1ELb1ES3_N6thrust23THRUST_200600_302600_NS6detail15normal_iteratorINS9_10device_ptrIsEEEESE_sNS9_4plusIsEEsEEDaPvRmT3_T4_T5_mT6_P12ihipStream_tbENKUlT_T0_E_clISt17integral_constantIbLb1EESU_EEDaSP_SQ_EUlSP_E0_NS1_11comp_targetILNS1_3genE10ELNS1_11target_archE1200ELNS1_3gpuE4ELNS1_3repE0EEENS1_30default_config_static_selectorELNS0_4arch9wavefront6targetE1EEEvT1_.kd
    .uniform_work_group_size: 1
    .uses_dynamic_stack: false
    .vgpr_count:     0
    .vgpr_spill_count: 0
    .wavefront_size: 64
  - .agpr_count:     0
    .args:
      - .offset:         0
        .size:           32
        .value_kind:     by_value
    .group_segment_fixed_size: 0
    .kernarg_segment_align: 8
    .kernarg_segment_size: 32
    .language:       OpenCL C
    .language_version:
      - 2
      - 0
    .max_flat_workgroup_size: 64
    .name:           _ZN7rocprim17ROCPRIM_400000_NS6detail17trampoline_kernelINS0_14default_configENS1_20scan_config_selectorIsEEZZNS1_9scan_implILNS1_25lookback_scan_determinismE0ELb1ELb1ES3_N6thrust23THRUST_200600_302600_NS6detail15normal_iteratorINS9_10device_ptrIsEEEESE_sNS9_4plusIsEEsEEDaPvRmT3_T4_T5_mT6_P12ihipStream_tbENKUlT_T0_E_clISt17integral_constantIbLb1EESU_EEDaSP_SQ_EUlSP_E0_NS1_11comp_targetILNS1_3genE9ELNS1_11target_archE1100ELNS1_3gpuE3ELNS1_3repE0EEENS1_30default_config_static_selectorELNS0_4arch9wavefront6targetE1EEEvT1_
    .private_segment_fixed_size: 0
    .sgpr_count:     4
    .sgpr_spill_count: 0
    .symbol:         _ZN7rocprim17ROCPRIM_400000_NS6detail17trampoline_kernelINS0_14default_configENS1_20scan_config_selectorIsEEZZNS1_9scan_implILNS1_25lookback_scan_determinismE0ELb1ELb1ES3_N6thrust23THRUST_200600_302600_NS6detail15normal_iteratorINS9_10device_ptrIsEEEESE_sNS9_4plusIsEEsEEDaPvRmT3_T4_T5_mT6_P12ihipStream_tbENKUlT_T0_E_clISt17integral_constantIbLb1EESU_EEDaSP_SQ_EUlSP_E0_NS1_11comp_targetILNS1_3genE9ELNS1_11target_archE1100ELNS1_3gpuE3ELNS1_3repE0EEENS1_30default_config_static_selectorELNS0_4arch9wavefront6targetE1EEEvT1_.kd
    .uniform_work_group_size: 1
    .uses_dynamic_stack: false
    .vgpr_count:     0
    .vgpr_spill_count: 0
    .wavefront_size: 64
  - .agpr_count:     0
    .args:
      - .offset:         0
        .size:           32
        .value_kind:     by_value
    .group_segment_fixed_size: 0
    .kernarg_segment_align: 8
    .kernarg_segment_size: 32
    .language:       OpenCL C
    .language_version:
      - 2
      - 0
    .max_flat_workgroup_size: 64
    .name:           _ZN7rocprim17ROCPRIM_400000_NS6detail17trampoline_kernelINS0_14default_configENS1_20scan_config_selectorIsEEZZNS1_9scan_implILNS1_25lookback_scan_determinismE0ELb1ELb1ES3_N6thrust23THRUST_200600_302600_NS6detail15normal_iteratorINS9_10device_ptrIsEEEESE_sNS9_4plusIsEEsEEDaPvRmT3_T4_T5_mT6_P12ihipStream_tbENKUlT_T0_E_clISt17integral_constantIbLb1EESU_EEDaSP_SQ_EUlSP_E0_NS1_11comp_targetILNS1_3genE8ELNS1_11target_archE1030ELNS1_3gpuE2ELNS1_3repE0EEENS1_30default_config_static_selectorELNS0_4arch9wavefront6targetE1EEEvT1_
    .private_segment_fixed_size: 0
    .sgpr_count:     4
    .sgpr_spill_count: 0
    .symbol:         _ZN7rocprim17ROCPRIM_400000_NS6detail17trampoline_kernelINS0_14default_configENS1_20scan_config_selectorIsEEZZNS1_9scan_implILNS1_25lookback_scan_determinismE0ELb1ELb1ES3_N6thrust23THRUST_200600_302600_NS6detail15normal_iteratorINS9_10device_ptrIsEEEESE_sNS9_4plusIsEEsEEDaPvRmT3_T4_T5_mT6_P12ihipStream_tbENKUlT_T0_E_clISt17integral_constantIbLb1EESU_EEDaSP_SQ_EUlSP_E0_NS1_11comp_targetILNS1_3genE8ELNS1_11target_archE1030ELNS1_3gpuE2ELNS1_3repE0EEENS1_30default_config_static_selectorELNS0_4arch9wavefront6targetE1EEEvT1_.kd
    .uniform_work_group_size: 1
    .uses_dynamic_stack: false
    .vgpr_count:     0
    .vgpr_spill_count: 0
    .wavefront_size: 64
  - .agpr_count:     0
    .args:
      - .offset:         0
        .size:           96
        .value_kind:     by_value
    .group_segment_fixed_size: 0
    .kernarg_segment_align: 8
    .kernarg_segment_size: 96
    .language:       OpenCL C
    .language_version:
      - 2
      - 0
    .max_flat_workgroup_size: 128
    .name:           _ZN7rocprim17ROCPRIM_400000_NS6detail17trampoline_kernelINS0_14default_configENS1_20scan_config_selectorIsEEZZNS1_9scan_implILNS1_25lookback_scan_determinismE0ELb1ELb1ES3_N6thrust23THRUST_200600_302600_NS6detail15normal_iteratorINS9_10device_ptrIsEEEESE_sNS9_4plusIsEEsEEDaPvRmT3_T4_T5_mT6_P12ihipStream_tbENKUlT_T0_E_clISt17integral_constantIbLb1EEST_IbLb0EEEEDaSP_SQ_EUlSP_E_NS1_11comp_targetILNS1_3genE0ELNS1_11target_archE4294967295ELNS1_3gpuE0ELNS1_3repE0EEENS1_30default_config_static_selectorELNS0_4arch9wavefront6targetE1EEEvT1_
    .private_segment_fixed_size: 0
    .sgpr_count:     4
    .sgpr_spill_count: 0
    .symbol:         _ZN7rocprim17ROCPRIM_400000_NS6detail17trampoline_kernelINS0_14default_configENS1_20scan_config_selectorIsEEZZNS1_9scan_implILNS1_25lookback_scan_determinismE0ELb1ELb1ES3_N6thrust23THRUST_200600_302600_NS6detail15normal_iteratorINS9_10device_ptrIsEEEESE_sNS9_4plusIsEEsEEDaPvRmT3_T4_T5_mT6_P12ihipStream_tbENKUlT_T0_E_clISt17integral_constantIbLb1EEST_IbLb0EEEEDaSP_SQ_EUlSP_E_NS1_11comp_targetILNS1_3genE0ELNS1_11target_archE4294967295ELNS1_3gpuE0ELNS1_3repE0EEENS1_30default_config_static_selectorELNS0_4arch9wavefront6targetE1EEEvT1_.kd
    .uniform_work_group_size: 1
    .uses_dynamic_stack: false
    .vgpr_count:     0
    .vgpr_spill_count: 0
    .wavefront_size: 64
  - .agpr_count:     0
    .args:
      - .offset:         0
        .size:           96
        .value_kind:     by_value
    .group_segment_fixed_size: 0
    .kernarg_segment_align: 8
    .kernarg_segment_size: 96
    .language:       OpenCL C
    .language_version:
      - 2
      - 0
    .max_flat_workgroup_size: 256
    .name:           _ZN7rocprim17ROCPRIM_400000_NS6detail17trampoline_kernelINS0_14default_configENS1_20scan_config_selectorIsEEZZNS1_9scan_implILNS1_25lookback_scan_determinismE0ELb1ELb1ES3_N6thrust23THRUST_200600_302600_NS6detail15normal_iteratorINS9_10device_ptrIsEEEESE_sNS9_4plusIsEEsEEDaPvRmT3_T4_T5_mT6_P12ihipStream_tbENKUlT_T0_E_clISt17integral_constantIbLb1EEST_IbLb0EEEEDaSP_SQ_EUlSP_E_NS1_11comp_targetILNS1_3genE5ELNS1_11target_archE942ELNS1_3gpuE9ELNS1_3repE0EEENS1_30default_config_static_selectorELNS0_4arch9wavefront6targetE1EEEvT1_
    .private_segment_fixed_size: 0
    .sgpr_count:     4
    .sgpr_spill_count: 0
    .symbol:         _ZN7rocprim17ROCPRIM_400000_NS6detail17trampoline_kernelINS0_14default_configENS1_20scan_config_selectorIsEEZZNS1_9scan_implILNS1_25lookback_scan_determinismE0ELb1ELb1ES3_N6thrust23THRUST_200600_302600_NS6detail15normal_iteratorINS9_10device_ptrIsEEEESE_sNS9_4plusIsEEsEEDaPvRmT3_T4_T5_mT6_P12ihipStream_tbENKUlT_T0_E_clISt17integral_constantIbLb1EEST_IbLb0EEEEDaSP_SQ_EUlSP_E_NS1_11comp_targetILNS1_3genE5ELNS1_11target_archE942ELNS1_3gpuE9ELNS1_3repE0EEENS1_30default_config_static_selectorELNS0_4arch9wavefront6targetE1EEEvT1_.kd
    .uniform_work_group_size: 1
    .uses_dynamic_stack: false
    .vgpr_count:     0
    .vgpr_spill_count: 0
    .wavefront_size: 64
  - .agpr_count:     0
    .args:
      - .offset:         0
        .size:           96
        .value_kind:     by_value
    .group_segment_fixed_size: 3072
    .kernarg_segment_align: 8
    .kernarg_segment_size: 96
    .language:       OpenCL C
    .language_version:
      - 2
      - 0
    .max_flat_workgroup_size: 64
    .name:           _ZN7rocprim17ROCPRIM_400000_NS6detail17trampoline_kernelINS0_14default_configENS1_20scan_config_selectorIsEEZZNS1_9scan_implILNS1_25lookback_scan_determinismE0ELb1ELb1ES3_N6thrust23THRUST_200600_302600_NS6detail15normal_iteratorINS9_10device_ptrIsEEEESE_sNS9_4plusIsEEsEEDaPvRmT3_T4_T5_mT6_P12ihipStream_tbENKUlT_T0_E_clISt17integral_constantIbLb1EEST_IbLb0EEEEDaSP_SQ_EUlSP_E_NS1_11comp_targetILNS1_3genE4ELNS1_11target_archE910ELNS1_3gpuE8ELNS1_3repE0EEENS1_30default_config_static_selectorELNS0_4arch9wavefront6targetE1EEEvT1_
    .private_segment_fixed_size: 0
    .sgpr_count:     33
    .sgpr_spill_count: 0
    .symbol:         _ZN7rocprim17ROCPRIM_400000_NS6detail17trampoline_kernelINS0_14default_configENS1_20scan_config_selectorIsEEZZNS1_9scan_implILNS1_25lookback_scan_determinismE0ELb1ELb1ES3_N6thrust23THRUST_200600_302600_NS6detail15normal_iteratorINS9_10device_ptrIsEEEESE_sNS9_4plusIsEEsEEDaPvRmT3_T4_T5_mT6_P12ihipStream_tbENKUlT_T0_E_clISt17integral_constantIbLb1EEST_IbLb0EEEEDaSP_SQ_EUlSP_E_NS1_11comp_targetILNS1_3genE4ELNS1_11target_archE910ELNS1_3gpuE8ELNS1_3repE0EEENS1_30default_config_static_selectorELNS0_4arch9wavefront6targetE1EEEvT1_.kd
    .uniform_work_group_size: 1
    .uses_dynamic_stack: false
    .vgpr_count:     54
    .vgpr_spill_count: 0
    .wavefront_size: 64
  - .agpr_count:     0
    .args:
      - .offset:         0
        .size:           96
        .value_kind:     by_value
    .group_segment_fixed_size: 0
    .kernarg_segment_align: 8
    .kernarg_segment_size: 96
    .language:       OpenCL C
    .language_version:
      - 2
      - 0
    .max_flat_workgroup_size: 128
    .name:           _ZN7rocprim17ROCPRIM_400000_NS6detail17trampoline_kernelINS0_14default_configENS1_20scan_config_selectorIsEEZZNS1_9scan_implILNS1_25lookback_scan_determinismE0ELb1ELb1ES3_N6thrust23THRUST_200600_302600_NS6detail15normal_iteratorINS9_10device_ptrIsEEEESE_sNS9_4plusIsEEsEEDaPvRmT3_T4_T5_mT6_P12ihipStream_tbENKUlT_T0_E_clISt17integral_constantIbLb1EEST_IbLb0EEEEDaSP_SQ_EUlSP_E_NS1_11comp_targetILNS1_3genE3ELNS1_11target_archE908ELNS1_3gpuE7ELNS1_3repE0EEENS1_30default_config_static_selectorELNS0_4arch9wavefront6targetE1EEEvT1_
    .private_segment_fixed_size: 0
    .sgpr_count:     4
    .sgpr_spill_count: 0
    .symbol:         _ZN7rocprim17ROCPRIM_400000_NS6detail17trampoline_kernelINS0_14default_configENS1_20scan_config_selectorIsEEZZNS1_9scan_implILNS1_25lookback_scan_determinismE0ELb1ELb1ES3_N6thrust23THRUST_200600_302600_NS6detail15normal_iteratorINS9_10device_ptrIsEEEESE_sNS9_4plusIsEEsEEDaPvRmT3_T4_T5_mT6_P12ihipStream_tbENKUlT_T0_E_clISt17integral_constantIbLb1EEST_IbLb0EEEEDaSP_SQ_EUlSP_E_NS1_11comp_targetILNS1_3genE3ELNS1_11target_archE908ELNS1_3gpuE7ELNS1_3repE0EEENS1_30default_config_static_selectorELNS0_4arch9wavefront6targetE1EEEvT1_.kd
    .uniform_work_group_size: 1
    .uses_dynamic_stack: false
    .vgpr_count:     0
    .vgpr_spill_count: 0
    .wavefront_size: 64
  - .agpr_count:     0
    .args:
      - .offset:         0
        .size:           96
        .value_kind:     by_value
    .group_segment_fixed_size: 0
    .kernarg_segment_align: 8
    .kernarg_segment_size: 96
    .language:       OpenCL C
    .language_version:
      - 2
      - 0
    .max_flat_workgroup_size: 256
    .name:           _ZN7rocprim17ROCPRIM_400000_NS6detail17trampoline_kernelINS0_14default_configENS1_20scan_config_selectorIsEEZZNS1_9scan_implILNS1_25lookback_scan_determinismE0ELb1ELb1ES3_N6thrust23THRUST_200600_302600_NS6detail15normal_iteratorINS9_10device_ptrIsEEEESE_sNS9_4plusIsEEsEEDaPvRmT3_T4_T5_mT6_P12ihipStream_tbENKUlT_T0_E_clISt17integral_constantIbLb1EEST_IbLb0EEEEDaSP_SQ_EUlSP_E_NS1_11comp_targetILNS1_3genE2ELNS1_11target_archE906ELNS1_3gpuE6ELNS1_3repE0EEENS1_30default_config_static_selectorELNS0_4arch9wavefront6targetE1EEEvT1_
    .private_segment_fixed_size: 0
    .sgpr_count:     4
    .sgpr_spill_count: 0
    .symbol:         _ZN7rocprim17ROCPRIM_400000_NS6detail17trampoline_kernelINS0_14default_configENS1_20scan_config_selectorIsEEZZNS1_9scan_implILNS1_25lookback_scan_determinismE0ELb1ELb1ES3_N6thrust23THRUST_200600_302600_NS6detail15normal_iteratorINS9_10device_ptrIsEEEESE_sNS9_4plusIsEEsEEDaPvRmT3_T4_T5_mT6_P12ihipStream_tbENKUlT_T0_E_clISt17integral_constantIbLb1EEST_IbLb0EEEEDaSP_SQ_EUlSP_E_NS1_11comp_targetILNS1_3genE2ELNS1_11target_archE906ELNS1_3gpuE6ELNS1_3repE0EEENS1_30default_config_static_selectorELNS0_4arch9wavefront6targetE1EEEvT1_.kd
    .uniform_work_group_size: 1
    .uses_dynamic_stack: false
    .vgpr_count:     0
    .vgpr_spill_count: 0
    .wavefront_size: 64
  - .agpr_count:     0
    .args:
      - .offset:         0
        .size:           96
        .value_kind:     by_value
    .group_segment_fixed_size: 0
    .kernarg_segment_align: 8
    .kernarg_segment_size: 96
    .language:       OpenCL C
    .language_version:
      - 2
      - 0
    .max_flat_workgroup_size: 256
    .name:           _ZN7rocprim17ROCPRIM_400000_NS6detail17trampoline_kernelINS0_14default_configENS1_20scan_config_selectorIsEEZZNS1_9scan_implILNS1_25lookback_scan_determinismE0ELb1ELb1ES3_N6thrust23THRUST_200600_302600_NS6detail15normal_iteratorINS9_10device_ptrIsEEEESE_sNS9_4plusIsEEsEEDaPvRmT3_T4_T5_mT6_P12ihipStream_tbENKUlT_T0_E_clISt17integral_constantIbLb1EEST_IbLb0EEEEDaSP_SQ_EUlSP_E_NS1_11comp_targetILNS1_3genE10ELNS1_11target_archE1201ELNS1_3gpuE5ELNS1_3repE0EEENS1_30default_config_static_selectorELNS0_4arch9wavefront6targetE1EEEvT1_
    .private_segment_fixed_size: 0
    .sgpr_count:     4
    .sgpr_spill_count: 0
    .symbol:         _ZN7rocprim17ROCPRIM_400000_NS6detail17trampoline_kernelINS0_14default_configENS1_20scan_config_selectorIsEEZZNS1_9scan_implILNS1_25lookback_scan_determinismE0ELb1ELb1ES3_N6thrust23THRUST_200600_302600_NS6detail15normal_iteratorINS9_10device_ptrIsEEEESE_sNS9_4plusIsEEsEEDaPvRmT3_T4_T5_mT6_P12ihipStream_tbENKUlT_T0_E_clISt17integral_constantIbLb1EEST_IbLb0EEEEDaSP_SQ_EUlSP_E_NS1_11comp_targetILNS1_3genE10ELNS1_11target_archE1201ELNS1_3gpuE5ELNS1_3repE0EEENS1_30default_config_static_selectorELNS0_4arch9wavefront6targetE1EEEvT1_.kd
    .uniform_work_group_size: 1
    .uses_dynamic_stack: false
    .vgpr_count:     0
    .vgpr_spill_count: 0
    .wavefront_size: 64
  - .agpr_count:     0
    .args:
      - .offset:         0
        .size:           96
        .value_kind:     by_value
    .group_segment_fixed_size: 0
    .kernarg_segment_align: 8
    .kernarg_segment_size: 96
    .language:       OpenCL C
    .language_version:
      - 2
      - 0
    .max_flat_workgroup_size: 256
    .name:           _ZN7rocprim17ROCPRIM_400000_NS6detail17trampoline_kernelINS0_14default_configENS1_20scan_config_selectorIsEEZZNS1_9scan_implILNS1_25lookback_scan_determinismE0ELb1ELb1ES3_N6thrust23THRUST_200600_302600_NS6detail15normal_iteratorINS9_10device_ptrIsEEEESE_sNS9_4plusIsEEsEEDaPvRmT3_T4_T5_mT6_P12ihipStream_tbENKUlT_T0_E_clISt17integral_constantIbLb1EEST_IbLb0EEEEDaSP_SQ_EUlSP_E_NS1_11comp_targetILNS1_3genE10ELNS1_11target_archE1200ELNS1_3gpuE4ELNS1_3repE0EEENS1_30default_config_static_selectorELNS0_4arch9wavefront6targetE1EEEvT1_
    .private_segment_fixed_size: 0
    .sgpr_count:     4
    .sgpr_spill_count: 0
    .symbol:         _ZN7rocprim17ROCPRIM_400000_NS6detail17trampoline_kernelINS0_14default_configENS1_20scan_config_selectorIsEEZZNS1_9scan_implILNS1_25lookback_scan_determinismE0ELb1ELb1ES3_N6thrust23THRUST_200600_302600_NS6detail15normal_iteratorINS9_10device_ptrIsEEEESE_sNS9_4plusIsEEsEEDaPvRmT3_T4_T5_mT6_P12ihipStream_tbENKUlT_T0_E_clISt17integral_constantIbLb1EEST_IbLb0EEEEDaSP_SQ_EUlSP_E_NS1_11comp_targetILNS1_3genE10ELNS1_11target_archE1200ELNS1_3gpuE4ELNS1_3repE0EEENS1_30default_config_static_selectorELNS0_4arch9wavefront6targetE1EEEvT1_.kd
    .uniform_work_group_size: 1
    .uses_dynamic_stack: false
    .vgpr_count:     0
    .vgpr_spill_count: 0
    .wavefront_size: 64
  - .agpr_count:     0
    .args:
      - .offset:         0
        .size:           96
        .value_kind:     by_value
    .group_segment_fixed_size: 0
    .kernarg_segment_align: 8
    .kernarg_segment_size: 96
    .language:       OpenCL C
    .language_version:
      - 2
      - 0
    .max_flat_workgroup_size: 64
    .name:           _ZN7rocprim17ROCPRIM_400000_NS6detail17trampoline_kernelINS0_14default_configENS1_20scan_config_selectorIsEEZZNS1_9scan_implILNS1_25lookback_scan_determinismE0ELb1ELb1ES3_N6thrust23THRUST_200600_302600_NS6detail15normal_iteratorINS9_10device_ptrIsEEEESE_sNS9_4plusIsEEsEEDaPvRmT3_T4_T5_mT6_P12ihipStream_tbENKUlT_T0_E_clISt17integral_constantIbLb1EEST_IbLb0EEEEDaSP_SQ_EUlSP_E_NS1_11comp_targetILNS1_3genE9ELNS1_11target_archE1100ELNS1_3gpuE3ELNS1_3repE0EEENS1_30default_config_static_selectorELNS0_4arch9wavefront6targetE1EEEvT1_
    .private_segment_fixed_size: 0
    .sgpr_count:     4
    .sgpr_spill_count: 0
    .symbol:         _ZN7rocprim17ROCPRIM_400000_NS6detail17trampoline_kernelINS0_14default_configENS1_20scan_config_selectorIsEEZZNS1_9scan_implILNS1_25lookback_scan_determinismE0ELb1ELb1ES3_N6thrust23THRUST_200600_302600_NS6detail15normal_iteratorINS9_10device_ptrIsEEEESE_sNS9_4plusIsEEsEEDaPvRmT3_T4_T5_mT6_P12ihipStream_tbENKUlT_T0_E_clISt17integral_constantIbLb1EEST_IbLb0EEEEDaSP_SQ_EUlSP_E_NS1_11comp_targetILNS1_3genE9ELNS1_11target_archE1100ELNS1_3gpuE3ELNS1_3repE0EEENS1_30default_config_static_selectorELNS0_4arch9wavefront6targetE1EEEvT1_.kd
    .uniform_work_group_size: 1
    .uses_dynamic_stack: false
    .vgpr_count:     0
    .vgpr_spill_count: 0
    .wavefront_size: 64
  - .agpr_count:     0
    .args:
      - .offset:         0
        .size:           96
        .value_kind:     by_value
    .group_segment_fixed_size: 0
    .kernarg_segment_align: 8
    .kernarg_segment_size: 96
    .language:       OpenCL C
    .language_version:
      - 2
      - 0
    .max_flat_workgroup_size: 64
    .name:           _ZN7rocprim17ROCPRIM_400000_NS6detail17trampoline_kernelINS0_14default_configENS1_20scan_config_selectorIsEEZZNS1_9scan_implILNS1_25lookback_scan_determinismE0ELb1ELb1ES3_N6thrust23THRUST_200600_302600_NS6detail15normal_iteratorINS9_10device_ptrIsEEEESE_sNS9_4plusIsEEsEEDaPvRmT3_T4_T5_mT6_P12ihipStream_tbENKUlT_T0_E_clISt17integral_constantIbLb1EEST_IbLb0EEEEDaSP_SQ_EUlSP_E_NS1_11comp_targetILNS1_3genE8ELNS1_11target_archE1030ELNS1_3gpuE2ELNS1_3repE0EEENS1_30default_config_static_selectorELNS0_4arch9wavefront6targetE1EEEvT1_
    .private_segment_fixed_size: 0
    .sgpr_count:     4
    .sgpr_spill_count: 0
    .symbol:         _ZN7rocprim17ROCPRIM_400000_NS6detail17trampoline_kernelINS0_14default_configENS1_20scan_config_selectorIsEEZZNS1_9scan_implILNS1_25lookback_scan_determinismE0ELb1ELb1ES3_N6thrust23THRUST_200600_302600_NS6detail15normal_iteratorINS9_10device_ptrIsEEEESE_sNS9_4plusIsEEsEEDaPvRmT3_T4_T5_mT6_P12ihipStream_tbENKUlT_T0_E_clISt17integral_constantIbLb1EEST_IbLb0EEEEDaSP_SQ_EUlSP_E_NS1_11comp_targetILNS1_3genE8ELNS1_11target_archE1030ELNS1_3gpuE2ELNS1_3repE0EEENS1_30default_config_static_selectorELNS0_4arch9wavefront6targetE1EEEvT1_.kd
    .uniform_work_group_size: 1
    .uses_dynamic_stack: false
    .vgpr_count:     0
    .vgpr_spill_count: 0
    .wavefront_size: 64
  - .agpr_count:     0
    .args:
      - .offset:         0
        .size:           32
        .value_kind:     by_value
    .group_segment_fixed_size: 0
    .kernarg_segment_align: 8
    .kernarg_segment_size: 32
    .language:       OpenCL C
    .language_version:
      - 2
      - 0
    .max_flat_workgroup_size: 128
    .name:           _ZN7rocprim17ROCPRIM_400000_NS6detail17trampoline_kernelINS0_14default_configENS1_20scan_config_selectorIsEEZZNS1_9scan_implILNS1_25lookback_scan_determinismE0ELb1ELb1ES3_N6thrust23THRUST_200600_302600_NS6detail15normal_iteratorINS9_10device_ptrIsEEEESE_sNS9_4plusIsEEsEEDaPvRmT3_T4_T5_mT6_P12ihipStream_tbENKUlT_T0_E_clISt17integral_constantIbLb1EEST_IbLb0EEEEDaSP_SQ_EUlSP_E0_NS1_11comp_targetILNS1_3genE0ELNS1_11target_archE4294967295ELNS1_3gpuE0ELNS1_3repE0EEENS1_30default_config_static_selectorELNS0_4arch9wavefront6targetE1EEEvT1_
    .private_segment_fixed_size: 0
    .sgpr_count:     4
    .sgpr_spill_count: 0
    .symbol:         _ZN7rocprim17ROCPRIM_400000_NS6detail17trampoline_kernelINS0_14default_configENS1_20scan_config_selectorIsEEZZNS1_9scan_implILNS1_25lookback_scan_determinismE0ELb1ELb1ES3_N6thrust23THRUST_200600_302600_NS6detail15normal_iteratorINS9_10device_ptrIsEEEESE_sNS9_4plusIsEEsEEDaPvRmT3_T4_T5_mT6_P12ihipStream_tbENKUlT_T0_E_clISt17integral_constantIbLb1EEST_IbLb0EEEEDaSP_SQ_EUlSP_E0_NS1_11comp_targetILNS1_3genE0ELNS1_11target_archE4294967295ELNS1_3gpuE0ELNS1_3repE0EEENS1_30default_config_static_selectorELNS0_4arch9wavefront6targetE1EEEvT1_.kd
    .uniform_work_group_size: 1
    .uses_dynamic_stack: false
    .vgpr_count:     0
    .vgpr_spill_count: 0
    .wavefront_size: 64
  - .agpr_count:     0
    .args:
      - .offset:         0
        .size:           32
        .value_kind:     by_value
    .group_segment_fixed_size: 0
    .kernarg_segment_align: 8
    .kernarg_segment_size: 32
    .language:       OpenCL C
    .language_version:
      - 2
      - 0
    .max_flat_workgroup_size: 256
    .name:           _ZN7rocprim17ROCPRIM_400000_NS6detail17trampoline_kernelINS0_14default_configENS1_20scan_config_selectorIsEEZZNS1_9scan_implILNS1_25lookback_scan_determinismE0ELb1ELb1ES3_N6thrust23THRUST_200600_302600_NS6detail15normal_iteratorINS9_10device_ptrIsEEEESE_sNS9_4plusIsEEsEEDaPvRmT3_T4_T5_mT6_P12ihipStream_tbENKUlT_T0_E_clISt17integral_constantIbLb1EEST_IbLb0EEEEDaSP_SQ_EUlSP_E0_NS1_11comp_targetILNS1_3genE5ELNS1_11target_archE942ELNS1_3gpuE9ELNS1_3repE0EEENS1_30default_config_static_selectorELNS0_4arch9wavefront6targetE1EEEvT1_
    .private_segment_fixed_size: 0
    .sgpr_count:     4
    .sgpr_spill_count: 0
    .symbol:         _ZN7rocprim17ROCPRIM_400000_NS6detail17trampoline_kernelINS0_14default_configENS1_20scan_config_selectorIsEEZZNS1_9scan_implILNS1_25lookback_scan_determinismE0ELb1ELb1ES3_N6thrust23THRUST_200600_302600_NS6detail15normal_iteratorINS9_10device_ptrIsEEEESE_sNS9_4plusIsEEsEEDaPvRmT3_T4_T5_mT6_P12ihipStream_tbENKUlT_T0_E_clISt17integral_constantIbLb1EEST_IbLb0EEEEDaSP_SQ_EUlSP_E0_NS1_11comp_targetILNS1_3genE5ELNS1_11target_archE942ELNS1_3gpuE9ELNS1_3repE0EEENS1_30default_config_static_selectorELNS0_4arch9wavefront6targetE1EEEvT1_.kd
    .uniform_work_group_size: 1
    .uses_dynamic_stack: false
    .vgpr_count:     0
    .vgpr_spill_count: 0
    .wavefront_size: 64
  - .agpr_count:     0
    .args:
      - .offset:         0
        .size:           32
        .value_kind:     by_value
    .group_segment_fixed_size: 3072
    .kernarg_segment_align: 8
    .kernarg_segment_size: 32
    .language:       OpenCL C
    .language_version:
      - 2
      - 0
    .max_flat_workgroup_size: 64
    .name:           _ZN7rocprim17ROCPRIM_400000_NS6detail17trampoline_kernelINS0_14default_configENS1_20scan_config_selectorIsEEZZNS1_9scan_implILNS1_25lookback_scan_determinismE0ELb1ELb1ES3_N6thrust23THRUST_200600_302600_NS6detail15normal_iteratorINS9_10device_ptrIsEEEESE_sNS9_4plusIsEEsEEDaPvRmT3_T4_T5_mT6_P12ihipStream_tbENKUlT_T0_E_clISt17integral_constantIbLb1EEST_IbLb0EEEEDaSP_SQ_EUlSP_E0_NS1_11comp_targetILNS1_3genE4ELNS1_11target_archE910ELNS1_3gpuE8ELNS1_3repE0EEENS1_30default_config_static_selectorELNS0_4arch9wavefront6targetE1EEEvT1_
    .private_segment_fixed_size: 0
    .sgpr_count:     60
    .sgpr_spill_count: 0
    .symbol:         _ZN7rocprim17ROCPRIM_400000_NS6detail17trampoline_kernelINS0_14default_configENS1_20scan_config_selectorIsEEZZNS1_9scan_implILNS1_25lookback_scan_determinismE0ELb1ELb1ES3_N6thrust23THRUST_200600_302600_NS6detail15normal_iteratorINS9_10device_ptrIsEEEESE_sNS9_4plusIsEEsEEDaPvRmT3_T4_T5_mT6_P12ihipStream_tbENKUlT_T0_E_clISt17integral_constantIbLb1EEST_IbLb0EEEEDaSP_SQ_EUlSP_E0_NS1_11comp_targetILNS1_3genE4ELNS1_11target_archE910ELNS1_3gpuE8ELNS1_3repE0EEENS1_30default_config_static_selectorELNS0_4arch9wavefront6targetE1EEEvT1_.kd
    .uniform_work_group_size: 1
    .uses_dynamic_stack: false
    .vgpr_count:     32
    .vgpr_spill_count: 0
    .wavefront_size: 64
  - .agpr_count:     0
    .args:
      - .offset:         0
        .size:           32
        .value_kind:     by_value
    .group_segment_fixed_size: 0
    .kernarg_segment_align: 8
    .kernarg_segment_size: 32
    .language:       OpenCL C
    .language_version:
      - 2
      - 0
    .max_flat_workgroup_size: 128
    .name:           _ZN7rocprim17ROCPRIM_400000_NS6detail17trampoline_kernelINS0_14default_configENS1_20scan_config_selectorIsEEZZNS1_9scan_implILNS1_25lookback_scan_determinismE0ELb1ELb1ES3_N6thrust23THRUST_200600_302600_NS6detail15normal_iteratorINS9_10device_ptrIsEEEESE_sNS9_4plusIsEEsEEDaPvRmT3_T4_T5_mT6_P12ihipStream_tbENKUlT_T0_E_clISt17integral_constantIbLb1EEST_IbLb0EEEEDaSP_SQ_EUlSP_E0_NS1_11comp_targetILNS1_3genE3ELNS1_11target_archE908ELNS1_3gpuE7ELNS1_3repE0EEENS1_30default_config_static_selectorELNS0_4arch9wavefront6targetE1EEEvT1_
    .private_segment_fixed_size: 0
    .sgpr_count:     4
    .sgpr_spill_count: 0
    .symbol:         _ZN7rocprim17ROCPRIM_400000_NS6detail17trampoline_kernelINS0_14default_configENS1_20scan_config_selectorIsEEZZNS1_9scan_implILNS1_25lookback_scan_determinismE0ELb1ELb1ES3_N6thrust23THRUST_200600_302600_NS6detail15normal_iteratorINS9_10device_ptrIsEEEESE_sNS9_4plusIsEEsEEDaPvRmT3_T4_T5_mT6_P12ihipStream_tbENKUlT_T0_E_clISt17integral_constantIbLb1EEST_IbLb0EEEEDaSP_SQ_EUlSP_E0_NS1_11comp_targetILNS1_3genE3ELNS1_11target_archE908ELNS1_3gpuE7ELNS1_3repE0EEENS1_30default_config_static_selectorELNS0_4arch9wavefront6targetE1EEEvT1_.kd
    .uniform_work_group_size: 1
    .uses_dynamic_stack: false
    .vgpr_count:     0
    .vgpr_spill_count: 0
    .wavefront_size: 64
  - .agpr_count:     0
    .args:
      - .offset:         0
        .size:           32
        .value_kind:     by_value
    .group_segment_fixed_size: 0
    .kernarg_segment_align: 8
    .kernarg_segment_size: 32
    .language:       OpenCL C
    .language_version:
      - 2
      - 0
    .max_flat_workgroup_size: 256
    .name:           _ZN7rocprim17ROCPRIM_400000_NS6detail17trampoline_kernelINS0_14default_configENS1_20scan_config_selectorIsEEZZNS1_9scan_implILNS1_25lookback_scan_determinismE0ELb1ELb1ES3_N6thrust23THRUST_200600_302600_NS6detail15normal_iteratorINS9_10device_ptrIsEEEESE_sNS9_4plusIsEEsEEDaPvRmT3_T4_T5_mT6_P12ihipStream_tbENKUlT_T0_E_clISt17integral_constantIbLb1EEST_IbLb0EEEEDaSP_SQ_EUlSP_E0_NS1_11comp_targetILNS1_3genE2ELNS1_11target_archE906ELNS1_3gpuE6ELNS1_3repE0EEENS1_30default_config_static_selectorELNS0_4arch9wavefront6targetE1EEEvT1_
    .private_segment_fixed_size: 0
    .sgpr_count:     4
    .sgpr_spill_count: 0
    .symbol:         _ZN7rocprim17ROCPRIM_400000_NS6detail17trampoline_kernelINS0_14default_configENS1_20scan_config_selectorIsEEZZNS1_9scan_implILNS1_25lookback_scan_determinismE0ELb1ELb1ES3_N6thrust23THRUST_200600_302600_NS6detail15normal_iteratorINS9_10device_ptrIsEEEESE_sNS9_4plusIsEEsEEDaPvRmT3_T4_T5_mT6_P12ihipStream_tbENKUlT_T0_E_clISt17integral_constantIbLb1EEST_IbLb0EEEEDaSP_SQ_EUlSP_E0_NS1_11comp_targetILNS1_3genE2ELNS1_11target_archE906ELNS1_3gpuE6ELNS1_3repE0EEENS1_30default_config_static_selectorELNS0_4arch9wavefront6targetE1EEEvT1_.kd
    .uniform_work_group_size: 1
    .uses_dynamic_stack: false
    .vgpr_count:     0
    .vgpr_spill_count: 0
    .wavefront_size: 64
  - .agpr_count:     0
    .args:
      - .offset:         0
        .size:           32
        .value_kind:     by_value
    .group_segment_fixed_size: 0
    .kernarg_segment_align: 8
    .kernarg_segment_size: 32
    .language:       OpenCL C
    .language_version:
      - 2
      - 0
    .max_flat_workgroup_size: 256
    .name:           _ZN7rocprim17ROCPRIM_400000_NS6detail17trampoline_kernelINS0_14default_configENS1_20scan_config_selectorIsEEZZNS1_9scan_implILNS1_25lookback_scan_determinismE0ELb1ELb1ES3_N6thrust23THRUST_200600_302600_NS6detail15normal_iteratorINS9_10device_ptrIsEEEESE_sNS9_4plusIsEEsEEDaPvRmT3_T4_T5_mT6_P12ihipStream_tbENKUlT_T0_E_clISt17integral_constantIbLb1EEST_IbLb0EEEEDaSP_SQ_EUlSP_E0_NS1_11comp_targetILNS1_3genE10ELNS1_11target_archE1201ELNS1_3gpuE5ELNS1_3repE0EEENS1_30default_config_static_selectorELNS0_4arch9wavefront6targetE1EEEvT1_
    .private_segment_fixed_size: 0
    .sgpr_count:     4
    .sgpr_spill_count: 0
    .symbol:         _ZN7rocprim17ROCPRIM_400000_NS6detail17trampoline_kernelINS0_14default_configENS1_20scan_config_selectorIsEEZZNS1_9scan_implILNS1_25lookback_scan_determinismE0ELb1ELb1ES3_N6thrust23THRUST_200600_302600_NS6detail15normal_iteratorINS9_10device_ptrIsEEEESE_sNS9_4plusIsEEsEEDaPvRmT3_T4_T5_mT6_P12ihipStream_tbENKUlT_T0_E_clISt17integral_constantIbLb1EEST_IbLb0EEEEDaSP_SQ_EUlSP_E0_NS1_11comp_targetILNS1_3genE10ELNS1_11target_archE1201ELNS1_3gpuE5ELNS1_3repE0EEENS1_30default_config_static_selectorELNS0_4arch9wavefront6targetE1EEEvT1_.kd
    .uniform_work_group_size: 1
    .uses_dynamic_stack: false
    .vgpr_count:     0
    .vgpr_spill_count: 0
    .wavefront_size: 64
  - .agpr_count:     0
    .args:
      - .offset:         0
        .size:           32
        .value_kind:     by_value
    .group_segment_fixed_size: 0
    .kernarg_segment_align: 8
    .kernarg_segment_size: 32
    .language:       OpenCL C
    .language_version:
      - 2
      - 0
    .max_flat_workgroup_size: 256
    .name:           _ZN7rocprim17ROCPRIM_400000_NS6detail17trampoline_kernelINS0_14default_configENS1_20scan_config_selectorIsEEZZNS1_9scan_implILNS1_25lookback_scan_determinismE0ELb1ELb1ES3_N6thrust23THRUST_200600_302600_NS6detail15normal_iteratorINS9_10device_ptrIsEEEESE_sNS9_4plusIsEEsEEDaPvRmT3_T4_T5_mT6_P12ihipStream_tbENKUlT_T0_E_clISt17integral_constantIbLb1EEST_IbLb0EEEEDaSP_SQ_EUlSP_E0_NS1_11comp_targetILNS1_3genE10ELNS1_11target_archE1200ELNS1_3gpuE4ELNS1_3repE0EEENS1_30default_config_static_selectorELNS0_4arch9wavefront6targetE1EEEvT1_
    .private_segment_fixed_size: 0
    .sgpr_count:     4
    .sgpr_spill_count: 0
    .symbol:         _ZN7rocprim17ROCPRIM_400000_NS6detail17trampoline_kernelINS0_14default_configENS1_20scan_config_selectorIsEEZZNS1_9scan_implILNS1_25lookback_scan_determinismE0ELb1ELb1ES3_N6thrust23THRUST_200600_302600_NS6detail15normal_iteratorINS9_10device_ptrIsEEEESE_sNS9_4plusIsEEsEEDaPvRmT3_T4_T5_mT6_P12ihipStream_tbENKUlT_T0_E_clISt17integral_constantIbLb1EEST_IbLb0EEEEDaSP_SQ_EUlSP_E0_NS1_11comp_targetILNS1_3genE10ELNS1_11target_archE1200ELNS1_3gpuE4ELNS1_3repE0EEENS1_30default_config_static_selectorELNS0_4arch9wavefront6targetE1EEEvT1_.kd
    .uniform_work_group_size: 1
    .uses_dynamic_stack: false
    .vgpr_count:     0
    .vgpr_spill_count: 0
    .wavefront_size: 64
  - .agpr_count:     0
    .args:
      - .offset:         0
        .size:           32
        .value_kind:     by_value
    .group_segment_fixed_size: 0
    .kernarg_segment_align: 8
    .kernarg_segment_size: 32
    .language:       OpenCL C
    .language_version:
      - 2
      - 0
    .max_flat_workgroup_size: 64
    .name:           _ZN7rocprim17ROCPRIM_400000_NS6detail17trampoline_kernelINS0_14default_configENS1_20scan_config_selectorIsEEZZNS1_9scan_implILNS1_25lookback_scan_determinismE0ELb1ELb1ES3_N6thrust23THRUST_200600_302600_NS6detail15normal_iteratorINS9_10device_ptrIsEEEESE_sNS9_4plusIsEEsEEDaPvRmT3_T4_T5_mT6_P12ihipStream_tbENKUlT_T0_E_clISt17integral_constantIbLb1EEST_IbLb0EEEEDaSP_SQ_EUlSP_E0_NS1_11comp_targetILNS1_3genE9ELNS1_11target_archE1100ELNS1_3gpuE3ELNS1_3repE0EEENS1_30default_config_static_selectorELNS0_4arch9wavefront6targetE1EEEvT1_
    .private_segment_fixed_size: 0
    .sgpr_count:     4
    .sgpr_spill_count: 0
    .symbol:         _ZN7rocprim17ROCPRIM_400000_NS6detail17trampoline_kernelINS0_14default_configENS1_20scan_config_selectorIsEEZZNS1_9scan_implILNS1_25lookback_scan_determinismE0ELb1ELb1ES3_N6thrust23THRUST_200600_302600_NS6detail15normal_iteratorINS9_10device_ptrIsEEEESE_sNS9_4plusIsEEsEEDaPvRmT3_T4_T5_mT6_P12ihipStream_tbENKUlT_T0_E_clISt17integral_constantIbLb1EEST_IbLb0EEEEDaSP_SQ_EUlSP_E0_NS1_11comp_targetILNS1_3genE9ELNS1_11target_archE1100ELNS1_3gpuE3ELNS1_3repE0EEENS1_30default_config_static_selectorELNS0_4arch9wavefront6targetE1EEEvT1_.kd
    .uniform_work_group_size: 1
    .uses_dynamic_stack: false
    .vgpr_count:     0
    .vgpr_spill_count: 0
    .wavefront_size: 64
  - .agpr_count:     0
    .args:
      - .offset:         0
        .size:           32
        .value_kind:     by_value
    .group_segment_fixed_size: 0
    .kernarg_segment_align: 8
    .kernarg_segment_size: 32
    .language:       OpenCL C
    .language_version:
      - 2
      - 0
    .max_flat_workgroup_size: 64
    .name:           _ZN7rocprim17ROCPRIM_400000_NS6detail17trampoline_kernelINS0_14default_configENS1_20scan_config_selectorIsEEZZNS1_9scan_implILNS1_25lookback_scan_determinismE0ELb1ELb1ES3_N6thrust23THRUST_200600_302600_NS6detail15normal_iteratorINS9_10device_ptrIsEEEESE_sNS9_4plusIsEEsEEDaPvRmT3_T4_T5_mT6_P12ihipStream_tbENKUlT_T0_E_clISt17integral_constantIbLb1EEST_IbLb0EEEEDaSP_SQ_EUlSP_E0_NS1_11comp_targetILNS1_3genE8ELNS1_11target_archE1030ELNS1_3gpuE2ELNS1_3repE0EEENS1_30default_config_static_selectorELNS0_4arch9wavefront6targetE1EEEvT1_
    .private_segment_fixed_size: 0
    .sgpr_count:     4
    .sgpr_spill_count: 0
    .symbol:         _ZN7rocprim17ROCPRIM_400000_NS6detail17trampoline_kernelINS0_14default_configENS1_20scan_config_selectorIsEEZZNS1_9scan_implILNS1_25lookback_scan_determinismE0ELb1ELb1ES3_N6thrust23THRUST_200600_302600_NS6detail15normal_iteratorINS9_10device_ptrIsEEEESE_sNS9_4plusIsEEsEEDaPvRmT3_T4_T5_mT6_P12ihipStream_tbENKUlT_T0_E_clISt17integral_constantIbLb1EEST_IbLb0EEEEDaSP_SQ_EUlSP_E0_NS1_11comp_targetILNS1_3genE8ELNS1_11target_archE1030ELNS1_3gpuE2ELNS1_3repE0EEENS1_30default_config_static_selectorELNS0_4arch9wavefront6targetE1EEEvT1_.kd
    .uniform_work_group_size: 1
    .uses_dynamic_stack: false
    .vgpr_count:     0
    .vgpr_spill_count: 0
    .wavefront_size: 64
  - .agpr_count:     0
    .args:
      - .offset:         0
        .size:           96
        .value_kind:     by_value
    .group_segment_fixed_size: 0
    .kernarg_segment_align: 8
    .kernarg_segment_size: 96
    .language:       OpenCL C
    .language_version:
      - 2
      - 0
    .max_flat_workgroup_size: 128
    .name:           _ZN7rocprim17ROCPRIM_400000_NS6detail17trampoline_kernelINS0_14default_configENS1_20scan_config_selectorIsEEZZNS1_9scan_implILNS1_25lookback_scan_determinismE0ELb1ELb1ES3_N6thrust23THRUST_200600_302600_NS6detail15normal_iteratorINS9_10device_ptrIsEEEESE_sNS9_4plusIsEEsEEDaPvRmT3_T4_T5_mT6_P12ihipStream_tbENKUlT_T0_E_clISt17integral_constantIbLb0EEST_IbLb1EEEEDaSP_SQ_EUlSP_E_NS1_11comp_targetILNS1_3genE0ELNS1_11target_archE4294967295ELNS1_3gpuE0ELNS1_3repE0EEENS1_30default_config_static_selectorELNS0_4arch9wavefront6targetE1EEEvT1_
    .private_segment_fixed_size: 0
    .sgpr_count:     4
    .sgpr_spill_count: 0
    .symbol:         _ZN7rocprim17ROCPRIM_400000_NS6detail17trampoline_kernelINS0_14default_configENS1_20scan_config_selectorIsEEZZNS1_9scan_implILNS1_25lookback_scan_determinismE0ELb1ELb1ES3_N6thrust23THRUST_200600_302600_NS6detail15normal_iteratorINS9_10device_ptrIsEEEESE_sNS9_4plusIsEEsEEDaPvRmT3_T4_T5_mT6_P12ihipStream_tbENKUlT_T0_E_clISt17integral_constantIbLb0EEST_IbLb1EEEEDaSP_SQ_EUlSP_E_NS1_11comp_targetILNS1_3genE0ELNS1_11target_archE4294967295ELNS1_3gpuE0ELNS1_3repE0EEENS1_30default_config_static_selectorELNS0_4arch9wavefront6targetE1EEEvT1_.kd
    .uniform_work_group_size: 1
    .uses_dynamic_stack: false
    .vgpr_count:     0
    .vgpr_spill_count: 0
    .wavefront_size: 64
  - .agpr_count:     0
    .args:
      - .offset:         0
        .size:           96
        .value_kind:     by_value
    .group_segment_fixed_size: 0
    .kernarg_segment_align: 8
    .kernarg_segment_size: 96
    .language:       OpenCL C
    .language_version:
      - 2
      - 0
    .max_flat_workgroup_size: 256
    .name:           _ZN7rocprim17ROCPRIM_400000_NS6detail17trampoline_kernelINS0_14default_configENS1_20scan_config_selectorIsEEZZNS1_9scan_implILNS1_25lookback_scan_determinismE0ELb1ELb1ES3_N6thrust23THRUST_200600_302600_NS6detail15normal_iteratorINS9_10device_ptrIsEEEESE_sNS9_4plusIsEEsEEDaPvRmT3_T4_T5_mT6_P12ihipStream_tbENKUlT_T0_E_clISt17integral_constantIbLb0EEST_IbLb1EEEEDaSP_SQ_EUlSP_E_NS1_11comp_targetILNS1_3genE5ELNS1_11target_archE942ELNS1_3gpuE9ELNS1_3repE0EEENS1_30default_config_static_selectorELNS0_4arch9wavefront6targetE1EEEvT1_
    .private_segment_fixed_size: 0
    .sgpr_count:     4
    .sgpr_spill_count: 0
    .symbol:         _ZN7rocprim17ROCPRIM_400000_NS6detail17trampoline_kernelINS0_14default_configENS1_20scan_config_selectorIsEEZZNS1_9scan_implILNS1_25lookback_scan_determinismE0ELb1ELb1ES3_N6thrust23THRUST_200600_302600_NS6detail15normal_iteratorINS9_10device_ptrIsEEEESE_sNS9_4plusIsEEsEEDaPvRmT3_T4_T5_mT6_P12ihipStream_tbENKUlT_T0_E_clISt17integral_constantIbLb0EEST_IbLb1EEEEDaSP_SQ_EUlSP_E_NS1_11comp_targetILNS1_3genE5ELNS1_11target_archE942ELNS1_3gpuE9ELNS1_3repE0EEENS1_30default_config_static_selectorELNS0_4arch9wavefront6targetE1EEEvT1_.kd
    .uniform_work_group_size: 1
    .uses_dynamic_stack: false
    .vgpr_count:     0
    .vgpr_spill_count: 0
    .wavefront_size: 64
  - .agpr_count:     0
    .args:
      - .offset:         0
        .size:           96
        .value_kind:     by_value
    .group_segment_fixed_size: 3072
    .kernarg_segment_align: 8
    .kernarg_segment_size: 96
    .language:       OpenCL C
    .language_version:
      - 2
      - 0
    .max_flat_workgroup_size: 64
    .name:           _ZN7rocprim17ROCPRIM_400000_NS6detail17trampoline_kernelINS0_14default_configENS1_20scan_config_selectorIsEEZZNS1_9scan_implILNS1_25lookback_scan_determinismE0ELb1ELb1ES3_N6thrust23THRUST_200600_302600_NS6detail15normal_iteratorINS9_10device_ptrIsEEEESE_sNS9_4plusIsEEsEEDaPvRmT3_T4_T5_mT6_P12ihipStream_tbENKUlT_T0_E_clISt17integral_constantIbLb0EEST_IbLb1EEEEDaSP_SQ_EUlSP_E_NS1_11comp_targetILNS1_3genE4ELNS1_11target_archE910ELNS1_3gpuE8ELNS1_3repE0EEENS1_30default_config_static_selectorELNS0_4arch9wavefront6targetE1EEEvT1_
    .private_segment_fixed_size: 0
    .sgpr_count:     42
    .sgpr_spill_count: 0
    .symbol:         _ZN7rocprim17ROCPRIM_400000_NS6detail17trampoline_kernelINS0_14default_configENS1_20scan_config_selectorIsEEZZNS1_9scan_implILNS1_25lookback_scan_determinismE0ELb1ELb1ES3_N6thrust23THRUST_200600_302600_NS6detail15normal_iteratorINS9_10device_ptrIsEEEESE_sNS9_4plusIsEEsEEDaPvRmT3_T4_T5_mT6_P12ihipStream_tbENKUlT_T0_E_clISt17integral_constantIbLb0EEST_IbLb1EEEEDaSP_SQ_EUlSP_E_NS1_11comp_targetILNS1_3genE4ELNS1_11target_archE910ELNS1_3gpuE8ELNS1_3repE0EEENS1_30default_config_static_selectorELNS0_4arch9wavefront6targetE1EEEvT1_.kd
    .uniform_work_group_size: 1
    .uses_dynamic_stack: false
    .vgpr_count:     54
    .vgpr_spill_count: 0
    .wavefront_size: 64
  - .agpr_count:     0
    .args:
      - .offset:         0
        .size:           96
        .value_kind:     by_value
    .group_segment_fixed_size: 0
    .kernarg_segment_align: 8
    .kernarg_segment_size: 96
    .language:       OpenCL C
    .language_version:
      - 2
      - 0
    .max_flat_workgroup_size: 128
    .name:           _ZN7rocprim17ROCPRIM_400000_NS6detail17trampoline_kernelINS0_14default_configENS1_20scan_config_selectorIsEEZZNS1_9scan_implILNS1_25lookback_scan_determinismE0ELb1ELb1ES3_N6thrust23THRUST_200600_302600_NS6detail15normal_iteratorINS9_10device_ptrIsEEEESE_sNS9_4plusIsEEsEEDaPvRmT3_T4_T5_mT6_P12ihipStream_tbENKUlT_T0_E_clISt17integral_constantIbLb0EEST_IbLb1EEEEDaSP_SQ_EUlSP_E_NS1_11comp_targetILNS1_3genE3ELNS1_11target_archE908ELNS1_3gpuE7ELNS1_3repE0EEENS1_30default_config_static_selectorELNS0_4arch9wavefront6targetE1EEEvT1_
    .private_segment_fixed_size: 0
    .sgpr_count:     4
    .sgpr_spill_count: 0
    .symbol:         _ZN7rocprim17ROCPRIM_400000_NS6detail17trampoline_kernelINS0_14default_configENS1_20scan_config_selectorIsEEZZNS1_9scan_implILNS1_25lookback_scan_determinismE0ELb1ELb1ES3_N6thrust23THRUST_200600_302600_NS6detail15normal_iteratorINS9_10device_ptrIsEEEESE_sNS9_4plusIsEEsEEDaPvRmT3_T4_T5_mT6_P12ihipStream_tbENKUlT_T0_E_clISt17integral_constantIbLb0EEST_IbLb1EEEEDaSP_SQ_EUlSP_E_NS1_11comp_targetILNS1_3genE3ELNS1_11target_archE908ELNS1_3gpuE7ELNS1_3repE0EEENS1_30default_config_static_selectorELNS0_4arch9wavefront6targetE1EEEvT1_.kd
    .uniform_work_group_size: 1
    .uses_dynamic_stack: false
    .vgpr_count:     0
    .vgpr_spill_count: 0
    .wavefront_size: 64
  - .agpr_count:     0
    .args:
      - .offset:         0
        .size:           96
        .value_kind:     by_value
    .group_segment_fixed_size: 0
    .kernarg_segment_align: 8
    .kernarg_segment_size: 96
    .language:       OpenCL C
    .language_version:
      - 2
      - 0
    .max_flat_workgroup_size: 256
    .name:           _ZN7rocprim17ROCPRIM_400000_NS6detail17trampoline_kernelINS0_14default_configENS1_20scan_config_selectorIsEEZZNS1_9scan_implILNS1_25lookback_scan_determinismE0ELb1ELb1ES3_N6thrust23THRUST_200600_302600_NS6detail15normal_iteratorINS9_10device_ptrIsEEEESE_sNS9_4plusIsEEsEEDaPvRmT3_T4_T5_mT6_P12ihipStream_tbENKUlT_T0_E_clISt17integral_constantIbLb0EEST_IbLb1EEEEDaSP_SQ_EUlSP_E_NS1_11comp_targetILNS1_3genE2ELNS1_11target_archE906ELNS1_3gpuE6ELNS1_3repE0EEENS1_30default_config_static_selectorELNS0_4arch9wavefront6targetE1EEEvT1_
    .private_segment_fixed_size: 0
    .sgpr_count:     4
    .sgpr_spill_count: 0
    .symbol:         _ZN7rocprim17ROCPRIM_400000_NS6detail17trampoline_kernelINS0_14default_configENS1_20scan_config_selectorIsEEZZNS1_9scan_implILNS1_25lookback_scan_determinismE0ELb1ELb1ES3_N6thrust23THRUST_200600_302600_NS6detail15normal_iteratorINS9_10device_ptrIsEEEESE_sNS9_4plusIsEEsEEDaPvRmT3_T4_T5_mT6_P12ihipStream_tbENKUlT_T0_E_clISt17integral_constantIbLb0EEST_IbLb1EEEEDaSP_SQ_EUlSP_E_NS1_11comp_targetILNS1_3genE2ELNS1_11target_archE906ELNS1_3gpuE6ELNS1_3repE0EEENS1_30default_config_static_selectorELNS0_4arch9wavefront6targetE1EEEvT1_.kd
    .uniform_work_group_size: 1
    .uses_dynamic_stack: false
    .vgpr_count:     0
    .vgpr_spill_count: 0
    .wavefront_size: 64
  - .agpr_count:     0
    .args:
      - .offset:         0
        .size:           96
        .value_kind:     by_value
    .group_segment_fixed_size: 0
    .kernarg_segment_align: 8
    .kernarg_segment_size: 96
    .language:       OpenCL C
    .language_version:
      - 2
      - 0
    .max_flat_workgroup_size: 256
    .name:           _ZN7rocprim17ROCPRIM_400000_NS6detail17trampoline_kernelINS0_14default_configENS1_20scan_config_selectorIsEEZZNS1_9scan_implILNS1_25lookback_scan_determinismE0ELb1ELb1ES3_N6thrust23THRUST_200600_302600_NS6detail15normal_iteratorINS9_10device_ptrIsEEEESE_sNS9_4plusIsEEsEEDaPvRmT3_T4_T5_mT6_P12ihipStream_tbENKUlT_T0_E_clISt17integral_constantIbLb0EEST_IbLb1EEEEDaSP_SQ_EUlSP_E_NS1_11comp_targetILNS1_3genE10ELNS1_11target_archE1201ELNS1_3gpuE5ELNS1_3repE0EEENS1_30default_config_static_selectorELNS0_4arch9wavefront6targetE1EEEvT1_
    .private_segment_fixed_size: 0
    .sgpr_count:     4
    .sgpr_spill_count: 0
    .symbol:         _ZN7rocprim17ROCPRIM_400000_NS6detail17trampoline_kernelINS0_14default_configENS1_20scan_config_selectorIsEEZZNS1_9scan_implILNS1_25lookback_scan_determinismE0ELb1ELb1ES3_N6thrust23THRUST_200600_302600_NS6detail15normal_iteratorINS9_10device_ptrIsEEEESE_sNS9_4plusIsEEsEEDaPvRmT3_T4_T5_mT6_P12ihipStream_tbENKUlT_T0_E_clISt17integral_constantIbLb0EEST_IbLb1EEEEDaSP_SQ_EUlSP_E_NS1_11comp_targetILNS1_3genE10ELNS1_11target_archE1201ELNS1_3gpuE5ELNS1_3repE0EEENS1_30default_config_static_selectorELNS0_4arch9wavefront6targetE1EEEvT1_.kd
    .uniform_work_group_size: 1
    .uses_dynamic_stack: false
    .vgpr_count:     0
    .vgpr_spill_count: 0
    .wavefront_size: 64
  - .agpr_count:     0
    .args:
      - .offset:         0
        .size:           96
        .value_kind:     by_value
    .group_segment_fixed_size: 0
    .kernarg_segment_align: 8
    .kernarg_segment_size: 96
    .language:       OpenCL C
    .language_version:
      - 2
      - 0
    .max_flat_workgroup_size: 256
    .name:           _ZN7rocprim17ROCPRIM_400000_NS6detail17trampoline_kernelINS0_14default_configENS1_20scan_config_selectorIsEEZZNS1_9scan_implILNS1_25lookback_scan_determinismE0ELb1ELb1ES3_N6thrust23THRUST_200600_302600_NS6detail15normal_iteratorINS9_10device_ptrIsEEEESE_sNS9_4plusIsEEsEEDaPvRmT3_T4_T5_mT6_P12ihipStream_tbENKUlT_T0_E_clISt17integral_constantIbLb0EEST_IbLb1EEEEDaSP_SQ_EUlSP_E_NS1_11comp_targetILNS1_3genE10ELNS1_11target_archE1200ELNS1_3gpuE4ELNS1_3repE0EEENS1_30default_config_static_selectorELNS0_4arch9wavefront6targetE1EEEvT1_
    .private_segment_fixed_size: 0
    .sgpr_count:     4
    .sgpr_spill_count: 0
    .symbol:         _ZN7rocprim17ROCPRIM_400000_NS6detail17trampoline_kernelINS0_14default_configENS1_20scan_config_selectorIsEEZZNS1_9scan_implILNS1_25lookback_scan_determinismE0ELb1ELb1ES3_N6thrust23THRUST_200600_302600_NS6detail15normal_iteratorINS9_10device_ptrIsEEEESE_sNS9_4plusIsEEsEEDaPvRmT3_T4_T5_mT6_P12ihipStream_tbENKUlT_T0_E_clISt17integral_constantIbLb0EEST_IbLb1EEEEDaSP_SQ_EUlSP_E_NS1_11comp_targetILNS1_3genE10ELNS1_11target_archE1200ELNS1_3gpuE4ELNS1_3repE0EEENS1_30default_config_static_selectorELNS0_4arch9wavefront6targetE1EEEvT1_.kd
    .uniform_work_group_size: 1
    .uses_dynamic_stack: false
    .vgpr_count:     0
    .vgpr_spill_count: 0
    .wavefront_size: 64
  - .agpr_count:     0
    .args:
      - .offset:         0
        .size:           96
        .value_kind:     by_value
    .group_segment_fixed_size: 0
    .kernarg_segment_align: 8
    .kernarg_segment_size: 96
    .language:       OpenCL C
    .language_version:
      - 2
      - 0
    .max_flat_workgroup_size: 64
    .name:           _ZN7rocprim17ROCPRIM_400000_NS6detail17trampoline_kernelINS0_14default_configENS1_20scan_config_selectorIsEEZZNS1_9scan_implILNS1_25lookback_scan_determinismE0ELb1ELb1ES3_N6thrust23THRUST_200600_302600_NS6detail15normal_iteratorINS9_10device_ptrIsEEEESE_sNS9_4plusIsEEsEEDaPvRmT3_T4_T5_mT6_P12ihipStream_tbENKUlT_T0_E_clISt17integral_constantIbLb0EEST_IbLb1EEEEDaSP_SQ_EUlSP_E_NS1_11comp_targetILNS1_3genE9ELNS1_11target_archE1100ELNS1_3gpuE3ELNS1_3repE0EEENS1_30default_config_static_selectorELNS0_4arch9wavefront6targetE1EEEvT1_
    .private_segment_fixed_size: 0
    .sgpr_count:     4
    .sgpr_spill_count: 0
    .symbol:         _ZN7rocprim17ROCPRIM_400000_NS6detail17trampoline_kernelINS0_14default_configENS1_20scan_config_selectorIsEEZZNS1_9scan_implILNS1_25lookback_scan_determinismE0ELb1ELb1ES3_N6thrust23THRUST_200600_302600_NS6detail15normal_iteratorINS9_10device_ptrIsEEEESE_sNS9_4plusIsEEsEEDaPvRmT3_T4_T5_mT6_P12ihipStream_tbENKUlT_T0_E_clISt17integral_constantIbLb0EEST_IbLb1EEEEDaSP_SQ_EUlSP_E_NS1_11comp_targetILNS1_3genE9ELNS1_11target_archE1100ELNS1_3gpuE3ELNS1_3repE0EEENS1_30default_config_static_selectorELNS0_4arch9wavefront6targetE1EEEvT1_.kd
    .uniform_work_group_size: 1
    .uses_dynamic_stack: false
    .vgpr_count:     0
    .vgpr_spill_count: 0
    .wavefront_size: 64
  - .agpr_count:     0
    .args:
      - .offset:         0
        .size:           96
        .value_kind:     by_value
    .group_segment_fixed_size: 0
    .kernarg_segment_align: 8
    .kernarg_segment_size: 96
    .language:       OpenCL C
    .language_version:
      - 2
      - 0
    .max_flat_workgroup_size: 64
    .name:           _ZN7rocprim17ROCPRIM_400000_NS6detail17trampoline_kernelINS0_14default_configENS1_20scan_config_selectorIsEEZZNS1_9scan_implILNS1_25lookback_scan_determinismE0ELb1ELb1ES3_N6thrust23THRUST_200600_302600_NS6detail15normal_iteratorINS9_10device_ptrIsEEEESE_sNS9_4plusIsEEsEEDaPvRmT3_T4_T5_mT6_P12ihipStream_tbENKUlT_T0_E_clISt17integral_constantIbLb0EEST_IbLb1EEEEDaSP_SQ_EUlSP_E_NS1_11comp_targetILNS1_3genE8ELNS1_11target_archE1030ELNS1_3gpuE2ELNS1_3repE0EEENS1_30default_config_static_selectorELNS0_4arch9wavefront6targetE1EEEvT1_
    .private_segment_fixed_size: 0
    .sgpr_count:     4
    .sgpr_spill_count: 0
    .symbol:         _ZN7rocprim17ROCPRIM_400000_NS6detail17trampoline_kernelINS0_14default_configENS1_20scan_config_selectorIsEEZZNS1_9scan_implILNS1_25lookback_scan_determinismE0ELb1ELb1ES3_N6thrust23THRUST_200600_302600_NS6detail15normal_iteratorINS9_10device_ptrIsEEEESE_sNS9_4plusIsEEsEEDaPvRmT3_T4_T5_mT6_P12ihipStream_tbENKUlT_T0_E_clISt17integral_constantIbLb0EEST_IbLb1EEEEDaSP_SQ_EUlSP_E_NS1_11comp_targetILNS1_3genE8ELNS1_11target_archE1030ELNS1_3gpuE2ELNS1_3repE0EEENS1_30default_config_static_selectorELNS0_4arch9wavefront6targetE1EEEvT1_.kd
    .uniform_work_group_size: 1
    .uses_dynamic_stack: false
    .vgpr_count:     0
    .vgpr_spill_count: 0
    .wavefront_size: 64
  - .agpr_count:     0
    .args:
      - .offset:         0
        .size:           32
        .value_kind:     by_value
    .group_segment_fixed_size: 0
    .kernarg_segment_align: 8
    .kernarg_segment_size: 32
    .language:       OpenCL C
    .language_version:
      - 2
      - 0
    .max_flat_workgroup_size: 128
    .name:           _ZN7rocprim17ROCPRIM_400000_NS6detail17trampoline_kernelINS0_14default_configENS1_20scan_config_selectorIsEEZZNS1_9scan_implILNS1_25lookback_scan_determinismE0ELb1ELb1ES3_N6thrust23THRUST_200600_302600_NS6detail15normal_iteratorINS9_10device_ptrIsEEEESE_sNS9_4plusIsEEsEEDaPvRmT3_T4_T5_mT6_P12ihipStream_tbENKUlT_T0_E_clISt17integral_constantIbLb0EEST_IbLb1EEEEDaSP_SQ_EUlSP_E0_NS1_11comp_targetILNS1_3genE0ELNS1_11target_archE4294967295ELNS1_3gpuE0ELNS1_3repE0EEENS1_30default_config_static_selectorELNS0_4arch9wavefront6targetE1EEEvT1_
    .private_segment_fixed_size: 0
    .sgpr_count:     4
    .sgpr_spill_count: 0
    .symbol:         _ZN7rocprim17ROCPRIM_400000_NS6detail17trampoline_kernelINS0_14default_configENS1_20scan_config_selectorIsEEZZNS1_9scan_implILNS1_25lookback_scan_determinismE0ELb1ELb1ES3_N6thrust23THRUST_200600_302600_NS6detail15normal_iteratorINS9_10device_ptrIsEEEESE_sNS9_4plusIsEEsEEDaPvRmT3_T4_T5_mT6_P12ihipStream_tbENKUlT_T0_E_clISt17integral_constantIbLb0EEST_IbLb1EEEEDaSP_SQ_EUlSP_E0_NS1_11comp_targetILNS1_3genE0ELNS1_11target_archE4294967295ELNS1_3gpuE0ELNS1_3repE0EEENS1_30default_config_static_selectorELNS0_4arch9wavefront6targetE1EEEvT1_.kd
    .uniform_work_group_size: 1
    .uses_dynamic_stack: false
    .vgpr_count:     0
    .vgpr_spill_count: 0
    .wavefront_size: 64
  - .agpr_count:     0
    .args:
      - .offset:         0
        .size:           32
        .value_kind:     by_value
    .group_segment_fixed_size: 0
    .kernarg_segment_align: 8
    .kernarg_segment_size: 32
    .language:       OpenCL C
    .language_version:
      - 2
      - 0
    .max_flat_workgroup_size: 256
    .name:           _ZN7rocprim17ROCPRIM_400000_NS6detail17trampoline_kernelINS0_14default_configENS1_20scan_config_selectorIsEEZZNS1_9scan_implILNS1_25lookback_scan_determinismE0ELb1ELb1ES3_N6thrust23THRUST_200600_302600_NS6detail15normal_iteratorINS9_10device_ptrIsEEEESE_sNS9_4plusIsEEsEEDaPvRmT3_T4_T5_mT6_P12ihipStream_tbENKUlT_T0_E_clISt17integral_constantIbLb0EEST_IbLb1EEEEDaSP_SQ_EUlSP_E0_NS1_11comp_targetILNS1_3genE5ELNS1_11target_archE942ELNS1_3gpuE9ELNS1_3repE0EEENS1_30default_config_static_selectorELNS0_4arch9wavefront6targetE1EEEvT1_
    .private_segment_fixed_size: 0
    .sgpr_count:     4
    .sgpr_spill_count: 0
    .symbol:         _ZN7rocprim17ROCPRIM_400000_NS6detail17trampoline_kernelINS0_14default_configENS1_20scan_config_selectorIsEEZZNS1_9scan_implILNS1_25lookback_scan_determinismE0ELb1ELb1ES3_N6thrust23THRUST_200600_302600_NS6detail15normal_iteratorINS9_10device_ptrIsEEEESE_sNS9_4plusIsEEsEEDaPvRmT3_T4_T5_mT6_P12ihipStream_tbENKUlT_T0_E_clISt17integral_constantIbLb0EEST_IbLb1EEEEDaSP_SQ_EUlSP_E0_NS1_11comp_targetILNS1_3genE5ELNS1_11target_archE942ELNS1_3gpuE9ELNS1_3repE0EEENS1_30default_config_static_selectorELNS0_4arch9wavefront6targetE1EEEvT1_.kd
    .uniform_work_group_size: 1
    .uses_dynamic_stack: false
    .vgpr_count:     0
    .vgpr_spill_count: 0
    .wavefront_size: 64
  - .agpr_count:     0
    .args:
      - .offset:         0
        .size:           32
        .value_kind:     by_value
    .group_segment_fixed_size: 3072
    .kernarg_segment_align: 8
    .kernarg_segment_size: 32
    .language:       OpenCL C
    .language_version:
      - 2
      - 0
    .max_flat_workgroup_size: 64
    .name:           _ZN7rocprim17ROCPRIM_400000_NS6detail17trampoline_kernelINS0_14default_configENS1_20scan_config_selectorIsEEZZNS1_9scan_implILNS1_25lookback_scan_determinismE0ELb1ELb1ES3_N6thrust23THRUST_200600_302600_NS6detail15normal_iteratorINS9_10device_ptrIsEEEESE_sNS9_4plusIsEEsEEDaPvRmT3_T4_T5_mT6_P12ihipStream_tbENKUlT_T0_E_clISt17integral_constantIbLb0EEST_IbLb1EEEEDaSP_SQ_EUlSP_E0_NS1_11comp_targetILNS1_3genE4ELNS1_11target_archE910ELNS1_3gpuE8ELNS1_3repE0EEENS1_30default_config_static_selectorELNS0_4arch9wavefront6targetE1EEEvT1_
    .private_segment_fixed_size: 0
    .sgpr_count:     60
    .sgpr_spill_count: 0
    .symbol:         _ZN7rocprim17ROCPRIM_400000_NS6detail17trampoline_kernelINS0_14default_configENS1_20scan_config_selectorIsEEZZNS1_9scan_implILNS1_25lookback_scan_determinismE0ELb1ELb1ES3_N6thrust23THRUST_200600_302600_NS6detail15normal_iteratorINS9_10device_ptrIsEEEESE_sNS9_4plusIsEEsEEDaPvRmT3_T4_T5_mT6_P12ihipStream_tbENKUlT_T0_E_clISt17integral_constantIbLb0EEST_IbLb1EEEEDaSP_SQ_EUlSP_E0_NS1_11comp_targetILNS1_3genE4ELNS1_11target_archE910ELNS1_3gpuE8ELNS1_3repE0EEENS1_30default_config_static_selectorELNS0_4arch9wavefront6targetE1EEEvT1_.kd
    .uniform_work_group_size: 1
    .uses_dynamic_stack: false
    .vgpr_count:     32
    .vgpr_spill_count: 0
    .wavefront_size: 64
  - .agpr_count:     0
    .args:
      - .offset:         0
        .size:           32
        .value_kind:     by_value
    .group_segment_fixed_size: 0
    .kernarg_segment_align: 8
    .kernarg_segment_size: 32
    .language:       OpenCL C
    .language_version:
      - 2
      - 0
    .max_flat_workgroup_size: 128
    .name:           _ZN7rocprim17ROCPRIM_400000_NS6detail17trampoline_kernelINS0_14default_configENS1_20scan_config_selectorIsEEZZNS1_9scan_implILNS1_25lookback_scan_determinismE0ELb1ELb1ES3_N6thrust23THRUST_200600_302600_NS6detail15normal_iteratorINS9_10device_ptrIsEEEESE_sNS9_4plusIsEEsEEDaPvRmT3_T4_T5_mT6_P12ihipStream_tbENKUlT_T0_E_clISt17integral_constantIbLb0EEST_IbLb1EEEEDaSP_SQ_EUlSP_E0_NS1_11comp_targetILNS1_3genE3ELNS1_11target_archE908ELNS1_3gpuE7ELNS1_3repE0EEENS1_30default_config_static_selectorELNS0_4arch9wavefront6targetE1EEEvT1_
    .private_segment_fixed_size: 0
    .sgpr_count:     4
    .sgpr_spill_count: 0
    .symbol:         _ZN7rocprim17ROCPRIM_400000_NS6detail17trampoline_kernelINS0_14default_configENS1_20scan_config_selectorIsEEZZNS1_9scan_implILNS1_25lookback_scan_determinismE0ELb1ELb1ES3_N6thrust23THRUST_200600_302600_NS6detail15normal_iteratorINS9_10device_ptrIsEEEESE_sNS9_4plusIsEEsEEDaPvRmT3_T4_T5_mT6_P12ihipStream_tbENKUlT_T0_E_clISt17integral_constantIbLb0EEST_IbLb1EEEEDaSP_SQ_EUlSP_E0_NS1_11comp_targetILNS1_3genE3ELNS1_11target_archE908ELNS1_3gpuE7ELNS1_3repE0EEENS1_30default_config_static_selectorELNS0_4arch9wavefront6targetE1EEEvT1_.kd
    .uniform_work_group_size: 1
    .uses_dynamic_stack: false
    .vgpr_count:     0
    .vgpr_spill_count: 0
    .wavefront_size: 64
  - .agpr_count:     0
    .args:
      - .offset:         0
        .size:           32
        .value_kind:     by_value
    .group_segment_fixed_size: 0
    .kernarg_segment_align: 8
    .kernarg_segment_size: 32
    .language:       OpenCL C
    .language_version:
      - 2
      - 0
    .max_flat_workgroup_size: 256
    .name:           _ZN7rocprim17ROCPRIM_400000_NS6detail17trampoline_kernelINS0_14default_configENS1_20scan_config_selectorIsEEZZNS1_9scan_implILNS1_25lookback_scan_determinismE0ELb1ELb1ES3_N6thrust23THRUST_200600_302600_NS6detail15normal_iteratorINS9_10device_ptrIsEEEESE_sNS9_4plusIsEEsEEDaPvRmT3_T4_T5_mT6_P12ihipStream_tbENKUlT_T0_E_clISt17integral_constantIbLb0EEST_IbLb1EEEEDaSP_SQ_EUlSP_E0_NS1_11comp_targetILNS1_3genE2ELNS1_11target_archE906ELNS1_3gpuE6ELNS1_3repE0EEENS1_30default_config_static_selectorELNS0_4arch9wavefront6targetE1EEEvT1_
    .private_segment_fixed_size: 0
    .sgpr_count:     4
    .sgpr_spill_count: 0
    .symbol:         _ZN7rocprim17ROCPRIM_400000_NS6detail17trampoline_kernelINS0_14default_configENS1_20scan_config_selectorIsEEZZNS1_9scan_implILNS1_25lookback_scan_determinismE0ELb1ELb1ES3_N6thrust23THRUST_200600_302600_NS6detail15normal_iteratorINS9_10device_ptrIsEEEESE_sNS9_4plusIsEEsEEDaPvRmT3_T4_T5_mT6_P12ihipStream_tbENKUlT_T0_E_clISt17integral_constantIbLb0EEST_IbLb1EEEEDaSP_SQ_EUlSP_E0_NS1_11comp_targetILNS1_3genE2ELNS1_11target_archE906ELNS1_3gpuE6ELNS1_3repE0EEENS1_30default_config_static_selectorELNS0_4arch9wavefront6targetE1EEEvT1_.kd
    .uniform_work_group_size: 1
    .uses_dynamic_stack: false
    .vgpr_count:     0
    .vgpr_spill_count: 0
    .wavefront_size: 64
  - .agpr_count:     0
    .args:
      - .offset:         0
        .size:           32
        .value_kind:     by_value
    .group_segment_fixed_size: 0
    .kernarg_segment_align: 8
    .kernarg_segment_size: 32
    .language:       OpenCL C
    .language_version:
      - 2
      - 0
    .max_flat_workgroup_size: 256
    .name:           _ZN7rocprim17ROCPRIM_400000_NS6detail17trampoline_kernelINS0_14default_configENS1_20scan_config_selectorIsEEZZNS1_9scan_implILNS1_25lookback_scan_determinismE0ELb1ELb1ES3_N6thrust23THRUST_200600_302600_NS6detail15normal_iteratorINS9_10device_ptrIsEEEESE_sNS9_4plusIsEEsEEDaPvRmT3_T4_T5_mT6_P12ihipStream_tbENKUlT_T0_E_clISt17integral_constantIbLb0EEST_IbLb1EEEEDaSP_SQ_EUlSP_E0_NS1_11comp_targetILNS1_3genE10ELNS1_11target_archE1201ELNS1_3gpuE5ELNS1_3repE0EEENS1_30default_config_static_selectorELNS0_4arch9wavefront6targetE1EEEvT1_
    .private_segment_fixed_size: 0
    .sgpr_count:     4
    .sgpr_spill_count: 0
    .symbol:         _ZN7rocprim17ROCPRIM_400000_NS6detail17trampoline_kernelINS0_14default_configENS1_20scan_config_selectorIsEEZZNS1_9scan_implILNS1_25lookback_scan_determinismE0ELb1ELb1ES3_N6thrust23THRUST_200600_302600_NS6detail15normal_iteratorINS9_10device_ptrIsEEEESE_sNS9_4plusIsEEsEEDaPvRmT3_T4_T5_mT6_P12ihipStream_tbENKUlT_T0_E_clISt17integral_constantIbLb0EEST_IbLb1EEEEDaSP_SQ_EUlSP_E0_NS1_11comp_targetILNS1_3genE10ELNS1_11target_archE1201ELNS1_3gpuE5ELNS1_3repE0EEENS1_30default_config_static_selectorELNS0_4arch9wavefront6targetE1EEEvT1_.kd
    .uniform_work_group_size: 1
    .uses_dynamic_stack: false
    .vgpr_count:     0
    .vgpr_spill_count: 0
    .wavefront_size: 64
  - .agpr_count:     0
    .args:
      - .offset:         0
        .size:           32
        .value_kind:     by_value
    .group_segment_fixed_size: 0
    .kernarg_segment_align: 8
    .kernarg_segment_size: 32
    .language:       OpenCL C
    .language_version:
      - 2
      - 0
    .max_flat_workgroup_size: 256
    .name:           _ZN7rocprim17ROCPRIM_400000_NS6detail17trampoline_kernelINS0_14default_configENS1_20scan_config_selectorIsEEZZNS1_9scan_implILNS1_25lookback_scan_determinismE0ELb1ELb1ES3_N6thrust23THRUST_200600_302600_NS6detail15normal_iteratorINS9_10device_ptrIsEEEESE_sNS9_4plusIsEEsEEDaPvRmT3_T4_T5_mT6_P12ihipStream_tbENKUlT_T0_E_clISt17integral_constantIbLb0EEST_IbLb1EEEEDaSP_SQ_EUlSP_E0_NS1_11comp_targetILNS1_3genE10ELNS1_11target_archE1200ELNS1_3gpuE4ELNS1_3repE0EEENS1_30default_config_static_selectorELNS0_4arch9wavefront6targetE1EEEvT1_
    .private_segment_fixed_size: 0
    .sgpr_count:     4
    .sgpr_spill_count: 0
    .symbol:         _ZN7rocprim17ROCPRIM_400000_NS6detail17trampoline_kernelINS0_14default_configENS1_20scan_config_selectorIsEEZZNS1_9scan_implILNS1_25lookback_scan_determinismE0ELb1ELb1ES3_N6thrust23THRUST_200600_302600_NS6detail15normal_iteratorINS9_10device_ptrIsEEEESE_sNS9_4plusIsEEsEEDaPvRmT3_T4_T5_mT6_P12ihipStream_tbENKUlT_T0_E_clISt17integral_constantIbLb0EEST_IbLb1EEEEDaSP_SQ_EUlSP_E0_NS1_11comp_targetILNS1_3genE10ELNS1_11target_archE1200ELNS1_3gpuE4ELNS1_3repE0EEENS1_30default_config_static_selectorELNS0_4arch9wavefront6targetE1EEEvT1_.kd
    .uniform_work_group_size: 1
    .uses_dynamic_stack: false
    .vgpr_count:     0
    .vgpr_spill_count: 0
    .wavefront_size: 64
  - .agpr_count:     0
    .args:
      - .offset:         0
        .size:           32
        .value_kind:     by_value
    .group_segment_fixed_size: 0
    .kernarg_segment_align: 8
    .kernarg_segment_size: 32
    .language:       OpenCL C
    .language_version:
      - 2
      - 0
    .max_flat_workgroup_size: 64
    .name:           _ZN7rocprim17ROCPRIM_400000_NS6detail17trampoline_kernelINS0_14default_configENS1_20scan_config_selectorIsEEZZNS1_9scan_implILNS1_25lookback_scan_determinismE0ELb1ELb1ES3_N6thrust23THRUST_200600_302600_NS6detail15normal_iteratorINS9_10device_ptrIsEEEESE_sNS9_4plusIsEEsEEDaPvRmT3_T4_T5_mT6_P12ihipStream_tbENKUlT_T0_E_clISt17integral_constantIbLb0EEST_IbLb1EEEEDaSP_SQ_EUlSP_E0_NS1_11comp_targetILNS1_3genE9ELNS1_11target_archE1100ELNS1_3gpuE3ELNS1_3repE0EEENS1_30default_config_static_selectorELNS0_4arch9wavefront6targetE1EEEvT1_
    .private_segment_fixed_size: 0
    .sgpr_count:     4
    .sgpr_spill_count: 0
    .symbol:         _ZN7rocprim17ROCPRIM_400000_NS6detail17trampoline_kernelINS0_14default_configENS1_20scan_config_selectorIsEEZZNS1_9scan_implILNS1_25lookback_scan_determinismE0ELb1ELb1ES3_N6thrust23THRUST_200600_302600_NS6detail15normal_iteratorINS9_10device_ptrIsEEEESE_sNS9_4plusIsEEsEEDaPvRmT3_T4_T5_mT6_P12ihipStream_tbENKUlT_T0_E_clISt17integral_constantIbLb0EEST_IbLb1EEEEDaSP_SQ_EUlSP_E0_NS1_11comp_targetILNS1_3genE9ELNS1_11target_archE1100ELNS1_3gpuE3ELNS1_3repE0EEENS1_30default_config_static_selectorELNS0_4arch9wavefront6targetE1EEEvT1_.kd
    .uniform_work_group_size: 1
    .uses_dynamic_stack: false
    .vgpr_count:     0
    .vgpr_spill_count: 0
    .wavefront_size: 64
  - .agpr_count:     0
    .args:
      - .offset:         0
        .size:           32
        .value_kind:     by_value
    .group_segment_fixed_size: 0
    .kernarg_segment_align: 8
    .kernarg_segment_size: 32
    .language:       OpenCL C
    .language_version:
      - 2
      - 0
    .max_flat_workgroup_size: 64
    .name:           _ZN7rocprim17ROCPRIM_400000_NS6detail17trampoline_kernelINS0_14default_configENS1_20scan_config_selectorIsEEZZNS1_9scan_implILNS1_25lookback_scan_determinismE0ELb1ELb1ES3_N6thrust23THRUST_200600_302600_NS6detail15normal_iteratorINS9_10device_ptrIsEEEESE_sNS9_4plusIsEEsEEDaPvRmT3_T4_T5_mT6_P12ihipStream_tbENKUlT_T0_E_clISt17integral_constantIbLb0EEST_IbLb1EEEEDaSP_SQ_EUlSP_E0_NS1_11comp_targetILNS1_3genE8ELNS1_11target_archE1030ELNS1_3gpuE2ELNS1_3repE0EEENS1_30default_config_static_selectorELNS0_4arch9wavefront6targetE1EEEvT1_
    .private_segment_fixed_size: 0
    .sgpr_count:     4
    .sgpr_spill_count: 0
    .symbol:         _ZN7rocprim17ROCPRIM_400000_NS6detail17trampoline_kernelINS0_14default_configENS1_20scan_config_selectorIsEEZZNS1_9scan_implILNS1_25lookback_scan_determinismE0ELb1ELb1ES3_N6thrust23THRUST_200600_302600_NS6detail15normal_iteratorINS9_10device_ptrIsEEEESE_sNS9_4plusIsEEsEEDaPvRmT3_T4_T5_mT6_P12ihipStream_tbENKUlT_T0_E_clISt17integral_constantIbLb0EEST_IbLb1EEEEDaSP_SQ_EUlSP_E0_NS1_11comp_targetILNS1_3genE8ELNS1_11target_archE1030ELNS1_3gpuE2ELNS1_3repE0EEENS1_30default_config_static_selectorELNS0_4arch9wavefront6targetE1EEEvT1_.kd
    .uniform_work_group_size: 1
    .uses_dynamic_stack: false
    .vgpr_count:     0
    .vgpr_spill_count: 0
    .wavefront_size: 64
  - .agpr_count:     0
    .args:
      - .offset:         0
        .size:           96
        .value_kind:     by_value
    .group_segment_fixed_size: 0
    .kernarg_segment_align: 8
    .kernarg_segment_size: 96
    .language:       OpenCL C
    .language_version:
      - 2
      - 0
    .max_flat_workgroup_size: 128
    .name:           _ZN7rocprim17ROCPRIM_400000_NS6detail17trampoline_kernelINS0_14default_configENS1_20scan_config_selectorIsEEZZNS1_9scan_implILNS1_25lookback_scan_determinismE0ELb0ELb1ES3_N6thrust23THRUST_200600_302600_NS6detail15normal_iteratorINS9_10device_ptrIsEEEESE_sNS9_4plusIsEEsEEDaPvRmT3_T4_T5_mT6_P12ihipStream_tbENKUlT_T0_E_clISt17integral_constantIbLb0EESU_EEDaSP_SQ_EUlSP_E_NS1_11comp_targetILNS1_3genE0ELNS1_11target_archE4294967295ELNS1_3gpuE0ELNS1_3repE0EEENS1_30default_config_static_selectorELNS0_4arch9wavefront6targetE1EEEvT1_
    .private_segment_fixed_size: 0
    .sgpr_count:     4
    .sgpr_spill_count: 0
    .symbol:         _ZN7rocprim17ROCPRIM_400000_NS6detail17trampoline_kernelINS0_14default_configENS1_20scan_config_selectorIsEEZZNS1_9scan_implILNS1_25lookback_scan_determinismE0ELb0ELb1ES3_N6thrust23THRUST_200600_302600_NS6detail15normal_iteratorINS9_10device_ptrIsEEEESE_sNS9_4plusIsEEsEEDaPvRmT3_T4_T5_mT6_P12ihipStream_tbENKUlT_T0_E_clISt17integral_constantIbLb0EESU_EEDaSP_SQ_EUlSP_E_NS1_11comp_targetILNS1_3genE0ELNS1_11target_archE4294967295ELNS1_3gpuE0ELNS1_3repE0EEENS1_30default_config_static_selectorELNS0_4arch9wavefront6targetE1EEEvT1_.kd
    .uniform_work_group_size: 1
    .uses_dynamic_stack: false
    .vgpr_count:     0
    .vgpr_spill_count: 0
    .wavefront_size: 64
  - .agpr_count:     0
    .args:
      - .offset:         0
        .size:           96
        .value_kind:     by_value
    .group_segment_fixed_size: 0
    .kernarg_segment_align: 8
    .kernarg_segment_size: 96
    .language:       OpenCL C
    .language_version:
      - 2
      - 0
    .max_flat_workgroup_size: 256
    .name:           _ZN7rocprim17ROCPRIM_400000_NS6detail17trampoline_kernelINS0_14default_configENS1_20scan_config_selectorIsEEZZNS1_9scan_implILNS1_25lookback_scan_determinismE0ELb0ELb1ES3_N6thrust23THRUST_200600_302600_NS6detail15normal_iteratorINS9_10device_ptrIsEEEESE_sNS9_4plusIsEEsEEDaPvRmT3_T4_T5_mT6_P12ihipStream_tbENKUlT_T0_E_clISt17integral_constantIbLb0EESU_EEDaSP_SQ_EUlSP_E_NS1_11comp_targetILNS1_3genE5ELNS1_11target_archE942ELNS1_3gpuE9ELNS1_3repE0EEENS1_30default_config_static_selectorELNS0_4arch9wavefront6targetE1EEEvT1_
    .private_segment_fixed_size: 0
    .sgpr_count:     4
    .sgpr_spill_count: 0
    .symbol:         _ZN7rocprim17ROCPRIM_400000_NS6detail17trampoline_kernelINS0_14default_configENS1_20scan_config_selectorIsEEZZNS1_9scan_implILNS1_25lookback_scan_determinismE0ELb0ELb1ES3_N6thrust23THRUST_200600_302600_NS6detail15normal_iteratorINS9_10device_ptrIsEEEESE_sNS9_4plusIsEEsEEDaPvRmT3_T4_T5_mT6_P12ihipStream_tbENKUlT_T0_E_clISt17integral_constantIbLb0EESU_EEDaSP_SQ_EUlSP_E_NS1_11comp_targetILNS1_3genE5ELNS1_11target_archE942ELNS1_3gpuE9ELNS1_3repE0EEENS1_30default_config_static_selectorELNS0_4arch9wavefront6targetE1EEEvT1_.kd
    .uniform_work_group_size: 1
    .uses_dynamic_stack: false
    .vgpr_count:     0
    .vgpr_spill_count: 0
    .wavefront_size: 64
  - .agpr_count:     0
    .args:
      - .offset:         0
        .size:           96
        .value_kind:     by_value
    .group_segment_fixed_size: 3072
    .kernarg_segment_align: 8
    .kernarg_segment_size: 96
    .language:       OpenCL C
    .language_version:
      - 2
      - 0
    .max_flat_workgroup_size: 64
    .name:           _ZN7rocprim17ROCPRIM_400000_NS6detail17trampoline_kernelINS0_14default_configENS1_20scan_config_selectorIsEEZZNS1_9scan_implILNS1_25lookback_scan_determinismE0ELb0ELb1ES3_N6thrust23THRUST_200600_302600_NS6detail15normal_iteratorINS9_10device_ptrIsEEEESE_sNS9_4plusIsEEsEEDaPvRmT3_T4_T5_mT6_P12ihipStream_tbENKUlT_T0_E_clISt17integral_constantIbLb0EESU_EEDaSP_SQ_EUlSP_E_NS1_11comp_targetILNS1_3genE4ELNS1_11target_archE910ELNS1_3gpuE8ELNS1_3repE0EEENS1_30default_config_static_selectorELNS0_4arch9wavefront6targetE1EEEvT1_
    .private_segment_fixed_size: 0
    .sgpr_count:     41
    .sgpr_spill_count: 0
    .symbol:         _ZN7rocprim17ROCPRIM_400000_NS6detail17trampoline_kernelINS0_14default_configENS1_20scan_config_selectorIsEEZZNS1_9scan_implILNS1_25lookback_scan_determinismE0ELb0ELb1ES3_N6thrust23THRUST_200600_302600_NS6detail15normal_iteratorINS9_10device_ptrIsEEEESE_sNS9_4plusIsEEsEEDaPvRmT3_T4_T5_mT6_P12ihipStream_tbENKUlT_T0_E_clISt17integral_constantIbLb0EESU_EEDaSP_SQ_EUlSP_E_NS1_11comp_targetILNS1_3genE4ELNS1_11target_archE910ELNS1_3gpuE8ELNS1_3repE0EEENS1_30default_config_static_selectorELNS0_4arch9wavefront6targetE1EEEvT1_.kd
    .uniform_work_group_size: 1
    .uses_dynamic_stack: false
    .vgpr_count:     68
    .vgpr_spill_count: 0
    .wavefront_size: 64
  - .agpr_count:     0
    .args:
      - .offset:         0
        .size:           96
        .value_kind:     by_value
    .group_segment_fixed_size: 0
    .kernarg_segment_align: 8
    .kernarg_segment_size: 96
    .language:       OpenCL C
    .language_version:
      - 2
      - 0
    .max_flat_workgroup_size: 128
    .name:           _ZN7rocprim17ROCPRIM_400000_NS6detail17trampoline_kernelINS0_14default_configENS1_20scan_config_selectorIsEEZZNS1_9scan_implILNS1_25lookback_scan_determinismE0ELb0ELb1ES3_N6thrust23THRUST_200600_302600_NS6detail15normal_iteratorINS9_10device_ptrIsEEEESE_sNS9_4plusIsEEsEEDaPvRmT3_T4_T5_mT6_P12ihipStream_tbENKUlT_T0_E_clISt17integral_constantIbLb0EESU_EEDaSP_SQ_EUlSP_E_NS1_11comp_targetILNS1_3genE3ELNS1_11target_archE908ELNS1_3gpuE7ELNS1_3repE0EEENS1_30default_config_static_selectorELNS0_4arch9wavefront6targetE1EEEvT1_
    .private_segment_fixed_size: 0
    .sgpr_count:     4
    .sgpr_spill_count: 0
    .symbol:         _ZN7rocprim17ROCPRIM_400000_NS6detail17trampoline_kernelINS0_14default_configENS1_20scan_config_selectorIsEEZZNS1_9scan_implILNS1_25lookback_scan_determinismE0ELb0ELb1ES3_N6thrust23THRUST_200600_302600_NS6detail15normal_iteratorINS9_10device_ptrIsEEEESE_sNS9_4plusIsEEsEEDaPvRmT3_T4_T5_mT6_P12ihipStream_tbENKUlT_T0_E_clISt17integral_constantIbLb0EESU_EEDaSP_SQ_EUlSP_E_NS1_11comp_targetILNS1_3genE3ELNS1_11target_archE908ELNS1_3gpuE7ELNS1_3repE0EEENS1_30default_config_static_selectorELNS0_4arch9wavefront6targetE1EEEvT1_.kd
    .uniform_work_group_size: 1
    .uses_dynamic_stack: false
    .vgpr_count:     0
    .vgpr_spill_count: 0
    .wavefront_size: 64
  - .agpr_count:     0
    .args:
      - .offset:         0
        .size:           96
        .value_kind:     by_value
    .group_segment_fixed_size: 0
    .kernarg_segment_align: 8
    .kernarg_segment_size: 96
    .language:       OpenCL C
    .language_version:
      - 2
      - 0
    .max_flat_workgroup_size: 256
    .name:           _ZN7rocprim17ROCPRIM_400000_NS6detail17trampoline_kernelINS0_14default_configENS1_20scan_config_selectorIsEEZZNS1_9scan_implILNS1_25lookback_scan_determinismE0ELb0ELb1ES3_N6thrust23THRUST_200600_302600_NS6detail15normal_iteratorINS9_10device_ptrIsEEEESE_sNS9_4plusIsEEsEEDaPvRmT3_T4_T5_mT6_P12ihipStream_tbENKUlT_T0_E_clISt17integral_constantIbLb0EESU_EEDaSP_SQ_EUlSP_E_NS1_11comp_targetILNS1_3genE2ELNS1_11target_archE906ELNS1_3gpuE6ELNS1_3repE0EEENS1_30default_config_static_selectorELNS0_4arch9wavefront6targetE1EEEvT1_
    .private_segment_fixed_size: 0
    .sgpr_count:     4
    .sgpr_spill_count: 0
    .symbol:         _ZN7rocprim17ROCPRIM_400000_NS6detail17trampoline_kernelINS0_14default_configENS1_20scan_config_selectorIsEEZZNS1_9scan_implILNS1_25lookback_scan_determinismE0ELb0ELb1ES3_N6thrust23THRUST_200600_302600_NS6detail15normal_iteratorINS9_10device_ptrIsEEEESE_sNS9_4plusIsEEsEEDaPvRmT3_T4_T5_mT6_P12ihipStream_tbENKUlT_T0_E_clISt17integral_constantIbLb0EESU_EEDaSP_SQ_EUlSP_E_NS1_11comp_targetILNS1_3genE2ELNS1_11target_archE906ELNS1_3gpuE6ELNS1_3repE0EEENS1_30default_config_static_selectorELNS0_4arch9wavefront6targetE1EEEvT1_.kd
    .uniform_work_group_size: 1
    .uses_dynamic_stack: false
    .vgpr_count:     0
    .vgpr_spill_count: 0
    .wavefront_size: 64
  - .agpr_count:     0
    .args:
      - .offset:         0
        .size:           96
        .value_kind:     by_value
    .group_segment_fixed_size: 0
    .kernarg_segment_align: 8
    .kernarg_segment_size: 96
    .language:       OpenCL C
    .language_version:
      - 2
      - 0
    .max_flat_workgroup_size: 256
    .name:           _ZN7rocprim17ROCPRIM_400000_NS6detail17trampoline_kernelINS0_14default_configENS1_20scan_config_selectorIsEEZZNS1_9scan_implILNS1_25lookback_scan_determinismE0ELb0ELb1ES3_N6thrust23THRUST_200600_302600_NS6detail15normal_iteratorINS9_10device_ptrIsEEEESE_sNS9_4plusIsEEsEEDaPvRmT3_T4_T5_mT6_P12ihipStream_tbENKUlT_T0_E_clISt17integral_constantIbLb0EESU_EEDaSP_SQ_EUlSP_E_NS1_11comp_targetILNS1_3genE10ELNS1_11target_archE1201ELNS1_3gpuE5ELNS1_3repE0EEENS1_30default_config_static_selectorELNS0_4arch9wavefront6targetE1EEEvT1_
    .private_segment_fixed_size: 0
    .sgpr_count:     4
    .sgpr_spill_count: 0
    .symbol:         _ZN7rocprim17ROCPRIM_400000_NS6detail17trampoline_kernelINS0_14default_configENS1_20scan_config_selectorIsEEZZNS1_9scan_implILNS1_25lookback_scan_determinismE0ELb0ELb1ES3_N6thrust23THRUST_200600_302600_NS6detail15normal_iteratorINS9_10device_ptrIsEEEESE_sNS9_4plusIsEEsEEDaPvRmT3_T4_T5_mT6_P12ihipStream_tbENKUlT_T0_E_clISt17integral_constantIbLb0EESU_EEDaSP_SQ_EUlSP_E_NS1_11comp_targetILNS1_3genE10ELNS1_11target_archE1201ELNS1_3gpuE5ELNS1_3repE0EEENS1_30default_config_static_selectorELNS0_4arch9wavefront6targetE1EEEvT1_.kd
    .uniform_work_group_size: 1
    .uses_dynamic_stack: false
    .vgpr_count:     0
    .vgpr_spill_count: 0
    .wavefront_size: 64
  - .agpr_count:     0
    .args:
      - .offset:         0
        .size:           96
        .value_kind:     by_value
    .group_segment_fixed_size: 0
    .kernarg_segment_align: 8
    .kernarg_segment_size: 96
    .language:       OpenCL C
    .language_version:
      - 2
      - 0
    .max_flat_workgroup_size: 256
    .name:           _ZN7rocprim17ROCPRIM_400000_NS6detail17trampoline_kernelINS0_14default_configENS1_20scan_config_selectorIsEEZZNS1_9scan_implILNS1_25lookback_scan_determinismE0ELb0ELb1ES3_N6thrust23THRUST_200600_302600_NS6detail15normal_iteratorINS9_10device_ptrIsEEEESE_sNS9_4plusIsEEsEEDaPvRmT3_T4_T5_mT6_P12ihipStream_tbENKUlT_T0_E_clISt17integral_constantIbLb0EESU_EEDaSP_SQ_EUlSP_E_NS1_11comp_targetILNS1_3genE10ELNS1_11target_archE1200ELNS1_3gpuE4ELNS1_3repE0EEENS1_30default_config_static_selectorELNS0_4arch9wavefront6targetE1EEEvT1_
    .private_segment_fixed_size: 0
    .sgpr_count:     4
    .sgpr_spill_count: 0
    .symbol:         _ZN7rocprim17ROCPRIM_400000_NS6detail17trampoline_kernelINS0_14default_configENS1_20scan_config_selectorIsEEZZNS1_9scan_implILNS1_25lookback_scan_determinismE0ELb0ELb1ES3_N6thrust23THRUST_200600_302600_NS6detail15normal_iteratorINS9_10device_ptrIsEEEESE_sNS9_4plusIsEEsEEDaPvRmT3_T4_T5_mT6_P12ihipStream_tbENKUlT_T0_E_clISt17integral_constantIbLb0EESU_EEDaSP_SQ_EUlSP_E_NS1_11comp_targetILNS1_3genE10ELNS1_11target_archE1200ELNS1_3gpuE4ELNS1_3repE0EEENS1_30default_config_static_selectorELNS0_4arch9wavefront6targetE1EEEvT1_.kd
    .uniform_work_group_size: 1
    .uses_dynamic_stack: false
    .vgpr_count:     0
    .vgpr_spill_count: 0
    .wavefront_size: 64
  - .agpr_count:     0
    .args:
      - .offset:         0
        .size:           96
        .value_kind:     by_value
    .group_segment_fixed_size: 0
    .kernarg_segment_align: 8
    .kernarg_segment_size: 96
    .language:       OpenCL C
    .language_version:
      - 2
      - 0
    .max_flat_workgroup_size: 64
    .name:           _ZN7rocprim17ROCPRIM_400000_NS6detail17trampoline_kernelINS0_14default_configENS1_20scan_config_selectorIsEEZZNS1_9scan_implILNS1_25lookback_scan_determinismE0ELb0ELb1ES3_N6thrust23THRUST_200600_302600_NS6detail15normal_iteratorINS9_10device_ptrIsEEEESE_sNS9_4plusIsEEsEEDaPvRmT3_T4_T5_mT6_P12ihipStream_tbENKUlT_T0_E_clISt17integral_constantIbLb0EESU_EEDaSP_SQ_EUlSP_E_NS1_11comp_targetILNS1_3genE9ELNS1_11target_archE1100ELNS1_3gpuE3ELNS1_3repE0EEENS1_30default_config_static_selectorELNS0_4arch9wavefront6targetE1EEEvT1_
    .private_segment_fixed_size: 0
    .sgpr_count:     4
    .sgpr_spill_count: 0
    .symbol:         _ZN7rocprim17ROCPRIM_400000_NS6detail17trampoline_kernelINS0_14default_configENS1_20scan_config_selectorIsEEZZNS1_9scan_implILNS1_25lookback_scan_determinismE0ELb0ELb1ES3_N6thrust23THRUST_200600_302600_NS6detail15normal_iteratorINS9_10device_ptrIsEEEESE_sNS9_4plusIsEEsEEDaPvRmT3_T4_T5_mT6_P12ihipStream_tbENKUlT_T0_E_clISt17integral_constantIbLb0EESU_EEDaSP_SQ_EUlSP_E_NS1_11comp_targetILNS1_3genE9ELNS1_11target_archE1100ELNS1_3gpuE3ELNS1_3repE0EEENS1_30default_config_static_selectorELNS0_4arch9wavefront6targetE1EEEvT1_.kd
    .uniform_work_group_size: 1
    .uses_dynamic_stack: false
    .vgpr_count:     0
    .vgpr_spill_count: 0
    .wavefront_size: 64
  - .agpr_count:     0
    .args:
      - .offset:         0
        .size:           96
        .value_kind:     by_value
    .group_segment_fixed_size: 0
    .kernarg_segment_align: 8
    .kernarg_segment_size: 96
    .language:       OpenCL C
    .language_version:
      - 2
      - 0
    .max_flat_workgroup_size: 64
    .name:           _ZN7rocprim17ROCPRIM_400000_NS6detail17trampoline_kernelINS0_14default_configENS1_20scan_config_selectorIsEEZZNS1_9scan_implILNS1_25lookback_scan_determinismE0ELb0ELb1ES3_N6thrust23THRUST_200600_302600_NS6detail15normal_iteratorINS9_10device_ptrIsEEEESE_sNS9_4plusIsEEsEEDaPvRmT3_T4_T5_mT6_P12ihipStream_tbENKUlT_T0_E_clISt17integral_constantIbLb0EESU_EEDaSP_SQ_EUlSP_E_NS1_11comp_targetILNS1_3genE8ELNS1_11target_archE1030ELNS1_3gpuE2ELNS1_3repE0EEENS1_30default_config_static_selectorELNS0_4arch9wavefront6targetE1EEEvT1_
    .private_segment_fixed_size: 0
    .sgpr_count:     4
    .sgpr_spill_count: 0
    .symbol:         _ZN7rocprim17ROCPRIM_400000_NS6detail17trampoline_kernelINS0_14default_configENS1_20scan_config_selectorIsEEZZNS1_9scan_implILNS1_25lookback_scan_determinismE0ELb0ELb1ES3_N6thrust23THRUST_200600_302600_NS6detail15normal_iteratorINS9_10device_ptrIsEEEESE_sNS9_4plusIsEEsEEDaPvRmT3_T4_T5_mT6_P12ihipStream_tbENKUlT_T0_E_clISt17integral_constantIbLb0EESU_EEDaSP_SQ_EUlSP_E_NS1_11comp_targetILNS1_3genE8ELNS1_11target_archE1030ELNS1_3gpuE2ELNS1_3repE0EEENS1_30default_config_static_selectorELNS0_4arch9wavefront6targetE1EEEvT1_.kd
    .uniform_work_group_size: 1
    .uses_dynamic_stack: false
    .vgpr_count:     0
    .vgpr_spill_count: 0
    .wavefront_size: 64
  - .agpr_count:     0
    .args:
      - .offset:         0
        .size:           32
        .value_kind:     by_value
    .group_segment_fixed_size: 0
    .kernarg_segment_align: 8
    .kernarg_segment_size: 32
    .language:       OpenCL C
    .language_version:
      - 2
      - 0
    .max_flat_workgroup_size: 128
    .name:           _ZN7rocprim17ROCPRIM_400000_NS6detail17trampoline_kernelINS0_14default_configENS1_20scan_config_selectorIsEEZZNS1_9scan_implILNS1_25lookback_scan_determinismE0ELb0ELb1ES3_N6thrust23THRUST_200600_302600_NS6detail15normal_iteratorINS9_10device_ptrIsEEEESE_sNS9_4plusIsEEsEEDaPvRmT3_T4_T5_mT6_P12ihipStream_tbENKUlT_T0_E_clISt17integral_constantIbLb0EESU_EEDaSP_SQ_EUlSP_E0_NS1_11comp_targetILNS1_3genE0ELNS1_11target_archE4294967295ELNS1_3gpuE0ELNS1_3repE0EEENS1_30default_config_static_selectorELNS0_4arch9wavefront6targetE1EEEvT1_
    .private_segment_fixed_size: 0
    .sgpr_count:     4
    .sgpr_spill_count: 0
    .symbol:         _ZN7rocprim17ROCPRIM_400000_NS6detail17trampoline_kernelINS0_14default_configENS1_20scan_config_selectorIsEEZZNS1_9scan_implILNS1_25lookback_scan_determinismE0ELb0ELb1ES3_N6thrust23THRUST_200600_302600_NS6detail15normal_iteratorINS9_10device_ptrIsEEEESE_sNS9_4plusIsEEsEEDaPvRmT3_T4_T5_mT6_P12ihipStream_tbENKUlT_T0_E_clISt17integral_constantIbLb0EESU_EEDaSP_SQ_EUlSP_E0_NS1_11comp_targetILNS1_3genE0ELNS1_11target_archE4294967295ELNS1_3gpuE0ELNS1_3repE0EEENS1_30default_config_static_selectorELNS0_4arch9wavefront6targetE1EEEvT1_.kd
    .uniform_work_group_size: 1
    .uses_dynamic_stack: false
    .vgpr_count:     0
    .vgpr_spill_count: 0
    .wavefront_size: 64
  - .agpr_count:     0
    .args:
      - .offset:         0
        .size:           32
        .value_kind:     by_value
    .group_segment_fixed_size: 0
    .kernarg_segment_align: 8
    .kernarg_segment_size: 32
    .language:       OpenCL C
    .language_version:
      - 2
      - 0
    .max_flat_workgroup_size: 256
    .name:           _ZN7rocprim17ROCPRIM_400000_NS6detail17trampoline_kernelINS0_14default_configENS1_20scan_config_selectorIsEEZZNS1_9scan_implILNS1_25lookback_scan_determinismE0ELb0ELb1ES3_N6thrust23THRUST_200600_302600_NS6detail15normal_iteratorINS9_10device_ptrIsEEEESE_sNS9_4plusIsEEsEEDaPvRmT3_T4_T5_mT6_P12ihipStream_tbENKUlT_T0_E_clISt17integral_constantIbLb0EESU_EEDaSP_SQ_EUlSP_E0_NS1_11comp_targetILNS1_3genE5ELNS1_11target_archE942ELNS1_3gpuE9ELNS1_3repE0EEENS1_30default_config_static_selectorELNS0_4arch9wavefront6targetE1EEEvT1_
    .private_segment_fixed_size: 0
    .sgpr_count:     4
    .sgpr_spill_count: 0
    .symbol:         _ZN7rocprim17ROCPRIM_400000_NS6detail17trampoline_kernelINS0_14default_configENS1_20scan_config_selectorIsEEZZNS1_9scan_implILNS1_25lookback_scan_determinismE0ELb0ELb1ES3_N6thrust23THRUST_200600_302600_NS6detail15normal_iteratorINS9_10device_ptrIsEEEESE_sNS9_4plusIsEEsEEDaPvRmT3_T4_T5_mT6_P12ihipStream_tbENKUlT_T0_E_clISt17integral_constantIbLb0EESU_EEDaSP_SQ_EUlSP_E0_NS1_11comp_targetILNS1_3genE5ELNS1_11target_archE942ELNS1_3gpuE9ELNS1_3repE0EEENS1_30default_config_static_selectorELNS0_4arch9wavefront6targetE1EEEvT1_.kd
    .uniform_work_group_size: 1
    .uses_dynamic_stack: false
    .vgpr_count:     0
    .vgpr_spill_count: 0
    .wavefront_size: 64
  - .agpr_count:     0
    .args:
      - .offset:         0
        .size:           32
        .value_kind:     by_value
    .group_segment_fixed_size: 3072
    .kernarg_segment_align: 8
    .kernarg_segment_size: 32
    .language:       OpenCL C
    .language_version:
      - 2
      - 0
    .max_flat_workgroup_size: 64
    .name:           _ZN7rocprim17ROCPRIM_400000_NS6detail17trampoline_kernelINS0_14default_configENS1_20scan_config_selectorIsEEZZNS1_9scan_implILNS1_25lookback_scan_determinismE0ELb0ELb1ES3_N6thrust23THRUST_200600_302600_NS6detail15normal_iteratorINS9_10device_ptrIsEEEESE_sNS9_4plusIsEEsEEDaPvRmT3_T4_T5_mT6_P12ihipStream_tbENKUlT_T0_E_clISt17integral_constantIbLb0EESU_EEDaSP_SQ_EUlSP_E0_NS1_11comp_targetILNS1_3genE4ELNS1_11target_archE910ELNS1_3gpuE8ELNS1_3repE0EEENS1_30default_config_static_selectorELNS0_4arch9wavefront6targetE1EEEvT1_
    .private_segment_fixed_size: 0
    .sgpr_count:     60
    .sgpr_spill_count: 0
    .symbol:         _ZN7rocprim17ROCPRIM_400000_NS6detail17trampoline_kernelINS0_14default_configENS1_20scan_config_selectorIsEEZZNS1_9scan_implILNS1_25lookback_scan_determinismE0ELb0ELb1ES3_N6thrust23THRUST_200600_302600_NS6detail15normal_iteratorINS9_10device_ptrIsEEEESE_sNS9_4plusIsEEsEEDaPvRmT3_T4_T5_mT6_P12ihipStream_tbENKUlT_T0_E_clISt17integral_constantIbLb0EESU_EEDaSP_SQ_EUlSP_E0_NS1_11comp_targetILNS1_3genE4ELNS1_11target_archE910ELNS1_3gpuE8ELNS1_3repE0EEENS1_30default_config_static_selectorELNS0_4arch9wavefront6targetE1EEEvT1_.kd
    .uniform_work_group_size: 1
    .uses_dynamic_stack: false
    .vgpr_count:     40
    .vgpr_spill_count: 0
    .wavefront_size: 64
  - .agpr_count:     0
    .args:
      - .offset:         0
        .size:           32
        .value_kind:     by_value
    .group_segment_fixed_size: 0
    .kernarg_segment_align: 8
    .kernarg_segment_size: 32
    .language:       OpenCL C
    .language_version:
      - 2
      - 0
    .max_flat_workgroup_size: 128
    .name:           _ZN7rocprim17ROCPRIM_400000_NS6detail17trampoline_kernelINS0_14default_configENS1_20scan_config_selectorIsEEZZNS1_9scan_implILNS1_25lookback_scan_determinismE0ELb0ELb1ES3_N6thrust23THRUST_200600_302600_NS6detail15normal_iteratorINS9_10device_ptrIsEEEESE_sNS9_4plusIsEEsEEDaPvRmT3_T4_T5_mT6_P12ihipStream_tbENKUlT_T0_E_clISt17integral_constantIbLb0EESU_EEDaSP_SQ_EUlSP_E0_NS1_11comp_targetILNS1_3genE3ELNS1_11target_archE908ELNS1_3gpuE7ELNS1_3repE0EEENS1_30default_config_static_selectorELNS0_4arch9wavefront6targetE1EEEvT1_
    .private_segment_fixed_size: 0
    .sgpr_count:     4
    .sgpr_spill_count: 0
    .symbol:         _ZN7rocprim17ROCPRIM_400000_NS6detail17trampoline_kernelINS0_14default_configENS1_20scan_config_selectorIsEEZZNS1_9scan_implILNS1_25lookback_scan_determinismE0ELb0ELb1ES3_N6thrust23THRUST_200600_302600_NS6detail15normal_iteratorINS9_10device_ptrIsEEEESE_sNS9_4plusIsEEsEEDaPvRmT3_T4_T5_mT6_P12ihipStream_tbENKUlT_T0_E_clISt17integral_constantIbLb0EESU_EEDaSP_SQ_EUlSP_E0_NS1_11comp_targetILNS1_3genE3ELNS1_11target_archE908ELNS1_3gpuE7ELNS1_3repE0EEENS1_30default_config_static_selectorELNS0_4arch9wavefront6targetE1EEEvT1_.kd
    .uniform_work_group_size: 1
    .uses_dynamic_stack: false
    .vgpr_count:     0
    .vgpr_spill_count: 0
    .wavefront_size: 64
  - .agpr_count:     0
    .args:
      - .offset:         0
        .size:           32
        .value_kind:     by_value
    .group_segment_fixed_size: 0
    .kernarg_segment_align: 8
    .kernarg_segment_size: 32
    .language:       OpenCL C
    .language_version:
      - 2
      - 0
    .max_flat_workgroup_size: 256
    .name:           _ZN7rocprim17ROCPRIM_400000_NS6detail17trampoline_kernelINS0_14default_configENS1_20scan_config_selectorIsEEZZNS1_9scan_implILNS1_25lookback_scan_determinismE0ELb0ELb1ES3_N6thrust23THRUST_200600_302600_NS6detail15normal_iteratorINS9_10device_ptrIsEEEESE_sNS9_4plusIsEEsEEDaPvRmT3_T4_T5_mT6_P12ihipStream_tbENKUlT_T0_E_clISt17integral_constantIbLb0EESU_EEDaSP_SQ_EUlSP_E0_NS1_11comp_targetILNS1_3genE2ELNS1_11target_archE906ELNS1_3gpuE6ELNS1_3repE0EEENS1_30default_config_static_selectorELNS0_4arch9wavefront6targetE1EEEvT1_
    .private_segment_fixed_size: 0
    .sgpr_count:     4
    .sgpr_spill_count: 0
    .symbol:         _ZN7rocprim17ROCPRIM_400000_NS6detail17trampoline_kernelINS0_14default_configENS1_20scan_config_selectorIsEEZZNS1_9scan_implILNS1_25lookback_scan_determinismE0ELb0ELb1ES3_N6thrust23THRUST_200600_302600_NS6detail15normal_iteratorINS9_10device_ptrIsEEEESE_sNS9_4plusIsEEsEEDaPvRmT3_T4_T5_mT6_P12ihipStream_tbENKUlT_T0_E_clISt17integral_constantIbLb0EESU_EEDaSP_SQ_EUlSP_E0_NS1_11comp_targetILNS1_3genE2ELNS1_11target_archE906ELNS1_3gpuE6ELNS1_3repE0EEENS1_30default_config_static_selectorELNS0_4arch9wavefront6targetE1EEEvT1_.kd
    .uniform_work_group_size: 1
    .uses_dynamic_stack: false
    .vgpr_count:     0
    .vgpr_spill_count: 0
    .wavefront_size: 64
  - .agpr_count:     0
    .args:
      - .offset:         0
        .size:           32
        .value_kind:     by_value
    .group_segment_fixed_size: 0
    .kernarg_segment_align: 8
    .kernarg_segment_size: 32
    .language:       OpenCL C
    .language_version:
      - 2
      - 0
    .max_flat_workgroup_size: 256
    .name:           _ZN7rocprim17ROCPRIM_400000_NS6detail17trampoline_kernelINS0_14default_configENS1_20scan_config_selectorIsEEZZNS1_9scan_implILNS1_25lookback_scan_determinismE0ELb0ELb1ES3_N6thrust23THRUST_200600_302600_NS6detail15normal_iteratorINS9_10device_ptrIsEEEESE_sNS9_4plusIsEEsEEDaPvRmT3_T4_T5_mT6_P12ihipStream_tbENKUlT_T0_E_clISt17integral_constantIbLb0EESU_EEDaSP_SQ_EUlSP_E0_NS1_11comp_targetILNS1_3genE10ELNS1_11target_archE1201ELNS1_3gpuE5ELNS1_3repE0EEENS1_30default_config_static_selectorELNS0_4arch9wavefront6targetE1EEEvT1_
    .private_segment_fixed_size: 0
    .sgpr_count:     4
    .sgpr_spill_count: 0
    .symbol:         _ZN7rocprim17ROCPRIM_400000_NS6detail17trampoline_kernelINS0_14default_configENS1_20scan_config_selectorIsEEZZNS1_9scan_implILNS1_25lookback_scan_determinismE0ELb0ELb1ES3_N6thrust23THRUST_200600_302600_NS6detail15normal_iteratorINS9_10device_ptrIsEEEESE_sNS9_4plusIsEEsEEDaPvRmT3_T4_T5_mT6_P12ihipStream_tbENKUlT_T0_E_clISt17integral_constantIbLb0EESU_EEDaSP_SQ_EUlSP_E0_NS1_11comp_targetILNS1_3genE10ELNS1_11target_archE1201ELNS1_3gpuE5ELNS1_3repE0EEENS1_30default_config_static_selectorELNS0_4arch9wavefront6targetE1EEEvT1_.kd
    .uniform_work_group_size: 1
    .uses_dynamic_stack: false
    .vgpr_count:     0
    .vgpr_spill_count: 0
    .wavefront_size: 64
  - .agpr_count:     0
    .args:
      - .offset:         0
        .size:           32
        .value_kind:     by_value
    .group_segment_fixed_size: 0
    .kernarg_segment_align: 8
    .kernarg_segment_size: 32
    .language:       OpenCL C
    .language_version:
      - 2
      - 0
    .max_flat_workgroup_size: 256
    .name:           _ZN7rocprim17ROCPRIM_400000_NS6detail17trampoline_kernelINS0_14default_configENS1_20scan_config_selectorIsEEZZNS1_9scan_implILNS1_25lookback_scan_determinismE0ELb0ELb1ES3_N6thrust23THRUST_200600_302600_NS6detail15normal_iteratorINS9_10device_ptrIsEEEESE_sNS9_4plusIsEEsEEDaPvRmT3_T4_T5_mT6_P12ihipStream_tbENKUlT_T0_E_clISt17integral_constantIbLb0EESU_EEDaSP_SQ_EUlSP_E0_NS1_11comp_targetILNS1_3genE10ELNS1_11target_archE1200ELNS1_3gpuE4ELNS1_3repE0EEENS1_30default_config_static_selectorELNS0_4arch9wavefront6targetE1EEEvT1_
    .private_segment_fixed_size: 0
    .sgpr_count:     4
    .sgpr_spill_count: 0
    .symbol:         _ZN7rocprim17ROCPRIM_400000_NS6detail17trampoline_kernelINS0_14default_configENS1_20scan_config_selectorIsEEZZNS1_9scan_implILNS1_25lookback_scan_determinismE0ELb0ELb1ES3_N6thrust23THRUST_200600_302600_NS6detail15normal_iteratorINS9_10device_ptrIsEEEESE_sNS9_4plusIsEEsEEDaPvRmT3_T4_T5_mT6_P12ihipStream_tbENKUlT_T0_E_clISt17integral_constantIbLb0EESU_EEDaSP_SQ_EUlSP_E0_NS1_11comp_targetILNS1_3genE10ELNS1_11target_archE1200ELNS1_3gpuE4ELNS1_3repE0EEENS1_30default_config_static_selectorELNS0_4arch9wavefront6targetE1EEEvT1_.kd
    .uniform_work_group_size: 1
    .uses_dynamic_stack: false
    .vgpr_count:     0
    .vgpr_spill_count: 0
    .wavefront_size: 64
  - .agpr_count:     0
    .args:
      - .offset:         0
        .size:           32
        .value_kind:     by_value
    .group_segment_fixed_size: 0
    .kernarg_segment_align: 8
    .kernarg_segment_size: 32
    .language:       OpenCL C
    .language_version:
      - 2
      - 0
    .max_flat_workgroup_size: 64
    .name:           _ZN7rocprim17ROCPRIM_400000_NS6detail17trampoline_kernelINS0_14default_configENS1_20scan_config_selectorIsEEZZNS1_9scan_implILNS1_25lookback_scan_determinismE0ELb0ELb1ES3_N6thrust23THRUST_200600_302600_NS6detail15normal_iteratorINS9_10device_ptrIsEEEESE_sNS9_4plusIsEEsEEDaPvRmT3_T4_T5_mT6_P12ihipStream_tbENKUlT_T0_E_clISt17integral_constantIbLb0EESU_EEDaSP_SQ_EUlSP_E0_NS1_11comp_targetILNS1_3genE9ELNS1_11target_archE1100ELNS1_3gpuE3ELNS1_3repE0EEENS1_30default_config_static_selectorELNS0_4arch9wavefront6targetE1EEEvT1_
    .private_segment_fixed_size: 0
    .sgpr_count:     4
    .sgpr_spill_count: 0
    .symbol:         _ZN7rocprim17ROCPRIM_400000_NS6detail17trampoline_kernelINS0_14default_configENS1_20scan_config_selectorIsEEZZNS1_9scan_implILNS1_25lookback_scan_determinismE0ELb0ELb1ES3_N6thrust23THRUST_200600_302600_NS6detail15normal_iteratorINS9_10device_ptrIsEEEESE_sNS9_4plusIsEEsEEDaPvRmT3_T4_T5_mT6_P12ihipStream_tbENKUlT_T0_E_clISt17integral_constantIbLb0EESU_EEDaSP_SQ_EUlSP_E0_NS1_11comp_targetILNS1_3genE9ELNS1_11target_archE1100ELNS1_3gpuE3ELNS1_3repE0EEENS1_30default_config_static_selectorELNS0_4arch9wavefront6targetE1EEEvT1_.kd
    .uniform_work_group_size: 1
    .uses_dynamic_stack: false
    .vgpr_count:     0
    .vgpr_spill_count: 0
    .wavefront_size: 64
  - .agpr_count:     0
    .args:
      - .offset:         0
        .size:           32
        .value_kind:     by_value
    .group_segment_fixed_size: 0
    .kernarg_segment_align: 8
    .kernarg_segment_size: 32
    .language:       OpenCL C
    .language_version:
      - 2
      - 0
    .max_flat_workgroup_size: 64
    .name:           _ZN7rocprim17ROCPRIM_400000_NS6detail17trampoline_kernelINS0_14default_configENS1_20scan_config_selectorIsEEZZNS1_9scan_implILNS1_25lookback_scan_determinismE0ELb0ELb1ES3_N6thrust23THRUST_200600_302600_NS6detail15normal_iteratorINS9_10device_ptrIsEEEESE_sNS9_4plusIsEEsEEDaPvRmT3_T4_T5_mT6_P12ihipStream_tbENKUlT_T0_E_clISt17integral_constantIbLb0EESU_EEDaSP_SQ_EUlSP_E0_NS1_11comp_targetILNS1_3genE8ELNS1_11target_archE1030ELNS1_3gpuE2ELNS1_3repE0EEENS1_30default_config_static_selectorELNS0_4arch9wavefront6targetE1EEEvT1_
    .private_segment_fixed_size: 0
    .sgpr_count:     4
    .sgpr_spill_count: 0
    .symbol:         _ZN7rocprim17ROCPRIM_400000_NS6detail17trampoline_kernelINS0_14default_configENS1_20scan_config_selectorIsEEZZNS1_9scan_implILNS1_25lookback_scan_determinismE0ELb0ELb1ES3_N6thrust23THRUST_200600_302600_NS6detail15normal_iteratorINS9_10device_ptrIsEEEESE_sNS9_4plusIsEEsEEDaPvRmT3_T4_T5_mT6_P12ihipStream_tbENKUlT_T0_E_clISt17integral_constantIbLb0EESU_EEDaSP_SQ_EUlSP_E0_NS1_11comp_targetILNS1_3genE8ELNS1_11target_archE1030ELNS1_3gpuE2ELNS1_3repE0EEENS1_30default_config_static_selectorELNS0_4arch9wavefront6targetE1EEEvT1_.kd
    .uniform_work_group_size: 1
    .uses_dynamic_stack: false
    .vgpr_count:     0
    .vgpr_spill_count: 0
    .wavefront_size: 64
  - .agpr_count:     0
    .args:
      - .offset:         0
        .size:           96
        .value_kind:     by_value
    .group_segment_fixed_size: 0
    .kernarg_segment_align: 8
    .kernarg_segment_size: 96
    .language:       OpenCL C
    .language_version:
      - 2
      - 0
    .max_flat_workgroup_size: 128
    .name:           _ZN7rocprim17ROCPRIM_400000_NS6detail17trampoline_kernelINS0_14default_configENS1_20scan_config_selectorIsEEZZNS1_9scan_implILNS1_25lookback_scan_determinismE0ELb0ELb1ES3_N6thrust23THRUST_200600_302600_NS6detail15normal_iteratorINS9_10device_ptrIsEEEESE_sNS9_4plusIsEEsEEDaPvRmT3_T4_T5_mT6_P12ihipStream_tbENKUlT_T0_E_clISt17integral_constantIbLb1EESU_EEDaSP_SQ_EUlSP_E_NS1_11comp_targetILNS1_3genE0ELNS1_11target_archE4294967295ELNS1_3gpuE0ELNS1_3repE0EEENS1_30default_config_static_selectorELNS0_4arch9wavefront6targetE1EEEvT1_
    .private_segment_fixed_size: 0
    .sgpr_count:     4
    .sgpr_spill_count: 0
    .symbol:         _ZN7rocprim17ROCPRIM_400000_NS6detail17trampoline_kernelINS0_14default_configENS1_20scan_config_selectorIsEEZZNS1_9scan_implILNS1_25lookback_scan_determinismE0ELb0ELb1ES3_N6thrust23THRUST_200600_302600_NS6detail15normal_iteratorINS9_10device_ptrIsEEEESE_sNS9_4plusIsEEsEEDaPvRmT3_T4_T5_mT6_P12ihipStream_tbENKUlT_T0_E_clISt17integral_constantIbLb1EESU_EEDaSP_SQ_EUlSP_E_NS1_11comp_targetILNS1_3genE0ELNS1_11target_archE4294967295ELNS1_3gpuE0ELNS1_3repE0EEENS1_30default_config_static_selectorELNS0_4arch9wavefront6targetE1EEEvT1_.kd
    .uniform_work_group_size: 1
    .uses_dynamic_stack: false
    .vgpr_count:     0
    .vgpr_spill_count: 0
    .wavefront_size: 64
  - .agpr_count:     0
    .args:
      - .offset:         0
        .size:           96
        .value_kind:     by_value
    .group_segment_fixed_size: 0
    .kernarg_segment_align: 8
    .kernarg_segment_size: 96
    .language:       OpenCL C
    .language_version:
      - 2
      - 0
    .max_flat_workgroup_size: 256
    .name:           _ZN7rocprim17ROCPRIM_400000_NS6detail17trampoline_kernelINS0_14default_configENS1_20scan_config_selectorIsEEZZNS1_9scan_implILNS1_25lookback_scan_determinismE0ELb0ELb1ES3_N6thrust23THRUST_200600_302600_NS6detail15normal_iteratorINS9_10device_ptrIsEEEESE_sNS9_4plusIsEEsEEDaPvRmT3_T4_T5_mT6_P12ihipStream_tbENKUlT_T0_E_clISt17integral_constantIbLb1EESU_EEDaSP_SQ_EUlSP_E_NS1_11comp_targetILNS1_3genE5ELNS1_11target_archE942ELNS1_3gpuE9ELNS1_3repE0EEENS1_30default_config_static_selectorELNS0_4arch9wavefront6targetE1EEEvT1_
    .private_segment_fixed_size: 0
    .sgpr_count:     4
    .sgpr_spill_count: 0
    .symbol:         _ZN7rocprim17ROCPRIM_400000_NS6detail17trampoline_kernelINS0_14default_configENS1_20scan_config_selectorIsEEZZNS1_9scan_implILNS1_25lookback_scan_determinismE0ELb0ELb1ES3_N6thrust23THRUST_200600_302600_NS6detail15normal_iteratorINS9_10device_ptrIsEEEESE_sNS9_4plusIsEEsEEDaPvRmT3_T4_T5_mT6_P12ihipStream_tbENKUlT_T0_E_clISt17integral_constantIbLb1EESU_EEDaSP_SQ_EUlSP_E_NS1_11comp_targetILNS1_3genE5ELNS1_11target_archE942ELNS1_3gpuE9ELNS1_3repE0EEENS1_30default_config_static_selectorELNS0_4arch9wavefront6targetE1EEEvT1_.kd
    .uniform_work_group_size: 1
    .uses_dynamic_stack: false
    .vgpr_count:     0
    .vgpr_spill_count: 0
    .wavefront_size: 64
  - .agpr_count:     0
    .args:
      - .offset:         0
        .size:           96
        .value_kind:     by_value
    .group_segment_fixed_size: 3072
    .kernarg_segment_align: 8
    .kernarg_segment_size: 96
    .language:       OpenCL C
    .language_version:
      - 2
      - 0
    .max_flat_workgroup_size: 64
    .name:           _ZN7rocprim17ROCPRIM_400000_NS6detail17trampoline_kernelINS0_14default_configENS1_20scan_config_selectorIsEEZZNS1_9scan_implILNS1_25lookback_scan_determinismE0ELb0ELb1ES3_N6thrust23THRUST_200600_302600_NS6detail15normal_iteratorINS9_10device_ptrIsEEEESE_sNS9_4plusIsEEsEEDaPvRmT3_T4_T5_mT6_P12ihipStream_tbENKUlT_T0_E_clISt17integral_constantIbLb1EESU_EEDaSP_SQ_EUlSP_E_NS1_11comp_targetILNS1_3genE4ELNS1_11target_archE910ELNS1_3gpuE8ELNS1_3repE0EEENS1_30default_config_static_selectorELNS0_4arch9wavefront6targetE1EEEvT1_
    .private_segment_fixed_size: 0
    .sgpr_count:     42
    .sgpr_spill_count: 0
    .symbol:         _ZN7rocprim17ROCPRIM_400000_NS6detail17trampoline_kernelINS0_14default_configENS1_20scan_config_selectorIsEEZZNS1_9scan_implILNS1_25lookback_scan_determinismE0ELb0ELb1ES3_N6thrust23THRUST_200600_302600_NS6detail15normal_iteratorINS9_10device_ptrIsEEEESE_sNS9_4plusIsEEsEEDaPvRmT3_T4_T5_mT6_P12ihipStream_tbENKUlT_T0_E_clISt17integral_constantIbLb1EESU_EEDaSP_SQ_EUlSP_E_NS1_11comp_targetILNS1_3genE4ELNS1_11target_archE910ELNS1_3gpuE8ELNS1_3repE0EEENS1_30default_config_static_selectorELNS0_4arch9wavefront6targetE1EEEvT1_.kd
    .uniform_work_group_size: 1
    .uses_dynamic_stack: false
    .vgpr_count:     67
    .vgpr_spill_count: 0
    .wavefront_size: 64
  - .agpr_count:     0
    .args:
      - .offset:         0
        .size:           96
        .value_kind:     by_value
    .group_segment_fixed_size: 0
    .kernarg_segment_align: 8
    .kernarg_segment_size: 96
    .language:       OpenCL C
    .language_version:
      - 2
      - 0
    .max_flat_workgroup_size: 128
    .name:           _ZN7rocprim17ROCPRIM_400000_NS6detail17trampoline_kernelINS0_14default_configENS1_20scan_config_selectorIsEEZZNS1_9scan_implILNS1_25lookback_scan_determinismE0ELb0ELb1ES3_N6thrust23THRUST_200600_302600_NS6detail15normal_iteratorINS9_10device_ptrIsEEEESE_sNS9_4plusIsEEsEEDaPvRmT3_T4_T5_mT6_P12ihipStream_tbENKUlT_T0_E_clISt17integral_constantIbLb1EESU_EEDaSP_SQ_EUlSP_E_NS1_11comp_targetILNS1_3genE3ELNS1_11target_archE908ELNS1_3gpuE7ELNS1_3repE0EEENS1_30default_config_static_selectorELNS0_4arch9wavefront6targetE1EEEvT1_
    .private_segment_fixed_size: 0
    .sgpr_count:     4
    .sgpr_spill_count: 0
    .symbol:         _ZN7rocprim17ROCPRIM_400000_NS6detail17trampoline_kernelINS0_14default_configENS1_20scan_config_selectorIsEEZZNS1_9scan_implILNS1_25lookback_scan_determinismE0ELb0ELb1ES3_N6thrust23THRUST_200600_302600_NS6detail15normal_iteratorINS9_10device_ptrIsEEEESE_sNS9_4plusIsEEsEEDaPvRmT3_T4_T5_mT6_P12ihipStream_tbENKUlT_T0_E_clISt17integral_constantIbLb1EESU_EEDaSP_SQ_EUlSP_E_NS1_11comp_targetILNS1_3genE3ELNS1_11target_archE908ELNS1_3gpuE7ELNS1_3repE0EEENS1_30default_config_static_selectorELNS0_4arch9wavefront6targetE1EEEvT1_.kd
    .uniform_work_group_size: 1
    .uses_dynamic_stack: false
    .vgpr_count:     0
    .vgpr_spill_count: 0
    .wavefront_size: 64
  - .agpr_count:     0
    .args:
      - .offset:         0
        .size:           96
        .value_kind:     by_value
    .group_segment_fixed_size: 0
    .kernarg_segment_align: 8
    .kernarg_segment_size: 96
    .language:       OpenCL C
    .language_version:
      - 2
      - 0
    .max_flat_workgroup_size: 256
    .name:           _ZN7rocprim17ROCPRIM_400000_NS6detail17trampoline_kernelINS0_14default_configENS1_20scan_config_selectorIsEEZZNS1_9scan_implILNS1_25lookback_scan_determinismE0ELb0ELb1ES3_N6thrust23THRUST_200600_302600_NS6detail15normal_iteratorINS9_10device_ptrIsEEEESE_sNS9_4plusIsEEsEEDaPvRmT3_T4_T5_mT6_P12ihipStream_tbENKUlT_T0_E_clISt17integral_constantIbLb1EESU_EEDaSP_SQ_EUlSP_E_NS1_11comp_targetILNS1_3genE2ELNS1_11target_archE906ELNS1_3gpuE6ELNS1_3repE0EEENS1_30default_config_static_selectorELNS0_4arch9wavefront6targetE1EEEvT1_
    .private_segment_fixed_size: 0
    .sgpr_count:     4
    .sgpr_spill_count: 0
    .symbol:         _ZN7rocprim17ROCPRIM_400000_NS6detail17trampoline_kernelINS0_14default_configENS1_20scan_config_selectorIsEEZZNS1_9scan_implILNS1_25lookback_scan_determinismE0ELb0ELb1ES3_N6thrust23THRUST_200600_302600_NS6detail15normal_iteratorINS9_10device_ptrIsEEEESE_sNS9_4plusIsEEsEEDaPvRmT3_T4_T5_mT6_P12ihipStream_tbENKUlT_T0_E_clISt17integral_constantIbLb1EESU_EEDaSP_SQ_EUlSP_E_NS1_11comp_targetILNS1_3genE2ELNS1_11target_archE906ELNS1_3gpuE6ELNS1_3repE0EEENS1_30default_config_static_selectorELNS0_4arch9wavefront6targetE1EEEvT1_.kd
    .uniform_work_group_size: 1
    .uses_dynamic_stack: false
    .vgpr_count:     0
    .vgpr_spill_count: 0
    .wavefront_size: 64
  - .agpr_count:     0
    .args:
      - .offset:         0
        .size:           96
        .value_kind:     by_value
    .group_segment_fixed_size: 0
    .kernarg_segment_align: 8
    .kernarg_segment_size: 96
    .language:       OpenCL C
    .language_version:
      - 2
      - 0
    .max_flat_workgroup_size: 256
    .name:           _ZN7rocprim17ROCPRIM_400000_NS6detail17trampoline_kernelINS0_14default_configENS1_20scan_config_selectorIsEEZZNS1_9scan_implILNS1_25lookback_scan_determinismE0ELb0ELb1ES3_N6thrust23THRUST_200600_302600_NS6detail15normal_iteratorINS9_10device_ptrIsEEEESE_sNS9_4plusIsEEsEEDaPvRmT3_T4_T5_mT6_P12ihipStream_tbENKUlT_T0_E_clISt17integral_constantIbLb1EESU_EEDaSP_SQ_EUlSP_E_NS1_11comp_targetILNS1_3genE10ELNS1_11target_archE1201ELNS1_3gpuE5ELNS1_3repE0EEENS1_30default_config_static_selectorELNS0_4arch9wavefront6targetE1EEEvT1_
    .private_segment_fixed_size: 0
    .sgpr_count:     4
    .sgpr_spill_count: 0
    .symbol:         _ZN7rocprim17ROCPRIM_400000_NS6detail17trampoline_kernelINS0_14default_configENS1_20scan_config_selectorIsEEZZNS1_9scan_implILNS1_25lookback_scan_determinismE0ELb0ELb1ES3_N6thrust23THRUST_200600_302600_NS6detail15normal_iteratorINS9_10device_ptrIsEEEESE_sNS9_4plusIsEEsEEDaPvRmT3_T4_T5_mT6_P12ihipStream_tbENKUlT_T0_E_clISt17integral_constantIbLb1EESU_EEDaSP_SQ_EUlSP_E_NS1_11comp_targetILNS1_3genE10ELNS1_11target_archE1201ELNS1_3gpuE5ELNS1_3repE0EEENS1_30default_config_static_selectorELNS0_4arch9wavefront6targetE1EEEvT1_.kd
    .uniform_work_group_size: 1
    .uses_dynamic_stack: false
    .vgpr_count:     0
    .vgpr_spill_count: 0
    .wavefront_size: 64
  - .agpr_count:     0
    .args:
      - .offset:         0
        .size:           96
        .value_kind:     by_value
    .group_segment_fixed_size: 0
    .kernarg_segment_align: 8
    .kernarg_segment_size: 96
    .language:       OpenCL C
    .language_version:
      - 2
      - 0
    .max_flat_workgroup_size: 256
    .name:           _ZN7rocprim17ROCPRIM_400000_NS6detail17trampoline_kernelINS0_14default_configENS1_20scan_config_selectorIsEEZZNS1_9scan_implILNS1_25lookback_scan_determinismE0ELb0ELb1ES3_N6thrust23THRUST_200600_302600_NS6detail15normal_iteratorINS9_10device_ptrIsEEEESE_sNS9_4plusIsEEsEEDaPvRmT3_T4_T5_mT6_P12ihipStream_tbENKUlT_T0_E_clISt17integral_constantIbLb1EESU_EEDaSP_SQ_EUlSP_E_NS1_11comp_targetILNS1_3genE10ELNS1_11target_archE1200ELNS1_3gpuE4ELNS1_3repE0EEENS1_30default_config_static_selectorELNS0_4arch9wavefront6targetE1EEEvT1_
    .private_segment_fixed_size: 0
    .sgpr_count:     4
    .sgpr_spill_count: 0
    .symbol:         _ZN7rocprim17ROCPRIM_400000_NS6detail17trampoline_kernelINS0_14default_configENS1_20scan_config_selectorIsEEZZNS1_9scan_implILNS1_25lookback_scan_determinismE0ELb0ELb1ES3_N6thrust23THRUST_200600_302600_NS6detail15normal_iteratorINS9_10device_ptrIsEEEESE_sNS9_4plusIsEEsEEDaPvRmT3_T4_T5_mT6_P12ihipStream_tbENKUlT_T0_E_clISt17integral_constantIbLb1EESU_EEDaSP_SQ_EUlSP_E_NS1_11comp_targetILNS1_3genE10ELNS1_11target_archE1200ELNS1_3gpuE4ELNS1_3repE0EEENS1_30default_config_static_selectorELNS0_4arch9wavefront6targetE1EEEvT1_.kd
    .uniform_work_group_size: 1
    .uses_dynamic_stack: false
    .vgpr_count:     0
    .vgpr_spill_count: 0
    .wavefront_size: 64
  - .agpr_count:     0
    .args:
      - .offset:         0
        .size:           96
        .value_kind:     by_value
    .group_segment_fixed_size: 0
    .kernarg_segment_align: 8
    .kernarg_segment_size: 96
    .language:       OpenCL C
    .language_version:
      - 2
      - 0
    .max_flat_workgroup_size: 64
    .name:           _ZN7rocprim17ROCPRIM_400000_NS6detail17trampoline_kernelINS0_14default_configENS1_20scan_config_selectorIsEEZZNS1_9scan_implILNS1_25lookback_scan_determinismE0ELb0ELb1ES3_N6thrust23THRUST_200600_302600_NS6detail15normal_iteratorINS9_10device_ptrIsEEEESE_sNS9_4plusIsEEsEEDaPvRmT3_T4_T5_mT6_P12ihipStream_tbENKUlT_T0_E_clISt17integral_constantIbLb1EESU_EEDaSP_SQ_EUlSP_E_NS1_11comp_targetILNS1_3genE9ELNS1_11target_archE1100ELNS1_3gpuE3ELNS1_3repE0EEENS1_30default_config_static_selectorELNS0_4arch9wavefront6targetE1EEEvT1_
    .private_segment_fixed_size: 0
    .sgpr_count:     4
    .sgpr_spill_count: 0
    .symbol:         _ZN7rocprim17ROCPRIM_400000_NS6detail17trampoline_kernelINS0_14default_configENS1_20scan_config_selectorIsEEZZNS1_9scan_implILNS1_25lookback_scan_determinismE0ELb0ELb1ES3_N6thrust23THRUST_200600_302600_NS6detail15normal_iteratorINS9_10device_ptrIsEEEESE_sNS9_4plusIsEEsEEDaPvRmT3_T4_T5_mT6_P12ihipStream_tbENKUlT_T0_E_clISt17integral_constantIbLb1EESU_EEDaSP_SQ_EUlSP_E_NS1_11comp_targetILNS1_3genE9ELNS1_11target_archE1100ELNS1_3gpuE3ELNS1_3repE0EEENS1_30default_config_static_selectorELNS0_4arch9wavefront6targetE1EEEvT1_.kd
    .uniform_work_group_size: 1
    .uses_dynamic_stack: false
    .vgpr_count:     0
    .vgpr_spill_count: 0
    .wavefront_size: 64
  - .agpr_count:     0
    .args:
      - .offset:         0
        .size:           96
        .value_kind:     by_value
    .group_segment_fixed_size: 0
    .kernarg_segment_align: 8
    .kernarg_segment_size: 96
    .language:       OpenCL C
    .language_version:
      - 2
      - 0
    .max_flat_workgroup_size: 64
    .name:           _ZN7rocprim17ROCPRIM_400000_NS6detail17trampoline_kernelINS0_14default_configENS1_20scan_config_selectorIsEEZZNS1_9scan_implILNS1_25lookback_scan_determinismE0ELb0ELb1ES3_N6thrust23THRUST_200600_302600_NS6detail15normal_iteratorINS9_10device_ptrIsEEEESE_sNS9_4plusIsEEsEEDaPvRmT3_T4_T5_mT6_P12ihipStream_tbENKUlT_T0_E_clISt17integral_constantIbLb1EESU_EEDaSP_SQ_EUlSP_E_NS1_11comp_targetILNS1_3genE8ELNS1_11target_archE1030ELNS1_3gpuE2ELNS1_3repE0EEENS1_30default_config_static_selectorELNS0_4arch9wavefront6targetE1EEEvT1_
    .private_segment_fixed_size: 0
    .sgpr_count:     4
    .sgpr_spill_count: 0
    .symbol:         _ZN7rocprim17ROCPRIM_400000_NS6detail17trampoline_kernelINS0_14default_configENS1_20scan_config_selectorIsEEZZNS1_9scan_implILNS1_25lookback_scan_determinismE0ELb0ELb1ES3_N6thrust23THRUST_200600_302600_NS6detail15normal_iteratorINS9_10device_ptrIsEEEESE_sNS9_4plusIsEEsEEDaPvRmT3_T4_T5_mT6_P12ihipStream_tbENKUlT_T0_E_clISt17integral_constantIbLb1EESU_EEDaSP_SQ_EUlSP_E_NS1_11comp_targetILNS1_3genE8ELNS1_11target_archE1030ELNS1_3gpuE2ELNS1_3repE0EEENS1_30default_config_static_selectorELNS0_4arch9wavefront6targetE1EEEvT1_.kd
    .uniform_work_group_size: 1
    .uses_dynamic_stack: false
    .vgpr_count:     0
    .vgpr_spill_count: 0
    .wavefront_size: 64
  - .agpr_count:     0
    .args:
      - .offset:         0
        .size:           32
        .value_kind:     by_value
    .group_segment_fixed_size: 0
    .kernarg_segment_align: 8
    .kernarg_segment_size: 32
    .language:       OpenCL C
    .language_version:
      - 2
      - 0
    .max_flat_workgroup_size: 128
    .name:           _ZN7rocprim17ROCPRIM_400000_NS6detail17trampoline_kernelINS0_14default_configENS1_20scan_config_selectorIsEEZZNS1_9scan_implILNS1_25lookback_scan_determinismE0ELb0ELb1ES3_N6thrust23THRUST_200600_302600_NS6detail15normal_iteratorINS9_10device_ptrIsEEEESE_sNS9_4plusIsEEsEEDaPvRmT3_T4_T5_mT6_P12ihipStream_tbENKUlT_T0_E_clISt17integral_constantIbLb1EESU_EEDaSP_SQ_EUlSP_E0_NS1_11comp_targetILNS1_3genE0ELNS1_11target_archE4294967295ELNS1_3gpuE0ELNS1_3repE0EEENS1_30default_config_static_selectorELNS0_4arch9wavefront6targetE1EEEvT1_
    .private_segment_fixed_size: 0
    .sgpr_count:     4
    .sgpr_spill_count: 0
    .symbol:         _ZN7rocprim17ROCPRIM_400000_NS6detail17trampoline_kernelINS0_14default_configENS1_20scan_config_selectorIsEEZZNS1_9scan_implILNS1_25lookback_scan_determinismE0ELb0ELb1ES3_N6thrust23THRUST_200600_302600_NS6detail15normal_iteratorINS9_10device_ptrIsEEEESE_sNS9_4plusIsEEsEEDaPvRmT3_T4_T5_mT6_P12ihipStream_tbENKUlT_T0_E_clISt17integral_constantIbLb1EESU_EEDaSP_SQ_EUlSP_E0_NS1_11comp_targetILNS1_3genE0ELNS1_11target_archE4294967295ELNS1_3gpuE0ELNS1_3repE0EEENS1_30default_config_static_selectorELNS0_4arch9wavefront6targetE1EEEvT1_.kd
    .uniform_work_group_size: 1
    .uses_dynamic_stack: false
    .vgpr_count:     0
    .vgpr_spill_count: 0
    .wavefront_size: 64
  - .agpr_count:     0
    .args:
      - .offset:         0
        .size:           32
        .value_kind:     by_value
    .group_segment_fixed_size: 0
    .kernarg_segment_align: 8
    .kernarg_segment_size: 32
    .language:       OpenCL C
    .language_version:
      - 2
      - 0
    .max_flat_workgroup_size: 256
    .name:           _ZN7rocprim17ROCPRIM_400000_NS6detail17trampoline_kernelINS0_14default_configENS1_20scan_config_selectorIsEEZZNS1_9scan_implILNS1_25lookback_scan_determinismE0ELb0ELb1ES3_N6thrust23THRUST_200600_302600_NS6detail15normal_iteratorINS9_10device_ptrIsEEEESE_sNS9_4plusIsEEsEEDaPvRmT3_T4_T5_mT6_P12ihipStream_tbENKUlT_T0_E_clISt17integral_constantIbLb1EESU_EEDaSP_SQ_EUlSP_E0_NS1_11comp_targetILNS1_3genE5ELNS1_11target_archE942ELNS1_3gpuE9ELNS1_3repE0EEENS1_30default_config_static_selectorELNS0_4arch9wavefront6targetE1EEEvT1_
    .private_segment_fixed_size: 0
    .sgpr_count:     4
    .sgpr_spill_count: 0
    .symbol:         _ZN7rocprim17ROCPRIM_400000_NS6detail17trampoline_kernelINS0_14default_configENS1_20scan_config_selectorIsEEZZNS1_9scan_implILNS1_25lookback_scan_determinismE0ELb0ELb1ES3_N6thrust23THRUST_200600_302600_NS6detail15normal_iteratorINS9_10device_ptrIsEEEESE_sNS9_4plusIsEEsEEDaPvRmT3_T4_T5_mT6_P12ihipStream_tbENKUlT_T0_E_clISt17integral_constantIbLb1EESU_EEDaSP_SQ_EUlSP_E0_NS1_11comp_targetILNS1_3genE5ELNS1_11target_archE942ELNS1_3gpuE9ELNS1_3repE0EEENS1_30default_config_static_selectorELNS0_4arch9wavefront6targetE1EEEvT1_.kd
    .uniform_work_group_size: 1
    .uses_dynamic_stack: false
    .vgpr_count:     0
    .vgpr_spill_count: 0
    .wavefront_size: 64
  - .agpr_count:     0
    .args:
      - .offset:         0
        .size:           32
        .value_kind:     by_value
    .group_segment_fixed_size: 3072
    .kernarg_segment_align: 8
    .kernarg_segment_size: 32
    .language:       OpenCL C
    .language_version:
      - 2
      - 0
    .max_flat_workgroup_size: 64
    .name:           _ZN7rocprim17ROCPRIM_400000_NS6detail17trampoline_kernelINS0_14default_configENS1_20scan_config_selectorIsEEZZNS1_9scan_implILNS1_25lookback_scan_determinismE0ELb0ELb1ES3_N6thrust23THRUST_200600_302600_NS6detail15normal_iteratorINS9_10device_ptrIsEEEESE_sNS9_4plusIsEEsEEDaPvRmT3_T4_T5_mT6_P12ihipStream_tbENKUlT_T0_E_clISt17integral_constantIbLb1EESU_EEDaSP_SQ_EUlSP_E0_NS1_11comp_targetILNS1_3genE4ELNS1_11target_archE910ELNS1_3gpuE8ELNS1_3repE0EEENS1_30default_config_static_selectorELNS0_4arch9wavefront6targetE1EEEvT1_
    .private_segment_fixed_size: 0
    .sgpr_count:     60
    .sgpr_spill_count: 0
    .symbol:         _ZN7rocprim17ROCPRIM_400000_NS6detail17trampoline_kernelINS0_14default_configENS1_20scan_config_selectorIsEEZZNS1_9scan_implILNS1_25lookback_scan_determinismE0ELb0ELb1ES3_N6thrust23THRUST_200600_302600_NS6detail15normal_iteratorINS9_10device_ptrIsEEEESE_sNS9_4plusIsEEsEEDaPvRmT3_T4_T5_mT6_P12ihipStream_tbENKUlT_T0_E_clISt17integral_constantIbLb1EESU_EEDaSP_SQ_EUlSP_E0_NS1_11comp_targetILNS1_3genE4ELNS1_11target_archE910ELNS1_3gpuE8ELNS1_3repE0EEENS1_30default_config_static_selectorELNS0_4arch9wavefront6targetE1EEEvT1_.kd
    .uniform_work_group_size: 1
    .uses_dynamic_stack: false
    .vgpr_count:     40
    .vgpr_spill_count: 0
    .wavefront_size: 64
  - .agpr_count:     0
    .args:
      - .offset:         0
        .size:           32
        .value_kind:     by_value
    .group_segment_fixed_size: 0
    .kernarg_segment_align: 8
    .kernarg_segment_size: 32
    .language:       OpenCL C
    .language_version:
      - 2
      - 0
    .max_flat_workgroup_size: 128
    .name:           _ZN7rocprim17ROCPRIM_400000_NS6detail17trampoline_kernelINS0_14default_configENS1_20scan_config_selectorIsEEZZNS1_9scan_implILNS1_25lookback_scan_determinismE0ELb0ELb1ES3_N6thrust23THRUST_200600_302600_NS6detail15normal_iteratorINS9_10device_ptrIsEEEESE_sNS9_4plusIsEEsEEDaPvRmT3_T4_T5_mT6_P12ihipStream_tbENKUlT_T0_E_clISt17integral_constantIbLb1EESU_EEDaSP_SQ_EUlSP_E0_NS1_11comp_targetILNS1_3genE3ELNS1_11target_archE908ELNS1_3gpuE7ELNS1_3repE0EEENS1_30default_config_static_selectorELNS0_4arch9wavefront6targetE1EEEvT1_
    .private_segment_fixed_size: 0
    .sgpr_count:     4
    .sgpr_spill_count: 0
    .symbol:         _ZN7rocprim17ROCPRIM_400000_NS6detail17trampoline_kernelINS0_14default_configENS1_20scan_config_selectorIsEEZZNS1_9scan_implILNS1_25lookback_scan_determinismE0ELb0ELb1ES3_N6thrust23THRUST_200600_302600_NS6detail15normal_iteratorINS9_10device_ptrIsEEEESE_sNS9_4plusIsEEsEEDaPvRmT3_T4_T5_mT6_P12ihipStream_tbENKUlT_T0_E_clISt17integral_constantIbLb1EESU_EEDaSP_SQ_EUlSP_E0_NS1_11comp_targetILNS1_3genE3ELNS1_11target_archE908ELNS1_3gpuE7ELNS1_3repE0EEENS1_30default_config_static_selectorELNS0_4arch9wavefront6targetE1EEEvT1_.kd
    .uniform_work_group_size: 1
    .uses_dynamic_stack: false
    .vgpr_count:     0
    .vgpr_spill_count: 0
    .wavefront_size: 64
  - .agpr_count:     0
    .args:
      - .offset:         0
        .size:           32
        .value_kind:     by_value
    .group_segment_fixed_size: 0
    .kernarg_segment_align: 8
    .kernarg_segment_size: 32
    .language:       OpenCL C
    .language_version:
      - 2
      - 0
    .max_flat_workgroup_size: 256
    .name:           _ZN7rocprim17ROCPRIM_400000_NS6detail17trampoline_kernelINS0_14default_configENS1_20scan_config_selectorIsEEZZNS1_9scan_implILNS1_25lookback_scan_determinismE0ELb0ELb1ES3_N6thrust23THRUST_200600_302600_NS6detail15normal_iteratorINS9_10device_ptrIsEEEESE_sNS9_4plusIsEEsEEDaPvRmT3_T4_T5_mT6_P12ihipStream_tbENKUlT_T0_E_clISt17integral_constantIbLb1EESU_EEDaSP_SQ_EUlSP_E0_NS1_11comp_targetILNS1_3genE2ELNS1_11target_archE906ELNS1_3gpuE6ELNS1_3repE0EEENS1_30default_config_static_selectorELNS0_4arch9wavefront6targetE1EEEvT1_
    .private_segment_fixed_size: 0
    .sgpr_count:     4
    .sgpr_spill_count: 0
    .symbol:         _ZN7rocprim17ROCPRIM_400000_NS6detail17trampoline_kernelINS0_14default_configENS1_20scan_config_selectorIsEEZZNS1_9scan_implILNS1_25lookback_scan_determinismE0ELb0ELb1ES3_N6thrust23THRUST_200600_302600_NS6detail15normal_iteratorINS9_10device_ptrIsEEEESE_sNS9_4plusIsEEsEEDaPvRmT3_T4_T5_mT6_P12ihipStream_tbENKUlT_T0_E_clISt17integral_constantIbLb1EESU_EEDaSP_SQ_EUlSP_E0_NS1_11comp_targetILNS1_3genE2ELNS1_11target_archE906ELNS1_3gpuE6ELNS1_3repE0EEENS1_30default_config_static_selectorELNS0_4arch9wavefront6targetE1EEEvT1_.kd
    .uniform_work_group_size: 1
    .uses_dynamic_stack: false
    .vgpr_count:     0
    .vgpr_spill_count: 0
    .wavefront_size: 64
  - .agpr_count:     0
    .args:
      - .offset:         0
        .size:           32
        .value_kind:     by_value
    .group_segment_fixed_size: 0
    .kernarg_segment_align: 8
    .kernarg_segment_size: 32
    .language:       OpenCL C
    .language_version:
      - 2
      - 0
    .max_flat_workgroup_size: 256
    .name:           _ZN7rocprim17ROCPRIM_400000_NS6detail17trampoline_kernelINS0_14default_configENS1_20scan_config_selectorIsEEZZNS1_9scan_implILNS1_25lookback_scan_determinismE0ELb0ELb1ES3_N6thrust23THRUST_200600_302600_NS6detail15normal_iteratorINS9_10device_ptrIsEEEESE_sNS9_4plusIsEEsEEDaPvRmT3_T4_T5_mT6_P12ihipStream_tbENKUlT_T0_E_clISt17integral_constantIbLb1EESU_EEDaSP_SQ_EUlSP_E0_NS1_11comp_targetILNS1_3genE10ELNS1_11target_archE1201ELNS1_3gpuE5ELNS1_3repE0EEENS1_30default_config_static_selectorELNS0_4arch9wavefront6targetE1EEEvT1_
    .private_segment_fixed_size: 0
    .sgpr_count:     4
    .sgpr_spill_count: 0
    .symbol:         _ZN7rocprim17ROCPRIM_400000_NS6detail17trampoline_kernelINS0_14default_configENS1_20scan_config_selectorIsEEZZNS1_9scan_implILNS1_25lookback_scan_determinismE0ELb0ELb1ES3_N6thrust23THRUST_200600_302600_NS6detail15normal_iteratorINS9_10device_ptrIsEEEESE_sNS9_4plusIsEEsEEDaPvRmT3_T4_T5_mT6_P12ihipStream_tbENKUlT_T0_E_clISt17integral_constantIbLb1EESU_EEDaSP_SQ_EUlSP_E0_NS1_11comp_targetILNS1_3genE10ELNS1_11target_archE1201ELNS1_3gpuE5ELNS1_3repE0EEENS1_30default_config_static_selectorELNS0_4arch9wavefront6targetE1EEEvT1_.kd
    .uniform_work_group_size: 1
    .uses_dynamic_stack: false
    .vgpr_count:     0
    .vgpr_spill_count: 0
    .wavefront_size: 64
  - .agpr_count:     0
    .args:
      - .offset:         0
        .size:           32
        .value_kind:     by_value
    .group_segment_fixed_size: 0
    .kernarg_segment_align: 8
    .kernarg_segment_size: 32
    .language:       OpenCL C
    .language_version:
      - 2
      - 0
    .max_flat_workgroup_size: 256
    .name:           _ZN7rocprim17ROCPRIM_400000_NS6detail17trampoline_kernelINS0_14default_configENS1_20scan_config_selectorIsEEZZNS1_9scan_implILNS1_25lookback_scan_determinismE0ELb0ELb1ES3_N6thrust23THRUST_200600_302600_NS6detail15normal_iteratorINS9_10device_ptrIsEEEESE_sNS9_4plusIsEEsEEDaPvRmT3_T4_T5_mT6_P12ihipStream_tbENKUlT_T0_E_clISt17integral_constantIbLb1EESU_EEDaSP_SQ_EUlSP_E0_NS1_11comp_targetILNS1_3genE10ELNS1_11target_archE1200ELNS1_3gpuE4ELNS1_3repE0EEENS1_30default_config_static_selectorELNS0_4arch9wavefront6targetE1EEEvT1_
    .private_segment_fixed_size: 0
    .sgpr_count:     4
    .sgpr_spill_count: 0
    .symbol:         _ZN7rocprim17ROCPRIM_400000_NS6detail17trampoline_kernelINS0_14default_configENS1_20scan_config_selectorIsEEZZNS1_9scan_implILNS1_25lookback_scan_determinismE0ELb0ELb1ES3_N6thrust23THRUST_200600_302600_NS6detail15normal_iteratorINS9_10device_ptrIsEEEESE_sNS9_4plusIsEEsEEDaPvRmT3_T4_T5_mT6_P12ihipStream_tbENKUlT_T0_E_clISt17integral_constantIbLb1EESU_EEDaSP_SQ_EUlSP_E0_NS1_11comp_targetILNS1_3genE10ELNS1_11target_archE1200ELNS1_3gpuE4ELNS1_3repE0EEENS1_30default_config_static_selectorELNS0_4arch9wavefront6targetE1EEEvT1_.kd
    .uniform_work_group_size: 1
    .uses_dynamic_stack: false
    .vgpr_count:     0
    .vgpr_spill_count: 0
    .wavefront_size: 64
  - .agpr_count:     0
    .args:
      - .offset:         0
        .size:           32
        .value_kind:     by_value
    .group_segment_fixed_size: 0
    .kernarg_segment_align: 8
    .kernarg_segment_size: 32
    .language:       OpenCL C
    .language_version:
      - 2
      - 0
    .max_flat_workgroup_size: 64
    .name:           _ZN7rocprim17ROCPRIM_400000_NS6detail17trampoline_kernelINS0_14default_configENS1_20scan_config_selectorIsEEZZNS1_9scan_implILNS1_25lookback_scan_determinismE0ELb0ELb1ES3_N6thrust23THRUST_200600_302600_NS6detail15normal_iteratorINS9_10device_ptrIsEEEESE_sNS9_4plusIsEEsEEDaPvRmT3_T4_T5_mT6_P12ihipStream_tbENKUlT_T0_E_clISt17integral_constantIbLb1EESU_EEDaSP_SQ_EUlSP_E0_NS1_11comp_targetILNS1_3genE9ELNS1_11target_archE1100ELNS1_3gpuE3ELNS1_3repE0EEENS1_30default_config_static_selectorELNS0_4arch9wavefront6targetE1EEEvT1_
    .private_segment_fixed_size: 0
    .sgpr_count:     4
    .sgpr_spill_count: 0
    .symbol:         _ZN7rocprim17ROCPRIM_400000_NS6detail17trampoline_kernelINS0_14default_configENS1_20scan_config_selectorIsEEZZNS1_9scan_implILNS1_25lookback_scan_determinismE0ELb0ELb1ES3_N6thrust23THRUST_200600_302600_NS6detail15normal_iteratorINS9_10device_ptrIsEEEESE_sNS9_4plusIsEEsEEDaPvRmT3_T4_T5_mT6_P12ihipStream_tbENKUlT_T0_E_clISt17integral_constantIbLb1EESU_EEDaSP_SQ_EUlSP_E0_NS1_11comp_targetILNS1_3genE9ELNS1_11target_archE1100ELNS1_3gpuE3ELNS1_3repE0EEENS1_30default_config_static_selectorELNS0_4arch9wavefront6targetE1EEEvT1_.kd
    .uniform_work_group_size: 1
    .uses_dynamic_stack: false
    .vgpr_count:     0
    .vgpr_spill_count: 0
    .wavefront_size: 64
  - .agpr_count:     0
    .args:
      - .offset:         0
        .size:           32
        .value_kind:     by_value
    .group_segment_fixed_size: 0
    .kernarg_segment_align: 8
    .kernarg_segment_size: 32
    .language:       OpenCL C
    .language_version:
      - 2
      - 0
    .max_flat_workgroup_size: 64
    .name:           _ZN7rocprim17ROCPRIM_400000_NS6detail17trampoline_kernelINS0_14default_configENS1_20scan_config_selectorIsEEZZNS1_9scan_implILNS1_25lookback_scan_determinismE0ELb0ELb1ES3_N6thrust23THRUST_200600_302600_NS6detail15normal_iteratorINS9_10device_ptrIsEEEESE_sNS9_4plusIsEEsEEDaPvRmT3_T4_T5_mT6_P12ihipStream_tbENKUlT_T0_E_clISt17integral_constantIbLb1EESU_EEDaSP_SQ_EUlSP_E0_NS1_11comp_targetILNS1_3genE8ELNS1_11target_archE1030ELNS1_3gpuE2ELNS1_3repE0EEENS1_30default_config_static_selectorELNS0_4arch9wavefront6targetE1EEEvT1_
    .private_segment_fixed_size: 0
    .sgpr_count:     4
    .sgpr_spill_count: 0
    .symbol:         _ZN7rocprim17ROCPRIM_400000_NS6detail17trampoline_kernelINS0_14default_configENS1_20scan_config_selectorIsEEZZNS1_9scan_implILNS1_25lookback_scan_determinismE0ELb0ELb1ES3_N6thrust23THRUST_200600_302600_NS6detail15normal_iteratorINS9_10device_ptrIsEEEESE_sNS9_4plusIsEEsEEDaPvRmT3_T4_T5_mT6_P12ihipStream_tbENKUlT_T0_E_clISt17integral_constantIbLb1EESU_EEDaSP_SQ_EUlSP_E0_NS1_11comp_targetILNS1_3genE8ELNS1_11target_archE1030ELNS1_3gpuE2ELNS1_3repE0EEENS1_30default_config_static_selectorELNS0_4arch9wavefront6targetE1EEEvT1_.kd
    .uniform_work_group_size: 1
    .uses_dynamic_stack: false
    .vgpr_count:     0
    .vgpr_spill_count: 0
    .wavefront_size: 64
  - .agpr_count:     0
    .args:
      - .offset:         0
        .size:           96
        .value_kind:     by_value
    .group_segment_fixed_size: 0
    .kernarg_segment_align: 8
    .kernarg_segment_size: 96
    .language:       OpenCL C
    .language_version:
      - 2
      - 0
    .max_flat_workgroup_size: 128
    .name:           _ZN7rocprim17ROCPRIM_400000_NS6detail17trampoline_kernelINS0_14default_configENS1_20scan_config_selectorIsEEZZNS1_9scan_implILNS1_25lookback_scan_determinismE0ELb0ELb1ES3_N6thrust23THRUST_200600_302600_NS6detail15normal_iteratorINS9_10device_ptrIsEEEESE_sNS9_4plusIsEEsEEDaPvRmT3_T4_T5_mT6_P12ihipStream_tbENKUlT_T0_E_clISt17integral_constantIbLb1EEST_IbLb0EEEEDaSP_SQ_EUlSP_E_NS1_11comp_targetILNS1_3genE0ELNS1_11target_archE4294967295ELNS1_3gpuE0ELNS1_3repE0EEENS1_30default_config_static_selectorELNS0_4arch9wavefront6targetE1EEEvT1_
    .private_segment_fixed_size: 0
    .sgpr_count:     4
    .sgpr_spill_count: 0
    .symbol:         _ZN7rocprim17ROCPRIM_400000_NS6detail17trampoline_kernelINS0_14default_configENS1_20scan_config_selectorIsEEZZNS1_9scan_implILNS1_25lookback_scan_determinismE0ELb0ELb1ES3_N6thrust23THRUST_200600_302600_NS6detail15normal_iteratorINS9_10device_ptrIsEEEESE_sNS9_4plusIsEEsEEDaPvRmT3_T4_T5_mT6_P12ihipStream_tbENKUlT_T0_E_clISt17integral_constantIbLb1EEST_IbLb0EEEEDaSP_SQ_EUlSP_E_NS1_11comp_targetILNS1_3genE0ELNS1_11target_archE4294967295ELNS1_3gpuE0ELNS1_3repE0EEENS1_30default_config_static_selectorELNS0_4arch9wavefront6targetE1EEEvT1_.kd
    .uniform_work_group_size: 1
    .uses_dynamic_stack: false
    .vgpr_count:     0
    .vgpr_spill_count: 0
    .wavefront_size: 64
  - .agpr_count:     0
    .args:
      - .offset:         0
        .size:           96
        .value_kind:     by_value
    .group_segment_fixed_size: 0
    .kernarg_segment_align: 8
    .kernarg_segment_size: 96
    .language:       OpenCL C
    .language_version:
      - 2
      - 0
    .max_flat_workgroup_size: 256
    .name:           _ZN7rocprim17ROCPRIM_400000_NS6detail17trampoline_kernelINS0_14default_configENS1_20scan_config_selectorIsEEZZNS1_9scan_implILNS1_25lookback_scan_determinismE0ELb0ELb1ES3_N6thrust23THRUST_200600_302600_NS6detail15normal_iteratorINS9_10device_ptrIsEEEESE_sNS9_4plusIsEEsEEDaPvRmT3_T4_T5_mT6_P12ihipStream_tbENKUlT_T0_E_clISt17integral_constantIbLb1EEST_IbLb0EEEEDaSP_SQ_EUlSP_E_NS1_11comp_targetILNS1_3genE5ELNS1_11target_archE942ELNS1_3gpuE9ELNS1_3repE0EEENS1_30default_config_static_selectorELNS0_4arch9wavefront6targetE1EEEvT1_
    .private_segment_fixed_size: 0
    .sgpr_count:     4
    .sgpr_spill_count: 0
    .symbol:         _ZN7rocprim17ROCPRIM_400000_NS6detail17trampoline_kernelINS0_14default_configENS1_20scan_config_selectorIsEEZZNS1_9scan_implILNS1_25lookback_scan_determinismE0ELb0ELb1ES3_N6thrust23THRUST_200600_302600_NS6detail15normal_iteratorINS9_10device_ptrIsEEEESE_sNS9_4plusIsEEsEEDaPvRmT3_T4_T5_mT6_P12ihipStream_tbENKUlT_T0_E_clISt17integral_constantIbLb1EEST_IbLb0EEEEDaSP_SQ_EUlSP_E_NS1_11comp_targetILNS1_3genE5ELNS1_11target_archE942ELNS1_3gpuE9ELNS1_3repE0EEENS1_30default_config_static_selectorELNS0_4arch9wavefront6targetE1EEEvT1_.kd
    .uniform_work_group_size: 1
    .uses_dynamic_stack: false
    .vgpr_count:     0
    .vgpr_spill_count: 0
    .wavefront_size: 64
  - .agpr_count:     0
    .args:
      - .offset:         0
        .size:           96
        .value_kind:     by_value
    .group_segment_fixed_size: 3072
    .kernarg_segment_align: 8
    .kernarg_segment_size: 96
    .language:       OpenCL C
    .language_version:
      - 2
      - 0
    .max_flat_workgroup_size: 64
    .name:           _ZN7rocprim17ROCPRIM_400000_NS6detail17trampoline_kernelINS0_14default_configENS1_20scan_config_selectorIsEEZZNS1_9scan_implILNS1_25lookback_scan_determinismE0ELb0ELb1ES3_N6thrust23THRUST_200600_302600_NS6detail15normal_iteratorINS9_10device_ptrIsEEEESE_sNS9_4plusIsEEsEEDaPvRmT3_T4_T5_mT6_P12ihipStream_tbENKUlT_T0_E_clISt17integral_constantIbLb1EEST_IbLb0EEEEDaSP_SQ_EUlSP_E_NS1_11comp_targetILNS1_3genE4ELNS1_11target_archE910ELNS1_3gpuE8ELNS1_3repE0EEENS1_30default_config_static_selectorELNS0_4arch9wavefront6targetE1EEEvT1_
    .private_segment_fixed_size: 0
    .sgpr_count:     36
    .sgpr_spill_count: 0
    .symbol:         _ZN7rocprim17ROCPRIM_400000_NS6detail17trampoline_kernelINS0_14default_configENS1_20scan_config_selectorIsEEZZNS1_9scan_implILNS1_25lookback_scan_determinismE0ELb0ELb1ES3_N6thrust23THRUST_200600_302600_NS6detail15normal_iteratorINS9_10device_ptrIsEEEESE_sNS9_4plusIsEEsEEDaPvRmT3_T4_T5_mT6_P12ihipStream_tbENKUlT_T0_E_clISt17integral_constantIbLb1EEST_IbLb0EEEEDaSP_SQ_EUlSP_E_NS1_11comp_targetILNS1_3genE4ELNS1_11target_archE910ELNS1_3gpuE8ELNS1_3repE0EEENS1_30default_config_static_selectorELNS0_4arch9wavefront6targetE1EEEvT1_.kd
    .uniform_work_group_size: 1
    .uses_dynamic_stack: false
    .vgpr_count:     67
    .vgpr_spill_count: 0
    .wavefront_size: 64
  - .agpr_count:     0
    .args:
      - .offset:         0
        .size:           96
        .value_kind:     by_value
    .group_segment_fixed_size: 0
    .kernarg_segment_align: 8
    .kernarg_segment_size: 96
    .language:       OpenCL C
    .language_version:
      - 2
      - 0
    .max_flat_workgroup_size: 128
    .name:           _ZN7rocprim17ROCPRIM_400000_NS6detail17trampoline_kernelINS0_14default_configENS1_20scan_config_selectorIsEEZZNS1_9scan_implILNS1_25lookback_scan_determinismE0ELb0ELb1ES3_N6thrust23THRUST_200600_302600_NS6detail15normal_iteratorINS9_10device_ptrIsEEEESE_sNS9_4plusIsEEsEEDaPvRmT3_T4_T5_mT6_P12ihipStream_tbENKUlT_T0_E_clISt17integral_constantIbLb1EEST_IbLb0EEEEDaSP_SQ_EUlSP_E_NS1_11comp_targetILNS1_3genE3ELNS1_11target_archE908ELNS1_3gpuE7ELNS1_3repE0EEENS1_30default_config_static_selectorELNS0_4arch9wavefront6targetE1EEEvT1_
    .private_segment_fixed_size: 0
    .sgpr_count:     4
    .sgpr_spill_count: 0
    .symbol:         _ZN7rocprim17ROCPRIM_400000_NS6detail17trampoline_kernelINS0_14default_configENS1_20scan_config_selectorIsEEZZNS1_9scan_implILNS1_25lookback_scan_determinismE0ELb0ELb1ES3_N6thrust23THRUST_200600_302600_NS6detail15normal_iteratorINS9_10device_ptrIsEEEESE_sNS9_4plusIsEEsEEDaPvRmT3_T4_T5_mT6_P12ihipStream_tbENKUlT_T0_E_clISt17integral_constantIbLb1EEST_IbLb0EEEEDaSP_SQ_EUlSP_E_NS1_11comp_targetILNS1_3genE3ELNS1_11target_archE908ELNS1_3gpuE7ELNS1_3repE0EEENS1_30default_config_static_selectorELNS0_4arch9wavefront6targetE1EEEvT1_.kd
    .uniform_work_group_size: 1
    .uses_dynamic_stack: false
    .vgpr_count:     0
    .vgpr_spill_count: 0
    .wavefront_size: 64
  - .agpr_count:     0
    .args:
      - .offset:         0
        .size:           96
        .value_kind:     by_value
    .group_segment_fixed_size: 0
    .kernarg_segment_align: 8
    .kernarg_segment_size: 96
    .language:       OpenCL C
    .language_version:
      - 2
      - 0
    .max_flat_workgroup_size: 256
    .name:           _ZN7rocprim17ROCPRIM_400000_NS6detail17trampoline_kernelINS0_14default_configENS1_20scan_config_selectorIsEEZZNS1_9scan_implILNS1_25lookback_scan_determinismE0ELb0ELb1ES3_N6thrust23THRUST_200600_302600_NS6detail15normal_iteratorINS9_10device_ptrIsEEEESE_sNS9_4plusIsEEsEEDaPvRmT3_T4_T5_mT6_P12ihipStream_tbENKUlT_T0_E_clISt17integral_constantIbLb1EEST_IbLb0EEEEDaSP_SQ_EUlSP_E_NS1_11comp_targetILNS1_3genE2ELNS1_11target_archE906ELNS1_3gpuE6ELNS1_3repE0EEENS1_30default_config_static_selectorELNS0_4arch9wavefront6targetE1EEEvT1_
    .private_segment_fixed_size: 0
    .sgpr_count:     4
    .sgpr_spill_count: 0
    .symbol:         _ZN7rocprim17ROCPRIM_400000_NS6detail17trampoline_kernelINS0_14default_configENS1_20scan_config_selectorIsEEZZNS1_9scan_implILNS1_25lookback_scan_determinismE0ELb0ELb1ES3_N6thrust23THRUST_200600_302600_NS6detail15normal_iteratorINS9_10device_ptrIsEEEESE_sNS9_4plusIsEEsEEDaPvRmT3_T4_T5_mT6_P12ihipStream_tbENKUlT_T0_E_clISt17integral_constantIbLb1EEST_IbLb0EEEEDaSP_SQ_EUlSP_E_NS1_11comp_targetILNS1_3genE2ELNS1_11target_archE906ELNS1_3gpuE6ELNS1_3repE0EEENS1_30default_config_static_selectorELNS0_4arch9wavefront6targetE1EEEvT1_.kd
    .uniform_work_group_size: 1
    .uses_dynamic_stack: false
    .vgpr_count:     0
    .vgpr_spill_count: 0
    .wavefront_size: 64
  - .agpr_count:     0
    .args:
      - .offset:         0
        .size:           96
        .value_kind:     by_value
    .group_segment_fixed_size: 0
    .kernarg_segment_align: 8
    .kernarg_segment_size: 96
    .language:       OpenCL C
    .language_version:
      - 2
      - 0
    .max_flat_workgroup_size: 256
    .name:           _ZN7rocprim17ROCPRIM_400000_NS6detail17trampoline_kernelINS0_14default_configENS1_20scan_config_selectorIsEEZZNS1_9scan_implILNS1_25lookback_scan_determinismE0ELb0ELb1ES3_N6thrust23THRUST_200600_302600_NS6detail15normal_iteratorINS9_10device_ptrIsEEEESE_sNS9_4plusIsEEsEEDaPvRmT3_T4_T5_mT6_P12ihipStream_tbENKUlT_T0_E_clISt17integral_constantIbLb1EEST_IbLb0EEEEDaSP_SQ_EUlSP_E_NS1_11comp_targetILNS1_3genE10ELNS1_11target_archE1201ELNS1_3gpuE5ELNS1_3repE0EEENS1_30default_config_static_selectorELNS0_4arch9wavefront6targetE1EEEvT1_
    .private_segment_fixed_size: 0
    .sgpr_count:     4
    .sgpr_spill_count: 0
    .symbol:         _ZN7rocprim17ROCPRIM_400000_NS6detail17trampoline_kernelINS0_14default_configENS1_20scan_config_selectorIsEEZZNS1_9scan_implILNS1_25lookback_scan_determinismE0ELb0ELb1ES3_N6thrust23THRUST_200600_302600_NS6detail15normal_iteratorINS9_10device_ptrIsEEEESE_sNS9_4plusIsEEsEEDaPvRmT3_T4_T5_mT6_P12ihipStream_tbENKUlT_T0_E_clISt17integral_constantIbLb1EEST_IbLb0EEEEDaSP_SQ_EUlSP_E_NS1_11comp_targetILNS1_3genE10ELNS1_11target_archE1201ELNS1_3gpuE5ELNS1_3repE0EEENS1_30default_config_static_selectorELNS0_4arch9wavefront6targetE1EEEvT1_.kd
    .uniform_work_group_size: 1
    .uses_dynamic_stack: false
    .vgpr_count:     0
    .vgpr_spill_count: 0
    .wavefront_size: 64
  - .agpr_count:     0
    .args:
      - .offset:         0
        .size:           96
        .value_kind:     by_value
    .group_segment_fixed_size: 0
    .kernarg_segment_align: 8
    .kernarg_segment_size: 96
    .language:       OpenCL C
    .language_version:
      - 2
      - 0
    .max_flat_workgroup_size: 256
    .name:           _ZN7rocprim17ROCPRIM_400000_NS6detail17trampoline_kernelINS0_14default_configENS1_20scan_config_selectorIsEEZZNS1_9scan_implILNS1_25lookback_scan_determinismE0ELb0ELb1ES3_N6thrust23THRUST_200600_302600_NS6detail15normal_iteratorINS9_10device_ptrIsEEEESE_sNS9_4plusIsEEsEEDaPvRmT3_T4_T5_mT6_P12ihipStream_tbENKUlT_T0_E_clISt17integral_constantIbLb1EEST_IbLb0EEEEDaSP_SQ_EUlSP_E_NS1_11comp_targetILNS1_3genE10ELNS1_11target_archE1200ELNS1_3gpuE4ELNS1_3repE0EEENS1_30default_config_static_selectorELNS0_4arch9wavefront6targetE1EEEvT1_
    .private_segment_fixed_size: 0
    .sgpr_count:     4
    .sgpr_spill_count: 0
    .symbol:         _ZN7rocprim17ROCPRIM_400000_NS6detail17trampoline_kernelINS0_14default_configENS1_20scan_config_selectorIsEEZZNS1_9scan_implILNS1_25lookback_scan_determinismE0ELb0ELb1ES3_N6thrust23THRUST_200600_302600_NS6detail15normal_iteratorINS9_10device_ptrIsEEEESE_sNS9_4plusIsEEsEEDaPvRmT3_T4_T5_mT6_P12ihipStream_tbENKUlT_T0_E_clISt17integral_constantIbLb1EEST_IbLb0EEEEDaSP_SQ_EUlSP_E_NS1_11comp_targetILNS1_3genE10ELNS1_11target_archE1200ELNS1_3gpuE4ELNS1_3repE0EEENS1_30default_config_static_selectorELNS0_4arch9wavefront6targetE1EEEvT1_.kd
    .uniform_work_group_size: 1
    .uses_dynamic_stack: false
    .vgpr_count:     0
    .vgpr_spill_count: 0
    .wavefront_size: 64
  - .agpr_count:     0
    .args:
      - .offset:         0
        .size:           96
        .value_kind:     by_value
    .group_segment_fixed_size: 0
    .kernarg_segment_align: 8
    .kernarg_segment_size: 96
    .language:       OpenCL C
    .language_version:
      - 2
      - 0
    .max_flat_workgroup_size: 64
    .name:           _ZN7rocprim17ROCPRIM_400000_NS6detail17trampoline_kernelINS0_14default_configENS1_20scan_config_selectorIsEEZZNS1_9scan_implILNS1_25lookback_scan_determinismE0ELb0ELb1ES3_N6thrust23THRUST_200600_302600_NS6detail15normal_iteratorINS9_10device_ptrIsEEEESE_sNS9_4plusIsEEsEEDaPvRmT3_T4_T5_mT6_P12ihipStream_tbENKUlT_T0_E_clISt17integral_constantIbLb1EEST_IbLb0EEEEDaSP_SQ_EUlSP_E_NS1_11comp_targetILNS1_3genE9ELNS1_11target_archE1100ELNS1_3gpuE3ELNS1_3repE0EEENS1_30default_config_static_selectorELNS0_4arch9wavefront6targetE1EEEvT1_
    .private_segment_fixed_size: 0
    .sgpr_count:     4
    .sgpr_spill_count: 0
    .symbol:         _ZN7rocprim17ROCPRIM_400000_NS6detail17trampoline_kernelINS0_14default_configENS1_20scan_config_selectorIsEEZZNS1_9scan_implILNS1_25lookback_scan_determinismE0ELb0ELb1ES3_N6thrust23THRUST_200600_302600_NS6detail15normal_iteratorINS9_10device_ptrIsEEEESE_sNS9_4plusIsEEsEEDaPvRmT3_T4_T5_mT6_P12ihipStream_tbENKUlT_T0_E_clISt17integral_constantIbLb1EEST_IbLb0EEEEDaSP_SQ_EUlSP_E_NS1_11comp_targetILNS1_3genE9ELNS1_11target_archE1100ELNS1_3gpuE3ELNS1_3repE0EEENS1_30default_config_static_selectorELNS0_4arch9wavefront6targetE1EEEvT1_.kd
    .uniform_work_group_size: 1
    .uses_dynamic_stack: false
    .vgpr_count:     0
    .vgpr_spill_count: 0
    .wavefront_size: 64
  - .agpr_count:     0
    .args:
      - .offset:         0
        .size:           96
        .value_kind:     by_value
    .group_segment_fixed_size: 0
    .kernarg_segment_align: 8
    .kernarg_segment_size: 96
    .language:       OpenCL C
    .language_version:
      - 2
      - 0
    .max_flat_workgroup_size: 64
    .name:           _ZN7rocprim17ROCPRIM_400000_NS6detail17trampoline_kernelINS0_14default_configENS1_20scan_config_selectorIsEEZZNS1_9scan_implILNS1_25lookback_scan_determinismE0ELb0ELb1ES3_N6thrust23THRUST_200600_302600_NS6detail15normal_iteratorINS9_10device_ptrIsEEEESE_sNS9_4plusIsEEsEEDaPvRmT3_T4_T5_mT6_P12ihipStream_tbENKUlT_T0_E_clISt17integral_constantIbLb1EEST_IbLb0EEEEDaSP_SQ_EUlSP_E_NS1_11comp_targetILNS1_3genE8ELNS1_11target_archE1030ELNS1_3gpuE2ELNS1_3repE0EEENS1_30default_config_static_selectorELNS0_4arch9wavefront6targetE1EEEvT1_
    .private_segment_fixed_size: 0
    .sgpr_count:     4
    .sgpr_spill_count: 0
    .symbol:         _ZN7rocprim17ROCPRIM_400000_NS6detail17trampoline_kernelINS0_14default_configENS1_20scan_config_selectorIsEEZZNS1_9scan_implILNS1_25lookback_scan_determinismE0ELb0ELb1ES3_N6thrust23THRUST_200600_302600_NS6detail15normal_iteratorINS9_10device_ptrIsEEEESE_sNS9_4plusIsEEsEEDaPvRmT3_T4_T5_mT6_P12ihipStream_tbENKUlT_T0_E_clISt17integral_constantIbLb1EEST_IbLb0EEEEDaSP_SQ_EUlSP_E_NS1_11comp_targetILNS1_3genE8ELNS1_11target_archE1030ELNS1_3gpuE2ELNS1_3repE0EEENS1_30default_config_static_selectorELNS0_4arch9wavefront6targetE1EEEvT1_.kd
    .uniform_work_group_size: 1
    .uses_dynamic_stack: false
    .vgpr_count:     0
    .vgpr_spill_count: 0
    .wavefront_size: 64
  - .agpr_count:     0
    .args:
      - .offset:         0
        .size:           32
        .value_kind:     by_value
    .group_segment_fixed_size: 0
    .kernarg_segment_align: 8
    .kernarg_segment_size: 32
    .language:       OpenCL C
    .language_version:
      - 2
      - 0
    .max_flat_workgroup_size: 128
    .name:           _ZN7rocprim17ROCPRIM_400000_NS6detail17trampoline_kernelINS0_14default_configENS1_20scan_config_selectorIsEEZZNS1_9scan_implILNS1_25lookback_scan_determinismE0ELb0ELb1ES3_N6thrust23THRUST_200600_302600_NS6detail15normal_iteratorINS9_10device_ptrIsEEEESE_sNS9_4plusIsEEsEEDaPvRmT3_T4_T5_mT6_P12ihipStream_tbENKUlT_T0_E_clISt17integral_constantIbLb1EEST_IbLb0EEEEDaSP_SQ_EUlSP_E0_NS1_11comp_targetILNS1_3genE0ELNS1_11target_archE4294967295ELNS1_3gpuE0ELNS1_3repE0EEENS1_30default_config_static_selectorELNS0_4arch9wavefront6targetE1EEEvT1_
    .private_segment_fixed_size: 0
    .sgpr_count:     4
    .sgpr_spill_count: 0
    .symbol:         _ZN7rocprim17ROCPRIM_400000_NS6detail17trampoline_kernelINS0_14default_configENS1_20scan_config_selectorIsEEZZNS1_9scan_implILNS1_25lookback_scan_determinismE0ELb0ELb1ES3_N6thrust23THRUST_200600_302600_NS6detail15normal_iteratorINS9_10device_ptrIsEEEESE_sNS9_4plusIsEEsEEDaPvRmT3_T4_T5_mT6_P12ihipStream_tbENKUlT_T0_E_clISt17integral_constantIbLb1EEST_IbLb0EEEEDaSP_SQ_EUlSP_E0_NS1_11comp_targetILNS1_3genE0ELNS1_11target_archE4294967295ELNS1_3gpuE0ELNS1_3repE0EEENS1_30default_config_static_selectorELNS0_4arch9wavefront6targetE1EEEvT1_.kd
    .uniform_work_group_size: 1
    .uses_dynamic_stack: false
    .vgpr_count:     0
    .vgpr_spill_count: 0
    .wavefront_size: 64
  - .agpr_count:     0
    .args:
      - .offset:         0
        .size:           32
        .value_kind:     by_value
    .group_segment_fixed_size: 0
    .kernarg_segment_align: 8
    .kernarg_segment_size: 32
    .language:       OpenCL C
    .language_version:
      - 2
      - 0
    .max_flat_workgroup_size: 256
    .name:           _ZN7rocprim17ROCPRIM_400000_NS6detail17trampoline_kernelINS0_14default_configENS1_20scan_config_selectorIsEEZZNS1_9scan_implILNS1_25lookback_scan_determinismE0ELb0ELb1ES3_N6thrust23THRUST_200600_302600_NS6detail15normal_iteratorINS9_10device_ptrIsEEEESE_sNS9_4plusIsEEsEEDaPvRmT3_T4_T5_mT6_P12ihipStream_tbENKUlT_T0_E_clISt17integral_constantIbLb1EEST_IbLb0EEEEDaSP_SQ_EUlSP_E0_NS1_11comp_targetILNS1_3genE5ELNS1_11target_archE942ELNS1_3gpuE9ELNS1_3repE0EEENS1_30default_config_static_selectorELNS0_4arch9wavefront6targetE1EEEvT1_
    .private_segment_fixed_size: 0
    .sgpr_count:     4
    .sgpr_spill_count: 0
    .symbol:         _ZN7rocprim17ROCPRIM_400000_NS6detail17trampoline_kernelINS0_14default_configENS1_20scan_config_selectorIsEEZZNS1_9scan_implILNS1_25lookback_scan_determinismE0ELb0ELb1ES3_N6thrust23THRUST_200600_302600_NS6detail15normal_iteratorINS9_10device_ptrIsEEEESE_sNS9_4plusIsEEsEEDaPvRmT3_T4_T5_mT6_P12ihipStream_tbENKUlT_T0_E_clISt17integral_constantIbLb1EEST_IbLb0EEEEDaSP_SQ_EUlSP_E0_NS1_11comp_targetILNS1_3genE5ELNS1_11target_archE942ELNS1_3gpuE9ELNS1_3repE0EEENS1_30default_config_static_selectorELNS0_4arch9wavefront6targetE1EEEvT1_.kd
    .uniform_work_group_size: 1
    .uses_dynamic_stack: false
    .vgpr_count:     0
    .vgpr_spill_count: 0
    .wavefront_size: 64
  - .agpr_count:     0
    .args:
      - .offset:         0
        .size:           32
        .value_kind:     by_value
    .group_segment_fixed_size: 3072
    .kernarg_segment_align: 8
    .kernarg_segment_size: 32
    .language:       OpenCL C
    .language_version:
      - 2
      - 0
    .max_flat_workgroup_size: 64
    .name:           _ZN7rocprim17ROCPRIM_400000_NS6detail17trampoline_kernelINS0_14default_configENS1_20scan_config_selectorIsEEZZNS1_9scan_implILNS1_25lookback_scan_determinismE0ELb0ELb1ES3_N6thrust23THRUST_200600_302600_NS6detail15normal_iteratorINS9_10device_ptrIsEEEESE_sNS9_4plusIsEEsEEDaPvRmT3_T4_T5_mT6_P12ihipStream_tbENKUlT_T0_E_clISt17integral_constantIbLb1EEST_IbLb0EEEEDaSP_SQ_EUlSP_E0_NS1_11comp_targetILNS1_3genE4ELNS1_11target_archE910ELNS1_3gpuE8ELNS1_3repE0EEENS1_30default_config_static_selectorELNS0_4arch9wavefront6targetE1EEEvT1_
    .private_segment_fixed_size: 0
    .sgpr_count:     60
    .sgpr_spill_count: 0
    .symbol:         _ZN7rocprim17ROCPRIM_400000_NS6detail17trampoline_kernelINS0_14default_configENS1_20scan_config_selectorIsEEZZNS1_9scan_implILNS1_25lookback_scan_determinismE0ELb0ELb1ES3_N6thrust23THRUST_200600_302600_NS6detail15normal_iteratorINS9_10device_ptrIsEEEESE_sNS9_4plusIsEEsEEDaPvRmT3_T4_T5_mT6_P12ihipStream_tbENKUlT_T0_E_clISt17integral_constantIbLb1EEST_IbLb0EEEEDaSP_SQ_EUlSP_E0_NS1_11comp_targetILNS1_3genE4ELNS1_11target_archE910ELNS1_3gpuE8ELNS1_3repE0EEENS1_30default_config_static_selectorELNS0_4arch9wavefront6targetE1EEEvT1_.kd
    .uniform_work_group_size: 1
    .uses_dynamic_stack: false
    .vgpr_count:     40
    .vgpr_spill_count: 0
    .wavefront_size: 64
  - .agpr_count:     0
    .args:
      - .offset:         0
        .size:           32
        .value_kind:     by_value
    .group_segment_fixed_size: 0
    .kernarg_segment_align: 8
    .kernarg_segment_size: 32
    .language:       OpenCL C
    .language_version:
      - 2
      - 0
    .max_flat_workgroup_size: 128
    .name:           _ZN7rocprim17ROCPRIM_400000_NS6detail17trampoline_kernelINS0_14default_configENS1_20scan_config_selectorIsEEZZNS1_9scan_implILNS1_25lookback_scan_determinismE0ELb0ELb1ES3_N6thrust23THRUST_200600_302600_NS6detail15normal_iteratorINS9_10device_ptrIsEEEESE_sNS9_4plusIsEEsEEDaPvRmT3_T4_T5_mT6_P12ihipStream_tbENKUlT_T0_E_clISt17integral_constantIbLb1EEST_IbLb0EEEEDaSP_SQ_EUlSP_E0_NS1_11comp_targetILNS1_3genE3ELNS1_11target_archE908ELNS1_3gpuE7ELNS1_3repE0EEENS1_30default_config_static_selectorELNS0_4arch9wavefront6targetE1EEEvT1_
    .private_segment_fixed_size: 0
    .sgpr_count:     4
    .sgpr_spill_count: 0
    .symbol:         _ZN7rocprim17ROCPRIM_400000_NS6detail17trampoline_kernelINS0_14default_configENS1_20scan_config_selectorIsEEZZNS1_9scan_implILNS1_25lookback_scan_determinismE0ELb0ELb1ES3_N6thrust23THRUST_200600_302600_NS6detail15normal_iteratorINS9_10device_ptrIsEEEESE_sNS9_4plusIsEEsEEDaPvRmT3_T4_T5_mT6_P12ihipStream_tbENKUlT_T0_E_clISt17integral_constantIbLb1EEST_IbLb0EEEEDaSP_SQ_EUlSP_E0_NS1_11comp_targetILNS1_3genE3ELNS1_11target_archE908ELNS1_3gpuE7ELNS1_3repE0EEENS1_30default_config_static_selectorELNS0_4arch9wavefront6targetE1EEEvT1_.kd
    .uniform_work_group_size: 1
    .uses_dynamic_stack: false
    .vgpr_count:     0
    .vgpr_spill_count: 0
    .wavefront_size: 64
  - .agpr_count:     0
    .args:
      - .offset:         0
        .size:           32
        .value_kind:     by_value
    .group_segment_fixed_size: 0
    .kernarg_segment_align: 8
    .kernarg_segment_size: 32
    .language:       OpenCL C
    .language_version:
      - 2
      - 0
    .max_flat_workgroup_size: 256
    .name:           _ZN7rocprim17ROCPRIM_400000_NS6detail17trampoline_kernelINS0_14default_configENS1_20scan_config_selectorIsEEZZNS1_9scan_implILNS1_25lookback_scan_determinismE0ELb0ELb1ES3_N6thrust23THRUST_200600_302600_NS6detail15normal_iteratorINS9_10device_ptrIsEEEESE_sNS9_4plusIsEEsEEDaPvRmT3_T4_T5_mT6_P12ihipStream_tbENKUlT_T0_E_clISt17integral_constantIbLb1EEST_IbLb0EEEEDaSP_SQ_EUlSP_E0_NS1_11comp_targetILNS1_3genE2ELNS1_11target_archE906ELNS1_3gpuE6ELNS1_3repE0EEENS1_30default_config_static_selectorELNS0_4arch9wavefront6targetE1EEEvT1_
    .private_segment_fixed_size: 0
    .sgpr_count:     4
    .sgpr_spill_count: 0
    .symbol:         _ZN7rocprim17ROCPRIM_400000_NS6detail17trampoline_kernelINS0_14default_configENS1_20scan_config_selectorIsEEZZNS1_9scan_implILNS1_25lookback_scan_determinismE0ELb0ELb1ES3_N6thrust23THRUST_200600_302600_NS6detail15normal_iteratorINS9_10device_ptrIsEEEESE_sNS9_4plusIsEEsEEDaPvRmT3_T4_T5_mT6_P12ihipStream_tbENKUlT_T0_E_clISt17integral_constantIbLb1EEST_IbLb0EEEEDaSP_SQ_EUlSP_E0_NS1_11comp_targetILNS1_3genE2ELNS1_11target_archE906ELNS1_3gpuE6ELNS1_3repE0EEENS1_30default_config_static_selectorELNS0_4arch9wavefront6targetE1EEEvT1_.kd
    .uniform_work_group_size: 1
    .uses_dynamic_stack: false
    .vgpr_count:     0
    .vgpr_spill_count: 0
    .wavefront_size: 64
  - .agpr_count:     0
    .args:
      - .offset:         0
        .size:           32
        .value_kind:     by_value
    .group_segment_fixed_size: 0
    .kernarg_segment_align: 8
    .kernarg_segment_size: 32
    .language:       OpenCL C
    .language_version:
      - 2
      - 0
    .max_flat_workgroup_size: 256
    .name:           _ZN7rocprim17ROCPRIM_400000_NS6detail17trampoline_kernelINS0_14default_configENS1_20scan_config_selectorIsEEZZNS1_9scan_implILNS1_25lookback_scan_determinismE0ELb0ELb1ES3_N6thrust23THRUST_200600_302600_NS6detail15normal_iteratorINS9_10device_ptrIsEEEESE_sNS9_4plusIsEEsEEDaPvRmT3_T4_T5_mT6_P12ihipStream_tbENKUlT_T0_E_clISt17integral_constantIbLb1EEST_IbLb0EEEEDaSP_SQ_EUlSP_E0_NS1_11comp_targetILNS1_3genE10ELNS1_11target_archE1201ELNS1_3gpuE5ELNS1_3repE0EEENS1_30default_config_static_selectorELNS0_4arch9wavefront6targetE1EEEvT1_
    .private_segment_fixed_size: 0
    .sgpr_count:     4
    .sgpr_spill_count: 0
    .symbol:         _ZN7rocprim17ROCPRIM_400000_NS6detail17trampoline_kernelINS0_14default_configENS1_20scan_config_selectorIsEEZZNS1_9scan_implILNS1_25lookback_scan_determinismE0ELb0ELb1ES3_N6thrust23THRUST_200600_302600_NS6detail15normal_iteratorINS9_10device_ptrIsEEEESE_sNS9_4plusIsEEsEEDaPvRmT3_T4_T5_mT6_P12ihipStream_tbENKUlT_T0_E_clISt17integral_constantIbLb1EEST_IbLb0EEEEDaSP_SQ_EUlSP_E0_NS1_11comp_targetILNS1_3genE10ELNS1_11target_archE1201ELNS1_3gpuE5ELNS1_3repE0EEENS1_30default_config_static_selectorELNS0_4arch9wavefront6targetE1EEEvT1_.kd
    .uniform_work_group_size: 1
    .uses_dynamic_stack: false
    .vgpr_count:     0
    .vgpr_spill_count: 0
    .wavefront_size: 64
  - .agpr_count:     0
    .args:
      - .offset:         0
        .size:           32
        .value_kind:     by_value
    .group_segment_fixed_size: 0
    .kernarg_segment_align: 8
    .kernarg_segment_size: 32
    .language:       OpenCL C
    .language_version:
      - 2
      - 0
    .max_flat_workgroup_size: 256
    .name:           _ZN7rocprim17ROCPRIM_400000_NS6detail17trampoline_kernelINS0_14default_configENS1_20scan_config_selectorIsEEZZNS1_9scan_implILNS1_25lookback_scan_determinismE0ELb0ELb1ES3_N6thrust23THRUST_200600_302600_NS6detail15normal_iteratorINS9_10device_ptrIsEEEESE_sNS9_4plusIsEEsEEDaPvRmT3_T4_T5_mT6_P12ihipStream_tbENKUlT_T0_E_clISt17integral_constantIbLb1EEST_IbLb0EEEEDaSP_SQ_EUlSP_E0_NS1_11comp_targetILNS1_3genE10ELNS1_11target_archE1200ELNS1_3gpuE4ELNS1_3repE0EEENS1_30default_config_static_selectorELNS0_4arch9wavefront6targetE1EEEvT1_
    .private_segment_fixed_size: 0
    .sgpr_count:     4
    .sgpr_spill_count: 0
    .symbol:         _ZN7rocprim17ROCPRIM_400000_NS6detail17trampoline_kernelINS0_14default_configENS1_20scan_config_selectorIsEEZZNS1_9scan_implILNS1_25lookback_scan_determinismE0ELb0ELb1ES3_N6thrust23THRUST_200600_302600_NS6detail15normal_iteratorINS9_10device_ptrIsEEEESE_sNS9_4plusIsEEsEEDaPvRmT3_T4_T5_mT6_P12ihipStream_tbENKUlT_T0_E_clISt17integral_constantIbLb1EEST_IbLb0EEEEDaSP_SQ_EUlSP_E0_NS1_11comp_targetILNS1_3genE10ELNS1_11target_archE1200ELNS1_3gpuE4ELNS1_3repE0EEENS1_30default_config_static_selectorELNS0_4arch9wavefront6targetE1EEEvT1_.kd
    .uniform_work_group_size: 1
    .uses_dynamic_stack: false
    .vgpr_count:     0
    .vgpr_spill_count: 0
    .wavefront_size: 64
  - .agpr_count:     0
    .args:
      - .offset:         0
        .size:           32
        .value_kind:     by_value
    .group_segment_fixed_size: 0
    .kernarg_segment_align: 8
    .kernarg_segment_size: 32
    .language:       OpenCL C
    .language_version:
      - 2
      - 0
    .max_flat_workgroup_size: 64
    .name:           _ZN7rocprim17ROCPRIM_400000_NS6detail17trampoline_kernelINS0_14default_configENS1_20scan_config_selectorIsEEZZNS1_9scan_implILNS1_25lookback_scan_determinismE0ELb0ELb1ES3_N6thrust23THRUST_200600_302600_NS6detail15normal_iteratorINS9_10device_ptrIsEEEESE_sNS9_4plusIsEEsEEDaPvRmT3_T4_T5_mT6_P12ihipStream_tbENKUlT_T0_E_clISt17integral_constantIbLb1EEST_IbLb0EEEEDaSP_SQ_EUlSP_E0_NS1_11comp_targetILNS1_3genE9ELNS1_11target_archE1100ELNS1_3gpuE3ELNS1_3repE0EEENS1_30default_config_static_selectorELNS0_4arch9wavefront6targetE1EEEvT1_
    .private_segment_fixed_size: 0
    .sgpr_count:     4
    .sgpr_spill_count: 0
    .symbol:         _ZN7rocprim17ROCPRIM_400000_NS6detail17trampoline_kernelINS0_14default_configENS1_20scan_config_selectorIsEEZZNS1_9scan_implILNS1_25lookback_scan_determinismE0ELb0ELb1ES3_N6thrust23THRUST_200600_302600_NS6detail15normal_iteratorINS9_10device_ptrIsEEEESE_sNS9_4plusIsEEsEEDaPvRmT3_T4_T5_mT6_P12ihipStream_tbENKUlT_T0_E_clISt17integral_constantIbLb1EEST_IbLb0EEEEDaSP_SQ_EUlSP_E0_NS1_11comp_targetILNS1_3genE9ELNS1_11target_archE1100ELNS1_3gpuE3ELNS1_3repE0EEENS1_30default_config_static_selectorELNS0_4arch9wavefront6targetE1EEEvT1_.kd
    .uniform_work_group_size: 1
    .uses_dynamic_stack: false
    .vgpr_count:     0
    .vgpr_spill_count: 0
    .wavefront_size: 64
  - .agpr_count:     0
    .args:
      - .offset:         0
        .size:           32
        .value_kind:     by_value
    .group_segment_fixed_size: 0
    .kernarg_segment_align: 8
    .kernarg_segment_size: 32
    .language:       OpenCL C
    .language_version:
      - 2
      - 0
    .max_flat_workgroup_size: 64
    .name:           _ZN7rocprim17ROCPRIM_400000_NS6detail17trampoline_kernelINS0_14default_configENS1_20scan_config_selectorIsEEZZNS1_9scan_implILNS1_25lookback_scan_determinismE0ELb0ELb1ES3_N6thrust23THRUST_200600_302600_NS6detail15normal_iteratorINS9_10device_ptrIsEEEESE_sNS9_4plusIsEEsEEDaPvRmT3_T4_T5_mT6_P12ihipStream_tbENKUlT_T0_E_clISt17integral_constantIbLb1EEST_IbLb0EEEEDaSP_SQ_EUlSP_E0_NS1_11comp_targetILNS1_3genE8ELNS1_11target_archE1030ELNS1_3gpuE2ELNS1_3repE0EEENS1_30default_config_static_selectorELNS0_4arch9wavefront6targetE1EEEvT1_
    .private_segment_fixed_size: 0
    .sgpr_count:     4
    .sgpr_spill_count: 0
    .symbol:         _ZN7rocprim17ROCPRIM_400000_NS6detail17trampoline_kernelINS0_14default_configENS1_20scan_config_selectorIsEEZZNS1_9scan_implILNS1_25lookback_scan_determinismE0ELb0ELb1ES3_N6thrust23THRUST_200600_302600_NS6detail15normal_iteratorINS9_10device_ptrIsEEEESE_sNS9_4plusIsEEsEEDaPvRmT3_T4_T5_mT6_P12ihipStream_tbENKUlT_T0_E_clISt17integral_constantIbLb1EEST_IbLb0EEEEDaSP_SQ_EUlSP_E0_NS1_11comp_targetILNS1_3genE8ELNS1_11target_archE1030ELNS1_3gpuE2ELNS1_3repE0EEENS1_30default_config_static_selectorELNS0_4arch9wavefront6targetE1EEEvT1_.kd
    .uniform_work_group_size: 1
    .uses_dynamic_stack: false
    .vgpr_count:     0
    .vgpr_spill_count: 0
    .wavefront_size: 64
  - .agpr_count:     0
    .args:
      - .offset:         0
        .size:           96
        .value_kind:     by_value
    .group_segment_fixed_size: 0
    .kernarg_segment_align: 8
    .kernarg_segment_size: 96
    .language:       OpenCL C
    .language_version:
      - 2
      - 0
    .max_flat_workgroup_size: 128
    .name:           _ZN7rocprim17ROCPRIM_400000_NS6detail17trampoline_kernelINS0_14default_configENS1_20scan_config_selectorIsEEZZNS1_9scan_implILNS1_25lookback_scan_determinismE0ELb0ELb1ES3_N6thrust23THRUST_200600_302600_NS6detail15normal_iteratorINS9_10device_ptrIsEEEESE_sNS9_4plusIsEEsEEDaPvRmT3_T4_T5_mT6_P12ihipStream_tbENKUlT_T0_E_clISt17integral_constantIbLb0EEST_IbLb1EEEEDaSP_SQ_EUlSP_E_NS1_11comp_targetILNS1_3genE0ELNS1_11target_archE4294967295ELNS1_3gpuE0ELNS1_3repE0EEENS1_30default_config_static_selectorELNS0_4arch9wavefront6targetE1EEEvT1_
    .private_segment_fixed_size: 0
    .sgpr_count:     4
    .sgpr_spill_count: 0
    .symbol:         _ZN7rocprim17ROCPRIM_400000_NS6detail17trampoline_kernelINS0_14default_configENS1_20scan_config_selectorIsEEZZNS1_9scan_implILNS1_25lookback_scan_determinismE0ELb0ELb1ES3_N6thrust23THRUST_200600_302600_NS6detail15normal_iteratorINS9_10device_ptrIsEEEESE_sNS9_4plusIsEEsEEDaPvRmT3_T4_T5_mT6_P12ihipStream_tbENKUlT_T0_E_clISt17integral_constantIbLb0EEST_IbLb1EEEEDaSP_SQ_EUlSP_E_NS1_11comp_targetILNS1_3genE0ELNS1_11target_archE4294967295ELNS1_3gpuE0ELNS1_3repE0EEENS1_30default_config_static_selectorELNS0_4arch9wavefront6targetE1EEEvT1_.kd
    .uniform_work_group_size: 1
    .uses_dynamic_stack: false
    .vgpr_count:     0
    .vgpr_spill_count: 0
    .wavefront_size: 64
  - .agpr_count:     0
    .args:
      - .offset:         0
        .size:           96
        .value_kind:     by_value
    .group_segment_fixed_size: 0
    .kernarg_segment_align: 8
    .kernarg_segment_size: 96
    .language:       OpenCL C
    .language_version:
      - 2
      - 0
    .max_flat_workgroup_size: 256
    .name:           _ZN7rocprim17ROCPRIM_400000_NS6detail17trampoline_kernelINS0_14default_configENS1_20scan_config_selectorIsEEZZNS1_9scan_implILNS1_25lookback_scan_determinismE0ELb0ELb1ES3_N6thrust23THRUST_200600_302600_NS6detail15normal_iteratorINS9_10device_ptrIsEEEESE_sNS9_4plusIsEEsEEDaPvRmT3_T4_T5_mT6_P12ihipStream_tbENKUlT_T0_E_clISt17integral_constantIbLb0EEST_IbLb1EEEEDaSP_SQ_EUlSP_E_NS1_11comp_targetILNS1_3genE5ELNS1_11target_archE942ELNS1_3gpuE9ELNS1_3repE0EEENS1_30default_config_static_selectorELNS0_4arch9wavefront6targetE1EEEvT1_
    .private_segment_fixed_size: 0
    .sgpr_count:     4
    .sgpr_spill_count: 0
    .symbol:         _ZN7rocprim17ROCPRIM_400000_NS6detail17trampoline_kernelINS0_14default_configENS1_20scan_config_selectorIsEEZZNS1_9scan_implILNS1_25lookback_scan_determinismE0ELb0ELb1ES3_N6thrust23THRUST_200600_302600_NS6detail15normal_iteratorINS9_10device_ptrIsEEEESE_sNS9_4plusIsEEsEEDaPvRmT3_T4_T5_mT6_P12ihipStream_tbENKUlT_T0_E_clISt17integral_constantIbLb0EEST_IbLb1EEEEDaSP_SQ_EUlSP_E_NS1_11comp_targetILNS1_3genE5ELNS1_11target_archE942ELNS1_3gpuE9ELNS1_3repE0EEENS1_30default_config_static_selectorELNS0_4arch9wavefront6targetE1EEEvT1_.kd
    .uniform_work_group_size: 1
    .uses_dynamic_stack: false
    .vgpr_count:     0
    .vgpr_spill_count: 0
    .wavefront_size: 64
  - .agpr_count:     0
    .args:
      - .offset:         0
        .size:           96
        .value_kind:     by_value
    .group_segment_fixed_size: 3072
    .kernarg_segment_align: 8
    .kernarg_segment_size: 96
    .language:       OpenCL C
    .language_version:
      - 2
      - 0
    .max_flat_workgroup_size: 64
    .name:           _ZN7rocprim17ROCPRIM_400000_NS6detail17trampoline_kernelINS0_14default_configENS1_20scan_config_selectorIsEEZZNS1_9scan_implILNS1_25lookback_scan_determinismE0ELb0ELb1ES3_N6thrust23THRUST_200600_302600_NS6detail15normal_iteratorINS9_10device_ptrIsEEEESE_sNS9_4plusIsEEsEEDaPvRmT3_T4_T5_mT6_P12ihipStream_tbENKUlT_T0_E_clISt17integral_constantIbLb0EEST_IbLb1EEEEDaSP_SQ_EUlSP_E_NS1_11comp_targetILNS1_3genE4ELNS1_11target_archE910ELNS1_3gpuE8ELNS1_3repE0EEENS1_30default_config_static_selectorELNS0_4arch9wavefront6targetE1EEEvT1_
    .private_segment_fixed_size: 0
    .sgpr_count:     42
    .sgpr_spill_count: 0
    .symbol:         _ZN7rocprim17ROCPRIM_400000_NS6detail17trampoline_kernelINS0_14default_configENS1_20scan_config_selectorIsEEZZNS1_9scan_implILNS1_25lookback_scan_determinismE0ELb0ELb1ES3_N6thrust23THRUST_200600_302600_NS6detail15normal_iteratorINS9_10device_ptrIsEEEESE_sNS9_4plusIsEEsEEDaPvRmT3_T4_T5_mT6_P12ihipStream_tbENKUlT_T0_E_clISt17integral_constantIbLb0EEST_IbLb1EEEEDaSP_SQ_EUlSP_E_NS1_11comp_targetILNS1_3genE4ELNS1_11target_archE910ELNS1_3gpuE8ELNS1_3repE0EEENS1_30default_config_static_selectorELNS0_4arch9wavefront6targetE1EEEvT1_.kd
    .uniform_work_group_size: 1
    .uses_dynamic_stack: false
    .vgpr_count:     68
    .vgpr_spill_count: 0
    .wavefront_size: 64
  - .agpr_count:     0
    .args:
      - .offset:         0
        .size:           96
        .value_kind:     by_value
    .group_segment_fixed_size: 0
    .kernarg_segment_align: 8
    .kernarg_segment_size: 96
    .language:       OpenCL C
    .language_version:
      - 2
      - 0
    .max_flat_workgroup_size: 128
    .name:           _ZN7rocprim17ROCPRIM_400000_NS6detail17trampoline_kernelINS0_14default_configENS1_20scan_config_selectorIsEEZZNS1_9scan_implILNS1_25lookback_scan_determinismE0ELb0ELb1ES3_N6thrust23THRUST_200600_302600_NS6detail15normal_iteratorINS9_10device_ptrIsEEEESE_sNS9_4plusIsEEsEEDaPvRmT3_T4_T5_mT6_P12ihipStream_tbENKUlT_T0_E_clISt17integral_constantIbLb0EEST_IbLb1EEEEDaSP_SQ_EUlSP_E_NS1_11comp_targetILNS1_3genE3ELNS1_11target_archE908ELNS1_3gpuE7ELNS1_3repE0EEENS1_30default_config_static_selectorELNS0_4arch9wavefront6targetE1EEEvT1_
    .private_segment_fixed_size: 0
    .sgpr_count:     4
    .sgpr_spill_count: 0
    .symbol:         _ZN7rocprim17ROCPRIM_400000_NS6detail17trampoline_kernelINS0_14default_configENS1_20scan_config_selectorIsEEZZNS1_9scan_implILNS1_25lookback_scan_determinismE0ELb0ELb1ES3_N6thrust23THRUST_200600_302600_NS6detail15normal_iteratorINS9_10device_ptrIsEEEESE_sNS9_4plusIsEEsEEDaPvRmT3_T4_T5_mT6_P12ihipStream_tbENKUlT_T0_E_clISt17integral_constantIbLb0EEST_IbLb1EEEEDaSP_SQ_EUlSP_E_NS1_11comp_targetILNS1_3genE3ELNS1_11target_archE908ELNS1_3gpuE7ELNS1_3repE0EEENS1_30default_config_static_selectorELNS0_4arch9wavefront6targetE1EEEvT1_.kd
    .uniform_work_group_size: 1
    .uses_dynamic_stack: false
    .vgpr_count:     0
    .vgpr_spill_count: 0
    .wavefront_size: 64
  - .agpr_count:     0
    .args:
      - .offset:         0
        .size:           96
        .value_kind:     by_value
    .group_segment_fixed_size: 0
    .kernarg_segment_align: 8
    .kernarg_segment_size: 96
    .language:       OpenCL C
    .language_version:
      - 2
      - 0
    .max_flat_workgroup_size: 256
    .name:           _ZN7rocprim17ROCPRIM_400000_NS6detail17trampoline_kernelINS0_14default_configENS1_20scan_config_selectorIsEEZZNS1_9scan_implILNS1_25lookback_scan_determinismE0ELb0ELb1ES3_N6thrust23THRUST_200600_302600_NS6detail15normal_iteratorINS9_10device_ptrIsEEEESE_sNS9_4plusIsEEsEEDaPvRmT3_T4_T5_mT6_P12ihipStream_tbENKUlT_T0_E_clISt17integral_constantIbLb0EEST_IbLb1EEEEDaSP_SQ_EUlSP_E_NS1_11comp_targetILNS1_3genE2ELNS1_11target_archE906ELNS1_3gpuE6ELNS1_3repE0EEENS1_30default_config_static_selectorELNS0_4arch9wavefront6targetE1EEEvT1_
    .private_segment_fixed_size: 0
    .sgpr_count:     4
    .sgpr_spill_count: 0
    .symbol:         _ZN7rocprim17ROCPRIM_400000_NS6detail17trampoline_kernelINS0_14default_configENS1_20scan_config_selectorIsEEZZNS1_9scan_implILNS1_25lookback_scan_determinismE0ELb0ELb1ES3_N6thrust23THRUST_200600_302600_NS6detail15normal_iteratorINS9_10device_ptrIsEEEESE_sNS9_4plusIsEEsEEDaPvRmT3_T4_T5_mT6_P12ihipStream_tbENKUlT_T0_E_clISt17integral_constantIbLb0EEST_IbLb1EEEEDaSP_SQ_EUlSP_E_NS1_11comp_targetILNS1_3genE2ELNS1_11target_archE906ELNS1_3gpuE6ELNS1_3repE0EEENS1_30default_config_static_selectorELNS0_4arch9wavefront6targetE1EEEvT1_.kd
    .uniform_work_group_size: 1
    .uses_dynamic_stack: false
    .vgpr_count:     0
    .vgpr_spill_count: 0
    .wavefront_size: 64
  - .agpr_count:     0
    .args:
      - .offset:         0
        .size:           96
        .value_kind:     by_value
    .group_segment_fixed_size: 0
    .kernarg_segment_align: 8
    .kernarg_segment_size: 96
    .language:       OpenCL C
    .language_version:
      - 2
      - 0
    .max_flat_workgroup_size: 256
    .name:           _ZN7rocprim17ROCPRIM_400000_NS6detail17trampoline_kernelINS0_14default_configENS1_20scan_config_selectorIsEEZZNS1_9scan_implILNS1_25lookback_scan_determinismE0ELb0ELb1ES3_N6thrust23THRUST_200600_302600_NS6detail15normal_iteratorINS9_10device_ptrIsEEEESE_sNS9_4plusIsEEsEEDaPvRmT3_T4_T5_mT6_P12ihipStream_tbENKUlT_T0_E_clISt17integral_constantIbLb0EEST_IbLb1EEEEDaSP_SQ_EUlSP_E_NS1_11comp_targetILNS1_3genE10ELNS1_11target_archE1201ELNS1_3gpuE5ELNS1_3repE0EEENS1_30default_config_static_selectorELNS0_4arch9wavefront6targetE1EEEvT1_
    .private_segment_fixed_size: 0
    .sgpr_count:     4
    .sgpr_spill_count: 0
    .symbol:         _ZN7rocprim17ROCPRIM_400000_NS6detail17trampoline_kernelINS0_14default_configENS1_20scan_config_selectorIsEEZZNS1_9scan_implILNS1_25lookback_scan_determinismE0ELb0ELb1ES3_N6thrust23THRUST_200600_302600_NS6detail15normal_iteratorINS9_10device_ptrIsEEEESE_sNS9_4plusIsEEsEEDaPvRmT3_T4_T5_mT6_P12ihipStream_tbENKUlT_T0_E_clISt17integral_constantIbLb0EEST_IbLb1EEEEDaSP_SQ_EUlSP_E_NS1_11comp_targetILNS1_3genE10ELNS1_11target_archE1201ELNS1_3gpuE5ELNS1_3repE0EEENS1_30default_config_static_selectorELNS0_4arch9wavefront6targetE1EEEvT1_.kd
    .uniform_work_group_size: 1
    .uses_dynamic_stack: false
    .vgpr_count:     0
    .vgpr_spill_count: 0
    .wavefront_size: 64
  - .agpr_count:     0
    .args:
      - .offset:         0
        .size:           96
        .value_kind:     by_value
    .group_segment_fixed_size: 0
    .kernarg_segment_align: 8
    .kernarg_segment_size: 96
    .language:       OpenCL C
    .language_version:
      - 2
      - 0
    .max_flat_workgroup_size: 256
    .name:           _ZN7rocprim17ROCPRIM_400000_NS6detail17trampoline_kernelINS0_14default_configENS1_20scan_config_selectorIsEEZZNS1_9scan_implILNS1_25lookback_scan_determinismE0ELb0ELb1ES3_N6thrust23THRUST_200600_302600_NS6detail15normal_iteratorINS9_10device_ptrIsEEEESE_sNS9_4plusIsEEsEEDaPvRmT3_T4_T5_mT6_P12ihipStream_tbENKUlT_T0_E_clISt17integral_constantIbLb0EEST_IbLb1EEEEDaSP_SQ_EUlSP_E_NS1_11comp_targetILNS1_3genE10ELNS1_11target_archE1200ELNS1_3gpuE4ELNS1_3repE0EEENS1_30default_config_static_selectorELNS0_4arch9wavefront6targetE1EEEvT1_
    .private_segment_fixed_size: 0
    .sgpr_count:     4
    .sgpr_spill_count: 0
    .symbol:         _ZN7rocprim17ROCPRIM_400000_NS6detail17trampoline_kernelINS0_14default_configENS1_20scan_config_selectorIsEEZZNS1_9scan_implILNS1_25lookback_scan_determinismE0ELb0ELb1ES3_N6thrust23THRUST_200600_302600_NS6detail15normal_iteratorINS9_10device_ptrIsEEEESE_sNS9_4plusIsEEsEEDaPvRmT3_T4_T5_mT6_P12ihipStream_tbENKUlT_T0_E_clISt17integral_constantIbLb0EEST_IbLb1EEEEDaSP_SQ_EUlSP_E_NS1_11comp_targetILNS1_3genE10ELNS1_11target_archE1200ELNS1_3gpuE4ELNS1_3repE0EEENS1_30default_config_static_selectorELNS0_4arch9wavefront6targetE1EEEvT1_.kd
    .uniform_work_group_size: 1
    .uses_dynamic_stack: false
    .vgpr_count:     0
    .vgpr_spill_count: 0
    .wavefront_size: 64
  - .agpr_count:     0
    .args:
      - .offset:         0
        .size:           96
        .value_kind:     by_value
    .group_segment_fixed_size: 0
    .kernarg_segment_align: 8
    .kernarg_segment_size: 96
    .language:       OpenCL C
    .language_version:
      - 2
      - 0
    .max_flat_workgroup_size: 64
    .name:           _ZN7rocprim17ROCPRIM_400000_NS6detail17trampoline_kernelINS0_14default_configENS1_20scan_config_selectorIsEEZZNS1_9scan_implILNS1_25lookback_scan_determinismE0ELb0ELb1ES3_N6thrust23THRUST_200600_302600_NS6detail15normal_iteratorINS9_10device_ptrIsEEEESE_sNS9_4plusIsEEsEEDaPvRmT3_T4_T5_mT6_P12ihipStream_tbENKUlT_T0_E_clISt17integral_constantIbLb0EEST_IbLb1EEEEDaSP_SQ_EUlSP_E_NS1_11comp_targetILNS1_3genE9ELNS1_11target_archE1100ELNS1_3gpuE3ELNS1_3repE0EEENS1_30default_config_static_selectorELNS0_4arch9wavefront6targetE1EEEvT1_
    .private_segment_fixed_size: 0
    .sgpr_count:     4
    .sgpr_spill_count: 0
    .symbol:         _ZN7rocprim17ROCPRIM_400000_NS6detail17trampoline_kernelINS0_14default_configENS1_20scan_config_selectorIsEEZZNS1_9scan_implILNS1_25lookback_scan_determinismE0ELb0ELb1ES3_N6thrust23THRUST_200600_302600_NS6detail15normal_iteratorINS9_10device_ptrIsEEEESE_sNS9_4plusIsEEsEEDaPvRmT3_T4_T5_mT6_P12ihipStream_tbENKUlT_T0_E_clISt17integral_constantIbLb0EEST_IbLb1EEEEDaSP_SQ_EUlSP_E_NS1_11comp_targetILNS1_3genE9ELNS1_11target_archE1100ELNS1_3gpuE3ELNS1_3repE0EEENS1_30default_config_static_selectorELNS0_4arch9wavefront6targetE1EEEvT1_.kd
    .uniform_work_group_size: 1
    .uses_dynamic_stack: false
    .vgpr_count:     0
    .vgpr_spill_count: 0
    .wavefront_size: 64
  - .agpr_count:     0
    .args:
      - .offset:         0
        .size:           96
        .value_kind:     by_value
    .group_segment_fixed_size: 0
    .kernarg_segment_align: 8
    .kernarg_segment_size: 96
    .language:       OpenCL C
    .language_version:
      - 2
      - 0
    .max_flat_workgroup_size: 64
    .name:           _ZN7rocprim17ROCPRIM_400000_NS6detail17trampoline_kernelINS0_14default_configENS1_20scan_config_selectorIsEEZZNS1_9scan_implILNS1_25lookback_scan_determinismE0ELb0ELb1ES3_N6thrust23THRUST_200600_302600_NS6detail15normal_iteratorINS9_10device_ptrIsEEEESE_sNS9_4plusIsEEsEEDaPvRmT3_T4_T5_mT6_P12ihipStream_tbENKUlT_T0_E_clISt17integral_constantIbLb0EEST_IbLb1EEEEDaSP_SQ_EUlSP_E_NS1_11comp_targetILNS1_3genE8ELNS1_11target_archE1030ELNS1_3gpuE2ELNS1_3repE0EEENS1_30default_config_static_selectorELNS0_4arch9wavefront6targetE1EEEvT1_
    .private_segment_fixed_size: 0
    .sgpr_count:     4
    .sgpr_spill_count: 0
    .symbol:         _ZN7rocprim17ROCPRIM_400000_NS6detail17trampoline_kernelINS0_14default_configENS1_20scan_config_selectorIsEEZZNS1_9scan_implILNS1_25lookback_scan_determinismE0ELb0ELb1ES3_N6thrust23THRUST_200600_302600_NS6detail15normal_iteratorINS9_10device_ptrIsEEEESE_sNS9_4plusIsEEsEEDaPvRmT3_T4_T5_mT6_P12ihipStream_tbENKUlT_T0_E_clISt17integral_constantIbLb0EEST_IbLb1EEEEDaSP_SQ_EUlSP_E_NS1_11comp_targetILNS1_3genE8ELNS1_11target_archE1030ELNS1_3gpuE2ELNS1_3repE0EEENS1_30default_config_static_selectorELNS0_4arch9wavefront6targetE1EEEvT1_.kd
    .uniform_work_group_size: 1
    .uses_dynamic_stack: false
    .vgpr_count:     0
    .vgpr_spill_count: 0
    .wavefront_size: 64
  - .agpr_count:     0
    .args:
      - .offset:         0
        .size:           32
        .value_kind:     by_value
    .group_segment_fixed_size: 0
    .kernarg_segment_align: 8
    .kernarg_segment_size: 32
    .language:       OpenCL C
    .language_version:
      - 2
      - 0
    .max_flat_workgroup_size: 128
    .name:           _ZN7rocprim17ROCPRIM_400000_NS6detail17trampoline_kernelINS0_14default_configENS1_20scan_config_selectorIsEEZZNS1_9scan_implILNS1_25lookback_scan_determinismE0ELb0ELb1ES3_N6thrust23THRUST_200600_302600_NS6detail15normal_iteratorINS9_10device_ptrIsEEEESE_sNS9_4plusIsEEsEEDaPvRmT3_T4_T5_mT6_P12ihipStream_tbENKUlT_T0_E_clISt17integral_constantIbLb0EEST_IbLb1EEEEDaSP_SQ_EUlSP_E0_NS1_11comp_targetILNS1_3genE0ELNS1_11target_archE4294967295ELNS1_3gpuE0ELNS1_3repE0EEENS1_30default_config_static_selectorELNS0_4arch9wavefront6targetE1EEEvT1_
    .private_segment_fixed_size: 0
    .sgpr_count:     4
    .sgpr_spill_count: 0
    .symbol:         _ZN7rocprim17ROCPRIM_400000_NS6detail17trampoline_kernelINS0_14default_configENS1_20scan_config_selectorIsEEZZNS1_9scan_implILNS1_25lookback_scan_determinismE0ELb0ELb1ES3_N6thrust23THRUST_200600_302600_NS6detail15normal_iteratorINS9_10device_ptrIsEEEESE_sNS9_4plusIsEEsEEDaPvRmT3_T4_T5_mT6_P12ihipStream_tbENKUlT_T0_E_clISt17integral_constantIbLb0EEST_IbLb1EEEEDaSP_SQ_EUlSP_E0_NS1_11comp_targetILNS1_3genE0ELNS1_11target_archE4294967295ELNS1_3gpuE0ELNS1_3repE0EEENS1_30default_config_static_selectorELNS0_4arch9wavefront6targetE1EEEvT1_.kd
    .uniform_work_group_size: 1
    .uses_dynamic_stack: false
    .vgpr_count:     0
    .vgpr_spill_count: 0
    .wavefront_size: 64
  - .agpr_count:     0
    .args:
      - .offset:         0
        .size:           32
        .value_kind:     by_value
    .group_segment_fixed_size: 0
    .kernarg_segment_align: 8
    .kernarg_segment_size: 32
    .language:       OpenCL C
    .language_version:
      - 2
      - 0
    .max_flat_workgroup_size: 256
    .name:           _ZN7rocprim17ROCPRIM_400000_NS6detail17trampoline_kernelINS0_14default_configENS1_20scan_config_selectorIsEEZZNS1_9scan_implILNS1_25lookback_scan_determinismE0ELb0ELb1ES3_N6thrust23THRUST_200600_302600_NS6detail15normal_iteratorINS9_10device_ptrIsEEEESE_sNS9_4plusIsEEsEEDaPvRmT3_T4_T5_mT6_P12ihipStream_tbENKUlT_T0_E_clISt17integral_constantIbLb0EEST_IbLb1EEEEDaSP_SQ_EUlSP_E0_NS1_11comp_targetILNS1_3genE5ELNS1_11target_archE942ELNS1_3gpuE9ELNS1_3repE0EEENS1_30default_config_static_selectorELNS0_4arch9wavefront6targetE1EEEvT1_
    .private_segment_fixed_size: 0
    .sgpr_count:     4
    .sgpr_spill_count: 0
    .symbol:         _ZN7rocprim17ROCPRIM_400000_NS6detail17trampoline_kernelINS0_14default_configENS1_20scan_config_selectorIsEEZZNS1_9scan_implILNS1_25lookback_scan_determinismE0ELb0ELb1ES3_N6thrust23THRUST_200600_302600_NS6detail15normal_iteratorINS9_10device_ptrIsEEEESE_sNS9_4plusIsEEsEEDaPvRmT3_T4_T5_mT6_P12ihipStream_tbENKUlT_T0_E_clISt17integral_constantIbLb0EEST_IbLb1EEEEDaSP_SQ_EUlSP_E0_NS1_11comp_targetILNS1_3genE5ELNS1_11target_archE942ELNS1_3gpuE9ELNS1_3repE0EEENS1_30default_config_static_selectorELNS0_4arch9wavefront6targetE1EEEvT1_.kd
    .uniform_work_group_size: 1
    .uses_dynamic_stack: false
    .vgpr_count:     0
    .vgpr_spill_count: 0
    .wavefront_size: 64
  - .agpr_count:     0
    .args:
      - .offset:         0
        .size:           32
        .value_kind:     by_value
    .group_segment_fixed_size: 3072
    .kernarg_segment_align: 8
    .kernarg_segment_size: 32
    .language:       OpenCL C
    .language_version:
      - 2
      - 0
    .max_flat_workgroup_size: 64
    .name:           _ZN7rocprim17ROCPRIM_400000_NS6detail17trampoline_kernelINS0_14default_configENS1_20scan_config_selectorIsEEZZNS1_9scan_implILNS1_25lookback_scan_determinismE0ELb0ELb1ES3_N6thrust23THRUST_200600_302600_NS6detail15normal_iteratorINS9_10device_ptrIsEEEESE_sNS9_4plusIsEEsEEDaPvRmT3_T4_T5_mT6_P12ihipStream_tbENKUlT_T0_E_clISt17integral_constantIbLb0EEST_IbLb1EEEEDaSP_SQ_EUlSP_E0_NS1_11comp_targetILNS1_3genE4ELNS1_11target_archE910ELNS1_3gpuE8ELNS1_3repE0EEENS1_30default_config_static_selectorELNS0_4arch9wavefront6targetE1EEEvT1_
    .private_segment_fixed_size: 0
    .sgpr_count:     60
    .sgpr_spill_count: 0
    .symbol:         _ZN7rocprim17ROCPRIM_400000_NS6detail17trampoline_kernelINS0_14default_configENS1_20scan_config_selectorIsEEZZNS1_9scan_implILNS1_25lookback_scan_determinismE0ELb0ELb1ES3_N6thrust23THRUST_200600_302600_NS6detail15normal_iteratorINS9_10device_ptrIsEEEESE_sNS9_4plusIsEEsEEDaPvRmT3_T4_T5_mT6_P12ihipStream_tbENKUlT_T0_E_clISt17integral_constantIbLb0EEST_IbLb1EEEEDaSP_SQ_EUlSP_E0_NS1_11comp_targetILNS1_3genE4ELNS1_11target_archE910ELNS1_3gpuE8ELNS1_3repE0EEENS1_30default_config_static_selectorELNS0_4arch9wavefront6targetE1EEEvT1_.kd
    .uniform_work_group_size: 1
    .uses_dynamic_stack: false
    .vgpr_count:     40
    .vgpr_spill_count: 0
    .wavefront_size: 64
  - .agpr_count:     0
    .args:
      - .offset:         0
        .size:           32
        .value_kind:     by_value
    .group_segment_fixed_size: 0
    .kernarg_segment_align: 8
    .kernarg_segment_size: 32
    .language:       OpenCL C
    .language_version:
      - 2
      - 0
    .max_flat_workgroup_size: 128
    .name:           _ZN7rocprim17ROCPRIM_400000_NS6detail17trampoline_kernelINS0_14default_configENS1_20scan_config_selectorIsEEZZNS1_9scan_implILNS1_25lookback_scan_determinismE0ELb0ELb1ES3_N6thrust23THRUST_200600_302600_NS6detail15normal_iteratorINS9_10device_ptrIsEEEESE_sNS9_4plusIsEEsEEDaPvRmT3_T4_T5_mT6_P12ihipStream_tbENKUlT_T0_E_clISt17integral_constantIbLb0EEST_IbLb1EEEEDaSP_SQ_EUlSP_E0_NS1_11comp_targetILNS1_3genE3ELNS1_11target_archE908ELNS1_3gpuE7ELNS1_3repE0EEENS1_30default_config_static_selectorELNS0_4arch9wavefront6targetE1EEEvT1_
    .private_segment_fixed_size: 0
    .sgpr_count:     4
    .sgpr_spill_count: 0
    .symbol:         _ZN7rocprim17ROCPRIM_400000_NS6detail17trampoline_kernelINS0_14default_configENS1_20scan_config_selectorIsEEZZNS1_9scan_implILNS1_25lookback_scan_determinismE0ELb0ELb1ES3_N6thrust23THRUST_200600_302600_NS6detail15normal_iteratorINS9_10device_ptrIsEEEESE_sNS9_4plusIsEEsEEDaPvRmT3_T4_T5_mT6_P12ihipStream_tbENKUlT_T0_E_clISt17integral_constantIbLb0EEST_IbLb1EEEEDaSP_SQ_EUlSP_E0_NS1_11comp_targetILNS1_3genE3ELNS1_11target_archE908ELNS1_3gpuE7ELNS1_3repE0EEENS1_30default_config_static_selectorELNS0_4arch9wavefront6targetE1EEEvT1_.kd
    .uniform_work_group_size: 1
    .uses_dynamic_stack: false
    .vgpr_count:     0
    .vgpr_spill_count: 0
    .wavefront_size: 64
  - .agpr_count:     0
    .args:
      - .offset:         0
        .size:           32
        .value_kind:     by_value
    .group_segment_fixed_size: 0
    .kernarg_segment_align: 8
    .kernarg_segment_size: 32
    .language:       OpenCL C
    .language_version:
      - 2
      - 0
    .max_flat_workgroup_size: 256
    .name:           _ZN7rocprim17ROCPRIM_400000_NS6detail17trampoline_kernelINS0_14default_configENS1_20scan_config_selectorIsEEZZNS1_9scan_implILNS1_25lookback_scan_determinismE0ELb0ELb1ES3_N6thrust23THRUST_200600_302600_NS6detail15normal_iteratorINS9_10device_ptrIsEEEESE_sNS9_4plusIsEEsEEDaPvRmT3_T4_T5_mT6_P12ihipStream_tbENKUlT_T0_E_clISt17integral_constantIbLb0EEST_IbLb1EEEEDaSP_SQ_EUlSP_E0_NS1_11comp_targetILNS1_3genE2ELNS1_11target_archE906ELNS1_3gpuE6ELNS1_3repE0EEENS1_30default_config_static_selectorELNS0_4arch9wavefront6targetE1EEEvT1_
    .private_segment_fixed_size: 0
    .sgpr_count:     4
    .sgpr_spill_count: 0
    .symbol:         _ZN7rocprim17ROCPRIM_400000_NS6detail17trampoline_kernelINS0_14default_configENS1_20scan_config_selectorIsEEZZNS1_9scan_implILNS1_25lookback_scan_determinismE0ELb0ELb1ES3_N6thrust23THRUST_200600_302600_NS6detail15normal_iteratorINS9_10device_ptrIsEEEESE_sNS9_4plusIsEEsEEDaPvRmT3_T4_T5_mT6_P12ihipStream_tbENKUlT_T0_E_clISt17integral_constantIbLb0EEST_IbLb1EEEEDaSP_SQ_EUlSP_E0_NS1_11comp_targetILNS1_3genE2ELNS1_11target_archE906ELNS1_3gpuE6ELNS1_3repE0EEENS1_30default_config_static_selectorELNS0_4arch9wavefront6targetE1EEEvT1_.kd
    .uniform_work_group_size: 1
    .uses_dynamic_stack: false
    .vgpr_count:     0
    .vgpr_spill_count: 0
    .wavefront_size: 64
  - .agpr_count:     0
    .args:
      - .offset:         0
        .size:           32
        .value_kind:     by_value
    .group_segment_fixed_size: 0
    .kernarg_segment_align: 8
    .kernarg_segment_size: 32
    .language:       OpenCL C
    .language_version:
      - 2
      - 0
    .max_flat_workgroup_size: 256
    .name:           _ZN7rocprim17ROCPRIM_400000_NS6detail17trampoline_kernelINS0_14default_configENS1_20scan_config_selectorIsEEZZNS1_9scan_implILNS1_25lookback_scan_determinismE0ELb0ELb1ES3_N6thrust23THRUST_200600_302600_NS6detail15normal_iteratorINS9_10device_ptrIsEEEESE_sNS9_4plusIsEEsEEDaPvRmT3_T4_T5_mT6_P12ihipStream_tbENKUlT_T0_E_clISt17integral_constantIbLb0EEST_IbLb1EEEEDaSP_SQ_EUlSP_E0_NS1_11comp_targetILNS1_3genE10ELNS1_11target_archE1201ELNS1_3gpuE5ELNS1_3repE0EEENS1_30default_config_static_selectorELNS0_4arch9wavefront6targetE1EEEvT1_
    .private_segment_fixed_size: 0
    .sgpr_count:     4
    .sgpr_spill_count: 0
    .symbol:         _ZN7rocprim17ROCPRIM_400000_NS6detail17trampoline_kernelINS0_14default_configENS1_20scan_config_selectorIsEEZZNS1_9scan_implILNS1_25lookback_scan_determinismE0ELb0ELb1ES3_N6thrust23THRUST_200600_302600_NS6detail15normal_iteratorINS9_10device_ptrIsEEEESE_sNS9_4plusIsEEsEEDaPvRmT3_T4_T5_mT6_P12ihipStream_tbENKUlT_T0_E_clISt17integral_constantIbLb0EEST_IbLb1EEEEDaSP_SQ_EUlSP_E0_NS1_11comp_targetILNS1_3genE10ELNS1_11target_archE1201ELNS1_3gpuE5ELNS1_3repE0EEENS1_30default_config_static_selectorELNS0_4arch9wavefront6targetE1EEEvT1_.kd
    .uniform_work_group_size: 1
    .uses_dynamic_stack: false
    .vgpr_count:     0
    .vgpr_spill_count: 0
    .wavefront_size: 64
  - .agpr_count:     0
    .args:
      - .offset:         0
        .size:           32
        .value_kind:     by_value
    .group_segment_fixed_size: 0
    .kernarg_segment_align: 8
    .kernarg_segment_size: 32
    .language:       OpenCL C
    .language_version:
      - 2
      - 0
    .max_flat_workgroup_size: 256
    .name:           _ZN7rocprim17ROCPRIM_400000_NS6detail17trampoline_kernelINS0_14default_configENS1_20scan_config_selectorIsEEZZNS1_9scan_implILNS1_25lookback_scan_determinismE0ELb0ELb1ES3_N6thrust23THRUST_200600_302600_NS6detail15normal_iteratorINS9_10device_ptrIsEEEESE_sNS9_4plusIsEEsEEDaPvRmT3_T4_T5_mT6_P12ihipStream_tbENKUlT_T0_E_clISt17integral_constantIbLb0EEST_IbLb1EEEEDaSP_SQ_EUlSP_E0_NS1_11comp_targetILNS1_3genE10ELNS1_11target_archE1200ELNS1_3gpuE4ELNS1_3repE0EEENS1_30default_config_static_selectorELNS0_4arch9wavefront6targetE1EEEvT1_
    .private_segment_fixed_size: 0
    .sgpr_count:     4
    .sgpr_spill_count: 0
    .symbol:         _ZN7rocprim17ROCPRIM_400000_NS6detail17trampoline_kernelINS0_14default_configENS1_20scan_config_selectorIsEEZZNS1_9scan_implILNS1_25lookback_scan_determinismE0ELb0ELb1ES3_N6thrust23THRUST_200600_302600_NS6detail15normal_iteratorINS9_10device_ptrIsEEEESE_sNS9_4plusIsEEsEEDaPvRmT3_T4_T5_mT6_P12ihipStream_tbENKUlT_T0_E_clISt17integral_constantIbLb0EEST_IbLb1EEEEDaSP_SQ_EUlSP_E0_NS1_11comp_targetILNS1_3genE10ELNS1_11target_archE1200ELNS1_3gpuE4ELNS1_3repE0EEENS1_30default_config_static_selectorELNS0_4arch9wavefront6targetE1EEEvT1_.kd
    .uniform_work_group_size: 1
    .uses_dynamic_stack: false
    .vgpr_count:     0
    .vgpr_spill_count: 0
    .wavefront_size: 64
  - .agpr_count:     0
    .args:
      - .offset:         0
        .size:           32
        .value_kind:     by_value
    .group_segment_fixed_size: 0
    .kernarg_segment_align: 8
    .kernarg_segment_size: 32
    .language:       OpenCL C
    .language_version:
      - 2
      - 0
    .max_flat_workgroup_size: 64
    .name:           _ZN7rocprim17ROCPRIM_400000_NS6detail17trampoline_kernelINS0_14default_configENS1_20scan_config_selectorIsEEZZNS1_9scan_implILNS1_25lookback_scan_determinismE0ELb0ELb1ES3_N6thrust23THRUST_200600_302600_NS6detail15normal_iteratorINS9_10device_ptrIsEEEESE_sNS9_4plusIsEEsEEDaPvRmT3_T4_T5_mT6_P12ihipStream_tbENKUlT_T0_E_clISt17integral_constantIbLb0EEST_IbLb1EEEEDaSP_SQ_EUlSP_E0_NS1_11comp_targetILNS1_3genE9ELNS1_11target_archE1100ELNS1_3gpuE3ELNS1_3repE0EEENS1_30default_config_static_selectorELNS0_4arch9wavefront6targetE1EEEvT1_
    .private_segment_fixed_size: 0
    .sgpr_count:     4
    .sgpr_spill_count: 0
    .symbol:         _ZN7rocprim17ROCPRIM_400000_NS6detail17trampoline_kernelINS0_14default_configENS1_20scan_config_selectorIsEEZZNS1_9scan_implILNS1_25lookback_scan_determinismE0ELb0ELb1ES3_N6thrust23THRUST_200600_302600_NS6detail15normal_iteratorINS9_10device_ptrIsEEEESE_sNS9_4plusIsEEsEEDaPvRmT3_T4_T5_mT6_P12ihipStream_tbENKUlT_T0_E_clISt17integral_constantIbLb0EEST_IbLb1EEEEDaSP_SQ_EUlSP_E0_NS1_11comp_targetILNS1_3genE9ELNS1_11target_archE1100ELNS1_3gpuE3ELNS1_3repE0EEENS1_30default_config_static_selectorELNS0_4arch9wavefront6targetE1EEEvT1_.kd
    .uniform_work_group_size: 1
    .uses_dynamic_stack: false
    .vgpr_count:     0
    .vgpr_spill_count: 0
    .wavefront_size: 64
  - .agpr_count:     0
    .args:
      - .offset:         0
        .size:           32
        .value_kind:     by_value
    .group_segment_fixed_size: 0
    .kernarg_segment_align: 8
    .kernarg_segment_size: 32
    .language:       OpenCL C
    .language_version:
      - 2
      - 0
    .max_flat_workgroup_size: 64
    .name:           _ZN7rocprim17ROCPRIM_400000_NS6detail17trampoline_kernelINS0_14default_configENS1_20scan_config_selectorIsEEZZNS1_9scan_implILNS1_25lookback_scan_determinismE0ELb0ELb1ES3_N6thrust23THRUST_200600_302600_NS6detail15normal_iteratorINS9_10device_ptrIsEEEESE_sNS9_4plusIsEEsEEDaPvRmT3_T4_T5_mT6_P12ihipStream_tbENKUlT_T0_E_clISt17integral_constantIbLb0EEST_IbLb1EEEEDaSP_SQ_EUlSP_E0_NS1_11comp_targetILNS1_3genE8ELNS1_11target_archE1030ELNS1_3gpuE2ELNS1_3repE0EEENS1_30default_config_static_selectorELNS0_4arch9wavefront6targetE1EEEvT1_
    .private_segment_fixed_size: 0
    .sgpr_count:     4
    .sgpr_spill_count: 0
    .symbol:         _ZN7rocprim17ROCPRIM_400000_NS6detail17trampoline_kernelINS0_14default_configENS1_20scan_config_selectorIsEEZZNS1_9scan_implILNS1_25lookback_scan_determinismE0ELb0ELb1ES3_N6thrust23THRUST_200600_302600_NS6detail15normal_iteratorINS9_10device_ptrIsEEEESE_sNS9_4plusIsEEsEEDaPvRmT3_T4_T5_mT6_P12ihipStream_tbENKUlT_T0_E_clISt17integral_constantIbLb0EEST_IbLb1EEEEDaSP_SQ_EUlSP_E0_NS1_11comp_targetILNS1_3genE8ELNS1_11target_archE1030ELNS1_3gpuE2ELNS1_3repE0EEENS1_30default_config_static_selectorELNS0_4arch9wavefront6targetE1EEEvT1_.kd
    .uniform_work_group_size: 1
    .uses_dynamic_stack: false
    .vgpr_count:     0
    .vgpr_spill_count: 0
    .wavefront_size: 64
  - .agpr_count:     0
    .args:
      - .offset:         0
        .size:           16
        .value_kind:     by_value
      - .offset:         16
        .size:           8
        .value_kind:     by_value
      - .offset:         24
        .size:           8
        .value_kind:     by_value
    .group_segment_fixed_size: 0
    .kernarg_segment_align: 8
    .kernarg_segment_size: 32
    .language:       OpenCL C
    .language_version:
      - 2
      - 0
    .max_flat_workgroup_size: 256
    .name:           _ZN6thrust23THRUST_200600_302600_NS11hip_rocprim14__parallel_for6kernelILj256ENS1_20__uninitialized_fill7functorINS0_10device_ptrIiEEiEEmLj1EEEvT0_T1_SA_
    .private_segment_fixed_size: 0
    .sgpr_count:     16
    .sgpr_spill_count: 0
    .symbol:         _ZN6thrust23THRUST_200600_302600_NS11hip_rocprim14__parallel_for6kernelILj256ENS1_20__uninitialized_fill7functorINS0_10device_ptrIiEEiEEmLj1EEEvT0_T1_SA_.kd
    .uniform_work_group_size: 1
    .uses_dynamic_stack: false
    .vgpr_count:     4
    .vgpr_spill_count: 0
    .wavefront_size: 64
  - .agpr_count:     0
    .args:
      - .offset:         0
        .size:           96
        .value_kind:     by_value
    .group_segment_fixed_size: 0
    .kernarg_segment_align: 8
    .kernarg_segment_size: 96
    .language:       OpenCL C
    .language_version:
      - 2
      - 0
    .max_flat_workgroup_size: 256
    .name:           _ZN7rocprim17ROCPRIM_400000_NS6detail17trampoline_kernelINS0_14default_configENS1_20scan_config_selectorIiEEZZNS1_9scan_implILNS1_25lookback_scan_determinismE0ELb0ELb0ES3_N6thrust23THRUST_200600_302600_NS6detail15normal_iteratorINS9_10device_ptrIiEEEESE_iNS9_4plusIvEEiEEDaPvRmT3_T4_T5_mT6_P12ihipStream_tbENKUlT_T0_E_clISt17integral_constantIbLb0EESU_EEDaSP_SQ_EUlSP_E_NS1_11comp_targetILNS1_3genE0ELNS1_11target_archE4294967295ELNS1_3gpuE0ELNS1_3repE0EEENS1_30default_config_static_selectorELNS0_4arch9wavefront6targetE1EEEvT1_
    .private_segment_fixed_size: 0
    .sgpr_count:     4
    .sgpr_spill_count: 0
    .symbol:         _ZN7rocprim17ROCPRIM_400000_NS6detail17trampoline_kernelINS0_14default_configENS1_20scan_config_selectorIiEEZZNS1_9scan_implILNS1_25lookback_scan_determinismE0ELb0ELb0ES3_N6thrust23THRUST_200600_302600_NS6detail15normal_iteratorINS9_10device_ptrIiEEEESE_iNS9_4plusIvEEiEEDaPvRmT3_T4_T5_mT6_P12ihipStream_tbENKUlT_T0_E_clISt17integral_constantIbLb0EESU_EEDaSP_SQ_EUlSP_E_NS1_11comp_targetILNS1_3genE0ELNS1_11target_archE4294967295ELNS1_3gpuE0ELNS1_3repE0EEENS1_30default_config_static_selectorELNS0_4arch9wavefront6targetE1EEEvT1_.kd
    .uniform_work_group_size: 1
    .uses_dynamic_stack: false
    .vgpr_count:     0
    .vgpr_spill_count: 0
    .wavefront_size: 64
  - .agpr_count:     0
    .args:
      - .offset:         0
        .size:           96
        .value_kind:     by_value
    .group_segment_fixed_size: 0
    .kernarg_segment_align: 8
    .kernarg_segment_size: 96
    .language:       OpenCL C
    .language_version:
      - 2
      - 0
    .max_flat_workgroup_size: 256
    .name:           _ZN7rocprim17ROCPRIM_400000_NS6detail17trampoline_kernelINS0_14default_configENS1_20scan_config_selectorIiEEZZNS1_9scan_implILNS1_25lookback_scan_determinismE0ELb0ELb0ES3_N6thrust23THRUST_200600_302600_NS6detail15normal_iteratorINS9_10device_ptrIiEEEESE_iNS9_4plusIvEEiEEDaPvRmT3_T4_T5_mT6_P12ihipStream_tbENKUlT_T0_E_clISt17integral_constantIbLb0EESU_EEDaSP_SQ_EUlSP_E_NS1_11comp_targetILNS1_3genE5ELNS1_11target_archE942ELNS1_3gpuE9ELNS1_3repE0EEENS1_30default_config_static_selectorELNS0_4arch9wavefront6targetE1EEEvT1_
    .private_segment_fixed_size: 0
    .sgpr_count:     4
    .sgpr_spill_count: 0
    .symbol:         _ZN7rocprim17ROCPRIM_400000_NS6detail17trampoline_kernelINS0_14default_configENS1_20scan_config_selectorIiEEZZNS1_9scan_implILNS1_25lookback_scan_determinismE0ELb0ELb0ES3_N6thrust23THRUST_200600_302600_NS6detail15normal_iteratorINS9_10device_ptrIiEEEESE_iNS9_4plusIvEEiEEDaPvRmT3_T4_T5_mT6_P12ihipStream_tbENKUlT_T0_E_clISt17integral_constantIbLb0EESU_EEDaSP_SQ_EUlSP_E_NS1_11comp_targetILNS1_3genE5ELNS1_11target_archE942ELNS1_3gpuE9ELNS1_3repE0EEENS1_30default_config_static_selectorELNS0_4arch9wavefront6targetE1EEEvT1_.kd
    .uniform_work_group_size: 1
    .uses_dynamic_stack: false
    .vgpr_count:     0
    .vgpr_spill_count: 0
    .wavefront_size: 64
  - .agpr_count:     0
    .args:
      - .offset:         0
        .size:           96
        .value_kind:     by_value
    .group_segment_fixed_size: 5120
    .kernarg_segment_align: 8
    .kernarg_segment_size: 96
    .language:       OpenCL C
    .language_version:
      - 2
      - 0
    .max_flat_workgroup_size: 128
    .name:           _ZN7rocprim17ROCPRIM_400000_NS6detail17trampoline_kernelINS0_14default_configENS1_20scan_config_selectorIiEEZZNS1_9scan_implILNS1_25lookback_scan_determinismE0ELb0ELb0ES3_N6thrust23THRUST_200600_302600_NS6detail15normal_iteratorINS9_10device_ptrIiEEEESE_iNS9_4plusIvEEiEEDaPvRmT3_T4_T5_mT6_P12ihipStream_tbENKUlT_T0_E_clISt17integral_constantIbLb0EESU_EEDaSP_SQ_EUlSP_E_NS1_11comp_targetILNS1_3genE4ELNS1_11target_archE910ELNS1_3gpuE8ELNS1_3repE0EEENS1_30default_config_static_selectorELNS0_4arch9wavefront6targetE1EEEvT1_
    .private_segment_fixed_size: 0
    .sgpr_count:     32
    .sgpr_spill_count: 0
    .symbol:         _ZN7rocprim17ROCPRIM_400000_NS6detail17trampoline_kernelINS0_14default_configENS1_20scan_config_selectorIiEEZZNS1_9scan_implILNS1_25lookback_scan_determinismE0ELb0ELb0ES3_N6thrust23THRUST_200600_302600_NS6detail15normal_iteratorINS9_10device_ptrIiEEEESE_iNS9_4plusIvEEiEEDaPvRmT3_T4_T5_mT6_P12ihipStream_tbENKUlT_T0_E_clISt17integral_constantIbLb0EESU_EEDaSP_SQ_EUlSP_E_NS1_11comp_targetILNS1_3genE4ELNS1_11target_archE910ELNS1_3gpuE8ELNS1_3repE0EEENS1_30default_config_static_selectorELNS0_4arch9wavefront6targetE1EEEvT1_.kd
    .uniform_work_group_size: 1
    .uses_dynamic_stack: false
    .vgpr_count:     40
    .vgpr_spill_count: 0
    .wavefront_size: 64
  - .agpr_count:     0
    .args:
      - .offset:         0
        .size:           96
        .value_kind:     by_value
    .group_segment_fixed_size: 0
    .kernarg_segment_align: 8
    .kernarg_segment_size: 96
    .language:       OpenCL C
    .language_version:
      - 2
      - 0
    .max_flat_workgroup_size: 256
    .name:           _ZN7rocprim17ROCPRIM_400000_NS6detail17trampoline_kernelINS0_14default_configENS1_20scan_config_selectorIiEEZZNS1_9scan_implILNS1_25lookback_scan_determinismE0ELb0ELb0ES3_N6thrust23THRUST_200600_302600_NS6detail15normal_iteratorINS9_10device_ptrIiEEEESE_iNS9_4plusIvEEiEEDaPvRmT3_T4_T5_mT6_P12ihipStream_tbENKUlT_T0_E_clISt17integral_constantIbLb0EESU_EEDaSP_SQ_EUlSP_E_NS1_11comp_targetILNS1_3genE3ELNS1_11target_archE908ELNS1_3gpuE7ELNS1_3repE0EEENS1_30default_config_static_selectorELNS0_4arch9wavefront6targetE1EEEvT1_
    .private_segment_fixed_size: 0
    .sgpr_count:     4
    .sgpr_spill_count: 0
    .symbol:         _ZN7rocprim17ROCPRIM_400000_NS6detail17trampoline_kernelINS0_14default_configENS1_20scan_config_selectorIiEEZZNS1_9scan_implILNS1_25lookback_scan_determinismE0ELb0ELb0ES3_N6thrust23THRUST_200600_302600_NS6detail15normal_iteratorINS9_10device_ptrIiEEEESE_iNS9_4plusIvEEiEEDaPvRmT3_T4_T5_mT6_P12ihipStream_tbENKUlT_T0_E_clISt17integral_constantIbLb0EESU_EEDaSP_SQ_EUlSP_E_NS1_11comp_targetILNS1_3genE3ELNS1_11target_archE908ELNS1_3gpuE7ELNS1_3repE0EEENS1_30default_config_static_selectorELNS0_4arch9wavefront6targetE1EEEvT1_.kd
    .uniform_work_group_size: 1
    .uses_dynamic_stack: false
    .vgpr_count:     0
    .vgpr_spill_count: 0
    .wavefront_size: 64
  - .agpr_count:     0
    .args:
      - .offset:         0
        .size:           96
        .value_kind:     by_value
    .group_segment_fixed_size: 0
    .kernarg_segment_align: 8
    .kernarg_segment_size: 96
    .language:       OpenCL C
    .language_version:
      - 2
      - 0
    .max_flat_workgroup_size: 256
    .name:           _ZN7rocprim17ROCPRIM_400000_NS6detail17trampoline_kernelINS0_14default_configENS1_20scan_config_selectorIiEEZZNS1_9scan_implILNS1_25lookback_scan_determinismE0ELb0ELb0ES3_N6thrust23THRUST_200600_302600_NS6detail15normal_iteratorINS9_10device_ptrIiEEEESE_iNS9_4plusIvEEiEEDaPvRmT3_T4_T5_mT6_P12ihipStream_tbENKUlT_T0_E_clISt17integral_constantIbLb0EESU_EEDaSP_SQ_EUlSP_E_NS1_11comp_targetILNS1_3genE2ELNS1_11target_archE906ELNS1_3gpuE6ELNS1_3repE0EEENS1_30default_config_static_selectorELNS0_4arch9wavefront6targetE1EEEvT1_
    .private_segment_fixed_size: 0
    .sgpr_count:     4
    .sgpr_spill_count: 0
    .symbol:         _ZN7rocprim17ROCPRIM_400000_NS6detail17trampoline_kernelINS0_14default_configENS1_20scan_config_selectorIiEEZZNS1_9scan_implILNS1_25lookback_scan_determinismE0ELb0ELb0ES3_N6thrust23THRUST_200600_302600_NS6detail15normal_iteratorINS9_10device_ptrIiEEEESE_iNS9_4plusIvEEiEEDaPvRmT3_T4_T5_mT6_P12ihipStream_tbENKUlT_T0_E_clISt17integral_constantIbLb0EESU_EEDaSP_SQ_EUlSP_E_NS1_11comp_targetILNS1_3genE2ELNS1_11target_archE906ELNS1_3gpuE6ELNS1_3repE0EEENS1_30default_config_static_selectorELNS0_4arch9wavefront6targetE1EEEvT1_.kd
    .uniform_work_group_size: 1
    .uses_dynamic_stack: false
    .vgpr_count:     0
    .vgpr_spill_count: 0
    .wavefront_size: 64
  - .agpr_count:     0
    .args:
      - .offset:         0
        .size:           96
        .value_kind:     by_value
    .group_segment_fixed_size: 0
    .kernarg_segment_align: 8
    .kernarg_segment_size: 96
    .language:       OpenCL C
    .language_version:
      - 2
      - 0
    .max_flat_workgroup_size: 256
    .name:           _ZN7rocprim17ROCPRIM_400000_NS6detail17trampoline_kernelINS0_14default_configENS1_20scan_config_selectorIiEEZZNS1_9scan_implILNS1_25lookback_scan_determinismE0ELb0ELb0ES3_N6thrust23THRUST_200600_302600_NS6detail15normal_iteratorINS9_10device_ptrIiEEEESE_iNS9_4plusIvEEiEEDaPvRmT3_T4_T5_mT6_P12ihipStream_tbENKUlT_T0_E_clISt17integral_constantIbLb0EESU_EEDaSP_SQ_EUlSP_E_NS1_11comp_targetILNS1_3genE10ELNS1_11target_archE1201ELNS1_3gpuE5ELNS1_3repE0EEENS1_30default_config_static_selectorELNS0_4arch9wavefront6targetE1EEEvT1_
    .private_segment_fixed_size: 0
    .sgpr_count:     4
    .sgpr_spill_count: 0
    .symbol:         _ZN7rocprim17ROCPRIM_400000_NS6detail17trampoline_kernelINS0_14default_configENS1_20scan_config_selectorIiEEZZNS1_9scan_implILNS1_25lookback_scan_determinismE0ELb0ELb0ES3_N6thrust23THRUST_200600_302600_NS6detail15normal_iteratorINS9_10device_ptrIiEEEESE_iNS9_4plusIvEEiEEDaPvRmT3_T4_T5_mT6_P12ihipStream_tbENKUlT_T0_E_clISt17integral_constantIbLb0EESU_EEDaSP_SQ_EUlSP_E_NS1_11comp_targetILNS1_3genE10ELNS1_11target_archE1201ELNS1_3gpuE5ELNS1_3repE0EEENS1_30default_config_static_selectorELNS0_4arch9wavefront6targetE1EEEvT1_.kd
    .uniform_work_group_size: 1
    .uses_dynamic_stack: false
    .vgpr_count:     0
    .vgpr_spill_count: 0
    .wavefront_size: 64
  - .agpr_count:     0
    .args:
      - .offset:         0
        .size:           96
        .value_kind:     by_value
    .group_segment_fixed_size: 0
    .kernarg_segment_align: 8
    .kernarg_segment_size: 96
    .language:       OpenCL C
    .language_version:
      - 2
      - 0
    .max_flat_workgroup_size: 256
    .name:           _ZN7rocprim17ROCPRIM_400000_NS6detail17trampoline_kernelINS0_14default_configENS1_20scan_config_selectorIiEEZZNS1_9scan_implILNS1_25lookback_scan_determinismE0ELb0ELb0ES3_N6thrust23THRUST_200600_302600_NS6detail15normal_iteratorINS9_10device_ptrIiEEEESE_iNS9_4plusIvEEiEEDaPvRmT3_T4_T5_mT6_P12ihipStream_tbENKUlT_T0_E_clISt17integral_constantIbLb0EESU_EEDaSP_SQ_EUlSP_E_NS1_11comp_targetILNS1_3genE10ELNS1_11target_archE1200ELNS1_3gpuE4ELNS1_3repE0EEENS1_30default_config_static_selectorELNS0_4arch9wavefront6targetE1EEEvT1_
    .private_segment_fixed_size: 0
    .sgpr_count:     4
    .sgpr_spill_count: 0
    .symbol:         _ZN7rocprim17ROCPRIM_400000_NS6detail17trampoline_kernelINS0_14default_configENS1_20scan_config_selectorIiEEZZNS1_9scan_implILNS1_25lookback_scan_determinismE0ELb0ELb0ES3_N6thrust23THRUST_200600_302600_NS6detail15normal_iteratorINS9_10device_ptrIiEEEESE_iNS9_4plusIvEEiEEDaPvRmT3_T4_T5_mT6_P12ihipStream_tbENKUlT_T0_E_clISt17integral_constantIbLb0EESU_EEDaSP_SQ_EUlSP_E_NS1_11comp_targetILNS1_3genE10ELNS1_11target_archE1200ELNS1_3gpuE4ELNS1_3repE0EEENS1_30default_config_static_selectorELNS0_4arch9wavefront6targetE1EEEvT1_.kd
    .uniform_work_group_size: 1
    .uses_dynamic_stack: false
    .vgpr_count:     0
    .vgpr_spill_count: 0
    .wavefront_size: 64
  - .agpr_count:     0
    .args:
      - .offset:         0
        .size:           96
        .value_kind:     by_value
    .group_segment_fixed_size: 0
    .kernarg_segment_align: 8
    .kernarg_segment_size: 96
    .language:       OpenCL C
    .language_version:
      - 2
      - 0
    .max_flat_workgroup_size: 256
    .name:           _ZN7rocprim17ROCPRIM_400000_NS6detail17trampoline_kernelINS0_14default_configENS1_20scan_config_selectorIiEEZZNS1_9scan_implILNS1_25lookback_scan_determinismE0ELb0ELb0ES3_N6thrust23THRUST_200600_302600_NS6detail15normal_iteratorINS9_10device_ptrIiEEEESE_iNS9_4plusIvEEiEEDaPvRmT3_T4_T5_mT6_P12ihipStream_tbENKUlT_T0_E_clISt17integral_constantIbLb0EESU_EEDaSP_SQ_EUlSP_E_NS1_11comp_targetILNS1_3genE9ELNS1_11target_archE1100ELNS1_3gpuE3ELNS1_3repE0EEENS1_30default_config_static_selectorELNS0_4arch9wavefront6targetE1EEEvT1_
    .private_segment_fixed_size: 0
    .sgpr_count:     4
    .sgpr_spill_count: 0
    .symbol:         _ZN7rocprim17ROCPRIM_400000_NS6detail17trampoline_kernelINS0_14default_configENS1_20scan_config_selectorIiEEZZNS1_9scan_implILNS1_25lookback_scan_determinismE0ELb0ELb0ES3_N6thrust23THRUST_200600_302600_NS6detail15normal_iteratorINS9_10device_ptrIiEEEESE_iNS9_4plusIvEEiEEDaPvRmT3_T4_T5_mT6_P12ihipStream_tbENKUlT_T0_E_clISt17integral_constantIbLb0EESU_EEDaSP_SQ_EUlSP_E_NS1_11comp_targetILNS1_3genE9ELNS1_11target_archE1100ELNS1_3gpuE3ELNS1_3repE0EEENS1_30default_config_static_selectorELNS0_4arch9wavefront6targetE1EEEvT1_.kd
    .uniform_work_group_size: 1
    .uses_dynamic_stack: false
    .vgpr_count:     0
    .vgpr_spill_count: 0
    .wavefront_size: 64
  - .agpr_count:     0
    .args:
      - .offset:         0
        .size:           96
        .value_kind:     by_value
    .group_segment_fixed_size: 0
    .kernarg_segment_align: 8
    .kernarg_segment_size: 96
    .language:       OpenCL C
    .language_version:
      - 2
      - 0
    .max_flat_workgroup_size: 64
    .name:           _ZN7rocprim17ROCPRIM_400000_NS6detail17trampoline_kernelINS0_14default_configENS1_20scan_config_selectorIiEEZZNS1_9scan_implILNS1_25lookback_scan_determinismE0ELb0ELb0ES3_N6thrust23THRUST_200600_302600_NS6detail15normal_iteratorINS9_10device_ptrIiEEEESE_iNS9_4plusIvEEiEEDaPvRmT3_T4_T5_mT6_P12ihipStream_tbENKUlT_T0_E_clISt17integral_constantIbLb0EESU_EEDaSP_SQ_EUlSP_E_NS1_11comp_targetILNS1_3genE8ELNS1_11target_archE1030ELNS1_3gpuE2ELNS1_3repE0EEENS1_30default_config_static_selectorELNS0_4arch9wavefront6targetE1EEEvT1_
    .private_segment_fixed_size: 0
    .sgpr_count:     4
    .sgpr_spill_count: 0
    .symbol:         _ZN7rocprim17ROCPRIM_400000_NS6detail17trampoline_kernelINS0_14default_configENS1_20scan_config_selectorIiEEZZNS1_9scan_implILNS1_25lookback_scan_determinismE0ELb0ELb0ES3_N6thrust23THRUST_200600_302600_NS6detail15normal_iteratorINS9_10device_ptrIiEEEESE_iNS9_4plusIvEEiEEDaPvRmT3_T4_T5_mT6_P12ihipStream_tbENKUlT_T0_E_clISt17integral_constantIbLb0EESU_EEDaSP_SQ_EUlSP_E_NS1_11comp_targetILNS1_3genE8ELNS1_11target_archE1030ELNS1_3gpuE2ELNS1_3repE0EEENS1_30default_config_static_selectorELNS0_4arch9wavefront6targetE1EEEvT1_.kd
    .uniform_work_group_size: 1
    .uses_dynamic_stack: false
    .vgpr_count:     0
    .vgpr_spill_count: 0
    .wavefront_size: 64
  - .agpr_count:     0
    .args:
      - .offset:         0
        .size:           32
        .value_kind:     by_value
    .group_segment_fixed_size: 0
    .kernarg_segment_align: 8
    .kernarg_segment_size: 32
    .language:       OpenCL C
    .language_version:
      - 2
      - 0
    .max_flat_workgroup_size: 256
    .name:           _ZN7rocprim17ROCPRIM_400000_NS6detail17trampoline_kernelINS0_14default_configENS1_20scan_config_selectorIiEEZZNS1_9scan_implILNS1_25lookback_scan_determinismE0ELb0ELb0ES3_N6thrust23THRUST_200600_302600_NS6detail15normal_iteratorINS9_10device_ptrIiEEEESE_iNS9_4plusIvEEiEEDaPvRmT3_T4_T5_mT6_P12ihipStream_tbENKUlT_T0_E_clISt17integral_constantIbLb0EESU_EEDaSP_SQ_EUlSP_E0_NS1_11comp_targetILNS1_3genE0ELNS1_11target_archE4294967295ELNS1_3gpuE0ELNS1_3repE0EEENS1_30default_config_static_selectorELNS0_4arch9wavefront6targetE1EEEvT1_
    .private_segment_fixed_size: 0
    .sgpr_count:     4
    .sgpr_spill_count: 0
    .symbol:         _ZN7rocprim17ROCPRIM_400000_NS6detail17trampoline_kernelINS0_14default_configENS1_20scan_config_selectorIiEEZZNS1_9scan_implILNS1_25lookback_scan_determinismE0ELb0ELb0ES3_N6thrust23THRUST_200600_302600_NS6detail15normal_iteratorINS9_10device_ptrIiEEEESE_iNS9_4plusIvEEiEEDaPvRmT3_T4_T5_mT6_P12ihipStream_tbENKUlT_T0_E_clISt17integral_constantIbLb0EESU_EEDaSP_SQ_EUlSP_E0_NS1_11comp_targetILNS1_3genE0ELNS1_11target_archE4294967295ELNS1_3gpuE0ELNS1_3repE0EEENS1_30default_config_static_selectorELNS0_4arch9wavefront6targetE1EEEvT1_.kd
    .uniform_work_group_size: 1
    .uses_dynamic_stack: false
    .vgpr_count:     0
    .vgpr_spill_count: 0
    .wavefront_size: 64
  - .agpr_count:     0
    .args:
      - .offset:         0
        .size:           32
        .value_kind:     by_value
    .group_segment_fixed_size: 0
    .kernarg_segment_align: 8
    .kernarg_segment_size: 32
    .language:       OpenCL C
    .language_version:
      - 2
      - 0
    .max_flat_workgroup_size: 256
    .name:           _ZN7rocprim17ROCPRIM_400000_NS6detail17trampoline_kernelINS0_14default_configENS1_20scan_config_selectorIiEEZZNS1_9scan_implILNS1_25lookback_scan_determinismE0ELb0ELb0ES3_N6thrust23THRUST_200600_302600_NS6detail15normal_iteratorINS9_10device_ptrIiEEEESE_iNS9_4plusIvEEiEEDaPvRmT3_T4_T5_mT6_P12ihipStream_tbENKUlT_T0_E_clISt17integral_constantIbLb0EESU_EEDaSP_SQ_EUlSP_E0_NS1_11comp_targetILNS1_3genE5ELNS1_11target_archE942ELNS1_3gpuE9ELNS1_3repE0EEENS1_30default_config_static_selectorELNS0_4arch9wavefront6targetE1EEEvT1_
    .private_segment_fixed_size: 0
    .sgpr_count:     4
    .sgpr_spill_count: 0
    .symbol:         _ZN7rocprim17ROCPRIM_400000_NS6detail17trampoline_kernelINS0_14default_configENS1_20scan_config_selectorIiEEZZNS1_9scan_implILNS1_25lookback_scan_determinismE0ELb0ELb0ES3_N6thrust23THRUST_200600_302600_NS6detail15normal_iteratorINS9_10device_ptrIiEEEESE_iNS9_4plusIvEEiEEDaPvRmT3_T4_T5_mT6_P12ihipStream_tbENKUlT_T0_E_clISt17integral_constantIbLb0EESU_EEDaSP_SQ_EUlSP_E0_NS1_11comp_targetILNS1_3genE5ELNS1_11target_archE942ELNS1_3gpuE9ELNS1_3repE0EEENS1_30default_config_static_selectorELNS0_4arch9wavefront6targetE1EEEvT1_.kd
    .uniform_work_group_size: 1
    .uses_dynamic_stack: false
    .vgpr_count:     0
    .vgpr_spill_count: 0
    .wavefront_size: 64
  - .agpr_count:     0
    .args:
      - .offset:         0
        .size:           32
        .value_kind:     by_value
    .group_segment_fixed_size: 5120
    .kernarg_segment_align: 8
    .kernarg_segment_size: 32
    .language:       OpenCL C
    .language_version:
      - 2
      - 0
    .max_flat_workgroup_size: 128
    .name:           _ZN7rocprim17ROCPRIM_400000_NS6detail17trampoline_kernelINS0_14default_configENS1_20scan_config_selectorIiEEZZNS1_9scan_implILNS1_25lookback_scan_determinismE0ELb0ELb0ES3_N6thrust23THRUST_200600_302600_NS6detail15normal_iteratorINS9_10device_ptrIiEEEESE_iNS9_4plusIvEEiEEDaPvRmT3_T4_T5_mT6_P12ihipStream_tbENKUlT_T0_E_clISt17integral_constantIbLb0EESU_EEDaSP_SQ_EUlSP_E0_NS1_11comp_targetILNS1_3genE4ELNS1_11target_archE910ELNS1_3gpuE8ELNS1_3repE0EEENS1_30default_config_static_selectorELNS0_4arch9wavefront6targetE1EEEvT1_
    .private_segment_fixed_size: 0
    .sgpr_count:     28
    .sgpr_spill_count: 0
    .symbol:         _ZN7rocprim17ROCPRIM_400000_NS6detail17trampoline_kernelINS0_14default_configENS1_20scan_config_selectorIiEEZZNS1_9scan_implILNS1_25lookback_scan_determinismE0ELb0ELb0ES3_N6thrust23THRUST_200600_302600_NS6detail15normal_iteratorINS9_10device_ptrIiEEEESE_iNS9_4plusIvEEiEEDaPvRmT3_T4_T5_mT6_P12ihipStream_tbENKUlT_T0_E_clISt17integral_constantIbLb0EESU_EEDaSP_SQ_EUlSP_E0_NS1_11comp_targetILNS1_3genE4ELNS1_11target_archE910ELNS1_3gpuE8ELNS1_3repE0EEENS1_30default_config_static_selectorELNS0_4arch9wavefront6targetE1EEEvT1_.kd
    .uniform_work_group_size: 1
    .uses_dynamic_stack: false
    .vgpr_count:     27
    .vgpr_spill_count: 0
    .wavefront_size: 64
  - .agpr_count:     0
    .args:
      - .offset:         0
        .size:           32
        .value_kind:     by_value
    .group_segment_fixed_size: 0
    .kernarg_segment_align: 8
    .kernarg_segment_size: 32
    .language:       OpenCL C
    .language_version:
      - 2
      - 0
    .max_flat_workgroup_size: 256
    .name:           _ZN7rocprim17ROCPRIM_400000_NS6detail17trampoline_kernelINS0_14default_configENS1_20scan_config_selectorIiEEZZNS1_9scan_implILNS1_25lookback_scan_determinismE0ELb0ELb0ES3_N6thrust23THRUST_200600_302600_NS6detail15normal_iteratorINS9_10device_ptrIiEEEESE_iNS9_4plusIvEEiEEDaPvRmT3_T4_T5_mT6_P12ihipStream_tbENKUlT_T0_E_clISt17integral_constantIbLb0EESU_EEDaSP_SQ_EUlSP_E0_NS1_11comp_targetILNS1_3genE3ELNS1_11target_archE908ELNS1_3gpuE7ELNS1_3repE0EEENS1_30default_config_static_selectorELNS0_4arch9wavefront6targetE1EEEvT1_
    .private_segment_fixed_size: 0
    .sgpr_count:     4
    .sgpr_spill_count: 0
    .symbol:         _ZN7rocprim17ROCPRIM_400000_NS6detail17trampoline_kernelINS0_14default_configENS1_20scan_config_selectorIiEEZZNS1_9scan_implILNS1_25lookback_scan_determinismE0ELb0ELb0ES3_N6thrust23THRUST_200600_302600_NS6detail15normal_iteratorINS9_10device_ptrIiEEEESE_iNS9_4plusIvEEiEEDaPvRmT3_T4_T5_mT6_P12ihipStream_tbENKUlT_T0_E_clISt17integral_constantIbLb0EESU_EEDaSP_SQ_EUlSP_E0_NS1_11comp_targetILNS1_3genE3ELNS1_11target_archE908ELNS1_3gpuE7ELNS1_3repE0EEENS1_30default_config_static_selectorELNS0_4arch9wavefront6targetE1EEEvT1_.kd
    .uniform_work_group_size: 1
    .uses_dynamic_stack: false
    .vgpr_count:     0
    .vgpr_spill_count: 0
    .wavefront_size: 64
  - .agpr_count:     0
    .args:
      - .offset:         0
        .size:           32
        .value_kind:     by_value
    .group_segment_fixed_size: 0
    .kernarg_segment_align: 8
    .kernarg_segment_size: 32
    .language:       OpenCL C
    .language_version:
      - 2
      - 0
    .max_flat_workgroup_size: 256
    .name:           _ZN7rocprim17ROCPRIM_400000_NS6detail17trampoline_kernelINS0_14default_configENS1_20scan_config_selectorIiEEZZNS1_9scan_implILNS1_25lookback_scan_determinismE0ELb0ELb0ES3_N6thrust23THRUST_200600_302600_NS6detail15normal_iteratorINS9_10device_ptrIiEEEESE_iNS9_4plusIvEEiEEDaPvRmT3_T4_T5_mT6_P12ihipStream_tbENKUlT_T0_E_clISt17integral_constantIbLb0EESU_EEDaSP_SQ_EUlSP_E0_NS1_11comp_targetILNS1_3genE2ELNS1_11target_archE906ELNS1_3gpuE6ELNS1_3repE0EEENS1_30default_config_static_selectorELNS0_4arch9wavefront6targetE1EEEvT1_
    .private_segment_fixed_size: 0
    .sgpr_count:     4
    .sgpr_spill_count: 0
    .symbol:         _ZN7rocprim17ROCPRIM_400000_NS6detail17trampoline_kernelINS0_14default_configENS1_20scan_config_selectorIiEEZZNS1_9scan_implILNS1_25lookback_scan_determinismE0ELb0ELb0ES3_N6thrust23THRUST_200600_302600_NS6detail15normal_iteratorINS9_10device_ptrIiEEEESE_iNS9_4plusIvEEiEEDaPvRmT3_T4_T5_mT6_P12ihipStream_tbENKUlT_T0_E_clISt17integral_constantIbLb0EESU_EEDaSP_SQ_EUlSP_E0_NS1_11comp_targetILNS1_3genE2ELNS1_11target_archE906ELNS1_3gpuE6ELNS1_3repE0EEENS1_30default_config_static_selectorELNS0_4arch9wavefront6targetE1EEEvT1_.kd
    .uniform_work_group_size: 1
    .uses_dynamic_stack: false
    .vgpr_count:     0
    .vgpr_spill_count: 0
    .wavefront_size: 64
  - .agpr_count:     0
    .args:
      - .offset:         0
        .size:           32
        .value_kind:     by_value
    .group_segment_fixed_size: 0
    .kernarg_segment_align: 8
    .kernarg_segment_size: 32
    .language:       OpenCL C
    .language_version:
      - 2
      - 0
    .max_flat_workgroup_size: 256
    .name:           _ZN7rocprim17ROCPRIM_400000_NS6detail17trampoline_kernelINS0_14default_configENS1_20scan_config_selectorIiEEZZNS1_9scan_implILNS1_25lookback_scan_determinismE0ELb0ELb0ES3_N6thrust23THRUST_200600_302600_NS6detail15normal_iteratorINS9_10device_ptrIiEEEESE_iNS9_4plusIvEEiEEDaPvRmT3_T4_T5_mT6_P12ihipStream_tbENKUlT_T0_E_clISt17integral_constantIbLb0EESU_EEDaSP_SQ_EUlSP_E0_NS1_11comp_targetILNS1_3genE10ELNS1_11target_archE1201ELNS1_3gpuE5ELNS1_3repE0EEENS1_30default_config_static_selectorELNS0_4arch9wavefront6targetE1EEEvT1_
    .private_segment_fixed_size: 0
    .sgpr_count:     4
    .sgpr_spill_count: 0
    .symbol:         _ZN7rocprim17ROCPRIM_400000_NS6detail17trampoline_kernelINS0_14default_configENS1_20scan_config_selectorIiEEZZNS1_9scan_implILNS1_25lookback_scan_determinismE0ELb0ELb0ES3_N6thrust23THRUST_200600_302600_NS6detail15normal_iteratorINS9_10device_ptrIiEEEESE_iNS9_4plusIvEEiEEDaPvRmT3_T4_T5_mT6_P12ihipStream_tbENKUlT_T0_E_clISt17integral_constantIbLb0EESU_EEDaSP_SQ_EUlSP_E0_NS1_11comp_targetILNS1_3genE10ELNS1_11target_archE1201ELNS1_3gpuE5ELNS1_3repE0EEENS1_30default_config_static_selectorELNS0_4arch9wavefront6targetE1EEEvT1_.kd
    .uniform_work_group_size: 1
    .uses_dynamic_stack: false
    .vgpr_count:     0
    .vgpr_spill_count: 0
    .wavefront_size: 64
  - .agpr_count:     0
    .args:
      - .offset:         0
        .size:           32
        .value_kind:     by_value
    .group_segment_fixed_size: 0
    .kernarg_segment_align: 8
    .kernarg_segment_size: 32
    .language:       OpenCL C
    .language_version:
      - 2
      - 0
    .max_flat_workgroup_size: 256
    .name:           _ZN7rocprim17ROCPRIM_400000_NS6detail17trampoline_kernelINS0_14default_configENS1_20scan_config_selectorIiEEZZNS1_9scan_implILNS1_25lookback_scan_determinismE0ELb0ELb0ES3_N6thrust23THRUST_200600_302600_NS6detail15normal_iteratorINS9_10device_ptrIiEEEESE_iNS9_4plusIvEEiEEDaPvRmT3_T4_T5_mT6_P12ihipStream_tbENKUlT_T0_E_clISt17integral_constantIbLb0EESU_EEDaSP_SQ_EUlSP_E0_NS1_11comp_targetILNS1_3genE10ELNS1_11target_archE1200ELNS1_3gpuE4ELNS1_3repE0EEENS1_30default_config_static_selectorELNS0_4arch9wavefront6targetE1EEEvT1_
    .private_segment_fixed_size: 0
    .sgpr_count:     4
    .sgpr_spill_count: 0
    .symbol:         _ZN7rocprim17ROCPRIM_400000_NS6detail17trampoline_kernelINS0_14default_configENS1_20scan_config_selectorIiEEZZNS1_9scan_implILNS1_25lookback_scan_determinismE0ELb0ELb0ES3_N6thrust23THRUST_200600_302600_NS6detail15normal_iteratorINS9_10device_ptrIiEEEESE_iNS9_4plusIvEEiEEDaPvRmT3_T4_T5_mT6_P12ihipStream_tbENKUlT_T0_E_clISt17integral_constantIbLb0EESU_EEDaSP_SQ_EUlSP_E0_NS1_11comp_targetILNS1_3genE10ELNS1_11target_archE1200ELNS1_3gpuE4ELNS1_3repE0EEENS1_30default_config_static_selectorELNS0_4arch9wavefront6targetE1EEEvT1_.kd
    .uniform_work_group_size: 1
    .uses_dynamic_stack: false
    .vgpr_count:     0
    .vgpr_spill_count: 0
    .wavefront_size: 64
  - .agpr_count:     0
    .args:
      - .offset:         0
        .size:           32
        .value_kind:     by_value
    .group_segment_fixed_size: 0
    .kernarg_segment_align: 8
    .kernarg_segment_size: 32
    .language:       OpenCL C
    .language_version:
      - 2
      - 0
    .max_flat_workgroup_size: 256
    .name:           _ZN7rocprim17ROCPRIM_400000_NS6detail17trampoline_kernelINS0_14default_configENS1_20scan_config_selectorIiEEZZNS1_9scan_implILNS1_25lookback_scan_determinismE0ELb0ELb0ES3_N6thrust23THRUST_200600_302600_NS6detail15normal_iteratorINS9_10device_ptrIiEEEESE_iNS9_4plusIvEEiEEDaPvRmT3_T4_T5_mT6_P12ihipStream_tbENKUlT_T0_E_clISt17integral_constantIbLb0EESU_EEDaSP_SQ_EUlSP_E0_NS1_11comp_targetILNS1_3genE9ELNS1_11target_archE1100ELNS1_3gpuE3ELNS1_3repE0EEENS1_30default_config_static_selectorELNS0_4arch9wavefront6targetE1EEEvT1_
    .private_segment_fixed_size: 0
    .sgpr_count:     4
    .sgpr_spill_count: 0
    .symbol:         _ZN7rocprim17ROCPRIM_400000_NS6detail17trampoline_kernelINS0_14default_configENS1_20scan_config_selectorIiEEZZNS1_9scan_implILNS1_25lookback_scan_determinismE0ELb0ELb0ES3_N6thrust23THRUST_200600_302600_NS6detail15normal_iteratorINS9_10device_ptrIiEEEESE_iNS9_4plusIvEEiEEDaPvRmT3_T4_T5_mT6_P12ihipStream_tbENKUlT_T0_E_clISt17integral_constantIbLb0EESU_EEDaSP_SQ_EUlSP_E0_NS1_11comp_targetILNS1_3genE9ELNS1_11target_archE1100ELNS1_3gpuE3ELNS1_3repE0EEENS1_30default_config_static_selectorELNS0_4arch9wavefront6targetE1EEEvT1_.kd
    .uniform_work_group_size: 1
    .uses_dynamic_stack: false
    .vgpr_count:     0
    .vgpr_spill_count: 0
    .wavefront_size: 64
  - .agpr_count:     0
    .args:
      - .offset:         0
        .size:           32
        .value_kind:     by_value
    .group_segment_fixed_size: 0
    .kernarg_segment_align: 8
    .kernarg_segment_size: 32
    .language:       OpenCL C
    .language_version:
      - 2
      - 0
    .max_flat_workgroup_size: 64
    .name:           _ZN7rocprim17ROCPRIM_400000_NS6detail17trampoline_kernelINS0_14default_configENS1_20scan_config_selectorIiEEZZNS1_9scan_implILNS1_25lookback_scan_determinismE0ELb0ELb0ES3_N6thrust23THRUST_200600_302600_NS6detail15normal_iteratorINS9_10device_ptrIiEEEESE_iNS9_4plusIvEEiEEDaPvRmT3_T4_T5_mT6_P12ihipStream_tbENKUlT_T0_E_clISt17integral_constantIbLb0EESU_EEDaSP_SQ_EUlSP_E0_NS1_11comp_targetILNS1_3genE8ELNS1_11target_archE1030ELNS1_3gpuE2ELNS1_3repE0EEENS1_30default_config_static_selectorELNS0_4arch9wavefront6targetE1EEEvT1_
    .private_segment_fixed_size: 0
    .sgpr_count:     4
    .sgpr_spill_count: 0
    .symbol:         _ZN7rocprim17ROCPRIM_400000_NS6detail17trampoline_kernelINS0_14default_configENS1_20scan_config_selectorIiEEZZNS1_9scan_implILNS1_25lookback_scan_determinismE0ELb0ELb0ES3_N6thrust23THRUST_200600_302600_NS6detail15normal_iteratorINS9_10device_ptrIiEEEESE_iNS9_4plusIvEEiEEDaPvRmT3_T4_T5_mT6_P12ihipStream_tbENKUlT_T0_E_clISt17integral_constantIbLb0EESU_EEDaSP_SQ_EUlSP_E0_NS1_11comp_targetILNS1_3genE8ELNS1_11target_archE1030ELNS1_3gpuE2ELNS1_3repE0EEENS1_30default_config_static_selectorELNS0_4arch9wavefront6targetE1EEEvT1_.kd
    .uniform_work_group_size: 1
    .uses_dynamic_stack: false
    .vgpr_count:     0
    .vgpr_spill_count: 0
    .wavefront_size: 64
  - .agpr_count:     0
    .args:
      - .offset:         0
        .size:           96
        .value_kind:     by_value
    .group_segment_fixed_size: 0
    .kernarg_segment_align: 8
    .kernarg_segment_size: 96
    .language:       OpenCL C
    .language_version:
      - 2
      - 0
    .max_flat_workgroup_size: 256
    .name:           _ZN7rocprim17ROCPRIM_400000_NS6detail17trampoline_kernelINS0_14default_configENS1_20scan_config_selectorIiEEZZNS1_9scan_implILNS1_25lookback_scan_determinismE0ELb0ELb0ES3_N6thrust23THRUST_200600_302600_NS6detail15normal_iteratorINS9_10device_ptrIiEEEESE_iNS9_4plusIvEEiEEDaPvRmT3_T4_T5_mT6_P12ihipStream_tbENKUlT_T0_E_clISt17integral_constantIbLb1EESU_EEDaSP_SQ_EUlSP_E_NS1_11comp_targetILNS1_3genE0ELNS1_11target_archE4294967295ELNS1_3gpuE0ELNS1_3repE0EEENS1_30default_config_static_selectorELNS0_4arch9wavefront6targetE1EEEvT1_
    .private_segment_fixed_size: 0
    .sgpr_count:     4
    .sgpr_spill_count: 0
    .symbol:         _ZN7rocprim17ROCPRIM_400000_NS6detail17trampoline_kernelINS0_14default_configENS1_20scan_config_selectorIiEEZZNS1_9scan_implILNS1_25lookback_scan_determinismE0ELb0ELb0ES3_N6thrust23THRUST_200600_302600_NS6detail15normal_iteratorINS9_10device_ptrIiEEEESE_iNS9_4plusIvEEiEEDaPvRmT3_T4_T5_mT6_P12ihipStream_tbENKUlT_T0_E_clISt17integral_constantIbLb1EESU_EEDaSP_SQ_EUlSP_E_NS1_11comp_targetILNS1_3genE0ELNS1_11target_archE4294967295ELNS1_3gpuE0ELNS1_3repE0EEENS1_30default_config_static_selectorELNS0_4arch9wavefront6targetE1EEEvT1_.kd
    .uniform_work_group_size: 1
    .uses_dynamic_stack: false
    .vgpr_count:     0
    .vgpr_spill_count: 0
    .wavefront_size: 64
  - .agpr_count:     0
    .args:
      - .offset:         0
        .size:           96
        .value_kind:     by_value
    .group_segment_fixed_size: 0
    .kernarg_segment_align: 8
    .kernarg_segment_size: 96
    .language:       OpenCL C
    .language_version:
      - 2
      - 0
    .max_flat_workgroup_size: 256
    .name:           _ZN7rocprim17ROCPRIM_400000_NS6detail17trampoline_kernelINS0_14default_configENS1_20scan_config_selectorIiEEZZNS1_9scan_implILNS1_25lookback_scan_determinismE0ELb0ELb0ES3_N6thrust23THRUST_200600_302600_NS6detail15normal_iteratorINS9_10device_ptrIiEEEESE_iNS9_4plusIvEEiEEDaPvRmT3_T4_T5_mT6_P12ihipStream_tbENKUlT_T0_E_clISt17integral_constantIbLb1EESU_EEDaSP_SQ_EUlSP_E_NS1_11comp_targetILNS1_3genE5ELNS1_11target_archE942ELNS1_3gpuE9ELNS1_3repE0EEENS1_30default_config_static_selectorELNS0_4arch9wavefront6targetE1EEEvT1_
    .private_segment_fixed_size: 0
    .sgpr_count:     4
    .sgpr_spill_count: 0
    .symbol:         _ZN7rocprim17ROCPRIM_400000_NS6detail17trampoline_kernelINS0_14default_configENS1_20scan_config_selectorIiEEZZNS1_9scan_implILNS1_25lookback_scan_determinismE0ELb0ELb0ES3_N6thrust23THRUST_200600_302600_NS6detail15normal_iteratorINS9_10device_ptrIiEEEESE_iNS9_4plusIvEEiEEDaPvRmT3_T4_T5_mT6_P12ihipStream_tbENKUlT_T0_E_clISt17integral_constantIbLb1EESU_EEDaSP_SQ_EUlSP_E_NS1_11comp_targetILNS1_3genE5ELNS1_11target_archE942ELNS1_3gpuE9ELNS1_3repE0EEENS1_30default_config_static_selectorELNS0_4arch9wavefront6targetE1EEEvT1_.kd
    .uniform_work_group_size: 1
    .uses_dynamic_stack: false
    .vgpr_count:     0
    .vgpr_spill_count: 0
    .wavefront_size: 64
  - .agpr_count:     0
    .args:
      - .offset:         0
        .size:           96
        .value_kind:     by_value
    .group_segment_fixed_size: 5120
    .kernarg_segment_align: 8
    .kernarg_segment_size: 96
    .language:       OpenCL C
    .language_version:
      - 2
      - 0
    .max_flat_workgroup_size: 128
    .name:           _ZN7rocprim17ROCPRIM_400000_NS6detail17trampoline_kernelINS0_14default_configENS1_20scan_config_selectorIiEEZZNS1_9scan_implILNS1_25lookback_scan_determinismE0ELb0ELb0ES3_N6thrust23THRUST_200600_302600_NS6detail15normal_iteratorINS9_10device_ptrIiEEEESE_iNS9_4plusIvEEiEEDaPvRmT3_T4_T5_mT6_P12ihipStream_tbENKUlT_T0_E_clISt17integral_constantIbLb1EESU_EEDaSP_SQ_EUlSP_E_NS1_11comp_targetILNS1_3genE4ELNS1_11target_archE910ELNS1_3gpuE8ELNS1_3repE0EEENS1_30default_config_static_selectorELNS0_4arch9wavefront6targetE1EEEvT1_
    .private_segment_fixed_size: 0
    .sgpr_count:     42
    .sgpr_spill_count: 0
    .symbol:         _ZN7rocprim17ROCPRIM_400000_NS6detail17trampoline_kernelINS0_14default_configENS1_20scan_config_selectorIiEEZZNS1_9scan_implILNS1_25lookback_scan_determinismE0ELb0ELb0ES3_N6thrust23THRUST_200600_302600_NS6detail15normal_iteratorINS9_10device_ptrIiEEEESE_iNS9_4plusIvEEiEEDaPvRmT3_T4_T5_mT6_P12ihipStream_tbENKUlT_T0_E_clISt17integral_constantIbLb1EESU_EEDaSP_SQ_EUlSP_E_NS1_11comp_targetILNS1_3genE4ELNS1_11target_archE910ELNS1_3gpuE8ELNS1_3repE0EEENS1_30default_config_static_selectorELNS0_4arch9wavefront6targetE1EEEvT1_.kd
    .uniform_work_group_size: 1
    .uses_dynamic_stack: false
    .vgpr_count:     40
    .vgpr_spill_count: 0
    .wavefront_size: 64
  - .agpr_count:     0
    .args:
      - .offset:         0
        .size:           96
        .value_kind:     by_value
    .group_segment_fixed_size: 0
    .kernarg_segment_align: 8
    .kernarg_segment_size: 96
    .language:       OpenCL C
    .language_version:
      - 2
      - 0
    .max_flat_workgroup_size: 256
    .name:           _ZN7rocprim17ROCPRIM_400000_NS6detail17trampoline_kernelINS0_14default_configENS1_20scan_config_selectorIiEEZZNS1_9scan_implILNS1_25lookback_scan_determinismE0ELb0ELb0ES3_N6thrust23THRUST_200600_302600_NS6detail15normal_iteratorINS9_10device_ptrIiEEEESE_iNS9_4plusIvEEiEEDaPvRmT3_T4_T5_mT6_P12ihipStream_tbENKUlT_T0_E_clISt17integral_constantIbLb1EESU_EEDaSP_SQ_EUlSP_E_NS1_11comp_targetILNS1_3genE3ELNS1_11target_archE908ELNS1_3gpuE7ELNS1_3repE0EEENS1_30default_config_static_selectorELNS0_4arch9wavefront6targetE1EEEvT1_
    .private_segment_fixed_size: 0
    .sgpr_count:     4
    .sgpr_spill_count: 0
    .symbol:         _ZN7rocprim17ROCPRIM_400000_NS6detail17trampoline_kernelINS0_14default_configENS1_20scan_config_selectorIiEEZZNS1_9scan_implILNS1_25lookback_scan_determinismE0ELb0ELb0ES3_N6thrust23THRUST_200600_302600_NS6detail15normal_iteratorINS9_10device_ptrIiEEEESE_iNS9_4plusIvEEiEEDaPvRmT3_T4_T5_mT6_P12ihipStream_tbENKUlT_T0_E_clISt17integral_constantIbLb1EESU_EEDaSP_SQ_EUlSP_E_NS1_11comp_targetILNS1_3genE3ELNS1_11target_archE908ELNS1_3gpuE7ELNS1_3repE0EEENS1_30default_config_static_selectorELNS0_4arch9wavefront6targetE1EEEvT1_.kd
    .uniform_work_group_size: 1
    .uses_dynamic_stack: false
    .vgpr_count:     0
    .vgpr_spill_count: 0
    .wavefront_size: 64
  - .agpr_count:     0
    .args:
      - .offset:         0
        .size:           96
        .value_kind:     by_value
    .group_segment_fixed_size: 0
    .kernarg_segment_align: 8
    .kernarg_segment_size: 96
    .language:       OpenCL C
    .language_version:
      - 2
      - 0
    .max_flat_workgroup_size: 256
    .name:           _ZN7rocprim17ROCPRIM_400000_NS6detail17trampoline_kernelINS0_14default_configENS1_20scan_config_selectorIiEEZZNS1_9scan_implILNS1_25lookback_scan_determinismE0ELb0ELb0ES3_N6thrust23THRUST_200600_302600_NS6detail15normal_iteratorINS9_10device_ptrIiEEEESE_iNS9_4plusIvEEiEEDaPvRmT3_T4_T5_mT6_P12ihipStream_tbENKUlT_T0_E_clISt17integral_constantIbLb1EESU_EEDaSP_SQ_EUlSP_E_NS1_11comp_targetILNS1_3genE2ELNS1_11target_archE906ELNS1_3gpuE6ELNS1_3repE0EEENS1_30default_config_static_selectorELNS0_4arch9wavefront6targetE1EEEvT1_
    .private_segment_fixed_size: 0
    .sgpr_count:     4
    .sgpr_spill_count: 0
    .symbol:         _ZN7rocprim17ROCPRIM_400000_NS6detail17trampoline_kernelINS0_14default_configENS1_20scan_config_selectorIiEEZZNS1_9scan_implILNS1_25lookback_scan_determinismE0ELb0ELb0ES3_N6thrust23THRUST_200600_302600_NS6detail15normal_iteratorINS9_10device_ptrIiEEEESE_iNS9_4plusIvEEiEEDaPvRmT3_T4_T5_mT6_P12ihipStream_tbENKUlT_T0_E_clISt17integral_constantIbLb1EESU_EEDaSP_SQ_EUlSP_E_NS1_11comp_targetILNS1_3genE2ELNS1_11target_archE906ELNS1_3gpuE6ELNS1_3repE0EEENS1_30default_config_static_selectorELNS0_4arch9wavefront6targetE1EEEvT1_.kd
    .uniform_work_group_size: 1
    .uses_dynamic_stack: false
    .vgpr_count:     0
    .vgpr_spill_count: 0
    .wavefront_size: 64
  - .agpr_count:     0
    .args:
      - .offset:         0
        .size:           96
        .value_kind:     by_value
    .group_segment_fixed_size: 0
    .kernarg_segment_align: 8
    .kernarg_segment_size: 96
    .language:       OpenCL C
    .language_version:
      - 2
      - 0
    .max_flat_workgroup_size: 256
    .name:           _ZN7rocprim17ROCPRIM_400000_NS6detail17trampoline_kernelINS0_14default_configENS1_20scan_config_selectorIiEEZZNS1_9scan_implILNS1_25lookback_scan_determinismE0ELb0ELb0ES3_N6thrust23THRUST_200600_302600_NS6detail15normal_iteratorINS9_10device_ptrIiEEEESE_iNS9_4plusIvEEiEEDaPvRmT3_T4_T5_mT6_P12ihipStream_tbENKUlT_T0_E_clISt17integral_constantIbLb1EESU_EEDaSP_SQ_EUlSP_E_NS1_11comp_targetILNS1_3genE10ELNS1_11target_archE1201ELNS1_3gpuE5ELNS1_3repE0EEENS1_30default_config_static_selectorELNS0_4arch9wavefront6targetE1EEEvT1_
    .private_segment_fixed_size: 0
    .sgpr_count:     4
    .sgpr_spill_count: 0
    .symbol:         _ZN7rocprim17ROCPRIM_400000_NS6detail17trampoline_kernelINS0_14default_configENS1_20scan_config_selectorIiEEZZNS1_9scan_implILNS1_25lookback_scan_determinismE0ELb0ELb0ES3_N6thrust23THRUST_200600_302600_NS6detail15normal_iteratorINS9_10device_ptrIiEEEESE_iNS9_4plusIvEEiEEDaPvRmT3_T4_T5_mT6_P12ihipStream_tbENKUlT_T0_E_clISt17integral_constantIbLb1EESU_EEDaSP_SQ_EUlSP_E_NS1_11comp_targetILNS1_3genE10ELNS1_11target_archE1201ELNS1_3gpuE5ELNS1_3repE0EEENS1_30default_config_static_selectorELNS0_4arch9wavefront6targetE1EEEvT1_.kd
    .uniform_work_group_size: 1
    .uses_dynamic_stack: false
    .vgpr_count:     0
    .vgpr_spill_count: 0
    .wavefront_size: 64
  - .agpr_count:     0
    .args:
      - .offset:         0
        .size:           96
        .value_kind:     by_value
    .group_segment_fixed_size: 0
    .kernarg_segment_align: 8
    .kernarg_segment_size: 96
    .language:       OpenCL C
    .language_version:
      - 2
      - 0
    .max_flat_workgroup_size: 256
    .name:           _ZN7rocprim17ROCPRIM_400000_NS6detail17trampoline_kernelINS0_14default_configENS1_20scan_config_selectorIiEEZZNS1_9scan_implILNS1_25lookback_scan_determinismE0ELb0ELb0ES3_N6thrust23THRUST_200600_302600_NS6detail15normal_iteratorINS9_10device_ptrIiEEEESE_iNS9_4plusIvEEiEEDaPvRmT3_T4_T5_mT6_P12ihipStream_tbENKUlT_T0_E_clISt17integral_constantIbLb1EESU_EEDaSP_SQ_EUlSP_E_NS1_11comp_targetILNS1_3genE10ELNS1_11target_archE1200ELNS1_3gpuE4ELNS1_3repE0EEENS1_30default_config_static_selectorELNS0_4arch9wavefront6targetE1EEEvT1_
    .private_segment_fixed_size: 0
    .sgpr_count:     4
    .sgpr_spill_count: 0
    .symbol:         _ZN7rocprim17ROCPRIM_400000_NS6detail17trampoline_kernelINS0_14default_configENS1_20scan_config_selectorIiEEZZNS1_9scan_implILNS1_25lookback_scan_determinismE0ELb0ELb0ES3_N6thrust23THRUST_200600_302600_NS6detail15normal_iteratorINS9_10device_ptrIiEEEESE_iNS9_4plusIvEEiEEDaPvRmT3_T4_T5_mT6_P12ihipStream_tbENKUlT_T0_E_clISt17integral_constantIbLb1EESU_EEDaSP_SQ_EUlSP_E_NS1_11comp_targetILNS1_3genE10ELNS1_11target_archE1200ELNS1_3gpuE4ELNS1_3repE0EEENS1_30default_config_static_selectorELNS0_4arch9wavefront6targetE1EEEvT1_.kd
    .uniform_work_group_size: 1
    .uses_dynamic_stack: false
    .vgpr_count:     0
    .vgpr_spill_count: 0
    .wavefront_size: 64
  - .agpr_count:     0
    .args:
      - .offset:         0
        .size:           96
        .value_kind:     by_value
    .group_segment_fixed_size: 0
    .kernarg_segment_align: 8
    .kernarg_segment_size: 96
    .language:       OpenCL C
    .language_version:
      - 2
      - 0
    .max_flat_workgroup_size: 256
    .name:           _ZN7rocprim17ROCPRIM_400000_NS6detail17trampoline_kernelINS0_14default_configENS1_20scan_config_selectorIiEEZZNS1_9scan_implILNS1_25lookback_scan_determinismE0ELb0ELb0ES3_N6thrust23THRUST_200600_302600_NS6detail15normal_iteratorINS9_10device_ptrIiEEEESE_iNS9_4plusIvEEiEEDaPvRmT3_T4_T5_mT6_P12ihipStream_tbENKUlT_T0_E_clISt17integral_constantIbLb1EESU_EEDaSP_SQ_EUlSP_E_NS1_11comp_targetILNS1_3genE9ELNS1_11target_archE1100ELNS1_3gpuE3ELNS1_3repE0EEENS1_30default_config_static_selectorELNS0_4arch9wavefront6targetE1EEEvT1_
    .private_segment_fixed_size: 0
    .sgpr_count:     4
    .sgpr_spill_count: 0
    .symbol:         _ZN7rocprim17ROCPRIM_400000_NS6detail17trampoline_kernelINS0_14default_configENS1_20scan_config_selectorIiEEZZNS1_9scan_implILNS1_25lookback_scan_determinismE0ELb0ELb0ES3_N6thrust23THRUST_200600_302600_NS6detail15normal_iteratorINS9_10device_ptrIiEEEESE_iNS9_4plusIvEEiEEDaPvRmT3_T4_T5_mT6_P12ihipStream_tbENKUlT_T0_E_clISt17integral_constantIbLb1EESU_EEDaSP_SQ_EUlSP_E_NS1_11comp_targetILNS1_3genE9ELNS1_11target_archE1100ELNS1_3gpuE3ELNS1_3repE0EEENS1_30default_config_static_selectorELNS0_4arch9wavefront6targetE1EEEvT1_.kd
    .uniform_work_group_size: 1
    .uses_dynamic_stack: false
    .vgpr_count:     0
    .vgpr_spill_count: 0
    .wavefront_size: 64
  - .agpr_count:     0
    .args:
      - .offset:         0
        .size:           96
        .value_kind:     by_value
    .group_segment_fixed_size: 0
    .kernarg_segment_align: 8
    .kernarg_segment_size: 96
    .language:       OpenCL C
    .language_version:
      - 2
      - 0
    .max_flat_workgroup_size: 64
    .name:           _ZN7rocprim17ROCPRIM_400000_NS6detail17trampoline_kernelINS0_14default_configENS1_20scan_config_selectorIiEEZZNS1_9scan_implILNS1_25lookback_scan_determinismE0ELb0ELb0ES3_N6thrust23THRUST_200600_302600_NS6detail15normal_iteratorINS9_10device_ptrIiEEEESE_iNS9_4plusIvEEiEEDaPvRmT3_T4_T5_mT6_P12ihipStream_tbENKUlT_T0_E_clISt17integral_constantIbLb1EESU_EEDaSP_SQ_EUlSP_E_NS1_11comp_targetILNS1_3genE8ELNS1_11target_archE1030ELNS1_3gpuE2ELNS1_3repE0EEENS1_30default_config_static_selectorELNS0_4arch9wavefront6targetE1EEEvT1_
    .private_segment_fixed_size: 0
    .sgpr_count:     4
    .sgpr_spill_count: 0
    .symbol:         _ZN7rocprim17ROCPRIM_400000_NS6detail17trampoline_kernelINS0_14default_configENS1_20scan_config_selectorIiEEZZNS1_9scan_implILNS1_25lookback_scan_determinismE0ELb0ELb0ES3_N6thrust23THRUST_200600_302600_NS6detail15normal_iteratorINS9_10device_ptrIiEEEESE_iNS9_4plusIvEEiEEDaPvRmT3_T4_T5_mT6_P12ihipStream_tbENKUlT_T0_E_clISt17integral_constantIbLb1EESU_EEDaSP_SQ_EUlSP_E_NS1_11comp_targetILNS1_3genE8ELNS1_11target_archE1030ELNS1_3gpuE2ELNS1_3repE0EEENS1_30default_config_static_selectorELNS0_4arch9wavefront6targetE1EEEvT1_.kd
    .uniform_work_group_size: 1
    .uses_dynamic_stack: false
    .vgpr_count:     0
    .vgpr_spill_count: 0
    .wavefront_size: 64
  - .agpr_count:     0
    .args:
      - .offset:         0
        .size:           32
        .value_kind:     by_value
    .group_segment_fixed_size: 0
    .kernarg_segment_align: 8
    .kernarg_segment_size: 32
    .language:       OpenCL C
    .language_version:
      - 2
      - 0
    .max_flat_workgroup_size: 256
    .name:           _ZN7rocprim17ROCPRIM_400000_NS6detail17trampoline_kernelINS0_14default_configENS1_20scan_config_selectorIiEEZZNS1_9scan_implILNS1_25lookback_scan_determinismE0ELb0ELb0ES3_N6thrust23THRUST_200600_302600_NS6detail15normal_iteratorINS9_10device_ptrIiEEEESE_iNS9_4plusIvEEiEEDaPvRmT3_T4_T5_mT6_P12ihipStream_tbENKUlT_T0_E_clISt17integral_constantIbLb1EESU_EEDaSP_SQ_EUlSP_E0_NS1_11comp_targetILNS1_3genE0ELNS1_11target_archE4294967295ELNS1_3gpuE0ELNS1_3repE0EEENS1_30default_config_static_selectorELNS0_4arch9wavefront6targetE1EEEvT1_
    .private_segment_fixed_size: 0
    .sgpr_count:     4
    .sgpr_spill_count: 0
    .symbol:         _ZN7rocprim17ROCPRIM_400000_NS6detail17trampoline_kernelINS0_14default_configENS1_20scan_config_selectorIiEEZZNS1_9scan_implILNS1_25lookback_scan_determinismE0ELb0ELb0ES3_N6thrust23THRUST_200600_302600_NS6detail15normal_iteratorINS9_10device_ptrIiEEEESE_iNS9_4plusIvEEiEEDaPvRmT3_T4_T5_mT6_P12ihipStream_tbENKUlT_T0_E_clISt17integral_constantIbLb1EESU_EEDaSP_SQ_EUlSP_E0_NS1_11comp_targetILNS1_3genE0ELNS1_11target_archE4294967295ELNS1_3gpuE0ELNS1_3repE0EEENS1_30default_config_static_selectorELNS0_4arch9wavefront6targetE1EEEvT1_.kd
    .uniform_work_group_size: 1
    .uses_dynamic_stack: false
    .vgpr_count:     0
    .vgpr_spill_count: 0
    .wavefront_size: 64
  - .agpr_count:     0
    .args:
      - .offset:         0
        .size:           32
        .value_kind:     by_value
    .group_segment_fixed_size: 0
    .kernarg_segment_align: 8
    .kernarg_segment_size: 32
    .language:       OpenCL C
    .language_version:
      - 2
      - 0
    .max_flat_workgroup_size: 256
    .name:           _ZN7rocprim17ROCPRIM_400000_NS6detail17trampoline_kernelINS0_14default_configENS1_20scan_config_selectorIiEEZZNS1_9scan_implILNS1_25lookback_scan_determinismE0ELb0ELb0ES3_N6thrust23THRUST_200600_302600_NS6detail15normal_iteratorINS9_10device_ptrIiEEEESE_iNS9_4plusIvEEiEEDaPvRmT3_T4_T5_mT6_P12ihipStream_tbENKUlT_T0_E_clISt17integral_constantIbLb1EESU_EEDaSP_SQ_EUlSP_E0_NS1_11comp_targetILNS1_3genE5ELNS1_11target_archE942ELNS1_3gpuE9ELNS1_3repE0EEENS1_30default_config_static_selectorELNS0_4arch9wavefront6targetE1EEEvT1_
    .private_segment_fixed_size: 0
    .sgpr_count:     4
    .sgpr_spill_count: 0
    .symbol:         _ZN7rocprim17ROCPRIM_400000_NS6detail17trampoline_kernelINS0_14default_configENS1_20scan_config_selectorIiEEZZNS1_9scan_implILNS1_25lookback_scan_determinismE0ELb0ELb0ES3_N6thrust23THRUST_200600_302600_NS6detail15normal_iteratorINS9_10device_ptrIiEEEESE_iNS9_4plusIvEEiEEDaPvRmT3_T4_T5_mT6_P12ihipStream_tbENKUlT_T0_E_clISt17integral_constantIbLb1EESU_EEDaSP_SQ_EUlSP_E0_NS1_11comp_targetILNS1_3genE5ELNS1_11target_archE942ELNS1_3gpuE9ELNS1_3repE0EEENS1_30default_config_static_selectorELNS0_4arch9wavefront6targetE1EEEvT1_.kd
    .uniform_work_group_size: 1
    .uses_dynamic_stack: false
    .vgpr_count:     0
    .vgpr_spill_count: 0
    .wavefront_size: 64
  - .agpr_count:     0
    .args:
      - .offset:         0
        .size:           32
        .value_kind:     by_value
    .group_segment_fixed_size: 5120
    .kernarg_segment_align: 8
    .kernarg_segment_size: 32
    .language:       OpenCL C
    .language_version:
      - 2
      - 0
    .max_flat_workgroup_size: 128
    .name:           _ZN7rocprim17ROCPRIM_400000_NS6detail17trampoline_kernelINS0_14default_configENS1_20scan_config_selectorIiEEZZNS1_9scan_implILNS1_25lookback_scan_determinismE0ELb0ELb0ES3_N6thrust23THRUST_200600_302600_NS6detail15normal_iteratorINS9_10device_ptrIiEEEESE_iNS9_4plusIvEEiEEDaPvRmT3_T4_T5_mT6_P12ihipStream_tbENKUlT_T0_E_clISt17integral_constantIbLb1EESU_EEDaSP_SQ_EUlSP_E0_NS1_11comp_targetILNS1_3genE4ELNS1_11target_archE910ELNS1_3gpuE8ELNS1_3repE0EEENS1_30default_config_static_selectorELNS0_4arch9wavefront6targetE1EEEvT1_
    .private_segment_fixed_size: 0
    .sgpr_count:     28
    .sgpr_spill_count: 0
    .symbol:         _ZN7rocprim17ROCPRIM_400000_NS6detail17trampoline_kernelINS0_14default_configENS1_20scan_config_selectorIiEEZZNS1_9scan_implILNS1_25lookback_scan_determinismE0ELb0ELb0ES3_N6thrust23THRUST_200600_302600_NS6detail15normal_iteratorINS9_10device_ptrIiEEEESE_iNS9_4plusIvEEiEEDaPvRmT3_T4_T5_mT6_P12ihipStream_tbENKUlT_T0_E_clISt17integral_constantIbLb1EESU_EEDaSP_SQ_EUlSP_E0_NS1_11comp_targetILNS1_3genE4ELNS1_11target_archE910ELNS1_3gpuE8ELNS1_3repE0EEENS1_30default_config_static_selectorELNS0_4arch9wavefront6targetE1EEEvT1_.kd
    .uniform_work_group_size: 1
    .uses_dynamic_stack: false
    .vgpr_count:     27
    .vgpr_spill_count: 0
    .wavefront_size: 64
  - .agpr_count:     0
    .args:
      - .offset:         0
        .size:           32
        .value_kind:     by_value
    .group_segment_fixed_size: 0
    .kernarg_segment_align: 8
    .kernarg_segment_size: 32
    .language:       OpenCL C
    .language_version:
      - 2
      - 0
    .max_flat_workgroup_size: 256
    .name:           _ZN7rocprim17ROCPRIM_400000_NS6detail17trampoline_kernelINS0_14default_configENS1_20scan_config_selectorIiEEZZNS1_9scan_implILNS1_25lookback_scan_determinismE0ELb0ELb0ES3_N6thrust23THRUST_200600_302600_NS6detail15normal_iteratorINS9_10device_ptrIiEEEESE_iNS9_4plusIvEEiEEDaPvRmT3_T4_T5_mT6_P12ihipStream_tbENKUlT_T0_E_clISt17integral_constantIbLb1EESU_EEDaSP_SQ_EUlSP_E0_NS1_11comp_targetILNS1_3genE3ELNS1_11target_archE908ELNS1_3gpuE7ELNS1_3repE0EEENS1_30default_config_static_selectorELNS0_4arch9wavefront6targetE1EEEvT1_
    .private_segment_fixed_size: 0
    .sgpr_count:     4
    .sgpr_spill_count: 0
    .symbol:         _ZN7rocprim17ROCPRIM_400000_NS6detail17trampoline_kernelINS0_14default_configENS1_20scan_config_selectorIiEEZZNS1_9scan_implILNS1_25lookback_scan_determinismE0ELb0ELb0ES3_N6thrust23THRUST_200600_302600_NS6detail15normal_iteratorINS9_10device_ptrIiEEEESE_iNS9_4plusIvEEiEEDaPvRmT3_T4_T5_mT6_P12ihipStream_tbENKUlT_T0_E_clISt17integral_constantIbLb1EESU_EEDaSP_SQ_EUlSP_E0_NS1_11comp_targetILNS1_3genE3ELNS1_11target_archE908ELNS1_3gpuE7ELNS1_3repE0EEENS1_30default_config_static_selectorELNS0_4arch9wavefront6targetE1EEEvT1_.kd
    .uniform_work_group_size: 1
    .uses_dynamic_stack: false
    .vgpr_count:     0
    .vgpr_spill_count: 0
    .wavefront_size: 64
  - .agpr_count:     0
    .args:
      - .offset:         0
        .size:           32
        .value_kind:     by_value
    .group_segment_fixed_size: 0
    .kernarg_segment_align: 8
    .kernarg_segment_size: 32
    .language:       OpenCL C
    .language_version:
      - 2
      - 0
    .max_flat_workgroup_size: 256
    .name:           _ZN7rocprim17ROCPRIM_400000_NS6detail17trampoline_kernelINS0_14default_configENS1_20scan_config_selectorIiEEZZNS1_9scan_implILNS1_25lookback_scan_determinismE0ELb0ELb0ES3_N6thrust23THRUST_200600_302600_NS6detail15normal_iteratorINS9_10device_ptrIiEEEESE_iNS9_4plusIvEEiEEDaPvRmT3_T4_T5_mT6_P12ihipStream_tbENKUlT_T0_E_clISt17integral_constantIbLb1EESU_EEDaSP_SQ_EUlSP_E0_NS1_11comp_targetILNS1_3genE2ELNS1_11target_archE906ELNS1_3gpuE6ELNS1_3repE0EEENS1_30default_config_static_selectorELNS0_4arch9wavefront6targetE1EEEvT1_
    .private_segment_fixed_size: 0
    .sgpr_count:     4
    .sgpr_spill_count: 0
    .symbol:         _ZN7rocprim17ROCPRIM_400000_NS6detail17trampoline_kernelINS0_14default_configENS1_20scan_config_selectorIiEEZZNS1_9scan_implILNS1_25lookback_scan_determinismE0ELb0ELb0ES3_N6thrust23THRUST_200600_302600_NS6detail15normal_iteratorINS9_10device_ptrIiEEEESE_iNS9_4plusIvEEiEEDaPvRmT3_T4_T5_mT6_P12ihipStream_tbENKUlT_T0_E_clISt17integral_constantIbLb1EESU_EEDaSP_SQ_EUlSP_E0_NS1_11comp_targetILNS1_3genE2ELNS1_11target_archE906ELNS1_3gpuE6ELNS1_3repE0EEENS1_30default_config_static_selectorELNS0_4arch9wavefront6targetE1EEEvT1_.kd
    .uniform_work_group_size: 1
    .uses_dynamic_stack: false
    .vgpr_count:     0
    .vgpr_spill_count: 0
    .wavefront_size: 64
  - .agpr_count:     0
    .args:
      - .offset:         0
        .size:           32
        .value_kind:     by_value
    .group_segment_fixed_size: 0
    .kernarg_segment_align: 8
    .kernarg_segment_size: 32
    .language:       OpenCL C
    .language_version:
      - 2
      - 0
    .max_flat_workgroup_size: 256
    .name:           _ZN7rocprim17ROCPRIM_400000_NS6detail17trampoline_kernelINS0_14default_configENS1_20scan_config_selectorIiEEZZNS1_9scan_implILNS1_25lookback_scan_determinismE0ELb0ELb0ES3_N6thrust23THRUST_200600_302600_NS6detail15normal_iteratorINS9_10device_ptrIiEEEESE_iNS9_4plusIvEEiEEDaPvRmT3_T4_T5_mT6_P12ihipStream_tbENKUlT_T0_E_clISt17integral_constantIbLb1EESU_EEDaSP_SQ_EUlSP_E0_NS1_11comp_targetILNS1_3genE10ELNS1_11target_archE1201ELNS1_3gpuE5ELNS1_3repE0EEENS1_30default_config_static_selectorELNS0_4arch9wavefront6targetE1EEEvT1_
    .private_segment_fixed_size: 0
    .sgpr_count:     4
    .sgpr_spill_count: 0
    .symbol:         _ZN7rocprim17ROCPRIM_400000_NS6detail17trampoline_kernelINS0_14default_configENS1_20scan_config_selectorIiEEZZNS1_9scan_implILNS1_25lookback_scan_determinismE0ELb0ELb0ES3_N6thrust23THRUST_200600_302600_NS6detail15normal_iteratorINS9_10device_ptrIiEEEESE_iNS9_4plusIvEEiEEDaPvRmT3_T4_T5_mT6_P12ihipStream_tbENKUlT_T0_E_clISt17integral_constantIbLb1EESU_EEDaSP_SQ_EUlSP_E0_NS1_11comp_targetILNS1_3genE10ELNS1_11target_archE1201ELNS1_3gpuE5ELNS1_3repE0EEENS1_30default_config_static_selectorELNS0_4arch9wavefront6targetE1EEEvT1_.kd
    .uniform_work_group_size: 1
    .uses_dynamic_stack: false
    .vgpr_count:     0
    .vgpr_spill_count: 0
    .wavefront_size: 64
  - .agpr_count:     0
    .args:
      - .offset:         0
        .size:           32
        .value_kind:     by_value
    .group_segment_fixed_size: 0
    .kernarg_segment_align: 8
    .kernarg_segment_size: 32
    .language:       OpenCL C
    .language_version:
      - 2
      - 0
    .max_flat_workgroup_size: 256
    .name:           _ZN7rocprim17ROCPRIM_400000_NS6detail17trampoline_kernelINS0_14default_configENS1_20scan_config_selectorIiEEZZNS1_9scan_implILNS1_25lookback_scan_determinismE0ELb0ELb0ES3_N6thrust23THRUST_200600_302600_NS6detail15normal_iteratorINS9_10device_ptrIiEEEESE_iNS9_4plusIvEEiEEDaPvRmT3_T4_T5_mT6_P12ihipStream_tbENKUlT_T0_E_clISt17integral_constantIbLb1EESU_EEDaSP_SQ_EUlSP_E0_NS1_11comp_targetILNS1_3genE10ELNS1_11target_archE1200ELNS1_3gpuE4ELNS1_3repE0EEENS1_30default_config_static_selectorELNS0_4arch9wavefront6targetE1EEEvT1_
    .private_segment_fixed_size: 0
    .sgpr_count:     4
    .sgpr_spill_count: 0
    .symbol:         _ZN7rocprim17ROCPRIM_400000_NS6detail17trampoline_kernelINS0_14default_configENS1_20scan_config_selectorIiEEZZNS1_9scan_implILNS1_25lookback_scan_determinismE0ELb0ELb0ES3_N6thrust23THRUST_200600_302600_NS6detail15normal_iteratorINS9_10device_ptrIiEEEESE_iNS9_4plusIvEEiEEDaPvRmT3_T4_T5_mT6_P12ihipStream_tbENKUlT_T0_E_clISt17integral_constantIbLb1EESU_EEDaSP_SQ_EUlSP_E0_NS1_11comp_targetILNS1_3genE10ELNS1_11target_archE1200ELNS1_3gpuE4ELNS1_3repE0EEENS1_30default_config_static_selectorELNS0_4arch9wavefront6targetE1EEEvT1_.kd
    .uniform_work_group_size: 1
    .uses_dynamic_stack: false
    .vgpr_count:     0
    .vgpr_spill_count: 0
    .wavefront_size: 64
  - .agpr_count:     0
    .args:
      - .offset:         0
        .size:           32
        .value_kind:     by_value
    .group_segment_fixed_size: 0
    .kernarg_segment_align: 8
    .kernarg_segment_size: 32
    .language:       OpenCL C
    .language_version:
      - 2
      - 0
    .max_flat_workgroup_size: 256
    .name:           _ZN7rocprim17ROCPRIM_400000_NS6detail17trampoline_kernelINS0_14default_configENS1_20scan_config_selectorIiEEZZNS1_9scan_implILNS1_25lookback_scan_determinismE0ELb0ELb0ES3_N6thrust23THRUST_200600_302600_NS6detail15normal_iteratorINS9_10device_ptrIiEEEESE_iNS9_4plusIvEEiEEDaPvRmT3_T4_T5_mT6_P12ihipStream_tbENKUlT_T0_E_clISt17integral_constantIbLb1EESU_EEDaSP_SQ_EUlSP_E0_NS1_11comp_targetILNS1_3genE9ELNS1_11target_archE1100ELNS1_3gpuE3ELNS1_3repE0EEENS1_30default_config_static_selectorELNS0_4arch9wavefront6targetE1EEEvT1_
    .private_segment_fixed_size: 0
    .sgpr_count:     4
    .sgpr_spill_count: 0
    .symbol:         _ZN7rocprim17ROCPRIM_400000_NS6detail17trampoline_kernelINS0_14default_configENS1_20scan_config_selectorIiEEZZNS1_9scan_implILNS1_25lookback_scan_determinismE0ELb0ELb0ES3_N6thrust23THRUST_200600_302600_NS6detail15normal_iteratorINS9_10device_ptrIiEEEESE_iNS9_4plusIvEEiEEDaPvRmT3_T4_T5_mT6_P12ihipStream_tbENKUlT_T0_E_clISt17integral_constantIbLb1EESU_EEDaSP_SQ_EUlSP_E0_NS1_11comp_targetILNS1_3genE9ELNS1_11target_archE1100ELNS1_3gpuE3ELNS1_3repE0EEENS1_30default_config_static_selectorELNS0_4arch9wavefront6targetE1EEEvT1_.kd
    .uniform_work_group_size: 1
    .uses_dynamic_stack: false
    .vgpr_count:     0
    .vgpr_spill_count: 0
    .wavefront_size: 64
  - .agpr_count:     0
    .args:
      - .offset:         0
        .size:           32
        .value_kind:     by_value
    .group_segment_fixed_size: 0
    .kernarg_segment_align: 8
    .kernarg_segment_size: 32
    .language:       OpenCL C
    .language_version:
      - 2
      - 0
    .max_flat_workgroup_size: 64
    .name:           _ZN7rocprim17ROCPRIM_400000_NS6detail17trampoline_kernelINS0_14default_configENS1_20scan_config_selectorIiEEZZNS1_9scan_implILNS1_25lookback_scan_determinismE0ELb0ELb0ES3_N6thrust23THRUST_200600_302600_NS6detail15normal_iteratorINS9_10device_ptrIiEEEESE_iNS9_4plusIvEEiEEDaPvRmT3_T4_T5_mT6_P12ihipStream_tbENKUlT_T0_E_clISt17integral_constantIbLb1EESU_EEDaSP_SQ_EUlSP_E0_NS1_11comp_targetILNS1_3genE8ELNS1_11target_archE1030ELNS1_3gpuE2ELNS1_3repE0EEENS1_30default_config_static_selectorELNS0_4arch9wavefront6targetE1EEEvT1_
    .private_segment_fixed_size: 0
    .sgpr_count:     4
    .sgpr_spill_count: 0
    .symbol:         _ZN7rocprim17ROCPRIM_400000_NS6detail17trampoline_kernelINS0_14default_configENS1_20scan_config_selectorIiEEZZNS1_9scan_implILNS1_25lookback_scan_determinismE0ELb0ELb0ES3_N6thrust23THRUST_200600_302600_NS6detail15normal_iteratorINS9_10device_ptrIiEEEESE_iNS9_4plusIvEEiEEDaPvRmT3_T4_T5_mT6_P12ihipStream_tbENKUlT_T0_E_clISt17integral_constantIbLb1EESU_EEDaSP_SQ_EUlSP_E0_NS1_11comp_targetILNS1_3genE8ELNS1_11target_archE1030ELNS1_3gpuE2ELNS1_3repE0EEENS1_30default_config_static_selectorELNS0_4arch9wavefront6targetE1EEEvT1_.kd
    .uniform_work_group_size: 1
    .uses_dynamic_stack: false
    .vgpr_count:     0
    .vgpr_spill_count: 0
    .wavefront_size: 64
  - .agpr_count:     0
    .args:
      - .offset:         0
        .size:           96
        .value_kind:     by_value
    .group_segment_fixed_size: 0
    .kernarg_segment_align: 8
    .kernarg_segment_size: 96
    .language:       OpenCL C
    .language_version:
      - 2
      - 0
    .max_flat_workgroup_size: 256
    .name:           _ZN7rocprim17ROCPRIM_400000_NS6detail17trampoline_kernelINS0_14default_configENS1_20scan_config_selectorIiEEZZNS1_9scan_implILNS1_25lookback_scan_determinismE0ELb0ELb0ES3_N6thrust23THRUST_200600_302600_NS6detail15normal_iteratorINS9_10device_ptrIiEEEESE_iNS9_4plusIvEEiEEDaPvRmT3_T4_T5_mT6_P12ihipStream_tbENKUlT_T0_E_clISt17integral_constantIbLb1EEST_IbLb0EEEEDaSP_SQ_EUlSP_E_NS1_11comp_targetILNS1_3genE0ELNS1_11target_archE4294967295ELNS1_3gpuE0ELNS1_3repE0EEENS1_30default_config_static_selectorELNS0_4arch9wavefront6targetE1EEEvT1_
    .private_segment_fixed_size: 0
    .sgpr_count:     4
    .sgpr_spill_count: 0
    .symbol:         _ZN7rocprim17ROCPRIM_400000_NS6detail17trampoline_kernelINS0_14default_configENS1_20scan_config_selectorIiEEZZNS1_9scan_implILNS1_25lookback_scan_determinismE0ELb0ELb0ES3_N6thrust23THRUST_200600_302600_NS6detail15normal_iteratorINS9_10device_ptrIiEEEESE_iNS9_4plusIvEEiEEDaPvRmT3_T4_T5_mT6_P12ihipStream_tbENKUlT_T0_E_clISt17integral_constantIbLb1EEST_IbLb0EEEEDaSP_SQ_EUlSP_E_NS1_11comp_targetILNS1_3genE0ELNS1_11target_archE4294967295ELNS1_3gpuE0ELNS1_3repE0EEENS1_30default_config_static_selectorELNS0_4arch9wavefront6targetE1EEEvT1_.kd
    .uniform_work_group_size: 1
    .uses_dynamic_stack: false
    .vgpr_count:     0
    .vgpr_spill_count: 0
    .wavefront_size: 64
  - .agpr_count:     0
    .args:
      - .offset:         0
        .size:           96
        .value_kind:     by_value
    .group_segment_fixed_size: 0
    .kernarg_segment_align: 8
    .kernarg_segment_size: 96
    .language:       OpenCL C
    .language_version:
      - 2
      - 0
    .max_flat_workgroup_size: 256
    .name:           _ZN7rocprim17ROCPRIM_400000_NS6detail17trampoline_kernelINS0_14default_configENS1_20scan_config_selectorIiEEZZNS1_9scan_implILNS1_25lookback_scan_determinismE0ELb0ELb0ES3_N6thrust23THRUST_200600_302600_NS6detail15normal_iteratorINS9_10device_ptrIiEEEESE_iNS9_4plusIvEEiEEDaPvRmT3_T4_T5_mT6_P12ihipStream_tbENKUlT_T0_E_clISt17integral_constantIbLb1EEST_IbLb0EEEEDaSP_SQ_EUlSP_E_NS1_11comp_targetILNS1_3genE5ELNS1_11target_archE942ELNS1_3gpuE9ELNS1_3repE0EEENS1_30default_config_static_selectorELNS0_4arch9wavefront6targetE1EEEvT1_
    .private_segment_fixed_size: 0
    .sgpr_count:     4
    .sgpr_spill_count: 0
    .symbol:         _ZN7rocprim17ROCPRIM_400000_NS6detail17trampoline_kernelINS0_14default_configENS1_20scan_config_selectorIiEEZZNS1_9scan_implILNS1_25lookback_scan_determinismE0ELb0ELb0ES3_N6thrust23THRUST_200600_302600_NS6detail15normal_iteratorINS9_10device_ptrIiEEEESE_iNS9_4plusIvEEiEEDaPvRmT3_T4_T5_mT6_P12ihipStream_tbENKUlT_T0_E_clISt17integral_constantIbLb1EEST_IbLb0EEEEDaSP_SQ_EUlSP_E_NS1_11comp_targetILNS1_3genE5ELNS1_11target_archE942ELNS1_3gpuE9ELNS1_3repE0EEENS1_30default_config_static_selectorELNS0_4arch9wavefront6targetE1EEEvT1_.kd
    .uniform_work_group_size: 1
    .uses_dynamic_stack: false
    .vgpr_count:     0
    .vgpr_spill_count: 0
    .wavefront_size: 64
  - .agpr_count:     0
    .args:
      - .offset:         0
        .size:           96
        .value_kind:     by_value
    .group_segment_fixed_size: 5120
    .kernarg_segment_align: 8
    .kernarg_segment_size: 96
    .language:       OpenCL C
    .language_version:
      - 2
      - 0
    .max_flat_workgroup_size: 128
    .name:           _ZN7rocprim17ROCPRIM_400000_NS6detail17trampoline_kernelINS0_14default_configENS1_20scan_config_selectorIiEEZZNS1_9scan_implILNS1_25lookback_scan_determinismE0ELb0ELb0ES3_N6thrust23THRUST_200600_302600_NS6detail15normal_iteratorINS9_10device_ptrIiEEEESE_iNS9_4plusIvEEiEEDaPvRmT3_T4_T5_mT6_P12ihipStream_tbENKUlT_T0_E_clISt17integral_constantIbLb1EEST_IbLb0EEEEDaSP_SQ_EUlSP_E_NS1_11comp_targetILNS1_3genE4ELNS1_11target_archE910ELNS1_3gpuE8ELNS1_3repE0EEENS1_30default_config_static_selectorELNS0_4arch9wavefront6targetE1EEEvT1_
    .private_segment_fixed_size: 0
    .sgpr_count:     32
    .sgpr_spill_count: 0
    .symbol:         _ZN7rocprim17ROCPRIM_400000_NS6detail17trampoline_kernelINS0_14default_configENS1_20scan_config_selectorIiEEZZNS1_9scan_implILNS1_25lookback_scan_determinismE0ELb0ELb0ES3_N6thrust23THRUST_200600_302600_NS6detail15normal_iteratorINS9_10device_ptrIiEEEESE_iNS9_4plusIvEEiEEDaPvRmT3_T4_T5_mT6_P12ihipStream_tbENKUlT_T0_E_clISt17integral_constantIbLb1EEST_IbLb0EEEEDaSP_SQ_EUlSP_E_NS1_11comp_targetILNS1_3genE4ELNS1_11target_archE910ELNS1_3gpuE8ELNS1_3repE0EEENS1_30default_config_static_selectorELNS0_4arch9wavefront6targetE1EEEvT1_.kd
    .uniform_work_group_size: 1
    .uses_dynamic_stack: false
    .vgpr_count:     40
    .vgpr_spill_count: 0
    .wavefront_size: 64
  - .agpr_count:     0
    .args:
      - .offset:         0
        .size:           96
        .value_kind:     by_value
    .group_segment_fixed_size: 0
    .kernarg_segment_align: 8
    .kernarg_segment_size: 96
    .language:       OpenCL C
    .language_version:
      - 2
      - 0
    .max_flat_workgroup_size: 256
    .name:           _ZN7rocprim17ROCPRIM_400000_NS6detail17trampoline_kernelINS0_14default_configENS1_20scan_config_selectorIiEEZZNS1_9scan_implILNS1_25lookback_scan_determinismE0ELb0ELb0ES3_N6thrust23THRUST_200600_302600_NS6detail15normal_iteratorINS9_10device_ptrIiEEEESE_iNS9_4plusIvEEiEEDaPvRmT3_T4_T5_mT6_P12ihipStream_tbENKUlT_T0_E_clISt17integral_constantIbLb1EEST_IbLb0EEEEDaSP_SQ_EUlSP_E_NS1_11comp_targetILNS1_3genE3ELNS1_11target_archE908ELNS1_3gpuE7ELNS1_3repE0EEENS1_30default_config_static_selectorELNS0_4arch9wavefront6targetE1EEEvT1_
    .private_segment_fixed_size: 0
    .sgpr_count:     4
    .sgpr_spill_count: 0
    .symbol:         _ZN7rocprim17ROCPRIM_400000_NS6detail17trampoline_kernelINS0_14default_configENS1_20scan_config_selectorIiEEZZNS1_9scan_implILNS1_25lookback_scan_determinismE0ELb0ELb0ES3_N6thrust23THRUST_200600_302600_NS6detail15normal_iteratorINS9_10device_ptrIiEEEESE_iNS9_4plusIvEEiEEDaPvRmT3_T4_T5_mT6_P12ihipStream_tbENKUlT_T0_E_clISt17integral_constantIbLb1EEST_IbLb0EEEEDaSP_SQ_EUlSP_E_NS1_11comp_targetILNS1_3genE3ELNS1_11target_archE908ELNS1_3gpuE7ELNS1_3repE0EEENS1_30default_config_static_selectorELNS0_4arch9wavefront6targetE1EEEvT1_.kd
    .uniform_work_group_size: 1
    .uses_dynamic_stack: false
    .vgpr_count:     0
    .vgpr_spill_count: 0
    .wavefront_size: 64
  - .agpr_count:     0
    .args:
      - .offset:         0
        .size:           96
        .value_kind:     by_value
    .group_segment_fixed_size: 0
    .kernarg_segment_align: 8
    .kernarg_segment_size: 96
    .language:       OpenCL C
    .language_version:
      - 2
      - 0
    .max_flat_workgroup_size: 256
    .name:           _ZN7rocprim17ROCPRIM_400000_NS6detail17trampoline_kernelINS0_14default_configENS1_20scan_config_selectorIiEEZZNS1_9scan_implILNS1_25lookback_scan_determinismE0ELb0ELb0ES3_N6thrust23THRUST_200600_302600_NS6detail15normal_iteratorINS9_10device_ptrIiEEEESE_iNS9_4plusIvEEiEEDaPvRmT3_T4_T5_mT6_P12ihipStream_tbENKUlT_T0_E_clISt17integral_constantIbLb1EEST_IbLb0EEEEDaSP_SQ_EUlSP_E_NS1_11comp_targetILNS1_3genE2ELNS1_11target_archE906ELNS1_3gpuE6ELNS1_3repE0EEENS1_30default_config_static_selectorELNS0_4arch9wavefront6targetE1EEEvT1_
    .private_segment_fixed_size: 0
    .sgpr_count:     4
    .sgpr_spill_count: 0
    .symbol:         _ZN7rocprim17ROCPRIM_400000_NS6detail17trampoline_kernelINS0_14default_configENS1_20scan_config_selectorIiEEZZNS1_9scan_implILNS1_25lookback_scan_determinismE0ELb0ELb0ES3_N6thrust23THRUST_200600_302600_NS6detail15normal_iteratorINS9_10device_ptrIiEEEESE_iNS9_4plusIvEEiEEDaPvRmT3_T4_T5_mT6_P12ihipStream_tbENKUlT_T0_E_clISt17integral_constantIbLb1EEST_IbLb0EEEEDaSP_SQ_EUlSP_E_NS1_11comp_targetILNS1_3genE2ELNS1_11target_archE906ELNS1_3gpuE6ELNS1_3repE0EEENS1_30default_config_static_selectorELNS0_4arch9wavefront6targetE1EEEvT1_.kd
    .uniform_work_group_size: 1
    .uses_dynamic_stack: false
    .vgpr_count:     0
    .vgpr_spill_count: 0
    .wavefront_size: 64
  - .agpr_count:     0
    .args:
      - .offset:         0
        .size:           96
        .value_kind:     by_value
    .group_segment_fixed_size: 0
    .kernarg_segment_align: 8
    .kernarg_segment_size: 96
    .language:       OpenCL C
    .language_version:
      - 2
      - 0
    .max_flat_workgroup_size: 256
    .name:           _ZN7rocprim17ROCPRIM_400000_NS6detail17trampoline_kernelINS0_14default_configENS1_20scan_config_selectorIiEEZZNS1_9scan_implILNS1_25lookback_scan_determinismE0ELb0ELb0ES3_N6thrust23THRUST_200600_302600_NS6detail15normal_iteratorINS9_10device_ptrIiEEEESE_iNS9_4plusIvEEiEEDaPvRmT3_T4_T5_mT6_P12ihipStream_tbENKUlT_T0_E_clISt17integral_constantIbLb1EEST_IbLb0EEEEDaSP_SQ_EUlSP_E_NS1_11comp_targetILNS1_3genE10ELNS1_11target_archE1201ELNS1_3gpuE5ELNS1_3repE0EEENS1_30default_config_static_selectorELNS0_4arch9wavefront6targetE1EEEvT1_
    .private_segment_fixed_size: 0
    .sgpr_count:     4
    .sgpr_spill_count: 0
    .symbol:         _ZN7rocprim17ROCPRIM_400000_NS6detail17trampoline_kernelINS0_14default_configENS1_20scan_config_selectorIiEEZZNS1_9scan_implILNS1_25lookback_scan_determinismE0ELb0ELb0ES3_N6thrust23THRUST_200600_302600_NS6detail15normal_iteratorINS9_10device_ptrIiEEEESE_iNS9_4plusIvEEiEEDaPvRmT3_T4_T5_mT6_P12ihipStream_tbENKUlT_T0_E_clISt17integral_constantIbLb1EEST_IbLb0EEEEDaSP_SQ_EUlSP_E_NS1_11comp_targetILNS1_3genE10ELNS1_11target_archE1201ELNS1_3gpuE5ELNS1_3repE0EEENS1_30default_config_static_selectorELNS0_4arch9wavefront6targetE1EEEvT1_.kd
    .uniform_work_group_size: 1
    .uses_dynamic_stack: false
    .vgpr_count:     0
    .vgpr_spill_count: 0
    .wavefront_size: 64
  - .agpr_count:     0
    .args:
      - .offset:         0
        .size:           96
        .value_kind:     by_value
    .group_segment_fixed_size: 0
    .kernarg_segment_align: 8
    .kernarg_segment_size: 96
    .language:       OpenCL C
    .language_version:
      - 2
      - 0
    .max_flat_workgroup_size: 256
    .name:           _ZN7rocprim17ROCPRIM_400000_NS6detail17trampoline_kernelINS0_14default_configENS1_20scan_config_selectorIiEEZZNS1_9scan_implILNS1_25lookback_scan_determinismE0ELb0ELb0ES3_N6thrust23THRUST_200600_302600_NS6detail15normal_iteratorINS9_10device_ptrIiEEEESE_iNS9_4plusIvEEiEEDaPvRmT3_T4_T5_mT6_P12ihipStream_tbENKUlT_T0_E_clISt17integral_constantIbLb1EEST_IbLb0EEEEDaSP_SQ_EUlSP_E_NS1_11comp_targetILNS1_3genE10ELNS1_11target_archE1200ELNS1_3gpuE4ELNS1_3repE0EEENS1_30default_config_static_selectorELNS0_4arch9wavefront6targetE1EEEvT1_
    .private_segment_fixed_size: 0
    .sgpr_count:     4
    .sgpr_spill_count: 0
    .symbol:         _ZN7rocprim17ROCPRIM_400000_NS6detail17trampoline_kernelINS0_14default_configENS1_20scan_config_selectorIiEEZZNS1_9scan_implILNS1_25lookback_scan_determinismE0ELb0ELb0ES3_N6thrust23THRUST_200600_302600_NS6detail15normal_iteratorINS9_10device_ptrIiEEEESE_iNS9_4plusIvEEiEEDaPvRmT3_T4_T5_mT6_P12ihipStream_tbENKUlT_T0_E_clISt17integral_constantIbLb1EEST_IbLb0EEEEDaSP_SQ_EUlSP_E_NS1_11comp_targetILNS1_3genE10ELNS1_11target_archE1200ELNS1_3gpuE4ELNS1_3repE0EEENS1_30default_config_static_selectorELNS0_4arch9wavefront6targetE1EEEvT1_.kd
    .uniform_work_group_size: 1
    .uses_dynamic_stack: false
    .vgpr_count:     0
    .vgpr_spill_count: 0
    .wavefront_size: 64
  - .agpr_count:     0
    .args:
      - .offset:         0
        .size:           96
        .value_kind:     by_value
    .group_segment_fixed_size: 0
    .kernarg_segment_align: 8
    .kernarg_segment_size: 96
    .language:       OpenCL C
    .language_version:
      - 2
      - 0
    .max_flat_workgroup_size: 256
    .name:           _ZN7rocprim17ROCPRIM_400000_NS6detail17trampoline_kernelINS0_14default_configENS1_20scan_config_selectorIiEEZZNS1_9scan_implILNS1_25lookback_scan_determinismE0ELb0ELb0ES3_N6thrust23THRUST_200600_302600_NS6detail15normal_iteratorINS9_10device_ptrIiEEEESE_iNS9_4plusIvEEiEEDaPvRmT3_T4_T5_mT6_P12ihipStream_tbENKUlT_T0_E_clISt17integral_constantIbLb1EEST_IbLb0EEEEDaSP_SQ_EUlSP_E_NS1_11comp_targetILNS1_3genE9ELNS1_11target_archE1100ELNS1_3gpuE3ELNS1_3repE0EEENS1_30default_config_static_selectorELNS0_4arch9wavefront6targetE1EEEvT1_
    .private_segment_fixed_size: 0
    .sgpr_count:     4
    .sgpr_spill_count: 0
    .symbol:         _ZN7rocprim17ROCPRIM_400000_NS6detail17trampoline_kernelINS0_14default_configENS1_20scan_config_selectorIiEEZZNS1_9scan_implILNS1_25lookback_scan_determinismE0ELb0ELb0ES3_N6thrust23THRUST_200600_302600_NS6detail15normal_iteratorINS9_10device_ptrIiEEEESE_iNS9_4plusIvEEiEEDaPvRmT3_T4_T5_mT6_P12ihipStream_tbENKUlT_T0_E_clISt17integral_constantIbLb1EEST_IbLb0EEEEDaSP_SQ_EUlSP_E_NS1_11comp_targetILNS1_3genE9ELNS1_11target_archE1100ELNS1_3gpuE3ELNS1_3repE0EEENS1_30default_config_static_selectorELNS0_4arch9wavefront6targetE1EEEvT1_.kd
    .uniform_work_group_size: 1
    .uses_dynamic_stack: false
    .vgpr_count:     0
    .vgpr_spill_count: 0
    .wavefront_size: 64
  - .agpr_count:     0
    .args:
      - .offset:         0
        .size:           96
        .value_kind:     by_value
    .group_segment_fixed_size: 0
    .kernarg_segment_align: 8
    .kernarg_segment_size: 96
    .language:       OpenCL C
    .language_version:
      - 2
      - 0
    .max_flat_workgroup_size: 64
    .name:           _ZN7rocprim17ROCPRIM_400000_NS6detail17trampoline_kernelINS0_14default_configENS1_20scan_config_selectorIiEEZZNS1_9scan_implILNS1_25lookback_scan_determinismE0ELb0ELb0ES3_N6thrust23THRUST_200600_302600_NS6detail15normal_iteratorINS9_10device_ptrIiEEEESE_iNS9_4plusIvEEiEEDaPvRmT3_T4_T5_mT6_P12ihipStream_tbENKUlT_T0_E_clISt17integral_constantIbLb1EEST_IbLb0EEEEDaSP_SQ_EUlSP_E_NS1_11comp_targetILNS1_3genE8ELNS1_11target_archE1030ELNS1_3gpuE2ELNS1_3repE0EEENS1_30default_config_static_selectorELNS0_4arch9wavefront6targetE1EEEvT1_
    .private_segment_fixed_size: 0
    .sgpr_count:     4
    .sgpr_spill_count: 0
    .symbol:         _ZN7rocprim17ROCPRIM_400000_NS6detail17trampoline_kernelINS0_14default_configENS1_20scan_config_selectorIiEEZZNS1_9scan_implILNS1_25lookback_scan_determinismE0ELb0ELb0ES3_N6thrust23THRUST_200600_302600_NS6detail15normal_iteratorINS9_10device_ptrIiEEEESE_iNS9_4plusIvEEiEEDaPvRmT3_T4_T5_mT6_P12ihipStream_tbENKUlT_T0_E_clISt17integral_constantIbLb1EEST_IbLb0EEEEDaSP_SQ_EUlSP_E_NS1_11comp_targetILNS1_3genE8ELNS1_11target_archE1030ELNS1_3gpuE2ELNS1_3repE0EEENS1_30default_config_static_selectorELNS0_4arch9wavefront6targetE1EEEvT1_.kd
    .uniform_work_group_size: 1
    .uses_dynamic_stack: false
    .vgpr_count:     0
    .vgpr_spill_count: 0
    .wavefront_size: 64
  - .agpr_count:     0
    .args:
      - .offset:         0
        .size:           32
        .value_kind:     by_value
    .group_segment_fixed_size: 0
    .kernarg_segment_align: 8
    .kernarg_segment_size: 32
    .language:       OpenCL C
    .language_version:
      - 2
      - 0
    .max_flat_workgroup_size: 256
    .name:           _ZN7rocprim17ROCPRIM_400000_NS6detail17trampoline_kernelINS0_14default_configENS1_20scan_config_selectorIiEEZZNS1_9scan_implILNS1_25lookback_scan_determinismE0ELb0ELb0ES3_N6thrust23THRUST_200600_302600_NS6detail15normal_iteratorINS9_10device_ptrIiEEEESE_iNS9_4plusIvEEiEEDaPvRmT3_T4_T5_mT6_P12ihipStream_tbENKUlT_T0_E_clISt17integral_constantIbLb1EEST_IbLb0EEEEDaSP_SQ_EUlSP_E0_NS1_11comp_targetILNS1_3genE0ELNS1_11target_archE4294967295ELNS1_3gpuE0ELNS1_3repE0EEENS1_30default_config_static_selectorELNS0_4arch9wavefront6targetE1EEEvT1_
    .private_segment_fixed_size: 0
    .sgpr_count:     4
    .sgpr_spill_count: 0
    .symbol:         _ZN7rocprim17ROCPRIM_400000_NS6detail17trampoline_kernelINS0_14default_configENS1_20scan_config_selectorIiEEZZNS1_9scan_implILNS1_25lookback_scan_determinismE0ELb0ELb0ES3_N6thrust23THRUST_200600_302600_NS6detail15normal_iteratorINS9_10device_ptrIiEEEESE_iNS9_4plusIvEEiEEDaPvRmT3_T4_T5_mT6_P12ihipStream_tbENKUlT_T0_E_clISt17integral_constantIbLb1EEST_IbLb0EEEEDaSP_SQ_EUlSP_E0_NS1_11comp_targetILNS1_3genE0ELNS1_11target_archE4294967295ELNS1_3gpuE0ELNS1_3repE0EEENS1_30default_config_static_selectorELNS0_4arch9wavefront6targetE1EEEvT1_.kd
    .uniform_work_group_size: 1
    .uses_dynamic_stack: false
    .vgpr_count:     0
    .vgpr_spill_count: 0
    .wavefront_size: 64
  - .agpr_count:     0
    .args:
      - .offset:         0
        .size:           32
        .value_kind:     by_value
    .group_segment_fixed_size: 0
    .kernarg_segment_align: 8
    .kernarg_segment_size: 32
    .language:       OpenCL C
    .language_version:
      - 2
      - 0
    .max_flat_workgroup_size: 256
    .name:           _ZN7rocprim17ROCPRIM_400000_NS6detail17trampoline_kernelINS0_14default_configENS1_20scan_config_selectorIiEEZZNS1_9scan_implILNS1_25lookback_scan_determinismE0ELb0ELb0ES3_N6thrust23THRUST_200600_302600_NS6detail15normal_iteratorINS9_10device_ptrIiEEEESE_iNS9_4plusIvEEiEEDaPvRmT3_T4_T5_mT6_P12ihipStream_tbENKUlT_T0_E_clISt17integral_constantIbLb1EEST_IbLb0EEEEDaSP_SQ_EUlSP_E0_NS1_11comp_targetILNS1_3genE5ELNS1_11target_archE942ELNS1_3gpuE9ELNS1_3repE0EEENS1_30default_config_static_selectorELNS0_4arch9wavefront6targetE1EEEvT1_
    .private_segment_fixed_size: 0
    .sgpr_count:     4
    .sgpr_spill_count: 0
    .symbol:         _ZN7rocprim17ROCPRIM_400000_NS6detail17trampoline_kernelINS0_14default_configENS1_20scan_config_selectorIiEEZZNS1_9scan_implILNS1_25lookback_scan_determinismE0ELb0ELb0ES3_N6thrust23THRUST_200600_302600_NS6detail15normal_iteratorINS9_10device_ptrIiEEEESE_iNS9_4plusIvEEiEEDaPvRmT3_T4_T5_mT6_P12ihipStream_tbENKUlT_T0_E_clISt17integral_constantIbLb1EEST_IbLb0EEEEDaSP_SQ_EUlSP_E0_NS1_11comp_targetILNS1_3genE5ELNS1_11target_archE942ELNS1_3gpuE9ELNS1_3repE0EEENS1_30default_config_static_selectorELNS0_4arch9wavefront6targetE1EEEvT1_.kd
    .uniform_work_group_size: 1
    .uses_dynamic_stack: false
    .vgpr_count:     0
    .vgpr_spill_count: 0
    .wavefront_size: 64
  - .agpr_count:     0
    .args:
      - .offset:         0
        .size:           32
        .value_kind:     by_value
    .group_segment_fixed_size: 5120
    .kernarg_segment_align: 8
    .kernarg_segment_size: 32
    .language:       OpenCL C
    .language_version:
      - 2
      - 0
    .max_flat_workgroup_size: 128
    .name:           _ZN7rocprim17ROCPRIM_400000_NS6detail17trampoline_kernelINS0_14default_configENS1_20scan_config_selectorIiEEZZNS1_9scan_implILNS1_25lookback_scan_determinismE0ELb0ELb0ES3_N6thrust23THRUST_200600_302600_NS6detail15normal_iteratorINS9_10device_ptrIiEEEESE_iNS9_4plusIvEEiEEDaPvRmT3_T4_T5_mT6_P12ihipStream_tbENKUlT_T0_E_clISt17integral_constantIbLb1EEST_IbLb0EEEEDaSP_SQ_EUlSP_E0_NS1_11comp_targetILNS1_3genE4ELNS1_11target_archE910ELNS1_3gpuE8ELNS1_3repE0EEENS1_30default_config_static_selectorELNS0_4arch9wavefront6targetE1EEEvT1_
    .private_segment_fixed_size: 0
    .sgpr_count:     28
    .sgpr_spill_count: 0
    .symbol:         _ZN7rocprim17ROCPRIM_400000_NS6detail17trampoline_kernelINS0_14default_configENS1_20scan_config_selectorIiEEZZNS1_9scan_implILNS1_25lookback_scan_determinismE0ELb0ELb0ES3_N6thrust23THRUST_200600_302600_NS6detail15normal_iteratorINS9_10device_ptrIiEEEESE_iNS9_4plusIvEEiEEDaPvRmT3_T4_T5_mT6_P12ihipStream_tbENKUlT_T0_E_clISt17integral_constantIbLb1EEST_IbLb0EEEEDaSP_SQ_EUlSP_E0_NS1_11comp_targetILNS1_3genE4ELNS1_11target_archE910ELNS1_3gpuE8ELNS1_3repE0EEENS1_30default_config_static_selectorELNS0_4arch9wavefront6targetE1EEEvT1_.kd
    .uniform_work_group_size: 1
    .uses_dynamic_stack: false
    .vgpr_count:     27
    .vgpr_spill_count: 0
    .wavefront_size: 64
  - .agpr_count:     0
    .args:
      - .offset:         0
        .size:           32
        .value_kind:     by_value
    .group_segment_fixed_size: 0
    .kernarg_segment_align: 8
    .kernarg_segment_size: 32
    .language:       OpenCL C
    .language_version:
      - 2
      - 0
    .max_flat_workgroup_size: 256
    .name:           _ZN7rocprim17ROCPRIM_400000_NS6detail17trampoline_kernelINS0_14default_configENS1_20scan_config_selectorIiEEZZNS1_9scan_implILNS1_25lookback_scan_determinismE0ELb0ELb0ES3_N6thrust23THRUST_200600_302600_NS6detail15normal_iteratorINS9_10device_ptrIiEEEESE_iNS9_4plusIvEEiEEDaPvRmT3_T4_T5_mT6_P12ihipStream_tbENKUlT_T0_E_clISt17integral_constantIbLb1EEST_IbLb0EEEEDaSP_SQ_EUlSP_E0_NS1_11comp_targetILNS1_3genE3ELNS1_11target_archE908ELNS1_3gpuE7ELNS1_3repE0EEENS1_30default_config_static_selectorELNS0_4arch9wavefront6targetE1EEEvT1_
    .private_segment_fixed_size: 0
    .sgpr_count:     4
    .sgpr_spill_count: 0
    .symbol:         _ZN7rocprim17ROCPRIM_400000_NS6detail17trampoline_kernelINS0_14default_configENS1_20scan_config_selectorIiEEZZNS1_9scan_implILNS1_25lookback_scan_determinismE0ELb0ELb0ES3_N6thrust23THRUST_200600_302600_NS6detail15normal_iteratorINS9_10device_ptrIiEEEESE_iNS9_4plusIvEEiEEDaPvRmT3_T4_T5_mT6_P12ihipStream_tbENKUlT_T0_E_clISt17integral_constantIbLb1EEST_IbLb0EEEEDaSP_SQ_EUlSP_E0_NS1_11comp_targetILNS1_3genE3ELNS1_11target_archE908ELNS1_3gpuE7ELNS1_3repE0EEENS1_30default_config_static_selectorELNS0_4arch9wavefront6targetE1EEEvT1_.kd
    .uniform_work_group_size: 1
    .uses_dynamic_stack: false
    .vgpr_count:     0
    .vgpr_spill_count: 0
    .wavefront_size: 64
  - .agpr_count:     0
    .args:
      - .offset:         0
        .size:           32
        .value_kind:     by_value
    .group_segment_fixed_size: 0
    .kernarg_segment_align: 8
    .kernarg_segment_size: 32
    .language:       OpenCL C
    .language_version:
      - 2
      - 0
    .max_flat_workgroup_size: 256
    .name:           _ZN7rocprim17ROCPRIM_400000_NS6detail17trampoline_kernelINS0_14default_configENS1_20scan_config_selectorIiEEZZNS1_9scan_implILNS1_25lookback_scan_determinismE0ELb0ELb0ES3_N6thrust23THRUST_200600_302600_NS6detail15normal_iteratorINS9_10device_ptrIiEEEESE_iNS9_4plusIvEEiEEDaPvRmT3_T4_T5_mT6_P12ihipStream_tbENKUlT_T0_E_clISt17integral_constantIbLb1EEST_IbLb0EEEEDaSP_SQ_EUlSP_E0_NS1_11comp_targetILNS1_3genE2ELNS1_11target_archE906ELNS1_3gpuE6ELNS1_3repE0EEENS1_30default_config_static_selectorELNS0_4arch9wavefront6targetE1EEEvT1_
    .private_segment_fixed_size: 0
    .sgpr_count:     4
    .sgpr_spill_count: 0
    .symbol:         _ZN7rocprim17ROCPRIM_400000_NS6detail17trampoline_kernelINS0_14default_configENS1_20scan_config_selectorIiEEZZNS1_9scan_implILNS1_25lookback_scan_determinismE0ELb0ELb0ES3_N6thrust23THRUST_200600_302600_NS6detail15normal_iteratorINS9_10device_ptrIiEEEESE_iNS9_4plusIvEEiEEDaPvRmT3_T4_T5_mT6_P12ihipStream_tbENKUlT_T0_E_clISt17integral_constantIbLb1EEST_IbLb0EEEEDaSP_SQ_EUlSP_E0_NS1_11comp_targetILNS1_3genE2ELNS1_11target_archE906ELNS1_3gpuE6ELNS1_3repE0EEENS1_30default_config_static_selectorELNS0_4arch9wavefront6targetE1EEEvT1_.kd
    .uniform_work_group_size: 1
    .uses_dynamic_stack: false
    .vgpr_count:     0
    .vgpr_spill_count: 0
    .wavefront_size: 64
  - .agpr_count:     0
    .args:
      - .offset:         0
        .size:           32
        .value_kind:     by_value
    .group_segment_fixed_size: 0
    .kernarg_segment_align: 8
    .kernarg_segment_size: 32
    .language:       OpenCL C
    .language_version:
      - 2
      - 0
    .max_flat_workgroup_size: 256
    .name:           _ZN7rocprim17ROCPRIM_400000_NS6detail17trampoline_kernelINS0_14default_configENS1_20scan_config_selectorIiEEZZNS1_9scan_implILNS1_25lookback_scan_determinismE0ELb0ELb0ES3_N6thrust23THRUST_200600_302600_NS6detail15normal_iteratorINS9_10device_ptrIiEEEESE_iNS9_4plusIvEEiEEDaPvRmT3_T4_T5_mT6_P12ihipStream_tbENKUlT_T0_E_clISt17integral_constantIbLb1EEST_IbLb0EEEEDaSP_SQ_EUlSP_E0_NS1_11comp_targetILNS1_3genE10ELNS1_11target_archE1201ELNS1_3gpuE5ELNS1_3repE0EEENS1_30default_config_static_selectorELNS0_4arch9wavefront6targetE1EEEvT1_
    .private_segment_fixed_size: 0
    .sgpr_count:     4
    .sgpr_spill_count: 0
    .symbol:         _ZN7rocprim17ROCPRIM_400000_NS6detail17trampoline_kernelINS0_14default_configENS1_20scan_config_selectorIiEEZZNS1_9scan_implILNS1_25lookback_scan_determinismE0ELb0ELb0ES3_N6thrust23THRUST_200600_302600_NS6detail15normal_iteratorINS9_10device_ptrIiEEEESE_iNS9_4plusIvEEiEEDaPvRmT3_T4_T5_mT6_P12ihipStream_tbENKUlT_T0_E_clISt17integral_constantIbLb1EEST_IbLb0EEEEDaSP_SQ_EUlSP_E0_NS1_11comp_targetILNS1_3genE10ELNS1_11target_archE1201ELNS1_3gpuE5ELNS1_3repE0EEENS1_30default_config_static_selectorELNS0_4arch9wavefront6targetE1EEEvT1_.kd
    .uniform_work_group_size: 1
    .uses_dynamic_stack: false
    .vgpr_count:     0
    .vgpr_spill_count: 0
    .wavefront_size: 64
  - .agpr_count:     0
    .args:
      - .offset:         0
        .size:           32
        .value_kind:     by_value
    .group_segment_fixed_size: 0
    .kernarg_segment_align: 8
    .kernarg_segment_size: 32
    .language:       OpenCL C
    .language_version:
      - 2
      - 0
    .max_flat_workgroup_size: 256
    .name:           _ZN7rocprim17ROCPRIM_400000_NS6detail17trampoline_kernelINS0_14default_configENS1_20scan_config_selectorIiEEZZNS1_9scan_implILNS1_25lookback_scan_determinismE0ELb0ELb0ES3_N6thrust23THRUST_200600_302600_NS6detail15normal_iteratorINS9_10device_ptrIiEEEESE_iNS9_4plusIvEEiEEDaPvRmT3_T4_T5_mT6_P12ihipStream_tbENKUlT_T0_E_clISt17integral_constantIbLb1EEST_IbLb0EEEEDaSP_SQ_EUlSP_E0_NS1_11comp_targetILNS1_3genE10ELNS1_11target_archE1200ELNS1_3gpuE4ELNS1_3repE0EEENS1_30default_config_static_selectorELNS0_4arch9wavefront6targetE1EEEvT1_
    .private_segment_fixed_size: 0
    .sgpr_count:     4
    .sgpr_spill_count: 0
    .symbol:         _ZN7rocprim17ROCPRIM_400000_NS6detail17trampoline_kernelINS0_14default_configENS1_20scan_config_selectorIiEEZZNS1_9scan_implILNS1_25lookback_scan_determinismE0ELb0ELb0ES3_N6thrust23THRUST_200600_302600_NS6detail15normal_iteratorINS9_10device_ptrIiEEEESE_iNS9_4plusIvEEiEEDaPvRmT3_T4_T5_mT6_P12ihipStream_tbENKUlT_T0_E_clISt17integral_constantIbLb1EEST_IbLb0EEEEDaSP_SQ_EUlSP_E0_NS1_11comp_targetILNS1_3genE10ELNS1_11target_archE1200ELNS1_3gpuE4ELNS1_3repE0EEENS1_30default_config_static_selectorELNS0_4arch9wavefront6targetE1EEEvT1_.kd
    .uniform_work_group_size: 1
    .uses_dynamic_stack: false
    .vgpr_count:     0
    .vgpr_spill_count: 0
    .wavefront_size: 64
  - .agpr_count:     0
    .args:
      - .offset:         0
        .size:           32
        .value_kind:     by_value
    .group_segment_fixed_size: 0
    .kernarg_segment_align: 8
    .kernarg_segment_size: 32
    .language:       OpenCL C
    .language_version:
      - 2
      - 0
    .max_flat_workgroup_size: 256
    .name:           _ZN7rocprim17ROCPRIM_400000_NS6detail17trampoline_kernelINS0_14default_configENS1_20scan_config_selectorIiEEZZNS1_9scan_implILNS1_25lookback_scan_determinismE0ELb0ELb0ES3_N6thrust23THRUST_200600_302600_NS6detail15normal_iteratorINS9_10device_ptrIiEEEESE_iNS9_4plusIvEEiEEDaPvRmT3_T4_T5_mT6_P12ihipStream_tbENKUlT_T0_E_clISt17integral_constantIbLb1EEST_IbLb0EEEEDaSP_SQ_EUlSP_E0_NS1_11comp_targetILNS1_3genE9ELNS1_11target_archE1100ELNS1_3gpuE3ELNS1_3repE0EEENS1_30default_config_static_selectorELNS0_4arch9wavefront6targetE1EEEvT1_
    .private_segment_fixed_size: 0
    .sgpr_count:     4
    .sgpr_spill_count: 0
    .symbol:         _ZN7rocprim17ROCPRIM_400000_NS6detail17trampoline_kernelINS0_14default_configENS1_20scan_config_selectorIiEEZZNS1_9scan_implILNS1_25lookback_scan_determinismE0ELb0ELb0ES3_N6thrust23THRUST_200600_302600_NS6detail15normal_iteratorINS9_10device_ptrIiEEEESE_iNS9_4plusIvEEiEEDaPvRmT3_T4_T5_mT6_P12ihipStream_tbENKUlT_T0_E_clISt17integral_constantIbLb1EEST_IbLb0EEEEDaSP_SQ_EUlSP_E0_NS1_11comp_targetILNS1_3genE9ELNS1_11target_archE1100ELNS1_3gpuE3ELNS1_3repE0EEENS1_30default_config_static_selectorELNS0_4arch9wavefront6targetE1EEEvT1_.kd
    .uniform_work_group_size: 1
    .uses_dynamic_stack: false
    .vgpr_count:     0
    .vgpr_spill_count: 0
    .wavefront_size: 64
  - .agpr_count:     0
    .args:
      - .offset:         0
        .size:           32
        .value_kind:     by_value
    .group_segment_fixed_size: 0
    .kernarg_segment_align: 8
    .kernarg_segment_size: 32
    .language:       OpenCL C
    .language_version:
      - 2
      - 0
    .max_flat_workgroup_size: 64
    .name:           _ZN7rocprim17ROCPRIM_400000_NS6detail17trampoline_kernelINS0_14default_configENS1_20scan_config_selectorIiEEZZNS1_9scan_implILNS1_25lookback_scan_determinismE0ELb0ELb0ES3_N6thrust23THRUST_200600_302600_NS6detail15normal_iteratorINS9_10device_ptrIiEEEESE_iNS9_4plusIvEEiEEDaPvRmT3_T4_T5_mT6_P12ihipStream_tbENKUlT_T0_E_clISt17integral_constantIbLb1EEST_IbLb0EEEEDaSP_SQ_EUlSP_E0_NS1_11comp_targetILNS1_3genE8ELNS1_11target_archE1030ELNS1_3gpuE2ELNS1_3repE0EEENS1_30default_config_static_selectorELNS0_4arch9wavefront6targetE1EEEvT1_
    .private_segment_fixed_size: 0
    .sgpr_count:     4
    .sgpr_spill_count: 0
    .symbol:         _ZN7rocprim17ROCPRIM_400000_NS6detail17trampoline_kernelINS0_14default_configENS1_20scan_config_selectorIiEEZZNS1_9scan_implILNS1_25lookback_scan_determinismE0ELb0ELb0ES3_N6thrust23THRUST_200600_302600_NS6detail15normal_iteratorINS9_10device_ptrIiEEEESE_iNS9_4plusIvEEiEEDaPvRmT3_T4_T5_mT6_P12ihipStream_tbENKUlT_T0_E_clISt17integral_constantIbLb1EEST_IbLb0EEEEDaSP_SQ_EUlSP_E0_NS1_11comp_targetILNS1_3genE8ELNS1_11target_archE1030ELNS1_3gpuE2ELNS1_3repE0EEENS1_30default_config_static_selectorELNS0_4arch9wavefront6targetE1EEEvT1_.kd
    .uniform_work_group_size: 1
    .uses_dynamic_stack: false
    .vgpr_count:     0
    .vgpr_spill_count: 0
    .wavefront_size: 64
  - .agpr_count:     0
    .args:
      - .offset:         0
        .size:           96
        .value_kind:     by_value
    .group_segment_fixed_size: 0
    .kernarg_segment_align: 8
    .kernarg_segment_size: 96
    .language:       OpenCL C
    .language_version:
      - 2
      - 0
    .max_flat_workgroup_size: 256
    .name:           _ZN7rocprim17ROCPRIM_400000_NS6detail17trampoline_kernelINS0_14default_configENS1_20scan_config_selectorIiEEZZNS1_9scan_implILNS1_25lookback_scan_determinismE0ELb0ELb0ES3_N6thrust23THRUST_200600_302600_NS6detail15normal_iteratorINS9_10device_ptrIiEEEESE_iNS9_4plusIvEEiEEDaPvRmT3_T4_T5_mT6_P12ihipStream_tbENKUlT_T0_E_clISt17integral_constantIbLb0EEST_IbLb1EEEEDaSP_SQ_EUlSP_E_NS1_11comp_targetILNS1_3genE0ELNS1_11target_archE4294967295ELNS1_3gpuE0ELNS1_3repE0EEENS1_30default_config_static_selectorELNS0_4arch9wavefront6targetE1EEEvT1_
    .private_segment_fixed_size: 0
    .sgpr_count:     4
    .sgpr_spill_count: 0
    .symbol:         _ZN7rocprim17ROCPRIM_400000_NS6detail17trampoline_kernelINS0_14default_configENS1_20scan_config_selectorIiEEZZNS1_9scan_implILNS1_25lookback_scan_determinismE0ELb0ELb0ES3_N6thrust23THRUST_200600_302600_NS6detail15normal_iteratorINS9_10device_ptrIiEEEESE_iNS9_4plusIvEEiEEDaPvRmT3_T4_T5_mT6_P12ihipStream_tbENKUlT_T0_E_clISt17integral_constantIbLb0EEST_IbLb1EEEEDaSP_SQ_EUlSP_E_NS1_11comp_targetILNS1_3genE0ELNS1_11target_archE4294967295ELNS1_3gpuE0ELNS1_3repE0EEENS1_30default_config_static_selectorELNS0_4arch9wavefront6targetE1EEEvT1_.kd
    .uniform_work_group_size: 1
    .uses_dynamic_stack: false
    .vgpr_count:     0
    .vgpr_spill_count: 0
    .wavefront_size: 64
  - .agpr_count:     0
    .args:
      - .offset:         0
        .size:           96
        .value_kind:     by_value
    .group_segment_fixed_size: 0
    .kernarg_segment_align: 8
    .kernarg_segment_size: 96
    .language:       OpenCL C
    .language_version:
      - 2
      - 0
    .max_flat_workgroup_size: 256
    .name:           _ZN7rocprim17ROCPRIM_400000_NS6detail17trampoline_kernelINS0_14default_configENS1_20scan_config_selectorIiEEZZNS1_9scan_implILNS1_25lookback_scan_determinismE0ELb0ELb0ES3_N6thrust23THRUST_200600_302600_NS6detail15normal_iteratorINS9_10device_ptrIiEEEESE_iNS9_4plusIvEEiEEDaPvRmT3_T4_T5_mT6_P12ihipStream_tbENKUlT_T0_E_clISt17integral_constantIbLb0EEST_IbLb1EEEEDaSP_SQ_EUlSP_E_NS1_11comp_targetILNS1_3genE5ELNS1_11target_archE942ELNS1_3gpuE9ELNS1_3repE0EEENS1_30default_config_static_selectorELNS0_4arch9wavefront6targetE1EEEvT1_
    .private_segment_fixed_size: 0
    .sgpr_count:     4
    .sgpr_spill_count: 0
    .symbol:         _ZN7rocprim17ROCPRIM_400000_NS6detail17trampoline_kernelINS0_14default_configENS1_20scan_config_selectorIiEEZZNS1_9scan_implILNS1_25lookback_scan_determinismE0ELb0ELb0ES3_N6thrust23THRUST_200600_302600_NS6detail15normal_iteratorINS9_10device_ptrIiEEEESE_iNS9_4plusIvEEiEEDaPvRmT3_T4_T5_mT6_P12ihipStream_tbENKUlT_T0_E_clISt17integral_constantIbLb0EEST_IbLb1EEEEDaSP_SQ_EUlSP_E_NS1_11comp_targetILNS1_3genE5ELNS1_11target_archE942ELNS1_3gpuE9ELNS1_3repE0EEENS1_30default_config_static_selectorELNS0_4arch9wavefront6targetE1EEEvT1_.kd
    .uniform_work_group_size: 1
    .uses_dynamic_stack: false
    .vgpr_count:     0
    .vgpr_spill_count: 0
    .wavefront_size: 64
  - .agpr_count:     0
    .args:
      - .offset:         0
        .size:           96
        .value_kind:     by_value
    .group_segment_fixed_size: 5120
    .kernarg_segment_align: 8
    .kernarg_segment_size: 96
    .language:       OpenCL C
    .language_version:
      - 2
      - 0
    .max_flat_workgroup_size: 128
    .name:           _ZN7rocprim17ROCPRIM_400000_NS6detail17trampoline_kernelINS0_14default_configENS1_20scan_config_selectorIiEEZZNS1_9scan_implILNS1_25lookback_scan_determinismE0ELb0ELb0ES3_N6thrust23THRUST_200600_302600_NS6detail15normal_iteratorINS9_10device_ptrIiEEEESE_iNS9_4plusIvEEiEEDaPvRmT3_T4_T5_mT6_P12ihipStream_tbENKUlT_T0_E_clISt17integral_constantIbLb0EEST_IbLb1EEEEDaSP_SQ_EUlSP_E_NS1_11comp_targetILNS1_3genE4ELNS1_11target_archE910ELNS1_3gpuE8ELNS1_3repE0EEENS1_30default_config_static_selectorELNS0_4arch9wavefront6targetE1EEEvT1_
    .private_segment_fixed_size: 0
    .sgpr_count:     40
    .sgpr_spill_count: 0
    .symbol:         _ZN7rocprim17ROCPRIM_400000_NS6detail17trampoline_kernelINS0_14default_configENS1_20scan_config_selectorIiEEZZNS1_9scan_implILNS1_25lookback_scan_determinismE0ELb0ELb0ES3_N6thrust23THRUST_200600_302600_NS6detail15normal_iteratorINS9_10device_ptrIiEEEESE_iNS9_4plusIvEEiEEDaPvRmT3_T4_T5_mT6_P12ihipStream_tbENKUlT_T0_E_clISt17integral_constantIbLb0EEST_IbLb1EEEEDaSP_SQ_EUlSP_E_NS1_11comp_targetILNS1_3genE4ELNS1_11target_archE910ELNS1_3gpuE8ELNS1_3repE0EEENS1_30default_config_static_selectorELNS0_4arch9wavefront6targetE1EEEvT1_.kd
    .uniform_work_group_size: 1
    .uses_dynamic_stack: false
    .vgpr_count:     40
    .vgpr_spill_count: 0
    .wavefront_size: 64
  - .agpr_count:     0
    .args:
      - .offset:         0
        .size:           96
        .value_kind:     by_value
    .group_segment_fixed_size: 0
    .kernarg_segment_align: 8
    .kernarg_segment_size: 96
    .language:       OpenCL C
    .language_version:
      - 2
      - 0
    .max_flat_workgroup_size: 256
    .name:           _ZN7rocprim17ROCPRIM_400000_NS6detail17trampoline_kernelINS0_14default_configENS1_20scan_config_selectorIiEEZZNS1_9scan_implILNS1_25lookback_scan_determinismE0ELb0ELb0ES3_N6thrust23THRUST_200600_302600_NS6detail15normal_iteratorINS9_10device_ptrIiEEEESE_iNS9_4plusIvEEiEEDaPvRmT3_T4_T5_mT6_P12ihipStream_tbENKUlT_T0_E_clISt17integral_constantIbLb0EEST_IbLb1EEEEDaSP_SQ_EUlSP_E_NS1_11comp_targetILNS1_3genE3ELNS1_11target_archE908ELNS1_3gpuE7ELNS1_3repE0EEENS1_30default_config_static_selectorELNS0_4arch9wavefront6targetE1EEEvT1_
    .private_segment_fixed_size: 0
    .sgpr_count:     4
    .sgpr_spill_count: 0
    .symbol:         _ZN7rocprim17ROCPRIM_400000_NS6detail17trampoline_kernelINS0_14default_configENS1_20scan_config_selectorIiEEZZNS1_9scan_implILNS1_25lookback_scan_determinismE0ELb0ELb0ES3_N6thrust23THRUST_200600_302600_NS6detail15normal_iteratorINS9_10device_ptrIiEEEESE_iNS9_4plusIvEEiEEDaPvRmT3_T4_T5_mT6_P12ihipStream_tbENKUlT_T0_E_clISt17integral_constantIbLb0EEST_IbLb1EEEEDaSP_SQ_EUlSP_E_NS1_11comp_targetILNS1_3genE3ELNS1_11target_archE908ELNS1_3gpuE7ELNS1_3repE0EEENS1_30default_config_static_selectorELNS0_4arch9wavefront6targetE1EEEvT1_.kd
    .uniform_work_group_size: 1
    .uses_dynamic_stack: false
    .vgpr_count:     0
    .vgpr_spill_count: 0
    .wavefront_size: 64
  - .agpr_count:     0
    .args:
      - .offset:         0
        .size:           96
        .value_kind:     by_value
    .group_segment_fixed_size: 0
    .kernarg_segment_align: 8
    .kernarg_segment_size: 96
    .language:       OpenCL C
    .language_version:
      - 2
      - 0
    .max_flat_workgroup_size: 256
    .name:           _ZN7rocprim17ROCPRIM_400000_NS6detail17trampoline_kernelINS0_14default_configENS1_20scan_config_selectorIiEEZZNS1_9scan_implILNS1_25lookback_scan_determinismE0ELb0ELb0ES3_N6thrust23THRUST_200600_302600_NS6detail15normal_iteratorINS9_10device_ptrIiEEEESE_iNS9_4plusIvEEiEEDaPvRmT3_T4_T5_mT6_P12ihipStream_tbENKUlT_T0_E_clISt17integral_constantIbLb0EEST_IbLb1EEEEDaSP_SQ_EUlSP_E_NS1_11comp_targetILNS1_3genE2ELNS1_11target_archE906ELNS1_3gpuE6ELNS1_3repE0EEENS1_30default_config_static_selectorELNS0_4arch9wavefront6targetE1EEEvT1_
    .private_segment_fixed_size: 0
    .sgpr_count:     4
    .sgpr_spill_count: 0
    .symbol:         _ZN7rocprim17ROCPRIM_400000_NS6detail17trampoline_kernelINS0_14default_configENS1_20scan_config_selectorIiEEZZNS1_9scan_implILNS1_25lookback_scan_determinismE0ELb0ELb0ES3_N6thrust23THRUST_200600_302600_NS6detail15normal_iteratorINS9_10device_ptrIiEEEESE_iNS9_4plusIvEEiEEDaPvRmT3_T4_T5_mT6_P12ihipStream_tbENKUlT_T0_E_clISt17integral_constantIbLb0EEST_IbLb1EEEEDaSP_SQ_EUlSP_E_NS1_11comp_targetILNS1_3genE2ELNS1_11target_archE906ELNS1_3gpuE6ELNS1_3repE0EEENS1_30default_config_static_selectorELNS0_4arch9wavefront6targetE1EEEvT1_.kd
    .uniform_work_group_size: 1
    .uses_dynamic_stack: false
    .vgpr_count:     0
    .vgpr_spill_count: 0
    .wavefront_size: 64
  - .agpr_count:     0
    .args:
      - .offset:         0
        .size:           96
        .value_kind:     by_value
    .group_segment_fixed_size: 0
    .kernarg_segment_align: 8
    .kernarg_segment_size: 96
    .language:       OpenCL C
    .language_version:
      - 2
      - 0
    .max_flat_workgroup_size: 256
    .name:           _ZN7rocprim17ROCPRIM_400000_NS6detail17trampoline_kernelINS0_14default_configENS1_20scan_config_selectorIiEEZZNS1_9scan_implILNS1_25lookback_scan_determinismE0ELb0ELb0ES3_N6thrust23THRUST_200600_302600_NS6detail15normal_iteratorINS9_10device_ptrIiEEEESE_iNS9_4plusIvEEiEEDaPvRmT3_T4_T5_mT6_P12ihipStream_tbENKUlT_T0_E_clISt17integral_constantIbLb0EEST_IbLb1EEEEDaSP_SQ_EUlSP_E_NS1_11comp_targetILNS1_3genE10ELNS1_11target_archE1201ELNS1_3gpuE5ELNS1_3repE0EEENS1_30default_config_static_selectorELNS0_4arch9wavefront6targetE1EEEvT1_
    .private_segment_fixed_size: 0
    .sgpr_count:     4
    .sgpr_spill_count: 0
    .symbol:         _ZN7rocprim17ROCPRIM_400000_NS6detail17trampoline_kernelINS0_14default_configENS1_20scan_config_selectorIiEEZZNS1_9scan_implILNS1_25lookback_scan_determinismE0ELb0ELb0ES3_N6thrust23THRUST_200600_302600_NS6detail15normal_iteratorINS9_10device_ptrIiEEEESE_iNS9_4plusIvEEiEEDaPvRmT3_T4_T5_mT6_P12ihipStream_tbENKUlT_T0_E_clISt17integral_constantIbLb0EEST_IbLb1EEEEDaSP_SQ_EUlSP_E_NS1_11comp_targetILNS1_3genE10ELNS1_11target_archE1201ELNS1_3gpuE5ELNS1_3repE0EEENS1_30default_config_static_selectorELNS0_4arch9wavefront6targetE1EEEvT1_.kd
    .uniform_work_group_size: 1
    .uses_dynamic_stack: false
    .vgpr_count:     0
    .vgpr_spill_count: 0
    .wavefront_size: 64
  - .agpr_count:     0
    .args:
      - .offset:         0
        .size:           96
        .value_kind:     by_value
    .group_segment_fixed_size: 0
    .kernarg_segment_align: 8
    .kernarg_segment_size: 96
    .language:       OpenCL C
    .language_version:
      - 2
      - 0
    .max_flat_workgroup_size: 256
    .name:           _ZN7rocprim17ROCPRIM_400000_NS6detail17trampoline_kernelINS0_14default_configENS1_20scan_config_selectorIiEEZZNS1_9scan_implILNS1_25lookback_scan_determinismE0ELb0ELb0ES3_N6thrust23THRUST_200600_302600_NS6detail15normal_iteratorINS9_10device_ptrIiEEEESE_iNS9_4plusIvEEiEEDaPvRmT3_T4_T5_mT6_P12ihipStream_tbENKUlT_T0_E_clISt17integral_constantIbLb0EEST_IbLb1EEEEDaSP_SQ_EUlSP_E_NS1_11comp_targetILNS1_3genE10ELNS1_11target_archE1200ELNS1_3gpuE4ELNS1_3repE0EEENS1_30default_config_static_selectorELNS0_4arch9wavefront6targetE1EEEvT1_
    .private_segment_fixed_size: 0
    .sgpr_count:     4
    .sgpr_spill_count: 0
    .symbol:         _ZN7rocprim17ROCPRIM_400000_NS6detail17trampoline_kernelINS0_14default_configENS1_20scan_config_selectorIiEEZZNS1_9scan_implILNS1_25lookback_scan_determinismE0ELb0ELb0ES3_N6thrust23THRUST_200600_302600_NS6detail15normal_iteratorINS9_10device_ptrIiEEEESE_iNS9_4plusIvEEiEEDaPvRmT3_T4_T5_mT6_P12ihipStream_tbENKUlT_T0_E_clISt17integral_constantIbLb0EEST_IbLb1EEEEDaSP_SQ_EUlSP_E_NS1_11comp_targetILNS1_3genE10ELNS1_11target_archE1200ELNS1_3gpuE4ELNS1_3repE0EEENS1_30default_config_static_selectorELNS0_4arch9wavefront6targetE1EEEvT1_.kd
    .uniform_work_group_size: 1
    .uses_dynamic_stack: false
    .vgpr_count:     0
    .vgpr_spill_count: 0
    .wavefront_size: 64
  - .agpr_count:     0
    .args:
      - .offset:         0
        .size:           96
        .value_kind:     by_value
    .group_segment_fixed_size: 0
    .kernarg_segment_align: 8
    .kernarg_segment_size: 96
    .language:       OpenCL C
    .language_version:
      - 2
      - 0
    .max_flat_workgroup_size: 256
    .name:           _ZN7rocprim17ROCPRIM_400000_NS6detail17trampoline_kernelINS0_14default_configENS1_20scan_config_selectorIiEEZZNS1_9scan_implILNS1_25lookback_scan_determinismE0ELb0ELb0ES3_N6thrust23THRUST_200600_302600_NS6detail15normal_iteratorINS9_10device_ptrIiEEEESE_iNS9_4plusIvEEiEEDaPvRmT3_T4_T5_mT6_P12ihipStream_tbENKUlT_T0_E_clISt17integral_constantIbLb0EEST_IbLb1EEEEDaSP_SQ_EUlSP_E_NS1_11comp_targetILNS1_3genE9ELNS1_11target_archE1100ELNS1_3gpuE3ELNS1_3repE0EEENS1_30default_config_static_selectorELNS0_4arch9wavefront6targetE1EEEvT1_
    .private_segment_fixed_size: 0
    .sgpr_count:     4
    .sgpr_spill_count: 0
    .symbol:         _ZN7rocprim17ROCPRIM_400000_NS6detail17trampoline_kernelINS0_14default_configENS1_20scan_config_selectorIiEEZZNS1_9scan_implILNS1_25lookback_scan_determinismE0ELb0ELb0ES3_N6thrust23THRUST_200600_302600_NS6detail15normal_iteratorINS9_10device_ptrIiEEEESE_iNS9_4plusIvEEiEEDaPvRmT3_T4_T5_mT6_P12ihipStream_tbENKUlT_T0_E_clISt17integral_constantIbLb0EEST_IbLb1EEEEDaSP_SQ_EUlSP_E_NS1_11comp_targetILNS1_3genE9ELNS1_11target_archE1100ELNS1_3gpuE3ELNS1_3repE0EEENS1_30default_config_static_selectorELNS0_4arch9wavefront6targetE1EEEvT1_.kd
    .uniform_work_group_size: 1
    .uses_dynamic_stack: false
    .vgpr_count:     0
    .vgpr_spill_count: 0
    .wavefront_size: 64
  - .agpr_count:     0
    .args:
      - .offset:         0
        .size:           96
        .value_kind:     by_value
    .group_segment_fixed_size: 0
    .kernarg_segment_align: 8
    .kernarg_segment_size: 96
    .language:       OpenCL C
    .language_version:
      - 2
      - 0
    .max_flat_workgroup_size: 64
    .name:           _ZN7rocprim17ROCPRIM_400000_NS6detail17trampoline_kernelINS0_14default_configENS1_20scan_config_selectorIiEEZZNS1_9scan_implILNS1_25lookback_scan_determinismE0ELb0ELb0ES3_N6thrust23THRUST_200600_302600_NS6detail15normal_iteratorINS9_10device_ptrIiEEEESE_iNS9_4plusIvEEiEEDaPvRmT3_T4_T5_mT6_P12ihipStream_tbENKUlT_T0_E_clISt17integral_constantIbLb0EEST_IbLb1EEEEDaSP_SQ_EUlSP_E_NS1_11comp_targetILNS1_3genE8ELNS1_11target_archE1030ELNS1_3gpuE2ELNS1_3repE0EEENS1_30default_config_static_selectorELNS0_4arch9wavefront6targetE1EEEvT1_
    .private_segment_fixed_size: 0
    .sgpr_count:     4
    .sgpr_spill_count: 0
    .symbol:         _ZN7rocprim17ROCPRIM_400000_NS6detail17trampoline_kernelINS0_14default_configENS1_20scan_config_selectorIiEEZZNS1_9scan_implILNS1_25lookback_scan_determinismE0ELb0ELb0ES3_N6thrust23THRUST_200600_302600_NS6detail15normal_iteratorINS9_10device_ptrIiEEEESE_iNS9_4plusIvEEiEEDaPvRmT3_T4_T5_mT6_P12ihipStream_tbENKUlT_T0_E_clISt17integral_constantIbLb0EEST_IbLb1EEEEDaSP_SQ_EUlSP_E_NS1_11comp_targetILNS1_3genE8ELNS1_11target_archE1030ELNS1_3gpuE2ELNS1_3repE0EEENS1_30default_config_static_selectorELNS0_4arch9wavefront6targetE1EEEvT1_.kd
    .uniform_work_group_size: 1
    .uses_dynamic_stack: false
    .vgpr_count:     0
    .vgpr_spill_count: 0
    .wavefront_size: 64
  - .agpr_count:     0
    .args:
      - .offset:         0
        .size:           32
        .value_kind:     by_value
    .group_segment_fixed_size: 0
    .kernarg_segment_align: 8
    .kernarg_segment_size: 32
    .language:       OpenCL C
    .language_version:
      - 2
      - 0
    .max_flat_workgroup_size: 256
    .name:           _ZN7rocprim17ROCPRIM_400000_NS6detail17trampoline_kernelINS0_14default_configENS1_20scan_config_selectorIiEEZZNS1_9scan_implILNS1_25lookback_scan_determinismE0ELb0ELb0ES3_N6thrust23THRUST_200600_302600_NS6detail15normal_iteratorINS9_10device_ptrIiEEEESE_iNS9_4plusIvEEiEEDaPvRmT3_T4_T5_mT6_P12ihipStream_tbENKUlT_T0_E_clISt17integral_constantIbLb0EEST_IbLb1EEEEDaSP_SQ_EUlSP_E0_NS1_11comp_targetILNS1_3genE0ELNS1_11target_archE4294967295ELNS1_3gpuE0ELNS1_3repE0EEENS1_30default_config_static_selectorELNS0_4arch9wavefront6targetE1EEEvT1_
    .private_segment_fixed_size: 0
    .sgpr_count:     4
    .sgpr_spill_count: 0
    .symbol:         _ZN7rocprim17ROCPRIM_400000_NS6detail17trampoline_kernelINS0_14default_configENS1_20scan_config_selectorIiEEZZNS1_9scan_implILNS1_25lookback_scan_determinismE0ELb0ELb0ES3_N6thrust23THRUST_200600_302600_NS6detail15normal_iteratorINS9_10device_ptrIiEEEESE_iNS9_4plusIvEEiEEDaPvRmT3_T4_T5_mT6_P12ihipStream_tbENKUlT_T0_E_clISt17integral_constantIbLb0EEST_IbLb1EEEEDaSP_SQ_EUlSP_E0_NS1_11comp_targetILNS1_3genE0ELNS1_11target_archE4294967295ELNS1_3gpuE0ELNS1_3repE0EEENS1_30default_config_static_selectorELNS0_4arch9wavefront6targetE1EEEvT1_.kd
    .uniform_work_group_size: 1
    .uses_dynamic_stack: false
    .vgpr_count:     0
    .vgpr_spill_count: 0
    .wavefront_size: 64
  - .agpr_count:     0
    .args:
      - .offset:         0
        .size:           32
        .value_kind:     by_value
    .group_segment_fixed_size: 0
    .kernarg_segment_align: 8
    .kernarg_segment_size: 32
    .language:       OpenCL C
    .language_version:
      - 2
      - 0
    .max_flat_workgroup_size: 256
    .name:           _ZN7rocprim17ROCPRIM_400000_NS6detail17trampoline_kernelINS0_14default_configENS1_20scan_config_selectorIiEEZZNS1_9scan_implILNS1_25lookback_scan_determinismE0ELb0ELb0ES3_N6thrust23THRUST_200600_302600_NS6detail15normal_iteratorINS9_10device_ptrIiEEEESE_iNS9_4plusIvEEiEEDaPvRmT3_T4_T5_mT6_P12ihipStream_tbENKUlT_T0_E_clISt17integral_constantIbLb0EEST_IbLb1EEEEDaSP_SQ_EUlSP_E0_NS1_11comp_targetILNS1_3genE5ELNS1_11target_archE942ELNS1_3gpuE9ELNS1_3repE0EEENS1_30default_config_static_selectorELNS0_4arch9wavefront6targetE1EEEvT1_
    .private_segment_fixed_size: 0
    .sgpr_count:     4
    .sgpr_spill_count: 0
    .symbol:         _ZN7rocprim17ROCPRIM_400000_NS6detail17trampoline_kernelINS0_14default_configENS1_20scan_config_selectorIiEEZZNS1_9scan_implILNS1_25lookback_scan_determinismE0ELb0ELb0ES3_N6thrust23THRUST_200600_302600_NS6detail15normal_iteratorINS9_10device_ptrIiEEEESE_iNS9_4plusIvEEiEEDaPvRmT3_T4_T5_mT6_P12ihipStream_tbENKUlT_T0_E_clISt17integral_constantIbLb0EEST_IbLb1EEEEDaSP_SQ_EUlSP_E0_NS1_11comp_targetILNS1_3genE5ELNS1_11target_archE942ELNS1_3gpuE9ELNS1_3repE0EEENS1_30default_config_static_selectorELNS0_4arch9wavefront6targetE1EEEvT1_.kd
    .uniform_work_group_size: 1
    .uses_dynamic_stack: false
    .vgpr_count:     0
    .vgpr_spill_count: 0
    .wavefront_size: 64
  - .agpr_count:     0
    .args:
      - .offset:         0
        .size:           32
        .value_kind:     by_value
    .group_segment_fixed_size: 5120
    .kernarg_segment_align: 8
    .kernarg_segment_size: 32
    .language:       OpenCL C
    .language_version:
      - 2
      - 0
    .max_flat_workgroup_size: 128
    .name:           _ZN7rocprim17ROCPRIM_400000_NS6detail17trampoline_kernelINS0_14default_configENS1_20scan_config_selectorIiEEZZNS1_9scan_implILNS1_25lookback_scan_determinismE0ELb0ELb0ES3_N6thrust23THRUST_200600_302600_NS6detail15normal_iteratorINS9_10device_ptrIiEEEESE_iNS9_4plusIvEEiEEDaPvRmT3_T4_T5_mT6_P12ihipStream_tbENKUlT_T0_E_clISt17integral_constantIbLb0EEST_IbLb1EEEEDaSP_SQ_EUlSP_E0_NS1_11comp_targetILNS1_3genE4ELNS1_11target_archE910ELNS1_3gpuE8ELNS1_3repE0EEENS1_30default_config_static_selectorELNS0_4arch9wavefront6targetE1EEEvT1_
    .private_segment_fixed_size: 0
    .sgpr_count:     28
    .sgpr_spill_count: 0
    .symbol:         _ZN7rocprim17ROCPRIM_400000_NS6detail17trampoline_kernelINS0_14default_configENS1_20scan_config_selectorIiEEZZNS1_9scan_implILNS1_25lookback_scan_determinismE0ELb0ELb0ES3_N6thrust23THRUST_200600_302600_NS6detail15normal_iteratorINS9_10device_ptrIiEEEESE_iNS9_4plusIvEEiEEDaPvRmT3_T4_T5_mT6_P12ihipStream_tbENKUlT_T0_E_clISt17integral_constantIbLb0EEST_IbLb1EEEEDaSP_SQ_EUlSP_E0_NS1_11comp_targetILNS1_3genE4ELNS1_11target_archE910ELNS1_3gpuE8ELNS1_3repE0EEENS1_30default_config_static_selectorELNS0_4arch9wavefront6targetE1EEEvT1_.kd
    .uniform_work_group_size: 1
    .uses_dynamic_stack: false
    .vgpr_count:     27
    .vgpr_spill_count: 0
    .wavefront_size: 64
  - .agpr_count:     0
    .args:
      - .offset:         0
        .size:           32
        .value_kind:     by_value
    .group_segment_fixed_size: 0
    .kernarg_segment_align: 8
    .kernarg_segment_size: 32
    .language:       OpenCL C
    .language_version:
      - 2
      - 0
    .max_flat_workgroup_size: 256
    .name:           _ZN7rocprim17ROCPRIM_400000_NS6detail17trampoline_kernelINS0_14default_configENS1_20scan_config_selectorIiEEZZNS1_9scan_implILNS1_25lookback_scan_determinismE0ELb0ELb0ES3_N6thrust23THRUST_200600_302600_NS6detail15normal_iteratorINS9_10device_ptrIiEEEESE_iNS9_4plusIvEEiEEDaPvRmT3_T4_T5_mT6_P12ihipStream_tbENKUlT_T0_E_clISt17integral_constantIbLb0EEST_IbLb1EEEEDaSP_SQ_EUlSP_E0_NS1_11comp_targetILNS1_3genE3ELNS1_11target_archE908ELNS1_3gpuE7ELNS1_3repE0EEENS1_30default_config_static_selectorELNS0_4arch9wavefront6targetE1EEEvT1_
    .private_segment_fixed_size: 0
    .sgpr_count:     4
    .sgpr_spill_count: 0
    .symbol:         _ZN7rocprim17ROCPRIM_400000_NS6detail17trampoline_kernelINS0_14default_configENS1_20scan_config_selectorIiEEZZNS1_9scan_implILNS1_25lookback_scan_determinismE0ELb0ELb0ES3_N6thrust23THRUST_200600_302600_NS6detail15normal_iteratorINS9_10device_ptrIiEEEESE_iNS9_4plusIvEEiEEDaPvRmT3_T4_T5_mT6_P12ihipStream_tbENKUlT_T0_E_clISt17integral_constantIbLb0EEST_IbLb1EEEEDaSP_SQ_EUlSP_E0_NS1_11comp_targetILNS1_3genE3ELNS1_11target_archE908ELNS1_3gpuE7ELNS1_3repE0EEENS1_30default_config_static_selectorELNS0_4arch9wavefront6targetE1EEEvT1_.kd
    .uniform_work_group_size: 1
    .uses_dynamic_stack: false
    .vgpr_count:     0
    .vgpr_spill_count: 0
    .wavefront_size: 64
  - .agpr_count:     0
    .args:
      - .offset:         0
        .size:           32
        .value_kind:     by_value
    .group_segment_fixed_size: 0
    .kernarg_segment_align: 8
    .kernarg_segment_size: 32
    .language:       OpenCL C
    .language_version:
      - 2
      - 0
    .max_flat_workgroup_size: 256
    .name:           _ZN7rocprim17ROCPRIM_400000_NS6detail17trampoline_kernelINS0_14default_configENS1_20scan_config_selectorIiEEZZNS1_9scan_implILNS1_25lookback_scan_determinismE0ELb0ELb0ES3_N6thrust23THRUST_200600_302600_NS6detail15normal_iteratorINS9_10device_ptrIiEEEESE_iNS9_4plusIvEEiEEDaPvRmT3_T4_T5_mT6_P12ihipStream_tbENKUlT_T0_E_clISt17integral_constantIbLb0EEST_IbLb1EEEEDaSP_SQ_EUlSP_E0_NS1_11comp_targetILNS1_3genE2ELNS1_11target_archE906ELNS1_3gpuE6ELNS1_3repE0EEENS1_30default_config_static_selectorELNS0_4arch9wavefront6targetE1EEEvT1_
    .private_segment_fixed_size: 0
    .sgpr_count:     4
    .sgpr_spill_count: 0
    .symbol:         _ZN7rocprim17ROCPRIM_400000_NS6detail17trampoline_kernelINS0_14default_configENS1_20scan_config_selectorIiEEZZNS1_9scan_implILNS1_25lookback_scan_determinismE0ELb0ELb0ES3_N6thrust23THRUST_200600_302600_NS6detail15normal_iteratorINS9_10device_ptrIiEEEESE_iNS9_4plusIvEEiEEDaPvRmT3_T4_T5_mT6_P12ihipStream_tbENKUlT_T0_E_clISt17integral_constantIbLb0EEST_IbLb1EEEEDaSP_SQ_EUlSP_E0_NS1_11comp_targetILNS1_3genE2ELNS1_11target_archE906ELNS1_3gpuE6ELNS1_3repE0EEENS1_30default_config_static_selectorELNS0_4arch9wavefront6targetE1EEEvT1_.kd
    .uniform_work_group_size: 1
    .uses_dynamic_stack: false
    .vgpr_count:     0
    .vgpr_spill_count: 0
    .wavefront_size: 64
  - .agpr_count:     0
    .args:
      - .offset:         0
        .size:           32
        .value_kind:     by_value
    .group_segment_fixed_size: 0
    .kernarg_segment_align: 8
    .kernarg_segment_size: 32
    .language:       OpenCL C
    .language_version:
      - 2
      - 0
    .max_flat_workgroup_size: 256
    .name:           _ZN7rocprim17ROCPRIM_400000_NS6detail17trampoline_kernelINS0_14default_configENS1_20scan_config_selectorIiEEZZNS1_9scan_implILNS1_25lookback_scan_determinismE0ELb0ELb0ES3_N6thrust23THRUST_200600_302600_NS6detail15normal_iteratorINS9_10device_ptrIiEEEESE_iNS9_4plusIvEEiEEDaPvRmT3_T4_T5_mT6_P12ihipStream_tbENKUlT_T0_E_clISt17integral_constantIbLb0EEST_IbLb1EEEEDaSP_SQ_EUlSP_E0_NS1_11comp_targetILNS1_3genE10ELNS1_11target_archE1201ELNS1_3gpuE5ELNS1_3repE0EEENS1_30default_config_static_selectorELNS0_4arch9wavefront6targetE1EEEvT1_
    .private_segment_fixed_size: 0
    .sgpr_count:     4
    .sgpr_spill_count: 0
    .symbol:         _ZN7rocprim17ROCPRIM_400000_NS6detail17trampoline_kernelINS0_14default_configENS1_20scan_config_selectorIiEEZZNS1_9scan_implILNS1_25lookback_scan_determinismE0ELb0ELb0ES3_N6thrust23THRUST_200600_302600_NS6detail15normal_iteratorINS9_10device_ptrIiEEEESE_iNS9_4plusIvEEiEEDaPvRmT3_T4_T5_mT6_P12ihipStream_tbENKUlT_T0_E_clISt17integral_constantIbLb0EEST_IbLb1EEEEDaSP_SQ_EUlSP_E0_NS1_11comp_targetILNS1_3genE10ELNS1_11target_archE1201ELNS1_3gpuE5ELNS1_3repE0EEENS1_30default_config_static_selectorELNS0_4arch9wavefront6targetE1EEEvT1_.kd
    .uniform_work_group_size: 1
    .uses_dynamic_stack: false
    .vgpr_count:     0
    .vgpr_spill_count: 0
    .wavefront_size: 64
  - .agpr_count:     0
    .args:
      - .offset:         0
        .size:           32
        .value_kind:     by_value
    .group_segment_fixed_size: 0
    .kernarg_segment_align: 8
    .kernarg_segment_size: 32
    .language:       OpenCL C
    .language_version:
      - 2
      - 0
    .max_flat_workgroup_size: 256
    .name:           _ZN7rocprim17ROCPRIM_400000_NS6detail17trampoline_kernelINS0_14default_configENS1_20scan_config_selectorIiEEZZNS1_9scan_implILNS1_25lookback_scan_determinismE0ELb0ELb0ES3_N6thrust23THRUST_200600_302600_NS6detail15normal_iteratorINS9_10device_ptrIiEEEESE_iNS9_4plusIvEEiEEDaPvRmT3_T4_T5_mT6_P12ihipStream_tbENKUlT_T0_E_clISt17integral_constantIbLb0EEST_IbLb1EEEEDaSP_SQ_EUlSP_E0_NS1_11comp_targetILNS1_3genE10ELNS1_11target_archE1200ELNS1_3gpuE4ELNS1_3repE0EEENS1_30default_config_static_selectorELNS0_4arch9wavefront6targetE1EEEvT1_
    .private_segment_fixed_size: 0
    .sgpr_count:     4
    .sgpr_spill_count: 0
    .symbol:         _ZN7rocprim17ROCPRIM_400000_NS6detail17trampoline_kernelINS0_14default_configENS1_20scan_config_selectorIiEEZZNS1_9scan_implILNS1_25lookback_scan_determinismE0ELb0ELb0ES3_N6thrust23THRUST_200600_302600_NS6detail15normal_iteratorINS9_10device_ptrIiEEEESE_iNS9_4plusIvEEiEEDaPvRmT3_T4_T5_mT6_P12ihipStream_tbENKUlT_T0_E_clISt17integral_constantIbLb0EEST_IbLb1EEEEDaSP_SQ_EUlSP_E0_NS1_11comp_targetILNS1_3genE10ELNS1_11target_archE1200ELNS1_3gpuE4ELNS1_3repE0EEENS1_30default_config_static_selectorELNS0_4arch9wavefront6targetE1EEEvT1_.kd
    .uniform_work_group_size: 1
    .uses_dynamic_stack: false
    .vgpr_count:     0
    .vgpr_spill_count: 0
    .wavefront_size: 64
  - .agpr_count:     0
    .args:
      - .offset:         0
        .size:           32
        .value_kind:     by_value
    .group_segment_fixed_size: 0
    .kernarg_segment_align: 8
    .kernarg_segment_size: 32
    .language:       OpenCL C
    .language_version:
      - 2
      - 0
    .max_flat_workgroup_size: 256
    .name:           _ZN7rocprim17ROCPRIM_400000_NS6detail17trampoline_kernelINS0_14default_configENS1_20scan_config_selectorIiEEZZNS1_9scan_implILNS1_25lookback_scan_determinismE0ELb0ELb0ES3_N6thrust23THRUST_200600_302600_NS6detail15normal_iteratorINS9_10device_ptrIiEEEESE_iNS9_4plusIvEEiEEDaPvRmT3_T4_T5_mT6_P12ihipStream_tbENKUlT_T0_E_clISt17integral_constantIbLb0EEST_IbLb1EEEEDaSP_SQ_EUlSP_E0_NS1_11comp_targetILNS1_3genE9ELNS1_11target_archE1100ELNS1_3gpuE3ELNS1_3repE0EEENS1_30default_config_static_selectorELNS0_4arch9wavefront6targetE1EEEvT1_
    .private_segment_fixed_size: 0
    .sgpr_count:     4
    .sgpr_spill_count: 0
    .symbol:         _ZN7rocprim17ROCPRIM_400000_NS6detail17trampoline_kernelINS0_14default_configENS1_20scan_config_selectorIiEEZZNS1_9scan_implILNS1_25lookback_scan_determinismE0ELb0ELb0ES3_N6thrust23THRUST_200600_302600_NS6detail15normal_iteratorINS9_10device_ptrIiEEEESE_iNS9_4plusIvEEiEEDaPvRmT3_T4_T5_mT6_P12ihipStream_tbENKUlT_T0_E_clISt17integral_constantIbLb0EEST_IbLb1EEEEDaSP_SQ_EUlSP_E0_NS1_11comp_targetILNS1_3genE9ELNS1_11target_archE1100ELNS1_3gpuE3ELNS1_3repE0EEENS1_30default_config_static_selectorELNS0_4arch9wavefront6targetE1EEEvT1_.kd
    .uniform_work_group_size: 1
    .uses_dynamic_stack: false
    .vgpr_count:     0
    .vgpr_spill_count: 0
    .wavefront_size: 64
  - .agpr_count:     0
    .args:
      - .offset:         0
        .size:           32
        .value_kind:     by_value
    .group_segment_fixed_size: 0
    .kernarg_segment_align: 8
    .kernarg_segment_size: 32
    .language:       OpenCL C
    .language_version:
      - 2
      - 0
    .max_flat_workgroup_size: 64
    .name:           _ZN7rocprim17ROCPRIM_400000_NS6detail17trampoline_kernelINS0_14default_configENS1_20scan_config_selectorIiEEZZNS1_9scan_implILNS1_25lookback_scan_determinismE0ELb0ELb0ES3_N6thrust23THRUST_200600_302600_NS6detail15normal_iteratorINS9_10device_ptrIiEEEESE_iNS9_4plusIvEEiEEDaPvRmT3_T4_T5_mT6_P12ihipStream_tbENKUlT_T0_E_clISt17integral_constantIbLb0EEST_IbLb1EEEEDaSP_SQ_EUlSP_E0_NS1_11comp_targetILNS1_3genE8ELNS1_11target_archE1030ELNS1_3gpuE2ELNS1_3repE0EEENS1_30default_config_static_selectorELNS0_4arch9wavefront6targetE1EEEvT1_
    .private_segment_fixed_size: 0
    .sgpr_count:     4
    .sgpr_spill_count: 0
    .symbol:         _ZN7rocprim17ROCPRIM_400000_NS6detail17trampoline_kernelINS0_14default_configENS1_20scan_config_selectorIiEEZZNS1_9scan_implILNS1_25lookback_scan_determinismE0ELb0ELb0ES3_N6thrust23THRUST_200600_302600_NS6detail15normal_iteratorINS9_10device_ptrIiEEEESE_iNS9_4plusIvEEiEEDaPvRmT3_T4_T5_mT6_P12ihipStream_tbENKUlT_T0_E_clISt17integral_constantIbLb0EEST_IbLb1EEEEDaSP_SQ_EUlSP_E0_NS1_11comp_targetILNS1_3genE8ELNS1_11target_archE1030ELNS1_3gpuE2ELNS1_3repE0EEENS1_30default_config_static_selectorELNS0_4arch9wavefront6targetE1EEEvT1_.kd
    .uniform_work_group_size: 1
    .uses_dynamic_stack: false
    .vgpr_count:     0
    .vgpr_spill_count: 0
    .wavefront_size: 64
  - .agpr_count:     0
    .args:
      - .address_space:  global
        .offset:         0
        .size:           8
        .value_kind:     global_buffer
      - .offset:         8
        .size:           4
        .value_kind:     by_value
      - .offset:         12
        .size:           1
        .value_kind:     by_value
      - .offset:         16
        .size:           4
        .value_kind:     by_value
      - .address_space:  global
        .offset:         24
        .size:           8
        .value_kind:     global_buffer
      - .offset:         32
        .size:           4
        .value_kind:     hidden_block_count_x
      - .offset:         36
        .size:           4
        .value_kind:     hidden_block_count_y
      - .offset:         40
        .size:           4
        .value_kind:     hidden_block_count_z
      - .offset:         44
        .size:           2
        .value_kind:     hidden_group_size_x
      - .offset:         46
        .size:           2
        .value_kind:     hidden_group_size_y
      - .offset:         48
        .size:           2
        .value_kind:     hidden_group_size_z
      - .offset:         50
        .size:           2
        .value_kind:     hidden_remainder_x
      - .offset:         52
        .size:           2
        .value_kind:     hidden_remainder_y
      - .offset:         54
        .size:           2
        .value_kind:     hidden_remainder_z
      - .offset:         72
        .size:           8
        .value_kind:     hidden_global_offset_x
      - .offset:         80
        .size:           8
        .value_kind:     hidden_global_offset_y
      - .offset:         88
        .size:           8
        .value_kind:     hidden_global_offset_z
      - .offset:         96
        .size:           2
        .value_kind:     hidden_grid_dims
    .group_segment_fixed_size: 0
    .kernarg_segment_align: 8
    .kernarg_segment_size: 288
    .language:       OpenCL C
    .language_version:
      - 2
      - 0
    .max_flat_workgroup_size: 256
    .name:           _ZN7rocprim17ROCPRIM_400000_NS6detail31init_lookback_scan_state_kernelINS1_19lookback_scan_stateIfLb0ELb1EEENS1_16block_id_wrapperIjLb0EEEEEvT_jT0_jPNS7_10value_typeE
    .private_segment_fixed_size: 0
    .sgpr_count:     13
    .sgpr_spill_count: 0
    .symbol:         _ZN7rocprim17ROCPRIM_400000_NS6detail31init_lookback_scan_state_kernelINS1_19lookback_scan_stateIfLb0ELb1EEENS1_16block_id_wrapperIjLb0EEEEEvT_jT0_jPNS7_10value_typeE.kd
    .uniform_work_group_size: 1
    .uses_dynamic_stack: false
    .vgpr_count:     6
    .vgpr_spill_count: 0
    .wavefront_size: 64
  - .agpr_count:     0
    .args:
      - .offset:         0
        .size:           96
        .value_kind:     by_value
    .group_segment_fixed_size: 0
    .kernarg_segment_align: 8
    .kernarg_segment_size: 96
    .language:       OpenCL C
    .language_version:
      - 2
      - 0
    .max_flat_workgroup_size: 256
    .name:           _ZN7rocprim17ROCPRIM_400000_NS6detail17trampoline_kernelINS0_14default_configENS1_20scan_config_selectorIfEEZZNS1_9scan_implILNS1_25lookback_scan_determinismE0ELb0ELb0ES3_N6thrust23THRUST_200600_302600_NS6detail15normal_iteratorINS9_10device_ptrIfEEEENSB_INSC_IiEEEEfNS9_4plusIvEEfEEDaPvRmT3_T4_T5_mT6_P12ihipStream_tbENKUlT_T0_E_clISt17integral_constantIbLb0EESW_EEDaSR_SS_EUlSR_E_NS1_11comp_targetILNS1_3genE0ELNS1_11target_archE4294967295ELNS1_3gpuE0ELNS1_3repE0EEENS1_30default_config_static_selectorELNS0_4arch9wavefront6targetE1EEEvT1_
    .private_segment_fixed_size: 0
    .sgpr_count:     4
    .sgpr_spill_count: 0
    .symbol:         _ZN7rocprim17ROCPRIM_400000_NS6detail17trampoline_kernelINS0_14default_configENS1_20scan_config_selectorIfEEZZNS1_9scan_implILNS1_25lookback_scan_determinismE0ELb0ELb0ES3_N6thrust23THRUST_200600_302600_NS6detail15normal_iteratorINS9_10device_ptrIfEEEENSB_INSC_IiEEEEfNS9_4plusIvEEfEEDaPvRmT3_T4_T5_mT6_P12ihipStream_tbENKUlT_T0_E_clISt17integral_constantIbLb0EESW_EEDaSR_SS_EUlSR_E_NS1_11comp_targetILNS1_3genE0ELNS1_11target_archE4294967295ELNS1_3gpuE0ELNS1_3repE0EEENS1_30default_config_static_selectorELNS0_4arch9wavefront6targetE1EEEvT1_.kd
    .uniform_work_group_size: 1
    .uses_dynamic_stack: false
    .vgpr_count:     0
    .vgpr_spill_count: 0
    .wavefront_size: 64
  - .agpr_count:     0
    .args:
      - .offset:         0
        .size:           96
        .value_kind:     by_value
    .group_segment_fixed_size: 0
    .kernarg_segment_align: 8
    .kernarg_segment_size: 96
    .language:       OpenCL C
    .language_version:
      - 2
      - 0
    .max_flat_workgroup_size: 256
    .name:           _ZN7rocprim17ROCPRIM_400000_NS6detail17trampoline_kernelINS0_14default_configENS1_20scan_config_selectorIfEEZZNS1_9scan_implILNS1_25lookback_scan_determinismE0ELb0ELb0ES3_N6thrust23THRUST_200600_302600_NS6detail15normal_iteratorINS9_10device_ptrIfEEEENSB_INSC_IiEEEEfNS9_4plusIvEEfEEDaPvRmT3_T4_T5_mT6_P12ihipStream_tbENKUlT_T0_E_clISt17integral_constantIbLb0EESW_EEDaSR_SS_EUlSR_E_NS1_11comp_targetILNS1_3genE5ELNS1_11target_archE942ELNS1_3gpuE9ELNS1_3repE0EEENS1_30default_config_static_selectorELNS0_4arch9wavefront6targetE1EEEvT1_
    .private_segment_fixed_size: 0
    .sgpr_count:     4
    .sgpr_spill_count: 0
    .symbol:         _ZN7rocprim17ROCPRIM_400000_NS6detail17trampoline_kernelINS0_14default_configENS1_20scan_config_selectorIfEEZZNS1_9scan_implILNS1_25lookback_scan_determinismE0ELb0ELb0ES3_N6thrust23THRUST_200600_302600_NS6detail15normal_iteratorINS9_10device_ptrIfEEEENSB_INSC_IiEEEEfNS9_4plusIvEEfEEDaPvRmT3_T4_T5_mT6_P12ihipStream_tbENKUlT_T0_E_clISt17integral_constantIbLb0EESW_EEDaSR_SS_EUlSR_E_NS1_11comp_targetILNS1_3genE5ELNS1_11target_archE942ELNS1_3gpuE9ELNS1_3repE0EEENS1_30default_config_static_selectorELNS0_4arch9wavefront6targetE1EEEvT1_.kd
    .uniform_work_group_size: 1
    .uses_dynamic_stack: false
    .vgpr_count:     0
    .vgpr_spill_count: 0
    .wavefront_size: 64
  - .agpr_count:     0
    .args:
      - .offset:         0
        .size:           96
        .value_kind:     by_value
    .group_segment_fixed_size: 7168
    .kernarg_segment_align: 8
    .kernarg_segment_size: 96
    .language:       OpenCL C
    .language_version:
      - 2
      - 0
    .max_flat_workgroup_size: 128
    .name:           _ZN7rocprim17ROCPRIM_400000_NS6detail17trampoline_kernelINS0_14default_configENS1_20scan_config_selectorIfEEZZNS1_9scan_implILNS1_25lookback_scan_determinismE0ELb0ELb0ES3_N6thrust23THRUST_200600_302600_NS6detail15normal_iteratorINS9_10device_ptrIfEEEENSB_INSC_IiEEEEfNS9_4plusIvEEfEEDaPvRmT3_T4_T5_mT6_P12ihipStream_tbENKUlT_T0_E_clISt17integral_constantIbLb0EESW_EEDaSR_SS_EUlSR_E_NS1_11comp_targetILNS1_3genE4ELNS1_11target_archE910ELNS1_3gpuE8ELNS1_3repE0EEENS1_30default_config_static_selectorELNS0_4arch9wavefront6targetE1EEEvT1_
    .private_segment_fixed_size: 0
    .sgpr_count:     34
    .sgpr_spill_count: 0
    .symbol:         _ZN7rocprim17ROCPRIM_400000_NS6detail17trampoline_kernelINS0_14default_configENS1_20scan_config_selectorIfEEZZNS1_9scan_implILNS1_25lookback_scan_determinismE0ELb0ELb0ES3_N6thrust23THRUST_200600_302600_NS6detail15normal_iteratorINS9_10device_ptrIfEEEENSB_INSC_IiEEEEfNS9_4plusIvEEfEEDaPvRmT3_T4_T5_mT6_P12ihipStream_tbENKUlT_T0_E_clISt17integral_constantIbLb0EESW_EEDaSR_SS_EUlSR_E_NS1_11comp_targetILNS1_3genE4ELNS1_11target_archE910ELNS1_3gpuE8ELNS1_3repE0EEENS1_30default_config_static_selectorELNS0_4arch9wavefront6targetE1EEEvT1_.kd
    .uniform_work_group_size: 1
    .uses_dynamic_stack: false
    .vgpr_count:     48
    .vgpr_spill_count: 0
    .wavefront_size: 64
  - .agpr_count:     0
    .args:
      - .offset:         0
        .size:           96
        .value_kind:     by_value
    .group_segment_fixed_size: 0
    .kernarg_segment_align: 8
    .kernarg_segment_size: 96
    .language:       OpenCL C
    .language_version:
      - 2
      - 0
    .max_flat_workgroup_size: 256
    .name:           _ZN7rocprim17ROCPRIM_400000_NS6detail17trampoline_kernelINS0_14default_configENS1_20scan_config_selectorIfEEZZNS1_9scan_implILNS1_25lookback_scan_determinismE0ELb0ELb0ES3_N6thrust23THRUST_200600_302600_NS6detail15normal_iteratorINS9_10device_ptrIfEEEENSB_INSC_IiEEEEfNS9_4plusIvEEfEEDaPvRmT3_T4_T5_mT6_P12ihipStream_tbENKUlT_T0_E_clISt17integral_constantIbLb0EESW_EEDaSR_SS_EUlSR_E_NS1_11comp_targetILNS1_3genE3ELNS1_11target_archE908ELNS1_3gpuE7ELNS1_3repE0EEENS1_30default_config_static_selectorELNS0_4arch9wavefront6targetE1EEEvT1_
    .private_segment_fixed_size: 0
    .sgpr_count:     4
    .sgpr_spill_count: 0
    .symbol:         _ZN7rocprim17ROCPRIM_400000_NS6detail17trampoline_kernelINS0_14default_configENS1_20scan_config_selectorIfEEZZNS1_9scan_implILNS1_25lookback_scan_determinismE0ELb0ELb0ES3_N6thrust23THRUST_200600_302600_NS6detail15normal_iteratorINS9_10device_ptrIfEEEENSB_INSC_IiEEEEfNS9_4plusIvEEfEEDaPvRmT3_T4_T5_mT6_P12ihipStream_tbENKUlT_T0_E_clISt17integral_constantIbLb0EESW_EEDaSR_SS_EUlSR_E_NS1_11comp_targetILNS1_3genE3ELNS1_11target_archE908ELNS1_3gpuE7ELNS1_3repE0EEENS1_30default_config_static_selectorELNS0_4arch9wavefront6targetE1EEEvT1_.kd
    .uniform_work_group_size: 1
    .uses_dynamic_stack: false
    .vgpr_count:     0
    .vgpr_spill_count: 0
    .wavefront_size: 64
  - .agpr_count:     0
    .args:
      - .offset:         0
        .size:           96
        .value_kind:     by_value
    .group_segment_fixed_size: 0
    .kernarg_segment_align: 8
    .kernarg_segment_size: 96
    .language:       OpenCL C
    .language_version:
      - 2
      - 0
    .max_flat_workgroup_size: 256
    .name:           _ZN7rocprim17ROCPRIM_400000_NS6detail17trampoline_kernelINS0_14default_configENS1_20scan_config_selectorIfEEZZNS1_9scan_implILNS1_25lookback_scan_determinismE0ELb0ELb0ES3_N6thrust23THRUST_200600_302600_NS6detail15normal_iteratorINS9_10device_ptrIfEEEENSB_INSC_IiEEEEfNS9_4plusIvEEfEEDaPvRmT3_T4_T5_mT6_P12ihipStream_tbENKUlT_T0_E_clISt17integral_constantIbLb0EESW_EEDaSR_SS_EUlSR_E_NS1_11comp_targetILNS1_3genE2ELNS1_11target_archE906ELNS1_3gpuE6ELNS1_3repE0EEENS1_30default_config_static_selectorELNS0_4arch9wavefront6targetE1EEEvT1_
    .private_segment_fixed_size: 0
    .sgpr_count:     4
    .sgpr_spill_count: 0
    .symbol:         _ZN7rocprim17ROCPRIM_400000_NS6detail17trampoline_kernelINS0_14default_configENS1_20scan_config_selectorIfEEZZNS1_9scan_implILNS1_25lookback_scan_determinismE0ELb0ELb0ES3_N6thrust23THRUST_200600_302600_NS6detail15normal_iteratorINS9_10device_ptrIfEEEENSB_INSC_IiEEEEfNS9_4plusIvEEfEEDaPvRmT3_T4_T5_mT6_P12ihipStream_tbENKUlT_T0_E_clISt17integral_constantIbLb0EESW_EEDaSR_SS_EUlSR_E_NS1_11comp_targetILNS1_3genE2ELNS1_11target_archE906ELNS1_3gpuE6ELNS1_3repE0EEENS1_30default_config_static_selectorELNS0_4arch9wavefront6targetE1EEEvT1_.kd
    .uniform_work_group_size: 1
    .uses_dynamic_stack: false
    .vgpr_count:     0
    .vgpr_spill_count: 0
    .wavefront_size: 64
  - .agpr_count:     0
    .args:
      - .offset:         0
        .size:           96
        .value_kind:     by_value
    .group_segment_fixed_size: 0
    .kernarg_segment_align: 8
    .kernarg_segment_size: 96
    .language:       OpenCL C
    .language_version:
      - 2
      - 0
    .max_flat_workgroup_size: 256
    .name:           _ZN7rocprim17ROCPRIM_400000_NS6detail17trampoline_kernelINS0_14default_configENS1_20scan_config_selectorIfEEZZNS1_9scan_implILNS1_25lookback_scan_determinismE0ELb0ELb0ES3_N6thrust23THRUST_200600_302600_NS6detail15normal_iteratorINS9_10device_ptrIfEEEENSB_INSC_IiEEEEfNS9_4plusIvEEfEEDaPvRmT3_T4_T5_mT6_P12ihipStream_tbENKUlT_T0_E_clISt17integral_constantIbLb0EESW_EEDaSR_SS_EUlSR_E_NS1_11comp_targetILNS1_3genE10ELNS1_11target_archE1201ELNS1_3gpuE5ELNS1_3repE0EEENS1_30default_config_static_selectorELNS0_4arch9wavefront6targetE1EEEvT1_
    .private_segment_fixed_size: 0
    .sgpr_count:     4
    .sgpr_spill_count: 0
    .symbol:         _ZN7rocprim17ROCPRIM_400000_NS6detail17trampoline_kernelINS0_14default_configENS1_20scan_config_selectorIfEEZZNS1_9scan_implILNS1_25lookback_scan_determinismE0ELb0ELb0ES3_N6thrust23THRUST_200600_302600_NS6detail15normal_iteratorINS9_10device_ptrIfEEEENSB_INSC_IiEEEEfNS9_4plusIvEEfEEDaPvRmT3_T4_T5_mT6_P12ihipStream_tbENKUlT_T0_E_clISt17integral_constantIbLb0EESW_EEDaSR_SS_EUlSR_E_NS1_11comp_targetILNS1_3genE10ELNS1_11target_archE1201ELNS1_3gpuE5ELNS1_3repE0EEENS1_30default_config_static_selectorELNS0_4arch9wavefront6targetE1EEEvT1_.kd
    .uniform_work_group_size: 1
    .uses_dynamic_stack: false
    .vgpr_count:     0
    .vgpr_spill_count: 0
    .wavefront_size: 64
  - .agpr_count:     0
    .args:
      - .offset:         0
        .size:           96
        .value_kind:     by_value
    .group_segment_fixed_size: 0
    .kernarg_segment_align: 8
    .kernarg_segment_size: 96
    .language:       OpenCL C
    .language_version:
      - 2
      - 0
    .max_flat_workgroup_size: 256
    .name:           _ZN7rocprim17ROCPRIM_400000_NS6detail17trampoline_kernelINS0_14default_configENS1_20scan_config_selectorIfEEZZNS1_9scan_implILNS1_25lookback_scan_determinismE0ELb0ELb0ES3_N6thrust23THRUST_200600_302600_NS6detail15normal_iteratorINS9_10device_ptrIfEEEENSB_INSC_IiEEEEfNS9_4plusIvEEfEEDaPvRmT3_T4_T5_mT6_P12ihipStream_tbENKUlT_T0_E_clISt17integral_constantIbLb0EESW_EEDaSR_SS_EUlSR_E_NS1_11comp_targetILNS1_3genE10ELNS1_11target_archE1200ELNS1_3gpuE4ELNS1_3repE0EEENS1_30default_config_static_selectorELNS0_4arch9wavefront6targetE1EEEvT1_
    .private_segment_fixed_size: 0
    .sgpr_count:     4
    .sgpr_spill_count: 0
    .symbol:         _ZN7rocprim17ROCPRIM_400000_NS6detail17trampoline_kernelINS0_14default_configENS1_20scan_config_selectorIfEEZZNS1_9scan_implILNS1_25lookback_scan_determinismE0ELb0ELb0ES3_N6thrust23THRUST_200600_302600_NS6detail15normal_iteratorINS9_10device_ptrIfEEEENSB_INSC_IiEEEEfNS9_4plusIvEEfEEDaPvRmT3_T4_T5_mT6_P12ihipStream_tbENKUlT_T0_E_clISt17integral_constantIbLb0EESW_EEDaSR_SS_EUlSR_E_NS1_11comp_targetILNS1_3genE10ELNS1_11target_archE1200ELNS1_3gpuE4ELNS1_3repE0EEENS1_30default_config_static_selectorELNS0_4arch9wavefront6targetE1EEEvT1_.kd
    .uniform_work_group_size: 1
    .uses_dynamic_stack: false
    .vgpr_count:     0
    .vgpr_spill_count: 0
    .wavefront_size: 64
  - .agpr_count:     0
    .args:
      - .offset:         0
        .size:           96
        .value_kind:     by_value
    .group_segment_fixed_size: 0
    .kernarg_segment_align: 8
    .kernarg_segment_size: 96
    .language:       OpenCL C
    .language_version:
      - 2
      - 0
    .max_flat_workgroup_size: 256
    .name:           _ZN7rocprim17ROCPRIM_400000_NS6detail17trampoline_kernelINS0_14default_configENS1_20scan_config_selectorIfEEZZNS1_9scan_implILNS1_25lookback_scan_determinismE0ELb0ELb0ES3_N6thrust23THRUST_200600_302600_NS6detail15normal_iteratorINS9_10device_ptrIfEEEENSB_INSC_IiEEEEfNS9_4plusIvEEfEEDaPvRmT3_T4_T5_mT6_P12ihipStream_tbENKUlT_T0_E_clISt17integral_constantIbLb0EESW_EEDaSR_SS_EUlSR_E_NS1_11comp_targetILNS1_3genE9ELNS1_11target_archE1100ELNS1_3gpuE3ELNS1_3repE0EEENS1_30default_config_static_selectorELNS0_4arch9wavefront6targetE1EEEvT1_
    .private_segment_fixed_size: 0
    .sgpr_count:     4
    .sgpr_spill_count: 0
    .symbol:         _ZN7rocprim17ROCPRIM_400000_NS6detail17trampoline_kernelINS0_14default_configENS1_20scan_config_selectorIfEEZZNS1_9scan_implILNS1_25lookback_scan_determinismE0ELb0ELb0ES3_N6thrust23THRUST_200600_302600_NS6detail15normal_iteratorINS9_10device_ptrIfEEEENSB_INSC_IiEEEEfNS9_4plusIvEEfEEDaPvRmT3_T4_T5_mT6_P12ihipStream_tbENKUlT_T0_E_clISt17integral_constantIbLb0EESW_EEDaSR_SS_EUlSR_E_NS1_11comp_targetILNS1_3genE9ELNS1_11target_archE1100ELNS1_3gpuE3ELNS1_3repE0EEENS1_30default_config_static_selectorELNS0_4arch9wavefront6targetE1EEEvT1_.kd
    .uniform_work_group_size: 1
    .uses_dynamic_stack: false
    .vgpr_count:     0
    .vgpr_spill_count: 0
    .wavefront_size: 64
  - .agpr_count:     0
    .args:
      - .offset:         0
        .size:           96
        .value_kind:     by_value
    .group_segment_fixed_size: 0
    .kernarg_segment_align: 8
    .kernarg_segment_size: 96
    .language:       OpenCL C
    .language_version:
      - 2
      - 0
    .max_flat_workgroup_size: 64
    .name:           _ZN7rocprim17ROCPRIM_400000_NS6detail17trampoline_kernelINS0_14default_configENS1_20scan_config_selectorIfEEZZNS1_9scan_implILNS1_25lookback_scan_determinismE0ELb0ELb0ES3_N6thrust23THRUST_200600_302600_NS6detail15normal_iteratorINS9_10device_ptrIfEEEENSB_INSC_IiEEEEfNS9_4plusIvEEfEEDaPvRmT3_T4_T5_mT6_P12ihipStream_tbENKUlT_T0_E_clISt17integral_constantIbLb0EESW_EEDaSR_SS_EUlSR_E_NS1_11comp_targetILNS1_3genE8ELNS1_11target_archE1030ELNS1_3gpuE2ELNS1_3repE0EEENS1_30default_config_static_selectorELNS0_4arch9wavefront6targetE1EEEvT1_
    .private_segment_fixed_size: 0
    .sgpr_count:     4
    .sgpr_spill_count: 0
    .symbol:         _ZN7rocprim17ROCPRIM_400000_NS6detail17trampoline_kernelINS0_14default_configENS1_20scan_config_selectorIfEEZZNS1_9scan_implILNS1_25lookback_scan_determinismE0ELb0ELb0ES3_N6thrust23THRUST_200600_302600_NS6detail15normal_iteratorINS9_10device_ptrIfEEEENSB_INSC_IiEEEEfNS9_4plusIvEEfEEDaPvRmT3_T4_T5_mT6_P12ihipStream_tbENKUlT_T0_E_clISt17integral_constantIbLb0EESW_EEDaSR_SS_EUlSR_E_NS1_11comp_targetILNS1_3genE8ELNS1_11target_archE1030ELNS1_3gpuE2ELNS1_3repE0EEENS1_30default_config_static_selectorELNS0_4arch9wavefront6targetE1EEEvT1_.kd
    .uniform_work_group_size: 1
    .uses_dynamic_stack: false
    .vgpr_count:     0
    .vgpr_spill_count: 0
    .wavefront_size: 64
  - .agpr_count:     0
    .args:
      - .offset:         0
        .size:           40
        .value_kind:     by_value
    .group_segment_fixed_size: 0
    .kernarg_segment_align: 8
    .kernarg_segment_size: 40
    .language:       OpenCL C
    .language_version:
      - 2
      - 0
    .max_flat_workgroup_size: 128
    .name:           _ZN7rocprim17ROCPRIM_400000_NS6detail17trampoline_kernelINS0_14default_configENS1_25transform_config_selectorIfLb1EEEZNS1_14transform_implILb1ES3_S5_PfS7_NS0_8identityIfEEEE10hipError_tT2_T3_mT4_P12ihipStream_tbEUlT_E_NS1_11comp_targetILNS1_3genE0ELNS1_11target_archE4294967295ELNS1_3gpuE0ELNS1_3repE0EEENS1_30default_config_static_selectorELNS0_4arch9wavefront6targetE1EEEvT1_
    .private_segment_fixed_size: 0
    .sgpr_count:     4
    .sgpr_spill_count: 0
    .symbol:         _ZN7rocprim17ROCPRIM_400000_NS6detail17trampoline_kernelINS0_14default_configENS1_25transform_config_selectorIfLb1EEEZNS1_14transform_implILb1ES3_S5_PfS7_NS0_8identityIfEEEE10hipError_tT2_T3_mT4_P12ihipStream_tbEUlT_E_NS1_11comp_targetILNS1_3genE0ELNS1_11target_archE4294967295ELNS1_3gpuE0ELNS1_3repE0EEENS1_30default_config_static_selectorELNS0_4arch9wavefront6targetE1EEEvT1_.kd
    .uniform_work_group_size: 1
    .uses_dynamic_stack: false
    .vgpr_count:     0
    .vgpr_spill_count: 0
    .wavefront_size: 64
  - .agpr_count:     0
    .args:
      - .offset:         0
        .size:           40
        .value_kind:     by_value
    .group_segment_fixed_size: 0
    .kernarg_segment_align: 8
    .kernarg_segment_size: 40
    .language:       OpenCL C
    .language_version:
      - 2
      - 0
    .max_flat_workgroup_size: 1024
    .name:           _ZN7rocprim17ROCPRIM_400000_NS6detail17trampoline_kernelINS0_14default_configENS1_25transform_config_selectorIfLb1EEEZNS1_14transform_implILb1ES3_S5_PfS7_NS0_8identityIfEEEE10hipError_tT2_T3_mT4_P12ihipStream_tbEUlT_E_NS1_11comp_targetILNS1_3genE10ELNS1_11target_archE1201ELNS1_3gpuE5ELNS1_3repE0EEENS1_30default_config_static_selectorELNS0_4arch9wavefront6targetE1EEEvT1_
    .private_segment_fixed_size: 0
    .sgpr_count:     4
    .sgpr_spill_count: 0
    .symbol:         _ZN7rocprim17ROCPRIM_400000_NS6detail17trampoline_kernelINS0_14default_configENS1_25transform_config_selectorIfLb1EEEZNS1_14transform_implILb1ES3_S5_PfS7_NS0_8identityIfEEEE10hipError_tT2_T3_mT4_P12ihipStream_tbEUlT_E_NS1_11comp_targetILNS1_3genE10ELNS1_11target_archE1201ELNS1_3gpuE5ELNS1_3repE0EEENS1_30default_config_static_selectorELNS0_4arch9wavefront6targetE1EEEvT1_.kd
    .uniform_work_group_size: 1
    .uses_dynamic_stack: false
    .vgpr_count:     0
    .vgpr_spill_count: 0
    .wavefront_size: 64
  - .agpr_count:     0
    .args:
      - .offset:         0
        .size:           40
        .value_kind:     by_value
    .group_segment_fixed_size: 0
    .kernarg_segment_align: 8
    .kernarg_segment_size: 40
    .language:       OpenCL C
    .language_version:
      - 2
      - 0
    .max_flat_workgroup_size: 256
    .name:           _ZN7rocprim17ROCPRIM_400000_NS6detail17trampoline_kernelINS0_14default_configENS1_25transform_config_selectorIfLb1EEEZNS1_14transform_implILb1ES3_S5_PfS7_NS0_8identityIfEEEE10hipError_tT2_T3_mT4_P12ihipStream_tbEUlT_E_NS1_11comp_targetILNS1_3genE5ELNS1_11target_archE942ELNS1_3gpuE9ELNS1_3repE0EEENS1_30default_config_static_selectorELNS0_4arch9wavefront6targetE1EEEvT1_
    .private_segment_fixed_size: 0
    .sgpr_count:     4
    .sgpr_spill_count: 0
    .symbol:         _ZN7rocprim17ROCPRIM_400000_NS6detail17trampoline_kernelINS0_14default_configENS1_25transform_config_selectorIfLb1EEEZNS1_14transform_implILb1ES3_S5_PfS7_NS0_8identityIfEEEE10hipError_tT2_T3_mT4_P12ihipStream_tbEUlT_E_NS1_11comp_targetILNS1_3genE5ELNS1_11target_archE942ELNS1_3gpuE9ELNS1_3repE0EEENS1_30default_config_static_selectorELNS0_4arch9wavefront6targetE1EEEvT1_.kd
    .uniform_work_group_size: 1
    .uses_dynamic_stack: false
    .vgpr_count:     0
    .vgpr_spill_count: 0
    .wavefront_size: 64
  - .agpr_count:     0
    .args:
      - .offset:         0
        .size:           40
        .value_kind:     by_value
      - .offset:         40
        .size:           4
        .value_kind:     hidden_block_count_x
      - .offset:         44
        .size:           4
        .value_kind:     hidden_block_count_y
      - .offset:         48
        .size:           4
        .value_kind:     hidden_block_count_z
      - .offset:         52
        .size:           2
        .value_kind:     hidden_group_size_x
      - .offset:         54
        .size:           2
        .value_kind:     hidden_group_size_y
      - .offset:         56
        .size:           2
        .value_kind:     hidden_group_size_z
      - .offset:         58
        .size:           2
        .value_kind:     hidden_remainder_x
      - .offset:         60
        .size:           2
        .value_kind:     hidden_remainder_y
      - .offset:         62
        .size:           2
        .value_kind:     hidden_remainder_z
      - .offset:         80
        .size:           8
        .value_kind:     hidden_global_offset_x
      - .offset:         88
        .size:           8
        .value_kind:     hidden_global_offset_y
      - .offset:         96
        .size:           8
        .value_kind:     hidden_global_offset_z
      - .offset:         104
        .size:           2
        .value_kind:     hidden_grid_dims
    .group_segment_fixed_size: 0
    .kernarg_segment_align: 8
    .kernarg_segment_size: 296
    .language:       OpenCL C
    .language_version:
      - 2
      - 0
    .max_flat_workgroup_size: 1024
    .name:           _ZN7rocprim17ROCPRIM_400000_NS6detail17trampoline_kernelINS0_14default_configENS1_25transform_config_selectorIfLb1EEEZNS1_14transform_implILb1ES3_S5_PfS7_NS0_8identityIfEEEE10hipError_tT2_T3_mT4_P12ihipStream_tbEUlT_E_NS1_11comp_targetILNS1_3genE4ELNS1_11target_archE910ELNS1_3gpuE8ELNS1_3repE0EEENS1_30default_config_static_selectorELNS0_4arch9wavefront6targetE1EEEvT1_
    .private_segment_fixed_size: 0
    .sgpr_count:     20
    .sgpr_spill_count: 0
    .symbol:         _ZN7rocprim17ROCPRIM_400000_NS6detail17trampoline_kernelINS0_14default_configENS1_25transform_config_selectorIfLb1EEEZNS1_14transform_implILb1ES3_S5_PfS7_NS0_8identityIfEEEE10hipError_tT2_T3_mT4_P12ihipStream_tbEUlT_E_NS1_11comp_targetILNS1_3genE4ELNS1_11target_archE910ELNS1_3gpuE8ELNS1_3repE0EEENS1_30default_config_static_selectorELNS0_4arch9wavefront6targetE1EEEvT1_.kd
    .uniform_work_group_size: 1
    .uses_dynamic_stack: false
    .vgpr_count:     8
    .vgpr_spill_count: 0
    .wavefront_size: 64
  - .agpr_count:     0
    .args:
      - .offset:         0
        .size:           40
        .value_kind:     by_value
    .group_segment_fixed_size: 0
    .kernarg_segment_align: 8
    .kernarg_segment_size: 40
    .language:       OpenCL C
    .language_version:
      - 2
      - 0
    .max_flat_workgroup_size: 128
    .name:           _ZN7rocprim17ROCPRIM_400000_NS6detail17trampoline_kernelINS0_14default_configENS1_25transform_config_selectorIfLb1EEEZNS1_14transform_implILb1ES3_S5_PfS7_NS0_8identityIfEEEE10hipError_tT2_T3_mT4_P12ihipStream_tbEUlT_E_NS1_11comp_targetILNS1_3genE3ELNS1_11target_archE908ELNS1_3gpuE7ELNS1_3repE0EEENS1_30default_config_static_selectorELNS0_4arch9wavefront6targetE1EEEvT1_
    .private_segment_fixed_size: 0
    .sgpr_count:     4
    .sgpr_spill_count: 0
    .symbol:         _ZN7rocprim17ROCPRIM_400000_NS6detail17trampoline_kernelINS0_14default_configENS1_25transform_config_selectorIfLb1EEEZNS1_14transform_implILb1ES3_S5_PfS7_NS0_8identityIfEEEE10hipError_tT2_T3_mT4_P12ihipStream_tbEUlT_E_NS1_11comp_targetILNS1_3genE3ELNS1_11target_archE908ELNS1_3gpuE7ELNS1_3repE0EEENS1_30default_config_static_selectorELNS0_4arch9wavefront6targetE1EEEvT1_.kd
    .uniform_work_group_size: 1
    .uses_dynamic_stack: false
    .vgpr_count:     0
    .vgpr_spill_count: 0
    .wavefront_size: 64
  - .agpr_count:     0
    .args:
      - .offset:         0
        .size:           40
        .value_kind:     by_value
    .group_segment_fixed_size: 0
    .kernarg_segment_align: 8
    .kernarg_segment_size: 40
    .language:       OpenCL C
    .language_version:
      - 2
      - 0
    .max_flat_workgroup_size: 1024
    .name:           _ZN7rocprim17ROCPRIM_400000_NS6detail17trampoline_kernelINS0_14default_configENS1_25transform_config_selectorIfLb1EEEZNS1_14transform_implILb1ES3_S5_PfS7_NS0_8identityIfEEEE10hipError_tT2_T3_mT4_P12ihipStream_tbEUlT_E_NS1_11comp_targetILNS1_3genE2ELNS1_11target_archE906ELNS1_3gpuE6ELNS1_3repE0EEENS1_30default_config_static_selectorELNS0_4arch9wavefront6targetE1EEEvT1_
    .private_segment_fixed_size: 0
    .sgpr_count:     4
    .sgpr_spill_count: 0
    .symbol:         _ZN7rocprim17ROCPRIM_400000_NS6detail17trampoline_kernelINS0_14default_configENS1_25transform_config_selectorIfLb1EEEZNS1_14transform_implILb1ES3_S5_PfS7_NS0_8identityIfEEEE10hipError_tT2_T3_mT4_P12ihipStream_tbEUlT_E_NS1_11comp_targetILNS1_3genE2ELNS1_11target_archE906ELNS1_3gpuE6ELNS1_3repE0EEENS1_30default_config_static_selectorELNS0_4arch9wavefront6targetE1EEEvT1_.kd
    .uniform_work_group_size: 1
    .uses_dynamic_stack: false
    .vgpr_count:     0
    .vgpr_spill_count: 0
    .wavefront_size: 64
  - .agpr_count:     0
    .args:
      - .offset:         0
        .size:           40
        .value_kind:     by_value
    .group_segment_fixed_size: 0
    .kernarg_segment_align: 8
    .kernarg_segment_size: 40
    .language:       OpenCL C
    .language_version:
      - 2
      - 0
    .max_flat_workgroup_size: 1024
    .name:           _ZN7rocprim17ROCPRIM_400000_NS6detail17trampoline_kernelINS0_14default_configENS1_25transform_config_selectorIfLb1EEEZNS1_14transform_implILb1ES3_S5_PfS7_NS0_8identityIfEEEE10hipError_tT2_T3_mT4_P12ihipStream_tbEUlT_E_NS1_11comp_targetILNS1_3genE9ELNS1_11target_archE1100ELNS1_3gpuE3ELNS1_3repE0EEENS1_30default_config_static_selectorELNS0_4arch9wavefront6targetE1EEEvT1_
    .private_segment_fixed_size: 0
    .sgpr_count:     4
    .sgpr_spill_count: 0
    .symbol:         _ZN7rocprim17ROCPRIM_400000_NS6detail17trampoline_kernelINS0_14default_configENS1_25transform_config_selectorIfLb1EEEZNS1_14transform_implILb1ES3_S5_PfS7_NS0_8identityIfEEEE10hipError_tT2_T3_mT4_P12ihipStream_tbEUlT_E_NS1_11comp_targetILNS1_3genE9ELNS1_11target_archE1100ELNS1_3gpuE3ELNS1_3repE0EEENS1_30default_config_static_selectorELNS0_4arch9wavefront6targetE1EEEvT1_.kd
    .uniform_work_group_size: 1
    .uses_dynamic_stack: false
    .vgpr_count:     0
    .vgpr_spill_count: 0
    .wavefront_size: 64
  - .agpr_count:     0
    .args:
      - .offset:         0
        .size:           40
        .value_kind:     by_value
    .group_segment_fixed_size: 0
    .kernarg_segment_align: 8
    .kernarg_segment_size: 40
    .language:       OpenCL C
    .language_version:
      - 2
      - 0
    .max_flat_workgroup_size: 1024
    .name:           _ZN7rocprim17ROCPRIM_400000_NS6detail17trampoline_kernelINS0_14default_configENS1_25transform_config_selectorIfLb1EEEZNS1_14transform_implILb1ES3_S5_PfS7_NS0_8identityIfEEEE10hipError_tT2_T3_mT4_P12ihipStream_tbEUlT_E_NS1_11comp_targetILNS1_3genE8ELNS1_11target_archE1030ELNS1_3gpuE2ELNS1_3repE0EEENS1_30default_config_static_selectorELNS0_4arch9wavefront6targetE1EEEvT1_
    .private_segment_fixed_size: 0
    .sgpr_count:     4
    .sgpr_spill_count: 0
    .symbol:         _ZN7rocprim17ROCPRIM_400000_NS6detail17trampoline_kernelINS0_14default_configENS1_25transform_config_selectorIfLb1EEEZNS1_14transform_implILb1ES3_S5_PfS7_NS0_8identityIfEEEE10hipError_tT2_T3_mT4_P12ihipStream_tbEUlT_E_NS1_11comp_targetILNS1_3genE8ELNS1_11target_archE1030ELNS1_3gpuE2ELNS1_3repE0EEENS1_30default_config_static_selectorELNS0_4arch9wavefront6targetE1EEEvT1_.kd
    .uniform_work_group_size: 1
    .uses_dynamic_stack: false
    .vgpr_count:     0
    .vgpr_spill_count: 0
    .wavefront_size: 64
  - .agpr_count:     0
    .args:
      - .offset:         0
        .size:           32
        .value_kind:     by_value
    .group_segment_fixed_size: 0
    .kernarg_segment_align: 8
    .kernarg_segment_size: 32
    .language:       OpenCL C
    .language_version:
      - 2
      - 0
    .max_flat_workgroup_size: 256
    .name:           _ZN7rocprim17ROCPRIM_400000_NS6detail17trampoline_kernelINS0_14default_configENS1_20scan_config_selectorIfEEZZNS1_9scan_implILNS1_25lookback_scan_determinismE0ELb0ELb0ES3_N6thrust23THRUST_200600_302600_NS6detail15normal_iteratorINS9_10device_ptrIfEEEENSB_INSC_IiEEEEfNS9_4plusIvEEfEEDaPvRmT3_T4_T5_mT6_P12ihipStream_tbENKUlT_T0_E_clISt17integral_constantIbLb0EESW_EEDaSR_SS_EUlSR_E0_NS1_11comp_targetILNS1_3genE0ELNS1_11target_archE4294967295ELNS1_3gpuE0ELNS1_3repE0EEENS1_30default_config_static_selectorELNS0_4arch9wavefront6targetE1EEEvT1_
    .private_segment_fixed_size: 0
    .sgpr_count:     4
    .sgpr_spill_count: 0
    .symbol:         _ZN7rocprim17ROCPRIM_400000_NS6detail17trampoline_kernelINS0_14default_configENS1_20scan_config_selectorIfEEZZNS1_9scan_implILNS1_25lookback_scan_determinismE0ELb0ELb0ES3_N6thrust23THRUST_200600_302600_NS6detail15normal_iteratorINS9_10device_ptrIfEEEENSB_INSC_IiEEEEfNS9_4plusIvEEfEEDaPvRmT3_T4_T5_mT6_P12ihipStream_tbENKUlT_T0_E_clISt17integral_constantIbLb0EESW_EEDaSR_SS_EUlSR_E0_NS1_11comp_targetILNS1_3genE0ELNS1_11target_archE4294967295ELNS1_3gpuE0ELNS1_3repE0EEENS1_30default_config_static_selectorELNS0_4arch9wavefront6targetE1EEEvT1_.kd
    .uniform_work_group_size: 1
    .uses_dynamic_stack: false
    .vgpr_count:     0
    .vgpr_spill_count: 0
    .wavefront_size: 64
  - .agpr_count:     0
    .args:
      - .offset:         0
        .size:           32
        .value_kind:     by_value
    .group_segment_fixed_size: 0
    .kernarg_segment_align: 8
    .kernarg_segment_size: 32
    .language:       OpenCL C
    .language_version:
      - 2
      - 0
    .max_flat_workgroup_size: 256
    .name:           _ZN7rocprim17ROCPRIM_400000_NS6detail17trampoline_kernelINS0_14default_configENS1_20scan_config_selectorIfEEZZNS1_9scan_implILNS1_25lookback_scan_determinismE0ELb0ELb0ES3_N6thrust23THRUST_200600_302600_NS6detail15normal_iteratorINS9_10device_ptrIfEEEENSB_INSC_IiEEEEfNS9_4plusIvEEfEEDaPvRmT3_T4_T5_mT6_P12ihipStream_tbENKUlT_T0_E_clISt17integral_constantIbLb0EESW_EEDaSR_SS_EUlSR_E0_NS1_11comp_targetILNS1_3genE5ELNS1_11target_archE942ELNS1_3gpuE9ELNS1_3repE0EEENS1_30default_config_static_selectorELNS0_4arch9wavefront6targetE1EEEvT1_
    .private_segment_fixed_size: 0
    .sgpr_count:     4
    .sgpr_spill_count: 0
    .symbol:         _ZN7rocprim17ROCPRIM_400000_NS6detail17trampoline_kernelINS0_14default_configENS1_20scan_config_selectorIfEEZZNS1_9scan_implILNS1_25lookback_scan_determinismE0ELb0ELb0ES3_N6thrust23THRUST_200600_302600_NS6detail15normal_iteratorINS9_10device_ptrIfEEEENSB_INSC_IiEEEEfNS9_4plusIvEEfEEDaPvRmT3_T4_T5_mT6_P12ihipStream_tbENKUlT_T0_E_clISt17integral_constantIbLb0EESW_EEDaSR_SS_EUlSR_E0_NS1_11comp_targetILNS1_3genE5ELNS1_11target_archE942ELNS1_3gpuE9ELNS1_3repE0EEENS1_30default_config_static_selectorELNS0_4arch9wavefront6targetE1EEEvT1_.kd
    .uniform_work_group_size: 1
    .uses_dynamic_stack: false
    .vgpr_count:     0
    .vgpr_spill_count: 0
    .wavefront_size: 64
  - .agpr_count:     0
    .args:
      - .offset:         0
        .size:           32
        .value_kind:     by_value
    .group_segment_fixed_size: 7168
    .kernarg_segment_align: 8
    .kernarg_segment_size: 32
    .language:       OpenCL C
    .language_version:
      - 2
      - 0
    .max_flat_workgroup_size: 128
    .name:           _ZN7rocprim17ROCPRIM_400000_NS6detail17trampoline_kernelINS0_14default_configENS1_20scan_config_selectorIfEEZZNS1_9scan_implILNS1_25lookback_scan_determinismE0ELb0ELb0ES3_N6thrust23THRUST_200600_302600_NS6detail15normal_iteratorINS9_10device_ptrIfEEEENSB_INSC_IiEEEEfNS9_4plusIvEEfEEDaPvRmT3_T4_T5_mT6_P12ihipStream_tbENKUlT_T0_E_clISt17integral_constantIbLb0EESW_EEDaSR_SS_EUlSR_E0_NS1_11comp_targetILNS1_3genE4ELNS1_11target_archE910ELNS1_3gpuE8ELNS1_3repE0EEENS1_30default_config_static_selectorELNS0_4arch9wavefront6targetE1EEEvT1_
    .private_segment_fixed_size: 0
    .sgpr_count:     42
    .sgpr_spill_count: 0
    .symbol:         _ZN7rocprim17ROCPRIM_400000_NS6detail17trampoline_kernelINS0_14default_configENS1_20scan_config_selectorIfEEZZNS1_9scan_implILNS1_25lookback_scan_determinismE0ELb0ELb0ES3_N6thrust23THRUST_200600_302600_NS6detail15normal_iteratorINS9_10device_ptrIfEEEENSB_INSC_IiEEEEfNS9_4plusIvEEfEEDaPvRmT3_T4_T5_mT6_P12ihipStream_tbENKUlT_T0_E_clISt17integral_constantIbLb0EESW_EEDaSR_SS_EUlSR_E0_NS1_11comp_targetILNS1_3genE4ELNS1_11target_archE910ELNS1_3gpuE8ELNS1_3repE0EEENS1_30default_config_static_selectorELNS0_4arch9wavefront6targetE1EEEvT1_.kd
    .uniform_work_group_size: 1
    .uses_dynamic_stack: false
    .vgpr_count:     37
    .vgpr_spill_count: 0
    .wavefront_size: 64
  - .agpr_count:     0
    .args:
      - .offset:         0
        .size:           32
        .value_kind:     by_value
    .group_segment_fixed_size: 0
    .kernarg_segment_align: 8
    .kernarg_segment_size: 32
    .language:       OpenCL C
    .language_version:
      - 2
      - 0
    .max_flat_workgroup_size: 256
    .name:           _ZN7rocprim17ROCPRIM_400000_NS6detail17trampoline_kernelINS0_14default_configENS1_20scan_config_selectorIfEEZZNS1_9scan_implILNS1_25lookback_scan_determinismE0ELb0ELb0ES3_N6thrust23THRUST_200600_302600_NS6detail15normal_iteratorINS9_10device_ptrIfEEEENSB_INSC_IiEEEEfNS9_4plusIvEEfEEDaPvRmT3_T4_T5_mT6_P12ihipStream_tbENKUlT_T0_E_clISt17integral_constantIbLb0EESW_EEDaSR_SS_EUlSR_E0_NS1_11comp_targetILNS1_3genE3ELNS1_11target_archE908ELNS1_3gpuE7ELNS1_3repE0EEENS1_30default_config_static_selectorELNS0_4arch9wavefront6targetE1EEEvT1_
    .private_segment_fixed_size: 0
    .sgpr_count:     4
    .sgpr_spill_count: 0
    .symbol:         _ZN7rocprim17ROCPRIM_400000_NS6detail17trampoline_kernelINS0_14default_configENS1_20scan_config_selectorIfEEZZNS1_9scan_implILNS1_25lookback_scan_determinismE0ELb0ELb0ES3_N6thrust23THRUST_200600_302600_NS6detail15normal_iteratorINS9_10device_ptrIfEEEENSB_INSC_IiEEEEfNS9_4plusIvEEfEEDaPvRmT3_T4_T5_mT6_P12ihipStream_tbENKUlT_T0_E_clISt17integral_constantIbLb0EESW_EEDaSR_SS_EUlSR_E0_NS1_11comp_targetILNS1_3genE3ELNS1_11target_archE908ELNS1_3gpuE7ELNS1_3repE0EEENS1_30default_config_static_selectorELNS0_4arch9wavefront6targetE1EEEvT1_.kd
    .uniform_work_group_size: 1
    .uses_dynamic_stack: false
    .vgpr_count:     0
    .vgpr_spill_count: 0
    .wavefront_size: 64
  - .agpr_count:     0
    .args:
      - .offset:         0
        .size:           32
        .value_kind:     by_value
    .group_segment_fixed_size: 0
    .kernarg_segment_align: 8
    .kernarg_segment_size: 32
    .language:       OpenCL C
    .language_version:
      - 2
      - 0
    .max_flat_workgroup_size: 256
    .name:           _ZN7rocprim17ROCPRIM_400000_NS6detail17trampoline_kernelINS0_14default_configENS1_20scan_config_selectorIfEEZZNS1_9scan_implILNS1_25lookback_scan_determinismE0ELb0ELb0ES3_N6thrust23THRUST_200600_302600_NS6detail15normal_iteratorINS9_10device_ptrIfEEEENSB_INSC_IiEEEEfNS9_4plusIvEEfEEDaPvRmT3_T4_T5_mT6_P12ihipStream_tbENKUlT_T0_E_clISt17integral_constantIbLb0EESW_EEDaSR_SS_EUlSR_E0_NS1_11comp_targetILNS1_3genE2ELNS1_11target_archE906ELNS1_3gpuE6ELNS1_3repE0EEENS1_30default_config_static_selectorELNS0_4arch9wavefront6targetE1EEEvT1_
    .private_segment_fixed_size: 0
    .sgpr_count:     4
    .sgpr_spill_count: 0
    .symbol:         _ZN7rocprim17ROCPRIM_400000_NS6detail17trampoline_kernelINS0_14default_configENS1_20scan_config_selectorIfEEZZNS1_9scan_implILNS1_25lookback_scan_determinismE0ELb0ELb0ES3_N6thrust23THRUST_200600_302600_NS6detail15normal_iteratorINS9_10device_ptrIfEEEENSB_INSC_IiEEEEfNS9_4plusIvEEfEEDaPvRmT3_T4_T5_mT6_P12ihipStream_tbENKUlT_T0_E_clISt17integral_constantIbLb0EESW_EEDaSR_SS_EUlSR_E0_NS1_11comp_targetILNS1_3genE2ELNS1_11target_archE906ELNS1_3gpuE6ELNS1_3repE0EEENS1_30default_config_static_selectorELNS0_4arch9wavefront6targetE1EEEvT1_.kd
    .uniform_work_group_size: 1
    .uses_dynamic_stack: false
    .vgpr_count:     0
    .vgpr_spill_count: 0
    .wavefront_size: 64
  - .agpr_count:     0
    .args:
      - .offset:         0
        .size:           32
        .value_kind:     by_value
    .group_segment_fixed_size: 0
    .kernarg_segment_align: 8
    .kernarg_segment_size: 32
    .language:       OpenCL C
    .language_version:
      - 2
      - 0
    .max_flat_workgroup_size: 256
    .name:           _ZN7rocprim17ROCPRIM_400000_NS6detail17trampoline_kernelINS0_14default_configENS1_20scan_config_selectorIfEEZZNS1_9scan_implILNS1_25lookback_scan_determinismE0ELb0ELb0ES3_N6thrust23THRUST_200600_302600_NS6detail15normal_iteratorINS9_10device_ptrIfEEEENSB_INSC_IiEEEEfNS9_4plusIvEEfEEDaPvRmT3_T4_T5_mT6_P12ihipStream_tbENKUlT_T0_E_clISt17integral_constantIbLb0EESW_EEDaSR_SS_EUlSR_E0_NS1_11comp_targetILNS1_3genE10ELNS1_11target_archE1201ELNS1_3gpuE5ELNS1_3repE0EEENS1_30default_config_static_selectorELNS0_4arch9wavefront6targetE1EEEvT1_
    .private_segment_fixed_size: 0
    .sgpr_count:     4
    .sgpr_spill_count: 0
    .symbol:         _ZN7rocprim17ROCPRIM_400000_NS6detail17trampoline_kernelINS0_14default_configENS1_20scan_config_selectorIfEEZZNS1_9scan_implILNS1_25lookback_scan_determinismE0ELb0ELb0ES3_N6thrust23THRUST_200600_302600_NS6detail15normal_iteratorINS9_10device_ptrIfEEEENSB_INSC_IiEEEEfNS9_4plusIvEEfEEDaPvRmT3_T4_T5_mT6_P12ihipStream_tbENKUlT_T0_E_clISt17integral_constantIbLb0EESW_EEDaSR_SS_EUlSR_E0_NS1_11comp_targetILNS1_3genE10ELNS1_11target_archE1201ELNS1_3gpuE5ELNS1_3repE0EEENS1_30default_config_static_selectorELNS0_4arch9wavefront6targetE1EEEvT1_.kd
    .uniform_work_group_size: 1
    .uses_dynamic_stack: false
    .vgpr_count:     0
    .vgpr_spill_count: 0
    .wavefront_size: 64
  - .agpr_count:     0
    .args:
      - .offset:         0
        .size:           32
        .value_kind:     by_value
    .group_segment_fixed_size: 0
    .kernarg_segment_align: 8
    .kernarg_segment_size: 32
    .language:       OpenCL C
    .language_version:
      - 2
      - 0
    .max_flat_workgroup_size: 256
    .name:           _ZN7rocprim17ROCPRIM_400000_NS6detail17trampoline_kernelINS0_14default_configENS1_20scan_config_selectorIfEEZZNS1_9scan_implILNS1_25lookback_scan_determinismE0ELb0ELb0ES3_N6thrust23THRUST_200600_302600_NS6detail15normal_iteratorINS9_10device_ptrIfEEEENSB_INSC_IiEEEEfNS9_4plusIvEEfEEDaPvRmT3_T4_T5_mT6_P12ihipStream_tbENKUlT_T0_E_clISt17integral_constantIbLb0EESW_EEDaSR_SS_EUlSR_E0_NS1_11comp_targetILNS1_3genE10ELNS1_11target_archE1200ELNS1_3gpuE4ELNS1_3repE0EEENS1_30default_config_static_selectorELNS0_4arch9wavefront6targetE1EEEvT1_
    .private_segment_fixed_size: 0
    .sgpr_count:     4
    .sgpr_spill_count: 0
    .symbol:         _ZN7rocprim17ROCPRIM_400000_NS6detail17trampoline_kernelINS0_14default_configENS1_20scan_config_selectorIfEEZZNS1_9scan_implILNS1_25lookback_scan_determinismE0ELb0ELb0ES3_N6thrust23THRUST_200600_302600_NS6detail15normal_iteratorINS9_10device_ptrIfEEEENSB_INSC_IiEEEEfNS9_4plusIvEEfEEDaPvRmT3_T4_T5_mT6_P12ihipStream_tbENKUlT_T0_E_clISt17integral_constantIbLb0EESW_EEDaSR_SS_EUlSR_E0_NS1_11comp_targetILNS1_3genE10ELNS1_11target_archE1200ELNS1_3gpuE4ELNS1_3repE0EEENS1_30default_config_static_selectorELNS0_4arch9wavefront6targetE1EEEvT1_.kd
    .uniform_work_group_size: 1
    .uses_dynamic_stack: false
    .vgpr_count:     0
    .vgpr_spill_count: 0
    .wavefront_size: 64
  - .agpr_count:     0
    .args:
      - .offset:         0
        .size:           32
        .value_kind:     by_value
    .group_segment_fixed_size: 0
    .kernarg_segment_align: 8
    .kernarg_segment_size: 32
    .language:       OpenCL C
    .language_version:
      - 2
      - 0
    .max_flat_workgroup_size: 256
    .name:           _ZN7rocprim17ROCPRIM_400000_NS6detail17trampoline_kernelINS0_14default_configENS1_20scan_config_selectorIfEEZZNS1_9scan_implILNS1_25lookback_scan_determinismE0ELb0ELb0ES3_N6thrust23THRUST_200600_302600_NS6detail15normal_iteratorINS9_10device_ptrIfEEEENSB_INSC_IiEEEEfNS9_4plusIvEEfEEDaPvRmT3_T4_T5_mT6_P12ihipStream_tbENKUlT_T0_E_clISt17integral_constantIbLb0EESW_EEDaSR_SS_EUlSR_E0_NS1_11comp_targetILNS1_3genE9ELNS1_11target_archE1100ELNS1_3gpuE3ELNS1_3repE0EEENS1_30default_config_static_selectorELNS0_4arch9wavefront6targetE1EEEvT1_
    .private_segment_fixed_size: 0
    .sgpr_count:     4
    .sgpr_spill_count: 0
    .symbol:         _ZN7rocprim17ROCPRIM_400000_NS6detail17trampoline_kernelINS0_14default_configENS1_20scan_config_selectorIfEEZZNS1_9scan_implILNS1_25lookback_scan_determinismE0ELb0ELb0ES3_N6thrust23THRUST_200600_302600_NS6detail15normal_iteratorINS9_10device_ptrIfEEEENSB_INSC_IiEEEEfNS9_4plusIvEEfEEDaPvRmT3_T4_T5_mT6_P12ihipStream_tbENKUlT_T0_E_clISt17integral_constantIbLb0EESW_EEDaSR_SS_EUlSR_E0_NS1_11comp_targetILNS1_3genE9ELNS1_11target_archE1100ELNS1_3gpuE3ELNS1_3repE0EEENS1_30default_config_static_selectorELNS0_4arch9wavefront6targetE1EEEvT1_.kd
    .uniform_work_group_size: 1
    .uses_dynamic_stack: false
    .vgpr_count:     0
    .vgpr_spill_count: 0
    .wavefront_size: 64
  - .agpr_count:     0
    .args:
      - .offset:         0
        .size:           32
        .value_kind:     by_value
    .group_segment_fixed_size: 0
    .kernarg_segment_align: 8
    .kernarg_segment_size: 32
    .language:       OpenCL C
    .language_version:
      - 2
      - 0
    .max_flat_workgroup_size: 64
    .name:           _ZN7rocprim17ROCPRIM_400000_NS6detail17trampoline_kernelINS0_14default_configENS1_20scan_config_selectorIfEEZZNS1_9scan_implILNS1_25lookback_scan_determinismE0ELb0ELb0ES3_N6thrust23THRUST_200600_302600_NS6detail15normal_iteratorINS9_10device_ptrIfEEEENSB_INSC_IiEEEEfNS9_4plusIvEEfEEDaPvRmT3_T4_T5_mT6_P12ihipStream_tbENKUlT_T0_E_clISt17integral_constantIbLb0EESW_EEDaSR_SS_EUlSR_E0_NS1_11comp_targetILNS1_3genE8ELNS1_11target_archE1030ELNS1_3gpuE2ELNS1_3repE0EEENS1_30default_config_static_selectorELNS0_4arch9wavefront6targetE1EEEvT1_
    .private_segment_fixed_size: 0
    .sgpr_count:     4
    .sgpr_spill_count: 0
    .symbol:         _ZN7rocprim17ROCPRIM_400000_NS6detail17trampoline_kernelINS0_14default_configENS1_20scan_config_selectorIfEEZZNS1_9scan_implILNS1_25lookback_scan_determinismE0ELb0ELb0ES3_N6thrust23THRUST_200600_302600_NS6detail15normal_iteratorINS9_10device_ptrIfEEEENSB_INSC_IiEEEEfNS9_4plusIvEEfEEDaPvRmT3_T4_T5_mT6_P12ihipStream_tbENKUlT_T0_E_clISt17integral_constantIbLb0EESW_EEDaSR_SS_EUlSR_E0_NS1_11comp_targetILNS1_3genE8ELNS1_11target_archE1030ELNS1_3gpuE2ELNS1_3repE0EEENS1_30default_config_static_selectorELNS0_4arch9wavefront6targetE1EEEvT1_.kd
    .uniform_work_group_size: 1
    .uses_dynamic_stack: false
    .vgpr_count:     0
    .vgpr_spill_count: 0
    .wavefront_size: 64
  - .agpr_count:     0
    .args:
      - .address_space:  global
        .offset:         0
        .size:           8
        .value_kind:     global_buffer
      - .offset:         8
        .size:           4
        .value_kind:     by_value
      - .address_space:  global
        .offset:         16
        .size:           8
        .value_kind:     global_buffer
      - .offset:         24
        .size:           4
        .value_kind:     by_value
      - .address_space:  global
        .offset:         32
        .size:           8
        .value_kind:     global_buffer
      - .offset:         40
        .size:           4
        .value_kind:     hidden_block_count_x
      - .offset:         44
        .size:           4
        .value_kind:     hidden_block_count_y
      - .offset:         48
        .size:           4
        .value_kind:     hidden_block_count_z
      - .offset:         52
        .size:           2
        .value_kind:     hidden_group_size_x
      - .offset:         54
        .size:           2
        .value_kind:     hidden_group_size_y
      - .offset:         56
        .size:           2
        .value_kind:     hidden_group_size_z
      - .offset:         58
        .size:           2
        .value_kind:     hidden_remainder_x
      - .offset:         60
        .size:           2
        .value_kind:     hidden_remainder_y
      - .offset:         62
        .size:           2
        .value_kind:     hidden_remainder_z
      - .offset:         80
        .size:           8
        .value_kind:     hidden_global_offset_x
      - .offset:         88
        .size:           8
        .value_kind:     hidden_global_offset_y
      - .offset:         96
        .size:           8
        .value_kind:     hidden_global_offset_z
      - .offset:         104
        .size:           2
        .value_kind:     hidden_grid_dims
    .group_segment_fixed_size: 0
    .kernarg_segment_align: 8
    .kernarg_segment_size: 296
    .language:       OpenCL C
    .language_version:
      - 2
      - 0
    .max_flat_workgroup_size: 256
    .name:           _ZN7rocprim17ROCPRIM_400000_NS6detail31init_lookback_scan_state_kernelINS1_19lookback_scan_stateIfLb1ELb1EEENS1_16block_id_wrapperIjLb1EEEEEvT_jT0_jPNS7_10value_typeE
    .private_segment_fixed_size: 0
    .sgpr_count:     18
    .sgpr_spill_count: 0
    .symbol:         _ZN7rocprim17ROCPRIM_400000_NS6detail31init_lookback_scan_state_kernelINS1_19lookback_scan_stateIfLb1ELb1EEENS1_16block_id_wrapperIjLb1EEEEEvT_jT0_jPNS7_10value_typeE.kd
    .uniform_work_group_size: 1
    .uses_dynamic_stack: false
    .vgpr_count:     6
    .vgpr_spill_count: 0
    .wavefront_size: 64
  - .agpr_count:     0
    .args:
      - .offset:         0
        .size:           96
        .value_kind:     by_value
    .group_segment_fixed_size: 0
    .kernarg_segment_align: 8
    .kernarg_segment_size: 96
    .language:       OpenCL C
    .language_version:
      - 2
      - 0
    .max_flat_workgroup_size: 256
    .name:           _ZN7rocprim17ROCPRIM_400000_NS6detail17trampoline_kernelINS0_14default_configENS1_20scan_config_selectorIfEEZZNS1_9scan_implILNS1_25lookback_scan_determinismE0ELb0ELb0ES3_N6thrust23THRUST_200600_302600_NS6detail15normal_iteratorINS9_10device_ptrIfEEEENSB_INSC_IiEEEEfNS9_4plusIvEEfEEDaPvRmT3_T4_T5_mT6_P12ihipStream_tbENKUlT_T0_E_clISt17integral_constantIbLb1EESW_EEDaSR_SS_EUlSR_E_NS1_11comp_targetILNS1_3genE0ELNS1_11target_archE4294967295ELNS1_3gpuE0ELNS1_3repE0EEENS1_30default_config_static_selectorELNS0_4arch9wavefront6targetE1EEEvT1_
    .private_segment_fixed_size: 0
    .sgpr_count:     4
    .sgpr_spill_count: 0
    .symbol:         _ZN7rocprim17ROCPRIM_400000_NS6detail17trampoline_kernelINS0_14default_configENS1_20scan_config_selectorIfEEZZNS1_9scan_implILNS1_25lookback_scan_determinismE0ELb0ELb0ES3_N6thrust23THRUST_200600_302600_NS6detail15normal_iteratorINS9_10device_ptrIfEEEENSB_INSC_IiEEEEfNS9_4plusIvEEfEEDaPvRmT3_T4_T5_mT6_P12ihipStream_tbENKUlT_T0_E_clISt17integral_constantIbLb1EESW_EEDaSR_SS_EUlSR_E_NS1_11comp_targetILNS1_3genE0ELNS1_11target_archE4294967295ELNS1_3gpuE0ELNS1_3repE0EEENS1_30default_config_static_selectorELNS0_4arch9wavefront6targetE1EEEvT1_.kd
    .uniform_work_group_size: 1
    .uses_dynamic_stack: false
    .vgpr_count:     0
    .vgpr_spill_count: 0
    .wavefront_size: 64
  - .agpr_count:     0
    .args:
      - .offset:         0
        .size:           96
        .value_kind:     by_value
    .group_segment_fixed_size: 0
    .kernarg_segment_align: 8
    .kernarg_segment_size: 96
    .language:       OpenCL C
    .language_version:
      - 2
      - 0
    .max_flat_workgroup_size: 256
    .name:           _ZN7rocprim17ROCPRIM_400000_NS6detail17trampoline_kernelINS0_14default_configENS1_20scan_config_selectorIfEEZZNS1_9scan_implILNS1_25lookback_scan_determinismE0ELb0ELb0ES3_N6thrust23THRUST_200600_302600_NS6detail15normal_iteratorINS9_10device_ptrIfEEEENSB_INSC_IiEEEEfNS9_4plusIvEEfEEDaPvRmT3_T4_T5_mT6_P12ihipStream_tbENKUlT_T0_E_clISt17integral_constantIbLb1EESW_EEDaSR_SS_EUlSR_E_NS1_11comp_targetILNS1_3genE5ELNS1_11target_archE942ELNS1_3gpuE9ELNS1_3repE0EEENS1_30default_config_static_selectorELNS0_4arch9wavefront6targetE1EEEvT1_
    .private_segment_fixed_size: 0
    .sgpr_count:     4
    .sgpr_spill_count: 0
    .symbol:         _ZN7rocprim17ROCPRIM_400000_NS6detail17trampoline_kernelINS0_14default_configENS1_20scan_config_selectorIfEEZZNS1_9scan_implILNS1_25lookback_scan_determinismE0ELb0ELb0ES3_N6thrust23THRUST_200600_302600_NS6detail15normal_iteratorINS9_10device_ptrIfEEEENSB_INSC_IiEEEEfNS9_4plusIvEEfEEDaPvRmT3_T4_T5_mT6_P12ihipStream_tbENKUlT_T0_E_clISt17integral_constantIbLb1EESW_EEDaSR_SS_EUlSR_E_NS1_11comp_targetILNS1_3genE5ELNS1_11target_archE942ELNS1_3gpuE9ELNS1_3repE0EEENS1_30default_config_static_selectorELNS0_4arch9wavefront6targetE1EEEvT1_.kd
    .uniform_work_group_size: 1
    .uses_dynamic_stack: false
    .vgpr_count:     0
    .vgpr_spill_count: 0
    .wavefront_size: 64
  - .agpr_count:     0
    .args:
      - .offset:         0
        .size:           96
        .value_kind:     by_value
    .group_segment_fixed_size: 7168
    .kernarg_segment_align: 8
    .kernarg_segment_size: 96
    .language:       OpenCL C
    .language_version:
      - 2
      - 0
    .max_flat_workgroup_size: 128
    .name:           _ZN7rocprim17ROCPRIM_400000_NS6detail17trampoline_kernelINS0_14default_configENS1_20scan_config_selectorIfEEZZNS1_9scan_implILNS1_25lookback_scan_determinismE0ELb0ELb0ES3_N6thrust23THRUST_200600_302600_NS6detail15normal_iteratorINS9_10device_ptrIfEEEENSB_INSC_IiEEEEfNS9_4plusIvEEfEEDaPvRmT3_T4_T5_mT6_P12ihipStream_tbENKUlT_T0_E_clISt17integral_constantIbLb1EESW_EEDaSR_SS_EUlSR_E_NS1_11comp_targetILNS1_3genE4ELNS1_11target_archE910ELNS1_3gpuE8ELNS1_3repE0EEENS1_30default_config_static_selectorELNS0_4arch9wavefront6targetE1EEEvT1_
    .private_segment_fixed_size: 0
    .sgpr_count:     42
    .sgpr_spill_count: 0
    .symbol:         _ZN7rocprim17ROCPRIM_400000_NS6detail17trampoline_kernelINS0_14default_configENS1_20scan_config_selectorIfEEZZNS1_9scan_implILNS1_25lookback_scan_determinismE0ELb0ELb0ES3_N6thrust23THRUST_200600_302600_NS6detail15normal_iteratorINS9_10device_ptrIfEEEENSB_INSC_IiEEEEfNS9_4plusIvEEfEEDaPvRmT3_T4_T5_mT6_P12ihipStream_tbENKUlT_T0_E_clISt17integral_constantIbLb1EESW_EEDaSR_SS_EUlSR_E_NS1_11comp_targetILNS1_3genE4ELNS1_11target_archE910ELNS1_3gpuE8ELNS1_3repE0EEENS1_30default_config_static_selectorELNS0_4arch9wavefront6targetE1EEEvT1_.kd
    .uniform_work_group_size: 1
    .uses_dynamic_stack: false
    .vgpr_count:     48
    .vgpr_spill_count: 0
    .wavefront_size: 64
  - .agpr_count:     0
    .args:
      - .offset:         0
        .size:           96
        .value_kind:     by_value
    .group_segment_fixed_size: 0
    .kernarg_segment_align: 8
    .kernarg_segment_size: 96
    .language:       OpenCL C
    .language_version:
      - 2
      - 0
    .max_flat_workgroup_size: 256
    .name:           _ZN7rocprim17ROCPRIM_400000_NS6detail17trampoline_kernelINS0_14default_configENS1_20scan_config_selectorIfEEZZNS1_9scan_implILNS1_25lookback_scan_determinismE0ELb0ELb0ES3_N6thrust23THRUST_200600_302600_NS6detail15normal_iteratorINS9_10device_ptrIfEEEENSB_INSC_IiEEEEfNS9_4plusIvEEfEEDaPvRmT3_T4_T5_mT6_P12ihipStream_tbENKUlT_T0_E_clISt17integral_constantIbLb1EESW_EEDaSR_SS_EUlSR_E_NS1_11comp_targetILNS1_3genE3ELNS1_11target_archE908ELNS1_3gpuE7ELNS1_3repE0EEENS1_30default_config_static_selectorELNS0_4arch9wavefront6targetE1EEEvT1_
    .private_segment_fixed_size: 0
    .sgpr_count:     4
    .sgpr_spill_count: 0
    .symbol:         _ZN7rocprim17ROCPRIM_400000_NS6detail17trampoline_kernelINS0_14default_configENS1_20scan_config_selectorIfEEZZNS1_9scan_implILNS1_25lookback_scan_determinismE0ELb0ELb0ES3_N6thrust23THRUST_200600_302600_NS6detail15normal_iteratorINS9_10device_ptrIfEEEENSB_INSC_IiEEEEfNS9_4plusIvEEfEEDaPvRmT3_T4_T5_mT6_P12ihipStream_tbENKUlT_T0_E_clISt17integral_constantIbLb1EESW_EEDaSR_SS_EUlSR_E_NS1_11comp_targetILNS1_3genE3ELNS1_11target_archE908ELNS1_3gpuE7ELNS1_3repE0EEENS1_30default_config_static_selectorELNS0_4arch9wavefront6targetE1EEEvT1_.kd
    .uniform_work_group_size: 1
    .uses_dynamic_stack: false
    .vgpr_count:     0
    .vgpr_spill_count: 0
    .wavefront_size: 64
  - .agpr_count:     0
    .args:
      - .offset:         0
        .size:           96
        .value_kind:     by_value
    .group_segment_fixed_size: 0
    .kernarg_segment_align: 8
    .kernarg_segment_size: 96
    .language:       OpenCL C
    .language_version:
      - 2
      - 0
    .max_flat_workgroup_size: 256
    .name:           _ZN7rocprim17ROCPRIM_400000_NS6detail17trampoline_kernelINS0_14default_configENS1_20scan_config_selectorIfEEZZNS1_9scan_implILNS1_25lookback_scan_determinismE0ELb0ELb0ES3_N6thrust23THRUST_200600_302600_NS6detail15normal_iteratorINS9_10device_ptrIfEEEENSB_INSC_IiEEEEfNS9_4plusIvEEfEEDaPvRmT3_T4_T5_mT6_P12ihipStream_tbENKUlT_T0_E_clISt17integral_constantIbLb1EESW_EEDaSR_SS_EUlSR_E_NS1_11comp_targetILNS1_3genE2ELNS1_11target_archE906ELNS1_3gpuE6ELNS1_3repE0EEENS1_30default_config_static_selectorELNS0_4arch9wavefront6targetE1EEEvT1_
    .private_segment_fixed_size: 0
    .sgpr_count:     4
    .sgpr_spill_count: 0
    .symbol:         _ZN7rocprim17ROCPRIM_400000_NS6detail17trampoline_kernelINS0_14default_configENS1_20scan_config_selectorIfEEZZNS1_9scan_implILNS1_25lookback_scan_determinismE0ELb0ELb0ES3_N6thrust23THRUST_200600_302600_NS6detail15normal_iteratorINS9_10device_ptrIfEEEENSB_INSC_IiEEEEfNS9_4plusIvEEfEEDaPvRmT3_T4_T5_mT6_P12ihipStream_tbENKUlT_T0_E_clISt17integral_constantIbLb1EESW_EEDaSR_SS_EUlSR_E_NS1_11comp_targetILNS1_3genE2ELNS1_11target_archE906ELNS1_3gpuE6ELNS1_3repE0EEENS1_30default_config_static_selectorELNS0_4arch9wavefront6targetE1EEEvT1_.kd
    .uniform_work_group_size: 1
    .uses_dynamic_stack: false
    .vgpr_count:     0
    .vgpr_spill_count: 0
    .wavefront_size: 64
  - .agpr_count:     0
    .args:
      - .offset:         0
        .size:           96
        .value_kind:     by_value
    .group_segment_fixed_size: 0
    .kernarg_segment_align: 8
    .kernarg_segment_size: 96
    .language:       OpenCL C
    .language_version:
      - 2
      - 0
    .max_flat_workgroup_size: 256
    .name:           _ZN7rocprim17ROCPRIM_400000_NS6detail17trampoline_kernelINS0_14default_configENS1_20scan_config_selectorIfEEZZNS1_9scan_implILNS1_25lookback_scan_determinismE0ELb0ELb0ES3_N6thrust23THRUST_200600_302600_NS6detail15normal_iteratorINS9_10device_ptrIfEEEENSB_INSC_IiEEEEfNS9_4plusIvEEfEEDaPvRmT3_T4_T5_mT6_P12ihipStream_tbENKUlT_T0_E_clISt17integral_constantIbLb1EESW_EEDaSR_SS_EUlSR_E_NS1_11comp_targetILNS1_3genE10ELNS1_11target_archE1201ELNS1_3gpuE5ELNS1_3repE0EEENS1_30default_config_static_selectorELNS0_4arch9wavefront6targetE1EEEvT1_
    .private_segment_fixed_size: 0
    .sgpr_count:     4
    .sgpr_spill_count: 0
    .symbol:         _ZN7rocprim17ROCPRIM_400000_NS6detail17trampoline_kernelINS0_14default_configENS1_20scan_config_selectorIfEEZZNS1_9scan_implILNS1_25lookback_scan_determinismE0ELb0ELb0ES3_N6thrust23THRUST_200600_302600_NS6detail15normal_iteratorINS9_10device_ptrIfEEEENSB_INSC_IiEEEEfNS9_4plusIvEEfEEDaPvRmT3_T4_T5_mT6_P12ihipStream_tbENKUlT_T0_E_clISt17integral_constantIbLb1EESW_EEDaSR_SS_EUlSR_E_NS1_11comp_targetILNS1_3genE10ELNS1_11target_archE1201ELNS1_3gpuE5ELNS1_3repE0EEENS1_30default_config_static_selectorELNS0_4arch9wavefront6targetE1EEEvT1_.kd
    .uniform_work_group_size: 1
    .uses_dynamic_stack: false
    .vgpr_count:     0
    .vgpr_spill_count: 0
    .wavefront_size: 64
  - .agpr_count:     0
    .args:
      - .offset:         0
        .size:           96
        .value_kind:     by_value
    .group_segment_fixed_size: 0
    .kernarg_segment_align: 8
    .kernarg_segment_size: 96
    .language:       OpenCL C
    .language_version:
      - 2
      - 0
    .max_flat_workgroup_size: 256
    .name:           _ZN7rocprim17ROCPRIM_400000_NS6detail17trampoline_kernelINS0_14default_configENS1_20scan_config_selectorIfEEZZNS1_9scan_implILNS1_25lookback_scan_determinismE0ELb0ELb0ES3_N6thrust23THRUST_200600_302600_NS6detail15normal_iteratorINS9_10device_ptrIfEEEENSB_INSC_IiEEEEfNS9_4plusIvEEfEEDaPvRmT3_T4_T5_mT6_P12ihipStream_tbENKUlT_T0_E_clISt17integral_constantIbLb1EESW_EEDaSR_SS_EUlSR_E_NS1_11comp_targetILNS1_3genE10ELNS1_11target_archE1200ELNS1_3gpuE4ELNS1_3repE0EEENS1_30default_config_static_selectorELNS0_4arch9wavefront6targetE1EEEvT1_
    .private_segment_fixed_size: 0
    .sgpr_count:     4
    .sgpr_spill_count: 0
    .symbol:         _ZN7rocprim17ROCPRIM_400000_NS6detail17trampoline_kernelINS0_14default_configENS1_20scan_config_selectorIfEEZZNS1_9scan_implILNS1_25lookback_scan_determinismE0ELb0ELb0ES3_N6thrust23THRUST_200600_302600_NS6detail15normal_iteratorINS9_10device_ptrIfEEEENSB_INSC_IiEEEEfNS9_4plusIvEEfEEDaPvRmT3_T4_T5_mT6_P12ihipStream_tbENKUlT_T0_E_clISt17integral_constantIbLb1EESW_EEDaSR_SS_EUlSR_E_NS1_11comp_targetILNS1_3genE10ELNS1_11target_archE1200ELNS1_3gpuE4ELNS1_3repE0EEENS1_30default_config_static_selectorELNS0_4arch9wavefront6targetE1EEEvT1_.kd
    .uniform_work_group_size: 1
    .uses_dynamic_stack: false
    .vgpr_count:     0
    .vgpr_spill_count: 0
    .wavefront_size: 64
  - .agpr_count:     0
    .args:
      - .offset:         0
        .size:           96
        .value_kind:     by_value
    .group_segment_fixed_size: 0
    .kernarg_segment_align: 8
    .kernarg_segment_size: 96
    .language:       OpenCL C
    .language_version:
      - 2
      - 0
    .max_flat_workgroup_size: 256
    .name:           _ZN7rocprim17ROCPRIM_400000_NS6detail17trampoline_kernelINS0_14default_configENS1_20scan_config_selectorIfEEZZNS1_9scan_implILNS1_25lookback_scan_determinismE0ELb0ELb0ES3_N6thrust23THRUST_200600_302600_NS6detail15normal_iteratorINS9_10device_ptrIfEEEENSB_INSC_IiEEEEfNS9_4plusIvEEfEEDaPvRmT3_T4_T5_mT6_P12ihipStream_tbENKUlT_T0_E_clISt17integral_constantIbLb1EESW_EEDaSR_SS_EUlSR_E_NS1_11comp_targetILNS1_3genE9ELNS1_11target_archE1100ELNS1_3gpuE3ELNS1_3repE0EEENS1_30default_config_static_selectorELNS0_4arch9wavefront6targetE1EEEvT1_
    .private_segment_fixed_size: 0
    .sgpr_count:     4
    .sgpr_spill_count: 0
    .symbol:         _ZN7rocprim17ROCPRIM_400000_NS6detail17trampoline_kernelINS0_14default_configENS1_20scan_config_selectorIfEEZZNS1_9scan_implILNS1_25lookback_scan_determinismE0ELb0ELb0ES3_N6thrust23THRUST_200600_302600_NS6detail15normal_iteratorINS9_10device_ptrIfEEEENSB_INSC_IiEEEEfNS9_4plusIvEEfEEDaPvRmT3_T4_T5_mT6_P12ihipStream_tbENKUlT_T0_E_clISt17integral_constantIbLb1EESW_EEDaSR_SS_EUlSR_E_NS1_11comp_targetILNS1_3genE9ELNS1_11target_archE1100ELNS1_3gpuE3ELNS1_3repE0EEENS1_30default_config_static_selectorELNS0_4arch9wavefront6targetE1EEEvT1_.kd
    .uniform_work_group_size: 1
    .uses_dynamic_stack: false
    .vgpr_count:     0
    .vgpr_spill_count: 0
    .wavefront_size: 64
  - .agpr_count:     0
    .args:
      - .offset:         0
        .size:           96
        .value_kind:     by_value
    .group_segment_fixed_size: 0
    .kernarg_segment_align: 8
    .kernarg_segment_size: 96
    .language:       OpenCL C
    .language_version:
      - 2
      - 0
    .max_flat_workgroup_size: 64
    .name:           _ZN7rocprim17ROCPRIM_400000_NS6detail17trampoline_kernelINS0_14default_configENS1_20scan_config_selectorIfEEZZNS1_9scan_implILNS1_25lookback_scan_determinismE0ELb0ELb0ES3_N6thrust23THRUST_200600_302600_NS6detail15normal_iteratorINS9_10device_ptrIfEEEENSB_INSC_IiEEEEfNS9_4plusIvEEfEEDaPvRmT3_T4_T5_mT6_P12ihipStream_tbENKUlT_T0_E_clISt17integral_constantIbLb1EESW_EEDaSR_SS_EUlSR_E_NS1_11comp_targetILNS1_3genE8ELNS1_11target_archE1030ELNS1_3gpuE2ELNS1_3repE0EEENS1_30default_config_static_selectorELNS0_4arch9wavefront6targetE1EEEvT1_
    .private_segment_fixed_size: 0
    .sgpr_count:     4
    .sgpr_spill_count: 0
    .symbol:         _ZN7rocprim17ROCPRIM_400000_NS6detail17trampoline_kernelINS0_14default_configENS1_20scan_config_selectorIfEEZZNS1_9scan_implILNS1_25lookback_scan_determinismE0ELb0ELb0ES3_N6thrust23THRUST_200600_302600_NS6detail15normal_iteratorINS9_10device_ptrIfEEEENSB_INSC_IiEEEEfNS9_4plusIvEEfEEDaPvRmT3_T4_T5_mT6_P12ihipStream_tbENKUlT_T0_E_clISt17integral_constantIbLb1EESW_EEDaSR_SS_EUlSR_E_NS1_11comp_targetILNS1_3genE8ELNS1_11target_archE1030ELNS1_3gpuE2ELNS1_3repE0EEENS1_30default_config_static_selectorELNS0_4arch9wavefront6targetE1EEEvT1_.kd
    .uniform_work_group_size: 1
    .uses_dynamic_stack: false
    .vgpr_count:     0
    .vgpr_spill_count: 0
    .wavefront_size: 64
  - .agpr_count:     0
    .args:
      - .offset:         0
        .size:           32
        .value_kind:     by_value
    .group_segment_fixed_size: 0
    .kernarg_segment_align: 8
    .kernarg_segment_size: 32
    .language:       OpenCL C
    .language_version:
      - 2
      - 0
    .max_flat_workgroup_size: 256
    .name:           _ZN7rocprim17ROCPRIM_400000_NS6detail17trampoline_kernelINS0_14default_configENS1_20scan_config_selectorIfEEZZNS1_9scan_implILNS1_25lookback_scan_determinismE0ELb0ELb0ES3_N6thrust23THRUST_200600_302600_NS6detail15normal_iteratorINS9_10device_ptrIfEEEENSB_INSC_IiEEEEfNS9_4plusIvEEfEEDaPvRmT3_T4_T5_mT6_P12ihipStream_tbENKUlT_T0_E_clISt17integral_constantIbLb1EESW_EEDaSR_SS_EUlSR_E0_NS1_11comp_targetILNS1_3genE0ELNS1_11target_archE4294967295ELNS1_3gpuE0ELNS1_3repE0EEENS1_30default_config_static_selectorELNS0_4arch9wavefront6targetE1EEEvT1_
    .private_segment_fixed_size: 0
    .sgpr_count:     4
    .sgpr_spill_count: 0
    .symbol:         _ZN7rocprim17ROCPRIM_400000_NS6detail17trampoline_kernelINS0_14default_configENS1_20scan_config_selectorIfEEZZNS1_9scan_implILNS1_25lookback_scan_determinismE0ELb0ELb0ES3_N6thrust23THRUST_200600_302600_NS6detail15normal_iteratorINS9_10device_ptrIfEEEENSB_INSC_IiEEEEfNS9_4plusIvEEfEEDaPvRmT3_T4_T5_mT6_P12ihipStream_tbENKUlT_T0_E_clISt17integral_constantIbLb1EESW_EEDaSR_SS_EUlSR_E0_NS1_11comp_targetILNS1_3genE0ELNS1_11target_archE4294967295ELNS1_3gpuE0ELNS1_3repE0EEENS1_30default_config_static_selectorELNS0_4arch9wavefront6targetE1EEEvT1_.kd
    .uniform_work_group_size: 1
    .uses_dynamic_stack: false
    .vgpr_count:     0
    .vgpr_spill_count: 0
    .wavefront_size: 64
  - .agpr_count:     0
    .args:
      - .offset:         0
        .size:           32
        .value_kind:     by_value
    .group_segment_fixed_size: 0
    .kernarg_segment_align: 8
    .kernarg_segment_size: 32
    .language:       OpenCL C
    .language_version:
      - 2
      - 0
    .max_flat_workgroup_size: 256
    .name:           _ZN7rocprim17ROCPRIM_400000_NS6detail17trampoline_kernelINS0_14default_configENS1_20scan_config_selectorIfEEZZNS1_9scan_implILNS1_25lookback_scan_determinismE0ELb0ELb0ES3_N6thrust23THRUST_200600_302600_NS6detail15normal_iteratorINS9_10device_ptrIfEEEENSB_INSC_IiEEEEfNS9_4plusIvEEfEEDaPvRmT3_T4_T5_mT6_P12ihipStream_tbENKUlT_T0_E_clISt17integral_constantIbLb1EESW_EEDaSR_SS_EUlSR_E0_NS1_11comp_targetILNS1_3genE5ELNS1_11target_archE942ELNS1_3gpuE9ELNS1_3repE0EEENS1_30default_config_static_selectorELNS0_4arch9wavefront6targetE1EEEvT1_
    .private_segment_fixed_size: 0
    .sgpr_count:     4
    .sgpr_spill_count: 0
    .symbol:         _ZN7rocprim17ROCPRIM_400000_NS6detail17trampoline_kernelINS0_14default_configENS1_20scan_config_selectorIfEEZZNS1_9scan_implILNS1_25lookback_scan_determinismE0ELb0ELb0ES3_N6thrust23THRUST_200600_302600_NS6detail15normal_iteratorINS9_10device_ptrIfEEEENSB_INSC_IiEEEEfNS9_4plusIvEEfEEDaPvRmT3_T4_T5_mT6_P12ihipStream_tbENKUlT_T0_E_clISt17integral_constantIbLb1EESW_EEDaSR_SS_EUlSR_E0_NS1_11comp_targetILNS1_3genE5ELNS1_11target_archE942ELNS1_3gpuE9ELNS1_3repE0EEENS1_30default_config_static_selectorELNS0_4arch9wavefront6targetE1EEEvT1_.kd
    .uniform_work_group_size: 1
    .uses_dynamic_stack: false
    .vgpr_count:     0
    .vgpr_spill_count: 0
    .wavefront_size: 64
  - .agpr_count:     0
    .args:
      - .offset:         0
        .size:           32
        .value_kind:     by_value
    .group_segment_fixed_size: 7168
    .kernarg_segment_align: 8
    .kernarg_segment_size: 32
    .language:       OpenCL C
    .language_version:
      - 2
      - 0
    .max_flat_workgroup_size: 128
    .name:           _ZN7rocprim17ROCPRIM_400000_NS6detail17trampoline_kernelINS0_14default_configENS1_20scan_config_selectorIfEEZZNS1_9scan_implILNS1_25lookback_scan_determinismE0ELb0ELb0ES3_N6thrust23THRUST_200600_302600_NS6detail15normal_iteratorINS9_10device_ptrIfEEEENSB_INSC_IiEEEEfNS9_4plusIvEEfEEDaPvRmT3_T4_T5_mT6_P12ihipStream_tbENKUlT_T0_E_clISt17integral_constantIbLb1EESW_EEDaSR_SS_EUlSR_E0_NS1_11comp_targetILNS1_3genE4ELNS1_11target_archE910ELNS1_3gpuE8ELNS1_3repE0EEENS1_30default_config_static_selectorELNS0_4arch9wavefront6targetE1EEEvT1_
    .private_segment_fixed_size: 0
    .sgpr_count:     42
    .sgpr_spill_count: 0
    .symbol:         _ZN7rocprim17ROCPRIM_400000_NS6detail17trampoline_kernelINS0_14default_configENS1_20scan_config_selectorIfEEZZNS1_9scan_implILNS1_25lookback_scan_determinismE0ELb0ELb0ES3_N6thrust23THRUST_200600_302600_NS6detail15normal_iteratorINS9_10device_ptrIfEEEENSB_INSC_IiEEEEfNS9_4plusIvEEfEEDaPvRmT3_T4_T5_mT6_P12ihipStream_tbENKUlT_T0_E_clISt17integral_constantIbLb1EESW_EEDaSR_SS_EUlSR_E0_NS1_11comp_targetILNS1_3genE4ELNS1_11target_archE910ELNS1_3gpuE8ELNS1_3repE0EEENS1_30default_config_static_selectorELNS0_4arch9wavefront6targetE1EEEvT1_.kd
    .uniform_work_group_size: 1
    .uses_dynamic_stack: false
    .vgpr_count:     37
    .vgpr_spill_count: 0
    .wavefront_size: 64
  - .agpr_count:     0
    .args:
      - .offset:         0
        .size:           32
        .value_kind:     by_value
    .group_segment_fixed_size: 0
    .kernarg_segment_align: 8
    .kernarg_segment_size: 32
    .language:       OpenCL C
    .language_version:
      - 2
      - 0
    .max_flat_workgroup_size: 256
    .name:           _ZN7rocprim17ROCPRIM_400000_NS6detail17trampoline_kernelINS0_14default_configENS1_20scan_config_selectorIfEEZZNS1_9scan_implILNS1_25lookback_scan_determinismE0ELb0ELb0ES3_N6thrust23THRUST_200600_302600_NS6detail15normal_iteratorINS9_10device_ptrIfEEEENSB_INSC_IiEEEEfNS9_4plusIvEEfEEDaPvRmT3_T4_T5_mT6_P12ihipStream_tbENKUlT_T0_E_clISt17integral_constantIbLb1EESW_EEDaSR_SS_EUlSR_E0_NS1_11comp_targetILNS1_3genE3ELNS1_11target_archE908ELNS1_3gpuE7ELNS1_3repE0EEENS1_30default_config_static_selectorELNS0_4arch9wavefront6targetE1EEEvT1_
    .private_segment_fixed_size: 0
    .sgpr_count:     4
    .sgpr_spill_count: 0
    .symbol:         _ZN7rocprim17ROCPRIM_400000_NS6detail17trampoline_kernelINS0_14default_configENS1_20scan_config_selectorIfEEZZNS1_9scan_implILNS1_25lookback_scan_determinismE0ELb0ELb0ES3_N6thrust23THRUST_200600_302600_NS6detail15normal_iteratorINS9_10device_ptrIfEEEENSB_INSC_IiEEEEfNS9_4plusIvEEfEEDaPvRmT3_T4_T5_mT6_P12ihipStream_tbENKUlT_T0_E_clISt17integral_constantIbLb1EESW_EEDaSR_SS_EUlSR_E0_NS1_11comp_targetILNS1_3genE3ELNS1_11target_archE908ELNS1_3gpuE7ELNS1_3repE0EEENS1_30default_config_static_selectorELNS0_4arch9wavefront6targetE1EEEvT1_.kd
    .uniform_work_group_size: 1
    .uses_dynamic_stack: false
    .vgpr_count:     0
    .vgpr_spill_count: 0
    .wavefront_size: 64
  - .agpr_count:     0
    .args:
      - .offset:         0
        .size:           32
        .value_kind:     by_value
    .group_segment_fixed_size: 0
    .kernarg_segment_align: 8
    .kernarg_segment_size: 32
    .language:       OpenCL C
    .language_version:
      - 2
      - 0
    .max_flat_workgroup_size: 256
    .name:           _ZN7rocprim17ROCPRIM_400000_NS6detail17trampoline_kernelINS0_14default_configENS1_20scan_config_selectorIfEEZZNS1_9scan_implILNS1_25lookback_scan_determinismE0ELb0ELb0ES3_N6thrust23THRUST_200600_302600_NS6detail15normal_iteratorINS9_10device_ptrIfEEEENSB_INSC_IiEEEEfNS9_4plusIvEEfEEDaPvRmT3_T4_T5_mT6_P12ihipStream_tbENKUlT_T0_E_clISt17integral_constantIbLb1EESW_EEDaSR_SS_EUlSR_E0_NS1_11comp_targetILNS1_3genE2ELNS1_11target_archE906ELNS1_3gpuE6ELNS1_3repE0EEENS1_30default_config_static_selectorELNS0_4arch9wavefront6targetE1EEEvT1_
    .private_segment_fixed_size: 0
    .sgpr_count:     4
    .sgpr_spill_count: 0
    .symbol:         _ZN7rocprim17ROCPRIM_400000_NS6detail17trampoline_kernelINS0_14default_configENS1_20scan_config_selectorIfEEZZNS1_9scan_implILNS1_25lookback_scan_determinismE0ELb0ELb0ES3_N6thrust23THRUST_200600_302600_NS6detail15normal_iteratorINS9_10device_ptrIfEEEENSB_INSC_IiEEEEfNS9_4plusIvEEfEEDaPvRmT3_T4_T5_mT6_P12ihipStream_tbENKUlT_T0_E_clISt17integral_constantIbLb1EESW_EEDaSR_SS_EUlSR_E0_NS1_11comp_targetILNS1_3genE2ELNS1_11target_archE906ELNS1_3gpuE6ELNS1_3repE0EEENS1_30default_config_static_selectorELNS0_4arch9wavefront6targetE1EEEvT1_.kd
    .uniform_work_group_size: 1
    .uses_dynamic_stack: false
    .vgpr_count:     0
    .vgpr_spill_count: 0
    .wavefront_size: 64
  - .agpr_count:     0
    .args:
      - .offset:         0
        .size:           32
        .value_kind:     by_value
    .group_segment_fixed_size: 0
    .kernarg_segment_align: 8
    .kernarg_segment_size: 32
    .language:       OpenCL C
    .language_version:
      - 2
      - 0
    .max_flat_workgroup_size: 256
    .name:           _ZN7rocprim17ROCPRIM_400000_NS6detail17trampoline_kernelINS0_14default_configENS1_20scan_config_selectorIfEEZZNS1_9scan_implILNS1_25lookback_scan_determinismE0ELb0ELb0ES3_N6thrust23THRUST_200600_302600_NS6detail15normal_iteratorINS9_10device_ptrIfEEEENSB_INSC_IiEEEEfNS9_4plusIvEEfEEDaPvRmT3_T4_T5_mT6_P12ihipStream_tbENKUlT_T0_E_clISt17integral_constantIbLb1EESW_EEDaSR_SS_EUlSR_E0_NS1_11comp_targetILNS1_3genE10ELNS1_11target_archE1201ELNS1_3gpuE5ELNS1_3repE0EEENS1_30default_config_static_selectorELNS0_4arch9wavefront6targetE1EEEvT1_
    .private_segment_fixed_size: 0
    .sgpr_count:     4
    .sgpr_spill_count: 0
    .symbol:         _ZN7rocprim17ROCPRIM_400000_NS6detail17trampoline_kernelINS0_14default_configENS1_20scan_config_selectorIfEEZZNS1_9scan_implILNS1_25lookback_scan_determinismE0ELb0ELb0ES3_N6thrust23THRUST_200600_302600_NS6detail15normal_iteratorINS9_10device_ptrIfEEEENSB_INSC_IiEEEEfNS9_4plusIvEEfEEDaPvRmT3_T4_T5_mT6_P12ihipStream_tbENKUlT_T0_E_clISt17integral_constantIbLb1EESW_EEDaSR_SS_EUlSR_E0_NS1_11comp_targetILNS1_3genE10ELNS1_11target_archE1201ELNS1_3gpuE5ELNS1_3repE0EEENS1_30default_config_static_selectorELNS0_4arch9wavefront6targetE1EEEvT1_.kd
    .uniform_work_group_size: 1
    .uses_dynamic_stack: false
    .vgpr_count:     0
    .vgpr_spill_count: 0
    .wavefront_size: 64
  - .agpr_count:     0
    .args:
      - .offset:         0
        .size:           32
        .value_kind:     by_value
    .group_segment_fixed_size: 0
    .kernarg_segment_align: 8
    .kernarg_segment_size: 32
    .language:       OpenCL C
    .language_version:
      - 2
      - 0
    .max_flat_workgroup_size: 256
    .name:           _ZN7rocprim17ROCPRIM_400000_NS6detail17trampoline_kernelINS0_14default_configENS1_20scan_config_selectorIfEEZZNS1_9scan_implILNS1_25lookback_scan_determinismE0ELb0ELb0ES3_N6thrust23THRUST_200600_302600_NS6detail15normal_iteratorINS9_10device_ptrIfEEEENSB_INSC_IiEEEEfNS9_4plusIvEEfEEDaPvRmT3_T4_T5_mT6_P12ihipStream_tbENKUlT_T0_E_clISt17integral_constantIbLb1EESW_EEDaSR_SS_EUlSR_E0_NS1_11comp_targetILNS1_3genE10ELNS1_11target_archE1200ELNS1_3gpuE4ELNS1_3repE0EEENS1_30default_config_static_selectorELNS0_4arch9wavefront6targetE1EEEvT1_
    .private_segment_fixed_size: 0
    .sgpr_count:     4
    .sgpr_spill_count: 0
    .symbol:         _ZN7rocprim17ROCPRIM_400000_NS6detail17trampoline_kernelINS0_14default_configENS1_20scan_config_selectorIfEEZZNS1_9scan_implILNS1_25lookback_scan_determinismE0ELb0ELb0ES3_N6thrust23THRUST_200600_302600_NS6detail15normal_iteratorINS9_10device_ptrIfEEEENSB_INSC_IiEEEEfNS9_4plusIvEEfEEDaPvRmT3_T4_T5_mT6_P12ihipStream_tbENKUlT_T0_E_clISt17integral_constantIbLb1EESW_EEDaSR_SS_EUlSR_E0_NS1_11comp_targetILNS1_3genE10ELNS1_11target_archE1200ELNS1_3gpuE4ELNS1_3repE0EEENS1_30default_config_static_selectorELNS0_4arch9wavefront6targetE1EEEvT1_.kd
    .uniform_work_group_size: 1
    .uses_dynamic_stack: false
    .vgpr_count:     0
    .vgpr_spill_count: 0
    .wavefront_size: 64
  - .agpr_count:     0
    .args:
      - .offset:         0
        .size:           32
        .value_kind:     by_value
    .group_segment_fixed_size: 0
    .kernarg_segment_align: 8
    .kernarg_segment_size: 32
    .language:       OpenCL C
    .language_version:
      - 2
      - 0
    .max_flat_workgroup_size: 256
    .name:           _ZN7rocprim17ROCPRIM_400000_NS6detail17trampoline_kernelINS0_14default_configENS1_20scan_config_selectorIfEEZZNS1_9scan_implILNS1_25lookback_scan_determinismE0ELb0ELb0ES3_N6thrust23THRUST_200600_302600_NS6detail15normal_iteratorINS9_10device_ptrIfEEEENSB_INSC_IiEEEEfNS9_4plusIvEEfEEDaPvRmT3_T4_T5_mT6_P12ihipStream_tbENKUlT_T0_E_clISt17integral_constantIbLb1EESW_EEDaSR_SS_EUlSR_E0_NS1_11comp_targetILNS1_3genE9ELNS1_11target_archE1100ELNS1_3gpuE3ELNS1_3repE0EEENS1_30default_config_static_selectorELNS0_4arch9wavefront6targetE1EEEvT1_
    .private_segment_fixed_size: 0
    .sgpr_count:     4
    .sgpr_spill_count: 0
    .symbol:         _ZN7rocprim17ROCPRIM_400000_NS6detail17trampoline_kernelINS0_14default_configENS1_20scan_config_selectorIfEEZZNS1_9scan_implILNS1_25lookback_scan_determinismE0ELb0ELb0ES3_N6thrust23THRUST_200600_302600_NS6detail15normal_iteratorINS9_10device_ptrIfEEEENSB_INSC_IiEEEEfNS9_4plusIvEEfEEDaPvRmT3_T4_T5_mT6_P12ihipStream_tbENKUlT_T0_E_clISt17integral_constantIbLb1EESW_EEDaSR_SS_EUlSR_E0_NS1_11comp_targetILNS1_3genE9ELNS1_11target_archE1100ELNS1_3gpuE3ELNS1_3repE0EEENS1_30default_config_static_selectorELNS0_4arch9wavefront6targetE1EEEvT1_.kd
    .uniform_work_group_size: 1
    .uses_dynamic_stack: false
    .vgpr_count:     0
    .vgpr_spill_count: 0
    .wavefront_size: 64
  - .agpr_count:     0
    .args:
      - .offset:         0
        .size:           32
        .value_kind:     by_value
    .group_segment_fixed_size: 0
    .kernarg_segment_align: 8
    .kernarg_segment_size: 32
    .language:       OpenCL C
    .language_version:
      - 2
      - 0
    .max_flat_workgroup_size: 64
    .name:           _ZN7rocprim17ROCPRIM_400000_NS6detail17trampoline_kernelINS0_14default_configENS1_20scan_config_selectorIfEEZZNS1_9scan_implILNS1_25lookback_scan_determinismE0ELb0ELb0ES3_N6thrust23THRUST_200600_302600_NS6detail15normal_iteratorINS9_10device_ptrIfEEEENSB_INSC_IiEEEEfNS9_4plusIvEEfEEDaPvRmT3_T4_T5_mT6_P12ihipStream_tbENKUlT_T0_E_clISt17integral_constantIbLb1EESW_EEDaSR_SS_EUlSR_E0_NS1_11comp_targetILNS1_3genE8ELNS1_11target_archE1030ELNS1_3gpuE2ELNS1_3repE0EEENS1_30default_config_static_selectorELNS0_4arch9wavefront6targetE1EEEvT1_
    .private_segment_fixed_size: 0
    .sgpr_count:     4
    .sgpr_spill_count: 0
    .symbol:         _ZN7rocprim17ROCPRIM_400000_NS6detail17trampoline_kernelINS0_14default_configENS1_20scan_config_selectorIfEEZZNS1_9scan_implILNS1_25lookback_scan_determinismE0ELb0ELb0ES3_N6thrust23THRUST_200600_302600_NS6detail15normal_iteratorINS9_10device_ptrIfEEEENSB_INSC_IiEEEEfNS9_4plusIvEEfEEDaPvRmT3_T4_T5_mT6_P12ihipStream_tbENKUlT_T0_E_clISt17integral_constantIbLb1EESW_EEDaSR_SS_EUlSR_E0_NS1_11comp_targetILNS1_3genE8ELNS1_11target_archE1030ELNS1_3gpuE2ELNS1_3repE0EEENS1_30default_config_static_selectorELNS0_4arch9wavefront6targetE1EEEvT1_.kd
    .uniform_work_group_size: 1
    .uses_dynamic_stack: false
    .vgpr_count:     0
    .vgpr_spill_count: 0
    .wavefront_size: 64
  - .agpr_count:     0
    .args:
      - .address_space:  global
        .offset:         0
        .size:           8
        .value_kind:     global_buffer
      - .offset:         8
        .size:           4
        .value_kind:     by_value
      - .offset:         12
        .size:           1
        .value_kind:     by_value
      - .offset:         16
        .size:           4
        .value_kind:     by_value
      - .address_space:  global
        .offset:         24
        .size:           8
        .value_kind:     global_buffer
      - .offset:         32
        .size:           4
        .value_kind:     hidden_block_count_x
      - .offset:         36
        .size:           4
        .value_kind:     hidden_block_count_y
      - .offset:         40
        .size:           4
        .value_kind:     hidden_block_count_z
      - .offset:         44
        .size:           2
        .value_kind:     hidden_group_size_x
      - .offset:         46
        .size:           2
        .value_kind:     hidden_group_size_y
      - .offset:         48
        .size:           2
        .value_kind:     hidden_group_size_z
      - .offset:         50
        .size:           2
        .value_kind:     hidden_remainder_x
      - .offset:         52
        .size:           2
        .value_kind:     hidden_remainder_y
      - .offset:         54
        .size:           2
        .value_kind:     hidden_remainder_z
      - .offset:         72
        .size:           8
        .value_kind:     hidden_global_offset_x
      - .offset:         80
        .size:           8
        .value_kind:     hidden_global_offset_y
      - .offset:         88
        .size:           8
        .value_kind:     hidden_global_offset_z
      - .offset:         96
        .size:           2
        .value_kind:     hidden_grid_dims
    .group_segment_fixed_size: 0
    .kernarg_segment_align: 8
    .kernarg_segment_size: 288
    .language:       OpenCL C
    .language_version:
      - 2
      - 0
    .max_flat_workgroup_size: 256
    .name:           _ZN7rocprim17ROCPRIM_400000_NS6detail31init_lookback_scan_state_kernelINS1_19lookback_scan_stateIfLb1ELb1EEENS1_16block_id_wrapperIjLb0EEEEEvT_jT0_jPNS7_10value_typeE
    .private_segment_fixed_size: 0
    .sgpr_count:     16
    .sgpr_spill_count: 0
    .symbol:         _ZN7rocprim17ROCPRIM_400000_NS6detail31init_lookback_scan_state_kernelINS1_19lookback_scan_stateIfLb1ELb1EEENS1_16block_id_wrapperIjLb0EEEEEvT_jT0_jPNS7_10value_typeE.kd
    .uniform_work_group_size: 1
    .uses_dynamic_stack: false
    .vgpr_count:     6
    .vgpr_spill_count: 0
    .wavefront_size: 64
  - .agpr_count:     0
    .args:
      - .offset:         0
        .size:           96
        .value_kind:     by_value
    .group_segment_fixed_size: 0
    .kernarg_segment_align: 8
    .kernarg_segment_size: 96
    .language:       OpenCL C
    .language_version:
      - 2
      - 0
    .max_flat_workgroup_size: 256
    .name:           _ZN7rocprim17ROCPRIM_400000_NS6detail17trampoline_kernelINS0_14default_configENS1_20scan_config_selectorIfEEZZNS1_9scan_implILNS1_25lookback_scan_determinismE0ELb0ELb0ES3_N6thrust23THRUST_200600_302600_NS6detail15normal_iteratorINS9_10device_ptrIfEEEENSB_INSC_IiEEEEfNS9_4plusIvEEfEEDaPvRmT3_T4_T5_mT6_P12ihipStream_tbENKUlT_T0_E_clISt17integral_constantIbLb1EESV_IbLb0EEEEDaSR_SS_EUlSR_E_NS1_11comp_targetILNS1_3genE0ELNS1_11target_archE4294967295ELNS1_3gpuE0ELNS1_3repE0EEENS1_30default_config_static_selectorELNS0_4arch9wavefront6targetE1EEEvT1_
    .private_segment_fixed_size: 0
    .sgpr_count:     4
    .sgpr_spill_count: 0
    .symbol:         _ZN7rocprim17ROCPRIM_400000_NS6detail17trampoline_kernelINS0_14default_configENS1_20scan_config_selectorIfEEZZNS1_9scan_implILNS1_25lookback_scan_determinismE0ELb0ELb0ES3_N6thrust23THRUST_200600_302600_NS6detail15normal_iteratorINS9_10device_ptrIfEEEENSB_INSC_IiEEEEfNS9_4plusIvEEfEEDaPvRmT3_T4_T5_mT6_P12ihipStream_tbENKUlT_T0_E_clISt17integral_constantIbLb1EESV_IbLb0EEEEDaSR_SS_EUlSR_E_NS1_11comp_targetILNS1_3genE0ELNS1_11target_archE4294967295ELNS1_3gpuE0ELNS1_3repE0EEENS1_30default_config_static_selectorELNS0_4arch9wavefront6targetE1EEEvT1_.kd
    .uniform_work_group_size: 1
    .uses_dynamic_stack: false
    .vgpr_count:     0
    .vgpr_spill_count: 0
    .wavefront_size: 64
  - .agpr_count:     0
    .args:
      - .offset:         0
        .size:           96
        .value_kind:     by_value
    .group_segment_fixed_size: 0
    .kernarg_segment_align: 8
    .kernarg_segment_size: 96
    .language:       OpenCL C
    .language_version:
      - 2
      - 0
    .max_flat_workgroup_size: 256
    .name:           _ZN7rocprim17ROCPRIM_400000_NS6detail17trampoline_kernelINS0_14default_configENS1_20scan_config_selectorIfEEZZNS1_9scan_implILNS1_25lookback_scan_determinismE0ELb0ELb0ES3_N6thrust23THRUST_200600_302600_NS6detail15normal_iteratorINS9_10device_ptrIfEEEENSB_INSC_IiEEEEfNS9_4plusIvEEfEEDaPvRmT3_T4_T5_mT6_P12ihipStream_tbENKUlT_T0_E_clISt17integral_constantIbLb1EESV_IbLb0EEEEDaSR_SS_EUlSR_E_NS1_11comp_targetILNS1_3genE5ELNS1_11target_archE942ELNS1_3gpuE9ELNS1_3repE0EEENS1_30default_config_static_selectorELNS0_4arch9wavefront6targetE1EEEvT1_
    .private_segment_fixed_size: 0
    .sgpr_count:     4
    .sgpr_spill_count: 0
    .symbol:         _ZN7rocprim17ROCPRIM_400000_NS6detail17trampoline_kernelINS0_14default_configENS1_20scan_config_selectorIfEEZZNS1_9scan_implILNS1_25lookback_scan_determinismE0ELb0ELb0ES3_N6thrust23THRUST_200600_302600_NS6detail15normal_iteratorINS9_10device_ptrIfEEEENSB_INSC_IiEEEEfNS9_4plusIvEEfEEDaPvRmT3_T4_T5_mT6_P12ihipStream_tbENKUlT_T0_E_clISt17integral_constantIbLb1EESV_IbLb0EEEEDaSR_SS_EUlSR_E_NS1_11comp_targetILNS1_3genE5ELNS1_11target_archE942ELNS1_3gpuE9ELNS1_3repE0EEENS1_30default_config_static_selectorELNS0_4arch9wavefront6targetE1EEEvT1_.kd
    .uniform_work_group_size: 1
    .uses_dynamic_stack: false
    .vgpr_count:     0
    .vgpr_spill_count: 0
    .wavefront_size: 64
  - .agpr_count:     0
    .args:
      - .offset:         0
        .size:           96
        .value_kind:     by_value
    .group_segment_fixed_size: 7168
    .kernarg_segment_align: 8
    .kernarg_segment_size: 96
    .language:       OpenCL C
    .language_version:
      - 2
      - 0
    .max_flat_workgroup_size: 128
    .name:           _ZN7rocprim17ROCPRIM_400000_NS6detail17trampoline_kernelINS0_14default_configENS1_20scan_config_selectorIfEEZZNS1_9scan_implILNS1_25lookback_scan_determinismE0ELb0ELb0ES3_N6thrust23THRUST_200600_302600_NS6detail15normal_iteratorINS9_10device_ptrIfEEEENSB_INSC_IiEEEEfNS9_4plusIvEEfEEDaPvRmT3_T4_T5_mT6_P12ihipStream_tbENKUlT_T0_E_clISt17integral_constantIbLb1EESV_IbLb0EEEEDaSR_SS_EUlSR_E_NS1_11comp_targetILNS1_3genE4ELNS1_11target_archE910ELNS1_3gpuE8ELNS1_3repE0EEENS1_30default_config_static_selectorELNS0_4arch9wavefront6targetE1EEEvT1_
    .private_segment_fixed_size: 0
    .sgpr_count:     34
    .sgpr_spill_count: 0
    .symbol:         _ZN7rocprim17ROCPRIM_400000_NS6detail17trampoline_kernelINS0_14default_configENS1_20scan_config_selectorIfEEZZNS1_9scan_implILNS1_25lookback_scan_determinismE0ELb0ELb0ES3_N6thrust23THRUST_200600_302600_NS6detail15normal_iteratorINS9_10device_ptrIfEEEENSB_INSC_IiEEEEfNS9_4plusIvEEfEEDaPvRmT3_T4_T5_mT6_P12ihipStream_tbENKUlT_T0_E_clISt17integral_constantIbLb1EESV_IbLb0EEEEDaSR_SS_EUlSR_E_NS1_11comp_targetILNS1_3genE4ELNS1_11target_archE910ELNS1_3gpuE8ELNS1_3repE0EEENS1_30default_config_static_selectorELNS0_4arch9wavefront6targetE1EEEvT1_.kd
    .uniform_work_group_size: 1
    .uses_dynamic_stack: false
    .vgpr_count:     48
    .vgpr_spill_count: 0
    .wavefront_size: 64
  - .agpr_count:     0
    .args:
      - .offset:         0
        .size:           96
        .value_kind:     by_value
    .group_segment_fixed_size: 0
    .kernarg_segment_align: 8
    .kernarg_segment_size: 96
    .language:       OpenCL C
    .language_version:
      - 2
      - 0
    .max_flat_workgroup_size: 256
    .name:           _ZN7rocprim17ROCPRIM_400000_NS6detail17trampoline_kernelINS0_14default_configENS1_20scan_config_selectorIfEEZZNS1_9scan_implILNS1_25lookback_scan_determinismE0ELb0ELb0ES3_N6thrust23THRUST_200600_302600_NS6detail15normal_iteratorINS9_10device_ptrIfEEEENSB_INSC_IiEEEEfNS9_4plusIvEEfEEDaPvRmT3_T4_T5_mT6_P12ihipStream_tbENKUlT_T0_E_clISt17integral_constantIbLb1EESV_IbLb0EEEEDaSR_SS_EUlSR_E_NS1_11comp_targetILNS1_3genE3ELNS1_11target_archE908ELNS1_3gpuE7ELNS1_3repE0EEENS1_30default_config_static_selectorELNS0_4arch9wavefront6targetE1EEEvT1_
    .private_segment_fixed_size: 0
    .sgpr_count:     4
    .sgpr_spill_count: 0
    .symbol:         _ZN7rocprim17ROCPRIM_400000_NS6detail17trampoline_kernelINS0_14default_configENS1_20scan_config_selectorIfEEZZNS1_9scan_implILNS1_25lookback_scan_determinismE0ELb0ELb0ES3_N6thrust23THRUST_200600_302600_NS6detail15normal_iteratorINS9_10device_ptrIfEEEENSB_INSC_IiEEEEfNS9_4plusIvEEfEEDaPvRmT3_T4_T5_mT6_P12ihipStream_tbENKUlT_T0_E_clISt17integral_constantIbLb1EESV_IbLb0EEEEDaSR_SS_EUlSR_E_NS1_11comp_targetILNS1_3genE3ELNS1_11target_archE908ELNS1_3gpuE7ELNS1_3repE0EEENS1_30default_config_static_selectorELNS0_4arch9wavefront6targetE1EEEvT1_.kd
    .uniform_work_group_size: 1
    .uses_dynamic_stack: false
    .vgpr_count:     0
    .vgpr_spill_count: 0
    .wavefront_size: 64
  - .agpr_count:     0
    .args:
      - .offset:         0
        .size:           96
        .value_kind:     by_value
    .group_segment_fixed_size: 0
    .kernarg_segment_align: 8
    .kernarg_segment_size: 96
    .language:       OpenCL C
    .language_version:
      - 2
      - 0
    .max_flat_workgroup_size: 256
    .name:           _ZN7rocprim17ROCPRIM_400000_NS6detail17trampoline_kernelINS0_14default_configENS1_20scan_config_selectorIfEEZZNS1_9scan_implILNS1_25lookback_scan_determinismE0ELb0ELb0ES3_N6thrust23THRUST_200600_302600_NS6detail15normal_iteratorINS9_10device_ptrIfEEEENSB_INSC_IiEEEEfNS9_4plusIvEEfEEDaPvRmT3_T4_T5_mT6_P12ihipStream_tbENKUlT_T0_E_clISt17integral_constantIbLb1EESV_IbLb0EEEEDaSR_SS_EUlSR_E_NS1_11comp_targetILNS1_3genE2ELNS1_11target_archE906ELNS1_3gpuE6ELNS1_3repE0EEENS1_30default_config_static_selectorELNS0_4arch9wavefront6targetE1EEEvT1_
    .private_segment_fixed_size: 0
    .sgpr_count:     4
    .sgpr_spill_count: 0
    .symbol:         _ZN7rocprim17ROCPRIM_400000_NS6detail17trampoline_kernelINS0_14default_configENS1_20scan_config_selectorIfEEZZNS1_9scan_implILNS1_25lookback_scan_determinismE0ELb0ELb0ES3_N6thrust23THRUST_200600_302600_NS6detail15normal_iteratorINS9_10device_ptrIfEEEENSB_INSC_IiEEEEfNS9_4plusIvEEfEEDaPvRmT3_T4_T5_mT6_P12ihipStream_tbENKUlT_T0_E_clISt17integral_constantIbLb1EESV_IbLb0EEEEDaSR_SS_EUlSR_E_NS1_11comp_targetILNS1_3genE2ELNS1_11target_archE906ELNS1_3gpuE6ELNS1_3repE0EEENS1_30default_config_static_selectorELNS0_4arch9wavefront6targetE1EEEvT1_.kd
    .uniform_work_group_size: 1
    .uses_dynamic_stack: false
    .vgpr_count:     0
    .vgpr_spill_count: 0
    .wavefront_size: 64
  - .agpr_count:     0
    .args:
      - .offset:         0
        .size:           96
        .value_kind:     by_value
    .group_segment_fixed_size: 0
    .kernarg_segment_align: 8
    .kernarg_segment_size: 96
    .language:       OpenCL C
    .language_version:
      - 2
      - 0
    .max_flat_workgroup_size: 256
    .name:           _ZN7rocprim17ROCPRIM_400000_NS6detail17trampoline_kernelINS0_14default_configENS1_20scan_config_selectorIfEEZZNS1_9scan_implILNS1_25lookback_scan_determinismE0ELb0ELb0ES3_N6thrust23THRUST_200600_302600_NS6detail15normal_iteratorINS9_10device_ptrIfEEEENSB_INSC_IiEEEEfNS9_4plusIvEEfEEDaPvRmT3_T4_T5_mT6_P12ihipStream_tbENKUlT_T0_E_clISt17integral_constantIbLb1EESV_IbLb0EEEEDaSR_SS_EUlSR_E_NS1_11comp_targetILNS1_3genE10ELNS1_11target_archE1201ELNS1_3gpuE5ELNS1_3repE0EEENS1_30default_config_static_selectorELNS0_4arch9wavefront6targetE1EEEvT1_
    .private_segment_fixed_size: 0
    .sgpr_count:     4
    .sgpr_spill_count: 0
    .symbol:         _ZN7rocprim17ROCPRIM_400000_NS6detail17trampoline_kernelINS0_14default_configENS1_20scan_config_selectorIfEEZZNS1_9scan_implILNS1_25lookback_scan_determinismE0ELb0ELb0ES3_N6thrust23THRUST_200600_302600_NS6detail15normal_iteratorINS9_10device_ptrIfEEEENSB_INSC_IiEEEEfNS9_4plusIvEEfEEDaPvRmT3_T4_T5_mT6_P12ihipStream_tbENKUlT_T0_E_clISt17integral_constantIbLb1EESV_IbLb0EEEEDaSR_SS_EUlSR_E_NS1_11comp_targetILNS1_3genE10ELNS1_11target_archE1201ELNS1_3gpuE5ELNS1_3repE0EEENS1_30default_config_static_selectorELNS0_4arch9wavefront6targetE1EEEvT1_.kd
    .uniform_work_group_size: 1
    .uses_dynamic_stack: false
    .vgpr_count:     0
    .vgpr_spill_count: 0
    .wavefront_size: 64
  - .agpr_count:     0
    .args:
      - .offset:         0
        .size:           96
        .value_kind:     by_value
    .group_segment_fixed_size: 0
    .kernarg_segment_align: 8
    .kernarg_segment_size: 96
    .language:       OpenCL C
    .language_version:
      - 2
      - 0
    .max_flat_workgroup_size: 256
    .name:           _ZN7rocprim17ROCPRIM_400000_NS6detail17trampoline_kernelINS0_14default_configENS1_20scan_config_selectorIfEEZZNS1_9scan_implILNS1_25lookback_scan_determinismE0ELb0ELb0ES3_N6thrust23THRUST_200600_302600_NS6detail15normal_iteratorINS9_10device_ptrIfEEEENSB_INSC_IiEEEEfNS9_4plusIvEEfEEDaPvRmT3_T4_T5_mT6_P12ihipStream_tbENKUlT_T0_E_clISt17integral_constantIbLb1EESV_IbLb0EEEEDaSR_SS_EUlSR_E_NS1_11comp_targetILNS1_3genE10ELNS1_11target_archE1200ELNS1_3gpuE4ELNS1_3repE0EEENS1_30default_config_static_selectorELNS0_4arch9wavefront6targetE1EEEvT1_
    .private_segment_fixed_size: 0
    .sgpr_count:     4
    .sgpr_spill_count: 0
    .symbol:         _ZN7rocprim17ROCPRIM_400000_NS6detail17trampoline_kernelINS0_14default_configENS1_20scan_config_selectorIfEEZZNS1_9scan_implILNS1_25lookback_scan_determinismE0ELb0ELb0ES3_N6thrust23THRUST_200600_302600_NS6detail15normal_iteratorINS9_10device_ptrIfEEEENSB_INSC_IiEEEEfNS9_4plusIvEEfEEDaPvRmT3_T4_T5_mT6_P12ihipStream_tbENKUlT_T0_E_clISt17integral_constantIbLb1EESV_IbLb0EEEEDaSR_SS_EUlSR_E_NS1_11comp_targetILNS1_3genE10ELNS1_11target_archE1200ELNS1_3gpuE4ELNS1_3repE0EEENS1_30default_config_static_selectorELNS0_4arch9wavefront6targetE1EEEvT1_.kd
    .uniform_work_group_size: 1
    .uses_dynamic_stack: false
    .vgpr_count:     0
    .vgpr_spill_count: 0
    .wavefront_size: 64
  - .agpr_count:     0
    .args:
      - .offset:         0
        .size:           96
        .value_kind:     by_value
    .group_segment_fixed_size: 0
    .kernarg_segment_align: 8
    .kernarg_segment_size: 96
    .language:       OpenCL C
    .language_version:
      - 2
      - 0
    .max_flat_workgroup_size: 256
    .name:           _ZN7rocprim17ROCPRIM_400000_NS6detail17trampoline_kernelINS0_14default_configENS1_20scan_config_selectorIfEEZZNS1_9scan_implILNS1_25lookback_scan_determinismE0ELb0ELb0ES3_N6thrust23THRUST_200600_302600_NS6detail15normal_iteratorINS9_10device_ptrIfEEEENSB_INSC_IiEEEEfNS9_4plusIvEEfEEDaPvRmT3_T4_T5_mT6_P12ihipStream_tbENKUlT_T0_E_clISt17integral_constantIbLb1EESV_IbLb0EEEEDaSR_SS_EUlSR_E_NS1_11comp_targetILNS1_3genE9ELNS1_11target_archE1100ELNS1_3gpuE3ELNS1_3repE0EEENS1_30default_config_static_selectorELNS0_4arch9wavefront6targetE1EEEvT1_
    .private_segment_fixed_size: 0
    .sgpr_count:     4
    .sgpr_spill_count: 0
    .symbol:         _ZN7rocprim17ROCPRIM_400000_NS6detail17trampoline_kernelINS0_14default_configENS1_20scan_config_selectorIfEEZZNS1_9scan_implILNS1_25lookback_scan_determinismE0ELb0ELb0ES3_N6thrust23THRUST_200600_302600_NS6detail15normal_iteratorINS9_10device_ptrIfEEEENSB_INSC_IiEEEEfNS9_4plusIvEEfEEDaPvRmT3_T4_T5_mT6_P12ihipStream_tbENKUlT_T0_E_clISt17integral_constantIbLb1EESV_IbLb0EEEEDaSR_SS_EUlSR_E_NS1_11comp_targetILNS1_3genE9ELNS1_11target_archE1100ELNS1_3gpuE3ELNS1_3repE0EEENS1_30default_config_static_selectorELNS0_4arch9wavefront6targetE1EEEvT1_.kd
    .uniform_work_group_size: 1
    .uses_dynamic_stack: false
    .vgpr_count:     0
    .vgpr_spill_count: 0
    .wavefront_size: 64
  - .agpr_count:     0
    .args:
      - .offset:         0
        .size:           96
        .value_kind:     by_value
    .group_segment_fixed_size: 0
    .kernarg_segment_align: 8
    .kernarg_segment_size: 96
    .language:       OpenCL C
    .language_version:
      - 2
      - 0
    .max_flat_workgroup_size: 64
    .name:           _ZN7rocprim17ROCPRIM_400000_NS6detail17trampoline_kernelINS0_14default_configENS1_20scan_config_selectorIfEEZZNS1_9scan_implILNS1_25lookback_scan_determinismE0ELb0ELb0ES3_N6thrust23THRUST_200600_302600_NS6detail15normal_iteratorINS9_10device_ptrIfEEEENSB_INSC_IiEEEEfNS9_4plusIvEEfEEDaPvRmT3_T4_T5_mT6_P12ihipStream_tbENKUlT_T0_E_clISt17integral_constantIbLb1EESV_IbLb0EEEEDaSR_SS_EUlSR_E_NS1_11comp_targetILNS1_3genE8ELNS1_11target_archE1030ELNS1_3gpuE2ELNS1_3repE0EEENS1_30default_config_static_selectorELNS0_4arch9wavefront6targetE1EEEvT1_
    .private_segment_fixed_size: 0
    .sgpr_count:     4
    .sgpr_spill_count: 0
    .symbol:         _ZN7rocprim17ROCPRIM_400000_NS6detail17trampoline_kernelINS0_14default_configENS1_20scan_config_selectorIfEEZZNS1_9scan_implILNS1_25lookback_scan_determinismE0ELb0ELb0ES3_N6thrust23THRUST_200600_302600_NS6detail15normal_iteratorINS9_10device_ptrIfEEEENSB_INSC_IiEEEEfNS9_4plusIvEEfEEDaPvRmT3_T4_T5_mT6_P12ihipStream_tbENKUlT_T0_E_clISt17integral_constantIbLb1EESV_IbLb0EEEEDaSR_SS_EUlSR_E_NS1_11comp_targetILNS1_3genE8ELNS1_11target_archE1030ELNS1_3gpuE2ELNS1_3repE0EEENS1_30default_config_static_selectorELNS0_4arch9wavefront6targetE1EEEvT1_.kd
    .uniform_work_group_size: 1
    .uses_dynamic_stack: false
    .vgpr_count:     0
    .vgpr_spill_count: 0
    .wavefront_size: 64
  - .agpr_count:     0
    .args:
      - .offset:         0
        .size:           32
        .value_kind:     by_value
    .group_segment_fixed_size: 0
    .kernarg_segment_align: 8
    .kernarg_segment_size: 32
    .language:       OpenCL C
    .language_version:
      - 2
      - 0
    .max_flat_workgroup_size: 256
    .name:           _ZN7rocprim17ROCPRIM_400000_NS6detail17trampoline_kernelINS0_14default_configENS1_20scan_config_selectorIfEEZZNS1_9scan_implILNS1_25lookback_scan_determinismE0ELb0ELb0ES3_N6thrust23THRUST_200600_302600_NS6detail15normal_iteratorINS9_10device_ptrIfEEEENSB_INSC_IiEEEEfNS9_4plusIvEEfEEDaPvRmT3_T4_T5_mT6_P12ihipStream_tbENKUlT_T0_E_clISt17integral_constantIbLb1EESV_IbLb0EEEEDaSR_SS_EUlSR_E0_NS1_11comp_targetILNS1_3genE0ELNS1_11target_archE4294967295ELNS1_3gpuE0ELNS1_3repE0EEENS1_30default_config_static_selectorELNS0_4arch9wavefront6targetE1EEEvT1_
    .private_segment_fixed_size: 0
    .sgpr_count:     4
    .sgpr_spill_count: 0
    .symbol:         _ZN7rocprim17ROCPRIM_400000_NS6detail17trampoline_kernelINS0_14default_configENS1_20scan_config_selectorIfEEZZNS1_9scan_implILNS1_25lookback_scan_determinismE0ELb0ELb0ES3_N6thrust23THRUST_200600_302600_NS6detail15normal_iteratorINS9_10device_ptrIfEEEENSB_INSC_IiEEEEfNS9_4plusIvEEfEEDaPvRmT3_T4_T5_mT6_P12ihipStream_tbENKUlT_T0_E_clISt17integral_constantIbLb1EESV_IbLb0EEEEDaSR_SS_EUlSR_E0_NS1_11comp_targetILNS1_3genE0ELNS1_11target_archE4294967295ELNS1_3gpuE0ELNS1_3repE0EEENS1_30default_config_static_selectorELNS0_4arch9wavefront6targetE1EEEvT1_.kd
    .uniform_work_group_size: 1
    .uses_dynamic_stack: false
    .vgpr_count:     0
    .vgpr_spill_count: 0
    .wavefront_size: 64
  - .agpr_count:     0
    .args:
      - .offset:         0
        .size:           32
        .value_kind:     by_value
    .group_segment_fixed_size: 0
    .kernarg_segment_align: 8
    .kernarg_segment_size: 32
    .language:       OpenCL C
    .language_version:
      - 2
      - 0
    .max_flat_workgroup_size: 256
    .name:           _ZN7rocprim17ROCPRIM_400000_NS6detail17trampoline_kernelINS0_14default_configENS1_20scan_config_selectorIfEEZZNS1_9scan_implILNS1_25lookback_scan_determinismE0ELb0ELb0ES3_N6thrust23THRUST_200600_302600_NS6detail15normal_iteratorINS9_10device_ptrIfEEEENSB_INSC_IiEEEEfNS9_4plusIvEEfEEDaPvRmT3_T4_T5_mT6_P12ihipStream_tbENKUlT_T0_E_clISt17integral_constantIbLb1EESV_IbLb0EEEEDaSR_SS_EUlSR_E0_NS1_11comp_targetILNS1_3genE5ELNS1_11target_archE942ELNS1_3gpuE9ELNS1_3repE0EEENS1_30default_config_static_selectorELNS0_4arch9wavefront6targetE1EEEvT1_
    .private_segment_fixed_size: 0
    .sgpr_count:     4
    .sgpr_spill_count: 0
    .symbol:         _ZN7rocprim17ROCPRIM_400000_NS6detail17trampoline_kernelINS0_14default_configENS1_20scan_config_selectorIfEEZZNS1_9scan_implILNS1_25lookback_scan_determinismE0ELb0ELb0ES3_N6thrust23THRUST_200600_302600_NS6detail15normal_iteratorINS9_10device_ptrIfEEEENSB_INSC_IiEEEEfNS9_4plusIvEEfEEDaPvRmT3_T4_T5_mT6_P12ihipStream_tbENKUlT_T0_E_clISt17integral_constantIbLb1EESV_IbLb0EEEEDaSR_SS_EUlSR_E0_NS1_11comp_targetILNS1_3genE5ELNS1_11target_archE942ELNS1_3gpuE9ELNS1_3repE0EEENS1_30default_config_static_selectorELNS0_4arch9wavefront6targetE1EEEvT1_.kd
    .uniform_work_group_size: 1
    .uses_dynamic_stack: false
    .vgpr_count:     0
    .vgpr_spill_count: 0
    .wavefront_size: 64
  - .agpr_count:     0
    .args:
      - .offset:         0
        .size:           32
        .value_kind:     by_value
    .group_segment_fixed_size: 7168
    .kernarg_segment_align: 8
    .kernarg_segment_size: 32
    .language:       OpenCL C
    .language_version:
      - 2
      - 0
    .max_flat_workgroup_size: 128
    .name:           _ZN7rocprim17ROCPRIM_400000_NS6detail17trampoline_kernelINS0_14default_configENS1_20scan_config_selectorIfEEZZNS1_9scan_implILNS1_25lookback_scan_determinismE0ELb0ELb0ES3_N6thrust23THRUST_200600_302600_NS6detail15normal_iteratorINS9_10device_ptrIfEEEENSB_INSC_IiEEEEfNS9_4plusIvEEfEEDaPvRmT3_T4_T5_mT6_P12ihipStream_tbENKUlT_T0_E_clISt17integral_constantIbLb1EESV_IbLb0EEEEDaSR_SS_EUlSR_E0_NS1_11comp_targetILNS1_3genE4ELNS1_11target_archE910ELNS1_3gpuE8ELNS1_3repE0EEENS1_30default_config_static_selectorELNS0_4arch9wavefront6targetE1EEEvT1_
    .private_segment_fixed_size: 0
    .sgpr_count:     42
    .sgpr_spill_count: 0
    .symbol:         _ZN7rocprim17ROCPRIM_400000_NS6detail17trampoline_kernelINS0_14default_configENS1_20scan_config_selectorIfEEZZNS1_9scan_implILNS1_25lookback_scan_determinismE0ELb0ELb0ES3_N6thrust23THRUST_200600_302600_NS6detail15normal_iteratorINS9_10device_ptrIfEEEENSB_INSC_IiEEEEfNS9_4plusIvEEfEEDaPvRmT3_T4_T5_mT6_P12ihipStream_tbENKUlT_T0_E_clISt17integral_constantIbLb1EESV_IbLb0EEEEDaSR_SS_EUlSR_E0_NS1_11comp_targetILNS1_3genE4ELNS1_11target_archE910ELNS1_3gpuE8ELNS1_3repE0EEENS1_30default_config_static_selectorELNS0_4arch9wavefront6targetE1EEEvT1_.kd
    .uniform_work_group_size: 1
    .uses_dynamic_stack: false
    .vgpr_count:     37
    .vgpr_spill_count: 0
    .wavefront_size: 64
  - .agpr_count:     0
    .args:
      - .offset:         0
        .size:           32
        .value_kind:     by_value
    .group_segment_fixed_size: 0
    .kernarg_segment_align: 8
    .kernarg_segment_size: 32
    .language:       OpenCL C
    .language_version:
      - 2
      - 0
    .max_flat_workgroup_size: 256
    .name:           _ZN7rocprim17ROCPRIM_400000_NS6detail17trampoline_kernelINS0_14default_configENS1_20scan_config_selectorIfEEZZNS1_9scan_implILNS1_25lookback_scan_determinismE0ELb0ELb0ES3_N6thrust23THRUST_200600_302600_NS6detail15normal_iteratorINS9_10device_ptrIfEEEENSB_INSC_IiEEEEfNS9_4plusIvEEfEEDaPvRmT3_T4_T5_mT6_P12ihipStream_tbENKUlT_T0_E_clISt17integral_constantIbLb1EESV_IbLb0EEEEDaSR_SS_EUlSR_E0_NS1_11comp_targetILNS1_3genE3ELNS1_11target_archE908ELNS1_3gpuE7ELNS1_3repE0EEENS1_30default_config_static_selectorELNS0_4arch9wavefront6targetE1EEEvT1_
    .private_segment_fixed_size: 0
    .sgpr_count:     4
    .sgpr_spill_count: 0
    .symbol:         _ZN7rocprim17ROCPRIM_400000_NS6detail17trampoline_kernelINS0_14default_configENS1_20scan_config_selectorIfEEZZNS1_9scan_implILNS1_25lookback_scan_determinismE0ELb0ELb0ES3_N6thrust23THRUST_200600_302600_NS6detail15normal_iteratorINS9_10device_ptrIfEEEENSB_INSC_IiEEEEfNS9_4plusIvEEfEEDaPvRmT3_T4_T5_mT6_P12ihipStream_tbENKUlT_T0_E_clISt17integral_constantIbLb1EESV_IbLb0EEEEDaSR_SS_EUlSR_E0_NS1_11comp_targetILNS1_3genE3ELNS1_11target_archE908ELNS1_3gpuE7ELNS1_3repE0EEENS1_30default_config_static_selectorELNS0_4arch9wavefront6targetE1EEEvT1_.kd
    .uniform_work_group_size: 1
    .uses_dynamic_stack: false
    .vgpr_count:     0
    .vgpr_spill_count: 0
    .wavefront_size: 64
  - .agpr_count:     0
    .args:
      - .offset:         0
        .size:           32
        .value_kind:     by_value
    .group_segment_fixed_size: 0
    .kernarg_segment_align: 8
    .kernarg_segment_size: 32
    .language:       OpenCL C
    .language_version:
      - 2
      - 0
    .max_flat_workgroup_size: 256
    .name:           _ZN7rocprim17ROCPRIM_400000_NS6detail17trampoline_kernelINS0_14default_configENS1_20scan_config_selectorIfEEZZNS1_9scan_implILNS1_25lookback_scan_determinismE0ELb0ELb0ES3_N6thrust23THRUST_200600_302600_NS6detail15normal_iteratorINS9_10device_ptrIfEEEENSB_INSC_IiEEEEfNS9_4plusIvEEfEEDaPvRmT3_T4_T5_mT6_P12ihipStream_tbENKUlT_T0_E_clISt17integral_constantIbLb1EESV_IbLb0EEEEDaSR_SS_EUlSR_E0_NS1_11comp_targetILNS1_3genE2ELNS1_11target_archE906ELNS1_3gpuE6ELNS1_3repE0EEENS1_30default_config_static_selectorELNS0_4arch9wavefront6targetE1EEEvT1_
    .private_segment_fixed_size: 0
    .sgpr_count:     4
    .sgpr_spill_count: 0
    .symbol:         _ZN7rocprim17ROCPRIM_400000_NS6detail17trampoline_kernelINS0_14default_configENS1_20scan_config_selectorIfEEZZNS1_9scan_implILNS1_25lookback_scan_determinismE0ELb0ELb0ES3_N6thrust23THRUST_200600_302600_NS6detail15normal_iteratorINS9_10device_ptrIfEEEENSB_INSC_IiEEEEfNS9_4plusIvEEfEEDaPvRmT3_T4_T5_mT6_P12ihipStream_tbENKUlT_T0_E_clISt17integral_constantIbLb1EESV_IbLb0EEEEDaSR_SS_EUlSR_E0_NS1_11comp_targetILNS1_3genE2ELNS1_11target_archE906ELNS1_3gpuE6ELNS1_3repE0EEENS1_30default_config_static_selectorELNS0_4arch9wavefront6targetE1EEEvT1_.kd
    .uniform_work_group_size: 1
    .uses_dynamic_stack: false
    .vgpr_count:     0
    .vgpr_spill_count: 0
    .wavefront_size: 64
  - .agpr_count:     0
    .args:
      - .offset:         0
        .size:           32
        .value_kind:     by_value
    .group_segment_fixed_size: 0
    .kernarg_segment_align: 8
    .kernarg_segment_size: 32
    .language:       OpenCL C
    .language_version:
      - 2
      - 0
    .max_flat_workgroup_size: 256
    .name:           _ZN7rocprim17ROCPRIM_400000_NS6detail17trampoline_kernelINS0_14default_configENS1_20scan_config_selectorIfEEZZNS1_9scan_implILNS1_25lookback_scan_determinismE0ELb0ELb0ES3_N6thrust23THRUST_200600_302600_NS6detail15normal_iteratorINS9_10device_ptrIfEEEENSB_INSC_IiEEEEfNS9_4plusIvEEfEEDaPvRmT3_T4_T5_mT6_P12ihipStream_tbENKUlT_T0_E_clISt17integral_constantIbLb1EESV_IbLb0EEEEDaSR_SS_EUlSR_E0_NS1_11comp_targetILNS1_3genE10ELNS1_11target_archE1201ELNS1_3gpuE5ELNS1_3repE0EEENS1_30default_config_static_selectorELNS0_4arch9wavefront6targetE1EEEvT1_
    .private_segment_fixed_size: 0
    .sgpr_count:     4
    .sgpr_spill_count: 0
    .symbol:         _ZN7rocprim17ROCPRIM_400000_NS6detail17trampoline_kernelINS0_14default_configENS1_20scan_config_selectorIfEEZZNS1_9scan_implILNS1_25lookback_scan_determinismE0ELb0ELb0ES3_N6thrust23THRUST_200600_302600_NS6detail15normal_iteratorINS9_10device_ptrIfEEEENSB_INSC_IiEEEEfNS9_4plusIvEEfEEDaPvRmT3_T4_T5_mT6_P12ihipStream_tbENKUlT_T0_E_clISt17integral_constantIbLb1EESV_IbLb0EEEEDaSR_SS_EUlSR_E0_NS1_11comp_targetILNS1_3genE10ELNS1_11target_archE1201ELNS1_3gpuE5ELNS1_3repE0EEENS1_30default_config_static_selectorELNS0_4arch9wavefront6targetE1EEEvT1_.kd
    .uniform_work_group_size: 1
    .uses_dynamic_stack: false
    .vgpr_count:     0
    .vgpr_spill_count: 0
    .wavefront_size: 64
  - .agpr_count:     0
    .args:
      - .offset:         0
        .size:           32
        .value_kind:     by_value
    .group_segment_fixed_size: 0
    .kernarg_segment_align: 8
    .kernarg_segment_size: 32
    .language:       OpenCL C
    .language_version:
      - 2
      - 0
    .max_flat_workgroup_size: 256
    .name:           _ZN7rocprim17ROCPRIM_400000_NS6detail17trampoline_kernelINS0_14default_configENS1_20scan_config_selectorIfEEZZNS1_9scan_implILNS1_25lookback_scan_determinismE0ELb0ELb0ES3_N6thrust23THRUST_200600_302600_NS6detail15normal_iteratorINS9_10device_ptrIfEEEENSB_INSC_IiEEEEfNS9_4plusIvEEfEEDaPvRmT3_T4_T5_mT6_P12ihipStream_tbENKUlT_T0_E_clISt17integral_constantIbLb1EESV_IbLb0EEEEDaSR_SS_EUlSR_E0_NS1_11comp_targetILNS1_3genE10ELNS1_11target_archE1200ELNS1_3gpuE4ELNS1_3repE0EEENS1_30default_config_static_selectorELNS0_4arch9wavefront6targetE1EEEvT1_
    .private_segment_fixed_size: 0
    .sgpr_count:     4
    .sgpr_spill_count: 0
    .symbol:         _ZN7rocprim17ROCPRIM_400000_NS6detail17trampoline_kernelINS0_14default_configENS1_20scan_config_selectorIfEEZZNS1_9scan_implILNS1_25lookback_scan_determinismE0ELb0ELb0ES3_N6thrust23THRUST_200600_302600_NS6detail15normal_iteratorINS9_10device_ptrIfEEEENSB_INSC_IiEEEEfNS9_4plusIvEEfEEDaPvRmT3_T4_T5_mT6_P12ihipStream_tbENKUlT_T0_E_clISt17integral_constantIbLb1EESV_IbLb0EEEEDaSR_SS_EUlSR_E0_NS1_11comp_targetILNS1_3genE10ELNS1_11target_archE1200ELNS1_3gpuE4ELNS1_3repE0EEENS1_30default_config_static_selectorELNS0_4arch9wavefront6targetE1EEEvT1_.kd
    .uniform_work_group_size: 1
    .uses_dynamic_stack: false
    .vgpr_count:     0
    .vgpr_spill_count: 0
    .wavefront_size: 64
  - .agpr_count:     0
    .args:
      - .offset:         0
        .size:           32
        .value_kind:     by_value
    .group_segment_fixed_size: 0
    .kernarg_segment_align: 8
    .kernarg_segment_size: 32
    .language:       OpenCL C
    .language_version:
      - 2
      - 0
    .max_flat_workgroup_size: 256
    .name:           _ZN7rocprim17ROCPRIM_400000_NS6detail17trampoline_kernelINS0_14default_configENS1_20scan_config_selectorIfEEZZNS1_9scan_implILNS1_25lookback_scan_determinismE0ELb0ELb0ES3_N6thrust23THRUST_200600_302600_NS6detail15normal_iteratorINS9_10device_ptrIfEEEENSB_INSC_IiEEEEfNS9_4plusIvEEfEEDaPvRmT3_T4_T5_mT6_P12ihipStream_tbENKUlT_T0_E_clISt17integral_constantIbLb1EESV_IbLb0EEEEDaSR_SS_EUlSR_E0_NS1_11comp_targetILNS1_3genE9ELNS1_11target_archE1100ELNS1_3gpuE3ELNS1_3repE0EEENS1_30default_config_static_selectorELNS0_4arch9wavefront6targetE1EEEvT1_
    .private_segment_fixed_size: 0
    .sgpr_count:     4
    .sgpr_spill_count: 0
    .symbol:         _ZN7rocprim17ROCPRIM_400000_NS6detail17trampoline_kernelINS0_14default_configENS1_20scan_config_selectorIfEEZZNS1_9scan_implILNS1_25lookback_scan_determinismE0ELb0ELb0ES3_N6thrust23THRUST_200600_302600_NS6detail15normal_iteratorINS9_10device_ptrIfEEEENSB_INSC_IiEEEEfNS9_4plusIvEEfEEDaPvRmT3_T4_T5_mT6_P12ihipStream_tbENKUlT_T0_E_clISt17integral_constantIbLb1EESV_IbLb0EEEEDaSR_SS_EUlSR_E0_NS1_11comp_targetILNS1_3genE9ELNS1_11target_archE1100ELNS1_3gpuE3ELNS1_3repE0EEENS1_30default_config_static_selectorELNS0_4arch9wavefront6targetE1EEEvT1_.kd
    .uniform_work_group_size: 1
    .uses_dynamic_stack: false
    .vgpr_count:     0
    .vgpr_spill_count: 0
    .wavefront_size: 64
  - .agpr_count:     0
    .args:
      - .offset:         0
        .size:           32
        .value_kind:     by_value
    .group_segment_fixed_size: 0
    .kernarg_segment_align: 8
    .kernarg_segment_size: 32
    .language:       OpenCL C
    .language_version:
      - 2
      - 0
    .max_flat_workgroup_size: 64
    .name:           _ZN7rocprim17ROCPRIM_400000_NS6detail17trampoline_kernelINS0_14default_configENS1_20scan_config_selectorIfEEZZNS1_9scan_implILNS1_25lookback_scan_determinismE0ELb0ELb0ES3_N6thrust23THRUST_200600_302600_NS6detail15normal_iteratorINS9_10device_ptrIfEEEENSB_INSC_IiEEEEfNS9_4plusIvEEfEEDaPvRmT3_T4_T5_mT6_P12ihipStream_tbENKUlT_T0_E_clISt17integral_constantIbLb1EESV_IbLb0EEEEDaSR_SS_EUlSR_E0_NS1_11comp_targetILNS1_3genE8ELNS1_11target_archE1030ELNS1_3gpuE2ELNS1_3repE0EEENS1_30default_config_static_selectorELNS0_4arch9wavefront6targetE1EEEvT1_
    .private_segment_fixed_size: 0
    .sgpr_count:     4
    .sgpr_spill_count: 0
    .symbol:         _ZN7rocprim17ROCPRIM_400000_NS6detail17trampoline_kernelINS0_14default_configENS1_20scan_config_selectorIfEEZZNS1_9scan_implILNS1_25lookback_scan_determinismE0ELb0ELb0ES3_N6thrust23THRUST_200600_302600_NS6detail15normal_iteratorINS9_10device_ptrIfEEEENSB_INSC_IiEEEEfNS9_4plusIvEEfEEDaPvRmT3_T4_T5_mT6_P12ihipStream_tbENKUlT_T0_E_clISt17integral_constantIbLb1EESV_IbLb0EEEEDaSR_SS_EUlSR_E0_NS1_11comp_targetILNS1_3genE8ELNS1_11target_archE1030ELNS1_3gpuE2ELNS1_3repE0EEENS1_30default_config_static_selectorELNS0_4arch9wavefront6targetE1EEEvT1_.kd
    .uniform_work_group_size: 1
    .uses_dynamic_stack: false
    .vgpr_count:     0
    .vgpr_spill_count: 0
    .wavefront_size: 64
  - .agpr_count:     0
    .args:
      - .address_space:  global
        .offset:         0
        .size:           8
        .value_kind:     global_buffer
      - .offset:         8
        .size:           4
        .value_kind:     by_value
      - .address_space:  global
        .offset:         16
        .size:           8
        .value_kind:     global_buffer
      - .offset:         24
        .size:           4
        .value_kind:     by_value
      - .address_space:  global
        .offset:         32
        .size:           8
        .value_kind:     global_buffer
      - .offset:         40
        .size:           4
        .value_kind:     hidden_block_count_x
      - .offset:         44
        .size:           4
        .value_kind:     hidden_block_count_y
      - .offset:         48
        .size:           4
        .value_kind:     hidden_block_count_z
      - .offset:         52
        .size:           2
        .value_kind:     hidden_group_size_x
      - .offset:         54
        .size:           2
        .value_kind:     hidden_group_size_y
      - .offset:         56
        .size:           2
        .value_kind:     hidden_group_size_z
      - .offset:         58
        .size:           2
        .value_kind:     hidden_remainder_x
      - .offset:         60
        .size:           2
        .value_kind:     hidden_remainder_y
      - .offset:         62
        .size:           2
        .value_kind:     hidden_remainder_z
      - .offset:         80
        .size:           8
        .value_kind:     hidden_global_offset_x
      - .offset:         88
        .size:           8
        .value_kind:     hidden_global_offset_y
      - .offset:         96
        .size:           8
        .value_kind:     hidden_global_offset_z
      - .offset:         104
        .size:           2
        .value_kind:     hidden_grid_dims
    .group_segment_fixed_size: 0
    .kernarg_segment_align: 8
    .kernarg_segment_size: 296
    .language:       OpenCL C
    .language_version:
      - 2
      - 0
    .max_flat_workgroup_size: 256
    .name:           _ZN7rocprim17ROCPRIM_400000_NS6detail31init_lookback_scan_state_kernelINS1_19lookback_scan_stateIfLb0ELb1EEENS1_16block_id_wrapperIjLb1EEEEEvT_jT0_jPNS7_10value_typeE
    .private_segment_fixed_size: 0
    .sgpr_count:     15
    .sgpr_spill_count: 0
    .symbol:         _ZN7rocprim17ROCPRIM_400000_NS6detail31init_lookback_scan_state_kernelINS1_19lookback_scan_stateIfLb0ELb1EEENS1_16block_id_wrapperIjLb1EEEEEvT_jT0_jPNS7_10value_typeE.kd
    .uniform_work_group_size: 1
    .uses_dynamic_stack: false
    .vgpr_count:     6
    .vgpr_spill_count: 0
    .wavefront_size: 64
  - .agpr_count:     0
    .args:
      - .offset:         0
        .size:           96
        .value_kind:     by_value
    .group_segment_fixed_size: 0
    .kernarg_segment_align: 8
    .kernarg_segment_size: 96
    .language:       OpenCL C
    .language_version:
      - 2
      - 0
    .max_flat_workgroup_size: 256
    .name:           _ZN7rocprim17ROCPRIM_400000_NS6detail17trampoline_kernelINS0_14default_configENS1_20scan_config_selectorIfEEZZNS1_9scan_implILNS1_25lookback_scan_determinismE0ELb0ELb0ES3_N6thrust23THRUST_200600_302600_NS6detail15normal_iteratorINS9_10device_ptrIfEEEENSB_INSC_IiEEEEfNS9_4plusIvEEfEEDaPvRmT3_T4_T5_mT6_P12ihipStream_tbENKUlT_T0_E_clISt17integral_constantIbLb0EESV_IbLb1EEEEDaSR_SS_EUlSR_E_NS1_11comp_targetILNS1_3genE0ELNS1_11target_archE4294967295ELNS1_3gpuE0ELNS1_3repE0EEENS1_30default_config_static_selectorELNS0_4arch9wavefront6targetE1EEEvT1_
    .private_segment_fixed_size: 0
    .sgpr_count:     4
    .sgpr_spill_count: 0
    .symbol:         _ZN7rocprim17ROCPRIM_400000_NS6detail17trampoline_kernelINS0_14default_configENS1_20scan_config_selectorIfEEZZNS1_9scan_implILNS1_25lookback_scan_determinismE0ELb0ELb0ES3_N6thrust23THRUST_200600_302600_NS6detail15normal_iteratorINS9_10device_ptrIfEEEENSB_INSC_IiEEEEfNS9_4plusIvEEfEEDaPvRmT3_T4_T5_mT6_P12ihipStream_tbENKUlT_T0_E_clISt17integral_constantIbLb0EESV_IbLb1EEEEDaSR_SS_EUlSR_E_NS1_11comp_targetILNS1_3genE0ELNS1_11target_archE4294967295ELNS1_3gpuE0ELNS1_3repE0EEENS1_30default_config_static_selectorELNS0_4arch9wavefront6targetE1EEEvT1_.kd
    .uniform_work_group_size: 1
    .uses_dynamic_stack: false
    .vgpr_count:     0
    .vgpr_spill_count: 0
    .wavefront_size: 64
  - .agpr_count:     0
    .args:
      - .offset:         0
        .size:           96
        .value_kind:     by_value
    .group_segment_fixed_size: 0
    .kernarg_segment_align: 8
    .kernarg_segment_size: 96
    .language:       OpenCL C
    .language_version:
      - 2
      - 0
    .max_flat_workgroup_size: 256
    .name:           _ZN7rocprim17ROCPRIM_400000_NS6detail17trampoline_kernelINS0_14default_configENS1_20scan_config_selectorIfEEZZNS1_9scan_implILNS1_25lookback_scan_determinismE0ELb0ELb0ES3_N6thrust23THRUST_200600_302600_NS6detail15normal_iteratorINS9_10device_ptrIfEEEENSB_INSC_IiEEEEfNS9_4plusIvEEfEEDaPvRmT3_T4_T5_mT6_P12ihipStream_tbENKUlT_T0_E_clISt17integral_constantIbLb0EESV_IbLb1EEEEDaSR_SS_EUlSR_E_NS1_11comp_targetILNS1_3genE5ELNS1_11target_archE942ELNS1_3gpuE9ELNS1_3repE0EEENS1_30default_config_static_selectorELNS0_4arch9wavefront6targetE1EEEvT1_
    .private_segment_fixed_size: 0
    .sgpr_count:     4
    .sgpr_spill_count: 0
    .symbol:         _ZN7rocprim17ROCPRIM_400000_NS6detail17trampoline_kernelINS0_14default_configENS1_20scan_config_selectorIfEEZZNS1_9scan_implILNS1_25lookback_scan_determinismE0ELb0ELb0ES3_N6thrust23THRUST_200600_302600_NS6detail15normal_iteratorINS9_10device_ptrIfEEEENSB_INSC_IiEEEEfNS9_4plusIvEEfEEDaPvRmT3_T4_T5_mT6_P12ihipStream_tbENKUlT_T0_E_clISt17integral_constantIbLb0EESV_IbLb1EEEEDaSR_SS_EUlSR_E_NS1_11comp_targetILNS1_3genE5ELNS1_11target_archE942ELNS1_3gpuE9ELNS1_3repE0EEENS1_30default_config_static_selectorELNS0_4arch9wavefront6targetE1EEEvT1_.kd
    .uniform_work_group_size: 1
    .uses_dynamic_stack: false
    .vgpr_count:     0
    .vgpr_spill_count: 0
    .wavefront_size: 64
  - .agpr_count:     0
    .args:
      - .offset:         0
        .size:           96
        .value_kind:     by_value
    .group_segment_fixed_size: 7168
    .kernarg_segment_align: 8
    .kernarg_segment_size: 96
    .language:       OpenCL C
    .language_version:
      - 2
      - 0
    .max_flat_workgroup_size: 128
    .name:           _ZN7rocprim17ROCPRIM_400000_NS6detail17trampoline_kernelINS0_14default_configENS1_20scan_config_selectorIfEEZZNS1_9scan_implILNS1_25lookback_scan_determinismE0ELb0ELb0ES3_N6thrust23THRUST_200600_302600_NS6detail15normal_iteratorINS9_10device_ptrIfEEEENSB_INSC_IiEEEEfNS9_4plusIvEEfEEDaPvRmT3_T4_T5_mT6_P12ihipStream_tbENKUlT_T0_E_clISt17integral_constantIbLb0EESV_IbLb1EEEEDaSR_SS_EUlSR_E_NS1_11comp_targetILNS1_3genE4ELNS1_11target_archE910ELNS1_3gpuE8ELNS1_3repE0EEENS1_30default_config_static_selectorELNS0_4arch9wavefront6targetE1EEEvT1_
    .private_segment_fixed_size: 0
    .sgpr_count:     42
    .sgpr_spill_count: 0
    .symbol:         _ZN7rocprim17ROCPRIM_400000_NS6detail17trampoline_kernelINS0_14default_configENS1_20scan_config_selectorIfEEZZNS1_9scan_implILNS1_25lookback_scan_determinismE0ELb0ELb0ES3_N6thrust23THRUST_200600_302600_NS6detail15normal_iteratorINS9_10device_ptrIfEEEENSB_INSC_IiEEEEfNS9_4plusIvEEfEEDaPvRmT3_T4_T5_mT6_P12ihipStream_tbENKUlT_T0_E_clISt17integral_constantIbLb0EESV_IbLb1EEEEDaSR_SS_EUlSR_E_NS1_11comp_targetILNS1_3genE4ELNS1_11target_archE910ELNS1_3gpuE8ELNS1_3repE0EEENS1_30default_config_static_selectorELNS0_4arch9wavefront6targetE1EEEvT1_.kd
    .uniform_work_group_size: 1
    .uses_dynamic_stack: false
    .vgpr_count:     48
    .vgpr_spill_count: 0
    .wavefront_size: 64
  - .agpr_count:     0
    .args:
      - .offset:         0
        .size:           96
        .value_kind:     by_value
    .group_segment_fixed_size: 0
    .kernarg_segment_align: 8
    .kernarg_segment_size: 96
    .language:       OpenCL C
    .language_version:
      - 2
      - 0
    .max_flat_workgroup_size: 256
    .name:           _ZN7rocprim17ROCPRIM_400000_NS6detail17trampoline_kernelINS0_14default_configENS1_20scan_config_selectorIfEEZZNS1_9scan_implILNS1_25lookback_scan_determinismE0ELb0ELb0ES3_N6thrust23THRUST_200600_302600_NS6detail15normal_iteratorINS9_10device_ptrIfEEEENSB_INSC_IiEEEEfNS9_4plusIvEEfEEDaPvRmT3_T4_T5_mT6_P12ihipStream_tbENKUlT_T0_E_clISt17integral_constantIbLb0EESV_IbLb1EEEEDaSR_SS_EUlSR_E_NS1_11comp_targetILNS1_3genE3ELNS1_11target_archE908ELNS1_3gpuE7ELNS1_3repE0EEENS1_30default_config_static_selectorELNS0_4arch9wavefront6targetE1EEEvT1_
    .private_segment_fixed_size: 0
    .sgpr_count:     4
    .sgpr_spill_count: 0
    .symbol:         _ZN7rocprim17ROCPRIM_400000_NS6detail17trampoline_kernelINS0_14default_configENS1_20scan_config_selectorIfEEZZNS1_9scan_implILNS1_25lookback_scan_determinismE0ELb0ELb0ES3_N6thrust23THRUST_200600_302600_NS6detail15normal_iteratorINS9_10device_ptrIfEEEENSB_INSC_IiEEEEfNS9_4plusIvEEfEEDaPvRmT3_T4_T5_mT6_P12ihipStream_tbENKUlT_T0_E_clISt17integral_constantIbLb0EESV_IbLb1EEEEDaSR_SS_EUlSR_E_NS1_11comp_targetILNS1_3genE3ELNS1_11target_archE908ELNS1_3gpuE7ELNS1_3repE0EEENS1_30default_config_static_selectorELNS0_4arch9wavefront6targetE1EEEvT1_.kd
    .uniform_work_group_size: 1
    .uses_dynamic_stack: false
    .vgpr_count:     0
    .vgpr_spill_count: 0
    .wavefront_size: 64
  - .agpr_count:     0
    .args:
      - .offset:         0
        .size:           96
        .value_kind:     by_value
    .group_segment_fixed_size: 0
    .kernarg_segment_align: 8
    .kernarg_segment_size: 96
    .language:       OpenCL C
    .language_version:
      - 2
      - 0
    .max_flat_workgroup_size: 256
    .name:           _ZN7rocprim17ROCPRIM_400000_NS6detail17trampoline_kernelINS0_14default_configENS1_20scan_config_selectorIfEEZZNS1_9scan_implILNS1_25lookback_scan_determinismE0ELb0ELb0ES3_N6thrust23THRUST_200600_302600_NS6detail15normal_iteratorINS9_10device_ptrIfEEEENSB_INSC_IiEEEEfNS9_4plusIvEEfEEDaPvRmT3_T4_T5_mT6_P12ihipStream_tbENKUlT_T0_E_clISt17integral_constantIbLb0EESV_IbLb1EEEEDaSR_SS_EUlSR_E_NS1_11comp_targetILNS1_3genE2ELNS1_11target_archE906ELNS1_3gpuE6ELNS1_3repE0EEENS1_30default_config_static_selectorELNS0_4arch9wavefront6targetE1EEEvT1_
    .private_segment_fixed_size: 0
    .sgpr_count:     4
    .sgpr_spill_count: 0
    .symbol:         _ZN7rocprim17ROCPRIM_400000_NS6detail17trampoline_kernelINS0_14default_configENS1_20scan_config_selectorIfEEZZNS1_9scan_implILNS1_25lookback_scan_determinismE0ELb0ELb0ES3_N6thrust23THRUST_200600_302600_NS6detail15normal_iteratorINS9_10device_ptrIfEEEENSB_INSC_IiEEEEfNS9_4plusIvEEfEEDaPvRmT3_T4_T5_mT6_P12ihipStream_tbENKUlT_T0_E_clISt17integral_constantIbLb0EESV_IbLb1EEEEDaSR_SS_EUlSR_E_NS1_11comp_targetILNS1_3genE2ELNS1_11target_archE906ELNS1_3gpuE6ELNS1_3repE0EEENS1_30default_config_static_selectorELNS0_4arch9wavefront6targetE1EEEvT1_.kd
    .uniform_work_group_size: 1
    .uses_dynamic_stack: false
    .vgpr_count:     0
    .vgpr_spill_count: 0
    .wavefront_size: 64
  - .agpr_count:     0
    .args:
      - .offset:         0
        .size:           96
        .value_kind:     by_value
    .group_segment_fixed_size: 0
    .kernarg_segment_align: 8
    .kernarg_segment_size: 96
    .language:       OpenCL C
    .language_version:
      - 2
      - 0
    .max_flat_workgroup_size: 256
    .name:           _ZN7rocprim17ROCPRIM_400000_NS6detail17trampoline_kernelINS0_14default_configENS1_20scan_config_selectorIfEEZZNS1_9scan_implILNS1_25lookback_scan_determinismE0ELb0ELb0ES3_N6thrust23THRUST_200600_302600_NS6detail15normal_iteratorINS9_10device_ptrIfEEEENSB_INSC_IiEEEEfNS9_4plusIvEEfEEDaPvRmT3_T4_T5_mT6_P12ihipStream_tbENKUlT_T0_E_clISt17integral_constantIbLb0EESV_IbLb1EEEEDaSR_SS_EUlSR_E_NS1_11comp_targetILNS1_3genE10ELNS1_11target_archE1201ELNS1_3gpuE5ELNS1_3repE0EEENS1_30default_config_static_selectorELNS0_4arch9wavefront6targetE1EEEvT1_
    .private_segment_fixed_size: 0
    .sgpr_count:     4
    .sgpr_spill_count: 0
    .symbol:         _ZN7rocprim17ROCPRIM_400000_NS6detail17trampoline_kernelINS0_14default_configENS1_20scan_config_selectorIfEEZZNS1_9scan_implILNS1_25lookback_scan_determinismE0ELb0ELb0ES3_N6thrust23THRUST_200600_302600_NS6detail15normal_iteratorINS9_10device_ptrIfEEEENSB_INSC_IiEEEEfNS9_4plusIvEEfEEDaPvRmT3_T4_T5_mT6_P12ihipStream_tbENKUlT_T0_E_clISt17integral_constantIbLb0EESV_IbLb1EEEEDaSR_SS_EUlSR_E_NS1_11comp_targetILNS1_3genE10ELNS1_11target_archE1201ELNS1_3gpuE5ELNS1_3repE0EEENS1_30default_config_static_selectorELNS0_4arch9wavefront6targetE1EEEvT1_.kd
    .uniform_work_group_size: 1
    .uses_dynamic_stack: false
    .vgpr_count:     0
    .vgpr_spill_count: 0
    .wavefront_size: 64
  - .agpr_count:     0
    .args:
      - .offset:         0
        .size:           96
        .value_kind:     by_value
    .group_segment_fixed_size: 0
    .kernarg_segment_align: 8
    .kernarg_segment_size: 96
    .language:       OpenCL C
    .language_version:
      - 2
      - 0
    .max_flat_workgroup_size: 256
    .name:           _ZN7rocprim17ROCPRIM_400000_NS6detail17trampoline_kernelINS0_14default_configENS1_20scan_config_selectorIfEEZZNS1_9scan_implILNS1_25lookback_scan_determinismE0ELb0ELb0ES3_N6thrust23THRUST_200600_302600_NS6detail15normal_iteratorINS9_10device_ptrIfEEEENSB_INSC_IiEEEEfNS9_4plusIvEEfEEDaPvRmT3_T4_T5_mT6_P12ihipStream_tbENKUlT_T0_E_clISt17integral_constantIbLb0EESV_IbLb1EEEEDaSR_SS_EUlSR_E_NS1_11comp_targetILNS1_3genE10ELNS1_11target_archE1200ELNS1_3gpuE4ELNS1_3repE0EEENS1_30default_config_static_selectorELNS0_4arch9wavefront6targetE1EEEvT1_
    .private_segment_fixed_size: 0
    .sgpr_count:     4
    .sgpr_spill_count: 0
    .symbol:         _ZN7rocprim17ROCPRIM_400000_NS6detail17trampoline_kernelINS0_14default_configENS1_20scan_config_selectorIfEEZZNS1_9scan_implILNS1_25lookback_scan_determinismE0ELb0ELb0ES3_N6thrust23THRUST_200600_302600_NS6detail15normal_iteratorINS9_10device_ptrIfEEEENSB_INSC_IiEEEEfNS9_4plusIvEEfEEDaPvRmT3_T4_T5_mT6_P12ihipStream_tbENKUlT_T0_E_clISt17integral_constantIbLb0EESV_IbLb1EEEEDaSR_SS_EUlSR_E_NS1_11comp_targetILNS1_3genE10ELNS1_11target_archE1200ELNS1_3gpuE4ELNS1_3repE0EEENS1_30default_config_static_selectorELNS0_4arch9wavefront6targetE1EEEvT1_.kd
    .uniform_work_group_size: 1
    .uses_dynamic_stack: false
    .vgpr_count:     0
    .vgpr_spill_count: 0
    .wavefront_size: 64
  - .agpr_count:     0
    .args:
      - .offset:         0
        .size:           96
        .value_kind:     by_value
    .group_segment_fixed_size: 0
    .kernarg_segment_align: 8
    .kernarg_segment_size: 96
    .language:       OpenCL C
    .language_version:
      - 2
      - 0
    .max_flat_workgroup_size: 256
    .name:           _ZN7rocprim17ROCPRIM_400000_NS6detail17trampoline_kernelINS0_14default_configENS1_20scan_config_selectorIfEEZZNS1_9scan_implILNS1_25lookback_scan_determinismE0ELb0ELb0ES3_N6thrust23THRUST_200600_302600_NS6detail15normal_iteratorINS9_10device_ptrIfEEEENSB_INSC_IiEEEEfNS9_4plusIvEEfEEDaPvRmT3_T4_T5_mT6_P12ihipStream_tbENKUlT_T0_E_clISt17integral_constantIbLb0EESV_IbLb1EEEEDaSR_SS_EUlSR_E_NS1_11comp_targetILNS1_3genE9ELNS1_11target_archE1100ELNS1_3gpuE3ELNS1_3repE0EEENS1_30default_config_static_selectorELNS0_4arch9wavefront6targetE1EEEvT1_
    .private_segment_fixed_size: 0
    .sgpr_count:     4
    .sgpr_spill_count: 0
    .symbol:         _ZN7rocprim17ROCPRIM_400000_NS6detail17trampoline_kernelINS0_14default_configENS1_20scan_config_selectorIfEEZZNS1_9scan_implILNS1_25lookback_scan_determinismE0ELb0ELb0ES3_N6thrust23THRUST_200600_302600_NS6detail15normal_iteratorINS9_10device_ptrIfEEEENSB_INSC_IiEEEEfNS9_4plusIvEEfEEDaPvRmT3_T4_T5_mT6_P12ihipStream_tbENKUlT_T0_E_clISt17integral_constantIbLb0EESV_IbLb1EEEEDaSR_SS_EUlSR_E_NS1_11comp_targetILNS1_3genE9ELNS1_11target_archE1100ELNS1_3gpuE3ELNS1_3repE0EEENS1_30default_config_static_selectorELNS0_4arch9wavefront6targetE1EEEvT1_.kd
    .uniform_work_group_size: 1
    .uses_dynamic_stack: false
    .vgpr_count:     0
    .vgpr_spill_count: 0
    .wavefront_size: 64
  - .agpr_count:     0
    .args:
      - .offset:         0
        .size:           96
        .value_kind:     by_value
    .group_segment_fixed_size: 0
    .kernarg_segment_align: 8
    .kernarg_segment_size: 96
    .language:       OpenCL C
    .language_version:
      - 2
      - 0
    .max_flat_workgroup_size: 64
    .name:           _ZN7rocprim17ROCPRIM_400000_NS6detail17trampoline_kernelINS0_14default_configENS1_20scan_config_selectorIfEEZZNS1_9scan_implILNS1_25lookback_scan_determinismE0ELb0ELb0ES3_N6thrust23THRUST_200600_302600_NS6detail15normal_iteratorINS9_10device_ptrIfEEEENSB_INSC_IiEEEEfNS9_4plusIvEEfEEDaPvRmT3_T4_T5_mT6_P12ihipStream_tbENKUlT_T0_E_clISt17integral_constantIbLb0EESV_IbLb1EEEEDaSR_SS_EUlSR_E_NS1_11comp_targetILNS1_3genE8ELNS1_11target_archE1030ELNS1_3gpuE2ELNS1_3repE0EEENS1_30default_config_static_selectorELNS0_4arch9wavefront6targetE1EEEvT1_
    .private_segment_fixed_size: 0
    .sgpr_count:     4
    .sgpr_spill_count: 0
    .symbol:         _ZN7rocprim17ROCPRIM_400000_NS6detail17trampoline_kernelINS0_14default_configENS1_20scan_config_selectorIfEEZZNS1_9scan_implILNS1_25lookback_scan_determinismE0ELb0ELb0ES3_N6thrust23THRUST_200600_302600_NS6detail15normal_iteratorINS9_10device_ptrIfEEEENSB_INSC_IiEEEEfNS9_4plusIvEEfEEDaPvRmT3_T4_T5_mT6_P12ihipStream_tbENKUlT_T0_E_clISt17integral_constantIbLb0EESV_IbLb1EEEEDaSR_SS_EUlSR_E_NS1_11comp_targetILNS1_3genE8ELNS1_11target_archE1030ELNS1_3gpuE2ELNS1_3repE0EEENS1_30default_config_static_selectorELNS0_4arch9wavefront6targetE1EEEvT1_.kd
    .uniform_work_group_size: 1
    .uses_dynamic_stack: false
    .vgpr_count:     0
    .vgpr_spill_count: 0
    .wavefront_size: 64
  - .agpr_count:     0
    .args:
      - .offset:         0
        .size:           32
        .value_kind:     by_value
    .group_segment_fixed_size: 0
    .kernarg_segment_align: 8
    .kernarg_segment_size: 32
    .language:       OpenCL C
    .language_version:
      - 2
      - 0
    .max_flat_workgroup_size: 256
    .name:           _ZN7rocprim17ROCPRIM_400000_NS6detail17trampoline_kernelINS0_14default_configENS1_20scan_config_selectorIfEEZZNS1_9scan_implILNS1_25lookback_scan_determinismE0ELb0ELb0ES3_N6thrust23THRUST_200600_302600_NS6detail15normal_iteratorINS9_10device_ptrIfEEEENSB_INSC_IiEEEEfNS9_4plusIvEEfEEDaPvRmT3_T4_T5_mT6_P12ihipStream_tbENKUlT_T0_E_clISt17integral_constantIbLb0EESV_IbLb1EEEEDaSR_SS_EUlSR_E0_NS1_11comp_targetILNS1_3genE0ELNS1_11target_archE4294967295ELNS1_3gpuE0ELNS1_3repE0EEENS1_30default_config_static_selectorELNS0_4arch9wavefront6targetE1EEEvT1_
    .private_segment_fixed_size: 0
    .sgpr_count:     4
    .sgpr_spill_count: 0
    .symbol:         _ZN7rocprim17ROCPRIM_400000_NS6detail17trampoline_kernelINS0_14default_configENS1_20scan_config_selectorIfEEZZNS1_9scan_implILNS1_25lookback_scan_determinismE0ELb0ELb0ES3_N6thrust23THRUST_200600_302600_NS6detail15normal_iteratorINS9_10device_ptrIfEEEENSB_INSC_IiEEEEfNS9_4plusIvEEfEEDaPvRmT3_T4_T5_mT6_P12ihipStream_tbENKUlT_T0_E_clISt17integral_constantIbLb0EESV_IbLb1EEEEDaSR_SS_EUlSR_E0_NS1_11comp_targetILNS1_3genE0ELNS1_11target_archE4294967295ELNS1_3gpuE0ELNS1_3repE0EEENS1_30default_config_static_selectorELNS0_4arch9wavefront6targetE1EEEvT1_.kd
    .uniform_work_group_size: 1
    .uses_dynamic_stack: false
    .vgpr_count:     0
    .vgpr_spill_count: 0
    .wavefront_size: 64
  - .agpr_count:     0
    .args:
      - .offset:         0
        .size:           32
        .value_kind:     by_value
    .group_segment_fixed_size: 0
    .kernarg_segment_align: 8
    .kernarg_segment_size: 32
    .language:       OpenCL C
    .language_version:
      - 2
      - 0
    .max_flat_workgroup_size: 256
    .name:           _ZN7rocprim17ROCPRIM_400000_NS6detail17trampoline_kernelINS0_14default_configENS1_20scan_config_selectorIfEEZZNS1_9scan_implILNS1_25lookback_scan_determinismE0ELb0ELb0ES3_N6thrust23THRUST_200600_302600_NS6detail15normal_iteratorINS9_10device_ptrIfEEEENSB_INSC_IiEEEEfNS9_4plusIvEEfEEDaPvRmT3_T4_T5_mT6_P12ihipStream_tbENKUlT_T0_E_clISt17integral_constantIbLb0EESV_IbLb1EEEEDaSR_SS_EUlSR_E0_NS1_11comp_targetILNS1_3genE5ELNS1_11target_archE942ELNS1_3gpuE9ELNS1_3repE0EEENS1_30default_config_static_selectorELNS0_4arch9wavefront6targetE1EEEvT1_
    .private_segment_fixed_size: 0
    .sgpr_count:     4
    .sgpr_spill_count: 0
    .symbol:         _ZN7rocprim17ROCPRIM_400000_NS6detail17trampoline_kernelINS0_14default_configENS1_20scan_config_selectorIfEEZZNS1_9scan_implILNS1_25lookback_scan_determinismE0ELb0ELb0ES3_N6thrust23THRUST_200600_302600_NS6detail15normal_iteratorINS9_10device_ptrIfEEEENSB_INSC_IiEEEEfNS9_4plusIvEEfEEDaPvRmT3_T4_T5_mT6_P12ihipStream_tbENKUlT_T0_E_clISt17integral_constantIbLb0EESV_IbLb1EEEEDaSR_SS_EUlSR_E0_NS1_11comp_targetILNS1_3genE5ELNS1_11target_archE942ELNS1_3gpuE9ELNS1_3repE0EEENS1_30default_config_static_selectorELNS0_4arch9wavefront6targetE1EEEvT1_.kd
    .uniform_work_group_size: 1
    .uses_dynamic_stack: false
    .vgpr_count:     0
    .vgpr_spill_count: 0
    .wavefront_size: 64
  - .agpr_count:     0
    .args:
      - .offset:         0
        .size:           32
        .value_kind:     by_value
    .group_segment_fixed_size: 7168
    .kernarg_segment_align: 8
    .kernarg_segment_size: 32
    .language:       OpenCL C
    .language_version:
      - 2
      - 0
    .max_flat_workgroup_size: 128
    .name:           _ZN7rocprim17ROCPRIM_400000_NS6detail17trampoline_kernelINS0_14default_configENS1_20scan_config_selectorIfEEZZNS1_9scan_implILNS1_25lookback_scan_determinismE0ELb0ELb0ES3_N6thrust23THRUST_200600_302600_NS6detail15normal_iteratorINS9_10device_ptrIfEEEENSB_INSC_IiEEEEfNS9_4plusIvEEfEEDaPvRmT3_T4_T5_mT6_P12ihipStream_tbENKUlT_T0_E_clISt17integral_constantIbLb0EESV_IbLb1EEEEDaSR_SS_EUlSR_E0_NS1_11comp_targetILNS1_3genE4ELNS1_11target_archE910ELNS1_3gpuE8ELNS1_3repE0EEENS1_30default_config_static_selectorELNS0_4arch9wavefront6targetE1EEEvT1_
    .private_segment_fixed_size: 0
    .sgpr_count:     42
    .sgpr_spill_count: 0
    .symbol:         _ZN7rocprim17ROCPRIM_400000_NS6detail17trampoline_kernelINS0_14default_configENS1_20scan_config_selectorIfEEZZNS1_9scan_implILNS1_25lookback_scan_determinismE0ELb0ELb0ES3_N6thrust23THRUST_200600_302600_NS6detail15normal_iteratorINS9_10device_ptrIfEEEENSB_INSC_IiEEEEfNS9_4plusIvEEfEEDaPvRmT3_T4_T5_mT6_P12ihipStream_tbENKUlT_T0_E_clISt17integral_constantIbLb0EESV_IbLb1EEEEDaSR_SS_EUlSR_E0_NS1_11comp_targetILNS1_3genE4ELNS1_11target_archE910ELNS1_3gpuE8ELNS1_3repE0EEENS1_30default_config_static_selectorELNS0_4arch9wavefront6targetE1EEEvT1_.kd
    .uniform_work_group_size: 1
    .uses_dynamic_stack: false
    .vgpr_count:     37
    .vgpr_spill_count: 0
    .wavefront_size: 64
  - .agpr_count:     0
    .args:
      - .offset:         0
        .size:           32
        .value_kind:     by_value
    .group_segment_fixed_size: 0
    .kernarg_segment_align: 8
    .kernarg_segment_size: 32
    .language:       OpenCL C
    .language_version:
      - 2
      - 0
    .max_flat_workgroup_size: 256
    .name:           _ZN7rocprim17ROCPRIM_400000_NS6detail17trampoline_kernelINS0_14default_configENS1_20scan_config_selectorIfEEZZNS1_9scan_implILNS1_25lookback_scan_determinismE0ELb0ELb0ES3_N6thrust23THRUST_200600_302600_NS6detail15normal_iteratorINS9_10device_ptrIfEEEENSB_INSC_IiEEEEfNS9_4plusIvEEfEEDaPvRmT3_T4_T5_mT6_P12ihipStream_tbENKUlT_T0_E_clISt17integral_constantIbLb0EESV_IbLb1EEEEDaSR_SS_EUlSR_E0_NS1_11comp_targetILNS1_3genE3ELNS1_11target_archE908ELNS1_3gpuE7ELNS1_3repE0EEENS1_30default_config_static_selectorELNS0_4arch9wavefront6targetE1EEEvT1_
    .private_segment_fixed_size: 0
    .sgpr_count:     4
    .sgpr_spill_count: 0
    .symbol:         _ZN7rocprim17ROCPRIM_400000_NS6detail17trampoline_kernelINS0_14default_configENS1_20scan_config_selectorIfEEZZNS1_9scan_implILNS1_25lookback_scan_determinismE0ELb0ELb0ES3_N6thrust23THRUST_200600_302600_NS6detail15normal_iteratorINS9_10device_ptrIfEEEENSB_INSC_IiEEEEfNS9_4plusIvEEfEEDaPvRmT3_T4_T5_mT6_P12ihipStream_tbENKUlT_T0_E_clISt17integral_constantIbLb0EESV_IbLb1EEEEDaSR_SS_EUlSR_E0_NS1_11comp_targetILNS1_3genE3ELNS1_11target_archE908ELNS1_3gpuE7ELNS1_3repE0EEENS1_30default_config_static_selectorELNS0_4arch9wavefront6targetE1EEEvT1_.kd
    .uniform_work_group_size: 1
    .uses_dynamic_stack: false
    .vgpr_count:     0
    .vgpr_spill_count: 0
    .wavefront_size: 64
  - .agpr_count:     0
    .args:
      - .offset:         0
        .size:           32
        .value_kind:     by_value
    .group_segment_fixed_size: 0
    .kernarg_segment_align: 8
    .kernarg_segment_size: 32
    .language:       OpenCL C
    .language_version:
      - 2
      - 0
    .max_flat_workgroup_size: 256
    .name:           _ZN7rocprim17ROCPRIM_400000_NS6detail17trampoline_kernelINS0_14default_configENS1_20scan_config_selectorIfEEZZNS1_9scan_implILNS1_25lookback_scan_determinismE0ELb0ELb0ES3_N6thrust23THRUST_200600_302600_NS6detail15normal_iteratorINS9_10device_ptrIfEEEENSB_INSC_IiEEEEfNS9_4plusIvEEfEEDaPvRmT3_T4_T5_mT6_P12ihipStream_tbENKUlT_T0_E_clISt17integral_constantIbLb0EESV_IbLb1EEEEDaSR_SS_EUlSR_E0_NS1_11comp_targetILNS1_3genE2ELNS1_11target_archE906ELNS1_3gpuE6ELNS1_3repE0EEENS1_30default_config_static_selectorELNS0_4arch9wavefront6targetE1EEEvT1_
    .private_segment_fixed_size: 0
    .sgpr_count:     4
    .sgpr_spill_count: 0
    .symbol:         _ZN7rocprim17ROCPRIM_400000_NS6detail17trampoline_kernelINS0_14default_configENS1_20scan_config_selectorIfEEZZNS1_9scan_implILNS1_25lookback_scan_determinismE0ELb0ELb0ES3_N6thrust23THRUST_200600_302600_NS6detail15normal_iteratorINS9_10device_ptrIfEEEENSB_INSC_IiEEEEfNS9_4plusIvEEfEEDaPvRmT3_T4_T5_mT6_P12ihipStream_tbENKUlT_T0_E_clISt17integral_constantIbLb0EESV_IbLb1EEEEDaSR_SS_EUlSR_E0_NS1_11comp_targetILNS1_3genE2ELNS1_11target_archE906ELNS1_3gpuE6ELNS1_3repE0EEENS1_30default_config_static_selectorELNS0_4arch9wavefront6targetE1EEEvT1_.kd
    .uniform_work_group_size: 1
    .uses_dynamic_stack: false
    .vgpr_count:     0
    .vgpr_spill_count: 0
    .wavefront_size: 64
  - .agpr_count:     0
    .args:
      - .offset:         0
        .size:           32
        .value_kind:     by_value
    .group_segment_fixed_size: 0
    .kernarg_segment_align: 8
    .kernarg_segment_size: 32
    .language:       OpenCL C
    .language_version:
      - 2
      - 0
    .max_flat_workgroup_size: 256
    .name:           _ZN7rocprim17ROCPRIM_400000_NS6detail17trampoline_kernelINS0_14default_configENS1_20scan_config_selectorIfEEZZNS1_9scan_implILNS1_25lookback_scan_determinismE0ELb0ELb0ES3_N6thrust23THRUST_200600_302600_NS6detail15normal_iteratorINS9_10device_ptrIfEEEENSB_INSC_IiEEEEfNS9_4plusIvEEfEEDaPvRmT3_T4_T5_mT6_P12ihipStream_tbENKUlT_T0_E_clISt17integral_constantIbLb0EESV_IbLb1EEEEDaSR_SS_EUlSR_E0_NS1_11comp_targetILNS1_3genE10ELNS1_11target_archE1201ELNS1_3gpuE5ELNS1_3repE0EEENS1_30default_config_static_selectorELNS0_4arch9wavefront6targetE1EEEvT1_
    .private_segment_fixed_size: 0
    .sgpr_count:     4
    .sgpr_spill_count: 0
    .symbol:         _ZN7rocprim17ROCPRIM_400000_NS6detail17trampoline_kernelINS0_14default_configENS1_20scan_config_selectorIfEEZZNS1_9scan_implILNS1_25lookback_scan_determinismE0ELb0ELb0ES3_N6thrust23THRUST_200600_302600_NS6detail15normal_iteratorINS9_10device_ptrIfEEEENSB_INSC_IiEEEEfNS9_4plusIvEEfEEDaPvRmT3_T4_T5_mT6_P12ihipStream_tbENKUlT_T0_E_clISt17integral_constantIbLb0EESV_IbLb1EEEEDaSR_SS_EUlSR_E0_NS1_11comp_targetILNS1_3genE10ELNS1_11target_archE1201ELNS1_3gpuE5ELNS1_3repE0EEENS1_30default_config_static_selectorELNS0_4arch9wavefront6targetE1EEEvT1_.kd
    .uniform_work_group_size: 1
    .uses_dynamic_stack: false
    .vgpr_count:     0
    .vgpr_spill_count: 0
    .wavefront_size: 64
  - .agpr_count:     0
    .args:
      - .offset:         0
        .size:           32
        .value_kind:     by_value
    .group_segment_fixed_size: 0
    .kernarg_segment_align: 8
    .kernarg_segment_size: 32
    .language:       OpenCL C
    .language_version:
      - 2
      - 0
    .max_flat_workgroup_size: 256
    .name:           _ZN7rocprim17ROCPRIM_400000_NS6detail17trampoline_kernelINS0_14default_configENS1_20scan_config_selectorIfEEZZNS1_9scan_implILNS1_25lookback_scan_determinismE0ELb0ELb0ES3_N6thrust23THRUST_200600_302600_NS6detail15normal_iteratorINS9_10device_ptrIfEEEENSB_INSC_IiEEEEfNS9_4plusIvEEfEEDaPvRmT3_T4_T5_mT6_P12ihipStream_tbENKUlT_T0_E_clISt17integral_constantIbLb0EESV_IbLb1EEEEDaSR_SS_EUlSR_E0_NS1_11comp_targetILNS1_3genE10ELNS1_11target_archE1200ELNS1_3gpuE4ELNS1_3repE0EEENS1_30default_config_static_selectorELNS0_4arch9wavefront6targetE1EEEvT1_
    .private_segment_fixed_size: 0
    .sgpr_count:     4
    .sgpr_spill_count: 0
    .symbol:         _ZN7rocprim17ROCPRIM_400000_NS6detail17trampoline_kernelINS0_14default_configENS1_20scan_config_selectorIfEEZZNS1_9scan_implILNS1_25lookback_scan_determinismE0ELb0ELb0ES3_N6thrust23THRUST_200600_302600_NS6detail15normal_iteratorINS9_10device_ptrIfEEEENSB_INSC_IiEEEEfNS9_4plusIvEEfEEDaPvRmT3_T4_T5_mT6_P12ihipStream_tbENKUlT_T0_E_clISt17integral_constantIbLb0EESV_IbLb1EEEEDaSR_SS_EUlSR_E0_NS1_11comp_targetILNS1_3genE10ELNS1_11target_archE1200ELNS1_3gpuE4ELNS1_3repE0EEENS1_30default_config_static_selectorELNS0_4arch9wavefront6targetE1EEEvT1_.kd
    .uniform_work_group_size: 1
    .uses_dynamic_stack: false
    .vgpr_count:     0
    .vgpr_spill_count: 0
    .wavefront_size: 64
  - .agpr_count:     0
    .args:
      - .offset:         0
        .size:           32
        .value_kind:     by_value
    .group_segment_fixed_size: 0
    .kernarg_segment_align: 8
    .kernarg_segment_size: 32
    .language:       OpenCL C
    .language_version:
      - 2
      - 0
    .max_flat_workgroup_size: 256
    .name:           _ZN7rocprim17ROCPRIM_400000_NS6detail17trampoline_kernelINS0_14default_configENS1_20scan_config_selectorIfEEZZNS1_9scan_implILNS1_25lookback_scan_determinismE0ELb0ELb0ES3_N6thrust23THRUST_200600_302600_NS6detail15normal_iteratorINS9_10device_ptrIfEEEENSB_INSC_IiEEEEfNS9_4plusIvEEfEEDaPvRmT3_T4_T5_mT6_P12ihipStream_tbENKUlT_T0_E_clISt17integral_constantIbLb0EESV_IbLb1EEEEDaSR_SS_EUlSR_E0_NS1_11comp_targetILNS1_3genE9ELNS1_11target_archE1100ELNS1_3gpuE3ELNS1_3repE0EEENS1_30default_config_static_selectorELNS0_4arch9wavefront6targetE1EEEvT1_
    .private_segment_fixed_size: 0
    .sgpr_count:     4
    .sgpr_spill_count: 0
    .symbol:         _ZN7rocprim17ROCPRIM_400000_NS6detail17trampoline_kernelINS0_14default_configENS1_20scan_config_selectorIfEEZZNS1_9scan_implILNS1_25lookback_scan_determinismE0ELb0ELb0ES3_N6thrust23THRUST_200600_302600_NS6detail15normal_iteratorINS9_10device_ptrIfEEEENSB_INSC_IiEEEEfNS9_4plusIvEEfEEDaPvRmT3_T4_T5_mT6_P12ihipStream_tbENKUlT_T0_E_clISt17integral_constantIbLb0EESV_IbLb1EEEEDaSR_SS_EUlSR_E0_NS1_11comp_targetILNS1_3genE9ELNS1_11target_archE1100ELNS1_3gpuE3ELNS1_3repE0EEENS1_30default_config_static_selectorELNS0_4arch9wavefront6targetE1EEEvT1_.kd
    .uniform_work_group_size: 1
    .uses_dynamic_stack: false
    .vgpr_count:     0
    .vgpr_spill_count: 0
    .wavefront_size: 64
  - .agpr_count:     0
    .args:
      - .offset:         0
        .size:           32
        .value_kind:     by_value
    .group_segment_fixed_size: 0
    .kernarg_segment_align: 8
    .kernarg_segment_size: 32
    .language:       OpenCL C
    .language_version:
      - 2
      - 0
    .max_flat_workgroup_size: 64
    .name:           _ZN7rocprim17ROCPRIM_400000_NS6detail17trampoline_kernelINS0_14default_configENS1_20scan_config_selectorIfEEZZNS1_9scan_implILNS1_25lookback_scan_determinismE0ELb0ELb0ES3_N6thrust23THRUST_200600_302600_NS6detail15normal_iteratorINS9_10device_ptrIfEEEENSB_INSC_IiEEEEfNS9_4plusIvEEfEEDaPvRmT3_T4_T5_mT6_P12ihipStream_tbENKUlT_T0_E_clISt17integral_constantIbLb0EESV_IbLb1EEEEDaSR_SS_EUlSR_E0_NS1_11comp_targetILNS1_3genE8ELNS1_11target_archE1030ELNS1_3gpuE2ELNS1_3repE0EEENS1_30default_config_static_selectorELNS0_4arch9wavefront6targetE1EEEvT1_
    .private_segment_fixed_size: 0
    .sgpr_count:     4
    .sgpr_spill_count: 0
    .symbol:         _ZN7rocprim17ROCPRIM_400000_NS6detail17trampoline_kernelINS0_14default_configENS1_20scan_config_selectorIfEEZZNS1_9scan_implILNS1_25lookback_scan_determinismE0ELb0ELb0ES3_N6thrust23THRUST_200600_302600_NS6detail15normal_iteratorINS9_10device_ptrIfEEEENSB_INSC_IiEEEEfNS9_4plusIvEEfEEDaPvRmT3_T4_T5_mT6_P12ihipStream_tbENKUlT_T0_E_clISt17integral_constantIbLb0EESV_IbLb1EEEEDaSR_SS_EUlSR_E0_NS1_11comp_targetILNS1_3genE8ELNS1_11target_archE1030ELNS1_3gpuE2ELNS1_3repE0EEENS1_30default_config_static_selectorELNS0_4arch9wavefront6targetE1EEEvT1_.kd
    .uniform_work_group_size: 1
    .uses_dynamic_stack: false
    .vgpr_count:     0
    .vgpr_spill_count: 0
    .wavefront_size: 64
  - .agpr_count:     0
    .args:
      - .offset:         0
        .size:           24
        .value_kind:     by_value
      - .offset:         24
        .size:           8
        .value_kind:     by_value
      - .offset:         32
        .size:           8
        .value_kind:     by_value
    .group_segment_fixed_size: 0
    .kernarg_segment_align: 8
    .kernarg_segment_size: 40
    .language:       OpenCL C
    .language_version:
      - 2
      - 0
    .max_flat_workgroup_size: 256
    .name:           _ZN6thrust23THRUST_200600_302600_NS11hip_rocprim14__parallel_for6kernelILj256ENS1_11__transform17unary_transform_fINS0_10device_ptrIfEENS6_IiEENS4_14no_stencil_tagENS0_8identityIfEENS4_21always_true_predicateEEElLj1EEEvT0_T1_SF_
    .private_segment_fixed_size: 0
    .sgpr_count:     16
    .sgpr_spill_count: 0
    .symbol:         _ZN6thrust23THRUST_200600_302600_NS11hip_rocprim14__parallel_for6kernelILj256ENS1_11__transform17unary_transform_fINS0_10device_ptrIfEENS6_IiEENS4_14no_stencil_tagENS0_8identityIfEENS4_21always_true_predicateEEElLj1EEEvT0_T1_SF_.kd
    .uniform_work_group_size: 1
    .uses_dynamic_stack: false
    .vgpr_count:     6
    .vgpr_spill_count: 0
    .wavefront_size: 64
  - .agpr_count:     0
    .args:
      - .offset:         0
        .size:           96
        .value_kind:     by_value
    .group_segment_fixed_size: 0
    .kernarg_segment_align: 8
    .kernarg_segment_size: 96
    .language:       OpenCL C
    .language_version:
      - 2
      - 0
    .max_flat_workgroup_size: 256
    .name:           _ZN7rocprim17ROCPRIM_400000_NS6detail17trampoline_kernelINS0_14default_configENS1_20scan_config_selectorIfEEZZNS1_9scan_implILNS1_25lookback_scan_determinismE0ELb0ELb0ES3_N6thrust23THRUST_200600_302600_NS6detail15normal_iteratorINS9_10device_ptrIfEEEESE_fNS9_4plusIiEEfEEDaPvRmT3_T4_T5_mT6_P12ihipStream_tbENKUlT_T0_E_clISt17integral_constantIbLb0EESU_EEDaSP_SQ_EUlSP_E_NS1_11comp_targetILNS1_3genE0ELNS1_11target_archE4294967295ELNS1_3gpuE0ELNS1_3repE0EEENS1_30default_config_static_selectorELNS0_4arch9wavefront6targetE1EEEvT1_
    .private_segment_fixed_size: 0
    .sgpr_count:     4
    .sgpr_spill_count: 0
    .symbol:         _ZN7rocprim17ROCPRIM_400000_NS6detail17trampoline_kernelINS0_14default_configENS1_20scan_config_selectorIfEEZZNS1_9scan_implILNS1_25lookback_scan_determinismE0ELb0ELb0ES3_N6thrust23THRUST_200600_302600_NS6detail15normal_iteratorINS9_10device_ptrIfEEEESE_fNS9_4plusIiEEfEEDaPvRmT3_T4_T5_mT6_P12ihipStream_tbENKUlT_T0_E_clISt17integral_constantIbLb0EESU_EEDaSP_SQ_EUlSP_E_NS1_11comp_targetILNS1_3genE0ELNS1_11target_archE4294967295ELNS1_3gpuE0ELNS1_3repE0EEENS1_30default_config_static_selectorELNS0_4arch9wavefront6targetE1EEEvT1_.kd
    .uniform_work_group_size: 1
    .uses_dynamic_stack: false
    .vgpr_count:     0
    .vgpr_spill_count: 0
    .wavefront_size: 64
  - .agpr_count:     0
    .args:
      - .offset:         0
        .size:           96
        .value_kind:     by_value
    .group_segment_fixed_size: 0
    .kernarg_segment_align: 8
    .kernarg_segment_size: 96
    .language:       OpenCL C
    .language_version:
      - 2
      - 0
    .max_flat_workgroup_size: 256
    .name:           _ZN7rocprim17ROCPRIM_400000_NS6detail17trampoline_kernelINS0_14default_configENS1_20scan_config_selectorIfEEZZNS1_9scan_implILNS1_25lookback_scan_determinismE0ELb0ELb0ES3_N6thrust23THRUST_200600_302600_NS6detail15normal_iteratorINS9_10device_ptrIfEEEESE_fNS9_4plusIiEEfEEDaPvRmT3_T4_T5_mT6_P12ihipStream_tbENKUlT_T0_E_clISt17integral_constantIbLb0EESU_EEDaSP_SQ_EUlSP_E_NS1_11comp_targetILNS1_3genE5ELNS1_11target_archE942ELNS1_3gpuE9ELNS1_3repE0EEENS1_30default_config_static_selectorELNS0_4arch9wavefront6targetE1EEEvT1_
    .private_segment_fixed_size: 0
    .sgpr_count:     4
    .sgpr_spill_count: 0
    .symbol:         _ZN7rocprim17ROCPRIM_400000_NS6detail17trampoline_kernelINS0_14default_configENS1_20scan_config_selectorIfEEZZNS1_9scan_implILNS1_25lookback_scan_determinismE0ELb0ELb0ES3_N6thrust23THRUST_200600_302600_NS6detail15normal_iteratorINS9_10device_ptrIfEEEESE_fNS9_4plusIiEEfEEDaPvRmT3_T4_T5_mT6_P12ihipStream_tbENKUlT_T0_E_clISt17integral_constantIbLb0EESU_EEDaSP_SQ_EUlSP_E_NS1_11comp_targetILNS1_3genE5ELNS1_11target_archE942ELNS1_3gpuE9ELNS1_3repE0EEENS1_30default_config_static_selectorELNS0_4arch9wavefront6targetE1EEEvT1_.kd
    .uniform_work_group_size: 1
    .uses_dynamic_stack: false
    .vgpr_count:     0
    .vgpr_spill_count: 0
    .wavefront_size: 64
  - .agpr_count:     0
    .args:
      - .offset:         0
        .size:           96
        .value_kind:     by_value
    .group_segment_fixed_size: 7168
    .kernarg_segment_align: 8
    .kernarg_segment_size: 96
    .language:       OpenCL C
    .language_version:
      - 2
      - 0
    .max_flat_workgroup_size: 128
    .name:           _ZN7rocprim17ROCPRIM_400000_NS6detail17trampoline_kernelINS0_14default_configENS1_20scan_config_selectorIfEEZZNS1_9scan_implILNS1_25lookback_scan_determinismE0ELb0ELb0ES3_N6thrust23THRUST_200600_302600_NS6detail15normal_iteratorINS9_10device_ptrIfEEEESE_fNS9_4plusIiEEfEEDaPvRmT3_T4_T5_mT6_P12ihipStream_tbENKUlT_T0_E_clISt17integral_constantIbLb0EESU_EEDaSP_SQ_EUlSP_E_NS1_11comp_targetILNS1_3genE4ELNS1_11target_archE910ELNS1_3gpuE8ELNS1_3repE0EEENS1_30default_config_static_selectorELNS0_4arch9wavefront6targetE1EEEvT1_
    .private_segment_fixed_size: 0
    .sgpr_count:     32
    .sgpr_spill_count: 0
    .symbol:         _ZN7rocprim17ROCPRIM_400000_NS6detail17trampoline_kernelINS0_14default_configENS1_20scan_config_selectorIfEEZZNS1_9scan_implILNS1_25lookback_scan_determinismE0ELb0ELb0ES3_N6thrust23THRUST_200600_302600_NS6detail15normal_iteratorINS9_10device_ptrIfEEEESE_fNS9_4plusIiEEfEEDaPvRmT3_T4_T5_mT6_P12ihipStream_tbENKUlT_T0_E_clISt17integral_constantIbLb0EESU_EEDaSP_SQ_EUlSP_E_NS1_11comp_targetILNS1_3genE4ELNS1_11target_archE910ELNS1_3gpuE8ELNS1_3repE0EEENS1_30default_config_static_selectorELNS0_4arch9wavefront6targetE1EEEvT1_.kd
    .uniform_work_group_size: 1
    .uses_dynamic_stack: false
    .vgpr_count:     62
    .vgpr_spill_count: 0
    .wavefront_size: 64
  - .agpr_count:     0
    .args:
      - .offset:         0
        .size:           96
        .value_kind:     by_value
    .group_segment_fixed_size: 0
    .kernarg_segment_align: 8
    .kernarg_segment_size: 96
    .language:       OpenCL C
    .language_version:
      - 2
      - 0
    .max_flat_workgroup_size: 256
    .name:           _ZN7rocprim17ROCPRIM_400000_NS6detail17trampoline_kernelINS0_14default_configENS1_20scan_config_selectorIfEEZZNS1_9scan_implILNS1_25lookback_scan_determinismE0ELb0ELb0ES3_N6thrust23THRUST_200600_302600_NS6detail15normal_iteratorINS9_10device_ptrIfEEEESE_fNS9_4plusIiEEfEEDaPvRmT3_T4_T5_mT6_P12ihipStream_tbENKUlT_T0_E_clISt17integral_constantIbLb0EESU_EEDaSP_SQ_EUlSP_E_NS1_11comp_targetILNS1_3genE3ELNS1_11target_archE908ELNS1_3gpuE7ELNS1_3repE0EEENS1_30default_config_static_selectorELNS0_4arch9wavefront6targetE1EEEvT1_
    .private_segment_fixed_size: 0
    .sgpr_count:     4
    .sgpr_spill_count: 0
    .symbol:         _ZN7rocprim17ROCPRIM_400000_NS6detail17trampoline_kernelINS0_14default_configENS1_20scan_config_selectorIfEEZZNS1_9scan_implILNS1_25lookback_scan_determinismE0ELb0ELb0ES3_N6thrust23THRUST_200600_302600_NS6detail15normal_iteratorINS9_10device_ptrIfEEEESE_fNS9_4plusIiEEfEEDaPvRmT3_T4_T5_mT6_P12ihipStream_tbENKUlT_T0_E_clISt17integral_constantIbLb0EESU_EEDaSP_SQ_EUlSP_E_NS1_11comp_targetILNS1_3genE3ELNS1_11target_archE908ELNS1_3gpuE7ELNS1_3repE0EEENS1_30default_config_static_selectorELNS0_4arch9wavefront6targetE1EEEvT1_.kd
    .uniform_work_group_size: 1
    .uses_dynamic_stack: false
    .vgpr_count:     0
    .vgpr_spill_count: 0
    .wavefront_size: 64
  - .agpr_count:     0
    .args:
      - .offset:         0
        .size:           96
        .value_kind:     by_value
    .group_segment_fixed_size: 0
    .kernarg_segment_align: 8
    .kernarg_segment_size: 96
    .language:       OpenCL C
    .language_version:
      - 2
      - 0
    .max_flat_workgroup_size: 256
    .name:           _ZN7rocprim17ROCPRIM_400000_NS6detail17trampoline_kernelINS0_14default_configENS1_20scan_config_selectorIfEEZZNS1_9scan_implILNS1_25lookback_scan_determinismE0ELb0ELb0ES3_N6thrust23THRUST_200600_302600_NS6detail15normal_iteratorINS9_10device_ptrIfEEEESE_fNS9_4plusIiEEfEEDaPvRmT3_T4_T5_mT6_P12ihipStream_tbENKUlT_T0_E_clISt17integral_constantIbLb0EESU_EEDaSP_SQ_EUlSP_E_NS1_11comp_targetILNS1_3genE2ELNS1_11target_archE906ELNS1_3gpuE6ELNS1_3repE0EEENS1_30default_config_static_selectorELNS0_4arch9wavefront6targetE1EEEvT1_
    .private_segment_fixed_size: 0
    .sgpr_count:     4
    .sgpr_spill_count: 0
    .symbol:         _ZN7rocprim17ROCPRIM_400000_NS6detail17trampoline_kernelINS0_14default_configENS1_20scan_config_selectorIfEEZZNS1_9scan_implILNS1_25lookback_scan_determinismE0ELb0ELb0ES3_N6thrust23THRUST_200600_302600_NS6detail15normal_iteratorINS9_10device_ptrIfEEEESE_fNS9_4plusIiEEfEEDaPvRmT3_T4_T5_mT6_P12ihipStream_tbENKUlT_T0_E_clISt17integral_constantIbLb0EESU_EEDaSP_SQ_EUlSP_E_NS1_11comp_targetILNS1_3genE2ELNS1_11target_archE906ELNS1_3gpuE6ELNS1_3repE0EEENS1_30default_config_static_selectorELNS0_4arch9wavefront6targetE1EEEvT1_.kd
    .uniform_work_group_size: 1
    .uses_dynamic_stack: false
    .vgpr_count:     0
    .vgpr_spill_count: 0
    .wavefront_size: 64
  - .agpr_count:     0
    .args:
      - .offset:         0
        .size:           96
        .value_kind:     by_value
    .group_segment_fixed_size: 0
    .kernarg_segment_align: 8
    .kernarg_segment_size: 96
    .language:       OpenCL C
    .language_version:
      - 2
      - 0
    .max_flat_workgroup_size: 256
    .name:           _ZN7rocprim17ROCPRIM_400000_NS6detail17trampoline_kernelINS0_14default_configENS1_20scan_config_selectorIfEEZZNS1_9scan_implILNS1_25lookback_scan_determinismE0ELb0ELb0ES3_N6thrust23THRUST_200600_302600_NS6detail15normal_iteratorINS9_10device_ptrIfEEEESE_fNS9_4plusIiEEfEEDaPvRmT3_T4_T5_mT6_P12ihipStream_tbENKUlT_T0_E_clISt17integral_constantIbLb0EESU_EEDaSP_SQ_EUlSP_E_NS1_11comp_targetILNS1_3genE10ELNS1_11target_archE1201ELNS1_3gpuE5ELNS1_3repE0EEENS1_30default_config_static_selectorELNS0_4arch9wavefront6targetE1EEEvT1_
    .private_segment_fixed_size: 0
    .sgpr_count:     4
    .sgpr_spill_count: 0
    .symbol:         _ZN7rocprim17ROCPRIM_400000_NS6detail17trampoline_kernelINS0_14default_configENS1_20scan_config_selectorIfEEZZNS1_9scan_implILNS1_25lookback_scan_determinismE0ELb0ELb0ES3_N6thrust23THRUST_200600_302600_NS6detail15normal_iteratorINS9_10device_ptrIfEEEESE_fNS9_4plusIiEEfEEDaPvRmT3_T4_T5_mT6_P12ihipStream_tbENKUlT_T0_E_clISt17integral_constantIbLb0EESU_EEDaSP_SQ_EUlSP_E_NS1_11comp_targetILNS1_3genE10ELNS1_11target_archE1201ELNS1_3gpuE5ELNS1_3repE0EEENS1_30default_config_static_selectorELNS0_4arch9wavefront6targetE1EEEvT1_.kd
    .uniform_work_group_size: 1
    .uses_dynamic_stack: false
    .vgpr_count:     0
    .vgpr_spill_count: 0
    .wavefront_size: 64
  - .agpr_count:     0
    .args:
      - .offset:         0
        .size:           96
        .value_kind:     by_value
    .group_segment_fixed_size: 0
    .kernarg_segment_align: 8
    .kernarg_segment_size: 96
    .language:       OpenCL C
    .language_version:
      - 2
      - 0
    .max_flat_workgroup_size: 256
    .name:           _ZN7rocprim17ROCPRIM_400000_NS6detail17trampoline_kernelINS0_14default_configENS1_20scan_config_selectorIfEEZZNS1_9scan_implILNS1_25lookback_scan_determinismE0ELb0ELb0ES3_N6thrust23THRUST_200600_302600_NS6detail15normal_iteratorINS9_10device_ptrIfEEEESE_fNS9_4plusIiEEfEEDaPvRmT3_T4_T5_mT6_P12ihipStream_tbENKUlT_T0_E_clISt17integral_constantIbLb0EESU_EEDaSP_SQ_EUlSP_E_NS1_11comp_targetILNS1_3genE10ELNS1_11target_archE1200ELNS1_3gpuE4ELNS1_3repE0EEENS1_30default_config_static_selectorELNS0_4arch9wavefront6targetE1EEEvT1_
    .private_segment_fixed_size: 0
    .sgpr_count:     4
    .sgpr_spill_count: 0
    .symbol:         _ZN7rocprim17ROCPRIM_400000_NS6detail17trampoline_kernelINS0_14default_configENS1_20scan_config_selectorIfEEZZNS1_9scan_implILNS1_25lookback_scan_determinismE0ELb0ELb0ES3_N6thrust23THRUST_200600_302600_NS6detail15normal_iteratorINS9_10device_ptrIfEEEESE_fNS9_4plusIiEEfEEDaPvRmT3_T4_T5_mT6_P12ihipStream_tbENKUlT_T0_E_clISt17integral_constantIbLb0EESU_EEDaSP_SQ_EUlSP_E_NS1_11comp_targetILNS1_3genE10ELNS1_11target_archE1200ELNS1_3gpuE4ELNS1_3repE0EEENS1_30default_config_static_selectorELNS0_4arch9wavefront6targetE1EEEvT1_.kd
    .uniform_work_group_size: 1
    .uses_dynamic_stack: false
    .vgpr_count:     0
    .vgpr_spill_count: 0
    .wavefront_size: 64
  - .agpr_count:     0
    .args:
      - .offset:         0
        .size:           96
        .value_kind:     by_value
    .group_segment_fixed_size: 0
    .kernarg_segment_align: 8
    .kernarg_segment_size: 96
    .language:       OpenCL C
    .language_version:
      - 2
      - 0
    .max_flat_workgroup_size: 256
    .name:           _ZN7rocprim17ROCPRIM_400000_NS6detail17trampoline_kernelINS0_14default_configENS1_20scan_config_selectorIfEEZZNS1_9scan_implILNS1_25lookback_scan_determinismE0ELb0ELb0ES3_N6thrust23THRUST_200600_302600_NS6detail15normal_iteratorINS9_10device_ptrIfEEEESE_fNS9_4plusIiEEfEEDaPvRmT3_T4_T5_mT6_P12ihipStream_tbENKUlT_T0_E_clISt17integral_constantIbLb0EESU_EEDaSP_SQ_EUlSP_E_NS1_11comp_targetILNS1_3genE9ELNS1_11target_archE1100ELNS1_3gpuE3ELNS1_3repE0EEENS1_30default_config_static_selectorELNS0_4arch9wavefront6targetE1EEEvT1_
    .private_segment_fixed_size: 0
    .sgpr_count:     4
    .sgpr_spill_count: 0
    .symbol:         _ZN7rocprim17ROCPRIM_400000_NS6detail17trampoline_kernelINS0_14default_configENS1_20scan_config_selectorIfEEZZNS1_9scan_implILNS1_25lookback_scan_determinismE0ELb0ELb0ES3_N6thrust23THRUST_200600_302600_NS6detail15normal_iteratorINS9_10device_ptrIfEEEESE_fNS9_4plusIiEEfEEDaPvRmT3_T4_T5_mT6_P12ihipStream_tbENKUlT_T0_E_clISt17integral_constantIbLb0EESU_EEDaSP_SQ_EUlSP_E_NS1_11comp_targetILNS1_3genE9ELNS1_11target_archE1100ELNS1_3gpuE3ELNS1_3repE0EEENS1_30default_config_static_selectorELNS0_4arch9wavefront6targetE1EEEvT1_.kd
    .uniform_work_group_size: 1
    .uses_dynamic_stack: false
    .vgpr_count:     0
    .vgpr_spill_count: 0
    .wavefront_size: 64
  - .agpr_count:     0
    .args:
      - .offset:         0
        .size:           96
        .value_kind:     by_value
    .group_segment_fixed_size: 0
    .kernarg_segment_align: 8
    .kernarg_segment_size: 96
    .language:       OpenCL C
    .language_version:
      - 2
      - 0
    .max_flat_workgroup_size: 64
    .name:           _ZN7rocprim17ROCPRIM_400000_NS6detail17trampoline_kernelINS0_14default_configENS1_20scan_config_selectorIfEEZZNS1_9scan_implILNS1_25lookback_scan_determinismE0ELb0ELb0ES3_N6thrust23THRUST_200600_302600_NS6detail15normal_iteratorINS9_10device_ptrIfEEEESE_fNS9_4plusIiEEfEEDaPvRmT3_T4_T5_mT6_P12ihipStream_tbENKUlT_T0_E_clISt17integral_constantIbLb0EESU_EEDaSP_SQ_EUlSP_E_NS1_11comp_targetILNS1_3genE8ELNS1_11target_archE1030ELNS1_3gpuE2ELNS1_3repE0EEENS1_30default_config_static_selectorELNS0_4arch9wavefront6targetE1EEEvT1_
    .private_segment_fixed_size: 0
    .sgpr_count:     4
    .sgpr_spill_count: 0
    .symbol:         _ZN7rocprim17ROCPRIM_400000_NS6detail17trampoline_kernelINS0_14default_configENS1_20scan_config_selectorIfEEZZNS1_9scan_implILNS1_25lookback_scan_determinismE0ELb0ELb0ES3_N6thrust23THRUST_200600_302600_NS6detail15normal_iteratorINS9_10device_ptrIfEEEESE_fNS9_4plusIiEEfEEDaPvRmT3_T4_T5_mT6_P12ihipStream_tbENKUlT_T0_E_clISt17integral_constantIbLb0EESU_EEDaSP_SQ_EUlSP_E_NS1_11comp_targetILNS1_3genE8ELNS1_11target_archE1030ELNS1_3gpuE2ELNS1_3repE0EEENS1_30default_config_static_selectorELNS0_4arch9wavefront6targetE1EEEvT1_.kd
    .uniform_work_group_size: 1
    .uses_dynamic_stack: false
    .vgpr_count:     0
    .vgpr_spill_count: 0
    .wavefront_size: 64
  - .agpr_count:     0
    .args:
      - .offset:         0
        .size:           32
        .value_kind:     by_value
    .group_segment_fixed_size: 0
    .kernarg_segment_align: 8
    .kernarg_segment_size: 32
    .language:       OpenCL C
    .language_version:
      - 2
      - 0
    .max_flat_workgroup_size: 256
    .name:           _ZN7rocprim17ROCPRIM_400000_NS6detail17trampoline_kernelINS0_14default_configENS1_20scan_config_selectorIfEEZZNS1_9scan_implILNS1_25lookback_scan_determinismE0ELb0ELb0ES3_N6thrust23THRUST_200600_302600_NS6detail15normal_iteratorINS9_10device_ptrIfEEEESE_fNS9_4plusIiEEfEEDaPvRmT3_T4_T5_mT6_P12ihipStream_tbENKUlT_T0_E_clISt17integral_constantIbLb0EESU_EEDaSP_SQ_EUlSP_E0_NS1_11comp_targetILNS1_3genE0ELNS1_11target_archE4294967295ELNS1_3gpuE0ELNS1_3repE0EEENS1_30default_config_static_selectorELNS0_4arch9wavefront6targetE1EEEvT1_
    .private_segment_fixed_size: 0
    .sgpr_count:     4
    .sgpr_spill_count: 0
    .symbol:         _ZN7rocprim17ROCPRIM_400000_NS6detail17trampoline_kernelINS0_14default_configENS1_20scan_config_selectorIfEEZZNS1_9scan_implILNS1_25lookback_scan_determinismE0ELb0ELb0ES3_N6thrust23THRUST_200600_302600_NS6detail15normal_iteratorINS9_10device_ptrIfEEEESE_fNS9_4plusIiEEfEEDaPvRmT3_T4_T5_mT6_P12ihipStream_tbENKUlT_T0_E_clISt17integral_constantIbLb0EESU_EEDaSP_SQ_EUlSP_E0_NS1_11comp_targetILNS1_3genE0ELNS1_11target_archE4294967295ELNS1_3gpuE0ELNS1_3repE0EEENS1_30default_config_static_selectorELNS0_4arch9wavefront6targetE1EEEvT1_.kd
    .uniform_work_group_size: 1
    .uses_dynamic_stack: false
    .vgpr_count:     0
    .vgpr_spill_count: 0
    .wavefront_size: 64
  - .agpr_count:     0
    .args:
      - .offset:         0
        .size:           32
        .value_kind:     by_value
    .group_segment_fixed_size: 0
    .kernarg_segment_align: 8
    .kernarg_segment_size: 32
    .language:       OpenCL C
    .language_version:
      - 2
      - 0
    .max_flat_workgroup_size: 256
    .name:           _ZN7rocprim17ROCPRIM_400000_NS6detail17trampoline_kernelINS0_14default_configENS1_20scan_config_selectorIfEEZZNS1_9scan_implILNS1_25lookback_scan_determinismE0ELb0ELb0ES3_N6thrust23THRUST_200600_302600_NS6detail15normal_iteratorINS9_10device_ptrIfEEEESE_fNS9_4plusIiEEfEEDaPvRmT3_T4_T5_mT6_P12ihipStream_tbENKUlT_T0_E_clISt17integral_constantIbLb0EESU_EEDaSP_SQ_EUlSP_E0_NS1_11comp_targetILNS1_3genE5ELNS1_11target_archE942ELNS1_3gpuE9ELNS1_3repE0EEENS1_30default_config_static_selectorELNS0_4arch9wavefront6targetE1EEEvT1_
    .private_segment_fixed_size: 0
    .sgpr_count:     4
    .sgpr_spill_count: 0
    .symbol:         _ZN7rocprim17ROCPRIM_400000_NS6detail17trampoline_kernelINS0_14default_configENS1_20scan_config_selectorIfEEZZNS1_9scan_implILNS1_25lookback_scan_determinismE0ELb0ELb0ES3_N6thrust23THRUST_200600_302600_NS6detail15normal_iteratorINS9_10device_ptrIfEEEESE_fNS9_4plusIiEEfEEDaPvRmT3_T4_T5_mT6_P12ihipStream_tbENKUlT_T0_E_clISt17integral_constantIbLb0EESU_EEDaSP_SQ_EUlSP_E0_NS1_11comp_targetILNS1_3genE5ELNS1_11target_archE942ELNS1_3gpuE9ELNS1_3repE0EEENS1_30default_config_static_selectorELNS0_4arch9wavefront6targetE1EEEvT1_.kd
    .uniform_work_group_size: 1
    .uses_dynamic_stack: false
    .vgpr_count:     0
    .vgpr_spill_count: 0
    .wavefront_size: 64
  - .agpr_count:     0
    .args:
      - .offset:         0
        .size:           32
        .value_kind:     by_value
    .group_segment_fixed_size: 7168
    .kernarg_segment_align: 8
    .kernarg_segment_size: 32
    .language:       OpenCL C
    .language_version:
      - 2
      - 0
    .max_flat_workgroup_size: 128
    .name:           _ZN7rocprim17ROCPRIM_400000_NS6detail17trampoline_kernelINS0_14default_configENS1_20scan_config_selectorIfEEZZNS1_9scan_implILNS1_25lookback_scan_determinismE0ELb0ELb0ES3_N6thrust23THRUST_200600_302600_NS6detail15normal_iteratorINS9_10device_ptrIfEEEESE_fNS9_4plusIiEEfEEDaPvRmT3_T4_T5_mT6_P12ihipStream_tbENKUlT_T0_E_clISt17integral_constantIbLb0EESU_EEDaSP_SQ_EUlSP_E0_NS1_11comp_targetILNS1_3genE4ELNS1_11target_archE910ELNS1_3gpuE8ELNS1_3repE0EEENS1_30default_config_static_selectorELNS0_4arch9wavefront6targetE1EEEvT1_
    .private_segment_fixed_size: 0
    .sgpr_count:     40
    .sgpr_spill_count: 0
    .symbol:         _ZN7rocprim17ROCPRIM_400000_NS6detail17trampoline_kernelINS0_14default_configENS1_20scan_config_selectorIfEEZZNS1_9scan_implILNS1_25lookback_scan_determinismE0ELb0ELb0ES3_N6thrust23THRUST_200600_302600_NS6detail15normal_iteratorINS9_10device_ptrIfEEEESE_fNS9_4plusIiEEfEEDaPvRmT3_T4_T5_mT6_P12ihipStream_tbENKUlT_T0_E_clISt17integral_constantIbLb0EESU_EEDaSP_SQ_EUlSP_E0_NS1_11comp_targetILNS1_3genE4ELNS1_11target_archE910ELNS1_3gpuE8ELNS1_3repE0EEENS1_30default_config_static_selectorELNS0_4arch9wavefront6targetE1EEEvT1_.kd
    .uniform_work_group_size: 1
    .uses_dynamic_stack: false
    .vgpr_count:     38
    .vgpr_spill_count: 0
    .wavefront_size: 64
  - .agpr_count:     0
    .args:
      - .offset:         0
        .size:           32
        .value_kind:     by_value
    .group_segment_fixed_size: 0
    .kernarg_segment_align: 8
    .kernarg_segment_size: 32
    .language:       OpenCL C
    .language_version:
      - 2
      - 0
    .max_flat_workgroup_size: 256
    .name:           _ZN7rocprim17ROCPRIM_400000_NS6detail17trampoline_kernelINS0_14default_configENS1_20scan_config_selectorIfEEZZNS1_9scan_implILNS1_25lookback_scan_determinismE0ELb0ELb0ES3_N6thrust23THRUST_200600_302600_NS6detail15normal_iteratorINS9_10device_ptrIfEEEESE_fNS9_4plusIiEEfEEDaPvRmT3_T4_T5_mT6_P12ihipStream_tbENKUlT_T0_E_clISt17integral_constantIbLb0EESU_EEDaSP_SQ_EUlSP_E0_NS1_11comp_targetILNS1_3genE3ELNS1_11target_archE908ELNS1_3gpuE7ELNS1_3repE0EEENS1_30default_config_static_selectorELNS0_4arch9wavefront6targetE1EEEvT1_
    .private_segment_fixed_size: 0
    .sgpr_count:     4
    .sgpr_spill_count: 0
    .symbol:         _ZN7rocprim17ROCPRIM_400000_NS6detail17trampoline_kernelINS0_14default_configENS1_20scan_config_selectorIfEEZZNS1_9scan_implILNS1_25lookback_scan_determinismE0ELb0ELb0ES3_N6thrust23THRUST_200600_302600_NS6detail15normal_iteratorINS9_10device_ptrIfEEEESE_fNS9_4plusIiEEfEEDaPvRmT3_T4_T5_mT6_P12ihipStream_tbENKUlT_T0_E_clISt17integral_constantIbLb0EESU_EEDaSP_SQ_EUlSP_E0_NS1_11comp_targetILNS1_3genE3ELNS1_11target_archE908ELNS1_3gpuE7ELNS1_3repE0EEENS1_30default_config_static_selectorELNS0_4arch9wavefront6targetE1EEEvT1_.kd
    .uniform_work_group_size: 1
    .uses_dynamic_stack: false
    .vgpr_count:     0
    .vgpr_spill_count: 0
    .wavefront_size: 64
  - .agpr_count:     0
    .args:
      - .offset:         0
        .size:           32
        .value_kind:     by_value
    .group_segment_fixed_size: 0
    .kernarg_segment_align: 8
    .kernarg_segment_size: 32
    .language:       OpenCL C
    .language_version:
      - 2
      - 0
    .max_flat_workgroup_size: 256
    .name:           _ZN7rocprim17ROCPRIM_400000_NS6detail17trampoline_kernelINS0_14default_configENS1_20scan_config_selectorIfEEZZNS1_9scan_implILNS1_25lookback_scan_determinismE0ELb0ELb0ES3_N6thrust23THRUST_200600_302600_NS6detail15normal_iteratorINS9_10device_ptrIfEEEESE_fNS9_4plusIiEEfEEDaPvRmT3_T4_T5_mT6_P12ihipStream_tbENKUlT_T0_E_clISt17integral_constantIbLb0EESU_EEDaSP_SQ_EUlSP_E0_NS1_11comp_targetILNS1_3genE2ELNS1_11target_archE906ELNS1_3gpuE6ELNS1_3repE0EEENS1_30default_config_static_selectorELNS0_4arch9wavefront6targetE1EEEvT1_
    .private_segment_fixed_size: 0
    .sgpr_count:     4
    .sgpr_spill_count: 0
    .symbol:         _ZN7rocprim17ROCPRIM_400000_NS6detail17trampoline_kernelINS0_14default_configENS1_20scan_config_selectorIfEEZZNS1_9scan_implILNS1_25lookback_scan_determinismE0ELb0ELb0ES3_N6thrust23THRUST_200600_302600_NS6detail15normal_iteratorINS9_10device_ptrIfEEEESE_fNS9_4plusIiEEfEEDaPvRmT3_T4_T5_mT6_P12ihipStream_tbENKUlT_T0_E_clISt17integral_constantIbLb0EESU_EEDaSP_SQ_EUlSP_E0_NS1_11comp_targetILNS1_3genE2ELNS1_11target_archE906ELNS1_3gpuE6ELNS1_3repE0EEENS1_30default_config_static_selectorELNS0_4arch9wavefront6targetE1EEEvT1_.kd
    .uniform_work_group_size: 1
    .uses_dynamic_stack: false
    .vgpr_count:     0
    .vgpr_spill_count: 0
    .wavefront_size: 64
  - .agpr_count:     0
    .args:
      - .offset:         0
        .size:           32
        .value_kind:     by_value
    .group_segment_fixed_size: 0
    .kernarg_segment_align: 8
    .kernarg_segment_size: 32
    .language:       OpenCL C
    .language_version:
      - 2
      - 0
    .max_flat_workgroup_size: 256
    .name:           _ZN7rocprim17ROCPRIM_400000_NS6detail17trampoline_kernelINS0_14default_configENS1_20scan_config_selectorIfEEZZNS1_9scan_implILNS1_25lookback_scan_determinismE0ELb0ELb0ES3_N6thrust23THRUST_200600_302600_NS6detail15normal_iteratorINS9_10device_ptrIfEEEESE_fNS9_4plusIiEEfEEDaPvRmT3_T4_T5_mT6_P12ihipStream_tbENKUlT_T0_E_clISt17integral_constantIbLb0EESU_EEDaSP_SQ_EUlSP_E0_NS1_11comp_targetILNS1_3genE10ELNS1_11target_archE1201ELNS1_3gpuE5ELNS1_3repE0EEENS1_30default_config_static_selectorELNS0_4arch9wavefront6targetE1EEEvT1_
    .private_segment_fixed_size: 0
    .sgpr_count:     4
    .sgpr_spill_count: 0
    .symbol:         _ZN7rocprim17ROCPRIM_400000_NS6detail17trampoline_kernelINS0_14default_configENS1_20scan_config_selectorIfEEZZNS1_9scan_implILNS1_25lookback_scan_determinismE0ELb0ELb0ES3_N6thrust23THRUST_200600_302600_NS6detail15normal_iteratorINS9_10device_ptrIfEEEESE_fNS9_4plusIiEEfEEDaPvRmT3_T4_T5_mT6_P12ihipStream_tbENKUlT_T0_E_clISt17integral_constantIbLb0EESU_EEDaSP_SQ_EUlSP_E0_NS1_11comp_targetILNS1_3genE10ELNS1_11target_archE1201ELNS1_3gpuE5ELNS1_3repE0EEENS1_30default_config_static_selectorELNS0_4arch9wavefront6targetE1EEEvT1_.kd
    .uniform_work_group_size: 1
    .uses_dynamic_stack: false
    .vgpr_count:     0
    .vgpr_spill_count: 0
    .wavefront_size: 64
  - .agpr_count:     0
    .args:
      - .offset:         0
        .size:           32
        .value_kind:     by_value
    .group_segment_fixed_size: 0
    .kernarg_segment_align: 8
    .kernarg_segment_size: 32
    .language:       OpenCL C
    .language_version:
      - 2
      - 0
    .max_flat_workgroup_size: 256
    .name:           _ZN7rocprim17ROCPRIM_400000_NS6detail17trampoline_kernelINS0_14default_configENS1_20scan_config_selectorIfEEZZNS1_9scan_implILNS1_25lookback_scan_determinismE0ELb0ELb0ES3_N6thrust23THRUST_200600_302600_NS6detail15normal_iteratorINS9_10device_ptrIfEEEESE_fNS9_4plusIiEEfEEDaPvRmT3_T4_T5_mT6_P12ihipStream_tbENKUlT_T0_E_clISt17integral_constantIbLb0EESU_EEDaSP_SQ_EUlSP_E0_NS1_11comp_targetILNS1_3genE10ELNS1_11target_archE1200ELNS1_3gpuE4ELNS1_3repE0EEENS1_30default_config_static_selectorELNS0_4arch9wavefront6targetE1EEEvT1_
    .private_segment_fixed_size: 0
    .sgpr_count:     4
    .sgpr_spill_count: 0
    .symbol:         _ZN7rocprim17ROCPRIM_400000_NS6detail17trampoline_kernelINS0_14default_configENS1_20scan_config_selectorIfEEZZNS1_9scan_implILNS1_25lookback_scan_determinismE0ELb0ELb0ES3_N6thrust23THRUST_200600_302600_NS6detail15normal_iteratorINS9_10device_ptrIfEEEESE_fNS9_4plusIiEEfEEDaPvRmT3_T4_T5_mT6_P12ihipStream_tbENKUlT_T0_E_clISt17integral_constantIbLb0EESU_EEDaSP_SQ_EUlSP_E0_NS1_11comp_targetILNS1_3genE10ELNS1_11target_archE1200ELNS1_3gpuE4ELNS1_3repE0EEENS1_30default_config_static_selectorELNS0_4arch9wavefront6targetE1EEEvT1_.kd
    .uniform_work_group_size: 1
    .uses_dynamic_stack: false
    .vgpr_count:     0
    .vgpr_spill_count: 0
    .wavefront_size: 64
  - .agpr_count:     0
    .args:
      - .offset:         0
        .size:           32
        .value_kind:     by_value
    .group_segment_fixed_size: 0
    .kernarg_segment_align: 8
    .kernarg_segment_size: 32
    .language:       OpenCL C
    .language_version:
      - 2
      - 0
    .max_flat_workgroup_size: 256
    .name:           _ZN7rocprim17ROCPRIM_400000_NS6detail17trampoline_kernelINS0_14default_configENS1_20scan_config_selectorIfEEZZNS1_9scan_implILNS1_25lookback_scan_determinismE0ELb0ELb0ES3_N6thrust23THRUST_200600_302600_NS6detail15normal_iteratorINS9_10device_ptrIfEEEESE_fNS9_4plusIiEEfEEDaPvRmT3_T4_T5_mT6_P12ihipStream_tbENKUlT_T0_E_clISt17integral_constantIbLb0EESU_EEDaSP_SQ_EUlSP_E0_NS1_11comp_targetILNS1_3genE9ELNS1_11target_archE1100ELNS1_3gpuE3ELNS1_3repE0EEENS1_30default_config_static_selectorELNS0_4arch9wavefront6targetE1EEEvT1_
    .private_segment_fixed_size: 0
    .sgpr_count:     4
    .sgpr_spill_count: 0
    .symbol:         _ZN7rocprim17ROCPRIM_400000_NS6detail17trampoline_kernelINS0_14default_configENS1_20scan_config_selectorIfEEZZNS1_9scan_implILNS1_25lookback_scan_determinismE0ELb0ELb0ES3_N6thrust23THRUST_200600_302600_NS6detail15normal_iteratorINS9_10device_ptrIfEEEESE_fNS9_4plusIiEEfEEDaPvRmT3_T4_T5_mT6_P12ihipStream_tbENKUlT_T0_E_clISt17integral_constantIbLb0EESU_EEDaSP_SQ_EUlSP_E0_NS1_11comp_targetILNS1_3genE9ELNS1_11target_archE1100ELNS1_3gpuE3ELNS1_3repE0EEENS1_30default_config_static_selectorELNS0_4arch9wavefront6targetE1EEEvT1_.kd
    .uniform_work_group_size: 1
    .uses_dynamic_stack: false
    .vgpr_count:     0
    .vgpr_spill_count: 0
    .wavefront_size: 64
  - .agpr_count:     0
    .args:
      - .offset:         0
        .size:           32
        .value_kind:     by_value
    .group_segment_fixed_size: 0
    .kernarg_segment_align: 8
    .kernarg_segment_size: 32
    .language:       OpenCL C
    .language_version:
      - 2
      - 0
    .max_flat_workgroup_size: 64
    .name:           _ZN7rocprim17ROCPRIM_400000_NS6detail17trampoline_kernelINS0_14default_configENS1_20scan_config_selectorIfEEZZNS1_9scan_implILNS1_25lookback_scan_determinismE0ELb0ELb0ES3_N6thrust23THRUST_200600_302600_NS6detail15normal_iteratorINS9_10device_ptrIfEEEESE_fNS9_4plusIiEEfEEDaPvRmT3_T4_T5_mT6_P12ihipStream_tbENKUlT_T0_E_clISt17integral_constantIbLb0EESU_EEDaSP_SQ_EUlSP_E0_NS1_11comp_targetILNS1_3genE8ELNS1_11target_archE1030ELNS1_3gpuE2ELNS1_3repE0EEENS1_30default_config_static_selectorELNS0_4arch9wavefront6targetE1EEEvT1_
    .private_segment_fixed_size: 0
    .sgpr_count:     4
    .sgpr_spill_count: 0
    .symbol:         _ZN7rocprim17ROCPRIM_400000_NS6detail17trampoline_kernelINS0_14default_configENS1_20scan_config_selectorIfEEZZNS1_9scan_implILNS1_25lookback_scan_determinismE0ELb0ELb0ES3_N6thrust23THRUST_200600_302600_NS6detail15normal_iteratorINS9_10device_ptrIfEEEESE_fNS9_4plusIiEEfEEDaPvRmT3_T4_T5_mT6_P12ihipStream_tbENKUlT_T0_E_clISt17integral_constantIbLb0EESU_EEDaSP_SQ_EUlSP_E0_NS1_11comp_targetILNS1_3genE8ELNS1_11target_archE1030ELNS1_3gpuE2ELNS1_3repE0EEENS1_30default_config_static_selectorELNS0_4arch9wavefront6targetE1EEEvT1_.kd
    .uniform_work_group_size: 1
    .uses_dynamic_stack: false
    .vgpr_count:     0
    .vgpr_spill_count: 0
    .wavefront_size: 64
  - .agpr_count:     0
    .args:
      - .offset:         0
        .size:           96
        .value_kind:     by_value
    .group_segment_fixed_size: 0
    .kernarg_segment_align: 8
    .kernarg_segment_size: 96
    .language:       OpenCL C
    .language_version:
      - 2
      - 0
    .max_flat_workgroup_size: 256
    .name:           _ZN7rocprim17ROCPRIM_400000_NS6detail17trampoline_kernelINS0_14default_configENS1_20scan_config_selectorIfEEZZNS1_9scan_implILNS1_25lookback_scan_determinismE0ELb0ELb0ES3_N6thrust23THRUST_200600_302600_NS6detail15normal_iteratorINS9_10device_ptrIfEEEESE_fNS9_4plusIiEEfEEDaPvRmT3_T4_T5_mT6_P12ihipStream_tbENKUlT_T0_E_clISt17integral_constantIbLb1EESU_EEDaSP_SQ_EUlSP_E_NS1_11comp_targetILNS1_3genE0ELNS1_11target_archE4294967295ELNS1_3gpuE0ELNS1_3repE0EEENS1_30default_config_static_selectorELNS0_4arch9wavefront6targetE1EEEvT1_
    .private_segment_fixed_size: 0
    .sgpr_count:     4
    .sgpr_spill_count: 0
    .symbol:         _ZN7rocprim17ROCPRIM_400000_NS6detail17trampoline_kernelINS0_14default_configENS1_20scan_config_selectorIfEEZZNS1_9scan_implILNS1_25lookback_scan_determinismE0ELb0ELb0ES3_N6thrust23THRUST_200600_302600_NS6detail15normal_iteratorINS9_10device_ptrIfEEEESE_fNS9_4plusIiEEfEEDaPvRmT3_T4_T5_mT6_P12ihipStream_tbENKUlT_T0_E_clISt17integral_constantIbLb1EESU_EEDaSP_SQ_EUlSP_E_NS1_11comp_targetILNS1_3genE0ELNS1_11target_archE4294967295ELNS1_3gpuE0ELNS1_3repE0EEENS1_30default_config_static_selectorELNS0_4arch9wavefront6targetE1EEEvT1_.kd
    .uniform_work_group_size: 1
    .uses_dynamic_stack: false
    .vgpr_count:     0
    .vgpr_spill_count: 0
    .wavefront_size: 64
  - .agpr_count:     0
    .args:
      - .offset:         0
        .size:           96
        .value_kind:     by_value
    .group_segment_fixed_size: 0
    .kernarg_segment_align: 8
    .kernarg_segment_size: 96
    .language:       OpenCL C
    .language_version:
      - 2
      - 0
    .max_flat_workgroup_size: 256
    .name:           _ZN7rocprim17ROCPRIM_400000_NS6detail17trampoline_kernelINS0_14default_configENS1_20scan_config_selectorIfEEZZNS1_9scan_implILNS1_25lookback_scan_determinismE0ELb0ELb0ES3_N6thrust23THRUST_200600_302600_NS6detail15normal_iteratorINS9_10device_ptrIfEEEESE_fNS9_4plusIiEEfEEDaPvRmT3_T4_T5_mT6_P12ihipStream_tbENKUlT_T0_E_clISt17integral_constantIbLb1EESU_EEDaSP_SQ_EUlSP_E_NS1_11comp_targetILNS1_3genE5ELNS1_11target_archE942ELNS1_3gpuE9ELNS1_3repE0EEENS1_30default_config_static_selectorELNS0_4arch9wavefront6targetE1EEEvT1_
    .private_segment_fixed_size: 0
    .sgpr_count:     4
    .sgpr_spill_count: 0
    .symbol:         _ZN7rocprim17ROCPRIM_400000_NS6detail17trampoline_kernelINS0_14default_configENS1_20scan_config_selectorIfEEZZNS1_9scan_implILNS1_25lookback_scan_determinismE0ELb0ELb0ES3_N6thrust23THRUST_200600_302600_NS6detail15normal_iteratorINS9_10device_ptrIfEEEESE_fNS9_4plusIiEEfEEDaPvRmT3_T4_T5_mT6_P12ihipStream_tbENKUlT_T0_E_clISt17integral_constantIbLb1EESU_EEDaSP_SQ_EUlSP_E_NS1_11comp_targetILNS1_3genE5ELNS1_11target_archE942ELNS1_3gpuE9ELNS1_3repE0EEENS1_30default_config_static_selectorELNS0_4arch9wavefront6targetE1EEEvT1_.kd
    .uniform_work_group_size: 1
    .uses_dynamic_stack: false
    .vgpr_count:     0
    .vgpr_spill_count: 0
    .wavefront_size: 64
  - .agpr_count:     0
    .args:
      - .offset:         0
        .size:           96
        .value_kind:     by_value
    .group_segment_fixed_size: 7168
    .kernarg_segment_align: 8
    .kernarg_segment_size: 96
    .language:       OpenCL C
    .language_version:
      - 2
      - 0
    .max_flat_workgroup_size: 128
    .name:           _ZN7rocprim17ROCPRIM_400000_NS6detail17trampoline_kernelINS0_14default_configENS1_20scan_config_selectorIfEEZZNS1_9scan_implILNS1_25lookback_scan_determinismE0ELb0ELb0ES3_N6thrust23THRUST_200600_302600_NS6detail15normal_iteratorINS9_10device_ptrIfEEEESE_fNS9_4plusIiEEfEEDaPvRmT3_T4_T5_mT6_P12ihipStream_tbENKUlT_T0_E_clISt17integral_constantIbLb1EESU_EEDaSP_SQ_EUlSP_E_NS1_11comp_targetILNS1_3genE4ELNS1_11target_archE910ELNS1_3gpuE8ELNS1_3repE0EEENS1_30default_config_static_selectorELNS0_4arch9wavefront6targetE1EEEvT1_
    .private_segment_fixed_size: 0
    .sgpr_count:     42
    .sgpr_spill_count: 0
    .symbol:         _ZN7rocprim17ROCPRIM_400000_NS6detail17trampoline_kernelINS0_14default_configENS1_20scan_config_selectorIfEEZZNS1_9scan_implILNS1_25lookback_scan_determinismE0ELb0ELb0ES3_N6thrust23THRUST_200600_302600_NS6detail15normal_iteratorINS9_10device_ptrIfEEEESE_fNS9_4plusIiEEfEEDaPvRmT3_T4_T5_mT6_P12ihipStream_tbENKUlT_T0_E_clISt17integral_constantIbLb1EESU_EEDaSP_SQ_EUlSP_E_NS1_11comp_targetILNS1_3genE4ELNS1_11target_archE910ELNS1_3gpuE8ELNS1_3repE0EEENS1_30default_config_static_selectorELNS0_4arch9wavefront6targetE1EEEvT1_.kd
    .uniform_work_group_size: 1
    .uses_dynamic_stack: false
    .vgpr_count:     62
    .vgpr_spill_count: 0
    .wavefront_size: 64
  - .agpr_count:     0
    .args:
      - .offset:         0
        .size:           96
        .value_kind:     by_value
    .group_segment_fixed_size: 0
    .kernarg_segment_align: 8
    .kernarg_segment_size: 96
    .language:       OpenCL C
    .language_version:
      - 2
      - 0
    .max_flat_workgroup_size: 256
    .name:           _ZN7rocprim17ROCPRIM_400000_NS6detail17trampoline_kernelINS0_14default_configENS1_20scan_config_selectorIfEEZZNS1_9scan_implILNS1_25lookback_scan_determinismE0ELb0ELb0ES3_N6thrust23THRUST_200600_302600_NS6detail15normal_iteratorINS9_10device_ptrIfEEEESE_fNS9_4plusIiEEfEEDaPvRmT3_T4_T5_mT6_P12ihipStream_tbENKUlT_T0_E_clISt17integral_constantIbLb1EESU_EEDaSP_SQ_EUlSP_E_NS1_11comp_targetILNS1_3genE3ELNS1_11target_archE908ELNS1_3gpuE7ELNS1_3repE0EEENS1_30default_config_static_selectorELNS0_4arch9wavefront6targetE1EEEvT1_
    .private_segment_fixed_size: 0
    .sgpr_count:     4
    .sgpr_spill_count: 0
    .symbol:         _ZN7rocprim17ROCPRIM_400000_NS6detail17trampoline_kernelINS0_14default_configENS1_20scan_config_selectorIfEEZZNS1_9scan_implILNS1_25lookback_scan_determinismE0ELb0ELb0ES3_N6thrust23THRUST_200600_302600_NS6detail15normal_iteratorINS9_10device_ptrIfEEEESE_fNS9_4plusIiEEfEEDaPvRmT3_T4_T5_mT6_P12ihipStream_tbENKUlT_T0_E_clISt17integral_constantIbLb1EESU_EEDaSP_SQ_EUlSP_E_NS1_11comp_targetILNS1_3genE3ELNS1_11target_archE908ELNS1_3gpuE7ELNS1_3repE0EEENS1_30default_config_static_selectorELNS0_4arch9wavefront6targetE1EEEvT1_.kd
    .uniform_work_group_size: 1
    .uses_dynamic_stack: false
    .vgpr_count:     0
    .vgpr_spill_count: 0
    .wavefront_size: 64
  - .agpr_count:     0
    .args:
      - .offset:         0
        .size:           96
        .value_kind:     by_value
    .group_segment_fixed_size: 0
    .kernarg_segment_align: 8
    .kernarg_segment_size: 96
    .language:       OpenCL C
    .language_version:
      - 2
      - 0
    .max_flat_workgroup_size: 256
    .name:           _ZN7rocprim17ROCPRIM_400000_NS6detail17trampoline_kernelINS0_14default_configENS1_20scan_config_selectorIfEEZZNS1_9scan_implILNS1_25lookback_scan_determinismE0ELb0ELb0ES3_N6thrust23THRUST_200600_302600_NS6detail15normal_iteratorINS9_10device_ptrIfEEEESE_fNS9_4plusIiEEfEEDaPvRmT3_T4_T5_mT6_P12ihipStream_tbENKUlT_T0_E_clISt17integral_constantIbLb1EESU_EEDaSP_SQ_EUlSP_E_NS1_11comp_targetILNS1_3genE2ELNS1_11target_archE906ELNS1_3gpuE6ELNS1_3repE0EEENS1_30default_config_static_selectorELNS0_4arch9wavefront6targetE1EEEvT1_
    .private_segment_fixed_size: 0
    .sgpr_count:     4
    .sgpr_spill_count: 0
    .symbol:         _ZN7rocprim17ROCPRIM_400000_NS6detail17trampoline_kernelINS0_14default_configENS1_20scan_config_selectorIfEEZZNS1_9scan_implILNS1_25lookback_scan_determinismE0ELb0ELb0ES3_N6thrust23THRUST_200600_302600_NS6detail15normal_iteratorINS9_10device_ptrIfEEEESE_fNS9_4plusIiEEfEEDaPvRmT3_T4_T5_mT6_P12ihipStream_tbENKUlT_T0_E_clISt17integral_constantIbLb1EESU_EEDaSP_SQ_EUlSP_E_NS1_11comp_targetILNS1_3genE2ELNS1_11target_archE906ELNS1_3gpuE6ELNS1_3repE0EEENS1_30default_config_static_selectorELNS0_4arch9wavefront6targetE1EEEvT1_.kd
    .uniform_work_group_size: 1
    .uses_dynamic_stack: false
    .vgpr_count:     0
    .vgpr_spill_count: 0
    .wavefront_size: 64
  - .agpr_count:     0
    .args:
      - .offset:         0
        .size:           96
        .value_kind:     by_value
    .group_segment_fixed_size: 0
    .kernarg_segment_align: 8
    .kernarg_segment_size: 96
    .language:       OpenCL C
    .language_version:
      - 2
      - 0
    .max_flat_workgroup_size: 256
    .name:           _ZN7rocprim17ROCPRIM_400000_NS6detail17trampoline_kernelINS0_14default_configENS1_20scan_config_selectorIfEEZZNS1_9scan_implILNS1_25lookback_scan_determinismE0ELb0ELb0ES3_N6thrust23THRUST_200600_302600_NS6detail15normal_iteratorINS9_10device_ptrIfEEEESE_fNS9_4plusIiEEfEEDaPvRmT3_T4_T5_mT6_P12ihipStream_tbENKUlT_T0_E_clISt17integral_constantIbLb1EESU_EEDaSP_SQ_EUlSP_E_NS1_11comp_targetILNS1_3genE10ELNS1_11target_archE1201ELNS1_3gpuE5ELNS1_3repE0EEENS1_30default_config_static_selectorELNS0_4arch9wavefront6targetE1EEEvT1_
    .private_segment_fixed_size: 0
    .sgpr_count:     4
    .sgpr_spill_count: 0
    .symbol:         _ZN7rocprim17ROCPRIM_400000_NS6detail17trampoline_kernelINS0_14default_configENS1_20scan_config_selectorIfEEZZNS1_9scan_implILNS1_25lookback_scan_determinismE0ELb0ELb0ES3_N6thrust23THRUST_200600_302600_NS6detail15normal_iteratorINS9_10device_ptrIfEEEESE_fNS9_4plusIiEEfEEDaPvRmT3_T4_T5_mT6_P12ihipStream_tbENKUlT_T0_E_clISt17integral_constantIbLb1EESU_EEDaSP_SQ_EUlSP_E_NS1_11comp_targetILNS1_3genE10ELNS1_11target_archE1201ELNS1_3gpuE5ELNS1_3repE0EEENS1_30default_config_static_selectorELNS0_4arch9wavefront6targetE1EEEvT1_.kd
    .uniform_work_group_size: 1
    .uses_dynamic_stack: false
    .vgpr_count:     0
    .vgpr_spill_count: 0
    .wavefront_size: 64
  - .agpr_count:     0
    .args:
      - .offset:         0
        .size:           96
        .value_kind:     by_value
    .group_segment_fixed_size: 0
    .kernarg_segment_align: 8
    .kernarg_segment_size: 96
    .language:       OpenCL C
    .language_version:
      - 2
      - 0
    .max_flat_workgroup_size: 256
    .name:           _ZN7rocprim17ROCPRIM_400000_NS6detail17trampoline_kernelINS0_14default_configENS1_20scan_config_selectorIfEEZZNS1_9scan_implILNS1_25lookback_scan_determinismE0ELb0ELb0ES3_N6thrust23THRUST_200600_302600_NS6detail15normal_iteratorINS9_10device_ptrIfEEEESE_fNS9_4plusIiEEfEEDaPvRmT3_T4_T5_mT6_P12ihipStream_tbENKUlT_T0_E_clISt17integral_constantIbLb1EESU_EEDaSP_SQ_EUlSP_E_NS1_11comp_targetILNS1_3genE10ELNS1_11target_archE1200ELNS1_3gpuE4ELNS1_3repE0EEENS1_30default_config_static_selectorELNS0_4arch9wavefront6targetE1EEEvT1_
    .private_segment_fixed_size: 0
    .sgpr_count:     4
    .sgpr_spill_count: 0
    .symbol:         _ZN7rocprim17ROCPRIM_400000_NS6detail17trampoline_kernelINS0_14default_configENS1_20scan_config_selectorIfEEZZNS1_9scan_implILNS1_25lookback_scan_determinismE0ELb0ELb0ES3_N6thrust23THRUST_200600_302600_NS6detail15normal_iteratorINS9_10device_ptrIfEEEESE_fNS9_4plusIiEEfEEDaPvRmT3_T4_T5_mT6_P12ihipStream_tbENKUlT_T0_E_clISt17integral_constantIbLb1EESU_EEDaSP_SQ_EUlSP_E_NS1_11comp_targetILNS1_3genE10ELNS1_11target_archE1200ELNS1_3gpuE4ELNS1_3repE0EEENS1_30default_config_static_selectorELNS0_4arch9wavefront6targetE1EEEvT1_.kd
    .uniform_work_group_size: 1
    .uses_dynamic_stack: false
    .vgpr_count:     0
    .vgpr_spill_count: 0
    .wavefront_size: 64
  - .agpr_count:     0
    .args:
      - .offset:         0
        .size:           96
        .value_kind:     by_value
    .group_segment_fixed_size: 0
    .kernarg_segment_align: 8
    .kernarg_segment_size: 96
    .language:       OpenCL C
    .language_version:
      - 2
      - 0
    .max_flat_workgroup_size: 256
    .name:           _ZN7rocprim17ROCPRIM_400000_NS6detail17trampoline_kernelINS0_14default_configENS1_20scan_config_selectorIfEEZZNS1_9scan_implILNS1_25lookback_scan_determinismE0ELb0ELb0ES3_N6thrust23THRUST_200600_302600_NS6detail15normal_iteratorINS9_10device_ptrIfEEEESE_fNS9_4plusIiEEfEEDaPvRmT3_T4_T5_mT6_P12ihipStream_tbENKUlT_T0_E_clISt17integral_constantIbLb1EESU_EEDaSP_SQ_EUlSP_E_NS1_11comp_targetILNS1_3genE9ELNS1_11target_archE1100ELNS1_3gpuE3ELNS1_3repE0EEENS1_30default_config_static_selectorELNS0_4arch9wavefront6targetE1EEEvT1_
    .private_segment_fixed_size: 0
    .sgpr_count:     4
    .sgpr_spill_count: 0
    .symbol:         _ZN7rocprim17ROCPRIM_400000_NS6detail17trampoline_kernelINS0_14default_configENS1_20scan_config_selectorIfEEZZNS1_9scan_implILNS1_25lookback_scan_determinismE0ELb0ELb0ES3_N6thrust23THRUST_200600_302600_NS6detail15normal_iteratorINS9_10device_ptrIfEEEESE_fNS9_4plusIiEEfEEDaPvRmT3_T4_T5_mT6_P12ihipStream_tbENKUlT_T0_E_clISt17integral_constantIbLb1EESU_EEDaSP_SQ_EUlSP_E_NS1_11comp_targetILNS1_3genE9ELNS1_11target_archE1100ELNS1_3gpuE3ELNS1_3repE0EEENS1_30default_config_static_selectorELNS0_4arch9wavefront6targetE1EEEvT1_.kd
    .uniform_work_group_size: 1
    .uses_dynamic_stack: false
    .vgpr_count:     0
    .vgpr_spill_count: 0
    .wavefront_size: 64
  - .agpr_count:     0
    .args:
      - .offset:         0
        .size:           96
        .value_kind:     by_value
    .group_segment_fixed_size: 0
    .kernarg_segment_align: 8
    .kernarg_segment_size: 96
    .language:       OpenCL C
    .language_version:
      - 2
      - 0
    .max_flat_workgroup_size: 64
    .name:           _ZN7rocprim17ROCPRIM_400000_NS6detail17trampoline_kernelINS0_14default_configENS1_20scan_config_selectorIfEEZZNS1_9scan_implILNS1_25lookback_scan_determinismE0ELb0ELb0ES3_N6thrust23THRUST_200600_302600_NS6detail15normal_iteratorINS9_10device_ptrIfEEEESE_fNS9_4plusIiEEfEEDaPvRmT3_T4_T5_mT6_P12ihipStream_tbENKUlT_T0_E_clISt17integral_constantIbLb1EESU_EEDaSP_SQ_EUlSP_E_NS1_11comp_targetILNS1_3genE8ELNS1_11target_archE1030ELNS1_3gpuE2ELNS1_3repE0EEENS1_30default_config_static_selectorELNS0_4arch9wavefront6targetE1EEEvT1_
    .private_segment_fixed_size: 0
    .sgpr_count:     4
    .sgpr_spill_count: 0
    .symbol:         _ZN7rocprim17ROCPRIM_400000_NS6detail17trampoline_kernelINS0_14default_configENS1_20scan_config_selectorIfEEZZNS1_9scan_implILNS1_25lookback_scan_determinismE0ELb0ELb0ES3_N6thrust23THRUST_200600_302600_NS6detail15normal_iteratorINS9_10device_ptrIfEEEESE_fNS9_4plusIiEEfEEDaPvRmT3_T4_T5_mT6_P12ihipStream_tbENKUlT_T0_E_clISt17integral_constantIbLb1EESU_EEDaSP_SQ_EUlSP_E_NS1_11comp_targetILNS1_3genE8ELNS1_11target_archE1030ELNS1_3gpuE2ELNS1_3repE0EEENS1_30default_config_static_selectorELNS0_4arch9wavefront6targetE1EEEvT1_.kd
    .uniform_work_group_size: 1
    .uses_dynamic_stack: false
    .vgpr_count:     0
    .vgpr_spill_count: 0
    .wavefront_size: 64
  - .agpr_count:     0
    .args:
      - .offset:         0
        .size:           32
        .value_kind:     by_value
    .group_segment_fixed_size: 0
    .kernarg_segment_align: 8
    .kernarg_segment_size: 32
    .language:       OpenCL C
    .language_version:
      - 2
      - 0
    .max_flat_workgroup_size: 256
    .name:           _ZN7rocprim17ROCPRIM_400000_NS6detail17trampoline_kernelINS0_14default_configENS1_20scan_config_selectorIfEEZZNS1_9scan_implILNS1_25lookback_scan_determinismE0ELb0ELb0ES3_N6thrust23THRUST_200600_302600_NS6detail15normal_iteratorINS9_10device_ptrIfEEEESE_fNS9_4plusIiEEfEEDaPvRmT3_T4_T5_mT6_P12ihipStream_tbENKUlT_T0_E_clISt17integral_constantIbLb1EESU_EEDaSP_SQ_EUlSP_E0_NS1_11comp_targetILNS1_3genE0ELNS1_11target_archE4294967295ELNS1_3gpuE0ELNS1_3repE0EEENS1_30default_config_static_selectorELNS0_4arch9wavefront6targetE1EEEvT1_
    .private_segment_fixed_size: 0
    .sgpr_count:     4
    .sgpr_spill_count: 0
    .symbol:         _ZN7rocprim17ROCPRIM_400000_NS6detail17trampoline_kernelINS0_14default_configENS1_20scan_config_selectorIfEEZZNS1_9scan_implILNS1_25lookback_scan_determinismE0ELb0ELb0ES3_N6thrust23THRUST_200600_302600_NS6detail15normal_iteratorINS9_10device_ptrIfEEEESE_fNS9_4plusIiEEfEEDaPvRmT3_T4_T5_mT6_P12ihipStream_tbENKUlT_T0_E_clISt17integral_constantIbLb1EESU_EEDaSP_SQ_EUlSP_E0_NS1_11comp_targetILNS1_3genE0ELNS1_11target_archE4294967295ELNS1_3gpuE0ELNS1_3repE0EEENS1_30default_config_static_selectorELNS0_4arch9wavefront6targetE1EEEvT1_.kd
    .uniform_work_group_size: 1
    .uses_dynamic_stack: false
    .vgpr_count:     0
    .vgpr_spill_count: 0
    .wavefront_size: 64
  - .agpr_count:     0
    .args:
      - .offset:         0
        .size:           32
        .value_kind:     by_value
    .group_segment_fixed_size: 0
    .kernarg_segment_align: 8
    .kernarg_segment_size: 32
    .language:       OpenCL C
    .language_version:
      - 2
      - 0
    .max_flat_workgroup_size: 256
    .name:           _ZN7rocprim17ROCPRIM_400000_NS6detail17trampoline_kernelINS0_14default_configENS1_20scan_config_selectorIfEEZZNS1_9scan_implILNS1_25lookback_scan_determinismE0ELb0ELb0ES3_N6thrust23THRUST_200600_302600_NS6detail15normal_iteratorINS9_10device_ptrIfEEEESE_fNS9_4plusIiEEfEEDaPvRmT3_T4_T5_mT6_P12ihipStream_tbENKUlT_T0_E_clISt17integral_constantIbLb1EESU_EEDaSP_SQ_EUlSP_E0_NS1_11comp_targetILNS1_3genE5ELNS1_11target_archE942ELNS1_3gpuE9ELNS1_3repE0EEENS1_30default_config_static_selectorELNS0_4arch9wavefront6targetE1EEEvT1_
    .private_segment_fixed_size: 0
    .sgpr_count:     4
    .sgpr_spill_count: 0
    .symbol:         _ZN7rocprim17ROCPRIM_400000_NS6detail17trampoline_kernelINS0_14default_configENS1_20scan_config_selectorIfEEZZNS1_9scan_implILNS1_25lookback_scan_determinismE0ELb0ELb0ES3_N6thrust23THRUST_200600_302600_NS6detail15normal_iteratorINS9_10device_ptrIfEEEESE_fNS9_4plusIiEEfEEDaPvRmT3_T4_T5_mT6_P12ihipStream_tbENKUlT_T0_E_clISt17integral_constantIbLb1EESU_EEDaSP_SQ_EUlSP_E0_NS1_11comp_targetILNS1_3genE5ELNS1_11target_archE942ELNS1_3gpuE9ELNS1_3repE0EEENS1_30default_config_static_selectorELNS0_4arch9wavefront6targetE1EEEvT1_.kd
    .uniform_work_group_size: 1
    .uses_dynamic_stack: false
    .vgpr_count:     0
    .vgpr_spill_count: 0
    .wavefront_size: 64
  - .agpr_count:     0
    .args:
      - .offset:         0
        .size:           32
        .value_kind:     by_value
    .group_segment_fixed_size: 7168
    .kernarg_segment_align: 8
    .kernarg_segment_size: 32
    .language:       OpenCL C
    .language_version:
      - 2
      - 0
    .max_flat_workgroup_size: 128
    .name:           _ZN7rocprim17ROCPRIM_400000_NS6detail17trampoline_kernelINS0_14default_configENS1_20scan_config_selectorIfEEZZNS1_9scan_implILNS1_25lookback_scan_determinismE0ELb0ELb0ES3_N6thrust23THRUST_200600_302600_NS6detail15normal_iteratorINS9_10device_ptrIfEEEESE_fNS9_4plusIiEEfEEDaPvRmT3_T4_T5_mT6_P12ihipStream_tbENKUlT_T0_E_clISt17integral_constantIbLb1EESU_EEDaSP_SQ_EUlSP_E0_NS1_11comp_targetILNS1_3genE4ELNS1_11target_archE910ELNS1_3gpuE8ELNS1_3repE0EEENS1_30default_config_static_selectorELNS0_4arch9wavefront6targetE1EEEvT1_
    .private_segment_fixed_size: 0
    .sgpr_count:     40
    .sgpr_spill_count: 0
    .symbol:         _ZN7rocprim17ROCPRIM_400000_NS6detail17trampoline_kernelINS0_14default_configENS1_20scan_config_selectorIfEEZZNS1_9scan_implILNS1_25lookback_scan_determinismE0ELb0ELb0ES3_N6thrust23THRUST_200600_302600_NS6detail15normal_iteratorINS9_10device_ptrIfEEEESE_fNS9_4plusIiEEfEEDaPvRmT3_T4_T5_mT6_P12ihipStream_tbENKUlT_T0_E_clISt17integral_constantIbLb1EESU_EEDaSP_SQ_EUlSP_E0_NS1_11comp_targetILNS1_3genE4ELNS1_11target_archE910ELNS1_3gpuE8ELNS1_3repE0EEENS1_30default_config_static_selectorELNS0_4arch9wavefront6targetE1EEEvT1_.kd
    .uniform_work_group_size: 1
    .uses_dynamic_stack: false
    .vgpr_count:     38
    .vgpr_spill_count: 0
    .wavefront_size: 64
  - .agpr_count:     0
    .args:
      - .offset:         0
        .size:           32
        .value_kind:     by_value
    .group_segment_fixed_size: 0
    .kernarg_segment_align: 8
    .kernarg_segment_size: 32
    .language:       OpenCL C
    .language_version:
      - 2
      - 0
    .max_flat_workgroup_size: 256
    .name:           _ZN7rocprim17ROCPRIM_400000_NS6detail17trampoline_kernelINS0_14default_configENS1_20scan_config_selectorIfEEZZNS1_9scan_implILNS1_25lookback_scan_determinismE0ELb0ELb0ES3_N6thrust23THRUST_200600_302600_NS6detail15normal_iteratorINS9_10device_ptrIfEEEESE_fNS9_4plusIiEEfEEDaPvRmT3_T4_T5_mT6_P12ihipStream_tbENKUlT_T0_E_clISt17integral_constantIbLb1EESU_EEDaSP_SQ_EUlSP_E0_NS1_11comp_targetILNS1_3genE3ELNS1_11target_archE908ELNS1_3gpuE7ELNS1_3repE0EEENS1_30default_config_static_selectorELNS0_4arch9wavefront6targetE1EEEvT1_
    .private_segment_fixed_size: 0
    .sgpr_count:     4
    .sgpr_spill_count: 0
    .symbol:         _ZN7rocprim17ROCPRIM_400000_NS6detail17trampoline_kernelINS0_14default_configENS1_20scan_config_selectorIfEEZZNS1_9scan_implILNS1_25lookback_scan_determinismE0ELb0ELb0ES3_N6thrust23THRUST_200600_302600_NS6detail15normal_iteratorINS9_10device_ptrIfEEEESE_fNS9_4plusIiEEfEEDaPvRmT3_T4_T5_mT6_P12ihipStream_tbENKUlT_T0_E_clISt17integral_constantIbLb1EESU_EEDaSP_SQ_EUlSP_E0_NS1_11comp_targetILNS1_3genE3ELNS1_11target_archE908ELNS1_3gpuE7ELNS1_3repE0EEENS1_30default_config_static_selectorELNS0_4arch9wavefront6targetE1EEEvT1_.kd
    .uniform_work_group_size: 1
    .uses_dynamic_stack: false
    .vgpr_count:     0
    .vgpr_spill_count: 0
    .wavefront_size: 64
  - .agpr_count:     0
    .args:
      - .offset:         0
        .size:           32
        .value_kind:     by_value
    .group_segment_fixed_size: 0
    .kernarg_segment_align: 8
    .kernarg_segment_size: 32
    .language:       OpenCL C
    .language_version:
      - 2
      - 0
    .max_flat_workgroup_size: 256
    .name:           _ZN7rocprim17ROCPRIM_400000_NS6detail17trampoline_kernelINS0_14default_configENS1_20scan_config_selectorIfEEZZNS1_9scan_implILNS1_25lookback_scan_determinismE0ELb0ELb0ES3_N6thrust23THRUST_200600_302600_NS6detail15normal_iteratorINS9_10device_ptrIfEEEESE_fNS9_4plusIiEEfEEDaPvRmT3_T4_T5_mT6_P12ihipStream_tbENKUlT_T0_E_clISt17integral_constantIbLb1EESU_EEDaSP_SQ_EUlSP_E0_NS1_11comp_targetILNS1_3genE2ELNS1_11target_archE906ELNS1_3gpuE6ELNS1_3repE0EEENS1_30default_config_static_selectorELNS0_4arch9wavefront6targetE1EEEvT1_
    .private_segment_fixed_size: 0
    .sgpr_count:     4
    .sgpr_spill_count: 0
    .symbol:         _ZN7rocprim17ROCPRIM_400000_NS6detail17trampoline_kernelINS0_14default_configENS1_20scan_config_selectorIfEEZZNS1_9scan_implILNS1_25lookback_scan_determinismE0ELb0ELb0ES3_N6thrust23THRUST_200600_302600_NS6detail15normal_iteratorINS9_10device_ptrIfEEEESE_fNS9_4plusIiEEfEEDaPvRmT3_T4_T5_mT6_P12ihipStream_tbENKUlT_T0_E_clISt17integral_constantIbLb1EESU_EEDaSP_SQ_EUlSP_E0_NS1_11comp_targetILNS1_3genE2ELNS1_11target_archE906ELNS1_3gpuE6ELNS1_3repE0EEENS1_30default_config_static_selectorELNS0_4arch9wavefront6targetE1EEEvT1_.kd
    .uniform_work_group_size: 1
    .uses_dynamic_stack: false
    .vgpr_count:     0
    .vgpr_spill_count: 0
    .wavefront_size: 64
  - .agpr_count:     0
    .args:
      - .offset:         0
        .size:           32
        .value_kind:     by_value
    .group_segment_fixed_size: 0
    .kernarg_segment_align: 8
    .kernarg_segment_size: 32
    .language:       OpenCL C
    .language_version:
      - 2
      - 0
    .max_flat_workgroup_size: 256
    .name:           _ZN7rocprim17ROCPRIM_400000_NS6detail17trampoline_kernelINS0_14default_configENS1_20scan_config_selectorIfEEZZNS1_9scan_implILNS1_25lookback_scan_determinismE0ELb0ELb0ES3_N6thrust23THRUST_200600_302600_NS6detail15normal_iteratorINS9_10device_ptrIfEEEESE_fNS9_4plusIiEEfEEDaPvRmT3_T4_T5_mT6_P12ihipStream_tbENKUlT_T0_E_clISt17integral_constantIbLb1EESU_EEDaSP_SQ_EUlSP_E0_NS1_11comp_targetILNS1_3genE10ELNS1_11target_archE1201ELNS1_3gpuE5ELNS1_3repE0EEENS1_30default_config_static_selectorELNS0_4arch9wavefront6targetE1EEEvT1_
    .private_segment_fixed_size: 0
    .sgpr_count:     4
    .sgpr_spill_count: 0
    .symbol:         _ZN7rocprim17ROCPRIM_400000_NS6detail17trampoline_kernelINS0_14default_configENS1_20scan_config_selectorIfEEZZNS1_9scan_implILNS1_25lookback_scan_determinismE0ELb0ELb0ES3_N6thrust23THRUST_200600_302600_NS6detail15normal_iteratorINS9_10device_ptrIfEEEESE_fNS9_4plusIiEEfEEDaPvRmT3_T4_T5_mT6_P12ihipStream_tbENKUlT_T0_E_clISt17integral_constantIbLb1EESU_EEDaSP_SQ_EUlSP_E0_NS1_11comp_targetILNS1_3genE10ELNS1_11target_archE1201ELNS1_3gpuE5ELNS1_3repE0EEENS1_30default_config_static_selectorELNS0_4arch9wavefront6targetE1EEEvT1_.kd
    .uniform_work_group_size: 1
    .uses_dynamic_stack: false
    .vgpr_count:     0
    .vgpr_spill_count: 0
    .wavefront_size: 64
  - .agpr_count:     0
    .args:
      - .offset:         0
        .size:           32
        .value_kind:     by_value
    .group_segment_fixed_size: 0
    .kernarg_segment_align: 8
    .kernarg_segment_size: 32
    .language:       OpenCL C
    .language_version:
      - 2
      - 0
    .max_flat_workgroup_size: 256
    .name:           _ZN7rocprim17ROCPRIM_400000_NS6detail17trampoline_kernelINS0_14default_configENS1_20scan_config_selectorIfEEZZNS1_9scan_implILNS1_25lookback_scan_determinismE0ELb0ELb0ES3_N6thrust23THRUST_200600_302600_NS6detail15normal_iteratorINS9_10device_ptrIfEEEESE_fNS9_4plusIiEEfEEDaPvRmT3_T4_T5_mT6_P12ihipStream_tbENKUlT_T0_E_clISt17integral_constantIbLb1EESU_EEDaSP_SQ_EUlSP_E0_NS1_11comp_targetILNS1_3genE10ELNS1_11target_archE1200ELNS1_3gpuE4ELNS1_3repE0EEENS1_30default_config_static_selectorELNS0_4arch9wavefront6targetE1EEEvT1_
    .private_segment_fixed_size: 0
    .sgpr_count:     4
    .sgpr_spill_count: 0
    .symbol:         _ZN7rocprim17ROCPRIM_400000_NS6detail17trampoline_kernelINS0_14default_configENS1_20scan_config_selectorIfEEZZNS1_9scan_implILNS1_25lookback_scan_determinismE0ELb0ELb0ES3_N6thrust23THRUST_200600_302600_NS6detail15normal_iteratorINS9_10device_ptrIfEEEESE_fNS9_4plusIiEEfEEDaPvRmT3_T4_T5_mT6_P12ihipStream_tbENKUlT_T0_E_clISt17integral_constantIbLb1EESU_EEDaSP_SQ_EUlSP_E0_NS1_11comp_targetILNS1_3genE10ELNS1_11target_archE1200ELNS1_3gpuE4ELNS1_3repE0EEENS1_30default_config_static_selectorELNS0_4arch9wavefront6targetE1EEEvT1_.kd
    .uniform_work_group_size: 1
    .uses_dynamic_stack: false
    .vgpr_count:     0
    .vgpr_spill_count: 0
    .wavefront_size: 64
  - .agpr_count:     0
    .args:
      - .offset:         0
        .size:           32
        .value_kind:     by_value
    .group_segment_fixed_size: 0
    .kernarg_segment_align: 8
    .kernarg_segment_size: 32
    .language:       OpenCL C
    .language_version:
      - 2
      - 0
    .max_flat_workgroup_size: 256
    .name:           _ZN7rocprim17ROCPRIM_400000_NS6detail17trampoline_kernelINS0_14default_configENS1_20scan_config_selectorIfEEZZNS1_9scan_implILNS1_25lookback_scan_determinismE0ELb0ELb0ES3_N6thrust23THRUST_200600_302600_NS6detail15normal_iteratorINS9_10device_ptrIfEEEESE_fNS9_4plusIiEEfEEDaPvRmT3_T4_T5_mT6_P12ihipStream_tbENKUlT_T0_E_clISt17integral_constantIbLb1EESU_EEDaSP_SQ_EUlSP_E0_NS1_11comp_targetILNS1_3genE9ELNS1_11target_archE1100ELNS1_3gpuE3ELNS1_3repE0EEENS1_30default_config_static_selectorELNS0_4arch9wavefront6targetE1EEEvT1_
    .private_segment_fixed_size: 0
    .sgpr_count:     4
    .sgpr_spill_count: 0
    .symbol:         _ZN7rocprim17ROCPRIM_400000_NS6detail17trampoline_kernelINS0_14default_configENS1_20scan_config_selectorIfEEZZNS1_9scan_implILNS1_25lookback_scan_determinismE0ELb0ELb0ES3_N6thrust23THRUST_200600_302600_NS6detail15normal_iteratorINS9_10device_ptrIfEEEESE_fNS9_4plusIiEEfEEDaPvRmT3_T4_T5_mT6_P12ihipStream_tbENKUlT_T0_E_clISt17integral_constantIbLb1EESU_EEDaSP_SQ_EUlSP_E0_NS1_11comp_targetILNS1_3genE9ELNS1_11target_archE1100ELNS1_3gpuE3ELNS1_3repE0EEENS1_30default_config_static_selectorELNS0_4arch9wavefront6targetE1EEEvT1_.kd
    .uniform_work_group_size: 1
    .uses_dynamic_stack: false
    .vgpr_count:     0
    .vgpr_spill_count: 0
    .wavefront_size: 64
  - .agpr_count:     0
    .args:
      - .offset:         0
        .size:           32
        .value_kind:     by_value
    .group_segment_fixed_size: 0
    .kernarg_segment_align: 8
    .kernarg_segment_size: 32
    .language:       OpenCL C
    .language_version:
      - 2
      - 0
    .max_flat_workgroup_size: 64
    .name:           _ZN7rocprim17ROCPRIM_400000_NS6detail17trampoline_kernelINS0_14default_configENS1_20scan_config_selectorIfEEZZNS1_9scan_implILNS1_25lookback_scan_determinismE0ELb0ELb0ES3_N6thrust23THRUST_200600_302600_NS6detail15normal_iteratorINS9_10device_ptrIfEEEESE_fNS9_4plusIiEEfEEDaPvRmT3_T4_T5_mT6_P12ihipStream_tbENKUlT_T0_E_clISt17integral_constantIbLb1EESU_EEDaSP_SQ_EUlSP_E0_NS1_11comp_targetILNS1_3genE8ELNS1_11target_archE1030ELNS1_3gpuE2ELNS1_3repE0EEENS1_30default_config_static_selectorELNS0_4arch9wavefront6targetE1EEEvT1_
    .private_segment_fixed_size: 0
    .sgpr_count:     4
    .sgpr_spill_count: 0
    .symbol:         _ZN7rocprim17ROCPRIM_400000_NS6detail17trampoline_kernelINS0_14default_configENS1_20scan_config_selectorIfEEZZNS1_9scan_implILNS1_25lookback_scan_determinismE0ELb0ELb0ES3_N6thrust23THRUST_200600_302600_NS6detail15normal_iteratorINS9_10device_ptrIfEEEESE_fNS9_4plusIiEEfEEDaPvRmT3_T4_T5_mT6_P12ihipStream_tbENKUlT_T0_E_clISt17integral_constantIbLb1EESU_EEDaSP_SQ_EUlSP_E0_NS1_11comp_targetILNS1_3genE8ELNS1_11target_archE1030ELNS1_3gpuE2ELNS1_3repE0EEENS1_30default_config_static_selectorELNS0_4arch9wavefront6targetE1EEEvT1_.kd
    .uniform_work_group_size: 1
    .uses_dynamic_stack: false
    .vgpr_count:     0
    .vgpr_spill_count: 0
    .wavefront_size: 64
  - .agpr_count:     0
    .args:
      - .offset:         0
        .size:           96
        .value_kind:     by_value
    .group_segment_fixed_size: 0
    .kernarg_segment_align: 8
    .kernarg_segment_size: 96
    .language:       OpenCL C
    .language_version:
      - 2
      - 0
    .max_flat_workgroup_size: 256
    .name:           _ZN7rocprim17ROCPRIM_400000_NS6detail17trampoline_kernelINS0_14default_configENS1_20scan_config_selectorIfEEZZNS1_9scan_implILNS1_25lookback_scan_determinismE0ELb0ELb0ES3_N6thrust23THRUST_200600_302600_NS6detail15normal_iteratorINS9_10device_ptrIfEEEESE_fNS9_4plusIiEEfEEDaPvRmT3_T4_T5_mT6_P12ihipStream_tbENKUlT_T0_E_clISt17integral_constantIbLb1EEST_IbLb0EEEEDaSP_SQ_EUlSP_E_NS1_11comp_targetILNS1_3genE0ELNS1_11target_archE4294967295ELNS1_3gpuE0ELNS1_3repE0EEENS1_30default_config_static_selectorELNS0_4arch9wavefront6targetE1EEEvT1_
    .private_segment_fixed_size: 0
    .sgpr_count:     4
    .sgpr_spill_count: 0
    .symbol:         _ZN7rocprim17ROCPRIM_400000_NS6detail17trampoline_kernelINS0_14default_configENS1_20scan_config_selectorIfEEZZNS1_9scan_implILNS1_25lookback_scan_determinismE0ELb0ELb0ES3_N6thrust23THRUST_200600_302600_NS6detail15normal_iteratorINS9_10device_ptrIfEEEESE_fNS9_4plusIiEEfEEDaPvRmT3_T4_T5_mT6_P12ihipStream_tbENKUlT_T0_E_clISt17integral_constantIbLb1EEST_IbLb0EEEEDaSP_SQ_EUlSP_E_NS1_11comp_targetILNS1_3genE0ELNS1_11target_archE4294967295ELNS1_3gpuE0ELNS1_3repE0EEENS1_30default_config_static_selectorELNS0_4arch9wavefront6targetE1EEEvT1_.kd
    .uniform_work_group_size: 1
    .uses_dynamic_stack: false
    .vgpr_count:     0
    .vgpr_spill_count: 0
    .wavefront_size: 64
  - .agpr_count:     0
    .args:
      - .offset:         0
        .size:           96
        .value_kind:     by_value
    .group_segment_fixed_size: 0
    .kernarg_segment_align: 8
    .kernarg_segment_size: 96
    .language:       OpenCL C
    .language_version:
      - 2
      - 0
    .max_flat_workgroup_size: 256
    .name:           _ZN7rocprim17ROCPRIM_400000_NS6detail17trampoline_kernelINS0_14default_configENS1_20scan_config_selectorIfEEZZNS1_9scan_implILNS1_25lookback_scan_determinismE0ELb0ELb0ES3_N6thrust23THRUST_200600_302600_NS6detail15normal_iteratorINS9_10device_ptrIfEEEESE_fNS9_4plusIiEEfEEDaPvRmT3_T4_T5_mT6_P12ihipStream_tbENKUlT_T0_E_clISt17integral_constantIbLb1EEST_IbLb0EEEEDaSP_SQ_EUlSP_E_NS1_11comp_targetILNS1_3genE5ELNS1_11target_archE942ELNS1_3gpuE9ELNS1_3repE0EEENS1_30default_config_static_selectorELNS0_4arch9wavefront6targetE1EEEvT1_
    .private_segment_fixed_size: 0
    .sgpr_count:     4
    .sgpr_spill_count: 0
    .symbol:         _ZN7rocprim17ROCPRIM_400000_NS6detail17trampoline_kernelINS0_14default_configENS1_20scan_config_selectorIfEEZZNS1_9scan_implILNS1_25lookback_scan_determinismE0ELb0ELb0ES3_N6thrust23THRUST_200600_302600_NS6detail15normal_iteratorINS9_10device_ptrIfEEEESE_fNS9_4plusIiEEfEEDaPvRmT3_T4_T5_mT6_P12ihipStream_tbENKUlT_T0_E_clISt17integral_constantIbLb1EEST_IbLb0EEEEDaSP_SQ_EUlSP_E_NS1_11comp_targetILNS1_3genE5ELNS1_11target_archE942ELNS1_3gpuE9ELNS1_3repE0EEENS1_30default_config_static_selectorELNS0_4arch9wavefront6targetE1EEEvT1_.kd
    .uniform_work_group_size: 1
    .uses_dynamic_stack: false
    .vgpr_count:     0
    .vgpr_spill_count: 0
    .wavefront_size: 64
  - .agpr_count:     0
    .args:
      - .offset:         0
        .size:           96
        .value_kind:     by_value
    .group_segment_fixed_size: 7168
    .kernarg_segment_align: 8
    .kernarg_segment_size: 96
    .language:       OpenCL C
    .language_version:
      - 2
      - 0
    .max_flat_workgroup_size: 128
    .name:           _ZN7rocprim17ROCPRIM_400000_NS6detail17trampoline_kernelINS0_14default_configENS1_20scan_config_selectorIfEEZZNS1_9scan_implILNS1_25lookback_scan_determinismE0ELb0ELb0ES3_N6thrust23THRUST_200600_302600_NS6detail15normal_iteratorINS9_10device_ptrIfEEEESE_fNS9_4plusIiEEfEEDaPvRmT3_T4_T5_mT6_P12ihipStream_tbENKUlT_T0_E_clISt17integral_constantIbLb1EEST_IbLb0EEEEDaSP_SQ_EUlSP_E_NS1_11comp_targetILNS1_3genE4ELNS1_11target_archE910ELNS1_3gpuE8ELNS1_3repE0EEENS1_30default_config_static_selectorELNS0_4arch9wavefront6targetE1EEEvT1_
    .private_segment_fixed_size: 0
    .sgpr_count:     32
    .sgpr_spill_count: 0
    .symbol:         _ZN7rocprim17ROCPRIM_400000_NS6detail17trampoline_kernelINS0_14default_configENS1_20scan_config_selectorIfEEZZNS1_9scan_implILNS1_25lookback_scan_determinismE0ELb0ELb0ES3_N6thrust23THRUST_200600_302600_NS6detail15normal_iteratorINS9_10device_ptrIfEEEESE_fNS9_4plusIiEEfEEDaPvRmT3_T4_T5_mT6_P12ihipStream_tbENKUlT_T0_E_clISt17integral_constantIbLb1EEST_IbLb0EEEEDaSP_SQ_EUlSP_E_NS1_11comp_targetILNS1_3genE4ELNS1_11target_archE910ELNS1_3gpuE8ELNS1_3repE0EEENS1_30default_config_static_selectorELNS0_4arch9wavefront6targetE1EEEvT1_.kd
    .uniform_work_group_size: 1
    .uses_dynamic_stack: false
    .vgpr_count:     62
    .vgpr_spill_count: 0
    .wavefront_size: 64
  - .agpr_count:     0
    .args:
      - .offset:         0
        .size:           96
        .value_kind:     by_value
    .group_segment_fixed_size: 0
    .kernarg_segment_align: 8
    .kernarg_segment_size: 96
    .language:       OpenCL C
    .language_version:
      - 2
      - 0
    .max_flat_workgroup_size: 256
    .name:           _ZN7rocprim17ROCPRIM_400000_NS6detail17trampoline_kernelINS0_14default_configENS1_20scan_config_selectorIfEEZZNS1_9scan_implILNS1_25lookback_scan_determinismE0ELb0ELb0ES3_N6thrust23THRUST_200600_302600_NS6detail15normal_iteratorINS9_10device_ptrIfEEEESE_fNS9_4plusIiEEfEEDaPvRmT3_T4_T5_mT6_P12ihipStream_tbENKUlT_T0_E_clISt17integral_constantIbLb1EEST_IbLb0EEEEDaSP_SQ_EUlSP_E_NS1_11comp_targetILNS1_3genE3ELNS1_11target_archE908ELNS1_3gpuE7ELNS1_3repE0EEENS1_30default_config_static_selectorELNS0_4arch9wavefront6targetE1EEEvT1_
    .private_segment_fixed_size: 0
    .sgpr_count:     4
    .sgpr_spill_count: 0
    .symbol:         _ZN7rocprim17ROCPRIM_400000_NS6detail17trampoline_kernelINS0_14default_configENS1_20scan_config_selectorIfEEZZNS1_9scan_implILNS1_25lookback_scan_determinismE0ELb0ELb0ES3_N6thrust23THRUST_200600_302600_NS6detail15normal_iteratorINS9_10device_ptrIfEEEESE_fNS9_4plusIiEEfEEDaPvRmT3_T4_T5_mT6_P12ihipStream_tbENKUlT_T0_E_clISt17integral_constantIbLb1EEST_IbLb0EEEEDaSP_SQ_EUlSP_E_NS1_11comp_targetILNS1_3genE3ELNS1_11target_archE908ELNS1_3gpuE7ELNS1_3repE0EEENS1_30default_config_static_selectorELNS0_4arch9wavefront6targetE1EEEvT1_.kd
    .uniform_work_group_size: 1
    .uses_dynamic_stack: false
    .vgpr_count:     0
    .vgpr_spill_count: 0
    .wavefront_size: 64
  - .agpr_count:     0
    .args:
      - .offset:         0
        .size:           96
        .value_kind:     by_value
    .group_segment_fixed_size: 0
    .kernarg_segment_align: 8
    .kernarg_segment_size: 96
    .language:       OpenCL C
    .language_version:
      - 2
      - 0
    .max_flat_workgroup_size: 256
    .name:           _ZN7rocprim17ROCPRIM_400000_NS6detail17trampoline_kernelINS0_14default_configENS1_20scan_config_selectorIfEEZZNS1_9scan_implILNS1_25lookback_scan_determinismE0ELb0ELb0ES3_N6thrust23THRUST_200600_302600_NS6detail15normal_iteratorINS9_10device_ptrIfEEEESE_fNS9_4plusIiEEfEEDaPvRmT3_T4_T5_mT6_P12ihipStream_tbENKUlT_T0_E_clISt17integral_constantIbLb1EEST_IbLb0EEEEDaSP_SQ_EUlSP_E_NS1_11comp_targetILNS1_3genE2ELNS1_11target_archE906ELNS1_3gpuE6ELNS1_3repE0EEENS1_30default_config_static_selectorELNS0_4arch9wavefront6targetE1EEEvT1_
    .private_segment_fixed_size: 0
    .sgpr_count:     4
    .sgpr_spill_count: 0
    .symbol:         _ZN7rocprim17ROCPRIM_400000_NS6detail17trampoline_kernelINS0_14default_configENS1_20scan_config_selectorIfEEZZNS1_9scan_implILNS1_25lookback_scan_determinismE0ELb0ELb0ES3_N6thrust23THRUST_200600_302600_NS6detail15normal_iteratorINS9_10device_ptrIfEEEESE_fNS9_4plusIiEEfEEDaPvRmT3_T4_T5_mT6_P12ihipStream_tbENKUlT_T0_E_clISt17integral_constantIbLb1EEST_IbLb0EEEEDaSP_SQ_EUlSP_E_NS1_11comp_targetILNS1_3genE2ELNS1_11target_archE906ELNS1_3gpuE6ELNS1_3repE0EEENS1_30default_config_static_selectorELNS0_4arch9wavefront6targetE1EEEvT1_.kd
    .uniform_work_group_size: 1
    .uses_dynamic_stack: false
    .vgpr_count:     0
    .vgpr_spill_count: 0
    .wavefront_size: 64
  - .agpr_count:     0
    .args:
      - .offset:         0
        .size:           96
        .value_kind:     by_value
    .group_segment_fixed_size: 0
    .kernarg_segment_align: 8
    .kernarg_segment_size: 96
    .language:       OpenCL C
    .language_version:
      - 2
      - 0
    .max_flat_workgroup_size: 256
    .name:           _ZN7rocprim17ROCPRIM_400000_NS6detail17trampoline_kernelINS0_14default_configENS1_20scan_config_selectorIfEEZZNS1_9scan_implILNS1_25lookback_scan_determinismE0ELb0ELb0ES3_N6thrust23THRUST_200600_302600_NS6detail15normal_iteratorINS9_10device_ptrIfEEEESE_fNS9_4plusIiEEfEEDaPvRmT3_T4_T5_mT6_P12ihipStream_tbENKUlT_T0_E_clISt17integral_constantIbLb1EEST_IbLb0EEEEDaSP_SQ_EUlSP_E_NS1_11comp_targetILNS1_3genE10ELNS1_11target_archE1201ELNS1_3gpuE5ELNS1_3repE0EEENS1_30default_config_static_selectorELNS0_4arch9wavefront6targetE1EEEvT1_
    .private_segment_fixed_size: 0
    .sgpr_count:     4
    .sgpr_spill_count: 0
    .symbol:         _ZN7rocprim17ROCPRIM_400000_NS6detail17trampoline_kernelINS0_14default_configENS1_20scan_config_selectorIfEEZZNS1_9scan_implILNS1_25lookback_scan_determinismE0ELb0ELb0ES3_N6thrust23THRUST_200600_302600_NS6detail15normal_iteratorINS9_10device_ptrIfEEEESE_fNS9_4plusIiEEfEEDaPvRmT3_T4_T5_mT6_P12ihipStream_tbENKUlT_T0_E_clISt17integral_constantIbLb1EEST_IbLb0EEEEDaSP_SQ_EUlSP_E_NS1_11comp_targetILNS1_3genE10ELNS1_11target_archE1201ELNS1_3gpuE5ELNS1_3repE0EEENS1_30default_config_static_selectorELNS0_4arch9wavefront6targetE1EEEvT1_.kd
    .uniform_work_group_size: 1
    .uses_dynamic_stack: false
    .vgpr_count:     0
    .vgpr_spill_count: 0
    .wavefront_size: 64
  - .agpr_count:     0
    .args:
      - .offset:         0
        .size:           96
        .value_kind:     by_value
    .group_segment_fixed_size: 0
    .kernarg_segment_align: 8
    .kernarg_segment_size: 96
    .language:       OpenCL C
    .language_version:
      - 2
      - 0
    .max_flat_workgroup_size: 256
    .name:           _ZN7rocprim17ROCPRIM_400000_NS6detail17trampoline_kernelINS0_14default_configENS1_20scan_config_selectorIfEEZZNS1_9scan_implILNS1_25lookback_scan_determinismE0ELb0ELb0ES3_N6thrust23THRUST_200600_302600_NS6detail15normal_iteratorINS9_10device_ptrIfEEEESE_fNS9_4plusIiEEfEEDaPvRmT3_T4_T5_mT6_P12ihipStream_tbENKUlT_T0_E_clISt17integral_constantIbLb1EEST_IbLb0EEEEDaSP_SQ_EUlSP_E_NS1_11comp_targetILNS1_3genE10ELNS1_11target_archE1200ELNS1_3gpuE4ELNS1_3repE0EEENS1_30default_config_static_selectorELNS0_4arch9wavefront6targetE1EEEvT1_
    .private_segment_fixed_size: 0
    .sgpr_count:     4
    .sgpr_spill_count: 0
    .symbol:         _ZN7rocprim17ROCPRIM_400000_NS6detail17trampoline_kernelINS0_14default_configENS1_20scan_config_selectorIfEEZZNS1_9scan_implILNS1_25lookback_scan_determinismE0ELb0ELb0ES3_N6thrust23THRUST_200600_302600_NS6detail15normal_iteratorINS9_10device_ptrIfEEEESE_fNS9_4plusIiEEfEEDaPvRmT3_T4_T5_mT6_P12ihipStream_tbENKUlT_T0_E_clISt17integral_constantIbLb1EEST_IbLb0EEEEDaSP_SQ_EUlSP_E_NS1_11comp_targetILNS1_3genE10ELNS1_11target_archE1200ELNS1_3gpuE4ELNS1_3repE0EEENS1_30default_config_static_selectorELNS0_4arch9wavefront6targetE1EEEvT1_.kd
    .uniform_work_group_size: 1
    .uses_dynamic_stack: false
    .vgpr_count:     0
    .vgpr_spill_count: 0
    .wavefront_size: 64
  - .agpr_count:     0
    .args:
      - .offset:         0
        .size:           96
        .value_kind:     by_value
    .group_segment_fixed_size: 0
    .kernarg_segment_align: 8
    .kernarg_segment_size: 96
    .language:       OpenCL C
    .language_version:
      - 2
      - 0
    .max_flat_workgroup_size: 256
    .name:           _ZN7rocprim17ROCPRIM_400000_NS6detail17trampoline_kernelINS0_14default_configENS1_20scan_config_selectorIfEEZZNS1_9scan_implILNS1_25lookback_scan_determinismE0ELb0ELb0ES3_N6thrust23THRUST_200600_302600_NS6detail15normal_iteratorINS9_10device_ptrIfEEEESE_fNS9_4plusIiEEfEEDaPvRmT3_T4_T5_mT6_P12ihipStream_tbENKUlT_T0_E_clISt17integral_constantIbLb1EEST_IbLb0EEEEDaSP_SQ_EUlSP_E_NS1_11comp_targetILNS1_3genE9ELNS1_11target_archE1100ELNS1_3gpuE3ELNS1_3repE0EEENS1_30default_config_static_selectorELNS0_4arch9wavefront6targetE1EEEvT1_
    .private_segment_fixed_size: 0
    .sgpr_count:     4
    .sgpr_spill_count: 0
    .symbol:         _ZN7rocprim17ROCPRIM_400000_NS6detail17trampoline_kernelINS0_14default_configENS1_20scan_config_selectorIfEEZZNS1_9scan_implILNS1_25lookback_scan_determinismE0ELb0ELb0ES3_N6thrust23THRUST_200600_302600_NS6detail15normal_iteratorINS9_10device_ptrIfEEEESE_fNS9_4plusIiEEfEEDaPvRmT3_T4_T5_mT6_P12ihipStream_tbENKUlT_T0_E_clISt17integral_constantIbLb1EEST_IbLb0EEEEDaSP_SQ_EUlSP_E_NS1_11comp_targetILNS1_3genE9ELNS1_11target_archE1100ELNS1_3gpuE3ELNS1_3repE0EEENS1_30default_config_static_selectorELNS0_4arch9wavefront6targetE1EEEvT1_.kd
    .uniform_work_group_size: 1
    .uses_dynamic_stack: false
    .vgpr_count:     0
    .vgpr_spill_count: 0
    .wavefront_size: 64
  - .agpr_count:     0
    .args:
      - .offset:         0
        .size:           96
        .value_kind:     by_value
    .group_segment_fixed_size: 0
    .kernarg_segment_align: 8
    .kernarg_segment_size: 96
    .language:       OpenCL C
    .language_version:
      - 2
      - 0
    .max_flat_workgroup_size: 64
    .name:           _ZN7rocprim17ROCPRIM_400000_NS6detail17trampoline_kernelINS0_14default_configENS1_20scan_config_selectorIfEEZZNS1_9scan_implILNS1_25lookback_scan_determinismE0ELb0ELb0ES3_N6thrust23THRUST_200600_302600_NS6detail15normal_iteratorINS9_10device_ptrIfEEEESE_fNS9_4plusIiEEfEEDaPvRmT3_T4_T5_mT6_P12ihipStream_tbENKUlT_T0_E_clISt17integral_constantIbLb1EEST_IbLb0EEEEDaSP_SQ_EUlSP_E_NS1_11comp_targetILNS1_3genE8ELNS1_11target_archE1030ELNS1_3gpuE2ELNS1_3repE0EEENS1_30default_config_static_selectorELNS0_4arch9wavefront6targetE1EEEvT1_
    .private_segment_fixed_size: 0
    .sgpr_count:     4
    .sgpr_spill_count: 0
    .symbol:         _ZN7rocprim17ROCPRIM_400000_NS6detail17trampoline_kernelINS0_14default_configENS1_20scan_config_selectorIfEEZZNS1_9scan_implILNS1_25lookback_scan_determinismE0ELb0ELb0ES3_N6thrust23THRUST_200600_302600_NS6detail15normal_iteratorINS9_10device_ptrIfEEEESE_fNS9_4plusIiEEfEEDaPvRmT3_T4_T5_mT6_P12ihipStream_tbENKUlT_T0_E_clISt17integral_constantIbLb1EEST_IbLb0EEEEDaSP_SQ_EUlSP_E_NS1_11comp_targetILNS1_3genE8ELNS1_11target_archE1030ELNS1_3gpuE2ELNS1_3repE0EEENS1_30default_config_static_selectorELNS0_4arch9wavefront6targetE1EEEvT1_.kd
    .uniform_work_group_size: 1
    .uses_dynamic_stack: false
    .vgpr_count:     0
    .vgpr_spill_count: 0
    .wavefront_size: 64
  - .agpr_count:     0
    .args:
      - .offset:         0
        .size:           32
        .value_kind:     by_value
    .group_segment_fixed_size: 0
    .kernarg_segment_align: 8
    .kernarg_segment_size: 32
    .language:       OpenCL C
    .language_version:
      - 2
      - 0
    .max_flat_workgroup_size: 256
    .name:           _ZN7rocprim17ROCPRIM_400000_NS6detail17trampoline_kernelINS0_14default_configENS1_20scan_config_selectorIfEEZZNS1_9scan_implILNS1_25lookback_scan_determinismE0ELb0ELb0ES3_N6thrust23THRUST_200600_302600_NS6detail15normal_iteratorINS9_10device_ptrIfEEEESE_fNS9_4plusIiEEfEEDaPvRmT3_T4_T5_mT6_P12ihipStream_tbENKUlT_T0_E_clISt17integral_constantIbLb1EEST_IbLb0EEEEDaSP_SQ_EUlSP_E0_NS1_11comp_targetILNS1_3genE0ELNS1_11target_archE4294967295ELNS1_3gpuE0ELNS1_3repE0EEENS1_30default_config_static_selectorELNS0_4arch9wavefront6targetE1EEEvT1_
    .private_segment_fixed_size: 0
    .sgpr_count:     4
    .sgpr_spill_count: 0
    .symbol:         _ZN7rocprim17ROCPRIM_400000_NS6detail17trampoline_kernelINS0_14default_configENS1_20scan_config_selectorIfEEZZNS1_9scan_implILNS1_25lookback_scan_determinismE0ELb0ELb0ES3_N6thrust23THRUST_200600_302600_NS6detail15normal_iteratorINS9_10device_ptrIfEEEESE_fNS9_4plusIiEEfEEDaPvRmT3_T4_T5_mT6_P12ihipStream_tbENKUlT_T0_E_clISt17integral_constantIbLb1EEST_IbLb0EEEEDaSP_SQ_EUlSP_E0_NS1_11comp_targetILNS1_3genE0ELNS1_11target_archE4294967295ELNS1_3gpuE0ELNS1_3repE0EEENS1_30default_config_static_selectorELNS0_4arch9wavefront6targetE1EEEvT1_.kd
    .uniform_work_group_size: 1
    .uses_dynamic_stack: false
    .vgpr_count:     0
    .vgpr_spill_count: 0
    .wavefront_size: 64
  - .agpr_count:     0
    .args:
      - .offset:         0
        .size:           32
        .value_kind:     by_value
    .group_segment_fixed_size: 0
    .kernarg_segment_align: 8
    .kernarg_segment_size: 32
    .language:       OpenCL C
    .language_version:
      - 2
      - 0
    .max_flat_workgroup_size: 256
    .name:           _ZN7rocprim17ROCPRIM_400000_NS6detail17trampoline_kernelINS0_14default_configENS1_20scan_config_selectorIfEEZZNS1_9scan_implILNS1_25lookback_scan_determinismE0ELb0ELb0ES3_N6thrust23THRUST_200600_302600_NS6detail15normal_iteratorINS9_10device_ptrIfEEEESE_fNS9_4plusIiEEfEEDaPvRmT3_T4_T5_mT6_P12ihipStream_tbENKUlT_T0_E_clISt17integral_constantIbLb1EEST_IbLb0EEEEDaSP_SQ_EUlSP_E0_NS1_11comp_targetILNS1_3genE5ELNS1_11target_archE942ELNS1_3gpuE9ELNS1_3repE0EEENS1_30default_config_static_selectorELNS0_4arch9wavefront6targetE1EEEvT1_
    .private_segment_fixed_size: 0
    .sgpr_count:     4
    .sgpr_spill_count: 0
    .symbol:         _ZN7rocprim17ROCPRIM_400000_NS6detail17trampoline_kernelINS0_14default_configENS1_20scan_config_selectorIfEEZZNS1_9scan_implILNS1_25lookback_scan_determinismE0ELb0ELb0ES3_N6thrust23THRUST_200600_302600_NS6detail15normal_iteratorINS9_10device_ptrIfEEEESE_fNS9_4plusIiEEfEEDaPvRmT3_T4_T5_mT6_P12ihipStream_tbENKUlT_T0_E_clISt17integral_constantIbLb1EEST_IbLb0EEEEDaSP_SQ_EUlSP_E0_NS1_11comp_targetILNS1_3genE5ELNS1_11target_archE942ELNS1_3gpuE9ELNS1_3repE0EEENS1_30default_config_static_selectorELNS0_4arch9wavefront6targetE1EEEvT1_.kd
    .uniform_work_group_size: 1
    .uses_dynamic_stack: false
    .vgpr_count:     0
    .vgpr_spill_count: 0
    .wavefront_size: 64
  - .agpr_count:     0
    .args:
      - .offset:         0
        .size:           32
        .value_kind:     by_value
    .group_segment_fixed_size: 7168
    .kernarg_segment_align: 8
    .kernarg_segment_size: 32
    .language:       OpenCL C
    .language_version:
      - 2
      - 0
    .max_flat_workgroup_size: 128
    .name:           _ZN7rocprim17ROCPRIM_400000_NS6detail17trampoline_kernelINS0_14default_configENS1_20scan_config_selectorIfEEZZNS1_9scan_implILNS1_25lookback_scan_determinismE0ELb0ELb0ES3_N6thrust23THRUST_200600_302600_NS6detail15normal_iteratorINS9_10device_ptrIfEEEESE_fNS9_4plusIiEEfEEDaPvRmT3_T4_T5_mT6_P12ihipStream_tbENKUlT_T0_E_clISt17integral_constantIbLb1EEST_IbLb0EEEEDaSP_SQ_EUlSP_E0_NS1_11comp_targetILNS1_3genE4ELNS1_11target_archE910ELNS1_3gpuE8ELNS1_3repE0EEENS1_30default_config_static_selectorELNS0_4arch9wavefront6targetE1EEEvT1_
    .private_segment_fixed_size: 0
    .sgpr_count:     40
    .sgpr_spill_count: 0
    .symbol:         _ZN7rocprim17ROCPRIM_400000_NS6detail17trampoline_kernelINS0_14default_configENS1_20scan_config_selectorIfEEZZNS1_9scan_implILNS1_25lookback_scan_determinismE0ELb0ELb0ES3_N6thrust23THRUST_200600_302600_NS6detail15normal_iteratorINS9_10device_ptrIfEEEESE_fNS9_4plusIiEEfEEDaPvRmT3_T4_T5_mT6_P12ihipStream_tbENKUlT_T0_E_clISt17integral_constantIbLb1EEST_IbLb0EEEEDaSP_SQ_EUlSP_E0_NS1_11comp_targetILNS1_3genE4ELNS1_11target_archE910ELNS1_3gpuE8ELNS1_3repE0EEENS1_30default_config_static_selectorELNS0_4arch9wavefront6targetE1EEEvT1_.kd
    .uniform_work_group_size: 1
    .uses_dynamic_stack: false
    .vgpr_count:     38
    .vgpr_spill_count: 0
    .wavefront_size: 64
  - .agpr_count:     0
    .args:
      - .offset:         0
        .size:           32
        .value_kind:     by_value
    .group_segment_fixed_size: 0
    .kernarg_segment_align: 8
    .kernarg_segment_size: 32
    .language:       OpenCL C
    .language_version:
      - 2
      - 0
    .max_flat_workgroup_size: 256
    .name:           _ZN7rocprim17ROCPRIM_400000_NS6detail17trampoline_kernelINS0_14default_configENS1_20scan_config_selectorIfEEZZNS1_9scan_implILNS1_25lookback_scan_determinismE0ELb0ELb0ES3_N6thrust23THRUST_200600_302600_NS6detail15normal_iteratorINS9_10device_ptrIfEEEESE_fNS9_4plusIiEEfEEDaPvRmT3_T4_T5_mT6_P12ihipStream_tbENKUlT_T0_E_clISt17integral_constantIbLb1EEST_IbLb0EEEEDaSP_SQ_EUlSP_E0_NS1_11comp_targetILNS1_3genE3ELNS1_11target_archE908ELNS1_3gpuE7ELNS1_3repE0EEENS1_30default_config_static_selectorELNS0_4arch9wavefront6targetE1EEEvT1_
    .private_segment_fixed_size: 0
    .sgpr_count:     4
    .sgpr_spill_count: 0
    .symbol:         _ZN7rocprim17ROCPRIM_400000_NS6detail17trampoline_kernelINS0_14default_configENS1_20scan_config_selectorIfEEZZNS1_9scan_implILNS1_25lookback_scan_determinismE0ELb0ELb0ES3_N6thrust23THRUST_200600_302600_NS6detail15normal_iteratorINS9_10device_ptrIfEEEESE_fNS9_4plusIiEEfEEDaPvRmT3_T4_T5_mT6_P12ihipStream_tbENKUlT_T0_E_clISt17integral_constantIbLb1EEST_IbLb0EEEEDaSP_SQ_EUlSP_E0_NS1_11comp_targetILNS1_3genE3ELNS1_11target_archE908ELNS1_3gpuE7ELNS1_3repE0EEENS1_30default_config_static_selectorELNS0_4arch9wavefront6targetE1EEEvT1_.kd
    .uniform_work_group_size: 1
    .uses_dynamic_stack: false
    .vgpr_count:     0
    .vgpr_spill_count: 0
    .wavefront_size: 64
  - .agpr_count:     0
    .args:
      - .offset:         0
        .size:           32
        .value_kind:     by_value
    .group_segment_fixed_size: 0
    .kernarg_segment_align: 8
    .kernarg_segment_size: 32
    .language:       OpenCL C
    .language_version:
      - 2
      - 0
    .max_flat_workgroup_size: 256
    .name:           _ZN7rocprim17ROCPRIM_400000_NS6detail17trampoline_kernelINS0_14default_configENS1_20scan_config_selectorIfEEZZNS1_9scan_implILNS1_25lookback_scan_determinismE0ELb0ELb0ES3_N6thrust23THRUST_200600_302600_NS6detail15normal_iteratorINS9_10device_ptrIfEEEESE_fNS9_4plusIiEEfEEDaPvRmT3_T4_T5_mT6_P12ihipStream_tbENKUlT_T0_E_clISt17integral_constantIbLb1EEST_IbLb0EEEEDaSP_SQ_EUlSP_E0_NS1_11comp_targetILNS1_3genE2ELNS1_11target_archE906ELNS1_3gpuE6ELNS1_3repE0EEENS1_30default_config_static_selectorELNS0_4arch9wavefront6targetE1EEEvT1_
    .private_segment_fixed_size: 0
    .sgpr_count:     4
    .sgpr_spill_count: 0
    .symbol:         _ZN7rocprim17ROCPRIM_400000_NS6detail17trampoline_kernelINS0_14default_configENS1_20scan_config_selectorIfEEZZNS1_9scan_implILNS1_25lookback_scan_determinismE0ELb0ELb0ES3_N6thrust23THRUST_200600_302600_NS6detail15normal_iteratorINS9_10device_ptrIfEEEESE_fNS9_4plusIiEEfEEDaPvRmT3_T4_T5_mT6_P12ihipStream_tbENKUlT_T0_E_clISt17integral_constantIbLb1EEST_IbLb0EEEEDaSP_SQ_EUlSP_E0_NS1_11comp_targetILNS1_3genE2ELNS1_11target_archE906ELNS1_3gpuE6ELNS1_3repE0EEENS1_30default_config_static_selectorELNS0_4arch9wavefront6targetE1EEEvT1_.kd
    .uniform_work_group_size: 1
    .uses_dynamic_stack: false
    .vgpr_count:     0
    .vgpr_spill_count: 0
    .wavefront_size: 64
  - .agpr_count:     0
    .args:
      - .offset:         0
        .size:           32
        .value_kind:     by_value
    .group_segment_fixed_size: 0
    .kernarg_segment_align: 8
    .kernarg_segment_size: 32
    .language:       OpenCL C
    .language_version:
      - 2
      - 0
    .max_flat_workgroup_size: 256
    .name:           _ZN7rocprim17ROCPRIM_400000_NS6detail17trampoline_kernelINS0_14default_configENS1_20scan_config_selectorIfEEZZNS1_9scan_implILNS1_25lookback_scan_determinismE0ELb0ELb0ES3_N6thrust23THRUST_200600_302600_NS6detail15normal_iteratorINS9_10device_ptrIfEEEESE_fNS9_4plusIiEEfEEDaPvRmT3_T4_T5_mT6_P12ihipStream_tbENKUlT_T0_E_clISt17integral_constantIbLb1EEST_IbLb0EEEEDaSP_SQ_EUlSP_E0_NS1_11comp_targetILNS1_3genE10ELNS1_11target_archE1201ELNS1_3gpuE5ELNS1_3repE0EEENS1_30default_config_static_selectorELNS0_4arch9wavefront6targetE1EEEvT1_
    .private_segment_fixed_size: 0
    .sgpr_count:     4
    .sgpr_spill_count: 0
    .symbol:         _ZN7rocprim17ROCPRIM_400000_NS6detail17trampoline_kernelINS0_14default_configENS1_20scan_config_selectorIfEEZZNS1_9scan_implILNS1_25lookback_scan_determinismE0ELb0ELb0ES3_N6thrust23THRUST_200600_302600_NS6detail15normal_iteratorINS9_10device_ptrIfEEEESE_fNS9_4plusIiEEfEEDaPvRmT3_T4_T5_mT6_P12ihipStream_tbENKUlT_T0_E_clISt17integral_constantIbLb1EEST_IbLb0EEEEDaSP_SQ_EUlSP_E0_NS1_11comp_targetILNS1_3genE10ELNS1_11target_archE1201ELNS1_3gpuE5ELNS1_3repE0EEENS1_30default_config_static_selectorELNS0_4arch9wavefront6targetE1EEEvT1_.kd
    .uniform_work_group_size: 1
    .uses_dynamic_stack: false
    .vgpr_count:     0
    .vgpr_spill_count: 0
    .wavefront_size: 64
  - .agpr_count:     0
    .args:
      - .offset:         0
        .size:           32
        .value_kind:     by_value
    .group_segment_fixed_size: 0
    .kernarg_segment_align: 8
    .kernarg_segment_size: 32
    .language:       OpenCL C
    .language_version:
      - 2
      - 0
    .max_flat_workgroup_size: 256
    .name:           _ZN7rocprim17ROCPRIM_400000_NS6detail17trampoline_kernelINS0_14default_configENS1_20scan_config_selectorIfEEZZNS1_9scan_implILNS1_25lookback_scan_determinismE0ELb0ELb0ES3_N6thrust23THRUST_200600_302600_NS6detail15normal_iteratorINS9_10device_ptrIfEEEESE_fNS9_4plusIiEEfEEDaPvRmT3_T4_T5_mT6_P12ihipStream_tbENKUlT_T0_E_clISt17integral_constantIbLb1EEST_IbLb0EEEEDaSP_SQ_EUlSP_E0_NS1_11comp_targetILNS1_3genE10ELNS1_11target_archE1200ELNS1_3gpuE4ELNS1_3repE0EEENS1_30default_config_static_selectorELNS0_4arch9wavefront6targetE1EEEvT1_
    .private_segment_fixed_size: 0
    .sgpr_count:     4
    .sgpr_spill_count: 0
    .symbol:         _ZN7rocprim17ROCPRIM_400000_NS6detail17trampoline_kernelINS0_14default_configENS1_20scan_config_selectorIfEEZZNS1_9scan_implILNS1_25lookback_scan_determinismE0ELb0ELb0ES3_N6thrust23THRUST_200600_302600_NS6detail15normal_iteratorINS9_10device_ptrIfEEEESE_fNS9_4plusIiEEfEEDaPvRmT3_T4_T5_mT6_P12ihipStream_tbENKUlT_T0_E_clISt17integral_constantIbLb1EEST_IbLb0EEEEDaSP_SQ_EUlSP_E0_NS1_11comp_targetILNS1_3genE10ELNS1_11target_archE1200ELNS1_3gpuE4ELNS1_3repE0EEENS1_30default_config_static_selectorELNS0_4arch9wavefront6targetE1EEEvT1_.kd
    .uniform_work_group_size: 1
    .uses_dynamic_stack: false
    .vgpr_count:     0
    .vgpr_spill_count: 0
    .wavefront_size: 64
  - .agpr_count:     0
    .args:
      - .offset:         0
        .size:           32
        .value_kind:     by_value
    .group_segment_fixed_size: 0
    .kernarg_segment_align: 8
    .kernarg_segment_size: 32
    .language:       OpenCL C
    .language_version:
      - 2
      - 0
    .max_flat_workgroup_size: 256
    .name:           _ZN7rocprim17ROCPRIM_400000_NS6detail17trampoline_kernelINS0_14default_configENS1_20scan_config_selectorIfEEZZNS1_9scan_implILNS1_25lookback_scan_determinismE0ELb0ELb0ES3_N6thrust23THRUST_200600_302600_NS6detail15normal_iteratorINS9_10device_ptrIfEEEESE_fNS9_4plusIiEEfEEDaPvRmT3_T4_T5_mT6_P12ihipStream_tbENKUlT_T0_E_clISt17integral_constantIbLb1EEST_IbLb0EEEEDaSP_SQ_EUlSP_E0_NS1_11comp_targetILNS1_3genE9ELNS1_11target_archE1100ELNS1_3gpuE3ELNS1_3repE0EEENS1_30default_config_static_selectorELNS0_4arch9wavefront6targetE1EEEvT1_
    .private_segment_fixed_size: 0
    .sgpr_count:     4
    .sgpr_spill_count: 0
    .symbol:         _ZN7rocprim17ROCPRIM_400000_NS6detail17trampoline_kernelINS0_14default_configENS1_20scan_config_selectorIfEEZZNS1_9scan_implILNS1_25lookback_scan_determinismE0ELb0ELb0ES3_N6thrust23THRUST_200600_302600_NS6detail15normal_iteratorINS9_10device_ptrIfEEEESE_fNS9_4plusIiEEfEEDaPvRmT3_T4_T5_mT6_P12ihipStream_tbENKUlT_T0_E_clISt17integral_constantIbLb1EEST_IbLb0EEEEDaSP_SQ_EUlSP_E0_NS1_11comp_targetILNS1_3genE9ELNS1_11target_archE1100ELNS1_3gpuE3ELNS1_3repE0EEENS1_30default_config_static_selectorELNS0_4arch9wavefront6targetE1EEEvT1_.kd
    .uniform_work_group_size: 1
    .uses_dynamic_stack: false
    .vgpr_count:     0
    .vgpr_spill_count: 0
    .wavefront_size: 64
  - .agpr_count:     0
    .args:
      - .offset:         0
        .size:           32
        .value_kind:     by_value
    .group_segment_fixed_size: 0
    .kernarg_segment_align: 8
    .kernarg_segment_size: 32
    .language:       OpenCL C
    .language_version:
      - 2
      - 0
    .max_flat_workgroup_size: 64
    .name:           _ZN7rocprim17ROCPRIM_400000_NS6detail17trampoline_kernelINS0_14default_configENS1_20scan_config_selectorIfEEZZNS1_9scan_implILNS1_25lookback_scan_determinismE0ELb0ELb0ES3_N6thrust23THRUST_200600_302600_NS6detail15normal_iteratorINS9_10device_ptrIfEEEESE_fNS9_4plusIiEEfEEDaPvRmT3_T4_T5_mT6_P12ihipStream_tbENKUlT_T0_E_clISt17integral_constantIbLb1EEST_IbLb0EEEEDaSP_SQ_EUlSP_E0_NS1_11comp_targetILNS1_3genE8ELNS1_11target_archE1030ELNS1_3gpuE2ELNS1_3repE0EEENS1_30default_config_static_selectorELNS0_4arch9wavefront6targetE1EEEvT1_
    .private_segment_fixed_size: 0
    .sgpr_count:     4
    .sgpr_spill_count: 0
    .symbol:         _ZN7rocprim17ROCPRIM_400000_NS6detail17trampoline_kernelINS0_14default_configENS1_20scan_config_selectorIfEEZZNS1_9scan_implILNS1_25lookback_scan_determinismE0ELb0ELb0ES3_N6thrust23THRUST_200600_302600_NS6detail15normal_iteratorINS9_10device_ptrIfEEEESE_fNS9_4plusIiEEfEEDaPvRmT3_T4_T5_mT6_P12ihipStream_tbENKUlT_T0_E_clISt17integral_constantIbLb1EEST_IbLb0EEEEDaSP_SQ_EUlSP_E0_NS1_11comp_targetILNS1_3genE8ELNS1_11target_archE1030ELNS1_3gpuE2ELNS1_3repE0EEENS1_30default_config_static_selectorELNS0_4arch9wavefront6targetE1EEEvT1_.kd
    .uniform_work_group_size: 1
    .uses_dynamic_stack: false
    .vgpr_count:     0
    .vgpr_spill_count: 0
    .wavefront_size: 64
  - .agpr_count:     0
    .args:
      - .offset:         0
        .size:           96
        .value_kind:     by_value
    .group_segment_fixed_size: 0
    .kernarg_segment_align: 8
    .kernarg_segment_size: 96
    .language:       OpenCL C
    .language_version:
      - 2
      - 0
    .max_flat_workgroup_size: 256
    .name:           _ZN7rocprim17ROCPRIM_400000_NS6detail17trampoline_kernelINS0_14default_configENS1_20scan_config_selectorIfEEZZNS1_9scan_implILNS1_25lookback_scan_determinismE0ELb0ELb0ES3_N6thrust23THRUST_200600_302600_NS6detail15normal_iteratorINS9_10device_ptrIfEEEESE_fNS9_4plusIiEEfEEDaPvRmT3_T4_T5_mT6_P12ihipStream_tbENKUlT_T0_E_clISt17integral_constantIbLb0EEST_IbLb1EEEEDaSP_SQ_EUlSP_E_NS1_11comp_targetILNS1_3genE0ELNS1_11target_archE4294967295ELNS1_3gpuE0ELNS1_3repE0EEENS1_30default_config_static_selectorELNS0_4arch9wavefront6targetE1EEEvT1_
    .private_segment_fixed_size: 0
    .sgpr_count:     4
    .sgpr_spill_count: 0
    .symbol:         _ZN7rocprim17ROCPRIM_400000_NS6detail17trampoline_kernelINS0_14default_configENS1_20scan_config_selectorIfEEZZNS1_9scan_implILNS1_25lookback_scan_determinismE0ELb0ELb0ES3_N6thrust23THRUST_200600_302600_NS6detail15normal_iteratorINS9_10device_ptrIfEEEESE_fNS9_4plusIiEEfEEDaPvRmT3_T4_T5_mT6_P12ihipStream_tbENKUlT_T0_E_clISt17integral_constantIbLb0EEST_IbLb1EEEEDaSP_SQ_EUlSP_E_NS1_11comp_targetILNS1_3genE0ELNS1_11target_archE4294967295ELNS1_3gpuE0ELNS1_3repE0EEENS1_30default_config_static_selectorELNS0_4arch9wavefront6targetE1EEEvT1_.kd
    .uniform_work_group_size: 1
    .uses_dynamic_stack: false
    .vgpr_count:     0
    .vgpr_spill_count: 0
    .wavefront_size: 64
  - .agpr_count:     0
    .args:
      - .offset:         0
        .size:           96
        .value_kind:     by_value
    .group_segment_fixed_size: 0
    .kernarg_segment_align: 8
    .kernarg_segment_size: 96
    .language:       OpenCL C
    .language_version:
      - 2
      - 0
    .max_flat_workgroup_size: 256
    .name:           _ZN7rocprim17ROCPRIM_400000_NS6detail17trampoline_kernelINS0_14default_configENS1_20scan_config_selectorIfEEZZNS1_9scan_implILNS1_25lookback_scan_determinismE0ELb0ELb0ES3_N6thrust23THRUST_200600_302600_NS6detail15normal_iteratorINS9_10device_ptrIfEEEESE_fNS9_4plusIiEEfEEDaPvRmT3_T4_T5_mT6_P12ihipStream_tbENKUlT_T0_E_clISt17integral_constantIbLb0EEST_IbLb1EEEEDaSP_SQ_EUlSP_E_NS1_11comp_targetILNS1_3genE5ELNS1_11target_archE942ELNS1_3gpuE9ELNS1_3repE0EEENS1_30default_config_static_selectorELNS0_4arch9wavefront6targetE1EEEvT1_
    .private_segment_fixed_size: 0
    .sgpr_count:     4
    .sgpr_spill_count: 0
    .symbol:         _ZN7rocprim17ROCPRIM_400000_NS6detail17trampoline_kernelINS0_14default_configENS1_20scan_config_selectorIfEEZZNS1_9scan_implILNS1_25lookback_scan_determinismE0ELb0ELb0ES3_N6thrust23THRUST_200600_302600_NS6detail15normal_iteratorINS9_10device_ptrIfEEEESE_fNS9_4plusIiEEfEEDaPvRmT3_T4_T5_mT6_P12ihipStream_tbENKUlT_T0_E_clISt17integral_constantIbLb0EEST_IbLb1EEEEDaSP_SQ_EUlSP_E_NS1_11comp_targetILNS1_3genE5ELNS1_11target_archE942ELNS1_3gpuE9ELNS1_3repE0EEENS1_30default_config_static_selectorELNS0_4arch9wavefront6targetE1EEEvT1_.kd
    .uniform_work_group_size: 1
    .uses_dynamic_stack: false
    .vgpr_count:     0
    .vgpr_spill_count: 0
    .wavefront_size: 64
  - .agpr_count:     0
    .args:
      - .offset:         0
        .size:           96
        .value_kind:     by_value
    .group_segment_fixed_size: 7168
    .kernarg_segment_align: 8
    .kernarg_segment_size: 96
    .language:       OpenCL C
    .language_version:
      - 2
      - 0
    .max_flat_workgroup_size: 128
    .name:           _ZN7rocprim17ROCPRIM_400000_NS6detail17trampoline_kernelINS0_14default_configENS1_20scan_config_selectorIfEEZZNS1_9scan_implILNS1_25lookback_scan_determinismE0ELb0ELb0ES3_N6thrust23THRUST_200600_302600_NS6detail15normal_iteratorINS9_10device_ptrIfEEEESE_fNS9_4plusIiEEfEEDaPvRmT3_T4_T5_mT6_P12ihipStream_tbENKUlT_T0_E_clISt17integral_constantIbLb0EEST_IbLb1EEEEDaSP_SQ_EUlSP_E_NS1_11comp_targetILNS1_3genE4ELNS1_11target_archE910ELNS1_3gpuE8ELNS1_3repE0EEENS1_30default_config_static_selectorELNS0_4arch9wavefront6targetE1EEEvT1_
    .private_segment_fixed_size: 0
    .sgpr_count:     40
    .sgpr_spill_count: 0
    .symbol:         _ZN7rocprim17ROCPRIM_400000_NS6detail17trampoline_kernelINS0_14default_configENS1_20scan_config_selectorIfEEZZNS1_9scan_implILNS1_25lookback_scan_determinismE0ELb0ELb0ES3_N6thrust23THRUST_200600_302600_NS6detail15normal_iteratorINS9_10device_ptrIfEEEESE_fNS9_4plusIiEEfEEDaPvRmT3_T4_T5_mT6_P12ihipStream_tbENKUlT_T0_E_clISt17integral_constantIbLb0EEST_IbLb1EEEEDaSP_SQ_EUlSP_E_NS1_11comp_targetILNS1_3genE4ELNS1_11target_archE910ELNS1_3gpuE8ELNS1_3repE0EEENS1_30default_config_static_selectorELNS0_4arch9wavefront6targetE1EEEvT1_.kd
    .uniform_work_group_size: 1
    .uses_dynamic_stack: false
    .vgpr_count:     62
    .vgpr_spill_count: 0
    .wavefront_size: 64
  - .agpr_count:     0
    .args:
      - .offset:         0
        .size:           96
        .value_kind:     by_value
    .group_segment_fixed_size: 0
    .kernarg_segment_align: 8
    .kernarg_segment_size: 96
    .language:       OpenCL C
    .language_version:
      - 2
      - 0
    .max_flat_workgroup_size: 256
    .name:           _ZN7rocprim17ROCPRIM_400000_NS6detail17trampoline_kernelINS0_14default_configENS1_20scan_config_selectorIfEEZZNS1_9scan_implILNS1_25lookback_scan_determinismE0ELb0ELb0ES3_N6thrust23THRUST_200600_302600_NS6detail15normal_iteratorINS9_10device_ptrIfEEEESE_fNS9_4plusIiEEfEEDaPvRmT3_T4_T5_mT6_P12ihipStream_tbENKUlT_T0_E_clISt17integral_constantIbLb0EEST_IbLb1EEEEDaSP_SQ_EUlSP_E_NS1_11comp_targetILNS1_3genE3ELNS1_11target_archE908ELNS1_3gpuE7ELNS1_3repE0EEENS1_30default_config_static_selectorELNS0_4arch9wavefront6targetE1EEEvT1_
    .private_segment_fixed_size: 0
    .sgpr_count:     4
    .sgpr_spill_count: 0
    .symbol:         _ZN7rocprim17ROCPRIM_400000_NS6detail17trampoline_kernelINS0_14default_configENS1_20scan_config_selectorIfEEZZNS1_9scan_implILNS1_25lookback_scan_determinismE0ELb0ELb0ES3_N6thrust23THRUST_200600_302600_NS6detail15normal_iteratorINS9_10device_ptrIfEEEESE_fNS9_4plusIiEEfEEDaPvRmT3_T4_T5_mT6_P12ihipStream_tbENKUlT_T0_E_clISt17integral_constantIbLb0EEST_IbLb1EEEEDaSP_SQ_EUlSP_E_NS1_11comp_targetILNS1_3genE3ELNS1_11target_archE908ELNS1_3gpuE7ELNS1_3repE0EEENS1_30default_config_static_selectorELNS0_4arch9wavefront6targetE1EEEvT1_.kd
    .uniform_work_group_size: 1
    .uses_dynamic_stack: false
    .vgpr_count:     0
    .vgpr_spill_count: 0
    .wavefront_size: 64
  - .agpr_count:     0
    .args:
      - .offset:         0
        .size:           96
        .value_kind:     by_value
    .group_segment_fixed_size: 0
    .kernarg_segment_align: 8
    .kernarg_segment_size: 96
    .language:       OpenCL C
    .language_version:
      - 2
      - 0
    .max_flat_workgroup_size: 256
    .name:           _ZN7rocprim17ROCPRIM_400000_NS6detail17trampoline_kernelINS0_14default_configENS1_20scan_config_selectorIfEEZZNS1_9scan_implILNS1_25lookback_scan_determinismE0ELb0ELb0ES3_N6thrust23THRUST_200600_302600_NS6detail15normal_iteratorINS9_10device_ptrIfEEEESE_fNS9_4plusIiEEfEEDaPvRmT3_T4_T5_mT6_P12ihipStream_tbENKUlT_T0_E_clISt17integral_constantIbLb0EEST_IbLb1EEEEDaSP_SQ_EUlSP_E_NS1_11comp_targetILNS1_3genE2ELNS1_11target_archE906ELNS1_3gpuE6ELNS1_3repE0EEENS1_30default_config_static_selectorELNS0_4arch9wavefront6targetE1EEEvT1_
    .private_segment_fixed_size: 0
    .sgpr_count:     4
    .sgpr_spill_count: 0
    .symbol:         _ZN7rocprim17ROCPRIM_400000_NS6detail17trampoline_kernelINS0_14default_configENS1_20scan_config_selectorIfEEZZNS1_9scan_implILNS1_25lookback_scan_determinismE0ELb0ELb0ES3_N6thrust23THRUST_200600_302600_NS6detail15normal_iteratorINS9_10device_ptrIfEEEESE_fNS9_4plusIiEEfEEDaPvRmT3_T4_T5_mT6_P12ihipStream_tbENKUlT_T0_E_clISt17integral_constantIbLb0EEST_IbLb1EEEEDaSP_SQ_EUlSP_E_NS1_11comp_targetILNS1_3genE2ELNS1_11target_archE906ELNS1_3gpuE6ELNS1_3repE0EEENS1_30default_config_static_selectorELNS0_4arch9wavefront6targetE1EEEvT1_.kd
    .uniform_work_group_size: 1
    .uses_dynamic_stack: false
    .vgpr_count:     0
    .vgpr_spill_count: 0
    .wavefront_size: 64
  - .agpr_count:     0
    .args:
      - .offset:         0
        .size:           96
        .value_kind:     by_value
    .group_segment_fixed_size: 0
    .kernarg_segment_align: 8
    .kernarg_segment_size: 96
    .language:       OpenCL C
    .language_version:
      - 2
      - 0
    .max_flat_workgroup_size: 256
    .name:           _ZN7rocprim17ROCPRIM_400000_NS6detail17trampoline_kernelINS0_14default_configENS1_20scan_config_selectorIfEEZZNS1_9scan_implILNS1_25lookback_scan_determinismE0ELb0ELb0ES3_N6thrust23THRUST_200600_302600_NS6detail15normal_iteratorINS9_10device_ptrIfEEEESE_fNS9_4plusIiEEfEEDaPvRmT3_T4_T5_mT6_P12ihipStream_tbENKUlT_T0_E_clISt17integral_constantIbLb0EEST_IbLb1EEEEDaSP_SQ_EUlSP_E_NS1_11comp_targetILNS1_3genE10ELNS1_11target_archE1201ELNS1_3gpuE5ELNS1_3repE0EEENS1_30default_config_static_selectorELNS0_4arch9wavefront6targetE1EEEvT1_
    .private_segment_fixed_size: 0
    .sgpr_count:     4
    .sgpr_spill_count: 0
    .symbol:         _ZN7rocprim17ROCPRIM_400000_NS6detail17trampoline_kernelINS0_14default_configENS1_20scan_config_selectorIfEEZZNS1_9scan_implILNS1_25lookback_scan_determinismE0ELb0ELb0ES3_N6thrust23THRUST_200600_302600_NS6detail15normal_iteratorINS9_10device_ptrIfEEEESE_fNS9_4plusIiEEfEEDaPvRmT3_T4_T5_mT6_P12ihipStream_tbENKUlT_T0_E_clISt17integral_constantIbLb0EEST_IbLb1EEEEDaSP_SQ_EUlSP_E_NS1_11comp_targetILNS1_3genE10ELNS1_11target_archE1201ELNS1_3gpuE5ELNS1_3repE0EEENS1_30default_config_static_selectorELNS0_4arch9wavefront6targetE1EEEvT1_.kd
    .uniform_work_group_size: 1
    .uses_dynamic_stack: false
    .vgpr_count:     0
    .vgpr_spill_count: 0
    .wavefront_size: 64
  - .agpr_count:     0
    .args:
      - .offset:         0
        .size:           96
        .value_kind:     by_value
    .group_segment_fixed_size: 0
    .kernarg_segment_align: 8
    .kernarg_segment_size: 96
    .language:       OpenCL C
    .language_version:
      - 2
      - 0
    .max_flat_workgroup_size: 256
    .name:           _ZN7rocprim17ROCPRIM_400000_NS6detail17trampoline_kernelINS0_14default_configENS1_20scan_config_selectorIfEEZZNS1_9scan_implILNS1_25lookback_scan_determinismE0ELb0ELb0ES3_N6thrust23THRUST_200600_302600_NS6detail15normal_iteratorINS9_10device_ptrIfEEEESE_fNS9_4plusIiEEfEEDaPvRmT3_T4_T5_mT6_P12ihipStream_tbENKUlT_T0_E_clISt17integral_constantIbLb0EEST_IbLb1EEEEDaSP_SQ_EUlSP_E_NS1_11comp_targetILNS1_3genE10ELNS1_11target_archE1200ELNS1_3gpuE4ELNS1_3repE0EEENS1_30default_config_static_selectorELNS0_4arch9wavefront6targetE1EEEvT1_
    .private_segment_fixed_size: 0
    .sgpr_count:     4
    .sgpr_spill_count: 0
    .symbol:         _ZN7rocprim17ROCPRIM_400000_NS6detail17trampoline_kernelINS0_14default_configENS1_20scan_config_selectorIfEEZZNS1_9scan_implILNS1_25lookback_scan_determinismE0ELb0ELb0ES3_N6thrust23THRUST_200600_302600_NS6detail15normal_iteratorINS9_10device_ptrIfEEEESE_fNS9_4plusIiEEfEEDaPvRmT3_T4_T5_mT6_P12ihipStream_tbENKUlT_T0_E_clISt17integral_constantIbLb0EEST_IbLb1EEEEDaSP_SQ_EUlSP_E_NS1_11comp_targetILNS1_3genE10ELNS1_11target_archE1200ELNS1_3gpuE4ELNS1_3repE0EEENS1_30default_config_static_selectorELNS0_4arch9wavefront6targetE1EEEvT1_.kd
    .uniform_work_group_size: 1
    .uses_dynamic_stack: false
    .vgpr_count:     0
    .vgpr_spill_count: 0
    .wavefront_size: 64
  - .agpr_count:     0
    .args:
      - .offset:         0
        .size:           96
        .value_kind:     by_value
    .group_segment_fixed_size: 0
    .kernarg_segment_align: 8
    .kernarg_segment_size: 96
    .language:       OpenCL C
    .language_version:
      - 2
      - 0
    .max_flat_workgroup_size: 256
    .name:           _ZN7rocprim17ROCPRIM_400000_NS6detail17trampoline_kernelINS0_14default_configENS1_20scan_config_selectorIfEEZZNS1_9scan_implILNS1_25lookback_scan_determinismE0ELb0ELb0ES3_N6thrust23THRUST_200600_302600_NS6detail15normal_iteratorINS9_10device_ptrIfEEEESE_fNS9_4plusIiEEfEEDaPvRmT3_T4_T5_mT6_P12ihipStream_tbENKUlT_T0_E_clISt17integral_constantIbLb0EEST_IbLb1EEEEDaSP_SQ_EUlSP_E_NS1_11comp_targetILNS1_3genE9ELNS1_11target_archE1100ELNS1_3gpuE3ELNS1_3repE0EEENS1_30default_config_static_selectorELNS0_4arch9wavefront6targetE1EEEvT1_
    .private_segment_fixed_size: 0
    .sgpr_count:     4
    .sgpr_spill_count: 0
    .symbol:         _ZN7rocprim17ROCPRIM_400000_NS6detail17trampoline_kernelINS0_14default_configENS1_20scan_config_selectorIfEEZZNS1_9scan_implILNS1_25lookback_scan_determinismE0ELb0ELb0ES3_N6thrust23THRUST_200600_302600_NS6detail15normal_iteratorINS9_10device_ptrIfEEEESE_fNS9_4plusIiEEfEEDaPvRmT3_T4_T5_mT6_P12ihipStream_tbENKUlT_T0_E_clISt17integral_constantIbLb0EEST_IbLb1EEEEDaSP_SQ_EUlSP_E_NS1_11comp_targetILNS1_3genE9ELNS1_11target_archE1100ELNS1_3gpuE3ELNS1_3repE0EEENS1_30default_config_static_selectorELNS0_4arch9wavefront6targetE1EEEvT1_.kd
    .uniform_work_group_size: 1
    .uses_dynamic_stack: false
    .vgpr_count:     0
    .vgpr_spill_count: 0
    .wavefront_size: 64
  - .agpr_count:     0
    .args:
      - .offset:         0
        .size:           96
        .value_kind:     by_value
    .group_segment_fixed_size: 0
    .kernarg_segment_align: 8
    .kernarg_segment_size: 96
    .language:       OpenCL C
    .language_version:
      - 2
      - 0
    .max_flat_workgroup_size: 64
    .name:           _ZN7rocprim17ROCPRIM_400000_NS6detail17trampoline_kernelINS0_14default_configENS1_20scan_config_selectorIfEEZZNS1_9scan_implILNS1_25lookback_scan_determinismE0ELb0ELb0ES3_N6thrust23THRUST_200600_302600_NS6detail15normal_iteratorINS9_10device_ptrIfEEEESE_fNS9_4plusIiEEfEEDaPvRmT3_T4_T5_mT6_P12ihipStream_tbENKUlT_T0_E_clISt17integral_constantIbLb0EEST_IbLb1EEEEDaSP_SQ_EUlSP_E_NS1_11comp_targetILNS1_3genE8ELNS1_11target_archE1030ELNS1_3gpuE2ELNS1_3repE0EEENS1_30default_config_static_selectorELNS0_4arch9wavefront6targetE1EEEvT1_
    .private_segment_fixed_size: 0
    .sgpr_count:     4
    .sgpr_spill_count: 0
    .symbol:         _ZN7rocprim17ROCPRIM_400000_NS6detail17trampoline_kernelINS0_14default_configENS1_20scan_config_selectorIfEEZZNS1_9scan_implILNS1_25lookback_scan_determinismE0ELb0ELb0ES3_N6thrust23THRUST_200600_302600_NS6detail15normal_iteratorINS9_10device_ptrIfEEEESE_fNS9_4plusIiEEfEEDaPvRmT3_T4_T5_mT6_P12ihipStream_tbENKUlT_T0_E_clISt17integral_constantIbLb0EEST_IbLb1EEEEDaSP_SQ_EUlSP_E_NS1_11comp_targetILNS1_3genE8ELNS1_11target_archE1030ELNS1_3gpuE2ELNS1_3repE0EEENS1_30default_config_static_selectorELNS0_4arch9wavefront6targetE1EEEvT1_.kd
    .uniform_work_group_size: 1
    .uses_dynamic_stack: false
    .vgpr_count:     0
    .vgpr_spill_count: 0
    .wavefront_size: 64
  - .agpr_count:     0
    .args:
      - .offset:         0
        .size:           32
        .value_kind:     by_value
    .group_segment_fixed_size: 0
    .kernarg_segment_align: 8
    .kernarg_segment_size: 32
    .language:       OpenCL C
    .language_version:
      - 2
      - 0
    .max_flat_workgroup_size: 256
    .name:           _ZN7rocprim17ROCPRIM_400000_NS6detail17trampoline_kernelINS0_14default_configENS1_20scan_config_selectorIfEEZZNS1_9scan_implILNS1_25lookback_scan_determinismE0ELb0ELb0ES3_N6thrust23THRUST_200600_302600_NS6detail15normal_iteratorINS9_10device_ptrIfEEEESE_fNS9_4plusIiEEfEEDaPvRmT3_T4_T5_mT6_P12ihipStream_tbENKUlT_T0_E_clISt17integral_constantIbLb0EEST_IbLb1EEEEDaSP_SQ_EUlSP_E0_NS1_11comp_targetILNS1_3genE0ELNS1_11target_archE4294967295ELNS1_3gpuE0ELNS1_3repE0EEENS1_30default_config_static_selectorELNS0_4arch9wavefront6targetE1EEEvT1_
    .private_segment_fixed_size: 0
    .sgpr_count:     4
    .sgpr_spill_count: 0
    .symbol:         _ZN7rocprim17ROCPRIM_400000_NS6detail17trampoline_kernelINS0_14default_configENS1_20scan_config_selectorIfEEZZNS1_9scan_implILNS1_25lookback_scan_determinismE0ELb0ELb0ES3_N6thrust23THRUST_200600_302600_NS6detail15normal_iteratorINS9_10device_ptrIfEEEESE_fNS9_4plusIiEEfEEDaPvRmT3_T4_T5_mT6_P12ihipStream_tbENKUlT_T0_E_clISt17integral_constantIbLb0EEST_IbLb1EEEEDaSP_SQ_EUlSP_E0_NS1_11comp_targetILNS1_3genE0ELNS1_11target_archE4294967295ELNS1_3gpuE0ELNS1_3repE0EEENS1_30default_config_static_selectorELNS0_4arch9wavefront6targetE1EEEvT1_.kd
    .uniform_work_group_size: 1
    .uses_dynamic_stack: false
    .vgpr_count:     0
    .vgpr_spill_count: 0
    .wavefront_size: 64
  - .agpr_count:     0
    .args:
      - .offset:         0
        .size:           32
        .value_kind:     by_value
    .group_segment_fixed_size: 0
    .kernarg_segment_align: 8
    .kernarg_segment_size: 32
    .language:       OpenCL C
    .language_version:
      - 2
      - 0
    .max_flat_workgroup_size: 256
    .name:           _ZN7rocprim17ROCPRIM_400000_NS6detail17trampoline_kernelINS0_14default_configENS1_20scan_config_selectorIfEEZZNS1_9scan_implILNS1_25lookback_scan_determinismE0ELb0ELb0ES3_N6thrust23THRUST_200600_302600_NS6detail15normal_iteratorINS9_10device_ptrIfEEEESE_fNS9_4plusIiEEfEEDaPvRmT3_T4_T5_mT6_P12ihipStream_tbENKUlT_T0_E_clISt17integral_constantIbLb0EEST_IbLb1EEEEDaSP_SQ_EUlSP_E0_NS1_11comp_targetILNS1_3genE5ELNS1_11target_archE942ELNS1_3gpuE9ELNS1_3repE0EEENS1_30default_config_static_selectorELNS0_4arch9wavefront6targetE1EEEvT1_
    .private_segment_fixed_size: 0
    .sgpr_count:     4
    .sgpr_spill_count: 0
    .symbol:         _ZN7rocprim17ROCPRIM_400000_NS6detail17trampoline_kernelINS0_14default_configENS1_20scan_config_selectorIfEEZZNS1_9scan_implILNS1_25lookback_scan_determinismE0ELb0ELb0ES3_N6thrust23THRUST_200600_302600_NS6detail15normal_iteratorINS9_10device_ptrIfEEEESE_fNS9_4plusIiEEfEEDaPvRmT3_T4_T5_mT6_P12ihipStream_tbENKUlT_T0_E_clISt17integral_constantIbLb0EEST_IbLb1EEEEDaSP_SQ_EUlSP_E0_NS1_11comp_targetILNS1_3genE5ELNS1_11target_archE942ELNS1_3gpuE9ELNS1_3repE0EEENS1_30default_config_static_selectorELNS0_4arch9wavefront6targetE1EEEvT1_.kd
    .uniform_work_group_size: 1
    .uses_dynamic_stack: false
    .vgpr_count:     0
    .vgpr_spill_count: 0
    .wavefront_size: 64
  - .agpr_count:     0
    .args:
      - .offset:         0
        .size:           32
        .value_kind:     by_value
    .group_segment_fixed_size: 7168
    .kernarg_segment_align: 8
    .kernarg_segment_size: 32
    .language:       OpenCL C
    .language_version:
      - 2
      - 0
    .max_flat_workgroup_size: 128
    .name:           _ZN7rocprim17ROCPRIM_400000_NS6detail17trampoline_kernelINS0_14default_configENS1_20scan_config_selectorIfEEZZNS1_9scan_implILNS1_25lookback_scan_determinismE0ELb0ELb0ES3_N6thrust23THRUST_200600_302600_NS6detail15normal_iteratorINS9_10device_ptrIfEEEESE_fNS9_4plusIiEEfEEDaPvRmT3_T4_T5_mT6_P12ihipStream_tbENKUlT_T0_E_clISt17integral_constantIbLb0EEST_IbLb1EEEEDaSP_SQ_EUlSP_E0_NS1_11comp_targetILNS1_3genE4ELNS1_11target_archE910ELNS1_3gpuE8ELNS1_3repE0EEENS1_30default_config_static_selectorELNS0_4arch9wavefront6targetE1EEEvT1_
    .private_segment_fixed_size: 0
    .sgpr_count:     40
    .sgpr_spill_count: 0
    .symbol:         _ZN7rocprim17ROCPRIM_400000_NS6detail17trampoline_kernelINS0_14default_configENS1_20scan_config_selectorIfEEZZNS1_9scan_implILNS1_25lookback_scan_determinismE0ELb0ELb0ES3_N6thrust23THRUST_200600_302600_NS6detail15normal_iteratorINS9_10device_ptrIfEEEESE_fNS9_4plusIiEEfEEDaPvRmT3_T4_T5_mT6_P12ihipStream_tbENKUlT_T0_E_clISt17integral_constantIbLb0EEST_IbLb1EEEEDaSP_SQ_EUlSP_E0_NS1_11comp_targetILNS1_3genE4ELNS1_11target_archE910ELNS1_3gpuE8ELNS1_3repE0EEENS1_30default_config_static_selectorELNS0_4arch9wavefront6targetE1EEEvT1_.kd
    .uniform_work_group_size: 1
    .uses_dynamic_stack: false
    .vgpr_count:     38
    .vgpr_spill_count: 0
    .wavefront_size: 64
  - .agpr_count:     0
    .args:
      - .offset:         0
        .size:           32
        .value_kind:     by_value
    .group_segment_fixed_size: 0
    .kernarg_segment_align: 8
    .kernarg_segment_size: 32
    .language:       OpenCL C
    .language_version:
      - 2
      - 0
    .max_flat_workgroup_size: 256
    .name:           _ZN7rocprim17ROCPRIM_400000_NS6detail17trampoline_kernelINS0_14default_configENS1_20scan_config_selectorIfEEZZNS1_9scan_implILNS1_25lookback_scan_determinismE0ELb0ELb0ES3_N6thrust23THRUST_200600_302600_NS6detail15normal_iteratorINS9_10device_ptrIfEEEESE_fNS9_4plusIiEEfEEDaPvRmT3_T4_T5_mT6_P12ihipStream_tbENKUlT_T0_E_clISt17integral_constantIbLb0EEST_IbLb1EEEEDaSP_SQ_EUlSP_E0_NS1_11comp_targetILNS1_3genE3ELNS1_11target_archE908ELNS1_3gpuE7ELNS1_3repE0EEENS1_30default_config_static_selectorELNS0_4arch9wavefront6targetE1EEEvT1_
    .private_segment_fixed_size: 0
    .sgpr_count:     4
    .sgpr_spill_count: 0
    .symbol:         _ZN7rocprim17ROCPRIM_400000_NS6detail17trampoline_kernelINS0_14default_configENS1_20scan_config_selectorIfEEZZNS1_9scan_implILNS1_25lookback_scan_determinismE0ELb0ELb0ES3_N6thrust23THRUST_200600_302600_NS6detail15normal_iteratorINS9_10device_ptrIfEEEESE_fNS9_4plusIiEEfEEDaPvRmT3_T4_T5_mT6_P12ihipStream_tbENKUlT_T0_E_clISt17integral_constantIbLb0EEST_IbLb1EEEEDaSP_SQ_EUlSP_E0_NS1_11comp_targetILNS1_3genE3ELNS1_11target_archE908ELNS1_3gpuE7ELNS1_3repE0EEENS1_30default_config_static_selectorELNS0_4arch9wavefront6targetE1EEEvT1_.kd
    .uniform_work_group_size: 1
    .uses_dynamic_stack: false
    .vgpr_count:     0
    .vgpr_spill_count: 0
    .wavefront_size: 64
  - .agpr_count:     0
    .args:
      - .offset:         0
        .size:           32
        .value_kind:     by_value
    .group_segment_fixed_size: 0
    .kernarg_segment_align: 8
    .kernarg_segment_size: 32
    .language:       OpenCL C
    .language_version:
      - 2
      - 0
    .max_flat_workgroup_size: 256
    .name:           _ZN7rocprim17ROCPRIM_400000_NS6detail17trampoline_kernelINS0_14default_configENS1_20scan_config_selectorIfEEZZNS1_9scan_implILNS1_25lookback_scan_determinismE0ELb0ELb0ES3_N6thrust23THRUST_200600_302600_NS6detail15normal_iteratorINS9_10device_ptrIfEEEESE_fNS9_4plusIiEEfEEDaPvRmT3_T4_T5_mT6_P12ihipStream_tbENKUlT_T0_E_clISt17integral_constantIbLb0EEST_IbLb1EEEEDaSP_SQ_EUlSP_E0_NS1_11comp_targetILNS1_3genE2ELNS1_11target_archE906ELNS1_3gpuE6ELNS1_3repE0EEENS1_30default_config_static_selectorELNS0_4arch9wavefront6targetE1EEEvT1_
    .private_segment_fixed_size: 0
    .sgpr_count:     4
    .sgpr_spill_count: 0
    .symbol:         _ZN7rocprim17ROCPRIM_400000_NS6detail17trampoline_kernelINS0_14default_configENS1_20scan_config_selectorIfEEZZNS1_9scan_implILNS1_25lookback_scan_determinismE0ELb0ELb0ES3_N6thrust23THRUST_200600_302600_NS6detail15normal_iteratorINS9_10device_ptrIfEEEESE_fNS9_4plusIiEEfEEDaPvRmT3_T4_T5_mT6_P12ihipStream_tbENKUlT_T0_E_clISt17integral_constantIbLb0EEST_IbLb1EEEEDaSP_SQ_EUlSP_E0_NS1_11comp_targetILNS1_3genE2ELNS1_11target_archE906ELNS1_3gpuE6ELNS1_3repE0EEENS1_30default_config_static_selectorELNS0_4arch9wavefront6targetE1EEEvT1_.kd
    .uniform_work_group_size: 1
    .uses_dynamic_stack: false
    .vgpr_count:     0
    .vgpr_spill_count: 0
    .wavefront_size: 64
  - .agpr_count:     0
    .args:
      - .offset:         0
        .size:           32
        .value_kind:     by_value
    .group_segment_fixed_size: 0
    .kernarg_segment_align: 8
    .kernarg_segment_size: 32
    .language:       OpenCL C
    .language_version:
      - 2
      - 0
    .max_flat_workgroup_size: 256
    .name:           _ZN7rocprim17ROCPRIM_400000_NS6detail17trampoline_kernelINS0_14default_configENS1_20scan_config_selectorIfEEZZNS1_9scan_implILNS1_25lookback_scan_determinismE0ELb0ELb0ES3_N6thrust23THRUST_200600_302600_NS6detail15normal_iteratorINS9_10device_ptrIfEEEESE_fNS9_4plusIiEEfEEDaPvRmT3_T4_T5_mT6_P12ihipStream_tbENKUlT_T0_E_clISt17integral_constantIbLb0EEST_IbLb1EEEEDaSP_SQ_EUlSP_E0_NS1_11comp_targetILNS1_3genE10ELNS1_11target_archE1201ELNS1_3gpuE5ELNS1_3repE0EEENS1_30default_config_static_selectorELNS0_4arch9wavefront6targetE1EEEvT1_
    .private_segment_fixed_size: 0
    .sgpr_count:     4
    .sgpr_spill_count: 0
    .symbol:         _ZN7rocprim17ROCPRIM_400000_NS6detail17trampoline_kernelINS0_14default_configENS1_20scan_config_selectorIfEEZZNS1_9scan_implILNS1_25lookback_scan_determinismE0ELb0ELb0ES3_N6thrust23THRUST_200600_302600_NS6detail15normal_iteratorINS9_10device_ptrIfEEEESE_fNS9_4plusIiEEfEEDaPvRmT3_T4_T5_mT6_P12ihipStream_tbENKUlT_T0_E_clISt17integral_constantIbLb0EEST_IbLb1EEEEDaSP_SQ_EUlSP_E0_NS1_11comp_targetILNS1_3genE10ELNS1_11target_archE1201ELNS1_3gpuE5ELNS1_3repE0EEENS1_30default_config_static_selectorELNS0_4arch9wavefront6targetE1EEEvT1_.kd
    .uniform_work_group_size: 1
    .uses_dynamic_stack: false
    .vgpr_count:     0
    .vgpr_spill_count: 0
    .wavefront_size: 64
  - .agpr_count:     0
    .args:
      - .offset:         0
        .size:           32
        .value_kind:     by_value
    .group_segment_fixed_size: 0
    .kernarg_segment_align: 8
    .kernarg_segment_size: 32
    .language:       OpenCL C
    .language_version:
      - 2
      - 0
    .max_flat_workgroup_size: 256
    .name:           _ZN7rocprim17ROCPRIM_400000_NS6detail17trampoline_kernelINS0_14default_configENS1_20scan_config_selectorIfEEZZNS1_9scan_implILNS1_25lookback_scan_determinismE0ELb0ELb0ES3_N6thrust23THRUST_200600_302600_NS6detail15normal_iteratorINS9_10device_ptrIfEEEESE_fNS9_4plusIiEEfEEDaPvRmT3_T4_T5_mT6_P12ihipStream_tbENKUlT_T0_E_clISt17integral_constantIbLb0EEST_IbLb1EEEEDaSP_SQ_EUlSP_E0_NS1_11comp_targetILNS1_3genE10ELNS1_11target_archE1200ELNS1_3gpuE4ELNS1_3repE0EEENS1_30default_config_static_selectorELNS0_4arch9wavefront6targetE1EEEvT1_
    .private_segment_fixed_size: 0
    .sgpr_count:     4
    .sgpr_spill_count: 0
    .symbol:         _ZN7rocprim17ROCPRIM_400000_NS6detail17trampoline_kernelINS0_14default_configENS1_20scan_config_selectorIfEEZZNS1_9scan_implILNS1_25lookback_scan_determinismE0ELb0ELb0ES3_N6thrust23THRUST_200600_302600_NS6detail15normal_iteratorINS9_10device_ptrIfEEEESE_fNS9_4plusIiEEfEEDaPvRmT3_T4_T5_mT6_P12ihipStream_tbENKUlT_T0_E_clISt17integral_constantIbLb0EEST_IbLb1EEEEDaSP_SQ_EUlSP_E0_NS1_11comp_targetILNS1_3genE10ELNS1_11target_archE1200ELNS1_3gpuE4ELNS1_3repE0EEENS1_30default_config_static_selectorELNS0_4arch9wavefront6targetE1EEEvT1_.kd
    .uniform_work_group_size: 1
    .uses_dynamic_stack: false
    .vgpr_count:     0
    .vgpr_spill_count: 0
    .wavefront_size: 64
  - .agpr_count:     0
    .args:
      - .offset:         0
        .size:           32
        .value_kind:     by_value
    .group_segment_fixed_size: 0
    .kernarg_segment_align: 8
    .kernarg_segment_size: 32
    .language:       OpenCL C
    .language_version:
      - 2
      - 0
    .max_flat_workgroup_size: 256
    .name:           _ZN7rocprim17ROCPRIM_400000_NS6detail17trampoline_kernelINS0_14default_configENS1_20scan_config_selectorIfEEZZNS1_9scan_implILNS1_25lookback_scan_determinismE0ELb0ELb0ES3_N6thrust23THRUST_200600_302600_NS6detail15normal_iteratorINS9_10device_ptrIfEEEESE_fNS9_4plusIiEEfEEDaPvRmT3_T4_T5_mT6_P12ihipStream_tbENKUlT_T0_E_clISt17integral_constantIbLb0EEST_IbLb1EEEEDaSP_SQ_EUlSP_E0_NS1_11comp_targetILNS1_3genE9ELNS1_11target_archE1100ELNS1_3gpuE3ELNS1_3repE0EEENS1_30default_config_static_selectorELNS0_4arch9wavefront6targetE1EEEvT1_
    .private_segment_fixed_size: 0
    .sgpr_count:     4
    .sgpr_spill_count: 0
    .symbol:         _ZN7rocprim17ROCPRIM_400000_NS6detail17trampoline_kernelINS0_14default_configENS1_20scan_config_selectorIfEEZZNS1_9scan_implILNS1_25lookback_scan_determinismE0ELb0ELb0ES3_N6thrust23THRUST_200600_302600_NS6detail15normal_iteratorINS9_10device_ptrIfEEEESE_fNS9_4plusIiEEfEEDaPvRmT3_T4_T5_mT6_P12ihipStream_tbENKUlT_T0_E_clISt17integral_constantIbLb0EEST_IbLb1EEEEDaSP_SQ_EUlSP_E0_NS1_11comp_targetILNS1_3genE9ELNS1_11target_archE1100ELNS1_3gpuE3ELNS1_3repE0EEENS1_30default_config_static_selectorELNS0_4arch9wavefront6targetE1EEEvT1_.kd
    .uniform_work_group_size: 1
    .uses_dynamic_stack: false
    .vgpr_count:     0
    .vgpr_spill_count: 0
    .wavefront_size: 64
  - .agpr_count:     0
    .args:
      - .offset:         0
        .size:           32
        .value_kind:     by_value
    .group_segment_fixed_size: 0
    .kernarg_segment_align: 8
    .kernarg_segment_size: 32
    .language:       OpenCL C
    .language_version:
      - 2
      - 0
    .max_flat_workgroup_size: 64
    .name:           _ZN7rocprim17ROCPRIM_400000_NS6detail17trampoline_kernelINS0_14default_configENS1_20scan_config_selectorIfEEZZNS1_9scan_implILNS1_25lookback_scan_determinismE0ELb0ELb0ES3_N6thrust23THRUST_200600_302600_NS6detail15normal_iteratorINS9_10device_ptrIfEEEESE_fNS9_4plusIiEEfEEDaPvRmT3_T4_T5_mT6_P12ihipStream_tbENKUlT_T0_E_clISt17integral_constantIbLb0EEST_IbLb1EEEEDaSP_SQ_EUlSP_E0_NS1_11comp_targetILNS1_3genE8ELNS1_11target_archE1030ELNS1_3gpuE2ELNS1_3repE0EEENS1_30default_config_static_selectorELNS0_4arch9wavefront6targetE1EEEvT1_
    .private_segment_fixed_size: 0
    .sgpr_count:     4
    .sgpr_spill_count: 0
    .symbol:         _ZN7rocprim17ROCPRIM_400000_NS6detail17trampoline_kernelINS0_14default_configENS1_20scan_config_selectorIfEEZZNS1_9scan_implILNS1_25lookback_scan_determinismE0ELb0ELb0ES3_N6thrust23THRUST_200600_302600_NS6detail15normal_iteratorINS9_10device_ptrIfEEEESE_fNS9_4plusIiEEfEEDaPvRmT3_T4_T5_mT6_P12ihipStream_tbENKUlT_T0_E_clISt17integral_constantIbLb0EEST_IbLb1EEEEDaSP_SQ_EUlSP_E0_NS1_11comp_targetILNS1_3genE8ELNS1_11target_archE1030ELNS1_3gpuE2ELNS1_3repE0EEENS1_30default_config_static_selectorELNS0_4arch9wavefront6targetE1EEEvT1_.kd
    .uniform_work_group_size: 1
    .uses_dynamic_stack: false
    .vgpr_count:     0
    .vgpr_spill_count: 0
    .wavefront_size: 64
  - .agpr_count:     0
    .args:
      - .offset:         0
        .size:           96
        .value_kind:     by_value
    .group_segment_fixed_size: 0
    .kernarg_segment_align: 8
    .kernarg_segment_size: 96
    .language:       OpenCL C
    .language_version:
      - 2
      - 0
    .max_flat_workgroup_size: 256
    .name:           _ZN7rocprim17ROCPRIM_400000_NS6detail17trampoline_kernelINS0_14default_configENS1_20scan_config_selectorIfEEZZNS1_9scan_implILNS1_25lookback_scan_determinismE0ELb1ELb1ES3_N6thrust23THRUST_200600_302600_NS6detail15normal_iteratorINS9_10device_ptrIfEEEENSB_INSC_IiEEEEfNS9_4plusIvEEfEEDaPvRmT3_T4_T5_mT6_P12ihipStream_tbENKUlT_T0_E_clISt17integral_constantIbLb0EESW_EEDaSR_SS_EUlSR_E_NS1_11comp_targetILNS1_3genE0ELNS1_11target_archE4294967295ELNS1_3gpuE0ELNS1_3repE0EEENS1_30default_config_static_selectorELNS0_4arch9wavefront6targetE1EEEvT1_
    .private_segment_fixed_size: 0
    .sgpr_count:     4
    .sgpr_spill_count: 0
    .symbol:         _ZN7rocprim17ROCPRIM_400000_NS6detail17trampoline_kernelINS0_14default_configENS1_20scan_config_selectorIfEEZZNS1_9scan_implILNS1_25lookback_scan_determinismE0ELb1ELb1ES3_N6thrust23THRUST_200600_302600_NS6detail15normal_iteratorINS9_10device_ptrIfEEEENSB_INSC_IiEEEEfNS9_4plusIvEEfEEDaPvRmT3_T4_T5_mT6_P12ihipStream_tbENKUlT_T0_E_clISt17integral_constantIbLb0EESW_EEDaSR_SS_EUlSR_E_NS1_11comp_targetILNS1_3genE0ELNS1_11target_archE4294967295ELNS1_3gpuE0ELNS1_3repE0EEENS1_30default_config_static_selectorELNS0_4arch9wavefront6targetE1EEEvT1_.kd
    .uniform_work_group_size: 1
    .uses_dynamic_stack: false
    .vgpr_count:     0
    .vgpr_spill_count: 0
    .wavefront_size: 64
  - .agpr_count:     0
    .args:
      - .offset:         0
        .size:           96
        .value_kind:     by_value
    .group_segment_fixed_size: 0
    .kernarg_segment_align: 8
    .kernarg_segment_size: 96
    .language:       OpenCL C
    .language_version:
      - 2
      - 0
    .max_flat_workgroup_size: 256
    .name:           _ZN7rocprim17ROCPRIM_400000_NS6detail17trampoline_kernelINS0_14default_configENS1_20scan_config_selectorIfEEZZNS1_9scan_implILNS1_25lookback_scan_determinismE0ELb1ELb1ES3_N6thrust23THRUST_200600_302600_NS6detail15normal_iteratorINS9_10device_ptrIfEEEENSB_INSC_IiEEEEfNS9_4plusIvEEfEEDaPvRmT3_T4_T5_mT6_P12ihipStream_tbENKUlT_T0_E_clISt17integral_constantIbLb0EESW_EEDaSR_SS_EUlSR_E_NS1_11comp_targetILNS1_3genE5ELNS1_11target_archE942ELNS1_3gpuE9ELNS1_3repE0EEENS1_30default_config_static_selectorELNS0_4arch9wavefront6targetE1EEEvT1_
    .private_segment_fixed_size: 0
    .sgpr_count:     4
    .sgpr_spill_count: 0
    .symbol:         _ZN7rocprim17ROCPRIM_400000_NS6detail17trampoline_kernelINS0_14default_configENS1_20scan_config_selectorIfEEZZNS1_9scan_implILNS1_25lookback_scan_determinismE0ELb1ELb1ES3_N6thrust23THRUST_200600_302600_NS6detail15normal_iteratorINS9_10device_ptrIfEEEENSB_INSC_IiEEEEfNS9_4plusIvEEfEEDaPvRmT3_T4_T5_mT6_P12ihipStream_tbENKUlT_T0_E_clISt17integral_constantIbLb0EESW_EEDaSR_SS_EUlSR_E_NS1_11comp_targetILNS1_3genE5ELNS1_11target_archE942ELNS1_3gpuE9ELNS1_3repE0EEENS1_30default_config_static_selectorELNS0_4arch9wavefront6targetE1EEEvT1_.kd
    .uniform_work_group_size: 1
    .uses_dynamic_stack: false
    .vgpr_count:     0
    .vgpr_spill_count: 0
    .wavefront_size: 64
  - .agpr_count:     0
    .args:
      - .offset:         0
        .size:           96
        .value_kind:     by_value
    .group_segment_fixed_size: 7168
    .kernarg_segment_align: 8
    .kernarg_segment_size: 96
    .language:       OpenCL C
    .language_version:
      - 2
      - 0
    .max_flat_workgroup_size: 128
    .name:           _ZN7rocprim17ROCPRIM_400000_NS6detail17trampoline_kernelINS0_14default_configENS1_20scan_config_selectorIfEEZZNS1_9scan_implILNS1_25lookback_scan_determinismE0ELb1ELb1ES3_N6thrust23THRUST_200600_302600_NS6detail15normal_iteratorINS9_10device_ptrIfEEEENSB_INSC_IiEEEEfNS9_4plusIvEEfEEDaPvRmT3_T4_T5_mT6_P12ihipStream_tbENKUlT_T0_E_clISt17integral_constantIbLb0EESW_EEDaSR_SS_EUlSR_E_NS1_11comp_targetILNS1_3genE4ELNS1_11target_archE910ELNS1_3gpuE8ELNS1_3repE0EEENS1_30default_config_static_selectorELNS0_4arch9wavefront6targetE1EEEvT1_
    .private_segment_fixed_size: 0
    .sgpr_count:     35
    .sgpr_spill_count: 0
    .symbol:         _ZN7rocprim17ROCPRIM_400000_NS6detail17trampoline_kernelINS0_14default_configENS1_20scan_config_selectorIfEEZZNS1_9scan_implILNS1_25lookback_scan_determinismE0ELb1ELb1ES3_N6thrust23THRUST_200600_302600_NS6detail15normal_iteratorINS9_10device_ptrIfEEEENSB_INSC_IiEEEEfNS9_4plusIvEEfEEDaPvRmT3_T4_T5_mT6_P12ihipStream_tbENKUlT_T0_E_clISt17integral_constantIbLb0EESW_EEDaSR_SS_EUlSR_E_NS1_11comp_targetILNS1_3genE4ELNS1_11target_archE910ELNS1_3gpuE8ELNS1_3repE0EEENS1_30default_config_static_selectorELNS0_4arch9wavefront6targetE1EEEvT1_.kd
    .uniform_work_group_size: 1
    .uses_dynamic_stack: false
    .vgpr_count:     49
    .vgpr_spill_count: 0
    .wavefront_size: 64
  - .agpr_count:     0
    .args:
      - .offset:         0
        .size:           96
        .value_kind:     by_value
    .group_segment_fixed_size: 0
    .kernarg_segment_align: 8
    .kernarg_segment_size: 96
    .language:       OpenCL C
    .language_version:
      - 2
      - 0
    .max_flat_workgroup_size: 256
    .name:           _ZN7rocprim17ROCPRIM_400000_NS6detail17trampoline_kernelINS0_14default_configENS1_20scan_config_selectorIfEEZZNS1_9scan_implILNS1_25lookback_scan_determinismE0ELb1ELb1ES3_N6thrust23THRUST_200600_302600_NS6detail15normal_iteratorINS9_10device_ptrIfEEEENSB_INSC_IiEEEEfNS9_4plusIvEEfEEDaPvRmT3_T4_T5_mT6_P12ihipStream_tbENKUlT_T0_E_clISt17integral_constantIbLb0EESW_EEDaSR_SS_EUlSR_E_NS1_11comp_targetILNS1_3genE3ELNS1_11target_archE908ELNS1_3gpuE7ELNS1_3repE0EEENS1_30default_config_static_selectorELNS0_4arch9wavefront6targetE1EEEvT1_
    .private_segment_fixed_size: 0
    .sgpr_count:     4
    .sgpr_spill_count: 0
    .symbol:         _ZN7rocprim17ROCPRIM_400000_NS6detail17trampoline_kernelINS0_14default_configENS1_20scan_config_selectorIfEEZZNS1_9scan_implILNS1_25lookback_scan_determinismE0ELb1ELb1ES3_N6thrust23THRUST_200600_302600_NS6detail15normal_iteratorINS9_10device_ptrIfEEEENSB_INSC_IiEEEEfNS9_4plusIvEEfEEDaPvRmT3_T4_T5_mT6_P12ihipStream_tbENKUlT_T0_E_clISt17integral_constantIbLb0EESW_EEDaSR_SS_EUlSR_E_NS1_11comp_targetILNS1_3genE3ELNS1_11target_archE908ELNS1_3gpuE7ELNS1_3repE0EEENS1_30default_config_static_selectorELNS0_4arch9wavefront6targetE1EEEvT1_.kd
    .uniform_work_group_size: 1
    .uses_dynamic_stack: false
    .vgpr_count:     0
    .vgpr_spill_count: 0
    .wavefront_size: 64
  - .agpr_count:     0
    .args:
      - .offset:         0
        .size:           96
        .value_kind:     by_value
    .group_segment_fixed_size: 0
    .kernarg_segment_align: 8
    .kernarg_segment_size: 96
    .language:       OpenCL C
    .language_version:
      - 2
      - 0
    .max_flat_workgroup_size: 256
    .name:           _ZN7rocprim17ROCPRIM_400000_NS6detail17trampoline_kernelINS0_14default_configENS1_20scan_config_selectorIfEEZZNS1_9scan_implILNS1_25lookback_scan_determinismE0ELb1ELb1ES3_N6thrust23THRUST_200600_302600_NS6detail15normal_iteratorINS9_10device_ptrIfEEEENSB_INSC_IiEEEEfNS9_4plusIvEEfEEDaPvRmT3_T4_T5_mT6_P12ihipStream_tbENKUlT_T0_E_clISt17integral_constantIbLb0EESW_EEDaSR_SS_EUlSR_E_NS1_11comp_targetILNS1_3genE2ELNS1_11target_archE906ELNS1_3gpuE6ELNS1_3repE0EEENS1_30default_config_static_selectorELNS0_4arch9wavefront6targetE1EEEvT1_
    .private_segment_fixed_size: 0
    .sgpr_count:     4
    .sgpr_spill_count: 0
    .symbol:         _ZN7rocprim17ROCPRIM_400000_NS6detail17trampoline_kernelINS0_14default_configENS1_20scan_config_selectorIfEEZZNS1_9scan_implILNS1_25lookback_scan_determinismE0ELb1ELb1ES3_N6thrust23THRUST_200600_302600_NS6detail15normal_iteratorINS9_10device_ptrIfEEEENSB_INSC_IiEEEEfNS9_4plusIvEEfEEDaPvRmT3_T4_T5_mT6_P12ihipStream_tbENKUlT_T0_E_clISt17integral_constantIbLb0EESW_EEDaSR_SS_EUlSR_E_NS1_11comp_targetILNS1_3genE2ELNS1_11target_archE906ELNS1_3gpuE6ELNS1_3repE0EEENS1_30default_config_static_selectorELNS0_4arch9wavefront6targetE1EEEvT1_.kd
    .uniform_work_group_size: 1
    .uses_dynamic_stack: false
    .vgpr_count:     0
    .vgpr_spill_count: 0
    .wavefront_size: 64
  - .agpr_count:     0
    .args:
      - .offset:         0
        .size:           96
        .value_kind:     by_value
    .group_segment_fixed_size: 0
    .kernarg_segment_align: 8
    .kernarg_segment_size: 96
    .language:       OpenCL C
    .language_version:
      - 2
      - 0
    .max_flat_workgroup_size: 256
    .name:           _ZN7rocprim17ROCPRIM_400000_NS6detail17trampoline_kernelINS0_14default_configENS1_20scan_config_selectorIfEEZZNS1_9scan_implILNS1_25lookback_scan_determinismE0ELb1ELb1ES3_N6thrust23THRUST_200600_302600_NS6detail15normal_iteratorINS9_10device_ptrIfEEEENSB_INSC_IiEEEEfNS9_4plusIvEEfEEDaPvRmT3_T4_T5_mT6_P12ihipStream_tbENKUlT_T0_E_clISt17integral_constantIbLb0EESW_EEDaSR_SS_EUlSR_E_NS1_11comp_targetILNS1_3genE10ELNS1_11target_archE1201ELNS1_3gpuE5ELNS1_3repE0EEENS1_30default_config_static_selectorELNS0_4arch9wavefront6targetE1EEEvT1_
    .private_segment_fixed_size: 0
    .sgpr_count:     4
    .sgpr_spill_count: 0
    .symbol:         _ZN7rocprim17ROCPRIM_400000_NS6detail17trampoline_kernelINS0_14default_configENS1_20scan_config_selectorIfEEZZNS1_9scan_implILNS1_25lookback_scan_determinismE0ELb1ELb1ES3_N6thrust23THRUST_200600_302600_NS6detail15normal_iteratorINS9_10device_ptrIfEEEENSB_INSC_IiEEEEfNS9_4plusIvEEfEEDaPvRmT3_T4_T5_mT6_P12ihipStream_tbENKUlT_T0_E_clISt17integral_constantIbLb0EESW_EEDaSR_SS_EUlSR_E_NS1_11comp_targetILNS1_3genE10ELNS1_11target_archE1201ELNS1_3gpuE5ELNS1_3repE0EEENS1_30default_config_static_selectorELNS0_4arch9wavefront6targetE1EEEvT1_.kd
    .uniform_work_group_size: 1
    .uses_dynamic_stack: false
    .vgpr_count:     0
    .vgpr_spill_count: 0
    .wavefront_size: 64
  - .agpr_count:     0
    .args:
      - .offset:         0
        .size:           96
        .value_kind:     by_value
    .group_segment_fixed_size: 0
    .kernarg_segment_align: 8
    .kernarg_segment_size: 96
    .language:       OpenCL C
    .language_version:
      - 2
      - 0
    .max_flat_workgroup_size: 256
    .name:           _ZN7rocprim17ROCPRIM_400000_NS6detail17trampoline_kernelINS0_14default_configENS1_20scan_config_selectorIfEEZZNS1_9scan_implILNS1_25lookback_scan_determinismE0ELb1ELb1ES3_N6thrust23THRUST_200600_302600_NS6detail15normal_iteratorINS9_10device_ptrIfEEEENSB_INSC_IiEEEEfNS9_4plusIvEEfEEDaPvRmT3_T4_T5_mT6_P12ihipStream_tbENKUlT_T0_E_clISt17integral_constantIbLb0EESW_EEDaSR_SS_EUlSR_E_NS1_11comp_targetILNS1_3genE10ELNS1_11target_archE1200ELNS1_3gpuE4ELNS1_3repE0EEENS1_30default_config_static_selectorELNS0_4arch9wavefront6targetE1EEEvT1_
    .private_segment_fixed_size: 0
    .sgpr_count:     4
    .sgpr_spill_count: 0
    .symbol:         _ZN7rocprim17ROCPRIM_400000_NS6detail17trampoline_kernelINS0_14default_configENS1_20scan_config_selectorIfEEZZNS1_9scan_implILNS1_25lookback_scan_determinismE0ELb1ELb1ES3_N6thrust23THRUST_200600_302600_NS6detail15normal_iteratorINS9_10device_ptrIfEEEENSB_INSC_IiEEEEfNS9_4plusIvEEfEEDaPvRmT3_T4_T5_mT6_P12ihipStream_tbENKUlT_T0_E_clISt17integral_constantIbLb0EESW_EEDaSR_SS_EUlSR_E_NS1_11comp_targetILNS1_3genE10ELNS1_11target_archE1200ELNS1_3gpuE4ELNS1_3repE0EEENS1_30default_config_static_selectorELNS0_4arch9wavefront6targetE1EEEvT1_.kd
    .uniform_work_group_size: 1
    .uses_dynamic_stack: false
    .vgpr_count:     0
    .vgpr_spill_count: 0
    .wavefront_size: 64
  - .agpr_count:     0
    .args:
      - .offset:         0
        .size:           96
        .value_kind:     by_value
    .group_segment_fixed_size: 0
    .kernarg_segment_align: 8
    .kernarg_segment_size: 96
    .language:       OpenCL C
    .language_version:
      - 2
      - 0
    .max_flat_workgroup_size: 256
    .name:           _ZN7rocprim17ROCPRIM_400000_NS6detail17trampoline_kernelINS0_14default_configENS1_20scan_config_selectorIfEEZZNS1_9scan_implILNS1_25lookback_scan_determinismE0ELb1ELb1ES3_N6thrust23THRUST_200600_302600_NS6detail15normal_iteratorINS9_10device_ptrIfEEEENSB_INSC_IiEEEEfNS9_4plusIvEEfEEDaPvRmT3_T4_T5_mT6_P12ihipStream_tbENKUlT_T0_E_clISt17integral_constantIbLb0EESW_EEDaSR_SS_EUlSR_E_NS1_11comp_targetILNS1_3genE9ELNS1_11target_archE1100ELNS1_3gpuE3ELNS1_3repE0EEENS1_30default_config_static_selectorELNS0_4arch9wavefront6targetE1EEEvT1_
    .private_segment_fixed_size: 0
    .sgpr_count:     4
    .sgpr_spill_count: 0
    .symbol:         _ZN7rocprim17ROCPRIM_400000_NS6detail17trampoline_kernelINS0_14default_configENS1_20scan_config_selectorIfEEZZNS1_9scan_implILNS1_25lookback_scan_determinismE0ELb1ELb1ES3_N6thrust23THRUST_200600_302600_NS6detail15normal_iteratorINS9_10device_ptrIfEEEENSB_INSC_IiEEEEfNS9_4plusIvEEfEEDaPvRmT3_T4_T5_mT6_P12ihipStream_tbENKUlT_T0_E_clISt17integral_constantIbLb0EESW_EEDaSR_SS_EUlSR_E_NS1_11comp_targetILNS1_3genE9ELNS1_11target_archE1100ELNS1_3gpuE3ELNS1_3repE0EEENS1_30default_config_static_selectorELNS0_4arch9wavefront6targetE1EEEvT1_.kd
    .uniform_work_group_size: 1
    .uses_dynamic_stack: false
    .vgpr_count:     0
    .vgpr_spill_count: 0
    .wavefront_size: 64
  - .agpr_count:     0
    .args:
      - .offset:         0
        .size:           96
        .value_kind:     by_value
    .group_segment_fixed_size: 0
    .kernarg_segment_align: 8
    .kernarg_segment_size: 96
    .language:       OpenCL C
    .language_version:
      - 2
      - 0
    .max_flat_workgroup_size: 64
    .name:           _ZN7rocprim17ROCPRIM_400000_NS6detail17trampoline_kernelINS0_14default_configENS1_20scan_config_selectorIfEEZZNS1_9scan_implILNS1_25lookback_scan_determinismE0ELb1ELb1ES3_N6thrust23THRUST_200600_302600_NS6detail15normal_iteratorINS9_10device_ptrIfEEEENSB_INSC_IiEEEEfNS9_4plusIvEEfEEDaPvRmT3_T4_T5_mT6_P12ihipStream_tbENKUlT_T0_E_clISt17integral_constantIbLb0EESW_EEDaSR_SS_EUlSR_E_NS1_11comp_targetILNS1_3genE8ELNS1_11target_archE1030ELNS1_3gpuE2ELNS1_3repE0EEENS1_30default_config_static_selectorELNS0_4arch9wavefront6targetE1EEEvT1_
    .private_segment_fixed_size: 0
    .sgpr_count:     4
    .sgpr_spill_count: 0
    .symbol:         _ZN7rocprim17ROCPRIM_400000_NS6detail17trampoline_kernelINS0_14default_configENS1_20scan_config_selectorIfEEZZNS1_9scan_implILNS1_25lookback_scan_determinismE0ELb1ELb1ES3_N6thrust23THRUST_200600_302600_NS6detail15normal_iteratorINS9_10device_ptrIfEEEENSB_INSC_IiEEEEfNS9_4plusIvEEfEEDaPvRmT3_T4_T5_mT6_P12ihipStream_tbENKUlT_T0_E_clISt17integral_constantIbLb0EESW_EEDaSR_SS_EUlSR_E_NS1_11comp_targetILNS1_3genE8ELNS1_11target_archE1030ELNS1_3gpuE2ELNS1_3repE0EEENS1_30default_config_static_selectorELNS0_4arch9wavefront6targetE1EEEvT1_.kd
    .uniform_work_group_size: 1
    .uses_dynamic_stack: false
    .vgpr_count:     0
    .vgpr_spill_count: 0
    .wavefront_size: 64
  - .agpr_count:     0
    .args:
      - .offset:         0
        .size:           32
        .value_kind:     by_value
    .group_segment_fixed_size: 0
    .kernarg_segment_align: 8
    .kernarg_segment_size: 32
    .language:       OpenCL C
    .language_version:
      - 2
      - 0
    .max_flat_workgroup_size: 256
    .name:           _ZN7rocprim17ROCPRIM_400000_NS6detail17trampoline_kernelINS0_14default_configENS1_20scan_config_selectorIfEEZZNS1_9scan_implILNS1_25lookback_scan_determinismE0ELb1ELb1ES3_N6thrust23THRUST_200600_302600_NS6detail15normal_iteratorINS9_10device_ptrIfEEEENSB_INSC_IiEEEEfNS9_4plusIvEEfEEDaPvRmT3_T4_T5_mT6_P12ihipStream_tbENKUlT_T0_E_clISt17integral_constantIbLb0EESW_EEDaSR_SS_EUlSR_E0_NS1_11comp_targetILNS1_3genE0ELNS1_11target_archE4294967295ELNS1_3gpuE0ELNS1_3repE0EEENS1_30default_config_static_selectorELNS0_4arch9wavefront6targetE1EEEvT1_
    .private_segment_fixed_size: 0
    .sgpr_count:     4
    .sgpr_spill_count: 0
    .symbol:         _ZN7rocprim17ROCPRIM_400000_NS6detail17trampoline_kernelINS0_14default_configENS1_20scan_config_selectorIfEEZZNS1_9scan_implILNS1_25lookback_scan_determinismE0ELb1ELb1ES3_N6thrust23THRUST_200600_302600_NS6detail15normal_iteratorINS9_10device_ptrIfEEEENSB_INSC_IiEEEEfNS9_4plusIvEEfEEDaPvRmT3_T4_T5_mT6_P12ihipStream_tbENKUlT_T0_E_clISt17integral_constantIbLb0EESW_EEDaSR_SS_EUlSR_E0_NS1_11comp_targetILNS1_3genE0ELNS1_11target_archE4294967295ELNS1_3gpuE0ELNS1_3repE0EEENS1_30default_config_static_selectorELNS0_4arch9wavefront6targetE1EEEvT1_.kd
    .uniform_work_group_size: 1
    .uses_dynamic_stack: false
    .vgpr_count:     0
    .vgpr_spill_count: 0
    .wavefront_size: 64
  - .agpr_count:     0
    .args:
      - .offset:         0
        .size:           32
        .value_kind:     by_value
    .group_segment_fixed_size: 0
    .kernarg_segment_align: 8
    .kernarg_segment_size: 32
    .language:       OpenCL C
    .language_version:
      - 2
      - 0
    .max_flat_workgroup_size: 256
    .name:           _ZN7rocprim17ROCPRIM_400000_NS6detail17trampoline_kernelINS0_14default_configENS1_20scan_config_selectorIfEEZZNS1_9scan_implILNS1_25lookback_scan_determinismE0ELb1ELb1ES3_N6thrust23THRUST_200600_302600_NS6detail15normal_iteratorINS9_10device_ptrIfEEEENSB_INSC_IiEEEEfNS9_4plusIvEEfEEDaPvRmT3_T4_T5_mT6_P12ihipStream_tbENKUlT_T0_E_clISt17integral_constantIbLb0EESW_EEDaSR_SS_EUlSR_E0_NS1_11comp_targetILNS1_3genE5ELNS1_11target_archE942ELNS1_3gpuE9ELNS1_3repE0EEENS1_30default_config_static_selectorELNS0_4arch9wavefront6targetE1EEEvT1_
    .private_segment_fixed_size: 0
    .sgpr_count:     4
    .sgpr_spill_count: 0
    .symbol:         _ZN7rocprim17ROCPRIM_400000_NS6detail17trampoline_kernelINS0_14default_configENS1_20scan_config_selectorIfEEZZNS1_9scan_implILNS1_25lookback_scan_determinismE0ELb1ELb1ES3_N6thrust23THRUST_200600_302600_NS6detail15normal_iteratorINS9_10device_ptrIfEEEENSB_INSC_IiEEEEfNS9_4plusIvEEfEEDaPvRmT3_T4_T5_mT6_P12ihipStream_tbENKUlT_T0_E_clISt17integral_constantIbLb0EESW_EEDaSR_SS_EUlSR_E0_NS1_11comp_targetILNS1_3genE5ELNS1_11target_archE942ELNS1_3gpuE9ELNS1_3repE0EEENS1_30default_config_static_selectorELNS0_4arch9wavefront6targetE1EEEvT1_.kd
    .uniform_work_group_size: 1
    .uses_dynamic_stack: false
    .vgpr_count:     0
    .vgpr_spill_count: 0
    .wavefront_size: 64
  - .agpr_count:     0
    .args:
      - .offset:         0
        .size:           32
        .value_kind:     by_value
    .group_segment_fixed_size: 7168
    .kernarg_segment_align: 8
    .kernarg_segment_size: 32
    .language:       OpenCL C
    .language_version:
      - 2
      - 0
    .max_flat_workgroup_size: 128
    .name:           _ZN7rocprim17ROCPRIM_400000_NS6detail17trampoline_kernelINS0_14default_configENS1_20scan_config_selectorIfEEZZNS1_9scan_implILNS1_25lookback_scan_determinismE0ELb1ELb1ES3_N6thrust23THRUST_200600_302600_NS6detail15normal_iteratorINS9_10device_ptrIfEEEENSB_INSC_IiEEEEfNS9_4plusIvEEfEEDaPvRmT3_T4_T5_mT6_P12ihipStream_tbENKUlT_T0_E_clISt17integral_constantIbLb0EESW_EEDaSR_SS_EUlSR_E0_NS1_11comp_targetILNS1_3genE4ELNS1_11target_archE910ELNS1_3gpuE8ELNS1_3repE0EEENS1_30default_config_static_selectorELNS0_4arch9wavefront6targetE1EEEvT1_
    .private_segment_fixed_size: 0
    .sgpr_count:     42
    .sgpr_spill_count: 0
    .symbol:         _ZN7rocprim17ROCPRIM_400000_NS6detail17trampoline_kernelINS0_14default_configENS1_20scan_config_selectorIfEEZZNS1_9scan_implILNS1_25lookback_scan_determinismE0ELb1ELb1ES3_N6thrust23THRUST_200600_302600_NS6detail15normal_iteratorINS9_10device_ptrIfEEEENSB_INSC_IiEEEEfNS9_4plusIvEEfEEDaPvRmT3_T4_T5_mT6_P12ihipStream_tbENKUlT_T0_E_clISt17integral_constantIbLb0EESW_EEDaSR_SS_EUlSR_E0_NS1_11comp_targetILNS1_3genE4ELNS1_11target_archE910ELNS1_3gpuE8ELNS1_3repE0EEENS1_30default_config_static_selectorELNS0_4arch9wavefront6targetE1EEEvT1_.kd
    .uniform_work_group_size: 1
    .uses_dynamic_stack: false
    .vgpr_count:     24
    .vgpr_spill_count: 0
    .wavefront_size: 64
  - .agpr_count:     0
    .args:
      - .offset:         0
        .size:           32
        .value_kind:     by_value
    .group_segment_fixed_size: 0
    .kernarg_segment_align: 8
    .kernarg_segment_size: 32
    .language:       OpenCL C
    .language_version:
      - 2
      - 0
    .max_flat_workgroup_size: 256
    .name:           _ZN7rocprim17ROCPRIM_400000_NS6detail17trampoline_kernelINS0_14default_configENS1_20scan_config_selectorIfEEZZNS1_9scan_implILNS1_25lookback_scan_determinismE0ELb1ELb1ES3_N6thrust23THRUST_200600_302600_NS6detail15normal_iteratorINS9_10device_ptrIfEEEENSB_INSC_IiEEEEfNS9_4plusIvEEfEEDaPvRmT3_T4_T5_mT6_P12ihipStream_tbENKUlT_T0_E_clISt17integral_constantIbLb0EESW_EEDaSR_SS_EUlSR_E0_NS1_11comp_targetILNS1_3genE3ELNS1_11target_archE908ELNS1_3gpuE7ELNS1_3repE0EEENS1_30default_config_static_selectorELNS0_4arch9wavefront6targetE1EEEvT1_
    .private_segment_fixed_size: 0
    .sgpr_count:     4
    .sgpr_spill_count: 0
    .symbol:         _ZN7rocprim17ROCPRIM_400000_NS6detail17trampoline_kernelINS0_14default_configENS1_20scan_config_selectorIfEEZZNS1_9scan_implILNS1_25lookback_scan_determinismE0ELb1ELb1ES3_N6thrust23THRUST_200600_302600_NS6detail15normal_iteratorINS9_10device_ptrIfEEEENSB_INSC_IiEEEEfNS9_4plusIvEEfEEDaPvRmT3_T4_T5_mT6_P12ihipStream_tbENKUlT_T0_E_clISt17integral_constantIbLb0EESW_EEDaSR_SS_EUlSR_E0_NS1_11comp_targetILNS1_3genE3ELNS1_11target_archE908ELNS1_3gpuE7ELNS1_3repE0EEENS1_30default_config_static_selectorELNS0_4arch9wavefront6targetE1EEEvT1_.kd
    .uniform_work_group_size: 1
    .uses_dynamic_stack: false
    .vgpr_count:     0
    .vgpr_spill_count: 0
    .wavefront_size: 64
  - .agpr_count:     0
    .args:
      - .offset:         0
        .size:           32
        .value_kind:     by_value
    .group_segment_fixed_size: 0
    .kernarg_segment_align: 8
    .kernarg_segment_size: 32
    .language:       OpenCL C
    .language_version:
      - 2
      - 0
    .max_flat_workgroup_size: 256
    .name:           _ZN7rocprim17ROCPRIM_400000_NS6detail17trampoline_kernelINS0_14default_configENS1_20scan_config_selectorIfEEZZNS1_9scan_implILNS1_25lookback_scan_determinismE0ELb1ELb1ES3_N6thrust23THRUST_200600_302600_NS6detail15normal_iteratorINS9_10device_ptrIfEEEENSB_INSC_IiEEEEfNS9_4plusIvEEfEEDaPvRmT3_T4_T5_mT6_P12ihipStream_tbENKUlT_T0_E_clISt17integral_constantIbLb0EESW_EEDaSR_SS_EUlSR_E0_NS1_11comp_targetILNS1_3genE2ELNS1_11target_archE906ELNS1_3gpuE6ELNS1_3repE0EEENS1_30default_config_static_selectorELNS0_4arch9wavefront6targetE1EEEvT1_
    .private_segment_fixed_size: 0
    .sgpr_count:     4
    .sgpr_spill_count: 0
    .symbol:         _ZN7rocprim17ROCPRIM_400000_NS6detail17trampoline_kernelINS0_14default_configENS1_20scan_config_selectorIfEEZZNS1_9scan_implILNS1_25lookback_scan_determinismE0ELb1ELb1ES3_N6thrust23THRUST_200600_302600_NS6detail15normal_iteratorINS9_10device_ptrIfEEEENSB_INSC_IiEEEEfNS9_4plusIvEEfEEDaPvRmT3_T4_T5_mT6_P12ihipStream_tbENKUlT_T0_E_clISt17integral_constantIbLb0EESW_EEDaSR_SS_EUlSR_E0_NS1_11comp_targetILNS1_3genE2ELNS1_11target_archE906ELNS1_3gpuE6ELNS1_3repE0EEENS1_30default_config_static_selectorELNS0_4arch9wavefront6targetE1EEEvT1_.kd
    .uniform_work_group_size: 1
    .uses_dynamic_stack: false
    .vgpr_count:     0
    .vgpr_spill_count: 0
    .wavefront_size: 64
  - .agpr_count:     0
    .args:
      - .offset:         0
        .size:           32
        .value_kind:     by_value
    .group_segment_fixed_size: 0
    .kernarg_segment_align: 8
    .kernarg_segment_size: 32
    .language:       OpenCL C
    .language_version:
      - 2
      - 0
    .max_flat_workgroup_size: 256
    .name:           _ZN7rocprim17ROCPRIM_400000_NS6detail17trampoline_kernelINS0_14default_configENS1_20scan_config_selectorIfEEZZNS1_9scan_implILNS1_25lookback_scan_determinismE0ELb1ELb1ES3_N6thrust23THRUST_200600_302600_NS6detail15normal_iteratorINS9_10device_ptrIfEEEENSB_INSC_IiEEEEfNS9_4plusIvEEfEEDaPvRmT3_T4_T5_mT6_P12ihipStream_tbENKUlT_T0_E_clISt17integral_constantIbLb0EESW_EEDaSR_SS_EUlSR_E0_NS1_11comp_targetILNS1_3genE10ELNS1_11target_archE1201ELNS1_3gpuE5ELNS1_3repE0EEENS1_30default_config_static_selectorELNS0_4arch9wavefront6targetE1EEEvT1_
    .private_segment_fixed_size: 0
    .sgpr_count:     4
    .sgpr_spill_count: 0
    .symbol:         _ZN7rocprim17ROCPRIM_400000_NS6detail17trampoline_kernelINS0_14default_configENS1_20scan_config_selectorIfEEZZNS1_9scan_implILNS1_25lookback_scan_determinismE0ELb1ELb1ES3_N6thrust23THRUST_200600_302600_NS6detail15normal_iteratorINS9_10device_ptrIfEEEENSB_INSC_IiEEEEfNS9_4plusIvEEfEEDaPvRmT3_T4_T5_mT6_P12ihipStream_tbENKUlT_T0_E_clISt17integral_constantIbLb0EESW_EEDaSR_SS_EUlSR_E0_NS1_11comp_targetILNS1_3genE10ELNS1_11target_archE1201ELNS1_3gpuE5ELNS1_3repE0EEENS1_30default_config_static_selectorELNS0_4arch9wavefront6targetE1EEEvT1_.kd
    .uniform_work_group_size: 1
    .uses_dynamic_stack: false
    .vgpr_count:     0
    .vgpr_spill_count: 0
    .wavefront_size: 64
  - .agpr_count:     0
    .args:
      - .offset:         0
        .size:           32
        .value_kind:     by_value
    .group_segment_fixed_size: 0
    .kernarg_segment_align: 8
    .kernarg_segment_size: 32
    .language:       OpenCL C
    .language_version:
      - 2
      - 0
    .max_flat_workgroup_size: 256
    .name:           _ZN7rocprim17ROCPRIM_400000_NS6detail17trampoline_kernelINS0_14default_configENS1_20scan_config_selectorIfEEZZNS1_9scan_implILNS1_25lookback_scan_determinismE0ELb1ELb1ES3_N6thrust23THRUST_200600_302600_NS6detail15normal_iteratorINS9_10device_ptrIfEEEENSB_INSC_IiEEEEfNS9_4plusIvEEfEEDaPvRmT3_T4_T5_mT6_P12ihipStream_tbENKUlT_T0_E_clISt17integral_constantIbLb0EESW_EEDaSR_SS_EUlSR_E0_NS1_11comp_targetILNS1_3genE10ELNS1_11target_archE1200ELNS1_3gpuE4ELNS1_3repE0EEENS1_30default_config_static_selectorELNS0_4arch9wavefront6targetE1EEEvT1_
    .private_segment_fixed_size: 0
    .sgpr_count:     4
    .sgpr_spill_count: 0
    .symbol:         _ZN7rocprim17ROCPRIM_400000_NS6detail17trampoline_kernelINS0_14default_configENS1_20scan_config_selectorIfEEZZNS1_9scan_implILNS1_25lookback_scan_determinismE0ELb1ELb1ES3_N6thrust23THRUST_200600_302600_NS6detail15normal_iteratorINS9_10device_ptrIfEEEENSB_INSC_IiEEEEfNS9_4plusIvEEfEEDaPvRmT3_T4_T5_mT6_P12ihipStream_tbENKUlT_T0_E_clISt17integral_constantIbLb0EESW_EEDaSR_SS_EUlSR_E0_NS1_11comp_targetILNS1_3genE10ELNS1_11target_archE1200ELNS1_3gpuE4ELNS1_3repE0EEENS1_30default_config_static_selectorELNS0_4arch9wavefront6targetE1EEEvT1_.kd
    .uniform_work_group_size: 1
    .uses_dynamic_stack: false
    .vgpr_count:     0
    .vgpr_spill_count: 0
    .wavefront_size: 64
  - .agpr_count:     0
    .args:
      - .offset:         0
        .size:           32
        .value_kind:     by_value
    .group_segment_fixed_size: 0
    .kernarg_segment_align: 8
    .kernarg_segment_size: 32
    .language:       OpenCL C
    .language_version:
      - 2
      - 0
    .max_flat_workgroup_size: 256
    .name:           _ZN7rocprim17ROCPRIM_400000_NS6detail17trampoline_kernelINS0_14default_configENS1_20scan_config_selectorIfEEZZNS1_9scan_implILNS1_25lookback_scan_determinismE0ELb1ELb1ES3_N6thrust23THRUST_200600_302600_NS6detail15normal_iteratorINS9_10device_ptrIfEEEENSB_INSC_IiEEEEfNS9_4plusIvEEfEEDaPvRmT3_T4_T5_mT6_P12ihipStream_tbENKUlT_T0_E_clISt17integral_constantIbLb0EESW_EEDaSR_SS_EUlSR_E0_NS1_11comp_targetILNS1_3genE9ELNS1_11target_archE1100ELNS1_3gpuE3ELNS1_3repE0EEENS1_30default_config_static_selectorELNS0_4arch9wavefront6targetE1EEEvT1_
    .private_segment_fixed_size: 0
    .sgpr_count:     4
    .sgpr_spill_count: 0
    .symbol:         _ZN7rocprim17ROCPRIM_400000_NS6detail17trampoline_kernelINS0_14default_configENS1_20scan_config_selectorIfEEZZNS1_9scan_implILNS1_25lookback_scan_determinismE0ELb1ELb1ES3_N6thrust23THRUST_200600_302600_NS6detail15normal_iteratorINS9_10device_ptrIfEEEENSB_INSC_IiEEEEfNS9_4plusIvEEfEEDaPvRmT3_T4_T5_mT6_P12ihipStream_tbENKUlT_T0_E_clISt17integral_constantIbLb0EESW_EEDaSR_SS_EUlSR_E0_NS1_11comp_targetILNS1_3genE9ELNS1_11target_archE1100ELNS1_3gpuE3ELNS1_3repE0EEENS1_30default_config_static_selectorELNS0_4arch9wavefront6targetE1EEEvT1_.kd
    .uniform_work_group_size: 1
    .uses_dynamic_stack: false
    .vgpr_count:     0
    .vgpr_spill_count: 0
    .wavefront_size: 64
  - .agpr_count:     0
    .args:
      - .offset:         0
        .size:           32
        .value_kind:     by_value
    .group_segment_fixed_size: 0
    .kernarg_segment_align: 8
    .kernarg_segment_size: 32
    .language:       OpenCL C
    .language_version:
      - 2
      - 0
    .max_flat_workgroup_size: 64
    .name:           _ZN7rocprim17ROCPRIM_400000_NS6detail17trampoline_kernelINS0_14default_configENS1_20scan_config_selectorIfEEZZNS1_9scan_implILNS1_25lookback_scan_determinismE0ELb1ELb1ES3_N6thrust23THRUST_200600_302600_NS6detail15normal_iteratorINS9_10device_ptrIfEEEENSB_INSC_IiEEEEfNS9_4plusIvEEfEEDaPvRmT3_T4_T5_mT6_P12ihipStream_tbENKUlT_T0_E_clISt17integral_constantIbLb0EESW_EEDaSR_SS_EUlSR_E0_NS1_11comp_targetILNS1_3genE8ELNS1_11target_archE1030ELNS1_3gpuE2ELNS1_3repE0EEENS1_30default_config_static_selectorELNS0_4arch9wavefront6targetE1EEEvT1_
    .private_segment_fixed_size: 0
    .sgpr_count:     4
    .sgpr_spill_count: 0
    .symbol:         _ZN7rocprim17ROCPRIM_400000_NS6detail17trampoline_kernelINS0_14default_configENS1_20scan_config_selectorIfEEZZNS1_9scan_implILNS1_25lookback_scan_determinismE0ELb1ELb1ES3_N6thrust23THRUST_200600_302600_NS6detail15normal_iteratorINS9_10device_ptrIfEEEENSB_INSC_IiEEEEfNS9_4plusIvEEfEEDaPvRmT3_T4_T5_mT6_P12ihipStream_tbENKUlT_T0_E_clISt17integral_constantIbLb0EESW_EEDaSR_SS_EUlSR_E0_NS1_11comp_targetILNS1_3genE8ELNS1_11target_archE1030ELNS1_3gpuE2ELNS1_3repE0EEENS1_30default_config_static_selectorELNS0_4arch9wavefront6targetE1EEEvT1_.kd
    .uniform_work_group_size: 1
    .uses_dynamic_stack: false
    .vgpr_count:     0
    .vgpr_spill_count: 0
    .wavefront_size: 64
  - .agpr_count:     0
    .args:
      - .offset:         0
        .size:           96
        .value_kind:     by_value
    .group_segment_fixed_size: 0
    .kernarg_segment_align: 8
    .kernarg_segment_size: 96
    .language:       OpenCL C
    .language_version:
      - 2
      - 0
    .max_flat_workgroup_size: 256
    .name:           _ZN7rocprim17ROCPRIM_400000_NS6detail17trampoline_kernelINS0_14default_configENS1_20scan_config_selectorIfEEZZNS1_9scan_implILNS1_25lookback_scan_determinismE0ELb1ELb1ES3_N6thrust23THRUST_200600_302600_NS6detail15normal_iteratorINS9_10device_ptrIfEEEENSB_INSC_IiEEEEfNS9_4plusIvEEfEEDaPvRmT3_T4_T5_mT6_P12ihipStream_tbENKUlT_T0_E_clISt17integral_constantIbLb1EESW_EEDaSR_SS_EUlSR_E_NS1_11comp_targetILNS1_3genE0ELNS1_11target_archE4294967295ELNS1_3gpuE0ELNS1_3repE0EEENS1_30default_config_static_selectorELNS0_4arch9wavefront6targetE1EEEvT1_
    .private_segment_fixed_size: 0
    .sgpr_count:     4
    .sgpr_spill_count: 0
    .symbol:         _ZN7rocprim17ROCPRIM_400000_NS6detail17trampoline_kernelINS0_14default_configENS1_20scan_config_selectorIfEEZZNS1_9scan_implILNS1_25lookback_scan_determinismE0ELb1ELb1ES3_N6thrust23THRUST_200600_302600_NS6detail15normal_iteratorINS9_10device_ptrIfEEEENSB_INSC_IiEEEEfNS9_4plusIvEEfEEDaPvRmT3_T4_T5_mT6_P12ihipStream_tbENKUlT_T0_E_clISt17integral_constantIbLb1EESW_EEDaSR_SS_EUlSR_E_NS1_11comp_targetILNS1_3genE0ELNS1_11target_archE4294967295ELNS1_3gpuE0ELNS1_3repE0EEENS1_30default_config_static_selectorELNS0_4arch9wavefront6targetE1EEEvT1_.kd
    .uniform_work_group_size: 1
    .uses_dynamic_stack: false
    .vgpr_count:     0
    .vgpr_spill_count: 0
    .wavefront_size: 64
  - .agpr_count:     0
    .args:
      - .offset:         0
        .size:           96
        .value_kind:     by_value
    .group_segment_fixed_size: 0
    .kernarg_segment_align: 8
    .kernarg_segment_size: 96
    .language:       OpenCL C
    .language_version:
      - 2
      - 0
    .max_flat_workgroup_size: 256
    .name:           _ZN7rocprim17ROCPRIM_400000_NS6detail17trampoline_kernelINS0_14default_configENS1_20scan_config_selectorIfEEZZNS1_9scan_implILNS1_25lookback_scan_determinismE0ELb1ELb1ES3_N6thrust23THRUST_200600_302600_NS6detail15normal_iteratorINS9_10device_ptrIfEEEENSB_INSC_IiEEEEfNS9_4plusIvEEfEEDaPvRmT3_T4_T5_mT6_P12ihipStream_tbENKUlT_T0_E_clISt17integral_constantIbLb1EESW_EEDaSR_SS_EUlSR_E_NS1_11comp_targetILNS1_3genE5ELNS1_11target_archE942ELNS1_3gpuE9ELNS1_3repE0EEENS1_30default_config_static_selectorELNS0_4arch9wavefront6targetE1EEEvT1_
    .private_segment_fixed_size: 0
    .sgpr_count:     4
    .sgpr_spill_count: 0
    .symbol:         _ZN7rocprim17ROCPRIM_400000_NS6detail17trampoline_kernelINS0_14default_configENS1_20scan_config_selectorIfEEZZNS1_9scan_implILNS1_25lookback_scan_determinismE0ELb1ELb1ES3_N6thrust23THRUST_200600_302600_NS6detail15normal_iteratorINS9_10device_ptrIfEEEENSB_INSC_IiEEEEfNS9_4plusIvEEfEEDaPvRmT3_T4_T5_mT6_P12ihipStream_tbENKUlT_T0_E_clISt17integral_constantIbLb1EESW_EEDaSR_SS_EUlSR_E_NS1_11comp_targetILNS1_3genE5ELNS1_11target_archE942ELNS1_3gpuE9ELNS1_3repE0EEENS1_30default_config_static_selectorELNS0_4arch9wavefront6targetE1EEEvT1_.kd
    .uniform_work_group_size: 1
    .uses_dynamic_stack: false
    .vgpr_count:     0
    .vgpr_spill_count: 0
    .wavefront_size: 64
  - .agpr_count:     0
    .args:
      - .offset:         0
        .size:           96
        .value_kind:     by_value
    .group_segment_fixed_size: 7168
    .kernarg_segment_align: 8
    .kernarg_segment_size: 96
    .language:       OpenCL C
    .language_version:
      - 2
      - 0
    .max_flat_workgroup_size: 128
    .name:           _ZN7rocprim17ROCPRIM_400000_NS6detail17trampoline_kernelINS0_14default_configENS1_20scan_config_selectorIfEEZZNS1_9scan_implILNS1_25lookback_scan_determinismE0ELb1ELb1ES3_N6thrust23THRUST_200600_302600_NS6detail15normal_iteratorINS9_10device_ptrIfEEEENSB_INSC_IiEEEEfNS9_4plusIvEEfEEDaPvRmT3_T4_T5_mT6_P12ihipStream_tbENKUlT_T0_E_clISt17integral_constantIbLb1EESW_EEDaSR_SS_EUlSR_E_NS1_11comp_targetILNS1_3genE4ELNS1_11target_archE910ELNS1_3gpuE8ELNS1_3repE0EEENS1_30default_config_static_selectorELNS0_4arch9wavefront6targetE1EEEvT1_
    .private_segment_fixed_size: 0
    .sgpr_count:     45
    .sgpr_spill_count: 0
    .symbol:         _ZN7rocprim17ROCPRIM_400000_NS6detail17trampoline_kernelINS0_14default_configENS1_20scan_config_selectorIfEEZZNS1_9scan_implILNS1_25lookback_scan_determinismE0ELb1ELb1ES3_N6thrust23THRUST_200600_302600_NS6detail15normal_iteratorINS9_10device_ptrIfEEEENSB_INSC_IiEEEEfNS9_4plusIvEEfEEDaPvRmT3_T4_T5_mT6_P12ihipStream_tbENKUlT_T0_E_clISt17integral_constantIbLb1EESW_EEDaSR_SS_EUlSR_E_NS1_11comp_targetILNS1_3genE4ELNS1_11target_archE910ELNS1_3gpuE8ELNS1_3repE0EEENS1_30default_config_static_selectorELNS0_4arch9wavefront6targetE1EEEvT1_.kd
    .uniform_work_group_size: 1
    .uses_dynamic_stack: false
    .vgpr_count:     49
    .vgpr_spill_count: 0
    .wavefront_size: 64
  - .agpr_count:     0
    .args:
      - .offset:         0
        .size:           96
        .value_kind:     by_value
    .group_segment_fixed_size: 0
    .kernarg_segment_align: 8
    .kernarg_segment_size: 96
    .language:       OpenCL C
    .language_version:
      - 2
      - 0
    .max_flat_workgroup_size: 256
    .name:           _ZN7rocprim17ROCPRIM_400000_NS6detail17trampoline_kernelINS0_14default_configENS1_20scan_config_selectorIfEEZZNS1_9scan_implILNS1_25lookback_scan_determinismE0ELb1ELb1ES3_N6thrust23THRUST_200600_302600_NS6detail15normal_iteratorINS9_10device_ptrIfEEEENSB_INSC_IiEEEEfNS9_4plusIvEEfEEDaPvRmT3_T4_T5_mT6_P12ihipStream_tbENKUlT_T0_E_clISt17integral_constantIbLb1EESW_EEDaSR_SS_EUlSR_E_NS1_11comp_targetILNS1_3genE3ELNS1_11target_archE908ELNS1_3gpuE7ELNS1_3repE0EEENS1_30default_config_static_selectorELNS0_4arch9wavefront6targetE1EEEvT1_
    .private_segment_fixed_size: 0
    .sgpr_count:     4
    .sgpr_spill_count: 0
    .symbol:         _ZN7rocprim17ROCPRIM_400000_NS6detail17trampoline_kernelINS0_14default_configENS1_20scan_config_selectorIfEEZZNS1_9scan_implILNS1_25lookback_scan_determinismE0ELb1ELb1ES3_N6thrust23THRUST_200600_302600_NS6detail15normal_iteratorINS9_10device_ptrIfEEEENSB_INSC_IiEEEEfNS9_4plusIvEEfEEDaPvRmT3_T4_T5_mT6_P12ihipStream_tbENKUlT_T0_E_clISt17integral_constantIbLb1EESW_EEDaSR_SS_EUlSR_E_NS1_11comp_targetILNS1_3genE3ELNS1_11target_archE908ELNS1_3gpuE7ELNS1_3repE0EEENS1_30default_config_static_selectorELNS0_4arch9wavefront6targetE1EEEvT1_.kd
    .uniform_work_group_size: 1
    .uses_dynamic_stack: false
    .vgpr_count:     0
    .vgpr_spill_count: 0
    .wavefront_size: 64
  - .agpr_count:     0
    .args:
      - .offset:         0
        .size:           96
        .value_kind:     by_value
    .group_segment_fixed_size: 0
    .kernarg_segment_align: 8
    .kernarg_segment_size: 96
    .language:       OpenCL C
    .language_version:
      - 2
      - 0
    .max_flat_workgroup_size: 256
    .name:           _ZN7rocprim17ROCPRIM_400000_NS6detail17trampoline_kernelINS0_14default_configENS1_20scan_config_selectorIfEEZZNS1_9scan_implILNS1_25lookback_scan_determinismE0ELb1ELb1ES3_N6thrust23THRUST_200600_302600_NS6detail15normal_iteratorINS9_10device_ptrIfEEEENSB_INSC_IiEEEEfNS9_4plusIvEEfEEDaPvRmT3_T4_T5_mT6_P12ihipStream_tbENKUlT_T0_E_clISt17integral_constantIbLb1EESW_EEDaSR_SS_EUlSR_E_NS1_11comp_targetILNS1_3genE2ELNS1_11target_archE906ELNS1_3gpuE6ELNS1_3repE0EEENS1_30default_config_static_selectorELNS0_4arch9wavefront6targetE1EEEvT1_
    .private_segment_fixed_size: 0
    .sgpr_count:     4
    .sgpr_spill_count: 0
    .symbol:         _ZN7rocprim17ROCPRIM_400000_NS6detail17trampoline_kernelINS0_14default_configENS1_20scan_config_selectorIfEEZZNS1_9scan_implILNS1_25lookback_scan_determinismE0ELb1ELb1ES3_N6thrust23THRUST_200600_302600_NS6detail15normal_iteratorINS9_10device_ptrIfEEEENSB_INSC_IiEEEEfNS9_4plusIvEEfEEDaPvRmT3_T4_T5_mT6_P12ihipStream_tbENKUlT_T0_E_clISt17integral_constantIbLb1EESW_EEDaSR_SS_EUlSR_E_NS1_11comp_targetILNS1_3genE2ELNS1_11target_archE906ELNS1_3gpuE6ELNS1_3repE0EEENS1_30default_config_static_selectorELNS0_4arch9wavefront6targetE1EEEvT1_.kd
    .uniform_work_group_size: 1
    .uses_dynamic_stack: false
    .vgpr_count:     0
    .vgpr_spill_count: 0
    .wavefront_size: 64
  - .agpr_count:     0
    .args:
      - .offset:         0
        .size:           96
        .value_kind:     by_value
    .group_segment_fixed_size: 0
    .kernarg_segment_align: 8
    .kernarg_segment_size: 96
    .language:       OpenCL C
    .language_version:
      - 2
      - 0
    .max_flat_workgroup_size: 256
    .name:           _ZN7rocprim17ROCPRIM_400000_NS6detail17trampoline_kernelINS0_14default_configENS1_20scan_config_selectorIfEEZZNS1_9scan_implILNS1_25lookback_scan_determinismE0ELb1ELb1ES3_N6thrust23THRUST_200600_302600_NS6detail15normal_iteratorINS9_10device_ptrIfEEEENSB_INSC_IiEEEEfNS9_4plusIvEEfEEDaPvRmT3_T4_T5_mT6_P12ihipStream_tbENKUlT_T0_E_clISt17integral_constantIbLb1EESW_EEDaSR_SS_EUlSR_E_NS1_11comp_targetILNS1_3genE10ELNS1_11target_archE1201ELNS1_3gpuE5ELNS1_3repE0EEENS1_30default_config_static_selectorELNS0_4arch9wavefront6targetE1EEEvT1_
    .private_segment_fixed_size: 0
    .sgpr_count:     4
    .sgpr_spill_count: 0
    .symbol:         _ZN7rocprim17ROCPRIM_400000_NS6detail17trampoline_kernelINS0_14default_configENS1_20scan_config_selectorIfEEZZNS1_9scan_implILNS1_25lookback_scan_determinismE0ELb1ELb1ES3_N6thrust23THRUST_200600_302600_NS6detail15normal_iteratorINS9_10device_ptrIfEEEENSB_INSC_IiEEEEfNS9_4plusIvEEfEEDaPvRmT3_T4_T5_mT6_P12ihipStream_tbENKUlT_T0_E_clISt17integral_constantIbLb1EESW_EEDaSR_SS_EUlSR_E_NS1_11comp_targetILNS1_3genE10ELNS1_11target_archE1201ELNS1_3gpuE5ELNS1_3repE0EEENS1_30default_config_static_selectorELNS0_4arch9wavefront6targetE1EEEvT1_.kd
    .uniform_work_group_size: 1
    .uses_dynamic_stack: false
    .vgpr_count:     0
    .vgpr_spill_count: 0
    .wavefront_size: 64
  - .agpr_count:     0
    .args:
      - .offset:         0
        .size:           96
        .value_kind:     by_value
    .group_segment_fixed_size: 0
    .kernarg_segment_align: 8
    .kernarg_segment_size: 96
    .language:       OpenCL C
    .language_version:
      - 2
      - 0
    .max_flat_workgroup_size: 256
    .name:           _ZN7rocprim17ROCPRIM_400000_NS6detail17trampoline_kernelINS0_14default_configENS1_20scan_config_selectorIfEEZZNS1_9scan_implILNS1_25lookback_scan_determinismE0ELb1ELb1ES3_N6thrust23THRUST_200600_302600_NS6detail15normal_iteratorINS9_10device_ptrIfEEEENSB_INSC_IiEEEEfNS9_4plusIvEEfEEDaPvRmT3_T4_T5_mT6_P12ihipStream_tbENKUlT_T0_E_clISt17integral_constantIbLb1EESW_EEDaSR_SS_EUlSR_E_NS1_11comp_targetILNS1_3genE10ELNS1_11target_archE1200ELNS1_3gpuE4ELNS1_3repE0EEENS1_30default_config_static_selectorELNS0_4arch9wavefront6targetE1EEEvT1_
    .private_segment_fixed_size: 0
    .sgpr_count:     4
    .sgpr_spill_count: 0
    .symbol:         _ZN7rocprim17ROCPRIM_400000_NS6detail17trampoline_kernelINS0_14default_configENS1_20scan_config_selectorIfEEZZNS1_9scan_implILNS1_25lookback_scan_determinismE0ELb1ELb1ES3_N6thrust23THRUST_200600_302600_NS6detail15normal_iteratorINS9_10device_ptrIfEEEENSB_INSC_IiEEEEfNS9_4plusIvEEfEEDaPvRmT3_T4_T5_mT6_P12ihipStream_tbENKUlT_T0_E_clISt17integral_constantIbLb1EESW_EEDaSR_SS_EUlSR_E_NS1_11comp_targetILNS1_3genE10ELNS1_11target_archE1200ELNS1_3gpuE4ELNS1_3repE0EEENS1_30default_config_static_selectorELNS0_4arch9wavefront6targetE1EEEvT1_.kd
    .uniform_work_group_size: 1
    .uses_dynamic_stack: false
    .vgpr_count:     0
    .vgpr_spill_count: 0
    .wavefront_size: 64
  - .agpr_count:     0
    .args:
      - .offset:         0
        .size:           96
        .value_kind:     by_value
    .group_segment_fixed_size: 0
    .kernarg_segment_align: 8
    .kernarg_segment_size: 96
    .language:       OpenCL C
    .language_version:
      - 2
      - 0
    .max_flat_workgroup_size: 256
    .name:           _ZN7rocprim17ROCPRIM_400000_NS6detail17trampoline_kernelINS0_14default_configENS1_20scan_config_selectorIfEEZZNS1_9scan_implILNS1_25lookback_scan_determinismE0ELb1ELb1ES3_N6thrust23THRUST_200600_302600_NS6detail15normal_iteratorINS9_10device_ptrIfEEEENSB_INSC_IiEEEEfNS9_4plusIvEEfEEDaPvRmT3_T4_T5_mT6_P12ihipStream_tbENKUlT_T0_E_clISt17integral_constantIbLb1EESW_EEDaSR_SS_EUlSR_E_NS1_11comp_targetILNS1_3genE9ELNS1_11target_archE1100ELNS1_3gpuE3ELNS1_3repE0EEENS1_30default_config_static_selectorELNS0_4arch9wavefront6targetE1EEEvT1_
    .private_segment_fixed_size: 0
    .sgpr_count:     4
    .sgpr_spill_count: 0
    .symbol:         _ZN7rocprim17ROCPRIM_400000_NS6detail17trampoline_kernelINS0_14default_configENS1_20scan_config_selectorIfEEZZNS1_9scan_implILNS1_25lookback_scan_determinismE0ELb1ELb1ES3_N6thrust23THRUST_200600_302600_NS6detail15normal_iteratorINS9_10device_ptrIfEEEENSB_INSC_IiEEEEfNS9_4plusIvEEfEEDaPvRmT3_T4_T5_mT6_P12ihipStream_tbENKUlT_T0_E_clISt17integral_constantIbLb1EESW_EEDaSR_SS_EUlSR_E_NS1_11comp_targetILNS1_3genE9ELNS1_11target_archE1100ELNS1_3gpuE3ELNS1_3repE0EEENS1_30default_config_static_selectorELNS0_4arch9wavefront6targetE1EEEvT1_.kd
    .uniform_work_group_size: 1
    .uses_dynamic_stack: false
    .vgpr_count:     0
    .vgpr_spill_count: 0
    .wavefront_size: 64
  - .agpr_count:     0
    .args:
      - .offset:         0
        .size:           96
        .value_kind:     by_value
    .group_segment_fixed_size: 0
    .kernarg_segment_align: 8
    .kernarg_segment_size: 96
    .language:       OpenCL C
    .language_version:
      - 2
      - 0
    .max_flat_workgroup_size: 64
    .name:           _ZN7rocprim17ROCPRIM_400000_NS6detail17trampoline_kernelINS0_14default_configENS1_20scan_config_selectorIfEEZZNS1_9scan_implILNS1_25lookback_scan_determinismE0ELb1ELb1ES3_N6thrust23THRUST_200600_302600_NS6detail15normal_iteratorINS9_10device_ptrIfEEEENSB_INSC_IiEEEEfNS9_4plusIvEEfEEDaPvRmT3_T4_T5_mT6_P12ihipStream_tbENKUlT_T0_E_clISt17integral_constantIbLb1EESW_EEDaSR_SS_EUlSR_E_NS1_11comp_targetILNS1_3genE8ELNS1_11target_archE1030ELNS1_3gpuE2ELNS1_3repE0EEENS1_30default_config_static_selectorELNS0_4arch9wavefront6targetE1EEEvT1_
    .private_segment_fixed_size: 0
    .sgpr_count:     4
    .sgpr_spill_count: 0
    .symbol:         _ZN7rocprim17ROCPRIM_400000_NS6detail17trampoline_kernelINS0_14default_configENS1_20scan_config_selectorIfEEZZNS1_9scan_implILNS1_25lookback_scan_determinismE0ELb1ELb1ES3_N6thrust23THRUST_200600_302600_NS6detail15normal_iteratorINS9_10device_ptrIfEEEENSB_INSC_IiEEEEfNS9_4plusIvEEfEEDaPvRmT3_T4_T5_mT6_P12ihipStream_tbENKUlT_T0_E_clISt17integral_constantIbLb1EESW_EEDaSR_SS_EUlSR_E_NS1_11comp_targetILNS1_3genE8ELNS1_11target_archE1030ELNS1_3gpuE2ELNS1_3repE0EEENS1_30default_config_static_selectorELNS0_4arch9wavefront6targetE1EEEvT1_.kd
    .uniform_work_group_size: 1
    .uses_dynamic_stack: false
    .vgpr_count:     0
    .vgpr_spill_count: 0
    .wavefront_size: 64
  - .agpr_count:     0
    .args:
      - .offset:         0
        .size:           32
        .value_kind:     by_value
    .group_segment_fixed_size: 0
    .kernarg_segment_align: 8
    .kernarg_segment_size: 32
    .language:       OpenCL C
    .language_version:
      - 2
      - 0
    .max_flat_workgroup_size: 256
    .name:           _ZN7rocprim17ROCPRIM_400000_NS6detail17trampoline_kernelINS0_14default_configENS1_20scan_config_selectorIfEEZZNS1_9scan_implILNS1_25lookback_scan_determinismE0ELb1ELb1ES3_N6thrust23THRUST_200600_302600_NS6detail15normal_iteratorINS9_10device_ptrIfEEEENSB_INSC_IiEEEEfNS9_4plusIvEEfEEDaPvRmT3_T4_T5_mT6_P12ihipStream_tbENKUlT_T0_E_clISt17integral_constantIbLb1EESW_EEDaSR_SS_EUlSR_E0_NS1_11comp_targetILNS1_3genE0ELNS1_11target_archE4294967295ELNS1_3gpuE0ELNS1_3repE0EEENS1_30default_config_static_selectorELNS0_4arch9wavefront6targetE1EEEvT1_
    .private_segment_fixed_size: 0
    .sgpr_count:     4
    .sgpr_spill_count: 0
    .symbol:         _ZN7rocprim17ROCPRIM_400000_NS6detail17trampoline_kernelINS0_14default_configENS1_20scan_config_selectorIfEEZZNS1_9scan_implILNS1_25lookback_scan_determinismE0ELb1ELb1ES3_N6thrust23THRUST_200600_302600_NS6detail15normal_iteratorINS9_10device_ptrIfEEEENSB_INSC_IiEEEEfNS9_4plusIvEEfEEDaPvRmT3_T4_T5_mT6_P12ihipStream_tbENKUlT_T0_E_clISt17integral_constantIbLb1EESW_EEDaSR_SS_EUlSR_E0_NS1_11comp_targetILNS1_3genE0ELNS1_11target_archE4294967295ELNS1_3gpuE0ELNS1_3repE0EEENS1_30default_config_static_selectorELNS0_4arch9wavefront6targetE1EEEvT1_.kd
    .uniform_work_group_size: 1
    .uses_dynamic_stack: false
    .vgpr_count:     0
    .vgpr_spill_count: 0
    .wavefront_size: 64
  - .agpr_count:     0
    .args:
      - .offset:         0
        .size:           32
        .value_kind:     by_value
    .group_segment_fixed_size: 0
    .kernarg_segment_align: 8
    .kernarg_segment_size: 32
    .language:       OpenCL C
    .language_version:
      - 2
      - 0
    .max_flat_workgroup_size: 256
    .name:           _ZN7rocprim17ROCPRIM_400000_NS6detail17trampoline_kernelINS0_14default_configENS1_20scan_config_selectorIfEEZZNS1_9scan_implILNS1_25lookback_scan_determinismE0ELb1ELb1ES3_N6thrust23THRUST_200600_302600_NS6detail15normal_iteratorINS9_10device_ptrIfEEEENSB_INSC_IiEEEEfNS9_4plusIvEEfEEDaPvRmT3_T4_T5_mT6_P12ihipStream_tbENKUlT_T0_E_clISt17integral_constantIbLb1EESW_EEDaSR_SS_EUlSR_E0_NS1_11comp_targetILNS1_3genE5ELNS1_11target_archE942ELNS1_3gpuE9ELNS1_3repE0EEENS1_30default_config_static_selectorELNS0_4arch9wavefront6targetE1EEEvT1_
    .private_segment_fixed_size: 0
    .sgpr_count:     4
    .sgpr_spill_count: 0
    .symbol:         _ZN7rocprim17ROCPRIM_400000_NS6detail17trampoline_kernelINS0_14default_configENS1_20scan_config_selectorIfEEZZNS1_9scan_implILNS1_25lookback_scan_determinismE0ELb1ELb1ES3_N6thrust23THRUST_200600_302600_NS6detail15normal_iteratorINS9_10device_ptrIfEEEENSB_INSC_IiEEEEfNS9_4plusIvEEfEEDaPvRmT3_T4_T5_mT6_P12ihipStream_tbENKUlT_T0_E_clISt17integral_constantIbLb1EESW_EEDaSR_SS_EUlSR_E0_NS1_11comp_targetILNS1_3genE5ELNS1_11target_archE942ELNS1_3gpuE9ELNS1_3repE0EEENS1_30default_config_static_selectorELNS0_4arch9wavefront6targetE1EEEvT1_.kd
    .uniform_work_group_size: 1
    .uses_dynamic_stack: false
    .vgpr_count:     0
    .vgpr_spill_count: 0
    .wavefront_size: 64
  - .agpr_count:     0
    .args:
      - .offset:         0
        .size:           32
        .value_kind:     by_value
    .group_segment_fixed_size: 7168
    .kernarg_segment_align: 8
    .kernarg_segment_size: 32
    .language:       OpenCL C
    .language_version:
      - 2
      - 0
    .max_flat_workgroup_size: 128
    .name:           _ZN7rocprim17ROCPRIM_400000_NS6detail17trampoline_kernelINS0_14default_configENS1_20scan_config_selectorIfEEZZNS1_9scan_implILNS1_25lookback_scan_determinismE0ELb1ELb1ES3_N6thrust23THRUST_200600_302600_NS6detail15normal_iteratorINS9_10device_ptrIfEEEENSB_INSC_IiEEEEfNS9_4plusIvEEfEEDaPvRmT3_T4_T5_mT6_P12ihipStream_tbENKUlT_T0_E_clISt17integral_constantIbLb1EESW_EEDaSR_SS_EUlSR_E0_NS1_11comp_targetILNS1_3genE4ELNS1_11target_archE910ELNS1_3gpuE8ELNS1_3repE0EEENS1_30default_config_static_selectorELNS0_4arch9wavefront6targetE1EEEvT1_
    .private_segment_fixed_size: 0
    .sgpr_count:     42
    .sgpr_spill_count: 0
    .symbol:         _ZN7rocprim17ROCPRIM_400000_NS6detail17trampoline_kernelINS0_14default_configENS1_20scan_config_selectorIfEEZZNS1_9scan_implILNS1_25lookback_scan_determinismE0ELb1ELb1ES3_N6thrust23THRUST_200600_302600_NS6detail15normal_iteratorINS9_10device_ptrIfEEEENSB_INSC_IiEEEEfNS9_4plusIvEEfEEDaPvRmT3_T4_T5_mT6_P12ihipStream_tbENKUlT_T0_E_clISt17integral_constantIbLb1EESW_EEDaSR_SS_EUlSR_E0_NS1_11comp_targetILNS1_3genE4ELNS1_11target_archE910ELNS1_3gpuE8ELNS1_3repE0EEENS1_30default_config_static_selectorELNS0_4arch9wavefront6targetE1EEEvT1_.kd
    .uniform_work_group_size: 1
    .uses_dynamic_stack: false
    .vgpr_count:     24
    .vgpr_spill_count: 0
    .wavefront_size: 64
  - .agpr_count:     0
    .args:
      - .offset:         0
        .size:           32
        .value_kind:     by_value
    .group_segment_fixed_size: 0
    .kernarg_segment_align: 8
    .kernarg_segment_size: 32
    .language:       OpenCL C
    .language_version:
      - 2
      - 0
    .max_flat_workgroup_size: 256
    .name:           _ZN7rocprim17ROCPRIM_400000_NS6detail17trampoline_kernelINS0_14default_configENS1_20scan_config_selectorIfEEZZNS1_9scan_implILNS1_25lookback_scan_determinismE0ELb1ELb1ES3_N6thrust23THRUST_200600_302600_NS6detail15normal_iteratorINS9_10device_ptrIfEEEENSB_INSC_IiEEEEfNS9_4plusIvEEfEEDaPvRmT3_T4_T5_mT6_P12ihipStream_tbENKUlT_T0_E_clISt17integral_constantIbLb1EESW_EEDaSR_SS_EUlSR_E0_NS1_11comp_targetILNS1_3genE3ELNS1_11target_archE908ELNS1_3gpuE7ELNS1_3repE0EEENS1_30default_config_static_selectorELNS0_4arch9wavefront6targetE1EEEvT1_
    .private_segment_fixed_size: 0
    .sgpr_count:     4
    .sgpr_spill_count: 0
    .symbol:         _ZN7rocprim17ROCPRIM_400000_NS6detail17trampoline_kernelINS0_14default_configENS1_20scan_config_selectorIfEEZZNS1_9scan_implILNS1_25lookback_scan_determinismE0ELb1ELb1ES3_N6thrust23THRUST_200600_302600_NS6detail15normal_iteratorINS9_10device_ptrIfEEEENSB_INSC_IiEEEEfNS9_4plusIvEEfEEDaPvRmT3_T4_T5_mT6_P12ihipStream_tbENKUlT_T0_E_clISt17integral_constantIbLb1EESW_EEDaSR_SS_EUlSR_E0_NS1_11comp_targetILNS1_3genE3ELNS1_11target_archE908ELNS1_3gpuE7ELNS1_3repE0EEENS1_30default_config_static_selectorELNS0_4arch9wavefront6targetE1EEEvT1_.kd
    .uniform_work_group_size: 1
    .uses_dynamic_stack: false
    .vgpr_count:     0
    .vgpr_spill_count: 0
    .wavefront_size: 64
  - .agpr_count:     0
    .args:
      - .offset:         0
        .size:           32
        .value_kind:     by_value
    .group_segment_fixed_size: 0
    .kernarg_segment_align: 8
    .kernarg_segment_size: 32
    .language:       OpenCL C
    .language_version:
      - 2
      - 0
    .max_flat_workgroup_size: 256
    .name:           _ZN7rocprim17ROCPRIM_400000_NS6detail17trampoline_kernelINS0_14default_configENS1_20scan_config_selectorIfEEZZNS1_9scan_implILNS1_25lookback_scan_determinismE0ELb1ELb1ES3_N6thrust23THRUST_200600_302600_NS6detail15normal_iteratorINS9_10device_ptrIfEEEENSB_INSC_IiEEEEfNS9_4plusIvEEfEEDaPvRmT3_T4_T5_mT6_P12ihipStream_tbENKUlT_T0_E_clISt17integral_constantIbLb1EESW_EEDaSR_SS_EUlSR_E0_NS1_11comp_targetILNS1_3genE2ELNS1_11target_archE906ELNS1_3gpuE6ELNS1_3repE0EEENS1_30default_config_static_selectorELNS0_4arch9wavefront6targetE1EEEvT1_
    .private_segment_fixed_size: 0
    .sgpr_count:     4
    .sgpr_spill_count: 0
    .symbol:         _ZN7rocprim17ROCPRIM_400000_NS6detail17trampoline_kernelINS0_14default_configENS1_20scan_config_selectorIfEEZZNS1_9scan_implILNS1_25lookback_scan_determinismE0ELb1ELb1ES3_N6thrust23THRUST_200600_302600_NS6detail15normal_iteratorINS9_10device_ptrIfEEEENSB_INSC_IiEEEEfNS9_4plusIvEEfEEDaPvRmT3_T4_T5_mT6_P12ihipStream_tbENKUlT_T0_E_clISt17integral_constantIbLb1EESW_EEDaSR_SS_EUlSR_E0_NS1_11comp_targetILNS1_3genE2ELNS1_11target_archE906ELNS1_3gpuE6ELNS1_3repE0EEENS1_30default_config_static_selectorELNS0_4arch9wavefront6targetE1EEEvT1_.kd
    .uniform_work_group_size: 1
    .uses_dynamic_stack: false
    .vgpr_count:     0
    .vgpr_spill_count: 0
    .wavefront_size: 64
  - .agpr_count:     0
    .args:
      - .offset:         0
        .size:           32
        .value_kind:     by_value
    .group_segment_fixed_size: 0
    .kernarg_segment_align: 8
    .kernarg_segment_size: 32
    .language:       OpenCL C
    .language_version:
      - 2
      - 0
    .max_flat_workgroup_size: 256
    .name:           _ZN7rocprim17ROCPRIM_400000_NS6detail17trampoline_kernelINS0_14default_configENS1_20scan_config_selectorIfEEZZNS1_9scan_implILNS1_25lookback_scan_determinismE0ELb1ELb1ES3_N6thrust23THRUST_200600_302600_NS6detail15normal_iteratorINS9_10device_ptrIfEEEENSB_INSC_IiEEEEfNS9_4plusIvEEfEEDaPvRmT3_T4_T5_mT6_P12ihipStream_tbENKUlT_T0_E_clISt17integral_constantIbLb1EESW_EEDaSR_SS_EUlSR_E0_NS1_11comp_targetILNS1_3genE10ELNS1_11target_archE1201ELNS1_3gpuE5ELNS1_3repE0EEENS1_30default_config_static_selectorELNS0_4arch9wavefront6targetE1EEEvT1_
    .private_segment_fixed_size: 0
    .sgpr_count:     4
    .sgpr_spill_count: 0
    .symbol:         _ZN7rocprim17ROCPRIM_400000_NS6detail17trampoline_kernelINS0_14default_configENS1_20scan_config_selectorIfEEZZNS1_9scan_implILNS1_25lookback_scan_determinismE0ELb1ELb1ES3_N6thrust23THRUST_200600_302600_NS6detail15normal_iteratorINS9_10device_ptrIfEEEENSB_INSC_IiEEEEfNS9_4plusIvEEfEEDaPvRmT3_T4_T5_mT6_P12ihipStream_tbENKUlT_T0_E_clISt17integral_constantIbLb1EESW_EEDaSR_SS_EUlSR_E0_NS1_11comp_targetILNS1_3genE10ELNS1_11target_archE1201ELNS1_3gpuE5ELNS1_3repE0EEENS1_30default_config_static_selectorELNS0_4arch9wavefront6targetE1EEEvT1_.kd
    .uniform_work_group_size: 1
    .uses_dynamic_stack: false
    .vgpr_count:     0
    .vgpr_spill_count: 0
    .wavefront_size: 64
  - .agpr_count:     0
    .args:
      - .offset:         0
        .size:           32
        .value_kind:     by_value
    .group_segment_fixed_size: 0
    .kernarg_segment_align: 8
    .kernarg_segment_size: 32
    .language:       OpenCL C
    .language_version:
      - 2
      - 0
    .max_flat_workgroup_size: 256
    .name:           _ZN7rocprim17ROCPRIM_400000_NS6detail17trampoline_kernelINS0_14default_configENS1_20scan_config_selectorIfEEZZNS1_9scan_implILNS1_25lookback_scan_determinismE0ELb1ELb1ES3_N6thrust23THRUST_200600_302600_NS6detail15normal_iteratorINS9_10device_ptrIfEEEENSB_INSC_IiEEEEfNS9_4plusIvEEfEEDaPvRmT3_T4_T5_mT6_P12ihipStream_tbENKUlT_T0_E_clISt17integral_constantIbLb1EESW_EEDaSR_SS_EUlSR_E0_NS1_11comp_targetILNS1_3genE10ELNS1_11target_archE1200ELNS1_3gpuE4ELNS1_3repE0EEENS1_30default_config_static_selectorELNS0_4arch9wavefront6targetE1EEEvT1_
    .private_segment_fixed_size: 0
    .sgpr_count:     4
    .sgpr_spill_count: 0
    .symbol:         _ZN7rocprim17ROCPRIM_400000_NS6detail17trampoline_kernelINS0_14default_configENS1_20scan_config_selectorIfEEZZNS1_9scan_implILNS1_25lookback_scan_determinismE0ELb1ELb1ES3_N6thrust23THRUST_200600_302600_NS6detail15normal_iteratorINS9_10device_ptrIfEEEENSB_INSC_IiEEEEfNS9_4plusIvEEfEEDaPvRmT3_T4_T5_mT6_P12ihipStream_tbENKUlT_T0_E_clISt17integral_constantIbLb1EESW_EEDaSR_SS_EUlSR_E0_NS1_11comp_targetILNS1_3genE10ELNS1_11target_archE1200ELNS1_3gpuE4ELNS1_3repE0EEENS1_30default_config_static_selectorELNS0_4arch9wavefront6targetE1EEEvT1_.kd
    .uniform_work_group_size: 1
    .uses_dynamic_stack: false
    .vgpr_count:     0
    .vgpr_spill_count: 0
    .wavefront_size: 64
  - .agpr_count:     0
    .args:
      - .offset:         0
        .size:           32
        .value_kind:     by_value
    .group_segment_fixed_size: 0
    .kernarg_segment_align: 8
    .kernarg_segment_size: 32
    .language:       OpenCL C
    .language_version:
      - 2
      - 0
    .max_flat_workgroup_size: 256
    .name:           _ZN7rocprim17ROCPRIM_400000_NS6detail17trampoline_kernelINS0_14default_configENS1_20scan_config_selectorIfEEZZNS1_9scan_implILNS1_25lookback_scan_determinismE0ELb1ELb1ES3_N6thrust23THRUST_200600_302600_NS6detail15normal_iteratorINS9_10device_ptrIfEEEENSB_INSC_IiEEEEfNS9_4plusIvEEfEEDaPvRmT3_T4_T5_mT6_P12ihipStream_tbENKUlT_T0_E_clISt17integral_constantIbLb1EESW_EEDaSR_SS_EUlSR_E0_NS1_11comp_targetILNS1_3genE9ELNS1_11target_archE1100ELNS1_3gpuE3ELNS1_3repE0EEENS1_30default_config_static_selectorELNS0_4arch9wavefront6targetE1EEEvT1_
    .private_segment_fixed_size: 0
    .sgpr_count:     4
    .sgpr_spill_count: 0
    .symbol:         _ZN7rocprim17ROCPRIM_400000_NS6detail17trampoline_kernelINS0_14default_configENS1_20scan_config_selectorIfEEZZNS1_9scan_implILNS1_25lookback_scan_determinismE0ELb1ELb1ES3_N6thrust23THRUST_200600_302600_NS6detail15normal_iteratorINS9_10device_ptrIfEEEENSB_INSC_IiEEEEfNS9_4plusIvEEfEEDaPvRmT3_T4_T5_mT6_P12ihipStream_tbENKUlT_T0_E_clISt17integral_constantIbLb1EESW_EEDaSR_SS_EUlSR_E0_NS1_11comp_targetILNS1_3genE9ELNS1_11target_archE1100ELNS1_3gpuE3ELNS1_3repE0EEENS1_30default_config_static_selectorELNS0_4arch9wavefront6targetE1EEEvT1_.kd
    .uniform_work_group_size: 1
    .uses_dynamic_stack: false
    .vgpr_count:     0
    .vgpr_spill_count: 0
    .wavefront_size: 64
  - .agpr_count:     0
    .args:
      - .offset:         0
        .size:           32
        .value_kind:     by_value
    .group_segment_fixed_size: 0
    .kernarg_segment_align: 8
    .kernarg_segment_size: 32
    .language:       OpenCL C
    .language_version:
      - 2
      - 0
    .max_flat_workgroup_size: 64
    .name:           _ZN7rocprim17ROCPRIM_400000_NS6detail17trampoline_kernelINS0_14default_configENS1_20scan_config_selectorIfEEZZNS1_9scan_implILNS1_25lookback_scan_determinismE0ELb1ELb1ES3_N6thrust23THRUST_200600_302600_NS6detail15normal_iteratorINS9_10device_ptrIfEEEENSB_INSC_IiEEEEfNS9_4plusIvEEfEEDaPvRmT3_T4_T5_mT6_P12ihipStream_tbENKUlT_T0_E_clISt17integral_constantIbLb1EESW_EEDaSR_SS_EUlSR_E0_NS1_11comp_targetILNS1_3genE8ELNS1_11target_archE1030ELNS1_3gpuE2ELNS1_3repE0EEENS1_30default_config_static_selectorELNS0_4arch9wavefront6targetE1EEEvT1_
    .private_segment_fixed_size: 0
    .sgpr_count:     4
    .sgpr_spill_count: 0
    .symbol:         _ZN7rocprim17ROCPRIM_400000_NS6detail17trampoline_kernelINS0_14default_configENS1_20scan_config_selectorIfEEZZNS1_9scan_implILNS1_25lookback_scan_determinismE0ELb1ELb1ES3_N6thrust23THRUST_200600_302600_NS6detail15normal_iteratorINS9_10device_ptrIfEEEENSB_INSC_IiEEEEfNS9_4plusIvEEfEEDaPvRmT3_T4_T5_mT6_P12ihipStream_tbENKUlT_T0_E_clISt17integral_constantIbLb1EESW_EEDaSR_SS_EUlSR_E0_NS1_11comp_targetILNS1_3genE8ELNS1_11target_archE1030ELNS1_3gpuE2ELNS1_3repE0EEENS1_30default_config_static_selectorELNS0_4arch9wavefront6targetE1EEEvT1_.kd
    .uniform_work_group_size: 1
    .uses_dynamic_stack: false
    .vgpr_count:     0
    .vgpr_spill_count: 0
    .wavefront_size: 64
  - .agpr_count:     0
    .args:
      - .offset:         0
        .size:           96
        .value_kind:     by_value
    .group_segment_fixed_size: 0
    .kernarg_segment_align: 8
    .kernarg_segment_size: 96
    .language:       OpenCL C
    .language_version:
      - 2
      - 0
    .max_flat_workgroup_size: 256
    .name:           _ZN7rocprim17ROCPRIM_400000_NS6detail17trampoline_kernelINS0_14default_configENS1_20scan_config_selectorIfEEZZNS1_9scan_implILNS1_25lookback_scan_determinismE0ELb1ELb1ES3_N6thrust23THRUST_200600_302600_NS6detail15normal_iteratorINS9_10device_ptrIfEEEENSB_INSC_IiEEEEfNS9_4plusIvEEfEEDaPvRmT3_T4_T5_mT6_P12ihipStream_tbENKUlT_T0_E_clISt17integral_constantIbLb1EESV_IbLb0EEEEDaSR_SS_EUlSR_E_NS1_11comp_targetILNS1_3genE0ELNS1_11target_archE4294967295ELNS1_3gpuE0ELNS1_3repE0EEENS1_30default_config_static_selectorELNS0_4arch9wavefront6targetE1EEEvT1_
    .private_segment_fixed_size: 0
    .sgpr_count:     4
    .sgpr_spill_count: 0
    .symbol:         _ZN7rocprim17ROCPRIM_400000_NS6detail17trampoline_kernelINS0_14default_configENS1_20scan_config_selectorIfEEZZNS1_9scan_implILNS1_25lookback_scan_determinismE0ELb1ELb1ES3_N6thrust23THRUST_200600_302600_NS6detail15normal_iteratorINS9_10device_ptrIfEEEENSB_INSC_IiEEEEfNS9_4plusIvEEfEEDaPvRmT3_T4_T5_mT6_P12ihipStream_tbENKUlT_T0_E_clISt17integral_constantIbLb1EESV_IbLb0EEEEDaSR_SS_EUlSR_E_NS1_11comp_targetILNS1_3genE0ELNS1_11target_archE4294967295ELNS1_3gpuE0ELNS1_3repE0EEENS1_30default_config_static_selectorELNS0_4arch9wavefront6targetE1EEEvT1_.kd
    .uniform_work_group_size: 1
    .uses_dynamic_stack: false
    .vgpr_count:     0
    .vgpr_spill_count: 0
    .wavefront_size: 64
  - .agpr_count:     0
    .args:
      - .offset:         0
        .size:           96
        .value_kind:     by_value
    .group_segment_fixed_size: 0
    .kernarg_segment_align: 8
    .kernarg_segment_size: 96
    .language:       OpenCL C
    .language_version:
      - 2
      - 0
    .max_flat_workgroup_size: 256
    .name:           _ZN7rocprim17ROCPRIM_400000_NS6detail17trampoline_kernelINS0_14default_configENS1_20scan_config_selectorIfEEZZNS1_9scan_implILNS1_25lookback_scan_determinismE0ELb1ELb1ES3_N6thrust23THRUST_200600_302600_NS6detail15normal_iteratorINS9_10device_ptrIfEEEENSB_INSC_IiEEEEfNS9_4plusIvEEfEEDaPvRmT3_T4_T5_mT6_P12ihipStream_tbENKUlT_T0_E_clISt17integral_constantIbLb1EESV_IbLb0EEEEDaSR_SS_EUlSR_E_NS1_11comp_targetILNS1_3genE5ELNS1_11target_archE942ELNS1_3gpuE9ELNS1_3repE0EEENS1_30default_config_static_selectorELNS0_4arch9wavefront6targetE1EEEvT1_
    .private_segment_fixed_size: 0
    .sgpr_count:     4
    .sgpr_spill_count: 0
    .symbol:         _ZN7rocprim17ROCPRIM_400000_NS6detail17trampoline_kernelINS0_14default_configENS1_20scan_config_selectorIfEEZZNS1_9scan_implILNS1_25lookback_scan_determinismE0ELb1ELb1ES3_N6thrust23THRUST_200600_302600_NS6detail15normal_iteratorINS9_10device_ptrIfEEEENSB_INSC_IiEEEEfNS9_4plusIvEEfEEDaPvRmT3_T4_T5_mT6_P12ihipStream_tbENKUlT_T0_E_clISt17integral_constantIbLb1EESV_IbLb0EEEEDaSR_SS_EUlSR_E_NS1_11comp_targetILNS1_3genE5ELNS1_11target_archE942ELNS1_3gpuE9ELNS1_3repE0EEENS1_30default_config_static_selectorELNS0_4arch9wavefront6targetE1EEEvT1_.kd
    .uniform_work_group_size: 1
    .uses_dynamic_stack: false
    .vgpr_count:     0
    .vgpr_spill_count: 0
    .wavefront_size: 64
  - .agpr_count:     0
    .args:
      - .offset:         0
        .size:           96
        .value_kind:     by_value
    .group_segment_fixed_size: 7168
    .kernarg_segment_align: 8
    .kernarg_segment_size: 96
    .language:       OpenCL C
    .language_version:
      - 2
      - 0
    .max_flat_workgroup_size: 128
    .name:           _ZN7rocprim17ROCPRIM_400000_NS6detail17trampoline_kernelINS0_14default_configENS1_20scan_config_selectorIfEEZZNS1_9scan_implILNS1_25lookback_scan_determinismE0ELb1ELb1ES3_N6thrust23THRUST_200600_302600_NS6detail15normal_iteratorINS9_10device_ptrIfEEEENSB_INSC_IiEEEEfNS9_4plusIvEEfEEDaPvRmT3_T4_T5_mT6_P12ihipStream_tbENKUlT_T0_E_clISt17integral_constantIbLb1EESV_IbLb0EEEEDaSR_SS_EUlSR_E_NS1_11comp_targetILNS1_3genE4ELNS1_11target_archE910ELNS1_3gpuE8ELNS1_3repE0EEENS1_30default_config_static_selectorELNS0_4arch9wavefront6targetE1EEEvT1_
    .private_segment_fixed_size: 0
    .sgpr_count:     35
    .sgpr_spill_count: 0
    .symbol:         _ZN7rocprim17ROCPRIM_400000_NS6detail17trampoline_kernelINS0_14default_configENS1_20scan_config_selectorIfEEZZNS1_9scan_implILNS1_25lookback_scan_determinismE0ELb1ELb1ES3_N6thrust23THRUST_200600_302600_NS6detail15normal_iteratorINS9_10device_ptrIfEEEENSB_INSC_IiEEEEfNS9_4plusIvEEfEEDaPvRmT3_T4_T5_mT6_P12ihipStream_tbENKUlT_T0_E_clISt17integral_constantIbLb1EESV_IbLb0EEEEDaSR_SS_EUlSR_E_NS1_11comp_targetILNS1_3genE4ELNS1_11target_archE910ELNS1_3gpuE8ELNS1_3repE0EEENS1_30default_config_static_selectorELNS0_4arch9wavefront6targetE1EEEvT1_.kd
    .uniform_work_group_size: 1
    .uses_dynamic_stack: false
    .vgpr_count:     49
    .vgpr_spill_count: 0
    .wavefront_size: 64
  - .agpr_count:     0
    .args:
      - .offset:         0
        .size:           96
        .value_kind:     by_value
    .group_segment_fixed_size: 0
    .kernarg_segment_align: 8
    .kernarg_segment_size: 96
    .language:       OpenCL C
    .language_version:
      - 2
      - 0
    .max_flat_workgroup_size: 256
    .name:           _ZN7rocprim17ROCPRIM_400000_NS6detail17trampoline_kernelINS0_14default_configENS1_20scan_config_selectorIfEEZZNS1_9scan_implILNS1_25lookback_scan_determinismE0ELb1ELb1ES3_N6thrust23THRUST_200600_302600_NS6detail15normal_iteratorINS9_10device_ptrIfEEEENSB_INSC_IiEEEEfNS9_4plusIvEEfEEDaPvRmT3_T4_T5_mT6_P12ihipStream_tbENKUlT_T0_E_clISt17integral_constantIbLb1EESV_IbLb0EEEEDaSR_SS_EUlSR_E_NS1_11comp_targetILNS1_3genE3ELNS1_11target_archE908ELNS1_3gpuE7ELNS1_3repE0EEENS1_30default_config_static_selectorELNS0_4arch9wavefront6targetE1EEEvT1_
    .private_segment_fixed_size: 0
    .sgpr_count:     4
    .sgpr_spill_count: 0
    .symbol:         _ZN7rocprim17ROCPRIM_400000_NS6detail17trampoline_kernelINS0_14default_configENS1_20scan_config_selectorIfEEZZNS1_9scan_implILNS1_25lookback_scan_determinismE0ELb1ELb1ES3_N6thrust23THRUST_200600_302600_NS6detail15normal_iteratorINS9_10device_ptrIfEEEENSB_INSC_IiEEEEfNS9_4plusIvEEfEEDaPvRmT3_T4_T5_mT6_P12ihipStream_tbENKUlT_T0_E_clISt17integral_constantIbLb1EESV_IbLb0EEEEDaSR_SS_EUlSR_E_NS1_11comp_targetILNS1_3genE3ELNS1_11target_archE908ELNS1_3gpuE7ELNS1_3repE0EEENS1_30default_config_static_selectorELNS0_4arch9wavefront6targetE1EEEvT1_.kd
    .uniform_work_group_size: 1
    .uses_dynamic_stack: false
    .vgpr_count:     0
    .vgpr_spill_count: 0
    .wavefront_size: 64
  - .agpr_count:     0
    .args:
      - .offset:         0
        .size:           96
        .value_kind:     by_value
    .group_segment_fixed_size: 0
    .kernarg_segment_align: 8
    .kernarg_segment_size: 96
    .language:       OpenCL C
    .language_version:
      - 2
      - 0
    .max_flat_workgroup_size: 256
    .name:           _ZN7rocprim17ROCPRIM_400000_NS6detail17trampoline_kernelINS0_14default_configENS1_20scan_config_selectorIfEEZZNS1_9scan_implILNS1_25lookback_scan_determinismE0ELb1ELb1ES3_N6thrust23THRUST_200600_302600_NS6detail15normal_iteratorINS9_10device_ptrIfEEEENSB_INSC_IiEEEEfNS9_4plusIvEEfEEDaPvRmT3_T4_T5_mT6_P12ihipStream_tbENKUlT_T0_E_clISt17integral_constantIbLb1EESV_IbLb0EEEEDaSR_SS_EUlSR_E_NS1_11comp_targetILNS1_3genE2ELNS1_11target_archE906ELNS1_3gpuE6ELNS1_3repE0EEENS1_30default_config_static_selectorELNS0_4arch9wavefront6targetE1EEEvT1_
    .private_segment_fixed_size: 0
    .sgpr_count:     4
    .sgpr_spill_count: 0
    .symbol:         _ZN7rocprim17ROCPRIM_400000_NS6detail17trampoline_kernelINS0_14default_configENS1_20scan_config_selectorIfEEZZNS1_9scan_implILNS1_25lookback_scan_determinismE0ELb1ELb1ES3_N6thrust23THRUST_200600_302600_NS6detail15normal_iteratorINS9_10device_ptrIfEEEENSB_INSC_IiEEEEfNS9_4plusIvEEfEEDaPvRmT3_T4_T5_mT6_P12ihipStream_tbENKUlT_T0_E_clISt17integral_constantIbLb1EESV_IbLb0EEEEDaSR_SS_EUlSR_E_NS1_11comp_targetILNS1_3genE2ELNS1_11target_archE906ELNS1_3gpuE6ELNS1_3repE0EEENS1_30default_config_static_selectorELNS0_4arch9wavefront6targetE1EEEvT1_.kd
    .uniform_work_group_size: 1
    .uses_dynamic_stack: false
    .vgpr_count:     0
    .vgpr_spill_count: 0
    .wavefront_size: 64
  - .agpr_count:     0
    .args:
      - .offset:         0
        .size:           96
        .value_kind:     by_value
    .group_segment_fixed_size: 0
    .kernarg_segment_align: 8
    .kernarg_segment_size: 96
    .language:       OpenCL C
    .language_version:
      - 2
      - 0
    .max_flat_workgroup_size: 256
    .name:           _ZN7rocprim17ROCPRIM_400000_NS6detail17trampoline_kernelINS0_14default_configENS1_20scan_config_selectorIfEEZZNS1_9scan_implILNS1_25lookback_scan_determinismE0ELb1ELb1ES3_N6thrust23THRUST_200600_302600_NS6detail15normal_iteratorINS9_10device_ptrIfEEEENSB_INSC_IiEEEEfNS9_4plusIvEEfEEDaPvRmT3_T4_T5_mT6_P12ihipStream_tbENKUlT_T0_E_clISt17integral_constantIbLb1EESV_IbLb0EEEEDaSR_SS_EUlSR_E_NS1_11comp_targetILNS1_3genE10ELNS1_11target_archE1201ELNS1_3gpuE5ELNS1_3repE0EEENS1_30default_config_static_selectorELNS0_4arch9wavefront6targetE1EEEvT1_
    .private_segment_fixed_size: 0
    .sgpr_count:     4
    .sgpr_spill_count: 0
    .symbol:         _ZN7rocprim17ROCPRIM_400000_NS6detail17trampoline_kernelINS0_14default_configENS1_20scan_config_selectorIfEEZZNS1_9scan_implILNS1_25lookback_scan_determinismE0ELb1ELb1ES3_N6thrust23THRUST_200600_302600_NS6detail15normal_iteratorINS9_10device_ptrIfEEEENSB_INSC_IiEEEEfNS9_4plusIvEEfEEDaPvRmT3_T4_T5_mT6_P12ihipStream_tbENKUlT_T0_E_clISt17integral_constantIbLb1EESV_IbLb0EEEEDaSR_SS_EUlSR_E_NS1_11comp_targetILNS1_3genE10ELNS1_11target_archE1201ELNS1_3gpuE5ELNS1_3repE0EEENS1_30default_config_static_selectorELNS0_4arch9wavefront6targetE1EEEvT1_.kd
    .uniform_work_group_size: 1
    .uses_dynamic_stack: false
    .vgpr_count:     0
    .vgpr_spill_count: 0
    .wavefront_size: 64
  - .agpr_count:     0
    .args:
      - .offset:         0
        .size:           96
        .value_kind:     by_value
    .group_segment_fixed_size: 0
    .kernarg_segment_align: 8
    .kernarg_segment_size: 96
    .language:       OpenCL C
    .language_version:
      - 2
      - 0
    .max_flat_workgroup_size: 256
    .name:           _ZN7rocprim17ROCPRIM_400000_NS6detail17trampoline_kernelINS0_14default_configENS1_20scan_config_selectorIfEEZZNS1_9scan_implILNS1_25lookback_scan_determinismE0ELb1ELb1ES3_N6thrust23THRUST_200600_302600_NS6detail15normal_iteratorINS9_10device_ptrIfEEEENSB_INSC_IiEEEEfNS9_4plusIvEEfEEDaPvRmT3_T4_T5_mT6_P12ihipStream_tbENKUlT_T0_E_clISt17integral_constantIbLb1EESV_IbLb0EEEEDaSR_SS_EUlSR_E_NS1_11comp_targetILNS1_3genE10ELNS1_11target_archE1200ELNS1_3gpuE4ELNS1_3repE0EEENS1_30default_config_static_selectorELNS0_4arch9wavefront6targetE1EEEvT1_
    .private_segment_fixed_size: 0
    .sgpr_count:     4
    .sgpr_spill_count: 0
    .symbol:         _ZN7rocprim17ROCPRIM_400000_NS6detail17trampoline_kernelINS0_14default_configENS1_20scan_config_selectorIfEEZZNS1_9scan_implILNS1_25lookback_scan_determinismE0ELb1ELb1ES3_N6thrust23THRUST_200600_302600_NS6detail15normal_iteratorINS9_10device_ptrIfEEEENSB_INSC_IiEEEEfNS9_4plusIvEEfEEDaPvRmT3_T4_T5_mT6_P12ihipStream_tbENKUlT_T0_E_clISt17integral_constantIbLb1EESV_IbLb0EEEEDaSR_SS_EUlSR_E_NS1_11comp_targetILNS1_3genE10ELNS1_11target_archE1200ELNS1_3gpuE4ELNS1_3repE0EEENS1_30default_config_static_selectorELNS0_4arch9wavefront6targetE1EEEvT1_.kd
    .uniform_work_group_size: 1
    .uses_dynamic_stack: false
    .vgpr_count:     0
    .vgpr_spill_count: 0
    .wavefront_size: 64
  - .agpr_count:     0
    .args:
      - .offset:         0
        .size:           96
        .value_kind:     by_value
    .group_segment_fixed_size: 0
    .kernarg_segment_align: 8
    .kernarg_segment_size: 96
    .language:       OpenCL C
    .language_version:
      - 2
      - 0
    .max_flat_workgroup_size: 256
    .name:           _ZN7rocprim17ROCPRIM_400000_NS6detail17trampoline_kernelINS0_14default_configENS1_20scan_config_selectorIfEEZZNS1_9scan_implILNS1_25lookback_scan_determinismE0ELb1ELb1ES3_N6thrust23THRUST_200600_302600_NS6detail15normal_iteratorINS9_10device_ptrIfEEEENSB_INSC_IiEEEEfNS9_4plusIvEEfEEDaPvRmT3_T4_T5_mT6_P12ihipStream_tbENKUlT_T0_E_clISt17integral_constantIbLb1EESV_IbLb0EEEEDaSR_SS_EUlSR_E_NS1_11comp_targetILNS1_3genE9ELNS1_11target_archE1100ELNS1_3gpuE3ELNS1_3repE0EEENS1_30default_config_static_selectorELNS0_4arch9wavefront6targetE1EEEvT1_
    .private_segment_fixed_size: 0
    .sgpr_count:     4
    .sgpr_spill_count: 0
    .symbol:         _ZN7rocprim17ROCPRIM_400000_NS6detail17trampoline_kernelINS0_14default_configENS1_20scan_config_selectorIfEEZZNS1_9scan_implILNS1_25lookback_scan_determinismE0ELb1ELb1ES3_N6thrust23THRUST_200600_302600_NS6detail15normal_iteratorINS9_10device_ptrIfEEEENSB_INSC_IiEEEEfNS9_4plusIvEEfEEDaPvRmT3_T4_T5_mT6_P12ihipStream_tbENKUlT_T0_E_clISt17integral_constantIbLb1EESV_IbLb0EEEEDaSR_SS_EUlSR_E_NS1_11comp_targetILNS1_3genE9ELNS1_11target_archE1100ELNS1_3gpuE3ELNS1_3repE0EEENS1_30default_config_static_selectorELNS0_4arch9wavefront6targetE1EEEvT1_.kd
    .uniform_work_group_size: 1
    .uses_dynamic_stack: false
    .vgpr_count:     0
    .vgpr_spill_count: 0
    .wavefront_size: 64
  - .agpr_count:     0
    .args:
      - .offset:         0
        .size:           96
        .value_kind:     by_value
    .group_segment_fixed_size: 0
    .kernarg_segment_align: 8
    .kernarg_segment_size: 96
    .language:       OpenCL C
    .language_version:
      - 2
      - 0
    .max_flat_workgroup_size: 64
    .name:           _ZN7rocprim17ROCPRIM_400000_NS6detail17trampoline_kernelINS0_14default_configENS1_20scan_config_selectorIfEEZZNS1_9scan_implILNS1_25lookback_scan_determinismE0ELb1ELb1ES3_N6thrust23THRUST_200600_302600_NS6detail15normal_iteratorINS9_10device_ptrIfEEEENSB_INSC_IiEEEEfNS9_4plusIvEEfEEDaPvRmT3_T4_T5_mT6_P12ihipStream_tbENKUlT_T0_E_clISt17integral_constantIbLb1EESV_IbLb0EEEEDaSR_SS_EUlSR_E_NS1_11comp_targetILNS1_3genE8ELNS1_11target_archE1030ELNS1_3gpuE2ELNS1_3repE0EEENS1_30default_config_static_selectorELNS0_4arch9wavefront6targetE1EEEvT1_
    .private_segment_fixed_size: 0
    .sgpr_count:     4
    .sgpr_spill_count: 0
    .symbol:         _ZN7rocprim17ROCPRIM_400000_NS6detail17trampoline_kernelINS0_14default_configENS1_20scan_config_selectorIfEEZZNS1_9scan_implILNS1_25lookback_scan_determinismE0ELb1ELb1ES3_N6thrust23THRUST_200600_302600_NS6detail15normal_iteratorINS9_10device_ptrIfEEEENSB_INSC_IiEEEEfNS9_4plusIvEEfEEDaPvRmT3_T4_T5_mT6_P12ihipStream_tbENKUlT_T0_E_clISt17integral_constantIbLb1EESV_IbLb0EEEEDaSR_SS_EUlSR_E_NS1_11comp_targetILNS1_3genE8ELNS1_11target_archE1030ELNS1_3gpuE2ELNS1_3repE0EEENS1_30default_config_static_selectorELNS0_4arch9wavefront6targetE1EEEvT1_.kd
    .uniform_work_group_size: 1
    .uses_dynamic_stack: false
    .vgpr_count:     0
    .vgpr_spill_count: 0
    .wavefront_size: 64
  - .agpr_count:     0
    .args:
      - .offset:         0
        .size:           32
        .value_kind:     by_value
    .group_segment_fixed_size: 0
    .kernarg_segment_align: 8
    .kernarg_segment_size: 32
    .language:       OpenCL C
    .language_version:
      - 2
      - 0
    .max_flat_workgroup_size: 256
    .name:           _ZN7rocprim17ROCPRIM_400000_NS6detail17trampoline_kernelINS0_14default_configENS1_20scan_config_selectorIfEEZZNS1_9scan_implILNS1_25lookback_scan_determinismE0ELb1ELb1ES3_N6thrust23THRUST_200600_302600_NS6detail15normal_iteratorINS9_10device_ptrIfEEEENSB_INSC_IiEEEEfNS9_4plusIvEEfEEDaPvRmT3_T4_T5_mT6_P12ihipStream_tbENKUlT_T0_E_clISt17integral_constantIbLb1EESV_IbLb0EEEEDaSR_SS_EUlSR_E0_NS1_11comp_targetILNS1_3genE0ELNS1_11target_archE4294967295ELNS1_3gpuE0ELNS1_3repE0EEENS1_30default_config_static_selectorELNS0_4arch9wavefront6targetE1EEEvT1_
    .private_segment_fixed_size: 0
    .sgpr_count:     4
    .sgpr_spill_count: 0
    .symbol:         _ZN7rocprim17ROCPRIM_400000_NS6detail17trampoline_kernelINS0_14default_configENS1_20scan_config_selectorIfEEZZNS1_9scan_implILNS1_25lookback_scan_determinismE0ELb1ELb1ES3_N6thrust23THRUST_200600_302600_NS6detail15normal_iteratorINS9_10device_ptrIfEEEENSB_INSC_IiEEEEfNS9_4plusIvEEfEEDaPvRmT3_T4_T5_mT6_P12ihipStream_tbENKUlT_T0_E_clISt17integral_constantIbLb1EESV_IbLb0EEEEDaSR_SS_EUlSR_E0_NS1_11comp_targetILNS1_3genE0ELNS1_11target_archE4294967295ELNS1_3gpuE0ELNS1_3repE0EEENS1_30default_config_static_selectorELNS0_4arch9wavefront6targetE1EEEvT1_.kd
    .uniform_work_group_size: 1
    .uses_dynamic_stack: false
    .vgpr_count:     0
    .vgpr_spill_count: 0
    .wavefront_size: 64
  - .agpr_count:     0
    .args:
      - .offset:         0
        .size:           32
        .value_kind:     by_value
    .group_segment_fixed_size: 0
    .kernarg_segment_align: 8
    .kernarg_segment_size: 32
    .language:       OpenCL C
    .language_version:
      - 2
      - 0
    .max_flat_workgroup_size: 256
    .name:           _ZN7rocprim17ROCPRIM_400000_NS6detail17trampoline_kernelINS0_14default_configENS1_20scan_config_selectorIfEEZZNS1_9scan_implILNS1_25lookback_scan_determinismE0ELb1ELb1ES3_N6thrust23THRUST_200600_302600_NS6detail15normal_iteratorINS9_10device_ptrIfEEEENSB_INSC_IiEEEEfNS9_4plusIvEEfEEDaPvRmT3_T4_T5_mT6_P12ihipStream_tbENKUlT_T0_E_clISt17integral_constantIbLb1EESV_IbLb0EEEEDaSR_SS_EUlSR_E0_NS1_11comp_targetILNS1_3genE5ELNS1_11target_archE942ELNS1_3gpuE9ELNS1_3repE0EEENS1_30default_config_static_selectorELNS0_4arch9wavefront6targetE1EEEvT1_
    .private_segment_fixed_size: 0
    .sgpr_count:     4
    .sgpr_spill_count: 0
    .symbol:         _ZN7rocprim17ROCPRIM_400000_NS6detail17trampoline_kernelINS0_14default_configENS1_20scan_config_selectorIfEEZZNS1_9scan_implILNS1_25lookback_scan_determinismE0ELb1ELb1ES3_N6thrust23THRUST_200600_302600_NS6detail15normal_iteratorINS9_10device_ptrIfEEEENSB_INSC_IiEEEEfNS9_4plusIvEEfEEDaPvRmT3_T4_T5_mT6_P12ihipStream_tbENKUlT_T0_E_clISt17integral_constantIbLb1EESV_IbLb0EEEEDaSR_SS_EUlSR_E0_NS1_11comp_targetILNS1_3genE5ELNS1_11target_archE942ELNS1_3gpuE9ELNS1_3repE0EEENS1_30default_config_static_selectorELNS0_4arch9wavefront6targetE1EEEvT1_.kd
    .uniform_work_group_size: 1
    .uses_dynamic_stack: false
    .vgpr_count:     0
    .vgpr_spill_count: 0
    .wavefront_size: 64
  - .agpr_count:     0
    .args:
      - .offset:         0
        .size:           32
        .value_kind:     by_value
    .group_segment_fixed_size: 7168
    .kernarg_segment_align: 8
    .kernarg_segment_size: 32
    .language:       OpenCL C
    .language_version:
      - 2
      - 0
    .max_flat_workgroup_size: 128
    .name:           _ZN7rocprim17ROCPRIM_400000_NS6detail17trampoline_kernelINS0_14default_configENS1_20scan_config_selectorIfEEZZNS1_9scan_implILNS1_25lookback_scan_determinismE0ELb1ELb1ES3_N6thrust23THRUST_200600_302600_NS6detail15normal_iteratorINS9_10device_ptrIfEEEENSB_INSC_IiEEEEfNS9_4plusIvEEfEEDaPvRmT3_T4_T5_mT6_P12ihipStream_tbENKUlT_T0_E_clISt17integral_constantIbLb1EESV_IbLb0EEEEDaSR_SS_EUlSR_E0_NS1_11comp_targetILNS1_3genE4ELNS1_11target_archE910ELNS1_3gpuE8ELNS1_3repE0EEENS1_30default_config_static_selectorELNS0_4arch9wavefront6targetE1EEEvT1_
    .private_segment_fixed_size: 0
    .sgpr_count:     42
    .sgpr_spill_count: 0
    .symbol:         _ZN7rocprim17ROCPRIM_400000_NS6detail17trampoline_kernelINS0_14default_configENS1_20scan_config_selectorIfEEZZNS1_9scan_implILNS1_25lookback_scan_determinismE0ELb1ELb1ES3_N6thrust23THRUST_200600_302600_NS6detail15normal_iteratorINS9_10device_ptrIfEEEENSB_INSC_IiEEEEfNS9_4plusIvEEfEEDaPvRmT3_T4_T5_mT6_P12ihipStream_tbENKUlT_T0_E_clISt17integral_constantIbLb1EESV_IbLb0EEEEDaSR_SS_EUlSR_E0_NS1_11comp_targetILNS1_3genE4ELNS1_11target_archE910ELNS1_3gpuE8ELNS1_3repE0EEENS1_30default_config_static_selectorELNS0_4arch9wavefront6targetE1EEEvT1_.kd
    .uniform_work_group_size: 1
    .uses_dynamic_stack: false
    .vgpr_count:     24
    .vgpr_spill_count: 0
    .wavefront_size: 64
  - .agpr_count:     0
    .args:
      - .offset:         0
        .size:           32
        .value_kind:     by_value
    .group_segment_fixed_size: 0
    .kernarg_segment_align: 8
    .kernarg_segment_size: 32
    .language:       OpenCL C
    .language_version:
      - 2
      - 0
    .max_flat_workgroup_size: 256
    .name:           _ZN7rocprim17ROCPRIM_400000_NS6detail17trampoline_kernelINS0_14default_configENS1_20scan_config_selectorIfEEZZNS1_9scan_implILNS1_25lookback_scan_determinismE0ELb1ELb1ES3_N6thrust23THRUST_200600_302600_NS6detail15normal_iteratorINS9_10device_ptrIfEEEENSB_INSC_IiEEEEfNS9_4plusIvEEfEEDaPvRmT3_T4_T5_mT6_P12ihipStream_tbENKUlT_T0_E_clISt17integral_constantIbLb1EESV_IbLb0EEEEDaSR_SS_EUlSR_E0_NS1_11comp_targetILNS1_3genE3ELNS1_11target_archE908ELNS1_3gpuE7ELNS1_3repE0EEENS1_30default_config_static_selectorELNS0_4arch9wavefront6targetE1EEEvT1_
    .private_segment_fixed_size: 0
    .sgpr_count:     4
    .sgpr_spill_count: 0
    .symbol:         _ZN7rocprim17ROCPRIM_400000_NS6detail17trampoline_kernelINS0_14default_configENS1_20scan_config_selectorIfEEZZNS1_9scan_implILNS1_25lookback_scan_determinismE0ELb1ELb1ES3_N6thrust23THRUST_200600_302600_NS6detail15normal_iteratorINS9_10device_ptrIfEEEENSB_INSC_IiEEEEfNS9_4plusIvEEfEEDaPvRmT3_T4_T5_mT6_P12ihipStream_tbENKUlT_T0_E_clISt17integral_constantIbLb1EESV_IbLb0EEEEDaSR_SS_EUlSR_E0_NS1_11comp_targetILNS1_3genE3ELNS1_11target_archE908ELNS1_3gpuE7ELNS1_3repE0EEENS1_30default_config_static_selectorELNS0_4arch9wavefront6targetE1EEEvT1_.kd
    .uniform_work_group_size: 1
    .uses_dynamic_stack: false
    .vgpr_count:     0
    .vgpr_spill_count: 0
    .wavefront_size: 64
  - .agpr_count:     0
    .args:
      - .offset:         0
        .size:           32
        .value_kind:     by_value
    .group_segment_fixed_size: 0
    .kernarg_segment_align: 8
    .kernarg_segment_size: 32
    .language:       OpenCL C
    .language_version:
      - 2
      - 0
    .max_flat_workgroup_size: 256
    .name:           _ZN7rocprim17ROCPRIM_400000_NS6detail17trampoline_kernelINS0_14default_configENS1_20scan_config_selectorIfEEZZNS1_9scan_implILNS1_25lookback_scan_determinismE0ELb1ELb1ES3_N6thrust23THRUST_200600_302600_NS6detail15normal_iteratorINS9_10device_ptrIfEEEENSB_INSC_IiEEEEfNS9_4plusIvEEfEEDaPvRmT3_T4_T5_mT6_P12ihipStream_tbENKUlT_T0_E_clISt17integral_constantIbLb1EESV_IbLb0EEEEDaSR_SS_EUlSR_E0_NS1_11comp_targetILNS1_3genE2ELNS1_11target_archE906ELNS1_3gpuE6ELNS1_3repE0EEENS1_30default_config_static_selectorELNS0_4arch9wavefront6targetE1EEEvT1_
    .private_segment_fixed_size: 0
    .sgpr_count:     4
    .sgpr_spill_count: 0
    .symbol:         _ZN7rocprim17ROCPRIM_400000_NS6detail17trampoline_kernelINS0_14default_configENS1_20scan_config_selectorIfEEZZNS1_9scan_implILNS1_25lookback_scan_determinismE0ELb1ELb1ES3_N6thrust23THRUST_200600_302600_NS6detail15normal_iteratorINS9_10device_ptrIfEEEENSB_INSC_IiEEEEfNS9_4plusIvEEfEEDaPvRmT3_T4_T5_mT6_P12ihipStream_tbENKUlT_T0_E_clISt17integral_constantIbLb1EESV_IbLb0EEEEDaSR_SS_EUlSR_E0_NS1_11comp_targetILNS1_3genE2ELNS1_11target_archE906ELNS1_3gpuE6ELNS1_3repE0EEENS1_30default_config_static_selectorELNS0_4arch9wavefront6targetE1EEEvT1_.kd
    .uniform_work_group_size: 1
    .uses_dynamic_stack: false
    .vgpr_count:     0
    .vgpr_spill_count: 0
    .wavefront_size: 64
  - .agpr_count:     0
    .args:
      - .offset:         0
        .size:           32
        .value_kind:     by_value
    .group_segment_fixed_size: 0
    .kernarg_segment_align: 8
    .kernarg_segment_size: 32
    .language:       OpenCL C
    .language_version:
      - 2
      - 0
    .max_flat_workgroup_size: 256
    .name:           _ZN7rocprim17ROCPRIM_400000_NS6detail17trampoline_kernelINS0_14default_configENS1_20scan_config_selectorIfEEZZNS1_9scan_implILNS1_25lookback_scan_determinismE0ELb1ELb1ES3_N6thrust23THRUST_200600_302600_NS6detail15normal_iteratorINS9_10device_ptrIfEEEENSB_INSC_IiEEEEfNS9_4plusIvEEfEEDaPvRmT3_T4_T5_mT6_P12ihipStream_tbENKUlT_T0_E_clISt17integral_constantIbLb1EESV_IbLb0EEEEDaSR_SS_EUlSR_E0_NS1_11comp_targetILNS1_3genE10ELNS1_11target_archE1201ELNS1_3gpuE5ELNS1_3repE0EEENS1_30default_config_static_selectorELNS0_4arch9wavefront6targetE1EEEvT1_
    .private_segment_fixed_size: 0
    .sgpr_count:     4
    .sgpr_spill_count: 0
    .symbol:         _ZN7rocprim17ROCPRIM_400000_NS6detail17trampoline_kernelINS0_14default_configENS1_20scan_config_selectorIfEEZZNS1_9scan_implILNS1_25lookback_scan_determinismE0ELb1ELb1ES3_N6thrust23THRUST_200600_302600_NS6detail15normal_iteratorINS9_10device_ptrIfEEEENSB_INSC_IiEEEEfNS9_4plusIvEEfEEDaPvRmT3_T4_T5_mT6_P12ihipStream_tbENKUlT_T0_E_clISt17integral_constantIbLb1EESV_IbLb0EEEEDaSR_SS_EUlSR_E0_NS1_11comp_targetILNS1_3genE10ELNS1_11target_archE1201ELNS1_3gpuE5ELNS1_3repE0EEENS1_30default_config_static_selectorELNS0_4arch9wavefront6targetE1EEEvT1_.kd
    .uniform_work_group_size: 1
    .uses_dynamic_stack: false
    .vgpr_count:     0
    .vgpr_spill_count: 0
    .wavefront_size: 64
  - .agpr_count:     0
    .args:
      - .offset:         0
        .size:           32
        .value_kind:     by_value
    .group_segment_fixed_size: 0
    .kernarg_segment_align: 8
    .kernarg_segment_size: 32
    .language:       OpenCL C
    .language_version:
      - 2
      - 0
    .max_flat_workgroup_size: 256
    .name:           _ZN7rocprim17ROCPRIM_400000_NS6detail17trampoline_kernelINS0_14default_configENS1_20scan_config_selectorIfEEZZNS1_9scan_implILNS1_25lookback_scan_determinismE0ELb1ELb1ES3_N6thrust23THRUST_200600_302600_NS6detail15normal_iteratorINS9_10device_ptrIfEEEENSB_INSC_IiEEEEfNS9_4plusIvEEfEEDaPvRmT3_T4_T5_mT6_P12ihipStream_tbENKUlT_T0_E_clISt17integral_constantIbLb1EESV_IbLb0EEEEDaSR_SS_EUlSR_E0_NS1_11comp_targetILNS1_3genE10ELNS1_11target_archE1200ELNS1_3gpuE4ELNS1_3repE0EEENS1_30default_config_static_selectorELNS0_4arch9wavefront6targetE1EEEvT1_
    .private_segment_fixed_size: 0
    .sgpr_count:     4
    .sgpr_spill_count: 0
    .symbol:         _ZN7rocprim17ROCPRIM_400000_NS6detail17trampoline_kernelINS0_14default_configENS1_20scan_config_selectorIfEEZZNS1_9scan_implILNS1_25lookback_scan_determinismE0ELb1ELb1ES3_N6thrust23THRUST_200600_302600_NS6detail15normal_iteratorINS9_10device_ptrIfEEEENSB_INSC_IiEEEEfNS9_4plusIvEEfEEDaPvRmT3_T4_T5_mT6_P12ihipStream_tbENKUlT_T0_E_clISt17integral_constantIbLb1EESV_IbLb0EEEEDaSR_SS_EUlSR_E0_NS1_11comp_targetILNS1_3genE10ELNS1_11target_archE1200ELNS1_3gpuE4ELNS1_3repE0EEENS1_30default_config_static_selectorELNS0_4arch9wavefront6targetE1EEEvT1_.kd
    .uniform_work_group_size: 1
    .uses_dynamic_stack: false
    .vgpr_count:     0
    .vgpr_spill_count: 0
    .wavefront_size: 64
  - .agpr_count:     0
    .args:
      - .offset:         0
        .size:           32
        .value_kind:     by_value
    .group_segment_fixed_size: 0
    .kernarg_segment_align: 8
    .kernarg_segment_size: 32
    .language:       OpenCL C
    .language_version:
      - 2
      - 0
    .max_flat_workgroup_size: 256
    .name:           _ZN7rocprim17ROCPRIM_400000_NS6detail17trampoline_kernelINS0_14default_configENS1_20scan_config_selectorIfEEZZNS1_9scan_implILNS1_25lookback_scan_determinismE0ELb1ELb1ES3_N6thrust23THRUST_200600_302600_NS6detail15normal_iteratorINS9_10device_ptrIfEEEENSB_INSC_IiEEEEfNS9_4plusIvEEfEEDaPvRmT3_T4_T5_mT6_P12ihipStream_tbENKUlT_T0_E_clISt17integral_constantIbLb1EESV_IbLb0EEEEDaSR_SS_EUlSR_E0_NS1_11comp_targetILNS1_3genE9ELNS1_11target_archE1100ELNS1_3gpuE3ELNS1_3repE0EEENS1_30default_config_static_selectorELNS0_4arch9wavefront6targetE1EEEvT1_
    .private_segment_fixed_size: 0
    .sgpr_count:     4
    .sgpr_spill_count: 0
    .symbol:         _ZN7rocprim17ROCPRIM_400000_NS6detail17trampoline_kernelINS0_14default_configENS1_20scan_config_selectorIfEEZZNS1_9scan_implILNS1_25lookback_scan_determinismE0ELb1ELb1ES3_N6thrust23THRUST_200600_302600_NS6detail15normal_iteratorINS9_10device_ptrIfEEEENSB_INSC_IiEEEEfNS9_4plusIvEEfEEDaPvRmT3_T4_T5_mT6_P12ihipStream_tbENKUlT_T0_E_clISt17integral_constantIbLb1EESV_IbLb0EEEEDaSR_SS_EUlSR_E0_NS1_11comp_targetILNS1_3genE9ELNS1_11target_archE1100ELNS1_3gpuE3ELNS1_3repE0EEENS1_30default_config_static_selectorELNS0_4arch9wavefront6targetE1EEEvT1_.kd
    .uniform_work_group_size: 1
    .uses_dynamic_stack: false
    .vgpr_count:     0
    .vgpr_spill_count: 0
    .wavefront_size: 64
  - .agpr_count:     0
    .args:
      - .offset:         0
        .size:           32
        .value_kind:     by_value
    .group_segment_fixed_size: 0
    .kernarg_segment_align: 8
    .kernarg_segment_size: 32
    .language:       OpenCL C
    .language_version:
      - 2
      - 0
    .max_flat_workgroup_size: 64
    .name:           _ZN7rocprim17ROCPRIM_400000_NS6detail17trampoline_kernelINS0_14default_configENS1_20scan_config_selectorIfEEZZNS1_9scan_implILNS1_25lookback_scan_determinismE0ELb1ELb1ES3_N6thrust23THRUST_200600_302600_NS6detail15normal_iteratorINS9_10device_ptrIfEEEENSB_INSC_IiEEEEfNS9_4plusIvEEfEEDaPvRmT3_T4_T5_mT6_P12ihipStream_tbENKUlT_T0_E_clISt17integral_constantIbLb1EESV_IbLb0EEEEDaSR_SS_EUlSR_E0_NS1_11comp_targetILNS1_3genE8ELNS1_11target_archE1030ELNS1_3gpuE2ELNS1_3repE0EEENS1_30default_config_static_selectorELNS0_4arch9wavefront6targetE1EEEvT1_
    .private_segment_fixed_size: 0
    .sgpr_count:     4
    .sgpr_spill_count: 0
    .symbol:         _ZN7rocprim17ROCPRIM_400000_NS6detail17trampoline_kernelINS0_14default_configENS1_20scan_config_selectorIfEEZZNS1_9scan_implILNS1_25lookback_scan_determinismE0ELb1ELb1ES3_N6thrust23THRUST_200600_302600_NS6detail15normal_iteratorINS9_10device_ptrIfEEEENSB_INSC_IiEEEEfNS9_4plusIvEEfEEDaPvRmT3_T4_T5_mT6_P12ihipStream_tbENKUlT_T0_E_clISt17integral_constantIbLb1EESV_IbLb0EEEEDaSR_SS_EUlSR_E0_NS1_11comp_targetILNS1_3genE8ELNS1_11target_archE1030ELNS1_3gpuE2ELNS1_3repE0EEENS1_30default_config_static_selectorELNS0_4arch9wavefront6targetE1EEEvT1_.kd
    .uniform_work_group_size: 1
    .uses_dynamic_stack: false
    .vgpr_count:     0
    .vgpr_spill_count: 0
    .wavefront_size: 64
  - .agpr_count:     0
    .args:
      - .offset:         0
        .size:           96
        .value_kind:     by_value
    .group_segment_fixed_size: 0
    .kernarg_segment_align: 8
    .kernarg_segment_size: 96
    .language:       OpenCL C
    .language_version:
      - 2
      - 0
    .max_flat_workgroup_size: 256
    .name:           _ZN7rocprim17ROCPRIM_400000_NS6detail17trampoline_kernelINS0_14default_configENS1_20scan_config_selectorIfEEZZNS1_9scan_implILNS1_25lookback_scan_determinismE0ELb1ELb1ES3_N6thrust23THRUST_200600_302600_NS6detail15normal_iteratorINS9_10device_ptrIfEEEENSB_INSC_IiEEEEfNS9_4plusIvEEfEEDaPvRmT3_T4_T5_mT6_P12ihipStream_tbENKUlT_T0_E_clISt17integral_constantIbLb0EESV_IbLb1EEEEDaSR_SS_EUlSR_E_NS1_11comp_targetILNS1_3genE0ELNS1_11target_archE4294967295ELNS1_3gpuE0ELNS1_3repE0EEENS1_30default_config_static_selectorELNS0_4arch9wavefront6targetE1EEEvT1_
    .private_segment_fixed_size: 0
    .sgpr_count:     4
    .sgpr_spill_count: 0
    .symbol:         _ZN7rocprim17ROCPRIM_400000_NS6detail17trampoline_kernelINS0_14default_configENS1_20scan_config_selectorIfEEZZNS1_9scan_implILNS1_25lookback_scan_determinismE0ELb1ELb1ES3_N6thrust23THRUST_200600_302600_NS6detail15normal_iteratorINS9_10device_ptrIfEEEENSB_INSC_IiEEEEfNS9_4plusIvEEfEEDaPvRmT3_T4_T5_mT6_P12ihipStream_tbENKUlT_T0_E_clISt17integral_constantIbLb0EESV_IbLb1EEEEDaSR_SS_EUlSR_E_NS1_11comp_targetILNS1_3genE0ELNS1_11target_archE4294967295ELNS1_3gpuE0ELNS1_3repE0EEENS1_30default_config_static_selectorELNS0_4arch9wavefront6targetE1EEEvT1_.kd
    .uniform_work_group_size: 1
    .uses_dynamic_stack: false
    .vgpr_count:     0
    .vgpr_spill_count: 0
    .wavefront_size: 64
  - .agpr_count:     0
    .args:
      - .offset:         0
        .size:           96
        .value_kind:     by_value
    .group_segment_fixed_size: 0
    .kernarg_segment_align: 8
    .kernarg_segment_size: 96
    .language:       OpenCL C
    .language_version:
      - 2
      - 0
    .max_flat_workgroup_size: 256
    .name:           _ZN7rocprim17ROCPRIM_400000_NS6detail17trampoline_kernelINS0_14default_configENS1_20scan_config_selectorIfEEZZNS1_9scan_implILNS1_25lookback_scan_determinismE0ELb1ELb1ES3_N6thrust23THRUST_200600_302600_NS6detail15normal_iteratorINS9_10device_ptrIfEEEENSB_INSC_IiEEEEfNS9_4plusIvEEfEEDaPvRmT3_T4_T5_mT6_P12ihipStream_tbENKUlT_T0_E_clISt17integral_constantIbLb0EESV_IbLb1EEEEDaSR_SS_EUlSR_E_NS1_11comp_targetILNS1_3genE5ELNS1_11target_archE942ELNS1_3gpuE9ELNS1_3repE0EEENS1_30default_config_static_selectorELNS0_4arch9wavefront6targetE1EEEvT1_
    .private_segment_fixed_size: 0
    .sgpr_count:     4
    .sgpr_spill_count: 0
    .symbol:         _ZN7rocprim17ROCPRIM_400000_NS6detail17trampoline_kernelINS0_14default_configENS1_20scan_config_selectorIfEEZZNS1_9scan_implILNS1_25lookback_scan_determinismE0ELb1ELb1ES3_N6thrust23THRUST_200600_302600_NS6detail15normal_iteratorINS9_10device_ptrIfEEEENSB_INSC_IiEEEEfNS9_4plusIvEEfEEDaPvRmT3_T4_T5_mT6_P12ihipStream_tbENKUlT_T0_E_clISt17integral_constantIbLb0EESV_IbLb1EEEEDaSR_SS_EUlSR_E_NS1_11comp_targetILNS1_3genE5ELNS1_11target_archE942ELNS1_3gpuE9ELNS1_3repE0EEENS1_30default_config_static_selectorELNS0_4arch9wavefront6targetE1EEEvT1_.kd
    .uniform_work_group_size: 1
    .uses_dynamic_stack: false
    .vgpr_count:     0
    .vgpr_spill_count: 0
    .wavefront_size: 64
  - .agpr_count:     0
    .args:
      - .offset:         0
        .size:           96
        .value_kind:     by_value
    .group_segment_fixed_size: 7168
    .kernarg_segment_align: 8
    .kernarg_segment_size: 96
    .language:       OpenCL C
    .language_version:
      - 2
      - 0
    .max_flat_workgroup_size: 128
    .name:           _ZN7rocprim17ROCPRIM_400000_NS6detail17trampoline_kernelINS0_14default_configENS1_20scan_config_selectorIfEEZZNS1_9scan_implILNS1_25lookback_scan_determinismE0ELb1ELb1ES3_N6thrust23THRUST_200600_302600_NS6detail15normal_iteratorINS9_10device_ptrIfEEEENSB_INSC_IiEEEEfNS9_4plusIvEEfEEDaPvRmT3_T4_T5_mT6_P12ihipStream_tbENKUlT_T0_E_clISt17integral_constantIbLb0EESV_IbLb1EEEEDaSR_SS_EUlSR_E_NS1_11comp_targetILNS1_3genE4ELNS1_11target_archE910ELNS1_3gpuE8ELNS1_3repE0EEENS1_30default_config_static_selectorELNS0_4arch9wavefront6targetE1EEEvT1_
    .private_segment_fixed_size: 0
    .sgpr_count:     45
    .sgpr_spill_count: 0
    .symbol:         _ZN7rocprim17ROCPRIM_400000_NS6detail17trampoline_kernelINS0_14default_configENS1_20scan_config_selectorIfEEZZNS1_9scan_implILNS1_25lookback_scan_determinismE0ELb1ELb1ES3_N6thrust23THRUST_200600_302600_NS6detail15normal_iteratorINS9_10device_ptrIfEEEENSB_INSC_IiEEEEfNS9_4plusIvEEfEEDaPvRmT3_T4_T5_mT6_P12ihipStream_tbENKUlT_T0_E_clISt17integral_constantIbLb0EESV_IbLb1EEEEDaSR_SS_EUlSR_E_NS1_11comp_targetILNS1_3genE4ELNS1_11target_archE910ELNS1_3gpuE8ELNS1_3repE0EEENS1_30default_config_static_selectorELNS0_4arch9wavefront6targetE1EEEvT1_.kd
    .uniform_work_group_size: 1
    .uses_dynamic_stack: false
    .vgpr_count:     49
    .vgpr_spill_count: 0
    .wavefront_size: 64
  - .agpr_count:     0
    .args:
      - .offset:         0
        .size:           96
        .value_kind:     by_value
    .group_segment_fixed_size: 0
    .kernarg_segment_align: 8
    .kernarg_segment_size: 96
    .language:       OpenCL C
    .language_version:
      - 2
      - 0
    .max_flat_workgroup_size: 256
    .name:           _ZN7rocprim17ROCPRIM_400000_NS6detail17trampoline_kernelINS0_14default_configENS1_20scan_config_selectorIfEEZZNS1_9scan_implILNS1_25lookback_scan_determinismE0ELb1ELb1ES3_N6thrust23THRUST_200600_302600_NS6detail15normal_iteratorINS9_10device_ptrIfEEEENSB_INSC_IiEEEEfNS9_4plusIvEEfEEDaPvRmT3_T4_T5_mT6_P12ihipStream_tbENKUlT_T0_E_clISt17integral_constantIbLb0EESV_IbLb1EEEEDaSR_SS_EUlSR_E_NS1_11comp_targetILNS1_3genE3ELNS1_11target_archE908ELNS1_3gpuE7ELNS1_3repE0EEENS1_30default_config_static_selectorELNS0_4arch9wavefront6targetE1EEEvT1_
    .private_segment_fixed_size: 0
    .sgpr_count:     4
    .sgpr_spill_count: 0
    .symbol:         _ZN7rocprim17ROCPRIM_400000_NS6detail17trampoline_kernelINS0_14default_configENS1_20scan_config_selectorIfEEZZNS1_9scan_implILNS1_25lookback_scan_determinismE0ELb1ELb1ES3_N6thrust23THRUST_200600_302600_NS6detail15normal_iteratorINS9_10device_ptrIfEEEENSB_INSC_IiEEEEfNS9_4plusIvEEfEEDaPvRmT3_T4_T5_mT6_P12ihipStream_tbENKUlT_T0_E_clISt17integral_constantIbLb0EESV_IbLb1EEEEDaSR_SS_EUlSR_E_NS1_11comp_targetILNS1_3genE3ELNS1_11target_archE908ELNS1_3gpuE7ELNS1_3repE0EEENS1_30default_config_static_selectorELNS0_4arch9wavefront6targetE1EEEvT1_.kd
    .uniform_work_group_size: 1
    .uses_dynamic_stack: false
    .vgpr_count:     0
    .vgpr_spill_count: 0
    .wavefront_size: 64
  - .agpr_count:     0
    .args:
      - .offset:         0
        .size:           96
        .value_kind:     by_value
    .group_segment_fixed_size: 0
    .kernarg_segment_align: 8
    .kernarg_segment_size: 96
    .language:       OpenCL C
    .language_version:
      - 2
      - 0
    .max_flat_workgroup_size: 256
    .name:           _ZN7rocprim17ROCPRIM_400000_NS6detail17trampoline_kernelINS0_14default_configENS1_20scan_config_selectorIfEEZZNS1_9scan_implILNS1_25lookback_scan_determinismE0ELb1ELb1ES3_N6thrust23THRUST_200600_302600_NS6detail15normal_iteratorINS9_10device_ptrIfEEEENSB_INSC_IiEEEEfNS9_4plusIvEEfEEDaPvRmT3_T4_T5_mT6_P12ihipStream_tbENKUlT_T0_E_clISt17integral_constantIbLb0EESV_IbLb1EEEEDaSR_SS_EUlSR_E_NS1_11comp_targetILNS1_3genE2ELNS1_11target_archE906ELNS1_3gpuE6ELNS1_3repE0EEENS1_30default_config_static_selectorELNS0_4arch9wavefront6targetE1EEEvT1_
    .private_segment_fixed_size: 0
    .sgpr_count:     4
    .sgpr_spill_count: 0
    .symbol:         _ZN7rocprim17ROCPRIM_400000_NS6detail17trampoline_kernelINS0_14default_configENS1_20scan_config_selectorIfEEZZNS1_9scan_implILNS1_25lookback_scan_determinismE0ELb1ELb1ES3_N6thrust23THRUST_200600_302600_NS6detail15normal_iteratorINS9_10device_ptrIfEEEENSB_INSC_IiEEEEfNS9_4plusIvEEfEEDaPvRmT3_T4_T5_mT6_P12ihipStream_tbENKUlT_T0_E_clISt17integral_constantIbLb0EESV_IbLb1EEEEDaSR_SS_EUlSR_E_NS1_11comp_targetILNS1_3genE2ELNS1_11target_archE906ELNS1_3gpuE6ELNS1_3repE0EEENS1_30default_config_static_selectorELNS0_4arch9wavefront6targetE1EEEvT1_.kd
    .uniform_work_group_size: 1
    .uses_dynamic_stack: false
    .vgpr_count:     0
    .vgpr_spill_count: 0
    .wavefront_size: 64
  - .agpr_count:     0
    .args:
      - .offset:         0
        .size:           96
        .value_kind:     by_value
    .group_segment_fixed_size: 0
    .kernarg_segment_align: 8
    .kernarg_segment_size: 96
    .language:       OpenCL C
    .language_version:
      - 2
      - 0
    .max_flat_workgroup_size: 256
    .name:           _ZN7rocprim17ROCPRIM_400000_NS6detail17trampoline_kernelINS0_14default_configENS1_20scan_config_selectorIfEEZZNS1_9scan_implILNS1_25lookback_scan_determinismE0ELb1ELb1ES3_N6thrust23THRUST_200600_302600_NS6detail15normal_iteratorINS9_10device_ptrIfEEEENSB_INSC_IiEEEEfNS9_4plusIvEEfEEDaPvRmT3_T4_T5_mT6_P12ihipStream_tbENKUlT_T0_E_clISt17integral_constantIbLb0EESV_IbLb1EEEEDaSR_SS_EUlSR_E_NS1_11comp_targetILNS1_3genE10ELNS1_11target_archE1201ELNS1_3gpuE5ELNS1_3repE0EEENS1_30default_config_static_selectorELNS0_4arch9wavefront6targetE1EEEvT1_
    .private_segment_fixed_size: 0
    .sgpr_count:     4
    .sgpr_spill_count: 0
    .symbol:         _ZN7rocprim17ROCPRIM_400000_NS6detail17trampoline_kernelINS0_14default_configENS1_20scan_config_selectorIfEEZZNS1_9scan_implILNS1_25lookback_scan_determinismE0ELb1ELb1ES3_N6thrust23THRUST_200600_302600_NS6detail15normal_iteratorINS9_10device_ptrIfEEEENSB_INSC_IiEEEEfNS9_4plusIvEEfEEDaPvRmT3_T4_T5_mT6_P12ihipStream_tbENKUlT_T0_E_clISt17integral_constantIbLb0EESV_IbLb1EEEEDaSR_SS_EUlSR_E_NS1_11comp_targetILNS1_3genE10ELNS1_11target_archE1201ELNS1_3gpuE5ELNS1_3repE0EEENS1_30default_config_static_selectorELNS0_4arch9wavefront6targetE1EEEvT1_.kd
    .uniform_work_group_size: 1
    .uses_dynamic_stack: false
    .vgpr_count:     0
    .vgpr_spill_count: 0
    .wavefront_size: 64
  - .agpr_count:     0
    .args:
      - .offset:         0
        .size:           96
        .value_kind:     by_value
    .group_segment_fixed_size: 0
    .kernarg_segment_align: 8
    .kernarg_segment_size: 96
    .language:       OpenCL C
    .language_version:
      - 2
      - 0
    .max_flat_workgroup_size: 256
    .name:           _ZN7rocprim17ROCPRIM_400000_NS6detail17trampoline_kernelINS0_14default_configENS1_20scan_config_selectorIfEEZZNS1_9scan_implILNS1_25lookback_scan_determinismE0ELb1ELb1ES3_N6thrust23THRUST_200600_302600_NS6detail15normal_iteratorINS9_10device_ptrIfEEEENSB_INSC_IiEEEEfNS9_4plusIvEEfEEDaPvRmT3_T4_T5_mT6_P12ihipStream_tbENKUlT_T0_E_clISt17integral_constantIbLb0EESV_IbLb1EEEEDaSR_SS_EUlSR_E_NS1_11comp_targetILNS1_3genE10ELNS1_11target_archE1200ELNS1_3gpuE4ELNS1_3repE0EEENS1_30default_config_static_selectorELNS0_4arch9wavefront6targetE1EEEvT1_
    .private_segment_fixed_size: 0
    .sgpr_count:     4
    .sgpr_spill_count: 0
    .symbol:         _ZN7rocprim17ROCPRIM_400000_NS6detail17trampoline_kernelINS0_14default_configENS1_20scan_config_selectorIfEEZZNS1_9scan_implILNS1_25lookback_scan_determinismE0ELb1ELb1ES3_N6thrust23THRUST_200600_302600_NS6detail15normal_iteratorINS9_10device_ptrIfEEEENSB_INSC_IiEEEEfNS9_4plusIvEEfEEDaPvRmT3_T4_T5_mT6_P12ihipStream_tbENKUlT_T0_E_clISt17integral_constantIbLb0EESV_IbLb1EEEEDaSR_SS_EUlSR_E_NS1_11comp_targetILNS1_3genE10ELNS1_11target_archE1200ELNS1_3gpuE4ELNS1_3repE0EEENS1_30default_config_static_selectorELNS0_4arch9wavefront6targetE1EEEvT1_.kd
    .uniform_work_group_size: 1
    .uses_dynamic_stack: false
    .vgpr_count:     0
    .vgpr_spill_count: 0
    .wavefront_size: 64
  - .agpr_count:     0
    .args:
      - .offset:         0
        .size:           96
        .value_kind:     by_value
    .group_segment_fixed_size: 0
    .kernarg_segment_align: 8
    .kernarg_segment_size: 96
    .language:       OpenCL C
    .language_version:
      - 2
      - 0
    .max_flat_workgroup_size: 256
    .name:           _ZN7rocprim17ROCPRIM_400000_NS6detail17trampoline_kernelINS0_14default_configENS1_20scan_config_selectorIfEEZZNS1_9scan_implILNS1_25lookback_scan_determinismE0ELb1ELb1ES3_N6thrust23THRUST_200600_302600_NS6detail15normal_iteratorINS9_10device_ptrIfEEEENSB_INSC_IiEEEEfNS9_4plusIvEEfEEDaPvRmT3_T4_T5_mT6_P12ihipStream_tbENKUlT_T0_E_clISt17integral_constantIbLb0EESV_IbLb1EEEEDaSR_SS_EUlSR_E_NS1_11comp_targetILNS1_3genE9ELNS1_11target_archE1100ELNS1_3gpuE3ELNS1_3repE0EEENS1_30default_config_static_selectorELNS0_4arch9wavefront6targetE1EEEvT1_
    .private_segment_fixed_size: 0
    .sgpr_count:     4
    .sgpr_spill_count: 0
    .symbol:         _ZN7rocprim17ROCPRIM_400000_NS6detail17trampoline_kernelINS0_14default_configENS1_20scan_config_selectorIfEEZZNS1_9scan_implILNS1_25lookback_scan_determinismE0ELb1ELb1ES3_N6thrust23THRUST_200600_302600_NS6detail15normal_iteratorINS9_10device_ptrIfEEEENSB_INSC_IiEEEEfNS9_4plusIvEEfEEDaPvRmT3_T4_T5_mT6_P12ihipStream_tbENKUlT_T0_E_clISt17integral_constantIbLb0EESV_IbLb1EEEEDaSR_SS_EUlSR_E_NS1_11comp_targetILNS1_3genE9ELNS1_11target_archE1100ELNS1_3gpuE3ELNS1_3repE0EEENS1_30default_config_static_selectorELNS0_4arch9wavefront6targetE1EEEvT1_.kd
    .uniform_work_group_size: 1
    .uses_dynamic_stack: false
    .vgpr_count:     0
    .vgpr_spill_count: 0
    .wavefront_size: 64
  - .agpr_count:     0
    .args:
      - .offset:         0
        .size:           96
        .value_kind:     by_value
    .group_segment_fixed_size: 0
    .kernarg_segment_align: 8
    .kernarg_segment_size: 96
    .language:       OpenCL C
    .language_version:
      - 2
      - 0
    .max_flat_workgroup_size: 64
    .name:           _ZN7rocprim17ROCPRIM_400000_NS6detail17trampoline_kernelINS0_14default_configENS1_20scan_config_selectorIfEEZZNS1_9scan_implILNS1_25lookback_scan_determinismE0ELb1ELb1ES3_N6thrust23THRUST_200600_302600_NS6detail15normal_iteratorINS9_10device_ptrIfEEEENSB_INSC_IiEEEEfNS9_4plusIvEEfEEDaPvRmT3_T4_T5_mT6_P12ihipStream_tbENKUlT_T0_E_clISt17integral_constantIbLb0EESV_IbLb1EEEEDaSR_SS_EUlSR_E_NS1_11comp_targetILNS1_3genE8ELNS1_11target_archE1030ELNS1_3gpuE2ELNS1_3repE0EEENS1_30default_config_static_selectorELNS0_4arch9wavefront6targetE1EEEvT1_
    .private_segment_fixed_size: 0
    .sgpr_count:     4
    .sgpr_spill_count: 0
    .symbol:         _ZN7rocprim17ROCPRIM_400000_NS6detail17trampoline_kernelINS0_14default_configENS1_20scan_config_selectorIfEEZZNS1_9scan_implILNS1_25lookback_scan_determinismE0ELb1ELb1ES3_N6thrust23THRUST_200600_302600_NS6detail15normal_iteratorINS9_10device_ptrIfEEEENSB_INSC_IiEEEEfNS9_4plusIvEEfEEDaPvRmT3_T4_T5_mT6_P12ihipStream_tbENKUlT_T0_E_clISt17integral_constantIbLb0EESV_IbLb1EEEEDaSR_SS_EUlSR_E_NS1_11comp_targetILNS1_3genE8ELNS1_11target_archE1030ELNS1_3gpuE2ELNS1_3repE0EEENS1_30default_config_static_selectorELNS0_4arch9wavefront6targetE1EEEvT1_.kd
    .uniform_work_group_size: 1
    .uses_dynamic_stack: false
    .vgpr_count:     0
    .vgpr_spill_count: 0
    .wavefront_size: 64
  - .agpr_count:     0
    .args:
      - .offset:         0
        .size:           32
        .value_kind:     by_value
    .group_segment_fixed_size: 0
    .kernarg_segment_align: 8
    .kernarg_segment_size: 32
    .language:       OpenCL C
    .language_version:
      - 2
      - 0
    .max_flat_workgroup_size: 256
    .name:           _ZN7rocprim17ROCPRIM_400000_NS6detail17trampoline_kernelINS0_14default_configENS1_20scan_config_selectorIfEEZZNS1_9scan_implILNS1_25lookback_scan_determinismE0ELb1ELb1ES3_N6thrust23THRUST_200600_302600_NS6detail15normal_iteratorINS9_10device_ptrIfEEEENSB_INSC_IiEEEEfNS9_4plusIvEEfEEDaPvRmT3_T4_T5_mT6_P12ihipStream_tbENKUlT_T0_E_clISt17integral_constantIbLb0EESV_IbLb1EEEEDaSR_SS_EUlSR_E0_NS1_11comp_targetILNS1_3genE0ELNS1_11target_archE4294967295ELNS1_3gpuE0ELNS1_3repE0EEENS1_30default_config_static_selectorELNS0_4arch9wavefront6targetE1EEEvT1_
    .private_segment_fixed_size: 0
    .sgpr_count:     4
    .sgpr_spill_count: 0
    .symbol:         _ZN7rocprim17ROCPRIM_400000_NS6detail17trampoline_kernelINS0_14default_configENS1_20scan_config_selectorIfEEZZNS1_9scan_implILNS1_25lookback_scan_determinismE0ELb1ELb1ES3_N6thrust23THRUST_200600_302600_NS6detail15normal_iteratorINS9_10device_ptrIfEEEENSB_INSC_IiEEEEfNS9_4plusIvEEfEEDaPvRmT3_T4_T5_mT6_P12ihipStream_tbENKUlT_T0_E_clISt17integral_constantIbLb0EESV_IbLb1EEEEDaSR_SS_EUlSR_E0_NS1_11comp_targetILNS1_3genE0ELNS1_11target_archE4294967295ELNS1_3gpuE0ELNS1_3repE0EEENS1_30default_config_static_selectorELNS0_4arch9wavefront6targetE1EEEvT1_.kd
    .uniform_work_group_size: 1
    .uses_dynamic_stack: false
    .vgpr_count:     0
    .vgpr_spill_count: 0
    .wavefront_size: 64
  - .agpr_count:     0
    .args:
      - .offset:         0
        .size:           32
        .value_kind:     by_value
    .group_segment_fixed_size: 0
    .kernarg_segment_align: 8
    .kernarg_segment_size: 32
    .language:       OpenCL C
    .language_version:
      - 2
      - 0
    .max_flat_workgroup_size: 256
    .name:           _ZN7rocprim17ROCPRIM_400000_NS6detail17trampoline_kernelINS0_14default_configENS1_20scan_config_selectorIfEEZZNS1_9scan_implILNS1_25lookback_scan_determinismE0ELb1ELb1ES3_N6thrust23THRUST_200600_302600_NS6detail15normal_iteratorINS9_10device_ptrIfEEEENSB_INSC_IiEEEEfNS9_4plusIvEEfEEDaPvRmT3_T4_T5_mT6_P12ihipStream_tbENKUlT_T0_E_clISt17integral_constantIbLb0EESV_IbLb1EEEEDaSR_SS_EUlSR_E0_NS1_11comp_targetILNS1_3genE5ELNS1_11target_archE942ELNS1_3gpuE9ELNS1_3repE0EEENS1_30default_config_static_selectorELNS0_4arch9wavefront6targetE1EEEvT1_
    .private_segment_fixed_size: 0
    .sgpr_count:     4
    .sgpr_spill_count: 0
    .symbol:         _ZN7rocprim17ROCPRIM_400000_NS6detail17trampoline_kernelINS0_14default_configENS1_20scan_config_selectorIfEEZZNS1_9scan_implILNS1_25lookback_scan_determinismE0ELb1ELb1ES3_N6thrust23THRUST_200600_302600_NS6detail15normal_iteratorINS9_10device_ptrIfEEEENSB_INSC_IiEEEEfNS9_4plusIvEEfEEDaPvRmT3_T4_T5_mT6_P12ihipStream_tbENKUlT_T0_E_clISt17integral_constantIbLb0EESV_IbLb1EEEEDaSR_SS_EUlSR_E0_NS1_11comp_targetILNS1_3genE5ELNS1_11target_archE942ELNS1_3gpuE9ELNS1_3repE0EEENS1_30default_config_static_selectorELNS0_4arch9wavefront6targetE1EEEvT1_.kd
    .uniform_work_group_size: 1
    .uses_dynamic_stack: false
    .vgpr_count:     0
    .vgpr_spill_count: 0
    .wavefront_size: 64
  - .agpr_count:     0
    .args:
      - .offset:         0
        .size:           32
        .value_kind:     by_value
    .group_segment_fixed_size: 7168
    .kernarg_segment_align: 8
    .kernarg_segment_size: 32
    .language:       OpenCL C
    .language_version:
      - 2
      - 0
    .max_flat_workgroup_size: 128
    .name:           _ZN7rocprim17ROCPRIM_400000_NS6detail17trampoline_kernelINS0_14default_configENS1_20scan_config_selectorIfEEZZNS1_9scan_implILNS1_25lookback_scan_determinismE0ELb1ELb1ES3_N6thrust23THRUST_200600_302600_NS6detail15normal_iteratorINS9_10device_ptrIfEEEENSB_INSC_IiEEEEfNS9_4plusIvEEfEEDaPvRmT3_T4_T5_mT6_P12ihipStream_tbENKUlT_T0_E_clISt17integral_constantIbLb0EESV_IbLb1EEEEDaSR_SS_EUlSR_E0_NS1_11comp_targetILNS1_3genE4ELNS1_11target_archE910ELNS1_3gpuE8ELNS1_3repE0EEENS1_30default_config_static_selectorELNS0_4arch9wavefront6targetE1EEEvT1_
    .private_segment_fixed_size: 0
    .sgpr_count:     42
    .sgpr_spill_count: 0
    .symbol:         _ZN7rocprim17ROCPRIM_400000_NS6detail17trampoline_kernelINS0_14default_configENS1_20scan_config_selectorIfEEZZNS1_9scan_implILNS1_25lookback_scan_determinismE0ELb1ELb1ES3_N6thrust23THRUST_200600_302600_NS6detail15normal_iteratorINS9_10device_ptrIfEEEENSB_INSC_IiEEEEfNS9_4plusIvEEfEEDaPvRmT3_T4_T5_mT6_P12ihipStream_tbENKUlT_T0_E_clISt17integral_constantIbLb0EESV_IbLb1EEEEDaSR_SS_EUlSR_E0_NS1_11comp_targetILNS1_3genE4ELNS1_11target_archE910ELNS1_3gpuE8ELNS1_3repE0EEENS1_30default_config_static_selectorELNS0_4arch9wavefront6targetE1EEEvT1_.kd
    .uniform_work_group_size: 1
    .uses_dynamic_stack: false
    .vgpr_count:     24
    .vgpr_spill_count: 0
    .wavefront_size: 64
  - .agpr_count:     0
    .args:
      - .offset:         0
        .size:           32
        .value_kind:     by_value
    .group_segment_fixed_size: 0
    .kernarg_segment_align: 8
    .kernarg_segment_size: 32
    .language:       OpenCL C
    .language_version:
      - 2
      - 0
    .max_flat_workgroup_size: 256
    .name:           _ZN7rocprim17ROCPRIM_400000_NS6detail17trampoline_kernelINS0_14default_configENS1_20scan_config_selectorIfEEZZNS1_9scan_implILNS1_25lookback_scan_determinismE0ELb1ELb1ES3_N6thrust23THRUST_200600_302600_NS6detail15normal_iteratorINS9_10device_ptrIfEEEENSB_INSC_IiEEEEfNS9_4plusIvEEfEEDaPvRmT3_T4_T5_mT6_P12ihipStream_tbENKUlT_T0_E_clISt17integral_constantIbLb0EESV_IbLb1EEEEDaSR_SS_EUlSR_E0_NS1_11comp_targetILNS1_3genE3ELNS1_11target_archE908ELNS1_3gpuE7ELNS1_3repE0EEENS1_30default_config_static_selectorELNS0_4arch9wavefront6targetE1EEEvT1_
    .private_segment_fixed_size: 0
    .sgpr_count:     4
    .sgpr_spill_count: 0
    .symbol:         _ZN7rocprim17ROCPRIM_400000_NS6detail17trampoline_kernelINS0_14default_configENS1_20scan_config_selectorIfEEZZNS1_9scan_implILNS1_25lookback_scan_determinismE0ELb1ELb1ES3_N6thrust23THRUST_200600_302600_NS6detail15normal_iteratorINS9_10device_ptrIfEEEENSB_INSC_IiEEEEfNS9_4plusIvEEfEEDaPvRmT3_T4_T5_mT6_P12ihipStream_tbENKUlT_T0_E_clISt17integral_constantIbLb0EESV_IbLb1EEEEDaSR_SS_EUlSR_E0_NS1_11comp_targetILNS1_3genE3ELNS1_11target_archE908ELNS1_3gpuE7ELNS1_3repE0EEENS1_30default_config_static_selectorELNS0_4arch9wavefront6targetE1EEEvT1_.kd
    .uniform_work_group_size: 1
    .uses_dynamic_stack: false
    .vgpr_count:     0
    .vgpr_spill_count: 0
    .wavefront_size: 64
  - .agpr_count:     0
    .args:
      - .offset:         0
        .size:           32
        .value_kind:     by_value
    .group_segment_fixed_size: 0
    .kernarg_segment_align: 8
    .kernarg_segment_size: 32
    .language:       OpenCL C
    .language_version:
      - 2
      - 0
    .max_flat_workgroup_size: 256
    .name:           _ZN7rocprim17ROCPRIM_400000_NS6detail17trampoline_kernelINS0_14default_configENS1_20scan_config_selectorIfEEZZNS1_9scan_implILNS1_25lookback_scan_determinismE0ELb1ELb1ES3_N6thrust23THRUST_200600_302600_NS6detail15normal_iteratorINS9_10device_ptrIfEEEENSB_INSC_IiEEEEfNS9_4plusIvEEfEEDaPvRmT3_T4_T5_mT6_P12ihipStream_tbENKUlT_T0_E_clISt17integral_constantIbLb0EESV_IbLb1EEEEDaSR_SS_EUlSR_E0_NS1_11comp_targetILNS1_3genE2ELNS1_11target_archE906ELNS1_3gpuE6ELNS1_3repE0EEENS1_30default_config_static_selectorELNS0_4arch9wavefront6targetE1EEEvT1_
    .private_segment_fixed_size: 0
    .sgpr_count:     4
    .sgpr_spill_count: 0
    .symbol:         _ZN7rocprim17ROCPRIM_400000_NS6detail17trampoline_kernelINS0_14default_configENS1_20scan_config_selectorIfEEZZNS1_9scan_implILNS1_25lookback_scan_determinismE0ELb1ELb1ES3_N6thrust23THRUST_200600_302600_NS6detail15normal_iteratorINS9_10device_ptrIfEEEENSB_INSC_IiEEEEfNS9_4plusIvEEfEEDaPvRmT3_T4_T5_mT6_P12ihipStream_tbENKUlT_T0_E_clISt17integral_constantIbLb0EESV_IbLb1EEEEDaSR_SS_EUlSR_E0_NS1_11comp_targetILNS1_3genE2ELNS1_11target_archE906ELNS1_3gpuE6ELNS1_3repE0EEENS1_30default_config_static_selectorELNS0_4arch9wavefront6targetE1EEEvT1_.kd
    .uniform_work_group_size: 1
    .uses_dynamic_stack: false
    .vgpr_count:     0
    .vgpr_spill_count: 0
    .wavefront_size: 64
  - .agpr_count:     0
    .args:
      - .offset:         0
        .size:           32
        .value_kind:     by_value
    .group_segment_fixed_size: 0
    .kernarg_segment_align: 8
    .kernarg_segment_size: 32
    .language:       OpenCL C
    .language_version:
      - 2
      - 0
    .max_flat_workgroup_size: 256
    .name:           _ZN7rocprim17ROCPRIM_400000_NS6detail17trampoline_kernelINS0_14default_configENS1_20scan_config_selectorIfEEZZNS1_9scan_implILNS1_25lookback_scan_determinismE0ELb1ELb1ES3_N6thrust23THRUST_200600_302600_NS6detail15normal_iteratorINS9_10device_ptrIfEEEENSB_INSC_IiEEEEfNS9_4plusIvEEfEEDaPvRmT3_T4_T5_mT6_P12ihipStream_tbENKUlT_T0_E_clISt17integral_constantIbLb0EESV_IbLb1EEEEDaSR_SS_EUlSR_E0_NS1_11comp_targetILNS1_3genE10ELNS1_11target_archE1201ELNS1_3gpuE5ELNS1_3repE0EEENS1_30default_config_static_selectorELNS0_4arch9wavefront6targetE1EEEvT1_
    .private_segment_fixed_size: 0
    .sgpr_count:     4
    .sgpr_spill_count: 0
    .symbol:         _ZN7rocprim17ROCPRIM_400000_NS6detail17trampoline_kernelINS0_14default_configENS1_20scan_config_selectorIfEEZZNS1_9scan_implILNS1_25lookback_scan_determinismE0ELb1ELb1ES3_N6thrust23THRUST_200600_302600_NS6detail15normal_iteratorINS9_10device_ptrIfEEEENSB_INSC_IiEEEEfNS9_4plusIvEEfEEDaPvRmT3_T4_T5_mT6_P12ihipStream_tbENKUlT_T0_E_clISt17integral_constantIbLb0EESV_IbLb1EEEEDaSR_SS_EUlSR_E0_NS1_11comp_targetILNS1_3genE10ELNS1_11target_archE1201ELNS1_3gpuE5ELNS1_3repE0EEENS1_30default_config_static_selectorELNS0_4arch9wavefront6targetE1EEEvT1_.kd
    .uniform_work_group_size: 1
    .uses_dynamic_stack: false
    .vgpr_count:     0
    .vgpr_spill_count: 0
    .wavefront_size: 64
  - .agpr_count:     0
    .args:
      - .offset:         0
        .size:           32
        .value_kind:     by_value
    .group_segment_fixed_size: 0
    .kernarg_segment_align: 8
    .kernarg_segment_size: 32
    .language:       OpenCL C
    .language_version:
      - 2
      - 0
    .max_flat_workgroup_size: 256
    .name:           _ZN7rocprim17ROCPRIM_400000_NS6detail17trampoline_kernelINS0_14default_configENS1_20scan_config_selectorIfEEZZNS1_9scan_implILNS1_25lookback_scan_determinismE0ELb1ELb1ES3_N6thrust23THRUST_200600_302600_NS6detail15normal_iteratorINS9_10device_ptrIfEEEENSB_INSC_IiEEEEfNS9_4plusIvEEfEEDaPvRmT3_T4_T5_mT6_P12ihipStream_tbENKUlT_T0_E_clISt17integral_constantIbLb0EESV_IbLb1EEEEDaSR_SS_EUlSR_E0_NS1_11comp_targetILNS1_3genE10ELNS1_11target_archE1200ELNS1_3gpuE4ELNS1_3repE0EEENS1_30default_config_static_selectorELNS0_4arch9wavefront6targetE1EEEvT1_
    .private_segment_fixed_size: 0
    .sgpr_count:     4
    .sgpr_spill_count: 0
    .symbol:         _ZN7rocprim17ROCPRIM_400000_NS6detail17trampoline_kernelINS0_14default_configENS1_20scan_config_selectorIfEEZZNS1_9scan_implILNS1_25lookback_scan_determinismE0ELb1ELb1ES3_N6thrust23THRUST_200600_302600_NS6detail15normal_iteratorINS9_10device_ptrIfEEEENSB_INSC_IiEEEEfNS9_4plusIvEEfEEDaPvRmT3_T4_T5_mT6_P12ihipStream_tbENKUlT_T0_E_clISt17integral_constantIbLb0EESV_IbLb1EEEEDaSR_SS_EUlSR_E0_NS1_11comp_targetILNS1_3genE10ELNS1_11target_archE1200ELNS1_3gpuE4ELNS1_3repE0EEENS1_30default_config_static_selectorELNS0_4arch9wavefront6targetE1EEEvT1_.kd
    .uniform_work_group_size: 1
    .uses_dynamic_stack: false
    .vgpr_count:     0
    .vgpr_spill_count: 0
    .wavefront_size: 64
  - .agpr_count:     0
    .args:
      - .offset:         0
        .size:           32
        .value_kind:     by_value
    .group_segment_fixed_size: 0
    .kernarg_segment_align: 8
    .kernarg_segment_size: 32
    .language:       OpenCL C
    .language_version:
      - 2
      - 0
    .max_flat_workgroup_size: 256
    .name:           _ZN7rocprim17ROCPRIM_400000_NS6detail17trampoline_kernelINS0_14default_configENS1_20scan_config_selectorIfEEZZNS1_9scan_implILNS1_25lookback_scan_determinismE0ELb1ELb1ES3_N6thrust23THRUST_200600_302600_NS6detail15normal_iteratorINS9_10device_ptrIfEEEENSB_INSC_IiEEEEfNS9_4plusIvEEfEEDaPvRmT3_T4_T5_mT6_P12ihipStream_tbENKUlT_T0_E_clISt17integral_constantIbLb0EESV_IbLb1EEEEDaSR_SS_EUlSR_E0_NS1_11comp_targetILNS1_3genE9ELNS1_11target_archE1100ELNS1_3gpuE3ELNS1_3repE0EEENS1_30default_config_static_selectorELNS0_4arch9wavefront6targetE1EEEvT1_
    .private_segment_fixed_size: 0
    .sgpr_count:     4
    .sgpr_spill_count: 0
    .symbol:         _ZN7rocprim17ROCPRIM_400000_NS6detail17trampoline_kernelINS0_14default_configENS1_20scan_config_selectorIfEEZZNS1_9scan_implILNS1_25lookback_scan_determinismE0ELb1ELb1ES3_N6thrust23THRUST_200600_302600_NS6detail15normal_iteratorINS9_10device_ptrIfEEEENSB_INSC_IiEEEEfNS9_4plusIvEEfEEDaPvRmT3_T4_T5_mT6_P12ihipStream_tbENKUlT_T0_E_clISt17integral_constantIbLb0EESV_IbLb1EEEEDaSR_SS_EUlSR_E0_NS1_11comp_targetILNS1_3genE9ELNS1_11target_archE1100ELNS1_3gpuE3ELNS1_3repE0EEENS1_30default_config_static_selectorELNS0_4arch9wavefront6targetE1EEEvT1_.kd
    .uniform_work_group_size: 1
    .uses_dynamic_stack: false
    .vgpr_count:     0
    .vgpr_spill_count: 0
    .wavefront_size: 64
  - .agpr_count:     0
    .args:
      - .offset:         0
        .size:           32
        .value_kind:     by_value
    .group_segment_fixed_size: 0
    .kernarg_segment_align: 8
    .kernarg_segment_size: 32
    .language:       OpenCL C
    .language_version:
      - 2
      - 0
    .max_flat_workgroup_size: 64
    .name:           _ZN7rocprim17ROCPRIM_400000_NS6detail17trampoline_kernelINS0_14default_configENS1_20scan_config_selectorIfEEZZNS1_9scan_implILNS1_25lookback_scan_determinismE0ELb1ELb1ES3_N6thrust23THRUST_200600_302600_NS6detail15normal_iteratorINS9_10device_ptrIfEEEENSB_INSC_IiEEEEfNS9_4plusIvEEfEEDaPvRmT3_T4_T5_mT6_P12ihipStream_tbENKUlT_T0_E_clISt17integral_constantIbLb0EESV_IbLb1EEEEDaSR_SS_EUlSR_E0_NS1_11comp_targetILNS1_3genE8ELNS1_11target_archE1030ELNS1_3gpuE2ELNS1_3repE0EEENS1_30default_config_static_selectorELNS0_4arch9wavefront6targetE1EEEvT1_
    .private_segment_fixed_size: 0
    .sgpr_count:     4
    .sgpr_spill_count: 0
    .symbol:         _ZN7rocprim17ROCPRIM_400000_NS6detail17trampoline_kernelINS0_14default_configENS1_20scan_config_selectorIfEEZZNS1_9scan_implILNS1_25lookback_scan_determinismE0ELb1ELb1ES3_N6thrust23THRUST_200600_302600_NS6detail15normal_iteratorINS9_10device_ptrIfEEEENSB_INSC_IiEEEEfNS9_4plusIvEEfEEDaPvRmT3_T4_T5_mT6_P12ihipStream_tbENKUlT_T0_E_clISt17integral_constantIbLb0EESV_IbLb1EEEEDaSR_SS_EUlSR_E0_NS1_11comp_targetILNS1_3genE8ELNS1_11target_archE1030ELNS1_3gpuE2ELNS1_3repE0EEENS1_30default_config_static_selectorELNS0_4arch9wavefront6targetE1EEEvT1_.kd
    .uniform_work_group_size: 1
    .uses_dynamic_stack: false
    .vgpr_count:     0
    .vgpr_spill_count: 0
    .wavefront_size: 64
  - .agpr_count:     0
    .args:
      - .offset:         0
        .size:           96
        .value_kind:     by_value
    .group_segment_fixed_size: 0
    .kernarg_segment_align: 8
    .kernarg_segment_size: 96
    .language:       OpenCL C
    .language_version:
      - 2
      - 0
    .max_flat_workgroup_size: 256
    .name:           _ZN7rocprim17ROCPRIM_400000_NS6detail17trampoline_kernelINS0_14default_configENS1_20scan_config_selectorIiEEZZNS1_9scan_implILNS1_25lookback_scan_determinismE0ELb0ELb0ES3_N6thrust23THRUST_200600_302600_NS6detail15normal_iteratorINS9_10device_ptrIiEEEENSB_INSC_IfEEEEiNS9_4plusIvEEiEEDaPvRmT3_T4_T5_mT6_P12ihipStream_tbENKUlT_T0_E_clISt17integral_constantIbLb0EESW_EEDaSR_SS_EUlSR_E_NS1_11comp_targetILNS1_3genE0ELNS1_11target_archE4294967295ELNS1_3gpuE0ELNS1_3repE0EEENS1_30default_config_static_selectorELNS0_4arch9wavefront6targetE1EEEvT1_
    .private_segment_fixed_size: 0
    .sgpr_count:     4
    .sgpr_spill_count: 0
    .symbol:         _ZN7rocprim17ROCPRIM_400000_NS6detail17trampoline_kernelINS0_14default_configENS1_20scan_config_selectorIiEEZZNS1_9scan_implILNS1_25lookback_scan_determinismE0ELb0ELb0ES3_N6thrust23THRUST_200600_302600_NS6detail15normal_iteratorINS9_10device_ptrIiEEEENSB_INSC_IfEEEEiNS9_4plusIvEEiEEDaPvRmT3_T4_T5_mT6_P12ihipStream_tbENKUlT_T0_E_clISt17integral_constantIbLb0EESW_EEDaSR_SS_EUlSR_E_NS1_11comp_targetILNS1_3genE0ELNS1_11target_archE4294967295ELNS1_3gpuE0ELNS1_3repE0EEENS1_30default_config_static_selectorELNS0_4arch9wavefront6targetE1EEEvT1_.kd
    .uniform_work_group_size: 1
    .uses_dynamic_stack: false
    .vgpr_count:     0
    .vgpr_spill_count: 0
    .wavefront_size: 64
  - .agpr_count:     0
    .args:
      - .offset:         0
        .size:           96
        .value_kind:     by_value
    .group_segment_fixed_size: 0
    .kernarg_segment_align: 8
    .kernarg_segment_size: 96
    .language:       OpenCL C
    .language_version:
      - 2
      - 0
    .max_flat_workgroup_size: 256
    .name:           _ZN7rocprim17ROCPRIM_400000_NS6detail17trampoline_kernelINS0_14default_configENS1_20scan_config_selectorIiEEZZNS1_9scan_implILNS1_25lookback_scan_determinismE0ELb0ELb0ES3_N6thrust23THRUST_200600_302600_NS6detail15normal_iteratorINS9_10device_ptrIiEEEENSB_INSC_IfEEEEiNS9_4plusIvEEiEEDaPvRmT3_T4_T5_mT6_P12ihipStream_tbENKUlT_T0_E_clISt17integral_constantIbLb0EESW_EEDaSR_SS_EUlSR_E_NS1_11comp_targetILNS1_3genE5ELNS1_11target_archE942ELNS1_3gpuE9ELNS1_3repE0EEENS1_30default_config_static_selectorELNS0_4arch9wavefront6targetE1EEEvT1_
    .private_segment_fixed_size: 0
    .sgpr_count:     4
    .sgpr_spill_count: 0
    .symbol:         _ZN7rocprim17ROCPRIM_400000_NS6detail17trampoline_kernelINS0_14default_configENS1_20scan_config_selectorIiEEZZNS1_9scan_implILNS1_25lookback_scan_determinismE0ELb0ELb0ES3_N6thrust23THRUST_200600_302600_NS6detail15normal_iteratorINS9_10device_ptrIiEEEENSB_INSC_IfEEEEiNS9_4plusIvEEiEEDaPvRmT3_T4_T5_mT6_P12ihipStream_tbENKUlT_T0_E_clISt17integral_constantIbLb0EESW_EEDaSR_SS_EUlSR_E_NS1_11comp_targetILNS1_3genE5ELNS1_11target_archE942ELNS1_3gpuE9ELNS1_3repE0EEENS1_30default_config_static_selectorELNS0_4arch9wavefront6targetE1EEEvT1_.kd
    .uniform_work_group_size: 1
    .uses_dynamic_stack: false
    .vgpr_count:     0
    .vgpr_spill_count: 0
    .wavefront_size: 64
  - .agpr_count:     0
    .args:
      - .offset:         0
        .size:           96
        .value_kind:     by_value
    .group_segment_fixed_size: 5120
    .kernarg_segment_align: 8
    .kernarg_segment_size: 96
    .language:       OpenCL C
    .language_version:
      - 2
      - 0
    .max_flat_workgroup_size: 128
    .name:           _ZN7rocprim17ROCPRIM_400000_NS6detail17trampoline_kernelINS0_14default_configENS1_20scan_config_selectorIiEEZZNS1_9scan_implILNS1_25lookback_scan_determinismE0ELb0ELb0ES3_N6thrust23THRUST_200600_302600_NS6detail15normal_iteratorINS9_10device_ptrIiEEEENSB_INSC_IfEEEEiNS9_4plusIvEEiEEDaPvRmT3_T4_T5_mT6_P12ihipStream_tbENKUlT_T0_E_clISt17integral_constantIbLb0EESW_EEDaSR_SS_EUlSR_E_NS1_11comp_targetILNS1_3genE4ELNS1_11target_archE910ELNS1_3gpuE8ELNS1_3repE0EEENS1_30default_config_static_selectorELNS0_4arch9wavefront6targetE1EEEvT1_
    .private_segment_fixed_size: 0
    .sgpr_count:     32
    .sgpr_spill_count: 0
    .symbol:         _ZN7rocprim17ROCPRIM_400000_NS6detail17trampoline_kernelINS0_14default_configENS1_20scan_config_selectorIiEEZZNS1_9scan_implILNS1_25lookback_scan_determinismE0ELb0ELb0ES3_N6thrust23THRUST_200600_302600_NS6detail15normal_iteratorINS9_10device_ptrIiEEEENSB_INSC_IfEEEEiNS9_4plusIvEEiEEDaPvRmT3_T4_T5_mT6_P12ihipStream_tbENKUlT_T0_E_clISt17integral_constantIbLb0EESW_EEDaSR_SS_EUlSR_E_NS1_11comp_targetILNS1_3genE4ELNS1_11target_archE910ELNS1_3gpuE8ELNS1_3repE0EEENS1_30default_config_static_selectorELNS0_4arch9wavefront6targetE1EEEvT1_.kd
    .uniform_work_group_size: 1
    .uses_dynamic_stack: false
    .vgpr_count:     40
    .vgpr_spill_count: 0
    .wavefront_size: 64
  - .agpr_count:     0
    .args:
      - .offset:         0
        .size:           96
        .value_kind:     by_value
    .group_segment_fixed_size: 0
    .kernarg_segment_align: 8
    .kernarg_segment_size: 96
    .language:       OpenCL C
    .language_version:
      - 2
      - 0
    .max_flat_workgroup_size: 256
    .name:           _ZN7rocprim17ROCPRIM_400000_NS6detail17trampoline_kernelINS0_14default_configENS1_20scan_config_selectorIiEEZZNS1_9scan_implILNS1_25lookback_scan_determinismE0ELb0ELb0ES3_N6thrust23THRUST_200600_302600_NS6detail15normal_iteratorINS9_10device_ptrIiEEEENSB_INSC_IfEEEEiNS9_4plusIvEEiEEDaPvRmT3_T4_T5_mT6_P12ihipStream_tbENKUlT_T0_E_clISt17integral_constantIbLb0EESW_EEDaSR_SS_EUlSR_E_NS1_11comp_targetILNS1_3genE3ELNS1_11target_archE908ELNS1_3gpuE7ELNS1_3repE0EEENS1_30default_config_static_selectorELNS0_4arch9wavefront6targetE1EEEvT1_
    .private_segment_fixed_size: 0
    .sgpr_count:     4
    .sgpr_spill_count: 0
    .symbol:         _ZN7rocprim17ROCPRIM_400000_NS6detail17trampoline_kernelINS0_14default_configENS1_20scan_config_selectorIiEEZZNS1_9scan_implILNS1_25lookback_scan_determinismE0ELb0ELb0ES3_N6thrust23THRUST_200600_302600_NS6detail15normal_iteratorINS9_10device_ptrIiEEEENSB_INSC_IfEEEEiNS9_4plusIvEEiEEDaPvRmT3_T4_T5_mT6_P12ihipStream_tbENKUlT_T0_E_clISt17integral_constantIbLb0EESW_EEDaSR_SS_EUlSR_E_NS1_11comp_targetILNS1_3genE3ELNS1_11target_archE908ELNS1_3gpuE7ELNS1_3repE0EEENS1_30default_config_static_selectorELNS0_4arch9wavefront6targetE1EEEvT1_.kd
    .uniform_work_group_size: 1
    .uses_dynamic_stack: false
    .vgpr_count:     0
    .vgpr_spill_count: 0
    .wavefront_size: 64
  - .agpr_count:     0
    .args:
      - .offset:         0
        .size:           96
        .value_kind:     by_value
    .group_segment_fixed_size: 0
    .kernarg_segment_align: 8
    .kernarg_segment_size: 96
    .language:       OpenCL C
    .language_version:
      - 2
      - 0
    .max_flat_workgroup_size: 256
    .name:           _ZN7rocprim17ROCPRIM_400000_NS6detail17trampoline_kernelINS0_14default_configENS1_20scan_config_selectorIiEEZZNS1_9scan_implILNS1_25lookback_scan_determinismE0ELb0ELb0ES3_N6thrust23THRUST_200600_302600_NS6detail15normal_iteratorINS9_10device_ptrIiEEEENSB_INSC_IfEEEEiNS9_4plusIvEEiEEDaPvRmT3_T4_T5_mT6_P12ihipStream_tbENKUlT_T0_E_clISt17integral_constantIbLb0EESW_EEDaSR_SS_EUlSR_E_NS1_11comp_targetILNS1_3genE2ELNS1_11target_archE906ELNS1_3gpuE6ELNS1_3repE0EEENS1_30default_config_static_selectorELNS0_4arch9wavefront6targetE1EEEvT1_
    .private_segment_fixed_size: 0
    .sgpr_count:     4
    .sgpr_spill_count: 0
    .symbol:         _ZN7rocprim17ROCPRIM_400000_NS6detail17trampoline_kernelINS0_14default_configENS1_20scan_config_selectorIiEEZZNS1_9scan_implILNS1_25lookback_scan_determinismE0ELb0ELb0ES3_N6thrust23THRUST_200600_302600_NS6detail15normal_iteratorINS9_10device_ptrIiEEEENSB_INSC_IfEEEEiNS9_4plusIvEEiEEDaPvRmT3_T4_T5_mT6_P12ihipStream_tbENKUlT_T0_E_clISt17integral_constantIbLb0EESW_EEDaSR_SS_EUlSR_E_NS1_11comp_targetILNS1_3genE2ELNS1_11target_archE906ELNS1_3gpuE6ELNS1_3repE0EEENS1_30default_config_static_selectorELNS0_4arch9wavefront6targetE1EEEvT1_.kd
    .uniform_work_group_size: 1
    .uses_dynamic_stack: false
    .vgpr_count:     0
    .vgpr_spill_count: 0
    .wavefront_size: 64
  - .agpr_count:     0
    .args:
      - .offset:         0
        .size:           96
        .value_kind:     by_value
    .group_segment_fixed_size: 0
    .kernarg_segment_align: 8
    .kernarg_segment_size: 96
    .language:       OpenCL C
    .language_version:
      - 2
      - 0
    .max_flat_workgroup_size: 256
    .name:           _ZN7rocprim17ROCPRIM_400000_NS6detail17trampoline_kernelINS0_14default_configENS1_20scan_config_selectorIiEEZZNS1_9scan_implILNS1_25lookback_scan_determinismE0ELb0ELb0ES3_N6thrust23THRUST_200600_302600_NS6detail15normal_iteratorINS9_10device_ptrIiEEEENSB_INSC_IfEEEEiNS9_4plusIvEEiEEDaPvRmT3_T4_T5_mT6_P12ihipStream_tbENKUlT_T0_E_clISt17integral_constantIbLb0EESW_EEDaSR_SS_EUlSR_E_NS1_11comp_targetILNS1_3genE10ELNS1_11target_archE1201ELNS1_3gpuE5ELNS1_3repE0EEENS1_30default_config_static_selectorELNS0_4arch9wavefront6targetE1EEEvT1_
    .private_segment_fixed_size: 0
    .sgpr_count:     4
    .sgpr_spill_count: 0
    .symbol:         _ZN7rocprim17ROCPRIM_400000_NS6detail17trampoline_kernelINS0_14default_configENS1_20scan_config_selectorIiEEZZNS1_9scan_implILNS1_25lookback_scan_determinismE0ELb0ELb0ES3_N6thrust23THRUST_200600_302600_NS6detail15normal_iteratorINS9_10device_ptrIiEEEENSB_INSC_IfEEEEiNS9_4plusIvEEiEEDaPvRmT3_T4_T5_mT6_P12ihipStream_tbENKUlT_T0_E_clISt17integral_constantIbLb0EESW_EEDaSR_SS_EUlSR_E_NS1_11comp_targetILNS1_3genE10ELNS1_11target_archE1201ELNS1_3gpuE5ELNS1_3repE0EEENS1_30default_config_static_selectorELNS0_4arch9wavefront6targetE1EEEvT1_.kd
    .uniform_work_group_size: 1
    .uses_dynamic_stack: false
    .vgpr_count:     0
    .vgpr_spill_count: 0
    .wavefront_size: 64
  - .agpr_count:     0
    .args:
      - .offset:         0
        .size:           96
        .value_kind:     by_value
    .group_segment_fixed_size: 0
    .kernarg_segment_align: 8
    .kernarg_segment_size: 96
    .language:       OpenCL C
    .language_version:
      - 2
      - 0
    .max_flat_workgroup_size: 256
    .name:           _ZN7rocprim17ROCPRIM_400000_NS6detail17trampoline_kernelINS0_14default_configENS1_20scan_config_selectorIiEEZZNS1_9scan_implILNS1_25lookback_scan_determinismE0ELb0ELb0ES3_N6thrust23THRUST_200600_302600_NS6detail15normal_iteratorINS9_10device_ptrIiEEEENSB_INSC_IfEEEEiNS9_4plusIvEEiEEDaPvRmT3_T4_T5_mT6_P12ihipStream_tbENKUlT_T0_E_clISt17integral_constantIbLb0EESW_EEDaSR_SS_EUlSR_E_NS1_11comp_targetILNS1_3genE10ELNS1_11target_archE1200ELNS1_3gpuE4ELNS1_3repE0EEENS1_30default_config_static_selectorELNS0_4arch9wavefront6targetE1EEEvT1_
    .private_segment_fixed_size: 0
    .sgpr_count:     4
    .sgpr_spill_count: 0
    .symbol:         _ZN7rocprim17ROCPRIM_400000_NS6detail17trampoline_kernelINS0_14default_configENS1_20scan_config_selectorIiEEZZNS1_9scan_implILNS1_25lookback_scan_determinismE0ELb0ELb0ES3_N6thrust23THRUST_200600_302600_NS6detail15normal_iteratorINS9_10device_ptrIiEEEENSB_INSC_IfEEEEiNS9_4plusIvEEiEEDaPvRmT3_T4_T5_mT6_P12ihipStream_tbENKUlT_T0_E_clISt17integral_constantIbLb0EESW_EEDaSR_SS_EUlSR_E_NS1_11comp_targetILNS1_3genE10ELNS1_11target_archE1200ELNS1_3gpuE4ELNS1_3repE0EEENS1_30default_config_static_selectorELNS0_4arch9wavefront6targetE1EEEvT1_.kd
    .uniform_work_group_size: 1
    .uses_dynamic_stack: false
    .vgpr_count:     0
    .vgpr_spill_count: 0
    .wavefront_size: 64
  - .agpr_count:     0
    .args:
      - .offset:         0
        .size:           96
        .value_kind:     by_value
    .group_segment_fixed_size: 0
    .kernarg_segment_align: 8
    .kernarg_segment_size: 96
    .language:       OpenCL C
    .language_version:
      - 2
      - 0
    .max_flat_workgroup_size: 256
    .name:           _ZN7rocprim17ROCPRIM_400000_NS6detail17trampoline_kernelINS0_14default_configENS1_20scan_config_selectorIiEEZZNS1_9scan_implILNS1_25lookback_scan_determinismE0ELb0ELb0ES3_N6thrust23THRUST_200600_302600_NS6detail15normal_iteratorINS9_10device_ptrIiEEEENSB_INSC_IfEEEEiNS9_4plusIvEEiEEDaPvRmT3_T4_T5_mT6_P12ihipStream_tbENKUlT_T0_E_clISt17integral_constantIbLb0EESW_EEDaSR_SS_EUlSR_E_NS1_11comp_targetILNS1_3genE9ELNS1_11target_archE1100ELNS1_3gpuE3ELNS1_3repE0EEENS1_30default_config_static_selectorELNS0_4arch9wavefront6targetE1EEEvT1_
    .private_segment_fixed_size: 0
    .sgpr_count:     4
    .sgpr_spill_count: 0
    .symbol:         _ZN7rocprim17ROCPRIM_400000_NS6detail17trampoline_kernelINS0_14default_configENS1_20scan_config_selectorIiEEZZNS1_9scan_implILNS1_25lookback_scan_determinismE0ELb0ELb0ES3_N6thrust23THRUST_200600_302600_NS6detail15normal_iteratorINS9_10device_ptrIiEEEENSB_INSC_IfEEEEiNS9_4plusIvEEiEEDaPvRmT3_T4_T5_mT6_P12ihipStream_tbENKUlT_T0_E_clISt17integral_constantIbLb0EESW_EEDaSR_SS_EUlSR_E_NS1_11comp_targetILNS1_3genE9ELNS1_11target_archE1100ELNS1_3gpuE3ELNS1_3repE0EEENS1_30default_config_static_selectorELNS0_4arch9wavefront6targetE1EEEvT1_.kd
    .uniform_work_group_size: 1
    .uses_dynamic_stack: false
    .vgpr_count:     0
    .vgpr_spill_count: 0
    .wavefront_size: 64
  - .agpr_count:     0
    .args:
      - .offset:         0
        .size:           96
        .value_kind:     by_value
    .group_segment_fixed_size: 0
    .kernarg_segment_align: 8
    .kernarg_segment_size: 96
    .language:       OpenCL C
    .language_version:
      - 2
      - 0
    .max_flat_workgroup_size: 64
    .name:           _ZN7rocprim17ROCPRIM_400000_NS6detail17trampoline_kernelINS0_14default_configENS1_20scan_config_selectorIiEEZZNS1_9scan_implILNS1_25lookback_scan_determinismE0ELb0ELb0ES3_N6thrust23THRUST_200600_302600_NS6detail15normal_iteratorINS9_10device_ptrIiEEEENSB_INSC_IfEEEEiNS9_4plusIvEEiEEDaPvRmT3_T4_T5_mT6_P12ihipStream_tbENKUlT_T0_E_clISt17integral_constantIbLb0EESW_EEDaSR_SS_EUlSR_E_NS1_11comp_targetILNS1_3genE8ELNS1_11target_archE1030ELNS1_3gpuE2ELNS1_3repE0EEENS1_30default_config_static_selectorELNS0_4arch9wavefront6targetE1EEEvT1_
    .private_segment_fixed_size: 0
    .sgpr_count:     4
    .sgpr_spill_count: 0
    .symbol:         _ZN7rocprim17ROCPRIM_400000_NS6detail17trampoline_kernelINS0_14default_configENS1_20scan_config_selectorIiEEZZNS1_9scan_implILNS1_25lookback_scan_determinismE0ELb0ELb0ES3_N6thrust23THRUST_200600_302600_NS6detail15normal_iteratorINS9_10device_ptrIiEEEENSB_INSC_IfEEEEiNS9_4plusIvEEiEEDaPvRmT3_T4_T5_mT6_P12ihipStream_tbENKUlT_T0_E_clISt17integral_constantIbLb0EESW_EEDaSR_SS_EUlSR_E_NS1_11comp_targetILNS1_3genE8ELNS1_11target_archE1030ELNS1_3gpuE2ELNS1_3repE0EEENS1_30default_config_static_selectorELNS0_4arch9wavefront6targetE1EEEvT1_.kd
    .uniform_work_group_size: 1
    .uses_dynamic_stack: false
    .vgpr_count:     0
    .vgpr_spill_count: 0
    .wavefront_size: 64
  - .agpr_count:     0
    .args:
      - .offset:         0
        .size:           32
        .value_kind:     by_value
    .group_segment_fixed_size: 0
    .kernarg_segment_align: 8
    .kernarg_segment_size: 32
    .language:       OpenCL C
    .language_version:
      - 2
      - 0
    .max_flat_workgroup_size: 256
    .name:           _ZN7rocprim17ROCPRIM_400000_NS6detail17trampoline_kernelINS0_14default_configENS1_20scan_config_selectorIiEEZZNS1_9scan_implILNS1_25lookback_scan_determinismE0ELb0ELb0ES3_N6thrust23THRUST_200600_302600_NS6detail15normal_iteratorINS9_10device_ptrIiEEEENSB_INSC_IfEEEEiNS9_4plusIvEEiEEDaPvRmT3_T4_T5_mT6_P12ihipStream_tbENKUlT_T0_E_clISt17integral_constantIbLb0EESW_EEDaSR_SS_EUlSR_E0_NS1_11comp_targetILNS1_3genE0ELNS1_11target_archE4294967295ELNS1_3gpuE0ELNS1_3repE0EEENS1_30default_config_static_selectorELNS0_4arch9wavefront6targetE1EEEvT1_
    .private_segment_fixed_size: 0
    .sgpr_count:     4
    .sgpr_spill_count: 0
    .symbol:         _ZN7rocprim17ROCPRIM_400000_NS6detail17trampoline_kernelINS0_14default_configENS1_20scan_config_selectorIiEEZZNS1_9scan_implILNS1_25lookback_scan_determinismE0ELb0ELb0ES3_N6thrust23THRUST_200600_302600_NS6detail15normal_iteratorINS9_10device_ptrIiEEEENSB_INSC_IfEEEEiNS9_4plusIvEEiEEDaPvRmT3_T4_T5_mT6_P12ihipStream_tbENKUlT_T0_E_clISt17integral_constantIbLb0EESW_EEDaSR_SS_EUlSR_E0_NS1_11comp_targetILNS1_3genE0ELNS1_11target_archE4294967295ELNS1_3gpuE0ELNS1_3repE0EEENS1_30default_config_static_selectorELNS0_4arch9wavefront6targetE1EEEvT1_.kd
    .uniform_work_group_size: 1
    .uses_dynamic_stack: false
    .vgpr_count:     0
    .vgpr_spill_count: 0
    .wavefront_size: 64
  - .agpr_count:     0
    .args:
      - .offset:         0
        .size:           32
        .value_kind:     by_value
    .group_segment_fixed_size: 0
    .kernarg_segment_align: 8
    .kernarg_segment_size: 32
    .language:       OpenCL C
    .language_version:
      - 2
      - 0
    .max_flat_workgroup_size: 256
    .name:           _ZN7rocprim17ROCPRIM_400000_NS6detail17trampoline_kernelINS0_14default_configENS1_20scan_config_selectorIiEEZZNS1_9scan_implILNS1_25lookback_scan_determinismE0ELb0ELb0ES3_N6thrust23THRUST_200600_302600_NS6detail15normal_iteratorINS9_10device_ptrIiEEEENSB_INSC_IfEEEEiNS9_4plusIvEEiEEDaPvRmT3_T4_T5_mT6_P12ihipStream_tbENKUlT_T0_E_clISt17integral_constantIbLb0EESW_EEDaSR_SS_EUlSR_E0_NS1_11comp_targetILNS1_3genE5ELNS1_11target_archE942ELNS1_3gpuE9ELNS1_3repE0EEENS1_30default_config_static_selectorELNS0_4arch9wavefront6targetE1EEEvT1_
    .private_segment_fixed_size: 0
    .sgpr_count:     4
    .sgpr_spill_count: 0
    .symbol:         _ZN7rocprim17ROCPRIM_400000_NS6detail17trampoline_kernelINS0_14default_configENS1_20scan_config_selectorIiEEZZNS1_9scan_implILNS1_25lookback_scan_determinismE0ELb0ELb0ES3_N6thrust23THRUST_200600_302600_NS6detail15normal_iteratorINS9_10device_ptrIiEEEENSB_INSC_IfEEEEiNS9_4plusIvEEiEEDaPvRmT3_T4_T5_mT6_P12ihipStream_tbENKUlT_T0_E_clISt17integral_constantIbLb0EESW_EEDaSR_SS_EUlSR_E0_NS1_11comp_targetILNS1_3genE5ELNS1_11target_archE942ELNS1_3gpuE9ELNS1_3repE0EEENS1_30default_config_static_selectorELNS0_4arch9wavefront6targetE1EEEvT1_.kd
    .uniform_work_group_size: 1
    .uses_dynamic_stack: false
    .vgpr_count:     0
    .vgpr_spill_count: 0
    .wavefront_size: 64
  - .agpr_count:     0
    .args:
      - .offset:         0
        .size:           32
        .value_kind:     by_value
    .group_segment_fixed_size: 5120
    .kernarg_segment_align: 8
    .kernarg_segment_size: 32
    .language:       OpenCL C
    .language_version:
      - 2
      - 0
    .max_flat_workgroup_size: 128
    .name:           _ZN7rocprim17ROCPRIM_400000_NS6detail17trampoline_kernelINS0_14default_configENS1_20scan_config_selectorIiEEZZNS1_9scan_implILNS1_25lookback_scan_determinismE0ELb0ELb0ES3_N6thrust23THRUST_200600_302600_NS6detail15normal_iteratorINS9_10device_ptrIiEEEENSB_INSC_IfEEEEiNS9_4plusIvEEiEEDaPvRmT3_T4_T5_mT6_P12ihipStream_tbENKUlT_T0_E_clISt17integral_constantIbLb0EESW_EEDaSR_SS_EUlSR_E0_NS1_11comp_targetILNS1_3genE4ELNS1_11target_archE910ELNS1_3gpuE8ELNS1_3repE0EEENS1_30default_config_static_selectorELNS0_4arch9wavefront6targetE1EEEvT1_
    .private_segment_fixed_size: 0
    .sgpr_count:     28
    .sgpr_spill_count: 0
    .symbol:         _ZN7rocprim17ROCPRIM_400000_NS6detail17trampoline_kernelINS0_14default_configENS1_20scan_config_selectorIiEEZZNS1_9scan_implILNS1_25lookback_scan_determinismE0ELb0ELb0ES3_N6thrust23THRUST_200600_302600_NS6detail15normal_iteratorINS9_10device_ptrIiEEEENSB_INSC_IfEEEEiNS9_4plusIvEEiEEDaPvRmT3_T4_T5_mT6_P12ihipStream_tbENKUlT_T0_E_clISt17integral_constantIbLb0EESW_EEDaSR_SS_EUlSR_E0_NS1_11comp_targetILNS1_3genE4ELNS1_11target_archE910ELNS1_3gpuE8ELNS1_3repE0EEENS1_30default_config_static_selectorELNS0_4arch9wavefront6targetE1EEEvT1_.kd
    .uniform_work_group_size: 1
    .uses_dynamic_stack: false
    .vgpr_count:     27
    .vgpr_spill_count: 0
    .wavefront_size: 64
  - .agpr_count:     0
    .args:
      - .offset:         0
        .size:           32
        .value_kind:     by_value
    .group_segment_fixed_size: 0
    .kernarg_segment_align: 8
    .kernarg_segment_size: 32
    .language:       OpenCL C
    .language_version:
      - 2
      - 0
    .max_flat_workgroup_size: 256
    .name:           _ZN7rocprim17ROCPRIM_400000_NS6detail17trampoline_kernelINS0_14default_configENS1_20scan_config_selectorIiEEZZNS1_9scan_implILNS1_25lookback_scan_determinismE0ELb0ELb0ES3_N6thrust23THRUST_200600_302600_NS6detail15normal_iteratorINS9_10device_ptrIiEEEENSB_INSC_IfEEEEiNS9_4plusIvEEiEEDaPvRmT3_T4_T5_mT6_P12ihipStream_tbENKUlT_T0_E_clISt17integral_constantIbLb0EESW_EEDaSR_SS_EUlSR_E0_NS1_11comp_targetILNS1_3genE3ELNS1_11target_archE908ELNS1_3gpuE7ELNS1_3repE0EEENS1_30default_config_static_selectorELNS0_4arch9wavefront6targetE1EEEvT1_
    .private_segment_fixed_size: 0
    .sgpr_count:     4
    .sgpr_spill_count: 0
    .symbol:         _ZN7rocprim17ROCPRIM_400000_NS6detail17trampoline_kernelINS0_14default_configENS1_20scan_config_selectorIiEEZZNS1_9scan_implILNS1_25lookback_scan_determinismE0ELb0ELb0ES3_N6thrust23THRUST_200600_302600_NS6detail15normal_iteratorINS9_10device_ptrIiEEEENSB_INSC_IfEEEEiNS9_4plusIvEEiEEDaPvRmT3_T4_T5_mT6_P12ihipStream_tbENKUlT_T0_E_clISt17integral_constantIbLb0EESW_EEDaSR_SS_EUlSR_E0_NS1_11comp_targetILNS1_3genE3ELNS1_11target_archE908ELNS1_3gpuE7ELNS1_3repE0EEENS1_30default_config_static_selectorELNS0_4arch9wavefront6targetE1EEEvT1_.kd
    .uniform_work_group_size: 1
    .uses_dynamic_stack: false
    .vgpr_count:     0
    .vgpr_spill_count: 0
    .wavefront_size: 64
  - .agpr_count:     0
    .args:
      - .offset:         0
        .size:           32
        .value_kind:     by_value
    .group_segment_fixed_size: 0
    .kernarg_segment_align: 8
    .kernarg_segment_size: 32
    .language:       OpenCL C
    .language_version:
      - 2
      - 0
    .max_flat_workgroup_size: 256
    .name:           _ZN7rocprim17ROCPRIM_400000_NS6detail17trampoline_kernelINS0_14default_configENS1_20scan_config_selectorIiEEZZNS1_9scan_implILNS1_25lookback_scan_determinismE0ELb0ELb0ES3_N6thrust23THRUST_200600_302600_NS6detail15normal_iteratorINS9_10device_ptrIiEEEENSB_INSC_IfEEEEiNS9_4plusIvEEiEEDaPvRmT3_T4_T5_mT6_P12ihipStream_tbENKUlT_T0_E_clISt17integral_constantIbLb0EESW_EEDaSR_SS_EUlSR_E0_NS1_11comp_targetILNS1_3genE2ELNS1_11target_archE906ELNS1_3gpuE6ELNS1_3repE0EEENS1_30default_config_static_selectorELNS0_4arch9wavefront6targetE1EEEvT1_
    .private_segment_fixed_size: 0
    .sgpr_count:     4
    .sgpr_spill_count: 0
    .symbol:         _ZN7rocprim17ROCPRIM_400000_NS6detail17trampoline_kernelINS0_14default_configENS1_20scan_config_selectorIiEEZZNS1_9scan_implILNS1_25lookback_scan_determinismE0ELb0ELb0ES3_N6thrust23THRUST_200600_302600_NS6detail15normal_iteratorINS9_10device_ptrIiEEEENSB_INSC_IfEEEEiNS9_4plusIvEEiEEDaPvRmT3_T4_T5_mT6_P12ihipStream_tbENKUlT_T0_E_clISt17integral_constantIbLb0EESW_EEDaSR_SS_EUlSR_E0_NS1_11comp_targetILNS1_3genE2ELNS1_11target_archE906ELNS1_3gpuE6ELNS1_3repE0EEENS1_30default_config_static_selectorELNS0_4arch9wavefront6targetE1EEEvT1_.kd
    .uniform_work_group_size: 1
    .uses_dynamic_stack: false
    .vgpr_count:     0
    .vgpr_spill_count: 0
    .wavefront_size: 64
  - .agpr_count:     0
    .args:
      - .offset:         0
        .size:           32
        .value_kind:     by_value
    .group_segment_fixed_size: 0
    .kernarg_segment_align: 8
    .kernarg_segment_size: 32
    .language:       OpenCL C
    .language_version:
      - 2
      - 0
    .max_flat_workgroup_size: 256
    .name:           _ZN7rocprim17ROCPRIM_400000_NS6detail17trampoline_kernelINS0_14default_configENS1_20scan_config_selectorIiEEZZNS1_9scan_implILNS1_25lookback_scan_determinismE0ELb0ELb0ES3_N6thrust23THRUST_200600_302600_NS6detail15normal_iteratorINS9_10device_ptrIiEEEENSB_INSC_IfEEEEiNS9_4plusIvEEiEEDaPvRmT3_T4_T5_mT6_P12ihipStream_tbENKUlT_T0_E_clISt17integral_constantIbLb0EESW_EEDaSR_SS_EUlSR_E0_NS1_11comp_targetILNS1_3genE10ELNS1_11target_archE1201ELNS1_3gpuE5ELNS1_3repE0EEENS1_30default_config_static_selectorELNS0_4arch9wavefront6targetE1EEEvT1_
    .private_segment_fixed_size: 0
    .sgpr_count:     4
    .sgpr_spill_count: 0
    .symbol:         _ZN7rocprim17ROCPRIM_400000_NS6detail17trampoline_kernelINS0_14default_configENS1_20scan_config_selectorIiEEZZNS1_9scan_implILNS1_25lookback_scan_determinismE0ELb0ELb0ES3_N6thrust23THRUST_200600_302600_NS6detail15normal_iteratorINS9_10device_ptrIiEEEENSB_INSC_IfEEEEiNS9_4plusIvEEiEEDaPvRmT3_T4_T5_mT6_P12ihipStream_tbENKUlT_T0_E_clISt17integral_constantIbLb0EESW_EEDaSR_SS_EUlSR_E0_NS1_11comp_targetILNS1_3genE10ELNS1_11target_archE1201ELNS1_3gpuE5ELNS1_3repE0EEENS1_30default_config_static_selectorELNS0_4arch9wavefront6targetE1EEEvT1_.kd
    .uniform_work_group_size: 1
    .uses_dynamic_stack: false
    .vgpr_count:     0
    .vgpr_spill_count: 0
    .wavefront_size: 64
  - .agpr_count:     0
    .args:
      - .offset:         0
        .size:           32
        .value_kind:     by_value
    .group_segment_fixed_size: 0
    .kernarg_segment_align: 8
    .kernarg_segment_size: 32
    .language:       OpenCL C
    .language_version:
      - 2
      - 0
    .max_flat_workgroup_size: 256
    .name:           _ZN7rocprim17ROCPRIM_400000_NS6detail17trampoline_kernelINS0_14default_configENS1_20scan_config_selectorIiEEZZNS1_9scan_implILNS1_25lookback_scan_determinismE0ELb0ELb0ES3_N6thrust23THRUST_200600_302600_NS6detail15normal_iteratorINS9_10device_ptrIiEEEENSB_INSC_IfEEEEiNS9_4plusIvEEiEEDaPvRmT3_T4_T5_mT6_P12ihipStream_tbENKUlT_T0_E_clISt17integral_constantIbLb0EESW_EEDaSR_SS_EUlSR_E0_NS1_11comp_targetILNS1_3genE10ELNS1_11target_archE1200ELNS1_3gpuE4ELNS1_3repE0EEENS1_30default_config_static_selectorELNS0_4arch9wavefront6targetE1EEEvT1_
    .private_segment_fixed_size: 0
    .sgpr_count:     4
    .sgpr_spill_count: 0
    .symbol:         _ZN7rocprim17ROCPRIM_400000_NS6detail17trampoline_kernelINS0_14default_configENS1_20scan_config_selectorIiEEZZNS1_9scan_implILNS1_25lookback_scan_determinismE0ELb0ELb0ES3_N6thrust23THRUST_200600_302600_NS6detail15normal_iteratorINS9_10device_ptrIiEEEENSB_INSC_IfEEEEiNS9_4plusIvEEiEEDaPvRmT3_T4_T5_mT6_P12ihipStream_tbENKUlT_T0_E_clISt17integral_constantIbLb0EESW_EEDaSR_SS_EUlSR_E0_NS1_11comp_targetILNS1_3genE10ELNS1_11target_archE1200ELNS1_3gpuE4ELNS1_3repE0EEENS1_30default_config_static_selectorELNS0_4arch9wavefront6targetE1EEEvT1_.kd
    .uniform_work_group_size: 1
    .uses_dynamic_stack: false
    .vgpr_count:     0
    .vgpr_spill_count: 0
    .wavefront_size: 64
  - .agpr_count:     0
    .args:
      - .offset:         0
        .size:           32
        .value_kind:     by_value
    .group_segment_fixed_size: 0
    .kernarg_segment_align: 8
    .kernarg_segment_size: 32
    .language:       OpenCL C
    .language_version:
      - 2
      - 0
    .max_flat_workgroup_size: 256
    .name:           _ZN7rocprim17ROCPRIM_400000_NS6detail17trampoline_kernelINS0_14default_configENS1_20scan_config_selectorIiEEZZNS1_9scan_implILNS1_25lookback_scan_determinismE0ELb0ELb0ES3_N6thrust23THRUST_200600_302600_NS6detail15normal_iteratorINS9_10device_ptrIiEEEENSB_INSC_IfEEEEiNS9_4plusIvEEiEEDaPvRmT3_T4_T5_mT6_P12ihipStream_tbENKUlT_T0_E_clISt17integral_constantIbLb0EESW_EEDaSR_SS_EUlSR_E0_NS1_11comp_targetILNS1_3genE9ELNS1_11target_archE1100ELNS1_3gpuE3ELNS1_3repE0EEENS1_30default_config_static_selectorELNS0_4arch9wavefront6targetE1EEEvT1_
    .private_segment_fixed_size: 0
    .sgpr_count:     4
    .sgpr_spill_count: 0
    .symbol:         _ZN7rocprim17ROCPRIM_400000_NS6detail17trampoline_kernelINS0_14default_configENS1_20scan_config_selectorIiEEZZNS1_9scan_implILNS1_25lookback_scan_determinismE0ELb0ELb0ES3_N6thrust23THRUST_200600_302600_NS6detail15normal_iteratorINS9_10device_ptrIiEEEENSB_INSC_IfEEEEiNS9_4plusIvEEiEEDaPvRmT3_T4_T5_mT6_P12ihipStream_tbENKUlT_T0_E_clISt17integral_constantIbLb0EESW_EEDaSR_SS_EUlSR_E0_NS1_11comp_targetILNS1_3genE9ELNS1_11target_archE1100ELNS1_3gpuE3ELNS1_3repE0EEENS1_30default_config_static_selectorELNS0_4arch9wavefront6targetE1EEEvT1_.kd
    .uniform_work_group_size: 1
    .uses_dynamic_stack: false
    .vgpr_count:     0
    .vgpr_spill_count: 0
    .wavefront_size: 64
  - .agpr_count:     0
    .args:
      - .offset:         0
        .size:           32
        .value_kind:     by_value
    .group_segment_fixed_size: 0
    .kernarg_segment_align: 8
    .kernarg_segment_size: 32
    .language:       OpenCL C
    .language_version:
      - 2
      - 0
    .max_flat_workgroup_size: 64
    .name:           _ZN7rocprim17ROCPRIM_400000_NS6detail17trampoline_kernelINS0_14default_configENS1_20scan_config_selectorIiEEZZNS1_9scan_implILNS1_25lookback_scan_determinismE0ELb0ELb0ES3_N6thrust23THRUST_200600_302600_NS6detail15normal_iteratorINS9_10device_ptrIiEEEENSB_INSC_IfEEEEiNS9_4plusIvEEiEEDaPvRmT3_T4_T5_mT6_P12ihipStream_tbENKUlT_T0_E_clISt17integral_constantIbLb0EESW_EEDaSR_SS_EUlSR_E0_NS1_11comp_targetILNS1_3genE8ELNS1_11target_archE1030ELNS1_3gpuE2ELNS1_3repE0EEENS1_30default_config_static_selectorELNS0_4arch9wavefront6targetE1EEEvT1_
    .private_segment_fixed_size: 0
    .sgpr_count:     4
    .sgpr_spill_count: 0
    .symbol:         _ZN7rocprim17ROCPRIM_400000_NS6detail17trampoline_kernelINS0_14default_configENS1_20scan_config_selectorIiEEZZNS1_9scan_implILNS1_25lookback_scan_determinismE0ELb0ELb0ES3_N6thrust23THRUST_200600_302600_NS6detail15normal_iteratorINS9_10device_ptrIiEEEENSB_INSC_IfEEEEiNS9_4plusIvEEiEEDaPvRmT3_T4_T5_mT6_P12ihipStream_tbENKUlT_T0_E_clISt17integral_constantIbLb0EESW_EEDaSR_SS_EUlSR_E0_NS1_11comp_targetILNS1_3genE8ELNS1_11target_archE1030ELNS1_3gpuE2ELNS1_3repE0EEENS1_30default_config_static_selectorELNS0_4arch9wavefront6targetE1EEEvT1_.kd
    .uniform_work_group_size: 1
    .uses_dynamic_stack: false
    .vgpr_count:     0
    .vgpr_spill_count: 0
    .wavefront_size: 64
  - .agpr_count:     0
    .args:
      - .offset:         0
        .size:           96
        .value_kind:     by_value
    .group_segment_fixed_size: 0
    .kernarg_segment_align: 8
    .kernarg_segment_size: 96
    .language:       OpenCL C
    .language_version:
      - 2
      - 0
    .max_flat_workgroup_size: 256
    .name:           _ZN7rocprim17ROCPRIM_400000_NS6detail17trampoline_kernelINS0_14default_configENS1_20scan_config_selectorIiEEZZNS1_9scan_implILNS1_25lookback_scan_determinismE0ELb0ELb0ES3_N6thrust23THRUST_200600_302600_NS6detail15normal_iteratorINS9_10device_ptrIiEEEENSB_INSC_IfEEEEiNS9_4plusIvEEiEEDaPvRmT3_T4_T5_mT6_P12ihipStream_tbENKUlT_T0_E_clISt17integral_constantIbLb1EESW_EEDaSR_SS_EUlSR_E_NS1_11comp_targetILNS1_3genE0ELNS1_11target_archE4294967295ELNS1_3gpuE0ELNS1_3repE0EEENS1_30default_config_static_selectorELNS0_4arch9wavefront6targetE1EEEvT1_
    .private_segment_fixed_size: 0
    .sgpr_count:     4
    .sgpr_spill_count: 0
    .symbol:         _ZN7rocprim17ROCPRIM_400000_NS6detail17trampoline_kernelINS0_14default_configENS1_20scan_config_selectorIiEEZZNS1_9scan_implILNS1_25lookback_scan_determinismE0ELb0ELb0ES3_N6thrust23THRUST_200600_302600_NS6detail15normal_iteratorINS9_10device_ptrIiEEEENSB_INSC_IfEEEEiNS9_4plusIvEEiEEDaPvRmT3_T4_T5_mT6_P12ihipStream_tbENKUlT_T0_E_clISt17integral_constantIbLb1EESW_EEDaSR_SS_EUlSR_E_NS1_11comp_targetILNS1_3genE0ELNS1_11target_archE4294967295ELNS1_3gpuE0ELNS1_3repE0EEENS1_30default_config_static_selectorELNS0_4arch9wavefront6targetE1EEEvT1_.kd
    .uniform_work_group_size: 1
    .uses_dynamic_stack: false
    .vgpr_count:     0
    .vgpr_spill_count: 0
    .wavefront_size: 64
  - .agpr_count:     0
    .args:
      - .offset:         0
        .size:           96
        .value_kind:     by_value
    .group_segment_fixed_size: 0
    .kernarg_segment_align: 8
    .kernarg_segment_size: 96
    .language:       OpenCL C
    .language_version:
      - 2
      - 0
    .max_flat_workgroup_size: 256
    .name:           _ZN7rocprim17ROCPRIM_400000_NS6detail17trampoline_kernelINS0_14default_configENS1_20scan_config_selectorIiEEZZNS1_9scan_implILNS1_25lookback_scan_determinismE0ELb0ELb0ES3_N6thrust23THRUST_200600_302600_NS6detail15normal_iteratorINS9_10device_ptrIiEEEENSB_INSC_IfEEEEiNS9_4plusIvEEiEEDaPvRmT3_T4_T5_mT6_P12ihipStream_tbENKUlT_T0_E_clISt17integral_constantIbLb1EESW_EEDaSR_SS_EUlSR_E_NS1_11comp_targetILNS1_3genE5ELNS1_11target_archE942ELNS1_3gpuE9ELNS1_3repE0EEENS1_30default_config_static_selectorELNS0_4arch9wavefront6targetE1EEEvT1_
    .private_segment_fixed_size: 0
    .sgpr_count:     4
    .sgpr_spill_count: 0
    .symbol:         _ZN7rocprim17ROCPRIM_400000_NS6detail17trampoline_kernelINS0_14default_configENS1_20scan_config_selectorIiEEZZNS1_9scan_implILNS1_25lookback_scan_determinismE0ELb0ELb0ES3_N6thrust23THRUST_200600_302600_NS6detail15normal_iteratorINS9_10device_ptrIiEEEENSB_INSC_IfEEEEiNS9_4plusIvEEiEEDaPvRmT3_T4_T5_mT6_P12ihipStream_tbENKUlT_T0_E_clISt17integral_constantIbLb1EESW_EEDaSR_SS_EUlSR_E_NS1_11comp_targetILNS1_3genE5ELNS1_11target_archE942ELNS1_3gpuE9ELNS1_3repE0EEENS1_30default_config_static_selectorELNS0_4arch9wavefront6targetE1EEEvT1_.kd
    .uniform_work_group_size: 1
    .uses_dynamic_stack: false
    .vgpr_count:     0
    .vgpr_spill_count: 0
    .wavefront_size: 64
  - .agpr_count:     0
    .args:
      - .offset:         0
        .size:           96
        .value_kind:     by_value
    .group_segment_fixed_size: 5120
    .kernarg_segment_align: 8
    .kernarg_segment_size: 96
    .language:       OpenCL C
    .language_version:
      - 2
      - 0
    .max_flat_workgroup_size: 128
    .name:           _ZN7rocprim17ROCPRIM_400000_NS6detail17trampoline_kernelINS0_14default_configENS1_20scan_config_selectorIiEEZZNS1_9scan_implILNS1_25lookback_scan_determinismE0ELb0ELb0ES3_N6thrust23THRUST_200600_302600_NS6detail15normal_iteratorINS9_10device_ptrIiEEEENSB_INSC_IfEEEEiNS9_4plusIvEEiEEDaPvRmT3_T4_T5_mT6_P12ihipStream_tbENKUlT_T0_E_clISt17integral_constantIbLb1EESW_EEDaSR_SS_EUlSR_E_NS1_11comp_targetILNS1_3genE4ELNS1_11target_archE910ELNS1_3gpuE8ELNS1_3repE0EEENS1_30default_config_static_selectorELNS0_4arch9wavefront6targetE1EEEvT1_
    .private_segment_fixed_size: 0
    .sgpr_count:     42
    .sgpr_spill_count: 0
    .symbol:         _ZN7rocprim17ROCPRIM_400000_NS6detail17trampoline_kernelINS0_14default_configENS1_20scan_config_selectorIiEEZZNS1_9scan_implILNS1_25lookback_scan_determinismE0ELb0ELb0ES3_N6thrust23THRUST_200600_302600_NS6detail15normal_iteratorINS9_10device_ptrIiEEEENSB_INSC_IfEEEEiNS9_4plusIvEEiEEDaPvRmT3_T4_T5_mT6_P12ihipStream_tbENKUlT_T0_E_clISt17integral_constantIbLb1EESW_EEDaSR_SS_EUlSR_E_NS1_11comp_targetILNS1_3genE4ELNS1_11target_archE910ELNS1_3gpuE8ELNS1_3repE0EEENS1_30default_config_static_selectorELNS0_4arch9wavefront6targetE1EEEvT1_.kd
    .uniform_work_group_size: 1
    .uses_dynamic_stack: false
    .vgpr_count:     40
    .vgpr_spill_count: 0
    .wavefront_size: 64
  - .agpr_count:     0
    .args:
      - .offset:         0
        .size:           96
        .value_kind:     by_value
    .group_segment_fixed_size: 0
    .kernarg_segment_align: 8
    .kernarg_segment_size: 96
    .language:       OpenCL C
    .language_version:
      - 2
      - 0
    .max_flat_workgroup_size: 256
    .name:           _ZN7rocprim17ROCPRIM_400000_NS6detail17trampoline_kernelINS0_14default_configENS1_20scan_config_selectorIiEEZZNS1_9scan_implILNS1_25lookback_scan_determinismE0ELb0ELb0ES3_N6thrust23THRUST_200600_302600_NS6detail15normal_iteratorINS9_10device_ptrIiEEEENSB_INSC_IfEEEEiNS9_4plusIvEEiEEDaPvRmT3_T4_T5_mT6_P12ihipStream_tbENKUlT_T0_E_clISt17integral_constantIbLb1EESW_EEDaSR_SS_EUlSR_E_NS1_11comp_targetILNS1_3genE3ELNS1_11target_archE908ELNS1_3gpuE7ELNS1_3repE0EEENS1_30default_config_static_selectorELNS0_4arch9wavefront6targetE1EEEvT1_
    .private_segment_fixed_size: 0
    .sgpr_count:     4
    .sgpr_spill_count: 0
    .symbol:         _ZN7rocprim17ROCPRIM_400000_NS6detail17trampoline_kernelINS0_14default_configENS1_20scan_config_selectorIiEEZZNS1_9scan_implILNS1_25lookback_scan_determinismE0ELb0ELb0ES3_N6thrust23THRUST_200600_302600_NS6detail15normal_iteratorINS9_10device_ptrIiEEEENSB_INSC_IfEEEEiNS9_4plusIvEEiEEDaPvRmT3_T4_T5_mT6_P12ihipStream_tbENKUlT_T0_E_clISt17integral_constantIbLb1EESW_EEDaSR_SS_EUlSR_E_NS1_11comp_targetILNS1_3genE3ELNS1_11target_archE908ELNS1_3gpuE7ELNS1_3repE0EEENS1_30default_config_static_selectorELNS0_4arch9wavefront6targetE1EEEvT1_.kd
    .uniform_work_group_size: 1
    .uses_dynamic_stack: false
    .vgpr_count:     0
    .vgpr_spill_count: 0
    .wavefront_size: 64
  - .agpr_count:     0
    .args:
      - .offset:         0
        .size:           96
        .value_kind:     by_value
    .group_segment_fixed_size: 0
    .kernarg_segment_align: 8
    .kernarg_segment_size: 96
    .language:       OpenCL C
    .language_version:
      - 2
      - 0
    .max_flat_workgroup_size: 256
    .name:           _ZN7rocprim17ROCPRIM_400000_NS6detail17trampoline_kernelINS0_14default_configENS1_20scan_config_selectorIiEEZZNS1_9scan_implILNS1_25lookback_scan_determinismE0ELb0ELb0ES3_N6thrust23THRUST_200600_302600_NS6detail15normal_iteratorINS9_10device_ptrIiEEEENSB_INSC_IfEEEEiNS9_4plusIvEEiEEDaPvRmT3_T4_T5_mT6_P12ihipStream_tbENKUlT_T0_E_clISt17integral_constantIbLb1EESW_EEDaSR_SS_EUlSR_E_NS1_11comp_targetILNS1_3genE2ELNS1_11target_archE906ELNS1_3gpuE6ELNS1_3repE0EEENS1_30default_config_static_selectorELNS0_4arch9wavefront6targetE1EEEvT1_
    .private_segment_fixed_size: 0
    .sgpr_count:     4
    .sgpr_spill_count: 0
    .symbol:         _ZN7rocprim17ROCPRIM_400000_NS6detail17trampoline_kernelINS0_14default_configENS1_20scan_config_selectorIiEEZZNS1_9scan_implILNS1_25lookback_scan_determinismE0ELb0ELb0ES3_N6thrust23THRUST_200600_302600_NS6detail15normal_iteratorINS9_10device_ptrIiEEEENSB_INSC_IfEEEEiNS9_4plusIvEEiEEDaPvRmT3_T4_T5_mT6_P12ihipStream_tbENKUlT_T0_E_clISt17integral_constantIbLb1EESW_EEDaSR_SS_EUlSR_E_NS1_11comp_targetILNS1_3genE2ELNS1_11target_archE906ELNS1_3gpuE6ELNS1_3repE0EEENS1_30default_config_static_selectorELNS0_4arch9wavefront6targetE1EEEvT1_.kd
    .uniform_work_group_size: 1
    .uses_dynamic_stack: false
    .vgpr_count:     0
    .vgpr_spill_count: 0
    .wavefront_size: 64
  - .agpr_count:     0
    .args:
      - .offset:         0
        .size:           96
        .value_kind:     by_value
    .group_segment_fixed_size: 0
    .kernarg_segment_align: 8
    .kernarg_segment_size: 96
    .language:       OpenCL C
    .language_version:
      - 2
      - 0
    .max_flat_workgroup_size: 256
    .name:           _ZN7rocprim17ROCPRIM_400000_NS6detail17trampoline_kernelINS0_14default_configENS1_20scan_config_selectorIiEEZZNS1_9scan_implILNS1_25lookback_scan_determinismE0ELb0ELb0ES3_N6thrust23THRUST_200600_302600_NS6detail15normal_iteratorINS9_10device_ptrIiEEEENSB_INSC_IfEEEEiNS9_4plusIvEEiEEDaPvRmT3_T4_T5_mT6_P12ihipStream_tbENKUlT_T0_E_clISt17integral_constantIbLb1EESW_EEDaSR_SS_EUlSR_E_NS1_11comp_targetILNS1_3genE10ELNS1_11target_archE1201ELNS1_3gpuE5ELNS1_3repE0EEENS1_30default_config_static_selectorELNS0_4arch9wavefront6targetE1EEEvT1_
    .private_segment_fixed_size: 0
    .sgpr_count:     4
    .sgpr_spill_count: 0
    .symbol:         _ZN7rocprim17ROCPRIM_400000_NS6detail17trampoline_kernelINS0_14default_configENS1_20scan_config_selectorIiEEZZNS1_9scan_implILNS1_25lookback_scan_determinismE0ELb0ELb0ES3_N6thrust23THRUST_200600_302600_NS6detail15normal_iteratorINS9_10device_ptrIiEEEENSB_INSC_IfEEEEiNS9_4plusIvEEiEEDaPvRmT3_T4_T5_mT6_P12ihipStream_tbENKUlT_T0_E_clISt17integral_constantIbLb1EESW_EEDaSR_SS_EUlSR_E_NS1_11comp_targetILNS1_3genE10ELNS1_11target_archE1201ELNS1_3gpuE5ELNS1_3repE0EEENS1_30default_config_static_selectorELNS0_4arch9wavefront6targetE1EEEvT1_.kd
    .uniform_work_group_size: 1
    .uses_dynamic_stack: false
    .vgpr_count:     0
    .vgpr_spill_count: 0
    .wavefront_size: 64
  - .agpr_count:     0
    .args:
      - .offset:         0
        .size:           96
        .value_kind:     by_value
    .group_segment_fixed_size: 0
    .kernarg_segment_align: 8
    .kernarg_segment_size: 96
    .language:       OpenCL C
    .language_version:
      - 2
      - 0
    .max_flat_workgroup_size: 256
    .name:           _ZN7rocprim17ROCPRIM_400000_NS6detail17trampoline_kernelINS0_14default_configENS1_20scan_config_selectorIiEEZZNS1_9scan_implILNS1_25lookback_scan_determinismE0ELb0ELb0ES3_N6thrust23THRUST_200600_302600_NS6detail15normal_iteratorINS9_10device_ptrIiEEEENSB_INSC_IfEEEEiNS9_4plusIvEEiEEDaPvRmT3_T4_T5_mT6_P12ihipStream_tbENKUlT_T0_E_clISt17integral_constantIbLb1EESW_EEDaSR_SS_EUlSR_E_NS1_11comp_targetILNS1_3genE10ELNS1_11target_archE1200ELNS1_3gpuE4ELNS1_3repE0EEENS1_30default_config_static_selectorELNS0_4arch9wavefront6targetE1EEEvT1_
    .private_segment_fixed_size: 0
    .sgpr_count:     4
    .sgpr_spill_count: 0
    .symbol:         _ZN7rocprim17ROCPRIM_400000_NS6detail17trampoline_kernelINS0_14default_configENS1_20scan_config_selectorIiEEZZNS1_9scan_implILNS1_25lookback_scan_determinismE0ELb0ELb0ES3_N6thrust23THRUST_200600_302600_NS6detail15normal_iteratorINS9_10device_ptrIiEEEENSB_INSC_IfEEEEiNS9_4plusIvEEiEEDaPvRmT3_T4_T5_mT6_P12ihipStream_tbENKUlT_T0_E_clISt17integral_constantIbLb1EESW_EEDaSR_SS_EUlSR_E_NS1_11comp_targetILNS1_3genE10ELNS1_11target_archE1200ELNS1_3gpuE4ELNS1_3repE0EEENS1_30default_config_static_selectorELNS0_4arch9wavefront6targetE1EEEvT1_.kd
    .uniform_work_group_size: 1
    .uses_dynamic_stack: false
    .vgpr_count:     0
    .vgpr_spill_count: 0
    .wavefront_size: 64
  - .agpr_count:     0
    .args:
      - .offset:         0
        .size:           96
        .value_kind:     by_value
    .group_segment_fixed_size: 0
    .kernarg_segment_align: 8
    .kernarg_segment_size: 96
    .language:       OpenCL C
    .language_version:
      - 2
      - 0
    .max_flat_workgroup_size: 256
    .name:           _ZN7rocprim17ROCPRIM_400000_NS6detail17trampoline_kernelINS0_14default_configENS1_20scan_config_selectorIiEEZZNS1_9scan_implILNS1_25lookback_scan_determinismE0ELb0ELb0ES3_N6thrust23THRUST_200600_302600_NS6detail15normal_iteratorINS9_10device_ptrIiEEEENSB_INSC_IfEEEEiNS9_4plusIvEEiEEDaPvRmT3_T4_T5_mT6_P12ihipStream_tbENKUlT_T0_E_clISt17integral_constantIbLb1EESW_EEDaSR_SS_EUlSR_E_NS1_11comp_targetILNS1_3genE9ELNS1_11target_archE1100ELNS1_3gpuE3ELNS1_3repE0EEENS1_30default_config_static_selectorELNS0_4arch9wavefront6targetE1EEEvT1_
    .private_segment_fixed_size: 0
    .sgpr_count:     4
    .sgpr_spill_count: 0
    .symbol:         _ZN7rocprim17ROCPRIM_400000_NS6detail17trampoline_kernelINS0_14default_configENS1_20scan_config_selectorIiEEZZNS1_9scan_implILNS1_25lookback_scan_determinismE0ELb0ELb0ES3_N6thrust23THRUST_200600_302600_NS6detail15normal_iteratorINS9_10device_ptrIiEEEENSB_INSC_IfEEEEiNS9_4plusIvEEiEEDaPvRmT3_T4_T5_mT6_P12ihipStream_tbENKUlT_T0_E_clISt17integral_constantIbLb1EESW_EEDaSR_SS_EUlSR_E_NS1_11comp_targetILNS1_3genE9ELNS1_11target_archE1100ELNS1_3gpuE3ELNS1_3repE0EEENS1_30default_config_static_selectorELNS0_4arch9wavefront6targetE1EEEvT1_.kd
    .uniform_work_group_size: 1
    .uses_dynamic_stack: false
    .vgpr_count:     0
    .vgpr_spill_count: 0
    .wavefront_size: 64
  - .agpr_count:     0
    .args:
      - .offset:         0
        .size:           96
        .value_kind:     by_value
    .group_segment_fixed_size: 0
    .kernarg_segment_align: 8
    .kernarg_segment_size: 96
    .language:       OpenCL C
    .language_version:
      - 2
      - 0
    .max_flat_workgroup_size: 64
    .name:           _ZN7rocprim17ROCPRIM_400000_NS6detail17trampoline_kernelINS0_14default_configENS1_20scan_config_selectorIiEEZZNS1_9scan_implILNS1_25lookback_scan_determinismE0ELb0ELb0ES3_N6thrust23THRUST_200600_302600_NS6detail15normal_iteratorINS9_10device_ptrIiEEEENSB_INSC_IfEEEEiNS9_4plusIvEEiEEDaPvRmT3_T4_T5_mT6_P12ihipStream_tbENKUlT_T0_E_clISt17integral_constantIbLb1EESW_EEDaSR_SS_EUlSR_E_NS1_11comp_targetILNS1_3genE8ELNS1_11target_archE1030ELNS1_3gpuE2ELNS1_3repE0EEENS1_30default_config_static_selectorELNS0_4arch9wavefront6targetE1EEEvT1_
    .private_segment_fixed_size: 0
    .sgpr_count:     4
    .sgpr_spill_count: 0
    .symbol:         _ZN7rocprim17ROCPRIM_400000_NS6detail17trampoline_kernelINS0_14default_configENS1_20scan_config_selectorIiEEZZNS1_9scan_implILNS1_25lookback_scan_determinismE0ELb0ELb0ES3_N6thrust23THRUST_200600_302600_NS6detail15normal_iteratorINS9_10device_ptrIiEEEENSB_INSC_IfEEEEiNS9_4plusIvEEiEEDaPvRmT3_T4_T5_mT6_P12ihipStream_tbENKUlT_T0_E_clISt17integral_constantIbLb1EESW_EEDaSR_SS_EUlSR_E_NS1_11comp_targetILNS1_3genE8ELNS1_11target_archE1030ELNS1_3gpuE2ELNS1_3repE0EEENS1_30default_config_static_selectorELNS0_4arch9wavefront6targetE1EEEvT1_.kd
    .uniform_work_group_size: 1
    .uses_dynamic_stack: false
    .vgpr_count:     0
    .vgpr_spill_count: 0
    .wavefront_size: 64
  - .agpr_count:     0
    .args:
      - .offset:         0
        .size:           32
        .value_kind:     by_value
    .group_segment_fixed_size: 0
    .kernarg_segment_align: 8
    .kernarg_segment_size: 32
    .language:       OpenCL C
    .language_version:
      - 2
      - 0
    .max_flat_workgroup_size: 256
    .name:           _ZN7rocprim17ROCPRIM_400000_NS6detail17trampoline_kernelINS0_14default_configENS1_20scan_config_selectorIiEEZZNS1_9scan_implILNS1_25lookback_scan_determinismE0ELb0ELb0ES3_N6thrust23THRUST_200600_302600_NS6detail15normal_iteratorINS9_10device_ptrIiEEEENSB_INSC_IfEEEEiNS9_4plusIvEEiEEDaPvRmT3_T4_T5_mT6_P12ihipStream_tbENKUlT_T0_E_clISt17integral_constantIbLb1EESW_EEDaSR_SS_EUlSR_E0_NS1_11comp_targetILNS1_3genE0ELNS1_11target_archE4294967295ELNS1_3gpuE0ELNS1_3repE0EEENS1_30default_config_static_selectorELNS0_4arch9wavefront6targetE1EEEvT1_
    .private_segment_fixed_size: 0
    .sgpr_count:     4
    .sgpr_spill_count: 0
    .symbol:         _ZN7rocprim17ROCPRIM_400000_NS6detail17trampoline_kernelINS0_14default_configENS1_20scan_config_selectorIiEEZZNS1_9scan_implILNS1_25lookback_scan_determinismE0ELb0ELb0ES3_N6thrust23THRUST_200600_302600_NS6detail15normal_iteratorINS9_10device_ptrIiEEEENSB_INSC_IfEEEEiNS9_4plusIvEEiEEDaPvRmT3_T4_T5_mT6_P12ihipStream_tbENKUlT_T0_E_clISt17integral_constantIbLb1EESW_EEDaSR_SS_EUlSR_E0_NS1_11comp_targetILNS1_3genE0ELNS1_11target_archE4294967295ELNS1_3gpuE0ELNS1_3repE0EEENS1_30default_config_static_selectorELNS0_4arch9wavefront6targetE1EEEvT1_.kd
    .uniform_work_group_size: 1
    .uses_dynamic_stack: false
    .vgpr_count:     0
    .vgpr_spill_count: 0
    .wavefront_size: 64
  - .agpr_count:     0
    .args:
      - .offset:         0
        .size:           32
        .value_kind:     by_value
    .group_segment_fixed_size: 0
    .kernarg_segment_align: 8
    .kernarg_segment_size: 32
    .language:       OpenCL C
    .language_version:
      - 2
      - 0
    .max_flat_workgroup_size: 256
    .name:           _ZN7rocprim17ROCPRIM_400000_NS6detail17trampoline_kernelINS0_14default_configENS1_20scan_config_selectorIiEEZZNS1_9scan_implILNS1_25lookback_scan_determinismE0ELb0ELb0ES3_N6thrust23THRUST_200600_302600_NS6detail15normal_iteratorINS9_10device_ptrIiEEEENSB_INSC_IfEEEEiNS9_4plusIvEEiEEDaPvRmT3_T4_T5_mT6_P12ihipStream_tbENKUlT_T0_E_clISt17integral_constantIbLb1EESW_EEDaSR_SS_EUlSR_E0_NS1_11comp_targetILNS1_3genE5ELNS1_11target_archE942ELNS1_3gpuE9ELNS1_3repE0EEENS1_30default_config_static_selectorELNS0_4arch9wavefront6targetE1EEEvT1_
    .private_segment_fixed_size: 0
    .sgpr_count:     4
    .sgpr_spill_count: 0
    .symbol:         _ZN7rocprim17ROCPRIM_400000_NS6detail17trampoline_kernelINS0_14default_configENS1_20scan_config_selectorIiEEZZNS1_9scan_implILNS1_25lookback_scan_determinismE0ELb0ELb0ES3_N6thrust23THRUST_200600_302600_NS6detail15normal_iteratorINS9_10device_ptrIiEEEENSB_INSC_IfEEEEiNS9_4plusIvEEiEEDaPvRmT3_T4_T5_mT6_P12ihipStream_tbENKUlT_T0_E_clISt17integral_constantIbLb1EESW_EEDaSR_SS_EUlSR_E0_NS1_11comp_targetILNS1_3genE5ELNS1_11target_archE942ELNS1_3gpuE9ELNS1_3repE0EEENS1_30default_config_static_selectorELNS0_4arch9wavefront6targetE1EEEvT1_.kd
    .uniform_work_group_size: 1
    .uses_dynamic_stack: false
    .vgpr_count:     0
    .vgpr_spill_count: 0
    .wavefront_size: 64
  - .agpr_count:     0
    .args:
      - .offset:         0
        .size:           32
        .value_kind:     by_value
    .group_segment_fixed_size: 5120
    .kernarg_segment_align: 8
    .kernarg_segment_size: 32
    .language:       OpenCL C
    .language_version:
      - 2
      - 0
    .max_flat_workgroup_size: 128
    .name:           _ZN7rocprim17ROCPRIM_400000_NS6detail17trampoline_kernelINS0_14default_configENS1_20scan_config_selectorIiEEZZNS1_9scan_implILNS1_25lookback_scan_determinismE0ELb0ELb0ES3_N6thrust23THRUST_200600_302600_NS6detail15normal_iteratorINS9_10device_ptrIiEEEENSB_INSC_IfEEEEiNS9_4plusIvEEiEEDaPvRmT3_T4_T5_mT6_P12ihipStream_tbENKUlT_T0_E_clISt17integral_constantIbLb1EESW_EEDaSR_SS_EUlSR_E0_NS1_11comp_targetILNS1_3genE4ELNS1_11target_archE910ELNS1_3gpuE8ELNS1_3repE0EEENS1_30default_config_static_selectorELNS0_4arch9wavefront6targetE1EEEvT1_
    .private_segment_fixed_size: 0
    .sgpr_count:     28
    .sgpr_spill_count: 0
    .symbol:         _ZN7rocprim17ROCPRIM_400000_NS6detail17trampoline_kernelINS0_14default_configENS1_20scan_config_selectorIiEEZZNS1_9scan_implILNS1_25lookback_scan_determinismE0ELb0ELb0ES3_N6thrust23THRUST_200600_302600_NS6detail15normal_iteratorINS9_10device_ptrIiEEEENSB_INSC_IfEEEEiNS9_4plusIvEEiEEDaPvRmT3_T4_T5_mT6_P12ihipStream_tbENKUlT_T0_E_clISt17integral_constantIbLb1EESW_EEDaSR_SS_EUlSR_E0_NS1_11comp_targetILNS1_3genE4ELNS1_11target_archE910ELNS1_3gpuE8ELNS1_3repE0EEENS1_30default_config_static_selectorELNS0_4arch9wavefront6targetE1EEEvT1_.kd
    .uniform_work_group_size: 1
    .uses_dynamic_stack: false
    .vgpr_count:     27
    .vgpr_spill_count: 0
    .wavefront_size: 64
  - .agpr_count:     0
    .args:
      - .offset:         0
        .size:           32
        .value_kind:     by_value
    .group_segment_fixed_size: 0
    .kernarg_segment_align: 8
    .kernarg_segment_size: 32
    .language:       OpenCL C
    .language_version:
      - 2
      - 0
    .max_flat_workgroup_size: 256
    .name:           _ZN7rocprim17ROCPRIM_400000_NS6detail17trampoline_kernelINS0_14default_configENS1_20scan_config_selectorIiEEZZNS1_9scan_implILNS1_25lookback_scan_determinismE0ELb0ELb0ES3_N6thrust23THRUST_200600_302600_NS6detail15normal_iteratorINS9_10device_ptrIiEEEENSB_INSC_IfEEEEiNS9_4plusIvEEiEEDaPvRmT3_T4_T5_mT6_P12ihipStream_tbENKUlT_T0_E_clISt17integral_constantIbLb1EESW_EEDaSR_SS_EUlSR_E0_NS1_11comp_targetILNS1_3genE3ELNS1_11target_archE908ELNS1_3gpuE7ELNS1_3repE0EEENS1_30default_config_static_selectorELNS0_4arch9wavefront6targetE1EEEvT1_
    .private_segment_fixed_size: 0
    .sgpr_count:     4
    .sgpr_spill_count: 0
    .symbol:         _ZN7rocprim17ROCPRIM_400000_NS6detail17trampoline_kernelINS0_14default_configENS1_20scan_config_selectorIiEEZZNS1_9scan_implILNS1_25lookback_scan_determinismE0ELb0ELb0ES3_N6thrust23THRUST_200600_302600_NS6detail15normal_iteratorINS9_10device_ptrIiEEEENSB_INSC_IfEEEEiNS9_4plusIvEEiEEDaPvRmT3_T4_T5_mT6_P12ihipStream_tbENKUlT_T0_E_clISt17integral_constantIbLb1EESW_EEDaSR_SS_EUlSR_E0_NS1_11comp_targetILNS1_3genE3ELNS1_11target_archE908ELNS1_3gpuE7ELNS1_3repE0EEENS1_30default_config_static_selectorELNS0_4arch9wavefront6targetE1EEEvT1_.kd
    .uniform_work_group_size: 1
    .uses_dynamic_stack: false
    .vgpr_count:     0
    .vgpr_spill_count: 0
    .wavefront_size: 64
  - .agpr_count:     0
    .args:
      - .offset:         0
        .size:           32
        .value_kind:     by_value
    .group_segment_fixed_size: 0
    .kernarg_segment_align: 8
    .kernarg_segment_size: 32
    .language:       OpenCL C
    .language_version:
      - 2
      - 0
    .max_flat_workgroup_size: 256
    .name:           _ZN7rocprim17ROCPRIM_400000_NS6detail17trampoline_kernelINS0_14default_configENS1_20scan_config_selectorIiEEZZNS1_9scan_implILNS1_25lookback_scan_determinismE0ELb0ELb0ES3_N6thrust23THRUST_200600_302600_NS6detail15normal_iteratorINS9_10device_ptrIiEEEENSB_INSC_IfEEEEiNS9_4plusIvEEiEEDaPvRmT3_T4_T5_mT6_P12ihipStream_tbENKUlT_T0_E_clISt17integral_constantIbLb1EESW_EEDaSR_SS_EUlSR_E0_NS1_11comp_targetILNS1_3genE2ELNS1_11target_archE906ELNS1_3gpuE6ELNS1_3repE0EEENS1_30default_config_static_selectorELNS0_4arch9wavefront6targetE1EEEvT1_
    .private_segment_fixed_size: 0
    .sgpr_count:     4
    .sgpr_spill_count: 0
    .symbol:         _ZN7rocprim17ROCPRIM_400000_NS6detail17trampoline_kernelINS0_14default_configENS1_20scan_config_selectorIiEEZZNS1_9scan_implILNS1_25lookback_scan_determinismE0ELb0ELb0ES3_N6thrust23THRUST_200600_302600_NS6detail15normal_iteratorINS9_10device_ptrIiEEEENSB_INSC_IfEEEEiNS9_4plusIvEEiEEDaPvRmT3_T4_T5_mT6_P12ihipStream_tbENKUlT_T0_E_clISt17integral_constantIbLb1EESW_EEDaSR_SS_EUlSR_E0_NS1_11comp_targetILNS1_3genE2ELNS1_11target_archE906ELNS1_3gpuE6ELNS1_3repE0EEENS1_30default_config_static_selectorELNS0_4arch9wavefront6targetE1EEEvT1_.kd
    .uniform_work_group_size: 1
    .uses_dynamic_stack: false
    .vgpr_count:     0
    .vgpr_spill_count: 0
    .wavefront_size: 64
  - .agpr_count:     0
    .args:
      - .offset:         0
        .size:           32
        .value_kind:     by_value
    .group_segment_fixed_size: 0
    .kernarg_segment_align: 8
    .kernarg_segment_size: 32
    .language:       OpenCL C
    .language_version:
      - 2
      - 0
    .max_flat_workgroup_size: 256
    .name:           _ZN7rocprim17ROCPRIM_400000_NS6detail17trampoline_kernelINS0_14default_configENS1_20scan_config_selectorIiEEZZNS1_9scan_implILNS1_25lookback_scan_determinismE0ELb0ELb0ES3_N6thrust23THRUST_200600_302600_NS6detail15normal_iteratorINS9_10device_ptrIiEEEENSB_INSC_IfEEEEiNS9_4plusIvEEiEEDaPvRmT3_T4_T5_mT6_P12ihipStream_tbENKUlT_T0_E_clISt17integral_constantIbLb1EESW_EEDaSR_SS_EUlSR_E0_NS1_11comp_targetILNS1_3genE10ELNS1_11target_archE1201ELNS1_3gpuE5ELNS1_3repE0EEENS1_30default_config_static_selectorELNS0_4arch9wavefront6targetE1EEEvT1_
    .private_segment_fixed_size: 0
    .sgpr_count:     4
    .sgpr_spill_count: 0
    .symbol:         _ZN7rocprim17ROCPRIM_400000_NS6detail17trampoline_kernelINS0_14default_configENS1_20scan_config_selectorIiEEZZNS1_9scan_implILNS1_25lookback_scan_determinismE0ELb0ELb0ES3_N6thrust23THRUST_200600_302600_NS6detail15normal_iteratorINS9_10device_ptrIiEEEENSB_INSC_IfEEEEiNS9_4plusIvEEiEEDaPvRmT3_T4_T5_mT6_P12ihipStream_tbENKUlT_T0_E_clISt17integral_constantIbLb1EESW_EEDaSR_SS_EUlSR_E0_NS1_11comp_targetILNS1_3genE10ELNS1_11target_archE1201ELNS1_3gpuE5ELNS1_3repE0EEENS1_30default_config_static_selectorELNS0_4arch9wavefront6targetE1EEEvT1_.kd
    .uniform_work_group_size: 1
    .uses_dynamic_stack: false
    .vgpr_count:     0
    .vgpr_spill_count: 0
    .wavefront_size: 64
  - .agpr_count:     0
    .args:
      - .offset:         0
        .size:           32
        .value_kind:     by_value
    .group_segment_fixed_size: 0
    .kernarg_segment_align: 8
    .kernarg_segment_size: 32
    .language:       OpenCL C
    .language_version:
      - 2
      - 0
    .max_flat_workgroup_size: 256
    .name:           _ZN7rocprim17ROCPRIM_400000_NS6detail17trampoline_kernelINS0_14default_configENS1_20scan_config_selectorIiEEZZNS1_9scan_implILNS1_25lookback_scan_determinismE0ELb0ELb0ES3_N6thrust23THRUST_200600_302600_NS6detail15normal_iteratorINS9_10device_ptrIiEEEENSB_INSC_IfEEEEiNS9_4plusIvEEiEEDaPvRmT3_T4_T5_mT6_P12ihipStream_tbENKUlT_T0_E_clISt17integral_constantIbLb1EESW_EEDaSR_SS_EUlSR_E0_NS1_11comp_targetILNS1_3genE10ELNS1_11target_archE1200ELNS1_3gpuE4ELNS1_3repE0EEENS1_30default_config_static_selectorELNS0_4arch9wavefront6targetE1EEEvT1_
    .private_segment_fixed_size: 0
    .sgpr_count:     4
    .sgpr_spill_count: 0
    .symbol:         _ZN7rocprim17ROCPRIM_400000_NS6detail17trampoline_kernelINS0_14default_configENS1_20scan_config_selectorIiEEZZNS1_9scan_implILNS1_25lookback_scan_determinismE0ELb0ELb0ES3_N6thrust23THRUST_200600_302600_NS6detail15normal_iteratorINS9_10device_ptrIiEEEENSB_INSC_IfEEEEiNS9_4plusIvEEiEEDaPvRmT3_T4_T5_mT6_P12ihipStream_tbENKUlT_T0_E_clISt17integral_constantIbLb1EESW_EEDaSR_SS_EUlSR_E0_NS1_11comp_targetILNS1_3genE10ELNS1_11target_archE1200ELNS1_3gpuE4ELNS1_3repE0EEENS1_30default_config_static_selectorELNS0_4arch9wavefront6targetE1EEEvT1_.kd
    .uniform_work_group_size: 1
    .uses_dynamic_stack: false
    .vgpr_count:     0
    .vgpr_spill_count: 0
    .wavefront_size: 64
  - .agpr_count:     0
    .args:
      - .offset:         0
        .size:           32
        .value_kind:     by_value
    .group_segment_fixed_size: 0
    .kernarg_segment_align: 8
    .kernarg_segment_size: 32
    .language:       OpenCL C
    .language_version:
      - 2
      - 0
    .max_flat_workgroup_size: 256
    .name:           _ZN7rocprim17ROCPRIM_400000_NS6detail17trampoline_kernelINS0_14default_configENS1_20scan_config_selectorIiEEZZNS1_9scan_implILNS1_25lookback_scan_determinismE0ELb0ELb0ES3_N6thrust23THRUST_200600_302600_NS6detail15normal_iteratorINS9_10device_ptrIiEEEENSB_INSC_IfEEEEiNS9_4plusIvEEiEEDaPvRmT3_T4_T5_mT6_P12ihipStream_tbENKUlT_T0_E_clISt17integral_constantIbLb1EESW_EEDaSR_SS_EUlSR_E0_NS1_11comp_targetILNS1_3genE9ELNS1_11target_archE1100ELNS1_3gpuE3ELNS1_3repE0EEENS1_30default_config_static_selectorELNS0_4arch9wavefront6targetE1EEEvT1_
    .private_segment_fixed_size: 0
    .sgpr_count:     4
    .sgpr_spill_count: 0
    .symbol:         _ZN7rocprim17ROCPRIM_400000_NS6detail17trampoline_kernelINS0_14default_configENS1_20scan_config_selectorIiEEZZNS1_9scan_implILNS1_25lookback_scan_determinismE0ELb0ELb0ES3_N6thrust23THRUST_200600_302600_NS6detail15normal_iteratorINS9_10device_ptrIiEEEENSB_INSC_IfEEEEiNS9_4plusIvEEiEEDaPvRmT3_T4_T5_mT6_P12ihipStream_tbENKUlT_T0_E_clISt17integral_constantIbLb1EESW_EEDaSR_SS_EUlSR_E0_NS1_11comp_targetILNS1_3genE9ELNS1_11target_archE1100ELNS1_3gpuE3ELNS1_3repE0EEENS1_30default_config_static_selectorELNS0_4arch9wavefront6targetE1EEEvT1_.kd
    .uniform_work_group_size: 1
    .uses_dynamic_stack: false
    .vgpr_count:     0
    .vgpr_spill_count: 0
    .wavefront_size: 64
  - .agpr_count:     0
    .args:
      - .offset:         0
        .size:           32
        .value_kind:     by_value
    .group_segment_fixed_size: 0
    .kernarg_segment_align: 8
    .kernarg_segment_size: 32
    .language:       OpenCL C
    .language_version:
      - 2
      - 0
    .max_flat_workgroup_size: 64
    .name:           _ZN7rocprim17ROCPRIM_400000_NS6detail17trampoline_kernelINS0_14default_configENS1_20scan_config_selectorIiEEZZNS1_9scan_implILNS1_25lookback_scan_determinismE0ELb0ELb0ES3_N6thrust23THRUST_200600_302600_NS6detail15normal_iteratorINS9_10device_ptrIiEEEENSB_INSC_IfEEEEiNS9_4plusIvEEiEEDaPvRmT3_T4_T5_mT6_P12ihipStream_tbENKUlT_T0_E_clISt17integral_constantIbLb1EESW_EEDaSR_SS_EUlSR_E0_NS1_11comp_targetILNS1_3genE8ELNS1_11target_archE1030ELNS1_3gpuE2ELNS1_3repE0EEENS1_30default_config_static_selectorELNS0_4arch9wavefront6targetE1EEEvT1_
    .private_segment_fixed_size: 0
    .sgpr_count:     4
    .sgpr_spill_count: 0
    .symbol:         _ZN7rocprim17ROCPRIM_400000_NS6detail17trampoline_kernelINS0_14default_configENS1_20scan_config_selectorIiEEZZNS1_9scan_implILNS1_25lookback_scan_determinismE0ELb0ELb0ES3_N6thrust23THRUST_200600_302600_NS6detail15normal_iteratorINS9_10device_ptrIiEEEENSB_INSC_IfEEEEiNS9_4plusIvEEiEEDaPvRmT3_T4_T5_mT6_P12ihipStream_tbENKUlT_T0_E_clISt17integral_constantIbLb1EESW_EEDaSR_SS_EUlSR_E0_NS1_11comp_targetILNS1_3genE8ELNS1_11target_archE1030ELNS1_3gpuE2ELNS1_3repE0EEENS1_30default_config_static_selectorELNS0_4arch9wavefront6targetE1EEEvT1_.kd
    .uniform_work_group_size: 1
    .uses_dynamic_stack: false
    .vgpr_count:     0
    .vgpr_spill_count: 0
    .wavefront_size: 64
  - .agpr_count:     0
    .args:
      - .offset:         0
        .size:           96
        .value_kind:     by_value
    .group_segment_fixed_size: 0
    .kernarg_segment_align: 8
    .kernarg_segment_size: 96
    .language:       OpenCL C
    .language_version:
      - 2
      - 0
    .max_flat_workgroup_size: 256
    .name:           _ZN7rocprim17ROCPRIM_400000_NS6detail17trampoline_kernelINS0_14default_configENS1_20scan_config_selectorIiEEZZNS1_9scan_implILNS1_25lookback_scan_determinismE0ELb0ELb0ES3_N6thrust23THRUST_200600_302600_NS6detail15normal_iteratorINS9_10device_ptrIiEEEENSB_INSC_IfEEEEiNS9_4plusIvEEiEEDaPvRmT3_T4_T5_mT6_P12ihipStream_tbENKUlT_T0_E_clISt17integral_constantIbLb1EESV_IbLb0EEEEDaSR_SS_EUlSR_E_NS1_11comp_targetILNS1_3genE0ELNS1_11target_archE4294967295ELNS1_3gpuE0ELNS1_3repE0EEENS1_30default_config_static_selectorELNS0_4arch9wavefront6targetE1EEEvT1_
    .private_segment_fixed_size: 0
    .sgpr_count:     4
    .sgpr_spill_count: 0
    .symbol:         _ZN7rocprim17ROCPRIM_400000_NS6detail17trampoline_kernelINS0_14default_configENS1_20scan_config_selectorIiEEZZNS1_9scan_implILNS1_25lookback_scan_determinismE0ELb0ELb0ES3_N6thrust23THRUST_200600_302600_NS6detail15normal_iteratorINS9_10device_ptrIiEEEENSB_INSC_IfEEEEiNS9_4plusIvEEiEEDaPvRmT3_T4_T5_mT6_P12ihipStream_tbENKUlT_T0_E_clISt17integral_constantIbLb1EESV_IbLb0EEEEDaSR_SS_EUlSR_E_NS1_11comp_targetILNS1_3genE0ELNS1_11target_archE4294967295ELNS1_3gpuE0ELNS1_3repE0EEENS1_30default_config_static_selectorELNS0_4arch9wavefront6targetE1EEEvT1_.kd
    .uniform_work_group_size: 1
    .uses_dynamic_stack: false
    .vgpr_count:     0
    .vgpr_spill_count: 0
    .wavefront_size: 64
  - .agpr_count:     0
    .args:
      - .offset:         0
        .size:           96
        .value_kind:     by_value
    .group_segment_fixed_size: 0
    .kernarg_segment_align: 8
    .kernarg_segment_size: 96
    .language:       OpenCL C
    .language_version:
      - 2
      - 0
    .max_flat_workgroup_size: 256
    .name:           _ZN7rocprim17ROCPRIM_400000_NS6detail17trampoline_kernelINS0_14default_configENS1_20scan_config_selectorIiEEZZNS1_9scan_implILNS1_25lookback_scan_determinismE0ELb0ELb0ES3_N6thrust23THRUST_200600_302600_NS6detail15normal_iteratorINS9_10device_ptrIiEEEENSB_INSC_IfEEEEiNS9_4plusIvEEiEEDaPvRmT3_T4_T5_mT6_P12ihipStream_tbENKUlT_T0_E_clISt17integral_constantIbLb1EESV_IbLb0EEEEDaSR_SS_EUlSR_E_NS1_11comp_targetILNS1_3genE5ELNS1_11target_archE942ELNS1_3gpuE9ELNS1_3repE0EEENS1_30default_config_static_selectorELNS0_4arch9wavefront6targetE1EEEvT1_
    .private_segment_fixed_size: 0
    .sgpr_count:     4
    .sgpr_spill_count: 0
    .symbol:         _ZN7rocprim17ROCPRIM_400000_NS6detail17trampoline_kernelINS0_14default_configENS1_20scan_config_selectorIiEEZZNS1_9scan_implILNS1_25lookback_scan_determinismE0ELb0ELb0ES3_N6thrust23THRUST_200600_302600_NS6detail15normal_iteratorINS9_10device_ptrIiEEEENSB_INSC_IfEEEEiNS9_4plusIvEEiEEDaPvRmT3_T4_T5_mT6_P12ihipStream_tbENKUlT_T0_E_clISt17integral_constantIbLb1EESV_IbLb0EEEEDaSR_SS_EUlSR_E_NS1_11comp_targetILNS1_3genE5ELNS1_11target_archE942ELNS1_3gpuE9ELNS1_3repE0EEENS1_30default_config_static_selectorELNS0_4arch9wavefront6targetE1EEEvT1_.kd
    .uniform_work_group_size: 1
    .uses_dynamic_stack: false
    .vgpr_count:     0
    .vgpr_spill_count: 0
    .wavefront_size: 64
  - .agpr_count:     0
    .args:
      - .offset:         0
        .size:           96
        .value_kind:     by_value
    .group_segment_fixed_size: 5120
    .kernarg_segment_align: 8
    .kernarg_segment_size: 96
    .language:       OpenCL C
    .language_version:
      - 2
      - 0
    .max_flat_workgroup_size: 128
    .name:           _ZN7rocprim17ROCPRIM_400000_NS6detail17trampoline_kernelINS0_14default_configENS1_20scan_config_selectorIiEEZZNS1_9scan_implILNS1_25lookback_scan_determinismE0ELb0ELb0ES3_N6thrust23THRUST_200600_302600_NS6detail15normal_iteratorINS9_10device_ptrIiEEEENSB_INSC_IfEEEEiNS9_4plusIvEEiEEDaPvRmT3_T4_T5_mT6_P12ihipStream_tbENKUlT_T0_E_clISt17integral_constantIbLb1EESV_IbLb0EEEEDaSR_SS_EUlSR_E_NS1_11comp_targetILNS1_3genE4ELNS1_11target_archE910ELNS1_3gpuE8ELNS1_3repE0EEENS1_30default_config_static_selectorELNS0_4arch9wavefront6targetE1EEEvT1_
    .private_segment_fixed_size: 0
    .sgpr_count:     32
    .sgpr_spill_count: 0
    .symbol:         _ZN7rocprim17ROCPRIM_400000_NS6detail17trampoline_kernelINS0_14default_configENS1_20scan_config_selectorIiEEZZNS1_9scan_implILNS1_25lookback_scan_determinismE0ELb0ELb0ES3_N6thrust23THRUST_200600_302600_NS6detail15normal_iteratorINS9_10device_ptrIiEEEENSB_INSC_IfEEEEiNS9_4plusIvEEiEEDaPvRmT3_T4_T5_mT6_P12ihipStream_tbENKUlT_T0_E_clISt17integral_constantIbLb1EESV_IbLb0EEEEDaSR_SS_EUlSR_E_NS1_11comp_targetILNS1_3genE4ELNS1_11target_archE910ELNS1_3gpuE8ELNS1_3repE0EEENS1_30default_config_static_selectorELNS0_4arch9wavefront6targetE1EEEvT1_.kd
    .uniform_work_group_size: 1
    .uses_dynamic_stack: false
    .vgpr_count:     40
    .vgpr_spill_count: 0
    .wavefront_size: 64
  - .agpr_count:     0
    .args:
      - .offset:         0
        .size:           96
        .value_kind:     by_value
    .group_segment_fixed_size: 0
    .kernarg_segment_align: 8
    .kernarg_segment_size: 96
    .language:       OpenCL C
    .language_version:
      - 2
      - 0
    .max_flat_workgroup_size: 256
    .name:           _ZN7rocprim17ROCPRIM_400000_NS6detail17trampoline_kernelINS0_14default_configENS1_20scan_config_selectorIiEEZZNS1_9scan_implILNS1_25lookback_scan_determinismE0ELb0ELb0ES3_N6thrust23THRUST_200600_302600_NS6detail15normal_iteratorINS9_10device_ptrIiEEEENSB_INSC_IfEEEEiNS9_4plusIvEEiEEDaPvRmT3_T4_T5_mT6_P12ihipStream_tbENKUlT_T0_E_clISt17integral_constantIbLb1EESV_IbLb0EEEEDaSR_SS_EUlSR_E_NS1_11comp_targetILNS1_3genE3ELNS1_11target_archE908ELNS1_3gpuE7ELNS1_3repE0EEENS1_30default_config_static_selectorELNS0_4arch9wavefront6targetE1EEEvT1_
    .private_segment_fixed_size: 0
    .sgpr_count:     4
    .sgpr_spill_count: 0
    .symbol:         _ZN7rocprim17ROCPRIM_400000_NS6detail17trampoline_kernelINS0_14default_configENS1_20scan_config_selectorIiEEZZNS1_9scan_implILNS1_25lookback_scan_determinismE0ELb0ELb0ES3_N6thrust23THRUST_200600_302600_NS6detail15normal_iteratorINS9_10device_ptrIiEEEENSB_INSC_IfEEEEiNS9_4plusIvEEiEEDaPvRmT3_T4_T5_mT6_P12ihipStream_tbENKUlT_T0_E_clISt17integral_constantIbLb1EESV_IbLb0EEEEDaSR_SS_EUlSR_E_NS1_11comp_targetILNS1_3genE3ELNS1_11target_archE908ELNS1_3gpuE7ELNS1_3repE0EEENS1_30default_config_static_selectorELNS0_4arch9wavefront6targetE1EEEvT1_.kd
    .uniform_work_group_size: 1
    .uses_dynamic_stack: false
    .vgpr_count:     0
    .vgpr_spill_count: 0
    .wavefront_size: 64
  - .agpr_count:     0
    .args:
      - .offset:         0
        .size:           96
        .value_kind:     by_value
    .group_segment_fixed_size: 0
    .kernarg_segment_align: 8
    .kernarg_segment_size: 96
    .language:       OpenCL C
    .language_version:
      - 2
      - 0
    .max_flat_workgroup_size: 256
    .name:           _ZN7rocprim17ROCPRIM_400000_NS6detail17trampoline_kernelINS0_14default_configENS1_20scan_config_selectorIiEEZZNS1_9scan_implILNS1_25lookback_scan_determinismE0ELb0ELb0ES3_N6thrust23THRUST_200600_302600_NS6detail15normal_iteratorINS9_10device_ptrIiEEEENSB_INSC_IfEEEEiNS9_4plusIvEEiEEDaPvRmT3_T4_T5_mT6_P12ihipStream_tbENKUlT_T0_E_clISt17integral_constantIbLb1EESV_IbLb0EEEEDaSR_SS_EUlSR_E_NS1_11comp_targetILNS1_3genE2ELNS1_11target_archE906ELNS1_3gpuE6ELNS1_3repE0EEENS1_30default_config_static_selectorELNS0_4arch9wavefront6targetE1EEEvT1_
    .private_segment_fixed_size: 0
    .sgpr_count:     4
    .sgpr_spill_count: 0
    .symbol:         _ZN7rocprim17ROCPRIM_400000_NS6detail17trampoline_kernelINS0_14default_configENS1_20scan_config_selectorIiEEZZNS1_9scan_implILNS1_25lookback_scan_determinismE0ELb0ELb0ES3_N6thrust23THRUST_200600_302600_NS6detail15normal_iteratorINS9_10device_ptrIiEEEENSB_INSC_IfEEEEiNS9_4plusIvEEiEEDaPvRmT3_T4_T5_mT6_P12ihipStream_tbENKUlT_T0_E_clISt17integral_constantIbLb1EESV_IbLb0EEEEDaSR_SS_EUlSR_E_NS1_11comp_targetILNS1_3genE2ELNS1_11target_archE906ELNS1_3gpuE6ELNS1_3repE0EEENS1_30default_config_static_selectorELNS0_4arch9wavefront6targetE1EEEvT1_.kd
    .uniform_work_group_size: 1
    .uses_dynamic_stack: false
    .vgpr_count:     0
    .vgpr_spill_count: 0
    .wavefront_size: 64
  - .agpr_count:     0
    .args:
      - .offset:         0
        .size:           96
        .value_kind:     by_value
    .group_segment_fixed_size: 0
    .kernarg_segment_align: 8
    .kernarg_segment_size: 96
    .language:       OpenCL C
    .language_version:
      - 2
      - 0
    .max_flat_workgroup_size: 256
    .name:           _ZN7rocprim17ROCPRIM_400000_NS6detail17trampoline_kernelINS0_14default_configENS1_20scan_config_selectorIiEEZZNS1_9scan_implILNS1_25lookback_scan_determinismE0ELb0ELb0ES3_N6thrust23THRUST_200600_302600_NS6detail15normal_iteratorINS9_10device_ptrIiEEEENSB_INSC_IfEEEEiNS9_4plusIvEEiEEDaPvRmT3_T4_T5_mT6_P12ihipStream_tbENKUlT_T0_E_clISt17integral_constantIbLb1EESV_IbLb0EEEEDaSR_SS_EUlSR_E_NS1_11comp_targetILNS1_3genE10ELNS1_11target_archE1201ELNS1_3gpuE5ELNS1_3repE0EEENS1_30default_config_static_selectorELNS0_4arch9wavefront6targetE1EEEvT1_
    .private_segment_fixed_size: 0
    .sgpr_count:     4
    .sgpr_spill_count: 0
    .symbol:         _ZN7rocprim17ROCPRIM_400000_NS6detail17trampoline_kernelINS0_14default_configENS1_20scan_config_selectorIiEEZZNS1_9scan_implILNS1_25lookback_scan_determinismE0ELb0ELb0ES3_N6thrust23THRUST_200600_302600_NS6detail15normal_iteratorINS9_10device_ptrIiEEEENSB_INSC_IfEEEEiNS9_4plusIvEEiEEDaPvRmT3_T4_T5_mT6_P12ihipStream_tbENKUlT_T0_E_clISt17integral_constantIbLb1EESV_IbLb0EEEEDaSR_SS_EUlSR_E_NS1_11comp_targetILNS1_3genE10ELNS1_11target_archE1201ELNS1_3gpuE5ELNS1_3repE0EEENS1_30default_config_static_selectorELNS0_4arch9wavefront6targetE1EEEvT1_.kd
    .uniform_work_group_size: 1
    .uses_dynamic_stack: false
    .vgpr_count:     0
    .vgpr_spill_count: 0
    .wavefront_size: 64
  - .agpr_count:     0
    .args:
      - .offset:         0
        .size:           96
        .value_kind:     by_value
    .group_segment_fixed_size: 0
    .kernarg_segment_align: 8
    .kernarg_segment_size: 96
    .language:       OpenCL C
    .language_version:
      - 2
      - 0
    .max_flat_workgroup_size: 256
    .name:           _ZN7rocprim17ROCPRIM_400000_NS6detail17trampoline_kernelINS0_14default_configENS1_20scan_config_selectorIiEEZZNS1_9scan_implILNS1_25lookback_scan_determinismE0ELb0ELb0ES3_N6thrust23THRUST_200600_302600_NS6detail15normal_iteratorINS9_10device_ptrIiEEEENSB_INSC_IfEEEEiNS9_4plusIvEEiEEDaPvRmT3_T4_T5_mT6_P12ihipStream_tbENKUlT_T0_E_clISt17integral_constantIbLb1EESV_IbLb0EEEEDaSR_SS_EUlSR_E_NS1_11comp_targetILNS1_3genE10ELNS1_11target_archE1200ELNS1_3gpuE4ELNS1_3repE0EEENS1_30default_config_static_selectorELNS0_4arch9wavefront6targetE1EEEvT1_
    .private_segment_fixed_size: 0
    .sgpr_count:     4
    .sgpr_spill_count: 0
    .symbol:         _ZN7rocprim17ROCPRIM_400000_NS6detail17trampoline_kernelINS0_14default_configENS1_20scan_config_selectorIiEEZZNS1_9scan_implILNS1_25lookback_scan_determinismE0ELb0ELb0ES3_N6thrust23THRUST_200600_302600_NS6detail15normal_iteratorINS9_10device_ptrIiEEEENSB_INSC_IfEEEEiNS9_4plusIvEEiEEDaPvRmT3_T4_T5_mT6_P12ihipStream_tbENKUlT_T0_E_clISt17integral_constantIbLb1EESV_IbLb0EEEEDaSR_SS_EUlSR_E_NS1_11comp_targetILNS1_3genE10ELNS1_11target_archE1200ELNS1_3gpuE4ELNS1_3repE0EEENS1_30default_config_static_selectorELNS0_4arch9wavefront6targetE1EEEvT1_.kd
    .uniform_work_group_size: 1
    .uses_dynamic_stack: false
    .vgpr_count:     0
    .vgpr_spill_count: 0
    .wavefront_size: 64
  - .agpr_count:     0
    .args:
      - .offset:         0
        .size:           96
        .value_kind:     by_value
    .group_segment_fixed_size: 0
    .kernarg_segment_align: 8
    .kernarg_segment_size: 96
    .language:       OpenCL C
    .language_version:
      - 2
      - 0
    .max_flat_workgroup_size: 256
    .name:           _ZN7rocprim17ROCPRIM_400000_NS6detail17trampoline_kernelINS0_14default_configENS1_20scan_config_selectorIiEEZZNS1_9scan_implILNS1_25lookback_scan_determinismE0ELb0ELb0ES3_N6thrust23THRUST_200600_302600_NS6detail15normal_iteratorINS9_10device_ptrIiEEEENSB_INSC_IfEEEEiNS9_4plusIvEEiEEDaPvRmT3_T4_T5_mT6_P12ihipStream_tbENKUlT_T0_E_clISt17integral_constantIbLb1EESV_IbLb0EEEEDaSR_SS_EUlSR_E_NS1_11comp_targetILNS1_3genE9ELNS1_11target_archE1100ELNS1_3gpuE3ELNS1_3repE0EEENS1_30default_config_static_selectorELNS0_4arch9wavefront6targetE1EEEvT1_
    .private_segment_fixed_size: 0
    .sgpr_count:     4
    .sgpr_spill_count: 0
    .symbol:         _ZN7rocprim17ROCPRIM_400000_NS6detail17trampoline_kernelINS0_14default_configENS1_20scan_config_selectorIiEEZZNS1_9scan_implILNS1_25lookback_scan_determinismE0ELb0ELb0ES3_N6thrust23THRUST_200600_302600_NS6detail15normal_iteratorINS9_10device_ptrIiEEEENSB_INSC_IfEEEEiNS9_4plusIvEEiEEDaPvRmT3_T4_T5_mT6_P12ihipStream_tbENKUlT_T0_E_clISt17integral_constantIbLb1EESV_IbLb0EEEEDaSR_SS_EUlSR_E_NS1_11comp_targetILNS1_3genE9ELNS1_11target_archE1100ELNS1_3gpuE3ELNS1_3repE0EEENS1_30default_config_static_selectorELNS0_4arch9wavefront6targetE1EEEvT1_.kd
    .uniform_work_group_size: 1
    .uses_dynamic_stack: false
    .vgpr_count:     0
    .vgpr_spill_count: 0
    .wavefront_size: 64
  - .agpr_count:     0
    .args:
      - .offset:         0
        .size:           96
        .value_kind:     by_value
    .group_segment_fixed_size: 0
    .kernarg_segment_align: 8
    .kernarg_segment_size: 96
    .language:       OpenCL C
    .language_version:
      - 2
      - 0
    .max_flat_workgroup_size: 64
    .name:           _ZN7rocprim17ROCPRIM_400000_NS6detail17trampoline_kernelINS0_14default_configENS1_20scan_config_selectorIiEEZZNS1_9scan_implILNS1_25lookback_scan_determinismE0ELb0ELb0ES3_N6thrust23THRUST_200600_302600_NS6detail15normal_iteratorINS9_10device_ptrIiEEEENSB_INSC_IfEEEEiNS9_4plusIvEEiEEDaPvRmT3_T4_T5_mT6_P12ihipStream_tbENKUlT_T0_E_clISt17integral_constantIbLb1EESV_IbLb0EEEEDaSR_SS_EUlSR_E_NS1_11comp_targetILNS1_3genE8ELNS1_11target_archE1030ELNS1_3gpuE2ELNS1_3repE0EEENS1_30default_config_static_selectorELNS0_4arch9wavefront6targetE1EEEvT1_
    .private_segment_fixed_size: 0
    .sgpr_count:     4
    .sgpr_spill_count: 0
    .symbol:         _ZN7rocprim17ROCPRIM_400000_NS6detail17trampoline_kernelINS0_14default_configENS1_20scan_config_selectorIiEEZZNS1_9scan_implILNS1_25lookback_scan_determinismE0ELb0ELb0ES3_N6thrust23THRUST_200600_302600_NS6detail15normal_iteratorINS9_10device_ptrIiEEEENSB_INSC_IfEEEEiNS9_4plusIvEEiEEDaPvRmT3_T4_T5_mT6_P12ihipStream_tbENKUlT_T0_E_clISt17integral_constantIbLb1EESV_IbLb0EEEEDaSR_SS_EUlSR_E_NS1_11comp_targetILNS1_3genE8ELNS1_11target_archE1030ELNS1_3gpuE2ELNS1_3repE0EEENS1_30default_config_static_selectorELNS0_4arch9wavefront6targetE1EEEvT1_.kd
    .uniform_work_group_size: 1
    .uses_dynamic_stack: false
    .vgpr_count:     0
    .vgpr_spill_count: 0
    .wavefront_size: 64
  - .agpr_count:     0
    .args:
      - .offset:         0
        .size:           32
        .value_kind:     by_value
    .group_segment_fixed_size: 0
    .kernarg_segment_align: 8
    .kernarg_segment_size: 32
    .language:       OpenCL C
    .language_version:
      - 2
      - 0
    .max_flat_workgroup_size: 256
    .name:           _ZN7rocprim17ROCPRIM_400000_NS6detail17trampoline_kernelINS0_14default_configENS1_20scan_config_selectorIiEEZZNS1_9scan_implILNS1_25lookback_scan_determinismE0ELb0ELb0ES3_N6thrust23THRUST_200600_302600_NS6detail15normal_iteratorINS9_10device_ptrIiEEEENSB_INSC_IfEEEEiNS9_4plusIvEEiEEDaPvRmT3_T4_T5_mT6_P12ihipStream_tbENKUlT_T0_E_clISt17integral_constantIbLb1EESV_IbLb0EEEEDaSR_SS_EUlSR_E0_NS1_11comp_targetILNS1_3genE0ELNS1_11target_archE4294967295ELNS1_3gpuE0ELNS1_3repE0EEENS1_30default_config_static_selectorELNS0_4arch9wavefront6targetE1EEEvT1_
    .private_segment_fixed_size: 0
    .sgpr_count:     4
    .sgpr_spill_count: 0
    .symbol:         _ZN7rocprim17ROCPRIM_400000_NS6detail17trampoline_kernelINS0_14default_configENS1_20scan_config_selectorIiEEZZNS1_9scan_implILNS1_25lookback_scan_determinismE0ELb0ELb0ES3_N6thrust23THRUST_200600_302600_NS6detail15normal_iteratorINS9_10device_ptrIiEEEENSB_INSC_IfEEEEiNS9_4plusIvEEiEEDaPvRmT3_T4_T5_mT6_P12ihipStream_tbENKUlT_T0_E_clISt17integral_constantIbLb1EESV_IbLb0EEEEDaSR_SS_EUlSR_E0_NS1_11comp_targetILNS1_3genE0ELNS1_11target_archE4294967295ELNS1_3gpuE0ELNS1_3repE0EEENS1_30default_config_static_selectorELNS0_4arch9wavefront6targetE1EEEvT1_.kd
    .uniform_work_group_size: 1
    .uses_dynamic_stack: false
    .vgpr_count:     0
    .vgpr_spill_count: 0
    .wavefront_size: 64
  - .agpr_count:     0
    .args:
      - .offset:         0
        .size:           32
        .value_kind:     by_value
    .group_segment_fixed_size: 0
    .kernarg_segment_align: 8
    .kernarg_segment_size: 32
    .language:       OpenCL C
    .language_version:
      - 2
      - 0
    .max_flat_workgroup_size: 256
    .name:           _ZN7rocprim17ROCPRIM_400000_NS6detail17trampoline_kernelINS0_14default_configENS1_20scan_config_selectorIiEEZZNS1_9scan_implILNS1_25lookback_scan_determinismE0ELb0ELb0ES3_N6thrust23THRUST_200600_302600_NS6detail15normal_iteratorINS9_10device_ptrIiEEEENSB_INSC_IfEEEEiNS9_4plusIvEEiEEDaPvRmT3_T4_T5_mT6_P12ihipStream_tbENKUlT_T0_E_clISt17integral_constantIbLb1EESV_IbLb0EEEEDaSR_SS_EUlSR_E0_NS1_11comp_targetILNS1_3genE5ELNS1_11target_archE942ELNS1_3gpuE9ELNS1_3repE0EEENS1_30default_config_static_selectorELNS0_4arch9wavefront6targetE1EEEvT1_
    .private_segment_fixed_size: 0
    .sgpr_count:     4
    .sgpr_spill_count: 0
    .symbol:         _ZN7rocprim17ROCPRIM_400000_NS6detail17trampoline_kernelINS0_14default_configENS1_20scan_config_selectorIiEEZZNS1_9scan_implILNS1_25lookback_scan_determinismE0ELb0ELb0ES3_N6thrust23THRUST_200600_302600_NS6detail15normal_iteratorINS9_10device_ptrIiEEEENSB_INSC_IfEEEEiNS9_4plusIvEEiEEDaPvRmT3_T4_T5_mT6_P12ihipStream_tbENKUlT_T0_E_clISt17integral_constantIbLb1EESV_IbLb0EEEEDaSR_SS_EUlSR_E0_NS1_11comp_targetILNS1_3genE5ELNS1_11target_archE942ELNS1_3gpuE9ELNS1_3repE0EEENS1_30default_config_static_selectorELNS0_4arch9wavefront6targetE1EEEvT1_.kd
    .uniform_work_group_size: 1
    .uses_dynamic_stack: false
    .vgpr_count:     0
    .vgpr_spill_count: 0
    .wavefront_size: 64
  - .agpr_count:     0
    .args:
      - .offset:         0
        .size:           32
        .value_kind:     by_value
    .group_segment_fixed_size: 5120
    .kernarg_segment_align: 8
    .kernarg_segment_size: 32
    .language:       OpenCL C
    .language_version:
      - 2
      - 0
    .max_flat_workgroup_size: 128
    .name:           _ZN7rocprim17ROCPRIM_400000_NS6detail17trampoline_kernelINS0_14default_configENS1_20scan_config_selectorIiEEZZNS1_9scan_implILNS1_25lookback_scan_determinismE0ELb0ELb0ES3_N6thrust23THRUST_200600_302600_NS6detail15normal_iteratorINS9_10device_ptrIiEEEENSB_INSC_IfEEEEiNS9_4plusIvEEiEEDaPvRmT3_T4_T5_mT6_P12ihipStream_tbENKUlT_T0_E_clISt17integral_constantIbLb1EESV_IbLb0EEEEDaSR_SS_EUlSR_E0_NS1_11comp_targetILNS1_3genE4ELNS1_11target_archE910ELNS1_3gpuE8ELNS1_3repE0EEENS1_30default_config_static_selectorELNS0_4arch9wavefront6targetE1EEEvT1_
    .private_segment_fixed_size: 0
    .sgpr_count:     28
    .sgpr_spill_count: 0
    .symbol:         _ZN7rocprim17ROCPRIM_400000_NS6detail17trampoline_kernelINS0_14default_configENS1_20scan_config_selectorIiEEZZNS1_9scan_implILNS1_25lookback_scan_determinismE0ELb0ELb0ES3_N6thrust23THRUST_200600_302600_NS6detail15normal_iteratorINS9_10device_ptrIiEEEENSB_INSC_IfEEEEiNS9_4plusIvEEiEEDaPvRmT3_T4_T5_mT6_P12ihipStream_tbENKUlT_T0_E_clISt17integral_constantIbLb1EESV_IbLb0EEEEDaSR_SS_EUlSR_E0_NS1_11comp_targetILNS1_3genE4ELNS1_11target_archE910ELNS1_3gpuE8ELNS1_3repE0EEENS1_30default_config_static_selectorELNS0_4arch9wavefront6targetE1EEEvT1_.kd
    .uniform_work_group_size: 1
    .uses_dynamic_stack: false
    .vgpr_count:     27
    .vgpr_spill_count: 0
    .wavefront_size: 64
  - .agpr_count:     0
    .args:
      - .offset:         0
        .size:           32
        .value_kind:     by_value
    .group_segment_fixed_size: 0
    .kernarg_segment_align: 8
    .kernarg_segment_size: 32
    .language:       OpenCL C
    .language_version:
      - 2
      - 0
    .max_flat_workgroup_size: 256
    .name:           _ZN7rocprim17ROCPRIM_400000_NS6detail17trampoline_kernelINS0_14default_configENS1_20scan_config_selectorIiEEZZNS1_9scan_implILNS1_25lookback_scan_determinismE0ELb0ELb0ES3_N6thrust23THRUST_200600_302600_NS6detail15normal_iteratorINS9_10device_ptrIiEEEENSB_INSC_IfEEEEiNS9_4plusIvEEiEEDaPvRmT3_T4_T5_mT6_P12ihipStream_tbENKUlT_T0_E_clISt17integral_constantIbLb1EESV_IbLb0EEEEDaSR_SS_EUlSR_E0_NS1_11comp_targetILNS1_3genE3ELNS1_11target_archE908ELNS1_3gpuE7ELNS1_3repE0EEENS1_30default_config_static_selectorELNS0_4arch9wavefront6targetE1EEEvT1_
    .private_segment_fixed_size: 0
    .sgpr_count:     4
    .sgpr_spill_count: 0
    .symbol:         _ZN7rocprim17ROCPRIM_400000_NS6detail17trampoline_kernelINS0_14default_configENS1_20scan_config_selectorIiEEZZNS1_9scan_implILNS1_25lookback_scan_determinismE0ELb0ELb0ES3_N6thrust23THRUST_200600_302600_NS6detail15normal_iteratorINS9_10device_ptrIiEEEENSB_INSC_IfEEEEiNS9_4plusIvEEiEEDaPvRmT3_T4_T5_mT6_P12ihipStream_tbENKUlT_T0_E_clISt17integral_constantIbLb1EESV_IbLb0EEEEDaSR_SS_EUlSR_E0_NS1_11comp_targetILNS1_3genE3ELNS1_11target_archE908ELNS1_3gpuE7ELNS1_3repE0EEENS1_30default_config_static_selectorELNS0_4arch9wavefront6targetE1EEEvT1_.kd
    .uniform_work_group_size: 1
    .uses_dynamic_stack: false
    .vgpr_count:     0
    .vgpr_spill_count: 0
    .wavefront_size: 64
  - .agpr_count:     0
    .args:
      - .offset:         0
        .size:           32
        .value_kind:     by_value
    .group_segment_fixed_size: 0
    .kernarg_segment_align: 8
    .kernarg_segment_size: 32
    .language:       OpenCL C
    .language_version:
      - 2
      - 0
    .max_flat_workgroup_size: 256
    .name:           _ZN7rocprim17ROCPRIM_400000_NS6detail17trampoline_kernelINS0_14default_configENS1_20scan_config_selectorIiEEZZNS1_9scan_implILNS1_25lookback_scan_determinismE0ELb0ELb0ES3_N6thrust23THRUST_200600_302600_NS6detail15normal_iteratorINS9_10device_ptrIiEEEENSB_INSC_IfEEEEiNS9_4plusIvEEiEEDaPvRmT3_T4_T5_mT6_P12ihipStream_tbENKUlT_T0_E_clISt17integral_constantIbLb1EESV_IbLb0EEEEDaSR_SS_EUlSR_E0_NS1_11comp_targetILNS1_3genE2ELNS1_11target_archE906ELNS1_3gpuE6ELNS1_3repE0EEENS1_30default_config_static_selectorELNS0_4arch9wavefront6targetE1EEEvT1_
    .private_segment_fixed_size: 0
    .sgpr_count:     4
    .sgpr_spill_count: 0
    .symbol:         _ZN7rocprim17ROCPRIM_400000_NS6detail17trampoline_kernelINS0_14default_configENS1_20scan_config_selectorIiEEZZNS1_9scan_implILNS1_25lookback_scan_determinismE0ELb0ELb0ES3_N6thrust23THRUST_200600_302600_NS6detail15normal_iteratorINS9_10device_ptrIiEEEENSB_INSC_IfEEEEiNS9_4plusIvEEiEEDaPvRmT3_T4_T5_mT6_P12ihipStream_tbENKUlT_T0_E_clISt17integral_constantIbLb1EESV_IbLb0EEEEDaSR_SS_EUlSR_E0_NS1_11comp_targetILNS1_3genE2ELNS1_11target_archE906ELNS1_3gpuE6ELNS1_3repE0EEENS1_30default_config_static_selectorELNS0_4arch9wavefront6targetE1EEEvT1_.kd
    .uniform_work_group_size: 1
    .uses_dynamic_stack: false
    .vgpr_count:     0
    .vgpr_spill_count: 0
    .wavefront_size: 64
  - .agpr_count:     0
    .args:
      - .offset:         0
        .size:           32
        .value_kind:     by_value
    .group_segment_fixed_size: 0
    .kernarg_segment_align: 8
    .kernarg_segment_size: 32
    .language:       OpenCL C
    .language_version:
      - 2
      - 0
    .max_flat_workgroup_size: 256
    .name:           _ZN7rocprim17ROCPRIM_400000_NS6detail17trampoline_kernelINS0_14default_configENS1_20scan_config_selectorIiEEZZNS1_9scan_implILNS1_25lookback_scan_determinismE0ELb0ELb0ES3_N6thrust23THRUST_200600_302600_NS6detail15normal_iteratorINS9_10device_ptrIiEEEENSB_INSC_IfEEEEiNS9_4plusIvEEiEEDaPvRmT3_T4_T5_mT6_P12ihipStream_tbENKUlT_T0_E_clISt17integral_constantIbLb1EESV_IbLb0EEEEDaSR_SS_EUlSR_E0_NS1_11comp_targetILNS1_3genE10ELNS1_11target_archE1201ELNS1_3gpuE5ELNS1_3repE0EEENS1_30default_config_static_selectorELNS0_4arch9wavefront6targetE1EEEvT1_
    .private_segment_fixed_size: 0
    .sgpr_count:     4
    .sgpr_spill_count: 0
    .symbol:         _ZN7rocprim17ROCPRIM_400000_NS6detail17trampoline_kernelINS0_14default_configENS1_20scan_config_selectorIiEEZZNS1_9scan_implILNS1_25lookback_scan_determinismE0ELb0ELb0ES3_N6thrust23THRUST_200600_302600_NS6detail15normal_iteratorINS9_10device_ptrIiEEEENSB_INSC_IfEEEEiNS9_4plusIvEEiEEDaPvRmT3_T4_T5_mT6_P12ihipStream_tbENKUlT_T0_E_clISt17integral_constantIbLb1EESV_IbLb0EEEEDaSR_SS_EUlSR_E0_NS1_11comp_targetILNS1_3genE10ELNS1_11target_archE1201ELNS1_3gpuE5ELNS1_3repE0EEENS1_30default_config_static_selectorELNS0_4arch9wavefront6targetE1EEEvT1_.kd
    .uniform_work_group_size: 1
    .uses_dynamic_stack: false
    .vgpr_count:     0
    .vgpr_spill_count: 0
    .wavefront_size: 64
  - .agpr_count:     0
    .args:
      - .offset:         0
        .size:           32
        .value_kind:     by_value
    .group_segment_fixed_size: 0
    .kernarg_segment_align: 8
    .kernarg_segment_size: 32
    .language:       OpenCL C
    .language_version:
      - 2
      - 0
    .max_flat_workgroup_size: 256
    .name:           _ZN7rocprim17ROCPRIM_400000_NS6detail17trampoline_kernelINS0_14default_configENS1_20scan_config_selectorIiEEZZNS1_9scan_implILNS1_25lookback_scan_determinismE0ELb0ELb0ES3_N6thrust23THRUST_200600_302600_NS6detail15normal_iteratorINS9_10device_ptrIiEEEENSB_INSC_IfEEEEiNS9_4plusIvEEiEEDaPvRmT3_T4_T5_mT6_P12ihipStream_tbENKUlT_T0_E_clISt17integral_constantIbLb1EESV_IbLb0EEEEDaSR_SS_EUlSR_E0_NS1_11comp_targetILNS1_3genE10ELNS1_11target_archE1200ELNS1_3gpuE4ELNS1_3repE0EEENS1_30default_config_static_selectorELNS0_4arch9wavefront6targetE1EEEvT1_
    .private_segment_fixed_size: 0
    .sgpr_count:     4
    .sgpr_spill_count: 0
    .symbol:         _ZN7rocprim17ROCPRIM_400000_NS6detail17trampoline_kernelINS0_14default_configENS1_20scan_config_selectorIiEEZZNS1_9scan_implILNS1_25lookback_scan_determinismE0ELb0ELb0ES3_N6thrust23THRUST_200600_302600_NS6detail15normal_iteratorINS9_10device_ptrIiEEEENSB_INSC_IfEEEEiNS9_4plusIvEEiEEDaPvRmT3_T4_T5_mT6_P12ihipStream_tbENKUlT_T0_E_clISt17integral_constantIbLb1EESV_IbLb0EEEEDaSR_SS_EUlSR_E0_NS1_11comp_targetILNS1_3genE10ELNS1_11target_archE1200ELNS1_3gpuE4ELNS1_3repE0EEENS1_30default_config_static_selectorELNS0_4arch9wavefront6targetE1EEEvT1_.kd
    .uniform_work_group_size: 1
    .uses_dynamic_stack: false
    .vgpr_count:     0
    .vgpr_spill_count: 0
    .wavefront_size: 64
  - .agpr_count:     0
    .args:
      - .offset:         0
        .size:           32
        .value_kind:     by_value
    .group_segment_fixed_size: 0
    .kernarg_segment_align: 8
    .kernarg_segment_size: 32
    .language:       OpenCL C
    .language_version:
      - 2
      - 0
    .max_flat_workgroup_size: 256
    .name:           _ZN7rocprim17ROCPRIM_400000_NS6detail17trampoline_kernelINS0_14default_configENS1_20scan_config_selectorIiEEZZNS1_9scan_implILNS1_25lookback_scan_determinismE0ELb0ELb0ES3_N6thrust23THRUST_200600_302600_NS6detail15normal_iteratorINS9_10device_ptrIiEEEENSB_INSC_IfEEEEiNS9_4plusIvEEiEEDaPvRmT3_T4_T5_mT6_P12ihipStream_tbENKUlT_T0_E_clISt17integral_constantIbLb1EESV_IbLb0EEEEDaSR_SS_EUlSR_E0_NS1_11comp_targetILNS1_3genE9ELNS1_11target_archE1100ELNS1_3gpuE3ELNS1_3repE0EEENS1_30default_config_static_selectorELNS0_4arch9wavefront6targetE1EEEvT1_
    .private_segment_fixed_size: 0
    .sgpr_count:     4
    .sgpr_spill_count: 0
    .symbol:         _ZN7rocprim17ROCPRIM_400000_NS6detail17trampoline_kernelINS0_14default_configENS1_20scan_config_selectorIiEEZZNS1_9scan_implILNS1_25lookback_scan_determinismE0ELb0ELb0ES3_N6thrust23THRUST_200600_302600_NS6detail15normal_iteratorINS9_10device_ptrIiEEEENSB_INSC_IfEEEEiNS9_4plusIvEEiEEDaPvRmT3_T4_T5_mT6_P12ihipStream_tbENKUlT_T0_E_clISt17integral_constantIbLb1EESV_IbLb0EEEEDaSR_SS_EUlSR_E0_NS1_11comp_targetILNS1_3genE9ELNS1_11target_archE1100ELNS1_3gpuE3ELNS1_3repE0EEENS1_30default_config_static_selectorELNS0_4arch9wavefront6targetE1EEEvT1_.kd
    .uniform_work_group_size: 1
    .uses_dynamic_stack: false
    .vgpr_count:     0
    .vgpr_spill_count: 0
    .wavefront_size: 64
  - .agpr_count:     0
    .args:
      - .offset:         0
        .size:           32
        .value_kind:     by_value
    .group_segment_fixed_size: 0
    .kernarg_segment_align: 8
    .kernarg_segment_size: 32
    .language:       OpenCL C
    .language_version:
      - 2
      - 0
    .max_flat_workgroup_size: 64
    .name:           _ZN7rocprim17ROCPRIM_400000_NS6detail17trampoline_kernelINS0_14default_configENS1_20scan_config_selectorIiEEZZNS1_9scan_implILNS1_25lookback_scan_determinismE0ELb0ELb0ES3_N6thrust23THRUST_200600_302600_NS6detail15normal_iteratorINS9_10device_ptrIiEEEENSB_INSC_IfEEEEiNS9_4plusIvEEiEEDaPvRmT3_T4_T5_mT6_P12ihipStream_tbENKUlT_T0_E_clISt17integral_constantIbLb1EESV_IbLb0EEEEDaSR_SS_EUlSR_E0_NS1_11comp_targetILNS1_3genE8ELNS1_11target_archE1030ELNS1_3gpuE2ELNS1_3repE0EEENS1_30default_config_static_selectorELNS0_4arch9wavefront6targetE1EEEvT1_
    .private_segment_fixed_size: 0
    .sgpr_count:     4
    .sgpr_spill_count: 0
    .symbol:         _ZN7rocprim17ROCPRIM_400000_NS6detail17trampoline_kernelINS0_14default_configENS1_20scan_config_selectorIiEEZZNS1_9scan_implILNS1_25lookback_scan_determinismE0ELb0ELb0ES3_N6thrust23THRUST_200600_302600_NS6detail15normal_iteratorINS9_10device_ptrIiEEEENSB_INSC_IfEEEEiNS9_4plusIvEEiEEDaPvRmT3_T4_T5_mT6_P12ihipStream_tbENKUlT_T0_E_clISt17integral_constantIbLb1EESV_IbLb0EEEEDaSR_SS_EUlSR_E0_NS1_11comp_targetILNS1_3genE8ELNS1_11target_archE1030ELNS1_3gpuE2ELNS1_3repE0EEENS1_30default_config_static_selectorELNS0_4arch9wavefront6targetE1EEEvT1_.kd
    .uniform_work_group_size: 1
    .uses_dynamic_stack: false
    .vgpr_count:     0
    .vgpr_spill_count: 0
    .wavefront_size: 64
  - .agpr_count:     0
    .args:
      - .offset:         0
        .size:           96
        .value_kind:     by_value
    .group_segment_fixed_size: 0
    .kernarg_segment_align: 8
    .kernarg_segment_size: 96
    .language:       OpenCL C
    .language_version:
      - 2
      - 0
    .max_flat_workgroup_size: 256
    .name:           _ZN7rocprim17ROCPRIM_400000_NS6detail17trampoline_kernelINS0_14default_configENS1_20scan_config_selectorIiEEZZNS1_9scan_implILNS1_25lookback_scan_determinismE0ELb0ELb0ES3_N6thrust23THRUST_200600_302600_NS6detail15normal_iteratorINS9_10device_ptrIiEEEENSB_INSC_IfEEEEiNS9_4plusIvEEiEEDaPvRmT3_T4_T5_mT6_P12ihipStream_tbENKUlT_T0_E_clISt17integral_constantIbLb0EESV_IbLb1EEEEDaSR_SS_EUlSR_E_NS1_11comp_targetILNS1_3genE0ELNS1_11target_archE4294967295ELNS1_3gpuE0ELNS1_3repE0EEENS1_30default_config_static_selectorELNS0_4arch9wavefront6targetE1EEEvT1_
    .private_segment_fixed_size: 0
    .sgpr_count:     4
    .sgpr_spill_count: 0
    .symbol:         _ZN7rocprim17ROCPRIM_400000_NS6detail17trampoline_kernelINS0_14default_configENS1_20scan_config_selectorIiEEZZNS1_9scan_implILNS1_25lookback_scan_determinismE0ELb0ELb0ES3_N6thrust23THRUST_200600_302600_NS6detail15normal_iteratorINS9_10device_ptrIiEEEENSB_INSC_IfEEEEiNS9_4plusIvEEiEEDaPvRmT3_T4_T5_mT6_P12ihipStream_tbENKUlT_T0_E_clISt17integral_constantIbLb0EESV_IbLb1EEEEDaSR_SS_EUlSR_E_NS1_11comp_targetILNS1_3genE0ELNS1_11target_archE4294967295ELNS1_3gpuE0ELNS1_3repE0EEENS1_30default_config_static_selectorELNS0_4arch9wavefront6targetE1EEEvT1_.kd
    .uniform_work_group_size: 1
    .uses_dynamic_stack: false
    .vgpr_count:     0
    .vgpr_spill_count: 0
    .wavefront_size: 64
  - .agpr_count:     0
    .args:
      - .offset:         0
        .size:           96
        .value_kind:     by_value
    .group_segment_fixed_size: 0
    .kernarg_segment_align: 8
    .kernarg_segment_size: 96
    .language:       OpenCL C
    .language_version:
      - 2
      - 0
    .max_flat_workgroup_size: 256
    .name:           _ZN7rocprim17ROCPRIM_400000_NS6detail17trampoline_kernelINS0_14default_configENS1_20scan_config_selectorIiEEZZNS1_9scan_implILNS1_25lookback_scan_determinismE0ELb0ELb0ES3_N6thrust23THRUST_200600_302600_NS6detail15normal_iteratorINS9_10device_ptrIiEEEENSB_INSC_IfEEEEiNS9_4plusIvEEiEEDaPvRmT3_T4_T5_mT6_P12ihipStream_tbENKUlT_T0_E_clISt17integral_constantIbLb0EESV_IbLb1EEEEDaSR_SS_EUlSR_E_NS1_11comp_targetILNS1_3genE5ELNS1_11target_archE942ELNS1_3gpuE9ELNS1_3repE0EEENS1_30default_config_static_selectorELNS0_4arch9wavefront6targetE1EEEvT1_
    .private_segment_fixed_size: 0
    .sgpr_count:     4
    .sgpr_spill_count: 0
    .symbol:         _ZN7rocprim17ROCPRIM_400000_NS6detail17trampoline_kernelINS0_14default_configENS1_20scan_config_selectorIiEEZZNS1_9scan_implILNS1_25lookback_scan_determinismE0ELb0ELb0ES3_N6thrust23THRUST_200600_302600_NS6detail15normal_iteratorINS9_10device_ptrIiEEEENSB_INSC_IfEEEEiNS9_4plusIvEEiEEDaPvRmT3_T4_T5_mT6_P12ihipStream_tbENKUlT_T0_E_clISt17integral_constantIbLb0EESV_IbLb1EEEEDaSR_SS_EUlSR_E_NS1_11comp_targetILNS1_3genE5ELNS1_11target_archE942ELNS1_3gpuE9ELNS1_3repE0EEENS1_30default_config_static_selectorELNS0_4arch9wavefront6targetE1EEEvT1_.kd
    .uniform_work_group_size: 1
    .uses_dynamic_stack: false
    .vgpr_count:     0
    .vgpr_spill_count: 0
    .wavefront_size: 64
  - .agpr_count:     0
    .args:
      - .offset:         0
        .size:           96
        .value_kind:     by_value
    .group_segment_fixed_size: 5120
    .kernarg_segment_align: 8
    .kernarg_segment_size: 96
    .language:       OpenCL C
    .language_version:
      - 2
      - 0
    .max_flat_workgroup_size: 128
    .name:           _ZN7rocprim17ROCPRIM_400000_NS6detail17trampoline_kernelINS0_14default_configENS1_20scan_config_selectorIiEEZZNS1_9scan_implILNS1_25lookback_scan_determinismE0ELb0ELb0ES3_N6thrust23THRUST_200600_302600_NS6detail15normal_iteratorINS9_10device_ptrIiEEEENSB_INSC_IfEEEEiNS9_4plusIvEEiEEDaPvRmT3_T4_T5_mT6_P12ihipStream_tbENKUlT_T0_E_clISt17integral_constantIbLb0EESV_IbLb1EEEEDaSR_SS_EUlSR_E_NS1_11comp_targetILNS1_3genE4ELNS1_11target_archE910ELNS1_3gpuE8ELNS1_3repE0EEENS1_30default_config_static_selectorELNS0_4arch9wavefront6targetE1EEEvT1_
    .private_segment_fixed_size: 0
    .sgpr_count:     40
    .sgpr_spill_count: 0
    .symbol:         _ZN7rocprim17ROCPRIM_400000_NS6detail17trampoline_kernelINS0_14default_configENS1_20scan_config_selectorIiEEZZNS1_9scan_implILNS1_25lookback_scan_determinismE0ELb0ELb0ES3_N6thrust23THRUST_200600_302600_NS6detail15normal_iteratorINS9_10device_ptrIiEEEENSB_INSC_IfEEEEiNS9_4plusIvEEiEEDaPvRmT3_T4_T5_mT6_P12ihipStream_tbENKUlT_T0_E_clISt17integral_constantIbLb0EESV_IbLb1EEEEDaSR_SS_EUlSR_E_NS1_11comp_targetILNS1_3genE4ELNS1_11target_archE910ELNS1_3gpuE8ELNS1_3repE0EEENS1_30default_config_static_selectorELNS0_4arch9wavefront6targetE1EEEvT1_.kd
    .uniform_work_group_size: 1
    .uses_dynamic_stack: false
    .vgpr_count:     40
    .vgpr_spill_count: 0
    .wavefront_size: 64
  - .agpr_count:     0
    .args:
      - .offset:         0
        .size:           96
        .value_kind:     by_value
    .group_segment_fixed_size: 0
    .kernarg_segment_align: 8
    .kernarg_segment_size: 96
    .language:       OpenCL C
    .language_version:
      - 2
      - 0
    .max_flat_workgroup_size: 256
    .name:           _ZN7rocprim17ROCPRIM_400000_NS6detail17trampoline_kernelINS0_14default_configENS1_20scan_config_selectorIiEEZZNS1_9scan_implILNS1_25lookback_scan_determinismE0ELb0ELb0ES3_N6thrust23THRUST_200600_302600_NS6detail15normal_iteratorINS9_10device_ptrIiEEEENSB_INSC_IfEEEEiNS9_4plusIvEEiEEDaPvRmT3_T4_T5_mT6_P12ihipStream_tbENKUlT_T0_E_clISt17integral_constantIbLb0EESV_IbLb1EEEEDaSR_SS_EUlSR_E_NS1_11comp_targetILNS1_3genE3ELNS1_11target_archE908ELNS1_3gpuE7ELNS1_3repE0EEENS1_30default_config_static_selectorELNS0_4arch9wavefront6targetE1EEEvT1_
    .private_segment_fixed_size: 0
    .sgpr_count:     4
    .sgpr_spill_count: 0
    .symbol:         _ZN7rocprim17ROCPRIM_400000_NS6detail17trampoline_kernelINS0_14default_configENS1_20scan_config_selectorIiEEZZNS1_9scan_implILNS1_25lookback_scan_determinismE0ELb0ELb0ES3_N6thrust23THRUST_200600_302600_NS6detail15normal_iteratorINS9_10device_ptrIiEEEENSB_INSC_IfEEEEiNS9_4plusIvEEiEEDaPvRmT3_T4_T5_mT6_P12ihipStream_tbENKUlT_T0_E_clISt17integral_constantIbLb0EESV_IbLb1EEEEDaSR_SS_EUlSR_E_NS1_11comp_targetILNS1_3genE3ELNS1_11target_archE908ELNS1_3gpuE7ELNS1_3repE0EEENS1_30default_config_static_selectorELNS0_4arch9wavefront6targetE1EEEvT1_.kd
    .uniform_work_group_size: 1
    .uses_dynamic_stack: false
    .vgpr_count:     0
    .vgpr_spill_count: 0
    .wavefront_size: 64
  - .agpr_count:     0
    .args:
      - .offset:         0
        .size:           96
        .value_kind:     by_value
    .group_segment_fixed_size: 0
    .kernarg_segment_align: 8
    .kernarg_segment_size: 96
    .language:       OpenCL C
    .language_version:
      - 2
      - 0
    .max_flat_workgroup_size: 256
    .name:           _ZN7rocprim17ROCPRIM_400000_NS6detail17trampoline_kernelINS0_14default_configENS1_20scan_config_selectorIiEEZZNS1_9scan_implILNS1_25lookback_scan_determinismE0ELb0ELb0ES3_N6thrust23THRUST_200600_302600_NS6detail15normal_iteratorINS9_10device_ptrIiEEEENSB_INSC_IfEEEEiNS9_4plusIvEEiEEDaPvRmT3_T4_T5_mT6_P12ihipStream_tbENKUlT_T0_E_clISt17integral_constantIbLb0EESV_IbLb1EEEEDaSR_SS_EUlSR_E_NS1_11comp_targetILNS1_3genE2ELNS1_11target_archE906ELNS1_3gpuE6ELNS1_3repE0EEENS1_30default_config_static_selectorELNS0_4arch9wavefront6targetE1EEEvT1_
    .private_segment_fixed_size: 0
    .sgpr_count:     4
    .sgpr_spill_count: 0
    .symbol:         _ZN7rocprim17ROCPRIM_400000_NS6detail17trampoline_kernelINS0_14default_configENS1_20scan_config_selectorIiEEZZNS1_9scan_implILNS1_25lookback_scan_determinismE0ELb0ELb0ES3_N6thrust23THRUST_200600_302600_NS6detail15normal_iteratorINS9_10device_ptrIiEEEENSB_INSC_IfEEEEiNS9_4plusIvEEiEEDaPvRmT3_T4_T5_mT6_P12ihipStream_tbENKUlT_T0_E_clISt17integral_constantIbLb0EESV_IbLb1EEEEDaSR_SS_EUlSR_E_NS1_11comp_targetILNS1_3genE2ELNS1_11target_archE906ELNS1_3gpuE6ELNS1_3repE0EEENS1_30default_config_static_selectorELNS0_4arch9wavefront6targetE1EEEvT1_.kd
    .uniform_work_group_size: 1
    .uses_dynamic_stack: false
    .vgpr_count:     0
    .vgpr_spill_count: 0
    .wavefront_size: 64
  - .agpr_count:     0
    .args:
      - .offset:         0
        .size:           96
        .value_kind:     by_value
    .group_segment_fixed_size: 0
    .kernarg_segment_align: 8
    .kernarg_segment_size: 96
    .language:       OpenCL C
    .language_version:
      - 2
      - 0
    .max_flat_workgroup_size: 256
    .name:           _ZN7rocprim17ROCPRIM_400000_NS6detail17trampoline_kernelINS0_14default_configENS1_20scan_config_selectorIiEEZZNS1_9scan_implILNS1_25lookback_scan_determinismE0ELb0ELb0ES3_N6thrust23THRUST_200600_302600_NS6detail15normal_iteratorINS9_10device_ptrIiEEEENSB_INSC_IfEEEEiNS9_4plusIvEEiEEDaPvRmT3_T4_T5_mT6_P12ihipStream_tbENKUlT_T0_E_clISt17integral_constantIbLb0EESV_IbLb1EEEEDaSR_SS_EUlSR_E_NS1_11comp_targetILNS1_3genE10ELNS1_11target_archE1201ELNS1_3gpuE5ELNS1_3repE0EEENS1_30default_config_static_selectorELNS0_4arch9wavefront6targetE1EEEvT1_
    .private_segment_fixed_size: 0
    .sgpr_count:     4
    .sgpr_spill_count: 0
    .symbol:         _ZN7rocprim17ROCPRIM_400000_NS6detail17trampoline_kernelINS0_14default_configENS1_20scan_config_selectorIiEEZZNS1_9scan_implILNS1_25lookback_scan_determinismE0ELb0ELb0ES3_N6thrust23THRUST_200600_302600_NS6detail15normal_iteratorINS9_10device_ptrIiEEEENSB_INSC_IfEEEEiNS9_4plusIvEEiEEDaPvRmT3_T4_T5_mT6_P12ihipStream_tbENKUlT_T0_E_clISt17integral_constantIbLb0EESV_IbLb1EEEEDaSR_SS_EUlSR_E_NS1_11comp_targetILNS1_3genE10ELNS1_11target_archE1201ELNS1_3gpuE5ELNS1_3repE0EEENS1_30default_config_static_selectorELNS0_4arch9wavefront6targetE1EEEvT1_.kd
    .uniform_work_group_size: 1
    .uses_dynamic_stack: false
    .vgpr_count:     0
    .vgpr_spill_count: 0
    .wavefront_size: 64
  - .agpr_count:     0
    .args:
      - .offset:         0
        .size:           96
        .value_kind:     by_value
    .group_segment_fixed_size: 0
    .kernarg_segment_align: 8
    .kernarg_segment_size: 96
    .language:       OpenCL C
    .language_version:
      - 2
      - 0
    .max_flat_workgroup_size: 256
    .name:           _ZN7rocprim17ROCPRIM_400000_NS6detail17trampoline_kernelINS0_14default_configENS1_20scan_config_selectorIiEEZZNS1_9scan_implILNS1_25lookback_scan_determinismE0ELb0ELb0ES3_N6thrust23THRUST_200600_302600_NS6detail15normal_iteratorINS9_10device_ptrIiEEEENSB_INSC_IfEEEEiNS9_4plusIvEEiEEDaPvRmT3_T4_T5_mT6_P12ihipStream_tbENKUlT_T0_E_clISt17integral_constantIbLb0EESV_IbLb1EEEEDaSR_SS_EUlSR_E_NS1_11comp_targetILNS1_3genE10ELNS1_11target_archE1200ELNS1_3gpuE4ELNS1_3repE0EEENS1_30default_config_static_selectorELNS0_4arch9wavefront6targetE1EEEvT1_
    .private_segment_fixed_size: 0
    .sgpr_count:     4
    .sgpr_spill_count: 0
    .symbol:         _ZN7rocprim17ROCPRIM_400000_NS6detail17trampoline_kernelINS0_14default_configENS1_20scan_config_selectorIiEEZZNS1_9scan_implILNS1_25lookback_scan_determinismE0ELb0ELb0ES3_N6thrust23THRUST_200600_302600_NS6detail15normal_iteratorINS9_10device_ptrIiEEEENSB_INSC_IfEEEEiNS9_4plusIvEEiEEDaPvRmT3_T4_T5_mT6_P12ihipStream_tbENKUlT_T0_E_clISt17integral_constantIbLb0EESV_IbLb1EEEEDaSR_SS_EUlSR_E_NS1_11comp_targetILNS1_3genE10ELNS1_11target_archE1200ELNS1_3gpuE4ELNS1_3repE0EEENS1_30default_config_static_selectorELNS0_4arch9wavefront6targetE1EEEvT1_.kd
    .uniform_work_group_size: 1
    .uses_dynamic_stack: false
    .vgpr_count:     0
    .vgpr_spill_count: 0
    .wavefront_size: 64
  - .agpr_count:     0
    .args:
      - .offset:         0
        .size:           96
        .value_kind:     by_value
    .group_segment_fixed_size: 0
    .kernarg_segment_align: 8
    .kernarg_segment_size: 96
    .language:       OpenCL C
    .language_version:
      - 2
      - 0
    .max_flat_workgroup_size: 256
    .name:           _ZN7rocprim17ROCPRIM_400000_NS6detail17trampoline_kernelINS0_14default_configENS1_20scan_config_selectorIiEEZZNS1_9scan_implILNS1_25lookback_scan_determinismE0ELb0ELb0ES3_N6thrust23THRUST_200600_302600_NS6detail15normal_iteratorINS9_10device_ptrIiEEEENSB_INSC_IfEEEEiNS9_4plusIvEEiEEDaPvRmT3_T4_T5_mT6_P12ihipStream_tbENKUlT_T0_E_clISt17integral_constantIbLb0EESV_IbLb1EEEEDaSR_SS_EUlSR_E_NS1_11comp_targetILNS1_3genE9ELNS1_11target_archE1100ELNS1_3gpuE3ELNS1_3repE0EEENS1_30default_config_static_selectorELNS0_4arch9wavefront6targetE1EEEvT1_
    .private_segment_fixed_size: 0
    .sgpr_count:     4
    .sgpr_spill_count: 0
    .symbol:         _ZN7rocprim17ROCPRIM_400000_NS6detail17trampoline_kernelINS0_14default_configENS1_20scan_config_selectorIiEEZZNS1_9scan_implILNS1_25lookback_scan_determinismE0ELb0ELb0ES3_N6thrust23THRUST_200600_302600_NS6detail15normal_iteratorINS9_10device_ptrIiEEEENSB_INSC_IfEEEEiNS9_4plusIvEEiEEDaPvRmT3_T4_T5_mT6_P12ihipStream_tbENKUlT_T0_E_clISt17integral_constantIbLb0EESV_IbLb1EEEEDaSR_SS_EUlSR_E_NS1_11comp_targetILNS1_3genE9ELNS1_11target_archE1100ELNS1_3gpuE3ELNS1_3repE0EEENS1_30default_config_static_selectorELNS0_4arch9wavefront6targetE1EEEvT1_.kd
    .uniform_work_group_size: 1
    .uses_dynamic_stack: false
    .vgpr_count:     0
    .vgpr_spill_count: 0
    .wavefront_size: 64
  - .agpr_count:     0
    .args:
      - .offset:         0
        .size:           96
        .value_kind:     by_value
    .group_segment_fixed_size: 0
    .kernarg_segment_align: 8
    .kernarg_segment_size: 96
    .language:       OpenCL C
    .language_version:
      - 2
      - 0
    .max_flat_workgroup_size: 64
    .name:           _ZN7rocprim17ROCPRIM_400000_NS6detail17trampoline_kernelINS0_14default_configENS1_20scan_config_selectorIiEEZZNS1_9scan_implILNS1_25lookback_scan_determinismE0ELb0ELb0ES3_N6thrust23THRUST_200600_302600_NS6detail15normal_iteratorINS9_10device_ptrIiEEEENSB_INSC_IfEEEEiNS9_4plusIvEEiEEDaPvRmT3_T4_T5_mT6_P12ihipStream_tbENKUlT_T0_E_clISt17integral_constantIbLb0EESV_IbLb1EEEEDaSR_SS_EUlSR_E_NS1_11comp_targetILNS1_3genE8ELNS1_11target_archE1030ELNS1_3gpuE2ELNS1_3repE0EEENS1_30default_config_static_selectorELNS0_4arch9wavefront6targetE1EEEvT1_
    .private_segment_fixed_size: 0
    .sgpr_count:     4
    .sgpr_spill_count: 0
    .symbol:         _ZN7rocprim17ROCPRIM_400000_NS6detail17trampoline_kernelINS0_14default_configENS1_20scan_config_selectorIiEEZZNS1_9scan_implILNS1_25lookback_scan_determinismE0ELb0ELb0ES3_N6thrust23THRUST_200600_302600_NS6detail15normal_iteratorINS9_10device_ptrIiEEEENSB_INSC_IfEEEEiNS9_4plusIvEEiEEDaPvRmT3_T4_T5_mT6_P12ihipStream_tbENKUlT_T0_E_clISt17integral_constantIbLb0EESV_IbLb1EEEEDaSR_SS_EUlSR_E_NS1_11comp_targetILNS1_3genE8ELNS1_11target_archE1030ELNS1_3gpuE2ELNS1_3repE0EEENS1_30default_config_static_selectorELNS0_4arch9wavefront6targetE1EEEvT1_.kd
    .uniform_work_group_size: 1
    .uses_dynamic_stack: false
    .vgpr_count:     0
    .vgpr_spill_count: 0
    .wavefront_size: 64
  - .agpr_count:     0
    .args:
      - .offset:         0
        .size:           32
        .value_kind:     by_value
    .group_segment_fixed_size: 0
    .kernarg_segment_align: 8
    .kernarg_segment_size: 32
    .language:       OpenCL C
    .language_version:
      - 2
      - 0
    .max_flat_workgroup_size: 256
    .name:           _ZN7rocprim17ROCPRIM_400000_NS6detail17trampoline_kernelINS0_14default_configENS1_20scan_config_selectorIiEEZZNS1_9scan_implILNS1_25lookback_scan_determinismE0ELb0ELb0ES3_N6thrust23THRUST_200600_302600_NS6detail15normal_iteratorINS9_10device_ptrIiEEEENSB_INSC_IfEEEEiNS9_4plusIvEEiEEDaPvRmT3_T4_T5_mT6_P12ihipStream_tbENKUlT_T0_E_clISt17integral_constantIbLb0EESV_IbLb1EEEEDaSR_SS_EUlSR_E0_NS1_11comp_targetILNS1_3genE0ELNS1_11target_archE4294967295ELNS1_3gpuE0ELNS1_3repE0EEENS1_30default_config_static_selectorELNS0_4arch9wavefront6targetE1EEEvT1_
    .private_segment_fixed_size: 0
    .sgpr_count:     4
    .sgpr_spill_count: 0
    .symbol:         _ZN7rocprim17ROCPRIM_400000_NS6detail17trampoline_kernelINS0_14default_configENS1_20scan_config_selectorIiEEZZNS1_9scan_implILNS1_25lookback_scan_determinismE0ELb0ELb0ES3_N6thrust23THRUST_200600_302600_NS6detail15normal_iteratorINS9_10device_ptrIiEEEENSB_INSC_IfEEEEiNS9_4plusIvEEiEEDaPvRmT3_T4_T5_mT6_P12ihipStream_tbENKUlT_T0_E_clISt17integral_constantIbLb0EESV_IbLb1EEEEDaSR_SS_EUlSR_E0_NS1_11comp_targetILNS1_3genE0ELNS1_11target_archE4294967295ELNS1_3gpuE0ELNS1_3repE0EEENS1_30default_config_static_selectorELNS0_4arch9wavefront6targetE1EEEvT1_.kd
    .uniform_work_group_size: 1
    .uses_dynamic_stack: false
    .vgpr_count:     0
    .vgpr_spill_count: 0
    .wavefront_size: 64
  - .agpr_count:     0
    .args:
      - .offset:         0
        .size:           32
        .value_kind:     by_value
    .group_segment_fixed_size: 0
    .kernarg_segment_align: 8
    .kernarg_segment_size: 32
    .language:       OpenCL C
    .language_version:
      - 2
      - 0
    .max_flat_workgroup_size: 256
    .name:           _ZN7rocprim17ROCPRIM_400000_NS6detail17trampoline_kernelINS0_14default_configENS1_20scan_config_selectorIiEEZZNS1_9scan_implILNS1_25lookback_scan_determinismE0ELb0ELb0ES3_N6thrust23THRUST_200600_302600_NS6detail15normal_iteratorINS9_10device_ptrIiEEEENSB_INSC_IfEEEEiNS9_4plusIvEEiEEDaPvRmT3_T4_T5_mT6_P12ihipStream_tbENKUlT_T0_E_clISt17integral_constantIbLb0EESV_IbLb1EEEEDaSR_SS_EUlSR_E0_NS1_11comp_targetILNS1_3genE5ELNS1_11target_archE942ELNS1_3gpuE9ELNS1_3repE0EEENS1_30default_config_static_selectorELNS0_4arch9wavefront6targetE1EEEvT1_
    .private_segment_fixed_size: 0
    .sgpr_count:     4
    .sgpr_spill_count: 0
    .symbol:         _ZN7rocprim17ROCPRIM_400000_NS6detail17trampoline_kernelINS0_14default_configENS1_20scan_config_selectorIiEEZZNS1_9scan_implILNS1_25lookback_scan_determinismE0ELb0ELb0ES3_N6thrust23THRUST_200600_302600_NS6detail15normal_iteratorINS9_10device_ptrIiEEEENSB_INSC_IfEEEEiNS9_4plusIvEEiEEDaPvRmT3_T4_T5_mT6_P12ihipStream_tbENKUlT_T0_E_clISt17integral_constantIbLb0EESV_IbLb1EEEEDaSR_SS_EUlSR_E0_NS1_11comp_targetILNS1_3genE5ELNS1_11target_archE942ELNS1_3gpuE9ELNS1_3repE0EEENS1_30default_config_static_selectorELNS0_4arch9wavefront6targetE1EEEvT1_.kd
    .uniform_work_group_size: 1
    .uses_dynamic_stack: false
    .vgpr_count:     0
    .vgpr_spill_count: 0
    .wavefront_size: 64
  - .agpr_count:     0
    .args:
      - .offset:         0
        .size:           32
        .value_kind:     by_value
    .group_segment_fixed_size: 5120
    .kernarg_segment_align: 8
    .kernarg_segment_size: 32
    .language:       OpenCL C
    .language_version:
      - 2
      - 0
    .max_flat_workgroup_size: 128
    .name:           _ZN7rocprim17ROCPRIM_400000_NS6detail17trampoline_kernelINS0_14default_configENS1_20scan_config_selectorIiEEZZNS1_9scan_implILNS1_25lookback_scan_determinismE0ELb0ELb0ES3_N6thrust23THRUST_200600_302600_NS6detail15normal_iteratorINS9_10device_ptrIiEEEENSB_INSC_IfEEEEiNS9_4plusIvEEiEEDaPvRmT3_T4_T5_mT6_P12ihipStream_tbENKUlT_T0_E_clISt17integral_constantIbLb0EESV_IbLb1EEEEDaSR_SS_EUlSR_E0_NS1_11comp_targetILNS1_3genE4ELNS1_11target_archE910ELNS1_3gpuE8ELNS1_3repE0EEENS1_30default_config_static_selectorELNS0_4arch9wavefront6targetE1EEEvT1_
    .private_segment_fixed_size: 0
    .sgpr_count:     28
    .sgpr_spill_count: 0
    .symbol:         _ZN7rocprim17ROCPRIM_400000_NS6detail17trampoline_kernelINS0_14default_configENS1_20scan_config_selectorIiEEZZNS1_9scan_implILNS1_25lookback_scan_determinismE0ELb0ELb0ES3_N6thrust23THRUST_200600_302600_NS6detail15normal_iteratorINS9_10device_ptrIiEEEENSB_INSC_IfEEEEiNS9_4plusIvEEiEEDaPvRmT3_T4_T5_mT6_P12ihipStream_tbENKUlT_T0_E_clISt17integral_constantIbLb0EESV_IbLb1EEEEDaSR_SS_EUlSR_E0_NS1_11comp_targetILNS1_3genE4ELNS1_11target_archE910ELNS1_3gpuE8ELNS1_3repE0EEENS1_30default_config_static_selectorELNS0_4arch9wavefront6targetE1EEEvT1_.kd
    .uniform_work_group_size: 1
    .uses_dynamic_stack: false
    .vgpr_count:     27
    .vgpr_spill_count: 0
    .wavefront_size: 64
  - .agpr_count:     0
    .args:
      - .offset:         0
        .size:           32
        .value_kind:     by_value
    .group_segment_fixed_size: 0
    .kernarg_segment_align: 8
    .kernarg_segment_size: 32
    .language:       OpenCL C
    .language_version:
      - 2
      - 0
    .max_flat_workgroup_size: 256
    .name:           _ZN7rocprim17ROCPRIM_400000_NS6detail17trampoline_kernelINS0_14default_configENS1_20scan_config_selectorIiEEZZNS1_9scan_implILNS1_25lookback_scan_determinismE0ELb0ELb0ES3_N6thrust23THRUST_200600_302600_NS6detail15normal_iteratorINS9_10device_ptrIiEEEENSB_INSC_IfEEEEiNS9_4plusIvEEiEEDaPvRmT3_T4_T5_mT6_P12ihipStream_tbENKUlT_T0_E_clISt17integral_constantIbLb0EESV_IbLb1EEEEDaSR_SS_EUlSR_E0_NS1_11comp_targetILNS1_3genE3ELNS1_11target_archE908ELNS1_3gpuE7ELNS1_3repE0EEENS1_30default_config_static_selectorELNS0_4arch9wavefront6targetE1EEEvT1_
    .private_segment_fixed_size: 0
    .sgpr_count:     4
    .sgpr_spill_count: 0
    .symbol:         _ZN7rocprim17ROCPRIM_400000_NS6detail17trampoline_kernelINS0_14default_configENS1_20scan_config_selectorIiEEZZNS1_9scan_implILNS1_25lookback_scan_determinismE0ELb0ELb0ES3_N6thrust23THRUST_200600_302600_NS6detail15normal_iteratorINS9_10device_ptrIiEEEENSB_INSC_IfEEEEiNS9_4plusIvEEiEEDaPvRmT3_T4_T5_mT6_P12ihipStream_tbENKUlT_T0_E_clISt17integral_constantIbLb0EESV_IbLb1EEEEDaSR_SS_EUlSR_E0_NS1_11comp_targetILNS1_3genE3ELNS1_11target_archE908ELNS1_3gpuE7ELNS1_3repE0EEENS1_30default_config_static_selectorELNS0_4arch9wavefront6targetE1EEEvT1_.kd
    .uniform_work_group_size: 1
    .uses_dynamic_stack: false
    .vgpr_count:     0
    .vgpr_spill_count: 0
    .wavefront_size: 64
  - .agpr_count:     0
    .args:
      - .offset:         0
        .size:           32
        .value_kind:     by_value
    .group_segment_fixed_size: 0
    .kernarg_segment_align: 8
    .kernarg_segment_size: 32
    .language:       OpenCL C
    .language_version:
      - 2
      - 0
    .max_flat_workgroup_size: 256
    .name:           _ZN7rocprim17ROCPRIM_400000_NS6detail17trampoline_kernelINS0_14default_configENS1_20scan_config_selectorIiEEZZNS1_9scan_implILNS1_25lookback_scan_determinismE0ELb0ELb0ES3_N6thrust23THRUST_200600_302600_NS6detail15normal_iteratorINS9_10device_ptrIiEEEENSB_INSC_IfEEEEiNS9_4plusIvEEiEEDaPvRmT3_T4_T5_mT6_P12ihipStream_tbENKUlT_T0_E_clISt17integral_constantIbLb0EESV_IbLb1EEEEDaSR_SS_EUlSR_E0_NS1_11comp_targetILNS1_3genE2ELNS1_11target_archE906ELNS1_3gpuE6ELNS1_3repE0EEENS1_30default_config_static_selectorELNS0_4arch9wavefront6targetE1EEEvT1_
    .private_segment_fixed_size: 0
    .sgpr_count:     4
    .sgpr_spill_count: 0
    .symbol:         _ZN7rocprim17ROCPRIM_400000_NS6detail17trampoline_kernelINS0_14default_configENS1_20scan_config_selectorIiEEZZNS1_9scan_implILNS1_25lookback_scan_determinismE0ELb0ELb0ES3_N6thrust23THRUST_200600_302600_NS6detail15normal_iteratorINS9_10device_ptrIiEEEENSB_INSC_IfEEEEiNS9_4plusIvEEiEEDaPvRmT3_T4_T5_mT6_P12ihipStream_tbENKUlT_T0_E_clISt17integral_constantIbLb0EESV_IbLb1EEEEDaSR_SS_EUlSR_E0_NS1_11comp_targetILNS1_3genE2ELNS1_11target_archE906ELNS1_3gpuE6ELNS1_3repE0EEENS1_30default_config_static_selectorELNS0_4arch9wavefront6targetE1EEEvT1_.kd
    .uniform_work_group_size: 1
    .uses_dynamic_stack: false
    .vgpr_count:     0
    .vgpr_spill_count: 0
    .wavefront_size: 64
  - .agpr_count:     0
    .args:
      - .offset:         0
        .size:           32
        .value_kind:     by_value
    .group_segment_fixed_size: 0
    .kernarg_segment_align: 8
    .kernarg_segment_size: 32
    .language:       OpenCL C
    .language_version:
      - 2
      - 0
    .max_flat_workgroup_size: 256
    .name:           _ZN7rocprim17ROCPRIM_400000_NS6detail17trampoline_kernelINS0_14default_configENS1_20scan_config_selectorIiEEZZNS1_9scan_implILNS1_25lookback_scan_determinismE0ELb0ELb0ES3_N6thrust23THRUST_200600_302600_NS6detail15normal_iteratorINS9_10device_ptrIiEEEENSB_INSC_IfEEEEiNS9_4plusIvEEiEEDaPvRmT3_T4_T5_mT6_P12ihipStream_tbENKUlT_T0_E_clISt17integral_constantIbLb0EESV_IbLb1EEEEDaSR_SS_EUlSR_E0_NS1_11comp_targetILNS1_3genE10ELNS1_11target_archE1201ELNS1_3gpuE5ELNS1_3repE0EEENS1_30default_config_static_selectorELNS0_4arch9wavefront6targetE1EEEvT1_
    .private_segment_fixed_size: 0
    .sgpr_count:     4
    .sgpr_spill_count: 0
    .symbol:         _ZN7rocprim17ROCPRIM_400000_NS6detail17trampoline_kernelINS0_14default_configENS1_20scan_config_selectorIiEEZZNS1_9scan_implILNS1_25lookback_scan_determinismE0ELb0ELb0ES3_N6thrust23THRUST_200600_302600_NS6detail15normal_iteratorINS9_10device_ptrIiEEEENSB_INSC_IfEEEEiNS9_4plusIvEEiEEDaPvRmT3_T4_T5_mT6_P12ihipStream_tbENKUlT_T0_E_clISt17integral_constantIbLb0EESV_IbLb1EEEEDaSR_SS_EUlSR_E0_NS1_11comp_targetILNS1_3genE10ELNS1_11target_archE1201ELNS1_3gpuE5ELNS1_3repE0EEENS1_30default_config_static_selectorELNS0_4arch9wavefront6targetE1EEEvT1_.kd
    .uniform_work_group_size: 1
    .uses_dynamic_stack: false
    .vgpr_count:     0
    .vgpr_spill_count: 0
    .wavefront_size: 64
  - .agpr_count:     0
    .args:
      - .offset:         0
        .size:           32
        .value_kind:     by_value
    .group_segment_fixed_size: 0
    .kernarg_segment_align: 8
    .kernarg_segment_size: 32
    .language:       OpenCL C
    .language_version:
      - 2
      - 0
    .max_flat_workgroup_size: 256
    .name:           _ZN7rocprim17ROCPRIM_400000_NS6detail17trampoline_kernelINS0_14default_configENS1_20scan_config_selectorIiEEZZNS1_9scan_implILNS1_25lookback_scan_determinismE0ELb0ELb0ES3_N6thrust23THRUST_200600_302600_NS6detail15normal_iteratorINS9_10device_ptrIiEEEENSB_INSC_IfEEEEiNS9_4plusIvEEiEEDaPvRmT3_T4_T5_mT6_P12ihipStream_tbENKUlT_T0_E_clISt17integral_constantIbLb0EESV_IbLb1EEEEDaSR_SS_EUlSR_E0_NS1_11comp_targetILNS1_3genE10ELNS1_11target_archE1200ELNS1_3gpuE4ELNS1_3repE0EEENS1_30default_config_static_selectorELNS0_4arch9wavefront6targetE1EEEvT1_
    .private_segment_fixed_size: 0
    .sgpr_count:     4
    .sgpr_spill_count: 0
    .symbol:         _ZN7rocprim17ROCPRIM_400000_NS6detail17trampoline_kernelINS0_14default_configENS1_20scan_config_selectorIiEEZZNS1_9scan_implILNS1_25lookback_scan_determinismE0ELb0ELb0ES3_N6thrust23THRUST_200600_302600_NS6detail15normal_iteratorINS9_10device_ptrIiEEEENSB_INSC_IfEEEEiNS9_4plusIvEEiEEDaPvRmT3_T4_T5_mT6_P12ihipStream_tbENKUlT_T0_E_clISt17integral_constantIbLb0EESV_IbLb1EEEEDaSR_SS_EUlSR_E0_NS1_11comp_targetILNS1_3genE10ELNS1_11target_archE1200ELNS1_3gpuE4ELNS1_3repE0EEENS1_30default_config_static_selectorELNS0_4arch9wavefront6targetE1EEEvT1_.kd
    .uniform_work_group_size: 1
    .uses_dynamic_stack: false
    .vgpr_count:     0
    .vgpr_spill_count: 0
    .wavefront_size: 64
  - .agpr_count:     0
    .args:
      - .offset:         0
        .size:           32
        .value_kind:     by_value
    .group_segment_fixed_size: 0
    .kernarg_segment_align: 8
    .kernarg_segment_size: 32
    .language:       OpenCL C
    .language_version:
      - 2
      - 0
    .max_flat_workgroup_size: 256
    .name:           _ZN7rocprim17ROCPRIM_400000_NS6detail17trampoline_kernelINS0_14default_configENS1_20scan_config_selectorIiEEZZNS1_9scan_implILNS1_25lookback_scan_determinismE0ELb0ELb0ES3_N6thrust23THRUST_200600_302600_NS6detail15normal_iteratorINS9_10device_ptrIiEEEENSB_INSC_IfEEEEiNS9_4plusIvEEiEEDaPvRmT3_T4_T5_mT6_P12ihipStream_tbENKUlT_T0_E_clISt17integral_constantIbLb0EESV_IbLb1EEEEDaSR_SS_EUlSR_E0_NS1_11comp_targetILNS1_3genE9ELNS1_11target_archE1100ELNS1_3gpuE3ELNS1_3repE0EEENS1_30default_config_static_selectorELNS0_4arch9wavefront6targetE1EEEvT1_
    .private_segment_fixed_size: 0
    .sgpr_count:     4
    .sgpr_spill_count: 0
    .symbol:         _ZN7rocprim17ROCPRIM_400000_NS6detail17trampoline_kernelINS0_14default_configENS1_20scan_config_selectorIiEEZZNS1_9scan_implILNS1_25lookback_scan_determinismE0ELb0ELb0ES3_N6thrust23THRUST_200600_302600_NS6detail15normal_iteratorINS9_10device_ptrIiEEEENSB_INSC_IfEEEEiNS9_4plusIvEEiEEDaPvRmT3_T4_T5_mT6_P12ihipStream_tbENKUlT_T0_E_clISt17integral_constantIbLb0EESV_IbLb1EEEEDaSR_SS_EUlSR_E0_NS1_11comp_targetILNS1_3genE9ELNS1_11target_archE1100ELNS1_3gpuE3ELNS1_3repE0EEENS1_30default_config_static_selectorELNS0_4arch9wavefront6targetE1EEEvT1_.kd
    .uniform_work_group_size: 1
    .uses_dynamic_stack: false
    .vgpr_count:     0
    .vgpr_spill_count: 0
    .wavefront_size: 64
  - .agpr_count:     0
    .args:
      - .offset:         0
        .size:           32
        .value_kind:     by_value
    .group_segment_fixed_size: 0
    .kernarg_segment_align: 8
    .kernarg_segment_size: 32
    .language:       OpenCL C
    .language_version:
      - 2
      - 0
    .max_flat_workgroup_size: 64
    .name:           _ZN7rocprim17ROCPRIM_400000_NS6detail17trampoline_kernelINS0_14default_configENS1_20scan_config_selectorIiEEZZNS1_9scan_implILNS1_25lookback_scan_determinismE0ELb0ELb0ES3_N6thrust23THRUST_200600_302600_NS6detail15normal_iteratorINS9_10device_ptrIiEEEENSB_INSC_IfEEEEiNS9_4plusIvEEiEEDaPvRmT3_T4_T5_mT6_P12ihipStream_tbENKUlT_T0_E_clISt17integral_constantIbLb0EESV_IbLb1EEEEDaSR_SS_EUlSR_E0_NS1_11comp_targetILNS1_3genE8ELNS1_11target_archE1030ELNS1_3gpuE2ELNS1_3repE0EEENS1_30default_config_static_selectorELNS0_4arch9wavefront6targetE1EEEvT1_
    .private_segment_fixed_size: 0
    .sgpr_count:     4
    .sgpr_spill_count: 0
    .symbol:         _ZN7rocprim17ROCPRIM_400000_NS6detail17trampoline_kernelINS0_14default_configENS1_20scan_config_selectorIiEEZZNS1_9scan_implILNS1_25lookback_scan_determinismE0ELb0ELb0ES3_N6thrust23THRUST_200600_302600_NS6detail15normal_iteratorINS9_10device_ptrIiEEEENSB_INSC_IfEEEEiNS9_4plusIvEEiEEDaPvRmT3_T4_T5_mT6_P12ihipStream_tbENKUlT_T0_E_clISt17integral_constantIbLb0EESV_IbLb1EEEEDaSR_SS_EUlSR_E0_NS1_11comp_targetILNS1_3genE8ELNS1_11target_archE1030ELNS1_3gpuE2ELNS1_3repE0EEENS1_30default_config_static_selectorELNS0_4arch9wavefront6targetE1EEEvT1_.kd
    .uniform_work_group_size: 1
    .uses_dynamic_stack: false
    .vgpr_count:     0
    .vgpr_spill_count: 0
    .wavefront_size: 64
  - .agpr_count:     0
    .args:
      - .offset:         0
        .size:           24
        .value_kind:     by_value
      - .offset:         24
        .size:           8
        .value_kind:     by_value
      - .offset:         32
        .size:           8
        .value_kind:     by_value
    .group_segment_fixed_size: 0
    .kernarg_segment_align: 8
    .kernarg_segment_size: 40
    .language:       OpenCL C
    .language_version:
      - 2
      - 0
    .max_flat_workgroup_size: 256
    .name:           _ZN6thrust23THRUST_200600_302600_NS11hip_rocprim14__parallel_for6kernelILj256ENS1_11__transform17unary_transform_fINS0_10device_ptrIiEENS6_IfEENS4_14no_stencil_tagENS0_8identityIiEENS4_21always_true_predicateEEElLj1EEEvT0_T1_SF_
    .private_segment_fixed_size: 0
    .sgpr_count:     16
    .sgpr_spill_count: 0
    .symbol:         _ZN6thrust23THRUST_200600_302600_NS11hip_rocprim14__parallel_for6kernelILj256ENS1_11__transform17unary_transform_fINS0_10device_ptrIiEENS6_IfEENS4_14no_stencil_tagENS0_8identityIiEENS4_21always_true_predicateEEElLj1EEEvT0_T1_SF_.kd
    .uniform_work_group_size: 1
    .uses_dynamic_stack: false
    .vgpr_count:     6
    .vgpr_spill_count: 0
    .wavefront_size: 64
  - .agpr_count:     0
    .args:
      - .offset:         0
        .size:           96
        .value_kind:     by_value
    .group_segment_fixed_size: 0
    .kernarg_segment_align: 8
    .kernarg_segment_size: 96
    .language:       OpenCL C
    .language_version:
      - 2
      - 0
    .max_flat_workgroup_size: 256
    .name:           _ZN7rocprim17ROCPRIM_400000_NS6detail17trampoline_kernelINS0_14default_configENS1_20scan_config_selectorIfEEZZNS1_9scan_implILNS1_25lookback_scan_determinismE0ELb1ELb1ES3_N6thrust23THRUST_200600_302600_NS6detail15normal_iteratorINS9_10device_ptrIiEEEENSB_INSC_IfEEEEfNS9_4plusIvEEfEEDaPvRmT3_T4_T5_mT6_P12ihipStream_tbENKUlT_T0_E_clISt17integral_constantIbLb0EESW_EEDaSR_SS_EUlSR_E_NS1_11comp_targetILNS1_3genE0ELNS1_11target_archE4294967295ELNS1_3gpuE0ELNS1_3repE0EEENS1_30default_config_static_selectorELNS0_4arch9wavefront6targetE1EEEvT1_
    .private_segment_fixed_size: 0
    .sgpr_count:     4
    .sgpr_spill_count: 0
    .symbol:         _ZN7rocprim17ROCPRIM_400000_NS6detail17trampoline_kernelINS0_14default_configENS1_20scan_config_selectorIfEEZZNS1_9scan_implILNS1_25lookback_scan_determinismE0ELb1ELb1ES3_N6thrust23THRUST_200600_302600_NS6detail15normal_iteratorINS9_10device_ptrIiEEEENSB_INSC_IfEEEEfNS9_4plusIvEEfEEDaPvRmT3_T4_T5_mT6_P12ihipStream_tbENKUlT_T0_E_clISt17integral_constantIbLb0EESW_EEDaSR_SS_EUlSR_E_NS1_11comp_targetILNS1_3genE0ELNS1_11target_archE4294967295ELNS1_3gpuE0ELNS1_3repE0EEENS1_30default_config_static_selectorELNS0_4arch9wavefront6targetE1EEEvT1_.kd
    .uniform_work_group_size: 1
    .uses_dynamic_stack: false
    .vgpr_count:     0
    .vgpr_spill_count: 0
    .wavefront_size: 64
  - .agpr_count:     0
    .args:
      - .offset:         0
        .size:           96
        .value_kind:     by_value
    .group_segment_fixed_size: 0
    .kernarg_segment_align: 8
    .kernarg_segment_size: 96
    .language:       OpenCL C
    .language_version:
      - 2
      - 0
    .max_flat_workgroup_size: 256
    .name:           _ZN7rocprim17ROCPRIM_400000_NS6detail17trampoline_kernelINS0_14default_configENS1_20scan_config_selectorIfEEZZNS1_9scan_implILNS1_25lookback_scan_determinismE0ELb1ELb1ES3_N6thrust23THRUST_200600_302600_NS6detail15normal_iteratorINS9_10device_ptrIiEEEENSB_INSC_IfEEEEfNS9_4plusIvEEfEEDaPvRmT3_T4_T5_mT6_P12ihipStream_tbENKUlT_T0_E_clISt17integral_constantIbLb0EESW_EEDaSR_SS_EUlSR_E_NS1_11comp_targetILNS1_3genE5ELNS1_11target_archE942ELNS1_3gpuE9ELNS1_3repE0EEENS1_30default_config_static_selectorELNS0_4arch9wavefront6targetE1EEEvT1_
    .private_segment_fixed_size: 0
    .sgpr_count:     4
    .sgpr_spill_count: 0
    .symbol:         _ZN7rocprim17ROCPRIM_400000_NS6detail17trampoline_kernelINS0_14default_configENS1_20scan_config_selectorIfEEZZNS1_9scan_implILNS1_25lookback_scan_determinismE0ELb1ELb1ES3_N6thrust23THRUST_200600_302600_NS6detail15normal_iteratorINS9_10device_ptrIiEEEENSB_INSC_IfEEEEfNS9_4plusIvEEfEEDaPvRmT3_T4_T5_mT6_P12ihipStream_tbENKUlT_T0_E_clISt17integral_constantIbLb0EESW_EEDaSR_SS_EUlSR_E_NS1_11comp_targetILNS1_3genE5ELNS1_11target_archE942ELNS1_3gpuE9ELNS1_3repE0EEENS1_30default_config_static_selectorELNS0_4arch9wavefront6targetE1EEEvT1_.kd
    .uniform_work_group_size: 1
    .uses_dynamic_stack: false
    .vgpr_count:     0
    .vgpr_spill_count: 0
    .wavefront_size: 64
  - .agpr_count:     0
    .args:
      - .offset:         0
        .size:           96
        .value_kind:     by_value
    .group_segment_fixed_size: 7168
    .kernarg_segment_align: 8
    .kernarg_segment_size: 96
    .language:       OpenCL C
    .language_version:
      - 2
      - 0
    .max_flat_workgroup_size: 128
    .name:           _ZN7rocprim17ROCPRIM_400000_NS6detail17trampoline_kernelINS0_14default_configENS1_20scan_config_selectorIfEEZZNS1_9scan_implILNS1_25lookback_scan_determinismE0ELb1ELb1ES3_N6thrust23THRUST_200600_302600_NS6detail15normal_iteratorINS9_10device_ptrIiEEEENSB_INSC_IfEEEEfNS9_4plusIvEEfEEDaPvRmT3_T4_T5_mT6_P12ihipStream_tbENKUlT_T0_E_clISt17integral_constantIbLb0EESW_EEDaSR_SS_EUlSR_E_NS1_11comp_targetILNS1_3genE4ELNS1_11target_archE910ELNS1_3gpuE8ELNS1_3repE0EEENS1_30default_config_static_selectorELNS0_4arch9wavefront6targetE1EEEvT1_
    .private_segment_fixed_size: 0
    .sgpr_count:     35
    .sgpr_spill_count: 0
    .symbol:         _ZN7rocprim17ROCPRIM_400000_NS6detail17trampoline_kernelINS0_14default_configENS1_20scan_config_selectorIfEEZZNS1_9scan_implILNS1_25lookback_scan_determinismE0ELb1ELb1ES3_N6thrust23THRUST_200600_302600_NS6detail15normal_iteratorINS9_10device_ptrIiEEEENSB_INSC_IfEEEEfNS9_4plusIvEEfEEDaPvRmT3_T4_T5_mT6_P12ihipStream_tbENKUlT_T0_E_clISt17integral_constantIbLb0EESW_EEDaSR_SS_EUlSR_E_NS1_11comp_targetILNS1_3genE4ELNS1_11target_archE910ELNS1_3gpuE8ELNS1_3repE0EEENS1_30default_config_static_selectorELNS0_4arch9wavefront6targetE1EEEvT1_.kd
    .uniform_work_group_size: 1
    .uses_dynamic_stack: false
    .vgpr_count:     49
    .vgpr_spill_count: 0
    .wavefront_size: 64
  - .agpr_count:     0
    .args:
      - .offset:         0
        .size:           96
        .value_kind:     by_value
    .group_segment_fixed_size: 0
    .kernarg_segment_align: 8
    .kernarg_segment_size: 96
    .language:       OpenCL C
    .language_version:
      - 2
      - 0
    .max_flat_workgroup_size: 256
    .name:           _ZN7rocprim17ROCPRIM_400000_NS6detail17trampoline_kernelINS0_14default_configENS1_20scan_config_selectorIfEEZZNS1_9scan_implILNS1_25lookback_scan_determinismE0ELb1ELb1ES3_N6thrust23THRUST_200600_302600_NS6detail15normal_iteratorINS9_10device_ptrIiEEEENSB_INSC_IfEEEEfNS9_4plusIvEEfEEDaPvRmT3_T4_T5_mT6_P12ihipStream_tbENKUlT_T0_E_clISt17integral_constantIbLb0EESW_EEDaSR_SS_EUlSR_E_NS1_11comp_targetILNS1_3genE3ELNS1_11target_archE908ELNS1_3gpuE7ELNS1_3repE0EEENS1_30default_config_static_selectorELNS0_4arch9wavefront6targetE1EEEvT1_
    .private_segment_fixed_size: 0
    .sgpr_count:     4
    .sgpr_spill_count: 0
    .symbol:         _ZN7rocprim17ROCPRIM_400000_NS6detail17trampoline_kernelINS0_14default_configENS1_20scan_config_selectorIfEEZZNS1_9scan_implILNS1_25lookback_scan_determinismE0ELb1ELb1ES3_N6thrust23THRUST_200600_302600_NS6detail15normal_iteratorINS9_10device_ptrIiEEEENSB_INSC_IfEEEEfNS9_4plusIvEEfEEDaPvRmT3_T4_T5_mT6_P12ihipStream_tbENKUlT_T0_E_clISt17integral_constantIbLb0EESW_EEDaSR_SS_EUlSR_E_NS1_11comp_targetILNS1_3genE3ELNS1_11target_archE908ELNS1_3gpuE7ELNS1_3repE0EEENS1_30default_config_static_selectorELNS0_4arch9wavefront6targetE1EEEvT1_.kd
    .uniform_work_group_size: 1
    .uses_dynamic_stack: false
    .vgpr_count:     0
    .vgpr_spill_count: 0
    .wavefront_size: 64
  - .agpr_count:     0
    .args:
      - .offset:         0
        .size:           96
        .value_kind:     by_value
    .group_segment_fixed_size: 0
    .kernarg_segment_align: 8
    .kernarg_segment_size: 96
    .language:       OpenCL C
    .language_version:
      - 2
      - 0
    .max_flat_workgroup_size: 256
    .name:           _ZN7rocprim17ROCPRIM_400000_NS6detail17trampoline_kernelINS0_14default_configENS1_20scan_config_selectorIfEEZZNS1_9scan_implILNS1_25lookback_scan_determinismE0ELb1ELb1ES3_N6thrust23THRUST_200600_302600_NS6detail15normal_iteratorINS9_10device_ptrIiEEEENSB_INSC_IfEEEEfNS9_4plusIvEEfEEDaPvRmT3_T4_T5_mT6_P12ihipStream_tbENKUlT_T0_E_clISt17integral_constantIbLb0EESW_EEDaSR_SS_EUlSR_E_NS1_11comp_targetILNS1_3genE2ELNS1_11target_archE906ELNS1_3gpuE6ELNS1_3repE0EEENS1_30default_config_static_selectorELNS0_4arch9wavefront6targetE1EEEvT1_
    .private_segment_fixed_size: 0
    .sgpr_count:     4
    .sgpr_spill_count: 0
    .symbol:         _ZN7rocprim17ROCPRIM_400000_NS6detail17trampoline_kernelINS0_14default_configENS1_20scan_config_selectorIfEEZZNS1_9scan_implILNS1_25lookback_scan_determinismE0ELb1ELb1ES3_N6thrust23THRUST_200600_302600_NS6detail15normal_iteratorINS9_10device_ptrIiEEEENSB_INSC_IfEEEEfNS9_4plusIvEEfEEDaPvRmT3_T4_T5_mT6_P12ihipStream_tbENKUlT_T0_E_clISt17integral_constantIbLb0EESW_EEDaSR_SS_EUlSR_E_NS1_11comp_targetILNS1_3genE2ELNS1_11target_archE906ELNS1_3gpuE6ELNS1_3repE0EEENS1_30default_config_static_selectorELNS0_4arch9wavefront6targetE1EEEvT1_.kd
    .uniform_work_group_size: 1
    .uses_dynamic_stack: false
    .vgpr_count:     0
    .vgpr_spill_count: 0
    .wavefront_size: 64
  - .agpr_count:     0
    .args:
      - .offset:         0
        .size:           96
        .value_kind:     by_value
    .group_segment_fixed_size: 0
    .kernarg_segment_align: 8
    .kernarg_segment_size: 96
    .language:       OpenCL C
    .language_version:
      - 2
      - 0
    .max_flat_workgroup_size: 256
    .name:           _ZN7rocprim17ROCPRIM_400000_NS6detail17trampoline_kernelINS0_14default_configENS1_20scan_config_selectorIfEEZZNS1_9scan_implILNS1_25lookback_scan_determinismE0ELb1ELb1ES3_N6thrust23THRUST_200600_302600_NS6detail15normal_iteratorINS9_10device_ptrIiEEEENSB_INSC_IfEEEEfNS9_4plusIvEEfEEDaPvRmT3_T4_T5_mT6_P12ihipStream_tbENKUlT_T0_E_clISt17integral_constantIbLb0EESW_EEDaSR_SS_EUlSR_E_NS1_11comp_targetILNS1_3genE10ELNS1_11target_archE1201ELNS1_3gpuE5ELNS1_3repE0EEENS1_30default_config_static_selectorELNS0_4arch9wavefront6targetE1EEEvT1_
    .private_segment_fixed_size: 0
    .sgpr_count:     4
    .sgpr_spill_count: 0
    .symbol:         _ZN7rocprim17ROCPRIM_400000_NS6detail17trampoline_kernelINS0_14default_configENS1_20scan_config_selectorIfEEZZNS1_9scan_implILNS1_25lookback_scan_determinismE0ELb1ELb1ES3_N6thrust23THRUST_200600_302600_NS6detail15normal_iteratorINS9_10device_ptrIiEEEENSB_INSC_IfEEEEfNS9_4plusIvEEfEEDaPvRmT3_T4_T5_mT6_P12ihipStream_tbENKUlT_T0_E_clISt17integral_constantIbLb0EESW_EEDaSR_SS_EUlSR_E_NS1_11comp_targetILNS1_3genE10ELNS1_11target_archE1201ELNS1_3gpuE5ELNS1_3repE0EEENS1_30default_config_static_selectorELNS0_4arch9wavefront6targetE1EEEvT1_.kd
    .uniform_work_group_size: 1
    .uses_dynamic_stack: false
    .vgpr_count:     0
    .vgpr_spill_count: 0
    .wavefront_size: 64
  - .agpr_count:     0
    .args:
      - .offset:         0
        .size:           96
        .value_kind:     by_value
    .group_segment_fixed_size: 0
    .kernarg_segment_align: 8
    .kernarg_segment_size: 96
    .language:       OpenCL C
    .language_version:
      - 2
      - 0
    .max_flat_workgroup_size: 256
    .name:           _ZN7rocprim17ROCPRIM_400000_NS6detail17trampoline_kernelINS0_14default_configENS1_20scan_config_selectorIfEEZZNS1_9scan_implILNS1_25lookback_scan_determinismE0ELb1ELb1ES3_N6thrust23THRUST_200600_302600_NS6detail15normal_iteratorINS9_10device_ptrIiEEEENSB_INSC_IfEEEEfNS9_4plusIvEEfEEDaPvRmT3_T4_T5_mT6_P12ihipStream_tbENKUlT_T0_E_clISt17integral_constantIbLb0EESW_EEDaSR_SS_EUlSR_E_NS1_11comp_targetILNS1_3genE10ELNS1_11target_archE1200ELNS1_3gpuE4ELNS1_3repE0EEENS1_30default_config_static_selectorELNS0_4arch9wavefront6targetE1EEEvT1_
    .private_segment_fixed_size: 0
    .sgpr_count:     4
    .sgpr_spill_count: 0
    .symbol:         _ZN7rocprim17ROCPRIM_400000_NS6detail17trampoline_kernelINS0_14default_configENS1_20scan_config_selectorIfEEZZNS1_9scan_implILNS1_25lookback_scan_determinismE0ELb1ELb1ES3_N6thrust23THRUST_200600_302600_NS6detail15normal_iteratorINS9_10device_ptrIiEEEENSB_INSC_IfEEEEfNS9_4plusIvEEfEEDaPvRmT3_T4_T5_mT6_P12ihipStream_tbENKUlT_T0_E_clISt17integral_constantIbLb0EESW_EEDaSR_SS_EUlSR_E_NS1_11comp_targetILNS1_3genE10ELNS1_11target_archE1200ELNS1_3gpuE4ELNS1_3repE0EEENS1_30default_config_static_selectorELNS0_4arch9wavefront6targetE1EEEvT1_.kd
    .uniform_work_group_size: 1
    .uses_dynamic_stack: false
    .vgpr_count:     0
    .vgpr_spill_count: 0
    .wavefront_size: 64
  - .agpr_count:     0
    .args:
      - .offset:         0
        .size:           96
        .value_kind:     by_value
    .group_segment_fixed_size: 0
    .kernarg_segment_align: 8
    .kernarg_segment_size: 96
    .language:       OpenCL C
    .language_version:
      - 2
      - 0
    .max_flat_workgroup_size: 256
    .name:           _ZN7rocprim17ROCPRIM_400000_NS6detail17trampoline_kernelINS0_14default_configENS1_20scan_config_selectorIfEEZZNS1_9scan_implILNS1_25lookback_scan_determinismE0ELb1ELb1ES3_N6thrust23THRUST_200600_302600_NS6detail15normal_iteratorINS9_10device_ptrIiEEEENSB_INSC_IfEEEEfNS9_4plusIvEEfEEDaPvRmT3_T4_T5_mT6_P12ihipStream_tbENKUlT_T0_E_clISt17integral_constantIbLb0EESW_EEDaSR_SS_EUlSR_E_NS1_11comp_targetILNS1_3genE9ELNS1_11target_archE1100ELNS1_3gpuE3ELNS1_3repE0EEENS1_30default_config_static_selectorELNS0_4arch9wavefront6targetE1EEEvT1_
    .private_segment_fixed_size: 0
    .sgpr_count:     4
    .sgpr_spill_count: 0
    .symbol:         _ZN7rocprim17ROCPRIM_400000_NS6detail17trampoline_kernelINS0_14default_configENS1_20scan_config_selectorIfEEZZNS1_9scan_implILNS1_25lookback_scan_determinismE0ELb1ELb1ES3_N6thrust23THRUST_200600_302600_NS6detail15normal_iteratorINS9_10device_ptrIiEEEENSB_INSC_IfEEEEfNS9_4plusIvEEfEEDaPvRmT3_T4_T5_mT6_P12ihipStream_tbENKUlT_T0_E_clISt17integral_constantIbLb0EESW_EEDaSR_SS_EUlSR_E_NS1_11comp_targetILNS1_3genE9ELNS1_11target_archE1100ELNS1_3gpuE3ELNS1_3repE0EEENS1_30default_config_static_selectorELNS0_4arch9wavefront6targetE1EEEvT1_.kd
    .uniform_work_group_size: 1
    .uses_dynamic_stack: false
    .vgpr_count:     0
    .vgpr_spill_count: 0
    .wavefront_size: 64
  - .agpr_count:     0
    .args:
      - .offset:         0
        .size:           96
        .value_kind:     by_value
    .group_segment_fixed_size: 0
    .kernarg_segment_align: 8
    .kernarg_segment_size: 96
    .language:       OpenCL C
    .language_version:
      - 2
      - 0
    .max_flat_workgroup_size: 64
    .name:           _ZN7rocprim17ROCPRIM_400000_NS6detail17trampoline_kernelINS0_14default_configENS1_20scan_config_selectorIfEEZZNS1_9scan_implILNS1_25lookback_scan_determinismE0ELb1ELb1ES3_N6thrust23THRUST_200600_302600_NS6detail15normal_iteratorINS9_10device_ptrIiEEEENSB_INSC_IfEEEEfNS9_4plusIvEEfEEDaPvRmT3_T4_T5_mT6_P12ihipStream_tbENKUlT_T0_E_clISt17integral_constantIbLb0EESW_EEDaSR_SS_EUlSR_E_NS1_11comp_targetILNS1_3genE8ELNS1_11target_archE1030ELNS1_3gpuE2ELNS1_3repE0EEENS1_30default_config_static_selectorELNS0_4arch9wavefront6targetE1EEEvT1_
    .private_segment_fixed_size: 0
    .sgpr_count:     4
    .sgpr_spill_count: 0
    .symbol:         _ZN7rocprim17ROCPRIM_400000_NS6detail17trampoline_kernelINS0_14default_configENS1_20scan_config_selectorIfEEZZNS1_9scan_implILNS1_25lookback_scan_determinismE0ELb1ELb1ES3_N6thrust23THRUST_200600_302600_NS6detail15normal_iteratorINS9_10device_ptrIiEEEENSB_INSC_IfEEEEfNS9_4plusIvEEfEEDaPvRmT3_T4_T5_mT6_P12ihipStream_tbENKUlT_T0_E_clISt17integral_constantIbLb0EESW_EEDaSR_SS_EUlSR_E_NS1_11comp_targetILNS1_3genE8ELNS1_11target_archE1030ELNS1_3gpuE2ELNS1_3repE0EEENS1_30default_config_static_selectorELNS0_4arch9wavefront6targetE1EEEvT1_.kd
    .uniform_work_group_size: 1
    .uses_dynamic_stack: false
    .vgpr_count:     0
    .vgpr_spill_count: 0
    .wavefront_size: 64
  - .agpr_count:     0
    .args:
      - .offset:         0
        .size:           32
        .value_kind:     by_value
    .group_segment_fixed_size: 0
    .kernarg_segment_align: 8
    .kernarg_segment_size: 32
    .language:       OpenCL C
    .language_version:
      - 2
      - 0
    .max_flat_workgroup_size: 256
    .name:           _ZN7rocprim17ROCPRIM_400000_NS6detail17trampoline_kernelINS0_14default_configENS1_20scan_config_selectorIfEEZZNS1_9scan_implILNS1_25lookback_scan_determinismE0ELb1ELb1ES3_N6thrust23THRUST_200600_302600_NS6detail15normal_iteratorINS9_10device_ptrIiEEEENSB_INSC_IfEEEEfNS9_4plusIvEEfEEDaPvRmT3_T4_T5_mT6_P12ihipStream_tbENKUlT_T0_E_clISt17integral_constantIbLb0EESW_EEDaSR_SS_EUlSR_E0_NS1_11comp_targetILNS1_3genE0ELNS1_11target_archE4294967295ELNS1_3gpuE0ELNS1_3repE0EEENS1_30default_config_static_selectorELNS0_4arch9wavefront6targetE1EEEvT1_
    .private_segment_fixed_size: 0
    .sgpr_count:     4
    .sgpr_spill_count: 0
    .symbol:         _ZN7rocprim17ROCPRIM_400000_NS6detail17trampoline_kernelINS0_14default_configENS1_20scan_config_selectorIfEEZZNS1_9scan_implILNS1_25lookback_scan_determinismE0ELb1ELb1ES3_N6thrust23THRUST_200600_302600_NS6detail15normal_iteratorINS9_10device_ptrIiEEEENSB_INSC_IfEEEEfNS9_4plusIvEEfEEDaPvRmT3_T4_T5_mT6_P12ihipStream_tbENKUlT_T0_E_clISt17integral_constantIbLb0EESW_EEDaSR_SS_EUlSR_E0_NS1_11comp_targetILNS1_3genE0ELNS1_11target_archE4294967295ELNS1_3gpuE0ELNS1_3repE0EEENS1_30default_config_static_selectorELNS0_4arch9wavefront6targetE1EEEvT1_.kd
    .uniform_work_group_size: 1
    .uses_dynamic_stack: false
    .vgpr_count:     0
    .vgpr_spill_count: 0
    .wavefront_size: 64
  - .agpr_count:     0
    .args:
      - .offset:         0
        .size:           32
        .value_kind:     by_value
    .group_segment_fixed_size: 0
    .kernarg_segment_align: 8
    .kernarg_segment_size: 32
    .language:       OpenCL C
    .language_version:
      - 2
      - 0
    .max_flat_workgroup_size: 256
    .name:           _ZN7rocprim17ROCPRIM_400000_NS6detail17trampoline_kernelINS0_14default_configENS1_20scan_config_selectorIfEEZZNS1_9scan_implILNS1_25lookback_scan_determinismE0ELb1ELb1ES3_N6thrust23THRUST_200600_302600_NS6detail15normal_iteratorINS9_10device_ptrIiEEEENSB_INSC_IfEEEEfNS9_4plusIvEEfEEDaPvRmT3_T4_T5_mT6_P12ihipStream_tbENKUlT_T0_E_clISt17integral_constantIbLb0EESW_EEDaSR_SS_EUlSR_E0_NS1_11comp_targetILNS1_3genE5ELNS1_11target_archE942ELNS1_3gpuE9ELNS1_3repE0EEENS1_30default_config_static_selectorELNS0_4arch9wavefront6targetE1EEEvT1_
    .private_segment_fixed_size: 0
    .sgpr_count:     4
    .sgpr_spill_count: 0
    .symbol:         _ZN7rocprim17ROCPRIM_400000_NS6detail17trampoline_kernelINS0_14default_configENS1_20scan_config_selectorIfEEZZNS1_9scan_implILNS1_25lookback_scan_determinismE0ELb1ELb1ES3_N6thrust23THRUST_200600_302600_NS6detail15normal_iteratorINS9_10device_ptrIiEEEENSB_INSC_IfEEEEfNS9_4plusIvEEfEEDaPvRmT3_T4_T5_mT6_P12ihipStream_tbENKUlT_T0_E_clISt17integral_constantIbLb0EESW_EEDaSR_SS_EUlSR_E0_NS1_11comp_targetILNS1_3genE5ELNS1_11target_archE942ELNS1_3gpuE9ELNS1_3repE0EEENS1_30default_config_static_selectorELNS0_4arch9wavefront6targetE1EEEvT1_.kd
    .uniform_work_group_size: 1
    .uses_dynamic_stack: false
    .vgpr_count:     0
    .vgpr_spill_count: 0
    .wavefront_size: 64
  - .agpr_count:     0
    .args:
      - .offset:         0
        .size:           32
        .value_kind:     by_value
    .group_segment_fixed_size: 7168
    .kernarg_segment_align: 8
    .kernarg_segment_size: 32
    .language:       OpenCL C
    .language_version:
      - 2
      - 0
    .max_flat_workgroup_size: 128
    .name:           _ZN7rocprim17ROCPRIM_400000_NS6detail17trampoline_kernelINS0_14default_configENS1_20scan_config_selectorIfEEZZNS1_9scan_implILNS1_25lookback_scan_determinismE0ELb1ELb1ES3_N6thrust23THRUST_200600_302600_NS6detail15normal_iteratorINS9_10device_ptrIiEEEENSB_INSC_IfEEEEfNS9_4plusIvEEfEEDaPvRmT3_T4_T5_mT6_P12ihipStream_tbENKUlT_T0_E_clISt17integral_constantIbLb0EESW_EEDaSR_SS_EUlSR_E0_NS1_11comp_targetILNS1_3genE4ELNS1_11target_archE910ELNS1_3gpuE8ELNS1_3repE0EEENS1_30default_config_static_selectorELNS0_4arch9wavefront6targetE1EEEvT1_
    .private_segment_fixed_size: 0
    .sgpr_count:     42
    .sgpr_spill_count: 0
    .symbol:         _ZN7rocprim17ROCPRIM_400000_NS6detail17trampoline_kernelINS0_14default_configENS1_20scan_config_selectorIfEEZZNS1_9scan_implILNS1_25lookback_scan_determinismE0ELb1ELb1ES3_N6thrust23THRUST_200600_302600_NS6detail15normal_iteratorINS9_10device_ptrIiEEEENSB_INSC_IfEEEEfNS9_4plusIvEEfEEDaPvRmT3_T4_T5_mT6_P12ihipStream_tbENKUlT_T0_E_clISt17integral_constantIbLb0EESW_EEDaSR_SS_EUlSR_E0_NS1_11comp_targetILNS1_3genE4ELNS1_11target_archE910ELNS1_3gpuE8ELNS1_3repE0EEENS1_30default_config_static_selectorELNS0_4arch9wavefront6targetE1EEEvT1_.kd
    .uniform_work_group_size: 1
    .uses_dynamic_stack: false
    .vgpr_count:     24
    .vgpr_spill_count: 0
    .wavefront_size: 64
  - .agpr_count:     0
    .args:
      - .offset:         0
        .size:           32
        .value_kind:     by_value
    .group_segment_fixed_size: 0
    .kernarg_segment_align: 8
    .kernarg_segment_size: 32
    .language:       OpenCL C
    .language_version:
      - 2
      - 0
    .max_flat_workgroup_size: 256
    .name:           _ZN7rocprim17ROCPRIM_400000_NS6detail17trampoline_kernelINS0_14default_configENS1_20scan_config_selectorIfEEZZNS1_9scan_implILNS1_25lookback_scan_determinismE0ELb1ELb1ES3_N6thrust23THRUST_200600_302600_NS6detail15normal_iteratorINS9_10device_ptrIiEEEENSB_INSC_IfEEEEfNS9_4plusIvEEfEEDaPvRmT3_T4_T5_mT6_P12ihipStream_tbENKUlT_T0_E_clISt17integral_constantIbLb0EESW_EEDaSR_SS_EUlSR_E0_NS1_11comp_targetILNS1_3genE3ELNS1_11target_archE908ELNS1_3gpuE7ELNS1_3repE0EEENS1_30default_config_static_selectorELNS0_4arch9wavefront6targetE1EEEvT1_
    .private_segment_fixed_size: 0
    .sgpr_count:     4
    .sgpr_spill_count: 0
    .symbol:         _ZN7rocprim17ROCPRIM_400000_NS6detail17trampoline_kernelINS0_14default_configENS1_20scan_config_selectorIfEEZZNS1_9scan_implILNS1_25lookback_scan_determinismE0ELb1ELb1ES3_N6thrust23THRUST_200600_302600_NS6detail15normal_iteratorINS9_10device_ptrIiEEEENSB_INSC_IfEEEEfNS9_4plusIvEEfEEDaPvRmT3_T4_T5_mT6_P12ihipStream_tbENKUlT_T0_E_clISt17integral_constantIbLb0EESW_EEDaSR_SS_EUlSR_E0_NS1_11comp_targetILNS1_3genE3ELNS1_11target_archE908ELNS1_3gpuE7ELNS1_3repE0EEENS1_30default_config_static_selectorELNS0_4arch9wavefront6targetE1EEEvT1_.kd
    .uniform_work_group_size: 1
    .uses_dynamic_stack: false
    .vgpr_count:     0
    .vgpr_spill_count: 0
    .wavefront_size: 64
  - .agpr_count:     0
    .args:
      - .offset:         0
        .size:           32
        .value_kind:     by_value
    .group_segment_fixed_size: 0
    .kernarg_segment_align: 8
    .kernarg_segment_size: 32
    .language:       OpenCL C
    .language_version:
      - 2
      - 0
    .max_flat_workgroup_size: 256
    .name:           _ZN7rocprim17ROCPRIM_400000_NS6detail17trampoline_kernelINS0_14default_configENS1_20scan_config_selectorIfEEZZNS1_9scan_implILNS1_25lookback_scan_determinismE0ELb1ELb1ES3_N6thrust23THRUST_200600_302600_NS6detail15normal_iteratorINS9_10device_ptrIiEEEENSB_INSC_IfEEEEfNS9_4plusIvEEfEEDaPvRmT3_T4_T5_mT6_P12ihipStream_tbENKUlT_T0_E_clISt17integral_constantIbLb0EESW_EEDaSR_SS_EUlSR_E0_NS1_11comp_targetILNS1_3genE2ELNS1_11target_archE906ELNS1_3gpuE6ELNS1_3repE0EEENS1_30default_config_static_selectorELNS0_4arch9wavefront6targetE1EEEvT1_
    .private_segment_fixed_size: 0
    .sgpr_count:     4
    .sgpr_spill_count: 0
    .symbol:         _ZN7rocprim17ROCPRIM_400000_NS6detail17trampoline_kernelINS0_14default_configENS1_20scan_config_selectorIfEEZZNS1_9scan_implILNS1_25lookback_scan_determinismE0ELb1ELb1ES3_N6thrust23THRUST_200600_302600_NS6detail15normal_iteratorINS9_10device_ptrIiEEEENSB_INSC_IfEEEEfNS9_4plusIvEEfEEDaPvRmT3_T4_T5_mT6_P12ihipStream_tbENKUlT_T0_E_clISt17integral_constantIbLb0EESW_EEDaSR_SS_EUlSR_E0_NS1_11comp_targetILNS1_3genE2ELNS1_11target_archE906ELNS1_3gpuE6ELNS1_3repE0EEENS1_30default_config_static_selectorELNS0_4arch9wavefront6targetE1EEEvT1_.kd
    .uniform_work_group_size: 1
    .uses_dynamic_stack: false
    .vgpr_count:     0
    .vgpr_spill_count: 0
    .wavefront_size: 64
  - .agpr_count:     0
    .args:
      - .offset:         0
        .size:           32
        .value_kind:     by_value
    .group_segment_fixed_size: 0
    .kernarg_segment_align: 8
    .kernarg_segment_size: 32
    .language:       OpenCL C
    .language_version:
      - 2
      - 0
    .max_flat_workgroup_size: 256
    .name:           _ZN7rocprim17ROCPRIM_400000_NS6detail17trampoline_kernelINS0_14default_configENS1_20scan_config_selectorIfEEZZNS1_9scan_implILNS1_25lookback_scan_determinismE0ELb1ELb1ES3_N6thrust23THRUST_200600_302600_NS6detail15normal_iteratorINS9_10device_ptrIiEEEENSB_INSC_IfEEEEfNS9_4plusIvEEfEEDaPvRmT3_T4_T5_mT6_P12ihipStream_tbENKUlT_T0_E_clISt17integral_constantIbLb0EESW_EEDaSR_SS_EUlSR_E0_NS1_11comp_targetILNS1_3genE10ELNS1_11target_archE1201ELNS1_3gpuE5ELNS1_3repE0EEENS1_30default_config_static_selectorELNS0_4arch9wavefront6targetE1EEEvT1_
    .private_segment_fixed_size: 0
    .sgpr_count:     4
    .sgpr_spill_count: 0
    .symbol:         _ZN7rocprim17ROCPRIM_400000_NS6detail17trampoline_kernelINS0_14default_configENS1_20scan_config_selectorIfEEZZNS1_9scan_implILNS1_25lookback_scan_determinismE0ELb1ELb1ES3_N6thrust23THRUST_200600_302600_NS6detail15normal_iteratorINS9_10device_ptrIiEEEENSB_INSC_IfEEEEfNS9_4plusIvEEfEEDaPvRmT3_T4_T5_mT6_P12ihipStream_tbENKUlT_T0_E_clISt17integral_constantIbLb0EESW_EEDaSR_SS_EUlSR_E0_NS1_11comp_targetILNS1_3genE10ELNS1_11target_archE1201ELNS1_3gpuE5ELNS1_3repE0EEENS1_30default_config_static_selectorELNS0_4arch9wavefront6targetE1EEEvT1_.kd
    .uniform_work_group_size: 1
    .uses_dynamic_stack: false
    .vgpr_count:     0
    .vgpr_spill_count: 0
    .wavefront_size: 64
  - .agpr_count:     0
    .args:
      - .offset:         0
        .size:           32
        .value_kind:     by_value
    .group_segment_fixed_size: 0
    .kernarg_segment_align: 8
    .kernarg_segment_size: 32
    .language:       OpenCL C
    .language_version:
      - 2
      - 0
    .max_flat_workgroup_size: 256
    .name:           _ZN7rocprim17ROCPRIM_400000_NS6detail17trampoline_kernelINS0_14default_configENS1_20scan_config_selectorIfEEZZNS1_9scan_implILNS1_25lookback_scan_determinismE0ELb1ELb1ES3_N6thrust23THRUST_200600_302600_NS6detail15normal_iteratorINS9_10device_ptrIiEEEENSB_INSC_IfEEEEfNS9_4plusIvEEfEEDaPvRmT3_T4_T5_mT6_P12ihipStream_tbENKUlT_T0_E_clISt17integral_constantIbLb0EESW_EEDaSR_SS_EUlSR_E0_NS1_11comp_targetILNS1_3genE10ELNS1_11target_archE1200ELNS1_3gpuE4ELNS1_3repE0EEENS1_30default_config_static_selectorELNS0_4arch9wavefront6targetE1EEEvT1_
    .private_segment_fixed_size: 0
    .sgpr_count:     4
    .sgpr_spill_count: 0
    .symbol:         _ZN7rocprim17ROCPRIM_400000_NS6detail17trampoline_kernelINS0_14default_configENS1_20scan_config_selectorIfEEZZNS1_9scan_implILNS1_25lookback_scan_determinismE0ELb1ELb1ES3_N6thrust23THRUST_200600_302600_NS6detail15normal_iteratorINS9_10device_ptrIiEEEENSB_INSC_IfEEEEfNS9_4plusIvEEfEEDaPvRmT3_T4_T5_mT6_P12ihipStream_tbENKUlT_T0_E_clISt17integral_constantIbLb0EESW_EEDaSR_SS_EUlSR_E0_NS1_11comp_targetILNS1_3genE10ELNS1_11target_archE1200ELNS1_3gpuE4ELNS1_3repE0EEENS1_30default_config_static_selectorELNS0_4arch9wavefront6targetE1EEEvT1_.kd
    .uniform_work_group_size: 1
    .uses_dynamic_stack: false
    .vgpr_count:     0
    .vgpr_spill_count: 0
    .wavefront_size: 64
  - .agpr_count:     0
    .args:
      - .offset:         0
        .size:           32
        .value_kind:     by_value
    .group_segment_fixed_size: 0
    .kernarg_segment_align: 8
    .kernarg_segment_size: 32
    .language:       OpenCL C
    .language_version:
      - 2
      - 0
    .max_flat_workgroup_size: 256
    .name:           _ZN7rocprim17ROCPRIM_400000_NS6detail17trampoline_kernelINS0_14default_configENS1_20scan_config_selectorIfEEZZNS1_9scan_implILNS1_25lookback_scan_determinismE0ELb1ELb1ES3_N6thrust23THRUST_200600_302600_NS6detail15normal_iteratorINS9_10device_ptrIiEEEENSB_INSC_IfEEEEfNS9_4plusIvEEfEEDaPvRmT3_T4_T5_mT6_P12ihipStream_tbENKUlT_T0_E_clISt17integral_constantIbLb0EESW_EEDaSR_SS_EUlSR_E0_NS1_11comp_targetILNS1_3genE9ELNS1_11target_archE1100ELNS1_3gpuE3ELNS1_3repE0EEENS1_30default_config_static_selectorELNS0_4arch9wavefront6targetE1EEEvT1_
    .private_segment_fixed_size: 0
    .sgpr_count:     4
    .sgpr_spill_count: 0
    .symbol:         _ZN7rocprim17ROCPRIM_400000_NS6detail17trampoline_kernelINS0_14default_configENS1_20scan_config_selectorIfEEZZNS1_9scan_implILNS1_25lookback_scan_determinismE0ELb1ELb1ES3_N6thrust23THRUST_200600_302600_NS6detail15normal_iteratorINS9_10device_ptrIiEEEENSB_INSC_IfEEEEfNS9_4plusIvEEfEEDaPvRmT3_T4_T5_mT6_P12ihipStream_tbENKUlT_T0_E_clISt17integral_constantIbLb0EESW_EEDaSR_SS_EUlSR_E0_NS1_11comp_targetILNS1_3genE9ELNS1_11target_archE1100ELNS1_3gpuE3ELNS1_3repE0EEENS1_30default_config_static_selectorELNS0_4arch9wavefront6targetE1EEEvT1_.kd
    .uniform_work_group_size: 1
    .uses_dynamic_stack: false
    .vgpr_count:     0
    .vgpr_spill_count: 0
    .wavefront_size: 64
  - .agpr_count:     0
    .args:
      - .offset:         0
        .size:           32
        .value_kind:     by_value
    .group_segment_fixed_size: 0
    .kernarg_segment_align: 8
    .kernarg_segment_size: 32
    .language:       OpenCL C
    .language_version:
      - 2
      - 0
    .max_flat_workgroup_size: 64
    .name:           _ZN7rocprim17ROCPRIM_400000_NS6detail17trampoline_kernelINS0_14default_configENS1_20scan_config_selectorIfEEZZNS1_9scan_implILNS1_25lookback_scan_determinismE0ELb1ELb1ES3_N6thrust23THRUST_200600_302600_NS6detail15normal_iteratorINS9_10device_ptrIiEEEENSB_INSC_IfEEEEfNS9_4plusIvEEfEEDaPvRmT3_T4_T5_mT6_P12ihipStream_tbENKUlT_T0_E_clISt17integral_constantIbLb0EESW_EEDaSR_SS_EUlSR_E0_NS1_11comp_targetILNS1_3genE8ELNS1_11target_archE1030ELNS1_3gpuE2ELNS1_3repE0EEENS1_30default_config_static_selectorELNS0_4arch9wavefront6targetE1EEEvT1_
    .private_segment_fixed_size: 0
    .sgpr_count:     4
    .sgpr_spill_count: 0
    .symbol:         _ZN7rocprim17ROCPRIM_400000_NS6detail17trampoline_kernelINS0_14default_configENS1_20scan_config_selectorIfEEZZNS1_9scan_implILNS1_25lookback_scan_determinismE0ELb1ELb1ES3_N6thrust23THRUST_200600_302600_NS6detail15normal_iteratorINS9_10device_ptrIiEEEENSB_INSC_IfEEEEfNS9_4plusIvEEfEEDaPvRmT3_T4_T5_mT6_P12ihipStream_tbENKUlT_T0_E_clISt17integral_constantIbLb0EESW_EEDaSR_SS_EUlSR_E0_NS1_11comp_targetILNS1_3genE8ELNS1_11target_archE1030ELNS1_3gpuE2ELNS1_3repE0EEENS1_30default_config_static_selectorELNS0_4arch9wavefront6targetE1EEEvT1_.kd
    .uniform_work_group_size: 1
    .uses_dynamic_stack: false
    .vgpr_count:     0
    .vgpr_spill_count: 0
    .wavefront_size: 64
  - .agpr_count:     0
    .args:
      - .offset:         0
        .size:           96
        .value_kind:     by_value
    .group_segment_fixed_size: 0
    .kernarg_segment_align: 8
    .kernarg_segment_size: 96
    .language:       OpenCL C
    .language_version:
      - 2
      - 0
    .max_flat_workgroup_size: 256
    .name:           _ZN7rocprim17ROCPRIM_400000_NS6detail17trampoline_kernelINS0_14default_configENS1_20scan_config_selectorIfEEZZNS1_9scan_implILNS1_25lookback_scan_determinismE0ELb1ELb1ES3_N6thrust23THRUST_200600_302600_NS6detail15normal_iteratorINS9_10device_ptrIiEEEENSB_INSC_IfEEEEfNS9_4plusIvEEfEEDaPvRmT3_T4_T5_mT6_P12ihipStream_tbENKUlT_T0_E_clISt17integral_constantIbLb1EESW_EEDaSR_SS_EUlSR_E_NS1_11comp_targetILNS1_3genE0ELNS1_11target_archE4294967295ELNS1_3gpuE0ELNS1_3repE0EEENS1_30default_config_static_selectorELNS0_4arch9wavefront6targetE1EEEvT1_
    .private_segment_fixed_size: 0
    .sgpr_count:     4
    .sgpr_spill_count: 0
    .symbol:         _ZN7rocprim17ROCPRIM_400000_NS6detail17trampoline_kernelINS0_14default_configENS1_20scan_config_selectorIfEEZZNS1_9scan_implILNS1_25lookback_scan_determinismE0ELb1ELb1ES3_N6thrust23THRUST_200600_302600_NS6detail15normal_iteratorINS9_10device_ptrIiEEEENSB_INSC_IfEEEEfNS9_4plusIvEEfEEDaPvRmT3_T4_T5_mT6_P12ihipStream_tbENKUlT_T0_E_clISt17integral_constantIbLb1EESW_EEDaSR_SS_EUlSR_E_NS1_11comp_targetILNS1_3genE0ELNS1_11target_archE4294967295ELNS1_3gpuE0ELNS1_3repE0EEENS1_30default_config_static_selectorELNS0_4arch9wavefront6targetE1EEEvT1_.kd
    .uniform_work_group_size: 1
    .uses_dynamic_stack: false
    .vgpr_count:     0
    .vgpr_spill_count: 0
    .wavefront_size: 64
  - .agpr_count:     0
    .args:
      - .offset:         0
        .size:           96
        .value_kind:     by_value
    .group_segment_fixed_size: 0
    .kernarg_segment_align: 8
    .kernarg_segment_size: 96
    .language:       OpenCL C
    .language_version:
      - 2
      - 0
    .max_flat_workgroup_size: 256
    .name:           _ZN7rocprim17ROCPRIM_400000_NS6detail17trampoline_kernelINS0_14default_configENS1_20scan_config_selectorIfEEZZNS1_9scan_implILNS1_25lookback_scan_determinismE0ELb1ELb1ES3_N6thrust23THRUST_200600_302600_NS6detail15normal_iteratorINS9_10device_ptrIiEEEENSB_INSC_IfEEEEfNS9_4plusIvEEfEEDaPvRmT3_T4_T5_mT6_P12ihipStream_tbENKUlT_T0_E_clISt17integral_constantIbLb1EESW_EEDaSR_SS_EUlSR_E_NS1_11comp_targetILNS1_3genE5ELNS1_11target_archE942ELNS1_3gpuE9ELNS1_3repE0EEENS1_30default_config_static_selectorELNS0_4arch9wavefront6targetE1EEEvT1_
    .private_segment_fixed_size: 0
    .sgpr_count:     4
    .sgpr_spill_count: 0
    .symbol:         _ZN7rocprim17ROCPRIM_400000_NS6detail17trampoline_kernelINS0_14default_configENS1_20scan_config_selectorIfEEZZNS1_9scan_implILNS1_25lookback_scan_determinismE0ELb1ELb1ES3_N6thrust23THRUST_200600_302600_NS6detail15normal_iteratorINS9_10device_ptrIiEEEENSB_INSC_IfEEEEfNS9_4plusIvEEfEEDaPvRmT3_T4_T5_mT6_P12ihipStream_tbENKUlT_T0_E_clISt17integral_constantIbLb1EESW_EEDaSR_SS_EUlSR_E_NS1_11comp_targetILNS1_3genE5ELNS1_11target_archE942ELNS1_3gpuE9ELNS1_3repE0EEENS1_30default_config_static_selectorELNS0_4arch9wavefront6targetE1EEEvT1_.kd
    .uniform_work_group_size: 1
    .uses_dynamic_stack: false
    .vgpr_count:     0
    .vgpr_spill_count: 0
    .wavefront_size: 64
  - .agpr_count:     0
    .args:
      - .offset:         0
        .size:           96
        .value_kind:     by_value
    .group_segment_fixed_size: 7168
    .kernarg_segment_align: 8
    .kernarg_segment_size: 96
    .language:       OpenCL C
    .language_version:
      - 2
      - 0
    .max_flat_workgroup_size: 128
    .name:           _ZN7rocprim17ROCPRIM_400000_NS6detail17trampoline_kernelINS0_14default_configENS1_20scan_config_selectorIfEEZZNS1_9scan_implILNS1_25lookback_scan_determinismE0ELb1ELb1ES3_N6thrust23THRUST_200600_302600_NS6detail15normal_iteratorINS9_10device_ptrIiEEEENSB_INSC_IfEEEEfNS9_4plusIvEEfEEDaPvRmT3_T4_T5_mT6_P12ihipStream_tbENKUlT_T0_E_clISt17integral_constantIbLb1EESW_EEDaSR_SS_EUlSR_E_NS1_11comp_targetILNS1_3genE4ELNS1_11target_archE910ELNS1_3gpuE8ELNS1_3repE0EEENS1_30default_config_static_selectorELNS0_4arch9wavefront6targetE1EEEvT1_
    .private_segment_fixed_size: 0
    .sgpr_count:     45
    .sgpr_spill_count: 0
    .symbol:         _ZN7rocprim17ROCPRIM_400000_NS6detail17trampoline_kernelINS0_14default_configENS1_20scan_config_selectorIfEEZZNS1_9scan_implILNS1_25lookback_scan_determinismE0ELb1ELb1ES3_N6thrust23THRUST_200600_302600_NS6detail15normal_iteratorINS9_10device_ptrIiEEEENSB_INSC_IfEEEEfNS9_4plusIvEEfEEDaPvRmT3_T4_T5_mT6_P12ihipStream_tbENKUlT_T0_E_clISt17integral_constantIbLb1EESW_EEDaSR_SS_EUlSR_E_NS1_11comp_targetILNS1_3genE4ELNS1_11target_archE910ELNS1_3gpuE8ELNS1_3repE0EEENS1_30default_config_static_selectorELNS0_4arch9wavefront6targetE1EEEvT1_.kd
    .uniform_work_group_size: 1
    .uses_dynamic_stack: false
    .vgpr_count:     49
    .vgpr_spill_count: 0
    .wavefront_size: 64
  - .agpr_count:     0
    .args:
      - .offset:         0
        .size:           96
        .value_kind:     by_value
    .group_segment_fixed_size: 0
    .kernarg_segment_align: 8
    .kernarg_segment_size: 96
    .language:       OpenCL C
    .language_version:
      - 2
      - 0
    .max_flat_workgroup_size: 256
    .name:           _ZN7rocprim17ROCPRIM_400000_NS6detail17trampoline_kernelINS0_14default_configENS1_20scan_config_selectorIfEEZZNS1_9scan_implILNS1_25lookback_scan_determinismE0ELb1ELb1ES3_N6thrust23THRUST_200600_302600_NS6detail15normal_iteratorINS9_10device_ptrIiEEEENSB_INSC_IfEEEEfNS9_4plusIvEEfEEDaPvRmT3_T4_T5_mT6_P12ihipStream_tbENKUlT_T0_E_clISt17integral_constantIbLb1EESW_EEDaSR_SS_EUlSR_E_NS1_11comp_targetILNS1_3genE3ELNS1_11target_archE908ELNS1_3gpuE7ELNS1_3repE0EEENS1_30default_config_static_selectorELNS0_4arch9wavefront6targetE1EEEvT1_
    .private_segment_fixed_size: 0
    .sgpr_count:     4
    .sgpr_spill_count: 0
    .symbol:         _ZN7rocprim17ROCPRIM_400000_NS6detail17trampoline_kernelINS0_14default_configENS1_20scan_config_selectorIfEEZZNS1_9scan_implILNS1_25lookback_scan_determinismE0ELb1ELb1ES3_N6thrust23THRUST_200600_302600_NS6detail15normal_iteratorINS9_10device_ptrIiEEEENSB_INSC_IfEEEEfNS9_4plusIvEEfEEDaPvRmT3_T4_T5_mT6_P12ihipStream_tbENKUlT_T0_E_clISt17integral_constantIbLb1EESW_EEDaSR_SS_EUlSR_E_NS1_11comp_targetILNS1_3genE3ELNS1_11target_archE908ELNS1_3gpuE7ELNS1_3repE0EEENS1_30default_config_static_selectorELNS0_4arch9wavefront6targetE1EEEvT1_.kd
    .uniform_work_group_size: 1
    .uses_dynamic_stack: false
    .vgpr_count:     0
    .vgpr_spill_count: 0
    .wavefront_size: 64
  - .agpr_count:     0
    .args:
      - .offset:         0
        .size:           96
        .value_kind:     by_value
    .group_segment_fixed_size: 0
    .kernarg_segment_align: 8
    .kernarg_segment_size: 96
    .language:       OpenCL C
    .language_version:
      - 2
      - 0
    .max_flat_workgroup_size: 256
    .name:           _ZN7rocprim17ROCPRIM_400000_NS6detail17trampoline_kernelINS0_14default_configENS1_20scan_config_selectorIfEEZZNS1_9scan_implILNS1_25lookback_scan_determinismE0ELb1ELb1ES3_N6thrust23THRUST_200600_302600_NS6detail15normal_iteratorINS9_10device_ptrIiEEEENSB_INSC_IfEEEEfNS9_4plusIvEEfEEDaPvRmT3_T4_T5_mT6_P12ihipStream_tbENKUlT_T0_E_clISt17integral_constantIbLb1EESW_EEDaSR_SS_EUlSR_E_NS1_11comp_targetILNS1_3genE2ELNS1_11target_archE906ELNS1_3gpuE6ELNS1_3repE0EEENS1_30default_config_static_selectorELNS0_4arch9wavefront6targetE1EEEvT1_
    .private_segment_fixed_size: 0
    .sgpr_count:     4
    .sgpr_spill_count: 0
    .symbol:         _ZN7rocprim17ROCPRIM_400000_NS6detail17trampoline_kernelINS0_14default_configENS1_20scan_config_selectorIfEEZZNS1_9scan_implILNS1_25lookback_scan_determinismE0ELb1ELb1ES3_N6thrust23THRUST_200600_302600_NS6detail15normal_iteratorINS9_10device_ptrIiEEEENSB_INSC_IfEEEEfNS9_4plusIvEEfEEDaPvRmT3_T4_T5_mT6_P12ihipStream_tbENKUlT_T0_E_clISt17integral_constantIbLb1EESW_EEDaSR_SS_EUlSR_E_NS1_11comp_targetILNS1_3genE2ELNS1_11target_archE906ELNS1_3gpuE6ELNS1_3repE0EEENS1_30default_config_static_selectorELNS0_4arch9wavefront6targetE1EEEvT1_.kd
    .uniform_work_group_size: 1
    .uses_dynamic_stack: false
    .vgpr_count:     0
    .vgpr_spill_count: 0
    .wavefront_size: 64
  - .agpr_count:     0
    .args:
      - .offset:         0
        .size:           96
        .value_kind:     by_value
    .group_segment_fixed_size: 0
    .kernarg_segment_align: 8
    .kernarg_segment_size: 96
    .language:       OpenCL C
    .language_version:
      - 2
      - 0
    .max_flat_workgroup_size: 256
    .name:           _ZN7rocprim17ROCPRIM_400000_NS6detail17trampoline_kernelINS0_14default_configENS1_20scan_config_selectorIfEEZZNS1_9scan_implILNS1_25lookback_scan_determinismE0ELb1ELb1ES3_N6thrust23THRUST_200600_302600_NS6detail15normal_iteratorINS9_10device_ptrIiEEEENSB_INSC_IfEEEEfNS9_4plusIvEEfEEDaPvRmT3_T4_T5_mT6_P12ihipStream_tbENKUlT_T0_E_clISt17integral_constantIbLb1EESW_EEDaSR_SS_EUlSR_E_NS1_11comp_targetILNS1_3genE10ELNS1_11target_archE1201ELNS1_3gpuE5ELNS1_3repE0EEENS1_30default_config_static_selectorELNS0_4arch9wavefront6targetE1EEEvT1_
    .private_segment_fixed_size: 0
    .sgpr_count:     4
    .sgpr_spill_count: 0
    .symbol:         _ZN7rocprim17ROCPRIM_400000_NS6detail17trampoline_kernelINS0_14default_configENS1_20scan_config_selectorIfEEZZNS1_9scan_implILNS1_25lookback_scan_determinismE0ELb1ELb1ES3_N6thrust23THRUST_200600_302600_NS6detail15normal_iteratorINS9_10device_ptrIiEEEENSB_INSC_IfEEEEfNS9_4plusIvEEfEEDaPvRmT3_T4_T5_mT6_P12ihipStream_tbENKUlT_T0_E_clISt17integral_constantIbLb1EESW_EEDaSR_SS_EUlSR_E_NS1_11comp_targetILNS1_3genE10ELNS1_11target_archE1201ELNS1_3gpuE5ELNS1_3repE0EEENS1_30default_config_static_selectorELNS0_4arch9wavefront6targetE1EEEvT1_.kd
    .uniform_work_group_size: 1
    .uses_dynamic_stack: false
    .vgpr_count:     0
    .vgpr_spill_count: 0
    .wavefront_size: 64
  - .agpr_count:     0
    .args:
      - .offset:         0
        .size:           96
        .value_kind:     by_value
    .group_segment_fixed_size: 0
    .kernarg_segment_align: 8
    .kernarg_segment_size: 96
    .language:       OpenCL C
    .language_version:
      - 2
      - 0
    .max_flat_workgroup_size: 256
    .name:           _ZN7rocprim17ROCPRIM_400000_NS6detail17trampoline_kernelINS0_14default_configENS1_20scan_config_selectorIfEEZZNS1_9scan_implILNS1_25lookback_scan_determinismE0ELb1ELb1ES3_N6thrust23THRUST_200600_302600_NS6detail15normal_iteratorINS9_10device_ptrIiEEEENSB_INSC_IfEEEEfNS9_4plusIvEEfEEDaPvRmT3_T4_T5_mT6_P12ihipStream_tbENKUlT_T0_E_clISt17integral_constantIbLb1EESW_EEDaSR_SS_EUlSR_E_NS1_11comp_targetILNS1_3genE10ELNS1_11target_archE1200ELNS1_3gpuE4ELNS1_3repE0EEENS1_30default_config_static_selectorELNS0_4arch9wavefront6targetE1EEEvT1_
    .private_segment_fixed_size: 0
    .sgpr_count:     4
    .sgpr_spill_count: 0
    .symbol:         _ZN7rocprim17ROCPRIM_400000_NS6detail17trampoline_kernelINS0_14default_configENS1_20scan_config_selectorIfEEZZNS1_9scan_implILNS1_25lookback_scan_determinismE0ELb1ELb1ES3_N6thrust23THRUST_200600_302600_NS6detail15normal_iteratorINS9_10device_ptrIiEEEENSB_INSC_IfEEEEfNS9_4plusIvEEfEEDaPvRmT3_T4_T5_mT6_P12ihipStream_tbENKUlT_T0_E_clISt17integral_constantIbLb1EESW_EEDaSR_SS_EUlSR_E_NS1_11comp_targetILNS1_3genE10ELNS1_11target_archE1200ELNS1_3gpuE4ELNS1_3repE0EEENS1_30default_config_static_selectorELNS0_4arch9wavefront6targetE1EEEvT1_.kd
    .uniform_work_group_size: 1
    .uses_dynamic_stack: false
    .vgpr_count:     0
    .vgpr_spill_count: 0
    .wavefront_size: 64
  - .agpr_count:     0
    .args:
      - .offset:         0
        .size:           96
        .value_kind:     by_value
    .group_segment_fixed_size: 0
    .kernarg_segment_align: 8
    .kernarg_segment_size: 96
    .language:       OpenCL C
    .language_version:
      - 2
      - 0
    .max_flat_workgroup_size: 256
    .name:           _ZN7rocprim17ROCPRIM_400000_NS6detail17trampoline_kernelINS0_14default_configENS1_20scan_config_selectorIfEEZZNS1_9scan_implILNS1_25lookback_scan_determinismE0ELb1ELb1ES3_N6thrust23THRUST_200600_302600_NS6detail15normal_iteratorINS9_10device_ptrIiEEEENSB_INSC_IfEEEEfNS9_4plusIvEEfEEDaPvRmT3_T4_T5_mT6_P12ihipStream_tbENKUlT_T0_E_clISt17integral_constantIbLb1EESW_EEDaSR_SS_EUlSR_E_NS1_11comp_targetILNS1_3genE9ELNS1_11target_archE1100ELNS1_3gpuE3ELNS1_3repE0EEENS1_30default_config_static_selectorELNS0_4arch9wavefront6targetE1EEEvT1_
    .private_segment_fixed_size: 0
    .sgpr_count:     4
    .sgpr_spill_count: 0
    .symbol:         _ZN7rocprim17ROCPRIM_400000_NS6detail17trampoline_kernelINS0_14default_configENS1_20scan_config_selectorIfEEZZNS1_9scan_implILNS1_25lookback_scan_determinismE0ELb1ELb1ES3_N6thrust23THRUST_200600_302600_NS6detail15normal_iteratorINS9_10device_ptrIiEEEENSB_INSC_IfEEEEfNS9_4plusIvEEfEEDaPvRmT3_T4_T5_mT6_P12ihipStream_tbENKUlT_T0_E_clISt17integral_constantIbLb1EESW_EEDaSR_SS_EUlSR_E_NS1_11comp_targetILNS1_3genE9ELNS1_11target_archE1100ELNS1_3gpuE3ELNS1_3repE0EEENS1_30default_config_static_selectorELNS0_4arch9wavefront6targetE1EEEvT1_.kd
    .uniform_work_group_size: 1
    .uses_dynamic_stack: false
    .vgpr_count:     0
    .vgpr_spill_count: 0
    .wavefront_size: 64
  - .agpr_count:     0
    .args:
      - .offset:         0
        .size:           96
        .value_kind:     by_value
    .group_segment_fixed_size: 0
    .kernarg_segment_align: 8
    .kernarg_segment_size: 96
    .language:       OpenCL C
    .language_version:
      - 2
      - 0
    .max_flat_workgroup_size: 64
    .name:           _ZN7rocprim17ROCPRIM_400000_NS6detail17trampoline_kernelINS0_14default_configENS1_20scan_config_selectorIfEEZZNS1_9scan_implILNS1_25lookback_scan_determinismE0ELb1ELb1ES3_N6thrust23THRUST_200600_302600_NS6detail15normal_iteratorINS9_10device_ptrIiEEEENSB_INSC_IfEEEEfNS9_4plusIvEEfEEDaPvRmT3_T4_T5_mT6_P12ihipStream_tbENKUlT_T0_E_clISt17integral_constantIbLb1EESW_EEDaSR_SS_EUlSR_E_NS1_11comp_targetILNS1_3genE8ELNS1_11target_archE1030ELNS1_3gpuE2ELNS1_3repE0EEENS1_30default_config_static_selectorELNS0_4arch9wavefront6targetE1EEEvT1_
    .private_segment_fixed_size: 0
    .sgpr_count:     4
    .sgpr_spill_count: 0
    .symbol:         _ZN7rocprim17ROCPRIM_400000_NS6detail17trampoline_kernelINS0_14default_configENS1_20scan_config_selectorIfEEZZNS1_9scan_implILNS1_25lookback_scan_determinismE0ELb1ELb1ES3_N6thrust23THRUST_200600_302600_NS6detail15normal_iteratorINS9_10device_ptrIiEEEENSB_INSC_IfEEEEfNS9_4plusIvEEfEEDaPvRmT3_T4_T5_mT6_P12ihipStream_tbENKUlT_T0_E_clISt17integral_constantIbLb1EESW_EEDaSR_SS_EUlSR_E_NS1_11comp_targetILNS1_3genE8ELNS1_11target_archE1030ELNS1_3gpuE2ELNS1_3repE0EEENS1_30default_config_static_selectorELNS0_4arch9wavefront6targetE1EEEvT1_.kd
    .uniform_work_group_size: 1
    .uses_dynamic_stack: false
    .vgpr_count:     0
    .vgpr_spill_count: 0
    .wavefront_size: 64
  - .agpr_count:     0
    .args:
      - .offset:         0
        .size:           32
        .value_kind:     by_value
    .group_segment_fixed_size: 0
    .kernarg_segment_align: 8
    .kernarg_segment_size: 32
    .language:       OpenCL C
    .language_version:
      - 2
      - 0
    .max_flat_workgroup_size: 256
    .name:           _ZN7rocprim17ROCPRIM_400000_NS6detail17trampoline_kernelINS0_14default_configENS1_20scan_config_selectorIfEEZZNS1_9scan_implILNS1_25lookback_scan_determinismE0ELb1ELb1ES3_N6thrust23THRUST_200600_302600_NS6detail15normal_iteratorINS9_10device_ptrIiEEEENSB_INSC_IfEEEEfNS9_4plusIvEEfEEDaPvRmT3_T4_T5_mT6_P12ihipStream_tbENKUlT_T0_E_clISt17integral_constantIbLb1EESW_EEDaSR_SS_EUlSR_E0_NS1_11comp_targetILNS1_3genE0ELNS1_11target_archE4294967295ELNS1_3gpuE0ELNS1_3repE0EEENS1_30default_config_static_selectorELNS0_4arch9wavefront6targetE1EEEvT1_
    .private_segment_fixed_size: 0
    .sgpr_count:     4
    .sgpr_spill_count: 0
    .symbol:         _ZN7rocprim17ROCPRIM_400000_NS6detail17trampoline_kernelINS0_14default_configENS1_20scan_config_selectorIfEEZZNS1_9scan_implILNS1_25lookback_scan_determinismE0ELb1ELb1ES3_N6thrust23THRUST_200600_302600_NS6detail15normal_iteratorINS9_10device_ptrIiEEEENSB_INSC_IfEEEEfNS9_4plusIvEEfEEDaPvRmT3_T4_T5_mT6_P12ihipStream_tbENKUlT_T0_E_clISt17integral_constantIbLb1EESW_EEDaSR_SS_EUlSR_E0_NS1_11comp_targetILNS1_3genE0ELNS1_11target_archE4294967295ELNS1_3gpuE0ELNS1_3repE0EEENS1_30default_config_static_selectorELNS0_4arch9wavefront6targetE1EEEvT1_.kd
    .uniform_work_group_size: 1
    .uses_dynamic_stack: false
    .vgpr_count:     0
    .vgpr_spill_count: 0
    .wavefront_size: 64
  - .agpr_count:     0
    .args:
      - .offset:         0
        .size:           32
        .value_kind:     by_value
    .group_segment_fixed_size: 0
    .kernarg_segment_align: 8
    .kernarg_segment_size: 32
    .language:       OpenCL C
    .language_version:
      - 2
      - 0
    .max_flat_workgroup_size: 256
    .name:           _ZN7rocprim17ROCPRIM_400000_NS6detail17trampoline_kernelINS0_14default_configENS1_20scan_config_selectorIfEEZZNS1_9scan_implILNS1_25lookback_scan_determinismE0ELb1ELb1ES3_N6thrust23THRUST_200600_302600_NS6detail15normal_iteratorINS9_10device_ptrIiEEEENSB_INSC_IfEEEEfNS9_4plusIvEEfEEDaPvRmT3_T4_T5_mT6_P12ihipStream_tbENKUlT_T0_E_clISt17integral_constantIbLb1EESW_EEDaSR_SS_EUlSR_E0_NS1_11comp_targetILNS1_3genE5ELNS1_11target_archE942ELNS1_3gpuE9ELNS1_3repE0EEENS1_30default_config_static_selectorELNS0_4arch9wavefront6targetE1EEEvT1_
    .private_segment_fixed_size: 0
    .sgpr_count:     4
    .sgpr_spill_count: 0
    .symbol:         _ZN7rocprim17ROCPRIM_400000_NS6detail17trampoline_kernelINS0_14default_configENS1_20scan_config_selectorIfEEZZNS1_9scan_implILNS1_25lookback_scan_determinismE0ELb1ELb1ES3_N6thrust23THRUST_200600_302600_NS6detail15normal_iteratorINS9_10device_ptrIiEEEENSB_INSC_IfEEEEfNS9_4plusIvEEfEEDaPvRmT3_T4_T5_mT6_P12ihipStream_tbENKUlT_T0_E_clISt17integral_constantIbLb1EESW_EEDaSR_SS_EUlSR_E0_NS1_11comp_targetILNS1_3genE5ELNS1_11target_archE942ELNS1_3gpuE9ELNS1_3repE0EEENS1_30default_config_static_selectorELNS0_4arch9wavefront6targetE1EEEvT1_.kd
    .uniform_work_group_size: 1
    .uses_dynamic_stack: false
    .vgpr_count:     0
    .vgpr_spill_count: 0
    .wavefront_size: 64
  - .agpr_count:     0
    .args:
      - .offset:         0
        .size:           32
        .value_kind:     by_value
    .group_segment_fixed_size: 7168
    .kernarg_segment_align: 8
    .kernarg_segment_size: 32
    .language:       OpenCL C
    .language_version:
      - 2
      - 0
    .max_flat_workgroup_size: 128
    .name:           _ZN7rocprim17ROCPRIM_400000_NS6detail17trampoline_kernelINS0_14default_configENS1_20scan_config_selectorIfEEZZNS1_9scan_implILNS1_25lookback_scan_determinismE0ELb1ELb1ES3_N6thrust23THRUST_200600_302600_NS6detail15normal_iteratorINS9_10device_ptrIiEEEENSB_INSC_IfEEEEfNS9_4plusIvEEfEEDaPvRmT3_T4_T5_mT6_P12ihipStream_tbENKUlT_T0_E_clISt17integral_constantIbLb1EESW_EEDaSR_SS_EUlSR_E0_NS1_11comp_targetILNS1_3genE4ELNS1_11target_archE910ELNS1_3gpuE8ELNS1_3repE0EEENS1_30default_config_static_selectorELNS0_4arch9wavefront6targetE1EEEvT1_
    .private_segment_fixed_size: 0
    .sgpr_count:     42
    .sgpr_spill_count: 0
    .symbol:         _ZN7rocprim17ROCPRIM_400000_NS6detail17trampoline_kernelINS0_14default_configENS1_20scan_config_selectorIfEEZZNS1_9scan_implILNS1_25lookback_scan_determinismE0ELb1ELb1ES3_N6thrust23THRUST_200600_302600_NS6detail15normal_iteratorINS9_10device_ptrIiEEEENSB_INSC_IfEEEEfNS9_4plusIvEEfEEDaPvRmT3_T4_T5_mT6_P12ihipStream_tbENKUlT_T0_E_clISt17integral_constantIbLb1EESW_EEDaSR_SS_EUlSR_E0_NS1_11comp_targetILNS1_3genE4ELNS1_11target_archE910ELNS1_3gpuE8ELNS1_3repE0EEENS1_30default_config_static_selectorELNS0_4arch9wavefront6targetE1EEEvT1_.kd
    .uniform_work_group_size: 1
    .uses_dynamic_stack: false
    .vgpr_count:     24
    .vgpr_spill_count: 0
    .wavefront_size: 64
  - .agpr_count:     0
    .args:
      - .offset:         0
        .size:           32
        .value_kind:     by_value
    .group_segment_fixed_size: 0
    .kernarg_segment_align: 8
    .kernarg_segment_size: 32
    .language:       OpenCL C
    .language_version:
      - 2
      - 0
    .max_flat_workgroup_size: 256
    .name:           _ZN7rocprim17ROCPRIM_400000_NS6detail17trampoline_kernelINS0_14default_configENS1_20scan_config_selectorIfEEZZNS1_9scan_implILNS1_25lookback_scan_determinismE0ELb1ELb1ES3_N6thrust23THRUST_200600_302600_NS6detail15normal_iteratorINS9_10device_ptrIiEEEENSB_INSC_IfEEEEfNS9_4plusIvEEfEEDaPvRmT3_T4_T5_mT6_P12ihipStream_tbENKUlT_T0_E_clISt17integral_constantIbLb1EESW_EEDaSR_SS_EUlSR_E0_NS1_11comp_targetILNS1_3genE3ELNS1_11target_archE908ELNS1_3gpuE7ELNS1_3repE0EEENS1_30default_config_static_selectorELNS0_4arch9wavefront6targetE1EEEvT1_
    .private_segment_fixed_size: 0
    .sgpr_count:     4
    .sgpr_spill_count: 0
    .symbol:         _ZN7rocprim17ROCPRIM_400000_NS6detail17trampoline_kernelINS0_14default_configENS1_20scan_config_selectorIfEEZZNS1_9scan_implILNS1_25lookback_scan_determinismE0ELb1ELb1ES3_N6thrust23THRUST_200600_302600_NS6detail15normal_iteratorINS9_10device_ptrIiEEEENSB_INSC_IfEEEEfNS9_4plusIvEEfEEDaPvRmT3_T4_T5_mT6_P12ihipStream_tbENKUlT_T0_E_clISt17integral_constantIbLb1EESW_EEDaSR_SS_EUlSR_E0_NS1_11comp_targetILNS1_3genE3ELNS1_11target_archE908ELNS1_3gpuE7ELNS1_3repE0EEENS1_30default_config_static_selectorELNS0_4arch9wavefront6targetE1EEEvT1_.kd
    .uniform_work_group_size: 1
    .uses_dynamic_stack: false
    .vgpr_count:     0
    .vgpr_spill_count: 0
    .wavefront_size: 64
  - .agpr_count:     0
    .args:
      - .offset:         0
        .size:           32
        .value_kind:     by_value
    .group_segment_fixed_size: 0
    .kernarg_segment_align: 8
    .kernarg_segment_size: 32
    .language:       OpenCL C
    .language_version:
      - 2
      - 0
    .max_flat_workgroup_size: 256
    .name:           _ZN7rocprim17ROCPRIM_400000_NS6detail17trampoline_kernelINS0_14default_configENS1_20scan_config_selectorIfEEZZNS1_9scan_implILNS1_25lookback_scan_determinismE0ELb1ELb1ES3_N6thrust23THRUST_200600_302600_NS6detail15normal_iteratorINS9_10device_ptrIiEEEENSB_INSC_IfEEEEfNS9_4plusIvEEfEEDaPvRmT3_T4_T5_mT6_P12ihipStream_tbENKUlT_T0_E_clISt17integral_constantIbLb1EESW_EEDaSR_SS_EUlSR_E0_NS1_11comp_targetILNS1_3genE2ELNS1_11target_archE906ELNS1_3gpuE6ELNS1_3repE0EEENS1_30default_config_static_selectorELNS0_4arch9wavefront6targetE1EEEvT1_
    .private_segment_fixed_size: 0
    .sgpr_count:     4
    .sgpr_spill_count: 0
    .symbol:         _ZN7rocprim17ROCPRIM_400000_NS6detail17trampoline_kernelINS0_14default_configENS1_20scan_config_selectorIfEEZZNS1_9scan_implILNS1_25lookback_scan_determinismE0ELb1ELb1ES3_N6thrust23THRUST_200600_302600_NS6detail15normal_iteratorINS9_10device_ptrIiEEEENSB_INSC_IfEEEEfNS9_4plusIvEEfEEDaPvRmT3_T4_T5_mT6_P12ihipStream_tbENKUlT_T0_E_clISt17integral_constantIbLb1EESW_EEDaSR_SS_EUlSR_E0_NS1_11comp_targetILNS1_3genE2ELNS1_11target_archE906ELNS1_3gpuE6ELNS1_3repE0EEENS1_30default_config_static_selectorELNS0_4arch9wavefront6targetE1EEEvT1_.kd
    .uniform_work_group_size: 1
    .uses_dynamic_stack: false
    .vgpr_count:     0
    .vgpr_spill_count: 0
    .wavefront_size: 64
  - .agpr_count:     0
    .args:
      - .offset:         0
        .size:           32
        .value_kind:     by_value
    .group_segment_fixed_size: 0
    .kernarg_segment_align: 8
    .kernarg_segment_size: 32
    .language:       OpenCL C
    .language_version:
      - 2
      - 0
    .max_flat_workgroup_size: 256
    .name:           _ZN7rocprim17ROCPRIM_400000_NS6detail17trampoline_kernelINS0_14default_configENS1_20scan_config_selectorIfEEZZNS1_9scan_implILNS1_25lookback_scan_determinismE0ELb1ELb1ES3_N6thrust23THRUST_200600_302600_NS6detail15normal_iteratorINS9_10device_ptrIiEEEENSB_INSC_IfEEEEfNS9_4plusIvEEfEEDaPvRmT3_T4_T5_mT6_P12ihipStream_tbENKUlT_T0_E_clISt17integral_constantIbLb1EESW_EEDaSR_SS_EUlSR_E0_NS1_11comp_targetILNS1_3genE10ELNS1_11target_archE1201ELNS1_3gpuE5ELNS1_3repE0EEENS1_30default_config_static_selectorELNS0_4arch9wavefront6targetE1EEEvT1_
    .private_segment_fixed_size: 0
    .sgpr_count:     4
    .sgpr_spill_count: 0
    .symbol:         _ZN7rocprim17ROCPRIM_400000_NS6detail17trampoline_kernelINS0_14default_configENS1_20scan_config_selectorIfEEZZNS1_9scan_implILNS1_25lookback_scan_determinismE0ELb1ELb1ES3_N6thrust23THRUST_200600_302600_NS6detail15normal_iteratorINS9_10device_ptrIiEEEENSB_INSC_IfEEEEfNS9_4plusIvEEfEEDaPvRmT3_T4_T5_mT6_P12ihipStream_tbENKUlT_T0_E_clISt17integral_constantIbLb1EESW_EEDaSR_SS_EUlSR_E0_NS1_11comp_targetILNS1_3genE10ELNS1_11target_archE1201ELNS1_3gpuE5ELNS1_3repE0EEENS1_30default_config_static_selectorELNS0_4arch9wavefront6targetE1EEEvT1_.kd
    .uniform_work_group_size: 1
    .uses_dynamic_stack: false
    .vgpr_count:     0
    .vgpr_spill_count: 0
    .wavefront_size: 64
  - .agpr_count:     0
    .args:
      - .offset:         0
        .size:           32
        .value_kind:     by_value
    .group_segment_fixed_size: 0
    .kernarg_segment_align: 8
    .kernarg_segment_size: 32
    .language:       OpenCL C
    .language_version:
      - 2
      - 0
    .max_flat_workgroup_size: 256
    .name:           _ZN7rocprim17ROCPRIM_400000_NS6detail17trampoline_kernelINS0_14default_configENS1_20scan_config_selectorIfEEZZNS1_9scan_implILNS1_25lookback_scan_determinismE0ELb1ELb1ES3_N6thrust23THRUST_200600_302600_NS6detail15normal_iteratorINS9_10device_ptrIiEEEENSB_INSC_IfEEEEfNS9_4plusIvEEfEEDaPvRmT3_T4_T5_mT6_P12ihipStream_tbENKUlT_T0_E_clISt17integral_constantIbLb1EESW_EEDaSR_SS_EUlSR_E0_NS1_11comp_targetILNS1_3genE10ELNS1_11target_archE1200ELNS1_3gpuE4ELNS1_3repE0EEENS1_30default_config_static_selectorELNS0_4arch9wavefront6targetE1EEEvT1_
    .private_segment_fixed_size: 0
    .sgpr_count:     4
    .sgpr_spill_count: 0
    .symbol:         _ZN7rocprim17ROCPRIM_400000_NS6detail17trampoline_kernelINS0_14default_configENS1_20scan_config_selectorIfEEZZNS1_9scan_implILNS1_25lookback_scan_determinismE0ELb1ELb1ES3_N6thrust23THRUST_200600_302600_NS6detail15normal_iteratorINS9_10device_ptrIiEEEENSB_INSC_IfEEEEfNS9_4plusIvEEfEEDaPvRmT3_T4_T5_mT6_P12ihipStream_tbENKUlT_T0_E_clISt17integral_constantIbLb1EESW_EEDaSR_SS_EUlSR_E0_NS1_11comp_targetILNS1_3genE10ELNS1_11target_archE1200ELNS1_3gpuE4ELNS1_3repE0EEENS1_30default_config_static_selectorELNS0_4arch9wavefront6targetE1EEEvT1_.kd
    .uniform_work_group_size: 1
    .uses_dynamic_stack: false
    .vgpr_count:     0
    .vgpr_spill_count: 0
    .wavefront_size: 64
  - .agpr_count:     0
    .args:
      - .offset:         0
        .size:           32
        .value_kind:     by_value
    .group_segment_fixed_size: 0
    .kernarg_segment_align: 8
    .kernarg_segment_size: 32
    .language:       OpenCL C
    .language_version:
      - 2
      - 0
    .max_flat_workgroup_size: 256
    .name:           _ZN7rocprim17ROCPRIM_400000_NS6detail17trampoline_kernelINS0_14default_configENS1_20scan_config_selectorIfEEZZNS1_9scan_implILNS1_25lookback_scan_determinismE0ELb1ELb1ES3_N6thrust23THRUST_200600_302600_NS6detail15normal_iteratorINS9_10device_ptrIiEEEENSB_INSC_IfEEEEfNS9_4plusIvEEfEEDaPvRmT3_T4_T5_mT6_P12ihipStream_tbENKUlT_T0_E_clISt17integral_constantIbLb1EESW_EEDaSR_SS_EUlSR_E0_NS1_11comp_targetILNS1_3genE9ELNS1_11target_archE1100ELNS1_3gpuE3ELNS1_3repE0EEENS1_30default_config_static_selectorELNS0_4arch9wavefront6targetE1EEEvT1_
    .private_segment_fixed_size: 0
    .sgpr_count:     4
    .sgpr_spill_count: 0
    .symbol:         _ZN7rocprim17ROCPRIM_400000_NS6detail17trampoline_kernelINS0_14default_configENS1_20scan_config_selectorIfEEZZNS1_9scan_implILNS1_25lookback_scan_determinismE0ELb1ELb1ES3_N6thrust23THRUST_200600_302600_NS6detail15normal_iteratorINS9_10device_ptrIiEEEENSB_INSC_IfEEEEfNS9_4plusIvEEfEEDaPvRmT3_T4_T5_mT6_P12ihipStream_tbENKUlT_T0_E_clISt17integral_constantIbLb1EESW_EEDaSR_SS_EUlSR_E0_NS1_11comp_targetILNS1_3genE9ELNS1_11target_archE1100ELNS1_3gpuE3ELNS1_3repE0EEENS1_30default_config_static_selectorELNS0_4arch9wavefront6targetE1EEEvT1_.kd
    .uniform_work_group_size: 1
    .uses_dynamic_stack: false
    .vgpr_count:     0
    .vgpr_spill_count: 0
    .wavefront_size: 64
  - .agpr_count:     0
    .args:
      - .offset:         0
        .size:           32
        .value_kind:     by_value
    .group_segment_fixed_size: 0
    .kernarg_segment_align: 8
    .kernarg_segment_size: 32
    .language:       OpenCL C
    .language_version:
      - 2
      - 0
    .max_flat_workgroup_size: 64
    .name:           _ZN7rocprim17ROCPRIM_400000_NS6detail17trampoline_kernelINS0_14default_configENS1_20scan_config_selectorIfEEZZNS1_9scan_implILNS1_25lookback_scan_determinismE0ELb1ELb1ES3_N6thrust23THRUST_200600_302600_NS6detail15normal_iteratorINS9_10device_ptrIiEEEENSB_INSC_IfEEEEfNS9_4plusIvEEfEEDaPvRmT3_T4_T5_mT6_P12ihipStream_tbENKUlT_T0_E_clISt17integral_constantIbLb1EESW_EEDaSR_SS_EUlSR_E0_NS1_11comp_targetILNS1_3genE8ELNS1_11target_archE1030ELNS1_3gpuE2ELNS1_3repE0EEENS1_30default_config_static_selectorELNS0_4arch9wavefront6targetE1EEEvT1_
    .private_segment_fixed_size: 0
    .sgpr_count:     4
    .sgpr_spill_count: 0
    .symbol:         _ZN7rocprim17ROCPRIM_400000_NS6detail17trampoline_kernelINS0_14default_configENS1_20scan_config_selectorIfEEZZNS1_9scan_implILNS1_25lookback_scan_determinismE0ELb1ELb1ES3_N6thrust23THRUST_200600_302600_NS6detail15normal_iteratorINS9_10device_ptrIiEEEENSB_INSC_IfEEEEfNS9_4plusIvEEfEEDaPvRmT3_T4_T5_mT6_P12ihipStream_tbENKUlT_T0_E_clISt17integral_constantIbLb1EESW_EEDaSR_SS_EUlSR_E0_NS1_11comp_targetILNS1_3genE8ELNS1_11target_archE1030ELNS1_3gpuE2ELNS1_3repE0EEENS1_30default_config_static_selectorELNS0_4arch9wavefront6targetE1EEEvT1_.kd
    .uniform_work_group_size: 1
    .uses_dynamic_stack: false
    .vgpr_count:     0
    .vgpr_spill_count: 0
    .wavefront_size: 64
  - .agpr_count:     0
    .args:
      - .offset:         0
        .size:           96
        .value_kind:     by_value
    .group_segment_fixed_size: 0
    .kernarg_segment_align: 8
    .kernarg_segment_size: 96
    .language:       OpenCL C
    .language_version:
      - 2
      - 0
    .max_flat_workgroup_size: 256
    .name:           _ZN7rocprim17ROCPRIM_400000_NS6detail17trampoline_kernelINS0_14default_configENS1_20scan_config_selectorIfEEZZNS1_9scan_implILNS1_25lookback_scan_determinismE0ELb1ELb1ES3_N6thrust23THRUST_200600_302600_NS6detail15normal_iteratorINS9_10device_ptrIiEEEENSB_INSC_IfEEEEfNS9_4plusIvEEfEEDaPvRmT3_T4_T5_mT6_P12ihipStream_tbENKUlT_T0_E_clISt17integral_constantIbLb1EESV_IbLb0EEEEDaSR_SS_EUlSR_E_NS1_11comp_targetILNS1_3genE0ELNS1_11target_archE4294967295ELNS1_3gpuE0ELNS1_3repE0EEENS1_30default_config_static_selectorELNS0_4arch9wavefront6targetE1EEEvT1_
    .private_segment_fixed_size: 0
    .sgpr_count:     4
    .sgpr_spill_count: 0
    .symbol:         _ZN7rocprim17ROCPRIM_400000_NS6detail17trampoline_kernelINS0_14default_configENS1_20scan_config_selectorIfEEZZNS1_9scan_implILNS1_25lookback_scan_determinismE0ELb1ELb1ES3_N6thrust23THRUST_200600_302600_NS6detail15normal_iteratorINS9_10device_ptrIiEEEENSB_INSC_IfEEEEfNS9_4plusIvEEfEEDaPvRmT3_T4_T5_mT6_P12ihipStream_tbENKUlT_T0_E_clISt17integral_constantIbLb1EESV_IbLb0EEEEDaSR_SS_EUlSR_E_NS1_11comp_targetILNS1_3genE0ELNS1_11target_archE4294967295ELNS1_3gpuE0ELNS1_3repE0EEENS1_30default_config_static_selectorELNS0_4arch9wavefront6targetE1EEEvT1_.kd
    .uniform_work_group_size: 1
    .uses_dynamic_stack: false
    .vgpr_count:     0
    .vgpr_spill_count: 0
    .wavefront_size: 64
  - .agpr_count:     0
    .args:
      - .offset:         0
        .size:           96
        .value_kind:     by_value
    .group_segment_fixed_size: 0
    .kernarg_segment_align: 8
    .kernarg_segment_size: 96
    .language:       OpenCL C
    .language_version:
      - 2
      - 0
    .max_flat_workgroup_size: 256
    .name:           _ZN7rocprim17ROCPRIM_400000_NS6detail17trampoline_kernelINS0_14default_configENS1_20scan_config_selectorIfEEZZNS1_9scan_implILNS1_25lookback_scan_determinismE0ELb1ELb1ES3_N6thrust23THRUST_200600_302600_NS6detail15normal_iteratorINS9_10device_ptrIiEEEENSB_INSC_IfEEEEfNS9_4plusIvEEfEEDaPvRmT3_T4_T5_mT6_P12ihipStream_tbENKUlT_T0_E_clISt17integral_constantIbLb1EESV_IbLb0EEEEDaSR_SS_EUlSR_E_NS1_11comp_targetILNS1_3genE5ELNS1_11target_archE942ELNS1_3gpuE9ELNS1_3repE0EEENS1_30default_config_static_selectorELNS0_4arch9wavefront6targetE1EEEvT1_
    .private_segment_fixed_size: 0
    .sgpr_count:     4
    .sgpr_spill_count: 0
    .symbol:         _ZN7rocprim17ROCPRIM_400000_NS6detail17trampoline_kernelINS0_14default_configENS1_20scan_config_selectorIfEEZZNS1_9scan_implILNS1_25lookback_scan_determinismE0ELb1ELb1ES3_N6thrust23THRUST_200600_302600_NS6detail15normal_iteratorINS9_10device_ptrIiEEEENSB_INSC_IfEEEEfNS9_4plusIvEEfEEDaPvRmT3_T4_T5_mT6_P12ihipStream_tbENKUlT_T0_E_clISt17integral_constantIbLb1EESV_IbLb0EEEEDaSR_SS_EUlSR_E_NS1_11comp_targetILNS1_3genE5ELNS1_11target_archE942ELNS1_3gpuE9ELNS1_3repE0EEENS1_30default_config_static_selectorELNS0_4arch9wavefront6targetE1EEEvT1_.kd
    .uniform_work_group_size: 1
    .uses_dynamic_stack: false
    .vgpr_count:     0
    .vgpr_spill_count: 0
    .wavefront_size: 64
  - .agpr_count:     0
    .args:
      - .offset:         0
        .size:           96
        .value_kind:     by_value
    .group_segment_fixed_size: 7168
    .kernarg_segment_align: 8
    .kernarg_segment_size: 96
    .language:       OpenCL C
    .language_version:
      - 2
      - 0
    .max_flat_workgroup_size: 128
    .name:           _ZN7rocprim17ROCPRIM_400000_NS6detail17trampoline_kernelINS0_14default_configENS1_20scan_config_selectorIfEEZZNS1_9scan_implILNS1_25lookback_scan_determinismE0ELb1ELb1ES3_N6thrust23THRUST_200600_302600_NS6detail15normal_iteratorINS9_10device_ptrIiEEEENSB_INSC_IfEEEEfNS9_4plusIvEEfEEDaPvRmT3_T4_T5_mT6_P12ihipStream_tbENKUlT_T0_E_clISt17integral_constantIbLb1EESV_IbLb0EEEEDaSR_SS_EUlSR_E_NS1_11comp_targetILNS1_3genE4ELNS1_11target_archE910ELNS1_3gpuE8ELNS1_3repE0EEENS1_30default_config_static_selectorELNS0_4arch9wavefront6targetE1EEEvT1_
    .private_segment_fixed_size: 0
    .sgpr_count:     35
    .sgpr_spill_count: 0
    .symbol:         _ZN7rocprim17ROCPRIM_400000_NS6detail17trampoline_kernelINS0_14default_configENS1_20scan_config_selectorIfEEZZNS1_9scan_implILNS1_25lookback_scan_determinismE0ELb1ELb1ES3_N6thrust23THRUST_200600_302600_NS6detail15normal_iteratorINS9_10device_ptrIiEEEENSB_INSC_IfEEEEfNS9_4plusIvEEfEEDaPvRmT3_T4_T5_mT6_P12ihipStream_tbENKUlT_T0_E_clISt17integral_constantIbLb1EESV_IbLb0EEEEDaSR_SS_EUlSR_E_NS1_11comp_targetILNS1_3genE4ELNS1_11target_archE910ELNS1_3gpuE8ELNS1_3repE0EEENS1_30default_config_static_selectorELNS0_4arch9wavefront6targetE1EEEvT1_.kd
    .uniform_work_group_size: 1
    .uses_dynamic_stack: false
    .vgpr_count:     49
    .vgpr_spill_count: 0
    .wavefront_size: 64
  - .agpr_count:     0
    .args:
      - .offset:         0
        .size:           96
        .value_kind:     by_value
    .group_segment_fixed_size: 0
    .kernarg_segment_align: 8
    .kernarg_segment_size: 96
    .language:       OpenCL C
    .language_version:
      - 2
      - 0
    .max_flat_workgroup_size: 256
    .name:           _ZN7rocprim17ROCPRIM_400000_NS6detail17trampoline_kernelINS0_14default_configENS1_20scan_config_selectorIfEEZZNS1_9scan_implILNS1_25lookback_scan_determinismE0ELb1ELb1ES3_N6thrust23THRUST_200600_302600_NS6detail15normal_iteratorINS9_10device_ptrIiEEEENSB_INSC_IfEEEEfNS9_4plusIvEEfEEDaPvRmT3_T4_T5_mT6_P12ihipStream_tbENKUlT_T0_E_clISt17integral_constantIbLb1EESV_IbLb0EEEEDaSR_SS_EUlSR_E_NS1_11comp_targetILNS1_3genE3ELNS1_11target_archE908ELNS1_3gpuE7ELNS1_3repE0EEENS1_30default_config_static_selectorELNS0_4arch9wavefront6targetE1EEEvT1_
    .private_segment_fixed_size: 0
    .sgpr_count:     4
    .sgpr_spill_count: 0
    .symbol:         _ZN7rocprim17ROCPRIM_400000_NS6detail17trampoline_kernelINS0_14default_configENS1_20scan_config_selectorIfEEZZNS1_9scan_implILNS1_25lookback_scan_determinismE0ELb1ELb1ES3_N6thrust23THRUST_200600_302600_NS6detail15normal_iteratorINS9_10device_ptrIiEEEENSB_INSC_IfEEEEfNS9_4plusIvEEfEEDaPvRmT3_T4_T5_mT6_P12ihipStream_tbENKUlT_T0_E_clISt17integral_constantIbLb1EESV_IbLb0EEEEDaSR_SS_EUlSR_E_NS1_11comp_targetILNS1_3genE3ELNS1_11target_archE908ELNS1_3gpuE7ELNS1_3repE0EEENS1_30default_config_static_selectorELNS0_4arch9wavefront6targetE1EEEvT1_.kd
    .uniform_work_group_size: 1
    .uses_dynamic_stack: false
    .vgpr_count:     0
    .vgpr_spill_count: 0
    .wavefront_size: 64
  - .agpr_count:     0
    .args:
      - .offset:         0
        .size:           96
        .value_kind:     by_value
    .group_segment_fixed_size: 0
    .kernarg_segment_align: 8
    .kernarg_segment_size: 96
    .language:       OpenCL C
    .language_version:
      - 2
      - 0
    .max_flat_workgroup_size: 256
    .name:           _ZN7rocprim17ROCPRIM_400000_NS6detail17trampoline_kernelINS0_14default_configENS1_20scan_config_selectorIfEEZZNS1_9scan_implILNS1_25lookback_scan_determinismE0ELb1ELb1ES3_N6thrust23THRUST_200600_302600_NS6detail15normal_iteratorINS9_10device_ptrIiEEEENSB_INSC_IfEEEEfNS9_4plusIvEEfEEDaPvRmT3_T4_T5_mT6_P12ihipStream_tbENKUlT_T0_E_clISt17integral_constantIbLb1EESV_IbLb0EEEEDaSR_SS_EUlSR_E_NS1_11comp_targetILNS1_3genE2ELNS1_11target_archE906ELNS1_3gpuE6ELNS1_3repE0EEENS1_30default_config_static_selectorELNS0_4arch9wavefront6targetE1EEEvT1_
    .private_segment_fixed_size: 0
    .sgpr_count:     4
    .sgpr_spill_count: 0
    .symbol:         _ZN7rocprim17ROCPRIM_400000_NS6detail17trampoline_kernelINS0_14default_configENS1_20scan_config_selectorIfEEZZNS1_9scan_implILNS1_25lookback_scan_determinismE0ELb1ELb1ES3_N6thrust23THRUST_200600_302600_NS6detail15normal_iteratorINS9_10device_ptrIiEEEENSB_INSC_IfEEEEfNS9_4plusIvEEfEEDaPvRmT3_T4_T5_mT6_P12ihipStream_tbENKUlT_T0_E_clISt17integral_constantIbLb1EESV_IbLb0EEEEDaSR_SS_EUlSR_E_NS1_11comp_targetILNS1_3genE2ELNS1_11target_archE906ELNS1_3gpuE6ELNS1_3repE0EEENS1_30default_config_static_selectorELNS0_4arch9wavefront6targetE1EEEvT1_.kd
    .uniform_work_group_size: 1
    .uses_dynamic_stack: false
    .vgpr_count:     0
    .vgpr_spill_count: 0
    .wavefront_size: 64
  - .agpr_count:     0
    .args:
      - .offset:         0
        .size:           96
        .value_kind:     by_value
    .group_segment_fixed_size: 0
    .kernarg_segment_align: 8
    .kernarg_segment_size: 96
    .language:       OpenCL C
    .language_version:
      - 2
      - 0
    .max_flat_workgroup_size: 256
    .name:           _ZN7rocprim17ROCPRIM_400000_NS6detail17trampoline_kernelINS0_14default_configENS1_20scan_config_selectorIfEEZZNS1_9scan_implILNS1_25lookback_scan_determinismE0ELb1ELb1ES3_N6thrust23THRUST_200600_302600_NS6detail15normal_iteratorINS9_10device_ptrIiEEEENSB_INSC_IfEEEEfNS9_4plusIvEEfEEDaPvRmT3_T4_T5_mT6_P12ihipStream_tbENKUlT_T0_E_clISt17integral_constantIbLb1EESV_IbLb0EEEEDaSR_SS_EUlSR_E_NS1_11comp_targetILNS1_3genE10ELNS1_11target_archE1201ELNS1_3gpuE5ELNS1_3repE0EEENS1_30default_config_static_selectorELNS0_4arch9wavefront6targetE1EEEvT1_
    .private_segment_fixed_size: 0
    .sgpr_count:     4
    .sgpr_spill_count: 0
    .symbol:         _ZN7rocprim17ROCPRIM_400000_NS6detail17trampoline_kernelINS0_14default_configENS1_20scan_config_selectorIfEEZZNS1_9scan_implILNS1_25lookback_scan_determinismE0ELb1ELb1ES3_N6thrust23THRUST_200600_302600_NS6detail15normal_iteratorINS9_10device_ptrIiEEEENSB_INSC_IfEEEEfNS9_4plusIvEEfEEDaPvRmT3_T4_T5_mT6_P12ihipStream_tbENKUlT_T0_E_clISt17integral_constantIbLb1EESV_IbLb0EEEEDaSR_SS_EUlSR_E_NS1_11comp_targetILNS1_3genE10ELNS1_11target_archE1201ELNS1_3gpuE5ELNS1_3repE0EEENS1_30default_config_static_selectorELNS0_4arch9wavefront6targetE1EEEvT1_.kd
    .uniform_work_group_size: 1
    .uses_dynamic_stack: false
    .vgpr_count:     0
    .vgpr_spill_count: 0
    .wavefront_size: 64
  - .agpr_count:     0
    .args:
      - .offset:         0
        .size:           96
        .value_kind:     by_value
    .group_segment_fixed_size: 0
    .kernarg_segment_align: 8
    .kernarg_segment_size: 96
    .language:       OpenCL C
    .language_version:
      - 2
      - 0
    .max_flat_workgroup_size: 256
    .name:           _ZN7rocprim17ROCPRIM_400000_NS6detail17trampoline_kernelINS0_14default_configENS1_20scan_config_selectorIfEEZZNS1_9scan_implILNS1_25lookback_scan_determinismE0ELb1ELb1ES3_N6thrust23THRUST_200600_302600_NS6detail15normal_iteratorINS9_10device_ptrIiEEEENSB_INSC_IfEEEEfNS9_4plusIvEEfEEDaPvRmT3_T4_T5_mT6_P12ihipStream_tbENKUlT_T0_E_clISt17integral_constantIbLb1EESV_IbLb0EEEEDaSR_SS_EUlSR_E_NS1_11comp_targetILNS1_3genE10ELNS1_11target_archE1200ELNS1_3gpuE4ELNS1_3repE0EEENS1_30default_config_static_selectorELNS0_4arch9wavefront6targetE1EEEvT1_
    .private_segment_fixed_size: 0
    .sgpr_count:     4
    .sgpr_spill_count: 0
    .symbol:         _ZN7rocprim17ROCPRIM_400000_NS6detail17trampoline_kernelINS0_14default_configENS1_20scan_config_selectorIfEEZZNS1_9scan_implILNS1_25lookback_scan_determinismE0ELb1ELb1ES3_N6thrust23THRUST_200600_302600_NS6detail15normal_iteratorINS9_10device_ptrIiEEEENSB_INSC_IfEEEEfNS9_4plusIvEEfEEDaPvRmT3_T4_T5_mT6_P12ihipStream_tbENKUlT_T0_E_clISt17integral_constantIbLb1EESV_IbLb0EEEEDaSR_SS_EUlSR_E_NS1_11comp_targetILNS1_3genE10ELNS1_11target_archE1200ELNS1_3gpuE4ELNS1_3repE0EEENS1_30default_config_static_selectorELNS0_4arch9wavefront6targetE1EEEvT1_.kd
    .uniform_work_group_size: 1
    .uses_dynamic_stack: false
    .vgpr_count:     0
    .vgpr_spill_count: 0
    .wavefront_size: 64
  - .agpr_count:     0
    .args:
      - .offset:         0
        .size:           96
        .value_kind:     by_value
    .group_segment_fixed_size: 0
    .kernarg_segment_align: 8
    .kernarg_segment_size: 96
    .language:       OpenCL C
    .language_version:
      - 2
      - 0
    .max_flat_workgroup_size: 256
    .name:           _ZN7rocprim17ROCPRIM_400000_NS6detail17trampoline_kernelINS0_14default_configENS1_20scan_config_selectorIfEEZZNS1_9scan_implILNS1_25lookback_scan_determinismE0ELb1ELb1ES3_N6thrust23THRUST_200600_302600_NS6detail15normal_iteratorINS9_10device_ptrIiEEEENSB_INSC_IfEEEEfNS9_4plusIvEEfEEDaPvRmT3_T4_T5_mT6_P12ihipStream_tbENKUlT_T0_E_clISt17integral_constantIbLb1EESV_IbLb0EEEEDaSR_SS_EUlSR_E_NS1_11comp_targetILNS1_3genE9ELNS1_11target_archE1100ELNS1_3gpuE3ELNS1_3repE0EEENS1_30default_config_static_selectorELNS0_4arch9wavefront6targetE1EEEvT1_
    .private_segment_fixed_size: 0
    .sgpr_count:     4
    .sgpr_spill_count: 0
    .symbol:         _ZN7rocprim17ROCPRIM_400000_NS6detail17trampoline_kernelINS0_14default_configENS1_20scan_config_selectorIfEEZZNS1_9scan_implILNS1_25lookback_scan_determinismE0ELb1ELb1ES3_N6thrust23THRUST_200600_302600_NS6detail15normal_iteratorINS9_10device_ptrIiEEEENSB_INSC_IfEEEEfNS9_4plusIvEEfEEDaPvRmT3_T4_T5_mT6_P12ihipStream_tbENKUlT_T0_E_clISt17integral_constantIbLb1EESV_IbLb0EEEEDaSR_SS_EUlSR_E_NS1_11comp_targetILNS1_3genE9ELNS1_11target_archE1100ELNS1_3gpuE3ELNS1_3repE0EEENS1_30default_config_static_selectorELNS0_4arch9wavefront6targetE1EEEvT1_.kd
    .uniform_work_group_size: 1
    .uses_dynamic_stack: false
    .vgpr_count:     0
    .vgpr_spill_count: 0
    .wavefront_size: 64
  - .agpr_count:     0
    .args:
      - .offset:         0
        .size:           96
        .value_kind:     by_value
    .group_segment_fixed_size: 0
    .kernarg_segment_align: 8
    .kernarg_segment_size: 96
    .language:       OpenCL C
    .language_version:
      - 2
      - 0
    .max_flat_workgroup_size: 64
    .name:           _ZN7rocprim17ROCPRIM_400000_NS6detail17trampoline_kernelINS0_14default_configENS1_20scan_config_selectorIfEEZZNS1_9scan_implILNS1_25lookback_scan_determinismE0ELb1ELb1ES3_N6thrust23THRUST_200600_302600_NS6detail15normal_iteratorINS9_10device_ptrIiEEEENSB_INSC_IfEEEEfNS9_4plusIvEEfEEDaPvRmT3_T4_T5_mT6_P12ihipStream_tbENKUlT_T0_E_clISt17integral_constantIbLb1EESV_IbLb0EEEEDaSR_SS_EUlSR_E_NS1_11comp_targetILNS1_3genE8ELNS1_11target_archE1030ELNS1_3gpuE2ELNS1_3repE0EEENS1_30default_config_static_selectorELNS0_4arch9wavefront6targetE1EEEvT1_
    .private_segment_fixed_size: 0
    .sgpr_count:     4
    .sgpr_spill_count: 0
    .symbol:         _ZN7rocprim17ROCPRIM_400000_NS6detail17trampoline_kernelINS0_14default_configENS1_20scan_config_selectorIfEEZZNS1_9scan_implILNS1_25lookback_scan_determinismE0ELb1ELb1ES3_N6thrust23THRUST_200600_302600_NS6detail15normal_iteratorINS9_10device_ptrIiEEEENSB_INSC_IfEEEEfNS9_4plusIvEEfEEDaPvRmT3_T4_T5_mT6_P12ihipStream_tbENKUlT_T0_E_clISt17integral_constantIbLb1EESV_IbLb0EEEEDaSR_SS_EUlSR_E_NS1_11comp_targetILNS1_3genE8ELNS1_11target_archE1030ELNS1_3gpuE2ELNS1_3repE0EEENS1_30default_config_static_selectorELNS0_4arch9wavefront6targetE1EEEvT1_.kd
    .uniform_work_group_size: 1
    .uses_dynamic_stack: false
    .vgpr_count:     0
    .vgpr_spill_count: 0
    .wavefront_size: 64
  - .agpr_count:     0
    .args:
      - .offset:         0
        .size:           32
        .value_kind:     by_value
    .group_segment_fixed_size: 0
    .kernarg_segment_align: 8
    .kernarg_segment_size: 32
    .language:       OpenCL C
    .language_version:
      - 2
      - 0
    .max_flat_workgroup_size: 256
    .name:           _ZN7rocprim17ROCPRIM_400000_NS6detail17trampoline_kernelINS0_14default_configENS1_20scan_config_selectorIfEEZZNS1_9scan_implILNS1_25lookback_scan_determinismE0ELb1ELb1ES3_N6thrust23THRUST_200600_302600_NS6detail15normal_iteratorINS9_10device_ptrIiEEEENSB_INSC_IfEEEEfNS9_4plusIvEEfEEDaPvRmT3_T4_T5_mT6_P12ihipStream_tbENKUlT_T0_E_clISt17integral_constantIbLb1EESV_IbLb0EEEEDaSR_SS_EUlSR_E0_NS1_11comp_targetILNS1_3genE0ELNS1_11target_archE4294967295ELNS1_3gpuE0ELNS1_3repE0EEENS1_30default_config_static_selectorELNS0_4arch9wavefront6targetE1EEEvT1_
    .private_segment_fixed_size: 0
    .sgpr_count:     4
    .sgpr_spill_count: 0
    .symbol:         _ZN7rocprim17ROCPRIM_400000_NS6detail17trampoline_kernelINS0_14default_configENS1_20scan_config_selectorIfEEZZNS1_9scan_implILNS1_25lookback_scan_determinismE0ELb1ELb1ES3_N6thrust23THRUST_200600_302600_NS6detail15normal_iteratorINS9_10device_ptrIiEEEENSB_INSC_IfEEEEfNS9_4plusIvEEfEEDaPvRmT3_T4_T5_mT6_P12ihipStream_tbENKUlT_T0_E_clISt17integral_constantIbLb1EESV_IbLb0EEEEDaSR_SS_EUlSR_E0_NS1_11comp_targetILNS1_3genE0ELNS1_11target_archE4294967295ELNS1_3gpuE0ELNS1_3repE0EEENS1_30default_config_static_selectorELNS0_4arch9wavefront6targetE1EEEvT1_.kd
    .uniform_work_group_size: 1
    .uses_dynamic_stack: false
    .vgpr_count:     0
    .vgpr_spill_count: 0
    .wavefront_size: 64
  - .agpr_count:     0
    .args:
      - .offset:         0
        .size:           32
        .value_kind:     by_value
    .group_segment_fixed_size: 0
    .kernarg_segment_align: 8
    .kernarg_segment_size: 32
    .language:       OpenCL C
    .language_version:
      - 2
      - 0
    .max_flat_workgroup_size: 256
    .name:           _ZN7rocprim17ROCPRIM_400000_NS6detail17trampoline_kernelINS0_14default_configENS1_20scan_config_selectorIfEEZZNS1_9scan_implILNS1_25lookback_scan_determinismE0ELb1ELb1ES3_N6thrust23THRUST_200600_302600_NS6detail15normal_iteratorINS9_10device_ptrIiEEEENSB_INSC_IfEEEEfNS9_4plusIvEEfEEDaPvRmT3_T4_T5_mT6_P12ihipStream_tbENKUlT_T0_E_clISt17integral_constantIbLb1EESV_IbLb0EEEEDaSR_SS_EUlSR_E0_NS1_11comp_targetILNS1_3genE5ELNS1_11target_archE942ELNS1_3gpuE9ELNS1_3repE0EEENS1_30default_config_static_selectorELNS0_4arch9wavefront6targetE1EEEvT1_
    .private_segment_fixed_size: 0
    .sgpr_count:     4
    .sgpr_spill_count: 0
    .symbol:         _ZN7rocprim17ROCPRIM_400000_NS6detail17trampoline_kernelINS0_14default_configENS1_20scan_config_selectorIfEEZZNS1_9scan_implILNS1_25lookback_scan_determinismE0ELb1ELb1ES3_N6thrust23THRUST_200600_302600_NS6detail15normal_iteratorINS9_10device_ptrIiEEEENSB_INSC_IfEEEEfNS9_4plusIvEEfEEDaPvRmT3_T4_T5_mT6_P12ihipStream_tbENKUlT_T0_E_clISt17integral_constantIbLb1EESV_IbLb0EEEEDaSR_SS_EUlSR_E0_NS1_11comp_targetILNS1_3genE5ELNS1_11target_archE942ELNS1_3gpuE9ELNS1_3repE0EEENS1_30default_config_static_selectorELNS0_4arch9wavefront6targetE1EEEvT1_.kd
    .uniform_work_group_size: 1
    .uses_dynamic_stack: false
    .vgpr_count:     0
    .vgpr_spill_count: 0
    .wavefront_size: 64
  - .agpr_count:     0
    .args:
      - .offset:         0
        .size:           32
        .value_kind:     by_value
    .group_segment_fixed_size: 7168
    .kernarg_segment_align: 8
    .kernarg_segment_size: 32
    .language:       OpenCL C
    .language_version:
      - 2
      - 0
    .max_flat_workgroup_size: 128
    .name:           _ZN7rocprim17ROCPRIM_400000_NS6detail17trampoline_kernelINS0_14default_configENS1_20scan_config_selectorIfEEZZNS1_9scan_implILNS1_25lookback_scan_determinismE0ELb1ELb1ES3_N6thrust23THRUST_200600_302600_NS6detail15normal_iteratorINS9_10device_ptrIiEEEENSB_INSC_IfEEEEfNS9_4plusIvEEfEEDaPvRmT3_T4_T5_mT6_P12ihipStream_tbENKUlT_T0_E_clISt17integral_constantIbLb1EESV_IbLb0EEEEDaSR_SS_EUlSR_E0_NS1_11comp_targetILNS1_3genE4ELNS1_11target_archE910ELNS1_3gpuE8ELNS1_3repE0EEENS1_30default_config_static_selectorELNS0_4arch9wavefront6targetE1EEEvT1_
    .private_segment_fixed_size: 0
    .sgpr_count:     42
    .sgpr_spill_count: 0
    .symbol:         _ZN7rocprim17ROCPRIM_400000_NS6detail17trampoline_kernelINS0_14default_configENS1_20scan_config_selectorIfEEZZNS1_9scan_implILNS1_25lookback_scan_determinismE0ELb1ELb1ES3_N6thrust23THRUST_200600_302600_NS6detail15normal_iteratorINS9_10device_ptrIiEEEENSB_INSC_IfEEEEfNS9_4plusIvEEfEEDaPvRmT3_T4_T5_mT6_P12ihipStream_tbENKUlT_T0_E_clISt17integral_constantIbLb1EESV_IbLb0EEEEDaSR_SS_EUlSR_E0_NS1_11comp_targetILNS1_3genE4ELNS1_11target_archE910ELNS1_3gpuE8ELNS1_3repE0EEENS1_30default_config_static_selectorELNS0_4arch9wavefront6targetE1EEEvT1_.kd
    .uniform_work_group_size: 1
    .uses_dynamic_stack: false
    .vgpr_count:     24
    .vgpr_spill_count: 0
    .wavefront_size: 64
  - .agpr_count:     0
    .args:
      - .offset:         0
        .size:           32
        .value_kind:     by_value
    .group_segment_fixed_size: 0
    .kernarg_segment_align: 8
    .kernarg_segment_size: 32
    .language:       OpenCL C
    .language_version:
      - 2
      - 0
    .max_flat_workgroup_size: 256
    .name:           _ZN7rocprim17ROCPRIM_400000_NS6detail17trampoline_kernelINS0_14default_configENS1_20scan_config_selectorIfEEZZNS1_9scan_implILNS1_25lookback_scan_determinismE0ELb1ELb1ES3_N6thrust23THRUST_200600_302600_NS6detail15normal_iteratorINS9_10device_ptrIiEEEENSB_INSC_IfEEEEfNS9_4plusIvEEfEEDaPvRmT3_T4_T5_mT6_P12ihipStream_tbENKUlT_T0_E_clISt17integral_constantIbLb1EESV_IbLb0EEEEDaSR_SS_EUlSR_E0_NS1_11comp_targetILNS1_3genE3ELNS1_11target_archE908ELNS1_3gpuE7ELNS1_3repE0EEENS1_30default_config_static_selectorELNS0_4arch9wavefront6targetE1EEEvT1_
    .private_segment_fixed_size: 0
    .sgpr_count:     4
    .sgpr_spill_count: 0
    .symbol:         _ZN7rocprim17ROCPRIM_400000_NS6detail17trampoline_kernelINS0_14default_configENS1_20scan_config_selectorIfEEZZNS1_9scan_implILNS1_25lookback_scan_determinismE0ELb1ELb1ES3_N6thrust23THRUST_200600_302600_NS6detail15normal_iteratorINS9_10device_ptrIiEEEENSB_INSC_IfEEEEfNS9_4plusIvEEfEEDaPvRmT3_T4_T5_mT6_P12ihipStream_tbENKUlT_T0_E_clISt17integral_constantIbLb1EESV_IbLb0EEEEDaSR_SS_EUlSR_E0_NS1_11comp_targetILNS1_3genE3ELNS1_11target_archE908ELNS1_3gpuE7ELNS1_3repE0EEENS1_30default_config_static_selectorELNS0_4arch9wavefront6targetE1EEEvT1_.kd
    .uniform_work_group_size: 1
    .uses_dynamic_stack: false
    .vgpr_count:     0
    .vgpr_spill_count: 0
    .wavefront_size: 64
  - .agpr_count:     0
    .args:
      - .offset:         0
        .size:           32
        .value_kind:     by_value
    .group_segment_fixed_size: 0
    .kernarg_segment_align: 8
    .kernarg_segment_size: 32
    .language:       OpenCL C
    .language_version:
      - 2
      - 0
    .max_flat_workgroup_size: 256
    .name:           _ZN7rocprim17ROCPRIM_400000_NS6detail17trampoline_kernelINS0_14default_configENS1_20scan_config_selectorIfEEZZNS1_9scan_implILNS1_25lookback_scan_determinismE0ELb1ELb1ES3_N6thrust23THRUST_200600_302600_NS6detail15normal_iteratorINS9_10device_ptrIiEEEENSB_INSC_IfEEEEfNS9_4plusIvEEfEEDaPvRmT3_T4_T5_mT6_P12ihipStream_tbENKUlT_T0_E_clISt17integral_constantIbLb1EESV_IbLb0EEEEDaSR_SS_EUlSR_E0_NS1_11comp_targetILNS1_3genE2ELNS1_11target_archE906ELNS1_3gpuE6ELNS1_3repE0EEENS1_30default_config_static_selectorELNS0_4arch9wavefront6targetE1EEEvT1_
    .private_segment_fixed_size: 0
    .sgpr_count:     4
    .sgpr_spill_count: 0
    .symbol:         _ZN7rocprim17ROCPRIM_400000_NS6detail17trampoline_kernelINS0_14default_configENS1_20scan_config_selectorIfEEZZNS1_9scan_implILNS1_25lookback_scan_determinismE0ELb1ELb1ES3_N6thrust23THRUST_200600_302600_NS6detail15normal_iteratorINS9_10device_ptrIiEEEENSB_INSC_IfEEEEfNS9_4plusIvEEfEEDaPvRmT3_T4_T5_mT6_P12ihipStream_tbENKUlT_T0_E_clISt17integral_constantIbLb1EESV_IbLb0EEEEDaSR_SS_EUlSR_E0_NS1_11comp_targetILNS1_3genE2ELNS1_11target_archE906ELNS1_3gpuE6ELNS1_3repE0EEENS1_30default_config_static_selectorELNS0_4arch9wavefront6targetE1EEEvT1_.kd
    .uniform_work_group_size: 1
    .uses_dynamic_stack: false
    .vgpr_count:     0
    .vgpr_spill_count: 0
    .wavefront_size: 64
  - .agpr_count:     0
    .args:
      - .offset:         0
        .size:           32
        .value_kind:     by_value
    .group_segment_fixed_size: 0
    .kernarg_segment_align: 8
    .kernarg_segment_size: 32
    .language:       OpenCL C
    .language_version:
      - 2
      - 0
    .max_flat_workgroup_size: 256
    .name:           _ZN7rocprim17ROCPRIM_400000_NS6detail17trampoline_kernelINS0_14default_configENS1_20scan_config_selectorIfEEZZNS1_9scan_implILNS1_25lookback_scan_determinismE0ELb1ELb1ES3_N6thrust23THRUST_200600_302600_NS6detail15normal_iteratorINS9_10device_ptrIiEEEENSB_INSC_IfEEEEfNS9_4plusIvEEfEEDaPvRmT3_T4_T5_mT6_P12ihipStream_tbENKUlT_T0_E_clISt17integral_constantIbLb1EESV_IbLb0EEEEDaSR_SS_EUlSR_E0_NS1_11comp_targetILNS1_3genE10ELNS1_11target_archE1201ELNS1_3gpuE5ELNS1_3repE0EEENS1_30default_config_static_selectorELNS0_4arch9wavefront6targetE1EEEvT1_
    .private_segment_fixed_size: 0
    .sgpr_count:     4
    .sgpr_spill_count: 0
    .symbol:         _ZN7rocprim17ROCPRIM_400000_NS6detail17trampoline_kernelINS0_14default_configENS1_20scan_config_selectorIfEEZZNS1_9scan_implILNS1_25lookback_scan_determinismE0ELb1ELb1ES3_N6thrust23THRUST_200600_302600_NS6detail15normal_iteratorINS9_10device_ptrIiEEEENSB_INSC_IfEEEEfNS9_4plusIvEEfEEDaPvRmT3_T4_T5_mT6_P12ihipStream_tbENKUlT_T0_E_clISt17integral_constantIbLb1EESV_IbLb0EEEEDaSR_SS_EUlSR_E0_NS1_11comp_targetILNS1_3genE10ELNS1_11target_archE1201ELNS1_3gpuE5ELNS1_3repE0EEENS1_30default_config_static_selectorELNS0_4arch9wavefront6targetE1EEEvT1_.kd
    .uniform_work_group_size: 1
    .uses_dynamic_stack: false
    .vgpr_count:     0
    .vgpr_spill_count: 0
    .wavefront_size: 64
  - .agpr_count:     0
    .args:
      - .offset:         0
        .size:           32
        .value_kind:     by_value
    .group_segment_fixed_size: 0
    .kernarg_segment_align: 8
    .kernarg_segment_size: 32
    .language:       OpenCL C
    .language_version:
      - 2
      - 0
    .max_flat_workgroup_size: 256
    .name:           _ZN7rocprim17ROCPRIM_400000_NS6detail17trampoline_kernelINS0_14default_configENS1_20scan_config_selectorIfEEZZNS1_9scan_implILNS1_25lookback_scan_determinismE0ELb1ELb1ES3_N6thrust23THRUST_200600_302600_NS6detail15normal_iteratorINS9_10device_ptrIiEEEENSB_INSC_IfEEEEfNS9_4plusIvEEfEEDaPvRmT3_T4_T5_mT6_P12ihipStream_tbENKUlT_T0_E_clISt17integral_constantIbLb1EESV_IbLb0EEEEDaSR_SS_EUlSR_E0_NS1_11comp_targetILNS1_3genE10ELNS1_11target_archE1200ELNS1_3gpuE4ELNS1_3repE0EEENS1_30default_config_static_selectorELNS0_4arch9wavefront6targetE1EEEvT1_
    .private_segment_fixed_size: 0
    .sgpr_count:     4
    .sgpr_spill_count: 0
    .symbol:         _ZN7rocprim17ROCPRIM_400000_NS6detail17trampoline_kernelINS0_14default_configENS1_20scan_config_selectorIfEEZZNS1_9scan_implILNS1_25lookback_scan_determinismE0ELb1ELb1ES3_N6thrust23THRUST_200600_302600_NS6detail15normal_iteratorINS9_10device_ptrIiEEEENSB_INSC_IfEEEEfNS9_4plusIvEEfEEDaPvRmT3_T4_T5_mT6_P12ihipStream_tbENKUlT_T0_E_clISt17integral_constantIbLb1EESV_IbLb0EEEEDaSR_SS_EUlSR_E0_NS1_11comp_targetILNS1_3genE10ELNS1_11target_archE1200ELNS1_3gpuE4ELNS1_3repE0EEENS1_30default_config_static_selectorELNS0_4arch9wavefront6targetE1EEEvT1_.kd
    .uniform_work_group_size: 1
    .uses_dynamic_stack: false
    .vgpr_count:     0
    .vgpr_spill_count: 0
    .wavefront_size: 64
  - .agpr_count:     0
    .args:
      - .offset:         0
        .size:           32
        .value_kind:     by_value
    .group_segment_fixed_size: 0
    .kernarg_segment_align: 8
    .kernarg_segment_size: 32
    .language:       OpenCL C
    .language_version:
      - 2
      - 0
    .max_flat_workgroup_size: 256
    .name:           _ZN7rocprim17ROCPRIM_400000_NS6detail17trampoline_kernelINS0_14default_configENS1_20scan_config_selectorIfEEZZNS1_9scan_implILNS1_25lookback_scan_determinismE0ELb1ELb1ES3_N6thrust23THRUST_200600_302600_NS6detail15normal_iteratorINS9_10device_ptrIiEEEENSB_INSC_IfEEEEfNS9_4plusIvEEfEEDaPvRmT3_T4_T5_mT6_P12ihipStream_tbENKUlT_T0_E_clISt17integral_constantIbLb1EESV_IbLb0EEEEDaSR_SS_EUlSR_E0_NS1_11comp_targetILNS1_3genE9ELNS1_11target_archE1100ELNS1_3gpuE3ELNS1_3repE0EEENS1_30default_config_static_selectorELNS0_4arch9wavefront6targetE1EEEvT1_
    .private_segment_fixed_size: 0
    .sgpr_count:     4
    .sgpr_spill_count: 0
    .symbol:         _ZN7rocprim17ROCPRIM_400000_NS6detail17trampoline_kernelINS0_14default_configENS1_20scan_config_selectorIfEEZZNS1_9scan_implILNS1_25lookback_scan_determinismE0ELb1ELb1ES3_N6thrust23THRUST_200600_302600_NS6detail15normal_iteratorINS9_10device_ptrIiEEEENSB_INSC_IfEEEEfNS9_4plusIvEEfEEDaPvRmT3_T4_T5_mT6_P12ihipStream_tbENKUlT_T0_E_clISt17integral_constantIbLb1EESV_IbLb0EEEEDaSR_SS_EUlSR_E0_NS1_11comp_targetILNS1_3genE9ELNS1_11target_archE1100ELNS1_3gpuE3ELNS1_3repE0EEENS1_30default_config_static_selectorELNS0_4arch9wavefront6targetE1EEEvT1_.kd
    .uniform_work_group_size: 1
    .uses_dynamic_stack: false
    .vgpr_count:     0
    .vgpr_spill_count: 0
    .wavefront_size: 64
  - .agpr_count:     0
    .args:
      - .offset:         0
        .size:           32
        .value_kind:     by_value
    .group_segment_fixed_size: 0
    .kernarg_segment_align: 8
    .kernarg_segment_size: 32
    .language:       OpenCL C
    .language_version:
      - 2
      - 0
    .max_flat_workgroup_size: 64
    .name:           _ZN7rocprim17ROCPRIM_400000_NS6detail17trampoline_kernelINS0_14default_configENS1_20scan_config_selectorIfEEZZNS1_9scan_implILNS1_25lookback_scan_determinismE0ELb1ELb1ES3_N6thrust23THRUST_200600_302600_NS6detail15normal_iteratorINS9_10device_ptrIiEEEENSB_INSC_IfEEEEfNS9_4plusIvEEfEEDaPvRmT3_T4_T5_mT6_P12ihipStream_tbENKUlT_T0_E_clISt17integral_constantIbLb1EESV_IbLb0EEEEDaSR_SS_EUlSR_E0_NS1_11comp_targetILNS1_3genE8ELNS1_11target_archE1030ELNS1_3gpuE2ELNS1_3repE0EEENS1_30default_config_static_selectorELNS0_4arch9wavefront6targetE1EEEvT1_
    .private_segment_fixed_size: 0
    .sgpr_count:     4
    .sgpr_spill_count: 0
    .symbol:         _ZN7rocprim17ROCPRIM_400000_NS6detail17trampoline_kernelINS0_14default_configENS1_20scan_config_selectorIfEEZZNS1_9scan_implILNS1_25lookback_scan_determinismE0ELb1ELb1ES3_N6thrust23THRUST_200600_302600_NS6detail15normal_iteratorINS9_10device_ptrIiEEEENSB_INSC_IfEEEEfNS9_4plusIvEEfEEDaPvRmT3_T4_T5_mT6_P12ihipStream_tbENKUlT_T0_E_clISt17integral_constantIbLb1EESV_IbLb0EEEEDaSR_SS_EUlSR_E0_NS1_11comp_targetILNS1_3genE8ELNS1_11target_archE1030ELNS1_3gpuE2ELNS1_3repE0EEENS1_30default_config_static_selectorELNS0_4arch9wavefront6targetE1EEEvT1_.kd
    .uniform_work_group_size: 1
    .uses_dynamic_stack: false
    .vgpr_count:     0
    .vgpr_spill_count: 0
    .wavefront_size: 64
  - .agpr_count:     0
    .args:
      - .offset:         0
        .size:           96
        .value_kind:     by_value
    .group_segment_fixed_size: 0
    .kernarg_segment_align: 8
    .kernarg_segment_size: 96
    .language:       OpenCL C
    .language_version:
      - 2
      - 0
    .max_flat_workgroup_size: 256
    .name:           _ZN7rocprim17ROCPRIM_400000_NS6detail17trampoline_kernelINS0_14default_configENS1_20scan_config_selectorIfEEZZNS1_9scan_implILNS1_25lookback_scan_determinismE0ELb1ELb1ES3_N6thrust23THRUST_200600_302600_NS6detail15normal_iteratorINS9_10device_ptrIiEEEENSB_INSC_IfEEEEfNS9_4plusIvEEfEEDaPvRmT3_T4_T5_mT6_P12ihipStream_tbENKUlT_T0_E_clISt17integral_constantIbLb0EESV_IbLb1EEEEDaSR_SS_EUlSR_E_NS1_11comp_targetILNS1_3genE0ELNS1_11target_archE4294967295ELNS1_3gpuE0ELNS1_3repE0EEENS1_30default_config_static_selectorELNS0_4arch9wavefront6targetE1EEEvT1_
    .private_segment_fixed_size: 0
    .sgpr_count:     4
    .sgpr_spill_count: 0
    .symbol:         _ZN7rocprim17ROCPRIM_400000_NS6detail17trampoline_kernelINS0_14default_configENS1_20scan_config_selectorIfEEZZNS1_9scan_implILNS1_25lookback_scan_determinismE0ELb1ELb1ES3_N6thrust23THRUST_200600_302600_NS6detail15normal_iteratorINS9_10device_ptrIiEEEENSB_INSC_IfEEEEfNS9_4plusIvEEfEEDaPvRmT3_T4_T5_mT6_P12ihipStream_tbENKUlT_T0_E_clISt17integral_constantIbLb0EESV_IbLb1EEEEDaSR_SS_EUlSR_E_NS1_11comp_targetILNS1_3genE0ELNS1_11target_archE4294967295ELNS1_3gpuE0ELNS1_3repE0EEENS1_30default_config_static_selectorELNS0_4arch9wavefront6targetE1EEEvT1_.kd
    .uniform_work_group_size: 1
    .uses_dynamic_stack: false
    .vgpr_count:     0
    .vgpr_spill_count: 0
    .wavefront_size: 64
  - .agpr_count:     0
    .args:
      - .offset:         0
        .size:           96
        .value_kind:     by_value
    .group_segment_fixed_size: 0
    .kernarg_segment_align: 8
    .kernarg_segment_size: 96
    .language:       OpenCL C
    .language_version:
      - 2
      - 0
    .max_flat_workgroup_size: 256
    .name:           _ZN7rocprim17ROCPRIM_400000_NS6detail17trampoline_kernelINS0_14default_configENS1_20scan_config_selectorIfEEZZNS1_9scan_implILNS1_25lookback_scan_determinismE0ELb1ELb1ES3_N6thrust23THRUST_200600_302600_NS6detail15normal_iteratorINS9_10device_ptrIiEEEENSB_INSC_IfEEEEfNS9_4plusIvEEfEEDaPvRmT3_T4_T5_mT6_P12ihipStream_tbENKUlT_T0_E_clISt17integral_constantIbLb0EESV_IbLb1EEEEDaSR_SS_EUlSR_E_NS1_11comp_targetILNS1_3genE5ELNS1_11target_archE942ELNS1_3gpuE9ELNS1_3repE0EEENS1_30default_config_static_selectorELNS0_4arch9wavefront6targetE1EEEvT1_
    .private_segment_fixed_size: 0
    .sgpr_count:     4
    .sgpr_spill_count: 0
    .symbol:         _ZN7rocprim17ROCPRIM_400000_NS6detail17trampoline_kernelINS0_14default_configENS1_20scan_config_selectorIfEEZZNS1_9scan_implILNS1_25lookback_scan_determinismE0ELb1ELb1ES3_N6thrust23THRUST_200600_302600_NS6detail15normal_iteratorINS9_10device_ptrIiEEEENSB_INSC_IfEEEEfNS9_4plusIvEEfEEDaPvRmT3_T4_T5_mT6_P12ihipStream_tbENKUlT_T0_E_clISt17integral_constantIbLb0EESV_IbLb1EEEEDaSR_SS_EUlSR_E_NS1_11comp_targetILNS1_3genE5ELNS1_11target_archE942ELNS1_3gpuE9ELNS1_3repE0EEENS1_30default_config_static_selectorELNS0_4arch9wavefront6targetE1EEEvT1_.kd
    .uniform_work_group_size: 1
    .uses_dynamic_stack: false
    .vgpr_count:     0
    .vgpr_spill_count: 0
    .wavefront_size: 64
  - .agpr_count:     0
    .args:
      - .offset:         0
        .size:           96
        .value_kind:     by_value
    .group_segment_fixed_size: 7168
    .kernarg_segment_align: 8
    .kernarg_segment_size: 96
    .language:       OpenCL C
    .language_version:
      - 2
      - 0
    .max_flat_workgroup_size: 128
    .name:           _ZN7rocprim17ROCPRIM_400000_NS6detail17trampoline_kernelINS0_14default_configENS1_20scan_config_selectorIfEEZZNS1_9scan_implILNS1_25lookback_scan_determinismE0ELb1ELb1ES3_N6thrust23THRUST_200600_302600_NS6detail15normal_iteratorINS9_10device_ptrIiEEEENSB_INSC_IfEEEEfNS9_4plusIvEEfEEDaPvRmT3_T4_T5_mT6_P12ihipStream_tbENKUlT_T0_E_clISt17integral_constantIbLb0EESV_IbLb1EEEEDaSR_SS_EUlSR_E_NS1_11comp_targetILNS1_3genE4ELNS1_11target_archE910ELNS1_3gpuE8ELNS1_3repE0EEENS1_30default_config_static_selectorELNS0_4arch9wavefront6targetE1EEEvT1_
    .private_segment_fixed_size: 0
    .sgpr_count:     45
    .sgpr_spill_count: 0
    .symbol:         _ZN7rocprim17ROCPRIM_400000_NS6detail17trampoline_kernelINS0_14default_configENS1_20scan_config_selectorIfEEZZNS1_9scan_implILNS1_25lookback_scan_determinismE0ELb1ELb1ES3_N6thrust23THRUST_200600_302600_NS6detail15normal_iteratorINS9_10device_ptrIiEEEENSB_INSC_IfEEEEfNS9_4plusIvEEfEEDaPvRmT3_T4_T5_mT6_P12ihipStream_tbENKUlT_T0_E_clISt17integral_constantIbLb0EESV_IbLb1EEEEDaSR_SS_EUlSR_E_NS1_11comp_targetILNS1_3genE4ELNS1_11target_archE910ELNS1_3gpuE8ELNS1_3repE0EEENS1_30default_config_static_selectorELNS0_4arch9wavefront6targetE1EEEvT1_.kd
    .uniform_work_group_size: 1
    .uses_dynamic_stack: false
    .vgpr_count:     49
    .vgpr_spill_count: 0
    .wavefront_size: 64
  - .agpr_count:     0
    .args:
      - .offset:         0
        .size:           96
        .value_kind:     by_value
    .group_segment_fixed_size: 0
    .kernarg_segment_align: 8
    .kernarg_segment_size: 96
    .language:       OpenCL C
    .language_version:
      - 2
      - 0
    .max_flat_workgroup_size: 256
    .name:           _ZN7rocprim17ROCPRIM_400000_NS6detail17trampoline_kernelINS0_14default_configENS1_20scan_config_selectorIfEEZZNS1_9scan_implILNS1_25lookback_scan_determinismE0ELb1ELb1ES3_N6thrust23THRUST_200600_302600_NS6detail15normal_iteratorINS9_10device_ptrIiEEEENSB_INSC_IfEEEEfNS9_4plusIvEEfEEDaPvRmT3_T4_T5_mT6_P12ihipStream_tbENKUlT_T0_E_clISt17integral_constantIbLb0EESV_IbLb1EEEEDaSR_SS_EUlSR_E_NS1_11comp_targetILNS1_3genE3ELNS1_11target_archE908ELNS1_3gpuE7ELNS1_3repE0EEENS1_30default_config_static_selectorELNS0_4arch9wavefront6targetE1EEEvT1_
    .private_segment_fixed_size: 0
    .sgpr_count:     4
    .sgpr_spill_count: 0
    .symbol:         _ZN7rocprim17ROCPRIM_400000_NS6detail17trampoline_kernelINS0_14default_configENS1_20scan_config_selectorIfEEZZNS1_9scan_implILNS1_25lookback_scan_determinismE0ELb1ELb1ES3_N6thrust23THRUST_200600_302600_NS6detail15normal_iteratorINS9_10device_ptrIiEEEENSB_INSC_IfEEEEfNS9_4plusIvEEfEEDaPvRmT3_T4_T5_mT6_P12ihipStream_tbENKUlT_T0_E_clISt17integral_constantIbLb0EESV_IbLb1EEEEDaSR_SS_EUlSR_E_NS1_11comp_targetILNS1_3genE3ELNS1_11target_archE908ELNS1_3gpuE7ELNS1_3repE0EEENS1_30default_config_static_selectorELNS0_4arch9wavefront6targetE1EEEvT1_.kd
    .uniform_work_group_size: 1
    .uses_dynamic_stack: false
    .vgpr_count:     0
    .vgpr_spill_count: 0
    .wavefront_size: 64
  - .agpr_count:     0
    .args:
      - .offset:         0
        .size:           96
        .value_kind:     by_value
    .group_segment_fixed_size: 0
    .kernarg_segment_align: 8
    .kernarg_segment_size: 96
    .language:       OpenCL C
    .language_version:
      - 2
      - 0
    .max_flat_workgroup_size: 256
    .name:           _ZN7rocprim17ROCPRIM_400000_NS6detail17trampoline_kernelINS0_14default_configENS1_20scan_config_selectorIfEEZZNS1_9scan_implILNS1_25lookback_scan_determinismE0ELb1ELb1ES3_N6thrust23THRUST_200600_302600_NS6detail15normal_iteratorINS9_10device_ptrIiEEEENSB_INSC_IfEEEEfNS9_4plusIvEEfEEDaPvRmT3_T4_T5_mT6_P12ihipStream_tbENKUlT_T0_E_clISt17integral_constantIbLb0EESV_IbLb1EEEEDaSR_SS_EUlSR_E_NS1_11comp_targetILNS1_3genE2ELNS1_11target_archE906ELNS1_3gpuE6ELNS1_3repE0EEENS1_30default_config_static_selectorELNS0_4arch9wavefront6targetE1EEEvT1_
    .private_segment_fixed_size: 0
    .sgpr_count:     4
    .sgpr_spill_count: 0
    .symbol:         _ZN7rocprim17ROCPRIM_400000_NS6detail17trampoline_kernelINS0_14default_configENS1_20scan_config_selectorIfEEZZNS1_9scan_implILNS1_25lookback_scan_determinismE0ELb1ELb1ES3_N6thrust23THRUST_200600_302600_NS6detail15normal_iteratorINS9_10device_ptrIiEEEENSB_INSC_IfEEEEfNS9_4plusIvEEfEEDaPvRmT3_T4_T5_mT6_P12ihipStream_tbENKUlT_T0_E_clISt17integral_constantIbLb0EESV_IbLb1EEEEDaSR_SS_EUlSR_E_NS1_11comp_targetILNS1_3genE2ELNS1_11target_archE906ELNS1_3gpuE6ELNS1_3repE0EEENS1_30default_config_static_selectorELNS0_4arch9wavefront6targetE1EEEvT1_.kd
    .uniform_work_group_size: 1
    .uses_dynamic_stack: false
    .vgpr_count:     0
    .vgpr_spill_count: 0
    .wavefront_size: 64
  - .agpr_count:     0
    .args:
      - .offset:         0
        .size:           96
        .value_kind:     by_value
    .group_segment_fixed_size: 0
    .kernarg_segment_align: 8
    .kernarg_segment_size: 96
    .language:       OpenCL C
    .language_version:
      - 2
      - 0
    .max_flat_workgroup_size: 256
    .name:           _ZN7rocprim17ROCPRIM_400000_NS6detail17trampoline_kernelINS0_14default_configENS1_20scan_config_selectorIfEEZZNS1_9scan_implILNS1_25lookback_scan_determinismE0ELb1ELb1ES3_N6thrust23THRUST_200600_302600_NS6detail15normal_iteratorINS9_10device_ptrIiEEEENSB_INSC_IfEEEEfNS9_4plusIvEEfEEDaPvRmT3_T4_T5_mT6_P12ihipStream_tbENKUlT_T0_E_clISt17integral_constantIbLb0EESV_IbLb1EEEEDaSR_SS_EUlSR_E_NS1_11comp_targetILNS1_3genE10ELNS1_11target_archE1201ELNS1_3gpuE5ELNS1_3repE0EEENS1_30default_config_static_selectorELNS0_4arch9wavefront6targetE1EEEvT1_
    .private_segment_fixed_size: 0
    .sgpr_count:     4
    .sgpr_spill_count: 0
    .symbol:         _ZN7rocprim17ROCPRIM_400000_NS6detail17trampoline_kernelINS0_14default_configENS1_20scan_config_selectorIfEEZZNS1_9scan_implILNS1_25lookback_scan_determinismE0ELb1ELb1ES3_N6thrust23THRUST_200600_302600_NS6detail15normal_iteratorINS9_10device_ptrIiEEEENSB_INSC_IfEEEEfNS9_4plusIvEEfEEDaPvRmT3_T4_T5_mT6_P12ihipStream_tbENKUlT_T0_E_clISt17integral_constantIbLb0EESV_IbLb1EEEEDaSR_SS_EUlSR_E_NS1_11comp_targetILNS1_3genE10ELNS1_11target_archE1201ELNS1_3gpuE5ELNS1_3repE0EEENS1_30default_config_static_selectorELNS0_4arch9wavefront6targetE1EEEvT1_.kd
    .uniform_work_group_size: 1
    .uses_dynamic_stack: false
    .vgpr_count:     0
    .vgpr_spill_count: 0
    .wavefront_size: 64
  - .agpr_count:     0
    .args:
      - .offset:         0
        .size:           96
        .value_kind:     by_value
    .group_segment_fixed_size: 0
    .kernarg_segment_align: 8
    .kernarg_segment_size: 96
    .language:       OpenCL C
    .language_version:
      - 2
      - 0
    .max_flat_workgroup_size: 256
    .name:           _ZN7rocprim17ROCPRIM_400000_NS6detail17trampoline_kernelINS0_14default_configENS1_20scan_config_selectorIfEEZZNS1_9scan_implILNS1_25lookback_scan_determinismE0ELb1ELb1ES3_N6thrust23THRUST_200600_302600_NS6detail15normal_iteratorINS9_10device_ptrIiEEEENSB_INSC_IfEEEEfNS9_4plusIvEEfEEDaPvRmT3_T4_T5_mT6_P12ihipStream_tbENKUlT_T0_E_clISt17integral_constantIbLb0EESV_IbLb1EEEEDaSR_SS_EUlSR_E_NS1_11comp_targetILNS1_3genE10ELNS1_11target_archE1200ELNS1_3gpuE4ELNS1_3repE0EEENS1_30default_config_static_selectorELNS0_4arch9wavefront6targetE1EEEvT1_
    .private_segment_fixed_size: 0
    .sgpr_count:     4
    .sgpr_spill_count: 0
    .symbol:         _ZN7rocprim17ROCPRIM_400000_NS6detail17trampoline_kernelINS0_14default_configENS1_20scan_config_selectorIfEEZZNS1_9scan_implILNS1_25lookback_scan_determinismE0ELb1ELb1ES3_N6thrust23THRUST_200600_302600_NS6detail15normal_iteratorINS9_10device_ptrIiEEEENSB_INSC_IfEEEEfNS9_4plusIvEEfEEDaPvRmT3_T4_T5_mT6_P12ihipStream_tbENKUlT_T0_E_clISt17integral_constantIbLb0EESV_IbLb1EEEEDaSR_SS_EUlSR_E_NS1_11comp_targetILNS1_3genE10ELNS1_11target_archE1200ELNS1_3gpuE4ELNS1_3repE0EEENS1_30default_config_static_selectorELNS0_4arch9wavefront6targetE1EEEvT1_.kd
    .uniform_work_group_size: 1
    .uses_dynamic_stack: false
    .vgpr_count:     0
    .vgpr_spill_count: 0
    .wavefront_size: 64
  - .agpr_count:     0
    .args:
      - .offset:         0
        .size:           96
        .value_kind:     by_value
    .group_segment_fixed_size: 0
    .kernarg_segment_align: 8
    .kernarg_segment_size: 96
    .language:       OpenCL C
    .language_version:
      - 2
      - 0
    .max_flat_workgroup_size: 256
    .name:           _ZN7rocprim17ROCPRIM_400000_NS6detail17trampoline_kernelINS0_14default_configENS1_20scan_config_selectorIfEEZZNS1_9scan_implILNS1_25lookback_scan_determinismE0ELb1ELb1ES3_N6thrust23THRUST_200600_302600_NS6detail15normal_iteratorINS9_10device_ptrIiEEEENSB_INSC_IfEEEEfNS9_4plusIvEEfEEDaPvRmT3_T4_T5_mT6_P12ihipStream_tbENKUlT_T0_E_clISt17integral_constantIbLb0EESV_IbLb1EEEEDaSR_SS_EUlSR_E_NS1_11comp_targetILNS1_3genE9ELNS1_11target_archE1100ELNS1_3gpuE3ELNS1_3repE0EEENS1_30default_config_static_selectorELNS0_4arch9wavefront6targetE1EEEvT1_
    .private_segment_fixed_size: 0
    .sgpr_count:     4
    .sgpr_spill_count: 0
    .symbol:         _ZN7rocprim17ROCPRIM_400000_NS6detail17trampoline_kernelINS0_14default_configENS1_20scan_config_selectorIfEEZZNS1_9scan_implILNS1_25lookback_scan_determinismE0ELb1ELb1ES3_N6thrust23THRUST_200600_302600_NS6detail15normal_iteratorINS9_10device_ptrIiEEEENSB_INSC_IfEEEEfNS9_4plusIvEEfEEDaPvRmT3_T4_T5_mT6_P12ihipStream_tbENKUlT_T0_E_clISt17integral_constantIbLb0EESV_IbLb1EEEEDaSR_SS_EUlSR_E_NS1_11comp_targetILNS1_3genE9ELNS1_11target_archE1100ELNS1_3gpuE3ELNS1_3repE0EEENS1_30default_config_static_selectorELNS0_4arch9wavefront6targetE1EEEvT1_.kd
    .uniform_work_group_size: 1
    .uses_dynamic_stack: false
    .vgpr_count:     0
    .vgpr_spill_count: 0
    .wavefront_size: 64
  - .agpr_count:     0
    .args:
      - .offset:         0
        .size:           96
        .value_kind:     by_value
    .group_segment_fixed_size: 0
    .kernarg_segment_align: 8
    .kernarg_segment_size: 96
    .language:       OpenCL C
    .language_version:
      - 2
      - 0
    .max_flat_workgroup_size: 64
    .name:           _ZN7rocprim17ROCPRIM_400000_NS6detail17trampoline_kernelINS0_14default_configENS1_20scan_config_selectorIfEEZZNS1_9scan_implILNS1_25lookback_scan_determinismE0ELb1ELb1ES3_N6thrust23THRUST_200600_302600_NS6detail15normal_iteratorINS9_10device_ptrIiEEEENSB_INSC_IfEEEEfNS9_4plusIvEEfEEDaPvRmT3_T4_T5_mT6_P12ihipStream_tbENKUlT_T0_E_clISt17integral_constantIbLb0EESV_IbLb1EEEEDaSR_SS_EUlSR_E_NS1_11comp_targetILNS1_3genE8ELNS1_11target_archE1030ELNS1_3gpuE2ELNS1_3repE0EEENS1_30default_config_static_selectorELNS0_4arch9wavefront6targetE1EEEvT1_
    .private_segment_fixed_size: 0
    .sgpr_count:     4
    .sgpr_spill_count: 0
    .symbol:         _ZN7rocprim17ROCPRIM_400000_NS6detail17trampoline_kernelINS0_14default_configENS1_20scan_config_selectorIfEEZZNS1_9scan_implILNS1_25lookback_scan_determinismE0ELb1ELb1ES3_N6thrust23THRUST_200600_302600_NS6detail15normal_iteratorINS9_10device_ptrIiEEEENSB_INSC_IfEEEEfNS9_4plusIvEEfEEDaPvRmT3_T4_T5_mT6_P12ihipStream_tbENKUlT_T0_E_clISt17integral_constantIbLb0EESV_IbLb1EEEEDaSR_SS_EUlSR_E_NS1_11comp_targetILNS1_3genE8ELNS1_11target_archE1030ELNS1_3gpuE2ELNS1_3repE0EEENS1_30default_config_static_selectorELNS0_4arch9wavefront6targetE1EEEvT1_.kd
    .uniform_work_group_size: 1
    .uses_dynamic_stack: false
    .vgpr_count:     0
    .vgpr_spill_count: 0
    .wavefront_size: 64
  - .agpr_count:     0
    .args:
      - .offset:         0
        .size:           32
        .value_kind:     by_value
    .group_segment_fixed_size: 0
    .kernarg_segment_align: 8
    .kernarg_segment_size: 32
    .language:       OpenCL C
    .language_version:
      - 2
      - 0
    .max_flat_workgroup_size: 256
    .name:           _ZN7rocprim17ROCPRIM_400000_NS6detail17trampoline_kernelINS0_14default_configENS1_20scan_config_selectorIfEEZZNS1_9scan_implILNS1_25lookback_scan_determinismE0ELb1ELb1ES3_N6thrust23THRUST_200600_302600_NS6detail15normal_iteratorINS9_10device_ptrIiEEEENSB_INSC_IfEEEEfNS9_4plusIvEEfEEDaPvRmT3_T4_T5_mT6_P12ihipStream_tbENKUlT_T0_E_clISt17integral_constantIbLb0EESV_IbLb1EEEEDaSR_SS_EUlSR_E0_NS1_11comp_targetILNS1_3genE0ELNS1_11target_archE4294967295ELNS1_3gpuE0ELNS1_3repE0EEENS1_30default_config_static_selectorELNS0_4arch9wavefront6targetE1EEEvT1_
    .private_segment_fixed_size: 0
    .sgpr_count:     4
    .sgpr_spill_count: 0
    .symbol:         _ZN7rocprim17ROCPRIM_400000_NS6detail17trampoline_kernelINS0_14default_configENS1_20scan_config_selectorIfEEZZNS1_9scan_implILNS1_25lookback_scan_determinismE0ELb1ELb1ES3_N6thrust23THRUST_200600_302600_NS6detail15normal_iteratorINS9_10device_ptrIiEEEENSB_INSC_IfEEEEfNS9_4plusIvEEfEEDaPvRmT3_T4_T5_mT6_P12ihipStream_tbENKUlT_T0_E_clISt17integral_constantIbLb0EESV_IbLb1EEEEDaSR_SS_EUlSR_E0_NS1_11comp_targetILNS1_3genE0ELNS1_11target_archE4294967295ELNS1_3gpuE0ELNS1_3repE0EEENS1_30default_config_static_selectorELNS0_4arch9wavefront6targetE1EEEvT1_.kd
    .uniform_work_group_size: 1
    .uses_dynamic_stack: false
    .vgpr_count:     0
    .vgpr_spill_count: 0
    .wavefront_size: 64
  - .agpr_count:     0
    .args:
      - .offset:         0
        .size:           32
        .value_kind:     by_value
    .group_segment_fixed_size: 0
    .kernarg_segment_align: 8
    .kernarg_segment_size: 32
    .language:       OpenCL C
    .language_version:
      - 2
      - 0
    .max_flat_workgroup_size: 256
    .name:           _ZN7rocprim17ROCPRIM_400000_NS6detail17trampoline_kernelINS0_14default_configENS1_20scan_config_selectorIfEEZZNS1_9scan_implILNS1_25lookback_scan_determinismE0ELb1ELb1ES3_N6thrust23THRUST_200600_302600_NS6detail15normal_iteratorINS9_10device_ptrIiEEEENSB_INSC_IfEEEEfNS9_4plusIvEEfEEDaPvRmT3_T4_T5_mT6_P12ihipStream_tbENKUlT_T0_E_clISt17integral_constantIbLb0EESV_IbLb1EEEEDaSR_SS_EUlSR_E0_NS1_11comp_targetILNS1_3genE5ELNS1_11target_archE942ELNS1_3gpuE9ELNS1_3repE0EEENS1_30default_config_static_selectorELNS0_4arch9wavefront6targetE1EEEvT1_
    .private_segment_fixed_size: 0
    .sgpr_count:     4
    .sgpr_spill_count: 0
    .symbol:         _ZN7rocprim17ROCPRIM_400000_NS6detail17trampoline_kernelINS0_14default_configENS1_20scan_config_selectorIfEEZZNS1_9scan_implILNS1_25lookback_scan_determinismE0ELb1ELb1ES3_N6thrust23THRUST_200600_302600_NS6detail15normal_iteratorINS9_10device_ptrIiEEEENSB_INSC_IfEEEEfNS9_4plusIvEEfEEDaPvRmT3_T4_T5_mT6_P12ihipStream_tbENKUlT_T0_E_clISt17integral_constantIbLb0EESV_IbLb1EEEEDaSR_SS_EUlSR_E0_NS1_11comp_targetILNS1_3genE5ELNS1_11target_archE942ELNS1_3gpuE9ELNS1_3repE0EEENS1_30default_config_static_selectorELNS0_4arch9wavefront6targetE1EEEvT1_.kd
    .uniform_work_group_size: 1
    .uses_dynamic_stack: false
    .vgpr_count:     0
    .vgpr_spill_count: 0
    .wavefront_size: 64
  - .agpr_count:     0
    .args:
      - .offset:         0
        .size:           32
        .value_kind:     by_value
    .group_segment_fixed_size: 7168
    .kernarg_segment_align: 8
    .kernarg_segment_size: 32
    .language:       OpenCL C
    .language_version:
      - 2
      - 0
    .max_flat_workgroup_size: 128
    .name:           _ZN7rocprim17ROCPRIM_400000_NS6detail17trampoline_kernelINS0_14default_configENS1_20scan_config_selectorIfEEZZNS1_9scan_implILNS1_25lookback_scan_determinismE0ELb1ELb1ES3_N6thrust23THRUST_200600_302600_NS6detail15normal_iteratorINS9_10device_ptrIiEEEENSB_INSC_IfEEEEfNS9_4plusIvEEfEEDaPvRmT3_T4_T5_mT6_P12ihipStream_tbENKUlT_T0_E_clISt17integral_constantIbLb0EESV_IbLb1EEEEDaSR_SS_EUlSR_E0_NS1_11comp_targetILNS1_3genE4ELNS1_11target_archE910ELNS1_3gpuE8ELNS1_3repE0EEENS1_30default_config_static_selectorELNS0_4arch9wavefront6targetE1EEEvT1_
    .private_segment_fixed_size: 0
    .sgpr_count:     42
    .sgpr_spill_count: 0
    .symbol:         _ZN7rocprim17ROCPRIM_400000_NS6detail17trampoline_kernelINS0_14default_configENS1_20scan_config_selectorIfEEZZNS1_9scan_implILNS1_25lookback_scan_determinismE0ELb1ELb1ES3_N6thrust23THRUST_200600_302600_NS6detail15normal_iteratorINS9_10device_ptrIiEEEENSB_INSC_IfEEEEfNS9_4plusIvEEfEEDaPvRmT3_T4_T5_mT6_P12ihipStream_tbENKUlT_T0_E_clISt17integral_constantIbLb0EESV_IbLb1EEEEDaSR_SS_EUlSR_E0_NS1_11comp_targetILNS1_3genE4ELNS1_11target_archE910ELNS1_3gpuE8ELNS1_3repE0EEENS1_30default_config_static_selectorELNS0_4arch9wavefront6targetE1EEEvT1_.kd
    .uniform_work_group_size: 1
    .uses_dynamic_stack: false
    .vgpr_count:     24
    .vgpr_spill_count: 0
    .wavefront_size: 64
  - .agpr_count:     0
    .args:
      - .offset:         0
        .size:           32
        .value_kind:     by_value
    .group_segment_fixed_size: 0
    .kernarg_segment_align: 8
    .kernarg_segment_size: 32
    .language:       OpenCL C
    .language_version:
      - 2
      - 0
    .max_flat_workgroup_size: 256
    .name:           _ZN7rocprim17ROCPRIM_400000_NS6detail17trampoline_kernelINS0_14default_configENS1_20scan_config_selectorIfEEZZNS1_9scan_implILNS1_25lookback_scan_determinismE0ELb1ELb1ES3_N6thrust23THRUST_200600_302600_NS6detail15normal_iteratorINS9_10device_ptrIiEEEENSB_INSC_IfEEEEfNS9_4plusIvEEfEEDaPvRmT3_T4_T5_mT6_P12ihipStream_tbENKUlT_T0_E_clISt17integral_constantIbLb0EESV_IbLb1EEEEDaSR_SS_EUlSR_E0_NS1_11comp_targetILNS1_3genE3ELNS1_11target_archE908ELNS1_3gpuE7ELNS1_3repE0EEENS1_30default_config_static_selectorELNS0_4arch9wavefront6targetE1EEEvT1_
    .private_segment_fixed_size: 0
    .sgpr_count:     4
    .sgpr_spill_count: 0
    .symbol:         _ZN7rocprim17ROCPRIM_400000_NS6detail17trampoline_kernelINS0_14default_configENS1_20scan_config_selectorIfEEZZNS1_9scan_implILNS1_25lookback_scan_determinismE0ELb1ELb1ES3_N6thrust23THRUST_200600_302600_NS6detail15normal_iteratorINS9_10device_ptrIiEEEENSB_INSC_IfEEEEfNS9_4plusIvEEfEEDaPvRmT3_T4_T5_mT6_P12ihipStream_tbENKUlT_T0_E_clISt17integral_constantIbLb0EESV_IbLb1EEEEDaSR_SS_EUlSR_E0_NS1_11comp_targetILNS1_3genE3ELNS1_11target_archE908ELNS1_3gpuE7ELNS1_3repE0EEENS1_30default_config_static_selectorELNS0_4arch9wavefront6targetE1EEEvT1_.kd
    .uniform_work_group_size: 1
    .uses_dynamic_stack: false
    .vgpr_count:     0
    .vgpr_spill_count: 0
    .wavefront_size: 64
  - .agpr_count:     0
    .args:
      - .offset:         0
        .size:           32
        .value_kind:     by_value
    .group_segment_fixed_size: 0
    .kernarg_segment_align: 8
    .kernarg_segment_size: 32
    .language:       OpenCL C
    .language_version:
      - 2
      - 0
    .max_flat_workgroup_size: 256
    .name:           _ZN7rocprim17ROCPRIM_400000_NS6detail17trampoline_kernelINS0_14default_configENS1_20scan_config_selectorIfEEZZNS1_9scan_implILNS1_25lookback_scan_determinismE0ELb1ELb1ES3_N6thrust23THRUST_200600_302600_NS6detail15normal_iteratorINS9_10device_ptrIiEEEENSB_INSC_IfEEEEfNS9_4plusIvEEfEEDaPvRmT3_T4_T5_mT6_P12ihipStream_tbENKUlT_T0_E_clISt17integral_constantIbLb0EESV_IbLb1EEEEDaSR_SS_EUlSR_E0_NS1_11comp_targetILNS1_3genE2ELNS1_11target_archE906ELNS1_3gpuE6ELNS1_3repE0EEENS1_30default_config_static_selectorELNS0_4arch9wavefront6targetE1EEEvT1_
    .private_segment_fixed_size: 0
    .sgpr_count:     4
    .sgpr_spill_count: 0
    .symbol:         _ZN7rocprim17ROCPRIM_400000_NS6detail17trampoline_kernelINS0_14default_configENS1_20scan_config_selectorIfEEZZNS1_9scan_implILNS1_25lookback_scan_determinismE0ELb1ELb1ES3_N6thrust23THRUST_200600_302600_NS6detail15normal_iteratorINS9_10device_ptrIiEEEENSB_INSC_IfEEEEfNS9_4plusIvEEfEEDaPvRmT3_T4_T5_mT6_P12ihipStream_tbENKUlT_T0_E_clISt17integral_constantIbLb0EESV_IbLb1EEEEDaSR_SS_EUlSR_E0_NS1_11comp_targetILNS1_3genE2ELNS1_11target_archE906ELNS1_3gpuE6ELNS1_3repE0EEENS1_30default_config_static_selectorELNS0_4arch9wavefront6targetE1EEEvT1_.kd
    .uniform_work_group_size: 1
    .uses_dynamic_stack: false
    .vgpr_count:     0
    .vgpr_spill_count: 0
    .wavefront_size: 64
  - .agpr_count:     0
    .args:
      - .offset:         0
        .size:           32
        .value_kind:     by_value
    .group_segment_fixed_size: 0
    .kernarg_segment_align: 8
    .kernarg_segment_size: 32
    .language:       OpenCL C
    .language_version:
      - 2
      - 0
    .max_flat_workgroup_size: 256
    .name:           _ZN7rocprim17ROCPRIM_400000_NS6detail17trampoline_kernelINS0_14default_configENS1_20scan_config_selectorIfEEZZNS1_9scan_implILNS1_25lookback_scan_determinismE0ELb1ELb1ES3_N6thrust23THRUST_200600_302600_NS6detail15normal_iteratorINS9_10device_ptrIiEEEENSB_INSC_IfEEEEfNS9_4plusIvEEfEEDaPvRmT3_T4_T5_mT6_P12ihipStream_tbENKUlT_T0_E_clISt17integral_constantIbLb0EESV_IbLb1EEEEDaSR_SS_EUlSR_E0_NS1_11comp_targetILNS1_3genE10ELNS1_11target_archE1201ELNS1_3gpuE5ELNS1_3repE0EEENS1_30default_config_static_selectorELNS0_4arch9wavefront6targetE1EEEvT1_
    .private_segment_fixed_size: 0
    .sgpr_count:     4
    .sgpr_spill_count: 0
    .symbol:         _ZN7rocprim17ROCPRIM_400000_NS6detail17trampoline_kernelINS0_14default_configENS1_20scan_config_selectorIfEEZZNS1_9scan_implILNS1_25lookback_scan_determinismE0ELb1ELb1ES3_N6thrust23THRUST_200600_302600_NS6detail15normal_iteratorINS9_10device_ptrIiEEEENSB_INSC_IfEEEEfNS9_4plusIvEEfEEDaPvRmT3_T4_T5_mT6_P12ihipStream_tbENKUlT_T0_E_clISt17integral_constantIbLb0EESV_IbLb1EEEEDaSR_SS_EUlSR_E0_NS1_11comp_targetILNS1_3genE10ELNS1_11target_archE1201ELNS1_3gpuE5ELNS1_3repE0EEENS1_30default_config_static_selectorELNS0_4arch9wavefront6targetE1EEEvT1_.kd
    .uniform_work_group_size: 1
    .uses_dynamic_stack: false
    .vgpr_count:     0
    .vgpr_spill_count: 0
    .wavefront_size: 64
  - .agpr_count:     0
    .args:
      - .offset:         0
        .size:           32
        .value_kind:     by_value
    .group_segment_fixed_size: 0
    .kernarg_segment_align: 8
    .kernarg_segment_size: 32
    .language:       OpenCL C
    .language_version:
      - 2
      - 0
    .max_flat_workgroup_size: 256
    .name:           _ZN7rocprim17ROCPRIM_400000_NS6detail17trampoline_kernelINS0_14default_configENS1_20scan_config_selectorIfEEZZNS1_9scan_implILNS1_25lookback_scan_determinismE0ELb1ELb1ES3_N6thrust23THRUST_200600_302600_NS6detail15normal_iteratorINS9_10device_ptrIiEEEENSB_INSC_IfEEEEfNS9_4plusIvEEfEEDaPvRmT3_T4_T5_mT6_P12ihipStream_tbENKUlT_T0_E_clISt17integral_constantIbLb0EESV_IbLb1EEEEDaSR_SS_EUlSR_E0_NS1_11comp_targetILNS1_3genE10ELNS1_11target_archE1200ELNS1_3gpuE4ELNS1_3repE0EEENS1_30default_config_static_selectorELNS0_4arch9wavefront6targetE1EEEvT1_
    .private_segment_fixed_size: 0
    .sgpr_count:     4
    .sgpr_spill_count: 0
    .symbol:         _ZN7rocprim17ROCPRIM_400000_NS6detail17trampoline_kernelINS0_14default_configENS1_20scan_config_selectorIfEEZZNS1_9scan_implILNS1_25lookback_scan_determinismE0ELb1ELb1ES3_N6thrust23THRUST_200600_302600_NS6detail15normal_iteratorINS9_10device_ptrIiEEEENSB_INSC_IfEEEEfNS9_4plusIvEEfEEDaPvRmT3_T4_T5_mT6_P12ihipStream_tbENKUlT_T0_E_clISt17integral_constantIbLb0EESV_IbLb1EEEEDaSR_SS_EUlSR_E0_NS1_11comp_targetILNS1_3genE10ELNS1_11target_archE1200ELNS1_3gpuE4ELNS1_3repE0EEENS1_30default_config_static_selectorELNS0_4arch9wavefront6targetE1EEEvT1_.kd
    .uniform_work_group_size: 1
    .uses_dynamic_stack: false
    .vgpr_count:     0
    .vgpr_spill_count: 0
    .wavefront_size: 64
  - .agpr_count:     0
    .args:
      - .offset:         0
        .size:           32
        .value_kind:     by_value
    .group_segment_fixed_size: 0
    .kernarg_segment_align: 8
    .kernarg_segment_size: 32
    .language:       OpenCL C
    .language_version:
      - 2
      - 0
    .max_flat_workgroup_size: 256
    .name:           _ZN7rocprim17ROCPRIM_400000_NS6detail17trampoline_kernelINS0_14default_configENS1_20scan_config_selectorIfEEZZNS1_9scan_implILNS1_25lookback_scan_determinismE0ELb1ELb1ES3_N6thrust23THRUST_200600_302600_NS6detail15normal_iteratorINS9_10device_ptrIiEEEENSB_INSC_IfEEEEfNS9_4plusIvEEfEEDaPvRmT3_T4_T5_mT6_P12ihipStream_tbENKUlT_T0_E_clISt17integral_constantIbLb0EESV_IbLb1EEEEDaSR_SS_EUlSR_E0_NS1_11comp_targetILNS1_3genE9ELNS1_11target_archE1100ELNS1_3gpuE3ELNS1_3repE0EEENS1_30default_config_static_selectorELNS0_4arch9wavefront6targetE1EEEvT1_
    .private_segment_fixed_size: 0
    .sgpr_count:     4
    .sgpr_spill_count: 0
    .symbol:         _ZN7rocprim17ROCPRIM_400000_NS6detail17trampoline_kernelINS0_14default_configENS1_20scan_config_selectorIfEEZZNS1_9scan_implILNS1_25lookback_scan_determinismE0ELb1ELb1ES3_N6thrust23THRUST_200600_302600_NS6detail15normal_iteratorINS9_10device_ptrIiEEEENSB_INSC_IfEEEEfNS9_4plusIvEEfEEDaPvRmT3_T4_T5_mT6_P12ihipStream_tbENKUlT_T0_E_clISt17integral_constantIbLb0EESV_IbLb1EEEEDaSR_SS_EUlSR_E0_NS1_11comp_targetILNS1_3genE9ELNS1_11target_archE1100ELNS1_3gpuE3ELNS1_3repE0EEENS1_30default_config_static_selectorELNS0_4arch9wavefront6targetE1EEEvT1_.kd
    .uniform_work_group_size: 1
    .uses_dynamic_stack: false
    .vgpr_count:     0
    .vgpr_spill_count: 0
    .wavefront_size: 64
  - .agpr_count:     0
    .args:
      - .offset:         0
        .size:           32
        .value_kind:     by_value
    .group_segment_fixed_size: 0
    .kernarg_segment_align: 8
    .kernarg_segment_size: 32
    .language:       OpenCL C
    .language_version:
      - 2
      - 0
    .max_flat_workgroup_size: 64
    .name:           _ZN7rocprim17ROCPRIM_400000_NS6detail17trampoline_kernelINS0_14default_configENS1_20scan_config_selectorIfEEZZNS1_9scan_implILNS1_25lookback_scan_determinismE0ELb1ELb1ES3_N6thrust23THRUST_200600_302600_NS6detail15normal_iteratorINS9_10device_ptrIiEEEENSB_INSC_IfEEEEfNS9_4plusIvEEfEEDaPvRmT3_T4_T5_mT6_P12ihipStream_tbENKUlT_T0_E_clISt17integral_constantIbLb0EESV_IbLb1EEEEDaSR_SS_EUlSR_E0_NS1_11comp_targetILNS1_3genE8ELNS1_11target_archE1030ELNS1_3gpuE2ELNS1_3repE0EEENS1_30default_config_static_selectorELNS0_4arch9wavefront6targetE1EEEvT1_
    .private_segment_fixed_size: 0
    .sgpr_count:     4
    .sgpr_spill_count: 0
    .symbol:         _ZN7rocprim17ROCPRIM_400000_NS6detail17trampoline_kernelINS0_14default_configENS1_20scan_config_selectorIfEEZZNS1_9scan_implILNS1_25lookback_scan_determinismE0ELb1ELb1ES3_N6thrust23THRUST_200600_302600_NS6detail15normal_iteratorINS9_10device_ptrIiEEEENSB_INSC_IfEEEEfNS9_4plusIvEEfEEDaPvRmT3_T4_T5_mT6_P12ihipStream_tbENKUlT_T0_E_clISt17integral_constantIbLb0EESV_IbLb1EEEEDaSR_SS_EUlSR_E0_NS1_11comp_targetILNS1_3genE8ELNS1_11target_archE1030ELNS1_3gpuE2ELNS1_3repE0EEENS1_30default_config_static_selectorELNS0_4arch9wavefront6targetE1EEEvT1_.kd
    .uniform_work_group_size: 1
    .uses_dynamic_stack: false
    .vgpr_count:     0
    .vgpr_spill_count: 0
    .wavefront_size: 64
  - .agpr_count:     0
    .args:
      - .offset:         0
        .size:           16
        .value_kind:     by_value
      - .offset:         16
        .size:           8
        .value_kind:     by_value
      - .offset:         24
        .size:           8
        .value_kind:     by_value
    .group_segment_fixed_size: 0
    .kernarg_segment_align: 8
    .kernarg_segment_size: 32
    .language:       OpenCL C
    .language_version:
      - 2
      - 0
    .max_flat_workgroup_size: 256
    .name:           _ZN6thrust23THRUST_200600_302600_NS11hip_rocprim14__parallel_for6kernelILj256ENS1_20__uninitialized_fill7functorINS0_10device_ptrIdEEdEEmLj1EEEvT0_T1_SA_
    .private_segment_fixed_size: 0
    .sgpr_count:     20
    .sgpr_spill_count: 0
    .symbol:         _ZN6thrust23THRUST_200600_302600_NS11hip_rocprim14__parallel_for6kernelILj256ENS1_20__uninitialized_fill7functorINS0_10device_ptrIdEEdEEmLj1EEEvT0_T1_SA_.kd
    .uniform_work_group_size: 1
    .uses_dynamic_stack: false
    .vgpr_count:     5
    .vgpr_spill_count: 0
    .wavefront_size: 64
  - .agpr_count:     0
    .args:
      - .address_space:  global
        .offset:         0
        .size:           8
        .value_kind:     global_buffer
      - .offset:         8
        .size:           4
        .value_kind:     by_value
      - .offset:         12
        .size:           1
        .value_kind:     by_value
      - .offset:         16
        .size:           4
        .value_kind:     by_value
      - .address_space:  global
        .offset:         24
        .size:           8
        .value_kind:     global_buffer
      - .offset:         32
        .size:           4
        .value_kind:     hidden_block_count_x
      - .offset:         36
        .size:           4
        .value_kind:     hidden_block_count_y
      - .offset:         40
        .size:           4
        .value_kind:     hidden_block_count_z
      - .offset:         44
        .size:           2
        .value_kind:     hidden_group_size_x
      - .offset:         46
        .size:           2
        .value_kind:     hidden_group_size_y
      - .offset:         48
        .size:           2
        .value_kind:     hidden_group_size_z
      - .offset:         50
        .size:           2
        .value_kind:     hidden_remainder_x
      - .offset:         52
        .size:           2
        .value_kind:     hidden_remainder_y
      - .offset:         54
        .size:           2
        .value_kind:     hidden_remainder_z
      - .offset:         72
        .size:           8
        .value_kind:     hidden_global_offset_x
      - .offset:         80
        .size:           8
        .value_kind:     hidden_global_offset_y
      - .offset:         88
        .size:           8
        .value_kind:     hidden_global_offset_z
      - .offset:         96
        .size:           2
        .value_kind:     hidden_grid_dims
    .group_segment_fixed_size: 0
    .kernarg_segment_align: 8
    .kernarg_segment_size: 288
    .language:       OpenCL C
    .language_version:
      - 2
      - 0
    .max_flat_workgroup_size: 256
    .name:           _ZN7rocprim17ROCPRIM_400000_NS6detail31init_lookback_scan_state_kernelINS1_19lookback_scan_stateIdLb0ELb1EEENS1_16block_id_wrapperIjLb0EEEEEvT_jT0_jPNS7_10value_typeE
    .private_segment_fixed_size: 0
    .sgpr_count:     17
    .sgpr_spill_count: 0
    .symbol:         _ZN7rocprim17ROCPRIM_400000_NS6detail31init_lookback_scan_state_kernelINS1_19lookback_scan_stateIdLb0ELb1EEENS1_16block_id_wrapperIjLb0EEEEEvT_jT0_jPNS7_10value_typeE.kd
    .uniform_work_group_size: 1
    .uses_dynamic_stack: false
    .vgpr_count:     10
    .vgpr_spill_count: 0
    .wavefront_size: 64
  - .agpr_count:     0
    .args:
      - .offset:         0
        .size:           104
        .value_kind:     by_value
    .group_segment_fixed_size: 0
    .kernarg_segment_align: 8
    .kernarg_segment_size: 104
    .language:       OpenCL C
    .language_version:
      - 2
      - 0
    .max_flat_workgroup_size: 256
    .name:           _ZN7rocprim17ROCPRIM_400000_NS6detail17trampoline_kernelINS0_14default_configENS1_20scan_config_selectorIdEEZZNS1_9scan_implILNS1_25lookback_scan_determinismE0ELb0ELb0ES3_N6thrust23THRUST_200600_302600_NS6detail15normal_iteratorINS9_10device_ptrIdEEEESE_d11max_functorIdEdEEDaPvRmT3_T4_T5_mT6_P12ihipStream_tbENKUlT_T0_E_clISt17integral_constantIbLb0EESU_EEDaSP_SQ_EUlSP_E_NS1_11comp_targetILNS1_3genE0ELNS1_11target_archE4294967295ELNS1_3gpuE0ELNS1_3repE0EEENS1_30default_config_static_selectorELNS0_4arch9wavefront6targetE1EEEvT1_
    .private_segment_fixed_size: 0
    .sgpr_count:     4
    .sgpr_spill_count: 0
    .symbol:         _ZN7rocprim17ROCPRIM_400000_NS6detail17trampoline_kernelINS0_14default_configENS1_20scan_config_selectorIdEEZZNS1_9scan_implILNS1_25lookback_scan_determinismE0ELb0ELb0ES3_N6thrust23THRUST_200600_302600_NS6detail15normal_iteratorINS9_10device_ptrIdEEEESE_d11max_functorIdEdEEDaPvRmT3_T4_T5_mT6_P12ihipStream_tbENKUlT_T0_E_clISt17integral_constantIbLb0EESU_EEDaSP_SQ_EUlSP_E_NS1_11comp_targetILNS1_3genE0ELNS1_11target_archE4294967295ELNS1_3gpuE0ELNS1_3repE0EEENS1_30default_config_static_selectorELNS0_4arch9wavefront6targetE1EEEvT1_.kd
    .uniform_work_group_size: 1
    .uses_dynamic_stack: false
    .vgpr_count:     0
    .vgpr_spill_count: 0
    .wavefront_size: 64
  - .agpr_count:     0
    .args:
      - .offset:         0
        .size:           104
        .value_kind:     by_value
    .group_segment_fixed_size: 0
    .kernarg_segment_align: 8
    .kernarg_segment_size: 104
    .language:       OpenCL C
    .language_version:
      - 2
      - 0
    .max_flat_workgroup_size: 256
    .name:           _ZN7rocprim17ROCPRIM_400000_NS6detail17trampoline_kernelINS0_14default_configENS1_20scan_config_selectorIdEEZZNS1_9scan_implILNS1_25lookback_scan_determinismE0ELb0ELb0ES3_N6thrust23THRUST_200600_302600_NS6detail15normal_iteratorINS9_10device_ptrIdEEEESE_d11max_functorIdEdEEDaPvRmT3_T4_T5_mT6_P12ihipStream_tbENKUlT_T0_E_clISt17integral_constantIbLb0EESU_EEDaSP_SQ_EUlSP_E_NS1_11comp_targetILNS1_3genE5ELNS1_11target_archE942ELNS1_3gpuE9ELNS1_3repE0EEENS1_30default_config_static_selectorELNS0_4arch9wavefront6targetE1EEEvT1_
    .private_segment_fixed_size: 0
    .sgpr_count:     4
    .sgpr_spill_count: 0
    .symbol:         _ZN7rocprim17ROCPRIM_400000_NS6detail17trampoline_kernelINS0_14default_configENS1_20scan_config_selectorIdEEZZNS1_9scan_implILNS1_25lookback_scan_determinismE0ELb0ELb0ES3_N6thrust23THRUST_200600_302600_NS6detail15normal_iteratorINS9_10device_ptrIdEEEESE_d11max_functorIdEdEEDaPvRmT3_T4_T5_mT6_P12ihipStream_tbENKUlT_T0_E_clISt17integral_constantIbLb0EESU_EEDaSP_SQ_EUlSP_E_NS1_11comp_targetILNS1_3genE5ELNS1_11target_archE942ELNS1_3gpuE9ELNS1_3repE0EEENS1_30default_config_static_selectorELNS0_4arch9wavefront6targetE1EEEvT1_.kd
    .uniform_work_group_size: 1
    .uses_dynamic_stack: false
    .vgpr_count:     0
    .vgpr_spill_count: 0
    .wavefront_size: 64
  - .agpr_count:     0
    .args:
      - .offset:         0
        .size:           104
        .value_kind:     by_value
    .group_segment_fixed_size: 10240
    .kernarg_segment_align: 8
    .kernarg_segment_size: 104
    .language:       OpenCL C
    .language_version:
      - 2
      - 0
    .max_flat_workgroup_size: 128
    .name:           _ZN7rocprim17ROCPRIM_400000_NS6detail17trampoline_kernelINS0_14default_configENS1_20scan_config_selectorIdEEZZNS1_9scan_implILNS1_25lookback_scan_determinismE0ELb0ELb0ES3_N6thrust23THRUST_200600_302600_NS6detail15normal_iteratorINS9_10device_ptrIdEEEESE_d11max_functorIdEdEEDaPvRmT3_T4_T5_mT6_P12ihipStream_tbENKUlT_T0_E_clISt17integral_constantIbLb0EESU_EEDaSP_SQ_EUlSP_E_NS1_11comp_targetILNS1_3genE4ELNS1_11target_archE910ELNS1_3gpuE8ELNS1_3repE0EEENS1_30default_config_static_selectorELNS0_4arch9wavefront6targetE1EEEvT1_
    .private_segment_fixed_size: 0
    .sgpr_count:     30
    .sgpr_spill_count: 0
    .symbol:         _ZN7rocprim17ROCPRIM_400000_NS6detail17trampoline_kernelINS0_14default_configENS1_20scan_config_selectorIdEEZZNS1_9scan_implILNS1_25lookback_scan_determinismE0ELb0ELb0ES3_N6thrust23THRUST_200600_302600_NS6detail15normal_iteratorINS9_10device_ptrIdEEEESE_d11max_functorIdEdEEDaPvRmT3_T4_T5_mT6_P12ihipStream_tbENKUlT_T0_E_clISt17integral_constantIbLb0EESU_EEDaSP_SQ_EUlSP_E_NS1_11comp_targetILNS1_3genE4ELNS1_11target_archE910ELNS1_3gpuE8ELNS1_3repE0EEENS1_30default_config_static_selectorELNS0_4arch9wavefront6targetE1EEEvT1_.kd
    .uniform_work_group_size: 1
    .uses_dynamic_stack: false
    .vgpr_count:     58
    .vgpr_spill_count: 0
    .wavefront_size: 64
  - .agpr_count:     0
    .args:
      - .offset:         0
        .size:           104
        .value_kind:     by_value
    .group_segment_fixed_size: 0
    .kernarg_segment_align: 8
    .kernarg_segment_size: 104
    .language:       OpenCL C
    .language_version:
      - 2
      - 0
    .max_flat_workgroup_size: 256
    .name:           _ZN7rocprim17ROCPRIM_400000_NS6detail17trampoline_kernelINS0_14default_configENS1_20scan_config_selectorIdEEZZNS1_9scan_implILNS1_25lookback_scan_determinismE0ELb0ELb0ES3_N6thrust23THRUST_200600_302600_NS6detail15normal_iteratorINS9_10device_ptrIdEEEESE_d11max_functorIdEdEEDaPvRmT3_T4_T5_mT6_P12ihipStream_tbENKUlT_T0_E_clISt17integral_constantIbLb0EESU_EEDaSP_SQ_EUlSP_E_NS1_11comp_targetILNS1_3genE3ELNS1_11target_archE908ELNS1_3gpuE7ELNS1_3repE0EEENS1_30default_config_static_selectorELNS0_4arch9wavefront6targetE1EEEvT1_
    .private_segment_fixed_size: 0
    .sgpr_count:     4
    .sgpr_spill_count: 0
    .symbol:         _ZN7rocprim17ROCPRIM_400000_NS6detail17trampoline_kernelINS0_14default_configENS1_20scan_config_selectorIdEEZZNS1_9scan_implILNS1_25lookback_scan_determinismE0ELb0ELb0ES3_N6thrust23THRUST_200600_302600_NS6detail15normal_iteratorINS9_10device_ptrIdEEEESE_d11max_functorIdEdEEDaPvRmT3_T4_T5_mT6_P12ihipStream_tbENKUlT_T0_E_clISt17integral_constantIbLb0EESU_EEDaSP_SQ_EUlSP_E_NS1_11comp_targetILNS1_3genE3ELNS1_11target_archE908ELNS1_3gpuE7ELNS1_3repE0EEENS1_30default_config_static_selectorELNS0_4arch9wavefront6targetE1EEEvT1_.kd
    .uniform_work_group_size: 1
    .uses_dynamic_stack: false
    .vgpr_count:     0
    .vgpr_spill_count: 0
    .wavefront_size: 64
  - .agpr_count:     0
    .args:
      - .offset:         0
        .size:           104
        .value_kind:     by_value
    .group_segment_fixed_size: 0
    .kernarg_segment_align: 8
    .kernarg_segment_size: 104
    .language:       OpenCL C
    .language_version:
      - 2
      - 0
    .max_flat_workgroup_size: 128
    .name:           _ZN7rocprim17ROCPRIM_400000_NS6detail17trampoline_kernelINS0_14default_configENS1_20scan_config_selectorIdEEZZNS1_9scan_implILNS1_25lookback_scan_determinismE0ELb0ELb0ES3_N6thrust23THRUST_200600_302600_NS6detail15normal_iteratorINS9_10device_ptrIdEEEESE_d11max_functorIdEdEEDaPvRmT3_T4_T5_mT6_P12ihipStream_tbENKUlT_T0_E_clISt17integral_constantIbLb0EESU_EEDaSP_SQ_EUlSP_E_NS1_11comp_targetILNS1_3genE2ELNS1_11target_archE906ELNS1_3gpuE6ELNS1_3repE0EEENS1_30default_config_static_selectorELNS0_4arch9wavefront6targetE1EEEvT1_
    .private_segment_fixed_size: 0
    .sgpr_count:     4
    .sgpr_spill_count: 0
    .symbol:         _ZN7rocprim17ROCPRIM_400000_NS6detail17trampoline_kernelINS0_14default_configENS1_20scan_config_selectorIdEEZZNS1_9scan_implILNS1_25lookback_scan_determinismE0ELb0ELb0ES3_N6thrust23THRUST_200600_302600_NS6detail15normal_iteratorINS9_10device_ptrIdEEEESE_d11max_functorIdEdEEDaPvRmT3_T4_T5_mT6_P12ihipStream_tbENKUlT_T0_E_clISt17integral_constantIbLb0EESU_EEDaSP_SQ_EUlSP_E_NS1_11comp_targetILNS1_3genE2ELNS1_11target_archE906ELNS1_3gpuE6ELNS1_3repE0EEENS1_30default_config_static_selectorELNS0_4arch9wavefront6targetE1EEEvT1_.kd
    .uniform_work_group_size: 1
    .uses_dynamic_stack: false
    .vgpr_count:     0
    .vgpr_spill_count: 0
    .wavefront_size: 64
  - .agpr_count:     0
    .args:
      - .offset:         0
        .size:           104
        .value_kind:     by_value
    .group_segment_fixed_size: 0
    .kernarg_segment_align: 8
    .kernarg_segment_size: 104
    .language:       OpenCL C
    .language_version:
      - 2
      - 0
    .max_flat_workgroup_size: 256
    .name:           _ZN7rocprim17ROCPRIM_400000_NS6detail17trampoline_kernelINS0_14default_configENS1_20scan_config_selectorIdEEZZNS1_9scan_implILNS1_25lookback_scan_determinismE0ELb0ELb0ES3_N6thrust23THRUST_200600_302600_NS6detail15normal_iteratorINS9_10device_ptrIdEEEESE_d11max_functorIdEdEEDaPvRmT3_T4_T5_mT6_P12ihipStream_tbENKUlT_T0_E_clISt17integral_constantIbLb0EESU_EEDaSP_SQ_EUlSP_E_NS1_11comp_targetILNS1_3genE10ELNS1_11target_archE1201ELNS1_3gpuE5ELNS1_3repE0EEENS1_30default_config_static_selectorELNS0_4arch9wavefront6targetE1EEEvT1_
    .private_segment_fixed_size: 0
    .sgpr_count:     4
    .sgpr_spill_count: 0
    .symbol:         _ZN7rocprim17ROCPRIM_400000_NS6detail17trampoline_kernelINS0_14default_configENS1_20scan_config_selectorIdEEZZNS1_9scan_implILNS1_25lookback_scan_determinismE0ELb0ELb0ES3_N6thrust23THRUST_200600_302600_NS6detail15normal_iteratorINS9_10device_ptrIdEEEESE_d11max_functorIdEdEEDaPvRmT3_T4_T5_mT6_P12ihipStream_tbENKUlT_T0_E_clISt17integral_constantIbLb0EESU_EEDaSP_SQ_EUlSP_E_NS1_11comp_targetILNS1_3genE10ELNS1_11target_archE1201ELNS1_3gpuE5ELNS1_3repE0EEENS1_30default_config_static_selectorELNS0_4arch9wavefront6targetE1EEEvT1_.kd
    .uniform_work_group_size: 1
    .uses_dynamic_stack: false
    .vgpr_count:     0
    .vgpr_spill_count: 0
    .wavefront_size: 64
  - .agpr_count:     0
    .args:
      - .offset:         0
        .size:           104
        .value_kind:     by_value
    .group_segment_fixed_size: 0
    .kernarg_segment_align: 8
    .kernarg_segment_size: 104
    .language:       OpenCL C
    .language_version:
      - 2
      - 0
    .max_flat_workgroup_size: 256
    .name:           _ZN7rocprim17ROCPRIM_400000_NS6detail17trampoline_kernelINS0_14default_configENS1_20scan_config_selectorIdEEZZNS1_9scan_implILNS1_25lookback_scan_determinismE0ELb0ELb0ES3_N6thrust23THRUST_200600_302600_NS6detail15normal_iteratorINS9_10device_ptrIdEEEESE_d11max_functorIdEdEEDaPvRmT3_T4_T5_mT6_P12ihipStream_tbENKUlT_T0_E_clISt17integral_constantIbLb0EESU_EEDaSP_SQ_EUlSP_E_NS1_11comp_targetILNS1_3genE10ELNS1_11target_archE1200ELNS1_3gpuE4ELNS1_3repE0EEENS1_30default_config_static_selectorELNS0_4arch9wavefront6targetE1EEEvT1_
    .private_segment_fixed_size: 0
    .sgpr_count:     4
    .sgpr_spill_count: 0
    .symbol:         _ZN7rocprim17ROCPRIM_400000_NS6detail17trampoline_kernelINS0_14default_configENS1_20scan_config_selectorIdEEZZNS1_9scan_implILNS1_25lookback_scan_determinismE0ELb0ELb0ES3_N6thrust23THRUST_200600_302600_NS6detail15normal_iteratorINS9_10device_ptrIdEEEESE_d11max_functorIdEdEEDaPvRmT3_T4_T5_mT6_P12ihipStream_tbENKUlT_T0_E_clISt17integral_constantIbLb0EESU_EEDaSP_SQ_EUlSP_E_NS1_11comp_targetILNS1_3genE10ELNS1_11target_archE1200ELNS1_3gpuE4ELNS1_3repE0EEENS1_30default_config_static_selectorELNS0_4arch9wavefront6targetE1EEEvT1_.kd
    .uniform_work_group_size: 1
    .uses_dynamic_stack: false
    .vgpr_count:     0
    .vgpr_spill_count: 0
    .wavefront_size: 64
  - .agpr_count:     0
    .args:
      - .offset:         0
        .size:           104
        .value_kind:     by_value
    .group_segment_fixed_size: 0
    .kernarg_segment_align: 8
    .kernarg_segment_size: 104
    .language:       OpenCL C
    .language_version:
      - 2
      - 0
    .max_flat_workgroup_size: 256
    .name:           _ZN7rocprim17ROCPRIM_400000_NS6detail17trampoline_kernelINS0_14default_configENS1_20scan_config_selectorIdEEZZNS1_9scan_implILNS1_25lookback_scan_determinismE0ELb0ELb0ES3_N6thrust23THRUST_200600_302600_NS6detail15normal_iteratorINS9_10device_ptrIdEEEESE_d11max_functorIdEdEEDaPvRmT3_T4_T5_mT6_P12ihipStream_tbENKUlT_T0_E_clISt17integral_constantIbLb0EESU_EEDaSP_SQ_EUlSP_E_NS1_11comp_targetILNS1_3genE9ELNS1_11target_archE1100ELNS1_3gpuE3ELNS1_3repE0EEENS1_30default_config_static_selectorELNS0_4arch9wavefront6targetE1EEEvT1_
    .private_segment_fixed_size: 0
    .sgpr_count:     4
    .sgpr_spill_count: 0
    .symbol:         _ZN7rocprim17ROCPRIM_400000_NS6detail17trampoline_kernelINS0_14default_configENS1_20scan_config_selectorIdEEZZNS1_9scan_implILNS1_25lookback_scan_determinismE0ELb0ELb0ES3_N6thrust23THRUST_200600_302600_NS6detail15normal_iteratorINS9_10device_ptrIdEEEESE_d11max_functorIdEdEEDaPvRmT3_T4_T5_mT6_P12ihipStream_tbENKUlT_T0_E_clISt17integral_constantIbLb0EESU_EEDaSP_SQ_EUlSP_E_NS1_11comp_targetILNS1_3genE9ELNS1_11target_archE1100ELNS1_3gpuE3ELNS1_3repE0EEENS1_30default_config_static_selectorELNS0_4arch9wavefront6targetE1EEEvT1_.kd
    .uniform_work_group_size: 1
    .uses_dynamic_stack: false
    .vgpr_count:     0
    .vgpr_spill_count: 0
    .wavefront_size: 64
  - .agpr_count:     0
    .args:
      - .offset:         0
        .size:           104
        .value_kind:     by_value
    .group_segment_fixed_size: 0
    .kernarg_segment_align: 8
    .kernarg_segment_size: 104
    .language:       OpenCL C
    .language_version:
      - 2
      - 0
    .max_flat_workgroup_size: 128
    .name:           _ZN7rocprim17ROCPRIM_400000_NS6detail17trampoline_kernelINS0_14default_configENS1_20scan_config_selectorIdEEZZNS1_9scan_implILNS1_25lookback_scan_determinismE0ELb0ELb0ES3_N6thrust23THRUST_200600_302600_NS6detail15normal_iteratorINS9_10device_ptrIdEEEESE_d11max_functorIdEdEEDaPvRmT3_T4_T5_mT6_P12ihipStream_tbENKUlT_T0_E_clISt17integral_constantIbLb0EESU_EEDaSP_SQ_EUlSP_E_NS1_11comp_targetILNS1_3genE8ELNS1_11target_archE1030ELNS1_3gpuE2ELNS1_3repE0EEENS1_30default_config_static_selectorELNS0_4arch9wavefront6targetE1EEEvT1_
    .private_segment_fixed_size: 0
    .sgpr_count:     4
    .sgpr_spill_count: 0
    .symbol:         _ZN7rocprim17ROCPRIM_400000_NS6detail17trampoline_kernelINS0_14default_configENS1_20scan_config_selectorIdEEZZNS1_9scan_implILNS1_25lookback_scan_determinismE0ELb0ELb0ES3_N6thrust23THRUST_200600_302600_NS6detail15normal_iteratorINS9_10device_ptrIdEEEESE_d11max_functorIdEdEEDaPvRmT3_T4_T5_mT6_P12ihipStream_tbENKUlT_T0_E_clISt17integral_constantIbLb0EESU_EEDaSP_SQ_EUlSP_E_NS1_11comp_targetILNS1_3genE8ELNS1_11target_archE1030ELNS1_3gpuE2ELNS1_3repE0EEENS1_30default_config_static_selectorELNS0_4arch9wavefront6targetE1EEEvT1_.kd
    .uniform_work_group_size: 1
    .uses_dynamic_stack: false
    .vgpr_count:     0
    .vgpr_spill_count: 0
    .wavefront_size: 64
  - .agpr_count:     0
    .args:
      - .offset:         0
        .size:           40
        .value_kind:     by_value
    .group_segment_fixed_size: 0
    .kernarg_segment_align: 8
    .kernarg_segment_size: 40
    .language:       OpenCL C
    .language_version:
      - 2
      - 0
    .max_flat_workgroup_size: 128
    .name:           _ZN7rocprim17ROCPRIM_400000_NS6detail17trampoline_kernelINS0_14default_configENS1_25transform_config_selectorIdLb1EEEZNS1_14transform_implILb1ES3_S5_PdS7_NS0_8identityIdEEEE10hipError_tT2_T3_mT4_P12ihipStream_tbEUlT_E_NS1_11comp_targetILNS1_3genE0ELNS1_11target_archE4294967295ELNS1_3gpuE0ELNS1_3repE0EEENS1_30default_config_static_selectorELNS0_4arch9wavefront6targetE1EEEvT1_
    .private_segment_fixed_size: 0
    .sgpr_count:     4
    .sgpr_spill_count: 0
    .symbol:         _ZN7rocprim17ROCPRIM_400000_NS6detail17trampoline_kernelINS0_14default_configENS1_25transform_config_selectorIdLb1EEEZNS1_14transform_implILb1ES3_S5_PdS7_NS0_8identityIdEEEE10hipError_tT2_T3_mT4_P12ihipStream_tbEUlT_E_NS1_11comp_targetILNS1_3genE0ELNS1_11target_archE4294967295ELNS1_3gpuE0ELNS1_3repE0EEENS1_30default_config_static_selectorELNS0_4arch9wavefront6targetE1EEEvT1_.kd
    .uniform_work_group_size: 1
    .uses_dynamic_stack: false
    .vgpr_count:     0
    .vgpr_spill_count: 0
    .wavefront_size: 64
  - .agpr_count:     0
    .args:
      - .offset:         0
        .size:           40
        .value_kind:     by_value
    .group_segment_fixed_size: 0
    .kernarg_segment_align: 8
    .kernarg_segment_size: 40
    .language:       OpenCL C
    .language_version:
      - 2
      - 0
    .max_flat_workgroup_size: 1024
    .name:           _ZN7rocprim17ROCPRIM_400000_NS6detail17trampoline_kernelINS0_14default_configENS1_25transform_config_selectorIdLb1EEEZNS1_14transform_implILb1ES3_S5_PdS7_NS0_8identityIdEEEE10hipError_tT2_T3_mT4_P12ihipStream_tbEUlT_E_NS1_11comp_targetILNS1_3genE10ELNS1_11target_archE1201ELNS1_3gpuE5ELNS1_3repE0EEENS1_30default_config_static_selectorELNS0_4arch9wavefront6targetE1EEEvT1_
    .private_segment_fixed_size: 0
    .sgpr_count:     4
    .sgpr_spill_count: 0
    .symbol:         _ZN7rocprim17ROCPRIM_400000_NS6detail17trampoline_kernelINS0_14default_configENS1_25transform_config_selectorIdLb1EEEZNS1_14transform_implILb1ES3_S5_PdS7_NS0_8identityIdEEEE10hipError_tT2_T3_mT4_P12ihipStream_tbEUlT_E_NS1_11comp_targetILNS1_3genE10ELNS1_11target_archE1201ELNS1_3gpuE5ELNS1_3repE0EEENS1_30default_config_static_selectorELNS0_4arch9wavefront6targetE1EEEvT1_.kd
    .uniform_work_group_size: 1
    .uses_dynamic_stack: false
    .vgpr_count:     0
    .vgpr_spill_count: 0
    .wavefront_size: 64
  - .agpr_count:     0
    .args:
      - .offset:         0
        .size:           40
        .value_kind:     by_value
    .group_segment_fixed_size: 0
    .kernarg_segment_align: 8
    .kernarg_segment_size: 40
    .language:       OpenCL C
    .language_version:
      - 2
      - 0
    .max_flat_workgroup_size: 1024
    .name:           _ZN7rocprim17ROCPRIM_400000_NS6detail17trampoline_kernelINS0_14default_configENS1_25transform_config_selectorIdLb1EEEZNS1_14transform_implILb1ES3_S5_PdS7_NS0_8identityIdEEEE10hipError_tT2_T3_mT4_P12ihipStream_tbEUlT_E_NS1_11comp_targetILNS1_3genE5ELNS1_11target_archE942ELNS1_3gpuE9ELNS1_3repE0EEENS1_30default_config_static_selectorELNS0_4arch9wavefront6targetE1EEEvT1_
    .private_segment_fixed_size: 0
    .sgpr_count:     4
    .sgpr_spill_count: 0
    .symbol:         _ZN7rocprim17ROCPRIM_400000_NS6detail17trampoline_kernelINS0_14default_configENS1_25transform_config_selectorIdLb1EEEZNS1_14transform_implILb1ES3_S5_PdS7_NS0_8identityIdEEEE10hipError_tT2_T3_mT4_P12ihipStream_tbEUlT_E_NS1_11comp_targetILNS1_3genE5ELNS1_11target_archE942ELNS1_3gpuE9ELNS1_3repE0EEENS1_30default_config_static_selectorELNS0_4arch9wavefront6targetE1EEEvT1_.kd
    .uniform_work_group_size: 1
    .uses_dynamic_stack: false
    .vgpr_count:     0
    .vgpr_spill_count: 0
    .wavefront_size: 64
  - .agpr_count:     0
    .args:
      - .offset:         0
        .size:           40
        .value_kind:     by_value
      - .offset:         40
        .size:           4
        .value_kind:     hidden_block_count_x
      - .offset:         44
        .size:           4
        .value_kind:     hidden_block_count_y
      - .offset:         48
        .size:           4
        .value_kind:     hidden_block_count_z
      - .offset:         52
        .size:           2
        .value_kind:     hidden_group_size_x
      - .offset:         54
        .size:           2
        .value_kind:     hidden_group_size_y
      - .offset:         56
        .size:           2
        .value_kind:     hidden_group_size_z
      - .offset:         58
        .size:           2
        .value_kind:     hidden_remainder_x
      - .offset:         60
        .size:           2
        .value_kind:     hidden_remainder_y
      - .offset:         62
        .size:           2
        .value_kind:     hidden_remainder_z
      - .offset:         80
        .size:           8
        .value_kind:     hidden_global_offset_x
      - .offset:         88
        .size:           8
        .value_kind:     hidden_global_offset_y
      - .offset:         96
        .size:           8
        .value_kind:     hidden_global_offset_z
      - .offset:         104
        .size:           2
        .value_kind:     hidden_grid_dims
    .group_segment_fixed_size: 0
    .kernarg_segment_align: 8
    .kernarg_segment_size: 296
    .language:       OpenCL C
    .language_version:
      - 2
      - 0
    .max_flat_workgroup_size: 1024
    .name:           _ZN7rocprim17ROCPRIM_400000_NS6detail17trampoline_kernelINS0_14default_configENS1_25transform_config_selectorIdLb1EEEZNS1_14transform_implILb1ES3_S5_PdS7_NS0_8identityIdEEEE10hipError_tT2_T3_mT4_P12ihipStream_tbEUlT_E_NS1_11comp_targetILNS1_3genE4ELNS1_11target_archE910ELNS1_3gpuE8ELNS1_3repE0EEENS1_30default_config_static_selectorELNS0_4arch9wavefront6targetE1EEEvT1_
    .private_segment_fixed_size: 0
    .sgpr_count:     20
    .sgpr_spill_count: 0
    .symbol:         _ZN7rocprim17ROCPRIM_400000_NS6detail17trampoline_kernelINS0_14default_configENS1_25transform_config_selectorIdLb1EEEZNS1_14transform_implILb1ES3_S5_PdS7_NS0_8identityIdEEEE10hipError_tT2_T3_mT4_P12ihipStream_tbEUlT_E_NS1_11comp_targetILNS1_3genE4ELNS1_11target_archE910ELNS1_3gpuE8ELNS1_3repE0EEENS1_30default_config_static_selectorELNS0_4arch9wavefront6targetE1EEEvT1_.kd
    .uniform_work_group_size: 1
    .uses_dynamic_stack: false
    .vgpr_count:     7
    .vgpr_spill_count: 0
    .wavefront_size: 64
  - .agpr_count:     0
    .args:
      - .offset:         0
        .size:           40
        .value_kind:     by_value
    .group_segment_fixed_size: 0
    .kernarg_segment_align: 8
    .kernarg_segment_size: 40
    .language:       OpenCL C
    .language_version:
      - 2
      - 0
    .max_flat_workgroup_size: 128
    .name:           _ZN7rocprim17ROCPRIM_400000_NS6detail17trampoline_kernelINS0_14default_configENS1_25transform_config_selectorIdLb1EEEZNS1_14transform_implILb1ES3_S5_PdS7_NS0_8identityIdEEEE10hipError_tT2_T3_mT4_P12ihipStream_tbEUlT_E_NS1_11comp_targetILNS1_3genE3ELNS1_11target_archE908ELNS1_3gpuE7ELNS1_3repE0EEENS1_30default_config_static_selectorELNS0_4arch9wavefront6targetE1EEEvT1_
    .private_segment_fixed_size: 0
    .sgpr_count:     4
    .sgpr_spill_count: 0
    .symbol:         _ZN7rocprim17ROCPRIM_400000_NS6detail17trampoline_kernelINS0_14default_configENS1_25transform_config_selectorIdLb1EEEZNS1_14transform_implILb1ES3_S5_PdS7_NS0_8identityIdEEEE10hipError_tT2_T3_mT4_P12ihipStream_tbEUlT_E_NS1_11comp_targetILNS1_3genE3ELNS1_11target_archE908ELNS1_3gpuE7ELNS1_3repE0EEENS1_30default_config_static_selectorELNS0_4arch9wavefront6targetE1EEEvT1_.kd
    .uniform_work_group_size: 1
    .uses_dynamic_stack: false
    .vgpr_count:     0
    .vgpr_spill_count: 0
    .wavefront_size: 64
  - .agpr_count:     0
    .args:
      - .offset:         0
        .size:           40
        .value_kind:     by_value
    .group_segment_fixed_size: 0
    .kernarg_segment_align: 8
    .kernarg_segment_size: 40
    .language:       OpenCL C
    .language_version:
      - 2
      - 0
    .max_flat_workgroup_size: 1024
    .name:           _ZN7rocprim17ROCPRIM_400000_NS6detail17trampoline_kernelINS0_14default_configENS1_25transform_config_selectorIdLb1EEEZNS1_14transform_implILb1ES3_S5_PdS7_NS0_8identityIdEEEE10hipError_tT2_T3_mT4_P12ihipStream_tbEUlT_E_NS1_11comp_targetILNS1_3genE2ELNS1_11target_archE906ELNS1_3gpuE6ELNS1_3repE0EEENS1_30default_config_static_selectorELNS0_4arch9wavefront6targetE1EEEvT1_
    .private_segment_fixed_size: 0
    .sgpr_count:     4
    .sgpr_spill_count: 0
    .symbol:         _ZN7rocprim17ROCPRIM_400000_NS6detail17trampoline_kernelINS0_14default_configENS1_25transform_config_selectorIdLb1EEEZNS1_14transform_implILb1ES3_S5_PdS7_NS0_8identityIdEEEE10hipError_tT2_T3_mT4_P12ihipStream_tbEUlT_E_NS1_11comp_targetILNS1_3genE2ELNS1_11target_archE906ELNS1_3gpuE6ELNS1_3repE0EEENS1_30default_config_static_selectorELNS0_4arch9wavefront6targetE1EEEvT1_.kd
    .uniform_work_group_size: 1
    .uses_dynamic_stack: false
    .vgpr_count:     0
    .vgpr_spill_count: 0
    .wavefront_size: 64
  - .agpr_count:     0
    .args:
      - .offset:         0
        .size:           40
        .value_kind:     by_value
    .group_segment_fixed_size: 0
    .kernarg_segment_align: 8
    .kernarg_segment_size: 40
    .language:       OpenCL C
    .language_version:
      - 2
      - 0
    .max_flat_workgroup_size: 1024
    .name:           _ZN7rocprim17ROCPRIM_400000_NS6detail17trampoline_kernelINS0_14default_configENS1_25transform_config_selectorIdLb1EEEZNS1_14transform_implILb1ES3_S5_PdS7_NS0_8identityIdEEEE10hipError_tT2_T3_mT4_P12ihipStream_tbEUlT_E_NS1_11comp_targetILNS1_3genE9ELNS1_11target_archE1100ELNS1_3gpuE3ELNS1_3repE0EEENS1_30default_config_static_selectorELNS0_4arch9wavefront6targetE1EEEvT1_
    .private_segment_fixed_size: 0
    .sgpr_count:     4
    .sgpr_spill_count: 0
    .symbol:         _ZN7rocprim17ROCPRIM_400000_NS6detail17trampoline_kernelINS0_14default_configENS1_25transform_config_selectorIdLb1EEEZNS1_14transform_implILb1ES3_S5_PdS7_NS0_8identityIdEEEE10hipError_tT2_T3_mT4_P12ihipStream_tbEUlT_E_NS1_11comp_targetILNS1_3genE9ELNS1_11target_archE1100ELNS1_3gpuE3ELNS1_3repE0EEENS1_30default_config_static_selectorELNS0_4arch9wavefront6targetE1EEEvT1_.kd
    .uniform_work_group_size: 1
    .uses_dynamic_stack: false
    .vgpr_count:     0
    .vgpr_spill_count: 0
    .wavefront_size: 64
  - .agpr_count:     0
    .args:
      - .offset:         0
        .size:           40
        .value_kind:     by_value
    .group_segment_fixed_size: 0
    .kernarg_segment_align: 8
    .kernarg_segment_size: 40
    .language:       OpenCL C
    .language_version:
      - 2
      - 0
    .max_flat_workgroup_size: 1024
    .name:           _ZN7rocprim17ROCPRIM_400000_NS6detail17trampoline_kernelINS0_14default_configENS1_25transform_config_selectorIdLb1EEEZNS1_14transform_implILb1ES3_S5_PdS7_NS0_8identityIdEEEE10hipError_tT2_T3_mT4_P12ihipStream_tbEUlT_E_NS1_11comp_targetILNS1_3genE8ELNS1_11target_archE1030ELNS1_3gpuE2ELNS1_3repE0EEENS1_30default_config_static_selectorELNS0_4arch9wavefront6targetE1EEEvT1_
    .private_segment_fixed_size: 0
    .sgpr_count:     4
    .sgpr_spill_count: 0
    .symbol:         _ZN7rocprim17ROCPRIM_400000_NS6detail17trampoline_kernelINS0_14default_configENS1_25transform_config_selectorIdLb1EEEZNS1_14transform_implILb1ES3_S5_PdS7_NS0_8identityIdEEEE10hipError_tT2_T3_mT4_P12ihipStream_tbEUlT_E_NS1_11comp_targetILNS1_3genE8ELNS1_11target_archE1030ELNS1_3gpuE2ELNS1_3repE0EEENS1_30default_config_static_selectorELNS0_4arch9wavefront6targetE1EEEvT1_.kd
    .uniform_work_group_size: 1
    .uses_dynamic_stack: false
    .vgpr_count:     0
    .vgpr_spill_count: 0
    .wavefront_size: 64
  - .agpr_count:     0
    .args:
      - .offset:         0
        .size:           40
        .value_kind:     by_value
    .group_segment_fixed_size: 0
    .kernarg_segment_align: 8
    .kernarg_segment_size: 40
    .language:       OpenCL C
    .language_version:
      - 2
      - 0
    .max_flat_workgroup_size: 256
    .name:           _ZN7rocprim17ROCPRIM_400000_NS6detail17trampoline_kernelINS0_14default_configENS1_20scan_config_selectorIdEEZZNS1_9scan_implILNS1_25lookback_scan_determinismE0ELb0ELb0ES3_N6thrust23THRUST_200600_302600_NS6detail15normal_iteratorINS9_10device_ptrIdEEEESE_d11max_functorIdEdEEDaPvRmT3_T4_T5_mT6_P12ihipStream_tbENKUlT_T0_E_clISt17integral_constantIbLb0EESU_EEDaSP_SQ_EUlSP_E0_NS1_11comp_targetILNS1_3genE0ELNS1_11target_archE4294967295ELNS1_3gpuE0ELNS1_3repE0EEENS1_30default_config_static_selectorELNS0_4arch9wavefront6targetE1EEEvT1_
    .private_segment_fixed_size: 0
    .sgpr_count:     4
    .sgpr_spill_count: 0
    .symbol:         _ZN7rocprim17ROCPRIM_400000_NS6detail17trampoline_kernelINS0_14default_configENS1_20scan_config_selectorIdEEZZNS1_9scan_implILNS1_25lookback_scan_determinismE0ELb0ELb0ES3_N6thrust23THRUST_200600_302600_NS6detail15normal_iteratorINS9_10device_ptrIdEEEESE_d11max_functorIdEdEEDaPvRmT3_T4_T5_mT6_P12ihipStream_tbENKUlT_T0_E_clISt17integral_constantIbLb0EESU_EEDaSP_SQ_EUlSP_E0_NS1_11comp_targetILNS1_3genE0ELNS1_11target_archE4294967295ELNS1_3gpuE0ELNS1_3repE0EEENS1_30default_config_static_selectorELNS0_4arch9wavefront6targetE1EEEvT1_.kd
    .uniform_work_group_size: 1
    .uses_dynamic_stack: false
    .vgpr_count:     0
    .vgpr_spill_count: 0
    .wavefront_size: 64
  - .agpr_count:     0
    .args:
      - .offset:         0
        .size:           40
        .value_kind:     by_value
    .group_segment_fixed_size: 0
    .kernarg_segment_align: 8
    .kernarg_segment_size: 40
    .language:       OpenCL C
    .language_version:
      - 2
      - 0
    .max_flat_workgroup_size: 256
    .name:           _ZN7rocprim17ROCPRIM_400000_NS6detail17trampoline_kernelINS0_14default_configENS1_20scan_config_selectorIdEEZZNS1_9scan_implILNS1_25lookback_scan_determinismE0ELb0ELb0ES3_N6thrust23THRUST_200600_302600_NS6detail15normal_iteratorINS9_10device_ptrIdEEEESE_d11max_functorIdEdEEDaPvRmT3_T4_T5_mT6_P12ihipStream_tbENKUlT_T0_E_clISt17integral_constantIbLb0EESU_EEDaSP_SQ_EUlSP_E0_NS1_11comp_targetILNS1_3genE5ELNS1_11target_archE942ELNS1_3gpuE9ELNS1_3repE0EEENS1_30default_config_static_selectorELNS0_4arch9wavefront6targetE1EEEvT1_
    .private_segment_fixed_size: 0
    .sgpr_count:     4
    .sgpr_spill_count: 0
    .symbol:         _ZN7rocprim17ROCPRIM_400000_NS6detail17trampoline_kernelINS0_14default_configENS1_20scan_config_selectorIdEEZZNS1_9scan_implILNS1_25lookback_scan_determinismE0ELb0ELb0ES3_N6thrust23THRUST_200600_302600_NS6detail15normal_iteratorINS9_10device_ptrIdEEEESE_d11max_functorIdEdEEDaPvRmT3_T4_T5_mT6_P12ihipStream_tbENKUlT_T0_E_clISt17integral_constantIbLb0EESU_EEDaSP_SQ_EUlSP_E0_NS1_11comp_targetILNS1_3genE5ELNS1_11target_archE942ELNS1_3gpuE9ELNS1_3repE0EEENS1_30default_config_static_selectorELNS0_4arch9wavefront6targetE1EEEvT1_.kd
    .uniform_work_group_size: 1
    .uses_dynamic_stack: false
    .vgpr_count:     0
    .vgpr_spill_count: 0
    .wavefront_size: 64
  - .agpr_count:     0
    .args:
      - .offset:         0
        .size:           40
        .value_kind:     by_value
    .group_segment_fixed_size: 10240
    .kernarg_segment_align: 8
    .kernarg_segment_size: 40
    .language:       OpenCL C
    .language_version:
      - 2
      - 0
    .max_flat_workgroup_size: 128
    .name:           _ZN7rocprim17ROCPRIM_400000_NS6detail17trampoline_kernelINS0_14default_configENS1_20scan_config_selectorIdEEZZNS1_9scan_implILNS1_25lookback_scan_determinismE0ELb0ELb0ES3_N6thrust23THRUST_200600_302600_NS6detail15normal_iteratorINS9_10device_ptrIdEEEESE_d11max_functorIdEdEEDaPvRmT3_T4_T5_mT6_P12ihipStream_tbENKUlT_T0_E_clISt17integral_constantIbLb0EESU_EEDaSP_SQ_EUlSP_E0_NS1_11comp_targetILNS1_3genE4ELNS1_11target_archE910ELNS1_3gpuE8ELNS1_3repE0EEENS1_30default_config_static_selectorELNS0_4arch9wavefront6targetE1EEEvT1_
    .private_segment_fixed_size: 0
    .sgpr_count:     30
    .sgpr_spill_count: 0
    .symbol:         _ZN7rocprim17ROCPRIM_400000_NS6detail17trampoline_kernelINS0_14default_configENS1_20scan_config_selectorIdEEZZNS1_9scan_implILNS1_25lookback_scan_determinismE0ELb0ELb0ES3_N6thrust23THRUST_200600_302600_NS6detail15normal_iteratorINS9_10device_ptrIdEEEESE_d11max_functorIdEdEEDaPvRmT3_T4_T5_mT6_P12ihipStream_tbENKUlT_T0_E_clISt17integral_constantIbLb0EESU_EEDaSP_SQ_EUlSP_E0_NS1_11comp_targetILNS1_3genE4ELNS1_11target_archE910ELNS1_3gpuE8ELNS1_3repE0EEENS1_30default_config_static_selectorELNS0_4arch9wavefront6targetE1EEEvT1_.kd
    .uniform_work_group_size: 1
    .uses_dynamic_stack: false
    .vgpr_count:     33
    .vgpr_spill_count: 0
    .wavefront_size: 64
  - .agpr_count:     0
    .args:
      - .offset:         0
        .size:           40
        .value_kind:     by_value
    .group_segment_fixed_size: 0
    .kernarg_segment_align: 8
    .kernarg_segment_size: 40
    .language:       OpenCL C
    .language_version:
      - 2
      - 0
    .max_flat_workgroup_size: 256
    .name:           _ZN7rocprim17ROCPRIM_400000_NS6detail17trampoline_kernelINS0_14default_configENS1_20scan_config_selectorIdEEZZNS1_9scan_implILNS1_25lookback_scan_determinismE0ELb0ELb0ES3_N6thrust23THRUST_200600_302600_NS6detail15normal_iteratorINS9_10device_ptrIdEEEESE_d11max_functorIdEdEEDaPvRmT3_T4_T5_mT6_P12ihipStream_tbENKUlT_T0_E_clISt17integral_constantIbLb0EESU_EEDaSP_SQ_EUlSP_E0_NS1_11comp_targetILNS1_3genE3ELNS1_11target_archE908ELNS1_3gpuE7ELNS1_3repE0EEENS1_30default_config_static_selectorELNS0_4arch9wavefront6targetE1EEEvT1_
    .private_segment_fixed_size: 0
    .sgpr_count:     4
    .sgpr_spill_count: 0
    .symbol:         _ZN7rocprim17ROCPRIM_400000_NS6detail17trampoline_kernelINS0_14default_configENS1_20scan_config_selectorIdEEZZNS1_9scan_implILNS1_25lookback_scan_determinismE0ELb0ELb0ES3_N6thrust23THRUST_200600_302600_NS6detail15normal_iteratorINS9_10device_ptrIdEEEESE_d11max_functorIdEdEEDaPvRmT3_T4_T5_mT6_P12ihipStream_tbENKUlT_T0_E_clISt17integral_constantIbLb0EESU_EEDaSP_SQ_EUlSP_E0_NS1_11comp_targetILNS1_3genE3ELNS1_11target_archE908ELNS1_3gpuE7ELNS1_3repE0EEENS1_30default_config_static_selectorELNS0_4arch9wavefront6targetE1EEEvT1_.kd
    .uniform_work_group_size: 1
    .uses_dynamic_stack: false
    .vgpr_count:     0
    .vgpr_spill_count: 0
    .wavefront_size: 64
  - .agpr_count:     0
    .args:
      - .offset:         0
        .size:           40
        .value_kind:     by_value
    .group_segment_fixed_size: 0
    .kernarg_segment_align: 8
    .kernarg_segment_size: 40
    .language:       OpenCL C
    .language_version:
      - 2
      - 0
    .max_flat_workgroup_size: 128
    .name:           _ZN7rocprim17ROCPRIM_400000_NS6detail17trampoline_kernelINS0_14default_configENS1_20scan_config_selectorIdEEZZNS1_9scan_implILNS1_25lookback_scan_determinismE0ELb0ELb0ES3_N6thrust23THRUST_200600_302600_NS6detail15normal_iteratorINS9_10device_ptrIdEEEESE_d11max_functorIdEdEEDaPvRmT3_T4_T5_mT6_P12ihipStream_tbENKUlT_T0_E_clISt17integral_constantIbLb0EESU_EEDaSP_SQ_EUlSP_E0_NS1_11comp_targetILNS1_3genE2ELNS1_11target_archE906ELNS1_3gpuE6ELNS1_3repE0EEENS1_30default_config_static_selectorELNS0_4arch9wavefront6targetE1EEEvT1_
    .private_segment_fixed_size: 0
    .sgpr_count:     4
    .sgpr_spill_count: 0
    .symbol:         _ZN7rocprim17ROCPRIM_400000_NS6detail17trampoline_kernelINS0_14default_configENS1_20scan_config_selectorIdEEZZNS1_9scan_implILNS1_25lookback_scan_determinismE0ELb0ELb0ES3_N6thrust23THRUST_200600_302600_NS6detail15normal_iteratorINS9_10device_ptrIdEEEESE_d11max_functorIdEdEEDaPvRmT3_T4_T5_mT6_P12ihipStream_tbENKUlT_T0_E_clISt17integral_constantIbLb0EESU_EEDaSP_SQ_EUlSP_E0_NS1_11comp_targetILNS1_3genE2ELNS1_11target_archE906ELNS1_3gpuE6ELNS1_3repE0EEENS1_30default_config_static_selectorELNS0_4arch9wavefront6targetE1EEEvT1_.kd
    .uniform_work_group_size: 1
    .uses_dynamic_stack: false
    .vgpr_count:     0
    .vgpr_spill_count: 0
    .wavefront_size: 64
  - .agpr_count:     0
    .args:
      - .offset:         0
        .size:           40
        .value_kind:     by_value
    .group_segment_fixed_size: 0
    .kernarg_segment_align: 8
    .kernarg_segment_size: 40
    .language:       OpenCL C
    .language_version:
      - 2
      - 0
    .max_flat_workgroup_size: 256
    .name:           _ZN7rocprim17ROCPRIM_400000_NS6detail17trampoline_kernelINS0_14default_configENS1_20scan_config_selectorIdEEZZNS1_9scan_implILNS1_25lookback_scan_determinismE0ELb0ELb0ES3_N6thrust23THRUST_200600_302600_NS6detail15normal_iteratorINS9_10device_ptrIdEEEESE_d11max_functorIdEdEEDaPvRmT3_T4_T5_mT6_P12ihipStream_tbENKUlT_T0_E_clISt17integral_constantIbLb0EESU_EEDaSP_SQ_EUlSP_E0_NS1_11comp_targetILNS1_3genE10ELNS1_11target_archE1201ELNS1_3gpuE5ELNS1_3repE0EEENS1_30default_config_static_selectorELNS0_4arch9wavefront6targetE1EEEvT1_
    .private_segment_fixed_size: 0
    .sgpr_count:     4
    .sgpr_spill_count: 0
    .symbol:         _ZN7rocprim17ROCPRIM_400000_NS6detail17trampoline_kernelINS0_14default_configENS1_20scan_config_selectorIdEEZZNS1_9scan_implILNS1_25lookback_scan_determinismE0ELb0ELb0ES3_N6thrust23THRUST_200600_302600_NS6detail15normal_iteratorINS9_10device_ptrIdEEEESE_d11max_functorIdEdEEDaPvRmT3_T4_T5_mT6_P12ihipStream_tbENKUlT_T0_E_clISt17integral_constantIbLb0EESU_EEDaSP_SQ_EUlSP_E0_NS1_11comp_targetILNS1_3genE10ELNS1_11target_archE1201ELNS1_3gpuE5ELNS1_3repE0EEENS1_30default_config_static_selectorELNS0_4arch9wavefront6targetE1EEEvT1_.kd
    .uniform_work_group_size: 1
    .uses_dynamic_stack: false
    .vgpr_count:     0
    .vgpr_spill_count: 0
    .wavefront_size: 64
  - .agpr_count:     0
    .args:
      - .offset:         0
        .size:           40
        .value_kind:     by_value
    .group_segment_fixed_size: 0
    .kernarg_segment_align: 8
    .kernarg_segment_size: 40
    .language:       OpenCL C
    .language_version:
      - 2
      - 0
    .max_flat_workgroup_size: 256
    .name:           _ZN7rocprim17ROCPRIM_400000_NS6detail17trampoline_kernelINS0_14default_configENS1_20scan_config_selectorIdEEZZNS1_9scan_implILNS1_25lookback_scan_determinismE0ELb0ELb0ES3_N6thrust23THRUST_200600_302600_NS6detail15normal_iteratorINS9_10device_ptrIdEEEESE_d11max_functorIdEdEEDaPvRmT3_T4_T5_mT6_P12ihipStream_tbENKUlT_T0_E_clISt17integral_constantIbLb0EESU_EEDaSP_SQ_EUlSP_E0_NS1_11comp_targetILNS1_3genE10ELNS1_11target_archE1200ELNS1_3gpuE4ELNS1_3repE0EEENS1_30default_config_static_selectorELNS0_4arch9wavefront6targetE1EEEvT1_
    .private_segment_fixed_size: 0
    .sgpr_count:     4
    .sgpr_spill_count: 0
    .symbol:         _ZN7rocprim17ROCPRIM_400000_NS6detail17trampoline_kernelINS0_14default_configENS1_20scan_config_selectorIdEEZZNS1_9scan_implILNS1_25lookback_scan_determinismE0ELb0ELb0ES3_N6thrust23THRUST_200600_302600_NS6detail15normal_iteratorINS9_10device_ptrIdEEEESE_d11max_functorIdEdEEDaPvRmT3_T4_T5_mT6_P12ihipStream_tbENKUlT_T0_E_clISt17integral_constantIbLb0EESU_EEDaSP_SQ_EUlSP_E0_NS1_11comp_targetILNS1_3genE10ELNS1_11target_archE1200ELNS1_3gpuE4ELNS1_3repE0EEENS1_30default_config_static_selectorELNS0_4arch9wavefront6targetE1EEEvT1_.kd
    .uniform_work_group_size: 1
    .uses_dynamic_stack: false
    .vgpr_count:     0
    .vgpr_spill_count: 0
    .wavefront_size: 64
  - .agpr_count:     0
    .args:
      - .offset:         0
        .size:           40
        .value_kind:     by_value
    .group_segment_fixed_size: 0
    .kernarg_segment_align: 8
    .kernarg_segment_size: 40
    .language:       OpenCL C
    .language_version:
      - 2
      - 0
    .max_flat_workgroup_size: 256
    .name:           _ZN7rocprim17ROCPRIM_400000_NS6detail17trampoline_kernelINS0_14default_configENS1_20scan_config_selectorIdEEZZNS1_9scan_implILNS1_25lookback_scan_determinismE0ELb0ELb0ES3_N6thrust23THRUST_200600_302600_NS6detail15normal_iteratorINS9_10device_ptrIdEEEESE_d11max_functorIdEdEEDaPvRmT3_T4_T5_mT6_P12ihipStream_tbENKUlT_T0_E_clISt17integral_constantIbLb0EESU_EEDaSP_SQ_EUlSP_E0_NS1_11comp_targetILNS1_3genE9ELNS1_11target_archE1100ELNS1_3gpuE3ELNS1_3repE0EEENS1_30default_config_static_selectorELNS0_4arch9wavefront6targetE1EEEvT1_
    .private_segment_fixed_size: 0
    .sgpr_count:     4
    .sgpr_spill_count: 0
    .symbol:         _ZN7rocprim17ROCPRIM_400000_NS6detail17trampoline_kernelINS0_14default_configENS1_20scan_config_selectorIdEEZZNS1_9scan_implILNS1_25lookback_scan_determinismE0ELb0ELb0ES3_N6thrust23THRUST_200600_302600_NS6detail15normal_iteratorINS9_10device_ptrIdEEEESE_d11max_functorIdEdEEDaPvRmT3_T4_T5_mT6_P12ihipStream_tbENKUlT_T0_E_clISt17integral_constantIbLb0EESU_EEDaSP_SQ_EUlSP_E0_NS1_11comp_targetILNS1_3genE9ELNS1_11target_archE1100ELNS1_3gpuE3ELNS1_3repE0EEENS1_30default_config_static_selectorELNS0_4arch9wavefront6targetE1EEEvT1_.kd
    .uniform_work_group_size: 1
    .uses_dynamic_stack: false
    .vgpr_count:     0
    .vgpr_spill_count: 0
    .wavefront_size: 64
  - .agpr_count:     0
    .args:
      - .offset:         0
        .size:           40
        .value_kind:     by_value
    .group_segment_fixed_size: 0
    .kernarg_segment_align: 8
    .kernarg_segment_size: 40
    .language:       OpenCL C
    .language_version:
      - 2
      - 0
    .max_flat_workgroup_size: 128
    .name:           _ZN7rocprim17ROCPRIM_400000_NS6detail17trampoline_kernelINS0_14default_configENS1_20scan_config_selectorIdEEZZNS1_9scan_implILNS1_25lookback_scan_determinismE0ELb0ELb0ES3_N6thrust23THRUST_200600_302600_NS6detail15normal_iteratorINS9_10device_ptrIdEEEESE_d11max_functorIdEdEEDaPvRmT3_T4_T5_mT6_P12ihipStream_tbENKUlT_T0_E_clISt17integral_constantIbLb0EESU_EEDaSP_SQ_EUlSP_E0_NS1_11comp_targetILNS1_3genE8ELNS1_11target_archE1030ELNS1_3gpuE2ELNS1_3repE0EEENS1_30default_config_static_selectorELNS0_4arch9wavefront6targetE1EEEvT1_
    .private_segment_fixed_size: 0
    .sgpr_count:     4
    .sgpr_spill_count: 0
    .symbol:         _ZN7rocprim17ROCPRIM_400000_NS6detail17trampoline_kernelINS0_14default_configENS1_20scan_config_selectorIdEEZZNS1_9scan_implILNS1_25lookback_scan_determinismE0ELb0ELb0ES3_N6thrust23THRUST_200600_302600_NS6detail15normal_iteratorINS9_10device_ptrIdEEEESE_d11max_functorIdEdEEDaPvRmT3_T4_T5_mT6_P12ihipStream_tbENKUlT_T0_E_clISt17integral_constantIbLb0EESU_EEDaSP_SQ_EUlSP_E0_NS1_11comp_targetILNS1_3genE8ELNS1_11target_archE1030ELNS1_3gpuE2ELNS1_3repE0EEENS1_30default_config_static_selectorELNS0_4arch9wavefront6targetE1EEEvT1_.kd
    .uniform_work_group_size: 1
    .uses_dynamic_stack: false
    .vgpr_count:     0
    .vgpr_spill_count: 0
    .wavefront_size: 64
  - .agpr_count:     0
    .args:
      - .address_space:  global
        .offset:         0
        .size:           8
        .value_kind:     global_buffer
      - .offset:         8
        .size:           4
        .value_kind:     by_value
      - .address_space:  global
        .offset:         16
        .size:           8
        .value_kind:     global_buffer
      - .offset:         24
        .size:           4
        .value_kind:     by_value
      - .address_space:  global
        .offset:         32
        .size:           8
        .value_kind:     global_buffer
      - .offset:         40
        .size:           4
        .value_kind:     hidden_block_count_x
      - .offset:         44
        .size:           4
        .value_kind:     hidden_block_count_y
      - .offset:         48
        .size:           4
        .value_kind:     hidden_block_count_z
      - .offset:         52
        .size:           2
        .value_kind:     hidden_group_size_x
      - .offset:         54
        .size:           2
        .value_kind:     hidden_group_size_y
      - .offset:         56
        .size:           2
        .value_kind:     hidden_group_size_z
      - .offset:         58
        .size:           2
        .value_kind:     hidden_remainder_x
      - .offset:         60
        .size:           2
        .value_kind:     hidden_remainder_y
      - .offset:         62
        .size:           2
        .value_kind:     hidden_remainder_z
      - .offset:         80
        .size:           8
        .value_kind:     hidden_global_offset_x
      - .offset:         88
        .size:           8
        .value_kind:     hidden_global_offset_y
      - .offset:         96
        .size:           8
        .value_kind:     hidden_global_offset_z
      - .offset:         104
        .size:           2
        .value_kind:     hidden_grid_dims
    .group_segment_fixed_size: 0
    .kernarg_segment_align: 8
    .kernarg_segment_size: 296
    .language:       OpenCL C
    .language_version:
      - 2
      - 0
    .max_flat_workgroup_size: 256
    .name:           _ZN7rocprim17ROCPRIM_400000_NS6detail31init_lookback_scan_state_kernelINS1_19lookback_scan_stateIdLb1ELb1EEENS1_16block_id_wrapperIjLb1EEEEEvT_jT0_jPNS7_10value_typeE
    .private_segment_fixed_size: 0
    .sgpr_count:     20
    .sgpr_spill_count: 0
    .symbol:         _ZN7rocprim17ROCPRIM_400000_NS6detail31init_lookback_scan_state_kernelINS1_19lookback_scan_stateIdLb1ELb1EEENS1_16block_id_wrapperIjLb1EEEEEvT_jT0_jPNS7_10value_typeE.kd
    .uniform_work_group_size: 1
    .uses_dynamic_stack: false
    .vgpr_count:     10
    .vgpr_spill_count: 0
    .wavefront_size: 64
  - .agpr_count:     0
    .args:
      - .offset:         0
        .size:           104
        .value_kind:     by_value
    .group_segment_fixed_size: 0
    .kernarg_segment_align: 8
    .kernarg_segment_size: 104
    .language:       OpenCL C
    .language_version:
      - 2
      - 0
    .max_flat_workgroup_size: 256
    .name:           _ZN7rocprim17ROCPRIM_400000_NS6detail17trampoline_kernelINS0_14default_configENS1_20scan_config_selectorIdEEZZNS1_9scan_implILNS1_25lookback_scan_determinismE0ELb0ELb0ES3_N6thrust23THRUST_200600_302600_NS6detail15normal_iteratorINS9_10device_ptrIdEEEESE_d11max_functorIdEdEEDaPvRmT3_T4_T5_mT6_P12ihipStream_tbENKUlT_T0_E_clISt17integral_constantIbLb1EESU_EEDaSP_SQ_EUlSP_E_NS1_11comp_targetILNS1_3genE0ELNS1_11target_archE4294967295ELNS1_3gpuE0ELNS1_3repE0EEENS1_30default_config_static_selectorELNS0_4arch9wavefront6targetE1EEEvT1_
    .private_segment_fixed_size: 0
    .sgpr_count:     4
    .sgpr_spill_count: 0
    .symbol:         _ZN7rocprim17ROCPRIM_400000_NS6detail17trampoline_kernelINS0_14default_configENS1_20scan_config_selectorIdEEZZNS1_9scan_implILNS1_25lookback_scan_determinismE0ELb0ELb0ES3_N6thrust23THRUST_200600_302600_NS6detail15normal_iteratorINS9_10device_ptrIdEEEESE_d11max_functorIdEdEEDaPvRmT3_T4_T5_mT6_P12ihipStream_tbENKUlT_T0_E_clISt17integral_constantIbLb1EESU_EEDaSP_SQ_EUlSP_E_NS1_11comp_targetILNS1_3genE0ELNS1_11target_archE4294967295ELNS1_3gpuE0ELNS1_3repE0EEENS1_30default_config_static_selectorELNS0_4arch9wavefront6targetE1EEEvT1_.kd
    .uniform_work_group_size: 1
    .uses_dynamic_stack: false
    .vgpr_count:     0
    .vgpr_spill_count: 0
    .wavefront_size: 64
  - .agpr_count:     0
    .args:
      - .offset:         0
        .size:           104
        .value_kind:     by_value
    .group_segment_fixed_size: 0
    .kernarg_segment_align: 8
    .kernarg_segment_size: 104
    .language:       OpenCL C
    .language_version:
      - 2
      - 0
    .max_flat_workgroup_size: 256
    .name:           _ZN7rocprim17ROCPRIM_400000_NS6detail17trampoline_kernelINS0_14default_configENS1_20scan_config_selectorIdEEZZNS1_9scan_implILNS1_25lookback_scan_determinismE0ELb0ELb0ES3_N6thrust23THRUST_200600_302600_NS6detail15normal_iteratorINS9_10device_ptrIdEEEESE_d11max_functorIdEdEEDaPvRmT3_T4_T5_mT6_P12ihipStream_tbENKUlT_T0_E_clISt17integral_constantIbLb1EESU_EEDaSP_SQ_EUlSP_E_NS1_11comp_targetILNS1_3genE5ELNS1_11target_archE942ELNS1_3gpuE9ELNS1_3repE0EEENS1_30default_config_static_selectorELNS0_4arch9wavefront6targetE1EEEvT1_
    .private_segment_fixed_size: 0
    .sgpr_count:     4
    .sgpr_spill_count: 0
    .symbol:         _ZN7rocprim17ROCPRIM_400000_NS6detail17trampoline_kernelINS0_14default_configENS1_20scan_config_selectorIdEEZZNS1_9scan_implILNS1_25lookback_scan_determinismE0ELb0ELb0ES3_N6thrust23THRUST_200600_302600_NS6detail15normal_iteratorINS9_10device_ptrIdEEEESE_d11max_functorIdEdEEDaPvRmT3_T4_T5_mT6_P12ihipStream_tbENKUlT_T0_E_clISt17integral_constantIbLb1EESU_EEDaSP_SQ_EUlSP_E_NS1_11comp_targetILNS1_3genE5ELNS1_11target_archE942ELNS1_3gpuE9ELNS1_3repE0EEENS1_30default_config_static_selectorELNS0_4arch9wavefront6targetE1EEEvT1_.kd
    .uniform_work_group_size: 1
    .uses_dynamic_stack: false
    .vgpr_count:     0
    .vgpr_spill_count: 0
    .wavefront_size: 64
  - .agpr_count:     0
    .args:
      - .offset:         0
        .size:           104
        .value_kind:     by_value
    .group_segment_fixed_size: 10240
    .kernarg_segment_align: 8
    .kernarg_segment_size: 104
    .language:       OpenCL C
    .language_version:
      - 2
      - 0
    .max_flat_workgroup_size: 128
    .name:           _ZN7rocprim17ROCPRIM_400000_NS6detail17trampoline_kernelINS0_14default_configENS1_20scan_config_selectorIdEEZZNS1_9scan_implILNS1_25lookback_scan_determinismE0ELb0ELb0ES3_N6thrust23THRUST_200600_302600_NS6detail15normal_iteratorINS9_10device_ptrIdEEEESE_d11max_functorIdEdEEDaPvRmT3_T4_T5_mT6_P12ihipStream_tbENKUlT_T0_E_clISt17integral_constantIbLb1EESU_EEDaSP_SQ_EUlSP_E_NS1_11comp_targetILNS1_3genE4ELNS1_11target_archE910ELNS1_3gpuE8ELNS1_3repE0EEENS1_30default_config_static_selectorELNS0_4arch9wavefront6targetE1EEEvT1_
    .private_segment_fixed_size: 0
    .sgpr_count:     42
    .sgpr_spill_count: 0
    .symbol:         _ZN7rocprim17ROCPRIM_400000_NS6detail17trampoline_kernelINS0_14default_configENS1_20scan_config_selectorIdEEZZNS1_9scan_implILNS1_25lookback_scan_determinismE0ELb0ELb0ES3_N6thrust23THRUST_200600_302600_NS6detail15normal_iteratorINS9_10device_ptrIdEEEESE_d11max_functorIdEdEEDaPvRmT3_T4_T5_mT6_P12ihipStream_tbENKUlT_T0_E_clISt17integral_constantIbLb1EESU_EEDaSP_SQ_EUlSP_E_NS1_11comp_targetILNS1_3genE4ELNS1_11target_archE910ELNS1_3gpuE8ELNS1_3repE0EEENS1_30default_config_static_selectorELNS0_4arch9wavefront6targetE1EEEvT1_.kd
    .uniform_work_group_size: 1
    .uses_dynamic_stack: false
    .vgpr_count:     58
    .vgpr_spill_count: 0
    .wavefront_size: 64
  - .agpr_count:     0
    .args:
      - .offset:         0
        .size:           104
        .value_kind:     by_value
    .group_segment_fixed_size: 0
    .kernarg_segment_align: 8
    .kernarg_segment_size: 104
    .language:       OpenCL C
    .language_version:
      - 2
      - 0
    .max_flat_workgroup_size: 256
    .name:           _ZN7rocprim17ROCPRIM_400000_NS6detail17trampoline_kernelINS0_14default_configENS1_20scan_config_selectorIdEEZZNS1_9scan_implILNS1_25lookback_scan_determinismE0ELb0ELb0ES3_N6thrust23THRUST_200600_302600_NS6detail15normal_iteratorINS9_10device_ptrIdEEEESE_d11max_functorIdEdEEDaPvRmT3_T4_T5_mT6_P12ihipStream_tbENKUlT_T0_E_clISt17integral_constantIbLb1EESU_EEDaSP_SQ_EUlSP_E_NS1_11comp_targetILNS1_3genE3ELNS1_11target_archE908ELNS1_3gpuE7ELNS1_3repE0EEENS1_30default_config_static_selectorELNS0_4arch9wavefront6targetE1EEEvT1_
    .private_segment_fixed_size: 0
    .sgpr_count:     4
    .sgpr_spill_count: 0
    .symbol:         _ZN7rocprim17ROCPRIM_400000_NS6detail17trampoline_kernelINS0_14default_configENS1_20scan_config_selectorIdEEZZNS1_9scan_implILNS1_25lookback_scan_determinismE0ELb0ELb0ES3_N6thrust23THRUST_200600_302600_NS6detail15normal_iteratorINS9_10device_ptrIdEEEESE_d11max_functorIdEdEEDaPvRmT3_T4_T5_mT6_P12ihipStream_tbENKUlT_T0_E_clISt17integral_constantIbLb1EESU_EEDaSP_SQ_EUlSP_E_NS1_11comp_targetILNS1_3genE3ELNS1_11target_archE908ELNS1_3gpuE7ELNS1_3repE0EEENS1_30default_config_static_selectorELNS0_4arch9wavefront6targetE1EEEvT1_.kd
    .uniform_work_group_size: 1
    .uses_dynamic_stack: false
    .vgpr_count:     0
    .vgpr_spill_count: 0
    .wavefront_size: 64
  - .agpr_count:     0
    .args:
      - .offset:         0
        .size:           104
        .value_kind:     by_value
    .group_segment_fixed_size: 0
    .kernarg_segment_align: 8
    .kernarg_segment_size: 104
    .language:       OpenCL C
    .language_version:
      - 2
      - 0
    .max_flat_workgroup_size: 128
    .name:           _ZN7rocprim17ROCPRIM_400000_NS6detail17trampoline_kernelINS0_14default_configENS1_20scan_config_selectorIdEEZZNS1_9scan_implILNS1_25lookback_scan_determinismE0ELb0ELb0ES3_N6thrust23THRUST_200600_302600_NS6detail15normal_iteratorINS9_10device_ptrIdEEEESE_d11max_functorIdEdEEDaPvRmT3_T4_T5_mT6_P12ihipStream_tbENKUlT_T0_E_clISt17integral_constantIbLb1EESU_EEDaSP_SQ_EUlSP_E_NS1_11comp_targetILNS1_3genE2ELNS1_11target_archE906ELNS1_3gpuE6ELNS1_3repE0EEENS1_30default_config_static_selectorELNS0_4arch9wavefront6targetE1EEEvT1_
    .private_segment_fixed_size: 0
    .sgpr_count:     4
    .sgpr_spill_count: 0
    .symbol:         _ZN7rocprim17ROCPRIM_400000_NS6detail17trampoline_kernelINS0_14default_configENS1_20scan_config_selectorIdEEZZNS1_9scan_implILNS1_25lookback_scan_determinismE0ELb0ELb0ES3_N6thrust23THRUST_200600_302600_NS6detail15normal_iteratorINS9_10device_ptrIdEEEESE_d11max_functorIdEdEEDaPvRmT3_T4_T5_mT6_P12ihipStream_tbENKUlT_T0_E_clISt17integral_constantIbLb1EESU_EEDaSP_SQ_EUlSP_E_NS1_11comp_targetILNS1_3genE2ELNS1_11target_archE906ELNS1_3gpuE6ELNS1_3repE0EEENS1_30default_config_static_selectorELNS0_4arch9wavefront6targetE1EEEvT1_.kd
    .uniform_work_group_size: 1
    .uses_dynamic_stack: false
    .vgpr_count:     0
    .vgpr_spill_count: 0
    .wavefront_size: 64
  - .agpr_count:     0
    .args:
      - .offset:         0
        .size:           104
        .value_kind:     by_value
    .group_segment_fixed_size: 0
    .kernarg_segment_align: 8
    .kernarg_segment_size: 104
    .language:       OpenCL C
    .language_version:
      - 2
      - 0
    .max_flat_workgroup_size: 256
    .name:           _ZN7rocprim17ROCPRIM_400000_NS6detail17trampoline_kernelINS0_14default_configENS1_20scan_config_selectorIdEEZZNS1_9scan_implILNS1_25lookback_scan_determinismE0ELb0ELb0ES3_N6thrust23THRUST_200600_302600_NS6detail15normal_iteratorINS9_10device_ptrIdEEEESE_d11max_functorIdEdEEDaPvRmT3_T4_T5_mT6_P12ihipStream_tbENKUlT_T0_E_clISt17integral_constantIbLb1EESU_EEDaSP_SQ_EUlSP_E_NS1_11comp_targetILNS1_3genE10ELNS1_11target_archE1201ELNS1_3gpuE5ELNS1_3repE0EEENS1_30default_config_static_selectorELNS0_4arch9wavefront6targetE1EEEvT1_
    .private_segment_fixed_size: 0
    .sgpr_count:     4
    .sgpr_spill_count: 0
    .symbol:         _ZN7rocprim17ROCPRIM_400000_NS6detail17trampoline_kernelINS0_14default_configENS1_20scan_config_selectorIdEEZZNS1_9scan_implILNS1_25lookback_scan_determinismE0ELb0ELb0ES3_N6thrust23THRUST_200600_302600_NS6detail15normal_iteratorINS9_10device_ptrIdEEEESE_d11max_functorIdEdEEDaPvRmT3_T4_T5_mT6_P12ihipStream_tbENKUlT_T0_E_clISt17integral_constantIbLb1EESU_EEDaSP_SQ_EUlSP_E_NS1_11comp_targetILNS1_3genE10ELNS1_11target_archE1201ELNS1_3gpuE5ELNS1_3repE0EEENS1_30default_config_static_selectorELNS0_4arch9wavefront6targetE1EEEvT1_.kd
    .uniform_work_group_size: 1
    .uses_dynamic_stack: false
    .vgpr_count:     0
    .vgpr_spill_count: 0
    .wavefront_size: 64
  - .agpr_count:     0
    .args:
      - .offset:         0
        .size:           104
        .value_kind:     by_value
    .group_segment_fixed_size: 0
    .kernarg_segment_align: 8
    .kernarg_segment_size: 104
    .language:       OpenCL C
    .language_version:
      - 2
      - 0
    .max_flat_workgroup_size: 256
    .name:           _ZN7rocprim17ROCPRIM_400000_NS6detail17trampoline_kernelINS0_14default_configENS1_20scan_config_selectorIdEEZZNS1_9scan_implILNS1_25lookback_scan_determinismE0ELb0ELb0ES3_N6thrust23THRUST_200600_302600_NS6detail15normal_iteratorINS9_10device_ptrIdEEEESE_d11max_functorIdEdEEDaPvRmT3_T4_T5_mT6_P12ihipStream_tbENKUlT_T0_E_clISt17integral_constantIbLb1EESU_EEDaSP_SQ_EUlSP_E_NS1_11comp_targetILNS1_3genE10ELNS1_11target_archE1200ELNS1_3gpuE4ELNS1_3repE0EEENS1_30default_config_static_selectorELNS0_4arch9wavefront6targetE1EEEvT1_
    .private_segment_fixed_size: 0
    .sgpr_count:     4
    .sgpr_spill_count: 0
    .symbol:         _ZN7rocprim17ROCPRIM_400000_NS6detail17trampoline_kernelINS0_14default_configENS1_20scan_config_selectorIdEEZZNS1_9scan_implILNS1_25lookback_scan_determinismE0ELb0ELb0ES3_N6thrust23THRUST_200600_302600_NS6detail15normal_iteratorINS9_10device_ptrIdEEEESE_d11max_functorIdEdEEDaPvRmT3_T4_T5_mT6_P12ihipStream_tbENKUlT_T0_E_clISt17integral_constantIbLb1EESU_EEDaSP_SQ_EUlSP_E_NS1_11comp_targetILNS1_3genE10ELNS1_11target_archE1200ELNS1_3gpuE4ELNS1_3repE0EEENS1_30default_config_static_selectorELNS0_4arch9wavefront6targetE1EEEvT1_.kd
    .uniform_work_group_size: 1
    .uses_dynamic_stack: false
    .vgpr_count:     0
    .vgpr_spill_count: 0
    .wavefront_size: 64
  - .agpr_count:     0
    .args:
      - .offset:         0
        .size:           104
        .value_kind:     by_value
    .group_segment_fixed_size: 0
    .kernarg_segment_align: 8
    .kernarg_segment_size: 104
    .language:       OpenCL C
    .language_version:
      - 2
      - 0
    .max_flat_workgroup_size: 256
    .name:           _ZN7rocprim17ROCPRIM_400000_NS6detail17trampoline_kernelINS0_14default_configENS1_20scan_config_selectorIdEEZZNS1_9scan_implILNS1_25lookback_scan_determinismE0ELb0ELb0ES3_N6thrust23THRUST_200600_302600_NS6detail15normal_iteratorINS9_10device_ptrIdEEEESE_d11max_functorIdEdEEDaPvRmT3_T4_T5_mT6_P12ihipStream_tbENKUlT_T0_E_clISt17integral_constantIbLb1EESU_EEDaSP_SQ_EUlSP_E_NS1_11comp_targetILNS1_3genE9ELNS1_11target_archE1100ELNS1_3gpuE3ELNS1_3repE0EEENS1_30default_config_static_selectorELNS0_4arch9wavefront6targetE1EEEvT1_
    .private_segment_fixed_size: 0
    .sgpr_count:     4
    .sgpr_spill_count: 0
    .symbol:         _ZN7rocprim17ROCPRIM_400000_NS6detail17trampoline_kernelINS0_14default_configENS1_20scan_config_selectorIdEEZZNS1_9scan_implILNS1_25lookback_scan_determinismE0ELb0ELb0ES3_N6thrust23THRUST_200600_302600_NS6detail15normal_iteratorINS9_10device_ptrIdEEEESE_d11max_functorIdEdEEDaPvRmT3_T4_T5_mT6_P12ihipStream_tbENKUlT_T0_E_clISt17integral_constantIbLb1EESU_EEDaSP_SQ_EUlSP_E_NS1_11comp_targetILNS1_3genE9ELNS1_11target_archE1100ELNS1_3gpuE3ELNS1_3repE0EEENS1_30default_config_static_selectorELNS0_4arch9wavefront6targetE1EEEvT1_.kd
    .uniform_work_group_size: 1
    .uses_dynamic_stack: false
    .vgpr_count:     0
    .vgpr_spill_count: 0
    .wavefront_size: 64
  - .agpr_count:     0
    .args:
      - .offset:         0
        .size:           104
        .value_kind:     by_value
    .group_segment_fixed_size: 0
    .kernarg_segment_align: 8
    .kernarg_segment_size: 104
    .language:       OpenCL C
    .language_version:
      - 2
      - 0
    .max_flat_workgroup_size: 128
    .name:           _ZN7rocprim17ROCPRIM_400000_NS6detail17trampoline_kernelINS0_14default_configENS1_20scan_config_selectorIdEEZZNS1_9scan_implILNS1_25lookback_scan_determinismE0ELb0ELb0ES3_N6thrust23THRUST_200600_302600_NS6detail15normal_iteratorINS9_10device_ptrIdEEEESE_d11max_functorIdEdEEDaPvRmT3_T4_T5_mT6_P12ihipStream_tbENKUlT_T0_E_clISt17integral_constantIbLb1EESU_EEDaSP_SQ_EUlSP_E_NS1_11comp_targetILNS1_3genE8ELNS1_11target_archE1030ELNS1_3gpuE2ELNS1_3repE0EEENS1_30default_config_static_selectorELNS0_4arch9wavefront6targetE1EEEvT1_
    .private_segment_fixed_size: 0
    .sgpr_count:     4
    .sgpr_spill_count: 0
    .symbol:         _ZN7rocprim17ROCPRIM_400000_NS6detail17trampoline_kernelINS0_14default_configENS1_20scan_config_selectorIdEEZZNS1_9scan_implILNS1_25lookback_scan_determinismE0ELb0ELb0ES3_N6thrust23THRUST_200600_302600_NS6detail15normal_iteratorINS9_10device_ptrIdEEEESE_d11max_functorIdEdEEDaPvRmT3_T4_T5_mT6_P12ihipStream_tbENKUlT_T0_E_clISt17integral_constantIbLb1EESU_EEDaSP_SQ_EUlSP_E_NS1_11comp_targetILNS1_3genE8ELNS1_11target_archE1030ELNS1_3gpuE2ELNS1_3repE0EEENS1_30default_config_static_selectorELNS0_4arch9wavefront6targetE1EEEvT1_.kd
    .uniform_work_group_size: 1
    .uses_dynamic_stack: false
    .vgpr_count:     0
    .vgpr_spill_count: 0
    .wavefront_size: 64
  - .agpr_count:     0
    .args:
      - .offset:         0
        .size:           40
        .value_kind:     by_value
    .group_segment_fixed_size: 0
    .kernarg_segment_align: 8
    .kernarg_segment_size: 40
    .language:       OpenCL C
    .language_version:
      - 2
      - 0
    .max_flat_workgroup_size: 256
    .name:           _ZN7rocprim17ROCPRIM_400000_NS6detail17trampoline_kernelINS0_14default_configENS1_20scan_config_selectorIdEEZZNS1_9scan_implILNS1_25lookback_scan_determinismE0ELb0ELb0ES3_N6thrust23THRUST_200600_302600_NS6detail15normal_iteratorINS9_10device_ptrIdEEEESE_d11max_functorIdEdEEDaPvRmT3_T4_T5_mT6_P12ihipStream_tbENKUlT_T0_E_clISt17integral_constantIbLb1EESU_EEDaSP_SQ_EUlSP_E0_NS1_11comp_targetILNS1_3genE0ELNS1_11target_archE4294967295ELNS1_3gpuE0ELNS1_3repE0EEENS1_30default_config_static_selectorELNS0_4arch9wavefront6targetE1EEEvT1_
    .private_segment_fixed_size: 0
    .sgpr_count:     4
    .sgpr_spill_count: 0
    .symbol:         _ZN7rocprim17ROCPRIM_400000_NS6detail17trampoline_kernelINS0_14default_configENS1_20scan_config_selectorIdEEZZNS1_9scan_implILNS1_25lookback_scan_determinismE0ELb0ELb0ES3_N6thrust23THRUST_200600_302600_NS6detail15normal_iteratorINS9_10device_ptrIdEEEESE_d11max_functorIdEdEEDaPvRmT3_T4_T5_mT6_P12ihipStream_tbENKUlT_T0_E_clISt17integral_constantIbLb1EESU_EEDaSP_SQ_EUlSP_E0_NS1_11comp_targetILNS1_3genE0ELNS1_11target_archE4294967295ELNS1_3gpuE0ELNS1_3repE0EEENS1_30default_config_static_selectorELNS0_4arch9wavefront6targetE1EEEvT1_.kd
    .uniform_work_group_size: 1
    .uses_dynamic_stack: false
    .vgpr_count:     0
    .vgpr_spill_count: 0
    .wavefront_size: 64
  - .agpr_count:     0
    .args:
      - .offset:         0
        .size:           40
        .value_kind:     by_value
    .group_segment_fixed_size: 0
    .kernarg_segment_align: 8
    .kernarg_segment_size: 40
    .language:       OpenCL C
    .language_version:
      - 2
      - 0
    .max_flat_workgroup_size: 256
    .name:           _ZN7rocprim17ROCPRIM_400000_NS6detail17trampoline_kernelINS0_14default_configENS1_20scan_config_selectorIdEEZZNS1_9scan_implILNS1_25lookback_scan_determinismE0ELb0ELb0ES3_N6thrust23THRUST_200600_302600_NS6detail15normal_iteratorINS9_10device_ptrIdEEEESE_d11max_functorIdEdEEDaPvRmT3_T4_T5_mT6_P12ihipStream_tbENKUlT_T0_E_clISt17integral_constantIbLb1EESU_EEDaSP_SQ_EUlSP_E0_NS1_11comp_targetILNS1_3genE5ELNS1_11target_archE942ELNS1_3gpuE9ELNS1_3repE0EEENS1_30default_config_static_selectorELNS0_4arch9wavefront6targetE1EEEvT1_
    .private_segment_fixed_size: 0
    .sgpr_count:     4
    .sgpr_spill_count: 0
    .symbol:         _ZN7rocprim17ROCPRIM_400000_NS6detail17trampoline_kernelINS0_14default_configENS1_20scan_config_selectorIdEEZZNS1_9scan_implILNS1_25lookback_scan_determinismE0ELb0ELb0ES3_N6thrust23THRUST_200600_302600_NS6detail15normal_iteratorINS9_10device_ptrIdEEEESE_d11max_functorIdEdEEDaPvRmT3_T4_T5_mT6_P12ihipStream_tbENKUlT_T0_E_clISt17integral_constantIbLb1EESU_EEDaSP_SQ_EUlSP_E0_NS1_11comp_targetILNS1_3genE5ELNS1_11target_archE942ELNS1_3gpuE9ELNS1_3repE0EEENS1_30default_config_static_selectorELNS0_4arch9wavefront6targetE1EEEvT1_.kd
    .uniform_work_group_size: 1
    .uses_dynamic_stack: false
    .vgpr_count:     0
    .vgpr_spill_count: 0
    .wavefront_size: 64
  - .agpr_count:     0
    .args:
      - .offset:         0
        .size:           40
        .value_kind:     by_value
    .group_segment_fixed_size: 10240
    .kernarg_segment_align: 8
    .kernarg_segment_size: 40
    .language:       OpenCL C
    .language_version:
      - 2
      - 0
    .max_flat_workgroup_size: 128
    .name:           _ZN7rocprim17ROCPRIM_400000_NS6detail17trampoline_kernelINS0_14default_configENS1_20scan_config_selectorIdEEZZNS1_9scan_implILNS1_25lookback_scan_determinismE0ELb0ELb0ES3_N6thrust23THRUST_200600_302600_NS6detail15normal_iteratorINS9_10device_ptrIdEEEESE_d11max_functorIdEdEEDaPvRmT3_T4_T5_mT6_P12ihipStream_tbENKUlT_T0_E_clISt17integral_constantIbLb1EESU_EEDaSP_SQ_EUlSP_E0_NS1_11comp_targetILNS1_3genE4ELNS1_11target_archE910ELNS1_3gpuE8ELNS1_3repE0EEENS1_30default_config_static_selectorELNS0_4arch9wavefront6targetE1EEEvT1_
    .private_segment_fixed_size: 0
    .sgpr_count:     30
    .sgpr_spill_count: 0
    .symbol:         _ZN7rocprim17ROCPRIM_400000_NS6detail17trampoline_kernelINS0_14default_configENS1_20scan_config_selectorIdEEZZNS1_9scan_implILNS1_25lookback_scan_determinismE0ELb0ELb0ES3_N6thrust23THRUST_200600_302600_NS6detail15normal_iteratorINS9_10device_ptrIdEEEESE_d11max_functorIdEdEEDaPvRmT3_T4_T5_mT6_P12ihipStream_tbENKUlT_T0_E_clISt17integral_constantIbLb1EESU_EEDaSP_SQ_EUlSP_E0_NS1_11comp_targetILNS1_3genE4ELNS1_11target_archE910ELNS1_3gpuE8ELNS1_3repE0EEENS1_30default_config_static_selectorELNS0_4arch9wavefront6targetE1EEEvT1_.kd
    .uniform_work_group_size: 1
    .uses_dynamic_stack: false
    .vgpr_count:     33
    .vgpr_spill_count: 0
    .wavefront_size: 64
  - .agpr_count:     0
    .args:
      - .offset:         0
        .size:           40
        .value_kind:     by_value
    .group_segment_fixed_size: 0
    .kernarg_segment_align: 8
    .kernarg_segment_size: 40
    .language:       OpenCL C
    .language_version:
      - 2
      - 0
    .max_flat_workgroup_size: 256
    .name:           _ZN7rocprim17ROCPRIM_400000_NS6detail17trampoline_kernelINS0_14default_configENS1_20scan_config_selectorIdEEZZNS1_9scan_implILNS1_25lookback_scan_determinismE0ELb0ELb0ES3_N6thrust23THRUST_200600_302600_NS6detail15normal_iteratorINS9_10device_ptrIdEEEESE_d11max_functorIdEdEEDaPvRmT3_T4_T5_mT6_P12ihipStream_tbENKUlT_T0_E_clISt17integral_constantIbLb1EESU_EEDaSP_SQ_EUlSP_E0_NS1_11comp_targetILNS1_3genE3ELNS1_11target_archE908ELNS1_3gpuE7ELNS1_3repE0EEENS1_30default_config_static_selectorELNS0_4arch9wavefront6targetE1EEEvT1_
    .private_segment_fixed_size: 0
    .sgpr_count:     4
    .sgpr_spill_count: 0
    .symbol:         _ZN7rocprim17ROCPRIM_400000_NS6detail17trampoline_kernelINS0_14default_configENS1_20scan_config_selectorIdEEZZNS1_9scan_implILNS1_25lookback_scan_determinismE0ELb0ELb0ES3_N6thrust23THRUST_200600_302600_NS6detail15normal_iteratorINS9_10device_ptrIdEEEESE_d11max_functorIdEdEEDaPvRmT3_T4_T5_mT6_P12ihipStream_tbENKUlT_T0_E_clISt17integral_constantIbLb1EESU_EEDaSP_SQ_EUlSP_E0_NS1_11comp_targetILNS1_3genE3ELNS1_11target_archE908ELNS1_3gpuE7ELNS1_3repE0EEENS1_30default_config_static_selectorELNS0_4arch9wavefront6targetE1EEEvT1_.kd
    .uniform_work_group_size: 1
    .uses_dynamic_stack: false
    .vgpr_count:     0
    .vgpr_spill_count: 0
    .wavefront_size: 64
  - .agpr_count:     0
    .args:
      - .offset:         0
        .size:           40
        .value_kind:     by_value
    .group_segment_fixed_size: 0
    .kernarg_segment_align: 8
    .kernarg_segment_size: 40
    .language:       OpenCL C
    .language_version:
      - 2
      - 0
    .max_flat_workgroup_size: 128
    .name:           _ZN7rocprim17ROCPRIM_400000_NS6detail17trampoline_kernelINS0_14default_configENS1_20scan_config_selectorIdEEZZNS1_9scan_implILNS1_25lookback_scan_determinismE0ELb0ELb0ES3_N6thrust23THRUST_200600_302600_NS6detail15normal_iteratorINS9_10device_ptrIdEEEESE_d11max_functorIdEdEEDaPvRmT3_T4_T5_mT6_P12ihipStream_tbENKUlT_T0_E_clISt17integral_constantIbLb1EESU_EEDaSP_SQ_EUlSP_E0_NS1_11comp_targetILNS1_3genE2ELNS1_11target_archE906ELNS1_3gpuE6ELNS1_3repE0EEENS1_30default_config_static_selectorELNS0_4arch9wavefront6targetE1EEEvT1_
    .private_segment_fixed_size: 0
    .sgpr_count:     4
    .sgpr_spill_count: 0
    .symbol:         _ZN7rocprim17ROCPRIM_400000_NS6detail17trampoline_kernelINS0_14default_configENS1_20scan_config_selectorIdEEZZNS1_9scan_implILNS1_25lookback_scan_determinismE0ELb0ELb0ES3_N6thrust23THRUST_200600_302600_NS6detail15normal_iteratorINS9_10device_ptrIdEEEESE_d11max_functorIdEdEEDaPvRmT3_T4_T5_mT6_P12ihipStream_tbENKUlT_T0_E_clISt17integral_constantIbLb1EESU_EEDaSP_SQ_EUlSP_E0_NS1_11comp_targetILNS1_3genE2ELNS1_11target_archE906ELNS1_3gpuE6ELNS1_3repE0EEENS1_30default_config_static_selectorELNS0_4arch9wavefront6targetE1EEEvT1_.kd
    .uniform_work_group_size: 1
    .uses_dynamic_stack: false
    .vgpr_count:     0
    .vgpr_spill_count: 0
    .wavefront_size: 64
  - .agpr_count:     0
    .args:
      - .offset:         0
        .size:           40
        .value_kind:     by_value
    .group_segment_fixed_size: 0
    .kernarg_segment_align: 8
    .kernarg_segment_size: 40
    .language:       OpenCL C
    .language_version:
      - 2
      - 0
    .max_flat_workgroup_size: 256
    .name:           _ZN7rocprim17ROCPRIM_400000_NS6detail17trampoline_kernelINS0_14default_configENS1_20scan_config_selectorIdEEZZNS1_9scan_implILNS1_25lookback_scan_determinismE0ELb0ELb0ES3_N6thrust23THRUST_200600_302600_NS6detail15normal_iteratorINS9_10device_ptrIdEEEESE_d11max_functorIdEdEEDaPvRmT3_T4_T5_mT6_P12ihipStream_tbENKUlT_T0_E_clISt17integral_constantIbLb1EESU_EEDaSP_SQ_EUlSP_E0_NS1_11comp_targetILNS1_3genE10ELNS1_11target_archE1201ELNS1_3gpuE5ELNS1_3repE0EEENS1_30default_config_static_selectorELNS0_4arch9wavefront6targetE1EEEvT1_
    .private_segment_fixed_size: 0
    .sgpr_count:     4
    .sgpr_spill_count: 0
    .symbol:         _ZN7rocprim17ROCPRIM_400000_NS6detail17trampoline_kernelINS0_14default_configENS1_20scan_config_selectorIdEEZZNS1_9scan_implILNS1_25lookback_scan_determinismE0ELb0ELb0ES3_N6thrust23THRUST_200600_302600_NS6detail15normal_iteratorINS9_10device_ptrIdEEEESE_d11max_functorIdEdEEDaPvRmT3_T4_T5_mT6_P12ihipStream_tbENKUlT_T0_E_clISt17integral_constantIbLb1EESU_EEDaSP_SQ_EUlSP_E0_NS1_11comp_targetILNS1_3genE10ELNS1_11target_archE1201ELNS1_3gpuE5ELNS1_3repE0EEENS1_30default_config_static_selectorELNS0_4arch9wavefront6targetE1EEEvT1_.kd
    .uniform_work_group_size: 1
    .uses_dynamic_stack: false
    .vgpr_count:     0
    .vgpr_spill_count: 0
    .wavefront_size: 64
  - .agpr_count:     0
    .args:
      - .offset:         0
        .size:           40
        .value_kind:     by_value
    .group_segment_fixed_size: 0
    .kernarg_segment_align: 8
    .kernarg_segment_size: 40
    .language:       OpenCL C
    .language_version:
      - 2
      - 0
    .max_flat_workgroup_size: 256
    .name:           _ZN7rocprim17ROCPRIM_400000_NS6detail17trampoline_kernelINS0_14default_configENS1_20scan_config_selectorIdEEZZNS1_9scan_implILNS1_25lookback_scan_determinismE0ELb0ELb0ES3_N6thrust23THRUST_200600_302600_NS6detail15normal_iteratorINS9_10device_ptrIdEEEESE_d11max_functorIdEdEEDaPvRmT3_T4_T5_mT6_P12ihipStream_tbENKUlT_T0_E_clISt17integral_constantIbLb1EESU_EEDaSP_SQ_EUlSP_E0_NS1_11comp_targetILNS1_3genE10ELNS1_11target_archE1200ELNS1_3gpuE4ELNS1_3repE0EEENS1_30default_config_static_selectorELNS0_4arch9wavefront6targetE1EEEvT1_
    .private_segment_fixed_size: 0
    .sgpr_count:     4
    .sgpr_spill_count: 0
    .symbol:         _ZN7rocprim17ROCPRIM_400000_NS6detail17trampoline_kernelINS0_14default_configENS1_20scan_config_selectorIdEEZZNS1_9scan_implILNS1_25lookback_scan_determinismE0ELb0ELb0ES3_N6thrust23THRUST_200600_302600_NS6detail15normal_iteratorINS9_10device_ptrIdEEEESE_d11max_functorIdEdEEDaPvRmT3_T4_T5_mT6_P12ihipStream_tbENKUlT_T0_E_clISt17integral_constantIbLb1EESU_EEDaSP_SQ_EUlSP_E0_NS1_11comp_targetILNS1_3genE10ELNS1_11target_archE1200ELNS1_3gpuE4ELNS1_3repE0EEENS1_30default_config_static_selectorELNS0_4arch9wavefront6targetE1EEEvT1_.kd
    .uniform_work_group_size: 1
    .uses_dynamic_stack: false
    .vgpr_count:     0
    .vgpr_spill_count: 0
    .wavefront_size: 64
  - .agpr_count:     0
    .args:
      - .offset:         0
        .size:           40
        .value_kind:     by_value
    .group_segment_fixed_size: 0
    .kernarg_segment_align: 8
    .kernarg_segment_size: 40
    .language:       OpenCL C
    .language_version:
      - 2
      - 0
    .max_flat_workgroup_size: 256
    .name:           _ZN7rocprim17ROCPRIM_400000_NS6detail17trampoline_kernelINS0_14default_configENS1_20scan_config_selectorIdEEZZNS1_9scan_implILNS1_25lookback_scan_determinismE0ELb0ELb0ES3_N6thrust23THRUST_200600_302600_NS6detail15normal_iteratorINS9_10device_ptrIdEEEESE_d11max_functorIdEdEEDaPvRmT3_T4_T5_mT6_P12ihipStream_tbENKUlT_T0_E_clISt17integral_constantIbLb1EESU_EEDaSP_SQ_EUlSP_E0_NS1_11comp_targetILNS1_3genE9ELNS1_11target_archE1100ELNS1_3gpuE3ELNS1_3repE0EEENS1_30default_config_static_selectorELNS0_4arch9wavefront6targetE1EEEvT1_
    .private_segment_fixed_size: 0
    .sgpr_count:     4
    .sgpr_spill_count: 0
    .symbol:         _ZN7rocprim17ROCPRIM_400000_NS6detail17trampoline_kernelINS0_14default_configENS1_20scan_config_selectorIdEEZZNS1_9scan_implILNS1_25lookback_scan_determinismE0ELb0ELb0ES3_N6thrust23THRUST_200600_302600_NS6detail15normal_iteratorINS9_10device_ptrIdEEEESE_d11max_functorIdEdEEDaPvRmT3_T4_T5_mT6_P12ihipStream_tbENKUlT_T0_E_clISt17integral_constantIbLb1EESU_EEDaSP_SQ_EUlSP_E0_NS1_11comp_targetILNS1_3genE9ELNS1_11target_archE1100ELNS1_3gpuE3ELNS1_3repE0EEENS1_30default_config_static_selectorELNS0_4arch9wavefront6targetE1EEEvT1_.kd
    .uniform_work_group_size: 1
    .uses_dynamic_stack: false
    .vgpr_count:     0
    .vgpr_spill_count: 0
    .wavefront_size: 64
  - .agpr_count:     0
    .args:
      - .offset:         0
        .size:           40
        .value_kind:     by_value
    .group_segment_fixed_size: 0
    .kernarg_segment_align: 8
    .kernarg_segment_size: 40
    .language:       OpenCL C
    .language_version:
      - 2
      - 0
    .max_flat_workgroup_size: 128
    .name:           _ZN7rocprim17ROCPRIM_400000_NS6detail17trampoline_kernelINS0_14default_configENS1_20scan_config_selectorIdEEZZNS1_9scan_implILNS1_25lookback_scan_determinismE0ELb0ELb0ES3_N6thrust23THRUST_200600_302600_NS6detail15normal_iteratorINS9_10device_ptrIdEEEESE_d11max_functorIdEdEEDaPvRmT3_T4_T5_mT6_P12ihipStream_tbENKUlT_T0_E_clISt17integral_constantIbLb1EESU_EEDaSP_SQ_EUlSP_E0_NS1_11comp_targetILNS1_3genE8ELNS1_11target_archE1030ELNS1_3gpuE2ELNS1_3repE0EEENS1_30default_config_static_selectorELNS0_4arch9wavefront6targetE1EEEvT1_
    .private_segment_fixed_size: 0
    .sgpr_count:     4
    .sgpr_spill_count: 0
    .symbol:         _ZN7rocprim17ROCPRIM_400000_NS6detail17trampoline_kernelINS0_14default_configENS1_20scan_config_selectorIdEEZZNS1_9scan_implILNS1_25lookback_scan_determinismE0ELb0ELb0ES3_N6thrust23THRUST_200600_302600_NS6detail15normal_iteratorINS9_10device_ptrIdEEEESE_d11max_functorIdEdEEDaPvRmT3_T4_T5_mT6_P12ihipStream_tbENKUlT_T0_E_clISt17integral_constantIbLb1EESU_EEDaSP_SQ_EUlSP_E0_NS1_11comp_targetILNS1_3genE8ELNS1_11target_archE1030ELNS1_3gpuE2ELNS1_3repE0EEENS1_30default_config_static_selectorELNS0_4arch9wavefront6targetE1EEEvT1_.kd
    .uniform_work_group_size: 1
    .uses_dynamic_stack: false
    .vgpr_count:     0
    .vgpr_spill_count: 0
    .wavefront_size: 64
  - .agpr_count:     0
    .args:
      - .address_space:  global
        .offset:         0
        .size:           8
        .value_kind:     global_buffer
      - .offset:         8
        .size:           4
        .value_kind:     by_value
      - .offset:         12
        .size:           1
        .value_kind:     by_value
      - .offset:         16
        .size:           4
        .value_kind:     by_value
      - .address_space:  global
        .offset:         24
        .size:           8
        .value_kind:     global_buffer
      - .offset:         32
        .size:           4
        .value_kind:     hidden_block_count_x
      - .offset:         36
        .size:           4
        .value_kind:     hidden_block_count_y
      - .offset:         40
        .size:           4
        .value_kind:     hidden_block_count_z
      - .offset:         44
        .size:           2
        .value_kind:     hidden_group_size_x
      - .offset:         46
        .size:           2
        .value_kind:     hidden_group_size_y
      - .offset:         48
        .size:           2
        .value_kind:     hidden_group_size_z
      - .offset:         50
        .size:           2
        .value_kind:     hidden_remainder_x
      - .offset:         52
        .size:           2
        .value_kind:     hidden_remainder_y
      - .offset:         54
        .size:           2
        .value_kind:     hidden_remainder_z
      - .offset:         72
        .size:           8
        .value_kind:     hidden_global_offset_x
      - .offset:         80
        .size:           8
        .value_kind:     hidden_global_offset_y
      - .offset:         88
        .size:           8
        .value_kind:     hidden_global_offset_z
      - .offset:         96
        .size:           2
        .value_kind:     hidden_grid_dims
    .group_segment_fixed_size: 0
    .kernarg_segment_align: 8
    .kernarg_segment_size: 288
    .language:       OpenCL C
    .language_version:
      - 2
      - 0
    .max_flat_workgroup_size: 256
    .name:           _ZN7rocprim17ROCPRIM_400000_NS6detail31init_lookback_scan_state_kernelINS1_19lookback_scan_stateIdLb1ELb1EEENS1_16block_id_wrapperIjLb0EEEEEvT_jT0_jPNS7_10value_typeE
    .private_segment_fixed_size: 0
    .sgpr_count:     18
    .sgpr_spill_count: 0
    .symbol:         _ZN7rocprim17ROCPRIM_400000_NS6detail31init_lookback_scan_state_kernelINS1_19lookback_scan_stateIdLb1ELb1EEENS1_16block_id_wrapperIjLb0EEEEEvT_jT0_jPNS7_10value_typeE.kd
    .uniform_work_group_size: 1
    .uses_dynamic_stack: false
    .vgpr_count:     10
    .vgpr_spill_count: 0
    .wavefront_size: 64
  - .agpr_count:     0
    .args:
      - .offset:         0
        .size:           104
        .value_kind:     by_value
    .group_segment_fixed_size: 0
    .kernarg_segment_align: 8
    .kernarg_segment_size: 104
    .language:       OpenCL C
    .language_version:
      - 2
      - 0
    .max_flat_workgroup_size: 256
    .name:           _ZN7rocprim17ROCPRIM_400000_NS6detail17trampoline_kernelINS0_14default_configENS1_20scan_config_selectorIdEEZZNS1_9scan_implILNS1_25lookback_scan_determinismE0ELb0ELb0ES3_N6thrust23THRUST_200600_302600_NS6detail15normal_iteratorINS9_10device_ptrIdEEEESE_d11max_functorIdEdEEDaPvRmT3_T4_T5_mT6_P12ihipStream_tbENKUlT_T0_E_clISt17integral_constantIbLb1EEST_IbLb0EEEEDaSP_SQ_EUlSP_E_NS1_11comp_targetILNS1_3genE0ELNS1_11target_archE4294967295ELNS1_3gpuE0ELNS1_3repE0EEENS1_30default_config_static_selectorELNS0_4arch9wavefront6targetE1EEEvT1_
    .private_segment_fixed_size: 0
    .sgpr_count:     4
    .sgpr_spill_count: 0
    .symbol:         _ZN7rocprim17ROCPRIM_400000_NS6detail17trampoline_kernelINS0_14default_configENS1_20scan_config_selectorIdEEZZNS1_9scan_implILNS1_25lookback_scan_determinismE0ELb0ELb0ES3_N6thrust23THRUST_200600_302600_NS6detail15normal_iteratorINS9_10device_ptrIdEEEESE_d11max_functorIdEdEEDaPvRmT3_T4_T5_mT6_P12ihipStream_tbENKUlT_T0_E_clISt17integral_constantIbLb1EEST_IbLb0EEEEDaSP_SQ_EUlSP_E_NS1_11comp_targetILNS1_3genE0ELNS1_11target_archE4294967295ELNS1_3gpuE0ELNS1_3repE0EEENS1_30default_config_static_selectorELNS0_4arch9wavefront6targetE1EEEvT1_.kd
    .uniform_work_group_size: 1
    .uses_dynamic_stack: false
    .vgpr_count:     0
    .vgpr_spill_count: 0
    .wavefront_size: 64
  - .agpr_count:     0
    .args:
      - .offset:         0
        .size:           104
        .value_kind:     by_value
    .group_segment_fixed_size: 0
    .kernarg_segment_align: 8
    .kernarg_segment_size: 104
    .language:       OpenCL C
    .language_version:
      - 2
      - 0
    .max_flat_workgroup_size: 256
    .name:           _ZN7rocprim17ROCPRIM_400000_NS6detail17trampoline_kernelINS0_14default_configENS1_20scan_config_selectorIdEEZZNS1_9scan_implILNS1_25lookback_scan_determinismE0ELb0ELb0ES3_N6thrust23THRUST_200600_302600_NS6detail15normal_iteratorINS9_10device_ptrIdEEEESE_d11max_functorIdEdEEDaPvRmT3_T4_T5_mT6_P12ihipStream_tbENKUlT_T0_E_clISt17integral_constantIbLb1EEST_IbLb0EEEEDaSP_SQ_EUlSP_E_NS1_11comp_targetILNS1_3genE5ELNS1_11target_archE942ELNS1_3gpuE9ELNS1_3repE0EEENS1_30default_config_static_selectorELNS0_4arch9wavefront6targetE1EEEvT1_
    .private_segment_fixed_size: 0
    .sgpr_count:     4
    .sgpr_spill_count: 0
    .symbol:         _ZN7rocprim17ROCPRIM_400000_NS6detail17trampoline_kernelINS0_14default_configENS1_20scan_config_selectorIdEEZZNS1_9scan_implILNS1_25lookback_scan_determinismE0ELb0ELb0ES3_N6thrust23THRUST_200600_302600_NS6detail15normal_iteratorINS9_10device_ptrIdEEEESE_d11max_functorIdEdEEDaPvRmT3_T4_T5_mT6_P12ihipStream_tbENKUlT_T0_E_clISt17integral_constantIbLb1EEST_IbLb0EEEEDaSP_SQ_EUlSP_E_NS1_11comp_targetILNS1_3genE5ELNS1_11target_archE942ELNS1_3gpuE9ELNS1_3repE0EEENS1_30default_config_static_selectorELNS0_4arch9wavefront6targetE1EEEvT1_.kd
    .uniform_work_group_size: 1
    .uses_dynamic_stack: false
    .vgpr_count:     0
    .vgpr_spill_count: 0
    .wavefront_size: 64
  - .agpr_count:     0
    .args:
      - .offset:         0
        .size:           104
        .value_kind:     by_value
    .group_segment_fixed_size: 10240
    .kernarg_segment_align: 8
    .kernarg_segment_size: 104
    .language:       OpenCL C
    .language_version:
      - 2
      - 0
    .max_flat_workgroup_size: 128
    .name:           _ZN7rocprim17ROCPRIM_400000_NS6detail17trampoline_kernelINS0_14default_configENS1_20scan_config_selectorIdEEZZNS1_9scan_implILNS1_25lookback_scan_determinismE0ELb0ELb0ES3_N6thrust23THRUST_200600_302600_NS6detail15normal_iteratorINS9_10device_ptrIdEEEESE_d11max_functorIdEdEEDaPvRmT3_T4_T5_mT6_P12ihipStream_tbENKUlT_T0_E_clISt17integral_constantIbLb1EEST_IbLb0EEEEDaSP_SQ_EUlSP_E_NS1_11comp_targetILNS1_3genE4ELNS1_11target_archE910ELNS1_3gpuE8ELNS1_3repE0EEENS1_30default_config_static_selectorELNS0_4arch9wavefront6targetE1EEEvT1_
    .private_segment_fixed_size: 0
    .sgpr_count:     30
    .sgpr_spill_count: 0
    .symbol:         _ZN7rocprim17ROCPRIM_400000_NS6detail17trampoline_kernelINS0_14default_configENS1_20scan_config_selectorIdEEZZNS1_9scan_implILNS1_25lookback_scan_determinismE0ELb0ELb0ES3_N6thrust23THRUST_200600_302600_NS6detail15normal_iteratorINS9_10device_ptrIdEEEESE_d11max_functorIdEdEEDaPvRmT3_T4_T5_mT6_P12ihipStream_tbENKUlT_T0_E_clISt17integral_constantIbLb1EEST_IbLb0EEEEDaSP_SQ_EUlSP_E_NS1_11comp_targetILNS1_3genE4ELNS1_11target_archE910ELNS1_3gpuE8ELNS1_3repE0EEENS1_30default_config_static_selectorELNS0_4arch9wavefront6targetE1EEEvT1_.kd
    .uniform_work_group_size: 1
    .uses_dynamic_stack: false
    .vgpr_count:     58
    .vgpr_spill_count: 0
    .wavefront_size: 64
  - .agpr_count:     0
    .args:
      - .offset:         0
        .size:           104
        .value_kind:     by_value
    .group_segment_fixed_size: 0
    .kernarg_segment_align: 8
    .kernarg_segment_size: 104
    .language:       OpenCL C
    .language_version:
      - 2
      - 0
    .max_flat_workgroup_size: 256
    .name:           _ZN7rocprim17ROCPRIM_400000_NS6detail17trampoline_kernelINS0_14default_configENS1_20scan_config_selectorIdEEZZNS1_9scan_implILNS1_25lookback_scan_determinismE0ELb0ELb0ES3_N6thrust23THRUST_200600_302600_NS6detail15normal_iteratorINS9_10device_ptrIdEEEESE_d11max_functorIdEdEEDaPvRmT3_T4_T5_mT6_P12ihipStream_tbENKUlT_T0_E_clISt17integral_constantIbLb1EEST_IbLb0EEEEDaSP_SQ_EUlSP_E_NS1_11comp_targetILNS1_3genE3ELNS1_11target_archE908ELNS1_3gpuE7ELNS1_3repE0EEENS1_30default_config_static_selectorELNS0_4arch9wavefront6targetE1EEEvT1_
    .private_segment_fixed_size: 0
    .sgpr_count:     4
    .sgpr_spill_count: 0
    .symbol:         _ZN7rocprim17ROCPRIM_400000_NS6detail17trampoline_kernelINS0_14default_configENS1_20scan_config_selectorIdEEZZNS1_9scan_implILNS1_25lookback_scan_determinismE0ELb0ELb0ES3_N6thrust23THRUST_200600_302600_NS6detail15normal_iteratorINS9_10device_ptrIdEEEESE_d11max_functorIdEdEEDaPvRmT3_T4_T5_mT6_P12ihipStream_tbENKUlT_T0_E_clISt17integral_constantIbLb1EEST_IbLb0EEEEDaSP_SQ_EUlSP_E_NS1_11comp_targetILNS1_3genE3ELNS1_11target_archE908ELNS1_3gpuE7ELNS1_3repE0EEENS1_30default_config_static_selectorELNS0_4arch9wavefront6targetE1EEEvT1_.kd
    .uniform_work_group_size: 1
    .uses_dynamic_stack: false
    .vgpr_count:     0
    .vgpr_spill_count: 0
    .wavefront_size: 64
  - .agpr_count:     0
    .args:
      - .offset:         0
        .size:           104
        .value_kind:     by_value
    .group_segment_fixed_size: 0
    .kernarg_segment_align: 8
    .kernarg_segment_size: 104
    .language:       OpenCL C
    .language_version:
      - 2
      - 0
    .max_flat_workgroup_size: 128
    .name:           _ZN7rocprim17ROCPRIM_400000_NS6detail17trampoline_kernelINS0_14default_configENS1_20scan_config_selectorIdEEZZNS1_9scan_implILNS1_25lookback_scan_determinismE0ELb0ELb0ES3_N6thrust23THRUST_200600_302600_NS6detail15normal_iteratorINS9_10device_ptrIdEEEESE_d11max_functorIdEdEEDaPvRmT3_T4_T5_mT6_P12ihipStream_tbENKUlT_T0_E_clISt17integral_constantIbLb1EEST_IbLb0EEEEDaSP_SQ_EUlSP_E_NS1_11comp_targetILNS1_3genE2ELNS1_11target_archE906ELNS1_3gpuE6ELNS1_3repE0EEENS1_30default_config_static_selectorELNS0_4arch9wavefront6targetE1EEEvT1_
    .private_segment_fixed_size: 0
    .sgpr_count:     4
    .sgpr_spill_count: 0
    .symbol:         _ZN7rocprim17ROCPRIM_400000_NS6detail17trampoline_kernelINS0_14default_configENS1_20scan_config_selectorIdEEZZNS1_9scan_implILNS1_25lookback_scan_determinismE0ELb0ELb0ES3_N6thrust23THRUST_200600_302600_NS6detail15normal_iteratorINS9_10device_ptrIdEEEESE_d11max_functorIdEdEEDaPvRmT3_T4_T5_mT6_P12ihipStream_tbENKUlT_T0_E_clISt17integral_constantIbLb1EEST_IbLb0EEEEDaSP_SQ_EUlSP_E_NS1_11comp_targetILNS1_3genE2ELNS1_11target_archE906ELNS1_3gpuE6ELNS1_3repE0EEENS1_30default_config_static_selectorELNS0_4arch9wavefront6targetE1EEEvT1_.kd
    .uniform_work_group_size: 1
    .uses_dynamic_stack: false
    .vgpr_count:     0
    .vgpr_spill_count: 0
    .wavefront_size: 64
  - .agpr_count:     0
    .args:
      - .offset:         0
        .size:           104
        .value_kind:     by_value
    .group_segment_fixed_size: 0
    .kernarg_segment_align: 8
    .kernarg_segment_size: 104
    .language:       OpenCL C
    .language_version:
      - 2
      - 0
    .max_flat_workgroup_size: 256
    .name:           _ZN7rocprim17ROCPRIM_400000_NS6detail17trampoline_kernelINS0_14default_configENS1_20scan_config_selectorIdEEZZNS1_9scan_implILNS1_25lookback_scan_determinismE0ELb0ELb0ES3_N6thrust23THRUST_200600_302600_NS6detail15normal_iteratorINS9_10device_ptrIdEEEESE_d11max_functorIdEdEEDaPvRmT3_T4_T5_mT6_P12ihipStream_tbENKUlT_T0_E_clISt17integral_constantIbLb1EEST_IbLb0EEEEDaSP_SQ_EUlSP_E_NS1_11comp_targetILNS1_3genE10ELNS1_11target_archE1201ELNS1_3gpuE5ELNS1_3repE0EEENS1_30default_config_static_selectorELNS0_4arch9wavefront6targetE1EEEvT1_
    .private_segment_fixed_size: 0
    .sgpr_count:     4
    .sgpr_spill_count: 0
    .symbol:         _ZN7rocprim17ROCPRIM_400000_NS6detail17trampoline_kernelINS0_14default_configENS1_20scan_config_selectorIdEEZZNS1_9scan_implILNS1_25lookback_scan_determinismE0ELb0ELb0ES3_N6thrust23THRUST_200600_302600_NS6detail15normal_iteratorINS9_10device_ptrIdEEEESE_d11max_functorIdEdEEDaPvRmT3_T4_T5_mT6_P12ihipStream_tbENKUlT_T0_E_clISt17integral_constantIbLb1EEST_IbLb0EEEEDaSP_SQ_EUlSP_E_NS1_11comp_targetILNS1_3genE10ELNS1_11target_archE1201ELNS1_3gpuE5ELNS1_3repE0EEENS1_30default_config_static_selectorELNS0_4arch9wavefront6targetE1EEEvT1_.kd
    .uniform_work_group_size: 1
    .uses_dynamic_stack: false
    .vgpr_count:     0
    .vgpr_spill_count: 0
    .wavefront_size: 64
  - .agpr_count:     0
    .args:
      - .offset:         0
        .size:           104
        .value_kind:     by_value
    .group_segment_fixed_size: 0
    .kernarg_segment_align: 8
    .kernarg_segment_size: 104
    .language:       OpenCL C
    .language_version:
      - 2
      - 0
    .max_flat_workgroup_size: 256
    .name:           _ZN7rocprim17ROCPRIM_400000_NS6detail17trampoline_kernelINS0_14default_configENS1_20scan_config_selectorIdEEZZNS1_9scan_implILNS1_25lookback_scan_determinismE0ELb0ELb0ES3_N6thrust23THRUST_200600_302600_NS6detail15normal_iteratorINS9_10device_ptrIdEEEESE_d11max_functorIdEdEEDaPvRmT3_T4_T5_mT6_P12ihipStream_tbENKUlT_T0_E_clISt17integral_constantIbLb1EEST_IbLb0EEEEDaSP_SQ_EUlSP_E_NS1_11comp_targetILNS1_3genE10ELNS1_11target_archE1200ELNS1_3gpuE4ELNS1_3repE0EEENS1_30default_config_static_selectorELNS0_4arch9wavefront6targetE1EEEvT1_
    .private_segment_fixed_size: 0
    .sgpr_count:     4
    .sgpr_spill_count: 0
    .symbol:         _ZN7rocprim17ROCPRIM_400000_NS6detail17trampoline_kernelINS0_14default_configENS1_20scan_config_selectorIdEEZZNS1_9scan_implILNS1_25lookback_scan_determinismE0ELb0ELb0ES3_N6thrust23THRUST_200600_302600_NS6detail15normal_iteratorINS9_10device_ptrIdEEEESE_d11max_functorIdEdEEDaPvRmT3_T4_T5_mT6_P12ihipStream_tbENKUlT_T0_E_clISt17integral_constantIbLb1EEST_IbLb0EEEEDaSP_SQ_EUlSP_E_NS1_11comp_targetILNS1_3genE10ELNS1_11target_archE1200ELNS1_3gpuE4ELNS1_3repE0EEENS1_30default_config_static_selectorELNS0_4arch9wavefront6targetE1EEEvT1_.kd
    .uniform_work_group_size: 1
    .uses_dynamic_stack: false
    .vgpr_count:     0
    .vgpr_spill_count: 0
    .wavefront_size: 64
  - .agpr_count:     0
    .args:
      - .offset:         0
        .size:           104
        .value_kind:     by_value
    .group_segment_fixed_size: 0
    .kernarg_segment_align: 8
    .kernarg_segment_size: 104
    .language:       OpenCL C
    .language_version:
      - 2
      - 0
    .max_flat_workgroup_size: 256
    .name:           _ZN7rocprim17ROCPRIM_400000_NS6detail17trampoline_kernelINS0_14default_configENS1_20scan_config_selectorIdEEZZNS1_9scan_implILNS1_25lookback_scan_determinismE0ELb0ELb0ES3_N6thrust23THRUST_200600_302600_NS6detail15normal_iteratorINS9_10device_ptrIdEEEESE_d11max_functorIdEdEEDaPvRmT3_T4_T5_mT6_P12ihipStream_tbENKUlT_T0_E_clISt17integral_constantIbLb1EEST_IbLb0EEEEDaSP_SQ_EUlSP_E_NS1_11comp_targetILNS1_3genE9ELNS1_11target_archE1100ELNS1_3gpuE3ELNS1_3repE0EEENS1_30default_config_static_selectorELNS0_4arch9wavefront6targetE1EEEvT1_
    .private_segment_fixed_size: 0
    .sgpr_count:     4
    .sgpr_spill_count: 0
    .symbol:         _ZN7rocprim17ROCPRIM_400000_NS6detail17trampoline_kernelINS0_14default_configENS1_20scan_config_selectorIdEEZZNS1_9scan_implILNS1_25lookback_scan_determinismE0ELb0ELb0ES3_N6thrust23THRUST_200600_302600_NS6detail15normal_iteratorINS9_10device_ptrIdEEEESE_d11max_functorIdEdEEDaPvRmT3_T4_T5_mT6_P12ihipStream_tbENKUlT_T0_E_clISt17integral_constantIbLb1EEST_IbLb0EEEEDaSP_SQ_EUlSP_E_NS1_11comp_targetILNS1_3genE9ELNS1_11target_archE1100ELNS1_3gpuE3ELNS1_3repE0EEENS1_30default_config_static_selectorELNS0_4arch9wavefront6targetE1EEEvT1_.kd
    .uniform_work_group_size: 1
    .uses_dynamic_stack: false
    .vgpr_count:     0
    .vgpr_spill_count: 0
    .wavefront_size: 64
  - .agpr_count:     0
    .args:
      - .offset:         0
        .size:           104
        .value_kind:     by_value
    .group_segment_fixed_size: 0
    .kernarg_segment_align: 8
    .kernarg_segment_size: 104
    .language:       OpenCL C
    .language_version:
      - 2
      - 0
    .max_flat_workgroup_size: 128
    .name:           _ZN7rocprim17ROCPRIM_400000_NS6detail17trampoline_kernelINS0_14default_configENS1_20scan_config_selectorIdEEZZNS1_9scan_implILNS1_25lookback_scan_determinismE0ELb0ELb0ES3_N6thrust23THRUST_200600_302600_NS6detail15normal_iteratorINS9_10device_ptrIdEEEESE_d11max_functorIdEdEEDaPvRmT3_T4_T5_mT6_P12ihipStream_tbENKUlT_T0_E_clISt17integral_constantIbLb1EEST_IbLb0EEEEDaSP_SQ_EUlSP_E_NS1_11comp_targetILNS1_3genE8ELNS1_11target_archE1030ELNS1_3gpuE2ELNS1_3repE0EEENS1_30default_config_static_selectorELNS0_4arch9wavefront6targetE1EEEvT1_
    .private_segment_fixed_size: 0
    .sgpr_count:     4
    .sgpr_spill_count: 0
    .symbol:         _ZN7rocprim17ROCPRIM_400000_NS6detail17trampoline_kernelINS0_14default_configENS1_20scan_config_selectorIdEEZZNS1_9scan_implILNS1_25lookback_scan_determinismE0ELb0ELb0ES3_N6thrust23THRUST_200600_302600_NS6detail15normal_iteratorINS9_10device_ptrIdEEEESE_d11max_functorIdEdEEDaPvRmT3_T4_T5_mT6_P12ihipStream_tbENKUlT_T0_E_clISt17integral_constantIbLb1EEST_IbLb0EEEEDaSP_SQ_EUlSP_E_NS1_11comp_targetILNS1_3genE8ELNS1_11target_archE1030ELNS1_3gpuE2ELNS1_3repE0EEENS1_30default_config_static_selectorELNS0_4arch9wavefront6targetE1EEEvT1_.kd
    .uniform_work_group_size: 1
    .uses_dynamic_stack: false
    .vgpr_count:     0
    .vgpr_spill_count: 0
    .wavefront_size: 64
  - .agpr_count:     0
    .args:
      - .offset:         0
        .size:           40
        .value_kind:     by_value
    .group_segment_fixed_size: 0
    .kernarg_segment_align: 8
    .kernarg_segment_size: 40
    .language:       OpenCL C
    .language_version:
      - 2
      - 0
    .max_flat_workgroup_size: 256
    .name:           _ZN7rocprim17ROCPRIM_400000_NS6detail17trampoline_kernelINS0_14default_configENS1_20scan_config_selectorIdEEZZNS1_9scan_implILNS1_25lookback_scan_determinismE0ELb0ELb0ES3_N6thrust23THRUST_200600_302600_NS6detail15normal_iteratorINS9_10device_ptrIdEEEESE_d11max_functorIdEdEEDaPvRmT3_T4_T5_mT6_P12ihipStream_tbENKUlT_T0_E_clISt17integral_constantIbLb1EEST_IbLb0EEEEDaSP_SQ_EUlSP_E0_NS1_11comp_targetILNS1_3genE0ELNS1_11target_archE4294967295ELNS1_3gpuE0ELNS1_3repE0EEENS1_30default_config_static_selectorELNS0_4arch9wavefront6targetE1EEEvT1_
    .private_segment_fixed_size: 0
    .sgpr_count:     4
    .sgpr_spill_count: 0
    .symbol:         _ZN7rocprim17ROCPRIM_400000_NS6detail17trampoline_kernelINS0_14default_configENS1_20scan_config_selectorIdEEZZNS1_9scan_implILNS1_25lookback_scan_determinismE0ELb0ELb0ES3_N6thrust23THRUST_200600_302600_NS6detail15normal_iteratorINS9_10device_ptrIdEEEESE_d11max_functorIdEdEEDaPvRmT3_T4_T5_mT6_P12ihipStream_tbENKUlT_T0_E_clISt17integral_constantIbLb1EEST_IbLb0EEEEDaSP_SQ_EUlSP_E0_NS1_11comp_targetILNS1_3genE0ELNS1_11target_archE4294967295ELNS1_3gpuE0ELNS1_3repE0EEENS1_30default_config_static_selectorELNS0_4arch9wavefront6targetE1EEEvT1_.kd
    .uniform_work_group_size: 1
    .uses_dynamic_stack: false
    .vgpr_count:     0
    .vgpr_spill_count: 0
    .wavefront_size: 64
  - .agpr_count:     0
    .args:
      - .offset:         0
        .size:           40
        .value_kind:     by_value
    .group_segment_fixed_size: 0
    .kernarg_segment_align: 8
    .kernarg_segment_size: 40
    .language:       OpenCL C
    .language_version:
      - 2
      - 0
    .max_flat_workgroup_size: 256
    .name:           _ZN7rocprim17ROCPRIM_400000_NS6detail17trampoline_kernelINS0_14default_configENS1_20scan_config_selectorIdEEZZNS1_9scan_implILNS1_25lookback_scan_determinismE0ELb0ELb0ES3_N6thrust23THRUST_200600_302600_NS6detail15normal_iteratorINS9_10device_ptrIdEEEESE_d11max_functorIdEdEEDaPvRmT3_T4_T5_mT6_P12ihipStream_tbENKUlT_T0_E_clISt17integral_constantIbLb1EEST_IbLb0EEEEDaSP_SQ_EUlSP_E0_NS1_11comp_targetILNS1_3genE5ELNS1_11target_archE942ELNS1_3gpuE9ELNS1_3repE0EEENS1_30default_config_static_selectorELNS0_4arch9wavefront6targetE1EEEvT1_
    .private_segment_fixed_size: 0
    .sgpr_count:     4
    .sgpr_spill_count: 0
    .symbol:         _ZN7rocprim17ROCPRIM_400000_NS6detail17trampoline_kernelINS0_14default_configENS1_20scan_config_selectorIdEEZZNS1_9scan_implILNS1_25lookback_scan_determinismE0ELb0ELb0ES3_N6thrust23THRUST_200600_302600_NS6detail15normal_iteratorINS9_10device_ptrIdEEEESE_d11max_functorIdEdEEDaPvRmT3_T4_T5_mT6_P12ihipStream_tbENKUlT_T0_E_clISt17integral_constantIbLb1EEST_IbLb0EEEEDaSP_SQ_EUlSP_E0_NS1_11comp_targetILNS1_3genE5ELNS1_11target_archE942ELNS1_3gpuE9ELNS1_3repE0EEENS1_30default_config_static_selectorELNS0_4arch9wavefront6targetE1EEEvT1_.kd
    .uniform_work_group_size: 1
    .uses_dynamic_stack: false
    .vgpr_count:     0
    .vgpr_spill_count: 0
    .wavefront_size: 64
  - .agpr_count:     0
    .args:
      - .offset:         0
        .size:           40
        .value_kind:     by_value
    .group_segment_fixed_size: 10240
    .kernarg_segment_align: 8
    .kernarg_segment_size: 40
    .language:       OpenCL C
    .language_version:
      - 2
      - 0
    .max_flat_workgroup_size: 128
    .name:           _ZN7rocprim17ROCPRIM_400000_NS6detail17trampoline_kernelINS0_14default_configENS1_20scan_config_selectorIdEEZZNS1_9scan_implILNS1_25lookback_scan_determinismE0ELb0ELb0ES3_N6thrust23THRUST_200600_302600_NS6detail15normal_iteratorINS9_10device_ptrIdEEEESE_d11max_functorIdEdEEDaPvRmT3_T4_T5_mT6_P12ihipStream_tbENKUlT_T0_E_clISt17integral_constantIbLb1EEST_IbLb0EEEEDaSP_SQ_EUlSP_E0_NS1_11comp_targetILNS1_3genE4ELNS1_11target_archE910ELNS1_3gpuE8ELNS1_3repE0EEENS1_30default_config_static_selectorELNS0_4arch9wavefront6targetE1EEEvT1_
    .private_segment_fixed_size: 0
    .sgpr_count:     30
    .sgpr_spill_count: 0
    .symbol:         _ZN7rocprim17ROCPRIM_400000_NS6detail17trampoline_kernelINS0_14default_configENS1_20scan_config_selectorIdEEZZNS1_9scan_implILNS1_25lookback_scan_determinismE0ELb0ELb0ES3_N6thrust23THRUST_200600_302600_NS6detail15normal_iteratorINS9_10device_ptrIdEEEESE_d11max_functorIdEdEEDaPvRmT3_T4_T5_mT6_P12ihipStream_tbENKUlT_T0_E_clISt17integral_constantIbLb1EEST_IbLb0EEEEDaSP_SQ_EUlSP_E0_NS1_11comp_targetILNS1_3genE4ELNS1_11target_archE910ELNS1_3gpuE8ELNS1_3repE0EEENS1_30default_config_static_selectorELNS0_4arch9wavefront6targetE1EEEvT1_.kd
    .uniform_work_group_size: 1
    .uses_dynamic_stack: false
    .vgpr_count:     33
    .vgpr_spill_count: 0
    .wavefront_size: 64
  - .agpr_count:     0
    .args:
      - .offset:         0
        .size:           40
        .value_kind:     by_value
    .group_segment_fixed_size: 0
    .kernarg_segment_align: 8
    .kernarg_segment_size: 40
    .language:       OpenCL C
    .language_version:
      - 2
      - 0
    .max_flat_workgroup_size: 256
    .name:           _ZN7rocprim17ROCPRIM_400000_NS6detail17trampoline_kernelINS0_14default_configENS1_20scan_config_selectorIdEEZZNS1_9scan_implILNS1_25lookback_scan_determinismE0ELb0ELb0ES3_N6thrust23THRUST_200600_302600_NS6detail15normal_iteratorINS9_10device_ptrIdEEEESE_d11max_functorIdEdEEDaPvRmT3_T4_T5_mT6_P12ihipStream_tbENKUlT_T0_E_clISt17integral_constantIbLb1EEST_IbLb0EEEEDaSP_SQ_EUlSP_E0_NS1_11comp_targetILNS1_3genE3ELNS1_11target_archE908ELNS1_3gpuE7ELNS1_3repE0EEENS1_30default_config_static_selectorELNS0_4arch9wavefront6targetE1EEEvT1_
    .private_segment_fixed_size: 0
    .sgpr_count:     4
    .sgpr_spill_count: 0
    .symbol:         _ZN7rocprim17ROCPRIM_400000_NS6detail17trampoline_kernelINS0_14default_configENS1_20scan_config_selectorIdEEZZNS1_9scan_implILNS1_25lookback_scan_determinismE0ELb0ELb0ES3_N6thrust23THRUST_200600_302600_NS6detail15normal_iteratorINS9_10device_ptrIdEEEESE_d11max_functorIdEdEEDaPvRmT3_T4_T5_mT6_P12ihipStream_tbENKUlT_T0_E_clISt17integral_constantIbLb1EEST_IbLb0EEEEDaSP_SQ_EUlSP_E0_NS1_11comp_targetILNS1_3genE3ELNS1_11target_archE908ELNS1_3gpuE7ELNS1_3repE0EEENS1_30default_config_static_selectorELNS0_4arch9wavefront6targetE1EEEvT1_.kd
    .uniform_work_group_size: 1
    .uses_dynamic_stack: false
    .vgpr_count:     0
    .vgpr_spill_count: 0
    .wavefront_size: 64
  - .agpr_count:     0
    .args:
      - .offset:         0
        .size:           40
        .value_kind:     by_value
    .group_segment_fixed_size: 0
    .kernarg_segment_align: 8
    .kernarg_segment_size: 40
    .language:       OpenCL C
    .language_version:
      - 2
      - 0
    .max_flat_workgroup_size: 128
    .name:           _ZN7rocprim17ROCPRIM_400000_NS6detail17trampoline_kernelINS0_14default_configENS1_20scan_config_selectorIdEEZZNS1_9scan_implILNS1_25lookback_scan_determinismE0ELb0ELb0ES3_N6thrust23THRUST_200600_302600_NS6detail15normal_iteratorINS9_10device_ptrIdEEEESE_d11max_functorIdEdEEDaPvRmT3_T4_T5_mT6_P12ihipStream_tbENKUlT_T0_E_clISt17integral_constantIbLb1EEST_IbLb0EEEEDaSP_SQ_EUlSP_E0_NS1_11comp_targetILNS1_3genE2ELNS1_11target_archE906ELNS1_3gpuE6ELNS1_3repE0EEENS1_30default_config_static_selectorELNS0_4arch9wavefront6targetE1EEEvT1_
    .private_segment_fixed_size: 0
    .sgpr_count:     4
    .sgpr_spill_count: 0
    .symbol:         _ZN7rocprim17ROCPRIM_400000_NS6detail17trampoline_kernelINS0_14default_configENS1_20scan_config_selectorIdEEZZNS1_9scan_implILNS1_25lookback_scan_determinismE0ELb0ELb0ES3_N6thrust23THRUST_200600_302600_NS6detail15normal_iteratorINS9_10device_ptrIdEEEESE_d11max_functorIdEdEEDaPvRmT3_T4_T5_mT6_P12ihipStream_tbENKUlT_T0_E_clISt17integral_constantIbLb1EEST_IbLb0EEEEDaSP_SQ_EUlSP_E0_NS1_11comp_targetILNS1_3genE2ELNS1_11target_archE906ELNS1_3gpuE6ELNS1_3repE0EEENS1_30default_config_static_selectorELNS0_4arch9wavefront6targetE1EEEvT1_.kd
    .uniform_work_group_size: 1
    .uses_dynamic_stack: false
    .vgpr_count:     0
    .vgpr_spill_count: 0
    .wavefront_size: 64
  - .agpr_count:     0
    .args:
      - .offset:         0
        .size:           40
        .value_kind:     by_value
    .group_segment_fixed_size: 0
    .kernarg_segment_align: 8
    .kernarg_segment_size: 40
    .language:       OpenCL C
    .language_version:
      - 2
      - 0
    .max_flat_workgroup_size: 256
    .name:           _ZN7rocprim17ROCPRIM_400000_NS6detail17trampoline_kernelINS0_14default_configENS1_20scan_config_selectorIdEEZZNS1_9scan_implILNS1_25lookback_scan_determinismE0ELb0ELb0ES3_N6thrust23THRUST_200600_302600_NS6detail15normal_iteratorINS9_10device_ptrIdEEEESE_d11max_functorIdEdEEDaPvRmT3_T4_T5_mT6_P12ihipStream_tbENKUlT_T0_E_clISt17integral_constantIbLb1EEST_IbLb0EEEEDaSP_SQ_EUlSP_E0_NS1_11comp_targetILNS1_3genE10ELNS1_11target_archE1201ELNS1_3gpuE5ELNS1_3repE0EEENS1_30default_config_static_selectorELNS0_4arch9wavefront6targetE1EEEvT1_
    .private_segment_fixed_size: 0
    .sgpr_count:     4
    .sgpr_spill_count: 0
    .symbol:         _ZN7rocprim17ROCPRIM_400000_NS6detail17trampoline_kernelINS0_14default_configENS1_20scan_config_selectorIdEEZZNS1_9scan_implILNS1_25lookback_scan_determinismE0ELb0ELb0ES3_N6thrust23THRUST_200600_302600_NS6detail15normal_iteratorINS9_10device_ptrIdEEEESE_d11max_functorIdEdEEDaPvRmT3_T4_T5_mT6_P12ihipStream_tbENKUlT_T0_E_clISt17integral_constantIbLb1EEST_IbLb0EEEEDaSP_SQ_EUlSP_E0_NS1_11comp_targetILNS1_3genE10ELNS1_11target_archE1201ELNS1_3gpuE5ELNS1_3repE0EEENS1_30default_config_static_selectorELNS0_4arch9wavefront6targetE1EEEvT1_.kd
    .uniform_work_group_size: 1
    .uses_dynamic_stack: false
    .vgpr_count:     0
    .vgpr_spill_count: 0
    .wavefront_size: 64
  - .agpr_count:     0
    .args:
      - .offset:         0
        .size:           40
        .value_kind:     by_value
    .group_segment_fixed_size: 0
    .kernarg_segment_align: 8
    .kernarg_segment_size: 40
    .language:       OpenCL C
    .language_version:
      - 2
      - 0
    .max_flat_workgroup_size: 256
    .name:           _ZN7rocprim17ROCPRIM_400000_NS6detail17trampoline_kernelINS0_14default_configENS1_20scan_config_selectorIdEEZZNS1_9scan_implILNS1_25lookback_scan_determinismE0ELb0ELb0ES3_N6thrust23THRUST_200600_302600_NS6detail15normal_iteratorINS9_10device_ptrIdEEEESE_d11max_functorIdEdEEDaPvRmT3_T4_T5_mT6_P12ihipStream_tbENKUlT_T0_E_clISt17integral_constantIbLb1EEST_IbLb0EEEEDaSP_SQ_EUlSP_E0_NS1_11comp_targetILNS1_3genE10ELNS1_11target_archE1200ELNS1_3gpuE4ELNS1_3repE0EEENS1_30default_config_static_selectorELNS0_4arch9wavefront6targetE1EEEvT1_
    .private_segment_fixed_size: 0
    .sgpr_count:     4
    .sgpr_spill_count: 0
    .symbol:         _ZN7rocprim17ROCPRIM_400000_NS6detail17trampoline_kernelINS0_14default_configENS1_20scan_config_selectorIdEEZZNS1_9scan_implILNS1_25lookback_scan_determinismE0ELb0ELb0ES3_N6thrust23THRUST_200600_302600_NS6detail15normal_iteratorINS9_10device_ptrIdEEEESE_d11max_functorIdEdEEDaPvRmT3_T4_T5_mT6_P12ihipStream_tbENKUlT_T0_E_clISt17integral_constantIbLb1EEST_IbLb0EEEEDaSP_SQ_EUlSP_E0_NS1_11comp_targetILNS1_3genE10ELNS1_11target_archE1200ELNS1_3gpuE4ELNS1_3repE0EEENS1_30default_config_static_selectorELNS0_4arch9wavefront6targetE1EEEvT1_.kd
    .uniform_work_group_size: 1
    .uses_dynamic_stack: false
    .vgpr_count:     0
    .vgpr_spill_count: 0
    .wavefront_size: 64
  - .agpr_count:     0
    .args:
      - .offset:         0
        .size:           40
        .value_kind:     by_value
    .group_segment_fixed_size: 0
    .kernarg_segment_align: 8
    .kernarg_segment_size: 40
    .language:       OpenCL C
    .language_version:
      - 2
      - 0
    .max_flat_workgroup_size: 256
    .name:           _ZN7rocprim17ROCPRIM_400000_NS6detail17trampoline_kernelINS0_14default_configENS1_20scan_config_selectorIdEEZZNS1_9scan_implILNS1_25lookback_scan_determinismE0ELb0ELb0ES3_N6thrust23THRUST_200600_302600_NS6detail15normal_iteratorINS9_10device_ptrIdEEEESE_d11max_functorIdEdEEDaPvRmT3_T4_T5_mT6_P12ihipStream_tbENKUlT_T0_E_clISt17integral_constantIbLb1EEST_IbLb0EEEEDaSP_SQ_EUlSP_E0_NS1_11comp_targetILNS1_3genE9ELNS1_11target_archE1100ELNS1_3gpuE3ELNS1_3repE0EEENS1_30default_config_static_selectorELNS0_4arch9wavefront6targetE1EEEvT1_
    .private_segment_fixed_size: 0
    .sgpr_count:     4
    .sgpr_spill_count: 0
    .symbol:         _ZN7rocprim17ROCPRIM_400000_NS6detail17trampoline_kernelINS0_14default_configENS1_20scan_config_selectorIdEEZZNS1_9scan_implILNS1_25lookback_scan_determinismE0ELb0ELb0ES3_N6thrust23THRUST_200600_302600_NS6detail15normal_iteratorINS9_10device_ptrIdEEEESE_d11max_functorIdEdEEDaPvRmT3_T4_T5_mT6_P12ihipStream_tbENKUlT_T0_E_clISt17integral_constantIbLb1EEST_IbLb0EEEEDaSP_SQ_EUlSP_E0_NS1_11comp_targetILNS1_3genE9ELNS1_11target_archE1100ELNS1_3gpuE3ELNS1_3repE0EEENS1_30default_config_static_selectorELNS0_4arch9wavefront6targetE1EEEvT1_.kd
    .uniform_work_group_size: 1
    .uses_dynamic_stack: false
    .vgpr_count:     0
    .vgpr_spill_count: 0
    .wavefront_size: 64
  - .agpr_count:     0
    .args:
      - .offset:         0
        .size:           40
        .value_kind:     by_value
    .group_segment_fixed_size: 0
    .kernarg_segment_align: 8
    .kernarg_segment_size: 40
    .language:       OpenCL C
    .language_version:
      - 2
      - 0
    .max_flat_workgroup_size: 128
    .name:           _ZN7rocprim17ROCPRIM_400000_NS6detail17trampoline_kernelINS0_14default_configENS1_20scan_config_selectorIdEEZZNS1_9scan_implILNS1_25lookback_scan_determinismE0ELb0ELb0ES3_N6thrust23THRUST_200600_302600_NS6detail15normal_iteratorINS9_10device_ptrIdEEEESE_d11max_functorIdEdEEDaPvRmT3_T4_T5_mT6_P12ihipStream_tbENKUlT_T0_E_clISt17integral_constantIbLb1EEST_IbLb0EEEEDaSP_SQ_EUlSP_E0_NS1_11comp_targetILNS1_3genE8ELNS1_11target_archE1030ELNS1_3gpuE2ELNS1_3repE0EEENS1_30default_config_static_selectorELNS0_4arch9wavefront6targetE1EEEvT1_
    .private_segment_fixed_size: 0
    .sgpr_count:     4
    .sgpr_spill_count: 0
    .symbol:         _ZN7rocprim17ROCPRIM_400000_NS6detail17trampoline_kernelINS0_14default_configENS1_20scan_config_selectorIdEEZZNS1_9scan_implILNS1_25lookback_scan_determinismE0ELb0ELb0ES3_N6thrust23THRUST_200600_302600_NS6detail15normal_iteratorINS9_10device_ptrIdEEEESE_d11max_functorIdEdEEDaPvRmT3_T4_T5_mT6_P12ihipStream_tbENKUlT_T0_E_clISt17integral_constantIbLb1EEST_IbLb0EEEEDaSP_SQ_EUlSP_E0_NS1_11comp_targetILNS1_3genE8ELNS1_11target_archE1030ELNS1_3gpuE2ELNS1_3repE0EEENS1_30default_config_static_selectorELNS0_4arch9wavefront6targetE1EEEvT1_.kd
    .uniform_work_group_size: 1
    .uses_dynamic_stack: false
    .vgpr_count:     0
    .vgpr_spill_count: 0
    .wavefront_size: 64
  - .agpr_count:     0
    .args:
      - .address_space:  global
        .offset:         0
        .size:           8
        .value_kind:     global_buffer
      - .offset:         8
        .size:           4
        .value_kind:     by_value
      - .address_space:  global
        .offset:         16
        .size:           8
        .value_kind:     global_buffer
      - .offset:         24
        .size:           4
        .value_kind:     by_value
      - .address_space:  global
        .offset:         32
        .size:           8
        .value_kind:     global_buffer
      - .offset:         40
        .size:           4
        .value_kind:     hidden_block_count_x
      - .offset:         44
        .size:           4
        .value_kind:     hidden_block_count_y
      - .offset:         48
        .size:           4
        .value_kind:     hidden_block_count_z
      - .offset:         52
        .size:           2
        .value_kind:     hidden_group_size_x
      - .offset:         54
        .size:           2
        .value_kind:     hidden_group_size_y
      - .offset:         56
        .size:           2
        .value_kind:     hidden_group_size_z
      - .offset:         58
        .size:           2
        .value_kind:     hidden_remainder_x
      - .offset:         60
        .size:           2
        .value_kind:     hidden_remainder_y
      - .offset:         62
        .size:           2
        .value_kind:     hidden_remainder_z
      - .offset:         80
        .size:           8
        .value_kind:     hidden_global_offset_x
      - .offset:         88
        .size:           8
        .value_kind:     hidden_global_offset_y
      - .offset:         96
        .size:           8
        .value_kind:     hidden_global_offset_z
      - .offset:         104
        .size:           2
        .value_kind:     hidden_grid_dims
    .group_segment_fixed_size: 0
    .kernarg_segment_align: 8
    .kernarg_segment_size: 296
    .language:       OpenCL C
    .language_version:
      - 2
      - 0
    .max_flat_workgroup_size: 256
    .name:           _ZN7rocprim17ROCPRIM_400000_NS6detail31init_lookback_scan_state_kernelINS1_19lookback_scan_stateIdLb0ELb1EEENS1_16block_id_wrapperIjLb1EEEEEvT_jT0_jPNS7_10value_typeE
    .private_segment_fixed_size: 0
    .sgpr_count:     19
    .sgpr_spill_count: 0
    .symbol:         _ZN7rocprim17ROCPRIM_400000_NS6detail31init_lookback_scan_state_kernelINS1_19lookback_scan_stateIdLb0ELb1EEENS1_16block_id_wrapperIjLb1EEEEEvT_jT0_jPNS7_10value_typeE.kd
    .uniform_work_group_size: 1
    .uses_dynamic_stack: false
    .vgpr_count:     10
    .vgpr_spill_count: 0
    .wavefront_size: 64
  - .agpr_count:     0
    .args:
      - .offset:         0
        .size:           104
        .value_kind:     by_value
    .group_segment_fixed_size: 0
    .kernarg_segment_align: 8
    .kernarg_segment_size: 104
    .language:       OpenCL C
    .language_version:
      - 2
      - 0
    .max_flat_workgroup_size: 256
    .name:           _ZN7rocprim17ROCPRIM_400000_NS6detail17trampoline_kernelINS0_14default_configENS1_20scan_config_selectorIdEEZZNS1_9scan_implILNS1_25lookback_scan_determinismE0ELb0ELb0ES3_N6thrust23THRUST_200600_302600_NS6detail15normal_iteratorINS9_10device_ptrIdEEEESE_d11max_functorIdEdEEDaPvRmT3_T4_T5_mT6_P12ihipStream_tbENKUlT_T0_E_clISt17integral_constantIbLb0EEST_IbLb1EEEEDaSP_SQ_EUlSP_E_NS1_11comp_targetILNS1_3genE0ELNS1_11target_archE4294967295ELNS1_3gpuE0ELNS1_3repE0EEENS1_30default_config_static_selectorELNS0_4arch9wavefront6targetE1EEEvT1_
    .private_segment_fixed_size: 0
    .sgpr_count:     4
    .sgpr_spill_count: 0
    .symbol:         _ZN7rocprim17ROCPRIM_400000_NS6detail17trampoline_kernelINS0_14default_configENS1_20scan_config_selectorIdEEZZNS1_9scan_implILNS1_25lookback_scan_determinismE0ELb0ELb0ES3_N6thrust23THRUST_200600_302600_NS6detail15normal_iteratorINS9_10device_ptrIdEEEESE_d11max_functorIdEdEEDaPvRmT3_T4_T5_mT6_P12ihipStream_tbENKUlT_T0_E_clISt17integral_constantIbLb0EEST_IbLb1EEEEDaSP_SQ_EUlSP_E_NS1_11comp_targetILNS1_3genE0ELNS1_11target_archE4294967295ELNS1_3gpuE0ELNS1_3repE0EEENS1_30default_config_static_selectorELNS0_4arch9wavefront6targetE1EEEvT1_.kd
    .uniform_work_group_size: 1
    .uses_dynamic_stack: false
    .vgpr_count:     0
    .vgpr_spill_count: 0
    .wavefront_size: 64
  - .agpr_count:     0
    .args:
      - .offset:         0
        .size:           104
        .value_kind:     by_value
    .group_segment_fixed_size: 0
    .kernarg_segment_align: 8
    .kernarg_segment_size: 104
    .language:       OpenCL C
    .language_version:
      - 2
      - 0
    .max_flat_workgroup_size: 256
    .name:           _ZN7rocprim17ROCPRIM_400000_NS6detail17trampoline_kernelINS0_14default_configENS1_20scan_config_selectorIdEEZZNS1_9scan_implILNS1_25lookback_scan_determinismE0ELb0ELb0ES3_N6thrust23THRUST_200600_302600_NS6detail15normal_iteratorINS9_10device_ptrIdEEEESE_d11max_functorIdEdEEDaPvRmT3_T4_T5_mT6_P12ihipStream_tbENKUlT_T0_E_clISt17integral_constantIbLb0EEST_IbLb1EEEEDaSP_SQ_EUlSP_E_NS1_11comp_targetILNS1_3genE5ELNS1_11target_archE942ELNS1_3gpuE9ELNS1_3repE0EEENS1_30default_config_static_selectorELNS0_4arch9wavefront6targetE1EEEvT1_
    .private_segment_fixed_size: 0
    .sgpr_count:     4
    .sgpr_spill_count: 0
    .symbol:         _ZN7rocprim17ROCPRIM_400000_NS6detail17trampoline_kernelINS0_14default_configENS1_20scan_config_selectorIdEEZZNS1_9scan_implILNS1_25lookback_scan_determinismE0ELb0ELb0ES3_N6thrust23THRUST_200600_302600_NS6detail15normal_iteratorINS9_10device_ptrIdEEEESE_d11max_functorIdEdEEDaPvRmT3_T4_T5_mT6_P12ihipStream_tbENKUlT_T0_E_clISt17integral_constantIbLb0EEST_IbLb1EEEEDaSP_SQ_EUlSP_E_NS1_11comp_targetILNS1_3genE5ELNS1_11target_archE942ELNS1_3gpuE9ELNS1_3repE0EEENS1_30default_config_static_selectorELNS0_4arch9wavefront6targetE1EEEvT1_.kd
    .uniform_work_group_size: 1
    .uses_dynamic_stack: false
    .vgpr_count:     0
    .vgpr_spill_count: 0
    .wavefront_size: 64
  - .agpr_count:     0
    .args:
      - .offset:         0
        .size:           104
        .value_kind:     by_value
    .group_segment_fixed_size: 10240
    .kernarg_segment_align: 8
    .kernarg_segment_size: 104
    .language:       OpenCL C
    .language_version:
      - 2
      - 0
    .max_flat_workgroup_size: 128
    .name:           _ZN7rocprim17ROCPRIM_400000_NS6detail17trampoline_kernelINS0_14default_configENS1_20scan_config_selectorIdEEZZNS1_9scan_implILNS1_25lookback_scan_determinismE0ELb0ELb0ES3_N6thrust23THRUST_200600_302600_NS6detail15normal_iteratorINS9_10device_ptrIdEEEESE_d11max_functorIdEdEEDaPvRmT3_T4_T5_mT6_P12ihipStream_tbENKUlT_T0_E_clISt17integral_constantIbLb0EEST_IbLb1EEEEDaSP_SQ_EUlSP_E_NS1_11comp_targetILNS1_3genE4ELNS1_11target_archE910ELNS1_3gpuE8ELNS1_3repE0EEENS1_30default_config_static_selectorELNS0_4arch9wavefront6targetE1EEEvT1_
    .private_segment_fixed_size: 0
    .sgpr_count:     40
    .sgpr_spill_count: 0
    .symbol:         _ZN7rocprim17ROCPRIM_400000_NS6detail17trampoline_kernelINS0_14default_configENS1_20scan_config_selectorIdEEZZNS1_9scan_implILNS1_25lookback_scan_determinismE0ELb0ELb0ES3_N6thrust23THRUST_200600_302600_NS6detail15normal_iteratorINS9_10device_ptrIdEEEESE_d11max_functorIdEdEEDaPvRmT3_T4_T5_mT6_P12ihipStream_tbENKUlT_T0_E_clISt17integral_constantIbLb0EEST_IbLb1EEEEDaSP_SQ_EUlSP_E_NS1_11comp_targetILNS1_3genE4ELNS1_11target_archE910ELNS1_3gpuE8ELNS1_3repE0EEENS1_30default_config_static_selectorELNS0_4arch9wavefront6targetE1EEEvT1_.kd
    .uniform_work_group_size: 1
    .uses_dynamic_stack: false
    .vgpr_count:     58
    .vgpr_spill_count: 0
    .wavefront_size: 64
  - .agpr_count:     0
    .args:
      - .offset:         0
        .size:           104
        .value_kind:     by_value
    .group_segment_fixed_size: 0
    .kernarg_segment_align: 8
    .kernarg_segment_size: 104
    .language:       OpenCL C
    .language_version:
      - 2
      - 0
    .max_flat_workgroup_size: 256
    .name:           _ZN7rocprim17ROCPRIM_400000_NS6detail17trampoline_kernelINS0_14default_configENS1_20scan_config_selectorIdEEZZNS1_9scan_implILNS1_25lookback_scan_determinismE0ELb0ELb0ES3_N6thrust23THRUST_200600_302600_NS6detail15normal_iteratorINS9_10device_ptrIdEEEESE_d11max_functorIdEdEEDaPvRmT3_T4_T5_mT6_P12ihipStream_tbENKUlT_T0_E_clISt17integral_constantIbLb0EEST_IbLb1EEEEDaSP_SQ_EUlSP_E_NS1_11comp_targetILNS1_3genE3ELNS1_11target_archE908ELNS1_3gpuE7ELNS1_3repE0EEENS1_30default_config_static_selectorELNS0_4arch9wavefront6targetE1EEEvT1_
    .private_segment_fixed_size: 0
    .sgpr_count:     4
    .sgpr_spill_count: 0
    .symbol:         _ZN7rocprim17ROCPRIM_400000_NS6detail17trampoline_kernelINS0_14default_configENS1_20scan_config_selectorIdEEZZNS1_9scan_implILNS1_25lookback_scan_determinismE0ELb0ELb0ES3_N6thrust23THRUST_200600_302600_NS6detail15normal_iteratorINS9_10device_ptrIdEEEESE_d11max_functorIdEdEEDaPvRmT3_T4_T5_mT6_P12ihipStream_tbENKUlT_T0_E_clISt17integral_constantIbLb0EEST_IbLb1EEEEDaSP_SQ_EUlSP_E_NS1_11comp_targetILNS1_3genE3ELNS1_11target_archE908ELNS1_3gpuE7ELNS1_3repE0EEENS1_30default_config_static_selectorELNS0_4arch9wavefront6targetE1EEEvT1_.kd
    .uniform_work_group_size: 1
    .uses_dynamic_stack: false
    .vgpr_count:     0
    .vgpr_spill_count: 0
    .wavefront_size: 64
  - .agpr_count:     0
    .args:
      - .offset:         0
        .size:           104
        .value_kind:     by_value
    .group_segment_fixed_size: 0
    .kernarg_segment_align: 8
    .kernarg_segment_size: 104
    .language:       OpenCL C
    .language_version:
      - 2
      - 0
    .max_flat_workgroup_size: 128
    .name:           _ZN7rocprim17ROCPRIM_400000_NS6detail17trampoline_kernelINS0_14default_configENS1_20scan_config_selectorIdEEZZNS1_9scan_implILNS1_25lookback_scan_determinismE0ELb0ELb0ES3_N6thrust23THRUST_200600_302600_NS6detail15normal_iteratorINS9_10device_ptrIdEEEESE_d11max_functorIdEdEEDaPvRmT3_T4_T5_mT6_P12ihipStream_tbENKUlT_T0_E_clISt17integral_constantIbLb0EEST_IbLb1EEEEDaSP_SQ_EUlSP_E_NS1_11comp_targetILNS1_3genE2ELNS1_11target_archE906ELNS1_3gpuE6ELNS1_3repE0EEENS1_30default_config_static_selectorELNS0_4arch9wavefront6targetE1EEEvT1_
    .private_segment_fixed_size: 0
    .sgpr_count:     4
    .sgpr_spill_count: 0
    .symbol:         _ZN7rocprim17ROCPRIM_400000_NS6detail17trampoline_kernelINS0_14default_configENS1_20scan_config_selectorIdEEZZNS1_9scan_implILNS1_25lookback_scan_determinismE0ELb0ELb0ES3_N6thrust23THRUST_200600_302600_NS6detail15normal_iteratorINS9_10device_ptrIdEEEESE_d11max_functorIdEdEEDaPvRmT3_T4_T5_mT6_P12ihipStream_tbENKUlT_T0_E_clISt17integral_constantIbLb0EEST_IbLb1EEEEDaSP_SQ_EUlSP_E_NS1_11comp_targetILNS1_3genE2ELNS1_11target_archE906ELNS1_3gpuE6ELNS1_3repE0EEENS1_30default_config_static_selectorELNS0_4arch9wavefront6targetE1EEEvT1_.kd
    .uniform_work_group_size: 1
    .uses_dynamic_stack: false
    .vgpr_count:     0
    .vgpr_spill_count: 0
    .wavefront_size: 64
  - .agpr_count:     0
    .args:
      - .offset:         0
        .size:           104
        .value_kind:     by_value
    .group_segment_fixed_size: 0
    .kernarg_segment_align: 8
    .kernarg_segment_size: 104
    .language:       OpenCL C
    .language_version:
      - 2
      - 0
    .max_flat_workgroup_size: 256
    .name:           _ZN7rocprim17ROCPRIM_400000_NS6detail17trampoline_kernelINS0_14default_configENS1_20scan_config_selectorIdEEZZNS1_9scan_implILNS1_25lookback_scan_determinismE0ELb0ELb0ES3_N6thrust23THRUST_200600_302600_NS6detail15normal_iteratorINS9_10device_ptrIdEEEESE_d11max_functorIdEdEEDaPvRmT3_T4_T5_mT6_P12ihipStream_tbENKUlT_T0_E_clISt17integral_constantIbLb0EEST_IbLb1EEEEDaSP_SQ_EUlSP_E_NS1_11comp_targetILNS1_3genE10ELNS1_11target_archE1201ELNS1_3gpuE5ELNS1_3repE0EEENS1_30default_config_static_selectorELNS0_4arch9wavefront6targetE1EEEvT1_
    .private_segment_fixed_size: 0
    .sgpr_count:     4
    .sgpr_spill_count: 0
    .symbol:         _ZN7rocprim17ROCPRIM_400000_NS6detail17trampoline_kernelINS0_14default_configENS1_20scan_config_selectorIdEEZZNS1_9scan_implILNS1_25lookback_scan_determinismE0ELb0ELb0ES3_N6thrust23THRUST_200600_302600_NS6detail15normal_iteratorINS9_10device_ptrIdEEEESE_d11max_functorIdEdEEDaPvRmT3_T4_T5_mT6_P12ihipStream_tbENKUlT_T0_E_clISt17integral_constantIbLb0EEST_IbLb1EEEEDaSP_SQ_EUlSP_E_NS1_11comp_targetILNS1_3genE10ELNS1_11target_archE1201ELNS1_3gpuE5ELNS1_3repE0EEENS1_30default_config_static_selectorELNS0_4arch9wavefront6targetE1EEEvT1_.kd
    .uniform_work_group_size: 1
    .uses_dynamic_stack: false
    .vgpr_count:     0
    .vgpr_spill_count: 0
    .wavefront_size: 64
  - .agpr_count:     0
    .args:
      - .offset:         0
        .size:           104
        .value_kind:     by_value
    .group_segment_fixed_size: 0
    .kernarg_segment_align: 8
    .kernarg_segment_size: 104
    .language:       OpenCL C
    .language_version:
      - 2
      - 0
    .max_flat_workgroup_size: 256
    .name:           _ZN7rocprim17ROCPRIM_400000_NS6detail17trampoline_kernelINS0_14default_configENS1_20scan_config_selectorIdEEZZNS1_9scan_implILNS1_25lookback_scan_determinismE0ELb0ELb0ES3_N6thrust23THRUST_200600_302600_NS6detail15normal_iteratorINS9_10device_ptrIdEEEESE_d11max_functorIdEdEEDaPvRmT3_T4_T5_mT6_P12ihipStream_tbENKUlT_T0_E_clISt17integral_constantIbLb0EEST_IbLb1EEEEDaSP_SQ_EUlSP_E_NS1_11comp_targetILNS1_3genE10ELNS1_11target_archE1200ELNS1_3gpuE4ELNS1_3repE0EEENS1_30default_config_static_selectorELNS0_4arch9wavefront6targetE1EEEvT1_
    .private_segment_fixed_size: 0
    .sgpr_count:     4
    .sgpr_spill_count: 0
    .symbol:         _ZN7rocprim17ROCPRIM_400000_NS6detail17trampoline_kernelINS0_14default_configENS1_20scan_config_selectorIdEEZZNS1_9scan_implILNS1_25lookback_scan_determinismE0ELb0ELb0ES3_N6thrust23THRUST_200600_302600_NS6detail15normal_iteratorINS9_10device_ptrIdEEEESE_d11max_functorIdEdEEDaPvRmT3_T4_T5_mT6_P12ihipStream_tbENKUlT_T0_E_clISt17integral_constantIbLb0EEST_IbLb1EEEEDaSP_SQ_EUlSP_E_NS1_11comp_targetILNS1_3genE10ELNS1_11target_archE1200ELNS1_3gpuE4ELNS1_3repE0EEENS1_30default_config_static_selectorELNS0_4arch9wavefront6targetE1EEEvT1_.kd
    .uniform_work_group_size: 1
    .uses_dynamic_stack: false
    .vgpr_count:     0
    .vgpr_spill_count: 0
    .wavefront_size: 64
  - .agpr_count:     0
    .args:
      - .offset:         0
        .size:           104
        .value_kind:     by_value
    .group_segment_fixed_size: 0
    .kernarg_segment_align: 8
    .kernarg_segment_size: 104
    .language:       OpenCL C
    .language_version:
      - 2
      - 0
    .max_flat_workgroup_size: 256
    .name:           _ZN7rocprim17ROCPRIM_400000_NS6detail17trampoline_kernelINS0_14default_configENS1_20scan_config_selectorIdEEZZNS1_9scan_implILNS1_25lookback_scan_determinismE0ELb0ELb0ES3_N6thrust23THRUST_200600_302600_NS6detail15normal_iteratorINS9_10device_ptrIdEEEESE_d11max_functorIdEdEEDaPvRmT3_T4_T5_mT6_P12ihipStream_tbENKUlT_T0_E_clISt17integral_constantIbLb0EEST_IbLb1EEEEDaSP_SQ_EUlSP_E_NS1_11comp_targetILNS1_3genE9ELNS1_11target_archE1100ELNS1_3gpuE3ELNS1_3repE0EEENS1_30default_config_static_selectorELNS0_4arch9wavefront6targetE1EEEvT1_
    .private_segment_fixed_size: 0
    .sgpr_count:     4
    .sgpr_spill_count: 0
    .symbol:         _ZN7rocprim17ROCPRIM_400000_NS6detail17trampoline_kernelINS0_14default_configENS1_20scan_config_selectorIdEEZZNS1_9scan_implILNS1_25lookback_scan_determinismE0ELb0ELb0ES3_N6thrust23THRUST_200600_302600_NS6detail15normal_iteratorINS9_10device_ptrIdEEEESE_d11max_functorIdEdEEDaPvRmT3_T4_T5_mT6_P12ihipStream_tbENKUlT_T0_E_clISt17integral_constantIbLb0EEST_IbLb1EEEEDaSP_SQ_EUlSP_E_NS1_11comp_targetILNS1_3genE9ELNS1_11target_archE1100ELNS1_3gpuE3ELNS1_3repE0EEENS1_30default_config_static_selectorELNS0_4arch9wavefront6targetE1EEEvT1_.kd
    .uniform_work_group_size: 1
    .uses_dynamic_stack: false
    .vgpr_count:     0
    .vgpr_spill_count: 0
    .wavefront_size: 64
  - .agpr_count:     0
    .args:
      - .offset:         0
        .size:           104
        .value_kind:     by_value
    .group_segment_fixed_size: 0
    .kernarg_segment_align: 8
    .kernarg_segment_size: 104
    .language:       OpenCL C
    .language_version:
      - 2
      - 0
    .max_flat_workgroup_size: 128
    .name:           _ZN7rocprim17ROCPRIM_400000_NS6detail17trampoline_kernelINS0_14default_configENS1_20scan_config_selectorIdEEZZNS1_9scan_implILNS1_25lookback_scan_determinismE0ELb0ELb0ES3_N6thrust23THRUST_200600_302600_NS6detail15normal_iteratorINS9_10device_ptrIdEEEESE_d11max_functorIdEdEEDaPvRmT3_T4_T5_mT6_P12ihipStream_tbENKUlT_T0_E_clISt17integral_constantIbLb0EEST_IbLb1EEEEDaSP_SQ_EUlSP_E_NS1_11comp_targetILNS1_3genE8ELNS1_11target_archE1030ELNS1_3gpuE2ELNS1_3repE0EEENS1_30default_config_static_selectorELNS0_4arch9wavefront6targetE1EEEvT1_
    .private_segment_fixed_size: 0
    .sgpr_count:     4
    .sgpr_spill_count: 0
    .symbol:         _ZN7rocprim17ROCPRIM_400000_NS6detail17trampoline_kernelINS0_14default_configENS1_20scan_config_selectorIdEEZZNS1_9scan_implILNS1_25lookback_scan_determinismE0ELb0ELb0ES3_N6thrust23THRUST_200600_302600_NS6detail15normal_iteratorINS9_10device_ptrIdEEEESE_d11max_functorIdEdEEDaPvRmT3_T4_T5_mT6_P12ihipStream_tbENKUlT_T0_E_clISt17integral_constantIbLb0EEST_IbLb1EEEEDaSP_SQ_EUlSP_E_NS1_11comp_targetILNS1_3genE8ELNS1_11target_archE1030ELNS1_3gpuE2ELNS1_3repE0EEENS1_30default_config_static_selectorELNS0_4arch9wavefront6targetE1EEEvT1_.kd
    .uniform_work_group_size: 1
    .uses_dynamic_stack: false
    .vgpr_count:     0
    .vgpr_spill_count: 0
    .wavefront_size: 64
  - .agpr_count:     0
    .args:
      - .offset:         0
        .size:           40
        .value_kind:     by_value
    .group_segment_fixed_size: 0
    .kernarg_segment_align: 8
    .kernarg_segment_size: 40
    .language:       OpenCL C
    .language_version:
      - 2
      - 0
    .max_flat_workgroup_size: 256
    .name:           _ZN7rocprim17ROCPRIM_400000_NS6detail17trampoline_kernelINS0_14default_configENS1_20scan_config_selectorIdEEZZNS1_9scan_implILNS1_25lookback_scan_determinismE0ELb0ELb0ES3_N6thrust23THRUST_200600_302600_NS6detail15normal_iteratorINS9_10device_ptrIdEEEESE_d11max_functorIdEdEEDaPvRmT3_T4_T5_mT6_P12ihipStream_tbENKUlT_T0_E_clISt17integral_constantIbLb0EEST_IbLb1EEEEDaSP_SQ_EUlSP_E0_NS1_11comp_targetILNS1_3genE0ELNS1_11target_archE4294967295ELNS1_3gpuE0ELNS1_3repE0EEENS1_30default_config_static_selectorELNS0_4arch9wavefront6targetE1EEEvT1_
    .private_segment_fixed_size: 0
    .sgpr_count:     4
    .sgpr_spill_count: 0
    .symbol:         _ZN7rocprim17ROCPRIM_400000_NS6detail17trampoline_kernelINS0_14default_configENS1_20scan_config_selectorIdEEZZNS1_9scan_implILNS1_25lookback_scan_determinismE0ELb0ELb0ES3_N6thrust23THRUST_200600_302600_NS6detail15normal_iteratorINS9_10device_ptrIdEEEESE_d11max_functorIdEdEEDaPvRmT3_T4_T5_mT6_P12ihipStream_tbENKUlT_T0_E_clISt17integral_constantIbLb0EEST_IbLb1EEEEDaSP_SQ_EUlSP_E0_NS1_11comp_targetILNS1_3genE0ELNS1_11target_archE4294967295ELNS1_3gpuE0ELNS1_3repE0EEENS1_30default_config_static_selectorELNS0_4arch9wavefront6targetE1EEEvT1_.kd
    .uniform_work_group_size: 1
    .uses_dynamic_stack: false
    .vgpr_count:     0
    .vgpr_spill_count: 0
    .wavefront_size: 64
  - .agpr_count:     0
    .args:
      - .offset:         0
        .size:           40
        .value_kind:     by_value
    .group_segment_fixed_size: 0
    .kernarg_segment_align: 8
    .kernarg_segment_size: 40
    .language:       OpenCL C
    .language_version:
      - 2
      - 0
    .max_flat_workgroup_size: 256
    .name:           _ZN7rocprim17ROCPRIM_400000_NS6detail17trampoline_kernelINS0_14default_configENS1_20scan_config_selectorIdEEZZNS1_9scan_implILNS1_25lookback_scan_determinismE0ELb0ELb0ES3_N6thrust23THRUST_200600_302600_NS6detail15normal_iteratorINS9_10device_ptrIdEEEESE_d11max_functorIdEdEEDaPvRmT3_T4_T5_mT6_P12ihipStream_tbENKUlT_T0_E_clISt17integral_constantIbLb0EEST_IbLb1EEEEDaSP_SQ_EUlSP_E0_NS1_11comp_targetILNS1_3genE5ELNS1_11target_archE942ELNS1_3gpuE9ELNS1_3repE0EEENS1_30default_config_static_selectorELNS0_4arch9wavefront6targetE1EEEvT1_
    .private_segment_fixed_size: 0
    .sgpr_count:     4
    .sgpr_spill_count: 0
    .symbol:         _ZN7rocprim17ROCPRIM_400000_NS6detail17trampoline_kernelINS0_14default_configENS1_20scan_config_selectorIdEEZZNS1_9scan_implILNS1_25lookback_scan_determinismE0ELb0ELb0ES3_N6thrust23THRUST_200600_302600_NS6detail15normal_iteratorINS9_10device_ptrIdEEEESE_d11max_functorIdEdEEDaPvRmT3_T4_T5_mT6_P12ihipStream_tbENKUlT_T0_E_clISt17integral_constantIbLb0EEST_IbLb1EEEEDaSP_SQ_EUlSP_E0_NS1_11comp_targetILNS1_3genE5ELNS1_11target_archE942ELNS1_3gpuE9ELNS1_3repE0EEENS1_30default_config_static_selectorELNS0_4arch9wavefront6targetE1EEEvT1_.kd
    .uniform_work_group_size: 1
    .uses_dynamic_stack: false
    .vgpr_count:     0
    .vgpr_spill_count: 0
    .wavefront_size: 64
  - .agpr_count:     0
    .args:
      - .offset:         0
        .size:           40
        .value_kind:     by_value
    .group_segment_fixed_size: 10240
    .kernarg_segment_align: 8
    .kernarg_segment_size: 40
    .language:       OpenCL C
    .language_version:
      - 2
      - 0
    .max_flat_workgroup_size: 128
    .name:           _ZN7rocprim17ROCPRIM_400000_NS6detail17trampoline_kernelINS0_14default_configENS1_20scan_config_selectorIdEEZZNS1_9scan_implILNS1_25lookback_scan_determinismE0ELb0ELb0ES3_N6thrust23THRUST_200600_302600_NS6detail15normal_iteratorINS9_10device_ptrIdEEEESE_d11max_functorIdEdEEDaPvRmT3_T4_T5_mT6_P12ihipStream_tbENKUlT_T0_E_clISt17integral_constantIbLb0EEST_IbLb1EEEEDaSP_SQ_EUlSP_E0_NS1_11comp_targetILNS1_3genE4ELNS1_11target_archE910ELNS1_3gpuE8ELNS1_3repE0EEENS1_30default_config_static_selectorELNS0_4arch9wavefront6targetE1EEEvT1_
    .private_segment_fixed_size: 0
    .sgpr_count:     30
    .sgpr_spill_count: 0
    .symbol:         _ZN7rocprim17ROCPRIM_400000_NS6detail17trampoline_kernelINS0_14default_configENS1_20scan_config_selectorIdEEZZNS1_9scan_implILNS1_25lookback_scan_determinismE0ELb0ELb0ES3_N6thrust23THRUST_200600_302600_NS6detail15normal_iteratorINS9_10device_ptrIdEEEESE_d11max_functorIdEdEEDaPvRmT3_T4_T5_mT6_P12ihipStream_tbENKUlT_T0_E_clISt17integral_constantIbLb0EEST_IbLb1EEEEDaSP_SQ_EUlSP_E0_NS1_11comp_targetILNS1_3genE4ELNS1_11target_archE910ELNS1_3gpuE8ELNS1_3repE0EEENS1_30default_config_static_selectorELNS0_4arch9wavefront6targetE1EEEvT1_.kd
    .uniform_work_group_size: 1
    .uses_dynamic_stack: false
    .vgpr_count:     33
    .vgpr_spill_count: 0
    .wavefront_size: 64
  - .agpr_count:     0
    .args:
      - .offset:         0
        .size:           40
        .value_kind:     by_value
    .group_segment_fixed_size: 0
    .kernarg_segment_align: 8
    .kernarg_segment_size: 40
    .language:       OpenCL C
    .language_version:
      - 2
      - 0
    .max_flat_workgroup_size: 256
    .name:           _ZN7rocprim17ROCPRIM_400000_NS6detail17trampoline_kernelINS0_14default_configENS1_20scan_config_selectorIdEEZZNS1_9scan_implILNS1_25lookback_scan_determinismE0ELb0ELb0ES3_N6thrust23THRUST_200600_302600_NS6detail15normal_iteratorINS9_10device_ptrIdEEEESE_d11max_functorIdEdEEDaPvRmT3_T4_T5_mT6_P12ihipStream_tbENKUlT_T0_E_clISt17integral_constantIbLb0EEST_IbLb1EEEEDaSP_SQ_EUlSP_E0_NS1_11comp_targetILNS1_3genE3ELNS1_11target_archE908ELNS1_3gpuE7ELNS1_3repE0EEENS1_30default_config_static_selectorELNS0_4arch9wavefront6targetE1EEEvT1_
    .private_segment_fixed_size: 0
    .sgpr_count:     4
    .sgpr_spill_count: 0
    .symbol:         _ZN7rocprim17ROCPRIM_400000_NS6detail17trampoline_kernelINS0_14default_configENS1_20scan_config_selectorIdEEZZNS1_9scan_implILNS1_25lookback_scan_determinismE0ELb0ELb0ES3_N6thrust23THRUST_200600_302600_NS6detail15normal_iteratorINS9_10device_ptrIdEEEESE_d11max_functorIdEdEEDaPvRmT3_T4_T5_mT6_P12ihipStream_tbENKUlT_T0_E_clISt17integral_constantIbLb0EEST_IbLb1EEEEDaSP_SQ_EUlSP_E0_NS1_11comp_targetILNS1_3genE3ELNS1_11target_archE908ELNS1_3gpuE7ELNS1_3repE0EEENS1_30default_config_static_selectorELNS0_4arch9wavefront6targetE1EEEvT1_.kd
    .uniform_work_group_size: 1
    .uses_dynamic_stack: false
    .vgpr_count:     0
    .vgpr_spill_count: 0
    .wavefront_size: 64
  - .agpr_count:     0
    .args:
      - .offset:         0
        .size:           40
        .value_kind:     by_value
    .group_segment_fixed_size: 0
    .kernarg_segment_align: 8
    .kernarg_segment_size: 40
    .language:       OpenCL C
    .language_version:
      - 2
      - 0
    .max_flat_workgroup_size: 128
    .name:           _ZN7rocprim17ROCPRIM_400000_NS6detail17trampoline_kernelINS0_14default_configENS1_20scan_config_selectorIdEEZZNS1_9scan_implILNS1_25lookback_scan_determinismE0ELb0ELb0ES3_N6thrust23THRUST_200600_302600_NS6detail15normal_iteratorINS9_10device_ptrIdEEEESE_d11max_functorIdEdEEDaPvRmT3_T4_T5_mT6_P12ihipStream_tbENKUlT_T0_E_clISt17integral_constantIbLb0EEST_IbLb1EEEEDaSP_SQ_EUlSP_E0_NS1_11comp_targetILNS1_3genE2ELNS1_11target_archE906ELNS1_3gpuE6ELNS1_3repE0EEENS1_30default_config_static_selectorELNS0_4arch9wavefront6targetE1EEEvT1_
    .private_segment_fixed_size: 0
    .sgpr_count:     4
    .sgpr_spill_count: 0
    .symbol:         _ZN7rocprim17ROCPRIM_400000_NS6detail17trampoline_kernelINS0_14default_configENS1_20scan_config_selectorIdEEZZNS1_9scan_implILNS1_25lookback_scan_determinismE0ELb0ELb0ES3_N6thrust23THRUST_200600_302600_NS6detail15normal_iteratorINS9_10device_ptrIdEEEESE_d11max_functorIdEdEEDaPvRmT3_T4_T5_mT6_P12ihipStream_tbENKUlT_T0_E_clISt17integral_constantIbLb0EEST_IbLb1EEEEDaSP_SQ_EUlSP_E0_NS1_11comp_targetILNS1_3genE2ELNS1_11target_archE906ELNS1_3gpuE6ELNS1_3repE0EEENS1_30default_config_static_selectorELNS0_4arch9wavefront6targetE1EEEvT1_.kd
    .uniform_work_group_size: 1
    .uses_dynamic_stack: false
    .vgpr_count:     0
    .vgpr_spill_count: 0
    .wavefront_size: 64
  - .agpr_count:     0
    .args:
      - .offset:         0
        .size:           40
        .value_kind:     by_value
    .group_segment_fixed_size: 0
    .kernarg_segment_align: 8
    .kernarg_segment_size: 40
    .language:       OpenCL C
    .language_version:
      - 2
      - 0
    .max_flat_workgroup_size: 256
    .name:           _ZN7rocprim17ROCPRIM_400000_NS6detail17trampoline_kernelINS0_14default_configENS1_20scan_config_selectorIdEEZZNS1_9scan_implILNS1_25lookback_scan_determinismE0ELb0ELb0ES3_N6thrust23THRUST_200600_302600_NS6detail15normal_iteratorINS9_10device_ptrIdEEEESE_d11max_functorIdEdEEDaPvRmT3_T4_T5_mT6_P12ihipStream_tbENKUlT_T0_E_clISt17integral_constantIbLb0EEST_IbLb1EEEEDaSP_SQ_EUlSP_E0_NS1_11comp_targetILNS1_3genE10ELNS1_11target_archE1201ELNS1_3gpuE5ELNS1_3repE0EEENS1_30default_config_static_selectorELNS0_4arch9wavefront6targetE1EEEvT1_
    .private_segment_fixed_size: 0
    .sgpr_count:     4
    .sgpr_spill_count: 0
    .symbol:         _ZN7rocprim17ROCPRIM_400000_NS6detail17trampoline_kernelINS0_14default_configENS1_20scan_config_selectorIdEEZZNS1_9scan_implILNS1_25lookback_scan_determinismE0ELb0ELb0ES3_N6thrust23THRUST_200600_302600_NS6detail15normal_iteratorINS9_10device_ptrIdEEEESE_d11max_functorIdEdEEDaPvRmT3_T4_T5_mT6_P12ihipStream_tbENKUlT_T0_E_clISt17integral_constantIbLb0EEST_IbLb1EEEEDaSP_SQ_EUlSP_E0_NS1_11comp_targetILNS1_3genE10ELNS1_11target_archE1201ELNS1_3gpuE5ELNS1_3repE0EEENS1_30default_config_static_selectorELNS0_4arch9wavefront6targetE1EEEvT1_.kd
    .uniform_work_group_size: 1
    .uses_dynamic_stack: false
    .vgpr_count:     0
    .vgpr_spill_count: 0
    .wavefront_size: 64
  - .agpr_count:     0
    .args:
      - .offset:         0
        .size:           40
        .value_kind:     by_value
    .group_segment_fixed_size: 0
    .kernarg_segment_align: 8
    .kernarg_segment_size: 40
    .language:       OpenCL C
    .language_version:
      - 2
      - 0
    .max_flat_workgroup_size: 256
    .name:           _ZN7rocprim17ROCPRIM_400000_NS6detail17trampoline_kernelINS0_14default_configENS1_20scan_config_selectorIdEEZZNS1_9scan_implILNS1_25lookback_scan_determinismE0ELb0ELb0ES3_N6thrust23THRUST_200600_302600_NS6detail15normal_iteratorINS9_10device_ptrIdEEEESE_d11max_functorIdEdEEDaPvRmT3_T4_T5_mT6_P12ihipStream_tbENKUlT_T0_E_clISt17integral_constantIbLb0EEST_IbLb1EEEEDaSP_SQ_EUlSP_E0_NS1_11comp_targetILNS1_3genE10ELNS1_11target_archE1200ELNS1_3gpuE4ELNS1_3repE0EEENS1_30default_config_static_selectorELNS0_4arch9wavefront6targetE1EEEvT1_
    .private_segment_fixed_size: 0
    .sgpr_count:     4
    .sgpr_spill_count: 0
    .symbol:         _ZN7rocprim17ROCPRIM_400000_NS6detail17trampoline_kernelINS0_14default_configENS1_20scan_config_selectorIdEEZZNS1_9scan_implILNS1_25lookback_scan_determinismE0ELb0ELb0ES3_N6thrust23THRUST_200600_302600_NS6detail15normal_iteratorINS9_10device_ptrIdEEEESE_d11max_functorIdEdEEDaPvRmT3_T4_T5_mT6_P12ihipStream_tbENKUlT_T0_E_clISt17integral_constantIbLb0EEST_IbLb1EEEEDaSP_SQ_EUlSP_E0_NS1_11comp_targetILNS1_3genE10ELNS1_11target_archE1200ELNS1_3gpuE4ELNS1_3repE0EEENS1_30default_config_static_selectorELNS0_4arch9wavefront6targetE1EEEvT1_.kd
    .uniform_work_group_size: 1
    .uses_dynamic_stack: false
    .vgpr_count:     0
    .vgpr_spill_count: 0
    .wavefront_size: 64
  - .agpr_count:     0
    .args:
      - .offset:         0
        .size:           40
        .value_kind:     by_value
    .group_segment_fixed_size: 0
    .kernarg_segment_align: 8
    .kernarg_segment_size: 40
    .language:       OpenCL C
    .language_version:
      - 2
      - 0
    .max_flat_workgroup_size: 256
    .name:           _ZN7rocprim17ROCPRIM_400000_NS6detail17trampoline_kernelINS0_14default_configENS1_20scan_config_selectorIdEEZZNS1_9scan_implILNS1_25lookback_scan_determinismE0ELb0ELb0ES3_N6thrust23THRUST_200600_302600_NS6detail15normal_iteratorINS9_10device_ptrIdEEEESE_d11max_functorIdEdEEDaPvRmT3_T4_T5_mT6_P12ihipStream_tbENKUlT_T0_E_clISt17integral_constantIbLb0EEST_IbLb1EEEEDaSP_SQ_EUlSP_E0_NS1_11comp_targetILNS1_3genE9ELNS1_11target_archE1100ELNS1_3gpuE3ELNS1_3repE0EEENS1_30default_config_static_selectorELNS0_4arch9wavefront6targetE1EEEvT1_
    .private_segment_fixed_size: 0
    .sgpr_count:     4
    .sgpr_spill_count: 0
    .symbol:         _ZN7rocprim17ROCPRIM_400000_NS6detail17trampoline_kernelINS0_14default_configENS1_20scan_config_selectorIdEEZZNS1_9scan_implILNS1_25lookback_scan_determinismE0ELb0ELb0ES3_N6thrust23THRUST_200600_302600_NS6detail15normal_iteratorINS9_10device_ptrIdEEEESE_d11max_functorIdEdEEDaPvRmT3_T4_T5_mT6_P12ihipStream_tbENKUlT_T0_E_clISt17integral_constantIbLb0EEST_IbLb1EEEEDaSP_SQ_EUlSP_E0_NS1_11comp_targetILNS1_3genE9ELNS1_11target_archE1100ELNS1_3gpuE3ELNS1_3repE0EEENS1_30default_config_static_selectorELNS0_4arch9wavefront6targetE1EEEvT1_.kd
    .uniform_work_group_size: 1
    .uses_dynamic_stack: false
    .vgpr_count:     0
    .vgpr_spill_count: 0
    .wavefront_size: 64
  - .agpr_count:     0
    .args:
      - .offset:         0
        .size:           40
        .value_kind:     by_value
    .group_segment_fixed_size: 0
    .kernarg_segment_align: 8
    .kernarg_segment_size: 40
    .language:       OpenCL C
    .language_version:
      - 2
      - 0
    .max_flat_workgroup_size: 128
    .name:           _ZN7rocprim17ROCPRIM_400000_NS6detail17trampoline_kernelINS0_14default_configENS1_20scan_config_selectorIdEEZZNS1_9scan_implILNS1_25lookback_scan_determinismE0ELb0ELb0ES3_N6thrust23THRUST_200600_302600_NS6detail15normal_iteratorINS9_10device_ptrIdEEEESE_d11max_functorIdEdEEDaPvRmT3_T4_T5_mT6_P12ihipStream_tbENKUlT_T0_E_clISt17integral_constantIbLb0EEST_IbLb1EEEEDaSP_SQ_EUlSP_E0_NS1_11comp_targetILNS1_3genE8ELNS1_11target_archE1030ELNS1_3gpuE2ELNS1_3repE0EEENS1_30default_config_static_selectorELNS0_4arch9wavefront6targetE1EEEvT1_
    .private_segment_fixed_size: 0
    .sgpr_count:     4
    .sgpr_spill_count: 0
    .symbol:         _ZN7rocprim17ROCPRIM_400000_NS6detail17trampoline_kernelINS0_14default_configENS1_20scan_config_selectorIdEEZZNS1_9scan_implILNS1_25lookback_scan_determinismE0ELb0ELb0ES3_N6thrust23THRUST_200600_302600_NS6detail15normal_iteratorINS9_10device_ptrIdEEEESE_d11max_functorIdEdEEDaPvRmT3_T4_T5_mT6_P12ihipStream_tbENKUlT_T0_E_clISt17integral_constantIbLb0EEST_IbLb1EEEEDaSP_SQ_EUlSP_E0_NS1_11comp_targetILNS1_3genE8ELNS1_11target_archE1030ELNS1_3gpuE2ELNS1_3repE0EEENS1_30default_config_static_selectorELNS0_4arch9wavefront6targetE1EEEvT1_.kd
    .uniform_work_group_size: 1
    .uses_dynamic_stack: false
    .vgpr_count:     0
    .vgpr_spill_count: 0
    .wavefront_size: 64
  - .agpr_count:     0
    .args:
      - .offset:         0
        .size:           104
        .value_kind:     by_value
    .group_segment_fixed_size: 0
    .kernarg_segment_align: 8
    .kernarg_segment_size: 104
    .language:       OpenCL C
    .language_version:
      - 2
      - 0
    .max_flat_workgroup_size: 256
    .name:           _ZN7rocprim17ROCPRIM_400000_NS6detail17trampoline_kernelINS0_14default_configENS1_20scan_config_selectorIdEEZZNS1_9scan_implILNS1_25lookback_scan_determinismE0ELb1ELb1ES3_N6thrust23THRUST_200600_302600_NS6detail15normal_iteratorINS9_10device_ptrIdEEEESE_d11max_functorIdEdEEDaPvRmT3_T4_T5_mT6_P12ihipStream_tbENKUlT_T0_E_clISt17integral_constantIbLb0EESU_EEDaSP_SQ_EUlSP_E_NS1_11comp_targetILNS1_3genE0ELNS1_11target_archE4294967295ELNS1_3gpuE0ELNS1_3repE0EEENS1_30default_config_static_selectorELNS0_4arch9wavefront6targetE1EEEvT1_
    .private_segment_fixed_size: 0
    .sgpr_count:     4
    .sgpr_spill_count: 0
    .symbol:         _ZN7rocprim17ROCPRIM_400000_NS6detail17trampoline_kernelINS0_14default_configENS1_20scan_config_selectorIdEEZZNS1_9scan_implILNS1_25lookback_scan_determinismE0ELb1ELb1ES3_N6thrust23THRUST_200600_302600_NS6detail15normal_iteratorINS9_10device_ptrIdEEEESE_d11max_functorIdEdEEDaPvRmT3_T4_T5_mT6_P12ihipStream_tbENKUlT_T0_E_clISt17integral_constantIbLb0EESU_EEDaSP_SQ_EUlSP_E_NS1_11comp_targetILNS1_3genE0ELNS1_11target_archE4294967295ELNS1_3gpuE0ELNS1_3repE0EEENS1_30default_config_static_selectorELNS0_4arch9wavefront6targetE1EEEvT1_.kd
    .uniform_work_group_size: 1
    .uses_dynamic_stack: false
    .vgpr_count:     0
    .vgpr_spill_count: 0
    .wavefront_size: 64
  - .agpr_count:     0
    .args:
      - .offset:         0
        .size:           104
        .value_kind:     by_value
    .group_segment_fixed_size: 0
    .kernarg_segment_align: 8
    .kernarg_segment_size: 104
    .language:       OpenCL C
    .language_version:
      - 2
      - 0
    .max_flat_workgroup_size: 256
    .name:           _ZN7rocprim17ROCPRIM_400000_NS6detail17trampoline_kernelINS0_14default_configENS1_20scan_config_selectorIdEEZZNS1_9scan_implILNS1_25lookback_scan_determinismE0ELb1ELb1ES3_N6thrust23THRUST_200600_302600_NS6detail15normal_iteratorINS9_10device_ptrIdEEEESE_d11max_functorIdEdEEDaPvRmT3_T4_T5_mT6_P12ihipStream_tbENKUlT_T0_E_clISt17integral_constantIbLb0EESU_EEDaSP_SQ_EUlSP_E_NS1_11comp_targetILNS1_3genE5ELNS1_11target_archE942ELNS1_3gpuE9ELNS1_3repE0EEENS1_30default_config_static_selectorELNS0_4arch9wavefront6targetE1EEEvT1_
    .private_segment_fixed_size: 0
    .sgpr_count:     4
    .sgpr_spill_count: 0
    .symbol:         _ZN7rocprim17ROCPRIM_400000_NS6detail17trampoline_kernelINS0_14default_configENS1_20scan_config_selectorIdEEZZNS1_9scan_implILNS1_25lookback_scan_determinismE0ELb1ELb1ES3_N6thrust23THRUST_200600_302600_NS6detail15normal_iteratorINS9_10device_ptrIdEEEESE_d11max_functorIdEdEEDaPvRmT3_T4_T5_mT6_P12ihipStream_tbENKUlT_T0_E_clISt17integral_constantIbLb0EESU_EEDaSP_SQ_EUlSP_E_NS1_11comp_targetILNS1_3genE5ELNS1_11target_archE942ELNS1_3gpuE9ELNS1_3repE0EEENS1_30default_config_static_selectorELNS0_4arch9wavefront6targetE1EEEvT1_.kd
    .uniform_work_group_size: 1
    .uses_dynamic_stack: false
    .vgpr_count:     0
    .vgpr_spill_count: 0
    .wavefront_size: 64
  - .agpr_count:     0
    .args:
      - .offset:         0
        .size:           104
        .value_kind:     by_value
    .group_segment_fixed_size: 10240
    .kernarg_segment_align: 8
    .kernarg_segment_size: 104
    .language:       OpenCL C
    .language_version:
      - 2
      - 0
    .max_flat_workgroup_size: 128
    .name:           _ZN7rocprim17ROCPRIM_400000_NS6detail17trampoline_kernelINS0_14default_configENS1_20scan_config_selectorIdEEZZNS1_9scan_implILNS1_25lookback_scan_determinismE0ELb1ELb1ES3_N6thrust23THRUST_200600_302600_NS6detail15normal_iteratorINS9_10device_ptrIdEEEESE_d11max_functorIdEdEEDaPvRmT3_T4_T5_mT6_P12ihipStream_tbENKUlT_T0_E_clISt17integral_constantIbLb0EESU_EEDaSP_SQ_EUlSP_E_NS1_11comp_targetILNS1_3genE4ELNS1_11target_archE910ELNS1_3gpuE8ELNS1_3repE0EEENS1_30default_config_static_selectorELNS0_4arch9wavefront6targetE1EEEvT1_
    .private_segment_fixed_size: 0
    .sgpr_count:     34
    .sgpr_spill_count: 0
    .symbol:         _ZN7rocprim17ROCPRIM_400000_NS6detail17trampoline_kernelINS0_14default_configENS1_20scan_config_selectorIdEEZZNS1_9scan_implILNS1_25lookback_scan_determinismE0ELb1ELb1ES3_N6thrust23THRUST_200600_302600_NS6detail15normal_iteratorINS9_10device_ptrIdEEEESE_d11max_functorIdEdEEDaPvRmT3_T4_T5_mT6_P12ihipStream_tbENKUlT_T0_E_clISt17integral_constantIbLb0EESU_EEDaSP_SQ_EUlSP_E_NS1_11comp_targetILNS1_3genE4ELNS1_11target_archE910ELNS1_3gpuE8ELNS1_3repE0EEENS1_30default_config_static_selectorELNS0_4arch9wavefront6targetE1EEEvT1_.kd
    .uniform_work_group_size: 1
    .uses_dynamic_stack: false
    .vgpr_count:     58
    .vgpr_spill_count: 0
    .wavefront_size: 64
  - .agpr_count:     0
    .args:
      - .offset:         0
        .size:           104
        .value_kind:     by_value
    .group_segment_fixed_size: 0
    .kernarg_segment_align: 8
    .kernarg_segment_size: 104
    .language:       OpenCL C
    .language_version:
      - 2
      - 0
    .max_flat_workgroup_size: 256
    .name:           _ZN7rocprim17ROCPRIM_400000_NS6detail17trampoline_kernelINS0_14default_configENS1_20scan_config_selectorIdEEZZNS1_9scan_implILNS1_25lookback_scan_determinismE0ELb1ELb1ES3_N6thrust23THRUST_200600_302600_NS6detail15normal_iteratorINS9_10device_ptrIdEEEESE_d11max_functorIdEdEEDaPvRmT3_T4_T5_mT6_P12ihipStream_tbENKUlT_T0_E_clISt17integral_constantIbLb0EESU_EEDaSP_SQ_EUlSP_E_NS1_11comp_targetILNS1_3genE3ELNS1_11target_archE908ELNS1_3gpuE7ELNS1_3repE0EEENS1_30default_config_static_selectorELNS0_4arch9wavefront6targetE1EEEvT1_
    .private_segment_fixed_size: 0
    .sgpr_count:     4
    .sgpr_spill_count: 0
    .symbol:         _ZN7rocprim17ROCPRIM_400000_NS6detail17trampoline_kernelINS0_14default_configENS1_20scan_config_selectorIdEEZZNS1_9scan_implILNS1_25lookback_scan_determinismE0ELb1ELb1ES3_N6thrust23THRUST_200600_302600_NS6detail15normal_iteratorINS9_10device_ptrIdEEEESE_d11max_functorIdEdEEDaPvRmT3_T4_T5_mT6_P12ihipStream_tbENKUlT_T0_E_clISt17integral_constantIbLb0EESU_EEDaSP_SQ_EUlSP_E_NS1_11comp_targetILNS1_3genE3ELNS1_11target_archE908ELNS1_3gpuE7ELNS1_3repE0EEENS1_30default_config_static_selectorELNS0_4arch9wavefront6targetE1EEEvT1_.kd
    .uniform_work_group_size: 1
    .uses_dynamic_stack: false
    .vgpr_count:     0
    .vgpr_spill_count: 0
    .wavefront_size: 64
  - .agpr_count:     0
    .args:
      - .offset:         0
        .size:           104
        .value_kind:     by_value
    .group_segment_fixed_size: 0
    .kernarg_segment_align: 8
    .kernarg_segment_size: 104
    .language:       OpenCL C
    .language_version:
      - 2
      - 0
    .max_flat_workgroup_size: 128
    .name:           _ZN7rocprim17ROCPRIM_400000_NS6detail17trampoline_kernelINS0_14default_configENS1_20scan_config_selectorIdEEZZNS1_9scan_implILNS1_25lookback_scan_determinismE0ELb1ELb1ES3_N6thrust23THRUST_200600_302600_NS6detail15normal_iteratorINS9_10device_ptrIdEEEESE_d11max_functorIdEdEEDaPvRmT3_T4_T5_mT6_P12ihipStream_tbENKUlT_T0_E_clISt17integral_constantIbLb0EESU_EEDaSP_SQ_EUlSP_E_NS1_11comp_targetILNS1_3genE2ELNS1_11target_archE906ELNS1_3gpuE6ELNS1_3repE0EEENS1_30default_config_static_selectorELNS0_4arch9wavefront6targetE1EEEvT1_
    .private_segment_fixed_size: 0
    .sgpr_count:     4
    .sgpr_spill_count: 0
    .symbol:         _ZN7rocprim17ROCPRIM_400000_NS6detail17trampoline_kernelINS0_14default_configENS1_20scan_config_selectorIdEEZZNS1_9scan_implILNS1_25lookback_scan_determinismE0ELb1ELb1ES3_N6thrust23THRUST_200600_302600_NS6detail15normal_iteratorINS9_10device_ptrIdEEEESE_d11max_functorIdEdEEDaPvRmT3_T4_T5_mT6_P12ihipStream_tbENKUlT_T0_E_clISt17integral_constantIbLb0EESU_EEDaSP_SQ_EUlSP_E_NS1_11comp_targetILNS1_3genE2ELNS1_11target_archE906ELNS1_3gpuE6ELNS1_3repE0EEENS1_30default_config_static_selectorELNS0_4arch9wavefront6targetE1EEEvT1_.kd
    .uniform_work_group_size: 1
    .uses_dynamic_stack: false
    .vgpr_count:     0
    .vgpr_spill_count: 0
    .wavefront_size: 64
  - .agpr_count:     0
    .args:
      - .offset:         0
        .size:           104
        .value_kind:     by_value
    .group_segment_fixed_size: 0
    .kernarg_segment_align: 8
    .kernarg_segment_size: 104
    .language:       OpenCL C
    .language_version:
      - 2
      - 0
    .max_flat_workgroup_size: 256
    .name:           _ZN7rocprim17ROCPRIM_400000_NS6detail17trampoline_kernelINS0_14default_configENS1_20scan_config_selectorIdEEZZNS1_9scan_implILNS1_25lookback_scan_determinismE0ELb1ELb1ES3_N6thrust23THRUST_200600_302600_NS6detail15normal_iteratorINS9_10device_ptrIdEEEESE_d11max_functorIdEdEEDaPvRmT3_T4_T5_mT6_P12ihipStream_tbENKUlT_T0_E_clISt17integral_constantIbLb0EESU_EEDaSP_SQ_EUlSP_E_NS1_11comp_targetILNS1_3genE10ELNS1_11target_archE1201ELNS1_3gpuE5ELNS1_3repE0EEENS1_30default_config_static_selectorELNS0_4arch9wavefront6targetE1EEEvT1_
    .private_segment_fixed_size: 0
    .sgpr_count:     4
    .sgpr_spill_count: 0
    .symbol:         _ZN7rocprim17ROCPRIM_400000_NS6detail17trampoline_kernelINS0_14default_configENS1_20scan_config_selectorIdEEZZNS1_9scan_implILNS1_25lookback_scan_determinismE0ELb1ELb1ES3_N6thrust23THRUST_200600_302600_NS6detail15normal_iteratorINS9_10device_ptrIdEEEESE_d11max_functorIdEdEEDaPvRmT3_T4_T5_mT6_P12ihipStream_tbENKUlT_T0_E_clISt17integral_constantIbLb0EESU_EEDaSP_SQ_EUlSP_E_NS1_11comp_targetILNS1_3genE10ELNS1_11target_archE1201ELNS1_3gpuE5ELNS1_3repE0EEENS1_30default_config_static_selectorELNS0_4arch9wavefront6targetE1EEEvT1_.kd
    .uniform_work_group_size: 1
    .uses_dynamic_stack: false
    .vgpr_count:     0
    .vgpr_spill_count: 0
    .wavefront_size: 64
  - .agpr_count:     0
    .args:
      - .offset:         0
        .size:           104
        .value_kind:     by_value
    .group_segment_fixed_size: 0
    .kernarg_segment_align: 8
    .kernarg_segment_size: 104
    .language:       OpenCL C
    .language_version:
      - 2
      - 0
    .max_flat_workgroup_size: 256
    .name:           _ZN7rocprim17ROCPRIM_400000_NS6detail17trampoline_kernelINS0_14default_configENS1_20scan_config_selectorIdEEZZNS1_9scan_implILNS1_25lookback_scan_determinismE0ELb1ELb1ES3_N6thrust23THRUST_200600_302600_NS6detail15normal_iteratorINS9_10device_ptrIdEEEESE_d11max_functorIdEdEEDaPvRmT3_T4_T5_mT6_P12ihipStream_tbENKUlT_T0_E_clISt17integral_constantIbLb0EESU_EEDaSP_SQ_EUlSP_E_NS1_11comp_targetILNS1_3genE10ELNS1_11target_archE1200ELNS1_3gpuE4ELNS1_3repE0EEENS1_30default_config_static_selectorELNS0_4arch9wavefront6targetE1EEEvT1_
    .private_segment_fixed_size: 0
    .sgpr_count:     4
    .sgpr_spill_count: 0
    .symbol:         _ZN7rocprim17ROCPRIM_400000_NS6detail17trampoline_kernelINS0_14default_configENS1_20scan_config_selectorIdEEZZNS1_9scan_implILNS1_25lookback_scan_determinismE0ELb1ELb1ES3_N6thrust23THRUST_200600_302600_NS6detail15normal_iteratorINS9_10device_ptrIdEEEESE_d11max_functorIdEdEEDaPvRmT3_T4_T5_mT6_P12ihipStream_tbENKUlT_T0_E_clISt17integral_constantIbLb0EESU_EEDaSP_SQ_EUlSP_E_NS1_11comp_targetILNS1_3genE10ELNS1_11target_archE1200ELNS1_3gpuE4ELNS1_3repE0EEENS1_30default_config_static_selectorELNS0_4arch9wavefront6targetE1EEEvT1_.kd
    .uniform_work_group_size: 1
    .uses_dynamic_stack: false
    .vgpr_count:     0
    .vgpr_spill_count: 0
    .wavefront_size: 64
  - .agpr_count:     0
    .args:
      - .offset:         0
        .size:           104
        .value_kind:     by_value
    .group_segment_fixed_size: 0
    .kernarg_segment_align: 8
    .kernarg_segment_size: 104
    .language:       OpenCL C
    .language_version:
      - 2
      - 0
    .max_flat_workgroup_size: 256
    .name:           _ZN7rocprim17ROCPRIM_400000_NS6detail17trampoline_kernelINS0_14default_configENS1_20scan_config_selectorIdEEZZNS1_9scan_implILNS1_25lookback_scan_determinismE0ELb1ELb1ES3_N6thrust23THRUST_200600_302600_NS6detail15normal_iteratorINS9_10device_ptrIdEEEESE_d11max_functorIdEdEEDaPvRmT3_T4_T5_mT6_P12ihipStream_tbENKUlT_T0_E_clISt17integral_constantIbLb0EESU_EEDaSP_SQ_EUlSP_E_NS1_11comp_targetILNS1_3genE9ELNS1_11target_archE1100ELNS1_3gpuE3ELNS1_3repE0EEENS1_30default_config_static_selectorELNS0_4arch9wavefront6targetE1EEEvT1_
    .private_segment_fixed_size: 0
    .sgpr_count:     4
    .sgpr_spill_count: 0
    .symbol:         _ZN7rocprim17ROCPRIM_400000_NS6detail17trampoline_kernelINS0_14default_configENS1_20scan_config_selectorIdEEZZNS1_9scan_implILNS1_25lookback_scan_determinismE0ELb1ELb1ES3_N6thrust23THRUST_200600_302600_NS6detail15normal_iteratorINS9_10device_ptrIdEEEESE_d11max_functorIdEdEEDaPvRmT3_T4_T5_mT6_P12ihipStream_tbENKUlT_T0_E_clISt17integral_constantIbLb0EESU_EEDaSP_SQ_EUlSP_E_NS1_11comp_targetILNS1_3genE9ELNS1_11target_archE1100ELNS1_3gpuE3ELNS1_3repE0EEENS1_30default_config_static_selectorELNS0_4arch9wavefront6targetE1EEEvT1_.kd
    .uniform_work_group_size: 1
    .uses_dynamic_stack: false
    .vgpr_count:     0
    .vgpr_spill_count: 0
    .wavefront_size: 64
  - .agpr_count:     0
    .args:
      - .offset:         0
        .size:           104
        .value_kind:     by_value
    .group_segment_fixed_size: 0
    .kernarg_segment_align: 8
    .kernarg_segment_size: 104
    .language:       OpenCL C
    .language_version:
      - 2
      - 0
    .max_flat_workgroup_size: 128
    .name:           _ZN7rocprim17ROCPRIM_400000_NS6detail17trampoline_kernelINS0_14default_configENS1_20scan_config_selectorIdEEZZNS1_9scan_implILNS1_25lookback_scan_determinismE0ELb1ELb1ES3_N6thrust23THRUST_200600_302600_NS6detail15normal_iteratorINS9_10device_ptrIdEEEESE_d11max_functorIdEdEEDaPvRmT3_T4_T5_mT6_P12ihipStream_tbENKUlT_T0_E_clISt17integral_constantIbLb0EESU_EEDaSP_SQ_EUlSP_E_NS1_11comp_targetILNS1_3genE8ELNS1_11target_archE1030ELNS1_3gpuE2ELNS1_3repE0EEENS1_30default_config_static_selectorELNS0_4arch9wavefront6targetE1EEEvT1_
    .private_segment_fixed_size: 0
    .sgpr_count:     4
    .sgpr_spill_count: 0
    .symbol:         _ZN7rocprim17ROCPRIM_400000_NS6detail17trampoline_kernelINS0_14default_configENS1_20scan_config_selectorIdEEZZNS1_9scan_implILNS1_25lookback_scan_determinismE0ELb1ELb1ES3_N6thrust23THRUST_200600_302600_NS6detail15normal_iteratorINS9_10device_ptrIdEEEESE_d11max_functorIdEdEEDaPvRmT3_T4_T5_mT6_P12ihipStream_tbENKUlT_T0_E_clISt17integral_constantIbLb0EESU_EEDaSP_SQ_EUlSP_E_NS1_11comp_targetILNS1_3genE8ELNS1_11target_archE1030ELNS1_3gpuE2ELNS1_3repE0EEENS1_30default_config_static_selectorELNS0_4arch9wavefront6targetE1EEEvT1_.kd
    .uniform_work_group_size: 1
    .uses_dynamic_stack: false
    .vgpr_count:     0
    .vgpr_spill_count: 0
    .wavefront_size: 64
  - .agpr_count:     0
    .args:
      - .offset:         0
        .size:           40
        .value_kind:     by_value
    .group_segment_fixed_size: 0
    .kernarg_segment_align: 8
    .kernarg_segment_size: 40
    .language:       OpenCL C
    .language_version:
      - 2
      - 0
    .max_flat_workgroup_size: 256
    .name:           _ZN7rocprim17ROCPRIM_400000_NS6detail17trampoline_kernelINS0_14default_configENS1_20scan_config_selectorIdEEZZNS1_9scan_implILNS1_25lookback_scan_determinismE0ELb1ELb1ES3_N6thrust23THRUST_200600_302600_NS6detail15normal_iteratorINS9_10device_ptrIdEEEESE_d11max_functorIdEdEEDaPvRmT3_T4_T5_mT6_P12ihipStream_tbENKUlT_T0_E_clISt17integral_constantIbLb0EESU_EEDaSP_SQ_EUlSP_E0_NS1_11comp_targetILNS1_3genE0ELNS1_11target_archE4294967295ELNS1_3gpuE0ELNS1_3repE0EEENS1_30default_config_static_selectorELNS0_4arch9wavefront6targetE1EEEvT1_
    .private_segment_fixed_size: 0
    .sgpr_count:     4
    .sgpr_spill_count: 0
    .symbol:         _ZN7rocprim17ROCPRIM_400000_NS6detail17trampoline_kernelINS0_14default_configENS1_20scan_config_selectorIdEEZZNS1_9scan_implILNS1_25lookback_scan_determinismE0ELb1ELb1ES3_N6thrust23THRUST_200600_302600_NS6detail15normal_iteratorINS9_10device_ptrIdEEEESE_d11max_functorIdEdEEDaPvRmT3_T4_T5_mT6_P12ihipStream_tbENKUlT_T0_E_clISt17integral_constantIbLb0EESU_EEDaSP_SQ_EUlSP_E0_NS1_11comp_targetILNS1_3genE0ELNS1_11target_archE4294967295ELNS1_3gpuE0ELNS1_3repE0EEENS1_30default_config_static_selectorELNS0_4arch9wavefront6targetE1EEEvT1_.kd
    .uniform_work_group_size: 1
    .uses_dynamic_stack: false
    .vgpr_count:     0
    .vgpr_spill_count: 0
    .wavefront_size: 64
  - .agpr_count:     0
    .args:
      - .offset:         0
        .size:           40
        .value_kind:     by_value
    .group_segment_fixed_size: 0
    .kernarg_segment_align: 8
    .kernarg_segment_size: 40
    .language:       OpenCL C
    .language_version:
      - 2
      - 0
    .max_flat_workgroup_size: 256
    .name:           _ZN7rocprim17ROCPRIM_400000_NS6detail17trampoline_kernelINS0_14default_configENS1_20scan_config_selectorIdEEZZNS1_9scan_implILNS1_25lookback_scan_determinismE0ELb1ELb1ES3_N6thrust23THRUST_200600_302600_NS6detail15normal_iteratorINS9_10device_ptrIdEEEESE_d11max_functorIdEdEEDaPvRmT3_T4_T5_mT6_P12ihipStream_tbENKUlT_T0_E_clISt17integral_constantIbLb0EESU_EEDaSP_SQ_EUlSP_E0_NS1_11comp_targetILNS1_3genE5ELNS1_11target_archE942ELNS1_3gpuE9ELNS1_3repE0EEENS1_30default_config_static_selectorELNS0_4arch9wavefront6targetE1EEEvT1_
    .private_segment_fixed_size: 0
    .sgpr_count:     4
    .sgpr_spill_count: 0
    .symbol:         _ZN7rocprim17ROCPRIM_400000_NS6detail17trampoline_kernelINS0_14default_configENS1_20scan_config_selectorIdEEZZNS1_9scan_implILNS1_25lookback_scan_determinismE0ELb1ELb1ES3_N6thrust23THRUST_200600_302600_NS6detail15normal_iteratorINS9_10device_ptrIdEEEESE_d11max_functorIdEdEEDaPvRmT3_T4_T5_mT6_P12ihipStream_tbENKUlT_T0_E_clISt17integral_constantIbLb0EESU_EEDaSP_SQ_EUlSP_E0_NS1_11comp_targetILNS1_3genE5ELNS1_11target_archE942ELNS1_3gpuE9ELNS1_3repE0EEENS1_30default_config_static_selectorELNS0_4arch9wavefront6targetE1EEEvT1_.kd
    .uniform_work_group_size: 1
    .uses_dynamic_stack: false
    .vgpr_count:     0
    .vgpr_spill_count: 0
    .wavefront_size: 64
  - .agpr_count:     0
    .args:
      - .offset:         0
        .size:           40
        .value_kind:     by_value
    .group_segment_fixed_size: 10240
    .kernarg_segment_align: 8
    .kernarg_segment_size: 40
    .language:       OpenCL C
    .language_version:
      - 2
      - 0
    .max_flat_workgroup_size: 128
    .name:           _ZN7rocprim17ROCPRIM_400000_NS6detail17trampoline_kernelINS0_14default_configENS1_20scan_config_selectorIdEEZZNS1_9scan_implILNS1_25lookback_scan_determinismE0ELb1ELb1ES3_N6thrust23THRUST_200600_302600_NS6detail15normal_iteratorINS9_10device_ptrIdEEEESE_d11max_functorIdEdEEDaPvRmT3_T4_T5_mT6_P12ihipStream_tbENKUlT_T0_E_clISt17integral_constantIbLb0EESU_EEDaSP_SQ_EUlSP_E0_NS1_11comp_targetILNS1_3genE4ELNS1_11target_archE910ELNS1_3gpuE8ELNS1_3repE0EEENS1_30default_config_static_selectorELNS0_4arch9wavefront6targetE1EEEvT1_
    .private_segment_fixed_size: 0
    .sgpr_count:     32
    .sgpr_spill_count: 0
    .symbol:         _ZN7rocprim17ROCPRIM_400000_NS6detail17trampoline_kernelINS0_14default_configENS1_20scan_config_selectorIdEEZZNS1_9scan_implILNS1_25lookback_scan_determinismE0ELb1ELb1ES3_N6thrust23THRUST_200600_302600_NS6detail15normal_iteratorINS9_10device_ptrIdEEEESE_d11max_functorIdEdEEDaPvRmT3_T4_T5_mT6_P12ihipStream_tbENKUlT_T0_E_clISt17integral_constantIbLb0EESU_EEDaSP_SQ_EUlSP_E0_NS1_11comp_targetILNS1_3genE4ELNS1_11target_archE910ELNS1_3gpuE8ELNS1_3repE0EEENS1_30default_config_static_selectorELNS0_4arch9wavefront6targetE1EEEvT1_.kd
    .uniform_work_group_size: 1
    .uses_dynamic_stack: false
    .vgpr_count:     31
    .vgpr_spill_count: 0
    .wavefront_size: 64
  - .agpr_count:     0
    .args:
      - .offset:         0
        .size:           40
        .value_kind:     by_value
    .group_segment_fixed_size: 0
    .kernarg_segment_align: 8
    .kernarg_segment_size: 40
    .language:       OpenCL C
    .language_version:
      - 2
      - 0
    .max_flat_workgroup_size: 256
    .name:           _ZN7rocprim17ROCPRIM_400000_NS6detail17trampoline_kernelINS0_14default_configENS1_20scan_config_selectorIdEEZZNS1_9scan_implILNS1_25lookback_scan_determinismE0ELb1ELb1ES3_N6thrust23THRUST_200600_302600_NS6detail15normal_iteratorINS9_10device_ptrIdEEEESE_d11max_functorIdEdEEDaPvRmT3_T4_T5_mT6_P12ihipStream_tbENKUlT_T0_E_clISt17integral_constantIbLb0EESU_EEDaSP_SQ_EUlSP_E0_NS1_11comp_targetILNS1_3genE3ELNS1_11target_archE908ELNS1_3gpuE7ELNS1_3repE0EEENS1_30default_config_static_selectorELNS0_4arch9wavefront6targetE1EEEvT1_
    .private_segment_fixed_size: 0
    .sgpr_count:     4
    .sgpr_spill_count: 0
    .symbol:         _ZN7rocprim17ROCPRIM_400000_NS6detail17trampoline_kernelINS0_14default_configENS1_20scan_config_selectorIdEEZZNS1_9scan_implILNS1_25lookback_scan_determinismE0ELb1ELb1ES3_N6thrust23THRUST_200600_302600_NS6detail15normal_iteratorINS9_10device_ptrIdEEEESE_d11max_functorIdEdEEDaPvRmT3_T4_T5_mT6_P12ihipStream_tbENKUlT_T0_E_clISt17integral_constantIbLb0EESU_EEDaSP_SQ_EUlSP_E0_NS1_11comp_targetILNS1_3genE3ELNS1_11target_archE908ELNS1_3gpuE7ELNS1_3repE0EEENS1_30default_config_static_selectorELNS0_4arch9wavefront6targetE1EEEvT1_.kd
    .uniform_work_group_size: 1
    .uses_dynamic_stack: false
    .vgpr_count:     0
    .vgpr_spill_count: 0
    .wavefront_size: 64
  - .agpr_count:     0
    .args:
      - .offset:         0
        .size:           40
        .value_kind:     by_value
    .group_segment_fixed_size: 0
    .kernarg_segment_align: 8
    .kernarg_segment_size: 40
    .language:       OpenCL C
    .language_version:
      - 2
      - 0
    .max_flat_workgroup_size: 128
    .name:           _ZN7rocprim17ROCPRIM_400000_NS6detail17trampoline_kernelINS0_14default_configENS1_20scan_config_selectorIdEEZZNS1_9scan_implILNS1_25lookback_scan_determinismE0ELb1ELb1ES3_N6thrust23THRUST_200600_302600_NS6detail15normal_iteratorINS9_10device_ptrIdEEEESE_d11max_functorIdEdEEDaPvRmT3_T4_T5_mT6_P12ihipStream_tbENKUlT_T0_E_clISt17integral_constantIbLb0EESU_EEDaSP_SQ_EUlSP_E0_NS1_11comp_targetILNS1_3genE2ELNS1_11target_archE906ELNS1_3gpuE6ELNS1_3repE0EEENS1_30default_config_static_selectorELNS0_4arch9wavefront6targetE1EEEvT1_
    .private_segment_fixed_size: 0
    .sgpr_count:     4
    .sgpr_spill_count: 0
    .symbol:         _ZN7rocprim17ROCPRIM_400000_NS6detail17trampoline_kernelINS0_14default_configENS1_20scan_config_selectorIdEEZZNS1_9scan_implILNS1_25lookback_scan_determinismE0ELb1ELb1ES3_N6thrust23THRUST_200600_302600_NS6detail15normal_iteratorINS9_10device_ptrIdEEEESE_d11max_functorIdEdEEDaPvRmT3_T4_T5_mT6_P12ihipStream_tbENKUlT_T0_E_clISt17integral_constantIbLb0EESU_EEDaSP_SQ_EUlSP_E0_NS1_11comp_targetILNS1_3genE2ELNS1_11target_archE906ELNS1_3gpuE6ELNS1_3repE0EEENS1_30default_config_static_selectorELNS0_4arch9wavefront6targetE1EEEvT1_.kd
    .uniform_work_group_size: 1
    .uses_dynamic_stack: false
    .vgpr_count:     0
    .vgpr_spill_count: 0
    .wavefront_size: 64
  - .agpr_count:     0
    .args:
      - .offset:         0
        .size:           40
        .value_kind:     by_value
    .group_segment_fixed_size: 0
    .kernarg_segment_align: 8
    .kernarg_segment_size: 40
    .language:       OpenCL C
    .language_version:
      - 2
      - 0
    .max_flat_workgroup_size: 256
    .name:           _ZN7rocprim17ROCPRIM_400000_NS6detail17trampoline_kernelINS0_14default_configENS1_20scan_config_selectorIdEEZZNS1_9scan_implILNS1_25lookback_scan_determinismE0ELb1ELb1ES3_N6thrust23THRUST_200600_302600_NS6detail15normal_iteratorINS9_10device_ptrIdEEEESE_d11max_functorIdEdEEDaPvRmT3_T4_T5_mT6_P12ihipStream_tbENKUlT_T0_E_clISt17integral_constantIbLb0EESU_EEDaSP_SQ_EUlSP_E0_NS1_11comp_targetILNS1_3genE10ELNS1_11target_archE1201ELNS1_3gpuE5ELNS1_3repE0EEENS1_30default_config_static_selectorELNS0_4arch9wavefront6targetE1EEEvT1_
    .private_segment_fixed_size: 0
    .sgpr_count:     4
    .sgpr_spill_count: 0
    .symbol:         _ZN7rocprim17ROCPRIM_400000_NS6detail17trampoline_kernelINS0_14default_configENS1_20scan_config_selectorIdEEZZNS1_9scan_implILNS1_25lookback_scan_determinismE0ELb1ELb1ES3_N6thrust23THRUST_200600_302600_NS6detail15normal_iteratorINS9_10device_ptrIdEEEESE_d11max_functorIdEdEEDaPvRmT3_T4_T5_mT6_P12ihipStream_tbENKUlT_T0_E_clISt17integral_constantIbLb0EESU_EEDaSP_SQ_EUlSP_E0_NS1_11comp_targetILNS1_3genE10ELNS1_11target_archE1201ELNS1_3gpuE5ELNS1_3repE0EEENS1_30default_config_static_selectorELNS0_4arch9wavefront6targetE1EEEvT1_.kd
    .uniform_work_group_size: 1
    .uses_dynamic_stack: false
    .vgpr_count:     0
    .vgpr_spill_count: 0
    .wavefront_size: 64
  - .agpr_count:     0
    .args:
      - .offset:         0
        .size:           40
        .value_kind:     by_value
    .group_segment_fixed_size: 0
    .kernarg_segment_align: 8
    .kernarg_segment_size: 40
    .language:       OpenCL C
    .language_version:
      - 2
      - 0
    .max_flat_workgroup_size: 256
    .name:           _ZN7rocprim17ROCPRIM_400000_NS6detail17trampoline_kernelINS0_14default_configENS1_20scan_config_selectorIdEEZZNS1_9scan_implILNS1_25lookback_scan_determinismE0ELb1ELb1ES3_N6thrust23THRUST_200600_302600_NS6detail15normal_iteratorINS9_10device_ptrIdEEEESE_d11max_functorIdEdEEDaPvRmT3_T4_T5_mT6_P12ihipStream_tbENKUlT_T0_E_clISt17integral_constantIbLb0EESU_EEDaSP_SQ_EUlSP_E0_NS1_11comp_targetILNS1_3genE10ELNS1_11target_archE1200ELNS1_3gpuE4ELNS1_3repE0EEENS1_30default_config_static_selectorELNS0_4arch9wavefront6targetE1EEEvT1_
    .private_segment_fixed_size: 0
    .sgpr_count:     4
    .sgpr_spill_count: 0
    .symbol:         _ZN7rocprim17ROCPRIM_400000_NS6detail17trampoline_kernelINS0_14default_configENS1_20scan_config_selectorIdEEZZNS1_9scan_implILNS1_25lookback_scan_determinismE0ELb1ELb1ES3_N6thrust23THRUST_200600_302600_NS6detail15normal_iteratorINS9_10device_ptrIdEEEESE_d11max_functorIdEdEEDaPvRmT3_T4_T5_mT6_P12ihipStream_tbENKUlT_T0_E_clISt17integral_constantIbLb0EESU_EEDaSP_SQ_EUlSP_E0_NS1_11comp_targetILNS1_3genE10ELNS1_11target_archE1200ELNS1_3gpuE4ELNS1_3repE0EEENS1_30default_config_static_selectorELNS0_4arch9wavefront6targetE1EEEvT1_.kd
    .uniform_work_group_size: 1
    .uses_dynamic_stack: false
    .vgpr_count:     0
    .vgpr_spill_count: 0
    .wavefront_size: 64
  - .agpr_count:     0
    .args:
      - .offset:         0
        .size:           40
        .value_kind:     by_value
    .group_segment_fixed_size: 0
    .kernarg_segment_align: 8
    .kernarg_segment_size: 40
    .language:       OpenCL C
    .language_version:
      - 2
      - 0
    .max_flat_workgroup_size: 256
    .name:           _ZN7rocprim17ROCPRIM_400000_NS6detail17trampoline_kernelINS0_14default_configENS1_20scan_config_selectorIdEEZZNS1_9scan_implILNS1_25lookback_scan_determinismE0ELb1ELb1ES3_N6thrust23THRUST_200600_302600_NS6detail15normal_iteratorINS9_10device_ptrIdEEEESE_d11max_functorIdEdEEDaPvRmT3_T4_T5_mT6_P12ihipStream_tbENKUlT_T0_E_clISt17integral_constantIbLb0EESU_EEDaSP_SQ_EUlSP_E0_NS1_11comp_targetILNS1_3genE9ELNS1_11target_archE1100ELNS1_3gpuE3ELNS1_3repE0EEENS1_30default_config_static_selectorELNS0_4arch9wavefront6targetE1EEEvT1_
    .private_segment_fixed_size: 0
    .sgpr_count:     4
    .sgpr_spill_count: 0
    .symbol:         _ZN7rocprim17ROCPRIM_400000_NS6detail17trampoline_kernelINS0_14default_configENS1_20scan_config_selectorIdEEZZNS1_9scan_implILNS1_25lookback_scan_determinismE0ELb1ELb1ES3_N6thrust23THRUST_200600_302600_NS6detail15normal_iteratorINS9_10device_ptrIdEEEESE_d11max_functorIdEdEEDaPvRmT3_T4_T5_mT6_P12ihipStream_tbENKUlT_T0_E_clISt17integral_constantIbLb0EESU_EEDaSP_SQ_EUlSP_E0_NS1_11comp_targetILNS1_3genE9ELNS1_11target_archE1100ELNS1_3gpuE3ELNS1_3repE0EEENS1_30default_config_static_selectorELNS0_4arch9wavefront6targetE1EEEvT1_.kd
    .uniform_work_group_size: 1
    .uses_dynamic_stack: false
    .vgpr_count:     0
    .vgpr_spill_count: 0
    .wavefront_size: 64
  - .agpr_count:     0
    .args:
      - .offset:         0
        .size:           40
        .value_kind:     by_value
    .group_segment_fixed_size: 0
    .kernarg_segment_align: 8
    .kernarg_segment_size: 40
    .language:       OpenCL C
    .language_version:
      - 2
      - 0
    .max_flat_workgroup_size: 128
    .name:           _ZN7rocprim17ROCPRIM_400000_NS6detail17trampoline_kernelINS0_14default_configENS1_20scan_config_selectorIdEEZZNS1_9scan_implILNS1_25lookback_scan_determinismE0ELb1ELb1ES3_N6thrust23THRUST_200600_302600_NS6detail15normal_iteratorINS9_10device_ptrIdEEEESE_d11max_functorIdEdEEDaPvRmT3_T4_T5_mT6_P12ihipStream_tbENKUlT_T0_E_clISt17integral_constantIbLb0EESU_EEDaSP_SQ_EUlSP_E0_NS1_11comp_targetILNS1_3genE8ELNS1_11target_archE1030ELNS1_3gpuE2ELNS1_3repE0EEENS1_30default_config_static_selectorELNS0_4arch9wavefront6targetE1EEEvT1_
    .private_segment_fixed_size: 0
    .sgpr_count:     4
    .sgpr_spill_count: 0
    .symbol:         _ZN7rocprim17ROCPRIM_400000_NS6detail17trampoline_kernelINS0_14default_configENS1_20scan_config_selectorIdEEZZNS1_9scan_implILNS1_25lookback_scan_determinismE0ELb1ELb1ES3_N6thrust23THRUST_200600_302600_NS6detail15normal_iteratorINS9_10device_ptrIdEEEESE_d11max_functorIdEdEEDaPvRmT3_T4_T5_mT6_P12ihipStream_tbENKUlT_T0_E_clISt17integral_constantIbLb0EESU_EEDaSP_SQ_EUlSP_E0_NS1_11comp_targetILNS1_3genE8ELNS1_11target_archE1030ELNS1_3gpuE2ELNS1_3repE0EEENS1_30default_config_static_selectorELNS0_4arch9wavefront6targetE1EEEvT1_.kd
    .uniform_work_group_size: 1
    .uses_dynamic_stack: false
    .vgpr_count:     0
    .vgpr_spill_count: 0
    .wavefront_size: 64
  - .agpr_count:     0
    .args:
      - .offset:         0
        .size:           104
        .value_kind:     by_value
    .group_segment_fixed_size: 0
    .kernarg_segment_align: 8
    .kernarg_segment_size: 104
    .language:       OpenCL C
    .language_version:
      - 2
      - 0
    .max_flat_workgroup_size: 256
    .name:           _ZN7rocprim17ROCPRIM_400000_NS6detail17trampoline_kernelINS0_14default_configENS1_20scan_config_selectorIdEEZZNS1_9scan_implILNS1_25lookback_scan_determinismE0ELb1ELb1ES3_N6thrust23THRUST_200600_302600_NS6detail15normal_iteratorINS9_10device_ptrIdEEEESE_d11max_functorIdEdEEDaPvRmT3_T4_T5_mT6_P12ihipStream_tbENKUlT_T0_E_clISt17integral_constantIbLb1EESU_EEDaSP_SQ_EUlSP_E_NS1_11comp_targetILNS1_3genE0ELNS1_11target_archE4294967295ELNS1_3gpuE0ELNS1_3repE0EEENS1_30default_config_static_selectorELNS0_4arch9wavefront6targetE1EEEvT1_
    .private_segment_fixed_size: 0
    .sgpr_count:     4
    .sgpr_spill_count: 0
    .symbol:         _ZN7rocprim17ROCPRIM_400000_NS6detail17trampoline_kernelINS0_14default_configENS1_20scan_config_selectorIdEEZZNS1_9scan_implILNS1_25lookback_scan_determinismE0ELb1ELb1ES3_N6thrust23THRUST_200600_302600_NS6detail15normal_iteratorINS9_10device_ptrIdEEEESE_d11max_functorIdEdEEDaPvRmT3_T4_T5_mT6_P12ihipStream_tbENKUlT_T0_E_clISt17integral_constantIbLb1EESU_EEDaSP_SQ_EUlSP_E_NS1_11comp_targetILNS1_3genE0ELNS1_11target_archE4294967295ELNS1_3gpuE0ELNS1_3repE0EEENS1_30default_config_static_selectorELNS0_4arch9wavefront6targetE1EEEvT1_.kd
    .uniform_work_group_size: 1
    .uses_dynamic_stack: false
    .vgpr_count:     0
    .vgpr_spill_count: 0
    .wavefront_size: 64
  - .agpr_count:     0
    .args:
      - .offset:         0
        .size:           104
        .value_kind:     by_value
    .group_segment_fixed_size: 0
    .kernarg_segment_align: 8
    .kernarg_segment_size: 104
    .language:       OpenCL C
    .language_version:
      - 2
      - 0
    .max_flat_workgroup_size: 256
    .name:           _ZN7rocprim17ROCPRIM_400000_NS6detail17trampoline_kernelINS0_14default_configENS1_20scan_config_selectorIdEEZZNS1_9scan_implILNS1_25lookback_scan_determinismE0ELb1ELb1ES3_N6thrust23THRUST_200600_302600_NS6detail15normal_iteratorINS9_10device_ptrIdEEEESE_d11max_functorIdEdEEDaPvRmT3_T4_T5_mT6_P12ihipStream_tbENKUlT_T0_E_clISt17integral_constantIbLb1EESU_EEDaSP_SQ_EUlSP_E_NS1_11comp_targetILNS1_3genE5ELNS1_11target_archE942ELNS1_3gpuE9ELNS1_3repE0EEENS1_30default_config_static_selectorELNS0_4arch9wavefront6targetE1EEEvT1_
    .private_segment_fixed_size: 0
    .sgpr_count:     4
    .sgpr_spill_count: 0
    .symbol:         _ZN7rocprim17ROCPRIM_400000_NS6detail17trampoline_kernelINS0_14default_configENS1_20scan_config_selectorIdEEZZNS1_9scan_implILNS1_25lookback_scan_determinismE0ELb1ELb1ES3_N6thrust23THRUST_200600_302600_NS6detail15normal_iteratorINS9_10device_ptrIdEEEESE_d11max_functorIdEdEEDaPvRmT3_T4_T5_mT6_P12ihipStream_tbENKUlT_T0_E_clISt17integral_constantIbLb1EESU_EEDaSP_SQ_EUlSP_E_NS1_11comp_targetILNS1_3genE5ELNS1_11target_archE942ELNS1_3gpuE9ELNS1_3repE0EEENS1_30default_config_static_selectorELNS0_4arch9wavefront6targetE1EEEvT1_.kd
    .uniform_work_group_size: 1
    .uses_dynamic_stack: false
    .vgpr_count:     0
    .vgpr_spill_count: 0
    .wavefront_size: 64
  - .agpr_count:     0
    .args:
      - .offset:         0
        .size:           104
        .value_kind:     by_value
    .group_segment_fixed_size: 10240
    .kernarg_segment_align: 8
    .kernarg_segment_size: 104
    .language:       OpenCL C
    .language_version:
      - 2
      - 0
    .max_flat_workgroup_size: 128
    .name:           _ZN7rocprim17ROCPRIM_400000_NS6detail17trampoline_kernelINS0_14default_configENS1_20scan_config_selectorIdEEZZNS1_9scan_implILNS1_25lookback_scan_determinismE0ELb1ELb1ES3_N6thrust23THRUST_200600_302600_NS6detail15normal_iteratorINS9_10device_ptrIdEEEESE_d11max_functorIdEdEEDaPvRmT3_T4_T5_mT6_P12ihipStream_tbENKUlT_T0_E_clISt17integral_constantIbLb1EESU_EEDaSP_SQ_EUlSP_E_NS1_11comp_targetILNS1_3genE4ELNS1_11target_archE910ELNS1_3gpuE8ELNS1_3repE0EEENS1_30default_config_static_selectorELNS0_4arch9wavefront6targetE1EEEvT1_
    .private_segment_fixed_size: 0
    .sgpr_count:     44
    .sgpr_spill_count: 0
    .symbol:         _ZN7rocprim17ROCPRIM_400000_NS6detail17trampoline_kernelINS0_14default_configENS1_20scan_config_selectorIdEEZZNS1_9scan_implILNS1_25lookback_scan_determinismE0ELb1ELb1ES3_N6thrust23THRUST_200600_302600_NS6detail15normal_iteratorINS9_10device_ptrIdEEEESE_d11max_functorIdEdEEDaPvRmT3_T4_T5_mT6_P12ihipStream_tbENKUlT_T0_E_clISt17integral_constantIbLb1EESU_EEDaSP_SQ_EUlSP_E_NS1_11comp_targetILNS1_3genE4ELNS1_11target_archE910ELNS1_3gpuE8ELNS1_3repE0EEENS1_30default_config_static_selectorELNS0_4arch9wavefront6targetE1EEEvT1_.kd
    .uniform_work_group_size: 1
    .uses_dynamic_stack: false
    .vgpr_count:     58
    .vgpr_spill_count: 0
    .wavefront_size: 64
  - .agpr_count:     0
    .args:
      - .offset:         0
        .size:           104
        .value_kind:     by_value
    .group_segment_fixed_size: 0
    .kernarg_segment_align: 8
    .kernarg_segment_size: 104
    .language:       OpenCL C
    .language_version:
      - 2
      - 0
    .max_flat_workgroup_size: 256
    .name:           _ZN7rocprim17ROCPRIM_400000_NS6detail17trampoline_kernelINS0_14default_configENS1_20scan_config_selectorIdEEZZNS1_9scan_implILNS1_25lookback_scan_determinismE0ELb1ELb1ES3_N6thrust23THRUST_200600_302600_NS6detail15normal_iteratorINS9_10device_ptrIdEEEESE_d11max_functorIdEdEEDaPvRmT3_T4_T5_mT6_P12ihipStream_tbENKUlT_T0_E_clISt17integral_constantIbLb1EESU_EEDaSP_SQ_EUlSP_E_NS1_11comp_targetILNS1_3genE3ELNS1_11target_archE908ELNS1_3gpuE7ELNS1_3repE0EEENS1_30default_config_static_selectorELNS0_4arch9wavefront6targetE1EEEvT1_
    .private_segment_fixed_size: 0
    .sgpr_count:     4
    .sgpr_spill_count: 0
    .symbol:         _ZN7rocprim17ROCPRIM_400000_NS6detail17trampoline_kernelINS0_14default_configENS1_20scan_config_selectorIdEEZZNS1_9scan_implILNS1_25lookback_scan_determinismE0ELb1ELb1ES3_N6thrust23THRUST_200600_302600_NS6detail15normal_iteratorINS9_10device_ptrIdEEEESE_d11max_functorIdEdEEDaPvRmT3_T4_T5_mT6_P12ihipStream_tbENKUlT_T0_E_clISt17integral_constantIbLb1EESU_EEDaSP_SQ_EUlSP_E_NS1_11comp_targetILNS1_3genE3ELNS1_11target_archE908ELNS1_3gpuE7ELNS1_3repE0EEENS1_30default_config_static_selectorELNS0_4arch9wavefront6targetE1EEEvT1_.kd
    .uniform_work_group_size: 1
    .uses_dynamic_stack: false
    .vgpr_count:     0
    .vgpr_spill_count: 0
    .wavefront_size: 64
  - .agpr_count:     0
    .args:
      - .offset:         0
        .size:           104
        .value_kind:     by_value
    .group_segment_fixed_size: 0
    .kernarg_segment_align: 8
    .kernarg_segment_size: 104
    .language:       OpenCL C
    .language_version:
      - 2
      - 0
    .max_flat_workgroup_size: 128
    .name:           _ZN7rocprim17ROCPRIM_400000_NS6detail17trampoline_kernelINS0_14default_configENS1_20scan_config_selectorIdEEZZNS1_9scan_implILNS1_25lookback_scan_determinismE0ELb1ELb1ES3_N6thrust23THRUST_200600_302600_NS6detail15normal_iteratorINS9_10device_ptrIdEEEESE_d11max_functorIdEdEEDaPvRmT3_T4_T5_mT6_P12ihipStream_tbENKUlT_T0_E_clISt17integral_constantIbLb1EESU_EEDaSP_SQ_EUlSP_E_NS1_11comp_targetILNS1_3genE2ELNS1_11target_archE906ELNS1_3gpuE6ELNS1_3repE0EEENS1_30default_config_static_selectorELNS0_4arch9wavefront6targetE1EEEvT1_
    .private_segment_fixed_size: 0
    .sgpr_count:     4
    .sgpr_spill_count: 0
    .symbol:         _ZN7rocprim17ROCPRIM_400000_NS6detail17trampoline_kernelINS0_14default_configENS1_20scan_config_selectorIdEEZZNS1_9scan_implILNS1_25lookback_scan_determinismE0ELb1ELb1ES3_N6thrust23THRUST_200600_302600_NS6detail15normal_iteratorINS9_10device_ptrIdEEEESE_d11max_functorIdEdEEDaPvRmT3_T4_T5_mT6_P12ihipStream_tbENKUlT_T0_E_clISt17integral_constantIbLb1EESU_EEDaSP_SQ_EUlSP_E_NS1_11comp_targetILNS1_3genE2ELNS1_11target_archE906ELNS1_3gpuE6ELNS1_3repE0EEENS1_30default_config_static_selectorELNS0_4arch9wavefront6targetE1EEEvT1_.kd
    .uniform_work_group_size: 1
    .uses_dynamic_stack: false
    .vgpr_count:     0
    .vgpr_spill_count: 0
    .wavefront_size: 64
  - .agpr_count:     0
    .args:
      - .offset:         0
        .size:           104
        .value_kind:     by_value
    .group_segment_fixed_size: 0
    .kernarg_segment_align: 8
    .kernarg_segment_size: 104
    .language:       OpenCL C
    .language_version:
      - 2
      - 0
    .max_flat_workgroup_size: 256
    .name:           _ZN7rocprim17ROCPRIM_400000_NS6detail17trampoline_kernelINS0_14default_configENS1_20scan_config_selectorIdEEZZNS1_9scan_implILNS1_25lookback_scan_determinismE0ELb1ELb1ES3_N6thrust23THRUST_200600_302600_NS6detail15normal_iteratorINS9_10device_ptrIdEEEESE_d11max_functorIdEdEEDaPvRmT3_T4_T5_mT6_P12ihipStream_tbENKUlT_T0_E_clISt17integral_constantIbLb1EESU_EEDaSP_SQ_EUlSP_E_NS1_11comp_targetILNS1_3genE10ELNS1_11target_archE1201ELNS1_3gpuE5ELNS1_3repE0EEENS1_30default_config_static_selectorELNS0_4arch9wavefront6targetE1EEEvT1_
    .private_segment_fixed_size: 0
    .sgpr_count:     4
    .sgpr_spill_count: 0
    .symbol:         _ZN7rocprim17ROCPRIM_400000_NS6detail17trampoline_kernelINS0_14default_configENS1_20scan_config_selectorIdEEZZNS1_9scan_implILNS1_25lookback_scan_determinismE0ELb1ELb1ES3_N6thrust23THRUST_200600_302600_NS6detail15normal_iteratorINS9_10device_ptrIdEEEESE_d11max_functorIdEdEEDaPvRmT3_T4_T5_mT6_P12ihipStream_tbENKUlT_T0_E_clISt17integral_constantIbLb1EESU_EEDaSP_SQ_EUlSP_E_NS1_11comp_targetILNS1_3genE10ELNS1_11target_archE1201ELNS1_3gpuE5ELNS1_3repE0EEENS1_30default_config_static_selectorELNS0_4arch9wavefront6targetE1EEEvT1_.kd
    .uniform_work_group_size: 1
    .uses_dynamic_stack: false
    .vgpr_count:     0
    .vgpr_spill_count: 0
    .wavefront_size: 64
  - .agpr_count:     0
    .args:
      - .offset:         0
        .size:           104
        .value_kind:     by_value
    .group_segment_fixed_size: 0
    .kernarg_segment_align: 8
    .kernarg_segment_size: 104
    .language:       OpenCL C
    .language_version:
      - 2
      - 0
    .max_flat_workgroup_size: 256
    .name:           _ZN7rocprim17ROCPRIM_400000_NS6detail17trampoline_kernelINS0_14default_configENS1_20scan_config_selectorIdEEZZNS1_9scan_implILNS1_25lookback_scan_determinismE0ELb1ELb1ES3_N6thrust23THRUST_200600_302600_NS6detail15normal_iteratorINS9_10device_ptrIdEEEESE_d11max_functorIdEdEEDaPvRmT3_T4_T5_mT6_P12ihipStream_tbENKUlT_T0_E_clISt17integral_constantIbLb1EESU_EEDaSP_SQ_EUlSP_E_NS1_11comp_targetILNS1_3genE10ELNS1_11target_archE1200ELNS1_3gpuE4ELNS1_3repE0EEENS1_30default_config_static_selectorELNS0_4arch9wavefront6targetE1EEEvT1_
    .private_segment_fixed_size: 0
    .sgpr_count:     4
    .sgpr_spill_count: 0
    .symbol:         _ZN7rocprim17ROCPRIM_400000_NS6detail17trampoline_kernelINS0_14default_configENS1_20scan_config_selectorIdEEZZNS1_9scan_implILNS1_25lookback_scan_determinismE0ELb1ELb1ES3_N6thrust23THRUST_200600_302600_NS6detail15normal_iteratorINS9_10device_ptrIdEEEESE_d11max_functorIdEdEEDaPvRmT3_T4_T5_mT6_P12ihipStream_tbENKUlT_T0_E_clISt17integral_constantIbLb1EESU_EEDaSP_SQ_EUlSP_E_NS1_11comp_targetILNS1_3genE10ELNS1_11target_archE1200ELNS1_3gpuE4ELNS1_3repE0EEENS1_30default_config_static_selectorELNS0_4arch9wavefront6targetE1EEEvT1_.kd
    .uniform_work_group_size: 1
    .uses_dynamic_stack: false
    .vgpr_count:     0
    .vgpr_spill_count: 0
    .wavefront_size: 64
  - .agpr_count:     0
    .args:
      - .offset:         0
        .size:           104
        .value_kind:     by_value
    .group_segment_fixed_size: 0
    .kernarg_segment_align: 8
    .kernarg_segment_size: 104
    .language:       OpenCL C
    .language_version:
      - 2
      - 0
    .max_flat_workgroup_size: 256
    .name:           _ZN7rocprim17ROCPRIM_400000_NS6detail17trampoline_kernelINS0_14default_configENS1_20scan_config_selectorIdEEZZNS1_9scan_implILNS1_25lookback_scan_determinismE0ELb1ELb1ES3_N6thrust23THRUST_200600_302600_NS6detail15normal_iteratorINS9_10device_ptrIdEEEESE_d11max_functorIdEdEEDaPvRmT3_T4_T5_mT6_P12ihipStream_tbENKUlT_T0_E_clISt17integral_constantIbLb1EESU_EEDaSP_SQ_EUlSP_E_NS1_11comp_targetILNS1_3genE9ELNS1_11target_archE1100ELNS1_3gpuE3ELNS1_3repE0EEENS1_30default_config_static_selectorELNS0_4arch9wavefront6targetE1EEEvT1_
    .private_segment_fixed_size: 0
    .sgpr_count:     4
    .sgpr_spill_count: 0
    .symbol:         _ZN7rocprim17ROCPRIM_400000_NS6detail17trampoline_kernelINS0_14default_configENS1_20scan_config_selectorIdEEZZNS1_9scan_implILNS1_25lookback_scan_determinismE0ELb1ELb1ES3_N6thrust23THRUST_200600_302600_NS6detail15normal_iteratorINS9_10device_ptrIdEEEESE_d11max_functorIdEdEEDaPvRmT3_T4_T5_mT6_P12ihipStream_tbENKUlT_T0_E_clISt17integral_constantIbLb1EESU_EEDaSP_SQ_EUlSP_E_NS1_11comp_targetILNS1_3genE9ELNS1_11target_archE1100ELNS1_3gpuE3ELNS1_3repE0EEENS1_30default_config_static_selectorELNS0_4arch9wavefront6targetE1EEEvT1_.kd
    .uniform_work_group_size: 1
    .uses_dynamic_stack: false
    .vgpr_count:     0
    .vgpr_spill_count: 0
    .wavefront_size: 64
  - .agpr_count:     0
    .args:
      - .offset:         0
        .size:           104
        .value_kind:     by_value
    .group_segment_fixed_size: 0
    .kernarg_segment_align: 8
    .kernarg_segment_size: 104
    .language:       OpenCL C
    .language_version:
      - 2
      - 0
    .max_flat_workgroup_size: 128
    .name:           _ZN7rocprim17ROCPRIM_400000_NS6detail17trampoline_kernelINS0_14default_configENS1_20scan_config_selectorIdEEZZNS1_9scan_implILNS1_25lookback_scan_determinismE0ELb1ELb1ES3_N6thrust23THRUST_200600_302600_NS6detail15normal_iteratorINS9_10device_ptrIdEEEESE_d11max_functorIdEdEEDaPvRmT3_T4_T5_mT6_P12ihipStream_tbENKUlT_T0_E_clISt17integral_constantIbLb1EESU_EEDaSP_SQ_EUlSP_E_NS1_11comp_targetILNS1_3genE8ELNS1_11target_archE1030ELNS1_3gpuE2ELNS1_3repE0EEENS1_30default_config_static_selectorELNS0_4arch9wavefront6targetE1EEEvT1_
    .private_segment_fixed_size: 0
    .sgpr_count:     4
    .sgpr_spill_count: 0
    .symbol:         _ZN7rocprim17ROCPRIM_400000_NS6detail17trampoline_kernelINS0_14default_configENS1_20scan_config_selectorIdEEZZNS1_9scan_implILNS1_25lookback_scan_determinismE0ELb1ELb1ES3_N6thrust23THRUST_200600_302600_NS6detail15normal_iteratorINS9_10device_ptrIdEEEESE_d11max_functorIdEdEEDaPvRmT3_T4_T5_mT6_P12ihipStream_tbENKUlT_T0_E_clISt17integral_constantIbLb1EESU_EEDaSP_SQ_EUlSP_E_NS1_11comp_targetILNS1_3genE8ELNS1_11target_archE1030ELNS1_3gpuE2ELNS1_3repE0EEENS1_30default_config_static_selectorELNS0_4arch9wavefront6targetE1EEEvT1_.kd
    .uniform_work_group_size: 1
    .uses_dynamic_stack: false
    .vgpr_count:     0
    .vgpr_spill_count: 0
    .wavefront_size: 64
  - .agpr_count:     0
    .args:
      - .offset:         0
        .size:           40
        .value_kind:     by_value
    .group_segment_fixed_size: 0
    .kernarg_segment_align: 8
    .kernarg_segment_size: 40
    .language:       OpenCL C
    .language_version:
      - 2
      - 0
    .max_flat_workgroup_size: 256
    .name:           _ZN7rocprim17ROCPRIM_400000_NS6detail17trampoline_kernelINS0_14default_configENS1_20scan_config_selectorIdEEZZNS1_9scan_implILNS1_25lookback_scan_determinismE0ELb1ELb1ES3_N6thrust23THRUST_200600_302600_NS6detail15normal_iteratorINS9_10device_ptrIdEEEESE_d11max_functorIdEdEEDaPvRmT3_T4_T5_mT6_P12ihipStream_tbENKUlT_T0_E_clISt17integral_constantIbLb1EESU_EEDaSP_SQ_EUlSP_E0_NS1_11comp_targetILNS1_3genE0ELNS1_11target_archE4294967295ELNS1_3gpuE0ELNS1_3repE0EEENS1_30default_config_static_selectorELNS0_4arch9wavefront6targetE1EEEvT1_
    .private_segment_fixed_size: 0
    .sgpr_count:     4
    .sgpr_spill_count: 0
    .symbol:         _ZN7rocprim17ROCPRIM_400000_NS6detail17trampoline_kernelINS0_14default_configENS1_20scan_config_selectorIdEEZZNS1_9scan_implILNS1_25lookback_scan_determinismE0ELb1ELb1ES3_N6thrust23THRUST_200600_302600_NS6detail15normal_iteratorINS9_10device_ptrIdEEEESE_d11max_functorIdEdEEDaPvRmT3_T4_T5_mT6_P12ihipStream_tbENKUlT_T0_E_clISt17integral_constantIbLb1EESU_EEDaSP_SQ_EUlSP_E0_NS1_11comp_targetILNS1_3genE0ELNS1_11target_archE4294967295ELNS1_3gpuE0ELNS1_3repE0EEENS1_30default_config_static_selectorELNS0_4arch9wavefront6targetE1EEEvT1_.kd
    .uniform_work_group_size: 1
    .uses_dynamic_stack: false
    .vgpr_count:     0
    .vgpr_spill_count: 0
    .wavefront_size: 64
  - .agpr_count:     0
    .args:
      - .offset:         0
        .size:           40
        .value_kind:     by_value
    .group_segment_fixed_size: 0
    .kernarg_segment_align: 8
    .kernarg_segment_size: 40
    .language:       OpenCL C
    .language_version:
      - 2
      - 0
    .max_flat_workgroup_size: 256
    .name:           _ZN7rocprim17ROCPRIM_400000_NS6detail17trampoline_kernelINS0_14default_configENS1_20scan_config_selectorIdEEZZNS1_9scan_implILNS1_25lookback_scan_determinismE0ELb1ELb1ES3_N6thrust23THRUST_200600_302600_NS6detail15normal_iteratorINS9_10device_ptrIdEEEESE_d11max_functorIdEdEEDaPvRmT3_T4_T5_mT6_P12ihipStream_tbENKUlT_T0_E_clISt17integral_constantIbLb1EESU_EEDaSP_SQ_EUlSP_E0_NS1_11comp_targetILNS1_3genE5ELNS1_11target_archE942ELNS1_3gpuE9ELNS1_3repE0EEENS1_30default_config_static_selectorELNS0_4arch9wavefront6targetE1EEEvT1_
    .private_segment_fixed_size: 0
    .sgpr_count:     4
    .sgpr_spill_count: 0
    .symbol:         _ZN7rocprim17ROCPRIM_400000_NS6detail17trampoline_kernelINS0_14default_configENS1_20scan_config_selectorIdEEZZNS1_9scan_implILNS1_25lookback_scan_determinismE0ELb1ELb1ES3_N6thrust23THRUST_200600_302600_NS6detail15normal_iteratorINS9_10device_ptrIdEEEESE_d11max_functorIdEdEEDaPvRmT3_T4_T5_mT6_P12ihipStream_tbENKUlT_T0_E_clISt17integral_constantIbLb1EESU_EEDaSP_SQ_EUlSP_E0_NS1_11comp_targetILNS1_3genE5ELNS1_11target_archE942ELNS1_3gpuE9ELNS1_3repE0EEENS1_30default_config_static_selectorELNS0_4arch9wavefront6targetE1EEEvT1_.kd
    .uniform_work_group_size: 1
    .uses_dynamic_stack: false
    .vgpr_count:     0
    .vgpr_spill_count: 0
    .wavefront_size: 64
  - .agpr_count:     0
    .args:
      - .offset:         0
        .size:           40
        .value_kind:     by_value
    .group_segment_fixed_size: 10240
    .kernarg_segment_align: 8
    .kernarg_segment_size: 40
    .language:       OpenCL C
    .language_version:
      - 2
      - 0
    .max_flat_workgroup_size: 128
    .name:           _ZN7rocprim17ROCPRIM_400000_NS6detail17trampoline_kernelINS0_14default_configENS1_20scan_config_selectorIdEEZZNS1_9scan_implILNS1_25lookback_scan_determinismE0ELb1ELb1ES3_N6thrust23THRUST_200600_302600_NS6detail15normal_iteratorINS9_10device_ptrIdEEEESE_d11max_functorIdEdEEDaPvRmT3_T4_T5_mT6_P12ihipStream_tbENKUlT_T0_E_clISt17integral_constantIbLb1EESU_EEDaSP_SQ_EUlSP_E0_NS1_11comp_targetILNS1_3genE4ELNS1_11target_archE910ELNS1_3gpuE8ELNS1_3repE0EEENS1_30default_config_static_selectorELNS0_4arch9wavefront6targetE1EEEvT1_
    .private_segment_fixed_size: 0
    .sgpr_count:     32
    .sgpr_spill_count: 0
    .symbol:         _ZN7rocprim17ROCPRIM_400000_NS6detail17trampoline_kernelINS0_14default_configENS1_20scan_config_selectorIdEEZZNS1_9scan_implILNS1_25lookback_scan_determinismE0ELb1ELb1ES3_N6thrust23THRUST_200600_302600_NS6detail15normal_iteratorINS9_10device_ptrIdEEEESE_d11max_functorIdEdEEDaPvRmT3_T4_T5_mT6_P12ihipStream_tbENKUlT_T0_E_clISt17integral_constantIbLb1EESU_EEDaSP_SQ_EUlSP_E0_NS1_11comp_targetILNS1_3genE4ELNS1_11target_archE910ELNS1_3gpuE8ELNS1_3repE0EEENS1_30default_config_static_selectorELNS0_4arch9wavefront6targetE1EEEvT1_.kd
    .uniform_work_group_size: 1
    .uses_dynamic_stack: false
    .vgpr_count:     31
    .vgpr_spill_count: 0
    .wavefront_size: 64
  - .agpr_count:     0
    .args:
      - .offset:         0
        .size:           40
        .value_kind:     by_value
    .group_segment_fixed_size: 0
    .kernarg_segment_align: 8
    .kernarg_segment_size: 40
    .language:       OpenCL C
    .language_version:
      - 2
      - 0
    .max_flat_workgroup_size: 256
    .name:           _ZN7rocprim17ROCPRIM_400000_NS6detail17trampoline_kernelINS0_14default_configENS1_20scan_config_selectorIdEEZZNS1_9scan_implILNS1_25lookback_scan_determinismE0ELb1ELb1ES3_N6thrust23THRUST_200600_302600_NS6detail15normal_iteratorINS9_10device_ptrIdEEEESE_d11max_functorIdEdEEDaPvRmT3_T4_T5_mT6_P12ihipStream_tbENKUlT_T0_E_clISt17integral_constantIbLb1EESU_EEDaSP_SQ_EUlSP_E0_NS1_11comp_targetILNS1_3genE3ELNS1_11target_archE908ELNS1_3gpuE7ELNS1_3repE0EEENS1_30default_config_static_selectorELNS0_4arch9wavefront6targetE1EEEvT1_
    .private_segment_fixed_size: 0
    .sgpr_count:     4
    .sgpr_spill_count: 0
    .symbol:         _ZN7rocprim17ROCPRIM_400000_NS6detail17trampoline_kernelINS0_14default_configENS1_20scan_config_selectorIdEEZZNS1_9scan_implILNS1_25lookback_scan_determinismE0ELb1ELb1ES3_N6thrust23THRUST_200600_302600_NS6detail15normal_iteratorINS9_10device_ptrIdEEEESE_d11max_functorIdEdEEDaPvRmT3_T4_T5_mT6_P12ihipStream_tbENKUlT_T0_E_clISt17integral_constantIbLb1EESU_EEDaSP_SQ_EUlSP_E0_NS1_11comp_targetILNS1_3genE3ELNS1_11target_archE908ELNS1_3gpuE7ELNS1_3repE0EEENS1_30default_config_static_selectorELNS0_4arch9wavefront6targetE1EEEvT1_.kd
    .uniform_work_group_size: 1
    .uses_dynamic_stack: false
    .vgpr_count:     0
    .vgpr_spill_count: 0
    .wavefront_size: 64
  - .agpr_count:     0
    .args:
      - .offset:         0
        .size:           40
        .value_kind:     by_value
    .group_segment_fixed_size: 0
    .kernarg_segment_align: 8
    .kernarg_segment_size: 40
    .language:       OpenCL C
    .language_version:
      - 2
      - 0
    .max_flat_workgroup_size: 128
    .name:           _ZN7rocprim17ROCPRIM_400000_NS6detail17trampoline_kernelINS0_14default_configENS1_20scan_config_selectorIdEEZZNS1_9scan_implILNS1_25lookback_scan_determinismE0ELb1ELb1ES3_N6thrust23THRUST_200600_302600_NS6detail15normal_iteratorINS9_10device_ptrIdEEEESE_d11max_functorIdEdEEDaPvRmT3_T4_T5_mT6_P12ihipStream_tbENKUlT_T0_E_clISt17integral_constantIbLb1EESU_EEDaSP_SQ_EUlSP_E0_NS1_11comp_targetILNS1_3genE2ELNS1_11target_archE906ELNS1_3gpuE6ELNS1_3repE0EEENS1_30default_config_static_selectorELNS0_4arch9wavefront6targetE1EEEvT1_
    .private_segment_fixed_size: 0
    .sgpr_count:     4
    .sgpr_spill_count: 0
    .symbol:         _ZN7rocprim17ROCPRIM_400000_NS6detail17trampoline_kernelINS0_14default_configENS1_20scan_config_selectorIdEEZZNS1_9scan_implILNS1_25lookback_scan_determinismE0ELb1ELb1ES3_N6thrust23THRUST_200600_302600_NS6detail15normal_iteratorINS9_10device_ptrIdEEEESE_d11max_functorIdEdEEDaPvRmT3_T4_T5_mT6_P12ihipStream_tbENKUlT_T0_E_clISt17integral_constantIbLb1EESU_EEDaSP_SQ_EUlSP_E0_NS1_11comp_targetILNS1_3genE2ELNS1_11target_archE906ELNS1_3gpuE6ELNS1_3repE0EEENS1_30default_config_static_selectorELNS0_4arch9wavefront6targetE1EEEvT1_.kd
    .uniform_work_group_size: 1
    .uses_dynamic_stack: false
    .vgpr_count:     0
    .vgpr_spill_count: 0
    .wavefront_size: 64
  - .agpr_count:     0
    .args:
      - .offset:         0
        .size:           40
        .value_kind:     by_value
    .group_segment_fixed_size: 0
    .kernarg_segment_align: 8
    .kernarg_segment_size: 40
    .language:       OpenCL C
    .language_version:
      - 2
      - 0
    .max_flat_workgroup_size: 256
    .name:           _ZN7rocprim17ROCPRIM_400000_NS6detail17trampoline_kernelINS0_14default_configENS1_20scan_config_selectorIdEEZZNS1_9scan_implILNS1_25lookback_scan_determinismE0ELb1ELb1ES3_N6thrust23THRUST_200600_302600_NS6detail15normal_iteratorINS9_10device_ptrIdEEEESE_d11max_functorIdEdEEDaPvRmT3_T4_T5_mT6_P12ihipStream_tbENKUlT_T0_E_clISt17integral_constantIbLb1EESU_EEDaSP_SQ_EUlSP_E0_NS1_11comp_targetILNS1_3genE10ELNS1_11target_archE1201ELNS1_3gpuE5ELNS1_3repE0EEENS1_30default_config_static_selectorELNS0_4arch9wavefront6targetE1EEEvT1_
    .private_segment_fixed_size: 0
    .sgpr_count:     4
    .sgpr_spill_count: 0
    .symbol:         _ZN7rocprim17ROCPRIM_400000_NS6detail17trampoline_kernelINS0_14default_configENS1_20scan_config_selectorIdEEZZNS1_9scan_implILNS1_25lookback_scan_determinismE0ELb1ELb1ES3_N6thrust23THRUST_200600_302600_NS6detail15normal_iteratorINS9_10device_ptrIdEEEESE_d11max_functorIdEdEEDaPvRmT3_T4_T5_mT6_P12ihipStream_tbENKUlT_T0_E_clISt17integral_constantIbLb1EESU_EEDaSP_SQ_EUlSP_E0_NS1_11comp_targetILNS1_3genE10ELNS1_11target_archE1201ELNS1_3gpuE5ELNS1_3repE0EEENS1_30default_config_static_selectorELNS0_4arch9wavefront6targetE1EEEvT1_.kd
    .uniform_work_group_size: 1
    .uses_dynamic_stack: false
    .vgpr_count:     0
    .vgpr_spill_count: 0
    .wavefront_size: 64
  - .agpr_count:     0
    .args:
      - .offset:         0
        .size:           40
        .value_kind:     by_value
    .group_segment_fixed_size: 0
    .kernarg_segment_align: 8
    .kernarg_segment_size: 40
    .language:       OpenCL C
    .language_version:
      - 2
      - 0
    .max_flat_workgroup_size: 256
    .name:           _ZN7rocprim17ROCPRIM_400000_NS6detail17trampoline_kernelINS0_14default_configENS1_20scan_config_selectorIdEEZZNS1_9scan_implILNS1_25lookback_scan_determinismE0ELb1ELb1ES3_N6thrust23THRUST_200600_302600_NS6detail15normal_iteratorINS9_10device_ptrIdEEEESE_d11max_functorIdEdEEDaPvRmT3_T4_T5_mT6_P12ihipStream_tbENKUlT_T0_E_clISt17integral_constantIbLb1EESU_EEDaSP_SQ_EUlSP_E0_NS1_11comp_targetILNS1_3genE10ELNS1_11target_archE1200ELNS1_3gpuE4ELNS1_3repE0EEENS1_30default_config_static_selectorELNS0_4arch9wavefront6targetE1EEEvT1_
    .private_segment_fixed_size: 0
    .sgpr_count:     4
    .sgpr_spill_count: 0
    .symbol:         _ZN7rocprim17ROCPRIM_400000_NS6detail17trampoline_kernelINS0_14default_configENS1_20scan_config_selectorIdEEZZNS1_9scan_implILNS1_25lookback_scan_determinismE0ELb1ELb1ES3_N6thrust23THRUST_200600_302600_NS6detail15normal_iteratorINS9_10device_ptrIdEEEESE_d11max_functorIdEdEEDaPvRmT3_T4_T5_mT6_P12ihipStream_tbENKUlT_T0_E_clISt17integral_constantIbLb1EESU_EEDaSP_SQ_EUlSP_E0_NS1_11comp_targetILNS1_3genE10ELNS1_11target_archE1200ELNS1_3gpuE4ELNS1_3repE0EEENS1_30default_config_static_selectorELNS0_4arch9wavefront6targetE1EEEvT1_.kd
    .uniform_work_group_size: 1
    .uses_dynamic_stack: false
    .vgpr_count:     0
    .vgpr_spill_count: 0
    .wavefront_size: 64
  - .agpr_count:     0
    .args:
      - .offset:         0
        .size:           40
        .value_kind:     by_value
    .group_segment_fixed_size: 0
    .kernarg_segment_align: 8
    .kernarg_segment_size: 40
    .language:       OpenCL C
    .language_version:
      - 2
      - 0
    .max_flat_workgroup_size: 256
    .name:           _ZN7rocprim17ROCPRIM_400000_NS6detail17trampoline_kernelINS0_14default_configENS1_20scan_config_selectorIdEEZZNS1_9scan_implILNS1_25lookback_scan_determinismE0ELb1ELb1ES3_N6thrust23THRUST_200600_302600_NS6detail15normal_iteratorINS9_10device_ptrIdEEEESE_d11max_functorIdEdEEDaPvRmT3_T4_T5_mT6_P12ihipStream_tbENKUlT_T0_E_clISt17integral_constantIbLb1EESU_EEDaSP_SQ_EUlSP_E0_NS1_11comp_targetILNS1_3genE9ELNS1_11target_archE1100ELNS1_3gpuE3ELNS1_3repE0EEENS1_30default_config_static_selectorELNS0_4arch9wavefront6targetE1EEEvT1_
    .private_segment_fixed_size: 0
    .sgpr_count:     4
    .sgpr_spill_count: 0
    .symbol:         _ZN7rocprim17ROCPRIM_400000_NS6detail17trampoline_kernelINS0_14default_configENS1_20scan_config_selectorIdEEZZNS1_9scan_implILNS1_25lookback_scan_determinismE0ELb1ELb1ES3_N6thrust23THRUST_200600_302600_NS6detail15normal_iteratorINS9_10device_ptrIdEEEESE_d11max_functorIdEdEEDaPvRmT3_T4_T5_mT6_P12ihipStream_tbENKUlT_T0_E_clISt17integral_constantIbLb1EESU_EEDaSP_SQ_EUlSP_E0_NS1_11comp_targetILNS1_3genE9ELNS1_11target_archE1100ELNS1_3gpuE3ELNS1_3repE0EEENS1_30default_config_static_selectorELNS0_4arch9wavefront6targetE1EEEvT1_.kd
    .uniform_work_group_size: 1
    .uses_dynamic_stack: false
    .vgpr_count:     0
    .vgpr_spill_count: 0
    .wavefront_size: 64
  - .agpr_count:     0
    .args:
      - .offset:         0
        .size:           40
        .value_kind:     by_value
    .group_segment_fixed_size: 0
    .kernarg_segment_align: 8
    .kernarg_segment_size: 40
    .language:       OpenCL C
    .language_version:
      - 2
      - 0
    .max_flat_workgroup_size: 128
    .name:           _ZN7rocprim17ROCPRIM_400000_NS6detail17trampoline_kernelINS0_14default_configENS1_20scan_config_selectorIdEEZZNS1_9scan_implILNS1_25lookback_scan_determinismE0ELb1ELb1ES3_N6thrust23THRUST_200600_302600_NS6detail15normal_iteratorINS9_10device_ptrIdEEEESE_d11max_functorIdEdEEDaPvRmT3_T4_T5_mT6_P12ihipStream_tbENKUlT_T0_E_clISt17integral_constantIbLb1EESU_EEDaSP_SQ_EUlSP_E0_NS1_11comp_targetILNS1_3genE8ELNS1_11target_archE1030ELNS1_3gpuE2ELNS1_3repE0EEENS1_30default_config_static_selectorELNS0_4arch9wavefront6targetE1EEEvT1_
    .private_segment_fixed_size: 0
    .sgpr_count:     4
    .sgpr_spill_count: 0
    .symbol:         _ZN7rocprim17ROCPRIM_400000_NS6detail17trampoline_kernelINS0_14default_configENS1_20scan_config_selectorIdEEZZNS1_9scan_implILNS1_25lookback_scan_determinismE0ELb1ELb1ES3_N6thrust23THRUST_200600_302600_NS6detail15normal_iteratorINS9_10device_ptrIdEEEESE_d11max_functorIdEdEEDaPvRmT3_T4_T5_mT6_P12ihipStream_tbENKUlT_T0_E_clISt17integral_constantIbLb1EESU_EEDaSP_SQ_EUlSP_E0_NS1_11comp_targetILNS1_3genE8ELNS1_11target_archE1030ELNS1_3gpuE2ELNS1_3repE0EEENS1_30default_config_static_selectorELNS0_4arch9wavefront6targetE1EEEvT1_.kd
    .uniform_work_group_size: 1
    .uses_dynamic_stack: false
    .vgpr_count:     0
    .vgpr_spill_count: 0
    .wavefront_size: 64
  - .agpr_count:     0
    .args:
      - .offset:         0
        .size:           104
        .value_kind:     by_value
    .group_segment_fixed_size: 0
    .kernarg_segment_align: 8
    .kernarg_segment_size: 104
    .language:       OpenCL C
    .language_version:
      - 2
      - 0
    .max_flat_workgroup_size: 256
    .name:           _ZN7rocprim17ROCPRIM_400000_NS6detail17trampoline_kernelINS0_14default_configENS1_20scan_config_selectorIdEEZZNS1_9scan_implILNS1_25lookback_scan_determinismE0ELb1ELb1ES3_N6thrust23THRUST_200600_302600_NS6detail15normal_iteratorINS9_10device_ptrIdEEEESE_d11max_functorIdEdEEDaPvRmT3_T4_T5_mT6_P12ihipStream_tbENKUlT_T0_E_clISt17integral_constantIbLb1EEST_IbLb0EEEEDaSP_SQ_EUlSP_E_NS1_11comp_targetILNS1_3genE0ELNS1_11target_archE4294967295ELNS1_3gpuE0ELNS1_3repE0EEENS1_30default_config_static_selectorELNS0_4arch9wavefront6targetE1EEEvT1_
    .private_segment_fixed_size: 0
    .sgpr_count:     4
    .sgpr_spill_count: 0
    .symbol:         _ZN7rocprim17ROCPRIM_400000_NS6detail17trampoline_kernelINS0_14default_configENS1_20scan_config_selectorIdEEZZNS1_9scan_implILNS1_25lookback_scan_determinismE0ELb1ELb1ES3_N6thrust23THRUST_200600_302600_NS6detail15normal_iteratorINS9_10device_ptrIdEEEESE_d11max_functorIdEdEEDaPvRmT3_T4_T5_mT6_P12ihipStream_tbENKUlT_T0_E_clISt17integral_constantIbLb1EEST_IbLb0EEEEDaSP_SQ_EUlSP_E_NS1_11comp_targetILNS1_3genE0ELNS1_11target_archE4294967295ELNS1_3gpuE0ELNS1_3repE0EEENS1_30default_config_static_selectorELNS0_4arch9wavefront6targetE1EEEvT1_.kd
    .uniform_work_group_size: 1
    .uses_dynamic_stack: false
    .vgpr_count:     0
    .vgpr_spill_count: 0
    .wavefront_size: 64
  - .agpr_count:     0
    .args:
      - .offset:         0
        .size:           104
        .value_kind:     by_value
    .group_segment_fixed_size: 0
    .kernarg_segment_align: 8
    .kernarg_segment_size: 104
    .language:       OpenCL C
    .language_version:
      - 2
      - 0
    .max_flat_workgroup_size: 256
    .name:           _ZN7rocprim17ROCPRIM_400000_NS6detail17trampoline_kernelINS0_14default_configENS1_20scan_config_selectorIdEEZZNS1_9scan_implILNS1_25lookback_scan_determinismE0ELb1ELb1ES3_N6thrust23THRUST_200600_302600_NS6detail15normal_iteratorINS9_10device_ptrIdEEEESE_d11max_functorIdEdEEDaPvRmT3_T4_T5_mT6_P12ihipStream_tbENKUlT_T0_E_clISt17integral_constantIbLb1EEST_IbLb0EEEEDaSP_SQ_EUlSP_E_NS1_11comp_targetILNS1_3genE5ELNS1_11target_archE942ELNS1_3gpuE9ELNS1_3repE0EEENS1_30default_config_static_selectorELNS0_4arch9wavefront6targetE1EEEvT1_
    .private_segment_fixed_size: 0
    .sgpr_count:     4
    .sgpr_spill_count: 0
    .symbol:         _ZN7rocprim17ROCPRIM_400000_NS6detail17trampoline_kernelINS0_14default_configENS1_20scan_config_selectorIdEEZZNS1_9scan_implILNS1_25lookback_scan_determinismE0ELb1ELb1ES3_N6thrust23THRUST_200600_302600_NS6detail15normal_iteratorINS9_10device_ptrIdEEEESE_d11max_functorIdEdEEDaPvRmT3_T4_T5_mT6_P12ihipStream_tbENKUlT_T0_E_clISt17integral_constantIbLb1EEST_IbLb0EEEEDaSP_SQ_EUlSP_E_NS1_11comp_targetILNS1_3genE5ELNS1_11target_archE942ELNS1_3gpuE9ELNS1_3repE0EEENS1_30default_config_static_selectorELNS0_4arch9wavefront6targetE1EEEvT1_.kd
    .uniform_work_group_size: 1
    .uses_dynamic_stack: false
    .vgpr_count:     0
    .vgpr_spill_count: 0
    .wavefront_size: 64
  - .agpr_count:     0
    .args:
      - .offset:         0
        .size:           104
        .value_kind:     by_value
    .group_segment_fixed_size: 10240
    .kernarg_segment_align: 8
    .kernarg_segment_size: 104
    .language:       OpenCL C
    .language_version:
      - 2
      - 0
    .max_flat_workgroup_size: 128
    .name:           _ZN7rocprim17ROCPRIM_400000_NS6detail17trampoline_kernelINS0_14default_configENS1_20scan_config_selectorIdEEZZNS1_9scan_implILNS1_25lookback_scan_determinismE0ELb1ELb1ES3_N6thrust23THRUST_200600_302600_NS6detail15normal_iteratorINS9_10device_ptrIdEEEESE_d11max_functorIdEdEEDaPvRmT3_T4_T5_mT6_P12ihipStream_tbENKUlT_T0_E_clISt17integral_constantIbLb1EEST_IbLb0EEEEDaSP_SQ_EUlSP_E_NS1_11comp_targetILNS1_3genE4ELNS1_11target_archE910ELNS1_3gpuE8ELNS1_3repE0EEENS1_30default_config_static_selectorELNS0_4arch9wavefront6targetE1EEEvT1_
    .private_segment_fixed_size: 0
    .sgpr_count:     34
    .sgpr_spill_count: 0
    .symbol:         _ZN7rocprim17ROCPRIM_400000_NS6detail17trampoline_kernelINS0_14default_configENS1_20scan_config_selectorIdEEZZNS1_9scan_implILNS1_25lookback_scan_determinismE0ELb1ELb1ES3_N6thrust23THRUST_200600_302600_NS6detail15normal_iteratorINS9_10device_ptrIdEEEESE_d11max_functorIdEdEEDaPvRmT3_T4_T5_mT6_P12ihipStream_tbENKUlT_T0_E_clISt17integral_constantIbLb1EEST_IbLb0EEEEDaSP_SQ_EUlSP_E_NS1_11comp_targetILNS1_3genE4ELNS1_11target_archE910ELNS1_3gpuE8ELNS1_3repE0EEENS1_30default_config_static_selectorELNS0_4arch9wavefront6targetE1EEEvT1_.kd
    .uniform_work_group_size: 1
    .uses_dynamic_stack: false
    .vgpr_count:     58
    .vgpr_spill_count: 0
    .wavefront_size: 64
  - .agpr_count:     0
    .args:
      - .offset:         0
        .size:           104
        .value_kind:     by_value
    .group_segment_fixed_size: 0
    .kernarg_segment_align: 8
    .kernarg_segment_size: 104
    .language:       OpenCL C
    .language_version:
      - 2
      - 0
    .max_flat_workgroup_size: 256
    .name:           _ZN7rocprim17ROCPRIM_400000_NS6detail17trampoline_kernelINS0_14default_configENS1_20scan_config_selectorIdEEZZNS1_9scan_implILNS1_25lookback_scan_determinismE0ELb1ELb1ES3_N6thrust23THRUST_200600_302600_NS6detail15normal_iteratorINS9_10device_ptrIdEEEESE_d11max_functorIdEdEEDaPvRmT3_T4_T5_mT6_P12ihipStream_tbENKUlT_T0_E_clISt17integral_constantIbLb1EEST_IbLb0EEEEDaSP_SQ_EUlSP_E_NS1_11comp_targetILNS1_3genE3ELNS1_11target_archE908ELNS1_3gpuE7ELNS1_3repE0EEENS1_30default_config_static_selectorELNS0_4arch9wavefront6targetE1EEEvT1_
    .private_segment_fixed_size: 0
    .sgpr_count:     4
    .sgpr_spill_count: 0
    .symbol:         _ZN7rocprim17ROCPRIM_400000_NS6detail17trampoline_kernelINS0_14default_configENS1_20scan_config_selectorIdEEZZNS1_9scan_implILNS1_25lookback_scan_determinismE0ELb1ELb1ES3_N6thrust23THRUST_200600_302600_NS6detail15normal_iteratorINS9_10device_ptrIdEEEESE_d11max_functorIdEdEEDaPvRmT3_T4_T5_mT6_P12ihipStream_tbENKUlT_T0_E_clISt17integral_constantIbLb1EEST_IbLb0EEEEDaSP_SQ_EUlSP_E_NS1_11comp_targetILNS1_3genE3ELNS1_11target_archE908ELNS1_3gpuE7ELNS1_3repE0EEENS1_30default_config_static_selectorELNS0_4arch9wavefront6targetE1EEEvT1_.kd
    .uniform_work_group_size: 1
    .uses_dynamic_stack: false
    .vgpr_count:     0
    .vgpr_spill_count: 0
    .wavefront_size: 64
  - .agpr_count:     0
    .args:
      - .offset:         0
        .size:           104
        .value_kind:     by_value
    .group_segment_fixed_size: 0
    .kernarg_segment_align: 8
    .kernarg_segment_size: 104
    .language:       OpenCL C
    .language_version:
      - 2
      - 0
    .max_flat_workgroup_size: 128
    .name:           _ZN7rocprim17ROCPRIM_400000_NS6detail17trampoline_kernelINS0_14default_configENS1_20scan_config_selectorIdEEZZNS1_9scan_implILNS1_25lookback_scan_determinismE0ELb1ELb1ES3_N6thrust23THRUST_200600_302600_NS6detail15normal_iteratorINS9_10device_ptrIdEEEESE_d11max_functorIdEdEEDaPvRmT3_T4_T5_mT6_P12ihipStream_tbENKUlT_T0_E_clISt17integral_constantIbLb1EEST_IbLb0EEEEDaSP_SQ_EUlSP_E_NS1_11comp_targetILNS1_3genE2ELNS1_11target_archE906ELNS1_3gpuE6ELNS1_3repE0EEENS1_30default_config_static_selectorELNS0_4arch9wavefront6targetE1EEEvT1_
    .private_segment_fixed_size: 0
    .sgpr_count:     4
    .sgpr_spill_count: 0
    .symbol:         _ZN7rocprim17ROCPRIM_400000_NS6detail17trampoline_kernelINS0_14default_configENS1_20scan_config_selectorIdEEZZNS1_9scan_implILNS1_25lookback_scan_determinismE0ELb1ELb1ES3_N6thrust23THRUST_200600_302600_NS6detail15normal_iteratorINS9_10device_ptrIdEEEESE_d11max_functorIdEdEEDaPvRmT3_T4_T5_mT6_P12ihipStream_tbENKUlT_T0_E_clISt17integral_constantIbLb1EEST_IbLb0EEEEDaSP_SQ_EUlSP_E_NS1_11comp_targetILNS1_3genE2ELNS1_11target_archE906ELNS1_3gpuE6ELNS1_3repE0EEENS1_30default_config_static_selectorELNS0_4arch9wavefront6targetE1EEEvT1_.kd
    .uniform_work_group_size: 1
    .uses_dynamic_stack: false
    .vgpr_count:     0
    .vgpr_spill_count: 0
    .wavefront_size: 64
  - .agpr_count:     0
    .args:
      - .offset:         0
        .size:           104
        .value_kind:     by_value
    .group_segment_fixed_size: 0
    .kernarg_segment_align: 8
    .kernarg_segment_size: 104
    .language:       OpenCL C
    .language_version:
      - 2
      - 0
    .max_flat_workgroup_size: 256
    .name:           _ZN7rocprim17ROCPRIM_400000_NS6detail17trampoline_kernelINS0_14default_configENS1_20scan_config_selectorIdEEZZNS1_9scan_implILNS1_25lookback_scan_determinismE0ELb1ELb1ES3_N6thrust23THRUST_200600_302600_NS6detail15normal_iteratorINS9_10device_ptrIdEEEESE_d11max_functorIdEdEEDaPvRmT3_T4_T5_mT6_P12ihipStream_tbENKUlT_T0_E_clISt17integral_constantIbLb1EEST_IbLb0EEEEDaSP_SQ_EUlSP_E_NS1_11comp_targetILNS1_3genE10ELNS1_11target_archE1201ELNS1_3gpuE5ELNS1_3repE0EEENS1_30default_config_static_selectorELNS0_4arch9wavefront6targetE1EEEvT1_
    .private_segment_fixed_size: 0
    .sgpr_count:     4
    .sgpr_spill_count: 0
    .symbol:         _ZN7rocprim17ROCPRIM_400000_NS6detail17trampoline_kernelINS0_14default_configENS1_20scan_config_selectorIdEEZZNS1_9scan_implILNS1_25lookback_scan_determinismE0ELb1ELb1ES3_N6thrust23THRUST_200600_302600_NS6detail15normal_iteratorINS9_10device_ptrIdEEEESE_d11max_functorIdEdEEDaPvRmT3_T4_T5_mT6_P12ihipStream_tbENKUlT_T0_E_clISt17integral_constantIbLb1EEST_IbLb0EEEEDaSP_SQ_EUlSP_E_NS1_11comp_targetILNS1_3genE10ELNS1_11target_archE1201ELNS1_3gpuE5ELNS1_3repE0EEENS1_30default_config_static_selectorELNS0_4arch9wavefront6targetE1EEEvT1_.kd
    .uniform_work_group_size: 1
    .uses_dynamic_stack: false
    .vgpr_count:     0
    .vgpr_spill_count: 0
    .wavefront_size: 64
  - .agpr_count:     0
    .args:
      - .offset:         0
        .size:           104
        .value_kind:     by_value
    .group_segment_fixed_size: 0
    .kernarg_segment_align: 8
    .kernarg_segment_size: 104
    .language:       OpenCL C
    .language_version:
      - 2
      - 0
    .max_flat_workgroup_size: 256
    .name:           _ZN7rocprim17ROCPRIM_400000_NS6detail17trampoline_kernelINS0_14default_configENS1_20scan_config_selectorIdEEZZNS1_9scan_implILNS1_25lookback_scan_determinismE0ELb1ELb1ES3_N6thrust23THRUST_200600_302600_NS6detail15normal_iteratorINS9_10device_ptrIdEEEESE_d11max_functorIdEdEEDaPvRmT3_T4_T5_mT6_P12ihipStream_tbENKUlT_T0_E_clISt17integral_constantIbLb1EEST_IbLb0EEEEDaSP_SQ_EUlSP_E_NS1_11comp_targetILNS1_3genE10ELNS1_11target_archE1200ELNS1_3gpuE4ELNS1_3repE0EEENS1_30default_config_static_selectorELNS0_4arch9wavefront6targetE1EEEvT1_
    .private_segment_fixed_size: 0
    .sgpr_count:     4
    .sgpr_spill_count: 0
    .symbol:         _ZN7rocprim17ROCPRIM_400000_NS6detail17trampoline_kernelINS0_14default_configENS1_20scan_config_selectorIdEEZZNS1_9scan_implILNS1_25lookback_scan_determinismE0ELb1ELb1ES3_N6thrust23THRUST_200600_302600_NS6detail15normal_iteratorINS9_10device_ptrIdEEEESE_d11max_functorIdEdEEDaPvRmT3_T4_T5_mT6_P12ihipStream_tbENKUlT_T0_E_clISt17integral_constantIbLb1EEST_IbLb0EEEEDaSP_SQ_EUlSP_E_NS1_11comp_targetILNS1_3genE10ELNS1_11target_archE1200ELNS1_3gpuE4ELNS1_3repE0EEENS1_30default_config_static_selectorELNS0_4arch9wavefront6targetE1EEEvT1_.kd
    .uniform_work_group_size: 1
    .uses_dynamic_stack: false
    .vgpr_count:     0
    .vgpr_spill_count: 0
    .wavefront_size: 64
  - .agpr_count:     0
    .args:
      - .offset:         0
        .size:           104
        .value_kind:     by_value
    .group_segment_fixed_size: 0
    .kernarg_segment_align: 8
    .kernarg_segment_size: 104
    .language:       OpenCL C
    .language_version:
      - 2
      - 0
    .max_flat_workgroup_size: 256
    .name:           _ZN7rocprim17ROCPRIM_400000_NS6detail17trampoline_kernelINS0_14default_configENS1_20scan_config_selectorIdEEZZNS1_9scan_implILNS1_25lookback_scan_determinismE0ELb1ELb1ES3_N6thrust23THRUST_200600_302600_NS6detail15normal_iteratorINS9_10device_ptrIdEEEESE_d11max_functorIdEdEEDaPvRmT3_T4_T5_mT6_P12ihipStream_tbENKUlT_T0_E_clISt17integral_constantIbLb1EEST_IbLb0EEEEDaSP_SQ_EUlSP_E_NS1_11comp_targetILNS1_3genE9ELNS1_11target_archE1100ELNS1_3gpuE3ELNS1_3repE0EEENS1_30default_config_static_selectorELNS0_4arch9wavefront6targetE1EEEvT1_
    .private_segment_fixed_size: 0
    .sgpr_count:     4
    .sgpr_spill_count: 0
    .symbol:         _ZN7rocprim17ROCPRIM_400000_NS6detail17trampoline_kernelINS0_14default_configENS1_20scan_config_selectorIdEEZZNS1_9scan_implILNS1_25lookback_scan_determinismE0ELb1ELb1ES3_N6thrust23THRUST_200600_302600_NS6detail15normal_iteratorINS9_10device_ptrIdEEEESE_d11max_functorIdEdEEDaPvRmT3_T4_T5_mT6_P12ihipStream_tbENKUlT_T0_E_clISt17integral_constantIbLb1EEST_IbLb0EEEEDaSP_SQ_EUlSP_E_NS1_11comp_targetILNS1_3genE9ELNS1_11target_archE1100ELNS1_3gpuE3ELNS1_3repE0EEENS1_30default_config_static_selectorELNS0_4arch9wavefront6targetE1EEEvT1_.kd
    .uniform_work_group_size: 1
    .uses_dynamic_stack: false
    .vgpr_count:     0
    .vgpr_spill_count: 0
    .wavefront_size: 64
  - .agpr_count:     0
    .args:
      - .offset:         0
        .size:           104
        .value_kind:     by_value
    .group_segment_fixed_size: 0
    .kernarg_segment_align: 8
    .kernarg_segment_size: 104
    .language:       OpenCL C
    .language_version:
      - 2
      - 0
    .max_flat_workgroup_size: 128
    .name:           _ZN7rocprim17ROCPRIM_400000_NS6detail17trampoline_kernelINS0_14default_configENS1_20scan_config_selectorIdEEZZNS1_9scan_implILNS1_25lookback_scan_determinismE0ELb1ELb1ES3_N6thrust23THRUST_200600_302600_NS6detail15normal_iteratorINS9_10device_ptrIdEEEESE_d11max_functorIdEdEEDaPvRmT3_T4_T5_mT6_P12ihipStream_tbENKUlT_T0_E_clISt17integral_constantIbLb1EEST_IbLb0EEEEDaSP_SQ_EUlSP_E_NS1_11comp_targetILNS1_3genE8ELNS1_11target_archE1030ELNS1_3gpuE2ELNS1_3repE0EEENS1_30default_config_static_selectorELNS0_4arch9wavefront6targetE1EEEvT1_
    .private_segment_fixed_size: 0
    .sgpr_count:     4
    .sgpr_spill_count: 0
    .symbol:         _ZN7rocprim17ROCPRIM_400000_NS6detail17trampoline_kernelINS0_14default_configENS1_20scan_config_selectorIdEEZZNS1_9scan_implILNS1_25lookback_scan_determinismE0ELb1ELb1ES3_N6thrust23THRUST_200600_302600_NS6detail15normal_iteratorINS9_10device_ptrIdEEEESE_d11max_functorIdEdEEDaPvRmT3_T4_T5_mT6_P12ihipStream_tbENKUlT_T0_E_clISt17integral_constantIbLb1EEST_IbLb0EEEEDaSP_SQ_EUlSP_E_NS1_11comp_targetILNS1_3genE8ELNS1_11target_archE1030ELNS1_3gpuE2ELNS1_3repE0EEENS1_30default_config_static_selectorELNS0_4arch9wavefront6targetE1EEEvT1_.kd
    .uniform_work_group_size: 1
    .uses_dynamic_stack: false
    .vgpr_count:     0
    .vgpr_spill_count: 0
    .wavefront_size: 64
  - .agpr_count:     0
    .args:
      - .offset:         0
        .size:           40
        .value_kind:     by_value
    .group_segment_fixed_size: 0
    .kernarg_segment_align: 8
    .kernarg_segment_size: 40
    .language:       OpenCL C
    .language_version:
      - 2
      - 0
    .max_flat_workgroup_size: 256
    .name:           _ZN7rocprim17ROCPRIM_400000_NS6detail17trampoline_kernelINS0_14default_configENS1_20scan_config_selectorIdEEZZNS1_9scan_implILNS1_25lookback_scan_determinismE0ELb1ELb1ES3_N6thrust23THRUST_200600_302600_NS6detail15normal_iteratorINS9_10device_ptrIdEEEESE_d11max_functorIdEdEEDaPvRmT3_T4_T5_mT6_P12ihipStream_tbENKUlT_T0_E_clISt17integral_constantIbLb1EEST_IbLb0EEEEDaSP_SQ_EUlSP_E0_NS1_11comp_targetILNS1_3genE0ELNS1_11target_archE4294967295ELNS1_3gpuE0ELNS1_3repE0EEENS1_30default_config_static_selectorELNS0_4arch9wavefront6targetE1EEEvT1_
    .private_segment_fixed_size: 0
    .sgpr_count:     4
    .sgpr_spill_count: 0
    .symbol:         _ZN7rocprim17ROCPRIM_400000_NS6detail17trampoline_kernelINS0_14default_configENS1_20scan_config_selectorIdEEZZNS1_9scan_implILNS1_25lookback_scan_determinismE0ELb1ELb1ES3_N6thrust23THRUST_200600_302600_NS6detail15normal_iteratorINS9_10device_ptrIdEEEESE_d11max_functorIdEdEEDaPvRmT3_T4_T5_mT6_P12ihipStream_tbENKUlT_T0_E_clISt17integral_constantIbLb1EEST_IbLb0EEEEDaSP_SQ_EUlSP_E0_NS1_11comp_targetILNS1_3genE0ELNS1_11target_archE4294967295ELNS1_3gpuE0ELNS1_3repE0EEENS1_30default_config_static_selectorELNS0_4arch9wavefront6targetE1EEEvT1_.kd
    .uniform_work_group_size: 1
    .uses_dynamic_stack: false
    .vgpr_count:     0
    .vgpr_spill_count: 0
    .wavefront_size: 64
  - .agpr_count:     0
    .args:
      - .offset:         0
        .size:           40
        .value_kind:     by_value
    .group_segment_fixed_size: 0
    .kernarg_segment_align: 8
    .kernarg_segment_size: 40
    .language:       OpenCL C
    .language_version:
      - 2
      - 0
    .max_flat_workgroup_size: 256
    .name:           _ZN7rocprim17ROCPRIM_400000_NS6detail17trampoline_kernelINS0_14default_configENS1_20scan_config_selectorIdEEZZNS1_9scan_implILNS1_25lookback_scan_determinismE0ELb1ELb1ES3_N6thrust23THRUST_200600_302600_NS6detail15normal_iteratorINS9_10device_ptrIdEEEESE_d11max_functorIdEdEEDaPvRmT3_T4_T5_mT6_P12ihipStream_tbENKUlT_T0_E_clISt17integral_constantIbLb1EEST_IbLb0EEEEDaSP_SQ_EUlSP_E0_NS1_11comp_targetILNS1_3genE5ELNS1_11target_archE942ELNS1_3gpuE9ELNS1_3repE0EEENS1_30default_config_static_selectorELNS0_4arch9wavefront6targetE1EEEvT1_
    .private_segment_fixed_size: 0
    .sgpr_count:     4
    .sgpr_spill_count: 0
    .symbol:         _ZN7rocprim17ROCPRIM_400000_NS6detail17trampoline_kernelINS0_14default_configENS1_20scan_config_selectorIdEEZZNS1_9scan_implILNS1_25lookback_scan_determinismE0ELb1ELb1ES3_N6thrust23THRUST_200600_302600_NS6detail15normal_iteratorINS9_10device_ptrIdEEEESE_d11max_functorIdEdEEDaPvRmT3_T4_T5_mT6_P12ihipStream_tbENKUlT_T0_E_clISt17integral_constantIbLb1EEST_IbLb0EEEEDaSP_SQ_EUlSP_E0_NS1_11comp_targetILNS1_3genE5ELNS1_11target_archE942ELNS1_3gpuE9ELNS1_3repE0EEENS1_30default_config_static_selectorELNS0_4arch9wavefront6targetE1EEEvT1_.kd
    .uniform_work_group_size: 1
    .uses_dynamic_stack: false
    .vgpr_count:     0
    .vgpr_spill_count: 0
    .wavefront_size: 64
  - .agpr_count:     0
    .args:
      - .offset:         0
        .size:           40
        .value_kind:     by_value
    .group_segment_fixed_size: 10240
    .kernarg_segment_align: 8
    .kernarg_segment_size: 40
    .language:       OpenCL C
    .language_version:
      - 2
      - 0
    .max_flat_workgroup_size: 128
    .name:           _ZN7rocprim17ROCPRIM_400000_NS6detail17trampoline_kernelINS0_14default_configENS1_20scan_config_selectorIdEEZZNS1_9scan_implILNS1_25lookback_scan_determinismE0ELb1ELb1ES3_N6thrust23THRUST_200600_302600_NS6detail15normal_iteratorINS9_10device_ptrIdEEEESE_d11max_functorIdEdEEDaPvRmT3_T4_T5_mT6_P12ihipStream_tbENKUlT_T0_E_clISt17integral_constantIbLb1EEST_IbLb0EEEEDaSP_SQ_EUlSP_E0_NS1_11comp_targetILNS1_3genE4ELNS1_11target_archE910ELNS1_3gpuE8ELNS1_3repE0EEENS1_30default_config_static_selectorELNS0_4arch9wavefront6targetE1EEEvT1_
    .private_segment_fixed_size: 0
    .sgpr_count:     32
    .sgpr_spill_count: 0
    .symbol:         _ZN7rocprim17ROCPRIM_400000_NS6detail17trampoline_kernelINS0_14default_configENS1_20scan_config_selectorIdEEZZNS1_9scan_implILNS1_25lookback_scan_determinismE0ELb1ELb1ES3_N6thrust23THRUST_200600_302600_NS6detail15normal_iteratorINS9_10device_ptrIdEEEESE_d11max_functorIdEdEEDaPvRmT3_T4_T5_mT6_P12ihipStream_tbENKUlT_T0_E_clISt17integral_constantIbLb1EEST_IbLb0EEEEDaSP_SQ_EUlSP_E0_NS1_11comp_targetILNS1_3genE4ELNS1_11target_archE910ELNS1_3gpuE8ELNS1_3repE0EEENS1_30default_config_static_selectorELNS0_4arch9wavefront6targetE1EEEvT1_.kd
    .uniform_work_group_size: 1
    .uses_dynamic_stack: false
    .vgpr_count:     31
    .vgpr_spill_count: 0
    .wavefront_size: 64
  - .agpr_count:     0
    .args:
      - .offset:         0
        .size:           40
        .value_kind:     by_value
    .group_segment_fixed_size: 0
    .kernarg_segment_align: 8
    .kernarg_segment_size: 40
    .language:       OpenCL C
    .language_version:
      - 2
      - 0
    .max_flat_workgroup_size: 256
    .name:           _ZN7rocprim17ROCPRIM_400000_NS6detail17trampoline_kernelINS0_14default_configENS1_20scan_config_selectorIdEEZZNS1_9scan_implILNS1_25lookback_scan_determinismE0ELb1ELb1ES3_N6thrust23THRUST_200600_302600_NS6detail15normal_iteratorINS9_10device_ptrIdEEEESE_d11max_functorIdEdEEDaPvRmT3_T4_T5_mT6_P12ihipStream_tbENKUlT_T0_E_clISt17integral_constantIbLb1EEST_IbLb0EEEEDaSP_SQ_EUlSP_E0_NS1_11comp_targetILNS1_3genE3ELNS1_11target_archE908ELNS1_3gpuE7ELNS1_3repE0EEENS1_30default_config_static_selectorELNS0_4arch9wavefront6targetE1EEEvT1_
    .private_segment_fixed_size: 0
    .sgpr_count:     4
    .sgpr_spill_count: 0
    .symbol:         _ZN7rocprim17ROCPRIM_400000_NS6detail17trampoline_kernelINS0_14default_configENS1_20scan_config_selectorIdEEZZNS1_9scan_implILNS1_25lookback_scan_determinismE0ELb1ELb1ES3_N6thrust23THRUST_200600_302600_NS6detail15normal_iteratorINS9_10device_ptrIdEEEESE_d11max_functorIdEdEEDaPvRmT3_T4_T5_mT6_P12ihipStream_tbENKUlT_T0_E_clISt17integral_constantIbLb1EEST_IbLb0EEEEDaSP_SQ_EUlSP_E0_NS1_11comp_targetILNS1_3genE3ELNS1_11target_archE908ELNS1_3gpuE7ELNS1_3repE0EEENS1_30default_config_static_selectorELNS0_4arch9wavefront6targetE1EEEvT1_.kd
    .uniform_work_group_size: 1
    .uses_dynamic_stack: false
    .vgpr_count:     0
    .vgpr_spill_count: 0
    .wavefront_size: 64
  - .agpr_count:     0
    .args:
      - .offset:         0
        .size:           40
        .value_kind:     by_value
    .group_segment_fixed_size: 0
    .kernarg_segment_align: 8
    .kernarg_segment_size: 40
    .language:       OpenCL C
    .language_version:
      - 2
      - 0
    .max_flat_workgroup_size: 128
    .name:           _ZN7rocprim17ROCPRIM_400000_NS6detail17trampoline_kernelINS0_14default_configENS1_20scan_config_selectorIdEEZZNS1_9scan_implILNS1_25lookback_scan_determinismE0ELb1ELb1ES3_N6thrust23THRUST_200600_302600_NS6detail15normal_iteratorINS9_10device_ptrIdEEEESE_d11max_functorIdEdEEDaPvRmT3_T4_T5_mT6_P12ihipStream_tbENKUlT_T0_E_clISt17integral_constantIbLb1EEST_IbLb0EEEEDaSP_SQ_EUlSP_E0_NS1_11comp_targetILNS1_3genE2ELNS1_11target_archE906ELNS1_3gpuE6ELNS1_3repE0EEENS1_30default_config_static_selectorELNS0_4arch9wavefront6targetE1EEEvT1_
    .private_segment_fixed_size: 0
    .sgpr_count:     4
    .sgpr_spill_count: 0
    .symbol:         _ZN7rocprim17ROCPRIM_400000_NS6detail17trampoline_kernelINS0_14default_configENS1_20scan_config_selectorIdEEZZNS1_9scan_implILNS1_25lookback_scan_determinismE0ELb1ELb1ES3_N6thrust23THRUST_200600_302600_NS6detail15normal_iteratorINS9_10device_ptrIdEEEESE_d11max_functorIdEdEEDaPvRmT3_T4_T5_mT6_P12ihipStream_tbENKUlT_T0_E_clISt17integral_constantIbLb1EEST_IbLb0EEEEDaSP_SQ_EUlSP_E0_NS1_11comp_targetILNS1_3genE2ELNS1_11target_archE906ELNS1_3gpuE6ELNS1_3repE0EEENS1_30default_config_static_selectorELNS0_4arch9wavefront6targetE1EEEvT1_.kd
    .uniform_work_group_size: 1
    .uses_dynamic_stack: false
    .vgpr_count:     0
    .vgpr_spill_count: 0
    .wavefront_size: 64
  - .agpr_count:     0
    .args:
      - .offset:         0
        .size:           40
        .value_kind:     by_value
    .group_segment_fixed_size: 0
    .kernarg_segment_align: 8
    .kernarg_segment_size: 40
    .language:       OpenCL C
    .language_version:
      - 2
      - 0
    .max_flat_workgroup_size: 256
    .name:           _ZN7rocprim17ROCPRIM_400000_NS6detail17trampoline_kernelINS0_14default_configENS1_20scan_config_selectorIdEEZZNS1_9scan_implILNS1_25lookback_scan_determinismE0ELb1ELb1ES3_N6thrust23THRUST_200600_302600_NS6detail15normal_iteratorINS9_10device_ptrIdEEEESE_d11max_functorIdEdEEDaPvRmT3_T4_T5_mT6_P12ihipStream_tbENKUlT_T0_E_clISt17integral_constantIbLb1EEST_IbLb0EEEEDaSP_SQ_EUlSP_E0_NS1_11comp_targetILNS1_3genE10ELNS1_11target_archE1201ELNS1_3gpuE5ELNS1_3repE0EEENS1_30default_config_static_selectorELNS0_4arch9wavefront6targetE1EEEvT1_
    .private_segment_fixed_size: 0
    .sgpr_count:     4
    .sgpr_spill_count: 0
    .symbol:         _ZN7rocprim17ROCPRIM_400000_NS6detail17trampoline_kernelINS0_14default_configENS1_20scan_config_selectorIdEEZZNS1_9scan_implILNS1_25lookback_scan_determinismE0ELb1ELb1ES3_N6thrust23THRUST_200600_302600_NS6detail15normal_iteratorINS9_10device_ptrIdEEEESE_d11max_functorIdEdEEDaPvRmT3_T4_T5_mT6_P12ihipStream_tbENKUlT_T0_E_clISt17integral_constantIbLb1EEST_IbLb0EEEEDaSP_SQ_EUlSP_E0_NS1_11comp_targetILNS1_3genE10ELNS1_11target_archE1201ELNS1_3gpuE5ELNS1_3repE0EEENS1_30default_config_static_selectorELNS0_4arch9wavefront6targetE1EEEvT1_.kd
    .uniform_work_group_size: 1
    .uses_dynamic_stack: false
    .vgpr_count:     0
    .vgpr_spill_count: 0
    .wavefront_size: 64
  - .agpr_count:     0
    .args:
      - .offset:         0
        .size:           40
        .value_kind:     by_value
    .group_segment_fixed_size: 0
    .kernarg_segment_align: 8
    .kernarg_segment_size: 40
    .language:       OpenCL C
    .language_version:
      - 2
      - 0
    .max_flat_workgroup_size: 256
    .name:           _ZN7rocprim17ROCPRIM_400000_NS6detail17trampoline_kernelINS0_14default_configENS1_20scan_config_selectorIdEEZZNS1_9scan_implILNS1_25lookback_scan_determinismE0ELb1ELb1ES3_N6thrust23THRUST_200600_302600_NS6detail15normal_iteratorINS9_10device_ptrIdEEEESE_d11max_functorIdEdEEDaPvRmT3_T4_T5_mT6_P12ihipStream_tbENKUlT_T0_E_clISt17integral_constantIbLb1EEST_IbLb0EEEEDaSP_SQ_EUlSP_E0_NS1_11comp_targetILNS1_3genE10ELNS1_11target_archE1200ELNS1_3gpuE4ELNS1_3repE0EEENS1_30default_config_static_selectorELNS0_4arch9wavefront6targetE1EEEvT1_
    .private_segment_fixed_size: 0
    .sgpr_count:     4
    .sgpr_spill_count: 0
    .symbol:         _ZN7rocprim17ROCPRIM_400000_NS6detail17trampoline_kernelINS0_14default_configENS1_20scan_config_selectorIdEEZZNS1_9scan_implILNS1_25lookback_scan_determinismE0ELb1ELb1ES3_N6thrust23THRUST_200600_302600_NS6detail15normal_iteratorINS9_10device_ptrIdEEEESE_d11max_functorIdEdEEDaPvRmT3_T4_T5_mT6_P12ihipStream_tbENKUlT_T0_E_clISt17integral_constantIbLb1EEST_IbLb0EEEEDaSP_SQ_EUlSP_E0_NS1_11comp_targetILNS1_3genE10ELNS1_11target_archE1200ELNS1_3gpuE4ELNS1_3repE0EEENS1_30default_config_static_selectorELNS0_4arch9wavefront6targetE1EEEvT1_.kd
    .uniform_work_group_size: 1
    .uses_dynamic_stack: false
    .vgpr_count:     0
    .vgpr_spill_count: 0
    .wavefront_size: 64
  - .agpr_count:     0
    .args:
      - .offset:         0
        .size:           40
        .value_kind:     by_value
    .group_segment_fixed_size: 0
    .kernarg_segment_align: 8
    .kernarg_segment_size: 40
    .language:       OpenCL C
    .language_version:
      - 2
      - 0
    .max_flat_workgroup_size: 256
    .name:           _ZN7rocprim17ROCPRIM_400000_NS6detail17trampoline_kernelINS0_14default_configENS1_20scan_config_selectorIdEEZZNS1_9scan_implILNS1_25lookback_scan_determinismE0ELb1ELb1ES3_N6thrust23THRUST_200600_302600_NS6detail15normal_iteratorINS9_10device_ptrIdEEEESE_d11max_functorIdEdEEDaPvRmT3_T4_T5_mT6_P12ihipStream_tbENKUlT_T0_E_clISt17integral_constantIbLb1EEST_IbLb0EEEEDaSP_SQ_EUlSP_E0_NS1_11comp_targetILNS1_3genE9ELNS1_11target_archE1100ELNS1_3gpuE3ELNS1_3repE0EEENS1_30default_config_static_selectorELNS0_4arch9wavefront6targetE1EEEvT1_
    .private_segment_fixed_size: 0
    .sgpr_count:     4
    .sgpr_spill_count: 0
    .symbol:         _ZN7rocprim17ROCPRIM_400000_NS6detail17trampoline_kernelINS0_14default_configENS1_20scan_config_selectorIdEEZZNS1_9scan_implILNS1_25lookback_scan_determinismE0ELb1ELb1ES3_N6thrust23THRUST_200600_302600_NS6detail15normal_iteratorINS9_10device_ptrIdEEEESE_d11max_functorIdEdEEDaPvRmT3_T4_T5_mT6_P12ihipStream_tbENKUlT_T0_E_clISt17integral_constantIbLb1EEST_IbLb0EEEEDaSP_SQ_EUlSP_E0_NS1_11comp_targetILNS1_3genE9ELNS1_11target_archE1100ELNS1_3gpuE3ELNS1_3repE0EEENS1_30default_config_static_selectorELNS0_4arch9wavefront6targetE1EEEvT1_.kd
    .uniform_work_group_size: 1
    .uses_dynamic_stack: false
    .vgpr_count:     0
    .vgpr_spill_count: 0
    .wavefront_size: 64
  - .agpr_count:     0
    .args:
      - .offset:         0
        .size:           40
        .value_kind:     by_value
    .group_segment_fixed_size: 0
    .kernarg_segment_align: 8
    .kernarg_segment_size: 40
    .language:       OpenCL C
    .language_version:
      - 2
      - 0
    .max_flat_workgroup_size: 128
    .name:           _ZN7rocprim17ROCPRIM_400000_NS6detail17trampoline_kernelINS0_14default_configENS1_20scan_config_selectorIdEEZZNS1_9scan_implILNS1_25lookback_scan_determinismE0ELb1ELb1ES3_N6thrust23THRUST_200600_302600_NS6detail15normal_iteratorINS9_10device_ptrIdEEEESE_d11max_functorIdEdEEDaPvRmT3_T4_T5_mT6_P12ihipStream_tbENKUlT_T0_E_clISt17integral_constantIbLb1EEST_IbLb0EEEEDaSP_SQ_EUlSP_E0_NS1_11comp_targetILNS1_3genE8ELNS1_11target_archE1030ELNS1_3gpuE2ELNS1_3repE0EEENS1_30default_config_static_selectorELNS0_4arch9wavefront6targetE1EEEvT1_
    .private_segment_fixed_size: 0
    .sgpr_count:     4
    .sgpr_spill_count: 0
    .symbol:         _ZN7rocprim17ROCPRIM_400000_NS6detail17trampoline_kernelINS0_14default_configENS1_20scan_config_selectorIdEEZZNS1_9scan_implILNS1_25lookback_scan_determinismE0ELb1ELb1ES3_N6thrust23THRUST_200600_302600_NS6detail15normal_iteratorINS9_10device_ptrIdEEEESE_d11max_functorIdEdEEDaPvRmT3_T4_T5_mT6_P12ihipStream_tbENKUlT_T0_E_clISt17integral_constantIbLb1EEST_IbLb0EEEEDaSP_SQ_EUlSP_E0_NS1_11comp_targetILNS1_3genE8ELNS1_11target_archE1030ELNS1_3gpuE2ELNS1_3repE0EEENS1_30default_config_static_selectorELNS0_4arch9wavefront6targetE1EEEvT1_.kd
    .uniform_work_group_size: 1
    .uses_dynamic_stack: false
    .vgpr_count:     0
    .vgpr_spill_count: 0
    .wavefront_size: 64
  - .agpr_count:     0
    .args:
      - .offset:         0
        .size:           104
        .value_kind:     by_value
    .group_segment_fixed_size: 0
    .kernarg_segment_align: 8
    .kernarg_segment_size: 104
    .language:       OpenCL C
    .language_version:
      - 2
      - 0
    .max_flat_workgroup_size: 256
    .name:           _ZN7rocprim17ROCPRIM_400000_NS6detail17trampoline_kernelINS0_14default_configENS1_20scan_config_selectorIdEEZZNS1_9scan_implILNS1_25lookback_scan_determinismE0ELb1ELb1ES3_N6thrust23THRUST_200600_302600_NS6detail15normal_iteratorINS9_10device_ptrIdEEEESE_d11max_functorIdEdEEDaPvRmT3_T4_T5_mT6_P12ihipStream_tbENKUlT_T0_E_clISt17integral_constantIbLb0EEST_IbLb1EEEEDaSP_SQ_EUlSP_E_NS1_11comp_targetILNS1_3genE0ELNS1_11target_archE4294967295ELNS1_3gpuE0ELNS1_3repE0EEENS1_30default_config_static_selectorELNS0_4arch9wavefront6targetE1EEEvT1_
    .private_segment_fixed_size: 0
    .sgpr_count:     4
    .sgpr_spill_count: 0
    .symbol:         _ZN7rocprim17ROCPRIM_400000_NS6detail17trampoline_kernelINS0_14default_configENS1_20scan_config_selectorIdEEZZNS1_9scan_implILNS1_25lookback_scan_determinismE0ELb1ELb1ES3_N6thrust23THRUST_200600_302600_NS6detail15normal_iteratorINS9_10device_ptrIdEEEESE_d11max_functorIdEdEEDaPvRmT3_T4_T5_mT6_P12ihipStream_tbENKUlT_T0_E_clISt17integral_constantIbLb0EEST_IbLb1EEEEDaSP_SQ_EUlSP_E_NS1_11comp_targetILNS1_3genE0ELNS1_11target_archE4294967295ELNS1_3gpuE0ELNS1_3repE0EEENS1_30default_config_static_selectorELNS0_4arch9wavefront6targetE1EEEvT1_.kd
    .uniform_work_group_size: 1
    .uses_dynamic_stack: false
    .vgpr_count:     0
    .vgpr_spill_count: 0
    .wavefront_size: 64
  - .agpr_count:     0
    .args:
      - .offset:         0
        .size:           104
        .value_kind:     by_value
    .group_segment_fixed_size: 0
    .kernarg_segment_align: 8
    .kernarg_segment_size: 104
    .language:       OpenCL C
    .language_version:
      - 2
      - 0
    .max_flat_workgroup_size: 256
    .name:           _ZN7rocprim17ROCPRIM_400000_NS6detail17trampoline_kernelINS0_14default_configENS1_20scan_config_selectorIdEEZZNS1_9scan_implILNS1_25lookback_scan_determinismE0ELb1ELb1ES3_N6thrust23THRUST_200600_302600_NS6detail15normal_iteratorINS9_10device_ptrIdEEEESE_d11max_functorIdEdEEDaPvRmT3_T4_T5_mT6_P12ihipStream_tbENKUlT_T0_E_clISt17integral_constantIbLb0EEST_IbLb1EEEEDaSP_SQ_EUlSP_E_NS1_11comp_targetILNS1_3genE5ELNS1_11target_archE942ELNS1_3gpuE9ELNS1_3repE0EEENS1_30default_config_static_selectorELNS0_4arch9wavefront6targetE1EEEvT1_
    .private_segment_fixed_size: 0
    .sgpr_count:     4
    .sgpr_spill_count: 0
    .symbol:         _ZN7rocprim17ROCPRIM_400000_NS6detail17trampoline_kernelINS0_14default_configENS1_20scan_config_selectorIdEEZZNS1_9scan_implILNS1_25lookback_scan_determinismE0ELb1ELb1ES3_N6thrust23THRUST_200600_302600_NS6detail15normal_iteratorINS9_10device_ptrIdEEEESE_d11max_functorIdEdEEDaPvRmT3_T4_T5_mT6_P12ihipStream_tbENKUlT_T0_E_clISt17integral_constantIbLb0EEST_IbLb1EEEEDaSP_SQ_EUlSP_E_NS1_11comp_targetILNS1_3genE5ELNS1_11target_archE942ELNS1_3gpuE9ELNS1_3repE0EEENS1_30default_config_static_selectorELNS0_4arch9wavefront6targetE1EEEvT1_.kd
    .uniform_work_group_size: 1
    .uses_dynamic_stack: false
    .vgpr_count:     0
    .vgpr_spill_count: 0
    .wavefront_size: 64
  - .agpr_count:     0
    .args:
      - .offset:         0
        .size:           104
        .value_kind:     by_value
    .group_segment_fixed_size: 10240
    .kernarg_segment_align: 8
    .kernarg_segment_size: 104
    .language:       OpenCL C
    .language_version:
      - 2
      - 0
    .max_flat_workgroup_size: 128
    .name:           _ZN7rocprim17ROCPRIM_400000_NS6detail17trampoline_kernelINS0_14default_configENS1_20scan_config_selectorIdEEZZNS1_9scan_implILNS1_25lookback_scan_determinismE0ELb1ELb1ES3_N6thrust23THRUST_200600_302600_NS6detail15normal_iteratorINS9_10device_ptrIdEEEESE_d11max_functorIdEdEEDaPvRmT3_T4_T5_mT6_P12ihipStream_tbENKUlT_T0_E_clISt17integral_constantIbLb0EEST_IbLb1EEEEDaSP_SQ_EUlSP_E_NS1_11comp_targetILNS1_3genE4ELNS1_11target_archE910ELNS1_3gpuE8ELNS1_3repE0EEENS1_30default_config_static_selectorELNS0_4arch9wavefront6targetE1EEEvT1_
    .private_segment_fixed_size: 0
    .sgpr_count:     42
    .sgpr_spill_count: 0
    .symbol:         _ZN7rocprim17ROCPRIM_400000_NS6detail17trampoline_kernelINS0_14default_configENS1_20scan_config_selectorIdEEZZNS1_9scan_implILNS1_25lookback_scan_determinismE0ELb1ELb1ES3_N6thrust23THRUST_200600_302600_NS6detail15normal_iteratorINS9_10device_ptrIdEEEESE_d11max_functorIdEdEEDaPvRmT3_T4_T5_mT6_P12ihipStream_tbENKUlT_T0_E_clISt17integral_constantIbLb0EEST_IbLb1EEEEDaSP_SQ_EUlSP_E_NS1_11comp_targetILNS1_3genE4ELNS1_11target_archE910ELNS1_3gpuE8ELNS1_3repE0EEENS1_30default_config_static_selectorELNS0_4arch9wavefront6targetE1EEEvT1_.kd
    .uniform_work_group_size: 1
    .uses_dynamic_stack: false
    .vgpr_count:     58
    .vgpr_spill_count: 0
    .wavefront_size: 64
  - .agpr_count:     0
    .args:
      - .offset:         0
        .size:           104
        .value_kind:     by_value
    .group_segment_fixed_size: 0
    .kernarg_segment_align: 8
    .kernarg_segment_size: 104
    .language:       OpenCL C
    .language_version:
      - 2
      - 0
    .max_flat_workgroup_size: 256
    .name:           _ZN7rocprim17ROCPRIM_400000_NS6detail17trampoline_kernelINS0_14default_configENS1_20scan_config_selectorIdEEZZNS1_9scan_implILNS1_25lookback_scan_determinismE0ELb1ELb1ES3_N6thrust23THRUST_200600_302600_NS6detail15normal_iteratorINS9_10device_ptrIdEEEESE_d11max_functorIdEdEEDaPvRmT3_T4_T5_mT6_P12ihipStream_tbENKUlT_T0_E_clISt17integral_constantIbLb0EEST_IbLb1EEEEDaSP_SQ_EUlSP_E_NS1_11comp_targetILNS1_3genE3ELNS1_11target_archE908ELNS1_3gpuE7ELNS1_3repE0EEENS1_30default_config_static_selectorELNS0_4arch9wavefront6targetE1EEEvT1_
    .private_segment_fixed_size: 0
    .sgpr_count:     4
    .sgpr_spill_count: 0
    .symbol:         _ZN7rocprim17ROCPRIM_400000_NS6detail17trampoline_kernelINS0_14default_configENS1_20scan_config_selectorIdEEZZNS1_9scan_implILNS1_25lookback_scan_determinismE0ELb1ELb1ES3_N6thrust23THRUST_200600_302600_NS6detail15normal_iteratorINS9_10device_ptrIdEEEESE_d11max_functorIdEdEEDaPvRmT3_T4_T5_mT6_P12ihipStream_tbENKUlT_T0_E_clISt17integral_constantIbLb0EEST_IbLb1EEEEDaSP_SQ_EUlSP_E_NS1_11comp_targetILNS1_3genE3ELNS1_11target_archE908ELNS1_3gpuE7ELNS1_3repE0EEENS1_30default_config_static_selectorELNS0_4arch9wavefront6targetE1EEEvT1_.kd
    .uniform_work_group_size: 1
    .uses_dynamic_stack: false
    .vgpr_count:     0
    .vgpr_spill_count: 0
    .wavefront_size: 64
  - .agpr_count:     0
    .args:
      - .offset:         0
        .size:           104
        .value_kind:     by_value
    .group_segment_fixed_size: 0
    .kernarg_segment_align: 8
    .kernarg_segment_size: 104
    .language:       OpenCL C
    .language_version:
      - 2
      - 0
    .max_flat_workgroup_size: 128
    .name:           _ZN7rocprim17ROCPRIM_400000_NS6detail17trampoline_kernelINS0_14default_configENS1_20scan_config_selectorIdEEZZNS1_9scan_implILNS1_25lookback_scan_determinismE0ELb1ELb1ES3_N6thrust23THRUST_200600_302600_NS6detail15normal_iteratorINS9_10device_ptrIdEEEESE_d11max_functorIdEdEEDaPvRmT3_T4_T5_mT6_P12ihipStream_tbENKUlT_T0_E_clISt17integral_constantIbLb0EEST_IbLb1EEEEDaSP_SQ_EUlSP_E_NS1_11comp_targetILNS1_3genE2ELNS1_11target_archE906ELNS1_3gpuE6ELNS1_3repE0EEENS1_30default_config_static_selectorELNS0_4arch9wavefront6targetE1EEEvT1_
    .private_segment_fixed_size: 0
    .sgpr_count:     4
    .sgpr_spill_count: 0
    .symbol:         _ZN7rocprim17ROCPRIM_400000_NS6detail17trampoline_kernelINS0_14default_configENS1_20scan_config_selectorIdEEZZNS1_9scan_implILNS1_25lookback_scan_determinismE0ELb1ELb1ES3_N6thrust23THRUST_200600_302600_NS6detail15normal_iteratorINS9_10device_ptrIdEEEESE_d11max_functorIdEdEEDaPvRmT3_T4_T5_mT6_P12ihipStream_tbENKUlT_T0_E_clISt17integral_constantIbLb0EEST_IbLb1EEEEDaSP_SQ_EUlSP_E_NS1_11comp_targetILNS1_3genE2ELNS1_11target_archE906ELNS1_3gpuE6ELNS1_3repE0EEENS1_30default_config_static_selectorELNS0_4arch9wavefront6targetE1EEEvT1_.kd
    .uniform_work_group_size: 1
    .uses_dynamic_stack: false
    .vgpr_count:     0
    .vgpr_spill_count: 0
    .wavefront_size: 64
  - .agpr_count:     0
    .args:
      - .offset:         0
        .size:           104
        .value_kind:     by_value
    .group_segment_fixed_size: 0
    .kernarg_segment_align: 8
    .kernarg_segment_size: 104
    .language:       OpenCL C
    .language_version:
      - 2
      - 0
    .max_flat_workgroup_size: 256
    .name:           _ZN7rocprim17ROCPRIM_400000_NS6detail17trampoline_kernelINS0_14default_configENS1_20scan_config_selectorIdEEZZNS1_9scan_implILNS1_25lookback_scan_determinismE0ELb1ELb1ES3_N6thrust23THRUST_200600_302600_NS6detail15normal_iteratorINS9_10device_ptrIdEEEESE_d11max_functorIdEdEEDaPvRmT3_T4_T5_mT6_P12ihipStream_tbENKUlT_T0_E_clISt17integral_constantIbLb0EEST_IbLb1EEEEDaSP_SQ_EUlSP_E_NS1_11comp_targetILNS1_3genE10ELNS1_11target_archE1201ELNS1_3gpuE5ELNS1_3repE0EEENS1_30default_config_static_selectorELNS0_4arch9wavefront6targetE1EEEvT1_
    .private_segment_fixed_size: 0
    .sgpr_count:     4
    .sgpr_spill_count: 0
    .symbol:         _ZN7rocprim17ROCPRIM_400000_NS6detail17trampoline_kernelINS0_14default_configENS1_20scan_config_selectorIdEEZZNS1_9scan_implILNS1_25lookback_scan_determinismE0ELb1ELb1ES3_N6thrust23THRUST_200600_302600_NS6detail15normal_iteratorINS9_10device_ptrIdEEEESE_d11max_functorIdEdEEDaPvRmT3_T4_T5_mT6_P12ihipStream_tbENKUlT_T0_E_clISt17integral_constantIbLb0EEST_IbLb1EEEEDaSP_SQ_EUlSP_E_NS1_11comp_targetILNS1_3genE10ELNS1_11target_archE1201ELNS1_3gpuE5ELNS1_3repE0EEENS1_30default_config_static_selectorELNS0_4arch9wavefront6targetE1EEEvT1_.kd
    .uniform_work_group_size: 1
    .uses_dynamic_stack: false
    .vgpr_count:     0
    .vgpr_spill_count: 0
    .wavefront_size: 64
  - .agpr_count:     0
    .args:
      - .offset:         0
        .size:           104
        .value_kind:     by_value
    .group_segment_fixed_size: 0
    .kernarg_segment_align: 8
    .kernarg_segment_size: 104
    .language:       OpenCL C
    .language_version:
      - 2
      - 0
    .max_flat_workgroup_size: 256
    .name:           _ZN7rocprim17ROCPRIM_400000_NS6detail17trampoline_kernelINS0_14default_configENS1_20scan_config_selectorIdEEZZNS1_9scan_implILNS1_25lookback_scan_determinismE0ELb1ELb1ES3_N6thrust23THRUST_200600_302600_NS6detail15normal_iteratorINS9_10device_ptrIdEEEESE_d11max_functorIdEdEEDaPvRmT3_T4_T5_mT6_P12ihipStream_tbENKUlT_T0_E_clISt17integral_constantIbLb0EEST_IbLb1EEEEDaSP_SQ_EUlSP_E_NS1_11comp_targetILNS1_3genE10ELNS1_11target_archE1200ELNS1_3gpuE4ELNS1_3repE0EEENS1_30default_config_static_selectorELNS0_4arch9wavefront6targetE1EEEvT1_
    .private_segment_fixed_size: 0
    .sgpr_count:     4
    .sgpr_spill_count: 0
    .symbol:         _ZN7rocprim17ROCPRIM_400000_NS6detail17trampoline_kernelINS0_14default_configENS1_20scan_config_selectorIdEEZZNS1_9scan_implILNS1_25lookback_scan_determinismE0ELb1ELb1ES3_N6thrust23THRUST_200600_302600_NS6detail15normal_iteratorINS9_10device_ptrIdEEEESE_d11max_functorIdEdEEDaPvRmT3_T4_T5_mT6_P12ihipStream_tbENKUlT_T0_E_clISt17integral_constantIbLb0EEST_IbLb1EEEEDaSP_SQ_EUlSP_E_NS1_11comp_targetILNS1_3genE10ELNS1_11target_archE1200ELNS1_3gpuE4ELNS1_3repE0EEENS1_30default_config_static_selectorELNS0_4arch9wavefront6targetE1EEEvT1_.kd
    .uniform_work_group_size: 1
    .uses_dynamic_stack: false
    .vgpr_count:     0
    .vgpr_spill_count: 0
    .wavefront_size: 64
  - .agpr_count:     0
    .args:
      - .offset:         0
        .size:           104
        .value_kind:     by_value
    .group_segment_fixed_size: 0
    .kernarg_segment_align: 8
    .kernarg_segment_size: 104
    .language:       OpenCL C
    .language_version:
      - 2
      - 0
    .max_flat_workgroup_size: 256
    .name:           _ZN7rocprim17ROCPRIM_400000_NS6detail17trampoline_kernelINS0_14default_configENS1_20scan_config_selectorIdEEZZNS1_9scan_implILNS1_25lookback_scan_determinismE0ELb1ELb1ES3_N6thrust23THRUST_200600_302600_NS6detail15normal_iteratorINS9_10device_ptrIdEEEESE_d11max_functorIdEdEEDaPvRmT3_T4_T5_mT6_P12ihipStream_tbENKUlT_T0_E_clISt17integral_constantIbLb0EEST_IbLb1EEEEDaSP_SQ_EUlSP_E_NS1_11comp_targetILNS1_3genE9ELNS1_11target_archE1100ELNS1_3gpuE3ELNS1_3repE0EEENS1_30default_config_static_selectorELNS0_4arch9wavefront6targetE1EEEvT1_
    .private_segment_fixed_size: 0
    .sgpr_count:     4
    .sgpr_spill_count: 0
    .symbol:         _ZN7rocprim17ROCPRIM_400000_NS6detail17trampoline_kernelINS0_14default_configENS1_20scan_config_selectorIdEEZZNS1_9scan_implILNS1_25lookback_scan_determinismE0ELb1ELb1ES3_N6thrust23THRUST_200600_302600_NS6detail15normal_iteratorINS9_10device_ptrIdEEEESE_d11max_functorIdEdEEDaPvRmT3_T4_T5_mT6_P12ihipStream_tbENKUlT_T0_E_clISt17integral_constantIbLb0EEST_IbLb1EEEEDaSP_SQ_EUlSP_E_NS1_11comp_targetILNS1_3genE9ELNS1_11target_archE1100ELNS1_3gpuE3ELNS1_3repE0EEENS1_30default_config_static_selectorELNS0_4arch9wavefront6targetE1EEEvT1_.kd
    .uniform_work_group_size: 1
    .uses_dynamic_stack: false
    .vgpr_count:     0
    .vgpr_spill_count: 0
    .wavefront_size: 64
  - .agpr_count:     0
    .args:
      - .offset:         0
        .size:           104
        .value_kind:     by_value
    .group_segment_fixed_size: 0
    .kernarg_segment_align: 8
    .kernarg_segment_size: 104
    .language:       OpenCL C
    .language_version:
      - 2
      - 0
    .max_flat_workgroup_size: 128
    .name:           _ZN7rocprim17ROCPRIM_400000_NS6detail17trampoline_kernelINS0_14default_configENS1_20scan_config_selectorIdEEZZNS1_9scan_implILNS1_25lookback_scan_determinismE0ELb1ELb1ES3_N6thrust23THRUST_200600_302600_NS6detail15normal_iteratorINS9_10device_ptrIdEEEESE_d11max_functorIdEdEEDaPvRmT3_T4_T5_mT6_P12ihipStream_tbENKUlT_T0_E_clISt17integral_constantIbLb0EEST_IbLb1EEEEDaSP_SQ_EUlSP_E_NS1_11comp_targetILNS1_3genE8ELNS1_11target_archE1030ELNS1_3gpuE2ELNS1_3repE0EEENS1_30default_config_static_selectorELNS0_4arch9wavefront6targetE1EEEvT1_
    .private_segment_fixed_size: 0
    .sgpr_count:     4
    .sgpr_spill_count: 0
    .symbol:         _ZN7rocprim17ROCPRIM_400000_NS6detail17trampoline_kernelINS0_14default_configENS1_20scan_config_selectorIdEEZZNS1_9scan_implILNS1_25lookback_scan_determinismE0ELb1ELb1ES3_N6thrust23THRUST_200600_302600_NS6detail15normal_iteratorINS9_10device_ptrIdEEEESE_d11max_functorIdEdEEDaPvRmT3_T4_T5_mT6_P12ihipStream_tbENKUlT_T0_E_clISt17integral_constantIbLb0EEST_IbLb1EEEEDaSP_SQ_EUlSP_E_NS1_11comp_targetILNS1_3genE8ELNS1_11target_archE1030ELNS1_3gpuE2ELNS1_3repE0EEENS1_30default_config_static_selectorELNS0_4arch9wavefront6targetE1EEEvT1_.kd
    .uniform_work_group_size: 1
    .uses_dynamic_stack: false
    .vgpr_count:     0
    .vgpr_spill_count: 0
    .wavefront_size: 64
  - .agpr_count:     0
    .args:
      - .offset:         0
        .size:           40
        .value_kind:     by_value
    .group_segment_fixed_size: 0
    .kernarg_segment_align: 8
    .kernarg_segment_size: 40
    .language:       OpenCL C
    .language_version:
      - 2
      - 0
    .max_flat_workgroup_size: 256
    .name:           _ZN7rocprim17ROCPRIM_400000_NS6detail17trampoline_kernelINS0_14default_configENS1_20scan_config_selectorIdEEZZNS1_9scan_implILNS1_25lookback_scan_determinismE0ELb1ELb1ES3_N6thrust23THRUST_200600_302600_NS6detail15normal_iteratorINS9_10device_ptrIdEEEESE_d11max_functorIdEdEEDaPvRmT3_T4_T5_mT6_P12ihipStream_tbENKUlT_T0_E_clISt17integral_constantIbLb0EEST_IbLb1EEEEDaSP_SQ_EUlSP_E0_NS1_11comp_targetILNS1_3genE0ELNS1_11target_archE4294967295ELNS1_3gpuE0ELNS1_3repE0EEENS1_30default_config_static_selectorELNS0_4arch9wavefront6targetE1EEEvT1_
    .private_segment_fixed_size: 0
    .sgpr_count:     4
    .sgpr_spill_count: 0
    .symbol:         _ZN7rocprim17ROCPRIM_400000_NS6detail17trampoline_kernelINS0_14default_configENS1_20scan_config_selectorIdEEZZNS1_9scan_implILNS1_25lookback_scan_determinismE0ELb1ELb1ES3_N6thrust23THRUST_200600_302600_NS6detail15normal_iteratorINS9_10device_ptrIdEEEESE_d11max_functorIdEdEEDaPvRmT3_T4_T5_mT6_P12ihipStream_tbENKUlT_T0_E_clISt17integral_constantIbLb0EEST_IbLb1EEEEDaSP_SQ_EUlSP_E0_NS1_11comp_targetILNS1_3genE0ELNS1_11target_archE4294967295ELNS1_3gpuE0ELNS1_3repE0EEENS1_30default_config_static_selectorELNS0_4arch9wavefront6targetE1EEEvT1_.kd
    .uniform_work_group_size: 1
    .uses_dynamic_stack: false
    .vgpr_count:     0
    .vgpr_spill_count: 0
    .wavefront_size: 64
  - .agpr_count:     0
    .args:
      - .offset:         0
        .size:           40
        .value_kind:     by_value
    .group_segment_fixed_size: 0
    .kernarg_segment_align: 8
    .kernarg_segment_size: 40
    .language:       OpenCL C
    .language_version:
      - 2
      - 0
    .max_flat_workgroup_size: 256
    .name:           _ZN7rocprim17ROCPRIM_400000_NS6detail17trampoline_kernelINS0_14default_configENS1_20scan_config_selectorIdEEZZNS1_9scan_implILNS1_25lookback_scan_determinismE0ELb1ELb1ES3_N6thrust23THRUST_200600_302600_NS6detail15normal_iteratorINS9_10device_ptrIdEEEESE_d11max_functorIdEdEEDaPvRmT3_T4_T5_mT6_P12ihipStream_tbENKUlT_T0_E_clISt17integral_constantIbLb0EEST_IbLb1EEEEDaSP_SQ_EUlSP_E0_NS1_11comp_targetILNS1_3genE5ELNS1_11target_archE942ELNS1_3gpuE9ELNS1_3repE0EEENS1_30default_config_static_selectorELNS0_4arch9wavefront6targetE1EEEvT1_
    .private_segment_fixed_size: 0
    .sgpr_count:     4
    .sgpr_spill_count: 0
    .symbol:         _ZN7rocprim17ROCPRIM_400000_NS6detail17trampoline_kernelINS0_14default_configENS1_20scan_config_selectorIdEEZZNS1_9scan_implILNS1_25lookback_scan_determinismE0ELb1ELb1ES3_N6thrust23THRUST_200600_302600_NS6detail15normal_iteratorINS9_10device_ptrIdEEEESE_d11max_functorIdEdEEDaPvRmT3_T4_T5_mT6_P12ihipStream_tbENKUlT_T0_E_clISt17integral_constantIbLb0EEST_IbLb1EEEEDaSP_SQ_EUlSP_E0_NS1_11comp_targetILNS1_3genE5ELNS1_11target_archE942ELNS1_3gpuE9ELNS1_3repE0EEENS1_30default_config_static_selectorELNS0_4arch9wavefront6targetE1EEEvT1_.kd
    .uniform_work_group_size: 1
    .uses_dynamic_stack: false
    .vgpr_count:     0
    .vgpr_spill_count: 0
    .wavefront_size: 64
  - .agpr_count:     0
    .args:
      - .offset:         0
        .size:           40
        .value_kind:     by_value
    .group_segment_fixed_size: 10240
    .kernarg_segment_align: 8
    .kernarg_segment_size: 40
    .language:       OpenCL C
    .language_version:
      - 2
      - 0
    .max_flat_workgroup_size: 128
    .name:           _ZN7rocprim17ROCPRIM_400000_NS6detail17trampoline_kernelINS0_14default_configENS1_20scan_config_selectorIdEEZZNS1_9scan_implILNS1_25lookback_scan_determinismE0ELb1ELb1ES3_N6thrust23THRUST_200600_302600_NS6detail15normal_iteratorINS9_10device_ptrIdEEEESE_d11max_functorIdEdEEDaPvRmT3_T4_T5_mT6_P12ihipStream_tbENKUlT_T0_E_clISt17integral_constantIbLb0EEST_IbLb1EEEEDaSP_SQ_EUlSP_E0_NS1_11comp_targetILNS1_3genE4ELNS1_11target_archE910ELNS1_3gpuE8ELNS1_3repE0EEENS1_30default_config_static_selectorELNS0_4arch9wavefront6targetE1EEEvT1_
    .private_segment_fixed_size: 0
    .sgpr_count:     32
    .sgpr_spill_count: 0
    .symbol:         _ZN7rocprim17ROCPRIM_400000_NS6detail17trampoline_kernelINS0_14default_configENS1_20scan_config_selectorIdEEZZNS1_9scan_implILNS1_25lookback_scan_determinismE0ELb1ELb1ES3_N6thrust23THRUST_200600_302600_NS6detail15normal_iteratorINS9_10device_ptrIdEEEESE_d11max_functorIdEdEEDaPvRmT3_T4_T5_mT6_P12ihipStream_tbENKUlT_T0_E_clISt17integral_constantIbLb0EEST_IbLb1EEEEDaSP_SQ_EUlSP_E0_NS1_11comp_targetILNS1_3genE4ELNS1_11target_archE910ELNS1_3gpuE8ELNS1_3repE0EEENS1_30default_config_static_selectorELNS0_4arch9wavefront6targetE1EEEvT1_.kd
    .uniform_work_group_size: 1
    .uses_dynamic_stack: false
    .vgpr_count:     31
    .vgpr_spill_count: 0
    .wavefront_size: 64
  - .agpr_count:     0
    .args:
      - .offset:         0
        .size:           40
        .value_kind:     by_value
    .group_segment_fixed_size: 0
    .kernarg_segment_align: 8
    .kernarg_segment_size: 40
    .language:       OpenCL C
    .language_version:
      - 2
      - 0
    .max_flat_workgroup_size: 256
    .name:           _ZN7rocprim17ROCPRIM_400000_NS6detail17trampoline_kernelINS0_14default_configENS1_20scan_config_selectorIdEEZZNS1_9scan_implILNS1_25lookback_scan_determinismE0ELb1ELb1ES3_N6thrust23THRUST_200600_302600_NS6detail15normal_iteratorINS9_10device_ptrIdEEEESE_d11max_functorIdEdEEDaPvRmT3_T4_T5_mT6_P12ihipStream_tbENKUlT_T0_E_clISt17integral_constantIbLb0EEST_IbLb1EEEEDaSP_SQ_EUlSP_E0_NS1_11comp_targetILNS1_3genE3ELNS1_11target_archE908ELNS1_3gpuE7ELNS1_3repE0EEENS1_30default_config_static_selectorELNS0_4arch9wavefront6targetE1EEEvT1_
    .private_segment_fixed_size: 0
    .sgpr_count:     4
    .sgpr_spill_count: 0
    .symbol:         _ZN7rocprim17ROCPRIM_400000_NS6detail17trampoline_kernelINS0_14default_configENS1_20scan_config_selectorIdEEZZNS1_9scan_implILNS1_25lookback_scan_determinismE0ELb1ELb1ES3_N6thrust23THRUST_200600_302600_NS6detail15normal_iteratorINS9_10device_ptrIdEEEESE_d11max_functorIdEdEEDaPvRmT3_T4_T5_mT6_P12ihipStream_tbENKUlT_T0_E_clISt17integral_constantIbLb0EEST_IbLb1EEEEDaSP_SQ_EUlSP_E0_NS1_11comp_targetILNS1_3genE3ELNS1_11target_archE908ELNS1_3gpuE7ELNS1_3repE0EEENS1_30default_config_static_selectorELNS0_4arch9wavefront6targetE1EEEvT1_.kd
    .uniform_work_group_size: 1
    .uses_dynamic_stack: false
    .vgpr_count:     0
    .vgpr_spill_count: 0
    .wavefront_size: 64
  - .agpr_count:     0
    .args:
      - .offset:         0
        .size:           40
        .value_kind:     by_value
    .group_segment_fixed_size: 0
    .kernarg_segment_align: 8
    .kernarg_segment_size: 40
    .language:       OpenCL C
    .language_version:
      - 2
      - 0
    .max_flat_workgroup_size: 128
    .name:           _ZN7rocprim17ROCPRIM_400000_NS6detail17trampoline_kernelINS0_14default_configENS1_20scan_config_selectorIdEEZZNS1_9scan_implILNS1_25lookback_scan_determinismE0ELb1ELb1ES3_N6thrust23THRUST_200600_302600_NS6detail15normal_iteratorINS9_10device_ptrIdEEEESE_d11max_functorIdEdEEDaPvRmT3_T4_T5_mT6_P12ihipStream_tbENKUlT_T0_E_clISt17integral_constantIbLb0EEST_IbLb1EEEEDaSP_SQ_EUlSP_E0_NS1_11comp_targetILNS1_3genE2ELNS1_11target_archE906ELNS1_3gpuE6ELNS1_3repE0EEENS1_30default_config_static_selectorELNS0_4arch9wavefront6targetE1EEEvT1_
    .private_segment_fixed_size: 0
    .sgpr_count:     4
    .sgpr_spill_count: 0
    .symbol:         _ZN7rocprim17ROCPRIM_400000_NS6detail17trampoline_kernelINS0_14default_configENS1_20scan_config_selectorIdEEZZNS1_9scan_implILNS1_25lookback_scan_determinismE0ELb1ELb1ES3_N6thrust23THRUST_200600_302600_NS6detail15normal_iteratorINS9_10device_ptrIdEEEESE_d11max_functorIdEdEEDaPvRmT3_T4_T5_mT6_P12ihipStream_tbENKUlT_T0_E_clISt17integral_constantIbLb0EEST_IbLb1EEEEDaSP_SQ_EUlSP_E0_NS1_11comp_targetILNS1_3genE2ELNS1_11target_archE906ELNS1_3gpuE6ELNS1_3repE0EEENS1_30default_config_static_selectorELNS0_4arch9wavefront6targetE1EEEvT1_.kd
    .uniform_work_group_size: 1
    .uses_dynamic_stack: false
    .vgpr_count:     0
    .vgpr_spill_count: 0
    .wavefront_size: 64
  - .agpr_count:     0
    .args:
      - .offset:         0
        .size:           40
        .value_kind:     by_value
    .group_segment_fixed_size: 0
    .kernarg_segment_align: 8
    .kernarg_segment_size: 40
    .language:       OpenCL C
    .language_version:
      - 2
      - 0
    .max_flat_workgroup_size: 256
    .name:           _ZN7rocprim17ROCPRIM_400000_NS6detail17trampoline_kernelINS0_14default_configENS1_20scan_config_selectorIdEEZZNS1_9scan_implILNS1_25lookback_scan_determinismE0ELb1ELb1ES3_N6thrust23THRUST_200600_302600_NS6detail15normal_iteratorINS9_10device_ptrIdEEEESE_d11max_functorIdEdEEDaPvRmT3_T4_T5_mT6_P12ihipStream_tbENKUlT_T0_E_clISt17integral_constantIbLb0EEST_IbLb1EEEEDaSP_SQ_EUlSP_E0_NS1_11comp_targetILNS1_3genE10ELNS1_11target_archE1201ELNS1_3gpuE5ELNS1_3repE0EEENS1_30default_config_static_selectorELNS0_4arch9wavefront6targetE1EEEvT1_
    .private_segment_fixed_size: 0
    .sgpr_count:     4
    .sgpr_spill_count: 0
    .symbol:         _ZN7rocprim17ROCPRIM_400000_NS6detail17trampoline_kernelINS0_14default_configENS1_20scan_config_selectorIdEEZZNS1_9scan_implILNS1_25lookback_scan_determinismE0ELb1ELb1ES3_N6thrust23THRUST_200600_302600_NS6detail15normal_iteratorINS9_10device_ptrIdEEEESE_d11max_functorIdEdEEDaPvRmT3_T4_T5_mT6_P12ihipStream_tbENKUlT_T0_E_clISt17integral_constantIbLb0EEST_IbLb1EEEEDaSP_SQ_EUlSP_E0_NS1_11comp_targetILNS1_3genE10ELNS1_11target_archE1201ELNS1_3gpuE5ELNS1_3repE0EEENS1_30default_config_static_selectorELNS0_4arch9wavefront6targetE1EEEvT1_.kd
    .uniform_work_group_size: 1
    .uses_dynamic_stack: false
    .vgpr_count:     0
    .vgpr_spill_count: 0
    .wavefront_size: 64
  - .agpr_count:     0
    .args:
      - .offset:         0
        .size:           40
        .value_kind:     by_value
    .group_segment_fixed_size: 0
    .kernarg_segment_align: 8
    .kernarg_segment_size: 40
    .language:       OpenCL C
    .language_version:
      - 2
      - 0
    .max_flat_workgroup_size: 256
    .name:           _ZN7rocprim17ROCPRIM_400000_NS6detail17trampoline_kernelINS0_14default_configENS1_20scan_config_selectorIdEEZZNS1_9scan_implILNS1_25lookback_scan_determinismE0ELb1ELb1ES3_N6thrust23THRUST_200600_302600_NS6detail15normal_iteratorINS9_10device_ptrIdEEEESE_d11max_functorIdEdEEDaPvRmT3_T4_T5_mT6_P12ihipStream_tbENKUlT_T0_E_clISt17integral_constantIbLb0EEST_IbLb1EEEEDaSP_SQ_EUlSP_E0_NS1_11comp_targetILNS1_3genE10ELNS1_11target_archE1200ELNS1_3gpuE4ELNS1_3repE0EEENS1_30default_config_static_selectorELNS0_4arch9wavefront6targetE1EEEvT1_
    .private_segment_fixed_size: 0
    .sgpr_count:     4
    .sgpr_spill_count: 0
    .symbol:         _ZN7rocprim17ROCPRIM_400000_NS6detail17trampoline_kernelINS0_14default_configENS1_20scan_config_selectorIdEEZZNS1_9scan_implILNS1_25lookback_scan_determinismE0ELb1ELb1ES3_N6thrust23THRUST_200600_302600_NS6detail15normal_iteratorINS9_10device_ptrIdEEEESE_d11max_functorIdEdEEDaPvRmT3_T4_T5_mT6_P12ihipStream_tbENKUlT_T0_E_clISt17integral_constantIbLb0EEST_IbLb1EEEEDaSP_SQ_EUlSP_E0_NS1_11comp_targetILNS1_3genE10ELNS1_11target_archE1200ELNS1_3gpuE4ELNS1_3repE0EEENS1_30default_config_static_selectorELNS0_4arch9wavefront6targetE1EEEvT1_.kd
    .uniform_work_group_size: 1
    .uses_dynamic_stack: false
    .vgpr_count:     0
    .vgpr_spill_count: 0
    .wavefront_size: 64
  - .agpr_count:     0
    .args:
      - .offset:         0
        .size:           40
        .value_kind:     by_value
    .group_segment_fixed_size: 0
    .kernarg_segment_align: 8
    .kernarg_segment_size: 40
    .language:       OpenCL C
    .language_version:
      - 2
      - 0
    .max_flat_workgroup_size: 256
    .name:           _ZN7rocprim17ROCPRIM_400000_NS6detail17trampoline_kernelINS0_14default_configENS1_20scan_config_selectorIdEEZZNS1_9scan_implILNS1_25lookback_scan_determinismE0ELb1ELb1ES3_N6thrust23THRUST_200600_302600_NS6detail15normal_iteratorINS9_10device_ptrIdEEEESE_d11max_functorIdEdEEDaPvRmT3_T4_T5_mT6_P12ihipStream_tbENKUlT_T0_E_clISt17integral_constantIbLb0EEST_IbLb1EEEEDaSP_SQ_EUlSP_E0_NS1_11comp_targetILNS1_3genE9ELNS1_11target_archE1100ELNS1_3gpuE3ELNS1_3repE0EEENS1_30default_config_static_selectorELNS0_4arch9wavefront6targetE1EEEvT1_
    .private_segment_fixed_size: 0
    .sgpr_count:     4
    .sgpr_spill_count: 0
    .symbol:         _ZN7rocprim17ROCPRIM_400000_NS6detail17trampoline_kernelINS0_14default_configENS1_20scan_config_selectorIdEEZZNS1_9scan_implILNS1_25lookback_scan_determinismE0ELb1ELb1ES3_N6thrust23THRUST_200600_302600_NS6detail15normal_iteratorINS9_10device_ptrIdEEEESE_d11max_functorIdEdEEDaPvRmT3_T4_T5_mT6_P12ihipStream_tbENKUlT_T0_E_clISt17integral_constantIbLb0EEST_IbLb1EEEEDaSP_SQ_EUlSP_E0_NS1_11comp_targetILNS1_3genE9ELNS1_11target_archE1100ELNS1_3gpuE3ELNS1_3repE0EEENS1_30default_config_static_selectorELNS0_4arch9wavefront6targetE1EEEvT1_.kd
    .uniform_work_group_size: 1
    .uses_dynamic_stack: false
    .vgpr_count:     0
    .vgpr_spill_count: 0
    .wavefront_size: 64
  - .agpr_count:     0
    .args:
      - .offset:         0
        .size:           40
        .value_kind:     by_value
    .group_segment_fixed_size: 0
    .kernarg_segment_align: 8
    .kernarg_segment_size: 40
    .language:       OpenCL C
    .language_version:
      - 2
      - 0
    .max_flat_workgroup_size: 128
    .name:           _ZN7rocprim17ROCPRIM_400000_NS6detail17trampoline_kernelINS0_14default_configENS1_20scan_config_selectorIdEEZZNS1_9scan_implILNS1_25lookback_scan_determinismE0ELb1ELb1ES3_N6thrust23THRUST_200600_302600_NS6detail15normal_iteratorINS9_10device_ptrIdEEEESE_d11max_functorIdEdEEDaPvRmT3_T4_T5_mT6_P12ihipStream_tbENKUlT_T0_E_clISt17integral_constantIbLb0EEST_IbLb1EEEEDaSP_SQ_EUlSP_E0_NS1_11comp_targetILNS1_3genE8ELNS1_11target_archE1030ELNS1_3gpuE2ELNS1_3repE0EEENS1_30default_config_static_selectorELNS0_4arch9wavefront6targetE1EEEvT1_
    .private_segment_fixed_size: 0
    .sgpr_count:     4
    .sgpr_spill_count: 0
    .symbol:         _ZN7rocprim17ROCPRIM_400000_NS6detail17trampoline_kernelINS0_14default_configENS1_20scan_config_selectorIdEEZZNS1_9scan_implILNS1_25lookback_scan_determinismE0ELb1ELb1ES3_N6thrust23THRUST_200600_302600_NS6detail15normal_iteratorINS9_10device_ptrIdEEEESE_d11max_functorIdEdEEDaPvRmT3_T4_T5_mT6_P12ihipStream_tbENKUlT_T0_E_clISt17integral_constantIbLb0EEST_IbLb1EEEEDaSP_SQ_EUlSP_E0_NS1_11comp_targetILNS1_3genE8ELNS1_11target_archE1030ELNS1_3gpuE2ELNS1_3repE0EEENS1_30default_config_static_selectorELNS0_4arch9wavefront6targetE1EEEvT1_.kd
    .uniform_work_group_size: 1
    .uses_dynamic_stack: false
    .vgpr_count:     0
    .vgpr_spill_count: 0
    .wavefront_size: 64
  - .agpr_count:     0
    .args:
      - .offset:         0
        .size:           96
        .value_kind:     by_value
    .group_segment_fixed_size: 0
    .kernarg_segment_align: 8
    .kernarg_segment_size: 96
    .language:       OpenCL C
    .language_version:
      - 2
      - 0
    .max_flat_workgroup_size: 256
    .name:           _ZN7rocprim17ROCPRIM_400000_NS6detail17trampoline_kernelINS0_14default_configENS1_20scan_config_selectorIfEEZZNS1_9scan_implILNS1_25lookback_scan_determinismE0ELb0ELb0ES3_N6thrust23THRUST_200600_302600_NS6detail15normal_iteratorINS9_10device_ptrIfEEEESE_f11max_functorIfEfEEDaPvRmT3_T4_T5_mT6_P12ihipStream_tbENKUlT_T0_E_clISt17integral_constantIbLb0EESU_EEDaSP_SQ_EUlSP_E_NS1_11comp_targetILNS1_3genE0ELNS1_11target_archE4294967295ELNS1_3gpuE0ELNS1_3repE0EEENS1_30default_config_static_selectorELNS0_4arch9wavefront6targetE1EEEvT1_
    .private_segment_fixed_size: 0
    .sgpr_count:     4
    .sgpr_spill_count: 0
    .symbol:         _ZN7rocprim17ROCPRIM_400000_NS6detail17trampoline_kernelINS0_14default_configENS1_20scan_config_selectorIfEEZZNS1_9scan_implILNS1_25lookback_scan_determinismE0ELb0ELb0ES3_N6thrust23THRUST_200600_302600_NS6detail15normal_iteratorINS9_10device_ptrIfEEEESE_f11max_functorIfEfEEDaPvRmT3_T4_T5_mT6_P12ihipStream_tbENKUlT_T0_E_clISt17integral_constantIbLb0EESU_EEDaSP_SQ_EUlSP_E_NS1_11comp_targetILNS1_3genE0ELNS1_11target_archE4294967295ELNS1_3gpuE0ELNS1_3repE0EEENS1_30default_config_static_selectorELNS0_4arch9wavefront6targetE1EEEvT1_.kd
    .uniform_work_group_size: 1
    .uses_dynamic_stack: false
    .vgpr_count:     0
    .vgpr_spill_count: 0
    .wavefront_size: 64
  - .agpr_count:     0
    .args:
      - .offset:         0
        .size:           96
        .value_kind:     by_value
    .group_segment_fixed_size: 0
    .kernarg_segment_align: 8
    .kernarg_segment_size: 96
    .language:       OpenCL C
    .language_version:
      - 2
      - 0
    .max_flat_workgroup_size: 256
    .name:           _ZN7rocprim17ROCPRIM_400000_NS6detail17trampoline_kernelINS0_14default_configENS1_20scan_config_selectorIfEEZZNS1_9scan_implILNS1_25lookback_scan_determinismE0ELb0ELb0ES3_N6thrust23THRUST_200600_302600_NS6detail15normal_iteratorINS9_10device_ptrIfEEEESE_f11max_functorIfEfEEDaPvRmT3_T4_T5_mT6_P12ihipStream_tbENKUlT_T0_E_clISt17integral_constantIbLb0EESU_EEDaSP_SQ_EUlSP_E_NS1_11comp_targetILNS1_3genE5ELNS1_11target_archE942ELNS1_3gpuE9ELNS1_3repE0EEENS1_30default_config_static_selectorELNS0_4arch9wavefront6targetE1EEEvT1_
    .private_segment_fixed_size: 0
    .sgpr_count:     4
    .sgpr_spill_count: 0
    .symbol:         _ZN7rocprim17ROCPRIM_400000_NS6detail17trampoline_kernelINS0_14default_configENS1_20scan_config_selectorIfEEZZNS1_9scan_implILNS1_25lookback_scan_determinismE0ELb0ELb0ES3_N6thrust23THRUST_200600_302600_NS6detail15normal_iteratorINS9_10device_ptrIfEEEESE_f11max_functorIfEfEEDaPvRmT3_T4_T5_mT6_P12ihipStream_tbENKUlT_T0_E_clISt17integral_constantIbLb0EESU_EEDaSP_SQ_EUlSP_E_NS1_11comp_targetILNS1_3genE5ELNS1_11target_archE942ELNS1_3gpuE9ELNS1_3repE0EEENS1_30default_config_static_selectorELNS0_4arch9wavefront6targetE1EEEvT1_.kd
    .uniform_work_group_size: 1
    .uses_dynamic_stack: false
    .vgpr_count:     0
    .vgpr_spill_count: 0
    .wavefront_size: 64
  - .agpr_count:     0
    .args:
      - .offset:         0
        .size:           96
        .value_kind:     by_value
    .group_segment_fixed_size: 7168
    .kernarg_segment_align: 8
    .kernarg_segment_size: 96
    .language:       OpenCL C
    .language_version:
      - 2
      - 0
    .max_flat_workgroup_size: 128
    .name:           _ZN7rocprim17ROCPRIM_400000_NS6detail17trampoline_kernelINS0_14default_configENS1_20scan_config_selectorIfEEZZNS1_9scan_implILNS1_25lookback_scan_determinismE0ELb0ELb0ES3_N6thrust23THRUST_200600_302600_NS6detail15normal_iteratorINS9_10device_ptrIfEEEESE_f11max_functorIfEfEEDaPvRmT3_T4_T5_mT6_P12ihipStream_tbENKUlT_T0_E_clISt17integral_constantIbLb0EESU_EEDaSP_SQ_EUlSP_E_NS1_11comp_targetILNS1_3genE4ELNS1_11target_archE910ELNS1_3gpuE8ELNS1_3repE0EEENS1_30default_config_static_selectorELNS0_4arch9wavefront6targetE1EEEvT1_
    .private_segment_fixed_size: 0
    .sgpr_count:     36
    .sgpr_spill_count: 0
    .symbol:         _ZN7rocprim17ROCPRIM_400000_NS6detail17trampoline_kernelINS0_14default_configENS1_20scan_config_selectorIfEEZZNS1_9scan_implILNS1_25lookback_scan_determinismE0ELb0ELb0ES3_N6thrust23THRUST_200600_302600_NS6detail15normal_iteratorINS9_10device_ptrIfEEEESE_f11max_functorIfEfEEDaPvRmT3_T4_T5_mT6_P12ihipStream_tbENKUlT_T0_E_clISt17integral_constantIbLb0EESU_EEDaSP_SQ_EUlSP_E_NS1_11comp_targetILNS1_3genE4ELNS1_11target_archE910ELNS1_3gpuE8ELNS1_3repE0EEENS1_30default_config_static_selectorELNS0_4arch9wavefront6targetE1EEEvT1_.kd
    .uniform_work_group_size: 1
    .uses_dynamic_stack: false
    .vgpr_count:     44
    .vgpr_spill_count: 0
    .wavefront_size: 64
  - .agpr_count:     0
    .args:
      - .offset:         0
        .size:           96
        .value_kind:     by_value
    .group_segment_fixed_size: 0
    .kernarg_segment_align: 8
    .kernarg_segment_size: 96
    .language:       OpenCL C
    .language_version:
      - 2
      - 0
    .max_flat_workgroup_size: 256
    .name:           _ZN7rocprim17ROCPRIM_400000_NS6detail17trampoline_kernelINS0_14default_configENS1_20scan_config_selectorIfEEZZNS1_9scan_implILNS1_25lookback_scan_determinismE0ELb0ELb0ES3_N6thrust23THRUST_200600_302600_NS6detail15normal_iteratorINS9_10device_ptrIfEEEESE_f11max_functorIfEfEEDaPvRmT3_T4_T5_mT6_P12ihipStream_tbENKUlT_T0_E_clISt17integral_constantIbLb0EESU_EEDaSP_SQ_EUlSP_E_NS1_11comp_targetILNS1_3genE3ELNS1_11target_archE908ELNS1_3gpuE7ELNS1_3repE0EEENS1_30default_config_static_selectorELNS0_4arch9wavefront6targetE1EEEvT1_
    .private_segment_fixed_size: 0
    .sgpr_count:     4
    .sgpr_spill_count: 0
    .symbol:         _ZN7rocprim17ROCPRIM_400000_NS6detail17trampoline_kernelINS0_14default_configENS1_20scan_config_selectorIfEEZZNS1_9scan_implILNS1_25lookback_scan_determinismE0ELb0ELb0ES3_N6thrust23THRUST_200600_302600_NS6detail15normal_iteratorINS9_10device_ptrIfEEEESE_f11max_functorIfEfEEDaPvRmT3_T4_T5_mT6_P12ihipStream_tbENKUlT_T0_E_clISt17integral_constantIbLb0EESU_EEDaSP_SQ_EUlSP_E_NS1_11comp_targetILNS1_3genE3ELNS1_11target_archE908ELNS1_3gpuE7ELNS1_3repE0EEENS1_30default_config_static_selectorELNS0_4arch9wavefront6targetE1EEEvT1_.kd
    .uniform_work_group_size: 1
    .uses_dynamic_stack: false
    .vgpr_count:     0
    .vgpr_spill_count: 0
    .wavefront_size: 64
  - .agpr_count:     0
    .args:
      - .offset:         0
        .size:           96
        .value_kind:     by_value
    .group_segment_fixed_size: 0
    .kernarg_segment_align: 8
    .kernarg_segment_size: 96
    .language:       OpenCL C
    .language_version:
      - 2
      - 0
    .max_flat_workgroup_size: 256
    .name:           _ZN7rocprim17ROCPRIM_400000_NS6detail17trampoline_kernelINS0_14default_configENS1_20scan_config_selectorIfEEZZNS1_9scan_implILNS1_25lookback_scan_determinismE0ELb0ELb0ES3_N6thrust23THRUST_200600_302600_NS6detail15normal_iteratorINS9_10device_ptrIfEEEESE_f11max_functorIfEfEEDaPvRmT3_T4_T5_mT6_P12ihipStream_tbENKUlT_T0_E_clISt17integral_constantIbLb0EESU_EEDaSP_SQ_EUlSP_E_NS1_11comp_targetILNS1_3genE2ELNS1_11target_archE906ELNS1_3gpuE6ELNS1_3repE0EEENS1_30default_config_static_selectorELNS0_4arch9wavefront6targetE1EEEvT1_
    .private_segment_fixed_size: 0
    .sgpr_count:     4
    .sgpr_spill_count: 0
    .symbol:         _ZN7rocprim17ROCPRIM_400000_NS6detail17trampoline_kernelINS0_14default_configENS1_20scan_config_selectorIfEEZZNS1_9scan_implILNS1_25lookback_scan_determinismE0ELb0ELb0ES3_N6thrust23THRUST_200600_302600_NS6detail15normal_iteratorINS9_10device_ptrIfEEEESE_f11max_functorIfEfEEDaPvRmT3_T4_T5_mT6_P12ihipStream_tbENKUlT_T0_E_clISt17integral_constantIbLb0EESU_EEDaSP_SQ_EUlSP_E_NS1_11comp_targetILNS1_3genE2ELNS1_11target_archE906ELNS1_3gpuE6ELNS1_3repE0EEENS1_30default_config_static_selectorELNS0_4arch9wavefront6targetE1EEEvT1_.kd
    .uniform_work_group_size: 1
    .uses_dynamic_stack: false
    .vgpr_count:     0
    .vgpr_spill_count: 0
    .wavefront_size: 64
  - .agpr_count:     0
    .args:
      - .offset:         0
        .size:           96
        .value_kind:     by_value
    .group_segment_fixed_size: 0
    .kernarg_segment_align: 8
    .kernarg_segment_size: 96
    .language:       OpenCL C
    .language_version:
      - 2
      - 0
    .max_flat_workgroup_size: 256
    .name:           _ZN7rocprim17ROCPRIM_400000_NS6detail17trampoline_kernelINS0_14default_configENS1_20scan_config_selectorIfEEZZNS1_9scan_implILNS1_25lookback_scan_determinismE0ELb0ELb0ES3_N6thrust23THRUST_200600_302600_NS6detail15normal_iteratorINS9_10device_ptrIfEEEESE_f11max_functorIfEfEEDaPvRmT3_T4_T5_mT6_P12ihipStream_tbENKUlT_T0_E_clISt17integral_constantIbLb0EESU_EEDaSP_SQ_EUlSP_E_NS1_11comp_targetILNS1_3genE10ELNS1_11target_archE1201ELNS1_3gpuE5ELNS1_3repE0EEENS1_30default_config_static_selectorELNS0_4arch9wavefront6targetE1EEEvT1_
    .private_segment_fixed_size: 0
    .sgpr_count:     4
    .sgpr_spill_count: 0
    .symbol:         _ZN7rocprim17ROCPRIM_400000_NS6detail17trampoline_kernelINS0_14default_configENS1_20scan_config_selectorIfEEZZNS1_9scan_implILNS1_25lookback_scan_determinismE0ELb0ELb0ES3_N6thrust23THRUST_200600_302600_NS6detail15normal_iteratorINS9_10device_ptrIfEEEESE_f11max_functorIfEfEEDaPvRmT3_T4_T5_mT6_P12ihipStream_tbENKUlT_T0_E_clISt17integral_constantIbLb0EESU_EEDaSP_SQ_EUlSP_E_NS1_11comp_targetILNS1_3genE10ELNS1_11target_archE1201ELNS1_3gpuE5ELNS1_3repE0EEENS1_30default_config_static_selectorELNS0_4arch9wavefront6targetE1EEEvT1_.kd
    .uniform_work_group_size: 1
    .uses_dynamic_stack: false
    .vgpr_count:     0
    .vgpr_spill_count: 0
    .wavefront_size: 64
  - .agpr_count:     0
    .args:
      - .offset:         0
        .size:           96
        .value_kind:     by_value
    .group_segment_fixed_size: 0
    .kernarg_segment_align: 8
    .kernarg_segment_size: 96
    .language:       OpenCL C
    .language_version:
      - 2
      - 0
    .max_flat_workgroup_size: 256
    .name:           _ZN7rocprim17ROCPRIM_400000_NS6detail17trampoline_kernelINS0_14default_configENS1_20scan_config_selectorIfEEZZNS1_9scan_implILNS1_25lookback_scan_determinismE0ELb0ELb0ES3_N6thrust23THRUST_200600_302600_NS6detail15normal_iteratorINS9_10device_ptrIfEEEESE_f11max_functorIfEfEEDaPvRmT3_T4_T5_mT6_P12ihipStream_tbENKUlT_T0_E_clISt17integral_constantIbLb0EESU_EEDaSP_SQ_EUlSP_E_NS1_11comp_targetILNS1_3genE10ELNS1_11target_archE1200ELNS1_3gpuE4ELNS1_3repE0EEENS1_30default_config_static_selectorELNS0_4arch9wavefront6targetE1EEEvT1_
    .private_segment_fixed_size: 0
    .sgpr_count:     4
    .sgpr_spill_count: 0
    .symbol:         _ZN7rocprim17ROCPRIM_400000_NS6detail17trampoline_kernelINS0_14default_configENS1_20scan_config_selectorIfEEZZNS1_9scan_implILNS1_25lookback_scan_determinismE0ELb0ELb0ES3_N6thrust23THRUST_200600_302600_NS6detail15normal_iteratorINS9_10device_ptrIfEEEESE_f11max_functorIfEfEEDaPvRmT3_T4_T5_mT6_P12ihipStream_tbENKUlT_T0_E_clISt17integral_constantIbLb0EESU_EEDaSP_SQ_EUlSP_E_NS1_11comp_targetILNS1_3genE10ELNS1_11target_archE1200ELNS1_3gpuE4ELNS1_3repE0EEENS1_30default_config_static_selectorELNS0_4arch9wavefront6targetE1EEEvT1_.kd
    .uniform_work_group_size: 1
    .uses_dynamic_stack: false
    .vgpr_count:     0
    .vgpr_spill_count: 0
    .wavefront_size: 64
  - .agpr_count:     0
    .args:
      - .offset:         0
        .size:           96
        .value_kind:     by_value
    .group_segment_fixed_size: 0
    .kernarg_segment_align: 8
    .kernarg_segment_size: 96
    .language:       OpenCL C
    .language_version:
      - 2
      - 0
    .max_flat_workgroup_size: 256
    .name:           _ZN7rocprim17ROCPRIM_400000_NS6detail17trampoline_kernelINS0_14default_configENS1_20scan_config_selectorIfEEZZNS1_9scan_implILNS1_25lookback_scan_determinismE0ELb0ELb0ES3_N6thrust23THRUST_200600_302600_NS6detail15normal_iteratorINS9_10device_ptrIfEEEESE_f11max_functorIfEfEEDaPvRmT3_T4_T5_mT6_P12ihipStream_tbENKUlT_T0_E_clISt17integral_constantIbLb0EESU_EEDaSP_SQ_EUlSP_E_NS1_11comp_targetILNS1_3genE9ELNS1_11target_archE1100ELNS1_3gpuE3ELNS1_3repE0EEENS1_30default_config_static_selectorELNS0_4arch9wavefront6targetE1EEEvT1_
    .private_segment_fixed_size: 0
    .sgpr_count:     4
    .sgpr_spill_count: 0
    .symbol:         _ZN7rocprim17ROCPRIM_400000_NS6detail17trampoline_kernelINS0_14default_configENS1_20scan_config_selectorIfEEZZNS1_9scan_implILNS1_25lookback_scan_determinismE0ELb0ELb0ES3_N6thrust23THRUST_200600_302600_NS6detail15normal_iteratorINS9_10device_ptrIfEEEESE_f11max_functorIfEfEEDaPvRmT3_T4_T5_mT6_P12ihipStream_tbENKUlT_T0_E_clISt17integral_constantIbLb0EESU_EEDaSP_SQ_EUlSP_E_NS1_11comp_targetILNS1_3genE9ELNS1_11target_archE1100ELNS1_3gpuE3ELNS1_3repE0EEENS1_30default_config_static_selectorELNS0_4arch9wavefront6targetE1EEEvT1_.kd
    .uniform_work_group_size: 1
    .uses_dynamic_stack: false
    .vgpr_count:     0
    .vgpr_spill_count: 0
    .wavefront_size: 64
  - .agpr_count:     0
    .args:
      - .offset:         0
        .size:           96
        .value_kind:     by_value
    .group_segment_fixed_size: 0
    .kernarg_segment_align: 8
    .kernarg_segment_size: 96
    .language:       OpenCL C
    .language_version:
      - 2
      - 0
    .max_flat_workgroup_size: 64
    .name:           _ZN7rocprim17ROCPRIM_400000_NS6detail17trampoline_kernelINS0_14default_configENS1_20scan_config_selectorIfEEZZNS1_9scan_implILNS1_25lookback_scan_determinismE0ELb0ELb0ES3_N6thrust23THRUST_200600_302600_NS6detail15normal_iteratorINS9_10device_ptrIfEEEESE_f11max_functorIfEfEEDaPvRmT3_T4_T5_mT6_P12ihipStream_tbENKUlT_T0_E_clISt17integral_constantIbLb0EESU_EEDaSP_SQ_EUlSP_E_NS1_11comp_targetILNS1_3genE8ELNS1_11target_archE1030ELNS1_3gpuE2ELNS1_3repE0EEENS1_30default_config_static_selectorELNS0_4arch9wavefront6targetE1EEEvT1_
    .private_segment_fixed_size: 0
    .sgpr_count:     4
    .sgpr_spill_count: 0
    .symbol:         _ZN7rocprim17ROCPRIM_400000_NS6detail17trampoline_kernelINS0_14default_configENS1_20scan_config_selectorIfEEZZNS1_9scan_implILNS1_25lookback_scan_determinismE0ELb0ELb0ES3_N6thrust23THRUST_200600_302600_NS6detail15normal_iteratorINS9_10device_ptrIfEEEESE_f11max_functorIfEfEEDaPvRmT3_T4_T5_mT6_P12ihipStream_tbENKUlT_T0_E_clISt17integral_constantIbLb0EESU_EEDaSP_SQ_EUlSP_E_NS1_11comp_targetILNS1_3genE8ELNS1_11target_archE1030ELNS1_3gpuE2ELNS1_3repE0EEENS1_30default_config_static_selectorELNS0_4arch9wavefront6targetE1EEEvT1_.kd
    .uniform_work_group_size: 1
    .uses_dynamic_stack: false
    .vgpr_count:     0
    .vgpr_spill_count: 0
    .wavefront_size: 64
  - .agpr_count:     0
    .args:
      - .offset:         0
        .size:           32
        .value_kind:     by_value
    .group_segment_fixed_size: 0
    .kernarg_segment_align: 8
    .kernarg_segment_size: 32
    .language:       OpenCL C
    .language_version:
      - 2
      - 0
    .max_flat_workgroup_size: 256
    .name:           _ZN7rocprim17ROCPRIM_400000_NS6detail17trampoline_kernelINS0_14default_configENS1_20scan_config_selectorIfEEZZNS1_9scan_implILNS1_25lookback_scan_determinismE0ELb0ELb0ES3_N6thrust23THRUST_200600_302600_NS6detail15normal_iteratorINS9_10device_ptrIfEEEESE_f11max_functorIfEfEEDaPvRmT3_T4_T5_mT6_P12ihipStream_tbENKUlT_T0_E_clISt17integral_constantIbLb0EESU_EEDaSP_SQ_EUlSP_E0_NS1_11comp_targetILNS1_3genE0ELNS1_11target_archE4294967295ELNS1_3gpuE0ELNS1_3repE0EEENS1_30default_config_static_selectorELNS0_4arch9wavefront6targetE1EEEvT1_
    .private_segment_fixed_size: 0
    .sgpr_count:     4
    .sgpr_spill_count: 0
    .symbol:         _ZN7rocprim17ROCPRIM_400000_NS6detail17trampoline_kernelINS0_14default_configENS1_20scan_config_selectorIfEEZZNS1_9scan_implILNS1_25lookback_scan_determinismE0ELb0ELb0ES3_N6thrust23THRUST_200600_302600_NS6detail15normal_iteratorINS9_10device_ptrIfEEEESE_f11max_functorIfEfEEDaPvRmT3_T4_T5_mT6_P12ihipStream_tbENKUlT_T0_E_clISt17integral_constantIbLb0EESU_EEDaSP_SQ_EUlSP_E0_NS1_11comp_targetILNS1_3genE0ELNS1_11target_archE4294967295ELNS1_3gpuE0ELNS1_3repE0EEENS1_30default_config_static_selectorELNS0_4arch9wavefront6targetE1EEEvT1_.kd
    .uniform_work_group_size: 1
    .uses_dynamic_stack: false
    .vgpr_count:     0
    .vgpr_spill_count: 0
    .wavefront_size: 64
  - .agpr_count:     0
    .args:
      - .offset:         0
        .size:           32
        .value_kind:     by_value
    .group_segment_fixed_size: 0
    .kernarg_segment_align: 8
    .kernarg_segment_size: 32
    .language:       OpenCL C
    .language_version:
      - 2
      - 0
    .max_flat_workgroup_size: 256
    .name:           _ZN7rocprim17ROCPRIM_400000_NS6detail17trampoline_kernelINS0_14default_configENS1_20scan_config_selectorIfEEZZNS1_9scan_implILNS1_25lookback_scan_determinismE0ELb0ELb0ES3_N6thrust23THRUST_200600_302600_NS6detail15normal_iteratorINS9_10device_ptrIfEEEESE_f11max_functorIfEfEEDaPvRmT3_T4_T5_mT6_P12ihipStream_tbENKUlT_T0_E_clISt17integral_constantIbLb0EESU_EEDaSP_SQ_EUlSP_E0_NS1_11comp_targetILNS1_3genE5ELNS1_11target_archE942ELNS1_3gpuE9ELNS1_3repE0EEENS1_30default_config_static_selectorELNS0_4arch9wavefront6targetE1EEEvT1_
    .private_segment_fixed_size: 0
    .sgpr_count:     4
    .sgpr_spill_count: 0
    .symbol:         _ZN7rocprim17ROCPRIM_400000_NS6detail17trampoline_kernelINS0_14default_configENS1_20scan_config_selectorIfEEZZNS1_9scan_implILNS1_25lookback_scan_determinismE0ELb0ELb0ES3_N6thrust23THRUST_200600_302600_NS6detail15normal_iteratorINS9_10device_ptrIfEEEESE_f11max_functorIfEfEEDaPvRmT3_T4_T5_mT6_P12ihipStream_tbENKUlT_T0_E_clISt17integral_constantIbLb0EESU_EEDaSP_SQ_EUlSP_E0_NS1_11comp_targetILNS1_3genE5ELNS1_11target_archE942ELNS1_3gpuE9ELNS1_3repE0EEENS1_30default_config_static_selectorELNS0_4arch9wavefront6targetE1EEEvT1_.kd
    .uniform_work_group_size: 1
    .uses_dynamic_stack: false
    .vgpr_count:     0
    .vgpr_spill_count: 0
    .wavefront_size: 64
  - .agpr_count:     0
    .args:
      - .offset:         0
        .size:           32
        .value_kind:     by_value
    .group_segment_fixed_size: 7168
    .kernarg_segment_align: 8
    .kernarg_segment_size: 32
    .language:       OpenCL C
    .language_version:
      - 2
      - 0
    .max_flat_workgroup_size: 128
    .name:           _ZN7rocprim17ROCPRIM_400000_NS6detail17trampoline_kernelINS0_14default_configENS1_20scan_config_selectorIfEEZZNS1_9scan_implILNS1_25lookback_scan_determinismE0ELb0ELb0ES3_N6thrust23THRUST_200600_302600_NS6detail15normal_iteratorINS9_10device_ptrIfEEEESE_f11max_functorIfEfEEDaPvRmT3_T4_T5_mT6_P12ihipStream_tbENKUlT_T0_E_clISt17integral_constantIbLb0EESU_EEDaSP_SQ_EUlSP_E0_NS1_11comp_targetILNS1_3genE4ELNS1_11target_archE910ELNS1_3gpuE8ELNS1_3repE0EEENS1_30default_config_static_selectorELNS0_4arch9wavefront6targetE1EEEvT1_
    .private_segment_fixed_size: 0
    .sgpr_count:     44
    .sgpr_spill_count: 0
    .symbol:         _ZN7rocprim17ROCPRIM_400000_NS6detail17trampoline_kernelINS0_14default_configENS1_20scan_config_selectorIfEEZZNS1_9scan_implILNS1_25lookback_scan_determinismE0ELb0ELb0ES3_N6thrust23THRUST_200600_302600_NS6detail15normal_iteratorINS9_10device_ptrIfEEEESE_f11max_functorIfEfEEDaPvRmT3_T4_T5_mT6_P12ihipStream_tbENKUlT_T0_E_clISt17integral_constantIbLb0EESU_EEDaSP_SQ_EUlSP_E0_NS1_11comp_targetILNS1_3genE4ELNS1_11target_archE910ELNS1_3gpuE8ELNS1_3repE0EEENS1_30default_config_static_selectorELNS0_4arch9wavefront6targetE1EEEvT1_.kd
    .uniform_work_group_size: 1
    .uses_dynamic_stack: false
    .vgpr_count:     25
    .vgpr_spill_count: 0
    .wavefront_size: 64
  - .agpr_count:     0
    .args:
      - .offset:         0
        .size:           32
        .value_kind:     by_value
    .group_segment_fixed_size: 0
    .kernarg_segment_align: 8
    .kernarg_segment_size: 32
    .language:       OpenCL C
    .language_version:
      - 2
      - 0
    .max_flat_workgroup_size: 256
    .name:           _ZN7rocprim17ROCPRIM_400000_NS6detail17trampoline_kernelINS0_14default_configENS1_20scan_config_selectorIfEEZZNS1_9scan_implILNS1_25lookback_scan_determinismE0ELb0ELb0ES3_N6thrust23THRUST_200600_302600_NS6detail15normal_iteratorINS9_10device_ptrIfEEEESE_f11max_functorIfEfEEDaPvRmT3_T4_T5_mT6_P12ihipStream_tbENKUlT_T0_E_clISt17integral_constantIbLb0EESU_EEDaSP_SQ_EUlSP_E0_NS1_11comp_targetILNS1_3genE3ELNS1_11target_archE908ELNS1_3gpuE7ELNS1_3repE0EEENS1_30default_config_static_selectorELNS0_4arch9wavefront6targetE1EEEvT1_
    .private_segment_fixed_size: 0
    .sgpr_count:     4
    .sgpr_spill_count: 0
    .symbol:         _ZN7rocprim17ROCPRIM_400000_NS6detail17trampoline_kernelINS0_14default_configENS1_20scan_config_selectorIfEEZZNS1_9scan_implILNS1_25lookback_scan_determinismE0ELb0ELb0ES3_N6thrust23THRUST_200600_302600_NS6detail15normal_iteratorINS9_10device_ptrIfEEEESE_f11max_functorIfEfEEDaPvRmT3_T4_T5_mT6_P12ihipStream_tbENKUlT_T0_E_clISt17integral_constantIbLb0EESU_EEDaSP_SQ_EUlSP_E0_NS1_11comp_targetILNS1_3genE3ELNS1_11target_archE908ELNS1_3gpuE7ELNS1_3repE0EEENS1_30default_config_static_selectorELNS0_4arch9wavefront6targetE1EEEvT1_.kd
    .uniform_work_group_size: 1
    .uses_dynamic_stack: false
    .vgpr_count:     0
    .vgpr_spill_count: 0
    .wavefront_size: 64
  - .agpr_count:     0
    .args:
      - .offset:         0
        .size:           32
        .value_kind:     by_value
    .group_segment_fixed_size: 0
    .kernarg_segment_align: 8
    .kernarg_segment_size: 32
    .language:       OpenCL C
    .language_version:
      - 2
      - 0
    .max_flat_workgroup_size: 256
    .name:           _ZN7rocprim17ROCPRIM_400000_NS6detail17trampoline_kernelINS0_14default_configENS1_20scan_config_selectorIfEEZZNS1_9scan_implILNS1_25lookback_scan_determinismE0ELb0ELb0ES3_N6thrust23THRUST_200600_302600_NS6detail15normal_iteratorINS9_10device_ptrIfEEEESE_f11max_functorIfEfEEDaPvRmT3_T4_T5_mT6_P12ihipStream_tbENKUlT_T0_E_clISt17integral_constantIbLb0EESU_EEDaSP_SQ_EUlSP_E0_NS1_11comp_targetILNS1_3genE2ELNS1_11target_archE906ELNS1_3gpuE6ELNS1_3repE0EEENS1_30default_config_static_selectorELNS0_4arch9wavefront6targetE1EEEvT1_
    .private_segment_fixed_size: 0
    .sgpr_count:     4
    .sgpr_spill_count: 0
    .symbol:         _ZN7rocprim17ROCPRIM_400000_NS6detail17trampoline_kernelINS0_14default_configENS1_20scan_config_selectorIfEEZZNS1_9scan_implILNS1_25lookback_scan_determinismE0ELb0ELb0ES3_N6thrust23THRUST_200600_302600_NS6detail15normal_iteratorINS9_10device_ptrIfEEEESE_f11max_functorIfEfEEDaPvRmT3_T4_T5_mT6_P12ihipStream_tbENKUlT_T0_E_clISt17integral_constantIbLb0EESU_EEDaSP_SQ_EUlSP_E0_NS1_11comp_targetILNS1_3genE2ELNS1_11target_archE906ELNS1_3gpuE6ELNS1_3repE0EEENS1_30default_config_static_selectorELNS0_4arch9wavefront6targetE1EEEvT1_.kd
    .uniform_work_group_size: 1
    .uses_dynamic_stack: false
    .vgpr_count:     0
    .vgpr_spill_count: 0
    .wavefront_size: 64
  - .agpr_count:     0
    .args:
      - .offset:         0
        .size:           32
        .value_kind:     by_value
    .group_segment_fixed_size: 0
    .kernarg_segment_align: 8
    .kernarg_segment_size: 32
    .language:       OpenCL C
    .language_version:
      - 2
      - 0
    .max_flat_workgroup_size: 256
    .name:           _ZN7rocprim17ROCPRIM_400000_NS6detail17trampoline_kernelINS0_14default_configENS1_20scan_config_selectorIfEEZZNS1_9scan_implILNS1_25lookback_scan_determinismE0ELb0ELb0ES3_N6thrust23THRUST_200600_302600_NS6detail15normal_iteratorINS9_10device_ptrIfEEEESE_f11max_functorIfEfEEDaPvRmT3_T4_T5_mT6_P12ihipStream_tbENKUlT_T0_E_clISt17integral_constantIbLb0EESU_EEDaSP_SQ_EUlSP_E0_NS1_11comp_targetILNS1_3genE10ELNS1_11target_archE1201ELNS1_3gpuE5ELNS1_3repE0EEENS1_30default_config_static_selectorELNS0_4arch9wavefront6targetE1EEEvT1_
    .private_segment_fixed_size: 0
    .sgpr_count:     4
    .sgpr_spill_count: 0
    .symbol:         _ZN7rocprim17ROCPRIM_400000_NS6detail17trampoline_kernelINS0_14default_configENS1_20scan_config_selectorIfEEZZNS1_9scan_implILNS1_25lookback_scan_determinismE0ELb0ELb0ES3_N6thrust23THRUST_200600_302600_NS6detail15normal_iteratorINS9_10device_ptrIfEEEESE_f11max_functorIfEfEEDaPvRmT3_T4_T5_mT6_P12ihipStream_tbENKUlT_T0_E_clISt17integral_constantIbLb0EESU_EEDaSP_SQ_EUlSP_E0_NS1_11comp_targetILNS1_3genE10ELNS1_11target_archE1201ELNS1_3gpuE5ELNS1_3repE0EEENS1_30default_config_static_selectorELNS0_4arch9wavefront6targetE1EEEvT1_.kd
    .uniform_work_group_size: 1
    .uses_dynamic_stack: false
    .vgpr_count:     0
    .vgpr_spill_count: 0
    .wavefront_size: 64
  - .agpr_count:     0
    .args:
      - .offset:         0
        .size:           32
        .value_kind:     by_value
    .group_segment_fixed_size: 0
    .kernarg_segment_align: 8
    .kernarg_segment_size: 32
    .language:       OpenCL C
    .language_version:
      - 2
      - 0
    .max_flat_workgroup_size: 256
    .name:           _ZN7rocprim17ROCPRIM_400000_NS6detail17trampoline_kernelINS0_14default_configENS1_20scan_config_selectorIfEEZZNS1_9scan_implILNS1_25lookback_scan_determinismE0ELb0ELb0ES3_N6thrust23THRUST_200600_302600_NS6detail15normal_iteratorINS9_10device_ptrIfEEEESE_f11max_functorIfEfEEDaPvRmT3_T4_T5_mT6_P12ihipStream_tbENKUlT_T0_E_clISt17integral_constantIbLb0EESU_EEDaSP_SQ_EUlSP_E0_NS1_11comp_targetILNS1_3genE10ELNS1_11target_archE1200ELNS1_3gpuE4ELNS1_3repE0EEENS1_30default_config_static_selectorELNS0_4arch9wavefront6targetE1EEEvT1_
    .private_segment_fixed_size: 0
    .sgpr_count:     4
    .sgpr_spill_count: 0
    .symbol:         _ZN7rocprim17ROCPRIM_400000_NS6detail17trampoline_kernelINS0_14default_configENS1_20scan_config_selectorIfEEZZNS1_9scan_implILNS1_25lookback_scan_determinismE0ELb0ELb0ES3_N6thrust23THRUST_200600_302600_NS6detail15normal_iteratorINS9_10device_ptrIfEEEESE_f11max_functorIfEfEEDaPvRmT3_T4_T5_mT6_P12ihipStream_tbENKUlT_T0_E_clISt17integral_constantIbLb0EESU_EEDaSP_SQ_EUlSP_E0_NS1_11comp_targetILNS1_3genE10ELNS1_11target_archE1200ELNS1_3gpuE4ELNS1_3repE0EEENS1_30default_config_static_selectorELNS0_4arch9wavefront6targetE1EEEvT1_.kd
    .uniform_work_group_size: 1
    .uses_dynamic_stack: false
    .vgpr_count:     0
    .vgpr_spill_count: 0
    .wavefront_size: 64
  - .agpr_count:     0
    .args:
      - .offset:         0
        .size:           32
        .value_kind:     by_value
    .group_segment_fixed_size: 0
    .kernarg_segment_align: 8
    .kernarg_segment_size: 32
    .language:       OpenCL C
    .language_version:
      - 2
      - 0
    .max_flat_workgroup_size: 256
    .name:           _ZN7rocprim17ROCPRIM_400000_NS6detail17trampoline_kernelINS0_14default_configENS1_20scan_config_selectorIfEEZZNS1_9scan_implILNS1_25lookback_scan_determinismE0ELb0ELb0ES3_N6thrust23THRUST_200600_302600_NS6detail15normal_iteratorINS9_10device_ptrIfEEEESE_f11max_functorIfEfEEDaPvRmT3_T4_T5_mT6_P12ihipStream_tbENKUlT_T0_E_clISt17integral_constantIbLb0EESU_EEDaSP_SQ_EUlSP_E0_NS1_11comp_targetILNS1_3genE9ELNS1_11target_archE1100ELNS1_3gpuE3ELNS1_3repE0EEENS1_30default_config_static_selectorELNS0_4arch9wavefront6targetE1EEEvT1_
    .private_segment_fixed_size: 0
    .sgpr_count:     4
    .sgpr_spill_count: 0
    .symbol:         _ZN7rocprim17ROCPRIM_400000_NS6detail17trampoline_kernelINS0_14default_configENS1_20scan_config_selectorIfEEZZNS1_9scan_implILNS1_25lookback_scan_determinismE0ELb0ELb0ES3_N6thrust23THRUST_200600_302600_NS6detail15normal_iteratorINS9_10device_ptrIfEEEESE_f11max_functorIfEfEEDaPvRmT3_T4_T5_mT6_P12ihipStream_tbENKUlT_T0_E_clISt17integral_constantIbLb0EESU_EEDaSP_SQ_EUlSP_E0_NS1_11comp_targetILNS1_3genE9ELNS1_11target_archE1100ELNS1_3gpuE3ELNS1_3repE0EEENS1_30default_config_static_selectorELNS0_4arch9wavefront6targetE1EEEvT1_.kd
    .uniform_work_group_size: 1
    .uses_dynamic_stack: false
    .vgpr_count:     0
    .vgpr_spill_count: 0
    .wavefront_size: 64
  - .agpr_count:     0
    .args:
      - .offset:         0
        .size:           32
        .value_kind:     by_value
    .group_segment_fixed_size: 0
    .kernarg_segment_align: 8
    .kernarg_segment_size: 32
    .language:       OpenCL C
    .language_version:
      - 2
      - 0
    .max_flat_workgroup_size: 64
    .name:           _ZN7rocprim17ROCPRIM_400000_NS6detail17trampoline_kernelINS0_14default_configENS1_20scan_config_selectorIfEEZZNS1_9scan_implILNS1_25lookback_scan_determinismE0ELb0ELb0ES3_N6thrust23THRUST_200600_302600_NS6detail15normal_iteratorINS9_10device_ptrIfEEEESE_f11max_functorIfEfEEDaPvRmT3_T4_T5_mT6_P12ihipStream_tbENKUlT_T0_E_clISt17integral_constantIbLb0EESU_EEDaSP_SQ_EUlSP_E0_NS1_11comp_targetILNS1_3genE8ELNS1_11target_archE1030ELNS1_3gpuE2ELNS1_3repE0EEENS1_30default_config_static_selectorELNS0_4arch9wavefront6targetE1EEEvT1_
    .private_segment_fixed_size: 0
    .sgpr_count:     4
    .sgpr_spill_count: 0
    .symbol:         _ZN7rocprim17ROCPRIM_400000_NS6detail17trampoline_kernelINS0_14default_configENS1_20scan_config_selectorIfEEZZNS1_9scan_implILNS1_25lookback_scan_determinismE0ELb0ELb0ES3_N6thrust23THRUST_200600_302600_NS6detail15normal_iteratorINS9_10device_ptrIfEEEESE_f11max_functorIfEfEEDaPvRmT3_T4_T5_mT6_P12ihipStream_tbENKUlT_T0_E_clISt17integral_constantIbLb0EESU_EEDaSP_SQ_EUlSP_E0_NS1_11comp_targetILNS1_3genE8ELNS1_11target_archE1030ELNS1_3gpuE2ELNS1_3repE0EEENS1_30default_config_static_selectorELNS0_4arch9wavefront6targetE1EEEvT1_.kd
    .uniform_work_group_size: 1
    .uses_dynamic_stack: false
    .vgpr_count:     0
    .vgpr_spill_count: 0
    .wavefront_size: 64
  - .agpr_count:     0
    .args:
      - .offset:         0
        .size:           96
        .value_kind:     by_value
    .group_segment_fixed_size: 0
    .kernarg_segment_align: 8
    .kernarg_segment_size: 96
    .language:       OpenCL C
    .language_version:
      - 2
      - 0
    .max_flat_workgroup_size: 256
    .name:           _ZN7rocprim17ROCPRIM_400000_NS6detail17trampoline_kernelINS0_14default_configENS1_20scan_config_selectorIfEEZZNS1_9scan_implILNS1_25lookback_scan_determinismE0ELb0ELb0ES3_N6thrust23THRUST_200600_302600_NS6detail15normal_iteratorINS9_10device_ptrIfEEEESE_f11max_functorIfEfEEDaPvRmT3_T4_T5_mT6_P12ihipStream_tbENKUlT_T0_E_clISt17integral_constantIbLb1EESU_EEDaSP_SQ_EUlSP_E_NS1_11comp_targetILNS1_3genE0ELNS1_11target_archE4294967295ELNS1_3gpuE0ELNS1_3repE0EEENS1_30default_config_static_selectorELNS0_4arch9wavefront6targetE1EEEvT1_
    .private_segment_fixed_size: 0
    .sgpr_count:     4
    .sgpr_spill_count: 0
    .symbol:         _ZN7rocprim17ROCPRIM_400000_NS6detail17trampoline_kernelINS0_14default_configENS1_20scan_config_selectorIfEEZZNS1_9scan_implILNS1_25lookback_scan_determinismE0ELb0ELb0ES3_N6thrust23THRUST_200600_302600_NS6detail15normal_iteratorINS9_10device_ptrIfEEEESE_f11max_functorIfEfEEDaPvRmT3_T4_T5_mT6_P12ihipStream_tbENKUlT_T0_E_clISt17integral_constantIbLb1EESU_EEDaSP_SQ_EUlSP_E_NS1_11comp_targetILNS1_3genE0ELNS1_11target_archE4294967295ELNS1_3gpuE0ELNS1_3repE0EEENS1_30default_config_static_selectorELNS0_4arch9wavefront6targetE1EEEvT1_.kd
    .uniform_work_group_size: 1
    .uses_dynamic_stack: false
    .vgpr_count:     0
    .vgpr_spill_count: 0
    .wavefront_size: 64
  - .agpr_count:     0
    .args:
      - .offset:         0
        .size:           96
        .value_kind:     by_value
    .group_segment_fixed_size: 0
    .kernarg_segment_align: 8
    .kernarg_segment_size: 96
    .language:       OpenCL C
    .language_version:
      - 2
      - 0
    .max_flat_workgroup_size: 256
    .name:           _ZN7rocprim17ROCPRIM_400000_NS6detail17trampoline_kernelINS0_14default_configENS1_20scan_config_selectorIfEEZZNS1_9scan_implILNS1_25lookback_scan_determinismE0ELb0ELb0ES3_N6thrust23THRUST_200600_302600_NS6detail15normal_iteratorINS9_10device_ptrIfEEEESE_f11max_functorIfEfEEDaPvRmT3_T4_T5_mT6_P12ihipStream_tbENKUlT_T0_E_clISt17integral_constantIbLb1EESU_EEDaSP_SQ_EUlSP_E_NS1_11comp_targetILNS1_3genE5ELNS1_11target_archE942ELNS1_3gpuE9ELNS1_3repE0EEENS1_30default_config_static_selectorELNS0_4arch9wavefront6targetE1EEEvT1_
    .private_segment_fixed_size: 0
    .sgpr_count:     4
    .sgpr_spill_count: 0
    .symbol:         _ZN7rocprim17ROCPRIM_400000_NS6detail17trampoline_kernelINS0_14default_configENS1_20scan_config_selectorIfEEZZNS1_9scan_implILNS1_25lookback_scan_determinismE0ELb0ELb0ES3_N6thrust23THRUST_200600_302600_NS6detail15normal_iteratorINS9_10device_ptrIfEEEESE_f11max_functorIfEfEEDaPvRmT3_T4_T5_mT6_P12ihipStream_tbENKUlT_T0_E_clISt17integral_constantIbLb1EESU_EEDaSP_SQ_EUlSP_E_NS1_11comp_targetILNS1_3genE5ELNS1_11target_archE942ELNS1_3gpuE9ELNS1_3repE0EEENS1_30default_config_static_selectorELNS0_4arch9wavefront6targetE1EEEvT1_.kd
    .uniform_work_group_size: 1
    .uses_dynamic_stack: false
    .vgpr_count:     0
    .vgpr_spill_count: 0
    .wavefront_size: 64
  - .agpr_count:     0
    .args:
      - .offset:         0
        .size:           96
        .value_kind:     by_value
    .group_segment_fixed_size: 7168
    .kernarg_segment_align: 8
    .kernarg_segment_size: 96
    .language:       OpenCL C
    .language_version:
      - 2
      - 0
    .max_flat_workgroup_size: 128
    .name:           _ZN7rocprim17ROCPRIM_400000_NS6detail17trampoline_kernelINS0_14default_configENS1_20scan_config_selectorIfEEZZNS1_9scan_implILNS1_25lookback_scan_determinismE0ELb0ELb0ES3_N6thrust23THRUST_200600_302600_NS6detail15normal_iteratorINS9_10device_ptrIfEEEESE_f11max_functorIfEfEEDaPvRmT3_T4_T5_mT6_P12ihipStream_tbENKUlT_T0_E_clISt17integral_constantIbLb1EESU_EEDaSP_SQ_EUlSP_E_NS1_11comp_targetILNS1_3genE4ELNS1_11target_archE910ELNS1_3gpuE8ELNS1_3repE0EEENS1_30default_config_static_selectorELNS0_4arch9wavefront6targetE1EEEvT1_
    .private_segment_fixed_size: 0
    .sgpr_count:     42
    .sgpr_spill_count: 0
    .symbol:         _ZN7rocprim17ROCPRIM_400000_NS6detail17trampoline_kernelINS0_14default_configENS1_20scan_config_selectorIfEEZZNS1_9scan_implILNS1_25lookback_scan_determinismE0ELb0ELb0ES3_N6thrust23THRUST_200600_302600_NS6detail15normal_iteratorINS9_10device_ptrIfEEEESE_f11max_functorIfEfEEDaPvRmT3_T4_T5_mT6_P12ihipStream_tbENKUlT_T0_E_clISt17integral_constantIbLb1EESU_EEDaSP_SQ_EUlSP_E_NS1_11comp_targetILNS1_3genE4ELNS1_11target_archE910ELNS1_3gpuE8ELNS1_3repE0EEENS1_30default_config_static_selectorELNS0_4arch9wavefront6targetE1EEEvT1_.kd
    .uniform_work_group_size: 1
    .uses_dynamic_stack: false
    .vgpr_count:     44
    .vgpr_spill_count: 0
    .wavefront_size: 64
  - .agpr_count:     0
    .args:
      - .offset:         0
        .size:           96
        .value_kind:     by_value
    .group_segment_fixed_size: 0
    .kernarg_segment_align: 8
    .kernarg_segment_size: 96
    .language:       OpenCL C
    .language_version:
      - 2
      - 0
    .max_flat_workgroup_size: 256
    .name:           _ZN7rocprim17ROCPRIM_400000_NS6detail17trampoline_kernelINS0_14default_configENS1_20scan_config_selectorIfEEZZNS1_9scan_implILNS1_25lookback_scan_determinismE0ELb0ELb0ES3_N6thrust23THRUST_200600_302600_NS6detail15normal_iteratorINS9_10device_ptrIfEEEESE_f11max_functorIfEfEEDaPvRmT3_T4_T5_mT6_P12ihipStream_tbENKUlT_T0_E_clISt17integral_constantIbLb1EESU_EEDaSP_SQ_EUlSP_E_NS1_11comp_targetILNS1_3genE3ELNS1_11target_archE908ELNS1_3gpuE7ELNS1_3repE0EEENS1_30default_config_static_selectorELNS0_4arch9wavefront6targetE1EEEvT1_
    .private_segment_fixed_size: 0
    .sgpr_count:     4
    .sgpr_spill_count: 0
    .symbol:         _ZN7rocprim17ROCPRIM_400000_NS6detail17trampoline_kernelINS0_14default_configENS1_20scan_config_selectorIfEEZZNS1_9scan_implILNS1_25lookback_scan_determinismE0ELb0ELb0ES3_N6thrust23THRUST_200600_302600_NS6detail15normal_iteratorINS9_10device_ptrIfEEEESE_f11max_functorIfEfEEDaPvRmT3_T4_T5_mT6_P12ihipStream_tbENKUlT_T0_E_clISt17integral_constantIbLb1EESU_EEDaSP_SQ_EUlSP_E_NS1_11comp_targetILNS1_3genE3ELNS1_11target_archE908ELNS1_3gpuE7ELNS1_3repE0EEENS1_30default_config_static_selectorELNS0_4arch9wavefront6targetE1EEEvT1_.kd
    .uniform_work_group_size: 1
    .uses_dynamic_stack: false
    .vgpr_count:     0
    .vgpr_spill_count: 0
    .wavefront_size: 64
  - .agpr_count:     0
    .args:
      - .offset:         0
        .size:           96
        .value_kind:     by_value
    .group_segment_fixed_size: 0
    .kernarg_segment_align: 8
    .kernarg_segment_size: 96
    .language:       OpenCL C
    .language_version:
      - 2
      - 0
    .max_flat_workgroup_size: 256
    .name:           _ZN7rocprim17ROCPRIM_400000_NS6detail17trampoline_kernelINS0_14default_configENS1_20scan_config_selectorIfEEZZNS1_9scan_implILNS1_25lookback_scan_determinismE0ELb0ELb0ES3_N6thrust23THRUST_200600_302600_NS6detail15normal_iteratorINS9_10device_ptrIfEEEESE_f11max_functorIfEfEEDaPvRmT3_T4_T5_mT6_P12ihipStream_tbENKUlT_T0_E_clISt17integral_constantIbLb1EESU_EEDaSP_SQ_EUlSP_E_NS1_11comp_targetILNS1_3genE2ELNS1_11target_archE906ELNS1_3gpuE6ELNS1_3repE0EEENS1_30default_config_static_selectorELNS0_4arch9wavefront6targetE1EEEvT1_
    .private_segment_fixed_size: 0
    .sgpr_count:     4
    .sgpr_spill_count: 0
    .symbol:         _ZN7rocprim17ROCPRIM_400000_NS6detail17trampoline_kernelINS0_14default_configENS1_20scan_config_selectorIfEEZZNS1_9scan_implILNS1_25lookback_scan_determinismE0ELb0ELb0ES3_N6thrust23THRUST_200600_302600_NS6detail15normal_iteratorINS9_10device_ptrIfEEEESE_f11max_functorIfEfEEDaPvRmT3_T4_T5_mT6_P12ihipStream_tbENKUlT_T0_E_clISt17integral_constantIbLb1EESU_EEDaSP_SQ_EUlSP_E_NS1_11comp_targetILNS1_3genE2ELNS1_11target_archE906ELNS1_3gpuE6ELNS1_3repE0EEENS1_30default_config_static_selectorELNS0_4arch9wavefront6targetE1EEEvT1_.kd
    .uniform_work_group_size: 1
    .uses_dynamic_stack: false
    .vgpr_count:     0
    .vgpr_spill_count: 0
    .wavefront_size: 64
  - .agpr_count:     0
    .args:
      - .offset:         0
        .size:           96
        .value_kind:     by_value
    .group_segment_fixed_size: 0
    .kernarg_segment_align: 8
    .kernarg_segment_size: 96
    .language:       OpenCL C
    .language_version:
      - 2
      - 0
    .max_flat_workgroup_size: 256
    .name:           _ZN7rocprim17ROCPRIM_400000_NS6detail17trampoline_kernelINS0_14default_configENS1_20scan_config_selectorIfEEZZNS1_9scan_implILNS1_25lookback_scan_determinismE0ELb0ELb0ES3_N6thrust23THRUST_200600_302600_NS6detail15normal_iteratorINS9_10device_ptrIfEEEESE_f11max_functorIfEfEEDaPvRmT3_T4_T5_mT6_P12ihipStream_tbENKUlT_T0_E_clISt17integral_constantIbLb1EESU_EEDaSP_SQ_EUlSP_E_NS1_11comp_targetILNS1_3genE10ELNS1_11target_archE1201ELNS1_3gpuE5ELNS1_3repE0EEENS1_30default_config_static_selectorELNS0_4arch9wavefront6targetE1EEEvT1_
    .private_segment_fixed_size: 0
    .sgpr_count:     4
    .sgpr_spill_count: 0
    .symbol:         _ZN7rocprim17ROCPRIM_400000_NS6detail17trampoline_kernelINS0_14default_configENS1_20scan_config_selectorIfEEZZNS1_9scan_implILNS1_25lookback_scan_determinismE0ELb0ELb0ES3_N6thrust23THRUST_200600_302600_NS6detail15normal_iteratorINS9_10device_ptrIfEEEESE_f11max_functorIfEfEEDaPvRmT3_T4_T5_mT6_P12ihipStream_tbENKUlT_T0_E_clISt17integral_constantIbLb1EESU_EEDaSP_SQ_EUlSP_E_NS1_11comp_targetILNS1_3genE10ELNS1_11target_archE1201ELNS1_3gpuE5ELNS1_3repE0EEENS1_30default_config_static_selectorELNS0_4arch9wavefront6targetE1EEEvT1_.kd
    .uniform_work_group_size: 1
    .uses_dynamic_stack: false
    .vgpr_count:     0
    .vgpr_spill_count: 0
    .wavefront_size: 64
  - .agpr_count:     0
    .args:
      - .offset:         0
        .size:           96
        .value_kind:     by_value
    .group_segment_fixed_size: 0
    .kernarg_segment_align: 8
    .kernarg_segment_size: 96
    .language:       OpenCL C
    .language_version:
      - 2
      - 0
    .max_flat_workgroup_size: 256
    .name:           _ZN7rocprim17ROCPRIM_400000_NS6detail17trampoline_kernelINS0_14default_configENS1_20scan_config_selectorIfEEZZNS1_9scan_implILNS1_25lookback_scan_determinismE0ELb0ELb0ES3_N6thrust23THRUST_200600_302600_NS6detail15normal_iteratorINS9_10device_ptrIfEEEESE_f11max_functorIfEfEEDaPvRmT3_T4_T5_mT6_P12ihipStream_tbENKUlT_T0_E_clISt17integral_constantIbLb1EESU_EEDaSP_SQ_EUlSP_E_NS1_11comp_targetILNS1_3genE10ELNS1_11target_archE1200ELNS1_3gpuE4ELNS1_3repE0EEENS1_30default_config_static_selectorELNS0_4arch9wavefront6targetE1EEEvT1_
    .private_segment_fixed_size: 0
    .sgpr_count:     4
    .sgpr_spill_count: 0
    .symbol:         _ZN7rocprim17ROCPRIM_400000_NS6detail17trampoline_kernelINS0_14default_configENS1_20scan_config_selectorIfEEZZNS1_9scan_implILNS1_25lookback_scan_determinismE0ELb0ELb0ES3_N6thrust23THRUST_200600_302600_NS6detail15normal_iteratorINS9_10device_ptrIfEEEESE_f11max_functorIfEfEEDaPvRmT3_T4_T5_mT6_P12ihipStream_tbENKUlT_T0_E_clISt17integral_constantIbLb1EESU_EEDaSP_SQ_EUlSP_E_NS1_11comp_targetILNS1_3genE10ELNS1_11target_archE1200ELNS1_3gpuE4ELNS1_3repE0EEENS1_30default_config_static_selectorELNS0_4arch9wavefront6targetE1EEEvT1_.kd
    .uniform_work_group_size: 1
    .uses_dynamic_stack: false
    .vgpr_count:     0
    .vgpr_spill_count: 0
    .wavefront_size: 64
  - .agpr_count:     0
    .args:
      - .offset:         0
        .size:           96
        .value_kind:     by_value
    .group_segment_fixed_size: 0
    .kernarg_segment_align: 8
    .kernarg_segment_size: 96
    .language:       OpenCL C
    .language_version:
      - 2
      - 0
    .max_flat_workgroup_size: 256
    .name:           _ZN7rocprim17ROCPRIM_400000_NS6detail17trampoline_kernelINS0_14default_configENS1_20scan_config_selectorIfEEZZNS1_9scan_implILNS1_25lookback_scan_determinismE0ELb0ELb0ES3_N6thrust23THRUST_200600_302600_NS6detail15normal_iteratorINS9_10device_ptrIfEEEESE_f11max_functorIfEfEEDaPvRmT3_T4_T5_mT6_P12ihipStream_tbENKUlT_T0_E_clISt17integral_constantIbLb1EESU_EEDaSP_SQ_EUlSP_E_NS1_11comp_targetILNS1_3genE9ELNS1_11target_archE1100ELNS1_3gpuE3ELNS1_3repE0EEENS1_30default_config_static_selectorELNS0_4arch9wavefront6targetE1EEEvT1_
    .private_segment_fixed_size: 0
    .sgpr_count:     4
    .sgpr_spill_count: 0
    .symbol:         _ZN7rocprim17ROCPRIM_400000_NS6detail17trampoline_kernelINS0_14default_configENS1_20scan_config_selectorIfEEZZNS1_9scan_implILNS1_25lookback_scan_determinismE0ELb0ELb0ES3_N6thrust23THRUST_200600_302600_NS6detail15normal_iteratorINS9_10device_ptrIfEEEESE_f11max_functorIfEfEEDaPvRmT3_T4_T5_mT6_P12ihipStream_tbENKUlT_T0_E_clISt17integral_constantIbLb1EESU_EEDaSP_SQ_EUlSP_E_NS1_11comp_targetILNS1_3genE9ELNS1_11target_archE1100ELNS1_3gpuE3ELNS1_3repE0EEENS1_30default_config_static_selectorELNS0_4arch9wavefront6targetE1EEEvT1_.kd
    .uniform_work_group_size: 1
    .uses_dynamic_stack: false
    .vgpr_count:     0
    .vgpr_spill_count: 0
    .wavefront_size: 64
  - .agpr_count:     0
    .args:
      - .offset:         0
        .size:           96
        .value_kind:     by_value
    .group_segment_fixed_size: 0
    .kernarg_segment_align: 8
    .kernarg_segment_size: 96
    .language:       OpenCL C
    .language_version:
      - 2
      - 0
    .max_flat_workgroup_size: 64
    .name:           _ZN7rocprim17ROCPRIM_400000_NS6detail17trampoline_kernelINS0_14default_configENS1_20scan_config_selectorIfEEZZNS1_9scan_implILNS1_25lookback_scan_determinismE0ELb0ELb0ES3_N6thrust23THRUST_200600_302600_NS6detail15normal_iteratorINS9_10device_ptrIfEEEESE_f11max_functorIfEfEEDaPvRmT3_T4_T5_mT6_P12ihipStream_tbENKUlT_T0_E_clISt17integral_constantIbLb1EESU_EEDaSP_SQ_EUlSP_E_NS1_11comp_targetILNS1_3genE8ELNS1_11target_archE1030ELNS1_3gpuE2ELNS1_3repE0EEENS1_30default_config_static_selectorELNS0_4arch9wavefront6targetE1EEEvT1_
    .private_segment_fixed_size: 0
    .sgpr_count:     4
    .sgpr_spill_count: 0
    .symbol:         _ZN7rocprim17ROCPRIM_400000_NS6detail17trampoline_kernelINS0_14default_configENS1_20scan_config_selectorIfEEZZNS1_9scan_implILNS1_25lookback_scan_determinismE0ELb0ELb0ES3_N6thrust23THRUST_200600_302600_NS6detail15normal_iteratorINS9_10device_ptrIfEEEESE_f11max_functorIfEfEEDaPvRmT3_T4_T5_mT6_P12ihipStream_tbENKUlT_T0_E_clISt17integral_constantIbLb1EESU_EEDaSP_SQ_EUlSP_E_NS1_11comp_targetILNS1_3genE8ELNS1_11target_archE1030ELNS1_3gpuE2ELNS1_3repE0EEENS1_30default_config_static_selectorELNS0_4arch9wavefront6targetE1EEEvT1_.kd
    .uniform_work_group_size: 1
    .uses_dynamic_stack: false
    .vgpr_count:     0
    .vgpr_spill_count: 0
    .wavefront_size: 64
  - .agpr_count:     0
    .args:
      - .offset:         0
        .size:           32
        .value_kind:     by_value
    .group_segment_fixed_size: 0
    .kernarg_segment_align: 8
    .kernarg_segment_size: 32
    .language:       OpenCL C
    .language_version:
      - 2
      - 0
    .max_flat_workgroup_size: 256
    .name:           _ZN7rocprim17ROCPRIM_400000_NS6detail17trampoline_kernelINS0_14default_configENS1_20scan_config_selectorIfEEZZNS1_9scan_implILNS1_25lookback_scan_determinismE0ELb0ELb0ES3_N6thrust23THRUST_200600_302600_NS6detail15normal_iteratorINS9_10device_ptrIfEEEESE_f11max_functorIfEfEEDaPvRmT3_T4_T5_mT6_P12ihipStream_tbENKUlT_T0_E_clISt17integral_constantIbLb1EESU_EEDaSP_SQ_EUlSP_E0_NS1_11comp_targetILNS1_3genE0ELNS1_11target_archE4294967295ELNS1_3gpuE0ELNS1_3repE0EEENS1_30default_config_static_selectorELNS0_4arch9wavefront6targetE1EEEvT1_
    .private_segment_fixed_size: 0
    .sgpr_count:     4
    .sgpr_spill_count: 0
    .symbol:         _ZN7rocprim17ROCPRIM_400000_NS6detail17trampoline_kernelINS0_14default_configENS1_20scan_config_selectorIfEEZZNS1_9scan_implILNS1_25lookback_scan_determinismE0ELb0ELb0ES3_N6thrust23THRUST_200600_302600_NS6detail15normal_iteratorINS9_10device_ptrIfEEEESE_f11max_functorIfEfEEDaPvRmT3_T4_T5_mT6_P12ihipStream_tbENKUlT_T0_E_clISt17integral_constantIbLb1EESU_EEDaSP_SQ_EUlSP_E0_NS1_11comp_targetILNS1_3genE0ELNS1_11target_archE4294967295ELNS1_3gpuE0ELNS1_3repE0EEENS1_30default_config_static_selectorELNS0_4arch9wavefront6targetE1EEEvT1_.kd
    .uniform_work_group_size: 1
    .uses_dynamic_stack: false
    .vgpr_count:     0
    .vgpr_spill_count: 0
    .wavefront_size: 64
  - .agpr_count:     0
    .args:
      - .offset:         0
        .size:           32
        .value_kind:     by_value
    .group_segment_fixed_size: 0
    .kernarg_segment_align: 8
    .kernarg_segment_size: 32
    .language:       OpenCL C
    .language_version:
      - 2
      - 0
    .max_flat_workgroup_size: 256
    .name:           _ZN7rocprim17ROCPRIM_400000_NS6detail17trampoline_kernelINS0_14default_configENS1_20scan_config_selectorIfEEZZNS1_9scan_implILNS1_25lookback_scan_determinismE0ELb0ELb0ES3_N6thrust23THRUST_200600_302600_NS6detail15normal_iteratorINS9_10device_ptrIfEEEESE_f11max_functorIfEfEEDaPvRmT3_T4_T5_mT6_P12ihipStream_tbENKUlT_T0_E_clISt17integral_constantIbLb1EESU_EEDaSP_SQ_EUlSP_E0_NS1_11comp_targetILNS1_3genE5ELNS1_11target_archE942ELNS1_3gpuE9ELNS1_3repE0EEENS1_30default_config_static_selectorELNS0_4arch9wavefront6targetE1EEEvT1_
    .private_segment_fixed_size: 0
    .sgpr_count:     4
    .sgpr_spill_count: 0
    .symbol:         _ZN7rocprim17ROCPRIM_400000_NS6detail17trampoline_kernelINS0_14default_configENS1_20scan_config_selectorIfEEZZNS1_9scan_implILNS1_25lookback_scan_determinismE0ELb0ELb0ES3_N6thrust23THRUST_200600_302600_NS6detail15normal_iteratorINS9_10device_ptrIfEEEESE_f11max_functorIfEfEEDaPvRmT3_T4_T5_mT6_P12ihipStream_tbENKUlT_T0_E_clISt17integral_constantIbLb1EESU_EEDaSP_SQ_EUlSP_E0_NS1_11comp_targetILNS1_3genE5ELNS1_11target_archE942ELNS1_3gpuE9ELNS1_3repE0EEENS1_30default_config_static_selectorELNS0_4arch9wavefront6targetE1EEEvT1_.kd
    .uniform_work_group_size: 1
    .uses_dynamic_stack: false
    .vgpr_count:     0
    .vgpr_spill_count: 0
    .wavefront_size: 64
  - .agpr_count:     0
    .args:
      - .offset:         0
        .size:           32
        .value_kind:     by_value
    .group_segment_fixed_size: 7168
    .kernarg_segment_align: 8
    .kernarg_segment_size: 32
    .language:       OpenCL C
    .language_version:
      - 2
      - 0
    .max_flat_workgroup_size: 128
    .name:           _ZN7rocprim17ROCPRIM_400000_NS6detail17trampoline_kernelINS0_14default_configENS1_20scan_config_selectorIfEEZZNS1_9scan_implILNS1_25lookback_scan_determinismE0ELb0ELb0ES3_N6thrust23THRUST_200600_302600_NS6detail15normal_iteratorINS9_10device_ptrIfEEEESE_f11max_functorIfEfEEDaPvRmT3_T4_T5_mT6_P12ihipStream_tbENKUlT_T0_E_clISt17integral_constantIbLb1EESU_EEDaSP_SQ_EUlSP_E0_NS1_11comp_targetILNS1_3genE4ELNS1_11target_archE910ELNS1_3gpuE8ELNS1_3repE0EEENS1_30default_config_static_selectorELNS0_4arch9wavefront6targetE1EEEvT1_
    .private_segment_fixed_size: 0
    .sgpr_count:     44
    .sgpr_spill_count: 0
    .symbol:         _ZN7rocprim17ROCPRIM_400000_NS6detail17trampoline_kernelINS0_14default_configENS1_20scan_config_selectorIfEEZZNS1_9scan_implILNS1_25lookback_scan_determinismE0ELb0ELb0ES3_N6thrust23THRUST_200600_302600_NS6detail15normal_iteratorINS9_10device_ptrIfEEEESE_f11max_functorIfEfEEDaPvRmT3_T4_T5_mT6_P12ihipStream_tbENKUlT_T0_E_clISt17integral_constantIbLb1EESU_EEDaSP_SQ_EUlSP_E0_NS1_11comp_targetILNS1_3genE4ELNS1_11target_archE910ELNS1_3gpuE8ELNS1_3repE0EEENS1_30default_config_static_selectorELNS0_4arch9wavefront6targetE1EEEvT1_.kd
    .uniform_work_group_size: 1
    .uses_dynamic_stack: false
    .vgpr_count:     25
    .vgpr_spill_count: 0
    .wavefront_size: 64
  - .agpr_count:     0
    .args:
      - .offset:         0
        .size:           32
        .value_kind:     by_value
    .group_segment_fixed_size: 0
    .kernarg_segment_align: 8
    .kernarg_segment_size: 32
    .language:       OpenCL C
    .language_version:
      - 2
      - 0
    .max_flat_workgroup_size: 256
    .name:           _ZN7rocprim17ROCPRIM_400000_NS6detail17trampoline_kernelINS0_14default_configENS1_20scan_config_selectorIfEEZZNS1_9scan_implILNS1_25lookback_scan_determinismE0ELb0ELb0ES3_N6thrust23THRUST_200600_302600_NS6detail15normal_iteratorINS9_10device_ptrIfEEEESE_f11max_functorIfEfEEDaPvRmT3_T4_T5_mT6_P12ihipStream_tbENKUlT_T0_E_clISt17integral_constantIbLb1EESU_EEDaSP_SQ_EUlSP_E0_NS1_11comp_targetILNS1_3genE3ELNS1_11target_archE908ELNS1_3gpuE7ELNS1_3repE0EEENS1_30default_config_static_selectorELNS0_4arch9wavefront6targetE1EEEvT1_
    .private_segment_fixed_size: 0
    .sgpr_count:     4
    .sgpr_spill_count: 0
    .symbol:         _ZN7rocprim17ROCPRIM_400000_NS6detail17trampoline_kernelINS0_14default_configENS1_20scan_config_selectorIfEEZZNS1_9scan_implILNS1_25lookback_scan_determinismE0ELb0ELb0ES3_N6thrust23THRUST_200600_302600_NS6detail15normal_iteratorINS9_10device_ptrIfEEEESE_f11max_functorIfEfEEDaPvRmT3_T4_T5_mT6_P12ihipStream_tbENKUlT_T0_E_clISt17integral_constantIbLb1EESU_EEDaSP_SQ_EUlSP_E0_NS1_11comp_targetILNS1_3genE3ELNS1_11target_archE908ELNS1_3gpuE7ELNS1_3repE0EEENS1_30default_config_static_selectorELNS0_4arch9wavefront6targetE1EEEvT1_.kd
    .uniform_work_group_size: 1
    .uses_dynamic_stack: false
    .vgpr_count:     0
    .vgpr_spill_count: 0
    .wavefront_size: 64
  - .agpr_count:     0
    .args:
      - .offset:         0
        .size:           32
        .value_kind:     by_value
    .group_segment_fixed_size: 0
    .kernarg_segment_align: 8
    .kernarg_segment_size: 32
    .language:       OpenCL C
    .language_version:
      - 2
      - 0
    .max_flat_workgroup_size: 256
    .name:           _ZN7rocprim17ROCPRIM_400000_NS6detail17trampoline_kernelINS0_14default_configENS1_20scan_config_selectorIfEEZZNS1_9scan_implILNS1_25lookback_scan_determinismE0ELb0ELb0ES3_N6thrust23THRUST_200600_302600_NS6detail15normal_iteratorINS9_10device_ptrIfEEEESE_f11max_functorIfEfEEDaPvRmT3_T4_T5_mT6_P12ihipStream_tbENKUlT_T0_E_clISt17integral_constantIbLb1EESU_EEDaSP_SQ_EUlSP_E0_NS1_11comp_targetILNS1_3genE2ELNS1_11target_archE906ELNS1_3gpuE6ELNS1_3repE0EEENS1_30default_config_static_selectorELNS0_4arch9wavefront6targetE1EEEvT1_
    .private_segment_fixed_size: 0
    .sgpr_count:     4
    .sgpr_spill_count: 0
    .symbol:         _ZN7rocprim17ROCPRIM_400000_NS6detail17trampoline_kernelINS0_14default_configENS1_20scan_config_selectorIfEEZZNS1_9scan_implILNS1_25lookback_scan_determinismE0ELb0ELb0ES3_N6thrust23THRUST_200600_302600_NS6detail15normal_iteratorINS9_10device_ptrIfEEEESE_f11max_functorIfEfEEDaPvRmT3_T4_T5_mT6_P12ihipStream_tbENKUlT_T0_E_clISt17integral_constantIbLb1EESU_EEDaSP_SQ_EUlSP_E0_NS1_11comp_targetILNS1_3genE2ELNS1_11target_archE906ELNS1_3gpuE6ELNS1_3repE0EEENS1_30default_config_static_selectorELNS0_4arch9wavefront6targetE1EEEvT1_.kd
    .uniform_work_group_size: 1
    .uses_dynamic_stack: false
    .vgpr_count:     0
    .vgpr_spill_count: 0
    .wavefront_size: 64
  - .agpr_count:     0
    .args:
      - .offset:         0
        .size:           32
        .value_kind:     by_value
    .group_segment_fixed_size: 0
    .kernarg_segment_align: 8
    .kernarg_segment_size: 32
    .language:       OpenCL C
    .language_version:
      - 2
      - 0
    .max_flat_workgroup_size: 256
    .name:           _ZN7rocprim17ROCPRIM_400000_NS6detail17trampoline_kernelINS0_14default_configENS1_20scan_config_selectorIfEEZZNS1_9scan_implILNS1_25lookback_scan_determinismE0ELb0ELb0ES3_N6thrust23THRUST_200600_302600_NS6detail15normal_iteratorINS9_10device_ptrIfEEEESE_f11max_functorIfEfEEDaPvRmT3_T4_T5_mT6_P12ihipStream_tbENKUlT_T0_E_clISt17integral_constantIbLb1EESU_EEDaSP_SQ_EUlSP_E0_NS1_11comp_targetILNS1_3genE10ELNS1_11target_archE1201ELNS1_3gpuE5ELNS1_3repE0EEENS1_30default_config_static_selectorELNS0_4arch9wavefront6targetE1EEEvT1_
    .private_segment_fixed_size: 0
    .sgpr_count:     4
    .sgpr_spill_count: 0
    .symbol:         _ZN7rocprim17ROCPRIM_400000_NS6detail17trampoline_kernelINS0_14default_configENS1_20scan_config_selectorIfEEZZNS1_9scan_implILNS1_25lookback_scan_determinismE0ELb0ELb0ES3_N6thrust23THRUST_200600_302600_NS6detail15normal_iteratorINS9_10device_ptrIfEEEESE_f11max_functorIfEfEEDaPvRmT3_T4_T5_mT6_P12ihipStream_tbENKUlT_T0_E_clISt17integral_constantIbLb1EESU_EEDaSP_SQ_EUlSP_E0_NS1_11comp_targetILNS1_3genE10ELNS1_11target_archE1201ELNS1_3gpuE5ELNS1_3repE0EEENS1_30default_config_static_selectorELNS0_4arch9wavefront6targetE1EEEvT1_.kd
    .uniform_work_group_size: 1
    .uses_dynamic_stack: false
    .vgpr_count:     0
    .vgpr_spill_count: 0
    .wavefront_size: 64
  - .agpr_count:     0
    .args:
      - .offset:         0
        .size:           32
        .value_kind:     by_value
    .group_segment_fixed_size: 0
    .kernarg_segment_align: 8
    .kernarg_segment_size: 32
    .language:       OpenCL C
    .language_version:
      - 2
      - 0
    .max_flat_workgroup_size: 256
    .name:           _ZN7rocprim17ROCPRIM_400000_NS6detail17trampoline_kernelINS0_14default_configENS1_20scan_config_selectorIfEEZZNS1_9scan_implILNS1_25lookback_scan_determinismE0ELb0ELb0ES3_N6thrust23THRUST_200600_302600_NS6detail15normal_iteratorINS9_10device_ptrIfEEEESE_f11max_functorIfEfEEDaPvRmT3_T4_T5_mT6_P12ihipStream_tbENKUlT_T0_E_clISt17integral_constantIbLb1EESU_EEDaSP_SQ_EUlSP_E0_NS1_11comp_targetILNS1_3genE10ELNS1_11target_archE1200ELNS1_3gpuE4ELNS1_3repE0EEENS1_30default_config_static_selectorELNS0_4arch9wavefront6targetE1EEEvT1_
    .private_segment_fixed_size: 0
    .sgpr_count:     4
    .sgpr_spill_count: 0
    .symbol:         _ZN7rocprim17ROCPRIM_400000_NS6detail17trampoline_kernelINS0_14default_configENS1_20scan_config_selectorIfEEZZNS1_9scan_implILNS1_25lookback_scan_determinismE0ELb0ELb0ES3_N6thrust23THRUST_200600_302600_NS6detail15normal_iteratorINS9_10device_ptrIfEEEESE_f11max_functorIfEfEEDaPvRmT3_T4_T5_mT6_P12ihipStream_tbENKUlT_T0_E_clISt17integral_constantIbLb1EESU_EEDaSP_SQ_EUlSP_E0_NS1_11comp_targetILNS1_3genE10ELNS1_11target_archE1200ELNS1_3gpuE4ELNS1_3repE0EEENS1_30default_config_static_selectorELNS0_4arch9wavefront6targetE1EEEvT1_.kd
    .uniform_work_group_size: 1
    .uses_dynamic_stack: false
    .vgpr_count:     0
    .vgpr_spill_count: 0
    .wavefront_size: 64
  - .agpr_count:     0
    .args:
      - .offset:         0
        .size:           32
        .value_kind:     by_value
    .group_segment_fixed_size: 0
    .kernarg_segment_align: 8
    .kernarg_segment_size: 32
    .language:       OpenCL C
    .language_version:
      - 2
      - 0
    .max_flat_workgroup_size: 256
    .name:           _ZN7rocprim17ROCPRIM_400000_NS6detail17trampoline_kernelINS0_14default_configENS1_20scan_config_selectorIfEEZZNS1_9scan_implILNS1_25lookback_scan_determinismE0ELb0ELb0ES3_N6thrust23THRUST_200600_302600_NS6detail15normal_iteratorINS9_10device_ptrIfEEEESE_f11max_functorIfEfEEDaPvRmT3_T4_T5_mT6_P12ihipStream_tbENKUlT_T0_E_clISt17integral_constantIbLb1EESU_EEDaSP_SQ_EUlSP_E0_NS1_11comp_targetILNS1_3genE9ELNS1_11target_archE1100ELNS1_3gpuE3ELNS1_3repE0EEENS1_30default_config_static_selectorELNS0_4arch9wavefront6targetE1EEEvT1_
    .private_segment_fixed_size: 0
    .sgpr_count:     4
    .sgpr_spill_count: 0
    .symbol:         _ZN7rocprim17ROCPRIM_400000_NS6detail17trampoline_kernelINS0_14default_configENS1_20scan_config_selectorIfEEZZNS1_9scan_implILNS1_25lookback_scan_determinismE0ELb0ELb0ES3_N6thrust23THRUST_200600_302600_NS6detail15normal_iteratorINS9_10device_ptrIfEEEESE_f11max_functorIfEfEEDaPvRmT3_T4_T5_mT6_P12ihipStream_tbENKUlT_T0_E_clISt17integral_constantIbLb1EESU_EEDaSP_SQ_EUlSP_E0_NS1_11comp_targetILNS1_3genE9ELNS1_11target_archE1100ELNS1_3gpuE3ELNS1_3repE0EEENS1_30default_config_static_selectorELNS0_4arch9wavefront6targetE1EEEvT1_.kd
    .uniform_work_group_size: 1
    .uses_dynamic_stack: false
    .vgpr_count:     0
    .vgpr_spill_count: 0
    .wavefront_size: 64
  - .agpr_count:     0
    .args:
      - .offset:         0
        .size:           32
        .value_kind:     by_value
    .group_segment_fixed_size: 0
    .kernarg_segment_align: 8
    .kernarg_segment_size: 32
    .language:       OpenCL C
    .language_version:
      - 2
      - 0
    .max_flat_workgroup_size: 64
    .name:           _ZN7rocprim17ROCPRIM_400000_NS6detail17trampoline_kernelINS0_14default_configENS1_20scan_config_selectorIfEEZZNS1_9scan_implILNS1_25lookback_scan_determinismE0ELb0ELb0ES3_N6thrust23THRUST_200600_302600_NS6detail15normal_iteratorINS9_10device_ptrIfEEEESE_f11max_functorIfEfEEDaPvRmT3_T4_T5_mT6_P12ihipStream_tbENKUlT_T0_E_clISt17integral_constantIbLb1EESU_EEDaSP_SQ_EUlSP_E0_NS1_11comp_targetILNS1_3genE8ELNS1_11target_archE1030ELNS1_3gpuE2ELNS1_3repE0EEENS1_30default_config_static_selectorELNS0_4arch9wavefront6targetE1EEEvT1_
    .private_segment_fixed_size: 0
    .sgpr_count:     4
    .sgpr_spill_count: 0
    .symbol:         _ZN7rocprim17ROCPRIM_400000_NS6detail17trampoline_kernelINS0_14default_configENS1_20scan_config_selectorIfEEZZNS1_9scan_implILNS1_25lookback_scan_determinismE0ELb0ELb0ES3_N6thrust23THRUST_200600_302600_NS6detail15normal_iteratorINS9_10device_ptrIfEEEESE_f11max_functorIfEfEEDaPvRmT3_T4_T5_mT6_P12ihipStream_tbENKUlT_T0_E_clISt17integral_constantIbLb1EESU_EEDaSP_SQ_EUlSP_E0_NS1_11comp_targetILNS1_3genE8ELNS1_11target_archE1030ELNS1_3gpuE2ELNS1_3repE0EEENS1_30default_config_static_selectorELNS0_4arch9wavefront6targetE1EEEvT1_.kd
    .uniform_work_group_size: 1
    .uses_dynamic_stack: false
    .vgpr_count:     0
    .vgpr_spill_count: 0
    .wavefront_size: 64
  - .agpr_count:     0
    .args:
      - .offset:         0
        .size:           96
        .value_kind:     by_value
    .group_segment_fixed_size: 0
    .kernarg_segment_align: 8
    .kernarg_segment_size: 96
    .language:       OpenCL C
    .language_version:
      - 2
      - 0
    .max_flat_workgroup_size: 256
    .name:           _ZN7rocprim17ROCPRIM_400000_NS6detail17trampoline_kernelINS0_14default_configENS1_20scan_config_selectorIfEEZZNS1_9scan_implILNS1_25lookback_scan_determinismE0ELb0ELb0ES3_N6thrust23THRUST_200600_302600_NS6detail15normal_iteratorINS9_10device_ptrIfEEEESE_f11max_functorIfEfEEDaPvRmT3_T4_T5_mT6_P12ihipStream_tbENKUlT_T0_E_clISt17integral_constantIbLb1EEST_IbLb0EEEEDaSP_SQ_EUlSP_E_NS1_11comp_targetILNS1_3genE0ELNS1_11target_archE4294967295ELNS1_3gpuE0ELNS1_3repE0EEENS1_30default_config_static_selectorELNS0_4arch9wavefront6targetE1EEEvT1_
    .private_segment_fixed_size: 0
    .sgpr_count:     4
    .sgpr_spill_count: 0
    .symbol:         _ZN7rocprim17ROCPRIM_400000_NS6detail17trampoline_kernelINS0_14default_configENS1_20scan_config_selectorIfEEZZNS1_9scan_implILNS1_25lookback_scan_determinismE0ELb0ELb0ES3_N6thrust23THRUST_200600_302600_NS6detail15normal_iteratorINS9_10device_ptrIfEEEESE_f11max_functorIfEfEEDaPvRmT3_T4_T5_mT6_P12ihipStream_tbENKUlT_T0_E_clISt17integral_constantIbLb1EEST_IbLb0EEEEDaSP_SQ_EUlSP_E_NS1_11comp_targetILNS1_3genE0ELNS1_11target_archE4294967295ELNS1_3gpuE0ELNS1_3repE0EEENS1_30default_config_static_selectorELNS0_4arch9wavefront6targetE1EEEvT1_.kd
    .uniform_work_group_size: 1
    .uses_dynamic_stack: false
    .vgpr_count:     0
    .vgpr_spill_count: 0
    .wavefront_size: 64
  - .agpr_count:     0
    .args:
      - .offset:         0
        .size:           96
        .value_kind:     by_value
    .group_segment_fixed_size: 0
    .kernarg_segment_align: 8
    .kernarg_segment_size: 96
    .language:       OpenCL C
    .language_version:
      - 2
      - 0
    .max_flat_workgroup_size: 256
    .name:           _ZN7rocprim17ROCPRIM_400000_NS6detail17trampoline_kernelINS0_14default_configENS1_20scan_config_selectorIfEEZZNS1_9scan_implILNS1_25lookback_scan_determinismE0ELb0ELb0ES3_N6thrust23THRUST_200600_302600_NS6detail15normal_iteratorINS9_10device_ptrIfEEEESE_f11max_functorIfEfEEDaPvRmT3_T4_T5_mT6_P12ihipStream_tbENKUlT_T0_E_clISt17integral_constantIbLb1EEST_IbLb0EEEEDaSP_SQ_EUlSP_E_NS1_11comp_targetILNS1_3genE5ELNS1_11target_archE942ELNS1_3gpuE9ELNS1_3repE0EEENS1_30default_config_static_selectorELNS0_4arch9wavefront6targetE1EEEvT1_
    .private_segment_fixed_size: 0
    .sgpr_count:     4
    .sgpr_spill_count: 0
    .symbol:         _ZN7rocprim17ROCPRIM_400000_NS6detail17trampoline_kernelINS0_14default_configENS1_20scan_config_selectorIfEEZZNS1_9scan_implILNS1_25lookback_scan_determinismE0ELb0ELb0ES3_N6thrust23THRUST_200600_302600_NS6detail15normal_iteratorINS9_10device_ptrIfEEEESE_f11max_functorIfEfEEDaPvRmT3_T4_T5_mT6_P12ihipStream_tbENKUlT_T0_E_clISt17integral_constantIbLb1EEST_IbLb0EEEEDaSP_SQ_EUlSP_E_NS1_11comp_targetILNS1_3genE5ELNS1_11target_archE942ELNS1_3gpuE9ELNS1_3repE0EEENS1_30default_config_static_selectorELNS0_4arch9wavefront6targetE1EEEvT1_.kd
    .uniform_work_group_size: 1
    .uses_dynamic_stack: false
    .vgpr_count:     0
    .vgpr_spill_count: 0
    .wavefront_size: 64
  - .agpr_count:     0
    .args:
      - .offset:         0
        .size:           96
        .value_kind:     by_value
    .group_segment_fixed_size: 7168
    .kernarg_segment_align: 8
    .kernarg_segment_size: 96
    .language:       OpenCL C
    .language_version:
      - 2
      - 0
    .max_flat_workgroup_size: 128
    .name:           _ZN7rocprim17ROCPRIM_400000_NS6detail17trampoline_kernelINS0_14default_configENS1_20scan_config_selectorIfEEZZNS1_9scan_implILNS1_25lookback_scan_determinismE0ELb0ELb0ES3_N6thrust23THRUST_200600_302600_NS6detail15normal_iteratorINS9_10device_ptrIfEEEESE_f11max_functorIfEfEEDaPvRmT3_T4_T5_mT6_P12ihipStream_tbENKUlT_T0_E_clISt17integral_constantIbLb1EEST_IbLb0EEEEDaSP_SQ_EUlSP_E_NS1_11comp_targetILNS1_3genE4ELNS1_11target_archE910ELNS1_3gpuE8ELNS1_3repE0EEENS1_30default_config_static_selectorELNS0_4arch9wavefront6targetE1EEEvT1_
    .private_segment_fixed_size: 0
    .sgpr_count:     36
    .sgpr_spill_count: 0
    .symbol:         _ZN7rocprim17ROCPRIM_400000_NS6detail17trampoline_kernelINS0_14default_configENS1_20scan_config_selectorIfEEZZNS1_9scan_implILNS1_25lookback_scan_determinismE0ELb0ELb0ES3_N6thrust23THRUST_200600_302600_NS6detail15normal_iteratorINS9_10device_ptrIfEEEESE_f11max_functorIfEfEEDaPvRmT3_T4_T5_mT6_P12ihipStream_tbENKUlT_T0_E_clISt17integral_constantIbLb1EEST_IbLb0EEEEDaSP_SQ_EUlSP_E_NS1_11comp_targetILNS1_3genE4ELNS1_11target_archE910ELNS1_3gpuE8ELNS1_3repE0EEENS1_30default_config_static_selectorELNS0_4arch9wavefront6targetE1EEEvT1_.kd
    .uniform_work_group_size: 1
    .uses_dynamic_stack: false
    .vgpr_count:     44
    .vgpr_spill_count: 0
    .wavefront_size: 64
  - .agpr_count:     0
    .args:
      - .offset:         0
        .size:           96
        .value_kind:     by_value
    .group_segment_fixed_size: 0
    .kernarg_segment_align: 8
    .kernarg_segment_size: 96
    .language:       OpenCL C
    .language_version:
      - 2
      - 0
    .max_flat_workgroup_size: 256
    .name:           _ZN7rocprim17ROCPRIM_400000_NS6detail17trampoline_kernelINS0_14default_configENS1_20scan_config_selectorIfEEZZNS1_9scan_implILNS1_25lookback_scan_determinismE0ELb0ELb0ES3_N6thrust23THRUST_200600_302600_NS6detail15normal_iteratorINS9_10device_ptrIfEEEESE_f11max_functorIfEfEEDaPvRmT3_T4_T5_mT6_P12ihipStream_tbENKUlT_T0_E_clISt17integral_constantIbLb1EEST_IbLb0EEEEDaSP_SQ_EUlSP_E_NS1_11comp_targetILNS1_3genE3ELNS1_11target_archE908ELNS1_3gpuE7ELNS1_3repE0EEENS1_30default_config_static_selectorELNS0_4arch9wavefront6targetE1EEEvT1_
    .private_segment_fixed_size: 0
    .sgpr_count:     4
    .sgpr_spill_count: 0
    .symbol:         _ZN7rocprim17ROCPRIM_400000_NS6detail17trampoline_kernelINS0_14default_configENS1_20scan_config_selectorIfEEZZNS1_9scan_implILNS1_25lookback_scan_determinismE0ELb0ELb0ES3_N6thrust23THRUST_200600_302600_NS6detail15normal_iteratorINS9_10device_ptrIfEEEESE_f11max_functorIfEfEEDaPvRmT3_T4_T5_mT6_P12ihipStream_tbENKUlT_T0_E_clISt17integral_constantIbLb1EEST_IbLb0EEEEDaSP_SQ_EUlSP_E_NS1_11comp_targetILNS1_3genE3ELNS1_11target_archE908ELNS1_3gpuE7ELNS1_3repE0EEENS1_30default_config_static_selectorELNS0_4arch9wavefront6targetE1EEEvT1_.kd
    .uniform_work_group_size: 1
    .uses_dynamic_stack: false
    .vgpr_count:     0
    .vgpr_spill_count: 0
    .wavefront_size: 64
  - .agpr_count:     0
    .args:
      - .offset:         0
        .size:           96
        .value_kind:     by_value
    .group_segment_fixed_size: 0
    .kernarg_segment_align: 8
    .kernarg_segment_size: 96
    .language:       OpenCL C
    .language_version:
      - 2
      - 0
    .max_flat_workgroup_size: 256
    .name:           _ZN7rocprim17ROCPRIM_400000_NS6detail17trampoline_kernelINS0_14default_configENS1_20scan_config_selectorIfEEZZNS1_9scan_implILNS1_25lookback_scan_determinismE0ELb0ELb0ES3_N6thrust23THRUST_200600_302600_NS6detail15normal_iteratorINS9_10device_ptrIfEEEESE_f11max_functorIfEfEEDaPvRmT3_T4_T5_mT6_P12ihipStream_tbENKUlT_T0_E_clISt17integral_constantIbLb1EEST_IbLb0EEEEDaSP_SQ_EUlSP_E_NS1_11comp_targetILNS1_3genE2ELNS1_11target_archE906ELNS1_3gpuE6ELNS1_3repE0EEENS1_30default_config_static_selectorELNS0_4arch9wavefront6targetE1EEEvT1_
    .private_segment_fixed_size: 0
    .sgpr_count:     4
    .sgpr_spill_count: 0
    .symbol:         _ZN7rocprim17ROCPRIM_400000_NS6detail17trampoline_kernelINS0_14default_configENS1_20scan_config_selectorIfEEZZNS1_9scan_implILNS1_25lookback_scan_determinismE0ELb0ELb0ES3_N6thrust23THRUST_200600_302600_NS6detail15normal_iteratorINS9_10device_ptrIfEEEESE_f11max_functorIfEfEEDaPvRmT3_T4_T5_mT6_P12ihipStream_tbENKUlT_T0_E_clISt17integral_constantIbLb1EEST_IbLb0EEEEDaSP_SQ_EUlSP_E_NS1_11comp_targetILNS1_3genE2ELNS1_11target_archE906ELNS1_3gpuE6ELNS1_3repE0EEENS1_30default_config_static_selectorELNS0_4arch9wavefront6targetE1EEEvT1_.kd
    .uniform_work_group_size: 1
    .uses_dynamic_stack: false
    .vgpr_count:     0
    .vgpr_spill_count: 0
    .wavefront_size: 64
  - .agpr_count:     0
    .args:
      - .offset:         0
        .size:           96
        .value_kind:     by_value
    .group_segment_fixed_size: 0
    .kernarg_segment_align: 8
    .kernarg_segment_size: 96
    .language:       OpenCL C
    .language_version:
      - 2
      - 0
    .max_flat_workgroup_size: 256
    .name:           _ZN7rocprim17ROCPRIM_400000_NS6detail17trampoline_kernelINS0_14default_configENS1_20scan_config_selectorIfEEZZNS1_9scan_implILNS1_25lookback_scan_determinismE0ELb0ELb0ES3_N6thrust23THRUST_200600_302600_NS6detail15normal_iteratorINS9_10device_ptrIfEEEESE_f11max_functorIfEfEEDaPvRmT3_T4_T5_mT6_P12ihipStream_tbENKUlT_T0_E_clISt17integral_constantIbLb1EEST_IbLb0EEEEDaSP_SQ_EUlSP_E_NS1_11comp_targetILNS1_3genE10ELNS1_11target_archE1201ELNS1_3gpuE5ELNS1_3repE0EEENS1_30default_config_static_selectorELNS0_4arch9wavefront6targetE1EEEvT1_
    .private_segment_fixed_size: 0
    .sgpr_count:     4
    .sgpr_spill_count: 0
    .symbol:         _ZN7rocprim17ROCPRIM_400000_NS6detail17trampoline_kernelINS0_14default_configENS1_20scan_config_selectorIfEEZZNS1_9scan_implILNS1_25lookback_scan_determinismE0ELb0ELb0ES3_N6thrust23THRUST_200600_302600_NS6detail15normal_iteratorINS9_10device_ptrIfEEEESE_f11max_functorIfEfEEDaPvRmT3_T4_T5_mT6_P12ihipStream_tbENKUlT_T0_E_clISt17integral_constantIbLb1EEST_IbLb0EEEEDaSP_SQ_EUlSP_E_NS1_11comp_targetILNS1_3genE10ELNS1_11target_archE1201ELNS1_3gpuE5ELNS1_3repE0EEENS1_30default_config_static_selectorELNS0_4arch9wavefront6targetE1EEEvT1_.kd
    .uniform_work_group_size: 1
    .uses_dynamic_stack: false
    .vgpr_count:     0
    .vgpr_spill_count: 0
    .wavefront_size: 64
  - .agpr_count:     0
    .args:
      - .offset:         0
        .size:           96
        .value_kind:     by_value
    .group_segment_fixed_size: 0
    .kernarg_segment_align: 8
    .kernarg_segment_size: 96
    .language:       OpenCL C
    .language_version:
      - 2
      - 0
    .max_flat_workgroup_size: 256
    .name:           _ZN7rocprim17ROCPRIM_400000_NS6detail17trampoline_kernelINS0_14default_configENS1_20scan_config_selectorIfEEZZNS1_9scan_implILNS1_25lookback_scan_determinismE0ELb0ELb0ES3_N6thrust23THRUST_200600_302600_NS6detail15normal_iteratorINS9_10device_ptrIfEEEESE_f11max_functorIfEfEEDaPvRmT3_T4_T5_mT6_P12ihipStream_tbENKUlT_T0_E_clISt17integral_constantIbLb1EEST_IbLb0EEEEDaSP_SQ_EUlSP_E_NS1_11comp_targetILNS1_3genE10ELNS1_11target_archE1200ELNS1_3gpuE4ELNS1_3repE0EEENS1_30default_config_static_selectorELNS0_4arch9wavefront6targetE1EEEvT1_
    .private_segment_fixed_size: 0
    .sgpr_count:     4
    .sgpr_spill_count: 0
    .symbol:         _ZN7rocprim17ROCPRIM_400000_NS6detail17trampoline_kernelINS0_14default_configENS1_20scan_config_selectorIfEEZZNS1_9scan_implILNS1_25lookback_scan_determinismE0ELb0ELb0ES3_N6thrust23THRUST_200600_302600_NS6detail15normal_iteratorINS9_10device_ptrIfEEEESE_f11max_functorIfEfEEDaPvRmT3_T4_T5_mT6_P12ihipStream_tbENKUlT_T0_E_clISt17integral_constantIbLb1EEST_IbLb0EEEEDaSP_SQ_EUlSP_E_NS1_11comp_targetILNS1_3genE10ELNS1_11target_archE1200ELNS1_3gpuE4ELNS1_3repE0EEENS1_30default_config_static_selectorELNS0_4arch9wavefront6targetE1EEEvT1_.kd
    .uniform_work_group_size: 1
    .uses_dynamic_stack: false
    .vgpr_count:     0
    .vgpr_spill_count: 0
    .wavefront_size: 64
  - .agpr_count:     0
    .args:
      - .offset:         0
        .size:           96
        .value_kind:     by_value
    .group_segment_fixed_size: 0
    .kernarg_segment_align: 8
    .kernarg_segment_size: 96
    .language:       OpenCL C
    .language_version:
      - 2
      - 0
    .max_flat_workgroup_size: 256
    .name:           _ZN7rocprim17ROCPRIM_400000_NS6detail17trampoline_kernelINS0_14default_configENS1_20scan_config_selectorIfEEZZNS1_9scan_implILNS1_25lookback_scan_determinismE0ELb0ELb0ES3_N6thrust23THRUST_200600_302600_NS6detail15normal_iteratorINS9_10device_ptrIfEEEESE_f11max_functorIfEfEEDaPvRmT3_T4_T5_mT6_P12ihipStream_tbENKUlT_T0_E_clISt17integral_constantIbLb1EEST_IbLb0EEEEDaSP_SQ_EUlSP_E_NS1_11comp_targetILNS1_3genE9ELNS1_11target_archE1100ELNS1_3gpuE3ELNS1_3repE0EEENS1_30default_config_static_selectorELNS0_4arch9wavefront6targetE1EEEvT1_
    .private_segment_fixed_size: 0
    .sgpr_count:     4
    .sgpr_spill_count: 0
    .symbol:         _ZN7rocprim17ROCPRIM_400000_NS6detail17trampoline_kernelINS0_14default_configENS1_20scan_config_selectorIfEEZZNS1_9scan_implILNS1_25lookback_scan_determinismE0ELb0ELb0ES3_N6thrust23THRUST_200600_302600_NS6detail15normal_iteratorINS9_10device_ptrIfEEEESE_f11max_functorIfEfEEDaPvRmT3_T4_T5_mT6_P12ihipStream_tbENKUlT_T0_E_clISt17integral_constantIbLb1EEST_IbLb0EEEEDaSP_SQ_EUlSP_E_NS1_11comp_targetILNS1_3genE9ELNS1_11target_archE1100ELNS1_3gpuE3ELNS1_3repE0EEENS1_30default_config_static_selectorELNS0_4arch9wavefront6targetE1EEEvT1_.kd
    .uniform_work_group_size: 1
    .uses_dynamic_stack: false
    .vgpr_count:     0
    .vgpr_spill_count: 0
    .wavefront_size: 64
  - .agpr_count:     0
    .args:
      - .offset:         0
        .size:           96
        .value_kind:     by_value
    .group_segment_fixed_size: 0
    .kernarg_segment_align: 8
    .kernarg_segment_size: 96
    .language:       OpenCL C
    .language_version:
      - 2
      - 0
    .max_flat_workgroup_size: 64
    .name:           _ZN7rocprim17ROCPRIM_400000_NS6detail17trampoline_kernelINS0_14default_configENS1_20scan_config_selectorIfEEZZNS1_9scan_implILNS1_25lookback_scan_determinismE0ELb0ELb0ES3_N6thrust23THRUST_200600_302600_NS6detail15normal_iteratorINS9_10device_ptrIfEEEESE_f11max_functorIfEfEEDaPvRmT3_T4_T5_mT6_P12ihipStream_tbENKUlT_T0_E_clISt17integral_constantIbLb1EEST_IbLb0EEEEDaSP_SQ_EUlSP_E_NS1_11comp_targetILNS1_3genE8ELNS1_11target_archE1030ELNS1_3gpuE2ELNS1_3repE0EEENS1_30default_config_static_selectorELNS0_4arch9wavefront6targetE1EEEvT1_
    .private_segment_fixed_size: 0
    .sgpr_count:     4
    .sgpr_spill_count: 0
    .symbol:         _ZN7rocprim17ROCPRIM_400000_NS6detail17trampoline_kernelINS0_14default_configENS1_20scan_config_selectorIfEEZZNS1_9scan_implILNS1_25lookback_scan_determinismE0ELb0ELb0ES3_N6thrust23THRUST_200600_302600_NS6detail15normal_iteratorINS9_10device_ptrIfEEEESE_f11max_functorIfEfEEDaPvRmT3_T4_T5_mT6_P12ihipStream_tbENKUlT_T0_E_clISt17integral_constantIbLb1EEST_IbLb0EEEEDaSP_SQ_EUlSP_E_NS1_11comp_targetILNS1_3genE8ELNS1_11target_archE1030ELNS1_3gpuE2ELNS1_3repE0EEENS1_30default_config_static_selectorELNS0_4arch9wavefront6targetE1EEEvT1_.kd
    .uniform_work_group_size: 1
    .uses_dynamic_stack: false
    .vgpr_count:     0
    .vgpr_spill_count: 0
    .wavefront_size: 64
  - .agpr_count:     0
    .args:
      - .offset:         0
        .size:           32
        .value_kind:     by_value
    .group_segment_fixed_size: 0
    .kernarg_segment_align: 8
    .kernarg_segment_size: 32
    .language:       OpenCL C
    .language_version:
      - 2
      - 0
    .max_flat_workgroup_size: 256
    .name:           _ZN7rocprim17ROCPRIM_400000_NS6detail17trampoline_kernelINS0_14default_configENS1_20scan_config_selectorIfEEZZNS1_9scan_implILNS1_25lookback_scan_determinismE0ELb0ELb0ES3_N6thrust23THRUST_200600_302600_NS6detail15normal_iteratorINS9_10device_ptrIfEEEESE_f11max_functorIfEfEEDaPvRmT3_T4_T5_mT6_P12ihipStream_tbENKUlT_T0_E_clISt17integral_constantIbLb1EEST_IbLb0EEEEDaSP_SQ_EUlSP_E0_NS1_11comp_targetILNS1_3genE0ELNS1_11target_archE4294967295ELNS1_3gpuE0ELNS1_3repE0EEENS1_30default_config_static_selectorELNS0_4arch9wavefront6targetE1EEEvT1_
    .private_segment_fixed_size: 0
    .sgpr_count:     4
    .sgpr_spill_count: 0
    .symbol:         _ZN7rocprim17ROCPRIM_400000_NS6detail17trampoline_kernelINS0_14default_configENS1_20scan_config_selectorIfEEZZNS1_9scan_implILNS1_25lookback_scan_determinismE0ELb0ELb0ES3_N6thrust23THRUST_200600_302600_NS6detail15normal_iteratorINS9_10device_ptrIfEEEESE_f11max_functorIfEfEEDaPvRmT3_T4_T5_mT6_P12ihipStream_tbENKUlT_T0_E_clISt17integral_constantIbLb1EEST_IbLb0EEEEDaSP_SQ_EUlSP_E0_NS1_11comp_targetILNS1_3genE0ELNS1_11target_archE4294967295ELNS1_3gpuE0ELNS1_3repE0EEENS1_30default_config_static_selectorELNS0_4arch9wavefront6targetE1EEEvT1_.kd
    .uniform_work_group_size: 1
    .uses_dynamic_stack: false
    .vgpr_count:     0
    .vgpr_spill_count: 0
    .wavefront_size: 64
  - .agpr_count:     0
    .args:
      - .offset:         0
        .size:           32
        .value_kind:     by_value
    .group_segment_fixed_size: 0
    .kernarg_segment_align: 8
    .kernarg_segment_size: 32
    .language:       OpenCL C
    .language_version:
      - 2
      - 0
    .max_flat_workgroup_size: 256
    .name:           _ZN7rocprim17ROCPRIM_400000_NS6detail17trampoline_kernelINS0_14default_configENS1_20scan_config_selectorIfEEZZNS1_9scan_implILNS1_25lookback_scan_determinismE0ELb0ELb0ES3_N6thrust23THRUST_200600_302600_NS6detail15normal_iteratorINS9_10device_ptrIfEEEESE_f11max_functorIfEfEEDaPvRmT3_T4_T5_mT6_P12ihipStream_tbENKUlT_T0_E_clISt17integral_constantIbLb1EEST_IbLb0EEEEDaSP_SQ_EUlSP_E0_NS1_11comp_targetILNS1_3genE5ELNS1_11target_archE942ELNS1_3gpuE9ELNS1_3repE0EEENS1_30default_config_static_selectorELNS0_4arch9wavefront6targetE1EEEvT1_
    .private_segment_fixed_size: 0
    .sgpr_count:     4
    .sgpr_spill_count: 0
    .symbol:         _ZN7rocprim17ROCPRIM_400000_NS6detail17trampoline_kernelINS0_14default_configENS1_20scan_config_selectorIfEEZZNS1_9scan_implILNS1_25lookback_scan_determinismE0ELb0ELb0ES3_N6thrust23THRUST_200600_302600_NS6detail15normal_iteratorINS9_10device_ptrIfEEEESE_f11max_functorIfEfEEDaPvRmT3_T4_T5_mT6_P12ihipStream_tbENKUlT_T0_E_clISt17integral_constantIbLb1EEST_IbLb0EEEEDaSP_SQ_EUlSP_E0_NS1_11comp_targetILNS1_3genE5ELNS1_11target_archE942ELNS1_3gpuE9ELNS1_3repE0EEENS1_30default_config_static_selectorELNS0_4arch9wavefront6targetE1EEEvT1_.kd
    .uniform_work_group_size: 1
    .uses_dynamic_stack: false
    .vgpr_count:     0
    .vgpr_spill_count: 0
    .wavefront_size: 64
  - .agpr_count:     0
    .args:
      - .offset:         0
        .size:           32
        .value_kind:     by_value
    .group_segment_fixed_size: 7168
    .kernarg_segment_align: 8
    .kernarg_segment_size: 32
    .language:       OpenCL C
    .language_version:
      - 2
      - 0
    .max_flat_workgroup_size: 128
    .name:           _ZN7rocprim17ROCPRIM_400000_NS6detail17trampoline_kernelINS0_14default_configENS1_20scan_config_selectorIfEEZZNS1_9scan_implILNS1_25lookback_scan_determinismE0ELb0ELb0ES3_N6thrust23THRUST_200600_302600_NS6detail15normal_iteratorINS9_10device_ptrIfEEEESE_f11max_functorIfEfEEDaPvRmT3_T4_T5_mT6_P12ihipStream_tbENKUlT_T0_E_clISt17integral_constantIbLb1EEST_IbLb0EEEEDaSP_SQ_EUlSP_E0_NS1_11comp_targetILNS1_3genE4ELNS1_11target_archE910ELNS1_3gpuE8ELNS1_3repE0EEENS1_30default_config_static_selectorELNS0_4arch9wavefront6targetE1EEEvT1_
    .private_segment_fixed_size: 0
    .sgpr_count:     44
    .sgpr_spill_count: 0
    .symbol:         _ZN7rocprim17ROCPRIM_400000_NS6detail17trampoline_kernelINS0_14default_configENS1_20scan_config_selectorIfEEZZNS1_9scan_implILNS1_25lookback_scan_determinismE0ELb0ELb0ES3_N6thrust23THRUST_200600_302600_NS6detail15normal_iteratorINS9_10device_ptrIfEEEESE_f11max_functorIfEfEEDaPvRmT3_T4_T5_mT6_P12ihipStream_tbENKUlT_T0_E_clISt17integral_constantIbLb1EEST_IbLb0EEEEDaSP_SQ_EUlSP_E0_NS1_11comp_targetILNS1_3genE4ELNS1_11target_archE910ELNS1_3gpuE8ELNS1_3repE0EEENS1_30default_config_static_selectorELNS0_4arch9wavefront6targetE1EEEvT1_.kd
    .uniform_work_group_size: 1
    .uses_dynamic_stack: false
    .vgpr_count:     25
    .vgpr_spill_count: 0
    .wavefront_size: 64
  - .agpr_count:     0
    .args:
      - .offset:         0
        .size:           32
        .value_kind:     by_value
    .group_segment_fixed_size: 0
    .kernarg_segment_align: 8
    .kernarg_segment_size: 32
    .language:       OpenCL C
    .language_version:
      - 2
      - 0
    .max_flat_workgroup_size: 256
    .name:           _ZN7rocprim17ROCPRIM_400000_NS6detail17trampoline_kernelINS0_14default_configENS1_20scan_config_selectorIfEEZZNS1_9scan_implILNS1_25lookback_scan_determinismE0ELb0ELb0ES3_N6thrust23THRUST_200600_302600_NS6detail15normal_iteratorINS9_10device_ptrIfEEEESE_f11max_functorIfEfEEDaPvRmT3_T4_T5_mT6_P12ihipStream_tbENKUlT_T0_E_clISt17integral_constantIbLb1EEST_IbLb0EEEEDaSP_SQ_EUlSP_E0_NS1_11comp_targetILNS1_3genE3ELNS1_11target_archE908ELNS1_3gpuE7ELNS1_3repE0EEENS1_30default_config_static_selectorELNS0_4arch9wavefront6targetE1EEEvT1_
    .private_segment_fixed_size: 0
    .sgpr_count:     4
    .sgpr_spill_count: 0
    .symbol:         _ZN7rocprim17ROCPRIM_400000_NS6detail17trampoline_kernelINS0_14default_configENS1_20scan_config_selectorIfEEZZNS1_9scan_implILNS1_25lookback_scan_determinismE0ELb0ELb0ES3_N6thrust23THRUST_200600_302600_NS6detail15normal_iteratorINS9_10device_ptrIfEEEESE_f11max_functorIfEfEEDaPvRmT3_T4_T5_mT6_P12ihipStream_tbENKUlT_T0_E_clISt17integral_constantIbLb1EEST_IbLb0EEEEDaSP_SQ_EUlSP_E0_NS1_11comp_targetILNS1_3genE3ELNS1_11target_archE908ELNS1_3gpuE7ELNS1_3repE0EEENS1_30default_config_static_selectorELNS0_4arch9wavefront6targetE1EEEvT1_.kd
    .uniform_work_group_size: 1
    .uses_dynamic_stack: false
    .vgpr_count:     0
    .vgpr_spill_count: 0
    .wavefront_size: 64
  - .agpr_count:     0
    .args:
      - .offset:         0
        .size:           32
        .value_kind:     by_value
    .group_segment_fixed_size: 0
    .kernarg_segment_align: 8
    .kernarg_segment_size: 32
    .language:       OpenCL C
    .language_version:
      - 2
      - 0
    .max_flat_workgroup_size: 256
    .name:           _ZN7rocprim17ROCPRIM_400000_NS6detail17trampoline_kernelINS0_14default_configENS1_20scan_config_selectorIfEEZZNS1_9scan_implILNS1_25lookback_scan_determinismE0ELb0ELb0ES3_N6thrust23THRUST_200600_302600_NS6detail15normal_iteratorINS9_10device_ptrIfEEEESE_f11max_functorIfEfEEDaPvRmT3_T4_T5_mT6_P12ihipStream_tbENKUlT_T0_E_clISt17integral_constantIbLb1EEST_IbLb0EEEEDaSP_SQ_EUlSP_E0_NS1_11comp_targetILNS1_3genE2ELNS1_11target_archE906ELNS1_3gpuE6ELNS1_3repE0EEENS1_30default_config_static_selectorELNS0_4arch9wavefront6targetE1EEEvT1_
    .private_segment_fixed_size: 0
    .sgpr_count:     4
    .sgpr_spill_count: 0
    .symbol:         _ZN7rocprim17ROCPRIM_400000_NS6detail17trampoline_kernelINS0_14default_configENS1_20scan_config_selectorIfEEZZNS1_9scan_implILNS1_25lookback_scan_determinismE0ELb0ELb0ES3_N6thrust23THRUST_200600_302600_NS6detail15normal_iteratorINS9_10device_ptrIfEEEESE_f11max_functorIfEfEEDaPvRmT3_T4_T5_mT6_P12ihipStream_tbENKUlT_T0_E_clISt17integral_constantIbLb1EEST_IbLb0EEEEDaSP_SQ_EUlSP_E0_NS1_11comp_targetILNS1_3genE2ELNS1_11target_archE906ELNS1_3gpuE6ELNS1_3repE0EEENS1_30default_config_static_selectorELNS0_4arch9wavefront6targetE1EEEvT1_.kd
    .uniform_work_group_size: 1
    .uses_dynamic_stack: false
    .vgpr_count:     0
    .vgpr_spill_count: 0
    .wavefront_size: 64
  - .agpr_count:     0
    .args:
      - .offset:         0
        .size:           32
        .value_kind:     by_value
    .group_segment_fixed_size: 0
    .kernarg_segment_align: 8
    .kernarg_segment_size: 32
    .language:       OpenCL C
    .language_version:
      - 2
      - 0
    .max_flat_workgroup_size: 256
    .name:           _ZN7rocprim17ROCPRIM_400000_NS6detail17trampoline_kernelINS0_14default_configENS1_20scan_config_selectorIfEEZZNS1_9scan_implILNS1_25lookback_scan_determinismE0ELb0ELb0ES3_N6thrust23THRUST_200600_302600_NS6detail15normal_iteratorINS9_10device_ptrIfEEEESE_f11max_functorIfEfEEDaPvRmT3_T4_T5_mT6_P12ihipStream_tbENKUlT_T0_E_clISt17integral_constantIbLb1EEST_IbLb0EEEEDaSP_SQ_EUlSP_E0_NS1_11comp_targetILNS1_3genE10ELNS1_11target_archE1201ELNS1_3gpuE5ELNS1_3repE0EEENS1_30default_config_static_selectorELNS0_4arch9wavefront6targetE1EEEvT1_
    .private_segment_fixed_size: 0
    .sgpr_count:     4
    .sgpr_spill_count: 0
    .symbol:         _ZN7rocprim17ROCPRIM_400000_NS6detail17trampoline_kernelINS0_14default_configENS1_20scan_config_selectorIfEEZZNS1_9scan_implILNS1_25lookback_scan_determinismE0ELb0ELb0ES3_N6thrust23THRUST_200600_302600_NS6detail15normal_iteratorINS9_10device_ptrIfEEEESE_f11max_functorIfEfEEDaPvRmT3_T4_T5_mT6_P12ihipStream_tbENKUlT_T0_E_clISt17integral_constantIbLb1EEST_IbLb0EEEEDaSP_SQ_EUlSP_E0_NS1_11comp_targetILNS1_3genE10ELNS1_11target_archE1201ELNS1_3gpuE5ELNS1_3repE0EEENS1_30default_config_static_selectorELNS0_4arch9wavefront6targetE1EEEvT1_.kd
    .uniform_work_group_size: 1
    .uses_dynamic_stack: false
    .vgpr_count:     0
    .vgpr_spill_count: 0
    .wavefront_size: 64
  - .agpr_count:     0
    .args:
      - .offset:         0
        .size:           32
        .value_kind:     by_value
    .group_segment_fixed_size: 0
    .kernarg_segment_align: 8
    .kernarg_segment_size: 32
    .language:       OpenCL C
    .language_version:
      - 2
      - 0
    .max_flat_workgroup_size: 256
    .name:           _ZN7rocprim17ROCPRIM_400000_NS6detail17trampoline_kernelINS0_14default_configENS1_20scan_config_selectorIfEEZZNS1_9scan_implILNS1_25lookback_scan_determinismE0ELb0ELb0ES3_N6thrust23THRUST_200600_302600_NS6detail15normal_iteratorINS9_10device_ptrIfEEEESE_f11max_functorIfEfEEDaPvRmT3_T4_T5_mT6_P12ihipStream_tbENKUlT_T0_E_clISt17integral_constantIbLb1EEST_IbLb0EEEEDaSP_SQ_EUlSP_E0_NS1_11comp_targetILNS1_3genE10ELNS1_11target_archE1200ELNS1_3gpuE4ELNS1_3repE0EEENS1_30default_config_static_selectorELNS0_4arch9wavefront6targetE1EEEvT1_
    .private_segment_fixed_size: 0
    .sgpr_count:     4
    .sgpr_spill_count: 0
    .symbol:         _ZN7rocprim17ROCPRIM_400000_NS6detail17trampoline_kernelINS0_14default_configENS1_20scan_config_selectorIfEEZZNS1_9scan_implILNS1_25lookback_scan_determinismE0ELb0ELb0ES3_N6thrust23THRUST_200600_302600_NS6detail15normal_iteratorINS9_10device_ptrIfEEEESE_f11max_functorIfEfEEDaPvRmT3_T4_T5_mT6_P12ihipStream_tbENKUlT_T0_E_clISt17integral_constantIbLb1EEST_IbLb0EEEEDaSP_SQ_EUlSP_E0_NS1_11comp_targetILNS1_3genE10ELNS1_11target_archE1200ELNS1_3gpuE4ELNS1_3repE0EEENS1_30default_config_static_selectorELNS0_4arch9wavefront6targetE1EEEvT1_.kd
    .uniform_work_group_size: 1
    .uses_dynamic_stack: false
    .vgpr_count:     0
    .vgpr_spill_count: 0
    .wavefront_size: 64
  - .agpr_count:     0
    .args:
      - .offset:         0
        .size:           32
        .value_kind:     by_value
    .group_segment_fixed_size: 0
    .kernarg_segment_align: 8
    .kernarg_segment_size: 32
    .language:       OpenCL C
    .language_version:
      - 2
      - 0
    .max_flat_workgroup_size: 256
    .name:           _ZN7rocprim17ROCPRIM_400000_NS6detail17trampoline_kernelINS0_14default_configENS1_20scan_config_selectorIfEEZZNS1_9scan_implILNS1_25lookback_scan_determinismE0ELb0ELb0ES3_N6thrust23THRUST_200600_302600_NS6detail15normal_iteratorINS9_10device_ptrIfEEEESE_f11max_functorIfEfEEDaPvRmT3_T4_T5_mT6_P12ihipStream_tbENKUlT_T0_E_clISt17integral_constantIbLb1EEST_IbLb0EEEEDaSP_SQ_EUlSP_E0_NS1_11comp_targetILNS1_3genE9ELNS1_11target_archE1100ELNS1_3gpuE3ELNS1_3repE0EEENS1_30default_config_static_selectorELNS0_4arch9wavefront6targetE1EEEvT1_
    .private_segment_fixed_size: 0
    .sgpr_count:     4
    .sgpr_spill_count: 0
    .symbol:         _ZN7rocprim17ROCPRIM_400000_NS6detail17trampoline_kernelINS0_14default_configENS1_20scan_config_selectorIfEEZZNS1_9scan_implILNS1_25lookback_scan_determinismE0ELb0ELb0ES3_N6thrust23THRUST_200600_302600_NS6detail15normal_iteratorINS9_10device_ptrIfEEEESE_f11max_functorIfEfEEDaPvRmT3_T4_T5_mT6_P12ihipStream_tbENKUlT_T0_E_clISt17integral_constantIbLb1EEST_IbLb0EEEEDaSP_SQ_EUlSP_E0_NS1_11comp_targetILNS1_3genE9ELNS1_11target_archE1100ELNS1_3gpuE3ELNS1_3repE0EEENS1_30default_config_static_selectorELNS0_4arch9wavefront6targetE1EEEvT1_.kd
    .uniform_work_group_size: 1
    .uses_dynamic_stack: false
    .vgpr_count:     0
    .vgpr_spill_count: 0
    .wavefront_size: 64
  - .agpr_count:     0
    .args:
      - .offset:         0
        .size:           32
        .value_kind:     by_value
    .group_segment_fixed_size: 0
    .kernarg_segment_align: 8
    .kernarg_segment_size: 32
    .language:       OpenCL C
    .language_version:
      - 2
      - 0
    .max_flat_workgroup_size: 64
    .name:           _ZN7rocprim17ROCPRIM_400000_NS6detail17trampoline_kernelINS0_14default_configENS1_20scan_config_selectorIfEEZZNS1_9scan_implILNS1_25lookback_scan_determinismE0ELb0ELb0ES3_N6thrust23THRUST_200600_302600_NS6detail15normal_iteratorINS9_10device_ptrIfEEEESE_f11max_functorIfEfEEDaPvRmT3_T4_T5_mT6_P12ihipStream_tbENKUlT_T0_E_clISt17integral_constantIbLb1EEST_IbLb0EEEEDaSP_SQ_EUlSP_E0_NS1_11comp_targetILNS1_3genE8ELNS1_11target_archE1030ELNS1_3gpuE2ELNS1_3repE0EEENS1_30default_config_static_selectorELNS0_4arch9wavefront6targetE1EEEvT1_
    .private_segment_fixed_size: 0
    .sgpr_count:     4
    .sgpr_spill_count: 0
    .symbol:         _ZN7rocprim17ROCPRIM_400000_NS6detail17trampoline_kernelINS0_14default_configENS1_20scan_config_selectorIfEEZZNS1_9scan_implILNS1_25lookback_scan_determinismE0ELb0ELb0ES3_N6thrust23THRUST_200600_302600_NS6detail15normal_iteratorINS9_10device_ptrIfEEEESE_f11max_functorIfEfEEDaPvRmT3_T4_T5_mT6_P12ihipStream_tbENKUlT_T0_E_clISt17integral_constantIbLb1EEST_IbLb0EEEEDaSP_SQ_EUlSP_E0_NS1_11comp_targetILNS1_3genE8ELNS1_11target_archE1030ELNS1_3gpuE2ELNS1_3repE0EEENS1_30default_config_static_selectorELNS0_4arch9wavefront6targetE1EEEvT1_.kd
    .uniform_work_group_size: 1
    .uses_dynamic_stack: false
    .vgpr_count:     0
    .vgpr_spill_count: 0
    .wavefront_size: 64
  - .agpr_count:     0
    .args:
      - .offset:         0
        .size:           96
        .value_kind:     by_value
    .group_segment_fixed_size: 0
    .kernarg_segment_align: 8
    .kernarg_segment_size: 96
    .language:       OpenCL C
    .language_version:
      - 2
      - 0
    .max_flat_workgroup_size: 256
    .name:           _ZN7rocprim17ROCPRIM_400000_NS6detail17trampoline_kernelINS0_14default_configENS1_20scan_config_selectorIfEEZZNS1_9scan_implILNS1_25lookback_scan_determinismE0ELb0ELb0ES3_N6thrust23THRUST_200600_302600_NS6detail15normal_iteratorINS9_10device_ptrIfEEEESE_f11max_functorIfEfEEDaPvRmT3_T4_T5_mT6_P12ihipStream_tbENKUlT_T0_E_clISt17integral_constantIbLb0EEST_IbLb1EEEEDaSP_SQ_EUlSP_E_NS1_11comp_targetILNS1_3genE0ELNS1_11target_archE4294967295ELNS1_3gpuE0ELNS1_3repE0EEENS1_30default_config_static_selectorELNS0_4arch9wavefront6targetE1EEEvT1_
    .private_segment_fixed_size: 0
    .sgpr_count:     4
    .sgpr_spill_count: 0
    .symbol:         _ZN7rocprim17ROCPRIM_400000_NS6detail17trampoline_kernelINS0_14default_configENS1_20scan_config_selectorIfEEZZNS1_9scan_implILNS1_25lookback_scan_determinismE0ELb0ELb0ES3_N6thrust23THRUST_200600_302600_NS6detail15normal_iteratorINS9_10device_ptrIfEEEESE_f11max_functorIfEfEEDaPvRmT3_T4_T5_mT6_P12ihipStream_tbENKUlT_T0_E_clISt17integral_constantIbLb0EEST_IbLb1EEEEDaSP_SQ_EUlSP_E_NS1_11comp_targetILNS1_3genE0ELNS1_11target_archE4294967295ELNS1_3gpuE0ELNS1_3repE0EEENS1_30default_config_static_selectorELNS0_4arch9wavefront6targetE1EEEvT1_.kd
    .uniform_work_group_size: 1
    .uses_dynamic_stack: false
    .vgpr_count:     0
    .vgpr_spill_count: 0
    .wavefront_size: 64
  - .agpr_count:     0
    .args:
      - .offset:         0
        .size:           96
        .value_kind:     by_value
    .group_segment_fixed_size: 0
    .kernarg_segment_align: 8
    .kernarg_segment_size: 96
    .language:       OpenCL C
    .language_version:
      - 2
      - 0
    .max_flat_workgroup_size: 256
    .name:           _ZN7rocprim17ROCPRIM_400000_NS6detail17trampoline_kernelINS0_14default_configENS1_20scan_config_selectorIfEEZZNS1_9scan_implILNS1_25lookback_scan_determinismE0ELb0ELb0ES3_N6thrust23THRUST_200600_302600_NS6detail15normal_iteratorINS9_10device_ptrIfEEEESE_f11max_functorIfEfEEDaPvRmT3_T4_T5_mT6_P12ihipStream_tbENKUlT_T0_E_clISt17integral_constantIbLb0EEST_IbLb1EEEEDaSP_SQ_EUlSP_E_NS1_11comp_targetILNS1_3genE5ELNS1_11target_archE942ELNS1_3gpuE9ELNS1_3repE0EEENS1_30default_config_static_selectorELNS0_4arch9wavefront6targetE1EEEvT1_
    .private_segment_fixed_size: 0
    .sgpr_count:     4
    .sgpr_spill_count: 0
    .symbol:         _ZN7rocprim17ROCPRIM_400000_NS6detail17trampoline_kernelINS0_14default_configENS1_20scan_config_selectorIfEEZZNS1_9scan_implILNS1_25lookback_scan_determinismE0ELb0ELb0ES3_N6thrust23THRUST_200600_302600_NS6detail15normal_iteratorINS9_10device_ptrIfEEEESE_f11max_functorIfEfEEDaPvRmT3_T4_T5_mT6_P12ihipStream_tbENKUlT_T0_E_clISt17integral_constantIbLb0EEST_IbLb1EEEEDaSP_SQ_EUlSP_E_NS1_11comp_targetILNS1_3genE5ELNS1_11target_archE942ELNS1_3gpuE9ELNS1_3repE0EEENS1_30default_config_static_selectorELNS0_4arch9wavefront6targetE1EEEvT1_.kd
    .uniform_work_group_size: 1
    .uses_dynamic_stack: false
    .vgpr_count:     0
    .vgpr_spill_count: 0
    .wavefront_size: 64
  - .agpr_count:     0
    .args:
      - .offset:         0
        .size:           96
        .value_kind:     by_value
    .group_segment_fixed_size: 7168
    .kernarg_segment_align: 8
    .kernarg_segment_size: 96
    .language:       OpenCL C
    .language_version:
      - 2
      - 0
    .max_flat_workgroup_size: 128
    .name:           _ZN7rocprim17ROCPRIM_400000_NS6detail17trampoline_kernelINS0_14default_configENS1_20scan_config_selectorIfEEZZNS1_9scan_implILNS1_25lookback_scan_determinismE0ELb0ELb0ES3_N6thrust23THRUST_200600_302600_NS6detail15normal_iteratorINS9_10device_ptrIfEEEESE_f11max_functorIfEfEEDaPvRmT3_T4_T5_mT6_P12ihipStream_tbENKUlT_T0_E_clISt17integral_constantIbLb0EEST_IbLb1EEEEDaSP_SQ_EUlSP_E_NS1_11comp_targetILNS1_3genE4ELNS1_11target_archE910ELNS1_3gpuE8ELNS1_3repE0EEENS1_30default_config_static_selectorELNS0_4arch9wavefront6targetE1EEEvT1_
    .private_segment_fixed_size: 0
    .sgpr_count:     40
    .sgpr_spill_count: 0
    .symbol:         _ZN7rocprim17ROCPRIM_400000_NS6detail17trampoline_kernelINS0_14default_configENS1_20scan_config_selectorIfEEZZNS1_9scan_implILNS1_25lookback_scan_determinismE0ELb0ELb0ES3_N6thrust23THRUST_200600_302600_NS6detail15normal_iteratorINS9_10device_ptrIfEEEESE_f11max_functorIfEfEEDaPvRmT3_T4_T5_mT6_P12ihipStream_tbENKUlT_T0_E_clISt17integral_constantIbLb0EEST_IbLb1EEEEDaSP_SQ_EUlSP_E_NS1_11comp_targetILNS1_3genE4ELNS1_11target_archE910ELNS1_3gpuE8ELNS1_3repE0EEENS1_30default_config_static_selectorELNS0_4arch9wavefront6targetE1EEEvT1_.kd
    .uniform_work_group_size: 1
    .uses_dynamic_stack: false
    .vgpr_count:     44
    .vgpr_spill_count: 0
    .wavefront_size: 64
  - .agpr_count:     0
    .args:
      - .offset:         0
        .size:           96
        .value_kind:     by_value
    .group_segment_fixed_size: 0
    .kernarg_segment_align: 8
    .kernarg_segment_size: 96
    .language:       OpenCL C
    .language_version:
      - 2
      - 0
    .max_flat_workgroup_size: 256
    .name:           _ZN7rocprim17ROCPRIM_400000_NS6detail17trampoline_kernelINS0_14default_configENS1_20scan_config_selectorIfEEZZNS1_9scan_implILNS1_25lookback_scan_determinismE0ELb0ELb0ES3_N6thrust23THRUST_200600_302600_NS6detail15normal_iteratorINS9_10device_ptrIfEEEESE_f11max_functorIfEfEEDaPvRmT3_T4_T5_mT6_P12ihipStream_tbENKUlT_T0_E_clISt17integral_constantIbLb0EEST_IbLb1EEEEDaSP_SQ_EUlSP_E_NS1_11comp_targetILNS1_3genE3ELNS1_11target_archE908ELNS1_3gpuE7ELNS1_3repE0EEENS1_30default_config_static_selectorELNS0_4arch9wavefront6targetE1EEEvT1_
    .private_segment_fixed_size: 0
    .sgpr_count:     4
    .sgpr_spill_count: 0
    .symbol:         _ZN7rocprim17ROCPRIM_400000_NS6detail17trampoline_kernelINS0_14default_configENS1_20scan_config_selectorIfEEZZNS1_9scan_implILNS1_25lookback_scan_determinismE0ELb0ELb0ES3_N6thrust23THRUST_200600_302600_NS6detail15normal_iteratorINS9_10device_ptrIfEEEESE_f11max_functorIfEfEEDaPvRmT3_T4_T5_mT6_P12ihipStream_tbENKUlT_T0_E_clISt17integral_constantIbLb0EEST_IbLb1EEEEDaSP_SQ_EUlSP_E_NS1_11comp_targetILNS1_3genE3ELNS1_11target_archE908ELNS1_3gpuE7ELNS1_3repE0EEENS1_30default_config_static_selectorELNS0_4arch9wavefront6targetE1EEEvT1_.kd
    .uniform_work_group_size: 1
    .uses_dynamic_stack: false
    .vgpr_count:     0
    .vgpr_spill_count: 0
    .wavefront_size: 64
  - .agpr_count:     0
    .args:
      - .offset:         0
        .size:           96
        .value_kind:     by_value
    .group_segment_fixed_size: 0
    .kernarg_segment_align: 8
    .kernarg_segment_size: 96
    .language:       OpenCL C
    .language_version:
      - 2
      - 0
    .max_flat_workgroup_size: 256
    .name:           _ZN7rocprim17ROCPRIM_400000_NS6detail17trampoline_kernelINS0_14default_configENS1_20scan_config_selectorIfEEZZNS1_9scan_implILNS1_25lookback_scan_determinismE0ELb0ELb0ES3_N6thrust23THRUST_200600_302600_NS6detail15normal_iteratorINS9_10device_ptrIfEEEESE_f11max_functorIfEfEEDaPvRmT3_T4_T5_mT6_P12ihipStream_tbENKUlT_T0_E_clISt17integral_constantIbLb0EEST_IbLb1EEEEDaSP_SQ_EUlSP_E_NS1_11comp_targetILNS1_3genE2ELNS1_11target_archE906ELNS1_3gpuE6ELNS1_3repE0EEENS1_30default_config_static_selectorELNS0_4arch9wavefront6targetE1EEEvT1_
    .private_segment_fixed_size: 0
    .sgpr_count:     4
    .sgpr_spill_count: 0
    .symbol:         _ZN7rocprim17ROCPRIM_400000_NS6detail17trampoline_kernelINS0_14default_configENS1_20scan_config_selectorIfEEZZNS1_9scan_implILNS1_25lookback_scan_determinismE0ELb0ELb0ES3_N6thrust23THRUST_200600_302600_NS6detail15normal_iteratorINS9_10device_ptrIfEEEESE_f11max_functorIfEfEEDaPvRmT3_T4_T5_mT6_P12ihipStream_tbENKUlT_T0_E_clISt17integral_constantIbLb0EEST_IbLb1EEEEDaSP_SQ_EUlSP_E_NS1_11comp_targetILNS1_3genE2ELNS1_11target_archE906ELNS1_3gpuE6ELNS1_3repE0EEENS1_30default_config_static_selectorELNS0_4arch9wavefront6targetE1EEEvT1_.kd
    .uniform_work_group_size: 1
    .uses_dynamic_stack: false
    .vgpr_count:     0
    .vgpr_spill_count: 0
    .wavefront_size: 64
  - .agpr_count:     0
    .args:
      - .offset:         0
        .size:           96
        .value_kind:     by_value
    .group_segment_fixed_size: 0
    .kernarg_segment_align: 8
    .kernarg_segment_size: 96
    .language:       OpenCL C
    .language_version:
      - 2
      - 0
    .max_flat_workgroup_size: 256
    .name:           _ZN7rocprim17ROCPRIM_400000_NS6detail17trampoline_kernelINS0_14default_configENS1_20scan_config_selectorIfEEZZNS1_9scan_implILNS1_25lookback_scan_determinismE0ELb0ELb0ES3_N6thrust23THRUST_200600_302600_NS6detail15normal_iteratorINS9_10device_ptrIfEEEESE_f11max_functorIfEfEEDaPvRmT3_T4_T5_mT6_P12ihipStream_tbENKUlT_T0_E_clISt17integral_constantIbLb0EEST_IbLb1EEEEDaSP_SQ_EUlSP_E_NS1_11comp_targetILNS1_3genE10ELNS1_11target_archE1201ELNS1_3gpuE5ELNS1_3repE0EEENS1_30default_config_static_selectorELNS0_4arch9wavefront6targetE1EEEvT1_
    .private_segment_fixed_size: 0
    .sgpr_count:     4
    .sgpr_spill_count: 0
    .symbol:         _ZN7rocprim17ROCPRIM_400000_NS6detail17trampoline_kernelINS0_14default_configENS1_20scan_config_selectorIfEEZZNS1_9scan_implILNS1_25lookback_scan_determinismE0ELb0ELb0ES3_N6thrust23THRUST_200600_302600_NS6detail15normal_iteratorINS9_10device_ptrIfEEEESE_f11max_functorIfEfEEDaPvRmT3_T4_T5_mT6_P12ihipStream_tbENKUlT_T0_E_clISt17integral_constantIbLb0EEST_IbLb1EEEEDaSP_SQ_EUlSP_E_NS1_11comp_targetILNS1_3genE10ELNS1_11target_archE1201ELNS1_3gpuE5ELNS1_3repE0EEENS1_30default_config_static_selectorELNS0_4arch9wavefront6targetE1EEEvT1_.kd
    .uniform_work_group_size: 1
    .uses_dynamic_stack: false
    .vgpr_count:     0
    .vgpr_spill_count: 0
    .wavefront_size: 64
  - .agpr_count:     0
    .args:
      - .offset:         0
        .size:           96
        .value_kind:     by_value
    .group_segment_fixed_size: 0
    .kernarg_segment_align: 8
    .kernarg_segment_size: 96
    .language:       OpenCL C
    .language_version:
      - 2
      - 0
    .max_flat_workgroup_size: 256
    .name:           _ZN7rocprim17ROCPRIM_400000_NS6detail17trampoline_kernelINS0_14default_configENS1_20scan_config_selectorIfEEZZNS1_9scan_implILNS1_25lookback_scan_determinismE0ELb0ELb0ES3_N6thrust23THRUST_200600_302600_NS6detail15normal_iteratorINS9_10device_ptrIfEEEESE_f11max_functorIfEfEEDaPvRmT3_T4_T5_mT6_P12ihipStream_tbENKUlT_T0_E_clISt17integral_constantIbLb0EEST_IbLb1EEEEDaSP_SQ_EUlSP_E_NS1_11comp_targetILNS1_3genE10ELNS1_11target_archE1200ELNS1_3gpuE4ELNS1_3repE0EEENS1_30default_config_static_selectorELNS0_4arch9wavefront6targetE1EEEvT1_
    .private_segment_fixed_size: 0
    .sgpr_count:     4
    .sgpr_spill_count: 0
    .symbol:         _ZN7rocprim17ROCPRIM_400000_NS6detail17trampoline_kernelINS0_14default_configENS1_20scan_config_selectorIfEEZZNS1_9scan_implILNS1_25lookback_scan_determinismE0ELb0ELb0ES3_N6thrust23THRUST_200600_302600_NS6detail15normal_iteratorINS9_10device_ptrIfEEEESE_f11max_functorIfEfEEDaPvRmT3_T4_T5_mT6_P12ihipStream_tbENKUlT_T0_E_clISt17integral_constantIbLb0EEST_IbLb1EEEEDaSP_SQ_EUlSP_E_NS1_11comp_targetILNS1_3genE10ELNS1_11target_archE1200ELNS1_3gpuE4ELNS1_3repE0EEENS1_30default_config_static_selectorELNS0_4arch9wavefront6targetE1EEEvT1_.kd
    .uniform_work_group_size: 1
    .uses_dynamic_stack: false
    .vgpr_count:     0
    .vgpr_spill_count: 0
    .wavefront_size: 64
  - .agpr_count:     0
    .args:
      - .offset:         0
        .size:           96
        .value_kind:     by_value
    .group_segment_fixed_size: 0
    .kernarg_segment_align: 8
    .kernarg_segment_size: 96
    .language:       OpenCL C
    .language_version:
      - 2
      - 0
    .max_flat_workgroup_size: 256
    .name:           _ZN7rocprim17ROCPRIM_400000_NS6detail17trampoline_kernelINS0_14default_configENS1_20scan_config_selectorIfEEZZNS1_9scan_implILNS1_25lookback_scan_determinismE0ELb0ELb0ES3_N6thrust23THRUST_200600_302600_NS6detail15normal_iteratorINS9_10device_ptrIfEEEESE_f11max_functorIfEfEEDaPvRmT3_T4_T5_mT6_P12ihipStream_tbENKUlT_T0_E_clISt17integral_constantIbLb0EEST_IbLb1EEEEDaSP_SQ_EUlSP_E_NS1_11comp_targetILNS1_3genE9ELNS1_11target_archE1100ELNS1_3gpuE3ELNS1_3repE0EEENS1_30default_config_static_selectorELNS0_4arch9wavefront6targetE1EEEvT1_
    .private_segment_fixed_size: 0
    .sgpr_count:     4
    .sgpr_spill_count: 0
    .symbol:         _ZN7rocprim17ROCPRIM_400000_NS6detail17trampoline_kernelINS0_14default_configENS1_20scan_config_selectorIfEEZZNS1_9scan_implILNS1_25lookback_scan_determinismE0ELb0ELb0ES3_N6thrust23THRUST_200600_302600_NS6detail15normal_iteratorINS9_10device_ptrIfEEEESE_f11max_functorIfEfEEDaPvRmT3_T4_T5_mT6_P12ihipStream_tbENKUlT_T0_E_clISt17integral_constantIbLb0EEST_IbLb1EEEEDaSP_SQ_EUlSP_E_NS1_11comp_targetILNS1_3genE9ELNS1_11target_archE1100ELNS1_3gpuE3ELNS1_3repE0EEENS1_30default_config_static_selectorELNS0_4arch9wavefront6targetE1EEEvT1_.kd
    .uniform_work_group_size: 1
    .uses_dynamic_stack: false
    .vgpr_count:     0
    .vgpr_spill_count: 0
    .wavefront_size: 64
  - .agpr_count:     0
    .args:
      - .offset:         0
        .size:           96
        .value_kind:     by_value
    .group_segment_fixed_size: 0
    .kernarg_segment_align: 8
    .kernarg_segment_size: 96
    .language:       OpenCL C
    .language_version:
      - 2
      - 0
    .max_flat_workgroup_size: 64
    .name:           _ZN7rocprim17ROCPRIM_400000_NS6detail17trampoline_kernelINS0_14default_configENS1_20scan_config_selectorIfEEZZNS1_9scan_implILNS1_25lookback_scan_determinismE0ELb0ELb0ES3_N6thrust23THRUST_200600_302600_NS6detail15normal_iteratorINS9_10device_ptrIfEEEESE_f11max_functorIfEfEEDaPvRmT3_T4_T5_mT6_P12ihipStream_tbENKUlT_T0_E_clISt17integral_constantIbLb0EEST_IbLb1EEEEDaSP_SQ_EUlSP_E_NS1_11comp_targetILNS1_3genE8ELNS1_11target_archE1030ELNS1_3gpuE2ELNS1_3repE0EEENS1_30default_config_static_selectorELNS0_4arch9wavefront6targetE1EEEvT1_
    .private_segment_fixed_size: 0
    .sgpr_count:     4
    .sgpr_spill_count: 0
    .symbol:         _ZN7rocprim17ROCPRIM_400000_NS6detail17trampoline_kernelINS0_14default_configENS1_20scan_config_selectorIfEEZZNS1_9scan_implILNS1_25lookback_scan_determinismE0ELb0ELb0ES3_N6thrust23THRUST_200600_302600_NS6detail15normal_iteratorINS9_10device_ptrIfEEEESE_f11max_functorIfEfEEDaPvRmT3_T4_T5_mT6_P12ihipStream_tbENKUlT_T0_E_clISt17integral_constantIbLb0EEST_IbLb1EEEEDaSP_SQ_EUlSP_E_NS1_11comp_targetILNS1_3genE8ELNS1_11target_archE1030ELNS1_3gpuE2ELNS1_3repE0EEENS1_30default_config_static_selectorELNS0_4arch9wavefront6targetE1EEEvT1_.kd
    .uniform_work_group_size: 1
    .uses_dynamic_stack: false
    .vgpr_count:     0
    .vgpr_spill_count: 0
    .wavefront_size: 64
  - .agpr_count:     0
    .args:
      - .offset:         0
        .size:           32
        .value_kind:     by_value
    .group_segment_fixed_size: 0
    .kernarg_segment_align: 8
    .kernarg_segment_size: 32
    .language:       OpenCL C
    .language_version:
      - 2
      - 0
    .max_flat_workgroup_size: 256
    .name:           _ZN7rocprim17ROCPRIM_400000_NS6detail17trampoline_kernelINS0_14default_configENS1_20scan_config_selectorIfEEZZNS1_9scan_implILNS1_25lookback_scan_determinismE0ELb0ELb0ES3_N6thrust23THRUST_200600_302600_NS6detail15normal_iteratorINS9_10device_ptrIfEEEESE_f11max_functorIfEfEEDaPvRmT3_T4_T5_mT6_P12ihipStream_tbENKUlT_T0_E_clISt17integral_constantIbLb0EEST_IbLb1EEEEDaSP_SQ_EUlSP_E0_NS1_11comp_targetILNS1_3genE0ELNS1_11target_archE4294967295ELNS1_3gpuE0ELNS1_3repE0EEENS1_30default_config_static_selectorELNS0_4arch9wavefront6targetE1EEEvT1_
    .private_segment_fixed_size: 0
    .sgpr_count:     4
    .sgpr_spill_count: 0
    .symbol:         _ZN7rocprim17ROCPRIM_400000_NS6detail17trampoline_kernelINS0_14default_configENS1_20scan_config_selectorIfEEZZNS1_9scan_implILNS1_25lookback_scan_determinismE0ELb0ELb0ES3_N6thrust23THRUST_200600_302600_NS6detail15normal_iteratorINS9_10device_ptrIfEEEESE_f11max_functorIfEfEEDaPvRmT3_T4_T5_mT6_P12ihipStream_tbENKUlT_T0_E_clISt17integral_constantIbLb0EEST_IbLb1EEEEDaSP_SQ_EUlSP_E0_NS1_11comp_targetILNS1_3genE0ELNS1_11target_archE4294967295ELNS1_3gpuE0ELNS1_3repE0EEENS1_30default_config_static_selectorELNS0_4arch9wavefront6targetE1EEEvT1_.kd
    .uniform_work_group_size: 1
    .uses_dynamic_stack: false
    .vgpr_count:     0
    .vgpr_spill_count: 0
    .wavefront_size: 64
  - .agpr_count:     0
    .args:
      - .offset:         0
        .size:           32
        .value_kind:     by_value
    .group_segment_fixed_size: 0
    .kernarg_segment_align: 8
    .kernarg_segment_size: 32
    .language:       OpenCL C
    .language_version:
      - 2
      - 0
    .max_flat_workgroup_size: 256
    .name:           _ZN7rocprim17ROCPRIM_400000_NS6detail17trampoline_kernelINS0_14default_configENS1_20scan_config_selectorIfEEZZNS1_9scan_implILNS1_25lookback_scan_determinismE0ELb0ELb0ES3_N6thrust23THRUST_200600_302600_NS6detail15normal_iteratorINS9_10device_ptrIfEEEESE_f11max_functorIfEfEEDaPvRmT3_T4_T5_mT6_P12ihipStream_tbENKUlT_T0_E_clISt17integral_constantIbLb0EEST_IbLb1EEEEDaSP_SQ_EUlSP_E0_NS1_11comp_targetILNS1_3genE5ELNS1_11target_archE942ELNS1_3gpuE9ELNS1_3repE0EEENS1_30default_config_static_selectorELNS0_4arch9wavefront6targetE1EEEvT1_
    .private_segment_fixed_size: 0
    .sgpr_count:     4
    .sgpr_spill_count: 0
    .symbol:         _ZN7rocprim17ROCPRIM_400000_NS6detail17trampoline_kernelINS0_14default_configENS1_20scan_config_selectorIfEEZZNS1_9scan_implILNS1_25lookback_scan_determinismE0ELb0ELb0ES3_N6thrust23THRUST_200600_302600_NS6detail15normal_iteratorINS9_10device_ptrIfEEEESE_f11max_functorIfEfEEDaPvRmT3_T4_T5_mT6_P12ihipStream_tbENKUlT_T0_E_clISt17integral_constantIbLb0EEST_IbLb1EEEEDaSP_SQ_EUlSP_E0_NS1_11comp_targetILNS1_3genE5ELNS1_11target_archE942ELNS1_3gpuE9ELNS1_3repE0EEENS1_30default_config_static_selectorELNS0_4arch9wavefront6targetE1EEEvT1_.kd
    .uniform_work_group_size: 1
    .uses_dynamic_stack: false
    .vgpr_count:     0
    .vgpr_spill_count: 0
    .wavefront_size: 64
  - .agpr_count:     0
    .args:
      - .offset:         0
        .size:           32
        .value_kind:     by_value
    .group_segment_fixed_size: 7168
    .kernarg_segment_align: 8
    .kernarg_segment_size: 32
    .language:       OpenCL C
    .language_version:
      - 2
      - 0
    .max_flat_workgroup_size: 128
    .name:           _ZN7rocprim17ROCPRIM_400000_NS6detail17trampoline_kernelINS0_14default_configENS1_20scan_config_selectorIfEEZZNS1_9scan_implILNS1_25lookback_scan_determinismE0ELb0ELb0ES3_N6thrust23THRUST_200600_302600_NS6detail15normal_iteratorINS9_10device_ptrIfEEEESE_f11max_functorIfEfEEDaPvRmT3_T4_T5_mT6_P12ihipStream_tbENKUlT_T0_E_clISt17integral_constantIbLb0EEST_IbLb1EEEEDaSP_SQ_EUlSP_E0_NS1_11comp_targetILNS1_3genE4ELNS1_11target_archE910ELNS1_3gpuE8ELNS1_3repE0EEENS1_30default_config_static_selectorELNS0_4arch9wavefront6targetE1EEEvT1_
    .private_segment_fixed_size: 0
    .sgpr_count:     44
    .sgpr_spill_count: 0
    .symbol:         _ZN7rocprim17ROCPRIM_400000_NS6detail17trampoline_kernelINS0_14default_configENS1_20scan_config_selectorIfEEZZNS1_9scan_implILNS1_25lookback_scan_determinismE0ELb0ELb0ES3_N6thrust23THRUST_200600_302600_NS6detail15normal_iteratorINS9_10device_ptrIfEEEESE_f11max_functorIfEfEEDaPvRmT3_T4_T5_mT6_P12ihipStream_tbENKUlT_T0_E_clISt17integral_constantIbLb0EEST_IbLb1EEEEDaSP_SQ_EUlSP_E0_NS1_11comp_targetILNS1_3genE4ELNS1_11target_archE910ELNS1_3gpuE8ELNS1_3repE0EEENS1_30default_config_static_selectorELNS0_4arch9wavefront6targetE1EEEvT1_.kd
    .uniform_work_group_size: 1
    .uses_dynamic_stack: false
    .vgpr_count:     25
    .vgpr_spill_count: 0
    .wavefront_size: 64
  - .agpr_count:     0
    .args:
      - .offset:         0
        .size:           32
        .value_kind:     by_value
    .group_segment_fixed_size: 0
    .kernarg_segment_align: 8
    .kernarg_segment_size: 32
    .language:       OpenCL C
    .language_version:
      - 2
      - 0
    .max_flat_workgroup_size: 256
    .name:           _ZN7rocprim17ROCPRIM_400000_NS6detail17trampoline_kernelINS0_14default_configENS1_20scan_config_selectorIfEEZZNS1_9scan_implILNS1_25lookback_scan_determinismE0ELb0ELb0ES3_N6thrust23THRUST_200600_302600_NS6detail15normal_iteratorINS9_10device_ptrIfEEEESE_f11max_functorIfEfEEDaPvRmT3_T4_T5_mT6_P12ihipStream_tbENKUlT_T0_E_clISt17integral_constantIbLb0EEST_IbLb1EEEEDaSP_SQ_EUlSP_E0_NS1_11comp_targetILNS1_3genE3ELNS1_11target_archE908ELNS1_3gpuE7ELNS1_3repE0EEENS1_30default_config_static_selectorELNS0_4arch9wavefront6targetE1EEEvT1_
    .private_segment_fixed_size: 0
    .sgpr_count:     4
    .sgpr_spill_count: 0
    .symbol:         _ZN7rocprim17ROCPRIM_400000_NS6detail17trampoline_kernelINS0_14default_configENS1_20scan_config_selectorIfEEZZNS1_9scan_implILNS1_25lookback_scan_determinismE0ELb0ELb0ES3_N6thrust23THRUST_200600_302600_NS6detail15normal_iteratorINS9_10device_ptrIfEEEESE_f11max_functorIfEfEEDaPvRmT3_T4_T5_mT6_P12ihipStream_tbENKUlT_T0_E_clISt17integral_constantIbLb0EEST_IbLb1EEEEDaSP_SQ_EUlSP_E0_NS1_11comp_targetILNS1_3genE3ELNS1_11target_archE908ELNS1_3gpuE7ELNS1_3repE0EEENS1_30default_config_static_selectorELNS0_4arch9wavefront6targetE1EEEvT1_.kd
    .uniform_work_group_size: 1
    .uses_dynamic_stack: false
    .vgpr_count:     0
    .vgpr_spill_count: 0
    .wavefront_size: 64
  - .agpr_count:     0
    .args:
      - .offset:         0
        .size:           32
        .value_kind:     by_value
    .group_segment_fixed_size: 0
    .kernarg_segment_align: 8
    .kernarg_segment_size: 32
    .language:       OpenCL C
    .language_version:
      - 2
      - 0
    .max_flat_workgroup_size: 256
    .name:           _ZN7rocprim17ROCPRIM_400000_NS6detail17trampoline_kernelINS0_14default_configENS1_20scan_config_selectorIfEEZZNS1_9scan_implILNS1_25lookback_scan_determinismE0ELb0ELb0ES3_N6thrust23THRUST_200600_302600_NS6detail15normal_iteratorINS9_10device_ptrIfEEEESE_f11max_functorIfEfEEDaPvRmT3_T4_T5_mT6_P12ihipStream_tbENKUlT_T0_E_clISt17integral_constantIbLb0EEST_IbLb1EEEEDaSP_SQ_EUlSP_E0_NS1_11comp_targetILNS1_3genE2ELNS1_11target_archE906ELNS1_3gpuE6ELNS1_3repE0EEENS1_30default_config_static_selectorELNS0_4arch9wavefront6targetE1EEEvT1_
    .private_segment_fixed_size: 0
    .sgpr_count:     4
    .sgpr_spill_count: 0
    .symbol:         _ZN7rocprim17ROCPRIM_400000_NS6detail17trampoline_kernelINS0_14default_configENS1_20scan_config_selectorIfEEZZNS1_9scan_implILNS1_25lookback_scan_determinismE0ELb0ELb0ES3_N6thrust23THRUST_200600_302600_NS6detail15normal_iteratorINS9_10device_ptrIfEEEESE_f11max_functorIfEfEEDaPvRmT3_T4_T5_mT6_P12ihipStream_tbENKUlT_T0_E_clISt17integral_constantIbLb0EEST_IbLb1EEEEDaSP_SQ_EUlSP_E0_NS1_11comp_targetILNS1_3genE2ELNS1_11target_archE906ELNS1_3gpuE6ELNS1_3repE0EEENS1_30default_config_static_selectorELNS0_4arch9wavefront6targetE1EEEvT1_.kd
    .uniform_work_group_size: 1
    .uses_dynamic_stack: false
    .vgpr_count:     0
    .vgpr_spill_count: 0
    .wavefront_size: 64
  - .agpr_count:     0
    .args:
      - .offset:         0
        .size:           32
        .value_kind:     by_value
    .group_segment_fixed_size: 0
    .kernarg_segment_align: 8
    .kernarg_segment_size: 32
    .language:       OpenCL C
    .language_version:
      - 2
      - 0
    .max_flat_workgroup_size: 256
    .name:           _ZN7rocprim17ROCPRIM_400000_NS6detail17trampoline_kernelINS0_14default_configENS1_20scan_config_selectorIfEEZZNS1_9scan_implILNS1_25lookback_scan_determinismE0ELb0ELb0ES3_N6thrust23THRUST_200600_302600_NS6detail15normal_iteratorINS9_10device_ptrIfEEEESE_f11max_functorIfEfEEDaPvRmT3_T4_T5_mT6_P12ihipStream_tbENKUlT_T0_E_clISt17integral_constantIbLb0EEST_IbLb1EEEEDaSP_SQ_EUlSP_E0_NS1_11comp_targetILNS1_3genE10ELNS1_11target_archE1201ELNS1_3gpuE5ELNS1_3repE0EEENS1_30default_config_static_selectorELNS0_4arch9wavefront6targetE1EEEvT1_
    .private_segment_fixed_size: 0
    .sgpr_count:     4
    .sgpr_spill_count: 0
    .symbol:         _ZN7rocprim17ROCPRIM_400000_NS6detail17trampoline_kernelINS0_14default_configENS1_20scan_config_selectorIfEEZZNS1_9scan_implILNS1_25lookback_scan_determinismE0ELb0ELb0ES3_N6thrust23THRUST_200600_302600_NS6detail15normal_iteratorINS9_10device_ptrIfEEEESE_f11max_functorIfEfEEDaPvRmT3_T4_T5_mT6_P12ihipStream_tbENKUlT_T0_E_clISt17integral_constantIbLb0EEST_IbLb1EEEEDaSP_SQ_EUlSP_E0_NS1_11comp_targetILNS1_3genE10ELNS1_11target_archE1201ELNS1_3gpuE5ELNS1_3repE0EEENS1_30default_config_static_selectorELNS0_4arch9wavefront6targetE1EEEvT1_.kd
    .uniform_work_group_size: 1
    .uses_dynamic_stack: false
    .vgpr_count:     0
    .vgpr_spill_count: 0
    .wavefront_size: 64
  - .agpr_count:     0
    .args:
      - .offset:         0
        .size:           32
        .value_kind:     by_value
    .group_segment_fixed_size: 0
    .kernarg_segment_align: 8
    .kernarg_segment_size: 32
    .language:       OpenCL C
    .language_version:
      - 2
      - 0
    .max_flat_workgroup_size: 256
    .name:           _ZN7rocprim17ROCPRIM_400000_NS6detail17trampoline_kernelINS0_14default_configENS1_20scan_config_selectorIfEEZZNS1_9scan_implILNS1_25lookback_scan_determinismE0ELb0ELb0ES3_N6thrust23THRUST_200600_302600_NS6detail15normal_iteratorINS9_10device_ptrIfEEEESE_f11max_functorIfEfEEDaPvRmT3_T4_T5_mT6_P12ihipStream_tbENKUlT_T0_E_clISt17integral_constantIbLb0EEST_IbLb1EEEEDaSP_SQ_EUlSP_E0_NS1_11comp_targetILNS1_3genE10ELNS1_11target_archE1200ELNS1_3gpuE4ELNS1_3repE0EEENS1_30default_config_static_selectorELNS0_4arch9wavefront6targetE1EEEvT1_
    .private_segment_fixed_size: 0
    .sgpr_count:     4
    .sgpr_spill_count: 0
    .symbol:         _ZN7rocprim17ROCPRIM_400000_NS6detail17trampoline_kernelINS0_14default_configENS1_20scan_config_selectorIfEEZZNS1_9scan_implILNS1_25lookback_scan_determinismE0ELb0ELb0ES3_N6thrust23THRUST_200600_302600_NS6detail15normal_iteratorINS9_10device_ptrIfEEEESE_f11max_functorIfEfEEDaPvRmT3_T4_T5_mT6_P12ihipStream_tbENKUlT_T0_E_clISt17integral_constantIbLb0EEST_IbLb1EEEEDaSP_SQ_EUlSP_E0_NS1_11comp_targetILNS1_3genE10ELNS1_11target_archE1200ELNS1_3gpuE4ELNS1_3repE0EEENS1_30default_config_static_selectorELNS0_4arch9wavefront6targetE1EEEvT1_.kd
    .uniform_work_group_size: 1
    .uses_dynamic_stack: false
    .vgpr_count:     0
    .vgpr_spill_count: 0
    .wavefront_size: 64
  - .agpr_count:     0
    .args:
      - .offset:         0
        .size:           32
        .value_kind:     by_value
    .group_segment_fixed_size: 0
    .kernarg_segment_align: 8
    .kernarg_segment_size: 32
    .language:       OpenCL C
    .language_version:
      - 2
      - 0
    .max_flat_workgroup_size: 256
    .name:           _ZN7rocprim17ROCPRIM_400000_NS6detail17trampoline_kernelINS0_14default_configENS1_20scan_config_selectorIfEEZZNS1_9scan_implILNS1_25lookback_scan_determinismE0ELb0ELb0ES3_N6thrust23THRUST_200600_302600_NS6detail15normal_iteratorINS9_10device_ptrIfEEEESE_f11max_functorIfEfEEDaPvRmT3_T4_T5_mT6_P12ihipStream_tbENKUlT_T0_E_clISt17integral_constantIbLb0EEST_IbLb1EEEEDaSP_SQ_EUlSP_E0_NS1_11comp_targetILNS1_3genE9ELNS1_11target_archE1100ELNS1_3gpuE3ELNS1_3repE0EEENS1_30default_config_static_selectorELNS0_4arch9wavefront6targetE1EEEvT1_
    .private_segment_fixed_size: 0
    .sgpr_count:     4
    .sgpr_spill_count: 0
    .symbol:         _ZN7rocprim17ROCPRIM_400000_NS6detail17trampoline_kernelINS0_14default_configENS1_20scan_config_selectorIfEEZZNS1_9scan_implILNS1_25lookback_scan_determinismE0ELb0ELb0ES3_N6thrust23THRUST_200600_302600_NS6detail15normal_iteratorINS9_10device_ptrIfEEEESE_f11max_functorIfEfEEDaPvRmT3_T4_T5_mT6_P12ihipStream_tbENKUlT_T0_E_clISt17integral_constantIbLb0EEST_IbLb1EEEEDaSP_SQ_EUlSP_E0_NS1_11comp_targetILNS1_3genE9ELNS1_11target_archE1100ELNS1_3gpuE3ELNS1_3repE0EEENS1_30default_config_static_selectorELNS0_4arch9wavefront6targetE1EEEvT1_.kd
    .uniform_work_group_size: 1
    .uses_dynamic_stack: false
    .vgpr_count:     0
    .vgpr_spill_count: 0
    .wavefront_size: 64
  - .agpr_count:     0
    .args:
      - .offset:         0
        .size:           32
        .value_kind:     by_value
    .group_segment_fixed_size: 0
    .kernarg_segment_align: 8
    .kernarg_segment_size: 32
    .language:       OpenCL C
    .language_version:
      - 2
      - 0
    .max_flat_workgroup_size: 64
    .name:           _ZN7rocprim17ROCPRIM_400000_NS6detail17trampoline_kernelINS0_14default_configENS1_20scan_config_selectorIfEEZZNS1_9scan_implILNS1_25lookback_scan_determinismE0ELb0ELb0ES3_N6thrust23THRUST_200600_302600_NS6detail15normal_iteratorINS9_10device_ptrIfEEEESE_f11max_functorIfEfEEDaPvRmT3_T4_T5_mT6_P12ihipStream_tbENKUlT_T0_E_clISt17integral_constantIbLb0EEST_IbLb1EEEEDaSP_SQ_EUlSP_E0_NS1_11comp_targetILNS1_3genE8ELNS1_11target_archE1030ELNS1_3gpuE2ELNS1_3repE0EEENS1_30default_config_static_selectorELNS0_4arch9wavefront6targetE1EEEvT1_
    .private_segment_fixed_size: 0
    .sgpr_count:     4
    .sgpr_spill_count: 0
    .symbol:         _ZN7rocprim17ROCPRIM_400000_NS6detail17trampoline_kernelINS0_14default_configENS1_20scan_config_selectorIfEEZZNS1_9scan_implILNS1_25lookback_scan_determinismE0ELb0ELb0ES3_N6thrust23THRUST_200600_302600_NS6detail15normal_iteratorINS9_10device_ptrIfEEEESE_f11max_functorIfEfEEDaPvRmT3_T4_T5_mT6_P12ihipStream_tbENKUlT_T0_E_clISt17integral_constantIbLb0EEST_IbLb1EEEEDaSP_SQ_EUlSP_E0_NS1_11comp_targetILNS1_3genE8ELNS1_11target_archE1030ELNS1_3gpuE2ELNS1_3repE0EEENS1_30default_config_static_selectorELNS0_4arch9wavefront6targetE1EEEvT1_.kd
    .uniform_work_group_size: 1
    .uses_dynamic_stack: false
    .vgpr_count:     0
    .vgpr_spill_count: 0
    .wavefront_size: 64
  - .agpr_count:     0
    .args:
      - .offset:         0
        .size:           96
        .value_kind:     by_value
    .group_segment_fixed_size: 0
    .kernarg_segment_align: 8
    .kernarg_segment_size: 96
    .language:       OpenCL C
    .language_version:
      - 2
      - 0
    .max_flat_workgroup_size: 256
    .name:           _ZN7rocprim17ROCPRIM_400000_NS6detail17trampoline_kernelINS0_14default_configENS1_20scan_config_selectorIfEEZZNS1_9scan_implILNS1_25lookback_scan_determinismE0ELb1ELb1ES3_N6thrust23THRUST_200600_302600_NS6detail15normal_iteratorINS9_10device_ptrIfEEEESE_f11max_functorIfEfEEDaPvRmT3_T4_T5_mT6_P12ihipStream_tbENKUlT_T0_E_clISt17integral_constantIbLb0EESU_EEDaSP_SQ_EUlSP_E_NS1_11comp_targetILNS1_3genE0ELNS1_11target_archE4294967295ELNS1_3gpuE0ELNS1_3repE0EEENS1_30default_config_static_selectorELNS0_4arch9wavefront6targetE1EEEvT1_
    .private_segment_fixed_size: 0
    .sgpr_count:     4
    .sgpr_spill_count: 0
    .symbol:         _ZN7rocprim17ROCPRIM_400000_NS6detail17trampoline_kernelINS0_14default_configENS1_20scan_config_selectorIfEEZZNS1_9scan_implILNS1_25lookback_scan_determinismE0ELb1ELb1ES3_N6thrust23THRUST_200600_302600_NS6detail15normal_iteratorINS9_10device_ptrIfEEEESE_f11max_functorIfEfEEDaPvRmT3_T4_T5_mT6_P12ihipStream_tbENKUlT_T0_E_clISt17integral_constantIbLb0EESU_EEDaSP_SQ_EUlSP_E_NS1_11comp_targetILNS1_3genE0ELNS1_11target_archE4294967295ELNS1_3gpuE0ELNS1_3repE0EEENS1_30default_config_static_selectorELNS0_4arch9wavefront6targetE1EEEvT1_.kd
    .uniform_work_group_size: 1
    .uses_dynamic_stack: false
    .vgpr_count:     0
    .vgpr_spill_count: 0
    .wavefront_size: 64
  - .agpr_count:     0
    .args:
      - .offset:         0
        .size:           96
        .value_kind:     by_value
    .group_segment_fixed_size: 0
    .kernarg_segment_align: 8
    .kernarg_segment_size: 96
    .language:       OpenCL C
    .language_version:
      - 2
      - 0
    .max_flat_workgroup_size: 256
    .name:           _ZN7rocprim17ROCPRIM_400000_NS6detail17trampoline_kernelINS0_14default_configENS1_20scan_config_selectorIfEEZZNS1_9scan_implILNS1_25lookback_scan_determinismE0ELb1ELb1ES3_N6thrust23THRUST_200600_302600_NS6detail15normal_iteratorINS9_10device_ptrIfEEEESE_f11max_functorIfEfEEDaPvRmT3_T4_T5_mT6_P12ihipStream_tbENKUlT_T0_E_clISt17integral_constantIbLb0EESU_EEDaSP_SQ_EUlSP_E_NS1_11comp_targetILNS1_3genE5ELNS1_11target_archE942ELNS1_3gpuE9ELNS1_3repE0EEENS1_30default_config_static_selectorELNS0_4arch9wavefront6targetE1EEEvT1_
    .private_segment_fixed_size: 0
    .sgpr_count:     4
    .sgpr_spill_count: 0
    .symbol:         _ZN7rocprim17ROCPRIM_400000_NS6detail17trampoline_kernelINS0_14default_configENS1_20scan_config_selectorIfEEZZNS1_9scan_implILNS1_25lookback_scan_determinismE0ELb1ELb1ES3_N6thrust23THRUST_200600_302600_NS6detail15normal_iteratorINS9_10device_ptrIfEEEESE_f11max_functorIfEfEEDaPvRmT3_T4_T5_mT6_P12ihipStream_tbENKUlT_T0_E_clISt17integral_constantIbLb0EESU_EEDaSP_SQ_EUlSP_E_NS1_11comp_targetILNS1_3genE5ELNS1_11target_archE942ELNS1_3gpuE9ELNS1_3repE0EEENS1_30default_config_static_selectorELNS0_4arch9wavefront6targetE1EEEvT1_.kd
    .uniform_work_group_size: 1
    .uses_dynamic_stack: false
    .vgpr_count:     0
    .vgpr_spill_count: 0
    .wavefront_size: 64
  - .agpr_count:     0
    .args:
      - .offset:         0
        .size:           96
        .value_kind:     by_value
    .group_segment_fixed_size: 7168
    .kernarg_segment_align: 8
    .kernarg_segment_size: 96
    .language:       OpenCL C
    .language_version:
      - 2
      - 0
    .max_flat_workgroup_size: 128
    .name:           _ZN7rocprim17ROCPRIM_400000_NS6detail17trampoline_kernelINS0_14default_configENS1_20scan_config_selectorIfEEZZNS1_9scan_implILNS1_25lookback_scan_determinismE0ELb1ELb1ES3_N6thrust23THRUST_200600_302600_NS6detail15normal_iteratorINS9_10device_ptrIfEEEESE_f11max_functorIfEfEEDaPvRmT3_T4_T5_mT6_P12ihipStream_tbENKUlT_T0_E_clISt17integral_constantIbLb0EESU_EEDaSP_SQ_EUlSP_E_NS1_11comp_targetILNS1_3genE4ELNS1_11target_archE910ELNS1_3gpuE8ELNS1_3repE0EEENS1_30default_config_static_selectorELNS0_4arch9wavefront6targetE1EEEvT1_
    .private_segment_fixed_size: 0
    .sgpr_count:     38
    .sgpr_spill_count: 0
    .symbol:         _ZN7rocprim17ROCPRIM_400000_NS6detail17trampoline_kernelINS0_14default_configENS1_20scan_config_selectorIfEEZZNS1_9scan_implILNS1_25lookback_scan_determinismE0ELb1ELb1ES3_N6thrust23THRUST_200600_302600_NS6detail15normal_iteratorINS9_10device_ptrIfEEEESE_f11max_functorIfEfEEDaPvRmT3_T4_T5_mT6_P12ihipStream_tbENKUlT_T0_E_clISt17integral_constantIbLb0EESU_EEDaSP_SQ_EUlSP_E_NS1_11comp_targetILNS1_3genE4ELNS1_11target_archE910ELNS1_3gpuE8ELNS1_3repE0EEENS1_30default_config_static_selectorELNS0_4arch9wavefront6targetE1EEEvT1_.kd
    .uniform_work_group_size: 1
    .uses_dynamic_stack: false
    .vgpr_count:     44
    .vgpr_spill_count: 0
    .wavefront_size: 64
  - .agpr_count:     0
    .args:
      - .offset:         0
        .size:           96
        .value_kind:     by_value
    .group_segment_fixed_size: 0
    .kernarg_segment_align: 8
    .kernarg_segment_size: 96
    .language:       OpenCL C
    .language_version:
      - 2
      - 0
    .max_flat_workgroup_size: 256
    .name:           _ZN7rocprim17ROCPRIM_400000_NS6detail17trampoline_kernelINS0_14default_configENS1_20scan_config_selectorIfEEZZNS1_9scan_implILNS1_25lookback_scan_determinismE0ELb1ELb1ES3_N6thrust23THRUST_200600_302600_NS6detail15normal_iteratorINS9_10device_ptrIfEEEESE_f11max_functorIfEfEEDaPvRmT3_T4_T5_mT6_P12ihipStream_tbENKUlT_T0_E_clISt17integral_constantIbLb0EESU_EEDaSP_SQ_EUlSP_E_NS1_11comp_targetILNS1_3genE3ELNS1_11target_archE908ELNS1_3gpuE7ELNS1_3repE0EEENS1_30default_config_static_selectorELNS0_4arch9wavefront6targetE1EEEvT1_
    .private_segment_fixed_size: 0
    .sgpr_count:     4
    .sgpr_spill_count: 0
    .symbol:         _ZN7rocprim17ROCPRIM_400000_NS6detail17trampoline_kernelINS0_14default_configENS1_20scan_config_selectorIfEEZZNS1_9scan_implILNS1_25lookback_scan_determinismE0ELb1ELb1ES3_N6thrust23THRUST_200600_302600_NS6detail15normal_iteratorINS9_10device_ptrIfEEEESE_f11max_functorIfEfEEDaPvRmT3_T4_T5_mT6_P12ihipStream_tbENKUlT_T0_E_clISt17integral_constantIbLb0EESU_EEDaSP_SQ_EUlSP_E_NS1_11comp_targetILNS1_3genE3ELNS1_11target_archE908ELNS1_3gpuE7ELNS1_3repE0EEENS1_30default_config_static_selectorELNS0_4arch9wavefront6targetE1EEEvT1_.kd
    .uniform_work_group_size: 1
    .uses_dynamic_stack: false
    .vgpr_count:     0
    .vgpr_spill_count: 0
    .wavefront_size: 64
  - .agpr_count:     0
    .args:
      - .offset:         0
        .size:           96
        .value_kind:     by_value
    .group_segment_fixed_size: 0
    .kernarg_segment_align: 8
    .kernarg_segment_size: 96
    .language:       OpenCL C
    .language_version:
      - 2
      - 0
    .max_flat_workgroup_size: 256
    .name:           _ZN7rocprim17ROCPRIM_400000_NS6detail17trampoline_kernelINS0_14default_configENS1_20scan_config_selectorIfEEZZNS1_9scan_implILNS1_25lookback_scan_determinismE0ELb1ELb1ES3_N6thrust23THRUST_200600_302600_NS6detail15normal_iteratorINS9_10device_ptrIfEEEESE_f11max_functorIfEfEEDaPvRmT3_T4_T5_mT6_P12ihipStream_tbENKUlT_T0_E_clISt17integral_constantIbLb0EESU_EEDaSP_SQ_EUlSP_E_NS1_11comp_targetILNS1_3genE2ELNS1_11target_archE906ELNS1_3gpuE6ELNS1_3repE0EEENS1_30default_config_static_selectorELNS0_4arch9wavefront6targetE1EEEvT1_
    .private_segment_fixed_size: 0
    .sgpr_count:     4
    .sgpr_spill_count: 0
    .symbol:         _ZN7rocprim17ROCPRIM_400000_NS6detail17trampoline_kernelINS0_14default_configENS1_20scan_config_selectorIfEEZZNS1_9scan_implILNS1_25lookback_scan_determinismE0ELb1ELb1ES3_N6thrust23THRUST_200600_302600_NS6detail15normal_iteratorINS9_10device_ptrIfEEEESE_f11max_functorIfEfEEDaPvRmT3_T4_T5_mT6_P12ihipStream_tbENKUlT_T0_E_clISt17integral_constantIbLb0EESU_EEDaSP_SQ_EUlSP_E_NS1_11comp_targetILNS1_3genE2ELNS1_11target_archE906ELNS1_3gpuE6ELNS1_3repE0EEENS1_30default_config_static_selectorELNS0_4arch9wavefront6targetE1EEEvT1_.kd
    .uniform_work_group_size: 1
    .uses_dynamic_stack: false
    .vgpr_count:     0
    .vgpr_spill_count: 0
    .wavefront_size: 64
  - .agpr_count:     0
    .args:
      - .offset:         0
        .size:           96
        .value_kind:     by_value
    .group_segment_fixed_size: 0
    .kernarg_segment_align: 8
    .kernarg_segment_size: 96
    .language:       OpenCL C
    .language_version:
      - 2
      - 0
    .max_flat_workgroup_size: 256
    .name:           _ZN7rocprim17ROCPRIM_400000_NS6detail17trampoline_kernelINS0_14default_configENS1_20scan_config_selectorIfEEZZNS1_9scan_implILNS1_25lookback_scan_determinismE0ELb1ELb1ES3_N6thrust23THRUST_200600_302600_NS6detail15normal_iteratorINS9_10device_ptrIfEEEESE_f11max_functorIfEfEEDaPvRmT3_T4_T5_mT6_P12ihipStream_tbENKUlT_T0_E_clISt17integral_constantIbLb0EESU_EEDaSP_SQ_EUlSP_E_NS1_11comp_targetILNS1_3genE10ELNS1_11target_archE1201ELNS1_3gpuE5ELNS1_3repE0EEENS1_30default_config_static_selectorELNS0_4arch9wavefront6targetE1EEEvT1_
    .private_segment_fixed_size: 0
    .sgpr_count:     4
    .sgpr_spill_count: 0
    .symbol:         _ZN7rocprim17ROCPRIM_400000_NS6detail17trampoline_kernelINS0_14default_configENS1_20scan_config_selectorIfEEZZNS1_9scan_implILNS1_25lookback_scan_determinismE0ELb1ELb1ES3_N6thrust23THRUST_200600_302600_NS6detail15normal_iteratorINS9_10device_ptrIfEEEESE_f11max_functorIfEfEEDaPvRmT3_T4_T5_mT6_P12ihipStream_tbENKUlT_T0_E_clISt17integral_constantIbLb0EESU_EEDaSP_SQ_EUlSP_E_NS1_11comp_targetILNS1_3genE10ELNS1_11target_archE1201ELNS1_3gpuE5ELNS1_3repE0EEENS1_30default_config_static_selectorELNS0_4arch9wavefront6targetE1EEEvT1_.kd
    .uniform_work_group_size: 1
    .uses_dynamic_stack: false
    .vgpr_count:     0
    .vgpr_spill_count: 0
    .wavefront_size: 64
  - .agpr_count:     0
    .args:
      - .offset:         0
        .size:           96
        .value_kind:     by_value
    .group_segment_fixed_size: 0
    .kernarg_segment_align: 8
    .kernarg_segment_size: 96
    .language:       OpenCL C
    .language_version:
      - 2
      - 0
    .max_flat_workgroup_size: 256
    .name:           _ZN7rocprim17ROCPRIM_400000_NS6detail17trampoline_kernelINS0_14default_configENS1_20scan_config_selectorIfEEZZNS1_9scan_implILNS1_25lookback_scan_determinismE0ELb1ELb1ES3_N6thrust23THRUST_200600_302600_NS6detail15normal_iteratorINS9_10device_ptrIfEEEESE_f11max_functorIfEfEEDaPvRmT3_T4_T5_mT6_P12ihipStream_tbENKUlT_T0_E_clISt17integral_constantIbLb0EESU_EEDaSP_SQ_EUlSP_E_NS1_11comp_targetILNS1_3genE10ELNS1_11target_archE1200ELNS1_3gpuE4ELNS1_3repE0EEENS1_30default_config_static_selectorELNS0_4arch9wavefront6targetE1EEEvT1_
    .private_segment_fixed_size: 0
    .sgpr_count:     4
    .sgpr_spill_count: 0
    .symbol:         _ZN7rocprim17ROCPRIM_400000_NS6detail17trampoline_kernelINS0_14default_configENS1_20scan_config_selectorIfEEZZNS1_9scan_implILNS1_25lookback_scan_determinismE0ELb1ELb1ES3_N6thrust23THRUST_200600_302600_NS6detail15normal_iteratorINS9_10device_ptrIfEEEESE_f11max_functorIfEfEEDaPvRmT3_T4_T5_mT6_P12ihipStream_tbENKUlT_T0_E_clISt17integral_constantIbLb0EESU_EEDaSP_SQ_EUlSP_E_NS1_11comp_targetILNS1_3genE10ELNS1_11target_archE1200ELNS1_3gpuE4ELNS1_3repE0EEENS1_30default_config_static_selectorELNS0_4arch9wavefront6targetE1EEEvT1_.kd
    .uniform_work_group_size: 1
    .uses_dynamic_stack: false
    .vgpr_count:     0
    .vgpr_spill_count: 0
    .wavefront_size: 64
  - .agpr_count:     0
    .args:
      - .offset:         0
        .size:           96
        .value_kind:     by_value
    .group_segment_fixed_size: 0
    .kernarg_segment_align: 8
    .kernarg_segment_size: 96
    .language:       OpenCL C
    .language_version:
      - 2
      - 0
    .max_flat_workgroup_size: 256
    .name:           _ZN7rocprim17ROCPRIM_400000_NS6detail17trampoline_kernelINS0_14default_configENS1_20scan_config_selectorIfEEZZNS1_9scan_implILNS1_25lookback_scan_determinismE0ELb1ELb1ES3_N6thrust23THRUST_200600_302600_NS6detail15normal_iteratorINS9_10device_ptrIfEEEESE_f11max_functorIfEfEEDaPvRmT3_T4_T5_mT6_P12ihipStream_tbENKUlT_T0_E_clISt17integral_constantIbLb0EESU_EEDaSP_SQ_EUlSP_E_NS1_11comp_targetILNS1_3genE9ELNS1_11target_archE1100ELNS1_3gpuE3ELNS1_3repE0EEENS1_30default_config_static_selectorELNS0_4arch9wavefront6targetE1EEEvT1_
    .private_segment_fixed_size: 0
    .sgpr_count:     4
    .sgpr_spill_count: 0
    .symbol:         _ZN7rocprim17ROCPRIM_400000_NS6detail17trampoline_kernelINS0_14default_configENS1_20scan_config_selectorIfEEZZNS1_9scan_implILNS1_25lookback_scan_determinismE0ELb1ELb1ES3_N6thrust23THRUST_200600_302600_NS6detail15normal_iteratorINS9_10device_ptrIfEEEESE_f11max_functorIfEfEEDaPvRmT3_T4_T5_mT6_P12ihipStream_tbENKUlT_T0_E_clISt17integral_constantIbLb0EESU_EEDaSP_SQ_EUlSP_E_NS1_11comp_targetILNS1_3genE9ELNS1_11target_archE1100ELNS1_3gpuE3ELNS1_3repE0EEENS1_30default_config_static_selectorELNS0_4arch9wavefront6targetE1EEEvT1_.kd
    .uniform_work_group_size: 1
    .uses_dynamic_stack: false
    .vgpr_count:     0
    .vgpr_spill_count: 0
    .wavefront_size: 64
  - .agpr_count:     0
    .args:
      - .offset:         0
        .size:           96
        .value_kind:     by_value
    .group_segment_fixed_size: 0
    .kernarg_segment_align: 8
    .kernarg_segment_size: 96
    .language:       OpenCL C
    .language_version:
      - 2
      - 0
    .max_flat_workgroup_size: 64
    .name:           _ZN7rocprim17ROCPRIM_400000_NS6detail17trampoline_kernelINS0_14default_configENS1_20scan_config_selectorIfEEZZNS1_9scan_implILNS1_25lookback_scan_determinismE0ELb1ELb1ES3_N6thrust23THRUST_200600_302600_NS6detail15normal_iteratorINS9_10device_ptrIfEEEESE_f11max_functorIfEfEEDaPvRmT3_T4_T5_mT6_P12ihipStream_tbENKUlT_T0_E_clISt17integral_constantIbLb0EESU_EEDaSP_SQ_EUlSP_E_NS1_11comp_targetILNS1_3genE8ELNS1_11target_archE1030ELNS1_3gpuE2ELNS1_3repE0EEENS1_30default_config_static_selectorELNS0_4arch9wavefront6targetE1EEEvT1_
    .private_segment_fixed_size: 0
    .sgpr_count:     4
    .sgpr_spill_count: 0
    .symbol:         _ZN7rocprim17ROCPRIM_400000_NS6detail17trampoline_kernelINS0_14default_configENS1_20scan_config_selectorIfEEZZNS1_9scan_implILNS1_25lookback_scan_determinismE0ELb1ELb1ES3_N6thrust23THRUST_200600_302600_NS6detail15normal_iteratorINS9_10device_ptrIfEEEESE_f11max_functorIfEfEEDaPvRmT3_T4_T5_mT6_P12ihipStream_tbENKUlT_T0_E_clISt17integral_constantIbLb0EESU_EEDaSP_SQ_EUlSP_E_NS1_11comp_targetILNS1_3genE8ELNS1_11target_archE1030ELNS1_3gpuE2ELNS1_3repE0EEENS1_30default_config_static_selectorELNS0_4arch9wavefront6targetE1EEEvT1_.kd
    .uniform_work_group_size: 1
    .uses_dynamic_stack: false
    .vgpr_count:     0
    .vgpr_spill_count: 0
    .wavefront_size: 64
  - .agpr_count:     0
    .args:
      - .offset:         0
        .size:           32
        .value_kind:     by_value
    .group_segment_fixed_size: 0
    .kernarg_segment_align: 8
    .kernarg_segment_size: 32
    .language:       OpenCL C
    .language_version:
      - 2
      - 0
    .max_flat_workgroup_size: 256
    .name:           _ZN7rocprim17ROCPRIM_400000_NS6detail17trampoline_kernelINS0_14default_configENS1_20scan_config_selectorIfEEZZNS1_9scan_implILNS1_25lookback_scan_determinismE0ELb1ELb1ES3_N6thrust23THRUST_200600_302600_NS6detail15normal_iteratorINS9_10device_ptrIfEEEESE_f11max_functorIfEfEEDaPvRmT3_T4_T5_mT6_P12ihipStream_tbENKUlT_T0_E_clISt17integral_constantIbLb0EESU_EEDaSP_SQ_EUlSP_E0_NS1_11comp_targetILNS1_3genE0ELNS1_11target_archE4294967295ELNS1_3gpuE0ELNS1_3repE0EEENS1_30default_config_static_selectorELNS0_4arch9wavefront6targetE1EEEvT1_
    .private_segment_fixed_size: 0
    .sgpr_count:     4
    .sgpr_spill_count: 0
    .symbol:         _ZN7rocprim17ROCPRIM_400000_NS6detail17trampoline_kernelINS0_14default_configENS1_20scan_config_selectorIfEEZZNS1_9scan_implILNS1_25lookback_scan_determinismE0ELb1ELb1ES3_N6thrust23THRUST_200600_302600_NS6detail15normal_iteratorINS9_10device_ptrIfEEEESE_f11max_functorIfEfEEDaPvRmT3_T4_T5_mT6_P12ihipStream_tbENKUlT_T0_E_clISt17integral_constantIbLb0EESU_EEDaSP_SQ_EUlSP_E0_NS1_11comp_targetILNS1_3genE0ELNS1_11target_archE4294967295ELNS1_3gpuE0ELNS1_3repE0EEENS1_30default_config_static_selectorELNS0_4arch9wavefront6targetE1EEEvT1_.kd
    .uniform_work_group_size: 1
    .uses_dynamic_stack: false
    .vgpr_count:     0
    .vgpr_spill_count: 0
    .wavefront_size: 64
  - .agpr_count:     0
    .args:
      - .offset:         0
        .size:           32
        .value_kind:     by_value
    .group_segment_fixed_size: 0
    .kernarg_segment_align: 8
    .kernarg_segment_size: 32
    .language:       OpenCL C
    .language_version:
      - 2
      - 0
    .max_flat_workgroup_size: 256
    .name:           _ZN7rocprim17ROCPRIM_400000_NS6detail17trampoline_kernelINS0_14default_configENS1_20scan_config_selectorIfEEZZNS1_9scan_implILNS1_25lookback_scan_determinismE0ELb1ELb1ES3_N6thrust23THRUST_200600_302600_NS6detail15normal_iteratorINS9_10device_ptrIfEEEESE_f11max_functorIfEfEEDaPvRmT3_T4_T5_mT6_P12ihipStream_tbENKUlT_T0_E_clISt17integral_constantIbLb0EESU_EEDaSP_SQ_EUlSP_E0_NS1_11comp_targetILNS1_3genE5ELNS1_11target_archE942ELNS1_3gpuE9ELNS1_3repE0EEENS1_30default_config_static_selectorELNS0_4arch9wavefront6targetE1EEEvT1_
    .private_segment_fixed_size: 0
    .sgpr_count:     4
    .sgpr_spill_count: 0
    .symbol:         _ZN7rocprim17ROCPRIM_400000_NS6detail17trampoline_kernelINS0_14default_configENS1_20scan_config_selectorIfEEZZNS1_9scan_implILNS1_25lookback_scan_determinismE0ELb1ELb1ES3_N6thrust23THRUST_200600_302600_NS6detail15normal_iteratorINS9_10device_ptrIfEEEESE_f11max_functorIfEfEEDaPvRmT3_T4_T5_mT6_P12ihipStream_tbENKUlT_T0_E_clISt17integral_constantIbLb0EESU_EEDaSP_SQ_EUlSP_E0_NS1_11comp_targetILNS1_3genE5ELNS1_11target_archE942ELNS1_3gpuE9ELNS1_3repE0EEENS1_30default_config_static_selectorELNS0_4arch9wavefront6targetE1EEEvT1_.kd
    .uniform_work_group_size: 1
    .uses_dynamic_stack: false
    .vgpr_count:     0
    .vgpr_spill_count: 0
    .wavefront_size: 64
  - .agpr_count:     0
    .args:
      - .offset:         0
        .size:           32
        .value_kind:     by_value
    .group_segment_fixed_size: 7168
    .kernarg_segment_align: 8
    .kernarg_segment_size: 32
    .language:       OpenCL C
    .language_version:
      - 2
      - 0
    .max_flat_workgroup_size: 128
    .name:           _ZN7rocprim17ROCPRIM_400000_NS6detail17trampoline_kernelINS0_14default_configENS1_20scan_config_selectorIfEEZZNS1_9scan_implILNS1_25lookback_scan_determinismE0ELb1ELb1ES3_N6thrust23THRUST_200600_302600_NS6detail15normal_iteratorINS9_10device_ptrIfEEEESE_f11max_functorIfEfEEDaPvRmT3_T4_T5_mT6_P12ihipStream_tbENKUlT_T0_E_clISt17integral_constantIbLb0EESU_EEDaSP_SQ_EUlSP_E0_NS1_11comp_targetILNS1_3genE4ELNS1_11target_archE910ELNS1_3gpuE8ELNS1_3repE0EEENS1_30default_config_static_selectorELNS0_4arch9wavefront6targetE1EEEvT1_
    .private_segment_fixed_size: 0
    .sgpr_count:     44
    .sgpr_spill_count: 0
    .symbol:         _ZN7rocprim17ROCPRIM_400000_NS6detail17trampoline_kernelINS0_14default_configENS1_20scan_config_selectorIfEEZZNS1_9scan_implILNS1_25lookback_scan_determinismE0ELb1ELb1ES3_N6thrust23THRUST_200600_302600_NS6detail15normal_iteratorINS9_10device_ptrIfEEEESE_f11max_functorIfEfEEDaPvRmT3_T4_T5_mT6_P12ihipStream_tbENKUlT_T0_E_clISt17integral_constantIbLb0EESU_EEDaSP_SQ_EUlSP_E0_NS1_11comp_targetILNS1_3genE4ELNS1_11target_archE910ELNS1_3gpuE8ELNS1_3repE0EEENS1_30default_config_static_selectorELNS0_4arch9wavefront6targetE1EEEvT1_.kd
    .uniform_work_group_size: 1
    .uses_dynamic_stack: false
    .vgpr_count:     24
    .vgpr_spill_count: 0
    .wavefront_size: 64
  - .agpr_count:     0
    .args:
      - .offset:         0
        .size:           32
        .value_kind:     by_value
    .group_segment_fixed_size: 0
    .kernarg_segment_align: 8
    .kernarg_segment_size: 32
    .language:       OpenCL C
    .language_version:
      - 2
      - 0
    .max_flat_workgroup_size: 256
    .name:           _ZN7rocprim17ROCPRIM_400000_NS6detail17trampoline_kernelINS0_14default_configENS1_20scan_config_selectorIfEEZZNS1_9scan_implILNS1_25lookback_scan_determinismE0ELb1ELb1ES3_N6thrust23THRUST_200600_302600_NS6detail15normal_iteratorINS9_10device_ptrIfEEEESE_f11max_functorIfEfEEDaPvRmT3_T4_T5_mT6_P12ihipStream_tbENKUlT_T0_E_clISt17integral_constantIbLb0EESU_EEDaSP_SQ_EUlSP_E0_NS1_11comp_targetILNS1_3genE3ELNS1_11target_archE908ELNS1_3gpuE7ELNS1_3repE0EEENS1_30default_config_static_selectorELNS0_4arch9wavefront6targetE1EEEvT1_
    .private_segment_fixed_size: 0
    .sgpr_count:     4
    .sgpr_spill_count: 0
    .symbol:         _ZN7rocprim17ROCPRIM_400000_NS6detail17trampoline_kernelINS0_14default_configENS1_20scan_config_selectorIfEEZZNS1_9scan_implILNS1_25lookback_scan_determinismE0ELb1ELb1ES3_N6thrust23THRUST_200600_302600_NS6detail15normal_iteratorINS9_10device_ptrIfEEEESE_f11max_functorIfEfEEDaPvRmT3_T4_T5_mT6_P12ihipStream_tbENKUlT_T0_E_clISt17integral_constantIbLb0EESU_EEDaSP_SQ_EUlSP_E0_NS1_11comp_targetILNS1_3genE3ELNS1_11target_archE908ELNS1_3gpuE7ELNS1_3repE0EEENS1_30default_config_static_selectorELNS0_4arch9wavefront6targetE1EEEvT1_.kd
    .uniform_work_group_size: 1
    .uses_dynamic_stack: false
    .vgpr_count:     0
    .vgpr_spill_count: 0
    .wavefront_size: 64
  - .agpr_count:     0
    .args:
      - .offset:         0
        .size:           32
        .value_kind:     by_value
    .group_segment_fixed_size: 0
    .kernarg_segment_align: 8
    .kernarg_segment_size: 32
    .language:       OpenCL C
    .language_version:
      - 2
      - 0
    .max_flat_workgroup_size: 256
    .name:           _ZN7rocprim17ROCPRIM_400000_NS6detail17trampoline_kernelINS0_14default_configENS1_20scan_config_selectorIfEEZZNS1_9scan_implILNS1_25lookback_scan_determinismE0ELb1ELb1ES3_N6thrust23THRUST_200600_302600_NS6detail15normal_iteratorINS9_10device_ptrIfEEEESE_f11max_functorIfEfEEDaPvRmT3_T4_T5_mT6_P12ihipStream_tbENKUlT_T0_E_clISt17integral_constantIbLb0EESU_EEDaSP_SQ_EUlSP_E0_NS1_11comp_targetILNS1_3genE2ELNS1_11target_archE906ELNS1_3gpuE6ELNS1_3repE0EEENS1_30default_config_static_selectorELNS0_4arch9wavefront6targetE1EEEvT1_
    .private_segment_fixed_size: 0
    .sgpr_count:     4
    .sgpr_spill_count: 0
    .symbol:         _ZN7rocprim17ROCPRIM_400000_NS6detail17trampoline_kernelINS0_14default_configENS1_20scan_config_selectorIfEEZZNS1_9scan_implILNS1_25lookback_scan_determinismE0ELb1ELb1ES3_N6thrust23THRUST_200600_302600_NS6detail15normal_iteratorINS9_10device_ptrIfEEEESE_f11max_functorIfEfEEDaPvRmT3_T4_T5_mT6_P12ihipStream_tbENKUlT_T0_E_clISt17integral_constantIbLb0EESU_EEDaSP_SQ_EUlSP_E0_NS1_11comp_targetILNS1_3genE2ELNS1_11target_archE906ELNS1_3gpuE6ELNS1_3repE0EEENS1_30default_config_static_selectorELNS0_4arch9wavefront6targetE1EEEvT1_.kd
    .uniform_work_group_size: 1
    .uses_dynamic_stack: false
    .vgpr_count:     0
    .vgpr_spill_count: 0
    .wavefront_size: 64
  - .agpr_count:     0
    .args:
      - .offset:         0
        .size:           32
        .value_kind:     by_value
    .group_segment_fixed_size: 0
    .kernarg_segment_align: 8
    .kernarg_segment_size: 32
    .language:       OpenCL C
    .language_version:
      - 2
      - 0
    .max_flat_workgroup_size: 256
    .name:           _ZN7rocprim17ROCPRIM_400000_NS6detail17trampoline_kernelINS0_14default_configENS1_20scan_config_selectorIfEEZZNS1_9scan_implILNS1_25lookback_scan_determinismE0ELb1ELb1ES3_N6thrust23THRUST_200600_302600_NS6detail15normal_iteratorINS9_10device_ptrIfEEEESE_f11max_functorIfEfEEDaPvRmT3_T4_T5_mT6_P12ihipStream_tbENKUlT_T0_E_clISt17integral_constantIbLb0EESU_EEDaSP_SQ_EUlSP_E0_NS1_11comp_targetILNS1_3genE10ELNS1_11target_archE1201ELNS1_3gpuE5ELNS1_3repE0EEENS1_30default_config_static_selectorELNS0_4arch9wavefront6targetE1EEEvT1_
    .private_segment_fixed_size: 0
    .sgpr_count:     4
    .sgpr_spill_count: 0
    .symbol:         _ZN7rocprim17ROCPRIM_400000_NS6detail17trampoline_kernelINS0_14default_configENS1_20scan_config_selectorIfEEZZNS1_9scan_implILNS1_25lookback_scan_determinismE0ELb1ELb1ES3_N6thrust23THRUST_200600_302600_NS6detail15normal_iteratorINS9_10device_ptrIfEEEESE_f11max_functorIfEfEEDaPvRmT3_T4_T5_mT6_P12ihipStream_tbENKUlT_T0_E_clISt17integral_constantIbLb0EESU_EEDaSP_SQ_EUlSP_E0_NS1_11comp_targetILNS1_3genE10ELNS1_11target_archE1201ELNS1_3gpuE5ELNS1_3repE0EEENS1_30default_config_static_selectorELNS0_4arch9wavefront6targetE1EEEvT1_.kd
    .uniform_work_group_size: 1
    .uses_dynamic_stack: false
    .vgpr_count:     0
    .vgpr_spill_count: 0
    .wavefront_size: 64
  - .agpr_count:     0
    .args:
      - .offset:         0
        .size:           32
        .value_kind:     by_value
    .group_segment_fixed_size: 0
    .kernarg_segment_align: 8
    .kernarg_segment_size: 32
    .language:       OpenCL C
    .language_version:
      - 2
      - 0
    .max_flat_workgroup_size: 256
    .name:           _ZN7rocprim17ROCPRIM_400000_NS6detail17trampoline_kernelINS0_14default_configENS1_20scan_config_selectorIfEEZZNS1_9scan_implILNS1_25lookback_scan_determinismE0ELb1ELb1ES3_N6thrust23THRUST_200600_302600_NS6detail15normal_iteratorINS9_10device_ptrIfEEEESE_f11max_functorIfEfEEDaPvRmT3_T4_T5_mT6_P12ihipStream_tbENKUlT_T0_E_clISt17integral_constantIbLb0EESU_EEDaSP_SQ_EUlSP_E0_NS1_11comp_targetILNS1_3genE10ELNS1_11target_archE1200ELNS1_3gpuE4ELNS1_3repE0EEENS1_30default_config_static_selectorELNS0_4arch9wavefront6targetE1EEEvT1_
    .private_segment_fixed_size: 0
    .sgpr_count:     4
    .sgpr_spill_count: 0
    .symbol:         _ZN7rocprim17ROCPRIM_400000_NS6detail17trampoline_kernelINS0_14default_configENS1_20scan_config_selectorIfEEZZNS1_9scan_implILNS1_25lookback_scan_determinismE0ELb1ELb1ES3_N6thrust23THRUST_200600_302600_NS6detail15normal_iteratorINS9_10device_ptrIfEEEESE_f11max_functorIfEfEEDaPvRmT3_T4_T5_mT6_P12ihipStream_tbENKUlT_T0_E_clISt17integral_constantIbLb0EESU_EEDaSP_SQ_EUlSP_E0_NS1_11comp_targetILNS1_3genE10ELNS1_11target_archE1200ELNS1_3gpuE4ELNS1_3repE0EEENS1_30default_config_static_selectorELNS0_4arch9wavefront6targetE1EEEvT1_.kd
    .uniform_work_group_size: 1
    .uses_dynamic_stack: false
    .vgpr_count:     0
    .vgpr_spill_count: 0
    .wavefront_size: 64
  - .agpr_count:     0
    .args:
      - .offset:         0
        .size:           32
        .value_kind:     by_value
    .group_segment_fixed_size: 0
    .kernarg_segment_align: 8
    .kernarg_segment_size: 32
    .language:       OpenCL C
    .language_version:
      - 2
      - 0
    .max_flat_workgroup_size: 256
    .name:           _ZN7rocprim17ROCPRIM_400000_NS6detail17trampoline_kernelINS0_14default_configENS1_20scan_config_selectorIfEEZZNS1_9scan_implILNS1_25lookback_scan_determinismE0ELb1ELb1ES3_N6thrust23THRUST_200600_302600_NS6detail15normal_iteratorINS9_10device_ptrIfEEEESE_f11max_functorIfEfEEDaPvRmT3_T4_T5_mT6_P12ihipStream_tbENKUlT_T0_E_clISt17integral_constantIbLb0EESU_EEDaSP_SQ_EUlSP_E0_NS1_11comp_targetILNS1_3genE9ELNS1_11target_archE1100ELNS1_3gpuE3ELNS1_3repE0EEENS1_30default_config_static_selectorELNS0_4arch9wavefront6targetE1EEEvT1_
    .private_segment_fixed_size: 0
    .sgpr_count:     4
    .sgpr_spill_count: 0
    .symbol:         _ZN7rocprim17ROCPRIM_400000_NS6detail17trampoline_kernelINS0_14default_configENS1_20scan_config_selectorIfEEZZNS1_9scan_implILNS1_25lookback_scan_determinismE0ELb1ELb1ES3_N6thrust23THRUST_200600_302600_NS6detail15normal_iteratorINS9_10device_ptrIfEEEESE_f11max_functorIfEfEEDaPvRmT3_T4_T5_mT6_P12ihipStream_tbENKUlT_T0_E_clISt17integral_constantIbLb0EESU_EEDaSP_SQ_EUlSP_E0_NS1_11comp_targetILNS1_3genE9ELNS1_11target_archE1100ELNS1_3gpuE3ELNS1_3repE0EEENS1_30default_config_static_selectorELNS0_4arch9wavefront6targetE1EEEvT1_.kd
    .uniform_work_group_size: 1
    .uses_dynamic_stack: false
    .vgpr_count:     0
    .vgpr_spill_count: 0
    .wavefront_size: 64
  - .agpr_count:     0
    .args:
      - .offset:         0
        .size:           32
        .value_kind:     by_value
    .group_segment_fixed_size: 0
    .kernarg_segment_align: 8
    .kernarg_segment_size: 32
    .language:       OpenCL C
    .language_version:
      - 2
      - 0
    .max_flat_workgroup_size: 64
    .name:           _ZN7rocprim17ROCPRIM_400000_NS6detail17trampoline_kernelINS0_14default_configENS1_20scan_config_selectorIfEEZZNS1_9scan_implILNS1_25lookback_scan_determinismE0ELb1ELb1ES3_N6thrust23THRUST_200600_302600_NS6detail15normal_iteratorINS9_10device_ptrIfEEEESE_f11max_functorIfEfEEDaPvRmT3_T4_T5_mT6_P12ihipStream_tbENKUlT_T0_E_clISt17integral_constantIbLb0EESU_EEDaSP_SQ_EUlSP_E0_NS1_11comp_targetILNS1_3genE8ELNS1_11target_archE1030ELNS1_3gpuE2ELNS1_3repE0EEENS1_30default_config_static_selectorELNS0_4arch9wavefront6targetE1EEEvT1_
    .private_segment_fixed_size: 0
    .sgpr_count:     4
    .sgpr_spill_count: 0
    .symbol:         _ZN7rocprim17ROCPRIM_400000_NS6detail17trampoline_kernelINS0_14default_configENS1_20scan_config_selectorIfEEZZNS1_9scan_implILNS1_25lookback_scan_determinismE0ELb1ELb1ES3_N6thrust23THRUST_200600_302600_NS6detail15normal_iteratorINS9_10device_ptrIfEEEESE_f11max_functorIfEfEEDaPvRmT3_T4_T5_mT6_P12ihipStream_tbENKUlT_T0_E_clISt17integral_constantIbLb0EESU_EEDaSP_SQ_EUlSP_E0_NS1_11comp_targetILNS1_3genE8ELNS1_11target_archE1030ELNS1_3gpuE2ELNS1_3repE0EEENS1_30default_config_static_selectorELNS0_4arch9wavefront6targetE1EEEvT1_.kd
    .uniform_work_group_size: 1
    .uses_dynamic_stack: false
    .vgpr_count:     0
    .vgpr_spill_count: 0
    .wavefront_size: 64
  - .agpr_count:     0
    .args:
      - .offset:         0
        .size:           96
        .value_kind:     by_value
    .group_segment_fixed_size: 0
    .kernarg_segment_align: 8
    .kernarg_segment_size: 96
    .language:       OpenCL C
    .language_version:
      - 2
      - 0
    .max_flat_workgroup_size: 256
    .name:           _ZN7rocprim17ROCPRIM_400000_NS6detail17trampoline_kernelINS0_14default_configENS1_20scan_config_selectorIfEEZZNS1_9scan_implILNS1_25lookback_scan_determinismE0ELb1ELb1ES3_N6thrust23THRUST_200600_302600_NS6detail15normal_iteratorINS9_10device_ptrIfEEEESE_f11max_functorIfEfEEDaPvRmT3_T4_T5_mT6_P12ihipStream_tbENKUlT_T0_E_clISt17integral_constantIbLb1EESU_EEDaSP_SQ_EUlSP_E_NS1_11comp_targetILNS1_3genE0ELNS1_11target_archE4294967295ELNS1_3gpuE0ELNS1_3repE0EEENS1_30default_config_static_selectorELNS0_4arch9wavefront6targetE1EEEvT1_
    .private_segment_fixed_size: 0
    .sgpr_count:     4
    .sgpr_spill_count: 0
    .symbol:         _ZN7rocprim17ROCPRIM_400000_NS6detail17trampoline_kernelINS0_14default_configENS1_20scan_config_selectorIfEEZZNS1_9scan_implILNS1_25lookback_scan_determinismE0ELb1ELb1ES3_N6thrust23THRUST_200600_302600_NS6detail15normal_iteratorINS9_10device_ptrIfEEEESE_f11max_functorIfEfEEDaPvRmT3_T4_T5_mT6_P12ihipStream_tbENKUlT_T0_E_clISt17integral_constantIbLb1EESU_EEDaSP_SQ_EUlSP_E_NS1_11comp_targetILNS1_3genE0ELNS1_11target_archE4294967295ELNS1_3gpuE0ELNS1_3repE0EEENS1_30default_config_static_selectorELNS0_4arch9wavefront6targetE1EEEvT1_.kd
    .uniform_work_group_size: 1
    .uses_dynamic_stack: false
    .vgpr_count:     0
    .vgpr_spill_count: 0
    .wavefront_size: 64
  - .agpr_count:     0
    .args:
      - .offset:         0
        .size:           96
        .value_kind:     by_value
    .group_segment_fixed_size: 0
    .kernarg_segment_align: 8
    .kernarg_segment_size: 96
    .language:       OpenCL C
    .language_version:
      - 2
      - 0
    .max_flat_workgroup_size: 256
    .name:           _ZN7rocprim17ROCPRIM_400000_NS6detail17trampoline_kernelINS0_14default_configENS1_20scan_config_selectorIfEEZZNS1_9scan_implILNS1_25lookback_scan_determinismE0ELb1ELb1ES3_N6thrust23THRUST_200600_302600_NS6detail15normal_iteratorINS9_10device_ptrIfEEEESE_f11max_functorIfEfEEDaPvRmT3_T4_T5_mT6_P12ihipStream_tbENKUlT_T0_E_clISt17integral_constantIbLb1EESU_EEDaSP_SQ_EUlSP_E_NS1_11comp_targetILNS1_3genE5ELNS1_11target_archE942ELNS1_3gpuE9ELNS1_3repE0EEENS1_30default_config_static_selectorELNS0_4arch9wavefront6targetE1EEEvT1_
    .private_segment_fixed_size: 0
    .sgpr_count:     4
    .sgpr_spill_count: 0
    .symbol:         _ZN7rocprim17ROCPRIM_400000_NS6detail17trampoline_kernelINS0_14default_configENS1_20scan_config_selectorIfEEZZNS1_9scan_implILNS1_25lookback_scan_determinismE0ELb1ELb1ES3_N6thrust23THRUST_200600_302600_NS6detail15normal_iteratorINS9_10device_ptrIfEEEESE_f11max_functorIfEfEEDaPvRmT3_T4_T5_mT6_P12ihipStream_tbENKUlT_T0_E_clISt17integral_constantIbLb1EESU_EEDaSP_SQ_EUlSP_E_NS1_11comp_targetILNS1_3genE5ELNS1_11target_archE942ELNS1_3gpuE9ELNS1_3repE0EEENS1_30default_config_static_selectorELNS0_4arch9wavefront6targetE1EEEvT1_.kd
    .uniform_work_group_size: 1
    .uses_dynamic_stack: false
    .vgpr_count:     0
    .vgpr_spill_count: 0
    .wavefront_size: 64
  - .agpr_count:     0
    .args:
      - .offset:         0
        .size:           96
        .value_kind:     by_value
    .group_segment_fixed_size: 7168
    .kernarg_segment_align: 8
    .kernarg_segment_size: 96
    .language:       OpenCL C
    .language_version:
      - 2
      - 0
    .max_flat_workgroup_size: 128
    .name:           _ZN7rocprim17ROCPRIM_400000_NS6detail17trampoline_kernelINS0_14default_configENS1_20scan_config_selectorIfEEZZNS1_9scan_implILNS1_25lookback_scan_determinismE0ELb1ELb1ES3_N6thrust23THRUST_200600_302600_NS6detail15normal_iteratorINS9_10device_ptrIfEEEESE_f11max_functorIfEfEEDaPvRmT3_T4_T5_mT6_P12ihipStream_tbENKUlT_T0_E_clISt17integral_constantIbLb1EESU_EEDaSP_SQ_EUlSP_E_NS1_11comp_targetILNS1_3genE4ELNS1_11target_archE910ELNS1_3gpuE8ELNS1_3repE0EEENS1_30default_config_static_selectorELNS0_4arch9wavefront6targetE1EEEvT1_
    .private_segment_fixed_size: 0
    .sgpr_count:     46
    .sgpr_spill_count: 0
    .symbol:         _ZN7rocprim17ROCPRIM_400000_NS6detail17trampoline_kernelINS0_14default_configENS1_20scan_config_selectorIfEEZZNS1_9scan_implILNS1_25lookback_scan_determinismE0ELb1ELb1ES3_N6thrust23THRUST_200600_302600_NS6detail15normal_iteratorINS9_10device_ptrIfEEEESE_f11max_functorIfEfEEDaPvRmT3_T4_T5_mT6_P12ihipStream_tbENKUlT_T0_E_clISt17integral_constantIbLb1EESU_EEDaSP_SQ_EUlSP_E_NS1_11comp_targetILNS1_3genE4ELNS1_11target_archE910ELNS1_3gpuE8ELNS1_3repE0EEENS1_30default_config_static_selectorELNS0_4arch9wavefront6targetE1EEEvT1_.kd
    .uniform_work_group_size: 1
    .uses_dynamic_stack: false
    .vgpr_count:     44
    .vgpr_spill_count: 0
    .wavefront_size: 64
  - .agpr_count:     0
    .args:
      - .offset:         0
        .size:           96
        .value_kind:     by_value
    .group_segment_fixed_size: 0
    .kernarg_segment_align: 8
    .kernarg_segment_size: 96
    .language:       OpenCL C
    .language_version:
      - 2
      - 0
    .max_flat_workgroup_size: 256
    .name:           _ZN7rocprim17ROCPRIM_400000_NS6detail17trampoline_kernelINS0_14default_configENS1_20scan_config_selectorIfEEZZNS1_9scan_implILNS1_25lookback_scan_determinismE0ELb1ELb1ES3_N6thrust23THRUST_200600_302600_NS6detail15normal_iteratorINS9_10device_ptrIfEEEESE_f11max_functorIfEfEEDaPvRmT3_T4_T5_mT6_P12ihipStream_tbENKUlT_T0_E_clISt17integral_constantIbLb1EESU_EEDaSP_SQ_EUlSP_E_NS1_11comp_targetILNS1_3genE3ELNS1_11target_archE908ELNS1_3gpuE7ELNS1_3repE0EEENS1_30default_config_static_selectorELNS0_4arch9wavefront6targetE1EEEvT1_
    .private_segment_fixed_size: 0
    .sgpr_count:     4
    .sgpr_spill_count: 0
    .symbol:         _ZN7rocprim17ROCPRIM_400000_NS6detail17trampoline_kernelINS0_14default_configENS1_20scan_config_selectorIfEEZZNS1_9scan_implILNS1_25lookback_scan_determinismE0ELb1ELb1ES3_N6thrust23THRUST_200600_302600_NS6detail15normal_iteratorINS9_10device_ptrIfEEEESE_f11max_functorIfEfEEDaPvRmT3_T4_T5_mT6_P12ihipStream_tbENKUlT_T0_E_clISt17integral_constantIbLb1EESU_EEDaSP_SQ_EUlSP_E_NS1_11comp_targetILNS1_3genE3ELNS1_11target_archE908ELNS1_3gpuE7ELNS1_3repE0EEENS1_30default_config_static_selectorELNS0_4arch9wavefront6targetE1EEEvT1_.kd
    .uniform_work_group_size: 1
    .uses_dynamic_stack: false
    .vgpr_count:     0
    .vgpr_spill_count: 0
    .wavefront_size: 64
  - .agpr_count:     0
    .args:
      - .offset:         0
        .size:           96
        .value_kind:     by_value
    .group_segment_fixed_size: 0
    .kernarg_segment_align: 8
    .kernarg_segment_size: 96
    .language:       OpenCL C
    .language_version:
      - 2
      - 0
    .max_flat_workgroup_size: 256
    .name:           _ZN7rocprim17ROCPRIM_400000_NS6detail17trampoline_kernelINS0_14default_configENS1_20scan_config_selectorIfEEZZNS1_9scan_implILNS1_25lookback_scan_determinismE0ELb1ELb1ES3_N6thrust23THRUST_200600_302600_NS6detail15normal_iteratorINS9_10device_ptrIfEEEESE_f11max_functorIfEfEEDaPvRmT3_T4_T5_mT6_P12ihipStream_tbENKUlT_T0_E_clISt17integral_constantIbLb1EESU_EEDaSP_SQ_EUlSP_E_NS1_11comp_targetILNS1_3genE2ELNS1_11target_archE906ELNS1_3gpuE6ELNS1_3repE0EEENS1_30default_config_static_selectorELNS0_4arch9wavefront6targetE1EEEvT1_
    .private_segment_fixed_size: 0
    .sgpr_count:     4
    .sgpr_spill_count: 0
    .symbol:         _ZN7rocprim17ROCPRIM_400000_NS6detail17trampoline_kernelINS0_14default_configENS1_20scan_config_selectorIfEEZZNS1_9scan_implILNS1_25lookback_scan_determinismE0ELb1ELb1ES3_N6thrust23THRUST_200600_302600_NS6detail15normal_iteratorINS9_10device_ptrIfEEEESE_f11max_functorIfEfEEDaPvRmT3_T4_T5_mT6_P12ihipStream_tbENKUlT_T0_E_clISt17integral_constantIbLb1EESU_EEDaSP_SQ_EUlSP_E_NS1_11comp_targetILNS1_3genE2ELNS1_11target_archE906ELNS1_3gpuE6ELNS1_3repE0EEENS1_30default_config_static_selectorELNS0_4arch9wavefront6targetE1EEEvT1_.kd
    .uniform_work_group_size: 1
    .uses_dynamic_stack: false
    .vgpr_count:     0
    .vgpr_spill_count: 0
    .wavefront_size: 64
  - .agpr_count:     0
    .args:
      - .offset:         0
        .size:           96
        .value_kind:     by_value
    .group_segment_fixed_size: 0
    .kernarg_segment_align: 8
    .kernarg_segment_size: 96
    .language:       OpenCL C
    .language_version:
      - 2
      - 0
    .max_flat_workgroup_size: 256
    .name:           _ZN7rocprim17ROCPRIM_400000_NS6detail17trampoline_kernelINS0_14default_configENS1_20scan_config_selectorIfEEZZNS1_9scan_implILNS1_25lookback_scan_determinismE0ELb1ELb1ES3_N6thrust23THRUST_200600_302600_NS6detail15normal_iteratorINS9_10device_ptrIfEEEESE_f11max_functorIfEfEEDaPvRmT3_T4_T5_mT6_P12ihipStream_tbENKUlT_T0_E_clISt17integral_constantIbLb1EESU_EEDaSP_SQ_EUlSP_E_NS1_11comp_targetILNS1_3genE10ELNS1_11target_archE1201ELNS1_3gpuE5ELNS1_3repE0EEENS1_30default_config_static_selectorELNS0_4arch9wavefront6targetE1EEEvT1_
    .private_segment_fixed_size: 0
    .sgpr_count:     4
    .sgpr_spill_count: 0
    .symbol:         _ZN7rocprim17ROCPRIM_400000_NS6detail17trampoline_kernelINS0_14default_configENS1_20scan_config_selectorIfEEZZNS1_9scan_implILNS1_25lookback_scan_determinismE0ELb1ELb1ES3_N6thrust23THRUST_200600_302600_NS6detail15normal_iteratorINS9_10device_ptrIfEEEESE_f11max_functorIfEfEEDaPvRmT3_T4_T5_mT6_P12ihipStream_tbENKUlT_T0_E_clISt17integral_constantIbLb1EESU_EEDaSP_SQ_EUlSP_E_NS1_11comp_targetILNS1_3genE10ELNS1_11target_archE1201ELNS1_3gpuE5ELNS1_3repE0EEENS1_30default_config_static_selectorELNS0_4arch9wavefront6targetE1EEEvT1_.kd
    .uniform_work_group_size: 1
    .uses_dynamic_stack: false
    .vgpr_count:     0
    .vgpr_spill_count: 0
    .wavefront_size: 64
  - .agpr_count:     0
    .args:
      - .offset:         0
        .size:           96
        .value_kind:     by_value
    .group_segment_fixed_size: 0
    .kernarg_segment_align: 8
    .kernarg_segment_size: 96
    .language:       OpenCL C
    .language_version:
      - 2
      - 0
    .max_flat_workgroup_size: 256
    .name:           _ZN7rocprim17ROCPRIM_400000_NS6detail17trampoline_kernelINS0_14default_configENS1_20scan_config_selectorIfEEZZNS1_9scan_implILNS1_25lookback_scan_determinismE0ELb1ELb1ES3_N6thrust23THRUST_200600_302600_NS6detail15normal_iteratorINS9_10device_ptrIfEEEESE_f11max_functorIfEfEEDaPvRmT3_T4_T5_mT6_P12ihipStream_tbENKUlT_T0_E_clISt17integral_constantIbLb1EESU_EEDaSP_SQ_EUlSP_E_NS1_11comp_targetILNS1_3genE10ELNS1_11target_archE1200ELNS1_3gpuE4ELNS1_3repE0EEENS1_30default_config_static_selectorELNS0_4arch9wavefront6targetE1EEEvT1_
    .private_segment_fixed_size: 0
    .sgpr_count:     4
    .sgpr_spill_count: 0
    .symbol:         _ZN7rocprim17ROCPRIM_400000_NS6detail17trampoline_kernelINS0_14default_configENS1_20scan_config_selectorIfEEZZNS1_9scan_implILNS1_25lookback_scan_determinismE0ELb1ELb1ES3_N6thrust23THRUST_200600_302600_NS6detail15normal_iteratorINS9_10device_ptrIfEEEESE_f11max_functorIfEfEEDaPvRmT3_T4_T5_mT6_P12ihipStream_tbENKUlT_T0_E_clISt17integral_constantIbLb1EESU_EEDaSP_SQ_EUlSP_E_NS1_11comp_targetILNS1_3genE10ELNS1_11target_archE1200ELNS1_3gpuE4ELNS1_3repE0EEENS1_30default_config_static_selectorELNS0_4arch9wavefront6targetE1EEEvT1_.kd
    .uniform_work_group_size: 1
    .uses_dynamic_stack: false
    .vgpr_count:     0
    .vgpr_spill_count: 0
    .wavefront_size: 64
  - .agpr_count:     0
    .args:
      - .offset:         0
        .size:           96
        .value_kind:     by_value
    .group_segment_fixed_size: 0
    .kernarg_segment_align: 8
    .kernarg_segment_size: 96
    .language:       OpenCL C
    .language_version:
      - 2
      - 0
    .max_flat_workgroup_size: 256
    .name:           _ZN7rocprim17ROCPRIM_400000_NS6detail17trampoline_kernelINS0_14default_configENS1_20scan_config_selectorIfEEZZNS1_9scan_implILNS1_25lookback_scan_determinismE0ELb1ELb1ES3_N6thrust23THRUST_200600_302600_NS6detail15normal_iteratorINS9_10device_ptrIfEEEESE_f11max_functorIfEfEEDaPvRmT3_T4_T5_mT6_P12ihipStream_tbENKUlT_T0_E_clISt17integral_constantIbLb1EESU_EEDaSP_SQ_EUlSP_E_NS1_11comp_targetILNS1_3genE9ELNS1_11target_archE1100ELNS1_3gpuE3ELNS1_3repE0EEENS1_30default_config_static_selectorELNS0_4arch9wavefront6targetE1EEEvT1_
    .private_segment_fixed_size: 0
    .sgpr_count:     4
    .sgpr_spill_count: 0
    .symbol:         _ZN7rocprim17ROCPRIM_400000_NS6detail17trampoline_kernelINS0_14default_configENS1_20scan_config_selectorIfEEZZNS1_9scan_implILNS1_25lookback_scan_determinismE0ELb1ELb1ES3_N6thrust23THRUST_200600_302600_NS6detail15normal_iteratorINS9_10device_ptrIfEEEESE_f11max_functorIfEfEEDaPvRmT3_T4_T5_mT6_P12ihipStream_tbENKUlT_T0_E_clISt17integral_constantIbLb1EESU_EEDaSP_SQ_EUlSP_E_NS1_11comp_targetILNS1_3genE9ELNS1_11target_archE1100ELNS1_3gpuE3ELNS1_3repE0EEENS1_30default_config_static_selectorELNS0_4arch9wavefront6targetE1EEEvT1_.kd
    .uniform_work_group_size: 1
    .uses_dynamic_stack: false
    .vgpr_count:     0
    .vgpr_spill_count: 0
    .wavefront_size: 64
  - .agpr_count:     0
    .args:
      - .offset:         0
        .size:           96
        .value_kind:     by_value
    .group_segment_fixed_size: 0
    .kernarg_segment_align: 8
    .kernarg_segment_size: 96
    .language:       OpenCL C
    .language_version:
      - 2
      - 0
    .max_flat_workgroup_size: 64
    .name:           _ZN7rocprim17ROCPRIM_400000_NS6detail17trampoline_kernelINS0_14default_configENS1_20scan_config_selectorIfEEZZNS1_9scan_implILNS1_25lookback_scan_determinismE0ELb1ELb1ES3_N6thrust23THRUST_200600_302600_NS6detail15normal_iteratorINS9_10device_ptrIfEEEESE_f11max_functorIfEfEEDaPvRmT3_T4_T5_mT6_P12ihipStream_tbENKUlT_T0_E_clISt17integral_constantIbLb1EESU_EEDaSP_SQ_EUlSP_E_NS1_11comp_targetILNS1_3genE8ELNS1_11target_archE1030ELNS1_3gpuE2ELNS1_3repE0EEENS1_30default_config_static_selectorELNS0_4arch9wavefront6targetE1EEEvT1_
    .private_segment_fixed_size: 0
    .sgpr_count:     4
    .sgpr_spill_count: 0
    .symbol:         _ZN7rocprim17ROCPRIM_400000_NS6detail17trampoline_kernelINS0_14default_configENS1_20scan_config_selectorIfEEZZNS1_9scan_implILNS1_25lookback_scan_determinismE0ELb1ELb1ES3_N6thrust23THRUST_200600_302600_NS6detail15normal_iteratorINS9_10device_ptrIfEEEESE_f11max_functorIfEfEEDaPvRmT3_T4_T5_mT6_P12ihipStream_tbENKUlT_T0_E_clISt17integral_constantIbLb1EESU_EEDaSP_SQ_EUlSP_E_NS1_11comp_targetILNS1_3genE8ELNS1_11target_archE1030ELNS1_3gpuE2ELNS1_3repE0EEENS1_30default_config_static_selectorELNS0_4arch9wavefront6targetE1EEEvT1_.kd
    .uniform_work_group_size: 1
    .uses_dynamic_stack: false
    .vgpr_count:     0
    .vgpr_spill_count: 0
    .wavefront_size: 64
  - .agpr_count:     0
    .args:
      - .offset:         0
        .size:           32
        .value_kind:     by_value
    .group_segment_fixed_size: 0
    .kernarg_segment_align: 8
    .kernarg_segment_size: 32
    .language:       OpenCL C
    .language_version:
      - 2
      - 0
    .max_flat_workgroup_size: 256
    .name:           _ZN7rocprim17ROCPRIM_400000_NS6detail17trampoline_kernelINS0_14default_configENS1_20scan_config_selectorIfEEZZNS1_9scan_implILNS1_25lookback_scan_determinismE0ELb1ELb1ES3_N6thrust23THRUST_200600_302600_NS6detail15normal_iteratorINS9_10device_ptrIfEEEESE_f11max_functorIfEfEEDaPvRmT3_T4_T5_mT6_P12ihipStream_tbENKUlT_T0_E_clISt17integral_constantIbLb1EESU_EEDaSP_SQ_EUlSP_E0_NS1_11comp_targetILNS1_3genE0ELNS1_11target_archE4294967295ELNS1_3gpuE0ELNS1_3repE0EEENS1_30default_config_static_selectorELNS0_4arch9wavefront6targetE1EEEvT1_
    .private_segment_fixed_size: 0
    .sgpr_count:     4
    .sgpr_spill_count: 0
    .symbol:         _ZN7rocprim17ROCPRIM_400000_NS6detail17trampoline_kernelINS0_14default_configENS1_20scan_config_selectorIfEEZZNS1_9scan_implILNS1_25lookback_scan_determinismE0ELb1ELb1ES3_N6thrust23THRUST_200600_302600_NS6detail15normal_iteratorINS9_10device_ptrIfEEEESE_f11max_functorIfEfEEDaPvRmT3_T4_T5_mT6_P12ihipStream_tbENKUlT_T0_E_clISt17integral_constantIbLb1EESU_EEDaSP_SQ_EUlSP_E0_NS1_11comp_targetILNS1_3genE0ELNS1_11target_archE4294967295ELNS1_3gpuE0ELNS1_3repE0EEENS1_30default_config_static_selectorELNS0_4arch9wavefront6targetE1EEEvT1_.kd
    .uniform_work_group_size: 1
    .uses_dynamic_stack: false
    .vgpr_count:     0
    .vgpr_spill_count: 0
    .wavefront_size: 64
  - .agpr_count:     0
    .args:
      - .offset:         0
        .size:           32
        .value_kind:     by_value
    .group_segment_fixed_size: 0
    .kernarg_segment_align: 8
    .kernarg_segment_size: 32
    .language:       OpenCL C
    .language_version:
      - 2
      - 0
    .max_flat_workgroup_size: 256
    .name:           _ZN7rocprim17ROCPRIM_400000_NS6detail17trampoline_kernelINS0_14default_configENS1_20scan_config_selectorIfEEZZNS1_9scan_implILNS1_25lookback_scan_determinismE0ELb1ELb1ES3_N6thrust23THRUST_200600_302600_NS6detail15normal_iteratorINS9_10device_ptrIfEEEESE_f11max_functorIfEfEEDaPvRmT3_T4_T5_mT6_P12ihipStream_tbENKUlT_T0_E_clISt17integral_constantIbLb1EESU_EEDaSP_SQ_EUlSP_E0_NS1_11comp_targetILNS1_3genE5ELNS1_11target_archE942ELNS1_3gpuE9ELNS1_3repE0EEENS1_30default_config_static_selectorELNS0_4arch9wavefront6targetE1EEEvT1_
    .private_segment_fixed_size: 0
    .sgpr_count:     4
    .sgpr_spill_count: 0
    .symbol:         _ZN7rocprim17ROCPRIM_400000_NS6detail17trampoline_kernelINS0_14default_configENS1_20scan_config_selectorIfEEZZNS1_9scan_implILNS1_25lookback_scan_determinismE0ELb1ELb1ES3_N6thrust23THRUST_200600_302600_NS6detail15normal_iteratorINS9_10device_ptrIfEEEESE_f11max_functorIfEfEEDaPvRmT3_T4_T5_mT6_P12ihipStream_tbENKUlT_T0_E_clISt17integral_constantIbLb1EESU_EEDaSP_SQ_EUlSP_E0_NS1_11comp_targetILNS1_3genE5ELNS1_11target_archE942ELNS1_3gpuE9ELNS1_3repE0EEENS1_30default_config_static_selectorELNS0_4arch9wavefront6targetE1EEEvT1_.kd
    .uniform_work_group_size: 1
    .uses_dynamic_stack: false
    .vgpr_count:     0
    .vgpr_spill_count: 0
    .wavefront_size: 64
  - .agpr_count:     0
    .args:
      - .offset:         0
        .size:           32
        .value_kind:     by_value
    .group_segment_fixed_size: 7168
    .kernarg_segment_align: 8
    .kernarg_segment_size: 32
    .language:       OpenCL C
    .language_version:
      - 2
      - 0
    .max_flat_workgroup_size: 128
    .name:           _ZN7rocprim17ROCPRIM_400000_NS6detail17trampoline_kernelINS0_14default_configENS1_20scan_config_selectorIfEEZZNS1_9scan_implILNS1_25lookback_scan_determinismE0ELb1ELb1ES3_N6thrust23THRUST_200600_302600_NS6detail15normal_iteratorINS9_10device_ptrIfEEEESE_f11max_functorIfEfEEDaPvRmT3_T4_T5_mT6_P12ihipStream_tbENKUlT_T0_E_clISt17integral_constantIbLb1EESU_EEDaSP_SQ_EUlSP_E0_NS1_11comp_targetILNS1_3genE4ELNS1_11target_archE910ELNS1_3gpuE8ELNS1_3repE0EEENS1_30default_config_static_selectorELNS0_4arch9wavefront6targetE1EEEvT1_
    .private_segment_fixed_size: 0
    .sgpr_count:     44
    .sgpr_spill_count: 0
    .symbol:         _ZN7rocprim17ROCPRIM_400000_NS6detail17trampoline_kernelINS0_14default_configENS1_20scan_config_selectorIfEEZZNS1_9scan_implILNS1_25lookback_scan_determinismE0ELb1ELb1ES3_N6thrust23THRUST_200600_302600_NS6detail15normal_iteratorINS9_10device_ptrIfEEEESE_f11max_functorIfEfEEDaPvRmT3_T4_T5_mT6_P12ihipStream_tbENKUlT_T0_E_clISt17integral_constantIbLb1EESU_EEDaSP_SQ_EUlSP_E0_NS1_11comp_targetILNS1_3genE4ELNS1_11target_archE910ELNS1_3gpuE8ELNS1_3repE0EEENS1_30default_config_static_selectorELNS0_4arch9wavefront6targetE1EEEvT1_.kd
    .uniform_work_group_size: 1
    .uses_dynamic_stack: false
    .vgpr_count:     24
    .vgpr_spill_count: 0
    .wavefront_size: 64
  - .agpr_count:     0
    .args:
      - .offset:         0
        .size:           32
        .value_kind:     by_value
    .group_segment_fixed_size: 0
    .kernarg_segment_align: 8
    .kernarg_segment_size: 32
    .language:       OpenCL C
    .language_version:
      - 2
      - 0
    .max_flat_workgroup_size: 256
    .name:           _ZN7rocprim17ROCPRIM_400000_NS6detail17trampoline_kernelINS0_14default_configENS1_20scan_config_selectorIfEEZZNS1_9scan_implILNS1_25lookback_scan_determinismE0ELb1ELb1ES3_N6thrust23THRUST_200600_302600_NS6detail15normal_iteratorINS9_10device_ptrIfEEEESE_f11max_functorIfEfEEDaPvRmT3_T4_T5_mT6_P12ihipStream_tbENKUlT_T0_E_clISt17integral_constantIbLb1EESU_EEDaSP_SQ_EUlSP_E0_NS1_11comp_targetILNS1_3genE3ELNS1_11target_archE908ELNS1_3gpuE7ELNS1_3repE0EEENS1_30default_config_static_selectorELNS0_4arch9wavefront6targetE1EEEvT1_
    .private_segment_fixed_size: 0
    .sgpr_count:     4
    .sgpr_spill_count: 0
    .symbol:         _ZN7rocprim17ROCPRIM_400000_NS6detail17trampoline_kernelINS0_14default_configENS1_20scan_config_selectorIfEEZZNS1_9scan_implILNS1_25lookback_scan_determinismE0ELb1ELb1ES3_N6thrust23THRUST_200600_302600_NS6detail15normal_iteratorINS9_10device_ptrIfEEEESE_f11max_functorIfEfEEDaPvRmT3_T4_T5_mT6_P12ihipStream_tbENKUlT_T0_E_clISt17integral_constantIbLb1EESU_EEDaSP_SQ_EUlSP_E0_NS1_11comp_targetILNS1_3genE3ELNS1_11target_archE908ELNS1_3gpuE7ELNS1_3repE0EEENS1_30default_config_static_selectorELNS0_4arch9wavefront6targetE1EEEvT1_.kd
    .uniform_work_group_size: 1
    .uses_dynamic_stack: false
    .vgpr_count:     0
    .vgpr_spill_count: 0
    .wavefront_size: 64
  - .agpr_count:     0
    .args:
      - .offset:         0
        .size:           32
        .value_kind:     by_value
    .group_segment_fixed_size: 0
    .kernarg_segment_align: 8
    .kernarg_segment_size: 32
    .language:       OpenCL C
    .language_version:
      - 2
      - 0
    .max_flat_workgroup_size: 256
    .name:           _ZN7rocprim17ROCPRIM_400000_NS6detail17trampoline_kernelINS0_14default_configENS1_20scan_config_selectorIfEEZZNS1_9scan_implILNS1_25lookback_scan_determinismE0ELb1ELb1ES3_N6thrust23THRUST_200600_302600_NS6detail15normal_iteratorINS9_10device_ptrIfEEEESE_f11max_functorIfEfEEDaPvRmT3_T4_T5_mT6_P12ihipStream_tbENKUlT_T0_E_clISt17integral_constantIbLb1EESU_EEDaSP_SQ_EUlSP_E0_NS1_11comp_targetILNS1_3genE2ELNS1_11target_archE906ELNS1_3gpuE6ELNS1_3repE0EEENS1_30default_config_static_selectorELNS0_4arch9wavefront6targetE1EEEvT1_
    .private_segment_fixed_size: 0
    .sgpr_count:     4
    .sgpr_spill_count: 0
    .symbol:         _ZN7rocprim17ROCPRIM_400000_NS6detail17trampoline_kernelINS0_14default_configENS1_20scan_config_selectorIfEEZZNS1_9scan_implILNS1_25lookback_scan_determinismE0ELb1ELb1ES3_N6thrust23THRUST_200600_302600_NS6detail15normal_iteratorINS9_10device_ptrIfEEEESE_f11max_functorIfEfEEDaPvRmT3_T4_T5_mT6_P12ihipStream_tbENKUlT_T0_E_clISt17integral_constantIbLb1EESU_EEDaSP_SQ_EUlSP_E0_NS1_11comp_targetILNS1_3genE2ELNS1_11target_archE906ELNS1_3gpuE6ELNS1_3repE0EEENS1_30default_config_static_selectorELNS0_4arch9wavefront6targetE1EEEvT1_.kd
    .uniform_work_group_size: 1
    .uses_dynamic_stack: false
    .vgpr_count:     0
    .vgpr_spill_count: 0
    .wavefront_size: 64
  - .agpr_count:     0
    .args:
      - .offset:         0
        .size:           32
        .value_kind:     by_value
    .group_segment_fixed_size: 0
    .kernarg_segment_align: 8
    .kernarg_segment_size: 32
    .language:       OpenCL C
    .language_version:
      - 2
      - 0
    .max_flat_workgroup_size: 256
    .name:           _ZN7rocprim17ROCPRIM_400000_NS6detail17trampoline_kernelINS0_14default_configENS1_20scan_config_selectorIfEEZZNS1_9scan_implILNS1_25lookback_scan_determinismE0ELb1ELb1ES3_N6thrust23THRUST_200600_302600_NS6detail15normal_iteratorINS9_10device_ptrIfEEEESE_f11max_functorIfEfEEDaPvRmT3_T4_T5_mT6_P12ihipStream_tbENKUlT_T0_E_clISt17integral_constantIbLb1EESU_EEDaSP_SQ_EUlSP_E0_NS1_11comp_targetILNS1_3genE10ELNS1_11target_archE1201ELNS1_3gpuE5ELNS1_3repE0EEENS1_30default_config_static_selectorELNS0_4arch9wavefront6targetE1EEEvT1_
    .private_segment_fixed_size: 0
    .sgpr_count:     4
    .sgpr_spill_count: 0
    .symbol:         _ZN7rocprim17ROCPRIM_400000_NS6detail17trampoline_kernelINS0_14default_configENS1_20scan_config_selectorIfEEZZNS1_9scan_implILNS1_25lookback_scan_determinismE0ELb1ELb1ES3_N6thrust23THRUST_200600_302600_NS6detail15normal_iteratorINS9_10device_ptrIfEEEESE_f11max_functorIfEfEEDaPvRmT3_T4_T5_mT6_P12ihipStream_tbENKUlT_T0_E_clISt17integral_constantIbLb1EESU_EEDaSP_SQ_EUlSP_E0_NS1_11comp_targetILNS1_3genE10ELNS1_11target_archE1201ELNS1_3gpuE5ELNS1_3repE0EEENS1_30default_config_static_selectorELNS0_4arch9wavefront6targetE1EEEvT1_.kd
    .uniform_work_group_size: 1
    .uses_dynamic_stack: false
    .vgpr_count:     0
    .vgpr_spill_count: 0
    .wavefront_size: 64
  - .agpr_count:     0
    .args:
      - .offset:         0
        .size:           32
        .value_kind:     by_value
    .group_segment_fixed_size: 0
    .kernarg_segment_align: 8
    .kernarg_segment_size: 32
    .language:       OpenCL C
    .language_version:
      - 2
      - 0
    .max_flat_workgroup_size: 256
    .name:           _ZN7rocprim17ROCPRIM_400000_NS6detail17trampoline_kernelINS0_14default_configENS1_20scan_config_selectorIfEEZZNS1_9scan_implILNS1_25lookback_scan_determinismE0ELb1ELb1ES3_N6thrust23THRUST_200600_302600_NS6detail15normal_iteratorINS9_10device_ptrIfEEEESE_f11max_functorIfEfEEDaPvRmT3_T4_T5_mT6_P12ihipStream_tbENKUlT_T0_E_clISt17integral_constantIbLb1EESU_EEDaSP_SQ_EUlSP_E0_NS1_11comp_targetILNS1_3genE10ELNS1_11target_archE1200ELNS1_3gpuE4ELNS1_3repE0EEENS1_30default_config_static_selectorELNS0_4arch9wavefront6targetE1EEEvT1_
    .private_segment_fixed_size: 0
    .sgpr_count:     4
    .sgpr_spill_count: 0
    .symbol:         _ZN7rocprim17ROCPRIM_400000_NS6detail17trampoline_kernelINS0_14default_configENS1_20scan_config_selectorIfEEZZNS1_9scan_implILNS1_25lookback_scan_determinismE0ELb1ELb1ES3_N6thrust23THRUST_200600_302600_NS6detail15normal_iteratorINS9_10device_ptrIfEEEESE_f11max_functorIfEfEEDaPvRmT3_T4_T5_mT6_P12ihipStream_tbENKUlT_T0_E_clISt17integral_constantIbLb1EESU_EEDaSP_SQ_EUlSP_E0_NS1_11comp_targetILNS1_3genE10ELNS1_11target_archE1200ELNS1_3gpuE4ELNS1_3repE0EEENS1_30default_config_static_selectorELNS0_4arch9wavefront6targetE1EEEvT1_.kd
    .uniform_work_group_size: 1
    .uses_dynamic_stack: false
    .vgpr_count:     0
    .vgpr_spill_count: 0
    .wavefront_size: 64
  - .agpr_count:     0
    .args:
      - .offset:         0
        .size:           32
        .value_kind:     by_value
    .group_segment_fixed_size: 0
    .kernarg_segment_align: 8
    .kernarg_segment_size: 32
    .language:       OpenCL C
    .language_version:
      - 2
      - 0
    .max_flat_workgroup_size: 256
    .name:           _ZN7rocprim17ROCPRIM_400000_NS6detail17trampoline_kernelINS0_14default_configENS1_20scan_config_selectorIfEEZZNS1_9scan_implILNS1_25lookback_scan_determinismE0ELb1ELb1ES3_N6thrust23THRUST_200600_302600_NS6detail15normal_iteratorINS9_10device_ptrIfEEEESE_f11max_functorIfEfEEDaPvRmT3_T4_T5_mT6_P12ihipStream_tbENKUlT_T0_E_clISt17integral_constantIbLb1EESU_EEDaSP_SQ_EUlSP_E0_NS1_11comp_targetILNS1_3genE9ELNS1_11target_archE1100ELNS1_3gpuE3ELNS1_3repE0EEENS1_30default_config_static_selectorELNS0_4arch9wavefront6targetE1EEEvT1_
    .private_segment_fixed_size: 0
    .sgpr_count:     4
    .sgpr_spill_count: 0
    .symbol:         _ZN7rocprim17ROCPRIM_400000_NS6detail17trampoline_kernelINS0_14default_configENS1_20scan_config_selectorIfEEZZNS1_9scan_implILNS1_25lookback_scan_determinismE0ELb1ELb1ES3_N6thrust23THRUST_200600_302600_NS6detail15normal_iteratorINS9_10device_ptrIfEEEESE_f11max_functorIfEfEEDaPvRmT3_T4_T5_mT6_P12ihipStream_tbENKUlT_T0_E_clISt17integral_constantIbLb1EESU_EEDaSP_SQ_EUlSP_E0_NS1_11comp_targetILNS1_3genE9ELNS1_11target_archE1100ELNS1_3gpuE3ELNS1_3repE0EEENS1_30default_config_static_selectorELNS0_4arch9wavefront6targetE1EEEvT1_.kd
    .uniform_work_group_size: 1
    .uses_dynamic_stack: false
    .vgpr_count:     0
    .vgpr_spill_count: 0
    .wavefront_size: 64
  - .agpr_count:     0
    .args:
      - .offset:         0
        .size:           32
        .value_kind:     by_value
    .group_segment_fixed_size: 0
    .kernarg_segment_align: 8
    .kernarg_segment_size: 32
    .language:       OpenCL C
    .language_version:
      - 2
      - 0
    .max_flat_workgroup_size: 64
    .name:           _ZN7rocprim17ROCPRIM_400000_NS6detail17trampoline_kernelINS0_14default_configENS1_20scan_config_selectorIfEEZZNS1_9scan_implILNS1_25lookback_scan_determinismE0ELb1ELb1ES3_N6thrust23THRUST_200600_302600_NS6detail15normal_iteratorINS9_10device_ptrIfEEEESE_f11max_functorIfEfEEDaPvRmT3_T4_T5_mT6_P12ihipStream_tbENKUlT_T0_E_clISt17integral_constantIbLb1EESU_EEDaSP_SQ_EUlSP_E0_NS1_11comp_targetILNS1_3genE8ELNS1_11target_archE1030ELNS1_3gpuE2ELNS1_3repE0EEENS1_30default_config_static_selectorELNS0_4arch9wavefront6targetE1EEEvT1_
    .private_segment_fixed_size: 0
    .sgpr_count:     4
    .sgpr_spill_count: 0
    .symbol:         _ZN7rocprim17ROCPRIM_400000_NS6detail17trampoline_kernelINS0_14default_configENS1_20scan_config_selectorIfEEZZNS1_9scan_implILNS1_25lookback_scan_determinismE0ELb1ELb1ES3_N6thrust23THRUST_200600_302600_NS6detail15normal_iteratorINS9_10device_ptrIfEEEESE_f11max_functorIfEfEEDaPvRmT3_T4_T5_mT6_P12ihipStream_tbENKUlT_T0_E_clISt17integral_constantIbLb1EESU_EEDaSP_SQ_EUlSP_E0_NS1_11comp_targetILNS1_3genE8ELNS1_11target_archE1030ELNS1_3gpuE2ELNS1_3repE0EEENS1_30default_config_static_selectorELNS0_4arch9wavefront6targetE1EEEvT1_.kd
    .uniform_work_group_size: 1
    .uses_dynamic_stack: false
    .vgpr_count:     0
    .vgpr_spill_count: 0
    .wavefront_size: 64
  - .agpr_count:     0
    .args:
      - .offset:         0
        .size:           96
        .value_kind:     by_value
    .group_segment_fixed_size: 0
    .kernarg_segment_align: 8
    .kernarg_segment_size: 96
    .language:       OpenCL C
    .language_version:
      - 2
      - 0
    .max_flat_workgroup_size: 256
    .name:           _ZN7rocprim17ROCPRIM_400000_NS6detail17trampoline_kernelINS0_14default_configENS1_20scan_config_selectorIfEEZZNS1_9scan_implILNS1_25lookback_scan_determinismE0ELb1ELb1ES3_N6thrust23THRUST_200600_302600_NS6detail15normal_iteratorINS9_10device_ptrIfEEEESE_f11max_functorIfEfEEDaPvRmT3_T4_T5_mT6_P12ihipStream_tbENKUlT_T0_E_clISt17integral_constantIbLb1EEST_IbLb0EEEEDaSP_SQ_EUlSP_E_NS1_11comp_targetILNS1_3genE0ELNS1_11target_archE4294967295ELNS1_3gpuE0ELNS1_3repE0EEENS1_30default_config_static_selectorELNS0_4arch9wavefront6targetE1EEEvT1_
    .private_segment_fixed_size: 0
    .sgpr_count:     4
    .sgpr_spill_count: 0
    .symbol:         _ZN7rocprim17ROCPRIM_400000_NS6detail17trampoline_kernelINS0_14default_configENS1_20scan_config_selectorIfEEZZNS1_9scan_implILNS1_25lookback_scan_determinismE0ELb1ELb1ES3_N6thrust23THRUST_200600_302600_NS6detail15normal_iteratorINS9_10device_ptrIfEEEESE_f11max_functorIfEfEEDaPvRmT3_T4_T5_mT6_P12ihipStream_tbENKUlT_T0_E_clISt17integral_constantIbLb1EEST_IbLb0EEEEDaSP_SQ_EUlSP_E_NS1_11comp_targetILNS1_3genE0ELNS1_11target_archE4294967295ELNS1_3gpuE0ELNS1_3repE0EEENS1_30default_config_static_selectorELNS0_4arch9wavefront6targetE1EEEvT1_.kd
    .uniform_work_group_size: 1
    .uses_dynamic_stack: false
    .vgpr_count:     0
    .vgpr_spill_count: 0
    .wavefront_size: 64
  - .agpr_count:     0
    .args:
      - .offset:         0
        .size:           96
        .value_kind:     by_value
    .group_segment_fixed_size: 0
    .kernarg_segment_align: 8
    .kernarg_segment_size: 96
    .language:       OpenCL C
    .language_version:
      - 2
      - 0
    .max_flat_workgroup_size: 256
    .name:           _ZN7rocprim17ROCPRIM_400000_NS6detail17trampoline_kernelINS0_14default_configENS1_20scan_config_selectorIfEEZZNS1_9scan_implILNS1_25lookback_scan_determinismE0ELb1ELb1ES3_N6thrust23THRUST_200600_302600_NS6detail15normal_iteratorINS9_10device_ptrIfEEEESE_f11max_functorIfEfEEDaPvRmT3_T4_T5_mT6_P12ihipStream_tbENKUlT_T0_E_clISt17integral_constantIbLb1EEST_IbLb0EEEEDaSP_SQ_EUlSP_E_NS1_11comp_targetILNS1_3genE5ELNS1_11target_archE942ELNS1_3gpuE9ELNS1_3repE0EEENS1_30default_config_static_selectorELNS0_4arch9wavefront6targetE1EEEvT1_
    .private_segment_fixed_size: 0
    .sgpr_count:     4
    .sgpr_spill_count: 0
    .symbol:         _ZN7rocprim17ROCPRIM_400000_NS6detail17trampoline_kernelINS0_14default_configENS1_20scan_config_selectorIfEEZZNS1_9scan_implILNS1_25lookback_scan_determinismE0ELb1ELb1ES3_N6thrust23THRUST_200600_302600_NS6detail15normal_iteratorINS9_10device_ptrIfEEEESE_f11max_functorIfEfEEDaPvRmT3_T4_T5_mT6_P12ihipStream_tbENKUlT_T0_E_clISt17integral_constantIbLb1EEST_IbLb0EEEEDaSP_SQ_EUlSP_E_NS1_11comp_targetILNS1_3genE5ELNS1_11target_archE942ELNS1_3gpuE9ELNS1_3repE0EEENS1_30default_config_static_selectorELNS0_4arch9wavefront6targetE1EEEvT1_.kd
    .uniform_work_group_size: 1
    .uses_dynamic_stack: false
    .vgpr_count:     0
    .vgpr_spill_count: 0
    .wavefront_size: 64
  - .agpr_count:     0
    .args:
      - .offset:         0
        .size:           96
        .value_kind:     by_value
    .group_segment_fixed_size: 7168
    .kernarg_segment_align: 8
    .kernarg_segment_size: 96
    .language:       OpenCL C
    .language_version:
      - 2
      - 0
    .max_flat_workgroup_size: 128
    .name:           _ZN7rocprim17ROCPRIM_400000_NS6detail17trampoline_kernelINS0_14default_configENS1_20scan_config_selectorIfEEZZNS1_9scan_implILNS1_25lookback_scan_determinismE0ELb1ELb1ES3_N6thrust23THRUST_200600_302600_NS6detail15normal_iteratorINS9_10device_ptrIfEEEESE_f11max_functorIfEfEEDaPvRmT3_T4_T5_mT6_P12ihipStream_tbENKUlT_T0_E_clISt17integral_constantIbLb1EEST_IbLb0EEEEDaSP_SQ_EUlSP_E_NS1_11comp_targetILNS1_3genE4ELNS1_11target_archE910ELNS1_3gpuE8ELNS1_3repE0EEENS1_30default_config_static_selectorELNS0_4arch9wavefront6targetE1EEEvT1_
    .private_segment_fixed_size: 0
    .sgpr_count:     38
    .sgpr_spill_count: 0
    .symbol:         _ZN7rocprim17ROCPRIM_400000_NS6detail17trampoline_kernelINS0_14default_configENS1_20scan_config_selectorIfEEZZNS1_9scan_implILNS1_25lookback_scan_determinismE0ELb1ELb1ES3_N6thrust23THRUST_200600_302600_NS6detail15normal_iteratorINS9_10device_ptrIfEEEESE_f11max_functorIfEfEEDaPvRmT3_T4_T5_mT6_P12ihipStream_tbENKUlT_T0_E_clISt17integral_constantIbLb1EEST_IbLb0EEEEDaSP_SQ_EUlSP_E_NS1_11comp_targetILNS1_3genE4ELNS1_11target_archE910ELNS1_3gpuE8ELNS1_3repE0EEENS1_30default_config_static_selectorELNS0_4arch9wavefront6targetE1EEEvT1_.kd
    .uniform_work_group_size: 1
    .uses_dynamic_stack: false
    .vgpr_count:     44
    .vgpr_spill_count: 0
    .wavefront_size: 64
  - .agpr_count:     0
    .args:
      - .offset:         0
        .size:           96
        .value_kind:     by_value
    .group_segment_fixed_size: 0
    .kernarg_segment_align: 8
    .kernarg_segment_size: 96
    .language:       OpenCL C
    .language_version:
      - 2
      - 0
    .max_flat_workgroup_size: 256
    .name:           _ZN7rocprim17ROCPRIM_400000_NS6detail17trampoline_kernelINS0_14default_configENS1_20scan_config_selectorIfEEZZNS1_9scan_implILNS1_25lookback_scan_determinismE0ELb1ELb1ES3_N6thrust23THRUST_200600_302600_NS6detail15normal_iteratorINS9_10device_ptrIfEEEESE_f11max_functorIfEfEEDaPvRmT3_T4_T5_mT6_P12ihipStream_tbENKUlT_T0_E_clISt17integral_constantIbLb1EEST_IbLb0EEEEDaSP_SQ_EUlSP_E_NS1_11comp_targetILNS1_3genE3ELNS1_11target_archE908ELNS1_3gpuE7ELNS1_3repE0EEENS1_30default_config_static_selectorELNS0_4arch9wavefront6targetE1EEEvT1_
    .private_segment_fixed_size: 0
    .sgpr_count:     4
    .sgpr_spill_count: 0
    .symbol:         _ZN7rocprim17ROCPRIM_400000_NS6detail17trampoline_kernelINS0_14default_configENS1_20scan_config_selectorIfEEZZNS1_9scan_implILNS1_25lookback_scan_determinismE0ELb1ELb1ES3_N6thrust23THRUST_200600_302600_NS6detail15normal_iteratorINS9_10device_ptrIfEEEESE_f11max_functorIfEfEEDaPvRmT3_T4_T5_mT6_P12ihipStream_tbENKUlT_T0_E_clISt17integral_constantIbLb1EEST_IbLb0EEEEDaSP_SQ_EUlSP_E_NS1_11comp_targetILNS1_3genE3ELNS1_11target_archE908ELNS1_3gpuE7ELNS1_3repE0EEENS1_30default_config_static_selectorELNS0_4arch9wavefront6targetE1EEEvT1_.kd
    .uniform_work_group_size: 1
    .uses_dynamic_stack: false
    .vgpr_count:     0
    .vgpr_spill_count: 0
    .wavefront_size: 64
  - .agpr_count:     0
    .args:
      - .offset:         0
        .size:           96
        .value_kind:     by_value
    .group_segment_fixed_size: 0
    .kernarg_segment_align: 8
    .kernarg_segment_size: 96
    .language:       OpenCL C
    .language_version:
      - 2
      - 0
    .max_flat_workgroup_size: 256
    .name:           _ZN7rocprim17ROCPRIM_400000_NS6detail17trampoline_kernelINS0_14default_configENS1_20scan_config_selectorIfEEZZNS1_9scan_implILNS1_25lookback_scan_determinismE0ELb1ELb1ES3_N6thrust23THRUST_200600_302600_NS6detail15normal_iteratorINS9_10device_ptrIfEEEESE_f11max_functorIfEfEEDaPvRmT3_T4_T5_mT6_P12ihipStream_tbENKUlT_T0_E_clISt17integral_constantIbLb1EEST_IbLb0EEEEDaSP_SQ_EUlSP_E_NS1_11comp_targetILNS1_3genE2ELNS1_11target_archE906ELNS1_3gpuE6ELNS1_3repE0EEENS1_30default_config_static_selectorELNS0_4arch9wavefront6targetE1EEEvT1_
    .private_segment_fixed_size: 0
    .sgpr_count:     4
    .sgpr_spill_count: 0
    .symbol:         _ZN7rocprim17ROCPRIM_400000_NS6detail17trampoline_kernelINS0_14default_configENS1_20scan_config_selectorIfEEZZNS1_9scan_implILNS1_25lookback_scan_determinismE0ELb1ELb1ES3_N6thrust23THRUST_200600_302600_NS6detail15normal_iteratorINS9_10device_ptrIfEEEESE_f11max_functorIfEfEEDaPvRmT3_T4_T5_mT6_P12ihipStream_tbENKUlT_T0_E_clISt17integral_constantIbLb1EEST_IbLb0EEEEDaSP_SQ_EUlSP_E_NS1_11comp_targetILNS1_3genE2ELNS1_11target_archE906ELNS1_3gpuE6ELNS1_3repE0EEENS1_30default_config_static_selectorELNS0_4arch9wavefront6targetE1EEEvT1_.kd
    .uniform_work_group_size: 1
    .uses_dynamic_stack: false
    .vgpr_count:     0
    .vgpr_spill_count: 0
    .wavefront_size: 64
  - .agpr_count:     0
    .args:
      - .offset:         0
        .size:           96
        .value_kind:     by_value
    .group_segment_fixed_size: 0
    .kernarg_segment_align: 8
    .kernarg_segment_size: 96
    .language:       OpenCL C
    .language_version:
      - 2
      - 0
    .max_flat_workgroup_size: 256
    .name:           _ZN7rocprim17ROCPRIM_400000_NS6detail17trampoline_kernelINS0_14default_configENS1_20scan_config_selectorIfEEZZNS1_9scan_implILNS1_25lookback_scan_determinismE0ELb1ELb1ES3_N6thrust23THRUST_200600_302600_NS6detail15normal_iteratorINS9_10device_ptrIfEEEESE_f11max_functorIfEfEEDaPvRmT3_T4_T5_mT6_P12ihipStream_tbENKUlT_T0_E_clISt17integral_constantIbLb1EEST_IbLb0EEEEDaSP_SQ_EUlSP_E_NS1_11comp_targetILNS1_3genE10ELNS1_11target_archE1201ELNS1_3gpuE5ELNS1_3repE0EEENS1_30default_config_static_selectorELNS0_4arch9wavefront6targetE1EEEvT1_
    .private_segment_fixed_size: 0
    .sgpr_count:     4
    .sgpr_spill_count: 0
    .symbol:         _ZN7rocprim17ROCPRIM_400000_NS6detail17trampoline_kernelINS0_14default_configENS1_20scan_config_selectorIfEEZZNS1_9scan_implILNS1_25lookback_scan_determinismE0ELb1ELb1ES3_N6thrust23THRUST_200600_302600_NS6detail15normal_iteratorINS9_10device_ptrIfEEEESE_f11max_functorIfEfEEDaPvRmT3_T4_T5_mT6_P12ihipStream_tbENKUlT_T0_E_clISt17integral_constantIbLb1EEST_IbLb0EEEEDaSP_SQ_EUlSP_E_NS1_11comp_targetILNS1_3genE10ELNS1_11target_archE1201ELNS1_3gpuE5ELNS1_3repE0EEENS1_30default_config_static_selectorELNS0_4arch9wavefront6targetE1EEEvT1_.kd
    .uniform_work_group_size: 1
    .uses_dynamic_stack: false
    .vgpr_count:     0
    .vgpr_spill_count: 0
    .wavefront_size: 64
  - .agpr_count:     0
    .args:
      - .offset:         0
        .size:           96
        .value_kind:     by_value
    .group_segment_fixed_size: 0
    .kernarg_segment_align: 8
    .kernarg_segment_size: 96
    .language:       OpenCL C
    .language_version:
      - 2
      - 0
    .max_flat_workgroup_size: 256
    .name:           _ZN7rocprim17ROCPRIM_400000_NS6detail17trampoline_kernelINS0_14default_configENS1_20scan_config_selectorIfEEZZNS1_9scan_implILNS1_25lookback_scan_determinismE0ELb1ELb1ES3_N6thrust23THRUST_200600_302600_NS6detail15normal_iteratorINS9_10device_ptrIfEEEESE_f11max_functorIfEfEEDaPvRmT3_T4_T5_mT6_P12ihipStream_tbENKUlT_T0_E_clISt17integral_constantIbLb1EEST_IbLb0EEEEDaSP_SQ_EUlSP_E_NS1_11comp_targetILNS1_3genE10ELNS1_11target_archE1200ELNS1_3gpuE4ELNS1_3repE0EEENS1_30default_config_static_selectorELNS0_4arch9wavefront6targetE1EEEvT1_
    .private_segment_fixed_size: 0
    .sgpr_count:     4
    .sgpr_spill_count: 0
    .symbol:         _ZN7rocprim17ROCPRIM_400000_NS6detail17trampoline_kernelINS0_14default_configENS1_20scan_config_selectorIfEEZZNS1_9scan_implILNS1_25lookback_scan_determinismE0ELb1ELb1ES3_N6thrust23THRUST_200600_302600_NS6detail15normal_iteratorINS9_10device_ptrIfEEEESE_f11max_functorIfEfEEDaPvRmT3_T4_T5_mT6_P12ihipStream_tbENKUlT_T0_E_clISt17integral_constantIbLb1EEST_IbLb0EEEEDaSP_SQ_EUlSP_E_NS1_11comp_targetILNS1_3genE10ELNS1_11target_archE1200ELNS1_3gpuE4ELNS1_3repE0EEENS1_30default_config_static_selectorELNS0_4arch9wavefront6targetE1EEEvT1_.kd
    .uniform_work_group_size: 1
    .uses_dynamic_stack: false
    .vgpr_count:     0
    .vgpr_spill_count: 0
    .wavefront_size: 64
  - .agpr_count:     0
    .args:
      - .offset:         0
        .size:           96
        .value_kind:     by_value
    .group_segment_fixed_size: 0
    .kernarg_segment_align: 8
    .kernarg_segment_size: 96
    .language:       OpenCL C
    .language_version:
      - 2
      - 0
    .max_flat_workgroup_size: 256
    .name:           _ZN7rocprim17ROCPRIM_400000_NS6detail17trampoline_kernelINS0_14default_configENS1_20scan_config_selectorIfEEZZNS1_9scan_implILNS1_25lookback_scan_determinismE0ELb1ELb1ES3_N6thrust23THRUST_200600_302600_NS6detail15normal_iteratorINS9_10device_ptrIfEEEESE_f11max_functorIfEfEEDaPvRmT3_T4_T5_mT6_P12ihipStream_tbENKUlT_T0_E_clISt17integral_constantIbLb1EEST_IbLb0EEEEDaSP_SQ_EUlSP_E_NS1_11comp_targetILNS1_3genE9ELNS1_11target_archE1100ELNS1_3gpuE3ELNS1_3repE0EEENS1_30default_config_static_selectorELNS0_4arch9wavefront6targetE1EEEvT1_
    .private_segment_fixed_size: 0
    .sgpr_count:     4
    .sgpr_spill_count: 0
    .symbol:         _ZN7rocprim17ROCPRIM_400000_NS6detail17trampoline_kernelINS0_14default_configENS1_20scan_config_selectorIfEEZZNS1_9scan_implILNS1_25lookback_scan_determinismE0ELb1ELb1ES3_N6thrust23THRUST_200600_302600_NS6detail15normal_iteratorINS9_10device_ptrIfEEEESE_f11max_functorIfEfEEDaPvRmT3_T4_T5_mT6_P12ihipStream_tbENKUlT_T0_E_clISt17integral_constantIbLb1EEST_IbLb0EEEEDaSP_SQ_EUlSP_E_NS1_11comp_targetILNS1_3genE9ELNS1_11target_archE1100ELNS1_3gpuE3ELNS1_3repE0EEENS1_30default_config_static_selectorELNS0_4arch9wavefront6targetE1EEEvT1_.kd
    .uniform_work_group_size: 1
    .uses_dynamic_stack: false
    .vgpr_count:     0
    .vgpr_spill_count: 0
    .wavefront_size: 64
  - .agpr_count:     0
    .args:
      - .offset:         0
        .size:           96
        .value_kind:     by_value
    .group_segment_fixed_size: 0
    .kernarg_segment_align: 8
    .kernarg_segment_size: 96
    .language:       OpenCL C
    .language_version:
      - 2
      - 0
    .max_flat_workgroup_size: 64
    .name:           _ZN7rocprim17ROCPRIM_400000_NS6detail17trampoline_kernelINS0_14default_configENS1_20scan_config_selectorIfEEZZNS1_9scan_implILNS1_25lookback_scan_determinismE0ELb1ELb1ES3_N6thrust23THRUST_200600_302600_NS6detail15normal_iteratorINS9_10device_ptrIfEEEESE_f11max_functorIfEfEEDaPvRmT3_T4_T5_mT6_P12ihipStream_tbENKUlT_T0_E_clISt17integral_constantIbLb1EEST_IbLb0EEEEDaSP_SQ_EUlSP_E_NS1_11comp_targetILNS1_3genE8ELNS1_11target_archE1030ELNS1_3gpuE2ELNS1_3repE0EEENS1_30default_config_static_selectorELNS0_4arch9wavefront6targetE1EEEvT1_
    .private_segment_fixed_size: 0
    .sgpr_count:     4
    .sgpr_spill_count: 0
    .symbol:         _ZN7rocprim17ROCPRIM_400000_NS6detail17trampoline_kernelINS0_14default_configENS1_20scan_config_selectorIfEEZZNS1_9scan_implILNS1_25lookback_scan_determinismE0ELb1ELb1ES3_N6thrust23THRUST_200600_302600_NS6detail15normal_iteratorINS9_10device_ptrIfEEEESE_f11max_functorIfEfEEDaPvRmT3_T4_T5_mT6_P12ihipStream_tbENKUlT_T0_E_clISt17integral_constantIbLb1EEST_IbLb0EEEEDaSP_SQ_EUlSP_E_NS1_11comp_targetILNS1_3genE8ELNS1_11target_archE1030ELNS1_3gpuE2ELNS1_3repE0EEENS1_30default_config_static_selectorELNS0_4arch9wavefront6targetE1EEEvT1_.kd
    .uniform_work_group_size: 1
    .uses_dynamic_stack: false
    .vgpr_count:     0
    .vgpr_spill_count: 0
    .wavefront_size: 64
  - .agpr_count:     0
    .args:
      - .offset:         0
        .size:           32
        .value_kind:     by_value
    .group_segment_fixed_size: 0
    .kernarg_segment_align: 8
    .kernarg_segment_size: 32
    .language:       OpenCL C
    .language_version:
      - 2
      - 0
    .max_flat_workgroup_size: 256
    .name:           _ZN7rocprim17ROCPRIM_400000_NS6detail17trampoline_kernelINS0_14default_configENS1_20scan_config_selectorIfEEZZNS1_9scan_implILNS1_25lookback_scan_determinismE0ELb1ELb1ES3_N6thrust23THRUST_200600_302600_NS6detail15normal_iteratorINS9_10device_ptrIfEEEESE_f11max_functorIfEfEEDaPvRmT3_T4_T5_mT6_P12ihipStream_tbENKUlT_T0_E_clISt17integral_constantIbLb1EEST_IbLb0EEEEDaSP_SQ_EUlSP_E0_NS1_11comp_targetILNS1_3genE0ELNS1_11target_archE4294967295ELNS1_3gpuE0ELNS1_3repE0EEENS1_30default_config_static_selectorELNS0_4arch9wavefront6targetE1EEEvT1_
    .private_segment_fixed_size: 0
    .sgpr_count:     4
    .sgpr_spill_count: 0
    .symbol:         _ZN7rocprim17ROCPRIM_400000_NS6detail17trampoline_kernelINS0_14default_configENS1_20scan_config_selectorIfEEZZNS1_9scan_implILNS1_25lookback_scan_determinismE0ELb1ELb1ES3_N6thrust23THRUST_200600_302600_NS6detail15normal_iteratorINS9_10device_ptrIfEEEESE_f11max_functorIfEfEEDaPvRmT3_T4_T5_mT6_P12ihipStream_tbENKUlT_T0_E_clISt17integral_constantIbLb1EEST_IbLb0EEEEDaSP_SQ_EUlSP_E0_NS1_11comp_targetILNS1_3genE0ELNS1_11target_archE4294967295ELNS1_3gpuE0ELNS1_3repE0EEENS1_30default_config_static_selectorELNS0_4arch9wavefront6targetE1EEEvT1_.kd
    .uniform_work_group_size: 1
    .uses_dynamic_stack: false
    .vgpr_count:     0
    .vgpr_spill_count: 0
    .wavefront_size: 64
  - .agpr_count:     0
    .args:
      - .offset:         0
        .size:           32
        .value_kind:     by_value
    .group_segment_fixed_size: 0
    .kernarg_segment_align: 8
    .kernarg_segment_size: 32
    .language:       OpenCL C
    .language_version:
      - 2
      - 0
    .max_flat_workgroup_size: 256
    .name:           _ZN7rocprim17ROCPRIM_400000_NS6detail17trampoline_kernelINS0_14default_configENS1_20scan_config_selectorIfEEZZNS1_9scan_implILNS1_25lookback_scan_determinismE0ELb1ELb1ES3_N6thrust23THRUST_200600_302600_NS6detail15normal_iteratorINS9_10device_ptrIfEEEESE_f11max_functorIfEfEEDaPvRmT3_T4_T5_mT6_P12ihipStream_tbENKUlT_T0_E_clISt17integral_constantIbLb1EEST_IbLb0EEEEDaSP_SQ_EUlSP_E0_NS1_11comp_targetILNS1_3genE5ELNS1_11target_archE942ELNS1_3gpuE9ELNS1_3repE0EEENS1_30default_config_static_selectorELNS0_4arch9wavefront6targetE1EEEvT1_
    .private_segment_fixed_size: 0
    .sgpr_count:     4
    .sgpr_spill_count: 0
    .symbol:         _ZN7rocprim17ROCPRIM_400000_NS6detail17trampoline_kernelINS0_14default_configENS1_20scan_config_selectorIfEEZZNS1_9scan_implILNS1_25lookback_scan_determinismE0ELb1ELb1ES3_N6thrust23THRUST_200600_302600_NS6detail15normal_iteratorINS9_10device_ptrIfEEEESE_f11max_functorIfEfEEDaPvRmT3_T4_T5_mT6_P12ihipStream_tbENKUlT_T0_E_clISt17integral_constantIbLb1EEST_IbLb0EEEEDaSP_SQ_EUlSP_E0_NS1_11comp_targetILNS1_3genE5ELNS1_11target_archE942ELNS1_3gpuE9ELNS1_3repE0EEENS1_30default_config_static_selectorELNS0_4arch9wavefront6targetE1EEEvT1_.kd
    .uniform_work_group_size: 1
    .uses_dynamic_stack: false
    .vgpr_count:     0
    .vgpr_spill_count: 0
    .wavefront_size: 64
  - .agpr_count:     0
    .args:
      - .offset:         0
        .size:           32
        .value_kind:     by_value
    .group_segment_fixed_size: 7168
    .kernarg_segment_align: 8
    .kernarg_segment_size: 32
    .language:       OpenCL C
    .language_version:
      - 2
      - 0
    .max_flat_workgroup_size: 128
    .name:           _ZN7rocprim17ROCPRIM_400000_NS6detail17trampoline_kernelINS0_14default_configENS1_20scan_config_selectorIfEEZZNS1_9scan_implILNS1_25lookback_scan_determinismE0ELb1ELb1ES3_N6thrust23THRUST_200600_302600_NS6detail15normal_iteratorINS9_10device_ptrIfEEEESE_f11max_functorIfEfEEDaPvRmT3_T4_T5_mT6_P12ihipStream_tbENKUlT_T0_E_clISt17integral_constantIbLb1EEST_IbLb0EEEEDaSP_SQ_EUlSP_E0_NS1_11comp_targetILNS1_3genE4ELNS1_11target_archE910ELNS1_3gpuE8ELNS1_3repE0EEENS1_30default_config_static_selectorELNS0_4arch9wavefront6targetE1EEEvT1_
    .private_segment_fixed_size: 0
    .sgpr_count:     44
    .sgpr_spill_count: 0
    .symbol:         _ZN7rocprim17ROCPRIM_400000_NS6detail17trampoline_kernelINS0_14default_configENS1_20scan_config_selectorIfEEZZNS1_9scan_implILNS1_25lookback_scan_determinismE0ELb1ELb1ES3_N6thrust23THRUST_200600_302600_NS6detail15normal_iteratorINS9_10device_ptrIfEEEESE_f11max_functorIfEfEEDaPvRmT3_T4_T5_mT6_P12ihipStream_tbENKUlT_T0_E_clISt17integral_constantIbLb1EEST_IbLb0EEEEDaSP_SQ_EUlSP_E0_NS1_11comp_targetILNS1_3genE4ELNS1_11target_archE910ELNS1_3gpuE8ELNS1_3repE0EEENS1_30default_config_static_selectorELNS0_4arch9wavefront6targetE1EEEvT1_.kd
    .uniform_work_group_size: 1
    .uses_dynamic_stack: false
    .vgpr_count:     24
    .vgpr_spill_count: 0
    .wavefront_size: 64
  - .agpr_count:     0
    .args:
      - .offset:         0
        .size:           32
        .value_kind:     by_value
    .group_segment_fixed_size: 0
    .kernarg_segment_align: 8
    .kernarg_segment_size: 32
    .language:       OpenCL C
    .language_version:
      - 2
      - 0
    .max_flat_workgroup_size: 256
    .name:           _ZN7rocprim17ROCPRIM_400000_NS6detail17trampoline_kernelINS0_14default_configENS1_20scan_config_selectorIfEEZZNS1_9scan_implILNS1_25lookback_scan_determinismE0ELb1ELb1ES3_N6thrust23THRUST_200600_302600_NS6detail15normal_iteratorINS9_10device_ptrIfEEEESE_f11max_functorIfEfEEDaPvRmT3_T4_T5_mT6_P12ihipStream_tbENKUlT_T0_E_clISt17integral_constantIbLb1EEST_IbLb0EEEEDaSP_SQ_EUlSP_E0_NS1_11comp_targetILNS1_3genE3ELNS1_11target_archE908ELNS1_3gpuE7ELNS1_3repE0EEENS1_30default_config_static_selectorELNS0_4arch9wavefront6targetE1EEEvT1_
    .private_segment_fixed_size: 0
    .sgpr_count:     4
    .sgpr_spill_count: 0
    .symbol:         _ZN7rocprim17ROCPRIM_400000_NS6detail17trampoline_kernelINS0_14default_configENS1_20scan_config_selectorIfEEZZNS1_9scan_implILNS1_25lookback_scan_determinismE0ELb1ELb1ES3_N6thrust23THRUST_200600_302600_NS6detail15normal_iteratorINS9_10device_ptrIfEEEESE_f11max_functorIfEfEEDaPvRmT3_T4_T5_mT6_P12ihipStream_tbENKUlT_T0_E_clISt17integral_constantIbLb1EEST_IbLb0EEEEDaSP_SQ_EUlSP_E0_NS1_11comp_targetILNS1_3genE3ELNS1_11target_archE908ELNS1_3gpuE7ELNS1_3repE0EEENS1_30default_config_static_selectorELNS0_4arch9wavefront6targetE1EEEvT1_.kd
    .uniform_work_group_size: 1
    .uses_dynamic_stack: false
    .vgpr_count:     0
    .vgpr_spill_count: 0
    .wavefront_size: 64
  - .agpr_count:     0
    .args:
      - .offset:         0
        .size:           32
        .value_kind:     by_value
    .group_segment_fixed_size: 0
    .kernarg_segment_align: 8
    .kernarg_segment_size: 32
    .language:       OpenCL C
    .language_version:
      - 2
      - 0
    .max_flat_workgroup_size: 256
    .name:           _ZN7rocprim17ROCPRIM_400000_NS6detail17trampoline_kernelINS0_14default_configENS1_20scan_config_selectorIfEEZZNS1_9scan_implILNS1_25lookback_scan_determinismE0ELb1ELb1ES3_N6thrust23THRUST_200600_302600_NS6detail15normal_iteratorINS9_10device_ptrIfEEEESE_f11max_functorIfEfEEDaPvRmT3_T4_T5_mT6_P12ihipStream_tbENKUlT_T0_E_clISt17integral_constantIbLb1EEST_IbLb0EEEEDaSP_SQ_EUlSP_E0_NS1_11comp_targetILNS1_3genE2ELNS1_11target_archE906ELNS1_3gpuE6ELNS1_3repE0EEENS1_30default_config_static_selectorELNS0_4arch9wavefront6targetE1EEEvT1_
    .private_segment_fixed_size: 0
    .sgpr_count:     4
    .sgpr_spill_count: 0
    .symbol:         _ZN7rocprim17ROCPRIM_400000_NS6detail17trampoline_kernelINS0_14default_configENS1_20scan_config_selectorIfEEZZNS1_9scan_implILNS1_25lookback_scan_determinismE0ELb1ELb1ES3_N6thrust23THRUST_200600_302600_NS6detail15normal_iteratorINS9_10device_ptrIfEEEESE_f11max_functorIfEfEEDaPvRmT3_T4_T5_mT6_P12ihipStream_tbENKUlT_T0_E_clISt17integral_constantIbLb1EEST_IbLb0EEEEDaSP_SQ_EUlSP_E0_NS1_11comp_targetILNS1_3genE2ELNS1_11target_archE906ELNS1_3gpuE6ELNS1_3repE0EEENS1_30default_config_static_selectorELNS0_4arch9wavefront6targetE1EEEvT1_.kd
    .uniform_work_group_size: 1
    .uses_dynamic_stack: false
    .vgpr_count:     0
    .vgpr_spill_count: 0
    .wavefront_size: 64
  - .agpr_count:     0
    .args:
      - .offset:         0
        .size:           32
        .value_kind:     by_value
    .group_segment_fixed_size: 0
    .kernarg_segment_align: 8
    .kernarg_segment_size: 32
    .language:       OpenCL C
    .language_version:
      - 2
      - 0
    .max_flat_workgroup_size: 256
    .name:           _ZN7rocprim17ROCPRIM_400000_NS6detail17trampoline_kernelINS0_14default_configENS1_20scan_config_selectorIfEEZZNS1_9scan_implILNS1_25lookback_scan_determinismE0ELb1ELb1ES3_N6thrust23THRUST_200600_302600_NS6detail15normal_iteratorINS9_10device_ptrIfEEEESE_f11max_functorIfEfEEDaPvRmT3_T4_T5_mT6_P12ihipStream_tbENKUlT_T0_E_clISt17integral_constantIbLb1EEST_IbLb0EEEEDaSP_SQ_EUlSP_E0_NS1_11comp_targetILNS1_3genE10ELNS1_11target_archE1201ELNS1_3gpuE5ELNS1_3repE0EEENS1_30default_config_static_selectorELNS0_4arch9wavefront6targetE1EEEvT1_
    .private_segment_fixed_size: 0
    .sgpr_count:     4
    .sgpr_spill_count: 0
    .symbol:         _ZN7rocprim17ROCPRIM_400000_NS6detail17trampoline_kernelINS0_14default_configENS1_20scan_config_selectorIfEEZZNS1_9scan_implILNS1_25lookback_scan_determinismE0ELb1ELb1ES3_N6thrust23THRUST_200600_302600_NS6detail15normal_iteratorINS9_10device_ptrIfEEEESE_f11max_functorIfEfEEDaPvRmT3_T4_T5_mT6_P12ihipStream_tbENKUlT_T0_E_clISt17integral_constantIbLb1EEST_IbLb0EEEEDaSP_SQ_EUlSP_E0_NS1_11comp_targetILNS1_3genE10ELNS1_11target_archE1201ELNS1_3gpuE5ELNS1_3repE0EEENS1_30default_config_static_selectorELNS0_4arch9wavefront6targetE1EEEvT1_.kd
    .uniform_work_group_size: 1
    .uses_dynamic_stack: false
    .vgpr_count:     0
    .vgpr_spill_count: 0
    .wavefront_size: 64
  - .agpr_count:     0
    .args:
      - .offset:         0
        .size:           32
        .value_kind:     by_value
    .group_segment_fixed_size: 0
    .kernarg_segment_align: 8
    .kernarg_segment_size: 32
    .language:       OpenCL C
    .language_version:
      - 2
      - 0
    .max_flat_workgroup_size: 256
    .name:           _ZN7rocprim17ROCPRIM_400000_NS6detail17trampoline_kernelINS0_14default_configENS1_20scan_config_selectorIfEEZZNS1_9scan_implILNS1_25lookback_scan_determinismE0ELb1ELb1ES3_N6thrust23THRUST_200600_302600_NS6detail15normal_iteratorINS9_10device_ptrIfEEEESE_f11max_functorIfEfEEDaPvRmT3_T4_T5_mT6_P12ihipStream_tbENKUlT_T0_E_clISt17integral_constantIbLb1EEST_IbLb0EEEEDaSP_SQ_EUlSP_E0_NS1_11comp_targetILNS1_3genE10ELNS1_11target_archE1200ELNS1_3gpuE4ELNS1_3repE0EEENS1_30default_config_static_selectorELNS0_4arch9wavefront6targetE1EEEvT1_
    .private_segment_fixed_size: 0
    .sgpr_count:     4
    .sgpr_spill_count: 0
    .symbol:         _ZN7rocprim17ROCPRIM_400000_NS6detail17trampoline_kernelINS0_14default_configENS1_20scan_config_selectorIfEEZZNS1_9scan_implILNS1_25lookback_scan_determinismE0ELb1ELb1ES3_N6thrust23THRUST_200600_302600_NS6detail15normal_iteratorINS9_10device_ptrIfEEEESE_f11max_functorIfEfEEDaPvRmT3_T4_T5_mT6_P12ihipStream_tbENKUlT_T0_E_clISt17integral_constantIbLb1EEST_IbLb0EEEEDaSP_SQ_EUlSP_E0_NS1_11comp_targetILNS1_3genE10ELNS1_11target_archE1200ELNS1_3gpuE4ELNS1_3repE0EEENS1_30default_config_static_selectorELNS0_4arch9wavefront6targetE1EEEvT1_.kd
    .uniform_work_group_size: 1
    .uses_dynamic_stack: false
    .vgpr_count:     0
    .vgpr_spill_count: 0
    .wavefront_size: 64
  - .agpr_count:     0
    .args:
      - .offset:         0
        .size:           32
        .value_kind:     by_value
    .group_segment_fixed_size: 0
    .kernarg_segment_align: 8
    .kernarg_segment_size: 32
    .language:       OpenCL C
    .language_version:
      - 2
      - 0
    .max_flat_workgroup_size: 256
    .name:           _ZN7rocprim17ROCPRIM_400000_NS6detail17trampoline_kernelINS0_14default_configENS1_20scan_config_selectorIfEEZZNS1_9scan_implILNS1_25lookback_scan_determinismE0ELb1ELb1ES3_N6thrust23THRUST_200600_302600_NS6detail15normal_iteratorINS9_10device_ptrIfEEEESE_f11max_functorIfEfEEDaPvRmT3_T4_T5_mT6_P12ihipStream_tbENKUlT_T0_E_clISt17integral_constantIbLb1EEST_IbLb0EEEEDaSP_SQ_EUlSP_E0_NS1_11comp_targetILNS1_3genE9ELNS1_11target_archE1100ELNS1_3gpuE3ELNS1_3repE0EEENS1_30default_config_static_selectorELNS0_4arch9wavefront6targetE1EEEvT1_
    .private_segment_fixed_size: 0
    .sgpr_count:     4
    .sgpr_spill_count: 0
    .symbol:         _ZN7rocprim17ROCPRIM_400000_NS6detail17trampoline_kernelINS0_14default_configENS1_20scan_config_selectorIfEEZZNS1_9scan_implILNS1_25lookback_scan_determinismE0ELb1ELb1ES3_N6thrust23THRUST_200600_302600_NS6detail15normal_iteratorINS9_10device_ptrIfEEEESE_f11max_functorIfEfEEDaPvRmT3_T4_T5_mT6_P12ihipStream_tbENKUlT_T0_E_clISt17integral_constantIbLb1EEST_IbLb0EEEEDaSP_SQ_EUlSP_E0_NS1_11comp_targetILNS1_3genE9ELNS1_11target_archE1100ELNS1_3gpuE3ELNS1_3repE0EEENS1_30default_config_static_selectorELNS0_4arch9wavefront6targetE1EEEvT1_.kd
    .uniform_work_group_size: 1
    .uses_dynamic_stack: false
    .vgpr_count:     0
    .vgpr_spill_count: 0
    .wavefront_size: 64
  - .agpr_count:     0
    .args:
      - .offset:         0
        .size:           32
        .value_kind:     by_value
    .group_segment_fixed_size: 0
    .kernarg_segment_align: 8
    .kernarg_segment_size: 32
    .language:       OpenCL C
    .language_version:
      - 2
      - 0
    .max_flat_workgroup_size: 64
    .name:           _ZN7rocprim17ROCPRIM_400000_NS6detail17trampoline_kernelINS0_14default_configENS1_20scan_config_selectorIfEEZZNS1_9scan_implILNS1_25lookback_scan_determinismE0ELb1ELb1ES3_N6thrust23THRUST_200600_302600_NS6detail15normal_iteratorINS9_10device_ptrIfEEEESE_f11max_functorIfEfEEDaPvRmT3_T4_T5_mT6_P12ihipStream_tbENKUlT_T0_E_clISt17integral_constantIbLb1EEST_IbLb0EEEEDaSP_SQ_EUlSP_E0_NS1_11comp_targetILNS1_3genE8ELNS1_11target_archE1030ELNS1_3gpuE2ELNS1_3repE0EEENS1_30default_config_static_selectorELNS0_4arch9wavefront6targetE1EEEvT1_
    .private_segment_fixed_size: 0
    .sgpr_count:     4
    .sgpr_spill_count: 0
    .symbol:         _ZN7rocprim17ROCPRIM_400000_NS6detail17trampoline_kernelINS0_14default_configENS1_20scan_config_selectorIfEEZZNS1_9scan_implILNS1_25lookback_scan_determinismE0ELb1ELb1ES3_N6thrust23THRUST_200600_302600_NS6detail15normal_iteratorINS9_10device_ptrIfEEEESE_f11max_functorIfEfEEDaPvRmT3_T4_T5_mT6_P12ihipStream_tbENKUlT_T0_E_clISt17integral_constantIbLb1EEST_IbLb0EEEEDaSP_SQ_EUlSP_E0_NS1_11comp_targetILNS1_3genE8ELNS1_11target_archE1030ELNS1_3gpuE2ELNS1_3repE0EEENS1_30default_config_static_selectorELNS0_4arch9wavefront6targetE1EEEvT1_.kd
    .uniform_work_group_size: 1
    .uses_dynamic_stack: false
    .vgpr_count:     0
    .vgpr_spill_count: 0
    .wavefront_size: 64
  - .agpr_count:     0
    .args:
      - .offset:         0
        .size:           96
        .value_kind:     by_value
    .group_segment_fixed_size: 0
    .kernarg_segment_align: 8
    .kernarg_segment_size: 96
    .language:       OpenCL C
    .language_version:
      - 2
      - 0
    .max_flat_workgroup_size: 256
    .name:           _ZN7rocprim17ROCPRIM_400000_NS6detail17trampoline_kernelINS0_14default_configENS1_20scan_config_selectorIfEEZZNS1_9scan_implILNS1_25lookback_scan_determinismE0ELb1ELb1ES3_N6thrust23THRUST_200600_302600_NS6detail15normal_iteratorINS9_10device_ptrIfEEEESE_f11max_functorIfEfEEDaPvRmT3_T4_T5_mT6_P12ihipStream_tbENKUlT_T0_E_clISt17integral_constantIbLb0EEST_IbLb1EEEEDaSP_SQ_EUlSP_E_NS1_11comp_targetILNS1_3genE0ELNS1_11target_archE4294967295ELNS1_3gpuE0ELNS1_3repE0EEENS1_30default_config_static_selectorELNS0_4arch9wavefront6targetE1EEEvT1_
    .private_segment_fixed_size: 0
    .sgpr_count:     4
    .sgpr_spill_count: 0
    .symbol:         _ZN7rocprim17ROCPRIM_400000_NS6detail17trampoline_kernelINS0_14default_configENS1_20scan_config_selectorIfEEZZNS1_9scan_implILNS1_25lookback_scan_determinismE0ELb1ELb1ES3_N6thrust23THRUST_200600_302600_NS6detail15normal_iteratorINS9_10device_ptrIfEEEESE_f11max_functorIfEfEEDaPvRmT3_T4_T5_mT6_P12ihipStream_tbENKUlT_T0_E_clISt17integral_constantIbLb0EEST_IbLb1EEEEDaSP_SQ_EUlSP_E_NS1_11comp_targetILNS1_3genE0ELNS1_11target_archE4294967295ELNS1_3gpuE0ELNS1_3repE0EEENS1_30default_config_static_selectorELNS0_4arch9wavefront6targetE1EEEvT1_.kd
    .uniform_work_group_size: 1
    .uses_dynamic_stack: false
    .vgpr_count:     0
    .vgpr_spill_count: 0
    .wavefront_size: 64
  - .agpr_count:     0
    .args:
      - .offset:         0
        .size:           96
        .value_kind:     by_value
    .group_segment_fixed_size: 0
    .kernarg_segment_align: 8
    .kernarg_segment_size: 96
    .language:       OpenCL C
    .language_version:
      - 2
      - 0
    .max_flat_workgroup_size: 256
    .name:           _ZN7rocprim17ROCPRIM_400000_NS6detail17trampoline_kernelINS0_14default_configENS1_20scan_config_selectorIfEEZZNS1_9scan_implILNS1_25lookback_scan_determinismE0ELb1ELb1ES3_N6thrust23THRUST_200600_302600_NS6detail15normal_iteratorINS9_10device_ptrIfEEEESE_f11max_functorIfEfEEDaPvRmT3_T4_T5_mT6_P12ihipStream_tbENKUlT_T0_E_clISt17integral_constantIbLb0EEST_IbLb1EEEEDaSP_SQ_EUlSP_E_NS1_11comp_targetILNS1_3genE5ELNS1_11target_archE942ELNS1_3gpuE9ELNS1_3repE0EEENS1_30default_config_static_selectorELNS0_4arch9wavefront6targetE1EEEvT1_
    .private_segment_fixed_size: 0
    .sgpr_count:     4
    .sgpr_spill_count: 0
    .symbol:         _ZN7rocprim17ROCPRIM_400000_NS6detail17trampoline_kernelINS0_14default_configENS1_20scan_config_selectorIfEEZZNS1_9scan_implILNS1_25lookback_scan_determinismE0ELb1ELb1ES3_N6thrust23THRUST_200600_302600_NS6detail15normal_iteratorINS9_10device_ptrIfEEEESE_f11max_functorIfEfEEDaPvRmT3_T4_T5_mT6_P12ihipStream_tbENKUlT_T0_E_clISt17integral_constantIbLb0EEST_IbLb1EEEEDaSP_SQ_EUlSP_E_NS1_11comp_targetILNS1_3genE5ELNS1_11target_archE942ELNS1_3gpuE9ELNS1_3repE0EEENS1_30default_config_static_selectorELNS0_4arch9wavefront6targetE1EEEvT1_.kd
    .uniform_work_group_size: 1
    .uses_dynamic_stack: false
    .vgpr_count:     0
    .vgpr_spill_count: 0
    .wavefront_size: 64
  - .agpr_count:     0
    .args:
      - .offset:         0
        .size:           96
        .value_kind:     by_value
    .group_segment_fixed_size: 7168
    .kernarg_segment_align: 8
    .kernarg_segment_size: 96
    .language:       OpenCL C
    .language_version:
      - 2
      - 0
    .max_flat_workgroup_size: 128
    .name:           _ZN7rocprim17ROCPRIM_400000_NS6detail17trampoline_kernelINS0_14default_configENS1_20scan_config_selectorIfEEZZNS1_9scan_implILNS1_25lookback_scan_determinismE0ELb1ELb1ES3_N6thrust23THRUST_200600_302600_NS6detail15normal_iteratorINS9_10device_ptrIfEEEESE_f11max_functorIfEfEEDaPvRmT3_T4_T5_mT6_P12ihipStream_tbENKUlT_T0_E_clISt17integral_constantIbLb0EEST_IbLb1EEEEDaSP_SQ_EUlSP_E_NS1_11comp_targetILNS1_3genE4ELNS1_11target_archE910ELNS1_3gpuE8ELNS1_3repE0EEENS1_30default_config_static_selectorELNS0_4arch9wavefront6targetE1EEEvT1_
    .private_segment_fixed_size: 0
    .sgpr_count:     43
    .sgpr_spill_count: 0
    .symbol:         _ZN7rocprim17ROCPRIM_400000_NS6detail17trampoline_kernelINS0_14default_configENS1_20scan_config_selectorIfEEZZNS1_9scan_implILNS1_25lookback_scan_determinismE0ELb1ELb1ES3_N6thrust23THRUST_200600_302600_NS6detail15normal_iteratorINS9_10device_ptrIfEEEESE_f11max_functorIfEfEEDaPvRmT3_T4_T5_mT6_P12ihipStream_tbENKUlT_T0_E_clISt17integral_constantIbLb0EEST_IbLb1EEEEDaSP_SQ_EUlSP_E_NS1_11comp_targetILNS1_3genE4ELNS1_11target_archE910ELNS1_3gpuE8ELNS1_3repE0EEENS1_30default_config_static_selectorELNS0_4arch9wavefront6targetE1EEEvT1_.kd
    .uniform_work_group_size: 1
    .uses_dynamic_stack: false
    .vgpr_count:     44
    .vgpr_spill_count: 0
    .wavefront_size: 64
  - .agpr_count:     0
    .args:
      - .offset:         0
        .size:           96
        .value_kind:     by_value
    .group_segment_fixed_size: 0
    .kernarg_segment_align: 8
    .kernarg_segment_size: 96
    .language:       OpenCL C
    .language_version:
      - 2
      - 0
    .max_flat_workgroup_size: 256
    .name:           _ZN7rocprim17ROCPRIM_400000_NS6detail17trampoline_kernelINS0_14default_configENS1_20scan_config_selectorIfEEZZNS1_9scan_implILNS1_25lookback_scan_determinismE0ELb1ELb1ES3_N6thrust23THRUST_200600_302600_NS6detail15normal_iteratorINS9_10device_ptrIfEEEESE_f11max_functorIfEfEEDaPvRmT3_T4_T5_mT6_P12ihipStream_tbENKUlT_T0_E_clISt17integral_constantIbLb0EEST_IbLb1EEEEDaSP_SQ_EUlSP_E_NS1_11comp_targetILNS1_3genE3ELNS1_11target_archE908ELNS1_3gpuE7ELNS1_3repE0EEENS1_30default_config_static_selectorELNS0_4arch9wavefront6targetE1EEEvT1_
    .private_segment_fixed_size: 0
    .sgpr_count:     4
    .sgpr_spill_count: 0
    .symbol:         _ZN7rocprim17ROCPRIM_400000_NS6detail17trampoline_kernelINS0_14default_configENS1_20scan_config_selectorIfEEZZNS1_9scan_implILNS1_25lookback_scan_determinismE0ELb1ELb1ES3_N6thrust23THRUST_200600_302600_NS6detail15normal_iteratorINS9_10device_ptrIfEEEESE_f11max_functorIfEfEEDaPvRmT3_T4_T5_mT6_P12ihipStream_tbENKUlT_T0_E_clISt17integral_constantIbLb0EEST_IbLb1EEEEDaSP_SQ_EUlSP_E_NS1_11comp_targetILNS1_3genE3ELNS1_11target_archE908ELNS1_3gpuE7ELNS1_3repE0EEENS1_30default_config_static_selectorELNS0_4arch9wavefront6targetE1EEEvT1_.kd
    .uniform_work_group_size: 1
    .uses_dynamic_stack: false
    .vgpr_count:     0
    .vgpr_spill_count: 0
    .wavefront_size: 64
  - .agpr_count:     0
    .args:
      - .offset:         0
        .size:           96
        .value_kind:     by_value
    .group_segment_fixed_size: 0
    .kernarg_segment_align: 8
    .kernarg_segment_size: 96
    .language:       OpenCL C
    .language_version:
      - 2
      - 0
    .max_flat_workgroup_size: 256
    .name:           _ZN7rocprim17ROCPRIM_400000_NS6detail17trampoline_kernelINS0_14default_configENS1_20scan_config_selectorIfEEZZNS1_9scan_implILNS1_25lookback_scan_determinismE0ELb1ELb1ES3_N6thrust23THRUST_200600_302600_NS6detail15normal_iteratorINS9_10device_ptrIfEEEESE_f11max_functorIfEfEEDaPvRmT3_T4_T5_mT6_P12ihipStream_tbENKUlT_T0_E_clISt17integral_constantIbLb0EEST_IbLb1EEEEDaSP_SQ_EUlSP_E_NS1_11comp_targetILNS1_3genE2ELNS1_11target_archE906ELNS1_3gpuE6ELNS1_3repE0EEENS1_30default_config_static_selectorELNS0_4arch9wavefront6targetE1EEEvT1_
    .private_segment_fixed_size: 0
    .sgpr_count:     4
    .sgpr_spill_count: 0
    .symbol:         _ZN7rocprim17ROCPRIM_400000_NS6detail17trampoline_kernelINS0_14default_configENS1_20scan_config_selectorIfEEZZNS1_9scan_implILNS1_25lookback_scan_determinismE0ELb1ELb1ES3_N6thrust23THRUST_200600_302600_NS6detail15normal_iteratorINS9_10device_ptrIfEEEESE_f11max_functorIfEfEEDaPvRmT3_T4_T5_mT6_P12ihipStream_tbENKUlT_T0_E_clISt17integral_constantIbLb0EEST_IbLb1EEEEDaSP_SQ_EUlSP_E_NS1_11comp_targetILNS1_3genE2ELNS1_11target_archE906ELNS1_3gpuE6ELNS1_3repE0EEENS1_30default_config_static_selectorELNS0_4arch9wavefront6targetE1EEEvT1_.kd
    .uniform_work_group_size: 1
    .uses_dynamic_stack: false
    .vgpr_count:     0
    .vgpr_spill_count: 0
    .wavefront_size: 64
  - .agpr_count:     0
    .args:
      - .offset:         0
        .size:           96
        .value_kind:     by_value
    .group_segment_fixed_size: 0
    .kernarg_segment_align: 8
    .kernarg_segment_size: 96
    .language:       OpenCL C
    .language_version:
      - 2
      - 0
    .max_flat_workgroup_size: 256
    .name:           _ZN7rocprim17ROCPRIM_400000_NS6detail17trampoline_kernelINS0_14default_configENS1_20scan_config_selectorIfEEZZNS1_9scan_implILNS1_25lookback_scan_determinismE0ELb1ELb1ES3_N6thrust23THRUST_200600_302600_NS6detail15normal_iteratorINS9_10device_ptrIfEEEESE_f11max_functorIfEfEEDaPvRmT3_T4_T5_mT6_P12ihipStream_tbENKUlT_T0_E_clISt17integral_constantIbLb0EEST_IbLb1EEEEDaSP_SQ_EUlSP_E_NS1_11comp_targetILNS1_3genE10ELNS1_11target_archE1201ELNS1_3gpuE5ELNS1_3repE0EEENS1_30default_config_static_selectorELNS0_4arch9wavefront6targetE1EEEvT1_
    .private_segment_fixed_size: 0
    .sgpr_count:     4
    .sgpr_spill_count: 0
    .symbol:         _ZN7rocprim17ROCPRIM_400000_NS6detail17trampoline_kernelINS0_14default_configENS1_20scan_config_selectorIfEEZZNS1_9scan_implILNS1_25lookback_scan_determinismE0ELb1ELb1ES3_N6thrust23THRUST_200600_302600_NS6detail15normal_iteratorINS9_10device_ptrIfEEEESE_f11max_functorIfEfEEDaPvRmT3_T4_T5_mT6_P12ihipStream_tbENKUlT_T0_E_clISt17integral_constantIbLb0EEST_IbLb1EEEEDaSP_SQ_EUlSP_E_NS1_11comp_targetILNS1_3genE10ELNS1_11target_archE1201ELNS1_3gpuE5ELNS1_3repE0EEENS1_30default_config_static_selectorELNS0_4arch9wavefront6targetE1EEEvT1_.kd
    .uniform_work_group_size: 1
    .uses_dynamic_stack: false
    .vgpr_count:     0
    .vgpr_spill_count: 0
    .wavefront_size: 64
  - .agpr_count:     0
    .args:
      - .offset:         0
        .size:           96
        .value_kind:     by_value
    .group_segment_fixed_size: 0
    .kernarg_segment_align: 8
    .kernarg_segment_size: 96
    .language:       OpenCL C
    .language_version:
      - 2
      - 0
    .max_flat_workgroup_size: 256
    .name:           _ZN7rocprim17ROCPRIM_400000_NS6detail17trampoline_kernelINS0_14default_configENS1_20scan_config_selectorIfEEZZNS1_9scan_implILNS1_25lookback_scan_determinismE0ELb1ELb1ES3_N6thrust23THRUST_200600_302600_NS6detail15normal_iteratorINS9_10device_ptrIfEEEESE_f11max_functorIfEfEEDaPvRmT3_T4_T5_mT6_P12ihipStream_tbENKUlT_T0_E_clISt17integral_constantIbLb0EEST_IbLb1EEEEDaSP_SQ_EUlSP_E_NS1_11comp_targetILNS1_3genE10ELNS1_11target_archE1200ELNS1_3gpuE4ELNS1_3repE0EEENS1_30default_config_static_selectorELNS0_4arch9wavefront6targetE1EEEvT1_
    .private_segment_fixed_size: 0
    .sgpr_count:     4
    .sgpr_spill_count: 0
    .symbol:         _ZN7rocprim17ROCPRIM_400000_NS6detail17trampoline_kernelINS0_14default_configENS1_20scan_config_selectorIfEEZZNS1_9scan_implILNS1_25lookback_scan_determinismE0ELb1ELb1ES3_N6thrust23THRUST_200600_302600_NS6detail15normal_iteratorINS9_10device_ptrIfEEEESE_f11max_functorIfEfEEDaPvRmT3_T4_T5_mT6_P12ihipStream_tbENKUlT_T0_E_clISt17integral_constantIbLb0EEST_IbLb1EEEEDaSP_SQ_EUlSP_E_NS1_11comp_targetILNS1_3genE10ELNS1_11target_archE1200ELNS1_3gpuE4ELNS1_3repE0EEENS1_30default_config_static_selectorELNS0_4arch9wavefront6targetE1EEEvT1_.kd
    .uniform_work_group_size: 1
    .uses_dynamic_stack: false
    .vgpr_count:     0
    .vgpr_spill_count: 0
    .wavefront_size: 64
  - .agpr_count:     0
    .args:
      - .offset:         0
        .size:           96
        .value_kind:     by_value
    .group_segment_fixed_size: 0
    .kernarg_segment_align: 8
    .kernarg_segment_size: 96
    .language:       OpenCL C
    .language_version:
      - 2
      - 0
    .max_flat_workgroup_size: 256
    .name:           _ZN7rocprim17ROCPRIM_400000_NS6detail17trampoline_kernelINS0_14default_configENS1_20scan_config_selectorIfEEZZNS1_9scan_implILNS1_25lookback_scan_determinismE0ELb1ELb1ES3_N6thrust23THRUST_200600_302600_NS6detail15normal_iteratorINS9_10device_ptrIfEEEESE_f11max_functorIfEfEEDaPvRmT3_T4_T5_mT6_P12ihipStream_tbENKUlT_T0_E_clISt17integral_constantIbLb0EEST_IbLb1EEEEDaSP_SQ_EUlSP_E_NS1_11comp_targetILNS1_3genE9ELNS1_11target_archE1100ELNS1_3gpuE3ELNS1_3repE0EEENS1_30default_config_static_selectorELNS0_4arch9wavefront6targetE1EEEvT1_
    .private_segment_fixed_size: 0
    .sgpr_count:     4
    .sgpr_spill_count: 0
    .symbol:         _ZN7rocprim17ROCPRIM_400000_NS6detail17trampoline_kernelINS0_14default_configENS1_20scan_config_selectorIfEEZZNS1_9scan_implILNS1_25lookback_scan_determinismE0ELb1ELb1ES3_N6thrust23THRUST_200600_302600_NS6detail15normal_iteratorINS9_10device_ptrIfEEEESE_f11max_functorIfEfEEDaPvRmT3_T4_T5_mT6_P12ihipStream_tbENKUlT_T0_E_clISt17integral_constantIbLb0EEST_IbLb1EEEEDaSP_SQ_EUlSP_E_NS1_11comp_targetILNS1_3genE9ELNS1_11target_archE1100ELNS1_3gpuE3ELNS1_3repE0EEENS1_30default_config_static_selectorELNS0_4arch9wavefront6targetE1EEEvT1_.kd
    .uniform_work_group_size: 1
    .uses_dynamic_stack: false
    .vgpr_count:     0
    .vgpr_spill_count: 0
    .wavefront_size: 64
  - .agpr_count:     0
    .args:
      - .offset:         0
        .size:           96
        .value_kind:     by_value
    .group_segment_fixed_size: 0
    .kernarg_segment_align: 8
    .kernarg_segment_size: 96
    .language:       OpenCL C
    .language_version:
      - 2
      - 0
    .max_flat_workgroup_size: 64
    .name:           _ZN7rocprim17ROCPRIM_400000_NS6detail17trampoline_kernelINS0_14default_configENS1_20scan_config_selectorIfEEZZNS1_9scan_implILNS1_25lookback_scan_determinismE0ELb1ELb1ES3_N6thrust23THRUST_200600_302600_NS6detail15normal_iteratorINS9_10device_ptrIfEEEESE_f11max_functorIfEfEEDaPvRmT3_T4_T5_mT6_P12ihipStream_tbENKUlT_T0_E_clISt17integral_constantIbLb0EEST_IbLb1EEEEDaSP_SQ_EUlSP_E_NS1_11comp_targetILNS1_3genE8ELNS1_11target_archE1030ELNS1_3gpuE2ELNS1_3repE0EEENS1_30default_config_static_selectorELNS0_4arch9wavefront6targetE1EEEvT1_
    .private_segment_fixed_size: 0
    .sgpr_count:     4
    .sgpr_spill_count: 0
    .symbol:         _ZN7rocprim17ROCPRIM_400000_NS6detail17trampoline_kernelINS0_14default_configENS1_20scan_config_selectorIfEEZZNS1_9scan_implILNS1_25lookback_scan_determinismE0ELb1ELb1ES3_N6thrust23THRUST_200600_302600_NS6detail15normal_iteratorINS9_10device_ptrIfEEEESE_f11max_functorIfEfEEDaPvRmT3_T4_T5_mT6_P12ihipStream_tbENKUlT_T0_E_clISt17integral_constantIbLb0EEST_IbLb1EEEEDaSP_SQ_EUlSP_E_NS1_11comp_targetILNS1_3genE8ELNS1_11target_archE1030ELNS1_3gpuE2ELNS1_3repE0EEENS1_30default_config_static_selectorELNS0_4arch9wavefront6targetE1EEEvT1_.kd
    .uniform_work_group_size: 1
    .uses_dynamic_stack: false
    .vgpr_count:     0
    .vgpr_spill_count: 0
    .wavefront_size: 64
  - .agpr_count:     0
    .args:
      - .offset:         0
        .size:           32
        .value_kind:     by_value
    .group_segment_fixed_size: 0
    .kernarg_segment_align: 8
    .kernarg_segment_size: 32
    .language:       OpenCL C
    .language_version:
      - 2
      - 0
    .max_flat_workgroup_size: 256
    .name:           _ZN7rocprim17ROCPRIM_400000_NS6detail17trampoline_kernelINS0_14default_configENS1_20scan_config_selectorIfEEZZNS1_9scan_implILNS1_25lookback_scan_determinismE0ELb1ELb1ES3_N6thrust23THRUST_200600_302600_NS6detail15normal_iteratorINS9_10device_ptrIfEEEESE_f11max_functorIfEfEEDaPvRmT3_T4_T5_mT6_P12ihipStream_tbENKUlT_T0_E_clISt17integral_constantIbLb0EEST_IbLb1EEEEDaSP_SQ_EUlSP_E0_NS1_11comp_targetILNS1_3genE0ELNS1_11target_archE4294967295ELNS1_3gpuE0ELNS1_3repE0EEENS1_30default_config_static_selectorELNS0_4arch9wavefront6targetE1EEEvT1_
    .private_segment_fixed_size: 0
    .sgpr_count:     4
    .sgpr_spill_count: 0
    .symbol:         _ZN7rocprim17ROCPRIM_400000_NS6detail17trampoline_kernelINS0_14default_configENS1_20scan_config_selectorIfEEZZNS1_9scan_implILNS1_25lookback_scan_determinismE0ELb1ELb1ES3_N6thrust23THRUST_200600_302600_NS6detail15normal_iteratorINS9_10device_ptrIfEEEESE_f11max_functorIfEfEEDaPvRmT3_T4_T5_mT6_P12ihipStream_tbENKUlT_T0_E_clISt17integral_constantIbLb0EEST_IbLb1EEEEDaSP_SQ_EUlSP_E0_NS1_11comp_targetILNS1_3genE0ELNS1_11target_archE4294967295ELNS1_3gpuE0ELNS1_3repE0EEENS1_30default_config_static_selectorELNS0_4arch9wavefront6targetE1EEEvT1_.kd
    .uniform_work_group_size: 1
    .uses_dynamic_stack: false
    .vgpr_count:     0
    .vgpr_spill_count: 0
    .wavefront_size: 64
  - .agpr_count:     0
    .args:
      - .offset:         0
        .size:           32
        .value_kind:     by_value
    .group_segment_fixed_size: 0
    .kernarg_segment_align: 8
    .kernarg_segment_size: 32
    .language:       OpenCL C
    .language_version:
      - 2
      - 0
    .max_flat_workgroup_size: 256
    .name:           _ZN7rocprim17ROCPRIM_400000_NS6detail17trampoline_kernelINS0_14default_configENS1_20scan_config_selectorIfEEZZNS1_9scan_implILNS1_25lookback_scan_determinismE0ELb1ELb1ES3_N6thrust23THRUST_200600_302600_NS6detail15normal_iteratorINS9_10device_ptrIfEEEESE_f11max_functorIfEfEEDaPvRmT3_T4_T5_mT6_P12ihipStream_tbENKUlT_T0_E_clISt17integral_constantIbLb0EEST_IbLb1EEEEDaSP_SQ_EUlSP_E0_NS1_11comp_targetILNS1_3genE5ELNS1_11target_archE942ELNS1_3gpuE9ELNS1_3repE0EEENS1_30default_config_static_selectorELNS0_4arch9wavefront6targetE1EEEvT1_
    .private_segment_fixed_size: 0
    .sgpr_count:     4
    .sgpr_spill_count: 0
    .symbol:         _ZN7rocprim17ROCPRIM_400000_NS6detail17trampoline_kernelINS0_14default_configENS1_20scan_config_selectorIfEEZZNS1_9scan_implILNS1_25lookback_scan_determinismE0ELb1ELb1ES3_N6thrust23THRUST_200600_302600_NS6detail15normal_iteratorINS9_10device_ptrIfEEEESE_f11max_functorIfEfEEDaPvRmT3_T4_T5_mT6_P12ihipStream_tbENKUlT_T0_E_clISt17integral_constantIbLb0EEST_IbLb1EEEEDaSP_SQ_EUlSP_E0_NS1_11comp_targetILNS1_3genE5ELNS1_11target_archE942ELNS1_3gpuE9ELNS1_3repE0EEENS1_30default_config_static_selectorELNS0_4arch9wavefront6targetE1EEEvT1_.kd
    .uniform_work_group_size: 1
    .uses_dynamic_stack: false
    .vgpr_count:     0
    .vgpr_spill_count: 0
    .wavefront_size: 64
  - .agpr_count:     0
    .args:
      - .offset:         0
        .size:           32
        .value_kind:     by_value
    .group_segment_fixed_size: 7168
    .kernarg_segment_align: 8
    .kernarg_segment_size: 32
    .language:       OpenCL C
    .language_version:
      - 2
      - 0
    .max_flat_workgroup_size: 128
    .name:           _ZN7rocprim17ROCPRIM_400000_NS6detail17trampoline_kernelINS0_14default_configENS1_20scan_config_selectorIfEEZZNS1_9scan_implILNS1_25lookback_scan_determinismE0ELb1ELb1ES3_N6thrust23THRUST_200600_302600_NS6detail15normal_iteratorINS9_10device_ptrIfEEEESE_f11max_functorIfEfEEDaPvRmT3_T4_T5_mT6_P12ihipStream_tbENKUlT_T0_E_clISt17integral_constantIbLb0EEST_IbLb1EEEEDaSP_SQ_EUlSP_E0_NS1_11comp_targetILNS1_3genE4ELNS1_11target_archE910ELNS1_3gpuE8ELNS1_3repE0EEENS1_30default_config_static_selectorELNS0_4arch9wavefront6targetE1EEEvT1_
    .private_segment_fixed_size: 0
    .sgpr_count:     44
    .sgpr_spill_count: 0
    .symbol:         _ZN7rocprim17ROCPRIM_400000_NS6detail17trampoline_kernelINS0_14default_configENS1_20scan_config_selectorIfEEZZNS1_9scan_implILNS1_25lookback_scan_determinismE0ELb1ELb1ES3_N6thrust23THRUST_200600_302600_NS6detail15normal_iteratorINS9_10device_ptrIfEEEESE_f11max_functorIfEfEEDaPvRmT3_T4_T5_mT6_P12ihipStream_tbENKUlT_T0_E_clISt17integral_constantIbLb0EEST_IbLb1EEEEDaSP_SQ_EUlSP_E0_NS1_11comp_targetILNS1_3genE4ELNS1_11target_archE910ELNS1_3gpuE8ELNS1_3repE0EEENS1_30default_config_static_selectorELNS0_4arch9wavefront6targetE1EEEvT1_.kd
    .uniform_work_group_size: 1
    .uses_dynamic_stack: false
    .vgpr_count:     24
    .vgpr_spill_count: 0
    .wavefront_size: 64
  - .agpr_count:     0
    .args:
      - .offset:         0
        .size:           32
        .value_kind:     by_value
    .group_segment_fixed_size: 0
    .kernarg_segment_align: 8
    .kernarg_segment_size: 32
    .language:       OpenCL C
    .language_version:
      - 2
      - 0
    .max_flat_workgroup_size: 256
    .name:           _ZN7rocprim17ROCPRIM_400000_NS6detail17trampoline_kernelINS0_14default_configENS1_20scan_config_selectorIfEEZZNS1_9scan_implILNS1_25lookback_scan_determinismE0ELb1ELb1ES3_N6thrust23THRUST_200600_302600_NS6detail15normal_iteratorINS9_10device_ptrIfEEEESE_f11max_functorIfEfEEDaPvRmT3_T4_T5_mT6_P12ihipStream_tbENKUlT_T0_E_clISt17integral_constantIbLb0EEST_IbLb1EEEEDaSP_SQ_EUlSP_E0_NS1_11comp_targetILNS1_3genE3ELNS1_11target_archE908ELNS1_3gpuE7ELNS1_3repE0EEENS1_30default_config_static_selectorELNS0_4arch9wavefront6targetE1EEEvT1_
    .private_segment_fixed_size: 0
    .sgpr_count:     4
    .sgpr_spill_count: 0
    .symbol:         _ZN7rocprim17ROCPRIM_400000_NS6detail17trampoline_kernelINS0_14default_configENS1_20scan_config_selectorIfEEZZNS1_9scan_implILNS1_25lookback_scan_determinismE0ELb1ELb1ES3_N6thrust23THRUST_200600_302600_NS6detail15normal_iteratorINS9_10device_ptrIfEEEESE_f11max_functorIfEfEEDaPvRmT3_T4_T5_mT6_P12ihipStream_tbENKUlT_T0_E_clISt17integral_constantIbLb0EEST_IbLb1EEEEDaSP_SQ_EUlSP_E0_NS1_11comp_targetILNS1_3genE3ELNS1_11target_archE908ELNS1_3gpuE7ELNS1_3repE0EEENS1_30default_config_static_selectorELNS0_4arch9wavefront6targetE1EEEvT1_.kd
    .uniform_work_group_size: 1
    .uses_dynamic_stack: false
    .vgpr_count:     0
    .vgpr_spill_count: 0
    .wavefront_size: 64
  - .agpr_count:     0
    .args:
      - .offset:         0
        .size:           32
        .value_kind:     by_value
    .group_segment_fixed_size: 0
    .kernarg_segment_align: 8
    .kernarg_segment_size: 32
    .language:       OpenCL C
    .language_version:
      - 2
      - 0
    .max_flat_workgroup_size: 256
    .name:           _ZN7rocprim17ROCPRIM_400000_NS6detail17trampoline_kernelINS0_14default_configENS1_20scan_config_selectorIfEEZZNS1_9scan_implILNS1_25lookback_scan_determinismE0ELb1ELb1ES3_N6thrust23THRUST_200600_302600_NS6detail15normal_iteratorINS9_10device_ptrIfEEEESE_f11max_functorIfEfEEDaPvRmT3_T4_T5_mT6_P12ihipStream_tbENKUlT_T0_E_clISt17integral_constantIbLb0EEST_IbLb1EEEEDaSP_SQ_EUlSP_E0_NS1_11comp_targetILNS1_3genE2ELNS1_11target_archE906ELNS1_3gpuE6ELNS1_3repE0EEENS1_30default_config_static_selectorELNS0_4arch9wavefront6targetE1EEEvT1_
    .private_segment_fixed_size: 0
    .sgpr_count:     4
    .sgpr_spill_count: 0
    .symbol:         _ZN7rocprim17ROCPRIM_400000_NS6detail17trampoline_kernelINS0_14default_configENS1_20scan_config_selectorIfEEZZNS1_9scan_implILNS1_25lookback_scan_determinismE0ELb1ELb1ES3_N6thrust23THRUST_200600_302600_NS6detail15normal_iteratorINS9_10device_ptrIfEEEESE_f11max_functorIfEfEEDaPvRmT3_T4_T5_mT6_P12ihipStream_tbENKUlT_T0_E_clISt17integral_constantIbLb0EEST_IbLb1EEEEDaSP_SQ_EUlSP_E0_NS1_11comp_targetILNS1_3genE2ELNS1_11target_archE906ELNS1_3gpuE6ELNS1_3repE0EEENS1_30default_config_static_selectorELNS0_4arch9wavefront6targetE1EEEvT1_.kd
    .uniform_work_group_size: 1
    .uses_dynamic_stack: false
    .vgpr_count:     0
    .vgpr_spill_count: 0
    .wavefront_size: 64
  - .agpr_count:     0
    .args:
      - .offset:         0
        .size:           32
        .value_kind:     by_value
    .group_segment_fixed_size: 0
    .kernarg_segment_align: 8
    .kernarg_segment_size: 32
    .language:       OpenCL C
    .language_version:
      - 2
      - 0
    .max_flat_workgroup_size: 256
    .name:           _ZN7rocprim17ROCPRIM_400000_NS6detail17trampoline_kernelINS0_14default_configENS1_20scan_config_selectorIfEEZZNS1_9scan_implILNS1_25lookback_scan_determinismE0ELb1ELb1ES3_N6thrust23THRUST_200600_302600_NS6detail15normal_iteratorINS9_10device_ptrIfEEEESE_f11max_functorIfEfEEDaPvRmT3_T4_T5_mT6_P12ihipStream_tbENKUlT_T0_E_clISt17integral_constantIbLb0EEST_IbLb1EEEEDaSP_SQ_EUlSP_E0_NS1_11comp_targetILNS1_3genE10ELNS1_11target_archE1201ELNS1_3gpuE5ELNS1_3repE0EEENS1_30default_config_static_selectorELNS0_4arch9wavefront6targetE1EEEvT1_
    .private_segment_fixed_size: 0
    .sgpr_count:     4
    .sgpr_spill_count: 0
    .symbol:         _ZN7rocprim17ROCPRIM_400000_NS6detail17trampoline_kernelINS0_14default_configENS1_20scan_config_selectorIfEEZZNS1_9scan_implILNS1_25lookback_scan_determinismE0ELb1ELb1ES3_N6thrust23THRUST_200600_302600_NS6detail15normal_iteratorINS9_10device_ptrIfEEEESE_f11max_functorIfEfEEDaPvRmT3_T4_T5_mT6_P12ihipStream_tbENKUlT_T0_E_clISt17integral_constantIbLb0EEST_IbLb1EEEEDaSP_SQ_EUlSP_E0_NS1_11comp_targetILNS1_3genE10ELNS1_11target_archE1201ELNS1_3gpuE5ELNS1_3repE0EEENS1_30default_config_static_selectorELNS0_4arch9wavefront6targetE1EEEvT1_.kd
    .uniform_work_group_size: 1
    .uses_dynamic_stack: false
    .vgpr_count:     0
    .vgpr_spill_count: 0
    .wavefront_size: 64
  - .agpr_count:     0
    .args:
      - .offset:         0
        .size:           32
        .value_kind:     by_value
    .group_segment_fixed_size: 0
    .kernarg_segment_align: 8
    .kernarg_segment_size: 32
    .language:       OpenCL C
    .language_version:
      - 2
      - 0
    .max_flat_workgroup_size: 256
    .name:           _ZN7rocprim17ROCPRIM_400000_NS6detail17trampoline_kernelINS0_14default_configENS1_20scan_config_selectorIfEEZZNS1_9scan_implILNS1_25lookback_scan_determinismE0ELb1ELb1ES3_N6thrust23THRUST_200600_302600_NS6detail15normal_iteratorINS9_10device_ptrIfEEEESE_f11max_functorIfEfEEDaPvRmT3_T4_T5_mT6_P12ihipStream_tbENKUlT_T0_E_clISt17integral_constantIbLb0EEST_IbLb1EEEEDaSP_SQ_EUlSP_E0_NS1_11comp_targetILNS1_3genE10ELNS1_11target_archE1200ELNS1_3gpuE4ELNS1_3repE0EEENS1_30default_config_static_selectorELNS0_4arch9wavefront6targetE1EEEvT1_
    .private_segment_fixed_size: 0
    .sgpr_count:     4
    .sgpr_spill_count: 0
    .symbol:         _ZN7rocprim17ROCPRIM_400000_NS6detail17trampoline_kernelINS0_14default_configENS1_20scan_config_selectorIfEEZZNS1_9scan_implILNS1_25lookback_scan_determinismE0ELb1ELb1ES3_N6thrust23THRUST_200600_302600_NS6detail15normal_iteratorINS9_10device_ptrIfEEEESE_f11max_functorIfEfEEDaPvRmT3_T4_T5_mT6_P12ihipStream_tbENKUlT_T0_E_clISt17integral_constantIbLb0EEST_IbLb1EEEEDaSP_SQ_EUlSP_E0_NS1_11comp_targetILNS1_3genE10ELNS1_11target_archE1200ELNS1_3gpuE4ELNS1_3repE0EEENS1_30default_config_static_selectorELNS0_4arch9wavefront6targetE1EEEvT1_.kd
    .uniform_work_group_size: 1
    .uses_dynamic_stack: false
    .vgpr_count:     0
    .vgpr_spill_count: 0
    .wavefront_size: 64
  - .agpr_count:     0
    .args:
      - .offset:         0
        .size:           32
        .value_kind:     by_value
    .group_segment_fixed_size: 0
    .kernarg_segment_align: 8
    .kernarg_segment_size: 32
    .language:       OpenCL C
    .language_version:
      - 2
      - 0
    .max_flat_workgroup_size: 256
    .name:           _ZN7rocprim17ROCPRIM_400000_NS6detail17trampoline_kernelINS0_14default_configENS1_20scan_config_selectorIfEEZZNS1_9scan_implILNS1_25lookback_scan_determinismE0ELb1ELb1ES3_N6thrust23THRUST_200600_302600_NS6detail15normal_iteratorINS9_10device_ptrIfEEEESE_f11max_functorIfEfEEDaPvRmT3_T4_T5_mT6_P12ihipStream_tbENKUlT_T0_E_clISt17integral_constantIbLb0EEST_IbLb1EEEEDaSP_SQ_EUlSP_E0_NS1_11comp_targetILNS1_3genE9ELNS1_11target_archE1100ELNS1_3gpuE3ELNS1_3repE0EEENS1_30default_config_static_selectorELNS0_4arch9wavefront6targetE1EEEvT1_
    .private_segment_fixed_size: 0
    .sgpr_count:     4
    .sgpr_spill_count: 0
    .symbol:         _ZN7rocprim17ROCPRIM_400000_NS6detail17trampoline_kernelINS0_14default_configENS1_20scan_config_selectorIfEEZZNS1_9scan_implILNS1_25lookback_scan_determinismE0ELb1ELb1ES3_N6thrust23THRUST_200600_302600_NS6detail15normal_iteratorINS9_10device_ptrIfEEEESE_f11max_functorIfEfEEDaPvRmT3_T4_T5_mT6_P12ihipStream_tbENKUlT_T0_E_clISt17integral_constantIbLb0EEST_IbLb1EEEEDaSP_SQ_EUlSP_E0_NS1_11comp_targetILNS1_3genE9ELNS1_11target_archE1100ELNS1_3gpuE3ELNS1_3repE0EEENS1_30default_config_static_selectorELNS0_4arch9wavefront6targetE1EEEvT1_.kd
    .uniform_work_group_size: 1
    .uses_dynamic_stack: false
    .vgpr_count:     0
    .vgpr_spill_count: 0
    .wavefront_size: 64
  - .agpr_count:     0
    .args:
      - .offset:         0
        .size:           32
        .value_kind:     by_value
    .group_segment_fixed_size: 0
    .kernarg_segment_align: 8
    .kernarg_segment_size: 32
    .language:       OpenCL C
    .language_version:
      - 2
      - 0
    .max_flat_workgroup_size: 64
    .name:           _ZN7rocprim17ROCPRIM_400000_NS6detail17trampoline_kernelINS0_14default_configENS1_20scan_config_selectorIfEEZZNS1_9scan_implILNS1_25lookback_scan_determinismE0ELb1ELb1ES3_N6thrust23THRUST_200600_302600_NS6detail15normal_iteratorINS9_10device_ptrIfEEEESE_f11max_functorIfEfEEDaPvRmT3_T4_T5_mT6_P12ihipStream_tbENKUlT_T0_E_clISt17integral_constantIbLb0EEST_IbLb1EEEEDaSP_SQ_EUlSP_E0_NS1_11comp_targetILNS1_3genE8ELNS1_11target_archE1030ELNS1_3gpuE2ELNS1_3repE0EEENS1_30default_config_static_selectorELNS0_4arch9wavefront6targetE1EEEvT1_
    .private_segment_fixed_size: 0
    .sgpr_count:     4
    .sgpr_spill_count: 0
    .symbol:         _ZN7rocprim17ROCPRIM_400000_NS6detail17trampoline_kernelINS0_14default_configENS1_20scan_config_selectorIfEEZZNS1_9scan_implILNS1_25lookback_scan_determinismE0ELb1ELb1ES3_N6thrust23THRUST_200600_302600_NS6detail15normal_iteratorINS9_10device_ptrIfEEEESE_f11max_functorIfEfEEDaPvRmT3_T4_T5_mT6_P12ihipStream_tbENKUlT_T0_E_clISt17integral_constantIbLb0EEST_IbLb1EEEEDaSP_SQ_EUlSP_E0_NS1_11comp_targetILNS1_3genE8ELNS1_11target_archE1030ELNS1_3gpuE2ELNS1_3repE0EEENS1_30default_config_static_selectorELNS0_4arch9wavefront6targetE1EEEvT1_.kd
    .uniform_work_group_size: 1
    .uses_dynamic_stack: false
    .vgpr_count:     0
    .vgpr_spill_count: 0
    .wavefront_size: 64
  - .agpr_count:     0
    .args:
      - .offset:         0
        .size:           16
        .value_kind:     by_value
      - .offset:         16
        .size:           8
        .value_kind:     by_value
      - .offset:         24
        .size:           8
        .value_kind:     by_value
    .group_segment_fixed_size: 0
    .kernarg_segment_align: 8
    .kernarg_segment_size: 32
    .language:       OpenCL C
    .language_version:
      - 2
      - 0
    .max_flat_workgroup_size: 256
    .name:           _ZN6thrust23THRUST_200600_302600_NS11hip_rocprim14__parallel_for6kernelILj256ENS1_20__uninitialized_fill7functorINS0_10device_ptrIyEEyEEmLj1EEEvT0_T1_SA_
    .private_segment_fixed_size: 0
    .sgpr_count:     20
    .sgpr_spill_count: 0
    .symbol:         _ZN6thrust23THRUST_200600_302600_NS11hip_rocprim14__parallel_for6kernelILj256ENS1_20__uninitialized_fill7functorINS0_10device_ptrIyEEyEEmLj1EEEvT0_T1_SA_.kd
    .uniform_work_group_size: 1
    .uses_dynamic_stack: false
    .vgpr_count:     5
    .vgpr_spill_count: 0
    .wavefront_size: 64
  - .agpr_count:     0
    .args:
      - .address_space:  global
        .offset:         0
        .size:           8
        .value_kind:     global_buffer
      - .offset:         8
        .size:           4
        .value_kind:     by_value
      - .offset:         12
        .size:           1
        .value_kind:     by_value
      - .offset:         16
        .size:           4
        .value_kind:     by_value
      - .address_space:  global
        .offset:         24
        .size:           8
        .value_kind:     global_buffer
      - .offset:         32
        .size:           4
        .value_kind:     hidden_block_count_x
      - .offset:         36
        .size:           4
        .value_kind:     hidden_block_count_y
      - .offset:         40
        .size:           4
        .value_kind:     hidden_block_count_z
      - .offset:         44
        .size:           2
        .value_kind:     hidden_group_size_x
      - .offset:         46
        .size:           2
        .value_kind:     hidden_group_size_y
      - .offset:         48
        .size:           2
        .value_kind:     hidden_group_size_z
      - .offset:         50
        .size:           2
        .value_kind:     hidden_remainder_x
      - .offset:         52
        .size:           2
        .value_kind:     hidden_remainder_y
      - .offset:         54
        .size:           2
        .value_kind:     hidden_remainder_z
      - .offset:         72
        .size:           8
        .value_kind:     hidden_global_offset_x
      - .offset:         80
        .size:           8
        .value_kind:     hidden_global_offset_y
      - .offset:         88
        .size:           8
        .value_kind:     hidden_global_offset_z
      - .offset:         96
        .size:           2
        .value_kind:     hidden_grid_dims
    .group_segment_fixed_size: 0
    .kernarg_segment_align: 8
    .kernarg_segment_size: 288
    .language:       OpenCL C
    .language_version:
      - 2
      - 0
    .max_flat_workgroup_size: 256
    .name:           _ZN7rocprim17ROCPRIM_400000_NS6detail31init_lookback_scan_state_kernelINS1_19lookback_scan_stateIyLb0ELb1EEENS1_16block_id_wrapperIjLb0EEEEEvT_jT0_jPNS7_10value_typeE
    .private_segment_fixed_size: 0
    .sgpr_count:     17
    .sgpr_spill_count: 0
    .symbol:         _ZN7rocprim17ROCPRIM_400000_NS6detail31init_lookback_scan_state_kernelINS1_19lookback_scan_stateIyLb0ELb1EEENS1_16block_id_wrapperIjLb0EEEEEvT_jT0_jPNS7_10value_typeE.kd
    .uniform_work_group_size: 1
    .uses_dynamic_stack: false
    .vgpr_count:     10
    .vgpr_spill_count: 0
    .wavefront_size: 64
  - .agpr_count:     0
    .args:
      - .offset:         0
        .size:           104
        .value_kind:     by_value
    .group_segment_fixed_size: 0
    .kernarg_segment_align: 8
    .kernarg_segment_size: 104
    .language:       OpenCL C
    .language_version:
      - 2
      - 0
    .max_flat_workgroup_size: 256
    .name:           _ZN7rocprim17ROCPRIM_400000_NS6detail17trampoline_kernelINS0_14default_configENS1_20scan_config_selectorIyEEZZNS1_9scan_implILNS1_25lookback_scan_determinismE0ELb0ELb0ES3_N6thrust23THRUST_200600_302600_NS6detail15normal_iteratorINS9_10device_ptrIyEEEESE_y11max_functorIyEyEEDaPvRmT3_T4_T5_mT6_P12ihipStream_tbENKUlT_T0_E_clISt17integral_constantIbLb0EESU_EEDaSP_SQ_EUlSP_E_NS1_11comp_targetILNS1_3genE0ELNS1_11target_archE4294967295ELNS1_3gpuE0ELNS1_3repE0EEENS1_30default_config_static_selectorELNS0_4arch9wavefront6targetE1EEEvT1_
    .private_segment_fixed_size: 0
    .sgpr_count:     4
    .sgpr_spill_count: 0
    .symbol:         _ZN7rocprim17ROCPRIM_400000_NS6detail17trampoline_kernelINS0_14default_configENS1_20scan_config_selectorIyEEZZNS1_9scan_implILNS1_25lookback_scan_determinismE0ELb0ELb0ES3_N6thrust23THRUST_200600_302600_NS6detail15normal_iteratorINS9_10device_ptrIyEEEESE_y11max_functorIyEyEEDaPvRmT3_T4_T5_mT6_P12ihipStream_tbENKUlT_T0_E_clISt17integral_constantIbLb0EESU_EEDaSP_SQ_EUlSP_E_NS1_11comp_targetILNS1_3genE0ELNS1_11target_archE4294967295ELNS1_3gpuE0ELNS1_3repE0EEENS1_30default_config_static_selectorELNS0_4arch9wavefront6targetE1EEEvT1_.kd
    .uniform_work_group_size: 1
    .uses_dynamic_stack: false
    .vgpr_count:     0
    .vgpr_spill_count: 0
    .wavefront_size: 64
  - .agpr_count:     0
    .args:
      - .offset:         0
        .size:           104
        .value_kind:     by_value
    .group_segment_fixed_size: 0
    .kernarg_segment_align: 8
    .kernarg_segment_size: 104
    .language:       OpenCL C
    .language_version:
      - 2
      - 0
    .max_flat_workgroup_size: 256
    .name:           _ZN7rocprim17ROCPRIM_400000_NS6detail17trampoline_kernelINS0_14default_configENS1_20scan_config_selectorIyEEZZNS1_9scan_implILNS1_25lookback_scan_determinismE0ELb0ELb0ES3_N6thrust23THRUST_200600_302600_NS6detail15normal_iteratorINS9_10device_ptrIyEEEESE_y11max_functorIyEyEEDaPvRmT3_T4_T5_mT6_P12ihipStream_tbENKUlT_T0_E_clISt17integral_constantIbLb0EESU_EEDaSP_SQ_EUlSP_E_NS1_11comp_targetILNS1_3genE5ELNS1_11target_archE942ELNS1_3gpuE9ELNS1_3repE0EEENS1_30default_config_static_selectorELNS0_4arch9wavefront6targetE1EEEvT1_
    .private_segment_fixed_size: 0
    .sgpr_count:     4
    .sgpr_spill_count: 0
    .symbol:         _ZN7rocprim17ROCPRIM_400000_NS6detail17trampoline_kernelINS0_14default_configENS1_20scan_config_selectorIyEEZZNS1_9scan_implILNS1_25lookback_scan_determinismE0ELb0ELb0ES3_N6thrust23THRUST_200600_302600_NS6detail15normal_iteratorINS9_10device_ptrIyEEEESE_y11max_functorIyEyEEDaPvRmT3_T4_T5_mT6_P12ihipStream_tbENKUlT_T0_E_clISt17integral_constantIbLb0EESU_EEDaSP_SQ_EUlSP_E_NS1_11comp_targetILNS1_3genE5ELNS1_11target_archE942ELNS1_3gpuE9ELNS1_3repE0EEENS1_30default_config_static_selectorELNS0_4arch9wavefront6targetE1EEEvT1_.kd
    .uniform_work_group_size: 1
    .uses_dynamic_stack: false
    .vgpr_count:     0
    .vgpr_spill_count: 0
    .wavefront_size: 64
  - .agpr_count:     0
    .args:
      - .offset:         0
        .size:           104
        .value_kind:     by_value
    .group_segment_fixed_size: 7168
    .kernarg_segment_align: 8
    .kernarg_segment_size: 104
    .language:       OpenCL C
    .language_version:
      - 2
      - 0
    .max_flat_workgroup_size: 128
    .name:           _ZN7rocprim17ROCPRIM_400000_NS6detail17trampoline_kernelINS0_14default_configENS1_20scan_config_selectorIyEEZZNS1_9scan_implILNS1_25lookback_scan_determinismE0ELb0ELb0ES3_N6thrust23THRUST_200600_302600_NS6detail15normal_iteratorINS9_10device_ptrIyEEEESE_y11max_functorIyEyEEDaPvRmT3_T4_T5_mT6_P12ihipStream_tbENKUlT_T0_E_clISt17integral_constantIbLb0EESU_EEDaSP_SQ_EUlSP_E_NS1_11comp_targetILNS1_3genE4ELNS1_11target_archE910ELNS1_3gpuE8ELNS1_3repE0EEENS1_30default_config_static_selectorELNS0_4arch9wavefront6targetE1EEEvT1_
    .private_segment_fixed_size: 0
    .sgpr_count:     34
    .sgpr_spill_count: 0
    .symbol:         _ZN7rocprim17ROCPRIM_400000_NS6detail17trampoline_kernelINS0_14default_configENS1_20scan_config_selectorIyEEZZNS1_9scan_implILNS1_25lookback_scan_determinismE0ELb0ELb0ES3_N6thrust23THRUST_200600_302600_NS6detail15normal_iteratorINS9_10device_ptrIyEEEESE_y11max_functorIyEyEEDaPvRmT3_T4_T5_mT6_P12ihipStream_tbENKUlT_T0_E_clISt17integral_constantIbLb0EESU_EEDaSP_SQ_EUlSP_E_NS1_11comp_targetILNS1_3genE4ELNS1_11target_archE910ELNS1_3gpuE8ELNS1_3repE0EEENS1_30default_config_static_selectorELNS0_4arch9wavefront6targetE1EEEvT1_.kd
    .uniform_work_group_size: 1
    .uses_dynamic_stack: false
    .vgpr_count:     58
    .vgpr_spill_count: 0
    .wavefront_size: 64
  - .agpr_count:     0
    .args:
      - .offset:         0
        .size:           104
        .value_kind:     by_value
    .group_segment_fixed_size: 0
    .kernarg_segment_align: 8
    .kernarg_segment_size: 104
    .language:       OpenCL C
    .language_version:
      - 2
      - 0
    .max_flat_workgroup_size: 256
    .name:           _ZN7rocprim17ROCPRIM_400000_NS6detail17trampoline_kernelINS0_14default_configENS1_20scan_config_selectorIyEEZZNS1_9scan_implILNS1_25lookback_scan_determinismE0ELb0ELb0ES3_N6thrust23THRUST_200600_302600_NS6detail15normal_iteratorINS9_10device_ptrIyEEEESE_y11max_functorIyEyEEDaPvRmT3_T4_T5_mT6_P12ihipStream_tbENKUlT_T0_E_clISt17integral_constantIbLb0EESU_EEDaSP_SQ_EUlSP_E_NS1_11comp_targetILNS1_3genE3ELNS1_11target_archE908ELNS1_3gpuE7ELNS1_3repE0EEENS1_30default_config_static_selectorELNS0_4arch9wavefront6targetE1EEEvT1_
    .private_segment_fixed_size: 0
    .sgpr_count:     4
    .sgpr_spill_count: 0
    .symbol:         _ZN7rocprim17ROCPRIM_400000_NS6detail17trampoline_kernelINS0_14default_configENS1_20scan_config_selectorIyEEZZNS1_9scan_implILNS1_25lookback_scan_determinismE0ELb0ELb0ES3_N6thrust23THRUST_200600_302600_NS6detail15normal_iteratorINS9_10device_ptrIyEEEESE_y11max_functorIyEyEEDaPvRmT3_T4_T5_mT6_P12ihipStream_tbENKUlT_T0_E_clISt17integral_constantIbLb0EESU_EEDaSP_SQ_EUlSP_E_NS1_11comp_targetILNS1_3genE3ELNS1_11target_archE908ELNS1_3gpuE7ELNS1_3repE0EEENS1_30default_config_static_selectorELNS0_4arch9wavefront6targetE1EEEvT1_.kd
    .uniform_work_group_size: 1
    .uses_dynamic_stack: false
    .vgpr_count:     0
    .vgpr_spill_count: 0
    .wavefront_size: 64
  - .agpr_count:     0
    .args:
      - .offset:         0
        .size:           104
        .value_kind:     by_value
    .group_segment_fixed_size: 0
    .kernarg_segment_align: 8
    .kernarg_segment_size: 104
    .language:       OpenCL C
    .language_version:
      - 2
      - 0
    .max_flat_workgroup_size: 64
    .name:           _ZN7rocprim17ROCPRIM_400000_NS6detail17trampoline_kernelINS0_14default_configENS1_20scan_config_selectorIyEEZZNS1_9scan_implILNS1_25lookback_scan_determinismE0ELb0ELb0ES3_N6thrust23THRUST_200600_302600_NS6detail15normal_iteratorINS9_10device_ptrIyEEEESE_y11max_functorIyEyEEDaPvRmT3_T4_T5_mT6_P12ihipStream_tbENKUlT_T0_E_clISt17integral_constantIbLb0EESU_EEDaSP_SQ_EUlSP_E_NS1_11comp_targetILNS1_3genE2ELNS1_11target_archE906ELNS1_3gpuE6ELNS1_3repE0EEENS1_30default_config_static_selectorELNS0_4arch9wavefront6targetE1EEEvT1_
    .private_segment_fixed_size: 0
    .sgpr_count:     4
    .sgpr_spill_count: 0
    .symbol:         _ZN7rocprim17ROCPRIM_400000_NS6detail17trampoline_kernelINS0_14default_configENS1_20scan_config_selectorIyEEZZNS1_9scan_implILNS1_25lookback_scan_determinismE0ELb0ELb0ES3_N6thrust23THRUST_200600_302600_NS6detail15normal_iteratorINS9_10device_ptrIyEEEESE_y11max_functorIyEyEEDaPvRmT3_T4_T5_mT6_P12ihipStream_tbENKUlT_T0_E_clISt17integral_constantIbLb0EESU_EEDaSP_SQ_EUlSP_E_NS1_11comp_targetILNS1_3genE2ELNS1_11target_archE906ELNS1_3gpuE6ELNS1_3repE0EEENS1_30default_config_static_selectorELNS0_4arch9wavefront6targetE1EEEvT1_.kd
    .uniform_work_group_size: 1
    .uses_dynamic_stack: false
    .vgpr_count:     0
    .vgpr_spill_count: 0
    .wavefront_size: 64
  - .agpr_count:     0
    .args:
      - .offset:         0
        .size:           104
        .value_kind:     by_value
    .group_segment_fixed_size: 0
    .kernarg_segment_align: 8
    .kernarg_segment_size: 104
    .language:       OpenCL C
    .language_version:
      - 2
      - 0
    .max_flat_workgroup_size: 256
    .name:           _ZN7rocprim17ROCPRIM_400000_NS6detail17trampoline_kernelINS0_14default_configENS1_20scan_config_selectorIyEEZZNS1_9scan_implILNS1_25lookback_scan_determinismE0ELb0ELb0ES3_N6thrust23THRUST_200600_302600_NS6detail15normal_iteratorINS9_10device_ptrIyEEEESE_y11max_functorIyEyEEDaPvRmT3_T4_T5_mT6_P12ihipStream_tbENKUlT_T0_E_clISt17integral_constantIbLb0EESU_EEDaSP_SQ_EUlSP_E_NS1_11comp_targetILNS1_3genE10ELNS1_11target_archE1201ELNS1_3gpuE5ELNS1_3repE0EEENS1_30default_config_static_selectorELNS0_4arch9wavefront6targetE1EEEvT1_
    .private_segment_fixed_size: 0
    .sgpr_count:     4
    .sgpr_spill_count: 0
    .symbol:         _ZN7rocprim17ROCPRIM_400000_NS6detail17trampoline_kernelINS0_14default_configENS1_20scan_config_selectorIyEEZZNS1_9scan_implILNS1_25lookback_scan_determinismE0ELb0ELb0ES3_N6thrust23THRUST_200600_302600_NS6detail15normal_iteratorINS9_10device_ptrIyEEEESE_y11max_functorIyEyEEDaPvRmT3_T4_T5_mT6_P12ihipStream_tbENKUlT_T0_E_clISt17integral_constantIbLb0EESU_EEDaSP_SQ_EUlSP_E_NS1_11comp_targetILNS1_3genE10ELNS1_11target_archE1201ELNS1_3gpuE5ELNS1_3repE0EEENS1_30default_config_static_selectorELNS0_4arch9wavefront6targetE1EEEvT1_.kd
    .uniform_work_group_size: 1
    .uses_dynamic_stack: false
    .vgpr_count:     0
    .vgpr_spill_count: 0
    .wavefront_size: 64
  - .agpr_count:     0
    .args:
      - .offset:         0
        .size:           104
        .value_kind:     by_value
    .group_segment_fixed_size: 0
    .kernarg_segment_align: 8
    .kernarg_segment_size: 104
    .language:       OpenCL C
    .language_version:
      - 2
      - 0
    .max_flat_workgroup_size: 256
    .name:           _ZN7rocprim17ROCPRIM_400000_NS6detail17trampoline_kernelINS0_14default_configENS1_20scan_config_selectorIyEEZZNS1_9scan_implILNS1_25lookback_scan_determinismE0ELb0ELb0ES3_N6thrust23THRUST_200600_302600_NS6detail15normal_iteratorINS9_10device_ptrIyEEEESE_y11max_functorIyEyEEDaPvRmT3_T4_T5_mT6_P12ihipStream_tbENKUlT_T0_E_clISt17integral_constantIbLb0EESU_EEDaSP_SQ_EUlSP_E_NS1_11comp_targetILNS1_3genE10ELNS1_11target_archE1200ELNS1_3gpuE4ELNS1_3repE0EEENS1_30default_config_static_selectorELNS0_4arch9wavefront6targetE1EEEvT1_
    .private_segment_fixed_size: 0
    .sgpr_count:     4
    .sgpr_spill_count: 0
    .symbol:         _ZN7rocprim17ROCPRIM_400000_NS6detail17trampoline_kernelINS0_14default_configENS1_20scan_config_selectorIyEEZZNS1_9scan_implILNS1_25lookback_scan_determinismE0ELb0ELb0ES3_N6thrust23THRUST_200600_302600_NS6detail15normal_iteratorINS9_10device_ptrIyEEEESE_y11max_functorIyEyEEDaPvRmT3_T4_T5_mT6_P12ihipStream_tbENKUlT_T0_E_clISt17integral_constantIbLb0EESU_EEDaSP_SQ_EUlSP_E_NS1_11comp_targetILNS1_3genE10ELNS1_11target_archE1200ELNS1_3gpuE4ELNS1_3repE0EEENS1_30default_config_static_selectorELNS0_4arch9wavefront6targetE1EEEvT1_.kd
    .uniform_work_group_size: 1
    .uses_dynamic_stack: false
    .vgpr_count:     0
    .vgpr_spill_count: 0
    .wavefront_size: 64
  - .agpr_count:     0
    .args:
      - .offset:         0
        .size:           104
        .value_kind:     by_value
    .group_segment_fixed_size: 0
    .kernarg_segment_align: 8
    .kernarg_segment_size: 104
    .language:       OpenCL C
    .language_version:
      - 2
      - 0
    .max_flat_workgroup_size: 256
    .name:           _ZN7rocprim17ROCPRIM_400000_NS6detail17trampoline_kernelINS0_14default_configENS1_20scan_config_selectorIyEEZZNS1_9scan_implILNS1_25lookback_scan_determinismE0ELb0ELb0ES3_N6thrust23THRUST_200600_302600_NS6detail15normal_iteratorINS9_10device_ptrIyEEEESE_y11max_functorIyEyEEDaPvRmT3_T4_T5_mT6_P12ihipStream_tbENKUlT_T0_E_clISt17integral_constantIbLb0EESU_EEDaSP_SQ_EUlSP_E_NS1_11comp_targetILNS1_3genE9ELNS1_11target_archE1100ELNS1_3gpuE3ELNS1_3repE0EEENS1_30default_config_static_selectorELNS0_4arch9wavefront6targetE1EEEvT1_
    .private_segment_fixed_size: 0
    .sgpr_count:     4
    .sgpr_spill_count: 0
    .symbol:         _ZN7rocprim17ROCPRIM_400000_NS6detail17trampoline_kernelINS0_14default_configENS1_20scan_config_selectorIyEEZZNS1_9scan_implILNS1_25lookback_scan_determinismE0ELb0ELb0ES3_N6thrust23THRUST_200600_302600_NS6detail15normal_iteratorINS9_10device_ptrIyEEEESE_y11max_functorIyEyEEDaPvRmT3_T4_T5_mT6_P12ihipStream_tbENKUlT_T0_E_clISt17integral_constantIbLb0EESU_EEDaSP_SQ_EUlSP_E_NS1_11comp_targetILNS1_3genE9ELNS1_11target_archE1100ELNS1_3gpuE3ELNS1_3repE0EEENS1_30default_config_static_selectorELNS0_4arch9wavefront6targetE1EEEvT1_.kd
    .uniform_work_group_size: 1
    .uses_dynamic_stack: false
    .vgpr_count:     0
    .vgpr_spill_count: 0
    .wavefront_size: 64
  - .agpr_count:     0
    .args:
      - .offset:         0
        .size:           104
        .value_kind:     by_value
    .group_segment_fixed_size: 0
    .kernarg_segment_align: 8
    .kernarg_segment_size: 104
    .language:       OpenCL C
    .language_version:
      - 2
      - 0
    .max_flat_workgroup_size: 256
    .name:           _ZN7rocprim17ROCPRIM_400000_NS6detail17trampoline_kernelINS0_14default_configENS1_20scan_config_selectorIyEEZZNS1_9scan_implILNS1_25lookback_scan_determinismE0ELb0ELb0ES3_N6thrust23THRUST_200600_302600_NS6detail15normal_iteratorINS9_10device_ptrIyEEEESE_y11max_functorIyEyEEDaPvRmT3_T4_T5_mT6_P12ihipStream_tbENKUlT_T0_E_clISt17integral_constantIbLb0EESU_EEDaSP_SQ_EUlSP_E_NS1_11comp_targetILNS1_3genE8ELNS1_11target_archE1030ELNS1_3gpuE2ELNS1_3repE0EEENS1_30default_config_static_selectorELNS0_4arch9wavefront6targetE1EEEvT1_
    .private_segment_fixed_size: 0
    .sgpr_count:     4
    .sgpr_spill_count: 0
    .symbol:         _ZN7rocprim17ROCPRIM_400000_NS6detail17trampoline_kernelINS0_14default_configENS1_20scan_config_selectorIyEEZZNS1_9scan_implILNS1_25lookback_scan_determinismE0ELb0ELb0ES3_N6thrust23THRUST_200600_302600_NS6detail15normal_iteratorINS9_10device_ptrIyEEEESE_y11max_functorIyEyEEDaPvRmT3_T4_T5_mT6_P12ihipStream_tbENKUlT_T0_E_clISt17integral_constantIbLb0EESU_EEDaSP_SQ_EUlSP_E_NS1_11comp_targetILNS1_3genE8ELNS1_11target_archE1030ELNS1_3gpuE2ELNS1_3repE0EEENS1_30default_config_static_selectorELNS0_4arch9wavefront6targetE1EEEvT1_.kd
    .uniform_work_group_size: 1
    .uses_dynamic_stack: false
    .vgpr_count:     0
    .vgpr_spill_count: 0
    .wavefront_size: 64
  - .agpr_count:     0
    .args:
      - .offset:         0
        .size:           40
        .value_kind:     by_value
    .group_segment_fixed_size: 0
    .kernarg_segment_align: 8
    .kernarg_segment_size: 40
    .language:       OpenCL C
    .language_version:
      - 2
      - 0
    .max_flat_workgroup_size: 128
    .name:           _ZN7rocprim17ROCPRIM_400000_NS6detail17trampoline_kernelINS0_14default_configENS1_25transform_config_selectorIyLb1EEEZNS1_14transform_implILb1ES3_S5_PyS7_NS0_8identityIyEEEE10hipError_tT2_T3_mT4_P12ihipStream_tbEUlT_E_NS1_11comp_targetILNS1_3genE0ELNS1_11target_archE4294967295ELNS1_3gpuE0ELNS1_3repE0EEENS1_30default_config_static_selectorELNS0_4arch9wavefront6targetE1EEEvT1_
    .private_segment_fixed_size: 0
    .sgpr_count:     4
    .sgpr_spill_count: 0
    .symbol:         _ZN7rocprim17ROCPRIM_400000_NS6detail17trampoline_kernelINS0_14default_configENS1_25transform_config_selectorIyLb1EEEZNS1_14transform_implILb1ES3_S5_PyS7_NS0_8identityIyEEEE10hipError_tT2_T3_mT4_P12ihipStream_tbEUlT_E_NS1_11comp_targetILNS1_3genE0ELNS1_11target_archE4294967295ELNS1_3gpuE0ELNS1_3repE0EEENS1_30default_config_static_selectorELNS0_4arch9wavefront6targetE1EEEvT1_.kd
    .uniform_work_group_size: 1
    .uses_dynamic_stack: false
    .vgpr_count:     0
    .vgpr_spill_count: 0
    .wavefront_size: 64
  - .agpr_count:     0
    .args:
      - .offset:         0
        .size:           40
        .value_kind:     by_value
    .group_segment_fixed_size: 0
    .kernarg_segment_align: 8
    .kernarg_segment_size: 40
    .language:       OpenCL C
    .language_version:
      - 2
      - 0
    .max_flat_workgroup_size: 1024
    .name:           _ZN7rocprim17ROCPRIM_400000_NS6detail17trampoline_kernelINS0_14default_configENS1_25transform_config_selectorIyLb1EEEZNS1_14transform_implILb1ES3_S5_PyS7_NS0_8identityIyEEEE10hipError_tT2_T3_mT4_P12ihipStream_tbEUlT_E_NS1_11comp_targetILNS1_3genE10ELNS1_11target_archE1201ELNS1_3gpuE5ELNS1_3repE0EEENS1_30default_config_static_selectorELNS0_4arch9wavefront6targetE1EEEvT1_
    .private_segment_fixed_size: 0
    .sgpr_count:     4
    .sgpr_spill_count: 0
    .symbol:         _ZN7rocprim17ROCPRIM_400000_NS6detail17trampoline_kernelINS0_14default_configENS1_25transform_config_selectorIyLb1EEEZNS1_14transform_implILb1ES3_S5_PyS7_NS0_8identityIyEEEE10hipError_tT2_T3_mT4_P12ihipStream_tbEUlT_E_NS1_11comp_targetILNS1_3genE10ELNS1_11target_archE1201ELNS1_3gpuE5ELNS1_3repE0EEENS1_30default_config_static_selectorELNS0_4arch9wavefront6targetE1EEEvT1_.kd
    .uniform_work_group_size: 1
    .uses_dynamic_stack: false
    .vgpr_count:     0
    .vgpr_spill_count: 0
    .wavefront_size: 64
  - .agpr_count:     0
    .args:
      - .offset:         0
        .size:           40
        .value_kind:     by_value
    .group_segment_fixed_size: 0
    .kernarg_segment_align: 8
    .kernarg_segment_size: 40
    .language:       OpenCL C
    .language_version:
      - 2
      - 0
    .max_flat_workgroup_size: 512
    .name:           _ZN7rocprim17ROCPRIM_400000_NS6detail17trampoline_kernelINS0_14default_configENS1_25transform_config_selectorIyLb1EEEZNS1_14transform_implILb1ES3_S5_PyS7_NS0_8identityIyEEEE10hipError_tT2_T3_mT4_P12ihipStream_tbEUlT_E_NS1_11comp_targetILNS1_3genE5ELNS1_11target_archE942ELNS1_3gpuE9ELNS1_3repE0EEENS1_30default_config_static_selectorELNS0_4arch9wavefront6targetE1EEEvT1_
    .private_segment_fixed_size: 0
    .sgpr_count:     4
    .sgpr_spill_count: 0
    .symbol:         _ZN7rocprim17ROCPRIM_400000_NS6detail17trampoline_kernelINS0_14default_configENS1_25transform_config_selectorIyLb1EEEZNS1_14transform_implILb1ES3_S5_PyS7_NS0_8identityIyEEEE10hipError_tT2_T3_mT4_P12ihipStream_tbEUlT_E_NS1_11comp_targetILNS1_3genE5ELNS1_11target_archE942ELNS1_3gpuE9ELNS1_3repE0EEENS1_30default_config_static_selectorELNS0_4arch9wavefront6targetE1EEEvT1_.kd
    .uniform_work_group_size: 1
    .uses_dynamic_stack: false
    .vgpr_count:     0
    .vgpr_spill_count: 0
    .wavefront_size: 64
  - .agpr_count:     0
    .args:
      - .offset:         0
        .size:           40
        .value_kind:     by_value
      - .offset:         40
        .size:           4
        .value_kind:     hidden_block_count_x
      - .offset:         44
        .size:           4
        .value_kind:     hidden_block_count_y
      - .offset:         48
        .size:           4
        .value_kind:     hidden_block_count_z
      - .offset:         52
        .size:           2
        .value_kind:     hidden_group_size_x
      - .offset:         54
        .size:           2
        .value_kind:     hidden_group_size_y
      - .offset:         56
        .size:           2
        .value_kind:     hidden_group_size_z
      - .offset:         58
        .size:           2
        .value_kind:     hidden_remainder_x
      - .offset:         60
        .size:           2
        .value_kind:     hidden_remainder_y
      - .offset:         62
        .size:           2
        .value_kind:     hidden_remainder_z
      - .offset:         80
        .size:           8
        .value_kind:     hidden_global_offset_x
      - .offset:         88
        .size:           8
        .value_kind:     hidden_global_offset_y
      - .offset:         96
        .size:           8
        .value_kind:     hidden_global_offset_z
      - .offset:         104
        .size:           2
        .value_kind:     hidden_grid_dims
    .group_segment_fixed_size: 0
    .kernarg_segment_align: 8
    .kernarg_segment_size: 296
    .language:       OpenCL C
    .language_version:
      - 2
      - 0
    .max_flat_workgroup_size: 1024
    .name:           _ZN7rocprim17ROCPRIM_400000_NS6detail17trampoline_kernelINS0_14default_configENS1_25transform_config_selectorIyLb1EEEZNS1_14transform_implILb1ES3_S5_PyS7_NS0_8identityIyEEEE10hipError_tT2_T3_mT4_P12ihipStream_tbEUlT_E_NS1_11comp_targetILNS1_3genE4ELNS1_11target_archE910ELNS1_3gpuE8ELNS1_3repE0EEENS1_30default_config_static_selectorELNS0_4arch9wavefront6targetE1EEEvT1_
    .private_segment_fixed_size: 0
    .sgpr_count:     20
    .sgpr_spill_count: 0
    .symbol:         _ZN7rocprim17ROCPRIM_400000_NS6detail17trampoline_kernelINS0_14default_configENS1_25transform_config_selectorIyLb1EEEZNS1_14transform_implILb1ES3_S5_PyS7_NS0_8identityIyEEEE10hipError_tT2_T3_mT4_P12ihipStream_tbEUlT_E_NS1_11comp_targetILNS1_3genE4ELNS1_11target_archE910ELNS1_3gpuE8ELNS1_3repE0EEENS1_30default_config_static_selectorELNS0_4arch9wavefront6targetE1EEEvT1_.kd
    .uniform_work_group_size: 1
    .uses_dynamic_stack: false
    .vgpr_count:     7
    .vgpr_spill_count: 0
    .wavefront_size: 64
  - .agpr_count:     0
    .args:
      - .offset:         0
        .size:           40
        .value_kind:     by_value
    .group_segment_fixed_size: 0
    .kernarg_segment_align: 8
    .kernarg_segment_size: 40
    .language:       OpenCL C
    .language_version:
      - 2
      - 0
    .max_flat_workgroup_size: 128
    .name:           _ZN7rocprim17ROCPRIM_400000_NS6detail17trampoline_kernelINS0_14default_configENS1_25transform_config_selectorIyLb1EEEZNS1_14transform_implILb1ES3_S5_PyS7_NS0_8identityIyEEEE10hipError_tT2_T3_mT4_P12ihipStream_tbEUlT_E_NS1_11comp_targetILNS1_3genE3ELNS1_11target_archE908ELNS1_3gpuE7ELNS1_3repE0EEENS1_30default_config_static_selectorELNS0_4arch9wavefront6targetE1EEEvT1_
    .private_segment_fixed_size: 0
    .sgpr_count:     4
    .sgpr_spill_count: 0
    .symbol:         _ZN7rocprim17ROCPRIM_400000_NS6detail17trampoline_kernelINS0_14default_configENS1_25transform_config_selectorIyLb1EEEZNS1_14transform_implILb1ES3_S5_PyS7_NS0_8identityIyEEEE10hipError_tT2_T3_mT4_P12ihipStream_tbEUlT_E_NS1_11comp_targetILNS1_3genE3ELNS1_11target_archE908ELNS1_3gpuE7ELNS1_3repE0EEENS1_30default_config_static_selectorELNS0_4arch9wavefront6targetE1EEEvT1_.kd
    .uniform_work_group_size: 1
    .uses_dynamic_stack: false
    .vgpr_count:     0
    .vgpr_spill_count: 0
    .wavefront_size: 64
  - .agpr_count:     0
    .args:
      - .offset:         0
        .size:           40
        .value_kind:     by_value
    .group_segment_fixed_size: 0
    .kernarg_segment_align: 8
    .kernarg_segment_size: 40
    .language:       OpenCL C
    .language_version:
      - 2
      - 0
    .max_flat_workgroup_size: 512
    .name:           _ZN7rocprim17ROCPRIM_400000_NS6detail17trampoline_kernelINS0_14default_configENS1_25transform_config_selectorIyLb1EEEZNS1_14transform_implILb1ES3_S5_PyS7_NS0_8identityIyEEEE10hipError_tT2_T3_mT4_P12ihipStream_tbEUlT_E_NS1_11comp_targetILNS1_3genE2ELNS1_11target_archE906ELNS1_3gpuE6ELNS1_3repE0EEENS1_30default_config_static_selectorELNS0_4arch9wavefront6targetE1EEEvT1_
    .private_segment_fixed_size: 0
    .sgpr_count:     4
    .sgpr_spill_count: 0
    .symbol:         _ZN7rocprim17ROCPRIM_400000_NS6detail17trampoline_kernelINS0_14default_configENS1_25transform_config_selectorIyLb1EEEZNS1_14transform_implILb1ES3_S5_PyS7_NS0_8identityIyEEEE10hipError_tT2_T3_mT4_P12ihipStream_tbEUlT_E_NS1_11comp_targetILNS1_3genE2ELNS1_11target_archE906ELNS1_3gpuE6ELNS1_3repE0EEENS1_30default_config_static_selectorELNS0_4arch9wavefront6targetE1EEEvT1_.kd
    .uniform_work_group_size: 1
    .uses_dynamic_stack: false
    .vgpr_count:     0
    .vgpr_spill_count: 0
    .wavefront_size: 64
  - .agpr_count:     0
    .args:
      - .offset:         0
        .size:           40
        .value_kind:     by_value
    .group_segment_fixed_size: 0
    .kernarg_segment_align: 8
    .kernarg_segment_size: 40
    .language:       OpenCL C
    .language_version:
      - 2
      - 0
    .max_flat_workgroup_size: 1024
    .name:           _ZN7rocprim17ROCPRIM_400000_NS6detail17trampoline_kernelINS0_14default_configENS1_25transform_config_selectorIyLb1EEEZNS1_14transform_implILb1ES3_S5_PyS7_NS0_8identityIyEEEE10hipError_tT2_T3_mT4_P12ihipStream_tbEUlT_E_NS1_11comp_targetILNS1_3genE9ELNS1_11target_archE1100ELNS1_3gpuE3ELNS1_3repE0EEENS1_30default_config_static_selectorELNS0_4arch9wavefront6targetE1EEEvT1_
    .private_segment_fixed_size: 0
    .sgpr_count:     4
    .sgpr_spill_count: 0
    .symbol:         _ZN7rocprim17ROCPRIM_400000_NS6detail17trampoline_kernelINS0_14default_configENS1_25transform_config_selectorIyLb1EEEZNS1_14transform_implILb1ES3_S5_PyS7_NS0_8identityIyEEEE10hipError_tT2_T3_mT4_P12ihipStream_tbEUlT_E_NS1_11comp_targetILNS1_3genE9ELNS1_11target_archE1100ELNS1_3gpuE3ELNS1_3repE0EEENS1_30default_config_static_selectorELNS0_4arch9wavefront6targetE1EEEvT1_.kd
    .uniform_work_group_size: 1
    .uses_dynamic_stack: false
    .vgpr_count:     0
    .vgpr_spill_count: 0
    .wavefront_size: 64
  - .agpr_count:     0
    .args:
      - .offset:         0
        .size:           40
        .value_kind:     by_value
    .group_segment_fixed_size: 0
    .kernarg_segment_align: 8
    .kernarg_segment_size: 40
    .language:       OpenCL C
    .language_version:
      - 2
      - 0
    .max_flat_workgroup_size: 1024
    .name:           _ZN7rocprim17ROCPRIM_400000_NS6detail17trampoline_kernelINS0_14default_configENS1_25transform_config_selectorIyLb1EEEZNS1_14transform_implILb1ES3_S5_PyS7_NS0_8identityIyEEEE10hipError_tT2_T3_mT4_P12ihipStream_tbEUlT_E_NS1_11comp_targetILNS1_3genE8ELNS1_11target_archE1030ELNS1_3gpuE2ELNS1_3repE0EEENS1_30default_config_static_selectorELNS0_4arch9wavefront6targetE1EEEvT1_
    .private_segment_fixed_size: 0
    .sgpr_count:     4
    .sgpr_spill_count: 0
    .symbol:         _ZN7rocprim17ROCPRIM_400000_NS6detail17trampoline_kernelINS0_14default_configENS1_25transform_config_selectorIyLb1EEEZNS1_14transform_implILb1ES3_S5_PyS7_NS0_8identityIyEEEE10hipError_tT2_T3_mT4_P12ihipStream_tbEUlT_E_NS1_11comp_targetILNS1_3genE8ELNS1_11target_archE1030ELNS1_3gpuE2ELNS1_3repE0EEENS1_30default_config_static_selectorELNS0_4arch9wavefront6targetE1EEEvT1_.kd
    .uniform_work_group_size: 1
    .uses_dynamic_stack: false
    .vgpr_count:     0
    .vgpr_spill_count: 0
    .wavefront_size: 64
  - .agpr_count:     0
    .args:
      - .offset:         0
        .size:           40
        .value_kind:     by_value
    .group_segment_fixed_size: 0
    .kernarg_segment_align: 8
    .kernarg_segment_size: 40
    .language:       OpenCL C
    .language_version:
      - 2
      - 0
    .max_flat_workgroup_size: 256
    .name:           _ZN7rocprim17ROCPRIM_400000_NS6detail17trampoline_kernelINS0_14default_configENS1_20scan_config_selectorIyEEZZNS1_9scan_implILNS1_25lookback_scan_determinismE0ELb0ELb0ES3_N6thrust23THRUST_200600_302600_NS6detail15normal_iteratorINS9_10device_ptrIyEEEESE_y11max_functorIyEyEEDaPvRmT3_T4_T5_mT6_P12ihipStream_tbENKUlT_T0_E_clISt17integral_constantIbLb0EESU_EEDaSP_SQ_EUlSP_E0_NS1_11comp_targetILNS1_3genE0ELNS1_11target_archE4294967295ELNS1_3gpuE0ELNS1_3repE0EEENS1_30default_config_static_selectorELNS0_4arch9wavefront6targetE1EEEvT1_
    .private_segment_fixed_size: 0
    .sgpr_count:     4
    .sgpr_spill_count: 0
    .symbol:         _ZN7rocprim17ROCPRIM_400000_NS6detail17trampoline_kernelINS0_14default_configENS1_20scan_config_selectorIyEEZZNS1_9scan_implILNS1_25lookback_scan_determinismE0ELb0ELb0ES3_N6thrust23THRUST_200600_302600_NS6detail15normal_iteratorINS9_10device_ptrIyEEEESE_y11max_functorIyEyEEDaPvRmT3_T4_T5_mT6_P12ihipStream_tbENKUlT_T0_E_clISt17integral_constantIbLb0EESU_EEDaSP_SQ_EUlSP_E0_NS1_11comp_targetILNS1_3genE0ELNS1_11target_archE4294967295ELNS1_3gpuE0ELNS1_3repE0EEENS1_30default_config_static_selectorELNS0_4arch9wavefront6targetE1EEEvT1_.kd
    .uniform_work_group_size: 1
    .uses_dynamic_stack: false
    .vgpr_count:     0
    .vgpr_spill_count: 0
    .wavefront_size: 64
  - .agpr_count:     0
    .args:
      - .offset:         0
        .size:           40
        .value_kind:     by_value
    .group_segment_fixed_size: 0
    .kernarg_segment_align: 8
    .kernarg_segment_size: 40
    .language:       OpenCL C
    .language_version:
      - 2
      - 0
    .max_flat_workgroup_size: 256
    .name:           _ZN7rocprim17ROCPRIM_400000_NS6detail17trampoline_kernelINS0_14default_configENS1_20scan_config_selectorIyEEZZNS1_9scan_implILNS1_25lookback_scan_determinismE0ELb0ELb0ES3_N6thrust23THRUST_200600_302600_NS6detail15normal_iteratorINS9_10device_ptrIyEEEESE_y11max_functorIyEyEEDaPvRmT3_T4_T5_mT6_P12ihipStream_tbENKUlT_T0_E_clISt17integral_constantIbLb0EESU_EEDaSP_SQ_EUlSP_E0_NS1_11comp_targetILNS1_3genE5ELNS1_11target_archE942ELNS1_3gpuE9ELNS1_3repE0EEENS1_30default_config_static_selectorELNS0_4arch9wavefront6targetE1EEEvT1_
    .private_segment_fixed_size: 0
    .sgpr_count:     4
    .sgpr_spill_count: 0
    .symbol:         _ZN7rocprim17ROCPRIM_400000_NS6detail17trampoline_kernelINS0_14default_configENS1_20scan_config_selectorIyEEZZNS1_9scan_implILNS1_25lookback_scan_determinismE0ELb0ELb0ES3_N6thrust23THRUST_200600_302600_NS6detail15normal_iteratorINS9_10device_ptrIyEEEESE_y11max_functorIyEyEEDaPvRmT3_T4_T5_mT6_P12ihipStream_tbENKUlT_T0_E_clISt17integral_constantIbLb0EESU_EEDaSP_SQ_EUlSP_E0_NS1_11comp_targetILNS1_3genE5ELNS1_11target_archE942ELNS1_3gpuE9ELNS1_3repE0EEENS1_30default_config_static_selectorELNS0_4arch9wavefront6targetE1EEEvT1_.kd
    .uniform_work_group_size: 1
    .uses_dynamic_stack: false
    .vgpr_count:     0
    .vgpr_spill_count: 0
    .wavefront_size: 64
  - .agpr_count:     0
    .args:
      - .offset:         0
        .size:           40
        .value_kind:     by_value
    .group_segment_fixed_size: 7168
    .kernarg_segment_align: 8
    .kernarg_segment_size: 40
    .language:       OpenCL C
    .language_version:
      - 2
      - 0
    .max_flat_workgroup_size: 128
    .name:           _ZN7rocprim17ROCPRIM_400000_NS6detail17trampoline_kernelINS0_14default_configENS1_20scan_config_selectorIyEEZZNS1_9scan_implILNS1_25lookback_scan_determinismE0ELb0ELb0ES3_N6thrust23THRUST_200600_302600_NS6detail15normal_iteratorINS9_10device_ptrIyEEEESE_y11max_functorIyEyEEDaPvRmT3_T4_T5_mT6_P12ihipStream_tbENKUlT_T0_E_clISt17integral_constantIbLb0EESU_EEDaSP_SQ_EUlSP_E0_NS1_11comp_targetILNS1_3genE4ELNS1_11target_archE910ELNS1_3gpuE8ELNS1_3repE0EEENS1_30default_config_static_selectorELNS0_4arch9wavefront6targetE1EEEvT1_
    .private_segment_fixed_size: 0
    .sgpr_count:     26
    .sgpr_spill_count: 0
    .symbol:         _ZN7rocprim17ROCPRIM_400000_NS6detail17trampoline_kernelINS0_14default_configENS1_20scan_config_selectorIyEEZZNS1_9scan_implILNS1_25lookback_scan_determinismE0ELb0ELb0ES3_N6thrust23THRUST_200600_302600_NS6detail15normal_iteratorINS9_10device_ptrIyEEEESE_y11max_functorIyEyEEDaPvRmT3_T4_T5_mT6_P12ihipStream_tbENKUlT_T0_E_clISt17integral_constantIbLb0EESU_EEDaSP_SQ_EUlSP_E0_NS1_11comp_targetILNS1_3genE4ELNS1_11target_archE910ELNS1_3gpuE8ELNS1_3repE0EEENS1_30default_config_static_selectorELNS0_4arch9wavefront6targetE1EEEvT1_.kd
    .uniform_work_group_size: 1
    .uses_dynamic_stack: false
    .vgpr_count:     42
    .vgpr_spill_count: 0
    .wavefront_size: 64
  - .agpr_count:     0
    .args:
      - .offset:         0
        .size:           40
        .value_kind:     by_value
    .group_segment_fixed_size: 0
    .kernarg_segment_align: 8
    .kernarg_segment_size: 40
    .language:       OpenCL C
    .language_version:
      - 2
      - 0
    .max_flat_workgroup_size: 256
    .name:           _ZN7rocprim17ROCPRIM_400000_NS6detail17trampoline_kernelINS0_14default_configENS1_20scan_config_selectorIyEEZZNS1_9scan_implILNS1_25lookback_scan_determinismE0ELb0ELb0ES3_N6thrust23THRUST_200600_302600_NS6detail15normal_iteratorINS9_10device_ptrIyEEEESE_y11max_functorIyEyEEDaPvRmT3_T4_T5_mT6_P12ihipStream_tbENKUlT_T0_E_clISt17integral_constantIbLb0EESU_EEDaSP_SQ_EUlSP_E0_NS1_11comp_targetILNS1_3genE3ELNS1_11target_archE908ELNS1_3gpuE7ELNS1_3repE0EEENS1_30default_config_static_selectorELNS0_4arch9wavefront6targetE1EEEvT1_
    .private_segment_fixed_size: 0
    .sgpr_count:     4
    .sgpr_spill_count: 0
    .symbol:         _ZN7rocprim17ROCPRIM_400000_NS6detail17trampoline_kernelINS0_14default_configENS1_20scan_config_selectorIyEEZZNS1_9scan_implILNS1_25lookback_scan_determinismE0ELb0ELb0ES3_N6thrust23THRUST_200600_302600_NS6detail15normal_iteratorINS9_10device_ptrIyEEEESE_y11max_functorIyEyEEDaPvRmT3_T4_T5_mT6_P12ihipStream_tbENKUlT_T0_E_clISt17integral_constantIbLb0EESU_EEDaSP_SQ_EUlSP_E0_NS1_11comp_targetILNS1_3genE3ELNS1_11target_archE908ELNS1_3gpuE7ELNS1_3repE0EEENS1_30default_config_static_selectorELNS0_4arch9wavefront6targetE1EEEvT1_.kd
    .uniform_work_group_size: 1
    .uses_dynamic_stack: false
    .vgpr_count:     0
    .vgpr_spill_count: 0
    .wavefront_size: 64
  - .agpr_count:     0
    .args:
      - .offset:         0
        .size:           40
        .value_kind:     by_value
    .group_segment_fixed_size: 0
    .kernarg_segment_align: 8
    .kernarg_segment_size: 40
    .language:       OpenCL C
    .language_version:
      - 2
      - 0
    .max_flat_workgroup_size: 64
    .name:           _ZN7rocprim17ROCPRIM_400000_NS6detail17trampoline_kernelINS0_14default_configENS1_20scan_config_selectorIyEEZZNS1_9scan_implILNS1_25lookback_scan_determinismE0ELb0ELb0ES3_N6thrust23THRUST_200600_302600_NS6detail15normal_iteratorINS9_10device_ptrIyEEEESE_y11max_functorIyEyEEDaPvRmT3_T4_T5_mT6_P12ihipStream_tbENKUlT_T0_E_clISt17integral_constantIbLb0EESU_EEDaSP_SQ_EUlSP_E0_NS1_11comp_targetILNS1_3genE2ELNS1_11target_archE906ELNS1_3gpuE6ELNS1_3repE0EEENS1_30default_config_static_selectorELNS0_4arch9wavefront6targetE1EEEvT1_
    .private_segment_fixed_size: 0
    .sgpr_count:     4
    .sgpr_spill_count: 0
    .symbol:         _ZN7rocprim17ROCPRIM_400000_NS6detail17trampoline_kernelINS0_14default_configENS1_20scan_config_selectorIyEEZZNS1_9scan_implILNS1_25lookback_scan_determinismE0ELb0ELb0ES3_N6thrust23THRUST_200600_302600_NS6detail15normal_iteratorINS9_10device_ptrIyEEEESE_y11max_functorIyEyEEDaPvRmT3_T4_T5_mT6_P12ihipStream_tbENKUlT_T0_E_clISt17integral_constantIbLb0EESU_EEDaSP_SQ_EUlSP_E0_NS1_11comp_targetILNS1_3genE2ELNS1_11target_archE906ELNS1_3gpuE6ELNS1_3repE0EEENS1_30default_config_static_selectorELNS0_4arch9wavefront6targetE1EEEvT1_.kd
    .uniform_work_group_size: 1
    .uses_dynamic_stack: false
    .vgpr_count:     0
    .vgpr_spill_count: 0
    .wavefront_size: 64
  - .agpr_count:     0
    .args:
      - .offset:         0
        .size:           40
        .value_kind:     by_value
    .group_segment_fixed_size: 0
    .kernarg_segment_align: 8
    .kernarg_segment_size: 40
    .language:       OpenCL C
    .language_version:
      - 2
      - 0
    .max_flat_workgroup_size: 256
    .name:           _ZN7rocprim17ROCPRIM_400000_NS6detail17trampoline_kernelINS0_14default_configENS1_20scan_config_selectorIyEEZZNS1_9scan_implILNS1_25lookback_scan_determinismE0ELb0ELb0ES3_N6thrust23THRUST_200600_302600_NS6detail15normal_iteratorINS9_10device_ptrIyEEEESE_y11max_functorIyEyEEDaPvRmT3_T4_T5_mT6_P12ihipStream_tbENKUlT_T0_E_clISt17integral_constantIbLb0EESU_EEDaSP_SQ_EUlSP_E0_NS1_11comp_targetILNS1_3genE10ELNS1_11target_archE1201ELNS1_3gpuE5ELNS1_3repE0EEENS1_30default_config_static_selectorELNS0_4arch9wavefront6targetE1EEEvT1_
    .private_segment_fixed_size: 0
    .sgpr_count:     4
    .sgpr_spill_count: 0
    .symbol:         _ZN7rocprim17ROCPRIM_400000_NS6detail17trampoline_kernelINS0_14default_configENS1_20scan_config_selectorIyEEZZNS1_9scan_implILNS1_25lookback_scan_determinismE0ELb0ELb0ES3_N6thrust23THRUST_200600_302600_NS6detail15normal_iteratorINS9_10device_ptrIyEEEESE_y11max_functorIyEyEEDaPvRmT3_T4_T5_mT6_P12ihipStream_tbENKUlT_T0_E_clISt17integral_constantIbLb0EESU_EEDaSP_SQ_EUlSP_E0_NS1_11comp_targetILNS1_3genE10ELNS1_11target_archE1201ELNS1_3gpuE5ELNS1_3repE0EEENS1_30default_config_static_selectorELNS0_4arch9wavefront6targetE1EEEvT1_.kd
    .uniform_work_group_size: 1
    .uses_dynamic_stack: false
    .vgpr_count:     0
    .vgpr_spill_count: 0
    .wavefront_size: 64
  - .agpr_count:     0
    .args:
      - .offset:         0
        .size:           40
        .value_kind:     by_value
    .group_segment_fixed_size: 0
    .kernarg_segment_align: 8
    .kernarg_segment_size: 40
    .language:       OpenCL C
    .language_version:
      - 2
      - 0
    .max_flat_workgroup_size: 256
    .name:           _ZN7rocprim17ROCPRIM_400000_NS6detail17trampoline_kernelINS0_14default_configENS1_20scan_config_selectorIyEEZZNS1_9scan_implILNS1_25lookback_scan_determinismE0ELb0ELb0ES3_N6thrust23THRUST_200600_302600_NS6detail15normal_iteratorINS9_10device_ptrIyEEEESE_y11max_functorIyEyEEDaPvRmT3_T4_T5_mT6_P12ihipStream_tbENKUlT_T0_E_clISt17integral_constantIbLb0EESU_EEDaSP_SQ_EUlSP_E0_NS1_11comp_targetILNS1_3genE10ELNS1_11target_archE1200ELNS1_3gpuE4ELNS1_3repE0EEENS1_30default_config_static_selectorELNS0_4arch9wavefront6targetE1EEEvT1_
    .private_segment_fixed_size: 0
    .sgpr_count:     4
    .sgpr_spill_count: 0
    .symbol:         _ZN7rocprim17ROCPRIM_400000_NS6detail17trampoline_kernelINS0_14default_configENS1_20scan_config_selectorIyEEZZNS1_9scan_implILNS1_25lookback_scan_determinismE0ELb0ELb0ES3_N6thrust23THRUST_200600_302600_NS6detail15normal_iteratorINS9_10device_ptrIyEEEESE_y11max_functorIyEyEEDaPvRmT3_T4_T5_mT6_P12ihipStream_tbENKUlT_T0_E_clISt17integral_constantIbLb0EESU_EEDaSP_SQ_EUlSP_E0_NS1_11comp_targetILNS1_3genE10ELNS1_11target_archE1200ELNS1_3gpuE4ELNS1_3repE0EEENS1_30default_config_static_selectorELNS0_4arch9wavefront6targetE1EEEvT1_.kd
    .uniform_work_group_size: 1
    .uses_dynamic_stack: false
    .vgpr_count:     0
    .vgpr_spill_count: 0
    .wavefront_size: 64
  - .agpr_count:     0
    .args:
      - .offset:         0
        .size:           40
        .value_kind:     by_value
    .group_segment_fixed_size: 0
    .kernarg_segment_align: 8
    .kernarg_segment_size: 40
    .language:       OpenCL C
    .language_version:
      - 2
      - 0
    .max_flat_workgroup_size: 256
    .name:           _ZN7rocprim17ROCPRIM_400000_NS6detail17trampoline_kernelINS0_14default_configENS1_20scan_config_selectorIyEEZZNS1_9scan_implILNS1_25lookback_scan_determinismE0ELb0ELb0ES3_N6thrust23THRUST_200600_302600_NS6detail15normal_iteratorINS9_10device_ptrIyEEEESE_y11max_functorIyEyEEDaPvRmT3_T4_T5_mT6_P12ihipStream_tbENKUlT_T0_E_clISt17integral_constantIbLb0EESU_EEDaSP_SQ_EUlSP_E0_NS1_11comp_targetILNS1_3genE9ELNS1_11target_archE1100ELNS1_3gpuE3ELNS1_3repE0EEENS1_30default_config_static_selectorELNS0_4arch9wavefront6targetE1EEEvT1_
    .private_segment_fixed_size: 0
    .sgpr_count:     4
    .sgpr_spill_count: 0
    .symbol:         _ZN7rocprim17ROCPRIM_400000_NS6detail17trampoline_kernelINS0_14default_configENS1_20scan_config_selectorIyEEZZNS1_9scan_implILNS1_25lookback_scan_determinismE0ELb0ELb0ES3_N6thrust23THRUST_200600_302600_NS6detail15normal_iteratorINS9_10device_ptrIyEEEESE_y11max_functorIyEyEEDaPvRmT3_T4_T5_mT6_P12ihipStream_tbENKUlT_T0_E_clISt17integral_constantIbLb0EESU_EEDaSP_SQ_EUlSP_E0_NS1_11comp_targetILNS1_3genE9ELNS1_11target_archE1100ELNS1_3gpuE3ELNS1_3repE0EEENS1_30default_config_static_selectorELNS0_4arch9wavefront6targetE1EEEvT1_.kd
    .uniform_work_group_size: 1
    .uses_dynamic_stack: false
    .vgpr_count:     0
    .vgpr_spill_count: 0
    .wavefront_size: 64
  - .agpr_count:     0
    .args:
      - .offset:         0
        .size:           40
        .value_kind:     by_value
    .group_segment_fixed_size: 0
    .kernarg_segment_align: 8
    .kernarg_segment_size: 40
    .language:       OpenCL C
    .language_version:
      - 2
      - 0
    .max_flat_workgroup_size: 256
    .name:           _ZN7rocprim17ROCPRIM_400000_NS6detail17trampoline_kernelINS0_14default_configENS1_20scan_config_selectorIyEEZZNS1_9scan_implILNS1_25lookback_scan_determinismE0ELb0ELb0ES3_N6thrust23THRUST_200600_302600_NS6detail15normal_iteratorINS9_10device_ptrIyEEEESE_y11max_functorIyEyEEDaPvRmT3_T4_T5_mT6_P12ihipStream_tbENKUlT_T0_E_clISt17integral_constantIbLb0EESU_EEDaSP_SQ_EUlSP_E0_NS1_11comp_targetILNS1_3genE8ELNS1_11target_archE1030ELNS1_3gpuE2ELNS1_3repE0EEENS1_30default_config_static_selectorELNS0_4arch9wavefront6targetE1EEEvT1_
    .private_segment_fixed_size: 0
    .sgpr_count:     4
    .sgpr_spill_count: 0
    .symbol:         _ZN7rocprim17ROCPRIM_400000_NS6detail17trampoline_kernelINS0_14default_configENS1_20scan_config_selectorIyEEZZNS1_9scan_implILNS1_25lookback_scan_determinismE0ELb0ELb0ES3_N6thrust23THRUST_200600_302600_NS6detail15normal_iteratorINS9_10device_ptrIyEEEESE_y11max_functorIyEyEEDaPvRmT3_T4_T5_mT6_P12ihipStream_tbENKUlT_T0_E_clISt17integral_constantIbLb0EESU_EEDaSP_SQ_EUlSP_E0_NS1_11comp_targetILNS1_3genE8ELNS1_11target_archE1030ELNS1_3gpuE2ELNS1_3repE0EEENS1_30default_config_static_selectorELNS0_4arch9wavefront6targetE1EEEvT1_.kd
    .uniform_work_group_size: 1
    .uses_dynamic_stack: false
    .vgpr_count:     0
    .vgpr_spill_count: 0
    .wavefront_size: 64
  - .agpr_count:     0
    .args:
      - .address_space:  global
        .offset:         0
        .size:           8
        .value_kind:     global_buffer
      - .offset:         8
        .size:           4
        .value_kind:     by_value
      - .address_space:  global
        .offset:         16
        .size:           8
        .value_kind:     global_buffer
      - .offset:         24
        .size:           4
        .value_kind:     by_value
      - .address_space:  global
        .offset:         32
        .size:           8
        .value_kind:     global_buffer
      - .offset:         40
        .size:           4
        .value_kind:     hidden_block_count_x
      - .offset:         44
        .size:           4
        .value_kind:     hidden_block_count_y
      - .offset:         48
        .size:           4
        .value_kind:     hidden_block_count_z
      - .offset:         52
        .size:           2
        .value_kind:     hidden_group_size_x
      - .offset:         54
        .size:           2
        .value_kind:     hidden_group_size_y
      - .offset:         56
        .size:           2
        .value_kind:     hidden_group_size_z
      - .offset:         58
        .size:           2
        .value_kind:     hidden_remainder_x
      - .offset:         60
        .size:           2
        .value_kind:     hidden_remainder_y
      - .offset:         62
        .size:           2
        .value_kind:     hidden_remainder_z
      - .offset:         80
        .size:           8
        .value_kind:     hidden_global_offset_x
      - .offset:         88
        .size:           8
        .value_kind:     hidden_global_offset_y
      - .offset:         96
        .size:           8
        .value_kind:     hidden_global_offset_z
      - .offset:         104
        .size:           2
        .value_kind:     hidden_grid_dims
    .group_segment_fixed_size: 0
    .kernarg_segment_align: 8
    .kernarg_segment_size: 296
    .language:       OpenCL C
    .language_version:
      - 2
      - 0
    .max_flat_workgroup_size: 256
    .name:           _ZN7rocprim17ROCPRIM_400000_NS6detail31init_lookback_scan_state_kernelINS1_19lookback_scan_stateIyLb1ELb1EEENS1_16block_id_wrapperIjLb1EEEEEvT_jT0_jPNS7_10value_typeE
    .private_segment_fixed_size: 0
    .sgpr_count:     20
    .sgpr_spill_count: 0
    .symbol:         _ZN7rocprim17ROCPRIM_400000_NS6detail31init_lookback_scan_state_kernelINS1_19lookback_scan_stateIyLb1ELb1EEENS1_16block_id_wrapperIjLb1EEEEEvT_jT0_jPNS7_10value_typeE.kd
    .uniform_work_group_size: 1
    .uses_dynamic_stack: false
    .vgpr_count:     10
    .vgpr_spill_count: 0
    .wavefront_size: 64
  - .agpr_count:     0
    .args:
      - .offset:         0
        .size:           104
        .value_kind:     by_value
    .group_segment_fixed_size: 0
    .kernarg_segment_align: 8
    .kernarg_segment_size: 104
    .language:       OpenCL C
    .language_version:
      - 2
      - 0
    .max_flat_workgroup_size: 256
    .name:           _ZN7rocprim17ROCPRIM_400000_NS6detail17trampoline_kernelINS0_14default_configENS1_20scan_config_selectorIyEEZZNS1_9scan_implILNS1_25lookback_scan_determinismE0ELb0ELb0ES3_N6thrust23THRUST_200600_302600_NS6detail15normal_iteratorINS9_10device_ptrIyEEEESE_y11max_functorIyEyEEDaPvRmT3_T4_T5_mT6_P12ihipStream_tbENKUlT_T0_E_clISt17integral_constantIbLb1EESU_EEDaSP_SQ_EUlSP_E_NS1_11comp_targetILNS1_3genE0ELNS1_11target_archE4294967295ELNS1_3gpuE0ELNS1_3repE0EEENS1_30default_config_static_selectorELNS0_4arch9wavefront6targetE1EEEvT1_
    .private_segment_fixed_size: 0
    .sgpr_count:     4
    .sgpr_spill_count: 0
    .symbol:         _ZN7rocprim17ROCPRIM_400000_NS6detail17trampoline_kernelINS0_14default_configENS1_20scan_config_selectorIyEEZZNS1_9scan_implILNS1_25lookback_scan_determinismE0ELb0ELb0ES3_N6thrust23THRUST_200600_302600_NS6detail15normal_iteratorINS9_10device_ptrIyEEEESE_y11max_functorIyEyEEDaPvRmT3_T4_T5_mT6_P12ihipStream_tbENKUlT_T0_E_clISt17integral_constantIbLb1EESU_EEDaSP_SQ_EUlSP_E_NS1_11comp_targetILNS1_3genE0ELNS1_11target_archE4294967295ELNS1_3gpuE0ELNS1_3repE0EEENS1_30default_config_static_selectorELNS0_4arch9wavefront6targetE1EEEvT1_.kd
    .uniform_work_group_size: 1
    .uses_dynamic_stack: false
    .vgpr_count:     0
    .vgpr_spill_count: 0
    .wavefront_size: 64
  - .agpr_count:     0
    .args:
      - .offset:         0
        .size:           104
        .value_kind:     by_value
    .group_segment_fixed_size: 0
    .kernarg_segment_align: 8
    .kernarg_segment_size: 104
    .language:       OpenCL C
    .language_version:
      - 2
      - 0
    .max_flat_workgroup_size: 256
    .name:           _ZN7rocprim17ROCPRIM_400000_NS6detail17trampoline_kernelINS0_14default_configENS1_20scan_config_selectorIyEEZZNS1_9scan_implILNS1_25lookback_scan_determinismE0ELb0ELb0ES3_N6thrust23THRUST_200600_302600_NS6detail15normal_iteratorINS9_10device_ptrIyEEEESE_y11max_functorIyEyEEDaPvRmT3_T4_T5_mT6_P12ihipStream_tbENKUlT_T0_E_clISt17integral_constantIbLb1EESU_EEDaSP_SQ_EUlSP_E_NS1_11comp_targetILNS1_3genE5ELNS1_11target_archE942ELNS1_3gpuE9ELNS1_3repE0EEENS1_30default_config_static_selectorELNS0_4arch9wavefront6targetE1EEEvT1_
    .private_segment_fixed_size: 0
    .sgpr_count:     4
    .sgpr_spill_count: 0
    .symbol:         _ZN7rocprim17ROCPRIM_400000_NS6detail17trampoline_kernelINS0_14default_configENS1_20scan_config_selectorIyEEZZNS1_9scan_implILNS1_25lookback_scan_determinismE0ELb0ELb0ES3_N6thrust23THRUST_200600_302600_NS6detail15normal_iteratorINS9_10device_ptrIyEEEESE_y11max_functorIyEyEEDaPvRmT3_T4_T5_mT6_P12ihipStream_tbENKUlT_T0_E_clISt17integral_constantIbLb1EESU_EEDaSP_SQ_EUlSP_E_NS1_11comp_targetILNS1_3genE5ELNS1_11target_archE942ELNS1_3gpuE9ELNS1_3repE0EEENS1_30default_config_static_selectorELNS0_4arch9wavefront6targetE1EEEvT1_.kd
    .uniform_work_group_size: 1
    .uses_dynamic_stack: false
    .vgpr_count:     0
    .vgpr_spill_count: 0
    .wavefront_size: 64
  - .agpr_count:     0
    .args:
      - .offset:         0
        .size:           104
        .value_kind:     by_value
    .group_segment_fixed_size: 7168
    .kernarg_segment_align: 8
    .kernarg_segment_size: 104
    .language:       OpenCL C
    .language_version:
      - 2
      - 0
    .max_flat_workgroup_size: 128
    .name:           _ZN7rocprim17ROCPRIM_400000_NS6detail17trampoline_kernelINS0_14default_configENS1_20scan_config_selectorIyEEZZNS1_9scan_implILNS1_25lookback_scan_determinismE0ELb0ELb0ES3_N6thrust23THRUST_200600_302600_NS6detail15normal_iteratorINS9_10device_ptrIyEEEESE_y11max_functorIyEyEEDaPvRmT3_T4_T5_mT6_P12ihipStream_tbENKUlT_T0_E_clISt17integral_constantIbLb1EESU_EEDaSP_SQ_EUlSP_E_NS1_11comp_targetILNS1_3genE4ELNS1_11target_archE910ELNS1_3gpuE8ELNS1_3repE0EEENS1_30default_config_static_selectorELNS0_4arch9wavefront6targetE1EEEvT1_
    .private_segment_fixed_size: 0
    .sgpr_count:     42
    .sgpr_spill_count: 0
    .symbol:         _ZN7rocprim17ROCPRIM_400000_NS6detail17trampoline_kernelINS0_14default_configENS1_20scan_config_selectorIyEEZZNS1_9scan_implILNS1_25lookback_scan_determinismE0ELb0ELb0ES3_N6thrust23THRUST_200600_302600_NS6detail15normal_iteratorINS9_10device_ptrIyEEEESE_y11max_functorIyEyEEDaPvRmT3_T4_T5_mT6_P12ihipStream_tbENKUlT_T0_E_clISt17integral_constantIbLb1EESU_EEDaSP_SQ_EUlSP_E_NS1_11comp_targetILNS1_3genE4ELNS1_11target_archE910ELNS1_3gpuE8ELNS1_3repE0EEENS1_30default_config_static_selectorELNS0_4arch9wavefront6targetE1EEEvT1_.kd
    .uniform_work_group_size: 1
    .uses_dynamic_stack: false
    .vgpr_count:     58
    .vgpr_spill_count: 0
    .wavefront_size: 64
  - .agpr_count:     0
    .args:
      - .offset:         0
        .size:           104
        .value_kind:     by_value
    .group_segment_fixed_size: 0
    .kernarg_segment_align: 8
    .kernarg_segment_size: 104
    .language:       OpenCL C
    .language_version:
      - 2
      - 0
    .max_flat_workgroup_size: 256
    .name:           _ZN7rocprim17ROCPRIM_400000_NS6detail17trampoline_kernelINS0_14default_configENS1_20scan_config_selectorIyEEZZNS1_9scan_implILNS1_25lookback_scan_determinismE0ELb0ELb0ES3_N6thrust23THRUST_200600_302600_NS6detail15normal_iteratorINS9_10device_ptrIyEEEESE_y11max_functorIyEyEEDaPvRmT3_T4_T5_mT6_P12ihipStream_tbENKUlT_T0_E_clISt17integral_constantIbLb1EESU_EEDaSP_SQ_EUlSP_E_NS1_11comp_targetILNS1_3genE3ELNS1_11target_archE908ELNS1_3gpuE7ELNS1_3repE0EEENS1_30default_config_static_selectorELNS0_4arch9wavefront6targetE1EEEvT1_
    .private_segment_fixed_size: 0
    .sgpr_count:     4
    .sgpr_spill_count: 0
    .symbol:         _ZN7rocprim17ROCPRIM_400000_NS6detail17trampoline_kernelINS0_14default_configENS1_20scan_config_selectorIyEEZZNS1_9scan_implILNS1_25lookback_scan_determinismE0ELb0ELb0ES3_N6thrust23THRUST_200600_302600_NS6detail15normal_iteratorINS9_10device_ptrIyEEEESE_y11max_functorIyEyEEDaPvRmT3_T4_T5_mT6_P12ihipStream_tbENKUlT_T0_E_clISt17integral_constantIbLb1EESU_EEDaSP_SQ_EUlSP_E_NS1_11comp_targetILNS1_3genE3ELNS1_11target_archE908ELNS1_3gpuE7ELNS1_3repE0EEENS1_30default_config_static_selectorELNS0_4arch9wavefront6targetE1EEEvT1_.kd
    .uniform_work_group_size: 1
    .uses_dynamic_stack: false
    .vgpr_count:     0
    .vgpr_spill_count: 0
    .wavefront_size: 64
  - .agpr_count:     0
    .args:
      - .offset:         0
        .size:           104
        .value_kind:     by_value
    .group_segment_fixed_size: 0
    .kernarg_segment_align: 8
    .kernarg_segment_size: 104
    .language:       OpenCL C
    .language_version:
      - 2
      - 0
    .max_flat_workgroup_size: 64
    .name:           _ZN7rocprim17ROCPRIM_400000_NS6detail17trampoline_kernelINS0_14default_configENS1_20scan_config_selectorIyEEZZNS1_9scan_implILNS1_25lookback_scan_determinismE0ELb0ELb0ES3_N6thrust23THRUST_200600_302600_NS6detail15normal_iteratorINS9_10device_ptrIyEEEESE_y11max_functorIyEyEEDaPvRmT3_T4_T5_mT6_P12ihipStream_tbENKUlT_T0_E_clISt17integral_constantIbLb1EESU_EEDaSP_SQ_EUlSP_E_NS1_11comp_targetILNS1_3genE2ELNS1_11target_archE906ELNS1_3gpuE6ELNS1_3repE0EEENS1_30default_config_static_selectorELNS0_4arch9wavefront6targetE1EEEvT1_
    .private_segment_fixed_size: 0
    .sgpr_count:     4
    .sgpr_spill_count: 0
    .symbol:         _ZN7rocprim17ROCPRIM_400000_NS6detail17trampoline_kernelINS0_14default_configENS1_20scan_config_selectorIyEEZZNS1_9scan_implILNS1_25lookback_scan_determinismE0ELb0ELb0ES3_N6thrust23THRUST_200600_302600_NS6detail15normal_iteratorINS9_10device_ptrIyEEEESE_y11max_functorIyEyEEDaPvRmT3_T4_T5_mT6_P12ihipStream_tbENKUlT_T0_E_clISt17integral_constantIbLb1EESU_EEDaSP_SQ_EUlSP_E_NS1_11comp_targetILNS1_3genE2ELNS1_11target_archE906ELNS1_3gpuE6ELNS1_3repE0EEENS1_30default_config_static_selectorELNS0_4arch9wavefront6targetE1EEEvT1_.kd
    .uniform_work_group_size: 1
    .uses_dynamic_stack: false
    .vgpr_count:     0
    .vgpr_spill_count: 0
    .wavefront_size: 64
  - .agpr_count:     0
    .args:
      - .offset:         0
        .size:           104
        .value_kind:     by_value
    .group_segment_fixed_size: 0
    .kernarg_segment_align: 8
    .kernarg_segment_size: 104
    .language:       OpenCL C
    .language_version:
      - 2
      - 0
    .max_flat_workgroup_size: 256
    .name:           _ZN7rocprim17ROCPRIM_400000_NS6detail17trampoline_kernelINS0_14default_configENS1_20scan_config_selectorIyEEZZNS1_9scan_implILNS1_25lookback_scan_determinismE0ELb0ELb0ES3_N6thrust23THRUST_200600_302600_NS6detail15normal_iteratorINS9_10device_ptrIyEEEESE_y11max_functorIyEyEEDaPvRmT3_T4_T5_mT6_P12ihipStream_tbENKUlT_T0_E_clISt17integral_constantIbLb1EESU_EEDaSP_SQ_EUlSP_E_NS1_11comp_targetILNS1_3genE10ELNS1_11target_archE1201ELNS1_3gpuE5ELNS1_3repE0EEENS1_30default_config_static_selectorELNS0_4arch9wavefront6targetE1EEEvT1_
    .private_segment_fixed_size: 0
    .sgpr_count:     4
    .sgpr_spill_count: 0
    .symbol:         _ZN7rocprim17ROCPRIM_400000_NS6detail17trampoline_kernelINS0_14default_configENS1_20scan_config_selectorIyEEZZNS1_9scan_implILNS1_25lookback_scan_determinismE0ELb0ELb0ES3_N6thrust23THRUST_200600_302600_NS6detail15normal_iteratorINS9_10device_ptrIyEEEESE_y11max_functorIyEyEEDaPvRmT3_T4_T5_mT6_P12ihipStream_tbENKUlT_T0_E_clISt17integral_constantIbLb1EESU_EEDaSP_SQ_EUlSP_E_NS1_11comp_targetILNS1_3genE10ELNS1_11target_archE1201ELNS1_3gpuE5ELNS1_3repE0EEENS1_30default_config_static_selectorELNS0_4arch9wavefront6targetE1EEEvT1_.kd
    .uniform_work_group_size: 1
    .uses_dynamic_stack: false
    .vgpr_count:     0
    .vgpr_spill_count: 0
    .wavefront_size: 64
  - .agpr_count:     0
    .args:
      - .offset:         0
        .size:           104
        .value_kind:     by_value
    .group_segment_fixed_size: 0
    .kernarg_segment_align: 8
    .kernarg_segment_size: 104
    .language:       OpenCL C
    .language_version:
      - 2
      - 0
    .max_flat_workgroup_size: 256
    .name:           _ZN7rocprim17ROCPRIM_400000_NS6detail17trampoline_kernelINS0_14default_configENS1_20scan_config_selectorIyEEZZNS1_9scan_implILNS1_25lookback_scan_determinismE0ELb0ELb0ES3_N6thrust23THRUST_200600_302600_NS6detail15normal_iteratorINS9_10device_ptrIyEEEESE_y11max_functorIyEyEEDaPvRmT3_T4_T5_mT6_P12ihipStream_tbENKUlT_T0_E_clISt17integral_constantIbLb1EESU_EEDaSP_SQ_EUlSP_E_NS1_11comp_targetILNS1_3genE10ELNS1_11target_archE1200ELNS1_3gpuE4ELNS1_3repE0EEENS1_30default_config_static_selectorELNS0_4arch9wavefront6targetE1EEEvT1_
    .private_segment_fixed_size: 0
    .sgpr_count:     4
    .sgpr_spill_count: 0
    .symbol:         _ZN7rocprim17ROCPRIM_400000_NS6detail17trampoline_kernelINS0_14default_configENS1_20scan_config_selectorIyEEZZNS1_9scan_implILNS1_25lookback_scan_determinismE0ELb0ELb0ES3_N6thrust23THRUST_200600_302600_NS6detail15normal_iteratorINS9_10device_ptrIyEEEESE_y11max_functorIyEyEEDaPvRmT3_T4_T5_mT6_P12ihipStream_tbENKUlT_T0_E_clISt17integral_constantIbLb1EESU_EEDaSP_SQ_EUlSP_E_NS1_11comp_targetILNS1_3genE10ELNS1_11target_archE1200ELNS1_3gpuE4ELNS1_3repE0EEENS1_30default_config_static_selectorELNS0_4arch9wavefront6targetE1EEEvT1_.kd
    .uniform_work_group_size: 1
    .uses_dynamic_stack: false
    .vgpr_count:     0
    .vgpr_spill_count: 0
    .wavefront_size: 64
  - .agpr_count:     0
    .args:
      - .offset:         0
        .size:           104
        .value_kind:     by_value
    .group_segment_fixed_size: 0
    .kernarg_segment_align: 8
    .kernarg_segment_size: 104
    .language:       OpenCL C
    .language_version:
      - 2
      - 0
    .max_flat_workgroup_size: 256
    .name:           _ZN7rocprim17ROCPRIM_400000_NS6detail17trampoline_kernelINS0_14default_configENS1_20scan_config_selectorIyEEZZNS1_9scan_implILNS1_25lookback_scan_determinismE0ELb0ELb0ES3_N6thrust23THRUST_200600_302600_NS6detail15normal_iteratorINS9_10device_ptrIyEEEESE_y11max_functorIyEyEEDaPvRmT3_T4_T5_mT6_P12ihipStream_tbENKUlT_T0_E_clISt17integral_constantIbLb1EESU_EEDaSP_SQ_EUlSP_E_NS1_11comp_targetILNS1_3genE9ELNS1_11target_archE1100ELNS1_3gpuE3ELNS1_3repE0EEENS1_30default_config_static_selectorELNS0_4arch9wavefront6targetE1EEEvT1_
    .private_segment_fixed_size: 0
    .sgpr_count:     4
    .sgpr_spill_count: 0
    .symbol:         _ZN7rocprim17ROCPRIM_400000_NS6detail17trampoline_kernelINS0_14default_configENS1_20scan_config_selectorIyEEZZNS1_9scan_implILNS1_25lookback_scan_determinismE0ELb0ELb0ES3_N6thrust23THRUST_200600_302600_NS6detail15normal_iteratorINS9_10device_ptrIyEEEESE_y11max_functorIyEyEEDaPvRmT3_T4_T5_mT6_P12ihipStream_tbENKUlT_T0_E_clISt17integral_constantIbLb1EESU_EEDaSP_SQ_EUlSP_E_NS1_11comp_targetILNS1_3genE9ELNS1_11target_archE1100ELNS1_3gpuE3ELNS1_3repE0EEENS1_30default_config_static_selectorELNS0_4arch9wavefront6targetE1EEEvT1_.kd
    .uniform_work_group_size: 1
    .uses_dynamic_stack: false
    .vgpr_count:     0
    .vgpr_spill_count: 0
    .wavefront_size: 64
  - .agpr_count:     0
    .args:
      - .offset:         0
        .size:           104
        .value_kind:     by_value
    .group_segment_fixed_size: 0
    .kernarg_segment_align: 8
    .kernarg_segment_size: 104
    .language:       OpenCL C
    .language_version:
      - 2
      - 0
    .max_flat_workgroup_size: 256
    .name:           _ZN7rocprim17ROCPRIM_400000_NS6detail17trampoline_kernelINS0_14default_configENS1_20scan_config_selectorIyEEZZNS1_9scan_implILNS1_25lookback_scan_determinismE0ELb0ELb0ES3_N6thrust23THRUST_200600_302600_NS6detail15normal_iteratorINS9_10device_ptrIyEEEESE_y11max_functorIyEyEEDaPvRmT3_T4_T5_mT6_P12ihipStream_tbENKUlT_T0_E_clISt17integral_constantIbLb1EESU_EEDaSP_SQ_EUlSP_E_NS1_11comp_targetILNS1_3genE8ELNS1_11target_archE1030ELNS1_3gpuE2ELNS1_3repE0EEENS1_30default_config_static_selectorELNS0_4arch9wavefront6targetE1EEEvT1_
    .private_segment_fixed_size: 0
    .sgpr_count:     4
    .sgpr_spill_count: 0
    .symbol:         _ZN7rocprim17ROCPRIM_400000_NS6detail17trampoline_kernelINS0_14default_configENS1_20scan_config_selectorIyEEZZNS1_9scan_implILNS1_25lookback_scan_determinismE0ELb0ELb0ES3_N6thrust23THRUST_200600_302600_NS6detail15normal_iteratorINS9_10device_ptrIyEEEESE_y11max_functorIyEyEEDaPvRmT3_T4_T5_mT6_P12ihipStream_tbENKUlT_T0_E_clISt17integral_constantIbLb1EESU_EEDaSP_SQ_EUlSP_E_NS1_11comp_targetILNS1_3genE8ELNS1_11target_archE1030ELNS1_3gpuE2ELNS1_3repE0EEENS1_30default_config_static_selectorELNS0_4arch9wavefront6targetE1EEEvT1_.kd
    .uniform_work_group_size: 1
    .uses_dynamic_stack: false
    .vgpr_count:     0
    .vgpr_spill_count: 0
    .wavefront_size: 64
  - .agpr_count:     0
    .args:
      - .offset:         0
        .size:           40
        .value_kind:     by_value
    .group_segment_fixed_size: 0
    .kernarg_segment_align: 8
    .kernarg_segment_size: 40
    .language:       OpenCL C
    .language_version:
      - 2
      - 0
    .max_flat_workgroup_size: 256
    .name:           _ZN7rocprim17ROCPRIM_400000_NS6detail17trampoline_kernelINS0_14default_configENS1_20scan_config_selectorIyEEZZNS1_9scan_implILNS1_25lookback_scan_determinismE0ELb0ELb0ES3_N6thrust23THRUST_200600_302600_NS6detail15normal_iteratorINS9_10device_ptrIyEEEESE_y11max_functorIyEyEEDaPvRmT3_T4_T5_mT6_P12ihipStream_tbENKUlT_T0_E_clISt17integral_constantIbLb1EESU_EEDaSP_SQ_EUlSP_E0_NS1_11comp_targetILNS1_3genE0ELNS1_11target_archE4294967295ELNS1_3gpuE0ELNS1_3repE0EEENS1_30default_config_static_selectorELNS0_4arch9wavefront6targetE1EEEvT1_
    .private_segment_fixed_size: 0
    .sgpr_count:     4
    .sgpr_spill_count: 0
    .symbol:         _ZN7rocprim17ROCPRIM_400000_NS6detail17trampoline_kernelINS0_14default_configENS1_20scan_config_selectorIyEEZZNS1_9scan_implILNS1_25lookback_scan_determinismE0ELb0ELb0ES3_N6thrust23THRUST_200600_302600_NS6detail15normal_iteratorINS9_10device_ptrIyEEEESE_y11max_functorIyEyEEDaPvRmT3_T4_T5_mT6_P12ihipStream_tbENKUlT_T0_E_clISt17integral_constantIbLb1EESU_EEDaSP_SQ_EUlSP_E0_NS1_11comp_targetILNS1_3genE0ELNS1_11target_archE4294967295ELNS1_3gpuE0ELNS1_3repE0EEENS1_30default_config_static_selectorELNS0_4arch9wavefront6targetE1EEEvT1_.kd
    .uniform_work_group_size: 1
    .uses_dynamic_stack: false
    .vgpr_count:     0
    .vgpr_spill_count: 0
    .wavefront_size: 64
  - .agpr_count:     0
    .args:
      - .offset:         0
        .size:           40
        .value_kind:     by_value
    .group_segment_fixed_size: 0
    .kernarg_segment_align: 8
    .kernarg_segment_size: 40
    .language:       OpenCL C
    .language_version:
      - 2
      - 0
    .max_flat_workgroup_size: 256
    .name:           _ZN7rocprim17ROCPRIM_400000_NS6detail17trampoline_kernelINS0_14default_configENS1_20scan_config_selectorIyEEZZNS1_9scan_implILNS1_25lookback_scan_determinismE0ELb0ELb0ES3_N6thrust23THRUST_200600_302600_NS6detail15normal_iteratorINS9_10device_ptrIyEEEESE_y11max_functorIyEyEEDaPvRmT3_T4_T5_mT6_P12ihipStream_tbENKUlT_T0_E_clISt17integral_constantIbLb1EESU_EEDaSP_SQ_EUlSP_E0_NS1_11comp_targetILNS1_3genE5ELNS1_11target_archE942ELNS1_3gpuE9ELNS1_3repE0EEENS1_30default_config_static_selectorELNS0_4arch9wavefront6targetE1EEEvT1_
    .private_segment_fixed_size: 0
    .sgpr_count:     4
    .sgpr_spill_count: 0
    .symbol:         _ZN7rocprim17ROCPRIM_400000_NS6detail17trampoline_kernelINS0_14default_configENS1_20scan_config_selectorIyEEZZNS1_9scan_implILNS1_25lookback_scan_determinismE0ELb0ELb0ES3_N6thrust23THRUST_200600_302600_NS6detail15normal_iteratorINS9_10device_ptrIyEEEESE_y11max_functorIyEyEEDaPvRmT3_T4_T5_mT6_P12ihipStream_tbENKUlT_T0_E_clISt17integral_constantIbLb1EESU_EEDaSP_SQ_EUlSP_E0_NS1_11comp_targetILNS1_3genE5ELNS1_11target_archE942ELNS1_3gpuE9ELNS1_3repE0EEENS1_30default_config_static_selectorELNS0_4arch9wavefront6targetE1EEEvT1_.kd
    .uniform_work_group_size: 1
    .uses_dynamic_stack: false
    .vgpr_count:     0
    .vgpr_spill_count: 0
    .wavefront_size: 64
  - .agpr_count:     0
    .args:
      - .offset:         0
        .size:           40
        .value_kind:     by_value
    .group_segment_fixed_size: 7168
    .kernarg_segment_align: 8
    .kernarg_segment_size: 40
    .language:       OpenCL C
    .language_version:
      - 2
      - 0
    .max_flat_workgroup_size: 128
    .name:           _ZN7rocprim17ROCPRIM_400000_NS6detail17trampoline_kernelINS0_14default_configENS1_20scan_config_selectorIyEEZZNS1_9scan_implILNS1_25lookback_scan_determinismE0ELb0ELb0ES3_N6thrust23THRUST_200600_302600_NS6detail15normal_iteratorINS9_10device_ptrIyEEEESE_y11max_functorIyEyEEDaPvRmT3_T4_T5_mT6_P12ihipStream_tbENKUlT_T0_E_clISt17integral_constantIbLb1EESU_EEDaSP_SQ_EUlSP_E0_NS1_11comp_targetILNS1_3genE4ELNS1_11target_archE910ELNS1_3gpuE8ELNS1_3repE0EEENS1_30default_config_static_selectorELNS0_4arch9wavefront6targetE1EEEvT1_
    .private_segment_fixed_size: 0
    .sgpr_count:     26
    .sgpr_spill_count: 0
    .symbol:         _ZN7rocprim17ROCPRIM_400000_NS6detail17trampoline_kernelINS0_14default_configENS1_20scan_config_selectorIyEEZZNS1_9scan_implILNS1_25lookback_scan_determinismE0ELb0ELb0ES3_N6thrust23THRUST_200600_302600_NS6detail15normal_iteratorINS9_10device_ptrIyEEEESE_y11max_functorIyEyEEDaPvRmT3_T4_T5_mT6_P12ihipStream_tbENKUlT_T0_E_clISt17integral_constantIbLb1EESU_EEDaSP_SQ_EUlSP_E0_NS1_11comp_targetILNS1_3genE4ELNS1_11target_archE910ELNS1_3gpuE8ELNS1_3repE0EEENS1_30default_config_static_selectorELNS0_4arch9wavefront6targetE1EEEvT1_.kd
    .uniform_work_group_size: 1
    .uses_dynamic_stack: false
    .vgpr_count:     42
    .vgpr_spill_count: 0
    .wavefront_size: 64
  - .agpr_count:     0
    .args:
      - .offset:         0
        .size:           40
        .value_kind:     by_value
    .group_segment_fixed_size: 0
    .kernarg_segment_align: 8
    .kernarg_segment_size: 40
    .language:       OpenCL C
    .language_version:
      - 2
      - 0
    .max_flat_workgroup_size: 256
    .name:           _ZN7rocprim17ROCPRIM_400000_NS6detail17trampoline_kernelINS0_14default_configENS1_20scan_config_selectorIyEEZZNS1_9scan_implILNS1_25lookback_scan_determinismE0ELb0ELb0ES3_N6thrust23THRUST_200600_302600_NS6detail15normal_iteratorINS9_10device_ptrIyEEEESE_y11max_functorIyEyEEDaPvRmT3_T4_T5_mT6_P12ihipStream_tbENKUlT_T0_E_clISt17integral_constantIbLb1EESU_EEDaSP_SQ_EUlSP_E0_NS1_11comp_targetILNS1_3genE3ELNS1_11target_archE908ELNS1_3gpuE7ELNS1_3repE0EEENS1_30default_config_static_selectorELNS0_4arch9wavefront6targetE1EEEvT1_
    .private_segment_fixed_size: 0
    .sgpr_count:     4
    .sgpr_spill_count: 0
    .symbol:         _ZN7rocprim17ROCPRIM_400000_NS6detail17trampoline_kernelINS0_14default_configENS1_20scan_config_selectorIyEEZZNS1_9scan_implILNS1_25lookback_scan_determinismE0ELb0ELb0ES3_N6thrust23THRUST_200600_302600_NS6detail15normal_iteratorINS9_10device_ptrIyEEEESE_y11max_functorIyEyEEDaPvRmT3_T4_T5_mT6_P12ihipStream_tbENKUlT_T0_E_clISt17integral_constantIbLb1EESU_EEDaSP_SQ_EUlSP_E0_NS1_11comp_targetILNS1_3genE3ELNS1_11target_archE908ELNS1_3gpuE7ELNS1_3repE0EEENS1_30default_config_static_selectorELNS0_4arch9wavefront6targetE1EEEvT1_.kd
    .uniform_work_group_size: 1
    .uses_dynamic_stack: false
    .vgpr_count:     0
    .vgpr_spill_count: 0
    .wavefront_size: 64
  - .agpr_count:     0
    .args:
      - .offset:         0
        .size:           40
        .value_kind:     by_value
    .group_segment_fixed_size: 0
    .kernarg_segment_align: 8
    .kernarg_segment_size: 40
    .language:       OpenCL C
    .language_version:
      - 2
      - 0
    .max_flat_workgroup_size: 64
    .name:           _ZN7rocprim17ROCPRIM_400000_NS6detail17trampoline_kernelINS0_14default_configENS1_20scan_config_selectorIyEEZZNS1_9scan_implILNS1_25lookback_scan_determinismE0ELb0ELb0ES3_N6thrust23THRUST_200600_302600_NS6detail15normal_iteratorINS9_10device_ptrIyEEEESE_y11max_functorIyEyEEDaPvRmT3_T4_T5_mT6_P12ihipStream_tbENKUlT_T0_E_clISt17integral_constantIbLb1EESU_EEDaSP_SQ_EUlSP_E0_NS1_11comp_targetILNS1_3genE2ELNS1_11target_archE906ELNS1_3gpuE6ELNS1_3repE0EEENS1_30default_config_static_selectorELNS0_4arch9wavefront6targetE1EEEvT1_
    .private_segment_fixed_size: 0
    .sgpr_count:     4
    .sgpr_spill_count: 0
    .symbol:         _ZN7rocprim17ROCPRIM_400000_NS6detail17trampoline_kernelINS0_14default_configENS1_20scan_config_selectorIyEEZZNS1_9scan_implILNS1_25lookback_scan_determinismE0ELb0ELb0ES3_N6thrust23THRUST_200600_302600_NS6detail15normal_iteratorINS9_10device_ptrIyEEEESE_y11max_functorIyEyEEDaPvRmT3_T4_T5_mT6_P12ihipStream_tbENKUlT_T0_E_clISt17integral_constantIbLb1EESU_EEDaSP_SQ_EUlSP_E0_NS1_11comp_targetILNS1_3genE2ELNS1_11target_archE906ELNS1_3gpuE6ELNS1_3repE0EEENS1_30default_config_static_selectorELNS0_4arch9wavefront6targetE1EEEvT1_.kd
    .uniform_work_group_size: 1
    .uses_dynamic_stack: false
    .vgpr_count:     0
    .vgpr_spill_count: 0
    .wavefront_size: 64
  - .agpr_count:     0
    .args:
      - .offset:         0
        .size:           40
        .value_kind:     by_value
    .group_segment_fixed_size: 0
    .kernarg_segment_align: 8
    .kernarg_segment_size: 40
    .language:       OpenCL C
    .language_version:
      - 2
      - 0
    .max_flat_workgroup_size: 256
    .name:           _ZN7rocprim17ROCPRIM_400000_NS6detail17trampoline_kernelINS0_14default_configENS1_20scan_config_selectorIyEEZZNS1_9scan_implILNS1_25lookback_scan_determinismE0ELb0ELb0ES3_N6thrust23THRUST_200600_302600_NS6detail15normal_iteratorINS9_10device_ptrIyEEEESE_y11max_functorIyEyEEDaPvRmT3_T4_T5_mT6_P12ihipStream_tbENKUlT_T0_E_clISt17integral_constantIbLb1EESU_EEDaSP_SQ_EUlSP_E0_NS1_11comp_targetILNS1_3genE10ELNS1_11target_archE1201ELNS1_3gpuE5ELNS1_3repE0EEENS1_30default_config_static_selectorELNS0_4arch9wavefront6targetE1EEEvT1_
    .private_segment_fixed_size: 0
    .sgpr_count:     4
    .sgpr_spill_count: 0
    .symbol:         _ZN7rocprim17ROCPRIM_400000_NS6detail17trampoline_kernelINS0_14default_configENS1_20scan_config_selectorIyEEZZNS1_9scan_implILNS1_25lookback_scan_determinismE0ELb0ELb0ES3_N6thrust23THRUST_200600_302600_NS6detail15normal_iteratorINS9_10device_ptrIyEEEESE_y11max_functorIyEyEEDaPvRmT3_T4_T5_mT6_P12ihipStream_tbENKUlT_T0_E_clISt17integral_constantIbLb1EESU_EEDaSP_SQ_EUlSP_E0_NS1_11comp_targetILNS1_3genE10ELNS1_11target_archE1201ELNS1_3gpuE5ELNS1_3repE0EEENS1_30default_config_static_selectorELNS0_4arch9wavefront6targetE1EEEvT1_.kd
    .uniform_work_group_size: 1
    .uses_dynamic_stack: false
    .vgpr_count:     0
    .vgpr_spill_count: 0
    .wavefront_size: 64
  - .agpr_count:     0
    .args:
      - .offset:         0
        .size:           40
        .value_kind:     by_value
    .group_segment_fixed_size: 0
    .kernarg_segment_align: 8
    .kernarg_segment_size: 40
    .language:       OpenCL C
    .language_version:
      - 2
      - 0
    .max_flat_workgroup_size: 256
    .name:           _ZN7rocprim17ROCPRIM_400000_NS6detail17trampoline_kernelINS0_14default_configENS1_20scan_config_selectorIyEEZZNS1_9scan_implILNS1_25lookback_scan_determinismE0ELb0ELb0ES3_N6thrust23THRUST_200600_302600_NS6detail15normal_iteratorINS9_10device_ptrIyEEEESE_y11max_functorIyEyEEDaPvRmT3_T4_T5_mT6_P12ihipStream_tbENKUlT_T0_E_clISt17integral_constantIbLb1EESU_EEDaSP_SQ_EUlSP_E0_NS1_11comp_targetILNS1_3genE10ELNS1_11target_archE1200ELNS1_3gpuE4ELNS1_3repE0EEENS1_30default_config_static_selectorELNS0_4arch9wavefront6targetE1EEEvT1_
    .private_segment_fixed_size: 0
    .sgpr_count:     4
    .sgpr_spill_count: 0
    .symbol:         _ZN7rocprim17ROCPRIM_400000_NS6detail17trampoline_kernelINS0_14default_configENS1_20scan_config_selectorIyEEZZNS1_9scan_implILNS1_25lookback_scan_determinismE0ELb0ELb0ES3_N6thrust23THRUST_200600_302600_NS6detail15normal_iteratorINS9_10device_ptrIyEEEESE_y11max_functorIyEyEEDaPvRmT3_T4_T5_mT6_P12ihipStream_tbENKUlT_T0_E_clISt17integral_constantIbLb1EESU_EEDaSP_SQ_EUlSP_E0_NS1_11comp_targetILNS1_3genE10ELNS1_11target_archE1200ELNS1_3gpuE4ELNS1_3repE0EEENS1_30default_config_static_selectorELNS0_4arch9wavefront6targetE1EEEvT1_.kd
    .uniform_work_group_size: 1
    .uses_dynamic_stack: false
    .vgpr_count:     0
    .vgpr_spill_count: 0
    .wavefront_size: 64
  - .agpr_count:     0
    .args:
      - .offset:         0
        .size:           40
        .value_kind:     by_value
    .group_segment_fixed_size: 0
    .kernarg_segment_align: 8
    .kernarg_segment_size: 40
    .language:       OpenCL C
    .language_version:
      - 2
      - 0
    .max_flat_workgroup_size: 256
    .name:           _ZN7rocprim17ROCPRIM_400000_NS6detail17trampoline_kernelINS0_14default_configENS1_20scan_config_selectorIyEEZZNS1_9scan_implILNS1_25lookback_scan_determinismE0ELb0ELb0ES3_N6thrust23THRUST_200600_302600_NS6detail15normal_iteratorINS9_10device_ptrIyEEEESE_y11max_functorIyEyEEDaPvRmT3_T4_T5_mT6_P12ihipStream_tbENKUlT_T0_E_clISt17integral_constantIbLb1EESU_EEDaSP_SQ_EUlSP_E0_NS1_11comp_targetILNS1_3genE9ELNS1_11target_archE1100ELNS1_3gpuE3ELNS1_3repE0EEENS1_30default_config_static_selectorELNS0_4arch9wavefront6targetE1EEEvT1_
    .private_segment_fixed_size: 0
    .sgpr_count:     4
    .sgpr_spill_count: 0
    .symbol:         _ZN7rocprim17ROCPRIM_400000_NS6detail17trampoline_kernelINS0_14default_configENS1_20scan_config_selectorIyEEZZNS1_9scan_implILNS1_25lookback_scan_determinismE0ELb0ELb0ES3_N6thrust23THRUST_200600_302600_NS6detail15normal_iteratorINS9_10device_ptrIyEEEESE_y11max_functorIyEyEEDaPvRmT3_T4_T5_mT6_P12ihipStream_tbENKUlT_T0_E_clISt17integral_constantIbLb1EESU_EEDaSP_SQ_EUlSP_E0_NS1_11comp_targetILNS1_3genE9ELNS1_11target_archE1100ELNS1_3gpuE3ELNS1_3repE0EEENS1_30default_config_static_selectorELNS0_4arch9wavefront6targetE1EEEvT1_.kd
    .uniform_work_group_size: 1
    .uses_dynamic_stack: false
    .vgpr_count:     0
    .vgpr_spill_count: 0
    .wavefront_size: 64
  - .agpr_count:     0
    .args:
      - .offset:         0
        .size:           40
        .value_kind:     by_value
    .group_segment_fixed_size: 0
    .kernarg_segment_align: 8
    .kernarg_segment_size: 40
    .language:       OpenCL C
    .language_version:
      - 2
      - 0
    .max_flat_workgroup_size: 256
    .name:           _ZN7rocprim17ROCPRIM_400000_NS6detail17trampoline_kernelINS0_14default_configENS1_20scan_config_selectorIyEEZZNS1_9scan_implILNS1_25lookback_scan_determinismE0ELb0ELb0ES3_N6thrust23THRUST_200600_302600_NS6detail15normal_iteratorINS9_10device_ptrIyEEEESE_y11max_functorIyEyEEDaPvRmT3_T4_T5_mT6_P12ihipStream_tbENKUlT_T0_E_clISt17integral_constantIbLb1EESU_EEDaSP_SQ_EUlSP_E0_NS1_11comp_targetILNS1_3genE8ELNS1_11target_archE1030ELNS1_3gpuE2ELNS1_3repE0EEENS1_30default_config_static_selectorELNS0_4arch9wavefront6targetE1EEEvT1_
    .private_segment_fixed_size: 0
    .sgpr_count:     4
    .sgpr_spill_count: 0
    .symbol:         _ZN7rocprim17ROCPRIM_400000_NS6detail17trampoline_kernelINS0_14default_configENS1_20scan_config_selectorIyEEZZNS1_9scan_implILNS1_25lookback_scan_determinismE0ELb0ELb0ES3_N6thrust23THRUST_200600_302600_NS6detail15normal_iteratorINS9_10device_ptrIyEEEESE_y11max_functorIyEyEEDaPvRmT3_T4_T5_mT6_P12ihipStream_tbENKUlT_T0_E_clISt17integral_constantIbLb1EESU_EEDaSP_SQ_EUlSP_E0_NS1_11comp_targetILNS1_3genE8ELNS1_11target_archE1030ELNS1_3gpuE2ELNS1_3repE0EEENS1_30default_config_static_selectorELNS0_4arch9wavefront6targetE1EEEvT1_.kd
    .uniform_work_group_size: 1
    .uses_dynamic_stack: false
    .vgpr_count:     0
    .vgpr_spill_count: 0
    .wavefront_size: 64
  - .agpr_count:     0
    .args:
      - .address_space:  global
        .offset:         0
        .size:           8
        .value_kind:     global_buffer
      - .offset:         8
        .size:           4
        .value_kind:     by_value
      - .offset:         12
        .size:           1
        .value_kind:     by_value
      - .offset:         16
        .size:           4
        .value_kind:     by_value
      - .address_space:  global
        .offset:         24
        .size:           8
        .value_kind:     global_buffer
      - .offset:         32
        .size:           4
        .value_kind:     hidden_block_count_x
      - .offset:         36
        .size:           4
        .value_kind:     hidden_block_count_y
      - .offset:         40
        .size:           4
        .value_kind:     hidden_block_count_z
      - .offset:         44
        .size:           2
        .value_kind:     hidden_group_size_x
      - .offset:         46
        .size:           2
        .value_kind:     hidden_group_size_y
      - .offset:         48
        .size:           2
        .value_kind:     hidden_group_size_z
      - .offset:         50
        .size:           2
        .value_kind:     hidden_remainder_x
      - .offset:         52
        .size:           2
        .value_kind:     hidden_remainder_y
      - .offset:         54
        .size:           2
        .value_kind:     hidden_remainder_z
      - .offset:         72
        .size:           8
        .value_kind:     hidden_global_offset_x
      - .offset:         80
        .size:           8
        .value_kind:     hidden_global_offset_y
      - .offset:         88
        .size:           8
        .value_kind:     hidden_global_offset_z
      - .offset:         96
        .size:           2
        .value_kind:     hidden_grid_dims
    .group_segment_fixed_size: 0
    .kernarg_segment_align: 8
    .kernarg_segment_size: 288
    .language:       OpenCL C
    .language_version:
      - 2
      - 0
    .max_flat_workgroup_size: 256
    .name:           _ZN7rocprim17ROCPRIM_400000_NS6detail31init_lookback_scan_state_kernelINS1_19lookback_scan_stateIyLb1ELb1EEENS1_16block_id_wrapperIjLb0EEEEEvT_jT0_jPNS7_10value_typeE
    .private_segment_fixed_size: 0
    .sgpr_count:     18
    .sgpr_spill_count: 0
    .symbol:         _ZN7rocprim17ROCPRIM_400000_NS6detail31init_lookback_scan_state_kernelINS1_19lookback_scan_stateIyLb1ELb1EEENS1_16block_id_wrapperIjLb0EEEEEvT_jT0_jPNS7_10value_typeE.kd
    .uniform_work_group_size: 1
    .uses_dynamic_stack: false
    .vgpr_count:     10
    .vgpr_spill_count: 0
    .wavefront_size: 64
  - .agpr_count:     0
    .args:
      - .offset:         0
        .size:           104
        .value_kind:     by_value
    .group_segment_fixed_size: 0
    .kernarg_segment_align: 8
    .kernarg_segment_size: 104
    .language:       OpenCL C
    .language_version:
      - 2
      - 0
    .max_flat_workgroup_size: 256
    .name:           _ZN7rocprim17ROCPRIM_400000_NS6detail17trampoline_kernelINS0_14default_configENS1_20scan_config_selectorIyEEZZNS1_9scan_implILNS1_25lookback_scan_determinismE0ELb0ELb0ES3_N6thrust23THRUST_200600_302600_NS6detail15normal_iteratorINS9_10device_ptrIyEEEESE_y11max_functorIyEyEEDaPvRmT3_T4_T5_mT6_P12ihipStream_tbENKUlT_T0_E_clISt17integral_constantIbLb1EEST_IbLb0EEEEDaSP_SQ_EUlSP_E_NS1_11comp_targetILNS1_3genE0ELNS1_11target_archE4294967295ELNS1_3gpuE0ELNS1_3repE0EEENS1_30default_config_static_selectorELNS0_4arch9wavefront6targetE1EEEvT1_
    .private_segment_fixed_size: 0
    .sgpr_count:     4
    .sgpr_spill_count: 0
    .symbol:         _ZN7rocprim17ROCPRIM_400000_NS6detail17trampoline_kernelINS0_14default_configENS1_20scan_config_selectorIyEEZZNS1_9scan_implILNS1_25lookback_scan_determinismE0ELb0ELb0ES3_N6thrust23THRUST_200600_302600_NS6detail15normal_iteratorINS9_10device_ptrIyEEEESE_y11max_functorIyEyEEDaPvRmT3_T4_T5_mT6_P12ihipStream_tbENKUlT_T0_E_clISt17integral_constantIbLb1EEST_IbLb0EEEEDaSP_SQ_EUlSP_E_NS1_11comp_targetILNS1_3genE0ELNS1_11target_archE4294967295ELNS1_3gpuE0ELNS1_3repE0EEENS1_30default_config_static_selectorELNS0_4arch9wavefront6targetE1EEEvT1_.kd
    .uniform_work_group_size: 1
    .uses_dynamic_stack: false
    .vgpr_count:     0
    .vgpr_spill_count: 0
    .wavefront_size: 64
  - .agpr_count:     0
    .args:
      - .offset:         0
        .size:           104
        .value_kind:     by_value
    .group_segment_fixed_size: 0
    .kernarg_segment_align: 8
    .kernarg_segment_size: 104
    .language:       OpenCL C
    .language_version:
      - 2
      - 0
    .max_flat_workgroup_size: 256
    .name:           _ZN7rocprim17ROCPRIM_400000_NS6detail17trampoline_kernelINS0_14default_configENS1_20scan_config_selectorIyEEZZNS1_9scan_implILNS1_25lookback_scan_determinismE0ELb0ELb0ES3_N6thrust23THRUST_200600_302600_NS6detail15normal_iteratorINS9_10device_ptrIyEEEESE_y11max_functorIyEyEEDaPvRmT3_T4_T5_mT6_P12ihipStream_tbENKUlT_T0_E_clISt17integral_constantIbLb1EEST_IbLb0EEEEDaSP_SQ_EUlSP_E_NS1_11comp_targetILNS1_3genE5ELNS1_11target_archE942ELNS1_3gpuE9ELNS1_3repE0EEENS1_30default_config_static_selectorELNS0_4arch9wavefront6targetE1EEEvT1_
    .private_segment_fixed_size: 0
    .sgpr_count:     4
    .sgpr_spill_count: 0
    .symbol:         _ZN7rocprim17ROCPRIM_400000_NS6detail17trampoline_kernelINS0_14default_configENS1_20scan_config_selectorIyEEZZNS1_9scan_implILNS1_25lookback_scan_determinismE0ELb0ELb0ES3_N6thrust23THRUST_200600_302600_NS6detail15normal_iteratorINS9_10device_ptrIyEEEESE_y11max_functorIyEyEEDaPvRmT3_T4_T5_mT6_P12ihipStream_tbENKUlT_T0_E_clISt17integral_constantIbLb1EEST_IbLb0EEEEDaSP_SQ_EUlSP_E_NS1_11comp_targetILNS1_3genE5ELNS1_11target_archE942ELNS1_3gpuE9ELNS1_3repE0EEENS1_30default_config_static_selectorELNS0_4arch9wavefront6targetE1EEEvT1_.kd
    .uniform_work_group_size: 1
    .uses_dynamic_stack: false
    .vgpr_count:     0
    .vgpr_spill_count: 0
    .wavefront_size: 64
  - .agpr_count:     0
    .args:
      - .offset:         0
        .size:           104
        .value_kind:     by_value
    .group_segment_fixed_size: 7168
    .kernarg_segment_align: 8
    .kernarg_segment_size: 104
    .language:       OpenCL C
    .language_version:
      - 2
      - 0
    .max_flat_workgroup_size: 128
    .name:           _ZN7rocprim17ROCPRIM_400000_NS6detail17trampoline_kernelINS0_14default_configENS1_20scan_config_selectorIyEEZZNS1_9scan_implILNS1_25lookback_scan_determinismE0ELb0ELb0ES3_N6thrust23THRUST_200600_302600_NS6detail15normal_iteratorINS9_10device_ptrIyEEEESE_y11max_functorIyEyEEDaPvRmT3_T4_T5_mT6_P12ihipStream_tbENKUlT_T0_E_clISt17integral_constantIbLb1EEST_IbLb0EEEEDaSP_SQ_EUlSP_E_NS1_11comp_targetILNS1_3genE4ELNS1_11target_archE910ELNS1_3gpuE8ELNS1_3repE0EEENS1_30default_config_static_selectorELNS0_4arch9wavefront6targetE1EEEvT1_
    .private_segment_fixed_size: 0
    .sgpr_count:     34
    .sgpr_spill_count: 0
    .symbol:         _ZN7rocprim17ROCPRIM_400000_NS6detail17trampoline_kernelINS0_14default_configENS1_20scan_config_selectorIyEEZZNS1_9scan_implILNS1_25lookback_scan_determinismE0ELb0ELb0ES3_N6thrust23THRUST_200600_302600_NS6detail15normal_iteratorINS9_10device_ptrIyEEEESE_y11max_functorIyEyEEDaPvRmT3_T4_T5_mT6_P12ihipStream_tbENKUlT_T0_E_clISt17integral_constantIbLb1EEST_IbLb0EEEEDaSP_SQ_EUlSP_E_NS1_11comp_targetILNS1_3genE4ELNS1_11target_archE910ELNS1_3gpuE8ELNS1_3repE0EEENS1_30default_config_static_selectorELNS0_4arch9wavefront6targetE1EEEvT1_.kd
    .uniform_work_group_size: 1
    .uses_dynamic_stack: false
    .vgpr_count:     58
    .vgpr_spill_count: 0
    .wavefront_size: 64
  - .agpr_count:     0
    .args:
      - .offset:         0
        .size:           104
        .value_kind:     by_value
    .group_segment_fixed_size: 0
    .kernarg_segment_align: 8
    .kernarg_segment_size: 104
    .language:       OpenCL C
    .language_version:
      - 2
      - 0
    .max_flat_workgroup_size: 256
    .name:           _ZN7rocprim17ROCPRIM_400000_NS6detail17trampoline_kernelINS0_14default_configENS1_20scan_config_selectorIyEEZZNS1_9scan_implILNS1_25lookback_scan_determinismE0ELb0ELb0ES3_N6thrust23THRUST_200600_302600_NS6detail15normal_iteratorINS9_10device_ptrIyEEEESE_y11max_functorIyEyEEDaPvRmT3_T4_T5_mT6_P12ihipStream_tbENKUlT_T0_E_clISt17integral_constantIbLb1EEST_IbLb0EEEEDaSP_SQ_EUlSP_E_NS1_11comp_targetILNS1_3genE3ELNS1_11target_archE908ELNS1_3gpuE7ELNS1_3repE0EEENS1_30default_config_static_selectorELNS0_4arch9wavefront6targetE1EEEvT1_
    .private_segment_fixed_size: 0
    .sgpr_count:     4
    .sgpr_spill_count: 0
    .symbol:         _ZN7rocprim17ROCPRIM_400000_NS6detail17trampoline_kernelINS0_14default_configENS1_20scan_config_selectorIyEEZZNS1_9scan_implILNS1_25lookback_scan_determinismE0ELb0ELb0ES3_N6thrust23THRUST_200600_302600_NS6detail15normal_iteratorINS9_10device_ptrIyEEEESE_y11max_functorIyEyEEDaPvRmT3_T4_T5_mT6_P12ihipStream_tbENKUlT_T0_E_clISt17integral_constantIbLb1EEST_IbLb0EEEEDaSP_SQ_EUlSP_E_NS1_11comp_targetILNS1_3genE3ELNS1_11target_archE908ELNS1_3gpuE7ELNS1_3repE0EEENS1_30default_config_static_selectorELNS0_4arch9wavefront6targetE1EEEvT1_.kd
    .uniform_work_group_size: 1
    .uses_dynamic_stack: false
    .vgpr_count:     0
    .vgpr_spill_count: 0
    .wavefront_size: 64
  - .agpr_count:     0
    .args:
      - .offset:         0
        .size:           104
        .value_kind:     by_value
    .group_segment_fixed_size: 0
    .kernarg_segment_align: 8
    .kernarg_segment_size: 104
    .language:       OpenCL C
    .language_version:
      - 2
      - 0
    .max_flat_workgroup_size: 64
    .name:           _ZN7rocprim17ROCPRIM_400000_NS6detail17trampoline_kernelINS0_14default_configENS1_20scan_config_selectorIyEEZZNS1_9scan_implILNS1_25lookback_scan_determinismE0ELb0ELb0ES3_N6thrust23THRUST_200600_302600_NS6detail15normal_iteratorINS9_10device_ptrIyEEEESE_y11max_functorIyEyEEDaPvRmT3_T4_T5_mT6_P12ihipStream_tbENKUlT_T0_E_clISt17integral_constantIbLb1EEST_IbLb0EEEEDaSP_SQ_EUlSP_E_NS1_11comp_targetILNS1_3genE2ELNS1_11target_archE906ELNS1_3gpuE6ELNS1_3repE0EEENS1_30default_config_static_selectorELNS0_4arch9wavefront6targetE1EEEvT1_
    .private_segment_fixed_size: 0
    .sgpr_count:     4
    .sgpr_spill_count: 0
    .symbol:         _ZN7rocprim17ROCPRIM_400000_NS6detail17trampoline_kernelINS0_14default_configENS1_20scan_config_selectorIyEEZZNS1_9scan_implILNS1_25lookback_scan_determinismE0ELb0ELb0ES3_N6thrust23THRUST_200600_302600_NS6detail15normal_iteratorINS9_10device_ptrIyEEEESE_y11max_functorIyEyEEDaPvRmT3_T4_T5_mT6_P12ihipStream_tbENKUlT_T0_E_clISt17integral_constantIbLb1EEST_IbLb0EEEEDaSP_SQ_EUlSP_E_NS1_11comp_targetILNS1_3genE2ELNS1_11target_archE906ELNS1_3gpuE6ELNS1_3repE0EEENS1_30default_config_static_selectorELNS0_4arch9wavefront6targetE1EEEvT1_.kd
    .uniform_work_group_size: 1
    .uses_dynamic_stack: false
    .vgpr_count:     0
    .vgpr_spill_count: 0
    .wavefront_size: 64
  - .agpr_count:     0
    .args:
      - .offset:         0
        .size:           104
        .value_kind:     by_value
    .group_segment_fixed_size: 0
    .kernarg_segment_align: 8
    .kernarg_segment_size: 104
    .language:       OpenCL C
    .language_version:
      - 2
      - 0
    .max_flat_workgroup_size: 256
    .name:           _ZN7rocprim17ROCPRIM_400000_NS6detail17trampoline_kernelINS0_14default_configENS1_20scan_config_selectorIyEEZZNS1_9scan_implILNS1_25lookback_scan_determinismE0ELb0ELb0ES3_N6thrust23THRUST_200600_302600_NS6detail15normal_iteratorINS9_10device_ptrIyEEEESE_y11max_functorIyEyEEDaPvRmT3_T4_T5_mT6_P12ihipStream_tbENKUlT_T0_E_clISt17integral_constantIbLb1EEST_IbLb0EEEEDaSP_SQ_EUlSP_E_NS1_11comp_targetILNS1_3genE10ELNS1_11target_archE1201ELNS1_3gpuE5ELNS1_3repE0EEENS1_30default_config_static_selectorELNS0_4arch9wavefront6targetE1EEEvT1_
    .private_segment_fixed_size: 0
    .sgpr_count:     4
    .sgpr_spill_count: 0
    .symbol:         _ZN7rocprim17ROCPRIM_400000_NS6detail17trampoline_kernelINS0_14default_configENS1_20scan_config_selectorIyEEZZNS1_9scan_implILNS1_25lookback_scan_determinismE0ELb0ELb0ES3_N6thrust23THRUST_200600_302600_NS6detail15normal_iteratorINS9_10device_ptrIyEEEESE_y11max_functorIyEyEEDaPvRmT3_T4_T5_mT6_P12ihipStream_tbENKUlT_T0_E_clISt17integral_constantIbLb1EEST_IbLb0EEEEDaSP_SQ_EUlSP_E_NS1_11comp_targetILNS1_3genE10ELNS1_11target_archE1201ELNS1_3gpuE5ELNS1_3repE0EEENS1_30default_config_static_selectorELNS0_4arch9wavefront6targetE1EEEvT1_.kd
    .uniform_work_group_size: 1
    .uses_dynamic_stack: false
    .vgpr_count:     0
    .vgpr_spill_count: 0
    .wavefront_size: 64
  - .agpr_count:     0
    .args:
      - .offset:         0
        .size:           104
        .value_kind:     by_value
    .group_segment_fixed_size: 0
    .kernarg_segment_align: 8
    .kernarg_segment_size: 104
    .language:       OpenCL C
    .language_version:
      - 2
      - 0
    .max_flat_workgroup_size: 256
    .name:           _ZN7rocprim17ROCPRIM_400000_NS6detail17trampoline_kernelINS0_14default_configENS1_20scan_config_selectorIyEEZZNS1_9scan_implILNS1_25lookback_scan_determinismE0ELb0ELb0ES3_N6thrust23THRUST_200600_302600_NS6detail15normal_iteratorINS9_10device_ptrIyEEEESE_y11max_functorIyEyEEDaPvRmT3_T4_T5_mT6_P12ihipStream_tbENKUlT_T0_E_clISt17integral_constantIbLb1EEST_IbLb0EEEEDaSP_SQ_EUlSP_E_NS1_11comp_targetILNS1_3genE10ELNS1_11target_archE1200ELNS1_3gpuE4ELNS1_3repE0EEENS1_30default_config_static_selectorELNS0_4arch9wavefront6targetE1EEEvT1_
    .private_segment_fixed_size: 0
    .sgpr_count:     4
    .sgpr_spill_count: 0
    .symbol:         _ZN7rocprim17ROCPRIM_400000_NS6detail17trampoline_kernelINS0_14default_configENS1_20scan_config_selectorIyEEZZNS1_9scan_implILNS1_25lookback_scan_determinismE0ELb0ELb0ES3_N6thrust23THRUST_200600_302600_NS6detail15normal_iteratorINS9_10device_ptrIyEEEESE_y11max_functorIyEyEEDaPvRmT3_T4_T5_mT6_P12ihipStream_tbENKUlT_T0_E_clISt17integral_constantIbLb1EEST_IbLb0EEEEDaSP_SQ_EUlSP_E_NS1_11comp_targetILNS1_3genE10ELNS1_11target_archE1200ELNS1_3gpuE4ELNS1_3repE0EEENS1_30default_config_static_selectorELNS0_4arch9wavefront6targetE1EEEvT1_.kd
    .uniform_work_group_size: 1
    .uses_dynamic_stack: false
    .vgpr_count:     0
    .vgpr_spill_count: 0
    .wavefront_size: 64
  - .agpr_count:     0
    .args:
      - .offset:         0
        .size:           104
        .value_kind:     by_value
    .group_segment_fixed_size: 0
    .kernarg_segment_align: 8
    .kernarg_segment_size: 104
    .language:       OpenCL C
    .language_version:
      - 2
      - 0
    .max_flat_workgroup_size: 256
    .name:           _ZN7rocprim17ROCPRIM_400000_NS6detail17trampoline_kernelINS0_14default_configENS1_20scan_config_selectorIyEEZZNS1_9scan_implILNS1_25lookback_scan_determinismE0ELb0ELb0ES3_N6thrust23THRUST_200600_302600_NS6detail15normal_iteratorINS9_10device_ptrIyEEEESE_y11max_functorIyEyEEDaPvRmT3_T4_T5_mT6_P12ihipStream_tbENKUlT_T0_E_clISt17integral_constantIbLb1EEST_IbLb0EEEEDaSP_SQ_EUlSP_E_NS1_11comp_targetILNS1_3genE9ELNS1_11target_archE1100ELNS1_3gpuE3ELNS1_3repE0EEENS1_30default_config_static_selectorELNS0_4arch9wavefront6targetE1EEEvT1_
    .private_segment_fixed_size: 0
    .sgpr_count:     4
    .sgpr_spill_count: 0
    .symbol:         _ZN7rocprim17ROCPRIM_400000_NS6detail17trampoline_kernelINS0_14default_configENS1_20scan_config_selectorIyEEZZNS1_9scan_implILNS1_25lookback_scan_determinismE0ELb0ELb0ES3_N6thrust23THRUST_200600_302600_NS6detail15normal_iteratorINS9_10device_ptrIyEEEESE_y11max_functorIyEyEEDaPvRmT3_T4_T5_mT6_P12ihipStream_tbENKUlT_T0_E_clISt17integral_constantIbLb1EEST_IbLb0EEEEDaSP_SQ_EUlSP_E_NS1_11comp_targetILNS1_3genE9ELNS1_11target_archE1100ELNS1_3gpuE3ELNS1_3repE0EEENS1_30default_config_static_selectorELNS0_4arch9wavefront6targetE1EEEvT1_.kd
    .uniform_work_group_size: 1
    .uses_dynamic_stack: false
    .vgpr_count:     0
    .vgpr_spill_count: 0
    .wavefront_size: 64
  - .agpr_count:     0
    .args:
      - .offset:         0
        .size:           104
        .value_kind:     by_value
    .group_segment_fixed_size: 0
    .kernarg_segment_align: 8
    .kernarg_segment_size: 104
    .language:       OpenCL C
    .language_version:
      - 2
      - 0
    .max_flat_workgroup_size: 256
    .name:           _ZN7rocprim17ROCPRIM_400000_NS6detail17trampoline_kernelINS0_14default_configENS1_20scan_config_selectorIyEEZZNS1_9scan_implILNS1_25lookback_scan_determinismE0ELb0ELb0ES3_N6thrust23THRUST_200600_302600_NS6detail15normal_iteratorINS9_10device_ptrIyEEEESE_y11max_functorIyEyEEDaPvRmT3_T4_T5_mT6_P12ihipStream_tbENKUlT_T0_E_clISt17integral_constantIbLb1EEST_IbLb0EEEEDaSP_SQ_EUlSP_E_NS1_11comp_targetILNS1_3genE8ELNS1_11target_archE1030ELNS1_3gpuE2ELNS1_3repE0EEENS1_30default_config_static_selectorELNS0_4arch9wavefront6targetE1EEEvT1_
    .private_segment_fixed_size: 0
    .sgpr_count:     4
    .sgpr_spill_count: 0
    .symbol:         _ZN7rocprim17ROCPRIM_400000_NS6detail17trampoline_kernelINS0_14default_configENS1_20scan_config_selectorIyEEZZNS1_9scan_implILNS1_25lookback_scan_determinismE0ELb0ELb0ES3_N6thrust23THRUST_200600_302600_NS6detail15normal_iteratorINS9_10device_ptrIyEEEESE_y11max_functorIyEyEEDaPvRmT3_T4_T5_mT6_P12ihipStream_tbENKUlT_T0_E_clISt17integral_constantIbLb1EEST_IbLb0EEEEDaSP_SQ_EUlSP_E_NS1_11comp_targetILNS1_3genE8ELNS1_11target_archE1030ELNS1_3gpuE2ELNS1_3repE0EEENS1_30default_config_static_selectorELNS0_4arch9wavefront6targetE1EEEvT1_.kd
    .uniform_work_group_size: 1
    .uses_dynamic_stack: false
    .vgpr_count:     0
    .vgpr_spill_count: 0
    .wavefront_size: 64
  - .agpr_count:     0
    .args:
      - .offset:         0
        .size:           40
        .value_kind:     by_value
    .group_segment_fixed_size: 0
    .kernarg_segment_align: 8
    .kernarg_segment_size: 40
    .language:       OpenCL C
    .language_version:
      - 2
      - 0
    .max_flat_workgroup_size: 256
    .name:           _ZN7rocprim17ROCPRIM_400000_NS6detail17trampoline_kernelINS0_14default_configENS1_20scan_config_selectorIyEEZZNS1_9scan_implILNS1_25lookback_scan_determinismE0ELb0ELb0ES3_N6thrust23THRUST_200600_302600_NS6detail15normal_iteratorINS9_10device_ptrIyEEEESE_y11max_functorIyEyEEDaPvRmT3_T4_T5_mT6_P12ihipStream_tbENKUlT_T0_E_clISt17integral_constantIbLb1EEST_IbLb0EEEEDaSP_SQ_EUlSP_E0_NS1_11comp_targetILNS1_3genE0ELNS1_11target_archE4294967295ELNS1_3gpuE0ELNS1_3repE0EEENS1_30default_config_static_selectorELNS0_4arch9wavefront6targetE1EEEvT1_
    .private_segment_fixed_size: 0
    .sgpr_count:     4
    .sgpr_spill_count: 0
    .symbol:         _ZN7rocprim17ROCPRIM_400000_NS6detail17trampoline_kernelINS0_14default_configENS1_20scan_config_selectorIyEEZZNS1_9scan_implILNS1_25lookback_scan_determinismE0ELb0ELb0ES3_N6thrust23THRUST_200600_302600_NS6detail15normal_iteratorINS9_10device_ptrIyEEEESE_y11max_functorIyEyEEDaPvRmT3_T4_T5_mT6_P12ihipStream_tbENKUlT_T0_E_clISt17integral_constantIbLb1EEST_IbLb0EEEEDaSP_SQ_EUlSP_E0_NS1_11comp_targetILNS1_3genE0ELNS1_11target_archE4294967295ELNS1_3gpuE0ELNS1_3repE0EEENS1_30default_config_static_selectorELNS0_4arch9wavefront6targetE1EEEvT1_.kd
    .uniform_work_group_size: 1
    .uses_dynamic_stack: false
    .vgpr_count:     0
    .vgpr_spill_count: 0
    .wavefront_size: 64
  - .agpr_count:     0
    .args:
      - .offset:         0
        .size:           40
        .value_kind:     by_value
    .group_segment_fixed_size: 0
    .kernarg_segment_align: 8
    .kernarg_segment_size: 40
    .language:       OpenCL C
    .language_version:
      - 2
      - 0
    .max_flat_workgroup_size: 256
    .name:           _ZN7rocprim17ROCPRIM_400000_NS6detail17trampoline_kernelINS0_14default_configENS1_20scan_config_selectorIyEEZZNS1_9scan_implILNS1_25lookback_scan_determinismE0ELb0ELb0ES3_N6thrust23THRUST_200600_302600_NS6detail15normal_iteratorINS9_10device_ptrIyEEEESE_y11max_functorIyEyEEDaPvRmT3_T4_T5_mT6_P12ihipStream_tbENKUlT_T0_E_clISt17integral_constantIbLb1EEST_IbLb0EEEEDaSP_SQ_EUlSP_E0_NS1_11comp_targetILNS1_3genE5ELNS1_11target_archE942ELNS1_3gpuE9ELNS1_3repE0EEENS1_30default_config_static_selectorELNS0_4arch9wavefront6targetE1EEEvT1_
    .private_segment_fixed_size: 0
    .sgpr_count:     4
    .sgpr_spill_count: 0
    .symbol:         _ZN7rocprim17ROCPRIM_400000_NS6detail17trampoline_kernelINS0_14default_configENS1_20scan_config_selectorIyEEZZNS1_9scan_implILNS1_25lookback_scan_determinismE0ELb0ELb0ES3_N6thrust23THRUST_200600_302600_NS6detail15normal_iteratorINS9_10device_ptrIyEEEESE_y11max_functorIyEyEEDaPvRmT3_T4_T5_mT6_P12ihipStream_tbENKUlT_T0_E_clISt17integral_constantIbLb1EEST_IbLb0EEEEDaSP_SQ_EUlSP_E0_NS1_11comp_targetILNS1_3genE5ELNS1_11target_archE942ELNS1_3gpuE9ELNS1_3repE0EEENS1_30default_config_static_selectorELNS0_4arch9wavefront6targetE1EEEvT1_.kd
    .uniform_work_group_size: 1
    .uses_dynamic_stack: false
    .vgpr_count:     0
    .vgpr_spill_count: 0
    .wavefront_size: 64
  - .agpr_count:     0
    .args:
      - .offset:         0
        .size:           40
        .value_kind:     by_value
    .group_segment_fixed_size: 7168
    .kernarg_segment_align: 8
    .kernarg_segment_size: 40
    .language:       OpenCL C
    .language_version:
      - 2
      - 0
    .max_flat_workgroup_size: 128
    .name:           _ZN7rocprim17ROCPRIM_400000_NS6detail17trampoline_kernelINS0_14default_configENS1_20scan_config_selectorIyEEZZNS1_9scan_implILNS1_25lookback_scan_determinismE0ELb0ELb0ES3_N6thrust23THRUST_200600_302600_NS6detail15normal_iteratorINS9_10device_ptrIyEEEESE_y11max_functorIyEyEEDaPvRmT3_T4_T5_mT6_P12ihipStream_tbENKUlT_T0_E_clISt17integral_constantIbLb1EEST_IbLb0EEEEDaSP_SQ_EUlSP_E0_NS1_11comp_targetILNS1_3genE4ELNS1_11target_archE910ELNS1_3gpuE8ELNS1_3repE0EEENS1_30default_config_static_selectorELNS0_4arch9wavefront6targetE1EEEvT1_
    .private_segment_fixed_size: 0
    .sgpr_count:     26
    .sgpr_spill_count: 0
    .symbol:         _ZN7rocprim17ROCPRIM_400000_NS6detail17trampoline_kernelINS0_14default_configENS1_20scan_config_selectorIyEEZZNS1_9scan_implILNS1_25lookback_scan_determinismE0ELb0ELb0ES3_N6thrust23THRUST_200600_302600_NS6detail15normal_iteratorINS9_10device_ptrIyEEEESE_y11max_functorIyEyEEDaPvRmT3_T4_T5_mT6_P12ihipStream_tbENKUlT_T0_E_clISt17integral_constantIbLb1EEST_IbLb0EEEEDaSP_SQ_EUlSP_E0_NS1_11comp_targetILNS1_3genE4ELNS1_11target_archE910ELNS1_3gpuE8ELNS1_3repE0EEENS1_30default_config_static_selectorELNS0_4arch9wavefront6targetE1EEEvT1_.kd
    .uniform_work_group_size: 1
    .uses_dynamic_stack: false
    .vgpr_count:     42
    .vgpr_spill_count: 0
    .wavefront_size: 64
  - .agpr_count:     0
    .args:
      - .offset:         0
        .size:           40
        .value_kind:     by_value
    .group_segment_fixed_size: 0
    .kernarg_segment_align: 8
    .kernarg_segment_size: 40
    .language:       OpenCL C
    .language_version:
      - 2
      - 0
    .max_flat_workgroup_size: 256
    .name:           _ZN7rocprim17ROCPRIM_400000_NS6detail17trampoline_kernelINS0_14default_configENS1_20scan_config_selectorIyEEZZNS1_9scan_implILNS1_25lookback_scan_determinismE0ELb0ELb0ES3_N6thrust23THRUST_200600_302600_NS6detail15normal_iteratorINS9_10device_ptrIyEEEESE_y11max_functorIyEyEEDaPvRmT3_T4_T5_mT6_P12ihipStream_tbENKUlT_T0_E_clISt17integral_constantIbLb1EEST_IbLb0EEEEDaSP_SQ_EUlSP_E0_NS1_11comp_targetILNS1_3genE3ELNS1_11target_archE908ELNS1_3gpuE7ELNS1_3repE0EEENS1_30default_config_static_selectorELNS0_4arch9wavefront6targetE1EEEvT1_
    .private_segment_fixed_size: 0
    .sgpr_count:     4
    .sgpr_spill_count: 0
    .symbol:         _ZN7rocprim17ROCPRIM_400000_NS6detail17trampoline_kernelINS0_14default_configENS1_20scan_config_selectorIyEEZZNS1_9scan_implILNS1_25lookback_scan_determinismE0ELb0ELb0ES3_N6thrust23THRUST_200600_302600_NS6detail15normal_iteratorINS9_10device_ptrIyEEEESE_y11max_functorIyEyEEDaPvRmT3_T4_T5_mT6_P12ihipStream_tbENKUlT_T0_E_clISt17integral_constantIbLb1EEST_IbLb0EEEEDaSP_SQ_EUlSP_E0_NS1_11comp_targetILNS1_3genE3ELNS1_11target_archE908ELNS1_3gpuE7ELNS1_3repE0EEENS1_30default_config_static_selectorELNS0_4arch9wavefront6targetE1EEEvT1_.kd
    .uniform_work_group_size: 1
    .uses_dynamic_stack: false
    .vgpr_count:     0
    .vgpr_spill_count: 0
    .wavefront_size: 64
  - .agpr_count:     0
    .args:
      - .offset:         0
        .size:           40
        .value_kind:     by_value
    .group_segment_fixed_size: 0
    .kernarg_segment_align: 8
    .kernarg_segment_size: 40
    .language:       OpenCL C
    .language_version:
      - 2
      - 0
    .max_flat_workgroup_size: 64
    .name:           _ZN7rocprim17ROCPRIM_400000_NS6detail17trampoline_kernelINS0_14default_configENS1_20scan_config_selectorIyEEZZNS1_9scan_implILNS1_25lookback_scan_determinismE0ELb0ELb0ES3_N6thrust23THRUST_200600_302600_NS6detail15normal_iteratorINS9_10device_ptrIyEEEESE_y11max_functorIyEyEEDaPvRmT3_T4_T5_mT6_P12ihipStream_tbENKUlT_T0_E_clISt17integral_constantIbLb1EEST_IbLb0EEEEDaSP_SQ_EUlSP_E0_NS1_11comp_targetILNS1_3genE2ELNS1_11target_archE906ELNS1_3gpuE6ELNS1_3repE0EEENS1_30default_config_static_selectorELNS0_4arch9wavefront6targetE1EEEvT1_
    .private_segment_fixed_size: 0
    .sgpr_count:     4
    .sgpr_spill_count: 0
    .symbol:         _ZN7rocprim17ROCPRIM_400000_NS6detail17trampoline_kernelINS0_14default_configENS1_20scan_config_selectorIyEEZZNS1_9scan_implILNS1_25lookback_scan_determinismE0ELb0ELb0ES3_N6thrust23THRUST_200600_302600_NS6detail15normal_iteratorINS9_10device_ptrIyEEEESE_y11max_functorIyEyEEDaPvRmT3_T4_T5_mT6_P12ihipStream_tbENKUlT_T0_E_clISt17integral_constantIbLb1EEST_IbLb0EEEEDaSP_SQ_EUlSP_E0_NS1_11comp_targetILNS1_3genE2ELNS1_11target_archE906ELNS1_3gpuE6ELNS1_3repE0EEENS1_30default_config_static_selectorELNS0_4arch9wavefront6targetE1EEEvT1_.kd
    .uniform_work_group_size: 1
    .uses_dynamic_stack: false
    .vgpr_count:     0
    .vgpr_spill_count: 0
    .wavefront_size: 64
  - .agpr_count:     0
    .args:
      - .offset:         0
        .size:           40
        .value_kind:     by_value
    .group_segment_fixed_size: 0
    .kernarg_segment_align: 8
    .kernarg_segment_size: 40
    .language:       OpenCL C
    .language_version:
      - 2
      - 0
    .max_flat_workgroup_size: 256
    .name:           _ZN7rocprim17ROCPRIM_400000_NS6detail17trampoline_kernelINS0_14default_configENS1_20scan_config_selectorIyEEZZNS1_9scan_implILNS1_25lookback_scan_determinismE0ELb0ELb0ES3_N6thrust23THRUST_200600_302600_NS6detail15normal_iteratorINS9_10device_ptrIyEEEESE_y11max_functorIyEyEEDaPvRmT3_T4_T5_mT6_P12ihipStream_tbENKUlT_T0_E_clISt17integral_constantIbLb1EEST_IbLb0EEEEDaSP_SQ_EUlSP_E0_NS1_11comp_targetILNS1_3genE10ELNS1_11target_archE1201ELNS1_3gpuE5ELNS1_3repE0EEENS1_30default_config_static_selectorELNS0_4arch9wavefront6targetE1EEEvT1_
    .private_segment_fixed_size: 0
    .sgpr_count:     4
    .sgpr_spill_count: 0
    .symbol:         _ZN7rocprim17ROCPRIM_400000_NS6detail17trampoline_kernelINS0_14default_configENS1_20scan_config_selectorIyEEZZNS1_9scan_implILNS1_25lookback_scan_determinismE0ELb0ELb0ES3_N6thrust23THRUST_200600_302600_NS6detail15normal_iteratorINS9_10device_ptrIyEEEESE_y11max_functorIyEyEEDaPvRmT3_T4_T5_mT6_P12ihipStream_tbENKUlT_T0_E_clISt17integral_constantIbLb1EEST_IbLb0EEEEDaSP_SQ_EUlSP_E0_NS1_11comp_targetILNS1_3genE10ELNS1_11target_archE1201ELNS1_3gpuE5ELNS1_3repE0EEENS1_30default_config_static_selectorELNS0_4arch9wavefront6targetE1EEEvT1_.kd
    .uniform_work_group_size: 1
    .uses_dynamic_stack: false
    .vgpr_count:     0
    .vgpr_spill_count: 0
    .wavefront_size: 64
  - .agpr_count:     0
    .args:
      - .offset:         0
        .size:           40
        .value_kind:     by_value
    .group_segment_fixed_size: 0
    .kernarg_segment_align: 8
    .kernarg_segment_size: 40
    .language:       OpenCL C
    .language_version:
      - 2
      - 0
    .max_flat_workgroup_size: 256
    .name:           _ZN7rocprim17ROCPRIM_400000_NS6detail17trampoline_kernelINS0_14default_configENS1_20scan_config_selectorIyEEZZNS1_9scan_implILNS1_25lookback_scan_determinismE0ELb0ELb0ES3_N6thrust23THRUST_200600_302600_NS6detail15normal_iteratorINS9_10device_ptrIyEEEESE_y11max_functorIyEyEEDaPvRmT3_T4_T5_mT6_P12ihipStream_tbENKUlT_T0_E_clISt17integral_constantIbLb1EEST_IbLb0EEEEDaSP_SQ_EUlSP_E0_NS1_11comp_targetILNS1_3genE10ELNS1_11target_archE1200ELNS1_3gpuE4ELNS1_3repE0EEENS1_30default_config_static_selectorELNS0_4arch9wavefront6targetE1EEEvT1_
    .private_segment_fixed_size: 0
    .sgpr_count:     4
    .sgpr_spill_count: 0
    .symbol:         _ZN7rocprim17ROCPRIM_400000_NS6detail17trampoline_kernelINS0_14default_configENS1_20scan_config_selectorIyEEZZNS1_9scan_implILNS1_25lookback_scan_determinismE0ELb0ELb0ES3_N6thrust23THRUST_200600_302600_NS6detail15normal_iteratorINS9_10device_ptrIyEEEESE_y11max_functorIyEyEEDaPvRmT3_T4_T5_mT6_P12ihipStream_tbENKUlT_T0_E_clISt17integral_constantIbLb1EEST_IbLb0EEEEDaSP_SQ_EUlSP_E0_NS1_11comp_targetILNS1_3genE10ELNS1_11target_archE1200ELNS1_3gpuE4ELNS1_3repE0EEENS1_30default_config_static_selectorELNS0_4arch9wavefront6targetE1EEEvT1_.kd
    .uniform_work_group_size: 1
    .uses_dynamic_stack: false
    .vgpr_count:     0
    .vgpr_spill_count: 0
    .wavefront_size: 64
  - .agpr_count:     0
    .args:
      - .offset:         0
        .size:           40
        .value_kind:     by_value
    .group_segment_fixed_size: 0
    .kernarg_segment_align: 8
    .kernarg_segment_size: 40
    .language:       OpenCL C
    .language_version:
      - 2
      - 0
    .max_flat_workgroup_size: 256
    .name:           _ZN7rocprim17ROCPRIM_400000_NS6detail17trampoline_kernelINS0_14default_configENS1_20scan_config_selectorIyEEZZNS1_9scan_implILNS1_25lookback_scan_determinismE0ELb0ELb0ES3_N6thrust23THRUST_200600_302600_NS6detail15normal_iteratorINS9_10device_ptrIyEEEESE_y11max_functorIyEyEEDaPvRmT3_T4_T5_mT6_P12ihipStream_tbENKUlT_T0_E_clISt17integral_constantIbLb1EEST_IbLb0EEEEDaSP_SQ_EUlSP_E0_NS1_11comp_targetILNS1_3genE9ELNS1_11target_archE1100ELNS1_3gpuE3ELNS1_3repE0EEENS1_30default_config_static_selectorELNS0_4arch9wavefront6targetE1EEEvT1_
    .private_segment_fixed_size: 0
    .sgpr_count:     4
    .sgpr_spill_count: 0
    .symbol:         _ZN7rocprim17ROCPRIM_400000_NS6detail17trampoline_kernelINS0_14default_configENS1_20scan_config_selectorIyEEZZNS1_9scan_implILNS1_25lookback_scan_determinismE0ELb0ELb0ES3_N6thrust23THRUST_200600_302600_NS6detail15normal_iteratorINS9_10device_ptrIyEEEESE_y11max_functorIyEyEEDaPvRmT3_T4_T5_mT6_P12ihipStream_tbENKUlT_T0_E_clISt17integral_constantIbLb1EEST_IbLb0EEEEDaSP_SQ_EUlSP_E0_NS1_11comp_targetILNS1_3genE9ELNS1_11target_archE1100ELNS1_3gpuE3ELNS1_3repE0EEENS1_30default_config_static_selectorELNS0_4arch9wavefront6targetE1EEEvT1_.kd
    .uniform_work_group_size: 1
    .uses_dynamic_stack: false
    .vgpr_count:     0
    .vgpr_spill_count: 0
    .wavefront_size: 64
  - .agpr_count:     0
    .args:
      - .offset:         0
        .size:           40
        .value_kind:     by_value
    .group_segment_fixed_size: 0
    .kernarg_segment_align: 8
    .kernarg_segment_size: 40
    .language:       OpenCL C
    .language_version:
      - 2
      - 0
    .max_flat_workgroup_size: 256
    .name:           _ZN7rocprim17ROCPRIM_400000_NS6detail17trampoline_kernelINS0_14default_configENS1_20scan_config_selectorIyEEZZNS1_9scan_implILNS1_25lookback_scan_determinismE0ELb0ELb0ES3_N6thrust23THRUST_200600_302600_NS6detail15normal_iteratorINS9_10device_ptrIyEEEESE_y11max_functorIyEyEEDaPvRmT3_T4_T5_mT6_P12ihipStream_tbENKUlT_T0_E_clISt17integral_constantIbLb1EEST_IbLb0EEEEDaSP_SQ_EUlSP_E0_NS1_11comp_targetILNS1_3genE8ELNS1_11target_archE1030ELNS1_3gpuE2ELNS1_3repE0EEENS1_30default_config_static_selectorELNS0_4arch9wavefront6targetE1EEEvT1_
    .private_segment_fixed_size: 0
    .sgpr_count:     4
    .sgpr_spill_count: 0
    .symbol:         _ZN7rocprim17ROCPRIM_400000_NS6detail17trampoline_kernelINS0_14default_configENS1_20scan_config_selectorIyEEZZNS1_9scan_implILNS1_25lookback_scan_determinismE0ELb0ELb0ES3_N6thrust23THRUST_200600_302600_NS6detail15normal_iteratorINS9_10device_ptrIyEEEESE_y11max_functorIyEyEEDaPvRmT3_T4_T5_mT6_P12ihipStream_tbENKUlT_T0_E_clISt17integral_constantIbLb1EEST_IbLb0EEEEDaSP_SQ_EUlSP_E0_NS1_11comp_targetILNS1_3genE8ELNS1_11target_archE1030ELNS1_3gpuE2ELNS1_3repE0EEENS1_30default_config_static_selectorELNS0_4arch9wavefront6targetE1EEEvT1_.kd
    .uniform_work_group_size: 1
    .uses_dynamic_stack: false
    .vgpr_count:     0
    .vgpr_spill_count: 0
    .wavefront_size: 64
  - .agpr_count:     0
    .args:
      - .address_space:  global
        .offset:         0
        .size:           8
        .value_kind:     global_buffer
      - .offset:         8
        .size:           4
        .value_kind:     by_value
      - .address_space:  global
        .offset:         16
        .size:           8
        .value_kind:     global_buffer
      - .offset:         24
        .size:           4
        .value_kind:     by_value
      - .address_space:  global
        .offset:         32
        .size:           8
        .value_kind:     global_buffer
      - .offset:         40
        .size:           4
        .value_kind:     hidden_block_count_x
      - .offset:         44
        .size:           4
        .value_kind:     hidden_block_count_y
      - .offset:         48
        .size:           4
        .value_kind:     hidden_block_count_z
      - .offset:         52
        .size:           2
        .value_kind:     hidden_group_size_x
      - .offset:         54
        .size:           2
        .value_kind:     hidden_group_size_y
      - .offset:         56
        .size:           2
        .value_kind:     hidden_group_size_z
      - .offset:         58
        .size:           2
        .value_kind:     hidden_remainder_x
      - .offset:         60
        .size:           2
        .value_kind:     hidden_remainder_y
      - .offset:         62
        .size:           2
        .value_kind:     hidden_remainder_z
      - .offset:         80
        .size:           8
        .value_kind:     hidden_global_offset_x
      - .offset:         88
        .size:           8
        .value_kind:     hidden_global_offset_y
      - .offset:         96
        .size:           8
        .value_kind:     hidden_global_offset_z
      - .offset:         104
        .size:           2
        .value_kind:     hidden_grid_dims
    .group_segment_fixed_size: 0
    .kernarg_segment_align: 8
    .kernarg_segment_size: 296
    .language:       OpenCL C
    .language_version:
      - 2
      - 0
    .max_flat_workgroup_size: 256
    .name:           _ZN7rocprim17ROCPRIM_400000_NS6detail31init_lookback_scan_state_kernelINS1_19lookback_scan_stateIyLb0ELb1EEENS1_16block_id_wrapperIjLb1EEEEEvT_jT0_jPNS7_10value_typeE
    .private_segment_fixed_size: 0
    .sgpr_count:     19
    .sgpr_spill_count: 0
    .symbol:         _ZN7rocprim17ROCPRIM_400000_NS6detail31init_lookback_scan_state_kernelINS1_19lookback_scan_stateIyLb0ELb1EEENS1_16block_id_wrapperIjLb1EEEEEvT_jT0_jPNS7_10value_typeE.kd
    .uniform_work_group_size: 1
    .uses_dynamic_stack: false
    .vgpr_count:     10
    .vgpr_spill_count: 0
    .wavefront_size: 64
  - .agpr_count:     0
    .args:
      - .offset:         0
        .size:           104
        .value_kind:     by_value
    .group_segment_fixed_size: 0
    .kernarg_segment_align: 8
    .kernarg_segment_size: 104
    .language:       OpenCL C
    .language_version:
      - 2
      - 0
    .max_flat_workgroup_size: 256
    .name:           _ZN7rocprim17ROCPRIM_400000_NS6detail17trampoline_kernelINS0_14default_configENS1_20scan_config_selectorIyEEZZNS1_9scan_implILNS1_25lookback_scan_determinismE0ELb0ELb0ES3_N6thrust23THRUST_200600_302600_NS6detail15normal_iteratorINS9_10device_ptrIyEEEESE_y11max_functorIyEyEEDaPvRmT3_T4_T5_mT6_P12ihipStream_tbENKUlT_T0_E_clISt17integral_constantIbLb0EEST_IbLb1EEEEDaSP_SQ_EUlSP_E_NS1_11comp_targetILNS1_3genE0ELNS1_11target_archE4294967295ELNS1_3gpuE0ELNS1_3repE0EEENS1_30default_config_static_selectorELNS0_4arch9wavefront6targetE1EEEvT1_
    .private_segment_fixed_size: 0
    .sgpr_count:     4
    .sgpr_spill_count: 0
    .symbol:         _ZN7rocprim17ROCPRIM_400000_NS6detail17trampoline_kernelINS0_14default_configENS1_20scan_config_selectorIyEEZZNS1_9scan_implILNS1_25lookback_scan_determinismE0ELb0ELb0ES3_N6thrust23THRUST_200600_302600_NS6detail15normal_iteratorINS9_10device_ptrIyEEEESE_y11max_functorIyEyEEDaPvRmT3_T4_T5_mT6_P12ihipStream_tbENKUlT_T0_E_clISt17integral_constantIbLb0EEST_IbLb1EEEEDaSP_SQ_EUlSP_E_NS1_11comp_targetILNS1_3genE0ELNS1_11target_archE4294967295ELNS1_3gpuE0ELNS1_3repE0EEENS1_30default_config_static_selectorELNS0_4arch9wavefront6targetE1EEEvT1_.kd
    .uniform_work_group_size: 1
    .uses_dynamic_stack: false
    .vgpr_count:     0
    .vgpr_spill_count: 0
    .wavefront_size: 64
  - .agpr_count:     0
    .args:
      - .offset:         0
        .size:           104
        .value_kind:     by_value
    .group_segment_fixed_size: 0
    .kernarg_segment_align: 8
    .kernarg_segment_size: 104
    .language:       OpenCL C
    .language_version:
      - 2
      - 0
    .max_flat_workgroup_size: 256
    .name:           _ZN7rocprim17ROCPRIM_400000_NS6detail17trampoline_kernelINS0_14default_configENS1_20scan_config_selectorIyEEZZNS1_9scan_implILNS1_25lookback_scan_determinismE0ELb0ELb0ES3_N6thrust23THRUST_200600_302600_NS6detail15normal_iteratorINS9_10device_ptrIyEEEESE_y11max_functorIyEyEEDaPvRmT3_T4_T5_mT6_P12ihipStream_tbENKUlT_T0_E_clISt17integral_constantIbLb0EEST_IbLb1EEEEDaSP_SQ_EUlSP_E_NS1_11comp_targetILNS1_3genE5ELNS1_11target_archE942ELNS1_3gpuE9ELNS1_3repE0EEENS1_30default_config_static_selectorELNS0_4arch9wavefront6targetE1EEEvT1_
    .private_segment_fixed_size: 0
    .sgpr_count:     4
    .sgpr_spill_count: 0
    .symbol:         _ZN7rocprim17ROCPRIM_400000_NS6detail17trampoline_kernelINS0_14default_configENS1_20scan_config_selectorIyEEZZNS1_9scan_implILNS1_25lookback_scan_determinismE0ELb0ELb0ES3_N6thrust23THRUST_200600_302600_NS6detail15normal_iteratorINS9_10device_ptrIyEEEESE_y11max_functorIyEyEEDaPvRmT3_T4_T5_mT6_P12ihipStream_tbENKUlT_T0_E_clISt17integral_constantIbLb0EEST_IbLb1EEEEDaSP_SQ_EUlSP_E_NS1_11comp_targetILNS1_3genE5ELNS1_11target_archE942ELNS1_3gpuE9ELNS1_3repE0EEENS1_30default_config_static_selectorELNS0_4arch9wavefront6targetE1EEEvT1_.kd
    .uniform_work_group_size: 1
    .uses_dynamic_stack: false
    .vgpr_count:     0
    .vgpr_spill_count: 0
    .wavefront_size: 64
  - .agpr_count:     0
    .args:
      - .offset:         0
        .size:           104
        .value_kind:     by_value
    .group_segment_fixed_size: 7168
    .kernarg_segment_align: 8
    .kernarg_segment_size: 104
    .language:       OpenCL C
    .language_version:
      - 2
      - 0
    .max_flat_workgroup_size: 128
    .name:           _ZN7rocprim17ROCPRIM_400000_NS6detail17trampoline_kernelINS0_14default_configENS1_20scan_config_selectorIyEEZZNS1_9scan_implILNS1_25lookback_scan_determinismE0ELb0ELb0ES3_N6thrust23THRUST_200600_302600_NS6detail15normal_iteratorINS9_10device_ptrIyEEEESE_y11max_functorIyEyEEDaPvRmT3_T4_T5_mT6_P12ihipStream_tbENKUlT_T0_E_clISt17integral_constantIbLb0EEST_IbLb1EEEEDaSP_SQ_EUlSP_E_NS1_11comp_targetILNS1_3genE4ELNS1_11target_archE910ELNS1_3gpuE8ELNS1_3repE0EEENS1_30default_config_static_selectorELNS0_4arch9wavefront6targetE1EEEvT1_
    .private_segment_fixed_size: 0
    .sgpr_count:     42
    .sgpr_spill_count: 0
    .symbol:         _ZN7rocprim17ROCPRIM_400000_NS6detail17trampoline_kernelINS0_14default_configENS1_20scan_config_selectorIyEEZZNS1_9scan_implILNS1_25lookback_scan_determinismE0ELb0ELb0ES3_N6thrust23THRUST_200600_302600_NS6detail15normal_iteratorINS9_10device_ptrIyEEEESE_y11max_functorIyEyEEDaPvRmT3_T4_T5_mT6_P12ihipStream_tbENKUlT_T0_E_clISt17integral_constantIbLb0EEST_IbLb1EEEEDaSP_SQ_EUlSP_E_NS1_11comp_targetILNS1_3genE4ELNS1_11target_archE910ELNS1_3gpuE8ELNS1_3repE0EEENS1_30default_config_static_selectorELNS0_4arch9wavefront6targetE1EEEvT1_.kd
    .uniform_work_group_size: 1
    .uses_dynamic_stack: false
    .vgpr_count:     58
    .vgpr_spill_count: 0
    .wavefront_size: 64
  - .agpr_count:     0
    .args:
      - .offset:         0
        .size:           104
        .value_kind:     by_value
    .group_segment_fixed_size: 0
    .kernarg_segment_align: 8
    .kernarg_segment_size: 104
    .language:       OpenCL C
    .language_version:
      - 2
      - 0
    .max_flat_workgroup_size: 256
    .name:           _ZN7rocprim17ROCPRIM_400000_NS6detail17trampoline_kernelINS0_14default_configENS1_20scan_config_selectorIyEEZZNS1_9scan_implILNS1_25lookback_scan_determinismE0ELb0ELb0ES3_N6thrust23THRUST_200600_302600_NS6detail15normal_iteratorINS9_10device_ptrIyEEEESE_y11max_functorIyEyEEDaPvRmT3_T4_T5_mT6_P12ihipStream_tbENKUlT_T0_E_clISt17integral_constantIbLb0EEST_IbLb1EEEEDaSP_SQ_EUlSP_E_NS1_11comp_targetILNS1_3genE3ELNS1_11target_archE908ELNS1_3gpuE7ELNS1_3repE0EEENS1_30default_config_static_selectorELNS0_4arch9wavefront6targetE1EEEvT1_
    .private_segment_fixed_size: 0
    .sgpr_count:     4
    .sgpr_spill_count: 0
    .symbol:         _ZN7rocprim17ROCPRIM_400000_NS6detail17trampoline_kernelINS0_14default_configENS1_20scan_config_selectorIyEEZZNS1_9scan_implILNS1_25lookback_scan_determinismE0ELb0ELb0ES3_N6thrust23THRUST_200600_302600_NS6detail15normal_iteratorINS9_10device_ptrIyEEEESE_y11max_functorIyEyEEDaPvRmT3_T4_T5_mT6_P12ihipStream_tbENKUlT_T0_E_clISt17integral_constantIbLb0EEST_IbLb1EEEEDaSP_SQ_EUlSP_E_NS1_11comp_targetILNS1_3genE3ELNS1_11target_archE908ELNS1_3gpuE7ELNS1_3repE0EEENS1_30default_config_static_selectorELNS0_4arch9wavefront6targetE1EEEvT1_.kd
    .uniform_work_group_size: 1
    .uses_dynamic_stack: false
    .vgpr_count:     0
    .vgpr_spill_count: 0
    .wavefront_size: 64
  - .agpr_count:     0
    .args:
      - .offset:         0
        .size:           104
        .value_kind:     by_value
    .group_segment_fixed_size: 0
    .kernarg_segment_align: 8
    .kernarg_segment_size: 104
    .language:       OpenCL C
    .language_version:
      - 2
      - 0
    .max_flat_workgroup_size: 64
    .name:           _ZN7rocprim17ROCPRIM_400000_NS6detail17trampoline_kernelINS0_14default_configENS1_20scan_config_selectorIyEEZZNS1_9scan_implILNS1_25lookback_scan_determinismE0ELb0ELb0ES3_N6thrust23THRUST_200600_302600_NS6detail15normal_iteratorINS9_10device_ptrIyEEEESE_y11max_functorIyEyEEDaPvRmT3_T4_T5_mT6_P12ihipStream_tbENKUlT_T0_E_clISt17integral_constantIbLb0EEST_IbLb1EEEEDaSP_SQ_EUlSP_E_NS1_11comp_targetILNS1_3genE2ELNS1_11target_archE906ELNS1_3gpuE6ELNS1_3repE0EEENS1_30default_config_static_selectorELNS0_4arch9wavefront6targetE1EEEvT1_
    .private_segment_fixed_size: 0
    .sgpr_count:     4
    .sgpr_spill_count: 0
    .symbol:         _ZN7rocprim17ROCPRIM_400000_NS6detail17trampoline_kernelINS0_14default_configENS1_20scan_config_selectorIyEEZZNS1_9scan_implILNS1_25lookback_scan_determinismE0ELb0ELb0ES3_N6thrust23THRUST_200600_302600_NS6detail15normal_iteratorINS9_10device_ptrIyEEEESE_y11max_functorIyEyEEDaPvRmT3_T4_T5_mT6_P12ihipStream_tbENKUlT_T0_E_clISt17integral_constantIbLb0EEST_IbLb1EEEEDaSP_SQ_EUlSP_E_NS1_11comp_targetILNS1_3genE2ELNS1_11target_archE906ELNS1_3gpuE6ELNS1_3repE0EEENS1_30default_config_static_selectorELNS0_4arch9wavefront6targetE1EEEvT1_.kd
    .uniform_work_group_size: 1
    .uses_dynamic_stack: false
    .vgpr_count:     0
    .vgpr_spill_count: 0
    .wavefront_size: 64
  - .agpr_count:     0
    .args:
      - .offset:         0
        .size:           104
        .value_kind:     by_value
    .group_segment_fixed_size: 0
    .kernarg_segment_align: 8
    .kernarg_segment_size: 104
    .language:       OpenCL C
    .language_version:
      - 2
      - 0
    .max_flat_workgroup_size: 256
    .name:           _ZN7rocprim17ROCPRIM_400000_NS6detail17trampoline_kernelINS0_14default_configENS1_20scan_config_selectorIyEEZZNS1_9scan_implILNS1_25lookback_scan_determinismE0ELb0ELb0ES3_N6thrust23THRUST_200600_302600_NS6detail15normal_iteratorINS9_10device_ptrIyEEEESE_y11max_functorIyEyEEDaPvRmT3_T4_T5_mT6_P12ihipStream_tbENKUlT_T0_E_clISt17integral_constantIbLb0EEST_IbLb1EEEEDaSP_SQ_EUlSP_E_NS1_11comp_targetILNS1_3genE10ELNS1_11target_archE1201ELNS1_3gpuE5ELNS1_3repE0EEENS1_30default_config_static_selectorELNS0_4arch9wavefront6targetE1EEEvT1_
    .private_segment_fixed_size: 0
    .sgpr_count:     4
    .sgpr_spill_count: 0
    .symbol:         _ZN7rocprim17ROCPRIM_400000_NS6detail17trampoline_kernelINS0_14default_configENS1_20scan_config_selectorIyEEZZNS1_9scan_implILNS1_25lookback_scan_determinismE0ELb0ELb0ES3_N6thrust23THRUST_200600_302600_NS6detail15normal_iteratorINS9_10device_ptrIyEEEESE_y11max_functorIyEyEEDaPvRmT3_T4_T5_mT6_P12ihipStream_tbENKUlT_T0_E_clISt17integral_constantIbLb0EEST_IbLb1EEEEDaSP_SQ_EUlSP_E_NS1_11comp_targetILNS1_3genE10ELNS1_11target_archE1201ELNS1_3gpuE5ELNS1_3repE0EEENS1_30default_config_static_selectorELNS0_4arch9wavefront6targetE1EEEvT1_.kd
    .uniform_work_group_size: 1
    .uses_dynamic_stack: false
    .vgpr_count:     0
    .vgpr_spill_count: 0
    .wavefront_size: 64
  - .agpr_count:     0
    .args:
      - .offset:         0
        .size:           104
        .value_kind:     by_value
    .group_segment_fixed_size: 0
    .kernarg_segment_align: 8
    .kernarg_segment_size: 104
    .language:       OpenCL C
    .language_version:
      - 2
      - 0
    .max_flat_workgroup_size: 256
    .name:           _ZN7rocprim17ROCPRIM_400000_NS6detail17trampoline_kernelINS0_14default_configENS1_20scan_config_selectorIyEEZZNS1_9scan_implILNS1_25lookback_scan_determinismE0ELb0ELb0ES3_N6thrust23THRUST_200600_302600_NS6detail15normal_iteratorINS9_10device_ptrIyEEEESE_y11max_functorIyEyEEDaPvRmT3_T4_T5_mT6_P12ihipStream_tbENKUlT_T0_E_clISt17integral_constantIbLb0EEST_IbLb1EEEEDaSP_SQ_EUlSP_E_NS1_11comp_targetILNS1_3genE10ELNS1_11target_archE1200ELNS1_3gpuE4ELNS1_3repE0EEENS1_30default_config_static_selectorELNS0_4arch9wavefront6targetE1EEEvT1_
    .private_segment_fixed_size: 0
    .sgpr_count:     4
    .sgpr_spill_count: 0
    .symbol:         _ZN7rocprim17ROCPRIM_400000_NS6detail17trampoline_kernelINS0_14default_configENS1_20scan_config_selectorIyEEZZNS1_9scan_implILNS1_25lookback_scan_determinismE0ELb0ELb0ES3_N6thrust23THRUST_200600_302600_NS6detail15normal_iteratorINS9_10device_ptrIyEEEESE_y11max_functorIyEyEEDaPvRmT3_T4_T5_mT6_P12ihipStream_tbENKUlT_T0_E_clISt17integral_constantIbLb0EEST_IbLb1EEEEDaSP_SQ_EUlSP_E_NS1_11comp_targetILNS1_3genE10ELNS1_11target_archE1200ELNS1_3gpuE4ELNS1_3repE0EEENS1_30default_config_static_selectorELNS0_4arch9wavefront6targetE1EEEvT1_.kd
    .uniform_work_group_size: 1
    .uses_dynamic_stack: false
    .vgpr_count:     0
    .vgpr_spill_count: 0
    .wavefront_size: 64
  - .agpr_count:     0
    .args:
      - .offset:         0
        .size:           104
        .value_kind:     by_value
    .group_segment_fixed_size: 0
    .kernarg_segment_align: 8
    .kernarg_segment_size: 104
    .language:       OpenCL C
    .language_version:
      - 2
      - 0
    .max_flat_workgroup_size: 256
    .name:           _ZN7rocprim17ROCPRIM_400000_NS6detail17trampoline_kernelINS0_14default_configENS1_20scan_config_selectorIyEEZZNS1_9scan_implILNS1_25lookback_scan_determinismE0ELb0ELb0ES3_N6thrust23THRUST_200600_302600_NS6detail15normal_iteratorINS9_10device_ptrIyEEEESE_y11max_functorIyEyEEDaPvRmT3_T4_T5_mT6_P12ihipStream_tbENKUlT_T0_E_clISt17integral_constantIbLb0EEST_IbLb1EEEEDaSP_SQ_EUlSP_E_NS1_11comp_targetILNS1_3genE9ELNS1_11target_archE1100ELNS1_3gpuE3ELNS1_3repE0EEENS1_30default_config_static_selectorELNS0_4arch9wavefront6targetE1EEEvT1_
    .private_segment_fixed_size: 0
    .sgpr_count:     4
    .sgpr_spill_count: 0
    .symbol:         _ZN7rocprim17ROCPRIM_400000_NS6detail17trampoline_kernelINS0_14default_configENS1_20scan_config_selectorIyEEZZNS1_9scan_implILNS1_25lookback_scan_determinismE0ELb0ELb0ES3_N6thrust23THRUST_200600_302600_NS6detail15normal_iteratorINS9_10device_ptrIyEEEESE_y11max_functorIyEyEEDaPvRmT3_T4_T5_mT6_P12ihipStream_tbENKUlT_T0_E_clISt17integral_constantIbLb0EEST_IbLb1EEEEDaSP_SQ_EUlSP_E_NS1_11comp_targetILNS1_3genE9ELNS1_11target_archE1100ELNS1_3gpuE3ELNS1_3repE0EEENS1_30default_config_static_selectorELNS0_4arch9wavefront6targetE1EEEvT1_.kd
    .uniform_work_group_size: 1
    .uses_dynamic_stack: false
    .vgpr_count:     0
    .vgpr_spill_count: 0
    .wavefront_size: 64
  - .agpr_count:     0
    .args:
      - .offset:         0
        .size:           104
        .value_kind:     by_value
    .group_segment_fixed_size: 0
    .kernarg_segment_align: 8
    .kernarg_segment_size: 104
    .language:       OpenCL C
    .language_version:
      - 2
      - 0
    .max_flat_workgroup_size: 256
    .name:           _ZN7rocprim17ROCPRIM_400000_NS6detail17trampoline_kernelINS0_14default_configENS1_20scan_config_selectorIyEEZZNS1_9scan_implILNS1_25lookback_scan_determinismE0ELb0ELb0ES3_N6thrust23THRUST_200600_302600_NS6detail15normal_iteratorINS9_10device_ptrIyEEEESE_y11max_functorIyEyEEDaPvRmT3_T4_T5_mT6_P12ihipStream_tbENKUlT_T0_E_clISt17integral_constantIbLb0EEST_IbLb1EEEEDaSP_SQ_EUlSP_E_NS1_11comp_targetILNS1_3genE8ELNS1_11target_archE1030ELNS1_3gpuE2ELNS1_3repE0EEENS1_30default_config_static_selectorELNS0_4arch9wavefront6targetE1EEEvT1_
    .private_segment_fixed_size: 0
    .sgpr_count:     4
    .sgpr_spill_count: 0
    .symbol:         _ZN7rocprim17ROCPRIM_400000_NS6detail17trampoline_kernelINS0_14default_configENS1_20scan_config_selectorIyEEZZNS1_9scan_implILNS1_25lookback_scan_determinismE0ELb0ELb0ES3_N6thrust23THRUST_200600_302600_NS6detail15normal_iteratorINS9_10device_ptrIyEEEESE_y11max_functorIyEyEEDaPvRmT3_T4_T5_mT6_P12ihipStream_tbENKUlT_T0_E_clISt17integral_constantIbLb0EEST_IbLb1EEEEDaSP_SQ_EUlSP_E_NS1_11comp_targetILNS1_3genE8ELNS1_11target_archE1030ELNS1_3gpuE2ELNS1_3repE0EEENS1_30default_config_static_selectorELNS0_4arch9wavefront6targetE1EEEvT1_.kd
    .uniform_work_group_size: 1
    .uses_dynamic_stack: false
    .vgpr_count:     0
    .vgpr_spill_count: 0
    .wavefront_size: 64
  - .agpr_count:     0
    .args:
      - .offset:         0
        .size:           40
        .value_kind:     by_value
    .group_segment_fixed_size: 0
    .kernarg_segment_align: 8
    .kernarg_segment_size: 40
    .language:       OpenCL C
    .language_version:
      - 2
      - 0
    .max_flat_workgroup_size: 256
    .name:           _ZN7rocprim17ROCPRIM_400000_NS6detail17trampoline_kernelINS0_14default_configENS1_20scan_config_selectorIyEEZZNS1_9scan_implILNS1_25lookback_scan_determinismE0ELb0ELb0ES3_N6thrust23THRUST_200600_302600_NS6detail15normal_iteratorINS9_10device_ptrIyEEEESE_y11max_functorIyEyEEDaPvRmT3_T4_T5_mT6_P12ihipStream_tbENKUlT_T0_E_clISt17integral_constantIbLb0EEST_IbLb1EEEEDaSP_SQ_EUlSP_E0_NS1_11comp_targetILNS1_3genE0ELNS1_11target_archE4294967295ELNS1_3gpuE0ELNS1_3repE0EEENS1_30default_config_static_selectorELNS0_4arch9wavefront6targetE1EEEvT1_
    .private_segment_fixed_size: 0
    .sgpr_count:     4
    .sgpr_spill_count: 0
    .symbol:         _ZN7rocprim17ROCPRIM_400000_NS6detail17trampoline_kernelINS0_14default_configENS1_20scan_config_selectorIyEEZZNS1_9scan_implILNS1_25lookback_scan_determinismE0ELb0ELb0ES3_N6thrust23THRUST_200600_302600_NS6detail15normal_iteratorINS9_10device_ptrIyEEEESE_y11max_functorIyEyEEDaPvRmT3_T4_T5_mT6_P12ihipStream_tbENKUlT_T0_E_clISt17integral_constantIbLb0EEST_IbLb1EEEEDaSP_SQ_EUlSP_E0_NS1_11comp_targetILNS1_3genE0ELNS1_11target_archE4294967295ELNS1_3gpuE0ELNS1_3repE0EEENS1_30default_config_static_selectorELNS0_4arch9wavefront6targetE1EEEvT1_.kd
    .uniform_work_group_size: 1
    .uses_dynamic_stack: false
    .vgpr_count:     0
    .vgpr_spill_count: 0
    .wavefront_size: 64
  - .agpr_count:     0
    .args:
      - .offset:         0
        .size:           40
        .value_kind:     by_value
    .group_segment_fixed_size: 0
    .kernarg_segment_align: 8
    .kernarg_segment_size: 40
    .language:       OpenCL C
    .language_version:
      - 2
      - 0
    .max_flat_workgroup_size: 256
    .name:           _ZN7rocprim17ROCPRIM_400000_NS6detail17trampoline_kernelINS0_14default_configENS1_20scan_config_selectorIyEEZZNS1_9scan_implILNS1_25lookback_scan_determinismE0ELb0ELb0ES3_N6thrust23THRUST_200600_302600_NS6detail15normal_iteratorINS9_10device_ptrIyEEEESE_y11max_functorIyEyEEDaPvRmT3_T4_T5_mT6_P12ihipStream_tbENKUlT_T0_E_clISt17integral_constantIbLb0EEST_IbLb1EEEEDaSP_SQ_EUlSP_E0_NS1_11comp_targetILNS1_3genE5ELNS1_11target_archE942ELNS1_3gpuE9ELNS1_3repE0EEENS1_30default_config_static_selectorELNS0_4arch9wavefront6targetE1EEEvT1_
    .private_segment_fixed_size: 0
    .sgpr_count:     4
    .sgpr_spill_count: 0
    .symbol:         _ZN7rocprim17ROCPRIM_400000_NS6detail17trampoline_kernelINS0_14default_configENS1_20scan_config_selectorIyEEZZNS1_9scan_implILNS1_25lookback_scan_determinismE0ELb0ELb0ES3_N6thrust23THRUST_200600_302600_NS6detail15normal_iteratorINS9_10device_ptrIyEEEESE_y11max_functorIyEyEEDaPvRmT3_T4_T5_mT6_P12ihipStream_tbENKUlT_T0_E_clISt17integral_constantIbLb0EEST_IbLb1EEEEDaSP_SQ_EUlSP_E0_NS1_11comp_targetILNS1_3genE5ELNS1_11target_archE942ELNS1_3gpuE9ELNS1_3repE0EEENS1_30default_config_static_selectorELNS0_4arch9wavefront6targetE1EEEvT1_.kd
    .uniform_work_group_size: 1
    .uses_dynamic_stack: false
    .vgpr_count:     0
    .vgpr_spill_count: 0
    .wavefront_size: 64
  - .agpr_count:     0
    .args:
      - .offset:         0
        .size:           40
        .value_kind:     by_value
    .group_segment_fixed_size: 7168
    .kernarg_segment_align: 8
    .kernarg_segment_size: 40
    .language:       OpenCL C
    .language_version:
      - 2
      - 0
    .max_flat_workgroup_size: 128
    .name:           _ZN7rocprim17ROCPRIM_400000_NS6detail17trampoline_kernelINS0_14default_configENS1_20scan_config_selectorIyEEZZNS1_9scan_implILNS1_25lookback_scan_determinismE0ELb0ELb0ES3_N6thrust23THRUST_200600_302600_NS6detail15normal_iteratorINS9_10device_ptrIyEEEESE_y11max_functorIyEyEEDaPvRmT3_T4_T5_mT6_P12ihipStream_tbENKUlT_T0_E_clISt17integral_constantIbLb0EEST_IbLb1EEEEDaSP_SQ_EUlSP_E0_NS1_11comp_targetILNS1_3genE4ELNS1_11target_archE910ELNS1_3gpuE8ELNS1_3repE0EEENS1_30default_config_static_selectorELNS0_4arch9wavefront6targetE1EEEvT1_
    .private_segment_fixed_size: 0
    .sgpr_count:     26
    .sgpr_spill_count: 0
    .symbol:         _ZN7rocprim17ROCPRIM_400000_NS6detail17trampoline_kernelINS0_14default_configENS1_20scan_config_selectorIyEEZZNS1_9scan_implILNS1_25lookback_scan_determinismE0ELb0ELb0ES3_N6thrust23THRUST_200600_302600_NS6detail15normal_iteratorINS9_10device_ptrIyEEEESE_y11max_functorIyEyEEDaPvRmT3_T4_T5_mT6_P12ihipStream_tbENKUlT_T0_E_clISt17integral_constantIbLb0EEST_IbLb1EEEEDaSP_SQ_EUlSP_E0_NS1_11comp_targetILNS1_3genE4ELNS1_11target_archE910ELNS1_3gpuE8ELNS1_3repE0EEENS1_30default_config_static_selectorELNS0_4arch9wavefront6targetE1EEEvT1_.kd
    .uniform_work_group_size: 1
    .uses_dynamic_stack: false
    .vgpr_count:     42
    .vgpr_spill_count: 0
    .wavefront_size: 64
  - .agpr_count:     0
    .args:
      - .offset:         0
        .size:           40
        .value_kind:     by_value
    .group_segment_fixed_size: 0
    .kernarg_segment_align: 8
    .kernarg_segment_size: 40
    .language:       OpenCL C
    .language_version:
      - 2
      - 0
    .max_flat_workgroup_size: 256
    .name:           _ZN7rocprim17ROCPRIM_400000_NS6detail17trampoline_kernelINS0_14default_configENS1_20scan_config_selectorIyEEZZNS1_9scan_implILNS1_25lookback_scan_determinismE0ELb0ELb0ES3_N6thrust23THRUST_200600_302600_NS6detail15normal_iteratorINS9_10device_ptrIyEEEESE_y11max_functorIyEyEEDaPvRmT3_T4_T5_mT6_P12ihipStream_tbENKUlT_T0_E_clISt17integral_constantIbLb0EEST_IbLb1EEEEDaSP_SQ_EUlSP_E0_NS1_11comp_targetILNS1_3genE3ELNS1_11target_archE908ELNS1_3gpuE7ELNS1_3repE0EEENS1_30default_config_static_selectorELNS0_4arch9wavefront6targetE1EEEvT1_
    .private_segment_fixed_size: 0
    .sgpr_count:     4
    .sgpr_spill_count: 0
    .symbol:         _ZN7rocprim17ROCPRIM_400000_NS6detail17trampoline_kernelINS0_14default_configENS1_20scan_config_selectorIyEEZZNS1_9scan_implILNS1_25lookback_scan_determinismE0ELb0ELb0ES3_N6thrust23THRUST_200600_302600_NS6detail15normal_iteratorINS9_10device_ptrIyEEEESE_y11max_functorIyEyEEDaPvRmT3_T4_T5_mT6_P12ihipStream_tbENKUlT_T0_E_clISt17integral_constantIbLb0EEST_IbLb1EEEEDaSP_SQ_EUlSP_E0_NS1_11comp_targetILNS1_3genE3ELNS1_11target_archE908ELNS1_3gpuE7ELNS1_3repE0EEENS1_30default_config_static_selectorELNS0_4arch9wavefront6targetE1EEEvT1_.kd
    .uniform_work_group_size: 1
    .uses_dynamic_stack: false
    .vgpr_count:     0
    .vgpr_spill_count: 0
    .wavefront_size: 64
  - .agpr_count:     0
    .args:
      - .offset:         0
        .size:           40
        .value_kind:     by_value
    .group_segment_fixed_size: 0
    .kernarg_segment_align: 8
    .kernarg_segment_size: 40
    .language:       OpenCL C
    .language_version:
      - 2
      - 0
    .max_flat_workgroup_size: 64
    .name:           _ZN7rocprim17ROCPRIM_400000_NS6detail17trampoline_kernelINS0_14default_configENS1_20scan_config_selectorIyEEZZNS1_9scan_implILNS1_25lookback_scan_determinismE0ELb0ELb0ES3_N6thrust23THRUST_200600_302600_NS6detail15normal_iteratorINS9_10device_ptrIyEEEESE_y11max_functorIyEyEEDaPvRmT3_T4_T5_mT6_P12ihipStream_tbENKUlT_T0_E_clISt17integral_constantIbLb0EEST_IbLb1EEEEDaSP_SQ_EUlSP_E0_NS1_11comp_targetILNS1_3genE2ELNS1_11target_archE906ELNS1_3gpuE6ELNS1_3repE0EEENS1_30default_config_static_selectorELNS0_4arch9wavefront6targetE1EEEvT1_
    .private_segment_fixed_size: 0
    .sgpr_count:     4
    .sgpr_spill_count: 0
    .symbol:         _ZN7rocprim17ROCPRIM_400000_NS6detail17trampoline_kernelINS0_14default_configENS1_20scan_config_selectorIyEEZZNS1_9scan_implILNS1_25lookback_scan_determinismE0ELb0ELb0ES3_N6thrust23THRUST_200600_302600_NS6detail15normal_iteratorINS9_10device_ptrIyEEEESE_y11max_functorIyEyEEDaPvRmT3_T4_T5_mT6_P12ihipStream_tbENKUlT_T0_E_clISt17integral_constantIbLb0EEST_IbLb1EEEEDaSP_SQ_EUlSP_E0_NS1_11comp_targetILNS1_3genE2ELNS1_11target_archE906ELNS1_3gpuE6ELNS1_3repE0EEENS1_30default_config_static_selectorELNS0_4arch9wavefront6targetE1EEEvT1_.kd
    .uniform_work_group_size: 1
    .uses_dynamic_stack: false
    .vgpr_count:     0
    .vgpr_spill_count: 0
    .wavefront_size: 64
  - .agpr_count:     0
    .args:
      - .offset:         0
        .size:           40
        .value_kind:     by_value
    .group_segment_fixed_size: 0
    .kernarg_segment_align: 8
    .kernarg_segment_size: 40
    .language:       OpenCL C
    .language_version:
      - 2
      - 0
    .max_flat_workgroup_size: 256
    .name:           _ZN7rocprim17ROCPRIM_400000_NS6detail17trampoline_kernelINS0_14default_configENS1_20scan_config_selectorIyEEZZNS1_9scan_implILNS1_25lookback_scan_determinismE0ELb0ELb0ES3_N6thrust23THRUST_200600_302600_NS6detail15normal_iteratorINS9_10device_ptrIyEEEESE_y11max_functorIyEyEEDaPvRmT3_T4_T5_mT6_P12ihipStream_tbENKUlT_T0_E_clISt17integral_constantIbLb0EEST_IbLb1EEEEDaSP_SQ_EUlSP_E0_NS1_11comp_targetILNS1_3genE10ELNS1_11target_archE1201ELNS1_3gpuE5ELNS1_3repE0EEENS1_30default_config_static_selectorELNS0_4arch9wavefront6targetE1EEEvT1_
    .private_segment_fixed_size: 0
    .sgpr_count:     4
    .sgpr_spill_count: 0
    .symbol:         _ZN7rocprim17ROCPRIM_400000_NS6detail17trampoline_kernelINS0_14default_configENS1_20scan_config_selectorIyEEZZNS1_9scan_implILNS1_25lookback_scan_determinismE0ELb0ELb0ES3_N6thrust23THRUST_200600_302600_NS6detail15normal_iteratorINS9_10device_ptrIyEEEESE_y11max_functorIyEyEEDaPvRmT3_T4_T5_mT6_P12ihipStream_tbENKUlT_T0_E_clISt17integral_constantIbLb0EEST_IbLb1EEEEDaSP_SQ_EUlSP_E0_NS1_11comp_targetILNS1_3genE10ELNS1_11target_archE1201ELNS1_3gpuE5ELNS1_3repE0EEENS1_30default_config_static_selectorELNS0_4arch9wavefront6targetE1EEEvT1_.kd
    .uniform_work_group_size: 1
    .uses_dynamic_stack: false
    .vgpr_count:     0
    .vgpr_spill_count: 0
    .wavefront_size: 64
  - .agpr_count:     0
    .args:
      - .offset:         0
        .size:           40
        .value_kind:     by_value
    .group_segment_fixed_size: 0
    .kernarg_segment_align: 8
    .kernarg_segment_size: 40
    .language:       OpenCL C
    .language_version:
      - 2
      - 0
    .max_flat_workgroup_size: 256
    .name:           _ZN7rocprim17ROCPRIM_400000_NS6detail17trampoline_kernelINS0_14default_configENS1_20scan_config_selectorIyEEZZNS1_9scan_implILNS1_25lookback_scan_determinismE0ELb0ELb0ES3_N6thrust23THRUST_200600_302600_NS6detail15normal_iteratorINS9_10device_ptrIyEEEESE_y11max_functorIyEyEEDaPvRmT3_T4_T5_mT6_P12ihipStream_tbENKUlT_T0_E_clISt17integral_constantIbLb0EEST_IbLb1EEEEDaSP_SQ_EUlSP_E0_NS1_11comp_targetILNS1_3genE10ELNS1_11target_archE1200ELNS1_3gpuE4ELNS1_3repE0EEENS1_30default_config_static_selectorELNS0_4arch9wavefront6targetE1EEEvT1_
    .private_segment_fixed_size: 0
    .sgpr_count:     4
    .sgpr_spill_count: 0
    .symbol:         _ZN7rocprim17ROCPRIM_400000_NS6detail17trampoline_kernelINS0_14default_configENS1_20scan_config_selectorIyEEZZNS1_9scan_implILNS1_25lookback_scan_determinismE0ELb0ELb0ES3_N6thrust23THRUST_200600_302600_NS6detail15normal_iteratorINS9_10device_ptrIyEEEESE_y11max_functorIyEyEEDaPvRmT3_T4_T5_mT6_P12ihipStream_tbENKUlT_T0_E_clISt17integral_constantIbLb0EEST_IbLb1EEEEDaSP_SQ_EUlSP_E0_NS1_11comp_targetILNS1_3genE10ELNS1_11target_archE1200ELNS1_3gpuE4ELNS1_3repE0EEENS1_30default_config_static_selectorELNS0_4arch9wavefront6targetE1EEEvT1_.kd
    .uniform_work_group_size: 1
    .uses_dynamic_stack: false
    .vgpr_count:     0
    .vgpr_spill_count: 0
    .wavefront_size: 64
  - .agpr_count:     0
    .args:
      - .offset:         0
        .size:           40
        .value_kind:     by_value
    .group_segment_fixed_size: 0
    .kernarg_segment_align: 8
    .kernarg_segment_size: 40
    .language:       OpenCL C
    .language_version:
      - 2
      - 0
    .max_flat_workgroup_size: 256
    .name:           _ZN7rocprim17ROCPRIM_400000_NS6detail17trampoline_kernelINS0_14default_configENS1_20scan_config_selectorIyEEZZNS1_9scan_implILNS1_25lookback_scan_determinismE0ELb0ELb0ES3_N6thrust23THRUST_200600_302600_NS6detail15normal_iteratorINS9_10device_ptrIyEEEESE_y11max_functorIyEyEEDaPvRmT3_T4_T5_mT6_P12ihipStream_tbENKUlT_T0_E_clISt17integral_constantIbLb0EEST_IbLb1EEEEDaSP_SQ_EUlSP_E0_NS1_11comp_targetILNS1_3genE9ELNS1_11target_archE1100ELNS1_3gpuE3ELNS1_3repE0EEENS1_30default_config_static_selectorELNS0_4arch9wavefront6targetE1EEEvT1_
    .private_segment_fixed_size: 0
    .sgpr_count:     4
    .sgpr_spill_count: 0
    .symbol:         _ZN7rocprim17ROCPRIM_400000_NS6detail17trampoline_kernelINS0_14default_configENS1_20scan_config_selectorIyEEZZNS1_9scan_implILNS1_25lookback_scan_determinismE0ELb0ELb0ES3_N6thrust23THRUST_200600_302600_NS6detail15normal_iteratorINS9_10device_ptrIyEEEESE_y11max_functorIyEyEEDaPvRmT3_T4_T5_mT6_P12ihipStream_tbENKUlT_T0_E_clISt17integral_constantIbLb0EEST_IbLb1EEEEDaSP_SQ_EUlSP_E0_NS1_11comp_targetILNS1_3genE9ELNS1_11target_archE1100ELNS1_3gpuE3ELNS1_3repE0EEENS1_30default_config_static_selectorELNS0_4arch9wavefront6targetE1EEEvT1_.kd
    .uniform_work_group_size: 1
    .uses_dynamic_stack: false
    .vgpr_count:     0
    .vgpr_spill_count: 0
    .wavefront_size: 64
  - .agpr_count:     0
    .args:
      - .offset:         0
        .size:           40
        .value_kind:     by_value
    .group_segment_fixed_size: 0
    .kernarg_segment_align: 8
    .kernarg_segment_size: 40
    .language:       OpenCL C
    .language_version:
      - 2
      - 0
    .max_flat_workgroup_size: 256
    .name:           _ZN7rocprim17ROCPRIM_400000_NS6detail17trampoline_kernelINS0_14default_configENS1_20scan_config_selectorIyEEZZNS1_9scan_implILNS1_25lookback_scan_determinismE0ELb0ELb0ES3_N6thrust23THRUST_200600_302600_NS6detail15normal_iteratorINS9_10device_ptrIyEEEESE_y11max_functorIyEyEEDaPvRmT3_T4_T5_mT6_P12ihipStream_tbENKUlT_T0_E_clISt17integral_constantIbLb0EEST_IbLb1EEEEDaSP_SQ_EUlSP_E0_NS1_11comp_targetILNS1_3genE8ELNS1_11target_archE1030ELNS1_3gpuE2ELNS1_3repE0EEENS1_30default_config_static_selectorELNS0_4arch9wavefront6targetE1EEEvT1_
    .private_segment_fixed_size: 0
    .sgpr_count:     4
    .sgpr_spill_count: 0
    .symbol:         _ZN7rocprim17ROCPRIM_400000_NS6detail17trampoline_kernelINS0_14default_configENS1_20scan_config_selectorIyEEZZNS1_9scan_implILNS1_25lookback_scan_determinismE0ELb0ELb0ES3_N6thrust23THRUST_200600_302600_NS6detail15normal_iteratorINS9_10device_ptrIyEEEESE_y11max_functorIyEyEEDaPvRmT3_T4_T5_mT6_P12ihipStream_tbENKUlT_T0_E_clISt17integral_constantIbLb0EEST_IbLb1EEEEDaSP_SQ_EUlSP_E0_NS1_11comp_targetILNS1_3genE8ELNS1_11target_archE1030ELNS1_3gpuE2ELNS1_3repE0EEENS1_30default_config_static_selectorELNS0_4arch9wavefront6targetE1EEEvT1_.kd
    .uniform_work_group_size: 1
    .uses_dynamic_stack: false
    .vgpr_count:     0
    .vgpr_spill_count: 0
    .wavefront_size: 64
  - .agpr_count:     0
    .args:
      - .offset:         0
        .size:           104
        .value_kind:     by_value
    .group_segment_fixed_size: 0
    .kernarg_segment_align: 8
    .kernarg_segment_size: 104
    .language:       OpenCL C
    .language_version:
      - 2
      - 0
    .max_flat_workgroup_size: 256
    .name:           _ZN7rocprim17ROCPRIM_400000_NS6detail17trampoline_kernelINS0_14default_configENS1_20scan_config_selectorIyEEZZNS1_9scan_implILNS1_25lookback_scan_determinismE0ELb1ELb1ES3_N6thrust23THRUST_200600_302600_NS6detail15normal_iteratorINS9_10device_ptrIyEEEESE_y11max_functorIyEyEEDaPvRmT3_T4_T5_mT6_P12ihipStream_tbENKUlT_T0_E_clISt17integral_constantIbLb0EESU_EEDaSP_SQ_EUlSP_E_NS1_11comp_targetILNS1_3genE0ELNS1_11target_archE4294967295ELNS1_3gpuE0ELNS1_3repE0EEENS1_30default_config_static_selectorELNS0_4arch9wavefront6targetE1EEEvT1_
    .private_segment_fixed_size: 0
    .sgpr_count:     4
    .sgpr_spill_count: 0
    .symbol:         _ZN7rocprim17ROCPRIM_400000_NS6detail17trampoline_kernelINS0_14default_configENS1_20scan_config_selectorIyEEZZNS1_9scan_implILNS1_25lookback_scan_determinismE0ELb1ELb1ES3_N6thrust23THRUST_200600_302600_NS6detail15normal_iteratorINS9_10device_ptrIyEEEESE_y11max_functorIyEyEEDaPvRmT3_T4_T5_mT6_P12ihipStream_tbENKUlT_T0_E_clISt17integral_constantIbLb0EESU_EEDaSP_SQ_EUlSP_E_NS1_11comp_targetILNS1_3genE0ELNS1_11target_archE4294967295ELNS1_3gpuE0ELNS1_3repE0EEENS1_30default_config_static_selectorELNS0_4arch9wavefront6targetE1EEEvT1_.kd
    .uniform_work_group_size: 1
    .uses_dynamic_stack: false
    .vgpr_count:     0
    .vgpr_spill_count: 0
    .wavefront_size: 64
  - .agpr_count:     0
    .args:
      - .offset:         0
        .size:           104
        .value_kind:     by_value
    .group_segment_fixed_size: 0
    .kernarg_segment_align: 8
    .kernarg_segment_size: 104
    .language:       OpenCL C
    .language_version:
      - 2
      - 0
    .max_flat_workgroup_size: 256
    .name:           _ZN7rocprim17ROCPRIM_400000_NS6detail17trampoline_kernelINS0_14default_configENS1_20scan_config_selectorIyEEZZNS1_9scan_implILNS1_25lookback_scan_determinismE0ELb1ELb1ES3_N6thrust23THRUST_200600_302600_NS6detail15normal_iteratorINS9_10device_ptrIyEEEESE_y11max_functorIyEyEEDaPvRmT3_T4_T5_mT6_P12ihipStream_tbENKUlT_T0_E_clISt17integral_constantIbLb0EESU_EEDaSP_SQ_EUlSP_E_NS1_11comp_targetILNS1_3genE5ELNS1_11target_archE942ELNS1_3gpuE9ELNS1_3repE0EEENS1_30default_config_static_selectorELNS0_4arch9wavefront6targetE1EEEvT1_
    .private_segment_fixed_size: 0
    .sgpr_count:     4
    .sgpr_spill_count: 0
    .symbol:         _ZN7rocprim17ROCPRIM_400000_NS6detail17trampoline_kernelINS0_14default_configENS1_20scan_config_selectorIyEEZZNS1_9scan_implILNS1_25lookback_scan_determinismE0ELb1ELb1ES3_N6thrust23THRUST_200600_302600_NS6detail15normal_iteratorINS9_10device_ptrIyEEEESE_y11max_functorIyEyEEDaPvRmT3_T4_T5_mT6_P12ihipStream_tbENKUlT_T0_E_clISt17integral_constantIbLb0EESU_EEDaSP_SQ_EUlSP_E_NS1_11comp_targetILNS1_3genE5ELNS1_11target_archE942ELNS1_3gpuE9ELNS1_3repE0EEENS1_30default_config_static_selectorELNS0_4arch9wavefront6targetE1EEEvT1_.kd
    .uniform_work_group_size: 1
    .uses_dynamic_stack: false
    .vgpr_count:     0
    .vgpr_spill_count: 0
    .wavefront_size: 64
  - .agpr_count:     0
    .args:
      - .offset:         0
        .size:           104
        .value_kind:     by_value
    .group_segment_fixed_size: 7168
    .kernarg_segment_align: 8
    .kernarg_segment_size: 104
    .language:       OpenCL C
    .language_version:
      - 2
      - 0
    .max_flat_workgroup_size: 128
    .name:           _ZN7rocprim17ROCPRIM_400000_NS6detail17trampoline_kernelINS0_14default_configENS1_20scan_config_selectorIyEEZZNS1_9scan_implILNS1_25lookback_scan_determinismE0ELb1ELb1ES3_N6thrust23THRUST_200600_302600_NS6detail15normal_iteratorINS9_10device_ptrIyEEEESE_y11max_functorIyEyEEDaPvRmT3_T4_T5_mT6_P12ihipStream_tbENKUlT_T0_E_clISt17integral_constantIbLb0EESU_EEDaSP_SQ_EUlSP_E_NS1_11comp_targetILNS1_3genE4ELNS1_11target_archE910ELNS1_3gpuE8ELNS1_3repE0EEENS1_30default_config_static_selectorELNS0_4arch9wavefront6targetE1EEEvT1_
    .private_segment_fixed_size: 0
    .sgpr_count:     39
    .sgpr_spill_count: 0
    .symbol:         _ZN7rocprim17ROCPRIM_400000_NS6detail17trampoline_kernelINS0_14default_configENS1_20scan_config_selectorIyEEZZNS1_9scan_implILNS1_25lookback_scan_determinismE0ELb1ELb1ES3_N6thrust23THRUST_200600_302600_NS6detail15normal_iteratorINS9_10device_ptrIyEEEESE_y11max_functorIyEyEEDaPvRmT3_T4_T5_mT6_P12ihipStream_tbENKUlT_T0_E_clISt17integral_constantIbLb0EESU_EEDaSP_SQ_EUlSP_E_NS1_11comp_targetILNS1_3genE4ELNS1_11target_archE910ELNS1_3gpuE8ELNS1_3repE0EEENS1_30default_config_static_selectorELNS0_4arch9wavefront6targetE1EEEvT1_.kd
    .uniform_work_group_size: 1
    .uses_dynamic_stack: false
    .vgpr_count:     58
    .vgpr_spill_count: 0
    .wavefront_size: 64
  - .agpr_count:     0
    .args:
      - .offset:         0
        .size:           104
        .value_kind:     by_value
    .group_segment_fixed_size: 0
    .kernarg_segment_align: 8
    .kernarg_segment_size: 104
    .language:       OpenCL C
    .language_version:
      - 2
      - 0
    .max_flat_workgroup_size: 256
    .name:           _ZN7rocprim17ROCPRIM_400000_NS6detail17trampoline_kernelINS0_14default_configENS1_20scan_config_selectorIyEEZZNS1_9scan_implILNS1_25lookback_scan_determinismE0ELb1ELb1ES3_N6thrust23THRUST_200600_302600_NS6detail15normal_iteratorINS9_10device_ptrIyEEEESE_y11max_functorIyEyEEDaPvRmT3_T4_T5_mT6_P12ihipStream_tbENKUlT_T0_E_clISt17integral_constantIbLb0EESU_EEDaSP_SQ_EUlSP_E_NS1_11comp_targetILNS1_3genE3ELNS1_11target_archE908ELNS1_3gpuE7ELNS1_3repE0EEENS1_30default_config_static_selectorELNS0_4arch9wavefront6targetE1EEEvT1_
    .private_segment_fixed_size: 0
    .sgpr_count:     4
    .sgpr_spill_count: 0
    .symbol:         _ZN7rocprim17ROCPRIM_400000_NS6detail17trampoline_kernelINS0_14default_configENS1_20scan_config_selectorIyEEZZNS1_9scan_implILNS1_25lookback_scan_determinismE0ELb1ELb1ES3_N6thrust23THRUST_200600_302600_NS6detail15normal_iteratorINS9_10device_ptrIyEEEESE_y11max_functorIyEyEEDaPvRmT3_T4_T5_mT6_P12ihipStream_tbENKUlT_T0_E_clISt17integral_constantIbLb0EESU_EEDaSP_SQ_EUlSP_E_NS1_11comp_targetILNS1_3genE3ELNS1_11target_archE908ELNS1_3gpuE7ELNS1_3repE0EEENS1_30default_config_static_selectorELNS0_4arch9wavefront6targetE1EEEvT1_.kd
    .uniform_work_group_size: 1
    .uses_dynamic_stack: false
    .vgpr_count:     0
    .vgpr_spill_count: 0
    .wavefront_size: 64
  - .agpr_count:     0
    .args:
      - .offset:         0
        .size:           104
        .value_kind:     by_value
    .group_segment_fixed_size: 0
    .kernarg_segment_align: 8
    .kernarg_segment_size: 104
    .language:       OpenCL C
    .language_version:
      - 2
      - 0
    .max_flat_workgroup_size: 64
    .name:           _ZN7rocprim17ROCPRIM_400000_NS6detail17trampoline_kernelINS0_14default_configENS1_20scan_config_selectorIyEEZZNS1_9scan_implILNS1_25lookback_scan_determinismE0ELb1ELb1ES3_N6thrust23THRUST_200600_302600_NS6detail15normal_iteratorINS9_10device_ptrIyEEEESE_y11max_functorIyEyEEDaPvRmT3_T4_T5_mT6_P12ihipStream_tbENKUlT_T0_E_clISt17integral_constantIbLb0EESU_EEDaSP_SQ_EUlSP_E_NS1_11comp_targetILNS1_3genE2ELNS1_11target_archE906ELNS1_3gpuE6ELNS1_3repE0EEENS1_30default_config_static_selectorELNS0_4arch9wavefront6targetE1EEEvT1_
    .private_segment_fixed_size: 0
    .sgpr_count:     4
    .sgpr_spill_count: 0
    .symbol:         _ZN7rocprim17ROCPRIM_400000_NS6detail17trampoline_kernelINS0_14default_configENS1_20scan_config_selectorIyEEZZNS1_9scan_implILNS1_25lookback_scan_determinismE0ELb1ELb1ES3_N6thrust23THRUST_200600_302600_NS6detail15normal_iteratorINS9_10device_ptrIyEEEESE_y11max_functorIyEyEEDaPvRmT3_T4_T5_mT6_P12ihipStream_tbENKUlT_T0_E_clISt17integral_constantIbLb0EESU_EEDaSP_SQ_EUlSP_E_NS1_11comp_targetILNS1_3genE2ELNS1_11target_archE906ELNS1_3gpuE6ELNS1_3repE0EEENS1_30default_config_static_selectorELNS0_4arch9wavefront6targetE1EEEvT1_.kd
    .uniform_work_group_size: 1
    .uses_dynamic_stack: false
    .vgpr_count:     0
    .vgpr_spill_count: 0
    .wavefront_size: 64
  - .agpr_count:     0
    .args:
      - .offset:         0
        .size:           104
        .value_kind:     by_value
    .group_segment_fixed_size: 0
    .kernarg_segment_align: 8
    .kernarg_segment_size: 104
    .language:       OpenCL C
    .language_version:
      - 2
      - 0
    .max_flat_workgroup_size: 256
    .name:           _ZN7rocprim17ROCPRIM_400000_NS6detail17trampoline_kernelINS0_14default_configENS1_20scan_config_selectorIyEEZZNS1_9scan_implILNS1_25lookback_scan_determinismE0ELb1ELb1ES3_N6thrust23THRUST_200600_302600_NS6detail15normal_iteratorINS9_10device_ptrIyEEEESE_y11max_functorIyEyEEDaPvRmT3_T4_T5_mT6_P12ihipStream_tbENKUlT_T0_E_clISt17integral_constantIbLb0EESU_EEDaSP_SQ_EUlSP_E_NS1_11comp_targetILNS1_3genE10ELNS1_11target_archE1201ELNS1_3gpuE5ELNS1_3repE0EEENS1_30default_config_static_selectorELNS0_4arch9wavefront6targetE1EEEvT1_
    .private_segment_fixed_size: 0
    .sgpr_count:     4
    .sgpr_spill_count: 0
    .symbol:         _ZN7rocprim17ROCPRIM_400000_NS6detail17trampoline_kernelINS0_14default_configENS1_20scan_config_selectorIyEEZZNS1_9scan_implILNS1_25lookback_scan_determinismE0ELb1ELb1ES3_N6thrust23THRUST_200600_302600_NS6detail15normal_iteratorINS9_10device_ptrIyEEEESE_y11max_functorIyEyEEDaPvRmT3_T4_T5_mT6_P12ihipStream_tbENKUlT_T0_E_clISt17integral_constantIbLb0EESU_EEDaSP_SQ_EUlSP_E_NS1_11comp_targetILNS1_3genE10ELNS1_11target_archE1201ELNS1_3gpuE5ELNS1_3repE0EEENS1_30default_config_static_selectorELNS0_4arch9wavefront6targetE1EEEvT1_.kd
    .uniform_work_group_size: 1
    .uses_dynamic_stack: false
    .vgpr_count:     0
    .vgpr_spill_count: 0
    .wavefront_size: 64
  - .agpr_count:     0
    .args:
      - .offset:         0
        .size:           104
        .value_kind:     by_value
    .group_segment_fixed_size: 0
    .kernarg_segment_align: 8
    .kernarg_segment_size: 104
    .language:       OpenCL C
    .language_version:
      - 2
      - 0
    .max_flat_workgroup_size: 256
    .name:           _ZN7rocprim17ROCPRIM_400000_NS6detail17trampoline_kernelINS0_14default_configENS1_20scan_config_selectorIyEEZZNS1_9scan_implILNS1_25lookback_scan_determinismE0ELb1ELb1ES3_N6thrust23THRUST_200600_302600_NS6detail15normal_iteratorINS9_10device_ptrIyEEEESE_y11max_functorIyEyEEDaPvRmT3_T4_T5_mT6_P12ihipStream_tbENKUlT_T0_E_clISt17integral_constantIbLb0EESU_EEDaSP_SQ_EUlSP_E_NS1_11comp_targetILNS1_3genE10ELNS1_11target_archE1200ELNS1_3gpuE4ELNS1_3repE0EEENS1_30default_config_static_selectorELNS0_4arch9wavefront6targetE1EEEvT1_
    .private_segment_fixed_size: 0
    .sgpr_count:     4
    .sgpr_spill_count: 0
    .symbol:         _ZN7rocprim17ROCPRIM_400000_NS6detail17trampoline_kernelINS0_14default_configENS1_20scan_config_selectorIyEEZZNS1_9scan_implILNS1_25lookback_scan_determinismE0ELb1ELb1ES3_N6thrust23THRUST_200600_302600_NS6detail15normal_iteratorINS9_10device_ptrIyEEEESE_y11max_functorIyEyEEDaPvRmT3_T4_T5_mT6_P12ihipStream_tbENKUlT_T0_E_clISt17integral_constantIbLb0EESU_EEDaSP_SQ_EUlSP_E_NS1_11comp_targetILNS1_3genE10ELNS1_11target_archE1200ELNS1_3gpuE4ELNS1_3repE0EEENS1_30default_config_static_selectorELNS0_4arch9wavefront6targetE1EEEvT1_.kd
    .uniform_work_group_size: 1
    .uses_dynamic_stack: false
    .vgpr_count:     0
    .vgpr_spill_count: 0
    .wavefront_size: 64
  - .agpr_count:     0
    .args:
      - .offset:         0
        .size:           104
        .value_kind:     by_value
    .group_segment_fixed_size: 0
    .kernarg_segment_align: 8
    .kernarg_segment_size: 104
    .language:       OpenCL C
    .language_version:
      - 2
      - 0
    .max_flat_workgroup_size: 256
    .name:           _ZN7rocprim17ROCPRIM_400000_NS6detail17trampoline_kernelINS0_14default_configENS1_20scan_config_selectorIyEEZZNS1_9scan_implILNS1_25lookback_scan_determinismE0ELb1ELb1ES3_N6thrust23THRUST_200600_302600_NS6detail15normal_iteratorINS9_10device_ptrIyEEEESE_y11max_functorIyEyEEDaPvRmT3_T4_T5_mT6_P12ihipStream_tbENKUlT_T0_E_clISt17integral_constantIbLb0EESU_EEDaSP_SQ_EUlSP_E_NS1_11comp_targetILNS1_3genE9ELNS1_11target_archE1100ELNS1_3gpuE3ELNS1_3repE0EEENS1_30default_config_static_selectorELNS0_4arch9wavefront6targetE1EEEvT1_
    .private_segment_fixed_size: 0
    .sgpr_count:     4
    .sgpr_spill_count: 0
    .symbol:         _ZN7rocprim17ROCPRIM_400000_NS6detail17trampoline_kernelINS0_14default_configENS1_20scan_config_selectorIyEEZZNS1_9scan_implILNS1_25lookback_scan_determinismE0ELb1ELb1ES3_N6thrust23THRUST_200600_302600_NS6detail15normal_iteratorINS9_10device_ptrIyEEEESE_y11max_functorIyEyEEDaPvRmT3_T4_T5_mT6_P12ihipStream_tbENKUlT_T0_E_clISt17integral_constantIbLb0EESU_EEDaSP_SQ_EUlSP_E_NS1_11comp_targetILNS1_3genE9ELNS1_11target_archE1100ELNS1_3gpuE3ELNS1_3repE0EEENS1_30default_config_static_selectorELNS0_4arch9wavefront6targetE1EEEvT1_.kd
    .uniform_work_group_size: 1
    .uses_dynamic_stack: false
    .vgpr_count:     0
    .vgpr_spill_count: 0
    .wavefront_size: 64
  - .agpr_count:     0
    .args:
      - .offset:         0
        .size:           104
        .value_kind:     by_value
    .group_segment_fixed_size: 0
    .kernarg_segment_align: 8
    .kernarg_segment_size: 104
    .language:       OpenCL C
    .language_version:
      - 2
      - 0
    .max_flat_workgroup_size: 256
    .name:           _ZN7rocprim17ROCPRIM_400000_NS6detail17trampoline_kernelINS0_14default_configENS1_20scan_config_selectorIyEEZZNS1_9scan_implILNS1_25lookback_scan_determinismE0ELb1ELb1ES3_N6thrust23THRUST_200600_302600_NS6detail15normal_iteratorINS9_10device_ptrIyEEEESE_y11max_functorIyEyEEDaPvRmT3_T4_T5_mT6_P12ihipStream_tbENKUlT_T0_E_clISt17integral_constantIbLb0EESU_EEDaSP_SQ_EUlSP_E_NS1_11comp_targetILNS1_3genE8ELNS1_11target_archE1030ELNS1_3gpuE2ELNS1_3repE0EEENS1_30default_config_static_selectorELNS0_4arch9wavefront6targetE1EEEvT1_
    .private_segment_fixed_size: 0
    .sgpr_count:     4
    .sgpr_spill_count: 0
    .symbol:         _ZN7rocprim17ROCPRIM_400000_NS6detail17trampoline_kernelINS0_14default_configENS1_20scan_config_selectorIyEEZZNS1_9scan_implILNS1_25lookback_scan_determinismE0ELb1ELb1ES3_N6thrust23THRUST_200600_302600_NS6detail15normal_iteratorINS9_10device_ptrIyEEEESE_y11max_functorIyEyEEDaPvRmT3_T4_T5_mT6_P12ihipStream_tbENKUlT_T0_E_clISt17integral_constantIbLb0EESU_EEDaSP_SQ_EUlSP_E_NS1_11comp_targetILNS1_3genE8ELNS1_11target_archE1030ELNS1_3gpuE2ELNS1_3repE0EEENS1_30default_config_static_selectorELNS0_4arch9wavefront6targetE1EEEvT1_.kd
    .uniform_work_group_size: 1
    .uses_dynamic_stack: false
    .vgpr_count:     0
    .vgpr_spill_count: 0
    .wavefront_size: 64
  - .agpr_count:     0
    .args:
      - .offset:         0
        .size:           40
        .value_kind:     by_value
    .group_segment_fixed_size: 0
    .kernarg_segment_align: 8
    .kernarg_segment_size: 40
    .language:       OpenCL C
    .language_version:
      - 2
      - 0
    .max_flat_workgroup_size: 256
    .name:           _ZN7rocprim17ROCPRIM_400000_NS6detail17trampoline_kernelINS0_14default_configENS1_20scan_config_selectorIyEEZZNS1_9scan_implILNS1_25lookback_scan_determinismE0ELb1ELb1ES3_N6thrust23THRUST_200600_302600_NS6detail15normal_iteratorINS9_10device_ptrIyEEEESE_y11max_functorIyEyEEDaPvRmT3_T4_T5_mT6_P12ihipStream_tbENKUlT_T0_E_clISt17integral_constantIbLb0EESU_EEDaSP_SQ_EUlSP_E0_NS1_11comp_targetILNS1_3genE0ELNS1_11target_archE4294967295ELNS1_3gpuE0ELNS1_3repE0EEENS1_30default_config_static_selectorELNS0_4arch9wavefront6targetE1EEEvT1_
    .private_segment_fixed_size: 0
    .sgpr_count:     4
    .sgpr_spill_count: 0
    .symbol:         _ZN7rocprim17ROCPRIM_400000_NS6detail17trampoline_kernelINS0_14default_configENS1_20scan_config_selectorIyEEZZNS1_9scan_implILNS1_25lookback_scan_determinismE0ELb1ELb1ES3_N6thrust23THRUST_200600_302600_NS6detail15normal_iteratorINS9_10device_ptrIyEEEESE_y11max_functorIyEyEEDaPvRmT3_T4_T5_mT6_P12ihipStream_tbENKUlT_T0_E_clISt17integral_constantIbLb0EESU_EEDaSP_SQ_EUlSP_E0_NS1_11comp_targetILNS1_3genE0ELNS1_11target_archE4294967295ELNS1_3gpuE0ELNS1_3repE0EEENS1_30default_config_static_selectorELNS0_4arch9wavefront6targetE1EEEvT1_.kd
    .uniform_work_group_size: 1
    .uses_dynamic_stack: false
    .vgpr_count:     0
    .vgpr_spill_count: 0
    .wavefront_size: 64
  - .agpr_count:     0
    .args:
      - .offset:         0
        .size:           40
        .value_kind:     by_value
    .group_segment_fixed_size: 0
    .kernarg_segment_align: 8
    .kernarg_segment_size: 40
    .language:       OpenCL C
    .language_version:
      - 2
      - 0
    .max_flat_workgroup_size: 256
    .name:           _ZN7rocprim17ROCPRIM_400000_NS6detail17trampoline_kernelINS0_14default_configENS1_20scan_config_selectorIyEEZZNS1_9scan_implILNS1_25lookback_scan_determinismE0ELb1ELb1ES3_N6thrust23THRUST_200600_302600_NS6detail15normal_iteratorINS9_10device_ptrIyEEEESE_y11max_functorIyEyEEDaPvRmT3_T4_T5_mT6_P12ihipStream_tbENKUlT_T0_E_clISt17integral_constantIbLb0EESU_EEDaSP_SQ_EUlSP_E0_NS1_11comp_targetILNS1_3genE5ELNS1_11target_archE942ELNS1_3gpuE9ELNS1_3repE0EEENS1_30default_config_static_selectorELNS0_4arch9wavefront6targetE1EEEvT1_
    .private_segment_fixed_size: 0
    .sgpr_count:     4
    .sgpr_spill_count: 0
    .symbol:         _ZN7rocprim17ROCPRIM_400000_NS6detail17trampoline_kernelINS0_14default_configENS1_20scan_config_selectorIyEEZZNS1_9scan_implILNS1_25lookback_scan_determinismE0ELb1ELb1ES3_N6thrust23THRUST_200600_302600_NS6detail15normal_iteratorINS9_10device_ptrIyEEEESE_y11max_functorIyEyEEDaPvRmT3_T4_T5_mT6_P12ihipStream_tbENKUlT_T0_E_clISt17integral_constantIbLb0EESU_EEDaSP_SQ_EUlSP_E0_NS1_11comp_targetILNS1_3genE5ELNS1_11target_archE942ELNS1_3gpuE9ELNS1_3repE0EEENS1_30default_config_static_selectorELNS0_4arch9wavefront6targetE1EEEvT1_.kd
    .uniform_work_group_size: 1
    .uses_dynamic_stack: false
    .vgpr_count:     0
    .vgpr_spill_count: 0
    .wavefront_size: 64
  - .agpr_count:     0
    .args:
      - .offset:         0
        .size:           40
        .value_kind:     by_value
    .group_segment_fixed_size: 7168
    .kernarg_segment_align: 8
    .kernarg_segment_size: 40
    .language:       OpenCL C
    .language_version:
      - 2
      - 0
    .max_flat_workgroup_size: 128
    .name:           _ZN7rocprim17ROCPRIM_400000_NS6detail17trampoline_kernelINS0_14default_configENS1_20scan_config_selectorIyEEZZNS1_9scan_implILNS1_25lookback_scan_determinismE0ELb1ELb1ES3_N6thrust23THRUST_200600_302600_NS6detail15normal_iteratorINS9_10device_ptrIyEEEESE_y11max_functorIyEyEEDaPvRmT3_T4_T5_mT6_P12ihipStream_tbENKUlT_T0_E_clISt17integral_constantIbLb0EESU_EEDaSP_SQ_EUlSP_E0_NS1_11comp_targetILNS1_3genE4ELNS1_11target_archE910ELNS1_3gpuE8ELNS1_3repE0EEENS1_30default_config_static_selectorELNS0_4arch9wavefront6targetE1EEEvT1_
    .private_segment_fixed_size: 0
    .sgpr_count:     28
    .sgpr_spill_count: 0
    .symbol:         _ZN7rocprim17ROCPRIM_400000_NS6detail17trampoline_kernelINS0_14default_configENS1_20scan_config_selectorIyEEZZNS1_9scan_implILNS1_25lookback_scan_determinismE0ELb1ELb1ES3_N6thrust23THRUST_200600_302600_NS6detail15normal_iteratorINS9_10device_ptrIyEEEESE_y11max_functorIyEyEEDaPvRmT3_T4_T5_mT6_P12ihipStream_tbENKUlT_T0_E_clISt17integral_constantIbLb0EESU_EEDaSP_SQ_EUlSP_E0_NS1_11comp_targetILNS1_3genE4ELNS1_11target_archE910ELNS1_3gpuE8ELNS1_3repE0EEENS1_30default_config_static_selectorELNS0_4arch9wavefront6targetE1EEEvT1_.kd
    .uniform_work_group_size: 1
    .uses_dynamic_stack: false
    .vgpr_count:     30
    .vgpr_spill_count: 0
    .wavefront_size: 64
  - .agpr_count:     0
    .args:
      - .offset:         0
        .size:           40
        .value_kind:     by_value
    .group_segment_fixed_size: 0
    .kernarg_segment_align: 8
    .kernarg_segment_size: 40
    .language:       OpenCL C
    .language_version:
      - 2
      - 0
    .max_flat_workgroup_size: 256
    .name:           _ZN7rocprim17ROCPRIM_400000_NS6detail17trampoline_kernelINS0_14default_configENS1_20scan_config_selectorIyEEZZNS1_9scan_implILNS1_25lookback_scan_determinismE0ELb1ELb1ES3_N6thrust23THRUST_200600_302600_NS6detail15normal_iteratorINS9_10device_ptrIyEEEESE_y11max_functorIyEyEEDaPvRmT3_T4_T5_mT6_P12ihipStream_tbENKUlT_T0_E_clISt17integral_constantIbLb0EESU_EEDaSP_SQ_EUlSP_E0_NS1_11comp_targetILNS1_3genE3ELNS1_11target_archE908ELNS1_3gpuE7ELNS1_3repE0EEENS1_30default_config_static_selectorELNS0_4arch9wavefront6targetE1EEEvT1_
    .private_segment_fixed_size: 0
    .sgpr_count:     4
    .sgpr_spill_count: 0
    .symbol:         _ZN7rocprim17ROCPRIM_400000_NS6detail17trampoline_kernelINS0_14default_configENS1_20scan_config_selectorIyEEZZNS1_9scan_implILNS1_25lookback_scan_determinismE0ELb1ELb1ES3_N6thrust23THRUST_200600_302600_NS6detail15normal_iteratorINS9_10device_ptrIyEEEESE_y11max_functorIyEyEEDaPvRmT3_T4_T5_mT6_P12ihipStream_tbENKUlT_T0_E_clISt17integral_constantIbLb0EESU_EEDaSP_SQ_EUlSP_E0_NS1_11comp_targetILNS1_3genE3ELNS1_11target_archE908ELNS1_3gpuE7ELNS1_3repE0EEENS1_30default_config_static_selectorELNS0_4arch9wavefront6targetE1EEEvT1_.kd
    .uniform_work_group_size: 1
    .uses_dynamic_stack: false
    .vgpr_count:     0
    .vgpr_spill_count: 0
    .wavefront_size: 64
  - .agpr_count:     0
    .args:
      - .offset:         0
        .size:           40
        .value_kind:     by_value
    .group_segment_fixed_size: 0
    .kernarg_segment_align: 8
    .kernarg_segment_size: 40
    .language:       OpenCL C
    .language_version:
      - 2
      - 0
    .max_flat_workgroup_size: 64
    .name:           _ZN7rocprim17ROCPRIM_400000_NS6detail17trampoline_kernelINS0_14default_configENS1_20scan_config_selectorIyEEZZNS1_9scan_implILNS1_25lookback_scan_determinismE0ELb1ELb1ES3_N6thrust23THRUST_200600_302600_NS6detail15normal_iteratorINS9_10device_ptrIyEEEESE_y11max_functorIyEyEEDaPvRmT3_T4_T5_mT6_P12ihipStream_tbENKUlT_T0_E_clISt17integral_constantIbLb0EESU_EEDaSP_SQ_EUlSP_E0_NS1_11comp_targetILNS1_3genE2ELNS1_11target_archE906ELNS1_3gpuE6ELNS1_3repE0EEENS1_30default_config_static_selectorELNS0_4arch9wavefront6targetE1EEEvT1_
    .private_segment_fixed_size: 0
    .sgpr_count:     4
    .sgpr_spill_count: 0
    .symbol:         _ZN7rocprim17ROCPRIM_400000_NS6detail17trampoline_kernelINS0_14default_configENS1_20scan_config_selectorIyEEZZNS1_9scan_implILNS1_25lookback_scan_determinismE0ELb1ELb1ES3_N6thrust23THRUST_200600_302600_NS6detail15normal_iteratorINS9_10device_ptrIyEEEESE_y11max_functorIyEyEEDaPvRmT3_T4_T5_mT6_P12ihipStream_tbENKUlT_T0_E_clISt17integral_constantIbLb0EESU_EEDaSP_SQ_EUlSP_E0_NS1_11comp_targetILNS1_3genE2ELNS1_11target_archE906ELNS1_3gpuE6ELNS1_3repE0EEENS1_30default_config_static_selectorELNS0_4arch9wavefront6targetE1EEEvT1_.kd
    .uniform_work_group_size: 1
    .uses_dynamic_stack: false
    .vgpr_count:     0
    .vgpr_spill_count: 0
    .wavefront_size: 64
  - .agpr_count:     0
    .args:
      - .offset:         0
        .size:           40
        .value_kind:     by_value
    .group_segment_fixed_size: 0
    .kernarg_segment_align: 8
    .kernarg_segment_size: 40
    .language:       OpenCL C
    .language_version:
      - 2
      - 0
    .max_flat_workgroup_size: 256
    .name:           _ZN7rocprim17ROCPRIM_400000_NS6detail17trampoline_kernelINS0_14default_configENS1_20scan_config_selectorIyEEZZNS1_9scan_implILNS1_25lookback_scan_determinismE0ELb1ELb1ES3_N6thrust23THRUST_200600_302600_NS6detail15normal_iteratorINS9_10device_ptrIyEEEESE_y11max_functorIyEyEEDaPvRmT3_T4_T5_mT6_P12ihipStream_tbENKUlT_T0_E_clISt17integral_constantIbLb0EESU_EEDaSP_SQ_EUlSP_E0_NS1_11comp_targetILNS1_3genE10ELNS1_11target_archE1201ELNS1_3gpuE5ELNS1_3repE0EEENS1_30default_config_static_selectorELNS0_4arch9wavefront6targetE1EEEvT1_
    .private_segment_fixed_size: 0
    .sgpr_count:     4
    .sgpr_spill_count: 0
    .symbol:         _ZN7rocprim17ROCPRIM_400000_NS6detail17trampoline_kernelINS0_14default_configENS1_20scan_config_selectorIyEEZZNS1_9scan_implILNS1_25lookback_scan_determinismE0ELb1ELb1ES3_N6thrust23THRUST_200600_302600_NS6detail15normal_iteratorINS9_10device_ptrIyEEEESE_y11max_functorIyEyEEDaPvRmT3_T4_T5_mT6_P12ihipStream_tbENKUlT_T0_E_clISt17integral_constantIbLb0EESU_EEDaSP_SQ_EUlSP_E0_NS1_11comp_targetILNS1_3genE10ELNS1_11target_archE1201ELNS1_3gpuE5ELNS1_3repE0EEENS1_30default_config_static_selectorELNS0_4arch9wavefront6targetE1EEEvT1_.kd
    .uniform_work_group_size: 1
    .uses_dynamic_stack: false
    .vgpr_count:     0
    .vgpr_spill_count: 0
    .wavefront_size: 64
  - .agpr_count:     0
    .args:
      - .offset:         0
        .size:           40
        .value_kind:     by_value
    .group_segment_fixed_size: 0
    .kernarg_segment_align: 8
    .kernarg_segment_size: 40
    .language:       OpenCL C
    .language_version:
      - 2
      - 0
    .max_flat_workgroup_size: 256
    .name:           _ZN7rocprim17ROCPRIM_400000_NS6detail17trampoline_kernelINS0_14default_configENS1_20scan_config_selectorIyEEZZNS1_9scan_implILNS1_25lookback_scan_determinismE0ELb1ELb1ES3_N6thrust23THRUST_200600_302600_NS6detail15normal_iteratorINS9_10device_ptrIyEEEESE_y11max_functorIyEyEEDaPvRmT3_T4_T5_mT6_P12ihipStream_tbENKUlT_T0_E_clISt17integral_constantIbLb0EESU_EEDaSP_SQ_EUlSP_E0_NS1_11comp_targetILNS1_3genE10ELNS1_11target_archE1200ELNS1_3gpuE4ELNS1_3repE0EEENS1_30default_config_static_selectorELNS0_4arch9wavefront6targetE1EEEvT1_
    .private_segment_fixed_size: 0
    .sgpr_count:     4
    .sgpr_spill_count: 0
    .symbol:         _ZN7rocprim17ROCPRIM_400000_NS6detail17trampoline_kernelINS0_14default_configENS1_20scan_config_selectorIyEEZZNS1_9scan_implILNS1_25lookback_scan_determinismE0ELb1ELb1ES3_N6thrust23THRUST_200600_302600_NS6detail15normal_iteratorINS9_10device_ptrIyEEEESE_y11max_functorIyEyEEDaPvRmT3_T4_T5_mT6_P12ihipStream_tbENKUlT_T0_E_clISt17integral_constantIbLb0EESU_EEDaSP_SQ_EUlSP_E0_NS1_11comp_targetILNS1_3genE10ELNS1_11target_archE1200ELNS1_3gpuE4ELNS1_3repE0EEENS1_30default_config_static_selectorELNS0_4arch9wavefront6targetE1EEEvT1_.kd
    .uniform_work_group_size: 1
    .uses_dynamic_stack: false
    .vgpr_count:     0
    .vgpr_spill_count: 0
    .wavefront_size: 64
  - .agpr_count:     0
    .args:
      - .offset:         0
        .size:           40
        .value_kind:     by_value
    .group_segment_fixed_size: 0
    .kernarg_segment_align: 8
    .kernarg_segment_size: 40
    .language:       OpenCL C
    .language_version:
      - 2
      - 0
    .max_flat_workgroup_size: 256
    .name:           _ZN7rocprim17ROCPRIM_400000_NS6detail17trampoline_kernelINS0_14default_configENS1_20scan_config_selectorIyEEZZNS1_9scan_implILNS1_25lookback_scan_determinismE0ELb1ELb1ES3_N6thrust23THRUST_200600_302600_NS6detail15normal_iteratorINS9_10device_ptrIyEEEESE_y11max_functorIyEyEEDaPvRmT3_T4_T5_mT6_P12ihipStream_tbENKUlT_T0_E_clISt17integral_constantIbLb0EESU_EEDaSP_SQ_EUlSP_E0_NS1_11comp_targetILNS1_3genE9ELNS1_11target_archE1100ELNS1_3gpuE3ELNS1_3repE0EEENS1_30default_config_static_selectorELNS0_4arch9wavefront6targetE1EEEvT1_
    .private_segment_fixed_size: 0
    .sgpr_count:     4
    .sgpr_spill_count: 0
    .symbol:         _ZN7rocprim17ROCPRIM_400000_NS6detail17trampoline_kernelINS0_14default_configENS1_20scan_config_selectorIyEEZZNS1_9scan_implILNS1_25lookback_scan_determinismE0ELb1ELb1ES3_N6thrust23THRUST_200600_302600_NS6detail15normal_iteratorINS9_10device_ptrIyEEEESE_y11max_functorIyEyEEDaPvRmT3_T4_T5_mT6_P12ihipStream_tbENKUlT_T0_E_clISt17integral_constantIbLb0EESU_EEDaSP_SQ_EUlSP_E0_NS1_11comp_targetILNS1_3genE9ELNS1_11target_archE1100ELNS1_3gpuE3ELNS1_3repE0EEENS1_30default_config_static_selectorELNS0_4arch9wavefront6targetE1EEEvT1_.kd
    .uniform_work_group_size: 1
    .uses_dynamic_stack: false
    .vgpr_count:     0
    .vgpr_spill_count: 0
    .wavefront_size: 64
  - .agpr_count:     0
    .args:
      - .offset:         0
        .size:           40
        .value_kind:     by_value
    .group_segment_fixed_size: 0
    .kernarg_segment_align: 8
    .kernarg_segment_size: 40
    .language:       OpenCL C
    .language_version:
      - 2
      - 0
    .max_flat_workgroup_size: 256
    .name:           _ZN7rocprim17ROCPRIM_400000_NS6detail17trampoline_kernelINS0_14default_configENS1_20scan_config_selectorIyEEZZNS1_9scan_implILNS1_25lookback_scan_determinismE0ELb1ELb1ES3_N6thrust23THRUST_200600_302600_NS6detail15normal_iteratorINS9_10device_ptrIyEEEESE_y11max_functorIyEyEEDaPvRmT3_T4_T5_mT6_P12ihipStream_tbENKUlT_T0_E_clISt17integral_constantIbLb0EESU_EEDaSP_SQ_EUlSP_E0_NS1_11comp_targetILNS1_3genE8ELNS1_11target_archE1030ELNS1_3gpuE2ELNS1_3repE0EEENS1_30default_config_static_selectorELNS0_4arch9wavefront6targetE1EEEvT1_
    .private_segment_fixed_size: 0
    .sgpr_count:     4
    .sgpr_spill_count: 0
    .symbol:         _ZN7rocprim17ROCPRIM_400000_NS6detail17trampoline_kernelINS0_14default_configENS1_20scan_config_selectorIyEEZZNS1_9scan_implILNS1_25lookback_scan_determinismE0ELb1ELb1ES3_N6thrust23THRUST_200600_302600_NS6detail15normal_iteratorINS9_10device_ptrIyEEEESE_y11max_functorIyEyEEDaPvRmT3_T4_T5_mT6_P12ihipStream_tbENKUlT_T0_E_clISt17integral_constantIbLb0EESU_EEDaSP_SQ_EUlSP_E0_NS1_11comp_targetILNS1_3genE8ELNS1_11target_archE1030ELNS1_3gpuE2ELNS1_3repE0EEENS1_30default_config_static_selectorELNS0_4arch9wavefront6targetE1EEEvT1_.kd
    .uniform_work_group_size: 1
    .uses_dynamic_stack: false
    .vgpr_count:     0
    .vgpr_spill_count: 0
    .wavefront_size: 64
  - .agpr_count:     0
    .args:
      - .offset:         0
        .size:           104
        .value_kind:     by_value
    .group_segment_fixed_size: 0
    .kernarg_segment_align: 8
    .kernarg_segment_size: 104
    .language:       OpenCL C
    .language_version:
      - 2
      - 0
    .max_flat_workgroup_size: 256
    .name:           _ZN7rocprim17ROCPRIM_400000_NS6detail17trampoline_kernelINS0_14default_configENS1_20scan_config_selectorIyEEZZNS1_9scan_implILNS1_25lookback_scan_determinismE0ELb1ELb1ES3_N6thrust23THRUST_200600_302600_NS6detail15normal_iteratorINS9_10device_ptrIyEEEESE_y11max_functorIyEyEEDaPvRmT3_T4_T5_mT6_P12ihipStream_tbENKUlT_T0_E_clISt17integral_constantIbLb1EESU_EEDaSP_SQ_EUlSP_E_NS1_11comp_targetILNS1_3genE0ELNS1_11target_archE4294967295ELNS1_3gpuE0ELNS1_3repE0EEENS1_30default_config_static_selectorELNS0_4arch9wavefront6targetE1EEEvT1_
    .private_segment_fixed_size: 0
    .sgpr_count:     4
    .sgpr_spill_count: 0
    .symbol:         _ZN7rocprim17ROCPRIM_400000_NS6detail17trampoline_kernelINS0_14default_configENS1_20scan_config_selectorIyEEZZNS1_9scan_implILNS1_25lookback_scan_determinismE0ELb1ELb1ES3_N6thrust23THRUST_200600_302600_NS6detail15normal_iteratorINS9_10device_ptrIyEEEESE_y11max_functorIyEyEEDaPvRmT3_T4_T5_mT6_P12ihipStream_tbENKUlT_T0_E_clISt17integral_constantIbLb1EESU_EEDaSP_SQ_EUlSP_E_NS1_11comp_targetILNS1_3genE0ELNS1_11target_archE4294967295ELNS1_3gpuE0ELNS1_3repE0EEENS1_30default_config_static_selectorELNS0_4arch9wavefront6targetE1EEEvT1_.kd
    .uniform_work_group_size: 1
    .uses_dynamic_stack: false
    .vgpr_count:     0
    .vgpr_spill_count: 0
    .wavefront_size: 64
  - .agpr_count:     0
    .args:
      - .offset:         0
        .size:           104
        .value_kind:     by_value
    .group_segment_fixed_size: 0
    .kernarg_segment_align: 8
    .kernarg_segment_size: 104
    .language:       OpenCL C
    .language_version:
      - 2
      - 0
    .max_flat_workgroup_size: 256
    .name:           _ZN7rocprim17ROCPRIM_400000_NS6detail17trampoline_kernelINS0_14default_configENS1_20scan_config_selectorIyEEZZNS1_9scan_implILNS1_25lookback_scan_determinismE0ELb1ELb1ES3_N6thrust23THRUST_200600_302600_NS6detail15normal_iteratorINS9_10device_ptrIyEEEESE_y11max_functorIyEyEEDaPvRmT3_T4_T5_mT6_P12ihipStream_tbENKUlT_T0_E_clISt17integral_constantIbLb1EESU_EEDaSP_SQ_EUlSP_E_NS1_11comp_targetILNS1_3genE5ELNS1_11target_archE942ELNS1_3gpuE9ELNS1_3repE0EEENS1_30default_config_static_selectorELNS0_4arch9wavefront6targetE1EEEvT1_
    .private_segment_fixed_size: 0
    .sgpr_count:     4
    .sgpr_spill_count: 0
    .symbol:         _ZN7rocprim17ROCPRIM_400000_NS6detail17trampoline_kernelINS0_14default_configENS1_20scan_config_selectorIyEEZZNS1_9scan_implILNS1_25lookback_scan_determinismE0ELb1ELb1ES3_N6thrust23THRUST_200600_302600_NS6detail15normal_iteratorINS9_10device_ptrIyEEEESE_y11max_functorIyEyEEDaPvRmT3_T4_T5_mT6_P12ihipStream_tbENKUlT_T0_E_clISt17integral_constantIbLb1EESU_EEDaSP_SQ_EUlSP_E_NS1_11comp_targetILNS1_3genE5ELNS1_11target_archE942ELNS1_3gpuE9ELNS1_3repE0EEENS1_30default_config_static_selectorELNS0_4arch9wavefront6targetE1EEEvT1_.kd
    .uniform_work_group_size: 1
    .uses_dynamic_stack: false
    .vgpr_count:     0
    .vgpr_spill_count: 0
    .wavefront_size: 64
  - .agpr_count:     0
    .args:
      - .offset:         0
        .size:           104
        .value_kind:     by_value
    .group_segment_fixed_size: 7168
    .kernarg_segment_align: 8
    .kernarg_segment_size: 104
    .language:       OpenCL C
    .language_version:
      - 2
      - 0
    .max_flat_workgroup_size: 128
    .name:           _ZN7rocprim17ROCPRIM_400000_NS6detail17trampoline_kernelINS0_14default_configENS1_20scan_config_selectorIyEEZZNS1_9scan_implILNS1_25lookback_scan_determinismE0ELb1ELb1ES3_N6thrust23THRUST_200600_302600_NS6detail15normal_iteratorINS9_10device_ptrIyEEEESE_y11max_functorIyEyEEDaPvRmT3_T4_T5_mT6_P12ihipStream_tbENKUlT_T0_E_clISt17integral_constantIbLb1EESU_EEDaSP_SQ_EUlSP_E_NS1_11comp_targetILNS1_3genE4ELNS1_11target_archE910ELNS1_3gpuE8ELNS1_3repE0EEENS1_30default_config_static_selectorELNS0_4arch9wavefront6targetE1EEEvT1_
    .private_segment_fixed_size: 0
    .sgpr_count:     46
    .sgpr_spill_count: 0
    .symbol:         _ZN7rocprim17ROCPRIM_400000_NS6detail17trampoline_kernelINS0_14default_configENS1_20scan_config_selectorIyEEZZNS1_9scan_implILNS1_25lookback_scan_determinismE0ELb1ELb1ES3_N6thrust23THRUST_200600_302600_NS6detail15normal_iteratorINS9_10device_ptrIyEEEESE_y11max_functorIyEyEEDaPvRmT3_T4_T5_mT6_P12ihipStream_tbENKUlT_T0_E_clISt17integral_constantIbLb1EESU_EEDaSP_SQ_EUlSP_E_NS1_11comp_targetILNS1_3genE4ELNS1_11target_archE910ELNS1_3gpuE8ELNS1_3repE0EEENS1_30default_config_static_selectorELNS0_4arch9wavefront6targetE1EEEvT1_.kd
    .uniform_work_group_size: 1
    .uses_dynamic_stack: false
    .vgpr_count:     58
    .vgpr_spill_count: 0
    .wavefront_size: 64
  - .agpr_count:     0
    .args:
      - .offset:         0
        .size:           104
        .value_kind:     by_value
    .group_segment_fixed_size: 0
    .kernarg_segment_align: 8
    .kernarg_segment_size: 104
    .language:       OpenCL C
    .language_version:
      - 2
      - 0
    .max_flat_workgroup_size: 256
    .name:           _ZN7rocprim17ROCPRIM_400000_NS6detail17trampoline_kernelINS0_14default_configENS1_20scan_config_selectorIyEEZZNS1_9scan_implILNS1_25lookback_scan_determinismE0ELb1ELb1ES3_N6thrust23THRUST_200600_302600_NS6detail15normal_iteratorINS9_10device_ptrIyEEEESE_y11max_functorIyEyEEDaPvRmT3_T4_T5_mT6_P12ihipStream_tbENKUlT_T0_E_clISt17integral_constantIbLb1EESU_EEDaSP_SQ_EUlSP_E_NS1_11comp_targetILNS1_3genE3ELNS1_11target_archE908ELNS1_3gpuE7ELNS1_3repE0EEENS1_30default_config_static_selectorELNS0_4arch9wavefront6targetE1EEEvT1_
    .private_segment_fixed_size: 0
    .sgpr_count:     4
    .sgpr_spill_count: 0
    .symbol:         _ZN7rocprim17ROCPRIM_400000_NS6detail17trampoline_kernelINS0_14default_configENS1_20scan_config_selectorIyEEZZNS1_9scan_implILNS1_25lookback_scan_determinismE0ELb1ELb1ES3_N6thrust23THRUST_200600_302600_NS6detail15normal_iteratorINS9_10device_ptrIyEEEESE_y11max_functorIyEyEEDaPvRmT3_T4_T5_mT6_P12ihipStream_tbENKUlT_T0_E_clISt17integral_constantIbLb1EESU_EEDaSP_SQ_EUlSP_E_NS1_11comp_targetILNS1_3genE3ELNS1_11target_archE908ELNS1_3gpuE7ELNS1_3repE0EEENS1_30default_config_static_selectorELNS0_4arch9wavefront6targetE1EEEvT1_.kd
    .uniform_work_group_size: 1
    .uses_dynamic_stack: false
    .vgpr_count:     0
    .vgpr_spill_count: 0
    .wavefront_size: 64
  - .agpr_count:     0
    .args:
      - .offset:         0
        .size:           104
        .value_kind:     by_value
    .group_segment_fixed_size: 0
    .kernarg_segment_align: 8
    .kernarg_segment_size: 104
    .language:       OpenCL C
    .language_version:
      - 2
      - 0
    .max_flat_workgroup_size: 64
    .name:           _ZN7rocprim17ROCPRIM_400000_NS6detail17trampoline_kernelINS0_14default_configENS1_20scan_config_selectorIyEEZZNS1_9scan_implILNS1_25lookback_scan_determinismE0ELb1ELb1ES3_N6thrust23THRUST_200600_302600_NS6detail15normal_iteratorINS9_10device_ptrIyEEEESE_y11max_functorIyEyEEDaPvRmT3_T4_T5_mT6_P12ihipStream_tbENKUlT_T0_E_clISt17integral_constantIbLb1EESU_EEDaSP_SQ_EUlSP_E_NS1_11comp_targetILNS1_3genE2ELNS1_11target_archE906ELNS1_3gpuE6ELNS1_3repE0EEENS1_30default_config_static_selectorELNS0_4arch9wavefront6targetE1EEEvT1_
    .private_segment_fixed_size: 0
    .sgpr_count:     4
    .sgpr_spill_count: 0
    .symbol:         _ZN7rocprim17ROCPRIM_400000_NS6detail17trampoline_kernelINS0_14default_configENS1_20scan_config_selectorIyEEZZNS1_9scan_implILNS1_25lookback_scan_determinismE0ELb1ELb1ES3_N6thrust23THRUST_200600_302600_NS6detail15normal_iteratorINS9_10device_ptrIyEEEESE_y11max_functorIyEyEEDaPvRmT3_T4_T5_mT6_P12ihipStream_tbENKUlT_T0_E_clISt17integral_constantIbLb1EESU_EEDaSP_SQ_EUlSP_E_NS1_11comp_targetILNS1_3genE2ELNS1_11target_archE906ELNS1_3gpuE6ELNS1_3repE0EEENS1_30default_config_static_selectorELNS0_4arch9wavefront6targetE1EEEvT1_.kd
    .uniform_work_group_size: 1
    .uses_dynamic_stack: false
    .vgpr_count:     0
    .vgpr_spill_count: 0
    .wavefront_size: 64
  - .agpr_count:     0
    .args:
      - .offset:         0
        .size:           104
        .value_kind:     by_value
    .group_segment_fixed_size: 0
    .kernarg_segment_align: 8
    .kernarg_segment_size: 104
    .language:       OpenCL C
    .language_version:
      - 2
      - 0
    .max_flat_workgroup_size: 256
    .name:           _ZN7rocprim17ROCPRIM_400000_NS6detail17trampoline_kernelINS0_14default_configENS1_20scan_config_selectorIyEEZZNS1_9scan_implILNS1_25lookback_scan_determinismE0ELb1ELb1ES3_N6thrust23THRUST_200600_302600_NS6detail15normal_iteratorINS9_10device_ptrIyEEEESE_y11max_functorIyEyEEDaPvRmT3_T4_T5_mT6_P12ihipStream_tbENKUlT_T0_E_clISt17integral_constantIbLb1EESU_EEDaSP_SQ_EUlSP_E_NS1_11comp_targetILNS1_3genE10ELNS1_11target_archE1201ELNS1_3gpuE5ELNS1_3repE0EEENS1_30default_config_static_selectorELNS0_4arch9wavefront6targetE1EEEvT1_
    .private_segment_fixed_size: 0
    .sgpr_count:     4
    .sgpr_spill_count: 0
    .symbol:         _ZN7rocprim17ROCPRIM_400000_NS6detail17trampoline_kernelINS0_14default_configENS1_20scan_config_selectorIyEEZZNS1_9scan_implILNS1_25lookback_scan_determinismE0ELb1ELb1ES3_N6thrust23THRUST_200600_302600_NS6detail15normal_iteratorINS9_10device_ptrIyEEEESE_y11max_functorIyEyEEDaPvRmT3_T4_T5_mT6_P12ihipStream_tbENKUlT_T0_E_clISt17integral_constantIbLb1EESU_EEDaSP_SQ_EUlSP_E_NS1_11comp_targetILNS1_3genE10ELNS1_11target_archE1201ELNS1_3gpuE5ELNS1_3repE0EEENS1_30default_config_static_selectorELNS0_4arch9wavefront6targetE1EEEvT1_.kd
    .uniform_work_group_size: 1
    .uses_dynamic_stack: false
    .vgpr_count:     0
    .vgpr_spill_count: 0
    .wavefront_size: 64
  - .agpr_count:     0
    .args:
      - .offset:         0
        .size:           104
        .value_kind:     by_value
    .group_segment_fixed_size: 0
    .kernarg_segment_align: 8
    .kernarg_segment_size: 104
    .language:       OpenCL C
    .language_version:
      - 2
      - 0
    .max_flat_workgroup_size: 256
    .name:           _ZN7rocprim17ROCPRIM_400000_NS6detail17trampoline_kernelINS0_14default_configENS1_20scan_config_selectorIyEEZZNS1_9scan_implILNS1_25lookback_scan_determinismE0ELb1ELb1ES3_N6thrust23THRUST_200600_302600_NS6detail15normal_iteratorINS9_10device_ptrIyEEEESE_y11max_functorIyEyEEDaPvRmT3_T4_T5_mT6_P12ihipStream_tbENKUlT_T0_E_clISt17integral_constantIbLb1EESU_EEDaSP_SQ_EUlSP_E_NS1_11comp_targetILNS1_3genE10ELNS1_11target_archE1200ELNS1_3gpuE4ELNS1_3repE0EEENS1_30default_config_static_selectorELNS0_4arch9wavefront6targetE1EEEvT1_
    .private_segment_fixed_size: 0
    .sgpr_count:     4
    .sgpr_spill_count: 0
    .symbol:         _ZN7rocprim17ROCPRIM_400000_NS6detail17trampoline_kernelINS0_14default_configENS1_20scan_config_selectorIyEEZZNS1_9scan_implILNS1_25lookback_scan_determinismE0ELb1ELb1ES3_N6thrust23THRUST_200600_302600_NS6detail15normal_iteratorINS9_10device_ptrIyEEEESE_y11max_functorIyEyEEDaPvRmT3_T4_T5_mT6_P12ihipStream_tbENKUlT_T0_E_clISt17integral_constantIbLb1EESU_EEDaSP_SQ_EUlSP_E_NS1_11comp_targetILNS1_3genE10ELNS1_11target_archE1200ELNS1_3gpuE4ELNS1_3repE0EEENS1_30default_config_static_selectorELNS0_4arch9wavefront6targetE1EEEvT1_.kd
    .uniform_work_group_size: 1
    .uses_dynamic_stack: false
    .vgpr_count:     0
    .vgpr_spill_count: 0
    .wavefront_size: 64
  - .agpr_count:     0
    .args:
      - .offset:         0
        .size:           104
        .value_kind:     by_value
    .group_segment_fixed_size: 0
    .kernarg_segment_align: 8
    .kernarg_segment_size: 104
    .language:       OpenCL C
    .language_version:
      - 2
      - 0
    .max_flat_workgroup_size: 256
    .name:           _ZN7rocprim17ROCPRIM_400000_NS6detail17trampoline_kernelINS0_14default_configENS1_20scan_config_selectorIyEEZZNS1_9scan_implILNS1_25lookback_scan_determinismE0ELb1ELb1ES3_N6thrust23THRUST_200600_302600_NS6detail15normal_iteratorINS9_10device_ptrIyEEEESE_y11max_functorIyEyEEDaPvRmT3_T4_T5_mT6_P12ihipStream_tbENKUlT_T0_E_clISt17integral_constantIbLb1EESU_EEDaSP_SQ_EUlSP_E_NS1_11comp_targetILNS1_3genE9ELNS1_11target_archE1100ELNS1_3gpuE3ELNS1_3repE0EEENS1_30default_config_static_selectorELNS0_4arch9wavefront6targetE1EEEvT1_
    .private_segment_fixed_size: 0
    .sgpr_count:     4
    .sgpr_spill_count: 0
    .symbol:         _ZN7rocprim17ROCPRIM_400000_NS6detail17trampoline_kernelINS0_14default_configENS1_20scan_config_selectorIyEEZZNS1_9scan_implILNS1_25lookback_scan_determinismE0ELb1ELb1ES3_N6thrust23THRUST_200600_302600_NS6detail15normal_iteratorINS9_10device_ptrIyEEEESE_y11max_functorIyEyEEDaPvRmT3_T4_T5_mT6_P12ihipStream_tbENKUlT_T0_E_clISt17integral_constantIbLb1EESU_EEDaSP_SQ_EUlSP_E_NS1_11comp_targetILNS1_3genE9ELNS1_11target_archE1100ELNS1_3gpuE3ELNS1_3repE0EEENS1_30default_config_static_selectorELNS0_4arch9wavefront6targetE1EEEvT1_.kd
    .uniform_work_group_size: 1
    .uses_dynamic_stack: false
    .vgpr_count:     0
    .vgpr_spill_count: 0
    .wavefront_size: 64
  - .agpr_count:     0
    .args:
      - .offset:         0
        .size:           104
        .value_kind:     by_value
    .group_segment_fixed_size: 0
    .kernarg_segment_align: 8
    .kernarg_segment_size: 104
    .language:       OpenCL C
    .language_version:
      - 2
      - 0
    .max_flat_workgroup_size: 256
    .name:           _ZN7rocprim17ROCPRIM_400000_NS6detail17trampoline_kernelINS0_14default_configENS1_20scan_config_selectorIyEEZZNS1_9scan_implILNS1_25lookback_scan_determinismE0ELb1ELb1ES3_N6thrust23THRUST_200600_302600_NS6detail15normal_iteratorINS9_10device_ptrIyEEEESE_y11max_functorIyEyEEDaPvRmT3_T4_T5_mT6_P12ihipStream_tbENKUlT_T0_E_clISt17integral_constantIbLb1EESU_EEDaSP_SQ_EUlSP_E_NS1_11comp_targetILNS1_3genE8ELNS1_11target_archE1030ELNS1_3gpuE2ELNS1_3repE0EEENS1_30default_config_static_selectorELNS0_4arch9wavefront6targetE1EEEvT1_
    .private_segment_fixed_size: 0
    .sgpr_count:     4
    .sgpr_spill_count: 0
    .symbol:         _ZN7rocprim17ROCPRIM_400000_NS6detail17trampoline_kernelINS0_14default_configENS1_20scan_config_selectorIyEEZZNS1_9scan_implILNS1_25lookback_scan_determinismE0ELb1ELb1ES3_N6thrust23THRUST_200600_302600_NS6detail15normal_iteratorINS9_10device_ptrIyEEEESE_y11max_functorIyEyEEDaPvRmT3_T4_T5_mT6_P12ihipStream_tbENKUlT_T0_E_clISt17integral_constantIbLb1EESU_EEDaSP_SQ_EUlSP_E_NS1_11comp_targetILNS1_3genE8ELNS1_11target_archE1030ELNS1_3gpuE2ELNS1_3repE0EEENS1_30default_config_static_selectorELNS0_4arch9wavefront6targetE1EEEvT1_.kd
    .uniform_work_group_size: 1
    .uses_dynamic_stack: false
    .vgpr_count:     0
    .vgpr_spill_count: 0
    .wavefront_size: 64
  - .agpr_count:     0
    .args:
      - .offset:         0
        .size:           40
        .value_kind:     by_value
    .group_segment_fixed_size: 0
    .kernarg_segment_align: 8
    .kernarg_segment_size: 40
    .language:       OpenCL C
    .language_version:
      - 2
      - 0
    .max_flat_workgroup_size: 256
    .name:           _ZN7rocprim17ROCPRIM_400000_NS6detail17trampoline_kernelINS0_14default_configENS1_20scan_config_selectorIyEEZZNS1_9scan_implILNS1_25lookback_scan_determinismE0ELb1ELb1ES3_N6thrust23THRUST_200600_302600_NS6detail15normal_iteratorINS9_10device_ptrIyEEEESE_y11max_functorIyEyEEDaPvRmT3_T4_T5_mT6_P12ihipStream_tbENKUlT_T0_E_clISt17integral_constantIbLb1EESU_EEDaSP_SQ_EUlSP_E0_NS1_11comp_targetILNS1_3genE0ELNS1_11target_archE4294967295ELNS1_3gpuE0ELNS1_3repE0EEENS1_30default_config_static_selectorELNS0_4arch9wavefront6targetE1EEEvT1_
    .private_segment_fixed_size: 0
    .sgpr_count:     4
    .sgpr_spill_count: 0
    .symbol:         _ZN7rocprim17ROCPRIM_400000_NS6detail17trampoline_kernelINS0_14default_configENS1_20scan_config_selectorIyEEZZNS1_9scan_implILNS1_25lookback_scan_determinismE0ELb1ELb1ES3_N6thrust23THRUST_200600_302600_NS6detail15normal_iteratorINS9_10device_ptrIyEEEESE_y11max_functorIyEyEEDaPvRmT3_T4_T5_mT6_P12ihipStream_tbENKUlT_T0_E_clISt17integral_constantIbLb1EESU_EEDaSP_SQ_EUlSP_E0_NS1_11comp_targetILNS1_3genE0ELNS1_11target_archE4294967295ELNS1_3gpuE0ELNS1_3repE0EEENS1_30default_config_static_selectorELNS0_4arch9wavefront6targetE1EEEvT1_.kd
    .uniform_work_group_size: 1
    .uses_dynamic_stack: false
    .vgpr_count:     0
    .vgpr_spill_count: 0
    .wavefront_size: 64
  - .agpr_count:     0
    .args:
      - .offset:         0
        .size:           40
        .value_kind:     by_value
    .group_segment_fixed_size: 0
    .kernarg_segment_align: 8
    .kernarg_segment_size: 40
    .language:       OpenCL C
    .language_version:
      - 2
      - 0
    .max_flat_workgroup_size: 256
    .name:           _ZN7rocprim17ROCPRIM_400000_NS6detail17trampoline_kernelINS0_14default_configENS1_20scan_config_selectorIyEEZZNS1_9scan_implILNS1_25lookback_scan_determinismE0ELb1ELb1ES3_N6thrust23THRUST_200600_302600_NS6detail15normal_iteratorINS9_10device_ptrIyEEEESE_y11max_functorIyEyEEDaPvRmT3_T4_T5_mT6_P12ihipStream_tbENKUlT_T0_E_clISt17integral_constantIbLb1EESU_EEDaSP_SQ_EUlSP_E0_NS1_11comp_targetILNS1_3genE5ELNS1_11target_archE942ELNS1_3gpuE9ELNS1_3repE0EEENS1_30default_config_static_selectorELNS0_4arch9wavefront6targetE1EEEvT1_
    .private_segment_fixed_size: 0
    .sgpr_count:     4
    .sgpr_spill_count: 0
    .symbol:         _ZN7rocprim17ROCPRIM_400000_NS6detail17trampoline_kernelINS0_14default_configENS1_20scan_config_selectorIyEEZZNS1_9scan_implILNS1_25lookback_scan_determinismE0ELb1ELb1ES3_N6thrust23THRUST_200600_302600_NS6detail15normal_iteratorINS9_10device_ptrIyEEEESE_y11max_functorIyEyEEDaPvRmT3_T4_T5_mT6_P12ihipStream_tbENKUlT_T0_E_clISt17integral_constantIbLb1EESU_EEDaSP_SQ_EUlSP_E0_NS1_11comp_targetILNS1_3genE5ELNS1_11target_archE942ELNS1_3gpuE9ELNS1_3repE0EEENS1_30default_config_static_selectorELNS0_4arch9wavefront6targetE1EEEvT1_.kd
    .uniform_work_group_size: 1
    .uses_dynamic_stack: false
    .vgpr_count:     0
    .vgpr_spill_count: 0
    .wavefront_size: 64
  - .agpr_count:     0
    .args:
      - .offset:         0
        .size:           40
        .value_kind:     by_value
    .group_segment_fixed_size: 7168
    .kernarg_segment_align: 8
    .kernarg_segment_size: 40
    .language:       OpenCL C
    .language_version:
      - 2
      - 0
    .max_flat_workgroup_size: 128
    .name:           _ZN7rocprim17ROCPRIM_400000_NS6detail17trampoline_kernelINS0_14default_configENS1_20scan_config_selectorIyEEZZNS1_9scan_implILNS1_25lookback_scan_determinismE0ELb1ELb1ES3_N6thrust23THRUST_200600_302600_NS6detail15normal_iteratorINS9_10device_ptrIyEEEESE_y11max_functorIyEyEEDaPvRmT3_T4_T5_mT6_P12ihipStream_tbENKUlT_T0_E_clISt17integral_constantIbLb1EESU_EEDaSP_SQ_EUlSP_E0_NS1_11comp_targetILNS1_3genE4ELNS1_11target_archE910ELNS1_3gpuE8ELNS1_3repE0EEENS1_30default_config_static_selectorELNS0_4arch9wavefront6targetE1EEEvT1_
    .private_segment_fixed_size: 0
    .sgpr_count:     28
    .sgpr_spill_count: 0
    .symbol:         _ZN7rocprim17ROCPRIM_400000_NS6detail17trampoline_kernelINS0_14default_configENS1_20scan_config_selectorIyEEZZNS1_9scan_implILNS1_25lookback_scan_determinismE0ELb1ELb1ES3_N6thrust23THRUST_200600_302600_NS6detail15normal_iteratorINS9_10device_ptrIyEEEESE_y11max_functorIyEyEEDaPvRmT3_T4_T5_mT6_P12ihipStream_tbENKUlT_T0_E_clISt17integral_constantIbLb1EESU_EEDaSP_SQ_EUlSP_E0_NS1_11comp_targetILNS1_3genE4ELNS1_11target_archE910ELNS1_3gpuE8ELNS1_3repE0EEENS1_30default_config_static_selectorELNS0_4arch9wavefront6targetE1EEEvT1_.kd
    .uniform_work_group_size: 1
    .uses_dynamic_stack: false
    .vgpr_count:     30
    .vgpr_spill_count: 0
    .wavefront_size: 64
  - .agpr_count:     0
    .args:
      - .offset:         0
        .size:           40
        .value_kind:     by_value
    .group_segment_fixed_size: 0
    .kernarg_segment_align: 8
    .kernarg_segment_size: 40
    .language:       OpenCL C
    .language_version:
      - 2
      - 0
    .max_flat_workgroup_size: 256
    .name:           _ZN7rocprim17ROCPRIM_400000_NS6detail17trampoline_kernelINS0_14default_configENS1_20scan_config_selectorIyEEZZNS1_9scan_implILNS1_25lookback_scan_determinismE0ELb1ELb1ES3_N6thrust23THRUST_200600_302600_NS6detail15normal_iteratorINS9_10device_ptrIyEEEESE_y11max_functorIyEyEEDaPvRmT3_T4_T5_mT6_P12ihipStream_tbENKUlT_T0_E_clISt17integral_constantIbLb1EESU_EEDaSP_SQ_EUlSP_E0_NS1_11comp_targetILNS1_3genE3ELNS1_11target_archE908ELNS1_3gpuE7ELNS1_3repE0EEENS1_30default_config_static_selectorELNS0_4arch9wavefront6targetE1EEEvT1_
    .private_segment_fixed_size: 0
    .sgpr_count:     4
    .sgpr_spill_count: 0
    .symbol:         _ZN7rocprim17ROCPRIM_400000_NS6detail17trampoline_kernelINS0_14default_configENS1_20scan_config_selectorIyEEZZNS1_9scan_implILNS1_25lookback_scan_determinismE0ELb1ELb1ES3_N6thrust23THRUST_200600_302600_NS6detail15normal_iteratorINS9_10device_ptrIyEEEESE_y11max_functorIyEyEEDaPvRmT3_T4_T5_mT6_P12ihipStream_tbENKUlT_T0_E_clISt17integral_constantIbLb1EESU_EEDaSP_SQ_EUlSP_E0_NS1_11comp_targetILNS1_3genE3ELNS1_11target_archE908ELNS1_3gpuE7ELNS1_3repE0EEENS1_30default_config_static_selectorELNS0_4arch9wavefront6targetE1EEEvT1_.kd
    .uniform_work_group_size: 1
    .uses_dynamic_stack: false
    .vgpr_count:     0
    .vgpr_spill_count: 0
    .wavefront_size: 64
  - .agpr_count:     0
    .args:
      - .offset:         0
        .size:           40
        .value_kind:     by_value
    .group_segment_fixed_size: 0
    .kernarg_segment_align: 8
    .kernarg_segment_size: 40
    .language:       OpenCL C
    .language_version:
      - 2
      - 0
    .max_flat_workgroup_size: 64
    .name:           _ZN7rocprim17ROCPRIM_400000_NS6detail17trampoline_kernelINS0_14default_configENS1_20scan_config_selectorIyEEZZNS1_9scan_implILNS1_25lookback_scan_determinismE0ELb1ELb1ES3_N6thrust23THRUST_200600_302600_NS6detail15normal_iteratorINS9_10device_ptrIyEEEESE_y11max_functorIyEyEEDaPvRmT3_T4_T5_mT6_P12ihipStream_tbENKUlT_T0_E_clISt17integral_constantIbLb1EESU_EEDaSP_SQ_EUlSP_E0_NS1_11comp_targetILNS1_3genE2ELNS1_11target_archE906ELNS1_3gpuE6ELNS1_3repE0EEENS1_30default_config_static_selectorELNS0_4arch9wavefront6targetE1EEEvT1_
    .private_segment_fixed_size: 0
    .sgpr_count:     4
    .sgpr_spill_count: 0
    .symbol:         _ZN7rocprim17ROCPRIM_400000_NS6detail17trampoline_kernelINS0_14default_configENS1_20scan_config_selectorIyEEZZNS1_9scan_implILNS1_25lookback_scan_determinismE0ELb1ELb1ES3_N6thrust23THRUST_200600_302600_NS6detail15normal_iteratorINS9_10device_ptrIyEEEESE_y11max_functorIyEyEEDaPvRmT3_T4_T5_mT6_P12ihipStream_tbENKUlT_T0_E_clISt17integral_constantIbLb1EESU_EEDaSP_SQ_EUlSP_E0_NS1_11comp_targetILNS1_3genE2ELNS1_11target_archE906ELNS1_3gpuE6ELNS1_3repE0EEENS1_30default_config_static_selectorELNS0_4arch9wavefront6targetE1EEEvT1_.kd
    .uniform_work_group_size: 1
    .uses_dynamic_stack: false
    .vgpr_count:     0
    .vgpr_spill_count: 0
    .wavefront_size: 64
  - .agpr_count:     0
    .args:
      - .offset:         0
        .size:           40
        .value_kind:     by_value
    .group_segment_fixed_size: 0
    .kernarg_segment_align: 8
    .kernarg_segment_size: 40
    .language:       OpenCL C
    .language_version:
      - 2
      - 0
    .max_flat_workgroup_size: 256
    .name:           _ZN7rocprim17ROCPRIM_400000_NS6detail17trampoline_kernelINS0_14default_configENS1_20scan_config_selectorIyEEZZNS1_9scan_implILNS1_25lookback_scan_determinismE0ELb1ELb1ES3_N6thrust23THRUST_200600_302600_NS6detail15normal_iteratorINS9_10device_ptrIyEEEESE_y11max_functorIyEyEEDaPvRmT3_T4_T5_mT6_P12ihipStream_tbENKUlT_T0_E_clISt17integral_constantIbLb1EESU_EEDaSP_SQ_EUlSP_E0_NS1_11comp_targetILNS1_3genE10ELNS1_11target_archE1201ELNS1_3gpuE5ELNS1_3repE0EEENS1_30default_config_static_selectorELNS0_4arch9wavefront6targetE1EEEvT1_
    .private_segment_fixed_size: 0
    .sgpr_count:     4
    .sgpr_spill_count: 0
    .symbol:         _ZN7rocprim17ROCPRIM_400000_NS6detail17trampoline_kernelINS0_14default_configENS1_20scan_config_selectorIyEEZZNS1_9scan_implILNS1_25lookback_scan_determinismE0ELb1ELb1ES3_N6thrust23THRUST_200600_302600_NS6detail15normal_iteratorINS9_10device_ptrIyEEEESE_y11max_functorIyEyEEDaPvRmT3_T4_T5_mT6_P12ihipStream_tbENKUlT_T0_E_clISt17integral_constantIbLb1EESU_EEDaSP_SQ_EUlSP_E0_NS1_11comp_targetILNS1_3genE10ELNS1_11target_archE1201ELNS1_3gpuE5ELNS1_3repE0EEENS1_30default_config_static_selectorELNS0_4arch9wavefront6targetE1EEEvT1_.kd
    .uniform_work_group_size: 1
    .uses_dynamic_stack: false
    .vgpr_count:     0
    .vgpr_spill_count: 0
    .wavefront_size: 64
  - .agpr_count:     0
    .args:
      - .offset:         0
        .size:           40
        .value_kind:     by_value
    .group_segment_fixed_size: 0
    .kernarg_segment_align: 8
    .kernarg_segment_size: 40
    .language:       OpenCL C
    .language_version:
      - 2
      - 0
    .max_flat_workgroup_size: 256
    .name:           _ZN7rocprim17ROCPRIM_400000_NS6detail17trampoline_kernelINS0_14default_configENS1_20scan_config_selectorIyEEZZNS1_9scan_implILNS1_25lookback_scan_determinismE0ELb1ELb1ES3_N6thrust23THRUST_200600_302600_NS6detail15normal_iteratorINS9_10device_ptrIyEEEESE_y11max_functorIyEyEEDaPvRmT3_T4_T5_mT6_P12ihipStream_tbENKUlT_T0_E_clISt17integral_constantIbLb1EESU_EEDaSP_SQ_EUlSP_E0_NS1_11comp_targetILNS1_3genE10ELNS1_11target_archE1200ELNS1_3gpuE4ELNS1_3repE0EEENS1_30default_config_static_selectorELNS0_4arch9wavefront6targetE1EEEvT1_
    .private_segment_fixed_size: 0
    .sgpr_count:     4
    .sgpr_spill_count: 0
    .symbol:         _ZN7rocprim17ROCPRIM_400000_NS6detail17trampoline_kernelINS0_14default_configENS1_20scan_config_selectorIyEEZZNS1_9scan_implILNS1_25lookback_scan_determinismE0ELb1ELb1ES3_N6thrust23THRUST_200600_302600_NS6detail15normal_iteratorINS9_10device_ptrIyEEEESE_y11max_functorIyEyEEDaPvRmT3_T4_T5_mT6_P12ihipStream_tbENKUlT_T0_E_clISt17integral_constantIbLb1EESU_EEDaSP_SQ_EUlSP_E0_NS1_11comp_targetILNS1_3genE10ELNS1_11target_archE1200ELNS1_3gpuE4ELNS1_3repE0EEENS1_30default_config_static_selectorELNS0_4arch9wavefront6targetE1EEEvT1_.kd
    .uniform_work_group_size: 1
    .uses_dynamic_stack: false
    .vgpr_count:     0
    .vgpr_spill_count: 0
    .wavefront_size: 64
  - .agpr_count:     0
    .args:
      - .offset:         0
        .size:           40
        .value_kind:     by_value
    .group_segment_fixed_size: 0
    .kernarg_segment_align: 8
    .kernarg_segment_size: 40
    .language:       OpenCL C
    .language_version:
      - 2
      - 0
    .max_flat_workgroup_size: 256
    .name:           _ZN7rocprim17ROCPRIM_400000_NS6detail17trampoline_kernelINS0_14default_configENS1_20scan_config_selectorIyEEZZNS1_9scan_implILNS1_25lookback_scan_determinismE0ELb1ELb1ES3_N6thrust23THRUST_200600_302600_NS6detail15normal_iteratorINS9_10device_ptrIyEEEESE_y11max_functorIyEyEEDaPvRmT3_T4_T5_mT6_P12ihipStream_tbENKUlT_T0_E_clISt17integral_constantIbLb1EESU_EEDaSP_SQ_EUlSP_E0_NS1_11comp_targetILNS1_3genE9ELNS1_11target_archE1100ELNS1_3gpuE3ELNS1_3repE0EEENS1_30default_config_static_selectorELNS0_4arch9wavefront6targetE1EEEvT1_
    .private_segment_fixed_size: 0
    .sgpr_count:     4
    .sgpr_spill_count: 0
    .symbol:         _ZN7rocprim17ROCPRIM_400000_NS6detail17trampoline_kernelINS0_14default_configENS1_20scan_config_selectorIyEEZZNS1_9scan_implILNS1_25lookback_scan_determinismE0ELb1ELb1ES3_N6thrust23THRUST_200600_302600_NS6detail15normal_iteratorINS9_10device_ptrIyEEEESE_y11max_functorIyEyEEDaPvRmT3_T4_T5_mT6_P12ihipStream_tbENKUlT_T0_E_clISt17integral_constantIbLb1EESU_EEDaSP_SQ_EUlSP_E0_NS1_11comp_targetILNS1_3genE9ELNS1_11target_archE1100ELNS1_3gpuE3ELNS1_3repE0EEENS1_30default_config_static_selectorELNS0_4arch9wavefront6targetE1EEEvT1_.kd
    .uniform_work_group_size: 1
    .uses_dynamic_stack: false
    .vgpr_count:     0
    .vgpr_spill_count: 0
    .wavefront_size: 64
  - .agpr_count:     0
    .args:
      - .offset:         0
        .size:           40
        .value_kind:     by_value
    .group_segment_fixed_size: 0
    .kernarg_segment_align: 8
    .kernarg_segment_size: 40
    .language:       OpenCL C
    .language_version:
      - 2
      - 0
    .max_flat_workgroup_size: 256
    .name:           _ZN7rocprim17ROCPRIM_400000_NS6detail17trampoline_kernelINS0_14default_configENS1_20scan_config_selectorIyEEZZNS1_9scan_implILNS1_25lookback_scan_determinismE0ELb1ELb1ES3_N6thrust23THRUST_200600_302600_NS6detail15normal_iteratorINS9_10device_ptrIyEEEESE_y11max_functorIyEyEEDaPvRmT3_T4_T5_mT6_P12ihipStream_tbENKUlT_T0_E_clISt17integral_constantIbLb1EESU_EEDaSP_SQ_EUlSP_E0_NS1_11comp_targetILNS1_3genE8ELNS1_11target_archE1030ELNS1_3gpuE2ELNS1_3repE0EEENS1_30default_config_static_selectorELNS0_4arch9wavefront6targetE1EEEvT1_
    .private_segment_fixed_size: 0
    .sgpr_count:     4
    .sgpr_spill_count: 0
    .symbol:         _ZN7rocprim17ROCPRIM_400000_NS6detail17trampoline_kernelINS0_14default_configENS1_20scan_config_selectorIyEEZZNS1_9scan_implILNS1_25lookback_scan_determinismE0ELb1ELb1ES3_N6thrust23THRUST_200600_302600_NS6detail15normal_iteratorINS9_10device_ptrIyEEEESE_y11max_functorIyEyEEDaPvRmT3_T4_T5_mT6_P12ihipStream_tbENKUlT_T0_E_clISt17integral_constantIbLb1EESU_EEDaSP_SQ_EUlSP_E0_NS1_11comp_targetILNS1_3genE8ELNS1_11target_archE1030ELNS1_3gpuE2ELNS1_3repE0EEENS1_30default_config_static_selectorELNS0_4arch9wavefront6targetE1EEEvT1_.kd
    .uniform_work_group_size: 1
    .uses_dynamic_stack: false
    .vgpr_count:     0
    .vgpr_spill_count: 0
    .wavefront_size: 64
  - .agpr_count:     0
    .args:
      - .offset:         0
        .size:           104
        .value_kind:     by_value
    .group_segment_fixed_size: 0
    .kernarg_segment_align: 8
    .kernarg_segment_size: 104
    .language:       OpenCL C
    .language_version:
      - 2
      - 0
    .max_flat_workgroup_size: 256
    .name:           _ZN7rocprim17ROCPRIM_400000_NS6detail17trampoline_kernelINS0_14default_configENS1_20scan_config_selectorIyEEZZNS1_9scan_implILNS1_25lookback_scan_determinismE0ELb1ELb1ES3_N6thrust23THRUST_200600_302600_NS6detail15normal_iteratorINS9_10device_ptrIyEEEESE_y11max_functorIyEyEEDaPvRmT3_T4_T5_mT6_P12ihipStream_tbENKUlT_T0_E_clISt17integral_constantIbLb1EEST_IbLb0EEEEDaSP_SQ_EUlSP_E_NS1_11comp_targetILNS1_3genE0ELNS1_11target_archE4294967295ELNS1_3gpuE0ELNS1_3repE0EEENS1_30default_config_static_selectorELNS0_4arch9wavefront6targetE1EEEvT1_
    .private_segment_fixed_size: 0
    .sgpr_count:     4
    .sgpr_spill_count: 0
    .symbol:         _ZN7rocprim17ROCPRIM_400000_NS6detail17trampoline_kernelINS0_14default_configENS1_20scan_config_selectorIyEEZZNS1_9scan_implILNS1_25lookback_scan_determinismE0ELb1ELb1ES3_N6thrust23THRUST_200600_302600_NS6detail15normal_iteratorINS9_10device_ptrIyEEEESE_y11max_functorIyEyEEDaPvRmT3_T4_T5_mT6_P12ihipStream_tbENKUlT_T0_E_clISt17integral_constantIbLb1EEST_IbLb0EEEEDaSP_SQ_EUlSP_E_NS1_11comp_targetILNS1_3genE0ELNS1_11target_archE4294967295ELNS1_3gpuE0ELNS1_3repE0EEENS1_30default_config_static_selectorELNS0_4arch9wavefront6targetE1EEEvT1_.kd
    .uniform_work_group_size: 1
    .uses_dynamic_stack: false
    .vgpr_count:     0
    .vgpr_spill_count: 0
    .wavefront_size: 64
  - .agpr_count:     0
    .args:
      - .offset:         0
        .size:           104
        .value_kind:     by_value
    .group_segment_fixed_size: 0
    .kernarg_segment_align: 8
    .kernarg_segment_size: 104
    .language:       OpenCL C
    .language_version:
      - 2
      - 0
    .max_flat_workgroup_size: 256
    .name:           _ZN7rocprim17ROCPRIM_400000_NS6detail17trampoline_kernelINS0_14default_configENS1_20scan_config_selectorIyEEZZNS1_9scan_implILNS1_25lookback_scan_determinismE0ELb1ELb1ES3_N6thrust23THRUST_200600_302600_NS6detail15normal_iteratorINS9_10device_ptrIyEEEESE_y11max_functorIyEyEEDaPvRmT3_T4_T5_mT6_P12ihipStream_tbENKUlT_T0_E_clISt17integral_constantIbLb1EEST_IbLb0EEEEDaSP_SQ_EUlSP_E_NS1_11comp_targetILNS1_3genE5ELNS1_11target_archE942ELNS1_3gpuE9ELNS1_3repE0EEENS1_30default_config_static_selectorELNS0_4arch9wavefront6targetE1EEEvT1_
    .private_segment_fixed_size: 0
    .sgpr_count:     4
    .sgpr_spill_count: 0
    .symbol:         _ZN7rocprim17ROCPRIM_400000_NS6detail17trampoline_kernelINS0_14default_configENS1_20scan_config_selectorIyEEZZNS1_9scan_implILNS1_25lookback_scan_determinismE0ELb1ELb1ES3_N6thrust23THRUST_200600_302600_NS6detail15normal_iteratorINS9_10device_ptrIyEEEESE_y11max_functorIyEyEEDaPvRmT3_T4_T5_mT6_P12ihipStream_tbENKUlT_T0_E_clISt17integral_constantIbLb1EEST_IbLb0EEEEDaSP_SQ_EUlSP_E_NS1_11comp_targetILNS1_3genE5ELNS1_11target_archE942ELNS1_3gpuE9ELNS1_3repE0EEENS1_30default_config_static_selectorELNS0_4arch9wavefront6targetE1EEEvT1_.kd
    .uniform_work_group_size: 1
    .uses_dynamic_stack: false
    .vgpr_count:     0
    .vgpr_spill_count: 0
    .wavefront_size: 64
  - .agpr_count:     0
    .args:
      - .offset:         0
        .size:           104
        .value_kind:     by_value
    .group_segment_fixed_size: 7168
    .kernarg_segment_align: 8
    .kernarg_segment_size: 104
    .language:       OpenCL C
    .language_version:
      - 2
      - 0
    .max_flat_workgroup_size: 128
    .name:           _ZN7rocprim17ROCPRIM_400000_NS6detail17trampoline_kernelINS0_14default_configENS1_20scan_config_selectorIyEEZZNS1_9scan_implILNS1_25lookback_scan_determinismE0ELb1ELb1ES3_N6thrust23THRUST_200600_302600_NS6detail15normal_iteratorINS9_10device_ptrIyEEEESE_y11max_functorIyEyEEDaPvRmT3_T4_T5_mT6_P12ihipStream_tbENKUlT_T0_E_clISt17integral_constantIbLb1EEST_IbLb0EEEEDaSP_SQ_EUlSP_E_NS1_11comp_targetILNS1_3genE4ELNS1_11target_archE910ELNS1_3gpuE8ELNS1_3repE0EEENS1_30default_config_static_selectorELNS0_4arch9wavefront6targetE1EEEvT1_
    .private_segment_fixed_size: 0
    .sgpr_count:     39
    .sgpr_spill_count: 0
    .symbol:         _ZN7rocprim17ROCPRIM_400000_NS6detail17trampoline_kernelINS0_14default_configENS1_20scan_config_selectorIyEEZZNS1_9scan_implILNS1_25lookback_scan_determinismE0ELb1ELb1ES3_N6thrust23THRUST_200600_302600_NS6detail15normal_iteratorINS9_10device_ptrIyEEEESE_y11max_functorIyEyEEDaPvRmT3_T4_T5_mT6_P12ihipStream_tbENKUlT_T0_E_clISt17integral_constantIbLb1EEST_IbLb0EEEEDaSP_SQ_EUlSP_E_NS1_11comp_targetILNS1_3genE4ELNS1_11target_archE910ELNS1_3gpuE8ELNS1_3repE0EEENS1_30default_config_static_selectorELNS0_4arch9wavefront6targetE1EEEvT1_.kd
    .uniform_work_group_size: 1
    .uses_dynamic_stack: false
    .vgpr_count:     58
    .vgpr_spill_count: 0
    .wavefront_size: 64
  - .agpr_count:     0
    .args:
      - .offset:         0
        .size:           104
        .value_kind:     by_value
    .group_segment_fixed_size: 0
    .kernarg_segment_align: 8
    .kernarg_segment_size: 104
    .language:       OpenCL C
    .language_version:
      - 2
      - 0
    .max_flat_workgroup_size: 256
    .name:           _ZN7rocprim17ROCPRIM_400000_NS6detail17trampoline_kernelINS0_14default_configENS1_20scan_config_selectorIyEEZZNS1_9scan_implILNS1_25lookback_scan_determinismE0ELb1ELb1ES3_N6thrust23THRUST_200600_302600_NS6detail15normal_iteratorINS9_10device_ptrIyEEEESE_y11max_functorIyEyEEDaPvRmT3_T4_T5_mT6_P12ihipStream_tbENKUlT_T0_E_clISt17integral_constantIbLb1EEST_IbLb0EEEEDaSP_SQ_EUlSP_E_NS1_11comp_targetILNS1_3genE3ELNS1_11target_archE908ELNS1_3gpuE7ELNS1_3repE0EEENS1_30default_config_static_selectorELNS0_4arch9wavefront6targetE1EEEvT1_
    .private_segment_fixed_size: 0
    .sgpr_count:     4
    .sgpr_spill_count: 0
    .symbol:         _ZN7rocprim17ROCPRIM_400000_NS6detail17trampoline_kernelINS0_14default_configENS1_20scan_config_selectorIyEEZZNS1_9scan_implILNS1_25lookback_scan_determinismE0ELb1ELb1ES3_N6thrust23THRUST_200600_302600_NS6detail15normal_iteratorINS9_10device_ptrIyEEEESE_y11max_functorIyEyEEDaPvRmT3_T4_T5_mT6_P12ihipStream_tbENKUlT_T0_E_clISt17integral_constantIbLb1EEST_IbLb0EEEEDaSP_SQ_EUlSP_E_NS1_11comp_targetILNS1_3genE3ELNS1_11target_archE908ELNS1_3gpuE7ELNS1_3repE0EEENS1_30default_config_static_selectorELNS0_4arch9wavefront6targetE1EEEvT1_.kd
    .uniform_work_group_size: 1
    .uses_dynamic_stack: false
    .vgpr_count:     0
    .vgpr_spill_count: 0
    .wavefront_size: 64
  - .agpr_count:     0
    .args:
      - .offset:         0
        .size:           104
        .value_kind:     by_value
    .group_segment_fixed_size: 0
    .kernarg_segment_align: 8
    .kernarg_segment_size: 104
    .language:       OpenCL C
    .language_version:
      - 2
      - 0
    .max_flat_workgroup_size: 64
    .name:           _ZN7rocprim17ROCPRIM_400000_NS6detail17trampoline_kernelINS0_14default_configENS1_20scan_config_selectorIyEEZZNS1_9scan_implILNS1_25lookback_scan_determinismE0ELb1ELb1ES3_N6thrust23THRUST_200600_302600_NS6detail15normal_iteratorINS9_10device_ptrIyEEEESE_y11max_functorIyEyEEDaPvRmT3_T4_T5_mT6_P12ihipStream_tbENKUlT_T0_E_clISt17integral_constantIbLb1EEST_IbLb0EEEEDaSP_SQ_EUlSP_E_NS1_11comp_targetILNS1_3genE2ELNS1_11target_archE906ELNS1_3gpuE6ELNS1_3repE0EEENS1_30default_config_static_selectorELNS0_4arch9wavefront6targetE1EEEvT1_
    .private_segment_fixed_size: 0
    .sgpr_count:     4
    .sgpr_spill_count: 0
    .symbol:         _ZN7rocprim17ROCPRIM_400000_NS6detail17trampoline_kernelINS0_14default_configENS1_20scan_config_selectorIyEEZZNS1_9scan_implILNS1_25lookback_scan_determinismE0ELb1ELb1ES3_N6thrust23THRUST_200600_302600_NS6detail15normal_iteratorINS9_10device_ptrIyEEEESE_y11max_functorIyEyEEDaPvRmT3_T4_T5_mT6_P12ihipStream_tbENKUlT_T0_E_clISt17integral_constantIbLb1EEST_IbLb0EEEEDaSP_SQ_EUlSP_E_NS1_11comp_targetILNS1_3genE2ELNS1_11target_archE906ELNS1_3gpuE6ELNS1_3repE0EEENS1_30default_config_static_selectorELNS0_4arch9wavefront6targetE1EEEvT1_.kd
    .uniform_work_group_size: 1
    .uses_dynamic_stack: false
    .vgpr_count:     0
    .vgpr_spill_count: 0
    .wavefront_size: 64
  - .agpr_count:     0
    .args:
      - .offset:         0
        .size:           104
        .value_kind:     by_value
    .group_segment_fixed_size: 0
    .kernarg_segment_align: 8
    .kernarg_segment_size: 104
    .language:       OpenCL C
    .language_version:
      - 2
      - 0
    .max_flat_workgroup_size: 256
    .name:           _ZN7rocprim17ROCPRIM_400000_NS6detail17trampoline_kernelINS0_14default_configENS1_20scan_config_selectorIyEEZZNS1_9scan_implILNS1_25lookback_scan_determinismE0ELb1ELb1ES3_N6thrust23THRUST_200600_302600_NS6detail15normal_iteratorINS9_10device_ptrIyEEEESE_y11max_functorIyEyEEDaPvRmT3_T4_T5_mT6_P12ihipStream_tbENKUlT_T0_E_clISt17integral_constantIbLb1EEST_IbLb0EEEEDaSP_SQ_EUlSP_E_NS1_11comp_targetILNS1_3genE10ELNS1_11target_archE1201ELNS1_3gpuE5ELNS1_3repE0EEENS1_30default_config_static_selectorELNS0_4arch9wavefront6targetE1EEEvT1_
    .private_segment_fixed_size: 0
    .sgpr_count:     4
    .sgpr_spill_count: 0
    .symbol:         _ZN7rocprim17ROCPRIM_400000_NS6detail17trampoline_kernelINS0_14default_configENS1_20scan_config_selectorIyEEZZNS1_9scan_implILNS1_25lookback_scan_determinismE0ELb1ELb1ES3_N6thrust23THRUST_200600_302600_NS6detail15normal_iteratorINS9_10device_ptrIyEEEESE_y11max_functorIyEyEEDaPvRmT3_T4_T5_mT6_P12ihipStream_tbENKUlT_T0_E_clISt17integral_constantIbLb1EEST_IbLb0EEEEDaSP_SQ_EUlSP_E_NS1_11comp_targetILNS1_3genE10ELNS1_11target_archE1201ELNS1_3gpuE5ELNS1_3repE0EEENS1_30default_config_static_selectorELNS0_4arch9wavefront6targetE1EEEvT1_.kd
    .uniform_work_group_size: 1
    .uses_dynamic_stack: false
    .vgpr_count:     0
    .vgpr_spill_count: 0
    .wavefront_size: 64
  - .agpr_count:     0
    .args:
      - .offset:         0
        .size:           104
        .value_kind:     by_value
    .group_segment_fixed_size: 0
    .kernarg_segment_align: 8
    .kernarg_segment_size: 104
    .language:       OpenCL C
    .language_version:
      - 2
      - 0
    .max_flat_workgroup_size: 256
    .name:           _ZN7rocprim17ROCPRIM_400000_NS6detail17trampoline_kernelINS0_14default_configENS1_20scan_config_selectorIyEEZZNS1_9scan_implILNS1_25lookback_scan_determinismE0ELb1ELb1ES3_N6thrust23THRUST_200600_302600_NS6detail15normal_iteratorINS9_10device_ptrIyEEEESE_y11max_functorIyEyEEDaPvRmT3_T4_T5_mT6_P12ihipStream_tbENKUlT_T0_E_clISt17integral_constantIbLb1EEST_IbLb0EEEEDaSP_SQ_EUlSP_E_NS1_11comp_targetILNS1_3genE10ELNS1_11target_archE1200ELNS1_3gpuE4ELNS1_3repE0EEENS1_30default_config_static_selectorELNS0_4arch9wavefront6targetE1EEEvT1_
    .private_segment_fixed_size: 0
    .sgpr_count:     4
    .sgpr_spill_count: 0
    .symbol:         _ZN7rocprim17ROCPRIM_400000_NS6detail17trampoline_kernelINS0_14default_configENS1_20scan_config_selectorIyEEZZNS1_9scan_implILNS1_25lookback_scan_determinismE0ELb1ELb1ES3_N6thrust23THRUST_200600_302600_NS6detail15normal_iteratorINS9_10device_ptrIyEEEESE_y11max_functorIyEyEEDaPvRmT3_T4_T5_mT6_P12ihipStream_tbENKUlT_T0_E_clISt17integral_constantIbLb1EEST_IbLb0EEEEDaSP_SQ_EUlSP_E_NS1_11comp_targetILNS1_3genE10ELNS1_11target_archE1200ELNS1_3gpuE4ELNS1_3repE0EEENS1_30default_config_static_selectorELNS0_4arch9wavefront6targetE1EEEvT1_.kd
    .uniform_work_group_size: 1
    .uses_dynamic_stack: false
    .vgpr_count:     0
    .vgpr_spill_count: 0
    .wavefront_size: 64
  - .agpr_count:     0
    .args:
      - .offset:         0
        .size:           104
        .value_kind:     by_value
    .group_segment_fixed_size: 0
    .kernarg_segment_align: 8
    .kernarg_segment_size: 104
    .language:       OpenCL C
    .language_version:
      - 2
      - 0
    .max_flat_workgroup_size: 256
    .name:           _ZN7rocprim17ROCPRIM_400000_NS6detail17trampoline_kernelINS0_14default_configENS1_20scan_config_selectorIyEEZZNS1_9scan_implILNS1_25lookback_scan_determinismE0ELb1ELb1ES3_N6thrust23THRUST_200600_302600_NS6detail15normal_iteratorINS9_10device_ptrIyEEEESE_y11max_functorIyEyEEDaPvRmT3_T4_T5_mT6_P12ihipStream_tbENKUlT_T0_E_clISt17integral_constantIbLb1EEST_IbLb0EEEEDaSP_SQ_EUlSP_E_NS1_11comp_targetILNS1_3genE9ELNS1_11target_archE1100ELNS1_3gpuE3ELNS1_3repE0EEENS1_30default_config_static_selectorELNS0_4arch9wavefront6targetE1EEEvT1_
    .private_segment_fixed_size: 0
    .sgpr_count:     4
    .sgpr_spill_count: 0
    .symbol:         _ZN7rocprim17ROCPRIM_400000_NS6detail17trampoline_kernelINS0_14default_configENS1_20scan_config_selectorIyEEZZNS1_9scan_implILNS1_25lookback_scan_determinismE0ELb1ELb1ES3_N6thrust23THRUST_200600_302600_NS6detail15normal_iteratorINS9_10device_ptrIyEEEESE_y11max_functorIyEyEEDaPvRmT3_T4_T5_mT6_P12ihipStream_tbENKUlT_T0_E_clISt17integral_constantIbLb1EEST_IbLb0EEEEDaSP_SQ_EUlSP_E_NS1_11comp_targetILNS1_3genE9ELNS1_11target_archE1100ELNS1_3gpuE3ELNS1_3repE0EEENS1_30default_config_static_selectorELNS0_4arch9wavefront6targetE1EEEvT1_.kd
    .uniform_work_group_size: 1
    .uses_dynamic_stack: false
    .vgpr_count:     0
    .vgpr_spill_count: 0
    .wavefront_size: 64
  - .agpr_count:     0
    .args:
      - .offset:         0
        .size:           104
        .value_kind:     by_value
    .group_segment_fixed_size: 0
    .kernarg_segment_align: 8
    .kernarg_segment_size: 104
    .language:       OpenCL C
    .language_version:
      - 2
      - 0
    .max_flat_workgroup_size: 256
    .name:           _ZN7rocprim17ROCPRIM_400000_NS6detail17trampoline_kernelINS0_14default_configENS1_20scan_config_selectorIyEEZZNS1_9scan_implILNS1_25lookback_scan_determinismE0ELb1ELb1ES3_N6thrust23THRUST_200600_302600_NS6detail15normal_iteratorINS9_10device_ptrIyEEEESE_y11max_functorIyEyEEDaPvRmT3_T4_T5_mT6_P12ihipStream_tbENKUlT_T0_E_clISt17integral_constantIbLb1EEST_IbLb0EEEEDaSP_SQ_EUlSP_E_NS1_11comp_targetILNS1_3genE8ELNS1_11target_archE1030ELNS1_3gpuE2ELNS1_3repE0EEENS1_30default_config_static_selectorELNS0_4arch9wavefront6targetE1EEEvT1_
    .private_segment_fixed_size: 0
    .sgpr_count:     4
    .sgpr_spill_count: 0
    .symbol:         _ZN7rocprim17ROCPRIM_400000_NS6detail17trampoline_kernelINS0_14default_configENS1_20scan_config_selectorIyEEZZNS1_9scan_implILNS1_25lookback_scan_determinismE0ELb1ELb1ES3_N6thrust23THRUST_200600_302600_NS6detail15normal_iteratorINS9_10device_ptrIyEEEESE_y11max_functorIyEyEEDaPvRmT3_T4_T5_mT6_P12ihipStream_tbENKUlT_T0_E_clISt17integral_constantIbLb1EEST_IbLb0EEEEDaSP_SQ_EUlSP_E_NS1_11comp_targetILNS1_3genE8ELNS1_11target_archE1030ELNS1_3gpuE2ELNS1_3repE0EEENS1_30default_config_static_selectorELNS0_4arch9wavefront6targetE1EEEvT1_.kd
    .uniform_work_group_size: 1
    .uses_dynamic_stack: false
    .vgpr_count:     0
    .vgpr_spill_count: 0
    .wavefront_size: 64
  - .agpr_count:     0
    .args:
      - .offset:         0
        .size:           40
        .value_kind:     by_value
    .group_segment_fixed_size: 0
    .kernarg_segment_align: 8
    .kernarg_segment_size: 40
    .language:       OpenCL C
    .language_version:
      - 2
      - 0
    .max_flat_workgroup_size: 256
    .name:           _ZN7rocprim17ROCPRIM_400000_NS6detail17trampoline_kernelINS0_14default_configENS1_20scan_config_selectorIyEEZZNS1_9scan_implILNS1_25lookback_scan_determinismE0ELb1ELb1ES3_N6thrust23THRUST_200600_302600_NS6detail15normal_iteratorINS9_10device_ptrIyEEEESE_y11max_functorIyEyEEDaPvRmT3_T4_T5_mT6_P12ihipStream_tbENKUlT_T0_E_clISt17integral_constantIbLb1EEST_IbLb0EEEEDaSP_SQ_EUlSP_E0_NS1_11comp_targetILNS1_3genE0ELNS1_11target_archE4294967295ELNS1_3gpuE0ELNS1_3repE0EEENS1_30default_config_static_selectorELNS0_4arch9wavefront6targetE1EEEvT1_
    .private_segment_fixed_size: 0
    .sgpr_count:     4
    .sgpr_spill_count: 0
    .symbol:         _ZN7rocprim17ROCPRIM_400000_NS6detail17trampoline_kernelINS0_14default_configENS1_20scan_config_selectorIyEEZZNS1_9scan_implILNS1_25lookback_scan_determinismE0ELb1ELb1ES3_N6thrust23THRUST_200600_302600_NS6detail15normal_iteratorINS9_10device_ptrIyEEEESE_y11max_functorIyEyEEDaPvRmT3_T4_T5_mT6_P12ihipStream_tbENKUlT_T0_E_clISt17integral_constantIbLb1EEST_IbLb0EEEEDaSP_SQ_EUlSP_E0_NS1_11comp_targetILNS1_3genE0ELNS1_11target_archE4294967295ELNS1_3gpuE0ELNS1_3repE0EEENS1_30default_config_static_selectorELNS0_4arch9wavefront6targetE1EEEvT1_.kd
    .uniform_work_group_size: 1
    .uses_dynamic_stack: false
    .vgpr_count:     0
    .vgpr_spill_count: 0
    .wavefront_size: 64
  - .agpr_count:     0
    .args:
      - .offset:         0
        .size:           40
        .value_kind:     by_value
    .group_segment_fixed_size: 0
    .kernarg_segment_align: 8
    .kernarg_segment_size: 40
    .language:       OpenCL C
    .language_version:
      - 2
      - 0
    .max_flat_workgroup_size: 256
    .name:           _ZN7rocprim17ROCPRIM_400000_NS6detail17trampoline_kernelINS0_14default_configENS1_20scan_config_selectorIyEEZZNS1_9scan_implILNS1_25lookback_scan_determinismE0ELb1ELb1ES3_N6thrust23THRUST_200600_302600_NS6detail15normal_iteratorINS9_10device_ptrIyEEEESE_y11max_functorIyEyEEDaPvRmT3_T4_T5_mT6_P12ihipStream_tbENKUlT_T0_E_clISt17integral_constantIbLb1EEST_IbLb0EEEEDaSP_SQ_EUlSP_E0_NS1_11comp_targetILNS1_3genE5ELNS1_11target_archE942ELNS1_3gpuE9ELNS1_3repE0EEENS1_30default_config_static_selectorELNS0_4arch9wavefront6targetE1EEEvT1_
    .private_segment_fixed_size: 0
    .sgpr_count:     4
    .sgpr_spill_count: 0
    .symbol:         _ZN7rocprim17ROCPRIM_400000_NS6detail17trampoline_kernelINS0_14default_configENS1_20scan_config_selectorIyEEZZNS1_9scan_implILNS1_25lookback_scan_determinismE0ELb1ELb1ES3_N6thrust23THRUST_200600_302600_NS6detail15normal_iteratorINS9_10device_ptrIyEEEESE_y11max_functorIyEyEEDaPvRmT3_T4_T5_mT6_P12ihipStream_tbENKUlT_T0_E_clISt17integral_constantIbLb1EEST_IbLb0EEEEDaSP_SQ_EUlSP_E0_NS1_11comp_targetILNS1_3genE5ELNS1_11target_archE942ELNS1_3gpuE9ELNS1_3repE0EEENS1_30default_config_static_selectorELNS0_4arch9wavefront6targetE1EEEvT1_.kd
    .uniform_work_group_size: 1
    .uses_dynamic_stack: false
    .vgpr_count:     0
    .vgpr_spill_count: 0
    .wavefront_size: 64
  - .agpr_count:     0
    .args:
      - .offset:         0
        .size:           40
        .value_kind:     by_value
    .group_segment_fixed_size: 7168
    .kernarg_segment_align: 8
    .kernarg_segment_size: 40
    .language:       OpenCL C
    .language_version:
      - 2
      - 0
    .max_flat_workgroup_size: 128
    .name:           _ZN7rocprim17ROCPRIM_400000_NS6detail17trampoline_kernelINS0_14default_configENS1_20scan_config_selectorIyEEZZNS1_9scan_implILNS1_25lookback_scan_determinismE0ELb1ELb1ES3_N6thrust23THRUST_200600_302600_NS6detail15normal_iteratorINS9_10device_ptrIyEEEESE_y11max_functorIyEyEEDaPvRmT3_T4_T5_mT6_P12ihipStream_tbENKUlT_T0_E_clISt17integral_constantIbLb1EEST_IbLb0EEEEDaSP_SQ_EUlSP_E0_NS1_11comp_targetILNS1_3genE4ELNS1_11target_archE910ELNS1_3gpuE8ELNS1_3repE0EEENS1_30default_config_static_selectorELNS0_4arch9wavefront6targetE1EEEvT1_
    .private_segment_fixed_size: 0
    .sgpr_count:     28
    .sgpr_spill_count: 0
    .symbol:         _ZN7rocprim17ROCPRIM_400000_NS6detail17trampoline_kernelINS0_14default_configENS1_20scan_config_selectorIyEEZZNS1_9scan_implILNS1_25lookback_scan_determinismE0ELb1ELb1ES3_N6thrust23THRUST_200600_302600_NS6detail15normal_iteratorINS9_10device_ptrIyEEEESE_y11max_functorIyEyEEDaPvRmT3_T4_T5_mT6_P12ihipStream_tbENKUlT_T0_E_clISt17integral_constantIbLb1EEST_IbLb0EEEEDaSP_SQ_EUlSP_E0_NS1_11comp_targetILNS1_3genE4ELNS1_11target_archE910ELNS1_3gpuE8ELNS1_3repE0EEENS1_30default_config_static_selectorELNS0_4arch9wavefront6targetE1EEEvT1_.kd
    .uniform_work_group_size: 1
    .uses_dynamic_stack: false
    .vgpr_count:     30
    .vgpr_spill_count: 0
    .wavefront_size: 64
  - .agpr_count:     0
    .args:
      - .offset:         0
        .size:           40
        .value_kind:     by_value
    .group_segment_fixed_size: 0
    .kernarg_segment_align: 8
    .kernarg_segment_size: 40
    .language:       OpenCL C
    .language_version:
      - 2
      - 0
    .max_flat_workgroup_size: 256
    .name:           _ZN7rocprim17ROCPRIM_400000_NS6detail17trampoline_kernelINS0_14default_configENS1_20scan_config_selectorIyEEZZNS1_9scan_implILNS1_25lookback_scan_determinismE0ELb1ELb1ES3_N6thrust23THRUST_200600_302600_NS6detail15normal_iteratorINS9_10device_ptrIyEEEESE_y11max_functorIyEyEEDaPvRmT3_T4_T5_mT6_P12ihipStream_tbENKUlT_T0_E_clISt17integral_constantIbLb1EEST_IbLb0EEEEDaSP_SQ_EUlSP_E0_NS1_11comp_targetILNS1_3genE3ELNS1_11target_archE908ELNS1_3gpuE7ELNS1_3repE0EEENS1_30default_config_static_selectorELNS0_4arch9wavefront6targetE1EEEvT1_
    .private_segment_fixed_size: 0
    .sgpr_count:     4
    .sgpr_spill_count: 0
    .symbol:         _ZN7rocprim17ROCPRIM_400000_NS6detail17trampoline_kernelINS0_14default_configENS1_20scan_config_selectorIyEEZZNS1_9scan_implILNS1_25lookback_scan_determinismE0ELb1ELb1ES3_N6thrust23THRUST_200600_302600_NS6detail15normal_iteratorINS9_10device_ptrIyEEEESE_y11max_functorIyEyEEDaPvRmT3_T4_T5_mT6_P12ihipStream_tbENKUlT_T0_E_clISt17integral_constantIbLb1EEST_IbLb0EEEEDaSP_SQ_EUlSP_E0_NS1_11comp_targetILNS1_3genE3ELNS1_11target_archE908ELNS1_3gpuE7ELNS1_3repE0EEENS1_30default_config_static_selectorELNS0_4arch9wavefront6targetE1EEEvT1_.kd
    .uniform_work_group_size: 1
    .uses_dynamic_stack: false
    .vgpr_count:     0
    .vgpr_spill_count: 0
    .wavefront_size: 64
  - .agpr_count:     0
    .args:
      - .offset:         0
        .size:           40
        .value_kind:     by_value
    .group_segment_fixed_size: 0
    .kernarg_segment_align: 8
    .kernarg_segment_size: 40
    .language:       OpenCL C
    .language_version:
      - 2
      - 0
    .max_flat_workgroup_size: 64
    .name:           _ZN7rocprim17ROCPRIM_400000_NS6detail17trampoline_kernelINS0_14default_configENS1_20scan_config_selectorIyEEZZNS1_9scan_implILNS1_25lookback_scan_determinismE0ELb1ELb1ES3_N6thrust23THRUST_200600_302600_NS6detail15normal_iteratorINS9_10device_ptrIyEEEESE_y11max_functorIyEyEEDaPvRmT3_T4_T5_mT6_P12ihipStream_tbENKUlT_T0_E_clISt17integral_constantIbLb1EEST_IbLb0EEEEDaSP_SQ_EUlSP_E0_NS1_11comp_targetILNS1_3genE2ELNS1_11target_archE906ELNS1_3gpuE6ELNS1_3repE0EEENS1_30default_config_static_selectorELNS0_4arch9wavefront6targetE1EEEvT1_
    .private_segment_fixed_size: 0
    .sgpr_count:     4
    .sgpr_spill_count: 0
    .symbol:         _ZN7rocprim17ROCPRIM_400000_NS6detail17trampoline_kernelINS0_14default_configENS1_20scan_config_selectorIyEEZZNS1_9scan_implILNS1_25lookback_scan_determinismE0ELb1ELb1ES3_N6thrust23THRUST_200600_302600_NS6detail15normal_iteratorINS9_10device_ptrIyEEEESE_y11max_functorIyEyEEDaPvRmT3_T4_T5_mT6_P12ihipStream_tbENKUlT_T0_E_clISt17integral_constantIbLb1EEST_IbLb0EEEEDaSP_SQ_EUlSP_E0_NS1_11comp_targetILNS1_3genE2ELNS1_11target_archE906ELNS1_3gpuE6ELNS1_3repE0EEENS1_30default_config_static_selectorELNS0_4arch9wavefront6targetE1EEEvT1_.kd
    .uniform_work_group_size: 1
    .uses_dynamic_stack: false
    .vgpr_count:     0
    .vgpr_spill_count: 0
    .wavefront_size: 64
  - .agpr_count:     0
    .args:
      - .offset:         0
        .size:           40
        .value_kind:     by_value
    .group_segment_fixed_size: 0
    .kernarg_segment_align: 8
    .kernarg_segment_size: 40
    .language:       OpenCL C
    .language_version:
      - 2
      - 0
    .max_flat_workgroup_size: 256
    .name:           _ZN7rocprim17ROCPRIM_400000_NS6detail17trampoline_kernelINS0_14default_configENS1_20scan_config_selectorIyEEZZNS1_9scan_implILNS1_25lookback_scan_determinismE0ELb1ELb1ES3_N6thrust23THRUST_200600_302600_NS6detail15normal_iteratorINS9_10device_ptrIyEEEESE_y11max_functorIyEyEEDaPvRmT3_T4_T5_mT6_P12ihipStream_tbENKUlT_T0_E_clISt17integral_constantIbLb1EEST_IbLb0EEEEDaSP_SQ_EUlSP_E0_NS1_11comp_targetILNS1_3genE10ELNS1_11target_archE1201ELNS1_3gpuE5ELNS1_3repE0EEENS1_30default_config_static_selectorELNS0_4arch9wavefront6targetE1EEEvT1_
    .private_segment_fixed_size: 0
    .sgpr_count:     4
    .sgpr_spill_count: 0
    .symbol:         _ZN7rocprim17ROCPRIM_400000_NS6detail17trampoline_kernelINS0_14default_configENS1_20scan_config_selectorIyEEZZNS1_9scan_implILNS1_25lookback_scan_determinismE0ELb1ELb1ES3_N6thrust23THRUST_200600_302600_NS6detail15normal_iteratorINS9_10device_ptrIyEEEESE_y11max_functorIyEyEEDaPvRmT3_T4_T5_mT6_P12ihipStream_tbENKUlT_T0_E_clISt17integral_constantIbLb1EEST_IbLb0EEEEDaSP_SQ_EUlSP_E0_NS1_11comp_targetILNS1_3genE10ELNS1_11target_archE1201ELNS1_3gpuE5ELNS1_3repE0EEENS1_30default_config_static_selectorELNS0_4arch9wavefront6targetE1EEEvT1_.kd
    .uniform_work_group_size: 1
    .uses_dynamic_stack: false
    .vgpr_count:     0
    .vgpr_spill_count: 0
    .wavefront_size: 64
  - .agpr_count:     0
    .args:
      - .offset:         0
        .size:           40
        .value_kind:     by_value
    .group_segment_fixed_size: 0
    .kernarg_segment_align: 8
    .kernarg_segment_size: 40
    .language:       OpenCL C
    .language_version:
      - 2
      - 0
    .max_flat_workgroup_size: 256
    .name:           _ZN7rocprim17ROCPRIM_400000_NS6detail17trampoline_kernelINS0_14default_configENS1_20scan_config_selectorIyEEZZNS1_9scan_implILNS1_25lookback_scan_determinismE0ELb1ELb1ES3_N6thrust23THRUST_200600_302600_NS6detail15normal_iteratorINS9_10device_ptrIyEEEESE_y11max_functorIyEyEEDaPvRmT3_T4_T5_mT6_P12ihipStream_tbENKUlT_T0_E_clISt17integral_constantIbLb1EEST_IbLb0EEEEDaSP_SQ_EUlSP_E0_NS1_11comp_targetILNS1_3genE10ELNS1_11target_archE1200ELNS1_3gpuE4ELNS1_3repE0EEENS1_30default_config_static_selectorELNS0_4arch9wavefront6targetE1EEEvT1_
    .private_segment_fixed_size: 0
    .sgpr_count:     4
    .sgpr_spill_count: 0
    .symbol:         _ZN7rocprim17ROCPRIM_400000_NS6detail17trampoline_kernelINS0_14default_configENS1_20scan_config_selectorIyEEZZNS1_9scan_implILNS1_25lookback_scan_determinismE0ELb1ELb1ES3_N6thrust23THRUST_200600_302600_NS6detail15normal_iteratorINS9_10device_ptrIyEEEESE_y11max_functorIyEyEEDaPvRmT3_T4_T5_mT6_P12ihipStream_tbENKUlT_T0_E_clISt17integral_constantIbLb1EEST_IbLb0EEEEDaSP_SQ_EUlSP_E0_NS1_11comp_targetILNS1_3genE10ELNS1_11target_archE1200ELNS1_3gpuE4ELNS1_3repE0EEENS1_30default_config_static_selectorELNS0_4arch9wavefront6targetE1EEEvT1_.kd
    .uniform_work_group_size: 1
    .uses_dynamic_stack: false
    .vgpr_count:     0
    .vgpr_spill_count: 0
    .wavefront_size: 64
  - .agpr_count:     0
    .args:
      - .offset:         0
        .size:           40
        .value_kind:     by_value
    .group_segment_fixed_size: 0
    .kernarg_segment_align: 8
    .kernarg_segment_size: 40
    .language:       OpenCL C
    .language_version:
      - 2
      - 0
    .max_flat_workgroup_size: 256
    .name:           _ZN7rocprim17ROCPRIM_400000_NS6detail17trampoline_kernelINS0_14default_configENS1_20scan_config_selectorIyEEZZNS1_9scan_implILNS1_25lookback_scan_determinismE0ELb1ELb1ES3_N6thrust23THRUST_200600_302600_NS6detail15normal_iteratorINS9_10device_ptrIyEEEESE_y11max_functorIyEyEEDaPvRmT3_T4_T5_mT6_P12ihipStream_tbENKUlT_T0_E_clISt17integral_constantIbLb1EEST_IbLb0EEEEDaSP_SQ_EUlSP_E0_NS1_11comp_targetILNS1_3genE9ELNS1_11target_archE1100ELNS1_3gpuE3ELNS1_3repE0EEENS1_30default_config_static_selectorELNS0_4arch9wavefront6targetE1EEEvT1_
    .private_segment_fixed_size: 0
    .sgpr_count:     4
    .sgpr_spill_count: 0
    .symbol:         _ZN7rocprim17ROCPRIM_400000_NS6detail17trampoline_kernelINS0_14default_configENS1_20scan_config_selectorIyEEZZNS1_9scan_implILNS1_25lookback_scan_determinismE0ELb1ELb1ES3_N6thrust23THRUST_200600_302600_NS6detail15normal_iteratorINS9_10device_ptrIyEEEESE_y11max_functorIyEyEEDaPvRmT3_T4_T5_mT6_P12ihipStream_tbENKUlT_T0_E_clISt17integral_constantIbLb1EEST_IbLb0EEEEDaSP_SQ_EUlSP_E0_NS1_11comp_targetILNS1_3genE9ELNS1_11target_archE1100ELNS1_3gpuE3ELNS1_3repE0EEENS1_30default_config_static_selectorELNS0_4arch9wavefront6targetE1EEEvT1_.kd
    .uniform_work_group_size: 1
    .uses_dynamic_stack: false
    .vgpr_count:     0
    .vgpr_spill_count: 0
    .wavefront_size: 64
  - .agpr_count:     0
    .args:
      - .offset:         0
        .size:           40
        .value_kind:     by_value
    .group_segment_fixed_size: 0
    .kernarg_segment_align: 8
    .kernarg_segment_size: 40
    .language:       OpenCL C
    .language_version:
      - 2
      - 0
    .max_flat_workgroup_size: 256
    .name:           _ZN7rocprim17ROCPRIM_400000_NS6detail17trampoline_kernelINS0_14default_configENS1_20scan_config_selectorIyEEZZNS1_9scan_implILNS1_25lookback_scan_determinismE0ELb1ELb1ES3_N6thrust23THRUST_200600_302600_NS6detail15normal_iteratorINS9_10device_ptrIyEEEESE_y11max_functorIyEyEEDaPvRmT3_T4_T5_mT6_P12ihipStream_tbENKUlT_T0_E_clISt17integral_constantIbLb1EEST_IbLb0EEEEDaSP_SQ_EUlSP_E0_NS1_11comp_targetILNS1_3genE8ELNS1_11target_archE1030ELNS1_3gpuE2ELNS1_3repE0EEENS1_30default_config_static_selectorELNS0_4arch9wavefront6targetE1EEEvT1_
    .private_segment_fixed_size: 0
    .sgpr_count:     4
    .sgpr_spill_count: 0
    .symbol:         _ZN7rocprim17ROCPRIM_400000_NS6detail17trampoline_kernelINS0_14default_configENS1_20scan_config_selectorIyEEZZNS1_9scan_implILNS1_25lookback_scan_determinismE0ELb1ELb1ES3_N6thrust23THRUST_200600_302600_NS6detail15normal_iteratorINS9_10device_ptrIyEEEESE_y11max_functorIyEyEEDaPvRmT3_T4_T5_mT6_P12ihipStream_tbENKUlT_T0_E_clISt17integral_constantIbLb1EEST_IbLb0EEEEDaSP_SQ_EUlSP_E0_NS1_11comp_targetILNS1_3genE8ELNS1_11target_archE1030ELNS1_3gpuE2ELNS1_3repE0EEENS1_30default_config_static_selectorELNS0_4arch9wavefront6targetE1EEEvT1_.kd
    .uniform_work_group_size: 1
    .uses_dynamic_stack: false
    .vgpr_count:     0
    .vgpr_spill_count: 0
    .wavefront_size: 64
  - .agpr_count:     0
    .args:
      - .offset:         0
        .size:           104
        .value_kind:     by_value
    .group_segment_fixed_size: 0
    .kernarg_segment_align: 8
    .kernarg_segment_size: 104
    .language:       OpenCL C
    .language_version:
      - 2
      - 0
    .max_flat_workgroup_size: 256
    .name:           _ZN7rocprim17ROCPRIM_400000_NS6detail17trampoline_kernelINS0_14default_configENS1_20scan_config_selectorIyEEZZNS1_9scan_implILNS1_25lookback_scan_determinismE0ELb1ELb1ES3_N6thrust23THRUST_200600_302600_NS6detail15normal_iteratorINS9_10device_ptrIyEEEESE_y11max_functorIyEyEEDaPvRmT3_T4_T5_mT6_P12ihipStream_tbENKUlT_T0_E_clISt17integral_constantIbLb0EEST_IbLb1EEEEDaSP_SQ_EUlSP_E_NS1_11comp_targetILNS1_3genE0ELNS1_11target_archE4294967295ELNS1_3gpuE0ELNS1_3repE0EEENS1_30default_config_static_selectorELNS0_4arch9wavefront6targetE1EEEvT1_
    .private_segment_fixed_size: 0
    .sgpr_count:     4
    .sgpr_spill_count: 0
    .symbol:         _ZN7rocprim17ROCPRIM_400000_NS6detail17trampoline_kernelINS0_14default_configENS1_20scan_config_selectorIyEEZZNS1_9scan_implILNS1_25lookback_scan_determinismE0ELb1ELb1ES3_N6thrust23THRUST_200600_302600_NS6detail15normal_iteratorINS9_10device_ptrIyEEEESE_y11max_functorIyEyEEDaPvRmT3_T4_T5_mT6_P12ihipStream_tbENKUlT_T0_E_clISt17integral_constantIbLb0EEST_IbLb1EEEEDaSP_SQ_EUlSP_E_NS1_11comp_targetILNS1_3genE0ELNS1_11target_archE4294967295ELNS1_3gpuE0ELNS1_3repE0EEENS1_30default_config_static_selectorELNS0_4arch9wavefront6targetE1EEEvT1_.kd
    .uniform_work_group_size: 1
    .uses_dynamic_stack: false
    .vgpr_count:     0
    .vgpr_spill_count: 0
    .wavefront_size: 64
  - .agpr_count:     0
    .args:
      - .offset:         0
        .size:           104
        .value_kind:     by_value
    .group_segment_fixed_size: 0
    .kernarg_segment_align: 8
    .kernarg_segment_size: 104
    .language:       OpenCL C
    .language_version:
      - 2
      - 0
    .max_flat_workgroup_size: 256
    .name:           _ZN7rocprim17ROCPRIM_400000_NS6detail17trampoline_kernelINS0_14default_configENS1_20scan_config_selectorIyEEZZNS1_9scan_implILNS1_25lookback_scan_determinismE0ELb1ELb1ES3_N6thrust23THRUST_200600_302600_NS6detail15normal_iteratorINS9_10device_ptrIyEEEESE_y11max_functorIyEyEEDaPvRmT3_T4_T5_mT6_P12ihipStream_tbENKUlT_T0_E_clISt17integral_constantIbLb0EEST_IbLb1EEEEDaSP_SQ_EUlSP_E_NS1_11comp_targetILNS1_3genE5ELNS1_11target_archE942ELNS1_3gpuE9ELNS1_3repE0EEENS1_30default_config_static_selectorELNS0_4arch9wavefront6targetE1EEEvT1_
    .private_segment_fixed_size: 0
    .sgpr_count:     4
    .sgpr_spill_count: 0
    .symbol:         _ZN7rocprim17ROCPRIM_400000_NS6detail17trampoline_kernelINS0_14default_configENS1_20scan_config_selectorIyEEZZNS1_9scan_implILNS1_25lookback_scan_determinismE0ELb1ELb1ES3_N6thrust23THRUST_200600_302600_NS6detail15normal_iteratorINS9_10device_ptrIyEEEESE_y11max_functorIyEyEEDaPvRmT3_T4_T5_mT6_P12ihipStream_tbENKUlT_T0_E_clISt17integral_constantIbLb0EEST_IbLb1EEEEDaSP_SQ_EUlSP_E_NS1_11comp_targetILNS1_3genE5ELNS1_11target_archE942ELNS1_3gpuE9ELNS1_3repE0EEENS1_30default_config_static_selectorELNS0_4arch9wavefront6targetE1EEEvT1_.kd
    .uniform_work_group_size: 1
    .uses_dynamic_stack: false
    .vgpr_count:     0
    .vgpr_spill_count: 0
    .wavefront_size: 64
  - .agpr_count:     0
    .args:
      - .offset:         0
        .size:           104
        .value_kind:     by_value
    .group_segment_fixed_size: 7168
    .kernarg_segment_align: 8
    .kernarg_segment_size: 104
    .language:       OpenCL C
    .language_version:
      - 2
      - 0
    .max_flat_workgroup_size: 128
    .name:           _ZN7rocprim17ROCPRIM_400000_NS6detail17trampoline_kernelINS0_14default_configENS1_20scan_config_selectorIyEEZZNS1_9scan_implILNS1_25lookback_scan_determinismE0ELb1ELb1ES3_N6thrust23THRUST_200600_302600_NS6detail15normal_iteratorINS9_10device_ptrIyEEEESE_y11max_functorIyEyEEDaPvRmT3_T4_T5_mT6_P12ihipStream_tbENKUlT_T0_E_clISt17integral_constantIbLb0EEST_IbLb1EEEEDaSP_SQ_EUlSP_E_NS1_11comp_targetILNS1_3genE4ELNS1_11target_archE910ELNS1_3gpuE8ELNS1_3repE0EEENS1_30default_config_static_selectorELNS0_4arch9wavefront6targetE1EEEvT1_
    .private_segment_fixed_size: 0
    .sgpr_count:     46
    .sgpr_spill_count: 0
    .symbol:         _ZN7rocprim17ROCPRIM_400000_NS6detail17trampoline_kernelINS0_14default_configENS1_20scan_config_selectorIyEEZZNS1_9scan_implILNS1_25lookback_scan_determinismE0ELb1ELb1ES3_N6thrust23THRUST_200600_302600_NS6detail15normal_iteratorINS9_10device_ptrIyEEEESE_y11max_functorIyEyEEDaPvRmT3_T4_T5_mT6_P12ihipStream_tbENKUlT_T0_E_clISt17integral_constantIbLb0EEST_IbLb1EEEEDaSP_SQ_EUlSP_E_NS1_11comp_targetILNS1_3genE4ELNS1_11target_archE910ELNS1_3gpuE8ELNS1_3repE0EEENS1_30default_config_static_selectorELNS0_4arch9wavefront6targetE1EEEvT1_.kd
    .uniform_work_group_size: 1
    .uses_dynamic_stack: false
    .vgpr_count:     58
    .vgpr_spill_count: 0
    .wavefront_size: 64
  - .agpr_count:     0
    .args:
      - .offset:         0
        .size:           104
        .value_kind:     by_value
    .group_segment_fixed_size: 0
    .kernarg_segment_align: 8
    .kernarg_segment_size: 104
    .language:       OpenCL C
    .language_version:
      - 2
      - 0
    .max_flat_workgroup_size: 256
    .name:           _ZN7rocprim17ROCPRIM_400000_NS6detail17trampoline_kernelINS0_14default_configENS1_20scan_config_selectorIyEEZZNS1_9scan_implILNS1_25lookback_scan_determinismE0ELb1ELb1ES3_N6thrust23THRUST_200600_302600_NS6detail15normal_iteratorINS9_10device_ptrIyEEEESE_y11max_functorIyEyEEDaPvRmT3_T4_T5_mT6_P12ihipStream_tbENKUlT_T0_E_clISt17integral_constantIbLb0EEST_IbLb1EEEEDaSP_SQ_EUlSP_E_NS1_11comp_targetILNS1_3genE3ELNS1_11target_archE908ELNS1_3gpuE7ELNS1_3repE0EEENS1_30default_config_static_selectorELNS0_4arch9wavefront6targetE1EEEvT1_
    .private_segment_fixed_size: 0
    .sgpr_count:     4
    .sgpr_spill_count: 0
    .symbol:         _ZN7rocprim17ROCPRIM_400000_NS6detail17trampoline_kernelINS0_14default_configENS1_20scan_config_selectorIyEEZZNS1_9scan_implILNS1_25lookback_scan_determinismE0ELb1ELb1ES3_N6thrust23THRUST_200600_302600_NS6detail15normal_iteratorINS9_10device_ptrIyEEEESE_y11max_functorIyEyEEDaPvRmT3_T4_T5_mT6_P12ihipStream_tbENKUlT_T0_E_clISt17integral_constantIbLb0EEST_IbLb1EEEEDaSP_SQ_EUlSP_E_NS1_11comp_targetILNS1_3genE3ELNS1_11target_archE908ELNS1_3gpuE7ELNS1_3repE0EEENS1_30default_config_static_selectorELNS0_4arch9wavefront6targetE1EEEvT1_.kd
    .uniform_work_group_size: 1
    .uses_dynamic_stack: false
    .vgpr_count:     0
    .vgpr_spill_count: 0
    .wavefront_size: 64
  - .agpr_count:     0
    .args:
      - .offset:         0
        .size:           104
        .value_kind:     by_value
    .group_segment_fixed_size: 0
    .kernarg_segment_align: 8
    .kernarg_segment_size: 104
    .language:       OpenCL C
    .language_version:
      - 2
      - 0
    .max_flat_workgroup_size: 64
    .name:           _ZN7rocprim17ROCPRIM_400000_NS6detail17trampoline_kernelINS0_14default_configENS1_20scan_config_selectorIyEEZZNS1_9scan_implILNS1_25lookback_scan_determinismE0ELb1ELb1ES3_N6thrust23THRUST_200600_302600_NS6detail15normal_iteratorINS9_10device_ptrIyEEEESE_y11max_functorIyEyEEDaPvRmT3_T4_T5_mT6_P12ihipStream_tbENKUlT_T0_E_clISt17integral_constantIbLb0EEST_IbLb1EEEEDaSP_SQ_EUlSP_E_NS1_11comp_targetILNS1_3genE2ELNS1_11target_archE906ELNS1_3gpuE6ELNS1_3repE0EEENS1_30default_config_static_selectorELNS0_4arch9wavefront6targetE1EEEvT1_
    .private_segment_fixed_size: 0
    .sgpr_count:     4
    .sgpr_spill_count: 0
    .symbol:         _ZN7rocprim17ROCPRIM_400000_NS6detail17trampoline_kernelINS0_14default_configENS1_20scan_config_selectorIyEEZZNS1_9scan_implILNS1_25lookback_scan_determinismE0ELb1ELb1ES3_N6thrust23THRUST_200600_302600_NS6detail15normal_iteratorINS9_10device_ptrIyEEEESE_y11max_functorIyEyEEDaPvRmT3_T4_T5_mT6_P12ihipStream_tbENKUlT_T0_E_clISt17integral_constantIbLb0EEST_IbLb1EEEEDaSP_SQ_EUlSP_E_NS1_11comp_targetILNS1_3genE2ELNS1_11target_archE906ELNS1_3gpuE6ELNS1_3repE0EEENS1_30default_config_static_selectorELNS0_4arch9wavefront6targetE1EEEvT1_.kd
    .uniform_work_group_size: 1
    .uses_dynamic_stack: false
    .vgpr_count:     0
    .vgpr_spill_count: 0
    .wavefront_size: 64
  - .agpr_count:     0
    .args:
      - .offset:         0
        .size:           104
        .value_kind:     by_value
    .group_segment_fixed_size: 0
    .kernarg_segment_align: 8
    .kernarg_segment_size: 104
    .language:       OpenCL C
    .language_version:
      - 2
      - 0
    .max_flat_workgroup_size: 256
    .name:           _ZN7rocprim17ROCPRIM_400000_NS6detail17trampoline_kernelINS0_14default_configENS1_20scan_config_selectorIyEEZZNS1_9scan_implILNS1_25lookback_scan_determinismE0ELb1ELb1ES3_N6thrust23THRUST_200600_302600_NS6detail15normal_iteratorINS9_10device_ptrIyEEEESE_y11max_functorIyEyEEDaPvRmT3_T4_T5_mT6_P12ihipStream_tbENKUlT_T0_E_clISt17integral_constantIbLb0EEST_IbLb1EEEEDaSP_SQ_EUlSP_E_NS1_11comp_targetILNS1_3genE10ELNS1_11target_archE1201ELNS1_3gpuE5ELNS1_3repE0EEENS1_30default_config_static_selectorELNS0_4arch9wavefront6targetE1EEEvT1_
    .private_segment_fixed_size: 0
    .sgpr_count:     4
    .sgpr_spill_count: 0
    .symbol:         _ZN7rocprim17ROCPRIM_400000_NS6detail17trampoline_kernelINS0_14default_configENS1_20scan_config_selectorIyEEZZNS1_9scan_implILNS1_25lookback_scan_determinismE0ELb1ELb1ES3_N6thrust23THRUST_200600_302600_NS6detail15normal_iteratorINS9_10device_ptrIyEEEESE_y11max_functorIyEyEEDaPvRmT3_T4_T5_mT6_P12ihipStream_tbENKUlT_T0_E_clISt17integral_constantIbLb0EEST_IbLb1EEEEDaSP_SQ_EUlSP_E_NS1_11comp_targetILNS1_3genE10ELNS1_11target_archE1201ELNS1_3gpuE5ELNS1_3repE0EEENS1_30default_config_static_selectorELNS0_4arch9wavefront6targetE1EEEvT1_.kd
    .uniform_work_group_size: 1
    .uses_dynamic_stack: false
    .vgpr_count:     0
    .vgpr_spill_count: 0
    .wavefront_size: 64
  - .agpr_count:     0
    .args:
      - .offset:         0
        .size:           104
        .value_kind:     by_value
    .group_segment_fixed_size: 0
    .kernarg_segment_align: 8
    .kernarg_segment_size: 104
    .language:       OpenCL C
    .language_version:
      - 2
      - 0
    .max_flat_workgroup_size: 256
    .name:           _ZN7rocprim17ROCPRIM_400000_NS6detail17trampoline_kernelINS0_14default_configENS1_20scan_config_selectorIyEEZZNS1_9scan_implILNS1_25lookback_scan_determinismE0ELb1ELb1ES3_N6thrust23THRUST_200600_302600_NS6detail15normal_iteratorINS9_10device_ptrIyEEEESE_y11max_functorIyEyEEDaPvRmT3_T4_T5_mT6_P12ihipStream_tbENKUlT_T0_E_clISt17integral_constantIbLb0EEST_IbLb1EEEEDaSP_SQ_EUlSP_E_NS1_11comp_targetILNS1_3genE10ELNS1_11target_archE1200ELNS1_3gpuE4ELNS1_3repE0EEENS1_30default_config_static_selectorELNS0_4arch9wavefront6targetE1EEEvT1_
    .private_segment_fixed_size: 0
    .sgpr_count:     4
    .sgpr_spill_count: 0
    .symbol:         _ZN7rocprim17ROCPRIM_400000_NS6detail17trampoline_kernelINS0_14default_configENS1_20scan_config_selectorIyEEZZNS1_9scan_implILNS1_25lookback_scan_determinismE0ELb1ELb1ES3_N6thrust23THRUST_200600_302600_NS6detail15normal_iteratorINS9_10device_ptrIyEEEESE_y11max_functorIyEyEEDaPvRmT3_T4_T5_mT6_P12ihipStream_tbENKUlT_T0_E_clISt17integral_constantIbLb0EEST_IbLb1EEEEDaSP_SQ_EUlSP_E_NS1_11comp_targetILNS1_3genE10ELNS1_11target_archE1200ELNS1_3gpuE4ELNS1_3repE0EEENS1_30default_config_static_selectorELNS0_4arch9wavefront6targetE1EEEvT1_.kd
    .uniform_work_group_size: 1
    .uses_dynamic_stack: false
    .vgpr_count:     0
    .vgpr_spill_count: 0
    .wavefront_size: 64
  - .agpr_count:     0
    .args:
      - .offset:         0
        .size:           104
        .value_kind:     by_value
    .group_segment_fixed_size: 0
    .kernarg_segment_align: 8
    .kernarg_segment_size: 104
    .language:       OpenCL C
    .language_version:
      - 2
      - 0
    .max_flat_workgroup_size: 256
    .name:           _ZN7rocprim17ROCPRIM_400000_NS6detail17trampoline_kernelINS0_14default_configENS1_20scan_config_selectorIyEEZZNS1_9scan_implILNS1_25lookback_scan_determinismE0ELb1ELb1ES3_N6thrust23THRUST_200600_302600_NS6detail15normal_iteratorINS9_10device_ptrIyEEEESE_y11max_functorIyEyEEDaPvRmT3_T4_T5_mT6_P12ihipStream_tbENKUlT_T0_E_clISt17integral_constantIbLb0EEST_IbLb1EEEEDaSP_SQ_EUlSP_E_NS1_11comp_targetILNS1_3genE9ELNS1_11target_archE1100ELNS1_3gpuE3ELNS1_3repE0EEENS1_30default_config_static_selectorELNS0_4arch9wavefront6targetE1EEEvT1_
    .private_segment_fixed_size: 0
    .sgpr_count:     4
    .sgpr_spill_count: 0
    .symbol:         _ZN7rocprim17ROCPRIM_400000_NS6detail17trampoline_kernelINS0_14default_configENS1_20scan_config_selectorIyEEZZNS1_9scan_implILNS1_25lookback_scan_determinismE0ELb1ELb1ES3_N6thrust23THRUST_200600_302600_NS6detail15normal_iteratorINS9_10device_ptrIyEEEESE_y11max_functorIyEyEEDaPvRmT3_T4_T5_mT6_P12ihipStream_tbENKUlT_T0_E_clISt17integral_constantIbLb0EEST_IbLb1EEEEDaSP_SQ_EUlSP_E_NS1_11comp_targetILNS1_3genE9ELNS1_11target_archE1100ELNS1_3gpuE3ELNS1_3repE0EEENS1_30default_config_static_selectorELNS0_4arch9wavefront6targetE1EEEvT1_.kd
    .uniform_work_group_size: 1
    .uses_dynamic_stack: false
    .vgpr_count:     0
    .vgpr_spill_count: 0
    .wavefront_size: 64
  - .agpr_count:     0
    .args:
      - .offset:         0
        .size:           104
        .value_kind:     by_value
    .group_segment_fixed_size: 0
    .kernarg_segment_align: 8
    .kernarg_segment_size: 104
    .language:       OpenCL C
    .language_version:
      - 2
      - 0
    .max_flat_workgroup_size: 256
    .name:           _ZN7rocprim17ROCPRIM_400000_NS6detail17trampoline_kernelINS0_14default_configENS1_20scan_config_selectorIyEEZZNS1_9scan_implILNS1_25lookback_scan_determinismE0ELb1ELb1ES3_N6thrust23THRUST_200600_302600_NS6detail15normal_iteratorINS9_10device_ptrIyEEEESE_y11max_functorIyEyEEDaPvRmT3_T4_T5_mT6_P12ihipStream_tbENKUlT_T0_E_clISt17integral_constantIbLb0EEST_IbLb1EEEEDaSP_SQ_EUlSP_E_NS1_11comp_targetILNS1_3genE8ELNS1_11target_archE1030ELNS1_3gpuE2ELNS1_3repE0EEENS1_30default_config_static_selectorELNS0_4arch9wavefront6targetE1EEEvT1_
    .private_segment_fixed_size: 0
    .sgpr_count:     4
    .sgpr_spill_count: 0
    .symbol:         _ZN7rocprim17ROCPRIM_400000_NS6detail17trampoline_kernelINS0_14default_configENS1_20scan_config_selectorIyEEZZNS1_9scan_implILNS1_25lookback_scan_determinismE0ELb1ELb1ES3_N6thrust23THRUST_200600_302600_NS6detail15normal_iteratorINS9_10device_ptrIyEEEESE_y11max_functorIyEyEEDaPvRmT3_T4_T5_mT6_P12ihipStream_tbENKUlT_T0_E_clISt17integral_constantIbLb0EEST_IbLb1EEEEDaSP_SQ_EUlSP_E_NS1_11comp_targetILNS1_3genE8ELNS1_11target_archE1030ELNS1_3gpuE2ELNS1_3repE0EEENS1_30default_config_static_selectorELNS0_4arch9wavefront6targetE1EEEvT1_.kd
    .uniform_work_group_size: 1
    .uses_dynamic_stack: false
    .vgpr_count:     0
    .vgpr_spill_count: 0
    .wavefront_size: 64
  - .agpr_count:     0
    .args:
      - .offset:         0
        .size:           40
        .value_kind:     by_value
    .group_segment_fixed_size: 0
    .kernarg_segment_align: 8
    .kernarg_segment_size: 40
    .language:       OpenCL C
    .language_version:
      - 2
      - 0
    .max_flat_workgroup_size: 256
    .name:           _ZN7rocprim17ROCPRIM_400000_NS6detail17trampoline_kernelINS0_14default_configENS1_20scan_config_selectorIyEEZZNS1_9scan_implILNS1_25lookback_scan_determinismE0ELb1ELb1ES3_N6thrust23THRUST_200600_302600_NS6detail15normal_iteratorINS9_10device_ptrIyEEEESE_y11max_functorIyEyEEDaPvRmT3_T4_T5_mT6_P12ihipStream_tbENKUlT_T0_E_clISt17integral_constantIbLb0EEST_IbLb1EEEEDaSP_SQ_EUlSP_E0_NS1_11comp_targetILNS1_3genE0ELNS1_11target_archE4294967295ELNS1_3gpuE0ELNS1_3repE0EEENS1_30default_config_static_selectorELNS0_4arch9wavefront6targetE1EEEvT1_
    .private_segment_fixed_size: 0
    .sgpr_count:     4
    .sgpr_spill_count: 0
    .symbol:         _ZN7rocprim17ROCPRIM_400000_NS6detail17trampoline_kernelINS0_14default_configENS1_20scan_config_selectorIyEEZZNS1_9scan_implILNS1_25lookback_scan_determinismE0ELb1ELb1ES3_N6thrust23THRUST_200600_302600_NS6detail15normal_iteratorINS9_10device_ptrIyEEEESE_y11max_functorIyEyEEDaPvRmT3_T4_T5_mT6_P12ihipStream_tbENKUlT_T0_E_clISt17integral_constantIbLb0EEST_IbLb1EEEEDaSP_SQ_EUlSP_E0_NS1_11comp_targetILNS1_3genE0ELNS1_11target_archE4294967295ELNS1_3gpuE0ELNS1_3repE0EEENS1_30default_config_static_selectorELNS0_4arch9wavefront6targetE1EEEvT1_.kd
    .uniform_work_group_size: 1
    .uses_dynamic_stack: false
    .vgpr_count:     0
    .vgpr_spill_count: 0
    .wavefront_size: 64
  - .agpr_count:     0
    .args:
      - .offset:         0
        .size:           40
        .value_kind:     by_value
    .group_segment_fixed_size: 0
    .kernarg_segment_align: 8
    .kernarg_segment_size: 40
    .language:       OpenCL C
    .language_version:
      - 2
      - 0
    .max_flat_workgroup_size: 256
    .name:           _ZN7rocprim17ROCPRIM_400000_NS6detail17trampoline_kernelINS0_14default_configENS1_20scan_config_selectorIyEEZZNS1_9scan_implILNS1_25lookback_scan_determinismE0ELb1ELb1ES3_N6thrust23THRUST_200600_302600_NS6detail15normal_iteratorINS9_10device_ptrIyEEEESE_y11max_functorIyEyEEDaPvRmT3_T4_T5_mT6_P12ihipStream_tbENKUlT_T0_E_clISt17integral_constantIbLb0EEST_IbLb1EEEEDaSP_SQ_EUlSP_E0_NS1_11comp_targetILNS1_3genE5ELNS1_11target_archE942ELNS1_3gpuE9ELNS1_3repE0EEENS1_30default_config_static_selectorELNS0_4arch9wavefront6targetE1EEEvT1_
    .private_segment_fixed_size: 0
    .sgpr_count:     4
    .sgpr_spill_count: 0
    .symbol:         _ZN7rocprim17ROCPRIM_400000_NS6detail17trampoline_kernelINS0_14default_configENS1_20scan_config_selectorIyEEZZNS1_9scan_implILNS1_25lookback_scan_determinismE0ELb1ELb1ES3_N6thrust23THRUST_200600_302600_NS6detail15normal_iteratorINS9_10device_ptrIyEEEESE_y11max_functorIyEyEEDaPvRmT3_T4_T5_mT6_P12ihipStream_tbENKUlT_T0_E_clISt17integral_constantIbLb0EEST_IbLb1EEEEDaSP_SQ_EUlSP_E0_NS1_11comp_targetILNS1_3genE5ELNS1_11target_archE942ELNS1_3gpuE9ELNS1_3repE0EEENS1_30default_config_static_selectorELNS0_4arch9wavefront6targetE1EEEvT1_.kd
    .uniform_work_group_size: 1
    .uses_dynamic_stack: false
    .vgpr_count:     0
    .vgpr_spill_count: 0
    .wavefront_size: 64
  - .agpr_count:     0
    .args:
      - .offset:         0
        .size:           40
        .value_kind:     by_value
    .group_segment_fixed_size: 7168
    .kernarg_segment_align: 8
    .kernarg_segment_size: 40
    .language:       OpenCL C
    .language_version:
      - 2
      - 0
    .max_flat_workgroup_size: 128
    .name:           _ZN7rocprim17ROCPRIM_400000_NS6detail17trampoline_kernelINS0_14default_configENS1_20scan_config_selectorIyEEZZNS1_9scan_implILNS1_25lookback_scan_determinismE0ELb1ELb1ES3_N6thrust23THRUST_200600_302600_NS6detail15normal_iteratorINS9_10device_ptrIyEEEESE_y11max_functorIyEyEEDaPvRmT3_T4_T5_mT6_P12ihipStream_tbENKUlT_T0_E_clISt17integral_constantIbLb0EEST_IbLb1EEEEDaSP_SQ_EUlSP_E0_NS1_11comp_targetILNS1_3genE4ELNS1_11target_archE910ELNS1_3gpuE8ELNS1_3repE0EEENS1_30default_config_static_selectorELNS0_4arch9wavefront6targetE1EEEvT1_
    .private_segment_fixed_size: 0
    .sgpr_count:     28
    .sgpr_spill_count: 0
    .symbol:         _ZN7rocprim17ROCPRIM_400000_NS6detail17trampoline_kernelINS0_14default_configENS1_20scan_config_selectorIyEEZZNS1_9scan_implILNS1_25lookback_scan_determinismE0ELb1ELb1ES3_N6thrust23THRUST_200600_302600_NS6detail15normal_iteratorINS9_10device_ptrIyEEEESE_y11max_functorIyEyEEDaPvRmT3_T4_T5_mT6_P12ihipStream_tbENKUlT_T0_E_clISt17integral_constantIbLb0EEST_IbLb1EEEEDaSP_SQ_EUlSP_E0_NS1_11comp_targetILNS1_3genE4ELNS1_11target_archE910ELNS1_3gpuE8ELNS1_3repE0EEENS1_30default_config_static_selectorELNS0_4arch9wavefront6targetE1EEEvT1_.kd
    .uniform_work_group_size: 1
    .uses_dynamic_stack: false
    .vgpr_count:     30
    .vgpr_spill_count: 0
    .wavefront_size: 64
  - .agpr_count:     0
    .args:
      - .offset:         0
        .size:           40
        .value_kind:     by_value
    .group_segment_fixed_size: 0
    .kernarg_segment_align: 8
    .kernarg_segment_size: 40
    .language:       OpenCL C
    .language_version:
      - 2
      - 0
    .max_flat_workgroup_size: 256
    .name:           _ZN7rocprim17ROCPRIM_400000_NS6detail17trampoline_kernelINS0_14default_configENS1_20scan_config_selectorIyEEZZNS1_9scan_implILNS1_25lookback_scan_determinismE0ELb1ELb1ES3_N6thrust23THRUST_200600_302600_NS6detail15normal_iteratorINS9_10device_ptrIyEEEESE_y11max_functorIyEyEEDaPvRmT3_T4_T5_mT6_P12ihipStream_tbENKUlT_T0_E_clISt17integral_constantIbLb0EEST_IbLb1EEEEDaSP_SQ_EUlSP_E0_NS1_11comp_targetILNS1_3genE3ELNS1_11target_archE908ELNS1_3gpuE7ELNS1_3repE0EEENS1_30default_config_static_selectorELNS0_4arch9wavefront6targetE1EEEvT1_
    .private_segment_fixed_size: 0
    .sgpr_count:     4
    .sgpr_spill_count: 0
    .symbol:         _ZN7rocprim17ROCPRIM_400000_NS6detail17trampoline_kernelINS0_14default_configENS1_20scan_config_selectorIyEEZZNS1_9scan_implILNS1_25lookback_scan_determinismE0ELb1ELb1ES3_N6thrust23THRUST_200600_302600_NS6detail15normal_iteratorINS9_10device_ptrIyEEEESE_y11max_functorIyEyEEDaPvRmT3_T4_T5_mT6_P12ihipStream_tbENKUlT_T0_E_clISt17integral_constantIbLb0EEST_IbLb1EEEEDaSP_SQ_EUlSP_E0_NS1_11comp_targetILNS1_3genE3ELNS1_11target_archE908ELNS1_3gpuE7ELNS1_3repE0EEENS1_30default_config_static_selectorELNS0_4arch9wavefront6targetE1EEEvT1_.kd
    .uniform_work_group_size: 1
    .uses_dynamic_stack: false
    .vgpr_count:     0
    .vgpr_spill_count: 0
    .wavefront_size: 64
  - .agpr_count:     0
    .args:
      - .offset:         0
        .size:           40
        .value_kind:     by_value
    .group_segment_fixed_size: 0
    .kernarg_segment_align: 8
    .kernarg_segment_size: 40
    .language:       OpenCL C
    .language_version:
      - 2
      - 0
    .max_flat_workgroup_size: 64
    .name:           _ZN7rocprim17ROCPRIM_400000_NS6detail17trampoline_kernelINS0_14default_configENS1_20scan_config_selectorIyEEZZNS1_9scan_implILNS1_25lookback_scan_determinismE0ELb1ELb1ES3_N6thrust23THRUST_200600_302600_NS6detail15normal_iteratorINS9_10device_ptrIyEEEESE_y11max_functorIyEyEEDaPvRmT3_T4_T5_mT6_P12ihipStream_tbENKUlT_T0_E_clISt17integral_constantIbLb0EEST_IbLb1EEEEDaSP_SQ_EUlSP_E0_NS1_11comp_targetILNS1_3genE2ELNS1_11target_archE906ELNS1_3gpuE6ELNS1_3repE0EEENS1_30default_config_static_selectorELNS0_4arch9wavefront6targetE1EEEvT1_
    .private_segment_fixed_size: 0
    .sgpr_count:     4
    .sgpr_spill_count: 0
    .symbol:         _ZN7rocprim17ROCPRIM_400000_NS6detail17trampoline_kernelINS0_14default_configENS1_20scan_config_selectorIyEEZZNS1_9scan_implILNS1_25lookback_scan_determinismE0ELb1ELb1ES3_N6thrust23THRUST_200600_302600_NS6detail15normal_iteratorINS9_10device_ptrIyEEEESE_y11max_functorIyEyEEDaPvRmT3_T4_T5_mT6_P12ihipStream_tbENKUlT_T0_E_clISt17integral_constantIbLb0EEST_IbLb1EEEEDaSP_SQ_EUlSP_E0_NS1_11comp_targetILNS1_3genE2ELNS1_11target_archE906ELNS1_3gpuE6ELNS1_3repE0EEENS1_30default_config_static_selectorELNS0_4arch9wavefront6targetE1EEEvT1_.kd
    .uniform_work_group_size: 1
    .uses_dynamic_stack: false
    .vgpr_count:     0
    .vgpr_spill_count: 0
    .wavefront_size: 64
  - .agpr_count:     0
    .args:
      - .offset:         0
        .size:           40
        .value_kind:     by_value
    .group_segment_fixed_size: 0
    .kernarg_segment_align: 8
    .kernarg_segment_size: 40
    .language:       OpenCL C
    .language_version:
      - 2
      - 0
    .max_flat_workgroup_size: 256
    .name:           _ZN7rocprim17ROCPRIM_400000_NS6detail17trampoline_kernelINS0_14default_configENS1_20scan_config_selectorIyEEZZNS1_9scan_implILNS1_25lookback_scan_determinismE0ELb1ELb1ES3_N6thrust23THRUST_200600_302600_NS6detail15normal_iteratorINS9_10device_ptrIyEEEESE_y11max_functorIyEyEEDaPvRmT3_T4_T5_mT6_P12ihipStream_tbENKUlT_T0_E_clISt17integral_constantIbLb0EEST_IbLb1EEEEDaSP_SQ_EUlSP_E0_NS1_11comp_targetILNS1_3genE10ELNS1_11target_archE1201ELNS1_3gpuE5ELNS1_3repE0EEENS1_30default_config_static_selectorELNS0_4arch9wavefront6targetE1EEEvT1_
    .private_segment_fixed_size: 0
    .sgpr_count:     4
    .sgpr_spill_count: 0
    .symbol:         _ZN7rocprim17ROCPRIM_400000_NS6detail17trampoline_kernelINS0_14default_configENS1_20scan_config_selectorIyEEZZNS1_9scan_implILNS1_25lookback_scan_determinismE0ELb1ELb1ES3_N6thrust23THRUST_200600_302600_NS6detail15normal_iteratorINS9_10device_ptrIyEEEESE_y11max_functorIyEyEEDaPvRmT3_T4_T5_mT6_P12ihipStream_tbENKUlT_T0_E_clISt17integral_constantIbLb0EEST_IbLb1EEEEDaSP_SQ_EUlSP_E0_NS1_11comp_targetILNS1_3genE10ELNS1_11target_archE1201ELNS1_3gpuE5ELNS1_3repE0EEENS1_30default_config_static_selectorELNS0_4arch9wavefront6targetE1EEEvT1_.kd
    .uniform_work_group_size: 1
    .uses_dynamic_stack: false
    .vgpr_count:     0
    .vgpr_spill_count: 0
    .wavefront_size: 64
  - .agpr_count:     0
    .args:
      - .offset:         0
        .size:           40
        .value_kind:     by_value
    .group_segment_fixed_size: 0
    .kernarg_segment_align: 8
    .kernarg_segment_size: 40
    .language:       OpenCL C
    .language_version:
      - 2
      - 0
    .max_flat_workgroup_size: 256
    .name:           _ZN7rocprim17ROCPRIM_400000_NS6detail17trampoline_kernelINS0_14default_configENS1_20scan_config_selectorIyEEZZNS1_9scan_implILNS1_25lookback_scan_determinismE0ELb1ELb1ES3_N6thrust23THRUST_200600_302600_NS6detail15normal_iteratorINS9_10device_ptrIyEEEESE_y11max_functorIyEyEEDaPvRmT3_T4_T5_mT6_P12ihipStream_tbENKUlT_T0_E_clISt17integral_constantIbLb0EEST_IbLb1EEEEDaSP_SQ_EUlSP_E0_NS1_11comp_targetILNS1_3genE10ELNS1_11target_archE1200ELNS1_3gpuE4ELNS1_3repE0EEENS1_30default_config_static_selectorELNS0_4arch9wavefront6targetE1EEEvT1_
    .private_segment_fixed_size: 0
    .sgpr_count:     4
    .sgpr_spill_count: 0
    .symbol:         _ZN7rocprim17ROCPRIM_400000_NS6detail17trampoline_kernelINS0_14default_configENS1_20scan_config_selectorIyEEZZNS1_9scan_implILNS1_25lookback_scan_determinismE0ELb1ELb1ES3_N6thrust23THRUST_200600_302600_NS6detail15normal_iteratorINS9_10device_ptrIyEEEESE_y11max_functorIyEyEEDaPvRmT3_T4_T5_mT6_P12ihipStream_tbENKUlT_T0_E_clISt17integral_constantIbLb0EEST_IbLb1EEEEDaSP_SQ_EUlSP_E0_NS1_11comp_targetILNS1_3genE10ELNS1_11target_archE1200ELNS1_3gpuE4ELNS1_3repE0EEENS1_30default_config_static_selectorELNS0_4arch9wavefront6targetE1EEEvT1_.kd
    .uniform_work_group_size: 1
    .uses_dynamic_stack: false
    .vgpr_count:     0
    .vgpr_spill_count: 0
    .wavefront_size: 64
  - .agpr_count:     0
    .args:
      - .offset:         0
        .size:           40
        .value_kind:     by_value
    .group_segment_fixed_size: 0
    .kernarg_segment_align: 8
    .kernarg_segment_size: 40
    .language:       OpenCL C
    .language_version:
      - 2
      - 0
    .max_flat_workgroup_size: 256
    .name:           _ZN7rocprim17ROCPRIM_400000_NS6detail17trampoline_kernelINS0_14default_configENS1_20scan_config_selectorIyEEZZNS1_9scan_implILNS1_25lookback_scan_determinismE0ELb1ELb1ES3_N6thrust23THRUST_200600_302600_NS6detail15normal_iteratorINS9_10device_ptrIyEEEESE_y11max_functorIyEyEEDaPvRmT3_T4_T5_mT6_P12ihipStream_tbENKUlT_T0_E_clISt17integral_constantIbLb0EEST_IbLb1EEEEDaSP_SQ_EUlSP_E0_NS1_11comp_targetILNS1_3genE9ELNS1_11target_archE1100ELNS1_3gpuE3ELNS1_3repE0EEENS1_30default_config_static_selectorELNS0_4arch9wavefront6targetE1EEEvT1_
    .private_segment_fixed_size: 0
    .sgpr_count:     4
    .sgpr_spill_count: 0
    .symbol:         _ZN7rocprim17ROCPRIM_400000_NS6detail17trampoline_kernelINS0_14default_configENS1_20scan_config_selectorIyEEZZNS1_9scan_implILNS1_25lookback_scan_determinismE0ELb1ELb1ES3_N6thrust23THRUST_200600_302600_NS6detail15normal_iteratorINS9_10device_ptrIyEEEESE_y11max_functorIyEyEEDaPvRmT3_T4_T5_mT6_P12ihipStream_tbENKUlT_T0_E_clISt17integral_constantIbLb0EEST_IbLb1EEEEDaSP_SQ_EUlSP_E0_NS1_11comp_targetILNS1_3genE9ELNS1_11target_archE1100ELNS1_3gpuE3ELNS1_3repE0EEENS1_30default_config_static_selectorELNS0_4arch9wavefront6targetE1EEEvT1_.kd
    .uniform_work_group_size: 1
    .uses_dynamic_stack: false
    .vgpr_count:     0
    .vgpr_spill_count: 0
    .wavefront_size: 64
  - .agpr_count:     0
    .args:
      - .offset:         0
        .size:           40
        .value_kind:     by_value
    .group_segment_fixed_size: 0
    .kernarg_segment_align: 8
    .kernarg_segment_size: 40
    .language:       OpenCL C
    .language_version:
      - 2
      - 0
    .max_flat_workgroup_size: 256
    .name:           _ZN7rocprim17ROCPRIM_400000_NS6detail17trampoline_kernelINS0_14default_configENS1_20scan_config_selectorIyEEZZNS1_9scan_implILNS1_25lookback_scan_determinismE0ELb1ELb1ES3_N6thrust23THRUST_200600_302600_NS6detail15normal_iteratorINS9_10device_ptrIyEEEESE_y11max_functorIyEyEEDaPvRmT3_T4_T5_mT6_P12ihipStream_tbENKUlT_T0_E_clISt17integral_constantIbLb0EEST_IbLb1EEEEDaSP_SQ_EUlSP_E0_NS1_11comp_targetILNS1_3genE8ELNS1_11target_archE1030ELNS1_3gpuE2ELNS1_3repE0EEENS1_30default_config_static_selectorELNS0_4arch9wavefront6targetE1EEEvT1_
    .private_segment_fixed_size: 0
    .sgpr_count:     4
    .sgpr_spill_count: 0
    .symbol:         _ZN7rocprim17ROCPRIM_400000_NS6detail17trampoline_kernelINS0_14default_configENS1_20scan_config_selectorIyEEZZNS1_9scan_implILNS1_25lookback_scan_determinismE0ELb1ELb1ES3_N6thrust23THRUST_200600_302600_NS6detail15normal_iteratorINS9_10device_ptrIyEEEESE_y11max_functorIyEyEEDaPvRmT3_T4_T5_mT6_P12ihipStream_tbENKUlT_T0_E_clISt17integral_constantIbLb0EEST_IbLb1EEEEDaSP_SQ_EUlSP_E0_NS1_11comp_targetILNS1_3genE8ELNS1_11target_archE1030ELNS1_3gpuE2ELNS1_3repE0EEENS1_30default_config_static_selectorELNS0_4arch9wavefront6targetE1EEEvT1_.kd
    .uniform_work_group_size: 1
    .uses_dynamic_stack: false
    .vgpr_count:     0
    .vgpr_spill_count: 0
    .wavefront_size: 64
  - .agpr_count:     0
    .args:
      - .offset:         0
        .size:           16
        .value_kind:     by_value
      - .offset:         16
        .size:           8
        .value_kind:     by_value
      - .offset:         24
        .size:           8
        .value_kind:     by_value
    .group_segment_fixed_size: 0
    .kernarg_segment_align: 8
    .kernarg_segment_size: 32
    .language:       OpenCL C
    .language_version:
      - 2
      - 0
    .max_flat_workgroup_size: 256
    .name:           _ZN6thrust23THRUST_200600_302600_NS11hip_rocprim14__parallel_for6kernelILj256ENS1_20__uninitialized_fill7functorINS0_10device_ptrIjEEjEEmLj1EEEvT0_T1_SA_
    .private_segment_fixed_size: 0
    .sgpr_count:     16
    .sgpr_spill_count: 0
    .symbol:         _ZN6thrust23THRUST_200600_302600_NS11hip_rocprim14__parallel_for6kernelILj256ENS1_20__uninitialized_fill7functorINS0_10device_ptrIjEEjEEmLj1EEEvT0_T1_SA_.kd
    .uniform_work_group_size: 1
    .uses_dynamic_stack: false
    .vgpr_count:     4
    .vgpr_spill_count: 0
    .wavefront_size: 64
  - .agpr_count:     0
    .args:
      - .address_space:  global
        .offset:         0
        .size:           8
        .value_kind:     global_buffer
      - .offset:         8
        .size:           4
        .value_kind:     by_value
      - .offset:         12
        .size:           1
        .value_kind:     by_value
      - .offset:         16
        .size:           4
        .value_kind:     by_value
      - .address_space:  global
        .offset:         24
        .size:           8
        .value_kind:     global_buffer
      - .offset:         32
        .size:           4
        .value_kind:     hidden_block_count_x
      - .offset:         36
        .size:           4
        .value_kind:     hidden_block_count_y
      - .offset:         40
        .size:           4
        .value_kind:     hidden_block_count_z
      - .offset:         44
        .size:           2
        .value_kind:     hidden_group_size_x
      - .offset:         46
        .size:           2
        .value_kind:     hidden_group_size_y
      - .offset:         48
        .size:           2
        .value_kind:     hidden_group_size_z
      - .offset:         50
        .size:           2
        .value_kind:     hidden_remainder_x
      - .offset:         52
        .size:           2
        .value_kind:     hidden_remainder_y
      - .offset:         54
        .size:           2
        .value_kind:     hidden_remainder_z
      - .offset:         72
        .size:           8
        .value_kind:     hidden_global_offset_x
      - .offset:         80
        .size:           8
        .value_kind:     hidden_global_offset_y
      - .offset:         88
        .size:           8
        .value_kind:     hidden_global_offset_z
      - .offset:         96
        .size:           2
        .value_kind:     hidden_grid_dims
    .group_segment_fixed_size: 0
    .kernarg_segment_align: 8
    .kernarg_segment_size: 288
    .language:       OpenCL C
    .language_version:
      - 2
      - 0
    .max_flat_workgroup_size: 256
    .name:           _ZN7rocprim17ROCPRIM_400000_NS6detail31init_lookback_scan_state_kernelINS1_19lookback_scan_stateIjLb0ELb1EEENS1_16block_id_wrapperIjLb0EEEEEvT_jT0_jPNS7_10value_typeE
    .private_segment_fixed_size: 0
    .sgpr_count:     13
    .sgpr_spill_count: 0
    .symbol:         _ZN7rocprim17ROCPRIM_400000_NS6detail31init_lookback_scan_state_kernelINS1_19lookback_scan_stateIjLb0ELb1EEENS1_16block_id_wrapperIjLb0EEEEEvT_jT0_jPNS7_10value_typeE.kd
    .uniform_work_group_size: 1
    .uses_dynamic_stack: false
    .vgpr_count:     6
    .vgpr_spill_count: 0
    .wavefront_size: 64
  - .agpr_count:     0
    .args:
      - .offset:         0
        .size:           96
        .value_kind:     by_value
    .group_segment_fixed_size: 0
    .kernarg_segment_align: 8
    .kernarg_segment_size: 96
    .language:       OpenCL C
    .language_version:
      - 2
      - 0
    .max_flat_workgroup_size: 256
    .name:           _ZN7rocprim17ROCPRIM_400000_NS6detail17trampoline_kernelINS0_14default_configENS1_20scan_config_selectorIjEEZZNS1_9scan_implILNS1_25lookback_scan_determinismE0ELb0ELb0ES3_N6thrust23THRUST_200600_302600_NS6detail15normal_iteratorINS9_10device_ptrIjEEEESE_j11max_functorIjEjEEDaPvRmT3_T4_T5_mT6_P12ihipStream_tbENKUlT_T0_E_clISt17integral_constantIbLb0EESU_EEDaSP_SQ_EUlSP_E_NS1_11comp_targetILNS1_3genE0ELNS1_11target_archE4294967295ELNS1_3gpuE0ELNS1_3repE0EEENS1_30default_config_static_selectorELNS0_4arch9wavefront6targetE1EEEvT1_
    .private_segment_fixed_size: 0
    .sgpr_count:     4
    .sgpr_spill_count: 0
    .symbol:         _ZN7rocprim17ROCPRIM_400000_NS6detail17trampoline_kernelINS0_14default_configENS1_20scan_config_selectorIjEEZZNS1_9scan_implILNS1_25lookback_scan_determinismE0ELb0ELb0ES3_N6thrust23THRUST_200600_302600_NS6detail15normal_iteratorINS9_10device_ptrIjEEEESE_j11max_functorIjEjEEDaPvRmT3_T4_T5_mT6_P12ihipStream_tbENKUlT_T0_E_clISt17integral_constantIbLb0EESU_EEDaSP_SQ_EUlSP_E_NS1_11comp_targetILNS1_3genE0ELNS1_11target_archE4294967295ELNS1_3gpuE0ELNS1_3repE0EEENS1_30default_config_static_selectorELNS0_4arch9wavefront6targetE1EEEvT1_.kd
    .uniform_work_group_size: 1
    .uses_dynamic_stack: false
    .vgpr_count:     0
    .vgpr_spill_count: 0
    .wavefront_size: 64
  - .agpr_count:     0
    .args:
      - .offset:         0
        .size:           96
        .value_kind:     by_value
    .group_segment_fixed_size: 0
    .kernarg_segment_align: 8
    .kernarg_segment_size: 96
    .language:       OpenCL C
    .language_version:
      - 2
      - 0
    .max_flat_workgroup_size: 256
    .name:           _ZN7rocprim17ROCPRIM_400000_NS6detail17trampoline_kernelINS0_14default_configENS1_20scan_config_selectorIjEEZZNS1_9scan_implILNS1_25lookback_scan_determinismE0ELb0ELb0ES3_N6thrust23THRUST_200600_302600_NS6detail15normal_iteratorINS9_10device_ptrIjEEEESE_j11max_functorIjEjEEDaPvRmT3_T4_T5_mT6_P12ihipStream_tbENKUlT_T0_E_clISt17integral_constantIbLb0EESU_EEDaSP_SQ_EUlSP_E_NS1_11comp_targetILNS1_3genE5ELNS1_11target_archE942ELNS1_3gpuE9ELNS1_3repE0EEENS1_30default_config_static_selectorELNS0_4arch9wavefront6targetE1EEEvT1_
    .private_segment_fixed_size: 0
    .sgpr_count:     4
    .sgpr_spill_count: 0
    .symbol:         _ZN7rocprim17ROCPRIM_400000_NS6detail17trampoline_kernelINS0_14default_configENS1_20scan_config_selectorIjEEZZNS1_9scan_implILNS1_25lookback_scan_determinismE0ELb0ELb0ES3_N6thrust23THRUST_200600_302600_NS6detail15normal_iteratorINS9_10device_ptrIjEEEESE_j11max_functorIjEjEEDaPvRmT3_T4_T5_mT6_P12ihipStream_tbENKUlT_T0_E_clISt17integral_constantIbLb0EESU_EEDaSP_SQ_EUlSP_E_NS1_11comp_targetILNS1_3genE5ELNS1_11target_archE942ELNS1_3gpuE9ELNS1_3repE0EEENS1_30default_config_static_selectorELNS0_4arch9wavefront6targetE1EEEvT1_.kd
    .uniform_work_group_size: 1
    .uses_dynamic_stack: false
    .vgpr_count:     0
    .vgpr_spill_count: 0
    .wavefront_size: 64
  - .agpr_count:     0
    .args:
      - .offset:         0
        .size:           96
        .value_kind:     by_value
    .group_segment_fixed_size: 5120
    .kernarg_segment_align: 8
    .kernarg_segment_size: 96
    .language:       OpenCL C
    .language_version:
      - 2
      - 0
    .max_flat_workgroup_size: 128
    .name:           _ZN7rocprim17ROCPRIM_400000_NS6detail17trampoline_kernelINS0_14default_configENS1_20scan_config_selectorIjEEZZNS1_9scan_implILNS1_25lookback_scan_determinismE0ELb0ELb0ES3_N6thrust23THRUST_200600_302600_NS6detail15normal_iteratorINS9_10device_ptrIjEEEESE_j11max_functorIjEjEEDaPvRmT3_T4_T5_mT6_P12ihipStream_tbENKUlT_T0_E_clISt17integral_constantIbLb0EESU_EEDaSP_SQ_EUlSP_E_NS1_11comp_targetILNS1_3genE4ELNS1_11target_archE910ELNS1_3gpuE8ELNS1_3repE0EEENS1_30default_config_static_selectorELNS0_4arch9wavefront6targetE1EEEvT1_
    .private_segment_fixed_size: 0
    .sgpr_count:     32
    .sgpr_spill_count: 0
    .symbol:         _ZN7rocprim17ROCPRIM_400000_NS6detail17trampoline_kernelINS0_14default_configENS1_20scan_config_selectorIjEEZZNS1_9scan_implILNS1_25lookback_scan_determinismE0ELb0ELb0ES3_N6thrust23THRUST_200600_302600_NS6detail15normal_iteratorINS9_10device_ptrIjEEEESE_j11max_functorIjEjEEDaPvRmT3_T4_T5_mT6_P12ihipStream_tbENKUlT_T0_E_clISt17integral_constantIbLb0EESU_EEDaSP_SQ_EUlSP_E_NS1_11comp_targetILNS1_3genE4ELNS1_11target_archE910ELNS1_3gpuE8ELNS1_3repE0EEENS1_30default_config_static_selectorELNS0_4arch9wavefront6targetE1EEEvT1_.kd
    .uniform_work_group_size: 1
    .uses_dynamic_stack: false
    .vgpr_count:     40
    .vgpr_spill_count: 0
    .wavefront_size: 64
  - .agpr_count:     0
    .args:
      - .offset:         0
        .size:           96
        .value_kind:     by_value
    .group_segment_fixed_size: 0
    .kernarg_segment_align: 8
    .kernarg_segment_size: 96
    .language:       OpenCL C
    .language_version:
      - 2
      - 0
    .max_flat_workgroup_size: 256
    .name:           _ZN7rocprim17ROCPRIM_400000_NS6detail17trampoline_kernelINS0_14default_configENS1_20scan_config_selectorIjEEZZNS1_9scan_implILNS1_25lookback_scan_determinismE0ELb0ELb0ES3_N6thrust23THRUST_200600_302600_NS6detail15normal_iteratorINS9_10device_ptrIjEEEESE_j11max_functorIjEjEEDaPvRmT3_T4_T5_mT6_P12ihipStream_tbENKUlT_T0_E_clISt17integral_constantIbLb0EESU_EEDaSP_SQ_EUlSP_E_NS1_11comp_targetILNS1_3genE3ELNS1_11target_archE908ELNS1_3gpuE7ELNS1_3repE0EEENS1_30default_config_static_selectorELNS0_4arch9wavefront6targetE1EEEvT1_
    .private_segment_fixed_size: 0
    .sgpr_count:     4
    .sgpr_spill_count: 0
    .symbol:         _ZN7rocprim17ROCPRIM_400000_NS6detail17trampoline_kernelINS0_14default_configENS1_20scan_config_selectorIjEEZZNS1_9scan_implILNS1_25lookback_scan_determinismE0ELb0ELb0ES3_N6thrust23THRUST_200600_302600_NS6detail15normal_iteratorINS9_10device_ptrIjEEEESE_j11max_functorIjEjEEDaPvRmT3_T4_T5_mT6_P12ihipStream_tbENKUlT_T0_E_clISt17integral_constantIbLb0EESU_EEDaSP_SQ_EUlSP_E_NS1_11comp_targetILNS1_3genE3ELNS1_11target_archE908ELNS1_3gpuE7ELNS1_3repE0EEENS1_30default_config_static_selectorELNS0_4arch9wavefront6targetE1EEEvT1_.kd
    .uniform_work_group_size: 1
    .uses_dynamic_stack: false
    .vgpr_count:     0
    .vgpr_spill_count: 0
    .wavefront_size: 64
  - .agpr_count:     0
    .args:
      - .offset:         0
        .size:           96
        .value_kind:     by_value
    .group_segment_fixed_size: 0
    .kernarg_segment_align: 8
    .kernarg_segment_size: 96
    .language:       OpenCL C
    .language_version:
      - 2
      - 0
    .max_flat_workgroup_size: 256
    .name:           _ZN7rocprim17ROCPRIM_400000_NS6detail17trampoline_kernelINS0_14default_configENS1_20scan_config_selectorIjEEZZNS1_9scan_implILNS1_25lookback_scan_determinismE0ELb0ELb0ES3_N6thrust23THRUST_200600_302600_NS6detail15normal_iteratorINS9_10device_ptrIjEEEESE_j11max_functorIjEjEEDaPvRmT3_T4_T5_mT6_P12ihipStream_tbENKUlT_T0_E_clISt17integral_constantIbLb0EESU_EEDaSP_SQ_EUlSP_E_NS1_11comp_targetILNS1_3genE2ELNS1_11target_archE906ELNS1_3gpuE6ELNS1_3repE0EEENS1_30default_config_static_selectorELNS0_4arch9wavefront6targetE1EEEvT1_
    .private_segment_fixed_size: 0
    .sgpr_count:     4
    .sgpr_spill_count: 0
    .symbol:         _ZN7rocprim17ROCPRIM_400000_NS6detail17trampoline_kernelINS0_14default_configENS1_20scan_config_selectorIjEEZZNS1_9scan_implILNS1_25lookback_scan_determinismE0ELb0ELb0ES3_N6thrust23THRUST_200600_302600_NS6detail15normal_iteratorINS9_10device_ptrIjEEEESE_j11max_functorIjEjEEDaPvRmT3_T4_T5_mT6_P12ihipStream_tbENKUlT_T0_E_clISt17integral_constantIbLb0EESU_EEDaSP_SQ_EUlSP_E_NS1_11comp_targetILNS1_3genE2ELNS1_11target_archE906ELNS1_3gpuE6ELNS1_3repE0EEENS1_30default_config_static_selectorELNS0_4arch9wavefront6targetE1EEEvT1_.kd
    .uniform_work_group_size: 1
    .uses_dynamic_stack: false
    .vgpr_count:     0
    .vgpr_spill_count: 0
    .wavefront_size: 64
  - .agpr_count:     0
    .args:
      - .offset:         0
        .size:           96
        .value_kind:     by_value
    .group_segment_fixed_size: 0
    .kernarg_segment_align: 8
    .kernarg_segment_size: 96
    .language:       OpenCL C
    .language_version:
      - 2
      - 0
    .max_flat_workgroup_size: 256
    .name:           _ZN7rocprim17ROCPRIM_400000_NS6detail17trampoline_kernelINS0_14default_configENS1_20scan_config_selectorIjEEZZNS1_9scan_implILNS1_25lookback_scan_determinismE0ELb0ELb0ES3_N6thrust23THRUST_200600_302600_NS6detail15normal_iteratorINS9_10device_ptrIjEEEESE_j11max_functorIjEjEEDaPvRmT3_T4_T5_mT6_P12ihipStream_tbENKUlT_T0_E_clISt17integral_constantIbLb0EESU_EEDaSP_SQ_EUlSP_E_NS1_11comp_targetILNS1_3genE10ELNS1_11target_archE1201ELNS1_3gpuE5ELNS1_3repE0EEENS1_30default_config_static_selectorELNS0_4arch9wavefront6targetE1EEEvT1_
    .private_segment_fixed_size: 0
    .sgpr_count:     4
    .sgpr_spill_count: 0
    .symbol:         _ZN7rocprim17ROCPRIM_400000_NS6detail17trampoline_kernelINS0_14default_configENS1_20scan_config_selectorIjEEZZNS1_9scan_implILNS1_25lookback_scan_determinismE0ELb0ELb0ES3_N6thrust23THRUST_200600_302600_NS6detail15normal_iteratorINS9_10device_ptrIjEEEESE_j11max_functorIjEjEEDaPvRmT3_T4_T5_mT6_P12ihipStream_tbENKUlT_T0_E_clISt17integral_constantIbLb0EESU_EEDaSP_SQ_EUlSP_E_NS1_11comp_targetILNS1_3genE10ELNS1_11target_archE1201ELNS1_3gpuE5ELNS1_3repE0EEENS1_30default_config_static_selectorELNS0_4arch9wavefront6targetE1EEEvT1_.kd
    .uniform_work_group_size: 1
    .uses_dynamic_stack: false
    .vgpr_count:     0
    .vgpr_spill_count: 0
    .wavefront_size: 64
  - .agpr_count:     0
    .args:
      - .offset:         0
        .size:           96
        .value_kind:     by_value
    .group_segment_fixed_size: 0
    .kernarg_segment_align: 8
    .kernarg_segment_size: 96
    .language:       OpenCL C
    .language_version:
      - 2
      - 0
    .max_flat_workgroup_size: 256
    .name:           _ZN7rocprim17ROCPRIM_400000_NS6detail17trampoline_kernelINS0_14default_configENS1_20scan_config_selectorIjEEZZNS1_9scan_implILNS1_25lookback_scan_determinismE0ELb0ELb0ES3_N6thrust23THRUST_200600_302600_NS6detail15normal_iteratorINS9_10device_ptrIjEEEESE_j11max_functorIjEjEEDaPvRmT3_T4_T5_mT6_P12ihipStream_tbENKUlT_T0_E_clISt17integral_constantIbLb0EESU_EEDaSP_SQ_EUlSP_E_NS1_11comp_targetILNS1_3genE10ELNS1_11target_archE1200ELNS1_3gpuE4ELNS1_3repE0EEENS1_30default_config_static_selectorELNS0_4arch9wavefront6targetE1EEEvT1_
    .private_segment_fixed_size: 0
    .sgpr_count:     4
    .sgpr_spill_count: 0
    .symbol:         _ZN7rocprim17ROCPRIM_400000_NS6detail17trampoline_kernelINS0_14default_configENS1_20scan_config_selectorIjEEZZNS1_9scan_implILNS1_25lookback_scan_determinismE0ELb0ELb0ES3_N6thrust23THRUST_200600_302600_NS6detail15normal_iteratorINS9_10device_ptrIjEEEESE_j11max_functorIjEjEEDaPvRmT3_T4_T5_mT6_P12ihipStream_tbENKUlT_T0_E_clISt17integral_constantIbLb0EESU_EEDaSP_SQ_EUlSP_E_NS1_11comp_targetILNS1_3genE10ELNS1_11target_archE1200ELNS1_3gpuE4ELNS1_3repE0EEENS1_30default_config_static_selectorELNS0_4arch9wavefront6targetE1EEEvT1_.kd
    .uniform_work_group_size: 1
    .uses_dynamic_stack: false
    .vgpr_count:     0
    .vgpr_spill_count: 0
    .wavefront_size: 64
  - .agpr_count:     0
    .args:
      - .offset:         0
        .size:           96
        .value_kind:     by_value
    .group_segment_fixed_size: 0
    .kernarg_segment_align: 8
    .kernarg_segment_size: 96
    .language:       OpenCL C
    .language_version:
      - 2
      - 0
    .max_flat_workgroup_size: 256
    .name:           _ZN7rocprim17ROCPRIM_400000_NS6detail17trampoline_kernelINS0_14default_configENS1_20scan_config_selectorIjEEZZNS1_9scan_implILNS1_25lookback_scan_determinismE0ELb0ELb0ES3_N6thrust23THRUST_200600_302600_NS6detail15normal_iteratorINS9_10device_ptrIjEEEESE_j11max_functorIjEjEEDaPvRmT3_T4_T5_mT6_P12ihipStream_tbENKUlT_T0_E_clISt17integral_constantIbLb0EESU_EEDaSP_SQ_EUlSP_E_NS1_11comp_targetILNS1_3genE9ELNS1_11target_archE1100ELNS1_3gpuE3ELNS1_3repE0EEENS1_30default_config_static_selectorELNS0_4arch9wavefront6targetE1EEEvT1_
    .private_segment_fixed_size: 0
    .sgpr_count:     4
    .sgpr_spill_count: 0
    .symbol:         _ZN7rocprim17ROCPRIM_400000_NS6detail17trampoline_kernelINS0_14default_configENS1_20scan_config_selectorIjEEZZNS1_9scan_implILNS1_25lookback_scan_determinismE0ELb0ELb0ES3_N6thrust23THRUST_200600_302600_NS6detail15normal_iteratorINS9_10device_ptrIjEEEESE_j11max_functorIjEjEEDaPvRmT3_T4_T5_mT6_P12ihipStream_tbENKUlT_T0_E_clISt17integral_constantIbLb0EESU_EEDaSP_SQ_EUlSP_E_NS1_11comp_targetILNS1_3genE9ELNS1_11target_archE1100ELNS1_3gpuE3ELNS1_3repE0EEENS1_30default_config_static_selectorELNS0_4arch9wavefront6targetE1EEEvT1_.kd
    .uniform_work_group_size: 1
    .uses_dynamic_stack: false
    .vgpr_count:     0
    .vgpr_spill_count: 0
    .wavefront_size: 64
  - .agpr_count:     0
    .args:
      - .offset:         0
        .size:           96
        .value_kind:     by_value
    .group_segment_fixed_size: 0
    .kernarg_segment_align: 8
    .kernarg_segment_size: 96
    .language:       OpenCL C
    .language_version:
      - 2
      - 0
    .max_flat_workgroup_size: 64
    .name:           _ZN7rocprim17ROCPRIM_400000_NS6detail17trampoline_kernelINS0_14default_configENS1_20scan_config_selectorIjEEZZNS1_9scan_implILNS1_25lookback_scan_determinismE0ELb0ELb0ES3_N6thrust23THRUST_200600_302600_NS6detail15normal_iteratorINS9_10device_ptrIjEEEESE_j11max_functorIjEjEEDaPvRmT3_T4_T5_mT6_P12ihipStream_tbENKUlT_T0_E_clISt17integral_constantIbLb0EESU_EEDaSP_SQ_EUlSP_E_NS1_11comp_targetILNS1_3genE8ELNS1_11target_archE1030ELNS1_3gpuE2ELNS1_3repE0EEENS1_30default_config_static_selectorELNS0_4arch9wavefront6targetE1EEEvT1_
    .private_segment_fixed_size: 0
    .sgpr_count:     4
    .sgpr_spill_count: 0
    .symbol:         _ZN7rocprim17ROCPRIM_400000_NS6detail17trampoline_kernelINS0_14default_configENS1_20scan_config_selectorIjEEZZNS1_9scan_implILNS1_25lookback_scan_determinismE0ELb0ELb0ES3_N6thrust23THRUST_200600_302600_NS6detail15normal_iteratorINS9_10device_ptrIjEEEESE_j11max_functorIjEjEEDaPvRmT3_T4_T5_mT6_P12ihipStream_tbENKUlT_T0_E_clISt17integral_constantIbLb0EESU_EEDaSP_SQ_EUlSP_E_NS1_11comp_targetILNS1_3genE8ELNS1_11target_archE1030ELNS1_3gpuE2ELNS1_3repE0EEENS1_30default_config_static_selectorELNS0_4arch9wavefront6targetE1EEEvT1_.kd
    .uniform_work_group_size: 1
    .uses_dynamic_stack: false
    .vgpr_count:     0
    .vgpr_spill_count: 0
    .wavefront_size: 64
  - .agpr_count:     0
    .args:
      - .offset:         0
        .size:           40
        .value_kind:     by_value
    .group_segment_fixed_size: 0
    .kernarg_segment_align: 8
    .kernarg_segment_size: 40
    .language:       OpenCL C
    .language_version:
      - 2
      - 0
    .max_flat_workgroup_size: 128
    .name:           _ZN7rocprim17ROCPRIM_400000_NS6detail17trampoline_kernelINS0_14default_configENS1_25transform_config_selectorIjLb1EEEZNS1_14transform_implILb1ES3_S5_PjS7_NS0_8identityIjEEEE10hipError_tT2_T3_mT4_P12ihipStream_tbEUlT_E_NS1_11comp_targetILNS1_3genE0ELNS1_11target_archE4294967295ELNS1_3gpuE0ELNS1_3repE0EEENS1_30default_config_static_selectorELNS0_4arch9wavefront6targetE1EEEvT1_
    .private_segment_fixed_size: 0
    .sgpr_count:     4
    .sgpr_spill_count: 0
    .symbol:         _ZN7rocprim17ROCPRIM_400000_NS6detail17trampoline_kernelINS0_14default_configENS1_25transform_config_selectorIjLb1EEEZNS1_14transform_implILb1ES3_S5_PjS7_NS0_8identityIjEEEE10hipError_tT2_T3_mT4_P12ihipStream_tbEUlT_E_NS1_11comp_targetILNS1_3genE0ELNS1_11target_archE4294967295ELNS1_3gpuE0ELNS1_3repE0EEENS1_30default_config_static_selectorELNS0_4arch9wavefront6targetE1EEEvT1_.kd
    .uniform_work_group_size: 1
    .uses_dynamic_stack: false
    .vgpr_count:     0
    .vgpr_spill_count: 0
    .wavefront_size: 64
  - .agpr_count:     0
    .args:
      - .offset:         0
        .size:           40
        .value_kind:     by_value
    .group_segment_fixed_size: 0
    .kernarg_segment_align: 8
    .kernarg_segment_size: 40
    .language:       OpenCL C
    .language_version:
      - 2
      - 0
    .max_flat_workgroup_size: 1024
    .name:           _ZN7rocprim17ROCPRIM_400000_NS6detail17trampoline_kernelINS0_14default_configENS1_25transform_config_selectorIjLb1EEEZNS1_14transform_implILb1ES3_S5_PjS7_NS0_8identityIjEEEE10hipError_tT2_T3_mT4_P12ihipStream_tbEUlT_E_NS1_11comp_targetILNS1_3genE10ELNS1_11target_archE1201ELNS1_3gpuE5ELNS1_3repE0EEENS1_30default_config_static_selectorELNS0_4arch9wavefront6targetE1EEEvT1_
    .private_segment_fixed_size: 0
    .sgpr_count:     4
    .sgpr_spill_count: 0
    .symbol:         _ZN7rocprim17ROCPRIM_400000_NS6detail17trampoline_kernelINS0_14default_configENS1_25transform_config_selectorIjLb1EEEZNS1_14transform_implILb1ES3_S5_PjS7_NS0_8identityIjEEEE10hipError_tT2_T3_mT4_P12ihipStream_tbEUlT_E_NS1_11comp_targetILNS1_3genE10ELNS1_11target_archE1201ELNS1_3gpuE5ELNS1_3repE0EEENS1_30default_config_static_selectorELNS0_4arch9wavefront6targetE1EEEvT1_.kd
    .uniform_work_group_size: 1
    .uses_dynamic_stack: false
    .vgpr_count:     0
    .vgpr_spill_count: 0
    .wavefront_size: 64
  - .agpr_count:     0
    .args:
      - .offset:         0
        .size:           40
        .value_kind:     by_value
    .group_segment_fixed_size: 0
    .kernarg_segment_align: 8
    .kernarg_segment_size: 40
    .language:       OpenCL C
    .language_version:
      - 2
      - 0
    .max_flat_workgroup_size: 256
    .name:           _ZN7rocprim17ROCPRIM_400000_NS6detail17trampoline_kernelINS0_14default_configENS1_25transform_config_selectorIjLb1EEEZNS1_14transform_implILb1ES3_S5_PjS7_NS0_8identityIjEEEE10hipError_tT2_T3_mT4_P12ihipStream_tbEUlT_E_NS1_11comp_targetILNS1_3genE5ELNS1_11target_archE942ELNS1_3gpuE9ELNS1_3repE0EEENS1_30default_config_static_selectorELNS0_4arch9wavefront6targetE1EEEvT1_
    .private_segment_fixed_size: 0
    .sgpr_count:     4
    .sgpr_spill_count: 0
    .symbol:         _ZN7rocprim17ROCPRIM_400000_NS6detail17trampoline_kernelINS0_14default_configENS1_25transform_config_selectorIjLb1EEEZNS1_14transform_implILb1ES3_S5_PjS7_NS0_8identityIjEEEE10hipError_tT2_T3_mT4_P12ihipStream_tbEUlT_E_NS1_11comp_targetILNS1_3genE5ELNS1_11target_archE942ELNS1_3gpuE9ELNS1_3repE0EEENS1_30default_config_static_selectorELNS0_4arch9wavefront6targetE1EEEvT1_.kd
    .uniform_work_group_size: 1
    .uses_dynamic_stack: false
    .vgpr_count:     0
    .vgpr_spill_count: 0
    .wavefront_size: 64
  - .agpr_count:     0
    .args:
      - .offset:         0
        .size:           40
        .value_kind:     by_value
      - .offset:         40
        .size:           4
        .value_kind:     hidden_block_count_x
      - .offset:         44
        .size:           4
        .value_kind:     hidden_block_count_y
      - .offset:         48
        .size:           4
        .value_kind:     hidden_block_count_z
      - .offset:         52
        .size:           2
        .value_kind:     hidden_group_size_x
      - .offset:         54
        .size:           2
        .value_kind:     hidden_group_size_y
      - .offset:         56
        .size:           2
        .value_kind:     hidden_group_size_z
      - .offset:         58
        .size:           2
        .value_kind:     hidden_remainder_x
      - .offset:         60
        .size:           2
        .value_kind:     hidden_remainder_y
      - .offset:         62
        .size:           2
        .value_kind:     hidden_remainder_z
      - .offset:         80
        .size:           8
        .value_kind:     hidden_global_offset_x
      - .offset:         88
        .size:           8
        .value_kind:     hidden_global_offset_y
      - .offset:         96
        .size:           8
        .value_kind:     hidden_global_offset_z
      - .offset:         104
        .size:           2
        .value_kind:     hidden_grid_dims
    .group_segment_fixed_size: 0
    .kernarg_segment_align: 8
    .kernarg_segment_size: 296
    .language:       OpenCL C
    .language_version:
      - 2
      - 0
    .max_flat_workgroup_size: 1024
    .name:           _ZN7rocprim17ROCPRIM_400000_NS6detail17trampoline_kernelINS0_14default_configENS1_25transform_config_selectorIjLb1EEEZNS1_14transform_implILb1ES3_S5_PjS7_NS0_8identityIjEEEE10hipError_tT2_T3_mT4_P12ihipStream_tbEUlT_E_NS1_11comp_targetILNS1_3genE4ELNS1_11target_archE910ELNS1_3gpuE8ELNS1_3repE0EEENS1_30default_config_static_selectorELNS0_4arch9wavefront6targetE1EEEvT1_
    .private_segment_fixed_size: 0
    .sgpr_count:     20
    .sgpr_spill_count: 0
    .symbol:         _ZN7rocprim17ROCPRIM_400000_NS6detail17trampoline_kernelINS0_14default_configENS1_25transform_config_selectorIjLb1EEEZNS1_14transform_implILb1ES3_S5_PjS7_NS0_8identityIjEEEE10hipError_tT2_T3_mT4_P12ihipStream_tbEUlT_E_NS1_11comp_targetILNS1_3genE4ELNS1_11target_archE910ELNS1_3gpuE8ELNS1_3repE0EEENS1_30default_config_static_selectorELNS0_4arch9wavefront6targetE1EEEvT1_.kd
    .uniform_work_group_size: 1
    .uses_dynamic_stack: false
    .vgpr_count:     8
    .vgpr_spill_count: 0
    .wavefront_size: 64
  - .agpr_count:     0
    .args:
      - .offset:         0
        .size:           40
        .value_kind:     by_value
    .group_segment_fixed_size: 0
    .kernarg_segment_align: 8
    .kernarg_segment_size: 40
    .language:       OpenCL C
    .language_version:
      - 2
      - 0
    .max_flat_workgroup_size: 128
    .name:           _ZN7rocprim17ROCPRIM_400000_NS6detail17trampoline_kernelINS0_14default_configENS1_25transform_config_selectorIjLb1EEEZNS1_14transform_implILb1ES3_S5_PjS7_NS0_8identityIjEEEE10hipError_tT2_T3_mT4_P12ihipStream_tbEUlT_E_NS1_11comp_targetILNS1_3genE3ELNS1_11target_archE908ELNS1_3gpuE7ELNS1_3repE0EEENS1_30default_config_static_selectorELNS0_4arch9wavefront6targetE1EEEvT1_
    .private_segment_fixed_size: 0
    .sgpr_count:     4
    .sgpr_spill_count: 0
    .symbol:         _ZN7rocprim17ROCPRIM_400000_NS6detail17trampoline_kernelINS0_14default_configENS1_25transform_config_selectorIjLb1EEEZNS1_14transform_implILb1ES3_S5_PjS7_NS0_8identityIjEEEE10hipError_tT2_T3_mT4_P12ihipStream_tbEUlT_E_NS1_11comp_targetILNS1_3genE3ELNS1_11target_archE908ELNS1_3gpuE7ELNS1_3repE0EEENS1_30default_config_static_selectorELNS0_4arch9wavefront6targetE1EEEvT1_.kd
    .uniform_work_group_size: 1
    .uses_dynamic_stack: false
    .vgpr_count:     0
    .vgpr_spill_count: 0
    .wavefront_size: 64
  - .agpr_count:     0
    .args:
      - .offset:         0
        .size:           40
        .value_kind:     by_value
    .group_segment_fixed_size: 0
    .kernarg_segment_align: 8
    .kernarg_segment_size: 40
    .language:       OpenCL C
    .language_version:
      - 2
      - 0
    .max_flat_workgroup_size: 1024
    .name:           _ZN7rocprim17ROCPRIM_400000_NS6detail17trampoline_kernelINS0_14default_configENS1_25transform_config_selectorIjLb1EEEZNS1_14transform_implILb1ES3_S5_PjS7_NS0_8identityIjEEEE10hipError_tT2_T3_mT4_P12ihipStream_tbEUlT_E_NS1_11comp_targetILNS1_3genE2ELNS1_11target_archE906ELNS1_3gpuE6ELNS1_3repE0EEENS1_30default_config_static_selectorELNS0_4arch9wavefront6targetE1EEEvT1_
    .private_segment_fixed_size: 0
    .sgpr_count:     4
    .sgpr_spill_count: 0
    .symbol:         _ZN7rocprim17ROCPRIM_400000_NS6detail17trampoline_kernelINS0_14default_configENS1_25transform_config_selectorIjLb1EEEZNS1_14transform_implILb1ES3_S5_PjS7_NS0_8identityIjEEEE10hipError_tT2_T3_mT4_P12ihipStream_tbEUlT_E_NS1_11comp_targetILNS1_3genE2ELNS1_11target_archE906ELNS1_3gpuE6ELNS1_3repE0EEENS1_30default_config_static_selectorELNS0_4arch9wavefront6targetE1EEEvT1_.kd
    .uniform_work_group_size: 1
    .uses_dynamic_stack: false
    .vgpr_count:     0
    .vgpr_spill_count: 0
    .wavefront_size: 64
  - .agpr_count:     0
    .args:
      - .offset:         0
        .size:           40
        .value_kind:     by_value
    .group_segment_fixed_size: 0
    .kernarg_segment_align: 8
    .kernarg_segment_size: 40
    .language:       OpenCL C
    .language_version:
      - 2
      - 0
    .max_flat_workgroup_size: 1024
    .name:           _ZN7rocprim17ROCPRIM_400000_NS6detail17trampoline_kernelINS0_14default_configENS1_25transform_config_selectorIjLb1EEEZNS1_14transform_implILb1ES3_S5_PjS7_NS0_8identityIjEEEE10hipError_tT2_T3_mT4_P12ihipStream_tbEUlT_E_NS1_11comp_targetILNS1_3genE9ELNS1_11target_archE1100ELNS1_3gpuE3ELNS1_3repE0EEENS1_30default_config_static_selectorELNS0_4arch9wavefront6targetE1EEEvT1_
    .private_segment_fixed_size: 0
    .sgpr_count:     4
    .sgpr_spill_count: 0
    .symbol:         _ZN7rocprim17ROCPRIM_400000_NS6detail17trampoline_kernelINS0_14default_configENS1_25transform_config_selectorIjLb1EEEZNS1_14transform_implILb1ES3_S5_PjS7_NS0_8identityIjEEEE10hipError_tT2_T3_mT4_P12ihipStream_tbEUlT_E_NS1_11comp_targetILNS1_3genE9ELNS1_11target_archE1100ELNS1_3gpuE3ELNS1_3repE0EEENS1_30default_config_static_selectorELNS0_4arch9wavefront6targetE1EEEvT1_.kd
    .uniform_work_group_size: 1
    .uses_dynamic_stack: false
    .vgpr_count:     0
    .vgpr_spill_count: 0
    .wavefront_size: 64
  - .agpr_count:     0
    .args:
      - .offset:         0
        .size:           40
        .value_kind:     by_value
    .group_segment_fixed_size: 0
    .kernarg_segment_align: 8
    .kernarg_segment_size: 40
    .language:       OpenCL C
    .language_version:
      - 2
      - 0
    .max_flat_workgroup_size: 1024
    .name:           _ZN7rocprim17ROCPRIM_400000_NS6detail17trampoline_kernelINS0_14default_configENS1_25transform_config_selectorIjLb1EEEZNS1_14transform_implILb1ES3_S5_PjS7_NS0_8identityIjEEEE10hipError_tT2_T3_mT4_P12ihipStream_tbEUlT_E_NS1_11comp_targetILNS1_3genE8ELNS1_11target_archE1030ELNS1_3gpuE2ELNS1_3repE0EEENS1_30default_config_static_selectorELNS0_4arch9wavefront6targetE1EEEvT1_
    .private_segment_fixed_size: 0
    .sgpr_count:     4
    .sgpr_spill_count: 0
    .symbol:         _ZN7rocprim17ROCPRIM_400000_NS6detail17trampoline_kernelINS0_14default_configENS1_25transform_config_selectorIjLb1EEEZNS1_14transform_implILb1ES3_S5_PjS7_NS0_8identityIjEEEE10hipError_tT2_T3_mT4_P12ihipStream_tbEUlT_E_NS1_11comp_targetILNS1_3genE8ELNS1_11target_archE1030ELNS1_3gpuE2ELNS1_3repE0EEENS1_30default_config_static_selectorELNS0_4arch9wavefront6targetE1EEEvT1_.kd
    .uniform_work_group_size: 1
    .uses_dynamic_stack: false
    .vgpr_count:     0
    .vgpr_spill_count: 0
    .wavefront_size: 64
  - .agpr_count:     0
    .args:
      - .offset:         0
        .size:           32
        .value_kind:     by_value
    .group_segment_fixed_size: 0
    .kernarg_segment_align: 8
    .kernarg_segment_size: 32
    .language:       OpenCL C
    .language_version:
      - 2
      - 0
    .max_flat_workgroup_size: 256
    .name:           _ZN7rocprim17ROCPRIM_400000_NS6detail17trampoline_kernelINS0_14default_configENS1_20scan_config_selectorIjEEZZNS1_9scan_implILNS1_25lookback_scan_determinismE0ELb0ELb0ES3_N6thrust23THRUST_200600_302600_NS6detail15normal_iteratorINS9_10device_ptrIjEEEESE_j11max_functorIjEjEEDaPvRmT3_T4_T5_mT6_P12ihipStream_tbENKUlT_T0_E_clISt17integral_constantIbLb0EESU_EEDaSP_SQ_EUlSP_E0_NS1_11comp_targetILNS1_3genE0ELNS1_11target_archE4294967295ELNS1_3gpuE0ELNS1_3repE0EEENS1_30default_config_static_selectorELNS0_4arch9wavefront6targetE1EEEvT1_
    .private_segment_fixed_size: 0
    .sgpr_count:     4
    .sgpr_spill_count: 0
    .symbol:         _ZN7rocprim17ROCPRIM_400000_NS6detail17trampoline_kernelINS0_14default_configENS1_20scan_config_selectorIjEEZZNS1_9scan_implILNS1_25lookback_scan_determinismE0ELb0ELb0ES3_N6thrust23THRUST_200600_302600_NS6detail15normal_iteratorINS9_10device_ptrIjEEEESE_j11max_functorIjEjEEDaPvRmT3_T4_T5_mT6_P12ihipStream_tbENKUlT_T0_E_clISt17integral_constantIbLb0EESU_EEDaSP_SQ_EUlSP_E0_NS1_11comp_targetILNS1_3genE0ELNS1_11target_archE4294967295ELNS1_3gpuE0ELNS1_3repE0EEENS1_30default_config_static_selectorELNS0_4arch9wavefront6targetE1EEEvT1_.kd
    .uniform_work_group_size: 1
    .uses_dynamic_stack: false
    .vgpr_count:     0
    .vgpr_spill_count: 0
    .wavefront_size: 64
  - .agpr_count:     0
    .args:
      - .offset:         0
        .size:           32
        .value_kind:     by_value
    .group_segment_fixed_size: 0
    .kernarg_segment_align: 8
    .kernarg_segment_size: 32
    .language:       OpenCL C
    .language_version:
      - 2
      - 0
    .max_flat_workgroup_size: 256
    .name:           _ZN7rocprim17ROCPRIM_400000_NS6detail17trampoline_kernelINS0_14default_configENS1_20scan_config_selectorIjEEZZNS1_9scan_implILNS1_25lookback_scan_determinismE0ELb0ELb0ES3_N6thrust23THRUST_200600_302600_NS6detail15normal_iteratorINS9_10device_ptrIjEEEESE_j11max_functorIjEjEEDaPvRmT3_T4_T5_mT6_P12ihipStream_tbENKUlT_T0_E_clISt17integral_constantIbLb0EESU_EEDaSP_SQ_EUlSP_E0_NS1_11comp_targetILNS1_3genE5ELNS1_11target_archE942ELNS1_3gpuE9ELNS1_3repE0EEENS1_30default_config_static_selectorELNS0_4arch9wavefront6targetE1EEEvT1_
    .private_segment_fixed_size: 0
    .sgpr_count:     4
    .sgpr_spill_count: 0
    .symbol:         _ZN7rocprim17ROCPRIM_400000_NS6detail17trampoline_kernelINS0_14default_configENS1_20scan_config_selectorIjEEZZNS1_9scan_implILNS1_25lookback_scan_determinismE0ELb0ELb0ES3_N6thrust23THRUST_200600_302600_NS6detail15normal_iteratorINS9_10device_ptrIjEEEESE_j11max_functorIjEjEEDaPvRmT3_T4_T5_mT6_P12ihipStream_tbENKUlT_T0_E_clISt17integral_constantIbLb0EESU_EEDaSP_SQ_EUlSP_E0_NS1_11comp_targetILNS1_3genE5ELNS1_11target_archE942ELNS1_3gpuE9ELNS1_3repE0EEENS1_30default_config_static_selectorELNS0_4arch9wavefront6targetE1EEEvT1_.kd
    .uniform_work_group_size: 1
    .uses_dynamic_stack: false
    .vgpr_count:     0
    .vgpr_spill_count: 0
    .wavefront_size: 64
  - .agpr_count:     0
    .args:
      - .offset:         0
        .size:           32
        .value_kind:     by_value
    .group_segment_fixed_size: 5120
    .kernarg_segment_align: 8
    .kernarg_segment_size: 32
    .language:       OpenCL C
    .language_version:
      - 2
      - 0
    .max_flat_workgroup_size: 128
    .name:           _ZN7rocprim17ROCPRIM_400000_NS6detail17trampoline_kernelINS0_14default_configENS1_20scan_config_selectorIjEEZZNS1_9scan_implILNS1_25lookback_scan_determinismE0ELb0ELb0ES3_N6thrust23THRUST_200600_302600_NS6detail15normal_iteratorINS9_10device_ptrIjEEEESE_j11max_functorIjEjEEDaPvRmT3_T4_T5_mT6_P12ihipStream_tbENKUlT_T0_E_clISt17integral_constantIbLb0EESU_EEDaSP_SQ_EUlSP_E0_NS1_11comp_targetILNS1_3genE4ELNS1_11target_archE910ELNS1_3gpuE8ELNS1_3repE0EEENS1_30default_config_static_selectorELNS0_4arch9wavefront6targetE1EEEvT1_
    .private_segment_fixed_size: 0
    .sgpr_count:     28
    .sgpr_spill_count: 0
    .symbol:         _ZN7rocprim17ROCPRIM_400000_NS6detail17trampoline_kernelINS0_14default_configENS1_20scan_config_selectorIjEEZZNS1_9scan_implILNS1_25lookback_scan_determinismE0ELb0ELb0ES3_N6thrust23THRUST_200600_302600_NS6detail15normal_iteratorINS9_10device_ptrIjEEEESE_j11max_functorIjEjEEDaPvRmT3_T4_T5_mT6_P12ihipStream_tbENKUlT_T0_E_clISt17integral_constantIbLb0EESU_EEDaSP_SQ_EUlSP_E0_NS1_11comp_targetILNS1_3genE4ELNS1_11target_archE910ELNS1_3gpuE8ELNS1_3repE0EEENS1_30default_config_static_selectorELNS0_4arch9wavefront6targetE1EEEvT1_.kd
    .uniform_work_group_size: 1
    .uses_dynamic_stack: false
    .vgpr_count:     28
    .vgpr_spill_count: 0
    .wavefront_size: 64
  - .agpr_count:     0
    .args:
      - .offset:         0
        .size:           32
        .value_kind:     by_value
    .group_segment_fixed_size: 0
    .kernarg_segment_align: 8
    .kernarg_segment_size: 32
    .language:       OpenCL C
    .language_version:
      - 2
      - 0
    .max_flat_workgroup_size: 256
    .name:           _ZN7rocprim17ROCPRIM_400000_NS6detail17trampoline_kernelINS0_14default_configENS1_20scan_config_selectorIjEEZZNS1_9scan_implILNS1_25lookback_scan_determinismE0ELb0ELb0ES3_N6thrust23THRUST_200600_302600_NS6detail15normal_iteratorINS9_10device_ptrIjEEEESE_j11max_functorIjEjEEDaPvRmT3_T4_T5_mT6_P12ihipStream_tbENKUlT_T0_E_clISt17integral_constantIbLb0EESU_EEDaSP_SQ_EUlSP_E0_NS1_11comp_targetILNS1_3genE3ELNS1_11target_archE908ELNS1_3gpuE7ELNS1_3repE0EEENS1_30default_config_static_selectorELNS0_4arch9wavefront6targetE1EEEvT1_
    .private_segment_fixed_size: 0
    .sgpr_count:     4
    .sgpr_spill_count: 0
    .symbol:         _ZN7rocprim17ROCPRIM_400000_NS6detail17trampoline_kernelINS0_14default_configENS1_20scan_config_selectorIjEEZZNS1_9scan_implILNS1_25lookback_scan_determinismE0ELb0ELb0ES3_N6thrust23THRUST_200600_302600_NS6detail15normal_iteratorINS9_10device_ptrIjEEEESE_j11max_functorIjEjEEDaPvRmT3_T4_T5_mT6_P12ihipStream_tbENKUlT_T0_E_clISt17integral_constantIbLb0EESU_EEDaSP_SQ_EUlSP_E0_NS1_11comp_targetILNS1_3genE3ELNS1_11target_archE908ELNS1_3gpuE7ELNS1_3repE0EEENS1_30default_config_static_selectorELNS0_4arch9wavefront6targetE1EEEvT1_.kd
    .uniform_work_group_size: 1
    .uses_dynamic_stack: false
    .vgpr_count:     0
    .vgpr_spill_count: 0
    .wavefront_size: 64
  - .agpr_count:     0
    .args:
      - .offset:         0
        .size:           32
        .value_kind:     by_value
    .group_segment_fixed_size: 0
    .kernarg_segment_align: 8
    .kernarg_segment_size: 32
    .language:       OpenCL C
    .language_version:
      - 2
      - 0
    .max_flat_workgroup_size: 256
    .name:           _ZN7rocprim17ROCPRIM_400000_NS6detail17trampoline_kernelINS0_14default_configENS1_20scan_config_selectorIjEEZZNS1_9scan_implILNS1_25lookback_scan_determinismE0ELb0ELb0ES3_N6thrust23THRUST_200600_302600_NS6detail15normal_iteratorINS9_10device_ptrIjEEEESE_j11max_functorIjEjEEDaPvRmT3_T4_T5_mT6_P12ihipStream_tbENKUlT_T0_E_clISt17integral_constantIbLb0EESU_EEDaSP_SQ_EUlSP_E0_NS1_11comp_targetILNS1_3genE2ELNS1_11target_archE906ELNS1_3gpuE6ELNS1_3repE0EEENS1_30default_config_static_selectorELNS0_4arch9wavefront6targetE1EEEvT1_
    .private_segment_fixed_size: 0
    .sgpr_count:     4
    .sgpr_spill_count: 0
    .symbol:         _ZN7rocprim17ROCPRIM_400000_NS6detail17trampoline_kernelINS0_14default_configENS1_20scan_config_selectorIjEEZZNS1_9scan_implILNS1_25lookback_scan_determinismE0ELb0ELb0ES3_N6thrust23THRUST_200600_302600_NS6detail15normal_iteratorINS9_10device_ptrIjEEEESE_j11max_functorIjEjEEDaPvRmT3_T4_T5_mT6_P12ihipStream_tbENKUlT_T0_E_clISt17integral_constantIbLb0EESU_EEDaSP_SQ_EUlSP_E0_NS1_11comp_targetILNS1_3genE2ELNS1_11target_archE906ELNS1_3gpuE6ELNS1_3repE0EEENS1_30default_config_static_selectorELNS0_4arch9wavefront6targetE1EEEvT1_.kd
    .uniform_work_group_size: 1
    .uses_dynamic_stack: false
    .vgpr_count:     0
    .vgpr_spill_count: 0
    .wavefront_size: 64
  - .agpr_count:     0
    .args:
      - .offset:         0
        .size:           32
        .value_kind:     by_value
    .group_segment_fixed_size: 0
    .kernarg_segment_align: 8
    .kernarg_segment_size: 32
    .language:       OpenCL C
    .language_version:
      - 2
      - 0
    .max_flat_workgroup_size: 256
    .name:           _ZN7rocprim17ROCPRIM_400000_NS6detail17trampoline_kernelINS0_14default_configENS1_20scan_config_selectorIjEEZZNS1_9scan_implILNS1_25lookback_scan_determinismE0ELb0ELb0ES3_N6thrust23THRUST_200600_302600_NS6detail15normal_iteratorINS9_10device_ptrIjEEEESE_j11max_functorIjEjEEDaPvRmT3_T4_T5_mT6_P12ihipStream_tbENKUlT_T0_E_clISt17integral_constantIbLb0EESU_EEDaSP_SQ_EUlSP_E0_NS1_11comp_targetILNS1_3genE10ELNS1_11target_archE1201ELNS1_3gpuE5ELNS1_3repE0EEENS1_30default_config_static_selectorELNS0_4arch9wavefront6targetE1EEEvT1_
    .private_segment_fixed_size: 0
    .sgpr_count:     4
    .sgpr_spill_count: 0
    .symbol:         _ZN7rocprim17ROCPRIM_400000_NS6detail17trampoline_kernelINS0_14default_configENS1_20scan_config_selectorIjEEZZNS1_9scan_implILNS1_25lookback_scan_determinismE0ELb0ELb0ES3_N6thrust23THRUST_200600_302600_NS6detail15normal_iteratorINS9_10device_ptrIjEEEESE_j11max_functorIjEjEEDaPvRmT3_T4_T5_mT6_P12ihipStream_tbENKUlT_T0_E_clISt17integral_constantIbLb0EESU_EEDaSP_SQ_EUlSP_E0_NS1_11comp_targetILNS1_3genE10ELNS1_11target_archE1201ELNS1_3gpuE5ELNS1_3repE0EEENS1_30default_config_static_selectorELNS0_4arch9wavefront6targetE1EEEvT1_.kd
    .uniform_work_group_size: 1
    .uses_dynamic_stack: false
    .vgpr_count:     0
    .vgpr_spill_count: 0
    .wavefront_size: 64
  - .agpr_count:     0
    .args:
      - .offset:         0
        .size:           32
        .value_kind:     by_value
    .group_segment_fixed_size: 0
    .kernarg_segment_align: 8
    .kernarg_segment_size: 32
    .language:       OpenCL C
    .language_version:
      - 2
      - 0
    .max_flat_workgroup_size: 256
    .name:           _ZN7rocprim17ROCPRIM_400000_NS6detail17trampoline_kernelINS0_14default_configENS1_20scan_config_selectorIjEEZZNS1_9scan_implILNS1_25lookback_scan_determinismE0ELb0ELb0ES3_N6thrust23THRUST_200600_302600_NS6detail15normal_iteratorINS9_10device_ptrIjEEEESE_j11max_functorIjEjEEDaPvRmT3_T4_T5_mT6_P12ihipStream_tbENKUlT_T0_E_clISt17integral_constantIbLb0EESU_EEDaSP_SQ_EUlSP_E0_NS1_11comp_targetILNS1_3genE10ELNS1_11target_archE1200ELNS1_3gpuE4ELNS1_3repE0EEENS1_30default_config_static_selectorELNS0_4arch9wavefront6targetE1EEEvT1_
    .private_segment_fixed_size: 0
    .sgpr_count:     4
    .sgpr_spill_count: 0
    .symbol:         _ZN7rocprim17ROCPRIM_400000_NS6detail17trampoline_kernelINS0_14default_configENS1_20scan_config_selectorIjEEZZNS1_9scan_implILNS1_25lookback_scan_determinismE0ELb0ELb0ES3_N6thrust23THRUST_200600_302600_NS6detail15normal_iteratorINS9_10device_ptrIjEEEESE_j11max_functorIjEjEEDaPvRmT3_T4_T5_mT6_P12ihipStream_tbENKUlT_T0_E_clISt17integral_constantIbLb0EESU_EEDaSP_SQ_EUlSP_E0_NS1_11comp_targetILNS1_3genE10ELNS1_11target_archE1200ELNS1_3gpuE4ELNS1_3repE0EEENS1_30default_config_static_selectorELNS0_4arch9wavefront6targetE1EEEvT1_.kd
    .uniform_work_group_size: 1
    .uses_dynamic_stack: false
    .vgpr_count:     0
    .vgpr_spill_count: 0
    .wavefront_size: 64
  - .agpr_count:     0
    .args:
      - .offset:         0
        .size:           32
        .value_kind:     by_value
    .group_segment_fixed_size: 0
    .kernarg_segment_align: 8
    .kernarg_segment_size: 32
    .language:       OpenCL C
    .language_version:
      - 2
      - 0
    .max_flat_workgroup_size: 256
    .name:           _ZN7rocprim17ROCPRIM_400000_NS6detail17trampoline_kernelINS0_14default_configENS1_20scan_config_selectorIjEEZZNS1_9scan_implILNS1_25lookback_scan_determinismE0ELb0ELb0ES3_N6thrust23THRUST_200600_302600_NS6detail15normal_iteratorINS9_10device_ptrIjEEEESE_j11max_functorIjEjEEDaPvRmT3_T4_T5_mT6_P12ihipStream_tbENKUlT_T0_E_clISt17integral_constantIbLb0EESU_EEDaSP_SQ_EUlSP_E0_NS1_11comp_targetILNS1_3genE9ELNS1_11target_archE1100ELNS1_3gpuE3ELNS1_3repE0EEENS1_30default_config_static_selectorELNS0_4arch9wavefront6targetE1EEEvT1_
    .private_segment_fixed_size: 0
    .sgpr_count:     4
    .sgpr_spill_count: 0
    .symbol:         _ZN7rocprim17ROCPRIM_400000_NS6detail17trampoline_kernelINS0_14default_configENS1_20scan_config_selectorIjEEZZNS1_9scan_implILNS1_25lookback_scan_determinismE0ELb0ELb0ES3_N6thrust23THRUST_200600_302600_NS6detail15normal_iteratorINS9_10device_ptrIjEEEESE_j11max_functorIjEjEEDaPvRmT3_T4_T5_mT6_P12ihipStream_tbENKUlT_T0_E_clISt17integral_constantIbLb0EESU_EEDaSP_SQ_EUlSP_E0_NS1_11comp_targetILNS1_3genE9ELNS1_11target_archE1100ELNS1_3gpuE3ELNS1_3repE0EEENS1_30default_config_static_selectorELNS0_4arch9wavefront6targetE1EEEvT1_.kd
    .uniform_work_group_size: 1
    .uses_dynamic_stack: false
    .vgpr_count:     0
    .vgpr_spill_count: 0
    .wavefront_size: 64
  - .agpr_count:     0
    .args:
      - .offset:         0
        .size:           32
        .value_kind:     by_value
    .group_segment_fixed_size: 0
    .kernarg_segment_align: 8
    .kernarg_segment_size: 32
    .language:       OpenCL C
    .language_version:
      - 2
      - 0
    .max_flat_workgroup_size: 64
    .name:           _ZN7rocprim17ROCPRIM_400000_NS6detail17trampoline_kernelINS0_14default_configENS1_20scan_config_selectorIjEEZZNS1_9scan_implILNS1_25lookback_scan_determinismE0ELb0ELb0ES3_N6thrust23THRUST_200600_302600_NS6detail15normal_iteratorINS9_10device_ptrIjEEEESE_j11max_functorIjEjEEDaPvRmT3_T4_T5_mT6_P12ihipStream_tbENKUlT_T0_E_clISt17integral_constantIbLb0EESU_EEDaSP_SQ_EUlSP_E0_NS1_11comp_targetILNS1_3genE8ELNS1_11target_archE1030ELNS1_3gpuE2ELNS1_3repE0EEENS1_30default_config_static_selectorELNS0_4arch9wavefront6targetE1EEEvT1_
    .private_segment_fixed_size: 0
    .sgpr_count:     4
    .sgpr_spill_count: 0
    .symbol:         _ZN7rocprim17ROCPRIM_400000_NS6detail17trampoline_kernelINS0_14default_configENS1_20scan_config_selectorIjEEZZNS1_9scan_implILNS1_25lookback_scan_determinismE0ELb0ELb0ES3_N6thrust23THRUST_200600_302600_NS6detail15normal_iteratorINS9_10device_ptrIjEEEESE_j11max_functorIjEjEEDaPvRmT3_T4_T5_mT6_P12ihipStream_tbENKUlT_T0_E_clISt17integral_constantIbLb0EESU_EEDaSP_SQ_EUlSP_E0_NS1_11comp_targetILNS1_3genE8ELNS1_11target_archE1030ELNS1_3gpuE2ELNS1_3repE0EEENS1_30default_config_static_selectorELNS0_4arch9wavefront6targetE1EEEvT1_.kd
    .uniform_work_group_size: 1
    .uses_dynamic_stack: false
    .vgpr_count:     0
    .vgpr_spill_count: 0
    .wavefront_size: 64
  - .agpr_count:     0
    .args:
      - .address_space:  global
        .offset:         0
        .size:           8
        .value_kind:     global_buffer
      - .offset:         8
        .size:           4
        .value_kind:     by_value
      - .address_space:  global
        .offset:         16
        .size:           8
        .value_kind:     global_buffer
      - .offset:         24
        .size:           4
        .value_kind:     by_value
      - .address_space:  global
        .offset:         32
        .size:           8
        .value_kind:     global_buffer
      - .offset:         40
        .size:           4
        .value_kind:     hidden_block_count_x
      - .offset:         44
        .size:           4
        .value_kind:     hidden_block_count_y
      - .offset:         48
        .size:           4
        .value_kind:     hidden_block_count_z
      - .offset:         52
        .size:           2
        .value_kind:     hidden_group_size_x
      - .offset:         54
        .size:           2
        .value_kind:     hidden_group_size_y
      - .offset:         56
        .size:           2
        .value_kind:     hidden_group_size_z
      - .offset:         58
        .size:           2
        .value_kind:     hidden_remainder_x
      - .offset:         60
        .size:           2
        .value_kind:     hidden_remainder_y
      - .offset:         62
        .size:           2
        .value_kind:     hidden_remainder_z
      - .offset:         80
        .size:           8
        .value_kind:     hidden_global_offset_x
      - .offset:         88
        .size:           8
        .value_kind:     hidden_global_offset_y
      - .offset:         96
        .size:           8
        .value_kind:     hidden_global_offset_z
      - .offset:         104
        .size:           2
        .value_kind:     hidden_grid_dims
    .group_segment_fixed_size: 0
    .kernarg_segment_align: 8
    .kernarg_segment_size: 296
    .language:       OpenCL C
    .language_version:
      - 2
      - 0
    .max_flat_workgroup_size: 256
    .name:           _ZN7rocprim17ROCPRIM_400000_NS6detail31init_lookback_scan_state_kernelINS1_19lookback_scan_stateIjLb1ELb1EEENS1_16block_id_wrapperIjLb1EEEEEvT_jT0_jPNS7_10value_typeE
    .private_segment_fixed_size: 0
    .sgpr_count:     18
    .sgpr_spill_count: 0
    .symbol:         _ZN7rocprim17ROCPRIM_400000_NS6detail31init_lookback_scan_state_kernelINS1_19lookback_scan_stateIjLb1ELb1EEENS1_16block_id_wrapperIjLb1EEEEEvT_jT0_jPNS7_10value_typeE.kd
    .uniform_work_group_size: 1
    .uses_dynamic_stack: false
    .vgpr_count:     6
    .vgpr_spill_count: 0
    .wavefront_size: 64
  - .agpr_count:     0
    .args:
      - .offset:         0
        .size:           96
        .value_kind:     by_value
    .group_segment_fixed_size: 0
    .kernarg_segment_align: 8
    .kernarg_segment_size: 96
    .language:       OpenCL C
    .language_version:
      - 2
      - 0
    .max_flat_workgroup_size: 256
    .name:           _ZN7rocprim17ROCPRIM_400000_NS6detail17trampoline_kernelINS0_14default_configENS1_20scan_config_selectorIjEEZZNS1_9scan_implILNS1_25lookback_scan_determinismE0ELb0ELb0ES3_N6thrust23THRUST_200600_302600_NS6detail15normal_iteratorINS9_10device_ptrIjEEEESE_j11max_functorIjEjEEDaPvRmT3_T4_T5_mT6_P12ihipStream_tbENKUlT_T0_E_clISt17integral_constantIbLb1EESU_EEDaSP_SQ_EUlSP_E_NS1_11comp_targetILNS1_3genE0ELNS1_11target_archE4294967295ELNS1_3gpuE0ELNS1_3repE0EEENS1_30default_config_static_selectorELNS0_4arch9wavefront6targetE1EEEvT1_
    .private_segment_fixed_size: 0
    .sgpr_count:     4
    .sgpr_spill_count: 0
    .symbol:         _ZN7rocprim17ROCPRIM_400000_NS6detail17trampoline_kernelINS0_14default_configENS1_20scan_config_selectorIjEEZZNS1_9scan_implILNS1_25lookback_scan_determinismE0ELb0ELb0ES3_N6thrust23THRUST_200600_302600_NS6detail15normal_iteratorINS9_10device_ptrIjEEEESE_j11max_functorIjEjEEDaPvRmT3_T4_T5_mT6_P12ihipStream_tbENKUlT_T0_E_clISt17integral_constantIbLb1EESU_EEDaSP_SQ_EUlSP_E_NS1_11comp_targetILNS1_3genE0ELNS1_11target_archE4294967295ELNS1_3gpuE0ELNS1_3repE0EEENS1_30default_config_static_selectorELNS0_4arch9wavefront6targetE1EEEvT1_.kd
    .uniform_work_group_size: 1
    .uses_dynamic_stack: false
    .vgpr_count:     0
    .vgpr_spill_count: 0
    .wavefront_size: 64
  - .agpr_count:     0
    .args:
      - .offset:         0
        .size:           96
        .value_kind:     by_value
    .group_segment_fixed_size: 0
    .kernarg_segment_align: 8
    .kernarg_segment_size: 96
    .language:       OpenCL C
    .language_version:
      - 2
      - 0
    .max_flat_workgroup_size: 256
    .name:           _ZN7rocprim17ROCPRIM_400000_NS6detail17trampoline_kernelINS0_14default_configENS1_20scan_config_selectorIjEEZZNS1_9scan_implILNS1_25lookback_scan_determinismE0ELb0ELb0ES3_N6thrust23THRUST_200600_302600_NS6detail15normal_iteratorINS9_10device_ptrIjEEEESE_j11max_functorIjEjEEDaPvRmT3_T4_T5_mT6_P12ihipStream_tbENKUlT_T0_E_clISt17integral_constantIbLb1EESU_EEDaSP_SQ_EUlSP_E_NS1_11comp_targetILNS1_3genE5ELNS1_11target_archE942ELNS1_3gpuE9ELNS1_3repE0EEENS1_30default_config_static_selectorELNS0_4arch9wavefront6targetE1EEEvT1_
    .private_segment_fixed_size: 0
    .sgpr_count:     4
    .sgpr_spill_count: 0
    .symbol:         _ZN7rocprim17ROCPRIM_400000_NS6detail17trampoline_kernelINS0_14default_configENS1_20scan_config_selectorIjEEZZNS1_9scan_implILNS1_25lookback_scan_determinismE0ELb0ELb0ES3_N6thrust23THRUST_200600_302600_NS6detail15normal_iteratorINS9_10device_ptrIjEEEESE_j11max_functorIjEjEEDaPvRmT3_T4_T5_mT6_P12ihipStream_tbENKUlT_T0_E_clISt17integral_constantIbLb1EESU_EEDaSP_SQ_EUlSP_E_NS1_11comp_targetILNS1_3genE5ELNS1_11target_archE942ELNS1_3gpuE9ELNS1_3repE0EEENS1_30default_config_static_selectorELNS0_4arch9wavefront6targetE1EEEvT1_.kd
    .uniform_work_group_size: 1
    .uses_dynamic_stack: false
    .vgpr_count:     0
    .vgpr_spill_count: 0
    .wavefront_size: 64
  - .agpr_count:     0
    .args:
      - .offset:         0
        .size:           96
        .value_kind:     by_value
    .group_segment_fixed_size: 5120
    .kernarg_segment_align: 8
    .kernarg_segment_size: 96
    .language:       OpenCL C
    .language_version:
      - 2
      - 0
    .max_flat_workgroup_size: 128
    .name:           _ZN7rocprim17ROCPRIM_400000_NS6detail17trampoline_kernelINS0_14default_configENS1_20scan_config_selectorIjEEZZNS1_9scan_implILNS1_25lookback_scan_determinismE0ELb0ELb0ES3_N6thrust23THRUST_200600_302600_NS6detail15normal_iteratorINS9_10device_ptrIjEEEESE_j11max_functorIjEjEEDaPvRmT3_T4_T5_mT6_P12ihipStream_tbENKUlT_T0_E_clISt17integral_constantIbLb1EESU_EEDaSP_SQ_EUlSP_E_NS1_11comp_targetILNS1_3genE4ELNS1_11target_archE910ELNS1_3gpuE8ELNS1_3repE0EEENS1_30default_config_static_selectorELNS0_4arch9wavefront6targetE1EEEvT1_
    .private_segment_fixed_size: 0
    .sgpr_count:     42
    .sgpr_spill_count: 0
    .symbol:         _ZN7rocprim17ROCPRIM_400000_NS6detail17trampoline_kernelINS0_14default_configENS1_20scan_config_selectorIjEEZZNS1_9scan_implILNS1_25lookback_scan_determinismE0ELb0ELb0ES3_N6thrust23THRUST_200600_302600_NS6detail15normal_iteratorINS9_10device_ptrIjEEEESE_j11max_functorIjEjEEDaPvRmT3_T4_T5_mT6_P12ihipStream_tbENKUlT_T0_E_clISt17integral_constantIbLb1EESU_EEDaSP_SQ_EUlSP_E_NS1_11comp_targetILNS1_3genE4ELNS1_11target_archE910ELNS1_3gpuE8ELNS1_3repE0EEENS1_30default_config_static_selectorELNS0_4arch9wavefront6targetE1EEEvT1_.kd
    .uniform_work_group_size: 1
    .uses_dynamic_stack: false
    .vgpr_count:     40
    .vgpr_spill_count: 0
    .wavefront_size: 64
  - .agpr_count:     0
    .args:
      - .offset:         0
        .size:           96
        .value_kind:     by_value
    .group_segment_fixed_size: 0
    .kernarg_segment_align: 8
    .kernarg_segment_size: 96
    .language:       OpenCL C
    .language_version:
      - 2
      - 0
    .max_flat_workgroup_size: 256
    .name:           _ZN7rocprim17ROCPRIM_400000_NS6detail17trampoline_kernelINS0_14default_configENS1_20scan_config_selectorIjEEZZNS1_9scan_implILNS1_25lookback_scan_determinismE0ELb0ELb0ES3_N6thrust23THRUST_200600_302600_NS6detail15normal_iteratorINS9_10device_ptrIjEEEESE_j11max_functorIjEjEEDaPvRmT3_T4_T5_mT6_P12ihipStream_tbENKUlT_T0_E_clISt17integral_constantIbLb1EESU_EEDaSP_SQ_EUlSP_E_NS1_11comp_targetILNS1_3genE3ELNS1_11target_archE908ELNS1_3gpuE7ELNS1_3repE0EEENS1_30default_config_static_selectorELNS0_4arch9wavefront6targetE1EEEvT1_
    .private_segment_fixed_size: 0
    .sgpr_count:     4
    .sgpr_spill_count: 0
    .symbol:         _ZN7rocprim17ROCPRIM_400000_NS6detail17trampoline_kernelINS0_14default_configENS1_20scan_config_selectorIjEEZZNS1_9scan_implILNS1_25lookback_scan_determinismE0ELb0ELb0ES3_N6thrust23THRUST_200600_302600_NS6detail15normal_iteratorINS9_10device_ptrIjEEEESE_j11max_functorIjEjEEDaPvRmT3_T4_T5_mT6_P12ihipStream_tbENKUlT_T0_E_clISt17integral_constantIbLb1EESU_EEDaSP_SQ_EUlSP_E_NS1_11comp_targetILNS1_3genE3ELNS1_11target_archE908ELNS1_3gpuE7ELNS1_3repE0EEENS1_30default_config_static_selectorELNS0_4arch9wavefront6targetE1EEEvT1_.kd
    .uniform_work_group_size: 1
    .uses_dynamic_stack: false
    .vgpr_count:     0
    .vgpr_spill_count: 0
    .wavefront_size: 64
  - .agpr_count:     0
    .args:
      - .offset:         0
        .size:           96
        .value_kind:     by_value
    .group_segment_fixed_size: 0
    .kernarg_segment_align: 8
    .kernarg_segment_size: 96
    .language:       OpenCL C
    .language_version:
      - 2
      - 0
    .max_flat_workgroup_size: 256
    .name:           _ZN7rocprim17ROCPRIM_400000_NS6detail17trampoline_kernelINS0_14default_configENS1_20scan_config_selectorIjEEZZNS1_9scan_implILNS1_25lookback_scan_determinismE0ELb0ELb0ES3_N6thrust23THRUST_200600_302600_NS6detail15normal_iteratorINS9_10device_ptrIjEEEESE_j11max_functorIjEjEEDaPvRmT3_T4_T5_mT6_P12ihipStream_tbENKUlT_T0_E_clISt17integral_constantIbLb1EESU_EEDaSP_SQ_EUlSP_E_NS1_11comp_targetILNS1_3genE2ELNS1_11target_archE906ELNS1_3gpuE6ELNS1_3repE0EEENS1_30default_config_static_selectorELNS0_4arch9wavefront6targetE1EEEvT1_
    .private_segment_fixed_size: 0
    .sgpr_count:     4
    .sgpr_spill_count: 0
    .symbol:         _ZN7rocprim17ROCPRIM_400000_NS6detail17trampoline_kernelINS0_14default_configENS1_20scan_config_selectorIjEEZZNS1_9scan_implILNS1_25lookback_scan_determinismE0ELb0ELb0ES3_N6thrust23THRUST_200600_302600_NS6detail15normal_iteratorINS9_10device_ptrIjEEEESE_j11max_functorIjEjEEDaPvRmT3_T4_T5_mT6_P12ihipStream_tbENKUlT_T0_E_clISt17integral_constantIbLb1EESU_EEDaSP_SQ_EUlSP_E_NS1_11comp_targetILNS1_3genE2ELNS1_11target_archE906ELNS1_3gpuE6ELNS1_3repE0EEENS1_30default_config_static_selectorELNS0_4arch9wavefront6targetE1EEEvT1_.kd
    .uniform_work_group_size: 1
    .uses_dynamic_stack: false
    .vgpr_count:     0
    .vgpr_spill_count: 0
    .wavefront_size: 64
  - .agpr_count:     0
    .args:
      - .offset:         0
        .size:           96
        .value_kind:     by_value
    .group_segment_fixed_size: 0
    .kernarg_segment_align: 8
    .kernarg_segment_size: 96
    .language:       OpenCL C
    .language_version:
      - 2
      - 0
    .max_flat_workgroup_size: 256
    .name:           _ZN7rocprim17ROCPRIM_400000_NS6detail17trampoline_kernelINS0_14default_configENS1_20scan_config_selectorIjEEZZNS1_9scan_implILNS1_25lookback_scan_determinismE0ELb0ELb0ES3_N6thrust23THRUST_200600_302600_NS6detail15normal_iteratorINS9_10device_ptrIjEEEESE_j11max_functorIjEjEEDaPvRmT3_T4_T5_mT6_P12ihipStream_tbENKUlT_T0_E_clISt17integral_constantIbLb1EESU_EEDaSP_SQ_EUlSP_E_NS1_11comp_targetILNS1_3genE10ELNS1_11target_archE1201ELNS1_3gpuE5ELNS1_3repE0EEENS1_30default_config_static_selectorELNS0_4arch9wavefront6targetE1EEEvT1_
    .private_segment_fixed_size: 0
    .sgpr_count:     4
    .sgpr_spill_count: 0
    .symbol:         _ZN7rocprim17ROCPRIM_400000_NS6detail17trampoline_kernelINS0_14default_configENS1_20scan_config_selectorIjEEZZNS1_9scan_implILNS1_25lookback_scan_determinismE0ELb0ELb0ES3_N6thrust23THRUST_200600_302600_NS6detail15normal_iteratorINS9_10device_ptrIjEEEESE_j11max_functorIjEjEEDaPvRmT3_T4_T5_mT6_P12ihipStream_tbENKUlT_T0_E_clISt17integral_constantIbLb1EESU_EEDaSP_SQ_EUlSP_E_NS1_11comp_targetILNS1_3genE10ELNS1_11target_archE1201ELNS1_3gpuE5ELNS1_3repE0EEENS1_30default_config_static_selectorELNS0_4arch9wavefront6targetE1EEEvT1_.kd
    .uniform_work_group_size: 1
    .uses_dynamic_stack: false
    .vgpr_count:     0
    .vgpr_spill_count: 0
    .wavefront_size: 64
  - .agpr_count:     0
    .args:
      - .offset:         0
        .size:           96
        .value_kind:     by_value
    .group_segment_fixed_size: 0
    .kernarg_segment_align: 8
    .kernarg_segment_size: 96
    .language:       OpenCL C
    .language_version:
      - 2
      - 0
    .max_flat_workgroup_size: 256
    .name:           _ZN7rocprim17ROCPRIM_400000_NS6detail17trampoline_kernelINS0_14default_configENS1_20scan_config_selectorIjEEZZNS1_9scan_implILNS1_25lookback_scan_determinismE0ELb0ELb0ES3_N6thrust23THRUST_200600_302600_NS6detail15normal_iteratorINS9_10device_ptrIjEEEESE_j11max_functorIjEjEEDaPvRmT3_T4_T5_mT6_P12ihipStream_tbENKUlT_T0_E_clISt17integral_constantIbLb1EESU_EEDaSP_SQ_EUlSP_E_NS1_11comp_targetILNS1_3genE10ELNS1_11target_archE1200ELNS1_3gpuE4ELNS1_3repE0EEENS1_30default_config_static_selectorELNS0_4arch9wavefront6targetE1EEEvT1_
    .private_segment_fixed_size: 0
    .sgpr_count:     4
    .sgpr_spill_count: 0
    .symbol:         _ZN7rocprim17ROCPRIM_400000_NS6detail17trampoline_kernelINS0_14default_configENS1_20scan_config_selectorIjEEZZNS1_9scan_implILNS1_25lookback_scan_determinismE0ELb0ELb0ES3_N6thrust23THRUST_200600_302600_NS6detail15normal_iteratorINS9_10device_ptrIjEEEESE_j11max_functorIjEjEEDaPvRmT3_T4_T5_mT6_P12ihipStream_tbENKUlT_T0_E_clISt17integral_constantIbLb1EESU_EEDaSP_SQ_EUlSP_E_NS1_11comp_targetILNS1_3genE10ELNS1_11target_archE1200ELNS1_3gpuE4ELNS1_3repE0EEENS1_30default_config_static_selectorELNS0_4arch9wavefront6targetE1EEEvT1_.kd
    .uniform_work_group_size: 1
    .uses_dynamic_stack: false
    .vgpr_count:     0
    .vgpr_spill_count: 0
    .wavefront_size: 64
  - .agpr_count:     0
    .args:
      - .offset:         0
        .size:           96
        .value_kind:     by_value
    .group_segment_fixed_size: 0
    .kernarg_segment_align: 8
    .kernarg_segment_size: 96
    .language:       OpenCL C
    .language_version:
      - 2
      - 0
    .max_flat_workgroup_size: 256
    .name:           _ZN7rocprim17ROCPRIM_400000_NS6detail17trampoline_kernelINS0_14default_configENS1_20scan_config_selectorIjEEZZNS1_9scan_implILNS1_25lookback_scan_determinismE0ELb0ELb0ES3_N6thrust23THRUST_200600_302600_NS6detail15normal_iteratorINS9_10device_ptrIjEEEESE_j11max_functorIjEjEEDaPvRmT3_T4_T5_mT6_P12ihipStream_tbENKUlT_T0_E_clISt17integral_constantIbLb1EESU_EEDaSP_SQ_EUlSP_E_NS1_11comp_targetILNS1_3genE9ELNS1_11target_archE1100ELNS1_3gpuE3ELNS1_3repE0EEENS1_30default_config_static_selectorELNS0_4arch9wavefront6targetE1EEEvT1_
    .private_segment_fixed_size: 0
    .sgpr_count:     4
    .sgpr_spill_count: 0
    .symbol:         _ZN7rocprim17ROCPRIM_400000_NS6detail17trampoline_kernelINS0_14default_configENS1_20scan_config_selectorIjEEZZNS1_9scan_implILNS1_25lookback_scan_determinismE0ELb0ELb0ES3_N6thrust23THRUST_200600_302600_NS6detail15normal_iteratorINS9_10device_ptrIjEEEESE_j11max_functorIjEjEEDaPvRmT3_T4_T5_mT6_P12ihipStream_tbENKUlT_T0_E_clISt17integral_constantIbLb1EESU_EEDaSP_SQ_EUlSP_E_NS1_11comp_targetILNS1_3genE9ELNS1_11target_archE1100ELNS1_3gpuE3ELNS1_3repE0EEENS1_30default_config_static_selectorELNS0_4arch9wavefront6targetE1EEEvT1_.kd
    .uniform_work_group_size: 1
    .uses_dynamic_stack: false
    .vgpr_count:     0
    .vgpr_spill_count: 0
    .wavefront_size: 64
  - .agpr_count:     0
    .args:
      - .offset:         0
        .size:           96
        .value_kind:     by_value
    .group_segment_fixed_size: 0
    .kernarg_segment_align: 8
    .kernarg_segment_size: 96
    .language:       OpenCL C
    .language_version:
      - 2
      - 0
    .max_flat_workgroup_size: 64
    .name:           _ZN7rocprim17ROCPRIM_400000_NS6detail17trampoline_kernelINS0_14default_configENS1_20scan_config_selectorIjEEZZNS1_9scan_implILNS1_25lookback_scan_determinismE0ELb0ELb0ES3_N6thrust23THRUST_200600_302600_NS6detail15normal_iteratorINS9_10device_ptrIjEEEESE_j11max_functorIjEjEEDaPvRmT3_T4_T5_mT6_P12ihipStream_tbENKUlT_T0_E_clISt17integral_constantIbLb1EESU_EEDaSP_SQ_EUlSP_E_NS1_11comp_targetILNS1_3genE8ELNS1_11target_archE1030ELNS1_3gpuE2ELNS1_3repE0EEENS1_30default_config_static_selectorELNS0_4arch9wavefront6targetE1EEEvT1_
    .private_segment_fixed_size: 0
    .sgpr_count:     4
    .sgpr_spill_count: 0
    .symbol:         _ZN7rocprim17ROCPRIM_400000_NS6detail17trampoline_kernelINS0_14default_configENS1_20scan_config_selectorIjEEZZNS1_9scan_implILNS1_25lookback_scan_determinismE0ELb0ELb0ES3_N6thrust23THRUST_200600_302600_NS6detail15normal_iteratorINS9_10device_ptrIjEEEESE_j11max_functorIjEjEEDaPvRmT3_T4_T5_mT6_P12ihipStream_tbENKUlT_T0_E_clISt17integral_constantIbLb1EESU_EEDaSP_SQ_EUlSP_E_NS1_11comp_targetILNS1_3genE8ELNS1_11target_archE1030ELNS1_3gpuE2ELNS1_3repE0EEENS1_30default_config_static_selectorELNS0_4arch9wavefront6targetE1EEEvT1_.kd
    .uniform_work_group_size: 1
    .uses_dynamic_stack: false
    .vgpr_count:     0
    .vgpr_spill_count: 0
    .wavefront_size: 64
  - .agpr_count:     0
    .args:
      - .offset:         0
        .size:           32
        .value_kind:     by_value
    .group_segment_fixed_size: 0
    .kernarg_segment_align: 8
    .kernarg_segment_size: 32
    .language:       OpenCL C
    .language_version:
      - 2
      - 0
    .max_flat_workgroup_size: 256
    .name:           _ZN7rocprim17ROCPRIM_400000_NS6detail17trampoline_kernelINS0_14default_configENS1_20scan_config_selectorIjEEZZNS1_9scan_implILNS1_25lookback_scan_determinismE0ELb0ELb0ES3_N6thrust23THRUST_200600_302600_NS6detail15normal_iteratorINS9_10device_ptrIjEEEESE_j11max_functorIjEjEEDaPvRmT3_T4_T5_mT6_P12ihipStream_tbENKUlT_T0_E_clISt17integral_constantIbLb1EESU_EEDaSP_SQ_EUlSP_E0_NS1_11comp_targetILNS1_3genE0ELNS1_11target_archE4294967295ELNS1_3gpuE0ELNS1_3repE0EEENS1_30default_config_static_selectorELNS0_4arch9wavefront6targetE1EEEvT1_
    .private_segment_fixed_size: 0
    .sgpr_count:     4
    .sgpr_spill_count: 0
    .symbol:         _ZN7rocprim17ROCPRIM_400000_NS6detail17trampoline_kernelINS0_14default_configENS1_20scan_config_selectorIjEEZZNS1_9scan_implILNS1_25lookback_scan_determinismE0ELb0ELb0ES3_N6thrust23THRUST_200600_302600_NS6detail15normal_iteratorINS9_10device_ptrIjEEEESE_j11max_functorIjEjEEDaPvRmT3_T4_T5_mT6_P12ihipStream_tbENKUlT_T0_E_clISt17integral_constantIbLb1EESU_EEDaSP_SQ_EUlSP_E0_NS1_11comp_targetILNS1_3genE0ELNS1_11target_archE4294967295ELNS1_3gpuE0ELNS1_3repE0EEENS1_30default_config_static_selectorELNS0_4arch9wavefront6targetE1EEEvT1_.kd
    .uniform_work_group_size: 1
    .uses_dynamic_stack: false
    .vgpr_count:     0
    .vgpr_spill_count: 0
    .wavefront_size: 64
  - .agpr_count:     0
    .args:
      - .offset:         0
        .size:           32
        .value_kind:     by_value
    .group_segment_fixed_size: 0
    .kernarg_segment_align: 8
    .kernarg_segment_size: 32
    .language:       OpenCL C
    .language_version:
      - 2
      - 0
    .max_flat_workgroup_size: 256
    .name:           _ZN7rocprim17ROCPRIM_400000_NS6detail17trampoline_kernelINS0_14default_configENS1_20scan_config_selectorIjEEZZNS1_9scan_implILNS1_25lookback_scan_determinismE0ELb0ELb0ES3_N6thrust23THRUST_200600_302600_NS6detail15normal_iteratorINS9_10device_ptrIjEEEESE_j11max_functorIjEjEEDaPvRmT3_T4_T5_mT6_P12ihipStream_tbENKUlT_T0_E_clISt17integral_constantIbLb1EESU_EEDaSP_SQ_EUlSP_E0_NS1_11comp_targetILNS1_3genE5ELNS1_11target_archE942ELNS1_3gpuE9ELNS1_3repE0EEENS1_30default_config_static_selectorELNS0_4arch9wavefront6targetE1EEEvT1_
    .private_segment_fixed_size: 0
    .sgpr_count:     4
    .sgpr_spill_count: 0
    .symbol:         _ZN7rocprim17ROCPRIM_400000_NS6detail17trampoline_kernelINS0_14default_configENS1_20scan_config_selectorIjEEZZNS1_9scan_implILNS1_25lookback_scan_determinismE0ELb0ELb0ES3_N6thrust23THRUST_200600_302600_NS6detail15normal_iteratorINS9_10device_ptrIjEEEESE_j11max_functorIjEjEEDaPvRmT3_T4_T5_mT6_P12ihipStream_tbENKUlT_T0_E_clISt17integral_constantIbLb1EESU_EEDaSP_SQ_EUlSP_E0_NS1_11comp_targetILNS1_3genE5ELNS1_11target_archE942ELNS1_3gpuE9ELNS1_3repE0EEENS1_30default_config_static_selectorELNS0_4arch9wavefront6targetE1EEEvT1_.kd
    .uniform_work_group_size: 1
    .uses_dynamic_stack: false
    .vgpr_count:     0
    .vgpr_spill_count: 0
    .wavefront_size: 64
  - .agpr_count:     0
    .args:
      - .offset:         0
        .size:           32
        .value_kind:     by_value
    .group_segment_fixed_size: 5120
    .kernarg_segment_align: 8
    .kernarg_segment_size: 32
    .language:       OpenCL C
    .language_version:
      - 2
      - 0
    .max_flat_workgroup_size: 128
    .name:           _ZN7rocprim17ROCPRIM_400000_NS6detail17trampoline_kernelINS0_14default_configENS1_20scan_config_selectorIjEEZZNS1_9scan_implILNS1_25lookback_scan_determinismE0ELb0ELb0ES3_N6thrust23THRUST_200600_302600_NS6detail15normal_iteratorINS9_10device_ptrIjEEEESE_j11max_functorIjEjEEDaPvRmT3_T4_T5_mT6_P12ihipStream_tbENKUlT_T0_E_clISt17integral_constantIbLb1EESU_EEDaSP_SQ_EUlSP_E0_NS1_11comp_targetILNS1_3genE4ELNS1_11target_archE910ELNS1_3gpuE8ELNS1_3repE0EEENS1_30default_config_static_selectorELNS0_4arch9wavefront6targetE1EEEvT1_
    .private_segment_fixed_size: 0
    .sgpr_count:     28
    .sgpr_spill_count: 0
    .symbol:         _ZN7rocprim17ROCPRIM_400000_NS6detail17trampoline_kernelINS0_14default_configENS1_20scan_config_selectorIjEEZZNS1_9scan_implILNS1_25lookback_scan_determinismE0ELb0ELb0ES3_N6thrust23THRUST_200600_302600_NS6detail15normal_iteratorINS9_10device_ptrIjEEEESE_j11max_functorIjEjEEDaPvRmT3_T4_T5_mT6_P12ihipStream_tbENKUlT_T0_E_clISt17integral_constantIbLb1EESU_EEDaSP_SQ_EUlSP_E0_NS1_11comp_targetILNS1_3genE4ELNS1_11target_archE910ELNS1_3gpuE8ELNS1_3repE0EEENS1_30default_config_static_selectorELNS0_4arch9wavefront6targetE1EEEvT1_.kd
    .uniform_work_group_size: 1
    .uses_dynamic_stack: false
    .vgpr_count:     28
    .vgpr_spill_count: 0
    .wavefront_size: 64
  - .agpr_count:     0
    .args:
      - .offset:         0
        .size:           32
        .value_kind:     by_value
    .group_segment_fixed_size: 0
    .kernarg_segment_align: 8
    .kernarg_segment_size: 32
    .language:       OpenCL C
    .language_version:
      - 2
      - 0
    .max_flat_workgroup_size: 256
    .name:           _ZN7rocprim17ROCPRIM_400000_NS6detail17trampoline_kernelINS0_14default_configENS1_20scan_config_selectorIjEEZZNS1_9scan_implILNS1_25lookback_scan_determinismE0ELb0ELb0ES3_N6thrust23THRUST_200600_302600_NS6detail15normal_iteratorINS9_10device_ptrIjEEEESE_j11max_functorIjEjEEDaPvRmT3_T4_T5_mT6_P12ihipStream_tbENKUlT_T0_E_clISt17integral_constantIbLb1EESU_EEDaSP_SQ_EUlSP_E0_NS1_11comp_targetILNS1_3genE3ELNS1_11target_archE908ELNS1_3gpuE7ELNS1_3repE0EEENS1_30default_config_static_selectorELNS0_4arch9wavefront6targetE1EEEvT1_
    .private_segment_fixed_size: 0
    .sgpr_count:     4
    .sgpr_spill_count: 0
    .symbol:         _ZN7rocprim17ROCPRIM_400000_NS6detail17trampoline_kernelINS0_14default_configENS1_20scan_config_selectorIjEEZZNS1_9scan_implILNS1_25lookback_scan_determinismE0ELb0ELb0ES3_N6thrust23THRUST_200600_302600_NS6detail15normal_iteratorINS9_10device_ptrIjEEEESE_j11max_functorIjEjEEDaPvRmT3_T4_T5_mT6_P12ihipStream_tbENKUlT_T0_E_clISt17integral_constantIbLb1EESU_EEDaSP_SQ_EUlSP_E0_NS1_11comp_targetILNS1_3genE3ELNS1_11target_archE908ELNS1_3gpuE7ELNS1_3repE0EEENS1_30default_config_static_selectorELNS0_4arch9wavefront6targetE1EEEvT1_.kd
    .uniform_work_group_size: 1
    .uses_dynamic_stack: false
    .vgpr_count:     0
    .vgpr_spill_count: 0
    .wavefront_size: 64
  - .agpr_count:     0
    .args:
      - .offset:         0
        .size:           32
        .value_kind:     by_value
    .group_segment_fixed_size: 0
    .kernarg_segment_align: 8
    .kernarg_segment_size: 32
    .language:       OpenCL C
    .language_version:
      - 2
      - 0
    .max_flat_workgroup_size: 256
    .name:           _ZN7rocprim17ROCPRIM_400000_NS6detail17trampoline_kernelINS0_14default_configENS1_20scan_config_selectorIjEEZZNS1_9scan_implILNS1_25lookback_scan_determinismE0ELb0ELb0ES3_N6thrust23THRUST_200600_302600_NS6detail15normal_iteratorINS9_10device_ptrIjEEEESE_j11max_functorIjEjEEDaPvRmT3_T4_T5_mT6_P12ihipStream_tbENKUlT_T0_E_clISt17integral_constantIbLb1EESU_EEDaSP_SQ_EUlSP_E0_NS1_11comp_targetILNS1_3genE2ELNS1_11target_archE906ELNS1_3gpuE6ELNS1_3repE0EEENS1_30default_config_static_selectorELNS0_4arch9wavefront6targetE1EEEvT1_
    .private_segment_fixed_size: 0
    .sgpr_count:     4
    .sgpr_spill_count: 0
    .symbol:         _ZN7rocprim17ROCPRIM_400000_NS6detail17trampoline_kernelINS0_14default_configENS1_20scan_config_selectorIjEEZZNS1_9scan_implILNS1_25lookback_scan_determinismE0ELb0ELb0ES3_N6thrust23THRUST_200600_302600_NS6detail15normal_iteratorINS9_10device_ptrIjEEEESE_j11max_functorIjEjEEDaPvRmT3_T4_T5_mT6_P12ihipStream_tbENKUlT_T0_E_clISt17integral_constantIbLb1EESU_EEDaSP_SQ_EUlSP_E0_NS1_11comp_targetILNS1_3genE2ELNS1_11target_archE906ELNS1_3gpuE6ELNS1_3repE0EEENS1_30default_config_static_selectorELNS0_4arch9wavefront6targetE1EEEvT1_.kd
    .uniform_work_group_size: 1
    .uses_dynamic_stack: false
    .vgpr_count:     0
    .vgpr_spill_count: 0
    .wavefront_size: 64
  - .agpr_count:     0
    .args:
      - .offset:         0
        .size:           32
        .value_kind:     by_value
    .group_segment_fixed_size: 0
    .kernarg_segment_align: 8
    .kernarg_segment_size: 32
    .language:       OpenCL C
    .language_version:
      - 2
      - 0
    .max_flat_workgroup_size: 256
    .name:           _ZN7rocprim17ROCPRIM_400000_NS6detail17trampoline_kernelINS0_14default_configENS1_20scan_config_selectorIjEEZZNS1_9scan_implILNS1_25lookback_scan_determinismE0ELb0ELb0ES3_N6thrust23THRUST_200600_302600_NS6detail15normal_iteratorINS9_10device_ptrIjEEEESE_j11max_functorIjEjEEDaPvRmT3_T4_T5_mT6_P12ihipStream_tbENKUlT_T0_E_clISt17integral_constantIbLb1EESU_EEDaSP_SQ_EUlSP_E0_NS1_11comp_targetILNS1_3genE10ELNS1_11target_archE1201ELNS1_3gpuE5ELNS1_3repE0EEENS1_30default_config_static_selectorELNS0_4arch9wavefront6targetE1EEEvT1_
    .private_segment_fixed_size: 0
    .sgpr_count:     4
    .sgpr_spill_count: 0
    .symbol:         _ZN7rocprim17ROCPRIM_400000_NS6detail17trampoline_kernelINS0_14default_configENS1_20scan_config_selectorIjEEZZNS1_9scan_implILNS1_25lookback_scan_determinismE0ELb0ELb0ES3_N6thrust23THRUST_200600_302600_NS6detail15normal_iteratorINS9_10device_ptrIjEEEESE_j11max_functorIjEjEEDaPvRmT3_T4_T5_mT6_P12ihipStream_tbENKUlT_T0_E_clISt17integral_constantIbLb1EESU_EEDaSP_SQ_EUlSP_E0_NS1_11comp_targetILNS1_3genE10ELNS1_11target_archE1201ELNS1_3gpuE5ELNS1_3repE0EEENS1_30default_config_static_selectorELNS0_4arch9wavefront6targetE1EEEvT1_.kd
    .uniform_work_group_size: 1
    .uses_dynamic_stack: false
    .vgpr_count:     0
    .vgpr_spill_count: 0
    .wavefront_size: 64
  - .agpr_count:     0
    .args:
      - .offset:         0
        .size:           32
        .value_kind:     by_value
    .group_segment_fixed_size: 0
    .kernarg_segment_align: 8
    .kernarg_segment_size: 32
    .language:       OpenCL C
    .language_version:
      - 2
      - 0
    .max_flat_workgroup_size: 256
    .name:           _ZN7rocprim17ROCPRIM_400000_NS6detail17trampoline_kernelINS0_14default_configENS1_20scan_config_selectorIjEEZZNS1_9scan_implILNS1_25lookback_scan_determinismE0ELb0ELb0ES3_N6thrust23THRUST_200600_302600_NS6detail15normal_iteratorINS9_10device_ptrIjEEEESE_j11max_functorIjEjEEDaPvRmT3_T4_T5_mT6_P12ihipStream_tbENKUlT_T0_E_clISt17integral_constantIbLb1EESU_EEDaSP_SQ_EUlSP_E0_NS1_11comp_targetILNS1_3genE10ELNS1_11target_archE1200ELNS1_3gpuE4ELNS1_3repE0EEENS1_30default_config_static_selectorELNS0_4arch9wavefront6targetE1EEEvT1_
    .private_segment_fixed_size: 0
    .sgpr_count:     4
    .sgpr_spill_count: 0
    .symbol:         _ZN7rocprim17ROCPRIM_400000_NS6detail17trampoline_kernelINS0_14default_configENS1_20scan_config_selectorIjEEZZNS1_9scan_implILNS1_25lookback_scan_determinismE0ELb0ELb0ES3_N6thrust23THRUST_200600_302600_NS6detail15normal_iteratorINS9_10device_ptrIjEEEESE_j11max_functorIjEjEEDaPvRmT3_T4_T5_mT6_P12ihipStream_tbENKUlT_T0_E_clISt17integral_constantIbLb1EESU_EEDaSP_SQ_EUlSP_E0_NS1_11comp_targetILNS1_3genE10ELNS1_11target_archE1200ELNS1_3gpuE4ELNS1_3repE0EEENS1_30default_config_static_selectorELNS0_4arch9wavefront6targetE1EEEvT1_.kd
    .uniform_work_group_size: 1
    .uses_dynamic_stack: false
    .vgpr_count:     0
    .vgpr_spill_count: 0
    .wavefront_size: 64
  - .agpr_count:     0
    .args:
      - .offset:         0
        .size:           32
        .value_kind:     by_value
    .group_segment_fixed_size: 0
    .kernarg_segment_align: 8
    .kernarg_segment_size: 32
    .language:       OpenCL C
    .language_version:
      - 2
      - 0
    .max_flat_workgroup_size: 256
    .name:           _ZN7rocprim17ROCPRIM_400000_NS6detail17trampoline_kernelINS0_14default_configENS1_20scan_config_selectorIjEEZZNS1_9scan_implILNS1_25lookback_scan_determinismE0ELb0ELb0ES3_N6thrust23THRUST_200600_302600_NS6detail15normal_iteratorINS9_10device_ptrIjEEEESE_j11max_functorIjEjEEDaPvRmT3_T4_T5_mT6_P12ihipStream_tbENKUlT_T0_E_clISt17integral_constantIbLb1EESU_EEDaSP_SQ_EUlSP_E0_NS1_11comp_targetILNS1_3genE9ELNS1_11target_archE1100ELNS1_3gpuE3ELNS1_3repE0EEENS1_30default_config_static_selectorELNS0_4arch9wavefront6targetE1EEEvT1_
    .private_segment_fixed_size: 0
    .sgpr_count:     4
    .sgpr_spill_count: 0
    .symbol:         _ZN7rocprim17ROCPRIM_400000_NS6detail17trampoline_kernelINS0_14default_configENS1_20scan_config_selectorIjEEZZNS1_9scan_implILNS1_25lookback_scan_determinismE0ELb0ELb0ES3_N6thrust23THRUST_200600_302600_NS6detail15normal_iteratorINS9_10device_ptrIjEEEESE_j11max_functorIjEjEEDaPvRmT3_T4_T5_mT6_P12ihipStream_tbENKUlT_T0_E_clISt17integral_constantIbLb1EESU_EEDaSP_SQ_EUlSP_E0_NS1_11comp_targetILNS1_3genE9ELNS1_11target_archE1100ELNS1_3gpuE3ELNS1_3repE0EEENS1_30default_config_static_selectorELNS0_4arch9wavefront6targetE1EEEvT1_.kd
    .uniform_work_group_size: 1
    .uses_dynamic_stack: false
    .vgpr_count:     0
    .vgpr_spill_count: 0
    .wavefront_size: 64
  - .agpr_count:     0
    .args:
      - .offset:         0
        .size:           32
        .value_kind:     by_value
    .group_segment_fixed_size: 0
    .kernarg_segment_align: 8
    .kernarg_segment_size: 32
    .language:       OpenCL C
    .language_version:
      - 2
      - 0
    .max_flat_workgroup_size: 64
    .name:           _ZN7rocprim17ROCPRIM_400000_NS6detail17trampoline_kernelINS0_14default_configENS1_20scan_config_selectorIjEEZZNS1_9scan_implILNS1_25lookback_scan_determinismE0ELb0ELb0ES3_N6thrust23THRUST_200600_302600_NS6detail15normal_iteratorINS9_10device_ptrIjEEEESE_j11max_functorIjEjEEDaPvRmT3_T4_T5_mT6_P12ihipStream_tbENKUlT_T0_E_clISt17integral_constantIbLb1EESU_EEDaSP_SQ_EUlSP_E0_NS1_11comp_targetILNS1_3genE8ELNS1_11target_archE1030ELNS1_3gpuE2ELNS1_3repE0EEENS1_30default_config_static_selectorELNS0_4arch9wavefront6targetE1EEEvT1_
    .private_segment_fixed_size: 0
    .sgpr_count:     4
    .sgpr_spill_count: 0
    .symbol:         _ZN7rocprim17ROCPRIM_400000_NS6detail17trampoline_kernelINS0_14default_configENS1_20scan_config_selectorIjEEZZNS1_9scan_implILNS1_25lookback_scan_determinismE0ELb0ELb0ES3_N6thrust23THRUST_200600_302600_NS6detail15normal_iteratorINS9_10device_ptrIjEEEESE_j11max_functorIjEjEEDaPvRmT3_T4_T5_mT6_P12ihipStream_tbENKUlT_T0_E_clISt17integral_constantIbLb1EESU_EEDaSP_SQ_EUlSP_E0_NS1_11comp_targetILNS1_3genE8ELNS1_11target_archE1030ELNS1_3gpuE2ELNS1_3repE0EEENS1_30default_config_static_selectorELNS0_4arch9wavefront6targetE1EEEvT1_.kd
    .uniform_work_group_size: 1
    .uses_dynamic_stack: false
    .vgpr_count:     0
    .vgpr_spill_count: 0
    .wavefront_size: 64
  - .agpr_count:     0
    .args:
      - .address_space:  global
        .offset:         0
        .size:           8
        .value_kind:     global_buffer
      - .offset:         8
        .size:           4
        .value_kind:     by_value
      - .offset:         12
        .size:           1
        .value_kind:     by_value
      - .offset:         16
        .size:           4
        .value_kind:     by_value
      - .address_space:  global
        .offset:         24
        .size:           8
        .value_kind:     global_buffer
      - .offset:         32
        .size:           4
        .value_kind:     hidden_block_count_x
      - .offset:         36
        .size:           4
        .value_kind:     hidden_block_count_y
      - .offset:         40
        .size:           4
        .value_kind:     hidden_block_count_z
      - .offset:         44
        .size:           2
        .value_kind:     hidden_group_size_x
      - .offset:         46
        .size:           2
        .value_kind:     hidden_group_size_y
      - .offset:         48
        .size:           2
        .value_kind:     hidden_group_size_z
      - .offset:         50
        .size:           2
        .value_kind:     hidden_remainder_x
      - .offset:         52
        .size:           2
        .value_kind:     hidden_remainder_y
      - .offset:         54
        .size:           2
        .value_kind:     hidden_remainder_z
      - .offset:         72
        .size:           8
        .value_kind:     hidden_global_offset_x
      - .offset:         80
        .size:           8
        .value_kind:     hidden_global_offset_y
      - .offset:         88
        .size:           8
        .value_kind:     hidden_global_offset_z
      - .offset:         96
        .size:           2
        .value_kind:     hidden_grid_dims
    .group_segment_fixed_size: 0
    .kernarg_segment_align: 8
    .kernarg_segment_size: 288
    .language:       OpenCL C
    .language_version:
      - 2
      - 0
    .max_flat_workgroup_size: 256
    .name:           _ZN7rocprim17ROCPRIM_400000_NS6detail31init_lookback_scan_state_kernelINS1_19lookback_scan_stateIjLb1ELb1EEENS1_16block_id_wrapperIjLb0EEEEEvT_jT0_jPNS7_10value_typeE
    .private_segment_fixed_size: 0
    .sgpr_count:     16
    .sgpr_spill_count: 0
    .symbol:         _ZN7rocprim17ROCPRIM_400000_NS6detail31init_lookback_scan_state_kernelINS1_19lookback_scan_stateIjLb1ELb1EEENS1_16block_id_wrapperIjLb0EEEEEvT_jT0_jPNS7_10value_typeE.kd
    .uniform_work_group_size: 1
    .uses_dynamic_stack: false
    .vgpr_count:     6
    .vgpr_spill_count: 0
    .wavefront_size: 64
  - .agpr_count:     0
    .args:
      - .offset:         0
        .size:           96
        .value_kind:     by_value
    .group_segment_fixed_size: 0
    .kernarg_segment_align: 8
    .kernarg_segment_size: 96
    .language:       OpenCL C
    .language_version:
      - 2
      - 0
    .max_flat_workgroup_size: 256
    .name:           _ZN7rocprim17ROCPRIM_400000_NS6detail17trampoline_kernelINS0_14default_configENS1_20scan_config_selectorIjEEZZNS1_9scan_implILNS1_25lookback_scan_determinismE0ELb0ELb0ES3_N6thrust23THRUST_200600_302600_NS6detail15normal_iteratorINS9_10device_ptrIjEEEESE_j11max_functorIjEjEEDaPvRmT3_T4_T5_mT6_P12ihipStream_tbENKUlT_T0_E_clISt17integral_constantIbLb1EEST_IbLb0EEEEDaSP_SQ_EUlSP_E_NS1_11comp_targetILNS1_3genE0ELNS1_11target_archE4294967295ELNS1_3gpuE0ELNS1_3repE0EEENS1_30default_config_static_selectorELNS0_4arch9wavefront6targetE1EEEvT1_
    .private_segment_fixed_size: 0
    .sgpr_count:     4
    .sgpr_spill_count: 0
    .symbol:         _ZN7rocprim17ROCPRIM_400000_NS6detail17trampoline_kernelINS0_14default_configENS1_20scan_config_selectorIjEEZZNS1_9scan_implILNS1_25lookback_scan_determinismE0ELb0ELb0ES3_N6thrust23THRUST_200600_302600_NS6detail15normal_iteratorINS9_10device_ptrIjEEEESE_j11max_functorIjEjEEDaPvRmT3_T4_T5_mT6_P12ihipStream_tbENKUlT_T0_E_clISt17integral_constantIbLb1EEST_IbLb0EEEEDaSP_SQ_EUlSP_E_NS1_11comp_targetILNS1_3genE0ELNS1_11target_archE4294967295ELNS1_3gpuE0ELNS1_3repE0EEENS1_30default_config_static_selectorELNS0_4arch9wavefront6targetE1EEEvT1_.kd
    .uniform_work_group_size: 1
    .uses_dynamic_stack: false
    .vgpr_count:     0
    .vgpr_spill_count: 0
    .wavefront_size: 64
  - .agpr_count:     0
    .args:
      - .offset:         0
        .size:           96
        .value_kind:     by_value
    .group_segment_fixed_size: 0
    .kernarg_segment_align: 8
    .kernarg_segment_size: 96
    .language:       OpenCL C
    .language_version:
      - 2
      - 0
    .max_flat_workgroup_size: 256
    .name:           _ZN7rocprim17ROCPRIM_400000_NS6detail17trampoline_kernelINS0_14default_configENS1_20scan_config_selectorIjEEZZNS1_9scan_implILNS1_25lookback_scan_determinismE0ELb0ELb0ES3_N6thrust23THRUST_200600_302600_NS6detail15normal_iteratorINS9_10device_ptrIjEEEESE_j11max_functorIjEjEEDaPvRmT3_T4_T5_mT6_P12ihipStream_tbENKUlT_T0_E_clISt17integral_constantIbLb1EEST_IbLb0EEEEDaSP_SQ_EUlSP_E_NS1_11comp_targetILNS1_3genE5ELNS1_11target_archE942ELNS1_3gpuE9ELNS1_3repE0EEENS1_30default_config_static_selectorELNS0_4arch9wavefront6targetE1EEEvT1_
    .private_segment_fixed_size: 0
    .sgpr_count:     4
    .sgpr_spill_count: 0
    .symbol:         _ZN7rocprim17ROCPRIM_400000_NS6detail17trampoline_kernelINS0_14default_configENS1_20scan_config_selectorIjEEZZNS1_9scan_implILNS1_25lookback_scan_determinismE0ELb0ELb0ES3_N6thrust23THRUST_200600_302600_NS6detail15normal_iteratorINS9_10device_ptrIjEEEESE_j11max_functorIjEjEEDaPvRmT3_T4_T5_mT6_P12ihipStream_tbENKUlT_T0_E_clISt17integral_constantIbLb1EEST_IbLb0EEEEDaSP_SQ_EUlSP_E_NS1_11comp_targetILNS1_3genE5ELNS1_11target_archE942ELNS1_3gpuE9ELNS1_3repE0EEENS1_30default_config_static_selectorELNS0_4arch9wavefront6targetE1EEEvT1_.kd
    .uniform_work_group_size: 1
    .uses_dynamic_stack: false
    .vgpr_count:     0
    .vgpr_spill_count: 0
    .wavefront_size: 64
  - .agpr_count:     0
    .args:
      - .offset:         0
        .size:           96
        .value_kind:     by_value
    .group_segment_fixed_size: 5120
    .kernarg_segment_align: 8
    .kernarg_segment_size: 96
    .language:       OpenCL C
    .language_version:
      - 2
      - 0
    .max_flat_workgroup_size: 128
    .name:           _ZN7rocprim17ROCPRIM_400000_NS6detail17trampoline_kernelINS0_14default_configENS1_20scan_config_selectorIjEEZZNS1_9scan_implILNS1_25lookback_scan_determinismE0ELb0ELb0ES3_N6thrust23THRUST_200600_302600_NS6detail15normal_iteratorINS9_10device_ptrIjEEEESE_j11max_functorIjEjEEDaPvRmT3_T4_T5_mT6_P12ihipStream_tbENKUlT_T0_E_clISt17integral_constantIbLb1EEST_IbLb0EEEEDaSP_SQ_EUlSP_E_NS1_11comp_targetILNS1_3genE4ELNS1_11target_archE910ELNS1_3gpuE8ELNS1_3repE0EEENS1_30default_config_static_selectorELNS0_4arch9wavefront6targetE1EEEvT1_
    .private_segment_fixed_size: 0
    .sgpr_count:     32
    .sgpr_spill_count: 0
    .symbol:         _ZN7rocprim17ROCPRIM_400000_NS6detail17trampoline_kernelINS0_14default_configENS1_20scan_config_selectorIjEEZZNS1_9scan_implILNS1_25lookback_scan_determinismE0ELb0ELb0ES3_N6thrust23THRUST_200600_302600_NS6detail15normal_iteratorINS9_10device_ptrIjEEEESE_j11max_functorIjEjEEDaPvRmT3_T4_T5_mT6_P12ihipStream_tbENKUlT_T0_E_clISt17integral_constantIbLb1EEST_IbLb0EEEEDaSP_SQ_EUlSP_E_NS1_11comp_targetILNS1_3genE4ELNS1_11target_archE910ELNS1_3gpuE8ELNS1_3repE0EEENS1_30default_config_static_selectorELNS0_4arch9wavefront6targetE1EEEvT1_.kd
    .uniform_work_group_size: 1
    .uses_dynamic_stack: false
    .vgpr_count:     40
    .vgpr_spill_count: 0
    .wavefront_size: 64
  - .agpr_count:     0
    .args:
      - .offset:         0
        .size:           96
        .value_kind:     by_value
    .group_segment_fixed_size: 0
    .kernarg_segment_align: 8
    .kernarg_segment_size: 96
    .language:       OpenCL C
    .language_version:
      - 2
      - 0
    .max_flat_workgroup_size: 256
    .name:           _ZN7rocprim17ROCPRIM_400000_NS6detail17trampoline_kernelINS0_14default_configENS1_20scan_config_selectorIjEEZZNS1_9scan_implILNS1_25lookback_scan_determinismE0ELb0ELb0ES3_N6thrust23THRUST_200600_302600_NS6detail15normal_iteratorINS9_10device_ptrIjEEEESE_j11max_functorIjEjEEDaPvRmT3_T4_T5_mT6_P12ihipStream_tbENKUlT_T0_E_clISt17integral_constantIbLb1EEST_IbLb0EEEEDaSP_SQ_EUlSP_E_NS1_11comp_targetILNS1_3genE3ELNS1_11target_archE908ELNS1_3gpuE7ELNS1_3repE0EEENS1_30default_config_static_selectorELNS0_4arch9wavefront6targetE1EEEvT1_
    .private_segment_fixed_size: 0
    .sgpr_count:     4
    .sgpr_spill_count: 0
    .symbol:         _ZN7rocprim17ROCPRIM_400000_NS6detail17trampoline_kernelINS0_14default_configENS1_20scan_config_selectorIjEEZZNS1_9scan_implILNS1_25lookback_scan_determinismE0ELb0ELb0ES3_N6thrust23THRUST_200600_302600_NS6detail15normal_iteratorINS9_10device_ptrIjEEEESE_j11max_functorIjEjEEDaPvRmT3_T4_T5_mT6_P12ihipStream_tbENKUlT_T0_E_clISt17integral_constantIbLb1EEST_IbLb0EEEEDaSP_SQ_EUlSP_E_NS1_11comp_targetILNS1_3genE3ELNS1_11target_archE908ELNS1_3gpuE7ELNS1_3repE0EEENS1_30default_config_static_selectorELNS0_4arch9wavefront6targetE1EEEvT1_.kd
    .uniform_work_group_size: 1
    .uses_dynamic_stack: false
    .vgpr_count:     0
    .vgpr_spill_count: 0
    .wavefront_size: 64
  - .agpr_count:     0
    .args:
      - .offset:         0
        .size:           96
        .value_kind:     by_value
    .group_segment_fixed_size: 0
    .kernarg_segment_align: 8
    .kernarg_segment_size: 96
    .language:       OpenCL C
    .language_version:
      - 2
      - 0
    .max_flat_workgroup_size: 256
    .name:           _ZN7rocprim17ROCPRIM_400000_NS6detail17trampoline_kernelINS0_14default_configENS1_20scan_config_selectorIjEEZZNS1_9scan_implILNS1_25lookback_scan_determinismE0ELb0ELb0ES3_N6thrust23THRUST_200600_302600_NS6detail15normal_iteratorINS9_10device_ptrIjEEEESE_j11max_functorIjEjEEDaPvRmT3_T4_T5_mT6_P12ihipStream_tbENKUlT_T0_E_clISt17integral_constantIbLb1EEST_IbLb0EEEEDaSP_SQ_EUlSP_E_NS1_11comp_targetILNS1_3genE2ELNS1_11target_archE906ELNS1_3gpuE6ELNS1_3repE0EEENS1_30default_config_static_selectorELNS0_4arch9wavefront6targetE1EEEvT1_
    .private_segment_fixed_size: 0
    .sgpr_count:     4
    .sgpr_spill_count: 0
    .symbol:         _ZN7rocprim17ROCPRIM_400000_NS6detail17trampoline_kernelINS0_14default_configENS1_20scan_config_selectorIjEEZZNS1_9scan_implILNS1_25lookback_scan_determinismE0ELb0ELb0ES3_N6thrust23THRUST_200600_302600_NS6detail15normal_iteratorINS9_10device_ptrIjEEEESE_j11max_functorIjEjEEDaPvRmT3_T4_T5_mT6_P12ihipStream_tbENKUlT_T0_E_clISt17integral_constantIbLb1EEST_IbLb0EEEEDaSP_SQ_EUlSP_E_NS1_11comp_targetILNS1_3genE2ELNS1_11target_archE906ELNS1_3gpuE6ELNS1_3repE0EEENS1_30default_config_static_selectorELNS0_4arch9wavefront6targetE1EEEvT1_.kd
    .uniform_work_group_size: 1
    .uses_dynamic_stack: false
    .vgpr_count:     0
    .vgpr_spill_count: 0
    .wavefront_size: 64
  - .agpr_count:     0
    .args:
      - .offset:         0
        .size:           96
        .value_kind:     by_value
    .group_segment_fixed_size: 0
    .kernarg_segment_align: 8
    .kernarg_segment_size: 96
    .language:       OpenCL C
    .language_version:
      - 2
      - 0
    .max_flat_workgroup_size: 256
    .name:           _ZN7rocprim17ROCPRIM_400000_NS6detail17trampoline_kernelINS0_14default_configENS1_20scan_config_selectorIjEEZZNS1_9scan_implILNS1_25lookback_scan_determinismE0ELb0ELb0ES3_N6thrust23THRUST_200600_302600_NS6detail15normal_iteratorINS9_10device_ptrIjEEEESE_j11max_functorIjEjEEDaPvRmT3_T4_T5_mT6_P12ihipStream_tbENKUlT_T0_E_clISt17integral_constantIbLb1EEST_IbLb0EEEEDaSP_SQ_EUlSP_E_NS1_11comp_targetILNS1_3genE10ELNS1_11target_archE1201ELNS1_3gpuE5ELNS1_3repE0EEENS1_30default_config_static_selectorELNS0_4arch9wavefront6targetE1EEEvT1_
    .private_segment_fixed_size: 0
    .sgpr_count:     4
    .sgpr_spill_count: 0
    .symbol:         _ZN7rocprim17ROCPRIM_400000_NS6detail17trampoline_kernelINS0_14default_configENS1_20scan_config_selectorIjEEZZNS1_9scan_implILNS1_25lookback_scan_determinismE0ELb0ELb0ES3_N6thrust23THRUST_200600_302600_NS6detail15normal_iteratorINS9_10device_ptrIjEEEESE_j11max_functorIjEjEEDaPvRmT3_T4_T5_mT6_P12ihipStream_tbENKUlT_T0_E_clISt17integral_constantIbLb1EEST_IbLb0EEEEDaSP_SQ_EUlSP_E_NS1_11comp_targetILNS1_3genE10ELNS1_11target_archE1201ELNS1_3gpuE5ELNS1_3repE0EEENS1_30default_config_static_selectorELNS0_4arch9wavefront6targetE1EEEvT1_.kd
    .uniform_work_group_size: 1
    .uses_dynamic_stack: false
    .vgpr_count:     0
    .vgpr_spill_count: 0
    .wavefront_size: 64
  - .agpr_count:     0
    .args:
      - .offset:         0
        .size:           96
        .value_kind:     by_value
    .group_segment_fixed_size: 0
    .kernarg_segment_align: 8
    .kernarg_segment_size: 96
    .language:       OpenCL C
    .language_version:
      - 2
      - 0
    .max_flat_workgroup_size: 256
    .name:           _ZN7rocprim17ROCPRIM_400000_NS6detail17trampoline_kernelINS0_14default_configENS1_20scan_config_selectorIjEEZZNS1_9scan_implILNS1_25lookback_scan_determinismE0ELb0ELb0ES3_N6thrust23THRUST_200600_302600_NS6detail15normal_iteratorINS9_10device_ptrIjEEEESE_j11max_functorIjEjEEDaPvRmT3_T4_T5_mT6_P12ihipStream_tbENKUlT_T0_E_clISt17integral_constantIbLb1EEST_IbLb0EEEEDaSP_SQ_EUlSP_E_NS1_11comp_targetILNS1_3genE10ELNS1_11target_archE1200ELNS1_3gpuE4ELNS1_3repE0EEENS1_30default_config_static_selectorELNS0_4arch9wavefront6targetE1EEEvT1_
    .private_segment_fixed_size: 0
    .sgpr_count:     4
    .sgpr_spill_count: 0
    .symbol:         _ZN7rocprim17ROCPRIM_400000_NS6detail17trampoline_kernelINS0_14default_configENS1_20scan_config_selectorIjEEZZNS1_9scan_implILNS1_25lookback_scan_determinismE0ELb0ELb0ES3_N6thrust23THRUST_200600_302600_NS6detail15normal_iteratorINS9_10device_ptrIjEEEESE_j11max_functorIjEjEEDaPvRmT3_T4_T5_mT6_P12ihipStream_tbENKUlT_T0_E_clISt17integral_constantIbLb1EEST_IbLb0EEEEDaSP_SQ_EUlSP_E_NS1_11comp_targetILNS1_3genE10ELNS1_11target_archE1200ELNS1_3gpuE4ELNS1_3repE0EEENS1_30default_config_static_selectorELNS0_4arch9wavefront6targetE1EEEvT1_.kd
    .uniform_work_group_size: 1
    .uses_dynamic_stack: false
    .vgpr_count:     0
    .vgpr_spill_count: 0
    .wavefront_size: 64
  - .agpr_count:     0
    .args:
      - .offset:         0
        .size:           96
        .value_kind:     by_value
    .group_segment_fixed_size: 0
    .kernarg_segment_align: 8
    .kernarg_segment_size: 96
    .language:       OpenCL C
    .language_version:
      - 2
      - 0
    .max_flat_workgroup_size: 256
    .name:           _ZN7rocprim17ROCPRIM_400000_NS6detail17trampoline_kernelINS0_14default_configENS1_20scan_config_selectorIjEEZZNS1_9scan_implILNS1_25lookback_scan_determinismE0ELb0ELb0ES3_N6thrust23THRUST_200600_302600_NS6detail15normal_iteratorINS9_10device_ptrIjEEEESE_j11max_functorIjEjEEDaPvRmT3_T4_T5_mT6_P12ihipStream_tbENKUlT_T0_E_clISt17integral_constantIbLb1EEST_IbLb0EEEEDaSP_SQ_EUlSP_E_NS1_11comp_targetILNS1_3genE9ELNS1_11target_archE1100ELNS1_3gpuE3ELNS1_3repE0EEENS1_30default_config_static_selectorELNS0_4arch9wavefront6targetE1EEEvT1_
    .private_segment_fixed_size: 0
    .sgpr_count:     4
    .sgpr_spill_count: 0
    .symbol:         _ZN7rocprim17ROCPRIM_400000_NS6detail17trampoline_kernelINS0_14default_configENS1_20scan_config_selectorIjEEZZNS1_9scan_implILNS1_25lookback_scan_determinismE0ELb0ELb0ES3_N6thrust23THRUST_200600_302600_NS6detail15normal_iteratorINS9_10device_ptrIjEEEESE_j11max_functorIjEjEEDaPvRmT3_T4_T5_mT6_P12ihipStream_tbENKUlT_T0_E_clISt17integral_constantIbLb1EEST_IbLb0EEEEDaSP_SQ_EUlSP_E_NS1_11comp_targetILNS1_3genE9ELNS1_11target_archE1100ELNS1_3gpuE3ELNS1_3repE0EEENS1_30default_config_static_selectorELNS0_4arch9wavefront6targetE1EEEvT1_.kd
    .uniform_work_group_size: 1
    .uses_dynamic_stack: false
    .vgpr_count:     0
    .vgpr_spill_count: 0
    .wavefront_size: 64
  - .agpr_count:     0
    .args:
      - .offset:         0
        .size:           96
        .value_kind:     by_value
    .group_segment_fixed_size: 0
    .kernarg_segment_align: 8
    .kernarg_segment_size: 96
    .language:       OpenCL C
    .language_version:
      - 2
      - 0
    .max_flat_workgroup_size: 64
    .name:           _ZN7rocprim17ROCPRIM_400000_NS6detail17trampoline_kernelINS0_14default_configENS1_20scan_config_selectorIjEEZZNS1_9scan_implILNS1_25lookback_scan_determinismE0ELb0ELb0ES3_N6thrust23THRUST_200600_302600_NS6detail15normal_iteratorINS9_10device_ptrIjEEEESE_j11max_functorIjEjEEDaPvRmT3_T4_T5_mT6_P12ihipStream_tbENKUlT_T0_E_clISt17integral_constantIbLb1EEST_IbLb0EEEEDaSP_SQ_EUlSP_E_NS1_11comp_targetILNS1_3genE8ELNS1_11target_archE1030ELNS1_3gpuE2ELNS1_3repE0EEENS1_30default_config_static_selectorELNS0_4arch9wavefront6targetE1EEEvT1_
    .private_segment_fixed_size: 0
    .sgpr_count:     4
    .sgpr_spill_count: 0
    .symbol:         _ZN7rocprim17ROCPRIM_400000_NS6detail17trampoline_kernelINS0_14default_configENS1_20scan_config_selectorIjEEZZNS1_9scan_implILNS1_25lookback_scan_determinismE0ELb0ELb0ES3_N6thrust23THRUST_200600_302600_NS6detail15normal_iteratorINS9_10device_ptrIjEEEESE_j11max_functorIjEjEEDaPvRmT3_T4_T5_mT6_P12ihipStream_tbENKUlT_T0_E_clISt17integral_constantIbLb1EEST_IbLb0EEEEDaSP_SQ_EUlSP_E_NS1_11comp_targetILNS1_3genE8ELNS1_11target_archE1030ELNS1_3gpuE2ELNS1_3repE0EEENS1_30default_config_static_selectorELNS0_4arch9wavefront6targetE1EEEvT1_.kd
    .uniform_work_group_size: 1
    .uses_dynamic_stack: false
    .vgpr_count:     0
    .vgpr_spill_count: 0
    .wavefront_size: 64
  - .agpr_count:     0
    .args:
      - .offset:         0
        .size:           32
        .value_kind:     by_value
    .group_segment_fixed_size: 0
    .kernarg_segment_align: 8
    .kernarg_segment_size: 32
    .language:       OpenCL C
    .language_version:
      - 2
      - 0
    .max_flat_workgroup_size: 256
    .name:           _ZN7rocprim17ROCPRIM_400000_NS6detail17trampoline_kernelINS0_14default_configENS1_20scan_config_selectorIjEEZZNS1_9scan_implILNS1_25lookback_scan_determinismE0ELb0ELb0ES3_N6thrust23THRUST_200600_302600_NS6detail15normal_iteratorINS9_10device_ptrIjEEEESE_j11max_functorIjEjEEDaPvRmT3_T4_T5_mT6_P12ihipStream_tbENKUlT_T0_E_clISt17integral_constantIbLb1EEST_IbLb0EEEEDaSP_SQ_EUlSP_E0_NS1_11comp_targetILNS1_3genE0ELNS1_11target_archE4294967295ELNS1_3gpuE0ELNS1_3repE0EEENS1_30default_config_static_selectorELNS0_4arch9wavefront6targetE1EEEvT1_
    .private_segment_fixed_size: 0
    .sgpr_count:     4
    .sgpr_spill_count: 0
    .symbol:         _ZN7rocprim17ROCPRIM_400000_NS6detail17trampoline_kernelINS0_14default_configENS1_20scan_config_selectorIjEEZZNS1_9scan_implILNS1_25lookback_scan_determinismE0ELb0ELb0ES3_N6thrust23THRUST_200600_302600_NS6detail15normal_iteratorINS9_10device_ptrIjEEEESE_j11max_functorIjEjEEDaPvRmT3_T4_T5_mT6_P12ihipStream_tbENKUlT_T0_E_clISt17integral_constantIbLb1EEST_IbLb0EEEEDaSP_SQ_EUlSP_E0_NS1_11comp_targetILNS1_3genE0ELNS1_11target_archE4294967295ELNS1_3gpuE0ELNS1_3repE0EEENS1_30default_config_static_selectorELNS0_4arch9wavefront6targetE1EEEvT1_.kd
    .uniform_work_group_size: 1
    .uses_dynamic_stack: false
    .vgpr_count:     0
    .vgpr_spill_count: 0
    .wavefront_size: 64
  - .agpr_count:     0
    .args:
      - .offset:         0
        .size:           32
        .value_kind:     by_value
    .group_segment_fixed_size: 0
    .kernarg_segment_align: 8
    .kernarg_segment_size: 32
    .language:       OpenCL C
    .language_version:
      - 2
      - 0
    .max_flat_workgroup_size: 256
    .name:           _ZN7rocprim17ROCPRIM_400000_NS6detail17trampoline_kernelINS0_14default_configENS1_20scan_config_selectorIjEEZZNS1_9scan_implILNS1_25lookback_scan_determinismE0ELb0ELb0ES3_N6thrust23THRUST_200600_302600_NS6detail15normal_iteratorINS9_10device_ptrIjEEEESE_j11max_functorIjEjEEDaPvRmT3_T4_T5_mT6_P12ihipStream_tbENKUlT_T0_E_clISt17integral_constantIbLb1EEST_IbLb0EEEEDaSP_SQ_EUlSP_E0_NS1_11comp_targetILNS1_3genE5ELNS1_11target_archE942ELNS1_3gpuE9ELNS1_3repE0EEENS1_30default_config_static_selectorELNS0_4arch9wavefront6targetE1EEEvT1_
    .private_segment_fixed_size: 0
    .sgpr_count:     4
    .sgpr_spill_count: 0
    .symbol:         _ZN7rocprim17ROCPRIM_400000_NS6detail17trampoline_kernelINS0_14default_configENS1_20scan_config_selectorIjEEZZNS1_9scan_implILNS1_25lookback_scan_determinismE0ELb0ELb0ES3_N6thrust23THRUST_200600_302600_NS6detail15normal_iteratorINS9_10device_ptrIjEEEESE_j11max_functorIjEjEEDaPvRmT3_T4_T5_mT6_P12ihipStream_tbENKUlT_T0_E_clISt17integral_constantIbLb1EEST_IbLb0EEEEDaSP_SQ_EUlSP_E0_NS1_11comp_targetILNS1_3genE5ELNS1_11target_archE942ELNS1_3gpuE9ELNS1_3repE0EEENS1_30default_config_static_selectorELNS0_4arch9wavefront6targetE1EEEvT1_.kd
    .uniform_work_group_size: 1
    .uses_dynamic_stack: false
    .vgpr_count:     0
    .vgpr_spill_count: 0
    .wavefront_size: 64
  - .agpr_count:     0
    .args:
      - .offset:         0
        .size:           32
        .value_kind:     by_value
    .group_segment_fixed_size: 5120
    .kernarg_segment_align: 8
    .kernarg_segment_size: 32
    .language:       OpenCL C
    .language_version:
      - 2
      - 0
    .max_flat_workgroup_size: 128
    .name:           _ZN7rocprim17ROCPRIM_400000_NS6detail17trampoline_kernelINS0_14default_configENS1_20scan_config_selectorIjEEZZNS1_9scan_implILNS1_25lookback_scan_determinismE0ELb0ELb0ES3_N6thrust23THRUST_200600_302600_NS6detail15normal_iteratorINS9_10device_ptrIjEEEESE_j11max_functorIjEjEEDaPvRmT3_T4_T5_mT6_P12ihipStream_tbENKUlT_T0_E_clISt17integral_constantIbLb1EEST_IbLb0EEEEDaSP_SQ_EUlSP_E0_NS1_11comp_targetILNS1_3genE4ELNS1_11target_archE910ELNS1_3gpuE8ELNS1_3repE0EEENS1_30default_config_static_selectorELNS0_4arch9wavefront6targetE1EEEvT1_
    .private_segment_fixed_size: 0
    .sgpr_count:     28
    .sgpr_spill_count: 0
    .symbol:         _ZN7rocprim17ROCPRIM_400000_NS6detail17trampoline_kernelINS0_14default_configENS1_20scan_config_selectorIjEEZZNS1_9scan_implILNS1_25lookback_scan_determinismE0ELb0ELb0ES3_N6thrust23THRUST_200600_302600_NS6detail15normal_iteratorINS9_10device_ptrIjEEEESE_j11max_functorIjEjEEDaPvRmT3_T4_T5_mT6_P12ihipStream_tbENKUlT_T0_E_clISt17integral_constantIbLb1EEST_IbLb0EEEEDaSP_SQ_EUlSP_E0_NS1_11comp_targetILNS1_3genE4ELNS1_11target_archE910ELNS1_3gpuE8ELNS1_3repE0EEENS1_30default_config_static_selectorELNS0_4arch9wavefront6targetE1EEEvT1_.kd
    .uniform_work_group_size: 1
    .uses_dynamic_stack: false
    .vgpr_count:     28
    .vgpr_spill_count: 0
    .wavefront_size: 64
  - .agpr_count:     0
    .args:
      - .offset:         0
        .size:           32
        .value_kind:     by_value
    .group_segment_fixed_size: 0
    .kernarg_segment_align: 8
    .kernarg_segment_size: 32
    .language:       OpenCL C
    .language_version:
      - 2
      - 0
    .max_flat_workgroup_size: 256
    .name:           _ZN7rocprim17ROCPRIM_400000_NS6detail17trampoline_kernelINS0_14default_configENS1_20scan_config_selectorIjEEZZNS1_9scan_implILNS1_25lookback_scan_determinismE0ELb0ELb0ES3_N6thrust23THRUST_200600_302600_NS6detail15normal_iteratorINS9_10device_ptrIjEEEESE_j11max_functorIjEjEEDaPvRmT3_T4_T5_mT6_P12ihipStream_tbENKUlT_T0_E_clISt17integral_constantIbLb1EEST_IbLb0EEEEDaSP_SQ_EUlSP_E0_NS1_11comp_targetILNS1_3genE3ELNS1_11target_archE908ELNS1_3gpuE7ELNS1_3repE0EEENS1_30default_config_static_selectorELNS0_4arch9wavefront6targetE1EEEvT1_
    .private_segment_fixed_size: 0
    .sgpr_count:     4
    .sgpr_spill_count: 0
    .symbol:         _ZN7rocprim17ROCPRIM_400000_NS6detail17trampoline_kernelINS0_14default_configENS1_20scan_config_selectorIjEEZZNS1_9scan_implILNS1_25lookback_scan_determinismE0ELb0ELb0ES3_N6thrust23THRUST_200600_302600_NS6detail15normal_iteratorINS9_10device_ptrIjEEEESE_j11max_functorIjEjEEDaPvRmT3_T4_T5_mT6_P12ihipStream_tbENKUlT_T0_E_clISt17integral_constantIbLb1EEST_IbLb0EEEEDaSP_SQ_EUlSP_E0_NS1_11comp_targetILNS1_3genE3ELNS1_11target_archE908ELNS1_3gpuE7ELNS1_3repE0EEENS1_30default_config_static_selectorELNS0_4arch9wavefront6targetE1EEEvT1_.kd
    .uniform_work_group_size: 1
    .uses_dynamic_stack: false
    .vgpr_count:     0
    .vgpr_spill_count: 0
    .wavefront_size: 64
  - .agpr_count:     0
    .args:
      - .offset:         0
        .size:           32
        .value_kind:     by_value
    .group_segment_fixed_size: 0
    .kernarg_segment_align: 8
    .kernarg_segment_size: 32
    .language:       OpenCL C
    .language_version:
      - 2
      - 0
    .max_flat_workgroup_size: 256
    .name:           _ZN7rocprim17ROCPRIM_400000_NS6detail17trampoline_kernelINS0_14default_configENS1_20scan_config_selectorIjEEZZNS1_9scan_implILNS1_25lookback_scan_determinismE0ELb0ELb0ES3_N6thrust23THRUST_200600_302600_NS6detail15normal_iteratorINS9_10device_ptrIjEEEESE_j11max_functorIjEjEEDaPvRmT3_T4_T5_mT6_P12ihipStream_tbENKUlT_T0_E_clISt17integral_constantIbLb1EEST_IbLb0EEEEDaSP_SQ_EUlSP_E0_NS1_11comp_targetILNS1_3genE2ELNS1_11target_archE906ELNS1_3gpuE6ELNS1_3repE0EEENS1_30default_config_static_selectorELNS0_4arch9wavefront6targetE1EEEvT1_
    .private_segment_fixed_size: 0
    .sgpr_count:     4
    .sgpr_spill_count: 0
    .symbol:         _ZN7rocprim17ROCPRIM_400000_NS6detail17trampoline_kernelINS0_14default_configENS1_20scan_config_selectorIjEEZZNS1_9scan_implILNS1_25lookback_scan_determinismE0ELb0ELb0ES3_N6thrust23THRUST_200600_302600_NS6detail15normal_iteratorINS9_10device_ptrIjEEEESE_j11max_functorIjEjEEDaPvRmT3_T4_T5_mT6_P12ihipStream_tbENKUlT_T0_E_clISt17integral_constantIbLb1EEST_IbLb0EEEEDaSP_SQ_EUlSP_E0_NS1_11comp_targetILNS1_3genE2ELNS1_11target_archE906ELNS1_3gpuE6ELNS1_3repE0EEENS1_30default_config_static_selectorELNS0_4arch9wavefront6targetE1EEEvT1_.kd
    .uniform_work_group_size: 1
    .uses_dynamic_stack: false
    .vgpr_count:     0
    .vgpr_spill_count: 0
    .wavefront_size: 64
  - .agpr_count:     0
    .args:
      - .offset:         0
        .size:           32
        .value_kind:     by_value
    .group_segment_fixed_size: 0
    .kernarg_segment_align: 8
    .kernarg_segment_size: 32
    .language:       OpenCL C
    .language_version:
      - 2
      - 0
    .max_flat_workgroup_size: 256
    .name:           _ZN7rocprim17ROCPRIM_400000_NS6detail17trampoline_kernelINS0_14default_configENS1_20scan_config_selectorIjEEZZNS1_9scan_implILNS1_25lookback_scan_determinismE0ELb0ELb0ES3_N6thrust23THRUST_200600_302600_NS6detail15normal_iteratorINS9_10device_ptrIjEEEESE_j11max_functorIjEjEEDaPvRmT3_T4_T5_mT6_P12ihipStream_tbENKUlT_T0_E_clISt17integral_constantIbLb1EEST_IbLb0EEEEDaSP_SQ_EUlSP_E0_NS1_11comp_targetILNS1_3genE10ELNS1_11target_archE1201ELNS1_3gpuE5ELNS1_3repE0EEENS1_30default_config_static_selectorELNS0_4arch9wavefront6targetE1EEEvT1_
    .private_segment_fixed_size: 0
    .sgpr_count:     4
    .sgpr_spill_count: 0
    .symbol:         _ZN7rocprim17ROCPRIM_400000_NS6detail17trampoline_kernelINS0_14default_configENS1_20scan_config_selectorIjEEZZNS1_9scan_implILNS1_25lookback_scan_determinismE0ELb0ELb0ES3_N6thrust23THRUST_200600_302600_NS6detail15normal_iteratorINS9_10device_ptrIjEEEESE_j11max_functorIjEjEEDaPvRmT3_T4_T5_mT6_P12ihipStream_tbENKUlT_T0_E_clISt17integral_constantIbLb1EEST_IbLb0EEEEDaSP_SQ_EUlSP_E0_NS1_11comp_targetILNS1_3genE10ELNS1_11target_archE1201ELNS1_3gpuE5ELNS1_3repE0EEENS1_30default_config_static_selectorELNS0_4arch9wavefront6targetE1EEEvT1_.kd
    .uniform_work_group_size: 1
    .uses_dynamic_stack: false
    .vgpr_count:     0
    .vgpr_spill_count: 0
    .wavefront_size: 64
  - .agpr_count:     0
    .args:
      - .offset:         0
        .size:           32
        .value_kind:     by_value
    .group_segment_fixed_size: 0
    .kernarg_segment_align: 8
    .kernarg_segment_size: 32
    .language:       OpenCL C
    .language_version:
      - 2
      - 0
    .max_flat_workgroup_size: 256
    .name:           _ZN7rocprim17ROCPRIM_400000_NS6detail17trampoline_kernelINS0_14default_configENS1_20scan_config_selectorIjEEZZNS1_9scan_implILNS1_25lookback_scan_determinismE0ELb0ELb0ES3_N6thrust23THRUST_200600_302600_NS6detail15normal_iteratorINS9_10device_ptrIjEEEESE_j11max_functorIjEjEEDaPvRmT3_T4_T5_mT6_P12ihipStream_tbENKUlT_T0_E_clISt17integral_constantIbLb1EEST_IbLb0EEEEDaSP_SQ_EUlSP_E0_NS1_11comp_targetILNS1_3genE10ELNS1_11target_archE1200ELNS1_3gpuE4ELNS1_3repE0EEENS1_30default_config_static_selectorELNS0_4arch9wavefront6targetE1EEEvT1_
    .private_segment_fixed_size: 0
    .sgpr_count:     4
    .sgpr_spill_count: 0
    .symbol:         _ZN7rocprim17ROCPRIM_400000_NS6detail17trampoline_kernelINS0_14default_configENS1_20scan_config_selectorIjEEZZNS1_9scan_implILNS1_25lookback_scan_determinismE0ELb0ELb0ES3_N6thrust23THRUST_200600_302600_NS6detail15normal_iteratorINS9_10device_ptrIjEEEESE_j11max_functorIjEjEEDaPvRmT3_T4_T5_mT6_P12ihipStream_tbENKUlT_T0_E_clISt17integral_constantIbLb1EEST_IbLb0EEEEDaSP_SQ_EUlSP_E0_NS1_11comp_targetILNS1_3genE10ELNS1_11target_archE1200ELNS1_3gpuE4ELNS1_3repE0EEENS1_30default_config_static_selectorELNS0_4arch9wavefront6targetE1EEEvT1_.kd
    .uniform_work_group_size: 1
    .uses_dynamic_stack: false
    .vgpr_count:     0
    .vgpr_spill_count: 0
    .wavefront_size: 64
  - .agpr_count:     0
    .args:
      - .offset:         0
        .size:           32
        .value_kind:     by_value
    .group_segment_fixed_size: 0
    .kernarg_segment_align: 8
    .kernarg_segment_size: 32
    .language:       OpenCL C
    .language_version:
      - 2
      - 0
    .max_flat_workgroup_size: 256
    .name:           _ZN7rocprim17ROCPRIM_400000_NS6detail17trampoline_kernelINS0_14default_configENS1_20scan_config_selectorIjEEZZNS1_9scan_implILNS1_25lookback_scan_determinismE0ELb0ELb0ES3_N6thrust23THRUST_200600_302600_NS6detail15normal_iteratorINS9_10device_ptrIjEEEESE_j11max_functorIjEjEEDaPvRmT3_T4_T5_mT6_P12ihipStream_tbENKUlT_T0_E_clISt17integral_constantIbLb1EEST_IbLb0EEEEDaSP_SQ_EUlSP_E0_NS1_11comp_targetILNS1_3genE9ELNS1_11target_archE1100ELNS1_3gpuE3ELNS1_3repE0EEENS1_30default_config_static_selectorELNS0_4arch9wavefront6targetE1EEEvT1_
    .private_segment_fixed_size: 0
    .sgpr_count:     4
    .sgpr_spill_count: 0
    .symbol:         _ZN7rocprim17ROCPRIM_400000_NS6detail17trampoline_kernelINS0_14default_configENS1_20scan_config_selectorIjEEZZNS1_9scan_implILNS1_25lookback_scan_determinismE0ELb0ELb0ES3_N6thrust23THRUST_200600_302600_NS6detail15normal_iteratorINS9_10device_ptrIjEEEESE_j11max_functorIjEjEEDaPvRmT3_T4_T5_mT6_P12ihipStream_tbENKUlT_T0_E_clISt17integral_constantIbLb1EEST_IbLb0EEEEDaSP_SQ_EUlSP_E0_NS1_11comp_targetILNS1_3genE9ELNS1_11target_archE1100ELNS1_3gpuE3ELNS1_3repE0EEENS1_30default_config_static_selectorELNS0_4arch9wavefront6targetE1EEEvT1_.kd
    .uniform_work_group_size: 1
    .uses_dynamic_stack: false
    .vgpr_count:     0
    .vgpr_spill_count: 0
    .wavefront_size: 64
  - .agpr_count:     0
    .args:
      - .offset:         0
        .size:           32
        .value_kind:     by_value
    .group_segment_fixed_size: 0
    .kernarg_segment_align: 8
    .kernarg_segment_size: 32
    .language:       OpenCL C
    .language_version:
      - 2
      - 0
    .max_flat_workgroup_size: 64
    .name:           _ZN7rocprim17ROCPRIM_400000_NS6detail17trampoline_kernelINS0_14default_configENS1_20scan_config_selectorIjEEZZNS1_9scan_implILNS1_25lookback_scan_determinismE0ELb0ELb0ES3_N6thrust23THRUST_200600_302600_NS6detail15normal_iteratorINS9_10device_ptrIjEEEESE_j11max_functorIjEjEEDaPvRmT3_T4_T5_mT6_P12ihipStream_tbENKUlT_T0_E_clISt17integral_constantIbLb1EEST_IbLb0EEEEDaSP_SQ_EUlSP_E0_NS1_11comp_targetILNS1_3genE8ELNS1_11target_archE1030ELNS1_3gpuE2ELNS1_3repE0EEENS1_30default_config_static_selectorELNS0_4arch9wavefront6targetE1EEEvT1_
    .private_segment_fixed_size: 0
    .sgpr_count:     4
    .sgpr_spill_count: 0
    .symbol:         _ZN7rocprim17ROCPRIM_400000_NS6detail17trampoline_kernelINS0_14default_configENS1_20scan_config_selectorIjEEZZNS1_9scan_implILNS1_25lookback_scan_determinismE0ELb0ELb0ES3_N6thrust23THRUST_200600_302600_NS6detail15normal_iteratorINS9_10device_ptrIjEEEESE_j11max_functorIjEjEEDaPvRmT3_T4_T5_mT6_P12ihipStream_tbENKUlT_T0_E_clISt17integral_constantIbLb1EEST_IbLb0EEEEDaSP_SQ_EUlSP_E0_NS1_11comp_targetILNS1_3genE8ELNS1_11target_archE1030ELNS1_3gpuE2ELNS1_3repE0EEENS1_30default_config_static_selectorELNS0_4arch9wavefront6targetE1EEEvT1_.kd
    .uniform_work_group_size: 1
    .uses_dynamic_stack: false
    .vgpr_count:     0
    .vgpr_spill_count: 0
    .wavefront_size: 64
  - .agpr_count:     0
    .args:
      - .address_space:  global
        .offset:         0
        .size:           8
        .value_kind:     global_buffer
      - .offset:         8
        .size:           4
        .value_kind:     by_value
      - .address_space:  global
        .offset:         16
        .size:           8
        .value_kind:     global_buffer
      - .offset:         24
        .size:           4
        .value_kind:     by_value
      - .address_space:  global
        .offset:         32
        .size:           8
        .value_kind:     global_buffer
      - .offset:         40
        .size:           4
        .value_kind:     hidden_block_count_x
      - .offset:         44
        .size:           4
        .value_kind:     hidden_block_count_y
      - .offset:         48
        .size:           4
        .value_kind:     hidden_block_count_z
      - .offset:         52
        .size:           2
        .value_kind:     hidden_group_size_x
      - .offset:         54
        .size:           2
        .value_kind:     hidden_group_size_y
      - .offset:         56
        .size:           2
        .value_kind:     hidden_group_size_z
      - .offset:         58
        .size:           2
        .value_kind:     hidden_remainder_x
      - .offset:         60
        .size:           2
        .value_kind:     hidden_remainder_y
      - .offset:         62
        .size:           2
        .value_kind:     hidden_remainder_z
      - .offset:         80
        .size:           8
        .value_kind:     hidden_global_offset_x
      - .offset:         88
        .size:           8
        .value_kind:     hidden_global_offset_y
      - .offset:         96
        .size:           8
        .value_kind:     hidden_global_offset_z
      - .offset:         104
        .size:           2
        .value_kind:     hidden_grid_dims
    .group_segment_fixed_size: 0
    .kernarg_segment_align: 8
    .kernarg_segment_size: 296
    .language:       OpenCL C
    .language_version:
      - 2
      - 0
    .max_flat_workgroup_size: 256
    .name:           _ZN7rocprim17ROCPRIM_400000_NS6detail31init_lookback_scan_state_kernelINS1_19lookback_scan_stateIjLb0ELb1EEENS1_16block_id_wrapperIjLb1EEEEEvT_jT0_jPNS7_10value_typeE
    .private_segment_fixed_size: 0
    .sgpr_count:     15
    .sgpr_spill_count: 0
    .symbol:         _ZN7rocprim17ROCPRIM_400000_NS6detail31init_lookback_scan_state_kernelINS1_19lookback_scan_stateIjLb0ELb1EEENS1_16block_id_wrapperIjLb1EEEEEvT_jT0_jPNS7_10value_typeE.kd
    .uniform_work_group_size: 1
    .uses_dynamic_stack: false
    .vgpr_count:     6
    .vgpr_spill_count: 0
    .wavefront_size: 64
  - .agpr_count:     0
    .args:
      - .offset:         0
        .size:           96
        .value_kind:     by_value
    .group_segment_fixed_size: 0
    .kernarg_segment_align: 8
    .kernarg_segment_size: 96
    .language:       OpenCL C
    .language_version:
      - 2
      - 0
    .max_flat_workgroup_size: 256
    .name:           _ZN7rocprim17ROCPRIM_400000_NS6detail17trampoline_kernelINS0_14default_configENS1_20scan_config_selectorIjEEZZNS1_9scan_implILNS1_25lookback_scan_determinismE0ELb0ELb0ES3_N6thrust23THRUST_200600_302600_NS6detail15normal_iteratorINS9_10device_ptrIjEEEESE_j11max_functorIjEjEEDaPvRmT3_T4_T5_mT6_P12ihipStream_tbENKUlT_T0_E_clISt17integral_constantIbLb0EEST_IbLb1EEEEDaSP_SQ_EUlSP_E_NS1_11comp_targetILNS1_3genE0ELNS1_11target_archE4294967295ELNS1_3gpuE0ELNS1_3repE0EEENS1_30default_config_static_selectorELNS0_4arch9wavefront6targetE1EEEvT1_
    .private_segment_fixed_size: 0
    .sgpr_count:     4
    .sgpr_spill_count: 0
    .symbol:         _ZN7rocprim17ROCPRIM_400000_NS6detail17trampoline_kernelINS0_14default_configENS1_20scan_config_selectorIjEEZZNS1_9scan_implILNS1_25lookback_scan_determinismE0ELb0ELb0ES3_N6thrust23THRUST_200600_302600_NS6detail15normal_iteratorINS9_10device_ptrIjEEEESE_j11max_functorIjEjEEDaPvRmT3_T4_T5_mT6_P12ihipStream_tbENKUlT_T0_E_clISt17integral_constantIbLb0EEST_IbLb1EEEEDaSP_SQ_EUlSP_E_NS1_11comp_targetILNS1_3genE0ELNS1_11target_archE4294967295ELNS1_3gpuE0ELNS1_3repE0EEENS1_30default_config_static_selectorELNS0_4arch9wavefront6targetE1EEEvT1_.kd
    .uniform_work_group_size: 1
    .uses_dynamic_stack: false
    .vgpr_count:     0
    .vgpr_spill_count: 0
    .wavefront_size: 64
  - .agpr_count:     0
    .args:
      - .offset:         0
        .size:           96
        .value_kind:     by_value
    .group_segment_fixed_size: 0
    .kernarg_segment_align: 8
    .kernarg_segment_size: 96
    .language:       OpenCL C
    .language_version:
      - 2
      - 0
    .max_flat_workgroup_size: 256
    .name:           _ZN7rocprim17ROCPRIM_400000_NS6detail17trampoline_kernelINS0_14default_configENS1_20scan_config_selectorIjEEZZNS1_9scan_implILNS1_25lookback_scan_determinismE0ELb0ELb0ES3_N6thrust23THRUST_200600_302600_NS6detail15normal_iteratorINS9_10device_ptrIjEEEESE_j11max_functorIjEjEEDaPvRmT3_T4_T5_mT6_P12ihipStream_tbENKUlT_T0_E_clISt17integral_constantIbLb0EEST_IbLb1EEEEDaSP_SQ_EUlSP_E_NS1_11comp_targetILNS1_3genE5ELNS1_11target_archE942ELNS1_3gpuE9ELNS1_3repE0EEENS1_30default_config_static_selectorELNS0_4arch9wavefront6targetE1EEEvT1_
    .private_segment_fixed_size: 0
    .sgpr_count:     4
    .sgpr_spill_count: 0
    .symbol:         _ZN7rocprim17ROCPRIM_400000_NS6detail17trampoline_kernelINS0_14default_configENS1_20scan_config_selectorIjEEZZNS1_9scan_implILNS1_25lookback_scan_determinismE0ELb0ELb0ES3_N6thrust23THRUST_200600_302600_NS6detail15normal_iteratorINS9_10device_ptrIjEEEESE_j11max_functorIjEjEEDaPvRmT3_T4_T5_mT6_P12ihipStream_tbENKUlT_T0_E_clISt17integral_constantIbLb0EEST_IbLb1EEEEDaSP_SQ_EUlSP_E_NS1_11comp_targetILNS1_3genE5ELNS1_11target_archE942ELNS1_3gpuE9ELNS1_3repE0EEENS1_30default_config_static_selectorELNS0_4arch9wavefront6targetE1EEEvT1_.kd
    .uniform_work_group_size: 1
    .uses_dynamic_stack: false
    .vgpr_count:     0
    .vgpr_spill_count: 0
    .wavefront_size: 64
  - .agpr_count:     0
    .args:
      - .offset:         0
        .size:           96
        .value_kind:     by_value
    .group_segment_fixed_size: 5120
    .kernarg_segment_align: 8
    .kernarg_segment_size: 96
    .language:       OpenCL C
    .language_version:
      - 2
      - 0
    .max_flat_workgroup_size: 128
    .name:           _ZN7rocprim17ROCPRIM_400000_NS6detail17trampoline_kernelINS0_14default_configENS1_20scan_config_selectorIjEEZZNS1_9scan_implILNS1_25lookback_scan_determinismE0ELb0ELb0ES3_N6thrust23THRUST_200600_302600_NS6detail15normal_iteratorINS9_10device_ptrIjEEEESE_j11max_functorIjEjEEDaPvRmT3_T4_T5_mT6_P12ihipStream_tbENKUlT_T0_E_clISt17integral_constantIbLb0EEST_IbLb1EEEEDaSP_SQ_EUlSP_E_NS1_11comp_targetILNS1_3genE4ELNS1_11target_archE910ELNS1_3gpuE8ELNS1_3repE0EEENS1_30default_config_static_selectorELNS0_4arch9wavefront6targetE1EEEvT1_
    .private_segment_fixed_size: 0
    .sgpr_count:     40
    .sgpr_spill_count: 0
    .symbol:         _ZN7rocprim17ROCPRIM_400000_NS6detail17trampoline_kernelINS0_14default_configENS1_20scan_config_selectorIjEEZZNS1_9scan_implILNS1_25lookback_scan_determinismE0ELb0ELb0ES3_N6thrust23THRUST_200600_302600_NS6detail15normal_iteratorINS9_10device_ptrIjEEEESE_j11max_functorIjEjEEDaPvRmT3_T4_T5_mT6_P12ihipStream_tbENKUlT_T0_E_clISt17integral_constantIbLb0EEST_IbLb1EEEEDaSP_SQ_EUlSP_E_NS1_11comp_targetILNS1_3genE4ELNS1_11target_archE910ELNS1_3gpuE8ELNS1_3repE0EEENS1_30default_config_static_selectorELNS0_4arch9wavefront6targetE1EEEvT1_.kd
    .uniform_work_group_size: 1
    .uses_dynamic_stack: false
    .vgpr_count:     40
    .vgpr_spill_count: 0
    .wavefront_size: 64
  - .agpr_count:     0
    .args:
      - .offset:         0
        .size:           96
        .value_kind:     by_value
    .group_segment_fixed_size: 0
    .kernarg_segment_align: 8
    .kernarg_segment_size: 96
    .language:       OpenCL C
    .language_version:
      - 2
      - 0
    .max_flat_workgroup_size: 256
    .name:           _ZN7rocprim17ROCPRIM_400000_NS6detail17trampoline_kernelINS0_14default_configENS1_20scan_config_selectorIjEEZZNS1_9scan_implILNS1_25lookback_scan_determinismE0ELb0ELb0ES3_N6thrust23THRUST_200600_302600_NS6detail15normal_iteratorINS9_10device_ptrIjEEEESE_j11max_functorIjEjEEDaPvRmT3_T4_T5_mT6_P12ihipStream_tbENKUlT_T0_E_clISt17integral_constantIbLb0EEST_IbLb1EEEEDaSP_SQ_EUlSP_E_NS1_11comp_targetILNS1_3genE3ELNS1_11target_archE908ELNS1_3gpuE7ELNS1_3repE0EEENS1_30default_config_static_selectorELNS0_4arch9wavefront6targetE1EEEvT1_
    .private_segment_fixed_size: 0
    .sgpr_count:     4
    .sgpr_spill_count: 0
    .symbol:         _ZN7rocprim17ROCPRIM_400000_NS6detail17trampoline_kernelINS0_14default_configENS1_20scan_config_selectorIjEEZZNS1_9scan_implILNS1_25lookback_scan_determinismE0ELb0ELb0ES3_N6thrust23THRUST_200600_302600_NS6detail15normal_iteratorINS9_10device_ptrIjEEEESE_j11max_functorIjEjEEDaPvRmT3_T4_T5_mT6_P12ihipStream_tbENKUlT_T0_E_clISt17integral_constantIbLb0EEST_IbLb1EEEEDaSP_SQ_EUlSP_E_NS1_11comp_targetILNS1_3genE3ELNS1_11target_archE908ELNS1_3gpuE7ELNS1_3repE0EEENS1_30default_config_static_selectorELNS0_4arch9wavefront6targetE1EEEvT1_.kd
    .uniform_work_group_size: 1
    .uses_dynamic_stack: false
    .vgpr_count:     0
    .vgpr_spill_count: 0
    .wavefront_size: 64
  - .agpr_count:     0
    .args:
      - .offset:         0
        .size:           96
        .value_kind:     by_value
    .group_segment_fixed_size: 0
    .kernarg_segment_align: 8
    .kernarg_segment_size: 96
    .language:       OpenCL C
    .language_version:
      - 2
      - 0
    .max_flat_workgroup_size: 256
    .name:           _ZN7rocprim17ROCPRIM_400000_NS6detail17trampoline_kernelINS0_14default_configENS1_20scan_config_selectorIjEEZZNS1_9scan_implILNS1_25lookback_scan_determinismE0ELb0ELb0ES3_N6thrust23THRUST_200600_302600_NS6detail15normal_iteratorINS9_10device_ptrIjEEEESE_j11max_functorIjEjEEDaPvRmT3_T4_T5_mT6_P12ihipStream_tbENKUlT_T0_E_clISt17integral_constantIbLb0EEST_IbLb1EEEEDaSP_SQ_EUlSP_E_NS1_11comp_targetILNS1_3genE2ELNS1_11target_archE906ELNS1_3gpuE6ELNS1_3repE0EEENS1_30default_config_static_selectorELNS0_4arch9wavefront6targetE1EEEvT1_
    .private_segment_fixed_size: 0
    .sgpr_count:     4
    .sgpr_spill_count: 0
    .symbol:         _ZN7rocprim17ROCPRIM_400000_NS6detail17trampoline_kernelINS0_14default_configENS1_20scan_config_selectorIjEEZZNS1_9scan_implILNS1_25lookback_scan_determinismE0ELb0ELb0ES3_N6thrust23THRUST_200600_302600_NS6detail15normal_iteratorINS9_10device_ptrIjEEEESE_j11max_functorIjEjEEDaPvRmT3_T4_T5_mT6_P12ihipStream_tbENKUlT_T0_E_clISt17integral_constantIbLb0EEST_IbLb1EEEEDaSP_SQ_EUlSP_E_NS1_11comp_targetILNS1_3genE2ELNS1_11target_archE906ELNS1_3gpuE6ELNS1_3repE0EEENS1_30default_config_static_selectorELNS0_4arch9wavefront6targetE1EEEvT1_.kd
    .uniform_work_group_size: 1
    .uses_dynamic_stack: false
    .vgpr_count:     0
    .vgpr_spill_count: 0
    .wavefront_size: 64
  - .agpr_count:     0
    .args:
      - .offset:         0
        .size:           96
        .value_kind:     by_value
    .group_segment_fixed_size: 0
    .kernarg_segment_align: 8
    .kernarg_segment_size: 96
    .language:       OpenCL C
    .language_version:
      - 2
      - 0
    .max_flat_workgroup_size: 256
    .name:           _ZN7rocprim17ROCPRIM_400000_NS6detail17trampoline_kernelINS0_14default_configENS1_20scan_config_selectorIjEEZZNS1_9scan_implILNS1_25lookback_scan_determinismE0ELb0ELb0ES3_N6thrust23THRUST_200600_302600_NS6detail15normal_iteratorINS9_10device_ptrIjEEEESE_j11max_functorIjEjEEDaPvRmT3_T4_T5_mT6_P12ihipStream_tbENKUlT_T0_E_clISt17integral_constantIbLb0EEST_IbLb1EEEEDaSP_SQ_EUlSP_E_NS1_11comp_targetILNS1_3genE10ELNS1_11target_archE1201ELNS1_3gpuE5ELNS1_3repE0EEENS1_30default_config_static_selectorELNS0_4arch9wavefront6targetE1EEEvT1_
    .private_segment_fixed_size: 0
    .sgpr_count:     4
    .sgpr_spill_count: 0
    .symbol:         _ZN7rocprim17ROCPRIM_400000_NS6detail17trampoline_kernelINS0_14default_configENS1_20scan_config_selectorIjEEZZNS1_9scan_implILNS1_25lookback_scan_determinismE0ELb0ELb0ES3_N6thrust23THRUST_200600_302600_NS6detail15normal_iteratorINS9_10device_ptrIjEEEESE_j11max_functorIjEjEEDaPvRmT3_T4_T5_mT6_P12ihipStream_tbENKUlT_T0_E_clISt17integral_constantIbLb0EEST_IbLb1EEEEDaSP_SQ_EUlSP_E_NS1_11comp_targetILNS1_3genE10ELNS1_11target_archE1201ELNS1_3gpuE5ELNS1_3repE0EEENS1_30default_config_static_selectorELNS0_4arch9wavefront6targetE1EEEvT1_.kd
    .uniform_work_group_size: 1
    .uses_dynamic_stack: false
    .vgpr_count:     0
    .vgpr_spill_count: 0
    .wavefront_size: 64
  - .agpr_count:     0
    .args:
      - .offset:         0
        .size:           96
        .value_kind:     by_value
    .group_segment_fixed_size: 0
    .kernarg_segment_align: 8
    .kernarg_segment_size: 96
    .language:       OpenCL C
    .language_version:
      - 2
      - 0
    .max_flat_workgroup_size: 256
    .name:           _ZN7rocprim17ROCPRIM_400000_NS6detail17trampoline_kernelINS0_14default_configENS1_20scan_config_selectorIjEEZZNS1_9scan_implILNS1_25lookback_scan_determinismE0ELb0ELb0ES3_N6thrust23THRUST_200600_302600_NS6detail15normal_iteratorINS9_10device_ptrIjEEEESE_j11max_functorIjEjEEDaPvRmT3_T4_T5_mT6_P12ihipStream_tbENKUlT_T0_E_clISt17integral_constantIbLb0EEST_IbLb1EEEEDaSP_SQ_EUlSP_E_NS1_11comp_targetILNS1_3genE10ELNS1_11target_archE1200ELNS1_3gpuE4ELNS1_3repE0EEENS1_30default_config_static_selectorELNS0_4arch9wavefront6targetE1EEEvT1_
    .private_segment_fixed_size: 0
    .sgpr_count:     4
    .sgpr_spill_count: 0
    .symbol:         _ZN7rocprim17ROCPRIM_400000_NS6detail17trampoline_kernelINS0_14default_configENS1_20scan_config_selectorIjEEZZNS1_9scan_implILNS1_25lookback_scan_determinismE0ELb0ELb0ES3_N6thrust23THRUST_200600_302600_NS6detail15normal_iteratorINS9_10device_ptrIjEEEESE_j11max_functorIjEjEEDaPvRmT3_T4_T5_mT6_P12ihipStream_tbENKUlT_T0_E_clISt17integral_constantIbLb0EEST_IbLb1EEEEDaSP_SQ_EUlSP_E_NS1_11comp_targetILNS1_3genE10ELNS1_11target_archE1200ELNS1_3gpuE4ELNS1_3repE0EEENS1_30default_config_static_selectorELNS0_4arch9wavefront6targetE1EEEvT1_.kd
    .uniform_work_group_size: 1
    .uses_dynamic_stack: false
    .vgpr_count:     0
    .vgpr_spill_count: 0
    .wavefront_size: 64
  - .agpr_count:     0
    .args:
      - .offset:         0
        .size:           96
        .value_kind:     by_value
    .group_segment_fixed_size: 0
    .kernarg_segment_align: 8
    .kernarg_segment_size: 96
    .language:       OpenCL C
    .language_version:
      - 2
      - 0
    .max_flat_workgroup_size: 256
    .name:           _ZN7rocprim17ROCPRIM_400000_NS6detail17trampoline_kernelINS0_14default_configENS1_20scan_config_selectorIjEEZZNS1_9scan_implILNS1_25lookback_scan_determinismE0ELb0ELb0ES3_N6thrust23THRUST_200600_302600_NS6detail15normal_iteratorINS9_10device_ptrIjEEEESE_j11max_functorIjEjEEDaPvRmT3_T4_T5_mT6_P12ihipStream_tbENKUlT_T0_E_clISt17integral_constantIbLb0EEST_IbLb1EEEEDaSP_SQ_EUlSP_E_NS1_11comp_targetILNS1_3genE9ELNS1_11target_archE1100ELNS1_3gpuE3ELNS1_3repE0EEENS1_30default_config_static_selectorELNS0_4arch9wavefront6targetE1EEEvT1_
    .private_segment_fixed_size: 0
    .sgpr_count:     4
    .sgpr_spill_count: 0
    .symbol:         _ZN7rocprim17ROCPRIM_400000_NS6detail17trampoline_kernelINS0_14default_configENS1_20scan_config_selectorIjEEZZNS1_9scan_implILNS1_25lookback_scan_determinismE0ELb0ELb0ES3_N6thrust23THRUST_200600_302600_NS6detail15normal_iteratorINS9_10device_ptrIjEEEESE_j11max_functorIjEjEEDaPvRmT3_T4_T5_mT6_P12ihipStream_tbENKUlT_T0_E_clISt17integral_constantIbLb0EEST_IbLb1EEEEDaSP_SQ_EUlSP_E_NS1_11comp_targetILNS1_3genE9ELNS1_11target_archE1100ELNS1_3gpuE3ELNS1_3repE0EEENS1_30default_config_static_selectorELNS0_4arch9wavefront6targetE1EEEvT1_.kd
    .uniform_work_group_size: 1
    .uses_dynamic_stack: false
    .vgpr_count:     0
    .vgpr_spill_count: 0
    .wavefront_size: 64
  - .agpr_count:     0
    .args:
      - .offset:         0
        .size:           96
        .value_kind:     by_value
    .group_segment_fixed_size: 0
    .kernarg_segment_align: 8
    .kernarg_segment_size: 96
    .language:       OpenCL C
    .language_version:
      - 2
      - 0
    .max_flat_workgroup_size: 64
    .name:           _ZN7rocprim17ROCPRIM_400000_NS6detail17trampoline_kernelINS0_14default_configENS1_20scan_config_selectorIjEEZZNS1_9scan_implILNS1_25lookback_scan_determinismE0ELb0ELb0ES3_N6thrust23THRUST_200600_302600_NS6detail15normal_iteratorINS9_10device_ptrIjEEEESE_j11max_functorIjEjEEDaPvRmT3_T4_T5_mT6_P12ihipStream_tbENKUlT_T0_E_clISt17integral_constantIbLb0EEST_IbLb1EEEEDaSP_SQ_EUlSP_E_NS1_11comp_targetILNS1_3genE8ELNS1_11target_archE1030ELNS1_3gpuE2ELNS1_3repE0EEENS1_30default_config_static_selectorELNS0_4arch9wavefront6targetE1EEEvT1_
    .private_segment_fixed_size: 0
    .sgpr_count:     4
    .sgpr_spill_count: 0
    .symbol:         _ZN7rocprim17ROCPRIM_400000_NS6detail17trampoline_kernelINS0_14default_configENS1_20scan_config_selectorIjEEZZNS1_9scan_implILNS1_25lookback_scan_determinismE0ELb0ELb0ES3_N6thrust23THRUST_200600_302600_NS6detail15normal_iteratorINS9_10device_ptrIjEEEESE_j11max_functorIjEjEEDaPvRmT3_T4_T5_mT6_P12ihipStream_tbENKUlT_T0_E_clISt17integral_constantIbLb0EEST_IbLb1EEEEDaSP_SQ_EUlSP_E_NS1_11comp_targetILNS1_3genE8ELNS1_11target_archE1030ELNS1_3gpuE2ELNS1_3repE0EEENS1_30default_config_static_selectorELNS0_4arch9wavefront6targetE1EEEvT1_.kd
    .uniform_work_group_size: 1
    .uses_dynamic_stack: false
    .vgpr_count:     0
    .vgpr_spill_count: 0
    .wavefront_size: 64
  - .agpr_count:     0
    .args:
      - .offset:         0
        .size:           32
        .value_kind:     by_value
    .group_segment_fixed_size: 0
    .kernarg_segment_align: 8
    .kernarg_segment_size: 32
    .language:       OpenCL C
    .language_version:
      - 2
      - 0
    .max_flat_workgroup_size: 256
    .name:           _ZN7rocprim17ROCPRIM_400000_NS6detail17trampoline_kernelINS0_14default_configENS1_20scan_config_selectorIjEEZZNS1_9scan_implILNS1_25lookback_scan_determinismE0ELb0ELb0ES3_N6thrust23THRUST_200600_302600_NS6detail15normal_iteratorINS9_10device_ptrIjEEEESE_j11max_functorIjEjEEDaPvRmT3_T4_T5_mT6_P12ihipStream_tbENKUlT_T0_E_clISt17integral_constantIbLb0EEST_IbLb1EEEEDaSP_SQ_EUlSP_E0_NS1_11comp_targetILNS1_3genE0ELNS1_11target_archE4294967295ELNS1_3gpuE0ELNS1_3repE0EEENS1_30default_config_static_selectorELNS0_4arch9wavefront6targetE1EEEvT1_
    .private_segment_fixed_size: 0
    .sgpr_count:     4
    .sgpr_spill_count: 0
    .symbol:         _ZN7rocprim17ROCPRIM_400000_NS6detail17trampoline_kernelINS0_14default_configENS1_20scan_config_selectorIjEEZZNS1_9scan_implILNS1_25lookback_scan_determinismE0ELb0ELb0ES3_N6thrust23THRUST_200600_302600_NS6detail15normal_iteratorINS9_10device_ptrIjEEEESE_j11max_functorIjEjEEDaPvRmT3_T4_T5_mT6_P12ihipStream_tbENKUlT_T0_E_clISt17integral_constantIbLb0EEST_IbLb1EEEEDaSP_SQ_EUlSP_E0_NS1_11comp_targetILNS1_3genE0ELNS1_11target_archE4294967295ELNS1_3gpuE0ELNS1_3repE0EEENS1_30default_config_static_selectorELNS0_4arch9wavefront6targetE1EEEvT1_.kd
    .uniform_work_group_size: 1
    .uses_dynamic_stack: false
    .vgpr_count:     0
    .vgpr_spill_count: 0
    .wavefront_size: 64
  - .agpr_count:     0
    .args:
      - .offset:         0
        .size:           32
        .value_kind:     by_value
    .group_segment_fixed_size: 0
    .kernarg_segment_align: 8
    .kernarg_segment_size: 32
    .language:       OpenCL C
    .language_version:
      - 2
      - 0
    .max_flat_workgroup_size: 256
    .name:           _ZN7rocprim17ROCPRIM_400000_NS6detail17trampoline_kernelINS0_14default_configENS1_20scan_config_selectorIjEEZZNS1_9scan_implILNS1_25lookback_scan_determinismE0ELb0ELb0ES3_N6thrust23THRUST_200600_302600_NS6detail15normal_iteratorINS9_10device_ptrIjEEEESE_j11max_functorIjEjEEDaPvRmT3_T4_T5_mT6_P12ihipStream_tbENKUlT_T0_E_clISt17integral_constantIbLb0EEST_IbLb1EEEEDaSP_SQ_EUlSP_E0_NS1_11comp_targetILNS1_3genE5ELNS1_11target_archE942ELNS1_3gpuE9ELNS1_3repE0EEENS1_30default_config_static_selectorELNS0_4arch9wavefront6targetE1EEEvT1_
    .private_segment_fixed_size: 0
    .sgpr_count:     4
    .sgpr_spill_count: 0
    .symbol:         _ZN7rocprim17ROCPRIM_400000_NS6detail17trampoline_kernelINS0_14default_configENS1_20scan_config_selectorIjEEZZNS1_9scan_implILNS1_25lookback_scan_determinismE0ELb0ELb0ES3_N6thrust23THRUST_200600_302600_NS6detail15normal_iteratorINS9_10device_ptrIjEEEESE_j11max_functorIjEjEEDaPvRmT3_T4_T5_mT6_P12ihipStream_tbENKUlT_T0_E_clISt17integral_constantIbLb0EEST_IbLb1EEEEDaSP_SQ_EUlSP_E0_NS1_11comp_targetILNS1_3genE5ELNS1_11target_archE942ELNS1_3gpuE9ELNS1_3repE0EEENS1_30default_config_static_selectorELNS0_4arch9wavefront6targetE1EEEvT1_.kd
    .uniform_work_group_size: 1
    .uses_dynamic_stack: false
    .vgpr_count:     0
    .vgpr_spill_count: 0
    .wavefront_size: 64
  - .agpr_count:     0
    .args:
      - .offset:         0
        .size:           32
        .value_kind:     by_value
    .group_segment_fixed_size: 5120
    .kernarg_segment_align: 8
    .kernarg_segment_size: 32
    .language:       OpenCL C
    .language_version:
      - 2
      - 0
    .max_flat_workgroup_size: 128
    .name:           _ZN7rocprim17ROCPRIM_400000_NS6detail17trampoline_kernelINS0_14default_configENS1_20scan_config_selectorIjEEZZNS1_9scan_implILNS1_25lookback_scan_determinismE0ELb0ELb0ES3_N6thrust23THRUST_200600_302600_NS6detail15normal_iteratorINS9_10device_ptrIjEEEESE_j11max_functorIjEjEEDaPvRmT3_T4_T5_mT6_P12ihipStream_tbENKUlT_T0_E_clISt17integral_constantIbLb0EEST_IbLb1EEEEDaSP_SQ_EUlSP_E0_NS1_11comp_targetILNS1_3genE4ELNS1_11target_archE910ELNS1_3gpuE8ELNS1_3repE0EEENS1_30default_config_static_selectorELNS0_4arch9wavefront6targetE1EEEvT1_
    .private_segment_fixed_size: 0
    .sgpr_count:     28
    .sgpr_spill_count: 0
    .symbol:         _ZN7rocprim17ROCPRIM_400000_NS6detail17trampoline_kernelINS0_14default_configENS1_20scan_config_selectorIjEEZZNS1_9scan_implILNS1_25lookback_scan_determinismE0ELb0ELb0ES3_N6thrust23THRUST_200600_302600_NS6detail15normal_iteratorINS9_10device_ptrIjEEEESE_j11max_functorIjEjEEDaPvRmT3_T4_T5_mT6_P12ihipStream_tbENKUlT_T0_E_clISt17integral_constantIbLb0EEST_IbLb1EEEEDaSP_SQ_EUlSP_E0_NS1_11comp_targetILNS1_3genE4ELNS1_11target_archE910ELNS1_3gpuE8ELNS1_3repE0EEENS1_30default_config_static_selectorELNS0_4arch9wavefront6targetE1EEEvT1_.kd
    .uniform_work_group_size: 1
    .uses_dynamic_stack: false
    .vgpr_count:     28
    .vgpr_spill_count: 0
    .wavefront_size: 64
  - .agpr_count:     0
    .args:
      - .offset:         0
        .size:           32
        .value_kind:     by_value
    .group_segment_fixed_size: 0
    .kernarg_segment_align: 8
    .kernarg_segment_size: 32
    .language:       OpenCL C
    .language_version:
      - 2
      - 0
    .max_flat_workgroup_size: 256
    .name:           _ZN7rocprim17ROCPRIM_400000_NS6detail17trampoline_kernelINS0_14default_configENS1_20scan_config_selectorIjEEZZNS1_9scan_implILNS1_25lookback_scan_determinismE0ELb0ELb0ES3_N6thrust23THRUST_200600_302600_NS6detail15normal_iteratorINS9_10device_ptrIjEEEESE_j11max_functorIjEjEEDaPvRmT3_T4_T5_mT6_P12ihipStream_tbENKUlT_T0_E_clISt17integral_constantIbLb0EEST_IbLb1EEEEDaSP_SQ_EUlSP_E0_NS1_11comp_targetILNS1_3genE3ELNS1_11target_archE908ELNS1_3gpuE7ELNS1_3repE0EEENS1_30default_config_static_selectorELNS0_4arch9wavefront6targetE1EEEvT1_
    .private_segment_fixed_size: 0
    .sgpr_count:     4
    .sgpr_spill_count: 0
    .symbol:         _ZN7rocprim17ROCPRIM_400000_NS6detail17trampoline_kernelINS0_14default_configENS1_20scan_config_selectorIjEEZZNS1_9scan_implILNS1_25lookback_scan_determinismE0ELb0ELb0ES3_N6thrust23THRUST_200600_302600_NS6detail15normal_iteratorINS9_10device_ptrIjEEEESE_j11max_functorIjEjEEDaPvRmT3_T4_T5_mT6_P12ihipStream_tbENKUlT_T0_E_clISt17integral_constantIbLb0EEST_IbLb1EEEEDaSP_SQ_EUlSP_E0_NS1_11comp_targetILNS1_3genE3ELNS1_11target_archE908ELNS1_3gpuE7ELNS1_3repE0EEENS1_30default_config_static_selectorELNS0_4arch9wavefront6targetE1EEEvT1_.kd
    .uniform_work_group_size: 1
    .uses_dynamic_stack: false
    .vgpr_count:     0
    .vgpr_spill_count: 0
    .wavefront_size: 64
  - .agpr_count:     0
    .args:
      - .offset:         0
        .size:           32
        .value_kind:     by_value
    .group_segment_fixed_size: 0
    .kernarg_segment_align: 8
    .kernarg_segment_size: 32
    .language:       OpenCL C
    .language_version:
      - 2
      - 0
    .max_flat_workgroup_size: 256
    .name:           _ZN7rocprim17ROCPRIM_400000_NS6detail17trampoline_kernelINS0_14default_configENS1_20scan_config_selectorIjEEZZNS1_9scan_implILNS1_25lookback_scan_determinismE0ELb0ELb0ES3_N6thrust23THRUST_200600_302600_NS6detail15normal_iteratorINS9_10device_ptrIjEEEESE_j11max_functorIjEjEEDaPvRmT3_T4_T5_mT6_P12ihipStream_tbENKUlT_T0_E_clISt17integral_constantIbLb0EEST_IbLb1EEEEDaSP_SQ_EUlSP_E0_NS1_11comp_targetILNS1_3genE2ELNS1_11target_archE906ELNS1_3gpuE6ELNS1_3repE0EEENS1_30default_config_static_selectorELNS0_4arch9wavefront6targetE1EEEvT1_
    .private_segment_fixed_size: 0
    .sgpr_count:     4
    .sgpr_spill_count: 0
    .symbol:         _ZN7rocprim17ROCPRIM_400000_NS6detail17trampoline_kernelINS0_14default_configENS1_20scan_config_selectorIjEEZZNS1_9scan_implILNS1_25lookback_scan_determinismE0ELb0ELb0ES3_N6thrust23THRUST_200600_302600_NS6detail15normal_iteratorINS9_10device_ptrIjEEEESE_j11max_functorIjEjEEDaPvRmT3_T4_T5_mT6_P12ihipStream_tbENKUlT_T0_E_clISt17integral_constantIbLb0EEST_IbLb1EEEEDaSP_SQ_EUlSP_E0_NS1_11comp_targetILNS1_3genE2ELNS1_11target_archE906ELNS1_3gpuE6ELNS1_3repE0EEENS1_30default_config_static_selectorELNS0_4arch9wavefront6targetE1EEEvT1_.kd
    .uniform_work_group_size: 1
    .uses_dynamic_stack: false
    .vgpr_count:     0
    .vgpr_spill_count: 0
    .wavefront_size: 64
  - .agpr_count:     0
    .args:
      - .offset:         0
        .size:           32
        .value_kind:     by_value
    .group_segment_fixed_size: 0
    .kernarg_segment_align: 8
    .kernarg_segment_size: 32
    .language:       OpenCL C
    .language_version:
      - 2
      - 0
    .max_flat_workgroup_size: 256
    .name:           _ZN7rocprim17ROCPRIM_400000_NS6detail17trampoline_kernelINS0_14default_configENS1_20scan_config_selectorIjEEZZNS1_9scan_implILNS1_25lookback_scan_determinismE0ELb0ELb0ES3_N6thrust23THRUST_200600_302600_NS6detail15normal_iteratorINS9_10device_ptrIjEEEESE_j11max_functorIjEjEEDaPvRmT3_T4_T5_mT6_P12ihipStream_tbENKUlT_T0_E_clISt17integral_constantIbLb0EEST_IbLb1EEEEDaSP_SQ_EUlSP_E0_NS1_11comp_targetILNS1_3genE10ELNS1_11target_archE1201ELNS1_3gpuE5ELNS1_3repE0EEENS1_30default_config_static_selectorELNS0_4arch9wavefront6targetE1EEEvT1_
    .private_segment_fixed_size: 0
    .sgpr_count:     4
    .sgpr_spill_count: 0
    .symbol:         _ZN7rocprim17ROCPRIM_400000_NS6detail17trampoline_kernelINS0_14default_configENS1_20scan_config_selectorIjEEZZNS1_9scan_implILNS1_25lookback_scan_determinismE0ELb0ELb0ES3_N6thrust23THRUST_200600_302600_NS6detail15normal_iteratorINS9_10device_ptrIjEEEESE_j11max_functorIjEjEEDaPvRmT3_T4_T5_mT6_P12ihipStream_tbENKUlT_T0_E_clISt17integral_constantIbLb0EEST_IbLb1EEEEDaSP_SQ_EUlSP_E0_NS1_11comp_targetILNS1_3genE10ELNS1_11target_archE1201ELNS1_3gpuE5ELNS1_3repE0EEENS1_30default_config_static_selectorELNS0_4arch9wavefront6targetE1EEEvT1_.kd
    .uniform_work_group_size: 1
    .uses_dynamic_stack: false
    .vgpr_count:     0
    .vgpr_spill_count: 0
    .wavefront_size: 64
  - .agpr_count:     0
    .args:
      - .offset:         0
        .size:           32
        .value_kind:     by_value
    .group_segment_fixed_size: 0
    .kernarg_segment_align: 8
    .kernarg_segment_size: 32
    .language:       OpenCL C
    .language_version:
      - 2
      - 0
    .max_flat_workgroup_size: 256
    .name:           _ZN7rocprim17ROCPRIM_400000_NS6detail17trampoline_kernelINS0_14default_configENS1_20scan_config_selectorIjEEZZNS1_9scan_implILNS1_25lookback_scan_determinismE0ELb0ELb0ES3_N6thrust23THRUST_200600_302600_NS6detail15normal_iteratorINS9_10device_ptrIjEEEESE_j11max_functorIjEjEEDaPvRmT3_T4_T5_mT6_P12ihipStream_tbENKUlT_T0_E_clISt17integral_constantIbLb0EEST_IbLb1EEEEDaSP_SQ_EUlSP_E0_NS1_11comp_targetILNS1_3genE10ELNS1_11target_archE1200ELNS1_3gpuE4ELNS1_3repE0EEENS1_30default_config_static_selectorELNS0_4arch9wavefront6targetE1EEEvT1_
    .private_segment_fixed_size: 0
    .sgpr_count:     4
    .sgpr_spill_count: 0
    .symbol:         _ZN7rocprim17ROCPRIM_400000_NS6detail17trampoline_kernelINS0_14default_configENS1_20scan_config_selectorIjEEZZNS1_9scan_implILNS1_25lookback_scan_determinismE0ELb0ELb0ES3_N6thrust23THRUST_200600_302600_NS6detail15normal_iteratorINS9_10device_ptrIjEEEESE_j11max_functorIjEjEEDaPvRmT3_T4_T5_mT6_P12ihipStream_tbENKUlT_T0_E_clISt17integral_constantIbLb0EEST_IbLb1EEEEDaSP_SQ_EUlSP_E0_NS1_11comp_targetILNS1_3genE10ELNS1_11target_archE1200ELNS1_3gpuE4ELNS1_3repE0EEENS1_30default_config_static_selectorELNS0_4arch9wavefront6targetE1EEEvT1_.kd
    .uniform_work_group_size: 1
    .uses_dynamic_stack: false
    .vgpr_count:     0
    .vgpr_spill_count: 0
    .wavefront_size: 64
  - .agpr_count:     0
    .args:
      - .offset:         0
        .size:           32
        .value_kind:     by_value
    .group_segment_fixed_size: 0
    .kernarg_segment_align: 8
    .kernarg_segment_size: 32
    .language:       OpenCL C
    .language_version:
      - 2
      - 0
    .max_flat_workgroup_size: 256
    .name:           _ZN7rocprim17ROCPRIM_400000_NS6detail17trampoline_kernelINS0_14default_configENS1_20scan_config_selectorIjEEZZNS1_9scan_implILNS1_25lookback_scan_determinismE0ELb0ELb0ES3_N6thrust23THRUST_200600_302600_NS6detail15normal_iteratorINS9_10device_ptrIjEEEESE_j11max_functorIjEjEEDaPvRmT3_T4_T5_mT6_P12ihipStream_tbENKUlT_T0_E_clISt17integral_constantIbLb0EEST_IbLb1EEEEDaSP_SQ_EUlSP_E0_NS1_11comp_targetILNS1_3genE9ELNS1_11target_archE1100ELNS1_3gpuE3ELNS1_3repE0EEENS1_30default_config_static_selectorELNS0_4arch9wavefront6targetE1EEEvT1_
    .private_segment_fixed_size: 0
    .sgpr_count:     4
    .sgpr_spill_count: 0
    .symbol:         _ZN7rocprim17ROCPRIM_400000_NS6detail17trampoline_kernelINS0_14default_configENS1_20scan_config_selectorIjEEZZNS1_9scan_implILNS1_25lookback_scan_determinismE0ELb0ELb0ES3_N6thrust23THRUST_200600_302600_NS6detail15normal_iteratorINS9_10device_ptrIjEEEESE_j11max_functorIjEjEEDaPvRmT3_T4_T5_mT6_P12ihipStream_tbENKUlT_T0_E_clISt17integral_constantIbLb0EEST_IbLb1EEEEDaSP_SQ_EUlSP_E0_NS1_11comp_targetILNS1_3genE9ELNS1_11target_archE1100ELNS1_3gpuE3ELNS1_3repE0EEENS1_30default_config_static_selectorELNS0_4arch9wavefront6targetE1EEEvT1_.kd
    .uniform_work_group_size: 1
    .uses_dynamic_stack: false
    .vgpr_count:     0
    .vgpr_spill_count: 0
    .wavefront_size: 64
  - .agpr_count:     0
    .args:
      - .offset:         0
        .size:           32
        .value_kind:     by_value
    .group_segment_fixed_size: 0
    .kernarg_segment_align: 8
    .kernarg_segment_size: 32
    .language:       OpenCL C
    .language_version:
      - 2
      - 0
    .max_flat_workgroup_size: 64
    .name:           _ZN7rocprim17ROCPRIM_400000_NS6detail17trampoline_kernelINS0_14default_configENS1_20scan_config_selectorIjEEZZNS1_9scan_implILNS1_25lookback_scan_determinismE0ELb0ELb0ES3_N6thrust23THRUST_200600_302600_NS6detail15normal_iteratorINS9_10device_ptrIjEEEESE_j11max_functorIjEjEEDaPvRmT3_T4_T5_mT6_P12ihipStream_tbENKUlT_T0_E_clISt17integral_constantIbLb0EEST_IbLb1EEEEDaSP_SQ_EUlSP_E0_NS1_11comp_targetILNS1_3genE8ELNS1_11target_archE1030ELNS1_3gpuE2ELNS1_3repE0EEENS1_30default_config_static_selectorELNS0_4arch9wavefront6targetE1EEEvT1_
    .private_segment_fixed_size: 0
    .sgpr_count:     4
    .sgpr_spill_count: 0
    .symbol:         _ZN7rocprim17ROCPRIM_400000_NS6detail17trampoline_kernelINS0_14default_configENS1_20scan_config_selectorIjEEZZNS1_9scan_implILNS1_25lookback_scan_determinismE0ELb0ELb0ES3_N6thrust23THRUST_200600_302600_NS6detail15normal_iteratorINS9_10device_ptrIjEEEESE_j11max_functorIjEjEEDaPvRmT3_T4_T5_mT6_P12ihipStream_tbENKUlT_T0_E_clISt17integral_constantIbLb0EEST_IbLb1EEEEDaSP_SQ_EUlSP_E0_NS1_11comp_targetILNS1_3genE8ELNS1_11target_archE1030ELNS1_3gpuE2ELNS1_3repE0EEENS1_30default_config_static_selectorELNS0_4arch9wavefront6targetE1EEEvT1_.kd
    .uniform_work_group_size: 1
    .uses_dynamic_stack: false
    .vgpr_count:     0
    .vgpr_spill_count: 0
    .wavefront_size: 64
  - .agpr_count:     0
    .args:
      - .offset:         0
        .size:           96
        .value_kind:     by_value
    .group_segment_fixed_size: 0
    .kernarg_segment_align: 8
    .kernarg_segment_size: 96
    .language:       OpenCL C
    .language_version:
      - 2
      - 0
    .max_flat_workgroup_size: 256
    .name:           _ZN7rocprim17ROCPRIM_400000_NS6detail17trampoline_kernelINS0_14default_configENS1_20scan_config_selectorIjEEZZNS1_9scan_implILNS1_25lookback_scan_determinismE0ELb1ELb1ES3_N6thrust23THRUST_200600_302600_NS6detail15normal_iteratorINS9_10device_ptrIjEEEESE_j11max_functorIjEjEEDaPvRmT3_T4_T5_mT6_P12ihipStream_tbENKUlT_T0_E_clISt17integral_constantIbLb0EESU_EEDaSP_SQ_EUlSP_E_NS1_11comp_targetILNS1_3genE0ELNS1_11target_archE4294967295ELNS1_3gpuE0ELNS1_3repE0EEENS1_30default_config_static_selectorELNS0_4arch9wavefront6targetE1EEEvT1_
    .private_segment_fixed_size: 0
    .sgpr_count:     4
    .sgpr_spill_count: 0
    .symbol:         _ZN7rocprim17ROCPRIM_400000_NS6detail17trampoline_kernelINS0_14default_configENS1_20scan_config_selectorIjEEZZNS1_9scan_implILNS1_25lookback_scan_determinismE0ELb1ELb1ES3_N6thrust23THRUST_200600_302600_NS6detail15normal_iteratorINS9_10device_ptrIjEEEESE_j11max_functorIjEjEEDaPvRmT3_T4_T5_mT6_P12ihipStream_tbENKUlT_T0_E_clISt17integral_constantIbLb0EESU_EEDaSP_SQ_EUlSP_E_NS1_11comp_targetILNS1_3genE0ELNS1_11target_archE4294967295ELNS1_3gpuE0ELNS1_3repE0EEENS1_30default_config_static_selectorELNS0_4arch9wavefront6targetE1EEEvT1_.kd
    .uniform_work_group_size: 1
    .uses_dynamic_stack: false
    .vgpr_count:     0
    .vgpr_spill_count: 0
    .wavefront_size: 64
  - .agpr_count:     0
    .args:
      - .offset:         0
        .size:           96
        .value_kind:     by_value
    .group_segment_fixed_size: 0
    .kernarg_segment_align: 8
    .kernarg_segment_size: 96
    .language:       OpenCL C
    .language_version:
      - 2
      - 0
    .max_flat_workgroup_size: 256
    .name:           _ZN7rocprim17ROCPRIM_400000_NS6detail17trampoline_kernelINS0_14default_configENS1_20scan_config_selectorIjEEZZNS1_9scan_implILNS1_25lookback_scan_determinismE0ELb1ELb1ES3_N6thrust23THRUST_200600_302600_NS6detail15normal_iteratorINS9_10device_ptrIjEEEESE_j11max_functorIjEjEEDaPvRmT3_T4_T5_mT6_P12ihipStream_tbENKUlT_T0_E_clISt17integral_constantIbLb0EESU_EEDaSP_SQ_EUlSP_E_NS1_11comp_targetILNS1_3genE5ELNS1_11target_archE942ELNS1_3gpuE9ELNS1_3repE0EEENS1_30default_config_static_selectorELNS0_4arch9wavefront6targetE1EEEvT1_
    .private_segment_fixed_size: 0
    .sgpr_count:     4
    .sgpr_spill_count: 0
    .symbol:         _ZN7rocprim17ROCPRIM_400000_NS6detail17trampoline_kernelINS0_14default_configENS1_20scan_config_selectorIjEEZZNS1_9scan_implILNS1_25lookback_scan_determinismE0ELb1ELb1ES3_N6thrust23THRUST_200600_302600_NS6detail15normal_iteratorINS9_10device_ptrIjEEEESE_j11max_functorIjEjEEDaPvRmT3_T4_T5_mT6_P12ihipStream_tbENKUlT_T0_E_clISt17integral_constantIbLb0EESU_EEDaSP_SQ_EUlSP_E_NS1_11comp_targetILNS1_3genE5ELNS1_11target_archE942ELNS1_3gpuE9ELNS1_3repE0EEENS1_30default_config_static_selectorELNS0_4arch9wavefront6targetE1EEEvT1_.kd
    .uniform_work_group_size: 1
    .uses_dynamic_stack: false
    .vgpr_count:     0
    .vgpr_spill_count: 0
    .wavefront_size: 64
  - .agpr_count:     0
    .args:
      - .offset:         0
        .size:           96
        .value_kind:     by_value
    .group_segment_fixed_size: 5120
    .kernarg_segment_align: 8
    .kernarg_segment_size: 96
    .language:       OpenCL C
    .language_version:
      - 2
      - 0
    .max_flat_workgroup_size: 128
    .name:           _ZN7rocprim17ROCPRIM_400000_NS6detail17trampoline_kernelINS0_14default_configENS1_20scan_config_selectorIjEEZZNS1_9scan_implILNS1_25lookback_scan_determinismE0ELb1ELb1ES3_N6thrust23THRUST_200600_302600_NS6detail15normal_iteratorINS9_10device_ptrIjEEEESE_j11max_functorIjEjEEDaPvRmT3_T4_T5_mT6_P12ihipStream_tbENKUlT_T0_E_clISt17integral_constantIbLb0EESU_EEDaSP_SQ_EUlSP_E_NS1_11comp_targetILNS1_3genE4ELNS1_11target_archE910ELNS1_3gpuE8ELNS1_3repE0EEENS1_30default_config_static_selectorELNS0_4arch9wavefront6targetE1EEEvT1_
    .private_segment_fixed_size: 0
    .sgpr_count:     33
    .sgpr_spill_count: 0
    .symbol:         _ZN7rocprim17ROCPRIM_400000_NS6detail17trampoline_kernelINS0_14default_configENS1_20scan_config_selectorIjEEZZNS1_9scan_implILNS1_25lookback_scan_determinismE0ELb1ELb1ES3_N6thrust23THRUST_200600_302600_NS6detail15normal_iteratorINS9_10device_ptrIjEEEESE_j11max_functorIjEjEEDaPvRmT3_T4_T5_mT6_P12ihipStream_tbENKUlT_T0_E_clISt17integral_constantIbLb0EESU_EEDaSP_SQ_EUlSP_E_NS1_11comp_targetILNS1_3genE4ELNS1_11target_archE910ELNS1_3gpuE8ELNS1_3repE0EEENS1_30default_config_static_selectorELNS0_4arch9wavefront6targetE1EEEvT1_.kd
    .uniform_work_group_size: 1
    .uses_dynamic_stack: false
    .vgpr_count:     41
    .vgpr_spill_count: 0
    .wavefront_size: 64
  - .agpr_count:     0
    .args:
      - .offset:         0
        .size:           96
        .value_kind:     by_value
    .group_segment_fixed_size: 0
    .kernarg_segment_align: 8
    .kernarg_segment_size: 96
    .language:       OpenCL C
    .language_version:
      - 2
      - 0
    .max_flat_workgroup_size: 256
    .name:           _ZN7rocprim17ROCPRIM_400000_NS6detail17trampoline_kernelINS0_14default_configENS1_20scan_config_selectorIjEEZZNS1_9scan_implILNS1_25lookback_scan_determinismE0ELb1ELb1ES3_N6thrust23THRUST_200600_302600_NS6detail15normal_iteratorINS9_10device_ptrIjEEEESE_j11max_functorIjEjEEDaPvRmT3_T4_T5_mT6_P12ihipStream_tbENKUlT_T0_E_clISt17integral_constantIbLb0EESU_EEDaSP_SQ_EUlSP_E_NS1_11comp_targetILNS1_3genE3ELNS1_11target_archE908ELNS1_3gpuE7ELNS1_3repE0EEENS1_30default_config_static_selectorELNS0_4arch9wavefront6targetE1EEEvT1_
    .private_segment_fixed_size: 0
    .sgpr_count:     4
    .sgpr_spill_count: 0
    .symbol:         _ZN7rocprim17ROCPRIM_400000_NS6detail17trampoline_kernelINS0_14default_configENS1_20scan_config_selectorIjEEZZNS1_9scan_implILNS1_25lookback_scan_determinismE0ELb1ELb1ES3_N6thrust23THRUST_200600_302600_NS6detail15normal_iteratorINS9_10device_ptrIjEEEESE_j11max_functorIjEjEEDaPvRmT3_T4_T5_mT6_P12ihipStream_tbENKUlT_T0_E_clISt17integral_constantIbLb0EESU_EEDaSP_SQ_EUlSP_E_NS1_11comp_targetILNS1_3genE3ELNS1_11target_archE908ELNS1_3gpuE7ELNS1_3repE0EEENS1_30default_config_static_selectorELNS0_4arch9wavefront6targetE1EEEvT1_.kd
    .uniform_work_group_size: 1
    .uses_dynamic_stack: false
    .vgpr_count:     0
    .vgpr_spill_count: 0
    .wavefront_size: 64
  - .agpr_count:     0
    .args:
      - .offset:         0
        .size:           96
        .value_kind:     by_value
    .group_segment_fixed_size: 0
    .kernarg_segment_align: 8
    .kernarg_segment_size: 96
    .language:       OpenCL C
    .language_version:
      - 2
      - 0
    .max_flat_workgroup_size: 256
    .name:           _ZN7rocprim17ROCPRIM_400000_NS6detail17trampoline_kernelINS0_14default_configENS1_20scan_config_selectorIjEEZZNS1_9scan_implILNS1_25lookback_scan_determinismE0ELb1ELb1ES3_N6thrust23THRUST_200600_302600_NS6detail15normal_iteratorINS9_10device_ptrIjEEEESE_j11max_functorIjEjEEDaPvRmT3_T4_T5_mT6_P12ihipStream_tbENKUlT_T0_E_clISt17integral_constantIbLb0EESU_EEDaSP_SQ_EUlSP_E_NS1_11comp_targetILNS1_3genE2ELNS1_11target_archE906ELNS1_3gpuE6ELNS1_3repE0EEENS1_30default_config_static_selectorELNS0_4arch9wavefront6targetE1EEEvT1_
    .private_segment_fixed_size: 0
    .sgpr_count:     4
    .sgpr_spill_count: 0
    .symbol:         _ZN7rocprim17ROCPRIM_400000_NS6detail17trampoline_kernelINS0_14default_configENS1_20scan_config_selectorIjEEZZNS1_9scan_implILNS1_25lookback_scan_determinismE0ELb1ELb1ES3_N6thrust23THRUST_200600_302600_NS6detail15normal_iteratorINS9_10device_ptrIjEEEESE_j11max_functorIjEjEEDaPvRmT3_T4_T5_mT6_P12ihipStream_tbENKUlT_T0_E_clISt17integral_constantIbLb0EESU_EEDaSP_SQ_EUlSP_E_NS1_11comp_targetILNS1_3genE2ELNS1_11target_archE906ELNS1_3gpuE6ELNS1_3repE0EEENS1_30default_config_static_selectorELNS0_4arch9wavefront6targetE1EEEvT1_.kd
    .uniform_work_group_size: 1
    .uses_dynamic_stack: false
    .vgpr_count:     0
    .vgpr_spill_count: 0
    .wavefront_size: 64
  - .agpr_count:     0
    .args:
      - .offset:         0
        .size:           96
        .value_kind:     by_value
    .group_segment_fixed_size: 0
    .kernarg_segment_align: 8
    .kernarg_segment_size: 96
    .language:       OpenCL C
    .language_version:
      - 2
      - 0
    .max_flat_workgroup_size: 256
    .name:           _ZN7rocprim17ROCPRIM_400000_NS6detail17trampoline_kernelINS0_14default_configENS1_20scan_config_selectorIjEEZZNS1_9scan_implILNS1_25lookback_scan_determinismE0ELb1ELb1ES3_N6thrust23THRUST_200600_302600_NS6detail15normal_iteratorINS9_10device_ptrIjEEEESE_j11max_functorIjEjEEDaPvRmT3_T4_T5_mT6_P12ihipStream_tbENKUlT_T0_E_clISt17integral_constantIbLb0EESU_EEDaSP_SQ_EUlSP_E_NS1_11comp_targetILNS1_3genE10ELNS1_11target_archE1201ELNS1_3gpuE5ELNS1_3repE0EEENS1_30default_config_static_selectorELNS0_4arch9wavefront6targetE1EEEvT1_
    .private_segment_fixed_size: 0
    .sgpr_count:     4
    .sgpr_spill_count: 0
    .symbol:         _ZN7rocprim17ROCPRIM_400000_NS6detail17trampoline_kernelINS0_14default_configENS1_20scan_config_selectorIjEEZZNS1_9scan_implILNS1_25lookback_scan_determinismE0ELb1ELb1ES3_N6thrust23THRUST_200600_302600_NS6detail15normal_iteratorINS9_10device_ptrIjEEEESE_j11max_functorIjEjEEDaPvRmT3_T4_T5_mT6_P12ihipStream_tbENKUlT_T0_E_clISt17integral_constantIbLb0EESU_EEDaSP_SQ_EUlSP_E_NS1_11comp_targetILNS1_3genE10ELNS1_11target_archE1201ELNS1_3gpuE5ELNS1_3repE0EEENS1_30default_config_static_selectorELNS0_4arch9wavefront6targetE1EEEvT1_.kd
    .uniform_work_group_size: 1
    .uses_dynamic_stack: false
    .vgpr_count:     0
    .vgpr_spill_count: 0
    .wavefront_size: 64
  - .agpr_count:     0
    .args:
      - .offset:         0
        .size:           96
        .value_kind:     by_value
    .group_segment_fixed_size: 0
    .kernarg_segment_align: 8
    .kernarg_segment_size: 96
    .language:       OpenCL C
    .language_version:
      - 2
      - 0
    .max_flat_workgroup_size: 256
    .name:           _ZN7rocprim17ROCPRIM_400000_NS6detail17trampoline_kernelINS0_14default_configENS1_20scan_config_selectorIjEEZZNS1_9scan_implILNS1_25lookback_scan_determinismE0ELb1ELb1ES3_N6thrust23THRUST_200600_302600_NS6detail15normal_iteratorINS9_10device_ptrIjEEEESE_j11max_functorIjEjEEDaPvRmT3_T4_T5_mT6_P12ihipStream_tbENKUlT_T0_E_clISt17integral_constantIbLb0EESU_EEDaSP_SQ_EUlSP_E_NS1_11comp_targetILNS1_3genE10ELNS1_11target_archE1200ELNS1_3gpuE4ELNS1_3repE0EEENS1_30default_config_static_selectorELNS0_4arch9wavefront6targetE1EEEvT1_
    .private_segment_fixed_size: 0
    .sgpr_count:     4
    .sgpr_spill_count: 0
    .symbol:         _ZN7rocprim17ROCPRIM_400000_NS6detail17trampoline_kernelINS0_14default_configENS1_20scan_config_selectorIjEEZZNS1_9scan_implILNS1_25lookback_scan_determinismE0ELb1ELb1ES3_N6thrust23THRUST_200600_302600_NS6detail15normal_iteratorINS9_10device_ptrIjEEEESE_j11max_functorIjEjEEDaPvRmT3_T4_T5_mT6_P12ihipStream_tbENKUlT_T0_E_clISt17integral_constantIbLb0EESU_EEDaSP_SQ_EUlSP_E_NS1_11comp_targetILNS1_3genE10ELNS1_11target_archE1200ELNS1_3gpuE4ELNS1_3repE0EEENS1_30default_config_static_selectorELNS0_4arch9wavefront6targetE1EEEvT1_.kd
    .uniform_work_group_size: 1
    .uses_dynamic_stack: false
    .vgpr_count:     0
    .vgpr_spill_count: 0
    .wavefront_size: 64
  - .agpr_count:     0
    .args:
      - .offset:         0
        .size:           96
        .value_kind:     by_value
    .group_segment_fixed_size: 0
    .kernarg_segment_align: 8
    .kernarg_segment_size: 96
    .language:       OpenCL C
    .language_version:
      - 2
      - 0
    .max_flat_workgroup_size: 256
    .name:           _ZN7rocprim17ROCPRIM_400000_NS6detail17trampoline_kernelINS0_14default_configENS1_20scan_config_selectorIjEEZZNS1_9scan_implILNS1_25lookback_scan_determinismE0ELb1ELb1ES3_N6thrust23THRUST_200600_302600_NS6detail15normal_iteratorINS9_10device_ptrIjEEEESE_j11max_functorIjEjEEDaPvRmT3_T4_T5_mT6_P12ihipStream_tbENKUlT_T0_E_clISt17integral_constantIbLb0EESU_EEDaSP_SQ_EUlSP_E_NS1_11comp_targetILNS1_3genE9ELNS1_11target_archE1100ELNS1_3gpuE3ELNS1_3repE0EEENS1_30default_config_static_selectorELNS0_4arch9wavefront6targetE1EEEvT1_
    .private_segment_fixed_size: 0
    .sgpr_count:     4
    .sgpr_spill_count: 0
    .symbol:         _ZN7rocprim17ROCPRIM_400000_NS6detail17trampoline_kernelINS0_14default_configENS1_20scan_config_selectorIjEEZZNS1_9scan_implILNS1_25lookback_scan_determinismE0ELb1ELb1ES3_N6thrust23THRUST_200600_302600_NS6detail15normal_iteratorINS9_10device_ptrIjEEEESE_j11max_functorIjEjEEDaPvRmT3_T4_T5_mT6_P12ihipStream_tbENKUlT_T0_E_clISt17integral_constantIbLb0EESU_EEDaSP_SQ_EUlSP_E_NS1_11comp_targetILNS1_3genE9ELNS1_11target_archE1100ELNS1_3gpuE3ELNS1_3repE0EEENS1_30default_config_static_selectorELNS0_4arch9wavefront6targetE1EEEvT1_.kd
    .uniform_work_group_size: 1
    .uses_dynamic_stack: false
    .vgpr_count:     0
    .vgpr_spill_count: 0
    .wavefront_size: 64
  - .agpr_count:     0
    .args:
      - .offset:         0
        .size:           96
        .value_kind:     by_value
    .group_segment_fixed_size: 0
    .kernarg_segment_align: 8
    .kernarg_segment_size: 96
    .language:       OpenCL C
    .language_version:
      - 2
      - 0
    .max_flat_workgroup_size: 64
    .name:           _ZN7rocprim17ROCPRIM_400000_NS6detail17trampoline_kernelINS0_14default_configENS1_20scan_config_selectorIjEEZZNS1_9scan_implILNS1_25lookback_scan_determinismE0ELb1ELb1ES3_N6thrust23THRUST_200600_302600_NS6detail15normal_iteratorINS9_10device_ptrIjEEEESE_j11max_functorIjEjEEDaPvRmT3_T4_T5_mT6_P12ihipStream_tbENKUlT_T0_E_clISt17integral_constantIbLb0EESU_EEDaSP_SQ_EUlSP_E_NS1_11comp_targetILNS1_3genE8ELNS1_11target_archE1030ELNS1_3gpuE2ELNS1_3repE0EEENS1_30default_config_static_selectorELNS0_4arch9wavefront6targetE1EEEvT1_
    .private_segment_fixed_size: 0
    .sgpr_count:     4
    .sgpr_spill_count: 0
    .symbol:         _ZN7rocprim17ROCPRIM_400000_NS6detail17trampoline_kernelINS0_14default_configENS1_20scan_config_selectorIjEEZZNS1_9scan_implILNS1_25lookback_scan_determinismE0ELb1ELb1ES3_N6thrust23THRUST_200600_302600_NS6detail15normal_iteratorINS9_10device_ptrIjEEEESE_j11max_functorIjEjEEDaPvRmT3_T4_T5_mT6_P12ihipStream_tbENKUlT_T0_E_clISt17integral_constantIbLb0EESU_EEDaSP_SQ_EUlSP_E_NS1_11comp_targetILNS1_3genE8ELNS1_11target_archE1030ELNS1_3gpuE2ELNS1_3repE0EEENS1_30default_config_static_selectorELNS0_4arch9wavefront6targetE1EEEvT1_.kd
    .uniform_work_group_size: 1
    .uses_dynamic_stack: false
    .vgpr_count:     0
    .vgpr_spill_count: 0
    .wavefront_size: 64
  - .agpr_count:     0
    .args:
      - .offset:         0
        .size:           32
        .value_kind:     by_value
    .group_segment_fixed_size: 0
    .kernarg_segment_align: 8
    .kernarg_segment_size: 32
    .language:       OpenCL C
    .language_version:
      - 2
      - 0
    .max_flat_workgroup_size: 256
    .name:           _ZN7rocprim17ROCPRIM_400000_NS6detail17trampoline_kernelINS0_14default_configENS1_20scan_config_selectorIjEEZZNS1_9scan_implILNS1_25lookback_scan_determinismE0ELb1ELb1ES3_N6thrust23THRUST_200600_302600_NS6detail15normal_iteratorINS9_10device_ptrIjEEEESE_j11max_functorIjEjEEDaPvRmT3_T4_T5_mT6_P12ihipStream_tbENKUlT_T0_E_clISt17integral_constantIbLb0EESU_EEDaSP_SQ_EUlSP_E0_NS1_11comp_targetILNS1_3genE0ELNS1_11target_archE4294967295ELNS1_3gpuE0ELNS1_3repE0EEENS1_30default_config_static_selectorELNS0_4arch9wavefront6targetE1EEEvT1_
    .private_segment_fixed_size: 0
    .sgpr_count:     4
    .sgpr_spill_count: 0
    .symbol:         _ZN7rocprim17ROCPRIM_400000_NS6detail17trampoline_kernelINS0_14default_configENS1_20scan_config_selectorIjEEZZNS1_9scan_implILNS1_25lookback_scan_determinismE0ELb1ELb1ES3_N6thrust23THRUST_200600_302600_NS6detail15normal_iteratorINS9_10device_ptrIjEEEESE_j11max_functorIjEjEEDaPvRmT3_T4_T5_mT6_P12ihipStream_tbENKUlT_T0_E_clISt17integral_constantIbLb0EESU_EEDaSP_SQ_EUlSP_E0_NS1_11comp_targetILNS1_3genE0ELNS1_11target_archE4294967295ELNS1_3gpuE0ELNS1_3repE0EEENS1_30default_config_static_selectorELNS0_4arch9wavefront6targetE1EEEvT1_.kd
    .uniform_work_group_size: 1
    .uses_dynamic_stack: false
    .vgpr_count:     0
    .vgpr_spill_count: 0
    .wavefront_size: 64
  - .agpr_count:     0
    .args:
      - .offset:         0
        .size:           32
        .value_kind:     by_value
    .group_segment_fixed_size: 0
    .kernarg_segment_align: 8
    .kernarg_segment_size: 32
    .language:       OpenCL C
    .language_version:
      - 2
      - 0
    .max_flat_workgroup_size: 256
    .name:           _ZN7rocprim17ROCPRIM_400000_NS6detail17trampoline_kernelINS0_14default_configENS1_20scan_config_selectorIjEEZZNS1_9scan_implILNS1_25lookback_scan_determinismE0ELb1ELb1ES3_N6thrust23THRUST_200600_302600_NS6detail15normal_iteratorINS9_10device_ptrIjEEEESE_j11max_functorIjEjEEDaPvRmT3_T4_T5_mT6_P12ihipStream_tbENKUlT_T0_E_clISt17integral_constantIbLb0EESU_EEDaSP_SQ_EUlSP_E0_NS1_11comp_targetILNS1_3genE5ELNS1_11target_archE942ELNS1_3gpuE9ELNS1_3repE0EEENS1_30default_config_static_selectorELNS0_4arch9wavefront6targetE1EEEvT1_
    .private_segment_fixed_size: 0
    .sgpr_count:     4
    .sgpr_spill_count: 0
    .symbol:         _ZN7rocprim17ROCPRIM_400000_NS6detail17trampoline_kernelINS0_14default_configENS1_20scan_config_selectorIjEEZZNS1_9scan_implILNS1_25lookback_scan_determinismE0ELb1ELb1ES3_N6thrust23THRUST_200600_302600_NS6detail15normal_iteratorINS9_10device_ptrIjEEEESE_j11max_functorIjEjEEDaPvRmT3_T4_T5_mT6_P12ihipStream_tbENKUlT_T0_E_clISt17integral_constantIbLb0EESU_EEDaSP_SQ_EUlSP_E0_NS1_11comp_targetILNS1_3genE5ELNS1_11target_archE942ELNS1_3gpuE9ELNS1_3repE0EEENS1_30default_config_static_selectorELNS0_4arch9wavefront6targetE1EEEvT1_.kd
    .uniform_work_group_size: 1
    .uses_dynamic_stack: false
    .vgpr_count:     0
    .vgpr_spill_count: 0
    .wavefront_size: 64
  - .agpr_count:     0
    .args:
      - .offset:         0
        .size:           32
        .value_kind:     by_value
    .group_segment_fixed_size: 5120
    .kernarg_segment_align: 8
    .kernarg_segment_size: 32
    .language:       OpenCL C
    .language_version:
      - 2
      - 0
    .max_flat_workgroup_size: 128
    .name:           _ZN7rocprim17ROCPRIM_400000_NS6detail17trampoline_kernelINS0_14default_configENS1_20scan_config_selectorIjEEZZNS1_9scan_implILNS1_25lookback_scan_determinismE0ELb1ELb1ES3_N6thrust23THRUST_200600_302600_NS6detail15normal_iteratorINS9_10device_ptrIjEEEESE_j11max_functorIjEjEEDaPvRmT3_T4_T5_mT6_P12ihipStream_tbENKUlT_T0_E_clISt17integral_constantIbLb0EESU_EEDaSP_SQ_EUlSP_E0_NS1_11comp_targetILNS1_3genE4ELNS1_11target_archE910ELNS1_3gpuE8ELNS1_3repE0EEENS1_30default_config_static_selectorELNS0_4arch9wavefront6targetE1EEEvT1_
    .private_segment_fixed_size: 0
    .sgpr_count:     29
    .sgpr_spill_count: 0
    .symbol:         _ZN7rocprim17ROCPRIM_400000_NS6detail17trampoline_kernelINS0_14default_configENS1_20scan_config_selectorIjEEZZNS1_9scan_implILNS1_25lookback_scan_determinismE0ELb1ELb1ES3_N6thrust23THRUST_200600_302600_NS6detail15normal_iteratorINS9_10device_ptrIjEEEESE_j11max_functorIjEjEEDaPvRmT3_T4_T5_mT6_P12ihipStream_tbENKUlT_T0_E_clISt17integral_constantIbLb0EESU_EEDaSP_SQ_EUlSP_E0_NS1_11comp_targetILNS1_3genE4ELNS1_11target_archE910ELNS1_3gpuE8ELNS1_3repE0EEENS1_30default_config_static_selectorELNS0_4arch9wavefront6targetE1EEEvT1_.kd
    .uniform_work_group_size: 1
    .uses_dynamic_stack: false
    .vgpr_count:     19
    .vgpr_spill_count: 0
    .wavefront_size: 64
  - .agpr_count:     0
    .args:
      - .offset:         0
        .size:           32
        .value_kind:     by_value
    .group_segment_fixed_size: 0
    .kernarg_segment_align: 8
    .kernarg_segment_size: 32
    .language:       OpenCL C
    .language_version:
      - 2
      - 0
    .max_flat_workgroup_size: 256
    .name:           _ZN7rocprim17ROCPRIM_400000_NS6detail17trampoline_kernelINS0_14default_configENS1_20scan_config_selectorIjEEZZNS1_9scan_implILNS1_25lookback_scan_determinismE0ELb1ELb1ES3_N6thrust23THRUST_200600_302600_NS6detail15normal_iteratorINS9_10device_ptrIjEEEESE_j11max_functorIjEjEEDaPvRmT3_T4_T5_mT6_P12ihipStream_tbENKUlT_T0_E_clISt17integral_constantIbLb0EESU_EEDaSP_SQ_EUlSP_E0_NS1_11comp_targetILNS1_3genE3ELNS1_11target_archE908ELNS1_3gpuE7ELNS1_3repE0EEENS1_30default_config_static_selectorELNS0_4arch9wavefront6targetE1EEEvT1_
    .private_segment_fixed_size: 0
    .sgpr_count:     4
    .sgpr_spill_count: 0
    .symbol:         _ZN7rocprim17ROCPRIM_400000_NS6detail17trampoline_kernelINS0_14default_configENS1_20scan_config_selectorIjEEZZNS1_9scan_implILNS1_25lookback_scan_determinismE0ELb1ELb1ES3_N6thrust23THRUST_200600_302600_NS6detail15normal_iteratorINS9_10device_ptrIjEEEESE_j11max_functorIjEjEEDaPvRmT3_T4_T5_mT6_P12ihipStream_tbENKUlT_T0_E_clISt17integral_constantIbLb0EESU_EEDaSP_SQ_EUlSP_E0_NS1_11comp_targetILNS1_3genE3ELNS1_11target_archE908ELNS1_3gpuE7ELNS1_3repE0EEENS1_30default_config_static_selectorELNS0_4arch9wavefront6targetE1EEEvT1_.kd
    .uniform_work_group_size: 1
    .uses_dynamic_stack: false
    .vgpr_count:     0
    .vgpr_spill_count: 0
    .wavefront_size: 64
  - .agpr_count:     0
    .args:
      - .offset:         0
        .size:           32
        .value_kind:     by_value
    .group_segment_fixed_size: 0
    .kernarg_segment_align: 8
    .kernarg_segment_size: 32
    .language:       OpenCL C
    .language_version:
      - 2
      - 0
    .max_flat_workgroup_size: 256
    .name:           _ZN7rocprim17ROCPRIM_400000_NS6detail17trampoline_kernelINS0_14default_configENS1_20scan_config_selectorIjEEZZNS1_9scan_implILNS1_25lookback_scan_determinismE0ELb1ELb1ES3_N6thrust23THRUST_200600_302600_NS6detail15normal_iteratorINS9_10device_ptrIjEEEESE_j11max_functorIjEjEEDaPvRmT3_T4_T5_mT6_P12ihipStream_tbENKUlT_T0_E_clISt17integral_constantIbLb0EESU_EEDaSP_SQ_EUlSP_E0_NS1_11comp_targetILNS1_3genE2ELNS1_11target_archE906ELNS1_3gpuE6ELNS1_3repE0EEENS1_30default_config_static_selectorELNS0_4arch9wavefront6targetE1EEEvT1_
    .private_segment_fixed_size: 0
    .sgpr_count:     4
    .sgpr_spill_count: 0
    .symbol:         _ZN7rocprim17ROCPRIM_400000_NS6detail17trampoline_kernelINS0_14default_configENS1_20scan_config_selectorIjEEZZNS1_9scan_implILNS1_25lookback_scan_determinismE0ELb1ELb1ES3_N6thrust23THRUST_200600_302600_NS6detail15normal_iteratorINS9_10device_ptrIjEEEESE_j11max_functorIjEjEEDaPvRmT3_T4_T5_mT6_P12ihipStream_tbENKUlT_T0_E_clISt17integral_constantIbLb0EESU_EEDaSP_SQ_EUlSP_E0_NS1_11comp_targetILNS1_3genE2ELNS1_11target_archE906ELNS1_3gpuE6ELNS1_3repE0EEENS1_30default_config_static_selectorELNS0_4arch9wavefront6targetE1EEEvT1_.kd
    .uniform_work_group_size: 1
    .uses_dynamic_stack: false
    .vgpr_count:     0
    .vgpr_spill_count: 0
    .wavefront_size: 64
  - .agpr_count:     0
    .args:
      - .offset:         0
        .size:           32
        .value_kind:     by_value
    .group_segment_fixed_size: 0
    .kernarg_segment_align: 8
    .kernarg_segment_size: 32
    .language:       OpenCL C
    .language_version:
      - 2
      - 0
    .max_flat_workgroup_size: 256
    .name:           _ZN7rocprim17ROCPRIM_400000_NS6detail17trampoline_kernelINS0_14default_configENS1_20scan_config_selectorIjEEZZNS1_9scan_implILNS1_25lookback_scan_determinismE0ELb1ELb1ES3_N6thrust23THRUST_200600_302600_NS6detail15normal_iteratorINS9_10device_ptrIjEEEESE_j11max_functorIjEjEEDaPvRmT3_T4_T5_mT6_P12ihipStream_tbENKUlT_T0_E_clISt17integral_constantIbLb0EESU_EEDaSP_SQ_EUlSP_E0_NS1_11comp_targetILNS1_3genE10ELNS1_11target_archE1201ELNS1_3gpuE5ELNS1_3repE0EEENS1_30default_config_static_selectorELNS0_4arch9wavefront6targetE1EEEvT1_
    .private_segment_fixed_size: 0
    .sgpr_count:     4
    .sgpr_spill_count: 0
    .symbol:         _ZN7rocprim17ROCPRIM_400000_NS6detail17trampoline_kernelINS0_14default_configENS1_20scan_config_selectorIjEEZZNS1_9scan_implILNS1_25lookback_scan_determinismE0ELb1ELb1ES3_N6thrust23THRUST_200600_302600_NS6detail15normal_iteratorINS9_10device_ptrIjEEEESE_j11max_functorIjEjEEDaPvRmT3_T4_T5_mT6_P12ihipStream_tbENKUlT_T0_E_clISt17integral_constantIbLb0EESU_EEDaSP_SQ_EUlSP_E0_NS1_11comp_targetILNS1_3genE10ELNS1_11target_archE1201ELNS1_3gpuE5ELNS1_3repE0EEENS1_30default_config_static_selectorELNS0_4arch9wavefront6targetE1EEEvT1_.kd
    .uniform_work_group_size: 1
    .uses_dynamic_stack: false
    .vgpr_count:     0
    .vgpr_spill_count: 0
    .wavefront_size: 64
  - .agpr_count:     0
    .args:
      - .offset:         0
        .size:           32
        .value_kind:     by_value
    .group_segment_fixed_size: 0
    .kernarg_segment_align: 8
    .kernarg_segment_size: 32
    .language:       OpenCL C
    .language_version:
      - 2
      - 0
    .max_flat_workgroup_size: 256
    .name:           _ZN7rocprim17ROCPRIM_400000_NS6detail17trampoline_kernelINS0_14default_configENS1_20scan_config_selectorIjEEZZNS1_9scan_implILNS1_25lookback_scan_determinismE0ELb1ELb1ES3_N6thrust23THRUST_200600_302600_NS6detail15normal_iteratorINS9_10device_ptrIjEEEESE_j11max_functorIjEjEEDaPvRmT3_T4_T5_mT6_P12ihipStream_tbENKUlT_T0_E_clISt17integral_constantIbLb0EESU_EEDaSP_SQ_EUlSP_E0_NS1_11comp_targetILNS1_3genE10ELNS1_11target_archE1200ELNS1_3gpuE4ELNS1_3repE0EEENS1_30default_config_static_selectorELNS0_4arch9wavefront6targetE1EEEvT1_
    .private_segment_fixed_size: 0
    .sgpr_count:     4
    .sgpr_spill_count: 0
    .symbol:         _ZN7rocprim17ROCPRIM_400000_NS6detail17trampoline_kernelINS0_14default_configENS1_20scan_config_selectorIjEEZZNS1_9scan_implILNS1_25lookback_scan_determinismE0ELb1ELb1ES3_N6thrust23THRUST_200600_302600_NS6detail15normal_iteratorINS9_10device_ptrIjEEEESE_j11max_functorIjEjEEDaPvRmT3_T4_T5_mT6_P12ihipStream_tbENKUlT_T0_E_clISt17integral_constantIbLb0EESU_EEDaSP_SQ_EUlSP_E0_NS1_11comp_targetILNS1_3genE10ELNS1_11target_archE1200ELNS1_3gpuE4ELNS1_3repE0EEENS1_30default_config_static_selectorELNS0_4arch9wavefront6targetE1EEEvT1_.kd
    .uniform_work_group_size: 1
    .uses_dynamic_stack: false
    .vgpr_count:     0
    .vgpr_spill_count: 0
    .wavefront_size: 64
  - .agpr_count:     0
    .args:
      - .offset:         0
        .size:           32
        .value_kind:     by_value
    .group_segment_fixed_size: 0
    .kernarg_segment_align: 8
    .kernarg_segment_size: 32
    .language:       OpenCL C
    .language_version:
      - 2
      - 0
    .max_flat_workgroup_size: 256
    .name:           _ZN7rocprim17ROCPRIM_400000_NS6detail17trampoline_kernelINS0_14default_configENS1_20scan_config_selectorIjEEZZNS1_9scan_implILNS1_25lookback_scan_determinismE0ELb1ELb1ES3_N6thrust23THRUST_200600_302600_NS6detail15normal_iteratorINS9_10device_ptrIjEEEESE_j11max_functorIjEjEEDaPvRmT3_T4_T5_mT6_P12ihipStream_tbENKUlT_T0_E_clISt17integral_constantIbLb0EESU_EEDaSP_SQ_EUlSP_E0_NS1_11comp_targetILNS1_3genE9ELNS1_11target_archE1100ELNS1_3gpuE3ELNS1_3repE0EEENS1_30default_config_static_selectorELNS0_4arch9wavefront6targetE1EEEvT1_
    .private_segment_fixed_size: 0
    .sgpr_count:     4
    .sgpr_spill_count: 0
    .symbol:         _ZN7rocprim17ROCPRIM_400000_NS6detail17trampoline_kernelINS0_14default_configENS1_20scan_config_selectorIjEEZZNS1_9scan_implILNS1_25lookback_scan_determinismE0ELb1ELb1ES3_N6thrust23THRUST_200600_302600_NS6detail15normal_iteratorINS9_10device_ptrIjEEEESE_j11max_functorIjEjEEDaPvRmT3_T4_T5_mT6_P12ihipStream_tbENKUlT_T0_E_clISt17integral_constantIbLb0EESU_EEDaSP_SQ_EUlSP_E0_NS1_11comp_targetILNS1_3genE9ELNS1_11target_archE1100ELNS1_3gpuE3ELNS1_3repE0EEENS1_30default_config_static_selectorELNS0_4arch9wavefront6targetE1EEEvT1_.kd
    .uniform_work_group_size: 1
    .uses_dynamic_stack: false
    .vgpr_count:     0
    .vgpr_spill_count: 0
    .wavefront_size: 64
  - .agpr_count:     0
    .args:
      - .offset:         0
        .size:           32
        .value_kind:     by_value
    .group_segment_fixed_size: 0
    .kernarg_segment_align: 8
    .kernarg_segment_size: 32
    .language:       OpenCL C
    .language_version:
      - 2
      - 0
    .max_flat_workgroup_size: 64
    .name:           _ZN7rocprim17ROCPRIM_400000_NS6detail17trampoline_kernelINS0_14default_configENS1_20scan_config_selectorIjEEZZNS1_9scan_implILNS1_25lookback_scan_determinismE0ELb1ELb1ES3_N6thrust23THRUST_200600_302600_NS6detail15normal_iteratorINS9_10device_ptrIjEEEESE_j11max_functorIjEjEEDaPvRmT3_T4_T5_mT6_P12ihipStream_tbENKUlT_T0_E_clISt17integral_constantIbLb0EESU_EEDaSP_SQ_EUlSP_E0_NS1_11comp_targetILNS1_3genE8ELNS1_11target_archE1030ELNS1_3gpuE2ELNS1_3repE0EEENS1_30default_config_static_selectorELNS0_4arch9wavefront6targetE1EEEvT1_
    .private_segment_fixed_size: 0
    .sgpr_count:     4
    .sgpr_spill_count: 0
    .symbol:         _ZN7rocprim17ROCPRIM_400000_NS6detail17trampoline_kernelINS0_14default_configENS1_20scan_config_selectorIjEEZZNS1_9scan_implILNS1_25lookback_scan_determinismE0ELb1ELb1ES3_N6thrust23THRUST_200600_302600_NS6detail15normal_iteratorINS9_10device_ptrIjEEEESE_j11max_functorIjEjEEDaPvRmT3_T4_T5_mT6_P12ihipStream_tbENKUlT_T0_E_clISt17integral_constantIbLb0EESU_EEDaSP_SQ_EUlSP_E0_NS1_11comp_targetILNS1_3genE8ELNS1_11target_archE1030ELNS1_3gpuE2ELNS1_3repE0EEENS1_30default_config_static_selectorELNS0_4arch9wavefront6targetE1EEEvT1_.kd
    .uniform_work_group_size: 1
    .uses_dynamic_stack: false
    .vgpr_count:     0
    .vgpr_spill_count: 0
    .wavefront_size: 64
  - .agpr_count:     0
    .args:
      - .offset:         0
        .size:           96
        .value_kind:     by_value
    .group_segment_fixed_size: 0
    .kernarg_segment_align: 8
    .kernarg_segment_size: 96
    .language:       OpenCL C
    .language_version:
      - 2
      - 0
    .max_flat_workgroup_size: 256
    .name:           _ZN7rocprim17ROCPRIM_400000_NS6detail17trampoline_kernelINS0_14default_configENS1_20scan_config_selectorIjEEZZNS1_9scan_implILNS1_25lookback_scan_determinismE0ELb1ELb1ES3_N6thrust23THRUST_200600_302600_NS6detail15normal_iteratorINS9_10device_ptrIjEEEESE_j11max_functorIjEjEEDaPvRmT3_T4_T5_mT6_P12ihipStream_tbENKUlT_T0_E_clISt17integral_constantIbLb1EESU_EEDaSP_SQ_EUlSP_E_NS1_11comp_targetILNS1_3genE0ELNS1_11target_archE4294967295ELNS1_3gpuE0ELNS1_3repE0EEENS1_30default_config_static_selectorELNS0_4arch9wavefront6targetE1EEEvT1_
    .private_segment_fixed_size: 0
    .sgpr_count:     4
    .sgpr_spill_count: 0
    .symbol:         _ZN7rocprim17ROCPRIM_400000_NS6detail17trampoline_kernelINS0_14default_configENS1_20scan_config_selectorIjEEZZNS1_9scan_implILNS1_25lookback_scan_determinismE0ELb1ELb1ES3_N6thrust23THRUST_200600_302600_NS6detail15normal_iteratorINS9_10device_ptrIjEEEESE_j11max_functorIjEjEEDaPvRmT3_T4_T5_mT6_P12ihipStream_tbENKUlT_T0_E_clISt17integral_constantIbLb1EESU_EEDaSP_SQ_EUlSP_E_NS1_11comp_targetILNS1_3genE0ELNS1_11target_archE4294967295ELNS1_3gpuE0ELNS1_3repE0EEENS1_30default_config_static_selectorELNS0_4arch9wavefront6targetE1EEEvT1_.kd
    .uniform_work_group_size: 1
    .uses_dynamic_stack: false
    .vgpr_count:     0
    .vgpr_spill_count: 0
    .wavefront_size: 64
  - .agpr_count:     0
    .args:
      - .offset:         0
        .size:           96
        .value_kind:     by_value
    .group_segment_fixed_size: 0
    .kernarg_segment_align: 8
    .kernarg_segment_size: 96
    .language:       OpenCL C
    .language_version:
      - 2
      - 0
    .max_flat_workgroup_size: 256
    .name:           _ZN7rocprim17ROCPRIM_400000_NS6detail17trampoline_kernelINS0_14default_configENS1_20scan_config_selectorIjEEZZNS1_9scan_implILNS1_25lookback_scan_determinismE0ELb1ELb1ES3_N6thrust23THRUST_200600_302600_NS6detail15normal_iteratorINS9_10device_ptrIjEEEESE_j11max_functorIjEjEEDaPvRmT3_T4_T5_mT6_P12ihipStream_tbENKUlT_T0_E_clISt17integral_constantIbLb1EESU_EEDaSP_SQ_EUlSP_E_NS1_11comp_targetILNS1_3genE5ELNS1_11target_archE942ELNS1_3gpuE9ELNS1_3repE0EEENS1_30default_config_static_selectorELNS0_4arch9wavefront6targetE1EEEvT1_
    .private_segment_fixed_size: 0
    .sgpr_count:     4
    .sgpr_spill_count: 0
    .symbol:         _ZN7rocprim17ROCPRIM_400000_NS6detail17trampoline_kernelINS0_14default_configENS1_20scan_config_selectorIjEEZZNS1_9scan_implILNS1_25lookback_scan_determinismE0ELb1ELb1ES3_N6thrust23THRUST_200600_302600_NS6detail15normal_iteratorINS9_10device_ptrIjEEEESE_j11max_functorIjEjEEDaPvRmT3_T4_T5_mT6_P12ihipStream_tbENKUlT_T0_E_clISt17integral_constantIbLb1EESU_EEDaSP_SQ_EUlSP_E_NS1_11comp_targetILNS1_3genE5ELNS1_11target_archE942ELNS1_3gpuE9ELNS1_3repE0EEENS1_30default_config_static_selectorELNS0_4arch9wavefront6targetE1EEEvT1_.kd
    .uniform_work_group_size: 1
    .uses_dynamic_stack: false
    .vgpr_count:     0
    .vgpr_spill_count: 0
    .wavefront_size: 64
  - .agpr_count:     0
    .args:
      - .offset:         0
        .size:           96
        .value_kind:     by_value
    .group_segment_fixed_size: 5120
    .kernarg_segment_align: 8
    .kernarg_segment_size: 96
    .language:       OpenCL C
    .language_version:
      - 2
      - 0
    .max_flat_workgroup_size: 128
    .name:           _ZN7rocprim17ROCPRIM_400000_NS6detail17trampoline_kernelINS0_14default_configENS1_20scan_config_selectorIjEEZZNS1_9scan_implILNS1_25lookback_scan_determinismE0ELb1ELb1ES3_N6thrust23THRUST_200600_302600_NS6detail15normal_iteratorINS9_10device_ptrIjEEEESE_j11max_functorIjEjEEDaPvRmT3_T4_T5_mT6_P12ihipStream_tbENKUlT_T0_E_clISt17integral_constantIbLb1EESU_EEDaSP_SQ_EUlSP_E_NS1_11comp_targetILNS1_3genE4ELNS1_11target_archE910ELNS1_3gpuE8ELNS1_3repE0EEENS1_30default_config_static_selectorELNS0_4arch9wavefront6targetE1EEEvT1_
    .private_segment_fixed_size: 0
    .sgpr_count:     44
    .sgpr_spill_count: 0
    .symbol:         _ZN7rocprim17ROCPRIM_400000_NS6detail17trampoline_kernelINS0_14default_configENS1_20scan_config_selectorIjEEZZNS1_9scan_implILNS1_25lookback_scan_determinismE0ELb1ELb1ES3_N6thrust23THRUST_200600_302600_NS6detail15normal_iteratorINS9_10device_ptrIjEEEESE_j11max_functorIjEjEEDaPvRmT3_T4_T5_mT6_P12ihipStream_tbENKUlT_T0_E_clISt17integral_constantIbLb1EESU_EEDaSP_SQ_EUlSP_E_NS1_11comp_targetILNS1_3genE4ELNS1_11target_archE910ELNS1_3gpuE8ELNS1_3repE0EEENS1_30default_config_static_selectorELNS0_4arch9wavefront6targetE1EEEvT1_.kd
    .uniform_work_group_size: 1
    .uses_dynamic_stack: false
    .vgpr_count:     41
    .vgpr_spill_count: 0
    .wavefront_size: 64
  - .agpr_count:     0
    .args:
      - .offset:         0
        .size:           96
        .value_kind:     by_value
    .group_segment_fixed_size: 0
    .kernarg_segment_align: 8
    .kernarg_segment_size: 96
    .language:       OpenCL C
    .language_version:
      - 2
      - 0
    .max_flat_workgroup_size: 256
    .name:           _ZN7rocprim17ROCPRIM_400000_NS6detail17trampoline_kernelINS0_14default_configENS1_20scan_config_selectorIjEEZZNS1_9scan_implILNS1_25lookback_scan_determinismE0ELb1ELb1ES3_N6thrust23THRUST_200600_302600_NS6detail15normal_iteratorINS9_10device_ptrIjEEEESE_j11max_functorIjEjEEDaPvRmT3_T4_T5_mT6_P12ihipStream_tbENKUlT_T0_E_clISt17integral_constantIbLb1EESU_EEDaSP_SQ_EUlSP_E_NS1_11comp_targetILNS1_3genE3ELNS1_11target_archE908ELNS1_3gpuE7ELNS1_3repE0EEENS1_30default_config_static_selectorELNS0_4arch9wavefront6targetE1EEEvT1_
    .private_segment_fixed_size: 0
    .sgpr_count:     4
    .sgpr_spill_count: 0
    .symbol:         _ZN7rocprim17ROCPRIM_400000_NS6detail17trampoline_kernelINS0_14default_configENS1_20scan_config_selectorIjEEZZNS1_9scan_implILNS1_25lookback_scan_determinismE0ELb1ELb1ES3_N6thrust23THRUST_200600_302600_NS6detail15normal_iteratorINS9_10device_ptrIjEEEESE_j11max_functorIjEjEEDaPvRmT3_T4_T5_mT6_P12ihipStream_tbENKUlT_T0_E_clISt17integral_constantIbLb1EESU_EEDaSP_SQ_EUlSP_E_NS1_11comp_targetILNS1_3genE3ELNS1_11target_archE908ELNS1_3gpuE7ELNS1_3repE0EEENS1_30default_config_static_selectorELNS0_4arch9wavefront6targetE1EEEvT1_.kd
    .uniform_work_group_size: 1
    .uses_dynamic_stack: false
    .vgpr_count:     0
    .vgpr_spill_count: 0
    .wavefront_size: 64
  - .agpr_count:     0
    .args:
      - .offset:         0
        .size:           96
        .value_kind:     by_value
    .group_segment_fixed_size: 0
    .kernarg_segment_align: 8
    .kernarg_segment_size: 96
    .language:       OpenCL C
    .language_version:
      - 2
      - 0
    .max_flat_workgroup_size: 256
    .name:           _ZN7rocprim17ROCPRIM_400000_NS6detail17trampoline_kernelINS0_14default_configENS1_20scan_config_selectorIjEEZZNS1_9scan_implILNS1_25lookback_scan_determinismE0ELb1ELb1ES3_N6thrust23THRUST_200600_302600_NS6detail15normal_iteratorINS9_10device_ptrIjEEEESE_j11max_functorIjEjEEDaPvRmT3_T4_T5_mT6_P12ihipStream_tbENKUlT_T0_E_clISt17integral_constantIbLb1EESU_EEDaSP_SQ_EUlSP_E_NS1_11comp_targetILNS1_3genE2ELNS1_11target_archE906ELNS1_3gpuE6ELNS1_3repE0EEENS1_30default_config_static_selectorELNS0_4arch9wavefront6targetE1EEEvT1_
    .private_segment_fixed_size: 0
    .sgpr_count:     4
    .sgpr_spill_count: 0
    .symbol:         _ZN7rocprim17ROCPRIM_400000_NS6detail17trampoline_kernelINS0_14default_configENS1_20scan_config_selectorIjEEZZNS1_9scan_implILNS1_25lookback_scan_determinismE0ELb1ELb1ES3_N6thrust23THRUST_200600_302600_NS6detail15normal_iteratorINS9_10device_ptrIjEEEESE_j11max_functorIjEjEEDaPvRmT3_T4_T5_mT6_P12ihipStream_tbENKUlT_T0_E_clISt17integral_constantIbLb1EESU_EEDaSP_SQ_EUlSP_E_NS1_11comp_targetILNS1_3genE2ELNS1_11target_archE906ELNS1_3gpuE6ELNS1_3repE0EEENS1_30default_config_static_selectorELNS0_4arch9wavefront6targetE1EEEvT1_.kd
    .uniform_work_group_size: 1
    .uses_dynamic_stack: false
    .vgpr_count:     0
    .vgpr_spill_count: 0
    .wavefront_size: 64
  - .agpr_count:     0
    .args:
      - .offset:         0
        .size:           96
        .value_kind:     by_value
    .group_segment_fixed_size: 0
    .kernarg_segment_align: 8
    .kernarg_segment_size: 96
    .language:       OpenCL C
    .language_version:
      - 2
      - 0
    .max_flat_workgroup_size: 256
    .name:           _ZN7rocprim17ROCPRIM_400000_NS6detail17trampoline_kernelINS0_14default_configENS1_20scan_config_selectorIjEEZZNS1_9scan_implILNS1_25lookback_scan_determinismE0ELb1ELb1ES3_N6thrust23THRUST_200600_302600_NS6detail15normal_iteratorINS9_10device_ptrIjEEEESE_j11max_functorIjEjEEDaPvRmT3_T4_T5_mT6_P12ihipStream_tbENKUlT_T0_E_clISt17integral_constantIbLb1EESU_EEDaSP_SQ_EUlSP_E_NS1_11comp_targetILNS1_3genE10ELNS1_11target_archE1201ELNS1_3gpuE5ELNS1_3repE0EEENS1_30default_config_static_selectorELNS0_4arch9wavefront6targetE1EEEvT1_
    .private_segment_fixed_size: 0
    .sgpr_count:     4
    .sgpr_spill_count: 0
    .symbol:         _ZN7rocprim17ROCPRIM_400000_NS6detail17trampoline_kernelINS0_14default_configENS1_20scan_config_selectorIjEEZZNS1_9scan_implILNS1_25lookback_scan_determinismE0ELb1ELb1ES3_N6thrust23THRUST_200600_302600_NS6detail15normal_iteratorINS9_10device_ptrIjEEEESE_j11max_functorIjEjEEDaPvRmT3_T4_T5_mT6_P12ihipStream_tbENKUlT_T0_E_clISt17integral_constantIbLb1EESU_EEDaSP_SQ_EUlSP_E_NS1_11comp_targetILNS1_3genE10ELNS1_11target_archE1201ELNS1_3gpuE5ELNS1_3repE0EEENS1_30default_config_static_selectorELNS0_4arch9wavefront6targetE1EEEvT1_.kd
    .uniform_work_group_size: 1
    .uses_dynamic_stack: false
    .vgpr_count:     0
    .vgpr_spill_count: 0
    .wavefront_size: 64
  - .agpr_count:     0
    .args:
      - .offset:         0
        .size:           96
        .value_kind:     by_value
    .group_segment_fixed_size: 0
    .kernarg_segment_align: 8
    .kernarg_segment_size: 96
    .language:       OpenCL C
    .language_version:
      - 2
      - 0
    .max_flat_workgroup_size: 256
    .name:           _ZN7rocprim17ROCPRIM_400000_NS6detail17trampoline_kernelINS0_14default_configENS1_20scan_config_selectorIjEEZZNS1_9scan_implILNS1_25lookback_scan_determinismE0ELb1ELb1ES3_N6thrust23THRUST_200600_302600_NS6detail15normal_iteratorINS9_10device_ptrIjEEEESE_j11max_functorIjEjEEDaPvRmT3_T4_T5_mT6_P12ihipStream_tbENKUlT_T0_E_clISt17integral_constantIbLb1EESU_EEDaSP_SQ_EUlSP_E_NS1_11comp_targetILNS1_3genE10ELNS1_11target_archE1200ELNS1_3gpuE4ELNS1_3repE0EEENS1_30default_config_static_selectorELNS0_4arch9wavefront6targetE1EEEvT1_
    .private_segment_fixed_size: 0
    .sgpr_count:     4
    .sgpr_spill_count: 0
    .symbol:         _ZN7rocprim17ROCPRIM_400000_NS6detail17trampoline_kernelINS0_14default_configENS1_20scan_config_selectorIjEEZZNS1_9scan_implILNS1_25lookback_scan_determinismE0ELb1ELb1ES3_N6thrust23THRUST_200600_302600_NS6detail15normal_iteratorINS9_10device_ptrIjEEEESE_j11max_functorIjEjEEDaPvRmT3_T4_T5_mT6_P12ihipStream_tbENKUlT_T0_E_clISt17integral_constantIbLb1EESU_EEDaSP_SQ_EUlSP_E_NS1_11comp_targetILNS1_3genE10ELNS1_11target_archE1200ELNS1_3gpuE4ELNS1_3repE0EEENS1_30default_config_static_selectorELNS0_4arch9wavefront6targetE1EEEvT1_.kd
    .uniform_work_group_size: 1
    .uses_dynamic_stack: false
    .vgpr_count:     0
    .vgpr_spill_count: 0
    .wavefront_size: 64
  - .agpr_count:     0
    .args:
      - .offset:         0
        .size:           96
        .value_kind:     by_value
    .group_segment_fixed_size: 0
    .kernarg_segment_align: 8
    .kernarg_segment_size: 96
    .language:       OpenCL C
    .language_version:
      - 2
      - 0
    .max_flat_workgroup_size: 256
    .name:           _ZN7rocprim17ROCPRIM_400000_NS6detail17trampoline_kernelINS0_14default_configENS1_20scan_config_selectorIjEEZZNS1_9scan_implILNS1_25lookback_scan_determinismE0ELb1ELb1ES3_N6thrust23THRUST_200600_302600_NS6detail15normal_iteratorINS9_10device_ptrIjEEEESE_j11max_functorIjEjEEDaPvRmT3_T4_T5_mT6_P12ihipStream_tbENKUlT_T0_E_clISt17integral_constantIbLb1EESU_EEDaSP_SQ_EUlSP_E_NS1_11comp_targetILNS1_3genE9ELNS1_11target_archE1100ELNS1_3gpuE3ELNS1_3repE0EEENS1_30default_config_static_selectorELNS0_4arch9wavefront6targetE1EEEvT1_
    .private_segment_fixed_size: 0
    .sgpr_count:     4
    .sgpr_spill_count: 0
    .symbol:         _ZN7rocprim17ROCPRIM_400000_NS6detail17trampoline_kernelINS0_14default_configENS1_20scan_config_selectorIjEEZZNS1_9scan_implILNS1_25lookback_scan_determinismE0ELb1ELb1ES3_N6thrust23THRUST_200600_302600_NS6detail15normal_iteratorINS9_10device_ptrIjEEEESE_j11max_functorIjEjEEDaPvRmT3_T4_T5_mT6_P12ihipStream_tbENKUlT_T0_E_clISt17integral_constantIbLb1EESU_EEDaSP_SQ_EUlSP_E_NS1_11comp_targetILNS1_3genE9ELNS1_11target_archE1100ELNS1_3gpuE3ELNS1_3repE0EEENS1_30default_config_static_selectorELNS0_4arch9wavefront6targetE1EEEvT1_.kd
    .uniform_work_group_size: 1
    .uses_dynamic_stack: false
    .vgpr_count:     0
    .vgpr_spill_count: 0
    .wavefront_size: 64
  - .agpr_count:     0
    .args:
      - .offset:         0
        .size:           96
        .value_kind:     by_value
    .group_segment_fixed_size: 0
    .kernarg_segment_align: 8
    .kernarg_segment_size: 96
    .language:       OpenCL C
    .language_version:
      - 2
      - 0
    .max_flat_workgroup_size: 64
    .name:           _ZN7rocprim17ROCPRIM_400000_NS6detail17trampoline_kernelINS0_14default_configENS1_20scan_config_selectorIjEEZZNS1_9scan_implILNS1_25lookback_scan_determinismE0ELb1ELb1ES3_N6thrust23THRUST_200600_302600_NS6detail15normal_iteratorINS9_10device_ptrIjEEEESE_j11max_functorIjEjEEDaPvRmT3_T4_T5_mT6_P12ihipStream_tbENKUlT_T0_E_clISt17integral_constantIbLb1EESU_EEDaSP_SQ_EUlSP_E_NS1_11comp_targetILNS1_3genE8ELNS1_11target_archE1030ELNS1_3gpuE2ELNS1_3repE0EEENS1_30default_config_static_selectorELNS0_4arch9wavefront6targetE1EEEvT1_
    .private_segment_fixed_size: 0
    .sgpr_count:     4
    .sgpr_spill_count: 0
    .symbol:         _ZN7rocprim17ROCPRIM_400000_NS6detail17trampoline_kernelINS0_14default_configENS1_20scan_config_selectorIjEEZZNS1_9scan_implILNS1_25lookback_scan_determinismE0ELb1ELb1ES3_N6thrust23THRUST_200600_302600_NS6detail15normal_iteratorINS9_10device_ptrIjEEEESE_j11max_functorIjEjEEDaPvRmT3_T4_T5_mT6_P12ihipStream_tbENKUlT_T0_E_clISt17integral_constantIbLb1EESU_EEDaSP_SQ_EUlSP_E_NS1_11comp_targetILNS1_3genE8ELNS1_11target_archE1030ELNS1_3gpuE2ELNS1_3repE0EEENS1_30default_config_static_selectorELNS0_4arch9wavefront6targetE1EEEvT1_.kd
    .uniform_work_group_size: 1
    .uses_dynamic_stack: false
    .vgpr_count:     0
    .vgpr_spill_count: 0
    .wavefront_size: 64
  - .agpr_count:     0
    .args:
      - .offset:         0
        .size:           32
        .value_kind:     by_value
    .group_segment_fixed_size: 0
    .kernarg_segment_align: 8
    .kernarg_segment_size: 32
    .language:       OpenCL C
    .language_version:
      - 2
      - 0
    .max_flat_workgroup_size: 256
    .name:           _ZN7rocprim17ROCPRIM_400000_NS6detail17trampoline_kernelINS0_14default_configENS1_20scan_config_selectorIjEEZZNS1_9scan_implILNS1_25lookback_scan_determinismE0ELb1ELb1ES3_N6thrust23THRUST_200600_302600_NS6detail15normal_iteratorINS9_10device_ptrIjEEEESE_j11max_functorIjEjEEDaPvRmT3_T4_T5_mT6_P12ihipStream_tbENKUlT_T0_E_clISt17integral_constantIbLb1EESU_EEDaSP_SQ_EUlSP_E0_NS1_11comp_targetILNS1_3genE0ELNS1_11target_archE4294967295ELNS1_3gpuE0ELNS1_3repE0EEENS1_30default_config_static_selectorELNS0_4arch9wavefront6targetE1EEEvT1_
    .private_segment_fixed_size: 0
    .sgpr_count:     4
    .sgpr_spill_count: 0
    .symbol:         _ZN7rocprim17ROCPRIM_400000_NS6detail17trampoline_kernelINS0_14default_configENS1_20scan_config_selectorIjEEZZNS1_9scan_implILNS1_25lookback_scan_determinismE0ELb1ELb1ES3_N6thrust23THRUST_200600_302600_NS6detail15normal_iteratorINS9_10device_ptrIjEEEESE_j11max_functorIjEjEEDaPvRmT3_T4_T5_mT6_P12ihipStream_tbENKUlT_T0_E_clISt17integral_constantIbLb1EESU_EEDaSP_SQ_EUlSP_E0_NS1_11comp_targetILNS1_3genE0ELNS1_11target_archE4294967295ELNS1_3gpuE0ELNS1_3repE0EEENS1_30default_config_static_selectorELNS0_4arch9wavefront6targetE1EEEvT1_.kd
    .uniform_work_group_size: 1
    .uses_dynamic_stack: false
    .vgpr_count:     0
    .vgpr_spill_count: 0
    .wavefront_size: 64
  - .agpr_count:     0
    .args:
      - .offset:         0
        .size:           32
        .value_kind:     by_value
    .group_segment_fixed_size: 0
    .kernarg_segment_align: 8
    .kernarg_segment_size: 32
    .language:       OpenCL C
    .language_version:
      - 2
      - 0
    .max_flat_workgroup_size: 256
    .name:           _ZN7rocprim17ROCPRIM_400000_NS6detail17trampoline_kernelINS0_14default_configENS1_20scan_config_selectorIjEEZZNS1_9scan_implILNS1_25lookback_scan_determinismE0ELb1ELb1ES3_N6thrust23THRUST_200600_302600_NS6detail15normal_iteratorINS9_10device_ptrIjEEEESE_j11max_functorIjEjEEDaPvRmT3_T4_T5_mT6_P12ihipStream_tbENKUlT_T0_E_clISt17integral_constantIbLb1EESU_EEDaSP_SQ_EUlSP_E0_NS1_11comp_targetILNS1_3genE5ELNS1_11target_archE942ELNS1_3gpuE9ELNS1_3repE0EEENS1_30default_config_static_selectorELNS0_4arch9wavefront6targetE1EEEvT1_
    .private_segment_fixed_size: 0
    .sgpr_count:     4
    .sgpr_spill_count: 0
    .symbol:         _ZN7rocprim17ROCPRIM_400000_NS6detail17trampoline_kernelINS0_14default_configENS1_20scan_config_selectorIjEEZZNS1_9scan_implILNS1_25lookback_scan_determinismE0ELb1ELb1ES3_N6thrust23THRUST_200600_302600_NS6detail15normal_iteratorINS9_10device_ptrIjEEEESE_j11max_functorIjEjEEDaPvRmT3_T4_T5_mT6_P12ihipStream_tbENKUlT_T0_E_clISt17integral_constantIbLb1EESU_EEDaSP_SQ_EUlSP_E0_NS1_11comp_targetILNS1_3genE5ELNS1_11target_archE942ELNS1_3gpuE9ELNS1_3repE0EEENS1_30default_config_static_selectorELNS0_4arch9wavefront6targetE1EEEvT1_.kd
    .uniform_work_group_size: 1
    .uses_dynamic_stack: false
    .vgpr_count:     0
    .vgpr_spill_count: 0
    .wavefront_size: 64
  - .agpr_count:     0
    .args:
      - .offset:         0
        .size:           32
        .value_kind:     by_value
    .group_segment_fixed_size: 5120
    .kernarg_segment_align: 8
    .kernarg_segment_size: 32
    .language:       OpenCL C
    .language_version:
      - 2
      - 0
    .max_flat_workgroup_size: 128
    .name:           _ZN7rocprim17ROCPRIM_400000_NS6detail17trampoline_kernelINS0_14default_configENS1_20scan_config_selectorIjEEZZNS1_9scan_implILNS1_25lookback_scan_determinismE0ELb1ELb1ES3_N6thrust23THRUST_200600_302600_NS6detail15normal_iteratorINS9_10device_ptrIjEEEESE_j11max_functorIjEjEEDaPvRmT3_T4_T5_mT6_P12ihipStream_tbENKUlT_T0_E_clISt17integral_constantIbLb1EESU_EEDaSP_SQ_EUlSP_E0_NS1_11comp_targetILNS1_3genE4ELNS1_11target_archE910ELNS1_3gpuE8ELNS1_3repE0EEENS1_30default_config_static_selectorELNS0_4arch9wavefront6targetE1EEEvT1_
    .private_segment_fixed_size: 0
    .sgpr_count:     29
    .sgpr_spill_count: 0
    .symbol:         _ZN7rocprim17ROCPRIM_400000_NS6detail17trampoline_kernelINS0_14default_configENS1_20scan_config_selectorIjEEZZNS1_9scan_implILNS1_25lookback_scan_determinismE0ELb1ELb1ES3_N6thrust23THRUST_200600_302600_NS6detail15normal_iteratorINS9_10device_ptrIjEEEESE_j11max_functorIjEjEEDaPvRmT3_T4_T5_mT6_P12ihipStream_tbENKUlT_T0_E_clISt17integral_constantIbLb1EESU_EEDaSP_SQ_EUlSP_E0_NS1_11comp_targetILNS1_3genE4ELNS1_11target_archE910ELNS1_3gpuE8ELNS1_3repE0EEENS1_30default_config_static_selectorELNS0_4arch9wavefront6targetE1EEEvT1_.kd
    .uniform_work_group_size: 1
    .uses_dynamic_stack: false
    .vgpr_count:     19
    .vgpr_spill_count: 0
    .wavefront_size: 64
  - .agpr_count:     0
    .args:
      - .offset:         0
        .size:           32
        .value_kind:     by_value
    .group_segment_fixed_size: 0
    .kernarg_segment_align: 8
    .kernarg_segment_size: 32
    .language:       OpenCL C
    .language_version:
      - 2
      - 0
    .max_flat_workgroup_size: 256
    .name:           _ZN7rocprim17ROCPRIM_400000_NS6detail17trampoline_kernelINS0_14default_configENS1_20scan_config_selectorIjEEZZNS1_9scan_implILNS1_25lookback_scan_determinismE0ELb1ELb1ES3_N6thrust23THRUST_200600_302600_NS6detail15normal_iteratorINS9_10device_ptrIjEEEESE_j11max_functorIjEjEEDaPvRmT3_T4_T5_mT6_P12ihipStream_tbENKUlT_T0_E_clISt17integral_constantIbLb1EESU_EEDaSP_SQ_EUlSP_E0_NS1_11comp_targetILNS1_3genE3ELNS1_11target_archE908ELNS1_3gpuE7ELNS1_3repE0EEENS1_30default_config_static_selectorELNS0_4arch9wavefront6targetE1EEEvT1_
    .private_segment_fixed_size: 0
    .sgpr_count:     4
    .sgpr_spill_count: 0
    .symbol:         _ZN7rocprim17ROCPRIM_400000_NS6detail17trampoline_kernelINS0_14default_configENS1_20scan_config_selectorIjEEZZNS1_9scan_implILNS1_25lookback_scan_determinismE0ELb1ELb1ES3_N6thrust23THRUST_200600_302600_NS6detail15normal_iteratorINS9_10device_ptrIjEEEESE_j11max_functorIjEjEEDaPvRmT3_T4_T5_mT6_P12ihipStream_tbENKUlT_T0_E_clISt17integral_constantIbLb1EESU_EEDaSP_SQ_EUlSP_E0_NS1_11comp_targetILNS1_3genE3ELNS1_11target_archE908ELNS1_3gpuE7ELNS1_3repE0EEENS1_30default_config_static_selectorELNS0_4arch9wavefront6targetE1EEEvT1_.kd
    .uniform_work_group_size: 1
    .uses_dynamic_stack: false
    .vgpr_count:     0
    .vgpr_spill_count: 0
    .wavefront_size: 64
  - .agpr_count:     0
    .args:
      - .offset:         0
        .size:           32
        .value_kind:     by_value
    .group_segment_fixed_size: 0
    .kernarg_segment_align: 8
    .kernarg_segment_size: 32
    .language:       OpenCL C
    .language_version:
      - 2
      - 0
    .max_flat_workgroup_size: 256
    .name:           _ZN7rocprim17ROCPRIM_400000_NS6detail17trampoline_kernelINS0_14default_configENS1_20scan_config_selectorIjEEZZNS1_9scan_implILNS1_25lookback_scan_determinismE0ELb1ELb1ES3_N6thrust23THRUST_200600_302600_NS6detail15normal_iteratorINS9_10device_ptrIjEEEESE_j11max_functorIjEjEEDaPvRmT3_T4_T5_mT6_P12ihipStream_tbENKUlT_T0_E_clISt17integral_constantIbLb1EESU_EEDaSP_SQ_EUlSP_E0_NS1_11comp_targetILNS1_3genE2ELNS1_11target_archE906ELNS1_3gpuE6ELNS1_3repE0EEENS1_30default_config_static_selectorELNS0_4arch9wavefront6targetE1EEEvT1_
    .private_segment_fixed_size: 0
    .sgpr_count:     4
    .sgpr_spill_count: 0
    .symbol:         _ZN7rocprim17ROCPRIM_400000_NS6detail17trampoline_kernelINS0_14default_configENS1_20scan_config_selectorIjEEZZNS1_9scan_implILNS1_25lookback_scan_determinismE0ELb1ELb1ES3_N6thrust23THRUST_200600_302600_NS6detail15normal_iteratorINS9_10device_ptrIjEEEESE_j11max_functorIjEjEEDaPvRmT3_T4_T5_mT6_P12ihipStream_tbENKUlT_T0_E_clISt17integral_constantIbLb1EESU_EEDaSP_SQ_EUlSP_E0_NS1_11comp_targetILNS1_3genE2ELNS1_11target_archE906ELNS1_3gpuE6ELNS1_3repE0EEENS1_30default_config_static_selectorELNS0_4arch9wavefront6targetE1EEEvT1_.kd
    .uniform_work_group_size: 1
    .uses_dynamic_stack: false
    .vgpr_count:     0
    .vgpr_spill_count: 0
    .wavefront_size: 64
  - .agpr_count:     0
    .args:
      - .offset:         0
        .size:           32
        .value_kind:     by_value
    .group_segment_fixed_size: 0
    .kernarg_segment_align: 8
    .kernarg_segment_size: 32
    .language:       OpenCL C
    .language_version:
      - 2
      - 0
    .max_flat_workgroup_size: 256
    .name:           _ZN7rocprim17ROCPRIM_400000_NS6detail17trampoline_kernelINS0_14default_configENS1_20scan_config_selectorIjEEZZNS1_9scan_implILNS1_25lookback_scan_determinismE0ELb1ELb1ES3_N6thrust23THRUST_200600_302600_NS6detail15normal_iteratorINS9_10device_ptrIjEEEESE_j11max_functorIjEjEEDaPvRmT3_T4_T5_mT6_P12ihipStream_tbENKUlT_T0_E_clISt17integral_constantIbLb1EESU_EEDaSP_SQ_EUlSP_E0_NS1_11comp_targetILNS1_3genE10ELNS1_11target_archE1201ELNS1_3gpuE5ELNS1_3repE0EEENS1_30default_config_static_selectorELNS0_4arch9wavefront6targetE1EEEvT1_
    .private_segment_fixed_size: 0
    .sgpr_count:     4
    .sgpr_spill_count: 0
    .symbol:         _ZN7rocprim17ROCPRIM_400000_NS6detail17trampoline_kernelINS0_14default_configENS1_20scan_config_selectorIjEEZZNS1_9scan_implILNS1_25lookback_scan_determinismE0ELb1ELb1ES3_N6thrust23THRUST_200600_302600_NS6detail15normal_iteratorINS9_10device_ptrIjEEEESE_j11max_functorIjEjEEDaPvRmT3_T4_T5_mT6_P12ihipStream_tbENKUlT_T0_E_clISt17integral_constantIbLb1EESU_EEDaSP_SQ_EUlSP_E0_NS1_11comp_targetILNS1_3genE10ELNS1_11target_archE1201ELNS1_3gpuE5ELNS1_3repE0EEENS1_30default_config_static_selectorELNS0_4arch9wavefront6targetE1EEEvT1_.kd
    .uniform_work_group_size: 1
    .uses_dynamic_stack: false
    .vgpr_count:     0
    .vgpr_spill_count: 0
    .wavefront_size: 64
  - .agpr_count:     0
    .args:
      - .offset:         0
        .size:           32
        .value_kind:     by_value
    .group_segment_fixed_size: 0
    .kernarg_segment_align: 8
    .kernarg_segment_size: 32
    .language:       OpenCL C
    .language_version:
      - 2
      - 0
    .max_flat_workgroup_size: 256
    .name:           _ZN7rocprim17ROCPRIM_400000_NS6detail17trampoline_kernelINS0_14default_configENS1_20scan_config_selectorIjEEZZNS1_9scan_implILNS1_25lookback_scan_determinismE0ELb1ELb1ES3_N6thrust23THRUST_200600_302600_NS6detail15normal_iteratorINS9_10device_ptrIjEEEESE_j11max_functorIjEjEEDaPvRmT3_T4_T5_mT6_P12ihipStream_tbENKUlT_T0_E_clISt17integral_constantIbLb1EESU_EEDaSP_SQ_EUlSP_E0_NS1_11comp_targetILNS1_3genE10ELNS1_11target_archE1200ELNS1_3gpuE4ELNS1_3repE0EEENS1_30default_config_static_selectorELNS0_4arch9wavefront6targetE1EEEvT1_
    .private_segment_fixed_size: 0
    .sgpr_count:     4
    .sgpr_spill_count: 0
    .symbol:         _ZN7rocprim17ROCPRIM_400000_NS6detail17trampoline_kernelINS0_14default_configENS1_20scan_config_selectorIjEEZZNS1_9scan_implILNS1_25lookback_scan_determinismE0ELb1ELb1ES3_N6thrust23THRUST_200600_302600_NS6detail15normal_iteratorINS9_10device_ptrIjEEEESE_j11max_functorIjEjEEDaPvRmT3_T4_T5_mT6_P12ihipStream_tbENKUlT_T0_E_clISt17integral_constantIbLb1EESU_EEDaSP_SQ_EUlSP_E0_NS1_11comp_targetILNS1_3genE10ELNS1_11target_archE1200ELNS1_3gpuE4ELNS1_3repE0EEENS1_30default_config_static_selectorELNS0_4arch9wavefront6targetE1EEEvT1_.kd
    .uniform_work_group_size: 1
    .uses_dynamic_stack: false
    .vgpr_count:     0
    .vgpr_spill_count: 0
    .wavefront_size: 64
  - .agpr_count:     0
    .args:
      - .offset:         0
        .size:           32
        .value_kind:     by_value
    .group_segment_fixed_size: 0
    .kernarg_segment_align: 8
    .kernarg_segment_size: 32
    .language:       OpenCL C
    .language_version:
      - 2
      - 0
    .max_flat_workgroup_size: 256
    .name:           _ZN7rocprim17ROCPRIM_400000_NS6detail17trampoline_kernelINS0_14default_configENS1_20scan_config_selectorIjEEZZNS1_9scan_implILNS1_25lookback_scan_determinismE0ELb1ELb1ES3_N6thrust23THRUST_200600_302600_NS6detail15normal_iteratorINS9_10device_ptrIjEEEESE_j11max_functorIjEjEEDaPvRmT3_T4_T5_mT6_P12ihipStream_tbENKUlT_T0_E_clISt17integral_constantIbLb1EESU_EEDaSP_SQ_EUlSP_E0_NS1_11comp_targetILNS1_3genE9ELNS1_11target_archE1100ELNS1_3gpuE3ELNS1_3repE0EEENS1_30default_config_static_selectorELNS0_4arch9wavefront6targetE1EEEvT1_
    .private_segment_fixed_size: 0
    .sgpr_count:     4
    .sgpr_spill_count: 0
    .symbol:         _ZN7rocprim17ROCPRIM_400000_NS6detail17trampoline_kernelINS0_14default_configENS1_20scan_config_selectorIjEEZZNS1_9scan_implILNS1_25lookback_scan_determinismE0ELb1ELb1ES3_N6thrust23THRUST_200600_302600_NS6detail15normal_iteratorINS9_10device_ptrIjEEEESE_j11max_functorIjEjEEDaPvRmT3_T4_T5_mT6_P12ihipStream_tbENKUlT_T0_E_clISt17integral_constantIbLb1EESU_EEDaSP_SQ_EUlSP_E0_NS1_11comp_targetILNS1_3genE9ELNS1_11target_archE1100ELNS1_3gpuE3ELNS1_3repE0EEENS1_30default_config_static_selectorELNS0_4arch9wavefront6targetE1EEEvT1_.kd
    .uniform_work_group_size: 1
    .uses_dynamic_stack: false
    .vgpr_count:     0
    .vgpr_spill_count: 0
    .wavefront_size: 64
  - .agpr_count:     0
    .args:
      - .offset:         0
        .size:           32
        .value_kind:     by_value
    .group_segment_fixed_size: 0
    .kernarg_segment_align: 8
    .kernarg_segment_size: 32
    .language:       OpenCL C
    .language_version:
      - 2
      - 0
    .max_flat_workgroup_size: 64
    .name:           _ZN7rocprim17ROCPRIM_400000_NS6detail17trampoline_kernelINS0_14default_configENS1_20scan_config_selectorIjEEZZNS1_9scan_implILNS1_25lookback_scan_determinismE0ELb1ELb1ES3_N6thrust23THRUST_200600_302600_NS6detail15normal_iteratorINS9_10device_ptrIjEEEESE_j11max_functorIjEjEEDaPvRmT3_T4_T5_mT6_P12ihipStream_tbENKUlT_T0_E_clISt17integral_constantIbLb1EESU_EEDaSP_SQ_EUlSP_E0_NS1_11comp_targetILNS1_3genE8ELNS1_11target_archE1030ELNS1_3gpuE2ELNS1_3repE0EEENS1_30default_config_static_selectorELNS0_4arch9wavefront6targetE1EEEvT1_
    .private_segment_fixed_size: 0
    .sgpr_count:     4
    .sgpr_spill_count: 0
    .symbol:         _ZN7rocprim17ROCPRIM_400000_NS6detail17trampoline_kernelINS0_14default_configENS1_20scan_config_selectorIjEEZZNS1_9scan_implILNS1_25lookback_scan_determinismE0ELb1ELb1ES3_N6thrust23THRUST_200600_302600_NS6detail15normal_iteratorINS9_10device_ptrIjEEEESE_j11max_functorIjEjEEDaPvRmT3_T4_T5_mT6_P12ihipStream_tbENKUlT_T0_E_clISt17integral_constantIbLb1EESU_EEDaSP_SQ_EUlSP_E0_NS1_11comp_targetILNS1_3genE8ELNS1_11target_archE1030ELNS1_3gpuE2ELNS1_3repE0EEENS1_30default_config_static_selectorELNS0_4arch9wavefront6targetE1EEEvT1_.kd
    .uniform_work_group_size: 1
    .uses_dynamic_stack: false
    .vgpr_count:     0
    .vgpr_spill_count: 0
    .wavefront_size: 64
  - .agpr_count:     0
    .args:
      - .offset:         0
        .size:           96
        .value_kind:     by_value
    .group_segment_fixed_size: 0
    .kernarg_segment_align: 8
    .kernarg_segment_size: 96
    .language:       OpenCL C
    .language_version:
      - 2
      - 0
    .max_flat_workgroup_size: 256
    .name:           _ZN7rocprim17ROCPRIM_400000_NS6detail17trampoline_kernelINS0_14default_configENS1_20scan_config_selectorIjEEZZNS1_9scan_implILNS1_25lookback_scan_determinismE0ELb1ELb1ES3_N6thrust23THRUST_200600_302600_NS6detail15normal_iteratorINS9_10device_ptrIjEEEESE_j11max_functorIjEjEEDaPvRmT3_T4_T5_mT6_P12ihipStream_tbENKUlT_T0_E_clISt17integral_constantIbLb1EEST_IbLb0EEEEDaSP_SQ_EUlSP_E_NS1_11comp_targetILNS1_3genE0ELNS1_11target_archE4294967295ELNS1_3gpuE0ELNS1_3repE0EEENS1_30default_config_static_selectorELNS0_4arch9wavefront6targetE1EEEvT1_
    .private_segment_fixed_size: 0
    .sgpr_count:     4
    .sgpr_spill_count: 0
    .symbol:         _ZN7rocprim17ROCPRIM_400000_NS6detail17trampoline_kernelINS0_14default_configENS1_20scan_config_selectorIjEEZZNS1_9scan_implILNS1_25lookback_scan_determinismE0ELb1ELb1ES3_N6thrust23THRUST_200600_302600_NS6detail15normal_iteratorINS9_10device_ptrIjEEEESE_j11max_functorIjEjEEDaPvRmT3_T4_T5_mT6_P12ihipStream_tbENKUlT_T0_E_clISt17integral_constantIbLb1EEST_IbLb0EEEEDaSP_SQ_EUlSP_E_NS1_11comp_targetILNS1_3genE0ELNS1_11target_archE4294967295ELNS1_3gpuE0ELNS1_3repE0EEENS1_30default_config_static_selectorELNS0_4arch9wavefront6targetE1EEEvT1_.kd
    .uniform_work_group_size: 1
    .uses_dynamic_stack: false
    .vgpr_count:     0
    .vgpr_spill_count: 0
    .wavefront_size: 64
  - .agpr_count:     0
    .args:
      - .offset:         0
        .size:           96
        .value_kind:     by_value
    .group_segment_fixed_size: 0
    .kernarg_segment_align: 8
    .kernarg_segment_size: 96
    .language:       OpenCL C
    .language_version:
      - 2
      - 0
    .max_flat_workgroup_size: 256
    .name:           _ZN7rocprim17ROCPRIM_400000_NS6detail17trampoline_kernelINS0_14default_configENS1_20scan_config_selectorIjEEZZNS1_9scan_implILNS1_25lookback_scan_determinismE0ELb1ELb1ES3_N6thrust23THRUST_200600_302600_NS6detail15normal_iteratorINS9_10device_ptrIjEEEESE_j11max_functorIjEjEEDaPvRmT3_T4_T5_mT6_P12ihipStream_tbENKUlT_T0_E_clISt17integral_constantIbLb1EEST_IbLb0EEEEDaSP_SQ_EUlSP_E_NS1_11comp_targetILNS1_3genE5ELNS1_11target_archE942ELNS1_3gpuE9ELNS1_3repE0EEENS1_30default_config_static_selectorELNS0_4arch9wavefront6targetE1EEEvT1_
    .private_segment_fixed_size: 0
    .sgpr_count:     4
    .sgpr_spill_count: 0
    .symbol:         _ZN7rocprim17ROCPRIM_400000_NS6detail17trampoline_kernelINS0_14default_configENS1_20scan_config_selectorIjEEZZNS1_9scan_implILNS1_25lookback_scan_determinismE0ELb1ELb1ES3_N6thrust23THRUST_200600_302600_NS6detail15normal_iteratorINS9_10device_ptrIjEEEESE_j11max_functorIjEjEEDaPvRmT3_T4_T5_mT6_P12ihipStream_tbENKUlT_T0_E_clISt17integral_constantIbLb1EEST_IbLb0EEEEDaSP_SQ_EUlSP_E_NS1_11comp_targetILNS1_3genE5ELNS1_11target_archE942ELNS1_3gpuE9ELNS1_3repE0EEENS1_30default_config_static_selectorELNS0_4arch9wavefront6targetE1EEEvT1_.kd
    .uniform_work_group_size: 1
    .uses_dynamic_stack: false
    .vgpr_count:     0
    .vgpr_spill_count: 0
    .wavefront_size: 64
  - .agpr_count:     0
    .args:
      - .offset:         0
        .size:           96
        .value_kind:     by_value
    .group_segment_fixed_size: 5120
    .kernarg_segment_align: 8
    .kernarg_segment_size: 96
    .language:       OpenCL C
    .language_version:
      - 2
      - 0
    .max_flat_workgroup_size: 128
    .name:           _ZN7rocprim17ROCPRIM_400000_NS6detail17trampoline_kernelINS0_14default_configENS1_20scan_config_selectorIjEEZZNS1_9scan_implILNS1_25lookback_scan_determinismE0ELb1ELb1ES3_N6thrust23THRUST_200600_302600_NS6detail15normal_iteratorINS9_10device_ptrIjEEEESE_j11max_functorIjEjEEDaPvRmT3_T4_T5_mT6_P12ihipStream_tbENKUlT_T0_E_clISt17integral_constantIbLb1EEST_IbLb0EEEEDaSP_SQ_EUlSP_E_NS1_11comp_targetILNS1_3genE4ELNS1_11target_archE910ELNS1_3gpuE8ELNS1_3repE0EEENS1_30default_config_static_selectorELNS0_4arch9wavefront6targetE1EEEvT1_
    .private_segment_fixed_size: 0
    .sgpr_count:     36
    .sgpr_spill_count: 0
    .symbol:         _ZN7rocprim17ROCPRIM_400000_NS6detail17trampoline_kernelINS0_14default_configENS1_20scan_config_selectorIjEEZZNS1_9scan_implILNS1_25lookback_scan_determinismE0ELb1ELb1ES3_N6thrust23THRUST_200600_302600_NS6detail15normal_iteratorINS9_10device_ptrIjEEEESE_j11max_functorIjEjEEDaPvRmT3_T4_T5_mT6_P12ihipStream_tbENKUlT_T0_E_clISt17integral_constantIbLb1EEST_IbLb0EEEEDaSP_SQ_EUlSP_E_NS1_11comp_targetILNS1_3genE4ELNS1_11target_archE910ELNS1_3gpuE8ELNS1_3repE0EEENS1_30default_config_static_selectorELNS0_4arch9wavefront6targetE1EEEvT1_.kd
    .uniform_work_group_size: 1
    .uses_dynamic_stack: false
    .vgpr_count:     41
    .vgpr_spill_count: 0
    .wavefront_size: 64
  - .agpr_count:     0
    .args:
      - .offset:         0
        .size:           96
        .value_kind:     by_value
    .group_segment_fixed_size: 0
    .kernarg_segment_align: 8
    .kernarg_segment_size: 96
    .language:       OpenCL C
    .language_version:
      - 2
      - 0
    .max_flat_workgroup_size: 256
    .name:           _ZN7rocprim17ROCPRIM_400000_NS6detail17trampoline_kernelINS0_14default_configENS1_20scan_config_selectorIjEEZZNS1_9scan_implILNS1_25lookback_scan_determinismE0ELb1ELb1ES3_N6thrust23THRUST_200600_302600_NS6detail15normal_iteratorINS9_10device_ptrIjEEEESE_j11max_functorIjEjEEDaPvRmT3_T4_T5_mT6_P12ihipStream_tbENKUlT_T0_E_clISt17integral_constantIbLb1EEST_IbLb0EEEEDaSP_SQ_EUlSP_E_NS1_11comp_targetILNS1_3genE3ELNS1_11target_archE908ELNS1_3gpuE7ELNS1_3repE0EEENS1_30default_config_static_selectorELNS0_4arch9wavefront6targetE1EEEvT1_
    .private_segment_fixed_size: 0
    .sgpr_count:     4
    .sgpr_spill_count: 0
    .symbol:         _ZN7rocprim17ROCPRIM_400000_NS6detail17trampoline_kernelINS0_14default_configENS1_20scan_config_selectorIjEEZZNS1_9scan_implILNS1_25lookback_scan_determinismE0ELb1ELb1ES3_N6thrust23THRUST_200600_302600_NS6detail15normal_iteratorINS9_10device_ptrIjEEEESE_j11max_functorIjEjEEDaPvRmT3_T4_T5_mT6_P12ihipStream_tbENKUlT_T0_E_clISt17integral_constantIbLb1EEST_IbLb0EEEEDaSP_SQ_EUlSP_E_NS1_11comp_targetILNS1_3genE3ELNS1_11target_archE908ELNS1_3gpuE7ELNS1_3repE0EEENS1_30default_config_static_selectorELNS0_4arch9wavefront6targetE1EEEvT1_.kd
    .uniform_work_group_size: 1
    .uses_dynamic_stack: false
    .vgpr_count:     0
    .vgpr_spill_count: 0
    .wavefront_size: 64
  - .agpr_count:     0
    .args:
      - .offset:         0
        .size:           96
        .value_kind:     by_value
    .group_segment_fixed_size: 0
    .kernarg_segment_align: 8
    .kernarg_segment_size: 96
    .language:       OpenCL C
    .language_version:
      - 2
      - 0
    .max_flat_workgroup_size: 256
    .name:           _ZN7rocprim17ROCPRIM_400000_NS6detail17trampoline_kernelINS0_14default_configENS1_20scan_config_selectorIjEEZZNS1_9scan_implILNS1_25lookback_scan_determinismE0ELb1ELb1ES3_N6thrust23THRUST_200600_302600_NS6detail15normal_iteratorINS9_10device_ptrIjEEEESE_j11max_functorIjEjEEDaPvRmT3_T4_T5_mT6_P12ihipStream_tbENKUlT_T0_E_clISt17integral_constantIbLb1EEST_IbLb0EEEEDaSP_SQ_EUlSP_E_NS1_11comp_targetILNS1_3genE2ELNS1_11target_archE906ELNS1_3gpuE6ELNS1_3repE0EEENS1_30default_config_static_selectorELNS0_4arch9wavefront6targetE1EEEvT1_
    .private_segment_fixed_size: 0
    .sgpr_count:     4
    .sgpr_spill_count: 0
    .symbol:         _ZN7rocprim17ROCPRIM_400000_NS6detail17trampoline_kernelINS0_14default_configENS1_20scan_config_selectorIjEEZZNS1_9scan_implILNS1_25lookback_scan_determinismE0ELb1ELb1ES3_N6thrust23THRUST_200600_302600_NS6detail15normal_iteratorINS9_10device_ptrIjEEEESE_j11max_functorIjEjEEDaPvRmT3_T4_T5_mT6_P12ihipStream_tbENKUlT_T0_E_clISt17integral_constantIbLb1EEST_IbLb0EEEEDaSP_SQ_EUlSP_E_NS1_11comp_targetILNS1_3genE2ELNS1_11target_archE906ELNS1_3gpuE6ELNS1_3repE0EEENS1_30default_config_static_selectorELNS0_4arch9wavefront6targetE1EEEvT1_.kd
    .uniform_work_group_size: 1
    .uses_dynamic_stack: false
    .vgpr_count:     0
    .vgpr_spill_count: 0
    .wavefront_size: 64
  - .agpr_count:     0
    .args:
      - .offset:         0
        .size:           96
        .value_kind:     by_value
    .group_segment_fixed_size: 0
    .kernarg_segment_align: 8
    .kernarg_segment_size: 96
    .language:       OpenCL C
    .language_version:
      - 2
      - 0
    .max_flat_workgroup_size: 256
    .name:           _ZN7rocprim17ROCPRIM_400000_NS6detail17trampoline_kernelINS0_14default_configENS1_20scan_config_selectorIjEEZZNS1_9scan_implILNS1_25lookback_scan_determinismE0ELb1ELb1ES3_N6thrust23THRUST_200600_302600_NS6detail15normal_iteratorINS9_10device_ptrIjEEEESE_j11max_functorIjEjEEDaPvRmT3_T4_T5_mT6_P12ihipStream_tbENKUlT_T0_E_clISt17integral_constantIbLb1EEST_IbLb0EEEEDaSP_SQ_EUlSP_E_NS1_11comp_targetILNS1_3genE10ELNS1_11target_archE1201ELNS1_3gpuE5ELNS1_3repE0EEENS1_30default_config_static_selectorELNS0_4arch9wavefront6targetE1EEEvT1_
    .private_segment_fixed_size: 0
    .sgpr_count:     4
    .sgpr_spill_count: 0
    .symbol:         _ZN7rocprim17ROCPRIM_400000_NS6detail17trampoline_kernelINS0_14default_configENS1_20scan_config_selectorIjEEZZNS1_9scan_implILNS1_25lookback_scan_determinismE0ELb1ELb1ES3_N6thrust23THRUST_200600_302600_NS6detail15normal_iteratorINS9_10device_ptrIjEEEESE_j11max_functorIjEjEEDaPvRmT3_T4_T5_mT6_P12ihipStream_tbENKUlT_T0_E_clISt17integral_constantIbLb1EEST_IbLb0EEEEDaSP_SQ_EUlSP_E_NS1_11comp_targetILNS1_3genE10ELNS1_11target_archE1201ELNS1_3gpuE5ELNS1_3repE0EEENS1_30default_config_static_selectorELNS0_4arch9wavefront6targetE1EEEvT1_.kd
    .uniform_work_group_size: 1
    .uses_dynamic_stack: false
    .vgpr_count:     0
    .vgpr_spill_count: 0
    .wavefront_size: 64
  - .agpr_count:     0
    .args:
      - .offset:         0
        .size:           96
        .value_kind:     by_value
    .group_segment_fixed_size: 0
    .kernarg_segment_align: 8
    .kernarg_segment_size: 96
    .language:       OpenCL C
    .language_version:
      - 2
      - 0
    .max_flat_workgroup_size: 256
    .name:           _ZN7rocprim17ROCPRIM_400000_NS6detail17trampoline_kernelINS0_14default_configENS1_20scan_config_selectorIjEEZZNS1_9scan_implILNS1_25lookback_scan_determinismE0ELb1ELb1ES3_N6thrust23THRUST_200600_302600_NS6detail15normal_iteratorINS9_10device_ptrIjEEEESE_j11max_functorIjEjEEDaPvRmT3_T4_T5_mT6_P12ihipStream_tbENKUlT_T0_E_clISt17integral_constantIbLb1EEST_IbLb0EEEEDaSP_SQ_EUlSP_E_NS1_11comp_targetILNS1_3genE10ELNS1_11target_archE1200ELNS1_3gpuE4ELNS1_3repE0EEENS1_30default_config_static_selectorELNS0_4arch9wavefront6targetE1EEEvT1_
    .private_segment_fixed_size: 0
    .sgpr_count:     4
    .sgpr_spill_count: 0
    .symbol:         _ZN7rocprim17ROCPRIM_400000_NS6detail17trampoline_kernelINS0_14default_configENS1_20scan_config_selectorIjEEZZNS1_9scan_implILNS1_25lookback_scan_determinismE0ELb1ELb1ES3_N6thrust23THRUST_200600_302600_NS6detail15normal_iteratorINS9_10device_ptrIjEEEESE_j11max_functorIjEjEEDaPvRmT3_T4_T5_mT6_P12ihipStream_tbENKUlT_T0_E_clISt17integral_constantIbLb1EEST_IbLb0EEEEDaSP_SQ_EUlSP_E_NS1_11comp_targetILNS1_3genE10ELNS1_11target_archE1200ELNS1_3gpuE4ELNS1_3repE0EEENS1_30default_config_static_selectorELNS0_4arch9wavefront6targetE1EEEvT1_.kd
    .uniform_work_group_size: 1
    .uses_dynamic_stack: false
    .vgpr_count:     0
    .vgpr_spill_count: 0
    .wavefront_size: 64
  - .agpr_count:     0
    .args:
      - .offset:         0
        .size:           96
        .value_kind:     by_value
    .group_segment_fixed_size: 0
    .kernarg_segment_align: 8
    .kernarg_segment_size: 96
    .language:       OpenCL C
    .language_version:
      - 2
      - 0
    .max_flat_workgroup_size: 256
    .name:           _ZN7rocprim17ROCPRIM_400000_NS6detail17trampoline_kernelINS0_14default_configENS1_20scan_config_selectorIjEEZZNS1_9scan_implILNS1_25lookback_scan_determinismE0ELb1ELb1ES3_N6thrust23THRUST_200600_302600_NS6detail15normal_iteratorINS9_10device_ptrIjEEEESE_j11max_functorIjEjEEDaPvRmT3_T4_T5_mT6_P12ihipStream_tbENKUlT_T0_E_clISt17integral_constantIbLb1EEST_IbLb0EEEEDaSP_SQ_EUlSP_E_NS1_11comp_targetILNS1_3genE9ELNS1_11target_archE1100ELNS1_3gpuE3ELNS1_3repE0EEENS1_30default_config_static_selectorELNS0_4arch9wavefront6targetE1EEEvT1_
    .private_segment_fixed_size: 0
    .sgpr_count:     4
    .sgpr_spill_count: 0
    .symbol:         _ZN7rocprim17ROCPRIM_400000_NS6detail17trampoline_kernelINS0_14default_configENS1_20scan_config_selectorIjEEZZNS1_9scan_implILNS1_25lookback_scan_determinismE0ELb1ELb1ES3_N6thrust23THRUST_200600_302600_NS6detail15normal_iteratorINS9_10device_ptrIjEEEESE_j11max_functorIjEjEEDaPvRmT3_T4_T5_mT6_P12ihipStream_tbENKUlT_T0_E_clISt17integral_constantIbLb1EEST_IbLb0EEEEDaSP_SQ_EUlSP_E_NS1_11comp_targetILNS1_3genE9ELNS1_11target_archE1100ELNS1_3gpuE3ELNS1_3repE0EEENS1_30default_config_static_selectorELNS0_4arch9wavefront6targetE1EEEvT1_.kd
    .uniform_work_group_size: 1
    .uses_dynamic_stack: false
    .vgpr_count:     0
    .vgpr_spill_count: 0
    .wavefront_size: 64
  - .agpr_count:     0
    .args:
      - .offset:         0
        .size:           96
        .value_kind:     by_value
    .group_segment_fixed_size: 0
    .kernarg_segment_align: 8
    .kernarg_segment_size: 96
    .language:       OpenCL C
    .language_version:
      - 2
      - 0
    .max_flat_workgroup_size: 64
    .name:           _ZN7rocprim17ROCPRIM_400000_NS6detail17trampoline_kernelINS0_14default_configENS1_20scan_config_selectorIjEEZZNS1_9scan_implILNS1_25lookback_scan_determinismE0ELb1ELb1ES3_N6thrust23THRUST_200600_302600_NS6detail15normal_iteratorINS9_10device_ptrIjEEEESE_j11max_functorIjEjEEDaPvRmT3_T4_T5_mT6_P12ihipStream_tbENKUlT_T0_E_clISt17integral_constantIbLb1EEST_IbLb0EEEEDaSP_SQ_EUlSP_E_NS1_11comp_targetILNS1_3genE8ELNS1_11target_archE1030ELNS1_3gpuE2ELNS1_3repE0EEENS1_30default_config_static_selectorELNS0_4arch9wavefront6targetE1EEEvT1_
    .private_segment_fixed_size: 0
    .sgpr_count:     4
    .sgpr_spill_count: 0
    .symbol:         _ZN7rocprim17ROCPRIM_400000_NS6detail17trampoline_kernelINS0_14default_configENS1_20scan_config_selectorIjEEZZNS1_9scan_implILNS1_25lookback_scan_determinismE0ELb1ELb1ES3_N6thrust23THRUST_200600_302600_NS6detail15normal_iteratorINS9_10device_ptrIjEEEESE_j11max_functorIjEjEEDaPvRmT3_T4_T5_mT6_P12ihipStream_tbENKUlT_T0_E_clISt17integral_constantIbLb1EEST_IbLb0EEEEDaSP_SQ_EUlSP_E_NS1_11comp_targetILNS1_3genE8ELNS1_11target_archE1030ELNS1_3gpuE2ELNS1_3repE0EEENS1_30default_config_static_selectorELNS0_4arch9wavefront6targetE1EEEvT1_.kd
    .uniform_work_group_size: 1
    .uses_dynamic_stack: false
    .vgpr_count:     0
    .vgpr_spill_count: 0
    .wavefront_size: 64
  - .agpr_count:     0
    .args:
      - .offset:         0
        .size:           32
        .value_kind:     by_value
    .group_segment_fixed_size: 0
    .kernarg_segment_align: 8
    .kernarg_segment_size: 32
    .language:       OpenCL C
    .language_version:
      - 2
      - 0
    .max_flat_workgroup_size: 256
    .name:           _ZN7rocprim17ROCPRIM_400000_NS6detail17trampoline_kernelINS0_14default_configENS1_20scan_config_selectorIjEEZZNS1_9scan_implILNS1_25lookback_scan_determinismE0ELb1ELb1ES3_N6thrust23THRUST_200600_302600_NS6detail15normal_iteratorINS9_10device_ptrIjEEEESE_j11max_functorIjEjEEDaPvRmT3_T4_T5_mT6_P12ihipStream_tbENKUlT_T0_E_clISt17integral_constantIbLb1EEST_IbLb0EEEEDaSP_SQ_EUlSP_E0_NS1_11comp_targetILNS1_3genE0ELNS1_11target_archE4294967295ELNS1_3gpuE0ELNS1_3repE0EEENS1_30default_config_static_selectorELNS0_4arch9wavefront6targetE1EEEvT1_
    .private_segment_fixed_size: 0
    .sgpr_count:     4
    .sgpr_spill_count: 0
    .symbol:         _ZN7rocprim17ROCPRIM_400000_NS6detail17trampoline_kernelINS0_14default_configENS1_20scan_config_selectorIjEEZZNS1_9scan_implILNS1_25lookback_scan_determinismE0ELb1ELb1ES3_N6thrust23THRUST_200600_302600_NS6detail15normal_iteratorINS9_10device_ptrIjEEEESE_j11max_functorIjEjEEDaPvRmT3_T4_T5_mT6_P12ihipStream_tbENKUlT_T0_E_clISt17integral_constantIbLb1EEST_IbLb0EEEEDaSP_SQ_EUlSP_E0_NS1_11comp_targetILNS1_3genE0ELNS1_11target_archE4294967295ELNS1_3gpuE0ELNS1_3repE0EEENS1_30default_config_static_selectorELNS0_4arch9wavefront6targetE1EEEvT1_.kd
    .uniform_work_group_size: 1
    .uses_dynamic_stack: false
    .vgpr_count:     0
    .vgpr_spill_count: 0
    .wavefront_size: 64
  - .agpr_count:     0
    .args:
      - .offset:         0
        .size:           32
        .value_kind:     by_value
    .group_segment_fixed_size: 0
    .kernarg_segment_align: 8
    .kernarg_segment_size: 32
    .language:       OpenCL C
    .language_version:
      - 2
      - 0
    .max_flat_workgroup_size: 256
    .name:           _ZN7rocprim17ROCPRIM_400000_NS6detail17trampoline_kernelINS0_14default_configENS1_20scan_config_selectorIjEEZZNS1_9scan_implILNS1_25lookback_scan_determinismE0ELb1ELb1ES3_N6thrust23THRUST_200600_302600_NS6detail15normal_iteratorINS9_10device_ptrIjEEEESE_j11max_functorIjEjEEDaPvRmT3_T4_T5_mT6_P12ihipStream_tbENKUlT_T0_E_clISt17integral_constantIbLb1EEST_IbLb0EEEEDaSP_SQ_EUlSP_E0_NS1_11comp_targetILNS1_3genE5ELNS1_11target_archE942ELNS1_3gpuE9ELNS1_3repE0EEENS1_30default_config_static_selectorELNS0_4arch9wavefront6targetE1EEEvT1_
    .private_segment_fixed_size: 0
    .sgpr_count:     4
    .sgpr_spill_count: 0
    .symbol:         _ZN7rocprim17ROCPRIM_400000_NS6detail17trampoline_kernelINS0_14default_configENS1_20scan_config_selectorIjEEZZNS1_9scan_implILNS1_25lookback_scan_determinismE0ELb1ELb1ES3_N6thrust23THRUST_200600_302600_NS6detail15normal_iteratorINS9_10device_ptrIjEEEESE_j11max_functorIjEjEEDaPvRmT3_T4_T5_mT6_P12ihipStream_tbENKUlT_T0_E_clISt17integral_constantIbLb1EEST_IbLb0EEEEDaSP_SQ_EUlSP_E0_NS1_11comp_targetILNS1_3genE5ELNS1_11target_archE942ELNS1_3gpuE9ELNS1_3repE0EEENS1_30default_config_static_selectorELNS0_4arch9wavefront6targetE1EEEvT1_.kd
    .uniform_work_group_size: 1
    .uses_dynamic_stack: false
    .vgpr_count:     0
    .vgpr_spill_count: 0
    .wavefront_size: 64
  - .agpr_count:     0
    .args:
      - .offset:         0
        .size:           32
        .value_kind:     by_value
    .group_segment_fixed_size: 5120
    .kernarg_segment_align: 8
    .kernarg_segment_size: 32
    .language:       OpenCL C
    .language_version:
      - 2
      - 0
    .max_flat_workgroup_size: 128
    .name:           _ZN7rocprim17ROCPRIM_400000_NS6detail17trampoline_kernelINS0_14default_configENS1_20scan_config_selectorIjEEZZNS1_9scan_implILNS1_25lookback_scan_determinismE0ELb1ELb1ES3_N6thrust23THRUST_200600_302600_NS6detail15normal_iteratorINS9_10device_ptrIjEEEESE_j11max_functorIjEjEEDaPvRmT3_T4_T5_mT6_P12ihipStream_tbENKUlT_T0_E_clISt17integral_constantIbLb1EEST_IbLb0EEEEDaSP_SQ_EUlSP_E0_NS1_11comp_targetILNS1_3genE4ELNS1_11target_archE910ELNS1_3gpuE8ELNS1_3repE0EEENS1_30default_config_static_selectorELNS0_4arch9wavefront6targetE1EEEvT1_
    .private_segment_fixed_size: 0
    .sgpr_count:     29
    .sgpr_spill_count: 0
    .symbol:         _ZN7rocprim17ROCPRIM_400000_NS6detail17trampoline_kernelINS0_14default_configENS1_20scan_config_selectorIjEEZZNS1_9scan_implILNS1_25lookback_scan_determinismE0ELb1ELb1ES3_N6thrust23THRUST_200600_302600_NS6detail15normal_iteratorINS9_10device_ptrIjEEEESE_j11max_functorIjEjEEDaPvRmT3_T4_T5_mT6_P12ihipStream_tbENKUlT_T0_E_clISt17integral_constantIbLb1EEST_IbLb0EEEEDaSP_SQ_EUlSP_E0_NS1_11comp_targetILNS1_3genE4ELNS1_11target_archE910ELNS1_3gpuE8ELNS1_3repE0EEENS1_30default_config_static_selectorELNS0_4arch9wavefront6targetE1EEEvT1_.kd
    .uniform_work_group_size: 1
    .uses_dynamic_stack: false
    .vgpr_count:     19
    .vgpr_spill_count: 0
    .wavefront_size: 64
  - .agpr_count:     0
    .args:
      - .offset:         0
        .size:           32
        .value_kind:     by_value
    .group_segment_fixed_size: 0
    .kernarg_segment_align: 8
    .kernarg_segment_size: 32
    .language:       OpenCL C
    .language_version:
      - 2
      - 0
    .max_flat_workgroup_size: 256
    .name:           _ZN7rocprim17ROCPRIM_400000_NS6detail17trampoline_kernelINS0_14default_configENS1_20scan_config_selectorIjEEZZNS1_9scan_implILNS1_25lookback_scan_determinismE0ELb1ELb1ES3_N6thrust23THRUST_200600_302600_NS6detail15normal_iteratorINS9_10device_ptrIjEEEESE_j11max_functorIjEjEEDaPvRmT3_T4_T5_mT6_P12ihipStream_tbENKUlT_T0_E_clISt17integral_constantIbLb1EEST_IbLb0EEEEDaSP_SQ_EUlSP_E0_NS1_11comp_targetILNS1_3genE3ELNS1_11target_archE908ELNS1_3gpuE7ELNS1_3repE0EEENS1_30default_config_static_selectorELNS0_4arch9wavefront6targetE1EEEvT1_
    .private_segment_fixed_size: 0
    .sgpr_count:     4
    .sgpr_spill_count: 0
    .symbol:         _ZN7rocprim17ROCPRIM_400000_NS6detail17trampoline_kernelINS0_14default_configENS1_20scan_config_selectorIjEEZZNS1_9scan_implILNS1_25lookback_scan_determinismE0ELb1ELb1ES3_N6thrust23THRUST_200600_302600_NS6detail15normal_iteratorINS9_10device_ptrIjEEEESE_j11max_functorIjEjEEDaPvRmT3_T4_T5_mT6_P12ihipStream_tbENKUlT_T0_E_clISt17integral_constantIbLb1EEST_IbLb0EEEEDaSP_SQ_EUlSP_E0_NS1_11comp_targetILNS1_3genE3ELNS1_11target_archE908ELNS1_3gpuE7ELNS1_3repE0EEENS1_30default_config_static_selectorELNS0_4arch9wavefront6targetE1EEEvT1_.kd
    .uniform_work_group_size: 1
    .uses_dynamic_stack: false
    .vgpr_count:     0
    .vgpr_spill_count: 0
    .wavefront_size: 64
  - .agpr_count:     0
    .args:
      - .offset:         0
        .size:           32
        .value_kind:     by_value
    .group_segment_fixed_size: 0
    .kernarg_segment_align: 8
    .kernarg_segment_size: 32
    .language:       OpenCL C
    .language_version:
      - 2
      - 0
    .max_flat_workgroup_size: 256
    .name:           _ZN7rocprim17ROCPRIM_400000_NS6detail17trampoline_kernelINS0_14default_configENS1_20scan_config_selectorIjEEZZNS1_9scan_implILNS1_25lookback_scan_determinismE0ELb1ELb1ES3_N6thrust23THRUST_200600_302600_NS6detail15normal_iteratorINS9_10device_ptrIjEEEESE_j11max_functorIjEjEEDaPvRmT3_T4_T5_mT6_P12ihipStream_tbENKUlT_T0_E_clISt17integral_constantIbLb1EEST_IbLb0EEEEDaSP_SQ_EUlSP_E0_NS1_11comp_targetILNS1_3genE2ELNS1_11target_archE906ELNS1_3gpuE6ELNS1_3repE0EEENS1_30default_config_static_selectorELNS0_4arch9wavefront6targetE1EEEvT1_
    .private_segment_fixed_size: 0
    .sgpr_count:     4
    .sgpr_spill_count: 0
    .symbol:         _ZN7rocprim17ROCPRIM_400000_NS6detail17trampoline_kernelINS0_14default_configENS1_20scan_config_selectorIjEEZZNS1_9scan_implILNS1_25lookback_scan_determinismE0ELb1ELb1ES3_N6thrust23THRUST_200600_302600_NS6detail15normal_iteratorINS9_10device_ptrIjEEEESE_j11max_functorIjEjEEDaPvRmT3_T4_T5_mT6_P12ihipStream_tbENKUlT_T0_E_clISt17integral_constantIbLb1EEST_IbLb0EEEEDaSP_SQ_EUlSP_E0_NS1_11comp_targetILNS1_3genE2ELNS1_11target_archE906ELNS1_3gpuE6ELNS1_3repE0EEENS1_30default_config_static_selectorELNS0_4arch9wavefront6targetE1EEEvT1_.kd
    .uniform_work_group_size: 1
    .uses_dynamic_stack: false
    .vgpr_count:     0
    .vgpr_spill_count: 0
    .wavefront_size: 64
  - .agpr_count:     0
    .args:
      - .offset:         0
        .size:           32
        .value_kind:     by_value
    .group_segment_fixed_size: 0
    .kernarg_segment_align: 8
    .kernarg_segment_size: 32
    .language:       OpenCL C
    .language_version:
      - 2
      - 0
    .max_flat_workgroup_size: 256
    .name:           _ZN7rocprim17ROCPRIM_400000_NS6detail17trampoline_kernelINS0_14default_configENS1_20scan_config_selectorIjEEZZNS1_9scan_implILNS1_25lookback_scan_determinismE0ELb1ELb1ES3_N6thrust23THRUST_200600_302600_NS6detail15normal_iteratorINS9_10device_ptrIjEEEESE_j11max_functorIjEjEEDaPvRmT3_T4_T5_mT6_P12ihipStream_tbENKUlT_T0_E_clISt17integral_constantIbLb1EEST_IbLb0EEEEDaSP_SQ_EUlSP_E0_NS1_11comp_targetILNS1_3genE10ELNS1_11target_archE1201ELNS1_3gpuE5ELNS1_3repE0EEENS1_30default_config_static_selectorELNS0_4arch9wavefront6targetE1EEEvT1_
    .private_segment_fixed_size: 0
    .sgpr_count:     4
    .sgpr_spill_count: 0
    .symbol:         _ZN7rocprim17ROCPRIM_400000_NS6detail17trampoline_kernelINS0_14default_configENS1_20scan_config_selectorIjEEZZNS1_9scan_implILNS1_25lookback_scan_determinismE0ELb1ELb1ES3_N6thrust23THRUST_200600_302600_NS6detail15normal_iteratorINS9_10device_ptrIjEEEESE_j11max_functorIjEjEEDaPvRmT3_T4_T5_mT6_P12ihipStream_tbENKUlT_T0_E_clISt17integral_constantIbLb1EEST_IbLb0EEEEDaSP_SQ_EUlSP_E0_NS1_11comp_targetILNS1_3genE10ELNS1_11target_archE1201ELNS1_3gpuE5ELNS1_3repE0EEENS1_30default_config_static_selectorELNS0_4arch9wavefront6targetE1EEEvT1_.kd
    .uniform_work_group_size: 1
    .uses_dynamic_stack: false
    .vgpr_count:     0
    .vgpr_spill_count: 0
    .wavefront_size: 64
  - .agpr_count:     0
    .args:
      - .offset:         0
        .size:           32
        .value_kind:     by_value
    .group_segment_fixed_size: 0
    .kernarg_segment_align: 8
    .kernarg_segment_size: 32
    .language:       OpenCL C
    .language_version:
      - 2
      - 0
    .max_flat_workgroup_size: 256
    .name:           _ZN7rocprim17ROCPRIM_400000_NS6detail17trampoline_kernelINS0_14default_configENS1_20scan_config_selectorIjEEZZNS1_9scan_implILNS1_25lookback_scan_determinismE0ELb1ELb1ES3_N6thrust23THRUST_200600_302600_NS6detail15normal_iteratorINS9_10device_ptrIjEEEESE_j11max_functorIjEjEEDaPvRmT3_T4_T5_mT6_P12ihipStream_tbENKUlT_T0_E_clISt17integral_constantIbLb1EEST_IbLb0EEEEDaSP_SQ_EUlSP_E0_NS1_11comp_targetILNS1_3genE10ELNS1_11target_archE1200ELNS1_3gpuE4ELNS1_3repE0EEENS1_30default_config_static_selectorELNS0_4arch9wavefront6targetE1EEEvT1_
    .private_segment_fixed_size: 0
    .sgpr_count:     4
    .sgpr_spill_count: 0
    .symbol:         _ZN7rocprim17ROCPRIM_400000_NS6detail17trampoline_kernelINS0_14default_configENS1_20scan_config_selectorIjEEZZNS1_9scan_implILNS1_25lookback_scan_determinismE0ELb1ELb1ES3_N6thrust23THRUST_200600_302600_NS6detail15normal_iteratorINS9_10device_ptrIjEEEESE_j11max_functorIjEjEEDaPvRmT3_T4_T5_mT6_P12ihipStream_tbENKUlT_T0_E_clISt17integral_constantIbLb1EEST_IbLb0EEEEDaSP_SQ_EUlSP_E0_NS1_11comp_targetILNS1_3genE10ELNS1_11target_archE1200ELNS1_3gpuE4ELNS1_3repE0EEENS1_30default_config_static_selectorELNS0_4arch9wavefront6targetE1EEEvT1_.kd
    .uniform_work_group_size: 1
    .uses_dynamic_stack: false
    .vgpr_count:     0
    .vgpr_spill_count: 0
    .wavefront_size: 64
  - .agpr_count:     0
    .args:
      - .offset:         0
        .size:           32
        .value_kind:     by_value
    .group_segment_fixed_size: 0
    .kernarg_segment_align: 8
    .kernarg_segment_size: 32
    .language:       OpenCL C
    .language_version:
      - 2
      - 0
    .max_flat_workgroup_size: 256
    .name:           _ZN7rocprim17ROCPRIM_400000_NS6detail17trampoline_kernelINS0_14default_configENS1_20scan_config_selectorIjEEZZNS1_9scan_implILNS1_25lookback_scan_determinismE0ELb1ELb1ES3_N6thrust23THRUST_200600_302600_NS6detail15normal_iteratorINS9_10device_ptrIjEEEESE_j11max_functorIjEjEEDaPvRmT3_T4_T5_mT6_P12ihipStream_tbENKUlT_T0_E_clISt17integral_constantIbLb1EEST_IbLb0EEEEDaSP_SQ_EUlSP_E0_NS1_11comp_targetILNS1_3genE9ELNS1_11target_archE1100ELNS1_3gpuE3ELNS1_3repE0EEENS1_30default_config_static_selectorELNS0_4arch9wavefront6targetE1EEEvT1_
    .private_segment_fixed_size: 0
    .sgpr_count:     4
    .sgpr_spill_count: 0
    .symbol:         _ZN7rocprim17ROCPRIM_400000_NS6detail17trampoline_kernelINS0_14default_configENS1_20scan_config_selectorIjEEZZNS1_9scan_implILNS1_25lookback_scan_determinismE0ELb1ELb1ES3_N6thrust23THRUST_200600_302600_NS6detail15normal_iteratorINS9_10device_ptrIjEEEESE_j11max_functorIjEjEEDaPvRmT3_T4_T5_mT6_P12ihipStream_tbENKUlT_T0_E_clISt17integral_constantIbLb1EEST_IbLb0EEEEDaSP_SQ_EUlSP_E0_NS1_11comp_targetILNS1_3genE9ELNS1_11target_archE1100ELNS1_3gpuE3ELNS1_3repE0EEENS1_30default_config_static_selectorELNS0_4arch9wavefront6targetE1EEEvT1_.kd
    .uniform_work_group_size: 1
    .uses_dynamic_stack: false
    .vgpr_count:     0
    .vgpr_spill_count: 0
    .wavefront_size: 64
  - .agpr_count:     0
    .args:
      - .offset:         0
        .size:           32
        .value_kind:     by_value
    .group_segment_fixed_size: 0
    .kernarg_segment_align: 8
    .kernarg_segment_size: 32
    .language:       OpenCL C
    .language_version:
      - 2
      - 0
    .max_flat_workgroup_size: 64
    .name:           _ZN7rocprim17ROCPRIM_400000_NS6detail17trampoline_kernelINS0_14default_configENS1_20scan_config_selectorIjEEZZNS1_9scan_implILNS1_25lookback_scan_determinismE0ELb1ELb1ES3_N6thrust23THRUST_200600_302600_NS6detail15normal_iteratorINS9_10device_ptrIjEEEESE_j11max_functorIjEjEEDaPvRmT3_T4_T5_mT6_P12ihipStream_tbENKUlT_T0_E_clISt17integral_constantIbLb1EEST_IbLb0EEEEDaSP_SQ_EUlSP_E0_NS1_11comp_targetILNS1_3genE8ELNS1_11target_archE1030ELNS1_3gpuE2ELNS1_3repE0EEENS1_30default_config_static_selectorELNS0_4arch9wavefront6targetE1EEEvT1_
    .private_segment_fixed_size: 0
    .sgpr_count:     4
    .sgpr_spill_count: 0
    .symbol:         _ZN7rocprim17ROCPRIM_400000_NS6detail17trampoline_kernelINS0_14default_configENS1_20scan_config_selectorIjEEZZNS1_9scan_implILNS1_25lookback_scan_determinismE0ELb1ELb1ES3_N6thrust23THRUST_200600_302600_NS6detail15normal_iteratorINS9_10device_ptrIjEEEESE_j11max_functorIjEjEEDaPvRmT3_T4_T5_mT6_P12ihipStream_tbENKUlT_T0_E_clISt17integral_constantIbLb1EEST_IbLb0EEEEDaSP_SQ_EUlSP_E0_NS1_11comp_targetILNS1_3genE8ELNS1_11target_archE1030ELNS1_3gpuE2ELNS1_3repE0EEENS1_30default_config_static_selectorELNS0_4arch9wavefront6targetE1EEEvT1_.kd
    .uniform_work_group_size: 1
    .uses_dynamic_stack: false
    .vgpr_count:     0
    .vgpr_spill_count: 0
    .wavefront_size: 64
  - .agpr_count:     0
    .args:
      - .offset:         0
        .size:           96
        .value_kind:     by_value
    .group_segment_fixed_size: 0
    .kernarg_segment_align: 8
    .kernarg_segment_size: 96
    .language:       OpenCL C
    .language_version:
      - 2
      - 0
    .max_flat_workgroup_size: 256
    .name:           _ZN7rocprim17ROCPRIM_400000_NS6detail17trampoline_kernelINS0_14default_configENS1_20scan_config_selectorIjEEZZNS1_9scan_implILNS1_25lookback_scan_determinismE0ELb1ELb1ES3_N6thrust23THRUST_200600_302600_NS6detail15normal_iteratorINS9_10device_ptrIjEEEESE_j11max_functorIjEjEEDaPvRmT3_T4_T5_mT6_P12ihipStream_tbENKUlT_T0_E_clISt17integral_constantIbLb0EEST_IbLb1EEEEDaSP_SQ_EUlSP_E_NS1_11comp_targetILNS1_3genE0ELNS1_11target_archE4294967295ELNS1_3gpuE0ELNS1_3repE0EEENS1_30default_config_static_selectorELNS0_4arch9wavefront6targetE1EEEvT1_
    .private_segment_fixed_size: 0
    .sgpr_count:     4
    .sgpr_spill_count: 0
    .symbol:         _ZN7rocprim17ROCPRIM_400000_NS6detail17trampoline_kernelINS0_14default_configENS1_20scan_config_selectorIjEEZZNS1_9scan_implILNS1_25lookback_scan_determinismE0ELb1ELb1ES3_N6thrust23THRUST_200600_302600_NS6detail15normal_iteratorINS9_10device_ptrIjEEEESE_j11max_functorIjEjEEDaPvRmT3_T4_T5_mT6_P12ihipStream_tbENKUlT_T0_E_clISt17integral_constantIbLb0EEST_IbLb1EEEEDaSP_SQ_EUlSP_E_NS1_11comp_targetILNS1_3genE0ELNS1_11target_archE4294967295ELNS1_3gpuE0ELNS1_3repE0EEENS1_30default_config_static_selectorELNS0_4arch9wavefront6targetE1EEEvT1_.kd
    .uniform_work_group_size: 1
    .uses_dynamic_stack: false
    .vgpr_count:     0
    .vgpr_spill_count: 0
    .wavefront_size: 64
  - .agpr_count:     0
    .args:
      - .offset:         0
        .size:           96
        .value_kind:     by_value
    .group_segment_fixed_size: 0
    .kernarg_segment_align: 8
    .kernarg_segment_size: 96
    .language:       OpenCL C
    .language_version:
      - 2
      - 0
    .max_flat_workgroup_size: 256
    .name:           _ZN7rocprim17ROCPRIM_400000_NS6detail17trampoline_kernelINS0_14default_configENS1_20scan_config_selectorIjEEZZNS1_9scan_implILNS1_25lookback_scan_determinismE0ELb1ELb1ES3_N6thrust23THRUST_200600_302600_NS6detail15normal_iteratorINS9_10device_ptrIjEEEESE_j11max_functorIjEjEEDaPvRmT3_T4_T5_mT6_P12ihipStream_tbENKUlT_T0_E_clISt17integral_constantIbLb0EEST_IbLb1EEEEDaSP_SQ_EUlSP_E_NS1_11comp_targetILNS1_3genE5ELNS1_11target_archE942ELNS1_3gpuE9ELNS1_3repE0EEENS1_30default_config_static_selectorELNS0_4arch9wavefront6targetE1EEEvT1_
    .private_segment_fixed_size: 0
    .sgpr_count:     4
    .sgpr_spill_count: 0
    .symbol:         _ZN7rocprim17ROCPRIM_400000_NS6detail17trampoline_kernelINS0_14default_configENS1_20scan_config_selectorIjEEZZNS1_9scan_implILNS1_25lookback_scan_determinismE0ELb1ELb1ES3_N6thrust23THRUST_200600_302600_NS6detail15normal_iteratorINS9_10device_ptrIjEEEESE_j11max_functorIjEjEEDaPvRmT3_T4_T5_mT6_P12ihipStream_tbENKUlT_T0_E_clISt17integral_constantIbLb0EEST_IbLb1EEEEDaSP_SQ_EUlSP_E_NS1_11comp_targetILNS1_3genE5ELNS1_11target_archE942ELNS1_3gpuE9ELNS1_3repE0EEENS1_30default_config_static_selectorELNS0_4arch9wavefront6targetE1EEEvT1_.kd
    .uniform_work_group_size: 1
    .uses_dynamic_stack: false
    .vgpr_count:     0
    .vgpr_spill_count: 0
    .wavefront_size: 64
  - .agpr_count:     0
    .args:
      - .offset:         0
        .size:           96
        .value_kind:     by_value
    .group_segment_fixed_size: 5120
    .kernarg_segment_align: 8
    .kernarg_segment_size: 96
    .language:       OpenCL C
    .language_version:
      - 2
      - 0
    .max_flat_workgroup_size: 128
    .name:           _ZN7rocprim17ROCPRIM_400000_NS6detail17trampoline_kernelINS0_14default_configENS1_20scan_config_selectorIjEEZZNS1_9scan_implILNS1_25lookback_scan_determinismE0ELb1ELb1ES3_N6thrust23THRUST_200600_302600_NS6detail15normal_iteratorINS9_10device_ptrIjEEEESE_j11max_functorIjEjEEDaPvRmT3_T4_T5_mT6_P12ihipStream_tbENKUlT_T0_E_clISt17integral_constantIbLb0EEST_IbLb1EEEEDaSP_SQ_EUlSP_E_NS1_11comp_targetILNS1_3genE4ELNS1_11target_archE910ELNS1_3gpuE8ELNS1_3repE0EEENS1_30default_config_static_selectorELNS0_4arch9wavefront6targetE1EEEvT1_
    .private_segment_fixed_size: 0
    .sgpr_count:     44
    .sgpr_spill_count: 0
    .symbol:         _ZN7rocprim17ROCPRIM_400000_NS6detail17trampoline_kernelINS0_14default_configENS1_20scan_config_selectorIjEEZZNS1_9scan_implILNS1_25lookback_scan_determinismE0ELb1ELb1ES3_N6thrust23THRUST_200600_302600_NS6detail15normal_iteratorINS9_10device_ptrIjEEEESE_j11max_functorIjEjEEDaPvRmT3_T4_T5_mT6_P12ihipStream_tbENKUlT_T0_E_clISt17integral_constantIbLb0EEST_IbLb1EEEEDaSP_SQ_EUlSP_E_NS1_11comp_targetILNS1_3genE4ELNS1_11target_archE910ELNS1_3gpuE8ELNS1_3repE0EEENS1_30default_config_static_selectorELNS0_4arch9wavefront6targetE1EEEvT1_.kd
    .uniform_work_group_size: 1
    .uses_dynamic_stack: false
    .vgpr_count:     41
    .vgpr_spill_count: 0
    .wavefront_size: 64
  - .agpr_count:     0
    .args:
      - .offset:         0
        .size:           96
        .value_kind:     by_value
    .group_segment_fixed_size: 0
    .kernarg_segment_align: 8
    .kernarg_segment_size: 96
    .language:       OpenCL C
    .language_version:
      - 2
      - 0
    .max_flat_workgroup_size: 256
    .name:           _ZN7rocprim17ROCPRIM_400000_NS6detail17trampoline_kernelINS0_14default_configENS1_20scan_config_selectorIjEEZZNS1_9scan_implILNS1_25lookback_scan_determinismE0ELb1ELb1ES3_N6thrust23THRUST_200600_302600_NS6detail15normal_iteratorINS9_10device_ptrIjEEEESE_j11max_functorIjEjEEDaPvRmT3_T4_T5_mT6_P12ihipStream_tbENKUlT_T0_E_clISt17integral_constantIbLb0EEST_IbLb1EEEEDaSP_SQ_EUlSP_E_NS1_11comp_targetILNS1_3genE3ELNS1_11target_archE908ELNS1_3gpuE7ELNS1_3repE0EEENS1_30default_config_static_selectorELNS0_4arch9wavefront6targetE1EEEvT1_
    .private_segment_fixed_size: 0
    .sgpr_count:     4
    .sgpr_spill_count: 0
    .symbol:         _ZN7rocprim17ROCPRIM_400000_NS6detail17trampoline_kernelINS0_14default_configENS1_20scan_config_selectorIjEEZZNS1_9scan_implILNS1_25lookback_scan_determinismE0ELb1ELb1ES3_N6thrust23THRUST_200600_302600_NS6detail15normal_iteratorINS9_10device_ptrIjEEEESE_j11max_functorIjEjEEDaPvRmT3_T4_T5_mT6_P12ihipStream_tbENKUlT_T0_E_clISt17integral_constantIbLb0EEST_IbLb1EEEEDaSP_SQ_EUlSP_E_NS1_11comp_targetILNS1_3genE3ELNS1_11target_archE908ELNS1_3gpuE7ELNS1_3repE0EEENS1_30default_config_static_selectorELNS0_4arch9wavefront6targetE1EEEvT1_.kd
    .uniform_work_group_size: 1
    .uses_dynamic_stack: false
    .vgpr_count:     0
    .vgpr_spill_count: 0
    .wavefront_size: 64
  - .agpr_count:     0
    .args:
      - .offset:         0
        .size:           96
        .value_kind:     by_value
    .group_segment_fixed_size: 0
    .kernarg_segment_align: 8
    .kernarg_segment_size: 96
    .language:       OpenCL C
    .language_version:
      - 2
      - 0
    .max_flat_workgroup_size: 256
    .name:           _ZN7rocprim17ROCPRIM_400000_NS6detail17trampoline_kernelINS0_14default_configENS1_20scan_config_selectorIjEEZZNS1_9scan_implILNS1_25lookback_scan_determinismE0ELb1ELb1ES3_N6thrust23THRUST_200600_302600_NS6detail15normal_iteratorINS9_10device_ptrIjEEEESE_j11max_functorIjEjEEDaPvRmT3_T4_T5_mT6_P12ihipStream_tbENKUlT_T0_E_clISt17integral_constantIbLb0EEST_IbLb1EEEEDaSP_SQ_EUlSP_E_NS1_11comp_targetILNS1_3genE2ELNS1_11target_archE906ELNS1_3gpuE6ELNS1_3repE0EEENS1_30default_config_static_selectorELNS0_4arch9wavefront6targetE1EEEvT1_
    .private_segment_fixed_size: 0
    .sgpr_count:     4
    .sgpr_spill_count: 0
    .symbol:         _ZN7rocprim17ROCPRIM_400000_NS6detail17trampoline_kernelINS0_14default_configENS1_20scan_config_selectorIjEEZZNS1_9scan_implILNS1_25lookback_scan_determinismE0ELb1ELb1ES3_N6thrust23THRUST_200600_302600_NS6detail15normal_iteratorINS9_10device_ptrIjEEEESE_j11max_functorIjEjEEDaPvRmT3_T4_T5_mT6_P12ihipStream_tbENKUlT_T0_E_clISt17integral_constantIbLb0EEST_IbLb1EEEEDaSP_SQ_EUlSP_E_NS1_11comp_targetILNS1_3genE2ELNS1_11target_archE906ELNS1_3gpuE6ELNS1_3repE0EEENS1_30default_config_static_selectorELNS0_4arch9wavefront6targetE1EEEvT1_.kd
    .uniform_work_group_size: 1
    .uses_dynamic_stack: false
    .vgpr_count:     0
    .vgpr_spill_count: 0
    .wavefront_size: 64
  - .agpr_count:     0
    .args:
      - .offset:         0
        .size:           96
        .value_kind:     by_value
    .group_segment_fixed_size: 0
    .kernarg_segment_align: 8
    .kernarg_segment_size: 96
    .language:       OpenCL C
    .language_version:
      - 2
      - 0
    .max_flat_workgroup_size: 256
    .name:           _ZN7rocprim17ROCPRIM_400000_NS6detail17trampoline_kernelINS0_14default_configENS1_20scan_config_selectorIjEEZZNS1_9scan_implILNS1_25lookback_scan_determinismE0ELb1ELb1ES3_N6thrust23THRUST_200600_302600_NS6detail15normal_iteratorINS9_10device_ptrIjEEEESE_j11max_functorIjEjEEDaPvRmT3_T4_T5_mT6_P12ihipStream_tbENKUlT_T0_E_clISt17integral_constantIbLb0EEST_IbLb1EEEEDaSP_SQ_EUlSP_E_NS1_11comp_targetILNS1_3genE10ELNS1_11target_archE1201ELNS1_3gpuE5ELNS1_3repE0EEENS1_30default_config_static_selectorELNS0_4arch9wavefront6targetE1EEEvT1_
    .private_segment_fixed_size: 0
    .sgpr_count:     4
    .sgpr_spill_count: 0
    .symbol:         _ZN7rocprim17ROCPRIM_400000_NS6detail17trampoline_kernelINS0_14default_configENS1_20scan_config_selectorIjEEZZNS1_9scan_implILNS1_25lookback_scan_determinismE0ELb1ELb1ES3_N6thrust23THRUST_200600_302600_NS6detail15normal_iteratorINS9_10device_ptrIjEEEESE_j11max_functorIjEjEEDaPvRmT3_T4_T5_mT6_P12ihipStream_tbENKUlT_T0_E_clISt17integral_constantIbLb0EEST_IbLb1EEEEDaSP_SQ_EUlSP_E_NS1_11comp_targetILNS1_3genE10ELNS1_11target_archE1201ELNS1_3gpuE5ELNS1_3repE0EEENS1_30default_config_static_selectorELNS0_4arch9wavefront6targetE1EEEvT1_.kd
    .uniform_work_group_size: 1
    .uses_dynamic_stack: false
    .vgpr_count:     0
    .vgpr_spill_count: 0
    .wavefront_size: 64
  - .agpr_count:     0
    .args:
      - .offset:         0
        .size:           96
        .value_kind:     by_value
    .group_segment_fixed_size: 0
    .kernarg_segment_align: 8
    .kernarg_segment_size: 96
    .language:       OpenCL C
    .language_version:
      - 2
      - 0
    .max_flat_workgroup_size: 256
    .name:           _ZN7rocprim17ROCPRIM_400000_NS6detail17trampoline_kernelINS0_14default_configENS1_20scan_config_selectorIjEEZZNS1_9scan_implILNS1_25lookback_scan_determinismE0ELb1ELb1ES3_N6thrust23THRUST_200600_302600_NS6detail15normal_iteratorINS9_10device_ptrIjEEEESE_j11max_functorIjEjEEDaPvRmT3_T4_T5_mT6_P12ihipStream_tbENKUlT_T0_E_clISt17integral_constantIbLb0EEST_IbLb1EEEEDaSP_SQ_EUlSP_E_NS1_11comp_targetILNS1_3genE10ELNS1_11target_archE1200ELNS1_3gpuE4ELNS1_3repE0EEENS1_30default_config_static_selectorELNS0_4arch9wavefront6targetE1EEEvT1_
    .private_segment_fixed_size: 0
    .sgpr_count:     4
    .sgpr_spill_count: 0
    .symbol:         _ZN7rocprim17ROCPRIM_400000_NS6detail17trampoline_kernelINS0_14default_configENS1_20scan_config_selectorIjEEZZNS1_9scan_implILNS1_25lookback_scan_determinismE0ELb1ELb1ES3_N6thrust23THRUST_200600_302600_NS6detail15normal_iteratorINS9_10device_ptrIjEEEESE_j11max_functorIjEjEEDaPvRmT3_T4_T5_mT6_P12ihipStream_tbENKUlT_T0_E_clISt17integral_constantIbLb0EEST_IbLb1EEEEDaSP_SQ_EUlSP_E_NS1_11comp_targetILNS1_3genE10ELNS1_11target_archE1200ELNS1_3gpuE4ELNS1_3repE0EEENS1_30default_config_static_selectorELNS0_4arch9wavefront6targetE1EEEvT1_.kd
    .uniform_work_group_size: 1
    .uses_dynamic_stack: false
    .vgpr_count:     0
    .vgpr_spill_count: 0
    .wavefront_size: 64
  - .agpr_count:     0
    .args:
      - .offset:         0
        .size:           96
        .value_kind:     by_value
    .group_segment_fixed_size: 0
    .kernarg_segment_align: 8
    .kernarg_segment_size: 96
    .language:       OpenCL C
    .language_version:
      - 2
      - 0
    .max_flat_workgroup_size: 256
    .name:           _ZN7rocprim17ROCPRIM_400000_NS6detail17trampoline_kernelINS0_14default_configENS1_20scan_config_selectorIjEEZZNS1_9scan_implILNS1_25lookback_scan_determinismE0ELb1ELb1ES3_N6thrust23THRUST_200600_302600_NS6detail15normal_iteratorINS9_10device_ptrIjEEEESE_j11max_functorIjEjEEDaPvRmT3_T4_T5_mT6_P12ihipStream_tbENKUlT_T0_E_clISt17integral_constantIbLb0EEST_IbLb1EEEEDaSP_SQ_EUlSP_E_NS1_11comp_targetILNS1_3genE9ELNS1_11target_archE1100ELNS1_3gpuE3ELNS1_3repE0EEENS1_30default_config_static_selectorELNS0_4arch9wavefront6targetE1EEEvT1_
    .private_segment_fixed_size: 0
    .sgpr_count:     4
    .sgpr_spill_count: 0
    .symbol:         _ZN7rocprim17ROCPRIM_400000_NS6detail17trampoline_kernelINS0_14default_configENS1_20scan_config_selectorIjEEZZNS1_9scan_implILNS1_25lookback_scan_determinismE0ELb1ELb1ES3_N6thrust23THRUST_200600_302600_NS6detail15normal_iteratorINS9_10device_ptrIjEEEESE_j11max_functorIjEjEEDaPvRmT3_T4_T5_mT6_P12ihipStream_tbENKUlT_T0_E_clISt17integral_constantIbLb0EEST_IbLb1EEEEDaSP_SQ_EUlSP_E_NS1_11comp_targetILNS1_3genE9ELNS1_11target_archE1100ELNS1_3gpuE3ELNS1_3repE0EEENS1_30default_config_static_selectorELNS0_4arch9wavefront6targetE1EEEvT1_.kd
    .uniform_work_group_size: 1
    .uses_dynamic_stack: false
    .vgpr_count:     0
    .vgpr_spill_count: 0
    .wavefront_size: 64
  - .agpr_count:     0
    .args:
      - .offset:         0
        .size:           96
        .value_kind:     by_value
    .group_segment_fixed_size: 0
    .kernarg_segment_align: 8
    .kernarg_segment_size: 96
    .language:       OpenCL C
    .language_version:
      - 2
      - 0
    .max_flat_workgroup_size: 64
    .name:           _ZN7rocprim17ROCPRIM_400000_NS6detail17trampoline_kernelINS0_14default_configENS1_20scan_config_selectorIjEEZZNS1_9scan_implILNS1_25lookback_scan_determinismE0ELb1ELb1ES3_N6thrust23THRUST_200600_302600_NS6detail15normal_iteratorINS9_10device_ptrIjEEEESE_j11max_functorIjEjEEDaPvRmT3_T4_T5_mT6_P12ihipStream_tbENKUlT_T0_E_clISt17integral_constantIbLb0EEST_IbLb1EEEEDaSP_SQ_EUlSP_E_NS1_11comp_targetILNS1_3genE8ELNS1_11target_archE1030ELNS1_3gpuE2ELNS1_3repE0EEENS1_30default_config_static_selectorELNS0_4arch9wavefront6targetE1EEEvT1_
    .private_segment_fixed_size: 0
    .sgpr_count:     4
    .sgpr_spill_count: 0
    .symbol:         _ZN7rocprim17ROCPRIM_400000_NS6detail17trampoline_kernelINS0_14default_configENS1_20scan_config_selectorIjEEZZNS1_9scan_implILNS1_25lookback_scan_determinismE0ELb1ELb1ES3_N6thrust23THRUST_200600_302600_NS6detail15normal_iteratorINS9_10device_ptrIjEEEESE_j11max_functorIjEjEEDaPvRmT3_T4_T5_mT6_P12ihipStream_tbENKUlT_T0_E_clISt17integral_constantIbLb0EEST_IbLb1EEEEDaSP_SQ_EUlSP_E_NS1_11comp_targetILNS1_3genE8ELNS1_11target_archE1030ELNS1_3gpuE2ELNS1_3repE0EEENS1_30default_config_static_selectorELNS0_4arch9wavefront6targetE1EEEvT1_.kd
    .uniform_work_group_size: 1
    .uses_dynamic_stack: false
    .vgpr_count:     0
    .vgpr_spill_count: 0
    .wavefront_size: 64
  - .agpr_count:     0
    .args:
      - .offset:         0
        .size:           32
        .value_kind:     by_value
    .group_segment_fixed_size: 0
    .kernarg_segment_align: 8
    .kernarg_segment_size: 32
    .language:       OpenCL C
    .language_version:
      - 2
      - 0
    .max_flat_workgroup_size: 256
    .name:           _ZN7rocprim17ROCPRIM_400000_NS6detail17trampoline_kernelINS0_14default_configENS1_20scan_config_selectorIjEEZZNS1_9scan_implILNS1_25lookback_scan_determinismE0ELb1ELb1ES3_N6thrust23THRUST_200600_302600_NS6detail15normal_iteratorINS9_10device_ptrIjEEEESE_j11max_functorIjEjEEDaPvRmT3_T4_T5_mT6_P12ihipStream_tbENKUlT_T0_E_clISt17integral_constantIbLb0EEST_IbLb1EEEEDaSP_SQ_EUlSP_E0_NS1_11comp_targetILNS1_3genE0ELNS1_11target_archE4294967295ELNS1_3gpuE0ELNS1_3repE0EEENS1_30default_config_static_selectorELNS0_4arch9wavefront6targetE1EEEvT1_
    .private_segment_fixed_size: 0
    .sgpr_count:     4
    .sgpr_spill_count: 0
    .symbol:         _ZN7rocprim17ROCPRIM_400000_NS6detail17trampoline_kernelINS0_14default_configENS1_20scan_config_selectorIjEEZZNS1_9scan_implILNS1_25lookback_scan_determinismE0ELb1ELb1ES3_N6thrust23THRUST_200600_302600_NS6detail15normal_iteratorINS9_10device_ptrIjEEEESE_j11max_functorIjEjEEDaPvRmT3_T4_T5_mT6_P12ihipStream_tbENKUlT_T0_E_clISt17integral_constantIbLb0EEST_IbLb1EEEEDaSP_SQ_EUlSP_E0_NS1_11comp_targetILNS1_3genE0ELNS1_11target_archE4294967295ELNS1_3gpuE0ELNS1_3repE0EEENS1_30default_config_static_selectorELNS0_4arch9wavefront6targetE1EEEvT1_.kd
    .uniform_work_group_size: 1
    .uses_dynamic_stack: false
    .vgpr_count:     0
    .vgpr_spill_count: 0
    .wavefront_size: 64
  - .agpr_count:     0
    .args:
      - .offset:         0
        .size:           32
        .value_kind:     by_value
    .group_segment_fixed_size: 0
    .kernarg_segment_align: 8
    .kernarg_segment_size: 32
    .language:       OpenCL C
    .language_version:
      - 2
      - 0
    .max_flat_workgroup_size: 256
    .name:           _ZN7rocprim17ROCPRIM_400000_NS6detail17trampoline_kernelINS0_14default_configENS1_20scan_config_selectorIjEEZZNS1_9scan_implILNS1_25lookback_scan_determinismE0ELb1ELb1ES3_N6thrust23THRUST_200600_302600_NS6detail15normal_iteratorINS9_10device_ptrIjEEEESE_j11max_functorIjEjEEDaPvRmT3_T4_T5_mT6_P12ihipStream_tbENKUlT_T0_E_clISt17integral_constantIbLb0EEST_IbLb1EEEEDaSP_SQ_EUlSP_E0_NS1_11comp_targetILNS1_3genE5ELNS1_11target_archE942ELNS1_3gpuE9ELNS1_3repE0EEENS1_30default_config_static_selectorELNS0_4arch9wavefront6targetE1EEEvT1_
    .private_segment_fixed_size: 0
    .sgpr_count:     4
    .sgpr_spill_count: 0
    .symbol:         _ZN7rocprim17ROCPRIM_400000_NS6detail17trampoline_kernelINS0_14default_configENS1_20scan_config_selectorIjEEZZNS1_9scan_implILNS1_25lookback_scan_determinismE0ELb1ELb1ES3_N6thrust23THRUST_200600_302600_NS6detail15normal_iteratorINS9_10device_ptrIjEEEESE_j11max_functorIjEjEEDaPvRmT3_T4_T5_mT6_P12ihipStream_tbENKUlT_T0_E_clISt17integral_constantIbLb0EEST_IbLb1EEEEDaSP_SQ_EUlSP_E0_NS1_11comp_targetILNS1_3genE5ELNS1_11target_archE942ELNS1_3gpuE9ELNS1_3repE0EEENS1_30default_config_static_selectorELNS0_4arch9wavefront6targetE1EEEvT1_.kd
    .uniform_work_group_size: 1
    .uses_dynamic_stack: false
    .vgpr_count:     0
    .vgpr_spill_count: 0
    .wavefront_size: 64
  - .agpr_count:     0
    .args:
      - .offset:         0
        .size:           32
        .value_kind:     by_value
    .group_segment_fixed_size: 5120
    .kernarg_segment_align: 8
    .kernarg_segment_size: 32
    .language:       OpenCL C
    .language_version:
      - 2
      - 0
    .max_flat_workgroup_size: 128
    .name:           _ZN7rocprim17ROCPRIM_400000_NS6detail17trampoline_kernelINS0_14default_configENS1_20scan_config_selectorIjEEZZNS1_9scan_implILNS1_25lookback_scan_determinismE0ELb1ELb1ES3_N6thrust23THRUST_200600_302600_NS6detail15normal_iteratorINS9_10device_ptrIjEEEESE_j11max_functorIjEjEEDaPvRmT3_T4_T5_mT6_P12ihipStream_tbENKUlT_T0_E_clISt17integral_constantIbLb0EEST_IbLb1EEEEDaSP_SQ_EUlSP_E0_NS1_11comp_targetILNS1_3genE4ELNS1_11target_archE910ELNS1_3gpuE8ELNS1_3repE0EEENS1_30default_config_static_selectorELNS0_4arch9wavefront6targetE1EEEvT1_
    .private_segment_fixed_size: 0
    .sgpr_count:     29
    .sgpr_spill_count: 0
    .symbol:         _ZN7rocprim17ROCPRIM_400000_NS6detail17trampoline_kernelINS0_14default_configENS1_20scan_config_selectorIjEEZZNS1_9scan_implILNS1_25lookback_scan_determinismE0ELb1ELb1ES3_N6thrust23THRUST_200600_302600_NS6detail15normal_iteratorINS9_10device_ptrIjEEEESE_j11max_functorIjEjEEDaPvRmT3_T4_T5_mT6_P12ihipStream_tbENKUlT_T0_E_clISt17integral_constantIbLb0EEST_IbLb1EEEEDaSP_SQ_EUlSP_E0_NS1_11comp_targetILNS1_3genE4ELNS1_11target_archE910ELNS1_3gpuE8ELNS1_3repE0EEENS1_30default_config_static_selectorELNS0_4arch9wavefront6targetE1EEEvT1_.kd
    .uniform_work_group_size: 1
    .uses_dynamic_stack: false
    .vgpr_count:     19
    .vgpr_spill_count: 0
    .wavefront_size: 64
  - .agpr_count:     0
    .args:
      - .offset:         0
        .size:           32
        .value_kind:     by_value
    .group_segment_fixed_size: 0
    .kernarg_segment_align: 8
    .kernarg_segment_size: 32
    .language:       OpenCL C
    .language_version:
      - 2
      - 0
    .max_flat_workgroup_size: 256
    .name:           _ZN7rocprim17ROCPRIM_400000_NS6detail17trampoline_kernelINS0_14default_configENS1_20scan_config_selectorIjEEZZNS1_9scan_implILNS1_25lookback_scan_determinismE0ELb1ELb1ES3_N6thrust23THRUST_200600_302600_NS6detail15normal_iteratorINS9_10device_ptrIjEEEESE_j11max_functorIjEjEEDaPvRmT3_T4_T5_mT6_P12ihipStream_tbENKUlT_T0_E_clISt17integral_constantIbLb0EEST_IbLb1EEEEDaSP_SQ_EUlSP_E0_NS1_11comp_targetILNS1_3genE3ELNS1_11target_archE908ELNS1_3gpuE7ELNS1_3repE0EEENS1_30default_config_static_selectorELNS0_4arch9wavefront6targetE1EEEvT1_
    .private_segment_fixed_size: 0
    .sgpr_count:     4
    .sgpr_spill_count: 0
    .symbol:         _ZN7rocprim17ROCPRIM_400000_NS6detail17trampoline_kernelINS0_14default_configENS1_20scan_config_selectorIjEEZZNS1_9scan_implILNS1_25lookback_scan_determinismE0ELb1ELb1ES3_N6thrust23THRUST_200600_302600_NS6detail15normal_iteratorINS9_10device_ptrIjEEEESE_j11max_functorIjEjEEDaPvRmT3_T4_T5_mT6_P12ihipStream_tbENKUlT_T0_E_clISt17integral_constantIbLb0EEST_IbLb1EEEEDaSP_SQ_EUlSP_E0_NS1_11comp_targetILNS1_3genE3ELNS1_11target_archE908ELNS1_3gpuE7ELNS1_3repE0EEENS1_30default_config_static_selectorELNS0_4arch9wavefront6targetE1EEEvT1_.kd
    .uniform_work_group_size: 1
    .uses_dynamic_stack: false
    .vgpr_count:     0
    .vgpr_spill_count: 0
    .wavefront_size: 64
  - .agpr_count:     0
    .args:
      - .offset:         0
        .size:           32
        .value_kind:     by_value
    .group_segment_fixed_size: 0
    .kernarg_segment_align: 8
    .kernarg_segment_size: 32
    .language:       OpenCL C
    .language_version:
      - 2
      - 0
    .max_flat_workgroup_size: 256
    .name:           _ZN7rocprim17ROCPRIM_400000_NS6detail17trampoline_kernelINS0_14default_configENS1_20scan_config_selectorIjEEZZNS1_9scan_implILNS1_25lookback_scan_determinismE0ELb1ELb1ES3_N6thrust23THRUST_200600_302600_NS6detail15normal_iteratorINS9_10device_ptrIjEEEESE_j11max_functorIjEjEEDaPvRmT3_T4_T5_mT6_P12ihipStream_tbENKUlT_T0_E_clISt17integral_constantIbLb0EEST_IbLb1EEEEDaSP_SQ_EUlSP_E0_NS1_11comp_targetILNS1_3genE2ELNS1_11target_archE906ELNS1_3gpuE6ELNS1_3repE0EEENS1_30default_config_static_selectorELNS0_4arch9wavefront6targetE1EEEvT1_
    .private_segment_fixed_size: 0
    .sgpr_count:     4
    .sgpr_spill_count: 0
    .symbol:         _ZN7rocprim17ROCPRIM_400000_NS6detail17trampoline_kernelINS0_14default_configENS1_20scan_config_selectorIjEEZZNS1_9scan_implILNS1_25lookback_scan_determinismE0ELb1ELb1ES3_N6thrust23THRUST_200600_302600_NS6detail15normal_iteratorINS9_10device_ptrIjEEEESE_j11max_functorIjEjEEDaPvRmT3_T4_T5_mT6_P12ihipStream_tbENKUlT_T0_E_clISt17integral_constantIbLb0EEST_IbLb1EEEEDaSP_SQ_EUlSP_E0_NS1_11comp_targetILNS1_3genE2ELNS1_11target_archE906ELNS1_3gpuE6ELNS1_3repE0EEENS1_30default_config_static_selectorELNS0_4arch9wavefront6targetE1EEEvT1_.kd
    .uniform_work_group_size: 1
    .uses_dynamic_stack: false
    .vgpr_count:     0
    .vgpr_spill_count: 0
    .wavefront_size: 64
  - .agpr_count:     0
    .args:
      - .offset:         0
        .size:           32
        .value_kind:     by_value
    .group_segment_fixed_size: 0
    .kernarg_segment_align: 8
    .kernarg_segment_size: 32
    .language:       OpenCL C
    .language_version:
      - 2
      - 0
    .max_flat_workgroup_size: 256
    .name:           _ZN7rocprim17ROCPRIM_400000_NS6detail17trampoline_kernelINS0_14default_configENS1_20scan_config_selectorIjEEZZNS1_9scan_implILNS1_25lookback_scan_determinismE0ELb1ELb1ES3_N6thrust23THRUST_200600_302600_NS6detail15normal_iteratorINS9_10device_ptrIjEEEESE_j11max_functorIjEjEEDaPvRmT3_T4_T5_mT6_P12ihipStream_tbENKUlT_T0_E_clISt17integral_constantIbLb0EEST_IbLb1EEEEDaSP_SQ_EUlSP_E0_NS1_11comp_targetILNS1_3genE10ELNS1_11target_archE1201ELNS1_3gpuE5ELNS1_3repE0EEENS1_30default_config_static_selectorELNS0_4arch9wavefront6targetE1EEEvT1_
    .private_segment_fixed_size: 0
    .sgpr_count:     4
    .sgpr_spill_count: 0
    .symbol:         _ZN7rocprim17ROCPRIM_400000_NS6detail17trampoline_kernelINS0_14default_configENS1_20scan_config_selectorIjEEZZNS1_9scan_implILNS1_25lookback_scan_determinismE0ELb1ELb1ES3_N6thrust23THRUST_200600_302600_NS6detail15normal_iteratorINS9_10device_ptrIjEEEESE_j11max_functorIjEjEEDaPvRmT3_T4_T5_mT6_P12ihipStream_tbENKUlT_T0_E_clISt17integral_constantIbLb0EEST_IbLb1EEEEDaSP_SQ_EUlSP_E0_NS1_11comp_targetILNS1_3genE10ELNS1_11target_archE1201ELNS1_3gpuE5ELNS1_3repE0EEENS1_30default_config_static_selectorELNS0_4arch9wavefront6targetE1EEEvT1_.kd
    .uniform_work_group_size: 1
    .uses_dynamic_stack: false
    .vgpr_count:     0
    .vgpr_spill_count: 0
    .wavefront_size: 64
  - .agpr_count:     0
    .args:
      - .offset:         0
        .size:           32
        .value_kind:     by_value
    .group_segment_fixed_size: 0
    .kernarg_segment_align: 8
    .kernarg_segment_size: 32
    .language:       OpenCL C
    .language_version:
      - 2
      - 0
    .max_flat_workgroup_size: 256
    .name:           _ZN7rocprim17ROCPRIM_400000_NS6detail17trampoline_kernelINS0_14default_configENS1_20scan_config_selectorIjEEZZNS1_9scan_implILNS1_25lookback_scan_determinismE0ELb1ELb1ES3_N6thrust23THRUST_200600_302600_NS6detail15normal_iteratorINS9_10device_ptrIjEEEESE_j11max_functorIjEjEEDaPvRmT3_T4_T5_mT6_P12ihipStream_tbENKUlT_T0_E_clISt17integral_constantIbLb0EEST_IbLb1EEEEDaSP_SQ_EUlSP_E0_NS1_11comp_targetILNS1_3genE10ELNS1_11target_archE1200ELNS1_3gpuE4ELNS1_3repE0EEENS1_30default_config_static_selectorELNS0_4arch9wavefront6targetE1EEEvT1_
    .private_segment_fixed_size: 0
    .sgpr_count:     4
    .sgpr_spill_count: 0
    .symbol:         _ZN7rocprim17ROCPRIM_400000_NS6detail17trampoline_kernelINS0_14default_configENS1_20scan_config_selectorIjEEZZNS1_9scan_implILNS1_25lookback_scan_determinismE0ELb1ELb1ES3_N6thrust23THRUST_200600_302600_NS6detail15normal_iteratorINS9_10device_ptrIjEEEESE_j11max_functorIjEjEEDaPvRmT3_T4_T5_mT6_P12ihipStream_tbENKUlT_T0_E_clISt17integral_constantIbLb0EEST_IbLb1EEEEDaSP_SQ_EUlSP_E0_NS1_11comp_targetILNS1_3genE10ELNS1_11target_archE1200ELNS1_3gpuE4ELNS1_3repE0EEENS1_30default_config_static_selectorELNS0_4arch9wavefront6targetE1EEEvT1_.kd
    .uniform_work_group_size: 1
    .uses_dynamic_stack: false
    .vgpr_count:     0
    .vgpr_spill_count: 0
    .wavefront_size: 64
  - .agpr_count:     0
    .args:
      - .offset:         0
        .size:           32
        .value_kind:     by_value
    .group_segment_fixed_size: 0
    .kernarg_segment_align: 8
    .kernarg_segment_size: 32
    .language:       OpenCL C
    .language_version:
      - 2
      - 0
    .max_flat_workgroup_size: 256
    .name:           _ZN7rocprim17ROCPRIM_400000_NS6detail17trampoline_kernelINS0_14default_configENS1_20scan_config_selectorIjEEZZNS1_9scan_implILNS1_25lookback_scan_determinismE0ELb1ELb1ES3_N6thrust23THRUST_200600_302600_NS6detail15normal_iteratorINS9_10device_ptrIjEEEESE_j11max_functorIjEjEEDaPvRmT3_T4_T5_mT6_P12ihipStream_tbENKUlT_T0_E_clISt17integral_constantIbLb0EEST_IbLb1EEEEDaSP_SQ_EUlSP_E0_NS1_11comp_targetILNS1_3genE9ELNS1_11target_archE1100ELNS1_3gpuE3ELNS1_3repE0EEENS1_30default_config_static_selectorELNS0_4arch9wavefront6targetE1EEEvT1_
    .private_segment_fixed_size: 0
    .sgpr_count:     4
    .sgpr_spill_count: 0
    .symbol:         _ZN7rocprim17ROCPRIM_400000_NS6detail17trampoline_kernelINS0_14default_configENS1_20scan_config_selectorIjEEZZNS1_9scan_implILNS1_25lookback_scan_determinismE0ELb1ELb1ES3_N6thrust23THRUST_200600_302600_NS6detail15normal_iteratorINS9_10device_ptrIjEEEESE_j11max_functorIjEjEEDaPvRmT3_T4_T5_mT6_P12ihipStream_tbENKUlT_T0_E_clISt17integral_constantIbLb0EEST_IbLb1EEEEDaSP_SQ_EUlSP_E0_NS1_11comp_targetILNS1_3genE9ELNS1_11target_archE1100ELNS1_3gpuE3ELNS1_3repE0EEENS1_30default_config_static_selectorELNS0_4arch9wavefront6targetE1EEEvT1_.kd
    .uniform_work_group_size: 1
    .uses_dynamic_stack: false
    .vgpr_count:     0
    .vgpr_spill_count: 0
    .wavefront_size: 64
  - .agpr_count:     0
    .args:
      - .offset:         0
        .size:           32
        .value_kind:     by_value
    .group_segment_fixed_size: 0
    .kernarg_segment_align: 8
    .kernarg_segment_size: 32
    .language:       OpenCL C
    .language_version:
      - 2
      - 0
    .max_flat_workgroup_size: 64
    .name:           _ZN7rocprim17ROCPRIM_400000_NS6detail17trampoline_kernelINS0_14default_configENS1_20scan_config_selectorIjEEZZNS1_9scan_implILNS1_25lookback_scan_determinismE0ELb1ELb1ES3_N6thrust23THRUST_200600_302600_NS6detail15normal_iteratorINS9_10device_ptrIjEEEESE_j11max_functorIjEjEEDaPvRmT3_T4_T5_mT6_P12ihipStream_tbENKUlT_T0_E_clISt17integral_constantIbLb0EEST_IbLb1EEEEDaSP_SQ_EUlSP_E0_NS1_11comp_targetILNS1_3genE8ELNS1_11target_archE1030ELNS1_3gpuE2ELNS1_3repE0EEENS1_30default_config_static_selectorELNS0_4arch9wavefront6targetE1EEEvT1_
    .private_segment_fixed_size: 0
    .sgpr_count:     4
    .sgpr_spill_count: 0
    .symbol:         _ZN7rocprim17ROCPRIM_400000_NS6detail17trampoline_kernelINS0_14default_configENS1_20scan_config_selectorIjEEZZNS1_9scan_implILNS1_25lookback_scan_determinismE0ELb1ELb1ES3_N6thrust23THRUST_200600_302600_NS6detail15normal_iteratorINS9_10device_ptrIjEEEESE_j11max_functorIjEjEEDaPvRmT3_T4_T5_mT6_P12ihipStream_tbENKUlT_T0_E_clISt17integral_constantIbLb0EEST_IbLb1EEEEDaSP_SQ_EUlSP_E0_NS1_11comp_targetILNS1_3genE8ELNS1_11target_archE1030ELNS1_3gpuE2ELNS1_3repE0EEENS1_30default_config_static_selectorELNS0_4arch9wavefront6targetE1EEEvT1_.kd
    .uniform_work_group_size: 1
    .uses_dynamic_stack: false
    .vgpr_count:     0
    .vgpr_spill_count: 0
    .wavefront_size: 64
  - .agpr_count:     0
    .args:
      - .offset:         0
        .size:           16
        .value_kind:     by_value
      - .offset:         16
        .size:           8
        .value_kind:     by_value
      - .offset:         24
        .size:           8
        .value_kind:     by_value
    .group_segment_fixed_size: 0
    .kernarg_segment_align: 8
    .kernarg_segment_size: 32
    .language:       OpenCL C
    .language_version:
      - 2
      - 0
    .max_flat_workgroup_size: 256
    .name:           _ZN6thrust23THRUST_200600_302600_NS11hip_rocprim14__parallel_for6kernelILj256ENS1_20__uninitialized_fill7functorINS0_10device_ptrItEEtEEmLj1EEEvT0_T1_SA_
    .private_segment_fixed_size: 0
    .sgpr_count:     16
    .sgpr_spill_count: 0
    .symbol:         _ZN6thrust23THRUST_200600_302600_NS11hip_rocprim14__parallel_for6kernelILj256ENS1_20__uninitialized_fill7functorINS0_10device_ptrItEEtEEmLj1EEEvT0_T1_SA_.kd
    .uniform_work_group_size: 1
    .uses_dynamic_stack: false
    .vgpr_count:     4
    .vgpr_spill_count: 0
    .wavefront_size: 64
  - .agpr_count:     0
    .args:
      - .address_space:  global
        .offset:         0
        .size:           8
        .value_kind:     global_buffer
      - .offset:         8
        .size:           4
        .value_kind:     by_value
      - .offset:         12
        .size:           1
        .value_kind:     by_value
      - .offset:         16
        .size:           4
        .value_kind:     by_value
      - .address_space:  global
        .offset:         24
        .size:           8
        .value_kind:     global_buffer
      - .offset:         32
        .size:           4
        .value_kind:     hidden_block_count_x
      - .offset:         36
        .size:           4
        .value_kind:     hidden_block_count_y
      - .offset:         40
        .size:           4
        .value_kind:     hidden_block_count_z
      - .offset:         44
        .size:           2
        .value_kind:     hidden_group_size_x
      - .offset:         46
        .size:           2
        .value_kind:     hidden_group_size_y
      - .offset:         48
        .size:           2
        .value_kind:     hidden_group_size_z
      - .offset:         50
        .size:           2
        .value_kind:     hidden_remainder_x
      - .offset:         52
        .size:           2
        .value_kind:     hidden_remainder_y
      - .offset:         54
        .size:           2
        .value_kind:     hidden_remainder_z
      - .offset:         72
        .size:           8
        .value_kind:     hidden_global_offset_x
      - .offset:         80
        .size:           8
        .value_kind:     hidden_global_offset_y
      - .offset:         88
        .size:           8
        .value_kind:     hidden_global_offset_z
      - .offset:         96
        .size:           2
        .value_kind:     hidden_grid_dims
    .group_segment_fixed_size: 0
    .kernarg_segment_align: 8
    .kernarg_segment_size: 288
    .language:       OpenCL C
    .language_version:
      - 2
      - 0
    .max_flat_workgroup_size: 256
    .name:           _ZN7rocprim17ROCPRIM_400000_NS6detail31init_lookback_scan_state_kernelINS1_19lookback_scan_stateItLb0ELb1EEENS1_16block_id_wrapperIjLb0EEEEEvT_jT0_jPNS7_10value_typeE
    .private_segment_fixed_size: 0
    .sgpr_count:     13
    .sgpr_spill_count: 0
    .symbol:         _ZN7rocprim17ROCPRIM_400000_NS6detail31init_lookback_scan_state_kernelINS1_19lookback_scan_stateItLb0ELb1EEENS1_16block_id_wrapperIjLb0EEEEEvT_jT0_jPNS7_10value_typeE.kd
    .uniform_work_group_size: 1
    .uses_dynamic_stack: false
    .vgpr_count:     6
    .vgpr_spill_count: 0
    .wavefront_size: 64
  - .agpr_count:     0
    .args:
      - .offset:         0
        .size:           96
        .value_kind:     by_value
    .group_segment_fixed_size: 0
    .kernarg_segment_align: 8
    .kernarg_segment_size: 96
    .language:       OpenCL C
    .language_version:
      - 2
      - 0
    .max_flat_workgroup_size: 128
    .name:           _ZN7rocprim17ROCPRIM_400000_NS6detail17trampoline_kernelINS0_14default_configENS1_20scan_config_selectorItEEZZNS1_9scan_implILNS1_25lookback_scan_determinismE0ELb0ELb0ES3_N6thrust23THRUST_200600_302600_NS6detail15normal_iteratorINS9_10device_ptrItEEEESE_t11max_functorItEtEEDaPvRmT3_T4_T5_mT6_P12ihipStream_tbENKUlT_T0_E_clISt17integral_constantIbLb0EESU_EEDaSP_SQ_EUlSP_E_NS1_11comp_targetILNS1_3genE0ELNS1_11target_archE4294967295ELNS1_3gpuE0ELNS1_3repE0EEENS1_30default_config_static_selectorELNS0_4arch9wavefront6targetE1EEEvT1_
    .private_segment_fixed_size: 0
    .sgpr_count:     4
    .sgpr_spill_count: 0
    .symbol:         _ZN7rocprim17ROCPRIM_400000_NS6detail17trampoline_kernelINS0_14default_configENS1_20scan_config_selectorItEEZZNS1_9scan_implILNS1_25lookback_scan_determinismE0ELb0ELb0ES3_N6thrust23THRUST_200600_302600_NS6detail15normal_iteratorINS9_10device_ptrItEEEESE_t11max_functorItEtEEDaPvRmT3_T4_T5_mT6_P12ihipStream_tbENKUlT_T0_E_clISt17integral_constantIbLb0EESU_EEDaSP_SQ_EUlSP_E_NS1_11comp_targetILNS1_3genE0ELNS1_11target_archE4294967295ELNS1_3gpuE0ELNS1_3repE0EEENS1_30default_config_static_selectorELNS0_4arch9wavefront6targetE1EEEvT1_.kd
    .uniform_work_group_size: 1
    .uses_dynamic_stack: false
    .vgpr_count:     0
    .vgpr_spill_count: 0
    .wavefront_size: 64
  - .agpr_count:     0
    .args:
      - .offset:         0
        .size:           96
        .value_kind:     by_value
    .group_segment_fixed_size: 0
    .kernarg_segment_align: 8
    .kernarg_segment_size: 96
    .language:       OpenCL C
    .language_version:
      - 2
      - 0
    .max_flat_workgroup_size: 256
    .name:           _ZN7rocprim17ROCPRIM_400000_NS6detail17trampoline_kernelINS0_14default_configENS1_20scan_config_selectorItEEZZNS1_9scan_implILNS1_25lookback_scan_determinismE0ELb0ELb0ES3_N6thrust23THRUST_200600_302600_NS6detail15normal_iteratorINS9_10device_ptrItEEEESE_t11max_functorItEtEEDaPvRmT3_T4_T5_mT6_P12ihipStream_tbENKUlT_T0_E_clISt17integral_constantIbLb0EESU_EEDaSP_SQ_EUlSP_E_NS1_11comp_targetILNS1_3genE5ELNS1_11target_archE942ELNS1_3gpuE9ELNS1_3repE0EEENS1_30default_config_static_selectorELNS0_4arch9wavefront6targetE1EEEvT1_
    .private_segment_fixed_size: 0
    .sgpr_count:     4
    .sgpr_spill_count: 0
    .symbol:         _ZN7rocprim17ROCPRIM_400000_NS6detail17trampoline_kernelINS0_14default_configENS1_20scan_config_selectorItEEZZNS1_9scan_implILNS1_25lookback_scan_determinismE0ELb0ELb0ES3_N6thrust23THRUST_200600_302600_NS6detail15normal_iteratorINS9_10device_ptrItEEEESE_t11max_functorItEtEEDaPvRmT3_T4_T5_mT6_P12ihipStream_tbENKUlT_T0_E_clISt17integral_constantIbLb0EESU_EEDaSP_SQ_EUlSP_E_NS1_11comp_targetILNS1_3genE5ELNS1_11target_archE942ELNS1_3gpuE9ELNS1_3repE0EEENS1_30default_config_static_selectorELNS0_4arch9wavefront6targetE1EEEvT1_.kd
    .uniform_work_group_size: 1
    .uses_dynamic_stack: false
    .vgpr_count:     0
    .vgpr_spill_count: 0
    .wavefront_size: 64
  - .agpr_count:     0
    .args:
      - .offset:         0
        .size:           96
        .value_kind:     by_value
    .group_segment_fixed_size: 3072
    .kernarg_segment_align: 8
    .kernarg_segment_size: 96
    .language:       OpenCL C
    .language_version:
      - 2
      - 0
    .max_flat_workgroup_size: 64
    .name:           _ZN7rocprim17ROCPRIM_400000_NS6detail17trampoline_kernelINS0_14default_configENS1_20scan_config_selectorItEEZZNS1_9scan_implILNS1_25lookback_scan_determinismE0ELb0ELb0ES3_N6thrust23THRUST_200600_302600_NS6detail15normal_iteratorINS9_10device_ptrItEEEESE_t11max_functorItEtEEDaPvRmT3_T4_T5_mT6_P12ihipStream_tbENKUlT_T0_E_clISt17integral_constantIbLb0EESU_EEDaSP_SQ_EUlSP_E_NS1_11comp_targetILNS1_3genE4ELNS1_11target_archE910ELNS1_3gpuE8ELNS1_3repE0EEENS1_30default_config_static_selectorELNS0_4arch9wavefront6targetE1EEEvT1_
    .private_segment_fixed_size: 0
    .sgpr_count:     32
    .sgpr_spill_count: 0
    .symbol:         _ZN7rocprim17ROCPRIM_400000_NS6detail17trampoline_kernelINS0_14default_configENS1_20scan_config_selectorItEEZZNS1_9scan_implILNS1_25lookback_scan_determinismE0ELb0ELb0ES3_N6thrust23THRUST_200600_302600_NS6detail15normal_iteratorINS9_10device_ptrItEEEESE_t11max_functorItEtEEDaPvRmT3_T4_T5_mT6_P12ihipStream_tbENKUlT_T0_E_clISt17integral_constantIbLb0EESU_EEDaSP_SQ_EUlSP_E_NS1_11comp_targetILNS1_3genE4ELNS1_11target_archE910ELNS1_3gpuE8ELNS1_3repE0EEENS1_30default_config_static_selectorELNS0_4arch9wavefront6targetE1EEEvT1_.kd
    .uniform_work_group_size: 1
    .uses_dynamic_stack: false
    .vgpr_count:     57
    .vgpr_spill_count: 0
    .wavefront_size: 64
  - .agpr_count:     0
    .args:
      - .offset:         0
        .size:           96
        .value_kind:     by_value
    .group_segment_fixed_size: 0
    .kernarg_segment_align: 8
    .kernarg_segment_size: 96
    .language:       OpenCL C
    .language_version:
      - 2
      - 0
    .max_flat_workgroup_size: 128
    .name:           _ZN7rocprim17ROCPRIM_400000_NS6detail17trampoline_kernelINS0_14default_configENS1_20scan_config_selectorItEEZZNS1_9scan_implILNS1_25lookback_scan_determinismE0ELb0ELb0ES3_N6thrust23THRUST_200600_302600_NS6detail15normal_iteratorINS9_10device_ptrItEEEESE_t11max_functorItEtEEDaPvRmT3_T4_T5_mT6_P12ihipStream_tbENKUlT_T0_E_clISt17integral_constantIbLb0EESU_EEDaSP_SQ_EUlSP_E_NS1_11comp_targetILNS1_3genE3ELNS1_11target_archE908ELNS1_3gpuE7ELNS1_3repE0EEENS1_30default_config_static_selectorELNS0_4arch9wavefront6targetE1EEEvT1_
    .private_segment_fixed_size: 0
    .sgpr_count:     4
    .sgpr_spill_count: 0
    .symbol:         _ZN7rocprim17ROCPRIM_400000_NS6detail17trampoline_kernelINS0_14default_configENS1_20scan_config_selectorItEEZZNS1_9scan_implILNS1_25lookback_scan_determinismE0ELb0ELb0ES3_N6thrust23THRUST_200600_302600_NS6detail15normal_iteratorINS9_10device_ptrItEEEESE_t11max_functorItEtEEDaPvRmT3_T4_T5_mT6_P12ihipStream_tbENKUlT_T0_E_clISt17integral_constantIbLb0EESU_EEDaSP_SQ_EUlSP_E_NS1_11comp_targetILNS1_3genE3ELNS1_11target_archE908ELNS1_3gpuE7ELNS1_3repE0EEENS1_30default_config_static_selectorELNS0_4arch9wavefront6targetE1EEEvT1_.kd
    .uniform_work_group_size: 1
    .uses_dynamic_stack: false
    .vgpr_count:     0
    .vgpr_spill_count: 0
    .wavefront_size: 64
  - .agpr_count:     0
    .args:
      - .offset:         0
        .size:           96
        .value_kind:     by_value
    .group_segment_fixed_size: 0
    .kernarg_segment_align: 8
    .kernarg_segment_size: 96
    .language:       OpenCL C
    .language_version:
      - 2
      - 0
    .max_flat_workgroup_size: 256
    .name:           _ZN7rocprim17ROCPRIM_400000_NS6detail17trampoline_kernelINS0_14default_configENS1_20scan_config_selectorItEEZZNS1_9scan_implILNS1_25lookback_scan_determinismE0ELb0ELb0ES3_N6thrust23THRUST_200600_302600_NS6detail15normal_iteratorINS9_10device_ptrItEEEESE_t11max_functorItEtEEDaPvRmT3_T4_T5_mT6_P12ihipStream_tbENKUlT_T0_E_clISt17integral_constantIbLb0EESU_EEDaSP_SQ_EUlSP_E_NS1_11comp_targetILNS1_3genE2ELNS1_11target_archE906ELNS1_3gpuE6ELNS1_3repE0EEENS1_30default_config_static_selectorELNS0_4arch9wavefront6targetE1EEEvT1_
    .private_segment_fixed_size: 0
    .sgpr_count:     4
    .sgpr_spill_count: 0
    .symbol:         _ZN7rocprim17ROCPRIM_400000_NS6detail17trampoline_kernelINS0_14default_configENS1_20scan_config_selectorItEEZZNS1_9scan_implILNS1_25lookback_scan_determinismE0ELb0ELb0ES3_N6thrust23THRUST_200600_302600_NS6detail15normal_iteratorINS9_10device_ptrItEEEESE_t11max_functorItEtEEDaPvRmT3_T4_T5_mT6_P12ihipStream_tbENKUlT_T0_E_clISt17integral_constantIbLb0EESU_EEDaSP_SQ_EUlSP_E_NS1_11comp_targetILNS1_3genE2ELNS1_11target_archE906ELNS1_3gpuE6ELNS1_3repE0EEENS1_30default_config_static_selectorELNS0_4arch9wavefront6targetE1EEEvT1_.kd
    .uniform_work_group_size: 1
    .uses_dynamic_stack: false
    .vgpr_count:     0
    .vgpr_spill_count: 0
    .wavefront_size: 64
  - .agpr_count:     0
    .args:
      - .offset:         0
        .size:           96
        .value_kind:     by_value
    .group_segment_fixed_size: 0
    .kernarg_segment_align: 8
    .kernarg_segment_size: 96
    .language:       OpenCL C
    .language_version:
      - 2
      - 0
    .max_flat_workgroup_size: 256
    .name:           _ZN7rocprim17ROCPRIM_400000_NS6detail17trampoline_kernelINS0_14default_configENS1_20scan_config_selectorItEEZZNS1_9scan_implILNS1_25lookback_scan_determinismE0ELb0ELb0ES3_N6thrust23THRUST_200600_302600_NS6detail15normal_iteratorINS9_10device_ptrItEEEESE_t11max_functorItEtEEDaPvRmT3_T4_T5_mT6_P12ihipStream_tbENKUlT_T0_E_clISt17integral_constantIbLb0EESU_EEDaSP_SQ_EUlSP_E_NS1_11comp_targetILNS1_3genE10ELNS1_11target_archE1201ELNS1_3gpuE5ELNS1_3repE0EEENS1_30default_config_static_selectorELNS0_4arch9wavefront6targetE1EEEvT1_
    .private_segment_fixed_size: 0
    .sgpr_count:     4
    .sgpr_spill_count: 0
    .symbol:         _ZN7rocprim17ROCPRIM_400000_NS6detail17trampoline_kernelINS0_14default_configENS1_20scan_config_selectorItEEZZNS1_9scan_implILNS1_25lookback_scan_determinismE0ELb0ELb0ES3_N6thrust23THRUST_200600_302600_NS6detail15normal_iteratorINS9_10device_ptrItEEEESE_t11max_functorItEtEEDaPvRmT3_T4_T5_mT6_P12ihipStream_tbENKUlT_T0_E_clISt17integral_constantIbLb0EESU_EEDaSP_SQ_EUlSP_E_NS1_11comp_targetILNS1_3genE10ELNS1_11target_archE1201ELNS1_3gpuE5ELNS1_3repE0EEENS1_30default_config_static_selectorELNS0_4arch9wavefront6targetE1EEEvT1_.kd
    .uniform_work_group_size: 1
    .uses_dynamic_stack: false
    .vgpr_count:     0
    .vgpr_spill_count: 0
    .wavefront_size: 64
  - .agpr_count:     0
    .args:
      - .offset:         0
        .size:           96
        .value_kind:     by_value
    .group_segment_fixed_size: 0
    .kernarg_segment_align: 8
    .kernarg_segment_size: 96
    .language:       OpenCL C
    .language_version:
      - 2
      - 0
    .max_flat_workgroup_size: 256
    .name:           _ZN7rocprim17ROCPRIM_400000_NS6detail17trampoline_kernelINS0_14default_configENS1_20scan_config_selectorItEEZZNS1_9scan_implILNS1_25lookback_scan_determinismE0ELb0ELb0ES3_N6thrust23THRUST_200600_302600_NS6detail15normal_iteratorINS9_10device_ptrItEEEESE_t11max_functorItEtEEDaPvRmT3_T4_T5_mT6_P12ihipStream_tbENKUlT_T0_E_clISt17integral_constantIbLb0EESU_EEDaSP_SQ_EUlSP_E_NS1_11comp_targetILNS1_3genE10ELNS1_11target_archE1200ELNS1_3gpuE4ELNS1_3repE0EEENS1_30default_config_static_selectorELNS0_4arch9wavefront6targetE1EEEvT1_
    .private_segment_fixed_size: 0
    .sgpr_count:     4
    .sgpr_spill_count: 0
    .symbol:         _ZN7rocprim17ROCPRIM_400000_NS6detail17trampoline_kernelINS0_14default_configENS1_20scan_config_selectorItEEZZNS1_9scan_implILNS1_25lookback_scan_determinismE0ELb0ELb0ES3_N6thrust23THRUST_200600_302600_NS6detail15normal_iteratorINS9_10device_ptrItEEEESE_t11max_functorItEtEEDaPvRmT3_T4_T5_mT6_P12ihipStream_tbENKUlT_T0_E_clISt17integral_constantIbLb0EESU_EEDaSP_SQ_EUlSP_E_NS1_11comp_targetILNS1_3genE10ELNS1_11target_archE1200ELNS1_3gpuE4ELNS1_3repE0EEENS1_30default_config_static_selectorELNS0_4arch9wavefront6targetE1EEEvT1_.kd
    .uniform_work_group_size: 1
    .uses_dynamic_stack: false
    .vgpr_count:     0
    .vgpr_spill_count: 0
    .wavefront_size: 64
  - .agpr_count:     0
    .args:
      - .offset:         0
        .size:           96
        .value_kind:     by_value
    .group_segment_fixed_size: 0
    .kernarg_segment_align: 8
    .kernarg_segment_size: 96
    .language:       OpenCL C
    .language_version:
      - 2
      - 0
    .max_flat_workgroup_size: 64
    .name:           _ZN7rocprim17ROCPRIM_400000_NS6detail17trampoline_kernelINS0_14default_configENS1_20scan_config_selectorItEEZZNS1_9scan_implILNS1_25lookback_scan_determinismE0ELb0ELb0ES3_N6thrust23THRUST_200600_302600_NS6detail15normal_iteratorINS9_10device_ptrItEEEESE_t11max_functorItEtEEDaPvRmT3_T4_T5_mT6_P12ihipStream_tbENKUlT_T0_E_clISt17integral_constantIbLb0EESU_EEDaSP_SQ_EUlSP_E_NS1_11comp_targetILNS1_3genE9ELNS1_11target_archE1100ELNS1_3gpuE3ELNS1_3repE0EEENS1_30default_config_static_selectorELNS0_4arch9wavefront6targetE1EEEvT1_
    .private_segment_fixed_size: 0
    .sgpr_count:     4
    .sgpr_spill_count: 0
    .symbol:         _ZN7rocprim17ROCPRIM_400000_NS6detail17trampoline_kernelINS0_14default_configENS1_20scan_config_selectorItEEZZNS1_9scan_implILNS1_25lookback_scan_determinismE0ELb0ELb0ES3_N6thrust23THRUST_200600_302600_NS6detail15normal_iteratorINS9_10device_ptrItEEEESE_t11max_functorItEtEEDaPvRmT3_T4_T5_mT6_P12ihipStream_tbENKUlT_T0_E_clISt17integral_constantIbLb0EESU_EEDaSP_SQ_EUlSP_E_NS1_11comp_targetILNS1_3genE9ELNS1_11target_archE1100ELNS1_3gpuE3ELNS1_3repE0EEENS1_30default_config_static_selectorELNS0_4arch9wavefront6targetE1EEEvT1_.kd
    .uniform_work_group_size: 1
    .uses_dynamic_stack: false
    .vgpr_count:     0
    .vgpr_spill_count: 0
    .wavefront_size: 64
  - .agpr_count:     0
    .args:
      - .offset:         0
        .size:           96
        .value_kind:     by_value
    .group_segment_fixed_size: 0
    .kernarg_segment_align: 8
    .kernarg_segment_size: 96
    .language:       OpenCL C
    .language_version:
      - 2
      - 0
    .max_flat_workgroup_size: 64
    .name:           _ZN7rocprim17ROCPRIM_400000_NS6detail17trampoline_kernelINS0_14default_configENS1_20scan_config_selectorItEEZZNS1_9scan_implILNS1_25lookback_scan_determinismE0ELb0ELb0ES3_N6thrust23THRUST_200600_302600_NS6detail15normal_iteratorINS9_10device_ptrItEEEESE_t11max_functorItEtEEDaPvRmT3_T4_T5_mT6_P12ihipStream_tbENKUlT_T0_E_clISt17integral_constantIbLb0EESU_EEDaSP_SQ_EUlSP_E_NS1_11comp_targetILNS1_3genE8ELNS1_11target_archE1030ELNS1_3gpuE2ELNS1_3repE0EEENS1_30default_config_static_selectorELNS0_4arch9wavefront6targetE1EEEvT1_
    .private_segment_fixed_size: 0
    .sgpr_count:     4
    .sgpr_spill_count: 0
    .symbol:         _ZN7rocprim17ROCPRIM_400000_NS6detail17trampoline_kernelINS0_14default_configENS1_20scan_config_selectorItEEZZNS1_9scan_implILNS1_25lookback_scan_determinismE0ELb0ELb0ES3_N6thrust23THRUST_200600_302600_NS6detail15normal_iteratorINS9_10device_ptrItEEEESE_t11max_functorItEtEEDaPvRmT3_T4_T5_mT6_P12ihipStream_tbENKUlT_T0_E_clISt17integral_constantIbLb0EESU_EEDaSP_SQ_EUlSP_E_NS1_11comp_targetILNS1_3genE8ELNS1_11target_archE1030ELNS1_3gpuE2ELNS1_3repE0EEENS1_30default_config_static_selectorELNS0_4arch9wavefront6targetE1EEEvT1_.kd
    .uniform_work_group_size: 1
    .uses_dynamic_stack: false
    .vgpr_count:     0
    .vgpr_spill_count: 0
    .wavefront_size: 64
  - .agpr_count:     0
    .args:
      - .offset:         0
        .size:           40
        .value_kind:     by_value
    .group_segment_fixed_size: 0
    .kernarg_segment_align: 8
    .kernarg_segment_size: 40
    .language:       OpenCL C
    .language_version:
      - 2
      - 0
    .max_flat_workgroup_size: 128
    .name:           _ZN7rocprim17ROCPRIM_400000_NS6detail17trampoline_kernelINS0_14default_configENS1_25transform_config_selectorItLb1EEEZNS1_14transform_implILb1ES3_S5_PtS7_NS0_8identityItEEEE10hipError_tT2_T3_mT4_P12ihipStream_tbEUlT_E_NS1_11comp_targetILNS1_3genE0ELNS1_11target_archE4294967295ELNS1_3gpuE0ELNS1_3repE0EEENS1_30default_config_static_selectorELNS0_4arch9wavefront6targetE1EEEvT1_
    .private_segment_fixed_size: 0
    .sgpr_count:     4
    .sgpr_spill_count: 0
    .symbol:         _ZN7rocprim17ROCPRIM_400000_NS6detail17trampoline_kernelINS0_14default_configENS1_25transform_config_selectorItLb1EEEZNS1_14transform_implILb1ES3_S5_PtS7_NS0_8identityItEEEE10hipError_tT2_T3_mT4_P12ihipStream_tbEUlT_E_NS1_11comp_targetILNS1_3genE0ELNS1_11target_archE4294967295ELNS1_3gpuE0ELNS1_3repE0EEENS1_30default_config_static_selectorELNS0_4arch9wavefront6targetE1EEEvT1_.kd
    .uniform_work_group_size: 1
    .uses_dynamic_stack: false
    .vgpr_count:     0
    .vgpr_spill_count: 0
    .wavefront_size: 64
  - .agpr_count:     0
    .args:
      - .offset:         0
        .size:           40
        .value_kind:     by_value
    .group_segment_fixed_size: 0
    .kernarg_segment_align: 8
    .kernarg_segment_size: 40
    .language:       OpenCL C
    .language_version:
      - 2
      - 0
    .max_flat_workgroup_size: 64
    .name:           _ZN7rocprim17ROCPRIM_400000_NS6detail17trampoline_kernelINS0_14default_configENS1_25transform_config_selectorItLb1EEEZNS1_14transform_implILb1ES3_S5_PtS7_NS0_8identityItEEEE10hipError_tT2_T3_mT4_P12ihipStream_tbEUlT_E_NS1_11comp_targetILNS1_3genE10ELNS1_11target_archE1201ELNS1_3gpuE5ELNS1_3repE0EEENS1_30default_config_static_selectorELNS0_4arch9wavefront6targetE1EEEvT1_
    .private_segment_fixed_size: 0
    .sgpr_count:     4
    .sgpr_spill_count: 0
    .symbol:         _ZN7rocprim17ROCPRIM_400000_NS6detail17trampoline_kernelINS0_14default_configENS1_25transform_config_selectorItLb1EEEZNS1_14transform_implILb1ES3_S5_PtS7_NS0_8identityItEEEE10hipError_tT2_T3_mT4_P12ihipStream_tbEUlT_E_NS1_11comp_targetILNS1_3genE10ELNS1_11target_archE1201ELNS1_3gpuE5ELNS1_3repE0EEENS1_30default_config_static_selectorELNS0_4arch9wavefront6targetE1EEEvT1_.kd
    .uniform_work_group_size: 1
    .uses_dynamic_stack: false
    .vgpr_count:     0
    .vgpr_spill_count: 0
    .wavefront_size: 64
  - .agpr_count:     0
    .args:
      - .offset:         0
        .size:           40
        .value_kind:     by_value
    .group_segment_fixed_size: 0
    .kernarg_segment_align: 8
    .kernarg_segment_size: 40
    .language:       OpenCL C
    .language_version:
      - 2
      - 0
    .max_flat_workgroup_size: 256
    .name:           _ZN7rocprim17ROCPRIM_400000_NS6detail17trampoline_kernelINS0_14default_configENS1_25transform_config_selectorItLb1EEEZNS1_14transform_implILb1ES3_S5_PtS7_NS0_8identityItEEEE10hipError_tT2_T3_mT4_P12ihipStream_tbEUlT_E_NS1_11comp_targetILNS1_3genE5ELNS1_11target_archE942ELNS1_3gpuE9ELNS1_3repE0EEENS1_30default_config_static_selectorELNS0_4arch9wavefront6targetE1EEEvT1_
    .private_segment_fixed_size: 0
    .sgpr_count:     4
    .sgpr_spill_count: 0
    .symbol:         _ZN7rocprim17ROCPRIM_400000_NS6detail17trampoline_kernelINS0_14default_configENS1_25transform_config_selectorItLb1EEEZNS1_14transform_implILb1ES3_S5_PtS7_NS0_8identityItEEEE10hipError_tT2_T3_mT4_P12ihipStream_tbEUlT_E_NS1_11comp_targetILNS1_3genE5ELNS1_11target_archE942ELNS1_3gpuE9ELNS1_3repE0EEENS1_30default_config_static_selectorELNS0_4arch9wavefront6targetE1EEEvT1_.kd
    .uniform_work_group_size: 1
    .uses_dynamic_stack: false
    .vgpr_count:     0
    .vgpr_spill_count: 0
    .wavefront_size: 64
  - .agpr_count:     0
    .args:
      - .offset:         0
        .size:           40
        .value_kind:     by_value
      - .offset:         40
        .size:           4
        .value_kind:     hidden_block_count_x
      - .offset:         44
        .size:           4
        .value_kind:     hidden_block_count_y
      - .offset:         48
        .size:           4
        .value_kind:     hidden_block_count_z
      - .offset:         52
        .size:           2
        .value_kind:     hidden_group_size_x
      - .offset:         54
        .size:           2
        .value_kind:     hidden_group_size_y
      - .offset:         56
        .size:           2
        .value_kind:     hidden_group_size_z
      - .offset:         58
        .size:           2
        .value_kind:     hidden_remainder_x
      - .offset:         60
        .size:           2
        .value_kind:     hidden_remainder_y
      - .offset:         62
        .size:           2
        .value_kind:     hidden_remainder_z
      - .offset:         80
        .size:           8
        .value_kind:     hidden_global_offset_x
      - .offset:         88
        .size:           8
        .value_kind:     hidden_global_offset_y
      - .offset:         96
        .size:           8
        .value_kind:     hidden_global_offset_z
      - .offset:         104
        .size:           2
        .value_kind:     hidden_grid_dims
    .group_segment_fixed_size: 0
    .kernarg_segment_align: 8
    .kernarg_segment_size: 296
    .language:       OpenCL C
    .language_version:
      - 2
      - 0
    .max_flat_workgroup_size: 1024
    .name:           _ZN7rocprim17ROCPRIM_400000_NS6detail17trampoline_kernelINS0_14default_configENS1_25transform_config_selectorItLb1EEEZNS1_14transform_implILb1ES3_S5_PtS7_NS0_8identityItEEEE10hipError_tT2_T3_mT4_P12ihipStream_tbEUlT_E_NS1_11comp_targetILNS1_3genE4ELNS1_11target_archE910ELNS1_3gpuE8ELNS1_3repE0EEENS1_30default_config_static_selectorELNS0_4arch9wavefront6targetE1EEEvT1_
    .private_segment_fixed_size: 0
    .sgpr_count:     26
    .sgpr_spill_count: 0
    .symbol:         _ZN7rocprim17ROCPRIM_400000_NS6detail17trampoline_kernelINS0_14default_configENS1_25transform_config_selectorItLb1EEEZNS1_14transform_implILb1ES3_S5_PtS7_NS0_8identityItEEEE10hipError_tT2_T3_mT4_P12ihipStream_tbEUlT_E_NS1_11comp_targetILNS1_3genE4ELNS1_11target_archE910ELNS1_3gpuE8ELNS1_3repE0EEENS1_30default_config_static_selectorELNS0_4arch9wavefront6targetE1EEEvT1_.kd
    .uniform_work_group_size: 1
    .uses_dynamic_stack: false
    .vgpr_count:     8
    .vgpr_spill_count: 0
    .wavefront_size: 64
  - .agpr_count:     0
    .args:
      - .offset:         0
        .size:           40
        .value_kind:     by_value
    .group_segment_fixed_size: 0
    .kernarg_segment_align: 8
    .kernarg_segment_size: 40
    .language:       OpenCL C
    .language_version:
      - 2
      - 0
    .max_flat_workgroup_size: 128
    .name:           _ZN7rocprim17ROCPRIM_400000_NS6detail17trampoline_kernelINS0_14default_configENS1_25transform_config_selectorItLb1EEEZNS1_14transform_implILb1ES3_S5_PtS7_NS0_8identityItEEEE10hipError_tT2_T3_mT4_P12ihipStream_tbEUlT_E_NS1_11comp_targetILNS1_3genE3ELNS1_11target_archE908ELNS1_3gpuE7ELNS1_3repE0EEENS1_30default_config_static_selectorELNS0_4arch9wavefront6targetE1EEEvT1_
    .private_segment_fixed_size: 0
    .sgpr_count:     4
    .sgpr_spill_count: 0
    .symbol:         _ZN7rocprim17ROCPRIM_400000_NS6detail17trampoline_kernelINS0_14default_configENS1_25transform_config_selectorItLb1EEEZNS1_14transform_implILb1ES3_S5_PtS7_NS0_8identityItEEEE10hipError_tT2_T3_mT4_P12ihipStream_tbEUlT_E_NS1_11comp_targetILNS1_3genE3ELNS1_11target_archE908ELNS1_3gpuE7ELNS1_3repE0EEENS1_30default_config_static_selectorELNS0_4arch9wavefront6targetE1EEEvT1_.kd
    .uniform_work_group_size: 1
    .uses_dynamic_stack: false
    .vgpr_count:     0
    .vgpr_spill_count: 0
    .wavefront_size: 64
  - .agpr_count:     0
    .args:
      - .offset:         0
        .size:           40
        .value_kind:     by_value
    .group_segment_fixed_size: 0
    .kernarg_segment_align: 8
    .kernarg_segment_size: 40
    .language:       OpenCL C
    .language_version:
      - 2
      - 0
    .max_flat_workgroup_size: 1024
    .name:           _ZN7rocprim17ROCPRIM_400000_NS6detail17trampoline_kernelINS0_14default_configENS1_25transform_config_selectorItLb1EEEZNS1_14transform_implILb1ES3_S5_PtS7_NS0_8identityItEEEE10hipError_tT2_T3_mT4_P12ihipStream_tbEUlT_E_NS1_11comp_targetILNS1_3genE2ELNS1_11target_archE906ELNS1_3gpuE6ELNS1_3repE0EEENS1_30default_config_static_selectorELNS0_4arch9wavefront6targetE1EEEvT1_
    .private_segment_fixed_size: 0
    .sgpr_count:     4
    .sgpr_spill_count: 0
    .symbol:         _ZN7rocprim17ROCPRIM_400000_NS6detail17trampoline_kernelINS0_14default_configENS1_25transform_config_selectorItLb1EEEZNS1_14transform_implILb1ES3_S5_PtS7_NS0_8identityItEEEE10hipError_tT2_T3_mT4_P12ihipStream_tbEUlT_E_NS1_11comp_targetILNS1_3genE2ELNS1_11target_archE906ELNS1_3gpuE6ELNS1_3repE0EEENS1_30default_config_static_selectorELNS0_4arch9wavefront6targetE1EEEvT1_.kd
    .uniform_work_group_size: 1
    .uses_dynamic_stack: false
    .vgpr_count:     0
    .vgpr_spill_count: 0
    .wavefront_size: 64
  - .agpr_count:     0
    .args:
      - .offset:         0
        .size:           40
        .value_kind:     by_value
    .group_segment_fixed_size: 0
    .kernarg_segment_align: 8
    .kernarg_segment_size: 40
    .language:       OpenCL C
    .language_version:
      - 2
      - 0
    .max_flat_workgroup_size: 1024
    .name:           _ZN7rocprim17ROCPRIM_400000_NS6detail17trampoline_kernelINS0_14default_configENS1_25transform_config_selectorItLb1EEEZNS1_14transform_implILb1ES3_S5_PtS7_NS0_8identityItEEEE10hipError_tT2_T3_mT4_P12ihipStream_tbEUlT_E_NS1_11comp_targetILNS1_3genE9ELNS1_11target_archE1100ELNS1_3gpuE3ELNS1_3repE0EEENS1_30default_config_static_selectorELNS0_4arch9wavefront6targetE1EEEvT1_
    .private_segment_fixed_size: 0
    .sgpr_count:     4
    .sgpr_spill_count: 0
    .symbol:         _ZN7rocprim17ROCPRIM_400000_NS6detail17trampoline_kernelINS0_14default_configENS1_25transform_config_selectorItLb1EEEZNS1_14transform_implILb1ES3_S5_PtS7_NS0_8identityItEEEE10hipError_tT2_T3_mT4_P12ihipStream_tbEUlT_E_NS1_11comp_targetILNS1_3genE9ELNS1_11target_archE1100ELNS1_3gpuE3ELNS1_3repE0EEENS1_30default_config_static_selectorELNS0_4arch9wavefront6targetE1EEEvT1_.kd
    .uniform_work_group_size: 1
    .uses_dynamic_stack: false
    .vgpr_count:     0
    .vgpr_spill_count: 0
    .wavefront_size: 64
  - .agpr_count:     0
    .args:
      - .offset:         0
        .size:           40
        .value_kind:     by_value
    .group_segment_fixed_size: 0
    .kernarg_segment_align: 8
    .kernarg_segment_size: 40
    .language:       OpenCL C
    .language_version:
      - 2
      - 0
    .max_flat_workgroup_size: 1024
    .name:           _ZN7rocprim17ROCPRIM_400000_NS6detail17trampoline_kernelINS0_14default_configENS1_25transform_config_selectorItLb1EEEZNS1_14transform_implILb1ES3_S5_PtS7_NS0_8identityItEEEE10hipError_tT2_T3_mT4_P12ihipStream_tbEUlT_E_NS1_11comp_targetILNS1_3genE8ELNS1_11target_archE1030ELNS1_3gpuE2ELNS1_3repE0EEENS1_30default_config_static_selectorELNS0_4arch9wavefront6targetE1EEEvT1_
    .private_segment_fixed_size: 0
    .sgpr_count:     4
    .sgpr_spill_count: 0
    .symbol:         _ZN7rocprim17ROCPRIM_400000_NS6detail17trampoline_kernelINS0_14default_configENS1_25transform_config_selectorItLb1EEEZNS1_14transform_implILb1ES3_S5_PtS7_NS0_8identityItEEEE10hipError_tT2_T3_mT4_P12ihipStream_tbEUlT_E_NS1_11comp_targetILNS1_3genE8ELNS1_11target_archE1030ELNS1_3gpuE2ELNS1_3repE0EEENS1_30default_config_static_selectorELNS0_4arch9wavefront6targetE1EEEvT1_.kd
    .uniform_work_group_size: 1
    .uses_dynamic_stack: false
    .vgpr_count:     0
    .vgpr_spill_count: 0
    .wavefront_size: 64
  - .agpr_count:     0
    .args:
      - .offset:         0
        .size:           32
        .value_kind:     by_value
    .group_segment_fixed_size: 0
    .kernarg_segment_align: 8
    .kernarg_segment_size: 32
    .language:       OpenCL C
    .language_version:
      - 2
      - 0
    .max_flat_workgroup_size: 128
    .name:           _ZN7rocprim17ROCPRIM_400000_NS6detail17trampoline_kernelINS0_14default_configENS1_20scan_config_selectorItEEZZNS1_9scan_implILNS1_25lookback_scan_determinismE0ELb0ELb0ES3_N6thrust23THRUST_200600_302600_NS6detail15normal_iteratorINS9_10device_ptrItEEEESE_t11max_functorItEtEEDaPvRmT3_T4_T5_mT6_P12ihipStream_tbENKUlT_T0_E_clISt17integral_constantIbLb0EESU_EEDaSP_SQ_EUlSP_E0_NS1_11comp_targetILNS1_3genE0ELNS1_11target_archE4294967295ELNS1_3gpuE0ELNS1_3repE0EEENS1_30default_config_static_selectorELNS0_4arch9wavefront6targetE1EEEvT1_
    .private_segment_fixed_size: 0
    .sgpr_count:     4
    .sgpr_spill_count: 0
    .symbol:         _ZN7rocprim17ROCPRIM_400000_NS6detail17trampoline_kernelINS0_14default_configENS1_20scan_config_selectorItEEZZNS1_9scan_implILNS1_25lookback_scan_determinismE0ELb0ELb0ES3_N6thrust23THRUST_200600_302600_NS6detail15normal_iteratorINS9_10device_ptrItEEEESE_t11max_functorItEtEEDaPvRmT3_T4_T5_mT6_P12ihipStream_tbENKUlT_T0_E_clISt17integral_constantIbLb0EESU_EEDaSP_SQ_EUlSP_E0_NS1_11comp_targetILNS1_3genE0ELNS1_11target_archE4294967295ELNS1_3gpuE0ELNS1_3repE0EEENS1_30default_config_static_selectorELNS0_4arch9wavefront6targetE1EEEvT1_.kd
    .uniform_work_group_size: 1
    .uses_dynamic_stack: false
    .vgpr_count:     0
    .vgpr_spill_count: 0
    .wavefront_size: 64
  - .agpr_count:     0
    .args:
      - .offset:         0
        .size:           32
        .value_kind:     by_value
    .group_segment_fixed_size: 0
    .kernarg_segment_align: 8
    .kernarg_segment_size: 32
    .language:       OpenCL C
    .language_version:
      - 2
      - 0
    .max_flat_workgroup_size: 256
    .name:           _ZN7rocprim17ROCPRIM_400000_NS6detail17trampoline_kernelINS0_14default_configENS1_20scan_config_selectorItEEZZNS1_9scan_implILNS1_25lookback_scan_determinismE0ELb0ELb0ES3_N6thrust23THRUST_200600_302600_NS6detail15normal_iteratorINS9_10device_ptrItEEEESE_t11max_functorItEtEEDaPvRmT3_T4_T5_mT6_P12ihipStream_tbENKUlT_T0_E_clISt17integral_constantIbLb0EESU_EEDaSP_SQ_EUlSP_E0_NS1_11comp_targetILNS1_3genE5ELNS1_11target_archE942ELNS1_3gpuE9ELNS1_3repE0EEENS1_30default_config_static_selectorELNS0_4arch9wavefront6targetE1EEEvT1_
    .private_segment_fixed_size: 0
    .sgpr_count:     4
    .sgpr_spill_count: 0
    .symbol:         _ZN7rocprim17ROCPRIM_400000_NS6detail17trampoline_kernelINS0_14default_configENS1_20scan_config_selectorItEEZZNS1_9scan_implILNS1_25lookback_scan_determinismE0ELb0ELb0ES3_N6thrust23THRUST_200600_302600_NS6detail15normal_iteratorINS9_10device_ptrItEEEESE_t11max_functorItEtEEDaPvRmT3_T4_T5_mT6_P12ihipStream_tbENKUlT_T0_E_clISt17integral_constantIbLb0EESU_EEDaSP_SQ_EUlSP_E0_NS1_11comp_targetILNS1_3genE5ELNS1_11target_archE942ELNS1_3gpuE9ELNS1_3repE0EEENS1_30default_config_static_selectorELNS0_4arch9wavefront6targetE1EEEvT1_.kd
    .uniform_work_group_size: 1
    .uses_dynamic_stack: false
    .vgpr_count:     0
    .vgpr_spill_count: 0
    .wavefront_size: 64
  - .agpr_count:     0
    .args:
      - .offset:         0
        .size:           32
        .value_kind:     by_value
    .group_segment_fixed_size: 3072
    .kernarg_segment_align: 8
    .kernarg_segment_size: 32
    .language:       OpenCL C
    .language_version:
      - 2
      - 0
    .max_flat_workgroup_size: 64
    .name:           _ZN7rocprim17ROCPRIM_400000_NS6detail17trampoline_kernelINS0_14default_configENS1_20scan_config_selectorItEEZZNS1_9scan_implILNS1_25lookback_scan_determinismE0ELb0ELb0ES3_N6thrust23THRUST_200600_302600_NS6detail15normal_iteratorINS9_10device_ptrItEEEESE_t11max_functorItEtEEDaPvRmT3_T4_T5_mT6_P12ihipStream_tbENKUlT_T0_E_clISt17integral_constantIbLb0EESU_EEDaSP_SQ_EUlSP_E0_NS1_11comp_targetILNS1_3genE4ELNS1_11target_archE910ELNS1_3gpuE8ELNS1_3repE0EEENS1_30default_config_static_selectorELNS0_4arch9wavefront6targetE1EEEvT1_
    .private_segment_fixed_size: 0
    .sgpr_count:     60
    .sgpr_spill_count: 0
    .symbol:         _ZN7rocprim17ROCPRIM_400000_NS6detail17trampoline_kernelINS0_14default_configENS1_20scan_config_selectorItEEZZNS1_9scan_implILNS1_25lookback_scan_determinismE0ELb0ELb0ES3_N6thrust23THRUST_200600_302600_NS6detail15normal_iteratorINS9_10device_ptrItEEEESE_t11max_functorItEtEEDaPvRmT3_T4_T5_mT6_P12ihipStream_tbENKUlT_T0_E_clISt17integral_constantIbLb0EESU_EEDaSP_SQ_EUlSP_E0_NS1_11comp_targetILNS1_3genE4ELNS1_11target_archE910ELNS1_3gpuE8ELNS1_3repE0EEENS1_30default_config_static_selectorELNS0_4arch9wavefront6targetE1EEEvT1_.kd
    .uniform_work_group_size: 1
    .uses_dynamic_stack: false
    .vgpr_count:     43
    .vgpr_spill_count: 0
    .wavefront_size: 64
  - .agpr_count:     0
    .args:
      - .offset:         0
        .size:           32
        .value_kind:     by_value
    .group_segment_fixed_size: 0
    .kernarg_segment_align: 8
    .kernarg_segment_size: 32
    .language:       OpenCL C
    .language_version:
      - 2
      - 0
    .max_flat_workgroup_size: 128
    .name:           _ZN7rocprim17ROCPRIM_400000_NS6detail17trampoline_kernelINS0_14default_configENS1_20scan_config_selectorItEEZZNS1_9scan_implILNS1_25lookback_scan_determinismE0ELb0ELb0ES3_N6thrust23THRUST_200600_302600_NS6detail15normal_iteratorINS9_10device_ptrItEEEESE_t11max_functorItEtEEDaPvRmT3_T4_T5_mT6_P12ihipStream_tbENKUlT_T0_E_clISt17integral_constantIbLb0EESU_EEDaSP_SQ_EUlSP_E0_NS1_11comp_targetILNS1_3genE3ELNS1_11target_archE908ELNS1_3gpuE7ELNS1_3repE0EEENS1_30default_config_static_selectorELNS0_4arch9wavefront6targetE1EEEvT1_
    .private_segment_fixed_size: 0
    .sgpr_count:     4
    .sgpr_spill_count: 0
    .symbol:         _ZN7rocprim17ROCPRIM_400000_NS6detail17trampoline_kernelINS0_14default_configENS1_20scan_config_selectorItEEZZNS1_9scan_implILNS1_25lookback_scan_determinismE0ELb0ELb0ES3_N6thrust23THRUST_200600_302600_NS6detail15normal_iteratorINS9_10device_ptrItEEEESE_t11max_functorItEtEEDaPvRmT3_T4_T5_mT6_P12ihipStream_tbENKUlT_T0_E_clISt17integral_constantIbLb0EESU_EEDaSP_SQ_EUlSP_E0_NS1_11comp_targetILNS1_3genE3ELNS1_11target_archE908ELNS1_3gpuE7ELNS1_3repE0EEENS1_30default_config_static_selectorELNS0_4arch9wavefront6targetE1EEEvT1_.kd
    .uniform_work_group_size: 1
    .uses_dynamic_stack: false
    .vgpr_count:     0
    .vgpr_spill_count: 0
    .wavefront_size: 64
  - .agpr_count:     0
    .args:
      - .offset:         0
        .size:           32
        .value_kind:     by_value
    .group_segment_fixed_size: 0
    .kernarg_segment_align: 8
    .kernarg_segment_size: 32
    .language:       OpenCL C
    .language_version:
      - 2
      - 0
    .max_flat_workgroup_size: 256
    .name:           _ZN7rocprim17ROCPRIM_400000_NS6detail17trampoline_kernelINS0_14default_configENS1_20scan_config_selectorItEEZZNS1_9scan_implILNS1_25lookback_scan_determinismE0ELb0ELb0ES3_N6thrust23THRUST_200600_302600_NS6detail15normal_iteratorINS9_10device_ptrItEEEESE_t11max_functorItEtEEDaPvRmT3_T4_T5_mT6_P12ihipStream_tbENKUlT_T0_E_clISt17integral_constantIbLb0EESU_EEDaSP_SQ_EUlSP_E0_NS1_11comp_targetILNS1_3genE2ELNS1_11target_archE906ELNS1_3gpuE6ELNS1_3repE0EEENS1_30default_config_static_selectorELNS0_4arch9wavefront6targetE1EEEvT1_
    .private_segment_fixed_size: 0
    .sgpr_count:     4
    .sgpr_spill_count: 0
    .symbol:         _ZN7rocprim17ROCPRIM_400000_NS6detail17trampoline_kernelINS0_14default_configENS1_20scan_config_selectorItEEZZNS1_9scan_implILNS1_25lookback_scan_determinismE0ELb0ELb0ES3_N6thrust23THRUST_200600_302600_NS6detail15normal_iteratorINS9_10device_ptrItEEEESE_t11max_functorItEtEEDaPvRmT3_T4_T5_mT6_P12ihipStream_tbENKUlT_T0_E_clISt17integral_constantIbLb0EESU_EEDaSP_SQ_EUlSP_E0_NS1_11comp_targetILNS1_3genE2ELNS1_11target_archE906ELNS1_3gpuE6ELNS1_3repE0EEENS1_30default_config_static_selectorELNS0_4arch9wavefront6targetE1EEEvT1_.kd
    .uniform_work_group_size: 1
    .uses_dynamic_stack: false
    .vgpr_count:     0
    .vgpr_spill_count: 0
    .wavefront_size: 64
  - .agpr_count:     0
    .args:
      - .offset:         0
        .size:           32
        .value_kind:     by_value
    .group_segment_fixed_size: 0
    .kernarg_segment_align: 8
    .kernarg_segment_size: 32
    .language:       OpenCL C
    .language_version:
      - 2
      - 0
    .max_flat_workgroup_size: 256
    .name:           _ZN7rocprim17ROCPRIM_400000_NS6detail17trampoline_kernelINS0_14default_configENS1_20scan_config_selectorItEEZZNS1_9scan_implILNS1_25lookback_scan_determinismE0ELb0ELb0ES3_N6thrust23THRUST_200600_302600_NS6detail15normal_iteratorINS9_10device_ptrItEEEESE_t11max_functorItEtEEDaPvRmT3_T4_T5_mT6_P12ihipStream_tbENKUlT_T0_E_clISt17integral_constantIbLb0EESU_EEDaSP_SQ_EUlSP_E0_NS1_11comp_targetILNS1_3genE10ELNS1_11target_archE1201ELNS1_3gpuE5ELNS1_3repE0EEENS1_30default_config_static_selectorELNS0_4arch9wavefront6targetE1EEEvT1_
    .private_segment_fixed_size: 0
    .sgpr_count:     4
    .sgpr_spill_count: 0
    .symbol:         _ZN7rocprim17ROCPRIM_400000_NS6detail17trampoline_kernelINS0_14default_configENS1_20scan_config_selectorItEEZZNS1_9scan_implILNS1_25lookback_scan_determinismE0ELb0ELb0ES3_N6thrust23THRUST_200600_302600_NS6detail15normal_iteratorINS9_10device_ptrItEEEESE_t11max_functorItEtEEDaPvRmT3_T4_T5_mT6_P12ihipStream_tbENKUlT_T0_E_clISt17integral_constantIbLb0EESU_EEDaSP_SQ_EUlSP_E0_NS1_11comp_targetILNS1_3genE10ELNS1_11target_archE1201ELNS1_3gpuE5ELNS1_3repE0EEENS1_30default_config_static_selectorELNS0_4arch9wavefront6targetE1EEEvT1_.kd
    .uniform_work_group_size: 1
    .uses_dynamic_stack: false
    .vgpr_count:     0
    .vgpr_spill_count: 0
    .wavefront_size: 64
  - .agpr_count:     0
    .args:
      - .offset:         0
        .size:           32
        .value_kind:     by_value
    .group_segment_fixed_size: 0
    .kernarg_segment_align: 8
    .kernarg_segment_size: 32
    .language:       OpenCL C
    .language_version:
      - 2
      - 0
    .max_flat_workgroup_size: 256
    .name:           _ZN7rocprim17ROCPRIM_400000_NS6detail17trampoline_kernelINS0_14default_configENS1_20scan_config_selectorItEEZZNS1_9scan_implILNS1_25lookback_scan_determinismE0ELb0ELb0ES3_N6thrust23THRUST_200600_302600_NS6detail15normal_iteratorINS9_10device_ptrItEEEESE_t11max_functorItEtEEDaPvRmT3_T4_T5_mT6_P12ihipStream_tbENKUlT_T0_E_clISt17integral_constantIbLb0EESU_EEDaSP_SQ_EUlSP_E0_NS1_11comp_targetILNS1_3genE10ELNS1_11target_archE1200ELNS1_3gpuE4ELNS1_3repE0EEENS1_30default_config_static_selectorELNS0_4arch9wavefront6targetE1EEEvT1_
    .private_segment_fixed_size: 0
    .sgpr_count:     4
    .sgpr_spill_count: 0
    .symbol:         _ZN7rocprim17ROCPRIM_400000_NS6detail17trampoline_kernelINS0_14default_configENS1_20scan_config_selectorItEEZZNS1_9scan_implILNS1_25lookback_scan_determinismE0ELb0ELb0ES3_N6thrust23THRUST_200600_302600_NS6detail15normal_iteratorINS9_10device_ptrItEEEESE_t11max_functorItEtEEDaPvRmT3_T4_T5_mT6_P12ihipStream_tbENKUlT_T0_E_clISt17integral_constantIbLb0EESU_EEDaSP_SQ_EUlSP_E0_NS1_11comp_targetILNS1_3genE10ELNS1_11target_archE1200ELNS1_3gpuE4ELNS1_3repE0EEENS1_30default_config_static_selectorELNS0_4arch9wavefront6targetE1EEEvT1_.kd
    .uniform_work_group_size: 1
    .uses_dynamic_stack: false
    .vgpr_count:     0
    .vgpr_spill_count: 0
    .wavefront_size: 64
  - .agpr_count:     0
    .args:
      - .offset:         0
        .size:           32
        .value_kind:     by_value
    .group_segment_fixed_size: 0
    .kernarg_segment_align: 8
    .kernarg_segment_size: 32
    .language:       OpenCL C
    .language_version:
      - 2
      - 0
    .max_flat_workgroup_size: 64
    .name:           _ZN7rocprim17ROCPRIM_400000_NS6detail17trampoline_kernelINS0_14default_configENS1_20scan_config_selectorItEEZZNS1_9scan_implILNS1_25lookback_scan_determinismE0ELb0ELb0ES3_N6thrust23THRUST_200600_302600_NS6detail15normal_iteratorINS9_10device_ptrItEEEESE_t11max_functorItEtEEDaPvRmT3_T4_T5_mT6_P12ihipStream_tbENKUlT_T0_E_clISt17integral_constantIbLb0EESU_EEDaSP_SQ_EUlSP_E0_NS1_11comp_targetILNS1_3genE9ELNS1_11target_archE1100ELNS1_3gpuE3ELNS1_3repE0EEENS1_30default_config_static_selectorELNS0_4arch9wavefront6targetE1EEEvT1_
    .private_segment_fixed_size: 0
    .sgpr_count:     4
    .sgpr_spill_count: 0
    .symbol:         _ZN7rocprim17ROCPRIM_400000_NS6detail17trampoline_kernelINS0_14default_configENS1_20scan_config_selectorItEEZZNS1_9scan_implILNS1_25lookback_scan_determinismE0ELb0ELb0ES3_N6thrust23THRUST_200600_302600_NS6detail15normal_iteratorINS9_10device_ptrItEEEESE_t11max_functorItEtEEDaPvRmT3_T4_T5_mT6_P12ihipStream_tbENKUlT_T0_E_clISt17integral_constantIbLb0EESU_EEDaSP_SQ_EUlSP_E0_NS1_11comp_targetILNS1_3genE9ELNS1_11target_archE1100ELNS1_3gpuE3ELNS1_3repE0EEENS1_30default_config_static_selectorELNS0_4arch9wavefront6targetE1EEEvT1_.kd
    .uniform_work_group_size: 1
    .uses_dynamic_stack: false
    .vgpr_count:     0
    .vgpr_spill_count: 0
    .wavefront_size: 64
  - .agpr_count:     0
    .args:
      - .offset:         0
        .size:           32
        .value_kind:     by_value
    .group_segment_fixed_size: 0
    .kernarg_segment_align: 8
    .kernarg_segment_size: 32
    .language:       OpenCL C
    .language_version:
      - 2
      - 0
    .max_flat_workgroup_size: 64
    .name:           _ZN7rocprim17ROCPRIM_400000_NS6detail17trampoline_kernelINS0_14default_configENS1_20scan_config_selectorItEEZZNS1_9scan_implILNS1_25lookback_scan_determinismE0ELb0ELb0ES3_N6thrust23THRUST_200600_302600_NS6detail15normal_iteratorINS9_10device_ptrItEEEESE_t11max_functorItEtEEDaPvRmT3_T4_T5_mT6_P12ihipStream_tbENKUlT_T0_E_clISt17integral_constantIbLb0EESU_EEDaSP_SQ_EUlSP_E0_NS1_11comp_targetILNS1_3genE8ELNS1_11target_archE1030ELNS1_3gpuE2ELNS1_3repE0EEENS1_30default_config_static_selectorELNS0_4arch9wavefront6targetE1EEEvT1_
    .private_segment_fixed_size: 0
    .sgpr_count:     4
    .sgpr_spill_count: 0
    .symbol:         _ZN7rocprim17ROCPRIM_400000_NS6detail17trampoline_kernelINS0_14default_configENS1_20scan_config_selectorItEEZZNS1_9scan_implILNS1_25lookback_scan_determinismE0ELb0ELb0ES3_N6thrust23THRUST_200600_302600_NS6detail15normal_iteratorINS9_10device_ptrItEEEESE_t11max_functorItEtEEDaPvRmT3_T4_T5_mT6_P12ihipStream_tbENKUlT_T0_E_clISt17integral_constantIbLb0EESU_EEDaSP_SQ_EUlSP_E0_NS1_11comp_targetILNS1_3genE8ELNS1_11target_archE1030ELNS1_3gpuE2ELNS1_3repE0EEENS1_30default_config_static_selectorELNS0_4arch9wavefront6targetE1EEEvT1_.kd
    .uniform_work_group_size: 1
    .uses_dynamic_stack: false
    .vgpr_count:     0
    .vgpr_spill_count: 0
    .wavefront_size: 64
  - .agpr_count:     0
    .args:
      - .address_space:  global
        .offset:         0
        .size:           8
        .value_kind:     global_buffer
      - .offset:         8
        .size:           4
        .value_kind:     by_value
      - .address_space:  global
        .offset:         16
        .size:           8
        .value_kind:     global_buffer
      - .offset:         24
        .size:           4
        .value_kind:     by_value
      - .address_space:  global
        .offset:         32
        .size:           8
        .value_kind:     global_buffer
      - .offset:         40
        .size:           4
        .value_kind:     hidden_block_count_x
      - .offset:         44
        .size:           4
        .value_kind:     hidden_block_count_y
      - .offset:         48
        .size:           4
        .value_kind:     hidden_block_count_z
      - .offset:         52
        .size:           2
        .value_kind:     hidden_group_size_x
      - .offset:         54
        .size:           2
        .value_kind:     hidden_group_size_y
      - .offset:         56
        .size:           2
        .value_kind:     hidden_group_size_z
      - .offset:         58
        .size:           2
        .value_kind:     hidden_remainder_x
      - .offset:         60
        .size:           2
        .value_kind:     hidden_remainder_y
      - .offset:         62
        .size:           2
        .value_kind:     hidden_remainder_z
      - .offset:         80
        .size:           8
        .value_kind:     hidden_global_offset_x
      - .offset:         88
        .size:           8
        .value_kind:     hidden_global_offset_y
      - .offset:         96
        .size:           8
        .value_kind:     hidden_global_offset_z
      - .offset:         104
        .size:           2
        .value_kind:     hidden_grid_dims
    .group_segment_fixed_size: 0
    .kernarg_segment_align: 8
    .kernarg_segment_size: 296
    .language:       OpenCL C
    .language_version:
      - 2
      - 0
    .max_flat_workgroup_size: 256
    .name:           _ZN7rocprim17ROCPRIM_400000_NS6detail31init_lookback_scan_state_kernelINS1_19lookback_scan_stateItLb1ELb1EEENS1_16block_id_wrapperIjLb1EEEEEvT_jT0_jPNS7_10value_typeE
    .private_segment_fixed_size: 0
    .sgpr_count:     18
    .sgpr_spill_count: 0
    .symbol:         _ZN7rocprim17ROCPRIM_400000_NS6detail31init_lookback_scan_state_kernelINS1_19lookback_scan_stateItLb1ELb1EEENS1_16block_id_wrapperIjLb1EEEEEvT_jT0_jPNS7_10value_typeE.kd
    .uniform_work_group_size: 1
    .uses_dynamic_stack: false
    .vgpr_count:     6
    .vgpr_spill_count: 0
    .wavefront_size: 64
  - .agpr_count:     0
    .args:
      - .offset:         0
        .size:           96
        .value_kind:     by_value
    .group_segment_fixed_size: 0
    .kernarg_segment_align: 8
    .kernarg_segment_size: 96
    .language:       OpenCL C
    .language_version:
      - 2
      - 0
    .max_flat_workgroup_size: 128
    .name:           _ZN7rocprim17ROCPRIM_400000_NS6detail17trampoline_kernelINS0_14default_configENS1_20scan_config_selectorItEEZZNS1_9scan_implILNS1_25lookback_scan_determinismE0ELb0ELb0ES3_N6thrust23THRUST_200600_302600_NS6detail15normal_iteratorINS9_10device_ptrItEEEESE_t11max_functorItEtEEDaPvRmT3_T4_T5_mT6_P12ihipStream_tbENKUlT_T0_E_clISt17integral_constantIbLb1EESU_EEDaSP_SQ_EUlSP_E_NS1_11comp_targetILNS1_3genE0ELNS1_11target_archE4294967295ELNS1_3gpuE0ELNS1_3repE0EEENS1_30default_config_static_selectorELNS0_4arch9wavefront6targetE1EEEvT1_
    .private_segment_fixed_size: 0
    .sgpr_count:     4
    .sgpr_spill_count: 0
    .symbol:         _ZN7rocprim17ROCPRIM_400000_NS6detail17trampoline_kernelINS0_14default_configENS1_20scan_config_selectorItEEZZNS1_9scan_implILNS1_25lookback_scan_determinismE0ELb0ELb0ES3_N6thrust23THRUST_200600_302600_NS6detail15normal_iteratorINS9_10device_ptrItEEEESE_t11max_functorItEtEEDaPvRmT3_T4_T5_mT6_P12ihipStream_tbENKUlT_T0_E_clISt17integral_constantIbLb1EESU_EEDaSP_SQ_EUlSP_E_NS1_11comp_targetILNS1_3genE0ELNS1_11target_archE4294967295ELNS1_3gpuE0ELNS1_3repE0EEENS1_30default_config_static_selectorELNS0_4arch9wavefront6targetE1EEEvT1_.kd
    .uniform_work_group_size: 1
    .uses_dynamic_stack: false
    .vgpr_count:     0
    .vgpr_spill_count: 0
    .wavefront_size: 64
  - .agpr_count:     0
    .args:
      - .offset:         0
        .size:           96
        .value_kind:     by_value
    .group_segment_fixed_size: 0
    .kernarg_segment_align: 8
    .kernarg_segment_size: 96
    .language:       OpenCL C
    .language_version:
      - 2
      - 0
    .max_flat_workgroup_size: 256
    .name:           _ZN7rocprim17ROCPRIM_400000_NS6detail17trampoline_kernelINS0_14default_configENS1_20scan_config_selectorItEEZZNS1_9scan_implILNS1_25lookback_scan_determinismE0ELb0ELb0ES3_N6thrust23THRUST_200600_302600_NS6detail15normal_iteratorINS9_10device_ptrItEEEESE_t11max_functorItEtEEDaPvRmT3_T4_T5_mT6_P12ihipStream_tbENKUlT_T0_E_clISt17integral_constantIbLb1EESU_EEDaSP_SQ_EUlSP_E_NS1_11comp_targetILNS1_3genE5ELNS1_11target_archE942ELNS1_3gpuE9ELNS1_3repE0EEENS1_30default_config_static_selectorELNS0_4arch9wavefront6targetE1EEEvT1_
    .private_segment_fixed_size: 0
    .sgpr_count:     4
    .sgpr_spill_count: 0
    .symbol:         _ZN7rocprim17ROCPRIM_400000_NS6detail17trampoline_kernelINS0_14default_configENS1_20scan_config_selectorItEEZZNS1_9scan_implILNS1_25lookback_scan_determinismE0ELb0ELb0ES3_N6thrust23THRUST_200600_302600_NS6detail15normal_iteratorINS9_10device_ptrItEEEESE_t11max_functorItEtEEDaPvRmT3_T4_T5_mT6_P12ihipStream_tbENKUlT_T0_E_clISt17integral_constantIbLb1EESU_EEDaSP_SQ_EUlSP_E_NS1_11comp_targetILNS1_3genE5ELNS1_11target_archE942ELNS1_3gpuE9ELNS1_3repE0EEENS1_30default_config_static_selectorELNS0_4arch9wavefront6targetE1EEEvT1_.kd
    .uniform_work_group_size: 1
    .uses_dynamic_stack: false
    .vgpr_count:     0
    .vgpr_spill_count: 0
    .wavefront_size: 64
  - .agpr_count:     0
    .args:
      - .offset:         0
        .size:           96
        .value_kind:     by_value
    .group_segment_fixed_size: 3072
    .kernarg_segment_align: 8
    .kernarg_segment_size: 96
    .language:       OpenCL C
    .language_version:
      - 2
      - 0
    .max_flat_workgroup_size: 64
    .name:           _ZN7rocprim17ROCPRIM_400000_NS6detail17trampoline_kernelINS0_14default_configENS1_20scan_config_selectorItEEZZNS1_9scan_implILNS1_25lookback_scan_determinismE0ELb0ELb0ES3_N6thrust23THRUST_200600_302600_NS6detail15normal_iteratorINS9_10device_ptrItEEEESE_t11max_functorItEtEEDaPvRmT3_T4_T5_mT6_P12ihipStream_tbENKUlT_T0_E_clISt17integral_constantIbLb1EESU_EEDaSP_SQ_EUlSP_E_NS1_11comp_targetILNS1_3genE4ELNS1_11target_archE910ELNS1_3gpuE8ELNS1_3repE0EEENS1_30default_config_static_selectorELNS0_4arch9wavefront6targetE1EEEvT1_
    .private_segment_fixed_size: 0
    .sgpr_count:     42
    .sgpr_spill_count: 0
    .symbol:         _ZN7rocprim17ROCPRIM_400000_NS6detail17trampoline_kernelINS0_14default_configENS1_20scan_config_selectorItEEZZNS1_9scan_implILNS1_25lookback_scan_determinismE0ELb0ELb0ES3_N6thrust23THRUST_200600_302600_NS6detail15normal_iteratorINS9_10device_ptrItEEEESE_t11max_functorItEtEEDaPvRmT3_T4_T5_mT6_P12ihipStream_tbENKUlT_T0_E_clISt17integral_constantIbLb1EESU_EEDaSP_SQ_EUlSP_E_NS1_11comp_targetILNS1_3genE4ELNS1_11target_archE910ELNS1_3gpuE8ELNS1_3repE0EEENS1_30default_config_static_selectorELNS0_4arch9wavefront6targetE1EEEvT1_.kd
    .uniform_work_group_size: 1
    .uses_dynamic_stack: false
    .vgpr_count:     57
    .vgpr_spill_count: 0
    .wavefront_size: 64
  - .agpr_count:     0
    .args:
      - .offset:         0
        .size:           96
        .value_kind:     by_value
    .group_segment_fixed_size: 0
    .kernarg_segment_align: 8
    .kernarg_segment_size: 96
    .language:       OpenCL C
    .language_version:
      - 2
      - 0
    .max_flat_workgroup_size: 128
    .name:           _ZN7rocprim17ROCPRIM_400000_NS6detail17trampoline_kernelINS0_14default_configENS1_20scan_config_selectorItEEZZNS1_9scan_implILNS1_25lookback_scan_determinismE0ELb0ELb0ES3_N6thrust23THRUST_200600_302600_NS6detail15normal_iteratorINS9_10device_ptrItEEEESE_t11max_functorItEtEEDaPvRmT3_T4_T5_mT6_P12ihipStream_tbENKUlT_T0_E_clISt17integral_constantIbLb1EESU_EEDaSP_SQ_EUlSP_E_NS1_11comp_targetILNS1_3genE3ELNS1_11target_archE908ELNS1_3gpuE7ELNS1_3repE0EEENS1_30default_config_static_selectorELNS0_4arch9wavefront6targetE1EEEvT1_
    .private_segment_fixed_size: 0
    .sgpr_count:     4
    .sgpr_spill_count: 0
    .symbol:         _ZN7rocprim17ROCPRIM_400000_NS6detail17trampoline_kernelINS0_14default_configENS1_20scan_config_selectorItEEZZNS1_9scan_implILNS1_25lookback_scan_determinismE0ELb0ELb0ES3_N6thrust23THRUST_200600_302600_NS6detail15normal_iteratorINS9_10device_ptrItEEEESE_t11max_functorItEtEEDaPvRmT3_T4_T5_mT6_P12ihipStream_tbENKUlT_T0_E_clISt17integral_constantIbLb1EESU_EEDaSP_SQ_EUlSP_E_NS1_11comp_targetILNS1_3genE3ELNS1_11target_archE908ELNS1_3gpuE7ELNS1_3repE0EEENS1_30default_config_static_selectorELNS0_4arch9wavefront6targetE1EEEvT1_.kd
    .uniform_work_group_size: 1
    .uses_dynamic_stack: false
    .vgpr_count:     0
    .vgpr_spill_count: 0
    .wavefront_size: 64
  - .agpr_count:     0
    .args:
      - .offset:         0
        .size:           96
        .value_kind:     by_value
    .group_segment_fixed_size: 0
    .kernarg_segment_align: 8
    .kernarg_segment_size: 96
    .language:       OpenCL C
    .language_version:
      - 2
      - 0
    .max_flat_workgroup_size: 256
    .name:           _ZN7rocprim17ROCPRIM_400000_NS6detail17trampoline_kernelINS0_14default_configENS1_20scan_config_selectorItEEZZNS1_9scan_implILNS1_25lookback_scan_determinismE0ELb0ELb0ES3_N6thrust23THRUST_200600_302600_NS6detail15normal_iteratorINS9_10device_ptrItEEEESE_t11max_functorItEtEEDaPvRmT3_T4_T5_mT6_P12ihipStream_tbENKUlT_T0_E_clISt17integral_constantIbLb1EESU_EEDaSP_SQ_EUlSP_E_NS1_11comp_targetILNS1_3genE2ELNS1_11target_archE906ELNS1_3gpuE6ELNS1_3repE0EEENS1_30default_config_static_selectorELNS0_4arch9wavefront6targetE1EEEvT1_
    .private_segment_fixed_size: 0
    .sgpr_count:     4
    .sgpr_spill_count: 0
    .symbol:         _ZN7rocprim17ROCPRIM_400000_NS6detail17trampoline_kernelINS0_14default_configENS1_20scan_config_selectorItEEZZNS1_9scan_implILNS1_25lookback_scan_determinismE0ELb0ELb0ES3_N6thrust23THRUST_200600_302600_NS6detail15normal_iteratorINS9_10device_ptrItEEEESE_t11max_functorItEtEEDaPvRmT3_T4_T5_mT6_P12ihipStream_tbENKUlT_T0_E_clISt17integral_constantIbLb1EESU_EEDaSP_SQ_EUlSP_E_NS1_11comp_targetILNS1_3genE2ELNS1_11target_archE906ELNS1_3gpuE6ELNS1_3repE0EEENS1_30default_config_static_selectorELNS0_4arch9wavefront6targetE1EEEvT1_.kd
    .uniform_work_group_size: 1
    .uses_dynamic_stack: false
    .vgpr_count:     0
    .vgpr_spill_count: 0
    .wavefront_size: 64
  - .agpr_count:     0
    .args:
      - .offset:         0
        .size:           96
        .value_kind:     by_value
    .group_segment_fixed_size: 0
    .kernarg_segment_align: 8
    .kernarg_segment_size: 96
    .language:       OpenCL C
    .language_version:
      - 2
      - 0
    .max_flat_workgroup_size: 256
    .name:           _ZN7rocprim17ROCPRIM_400000_NS6detail17trampoline_kernelINS0_14default_configENS1_20scan_config_selectorItEEZZNS1_9scan_implILNS1_25lookback_scan_determinismE0ELb0ELb0ES3_N6thrust23THRUST_200600_302600_NS6detail15normal_iteratorINS9_10device_ptrItEEEESE_t11max_functorItEtEEDaPvRmT3_T4_T5_mT6_P12ihipStream_tbENKUlT_T0_E_clISt17integral_constantIbLb1EESU_EEDaSP_SQ_EUlSP_E_NS1_11comp_targetILNS1_3genE10ELNS1_11target_archE1201ELNS1_3gpuE5ELNS1_3repE0EEENS1_30default_config_static_selectorELNS0_4arch9wavefront6targetE1EEEvT1_
    .private_segment_fixed_size: 0
    .sgpr_count:     4
    .sgpr_spill_count: 0
    .symbol:         _ZN7rocprim17ROCPRIM_400000_NS6detail17trampoline_kernelINS0_14default_configENS1_20scan_config_selectorItEEZZNS1_9scan_implILNS1_25lookback_scan_determinismE0ELb0ELb0ES3_N6thrust23THRUST_200600_302600_NS6detail15normal_iteratorINS9_10device_ptrItEEEESE_t11max_functorItEtEEDaPvRmT3_T4_T5_mT6_P12ihipStream_tbENKUlT_T0_E_clISt17integral_constantIbLb1EESU_EEDaSP_SQ_EUlSP_E_NS1_11comp_targetILNS1_3genE10ELNS1_11target_archE1201ELNS1_3gpuE5ELNS1_3repE0EEENS1_30default_config_static_selectorELNS0_4arch9wavefront6targetE1EEEvT1_.kd
    .uniform_work_group_size: 1
    .uses_dynamic_stack: false
    .vgpr_count:     0
    .vgpr_spill_count: 0
    .wavefront_size: 64
  - .agpr_count:     0
    .args:
      - .offset:         0
        .size:           96
        .value_kind:     by_value
    .group_segment_fixed_size: 0
    .kernarg_segment_align: 8
    .kernarg_segment_size: 96
    .language:       OpenCL C
    .language_version:
      - 2
      - 0
    .max_flat_workgroup_size: 256
    .name:           _ZN7rocprim17ROCPRIM_400000_NS6detail17trampoline_kernelINS0_14default_configENS1_20scan_config_selectorItEEZZNS1_9scan_implILNS1_25lookback_scan_determinismE0ELb0ELb0ES3_N6thrust23THRUST_200600_302600_NS6detail15normal_iteratorINS9_10device_ptrItEEEESE_t11max_functorItEtEEDaPvRmT3_T4_T5_mT6_P12ihipStream_tbENKUlT_T0_E_clISt17integral_constantIbLb1EESU_EEDaSP_SQ_EUlSP_E_NS1_11comp_targetILNS1_3genE10ELNS1_11target_archE1200ELNS1_3gpuE4ELNS1_3repE0EEENS1_30default_config_static_selectorELNS0_4arch9wavefront6targetE1EEEvT1_
    .private_segment_fixed_size: 0
    .sgpr_count:     4
    .sgpr_spill_count: 0
    .symbol:         _ZN7rocprim17ROCPRIM_400000_NS6detail17trampoline_kernelINS0_14default_configENS1_20scan_config_selectorItEEZZNS1_9scan_implILNS1_25lookback_scan_determinismE0ELb0ELb0ES3_N6thrust23THRUST_200600_302600_NS6detail15normal_iteratorINS9_10device_ptrItEEEESE_t11max_functorItEtEEDaPvRmT3_T4_T5_mT6_P12ihipStream_tbENKUlT_T0_E_clISt17integral_constantIbLb1EESU_EEDaSP_SQ_EUlSP_E_NS1_11comp_targetILNS1_3genE10ELNS1_11target_archE1200ELNS1_3gpuE4ELNS1_3repE0EEENS1_30default_config_static_selectorELNS0_4arch9wavefront6targetE1EEEvT1_.kd
    .uniform_work_group_size: 1
    .uses_dynamic_stack: false
    .vgpr_count:     0
    .vgpr_spill_count: 0
    .wavefront_size: 64
  - .agpr_count:     0
    .args:
      - .offset:         0
        .size:           96
        .value_kind:     by_value
    .group_segment_fixed_size: 0
    .kernarg_segment_align: 8
    .kernarg_segment_size: 96
    .language:       OpenCL C
    .language_version:
      - 2
      - 0
    .max_flat_workgroup_size: 64
    .name:           _ZN7rocprim17ROCPRIM_400000_NS6detail17trampoline_kernelINS0_14default_configENS1_20scan_config_selectorItEEZZNS1_9scan_implILNS1_25lookback_scan_determinismE0ELb0ELb0ES3_N6thrust23THRUST_200600_302600_NS6detail15normal_iteratorINS9_10device_ptrItEEEESE_t11max_functorItEtEEDaPvRmT3_T4_T5_mT6_P12ihipStream_tbENKUlT_T0_E_clISt17integral_constantIbLb1EESU_EEDaSP_SQ_EUlSP_E_NS1_11comp_targetILNS1_3genE9ELNS1_11target_archE1100ELNS1_3gpuE3ELNS1_3repE0EEENS1_30default_config_static_selectorELNS0_4arch9wavefront6targetE1EEEvT1_
    .private_segment_fixed_size: 0
    .sgpr_count:     4
    .sgpr_spill_count: 0
    .symbol:         _ZN7rocprim17ROCPRIM_400000_NS6detail17trampoline_kernelINS0_14default_configENS1_20scan_config_selectorItEEZZNS1_9scan_implILNS1_25lookback_scan_determinismE0ELb0ELb0ES3_N6thrust23THRUST_200600_302600_NS6detail15normal_iteratorINS9_10device_ptrItEEEESE_t11max_functorItEtEEDaPvRmT3_T4_T5_mT6_P12ihipStream_tbENKUlT_T0_E_clISt17integral_constantIbLb1EESU_EEDaSP_SQ_EUlSP_E_NS1_11comp_targetILNS1_3genE9ELNS1_11target_archE1100ELNS1_3gpuE3ELNS1_3repE0EEENS1_30default_config_static_selectorELNS0_4arch9wavefront6targetE1EEEvT1_.kd
    .uniform_work_group_size: 1
    .uses_dynamic_stack: false
    .vgpr_count:     0
    .vgpr_spill_count: 0
    .wavefront_size: 64
  - .agpr_count:     0
    .args:
      - .offset:         0
        .size:           96
        .value_kind:     by_value
    .group_segment_fixed_size: 0
    .kernarg_segment_align: 8
    .kernarg_segment_size: 96
    .language:       OpenCL C
    .language_version:
      - 2
      - 0
    .max_flat_workgroup_size: 64
    .name:           _ZN7rocprim17ROCPRIM_400000_NS6detail17trampoline_kernelINS0_14default_configENS1_20scan_config_selectorItEEZZNS1_9scan_implILNS1_25lookback_scan_determinismE0ELb0ELb0ES3_N6thrust23THRUST_200600_302600_NS6detail15normal_iteratorINS9_10device_ptrItEEEESE_t11max_functorItEtEEDaPvRmT3_T4_T5_mT6_P12ihipStream_tbENKUlT_T0_E_clISt17integral_constantIbLb1EESU_EEDaSP_SQ_EUlSP_E_NS1_11comp_targetILNS1_3genE8ELNS1_11target_archE1030ELNS1_3gpuE2ELNS1_3repE0EEENS1_30default_config_static_selectorELNS0_4arch9wavefront6targetE1EEEvT1_
    .private_segment_fixed_size: 0
    .sgpr_count:     4
    .sgpr_spill_count: 0
    .symbol:         _ZN7rocprim17ROCPRIM_400000_NS6detail17trampoline_kernelINS0_14default_configENS1_20scan_config_selectorItEEZZNS1_9scan_implILNS1_25lookback_scan_determinismE0ELb0ELb0ES3_N6thrust23THRUST_200600_302600_NS6detail15normal_iteratorINS9_10device_ptrItEEEESE_t11max_functorItEtEEDaPvRmT3_T4_T5_mT6_P12ihipStream_tbENKUlT_T0_E_clISt17integral_constantIbLb1EESU_EEDaSP_SQ_EUlSP_E_NS1_11comp_targetILNS1_3genE8ELNS1_11target_archE1030ELNS1_3gpuE2ELNS1_3repE0EEENS1_30default_config_static_selectorELNS0_4arch9wavefront6targetE1EEEvT1_.kd
    .uniform_work_group_size: 1
    .uses_dynamic_stack: false
    .vgpr_count:     0
    .vgpr_spill_count: 0
    .wavefront_size: 64
  - .agpr_count:     0
    .args:
      - .offset:         0
        .size:           32
        .value_kind:     by_value
    .group_segment_fixed_size: 0
    .kernarg_segment_align: 8
    .kernarg_segment_size: 32
    .language:       OpenCL C
    .language_version:
      - 2
      - 0
    .max_flat_workgroup_size: 128
    .name:           _ZN7rocprim17ROCPRIM_400000_NS6detail17trampoline_kernelINS0_14default_configENS1_20scan_config_selectorItEEZZNS1_9scan_implILNS1_25lookback_scan_determinismE0ELb0ELb0ES3_N6thrust23THRUST_200600_302600_NS6detail15normal_iteratorINS9_10device_ptrItEEEESE_t11max_functorItEtEEDaPvRmT3_T4_T5_mT6_P12ihipStream_tbENKUlT_T0_E_clISt17integral_constantIbLb1EESU_EEDaSP_SQ_EUlSP_E0_NS1_11comp_targetILNS1_3genE0ELNS1_11target_archE4294967295ELNS1_3gpuE0ELNS1_3repE0EEENS1_30default_config_static_selectorELNS0_4arch9wavefront6targetE1EEEvT1_
    .private_segment_fixed_size: 0
    .sgpr_count:     4
    .sgpr_spill_count: 0
    .symbol:         _ZN7rocprim17ROCPRIM_400000_NS6detail17trampoline_kernelINS0_14default_configENS1_20scan_config_selectorItEEZZNS1_9scan_implILNS1_25lookback_scan_determinismE0ELb0ELb0ES3_N6thrust23THRUST_200600_302600_NS6detail15normal_iteratorINS9_10device_ptrItEEEESE_t11max_functorItEtEEDaPvRmT3_T4_T5_mT6_P12ihipStream_tbENKUlT_T0_E_clISt17integral_constantIbLb1EESU_EEDaSP_SQ_EUlSP_E0_NS1_11comp_targetILNS1_3genE0ELNS1_11target_archE4294967295ELNS1_3gpuE0ELNS1_3repE0EEENS1_30default_config_static_selectorELNS0_4arch9wavefront6targetE1EEEvT1_.kd
    .uniform_work_group_size: 1
    .uses_dynamic_stack: false
    .vgpr_count:     0
    .vgpr_spill_count: 0
    .wavefront_size: 64
  - .agpr_count:     0
    .args:
      - .offset:         0
        .size:           32
        .value_kind:     by_value
    .group_segment_fixed_size: 0
    .kernarg_segment_align: 8
    .kernarg_segment_size: 32
    .language:       OpenCL C
    .language_version:
      - 2
      - 0
    .max_flat_workgroup_size: 256
    .name:           _ZN7rocprim17ROCPRIM_400000_NS6detail17trampoline_kernelINS0_14default_configENS1_20scan_config_selectorItEEZZNS1_9scan_implILNS1_25lookback_scan_determinismE0ELb0ELb0ES3_N6thrust23THRUST_200600_302600_NS6detail15normal_iteratorINS9_10device_ptrItEEEESE_t11max_functorItEtEEDaPvRmT3_T4_T5_mT6_P12ihipStream_tbENKUlT_T0_E_clISt17integral_constantIbLb1EESU_EEDaSP_SQ_EUlSP_E0_NS1_11comp_targetILNS1_3genE5ELNS1_11target_archE942ELNS1_3gpuE9ELNS1_3repE0EEENS1_30default_config_static_selectorELNS0_4arch9wavefront6targetE1EEEvT1_
    .private_segment_fixed_size: 0
    .sgpr_count:     4
    .sgpr_spill_count: 0
    .symbol:         _ZN7rocprim17ROCPRIM_400000_NS6detail17trampoline_kernelINS0_14default_configENS1_20scan_config_selectorItEEZZNS1_9scan_implILNS1_25lookback_scan_determinismE0ELb0ELb0ES3_N6thrust23THRUST_200600_302600_NS6detail15normal_iteratorINS9_10device_ptrItEEEESE_t11max_functorItEtEEDaPvRmT3_T4_T5_mT6_P12ihipStream_tbENKUlT_T0_E_clISt17integral_constantIbLb1EESU_EEDaSP_SQ_EUlSP_E0_NS1_11comp_targetILNS1_3genE5ELNS1_11target_archE942ELNS1_3gpuE9ELNS1_3repE0EEENS1_30default_config_static_selectorELNS0_4arch9wavefront6targetE1EEEvT1_.kd
    .uniform_work_group_size: 1
    .uses_dynamic_stack: false
    .vgpr_count:     0
    .vgpr_spill_count: 0
    .wavefront_size: 64
  - .agpr_count:     0
    .args:
      - .offset:         0
        .size:           32
        .value_kind:     by_value
    .group_segment_fixed_size: 3072
    .kernarg_segment_align: 8
    .kernarg_segment_size: 32
    .language:       OpenCL C
    .language_version:
      - 2
      - 0
    .max_flat_workgroup_size: 64
    .name:           _ZN7rocprim17ROCPRIM_400000_NS6detail17trampoline_kernelINS0_14default_configENS1_20scan_config_selectorItEEZZNS1_9scan_implILNS1_25lookback_scan_determinismE0ELb0ELb0ES3_N6thrust23THRUST_200600_302600_NS6detail15normal_iteratorINS9_10device_ptrItEEEESE_t11max_functorItEtEEDaPvRmT3_T4_T5_mT6_P12ihipStream_tbENKUlT_T0_E_clISt17integral_constantIbLb1EESU_EEDaSP_SQ_EUlSP_E0_NS1_11comp_targetILNS1_3genE4ELNS1_11target_archE910ELNS1_3gpuE8ELNS1_3repE0EEENS1_30default_config_static_selectorELNS0_4arch9wavefront6targetE1EEEvT1_
    .private_segment_fixed_size: 0
    .sgpr_count:     60
    .sgpr_spill_count: 0
    .symbol:         _ZN7rocprim17ROCPRIM_400000_NS6detail17trampoline_kernelINS0_14default_configENS1_20scan_config_selectorItEEZZNS1_9scan_implILNS1_25lookback_scan_determinismE0ELb0ELb0ES3_N6thrust23THRUST_200600_302600_NS6detail15normal_iteratorINS9_10device_ptrItEEEESE_t11max_functorItEtEEDaPvRmT3_T4_T5_mT6_P12ihipStream_tbENKUlT_T0_E_clISt17integral_constantIbLb1EESU_EEDaSP_SQ_EUlSP_E0_NS1_11comp_targetILNS1_3genE4ELNS1_11target_archE910ELNS1_3gpuE8ELNS1_3repE0EEENS1_30default_config_static_selectorELNS0_4arch9wavefront6targetE1EEEvT1_.kd
    .uniform_work_group_size: 1
    .uses_dynamic_stack: false
    .vgpr_count:     43
    .vgpr_spill_count: 0
    .wavefront_size: 64
  - .agpr_count:     0
    .args:
      - .offset:         0
        .size:           32
        .value_kind:     by_value
    .group_segment_fixed_size: 0
    .kernarg_segment_align: 8
    .kernarg_segment_size: 32
    .language:       OpenCL C
    .language_version:
      - 2
      - 0
    .max_flat_workgroup_size: 128
    .name:           _ZN7rocprim17ROCPRIM_400000_NS6detail17trampoline_kernelINS0_14default_configENS1_20scan_config_selectorItEEZZNS1_9scan_implILNS1_25lookback_scan_determinismE0ELb0ELb0ES3_N6thrust23THRUST_200600_302600_NS6detail15normal_iteratorINS9_10device_ptrItEEEESE_t11max_functorItEtEEDaPvRmT3_T4_T5_mT6_P12ihipStream_tbENKUlT_T0_E_clISt17integral_constantIbLb1EESU_EEDaSP_SQ_EUlSP_E0_NS1_11comp_targetILNS1_3genE3ELNS1_11target_archE908ELNS1_3gpuE7ELNS1_3repE0EEENS1_30default_config_static_selectorELNS0_4arch9wavefront6targetE1EEEvT1_
    .private_segment_fixed_size: 0
    .sgpr_count:     4
    .sgpr_spill_count: 0
    .symbol:         _ZN7rocprim17ROCPRIM_400000_NS6detail17trampoline_kernelINS0_14default_configENS1_20scan_config_selectorItEEZZNS1_9scan_implILNS1_25lookback_scan_determinismE0ELb0ELb0ES3_N6thrust23THRUST_200600_302600_NS6detail15normal_iteratorINS9_10device_ptrItEEEESE_t11max_functorItEtEEDaPvRmT3_T4_T5_mT6_P12ihipStream_tbENKUlT_T0_E_clISt17integral_constantIbLb1EESU_EEDaSP_SQ_EUlSP_E0_NS1_11comp_targetILNS1_3genE3ELNS1_11target_archE908ELNS1_3gpuE7ELNS1_3repE0EEENS1_30default_config_static_selectorELNS0_4arch9wavefront6targetE1EEEvT1_.kd
    .uniform_work_group_size: 1
    .uses_dynamic_stack: false
    .vgpr_count:     0
    .vgpr_spill_count: 0
    .wavefront_size: 64
  - .agpr_count:     0
    .args:
      - .offset:         0
        .size:           32
        .value_kind:     by_value
    .group_segment_fixed_size: 0
    .kernarg_segment_align: 8
    .kernarg_segment_size: 32
    .language:       OpenCL C
    .language_version:
      - 2
      - 0
    .max_flat_workgroup_size: 256
    .name:           _ZN7rocprim17ROCPRIM_400000_NS6detail17trampoline_kernelINS0_14default_configENS1_20scan_config_selectorItEEZZNS1_9scan_implILNS1_25lookback_scan_determinismE0ELb0ELb0ES3_N6thrust23THRUST_200600_302600_NS6detail15normal_iteratorINS9_10device_ptrItEEEESE_t11max_functorItEtEEDaPvRmT3_T4_T5_mT6_P12ihipStream_tbENKUlT_T0_E_clISt17integral_constantIbLb1EESU_EEDaSP_SQ_EUlSP_E0_NS1_11comp_targetILNS1_3genE2ELNS1_11target_archE906ELNS1_3gpuE6ELNS1_3repE0EEENS1_30default_config_static_selectorELNS0_4arch9wavefront6targetE1EEEvT1_
    .private_segment_fixed_size: 0
    .sgpr_count:     4
    .sgpr_spill_count: 0
    .symbol:         _ZN7rocprim17ROCPRIM_400000_NS6detail17trampoline_kernelINS0_14default_configENS1_20scan_config_selectorItEEZZNS1_9scan_implILNS1_25lookback_scan_determinismE0ELb0ELb0ES3_N6thrust23THRUST_200600_302600_NS6detail15normal_iteratorINS9_10device_ptrItEEEESE_t11max_functorItEtEEDaPvRmT3_T4_T5_mT6_P12ihipStream_tbENKUlT_T0_E_clISt17integral_constantIbLb1EESU_EEDaSP_SQ_EUlSP_E0_NS1_11comp_targetILNS1_3genE2ELNS1_11target_archE906ELNS1_3gpuE6ELNS1_3repE0EEENS1_30default_config_static_selectorELNS0_4arch9wavefront6targetE1EEEvT1_.kd
    .uniform_work_group_size: 1
    .uses_dynamic_stack: false
    .vgpr_count:     0
    .vgpr_spill_count: 0
    .wavefront_size: 64
  - .agpr_count:     0
    .args:
      - .offset:         0
        .size:           32
        .value_kind:     by_value
    .group_segment_fixed_size: 0
    .kernarg_segment_align: 8
    .kernarg_segment_size: 32
    .language:       OpenCL C
    .language_version:
      - 2
      - 0
    .max_flat_workgroup_size: 256
    .name:           _ZN7rocprim17ROCPRIM_400000_NS6detail17trampoline_kernelINS0_14default_configENS1_20scan_config_selectorItEEZZNS1_9scan_implILNS1_25lookback_scan_determinismE0ELb0ELb0ES3_N6thrust23THRUST_200600_302600_NS6detail15normal_iteratorINS9_10device_ptrItEEEESE_t11max_functorItEtEEDaPvRmT3_T4_T5_mT6_P12ihipStream_tbENKUlT_T0_E_clISt17integral_constantIbLb1EESU_EEDaSP_SQ_EUlSP_E0_NS1_11comp_targetILNS1_3genE10ELNS1_11target_archE1201ELNS1_3gpuE5ELNS1_3repE0EEENS1_30default_config_static_selectorELNS0_4arch9wavefront6targetE1EEEvT1_
    .private_segment_fixed_size: 0
    .sgpr_count:     4
    .sgpr_spill_count: 0
    .symbol:         _ZN7rocprim17ROCPRIM_400000_NS6detail17trampoline_kernelINS0_14default_configENS1_20scan_config_selectorItEEZZNS1_9scan_implILNS1_25lookback_scan_determinismE0ELb0ELb0ES3_N6thrust23THRUST_200600_302600_NS6detail15normal_iteratorINS9_10device_ptrItEEEESE_t11max_functorItEtEEDaPvRmT3_T4_T5_mT6_P12ihipStream_tbENKUlT_T0_E_clISt17integral_constantIbLb1EESU_EEDaSP_SQ_EUlSP_E0_NS1_11comp_targetILNS1_3genE10ELNS1_11target_archE1201ELNS1_3gpuE5ELNS1_3repE0EEENS1_30default_config_static_selectorELNS0_4arch9wavefront6targetE1EEEvT1_.kd
    .uniform_work_group_size: 1
    .uses_dynamic_stack: false
    .vgpr_count:     0
    .vgpr_spill_count: 0
    .wavefront_size: 64
  - .agpr_count:     0
    .args:
      - .offset:         0
        .size:           32
        .value_kind:     by_value
    .group_segment_fixed_size: 0
    .kernarg_segment_align: 8
    .kernarg_segment_size: 32
    .language:       OpenCL C
    .language_version:
      - 2
      - 0
    .max_flat_workgroup_size: 256
    .name:           _ZN7rocprim17ROCPRIM_400000_NS6detail17trampoline_kernelINS0_14default_configENS1_20scan_config_selectorItEEZZNS1_9scan_implILNS1_25lookback_scan_determinismE0ELb0ELb0ES3_N6thrust23THRUST_200600_302600_NS6detail15normal_iteratorINS9_10device_ptrItEEEESE_t11max_functorItEtEEDaPvRmT3_T4_T5_mT6_P12ihipStream_tbENKUlT_T0_E_clISt17integral_constantIbLb1EESU_EEDaSP_SQ_EUlSP_E0_NS1_11comp_targetILNS1_3genE10ELNS1_11target_archE1200ELNS1_3gpuE4ELNS1_3repE0EEENS1_30default_config_static_selectorELNS0_4arch9wavefront6targetE1EEEvT1_
    .private_segment_fixed_size: 0
    .sgpr_count:     4
    .sgpr_spill_count: 0
    .symbol:         _ZN7rocprim17ROCPRIM_400000_NS6detail17trampoline_kernelINS0_14default_configENS1_20scan_config_selectorItEEZZNS1_9scan_implILNS1_25lookback_scan_determinismE0ELb0ELb0ES3_N6thrust23THRUST_200600_302600_NS6detail15normal_iteratorINS9_10device_ptrItEEEESE_t11max_functorItEtEEDaPvRmT3_T4_T5_mT6_P12ihipStream_tbENKUlT_T0_E_clISt17integral_constantIbLb1EESU_EEDaSP_SQ_EUlSP_E0_NS1_11comp_targetILNS1_3genE10ELNS1_11target_archE1200ELNS1_3gpuE4ELNS1_3repE0EEENS1_30default_config_static_selectorELNS0_4arch9wavefront6targetE1EEEvT1_.kd
    .uniform_work_group_size: 1
    .uses_dynamic_stack: false
    .vgpr_count:     0
    .vgpr_spill_count: 0
    .wavefront_size: 64
  - .agpr_count:     0
    .args:
      - .offset:         0
        .size:           32
        .value_kind:     by_value
    .group_segment_fixed_size: 0
    .kernarg_segment_align: 8
    .kernarg_segment_size: 32
    .language:       OpenCL C
    .language_version:
      - 2
      - 0
    .max_flat_workgroup_size: 64
    .name:           _ZN7rocprim17ROCPRIM_400000_NS6detail17trampoline_kernelINS0_14default_configENS1_20scan_config_selectorItEEZZNS1_9scan_implILNS1_25lookback_scan_determinismE0ELb0ELb0ES3_N6thrust23THRUST_200600_302600_NS6detail15normal_iteratorINS9_10device_ptrItEEEESE_t11max_functorItEtEEDaPvRmT3_T4_T5_mT6_P12ihipStream_tbENKUlT_T0_E_clISt17integral_constantIbLb1EESU_EEDaSP_SQ_EUlSP_E0_NS1_11comp_targetILNS1_3genE9ELNS1_11target_archE1100ELNS1_3gpuE3ELNS1_3repE0EEENS1_30default_config_static_selectorELNS0_4arch9wavefront6targetE1EEEvT1_
    .private_segment_fixed_size: 0
    .sgpr_count:     4
    .sgpr_spill_count: 0
    .symbol:         _ZN7rocprim17ROCPRIM_400000_NS6detail17trampoline_kernelINS0_14default_configENS1_20scan_config_selectorItEEZZNS1_9scan_implILNS1_25lookback_scan_determinismE0ELb0ELb0ES3_N6thrust23THRUST_200600_302600_NS6detail15normal_iteratorINS9_10device_ptrItEEEESE_t11max_functorItEtEEDaPvRmT3_T4_T5_mT6_P12ihipStream_tbENKUlT_T0_E_clISt17integral_constantIbLb1EESU_EEDaSP_SQ_EUlSP_E0_NS1_11comp_targetILNS1_3genE9ELNS1_11target_archE1100ELNS1_3gpuE3ELNS1_3repE0EEENS1_30default_config_static_selectorELNS0_4arch9wavefront6targetE1EEEvT1_.kd
    .uniform_work_group_size: 1
    .uses_dynamic_stack: false
    .vgpr_count:     0
    .vgpr_spill_count: 0
    .wavefront_size: 64
  - .agpr_count:     0
    .args:
      - .offset:         0
        .size:           32
        .value_kind:     by_value
    .group_segment_fixed_size: 0
    .kernarg_segment_align: 8
    .kernarg_segment_size: 32
    .language:       OpenCL C
    .language_version:
      - 2
      - 0
    .max_flat_workgroup_size: 64
    .name:           _ZN7rocprim17ROCPRIM_400000_NS6detail17trampoline_kernelINS0_14default_configENS1_20scan_config_selectorItEEZZNS1_9scan_implILNS1_25lookback_scan_determinismE0ELb0ELb0ES3_N6thrust23THRUST_200600_302600_NS6detail15normal_iteratorINS9_10device_ptrItEEEESE_t11max_functorItEtEEDaPvRmT3_T4_T5_mT6_P12ihipStream_tbENKUlT_T0_E_clISt17integral_constantIbLb1EESU_EEDaSP_SQ_EUlSP_E0_NS1_11comp_targetILNS1_3genE8ELNS1_11target_archE1030ELNS1_3gpuE2ELNS1_3repE0EEENS1_30default_config_static_selectorELNS0_4arch9wavefront6targetE1EEEvT1_
    .private_segment_fixed_size: 0
    .sgpr_count:     4
    .sgpr_spill_count: 0
    .symbol:         _ZN7rocprim17ROCPRIM_400000_NS6detail17trampoline_kernelINS0_14default_configENS1_20scan_config_selectorItEEZZNS1_9scan_implILNS1_25lookback_scan_determinismE0ELb0ELb0ES3_N6thrust23THRUST_200600_302600_NS6detail15normal_iteratorINS9_10device_ptrItEEEESE_t11max_functorItEtEEDaPvRmT3_T4_T5_mT6_P12ihipStream_tbENKUlT_T0_E_clISt17integral_constantIbLb1EESU_EEDaSP_SQ_EUlSP_E0_NS1_11comp_targetILNS1_3genE8ELNS1_11target_archE1030ELNS1_3gpuE2ELNS1_3repE0EEENS1_30default_config_static_selectorELNS0_4arch9wavefront6targetE1EEEvT1_.kd
    .uniform_work_group_size: 1
    .uses_dynamic_stack: false
    .vgpr_count:     0
    .vgpr_spill_count: 0
    .wavefront_size: 64
  - .agpr_count:     0
    .args:
      - .address_space:  global
        .offset:         0
        .size:           8
        .value_kind:     global_buffer
      - .offset:         8
        .size:           4
        .value_kind:     by_value
      - .offset:         12
        .size:           1
        .value_kind:     by_value
      - .offset:         16
        .size:           4
        .value_kind:     by_value
      - .address_space:  global
        .offset:         24
        .size:           8
        .value_kind:     global_buffer
      - .offset:         32
        .size:           4
        .value_kind:     hidden_block_count_x
      - .offset:         36
        .size:           4
        .value_kind:     hidden_block_count_y
      - .offset:         40
        .size:           4
        .value_kind:     hidden_block_count_z
      - .offset:         44
        .size:           2
        .value_kind:     hidden_group_size_x
      - .offset:         46
        .size:           2
        .value_kind:     hidden_group_size_y
      - .offset:         48
        .size:           2
        .value_kind:     hidden_group_size_z
      - .offset:         50
        .size:           2
        .value_kind:     hidden_remainder_x
      - .offset:         52
        .size:           2
        .value_kind:     hidden_remainder_y
      - .offset:         54
        .size:           2
        .value_kind:     hidden_remainder_z
      - .offset:         72
        .size:           8
        .value_kind:     hidden_global_offset_x
      - .offset:         80
        .size:           8
        .value_kind:     hidden_global_offset_y
      - .offset:         88
        .size:           8
        .value_kind:     hidden_global_offset_z
      - .offset:         96
        .size:           2
        .value_kind:     hidden_grid_dims
    .group_segment_fixed_size: 0
    .kernarg_segment_align: 8
    .kernarg_segment_size: 288
    .language:       OpenCL C
    .language_version:
      - 2
      - 0
    .max_flat_workgroup_size: 256
    .name:           _ZN7rocprim17ROCPRIM_400000_NS6detail31init_lookback_scan_state_kernelINS1_19lookback_scan_stateItLb1ELb1EEENS1_16block_id_wrapperIjLb0EEEEEvT_jT0_jPNS7_10value_typeE
    .private_segment_fixed_size: 0
    .sgpr_count:     16
    .sgpr_spill_count: 0
    .symbol:         _ZN7rocprim17ROCPRIM_400000_NS6detail31init_lookback_scan_state_kernelINS1_19lookback_scan_stateItLb1ELb1EEENS1_16block_id_wrapperIjLb0EEEEEvT_jT0_jPNS7_10value_typeE.kd
    .uniform_work_group_size: 1
    .uses_dynamic_stack: false
    .vgpr_count:     6
    .vgpr_spill_count: 0
    .wavefront_size: 64
  - .agpr_count:     0
    .args:
      - .offset:         0
        .size:           96
        .value_kind:     by_value
    .group_segment_fixed_size: 0
    .kernarg_segment_align: 8
    .kernarg_segment_size: 96
    .language:       OpenCL C
    .language_version:
      - 2
      - 0
    .max_flat_workgroup_size: 128
    .name:           _ZN7rocprim17ROCPRIM_400000_NS6detail17trampoline_kernelINS0_14default_configENS1_20scan_config_selectorItEEZZNS1_9scan_implILNS1_25lookback_scan_determinismE0ELb0ELb0ES3_N6thrust23THRUST_200600_302600_NS6detail15normal_iteratorINS9_10device_ptrItEEEESE_t11max_functorItEtEEDaPvRmT3_T4_T5_mT6_P12ihipStream_tbENKUlT_T0_E_clISt17integral_constantIbLb1EEST_IbLb0EEEEDaSP_SQ_EUlSP_E_NS1_11comp_targetILNS1_3genE0ELNS1_11target_archE4294967295ELNS1_3gpuE0ELNS1_3repE0EEENS1_30default_config_static_selectorELNS0_4arch9wavefront6targetE1EEEvT1_
    .private_segment_fixed_size: 0
    .sgpr_count:     4
    .sgpr_spill_count: 0
    .symbol:         _ZN7rocprim17ROCPRIM_400000_NS6detail17trampoline_kernelINS0_14default_configENS1_20scan_config_selectorItEEZZNS1_9scan_implILNS1_25lookback_scan_determinismE0ELb0ELb0ES3_N6thrust23THRUST_200600_302600_NS6detail15normal_iteratorINS9_10device_ptrItEEEESE_t11max_functorItEtEEDaPvRmT3_T4_T5_mT6_P12ihipStream_tbENKUlT_T0_E_clISt17integral_constantIbLb1EEST_IbLb0EEEEDaSP_SQ_EUlSP_E_NS1_11comp_targetILNS1_3genE0ELNS1_11target_archE4294967295ELNS1_3gpuE0ELNS1_3repE0EEENS1_30default_config_static_selectorELNS0_4arch9wavefront6targetE1EEEvT1_.kd
    .uniform_work_group_size: 1
    .uses_dynamic_stack: false
    .vgpr_count:     0
    .vgpr_spill_count: 0
    .wavefront_size: 64
  - .agpr_count:     0
    .args:
      - .offset:         0
        .size:           96
        .value_kind:     by_value
    .group_segment_fixed_size: 0
    .kernarg_segment_align: 8
    .kernarg_segment_size: 96
    .language:       OpenCL C
    .language_version:
      - 2
      - 0
    .max_flat_workgroup_size: 256
    .name:           _ZN7rocprim17ROCPRIM_400000_NS6detail17trampoline_kernelINS0_14default_configENS1_20scan_config_selectorItEEZZNS1_9scan_implILNS1_25lookback_scan_determinismE0ELb0ELb0ES3_N6thrust23THRUST_200600_302600_NS6detail15normal_iteratorINS9_10device_ptrItEEEESE_t11max_functorItEtEEDaPvRmT3_T4_T5_mT6_P12ihipStream_tbENKUlT_T0_E_clISt17integral_constantIbLb1EEST_IbLb0EEEEDaSP_SQ_EUlSP_E_NS1_11comp_targetILNS1_3genE5ELNS1_11target_archE942ELNS1_3gpuE9ELNS1_3repE0EEENS1_30default_config_static_selectorELNS0_4arch9wavefront6targetE1EEEvT1_
    .private_segment_fixed_size: 0
    .sgpr_count:     4
    .sgpr_spill_count: 0
    .symbol:         _ZN7rocprim17ROCPRIM_400000_NS6detail17trampoline_kernelINS0_14default_configENS1_20scan_config_selectorItEEZZNS1_9scan_implILNS1_25lookback_scan_determinismE0ELb0ELb0ES3_N6thrust23THRUST_200600_302600_NS6detail15normal_iteratorINS9_10device_ptrItEEEESE_t11max_functorItEtEEDaPvRmT3_T4_T5_mT6_P12ihipStream_tbENKUlT_T0_E_clISt17integral_constantIbLb1EEST_IbLb0EEEEDaSP_SQ_EUlSP_E_NS1_11comp_targetILNS1_3genE5ELNS1_11target_archE942ELNS1_3gpuE9ELNS1_3repE0EEENS1_30default_config_static_selectorELNS0_4arch9wavefront6targetE1EEEvT1_.kd
    .uniform_work_group_size: 1
    .uses_dynamic_stack: false
    .vgpr_count:     0
    .vgpr_spill_count: 0
    .wavefront_size: 64
  - .agpr_count:     0
    .args:
      - .offset:         0
        .size:           96
        .value_kind:     by_value
    .group_segment_fixed_size: 3072
    .kernarg_segment_align: 8
    .kernarg_segment_size: 96
    .language:       OpenCL C
    .language_version:
      - 2
      - 0
    .max_flat_workgroup_size: 64
    .name:           _ZN7rocprim17ROCPRIM_400000_NS6detail17trampoline_kernelINS0_14default_configENS1_20scan_config_selectorItEEZZNS1_9scan_implILNS1_25lookback_scan_determinismE0ELb0ELb0ES3_N6thrust23THRUST_200600_302600_NS6detail15normal_iteratorINS9_10device_ptrItEEEESE_t11max_functorItEtEEDaPvRmT3_T4_T5_mT6_P12ihipStream_tbENKUlT_T0_E_clISt17integral_constantIbLb1EEST_IbLb0EEEEDaSP_SQ_EUlSP_E_NS1_11comp_targetILNS1_3genE4ELNS1_11target_archE910ELNS1_3gpuE8ELNS1_3repE0EEENS1_30default_config_static_selectorELNS0_4arch9wavefront6targetE1EEEvT1_
    .private_segment_fixed_size: 0
    .sgpr_count:     32
    .sgpr_spill_count: 0
    .symbol:         _ZN7rocprim17ROCPRIM_400000_NS6detail17trampoline_kernelINS0_14default_configENS1_20scan_config_selectorItEEZZNS1_9scan_implILNS1_25lookback_scan_determinismE0ELb0ELb0ES3_N6thrust23THRUST_200600_302600_NS6detail15normal_iteratorINS9_10device_ptrItEEEESE_t11max_functorItEtEEDaPvRmT3_T4_T5_mT6_P12ihipStream_tbENKUlT_T0_E_clISt17integral_constantIbLb1EEST_IbLb0EEEEDaSP_SQ_EUlSP_E_NS1_11comp_targetILNS1_3genE4ELNS1_11target_archE910ELNS1_3gpuE8ELNS1_3repE0EEENS1_30default_config_static_selectorELNS0_4arch9wavefront6targetE1EEEvT1_.kd
    .uniform_work_group_size: 1
    .uses_dynamic_stack: false
    .vgpr_count:     57
    .vgpr_spill_count: 0
    .wavefront_size: 64
  - .agpr_count:     0
    .args:
      - .offset:         0
        .size:           96
        .value_kind:     by_value
    .group_segment_fixed_size: 0
    .kernarg_segment_align: 8
    .kernarg_segment_size: 96
    .language:       OpenCL C
    .language_version:
      - 2
      - 0
    .max_flat_workgroup_size: 128
    .name:           _ZN7rocprim17ROCPRIM_400000_NS6detail17trampoline_kernelINS0_14default_configENS1_20scan_config_selectorItEEZZNS1_9scan_implILNS1_25lookback_scan_determinismE0ELb0ELb0ES3_N6thrust23THRUST_200600_302600_NS6detail15normal_iteratorINS9_10device_ptrItEEEESE_t11max_functorItEtEEDaPvRmT3_T4_T5_mT6_P12ihipStream_tbENKUlT_T0_E_clISt17integral_constantIbLb1EEST_IbLb0EEEEDaSP_SQ_EUlSP_E_NS1_11comp_targetILNS1_3genE3ELNS1_11target_archE908ELNS1_3gpuE7ELNS1_3repE0EEENS1_30default_config_static_selectorELNS0_4arch9wavefront6targetE1EEEvT1_
    .private_segment_fixed_size: 0
    .sgpr_count:     4
    .sgpr_spill_count: 0
    .symbol:         _ZN7rocprim17ROCPRIM_400000_NS6detail17trampoline_kernelINS0_14default_configENS1_20scan_config_selectorItEEZZNS1_9scan_implILNS1_25lookback_scan_determinismE0ELb0ELb0ES3_N6thrust23THRUST_200600_302600_NS6detail15normal_iteratorINS9_10device_ptrItEEEESE_t11max_functorItEtEEDaPvRmT3_T4_T5_mT6_P12ihipStream_tbENKUlT_T0_E_clISt17integral_constantIbLb1EEST_IbLb0EEEEDaSP_SQ_EUlSP_E_NS1_11comp_targetILNS1_3genE3ELNS1_11target_archE908ELNS1_3gpuE7ELNS1_3repE0EEENS1_30default_config_static_selectorELNS0_4arch9wavefront6targetE1EEEvT1_.kd
    .uniform_work_group_size: 1
    .uses_dynamic_stack: false
    .vgpr_count:     0
    .vgpr_spill_count: 0
    .wavefront_size: 64
  - .agpr_count:     0
    .args:
      - .offset:         0
        .size:           96
        .value_kind:     by_value
    .group_segment_fixed_size: 0
    .kernarg_segment_align: 8
    .kernarg_segment_size: 96
    .language:       OpenCL C
    .language_version:
      - 2
      - 0
    .max_flat_workgroup_size: 256
    .name:           _ZN7rocprim17ROCPRIM_400000_NS6detail17trampoline_kernelINS0_14default_configENS1_20scan_config_selectorItEEZZNS1_9scan_implILNS1_25lookback_scan_determinismE0ELb0ELb0ES3_N6thrust23THRUST_200600_302600_NS6detail15normal_iteratorINS9_10device_ptrItEEEESE_t11max_functorItEtEEDaPvRmT3_T4_T5_mT6_P12ihipStream_tbENKUlT_T0_E_clISt17integral_constantIbLb1EEST_IbLb0EEEEDaSP_SQ_EUlSP_E_NS1_11comp_targetILNS1_3genE2ELNS1_11target_archE906ELNS1_3gpuE6ELNS1_3repE0EEENS1_30default_config_static_selectorELNS0_4arch9wavefront6targetE1EEEvT1_
    .private_segment_fixed_size: 0
    .sgpr_count:     4
    .sgpr_spill_count: 0
    .symbol:         _ZN7rocprim17ROCPRIM_400000_NS6detail17trampoline_kernelINS0_14default_configENS1_20scan_config_selectorItEEZZNS1_9scan_implILNS1_25lookback_scan_determinismE0ELb0ELb0ES3_N6thrust23THRUST_200600_302600_NS6detail15normal_iteratorINS9_10device_ptrItEEEESE_t11max_functorItEtEEDaPvRmT3_T4_T5_mT6_P12ihipStream_tbENKUlT_T0_E_clISt17integral_constantIbLb1EEST_IbLb0EEEEDaSP_SQ_EUlSP_E_NS1_11comp_targetILNS1_3genE2ELNS1_11target_archE906ELNS1_3gpuE6ELNS1_3repE0EEENS1_30default_config_static_selectorELNS0_4arch9wavefront6targetE1EEEvT1_.kd
    .uniform_work_group_size: 1
    .uses_dynamic_stack: false
    .vgpr_count:     0
    .vgpr_spill_count: 0
    .wavefront_size: 64
  - .agpr_count:     0
    .args:
      - .offset:         0
        .size:           96
        .value_kind:     by_value
    .group_segment_fixed_size: 0
    .kernarg_segment_align: 8
    .kernarg_segment_size: 96
    .language:       OpenCL C
    .language_version:
      - 2
      - 0
    .max_flat_workgroup_size: 256
    .name:           _ZN7rocprim17ROCPRIM_400000_NS6detail17trampoline_kernelINS0_14default_configENS1_20scan_config_selectorItEEZZNS1_9scan_implILNS1_25lookback_scan_determinismE0ELb0ELb0ES3_N6thrust23THRUST_200600_302600_NS6detail15normal_iteratorINS9_10device_ptrItEEEESE_t11max_functorItEtEEDaPvRmT3_T4_T5_mT6_P12ihipStream_tbENKUlT_T0_E_clISt17integral_constantIbLb1EEST_IbLb0EEEEDaSP_SQ_EUlSP_E_NS1_11comp_targetILNS1_3genE10ELNS1_11target_archE1201ELNS1_3gpuE5ELNS1_3repE0EEENS1_30default_config_static_selectorELNS0_4arch9wavefront6targetE1EEEvT1_
    .private_segment_fixed_size: 0
    .sgpr_count:     4
    .sgpr_spill_count: 0
    .symbol:         _ZN7rocprim17ROCPRIM_400000_NS6detail17trampoline_kernelINS0_14default_configENS1_20scan_config_selectorItEEZZNS1_9scan_implILNS1_25lookback_scan_determinismE0ELb0ELb0ES3_N6thrust23THRUST_200600_302600_NS6detail15normal_iteratorINS9_10device_ptrItEEEESE_t11max_functorItEtEEDaPvRmT3_T4_T5_mT6_P12ihipStream_tbENKUlT_T0_E_clISt17integral_constantIbLb1EEST_IbLb0EEEEDaSP_SQ_EUlSP_E_NS1_11comp_targetILNS1_3genE10ELNS1_11target_archE1201ELNS1_3gpuE5ELNS1_3repE0EEENS1_30default_config_static_selectorELNS0_4arch9wavefront6targetE1EEEvT1_.kd
    .uniform_work_group_size: 1
    .uses_dynamic_stack: false
    .vgpr_count:     0
    .vgpr_spill_count: 0
    .wavefront_size: 64
  - .agpr_count:     0
    .args:
      - .offset:         0
        .size:           96
        .value_kind:     by_value
    .group_segment_fixed_size: 0
    .kernarg_segment_align: 8
    .kernarg_segment_size: 96
    .language:       OpenCL C
    .language_version:
      - 2
      - 0
    .max_flat_workgroup_size: 256
    .name:           _ZN7rocprim17ROCPRIM_400000_NS6detail17trampoline_kernelINS0_14default_configENS1_20scan_config_selectorItEEZZNS1_9scan_implILNS1_25lookback_scan_determinismE0ELb0ELb0ES3_N6thrust23THRUST_200600_302600_NS6detail15normal_iteratorINS9_10device_ptrItEEEESE_t11max_functorItEtEEDaPvRmT3_T4_T5_mT6_P12ihipStream_tbENKUlT_T0_E_clISt17integral_constantIbLb1EEST_IbLb0EEEEDaSP_SQ_EUlSP_E_NS1_11comp_targetILNS1_3genE10ELNS1_11target_archE1200ELNS1_3gpuE4ELNS1_3repE0EEENS1_30default_config_static_selectorELNS0_4arch9wavefront6targetE1EEEvT1_
    .private_segment_fixed_size: 0
    .sgpr_count:     4
    .sgpr_spill_count: 0
    .symbol:         _ZN7rocprim17ROCPRIM_400000_NS6detail17trampoline_kernelINS0_14default_configENS1_20scan_config_selectorItEEZZNS1_9scan_implILNS1_25lookback_scan_determinismE0ELb0ELb0ES3_N6thrust23THRUST_200600_302600_NS6detail15normal_iteratorINS9_10device_ptrItEEEESE_t11max_functorItEtEEDaPvRmT3_T4_T5_mT6_P12ihipStream_tbENKUlT_T0_E_clISt17integral_constantIbLb1EEST_IbLb0EEEEDaSP_SQ_EUlSP_E_NS1_11comp_targetILNS1_3genE10ELNS1_11target_archE1200ELNS1_3gpuE4ELNS1_3repE0EEENS1_30default_config_static_selectorELNS0_4arch9wavefront6targetE1EEEvT1_.kd
    .uniform_work_group_size: 1
    .uses_dynamic_stack: false
    .vgpr_count:     0
    .vgpr_spill_count: 0
    .wavefront_size: 64
  - .agpr_count:     0
    .args:
      - .offset:         0
        .size:           96
        .value_kind:     by_value
    .group_segment_fixed_size: 0
    .kernarg_segment_align: 8
    .kernarg_segment_size: 96
    .language:       OpenCL C
    .language_version:
      - 2
      - 0
    .max_flat_workgroup_size: 64
    .name:           _ZN7rocprim17ROCPRIM_400000_NS6detail17trampoline_kernelINS0_14default_configENS1_20scan_config_selectorItEEZZNS1_9scan_implILNS1_25lookback_scan_determinismE0ELb0ELb0ES3_N6thrust23THRUST_200600_302600_NS6detail15normal_iteratorINS9_10device_ptrItEEEESE_t11max_functorItEtEEDaPvRmT3_T4_T5_mT6_P12ihipStream_tbENKUlT_T0_E_clISt17integral_constantIbLb1EEST_IbLb0EEEEDaSP_SQ_EUlSP_E_NS1_11comp_targetILNS1_3genE9ELNS1_11target_archE1100ELNS1_3gpuE3ELNS1_3repE0EEENS1_30default_config_static_selectorELNS0_4arch9wavefront6targetE1EEEvT1_
    .private_segment_fixed_size: 0
    .sgpr_count:     4
    .sgpr_spill_count: 0
    .symbol:         _ZN7rocprim17ROCPRIM_400000_NS6detail17trampoline_kernelINS0_14default_configENS1_20scan_config_selectorItEEZZNS1_9scan_implILNS1_25lookback_scan_determinismE0ELb0ELb0ES3_N6thrust23THRUST_200600_302600_NS6detail15normal_iteratorINS9_10device_ptrItEEEESE_t11max_functorItEtEEDaPvRmT3_T4_T5_mT6_P12ihipStream_tbENKUlT_T0_E_clISt17integral_constantIbLb1EEST_IbLb0EEEEDaSP_SQ_EUlSP_E_NS1_11comp_targetILNS1_3genE9ELNS1_11target_archE1100ELNS1_3gpuE3ELNS1_3repE0EEENS1_30default_config_static_selectorELNS0_4arch9wavefront6targetE1EEEvT1_.kd
    .uniform_work_group_size: 1
    .uses_dynamic_stack: false
    .vgpr_count:     0
    .vgpr_spill_count: 0
    .wavefront_size: 64
  - .agpr_count:     0
    .args:
      - .offset:         0
        .size:           96
        .value_kind:     by_value
    .group_segment_fixed_size: 0
    .kernarg_segment_align: 8
    .kernarg_segment_size: 96
    .language:       OpenCL C
    .language_version:
      - 2
      - 0
    .max_flat_workgroup_size: 64
    .name:           _ZN7rocprim17ROCPRIM_400000_NS6detail17trampoline_kernelINS0_14default_configENS1_20scan_config_selectorItEEZZNS1_9scan_implILNS1_25lookback_scan_determinismE0ELb0ELb0ES3_N6thrust23THRUST_200600_302600_NS6detail15normal_iteratorINS9_10device_ptrItEEEESE_t11max_functorItEtEEDaPvRmT3_T4_T5_mT6_P12ihipStream_tbENKUlT_T0_E_clISt17integral_constantIbLb1EEST_IbLb0EEEEDaSP_SQ_EUlSP_E_NS1_11comp_targetILNS1_3genE8ELNS1_11target_archE1030ELNS1_3gpuE2ELNS1_3repE0EEENS1_30default_config_static_selectorELNS0_4arch9wavefront6targetE1EEEvT1_
    .private_segment_fixed_size: 0
    .sgpr_count:     4
    .sgpr_spill_count: 0
    .symbol:         _ZN7rocprim17ROCPRIM_400000_NS6detail17trampoline_kernelINS0_14default_configENS1_20scan_config_selectorItEEZZNS1_9scan_implILNS1_25lookback_scan_determinismE0ELb0ELb0ES3_N6thrust23THRUST_200600_302600_NS6detail15normal_iteratorINS9_10device_ptrItEEEESE_t11max_functorItEtEEDaPvRmT3_T4_T5_mT6_P12ihipStream_tbENKUlT_T0_E_clISt17integral_constantIbLb1EEST_IbLb0EEEEDaSP_SQ_EUlSP_E_NS1_11comp_targetILNS1_3genE8ELNS1_11target_archE1030ELNS1_3gpuE2ELNS1_3repE0EEENS1_30default_config_static_selectorELNS0_4arch9wavefront6targetE1EEEvT1_.kd
    .uniform_work_group_size: 1
    .uses_dynamic_stack: false
    .vgpr_count:     0
    .vgpr_spill_count: 0
    .wavefront_size: 64
  - .agpr_count:     0
    .args:
      - .offset:         0
        .size:           32
        .value_kind:     by_value
    .group_segment_fixed_size: 0
    .kernarg_segment_align: 8
    .kernarg_segment_size: 32
    .language:       OpenCL C
    .language_version:
      - 2
      - 0
    .max_flat_workgroup_size: 128
    .name:           _ZN7rocprim17ROCPRIM_400000_NS6detail17trampoline_kernelINS0_14default_configENS1_20scan_config_selectorItEEZZNS1_9scan_implILNS1_25lookback_scan_determinismE0ELb0ELb0ES3_N6thrust23THRUST_200600_302600_NS6detail15normal_iteratorINS9_10device_ptrItEEEESE_t11max_functorItEtEEDaPvRmT3_T4_T5_mT6_P12ihipStream_tbENKUlT_T0_E_clISt17integral_constantIbLb1EEST_IbLb0EEEEDaSP_SQ_EUlSP_E0_NS1_11comp_targetILNS1_3genE0ELNS1_11target_archE4294967295ELNS1_3gpuE0ELNS1_3repE0EEENS1_30default_config_static_selectorELNS0_4arch9wavefront6targetE1EEEvT1_
    .private_segment_fixed_size: 0
    .sgpr_count:     4
    .sgpr_spill_count: 0
    .symbol:         _ZN7rocprim17ROCPRIM_400000_NS6detail17trampoline_kernelINS0_14default_configENS1_20scan_config_selectorItEEZZNS1_9scan_implILNS1_25lookback_scan_determinismE0ELb0ELb0ES3_N6thrust23THRUST_200600_302600_NS6detail15normal_iteratorINS9_10device_ptrItEEEESE_t11max_functorItEtEEDaPvRmT3_T4_T5_mT6_P12ihipStream_tbENKUlT_T0_E_clISt17integral_constantIbLb1EEST_IbLb0EEEEDaSP_SQ_EUlSP_E0_NS1_11comp_targetILNS1_3genE0ELNS1_11target_archE4294967295ELNS1_3gpuE0ELNS1_3repE0EEENS1_30default_config_static_selectorELNS0_4arch9wavefront6targetE1EEEvT1_.kd
    .uniform_work_group_size: 1
    .uses_dynamic_stack: false
    .vgpr_count:     0
    .vgpr_spill_count: 0
    .wavefront_size: 64
  - .agpr_count:     0
    .args:
      - .offset:         0
        .size:           32
        .value_kind:     by_value
    .group_segment_fixed_size: 0
    .kernarg_segment_align: 8
    .kernarg_segment_size: 32
    .language:       OpenCL C
    .language_version:
      - 2
      - 0
    .max_flat_workgroup_size: 256
    .name:           _ZN7rocprim17ROCPRIM_400000_NS6detail17trampoline_kernelINS0_14default_configENS1_20scan_config_selectorItEEZZNS1_9scan_implILNS1_25lookback_scan_determinismE0ELb0ELb0ES3_N6thrust23THRUST_200600_302600_NS6detail15normal_iteratorINS9_10device_ptrItEEEESE_t11max_functorItEtEEDaPvRmT3_T4_T5_mT6_P12ihipStream_tbENKUlT_T0_E_clISt17integral_constantIbLb1EEST_IbLb0EEEEDaSP_SQ_EUlSP_E0_NS1_11comp_targetILNS1_3genE5ELNS1_11target_archE942ELNS1_3gpuE9ELNS1_3repE0EEENS1_30default_config_static_selectorELNS0_4arch9wavefront6targetE1EEEvT1_
    .private_segment_fixed_size: 0
    .sgpr_count:     4
    .sgpr_spill_count: 0
    .symbol:         _ZN7rocprim17ROCPRIM_400000_NS6detail17trampoline_kernelINS0_14default_configENS1_20scan_config_selectorItEEZZNS1_9scan_implILNS1_25lookback_scan_determinismE0ELb0ELb0ES3_N6thrust23THRUST_200600_302600_NS6detail15normal_iteratorINS9_10device_ptrItEEEESE_t11max_functorItEtEEDaPvRmT3_T4_T5_mT6_P12ihipStream_tbENKUlT_T0_E_clISt17integral_constantIbLb1EEST_IbLb0EEEEDaSP_SQ_EUlSP_E0_NS1_11comp_targetILNS1_3genE5ELNS1_11target_archE942ELNS1_3gpuE9ELNS1_3repE0EEENS1_30default_config_static_selectorELNS0_4arch9wavefront6targetE1EEEvT1_.kd
    .uniform_work_group_size: 1
    .uses_dynamic_stack: false
    .vgpr_count:     0
    .vgpr_spill_count: 0
    .wavefront_size: 64
  - .agpr_count:     0
    .args:
      - .offset:         0
        .size:           32
        .value_kind:     by_value
    .group_segment_fixed_size: 3072
    .kernarg_segment_align: 8
    .kernarg_segment_size: 32
    .language:       OpenCL C
    .language_version:
      - 2
      - 0
    .max_flat_workgroup_size: 64
    .name:           _ZN7rocprim17ROCPRIM_400000_NS6detail17trampoline_kernelINS0_14default_configENS1_20scan_config_selectorItEEZZNS1_9scan_implILNS1_25lookback_scan_determinismE0ELb0ELb0ES3_N6thrust23THRUST_200600_302600_NS6detail15normal_iteratorINS9_10device_ptrItEEEESE_t11max_functorItEtEEDaPvRmT3_T4_T5_mT6_P12ihipStream_tbENKUlT_T0_E_clISt17integral_constantIbLb1EEST_IbLb0EEEEDaSP_SQ_EUlSP_E0_NS1_11comp_targetILNS1_3genE4ELNS1_11target_archE910ELNS1_3gpuE8ELNS1_3repE0EEENS1_30default_config_static_selectorELNS0_4arch9wavefront6targetE1EEEvT1_
    .private_segment_fixed_size: 0
    .sgpr_count:     60
    .sgpr_spill_count: 0
    .symbol:         _ZN7rocprim17ROCPRIM_400000_NS6detail17trampoline_kernelINS0_14default_configENS1_20scan_config_selectorItEEZZNS1_9scan_implILNS1_25lookback_scan_determinismE0ELb0ELb0ES3_N6thrust23THRUST_200600_302600_NS6detail15normal_iteratorINS9_10device_ptrItEEEESE_t11max_functorItEtEEDaPvRmT3_T4_T5_mT6_P12ihipStream_tbENKUlT_T0_E_clISt17integral_constantIbLb1EEST_IbLb0EEEEDaSP_SQ_EUlSP_E0_NS1_11comp_targetILNS1_3genE4ELNS1_11target_archE910ELNS1_3gpuE8ELNS1_3repE0EEENS1_30default_config_static_selectorELNS0_4arch9wavefront6targetE1EEEvT1_.kd
    .uniform_work_group_size: 1
    .uses_dynamic_stack: false
    .vgpr_count:     43
    .vgpr_spill_count: 0
    .wavefront_size: 64
  - .agpr_count:     0
    .args:
      - .offset:         0
        .size:           32
        .value_kind:     by_value
    .group_segment_fixed_size: 0
    .kernarg_segment_align: 8
    .kernarg_segment_size: 32
    .language:       OpenCL C
    .language_version:
      - 2
      - 0
    .max_flat_workgroup_size: 128
    .name:           _ZN7rocprim17ROCPRIM_400000_NS6detail17trampoline_kernelINS0_14default_configENS1_20scan_config_selectorItEEZZNS1_9scan_implILNS1_25lookback_scan_determinismE0ELb0ELb0ES3_N6thrust23THRUST_200600_302600_NS6detail15normal_iteratorINS9_10device_ptrItEEEESE_t11max_functorItEtEEDaPvRmT3_T4_T5_mT6_P12ihipStream_tbENKUlT_T0_E_clISt17integral_constantIbLb1EEST_IbLb0EEEEDaSP_SQ_EUlSP_E0_NS1_11comp_targetILNS1_3genE3ELNS1_11target_archE908ELNS1_3gpuE7ELNS1_3repE0EEENS1_30default_config_static_selectorELNS0_4arch9wavefront6targetE1EEEvT1_
    .private_segment_fixed_size: 0
    .sgpr_count:     4
    .sgpr_spill_count: 0
    .symbol:         _ZN7rocprim17ROCPRIM_400000_NS6detail17trampoline_kernelINS0_14default_configENS1_20scan_config_selectorItEEZZNS1_9scan_implILNS1_25lookback_scan_determinismE0ELb0ELb0ES3_N6thrust23THRUST_200600_302600_NS6detail15normal_iteratorINS9_10device_ptrItEEEESE_t11max_functorItEtEEDaPvRmT3_T4_T5_mT6_P12ihipStream_tbENKUlT_T0_E_clISt17integral_constantIbLb1EEST_IbLb0EEEEDaSP_SQ_EUlSP_E0_NS1_11comp_targetILNS1_3genE3ELNS1_11target_archE908ELNS1_3gpuE7ELNS1_3repE0EEENS1_30default_config_static_selectorELNS0_4arch9wavefront6targetE1EEEvT1_.kd
    .uniform_work_group_size: 1
    .uses_dynamic_stack: false
    .vgpr_count:     0
    .vgpr_spill_count: 0
    .wavefront_size: 64
  - .agpr_count:     0
    .args:
      - .offset:         0
        .size:           32
        .value_kind:     by_value
    .group_segment_fixed_size: 0
    .kernarg_segment_align: 8
    .kernarg_segment_size: 32
    .language:       OpenCL C
    .language_version:
      - 2
      - 0
    .max_flat_workgroup_size: 256
    .name:           _ZN7rocprim17ROCPRIM_400000_NS6detail17trampoline_kernelINS0_14default_configENS1_20scan_config_selectorItEEZZNS1_9scan_implILNS1_25lookback_scan_determinismE0ELb0ELb0ES3_N6thrust23THRUST_200600_302600_NS6detail15normal_iteratorINS9_10device_ptrItEEEESE_t11max_functorItEtEEDaPvRmT3_T4_T5_mT6_P12ihipStream_tbENKUlT_T0_E_clISt17integral_constantIbLb1EEST_IbLb0EEEEDaSP_SQ_EUlSP_E0_NS1_11comp_targetILNS1_3genE2ELNS1_11target_archE906ELNS1_3gpuE6ELNS1_3repE0EEENS1_30default_config_static_selectorELNS0_4arch9wavefront6targetE1EEEvT1_
    .private_segment_fixed_size: 0
    .sgpr_count:     4
    .sgpr_spill_count: 0
    .symbol:         _ZN7rocprim17ROCPRIM_400000_NS6detail17trampoline_kernelINS0_14default_configENS1_20scan_config_selectorItEEZZNS1_9scan_implILNS1_25lookback_scan_determinismE0ELb0ELb0ES3_N6thrust23THRUST_200600_302600_NS6detail15normal_iteratorINS9_10device_ptrItEEEESE_t11max_functorItEtEEDaPvRmT3_T4_T5_mT6_P12ihipStream_tbENKUlT_T0_E_clISt17integral_constantIbLb1EEST_IbLb0EEEEDaSP_SQ_EUlSP_E0_NS1_11comp_targetILNS1_3genE2ELNS1_11target_archE906ELNS1_3gpuE6ELNS1_3repE0EEENS1_30default_config_static_selectorELNS0_4arch9wavefront6targetE1EEEvT1_.kd
    .uniform_work_group_size: 1
    .uses_dynamic_stack: false
    .vgpr_count:     0
    .vgpr_spill_count: 0
    .wavefront_size: 64
  - .agpr_count:     0
    .args:
      - .offset:         0
        .size:           32
        .value_kind:     by_value
    .group_segment_fixed_size: 0
    .kernarg_segment_align: 8
    .kernarg_segment_size: 32
    .language:       OpenCL C
    .language_version:
      - 2
      - 0
    .max_flat_workgroup_size: 256
    .name:           _ZN7rocprim17ROCPRIM_400000_NS6detail17trampoline_kernelINS0_14default_configENS1_20scan_config_selectorItEEZZNS1_9scan_implILNS1_25lookback_scan_determinismE0ELb0ELb0ES3_N6thrust23THRUST_200600_302600_NS6detail15normal_iteratorINS9_10device_ptrItEEEESE_t11max_functorItEtEEDaPvRmT3_T4_T5_mT6_P12ihipStream_tbENKUlT_T0_E_clISt17integral_constantIbLb1EEST_IbLb0EEEEDaSP_SQ_EUlSP_E0_NS1_11comp_targetILNS1_3genE10ELNS1_11target_archE1201ELNS1_3gpuE5ELNS1_3repE0EEENS1_30default_config_static_selectorELNS0_4arch9wavefront6targetE1EEEvT1_
    .private_segment_fixed_size: 0
    .sgpr_count:     4
    .sgpr_spill_count: 0
    .symbol:         _ZN7rocprim17ROCPRIM_400000_NS6detail17trampoline_kernelINS0_14default_configENS1_20scan_config_selectorItEEZZNS1_9scan_implILNS1_25lookback_scan_determinismE0ELb0ELb0ES3_N6thrust23THRUST_200600_302600_NS6detail15normal_iteratorINS9_10device_ptrItEEEESE_t11max_functorItEtEEDaPvRmT3_T4_T5_mT6_P12ihipStream_tbENKUlT_T0_E_clISt17integral_constantIbLb1EEST_IbLb0EEEEDaSP_SQ_EUlSP_E0_NS1_11comp_targetILNS1_3genE10ELNS1_11target_archE1201ELNS1_3gpuE5ELNS1_3repE0EEENS1_30default_config_static_selectorELNS0_4arch9wavefront6targetE1EEEvT1_.kd
    .uniform_work_group_size: 1
    .uses_dynamic_stack: false
    .vgpr_count:     0
    .vgpr_spill_count: 0
    .wavefront_size: 64
  - .agpr_count:     0
    .args:
      - .offset:         0
        .size:           32
        .value_kind:     by_value
    .group_segment_fixed_size: 0
    .kernarg_segment_align: 8
    .kernarg_segment_size: 32
    .language:       OpenCL C
    .language_version:
      - 2
      - 0
    .max_flat_workgroup_size: 256
    .name:           _ZN7rocprim17ROCPRIM_400000_NS6detail17trampoline_kernelINS0_14default_configENS1_20scan_config_selectorItEEZZNS1_9scan_implILNS1_25lookback_scan_determinismE0ELb0ELb0ES3_N6thrust23THRUST_200600_302600_NS6detail15normal_iteratorINS9_10device_ptrItEEEESE_t11max_functorItEtEEDaPvRmT3_T4_T5_mT6_P12ihipStream_tbENKUlT_T0_E_clISt17integral_constantIbLb1EEST_IbLb0EEEEDaSP_SQ_EUlSP_E0_NS1_11comp_targetILNS1_3genE10ELNS1_11target_archE1200ELNS1_3gpuE4ELNS1_3repE0EEENS1_30default_config_static_selectorELNS0_4arch9wavefront6targetE1EEEvT1_
    .private_segment_fixed_size: 0
    .sgpr_count:     4
    .sgpr_spill_count: 0
    .symbol:         _ZN7rocprim17ROCPRIM_400000_NS6detail17trampoline_kernelINS0_14default_configENS1_20scan_config_selectorItEEZZNS1_9scan_implILNS1_25lookback_scan_determinismE0ELb0ELb0ES3_N6thrust23THRUST_200600_302600_NS6detail15normal_iteratorINS9_10device_ptrItEEEESE_t11max_functorItEtEEDaPvRmT3_T4_T5_mT6_P12ihipStream_tbENKUlT_T0_E_clISt17integral_constantIbLb1EEST_IbLb0EEEEDaSP_SQ_EUlSP_E0_NS1_11comp_targetILNS1_3genE10ELNS1_11target_archE1200ELNS1_3gpuE4ELNS1_3repE0EEENS1_30default_config_static_selectorELNS0_4arch9wavefront6targetE1EEEvT1_.kd
    .uniform_work_group_size: 1
    .uses_dynamic_stack: false
    .vgpr_count:     0
    .vgpr_spill_count: 0
    .wavefront_size: 64
  - .agpr_count:     0
    .args:
      - .offset:         0
        .size:           32
        .value_kind:     by_value
    .group_segment_fixed_size: 0
    .kernarg_segment_align: 8
    .kernarg_segment_size: 32
    .language:       OpenCL C
    .language_version:
      - 2
      - 0
    .max_flat_workgroup_size: 64
    .name:           _ZN7rocprim17ROCPRIM_400000_NS6detail17trampoline_kernelINS0_14default_configENS1_20scan_config_selectorItEEZZNS1_9scan_implILNS1_25lookback_scan_determinismE0ELb0ELb0ES3_N6thrust23THRUST_200600_302600_NS6detail15normal_iteratorINS9_10device_ptrItEEEESE_t11max_functorItEtEEDaPvRmT3_T4_T5_mT6_P12ihipStream_tbENKUlT_T0_E_clISt17integral_constantIbLb1EEST_IbLb0EEEEDaSP_SQ_EUlSP_E0_NS1_11comp_targetILNS1_3genE9ELNS1_11target_archE1100ELNS1_3gpuE3ELNS1_3repE0EEENS1_30default_config_static_selectorELNS0_4arch9wavefront6targetE1EEEvT1_
    .private_segment_fixed_size: 0
    .sgpr_count:     4
    .sgpr_spill_count: 0
    .symbol:         _ZN7rocprim17ROCPRIM_400000_NS6detail17trampoline_kernelINS0_14default_configENS1_20scan_config_selectorItEEZZNS1_9scan_implILNS1_25lookback_scan_determinismE0ELb0ELb0ES3_N6thrust23THRUST_200600_302600_NS6detail15normal_iteratorINS9_10device_ptrItEEEESE_t11max_functorItEtEEDaPvRmT3_T4_T5_mT6_P12ihipStream_tbENKUlT_T0_E_clISt17integral_constantIbLb1EEST_IbLb0EEEEDaSP_SQ_EUlSP_E0_NS1_11comp_targetILNS1_3genE9ELNS1_11target_archE1100ELNS1_3gpuE3ELNS1_3repE0EEENS1_30default_config_static_selectorELNS0_4arch9wavefront6targetE1EEEvT1_.kd
    .uniform_work_group_size: 1
    .uses_dynamic_stack: false
    .vgpr_count:     0
    .vgpr_spill_count: 0
    .wavefront_size: 64
  - .agpr_count:     0
    .args:
      - .offset:         0
        .size:           32
        .value_kind:     by_value
    .group_segment_fixed_size: 0
    .kernarg_segment_align: 8
    .kernarg_segment_size: 32
    .language:       OpenCL C
    .language_version:
      - 2
      - 0
    .max_flat_workgroup_size: 64
    .name:           _ZN7rocprim17ROCPRIM_400000_NS6detail17trampoline_kernelINS0_14default_configENS1_20scan_config_selectorItEEZZNS1_9scan_implILNS1_25lookback_scan_determinismE0ELb0ELb0ES3_N6thrust23THRUST_200600_302600_NS6detail15normal_iteratorINS9_10device_ptrItEEEESE_t11max_functorItEtEEDaPvRmT3_T4_T5_mT6_P12ihipStream_tbENKUlT_T0_E_clISt17integral_constantIbLb1EEST_IbLb0EEEEDaSP_SQ_EUlSP_E0_NS1_11comp_targetILNS1_3genE8ELNS1_11target_archE1030ELNS1_3gpuE2ELNS1_3repE0EEENS1_30default_config_static_selectorELNS0_4arch9wavefront6targetE1EEEvT1_
    .private_segment_fixed_size: 0
    .sgpr_count:     4
    .sgpr_spill_count: 0
    .symbol:         _ZN7rocprim17ROCPRIM_400000_NS6detail17trampoline_kernelINS0_14default_configENS1_20scan_config_selectorItEEZZNS1_9scan_implILNS1_25lookback_scan_determinismE0ELb0ELb0ES3_N6thrust23THRUST_200600_302600_NS6detail15normal_iteratorINS9_10device_ptrItEEEESE_t11max_functorItEtEEDaPvRmT3_T4_T5_mT6_P12ihipStream_tbENKUlT_T0_E_clISt17integral_constantIbLb1EEST_IbLb0EEEEDaSP_SQ_EUlSP_E0_NS1_11comp_targetILNS1_3genE8ELNS1_11target_archE1030ELNS1_3gpuE2ELNS1_3repE0EEENS1_30default_config_static_selectorELNS0_4arch9wavefront6targetE1EEEvT1_.kd
    .uniform_work_group_size: 1
    .uses_dynamic_stack: false
    .vgpr_count:     0
    .vgpr_spill_count: 0
    .wavefront_size: 64
  - .agpr_count:     0
    .args:
      - .address_space:  global
        .offset:         0
        .size:           8
        .value_kind:     global_buffer
      - .offset:         8
        .size:           4
        .value_kind:     by_value
      - .address_space:  global
        .offset:         16
        .size:           8
        .value_kind:     global_buffer
      - .offset:         24
        .size:           4
        .value_kind:     by_value
      - .address_space:  global
        .offset:         32
        .size:           8
        .value_kind:     global_buffer
      - .offset:         40
        .size:           4
        .value_kind:     hidden_block_count_x
      - .offset:         44
        .size:           4
        .value_kind:     hidden_block_count_y
      - .offset:         48
        .size:           4
        .value_kind:     hidden_block_count_z
      - .offset:         52
        .size:           2
        .value_kind:     hidden_group_size_x
      - .offset:         54
        .size:           2
        .value_kind:     hidden_group_size_y
      - .offset:         56
        .size:           2
        .value_kind:     hidden_group_size_z
      - .offset:         58
        .size:           2
        .value_kind:     hidden_remainder_x
      - .offset:         60
        .size:           2
        .value_kind:     hidden_remainder_y
      - .offset:         62
        .size:           2
        .value_kind:     hidden_remainder_z
      - .offset:         80
        .size:           8
        .value_kind:     hidden_global_offset_x
      - .offset:         88
        .size:           8
        .value_kind:     hidden_global_offset_y
      - .offset:         96
        .size:           8
        .value_kind:     hidden_global_offset_z
      - .offset:         104
        .size:           2
        .value_kind:     hidden_grid_dims
    .group_segment_fixed_size: 0
    .kernarg_segment_align: 8
    .kernarg_segment_size: 296
    .language:       OpenCL C
    .language_version:
      - 2
      - 0
    .max_flat_workgroup_size: 256
    .name:           _ZN7rocprim17ROCPRIM_400000_NS6detail31init_lookback_scan_state_kernelINS1_19lookback_scan_stateItLb0ELb1EEENS1_16block_id_wrapperIjLb1EEEEEvT_jT0_jPNS7_10value_typeE
    .private_segment_fixed_size: 0
    .sgpr_count:     15
    .sgpr_spill_count: 0
    .symbol:         _ZN7rocprim17ROCPRIM_400000_NS6detail31init_lookback_scan_state_kernelINS1_19lookback_scan_stateItLb0ELb1EEENS1_16block_id_wrapperIjLb1EEEEEvT_jT0_jPNS7_10value_typeE.kd
    .uniform_work_group_size: 1
    .uses_dynamic_stack: false
    .vgpr_count:     6
    .vgpr_spill_count: 0
    .wavefront_size: 64
  - .agpr_count:     0
    .args:
      - .offset:         0
        .size:           96
        .value_kind:     by_value
    .group_segment_fixed_size: 0
    .kernarg_segment_align: 8
    .kernarg_segment_size: 96
    .language:       OpenCL C
    .language_version:
      - 2
      - 0
    .max_flat_workgroup_size: 128
    .name:           _ZN7rocprim17ROCPRIM_400000_NS6detail17trampoline_kernelINS0_14default_configENS1_20scan_config_selectorItEEZZNS1_9scan_implILNS1_25lookback_scan_determinismE0ELb0ELb0ES3_N6thrust23THRUST_200600_302600_NS6detail15normal_iteratorINS9_10device_ptrItEEEESE_t11max_functorItEtEEDaPvRmT3_T4_T5_mT6_P12ihipStream_tbENKUlT_T0_E_clISt17integral_constantIbLb0EEST_IbLb1EEEEDaSP_SQ_EUlSP_E_NS1_11comp_targetILNS1_3genE0ELNS1_11target_archE4294967295ELNS1_3gpuE0ELNS1_3repE0EEENS1_30default_config_static_selectorELNS0_4arch9wavefront6targetE1EEEvT1_
    .private_segment_fixed_size: 0
    .sgpr_count:     4
    .sgpr_spill_count: 0
    .symbol:         _ZN7rocprim17ROCPRIM_400000_NS6detail17trampoline_kernelINS0_14default_configENS1_20scan_config_selectorItEEZZNS1_9scan_implILNS1_25lookback_scan_determinismE0ELb0ELb0ES3_N6thrust23THRUST_200600_302600_NS6detail15normal_iteratorINS9_10device_ptrItEEEESE_t11max_functorItEtEEDaPvRmT3_T4_T5_mT6_P12ihipStream_tbENKUlT_T0_E_clISt17integral_constantIbLb0EEST_IbLb1EEEEDaSP_SQ_EUlSP_E_NS1_11comp_targetILNS1_3genE0ELNS1_11target_archE4294967295ELNS1_3gpuE0ELNS1_3repE0EEENS1_30default_config_static_selectorELNS0_4arch9wavefront6targetE1EEEvT1_.kd
    .uniform_work_group_size: 1
    .uses_dynamic_stack: false
    .vgpr_count:     0
    .vgpr_spill_count: 0
    .wavefront_size: 64
  - .agpr_count:     0
    .args:
      - .offset:         0
        .size:           96
        .value_kind:     by_value
    .group_segment_fixed_size: 0
    .kernarg_segment_align: 8
    .kernarg_segment_size: 96
    .language:       OpenCL C
    .language_version:
      - 2
      - 0
    .max_flat_workgroup_size: 256
    .name:           _ZN7rocprim17ROCPRIM_400000_NS6detail17trampoline_kernelINS0_14default_configENS1_20scan_config_selectorItEEZZNS1_9scan_implILNS1_25lookback_scan_determinismE0ELb0ELb0ES3_N6thrust23THRUST_200600_302600_NS6detail15normal_iteratorINS9_10device_ptrItEEEESE_t11max_functorItEtEEDaPvRmT3_T4_T5_mT6_P12ihipStream_tbENKUlT_T0_E_clISt17integral_constantIbLb0EEST_IbLb1EEEEDaSP_SQ_EUlSP_E_NS1_11comp_targetILNS1_3genE5ELNS1_11target_archE942ELNS1_3gpuE9ELNS1_3repE0EEENS1_30default_config_static_selectorELNS0_4arch9wavefront6targetE1EEEvT1_
    .private_segment_fixed_size: 0
    .sgpr_count:     4
    .sgpr_spill_count: 0
    .symbol:         _ZN7rocprim17ROCPRIM_400000_NS6detail17trampoline_kernelINS0_14default_configENS1_20scan_config_selectorItEEZZNS1_9scan_implILNS1_25lookback_scan_determinismE0ELb0ELb0ES3_N6thrust23THRUST_200600_302600_NS6detail15normal_iteratorINS9_10device_ptrItEEEESE_t11max_functorItEtEEDaPvRmT3_T4_T5_mT6_P12ihipStream_tbENKUlT_T0_E_clISt17integral_constantIbLb0EEST_IbLb1EEEEDaSP_SQ_EUlSP_E_NS1_11comp_targetILNS1_3genE5ELNS1_11target_archE942ELNS1_3gpuE9ELNS1_3repE0EEENS1_30default_config_static_selectorELNS0_4arch9wavefront6targetE1EEEvT1_.kd
    .uniform_work_group_size: 1
    .uses_dynamic_stack: false
    .vgpr_count:     0
    .vgpr_spill_count: 0
    .wavefront_size: 64
  - .agpr_count:     0
    .args:
      - .offset:         0
        .size:           96
        .value_kind:     by_value
    .group_segment_fixed_size: 3072
    .kernarg_segment_align: 8
    .kernarg_segment_size: 96
    .language:       OpenCL C
    .language_version:
      - 2
      - 0
    .max_flat_workgroup_size: 64
    .name:           _ZN7rocprim17ROCPRIM_400000_NS6detail17trampoline_kernelINS0_14default_configENS1_20scan_config_selectorItEEZZNS1_9scan_implILNS1_25lookback_scan_determinismE0ELb0ELb0ES3_N6thrust23THRUST_200600_302600_NS6detail15normal_iteratorINS9_10device_ptrItEEEESE_t11max_functorItEtEEDaPvRmT3_T4_T5_mT6_P12ihipStream_tbENKUlT_T0_E_clISt17integral_constantIbLb0EEST_IbLb1EEEEDaSP_SQ_EUlSP_E_NS1_11comp_targetILNS1_3genE4ELNS1_11target_archE910ELNS1_3gpuE8ELNS1_3repE0EEENS1_30default_config_static_selectorELNS0_4arch9wavefront6targetE1EEEvT1_
    .private_segment_fixed_size: 0
    .sgpr_count:     42
    .sgpr_spill_count: 0
    .symbol:         _ZN7rocprim17ROCPRIM_400000_NS6detail17trampoline_kernelINS0_14default_configENS1_20scan_config_selectorItEEZZNS1_9scan_implILNS1_25lookback_scan_determinismE0ELb0ELb0ES3_N6thrust23THRUST_200600_302600_NS6detail15normal_iteratorINS9_10device_ptrItEEEESE_t11max_functorItEtEEDaPvRmT3_T4_T5_mT6_P12ihipStream_tbENKUlT_T0_E_clISt17integral_constantIbLb0EEST_IbLb1EEEEDaSP_SQ_EUlSP_E_NS1_11comp_targetILNS1_3genE4ELNS1_11target_archE910ELNS1_3gpuE8ELNS1_3repE0EEENS1_30default_config_static_selectorELNS0_4arch9wavefront6targetE1EEEvT1_.kd
    .uniform_work_group_size: 1
    .uses_dynamic_stack: false
    .vgpr_count:     57
    .vgpr_spill_count: 0
    .wavefront_size: 64
  - .agpr_count:     0
    .args:
      - .offset:         0
        .size:           96
        .value_kind:     by_value
    .group_segment_fixed_size: 0
    .kernarg_segment_align: 8
    .kernarg_segment_size: 96
    .language:       OpenCL C
    .language_version:
      - 2
      - 0
    .max_flat_workgroup_size: 128
    .name:           _ZN7rocprim17ROCPRIM_400000_NS6detail17trampoline_kernelINS0_14default_configENS1_20scan_config_selectorItEEZZNS1_9scan_implILNS1_25lookback_scan_determinismE0ELb0ELb0ES3_N6thrust23THRUST_200600_302600_NS6detail15normal_iteratorINS9_10device_ptrItEEEESE_t11max_functorItEtEEDaPvRmT3_T4_T5_mT6_P12ihipStream_tbENKUlT_T0_E_clISt17integral_constantIbLb0EEST_IbLb1EEEEDaSP_SQ_EUlSP_E_NS1_11comp_targetILNS1_3genE3ELNS1_11target_archE908ELNS1_3gpuE7ELNS1_3repE0EEENS1_30default_config_static_selectorELNS0_4arch9wavefront6targetE1EEEvT1_
    .private_segment_fixed_size: 0
    .sgpr_count:     4
    .sgpr_spill_count: 0
    .symbol:         _ZN7rocprim17ROCPRIM_400000_NS6detail17trampoline_kernelINS0_14default_configENS1_20scan_config_selectorItEEZZNS1_9scan_implILNS1_25lookback_scan_determinismE0ELb0ELb0ES3_N6thrust23THRUST_200600_302600_NS6detail15normal_iteratorINS9_10device_ptrItEEEESE_t11max_functorItEtEEDaPvRmT3_T4_T5_mT6_P12ihipStream_tbENKUlT_T0_E_clISt17integral_constantIbLb0EEST_IbLb1EEEEDaSP_SQ_EUlSP_E_NS1_11comp_targetILNS1_3genE3ELNS1_11target_archE908ELNS1_3gpuE7ELNS1_3repE0EEENS1_30default_config_static_selectorELNS0_4arch9wavefront6targetE1EEEvT1_.kd
    .uniform_work_group_size: 1
    .uses_dynamic_stack: false
    .vgpr_count:     0
    .vgpr_spill_count: 0
    .wavefront_size: 64
  - .agpr_count:     0
    .args:
      - .offset:         0
        .size:           96
        .value_kind:     by_value
    .group_segment_fixed_size: 0
    .kernarg_segment_align: 8
    .kernarg_segment_size: 96
    .language:       OpenCL C
    .language_version:
      - 2
      - 0
    .max_flat_workgroup_size: 256
    .name:           _ZN7rocprim17ROCPRIM_400000_NS6detail17trampoline_kernelINS0_14default_configENS1_20scan_config_selectorItEEZZNS1_9scan_implILNS1_25lookback_scan_determinismE0ELb0ELb0ES3_N6thrust23THRUST_200600_302600_NS6detail15normal_iteratorINS9_10device_ptrItEEEESE_t11max_functorItEtEEDaPvRmT3_T4_T5_mT6_P12ihipStream_tbENKUlT_T0_E_clISt17integral_constantIbLb0EEST_IbLb1EEEEDaSP_SQ_EUlSP_E_NS1_11comp_targetILNS1_3genE2ELNS1_11target_archE906ELNS1_3gpuE6ELNS1_3repE0EEENS1_30default_config_static_selectorELNS0_4arch9wavefront6targetE1EEEvT1_
    .private_segment_fixed_size: 0
    .sgpr_count:     4
    .sgpr_spill_count: 0
    .symbol:         _ZN7rocprim17ROCPRIM_400000_NS6detail17trampoline_kernelINS0_14default_configENS1_20scan_config_selectorItEEZZNS1_9scan_implILNS1_25lookback_scan_determinismE0ELb0ELb0ES3_N6thrust23THRUST_200600_302600_NS6detail15normal_iteratorINS9_10device_ptrItEEEESE_t11max_functorItEtEEDaPvRmT3_T4_T5_mT6_P12ihipStream_tbENKUlT_T0_E_clISt17integral_constantIbLb0EEST_IbLb1EEEEDaSP_SQ_EUlSP_E_NS1_11comp_targetILNS1_3genE2ELNS1_11target_archE906ELNS1_3gpuE6ELNS1_3repE0EEENS1_30default_config_static_selectorELNS0_4arch9wavefront6targetE1EEEvT1_.kd
    .uniform_work_group_size: 1
    .uses_dynamic_stack: false
    .vgpr_count:     0
    .vgpr_spill_count: 0
    .wavefront_size: 64
  - .agpr_count:     0
    .args:
      - .offset:         0
        .size:           96
        .value_kind:     by_value
    .group_segment_fixed_size: 0
    .kernarg_segment_align: 8
    .kernarg_segment_size: 96
    .language:       OpenCL C
    .language_version:
      - 2
      - 0
    .max_flat_workgroup_size: 256
    .name:           _ZN7rocprim17ROCPRIM_400000_NS6detail17trampoline_kernelINS0_14default_configENS1_20scan_config_selectorItEEZZNS1_9scan_implILNS1_25lookback_scan_determinismE0ELb0ELb0ES3_N6thrust23THRUST_200600_302600_NS6detail15normal_iteratorINS9_10device_ptrItEEEESE_t11max_functorItEtEEDaPvRmT3_T4_T5_mT6_P12ihipStream_tbENKUlT_T0_E_clISt17integral_constantIbLb0EEST_IbLb1EEEEDaSP_SQ_EUlSP_E_NS1_11comp_targetILNS1_3genE10ELNS1_11target_archE1201ELNS1_3gpuE5ELNS1_3repE0EEENS1_30default_config_static_selectorELNS0_4arch9wavefront6targetE1EEEvT1_
    .private_segment_fixed_size: 0
    .sgpr_count:     4
    .sgpr_spill_count: 0
    .symbol:         _ZN7rocprim17ROCPRIM_400000_NS6detail17trampoline_kernelINS0_14default_configENS1_20scan_config_selectorItEEZZNS1_9scan_implILNS1_25lookback_scan_determinismE0ELb0ELb0ES3_N6thrust23THRUST_200600_302600_NS6detail15normal_iteratorINS9_10device_ptrItEEEESE_t11max_functorItEtEEDaPvRmT3_T4_T5_mT6_P12ihipStream_tbENKUlT_T0_E_clISt17integral_constantIbLb0EEST_IbLb1EEEEDaSP_SQ_EUlSP_E_NS1_11comp_targetILNS1_3genE10ELNS1_11target_archE1201ELNS1_3gpuE5ELNS1_3repE0EEENS1_30default_config_static_selectorELNS0_4arch9wavefront6targetE1EEEvT1_.kd
    .uniform_work_group_size: 1
    .uses_dynamic_stack: false
    .vgpr_count:     0
    .vgpr_spill_count: 0
    .wavefront_size: 64
  - .agpr_count:     0
    .args:
      - .offset:         0
        .size:           96
        .value_kind:     by_value
    .group_segment_fixed_size: 0
    .kernarg_segment_align: 8
    .kernarg_segment_size: 96
    .language:       OpenCL C
    .language_version:
      - 2
      - 0
    .max_flat_workgroup_size: 256
    .name:           _ZN7rocprim17ROCPRIM_400000_NS6detail17trampoline_kernelINS0_14default_configENS1_20scan_config_selectorItEEZZNS1_9scan_implILNS1_25lookback_scan_determinismE0ELb0ELb0ES3_N6thrust23THRUST_200600_302600_NS6detail15normal_iteratorINS9_10device_ptrItEEEESE_t11max_functorItEtEEDaPvRmT3_T4_T5_mT6_P12ihipStream_tbENKUlT_T0_E_clISt17integral_constantIbLb0EEST_IbLb1EEEEDaSP_SQ_EUlSP_E_NS1_11comp_targetILNS1_3genE10ELNS1_11target_archE1200ELNS1_3gpuE4ELNS1_3repE0EEENS1_30default_config_static_selectorELNS0_4arch9wavefront6targetE1EEEvT1_
    .private_segment_fixed_size: 0
    .sgpr_count:     4
    .sgpr_spill_count: 0
    .symbol:         _ZN7rocprim17ROCPRIM_400000_NS6detail17trampoline_kernelINS0_14default_configENS1_20scan_config_selectorItEEZZNS1_9scan_implILNS1_25lookback_scan_determinismE0ELb0ELb0ES3_N6thrust23THRUST_200600_302600_NS6detail15normal_iteratorINS9_10device_ptrItEEEESE_t11max_functorItEtEEDaPvRmT3_T4_T5_mT6_P12ihipStream_tbENKUlT_T0_E_clISt17integral_constantIbLb0EEST_IbLb1EEEEDaSP_SQ_EUlSP_E_NS1_11comp_targetILNS1_3genE10ELNS1_11target_archE1200ELNS1_3gpuE4ELNS1_3repE0EEENS1_30default_config_static_selectorELNS0_4arch9wavefront6targetE1EEEvT1_.kd
    .uniform_work_group_size: 1
    .uses_dynamic_stack: false
    .vgpr_count:     0
    .vgpr_spill_count: 0
    .wavefront_size: 64
  - .agpr_count:     0
    .args:
      - .offset:         0
        .size:           96
        .value_kind:     by_value
    .group_segment_fixed_size: 0
    .kernarg_segment_align: 8
    .kernarg_segment_size: 96
    .language:       OpenCL C
    .language_version:
      - 2
      - 0
    .max_flat_workgroup_size: 64
    .name:           _ZN7rocprim17ROCPRIM_400000_NS6detail17trampoline_kernelINS0_14default_configENS1_20scan_config_selectorItEEZZNS1_9scan_implILNS1_25lookback_scan_determinismE0ELb0ELb0ES3_N6thrust23THRUST_200600_302600_NS6detail15normal_iteratorINS9_10device_ptrItEEEESE_t11max_functorItEtEEDaPvRmT3_T4_T5_mT6_P12ihipStream_tbENKUlT_T0_E_clISt17integral_constantIbLb0EEST_IbLb1EEEEDaSP_SQ_EUlSP_E_NS1_11comp_targetILNS1_3genE9ELNS1_11target_archE1100ELNS1_3gpuE3ELNS1_3repE0EEENS1_30default_config_static_selectorELNS0_4arch9wavefront6targetE1EEEvT1_
    .private_segment_fixed_size: 0
    .sgpr_count:     4
    .sgpr_spill_count: 0
    .symbol:         _ZN7rocprim17ROCPRIM_400000_NS6detail17trampoline_kernelINS0_14default_configENS1_20scan_config_selectorItEEZZNS1_9scan_implILNS1_25lookback_scan_determinismE0ELb0ELb0ES3_N6thrust23THRUST_200600_302600_NS6detail15normal_iteratorINS9_10device_ptrItEEEESE_t11max_functorItEtEEDaPvRmT3_T4_T5_mT6_P12ihipStream_tbENKUlT_T0_E_clISt17integral_constantIbLb0EEST_IbLb1EEEEDaSP_SQ_EUlSP_E_NS1_11comp_targetILNS1_3genE9ELNS1_11target_archE1100ELNS1_3gpuE3ELNS1_3repE0EEENS1_30default_config_static_selectorELNS0_4arch9wavefront6targetE1EEEvT1_.kd
    .uniform_work_group_size: 1
    .uses_dynamic_stack: false
    .vgpr_count:     0
    .vgpr_spill_count: 0
    .wavefront_size: 64
  - .agpr_count:     0
    .args:
      - .offset:         0
        .size:           96
        .value_kind:     by_value
    .group_segment_fixed_size: 0
    .kernarg_segment_align: 8
    .kernarg_segment_size: 96
    .language:       OpenCL C
    .language_version:
      - 2
      - 0
    .max_flat_workgroup_size: 64
    .name:           _ZN7rocprim17ROCPRIM_400000_NS6detail17trampoline_kernelINS0_14default_configENS1_20scan_config_selectorItEEZZNS1_9scan_implILNS1_25lookback_scan_determinismE0ELb0ELb0ES3_N6thrust23THRUST_200600_302600_NS6detail15normal_iteratorINS9_10device_ptrItEEEESE_t11max_functorItEtEEDaPvRmT3_T4_T5_mT6_P12ihipStream_tbENKUlT_T0_E_clISt17integral_constantIbLb0EEST_IbLb1EEEEDaSP_SQ_EUlSP_E_NS1_11comp_targetILNS1_3genE8ELNS1_11target_archE1030ELNS1_3gpuE2ELNS1_3repE0EEENS1_30default_config_static_selectorELNS0_4arch9wavefront6targetE1EEEvT1_
    .private_segment_fixed_size: 0
    .sgpr_count:     4
    .sgpr_spill_count: 0
    .symbol:         _ZN7rocprim17ROCPRIM_400000_NS6detail17trampoline_kernelINS0_14default_configENS1_20scan_config_selectorItEEZZNS1_9scan_implILNS1_25lookback_scan_determinismE0ELb0ELb0ES3_N6thrust23THRUST_200600_302600_NS6detail15normal_iteratorINS9_10device_ptrItEEEESE_t11max_functorItEtEEDaPvRmT3_T4_T5_mT6_P12ihipStream_tbENKUlT_T0_E_clISt17integral_constantIbLb0EEST_IbLb1EEEEDaSP_SQ_EUlSP_E_NS1_11comp_targetILNS1_3genE8ELNS1_11target_archE1030ELNS1_3gpuE2ELNS1_3repE0EEENS1_30default_config_static_selectorELNS0_4arch9wavefront6targetE1EEEvT1_.kd
    .uniform_work_group_size: 1
    .uses_dynamic_stack: false
    .vgpr_count:     0
    .vgpr_spill_count: 0
    .wavefront_size: 64
  - .agpr_count:     0
    .args:
      - .offset:         0
        .size:           32
        .value_kind:     by_value
    .group_segment_fixed_size: 0
    .kernarg_segment_align: 8
    .kernarg_segment_size: 32
    .language:       OpenCL C
    .language_version:
      - 2
      - 0
    .max_flat_workgroup_size: 128
    .name:           _ZN7rocprim17ROCPRIM_400000_NS6detail17trampoline_kernelINS0_14default_configENS1_20scan_config_selectorItEEZZNS1_9scan_implILNS1_25lookback_scan_determinismE0ELb0ELb0ES3_N6thrust23THRUST_200600_302600_NS6detail15normal_iteratorINS9_10device_ptrItEEEESE_t11max_functorItEtEEDaPvRmT3_T4_T5_mT6_P12ihipStream_tbENKUlT_T0_E_clISt17integral_constantIbLb0EEST_IbLb1EEEEDaSP_SQ_EUlSP_E0_NS1_11comp_targetILNS1_3genE0ELNS1_11target_archE4294967295ELNS1_3gpuE0ELNS1_3repE0EEENS1_30default_config_static_selectorELNS0_4arch9wavefront6targetE1EEEvT1_
    .private_segment_fixed_size: 0
    .sgpr_count:     4
    .sgpr_spill_count: 0
    .symbol:         _ZN7rocprim17ROCPRIM_400000_NS6detail17trampoline_kernelINS0_14default_configENS1_20scan_config_selectorItEEZZNS1_9scan_implILNS1_25lookback_scan_determinismE0ELb0ELb0ES3_N6thrust23THRUST_200600_302600_NS6detail15normal_iteratorINS9_10device_ptrItEEEESE_t11max_functorItEtEEDaPvRmT3_T4_T5_mT6_P12ihipStream_tbENKUlT_T0_E_clISt17integral_constantIbLb0EEST_IbLb1EEEEDaSP_SQ_EUlSP_E0_NS1_11comp_targetILNS1_3genE0ELNS1_11target_archE4294967295ELNS1_3gpuE0ELNS1_3repE0EEENS1_30default_config_static_selectorELNS0_4arch9wavefront6targetE1EEEvT1_.kd
    .uniform_work_group_size: 1
    .uses_dynamic_stack: false
    .vgpr_count:     0
    .vgpr_spill_count: 0
    .wavefront_size: 64
  - .agpr_count:     0
    .args:
      - .offset:         0
        .size:           32
        .value_kind:     by_value
    .group_segment_fixed_size: 0
    .kernarg_segment_align: 8
    .kernarg_segment_size: 32
    .language:       OpenCL C
    .language_version:
      - 2
      - 0
    .max_flat_workgroup_size: 256
    .name:           _ZN7rocprim17ROCPRIM_400000_NS6detail17trampoline_kernelINS0_14default_configENS1_20scan_config_selectorItEEZZNS1_9scan_implILNS1_25lookback_scan_determinismE0ELb0ELb0ES3_N6thrust23THRUST_200600_302600_NS6detail15normal_iteratorINS9_10device_ptrItEEEESE_t11max_functorItEtEEDaPvRmT3_T4_T5_mT6_P12ihipStream_tbENKUlT_T0_E_clISt17integral_constantIbLb0EEST_IbLb1EEEEDaSP_SQ_EUlSP_E0_NS1_11comp_targetILNS1_3genE5ELNS1_11target_archE942ELNS1_3gpuE9ELNS1_3repE0EEENS1_30default_config_static_selectorELNS0_4arch9wavefront6targetE1EEEvT1_
    .private_segment_fixed_size: 0
    .sgpr_count:     4
    .sgpr_spill_count: 0
    .symbol:         _ZN7rocprim17ROCPRIM_400000_NS6detail17trampoline_kernelINS0_14default_configENS1_20scan_config_selectorItEEZZNS1_9scan_implILNS1_25lookback_scan_determinismE0ELb0ELb0ES3_N6thrust23THRUST_200600_302600_NS6detail15normal_iteratorINS9_10device_ptrItEEEESE_t11max_functorItEtEEDaPvRmT3_T4_T5_mT6_P12ihipStream_tbENKUlT_T0_E_clISt17integral_constantIbLb0EEST_IbLb1EEEEDaSP_SQ_EUlSP_E0_NS1_11comp_targetILNS1_3genE5ELNS1_11target_archE942ELNS1_3gpuE9ELNS1_3repE0EEENS1_30default_config_static_selectorELNS0_4arch9wavefront6targetE1EEEvT1_.kd
    .uniform_work_group_size: 1
    .uses_dynamic_stack: false
    .vgpr_count:     0
    .vgpr_spill_count: 0
    .wavefront_size: 64
  - .agpr_count:     0
    .args:
      - .offset:         0
        .size:           32
        .value_kind:     by_value
    .group_segment_fixed_size: 3072
    .kernarg_segment_align: 8
    .kernarg_segment_size: 32
    .language:       OpenCL C
    .language_version:
      - 2
      - 0
    .max_flat_workgroup_size: 64
    .name:           _ZN7rocprim17ROCPRIM_400000_NS6detail17trampoline_kernelINS0_14default_configENS1_20scan_config_selectorItEEZZNS1_9scan_implILNS1_25lookback_scan_determinismE0ELb0ELb0ES3_N6thrust23THRUST_200600_302600_NS6detail15normal_iteratorINS9_10device_ptrItEEEESE_t11max_functorItEtEEDaPvRmT3_T4_T5_mT6_P12ihipStream_tbENKUlT_T0_E_clISt17integral_constantIbLb0EEST_IbLb1EEEEDaSP_SQ_EUlSP_E0_NS1_11comp_targetILNS1_3genE4ELNS1_11target_archE910ELNS1_3gpuE8ELNS1_3repE0EEENS1_30default_config_static_selectorELNS0_4arch9wavefront6targetE1EEEvT1_
    .private_segment_fixed_size: 0
    .sgpr_count:     60
    .sgpr_spill_count: 0
    .symbol:         _ZN7rocprim17ROCPRIM_400000_NS6detail17trampoline_kernelINS0_14default_configENS1_20scan_config_selectorItEEZZNS1_9scan_implILNS1_25lookback_scan_determinismE0ELb0ELb0ES3_N6thrust23THRUST_200600_302600_NS6detail15normal_iteratorINS9_10device_ptrItEEEESE_t11max_functorItEtEEDaPvRmT3_T4_T5_mT6_P12ihipStream_tbENKUlT_T0_E_clISt17integral_constantIbLb0EEST_IbLb1EEEEDaSP_SQ_EUlSP_E0_NS1_11comp_targetILNS1_3genE4ELNS1_11target_archE910ELNS1_3gpuE8ELNS1_3repE0EEENS1_30default_config_static_selectorELNS0_4arch9wavefront6targetE1EEEvT1_.kd
    .uniform_work_group_size: 1
    .uses_dynamic_stack: false
    .vgpr_count:     43
    .vgpr_spill_count: 0
    .wavefront_size: 64
  - .agpr_count:     0
    .args:
      - .offset:         0
        .size:           32
        .value_kind:     by_value
    .group_segment_fixed_size: 0
    .kernarg_segment_align: 8
    .kernarg_segment_size: 32
    .language:       OpenCL C
    .language_version:
      - 2
      - 0
    .max_flat_workgroup_size: 128
    .name:           _ZN7rocprim17ROCPRIM_400000_NS6detail17trampoline_kernelINS0_14default_configENS1_20scan_config_selectorItEEZZNS1_9scan_implILNS1_25lookback_scan_determinismE0ELb0ELb0ES3_N6thrust23THRUST_200600_302600_NS6detail15normal_iteratorINS9_10device_ptrItEEEESE_t11max_functorItEtEEDaPvRmT3_T4_T5_mT6_P12ihipStream_tbENKUlT_T0_E_clISt17integral_constantIbLb0EEST_IbLb1EEEEDaSP_SQ_EUlSP_E0_NS1_11comp_targetILNS1_3genE3ELNS1_11target_archE908ELNS1_3gpuE7ELNS1_3repE0EEENS1_30default_config_static_selectorELNS0_4arch9wavefront6targetE1EEEvT1_
    .private_segment_fixed_size: 0
    .sgpr_count:     4
    .sgpr_spill_count: 0
    .symbol:         _ZN7rocprim17ROCPRIM_400000_NS6detail17trampoline_kernelINS0_14default_configENS1_20scan_config_selectorItEEZZNS1_9scan_implILNS1_25lookback_scan_determinismE0ELb0ELb0ES3_N6thrust23THRUST_200600_302600_NS6detail15normal_iteratorINS9_10device_ptrItEEEESE_t11max_functorItEtEEDaPvRmT3_T4_T5_mT6_P12ihipStream_tbENKUlT_T0_E_clISt17integral_constantIbLb0EEST_IbLb1EEEEDaSP_SQ_EUlSP_E0_NS1_11comp_targetILNS1_3genE3ELNS1_11target_archE908ELNS1_3gpuE7ELNS1_3repE0EEENS1_30default_config_static_selectorELNS0_4arch9wavefront6targetE1EEEvT1_.kd
    .uniform_work_group_size: 1
    .uses_dynamic_stack: false
    .vgpr_count:     0
    .vgpr_spill_count: 0
    .wavefront_size: 64
  - .agpr_count:     0
    .args:
      - .offset:         0
        .size:           32
        .value_kind:     by_value
    .group_segment_fixed_size: 0
    .kernarg_segment_align: 8
    .kernarg_segment_size: 32
    .language:       OpenCL C
    .language_version:
      - 2
      - 0
    .max_flat_workgroup_size: 256
    .name:           _ZN7rocprim17ROCPRIM_400000_NS6detail17trampoline_kernelINS0_14default_configENS1_20scan_config_selectorItEEZZNS1_9scan_implILNS1_25lookback_scan_determinismE0ELb0ELb0ES3_N6thrust23THRUST_200600_302600_NS6detail15normal_iteratorINS9_10device_ptrItEEEESE_t11max_functorItEtEEDaPvRmT3_T4_T5_mT6_P12ihipStream_tbENKUlT_T0_E_clISt17integral_constantIbLb0EEST_IbLb1EEEEDaSP_SQ_EUlSP_E0_NS1_11comp_targetILNS1_3genE2ELNS1_11target_archE906ELNS1_3gpuE6ELNS1_3repE0EEENS1_30default_config_static_selectorELNS0_4arch9wavefront6targetE1EEEvT1_
    .private_segment_fixed_size: 0
    .sgpr_count:     4
    .sgpr_spill_count: 0
    .symbol:         _ZN7rocprim17ROCPRIM_400000_NS6detail17trampoline_kernelINS0_14default_configENS1_20scan_config_selectorItEEZZNS1_9scan_implILNS1_25lookback_scan_determinismE0ELb0ELb0ES3_N6thrust23THRUST_200600_302600_NS6detail15normal_iteratorINS9_10device_ptrItEEEESE_t11max_functorItEtEEDaPvRmT3_T4_T5_mT6_P12ihipStream_tbENKUlT_T0_E_clISt17integral_constantIbLb0EEST_IbLb1EEEEDaSP_SQ_EUlSP_E0_NS1_11comp_targetILNS1_3genE2ELNS1_11target_archE906ELNS1_3gpuE6ELNS1_3repE0EEENS1_30default_config_static_selectorELNS0_4arch9wavefront6targetE1EEEvT1_.kd
    .uniform_work_group_size: 1
    .uses_dynamic_stack: false
    .vgpr_count:     0
    .vgpr_spill_count: 0
    .wavefront_size: 64
  - .agpr_count:     0
    .args:
      - .offset:         0
        .size:           32
        .value_kind:     by_value
    .group_segment_fixed_size: 0
    .kernarg_segment_align: 8
    .kernarg_segment_size: 32
    .language:       OpenCL C
    .language_version:
      - 2
      - 0
    .max_flat_workgroup_size: 256
    .name:           _ZN7rocprim17ROCPRIM_400000_NS6detail17trampoline_kernelINS0_14default_configENS1_20scan_config_selectorItEEZZNS1_9scan_implILNS1_25lookback_scan_determinismE0ELb0ELb0ES3_N6thrust23THRUST_200600_302600_NS6detail15normal_iteratorINS9_10device_ptrItEEEESE_t11max_functorItEtEEDaPvRmT3_T4_T5_mT6_P12ihipStream_tbENKUlT_T0_E_clISt17integral_constantIbLb0EEST_IbLb1EEEEDaSP_SQ_EUlSP_E0_NS1_11comp_targetILNS1_3genE10ELNS1_11target_archE1201ELNS1_3gpuE5ELNS1_3repE0EEENS1_30default_config_static_selectorELNS0_4arch9wavefront6targetE1EEEvT1_
    .private_segment_fixed_size: 0
    .sgpr_count:     4
    .sgpr_spill_count: 0
    .symbol:         _ZN7rocprim17ROCPRIM_400000_NS6detail17trampoline_kernelINS0_14default_configENS1_20scan_config_selectorItEEZZNS1_9scan_implILNS1_25lookback_scan_determinismE0ELb0ELb0ES3_N6thrust23THRUST_200600_302600_NS6detail15normal_iteratorINS9_10device_ptrItEEEESE_t11max_functorItEtEEDaPvRmT3_T4_T5_mT6_P12ihipStream_tbENKUlT_T0_E_clISt17integral_constantIbLb0EEST_IbLb1EEEEDaSP_SQ_EUlSP_E0_NS1_11comp_targetILNS1_3genE10ELNS1_11target_archE1201ELNS1_3gpuE5ELNS1_3repE0EEENS1_30default_config_static_selectorELNS0_4arch9wavefront6targetE1EEEvT1_.kd
    .uniform_work_group_size: 1
    .uses_dynamic_stack: false
    .vgpr_count:     0
    .vgpr_spill_count: 0
    .wavefront_size: 64
  - .agpr_count:     0
    .args:
      - .offset:         0
        .size:           32
        .value_kind:     by_value
    .group_segment_fixed_size: 0
    .kernarg_segment_align: 8
    .kernarg_segment_size: 32
    .language:       OpenCL C
    .language_version:
      - 2
      - 0
    .max_flat_workgroup_size: 256
    .name:           _ZN7rocprim17ROCPRIM_400000_NS6detail17trampoline_kernelINS0_14default_configENS1_20scan_config_selectorItEEZZNS1_9scan_implILNS1_25lookback_scan_determinismE0ELb0ELb0ES3_N6thrust23THRUST_200600_302600_NS6detail15normal_iteratorINS9_10device_ptrItEEEESE_t11max_functorItEtEEDaPvRmT3_T4_T5_mT6_P12ihipStream_tbENKUlT_T0_E_clISt17integral_constantIbLb0EEST_IbLb1EEEEDaSP_SQ_EUlSP_E0_NS1_11comp_targetILNS1_3genE10ELNS1_11target_archE1200ELNS1_3gpuE4ELNS1_3repE0EEENS1_30default_config_static_selectorELNS0_4arch9wavefront6targetE1EEEvT1_
    .private_segment_fixed_size: 0
    .sgpr_count:     4
    .sgpr_spill_count: 0
    .symbol:         _ZN7rocprim17ROCPRIM_400000_NS6detail17trampoline_kernelINS0_14default_configENS1_20scan_config_selectorItEEZZNS1_9scan_implILNS1_25lookback_scan_determinismE0ELb0ELb0ES3_N6thrust23THRUST_200600_302600_NS6detail15normal_iteratorINS9_10device_ptrItEEEESE_t11max_functorItEtEEDaPvRmT3_T4_T5_mT6_P12ihipStream_tbENKUlT_T0_E_clISt17integral_constantIbLb0EEST_IbLb1EEEEDaSP_SQ_EUlSP_E0_NS1_11comp_targetILNS1_3genE10ELNS1_11target_archE1200ELNS1_3gpuE4ELNS1_3repE0EEENS1_30default_config_static_selectorELNS0_4arch9wavefront6targetE1EEEvT1_.kd
    .uniform_work_group_size: 1
    .uses_dynamic_stack: false
    .vgpr_count:     0
    .vgpr_spill_count: 0
    .wavefront_size: 64
  - .agpr_count:     0
    .args:
      - .offset:         0
        .size:           32
        .value_kind:     by_value
    .group_segment_fixed_size: 0
    .kernarg_segment_align: 8
    .kernarg_segment_size: 32
    .language:       OpenCL C
    .language_version:
      - 2
      - 0
    .max_flat_workgroup_size: 64
    .name:           _ZN7rocprim17ROCPRIM_400000_NS6detail17trampoline_kernelINS0_14default_configENS1_20scan_config_selectorItEEZZNS1_9scan_implILNS1_25lookback_scan_determinismE0ELb0ELb0ES3_N6thrust23THRUST_200600_302600_NS6detail15normal_iteratorINS9_10device_ptrItEEEESE_t11max_functorItEtEEDaPvRmT3_T4_T5_mT6_P12ihipStream_tbENKUlT_T0_E_clISt17integral_constantIbLb0EEST_IbLb1EEEEDaSP_SQ_EUlSP_E0_NS1_11comp_targetILNS1_3genE9ELNS1_11target_archE1100ELNS1_3gpuE3ELNS1_3repE0EEENS1_30default_config_static_selectorELNS0_4arch9wavefront6targetE1EEEvT1_
    .private_segment_fixed_size: 0
    .sgpr_count:     4
    .sgpr_spill_count: 0
    .symbol:         _ZN7rocprim17ROCPRIM_400000_NS6detail17trampoline_kernelINS0_14default_configENS1_20scan_config_selectorItEEZZNS1_9scan_implILNS1_25lookback_scan_determinismE0ELb0ELb0ES3_N6thrust23THRUST_200600_302600_NS6detail15normal_iteratorINS9_10device_ptrItEEEESE_t11max_functorItEtEEDaPvRmT3_T4_T5_mT6_P12ihipStream_tbENKUlT_T0_E_clISt17integral_constantIbLb0EEST_IbLb1EEEEDaSP_SQ_EUlSP_E0_NS1_11comp_targetILNS1_3genE9ELNS1_11target_archE1100ELNS1_3gpuE3ELNS1_3repE0EEENS1_30default_config_static_selectorELNS0_4arch9wavefront6targetE1EEEvT1_.kd
    .uniform_work_group_size: 1
    .uses_dynamic_stack: false
    .vgpr_count:     0
    .vgpr_spill_count: 0
    .wavefront_size: 64
  - .agpr_count:     0
    .args:
      - .offset:         0
        .size:           32
        .value_kind:     by_value
    .group_segment_fixed_size: 0
    .kernarg_segment_align: 8
    .kernarg_segment_size: 32
    .language:       OpenCL C
    .language_version:
      - 2
      - 0
    .max_flat_workgroup_size: 64
    .name:           _ZN7rocprim17ROCPRIM_400000_NS6detail17trampoline_kernelINS0_14default_configENS1_20scan_config_selectorItEEZZNS1_9scan_implILNS1_25lookback_scan_determinismE0ELb0ELb0ES3_N6thrust23THRUST_200600_302600_NS6detail15normal_iteratorINS9_10device_ptrItEEEESE_t11max_functorItEtEEDaPvRmT3_T4_T5_mT6_P12ihipStream_tbENKUlT_T0_E_clISt17integral_constantIbLb0EEST_IbLb1EEEEDaSP_SQ_EUlSP_E0_NS1_11comp_targetILNS1_3genE8ELNS1_11target_archE1030ELNS1_3gpuE2ELNS1_3repE0EEENS1_30default_config_static_selectorELNS0_4arch9wavefront6targetE1EEEvT1_
    .private_segment_fixed_size: 0
    .sgpr_count:     4
    .sgpr_spill_count: 0
    .symbol:         _ZN7rocprim17ROCPRIM_400000_NS6detail17trampoline_kernelINS0_14default_configENS1_20scan_config_selectorItEEZZNS1_9scan_implILNS1_25lookback_scan_determinismE0ELb0ELb0ES3_N6thrust23THRUST_200600_302600_NS6detail15normal_iteratorINS9_10device_ptrItEEEESE_t11max_functorItEtEEDaPvRmT3_T4_T5_mT6_P12ihipStream_tbENKUlT_T0_E_clISt17integral_constantIbLb0EEST_IbLb1EEEEDaSP_SQ_EUlSP_E0_NS1_11comp_targetILNS1_3genE8ELNS1_11target_archE1030ELNS1_3gpuE2ELNS1_3repE0EEENS1_30default_config_static_selectorELNS0_4arch9wavefront6targetE1EEEvT1_.kd
    .uniform_work_group_size: 1
    .uses_dynamic_stack: false
    .vgpr_count:     0
    .vgpr_spill_count: 0
    .wavefront_size: 64
  - .agpr_count:     0
    .args:
      - .offset:         0
        .size:           96
        .value_kind:     by_value
    .group_segment_fixed_size: 0
    .kernarg_segment_align: 8
    .kernarg_segment_size: 96
    .language:       OpenCL C
    .language_version:
      - 2
      - 0
    .max_flat_workgroup_size: 128
    .name:           _ZN7rocprim17ROCPRIM_400000_NS6detail17trampoline_kernelINS0_14default_configENS1_20scan_config_selectorItEEZZNS1_9scan_implILNS1_25lookback_scan_determinismE0ELb1ELb1ES3_N6thrust23THRUST_200600_302600_NS6detail15normal_iteratorINS9_10device_ptrItEEEESE_t11max_functorItEtEEDaPvRmT3_T4_T5_mT6_P12ihipStream_tbENKUlT_T0_E_clISt17integral_constantIbLb0EESU_EEDaSP_SQ_EUlSP_E_NS1_11comp_targetILNS1_3genE0ELNS1_11target_archE4294967295ELNS1_3gpuE0ELNS1_3repE0EEENS1_30default_config_static_selectorELNS0_4arch9wavefront6targetE1EEEvT1_
    .private_segment_fixed_size: 0
    .sgpr_count:     4
    .sgpr_spill_count: 0
    .symbol:         _ZN7rocprim17ROCPRIM_400000_NS6detail17trampoline_kernelINS0_14default_configENS1_20scan_config_selectorItEEZZNS1_9scan_implILNS1_25lookback_scan_determinismE0ELb1ELb1ES3_N6thrust23THRUST_200600_302600_NS6detail15normal_iteratorINS9_10device_ptrItEEEESE_t11max_functorItEtEEDaPvRmT3_T4_T5_mT6_P12ihipStream_tbENKUlT_T0_E_clISt17integral_constantIbLb0EESU_EEDaSP_SQ_EUlSP_E_NS1_11comp_targetILNS1_3genE0ELNS1_11target_archE4294967295ELNS1_3gpuE0ELNS1_3repE0EEENS1_30default_config_static_selectorELNS0_4arch9wavefront6targetE1EEEvT1_.kd
    .uniform_work_group_size: 1
    .uses_dynamic_stack: false
    .vgpr_count:     0
    .vgpr_spill_count: 0
    .wavefront_size: 64
  - .agpr_count:     0
    .args:
      - .offset:         0
        .size:           96
        .value_kind:     by_value
    .group_segment_fixed_size: 0
    .kernarg_segment_align: 8
    .kernarg_segment_size: 96
    .language:       OpenCL C
    .language_version:
      - 2
      - 0
    .max_flat_workgroup_size: 256
    .name:           _ZN7rocprim17ROCPRIM_400000_NS6detail17trampoline_kernelINS0_14default_configENS1_20scan_config_selectorItEEZZNS1_9scan_implILNS1_25lookback_scan_determinismE0ELb1ELb1ES3_N6thrust23THRUST_200600_302600_NS6detail15normal_iteratorINS9_10device_ptrItEEEESE_t11max_functorItEtEEDaPvRmT3_T4_T5_mT6_P12ihipStream_tbENKUlT_T0_E_clISt17integral_constantIbLb0EESU_EEDaSP_SQ_EUlSP_E_NS1_11comp_targetILNS1_3genE5ELNS1_11target_archE942ELNS1_3gpuE9ELNS1_3repE0EEENS1_30default_config_static_selectorELNS0_4arch9wavefront6targetE1EEEvT1_
    .private_segment_fixed_size: 0
    .sgpr_count:     4
    .sgpr_spill_count: 0
    .symbol:         _ZN7rocprim17ROCPRIM_400000_NS6detail17trampoline_kernelINS0_14default_configENS1_20scan_config_selectorItEEZZNS1_9scan_implILNS1_25lookback_scan_determinismE0ELb1ELb1ES3_N6thrust23THRUST_200600_302600_NS6detail15normal_iteratorINS9_10device_ptrItEEEESE_t11max_functorItEtEEDaPvRmT3_T4_T5_mT6_P12ihipStream_tbENKUlT_T0_E_clISt17integral_constantIbLb0EESU_EEDaSP_SQ_EUlSP_E_NS1_11comp_targetILNS1_3genE5ELNS1_11target_archE942ELNS1_3gpuE9ELNS1_3repE0EEENS1_30default_config_static_selectorELNS0_4arch9wavefront6targetE1EEEvT1_.kd
    .uniform_work_group_size: 1
    .uses_dynamic_stack: false
    .vgpr_count:     0
    .vgpr_spill_count: 0
    .wavefront_size: 64
  - .agpr_count:     0
    .args:
      - .offset:         0
        .size:           96
        .value_kind:     by_value
    .group_segment_fixed_size: 3072
    .kernarg_segment_align: 8
    .kernarg_segment_size: 96
    .language:       OpenCL C
    .language_version:
      - 2
      - 0
    .max_flat_workgroup_size: 64
    .name:           _ZN7rocprim17ROCPRIM_400000_NS6detail17trampoline_kernelINS0_14default_configENS1_20scan_config_selectorItEEZZNS1_9scan_implILNS1_25lookback_scan_determinismE0ELb1ELb1ES3_N6thrust23THRUST_200600_302600_NS6detail15normal_iteratorINS9_10device_ptrItEEEESE_t11max_functorItEtEEDaPvRmT3_T4_T5_mT6_P12ihipStream_tbENKUlT_T0_E_clISt17integral_constantIbLb0EESU_EEDaSP_SQ_EUlSP_E_NS1_11comp_targetILNS1_3genE4ELNS1_11target_archE910ELNS1_3gpuE8ELNS1_3repE0EEENS1_30default_config_static_selectorELNS0_4arch9wavefront6targetE1EEEvT1_
    .private_segment_fixed_size: 0
    .sgpr_count:     33
    .sgpr_spill_count: 0
    .symbol:         _ZN7rocprim17ROCPRIM_400000_NS6detail17trampoline_kernelINS0_14default_configENS1_20scan_config_selectorItEEZZNS1_9scan_implILNS1_25lookback_scan_determinismE0ELb1ELb1ES3_N6thrust23THRUST_200600_302600_NS6detail15normal_iteratorINS9_10device_ptrItEEEESE_t11max_functorItEtEEDaPvRmT3_T4_T5_mT6_P12ihipStream_tbENKUlT_T0_E_clISt17integral_constantIbLb0EESU_EEDaSP_SQ_EUlSP_E_NS1_11comp_targetILNS1_3genE4ELNS1_11target_archE910ELNS1_3gpuE8ELNS1_3repE0EEENS1_30default_config_static_selectorELNS0_4arch9wavefront6targetE1EEEvT1_.kd
    .uniform_work_group_size: 1
    .uses_dynamic_stack: false
    .vgpr_count:     58
    .vgpr_spill_count: 0
    .wavefront_size: 64
  - .agpr_count:     0
    .args:
      - .offset:         0
        .size:           96
        .value_kind:     by_value
    .group_segment_fixed_size: 0
    .kernarg_segment_align: 8
    .kernarg_segment_size: 96
    .language:       OpenCL C
    .language_version:
      - 2
      - 0
    .max_flat_workgroup_size: 128
    .name:           _ZN7rocprim17ROCPRIM_400000_NS6detail17trampoline_kernelINS0_14default_configENS1_20scan_config_selectorItEEZZNS1_9scan_implILNS1_25lookback_scan_determinismE0ELb1ELb1ES3_N6thrust23THRUST_200600_302600_NS6detail15normal_iteratorINS9_10device_ptrItEEEESE_t11max_functorItEtEEDaPvRmT3_T4_T5_mT6_P12ihipStream_tbENKUlT_T0_E_clISt17integral_constantIbLb0EESU_EEDaSP_SQ_EUlSP_E_NS1_11comp_targetILNS1_3genE3ELNS1_11target_archE908ELNS1_3gpuE7ELNS1_3repE0EEENS1_30default_config_static_selectorELNS0_4arch9wavefront6targetE1EEEvT1_
    .private_segment_fixed_size: 0
    .sgpr_count:     4
    .sgpr_spill_count: 0
    .symbol:         _ZN7rocprim17ROCPRIM_400000_NS6detail17trampoline_kernelINS0_14default_configENS1_20scan_config_selectorItEEZZNS1_9scan_implILNS1_25lookback_scan_determinismE0ELb1ELb1ES3_N6thrust23THRUST_200600_302600_NS6detail15normal_iteratorINS9_10device_ptrItEEEESE_t11max_functorItEtEEDaPvRmT3_T4_T5_mT6_P12ihipStream_tbENKUlT_T0_E_clISt17integral_constantIbLb0EESU_EEDaSP_SQ_EUlSP_E_NS1_11comp_targetILNS1_3genE3ELNS1_11target_archE908ELNS1_3gpuE7ELNS1_3repE0EEENS1_30default_config_static_selectorELNS0_4arch9wavefront6targetE1EEEvT1_.kd
    .uniform_work_group_size: 1
    .uses_dynamic_stack: false
    .vgpr_count:     0
    .vgpr_spill_count: 0
    .wavefront_size: 64
  - .agpr_count:     0
    .args:
      - .offset:         0
        .size:           96
        .value_kind:     by_value
    .group_segment_fixed_size: 0
    .kernarg_segment_align: 8
    .kernarg_segment_size: 96
    .language:       OpenCL C
    .language_version:
      - 2
      - 0
    .max_flat_workgroup_size: 256
    .name:           _ZN7rocprim17ROCPRIM_400000_NS6detail17trampoline_kernelINS0_14default_configENS1_20scan_config_selectorItEEZZNS1_9scan_implILNS1_25lookback_scan_determinismE0ELb1ELb1ES3_N6thrust23THRUST_200600_302600_NS6detail15normal_iteratorINS9_10device_ptrItEEEESE_t11max_functorItEtEEDaPvRmT3_T4_T5_mT6_P12ihipStream_tbENKUlT_T0_E_clISt17integral_constantIbLb0EESU_EEDaSP_SQ_EUlSP_E_NS1_11comp_targetILNS1_3genE2ELNS1_11target_archE906ELNS1_3gpuE6ELNS1_3repE0EEENS1_30default_config_static_selectorELNS0_4arch9wavefront6targetE1EEEvT1_
    .private_segment_fixed_size: 0
    .sgpr_count:     4
    .sgpr_spill_count: 0
    .symbol:         _ZN7rocprim17ROCPRIM_400000_NS6detail17trampoline_kernelINS0_14default_configENS1_20scan_config_selectorItEEZZNS1_9scan_implILNS1_25lookback_scan_determinismE0ELb1ELb1ES3_N6thrust23THRUST_200600_302600_NS6detail15normal_iteratorINS9_10device_ptrItEEEESE_t11max_functorItEtEEDaPvRmT3_T4_T5_mT6_P12ihipStream_tbENKUlT_T0_E_clISt17integral_constantIbLb0EESU_EEDaSP_SQ_EUlSP_E_NS1_11comp_targetILNS1_3genE2ELNS1_11target_archE906ELNS1_3gpuE6ELNS1_3repE0EEENS1_30default_config_static_selectorELNS0_4arch9wavefront6targetE1EEEvT1_.kd
    .uniform_work_group_size: 1
    .uses_dynamic_stack: false
    .vgpr_count:     0
    .vgpr_spill_count: 0
    .wavefront_size: 64
  - .agpr_count:     0
    .args:
      - .offset:         0
        .size:           96
        .value_kind:     by_value
    .group_segment_fixed_size: 0
    .kernarg_segment_align: 8
    .kernarg_segment_size: 96
    .language:       OpenCL C
    .language_version:
      - 2
      - 0
    .max_flat_workgroup_size: 256
    .name:           _ZN7rocprim17ROCPRIM_400000_NS6detail17trampoline_kernelINS0_14default_configENS1_20scan_config_selectorItEEZZNS1_9scan_implILNS1_25lookback_scan_determinismE0ELb1ELb1ES3_N6thrust23THRUST_200600_302600_NS6detail15normal_iteratorINS9_10device_ptrItEEEESE_t11max_functorItEtEEDaPvRmT3_T4_T5_mT6_P12ihipStream_tbENKUlT_T0_E_clISt17integral_constantIbLb0EESU_EEDaSP_SQ_EUlSP_E_NS1_11comp_targetILNS1_3genE10ELNS1_11target_archE1201ELNS1_3gpuE5ELNS1_3repE0EEENS1_30default_config_static_selectorELNS0_4arch9wavefront6targetE1EEEvT1_
    .private_segment_fixed_size: 0
    .sgpr_count:     4
    .sgpr_spill_count: 0
    .symbol:         _ZN7rocprim17ROCPRIM_400000_NS6detail17trampoline_kernelINS0_14default_configENS1_20scan_config_selectorItEEZZNS1_9scan_implILNS1_25lookback_scan_determinismE0ELb1ELb1ES3_N6thrust23THRUST_200600_302600_NS6detail15normal_iteratorINS9_10device_ptrItEEEESE_t11max_functorItEtEEDaPvRmT3_T4_T5_mT6_P12ihipStream_tbENKUlT_T0_E_clISt17integral_constantIbLb0EESU_EEDaSP_SQ_EUlSP_E_NS1_11comp_targetILNS1_3genE10ELNS1_11target_archE1201ELNS1_3gpuE5ELNS1_3repE0EEENS1_30default_config_static_selectorELNS0_4arch9wavefront6targetE1EEEvT1_.kd
    .uniform_work_group_size: 1
    .uses_dynamic_stack: false
    .vgpr_count:     0
    .vgpr_spill_count: 0
    .wavefront_size: 64
  - .agpr_count:     0
    .args:
      - .offset:         0
        .size:           96
        .value_kind:     by_value
    .group_segment_fixed_size: 0
    .kernarg_segment_align: 8
    .kernarg_segment_size: 96
    .language:       OpenCL C
    .language_version:
      - 2
      - 0
    .max_flat_workgroup_size: 256
    .name:           _ZN7rocprim17ROCPRIM_400000_NS6detail17trampoline_kernelINS0_14default_configENS1_20scan_config_selectorItEEZZNS1_9scan_implILNS1_25lookback_scan_determinismE0ELb1ELb1ES3_N6thrust23THRUST_200600_302600_NS6detail15normal_iteratorINS9_10device_ptrItEEEESE_t11max_functorItEtEEDaPvRmT3_T4_T5_mT6_P12ihipStream_tbENKUlT_T0_E_clISt17integral_constantIbLb0EESU_EEDaSP_SQ_EUlSP_E_NS1_11comp_targetILNS1_3genE10ELNS1_11target_archE1200ELNS1_3gpuE4ELNS1_3repE0EEENS1_30default_config_static_selectorELNS0_4arch9wavefront6targetE1EEEvT1_
    .private_segment_fixed_size: 0
    .sgpr_count:     4
    .sgpr_spill_count: 0
    .symbol:         _ZN7rocprim17ROCPRIM_400000_NS6detail17trampoline_kernelINS0_14default_configENS1_20scan_config_selectorItEEZZNS1_9scan_implILNS1_25lookback_scan_determinismE0ELb1ELb1ES3_N6thrust23THRUST_200600_302600_NS6detail15normal_iteratorINS9_10device_ptrItEEEESE_t11max_functorItEtEEDaPvRmT3_T4_T5_mT6_P12ihipStream_tbENKUlT_T0_E_clISt17integral_constantIbLb0EESU_EEDaSP_SQ_EUlSP_E_NS1_11comp_targetILNS1_3genE10ELNS1_11target_archE1200ELNS1_3gpuE4ELNS1_3repE0EEENS1_30default_config_static_selectorELNS0_4arch9wavefront6targetE1EEEvT1_.kd
    .uniform_work_group_size: 1
    .uses_dynamic_stack: false
    .vgpr_count:     0
    .vgpr_spill_count: 0
    .wavefront_size: 64
  - .agpr_count:     0
    .args:
      - .offset:         0
        .size:           96
        .value_kind:     by_value
    .group_segment_fixed_size: 0
    .kernarg_segment_align: 8
    .kernarg_segment_size: 96
    .language:       OpenCL C
    .language_version:
      - 2
      - 0
    .max_flat_workgroup_size: 64
    .name:           _ZN7rocprim17ROCPRIM_400000_NS6detail17trampoline_kernelINS0_14default_configENS1_20scan_config_selectorItEEZZNS1_9scan_implILNS1_25lookback_scan_determinismE0ELb1ELb1ES3_N6thrust23THRUST_200600_302600_NS6detail15normal_iteratorINS9_10device_ptrItEEEESE_t11max_functorItEtEEDaPvRmT3_T4_T5_mT6_P12ihipStream_tbENKUlT_T0_E_clISt17integral_constantIbLb0EESU_EEDaSP_SQ_EUlSP_E_NS1_11comp_targetILNS1_3genE9ELNS1_11target_archE1100ELNS1_3gpuE3ELNS1_3repE0EEENS1_30default_config_static_selectorELNS0_4arch9wavefront6targetE1EEEvT1_
    .private_segment_fixed_size: 0
    .sgpr_count:     4
    .sgpr_spill_count: 0
    .symbol:         _ZN7rocprim17ROCPRIM_400000_NS6detail17trampoline_kernelINS0_14default_configENS1_20scan_config_selectorItEEZZNS1_9scan_implILNS1_25lookback_scan_determinismE0ELb1ELb1ES3_N6thrust23THRUST_200600_302600_NS6detail15normal_iteratorINS9_10device_ptrItEEEESE_t11max_functorItEtEEDaPvRmT3_T4_T5_mT6_P12ihipStream_tbENKUlT_T0_E_clISt17integral_constantIbLb0EESU_EEDaSP_SQ_EUlSP_E_NS1_11comp_targetILNS1_3genE9ELNS1_11target_archE1100ELNS1_3gpuE3ELNS1_3repE0EEENS1_30default_config_static_selectorELNS0_4arch9wavefront6targetE1EEEvT1_.kd
    .uniform_work_group_size: 1
    .uses_dynamic_stack: false
    .vgpr_count:     0
    .vgpr_spill_count: 0
    .wavefront_size: 64
  - .agpr_count:     0
    .args:
      - .offset:         0
        .size:           96
        .value_kind:     by_value
    .group_segment_fixed_size: 0
    .kernarg_segment_align: 8
    .kernarg_segment_size: 96
    .language:       OpenCL C
    .language_version:
      - 2
      - 0
    .max_flat_workgroup_size: 64
    .name:           _ZN7rocprim17ROCPRIM_400000_NS6detail17trampoline_kernelINS0_14default_configENS1_20scan_config_selectorItEEZZNS1_9scan_implILNS1_25lookback_scan_determinismE0ELb1ELb1ES3_N6thrust23THRUST_200600_302600_NS6detail15normal_iteratorINS9_10device_ptrItEEEESE_t11max_functorItEtEEDaPvRmT3_T4_T5_mT6_P12ihipStream_tbENKUlT_T0_E_clISt17integral_constantIbLb0EESU_EEDaSP_SQ_EUlSP_E_NS1_11comp_targetILNS1_3genE8ELNS1_11target_archE1030ELNS1_3gpuE2ELNS1_3repE0EEENS1_30default_config_static_selectorELNS0_4arch9wavefront6targetE1EEEvT1_
    .private_segment_fixed_size: 0
    .sgpr_count:     4
    .sgpr_spill_count: 0
    .symbol:         _ZN7rocprim17ROCPRIM_400000_NS6detail17trampoline_kernelINS0_14default_configENS1_20scan_config_selectorItEEZZNS1_9scan_implILNS1_25lookback_scan_determinismE0ELb1ELb1ES3_N6thrust23THRUST_200600_302600_NS6detail15normal_iteratorINS9_10device_ptrItEEEESE_t11max_functorItEtEEDaPvRmT3_T4_T5_mT6_P12ihipStream_tbENKUlT_T0_E_clISt17integral_constantIbLb0EESU_EEDaSP_SQ_EUlSP_E_NS1_11comp_targetILNS1_3genE8ELNS1_11target_archE1030ELNS1_3gpuE2ELNS1_3repE0EEENS1_30default_config_static_selectorELNS0_4arch9wavefront6targetE1EEEvT1_.kd
    .uniform_work_group_size: 1
    .uses_dynamic_stack: false
    .vgpr_count:     0
    .vgpr_spill_count: 0
    .wavefront_size: 64
  - .agpr_count:     0
    .args:
      - .offset:         0
        .size:           32
        .value_kind:     by_value
    .group_segment_fixed_size: 0
    .kernarg_segment_align: 8
    .kernarg_segment_size: 32
    .language:       OpenCL C
    .language_version:
      - 2
      - 0
    .max_flat_workgroup_size: 128
    .name:           _ZN7rocprim17ROCPRIM_400000_NS6detail17trampoline_kernelINS0_14default_configENS1_20scan_config_selectorItEEZZNS1_9scan_implILNS1_25lookback_scan_determinismE0ELb1ELb1ES3_N6thrust23THRUST_200600_302600_NS6detail15normal_iteratorINS9_10device_ptrItEEEESE_t11max_functorItEtEEDaPvRmT3_T4_T5_mT6_P12ihipStream_tbENKUlT_T0_E_clISt17integral_constantIbLb0EESU_EEDaSP_SQ_EUlSP_E0_NS1_11comp_targetILNS1_3genE0ELNS1_11target_archE4294967295ELNS1_3gpuE0ELNS1_3repE0EEENS1_30default_config_static_selectorELNS0_4arch9wavefront6targetE1EEEvT1_
    .private_segment_fixed_size: 0
    .sgpr_count:     4
    .sgpr_spill_count: 0
    .symbol:         _ZN7rocprim17ROCPRIM_400000_NS6detail17trampoline_kernelINS0_14default_configENS1_20scan_config_selectorItEEZZNS1_9scan_implILNS1_25lookback_scan_determinismE0ELb1ELb1ES3_N6thrust23THRUST_200600_302600_NS6detail15normal_iteratorINS9_10device_ptrItEEEESE_t11max_functorItEtEEDaPvRmT3_T4_T5_mT6_P12ihipStream_tbENKUlT_T0_E_clISt17integral_constantIbLb0EESU_EEDaSP_SQ_EUlSP_E0_NS1_11comp_targetILNS1_3genE0ELNS1_11target_archE4294967295ELNS1_3gpuE0ELNS1_3repE0EEENS1_30default_config_static_selectorELNS0_4arch9wavefront6targetE1EEEvT1_.kd
    .uniform_work_group_size: 1
    .uses_dynamic_stack: false
    .vgpr_count:     0
    .vgpr_spill_count: 0
    .wavefront_size: 64
  - .agpr_count:     0
    .args:
      - .offset:         0
        .size:           32
        .value_kind:     by_value
    .group_segment_fixed_size: 0
    .kernarg_segment_align: 8
    .kernarg_segment_size: 32
    .language:       OpenCL C
    .language_version:
      - 2
      - 0
    .max_flat_workgroup_size: 256
    .name:           _ZN7rocprim17ROCPRIM_400000_NS6detail17trampoline_kernelINS0_14default_configENS1_20scan_config_selectorItEEZZNS1_9scan_implILNS1_25lookback_scan_determinismE0ELb1ELb1ES3_N6thrust23THRUST_200600_302600_NS6detail15normal_iteratorINS9_10device_ptrItEEEESE_t11max_functorItEtEEDaPvRmT3_T4_T5_mT6_P12ihipStream_tbENKUlT_T0_E_clISt17integral_constantIbLb0EESU_EEDaSP_SQ_EUlSP_E0_NS1_11comp_targetILNS1_3genE5ELNS1_11target_archE942ELNS1_3gpuE9ELNS1_3repE0EEENS1_30default_config_static_selectorELNS0_4arch9wavefront6targetE1EEEvT1_
    .private_segment_fixed_size: 0
    .sgpr_count:     4
    .sgpr_spill_count: 0
    .symbol:         _ZN7rocprim17ROCPRIM_400000_NS6detail17trampoline_kernelINS0_14default_configENS1_20scan_config_selectorItEEZZNS1_9scan_implILNS1_25lookback_scan_determinismE0ELb1ELb1ES3_N6thrust23THRUST_200600_302600_NS6detail15normal_iteratorINS9_10device_ptrItEEEESE_t11max_functorItEtEEDaPvRmT3_T4_T5_mT6_P12ihipStream_tbENKUlT_T0_E_clISt17integral_constantIbLb0EESU_EEDaSP_SQ_EUlSP_E0_NS1_11comp_targetILNS1_3genE5ELNS1_11target_archE942ELNS1_3gpuE9ELNS1_3repE0EEENS1_30default_config_static_selectorELNS0_4arch9wavefront6targetE1EEEvT1_.kd
    .uniform_work_group_size: 1
    .uses_dynamic_stack: false
    .vgpr_count:     0
    .vgpr_spill_count: 0
    .wavefront_size: 64
  - .agpr_count:     0
    .args:
      - .offset:         0
        .size:           32
        .value_kind:     by_value
    .group_segment_fixed_size: 3072
    .kernarg_segment_align: 8
    .kernarg_segment_size: 32
    .language:       OpenCL C
    .language_version:
      - 2
      - 0
    .max_flat_workgroup_size: 64
    .name:           _ZN7rocprim17ROCPRIM_400000_NS6detail17trampoline_kernelINS0_14default_configENS1_20scan_config_selectorItEEZZNS1_9scan_implILNS1_25lookback_scan_determinismE0ELb1ELb1ES3_N6thrust23THRUST_200600_302600_NS6detail15normal_iteratorINS9_10device_ptrItEEEESE_t11max_functorItEtEEDaPvRmT3_T4_T5_mT6_P12ihipStream_tbENKUlT_T0_E_clISt17integral_constantIbLb0EESU_EEDaSP_SQ_EUlSP_E0_NS1_11comp_targetILNS1_3genE4ELNS1_11target_archE910ELNS1_3gpuE8ELNS1_3repE0EEENS1_30default_config_static_selectorELNS0_4arch9wavefront6targetE1EEEvT1_
    .private_segment_fixed_size: 0
    .sgpr_count:     60
    .sgpr_spill_count: 0
    .symbol:         _ZN7rocprim17ROCPRIM_400000_NS6detail17trampoline_kernelINS0_14default_configENS1_20scan_config_selectorItEEZZNS1_9scan_implILNS1_25lookback_scan_determinismE0ELb1ELb1ES3_N6thrust23THRUST_200600_302600_NS6detail15normal_iteratorINS9_10device_ptrItEEEESE_t11max_functorItEtEEDaPvRmT3_T4_T5_mT6_P12ihipStream_tbENKUlT_T0_E_clISt17integral_constantIbLb0EESU_EEDaSP_SQ_EUlSP_E0_NS1_11comp_targetILNS1_3genE4ELNS1_11target_archE910ELNS1_3gpuE8ELNS1_3repE0EEENS1_30default_config_static_selectorELNS0_4arch9wavefront6targetE1EEEvT1_.kd
    .uniform_work_group_size: 1
    .uses_dynamic_stack: false
    .vgpr_count:     32
    .vgpr_spill_count: 0
    .wavefront_size: 64
  - .agpr_count:     0
    .args:
      - .offset:         0
        .size:           32
        .value_kind:     by_value
    .group_segment_fixed_size: 0
    .kernarg_segment_align: 8
    .kernarg_segment_size: 32
    .language:       OpenCL C
    .language_version:
      - 2
      - 0
    .max_flat_workgroup_size: 128
    .name:           _ZN7rocprim17ROCPRIM_400000_NS6detail17trampoline_kernelINS0_14default_configENS1_20scan_config_selectorItEEZZNS1_9scan_implILNS1_25lookback_scan_determinismE0ELb1ELb1ES3_N6thrust23THRUST_200600_302600_NS6detail15normal_iteratorINS9_10device_ptrItEEEESE_t11max_functorItEtEEDaPvRmT3_T4_T5_mT6_P12ihipStream_tbENKUlT_T0_E_clISt17integral_constantIbLb0EESU_EEDaSP_SQ_EUlSP_E0_NS1_11comp_targetILNS1_3genE3ELNS1_11target_archE908ELNS1_3gpuE7ELNS1_3repE0EEENS1_30default_config_static_selectorELNS0_4arch9wavefront6targetE1EEEvT1_
    .private_segment_fixed_size: 0
    .sgpr_count:     4
    .sgpr_spill_count: 0
    .symbol:         _ZN7rocprim17ROCPRIM_400000_NS6detail17trampoline_kernelINS0_14default_configENS1_20scan_config_selectorItEEZZNS1_9scan_implILNS1_25lookback_scan_determinismE0ELb1ELb1ES3_N6thrust23THRUST_200600_302600_NS6detail15normal_iteratorINS9_10device_ptrItEEEESE_t11max_functorItEtEEDaPvRmT3_T4_T5_mT6_P12ihipStream_tbENKUlT_T0_E_clISt17integral_constantIbLb0EESU_EEDaSP_SQ_EUlSP_E0_NS1_11comp_targetILNS1_3genE3ELNS1_11target_archE908ELNS1_3gpuE7ELNS1_3repE0EEENS1_30default_config_static_selectorELNS0_4arch9wavefront6targetE1EEEvT1_.kd
    .uniform_work_group_size: 1
    .uses_dynamic_stack: false
    .vgpr_count:     0
    .vgpr_spill_count: 0
    .wavefront_size: 64
  - .agpr_count:     0
    .args:
      - .offset:         0
        .size:           32
        .value_kind:     by_value
    .group_segment_fixed_size: 0
    .kernarg_segment_align: 8
    .kernarg_segment_size: 32
    .language:       OpenCL C
    .language_version:
      - 2
      - 0
    .max_flat_workgroup_size: 256
    .name:           _ZN7rocprim17ROCPRIM_400000_NS6detail17trampoline_kernelINS0_14default_configENS1_20scan_config_selectorItEEZZNS1_9scan_implILNS1_25lookback_scan_determinismE0ELb1ELb1ES3_N6thrust23THRUST_200600_302600_NS6detail15normal_iteratorINS9_10device_ptrItEEEESE_t11max_functorItEtEEDaPvRmT3_T4_T5_mT6_P12ihipStream_tbENKUlT_T0_E_clISt17integral_constantIbLb0EESU_EEDaSP_SQ_EUlSP_E0_NS1_11comp_targetILNS1_3genE2ELNS1_11target_archE906ELNS1_3gpuE6ELNS1_3repE0EEENS1_30default_config_static_selectorELNS0_4arch9wavefront6targetE1EEEvT1_
    .private_segment_fixed_size: 0
    .sgpr_count:     4
    .sgpr_spill_count: 0
    .symbol:         _ZN7rocprim17ROCPRIM_400000_NS6detail17trampoline_kernelINS0_14default_configENS1_20scan_config_selectorItEEZZNS1_9scan_implILNS1_25lookback_scan_determinismE0ELb1ELb1ES3_N6thrust23THRUST_200600_302600_NS6detail15normal_iteratorINS9_10device_ptrItEEEESE_t11max_functorItEtEEDaPvRmT3_T4_T5_mT6_P12ihipStream_tbENKUlT_T0_E_clISt17integral_constantIbLb0EESU_EEDaSP_SQ_EUlSP_E0_NS1_11comp_targetILNS1_3genE2ELNS1_11target_archE906ELNS1_3gpuE6ELNS1_3repE0EEENS1_30default_config_static_selectorELNS0_4arch9wavefront6targetE1EEEvT1_.kd
    .uniform_work_group_size: 1
    .uses_dynamic_stack: false
    .vgpr_count:     0
    .vgpr_spill_count: 0
    .wavefront_size: 64
  - .agpr_count:     0
    .args:
      - .offset:         0
        .size:           32
        .value_kind:     by_value
    .group_segment_fixed_size: 0
    .kernarg_segment_align: 8
    .kernarg_segment_size: 32
    .language:       OpenCL C
    .language_version:
      - 2
      - 0
    .max_flat_workgroup_size: 256
    .name:           _ZN7rocprim17ROCPRIM_400000_NS6detail17trampoline_kernelINS0_14default_configENS1_20scan_config_selectorItEEZZNS1_9scan_implILNS1_25lookback_scan_determinismE0ELb1ELb1ES3_N6thrust23THRUST_200600_302600_NS6detail15normal_iteratorINS9_10device_ptrItEEEESE_t11max_functorItEtEEDaPvRmT3_T4_T5_mT6_P12ihipStream_tbENKUlT_T0_E_clISt17integral_constantIbLb0EESU_EEDaSP_SQ_EUlSP_E0_NS1_11comp_targetILNS1_3genE10ELNS1_11target_archE1201ELNS1_3gpuE5ELNS1_3repE0EEENS1_30default_config_static_selectorELNS0_4arch9wavefront6targetE1EEEvT1_
    .private_segment_fixed_size: 0
    .sgpr_count:     4
    .sgpr_spill_count: 0
    .symbol:         _ZN7rocprim17ROCPRIM_400000_NS6detail17trampoline_kernelINS0_14default_configENS1_20scan_config_selectorItEEZZNS1_9scan_implILNS1_25lookback_scan_determinismE0ELb1ELb1ES3_N6thrust23THRUST_200600_302600_NS6detail15normal_iteratorINS9_10device_ptrItEEEESE_t11max_functorItEtEEDaPvRmT3_T4_T5_mT6_P12ihipStream_tbENKUlT_T0_E_clISt17integral_constantIbLb0EESU_EEDaSP_SQ_EUlSP_E0_NS1_11comp_targetILNS1_3genE10ELNS1_11target_archE1201ELNS1_3gpuE5ELNS1_3repE0EEENS1_30default_config_static_selectorELNS0_4arch9wavefront6targetE1EEEvT1_.kd
    .uniform_work_group_size: 1
    .uses_dynamic_stack: false
    .vgpr_count:     0
    .vgpr_spill_count: 0
    .wavefront_size: 64
  - .agpr_count:     0
    .args:
      - .offset:         0
        .size:           32
        .value_kind:     by_value
    .group_segment_fixed_size: 0
    .kernarg_segment_align: 8
    .kernarg_segment_size: 32
    .language:       OpenCL C
    .language_version:
      - 2
      - 0
    .max_flat_workgroup_size: 256
    .name:           _ZN7rocprim17ROCPRIM_400000_NS6detail17trampoline_kernelINS0_14default_configENS1_20scan_config_selectorItEEZZNS1_9scan_implILNS1_25lookback_scan_determinismE0ELb1ELb1ES3_N6thrust23THRUST_200600_302600_NS6detail15normal_iteratorINS9_10device_ptrItEEEESE_t11max_functorItEtEEDaPvRmT3_T4_T5_mT6_P12ihipStream_tbENKUlT_T0_E_clISt17integral_constantIbLb0EESU_EEDaSP_SQ_EUlSP_E0_NS1_11comp_targetILNS1_3genE10ELNS1_11target_archE1200ELNS1_3gpuE4ELNS1_3repE0EEENS1_30default_config_static_selectorELNS0_4arch9wavefront6targetE1EEEvT1_
    .private_segment_fixed_size: 0
    .sgpr_count:     4
    .sgpr_spill_count: 0
    .symbol:         _ZN7rocprim17ROCPRIM_400000_NS6detail17trampoline_kernelINS0_14default_configENS1_20scan_config_selectorItEEZZNS1_9scan_implILNS1_25lookback_scan_determinismE0ELb1ELb1ES3_N6thrust23THRUST_200600_302600_NS6detail15normal_iteratorINS9_10device_ptrItEEEESE_t11max_functorItEtEEDaPvRmT3_T4_T5_mT6_P12ihipStream_tbENKUlT_T0_E_clISt17integral_constantIbLb0EESU_EEDaSP_SQ_EUlSP_E0_NS1_11comp_targetILNS1_3genE10ELNS1_11target_archE1200ELNS1_3gpuE4ELNS1_3repE0EEENS1_30default_config_static_selectorELNS0_4arch9wavefront6targetE1EEEvT1_.kd
    .uniform_work_group_size: 1
    .uses_dynamic_stack: false
    .vgpr_count:     0
    .vgpr_spill_count: 0
    .wavefront_size: 64
  - .agpr_count:     0
    .args:
      - .offset:         0
        .size:           32
        .value_kind:     by_value
    .group_segment_fixed_size: 0
    .kernarg_segment_align: 8
    .kernarg_segment_size: 32
    .language:       OpenCL C
    .language_version:
      - 2
      - 0
    .max_flat_workgroup_size: 64
    .name:           _ZN7rocprim17ROCPRIM_400000_NS6detail17trampoline_kernelINS0_14default_configENS1_20scan_config_selectorItEEZZNS1_9scan_implILNS1_25lookback_scan_determinismE0ELb1ELb1ES3_N6thrust23THRUST_200600_302600_NS6detail15normal_iteratorINS9_10device_ptrItEEEESE_t11max_functorItEtEEDaPvRmT3_T4_T5_mT6_P12ihipStream_tbENKUlT_T0_E_clISt17integral_constantIbLb0EESU_EEDaSP_SQ_EUlSP_E0_NS1_11comp_targetILNS1_3genE9ELNS1_11target_archE1100ELNS1_3gpuE3ELNS1_3repE0EEENS1_30default_config_static_selectorELNS0_4arch9wavefront6targetE1EEEvT1_
    .private_segment_fixed_size: 0
    .sgpr_count:     4
    .sgpr_spill_count: 0
    .symbol:         _ZN7rocprim17ROCPRIM_400000_NS6detail17trampoline_kernelINS0_14default_configENS1_20scan_config_selectorItEEZZNS1_9scan_implILNS1_25lookback_scan_determinismE0ELb1ELb1ES3_N6thrust23THRUST_200600_302600_NS6detail15normal_iteratorINS9_10device_ptrItEEEESE_t11max_functorItEtEEDaPvRmT3_T4_T5_mT6_P12ihipStream_tbENKUlT_T0_E_clISt17integral_constantIbLb0EESU_EEDaSP_SQ_EUlSP_E0_NS1_11comp_targetILNS1_3genE9ELNS1_11target_archE1100ELNS1_3gpuE3ELNS1_3repE0EEENS1_30default_config_static_selectorELNS0_4arch9wavefront6targetE1EEEvT1_.kd
    .uniform_work_group_size: 1
    .uses_dynamic_stack: false
    .vgpr_count:     0
    .vgpr_spill_count: 0
    .wavefront_size: 64
  - .agpr_count:     0
    .args:
      - .offset:         0
        .size:           32
        .value_kind:     by_value
    .group_segment_fixed_size: 0
    .kernarg_segment_align: 8
    .kernarg_segment_size: 32
    .language:       OpenCL C
    .language_version:
      - 2
      - 0
    .max_flat_workgroup_size: 64
    .name:           _ZN7rocprim17ROCPRIM_400000_NS6detail17trampoline_kernelINS0_14default_configENS1_20scan_config_selectorItEEZZNS1_9scan_implILNS1_25lookback_scan_determinismE0ELb1ELb1ES3_N6thrust23THRUST_200600_302600_NS6detail15normal_iteratorINS9_10device_ptrItEEEESE_t11max_functorItEtEEDaPvRmT3_T4_T5_mT6_P12ihipStream_tbENKUlT_T0_E_clISt17integral_constantIbLb0EESU_EEDaSP_SQ_EUlSP_E0_NS1_11comp_targetILNS1_3genE8ELNS1_11target_archE1030ELNS1_3gpuE2ELNS1_3repE0EEENS1_30default_config_static_selectorELNS0_4arch9wavefront6targetE1EEEvT1_
    .private_segment_fixed_size: 0
    .sgpr_count:     4
    .sgpr_spill_count: 0
    .symbol:         _ZN7rocprim17ROCPRIM_400000_NS6detail17trampoline_kernelINS0_14default_configENS1_20scan_config_selectorItEEZZNS1_9scan_implILNS1_25lookback_scan_determinismE0ELb1ELb1ES3_N6thrust23THRUST_200600_302600_NS6detail15normal_iteratorINS9_10device_ptrItEEEESE_t11max_functorItEtEEDaPvRmT3_T4_T5_mT6_P12ihipStream_tbENKUlT_T0_E_clISt17integral_constantIbLb0EESU_EEDaSP_SQ_EUlSP_E0_NS1_11comp_targetILNS1_3genE8ELNS1_11target_archE1030ELNS1_3gpuE2ELNS1_3repE0EEENS1_30default_config_static_selectorELNS0_4arch9wavefront6targetE1EEEvT1_.kd
    .uniform_work_group_size: 1
    .uses_dynamic_stack: false
    .vgpr_count:     0
    .vgpr_spill_count: 0
    .wavefront_size: 64
  - .agpr_count:     0
    .args:
      - .offset:         0
        .size:           96
        .value_kind:     by_value
    .group_segment_fixed_size: 0
    .kernarg_segment_align: 8
    .kernarg_segment_size: 96
    .language:       OpenCL C
    .language_version:
      - 2
      - 0
    .max_flat_workgroup_size: 128
    .name:           _ZN7rocprim17ROCPRIM_400000_NS6detail17trampoline_kernelINS0_14default_configENS1_20scan_config_selectorItEEZZNS1_9scan_implILNS1_25lookback_scan_determinismE0ELb1ELb1ES3_N6thrust23THRUST_200600_302600_NS6detail15normal_iteratorINS9_10device_ptrItEEEESE_t11max_functorItEtEEDaPvRmT3_T4_T5_mT6_P12ihipStream_tbENKUlT_T0_E_clISt17integral_constantIbLb1EESU_EEDaSP_SQ_EUlSP_E_NS1_11comp_targetILNS1_3genE0ELNS1_11target_archE4294967295ELNS1_3gpuE0ELNS1_3repE0EEENS1_30default_config_static_selectorELNS0_4arch9wavefront6targetE1EEEvT1_
    .private_segment_fixed_size: 0
    .sgpr_count:     4
    .sgpr_spill_count: 0
    .symbol:         _ZN7rocprim17ROCPRIM_400000_NS6detail17trampoline_kernelINS0_14default_configENS1_20scan_config_selectorItEEZZNS1_9scan_implILNS1_25lookback_scan_determinismE0ELb1ELb1ES3_N6thrust23THRUST_200600_302600_NS6detail15normal_iteratorINS9_10device_ptrItEEEESE_t11max_functorItEtEEDaPvRmT3_T4_T5_mT6_P12ihipStream_tbENKUlT_T0_E_clISt17integral_constantIbLb1EESU_EEDaSP_SQ_EUlSP_E_NS1_11comp_targetILNS1_3genE0ELNS1_11target_archE4294967295ELNS1_3gpuE0ELNS1_3repE0EEENS1_30default_config_static_selectorELNS0_4arch9wavefront6targetE1EEEvT1_.kd
    .uniform_work_group_size: 1
    .uses_dynamic_stack: false
    .vgpr_count:     0
    .vgpr_spill_count: 0
    .wavefront_size: 64
  - .agpr_count:     0
    .args:
      - .offset:         0
        .size:           96
        .value_kind:     by_value
    .group_segment_fixed_size: 0
    .kernarg_segment_align: 8
    .kernarg_segment_size: 96
    .language:       OpenCL C
    .language_version:
      - 2
      - 0
    .max_flat_workgroup_size: 256
    .name:           _ZN7rocprim17ROCPRIM_400000_NS6detail17trampoline_kernelINS0_14default_configENS1_20scan_config_selectorItEEZZNS1_9scan_implILNS1_25lookback_scan_determinismE0ELb1ELb1ES3_N6thrust23THRUST_200600_302600_NS6detail15normal_iteratorINS9_10device_ptrItEEEESE_t11max_functorItEtEEDaPvRmT3_T4_T5_mT6_P12ihipStream_tbENKUlT_T0_E_clISt17integral_constantIbLb1EESU_EEDaSP_SQ_EUlSP_E_NS1_11comp_targetILNS1_3genE5ELNS1_11target_archE942ELNS1_3gpuE9ELNS1_3repE0EEENS1_30default_config_static_selectorELNS0_4arch9wavefront6targetE1EEEvT1_
    .private_segment_fixed_size: 0
    .sgpr_count:     4
    .sgpr_spill_count: 0
    .symbol:         _ZN7rocprim17ROCPRIM_400000_NS6detail17trampoline_kernelINS0_14default_configENS1_20scan_config_selectorItEEZZNS1_9scan_implILNS1_25lookback_scan_determinismE0ELb1ELb1ES3_N6thrust23THRUST_200600_302600_NS6detail15normal_iteratorINS9_10device_ptrItEEEESE_t11max_functorItEtEEDaPvRmT3_T4_T5_mT6_P12ihipStream_tbENKUlT_T0_E_clISt17integral_constantIbLb1EESU_EEDaSP_SQ_EUlSP_E_NS1_11comp_targetILNS1_3genE5ELNS1_11target_archE942ELNS1_3gpuE9ELNS1_3repE0EEENS1_30default_config_static_selectorELNS0_4arch9wavefront6targetE1EEEvT1_.kd
    .uniform_work_group_size: 1
    .uses_dynamic_stack: false
    .vgpr_count:     0
    .vgpr_spill_count: 0
    .wavefront_size: 64
  - .agpr_count:     0
    .args:
      - .offset:         0
        .size:           96
        .value_kind:     by_value
    .group_segment_fixed_size: 3072
    .kernarg_segment_align: 8
    .kernarg_segment_size: 96
    .language:       OpenCL C
    .language_version:
      - 2
      - 0
    .max_flat_workgroup_size: 64
    .name:           _ZN7rocprim17ROCPRIM_400000_NS6detail17trampoline_kernelINS0_14default_configENS1_20scan_config_selectorItEEZZNS1_9scan_implILNS1_25lookback_scan_determinismE0ELb1ELb1ES3_N6thrust23THRUST_200600_302600_NS6detail15normal_iteratorINS9_10device_ptrItEEEESE_t11max_functorItEtEEDaPvRmT3_T4_T5_mT6_P12ihipStream_tbENKUlT_T0_E_clISt17integral_constantIbLb1EESU_EEDaSP_SQ_EUlSP_E_NS1_11comp_targetILNS1_3genE4ELNS1_11target_archE910ELNS1_3gpuE8ELNS1_3repE0EEENS1_30default_config_static_selectorELNS0_4arch9wavefront6targetE1EEEvT1_
    .private_segment_fixed_size: 0
    .sgpr_count:     43
    .sgpr_spill_count: 0
    .symbol:         _ZN7rocprim17ROCPRIM_400000_NS6detail17trampoline_kernelINS0_14default_configENS1_20scan_config_selectorItEEZZNS1_9scan_implILNS1_25lookback_scan_determinismE0ELb1ELb1ES3_N6thrust23THRUST_200600_302600_NS6detail15normal_iteratorINS9_10device_ptrItEEEESE_t11max_functorItEtEEDaPvRmT3_T4_T5_mT6_P12ihipStream_tbENKUlT_T0_E_clISt17integral_constantIbLb1EESU_EEDaSP_SQ_EUlSP_E_NS1_11comp_targetILNS1_3genE4ELNS1_11target_archE910ELNS1_3gpuE8ELNS1_3repE0EEENS1_30default_config_static_selectorELNS0_4arch9wavefront6targetE1EEEvT1_.kd
    .uniform_work_group_size: 1
    .uses_dynamic_stack: false
    .vgpr_count:     58
    .vgpr_spill_count: 0
    .wavefront_size: 64
  - .agpr_count:     0
    .args:
      - .offset:         0
        .size:           96
        .value_kind:     by_value
    .group_segment_fixed_size: 0
    .kernarg_segment_align: 8
    .kernarg_segment_size: 96
    .language:       OpenCL C
    .language_version:
      - 2
      - 0
    .max_flat_workgroup_size: 128
    .name:           _ZN7rocprim17ROCPRIM_400000_NS6detail17trampoline_kernelINS0_14default_configENS1_20scan_config_selectorItEEZZNS1_9scan_implILNS1_25lookback_scan_determinismE0ELb1ELb1ES3_N6thrust23THRUST_200600_302600_NS6detail15normal_iteratorINS9_10device_ptrItEEEESE_t11max_functorItEtEEDaPvRmT3_T4_T5_mT6_P12ihipStream_tbENKUlT_T0_E_clISt17integral_constantIbLb1EESU_EEDaSP_SQ_EUlSP_E_NS1_11comp_targetILNS1_3genE3ELNS1_11target_archE908ELNS1_3gpuE7ELNS1_3repE0EEENS1_30default_config_static_selectorELNS0_4arch9wavefront6targetE1EEEvT1_
    .private_segment_fixed_size: 0
    .sgpr_count:     4
    .sgpr_spill_count: 0
    .symbol:         _ZN7rocprim17ROCPRIM_400000_NS6detail17trampoline_kernelINS0_14default_configENS1_20scan_config_selectorItEEZZNS1_9scan_implILNS1_25lookback_scan_determinismE0ELb1ELb1ES3_N6thrust23THRUST_200600_302600_NS6detail15normal_iteratorINS9_10device_ptrItEEEESE_t11max_functorItEtEEDaPvRmT3_T4_T5_mT6_P12ihipStream_tbENKUlT_T0_E_clISt17integral_constantIbLb1EESU_EEDaSP_SQ_EUlSP_E_NS1_11comp_targetILNS1_3genE3ELNS1_11target_archE908ELNS1_3gpuE7ELNS1_3repE0EEENS1_30default_config_static_selectorELNS0_4arch9wavefront6targetE1EEEvT1_.kd
    .uniform_work_group_size: 1
    .uses_dynamic_stack: false
    .vgpr_count:     0
    .vgpr_spill_count: 0
    .wavefront_size: 64
  - .agpr_count:     0
    .args:
      - .offset:         0
        .size:           96
        .value_kind:     by_value
    .group_segment_fixed_size: 0
    .kernarg_segment_align: 8
    .kernarg_segment_size: 96
    .language:       OpenCL C
    .language_version:
      - 2
      - 0
    .max_flat_workgroup_size: 256
    .name:           _ZN7rocprim17ROCPRIM_400000_NS6detail17trampoline_kernelINS0_14default_configENS1_20scan_config_selectorItEEZZNS1_9scan_implILNS1_25lookback_scan_determinismE0ELb1ELb1ES3_N6thrust23THRUST_200600_302600_NS6detail15normal_iteratorINS9_10device_ptrItEEEESE_t11max_functorItEtEEDaPvRmT3_T4_T5_mT6_P12ihipStream_tbENKUlT_T0_E_clISt17integral_constantIbLb1EESU_EEDaSP_SQ_EUlSP_E_NS1_11comp_targetILNS1_3genE2ELNS1_11target_archE906ELNS1_3gpuE6ELNS1_3repE0EEENS1_30default_config_static_selectorELNS0_4arch9wavefront6targetE1EEEvT1_
    .private_segment_fixed_size: 0
    .sgpr_count:     4
    .sgpr_spill_count: 0
    .symbol:         _ZN7rocprim17ROCPRIM_400000_NS6detail17trampoline_kernelINS0_14default_configENS1_20scan_config_selectorItEEZZNS1_9scan_implILNS1_25lookback_scan_determinismE0ELb1ELb1ES3_N6thrust23THRUST_200600_302600_NS6detail15normal_iteratorINS9_10device_ptrItEEEESE_t11max_functorItEtEEDaPvRmT3_T4_T5_mT6_P12ihipStream_tbENKUlT_T0_E_clISt17integral_constantIbLb1EESU_EEDaSP_SQ_EUlSP_E_NS1_11comp_targetILNS1_3genE2ELNS1_11target_archE906ELNS1_3gpuE6ELNS1_3repE0EEENS1_30default_config_static_selectorELNS0_4arch9wavefront6targetE1EEEvT1_.kd
    .uniform_work_group_size: 1
    .uses_dynamic_stack: false
    .vgpr_count:     0
    .vgpr_spill_count: 0
    .wavefront_size: 64
  - .agpr_count:     0
    .args:
      - .offset:         0
        .size:           96
        .value_kind:     by_value
    .group_segment_fixed_size: 0
    .kernarg_segment_align: 8
    .kernarg_segment_size: 96
    .language:       OpenCL C
    .language_version:
      - 2
      - 0
    .max_flat_workgroup_size: 256
    .name:           _ZN7rocprim17ROCPRIM_400000_NS6detail17trampoline_kernelINS0_14default_configENS1_20scan_config_selectorItEEZZNS1_9scan_implILNS1_25lookback_scan_determinismE0ELb1ELb1ES3_N6thrust23THRUST_200600_302600_NS6detail15normal_iteratorINS9_10device_ptrItEEEESE_t11max_functorItEtEEDaPvRmT3_T4_T5_mT6_P12ihipStream_tbENKUlT_T0_E_clISt17integral_constantIbLb1EESU_EEDaSP_SQ_EUlSP_E_NS1_11comp_targetILNS1_3genE10ELNS1_11target_archE1201ELNS1_3gpuE5ELNS1_3repE0EEENS1_30default_config_static_selectorELNS0_4arch9wavefront6targetE1EEEvT1_
    .private_segment_fixed_size: 0
    .sgpr_count:     4
    .sgpr_spill_count: 0
    .symbol:         _ZN7rocprim17ROCPRIM_400000_NS6detail17trampoline_kernelINS0_14default_configENS1_20scan_config_selectorItEEZZNS1_9scan_implILNS1_25lookback_scan_determinismE0ELb1ELb1ES3_N6thrust23THRUST_200600_302600_NS6detail15normal_iteratorINS9_10device_ptrItEEEESE_t11max_functorItEtEEDaPvRmT3_T4_T5_mT6_P12ihipStream_tbENKUlT_T0_E_clISt17integral_constantIbLb1EESU_EEDaSP_SQ_EUlSP_E_NS1_11comp_targetILNS1_3genE10ELNS1_11target_archE1201ELNS1_3gpuE5ELNS1_3repE0EEENS1_30default_config_static_selectorELNS0_4arch9wavefront6targetE1EEEvT1_.kd
    .uniform_work_group_size: 1
    .uses_dynamic_stack: false
    .vgpr_count:     0
    .vgpr_spill_count: 0
    .wavefront_size: 64
  - .agpr_count:     0
    .args:
      - .offset:         0
        .size:           96
        .value_kind:     by_value
    .group_segment_fixed_size: 0
    .kernarg_segment_align: 8
    .kernarg_segment_size: 96
    .language:       OpenCL C
    .language_version:
      - 2
      - 0
    .max_flat_workgroup_size: 256
    .name:           _ZN7rocprim17ROCPRIM_400000_NS6detail17trampoline_kernelINS0_14default_configENS1_20scan_config_selectorItEEZZNS1_9scan_implILNS1_25lookback_scan_determinismE0ELb1ELb1ES3_N6thrust23THRUST_200600_302600_NS6detail15normal_iteratorINS9_10device_ptrItEEEESE_t11max_functorItEtEEDaPvRmT3_T4_T5_mT6_P12ihipStream_tbENKUlT_T0_E_clISt17integral_constantIbLb1EESU_EEDaSP_SQ_EUlSP_E_NS1_11comp_targetILNS1_3genE10ELNS1_11target_archE1200ELNS1_3gpuE4ELNS1_3repE0EEENS1_30default_config_static_selectorELNS0_4arch9wavefront6targetE1EEEvT1_
    .private_segment_fixed_size: 0
    .sgpr_count:     4
    .sgpr_spill_count: 0
    .symbol:         _ZN7rocprim17ROCPRIM_400000_NS6detail17trampoline_kernelINS0_14default_configENS1_20scan_config_selectorItEEZZNS1_9scan_implILNS1_25lookback_scan_determinismE0ELb1ELb1ES3_N6thrust23THRUST_200600_302600_NS6detail15normal_iteratorINS9_10device_ptrItEEEESE_t11max_functorItEtEEDaPvRmT3_T4_T5_mT6_P12ihipStream_tbENKUlT_T0_E_clISt17integral_constantIbLb1EESU_EEDaSP_SQ_EUlSP_E_NS1_11comp_targetILNS1_3genE10ELNS1_11target_archE1200ELNS1_3gpuE4ELNS1_3repE0EEENS1_30default_config_static_selectorELNS0_4arch9wavefront6targetE1EEEvT1_.kd
    .uniform_work_group_size: 1
    .uses_dynamic_stack: false
    .vgpr_count:     0
    .vgpr_spill_count: 0
    .wavefront_size: 64
  - .agpr_count:     0
    .args:
      - .offset:         0
        .size:           96
        .value_kind:     by_value
    .group_segment_fixed_size: 0
    .kernarg_segment_align: 8
    .kernarg_segment_size: 96
    .language:       OpenCL C
    .language_version:
      - 2
      - 0
    .max_flat_workgroup_size: 64
    .name:           _ZN7rocprim17ROCPRIM_400000_NS6detail17trampoline_kernelINS0_14default_configENS1_20scan_config_selectorItEEZZNS1_9scan_implILNS1_25lookback_scan_determinismE0ELb1ELb1ES3_N6thrust23THRUST_200600_302600_NS6detail15normal_iteratorINS9_10device_ptrItEEEESE_t11max_functorItEtEEDaPvRmT3_T4_T5_mT6_P12ihipStream_tbENKUlT_T0_E_clISt17integral_constantIbLb1EESU_EEDaSP_SQ_EUlSP_E_NS1_11comp_targetILNS1_3genE9ELNS1_11target_archE1100ELNS1_3gpuE3ELNS1_3repE0EEENS1_30default_config_static_selectorELNS0_4arch9wavefront6targetE1EEEvT1_
    .private_segment_fixed_size: 0
    .sgpr_count:     4
    .sgpr_spill_count: 0
    .symbol:         _ZN7rocprim17ROCPRIM_400000_NS6detail17trampoline_kernelINS0_14default_configENS1_20scan_config_selectorItEEZZNS1_9scan_implILNS1_25lookback_scan_determinismE0ELb1ELb1ES3_N6thrust23THRUST_200600_302600_NS6detail15normal_iteratorINS9_10device_ptrItEEEESE_t11max_functorItEtEEDaPvRmT3_T4_T5_mT6_P12ihipStream_tbENKUlT_T0_E_clISt17integral_constantIbLb1EESU_EEDaSP_SQ_EUlSP_E_NS1_11comp_targetILNS1_3genE9ELNS1_11target_archE1100ELNS1_3gpuE3ELNS1_3repE0EEENS1_30default_config_static_selectorELNS0_4arch9wavefront6targetE1EEEvT1_.kd
    .uniform_work_group_size: 1
    .uses_dynamic_stack: false
    .vgpr_count:     0
    .vgpr_spill_count: 0
    .wavefront_size: 64
  - .agpr_count:     0
    .args:
      - .offset:         0
        .size:           96
        .value_kind:     by_value
    .group_segment_fixed_size: 0
    .kernarg_segment_align: 8
    .kernarg_segment_size: 96
    .language:       OpenCL C
    .language_version:
      - 2
      - 0
    .max_flat_workgroup_size: 64
    .name:           _ZN7rocprim17ROCPRIM_400000_NS6detail17trampoline_kernelINS0_14default_configENS1_20scan_config_selectorItEEZZNS1_9scan_implILNS1_25lookback_scan_determinismE0ELb1ELb1ES3_N6thrust23THRUST_200600_302600_NS6detail15normal_iteratorINS9_10device_ptrItEEEESE_t11max_functorItEtEEDaPvRmT3_T4_T5_mT6_P12ihipStream_tbENKUlT_T0_E_clISt17integral_constantIbLb1EESU_EEDaSP_SQ_EUlSP_E_NS1_11comp_targetILNS1_3genE8ELNS1_11target_archE1030ELNS1_3gpuE2ELNS1_3repE0EEENS1_30default_config_static_selectorELNS0_4arch9wavefront6targetE1EEEvT1_
    .private_segment_fixed_size: 0
    .sgpr_count:     4
    .sgpr_spill_count: 0
    .symbol:         _ZN7rocprim17ROCPRIM_400000_NS6detail17trampoline_kernelINS0_14default_configENS1_20scan_config_selectorItEEZZNS1_9scan_implILNS1_25lookback_scan_determinismE0ELb1ELb1ES3_N6thrust23THRUST_200600_302600_NS6detail15normal_iteratorINS9_10device_ptrItEEEESE_t11max_functorItEtEEDaPvRmT3_T4_T5_mT6_P12ihipStream_tbENKUlT_T0_E_clISt17integral_constantIbLb1EESU_EEDaSP_SQ_EUlSP_E_NS1_11comp_targetILNS1_3genE8ELNS1_11target_archE1030ELNS1_3gpuE2ELNS1_3repE0EEENS1_30default_config_static_selectorELNS0_4arch9wavefront6targetE1EEEvT1_.kd
    .uniform_work_group_size: 1
    .uses_dynamic_stack: false
    .vgpr_count:     0
    .vgpr_spill_count: 0
    .wavefront_size: 64
  - .agpr_count:     0
    .args:
      - .offset:         0
        .size:           32
        .value_kind:     by_value
    .group_segment_fixed_size: 0
    .kernarg_segment_align: 8
    .kernarg_segment_size: 32
    .language:       OpenCL C
    .language_version:
      - 2
      - 0
    .max_flat_workgroup_size: 128
    .name:           _ZN7rocprim17ROCPRIM_400000_NS6detail17trampoline_kernelINS0_14default_configENS1_20scan_config_selectorItEEZZNS1_9scan_implILNS1_25lookback_scan_determinismE0ELb1ELb1ES3_N6thrust23THRUST_200600_302600_NS6detail15normal_iteratorINS9_10device_ptrItEEEESE_t11max_functorItEtEEDaPvRmT3_T4_T5_mT6_P12ihipStream_tbENKUlT_T0_E_clISt17integral_constantIbLb1EESU_EEDaSP_SQ_EUlSP_E0_NS1_11comp_targetILNS1_3genE0ELNS1_11target_archE4294967295ELNS1_3gpuE0ELNS1_3repE0EEENS1_30default_config_static_selectorELNS0_4arch9wavefront6targetE1EEEvT1_
    .private_segment_fixed_size: 0
    .sgpr_count:     4
    .sgpr_spill_count: 0
    .symbol:         _ZN7rocprim17ROCPRIM_400000_NS6detail17trampoline_kernelINS0_14default_configENS1_20scan_config_selectorItEEZZNS1_9scan_implILNS1_25lookback_scan_determinismE0ELb1ELb1ES3_N6thrust23THRUST_200600_302600_NS6detail15normal_iteratorINS9_10device_ptrItEEEESE_t11max_functorItEtEEDaPvRmT3_T4_T5_mT6_P12ihipStream_tbENKUlT_T0_E_clISt17integral_constantIbLb1EESU_EEDaSP_SQ_EUlSP_E0_NS1_11comp_targetILNS1_3genE0ELNS1_11target_archE4294967295ELNS1_3gpuE0ELNS1_3repE0EEENS1_30default_config_static_selectorELNS0_4arch9wavefront6targetE1EEEvT1_.kd
    .uniform_work_group_size: 1
    .uses_dynamic_stack: false
    .vgpr_count:     0
    .vgpr_spill_count: 0
    .wavefront_size: 64
  - .agpr_count:     0
    .args:
      - .offset:         0
        .size:           32
        .value_kind:     by_value
    .group_segment_fixed_size: 0
    .kernarg_segment_align: 8
    .kernarg_segment_size: 32
    .language:       OpenCL C
    .language_version:
      - 2
      - 0
    .max_flat_workgroup_size: 256
    .name:           _ZN7rocprim17ROCPRIM_400000_NS6detail17trampoline_kernelINS0_14default_configENS1_20scan_config_selectorItEEZZNS1_9scan_implILNS1_25lookback_scan_determinismE0ELb1ELb1ES3_N6thrust23THRUST_200600_302600_NS6detail15normal_iteratorINS9_10device_ptrItEEEESE_t11max_functorItEtEEDaPvRmT3_T4_T5_mT6_P12ihipStream_tbENKUlT_T0_E_clISt17integral_constantIbLb1EESU_EEDaSP_SQ_EUlSP_E0_NS1_11comp_targetILNS1_3genE5ELNS1_11target_archE942ELNS1_3gpuE9ELNS1_3repE0EEENS1_30default_config_static_selectorELNS0_4arch9wavefront6targetE1EEEvT1_
    .private_segment_fixed_size: 0
    .sgpr_count:     4
    .sgpr_spill_count: 0
    .symbol:         _ZN7rocprim17ROCPRIM_400000_NS6detail17trampoline_kernelINS0_14default_configENS1_20scan_config_selectorItEEZZNS1_9scan_implILNS1_25lookback_scan_determinismE0ELb1ELb1ES3_N6thrust23THRUST_200600_302600_NS6detail15normal_iteratorINS9_10device_ptrItEEEESE_t11max_functorItEtEEDaPvRmT3_T4_T5_mT6_P12ihipStream_tbENKUlT_T0_E_clISt17integral_constantIbLb1EESU_EEDaSP_SQ_EUlSP_E0_NS1_11comp_targetILNS1_3genE5ELNS1_11target_archE942ELNS1_3gpuE9ELNS1_3repE0EEENS1_30default_config_static_selectorELNS0_4arch9wavefront6targetE1EEEvT1_.kd
    .uniform_work_group_size: 1
    .uses_dynamic_stack: false
    .vgpr_count:     0
    .vgpr_spill_count: 0
    .wavefront_size: 64
  - .agpr_count:     0
    .args:
      - .offset:         0
        .size:           32
        .value_kind:     by_value
    .group_segment_fixed_size: 3072
    .kernarg_segment_align: 8
    .kernarg_segment_size: 32
    .language:       OpenCL C
    .language_version:
      - 2
      - 0
    .max_flat_workgroup_size: 64
    .name:           _ZN7rocprim17ROCPRIM_400000_NS6detail17trampoline_kernelINS0_14default_configENS1_20scan_config_selectorItEEZZNS1_9scan_implILNS1_25lookback_scan_determinismE0ELb1ELb1ES3_N6thrust23THRUST_200600_302600_NS6detail15normal_iteratorINS9_10device_ptrItEEEESE_t11max_functorItEtEEDaPvRmT3_T4_T5_mT6_P12ihipStream_tbENKUlT_T0_E_clISt17integral_constantIbLb1EESU_EEDaSP_SQ_EUlSP_E0_NS1_11comp_targetILNS1_3genE4ELNS1_11target_archE910ELNS1_3gpuE8ELNS1_3repE0EEENS1_30default_config_static_selectorELNS0_4arch9wavefront6targetE1EEEvT1_
    .private_segment_fixed_size: 0
    .sgpr_count:     60
    .sgpr_spill_count: 0
    .symbol:         _ZN7rocprim17ROCPRIM_400000_NS6detail17trampoline_kernelINS0_14default_configENS1_20scan_config_selectorItEEZZNS1_9scan_implILNS1_25lookback_scan_determinismE0ELb1ELb1ES3_N6thrust23THRUST_200600_302600_NS6detail15normal_iteratorINS9_10device_ptrItEEEESE_t11max_functorItEtEEDaPvRmT3_T4_T5_mT6_P12ihipStream_tbENKUlT_T0_E_clISt17integral_constantIbLb1EESU_EEDaSP_SQ_EUlSP_E0_NS1_11comp_targetILNS1_3genE4ELNS1_11target_archE910ELNS1_3gpuE8ELNS1_3repE0EEENS1_30default_config_static_selectorELNS0_4arch9wavefront6targetE1EEEvT1_.kd
    .uniform_work_group_size: 1
    .uses_dynamic_stack: false
    .vgpr_count:     32
    .vgpr_spill_count: 0
    .wavefront_size: 64
  - .agpr_count:     0
    .args:
      - .offset:         0
        .size:           32
        .value_kind:     by_value
    .group_segment_fixed_size: 0
    .kernarg_segment_align: 8
    .kernarg_segment_size: 32
    .language:       OpenCL C
    .language_version:
      - 2
      - 0
    .max_flat_workgroup_size: 128
    .name:           _ZN7rocprim17ROCPRIM_400000_NS6detail17trampoline_kernelINS0_14default_configENS1_20scan_config_selectorItEEZZNS1_9scan_implILNS1_25lookback_scan_determinismE0ELb1ELb1ES3_N6thrust23THRUST_200600_302600_NS6detail15normal_iteratorINS9_10device_ptrItEEEESE_t11max_functorItEtEEDaPvRmT3_T4_T5_mT6_P12ihipStream_tbENKUlT_T0_E_clISt17integral_constantIbLb1EESU_EEDaSP_SQ_EUlSP_E0_NS1_11comp_targetILNS1_3genE3ELNS1_11target_archE908ELNS1_3gpuE7ELNS1_3repE0EEENS1_30default_config_static_selectorELNS0_4arch9wavefront6targetE1EEEvT1_
    .private_segment_fixed_size: 0
    .sgpr_count:     4
    .sgpr_spill_count: 0
    .symbol:         _ZN7rocprim17ROCPRIM_400000_NS6detail17trampoline_kernelINS0_14default_configENS1_20scan_config_selectorItEEZZNS1_9scan_implILNS1_25lookback_scan_determinismE0ELb1ELb1ES3_N6thrust23THRUST_200600_302600_NS6detail15normal_iteratorINS9_10device_ptrItEEEESE_t11max_functorItEtEEDaPvRmT3_T4_T5_mT6_P12ihipStream_tbENKUlT_T0_E_clISt17integral_constantIbLb1EESU_EEDaSP_SQ_EUlSP_E0_NS1_11comp_targetILNS1_3genE3ELNS1_11target_archE908ELNS1_3gpuE7ELNS1_3repE0EEENS1_30default_config_static_selectorELNS0_4arch9wavefront6targetE1EEEvT1_.kd
    .uniform_work_group_size: 1
    .uses_dynamic_stack: false
    .vgpr_count:     0
    .vgpr_spill_count: 0
    .wavefront_size: 64
  - .agpr_count:     0
    .args:
      - .offset:         0
        .size:           32
        .value_kind:     by_value
    .group_segment_fixed_size: 0
    .kernarg_segment_align: 8
    .kernarg_segment_size: 32
    .language:       OpenCL C
    .language_version:
      - 2
      - 0
    .max_flat_workgroup_size: 256
    .name:           _ZN7rocprim17ROCPRIM_400000_NS6detail17trampoline_kernelINS0_14default_configENS1_20scan_config_selectorItEEZZNS1_9scan_implILNS1_25lookback_scan_determinismE0ELb1ELb1ES3_N6thrust23THRUST_200600_302600_NS6detail15normal_iteratorINS9_10device_ptrItEEEESE_t11max_functorItEtEEDaPvRmT3_T4_T5_mT6_P12ihipStream_tbENKUlT_T0_E_clISt17integral_constantIbLb1EESU_EEDaSP_SQ_EUlSP_E0_NS1_11comp_targetILNS1_3genE2ELNS1_11target_archE906ELNS1_3gpuE6ELNS1_3repE0EEENS1_30default_config_static_selectorELNS0_4arch9wavefront6targetE1EEEvT1_
    .private_segment_fixed_size: 0
    .sgpr_count:     4
    .sgpr_spill_count: 0
    .symbol:         _ZN7rocprim17ROCPRIM_400000_NS6detail17trampoline_kernelINS0_14default_configENS1_20scan_config_selectorItEEZZNS1_9scan_implILNS1_25lookback_scan_determinismE0ELb1ELb1ES3_N6thrust23THRUST_200600_302600_NS6detail15normal_iteratorINS9_10device_ptrItEEEESE_t11max_functorItEtEEDaPvRmT3_T4_T5_mT6_P12ihipStream_tbENKUlT_T0_E_clISt17integral_constantIbLb1EESU_EEDaSP_SQ_EUlSP_E0_NS1_11comp_targetILNS1_3genE2ELNS1_11target_archE906ELNS1_3gpuE6ELNS1_3repE0EEENS1_30default_config_static_selectorELNS0_4arch9wavefront6targetE1EEEvT1_.kd
    .uniform_work_group_size: 1
    .uses_dynamic_stack: false
    .vgpr_count:     0
    .vgpr_spill_count: 0
    .wavefront_size: 64
  - .agpr_count:     0
    .args:
      - .offset:         0
        .size:           32
        .value_kind:     by_value
    .group_segment_fixed_size: 0
    .kernarg_segment_align: 8
    .kernarg_segment_size: 32
    .language:       OpenCL C
    .language_version:
      - 2
      - 0
    .max_flat_workgroup_size: 256
    .name:           _ZN7rocprim17ROCPRIM_400000_NS6detail17trampoline_kernelINS0_14default_configENS1_20scan_config_selectorItEEZZNS1_9scan_implILNS1_25lookback_scan_determinismE0ELb1ELb1ES3_N6thrust23THRUST_200600_302600_NS6detail15normal_iteratorINS9_10device_ptrItEEEESE_t11max_functorItEtEEDaPvRmT3_T4_T5_mT6_P12ihipStream_tbENKUlT_T0_E_clISt17integral_constantIbLb1EESU_EEDaSP_SQ_EUlSP_E0_NS1_11comp_targetILNS1_3genE10ELNS1_11target_archE1201ELNS1_3gpuE5ELNS1_3repE0EEENS1_30default_config_static_selectorELNS0_4arch9wavefront6targetE1EEEvT1_
    .private_segment_fixed_size: 0
    .sgpr_count:     4
    .sgpr_spill_count: 0
    .symbol:         _ZN7rocprim17ROCPRIM_400000_NS6detail17trampoline_kernelINS0_14default_configENS1_20scan_config_selectorItEEZZNS1_9scan_implILNS1_25lookback_scan_determinismE0ELb1ELb1ES3_N6thrust23THRUST_200600_302600_NS6detail15normal_iteratorINS9_10device_ptrItEEEESE_t11max_functorItEtEEDaPvRmT3_T4_T5_mT6_P12ihipStream_tbENKUlT_T0_E_clISt17integral_constantIbLb1EESU_EEDaSP_SQ_EUlSP_E0_NS1_11comp_targetILNS1_3genE10ELNS1_11target_archE1201ELNS1_3gpuE5ELNS1_3repE0EEENS1_30default_config_static_selectorELNS0_4arch9wavefront6targetE1EEEvT1_.kd
    .uniform_work_group_size: 1
    .uses_dynamic_stack: false
    .vgpr_count:     0
    .vgpr_spill_count: 0
    .wavefront_size: 64
  - .agpr_count:     0
    .args:
      - .offset:         0
        .size:           32
        .value_kind:     by_value
    .group_segment_fixed_size: 0
    .kernarg_segment_align: 8
    .kernarg_segment_size: 32
    .language:       OpenCL C
    .language_version:
      - 2
      - 0
    .max_flat_workgroup_size: 256
    .name:           _ZN7rocprim17ROCPRIM_400000_NS6detail17trampoline_kernelINS0_14default_configENS1_20scan_config_selectorItEEZZNS1_9scan_implILNS1_25lookback_scan_determinismE0ELb1ELb1ES3_N6thrust23THRUST_200600_302600_NS6detail15normal_iteratorINS9_10device_ptrItEEEESE_t11max_functorItEtEEDaPvRmT3_T4_T5_mT6_P12ihipStream_tbENKUlT_T0_E_clISt17integral_constantIbLb1EESU_EEDaSP_SQ_EUlSP_E0_NS1_11comp_targetILNS1_3genE10ELNS1_11target_archE1200ELNS1_3gpuE4ELNS1_3repE0EEENS1_30default_config_static_selectorELNS0_4arch9wavefront6targetE1EEEvT1_
    .private_segment_fixed_size: 0
    .sgpr_count:     4
    .sgpr_spill_count: 0
    .symbol:         _ZN7rocprim17ROCPRIM_400000_NS6detail17trampoline_kernelINS0_14default_configENS1_20scan_config_selectorItEEZZNS1_9scan_implILNS1_25lookback_scan_determinismE0ELb1ELb1ES3_N6thrust23THRUST_200600_302600_NS6detail15normal_iteratorINS9_10device_ptrItEEEESE_t11max_functorItEtEEDaPvRmT3_T4_T5_mT6_P12ihipStream_tbENKUlT_T0_E_clISt17integral_constantIbLb1EESU_EEDaSP_SQ_EUlSP_E0_NS1_11comp_targetILNS1_3genE10ELNS1_11target_archE1200ELNS1_3gpuE4ELNS1_3repE0EEENS1_30default_config_static_selectorELNS0_4arch9wavefront6targetE1EEEvT1_.kd
    .uniform_work_group_size: 1
    .uses_dynamic_stack: false
    .vgpr_count:     0
    .vgpr_spill_count: 0
    .wavefront_size: 64
  - .agpr_count:     0
    .args:
      - .offset:         0
        .size:           32
        .value_kind:     by_value
    .group_segment_fixed_size: 0
    .kernarg_segment_align: 8
    .kernarg_segment_size: 32
    .language:       OpenCL C
    .language_version:
      - 2
      - 0
    .max_flat_workgroup_size: 64
    .name:           _ZN7rocprim17ROCPRIM_400000_NS6detail17trampoline_kernelINS0_14default_configENS1_20scan_config_selectorItEEZZNS1_9scan_implILNS1_25lookback_scan_determinismE0ELb1ELb1ES3_N6thrust23THRUST_200600_302600_NS6detail15normal_iteratorINS9_10device_ptrItEEEESE_t11max_functorItEtEEDaPvRmT3_T4_T5_mT6_P12ihipStream_tbENKUlT_T0_E_clISt17integral_constantIbLb1EESU_EEDaSP_SQ_EUlSP_E0_NS1_11comp_targetILNS1_3genE9ELNS1_11target_archE1100ELNS1_3gpuE3ELNS1_3repE0EEENS1_30default_config_static_selectorELNS0_4arch9wavefront6targetE1EEEvT1_
    .private_segment_fixed_size: 0
    .sgpr_count:     4
    .sgpr_spill_count: 0
    .symbol:         _ZN7rocprim17ROCPRIM_400000_NS6detail17trampoline_kernelINS0_14default_configENS1_20scan_config_selectorItEEZZNS1_9scan_implILNS1_25lookback_scan_determinismE0ELb1ELb1ES3_N6thrust23THRUST_200600_302600_NS6detail15normal_iteratorINS9_10device_ptrItEEEESE_t11max_functorItEtEEDaPvRmT3_T4_T5_mT6_P12ihipStream_tbENKUlT_T0_E_clISt17integral_constantIbLb1EESU_EEDaSP_SQ_EUlSP_E0_NS1_11comp_targetILNS1_3genE9ELNS1_11target_archE1100ELNS1_3gpuE3ELNS1_3repE0EEENS1_30default_config_static_selectorELNS0_4arch9wavefront6targetE1EEEvT1_.kd
    .uniform_work_group_size: 1
    .uses_dynamic_stack: false
    .vgpr_count:     0
    .vgpr_spill_count: 0
    .wavefront_size: 64
  - .agpr_count:     0
    .args:
      - .offset:         0
        .size:           32
        .value_kind:     by_value
    .group_segment_fixed_size: 0
    .kernarg_segment_align: 8
    .kernarg_segment_size: 32
    .language:       OpenCL C
    .language_version:
      - 2
      - 0
    .max_flat_workgroup_size: 64
    .name:           _ZN7rocprim17ROCPRIM_400000_NS6detail17trampoline_kernelINS0_14default_configENS1_20scan_config_selectorItEEZZNS1_9scan_implILNS1_25lookback_scan_determinismE0ELb1ELb1ES3_N6thrust23THRUST_200600_302600_NS6detail15normal_iteratorINS9_10device_ptrItEEEESE_t11max_functorItEtEEDaPvRmT3_T4_T5_mT6_P12ihipStream_tbENKUlT_T0_E_clISt17integral_constantIbLb1EESU_EEDaSP_SQ_EUlSP_E0_NS1_11comp_targetILNS1_3genE8ELNS1_11target_archE1030ELNS1_3gpuE2ELNS1_3repE0EEENS1_30default_config_static_selectorELNS0_4arch9wavefront6targetE1EEEvT1_
    .private_segment_fixed_size: 0
    .sgpr_count:     4
    .sgpr_spill_count: 0
    .symbol:         _ZN7rocprim17ROCPRIM_400000_NS6detail17trampoline_kernelINS0_14default_configENS1_20scan_config_selectorItEEZZNS1_9scan_implILNS1_25lookback_scan_determinismE0ELb1ELb1ES3_N6thrust23THRUST_200600_302600_NS6detail15normal_iteratorINS9_10device_ptrItEEEESE_t11max_functorItEtEEDaPvRmT3_T4_T5_mT6_P12ihipStream_tbENKUlT_T0_E_clISt17integral_constantIbLb1EESU_EEDaSP_SQ_EUlSP_E0_NS1_11comp_targetILNS1_3genE8ELNS1_11target_archE1030ELNS1_3gpuE2ELNS1_3repE0EEENS1_30default_config_static_selectorELNS0_4arch9wavefront6targetE1EEEvT1_.kd
    .uniform_work_group_size: 1
    .uses_dynamic_stack: false
    .vgpr_count:     0
    .vgpr_spill_count: 0
    .wavefront_size: 64
  - .agpr_count:     0
    .args:
      - .offset:         0
        .size:           96
        .value_kind:     by_value
    .group_segment_fixed_size: 0
    .kernarg_segment_align: 8
    .kernarg_segment_size: 96
    .language:       OpenCL C
    .language_version:
      - 2
      - 0
    .max_flat_workgroup_size: 128
    .name:           _ZN7rocprim17ROCPRIM_400000_NS6detail17trampoline_kernelINS0_14default_configENS1_20scan_config_selectorItEEZZNS1_9scan_implILNS1_25lookback_scan_determinismE0ELb1ELb1ES3_N6thrust23THRUST_200600_302600_NS6detail15normal_iteratorINS9_10device_ptrItEEEESE_t11max_functorItEtEEDaPvRmT3_T4_T5_mT6_P12ihipStream_tbENKUlT_T0_E_clISt17integral_constantIbLb1EEST_IbLb0EEEEDaSP_SQ_EUlSP_E_NS1_11comp_targetILNS1_3genE0ELNS1_11target_archE4294967295ELNS1_3gpuE0ELNS1_3repE0EEENS1_30default_config_static_selectorELNS0_4arch9wavefront6targetE1EEEvT1_
    .private_segment_fixed_size: 0
    .sgpr_count:     4
    .sgpr_spill_count: 0
    .symbol:         _ZN7rocprim17ROCPRIM_400000_NS6detail17trampoline_kernelINS0_14default_configENS1_20scan_config_selectorItEEZZNS1_9scan_implILNS1_25lookback_scan_determinismE0ELb1ELb1ES3_N6thrust23THRUST_200600_302600_NS6detail15normal_iteratorINS9_10device_ptrItEEEESE_t11max_functorItEtEEDaPvRmT3_T4_T5_mT6_P12ihipStream_tbENKUlT_T0_E_clISt17integral_constantIbLb1EEST_IbLb0EEEEDaSP_SQ_EUlSP_E_NS1_11comp_targetILNS1_3genE0ELNS1_11target_archE4294967295ELNS1_3gpuE0ELNS1_3repE0EEENS1_30default_config_static_selectorELNS0_4arch9wavefront6targetE1EEEvT1_.kd
    .uniform_work_group_size: 1
    .uses_dynamic_stack: false
    .vgpr_count:     0
    .vgpr_spill_count: 0
    .wavefront_size: 64
  - .agpr_count:     0
    .args:
      - .offset:         0
        .size:           96
        .value_kind:     by_value
    .group_segment_fixed_size: 0
    .kernarg_segment_align: 8
    .kernarg_segment_size: 96
    .language:       OpenCL C
    .language_version:
      - 2
      - 0
    .max_flat_workgroup_size: 256
    .name:           _ZN7rocprim17ROCPRIM_400000_NS6detail17trampoline_kernelINS0_14default_configENS1_20scan_config_selectorItEEZZNS1_9scan_implILNS1_25lookback_scan_determinismE0ELb1ELb1ES3_N6thrust23THRUST_200600_302600_NS6detail15normal_iteratorINS9_10device_ptrItEEEESE_t11max_functorItEtEEDaPvRmT3_T4_T5_mT6_P12ihipStream_tbENKUlT_T0_E_clISt17integral_constantIbLb1EEST_IbLb0EEEEDaSP_SQ_EUlSP_E_NS1_11comp_targetILNS1_3genE5ELNS1_11target_archE942ELNS1_3gpuE9ELNS1_3repE0EEENS1_30default_config_static_selectorELNS0_4arch9wavefront6targetE1EEEvT1_
    .private_segment_fixed_size: 0
    .sgpr_count:     4
    .sgpr_spill_count: 0
    .symbol:         _ZN7rocprim17ROCPRIM_400000_NS6detail17trampoline_kernelINS0_14default_configENS1_20scan_config_selectorItEEZZNS1_9scan_implILNS1_25lookback_scan_determinismE0ELb1ELb1ES3_N6thrust23THRUST_200600_302600_NS6detail15normal_iteratorINS9_10device_ptrItEEEESE_t11max_functorItEtEEDaPvRmT3_T4_T5_mT6_P12ihipStream_tbENKUlT_T0_E_clISt17integral_constantIbLb1EEST_IbLb0EEEEDaSP_SQ_EUlSP_E_NS1_11comp_targetILNS1_3genE5ELNS1_11target_archE942ELNS1_3gpuE9ELNS1_3repE0EEENS1_30default_config_static_selectorELNS0_4arch9wavefront6targetE1EEEvT1_.kd
    .uniform_work_group_size: 1
    .uses_dynamic_stack: false
    .vgpr_count:     0
    .vgpr_spill_count: 0
    .wavefront_size: 64
  - .agpr_count:     0
    .args:
      - .offset:         0
        .size:           96
        .value_kind:     by_value
    .group_segment_fixed_size: 3072
    .kernarg_segment_align: 8
    .kernarg_segment_size: 96
    .language:       OpenCL C
    .language_version:
      - 2
      - 0
    .max_flat_workgroup_size: 64
    .name:           _ZN7rocprim17ROCPRIM_400000_NS6detail17trampoline_kernelINS0_14default_configENS1_20scan_config_selectorItEEZZNS1_9scan_implILNS1_25lookback_scan_determinismE0ELb1ELb1ES3_N6thrust23THRUST_200600_302600_NS6detail15normal_iteratorINS9_10device_ptrItEEEESE_t11max_functorItEtEEDaPvRmT3_T4_T5_mT6_P12ihipStream_tbENKUlT_T0_E_clISt17integral_constantIbLb1EEST_IbLb0EEEEDaSP_SQ_EUlSP_E_NS1_11comp_targetILNS1_3genE4ELNS1_11target_archE910ELNS1_3gpuE8ELNS1_3repE0EEENS1_30default_config_static_selectorELNS0_4arch9wavefront6targetE1EEEvT1_
    .private_segment_fixed_size: 0
    .sgpr_count:     33
    .sgpr_spill_count: 0
    .symbol:         _ZN7rocprim17ROCPRIM_400000_NS6detail17trampoline_kernelINS0_14default_configENS1_20scan_config_selectorItEEZZNS1_9scan_implILNS1_25lookback_scan_determinismE0ELb1ELb1ES3_N6thrust23THRUST_200600_302600_NS6detail15normal_iteratorINS9_10device_ptrItEEEESE_t11max_functorItEtEEDaPvRmT3_T4_T5_mT6_P12ihipStream_tbENKUlT_T0_E_clISt17integral_constantIbLb1EEST_IbLb0EEEEDaSP_SQ_EUlSP_E_NS1_11comp_targetILNS1_3genE4ELNS1_11target_archE910ELNS1_3gpuE8ELNS1_3repE0EEENS1_30default_config_static_selectorELNS0_4arch9wavefront6targetE1EEEvT1_.kd
    .uniform_work_group_size: 1
    .uses_dynamic_stack: false
    .vgpr_count:     58
    .vgpr_spill_count: 0
    .wavefront_size: 64
  - .agpr_count:     0
    .args:
      - .offset:         0
        .size:           96
        .value_kind:     by_value
    .group_segment_fixed_size: 0
    .kernarg_segment_align: 8
    .kernarg_segment_size: 96
    .language:       OpenCL C
    .language_version:
      - 2
      - 0
    .max_flat_workgroup_size: 128
    .name:           _ZN7rocprim17ROCPRIM_400000_NS6detail17trampoline_kernelINS0_14default_configENS1_20scan_config_selectorItEEZZNS1_9scan_implILNS1_25lookback_scan_determinismE0ELb1ELb1ES3_N6thrust23THRUST_200600_302600_NS6detail15normal_iteratorINS9_10device_ptrItEEEESE_t11max_functorItEtEEDaPvRmT3_T4_T5_mT6_P12ihipStream_tbENKUlT_T0_E_clISt17integral_constantIbLb1EEST_IbLb0EEEEDaSP_SQ_EUlSP_E_NS1_11comp_targetILNS1_3genE3ELNS1_11target_archE908ELNS1_3gpuE7ELNS1_3repE0EEENS1_30default_config_static_selectorELNS0_4arch9wavefront6targetE1EEEvT1_
    .private_segment_fixed_size: 0
    .sgpr_count:     4
    .sgpr_spill_count: 0
    .symbol:         _ZN7rocprim17ROCPRIM_400000_NS6detail17trampoline_kernelINS0_14default_configENS1_20scan_config_selectorItEEZZNS1_9scan_implILNS1_25lookback_scan_determinismE0ELb1ELb1ES3_N6thrust23THRUST_200600_302600_NS6detail15normal_iteratorINS9_10device_ptrItEEEESE_t11max_functorItEtEEDaPvRmT3_T4_T5_mT6_P12ihipStream_tbENKUlT_T0_E_clISt17integral_constantIbLb1EEST_IbLb0EEEEDaSP_SQ_EUlSP_E_NS1_11comp_targetILNS1_3genE3ELNS1_11target_archE908ELNS1_3gpuE7ELNS1_3repE0EEENS1_30default_config_static_selectorELNS0_4arch9wavefront6targetE1EEEvT1_.kd
    .uniform_work_group_size: 1
    .uses_dynamic_stack: false
    .vgpr_count:     0
    .vgpr_spill_count: 0
    .wavefront_size: 64
  - .agpr_count:     0
    .args:
      - .offset:         0
        .size:           96
        .value_kind:     by_value
    .group_segment_fixed_size: 0
    .kernarg_segment_align: 8
    .kernarg_segment_size: 96
    .language:       OpenCL C
    .language_version:
      - 2
      - 0
    .max_flat_workgroup_size: 256
    .name:           _ZN7rocprim17ROCPRIM_400000_NS6detail17trampoline_kernelINS0_14default_configENS1_20scan_config_selectorItEEZZNS1_9scan_implILNS1_25lookback_scan_determinismE0ELb1ELb1ES3_N6thrust23THRUST_200600_302600_NS6detail15normal_iteratorINS9_10device_ptrItEEEESE_t11max_functorItEtEEDaPvRmT3_T4_T5_mT6_P12ihipStream_tbENKUlT_T0_E_clISt17integral_constantIbLb1EEST_IbLb0EEEEDaSP_SQ_EUlSP_E_NS1_11comp_targetILNS1_3genE2ELNS1_11target_archE906ELNS1_3gpuE6ELNS1_3repE0EEENS1_30default_config_static_selectorELNS0_4arch9wavefront6targetE1EEEvT1_
    .private_segment_fixed_size: 0
    .sgpr_count:     4
    .sgpr_spill_count: 0
    .symbol:         _ZN7rocprim17ROCPRIM_400000_NS6detail17trampoline_kernelINS0_14default_configENS1_20scan_config_selectorItEEZZNS1_9scan_implILNS1_25lookback_scan_determinismE0ELb1ELb1ES3_N6thrust23THRUST_200600_302600_NS6detail15normal_iteratorINS9_10device_ptrItEEEESE_t11max_functorItEtEEDaPvRmT3_T4_T5_mT6_P12ihipStream_tbENKUlT_T0_E_clISt17integral_constantIbLb1EEST_IbLb0EEEEDaSP_SQ_EUlSP_E_NS1_11comp_targetILNS1_3genE2ELNS1_11target_archE906ELNS1_3gpuE6ELNS1_3repE0EEENS1_30default_config_static_selectorELNS0_4arch9wavefront6targetE1EEEvT1_.kd
    .uniform_work_group_size: 1
    .uses_dynamic_stack: false
    .vgpr_count:     0
    .vgpr_spill_count: 0
    .wavefront_size: 64
  - .agpr_count:     0
    .args:
      - .offset:         0
        .size:           96
        .value_kind:     by_value
    .group_segment_fixed_size: 0
    .kernarg_segment_align: 8
    .kernarg_segment_size: 96
    .language:       OpenCL C
    .language_version:
      - 2
      - 0
    .max_flat_workgroup_size: 256
    .name:           _ZN7rocprim17ROCPRIM_400000_NS6detail17trampoline_kernelINS0_14default_configENS1_20scan_config_selectorItEEZZNS1_9scan_implILNS1_25lookback_scan_determinismE0ELb1ELb1ES3_N6thrust23THRUST_200600_302600_NS6detail15normal_iteratorINS9_10device_ptrItEEEESE_t11max_functorItEtEEDaPvRmT3_T4_T5_mT6_P12ihipStream_tbENKUlT_T0_E_clISt17integral_constantIbLb1EEST_IbLb0EEEEDaSP_SQ_EUlSP_E_NS1_11comp_targetILNS1_3genE10ELNS1_11target_archE1201ELNS1_3gpuE5ELNS1_3repE0EEENS1_30default_config_static_selectorELNS0_4arch9wavefront6targetE1EEEvT1_
    .private_segment_fixed_size: 0
    .sgpr_count:     4
    .sgpr_spill_count: 0
    .symbol:         _ZN7rocprim17ROCPRIM_400000_NS6detail17trampoline_kernelINS0_14default_configENS1_20scan_config_selectorItEEZZNS1_9scan_implILNS1_25lookback_scan_determinismE0ELb1ELb1ES3_N6thrust23THRUST_200600_302600_NS6detail15normal_iteratorINS9_10device_ptrItEEEESE_t11max_functorItEtEEDaPvRmT3_T4_T5_mT6_P12ihipStream_tbENKUlT_T0_E_clISt17integral_constantIbLb1EEST_IbLb0EEEEDaSP_SQ_EUlSP_E_NS1_11comp_targetILNS1_3genE10ELNS1_11target_archE1201ELNS1_3gpuE5ELNS1_3repE0EEENS1_30default_config_static_selectorELNS0_4arch9wavefront6targetE1EEEvT1_.kd
    .uniform_work_group_size: 1
    .uses_dynamic_stack: false
    .vgpr_count:     0
    .vgpr_spill_count: 0
    .wavefront_size: 64
  - .agpr_count:     0
    .args:
      - .offset:         0
        .size:           96
        .value_kind:     by_value
    .group_segment_fixed_size: 0
    .kernarg_segment_align: 8
    .kernarg_segment_size: 96
    .language:       OpenCL C
    .language_version:
      - 2
      - 0
    .max_flat_workgroup_size: 256
    .name:           _ZN7rocprim17ROCPRIM_400000_NS6detail17trampoline_kernelINS0_14default_configENS1_20scan_config_selectorItEEZZNS1_9scan_implILNS1_25lookback_scan_determinismE0ELb1ELb1ES3_N6thrust23THRUST_200600_302600_NS6detail15normal_iteratorINS9_10device_ptrItEEEESE_t11max_functorItEtEEDaPvRmT3_T4_T5_mT6_P12ihipStream_tbENKUlT_T0_E_clISt17integral_constantIbLb1EEST_IbLb0EEEEDaSP_SQ_EUlSP_E_NS1_11comp_targetILNS1_3genE10ELNS1_11target_archE1200ELNS1_3gpuE4ELNS1_3repE0EEENS1_30default_config_static_selectorELNS0_4arch9wavefront6targetE1EEEvT1_
    .private_segment_fixed_size: 0
    .sgpr_count:     4
    .sgpr_spill_count: 0
    .symbol:         _ZN7rocprim17ROCPRIM_400000_NS6detail17trampoline_kernelINS0_14default_configENS1_20scan_config_selectorItEEZZNS1_9scan_implILNS1_25lookback_scan_determinismE0ELb1ELb1ES3_N6thrust23THRUST_200600_302600_NS6detail15normal_iteratorINS9_10device_ptrItEEEESE_t11max_functorItEtEEDaPvRmT3_T4_T5_mT6_P12ihipStream_tbENKUlT_T0_E_clISt17integral_constantIbLb1EEST_IbLb0EEEEDaSP_SQ_EUlSP_E_NS1_11comp_targetILNS1_3genE10ELNS1_11target_archE1200ELNS1_3gpuE4ELNS1_3repE0EEENS1_30default_config_static_selectorELNS0_4arch9wavefront6targetE1EEEvT1_.kd
    .uniform_work_group_size: 1
    .uses_dynamic_stack: false
    .vgpr_count:     0
    .vgpr_spill_count: 0
    .wavefront_size: 64
  - .agpr_count:     0
    .args:
      - .offset:         0
        .size:           96
        .value_kind:     by_value
    .group_segment_fixed_size: 0
    .kernarg_segment_align: 8
    .kernarg_segment_size: 96
    .language:       OpenCL C
    .language_version:
      - 2
      - 0
    .max_flat_workgroup_size: 64
    .name:           _ZN7rocprim17ROCPRIM_400000_NS6detail17trampoline_kernelINS0_14default_configENS1_20scan_config_selectorItEEZZNS1_9scan_implILNS1_25lookback_scan_determinismE0ELb1ELb1ES3_N6thrust23THRUST_200600_302600_NS6detail15normal_iteratorINS9_10device_ptrItEEEESE_t11max_functorItEtEEDaPvRmT3_T4_T5_mT6_P12ihipStream_tbENKUlT_T0_E_clISt17integral_constantIbLb1EEST_IbLb0EEEEDaSP_SQ_EUlSP_E_NS1_11comp_targetILNS1_3genE9ELNS1_11target_archE1100ELNS1_3gpuE3ELNS1_3repE0EEENS1_30default_config_static_selectorELNS0_4arch9wavefront6targetE1EEEvT1_
    .private_segment_fixed_size: 0
    .sgpr_count:     4
    .sgpr_spill_count: 0
    .symbol:         _ZN7rocprim17ROCPRIM_400000_NS6detail17trampoline_kernelINS0_14default_configENS1_20scan_config_selectorItEEZZNS1_9scan_implILNS1_25lookback_scan_determinismE0ELb1ELb1ES3_N6thrust23THRUST_200600_302600_NS6detail15normal_iteratorINS9_10device_ptrItEEEESE_t11max_functorItEtEEDaPvRmT3_T4_T5_mT6_P12ihipStream_tbENKUlT_T0_E_clISt17integral_constantIbLb1EEST_IbLb0EEEEDaSP_SQ_EUlSP_E_NS1_11comp_targetILNS1_3genE9ELNS1_11target_archE1100ELNS1_3gpuE3ELNS1_3repE0EEENS1_30default_config_static_selectorELNS0_4arch9wavefront6targetE1EEEvT1_.kd
    .uniform_work_group_size: 1
    .uses_dynamic_stack: false
    .vgpr_count:     0
    .vgpr_spill_count: 0
    .wavefront_size: 64
  - .agpr_count:     0
    .args:
      - .offset:         0
        .size:           96
        .value_kind:     by_value
    .group_segment_fixed_size: 0
    .kernarg_segment_align: 8
    .kernarg_segment_size: 96
    .language:       OpenCL C
    .language_version:
      - 2
      - 0
    .max_flat_workgroup_size: 64
    .name:           _ZN7rocprim17ROCPRIM_400000_NS6detail17trampoline_kernelINS0_14default_configENS1_20scan_config_selectorItEEZZNS1_9scan_implILNS1_25lookback_scan_determinismE0ELb1ELb1ES3_N6thrust23THRUST_200600_302600_NS6detail15normal_iteratorINS9_10device_ptrItEEEESE_t11max_functorItEtEEDaPvRmT3_T4_T5_mT6_P12ihipStream_tbENKUlT_T0_E_clISt17integral_constantIbLb1EEST_IbLb0EEEEDaSP_SQ_EUlSP_E_NS1_11comp_targetILNS1_3genE8ELNS1_11target_archE1030ELNS1_3gpuE2ELNS1_3repE0EEENS1_30default_config_static_selectorELNS0_4arch9wavefront6targetE1EEEvT1_
    .private_segment_fixed_size: 0
    .sgpr_count:     4
    .sgpr_spill_count: 0
    .symbol:         _ZN7rocprim17ROCPRIM_400000_NS6detail17trampoline_kernelINS0_14default_configENS1_20scan_config_selectorItEEZZNS1_9scan_implILNS1_25lookback_scan_determinismE0ELb1ELb1ES3_N6thrust23THRUST_200600_302600_NS6detail15normal_iteratorINS9_10device_ptrItEEEESE_t11max_functorItEtEEDaPvRmT3_T4_T5_mT6_P12ihipStream_tbENKUlT_T0_E_clISt17integral_constantIbLb1EEST_IbLb0EEEEDaSP_SQ_EUlSP_E_NS1_11comp_targetILNS1_3genE8ELNS1_11target_archE1030ELNS1_3gpuE2ELNS1_3repE0EEENS1_30default_config_static_selectorELNS0_4arch9wavefront6targetE1EEEvT1_.kd
    .uniform_work_group_size: 1
    .uses_dynamic_stack: false
    .vgpr_count:     0
    .vgpr_spill_count: 0
    .wavefront_size: 64
  - .agpr_count:     0
    .args:
      - .offset:         0
        .size:           32
        .value_kind:     by_value
    .group_segment_fixed_size: 0
    .kernarg_segment_align: 8
    .kernarg_segment_size: 32
    .language:       OpenCL C
    .language_version:
      - 2
      - 0
    .max_flat_workgroup_size: 128
    .name:           _ZN7rocprim17ROCPRIM_400000_NS6detail17trampoline_kernelINS0_14default_configENS1_20scan_config_selectorItEEZZNS1_9scan_implILNS1_25lookback_scan_determinismE0ELb1ELb1ES3_N6thrust23THRUST_200600_302600_NS6detail15normal_iteratorINS9_10device_ptrItEEEESE_t11max_functorItEtEEDaPvRmT3_T4_T5_mT6_P12ihipStream_tbENKUlT_T0_E_clISt17integral_constantIbLb1EEST_IbLb0EEEEDaSP_SQ_EUlSP_E0_NS1_11comp_targetILNS1_3genE0ELNS1_11target_archE4294967295ELNS1_3gpuE0ELNS1_3repE0EEENS1_30default_config_static_selectorELNS0_4arch9wavefront6targetE1EEEvT1_
    .private_segment_fixed_size: 0
    .sgpr_count:     4
    .sgpr_spill_count: 0
    .symbol:         _ZN7rocprim17ROCPRIM_400000_NS6detail17trampoline_kernelINS0_14default_configENS1_20scan_config_selectorItEEZZNS1_9scan_implILNS1_25lookback_scan_determinismE0ELb1ELb1ES3_N6thrust23THRUST_200600_302600_NS6detail15normal_iteratorINS9_10device_ptrItEEEESE_t11max_functorItEtEEDaPvRmT3_T4_T5_mT6_P12ihipStream_tbENKUlT_T0_E_clISt17integral_constantIbLb1EEST_IbLb0EEEEDaSP_SQ_EUlSP_E0_NS1_11comp_targetILNS1_3genE0ELNS1_11target_archE4294967295ELNS1_3gpuE0ELNS1_3repE0EEENS1_30default_config_static_selectorELNS0_4arch9wavefront6targetE1EEEvT1_.kd
    .uniform_work_group_size: 1
    .uses_dynamic_stack: false
    .vgpr_count:     0
    .vgpr_spill_count: 0
    .wavefront_size: 64
  - .agpr_count:     0
    .args:
      - .offset:         0
        .size:           32
        .value_kind:     by_value
    .group_segment_fixed_size: 0
    .kernarg_segment_align: 8
    .kernarg_segment_size: 32
    .language:       OpenCL C
    .language_version:
      - 2
      - 0
    .max_flat_workgroup_size: 256
    .name:           _ZN7rocprim17ROCPRIM_400000_NS6detail17trampoline_kernelINS0_14default_configENS1_20scan_config_selectorItEEZZNS1_9scan_implILNS1_25lookback_scan_determinismE0ELb1ELb1ES3_N6thrust23THRUST_200600_302600_NS6detail15normal_iteratorINS9_10device_ptrItEEEESE_t11max_functorItEtEEDaPvRmT3_T4_T5_mT6_P12ihipStream_tbENKUlT_T0_E_clISt17integral_constantIbLb1EEST_IbLb0EEEEDaSP_SQ_EUlSP_E0_NS1_11comp_targetILNS1_3genE5ELNS1_11target_archE942ELNS1_3gpuE9ELNS1_3repE0EEENS1_30default_config_static_selectorELNS0_4arch9wavefront6targetE1EEEvT1_
    .private_segment_fixed_size: 0
    .sgpr_count:     4
    .sgpr_spill_count: 0
    .symbol:         _ZN7rocprim17ROCPRIM_400000_NS6detail17trampoline_kernelINS0_14default_configENS1_20scan_config_selectorItEEZZNS1_9scan_implILNS1_25lookback_scan_determinismE0ELb1ELb1ES3_N6thrust23THRUST_200600_302600_NS6detail15normal_iteratorINS9_10device_ptrItEEEESE_t11max_functorItEtEEDaPvRmT3_T4_T5_mT6_P12ihipStream_tbENKUlT_T0_E_clISt17integral_constantIbLb1EEST_IbLb0EEEEDaSP_SQ_EUlSP_E0_NS1_11comp_targetILNS1_3genE5ELNS1_11target_archE942ELNS1_3gpuE9ELNS1_3repE0EEENS1_30default_config_static_selectorELNS0_4arch9wavefront6targetE1EEEvT1_.kd
    .uniform_work_group_size: 1
    .uses_dynamic_stack: false
    .vgpr_count:     0
    .vgpr_spill_count: 0
    .wavefront_size: 64
  - .agpr_count:     0
    .args:
      - .offset:         0
        .size:           32
        .value_kind:     by_value
    .group_segment_fixed_size: 3072
    .kernarg_segment_align: 8
    .kernarg_segment_size: 32
    .language:       OpenCL C
    .language_version:
      - 2
      - 0
    .max_flat_workgroup_size: 64
    .name:           _ZN7rocprim17ROCPRIM_400000_NS6detail17trampoline_kernelINS0_14default_configENS1_20scan_config_selectorItEEZZNS1_9scan_implILNS1_25lookback_scan_determinismE0ELb1ELb1ES3_N6thrust23THRUST_200600_302600_NS6detail15normal_iteratorINS9_10device_ptrItEEEESE_t11max_functorItEtEEDaPvRmT3_T4_T5_mT6_P12ihipStream_tbENKUlT_T0_E_clISt17integral_constantIbLb1EEST_IbLb0EEEEDaSP_SQ_EUlSP_E0_NS1_11comp_targetILNS1_3genE4ELNS1_11target_archE910ELNS1_3gpuE8ELNS1_3repE0EEENS1_30default_config_static_selectorELNS0_4arch9wavefront6targetE1EEEvT1_
    .private_segment_fixed_size: 0
    .sgpr_count:     60
    .sgpr_spill_count: 0
    .symbol:         _ZN7rocprim17ROCPRIM_400000_NS6detail17trampoline_kernelINS0_14default_configENS1_20scan_config_selectorItEEZZNS1_9scan_implILNS1_25lookback_scan_determinismE0ELb1ELb1ES3_N6thrust23THRUST_200600_302600_NS6detail15normal_iteratorINS9_10device_ptrItEEEESE_t11max_functorItEtEEDaPvRmT3_T4_T5_mT6_P12ihipStream_tbENKUlT_T0_E_clISt17integral_constantIbLb1EEST_IbLb0EEEEDaSP_SQ_EUlSP_E0_NS1_11comp_targetILNS1_3genE4ELNS1_11target_archE910ELNS1_3gpuE8ELNS1_3repE0EEENS1_30default_config_static_selectorELNS0_4arch9wavefront6targetE1EEEvT1_.kd
    .uniform_work_group_size: 1
    .uses_dynamic_stack: false
    .vgpr_count:     32
    .vgpr_spill_count: 0
    .wavefront_size: 64
  - .agpr_count:     0
    .args:
      - .offset:         0
        .size:           32
        .value_kind:     by_value
    .group_segment_fixed_size: 0
    .kernarg_segment_align: 8
    .kernarg_segment_size: 32
    .language:       OpenCL C
    .language_version:
      - 2
      - 0
    .max_flat_workgroup_size: 128
    .name:           _ZN7rocprim17ROCPRIM_400000_NS6detail17trampoline_kernelINS0_14default_configENS1_20scan_config_selectorItEEZZNS1_9scan_implILNS1_25lookback_scan_determinismE0ELb1ELb1ES3_N6thrust23THRUST_200600_302600_NS6detail15normal_iteratorINS9_10device_ptrItEEEESE_t11max_functorItEtEEDaPvRmT3_T4_T5_mT6_P12ihipStream_tbENKUlT_T0_E_clISt17integral_constantIbLb1EEST_IbLb0EEEEDaSP_SQ_EUlSP_E0_NS1_11comp_targetILNS1_3genE3ELNS1_11target_archE908ELNS1_3gpuE7ELNS1_3repE0EEENS1_30default_config_static_selectorELNS0_4arch9wavefront6targetE1EEEvT1_
    .private_segment_fixed_size: 0
    .sgpr_count:     4
    .sgpr_spill_count: 0
    .symbol:         _ZN7rocprim17ROCPRIM_400000_NS6detail17trampoline_kernelINS0_14default_configENS1_20scan_config_selectorItEEZZNS1_9scan_implILNS1_25lookback_scan_determinismE0ELb1ELb1ES3_N6thrust23THRUST_200600_302600_NS6detail15normal_iteratorINS9_10device_ptrItEEEESE_t11max_functorItEtEEDaPvRmT3_T4_T5_mT6_P12ihipStream_tbENKUlT_T0_E_clISt17integral_constantIbLb1EEST_IbLb0EEEEDaSP_SQ_EUlSP_E0_NS1_11comp_targetILNS1_3genE3ELNS1_11target_archE908ELNS1_3gpuE7ELNS1_3repE0EEENS1_30default_config_static_selectorELNS0_4arch9wavefront6targetE1EEEvT1_.kd
    .uniform_work_group_size: 1
    .uses_dynamic_stack: false
    .vgpr_count:     0
    .vgpr_spill_count: 0
    .wavefront_size: 64
  - .agpr_count:     0
    .args:
      - .offset:         0
        .size:           32
        .value_kind:     by_value
    .group_segment_fixed_size: 0
    .kernarg_segment_align: 8
    .kernarg_segment_size: 32
    .language:       OpenCL C
    .language_version:
      - 2
      - 0
    .max_flat_workgroup_size: 256
    .name:           _ZN7rocprim17ROCPRIM_400000_NS6detail17trampoline_kernelINS0_14default_configENS1_20scan_config_selectorItEEZZNS1_9scan_implILNS1_25lookback_scan_determinismE0ELb1ELb1ES3_N6thrust23THRUST_200600_302600_NS6detail15normal_iteratorINS9_10device_ptrItEEEESE_t11max_functorItEtEEDaPvRmT3_T4_T5_mT6_P12ihipStream_tbENKUlT_T0_E_clISt17integral_constantIbLb1EEST_IbLb0EEEEDaSP_SQ_EUlSP_E0_NS1_11comp_targetILNS1_3genE2ELNS1_11target_archE906ELNS1_3gpuE6ELNS1_3repE0EEENS1_30default_config_static_selectorELNS0_4arch9wavefront6targetE1EEEvT1_
    .private_segment_fixed_size: 0
    .sgpr_count:     4
    .sgpr_spill_count: 0
    .symbol:         _ZN7rocprim17ROCPRIM_400000_NS6detail17trampoline_kernelINS0_14default_configENS1_20scan_config_selectorItEEZZNS1_9scan_implILNS1_25lookback_scan_determinismE0ELb1ELb1ES3_N6thrust23THRUST_200600_302600_NS6detail15normal_iteratorINS9_10device_ptrItEEEESE_t11max_functorItEtEEDaPvRmT3_T4_T5_mT6_P12ihipStream_tbENKUlT_T0_E_clISt17integral_constantIbLb1EEST_IbLb0EEEEDaSP_SQ_EUlSP_E0_NS1_11comp_targetILNS1_3genE2ELNS1_11target_archE906ELNS1_3gpuE6ELNS1_3repE0EEENS1_30default_config_static_selectorELNS0_4arch9wavefront6targetE1EEEvT1_.kd
    .uniform_work_group_size: 1
    .uses_dynamic_stack: false
    .vgpr_count:     0
    .vgpr_spill_count: 0
    .wavefront_size: 64
  - .agpr_count:     0
    .args:
      - .offset:         0
        .size:           32
        .value_kind:     by_value
    .group_segment_fixed_size: 0
    .kernarg_segment_align: 8
    .kernarg_segment_size: 32
    .language:       OpenCL C
    .language_version:
      - 2
      - 0
    .max_flat_workgroup_size: 256
    .name:           _ZN7rocprim17ROCPRIM_400000_NS6detail17trampoline_kernelINS0_14default_configENS1_20scan_config_selectorItEEZZNS1_9scan_implILNS1_25lookback_scan_determinismE0ELb1ELb1ES3_N6thrust23THRUST_200600_302600_NS6detail15normal_iteratorINS9_10device_ptrItEEEESE_t11max_functorItEtEEDaPvRmT3_T4_T5_mT6_P12ihipStream_tbENKUlT_T0_E_clISt17integral_constantIbLb1EEST_IbLb0EEEEDaSP_SQ_EUlSP_E0_NS1_11comp_targetILNS1_3genE10ELNS1_11target_archE1201ELNS1_3gpuE5ELNS1_3repE0EEENS1_30default_config_static_selectorELNS0_4arch9wavefront6targetE1EEEvT1_
    .private_segment_fixed_size: 0
    .sgpr_count:     4
    .sgpr_spill_count: 0
    .symbol:         _ZN7rocprim17ROCPRIM_400000_NS6detail17trampoline_kernelINS0_14default_configENS1_20scan_config_selectorItEEZZNS1_9scan_implILNS1_25lookback_scan_determinismE0ELb1ELb1ES3_N6thrust23THRUST_200600_302600_NS6detail15normal_iteratorINS9_10device_ptrItEEEESE_t11max_functorItEtEEDaPvRmT3_T4_T5_mT6_P12ihipStream_tbENKUlT_T0_E_clISt17integral_constantIbLb1EEST_IbLb0EEEEDaSP_SQ_EUlSP_E0_NS1_11comp_targetILNS1_3genE10ELNS1_11target_archE1201ELNS1_3gpuE5ELNS1_3repE0EEENS1_30default_config_static_selectorELNS0_4arch9wavefront6targetE1EEEvT1_.kd
    .uniform_work_group_size: 1
    .uses_dynamic_stack: false
    .vgpr_count:     0
    .vgpr_spill_count: 0
    .wavefront_size: 64
  - .agpr_count:     0
    .args:
      - .offset:         0
        .size:           32
        .value_kind:     by_value
    .group_segment_fixed_size: 0
    .kernarg_segment_align: 8
    .kernarg_segment_size: 32
    .language:       OpenCL C
    .language_version:
      - 2
      - 0
    .max_flat_workgroup_size: 256
    .name:           _ZN7rocprim17ROCPRIM_400000_NS6detail17trampoline_kernelINS0_14default_configENS1_20scan_config_selectorItEEZZNS1_9scan_implILNS1_25lookback_scan_determinismE0ELb1ELb1ES3_N6thrust23THRUST_200600_302600_NS6detail15normal_iteratorINS9_10device_ptrItEEEESE_t11max_functorItEtEEDaPvRmT3_T4_T5_mT6_P12ihipStream_tbENKUlT_T0_E_clISt17integral_constantIbLb1EEST_IbLb0EEEEDaSP_SQ_EUlSP_E0_NS1_11comp_targetILNS1_3genE10ELNS1_11target_archE1200ELNS1_3gpuE4ELNS1_3repE0EEENS1_30default_config_static_selectorELNS0_4arch9wavefront6targetE1EEEvT1_
    .private_segment_fixed_size: 0
    .sgpr_count:     4
    .sgpr_spill_count: 0
    .symbol:         _ZN7rocprim17ROCPRIM_400000_NS6detail17trampoline_kernelINS0_14default_configENS1_20scan_config_selectorItEEZZNS1_9scan_implILNS1_25lookback_scan_determinismE0ELb1ELb1ES3_N6thrust23THRUST_200600_302600_NS6detail15normal_iteratorINS9_10device_ptrItEEEESE_t11max_functorItEtEEDaPvRmT3_T4_T5_mT6_P12ihipStream_tbENKUlT_T0_E_clISt17integral_constantIbLb1EEST_IbLb0EEEEDaSP_SQ_EUlSP_E0_NS1_11comp_targetILNS1_3genE10ELNS1_11target_archE1200ELNS1_3gpuE4ELNS1_3repE0EEENS1_30default_config_static_selectorELNS0_4arch9wavefront6targetE1EEEvT1_.kd
    .uniform_work_group_size: 1
    .uses_dynamic_stack: false
    .vgpr_count:     0
    .vgpr_spill_count: 0
    .wavefront_size: 64
  - .agpr_count:     0
    .args:
      - .offset:         0
        .size:           32
        .value_kind:     by_value
    .group_segment_fixed_size: 0
    .kernarg_segment_align: 8
    .kernarg_segment_size: 32
    .language:       OpenCL C
    .language_version:
      - 2
      - 0
    .max_flat_workgroup_size: 64
    .name:           _ZN7rocprim17ROCPRIM_400000_NS6detail17trampoline_kernelINS0_14default_configENS1_20scan_config_selectorItEEZZNS1_9scan_implILNS1_25lookback_scan_determinismE0ELb1ELb1ES3_N6thrust23THRUST_200600_302600_NS6detail15normal_iteratorINS9_10device_ptrItEEEESE_t11max_functorItEtEEDaPvRmT3_T4_T5_mT6_P12ihipStream_tbENKUlT_T0_E_clISt17integral_constantIbLb1EEST_IbLb0EEEEDaSP_SQ_EUlSP_E0_NS1_11comp_targetILNS1_3genE9ELNS1_11target_archE1100ELNS1_3gpuE3ELNS1_3repE0EEENS1_30default_config_static_selectorELNS0_4arch9wavefront6targetE1EEEvT1_
    .private_segment_fixed_size: 0
    .sgpr_count:     4
    .sgpr_spill_count: 0
    .symbol:         _ZN7rocprim17ROCPRIM_400000_NS6detail17trampoline_kernelINS0_14default_configENS1_20scan_config_selectorItEEZZNS1_9scan_implILNS1_25lookback_scan_determinismE0ELb1ELb1ES3_N6thrust23THRUST_200600_302600_NS6detail15normal_iteratorINS9_10device_ptrItEEEESE_t11max_functorItEtEEDaPvRmT3_T4_T5_mT6_P12ihipStream_tbENKUlT_T0_E_clISt17integral_constantIbLb1EEST_IbLb0EEEEDaSP_SQ_EUlSP_E0_NS1_11comp_targetILNS1_3genE9ELNS1_11target_archE1100ELNS1_3gpuE3ELNS1_3repE0EEENS1_30default_config_static_selectorELNS0_4arch9wavefront6targetE1EEEvT1_.kd
    .uniform_work_group_size: 1
    .uses_dynamic_stack: false
    .vgpr_count:     0
    .vgpr_spill_count: 0
    .wavefront_size: 64
  - .agpr_count:     0
    .args:
      - .offset:         0
        .size:           32
        .value_kind:     by_value
    .group_segment_fixed_size: 0
    .kernarg_segment_align: 8
    .kernarg_segment_size: 32
    .language:       OpenCL C
    .language_version:
      - 2
      - 0
    .max_flat_workgroup_size: 64
    .name:           _ZN7rocprim17ROCPRIM_400000_NS6detail17trampoline_kernelINS0_14default_configENS1_20scan_config_selectorItEEZZNS1_9scan_implILNS1_25lookback_scan_determinismE0ELb1ELb1ES3_N6thrust23THRUST_200600_302600_NS6detail15normal_iteratorINS9_10device_ptrItEEEESE_t11max_functorItEtEEDaPvRmT3_T4_T5_mT6_P12ihipStream_tbENKUlT_T0_E_clISt17integral_constantIbLb1EEST_IbLb0EEEEDaSP_SQ_EUlSP_E0_NS1_11comp_targetILNS1_3genE8ELNS1_11target_archE1030ELNS1_3gpuE2ELNS1_3repE0EEENS1_30default_config_static_selectorELNS0_4arch9wavefront6targetE1EEEvT1_
    .private_segment_fixed_size: 0
    .sgpr_count:     4
    .sgpr_spill_count: 0
    .symbol:         _ZN7rocprim17ROCPRIM_400000_NS6detail17trampoline_kernelINS0_14default_configENS1_20scan_config_selectorItEEZZNS1_9scan_implILNS1_25lookback_scan_determinismE0ELb1ELb1ES3_N6thrust23THRUST_200600_302600_NS6detail15normal_iteratorINS9_10device_ptrItEEEESE_t11max_functorItEtEEDaPvRmT3_T4_T5_mT6_P12ihipStream_tbENKUlT_T0_E_clISt17integral_constantIbLb1EEST_IbLb0EEEEDaSP_SQ_EUlSP_E0_NS1_11comp_targetILNS1_3genE8ELNS1_11target_archE1030ELNS1_3gpuE2ELNS1_3repE0EEENS1_30default_config_static_selectorELNS0_4arch9wavefront6targetE1EEEvT1_.kd
    .uniform_work_group_size: 1
    .uses_dynamic_stack: false
    .vgpr_count:     0
    .vgpr_spill_count: 0
    .wavefront_size: 64
  - .agpr_count:     0
    .args:
      - .offset:         0
        .size:           96
        .value_kind:     by_value
    .group_segment_fixed_size: 0
    .kernarg_segment_align: 8
    .kernarg_segment_size: 96
    .language:       OpenCL C
    .language_version:
      - 2
      - 0
    .max_flat_workgroup_size: 128
    .name:           _ZN7rocprim17ROCPRIM_400000_NS6detail17trampoline_kernelINS0_14default_configENS1_20scan_config_selectorItEEZZNS1_9scan_implILNS1_25lookback_scan_determinismE0ELb1ELb1ES3_N6thrust23THRUST_200600_302600_NS6detail15normal_iteratorINS9_10device_ptrItEEEESE_t11max_functorItEtEEDaPvRmT3_T4_T5_mT6_P12ihipStream_tbENKUlT_T0_E_clISt17integral_constantIbLb0EEST_IbLb1EEEEDaSP_SQ_EUlSP_E_NS1_11comp_targetILNS1_3genE0ELNS1_11target_archE4294967295ELNS1_3gpuE0ELNS1_3repE0EEENS1_30default_config_static_selectorELNS0_4arch9wavefront6targetE1EEEvT1_
    .private_segment_fixed_size: 0
    .sgpr_count:     4
    .sgpr_spill_count: 0
    .symbol:         _ZN7rocprim17ROCPRIM_400000_NS6detail17trampoline_kernelINS0_14default_configENS1_20scan_config_selectorItEEZZNS1_9scan_implILNS1_25lookback_scan_determinismE0ELb1ELb1ES3_N6thrust23THRUST_200600_302600_NS6detail15normal_iteratorINS9_10device_ptrItEEEESE_t11max_functorItEtEEDaPvRmT3_T4_T5_mT6_P12ihipStream_tbENKUlT_T0_E_clISt17integral_constantIbLb0EEST_IbLb1EEEEDaSP_SQ_EUlSP_E_NS1_11comp_targetILNS1_3genE0ELNS1_11target_archE4294967295ELNS1_3gpuE0ELNS1_3repE0EEENS1_30default_config_static_selectorELNS0_4arch9wavefront6targetE1EEEvT1_.kd
    .uniform_work_group_size: 1
    .uses_dynamic_stack: false
    .vgpr_count:     0
    .vgpr_spill_count: 0
    .wavefront_size: 64
  - .agpr_count:     0
    .args:
      - .offset:         0
        .size:           96
        .value_kind:     by_value
    .group_segment_fixed_size: 0
    .kernarg_segment_align: 8
    .kernarg_segment_size: 96
    .language:       OpenCL C
    .language_version:
      - 2
      - 0
    .max_flat_workgroup_size: 256
    .name:           _ZN7rocprim17ROCPRIM_400000_NS6detail17trampoline_kernelINS0_14default_configENS1_20scan_config_selectorItEEZZNS1_9scan_implILNS1_25lookback_scan_determinismE0ELb1ELb1ES3_N6thrust23THRUST_200600_302600_NS6detail15normal_iteratorINS9_10device_ptrItEEEESE_t11max_functorItEtEEDaPvRmT3_T4_T5_mT6_P12ihipStream_tbENKUlT_T0_E_clISt17integral_constantIbLb0EEST_IbLb1EEEEDaSP_SQ_EUlSP_E_NS1_11comp_targetILNS1_3genE5ELNS1_11target_archE942ELNS1_3gpuE9ELNS1_3repE0EEENS1_30default_config_static_selectorELNS0_4arch9wavefront6targetE1EEEvT1_
    .private_segment_fixed_size: 0
    .sgpr_count:     4
    .sgpr_spill_count: 0
    .symbol:         _ZN7rocprim17ROCPRIM_400000_NS6detail17trampoline_kernelINS0_14default_configENS1_20scan_config_selectorItEEZZNS1_9scan_implILNS1_25lookback_scan_determinismE0ELb1ELb1ES3_N6thrust23THRUST_200600_302600_NS6detail15normal_iteratorINS9_10device_ptrItEEEESE_t11max_functorItEtEEDaPvRmT3_T4_T5_mT6_P12ihipStream_tbENKUlT_T0_E_clISt17integral_constantIbLb0EEST_IbLb1EEEEDaSP_SQ_EUlSP_E_NS1_11comp_targetILNS1_3genE5ELNS1_11target_archE942ELNS1_3gpuE9ELNS1_3repE0EEENS1_30default_config_static_selectorELNS0_4arch9wavefront6targetE1EEEvT1_.kd
    .uniform_work_group_size: 1
    .uses_dynamic_stack: false
    .vgpr_count:     0
    .vgpr_spill_count: 0
    .wavefront_size: 64
  - .agpr_count:     0
    .args:
      - .offset:         0
        .size:           96
        .value_kind:     by_value
    .group_segment_fixed_size: 3072
    .kernarg_segment_align: 8
    .kernarg_segment_size: 96
    .language:       OpenCL C
    .language_version:
      - 2
      - 0
    .max_flat_workgroup_size: 64
    .name:           _ZN7rocprim17ROCPRIM_400000_NS6detail17trampoline_kernelINS0_14default_configENS1_20scan_config_selectorItEEZZNS1_9scan_implILNS1_25lookback_scan_determinismE0ELb1ELb1ES3_N6thrust23THRUST_200600_302600_NS6detail15normal_iteratorINS9_10device_ptrItEEEESE_t11max_functorItEtEEDaPvRmT3_T4_T5_mT6_P12ihipStream_tbENKUlT_T0_E_clISt17integral_constantIbLb0EEST_IbLb1EEEEDaSP_SQ_EUlSP_E_NS1_11comp_targetILNS1_3genE4ELNS1_11target_archE910ELNS1_3gpuE8ELNS1_3repE0EEENS1_30default_config_static_selectorELNS0_4arch9wavefront6targetE1EEEvT1_
    .private_segment_fixed_size: 0
    .sgpr_count:     43
    .sgpr_spill_count: 0
    .symbol:         _ZN7rocprim17ROCPRIM_400000_NS6detail17trampoline_kernelINS0_14default_configENS1_20scan_config_selectorItEEZZNS1_9scan_implILNS1_25lookback_scan_determinismE0ELb1ELb1ES3_N6thrust23THRUST_200600_302600_NS6detail15normal_iteratorINS9_10device_ptrItEEEESE_t11max_functorItEtEEDaPvRmT3_T4_T5_mT6_P12ihipStream_tbENKUlT_T0_E_clISt17integral_constantIbLb0EEST_IbLb1EEEEDaSP_SQ_EUlSP_E_NS1_11comp_targetILNS1_3genE4ELNS1_11target_archE910ELNS1_3gpuE8ELNS1_3repE0EEENS1_30default_config_static_selectorELNS0_4arch9wavefront6targetE1EEEvT1_.kd
    .uniform_work_group_size: 1
    .uses_dynamic_stack: false
    .vgpr_count:     58
    .vgpr_spill_count: 0
    .wavefront_size: 64
  - .agpr_count:     0
    .args:
      - .offset:         0
        .size:           96
        .value_kind:     by_value
    .group_segment_fixed_size: 0
    .kernarg_segment_align: 8
    .kernarg_segment_size: 96
    .language:       OpenCL C
    .language_version:
      - 2
      - 0
    .max_flat_workgroup_size: 128
    .name:           _ZN7rocprim17ROCPRIM_400000_NS6detail17trampoline_kernelINS0_14default_configENS1_20scan_config_selectorItEEZZNS1_9scan_implILNS1_25lookback_scan_determinismE0ELb1ELb1ES3_N6thrust23THRUST_200600_302600_NS6detail15normal_iteratorINS9_10device_ptrItEEEESE_t11max_functorItEtEEDaPvRmT3_T4_T5_mT6_P12ihipStream_tbENKUlT_T0_E_clISt17integral_constantIbLb0EEST_IbLb1EEEEDaSP_SQ_EUlSP_E_NS1_11comp_targetILNS1_3genE3ELNS1_11target_archE908ELNS1_3gpuE7ELNS1_3repE0EEENS1_30default_config_static_selectorELNS0_4arch9wavefront6targetE1EEEvT1_
    .private_segment_fixed_size: 0
    .sgpr_count:     4
    .sgpr_spill_count: 0
    .symbol:         _ZN7rocprim17ROCPRIM_400000_NS6detail17trampoline_kernelINS0_14default_configENS1_20scan_config_selectorItEEZZNS1_9scan_implILNS1_25lookback_scan_determinismE0ELb1ELb1ES3_N6thrust23THRUST_200600_302600_NS6detail15normal_iteratorINS9_10device_ptrItEEEESE_t11max_functorItEtEEDaPvRmT3_T4_T5_mT6_P12ihipStream_tbENKUlT_T0_E_clISt17integral_constantIbLb0EEST_IbLb1EEEEDaSP_SQ_EUlSP_E_NS1_11comp_targetILNS1_3genE3ELNS1_11target_archE908ELNS1_3gpuE7ELNS1_3repE0EEENS1_30default_config_static_selectorELNS0_4arch9wavefront6targetE1EEEvT1_.kd
    .uniform_work_group_size: 1
    .uses_dynamic_stack: false
    .vgpr_count:     0
    .vgpr_spill_count: 0
    .wavefront_size: 64
  - .agpr_count:     0
    .args:
      - .offset:         0
        .size:           96
        .value_kind:     by_value
    .group_segment_fixed_size: 0
    .kernarg_segment_align: 8
    .kernarg_segment_size: 96
    .language:       OpenCL C
    .language_version:
      - 2
      - 0
    .max_flat_workgroup_size: 256
    .name:           _ZN7rocprim17ROCPRIM_400000_NS6detail17trampoline_kernelINS0_14default_configENS1_20scan_config_selectorItEEZZNS1_9scan_implILNS1_25lookback_scan_determinismE0ELb1ELb1ES3_N6thrust23THRUST_200600_302600_NS6detail15normal_iteratorINS9_10device_ptrItEEEESE_t11max_functorItEtEEDaPvRmT3_T4_T5_mT6_P12ihipStream_tbENKUlT_T0_E_clISt17integral_constantIbLb0EEST_IbLb1EEEEDaSP_SQ_EUlSP_E_NS1_11comp_targetILNS1_3genE2ELNS1_11target_archE906ELNS1_3gpuE6ELNS1_3repE0EEENS1_30default_config_static_selectorELNS0_4arch9wavefront6targetE1EEEvT1_
    .private_segment_fixed_size: 0
    .sgpr_count:     4
    .sgpr_spill_count: 0
    .symbol:         _ZN7rocprim17ROCPRIM_400000_NS6detail17trampoline_kernelINS0_14default_configENS1_20scan_config_selectorItEEZZNS1_9scan_implILNS1_25lookback_scan_determinismE0ELb1ELb1ES3_N6thrust23THRUST_200600_302600_NS6detail15normal_iteratorINS9_10device_ptrItEEEESE_t11max_functorItEtEEDaPvRmT3_T4_T5_mT6_P12ihipStream_tbENKUlT_T0_E_clISt17integral_constantIbLb0EEST_IbLb1EEEEDaSP_SQ_EUlSP_E_NS1_11comp_targetILNS1_3genE2ELNS1_11target_archE906ELNS1_3gpuE6ELNS1_3repE0EEENS1_30default_config_static_selectorELNS0_4arch9wavefront6targetE1EEEvT1_.kd
    .uniform_work_group_size: 1
    .uses_dynamic_stack: false
    .vgpr_count:     0
    .vgpr_spill_count: 0
    .wavefront_size: 64
  - .agpr_count:     0
    .args:
      - .offset:         0
        .size:           96
        .value_kind:     by_value
    .group_segment_fixed_size: 0
    .kernarg_segment_align: 8
    .kernarg_segment_size: 96
    .language:       OpenCL C
    .language_version:
      - 2
      - 0
    .max_flat_workgroup_size: 256
    .name:           _ZN7rocprim17ROCPRIM_400000_NS6detail17trampoline_kernelINS0_14default_configENS1_20scan_config_selectorItEEZZNS1_9scan_implILNS1_25lookback_scan_determinismE0ELb1ELb1ES3_N6thrust23THRUST_200600_302600_NS6detail15normal_iteratorINS9_10device_ptrItEEEESE_t11max_functorItEtEEDaPvRmT3_T4_T5_mT6_P12ihipStream_tbENKUlT_T0_E_clISt17integral_constantIbLb0EEST_IbLb1EEEEDaSP_SQ_EUlSP_E_NS1_11comp_targetILNS1_3genE10ELNS1_11target_archE1201ELNS1_3gpuE5ELNS1_3repE0EEENS1_30default_config_static_selectorELNS0_4arch9wavefront6targetE1EEEvT1_
    .private_segment_fixed_size: 0
    .sgpr_count:     4
    .sgpr_spill_count: 0
    .symbol:         _ZN7rocprim17ROCPRIM_400000_NS6detail17trampoline_kernelINS0_14default_configENS1_20scan_config_selectorItEEZZNS1_9scan_implILNS1_25lookback_scan_determinismE0ELb1ELb1ES3_N6thrust23THRUST_200600_302600_NS6detail15normal_iteratorINS9_10device_ptrItEEEESE_t11max_functorItEtEEDaPvRmT3_T4_T5_mT6_P12ihipStream_tbENKUlT_T0_E_clISt17integral_constantIbLb0EEST_IbLb1EEEEDaSP_SQ_EUlSP_E_NS1_11comp_targetILNS1_3genE10ELNS1_11target_archE1201ELNS1_3gpuE5ELNS1_3repE0EEENS1_30default_config_static_selectorELNS0_4arch9wavefront6targetE1EEEvT1_.kd
    .uniform_work_group_size: 1
    .uses_dynamic_stack: false
    .vgpr_count:     0
    .vgpr_spill_count: 0
    .wavefront_size: 64
  - .agpr_count:     0
    .args:
      - .offset:         0
        .size:           96
        .value_kind:     by_value
    .group_segment_fixed_size: 0
    .kernarg_segment_align: 8
    .kernarg_segment_size: 96
    .language:       OpenCL C
    .language_version:
      - 2
      - 0
    .max_flat_workgroup_size: 256
    .name:           _ZN7rocprim17ROCPRIM_400000_NS6detail17trampoline_kernelINS0_14default_configENS1_20scan_config_selectorItEEZZNS1_9scan_implILNS1_25lookback_scan_determinismE0ELb1ELb1ES3_N6thrust23THRUST_200600_302600_NS6detail15normal_iteratorINS9_10device_ptrItEEEESE_t11max_functorItEtEEDaPvRmT3_T4_T5_mT6_P12ihipStream_tbENKUlT_T0_E_clISt17integral_constantIbLb0EEST_IbLb1EEEEDaSP_SQ_EUlSP_E_NS1_11comp_targetILNS1_3genE10ELNS1_11target_archE1200ELNS1_3gpuE4ELNS1_3repE0EEENS1_30default_config_static_selectorELNS0_4arch9wavefront6targetE1EEEvT1_
    .private_segment_fixed_size: 0
    .sgpr_count:     4
    .sgpr_spill_count: 0
    .symbol:         _ZN7rocprim17ROCPRIM_400000_NS6detail17trampoline_kernelINS0_14default_configENS1_20scan_config_selectorItEEZZNS1_9scan_implILNS1_25lookback_scan_determinismE0ELb1ELb1ES3_N6thrust23THRUST_200600_302600_NS6detail15normal_iteratorINS9_10device_ptrItEEEESE_t11max_functorItEtEEDaPvRmT3_T4_T5_mT6_P12ihipStream_tbENKUlT_T0_E_clISt17integral_constantIbLb0EEST_IbLb1EEEEDaSP_SQ_EUlSP_E_NS1_11comp_targetILNS1_3genE10ELNS1_11target_archE1200ELNS1_3gpuE4ELNS1_3repE0EEENS1_30default_config_static_selectorELNS0_4arch9wavefront6targetE1EEEvT1_.kd
    .uniform_work_group_size: 1
    .uses_dynamic_stack: false
    .vgpr_count:     0
    .vgpr_spill_count: 0
    .wavefront_size: 64
  - .agpr_count:     0
    .args:
      - .offset:         0
        .size:           96
        .value_kind:     by_value
    .group_segment_fixed_size: 0
    .kernarg_segment_align: 8
    .kernarg_segment_size: 96
    .language:       OpenCL C
    .language_version:
      - 2
      - 0
    .max_flat_workgroup_size: 64
    .name:           _ZN7rocprim17ROCPRIM_400000_NS6detail17trampoline_kernelINS0_14default_configENS1_20scan_config_selectorItEEZZNS1_9scan_implILNS1_25lookback_scan_determinismE0ELb1ELb1ES3_N6thrust23THRUST_200600_302600_NS6detail15normal_iteratorINS9_10device_ptrItEEEESE_t11max_functorItEtEEDaPvRmT3_T4_T5_mT6_P12ihipStream_tbENKUlT_T0_E_clISt17integral_constantIbLb0EEST_IbLb1EEEEDaSP_SQ_EUlSP_E_NS1_11comp_targetILNS1_3genE9ELNS1_11target_archE1100ELNS1_3gpuE3ELNS1_3repE0EEENS1_30default_config_static_selectorELNS0_4arch9wavefront6targetE1EEEvT1_
    .private_segment_fixed_size: 0
    .sgpr_count:     4
    .sgpr_spill_count: 0
    .symbol:         _ZN7rocprim17ROCPRIM_400000_NS6detail17trampoline_kernelINS0_14default_configENS1_20scan_config_selectorItEEZZNS1_9scan_implILNS1_25lookback_scan_determinismE0ELb1ELb1ES3_N6thrust23THRUST_200600_302600_NS6detail15normal_iteratorINS9_10device_ptrItEEEESE_t11max_functorItEtEEDaPvRmT3_T4_T5_mT6_P12ihipStream_tbENKUlT_T0_E_clISt17integral_constantIbLb0EEST_IbLb1EEEEDaSP_SQ_EUlSP_E_NS1_11comp_targetILNS1_3genE9ELNS1_11target_archE1100ELNS1_3gpuE3ELNS1_3repE0EEENS1_30default_config_static_selectorELNS0_4arch9wavefront6targetE1EEEvT1_.kd
    .uniform_work_group_size: 1
    .uses_dynamic_stack: false
    .vgpr_count:     0
    .vgpr_spill_count: 0
    .wavefront_size: 64
  - .agpr_count:     0
    .args:
      - .offset:         0
        .size:           96
        .value_kind:     by_value
    .group_segment_fixed_size: 0
    .kernarg_segment_align: 8
    .kernarg_segment_size: 96
    .language:       OpenCL C
    .language_version:
      - 2
      - 0
    .max_flat_workgroup_size: 64
    .name:           _ZN7rocprim17ROCPRIM_400000_NS6detail17trampoline_kernelINS0_14default_configENS1_20scan_config_selectorItEEZZNS1_9scan_implILNS1_25lookback_scan_determinismE0ELb1ELb1ES3_N6thrust23THRUST_200600_302600_NS6detail15normal_iteratorINS9_10device_ptrItEEEESE_t11max_functorItEtEEDaPvRmT3_T4_T5_mT6_P12ihipStream_tbENKUlT_T0_E_clISt17integral_constantIbLb0EEST_IbLb1EEEEDaSP_SQ_EUlSP_E_NS1_11comp_targetILNS1_3genE8ELNS1_11target_archE1030ELNS1_3gpuE2ELNS1_3repE0EEENS1_30default_config_static_selectorELNS0_4arch9wavefront6targetE1EEEvT1_
    .private_segment_fixed_size: 0
    .sgpr_count:     4
    .sgpr_spill_count: 0
    .symbol:         _ZN7rocprim17ROCPRIM_400000_NS6detail17trampoline_kernelINS0_14default_configENS1_20scan_config_selectorItEEZZNS1_9scan_implILNS1_25lookback_scan_determinismE0ELb1ELb1ES3_N6thrust23THRUST_200600_302600_NS6detail15normal_iteratorINS9_10device_ptrItEEEESE_t11max_functorItEtEEDaPvRmT3_T4_T5_mT6_P12ihipStream_tbENKUlT_T0_E_clISt17integral_constantIbLb0EEST_IbLb1EEEEDaSP_SQ_EUlSP_E_NS1_11comp_targetILNS1_3genE8ELNS1_11target_archE1030ELNS1_3gpuE2ELNS1_3repE0EEENS1_30default_config_static_selectorELNS0_4arch9wavefront6targetE1EEEvT1_.kd
    .uniform_work_group_size: 1
    .uses_dynamic_stack: false
    .vgpr_count:     0
    .vgpr_spill_count: 0
    .wavefront_size: 64
  - .agpr_count:     0
    .args:
      - .offset:         0
        .size:           32
        .value_kind:     by_value
    .group_segment_fixed_size: 0
    .kernarg_segment_align: 8
    .kernarg_segment_size: 32
    .language:       OpenCL C
    .language_version:
      - 2
      - 0
    .max_flat_workgroup_size: 128
    .name:           _ZN7rocprim17ROCPRIM_400000_NS6detail17trampoline_kernelINS0_14default_configENS1_20scan_config_selectorItEEZZNS1_9scan_implILNS1_25lookback_scan_determinismE0ELb1ELb1ES3_N6thrust23THRUST_200600_302600_NS6detail15normal_iteratorINS9_10device_ptrItEEEESE_t11max_functorItEtEEDaPvRmT3_T4_T5_mT6_P12ihipStream_tbENKUlT_T0_E_clISt17integral_constantIbLb0EEST_IbLb1EEEEDaSP_SQ_EUlSP_E0_NS1_11comp_targetILNS1_3genE0ELNS1_11target_archE4294967295ELNS1_3gpuE0ELNS1_3repE0EEENS1_30default_config_static_selectorELNS0_4arch9wavefront6targetE1EEEvT1_
    .private_segment_fixed_size: 0
    .sgpr_count:     4
    .sgpr_spill_count: 0
    .symbol:         _ZN7rocprim17ROCPRIM_400000_NS6detail17trampoline_kernelINS0_14default_configENS1_20scan_config_selectorItEEZZNS1_9scan_implILNS1_25lookback_scan_determinismE0ELb1ELb1ES3_N6thrust23THRUST_200600_302600_NS6detail15normal_iteratorINS9_10device_ptrItEEEESE_t11max_functorItEtEEDaPvRmT3_T4_T5_mT6_P12ihipStream_tbENKUlT_T0_E_clISt17integral_constantIbLb0EEST_IbLb1EEEEDaSP_SQ_EUlSP_E0_NS1_11comp_targetILNS1_3genE0ELNS1_11target_archE4294967295ELNS1_3gpuE0ELNS1_3repE0EEENS1_30default_config_static_selectorELNS0_4arch9wavefront6targetE1EEEvT1_.kd
    .uniform_work_group_size: 1
    .uses_dynamic_stack: false
    .vgpr_count:     0
    .vgpr_spill_count: 0
    .wavefront_size: 64
  - .agpr_count:     0
    .args:
      - .offset:         0
        .size:           32
        .value_kind:     by_value
    .group_segment_fixed_size: 0
    .kernarg_segment_align: 8
    .kernarg_segment_size: 32
    .language:       OpenCL C
    .language_version:
      - 2
      - 0
    .max_flat_workgroup_size: 256
    .name:           _ZN7rocprim17ROCPRIM_400000_NS6detail17trampoline_kernelINS0_14default_configENS1_20scan_config_selectorItEEZZNS1_9scan_implILNS1_25lookback_scan_determinismE0ELb1ELb1ES3_N6thrust23THRUST_200600_302600_NS6detail15normal_iteratorINS9_10device_ptrItEEEESE_t11max_functorItEtEEDaPvRmT3_T4_T5_mT6_P12ihipStream_tbENKUlT_T0_E_clISt17integral_constantIbLb0EEST_IbLb1EEEEDaSP_SQ_EUlSP_E0_NS1_11comp_targetILNS1_3genE5ELNS1_11target_archE942ELNS1_3gpuE9ELNS1_3repE0EEENS1_30default_config_static_selectorELNS0_4arch9wavefront6targetE1EEEvT1_
    .private_segment_fixed_size: 0
    .sgpr_count:     4
    .sgpr_spill_count: 0
    .symbol:         _ZN7rocprim17ROCPRIM_400000_NS6detail17trampoline_kernelINS0_14default_configENS1_20scan_config_selectorItEEZZNS1_9scan_implILNS1_25lookback_scan_determinismE0ELb1ELb1ES3_N6thrust23THRUST_200600_302600_NS6detail15normal_iteratorINS9_10device_ptrItEEEESE_t11max_functorItEtEEDaPvRmT3_T4_T5_mT6_P12ihipStream_tbENKUlT_T0_E_clISt17integral_constantIbLb0EEST_IbLb1EEEEDaSP_SQ_EUlSP_E0_NS1_11comp_targetILNS1_3genE5ELNS1_11target_archE942ELNS1_3gpuE9ELNS1_3repE0EEENS1_30default_config_static_selectorELNS0_4arch9wavefront6targetE1EEEvT1_.kd
    .uniform_work_group_size: 1
    .uses_dynamic_stack: false
    .vgpr_count:     0
    .vgpr_spill_count: 0
    .wavefront_size: 64
  - .agpr_count:     0
    .args:
      - .offset:         0
        .size:           32
        .value_kind:     by_value
    .group_segment_fixed_size: 3072
    .kernarg_segment_align: 8
    .kernarg_segment_size: 32
    .language:       OpenCL C
    .language_version:
      - 2
      - 0
    .max_flat_workgroup_size: 64
    .name:           _ZN7rocprim17ROCPRIM_400000_NS6detail17trampoline_kernelINS0_14default_configENS1_20scan_config_selectorItEEZZNS1_9scan_implILNS1_25lookback_scan_determinismE0ELb1ELb1ES3_N6thrust23THRUST_200600_302600_NS6detail15normal_iteratorINS9_10device_ptrItEEEESE_t11max_functorItEtEEDaPvRmT3_T4_T5_mT6_P12ihipStream_tbENKUlT_T0_E_clISt17integral_constantIbLb0EEST_IbLb1EEEEDaSP_SQ_EUlSP_E0_NS1_11comp_targetILNS1_3genE4ELNS1_11target_archE910ELNS1_3gpuE8ELNS1_3repE0EEENS1_30default_config_static_selectorELNS0_4arch9wavefront6targetE1EEEvT1_
    .private_segment_fixed_size: 0
    .sgpr_count:     60
    .sgpr_spill_count: 0
    .symbol:         _ZN7rocprim17ROCPRIM_400000_NS6detail17trampoline_kernelINS0_14default_configENS1_20scan_config_selectorItEEZZNS1_9scan_implILNS1_25lookback_scan_determinismE0ELb1ELb1ES3_N6thrust23THRUST_200600_302600_NS6detail15normal_iteratorINS9_10device_ptrItEEEESE_t11max_functorItEtEEDaPvRmT3_T4_T5_mT6_P12ihipStream_tbENKUlT_T0_E_clISt17integral_constantIbLb0EEST_IbLb1EEEEDaSP_SQ_EUlSP_E0_NS1_11comp_targetILNS1_3genE4ELNS1_11target_archE910ELNS1_3gpuE8ELNS1_3repE0EEENS1_30default_config_static_selectorELNS0_4arch9wavefront6targetE1EEEvT1_.kd
    .uniform_work_group_size: 1
    .uses_dynamic_stack: false
    .vgpr_count:     32
    .vgpr_spill_count: 0
    .wavefront_size: 64
  - .agpr_count:     0
    .args:
      - .offset:         0
        .size:           32
        .value_kind:     by_value
    .group_segment_fixed_size: 0
    .kernarg_segment_align: 8
    .kernarg_segment_size: 32
    .language:       OpenCL C
    .language_version:
      - 2
      - 0
    .max_flat_workgroup_size: 128
    .name:           _ZN7rocprim17ROCPRIM_400000_NS6detail17trampoline_kernelINS0_14default_configENS1_20scan_config_selectorItEEZZNS1_9scan_implILNS1_25lookback_scan_determinismE0ELb1ELb1ES3_N6thrust23THRUST_200600_302600_NS6detail15normal_iteratorINS9_10device_ptrItEEEESE_t11max_functorItEtEEDaPvRmT3_T4_T5_mT6_P12ihipStream_tbENKUlT_T0_E_clISt17integral_constantIbLb0EEST_IbLb1EEEEDaSP_SQ_EUlSP_E0_NS1_11comp_targetILNS1_3genE3ELNS1_11target_archE908ELNS1_3gpuE7ELNS1_3repE0EEENS1_30default_config_static_selectorELNS0_4arch9wavefront6targetE1EEEvT1_
    .private_segment_fixed_size: 0
    .sgpr_count:     4
    .sgpr_spill_count: 0
    .symbol:         _ZN7rocprim17ROCPRIM_400000_NS6detail17trampoline_kernelINS0_14default_configENS1_20scan_config_selectorItEEZZNS1_9scan_implILNS1_25lookback_scan_determinismE0ELb1ELb1ES3_N6thrust23THRUST_200600_302600_NS6detail15normal_iteratorINS9_10device_ptrItEEEESE_t11max_functorItEtEEDaPvRmT3_T4_T5_mT6_P12ihipStream_tbENKUlT_T0_E_clISt17integral_constantIbLb0EEST_IbLb1EEEEDaSP_SQ_EUlSP_E0_NS1_11comp_targetILNS1_3genE3ELNS1_11target_archE908ELNS1_3gpuE7ELNS1_3repE0EEENS1_30default_config_static_selectorELNS0_4arch9wavefront6targetE1EEEvT1_.kd
    .uniform_work_group_size: 1
    .uses_dynamic_stack: false
    .vgpr_count:     0
    .vgpr_spill_count: 0
    .wavefront_size: 64
  - .agpr_count:     0
    .args:
      - .offset:         0
        .size:           32
        .value_kind:     by_value
    .group_segment_fixed_size: 0
    .kernarg_segment_align: 8
    .kernarg_segment_size: 32
    .language:       OpenCL C
    .language_version:
      - 2
      - 0
    .max_flat_workgroup_size: 256
    .name:           _ZN7rocprim17ROCPRIM_400000_NS6detail17trampoline_kernelINS0_14default_configENS1_20scan_config_selectorItEEZZNS1_9scan_implILNS1_25lookback_scan_determinismE0ELb1ELb1ES3_N6thrust23THRUST_200600_302600_NS6detail15normal_iteratorINS9_10device_ptrItEEEESE_t11max_functorItEtEEDaPvRmT3_T4_T5_mT6_P12ihipStream_tbENKUlT_T0_E_clISt17integral_constantIbLb0EEST_IbLb1EEEEDaSP_SQ_EUlSP_E0_NS1_11comp_targetILNS1_3genE2ELNS1_11target_archE906ELNS1_3gpuE6ELNS1_3repE0EEENS1_30default_config_static_selectorELNS0_4arch9wavefront6targetE1EEEvT1_
    .private_segment_fixed_size: 0
    .sgpr_count:     4
    .sgpr_spill_count: 0
    .symbol:         _ZN7rocprim17ROCPRIM_400000_NS6detail17trampoline_kernelINS0_14default_configENS1_20scan_config_selectorItEEZZNS1_9scan_implILNS1_25lookback_scan_determinismE0ELb1ELb1ES3_N6thrust23THRUST_200600_302600_NS6detail15normal_iteratorINS9_10device_ptrItEEEESE_t11max_functorItEtEEDaPvRmT3_T4_T5_mT6_P12ihipStream_tbENKUlT_T0_E_clISt17integral_constantIbLb0EEST_IbLb1EEEEDaSP_SQ_EUlSP_E0_NS1_11comp_targetILNS1_3genE2ELNS1_11target_archE906ELNS1_3gpuE6ELNS1_3repE0EEENS1_30default_config_static_selectorELNS0_4arch9wavefront6targetE1EEEvT1_.kd
    .uniform_work_group_size: 1
    .uses_dynamic_stack: false
    .vgpr_count:     0
    .vgpr_spill_count: 0
    .wavefront_size: 64
  - .agpr_count:     0
    .args:
      - .offset:         0
        .size:           32
        .value_kind:     by_value
    .group_segment_fixed_size: 0
    .kernarg_segment_align: 8
    .kernarg_segment_size: 32
    .language:       OpenCL C
    .language_version:
      - 2
      - 0
    .max_flat_workgroup_size: 256
    .name:           _ZN7rocprim17ROCPRIM_400000_NS6detail17trampoline_kernelINS0_14default_configENS1_20scan_config_selectorItEEZZNS1_9scan_implILNS1_25lookback_scan_determinismE0ELb1ELb1ES3_N6thrust23THRUST_200600_302600_NS6detail15normal_iteratorINS9_10device_ptrItEEEESE_t11max_functorItEtEEDaPvRmT3_T4_T5_mT6_P12ihipStream_tbENKUlT_T0_E_clISt17integral_constantIbLb0EEST_IbLb1EEEEDaSP_SQ_EUlSP_E0_NS1_11comp_targetILNS1_3genE10ELNS1_11target_archE1201ELNS1_3gpuE5ELNS1_3repE0EEENS1_30default_config_static_selectorELNS0_4arch9wavefront6targetE1EEEvT1_
    .private_segment_fixed_size: 0
    .sgpr_count:     4
    .sgpr_spill_count: 0
    .symbol:         _ZN7rocprim17ROCPRIM_400000_NS6detail17trampoline_kernelINS0_14default_configENS1_20scan_config_selectorItEEZZNS1_9scan_implILNS1_25lookback_scan_determinismE0ELb1ELb1ES3_N6thrust23THRUST_200600_302600_NS6detail15normal_iteratorINS9_10device_ptrItEEEESE_t11max_functorItEtEEDaPvRmT3_T4_T5_mT6_P12ihipStream_tbENKUlT_T0_E_clISt17integral_constantIbLb0EEST_IbLb1EEEEDaSP_SQ_EUlSP_E0_NS1_11comp_targetILNS1_3genE10ELNS1_11target_archE1201ELNS1_3gpuE5ELNS1_3repE0EEENS1_30default_config_static_selectorELNS0_4arch9wavefront6targetE1EEEvT1_.kd
    .uniform_work_group_size: 1
    .uses_dynamic_stack: false
    .vgpr_count:     0
    .vgpr_spill_count: 0
    .wavefront_size: 64
  - .agpr_count:     0
    .args:
      - .offset:         0
        .size:           32
        .value_kind:     by_value
    .group_segment_fixed_size: 0
    .kernarg_segment_align: 8
    .kernarg_segment_size: 32
    .language:       OpenCL C
    .language_version:
      - 2
      - 0
    .max_flat_workgroup_size: 256
    .name:           _ZN7rocprim17ROCPRIM_400000_NS6detail17trampoline_kernelINS0_14default_configENS1_20scan_config_selectorItEEZZNS1_9scan_implILNS1_25lookback_scan_determinismE0ELb1ELb1ES3_N6thrust23THRUST_200600_302600_NS6detail15normal_iteratorINS9_10device_ptrItEEEESE_t11max_functorItEtEEDaPvRmT3_T4_T5_mT6_P12ihipStream_tbENKUlT_T0_E_clISt17integral_constantIbLb0EEST_IbLb1EEEEDaSP_SQ_EUlSP_E0_NS1_11comp_targetILNS1_3genE10ELNS1_11target_archE1200ELNS1_3gpuE4ELNS1_3repE0EEENS1_30default_config_static_selectorELNS0_4arch9wavefront6targetE1EEEvT1_
    .private_segment_fixed_size: 0
    .sgpr_count:     4
    .sgpr_spill_count: 0
    .symbol:         _ZN7rocprim17ROCPRIM_400000_NS6detail17trampoline_kernelINS0_14default_configENS1_20scan_config_selectorItEEZZNS1_9scan_implILNS1_25lookback_scan_determinismE0ELb1ELb1ES3_N6thrust23THRUST_200600_302600_NS6detail15normal_iteratorINS9_10device_ptrItEEEESE_t11max_functorItEtEEDaPvRmT3_T4_T5_mT6_P12ihipStream_tbENKUlT_T0_E_clISt17integral_constantIbLb0EEST_IbLb1EEEEDaSP_SQ_EUlSP_E0_NS1_11comp_targetILNS1_3genE10ELNS1_11target_archE1200ELNS1_3gpuE4ELNS1_3repE0EEENS1_30default_config_static_selectorELNS0_4arch9wavefront6targetE1EEEvT1_.kd
    .uniform_work_group_size: 1
    .uses_dynamic_stack: false
    .vgpr_count:     0
    .vgpr_spill_count: 0
    .wavefront_size: 64
  - .agpr_count:     0
    .args:
      - .offset:         0
        .size:           32
        .value_kind:     by_value
    .group_segment_fixed_size: 0
    .kernarg_segment_align: 8
    .kernarg_segment_size: 32
    .language:       OpenCL C
    .language_version:
      - 2
      - 0
    .max_flat_workgroup_size: 64
    .name:           _ZN7rocprim17ROCPRIM_400000_NS6detail17trampoline_kernelINS0_14default_configENS1_20scan_config_selectorItEEZZNS1_9scan_implILNS1_25lookback_scan_determinismE0ELb1ELb1ES3_N6thrust23THRUST_200600_302600_NS6detail15normal_iteratorINS9_10device_ptrItEEEESE_t11max_functorItEtEEDaPvRmT3_T4_T5_mT6_P12ihipStream_tbENKUlT_T0_E_clISt17integral_constantIbLb0EEST_IbLb1EEEEDaSP_SQ_EUlSP_E0_NS1_11comp_targetILNS1_3genE9ELNS1_11target_archE1100ELNS1_3gpuE3ELNS1_3repE0EEENS1_30default_config_static_selectorELNS0_4arch9wavefront6targetE1EEEvT1_
    .private_segment_fixed_size: 0
    .sgpr_count:     4
    .sgpr_spill_count: 0
    .symbol:         _ZN7rocprim17ROCPRIM_400000_NS6detail17trampoline_kernelINS0_14default_configENS1_20scan_config_selectorItEEZZNS1_9scan_implILNS1_25lookback_scan_determinismE0ELb1ELb1ES3_N6thrust23THRUST_200600_302600_NS6detail15normal_iteratorINS9_10device_ptrItEEEESE_t11max_functorItEtEEDaPvRmT3_T4_T5_mT6_P12ihipStream_tbENKUlT_T0_E_clISt17integral_constantIbLb0EEST_IbLb1EEEEDaSP_SQ_EUlSP_E0_NS1_11comp_targetILNS1_3genE9ELNS1_11target_archE1100ELNS1_3gpuE3ELNS1_3repE0EEENS1_30default_config_static_selectorELNS0_4arch9wavefront6targetE1EEEvT1_.kd
    .uniform_work_group_size: 1
    .uses_dynamic_stack: false
    .vgpr_count:     0
    .vgpr_spill_count: 0
    .wavefront_size: 64
  - .agpr_count:     0
    .args:
      - .offset:         0
        .size:           32
        .value_kind:     by_value
    .group_segment_fixed_size: 0
    .kernarg_segment_align: 8
    .kernarg_segment_size: 32
    .language:       OpenCL C
    .language_version:
      - 2
      - 0
    .max_flat_workgroup_size: 64
    .name:           _ZN7rocprim17ROCPRIM_400000_NS6detail17trampoline_kernelINS0_14default_configENS1_20scan_config_selectorItEEZZNS1_9scan_implILNS1_25lookback_scan_determinismE0ELb1ELb1ES3_N6thrust23THRUST_200600_302600_NS6detail15normal_iteratorINS9_10device_ptrItEEEESE_t11max_functorItEtEEDaPvRmT3_T4_T5_mT6_P12ihipStream_tbENKUlT_T0_E_clISt17integral_constantIbLb0EEST_IbLb1EEEEDaSP_SQ_EUlSP_E0_NS1_11comp_targetILNS1_3genE8ELNS1_11target_archE1030ELNS1_3gpuE2ELNS1_3repE0EEENS1_30default_config_static_selectorELNS0_4arch9wavefront6targetE1EEEvT1_
    .private_segment_fixed_size: 0
    .sgpr_count:     4
    .sgpr_spill_count: 0
    .symbol:         _ZN7rocprim17ROCPRIM_400000_NS6detail17trampoline_kernelINS0_14default_configENS1_20scan_config_selectorItEEZZNS1_9scan_implILNS1_25lookback_scan_determinismE0ELb1ELb1ES3_N6thrust23THRUST_200600_302600_NS6detail15normal_iteratorINS9_10device_ptrItEEEESE_t11max_functorItEtEEDaPvRmT3_T4_T5_mT6_P12ihipStream_tbENKUlT_T0_E_clISt17integral_constantIbLb0EEST_IbLb1EEEEDaSP_SQ_EUlSP_E0_NS1_11comp_targetILNS1_3genE8ELNS1_11target_archE1030ELNS1_3gpuE2ELNS1_3repE0EEENS1_30default_config_static_selectorELNS0_4arch9wavefront6targetE1EEEvT1_.kd
    .uniform_work_group_size: 1
    .uses_dynamic_stack: false
    .vgpr_count:     0
    .vgpr_spill_count: 0
    .wavefront_size: 64
  - .agpr_count:     0
    .args:
      - .offset:         0
        .size:           104
        .value_kind:     by_value
    .group_segment_fixed_size: 0
    .kernarg_segment_align: 8
    .kernarg_segment_size: 104
    .language:       OpenCL C
    .language_version:
      - 2
      - 0
    .max_flat_workgroup_size: 256
    .name:           _ZN7rocprim17ROCPRIM_400000_NS6detail17trampoline_kernelINS0_14default_configENS1_20scan_config_selectorIxEEZZNS1_9scan_implILNS1_25lookback_scan_determinismE0ELb0ELb0ES3_N6thrust23THRUST_200600_302600_NS6detail15normal_iteratorINS9_10device_ptrIxEEEESE_x11max_functorIxExEEDaPvRmT3_T4_T5_mT6_P12ihipStream_tbENKUlT_T0_E_clISt17integral_constantIbLb0EESU_EEDaSP_SQ_EUlSP_E_NS1_11comp_targetILNS1_3genE0ELNS1_11target_archE4294967295ELNS1_3gpuE0ELNS1_3repE0EEENS1_30default_config_static_selectorELNS0_4arch9wavefront6targetE1EEEvT1_
    .private_segment_fixed_size: 0
    .sgpr_count:     4
    .sgpr_spill_count: 0
    .symbol:         _ZN7rocprim17ROCPRIM_400000_NS6detail17trampoline_kernelINS0_14default_configENS1_20scan_config_selectorIxEEZZNS1_9scan_implILNS1_25lookback_scan_determinismE0ELb0ELb0ES3_N6thrust23THRUST_200600_302600_NS6detail15normal_iteratorINS9_10device_ptrIxEEEESE_x11max_functorIxExEEDaPvRmT3_T4_T5_mT6_P12ihipStream_tbENKUlT_T0_E_clISt17integral_constantIbLb0EESU_EEDaSP_SQ_EUlSP_E_NS1_11comp_targetILNS1_3genE0ELNS1_11target_archE4294967295ELNS1_3gpuE0ELNS1_3repE0EEENS1_30default_config_static_selectorELNS0_4arch9wavefront6targetE1EEEvT1_.kd
    .uniform_work_group_size: 1
    .uses_dynamic_stack: false
    .vgpr_count:     0
    .vgpr_spill_count: 0
    .wavefront_size: 64
  - .agpr_count:     0
    .args:
      - .offset:         0
        .size:           104
        .value_kind:     by_value
    .group_segment_fixed_size: 0
    .kernarg_segment_align: 8
    .kernarg_segment_size: 104
    .language:       OpenCL C
    .language_version:
      - 2
      - 0
    .max_flat_workgroup_size: 256
    .name:           _ZN7rocprim17ROCPRIM_400000_NS6detail17trampoline_kernelINS0_14default_configENS1_20scan_config_selectorIxEEZZNS1_9scan_implILNS1_25lookback_scan_determinismE0ELb0ELb0ES3_N6thrust23THRUST_200600_302600_NS6detail15normal_iteratorINS9_10device_ptrIxEEEESE_x11max_functorIxExEEDaPvRmT3_T4_T5_mT6_P12ihipStream_tbENKUlT_T0_E_clISt17integral_constantIbLb0EESU_EEDaSP_SQ_EUlSP_E_NS1_11comp_targetILNS1_3genE5ELNS1_11target_archE942ELNS1_3gpuE9ELNS1_3repE0EEENS1_30default_config_static_selectorELNS0_4arch9wavefront6targetE1EEEvT1_
    .private_segment_fixed_size: 0
    .sgpr_count:     4
    .sgpr_spill_count: 0
    .symbol:         _ZN7rocprim17ROCPRIM_400000_NS6detail17trampoline_kernelINS0_14default_configENS1_20scan_config_selectorIxEEZZNS1_9scan_implILNS1_25lookback_scan_determinismE0ELb0ELb0ES3_N6thrust23THRUST_200600_302600_NS6detail15normal_iteratorINS9_10device_ptrIxEEEESE_x11max_functorIxExEEDaPvRmT3_T4_T5_mT6_P12ihipStream_tbENKUlT_T0_E_clISt17integral_constantIbLb0EESU_EEDaSP_SQ_EUlSP_E_NS1_11comp_targetILNS1_3genE5ELNS1_11target_archE942ELNS1_3gpuE9ELNS1_3repE0EEENS1_30default_config_static_selectorELNS0_4arch9wavefront6targetE1EEEvT1_.kd
    .uniform_work_group_size: 1
    .uses_dynamic_stack: false
    .vgpr_count:     0
    .vgpr_spill_count: 0
    .wavefront_size: 64
  - .agpr_count:     0
    .args:
      - .offset:         0
        .size:           104
        .value_kind:     by_value
    .group_segment_fixed_size: 7168
    .kernarg_segment_align: 8
    .kernarg_segment_size: 104
    .language:       OpenCL C
    .language_version:
      - 2
      - 0
    .max_flat_workgroup_size: 128
    .name:           _ZN7rocprim17ROCPRIM_400000_NS6detail17trampoline_kernelINS0_14default_configENS1_20scan_config_selectorIxEEZZNS1_9scan_implILNS1_25lookback_scan_determinismE0ELb0ELb0ES3_N6thrust23THRUST_200600_302600_NS6detail15normal_iteratorINS9_10device_ptrIxEEEESE_x11max_functorIxExEEDaPvRmT3_T4_T5_mT6_P12ihipStream_tbENKUlT_T0_E_clISt17integral_constantIbLb0EESU_EEDaSP_SQ_EUlSP_E_NS1_11comp_targetILNS1_3genE4ELNS1_11target_archE910ELNS1_3gpuE8ELNS1_3repE0EEENS1_30default_config_static_selectorELNS0_4arch9wavefront6targetE1EEEvT1_
    .private_segment_fixed_size: 0
    .sgpr_count:     34
    .sgpr_spill_count: 0
    .symbol:         _ZN7rocprim17ROCPRIM_400000_NS6detail17trampoline_kernelINS0_14default_configENS1_20scan_config_selectorIxEEZZNS1_9scan_implILNS1_25lookback_scan_determinismE0ELb0ELb0ES3_N6thrust23THRUST_200600_302600_NS6detail15normal_iteratorINS9_10device_ptrIxEEEESE_x11max_functorIxExEEDaPvRmT3_T4_T5_mT6_P12ihipStream_tbENKUlT_T0_E_clISt17integral_constantIbLb0EESU_EEDaSP_SQ_EUlSP_E_NS1_11comp_targetILNS1_3genE4ELNS1_11target_archE910ELNS1_3gpuE8ELNS1_3repE0EEENS1_30default_config_static_selectorELNS0_4arch9wavefront6targetE1EEEvT1_.kd
    .uniform_work_group_size: 1
    .uses_dynamic_stack: false
    .vgpr_count:     58
    .vgpr_spill_count: 0
    .wavefront_size: 64
  - .agpr_count:     0
    .args:
      - .offset:         0
        .size:           104
        .value_kind:     by_value
    .group_segment_fixed_size: 0
    .kernarg_segment_align: 8
    .kernarg_segment_size: 104
    .language:       OpenCL C
    .language_version:
      - 2
      - 0
    .max_flat_workgroup_size: 256
    .name:           _ZN7rocprim17ROCPRIM_400000_NS6detail17trampoline_kernelINS0_14default_configENS1_20scan_config_selectorIxEEZZNS1_9scan_implILNS1_25lookback_scan_determinismE0ELb0ELb0ES3_N6thrust23THRUST_200600_302600_NS6detail15normal_iteratorINS9_10device_ptrIxEEEESE_x11max_functorIxExEEDaPvRmT3_T4_T5_mT6_P12ihipStream_tbENKUlT_T0_E_clISt17integral_constantIbLb0EESU_EEDaSP_SQ_EUlSP_E_NS1_11comp_targetILNS1_3genE3ELNS1_11target_archE908ELNS1_3gpuE7ELNS1_3repE0EEENS1_30default_config_static_selectorELNS0_4arch9wavefront6targetE1EEEvT1_
    .private_segment_fixed_size: 0
    .sgpr_count:     4
    .sgpr_spill_count: 0
    .symbol:         _ZN7rocprim17ROCPRIM_400000_NS6detail17trampoline_kernelINS0_14default_configENS1_20scan_config_selectorIxEEZZNS1_9scan_implILNS1_25lookback_scan_determinismE0ELb0ELb0ES3_N6thrust23THRUST_200600_302600_NS6detail15normal_iteratorINS9_10device_ptrIxEEEESE_x11max_functorIxExEEDaPvRmT3_T4_T5_mT6_P12ihipStream_tbENKUlT_T0_E_clISt17integral_constantIbLb0EESU_EEDaSP_SQ_EUlSP_E_NS1_11comp_targetILNS1_3genE3ELNS1_11target_archE908ELNS1_3gpuE7ELNS1_3repE0EEENS1_30default_config_static_selectorELNS0_4arch9wavefront6targetE1EEEvT1_.kd
    .uniform_work_group_size: 1
    .uses_dynamic_stack: false
    .vgpr_count:     0
    .vgpr_spill_count: 0
    .wavefront_size: 64
  - .agpr_count:     0
    .args:
      - .offset:         0
        .size:           104
        .value_kind:     by_value
    .group_segment_fixed_size: 0
    .kernarg_segment_align: 8
    .kernarg_segment_size: 104
    .language:       OpenCL C
    .language_version:
      - 2
      - 0
    .max_flat_workgroup_size: 64
    .name:           _ZN7rocprim17ROCPRIM_400000_NS6detail17trampoline_kernelINS0_14default_configENS1_20scan_config_selectorIxEEZZNS1_9scan_implILNS1_25lookback_scan_determinismE0ELb0ELb0ES3_N6thrust23THRUST_200600_302600_NS6detail15normal_iteratorINS9_10device_ptrIxEEEESE_x11max_functorIxExEEDaPvRmT3_T4_T5_mT6_P12ihipStream_tbENKUlT_T0_E_clISt17integral_constantIbLb0EESU_EEDaSP_SQ_EUlSP_E_NS1_11comp_targetILNS1_3genE2ELNS1_11target_archE906ELNS1_3gpuE6ELNS1_3repE0EEENS1_30default_config_static_selectorELNS0_4arch9wavefront6targetE1EEEvT1_
    .private_segment_fixed_size: 0
    .sgpr_count:     4
    .sgpr_spill_count: 0
    .symbol:         _ZN7rocprim17ROCPRIM_400000_NS6detail17trampoline_kernelINS0_14default_configENS1_20scan_config_selectorIxEEZZNS1_9scan_implILNS1_25lookback_scan_determinismE0ELb0ELb0ES3_N6thrust23THRUST_200600_302600_NS6detail15normal_iteratorINS9_10device_ptrIxEEEESE_x11max_functorIxExEEDaPvRmT3_T4_T5_mT6_P12ihipStream_tbENKUlT_T0_E_clISt17integral_constantIbLb0EESU_EEDaSP_SQ_EUlSP_E_NS1_11comp_targetILNS1_3genE2ELNS1_11target_archE906ELNS1_3gpuE6ELNS1_3repE0EEENS1_30default_config_static_selectorELNS0_4arch9wavefront6targetE1EEEvT1_.kd
    .uniform_work_group_size: 1
    .uses_dynamic_stack: false
    .vgpr_count:     0
    .vgpr_spill_count: 0
    .wavefront_size: 64
  - .agpr_count:     0
    .args:
      - .offset:         0
        .size:           104
        .value_kind:     by_value
    .group_segment_fixed_size: 0
    .kernarg_segment_align: 8
    .kernarg_segment_size: 104
    .language:       OpenCL C
    .language_version:
      - 2
      - 0
    .max_flat_workgroup_size: 256
    .name:           _ZN7rocprim17ROCPRIM_400000_NS6detail17trampoline_kernelINS0_14default_configENS1_20scan_config_selectorIxEEZZNS1_9scan_implILNS1_25lookback_scan_determinismE0ELb0ELb0ES3_N6thrust23THRUST_200600_302600_NS6detail15normal_iteratorINS9_10device_ptrIxEEEESE_x11max_functorIxExEEDaPvRmT3_T4_T5_mT6_P12ihipStream_tbENKUlT_T0_E_clISt17integral_constantIbLb0EESU_EEDaSP_SQ_EUlSP_E_NS1_11comp_targetILNS1_3genE10ELNS1_11target_archE1201ELNS1_3gpuE5ELNS1_3repE0EEENS1_30default_config_static_selectorELNS0_4arch9wavefront6targetE1EEEvT1_
    .private_segment_fixed_size: 0
    .sgpr_count:     4
    .sgpr_spill_count: 0
    .symbol:         _ZN7rocprim17ROCPRIM_400000_NS6detail17trampoline_kernelINS0_14default_configENS1_20scan_config_selectorIxEEZZNS1_9scan_implILNS1_25lookback_scan_determinismE0ELb0ELb0ES3_N6thrust23THRUST_200600_302600_NS6detail15normal_iteratorINS9_10device_ptrIxEEEESE_x11max_functorIxExEEDaPvRmT3_T4_T5_mT6_P12ihipStream_tbENKUlT_T0_E_clISt17integral_constantIbLb0EESU_EEDaSP_SQ_EUlSP_E_NS1_11comp_targetILNS1_3genE10ELNS1_11target_archE1201ELNS1_3gpuE5ELNS1_3repE0EEENS1_30default_config_static_selectorELNS0_4arch9wavefront6targetE1EEEvT1_.kd
    .uniform_work_group_size: 1
    .uses_dynamic_stack: false
    .vgpr_count:     0
    .vgpr_spill_count: 0
    .wavefront_size: 64
  - .agpr_count:     0
    .args:
      - .offset:         0
        .size:           104
        .value_kind:     by_value
    .group_segment_fixed_size: 0
    .kernarg_segment_align: 8
    .kernarg_segment_size: 104
    .language:       OpenCL C
    .language_version:
      - 2
      - 0
    .max_flat_workgroup_size: 256
    .name:           _ZN7rocprim17ROCPRIM_400000_NS6detail17trampoline_kernelINS0_14default_configENS1_20scan_config_selectorIxEEZZNS1_9scan_implILNS1_25lookback_scan_determinismE0ELb0ELb0ES3_N6thrust23THRUST_200600_302600_NS6detail15normal_iteratorINS9_10device_ptrIxEEEESE_x11max_functorIxExEEDaPvRmT3_T4_T5_mT6_P12ihipStream_tbENKUlT_T0_E_clISt17integral_constantIbLb0EESU_EEDaSP_SQ_EUlSP_E_NS1_11comp_targetILNS1_3genE10ELNS1_11target_archE1200ELNS1_3gpuE4ELNS1_3repE0EEENS1_30default_config_static_selectorELNS0_4arch9wavefront6targetE1EEEvT1_
    .private_segment_fixed_size: 0
    .sgpr_count:     4
    .sgpr_spill_count: 0
    .symbol:         _ZN7rocprim17ROCPRIM_400000_NS6detail17trampoline_kernelINS0_14default_configENS1_20scan_config_selectorIxEEZZNS1_9scan_implILNS1_25lookback_scan_determinismE0ELb0ELb0ES3_N6thrust23THRUST_200600_302600_NS6detail15normal_iteratorINS9_10device_ptrIxEEEESE_x11max_functorIxExEEDaPvRmT3_T4_T5_mT6_P12ihipStream_tbENKUlT_T0_E_clISt17integral_constantIbLb0EESU_EEDaSP_SQ_EUlSP_E_NS1_11comp_targetILNS1_3genE10ELNS1_11target_archE1200ELNS1_3gpuE4ELNS1_3repE0EEENS1_30default_config_static_selectorELNS0_4arch9wavefront6targetE1EEEvT1_.kd
    .uniform_work_group_size: 1
    .uses_dynamic_stack: false
    .vgpr_count:     0
    .vgpr_spill_count: 0
    .wavefront_size: 64
  - .agpr_count:     0
    .args:
      - .offset:         0
        .size:           104
        .value_kind:     by_value
    .group_segment_fixed_size: 0
    .kernarg_segment_align: 8
    .kernarg_segment_size: 104
    .language:       OpenCL C
    .language_version:
      - 2
      - 0
    .max_flat_workgroup_size: 256
    .name:           _ZN7rocprim17ROCPRIM_400000_NS6detail17trampoline_kernelINS0_14default_configENS1_20scan_config_selectorIxEEZZNS1_9scan_implILNS1_25lookback_scan_determinismE0ELb0ELb0ES3_N6thrust23THRUST_200600_302600_NS6detail15normal_iteratorINS9_10device_ptrIxEEEESE_x11max_functorIxExEEDaPvRmT3_T4_T5_mT6_P12ihipStream_tbENKUlT_T0_E_clISt17integral_constantIbLb0EESU_EEDaSP_SQ_EUlSP_E_NS1_11comp_targetILNS1_3genE9ELNS1_11target_archE1100ELNS1_3gpuE3ELNS1_3repE0EEENS1_30default_config_static_selectorELNS0_4arch9wavefront6targetE1EEEvT1_
    .private_segment_fixed_size: 0
    .sgpr_count:     4
    .sgpr_spill_count: 0
    .symbol:         _ZN7rocprim17ROCPRIM_400000_NS6detail17trampoline_kernelINS0_14default_configENS1_20scan_config_selectorIxEEZZNS1_9scan_implILNS1_25lookback_scan_determinismE0ELb0ELb0ES3_N6thrust23THRUST_200600_302600_NS6detail15normal_iteratorINS9_10device_ptrIxEEEESE_x11max_functorIxExEEDaPvRmT3_T4_T5_mT6_P12ihipStream_tbENKUlT_T0_E_clISt17integral_constantIbLb0EESU_EEDaSP_SQ_EUlSP_E_NS1_11comp_targetILNS1_3genE9ELNS1_11target_archE1100ELNS1_3gpuE3ELNS1_3repE0EEENS1_30default_config_static_selectorELNS0_4arch9wavefront6targetE1EEEvT1_.kd
    .uniform_work_group_size: 1
    .uses_dynamic_stack: false
    .vgpr_count:     0
    .vgpr_spill_count: 0
    .wavefront_size: 64
  - .agpr_count:     0
    .args:
      - .offset:         0
        .size:           104
        .value_kind:     by_value
    .group_segment_fixed_size: 0
    .kernarg_segment_align: 8
    .kernarg_segment_size: 104
    .language:       OpenCL C
    .language_version:
      - 2
      - 0
    .max_flat_workgroup_size: 256
    .name:           _ZN7rocprim17ROCPRIM_400000_NS6detail17trampoline_kernelINS0_14default_configENS1_20scan_config_selectorIxEEZZNS1_9scan_implILNS1_25lookback_scan_determinismE0ELb0ELb0ES3_N6thrust23THRUST_200600_302600_NS6detail15normal_iteratorINS9_10device_ptrIxEEEESE_x11max_functorIxExEEDaPvRmT3_T4_T5_mT6_P12ihipStream_tbENKUlT_T0_E_clISt17integral_constantIbLb0EESU_EEDaSP_SQ_EUlSP_E_NS1_11comp_targetILNS1_3genE8ELNS1_11target_archE1030ELNS1_3gpuE2ELNS1_3repE0EEENS1_30default_config_static_selectorELNS0_4arch9wavefront6targetE1EEEvT1_
    .private_segment_fixed_size: 0
    .sgpr_count:     4
    .sgpr_spill_count: 0
    .symbol:         _ZN7rocprim17ROCPRIM_400000_NS6detail17trampoline_kernelINS0_14default_configENS1_20scan_config_selectorIxEEZZNS1_9scan_implILNS1_25lookback_scan_determinismE0ELb0ELb0ES3_N6thrust23THRUST_200600_302600_NS6detail15normal_iteratorINS9_10device_ptrIxEEEESE_x11max_functorIxExEEDaPvRmT3_T4_T5_mT6_P12ihipStream_tbENKUlT_T0_E_clISt17integral_constantIbLb0EESU_EEDaSP_SQ_EUlSP_E_NS1_11comp_targetILNS1_3genE8ELNS1_11target_archE1030ELNS1_3gpuE2ELNS1_3repE0EEENS1_30default_config_static_selectorELNS0_4arch9wavefront6targetE1EEEvT1_.kd
    .uniform_work_group_size: 1
    .uses_dynamic_stack: false
    .vgpr_count:     0
    .vgpr_spill_count: 0
    .wavefront_size: 64
  - .agpr_count:     0
    .args:
      - .offset:         0
        .size:           40
        .value_kind:     by_value
    .group_segment_fixed_size: 0
    .kernarg_segment_align: 8
    .kernarg_segment_size: 40
    .language:       OpenCL C
    .language_version:
      - 2
      - 0
    .max_flat_workgroup_size: 256
    .name:           _ZN7rocprim17ROCPRIM_400000_NS6detail17trampoline_kernelINS0_14default_configENS1_20scan_config_selectorIxEEZZNS1_9scan_implILNS1_25lookback_scan_determinismE0ELb0ELb0ES3_N6thrust23THRUST_200600_302600_NS6detail15normal_iteratorINS9_10device_ptrIxEEEESE_x11max_functorIxExEEDaPvRmT3_T4_T5_mT6_P12ihipStream_tbENKUlT_T0_E_clISt17integral_constantIbLb0EESU_EEDaSP_SQ_EUlSP_E0_NS1_11comp_targetILNS1_3genE0ELNS1_11target_archE4294967295ELNS1_3gpuE0ELNS1_3repE0EEENS1_30default_config_static_selectorELNS0_4arch9wavefront6targetE1EEEvT1_
    .private_segment_fixed_size: 0
    .sgpr_count:     4
    .sgpr_spill_count: 0
    .symbol:         _ZN7rocprim17ROCPRIM_400000_NS6detail17trampoline_kernelINS0_14default_configENS1_20scan_config_selectorIxEEZZNS1_9scan_implILNS1_25lookback_scan_determinismE0ELb0ELb0ES3_N6thrust23THRUST_200600_302600_NS6detail15normal_iteratorINS9_10device_ptrIxEEEESE_x11max_functorIxExEEDaPvRmT3_T4_T5_mT6_P12ihipStream_tbENKUlT_T0_E_clISt17integral_constantIbLb0EESU_EEDaSP_SQ_EUlSP_E0_NS1_11comp_targetILNS1_3genE0ELNS1_11target_archE4294967295ELNS1_3gpuE0ELNS1_3repE0EEENS1_30default_config_static_selectorELNS0_4arch9wavefront6targetE1EEEvT1_.kd
    .uniform_work_group_size: 1
    .uses_dynamic_stack: false
    .vgpr_count:     0
    .vgpr_spill_count: 0
    .wavefront_size: 64
  - .agpr_count:     0
    .args:
      - .offset:         0
        .size:           40
        .value_kind:     by_value
    .group_segment_fixed_size: 0
    .kernarg_segment_align: 8
    .kernarg_segment_size: 40
    .language:       OpenCL C
    .language_version:
      - 2
      - 0
    .max_flat_workgroup_size: 256
    .name:           _ZN7rocprim17ROCPRIM_400000_NS6detail17trampoline_kernelINS0_14default_configENS1_20scan_config_selectorIxEEZZNS1_9scan_implILNS1_25lookback_scan_determinismE0ELb0ELb0ES3_N6thrust23THRUST_200600_302600_NS6detail15normal_iteratorINS9_10device_ptrIxEEEESE_x11max_functorIxExEEDaPvRmT3_T4_T5_mT6_P12ihipStream_tbENKUlT_T0_E_clISt17integral_constantIbLb0EESU_EEDaSP_SQ_EUlSP_E0_NS1_11comp_targetILNS1_3genE5ELNS1_11target_archE942ELNS1_3gpuE9ELNS1_3repE0EEENS1_30default_config_static_selectorELNS0_4arch9wavefront6targetE1EEEvT1_
    .private_segment_fixed_size: 0
    .sgpr_count:     4
    .sgpr_spill_count: 0
    .symbol:         _ZN7rocprim17ROCPRIM_400000_NS6detail17trampoline_kernelINS0_14default_configENS1_20scan_config_selectorIxEEZZNS1_9scan_implILNS1_25lookback_scan_determinismE0ELb0ELb0ES3_N6thrust23THRUST_200600_302600_NS6detail15normal_iteratorINS9_10device_ptrIxEEEESE_x11max_functorIxExEEDaPvRmT3_T4_T5_mT6_P12ihipStream_tbENKUlT_T0_E_clISt17integral_constantIbLb0EESU_EEDaSP_SQ_EUlSP_E0_NS1_11comp_targetILNS1_3genE5ELNS1_11target_archE942ELNS1_3gpuE9ELNS1_3repE0EEENS1_30default_config_static_selectorELNS0_4arch9wavefront6targetE1EEEvT1_.kd
    .uniform_work_group_size: 1
    .uses_dynamic_stack: false
    .vgpr_count:     0
    .vgpr_spill_count: 0
    .wavefront_size: 64
  - .agpr_count:     0
    .args:
      - .offset:         0
        .size:           40
        .value_kind:     by_value
    .group_segment_fixed_size: 7168
    .kernarg_segment_align: 8
    .kernarg_segment_size: 40
    .language:       OpenCL C
    .language_version:
      - 2
      - 0
    .max_flat_workgroup_size: 128
    .name:           _ZN7rocprim17ROCPRIM_400000_NS6detail17trampoline_kernelINS0_14default_configENS1_20scan_config_selectorIxEEZZNS1_9scan_implILNS1_25lookback_scan_determinismE0ELb0ELb0ES3_N6thrust23THRUST_200600_302600_NS6detail15normal_iteratorINS9_10device_ptrIxEEEESE_x11max_functorIxExEEDaPvRmT3_T4_T5_mT6_P12ihipStream_tbENKUlT_T0_E_clISt17integral_constantIbLb0EESU_EEDaSP_SQ_EUlSP_E0_NS1_11comp_targetILNS1_3genE4ELNS1_11target_archE910ELNS1_3gpuE8ELNS1_3repE0EEENS1_30default_config_static_selectorELNS0_4arch9wavefront6targetE1EEEvT1_
    .private_segment_fixed_size: 0
    .sgpr_count:     26
    .sgpr_spill_count: 0
    .symbol:         _ZN7rocprim17ROCPRIM_400000_NS6detail17trampoline_kernelINS0_14default_configENS1_20scan_config_selectorIxEEZZNS1_9scan_implILNS1_25lookback_scan_determinismE0ELb0ELb0ES3_N6thrust23THRUST_200600_302600_NS6detail15normal_iteratorINS9_10device_ptrIxEEEESE_x11max_functorIxExEEDaPvRmT3_T4_T5_mT6_P12ihipStream_tbENKUlT_T0_E_clISt17integral_constantIbLb0EESU_EEDaSP_SQ_EUlSP_E0_NS1_11comp_targetILNS1_3genE4ELNS1_11target_archE910ELNS1_3gpuE8ELNS1_3repE0EEENS1_30default_config_static_selectorELNS0_4arch9wavefront6targetE1EEEvT1_.kd
    .uniform_work_group_size: 1
    .uses_dynamic_stack: false
    .vgpr_count:     42
    .vgpr_spill_count: 0
    .wavefront_size: 64
  - .agpr_count:     0
    .args:
      - .offset:         0
        .size:           40
        .value_kind:     by_value
    .group_segment_fixed_size: 0
    .kernarg_segment_align: 8
    .kernarg_segment_size: 40
    .language:       OpenCL C
    .language_version:
      - 2
      - 0
    .max_flat_workgroup_size: 256
    .name:           _ZN7rocprim17ROCPRIM_400000_NS6detail17trampoline_kernelINS0_14default_configENS1_20scan_config_selectorIxEEZZNS1_9scan_implILNS1_25lookback_scan_determinismE0ELb0ELb0ES3_N6thrust23THRUST_200600_302600_NS6detail15normal_iteratorINS9_10device_ptrIxEEEESE_x11max_functorIxExEEDaPvRmT3_T4_T5_mT6_P12ihipStream_tbENKUlT_T0_E_clISt17integral_constantIbLb0EESU_EEDaSP_SQ_EUlSP_E0_NS1_11comp_targetILNS1_3genE3ELNS1_11target_archE908ELNS1_3gpuE7ELNS1_3repE0EEENS1_30default_config_static_selectorELNS0_4arch9wavefront6targetE1EEEvT1_
    .private_segment_fixed_size: 0
    .sgpr_count:     4
    .sgpr_spill_count: 0
    .symbol:         _ZN7rocprim17ROCPRIM_400000_NS6detail17trampoline_kernelINS0_14default_configENS1_20scan_config_selectorIxEEZZNS1_9scan_implILNS1_25lookback_scan_determinismE0ELb0ELb0ES3_N6thrust23THRUST_200600_302600_NS6detail15normal_iteratorINS9_10device_ptrIxEEEESE_x11max_functorIxExEEDaPvRmT3_T4_T5_mT6_P12ihipStream_tbENKUlT_T0_E_clISt17integral_constantIbLb0EESU_EEDaSP_SQ_EUlSP_E0_NS1_11comp_targetILNS1_3genE3ELNS1_11target_archE908ELNS1_3gpuE7ELNS1_3repE0EEENS1_30default_config_static_selectorELNS0_4arch9wavefront6targetE1EEEvT1_.kd
    .uniform_work_group_size: 1
    .uses_dynamic_stack: false
    .vgpr_count:     0
    .vgpr_spill_count: 0
    .wavefront_size: 64
  - .agpr_count:     0
    .args:
      - .offset:         0
        .size:           40
        .value_kind:     by_value
    .group_segment_fixed_size: 0
    .kernarg_segment_align: 8
    .kernarg_segment_size: 40
    .language:       OpenCL C
    .language_version:
      - 2
      - 0
    .max_flat_workgroup_size: 64
    .name:           _ZN7rocprim17ROCPRIM_400000_NS6detail17trampoline_kernelINS0_14default_configENS1_20scan_config_selectorIxEEZZNS1_9scan_implILNS1_25lookback_scan_determinismE0ELb0ELb0ES3_N6thrust23THRUST_200600_302600_NS6detail15normal_iteratorINS9_10device_ptrIxEEEESE_x11max_functorIxExEEDaPvRmT3_T4_T5_mT6_P12ihipStream_tbENKUlT_T0_E_clISt17integral_constantIbLb0EESU_EEDaSP_SQ_EUlSP_E0_NS1_11comp_targetILNS1_3genE2ELNS1_11target_archE906ELNS1_3gpuE6ELNS1_3repE0EEENS1_30default_config_static_selectorELNS0_4arch9wavefront6targetE1EEEvT1_
    .private_segment_fixed_size: 0
    .sgpr_count:     4
    .sgpr_spill_count: 0
    .symbol:         _ZN7rocprim17ROCPRIM_400000_NS6detail17trampoline_kernelINS0_14default_configENS1_20scan_config_selectorIxEEZZNS1_9scan_implILNS1_25lookback_scan_determinismE0ELb0ELb0ES3_N6thrust23THRUST_200600_302600_NS6detail15normal_iteratorINS9_10device_ptrIxEEEESE_x11max_functorIxExEEDaPvRmT3_T4_T5_mT6_P12ihipStream_tbENKUlT_T0_E_clISt17integral_constantIbLb0EESU_EEDaSP_SQ_EUlSP_E0_NS1_11comp_targetILNS1_3genE2ELNS1_11target_archE906ELNS1_3gpuE6ELNS1_3repE0EEENS1_30default_config_static_selectorELNS0_4arch9wavefront6targetE1EEEvT1_.kd
    .uniform_work_group_size: 1
    .uses_dynamic_stack: false
    .vgpr_count:     0
    .vgpr_spill_count: 0
    .wavefront_size: 64
  - .agpr_count:     0
    .args:
      - .offset:         0
        .size:           40
        .value_kind:     by_value
    .group_segment_fixed_size: 0
    .kernarg_segment_align: 8
    .kernarg_segment_size: 40
    .language:       OpenCL C
    .language_version:
      - 2
      - 0
    .max_flat_workgroup_size: 256
    .name:           _ZN7rocprim17ROCPRIM_400000_NS6detail17trampoline_kernelINS0_14default_configENS1_20scan_config_selectorIxEEZZNS1_9scan_implILNS1_25lookback_scan_determinismE0ELb0ELb0ES3_N6thrust23THRUST_200600_302600_NS6detail15normal_iteratorINS9_10device_ptrIxEEEESE_x11max_functorIxExEEDaPvRmT3_T4_T5_mT6_P12ihipStream_tbENKUlT_T0_E_clISt17integral_constantIbLb0EESU_EEDaSP_SQ_EUlSP_E0_NS1_11comp_targetILNS1_3genE10ELNS1_11target_archE1201ELNS1_3gpuE5ELNS1_3repE0EEENS1_30default_config_static_selectorELNS0_4arch9wavefront6targetE1EEEvT1_
    .private_segment_fixed_size: 0
    .sgpr_count:     4
    .sgpr_spill_count: 0
    .symbol:         _ZN7rocprim17ROCPRIM_400000_NS6detail17trampoline_kernelINS0_14default_configENS1_20scan_config_selectorIxEEZZNS1_9scan_implILNS1_25lookback_scan_determinismE0ELb0ELb0ES3_N6thrust23THRUST_200600_302600_NS6detail15normal_iteratorINS9_10device_ptrIxEEEESE_x11max_functorIxExEEDaPvRmT3_T4_T5_mT6_P12ihipStream_tbENKUlT_T0_E_clISt17integral_constantIbLb0EESU_EEDaSP_SQ_EUlSP_E0_NS1_11comp_targetILNS1_3genE10ELNS1_11target_archE1201ELNS1_3gpuE5ELNS1_3repE0EEENS1_30default_config_static_selectorELNS0_4arch9wavefront6targetE1EEEvT1_.kd
    .uniform_work_group_size: 1
    .uses_dynamic_stack: false
    .vgpr_count:     0
    .vgpr_spill_count: 0
    .wavefront_size: 64
  - .agpr_count:     0
    .args:
      - .offset:         0
        .size:           40
        .value_kind:     by_value
    .group_segment_fixed_size: 0
    .kernarg_segment_align: 8
    .kernarg_segment_size: 40
    .language:       OpenCL C
    .language_version:
      - 2
      - 0
    .max_flat_workgroup_size: 256
    .name:           _ZN7rocprim17ROCPRIM_400000_NS6detail17trampoline_kernelINS0_14default_configENS1_20scan_config_selectorIxEEZZNS1_9scan_implILNS1_25lookback_scan_determinismE0ELb0ELb0ES3_N6thrust23THRUST_200600_302600_NS6detail15normal_iteratorINS9_10device_ptrIxEEEESE_x11max_functorIxExEEDaPvRmT3_T4_T5_mT6_P12ihipStream_tbENKUlT_T0_E_clISt17integral_constantIbLb0EESU_EEDaSP_SQ_EUlSP_E0_NS1_11comp_targetILNS1_3genE10ELNS1_11target_archE1200ELNS1_3gpuE4ELNS1_3repE0EEENS1_30default_config_static_selectorELNS0_4arch9wavefront6targetE1EEEvT1_
    .private_segment_fixed_size: 0
    .sgpr_count:     4
    .sgpr_spill_count: 0
    .symbol:         _ZN7rocprim17ROCPRIM_400000_NS6detail17trampoline_kernelINS0_14default_configENS1_20scan_config_selectorIxEEZZNS1_9scan_implILNS1_25lookback_scan_determinismE0ELb0ELb0ES3_N6thrust23THRUST_200600_302600_NS6detail15normal_iteratorINS9_10device_ptrIxEEEESE_x11max_functorIxExEEDaPvRmT3_T4_T5_mT6_P12ihipStream_tbENKUlT_T0_E_clISt17integral_constantIbLb0EESU_EEDaSP_SQ_EUlSP_E0_NS1_11comp_targetILNS1_3genE10ELNS1_11target_archE1200ELNS1_3gpuE4ELNS1_3repE0EEENS1_30default_config_static_selectorELNS0_4arch9wavefront6targetE1EEEvT1_.kd
    .uniform_work_group_size: 1
    .uses_dynamic_stack: false
    .vgpr_count:     0
    .vgpr_spill_count: 0
    .wavefront_size: 64
  - .agpr_count:     0
    .args:
      - .offset:         0
        .size:           40
        .value_kind:     by_value
    .group_segment_fixed_size: 0
    .kernarg_segment_align: 8
    .kernarg_segment_size: 40
    .language:       OpenCL C
    .language_version:
      - 2
      - 0
    .max_flat_workgroup_size: 256
    .name:           _ZN7rocprim17ROCPRIM_400000_NS6detail17trampoline_kernelINS0_14default_configENS1_20scan_config_selectorIxEEZZNS1_9scan_implILNS1_25lookback_scan_determinismE0ELb0ELb0ES3_N6thrust23THRUST_200600_302600_NS6detail15normal_iteratorINS9_10device_ptrIxEEEESE_x11max_functorIxExEEDaPvRmT3_T4_T5_mT6_P12ihipStream_tbENKUlT_T0_E_clISt17integral_constantIbLb0EESU_EEDaSP_SQ_EUlSP_E0_NS1_11comp_targetILNS1_3genE9ELNS1_11target_archE1100ELNS1_3gpuE3ELNS1_3repE0EEENS1_30default_config_static_selectorELNS0_4arch9wavefront6targetE1EEEvT1_
    .private_segment_fixed_size: 0
    .sgpr_count:     4
    .sgpr_spill_count: 0
    .symbol:         _ZN7rocprim17ROCPRIM_400000_NS6detail17trampoline_kernelINS0_14default_configENS1_20scan_config_selectorIxEEZZNS1_9scan_implILNS1_25lookback_scan_determinismE0ELb0ELb0ES3_N6thrust23THRUST_200600_302600_NS6detail15normal_iteratorINS9_10device_ptrIxEEEESE_x11max_functorIxExEEDaPvRmT3_T4_T5_mT6_P12ihipStream_tbENKUlT_T0_E_clISt17integral_constantIbLb0EESU_EEDaSP_SQ_EUlSP_E0_NS1_11comp_targetILNS1_3genE9ELNS1_11target_archE1100ELNS1_3gpuE3ELNS1_3repE0EEENS1_30default_config_static_selectorELNS0_4arch9wavefront6targetE1EEEvT1_.kd
    .uniform_work_group_size: 1
    .uses_dynamic_stack: false
    .vgpr_count:     0
    .vgpr_spill_count: 0
    .wavefront_size: 64
  - .agpr_count:     0
    .args:
      - .offset:         0
        .size:           40
        .value_kind:     by_value
    .group_segment_fixed_size: 0
    .kernarg_segment_align: 8
    .kernarg_segment_size: 40
    .language:       OpenCL C
    .language_version:
      - 2
      - 0
    .max_flat_workgroup_size: 256
    .name:           _ZN7rocprim17ROCPRIM_400000_NS6detail17trampoline_kernelINS0_14default_configENS1_20scan_config_selectorIxEEZZNS1_9scan_implILNS1_25lookback_scan_determinismE0ELb0ELb0ES3_N6thrust23THRUST_200600_302600_NS6detail15normal_iteratorINS9_10device_ptrIxEEEESE_x11max_functorIxExEEDaPvRmT3_T4_T5_mT6_P12ihipStream_tbENKUlT_T0_E_clISt17integral_constantIbLb0EESU_EEDaSP_SQ_EUlSP_E0_NS1_11comp_targetILNS1_3genE8ELNS1_11target_archE1030ELNS1_3gpuE2ELNS1_3repE0EEENS1_30default_config_static_selectorELNS0_4arch9wavefront6targetE1EEEvT1_
    .private_segment_fixed_size: 0
    .sgpr_count:     4
    .sgpr_spill_count: 0
    .symbol:         _ZN7rocprim17ROCPRIM_400000_NS6detail17trampoline_kernelINS0_14default_configENS1_20scan_config_selectorIxEEZZNS1_9scan_implILNS1_25lookback_scan_determinismE0ELb0ELb0ES3_N6thrust23THRUST_200600_302600_NS6detail15normal_iteratorINS9_10device_ptrIxEEEESE_x11max_functorIxExEEDaPvRmT3_T4_T5_mT6_P12ihipStream_tbENKUlT_T0_E_clISt17integral_constantIbLb0EESU_EEDaSP_SQ_EUlSP_E0_NS1_11comp_targetILNS1_3genE8ELNS1_11target_archE1030ELNS1_3gpuE2ELNS1_3repE0EEENS1_30default_config_static_selectorELNS0_4arch9wavefront6targetE1EEEvT1_.kd
    .uniform_work_group_size: 1
    .uses_dynamic_stack: false
    .vgpr_count:     0
    .vgpr_spill_count: 0
    .wavefront_size: 64
  - .agpr_count:     0
    .args:
      - .offset:         0
        .size:           104
        .value_kind:     by_value
    .group_segment_fixed_size: 0
    .kernarg_segment_align: 8
    .kernarg_segment_size: 104
    .language:       OpenCL C
    .language_version:
      - 2
      - 0
    .max_flat_workgroup_size: 256
    .name:           _ZN7rocprim17ROCPRIM_400000_NS6detail17trampoline_kernelINS0_14default_configENS1_20scan_config_selectorIxEEZZNS1_9scan_implILNS1_25lookback_scan_determinismE0ELb0ELb0ES3_N6thrust23THRUST_200600_302600_NS6detail15normal_iteratorINS9_10device_ptrIxEEEESE_x11max_functorIxExEEDaPvRmT3_T4_T5_mT6_P12ihipStream_tbENKUlT_T0_E_clISt17integral_constantIbLb1EESU_EEDaSP_SQ_EUlSP_E_NS1_11comp_targetILNS1_3genE0ELNS1_11target_archE4294967295ELNS1_3gpuE0ELNS1_3repE0EEENS1_30default_config_static_selectorELNS0_4arch9wavefront6targetE1EEEvT1_
    .private_segment_fixed_size: 0
    .sgpr_count:     4
    .sgpr_spill_count: 0
    .symbol:         _ZN7rocprim17ROCPRIM_400000_NS6detail17trampoline_kernelINS0_14default_configENS1_20scan_config_selectorIxEEZZNS1_9scan_implILNS1_25lookback_scan_determinismE0ELb0ELb0ES3_N6thrust23THRUST_200600_302600_NS6detail15normal_iteratorINS9_10device_ptrIxEEEESE_x11max_functorIxExEEDaPvRmT3_T4_T5_mT6_P12ihipStream_tbENKUlT_T0_E_clISt17integral_constantIbLb1EESU_EEDaSP_SQ_EUlSP_E_NS1_11comp_targetILNS1_3genE0ELNS1_11target_archE4294967295ELNS1_3gpuE0ELNS1_3repE0EEENS1_30default_config_static_selectorELNS0_4arch9wavefront6targetE1EEEvT1_.kd
    .uniform_work_group_size: 1
    .uses_dynamic_stack: false
    .vgpr_count:     0
    .vgpr_spill_count: 0
    .wavefront_size: 64
  - .agpr_count:     0
    .args:
      - .offset:         0
        .size:           104
        .value_kind:     by_value
    .group_segment_fixed_size: 0
    .kernarg_segment_align: 8
    .kernarg_segment_size: 104
    .language:       OpenCL C
    .language_version:
      - 2
      - 0
    .max_flat_workgroup_size: 256
    .name:           _ZN7rocprim17ROCPRIM_400000_NS6detail17trampoline_kernelINS0_14default_configENS1_20scan_config_selectorIxEEZZNS1_9scan_implILNS1_25lookback_scan_determinismE0ELb0ELb0ES3_N6thrust23THRUST_200600_302600_NS6detail15normal_iteratorINS9_10device_ptrIxEEEESE_x11max_functorIxExEEDaPvRmT3_T4_T5_mT6_P12ihipStream_tbENKUlT_T0_E_clISt17integral_constantIbLb1EESU_EEDaSP_SQ_EUlSP_E_NS1_11comp_targetILNS1_3genE5ELNS1_11target_archE942ELNS1_3gpuE9ELNS1_3repE0EEENS1_30default_config_static_selectorELNS0_4arch9wavefront6targetE1EEEvT1_
    .private_segment_fixed_size: 0
    .sgpr_count:     4
    .sgpr_spill_count: 0
    .symbol:         _ZN7rocprim17ROCPRIM_400000_NS6detail17trampoline_kernelINS0_14default_configENS1_20scan_config_selectorIxEEZZNS1_9scan_implILNS1_25lookback_scan_determinismE0ELb0ELb0ES3_N6thrust23THRUST_200600_302600_NS6detail15normal_iteratorINS9_10device_ptrIxEEEESE_x11max_functorIxExEEDaPvRmT3_T4_T5_mT6_P12ihipStream_tbENKUlT_T0_E_clISt17integral_constantIbLb1EESU_EEDaSP_SQ_EUlSP_E_NS1_11comp_targetILNS1_3genE5ELNS1_11target_archE942ELNS1_3gpuE9ELNS1_3repE0EEENS1_30default_config_static_selectorELNS0_4arch9wavefront6targetE1EEEvT1_.kd
    .uniform_work_group_size: 1
    .uses_dynamic_stack: false
    .vgpr_count:     0
    .vgpr_spill_count: 0
    .wavefront_size: 64
  - .agpr_count:     0
    .args:
      - .offset:         0
        .size:           104
        .value_kind:     by_value
    .group_segment_fixed_size: 7168
    .kernarg_segment_align: 8
    .kernarg_segment_size: 104
    .language:       OpenCL C
    .language_version:
      - 2
      - 0
    .max_flat_workgroup_size: 128
    .name:           _ZN7rocprim17ROCPRIM_400000_NS6detail17trampoline_kernelINS0_14default_configENS1_20scan_config_selectorIxEEZZNS1_9scan_implILNS1_25lookback_scan_determinismE0ELb0ELb0ES3_N6thrust23THRUST_200600_302600_NS6detail15normal_iteratorINS9_10device_ptrIxEEEESE_x11max_functorIxExEEDaPvRmT3_T4_T5_mT6_P12ihipStream_tbENKUlT_T0_E_clISt17integral_constantIbLb1EESU_EEDaSP_SQ_EUlSP_E_NS1_11comp_targetILNS1_3genE4ELNS1_11target_archE910ELNS1_3gpuE8ELNS1_3repE0EEENS1_30default_config_static_selectorELNS0_4arch9wavefront6targetE1EEEvT1_
    .private_segment_fixed_size: 0
    .sgpr_count:     42
    .sgpr_spill_count: 0
    .symbol:         _ZN7rocprim17ROCPRIM_400000_NS6detail17trampoline_kernelINS0_14default_configENS1_20scan_config_selectorIxEEZZNS1_9scan_implILNS1_25lookback_scan_determinismE0ELb0ELb0ES3_N6thrust23THRUST_200600_302600_NS6detail15normal_iteratorINS9_10device_ptrIxEEEESE_x11max_functorIxExEEDaPvRmT3_T4_T5_mT6_P12ihipStream_tbENKUlT_T0_E_clISt17integral_constantIbLb1EESU_EEDaSP_SQ_EUlSP_E_NS1_11comp_targetILNS1_3genE4ELNS1_11target_archE910ELNS1_3gpuE8ELNS1_3repE0EEENS1_30default_config_static_selectorELNS0_4arch9wavefront6targetE1EEEvT1_.kd
    .uniform_work_group_size: 1
    .uses_dynamic_stack: false
    .vgpr_count:     58
    .vgpr_spill_count: 0
    .wavefront_size: 64
  - .agpr_count:     0
    .args:
      - .offset:         0
        .size:           104
        .value_kind:     by_value
    .group_segment_fixed_size: 0
    .kernarg_segment_align: 8
    .kernarg_segment_size: 104
    .language:       OpenCL C
    .language_version:
      - 2
      - 0
    .max_flat_workgroup_size: 256
    .name:           _ZN7rocprim17ROCPRIM_400000_NS6detail17trampoline_kernelINS0_14default_configENS1_20scan_config_selectorIxEEZZNS1_9scan_implILNS1_25lookback_scan_determinismE0ELb0ELb0ES3_N6thrust23THRUST_200600_302600_NS6detail15normal_iteratorINS9_10device_ptrIxEEEESE_x11max_functorIxExEEDaPvRmT3_T4_T5_mT6_P12ihipStream_tbENKUlT_T0_E_clISt17integral_constantIbLb1EESU_EEDaSP_SQ_EUlSP_E_NS1_11comp_targetILNS1_3genE3ELNS1_11target_archE908ELNS1_3gpuE7ELNS1_3repE0EEENS1_30default_config_static_selectorELNS0_4arch9wavefront6targetE1EEEvT1_
    .private_segment_fixed_size: 0
    .sgpr_count:     4
    .sgpr_spill_count: 0
    .symbol:         _ZN7rocprim17ROCPRIM_400000_NS6detail17trampoline_kernelINS0_14default_configENS1_20scan_config_selectorIxEEZZNS1_9scan_implILNS1_25lookback_scan_determinismE0ELb0ELb0ES3_N6thrust23THRUST_200600_302600_NS6detail15normal_iteratorINS9_10device_ptrIxEEEESE_x11max_functorIxExEEDaPvRmT3_T4_T5_mT6_P12ihipStream_tbENKUlT_T0_E_clISt17integral_constantIbLb1EESU_EEDaSP_SQ_EUlSP_E_NS1_11comp_targetILNS1_3genE3ELNS1_11target_archE908ELNS1_3gpuE7ELNS1_3repE0EEENS1_30default_config_static_selectorELNS0_4arch9wavefront6targetE1EEEvT1_.kd
    .uniform_work_group_size: 1
    .uses_dynamic_stack: false
    .vgpr_count:     0
    .vgpr_spill_count: 0
    .wavefront_size: 64
  - .agpr_count:     0
    .args:
      - .offset:         0
        .size:           104
        .value_kind:     by_value
    .group_segment_fixed_size: 0
    .kernarg_segment_align: 8
    .kernarg_segment_size: 104
    .language:       OpenCL C
    .language_version:
      - 2
      - 0
    .max_flat_workgroup_size: 64
    .name:           _ZN7rocprim17ROCPRIM_400000_NS6detail17trampoline_kernelINS0_14default_configENS1_20scan_config_selectorIxEEZZNS1_9scan_implILNS1_25lookback_scan_determinismE0ELb0ELb0ES3_N6thrust23THRUST_200600_302600_NS6detail15normal_iteratorINS9_10device_ptrIxEEEESE_x11max_functorIxExEEDaPvRmT3_T4_T5_mT6_P12ihipStream_tbENKUlT_T0_E_clISt17integral_constantIbLb1EESU_EEDaSP_SQ_EUlSP_E_NS1_11comp_targetILNS1_3genE2ELNS1_11target_archE906ELNS1_3gpuE6ELNS1_3repE0EEENS1_30default_config_static_selectorELNS0_4arch9wavefront6targetE1EEEvT1_
    .private_segment_fixed_size: 0
    .sgpr_count:     4
    .sgpr_spill_count: 0
    .symbol:         _ZN7rocprim17ROCPRIM_400000_NS6detail17trampoline_kernelINS0_14default_configENS1_20scan_config_selectorIxEEZZNS1_9scan_implILNS1_25lookback_scan_determinismE0ELb0ELb0ES3_N6thrust23THRUST_200600_302600_NS6detail15normal_iteratorINS9_10device_ptrIxEEEESE_x11max_functorIxExEEDaPvRmT3_T4_T5_mT6_P12ihipStream_tbENKUlT_T0_E_clISt17integral_constantIbLb1EESU_EEDaSP_SQ_EUlSP_E_NS1_11comp_targetILNS1_3genE2ELNS1_11target_archE906ELNS1_3gpuE6ELNS1_3repE0EEENS1_30default_config_static_selectorELNS0_4arch9wavefront6targetE1EEEvT1_.kd
    .uniform_work_group_size: 1
    .uses_dynamic_stack: false
    .vgpr_count:     0
    .vgpr_spill_count: 0
    .wavefront_size: 64
  - .agpr_count:     0
    .args:
      - .offset:         0
        .size:           104
        .value_kind:     by_value
    .group_segment_fixed_size: 0
    .kernarg_segment_align: 8
    .kernarg_segment_size: 104
    .language:       OpenCL C
    .language_version:
      - 2
      - 0
    .max_flat_workgroup_size: 256
    .name:           _ZN7rocprim17ROCPRIM_400000_NS6detail17trampoline_kernelINS0_14default_configENS1_20scan_config_selectorIxEEZZNS1_9scan_implILNS1_25lookback_scan_determinismE0ELb0ELb0ES3_N6thrust23THRUST_200600_302600_NS6detail15normal_iteratorINS9_10device_ptrIxEEEESE_x11max_functorIxExEEDaPvRmT3_T4_T5_mT6_P12ihipStream_tbENKUlT_T0_E_clISt17integral_constantIbLb1EESU_EEDaSP_SQ_EUlSP_E_NS1_11comp_targetILNS1_3genE10ELNS1_11target_archE1201ELNS1_3gpuE5ELNS1_3repE0EEENS1_30default_config_static_selectorELNS0_4arch9wavefront6targetE1EEEvT1_
    .private_segment_fixed_size: 0
    .sgpr_count:     4
    .sgpr_spill_count: 0
    .symbol:         _ZN7rocprim17ROCPRIM_400000_NS6detail17trampoline_kernelINS0_14default_configENS1_20scan_config_selectorIxEEZZNS1_9scan_implILNS1_25lookback_scan_determinismE0ELb0ELb0ES3_N6thrust23THRUST_200600_302600_NS6detail15normal_iteratorINS9_10device_ptrIxEEEESE_x11max_functorIxExEEDaPvRmT3_T4_T5_mT6_P12ihipStream_tbENKUlT_T0_E_clISt17integral_constantIbLb1EESU_EEDaSP_SQ_EUlSP_E_NS1_11comp_targetILNS1_3genE10ELNS1_11target_archE1201ELNS1_3gpuE5ELNS1_3repE0EEENS1_30default_config_static_selectorELNS0_4arch9wavefront6targetE1EEEvT1_.kd
    .uniform_work_group_size: 1
    .uses_dynamic_stack: false
    .vgpr_count:     0
    .vgpr_spill_count: 0
    .wavefront_size: 64
  - .agpr_count:     0
    .args:
      - .offset:         0
        .size:           104
        .value_kind:     by_value
    .group_segment_fixed_size: 0
    .kernarg_segment_align: 8
    .kernarg_segment_size: 104
    .language:       OpenCL C
    .language_version:
      - 2
      - 0
    .max_flat_workgroup_size: 256
    .name:           _ZN7rocprim17ROCPRIM_400000_NS6detail17trampoline_kernelINS0_14default_configENS1_20scan_config_selectorIxEEZZNS1_9scan_implILNS1_25lookback_scan_determinismE0ELb0ELb0ES3_N6thrust23THRUST_200600_302600_NS6detail15normal_iteratorINS9_10device_ptrIxEEEESE_x11max_functorIxExEEDaPvRmT3_T4_T5_mT6_P12ihipStream_tbENKUlT_T0_E_clISt17integral_constantIbLb1EESU_EEDaSP_SQ_EUlSP_E_NS1_11comp_targetILNS1_3genE10ELNS1_11target_archE1200ELNS1_3gpuE4ELNS1_3repE0EEENS1_30default_config_static_selectorELNS0_4arch9wavefront6targetE1EEEvT1_
    .private_segment_fixed_size: 0
    .sgpr_count:     4
    .sgpr_spill_count: 0
    .symbol:         _ZN7rocprim17ROCPRIM_400000_NS6detail17trampoline_kernelINS0_14default_configENS1_20scan_config_selectorIxEEZZNS1_9scan_implILNS1_25lookback_scan_determinismE0ELb0ELb0ES3_N6thrust23THRUST_200600_302600_NS6detail15normal_iteratorINS9_10device_ptrIxEEEESE_x11max_functorIxExEEDaPvRmT3_T4_T5_mT6_P12ihipStream_tbENKUlT_T0_E_clISt17integral_constantIbLb1EESU_EEDaSP_SQ_EUlSP_E_NS1_11comp_targetILNS1_3genE10ELNS1_11target_archE1200ELNS1_3gpuE4ELNS1_3repE0EEENS1_30default_config_static_selectorELNS0_4arch9wavefront6targetE1EEEvT1_.kd
    .uniform_work_group_size: 1
    .uses_dynamic_stack: false
    .vgpr_count:     0
    .vgpr_spill_count: 0
    .wavefront_size: 64
  - .agpr_count:     0
    .args:
      - .offset:         0
        .size:           104
        .value_kind:     by_value
    .group_segment_fixed_size: 0
    .kernarg_segment_align: 8
    .kernarg_segment_size: 104
    .language:       OpenCL C
    .language_version:
      - 2
      - 0
    .max_flat_workgroup_size: 256
    .name:           _ZN7rocprim17ROCPRIM_400000_NS6detail17trampoline_kernelINS0_14default_configENS1_20scan_config_selectorIxEEZZNS1_9scan_implILNS1_25lookback_scan_determinismE0ELb0ELb0ES3_N6thrust23THRUST_200600_302600_NS6detail15normal_iteratorINS9_10device_ptrIxEEEESE_x11max_functorIxExEEDaPvRmT3_T4_T5_mT6_P12ihipStream_tbENKUlT_T0_E_clISt17integral_constantIbLb1EESU_EEDaSP_SQ_EUlSP_E_NS1_11comp_targetILNS1_3genE9ELNS1_11target_archE1100ELNS1_3gpuE3ELNS1_3repE0EEENS1_30default_config_static_selectorELNS0_4arch9wavefront6targetE1EEEvT1_
    .private_segment_fixed_size: 0
    .sgpr_count:     4
    .sgpr_spill_count: 0
    .symbol:         _ZN7rocprim17ROCPRIM_400000_NS6detail17trampoline_kernelINS0_14default_configENS1_20scan_config_selectorIxEEZZNS1_9scan_implILNS1_25lookback_scan_determinismE0ELb0ELb0ES3_N6thrust23THRUST_200600_302600_NS6detail15normal_iteratorINS9_10device_ptrIxEEEESE_x11max_functorIxExEEDaPvRmT3_T4_T5_mT6_P12ihipStream_tbENKUlT_T0_E_clISt17integral_constantIbLb1EESU_EEDaSP_SQ_EUlSP_E_NS1_11comp_targetILNS1_3genE9ELNS1_11target_archE1100ELNS1_3gpuE3ELNS1_3repE0EEENS1_30default_config_static_selectorELNS0_4arch9wavefront6targetE1EEEvT1_.kd
    .uniform_work_group_size: 1
    .uses_dynamic_stack: false
    .vgpr_count:     0
    .vgpr_spill_count: 0
    .wavefront_size: 64
  - .agpr_count:     0
    .args:
      - .offset:         0
        .size:           104
        .value_kind:     by_value
    .group_segment_fixed_size: 0
    .kernarg_segment_align: 8
    .kernarg_segment_size: 104
    .language:       OpenCL C
    .language_version:
      - 2
      - 0
    .max_flat_workgroup_size: 256
    .name:           _ZN7rocprim17ROCPRIM_400000_NS6detail17trampoline_kernelINS0_14default_configENS1_20scan_config_selectorIxEEZZNS1_9scan_implILNS1_25lookback_scan_determinismE0ELb0ELb0ES3_N6thrust23THRUST_200600_302600_NS6detail15normal_iteratorINS9_10device_ptrIxEEEESE_x11max_functorIxExEEDaPvRmT3_T4_T5_mT6_P12ihipStream_tbENKUlT_T0_E_clISt17integral_constantIbLb1EESU_EEDaSP_SQ_EUlSP_E_NS1_11comp_targetILNS1_3genE8ELNS1_11target_archE1030ELNS1_3gpuE2ELNS1_3repE0EEENS1_30default_config_static_selectorELNS0_4arch9wavefront6targetE1EEEvT1_
    .private_segment_fixed_size: 0
    .sgpr_count:     4
    .sgpr_spill_count: 0
    .symbol:         _ZN7rocprim17ROCPRIM_400000_NS6detail17trampoline_kernelINS0_14default_configENS1_20scan_config_selectorIxEEZZNS1_9scan_implILNS1_25lookback_scan_determinismE0ELb0ELb0ES3_N6thrust23THRUST_200600_302600_NS6detail15normal_iteratorINS9_10device_ptrIxEEEESE_x11max_functorIxExEEDaPvRmT3_T4_T5_mT6_P12ihipStream_tbENKUlT_T0_E_clISt17integral_constantIbLb1EESU_EEDaSP_SQ_EUlSP_E_NS1_11comp_targetILNS1_3genE8ELNS1_11target_archE1030ELNS1_3gpuE2ELNS1_3repE0EEENS1_30default_config_static_selectorELNS0_4arch9wavefront6targetE1EEEvT1_.kd
    .uniform_work_group_size: 1
    .uses_dynamic_stack: false
    .vgpr_count:     0
    .vgpr_spill_count: 0
    .wavefront_size: 64
  - .agpr_count:     0
    .args:
      - .offset:         0
        .size:           40
        .value_kind:     by_value
    .group_segment_fixed_size: 0
    .kernarg_segment_align: 8
    .kernarg_segment_size: 40
    .language:       OpenCL C
    .language_version:
      - 2
      - 0
    .max_flat_workgroup_size: 256
    .name:           _ZN7rocprim17ROCPRIM_400000_NS6detail17trampoline_kernelINS0_14default_configENS1_20scan_config_selectorIxEEZZNS1_9scan_implILNS1_25lookback_scan_determinismE0ELb0ELb0ES3_N6thrust23THRUST_200600_302600_NS6detail15normal_iteratorINS9_10device_ptrIxEEEESE_x11max_functorIxExEEDaPvRmT3_T4_T5_mT6_P12ihipStream_tbENKUlT_T0_E_clISt17integral_constantIbLb1EESU_EEDaSP_SQ_EUlSP_E0_NS1_11comp_targetILNS1_3genE0ELNS1_11target_archE4294967295ELNS1_3gpuE0ELNS1_3repE0EEENS1_30default_config_static_selectorELNS0_4arch9wavefront6targetE1EEEvT1_
    .private_segment_fixed_size: 0
    .sgpr_count:     4
    .sgpr_spill_count: 0
    .symbol:         _ZN7rocprim17ROCPRIM_400000_NS6detail17trampoline_kernelINS0_14default_configENS1_20scan_config_selectorIxEEZZNS1_9scan_implILNS1_25lookback_scan_determinismE0ELb0ELb0ES3_N6thrust23THRUST_200600_302600_NS6detail15normal_iteratorINS9_10device_ptrIxEEEESE_x11max_functorIxExEEDaPvRmT3_T4_T5_mT6_P12ihipStream_tbENKUlT_T0_E_clISt17integral_constantIbLb1EESU_EEDaSP_SQ_EUlSP_E0_NS1_11comp_targetILNS1_3genE0ELNS1_11target_archE4294967295ELNS1_3gpuE0ELNS1_3repE0EEENS1_30default_config_static_selectorELNS0_4arch9wavefront6targetE1EEEvT1_.kd
    .uniform_work_group_size: 1
    .uses_dynamic_stack: false
    .vgpr_count:     0
    .vgpr_spill_count: 0
    .wavefront_size: 64
  - .agpr_count:     0
    .args:
      - .offset:         0
        .size:           40
        .value_kind:     by_value
    .group_segment_fixed_size: 0
    .kernarg_segment_align: 8
    .kernarg_segment_size: 40
    .language:       OpenCL C
    .language_version:
      - 2
      - 0
    .max_flat_workgroup_size: 256
    .name:           _ZN7rocprim17ROCPRIM_400000_NS6detail17trampoline_kernelINS0_14default_configENS1_20scan_config_selectorIxEEZZNS1_9scan_implILNS1_25lookback_scan_determinismE0ELb0ELb0ES3_N6thrust23THRUST_200600_302600_NS6detail15normal_iteratorINS9_10device_ptrIxEEEESE_x11max_functorIxExEEDaPvRmT3_T4_T5_mT6_P12ihipStream_tbENKUlT_T0_E_clISt17integral_constantIbLb1EESU_EEDaSP_SQ_EUlSP_E0_NS1_11comp_targetILNS1_3genE5ELNS1_11target_archE942ELNS1_3gpuE9ELNS1_3repE0EEENS1_30default_config_static_selectorELNS0_4arch9wavefront6targetE1EEEvT1_
    .private_segment_fixed_size: 0
    .sgpr_count:     4
    .sgpr_spill_count: 0
    .symbol:         _ZN7rocprim17ROCPRIM_400000_NS6detail17trampoline_kernelINS0_14default_configENS1_20scan_config_selectorIxEEZZNS1_9scan_implILNS1_25lookback_scan_determinismE0ELb0ELb0ES3_N6thrust23THRUST_200600_302600_NS6detail15normal_iteratorINS9_10device_ptrIxEEEESE_x11max_functorIxExEEDaPvRmT3_T4_T5_mT6_P12ihipStream_tbENKUlT_T0_E_clISt17integral_constantIbLb1EESU_EEDaSP_SQ_EUlSP_E0_NS1_11comp_targetILNS1_3genE5ELNS1_11target_archE942ELNS1_3gpuE9ELNS1_3repE0EEENS1_30default_config_static_selectorELNS0_4arch9wavefront6targetE1EEEvT1_.kd
    .uniform_work_group_size: 1
    .uses_dynamic_stack: false
    .vgpr_count:     0
    .vgpr_spill_count: 0
    .wavefront_size: 64
  - .agpr_count:     0
    .args:
      - .offset:         0
        .size:           40
        .value_kind:     by_value
    .group_segment_fixed_size: 7168
    .kernarg_segment_align: 8
    .kernarg_segment_size: 40
    .language:       OpenCL C
    .language_version:
      - 2
      - 0
    .max_flat_workgroup_size: 128
    .name:           _ZN7rocprim17ROCPRIM_400000_NS6detail17trampoline_kernelINS0_14default_configENS1_20scan_config_selectorIxEEZZNS1_9scan_implILNS1_25lookback_scan_determinismE0ELb0ELb0ES3_N6thrust23THRUST_200600_302600_NS6detail15normal_iteratorINS9_10device_ptrIxEEEESE_x11max_functorIxExEEDaPvRmT3_T4_T5_mT6_P12ihipStream_tbENKUlT_T0_E_clISt17integral_constantIbLb1EESU_EEDaSP_SQ_EUlSP_E0_NS1_11comp_targetILNS1_3genE4ELNS1_11target_archE910ELNS1_3gpuE8ELNS1_3repE0EEENS1_30default_config_static_selectorELNS0_4arch9wavefront6targetE1EEEvT1_
    .private_segment_fixed_size: 0
    .sgpr_count:     26
    .sgpr_spill_count: 0
    .symbol:         _ZN7rocprim17ROCPRIM_400000_NS6detail17trampoline_kernelINS0_14default_configENS1_20scan_config_selectorIxEEZZNS1_9scan_implILNS1_25lookback_scan_determinismE0ELb0ELb0ES3_N6thrust23THRUST_200600_302600_NS6detail15normal_iteratorINS9_10device_ptrIxEEEESE_x11max_functorIxExEEDaPvRmT3_T4_T5_mT6_P12ihipStream_tbENKUlT_T0_E_clISt17integral_constantIbLb1EESU_EEDaSP_SQ_EUlSP_E0_NS1_11comp_targetILNS1_3genE4ELNS1_11target_archE910ELNS1_3gpuE8ELNS1_3repE0EEENS1_30default_config_static_selectorELNS0_4arch9wavefront6targetE1EEEvT1_.kd
    .uniform_work_group_size: 1
    .uses_dynamic_stack: false
    .vgpr_count:     42
    .vgpr_spill_count: 0
    .wavefront_size: 64
  - .agpr_count:     0
    .args:
      - .offset:         0
        .size:           40
        .value_kind:     by_value
    .group_segment_fixed_size: 0
    .kernarg_segment_align: 8
    .kernarg_segment_size: 40
    .language:       OpenCL C
    .language_version:
      - 2
      - 0
    .max_flat_workgroup_size: 256
    .name:           _ZN7rocprim17ROCPRIM_400000_NS6detail17trampoline_kernelINS0_14default_configENS1_20scan_config_selectorIxEEZZNS1_9scan_implILNS1_25lookback_scan_determinismE0ELb0ELb0ES3_N6thrust23THRUST_200600_302600_NS6detail15normal_iteratorINS9_10device_ptrIxEEEESE_x11max_functorIxExEEDaPvRmT3_T4_T5_mT6_P12ihipStream_tbENKUlT_T0_E_clISt17integral_constantIbLb1EESU_EEDaSP_SQ_EUlSP_E0_NS1_11comp_targetILNS1_3genE3ELNS1_11target_archE908ELNS1_3gpuE7ELNS1_3repE0EEENS1_30default_config_static_selectorELNS0_4arch9wavefront6targetE1EEEvT1_
    .private_segment_fixed_size: 0
    .sgpr_count:     4
    .sgpr_spill_count: 0
    .symbol:         _ZN7rocprim17ROCPRIM_400000_NS6detail17trampoline_kernelINS0_14default_configENS1_20scan_config_selectorIxEEZZNS1_9scan_implILNS1_25lookback_scan_determinismE0ELb0ELb0ES3_N6thrust23THRUST_200600_302600_NS6detail15normal_iteratorINS9_10device_ptrIxEEEESE_x11max_functorIxExEEDaPvRmT3_T4_T5_mT6_P12ihipStream_tbENKUlT_T0_E_clISt17integral_constantIbLb1EESU_EEDaSP_SQ_EUlSP_E0_NS1_11comp_targetILNS1_3genE3ELNS1_11target_archE908ELNS1_3gpuE7ELNS1_3repE0EEENS1_30default_config_static_selectorELNS0_4arch9wavefront6targetE1EEEvT1_.kd
    .uniform_work_group_size: 1
    .uses_dynamic_stack: false
    .vgpr_count:     0
    .vgpr_spill_count: 0
    .wavefront_size: 64
  - .agpr_count:     0
    .args:
      - .offset:         0
        .size:           40
        .value_kind:     by_value
    .group_segment_fixed_size: 0
    .kernarg_segment_align: 8
    .kernarg_segment_size: 40
    .language:       OpenCL C
    .language_version:
      - 2
      - 0
    .max_flat_workgroup_size: 64
    .name:           _ZN7rocprim17ROCPRIM_400000_NS6detail17trampoline_kernelINS0_14default_configENS1_20scan_config_selectorIxEEZZNS1_9scan_implILNS1_25lookback_scan_determinismE0ELb0ELb0ES3_N6thrust23THRUST_200600_302600_NS6detail15normal_iteratorINS9_10device_ptrIxEEEESE_x11max_functorIxExEEDaPvRmT3_T4_T5_mT6_P12ihipStream_tbENKUlT_T0_E_clISt17integral_constantIbLb1EESU_EEDaSP_SQ_EUlSP_E0_NS1_11comp_targetILNS1_3genE2ELNS1_11target_archE906ELNS1_3gpuE6ELNS1_3repE0EEENS1_30default_config_static_selectorELNS0_4arch9wavefront6targetE1EEEvT1_
    .private_segment_fixed_size: 0
    .sgpr_count:     4
    .sgpr_spill_count: 0
    .symbol:         _ZN7rocprim17ROCPRIM_400000_NS6detail17trampoline_kernelINS0_14default_configENS1_20scan_config_selectorIxEEZZNS1_9scan_implILNS1_25lookback_scan_determinismE0ELb0ELb0ES3_N6thrust23THRUST_200600_302600_NS6detail15normal_iteratorINS9_10device_ptrIxEEEESE_x11max_functorIxExEEDaPvRmT3_T4_T5_mT6_P12ihipStream_tbENKUlT_T0_E_clISt17integral_constantIbLb1EESU_EEDaSP_SQ_EUlSP_E0_NS1_11comp_targetILNS1_3genE2ELNS1_11target_archE906ELNS1_3gpuE6ELNS1_3repE0EEENS1_30default_config_static_selectorELNS0_4arch9wavefront6targetE1EEEvT1_.kd
    .uniform_work_group_size: 1
    .uses_dynamic_stack: false
    .vgpr_count:     0
    .vgpr_spill_count: 0
    .wavefront_size: 64
  - .agpr_count:     0
    .args:
      - .offset:         0
        .size:           40
        .value_kind:     by_value
    .group_segment_fixed_size: 0
    .kernarg_segment_align: 8
    .kernarg_segment_size: 40
    .language:       OpenCL C
    .language_version:
      - 2
      - 0
    .max_flat_workgroup_size: 256
    .name:           _ZN7rocprim17ROCPRIM_400000_NS6detail17trampoline_kernelINS0_14default_configENS1_20scan_config_selectorIxEEZZNS1_9scan_implILNS1_25lookback_scan_determinismE0ELb0ELb0ES3_N6thrust23THRUST_200600_302600_NS6detail15normal_iteratorINS9_10device_ptrIxEEEESE_x11max_functorIxExEEDaPvRmT3_T4_T5_mT6_P12ihipStream_tbENKUlT_T0_E_clISt17integral_constantIbLb1EESU_EEDaSP_SQ_EUlSP_E0_NS1_11comp_targetILNS1_3genE10ELNS1_11target_archE1201ELNS1_3gpuE5ELNS1_3repE0EEENS1_30default_config_static_selectorELNS0_4arch9wavefront6targetE1EEEvT1_
    .private_segment_fixed_size: 0
    .sgpr_count:     4
    .sgpr_spill_count: 0
    .symbol:         _ZN7rocprim17ROCPRIM_400000_NS6detail17trampoline_kernelINS0_14default_configENS1_20scan_config_selectorIxEEZZNS1_9scan_implILNS1_25lookback_scan_determinismE0ELb0ELb0ES3_N6thrust23THRUST_200600_302600_NS6detail15normal_iteratorINS9_10device_ptrIxEEEESE_x11max_functorIxExEEDaPvRmT3_T4_T5_mT6_P12ihipStream_tbENKUlT_T0_E_clISt17integral_constantIbLb1EESU_EEDaSP_SQ_EUlSP_E0_NS1_11comp_targetILNS1_3genE10ELNS1_11target_archE1201ELNS1_3gpuE5ELNS1_3repE0EEENS1_30default_config_static_selectorELNS0_4arch9wavefront6targetE1EEEvT1_.kd
    .uniform_work_group_size: 1
    .uses_dynamic_stack: false
    .vgpr_count:     0
    .vgpr_spill_count: 0
    .wavefront_size: 64
  - .agpr_count:     0
    .args:
      - .offset:         0
        .size:           40
        .value_kind:     by_value
    .group_segment_fixed_size: 0
    .kernarg_segment_align: 8
    .kernarg_segment_size: 40
    .language:       OpenCL C
    .language_version:
      - 2
      - 0
    .max_flat_workgroup_size: 256
    .name:           _ZN7rocprim17ROCPRIM_400000_NS6detail17trampoline_kernelINS0_14default_configENS1_20scan_config_selectorIxEEZZNS1_9scan_implILNS1_25lookback_scan_determinismE0ELb0ELb0ES3_N6thrust23THRUST_200600_302600_NS6detail15normal_iteratorINS9_10device_ptrIxEEEESE_x11max_functorIxExEEDaPvRmT3_T4_T5_mT6_P12ihipStream_tbENKUlT_T0_E_clISt17integral_constantIbLb1EESU_EEDaSP_SQ_EUlSP_E0_NS1_11comp_targetILNS1_3genE10ELNS1_11target_archE1200ELNS1_3gpuE4ELNS1_3repE0EEENS1_30default_config_static_selectorELNS0_4arch9wavefront6targetE1EEEvT1_
    .private_segment_fixed_size: 0
    .sgpr_count:     4
    .sgpr_spill_count: 0
    .symbol:         _ZN7rocprim17ROCPRIM_400000_NS6detail17trampoline_kernelINS0_14default_configENS1_20scan_config_selectorIxEEZZNS1_9scan_implILNS1_25lookback_scan_determinismE0ELb0ELb0ES3_N6thrust23THRUST_200600_302600_NS6detail15normal_iteratorINS9_10device_ptrIxEEEESE_x11max_functorIxExEEDaPvRmT3_T4_T5_mT6_P12ihipStream_tbENKUlT_T0_E_clISt17integral_constantIbLb1EESU_EEDaSP_SQ_EUlSP_E0_NS1_11comp_targetILNS1_3genE10ELNS1_11target_archE1200ELNS1_3gpuE4ELNS1_3repE0EEENS1_30default_config_static_selectorELNS0_4arch9wavefront6targetE1EEEvT1_.kd
    .uniform_work_group_size: 1
    .uses_dynamic_stack: false
    .vgpr_count:     0
    .vgpr_spill_count: 0
    .wavefront_size: 64
  - .agpr_count:     0
    .args:
      - .offset:         0
        .size:           40
        .value_kind:     by_value
    .group_segment_fixed_size: 0
    .kernarg_segment_align: 8
    .kernarg_segment_size: 40
    .language:       OpenCL C
    .language_version:
      - 2
      - 0
    .max_flat_workgroup_size: 256
    .name:           _ZN7rocprim17ROCPRIM_400000_NS6detail17trampoline_kernelINS0_14default_configENS1_20scan_config_selectorIxEEZZNS1_9scan_implILNS1_25lookback_scan_determinismE0ELb0ELb0ES3_N6thrust23THRUST_200600_302600_NS6detail15normal_iteratorINS9_10device_ptrIxEEEESE_x11max_functorIxExEEDaPvRmT3_T4_T5_mT6_P12ihipStream_tbENKUlT_T0_E_clISt17integral_constantIbLb1EESU_EEDaSP_SQ_EUlSP_E0_NS1_11comp_targetILNS1_3genE9ELNS1_11target_archE1100ELNS1_3gpuE3ELNS1_3repE0EEENS1_30default_config_static_selectorELNS0_4arch9wavefront6targetE1EEEvT1_
    .private_segment_fixed_size: 0
    .sgpr_count:     4
    .sgpr_spill_count: 0
    .symbol:         _ZN7rocprim17ROCPRIM_400000_NS6detail17trampoline_kernelINS0_14default_configENS1_20scan_config_selectorIxEEZZNS1_9scan_implILNS1_25lookback_scan_determinismE0ELb0ELb0ES3_N6thrust23THRUST_200600_302600_NS6detail15normal_iteratorINS9_10device_ptrIxEEEESE_x11max_functorIxExEEDaPvRmT3_T4_T5_mT6_P12ihipStream_tbENKUlT_T0_E_clISt17integral_constantIbLb1EESU_EEDaSP_SQ_EUlSP_E0_NS1_11comp_targetILNS1_3genE9ELNS1_11target_archE1100ELNS1_3gpuE3ELNS1_3repE0EEENS1_30default_config_static_selectorELNS0_4arch9wavefront6targetE1EEEvT1_.kd
    .uniform_work_group_size: 1
    .uses_dynamic_stack: false
    .vgpr_count:     0
    .vgpr_spill_count: 0
    .wavefront_size: 64
  - .agpr_count:     0
    .args:
      - .offset:         0
        .size:           40
        .value_kind:     by_value
    .group_segment_fixed_size: 0
    .kernarg_segment_align: 8
    .kernarg_segment_size: 40
    .language:       OpenCL C
    .language_version:
      - 2
      - 0
    .max_flat_workgroup_size: 256
    .name:           _ZN7rocprim17ROCPRIM_400000_NS6detail17trampoline_kernelINS0_14default_configENS1_20scan_config_selectorIxEEZZNS1_9scan_implILNS1_25lookback_scan_determinismE0ELb0ELb0ES3_N6thrust23THRUST_200600_302600_NS6detail15normal_iteratorINS9_10device_ptrIxEEEESE_x11max_functorIxExEEDaPvRmT3_T4_T5_mT6_P12ihipStream_tbENKUlT_T0_E_clISt17integral_constantIbLb1EESU_EEDaSP_SQ_EUlSP_E0_NS1_11comp_targetILNS1_3genE8ELNS1_11target_archE1030ELNS1_3gpuE2ELNS1_3repE0EEENS1_30default_config_static_selectorELNS0_4arch9wavefront6targetE1EEEvT1_
    .private_segment_fixed_size: 0
    .sgpr_count:     4
    .sgpr_spill_count: 0
    .symbol:         _ZN7rocprim17ROCPRIM_400000_NS6detail17trampoline_kernelINS0_14default_configENS1_20scan_config_selectorIxEEZZNS1_9scan_implILNS1_25lookback_scan_determinismE0ELb0ELb0ES3_N6thrust23THRUST_200600_302600_NS6detail15normal_iteratorINS9_10device_ptrIxEEEESE_x11max_functorIxExEEDaPvRmT3_T4_T5_mT6_P12ihipStream_tbENKUlT_T0_E_clISt17integral_constantIbLb1EESU_EEDaSP_SQ_EUlSP_E0_NS1_11comp_targetILNS1_3genE8ELNS1_11target_archE1030ELNS1_3gpuE2ELNS1_3repE0EEENS1_30default_config_static_selectorELNS0_4arch9wavefront6targetE1EEEvT1_.kd
    .uniform_work_group_size: 1
    .uses_dynamic_stack: false
    .vgpr_count:     0
    .vgpr_spill_count: 0
    .wavefront_size: 64
  - .agpr_count:     0
    .args:
      - .offset:         0
        .size:           104
        .value_kind:     by_value
    .group_segment_fixed_size: 0
    .kernarg_segment_align: 8
    .kernarg_segment_size: 104
    .language:       OpenCL C
    .language_version:
      - 2
      - 0
    .max_flat_workgroup_size: 256
    .name:           _ZN7rocprim17ROCPRIM_400000_NS6detail17trampoline_kernelINS0_14default_configENS1_20scan_config_selectorIxEEZZNS1_9scan_implILNS1_25lookback_scan_determinismE0ELb0ELb0ES3_N6thrust23THRUST_200600_302600_NS6detail15normal_iteratorINS9_10device_ptrIxEEEESE_x11max_functorIxExEEDaPvRmT3_T4_T5_mT6_P12ihipStream_tbENKUlT_T0_E_clISt17integral_constantIbLb1EEST_IbLb0EEEEDaSP_SQ_EUlSP_E_NS1_11comp_targetILNS1_3genE0ELNS1_11target_archE4294967295ELNS1_3gpuE0ELNS1_3repE0EEENS1_30default_config_static_selectorELNS0_4arch9wavefront6targetE1EEEvT1_
    .private_segment_fixed_size: 0
    .sgpr_count:     4
    .sgpr_spill_count: 0
    .symbol:         _ZN7rocprim17ROCPRIM_400000_NS6detail17trampoline_kernelINS0_14default_configENS1_20scan_config_selectorIxEEZZNS1_9scan_implILNS1_25lookback_scan_determinismE0ELb0ELb0ES3_N6thrust23THRUST_200600_302600_NS6detail15normal_iteratorINS9_10device_ptrIxEEEESE_x11max_functorIxExEEDaPvRmT3_T4_T5_mT6_P12ihipStream_tbENKUlT_T0_E_clISt17integral_constantIbLb1EEST_IbLb0EEEEDaSP_SQ_EUlSP_E_NS1_11comp_targetILNS1_3genE0ELNS1_11target_archE4294967295ELNS1_3gpuE0ELNS1_3repE0EEENS1_30default_config_static_selectorELNS0_4arch9wavefront6targetE1EEEvT1_.kd
    .uniform_work_group_size: 1
    .uses_dynamic_stack: false
    .vgpr_count:     0
    .vgpr_spill_count: 0
    .wavefront_size: 64
  - .agpr_count:     0
    .args:
      - .offset:         0
        .size:           104
        .value_kind:     by_value
    .group_segment_fixed_size: 0
    .kernarg_segment_align: 8
    .kernarg_segment_size: 104
    .language:       OpenCL C
    .language_version:
      - 2
      - 0
    .max_flat_workgroup_size: 256
    .name:           _ZN7rocprim17ROCPRIM_400000_NS6detail17trampoline_kernelINS0_14default_configENS1_20scan_config_selectorIxEEZZNS1_9scan_implILNS1_25lookback_scan_determinismE0ELb0ELb0ES3_N6thrust23THRUST_200600_302600_NS6detail15normal_iteratorINS9_10device_ptrIxEEEESE_x11max_functorIxExEEDaPvRmT3_T4_T5_mT6_P12ihipStream_tbENKUlT_T0_E_clISt17integral_constantIbLb1EEST_IbLb0EEEEDaSP_SQ_EUlSP_E_NS1_11comp_targetILNS1_3genE5ELNS1_11target_archE942ELNS1_3gpuE9ELNS1_3repE0EEENS1_30default_config_static_selectorELNS0_4arch9wavefront6targetE1EEEvT1_
    .private_segment_fixed_size: 0
    .sgpr_count:     4
    .sgpr_spill_count: 0
    .symbol:         _ZN7rocprim17ROCPRIM_400000_NS6detail17trampoline_kernelINS0_14default_configENS1_20scan_config_selectorIxEEZZNS1_9scan_implILNS1_25lookback_scan_determinismE0ELb0ELb0ES3_N6thrust23THRUST_200600_302600_NS6detail15normal_iteratorINS9_10device_ptrIxEEEESE_x11max_functorIxExEEDaPvRmT3_T4_T5_mT6_P12ihipStream_tbENKUlT_T0_E_clISt17integral_constantIbLb1EEST_IbLb0EEEEDaSP_SQ_EUlSP_E_NS1_11comp_targetILNS1_3genE5ELNS1_11target_archE942ELNS1_3gpuE9ELNS1_3repE0EEENS1_30default_config_static_selectorELNS0_4arch9wavefront6targetE1EEEvT1_.kd
    .uniform_work_group_size: 1
    .uses_dynamic_stack: false
    .vgpr_count:     0
    .vgpr_spill_count: 0
    .wavefront_size: 64
  - .agpr_count:     0
    .args:
      - .offset:         0
        .size:           104
        .value_kind:     by_value
    .group_segment_fixed_size: 7168
    .kernarg_segment_align: 8
    .kernarg_segment_size: 104
    .language:       OpenCL C
    .language_version:
      - 2
      - 0
    .max_flat_workgroup_size: 128
    .name:           _ZN7rocprim17ROCPRIM_400000_NS6detail17trampoline_kernelINS0_14default_configENS1_20scan_config_selectorIxEEZZNS1_9scan_implILNS1_25lookback_scan_determinismE0ELb0ELb0ES3_N6thrust23THRUST_200600_302600_NS6detail15normal_iteratorINS9_10device_ptrIxEEEESE_x11max_functorIxExEEDaPvRmT3_T4_T5_mT6_P12ihipStream_tbENKUlT_T0_E_clISt17integral_constantIbLb1EEST_IbLb0EEEEDaSP_SQ_EUlSP_E_NS1_11comp_targetILNS1_3genE4ELNS1_11target_archE910ELNS1_3gpuE8ELNS1_3repE0EEENS1_30default_config_static_selectorELNS0_4arch9wavefront6targetE1EEEvT1_
    .private_segment_fixed_size: 0
    .sgpr_count:     34
    .sgpr_spill_count: 0
    .symbol:         _ZN7rocprim17ROCPRIM_400000_NS6detail17trampoline_kernelINS0_14default_configENS1_20scan_config_selectorIxEEZZNS1_9scan_implILNS1_25lookback_scan_determinismE0ELb0ELb0ES3_N6thrust23THRUST_200600_302600_NS6detail15normal_iteratorINS9_10device_ptrIxEEEESE_x11max_functorIxExEEDaPvRmT3_T4_T5_mT6_P12ihipStream_tbENKUlT_T0_E_clISt17integral_constantIbLb1EEST_IbLb0EEEEDaSP_SQ_EUlSP_E_NS1_11comp_targetILNS1_3genE4ELNS1_11target_archE910ELNS1_3gpuE8ELNS1_3repE0EEENS1_30default_config_static_selectorELNS0_4arch9wavefront6targetE1EEEvT1_.kd
    .uniform_work_group_size: 1
    .uses_dynamic_stack: false
    .vgpr_count:     58
    .vgpr_spill_count: 0
    .wavefront_size: 64
  - .agpr_count:     0
    .args:
      - .offset:         0
        .size:           104
        .value_kind:     by_value
    .group_segment_fixed_size: 0
    .kernarg_segment_align: 8
    .kernarg_segment_size: 104
    .language:       OpenCL C
    .language_version:
      - 2
      - 0
    .max_flat_workgroup_size: 256
    .name:           _ZN7rocprim17ROCPRIM_400000_NS6detail17trampoline_kernelINS0_14default_configENS1_20scan_config_selectorIxEEZZNS1_9scan_implILNS1_25lookback_scan_determinismE0ELb0ELb0ES3_N6thrust23THRUST_200600_302600_NS6detail15normal_iteratorINS9_10device_ptrIxEEEESE_x11max_functorIxExEEDaPvRmT3_T4_T5_mT6_P12ihipStream_tbENKUlT_T0_E_clISt17integral_constantIbLb1EEST_IbLb0EEEEDaSP_SQ_EUlSP_E_NS1_11comp_targetILNS1_3genE3ELNS1_11target_archE908ELNS1_3gpuE7ELNS1_3repE0EEENS1_30default_config_static_selectorELNS0_4arch9wavefront6targetE1EEEvT1_
    .private_segment_fixed_size: 0
    .sgpr_count:     4
    .sgpr_spill_count: 0
    .symbol:         _ZN7rocprim17ROCPRIM_400000_NS6detail17trampoline_kernelINS0_14default_configENS1_20scan_config_selectorIxEEZZNS1_9scan_implILNS1_25lookback_scan_determinismE0ELb0ELb0ES3_N6thrust23THRUST_200600_302600_NS6detail15normal_iteratorINS9_10device_ptrIxEEEESE_x11max_functorIxExEEDaPvRmT3_T4_T5_mT6_P12ihipStream_tbENKUlT_T0_E_clISt17integral_constantIbLb1EEST_IbLb0EEEEDaSP_SQ_EUlSP_E_NS1_11comp_targetILNS1_3genE3ELNS1_11target_archE908ELNS1_3gpuE7ELNS1_3repE0EEENS1_30default_config_static_selectorELNS0_4arch9wavefront6targetE1EEEvT1_.kd
    .uniform_work_group_size: 1
    .uses_dynamic_stack: false
    .vgpr_count:     0
    .vgpr_spill_count: 0
    .wavefront_size: 64
  - .agpr_count:     0
    .args:
      - .offset:         0
        .size:           104
        .value_kind:     by_value
    .group_segment_fixed_size: 0
    .kernarg_segment_align: 8
    .kernarg_segment_size: 104
    .language:       OpenCL C
    .language_version:
      - 2
      - 0
    .max_flat_workgroup_size: 64
    .name:           _ZN7rocprim17ROCPRIM_400000_NS6detail17trampoline_kernelINS0_14default_configENS1_20scan_config_selectorIxEEZZNS1_9scan_implILNS1_25lookback_scan_determinismE0ELb0ELb0ES3_N6thrust23THRUST_200600_302600_NS6detail15normal_iteratorINS9_10device_ptrIxEEEESE_x11max_functorIxExEEDaPvRmT3_T4_T5_mT6_P12ihipStream_tbENKUlT_T0_E_clISt17integral_constantIbLb1EEST_IbLb0EEEEDaSP_SQ_EUlSP_E_NS1_11comp_targetILNS1_3genE2ELNS1_11target_archE906ELNS1_3gpuE6ELNS1_3repE0EEENS1_30default_config_static_selectorELNS0_4arch9wavefront6targetE1EEEvT1_
    .private_segment_fixed_size: 0
    .sgpr_count:     4
    .sgpr_spill_count: 0
    .symbol:         _ZN7rocprim17ROCPRIM_400000_NS6detail17trampoline_kernelINS0_14default_configENS1_20scan_config_selectorIxEEZZNS1_9scan_implILNS1_25lookback_scan_determinismE0ELb0ELb0ES3_N6thrust23THRUST_200600_302600_NS6detail15normal_iteratorINS9_10device_ptrIxEEEESE_x11max_functorIxExEEDaPvRmT3_T4_T5_mT6_P12ihipStream_tbENKUlT_T0_E_clISt17integral_constantIbLb1EEST_IbLb0EEEEDaSP_SQ_EUlSP_E_NS1_11comp_targetILNS1_3genE2ELNS1_11target_archE906ELNS1_3gpuE6ELNS1_3repE0EEENS1_30default_config_static_selectorELNS0_4arch9wavefront6targetE1EEEvT1_.kd
    .uniform_work_group_size: 1
    .uses_dynamic_stack: false
    .vgpr_count:     0
    .vgpr_spill_count: 0
    .wavefront_size: 64
  - .agpr_count:     0
    .args:
      - .offset:         0
        .size:           104
        .value_kind:     by_value
    .group_segment_fixed_size: 0
    .kernarg_segment_align: 8
    .kernarg_segment_size: 104
    .language:       OpenCL C
    .language_version:
      - 2
      - 0
    .max_flat_workgroup_size: 256
    .name:           _ZN7rocprim17ROCPRIM_400000_NS6detail17trampoline_kernelINS0_14default_configENS1_20scan_config_selectorIxEEZZNS1_9scan_implILNS1_25lookback_scan_determinismE0ELb0ELb0ES3_N6thrust23THRUST_200600_302600_NS6detail15normal_iteratorINS9_10device_ptrIxEEEESE_x11max_functorIxExEEDaPvRmT3_T4_T5_mT6_P12ihipStream_tbENKUlT_T0_E_clISt17integral_constantIbLb1EEST_IbLb0EEEEDaSP_SQ_EUlSP_E_NS1_11comp_targetILNS1_3genE10ELNS1_11target_archE1201ELNS1_3gpuE5ELNS1_3repE0EEENS1_30default_config_static_selectorELNS0_4arch9wavefront6targetE1EEEvT1_
    .private_segment_fixed_size: 0
    .sgpr_count:     4
    .sgpr_spill_count: 0
    .symbol:         _ZN7rocprim17ROCPRIM_400000_NS6detail17trampoline_kernelINS0_14default_configENS1_20scan_config_selectorIxEEZZNS1_9scan_implILNS1_25lookback_scan_determinismE0ELb0ELb0ES3_N6thrust23THRUST_200600_302600_NS6detail15normal_iteratorINS9_10device_ptrIxEEEESE_x11max_functorIxExEEDaPvRmT3_T4_T5_mT6_P12ihipStream_tbENKUlT_T0_E_clISt17integral_constantIbLb1EEST_IbLb0EEEEDaSP_SQ_EUlSP_E_NS1_11comp_targetILNS1_3genE10ELNS1_11target_archE1201ELNS1_3gpuE5ELNS1_3repE0EEENS1_30default_config_static_selectorELNS0_4arch9wavefront6targetE1EEEvT1_.kd
    .uniform_work_group_size: 1
    .uses_dynamic_stack: false
    .vgpr_count:     0
    .vgpr_spill_count: 0
    .wavefront_size: 64
  - .agpr_count:     0
    .args:
      - .offset:         0
        .size:           104
        .value_kind:     by_value
    .group_segment_fixed_size: 0
    .kernarg_segment_align: 8
    .kernarg_segment_size: 104
    .language:       OpenCL C
    .language_version:
      - 2
      - 0
    .max_flat_workgroup_size: 256
    .name:           _ZN7rocprim17ROCPRIM_400000_NS6detail17trampoline_kernelINS0_14default_configENS1_20scan_config_selectorIxEEZZNS1_9scan_implILNS1_25lookback_scan_determinismE0ELb0ELb0ES3_N6thrust23THRUST_200600_302600_NS6detail15normal_iteratorINS9_10device_ptrIxEEEESE_x11max_functorIxExEEDaPvRmT3_T4_T5_mT6_P12ihipStream_tbENKUlT_T0_E_clISt17integral_constantIbLb1EEST_IbLb0EEEEDaSP_SQ_EUlSP_E_NS1_11comp_targetILNS1_3genE10ELNS1_11target_archE1200ELNS1_3gpuE4ELNS1_3repE0EEENS1_30default_config_static_selectorELNS0_4arch9wavefront6targetE1EEEvT1_
    .private_segment_fixed_size: 0
    .sgpr_count:     4
    .sgpr_spill_count: 0
    .symbol:         _ZN7rocprim17ROCPRIM_400000_NS6detail17trampoline_kernelINS0_14default_configENS1_20scan_config_selectorIxEEZZNS1_9scan_implILNS1_25lookback_scan_determinismE0ELb0ELb0ES3_N6thrust23THRUST_200600_302600_NS6detail15normal_iteratorINS9_10device_ptrIxEEEESE_x11max_functorIxExEEDaPvRmT3_T4_T5_mT6_P12ihipStream_tbENKUlT_T0_E_clISt17integral_constantIbLb1EEST_IbLb0EEEEDaSP_SQ_EUlSP_E_NS1_11comp_targetILNS1_3genE10ELNS1_11target_archE1200ELNS1_3gpuE4ELNS1_3repE0EEENS1_30default_config_static_selectorELNS0_4arch9wavefront6targetE1EEEvT1_.kd
    .uniform_work_group_size: 1
    .uses_dynamic_stack: false
    .vgpr_count:     0
    .vgpr_spill_count: 0
    .wavefront_size: 64
  - .agpr_count:     0
    .args:
      - .offset:         0
        .size:           104
        .value_kind:     by_value
    .group_segment_fixed_size: 0
    .kernarg_segment_align: 8
    .kernarg_segment_size: 104
    .language:       OpenCL C
    .language_version:
      - 2
      - 0
    .max_flat_workgroup_size: 256
    .name:           _ZN7rocprim17ROCPRIM_400000_NS6detail17trampoline_kernelINS0_14default_configENS1_20scan_config_selectorIxEEZZNS1_9scan_implILNS1_25lookback_scan_determinismE0ELb0ELb0ES3_N6thrust23THRUST_200600_302600_NS6detail15normal_iteratorINS9_10device_ptrIxEEEESE_x11max_functorIxExEEDaPvRmT3_T4_T5_mT6_P12ihipStream_tbENKUlT_T0_E_clISt17integral_constantIbLb1EEST_IbLb0EEEEDaSP_SQ_EUlSP_E_NS1_11comp_targetILNS1_3genE9ELNS1_11target_archE1100ELNS1_3gpuE3ELNS1_3repE0EEENS1_30default_config_static_selectorELNS0_4arch9wavefront6targetE1EEEvT1_
    .private_segment_fixed_size: 0
    .sgpr_count:     4
    .sgpr_spill_count: 0
    .symbol:         _ZN7rocprim17ROCPRIM_400000_NS6detail17trampoline_kernelINS0_14default_configENS1_20scan_config_selectorIxEEZZNS1_9scan_implILNS1_25lookback_scan_determinismE0ELb0ELb0ES3_N6thrust23THRUST_200600_302600_NS6detail15normal_iteratorINS9_10device_ptrIxEEEESE_x11max_functorIxExEEDaPvRmT3_T4_T5_mT6_P12ihipStream_tbENKUlT_T0_E_clISt17integral_constantIbLb1EEST_IbLb0EEEEDaSP_SQ_EUlSP_E_NS1_11comp_targetILNS1_3genE9ELNS1_11target_archE1100ELNS1_3gpuE3ELNS1_3repE0EEENS1_30default_config_static_selectorELNS0_4arch9wavefront6targetE1EEEvT1_.kd
    .uniform_work_group_size: 1
    .uses_dynamic_stack: false
    .vgpr_count:     0
    .vgpr_spill_count: 0
    .wavefront_size: 64
  - .agpr_count:     0
    .args:
      - .offset:         0
        .size:           104
        .value_kind:     by_value
    .group_segment_fixed_size: 0
    .kernarg_segment_align: 8
    .kernarg_segment_size: 104
    .language:       OpenCL C
    .language_version:
      - 2
      - 0
    .max_flat_workgroup_size: 256
    .name:           _ZN7rocprim17ROCPRIM_400000_NS6detail17trampoline_kernelINS0_14default_configENS1_20scan_config_selectorIxEEZZNS1_9scan_implILNS1_25lookback_scan_determinismE0ELb0ELb0ES3_N6thrust23THRUST_200600_302600_NS6detail15normal_iteratorINS9_10device_ptrIxEEEESE_x11max_functorIxExEEDaPvRmT3_T4_T5_mT6_P12ihipStream_tbENKUlT_T0_E_clISt17integral_constantIbLb1EEST_IbLb0EEEEDaSP_SQ_EUlSP_E_NS1_11comp_targetILNS1_3genE8ELNS1_11target_archE1030ELNS1_3gpuE2ELNS1_3repE0EEENS1_30default_config_static_selectorELNS0_4arch9wavefront6targetE1EEEvT1_
    .private_segment_fixed_size: 0
    .sgpr_count:     4
    .sgpr_spill_count: 0
    .symbol:         _ZN7rocprim17ROCPRIM_400000_NS6detail17trampoline_kernelINS0_14default_configENS1_20scan_config_selectorIxEEZZNS1_9scan_implILNS1_25lookback_scan_determinismE0ELb0ELb0ES3_N6thrust23THRUST_200600_302600_NS6detail15normal_iteratorINS9_10device_ptrIxEEEESE_x11max_functorIxExEEDaPvRmT3_T4_T5_mT6_P12ihipStream_tbENKUlT_T0_E_clISt17integral_constantIbLb1EEST_IbLb0EEEEDaSP_SQ_EUlSP_E_NS1_11comp_targetILNS1_3genE8ELNS1_11target_archE1030ELNS1_3gpuE2ELNS1_3repE0EEENS1_30default_config_static_selectorELNS0_4arch9wavefront6targetE1EEEvT1_.kd
    .uniform_work_group_size: 1
    .uses_dynamic_stack: false
    .vgpr_count:     0
    .vgpr_spill_count: 0
    .wavefront_size: 64
  - .agpr_count:     0
    .args:
      - .offset:         0
        .size:           40
        .value_kind:     by_value
    .group_segment_fixed_size: 0
    .kernarg_segment_align: 8
    .kernarg_segment_size: 40
    .language:       OpenCL C
    .language_version:
      - 2
      - 0
    .max_flat_workgroup_size: 256
    .name:           _ZN7rocprim17ROCPRIM_400000_NS6detail17trampoline_kernelINS0_14default_configENS1_20scan_config_selectorIxEEZZNS1_9scan_implILNS1_25lookback_scan_determinismE0ELb0ELb0ES3_N6thrust23THRUST_200600_302600_NS6detail15normal_iteratorINS9_10device_ptrIxEEEESE_x11max_functorIxExEEDaPvRmT3_T4_T5_mT6_P12ihipStream_tbENKUlT_T0_E_clISt17integral_constantIbLb1EEST_IbLb0EEEEDaSP_SQ_EUlSP_E0_NS1_11comp_targetILNS1_3genE0ELNS1_11target_archE4294967295ELNS1_3gpuE0ELNS1_3repE0EEENS1_30default_config_static_selectorELNS0_4arch9wavefront6targetE1EEEvT1_
    .private_segment_fixed_size: 0
    .sgpr_count:     4
    .sgpr_spill_count: 0
    .symbol:         _ZN7rocprim17ROCPRIM_400000_NS6detail17trampoline_kernelINS0_14default_configENS1_20scan_config_selectorIxEEZZNS1_9scan_implILNS1_25lookback_scan_determinismE0ELb0ELb0ES3_N6thrust23THRUST_200600_302600_NS6detail15normal_iteratorINS9_10device_ptrIxEEEESE_x11max_functorIxExEEDaPvRmT3_T4_T5_mT6_P12ihipStream_tbENKUlT_T0_E_clISt17integral_constantIbLb1EEST_IbLb0EEEEDaSP_SQ_EUlSP_E0_NS1_11comp_targetILNS1_3genE0ELNS1_11target_archE4294967295ELNS1_3gpuE0ELNS1_3repE0EEENS1_30default_config_static_selectorELNS0_4arch9wavefront6targetE1EEEvT1_.kd
    .uniform_work_group_size: 1
    .uses_dynamic_stack: false
    .vgpr_count:     0
    .vgpr_spill_count: 0
    .wavefront_size: 64
  - .agpr_count:     0
    .args:
      - .offset:         0
        .size:           40
        .value_kind:     by_value
    .group_segment_fixed_size: 0
    .kernarg_segment_align: 8
    .kernarg_segment_size: 40
    .language:       OpenCL C
    .language_version:
      - 2
      - 0
    .max_flat_workgroup_size: 256
    .name:           _ZN7rocprim17ROCPRIM_400000_NS6detail17trampoline_kernelINS0_14default_configENS1_20scan_config_selectorIxEEZZNS1_9scan_implILNS1_25lookback_scan_determinismE0ELb0ELb0ES3_N6thrust23THRUST_200600_302600_NS6detail15normal_iteratorINS9_10device_ptrIxEEEESE_x11max_functorIxExEEDaPvRmT3_T4_T5_mT6_P12ihipStream_tbENKUlT_T0_E_clISt17integral_constantIbLb1EEST_IbLb0EEEEDaSP_SQ_EUlSP_E0_NS1_11comp_targetILNS1_3genE5ELNS1_11target_archE942ELNS1_3gpuE9ELNS1_3repE0EEENS1_30default_config_static_selectorELNS0_4arch9wavefront6targetE1EEEvT1_
    .private_segment_fixed_size: 0
    .sgpr_count:     4
    .sgpr_spill_count: 0
    .symbol:         _ZN7rocprim17ROCPRIM_400000_NS6detail17trampoline_kernelINS0_14default_configENS1_20scan_config_selectorIxEEZZNS1_9scan_implILNS1_25lookback_scan_determinismE0ELb0ELb0ES3_N6thrust23THRUST_200600_302600_NS6detail15normal_iteratorINS9_10device_ptrIxEEEESE_x11max_functorIxExEEDaPvRmT3_T4_T5_mT6_P12ihipStream_tbENKUlT_T0_E_clISt17integral_constantIbLb1EEST_IbLb0EEEEDaSP_SQ_EUlSP_E0_NS1_11comp_targetILNS1_3genE5ELNS1_11target_archE942ELNS1_3gpuE9ELNS1_3repE0EEENS1_30default_config_static_selectorELNS0_4arch9wavefront6targetE1EEEvT1_.kd
    .uniform_work_group_size: 1
    .uses_dynamic_stack: false
    .vgpr_count:     0
    .vgpr_spill_count: 0
    .wavefront_size: 64
  - .agpr_count:     0
    .args:
      - .offset:         0
        .size:           40
        .value_kind:     by_value
    .group_segment_fixed_size: 7168
    .kernarg_segment_align: 8
    .kernarg_segment_size: 40
    .language:       OpenCL C
    .language_version:
      - 2
      - 0
    .max_flat_workgroup_size: 128
    .name:           _ZN7rocprim17ROCPRIM_400000_NS6detail17trampoline_kernelINS0_14default_configENS1_20scan_config_selectorIxEEZZNS1_9scan_implILNS1_25lookback_scan_determinismE0ELb0ELb0ES3_N6thrust23THRUST_200600_302600_NS6detail15normal_iteratorINS9_10device_ptrIxEEEESE_x11max_functorIxExEEDaPvRmT3_T4_T5_mT6_P12ihipStream_tbENKUlT_T0_E_clISt17integral_constantIbLb1EEST_IbLb0EEEEDaSP_SQ_EUlSP_E0_NS1_11comp_targetILNS1_3genE4ELNS1_11target_archE910ELNS1_3gpuE8ELNS1_3repE0EEENS1_30default_config_static_selectorELNS0_4arch9wavefront6targetE1EEEvT1_
    .private_segment_fixed_size: 0
    .sgpr_count:     26
    .sgpr_spill_count: 0
    .symbol:         _ZN7rocprim17ROCPRIM_400000_NS6detail17trampoline_kernelINS0_14default_configENS1_20scan_config_selectorIxEEZZNS1_9scan_implILNS1_25lookback_scan_determinismE0ELb0ELb0ES3_N6thrust23THRUST_200600_302600_NS6detail15normal_iteratorINS9_10device_ptrIxEEEESE_x11max_functorIxExEEDaPvRmT3_T4_T5_mT6_P12ihipStream_tbENKUlT_T0_E_clISt17integral_constantIbLb1EEST_IbLb0EEEEDaSP_SQ_EUlSP_E0_NS1_11comp_targetILNS1_3genE4ELNS1_11target_archE910ELNS1_3gpuE8ELNS1_3repE0EEENS1_30default_config_static_selectorELNS0_4arch9wavefront6targetE1EEEvT1_.kd
    .uniform_work_group_size: 1
    .uses_dynamic_stack: false
    .vgpr_count:     42
    .vgpr_spill_count: 0
    .wavefront_size: 64
  - .agpr_count:     0
    .args:
      - .offset:         0
        .size:           40
        .value_kind:     by_value
    .group_segment_fixed_size: 0
    .kernarg_segment_align: 8
    .kernarg_segment_size: 40
    .language:       OpenCL C
    .language_version:
      - 2
      - 0
    .max_flat_workgroup_size: 256
    .name:           _ZN7rocprim17ROCPRIM_400000_NS6detail17trampoline_kernelINS0_14default_configENS1_20scan_config_selectorIxEEZZNS1_9scan_implILNS1_25lookback_scan_determinismE0ELb0ELb0ES3_N6thrust23THRUST_200600_302600_NS6detail15normal_iteratorINS9_10device_ptrIxEEEESE_x11max_functorIxExEEDaPvRmT3_T4_T5_mT6_P12ihipStream_tbENKUlT_T0_E_clISt17integral_constantIbLb1EEST_IbLb0EEEEDaSP_SQ_EUlSP_E0_NS1_11comp_targetILNS1_3genE3ELNS1_11target_archE908ELNS1_3gpuE7ELNS1_3repE0EEENS1_30default_config_static_selectorELNS0_4arch9wavefront6targetE1EEEvT1_
    .private_segment_fixed_size: 0
    .sgpr_count:     4
    .sgpr_spill_count: 0
    .symbol:         _ZN7rocprim17ROCPRIM_400000_NS6detail17trampoline_kernelINS0_14default_configENS1_20scan_config_selectorIxEEZZNS1_9scan_implILNS1_25lookback_scan_determinismE0ELb0ELb0ES3_N6thrust23THRUST_200600_302600_NS6detail15normal_iteratorINS9_10device_ptrIxEEEESE_x11max_functorIxExEEDaPvRmT3_T4_T5_mT6_P12ihipStream_tbENKUlT_T0_E_clISt17integral_constantIbLb1EEST_IbLb0EEEEDaSP_SQ_EUlSP_E0_NS1_11comp_targetILNS1_3genE3ELNS1_11target_archE908ELNS1_3gpuE7ELNS1_3repE0EEENS1_30default_config_static_selectorELNS0_4arch9wavefront6targetE1EEEvT1_.kd
    .uniform_work_group_size: 1
    .uses_dynamic_stack: false
    .vgpr_count:     0
    .vgpr_spill_count: 0
    .wavefront_size: 64
  - .agpr_count:     0
    .args:
      - .offset:         0
        .size:           40
        .value_kind:     by_value
    .group_segment_fixed_size: 0
    .kernarg_segment_align: 8
    .kernarg_segment_size: 40
    .language:       OpenCL C
    .language_version:
      - 2
      - 0
    .max_flat_workgroup_size: 64
    .name:           _ZN7rocprim17ROCPRIM_400000_NS6detail17trampoline_kernelINS0_14default_configENS1_20scan_config_selectorIxEEZZNS1_9scan_implILNS1_25lookback_scan_determinismE0ELb0ELb0ES3_N6thrust23THRUST_200600_302600_NS6detail15normal_iteratorINS9_10device_ptrIxEEEESE_x11max_functorIxExEEDaPvRmT3_T4_T5_mT6_P12ihipStream_tbENKUlT_T0_E_clISt17integral_constantIbLb1EEST_IbLb0EEEEDaSP_SQ_EUlSP_E0_NS1_11comp_targetILNS1_3genE2ELNS1_11target_archE906ELNS1_3gpuE6ELNS1_3repE0EEENS1_30default_config_static_selectorELNS0_4arch9wavefront6targetE1EEEvT1_
    .private_segment_fixed_size: 0
    .sgpr_count:     4
    .sgpr_spill_count: 0
    .symbol:         _ZN7rocprim17ROCPRIM_400000_NS6detail17trampoline_kernelINS0_14default_configENS1_20scan_config_selectorIxEEZZNS1_9scan_implILNS1_25lookback_scan_determinismE0ELb0ELb0ES3_N6thrust23THRUST_200600_302600_NS6detail15normal_iteratorINS9_10device_ptrIxEEEESE_x11max_functorIxExEEDaPvRmT3_T4_T5_mT6_P12ihipStream_tbENKUlT_T0_E_clISt17integral_constantIbLb1EEST_IbLb0EEEEDaSP_SQ_EUlSP_E0_NS1_11comp_targetILNS1_3genE2ELNS1_11target_archE906ELNS1_3gpuE6ELNS1_3repE0EEENS1_30default_config_static_selectorELNS0_4arch9wavefront6targetE1EEEvT1_.kd
    .uniform_work_group_size: 1
    .uses_dynamic_stack: false
    .vgpr_count:     0
    .vgpr_spill_count: 0
    .wavefront_size: 64
  - .agpr_count:     0
    .args:
      - .offset:         0
        .size:           40
        .value_kind:     by_value
    .group_segment_fixed_size: 0
    .kernarg_segment_align: 8
    .kernarg_segment_size: 40
    .language:       OpenCL C
    .language_version:
      - 2
      - 0
    .max_flat_workgroup_size: 256
    .name:           _ZN7rocprim17ROCPRIM_400000_NS6detail17trampoline_kernelINS0_14default_configENS1_20scan_config_selectorIxEEZZNS1_9scan_implILNS1_25lookback_scan_determinismE0ELb0ELb0ES3_N6thrust23THRUST_200600_302600_NS6detail15normal_iteratorINS9_10device_ptrIxEEEESE_x11max_functorIxExEEDaPvRmT3_T4_T5_mT6_P12ihipStream_tbENKUlT_T0_E_clISt17integral_constantIbLb1EEST_IbLb0EEEEDaSP_SQ_EUlSP_E0_NS1_11comp_targetILNS1_3genE10ELNS1_11target_archE1201ELNS1_3gpuE5ELNS1_3repE0EEENS1_30default_config_static_selectorELNS0_4arch9wavefront6targetE1EEEvT1_
    .private_segment_fixed_size: 0
    .sgpr_count:     4
    .sgpr_spill_count: 0
    .symbol:         _ZN7rocprim17ROCPRIM_400000_NS6detail17trampoline_kernelINS0_14default_configENS1_20scan_config_selectorIxEEZZNS1_9scan_implILNS1_25lookback_scan_determinismE0ELb0ELb0ES3_N6thrust23THRUST_200600_302600_NS6detail15normal_iteratorINS9_10device_ptrIxEEEESE_x11max_functorIxExEEDaPvRmT3_T4_T5_mT6_P12ihipStream_tbENKUlT_T0_E_clISt17integral_constantIbLb1EEST_IbLb0EEEEDaSP_SQ_EUlSP_E0_NS1_11comp_targetILNS1_3genE10ELNS1_11target_archE1201ELNS1_3gpuE5ELNS1_3repE0EEENS1_30default_config_static_selectorELNS0_4arch9wavefront6targetE1EEEvT1_.kd
    .uniform_work_group_size: 1
    .uses_dynamic_stack: false
    .vgpr_count:     0
    .vgpr_spill_count: 0
    .wavefront_size: 64
  - .agpr_count:     0
    .args:
      - .offset:         0
        .size:           40
        .value_kind:     by_value
    .group_segment_fixed_size: 0
    .kernarg_segment_align: 8
    .kernarg_segment_size: 40
    .language:       OpenCL C
    .language_version:
      - 2
      - 0
    .max_flat_workgroup_size: 256
    .name:           _ZN7rocprim17ROCPRIM_400000_NS6detail17trampoline_kernelINS0_14default_configENS1_20scan_config_selectorIxEEZZNS1_9scan_implILNS1_25lookback_scan_determinismE0ELb0ELb0ES3_N6thrust23THRUST_200600_302600_NS6detail15normal_iteratorINS9_10device_ptrIxEEEESE_x11max_functorIxExEEDaPvRmT3_T4_T5_mT6_P12ihipStream_tbENKUlT_T0_E_clISt17integral_constantIbLb1EEST_IbLb0EEEEDaSP_SQ_EUlSP_E0_NS1_11comp_targetILNS1_3genE10ELNS1_11target_archE1200ELNS1_3gpuE4ELNS1_3repE0EEENS1_30default_config_static_selectorELNS0_4arch9wavefront6targetE1EEEvT1_
    .private_segment_fixed_size: 0
    .sgpr_count:     4
    .sgpr_spill_count: 0
    .symbol:         _ZN7rocprim17ROCPRIM_400000_NS6detail17trampoline_kernelINS0_14default_configENS1_20scan_config_selectorIxEEZZNS1_9scan_implILNS1_25lookback_scan_determinismE0ELb0ELb0ES3_N6thrust23THRUST_200600_302600_NS6detail15normal_iteratorINS9_10device_ptrIxEEEESE_x11max_functorIxExEEDaPvRmT3_T4_T5_mT6_P12ihipStream_tbENKUlT_T0_E_clISt17integral_constantIbLb1EEST_IbLb0EEEEDaSP_SQ_EUlSP_E0_NS1_11comp_targetILNS1_3genE10ELNS1_11target_archE1200ELNS1_3gpuE4ELNS1_3repE0EEENS1_30default_config_static_selectorELNS0_4arch9wavefront6targetE1EEEvT1_.kd
    .uniform_work_group_size: 1
    .uses_dynamic_stack: false
    .vgpr_count:     0
    .vgpr_spill_count: 0
    .wavefront_size: 64
  - .agpr_count:     0
    .args:
      - .offset:         0
        .size:           40
        .value_kind:     by_value
    .group_segment_fixed_size: 0
    .kernarg_segment_align: 8
    .kernarg_segment_size: 40
    .language:       OpenCL C
    .language_version:
      - 2
      - 0
    .max_flat_workgroup_size: 256
    .name:           _ZN7rocprim17ROCPRIM_400000_NS6detail17trampoline_kernelINS0_14default_configENS1_20scan_config_selectorIxEEZZNS1_9scan_implILNS1_25lookback_scan_determinismE0ELb0ELb0ES3_N6thrust23THRUST_200600_302600_NS6detail15normal_iteratorINS9_10device_ptrIxEEEESE_x11max_functorIxExEEDaPvRmT3_T4_T5_mT6_P12ihipStream_tbENKUlT_T0_E_clISt17integral_constantIbLb1EEST_IbLb0EEEEDaSP_SQ_EUlSP_E0_NS1_11comp_targetILNS1_3genE9ELNS1_11target_archE1100ELNS1_3gpuE3ELNS1_3repE0EEENS1_30default_config_static_selectorELNS0_4arch9wavefront6targetE1EEEvT1_
    .private_segment_fixed_size: 0
    .sgpr_count:     4
    .sgpr_spill_count: 0
    .symbol:         _ZN7rocprim17ROCPRIM_400000_NS6detail17trampoline_kernelINS0_14default_configENS1_20scan_config_selectorIxEEZZNS1_9scan_implILNS1_25lookback_scan_determinismE0ELb0ELb0ES3_N6thrust23THRUST_200600_302600_NS6detail15normal_iteratorINS9_10device_ptrIxEEEESE_x11max_functorIxExEEDaPvRmT3_T4_T5_mT6_P12ihipStream_tbENKUlT_T0_E_clISt17integral_constantIbLb1EEST_IbLb0EEEEDaSP_SQ_EUlSP_E0_NS1_11comp_targetILNS1_3genE9ELNS1_11target_archE1100ELNS1_3gpuE3ELNS1_3repE0EEENS1_30default_config_static_selectorELNS0_4arch9wavefront6targetE1EEEvT1_.kd
    .uniform_work_group_size: 1
    .uses_dynamic_stack: false
    .vgpr_count:     0
    .vgpr_spill_count: 0
    .wavefront_size: 64
  - .agpr_count:     0
    .args:
      - .offset:         0
        .size:           40
        .value_kind:     by_value
    .group_segment_fixed_size: 0
    .kernarg_segment_align: 8
    .kernarg_segment_size: 40
    .language:       OpenCL C
    .language_version:
      - 2
      - 0
    .max_flat_workgroup_size: 256
    .name:           _ZN7rocprim17ROCPRIM_400000_NS6detail17trampoline_kernelINS0_14default_configENS1_20scan_config_selectorIxEEZZNS1_9scan_implILNS1_25lookback_scan_determinismE0ELb0ELb0ES3_N6thrust23THRUST_200600_302600_NS6detail15normal_iteratorINS9_10device_ptrIxEEEESE_x11max_functorIxExEEDaPvRmT3_T4_T5_mT6_P12ihipStream_tbENKUlT_T0_E_clISt17integral_constantIbLb1EEST_IbLb0EEEEDaSP_SQ_EUlSP_E0_NS1_11comp_targetILNS1_3genE8ELNS1_11target_archE1030ELNS1_3gpuE2ELNS1_3repE0EEENS1_30default_config_static_selectorELNS0_4arch9wavefront6targetE1EEEvT1_
    .private_segment_fixed_size: 0
    .sgpr_count:     4
    .sgpr_spill_count: 0
    .symbol:         _ZN7rocprim17ROCPRIM_400000_NS6detail17trampoline_kernelINS0_14default_configENS1_20scan_config_selectorIxEEZZNS1_9scan_implILNS1_25lookback_scan_determinismE0ELb0ELb0ES3_N6thrust23THRUST_200600_302600_NS6detail15normal_iteratorINS9_10device_ptrIxEEEESE_x11max_functorIxExEEDaPvRmT3_T4_T5_mT6_P12ihipStream_tbENKUlT_T0_E_clISt17integral_constantIbLb1EEST_IbLb0EEEEDaSP_SQ_EUlSP_E0_NS1_11comp_targetILNS1_3genE8ELNS1_11target_archE1030ELNS1_3gpuE2ELNS1_3repE0EEENS1_30default_config_static_selectorELNS0_4arch9wavefront6targetE1EEEvT1_.kd
    .uniform_work_group_size: 1
    .uses_dynamic_stack: false
    .vgpr_count:     0
    .vgpr_spill_count: 0
    .wavefront_size: 64
  - .agpr_count:     0
    .args:
      - .offset:         0
        .size:           104
        .value_kind:     by_value
    .group_segment_fixed_size: 0
    .kernarg_segment_align: 8
    .kernarg_segment_size: 104
    .language:       OpenCL C
    .language_version:
      - 2
      - 0
    .max_flat_workgroup_size: 256
    .name:           _ZN7rocprim17ROCPRIM_400000_NS6detail17trampoline_kernelINS0_14default_configENS1_20scan_config_selectorIxEEZZNS1_9scan_implILNS1_25lookback_scan_determinismE0ELb0ELb0ES3_N6thrust23THRUST_200600_302600_NS6detail15normal_iteratorINS9_10device_ptrIxEEEESE_x11max_functorIxExEEDaPvRmT3_T4_T5_mT6_P12ihipStream_tbENKUlT_T0_E_clISt17integral_constantIbLb0EEST_IbLb1EEEEDaSP_SQ_EUlSP_E_NS1_11comp_targetILNS1_3genE0ELNS1_11target_archE4294967295ELNS1_3gpuE0ELNS1_3repE0EEENS1_30default_config_static_selectorELNS0_4arch9wavefront6targetE1EEEvT1_
    .private_segment_fixed_size: 0
    .sgpr_count:     4
    .sgpr_spill_count: 0
    .symbol:         _ZN7rocprim17ROCPRIM_400000_NS6detail17trampoline_kernelINS0_14default_configENS1_20scan_config_selectorIxEEZZNS1_9scan_implILNS1_25lookback_scan_determinismE0ELb0ELb0ES3_N6thrust23THRUST_200600_302600_NS6detail15normal_iteratorINS9_10device_ptrIxEEEESE_x11max_functorIxExEEDaPvRmT3_T4_T5_mT6_P12ihipStream_tbENKUlT_T0_E_clISt17integral_constantIbLb0EEST_IbLb1EEEEDaSP_SQ_EUlSP_E_NS1_11comp_targetILNS1_3genE0ELNS1_11target_archE4294967295ELNS1_3gpuE0ELNS1_3repE0EEENS1_30default_config_static_selectorELNS0_4arch9wavefront6targetE1EEEvT1_.kd
    .uniform_work_group_size: 1
    .uses_dynamic_stack: false
    .vgpr_count:     0
    .vgpr_spill_count: 0
    .wavefront_size: 64
  - .agpr_count:     0
    .args:
      - .offset:         0
        .size:           104
        .value_kind:     by_value
    .group_segment_fixed_size: 0
    .kernarg_segment_align: 8
    .kernarg_segment_size: 104
    .language:       OpenCL C
    .language_version:
      - 2
      - 0
    .max_flat_workgroup_size: 256
    .name:           _ZN7rocprim17ROCPRIM_400000_NS6detail17trampoline_kernelINS0_14default_configENS1_20scan_config_selectorIxEEZZNS1_9scan_implILNS1_25lookback_scan_determinismE0ELb0ELb0ES3_N6thrust23THRUST_200600_302600_NS6detail15normal_iteratorINS9_10device_ptrIxEEEESE_x11max_functorIxExEEDaPvRmT3_T4_T5_mT6_P12ihipStream_tbENKUlT_T0_E_clISt17integral_constantIbLb0EEST_IbLb1EEEEDaSP_SQ_EUlSP_E_NS1_11comp_targetILNS1_3genE5ELNS1_11target_archE942ELNS1_3gpuE9ELNS1_3repE0EEENS1_30default_config_static_selectorELNS0_4arch9wavefront6targetE1EEEvT1_
    .private_segment_fixed_size: 0
    .sgpr_count:     4
    .sgpr_spill_count: 0
    .symbol:         _ZN7rocprim17ROCPRIM_400000_NS6detail17trampoline_kernelINS0_14default_configENS1_20scan_config_selectorIxEEZZNS1_9scan_implILNS1_25lookback_scan_determinismE0ELb0ELb0ES3_N6thrust23THRUST_200600_302600_NS6detail15normal_iteratorINS9_10device_ptrIxEEEESE_x11max_functorIxExEEDaPvRmT3_T4_T5_mT6_P12ihipStream_tbENKUlT_T0_E_clISt17integral_constantIbLb0EEST_IbLb1EEEEDaSP_SQ_EUlSP_E_NS1_11comp_targetILNS1_3genE5ELNS1_11target_archE942ELNS1_3gpuE9ELNS1_3repE0EEENS1_30default_config_static_selectorELNS0_4arch9wavefront6targetE1EEEvT1_.kd
    .uniform_work_group_size: 1
    .uses_dynamic_stack: false
    .vgpr_count:     0
    .vgpr_spill_count: 0
    .wavefront_size: 64
  - .agpr_count:     0
    .args:
      - .offset:         0
        .size:           104
        .value_kind:     by_value
    .group_segment_fixed_size: 7168
    .kernarg_segment_align: 8
    .kernarg_segment_size: 104
    .language:       OpenCL C
    .language_version:
      - 2
      - 0
    .max_flat_workgroup_size: 128
    .name:           _ZN7rocprim17ROCPRIM_400000_NS6detail17trampoline_kernelINS0_14default_configENS1_20scan_config_selectorIxEEZZNS1_9scan_implILNS1_25lookback_scan_determinismE0ELb0ELb0ES3_N6thrust23THRUST_200600_302600_NS6detail15normal_iteratorINS9_10device_ptrIxEEEESE_x11max_functorIxExEEDaPvRmT3_T4_T5_mT6_P12ihipStream_tbENKUlT_T0_E_clISt17integral_constantIbLb0EEST_IbLb1EEEEDaSP_SQ_EUlSP_E_NS1_11comp_targetILNS1_3genE4ELNS1_11target_archE910ELNS1_3gpuE8ELNS1_3repE0EEENS1_30default_config_static_selectorELNS0_4arch9wavefront6targetE1EEEvT1_
    .private_segment_fixed_size: 0
    .sgpr_count:     42
    .sgpr_spill_count: 0
    .symbol:         _ZN7rocprim17ROCPRIM_400000_NS6detail17trampoline_kernelINS0_14default_configENS1_20scan_config_selectorIxEEZZNS1_9scan_implILNS1_25lookback_scan_determinismE0ELb0ELb0ES3_N6thrust23THRUST_200600_302600_NS6detail15normal_iteratorINS9_10device_ptrIxEEEESE_x11max_functorIxExEEDaPvRmT3_T4_T5_mT6_P12ihipStream_tbENKUlT_T0_E_clISt17integral_constantIbLb0EEST_IbLb1EEEEDaSP_SQ_EUlSP_E_NS1_11comp_targetILNS1_3genE4ELNS1_11target_archE910ELNS1_3gpuE8ELNS1_3repE0EEENS1_30default_config_static_selectorELNS0_4arch9wavefront6targetE1EEEvT1_.kd
    .uniform_work_group_size: 1
    .uses_dynamic_stack: false
    .vgpr_count:     58
    .vgpr_spill_count: 0
    .wavefront_size: 64
  - .agpr_count:     0
    .args:
      - .offset:         0
        .size:           104
        .value_kind:     by_value
    .group_segment_fixed_size: 0
    .kernarg_segment_align: 8
    .kernarg_segment_size: 104
    .language:       OpenCL C
    .language_version:
      - 2
      - 0
    .max_flat_workgroup_size: 256
    .name:           _ZN7rocprim17ROCPRIM_400000_NS6detail17trampoline_kernelINS0_14default_configENS1_20scan_config_selectorIxEEZZNS1_9scan_implILNS1_25lookback_scan_determinismE0ELb0ELb0ES3_N6thrust23THRUST_200600_302600_NS6detail15normal_iteratorINS9_10device_ptrIxEEEESE_x11max_functorIxExEEDaPvRmT3_T4_T5_mT6_P12ihipStream_tbENKUlT_T0_E_clISt17integral_constantIbLb0EEST_IbLb1EEEEDaSP_SQ_EUlSP_E_NS1_11comp_targetILNS1_3genE3ELNS1_11target_archE908ELNS1_3gpuE7ELNS1_3repE0EEENS1_30default_config_static_selectorELNS0_4arch9wavefront6targetE1EEEvT1_
    .private_segment_fixed_size: 0
    .sgpr_count:     4
    .sgpr_spill_count: 0
    .symbol:         _ZN7rocprim17ROCPRIM_400000_NS6detail17trampoline_kernelINS0_14default_configENS1_20scan_config_selectorIxEEZZNS1_9scan_implILNS1_25lookback_scan_determinismE0ELb0ELb0ES3_N6thrust23THRUST_200600_302600_NS6detail15normal_iteratorINS9_10device_ptrIxEEEESE_x11max_functorIxExEEDaPvRmT3_T4_T5_mT6_P12ihipStream_tbENKUlT_T0_E_clISt17integral_constantIbLb0EEST_IbLb1EEEEDaSP_SQ_EUlSP_E_NS1_11comp_targetILNS1_3genE3ELNS1_11target_archE908ELNS1_3gpuE7ELNS1_3repE0EEENS1_30default_config_static_selectorELNS0_4arch9wavefront6targetE1EEEvT1_.kd
    .uniform_work_group_size: 1
    .uses_dynamic_stack: false
    .vgpr_count:     0
    .vgpr_spill_count: 0
    .wavefront_size: 64
  - .agpr_count:     0
    .args:
      - .offset:         0
        .size:           104
        .value_kind:     by_value
    .group_segment_fixed_size: 0
    .kernarg_segment_align: 8
    .kernarg_segment_size: 104
    .language:       OpenCL C
    .language_version:
      - 2
      - 0
    .max_flat_workgroup_size: 64
    .name:           _ZN7rocprim17ROCPRIM_400000_NS6detail17trampoline_kernelINS0_14default_configENS1_20scan_config_selectorIxEEZZNS1_9scan_implILNS1_25lookback_scan_determinismE0ELb0ELb0ES3_N6thrust23THRUST_200600_302600_NS6detail15normal_iteratorINS9_10device_ptrIxEEEESE_x11max_functorIxExEEDaPvRmT3_T4_T5_mT6_P12ihipStream_tbENKUlT_T0_E_clISt17integral_constantIbLb0EEST_IbLb1EEEEDaSP_SQ_EUlSP_E_NS1_11comp_targetILNS1_3genE2ELNS1_11target_archE906ELNS1_3gpuE6ELNS1_3repE0EEENS1_30default_config_static_selectorELNS0_4arch9wavefront6targetE1EEEvT1_
    .private_segment_fixed_size: 0
    .sgpr_count:     4
    .sgpr_spill_count: 0
    .symbol:         _ZN7rocprim17ROCPRIM_400000_NS6detail17trampoline_kernelINS0_14default_configENS1_20scan_config_selectorIxEEZZNS1_9scan_implILNS1_25lookback_scan_determinismE0ELb0ELb0ES3_N6thrust23THRUST_200600_302600_NS6detail15normal_iteratorINS9_10device_ptrIxEEEESE_x11max_functorIxExEEDaPvRmT3_T4_T5_mT6_P12ihipStream_tbENKUlT_T0_E_clISt17integral_constantIbLb0EEST_IbLb1EEEEDaSP_SQ_EUlSP_E_NS1_11comp_targetILNS1_3genE2ELNS1_11target_archE906ELNS1_3gpuE6ELNS1_3repE0EEENS1_30default_config_static_selectorELNS0_4arch9wavefront6targetE1EEEvT1_.kd
    .uniform_work_group_size: 1
    .uses_dynamic_stack: false
    .vgpr_count:     0
    .vgpr_spill_count: 0
    .wavefront_size: 64
  - .agpr_count:     0
    .args:
      - .offset:         0
        .size:           104
        .value_kind:     by_value
    .group_segment_fixed_size: 0
    .kernarg_segment_align: 8
    .kernarg_segment_size: 104
    .language:       OpenCL C
    .language_version:
      - 2
      - 0
    .max_flat_workgroup_size: 256
    .name:           _ZN7rocprim17ROCPRIM_400000_NS6detail17trampoline_kernelINS0_14default_configENS1_20scan_config_selectorIxEEZZNS1_9scan_implILNS1_25lookback_scan_determinismE0ELb0ELb0ES3_N6thrust23THRUST_200600_302600_NS6detail15normal_iteratorINS9_10device_ptrIxEEEESE_x11max_functorIxExEEDaPvRmT3_T4_T5_mT6_P12ihipStream_tbENKUlT_T0_E_clISt17integral_constantIbLb0EEST_IbLb1EEEEDaSP_SQ_EUlSP_E_NS1_11comp_targetILNS1_3genE10ELNS1_11target_archE1201ELNS1_3gpuE5ELNS1_3repE0EEENS1_30default_config_static_selectorELNS0_4arch9wavefront6targetE1EEEvT1_
    .private_segment_fixed_size: 0
    .sgpr_count:     4
    .sgpr_spill_count: 0
    .symbol:         _ZN7rocprim17ROCPRIM_400000_NS6detail17trampoline_kernelINS0_14default_configENS1_20scan_config_selectorIxEEZZNS1_9scan_implILNS1_25lookback_scan_determinismE0ELb0ELb0ES3_N6thrust23THRUST_200600_302600_NS6detail15normal_iteratorINS9_10device_ptrIxEEEESE_x11max_functorIxExEEDaPvRmT3_T4_T5_mT6_P12ihipStream_tbENKUlT_T0_E_clISt17integral_constantIbLb0EEST_IbLb1EEEEDaSP_SQ_EUlSP_E_NS1_11comp_targetILNS1_3genE10ELNS1_11target_archE1201ELNS1_3gpuE5ELNS1_3repE0EEENS1_30default_config_static_selectorELNS0_4arch9wavefront6targetE1EEEvT1_.kd
    .uniform_work_group_size: 1
    .uses_dynamic_stack: false
    .vgpr_count:     0
    .vgpr_spill_count: 0
    .wavefront_size: 64
  - .agpr_count:     0
    .args:
      - .offset:         0
        .size:           104
        .value_kind:     by_value
    .group_segment_fixed_size: 0
    .kernarg_segment_align: 8
    .kernarg_segment_size: 104
    .language:       OpenCL C
    .language_version:
      - 2
      - 0
    .max_flat_workgroup_size: 256
    .name:           _ZN7rocprim17ROCPRIM_400000_NS6detail17trampoline_kernelINS0_14default_configENS1_20scan_config_selectorIxEEZZNS1_9scan_implILNS1_25lookback_scan_determinismE0ELb0ELb0ES3_N6thrust23THRUST_200600_302600_NS6detail15normal_iteratorINS9_10device_ptrIxEEEESE_x11max_functorIxExEEDaPvRmT3_T4_T5_mT6_P12ihipStream_tbENKUlT_T0_E_clISt17integral_constantIbLb0EEST_IbLb1EEEEDaSP_SQ_EUlSP_E_NS1_11comp_targetILNS1_3genE10ELNS1_11target_archE1200ELNS1_3gpuE4ELNS1_3repE0EEENS1_30default_config_static_selectorELNS0_4arch9wavefront6targetE1EEEvT1_
    .private_segment_fixed_size: 0
    .sgpr_count:     4
    .sgpr_spill_count: 0
    .symbol:         _ZN7rocprim17ROCPRIM_400000_NS6detail17trampoline_kernelINS0_14default_configENS1_20scan_config_selectorIxEEZZNS1_9scan_implILNS1_25lookback_scan_determinismE0ELb0ELb0ES3_N6thrust23THRUST_200600_302600_NS6detail15normal_iteratorINS9_10device_ptrIxEEEESE_x11max_functorIxExEEDaPvRmT3_T4_T5_mT6_P12ihipStream_tbENKUlT_T0_E_clISt17integral_constantIbLb0EEST_IbLb1EEEEDaSP_SQ_EUlSP_E_NS1_11comp_targetILNS1_3genE10ELNS1_11target_archE1200ELNS1_3gpuE4ELNS1_3repE0EEENS1_30default_config_static_selectorELNS0_4arch9wavefront6targetE1EEEvT1_.kd
    .uniform_work_group_size: 1
    .uses_dynamic_stack: false
    .vgpr_count:     0
    .vgpr_spill_count: 0
    .wavefront_size: 64
  - .agpr_count:     0
    .args:
      - .offset:         0
        .size:           104
        .value_kind:     by_value
    .group_segment_fixed_size: 0
    .kernarg_segment_align: 8
    .kernarg_segment_size: 104
    .language:       OpenCL C
    .language_version:
      - 2
      - 0
    .max_flat_workgroup_size: 256
    .name:           _ZN7rocprim17ROCPRIM_400000_NS6detail17trampoline_kernelINS0_14default_configENS1_20scan_config_selectorIxEEZZNS1_9scan_implILNS1_25lookback_scan_determinismE0ELb0ELb0ES3_N6thrust23THRUST_200600_302600_NS6detail15normal_iteratorINS9_10device_ptrIxEEEESE_x11max_functorIxExEEDaPvRmT3_T4_T5_mT6_P12ihipStream_tbENKUlT_T0_E_clISt17integral_constantIbLb0EEST_IbLb1EEEEDaSP_SQ_EUlSP_E_NS1_11comp_targetILNS1_3genE9ELNS1_11target_archE1100ELNS1_3gpuE3ELNS1_3repE0EEENS1_30default_config_static_selectorELNS0_4arch9wavefront6targetE1EEEvT1_
    .private_segment_fixed_size: 0
    .sgpr_count:     4
    .sgpr_spill_count: 0
    .symbol:         _ZN7rocprim17ROCPRIM_400000_NS6detail17trampoline_kernelINS0_14default_configENS1_20scan_config_selectorIxEEZZNS1_9scan_implILNS1_25lookback_scan_determinismE0ELb0ELb0ES3_N6thrust23THRUST_200600_302600_NS6detail15normal_iteratorINS9_10device_ptrIxEEEESE_x11max_functorIxExEEDaPvRmT3_T4_T5_mT6_P12ihipStream_tbENKUlT_T0_E_clISt17integral_constantIbLb0EEST_IbLb1EEEEDaSP_SQ_EUlSP_E_NS1_11comp_targetILNS1_3genE9ELNS1_11target_archE1100ELNS1_3gpuE3ELNS1_3repE0EEENS1_30default_config_static_selectorELNS0_4arch9wavefront6targetE1EEEvT1_.kd
    .uniform_work_group_size: 1
    .uses_dynamic_stack: false
    .vgpr_count:     0
    .vgpr_spill_count: 0
    .wavefront_size: 64
  - .agpr_count:     0
    .args:
      - .offset:         0
        .size:           104
        .value_kind:     by_value
    .group_segment_fixed_size: 0
    .kernarg_segment_align: 8
    .kernarg_segment_size: 104
    .language:       OpenCL C
    .language_version:
      - 2
      - 0
    .max_flat_workgroup_size: 256
    .name:           _ZN7rocprim17ROCPRIM_400000_NS6detail17trampoline_kernelINS0_14default_configENS1_20scan_config_selectorIxEEZZNS1_9scan_implILNS1_25lookback_scan_determinismE0ELb0ELb0ES3_N6thrust23THRUST_200600_302600_NS6detail15normal_iteratorINS9_10device_ptrIxEEEESE_x11max_functorIxExEEDaPvRmT3_T4_T5_mT6_P12ihipStream_tbENKUlT_T0_E_clISt17integral_constantIbLb0EEST_IbLb1EEEEDaSP_SQ_EUlSP_E_NS1_11comp_targetILNS1_3genE8ELNS1_11target_archE1030ELNS1_3gpuE2ELNS1_3repE0EEENS1_30default_config_static_selectorELNS0_4arch9wavefront6targetE1EEEvT1_
    .private_segment_fixed_size: 0
    .sgpr_count:     4
    .sgpr_spill_count: 0
    .symbol:         _ZN7rocprim17ROCPRIM_400000_NS6detail17trampoline_kernelINS0_14default_configENS1_20scan_config_selectorIxEEZZNS1_9scan_implILNS1_25lookback_scan_determinismE0ELb0ELb0ES3_N6thrust23THRUST_200600_302600_NS6detail15normal_iteratorINS9_10device_ptrIxEEEESE_x11max_functorIxExEEDaPvRmT3_T4_T5_mT6_P12ihipStream_tbENKUlT_T0_E_clISt17integral_constantIbLb0EEST_IbLb1EEEEDaSP_SQ_EUlSP_E_NS1_11comp_targetILNS1_3genE8ELNS1_11target_archE1030ELNS1_3gpuE2ELNS1_3repE0EEENS1_30default_config_static_selectorELNS0_4arch9wavefront6targetE1EEEvT1_.kd
    .uniform_work_group_size: 1
    .uses_dynamic_stack: false
    .vgpr_count:     0
    .vgpr_spill_count: 0
    .wavefront_size: 64
  - .agpr_count:     0
    .args:
      - .offset:         0
        .size:           40
        .value_kind:     by_value
    .group_segment_fixed_size: 0
    .kernarg_segment_align: 8
    .kernarg_segment_size: 40
    .language:       OpenCL C
    .language_version:
      - 2
      - 0
    .max_flat_workgroup_size: 256
    .name:           _ZN7rocprim17ROCPRIM_400000_NS6detail17trampoline_kernelINS0_14default_configENS1_20scan_config_selectorIxEEZZNS1_9scan_implILNS1_25lookback_scan_determinismE0ELb0ELb0ES3_N6thrust23THRUST_200600_302600_NS6detail15normal_iteratorINS9_10device_ptrIxEEEESE_x11max_functorIxExEEDaPvRmT3_T4_T5_mT6_P12ihipStream_tbENKUlT_T0_E_clISt17integral_constantIbLb0EEST_IbLb1EEEEDaSP_SQ_EUlSP_E0_NS1_11comp_targetILNS1_3genE0ELNS1_11target_archE4294967295ELNS1_3gpuE0ELNS1_3repE0EEENS1_30default_config_static_selectorELNS0_4arch9wavefront6targetE1EEEvT1_
    .private_segment_fixed_size: 0
    .sgpr_count:     4
    .sgpr_spill_count: 0
    .symbol:         _ZN7rocprim17ROCPRIM_400000_NS6detail17trampoline_kernelINS0_14default_configENS1_20scan_config_selectorIxEEZZNS1_9scan_implILNS1_25lookback_scan_determinismE0ELb0ELb0ES3_N6thrust23THRUST_200600_302600_NS6detail15normal_iteratorINS9_10device_ptrIxEEEESE_x11max_functorIxExEEDaPvRmT3_T4_T5_mT6_P12ihipStream_tbENKUlT_T0_E_clISt17integral_constantIbLb0EEST_IbLb1EEEEDaSP_SQ_EUlSP_E0_NS1_11comp_targetILNS1_3genE0ELNS1_11target_archE4294967295ELNS1_3gpuE0ELNS1_3repE0EEENS1_30default_config_static_selectorELNS0_4arch9wavefront6targetE1EEEvT1_.kd
    .uniform_work_group_size: 1
    .uses_dynamic_stack: false
    .vgpr_count:     0
    .vgpr_spill_count: 0
    .wavefront_size: 64
  - .agpr_count:     0
    .args:
      - .offset:         0
        .size:           40
        .value_kind:     by_value
    .group_segment_fixed_size: 0
    .kernarg_segment_align: 8
    .kernarg_segment_size: 40
    .language:       OpenCL C
    .language_version:
      - 2
      - 0
    .max_flat_workgroup_size: 256
    .name:           _ZN7rocprim17ROCPRIM_400000_NS6detail17trampoline_kernelINS0_14default_configENS1_20scan_config_selectorIxEEZZNS1_9scan_implILNS1_25lookback_scan_determinismE0ELb0ELb0ES3_N6thrust23THRUST_200600_302600_NS6detail15normal_iteratorINS9_10device_ptrIxEEEESE_x11max_functorIxExEEDaPvRmT3_T4_T5_mT6_P12ihipStream_tbENKUlT_T0_E_clISt17integral_constantIbLb0EEST_IbLb1EEEEDaSP_SQ_EUlSP_E0_NS1_11comp_targetILNS1_3genE5ELNS1_11target_archE942ELNS1_3gpuE9ELNS1_3repE0EEENS1_30default_config_static_selectorELNS0_4arch9wavefront6targetE1EEEvT1_
    .private_segment_fixed_size: 0
    .sgpr_count:     4
    .sgpr_spill_count: 0
    .symbol:         _ZN7rocprim17ROCPRIM_400000_NS6detail17trampoline_kernelINS0_14default_configENS1_20scan_config_selectorIxEEZZNS1_9scan_implILNS1_25lookback_scan_determinismE0ELb0ELb0ES3_N6thrust23THRUST_200600_302600_NS6detail15normal_iteratorINS9_10device_ptrIxEEEESE_x11max_functorIxExEEDaPvRmT3_T4_T5_mT6_P12ihipStream_tbENKUlT_T0_E_clISt17integral_constantIbLb0EEST_IbLb1EEEEDaSP_SQ_EUlSP_E0_NS1_11comp_targetILNS1_3genE5ELNS1_11target_archE942ELNS1_3gpuE9ELNS1_3repE0EEENS1_30default_config_static_selectorELNS0_4arch9wavefront6targetE1EEEvT1_.kd
    .uniform_work_group_size: 1
    .uses_dynamic_stack: false
    .vgpr_count:     0
    .vgpr_spill_count: 0
    .wavefront_size: 64
  - .agpr_count:     0
    .args:
      - .offset:         0
        .size:           40
        .value_kind:     by_value
    .group_segment_fixed_size: 7168
    .kernarg_segment_align: 8
    .kernarg_segment_size: 40
    .language:       OpenCL C
    .language_version:
      - 2
      - 0
    .max_flat_workgroup_size: 128
    .name:           _ZN7rocprim17ROCPRIM_400000_NS6detail17trampoline_kernelINS0_14default_configENS1_20scan_config_selectorIxEEZZNS1_9scan_implILNS1_25lookback_scan_determinismE0ELb0ELb0ES3_N6thrust23THRUST_200600_302600_NS6detail15normal_iteratorINS9_10device_ptrIxEEEESE_x11max_functorIxExEEDaPvRmT3_T4_T5_mT6_P12ihipStream_tbENKUlT_T0_E_clISt17integral_constantIbLb0EEST_IbLb1EEEEDaSP_SQ_EUlSP_E0_NS1_11comp_targetILNS1_3genE4ELNS1_11target_archE910ELNS1_3gpuE8ELNS1_3repE0EEENS1_30default_config_static_selectorELNS0_4arch9wavefront6targetE1EEEvT1_
    .private_segment_fixed_size: 0
    .sgpr_count:     26
    .sgpr_spill_count: 0
    .symbol:         _ZN7rocprim17ROCPRIM_400000_NS6detail17trampoline_kernelINS0_14default_configENS1_20scan_config_selectorIxEEZZNS1_9scan_implILNS1_25lookback_scan_determinismE0ELb0ELb0ES3_N6thrust23THRUST_200600_302600_NS6detail15normal_iteratorINS9_10device_ptrIxEEEESE_x11max_functorIxExEEDaPvRmT3_T4_T5_mT6_P12ihipStream_tbENKUlT_T0_E_clISt17integral_constantIbLb0EEST_IbLb1EEEEDaSP_SQ_EUlSP_E0_NS1_11comp_targetILNS1_3genE4ELNS1_11target_archE910ELNS1_3gpuE8ELNS1_3repE0EEENS1_30default_config_static_selectorELNS0_4arch9wavefront6targetE1EEEvT1_.kd
    .uniform_work_group_size: 1
    .uses_dynamic_stack: false
    .vgpr_count:     42
    .vgpr_spill_count: 0
    .wavefront_size: 64
  - .agpr_count:     0
    .args:
      - .offset:         0
        .size:           40
        .value_kind:     by_value
    .group_segment_fixed_size: 0
    .kernarg_segment_align: 8
    .kernarg_segment_size: 40
    .language:       OpenCL C
    .language_version:
      - 2
      - 0
    .max_flat_workgroup_size: 256
    .name:           _ZN7rocprim17ROCPRIM_400000_NS6detail17trampoline_kernelINS0_14default_configENS1_20scan_config_selectorIxEEZZNS1_9scan_implILNS1_25lookback_scan_determinismE0ELb0ELb0ES3_N6thrust23THRUST_200600_302600_NS6detail15normal_iteratorINS9_10device_ptrIxEEEESE_x11max_functorIxExEEDaPvRmT3_T4_T5_mT6_P12ihipStream_tbENKUlT_T0_E_clISt17integral_constantIbLb0EEST_IbLb1EEEEDaSP_SQ_EUlSP_E0_NS1_11comp_targetILNS1_3genE3ELNS1_11target_archE908ELNS1_3gpuE7ELNS1_3repE0EEENS1_30default_config_static_selectorELNS0_4arch9wavefront6targetE1EEEvT1_
    .private_segment_fixed_size: 0
    .sgpr_count:     4
    .sgpr_spill_count: 0
    .symbol:         _ZN7rocprim17ROCPRIM_400000_NS6detail17trampoline_kernelINS0_14default_configENS1_20scan_config_selectorIxEEZZNS1_9scan_implILNS1_25lookback_scan_determinismE0ELb0ELb0ES3_N6thrust23THRUST_200600_302600_NS6detail15normal_iteratorINS9_10device_ptrIxEEEESE_x11max_functorIxExEEDaPvRmT3_T4_T5_mT6_P12ihipStream_tbENKUlT_T0_E_clISt17integral_constantIbLb0EEST_IbLb1EEEEDaSP_SQ_EUlSP_E0_NS1_11comp_targetILNS1_3genE3ELNS1_11target_archE908ELNS1_3gpuE7ELNS1_3repE0EEENS1_30default_config_static_selectorELNS0_4arch9wavefront6targetE1EEEvT1_.kd
    .uniform_work_group_size: 1
    .uses_dynamic_stack: false
    .vgpr_count:     0
    .vgpr_spill_count: 0
    .wavefront_size: 64
  - .agpr_count:     0
    .args:
      - .offset:         0
        .size:           40
        .value_kind:     by_value
    .group_segment_fixed_size: 0
    .kernarg_segment_align: 8
    .kernarg_segment_size: 40
    .language:       OpenCL C
    .language_version:
      - 2
      - 0
    .max_flat_workgroup_size: 64
    .name:           _ZN7rocprim17ROCPRIM_400000_NS6detail17trampoline_kernelINS0_14default_configENS1_20scan_config_selectorIxEEZZNS1_9scan_implILNS1_25lookback_scan_determinismE0ELb0ELb0ES3_N6thrust23THRUST_200600_302600_NS6detail15normal_iteratorINS9_10device_ptrIxEEEESE_x11max_functorIxExEEDaPvRmT3_T4_T5_mT6_P12ihipStream_tbENKUlT_T0_E_clISt17integral_constantIbLb0EEST_IbLb1EEEEDaSP_SQ_EUlSP_E0_NS1_11comp_targetILNS1_3genE2ELNS1_11target_archE906ELNS1_3gpuE6ELNS1_3repE0EEENS1_30default_config_static_selectorELNS0_4arch9wavefront6targetE1EEEvT1_
    .private_segment_fixed_size: 0
    .sgpr_count:     4
    .sgpr_spill_count: 0
    .symbol:         _ZN7rocprim17ROCPRIM_400000_NS6detail17trampoline_kernelINS0_14default_configENS1_20scan_config_selectorIxEEZZNS1_9scan_implILNS1_25lookback_scan_determinismE0ELb0ELb0ES3_N6thrust23THRUST_200600_302600_NS6detail15normal_iteratorINS9_10device_ptrIxEEEESE_x11max_functorIxExEEDaPvRmT3_T4_T5_mT6_P12ihipStream_tbENKUlT_T0_E_clISt17integral_constantIbLb0EEST_IbLb1EEEEDaSP_SQ_EUlSP_E0_NS1_11comp_targetILNS1_3genE2ELNS1_11target_archE906ELNS1_3gpuE6ELNS1_3repE0EEENS1_30default_config_static_selectorELNS0_4arch9wavefront6targetE1EEEvT1_.kd
    .uniform_work_group_size: 1
    .uses_dynamic_stack: false
    .vgpr_count:     0
    .vgpr_spill_count: 0
    .wavefront_size: 64
  - .agpr_count:     0
    .args:
      - .offset:         0
        .size:           40
        .value_kind:     by_value
    .group_segment_fixed_size: 0
    .kernarg_segment_align: 8
    .kernarg_segment_size: 40
    .language:       OpenCL C
    .language_version:
      - 2
      - 0
    .max_flat_workgroup_size: 256
    .name:           _ZN7rocprim17ROCPRIM_400000_NS6detail17trampoline_kernelINS0_14default_configENS1_20scan_config_selectorIxEEZZNS1_9scan_implILNS1_25lookback_scan_determinismE0ELb0ELb0ES3_N6thrust23THRUST_200600_302600_NS6detail15normal_iteratorINS9_10device_ptrIxEEEESE_x11max_functorIxExEEDaPvRmT3_T4_T5_mT6_P12ihipStream_tbENKUlT_T0_E_clISt17integral_constantIbLb0EEST_IbLb1EEEEDaSP_SQ_EUlSP_E0_NS1_11comp_targetILNS1_3genE10ELNS1_11target_archE1201ELNS1_3gpuE5ELNS1_3repE0EEENS1_30default_config_static_selectorELNS0_4arch9wavefront6targetE1EEEvT1_
    .private_segment_fixed_size: 0
    .sgpr_count:     4
    .sgpr_spill_count: 0
    .symbol:         _ZN7rocprim17ROCPRIM_400000_NS6detail17trampoline_kernelINS0_14default_configENS1_20scan_config_selectorIxEEZZNS1_9scan_implILNS1_25lookback_scan_determinismE0ELb0ELb0ES3_N6thrust23THRUST_200600_302600_NS6detail15normal_iteratorINS9_10device_ptrIxEEEESE_x11max_functorIxExEEDaPvRmT3_T4_T5_mT6_P12ihipStream_tbENKUlT_T0_E_clISt17integral_constantIbLb0EEST_IbLb1EEEEDaSP_SQ_EUlSP_E0_NS1_11comp_targetILNS1_3genE10ELNS1_11target_archE1201ELNS1_3gpuE5ELNS1_3repE0EEENS1_30default_config_static_selectorELNS0_4arch9wavefront6targetE1EEEvT1_.kd
    .uniform_work_group_size: 1
    .uses_dynamic_stack: false
    .vgpr_count:     0
    .vgpr_spill_count: 0
    .wavefront_size: 64
  - .agpr_count:     0
    .args:
      - .offset:         0
        .size:           40
        .value_kind:     by_value
    .group_segment_fixed_size: 0
    .kernarg_segment_align: 8
    .kernarg_segment_size: 40
    .language:       OpenCL C
    .language_version:
      - 2
      - 0
    .max_flat_workgroup_size: 256
    .name:           _ZN7rocprim17ROCPRIM_400000_NS6detail17trampoline_kernelINS0_14default_configENS1_20scan_config_selectorIxEEZZNS1_9scan_implILNS1_25lookback_scan_determinismE0ELb0ELb0ES3_N6thrust23THRUST_200600_302600_NS6detail15normal_iteratorINS9_10device_ptrIxEEEESE_x11max_functorIxExEEDaPvRmT3_T4_T5_mT6_P12ihipStream_tbENKUlT_T0_E_clISt17integral_constantIbLb0EEST_IbLb1EEEEDaSP_SQ_EUlSP_E0_NS1_11comp_targetILNS1_3genE10ELNS1_11target_archE1200ELNS1_3gpuE4ELNS1_3repE0EEENS1_30default_config_static_selectorELNS0_4arch9wavefront6targetE1EEEvT1_
    .private_segment_fixed_size: 0
    .sgpr_count:     4
    .sgpr_spill_count: 0
    .symbol:         _ZN7rocprim17ROCPRIM_400000_NS6detail17trampoline_kernelINS0_14default_configENS1_20scan_config_selectorIxEEZZNS1_9scan_implILNS1_25lookback_scan_determinismE0ELb0ELb0ES3_N6thrust23THRUST_200600_302600_NS6detail15normal_iteratorINS9_10device_ptrIxEEEESE_x11max_functorIxExEEDaPvRmT3_T4_T5_mT6_P12ihipStream_tbENKUlT_T0_E_clISt17integral_constantIbLb0EEST_IbLb1EEEEDaSP_SQ_EUlSP_E0_NS1_11comp_targetILNS1_3genE10ELNS1_11target_archE1200ELNS1_3gpuE4ELNS1_3repE0EEENS1_30default_config_static_selectorELNS0_4arch9wavefront6targetE1EEEvT1_.kd
    .uniform_work_group_size: 1
    .uses_dynamic_stack: false
    .vgpr_count:     0
    .vgpr_spill_count: 0
    .wavefront_size: 64
  - .agpr_count:     0
    .args:
      - .offset:         0
        .size:           40
        .value_kind:     by_value
    .group_segment_fixed_size: 0
    .kernarg_segment_align: 8
    .kernarg_segment_size: 40
    .language:       OpenCL C
    .language_version:
      - 2
      - 0
    .max_flat_workgroup_size: 256
    .name:           _ZN7rocprim17ROCPRIM_400000_NS6detail17trampoline_kernelINS0_14default_configENS1_20scan_config_selectorIxEEZZNS1_9scan_implILNS1_25lookback_scan_determinismE0ELb0ELb0ES3_N6thrust23THRUST_200600_302600_NS6detail15normal_iteratorINS9_10device_ptrIxEEEESE_x11max_functorIxExEEDaPvRmT3_T4_T5_mT6_P12ihipStream_tbENKUlT_T0_E_clISt17integral_constantIbLb0EEST_IbLb1EEEEDaSP_SQ_EUlSP_E0_NS1_11comp_targetILNS1_3genE9ELNS1_11target_archE1100ELNS1_3gpuE3ELNS1_3repE0EEENS1_30default_config_static_selectorELNS0_4arch9wavefront6targetE1EEEvT1_
    .private_segment_fixed_size: 0
    .sgpr_count:     4
    .sgpr_spill_count: 0
    .symbol:         _ZN7rocprim17ROCPRIM_400000_NS6detail17trampoline_kernelINS0_14default_configENS1_20scan_config_selectorIxEEZZNS1_9scan_implILNS1_25lookback_scan_determinismE0ELb0ELb0ES3_N6thrust23THRUST_200600_302600_NS6detail15normal_iteratorINS9_10device_ptrIxEEEESE_x11max_functorIxExEEDaPvRmT3_T4_T5_mT6_P12ihipStream_tbENKUlT_T0_E_clISt17integral_constantIbLb0EEST_IbLb1EEEEDaSP_SQ_EUlSP_E0_NS1_11comp_targetILNS1_3genE9ELNS1_11target_archE1100ELNS1_3gpuE3ELNS1_3repE0EEENS1_30default_config_static_selectorELNS0_4arch9wavefront6targetE1EEEvT1_.kd
    .uniform_work_group_size: 1
    .uses_dynamic_stack: false
    .vgpr_count:     0
    .vgpr_spill_count: 0
    .wavefront_size: 64
  - .agpr_count:     0
    .args:
      - .offset:         0
        .size:           40
        .value_kind:     by_value
    .group_segment_fixed_size: 0
    .kernarg_segment_align: 8
    .kernarg_segment_size: 40
    .language:       OpenCL C
    .language_version:
      - 2
      - 0
    .max_flat_workgroup_size: 256
    .name:           _ZN7rocprim17ROCPRIM_400000_NS6detail17trampoline_kernelINS0_14default_configENS1_20scan_config_selectorIxEEZZNS1_9scan_implILNS1_25lookback_scan_determinismE0ELb0ELb0ES3_N6thrust23THRUST_200600_302600_NS6detail15normal_iteratorINS9_10device_ptrIxEEEESE_x11max_functorIxExEEDaPvRmT3_T4_T5_mT6_P12ihipStream_tbENKUlT_T0_E_clISt17integral_constantIbLb0EEST_IbLb1EEEEDaSP_SQ_EUlSP_E0_NS1_11comp_targetILNS1_3genE8ELNS1_11target_archE1030ELNS1_3gpuE2ELNS1_3repE0EEENS1_30default_config_static_selectorELNS0_4arch9wavefront6targetE1EEEvT1_
    .private_segment_fixed_size: 0
    .sgpr_count:     4
    .sgpr_spill_count: 0
    .symbol:         _ZN7rocprim17ROCPRIM_400000_NS6detail17trampoline_kernelINS0_14default_configENS1_20scan_config_selectorIxEEZZNS1_9scan_implILNS1_25lookback_scan_determinismE0ELb0ELb0ES3_N6thrust23THRUST_200600_302600_NS6detail15normal_iteratorINS9_10device_ptrIxEEEESE_x11max_functorIxExEEDaPvRmT3_T4_T5_mT6_P12ihipStream_tbENKUlT_T0_E_clISt17integral_constantIbLb0EEST_IbLb1EEEEDaSP_SQ_EUlSP_E0_NS1_11comp_targetILNS1_3genE8ELNS1_11target_archE1030ELNS1_3gpuE2ELNS1_3repE0EEENS1_30default_config_static_selectorELNS0_4arch9wavefront6targetE1EEEvT1_.kd
    .uniform_work_group_size: 1
    .uses_dynamic_stack: false
    .vgpr_count:     0
    .vgpr_spill_count: 0
    .wavefront_size: 64
  - .agpr_count:     0
    .args:
      - .offset:         0
        .size:           104
        .value_kind:     by_value
    .group_segment_fixed_size: 0
    .kernarg_segment_align: 8
    .kernarg_segment_size: 104
    .language:       OpenCL C
    .language_version:
      - 2
      - 0
    .max_flat_workgroup_size: 256
    .name:           _ZN7rocprim17ROCPRIM_400000_NS6detail17trampoline_kernelINS0_14default_configENS1_20scan_config_selectorIxEEZZNS1_9scan_implILNS1_25lookback_scan_determinismE0ELb1ELb1ES3_N6thrust23THRUST_200600_302600_NS6detail15normal_iteratorINS9_10device_ptrIxEEEESE_x11max_functorIxExEEDaPvRmT3_T4_T5_mT6_P12ihipStream_tbENKUlT_T0_E_clISt17integral_constantIbLb0EESU_EEDaSP_SQ_EUlSP_E_NS1_11comp_targetILNS1_3genE0ELNS1_11target_archE4294967295ELNS1_3gpuE0ELNS1_3repE0EEENS1_30default_config_static_selectorELNS0_4arch9wavefront6targetE1EEEvT1_
    .private_segment_fixed_size: 0
    .sgpr_count:     4
    .sgpr_spill_count: 0
    .symbol:         _ZN7rocprim17ROCPRIM_400000_NS6detail17trampoline_kernelINS0_14default_configENS1_20scan_config_selectorIxEEZZNS1_9scan_implILNS1_25lookback_scan_determinismE0ELb1ELb1ES3_N6thrust23THRUST_200600_302600_NS6detail15normal_iteratorINS9_10device_ptrIxEEEESE_x11max_functorIxExEEDaPvRmT3_T4_T5_mT6_P12ihipStream_tbENKUlT_T0_E_clISt17integral_constantIbLb0EESU_EEDaSP_SQ_EUlSP_E_NS1_11comp_targetILNS1_3genE0ELNS1_11target_archE4294967295ELNS1_3gpuE0ELNS1_3repE0EEENS1_30default_config_static_selectorELNS0_4arch9wavefront6targetE1EEEvT1_.kd
    .uniform_work_group_size: 1
    .uses_dynamic_stack: false
    .vgpr_count:     0
    .vgpr_spill_count: 0
    .wavefront_size: 64
  - .agpr_count:     0
    .args:
      - .offset:         0
        .size:           104
        .value_kind:     by_value
    .group_segment_fixed_size: 0
    .kernarg_segment_align: 8
    .kernarg_segment_size: 104
    .language:       OpenCL C
    .language_version:
      - 2
      - 0
    .max_flat_workgroup_size: 256
    .name:           _ZN7rocprim17ROCPRIM_400000_NS6detail17trampoline_kernelINS0_14default_configENS1_20scan_config_selectorIxEEZZNS1_9scan_implILNS1_25lookback_scan_determinismE0ELb1ELb1ES3_N6thrust23THRUST_200600_302600_NS6detail15normal_iteratorINS9_10device_ptrIxEEEESE_x11max_functorIxExEEDaPvRmT3_T4_T5_mT6_P12ihipStream_tbENKUlT_T0_E_clISt17integral_constantIbLb0EESU_EEDaSP_SQ_EUlSP_E_NS1_11comp_targetILNS1_3genE5ELNS1_11target_archE942ELNS1_3gpuE9ELNS1_3repE0EEENS1_30default_config_static_selectorELNS0_4arch9wavefront6targetE1EEEvT1_
    .private_segment_fixed_size: 0
    .sgpr_count:     4
    .sgpr_spill_count: 0
    .symbol:         _ZN7rocprim17ROCPRIM_400000_NS6detail17trampoline_kernelINS0_14default_configENS1_20scan_config_selectorIxEEZZNS1_9scan_implILNS1_25lookback_scan_determinismE0ELb1ELb1ES3_N6thrust23THRUST_200600_302600_NS6detail15normal_iteratorINS9_10device_ptrIxEEEESE_x11max_functorIxExEEDaPvRmT3_T4_T5_mT6_P12ihipStream_tbENKUlT_T0_E_clISt17integral_constantIbLb0EESU_EEDaSP_SQ_EUlSP_E_NS1_11comp_targetILNS1_3genE5ELNS1_11target_archE942ELNS1_3gpuE9ELNS1_3repE0EEENS1_30default_config_static_selectorELNS0_4arch9wavefront6targetE1EEEvT1_.kd
    .uniform_work_group_size: 1
    .uses_dynamic_stack: false
    .vgpr_count:     0
    .vgpr_spill_count: 0
    .wavefront_size: 64
  - .agpr_count:     0
    .args:
      - .offset:         0
        .size:           104
        .value_kind:     by_value
    .group_segment_fixed_size: 7168
    .kernarg_segment_align: 8
    .kernarg_segment_size: 104
    .language:       OpenCL C
    .language_version:
      - 2
      - 0
    .max_flat_workgroup_size: 128
    .name:           _ZN7rocprim17ROCPRIM_400000_NS6detail17trampoline_kernelINS0_14default_configENS1_20scan_config_selectorIxEEZZNS1_9scan_implILNS1_25lookback_scan_determinismE0ELb1ELb1ES3_N6thrust23THRUST_200600_302600_NS6detail15normal_iteratorINS9_10device_ptrIxEEEESE_x11max_functorIxExEEDaPvRmT3_T4_T5_mT6_P12ihipStream_tbENKUlT_T0_E_clISt17integral_constantIbLb0EESU_EEDaSP_SQ_EUlSP_E_NS1_11comp_targetILNS1_3genE4ELNS1_11target_archE910ELNS1_3gpuE8ELNS1_3repE0EEENS1_30default_config_static_selectorELNS0_4arch9wavefront6targetE1EEEvT1_
    .private_segment_fixed_size: 0
    .sgpr_count:     39
    .sgpr_spill_count: 0
    .symbol:         _ZN7rocprim17ROCPRIM_400000_NS6detail17trampoline_kernelINS0_14default_configENS1_20scan_config_selectorIxEEZZNS1_9scan_implILNS1_25lookback_scan_determinismE0ELb1ELb1ES3_N6thrust23THRUST_200600_302600_NS6detail15normal_iteratorINS9_10device_ptrIxEEEESE_x11max_functorIxExEEDaPvRmT3_T4_T5_mT6_P12ihipStream_tbENKUlT_T0_E_clISt17integral_constantIbLb0EESU_EEDaSP_SQ_EUlSP_E_NS1_11comp_targetILNS1_3genE4ELNS1_11target_archE910ELNS1_3gpuE8ELNS1_3repE0EEENS1_30default_config_static_selectorELNS0_4arch9wavefront6targetE1EEEvT1_.kd
    .uniform_work_group_size: 1
    .uses_dynamic_stack: false
    .vgpr_count:     58
    .vgpr_spill_count: 0
    .wavefront_size: 64
  - .agpr_count:     0
    .args:
      - .offset:         0
        .size:           104
        .value_kind:     by_value
    .group_segment_fixed_size: 0
    .kernarg_segment_align: 8
    .kernarg_segment_size: 104
    .language:       OpenCL C
    .language_version:
      - 2
      - 0
    .max_flat_workgroup_size: 256
    .name:           _ZN7rocprim17ROCPRIM_400000_NS6detail17trampoline_kernelINS0_14default_configENS1_20scan_config_selectorIxEEZZNS1_9scan_implILNS1_25lookback_scan_determinismE0ELb1ELb1ES3_N6thrust23THRUST_200600_302600_NS6detail15normal_iteratorINS9_10device_ptrIxEEEESE_x11max_functorIxExEEDaPvRmT3_T4_T5_mT6_P12ihipStream_tbENKUlT_T0_E_clISt17integral_constantIbLb0EESU_EEDaSP_SQ_EUlSP_E_NS1_11comp_targetILNS1_3genE3ELNS1_11target_archE908ELNS1_3gpuE7ELNS1_3repE0EEENS1_30default_config_static_selectorELNS0_4arch9wavefront6targetE1EEEvT1_
    .private_segment_fixed_size: 0
    .sgpr_count:     4
    .sgpr_spill_count: 0
    .symbol:         _ZN7rocprim17ROCPRIM_400000_NS6detail17trampoline_kernelINS0_14default_configENS1_20scan_config_selectorIxEEZZNS1_9scan_implILNS1_25lookback_scan_determinismE0ELb1ELb1ES3_N6thrust23THRUST_200600_302600_NS6detail15normal_iteratorINS9_10device_ptrIxEEEESE_x11max_functorIxExEEDaPvRmT3_T4_T5_mT6_P12ihipStream_tbENKUlT_T0_E_clISt17integral_constantIbLb0EESU_EEDaSP_SQ_EUlSP_E_NS1_11comp_targetILNS1_3genE3ELNS1_11target_archE908ELNS1_3gpuE7ELNS1_3repE0EEENS1_30default_config_static_selectorELNS0_4arch9wavefront6targetE1EEEvT1_.kd
    .uniform_work_group_size: 1
    .uses_dynamic_stack: false
    .vgpr_count:     0
    .vgpr_spill_count: 0
    .wavefront_size: 64
  - .agpr_count:     0
    .args:
      - .offset:         0
        .size:           104
        .value_kind:     by_value
    .group_segment_fixed_size: 0
    .kernarg_segment_align: 8
    .kernarg_segment_size: 104
    .language:       OpenCL C
    .language_version:
      - 2
      - 0
    .max_flat_workgroup_size: 64
    .name:           _ZN7rocprim17ROCPRIM_400000_NS6detail17trampoline_kernelINS0_14default_configENS1_20scan_config_selectorIxEEZZNS1_9scan_implILNS1_25lookback_scan_determinismE0ELb1ELb1ES3_N6thrust23THRUST_200600_302600_NS6detail15normal_iteratorINS9_10device_ptrIxEEEESE_x11max_functorIxExEEDaPvRmT3_T4_T5_mT6_P12ihipStream_tbENKUlT_T0_E_clISt17integral_constantIbLb0EESU_EEDaSP_SQ_EUlSP_E_NS1_11comp_targetILNS1_3genE2ELNS1_11target_archE906ELNS1_3gpuE6ELNS1_3repE0EEENS1_30default_config_static_selectorELNS0_4arch9wavefront6targetE1EEEvT1_
    .private_segment_fixed_size: 0
    .sgpr_count:     4
    .sgpr_spill_count: 0
    .symbol:         _ZN7rocprim17ROCPRIM_400000_NS6detail17trampoline_kernelINS0_14default_configENS1_20scan_config_selectorIxEEZZNS1_9scan_implILNS1_25lookback_scan_determinismE0ELb1ELb1ES3_N6thrust23THRUST_200600_302600_NS6detail15normal_iteratorINS9_10device_ptrIxEEEESE_x11max_functorIxExEEDaPvRmT3_T4_T5_mT6_P12ihipStream_tbENKUlT_T0_E_clISt17integral_constantIbLb0EESU_EEDaSP_SQ_EUlSP_E_NS1_11comp_targetILNS1_3genE2ELNS1_11target_archE906ELNS1_3gpuE6ELNS1_3repE0EEENS1_30default_config_static_selectorELNS0_4arch9wavefront6targetE1EEEvT1_.kd
    .uniform_work_group_size: 1
    .uses_dynamic_stack: false
    .vgpr_count:     0
    .vgpr_spill_count: 0
    .wavefront_size: 64
  - .agpr_count:     0
    .args:
      - .offset:         0
        .size:           104
        .value_kind:     by_value
    .group_segment_fixed_size: 0
    .kernarg_segment_align: 8
    .kernarg_segment_size: 104
    .language:       OpenCL C
    .language_version:
      - 2
      - 0
    .max_flat_workgroup_size: 256
    .name:           _ZN7rocprim17ROCPRIM_400000_NS6detail17trampoline_kernelINS0_14default_configENS1_20scan_config_selectorIxEEZZNS1_9scan_implILNS1_25lookback_scan_determinismE0ELb1ELb1ES3_N6thrust23THRUST_200600_302600_NS6detail15normal_iteratorINS9_10device_ptrIxEEEESE_x11max_functorIxExEEDaPvRmT3_T4_T5_mT6_P12ihipStream_tbENKUlT_T0_E_clISt17integral_constantIbLb0EESU_EEDaSP_SQ_EUlSP_E_NS1_11comp_targetILNS1_3genE10ELNS1_11target_archE1201ELNS1_3gpuE5ELNS1_3repE0EEENS1_30default_config_static_selectorELNS0_4arch9wavefront6targetE1EEEvT1_
    .private_segment_fixed_size: 0
    .sgpr_count:     4
    .sgpr_spill_count: 0
    .symbol:         _ZN7rocprim17ROCPRIM_400000_NS6detail17trampoline_kernelINS0_14default_configENS1_20scan_config_selectorIxEEZZNS1_9scan_implILNS1_25lookback_scan_determinismE0ELb1ELb1ES3_N6thrust23THRUST_200600_302600_NS6detail15normal_iteratorINS9_10device_ptrIxEEEESE_x11max_functorIxExEEDaPvRmT3_T4_T5_mT6_P12ihipStream_tbENKUlT_T0_E_clISt17integral_constantIbLb0EESU_EEDaSP_SQ_EUlSP_E_NS1_11comp_targetILNS1_3genE10ELNS1_11target_archE1201ELNS1_3gpuE5ELNS1_3repE0EEENS1_30default_config_static_selectorELNS0_4arch9wavefront6targetE1EEEvT1_.kd
    .uniform_work_group_size: 1
    .uses_dynamic_stack: false
    .vgpr_count:     0
    .vgpr_spill_count: 0
    .wavefront_size: 64
  - .agpr_count:     0
    .args:
      - .offset:         0
        .size:           104
        .value_kind:     by_value
    .group_segment_fixed_size: 0
    .kernarg_segment_align: 8
    .kernarg_segment_size: 104
    .language:       OpenCL C
    .language_version:
      - 2
      - 0
    .max_flat_workgroup_size: 256
    .name:           _ZN7rocprim17ROCPRIM_400000_NS6detail17trampoline_kernelINS0_14default_configENS1_20scan_config_selectorIxEEZZNS1_9scan_implILNS1_25lookback_scan_determinismE0ELb1ELb1ES3_N6thrust23THRUST_200600_302600_NS6detail15normal_iteratorINS9_10device_ptrIxEEEESE_x11max_functorIxExEEDaPvRmT3_T4_T5_mT6_P12ihipStream_tbENKUlT_T0_E_clISt17integral_constantIbLb0EESU_EEDaSP_SQ_EUlSP_E_NS1_11comp_targetILNS1_3genE10ELNS1_11target_archE1200ELNS1_3gpuE4ELNS1_3repE0EEENS1_30default_config_static_selectorELNS0_4arch9wavefront6targetE1EEEvT1_
    .private_segment_fixed_size: 0
    .sgpr_count:     4
    .sgpr_spill_count: 0
    .symbol:         _ZN7rocprim17ROCPRIM_400000_NS6detail17trampoline_kernelINS0_14default_configENS1_20scan_config_selectorIxEEZZNS1_9scan_implILNS1_25lookback_scan_determinismE0ELb1ELb1ES3_N6thrust23THRUST_200600_302600_NS6detail15normal_iteratorINS9_10device_ptrIxEEEESE_x11max_functorIxExEEDaPvRmT3_T4_T5_mT6_P12ihipStream_tbENKUlT_T0_E_clISt17integral_constantIbLb0EESU_EEDaSP_SQ_EUlSP_E_NS1_11comp_targetILNS1_3genE10ELNS1_11target_archE1200ELNS1_3gpuE4ELNS1_3repE0EEENS1_30default_config_static_selectorELNS0_4arch9wavefront6targetE1EEEvT1_.kd
    .uniform_work_group_size: 1
    .uses_dynamic_stack: false
    .vgpr_count:     0
    .vgpr_spill_count: 0
    .wavefront_size: 64
  - .agpr_count:     0
    .args:
      - .offset:         0
        .size:           104
        .value_kind:     by_value
    .group_segment_fixed_size: 0
    .kernarg_segment_align: 8
    .kernarg_segment_size: 104
    .language:       OpenCL C
    .language_version:
      - 2
      - 0
    .max_flat_workgroup_size: 256
    .name:           _ZN7rocprim17ROCPRIM_400000_NS6detail17trampoline_kernelINS0_14default_configENS1_20scan_config_selectorIxEEZZNS1_9scan_implILNS1_25lookback_scan_determinismE0ELb1ELb1ES3_N6thrust23THRUST_200600_302600_NS6detail15normal_iteratorINS9_10device_ptrIxEEEESE_x11max_functorIxExEEDaPvRmT3_T4_T5_mT6_P12ihipStream_tbENKUlT_T0_E_clISt17integral_constantIbLb0EESU_EEDaSP_SQ_EUlSP_E_NS1_11comp_targetILNS1_3genE9ELNS1_11target_archE1100ELNS1_3gpuE3ELNS1_3repE0EEENS1_30default_config_static_selectorELNS0_4arch9wavefront6targetE1EEEvT1_
    .private_segment_fixed_size: 0
    .sgpr_count:     4
    .sgpr_spill_count: 0
    .symbol:         _ZN7rocprim17ROCPRIM_400000_NS6detail17trampoline_kernelINS0_14default_configENS1_20scan_config_selectorIxEEZZNS1_9scan_implILNS1_25lookback_scan_determinismE0ELb1ELb1ES3_N6thrust23THRUST_200600_302600_NS6detail15normal_iteratorINS9_10device_ptrIxEEEESE_x11max_functorIxExEEDaPvRmT3_T4_T5_mT6_P12ihipStream_tbENKUlT_T0_E_clISt17integral_constantIbLb0EESU_EEDaSP_SQ_EUlSP_E_NS1_11comp_targetILNS1_3genE9ELNS1_11target_archE1100ELNS1_3gpuE3ELNS1_3repE0EEENS1_30default_config_static_selectorELNS0_4arch9wavefront6targetE1EEEvT1_.kd
    .uniform_work_group_size: 1
    .uses_dynamic_stack: false
    .vgpr_count:     0
    .vgpr_spill_count: 0
    .wavefront_size: 64
  - .agpr_count:     0
    .args:
      - .offset:         0
        .size:           104
        .value_kind:     by_value
    .group_segment_fixed_size: 0
    .kernarg_segment_align: 8
    .kernarg_segment_size: 104
    .language:       OpenCL C
    .language_version:
      - 2
      - 0
    .max_flat_workgroup_size: 256
    .name:           _ZN7rocprim17ROCPRIM_400000_NS6detail17trampoline_kernelINS0_14default_configENS1_20scan_config_selectorIxEEZZNS1_9scan_implILNS1_25lookback_scan_determinismE0ELb1ELb1ES3_N6thrust23THRUST_200600_302600_NS6detail15normal_iteratorINS9_10device_ptrIxEEEESE_x11max_functorIxExEEDaPvRmT3_T4_T5_mT6_P12ihipStream_tbENKUlT_T0_E_clISt17integral_constantIbLb0EESU_EEDaSP_SQ_EUlSP_E_NS1_11comp_targetILNS1_3genE8ELNS1_11target_archE1030ELNS1_3gpuE2ELNS1_3repE0EEENS1_30default_config_static_selectorELNS0_4arch9wavefront6targetE1EEEvT1_
    .private_segment_fixed_size: 0
    .sgpr_count:     4
    .sgpr_spill_count: 0
    .symbol:         _ZN7rocprim17ROCPRIM_400000_NS6detail17trampoline_kernelINS0_14default_configENS1_20scan_config_selectorIxEEZZNS1_9scan_implILNS1_25lookback_scan_determinismE0ELb1ELb1ES3_N6thrust23THRUST_200600_302600_NS6detail15normal_iteratorINS9_10device_ptrIxEEEESE_x11max_functorIxExEEDaPvRmT3_T4_T5_mT6_P12ihipStream_tbENKUlT_T0_E_clISt17integral_constantIbLb0EESU_EEDaSP_SQ_EUlSP_E_NS1_11comp_targetILNS1_3genE8ELNS1_11target_archE1030ELNS1_3gpuE2ELNS1_3repE0EEENS1_30default_config_static_selectorELNS0_4arch9wavefront6targetE1EEEvT1_.kd
    .uniform_work_group_size: 1
    .uses_dynamic_stack: false
    .vgpr_count:     0
    .vgpr_spill_count: 0
    .wavefront_size: 64
  - .agpr_count:     0
    .args:
      - .offset:         0
        .size:           40
        .value_kind:     by_value
    .group_segment_fixed_size: 0
    .kernarg_segment_align: 8
    .kernarg_segment_size: 40
    .language:       OpenCL C
    .language_version:
      - 2
      - 0
    .max_flat_workgroup_size: 256
    .name:           _ZN7rocprim17ROCPRIM_400000_NS6detail17trampoline_kernelINS0_14default_configENS1_20scan_config_selectorIxEEZZNS1_9scan_implILNS1_25lookback_scan_determinismE0ELb1ELb1ES3_N6thrust23THRUST_200600_302600_NS6detail15normal_iteratorINS9_10device_ptrIxEEEESE_x11max_functorIxExEEDaPvRmT3_T4_T5_mT6_P12ihipStream_tbENKUlT_T0_E_clISt17integral_constantIbLb0EESU_EEDaSP_SQ_EUlSP_E0_NS1_11comp_targetILNS1_3genE0ELNS1_11target_archE4294967295ELNS1_3gpuE0ELNS1_3repE0EEENS1_30default_config_static_selectorELNS0_4arch9wavefront6targetE1EEEvT1_
    .private_segment_fixed_size: 0
    .sgpr_count:     4
    .sgpr_spill_count: 0
    .symbol:         _ZN7rocprim17ROCPRIM_400000_NS6detail17trampoline_kernelINS0_14default_configENS1_20scan_config_selectorIxEEZZNS1_9scan_implILNS1_25lookback_scan_determinismE0ELb1ELb1ES3_N6thrust23THRUST_200600_302600_NS6detail15normal_iteratorINS9_10device_ptrIxEEEESE_x11max_functorIxExEEDaPvRmT3_T4_T5_mT6_P12ihipStream_tbENKUlT_T0_E_clISt17integral_constantIbLb0EESU_EEDaSP_SQ_EUlSP_E0_NS1_11comp_targetILNS1_3genE0ELNS1_11target_archE4294967295ELNS1_3gpuE0ELNS1_3repE0EEENS1_30default_config_static_selectorELNS0_4arch9wavefront6targetE1EEEvT1_.kd
    .uniform_work_group_size: 1
    .uses_dynamic_stack: false
    .vgpr_count:     0
    .vgpr_spill_count: 0
    .wavefront_size: 64
  - .agpr_count:     0
    .args:
      - .offset:         0
        .size:           40
        .value_kind:     by_value
    .group_segment_fixed_size: 0
    .kernarg_segment_align: 8
    .kernarg_segment_size: 40
    .language:       OpenCL C
    .language_version:
      - 2
      - 0
    .max_flat_workgroup_size: 256
    .name:           _ZN7rocprim17ROCPRIM_400000_NS6detail17trampoline_kernelINS0_14default_configENS1_20scan_config_selectorIxEEZZNS1_9scan_implILNS1_25lookback_scan_determinismE0ELb1ELb1ES3_N6thrust23THRUST_200600_302600_NS6detail15normal_iteratorINS9_10device_ptrIxEEEESE_x11max_functorIxExEEDaPvRmT3_T4_T5_mT6_P12ihipStream_tbENKUlT_T0_E_clISt17integral_constantIbLb0EESU_EEDaSP_SQ_EUlSP_E0_NS1_11comp_targetILNS1_3genE5ELNS1_11target_archE942ELNS1_3gpuE9ELNS1_3repE0EEENS1_30default_config_static_selectorELNS0_4arch9wavefront6targetE1EEEvT1_
    .private_segment_fixed_size: 0
    .sgpr_count:     4
    .sgpr_spill_count: 0
    .symbol:         _ZN7rocprim17ROCPRIM_400000_NS6detail17trampoline_kernelINS0_14default_configENS1_20scan_config_selectorIxEEZZNS1_9scan_implILNS1_25lookback_scan_determinismE0ELb1ELb1ES3_N6thrust23THRUST_200600_302600_NS6detail15normal_iteratorINS9_10device_ptrIxEEEESE_x11max_functorIxExEEDaPvRmT3_T4_T5_mT6_P12ihipStream_tbENKUlT_T0_E_clISt17integral_constantIbLb0EESU_EEDaSP_SQ_EUlSP_E0_NS1_11comp_targetILNS1_3genE5ELNS1_11target_archE942ELNS1_3gpuE9ELNS1_3repE0EEENS1_30default_config_static_selectorELNS0_4arch9wavefront6targetE1EEEvT1_.kd
    .uniform_work_group_size: 1
    .uses_dynamic_stack: false
    .vgpr_count:     0
    .vgpr_spill_count: 0
    .wavefront_size: 64
  - .agpr_count:     0
    .args:
      - .offset:         0
        .size:           40
        .value_kind:     by_value
    .group_segment_fixed_size: 7168
    .kernarg_segment_align: 8
    .kernarg_segment_size: 40
    .language:       OpenCL C
    .language_version:
      - 2
      - 0
    .max_flat_workgroup_size: 128
    .name:           _ZN7rocprim17ROCPRIM_400000_NS6detail17trampoline_kernelINS0_14default_configENS1_20scan_config_selectorIxEEZZNS1_9scan_implILNS1_25lookback_scan_determinismE0ELb1ELb1ES3_N6thrust23THRUST_200600_302600_NS6detail15normal_iteratorINS9_10device_ptrIxEEEESE_x11max_functorIxExEEDaPvRmT3_T4_T5_mT6_P12ihipStream_tbENKUlT_T0_E_clISt17integral_constantIbLb0EESU_EEDaSP_SQ_EUlSP_E0_NS1_11comp_targetILNS1_3genE4ELNS1_11target_archE910ELNS1_3gpuE8ELNS1_3repE0EEENS1_30default_config_static_selectorELNS0_4arch9wavefront6targetE1EEEvT1_
    .private_segment_fixed_size: 0
    .sgpr_count:     28
    .sgpr_spill_count: 0
    .symbol:         _ZN7rocprim17ROCPRIM_400000_NS6detail17trampoline_kernelINS0_14default_configENS1_20scan_config_selectorIxEEZZNS1_9scan_implILNS1_25lookback_scan_determinismE0ELb1ELb1ES3_N6thrust23THRUST_200600_302600_NS6detail15normal_iteratorINS9_10device_ptrIxEEEESE_x11max_functorIxExEEDaPvRmT3_T4_T5_mT6_P12ihipStream_tbENKUlT_T0_E_clISt17integral_constantIbLb0EESU_EEDaSP_SQ_EUlSP_E0_NS1_11comp_targetILNS1_3genE4ELNS1_11target_archE910ELNS1_3gpuE8ELNS1_3repE0EEENS1_30default_config_static_selectorELNS0_4arch9wavefront6targetE1EEEvT1_.kd
    .uniform_work_group_size: 1
    .uses_dynamic_stack: false
    .vgpr_count:     30
    .vgpr_spill_count: 0
    .wavefront_size: 64
  - .agpr_count:     0
    .args:
      - .offset:         0
        .size:           40
        .value_kind:     by_value
    .group_segment_fixed_size: 0
    .kernarg_segment_align: 8
    .kernarg_segment_size: 40
    .language:       OpenCL C
    .language_version:
      - 2
      - 0
    .max_flat_workgroup_size: 256
    .name:           _ZN7rocprim17ROCPRIM_400000_NS6detail17trampoline_kernelINS0_14default_configENS1_20scan_config_selectorIxEEZZNS1_9scan_implILNS1_25lookback_scan_determinismE0ELb1ELb1ES3_N6thrust23THRUST_200600_302600_NS6detail15normal_iteratorINS9_10device_ptrIxEEEESE_x11max_functorIxExEEDaPvRmT3_T4_T5_mT6_P12ihipStream_tbENKUlT_T0_E_clISt17integral_constantIbLb0EESU_EEDaSP_SQ_EUlSP_E0_NS1_11comp_targetILNS1_3genE3ELNS1_11target_archE908ELNS1_3gpuE7ELNS1_3repE0EEENS1_30default_config_static_selectorELNS0_4arch9wavefront6targetE1EEEvT1_
    .private_segment_fixed_size: 0
    .sgpr_count:     4
    .sgpr_spill_count: 0
    .symbol:         _ZN7rocprim17ROCPRIM_400000_NS6detail17trampoline_kernelINS0_14default_configENS1_20scan_config_selectorIxEEZZNS1_9scan_implILNS1_25lookback_scan_determinismE0ELb1ELb1ES3_N6thrust23THRUST_200600_302600_NS6detail15normal_iteratorINS9_10device_ptrIxEEEESE_x11max_functorIxExEEDaPvRmT3_T4_T5_mT6_P12ihipStream_tbENKUlT_T0_E_clISt17integral_constantIbLb0EESU_EEDaSP_SQ_EUlSP_E0_NS1_11comp_targetILNS1_3genE3ELNS1_11target_archE908ELNS1_3gpuE7ELNS1_3repE0EEENS1_30default_config_static_selectorELNS0_4arch9wavefront6targetE1EEEvT1_.kd
    .uniform_work_group_size: 1
    .uses_dynamic_stack: false
    .vgpr_count:     0
    .vgpr_spill_count: 0
    .wavefront_size: 64
  - .agpr_count:     0
    .args:
      - .offset:         0
        .size:           40
        .value_kind:     by_value
    .group_segment_fixed_size: 0
    .kernarg_segment_align: 8
    .kernarg_segment_size: 40
    .language:       OpenCL C
    .language_version:
      - 2
      - 0
    .max_flat_workgroup_size: 64
    .name:           _ZN7rocprim17ROCPRIM_400000_NS6detail17trampoline_kernelINS0_14default_configENS1_20scan_config_selectorIxEEZZNS1_9scan_implILNS1_25lookback_scan_determinismE0ELb1ELb1ES3_N6thrust23THRUST_200600_302600_NS6detail15normal_iteratorINS9_10device_ptrIxEEEESE_x11max_functorIxExEEDaPvRmT3_T4_T5_mT6_P12ihipStream_tbENKUlT_T0_E_clISt17integral_constantIbLb0EESU_EEDaSP_SQ_EUlSP_E0_NS1_11comp_targetILNS1_3genE2ELNS1_11target_archE906ELNS1_3gpuE6ELNS1_3repE0EEENS1_30default_config_static_selectorELNS0_4arch9wavefront6targetE1EEEvT1_
    .private_segment_fixed_size: 0
    .sgpr_count:     4
    .sgpr_spill_count: 0
    .symbol:         _ZN7rocprim17ROCPRIM_400000_NS6detail17trampoline_kernelINS0_14default_configENS1_20scan_config_selectorIxEEZZNS1_9scan_implILNS1_25lookback_scan_determinismE0ELb1ELb1ES3_N6thrust23THRUST_200600_302600_NS6detail15normal_iteratorINS9_10device_ptrIxEEEESE_x11max_functorIxExEEDaPvRmT3_T4_T5_mT6_P12ihipStream_tbENKUlT_T0_E_clISt17integral_constantIbLb0EESU_EEDaSP_SQ_EUlSP_E0_NS1_11comp_targetILNS1_3genE2ELNS1_11target_archE906ELNS1_3gpuE6ELNS1_3repE0EEENS1_30default_config_static_selectorELNS0_4arch9wavefront6targetE1EEEvT1_.kd
    .uniform_work_group_size: 1
    .uses_dynamic_stack: false
    .vgpr_count:     0
    .vgpr_spill_count: 0
    .wavefront_size: 64
  - .agpr_count:     0
    .args:
      - .offset:         0
        .size:           40
        .value_kind:     by_value
    .group_segment_fixed_size: 0
    .kernarg_segment_align: 8
    .kernarg_segment_size: 40
    .language:       OpenCL C
    .language_version:
      - 2
      - 0
    .max_flat_workgroup_size: 256
    .name:           _ZN7rocprim17ROCPRIM_400000_NS6detail17trampoline_kernelINS0_14default_configENS1_20scan_config_selectorIxEEZZNS1_9scan_implILNS1_25lookback_scan_determinismE0ELb1ELb1ES3_N6thrust23THRUST_200600_302600_NS6detail15normal_iteratorINS9_10device_ptrIxEEEESE_x11max_functorIxExEEDaPvRmT3_T4_T5_mT6_P12ihipStream_tbENKUlT_T0_E_clISt17integral_constantIbLb0EESU_EEDaSP_SQ_EUlSP_E0_NS1_11comp_targetILNS1_3genE10ELNS1_11target_archE1201ELNS1_3gpuE5ELNS1_3repE0EEENS1_30default_config_static_selectorELNS0_4arch9wavefront6targetE1EEEvT1_
    .private_segment_fixed_size: 0
    .sgpr_count:     4
    .sgpr_spill_count: 0
    .symbol:         _ZN7rocprim17ROCPRIM_400000_NS6detail17trampoline_kernelINS0_14default_configENS1_20scan_config_selectorIxEEZZNS1_9scan_implILNS1_25lookback_scan_determinismE0ELb1ELb1ES3_N6thrust23THRUST_200600_302600_NS6detail15normal_iteratorINS9_10device_ptrIxEEEESE_x11max_functorIxExEEDaPvRmT3_T4_T5_mT6_P12ihipStream_tbENKUlT_T0_E_clISt17integral_constantIbLb0EESU_EEDaSP_SQ_EUlSP_E0_NS1_11comp_targetILNS1_3genE10ELNS1_11target_archE1201ELNS1_3gpuE5ELNS1_3repE0EEENS1_30default_config_static_selectorELNS0_4arch9wavefront6targetE1EEEvT1_.kd
    .uniform_work_group_size: 1
    .uses_dynamic_stack: false
    .vgpr_count:     0
    .vgpr_spill_count: 0
    .wavefront_size: 64
  - .agpr_count:     0
    .args:
      - .offset:         0
        .size:           40
        .value_kind:     by_value
    .group_segment_fixed_size: 0
    .kernarg_segment_align: 8
    .kernarg_segment_size: 40
    .language:       OpenCL C
    .language_version:
      - 2
      - 0
    .max_flat_workgroup_size: 256
    .name:           _ZN7rocprim17ROCPRIM_400000_NS6detail17trampoline_kernelINS0_14default_configENS1_20scan_config_selectorIxEEZZNS1_9scan_implILNS1_25lookback_scan_determinismE0ELb1ELb1ES3_N6thrust23THRUST_200600_302600_NS6detail15normal_iteratorINS9_10device_ptrIxEEEESE_x11max_functorIxExEEDaPvRmT3_T4_T5_mT6_P12ihipStream_tbENKUlT_T0_E_clISt17integral_constantIbLb0EESU_EEDaSP_SQ_EUlSP_E0_NS1_11comp_targetILNS1_3genE10ELNS1_11target_archE1200ELNS1_3gpuE4ELNS1_3repE0EEENS1_30default_config_static_selectorELNS0_4arch9wavefront6targetE1EEEvT1_
    .private_segment_fixed_size: 0
    .sgpr_count:     4
    .sgpr_spill_count: 0
    .symbol:         _ZN7rocprim17ROCPRIM_400000_NS6detail17trampoline_kernelINS0_14default_configENS1_20scan_config_selectorIxEEZZNS1_9scan_implILNS1_25lookback_scan_determinismE0ELb1ELb1ES3_N6thrust23THRUST_200600_302600_NS6detail15normal_iteratorINS9_10device_ptrIxEEEESE_x11max_functorIxExEEDaPvRmT3_T4_T5_mT6_P12ihipStream_tbENKUlT_T0_E_clISt17integral_constantIbLb0EESU_EEDaSP_SQ_EUlSP_E0_NS1_11comp_targetILNS1_3genE10ELNS1_11target_archE1200ELNS1_3gpuE4ELNS1_3repE0EEENS1_30default_config_static_selectorELNS0_4arch9wavefront6targetE1EEEvT1_.kd
    .uniform_work_group_size: 1
    .uses_dynamic_stack: false
    .vgpr_count:     0
    .vgpr_spill_count: 0
    .wavefront_size: 64
  - .agpr_count:     0
    .args:
      - .offset:         0
        .size:           40
        .value_kind:     by_value
    .group_segment_fixed_size: 0
    .kernarg_segment_align: 8
    .kernarg_segment_size: 40
    .language:       OpenCL C
    .language_version:
      - 2
      - 0
    .max_flat_workgroup_size: 256
    .name:           _ZN7rocprim17ROCPRIM_400000_NS6detail17trampoline_kernelINS0_14default_configENS1_20scan_config_selectorIxEEZZNS1_9scan_implILNS1_25lookback_scan_determinismE0ELb1ELb1ES3_N6thrust23THRUST_200600_302600_NS6detail15normal_iteratorINS9_10device_ptrIxEEEESE_x11max_functorIxExEEDaPvRmT3_T4_T5_mT6_P12ihipStream_tbENKUlT_T0_E_clISt17integral_constantIbLb0EESU_EEDaSP_SQ_EUlSP_E0_NS1_11comp_targetILNS1_3genE9ELNS1_11target_archE1100ELNS1_3gpuE3ELNS1_3repE0EEENS1_30default_config_static_selectorELNS0_4arch9wavefront6targetE1EEEvT1_
    .private_segment_fixed_size: 0
    .sgpr_count:     4
    .sgpr_spill_count: 0
    .symbol:         _ZN7rocprim17ROCPRIM_400000_NS6detail17trampoline_kernelINS0_14default_configENS1_20scan_config_selectorIxEEZZNS1_9scan_implILNS1_25lookback_scan_determinismE0ELb1ELb1ES3_N6thrust23THRUST_200600_302600_NS6detail15normal_iteratorINS9_10device_ptrIxEEEESE_x11max_functorIxExEEDaPvRmT3_T4_T5_mT6_P12ihipStream_tbENKUlT_T0_E_clISt17integral_constantIbLb0EESU_EEDaSP_SQ_EUlSP_E0_NS1_11comp_targetILNS1_3genE9ELNS1_11target_archE1100ELNS1_3gpuE3ELNS1_3repE0EEENS1_30default_config_static_selectorELNS0_4arch9wavefront6targetE1EEEvT1_.kd
    .uniform_work_group_size: 1
    .uses_dynamic_stack: false
    .vgpr_count:     0
    .vgpr_spill_count: 0
    .wavefront_size: 64
  - .agpr_count:     0
    .args:
      - .offset:         0
        .size:           40
        .value_kind:     by_value
    .group_segment_fixed_size: 0
    .kernarg_segment_align: 8
    .kernarg_segment_size: 40
    .language:       OpenCL C
    .language_version:
      - 2
      - 0
    .max_flat_workgroup_size: 256
    .name:           _ZN7rocprim17ROCPRIM_400000_NS6detail17trampoline_kernelINS0_14default_configENS1_20scan_config_selectorIxEEZZNS1_9scan_implILNS1_25lookback_scan_determinismE0ELb1ELb1ES3_N6thrust23THRUST_200600_302600_NS6detail15normal_iteratorINS9_10device_ptrIxEEEESE_x11max_functorIxExEEDaPvRmT3_T4_T5_mT6_P12ihipStream_tbENKUlT_T0_E_clISt17integral_constantIbLb0EESU_EEDaSP_SQ_EUlSP_E0_NS1_11comp_targetILNS1_3genE8ELNS1_11target_archE1030ELNS1_3gpuE2ELNS1_3repE0EEENS1_30default_config_static_selectorELNS0_4arch9wavefront6targetE1EEEvT1_
    .private_segment_fixed_size: 0
    .sgpr_count:     4
    .sgpr_spill_count: 0
    .symbol:         _ZN7rocprim17ROCPRIM_400000_NS6detail17trampoline_kernelINS0_14default_configENS1_20scan_config_selectorIxEEZZNS1_9scan_implILNS1_25lookback_scan_determinismE0ELb1ELb1ES3_N6thrust23THRUST_200600_302600_NS6detail15normal_iteratorINS9_10device_ptrIxEEEESE_x11max_functorIxExEEDaPvRmT3_T4_T5_mT6_P12ihipStream_tbENKUlT_T0_E_clISt17integral_constantIbLb0EESU_EEDaSP_SQ_EUlSP_E0_NS1_11comp_targetILNS1_3genE8ELNS1_11target_archE1030ELNS1_3gpuE2ELNS1_3repE0EEENS1_30default_config_static_selectorELNS0_4arch9wavefront6targetE1EEEvT1_.kd
    .uniform_work_group_size: 1
    .uses_dynamic_stack: false
    .vgpr_count:     0
    .vgpr_spill_count: 0
    .wavefront_size: 64
  - .agpr_count:     0
    .args:
      - .offset:         0
        .size:           104
        .value_kind:     by_value
    .group_segment_fixed_size: 0
    .kernarg_segment_align: 8
    .kernarg_segment_size: 104
    .language:       OpenCL C
    .language_version:
      - 2
      - 0
    .max_flat_workgroup_size: 256
    .name:           _ZN7rocprim17ROCPRIM_400000_NS6detail17trampoline_kernelINS0_14default_configENS1_20scan_config_selectorIxEEZZNS1_9scan_implILNS1_25lookback_scan_determinismE0ELb1ELb1ES3_N6thrust23THRUST_200600_302600_NS6detail15normal_iteratorINS9_10device_ptrIxEEEESE_x11max_functorIxExEEDaPvRmT3_T4_T5_mT6_P12ihipStream_tbENKUlT_T0_E_clISt17integral_constantIbLb1EESU_EEDaSP_SQ_EUlSP_E_NS1_11comp_targetILNS1_3genE0ELNS1_11target_archE4294967295ELNS1_3gpuE0ELNS1_3repE0EEENS1_30default_config_static_selectorELNS0_4arch9wavefront6targetE1EEEvT1_
    .private_segment_fixed_size: 0
    .sgpr_count:     4
    .sgpr_spill_count: 0
    .symbol:         _ZN7rocprim17ROCPRIM_400000_NS6detail17trampoline_kernelINS0_14default_configENS1_20scan_config_selectorIxEEZZNS1_9scan_implILNS1_25lookback_scan_determinismE0ELb1ELb1ES3_N6thrust23THRUST_200600_302600_NS6detail15normal_iteratorINS9_10device_ptrIxEEEESE_x11max_functorIxExEEDaPvRmT3_T4_T5_mT6_P12ihipStream_tbENKUlT_T0_E_clISt17integral_constantIbLb1EESU_EEDaSP_SQ_EUlSP_E_NS1_11comp_targetILNS1_3genE0ELNS1_11target_archE4294967295ELNS1_3gpuE0ELNS1_3repE0EEENS1_30default_config_static_selectorELNS0_4arch9wavefront6targetE1EEEvT1_.kd
    .uniform_work_group_size: 1
    .uses_dynamic_stack: false
    .vgpr_count:     0
    .vgpr_spill_count: 0
    .wavefront_size: 64
  - .agpr_count:     0
    .args:
      - .offset:         0
        .size:           104
        .value_kind:     by_value
    .group_segment_fixed_size: 0
    .kernarg_segment_align: 8
    .kernarg_segment_size: 104
    .language:       OpenCL C
    .language_version:
      - 2
      - 0
    .max_flat_workgroup_size: 256
    .name:           _ZN7rocprim17ROCPRIM_400000_NS6detail17trampoline_kernelINS0_14default_configENS1_20scan_config_selectorIxEEZZNS1_9scan_implILNS1_25lookback_scan_determinismE0ELb1ELb1ES3_N6thrust23THRUST_200600_302600_NS6detail15normal_iteratorINS9_10device_ptrIxEEEESE_x11max_functorIxExEEDaPvRmT3_T4_T5_mT6_P12ihipStream_tbENKUlT_T0_E_clISt17integral_constantIbLb1EESU_EEDaSP_SQ_EUlSP_E_NS1_11comp_targetILNS1_3genE5ELNS1_11target_archE942ELNS1_3gpuE9ELNS1_3repE0EEENS1_30default_config_static_selectorELNS0_4arch9wavefront6targetE1EEEvT1_
    .private_segment_fixed_size: 0
    .sgpr_count:     4
    .sgpr_spill_count: 0
    .symbol:         _ZN7rocprim17ROCPRIM_400000_NS6detail17trampoline_kernelINS0_14default_configENS1_20scan_config_selectorIxEEZZNS1_9scan_implILNS1_25lookback_scan_determinismE0ELb1ELb1ES3_N6thrust23THRUST_200600_302600_NS6detail15normal_iteratorINS9_10device_ptrIxEEEESE_x11max_functorIxExEEDaPvRmT3_T4_T5_mT6_P12ihipStream_tbENKUlT_T0_E_clISt17integral_constantIbLb1EESU_EEDaSP_SQ_EUlSP_E_NS1_11comp_targetILNS1_3genE5ELNS1_11target_archE942ELNS1_3gpuE9ELNS1_3repE0EEENS1_30default_config_static_selectorELNS0_4arch9wavefront6targetE1EEEvT1_.kd
    .uniform_work_group_size: 1
    .uses_dynamic_stack: false
    .vgpr_count:     0
    .vgpr_spill_count: 0
    .wavefront_size: 64
  - .agpr_count:     0
    .args:
      - .offset:         0
        .size:           104
        .value_kind:     by_value
    .group_segment_fixed_size: 7168
    .kernarg_segment_align: 8
    .kernarg_segment_size: 104
    .language:       OpenCL C
    .language_version:
      - 2
      - 0
    .max_flat_workgroup_size: 128
    .name:           _ZN7rocprim17ROCPRIM_400000_NS6detail17trampoline_kernelINS0_14default_configENS1_20scan_config_selectorIxEEZZNS1_9scan_implILNS1_25lookback_scan_determinismE0ELb1ELb1ES3_N6thrust23THRUST_200600_302600_NS6detail15normal_iteratorINS9_10device_ptrIxEEEESE_x11max_functorIxExEEDaPvRmT3_T4_T5_mT6_P12ihipStream_tbENKUlT_T0_E_clISt17integral_constantIbLb1EESU_EEDaSP_SQ_EUlSP_E_NS1_11comp_targetILNS1_3genE4ELNS1_11target_archE910ELNS1_3gpuE8ELNS1_3repE0EEENS1_30default_config_static_selectorELNS0_4arch9wavefront6targetE1EEEvT1_
    .private_segment_fixed_size: 0
    .sgpr_count:     46
    .sgpr_spill_count: 0
    .symbol:         _ZN7rocprim17ROCPRIM_400000_NS6detail17trampoline_kernelINS0_14default_configENS1_20scan_config_selectorIxEEZZNS1_9scan_implILNS1_25lookback_scan_determinismE0ELb1ELb1ES3_N6thrust23THRUST_200600_302600_NS6detail15normal_iteratorINS9_10device_ptrIxEEEESE_x11max_functorIxExEEDaPvRmT3_T4_T5_mT6_P12ihipStream_tbENKUlT_T0_E_clISt17integral_constantIbLb1EESU_EEDaSP_SQ_EUlSP_E_NS1_11comp_targetILNS1_3genE4ELNS1_11target_archE910ELNS1_3gpuE8ELNS1_3repE0EEENS1_30default_config_static_selectorELNS0_4arch9wavefront6targetE1EEEvT1_.kd
    .uniform_work_group_size: 1
    .uses_dynamic_stack: false
    .vgpr_count:     58
    .vgpr_spill_count: 0
    .wavefront_size: 64
  - .agpr_count:     0
    .args:
      - .offset:         0
        .size:           104
        .value_kind:     by_value
    .group_segment_fixed_size: 0
    .kernarg_segment_align: 8
    .kernarg_segment_size: 104
    .language:       OpenCL C
    .language_version:
      - 2
      - 0
    .max_flat_workgroup_size: 256
    .name:           _ZN7rocprim17ROCPRIM_400000_NS6detail17trampoline_kernelINS0_14default_configENS1_20scan_config_selectorIxEEZZNS1_9scan_implILNS1_25lookback_scan_determinismE0ELb1ELb1ES3_N6thrust23THRUST_200600_302600_NS6detail15normal_iteratorINS9_10device_ptrIxEEEESE_x11max_functorIxExEEDaPvRmT3_T4_T5_mT6_P12ihipStream_tbENKUlT_T0_E_clISt17integral_constantIbLb1EESU_EEDaSP_SQ_EUlSP_E_NS1_11comp_targetILNS1_3genE3ELNS1_11target_archE908ELNS1_3gpuE7ELNS1_3repE0EEENS1_30default_config_static_selectorELNS0_4arch9wavefront6targetE1EEEvT1_
    .private_segment_fixed_size: 0
    .sgpr_count:     4
    .sgpr_spill_count: 0
    .symbol:         _ZN7rocprim17ROCPRIM_400000_NS6detail17trampoline_kernelINS0_14default_configENS1_20scan_config_selectorIxEEZZNS1_9scan_implILNS1_25lookback_scan_determinismE0ELb1ELb1ES3_N6thrust23THRUST_200600_302600_NS6detail15normal_iteratorINS9_10device_ptrIxEEEESE_x11max_functorIxExEEDaPvRmT3_T4_T5_mT6_P12ihipStream_tbENKUlT_T0_E_clISt17integral_constantIbLb1EESU_EEDaSP_SQ_EUlSP_E_NS1_11comp_targetILNS1_3genE3ELNS1_11target_archE908ELNS1_3gpuE7ELNS1_3repE0EEENS1_30default_config_static_selectorELNS0_4arch9wavefront6targetE1EEEvT1_.kd
    .uniform_work_group_size: 1
    .uses_dynamic_stack: false
    .vgpr_count:     0
    .vgpr_spill_count: 0
    .wavefront_size: 64
  - .agpr_count:     0
    .args:
      - .offset:         0
        .size:           104
        .value_kind:     by_value
    .group_segment_fixed_size: 0
    .kernarg_segment_align: 8
    .kernarg_segment_size: 104
    .language:       OpenCL C
    .language_version:
      - 2
      - 0
    .max_flat_workgroup_size: 64
    .name:           _ZN7rocprim17ROCPRIM_400000_NS6detail17trampoline_kernelINS0_14default_configENS1_20scan_config_selectorIxEEZZNS1_9scan_implILNS1_25lookback_scan_determinismE0ELb1ELb1ES3_N6thrust23THRUST_200600_302600_NS6detail15normal_iteratorINS9_10device_ptrIxEEEESE_x11max_functorIxExEEDaPvRmT3_T4_T5_mT6_P12ihipStream_tbENKUlT_T0_E_clISt17integral_constantIbLb1EESU_EEDaSP_SQ_EUlSP_E_NS1_11comp_targetILNS1_3genE2ELNS1_11target_archE906ELNS1_3gpuE6ELNS1_3repE0EEENS1_30default_config_static_selectorELNS0_4arch9wavefront6targetE1EEEvT1_
    .private_segment_fixed_size: 0
    .sgpr_count:     4
    .sgpr_spill_count: 0
    .symbol:         _ZN7rocprim17ROCPRIM_400000_NS6detail17trampoline_kernelINS0_14default_configENS1_20scan_config_selectorIxEEZZNS1_9scan_implILNS1_25lookback_scan_determinismE0ELb1ELb1ES3_N6thrust23THRUST_200600_302600_NS6detail15normal_iteratorINS9_10device_ptrIxEEEESE_x11max_functorIxExEEDaPvRmT3_T4_T5_mT6_P12ihipStream_tbENKUlT_T0_E_clISt17integral_constantIbLb1EESU_EEDaSP_SQ_EUlSP_E_NS1_11comp_targetILNS1_3genE2ELNS1_11target_archE906ELNS1_3gpuE6ELNS1_3repE0EEENS1_30default_config_static_selectorELNS0_4arch9wavefront6targetE1EEEvT1_.kd
    .uniform_work_group_size: 1
    .uses_dynamic_stack: false
    .vgpr_count:     0
    .vgpr_spill_count: 0
    .wavefront_size: 64
  - .agpr_count:     0
    .args:
      - .offset:         0
        .size:           104
        .value_kind:     by_value
    .group_segment_fixed_size: 0
    .kernarg_segment_align: 8
    .kernarg_segment_size: 104
    .language:       OpenCL C
    .language_version:
      - 2
      - 0
    .max_flat_workgroup_size: 256
    .name:           _ZN7rocprim17ROCPRIM_400000_NS6detail17trampoline_kernelINS0_14default_configENS1_20scan_config_selectorIxEEZZNS1_9scan_implILNS1_25lookback_scan_determinismE0ELb1ELb1ES3_N6thrust23THRUST_200600_302600_NS6detail15normal_iteratorINS9_10device_ptrIxEEEESE_x11max_functorIxExEEDaPvRmT3_T4_T5_mT6_P12ihipStream_tbENKUlT_T0_E_clISt17integral_constantIbLb1EESU_EEDaSP_SQ_EUlSP_E_NS1_11comp_targetILNS1_3genE10ELNS1_11target_archE1201ELNS1_3gpuE5ELNS1_3repE0EEENS1_30default_config_static_selectorELNS0_4arch9wavefront6targetE1EEEvT1_
    .private_segment_fixed_size: 0
    .sgpr_count:     4
    .sgpr_spill_count: 0
    .symbol:         _ZN7rocprim17ROCPRIM_400000_NS6detail17trampoline_kernelINS0_14default_configENS1_20scan_config_selectorIxEEZZNS1_9scan_implILNS1_25lookback_scan_determinismE0ELb1ELb1ES3_N6thrust23THRUST_200600_302600_NS6detail15normal_iteratorINS9_10device_ptrIxEEEESE_x11max_functorIxExEEDaPvRmT3_T4_T5_mT6_P12ihipStream_tbENKUlT_T0_E_clISt17integral_constantIbLb1EESU_EEDaSP_SQ_EUlSP_E_NS1_11comp_targetILNS1_3genE10ELNS1_11target_archE1201ELNS1_3gpuE5ELNS1_3repE0EEENS1_30default_config_static_selectorELNS0_4arch9wavefront6targetE1EEEvT1_.kd
    .uniform_work_group_size: 1
    .uses_dynamic_stack: false
    .vgpr_count:     0
    .vgpr_spill_count: 0
    .wavefront_size: 64
  - .agpr_count:     0
    .args:
      - .offset:         0
        .size:           104
        .value_kind:     by_value
    .group_segment_fixed_size: 0
    .kernarg_segment_align: 8
    .kernarg_segment_size: 104
    .language:       OpenCL C
    .language_version:
      - 2
      - 0
    .max_flat_workgroup_size: 256
    .name:           _ZN7rocprim17ROCPRIM_400000_NS6detail17trampoline_kernelINS0_14default_configENS1_20scan_config_selectorIxEEZZNS1_9scan_implILNS1_25lookback_scan_determinismE0ELb1ELb1ES3_N6thrust23THRUST_200600_302600_NS6detail15normal_iteratorINS9_10device_ptrIxEEEESE_x11max_functorIxExEEDaPvRmT3_T4_T5_mT6_P12ihipStream_tbENKUlT_T0_E_clISt17integral_constantIbLb1EESU_EEDaSP_SQ_EUlSP_E_NS1_11comp_targetILNS1_3genE10ELNS1_11target_archE1200ELNS1_3gpuE4ELNS1_3repE0EEENS1_30default_config_static_selectorELNS0_4arch9wavefront6targetE1EEEvT1_
    .private_segment_fixed_size: 0
    .sgpr_count:     4
    .sgpr_spill_count: 0
    .symbol:         _ZN7rocprim17ROCPRIM_400000_NS6detail17trampoline_kernelINS0_14default_configENS1_20scan_config_selectorIxEEZZNS1_9scan_implILNS1_25lookback_scan_determinismE0ELb1ELb1ES3_N6thrust23THRUST_200600_302600_NS6detail15normal_iteratorINS9_10device_ptrIxEEEESE_x11max_functorIxExEEDaPvRmT3_T4_T5_mT6_P12ihipStream_tbENKUlT_T0_E_clISt17integral_constantIbLb1EESU_EEDaSP_SQ_EUlSP_E_NS1_11comp_targetILNS1_3genE10ELNS1_11target_archE1200ELNS1_3gpuE4ELNS1_3repE0EEENS1_30default_config_static_selectorELNS0_4arch9wavefront6targetE1EEEvT1_.kd
    .uniform_work_group_size: 1
    .uses_dynamic_stack: false
    .vgpr_count:     0
    .vgpr_spill_count: 0
    .wavefront_size: 64
  - .agpr_count:     0
    .args:
      - .offset:         0
        .size:           104
        .value_kind:     by_value
    .group_segment_fixed_size: 0
    .kernarg_segment_align: 8
    .kernarg_segment_size: 104
    .language:       OpenCL C
    .language_version:
      - 2
      - 0
    .max_flat_workgroup_size: 256
    .name:           _ZN7rocprim17ROCPRIM_400000_NS6detail17trampoline_kernelINS0_14default_configENS1_20scan_config_selectorIxEEZZNS1_9scan_implILNS1_25lookback_scan_determinismE0ELb1ELb1ES3_N6thrust23THRUST_200600_302600_NS6detail15normal_iteratorINS9_10device_ptrIxEEEESE_x11max_functorIxExEEDaPvRmT3_T4_T5_mT6_P12ihipStream_tbENKUlT_T0_E_clISt17integral_constantIbLb1EESU_EEDaSP_SQ_EUlSP_E_NS1_11comp_targetILNS1_3genE9ELNS1_11target_archE1100ELNS1_3gpuE3ELNS1_3repE0EEENS1_30default_config_static_selectorELNS0_4arch9wavefront6targetE1EEEvT1_
    .private_segment_fixed_size: 0
    .sgpr_count:     4
    .sgpr_spill_count: 0
    .symbol:         _ZN7rocprim17ROCPRIM_400000_NS6detail17trampoline_kernelINS0_14default_configENS1_20scan_config_selectorIxEEZZNS1_9scan_implILNS1_25lookback_scan_determinismE0ELb1ELb1ES3_N6thrust23THRUST_200600_302600_NS6detail15normal_iteratorINS9_10device_ptrIxEEEESE_x11max_functorIxExEEDaPvRmT3_T4_T5_mT6_P12ihipStream_tbENKUlT_T0_E_clISt17integral_constantIbLb1EESU_EEDaSP_SQ_EUlSP_E_NS1_11comp_targetILNS1_3genE9ELNS1_11target_archE1100ELNS1_3gpuE3ELNS1_3repE0EEENS1_30default_config_static_selectorELNS0_4arch9wavefront6targetE1EEEvT1_.kd
    .uniform_work_group_size: 1
    .uses_dynamic_stack: false
    .vgpr_count:     0
    .vgpr_spill_count: 0
    .wavefront_size: 64
  - .agpr_count:     0
    .args:
      - .offset:         0
        .size:           104
        .value_kind:     by_value
    .group_segment_fixed_size: 0
    .kernarg_segment_align: 8
    .kernarg_segment_size: 104
    .language:       OpenCL C
    .language_version:
      - 2
      - 0
    .max_flat_workgroup_size: 256
    .name:           _ZN7rocprim17ROCPRIM_400000_NS6detail17trampoline_kernelINS0_14default_configENS1_20scan_config_selectorIxEEZZNS1_9scan_implILNS1_25lookback_scan_determinismE0ELb1ELb1ES3_N6thrust23THRUST_200600_302600_NS6detail15normal_iteratorINS9_10device_ptrIxEEEESE_x11max_functorIxExEEDaPvRmT3_T4_T5_mT6_P12ihipStream_tbENKUlT_T0_E_clISt17integral_constantIbLb1EESU_EEDaSP_SQ_EUlSP_E_NS1_11comp_targetILNS1_3genE8ELNS1_11target_archE1030ELNS1_3gpuE2ELNS1_3repE0EEENS1_30default_config_static_selectorELNS0_4arch9wavefront6targetE1EEEvT1_
    .private_segment_fixed_size: 0
    .sgpr_count:     4
    .sgpr_spill_count: 0
    .symbol:         _ZN7rocprim17ROCPRIM_400000_NS6detail17trampoline_kernelINS0_14default_configENS1_20scan_config_selectorIxEEZZNS1_9scan_implILNS1_25lookback_scan_determinismE0ELb1ELb1ES3_N6thrust23THRUST_200600_302600_NS6detail15normal_iteratorINS9_10device_ptrIxEEEESE_x11max_functorIxExEEDaPvRmT3_T4_T5_mT6_P12ihipStream_tbENKUlT_T0_E_clISt17integral_constantIbLb1EESU_EEDaSP_SQ_EUlSP_E_NS1_11comp_targetILNS1_3genE8ELNS1_11target_archE1030ELNS1_3gpuE2ELNS1_3repE0EEENS1_30default_config_static_selectorELNS0_4arch9wavefront6targetE1EEEvT1_.kd
    .uniform_work_group_size: 1
    .uses_dynamic_stack: false
    .vgpr_count:     0
    .vgpr_spill_count: 0
    .wavefront_size: 64
  - .agpr_count:     0
    .args:
      - .offset:         0
        .size:           40
        .value_kind:     by_value
    .group_segment_fixed_size: 0
    .kernarg_segment_align: 8
    .kernarg_segment_size: 40
    .language:       OpenCL C
    .language_version:
      - 2
      - 0
    .max_flat_workgroup_size: 256
    .name:           _ZN7rocprim17ROCPRIM_400000_NS6detail17trampoline_kernelINS0_14default_configENS1_20scan_config_selectorIxEEZZNS1_9scan_implILNS1_25lookback_scan_determinismE0ELb1ELb1ES3_N6thrust23THRUST_200600_302600_NS6detail15normal_iteratorINS9_10device_ptrIxEEEESE_x11max_functorIxExEEDaPvRmT3_T4_T5_mT6_P12ihipStream_tbENKUlT_T0_E_clISt17integral_constantIbLb1EESU_EEDaSP_SQ_EUlSP_E0_NS1_11comp_targetILNS1_3genE0ELNS1_11target_archE4294967295ELNS1_3gpuE0ELNS1_3repE0EEENS1_30default_config_static_selectorELNS0_4arch9wavefront6targetE1EEEvT1_
    .private_segment_fixed_size: 0
    .sgpr_count:     4
    .sgpr_spill_count: 0
    .symbol:         _ZN7rocprim17ROCPRIM_400000_NS6detail17trampoline_kernelINS0_14default_configENS1_20scan_config_selectorIxEEZZNS1_9scan_implILNS1_25lookback_scan_determinismE0ELb1ELb1ES3_N6thrust23THRUST_200600_302600_NS6detail15normal_iteratorINS9_10device_ptrIxEEEESE_x11max_functorIxExEEDaPvRmT3_T4_T5_mT6_P12ihipStream_tbENKUlT_T0_E_clISt17integral_constantIbLb1EESU_EEDaSP_SQ_EUlSP_E0_NS1_11comp_targetILNS1_3genE0ELNS1_11target_archE4294967295ELNS1_3gpuE0ELNS1_3repE0EEENS1_30default_config_static_selectorELNS0_4arch9wavefront6targetE1EEEvT1_.kd
    .uniform_work_group_size: 1
    .uses_dynamic_stack: false
    .vgpr_count:     0
    .vgpr_spill_count: 0
    .wavefront_size: 64
  - .agpr_count:     0
    .args:
      - .offset:         0
        .size:           40
        .value_kind:     by_value
    .group_segment_fixed_size: 0
    .kernarg_segment_align: 8
    .kernarg_segment_size: 40
    .language:       OpenCL C
    .language_version:
      - 2
      - 0
    .max_flat_workgroup_size: 256
    .name:           _ZN7rocprim17ROCPRIM_400000_NS6detail17trampoline_kernelINS0_14default_configENS1_20scan_config_selectorIxEEZZNS1_9scan_implILNS1_25lookback_scan_determinismE0ELb1ELb1ES3_N6thrust23THRUST_200600_302600_NS6detail15normal_iteratorINS9_10device_ptrIxEEEESE_x11max_functorIxExEEDaPvRmT3_T4_T5_mT6_P12ihipStream_tbENKUlT_T0_E_clISt17integral_constantIbLb1EESU_EEDaSP_SQ_EUlSP_E0_NS1_11comp_targetILNS1_3genE5ELNS1_11target_archE942ELNS1_3gpuE9ELNS1_3repE0EEENS1_30default_config_static_selectorELNS0_4arch9wavefront6targetE1EEEvT1_
    .private_segment_fixed_size: 0
    .sgpr_count:     4
    .sgpr_spill_count: 0
    .symbol:         _ZN7rocprim17ROCPRIM_400000_NS6detail17trampoline_kernelINS0_14default_configENS1_20scan_config_selectorIxEEZZNS1_9scan_implILNS1_25lookback_scan_determinismE0ELb1ELb1ES3_N6thrust23THRUST_200600_302600_NS6detail15normal_iteratorINS9_10device_ptrIxEEEESE_x11max_functorIxExEEDaPvRmT3_T4_T5_mT6_P12ihipStream_tbENKUlT_T0_E_clISt17integral_constantIbLb1EESU_EEDaSP_SQ_EUlSP_E0_NS1_11comp_targetILNS1_3genE5ELNS1_11target_archE942ELNS1_3gpuE9ELNS1_3repE0EEENS1_30default_config_static_selectorELNS0_4arch9wavefront6targetE1EEEvT1_.kd
    .uniform_work_group_size: 1
    .uses_dynamic_stack: false
    .vgpr_count:     0
    .vgpr_spill_count: 0
    .wavefront_size: 64
  - .agpr_count:     0
    .args:
      - .offset:         0
        .size:           40
        .value_kind:     by_value
    .group_segment_fixed_size: 7168
    .kernarg_segment_align: 8
    .kernarg_segment_size: 40
    .language:       OpenCL C
    .language_version:
      - 2
      - 0
    .max_flat_workgroup_size: 128
    .name:           _ZN7rocprim17ROCPRIM_400000_NS6detail17trampoline_kernelINS0_14default_configENS1_20scan_config_selectorIxEEZZNS1_9scan_implILNS1_25lookback_scan_determinismE0ELb1ELb1ES3_N6thrust23THRUST_200600_302600_NS6detail15normal_iteratorINS9_10device_ptrIxEEEESE_x11max_functorIxExEEDaPvRmT3_T4_T5_mT6_P12ihipStream_tbENKUlT_T0_E_clISt17integral_constantIbLb1EESU_EEDaSP_SQ_EUlSP_E0_NS1_11comp_targetILNS1_3genE4ELNS1_11target_archE910ELNS1_3gpuE8ELNS1_3repE0EEENS1_30default_config_static_selectorELNS0_4arch9wavefront6targetE1EEEvT1_
    .private_segment_fixed_size: 0
    .sgpr_count:     28
    .sgpr_spill_count: 0
    .symbol:         _ZN7rocprim17ROCPRIM_400000_NS6detail17trampoline_kernelINS0_14default_configENS1_20scan_config_selectorIxEEZZNS1_9scan_implILNS1_25lookback_scan_determinismE0ELb1ELb1ES3_N6thrust23THRUST_200600_302600_NS6detail15normal_iteratorINS9_10device_ptrIxEEEESE_x11max_functorIxExEEDaPvRmT3_T4_T5_mT6_P12ihipStream_tbENKUlT_T0_E_clISt17integral_constantIbLb1EESU_EEDaSP_SQ_EUlSP_E0_NS1_11comp_targetILNS1_3genE4ELNS1_11target_archE910ELNS1_3gpuE8ELNS1_3repE0EEENS1_30default_config_static_selectorELNS0_4arch9wavefront6targetE1EEEvT1_.kd
    .uniform_work_group_size: 1
    .uses_dynamic_stack: false
    .vgpr_count:     30
    .vgpr_spill_count: 0
    .wavefront_size: 64
  - .agpr_count:     0
    .args:
      - .offset:         0
        .size:           40
        .value_kind:     by_value
    .group_segment_fixed_size: 0
    .kernarg_segment_align: 8
    .kernarg_segment_size: 40
    .language:       OpenCL C
    .language_version:
      - 2
      - 0
    .max_flat_workgroup_size: 256
    .name:           _ZN7rocprim17ROCPRIM_400000_NS6detail17trampoline_kernelINS0_14default_configENS1_20scan_config_selectorIxEEZZNS1_9scan_implILNS1_25lookback_scan_determinismE0ELb1ELb1ES3_N6thrust23THRUST_200600_302600_NS6detail15normal_iteratorINS9_10device_ptrIxEEEESE_x11max_functorIxExEEDaPvRmT3_T4_T5_mT6_P12ihipStream_tbENKUlT_T0_E_clISt17integral_constantIbLb1EESU_EEDaSP_SQ_EUlSP_E0_NS1_11comp_targetILNS1_3genE3ELNS1_11target_archE908ELNS1_3gpuE7ELNS1_3repE0EEENS1_30default_config_static_selectorELNS0_4arch9wavefront6targetE1EEEvT1_
    .private_segment_fixed_size: 0
    .sgpr_count:     4
    .sgpr_spill_count: 0
    .symbol:         _ZN7rocprim17ROCPRIM_400000_NS6detail17trampoline_kernelINS0_14default_configENS1_20scan_config_selectorIxEEZZNS1_9scan_implILNS1_25lookback_scan_determinismE0ELb1ELb1ES3_N6thrust23THRUST_200600_302600_NS6detail15normal_iteratorINS9_10device_ptrIxEEEESE_x11max_functorIxExEEDaPvRmT3_T4_T5_mT6_P12ihipStream_tbENKUlT_T0_E_clISt17integral_constantIbLb1EESU_EEDaSP_SQ_EUlSP_E0_NS1_11comp_targetILNS1_3genE3ELNS1_11target_archE908ELNS1_3gpuE7ELNS1_3repE0EEENS1_30default_config_static_selectorELNS0_4arch9wavefront6targetE1EEEvT1_.kd
    .uniform_work_group_size: 1
    .uses_dynamic_stack: false
    .vgpr_count:     0
    .vgpr_spill_count: 0
    .wavefront_size: 64
  - .agpr_count:     0
    .args:
      - .offset:         0
        .size:           40
        .value_kind:     by_value
    .group_segment_fixed_size: 0
    .kernarg_segment_align: 8
    .kernarg_segment_size: 40
    .language:       OpenCL C
    .language_version:
      - 2
      - 0
    .max_flat_workgroup_size: 64
    .name:           _ZN7rocprim17ROCPRIM_400000_NS6detail17trampoline_kernelINS0_14default_configENS1_20scan_config_selectorIxEEZZNS1_9scan_implILNS1_25lookback_scan_determinismE0ELb1ELb1ES3_N6thrust23THRUST_200600_302600_NS6detail15normal_iteratorINS9_10device_ptrIxEEEESE_x11max_functorIxExEEDaPvRmT3_T4_T5_mT6_P12ihipStream_tbENKUlT_T0_E_clISt17integral_constantIbLb1EESU_EEDaSP_SQ_EUlSP_E0_NS1_11comp_targetILNS1_3genE2ELNS1_11target_archE906ELNS1_3gpuE6ELNS1_3repE0EEENS1_30default_config_static_selectorELNS0_4arch9wavefront6targetE1EEEvT1_
    .private_segment_fixed_size: 0
    .sgpr_count:     4
    .sgpr_spill_count: 0
    .symbol:         _ZN7rocprim17ROCPRIM_400000_NS6detail17trampoline_kernelINS0_14default_configENS1_20scan_config_selectorIxEEZZNS1_9scan_implILNS1_25lookback_scan_determinismE0ELb1ELb1ES3_N6thrust23THRUST_200600_302600_NS6detail15normal_iteratorINS9_10device_ptrIxEEEESE_x11max_functorIxExEEDaPvRmT3_T4_T5_mT6_P12ihipStream_tbENKUlT_T0_E_clISt17integral_constantIbLb1EESU_EEDaSP_SQ_EUlSP_E0_NS1_11comp_targetILNS1_3genE2ELNS1_11target_archE906ELNS1_3gpuE6ELNS1_3repE0EEENS1_30default_config_static_selectorELNS0_4arch9wavefront6targetE1EEEvT1_.kd
    .uniform_work_group_size: 1
    .uses_dynamic_stack: false
    .vgpr_count:     0
    .vgpr_spill_count: 0
    .wavefront_size: 64
  - .agpr_count:     0
    .args:
      - .offset:         0
        .size:           40
        .value_kind:     by_value
    .group_segment_fixed_size: 0
    .kernarg_segment_align: 8
    .kernarg_segment_size: 40
    .language:       OpenCL C
    .language_version:
      - 2
      - 0
    .max_flat_workgroup_size: 256
    .name:           _ZN7rocprim17ROCPRIM_400000_NS6detail17trampoline_kernelINS0_14default_configENS1_20scan_config_selectorIxEEZZNS1_9scan_implILNS1_25lookback_scan_determinismE0ELb1ELb1ES3_N6thrust23THRUST_200600_302600_NS6detail15normal_iteratorINS9_10device_ptrIxEEEESE_x11max_functorIxExEEDaPvRmT3_T4_T5_mT6_P12ihipStream_tbENKUlT_T0_E_clISt17integral_constantIbLb1EESU_EEDaSP_SQ_EUlSP_E0_NS1_11comp_targetILNS1_3genE10ELNS1_11target_archE1201ELNS1_3gpuE5ELNS1_3repE0EEENS1_30default_config_static_selectorELNS0_4arch9wavefront6targetE1EEEvT1_
    .private_segment_fixed_size: 0
    .sgpr_count:     4
    .sgpr_spill_count: 0
    .symbol:         _ZN7rocprim17ROCPRIM_400000_NS6detail17trampoline_kernelINS0_14default_configENS1_20scan_config_selectorIxEEZZNS1_9scan_implILNS1_25lookback_scan_determinismE0ELb1ELb1ES3_N6thrust23THRUST_200600_302600_NS6detail15normal_iteratorINS9_10device_ptrIxEEEESE_x11max_functorIxExEEDaPvRmT3_T4_T5_mT6_P12ihipStream_tbENKUlT_T0_E_clISt17integral_constantIbLb1EESU_EEDaSP_SQ_EUlSP_E0_NS1_11comp_targetILNS1_3genE10ELNS1_11target_archE1201ELNS1_3gpuE5ELNS1_3repE0EEENS1_30default_config_static_selectorELNS0_4arch9wavefront6targetE1EEEvT1_.kd
    .uniform_work_group_size: 1
    .uses_dynamic_stack: false
    .vgpr_count:     0
    .vgpr_spill_count: 0
    .wavefront_size: 64
  - .agpr_count:     0
    .args:
      - .offset:         0
        .size:           40
        .value_kind:     by_value
    .group_segment_fixed_size: 0
    .kernarg_segment_align: 8
    .kernarg_segment_size: 40
    .language:       OpenCL C
    .language_version:
      - 2
      - 0
    .max_flat_workgroup_size: 256
    .name:           _ZN7rocprim17ROCPRIM_400000_NS6detail17trampoline_kernelINS0_14default_configENS1_20scan_config_selectorIxEEZZNS1_9scan_implILNS1_25lookback_scan_determinismE0ELb1ELb1ES3_N6thrust23THRUST_200600_302600_NS6detail15normal_iteratorINS9_10device_ptrIxEEEESE_x11max_functorIxExEEDaPvRmT3_T4_T5_mT6_P12ihipStream_tbENKUlT_T0_E_clISt17integral_constantIbLb1EESU_EEDaSP_SQ_EUlSP_E0_NS1_11comp_targetILNS1_3genE10ELNS1_11target_archE1200ELNS1_3gpuE4ELNS1_3repE0EEENS1_30default_config_static_selectorELNS0_4arch9wavefront6targetE1EEEvT1_
    .private_segment_fixed_size: 0
    .sgpr_count:     4
    .sgpr_spill_count: 0
    .symbol:         _ZN7rocprim17ROCPRIM_400000_NS6detail17trampoline_kernelINS0_14default_configENS1_20scan_config_selectorIxEEZZNS1_9scan_implILNS1_25lookback_scan_determinismE0ELb1ELb1ES3_N6thrust23THRUST_200600_302600_NS6detail15normal_iteratorINS9_10device_ptrIxEEEESE_x11max_functorIxExEEDaPvRmT3_T4_T5_mT6_P12ihipStream_tbENKUlT_T0_E_clISt17integral_constantIbLb1EESU_EEDaSP_SQ_EUlSP_E0_NS1_11comp_targetILNS1_3genE10ELNS1_11target_archE1200ELNS1_3gpuE4ELNS1_3repE0EEENS1_30default_config_static_selectorELNS0_4arch9wavefront6targetE1EEEvT1_.kd
    .uniform_work_group_size: 1
    .uses_dynamic_stack: false
    .vgpr_count:     0
    .vgpr_spill_count: 0
    .wavefront_size: 64
  - .agpr_count:     0
    .args:
      - .offset:         0
        .size:           40
        .value_kind:     by_value
    .group_segment_fixed_size: 0
    .kernarg_segment_align: 8
    .kernarg_segment_size: 40
    .language:       OpenCL C
    .language_version:
      - 2
      - 0
    .max_flat_workgroup_size: 256
    .name:           _ZN7rocprim17ROCPRIM_400000_NS6detail17trampoline_kernelINS0_14default_configENS1_20scan_config_selectorIxEEZZNS1_9scan_implILNS1_25lookback_scan_determinismE0ELb1ELb1ES3_N6thrust23THRUST_200600_302600_NS6detail15normal_iteratorINS9_10device_ptrIxEEEESE_x11max_functorIxExEEDaPvRmT3_T4_T5_mT6_P12ihipStream_tbENKUlT_T0_E_clISt17integral_constantIbLb1EESU_EEDaSP_SQ_EUlSP_E0_NS1_11comp_targetILNS1_3genE9ELNS1_11target_archE1100ELNS1_3gpuE3ELNS1_3repE0EEENS1_30default_config_static_selectorELNS0_4arch9wavefront6targetE1EEEvT1_
    .private_segment_fixed_size: 0
    .sgpr_count:     4
    .sgpr_spill_count: 0
    .symbol:         _ZN7rocprim17ROCPRIM_400000_NS6detail17trampoline_kernelINS0_14default_configENS1_20scan_config_selectorIxEEZZNS1_9scan_implILNS1_25lookback_scan_determinismE0ELb1ELb1ES3_N6thrust23THRUST_200600_302600_NS6detail15normal_iteratorINS9_10device_ptrIxEEEESE_x11max_functorIxExEEDaPvRmT3_T4_T5_mT6_P12ihipStream_tbENKUlT_T0_E_clISt17integral_constantIbLb1EESU_EEDaSP_SQ_EUlSP_E0_NS1_11comp_targetILNS1_3genE9ELNS1_11target_archE1100ELNS1_3gpuE3ELNS1_3repE0EEENS1_30default_config_static_selectorELNS0_4arch9wavefront6targetE1EEEvT1_.kd
    .uniform_work_group_size: 1
    .uses_dynamic_stack: false
    .vgpr_count:     0
    .vgpr_spill_count: 0
    .wavefront_size: 64
  - .agpr_count:     0
    .args:
      - .offset:         0
        .size:           40
        .value_kind:     by_value
    .group_segment_fixed_size: 0
    .kernarg_segment_align: 8
    .kernarg_segment_size: 40
    .language:       OpenCL C
    .language_version:
      - 2
      - 0
    .max_flat_workgroup_size: 256
    .name:           _ZN7rocprim17ROCPRIM_400000_NS6detail17trampoline_kernelINS0_14default_configENS1_20scan_config_selectorIxEEZZNS1_9scan_implILNS1_25lookback_scan_determinismE0ELb1ELb1ES3_N6thrust23THRUST_200600_302600_NS6detail15normal_iteratorINS9_10device_ptrIxEEEESE_x11max_functorIxExEEDaPvRmT3_T4_T5_mT6_P12ihipStream_tbENKUlT_T0_E_clISt17integral_constantIbLb1EESU_EEDaSP_SQ_EUlSP_E0_NS1_11comp_targetILNS1_3genE8ELNS1_11target_archE1030ELNS1_3gpuE2ELNS1_3repE0EEENS1_30default_config_static_selectorELNS0_4arch9wavefront6targetE1EEEvT1_
    .private_segment_fixed_size: 0
    .sgpr_count:     4
    .sgpr_spill_count: 0
    .symbol:         _ZN7rocprim17ROCPRIM_400000_NS6detail17trampoline_kernelINS0_14default_configENS1_20scan_config_selectorIxEEZZNS1_9scan_implILNS1_25lookback_scan_determinismE0ELb1ELb1ES3_N6thrust23THRUST_200600_302600_NS6detail15normal_iteratorINS9_10device_ptrIxEEEESE_x11max_functorIxExEEDaPvRmT3_T4_T5_mT6_P12ihipStream_tbENKUlT_T0_E_clISt17integral_constantIbLb1EESU_EEDaSP_SQ_EUlSP_E0_NS1_11comp_targetILNS1_3genE8ELNS1_11target_archE1030ELNS1_3gpuE2ELNS1_3repE0EEENS1_30default_config_static_selectorELNS0_4arch9wavefront6targetE1EEEvT1_.kd
    .uniform_work_group_size: 1
    .uses_dynamic_stack: false
    .vgpr_count:     0
    .vgpr_spill_count: 0
    .wavefront_size: 64
  - .agpr_count:     0
    .args:
      - .offset:         0
        .size:           104
        .value_kind:     by_value
    .group_segment_fixed_size: 0
    .kernarg_segment_align: 8
    .kernarg_segment_size: 104
    .language:       OpenCL C
    .language_version:
      - 2
      - 0
    .max_flat_workgroup_size: 256
    .name:           _ZN7rocprim17ROCPRIM_400000_NS6detail17trampoline_kernelINS0_14default_configENS1_20scan_config_selectorIxEEZZNS1_9scan_implILNS1_25lookback_scan_determinismE0ELb1ELb1ES3_N6thrust23THRUST_200600_302600_NS6detail15normal_iteratorINS9_10device_ptrIxEEEESE_x11max_functorIxExEEDaPvRmT3_T4_T5_mT6_P12ihipStream_tbENKUlT_T0_E_clISt17integral_constantIbLb1EEST_IbLb0EEEEDaSP_SQ_EUlSP_E_NS1_11comp_targetILNS1_3genE0ELNS1_11target_archE4294967295ELNS1_3gpuE0ELNS1_3repE0EEENS1_30default_config_static_selectorELNS0_4arch9wavefront6targetE1EEEvT1_
    .private_segment_fixed_size: 0
    .sgpr_count:     4
    .sgpr_spill_count: 0
    .symbol:         _ZN7rocprim17ROCPRIM_400000_NS6detail17trampoline_kernelINS0_14default_configENS1_20scan_config_selectorIxEEZZNS1_9scan_implILNS1_25lookback_scan_determinismE0ELb1ELb1ES3_N6thrust23THRUST_200600_302600_NS6detail15normal_iteratorINS9_10device_ptrIxEEEESE_x11max_functorIxExEEDaPvRmT3_T4_T5_mT6_P12ihipStream_tbENKUlT_T0_E_clISt17integral_constantIbLb1EEST_IbLb0EEEEDaSP_SQ_EUlSP_E_NS1_11comp_targetILNS1_3genE0ELNS1_11target_archE4294967295ELNS1_3gpuE0ELNS1_3repE0EEENS1_30default_config_static_selectorELNS0_4arch9wavefront6targetE1EEEvT1_.kd
    .uniform_work_group_size: 1
    .uses_dynamic_stack: false
    .vgpr_count:     0
    .vgpr_spill_count: 0
    .wavefront_size: 64
  - .agpr_count:     0
    .args:
      - .offset:         0
        .size:           104
        .value_kind:     by_value
    .group_segment_fixed_size: 0
    .kernarg_segment_align: 8
    .kernarg_segment_size: 104
    .language:       OpenCL C
    .language_version:
      - 2
      - 0
    .max_flat_workgroup_size: 256
    .name:           _ZN7rocprim17ROCPRIM_400000_NS6detail17trampoline_kernelINS0_14default_configENS1_20scan_config_selectorIxEEZZNS1_9scan_implILNS1_25lookback_scan_determinismE0ELb1ELb1ES3_N6thrust23THRUST_200600_302600_NS6detail15normal_iteratorINS9_10device_ptrIxEEEESE_x11max_functorIxExEEDaPvRmT3_T4_T5_mT6_P12ihipStream_tbENKUlT_T0_E_clISt17integral_constantIbLb1EEST_IbLb0EEEEDaSP_SQ_EUlSP_E_NS1_11comp_targetILNS1_3genE5ELNS1_11target_archE942ELNS1_3gpuE9ELNS1_3repE0EEENS1_30default_config_static_selectorELNS0_4arch9wavefront6targetE1EEEvT1_
    .private_segment_fixed_size: 0
    .sgpr_count:     4
    .sgpr_spill_count: 0
    .symbol:         _ZN7rocprim17ROCPRIM_400000_NS6detail17trampoline_kernelINS0_14default_configENS1_20scan_config_selectorIxEEZZNS1_9scan_implILNS1_25lookback_scan_determinismE0ELb1ELb1ES3_N6thrust23THRUST_200600_302600_NS6detail15normal_iteratorINS9_10device_ptrIxEEEESE_x11max_functorIxExEEDaPvRmT3_T4_T5_mT6_P12ihipStream_tbENKUlT_T0_E_clISt17integral_constantIbLb1EEST_IbLb0EEEEDaSP_SQ_EUlSP_E_NS1_11comp_targetILNS1_3genE5ELNS1_11target_archE942ELNS1_3gpuE9ELNS1_3repE0EEENS1_30default_config_static_selectorELNS0_4arch9wavefront6targetE1EEEvT1_.kd
    .uniform_work_group_size: 1
    .uses_dynamic_stack: false
    .vgpr_count:     0
    .vgpr_spill_count: 0
    .wavefront_size: 64
  - .agpr_count:     0
    .args:
      - .offset:         0
        .size:           104
        .value_kind:     by_value
    .group_segment_fixed_size: 7168
    .kernarg_segment_align: 8
    .kernarg_segment_size: 104
    .language:       OpenCL C
    .language_version:
      - 2
      - 0
    .max_flat_workgroup_size: 128
    .name:           _ZN7rocprim17ROCPRIM_400000_NS6detail17trampoline_kernelINS0_14default_configENS1_20scan_config_selectorIxEEZZNS1_9scan_implILNS1_25lookback_scan_determinismE0ELb1ELb1ES3_N6thrust23THRUST_200600_302600_NS6detail15normal_iteratorINS9_10device_ptrIxEEEESE_x11max_functorIxExEEDaPvRmT3_T4_T5_mT6_P12ihipStream_tbENKUlT_T0_E_clISt17integral_constantIbLb1EEST_IbLb0EEEEDaSP_SQ_EUlSP_E_NS1_11comp_targetILNS1_3genE4ELNS1_11target_archE910ELNS1_3gpuE8ELNS1_3repE0EEENS1_30default_config_static_selectorELNS0_4arch9wavefront6targetE1EEEvT1_
    .private_segment_fixed_size: 0
    .sgpr_count:     39
    .sgpr_spill_count: 0
    .symbol:         _ZN7rocprim17ROCPRIM_400000_NS6detail17trampoline_kernelINS0_14default_configENS1_20scan_config_selectorIxEEZZNS1_9scan_implILNS1_25lookback_scan_determinismE0ELb1ELb1ES3_N6thrust23THRUST_200600_302600_NS6detail15normal_iteratorINS9_10device_ptrIxEEEESE_x11max_functorIxExEEDaPvRmT3_T4_T5_mT6_P12ihipStream_tbENKUlT_T0_E_clISt17integral_constantIbLb1EEST_IbLb0EEEEDaSP_SQ_EUlSP_E_NS1_11comp_targetILNS1_3genE4ELNS1_11target_archE910ELNS1_3gpuE8ELNS1_3repE0EEENS1_30default_config_static_selectorELNS0_4arch9wavefront6targetE1EEEvT1_.kd
    .uniform_work_group_size: 1
    .uses_dynamic_stack: false
    .vgpr_count:     58
    .vgpr_spill_count: 0
    .wavefront_size: 64
  - .agpr_count:     0
    .args:
      - .offset:         0
        .size:           104
        .value_kind:     by_value
    .group_segment_fixed_size: 0
    .kernarg_segment_align: 8
    .kernarg_segment_size: 104
    .language:       OpenCL C
    .language_version:
      - 2
      - 0
    .max_flat_workgroup_size: 256
    .name:           _ZN7rocprim17ROCPRIM_400000_NS6detail17trampoline_kernelINS0_14default_configENS1_20scan_config_selectorIxEEZZNS1_9scan_implILNS1_25lookback_scan_determinismE0ELb1ELb1ES3_N6thrust23THRUST_200600_302600_NS6detail15normal_iteratorINS9_10device_ptrIxEEEESE_x11max_functorIxExEEDaPvRmT3_T4_T5_mT6_P12ihipStream_tbENKUlT_T0_E_clISt17integral_constantIbLb1EEST_IbLb0EEEEDaSP_SQ_EUlSP_E_NS1_11comp_targetILNS1_3genE3ELNS1_11target_archE908ELNS1_3gpuE7ELNS1_3repE0EEENS1_30default_config_static_selectorELNS0_4arch9wavefront6targetE1EEEvT1_
    .private_segment_fixed_size: 0
    .sgpr_count:     4
    .sgpr_spill_count: 0
    .symbol:         _ZN7rocprim17ROCPRIM_400000_NS6detail17trampoline_kernelINS0_14default_configENS1_20scan_config_selectorIxEEZZNS1_9scan_implILNS1_25lookback_scan_determinismE0ELb1ELb1ES3_N6thrust23THRUST_200600_302600_NS6detail15normal_iteratorINS9_10device_ptrIxEEEESE_x11max_functorIxExEEDaPvRmT3_T4_T5_mT6_P12ihipStream_tbENKUlT_T0_E_clISt17integral_constantIbLb1EEST_IbLb0EEEEDaSP_SQ_EUlSP_E_NS1_11comp_targetILNS1_3genE3ELNS1_11target_archE908ELNS1_3gpuE7ELNS1_3repE0EEENS1_30default_config_static_selectorELNS0_4arch9wavefront6targetE1EEEvT1_.kd
    .uniform_work_group_size: 1
    .uses_dynamic_stack: false
    .vgpr_count:     0
    .vgpr_spill_count: 0
    .wavefront_size: 64
  - .agpr_count:     0
    .args:
      - .offset:         0
        .size:           104
        .value_kind:     by_value
    .group_segment_fixed_size: 0
    .kernarg_segment_align: 8
    .kernarg_segment_size: 104
    .language:       OpenCL C
    .language_version:
      - 2
      - 0
    .max_flat_workgroup_size: 64
    .name:           _ZN7rocprim17ROCPRIM_400000_NS6detail17trampoline_kernelINS0_14default_configENS1_20scan_config_selectorIxEEZZNS1_9scan_implILNS1_25lookback_scan_determinismE0ELb1ELb1ES3_N6thrust23THRUST_200600_302600_NS6detail15normal_iteratorINS9_10device_ptrIxEEEESE_x11max_functorIxExEEDaPvRmT3_T4_T5_mT6_P12ihipStream_tbENKUlT_T0_E_clISt17integral_constantIbLb1EEST_IbLb0EEEEDaSP_SQ_EUlSP_E_NS1_11comp_targetILNS1_3genE2ELNS1_11target_archE906ELNS1_3gpuE6ELNS1_3repE0EEENS1_30default_config_static_selectorELNS0_4arch9wavefront6targetE1EEEvT1_
    .private_segment_fixed_size: 0
    .sgpr_count:     4
    .sgpr_spill_count: 0
    .symbol:         _ZN7rocprim17ROCPRIM_400000_NS6detail17trampoline_kernelINS0_14default_configENS1_20scan_config_selectorIxEEZZNS1_9scan_implILNS1_25lookback_scan_determinismE0ELb1ELb1ES3_N6thrust23THRUST_200600_302600_NS6detail15normal_iteratorINS9_10device_ptrIxEEEESE_x11max_functorIxExEEDaPvRmT3_T4_T5_mT6_P12ihipStream_tbENKUlT_T0_E_clISt17integral_constantIbLb1EEST_IbLb0EEEEDaSP_SQ_EUlSP_E_NS1_11comp_targetILNS1_3genE2ELNS1_11target_archE906ELNS1_3gpuE6ELNS1_3repE0EEENS1_30default_config_static_selectorELNS0_4arch9wavefront6targetE1EEEvT1_.kd
    .uniform_work_group_size: 1
    .uses_dynamic_stack: false
    .vgpr_count:     0
    .vgpr_spill_count: 0
    .wavefront_size: 64
  - .agpr_count:     0
    .args:
      - .offset:         0
        .size:           104
        .value_kind:     by_value
    .group_segment_fixed_size: 0
    .kernarg_segment_align: 8
    .kernarg_segment_size: 104
    .language:       OpenCL C
    .language_version:
      - 2
      - 0
    .max_flat_workgroup_size: 256
    .name:           _ZN7rocprim17ROCPRIM_400000_NS6detail17trampoline_kernelINS0_14default_configENS1_20scan_config_selectorIxEEZZNS1_9scan_implILNS1_25lookback_scan_determinismE0ELb1ELb1ES3_N6thrust23THRUST_200600_302600_NS6detail15normal_iteratorINS9_10device_ptrIxEEEESE_x11max_functorIxExEEDaPvRmT3_T4_T5_mT6_P12ihipStream_tbENKUlT_T0_E_clISt17integral_constantIbLb1EEST_IbLb0EEEEDaSP_SQ_EUlSP_E_NS1_11comp_targetILNS1_3genE10ELNS1_11target_archE1201ELNS1_3gpuE5ELNS1_3repE0EEENS1_30default_config_static_selectorELNS0_4arch9wavefront6targetE1EEEvT1_
    .private_segment_fixed_size: 0
    .sgpr_count:     4
    .sgpr_spill_count: 0
    .symbol:         _ZN7rocprim17ROCPRIM_400000_NS6detail17trampoline_kernelINS0_14default_configENS1_20scan_config_selectorIxEEZZNS1_9scan_implILNS1_25lookback_scan_determinismE0ELb1ELb1ES3_N6thrust23THRUST_200600_302600_NS6detail15normal_iteratorINS9_10device_ptrIxEEEESE_x11max_functorIxExEEDaPvRmT3_T4_T5_mT6_P12ihipStream_tbENKUlT_T0_E_clISt17integral_constantIbLb1EEST_IbLb0EEEEDaSP_SQ_EUlSP_E_NS1_11comp_targetILNS1_3genE10ELNS1_11target_archE1201ELNS1_3gpuE5ELNS1_3repE0EEENS1_30default_config_static_selectorELNS0_4arch9wavefront6targetE1EEEvT1_.kd
    .uniform_work_group_size: 1
    .uses_dynamic_stack: false
    .vgpr_count:     0
    .vgpr_spill_count: 0
    .wavefront_size: 64
  - .agpr_count:     0
    .args:
      - .offset:         0
        .size:           104
        .value_kind:     by_value
    .group_segment_fixed_size: 0
    .kernarg_segment_align: 8
    .kernarg_segment_size: 104
    .language:       OpenCL C
    .language_version:
      - 2
      - 0
    .max_flat_workgroup_size: 256
    .name:           _ZN7rocprim17ROCPRIM_400000_NS6detail17trampoline_kernelINS0_14default_configENS1_20scan_config_selectorIxEEZZNS1_9scan_implILNS1_25lookback_scan_determinismE0ELb1ELb1ES3_N6thrust23THRUST_200600_302600_NS6detail15normal_iteratorINS9_10device_ptrIxEEEESE_x11max_functorIxExEEDaPvRmT3_T4_T5_mT6_P12ihipStream_tbENKUlT_T0_E_clISt17integral_constantIbLb1EEST_IbLb0EEEEDaSP_SQ_EUlSP_E_NS1_11comp_targetILNS1_3genE10ELNS1_11target_archE1200ELNS1_3gpuE4ELNS1_3repE0EEENS1_30default_config_static_selectorELNS0_4arch9wavefront6targetE1EEEvT1_
    .private_segment_fixed_size: 0
    .sgpr_count:     4
    .sgpr_spill_count: 0
    .symbol:         _ZN7rocprim17ROCPRIM_400000_NS6detail17trampoline_kernelINS0_14default_configENS1_20scan_config_selectorIxEEZZNS1_9scan_implILNS1_25lookback_scan_determinismE0ELb1ELb1ES3_N6thrust23THRUST_200600_302600_NS6detail15normal_iteratorINS9_10device_ptrIxEEEESE_x11max_functorIxExEEDaPvRmT3_T4_T5_mT6_P12ihipStream_tbENKUlT_T0_E_clISt17integral_constantIbLb1EEST_IbLb0EEEEDaSP_SQ_EUlSP_E_NS1_11comp_targetILNS1_3genE10ELNS1_11target_archE1200ELNS1_3gpuE4ELNS1_3repE0EEENS1_30default_config_static_selectorELNS0_4arch9wavefront6targetE1EEEvT1_.kd
    .uniform_work_group_size: 1
    .uses_dynamic_stack: false
    .vgpr_count:     0
    .vgpr_spill_count: 0
    .wavefront_size: 64
  - .agpr_count:     0
    .args:
      - .offset:         0
        .size:           104
        .value_kind:     by_value
    .group_segment_fixed_size: 0
    .kernarg_segment_align: 8
    .kernarg_segment_size: 104
    .language:       OpenCL C
    .language_version:
      - 2
      - 0
    .max_flat_workgroup_size: 256
    .name:           _ZN7rocprim17ROCPRIM_400000_NS6detail17trampoline_kernelINS0_14default_configENS1_20scan_config_selectorIxEEZZNS1_9scan_implILNS1_25lookback_scan_determinismE0ELb1ELb1ES3_N6thrust23THRUST_200600_302600_NS6detail15normal_iteratorINS9_10device_ptrIxEEEESE_x11max_functorIxExEEDaPvRmT3_T4_T5_mT6_P12ihipStream_tbENKUlT_T0_E_clISt17integral_constantIbLb1EEST_IbLb0EEEEDaSP_SQ_EUlSP_E_NS1_11comp_targetILNS1_3genE9ELNS1_11target_archE1100ELNS1_3gpuE3ELNS1_3repE0EEENS1_30default_config_static_selectorELNS0_4arch9wavefront6targetE1EEEvT1_
    .private_segment_fixed_size: 0
    .sgpr_count:     4
    .sgpr_spill_count: 0
    .symbol:         _ZN7rocprim17ROCPRIM_400000_NS6detail17trampoline_kernelINS0_14default_configENS1_20scan_config_selectorIxEEZZNS1_9scan_implILNS1_25lookback_scan_determinismE0ELb1ELb1ES3_N6thrust23THRUST_200600_302600_NS6detail15normal_iteratorINS9_10device_ptrIxEEEESE_x11max_functorIxExEEDaPvRmT3_T4_T5_mT6_P12ihipStream_tbENKUlT_T0_E_clISt17integral_constantIbLb1EEST_IbLb0EEEEDaSP_SQ_EUlSP_E_NS1_11comp_targetILNS1_3genE9ELNS1_11target_archE1100ELNS1_3gpuE3ELNS1_3repE0EEENS1_30default_config_static_selectorELNS0_4arch9wavefront6targetE1EEEvT1_.kd
    .uniform_work_group_size: 1
    .uses_dynamic_stack: false
    .vgpr_count:     0
    .vgpr_spill_count: 0
    .wavefront_size: 64
  - .agpr_count:     0
    .args:
      - .offset:         0
        .size:           104
        .value_kind:     by_value
    .group_segment_fixed_size: 0
    .kernarg_segment_align: 8
    .kernarg_segment_size: 104
    .language:       OpenCL C
    .language_version:
      - 2
      - 0
    .max_flat_workgroup_size: 256
    .name:           _ZN7rocprim17ROCPRIM_400000_NS6detail17trampoline_kernelINS0_14default_configENS1_20scan_config_selectorIxEEZZNS1_9scan_implILNS1_25lookback_scan_determinismE0ELb1ELb1ES3_N6thrust23THRUST_200600_302600_NS6detail15normal_iteratorINS9_10device_ptrIxEEEESE_x11max_functorIxExEEDaPvRmT3_T4_T5_mT6_P12ihipStream_tbENKUlT_T0_E_clISt17integral_constantIbLb1EEST_IbLb0EEEEDaSP_SQ_EUlSP_E_NS1_11comp_targetILNS1_3genE8ELNS1_11target_archE1030ELNS1_3gpuE2ELNS1_3repE0EEENS1_30default_config_static_selectorELNS0_4arch9wavefront6targetE1EEEvT1_
    .private_segment_fixed_size: 0
    .sgpr_count:     4
    .sgpr_spill_count: 0
    .symbol:         _ZN7rocprim17ROCPRIM_400000_NS6detail17trampoline_kernelINS0_14default_configENS1_20scan_config_selectorIxEEZZNS1_9scan_implILNS1_25lookback_scan_determinismE0ELb1ELb1ES3_N6thrust23THRUST_200600_302600_NS6detail15normal_iteratorINS9_10device_ptrIxEEEESE_x11max_functorIxExEEDaPvRmT3_T4_T5_mT6_P12ihipStream_tbENKUlT_T0_E_clISt17integral_constantIbLb1EEST_IbLb0EEEEDaSP_SQ_EUlSP_E_NS1_11comp_targetILNS1_3genE8ELNS1_11target_archE1030ELNS1_3gpuE2ELNS1_3repE0EEENS1_30default_config_static_selectorELNS0_4arch9wavefront6targetE1EEEvT1_.kd
    .uniform_work_group_size: 1
    .uses_dynamic_stack: false
    .vgpr_count:     0
    .vgpr_spill_count: 0
    .wavefront_size: 64
  - .agpr_count:     0
    .args:
      - .offset:         0
        .size:           40
        .value_kind:     by_value
    .group_segment_fixed_size: 0
    .kernarg_segment_align: 8
    .kernarg_segment_size: 40
    .language:       OpenCL C
    .language_version:
      - 2
      - 0
    .max_flat_workgroup_size: 256
    .name:           _ZN7rocprim17ROCPRIM_400000_NS6detail17trampoline_kernelINS0_14default_configENS1_20scan_config_selectorIxEEZZNS1_9scan_implILNS1_25lookback_scan_determinismE0ELb1ELb1ES3_N6thrust23THRUST_200600_302600_NS6detail15normal_iteratorINS9_10device_ptrIxEEEESE_x11max_functorIxExEEDaPvRmT3_T4_T5_mT6_P12ihipStream_tbENKUlT_T0_E_clISt17integral_constantIbLb1EEST_IbLb0EEEEDaSP_SQ_EUlSP_E0_NS1_11comp_targetILNS1_3genE0ELNS1_11target_archE4294967295ELNS1_3gpuE0ELNS1_3repE0EEENS1_30default_config_static_selectorELNS0_4arch9wavefront6targetE1EEEvT1_
    .private_segment_fixed_size: 0
    .sgpr_count:     4
    .sgpr_spill_count: 0
    .symbol:         _ZN7rocprim17ROCPRIM_400000_NS6detail17trampoline_kernelINS0_14default_configENS1_20scan_config_selectorIxEEZZNS1_9scan_implILNS1_25lookback_scan_determinismE0ELb1ELb1ES3_N6thrust23THRUST_200600_302600_NS6detail15normal_iteratorINS9_10device_ptrIxEEEESE_x11max_functorIxExEEDaPvRmT3_T4_T5_mT6_P12ihipStream_tbENKUlT_T0_E_clISt17integral_constantIbLb1EEST_IbLb0EEEEDaSP_SQ_EUlSP_E0_NS1_11comp_targetILNS1_3genE0ELNS1_11target_archE4294967295ELNS1_3gpuE0ELNS1_3repE0EEENS1_30default_config_static_selectorELNS0_4arch9wavefront6targetE1EEEvT1_.kd
    .uniform_work_group_size: 1
    .uses_dynamic_stack: false
    .vgpr_count:     0
    .vgpr_spill_count: 0
    .wavefront_size: 64
  - .agpr_count:     0
    .args:
      - .offset:         0
        .size:           40
        .value_kind:     by_value
    .group_segment_fixed_size: 0
    .kernarg_segment_align: 8
    .kernarg_segment_size: 40
    .language:       OpenCL C
    .language_version:
      - 2
      - 0
    .max_flat_workgroup_size: 256
    .name:           _ZN7rocprim17ROCPRIM_400000_NS6detail17trampoline_kernelINS0_14default_configENS1_20scan_config_selectorIxEEZZNS1_9scan_implILNS1_25lookback_scan_determinismE0ELb1ELb1ES3_N6thrust23THRUST_200600_302600_NS6detail15normal_iteratorINS9_10device_ptrIxEEEESE_x11max_functorIxExEEDaPvRmT3_T4_T5_mT6_P12ihipStream_tbENKUlT_T0_E_clISt17integral_constantIbLb1EEST_IbLb0EEEEDaSP_SQ_EUlSP_E0_NS1_11comp_targetILNS1_3genE5ELNS1_11target_archE942ELNS1_3gpuE9ELNS1_3repE0EEENS1_30default_config_static_selectorELNS0_4arch9wavefront6targetE1EEEvT1_
    .private_segment_fixed_size: 0
    .sgpr_count:     4
    .sgpr_spill_count: 0
    .symbol:         _ZN7rocprim17ROCPRIM_400000_NS6detail17trampoline_kernelINS0_14default_configENS1_20scan_config_selectorIxEEZZNS1_9scan_implILNS1_25lookback_scan_determinismE0ELb1ELb1ES3_N6thrust23THRUST_200600_302600_NS6detail15normal_iteratorINS9_10device_ptrIxEEEESE_x11max_functorIxExEEDaPvRmT3_T4_T5_mT6_P12ihipStream_tbENKUlT_T0_E_clISt17integral_constantIbLb1EEST_IbLb0EEEEDaSP_SQ_EUlSP_E0_NS1_11comp_targetILNS1_3genE5ELNS1_11target_archE942ELNS1_3gpuE9ELNS1_3repE0EEENS1_30default_config_static_selectorELNS0_4arch9wavefront6targetE1EEEvT1_.kd
    .uniform_work_group_size: 1
    .uses_dynamic_stack: false
    .vgpr_count:     0
    .vgpr_spill_count: 0
    .wavefront_size: 64
  - .agpr_count:     0
    .args:
      - .offset:         0
        .size:           40
        .value_kind:     by_value
    .group_segment_fixed_size: 7168
    .kernarg_segment_align: 8
    .kernarg_segment_size: 40
    .language:       OpenCL C
    .language_version:
      - 2
      - 0
    .max_flat_workgroup_size: 128
    .name:           _ZN7rocprim17ROCPRIM_400000_NS6detail17trampoline_kernelINS0_14default_configENS1_20scan_config_selectorIxEEZZNS1_9scan_implILNS1_25lookback_scan_determinismE0ELb1ELb1ES3_N6thrust23THRUST_200600_302600_NS6detail15normal_iteratorINS9_10device_ptrIxEEEESE_x11max_functorIxExEEDaPvRmT3_T4_T5_mT6_P12ihipStream_tbENKUlT_T0_E_clISt17integral_constantIbLb1EEST_IbLb0EEEEDaSP_SQ_EUlSP_E0_NS1_11comp_targetILNS1_3genE4ELNS1_11target_archE910ELNS1_3gpuE8ELNS1_3repE0EEENS1_30default_config_static_selectorELNS0_4arch9wavefront6targetE1EEEvT1_
    .private_segment_fixed_size: 0
    .sgpr_count:     28
    .sgpr_spill_count: 0
    .symbol:         _ZN7rocprim17ROCPRIM_400000_NS6detail17trampoline_kernelINS0_14default_configENS1_20scan_config_selectorIxEEZZNS1_9scan_implILNS1_25lookback_scan_determinismE0ELb1ELb1ES3_N6thrust23THRUST_200600_302600_NS6detail15normal_iteratorINS9_10device_ptrIxEEEESE_x11max_functorIxExEEDaPvRmT3_T4_T5_mT6_P12ihipStream_tbENKUlT_T0_E_clISt17integral_constantIbLb1EEST_IbLb0EEEEDaSP_SQ_EUlSP_E0_NS1_11comp_targetILNS1_3genE4ELNS1_11target_archE910ELNS1_3gpuE8ELNS1_3repE0EEENS1_30default_config_static_selectorELNS0_4arch9wavefront6targetE1EEEvT1_.kd
    .uniform_work_group_size: 1
    .uses_dynamic_stack: false
    .vgpr_count:     30
    .vgpr_spill_count: 0
    .wavefront_size: 64
  - .agpr_count:     0
    .args:
      - .offset:         0
        .size:           40
        .value_kind:     by_value
    .group_segment_fixed_size: 0
    .kernarg_segment_align: 8
    .kernarg_segment_size: 40
    .language:       OpenCL C
    .language_version:
      - 2
      - 0
    .max_flat_workgroup_size: 256
    .name:           _ZN7rocprim17ROCPRIM_400000_NS6detail17trampoline_kernelINS0_14default_configENS1_20scan_config_selectorIxEEZZNS1_9scan_implILNS1_25lookback_scan_determinismE0ELb1ELb1ES3_N6thrust23THRUST_200600_302600_NS6detail15normal_iteratorINS9_10device_ptrIxEEEESE_x11max_functorIxExEEDaPvRmT3_T4_T5_mT6_P12ihipStream_tbENKUlT_T0_E_clISt17integral_constantIbLb1EEST_IbLb0EEEEDaSP_SQ_EUlSP_E0_NS1_11comp_targetILNS1_3genE3ELNS1_11target_archE908ELNS1_3gpuE7ELNS1_3repE0EEENS1_30default_config_static_selectorELNS0_4arch9wavefront6targetE1EEEvT1_
    .private_segment_fixed_size: 0
    .sgpr_count:     4
    .sgpr_spill_count: 0
    .symbol:         _ZN7rocprim17ROCPRIM_400000_NS6detail17trampoline_kernelINS0_14default_configENS1_20scan_config_selectorIxEEZZNS1_9scan_implILNS1_25lookback_scan_determinismE0ELb1ELb1ES3_N6thrust23THRUST_200600_302600_NS6detail15normal_iteratorINS9_10device_ptrIxEEEESE_x11max_functorIxExEEDaPvRmT3_T4_T5_mT6_P12ihipStream_tbENKUlT_T0_E_clISt17integral_constantIbLb1EEST_IbLb0EEEEDaSP_SQ_EUlSP_E0_NS1_11comp_targetILNS1_3genE3ELNS1_11target_archE908ELNS1_3gpuE7ELNS1_3repE0EEENS1_30default_config_static_selectorELNS0_4arch9wavefront6targetE1EEEvT1_.kd
    .uniform_work_group_size: 1
    .uses_dynamic_stack: false
    .vgpr_count:     0
    .vgpr_spill_count: 0
    .wavefront_size: 64
  - .agpr_count:     0
    .args:
      - .offset:         0
        .size:           40
        .value_kind:     by_value
    .group_segment_fixed_size: 0
    .kernarg_segment_align: 8
    .kernarg_segment_size: 40
    .language:       OpenCL C
    .language_version:
      - 2
      - 0
    .max_flat_workgroup_size: 64
    .name:           _ZN7rocprim17ROCPRIM_400000_NS6detail17trampoline_kernelINS0_14default_configENS1_20scan_config_selectorIxEEZZNS1_9scan_implILNS1_25lookback_scan_determinismE0ELb1ELb1ES3_N6thrust23THRUST_200600_302600_NS6detail15normal_iteratorINS9_10device_ptrIxEEEESE_x11max_functorIxExEEDaPvRmT3_T4_T5_mT6_P12ihipStream_tbENKUlT_T0_E_clISt17integral_constantIbLb1EEST_IbLb0EEEEDaSP_SQ_EUlSP_E0_NS1_11comp_targetILNS1_3genE2ELNS1_11target_archE906ELNS1_3gpuE6ELNS1_3repE0EEENS1_30default_config_static_selectorELNS0_4arch9wavefront6targetE1EEEvT1_
    .private_segment_fixed_size: 0
    .sgpr_count:     4
    .sgpr_spill_count: 0
    .symbol:         _ZN7rocprim17ROCPRIM_400000_NS6detail17trampoline_kernelINS0_14default_configENS1_20scan_config_selectorIxEEZZNS1_9scan_implILNS1_25lookback_scan_determinismE0ELb1ELb1ES3_N6thrust23THRUST_200600_302600_NS6detail15normal_iteratorINS9_10device_ptrIxEEEESE_x11max_functorIxExEEDaPvRmT3_T4_T5_mT6_P12ihipStream_tbENKUlT_T0_E_clISt17integral_constantIbLb1EEST_IbLb0EEEEDaSP_SQ_EUlSP_E0_NS1_11comp_targetILNS1_3genE2ELNS1_11target_archE906ELNS1_3gpuE6ELNS1_3repE0EEENS1_30default_config_static_selectorELNS0_4arch9wavefront6targetE1EEEvT1_.kd
    .uniform_work_group_size: 1
    .uses_dynamic_stack: false
    .vgpr_count:     0
    .vgpr_spill_count: 0
    .wavefront_size: 64
  - .agpr_count:     0
    .args:
      - .offset:         0
        .size:           40
        .value_kind:     by_value
    .group_segment_fixed_size: 0
    .kernarg_segment_align: 8
    .kernarg_segment_size: 40
    .language:       OpenCL C
    .language_version:
      - 2
      - 0
    .max_flat_workgroup_size: 256
    .name:           _ZN7rocprim17ROCPRIM_400000_NS6detail17trampoline_kernelINS0_14default_configENS1_20scan_config_selectorIxEEZZNS1_9scan_implILNS1_25lookback_scan_determinismE0ELb1ELb1ES3_N6thrust23THRUST_200600_302600_NS6detail15normal_iteratorINS9_10device_ptrIxEEEESE_x11max_functorIxExEEDaPvRmT3_T4_T5_mT6_P12ihipStream_tbENKUlT_T0_E_clISt17integral_constantIbLb1EEST_IbLb0EEEEDaSP_SQ_EUlSP_E0_NS1_11comp_targetILNS1_3genE10ELNS1_11target_archE1201ELNS1_3gpuE5ELNS1_3repE0EEENS1_30default_config_static_selectorELNS0_4arch9wavefront6targetE1EEEvT1_
    .private_segment_fixed_size: 0
    .sgpr_count:     4
    .sgpr_spill_count: 0
    .symbol:         _ZN7rocprim17ROCPRIM_400000_NS6detail17trampoline_kernelINS0_14default_configENS1_20scan_config_selectorIxEEZZNS1_9scan_implILNS1_25lookback_scan_determinismE0ELb1ELb1ES3_N6thrust23THRUST_200600_302600_NS6detail15normal_iteratorINS9_10device_ptrIxEEEESE_x11max_functorIxExEEDaPvRmT3_T4_T5_mT6_P12ihipStream_tbENKUlT_T0_E_clISt17integral_constantIbLb1EEST_IbLb0EEEEDaSP_SQ_EUlSP_E0_NS1_11comp_targetILNS1_3genE10ELNS1_11target_archE1201ELNS1_3gpuE5ELNS1_3repE0EEENS1_30default_config_static_selectorELNS0_4arch9wavefront6targetE1EEEvT1_.kd
    .uniform_work_group_size: 1
    .uses_dynamic_stack: false
    .vgpr_count:     0
    .vgpr_spill_count: 0
    .wavefront_size: 64
  - .agpr_count:     0
    .args:
      - .offset:         0
        .size:           40
        .value_kind:     by_value
    .group_segment_fixed_size: 0
    .kernarg_segment_align: 8
    .kernarg_segment_size: 40
    .language:       OpenCL C
    .language_version:
      - 2
      - 0
    .max_flat_workgroup_size: 256
    .name:           _ZN7rocprim17ROCPRIM_400000_NS6detail17trampoline_kernelINS0_14default_configENS1_20scan_config_selectorIxEEZZNS1_9scan_implILNS1_25lookback_scan_determinismE0ELb1ELb1ES3_N6thrust23THRUST_200600_302600_NS6detail15normal_iteratorINS9_10device_ptrIxEEEESE_x11max_functorIxExEEDaPvRmT3_T4_T5_mT6_P12ihipStream_tbENKUlT_T0_E_clISt17integral_constantIbLb1EEST_IbLb0EEEEDaSP_SQ_EUlSP_E0_NS1_11comp_targetILNS1_3genE10ELNS1_11target_archE1200ELNS1_3gpuE4ELNS1_3repE0EEENS1_30default_config_static_selectorELNS0_4arch9wavefront6targetE1EEEvT1_
    .private_segment_fixed_size: 0
    .sgpr_count:     4
    .sgpr_spill_count: 0
    .symbol:         _ZN7rocprim17ROCPRIM_400000_NS6detail17trampoline_kernelINS0_14default_configENS1_20scan_config_selectorIxEEZZNS1_9scan_implILNS1_25lookback_scan_determinismE0ELb1ELb1ES3_N6thrust23THRUST_200600_302600_NS6detail15normal_iteratorINS9_10device_ptrIxEEEESE_x11max_functorIxExEEDaPvRmT3_T4_T5_mT6_P12ihipStream_tbENKUlT_T0_E_clISt17integral_constantIbLb1EEST_IbLb0EEEEDaSP_SQ_EUlSP_E0_NS1_11comp_targetILNS1_3genE10ELNS1_11target_archE1200ELNS1_3gpuE4ELNS1_3repE0EEENS1_30default_config_static_selectorELNS0_4arch9wavefront6targetE1EEEvT1_.kd
    .uniform_work_group_size: 1
    .uses_dynamic_stack: false
    .vgpr_count:     0
    .vgpr_spill_count: 0
    .wavefront_size: 64
  - .agpr_count:     0
    .args:
      - .offset:         0
        .size:           40
        .value_kind:     by_value
    .group_segment_fixed_size: 0
    .kernarg_segment_align: 8
    .kernarg_segment_size: 40
    .language:       OpenCL C
    .language_version:
      - 2
      - 0
    .max_flat_workgroup_size: 256
    .name:           _ZN7rocprim17ROCPRIM_400000_NS6detail17trampoline_kernelINS0_14default_configENS1_20scan_config_selectorIxEEZZNS1_9scan_implILNS1_25lookback_scan_determinismE0ELb1ELb1ES3_N6thrust23THRUST_200600_302600_NS6detail15normal_iteratorINS9_10device_ptrIxEEEESE_x11max_functorIxExEEDaPvRmT3_T4_T5_mT6_P12ihipStream_tbENKUlT_T0_E_clISt17integral_constantIbLb1EEST_IbLb0EEEEDaSP_SQ_EUlSP_E0_NS1_11comp_targetILNS1_3genE9ELNS1_11target_archE1100ELNS1_3gpuE3ELNS1_3repE0EEENS1_30default_config_static_selectorELNS0_4arch9wavefront6targetE1EEEvT1_
    .private_segment_fixed_size: 0
    .sgpr_count:     4
    .sgpr_spill_count: 0
    .symbol:         _ZN7rocprim17ROCPRIM_400000_NS6detail17trampoline_kernelINS0_14default_configENS1_20scan_config_selectorIxEEZZNS1_9scan_implILNS1_25lookback_scan_determinismE0ELb1ELb1ES3_N6thrust23THRUST_200600_302600_NS6detail15normal_iteratorINS9_10device_ptrIxEEEESE_x11max_functorIxExEEDaPvRmT3_T4_T5_mT6_P12ihipStream_tbENKUlT_T0_E_clISt17integral_constantIbLb1EEST_IbLb0EEEEDaSP_SQ_EUlSP_E0_NS1_11comp_targetILNS1_3genE9ELNS1_11target_archE1100ELNS1_3gpuE3ELNS1_3repE0EEENS1_30default_config_static_selectorELNS0_4arch9wavefront6targetE1EEEvT1_.kd
    .uniform_work_group_size: 1
    .uses_dynamic_stack: false
    .vgpr_count:     0
    .vgpr_spill_count: 0
    .wavefront_size: 64
  - .agpr_count:     0
    .args:
      - .offset:         0
        .size:           40
        .value_kind:     by_value
    .group_segment_fixed_size: 0
    .kernarg_segment_align: 8
    .kernarg_segment_size: 40
    .language:       OpenCL C
    .language_version:
      - 2
      - 0
    .max_flat_workgroup_size: 256
    .name:           _ZN7rocprim17ROCPRIM_400000_NS6detail17trampoline_kernelINS0_14default_configENS1_20scan_config_selectorIxEEZZNS1_9scan_implILNS1_25lookback_scan_determinismE0ELb1ELb1ES3_N6thrust23THRUST_200600_302600_NS6detail15normal_iteratorINS9_10device_ptrIxEEEESE_x11max_functorIxExEEDaPvRmT3_T4_T5_mT6_P12ihipStream_tbENKUlT_T0_E_clISt17integral_constantIbLb1EEST_IbLb0EEEEDaSP_SQ_EUlSP_E0_NS1_11comp_targetILNS1_3genE8ELNS1_11target_archE1030ELNS1_3gpuE2ELNS1_3repE0EEENS1_30default_config_static_selectorELNS0_4arch9wavefront6targetE1EEEvT1_
    .private_segment_fixed_size: 0
    .sgpr_count:     4
    .sgpr_spill_count: 0
    .symbol:         _ZN7rocprim17ROCPRIM_400000_NS6detail17trampoline_kernelINS0_14default_configENS1_20scan_config_selectorIxEEZZNS1_9scan_implILNS1_25lookback_scan_determinismE0ELb1ELb1ES3_N6thrust23THRUST_200600_302600_NS6detail15normal_iteratorINS9_10device_ptrIxEEEESE_x11max_functorIxExEEDaPvRmT3_T4_T5_mT6_P12ihipStream_tbENKUlT_T0_E_clISt17integral_constantIbLb1EEST_IbLb0EEEEDaSP_SQ_EUlSP_E0_NS1_11comp_targetILNS1_3genE8ELNS1_11target_archE1030ELNS1_3gpuE2ELNS1_3repE0EEENS1_30default_config_static_selectorELNS0_4arch9wavefront6targetE1EEEvT1_.kd
    .uniform_work_group_size: 1
    .uses_dynamic_stack: false
    .vgpr_count:     0
    .vgpr_spill_count: 0
    .wavefront_size: 64
  - .agpr_count:     0
    .args:
      - .offset:         0
        .size:           104
        .value_kind:     by_value
    .group_segment_fixed_size: 0
    .kernarg_segment_align: 8
    .kernarg_segment_size: 104
    .language:       OpenCL C
    .language_version:
      - 2
      - 0
    .max_flat_workgroup_size: 256
    .name:           _ZN7rocprim17ROCPRIM_400000_NS6detail17trampoline_kernelINS0_14default_configENS1_20scan_config_selectorIxEEZZNS1_9scan_implILNS1_25lookback_scan_determinismE0ELb1ELb1ES3_N6thrust23THRUST_200600_302600_NS6detail15normal_iteratorINS9_10device_ptrIxEEEESE_x11max_functorIxExEEDaPvRmT3_T4_T5_mT6_P12ihipStream_tbENKUlT_T0_E_clISt17integral_constantIbLb0EEST_IbLb1EEEEDaSP_SQ_EUlSP_E_NS1_11comp_targetILNS1_3genE0ELNS1_11target_archE4294967295ELNS1_3gpuE0ELNS1_3repE0EEENS1_30default_config_static_selectorELNS0_4arch9wavefront6targetE1EEEvT1_
    .private_segment_fixed_size: 0
    .sgpr_count:     4
    .sgpr_spill_count: 0
    .symbol:         _ZN7rocprim17ROCPRIM_400000_NS6detail17trampoline_kernelINS0_14default_configENS1_20scan_config_selectorIxEEZZNS1_9scan_implILNS1_25lookback_scan_determinismE0ELb1ELb1ES3_N6thrust23THRUST_200600_302600_NS6detail15normal_iteratorINS9_10device_ptrIxEEEESE_x11max_functorIxExEEDaPvRmT3_T4_T5_mT6_P12ihipStream_tbENKUlT_T0_E_clISt17integral_constantIbLb0EEST_IbLb1EEEEDaSP_SQ_EUlSP_E_NS1_11comp_targetILNS1_3genE0ELNS1_11target_archE4294967295ELNS1_3gpuE0ELNS1_3repE0EEENS1_30default_config_static_selectorELNS0_4arch9wavefront6targetE1EEEvT1_.kd
    .uniform_work_group_size: 1
    .uses_dynamic_stack: false
    .vgpr_count:     0
    .vgpr_spill_count: 0
    .wavefront_size: 64
  - .agpr_count:     0
    .args:
      - .offset:         0
        .size:           104
        .value_kind:     by_value
    .group_segment_fixed_size: 0
    .kernarg_segment_align: 8
    .kernarg_segment_size: 104
    .language:       OpenCL C
    .language_version:
      - 2
      - 0
    .max_flat_workgroup_size: 256
    .name:           _ZN7rocprim17ROCPRIM_400000_NS6detail17trampoline_kernelINS0_14default_configENS1_20scan_config_selectorIxEEZZNS1_9scan_implILNS1_25lookback_scan_determinismE0ELb1ELb1ES3_N6thrust23THRUST_200600_302600_NS6detail15normal_iteratorINS9_10device_ptrIxEEEESE_x11max_functorIxExEEDaPvRmT3_T4_T5_mT6_P12ihipStream_tbENKUlT_T0_E_clISt17integral_constantIbLb0EEST_IbLb1EEEEDaSP_SQ_EUlSP_E_NS1_11comp_targetILNS1_3genE5ELNS1_11target_archE942ELNS1_3gpuE9ELNS1_3repE0EEENS1_30default_config_static_selectorELNS0_4arch9wavefront6targetE1EEEvT1_
    .private_segment_fixed_size: 0
    .sgpr_count:     4
    .sgpr_spill_count: 0
    .symbol:         _ZN7rocprim17ROCPRIM_400000_NS6detail17trampoline_kernelINS0_14default_configENS1_20scan_config_selectorIxEEZZNS1_9scan_implILNS1_25lookback_scan_determinismE0ELb1ELb1ES3_N6thrust23THRUST_200600_302600_NS6detail15normal_iteratorINS9_10device_ptrIxEEEESE_x11max_functorIxExEEDaPvRmT3_T4_T5_mT6_P12ihipStream_tbENKUlT_T0_E_clISt17integral_constantIbLb0EEST_IbLb1EEEEDaSP_SQ_EUlSP_E_NS1_11comp_targetILNS1_3genE5ELNS1_11target_archE942ELNS1_3gpuE9ELNS1_3repE0EEENS1_30default_config_static_selectorELNS0_4arch9wavefront6targetE1EEEvT1_.kd
    .uniform_work_group_size: 1
    .uses_dynamic_stack: false
    .vgpr_count:     0
    .vgpr_spill_count: 0
    .wavefront_size: 64
  - .agpr_count:     0
    .args:
      - .offset:         0
        .size:           104
        .value_kind:     by_value
    .group_segment_fixed_size: 7168
    .kernarg_segment_align: 8
    .kernarg_segment_size: 104
    .language:       OpenCL C
    .language_version:
      - 2
      - 0
    .max_flat_workgroup_size: 128
    .name:           _ZN7rocprim17ROCPRIM_400000_NS6detail17trampoline_kernelINS0_14default_configENS1_20scan_config_selectorIxEEZZNS1_9scan_implILNS1_25lookback_scan_determinismE0ELb1ELb1ES3_N6thrust23THRUST_200600_302600_NS6detail15normal_iteratorINS9_10device_ptrIxEEEESE_x11max_functorIxExEEDaPvRmT3_T4_T5_mT6_P12ihipStream_tbENKUlT_T0_E_clISt17integral_constantIbLb0EEST_IbLb1EEEEDaSP_SQ_EUlSP_E_NS1_11comp_targetILNS1_3genE4ELNS1_11target_archE910ELNS1_3gpuE8ELNS1_3repE0EEENS1_30default_config_static_selectorELNS0_4arch9wavefront6targetE1EEEvT1_
    .private_segment_fixed_size: 0
    .sgpr_count:     46
    .sgpr_spill_count: 0
    .symbol:         _ZN7rocprim17ROCPRIM_400000_NS6detail17trampoline_kernelINS0_14default_configENS1_20scan_config_selectorIxEEZZNS1_9scan_implILNS1_25lookback_scan_determinismE0ELb1ELb1ES3_N6thrust23THRUST_200600_302600_NS6detail15normal_iteratorINS9_10device_ptrIxEEEESE_x11max_functorIxExEEDaPvRmT3_T4_T5_mT6_P12ihipStream_tbENKUlT_T0_E_clISt17integral_constantIbLb0EEST_IbLb1EEEEDaSP_SQ_EUlSP_E_NS1_11comp_targetILNS1_3genE4ELNS1_11target_archE910ELNS1_3gpuE8ELNS1_3repE0EEENS1_30default_config_static_selectorELNS0_4arch9wavefront6targetE1EEEvT1_.kd
    .uniform_work_group_size: 1
    .uses_dynamic_stack: false
    .vgpr_count:     58
    .vgpr_spill_count: 0
    .wavefront_size: 64
  - .agpr_count:     0
    .args:
      - .offset:         0
        .size:           104
        .value_kind:     by_value
    .group_segment_fixed_size: 0
    .kernarg_segment_align: 8
    .kernarg_segment_size: 104
    .language:       OpenCL C
    .language_version:
      - 2
      - 0
    .max_flat_workgroup_size: 256
    .name:           _ZN7rocprim17ROCPRIM_400000_NS6detail17trampoline_kernelINS0_14default_configENS1_20scan_config_selectorIxEEZZNS1_9scan_implILNS1_25lookback_scan_determinismE0ELb1ELb1ES3_N6thrust23THRUST_200600_302600_NS6detail15normal_iteratorINS9_10device_ptrIxEEEESE_x11max_functorIxExEEDaPvRmT3_T4_T5_mT6_P12ihipStream_tbENKUlT_T0_E_clISt17integral_constantIbLb0EEST_IbLb1EEEEDaSP_SQ_EUlSP_E_NS1_11comp_targetILNS1_3genE3ELNS1_11target_archE908ELNS1_3gpuE7ELNS1_3repE0EEENS1_30default_config_static_selectorELNS0_4arch9wavefront6targetE1EEEvT1_
    .private_segment_fixed_size: 0
    .sgpr_count:     4
    .sgpr_spill_count: 0
    .symbol:         _ZN7rocprim17ROCPRIM_400000_NS6detail17trampoline_kernelINS0_14default_configENS1_20scan_config_selectorIxEEZZNS1_9scan_implILNS1_25lookback_scan_determinismE0ELb1ELb1ES3_N6thrust23THRUST_200600_302600_NS6detail15normal_iteratorINS9_10device_ptrIxEEEESE_x11max_functorIxExEEDaPvRmT3_T4_T5_mT6_P12ihipStream_tbENKUlT_T0_E_clISt17integral_constantIbLb0EEST_IbLb1EEEEDaSP_SQ_EUlSP_E_NS1_11comp_targetILNS1_3genE3ELNS1_11target_archE908ELNS1_3gpuE7ELNS1_3repE0EEENS1_30default_config_static_selectorELNS0_4arch9wavefront6targetE1EEEvT1_.kd
    .uniform_work_group_size: 1
    .uses_dynamic_stack: false
    .vgpr_count:     0
    .vgpr_spill_count: 0
    .wavefront_size: 64
  - .agpr_count:     0
    .args:
      - .offset:         0
        .size:           104
        .value_kind:     by_value
    .group_segment_fixed_size: 0
    .kernarg_segment_align: 8
    .kernarg_segment_size: 104
    .language:       OpenCL C
    .language_version:
      - 2
      - 0
    .max_flat_workgroup_size: 64
    .name:           _ZN7rocprim17ROCPRIM_400000_NS6detail17trampoline_kernelINS0_14default_configENS1_20scan_config_selectorIxEEZZNS1_9scan_implILNS1_25lookback_scan_determinismE0ELb1ELb1ES3_N6thrust23THRUST_200600_302600_NS6detail15normal_iteratorINS9_10device_ptrIxEEEESE_x11max_functorIxExEEDaPvRmT3_T4_T5_mT6_P12ihipStream_tbENKUlT_T0_E_clISt17integral_constantIbLb0EEST_IbLb1EEEEDaSP_SQ_EUlSP_E_NS1_11comp_targetILNS1_3genE2ELNS1_11target_archE906ELNS1_3gpuE6ELNS1_3repE0EEENS1_30default_config_static_selectorELNS0_4arch9wavefront6targetE1EEEvT1_
    .private_segment_fixed_size: 0
    .sgpr_count:     4
    .sgpr_spill_count: 0
    .symbol:         _ZN7rocprim17ROCPRIM_400000_NS6detail17trampoline_kernelINS0_14default_configENS1_20scan_config_selectorIxEEZZNS1_9scan_implILNS1_25lookback_scan_determinismE0ELb1ELb1ES3_N6thrust23THRUST_200600_302600_NS6detail15normal_iteratorINS9_10device_ptrIxEEEESE_x11max_functorIxExEEDaPvRmT3_T4_T5_mT6_P12ihipStream_tbENKUlT_T0_E_clISt17integral_constantIbLb0EEST_IbLb1EEEEDaSP_SQ_EUlSP_E_NS1_11comp_targetILNS1_3genE2ELNS1_11target_archE906ELNS1_3gpuE6ELNS1_3repE0EEENS1_30default_config_static_selectorELNS0_4arch9wavefront6targetE1EEEvT1_.kd
    .uniform_work_group_size: 1
    .uses_dynamic_stack: false
    .vgpr_count:     0
    .vgpr_spill_count: 0
    .wavefront_size: 64
  - .agpr_count:     0
    .args:
      - .offset:         0
        .size:           104
        .value_kind:     by_value
    .group_segment_fixed_size: 0
    .kernarg_segment_align: 8
    .kernarg_segment_size: 104
    .language:       OpenCL C
    .language_version:
      - 2
      - 0
    .max_flat_workgroup_size: 256
    .name:           _ZN7rocprim17ROCPRIM_400000_NS6detail17trampoline_kernelINS0_14default_configENS1_20scan_config_selectorIxEEZZNS1_9scan_implILNS1_25lookback_scan_determinismE0ELb1ELb1ES3_N6thrust23THRUST_200600_302600_NS6detail15normal_iteratorINS9_10device_ptrIxEEEESE_x11max_functorIxExEEDaPvRmT3_T4_T5_mT6_P12ihipStream_tbENKUlT_T0_E_clISt17integral_constantIbLb0EEST_IbLb1EEEEDaSP_SQ_EUlSP_E_NS1_11comp_targetILNS1_3genE10ELNS1_11target_archE1201ELNS1_3gpuE5ELNS1_3repE0EEENS1_30default_config_static_selectorELNS0_4arch9wavefront6targetE1EEEvT1_
    .private_segment_fixed_size: 0
    .sgpr_count:     4
    .sgpr_spill_count: 0
    .symbol:         _ZN7rocprim17ROCPRIM_400000_NS6detail17trampoline_kernelINS0_14default_configENS1_20scan_config_selectorIxEEZZNS1_9scan_implILNS1_25lookback_scan_determinismE0ELb1ELb1ES3_N6thrust23THRUST_200600_302600_NS6detail15normal_iteratorINS9_10device_ptrIxEEEESE_x11max_functorIxExEEDaPvRmT3_T4_T5_mT6_P12ihipStream_tbENKUlT_T0_E_clISt17integral_constantIbLb0EEST_IbLb1EEEEDaSP_SQ_EUlSP_E_NS1_11comp_targetILNS1_3genE10ELNS1_11target_archE1201ELNS1_3gpuE5ELNS1_3repE0EEENS1_30default_config_static_selectorELNS0_4arch9wavefront6targetE1EEEvT1_.kd
    .uniform_work_group_size: 1
    .uses_dynamic_stack: false
    .vgpr_count:     0
    .vgpr_spill_count: 0
    .wavefront_size: 64
  - .agpr_count:     0
    .args:
      - .offset:         0
        .size:           104
        .value_kind:     by_value
    .group_segment_fixed_size: 0
    .kernarg_segment_align: 8
    .kernarg_segment_size: 104
    .language:       OpenCL C
    .language_version:
      - 2
      - 0
    .max_flat_workgroup_size: 256
    .name:           _ZN7rocprim17ROCPRIM_400000_NS6detail17trampoline_kernelINS0_14default_configENS1_20scan_config_selectorIxEEZZNS1_9scan_implILNS1_25lookback_scan_determinismE0ELb1ELb1ES3_N6thrust23THRUST_200600_302600_NS6detail15normal_iteratorINS9_10device_ptrIxEEEESE_x11max_functorIxExEEDaPvRmT3_T4_T5_mT6_P12ihipStream_tbENKUlT_T0_E_clISt17integral_constantIbLb0EEST_IbLb1EEEEDaSP_SQ_EUlSP_E_NS1_11comp_targetILNS1_3genE10ELNS1_11target_archE1200ELNS1_3gpuE4ELNS1_3repE0EEENS1_30default_config_static_selectorELNS0_4arch9wavefront6targetE1EEEvT1_
    .private_segment_fixed_size: 0
    .sgpr_count:     4
    .sgpr_spill_count: 0
    .symbol:         _ZN7rocprim17ROCPRIM_400000_NS6detail17trampoline_kernelINS0_14default_configENS1_20scan_config_selectorIxEEZZNS1_9scan_implILNS1_25lookback_scan_determinismE0ELb1ELb1ES3_N6thrust23THRUST_200600_302600_NS6detail15normal_iteratorINS9_10device_ptrIxEEEESE_x11max_functorIxExEEDaPvRmT3_T4_T5_mT6_P12ihipStream_tbENKUlT_T0_E_clISt17integral_constantIbLb0EEST_IbLb1EEEEDaSP_SQ_EUlSP_E_NS1_11comp_targetILNS1_3genE10ELNS1_11target_archE1200ELNS1_3gpuE4ELNS1_3repE0EEENS1_30default_config_static_selectorELNS0_4arch9wavefront6targetE1EEEvT1_.kd
    .uniform_work_group_size: 1
    .uses_dynamic_stack: false
    .vgpr_count:     0
    .vgpr_spill_count: 0
    .wavefront_size: 64
  - .agpr_count:     0
    .args:
      - .offset:         0
        .size:           104
        .value_kind:     by_value
    .group_segment_fixed_size: 0
    .kernarg_segment_align: 8
    .kernarg_segment_size: 104
    .language:       OpenCL C
    .language_version:
      - 2
      - 0
    .max_flat_workgroup_size: 256
    .name:           _ZN7rocprim17ROCPRIM_400000_NS6detail17trampoline_kernelINS0_14default_configENS1_20scan_config_selectorIxEEZZNS1_9scan_implILNS1_25lookback_scan_determinismE0ELb1ELb1ES3_N6thrust23THRUST_200600_302600_NS6detail15normal_iteratorINS9_10device_ptrIxEEEESE_x11max_functorIxExEEDaPvRmT3_T4_T5_mT6_P12ihipStream_tbENKUlT_T0_E_clISt17integral_constantIbLb0EEST_IbLb1EEEEDaSP_SQ_EUlSP_E_NS1_11comp_targetILNS1_3genE9ELNS1_11target_archE1100ELNS1_3gpuE3ELNS1_3repE0EEENS1_30default_config_static_selectorELNS0_4arch9wavefront6targetE1EEEvT1_
    .private_segment_fixed_size: 0
    .sgpr_count:     4
    .sgpr_spill_count: 0
    .symbol:         _ZN7rocprim17ROCPRIM_400000_NS6detail17trampoline_kernelINS0_14default_configENS1_20scan_config_selectorIxEEZZNS1_9scan_implILNS1_25lookback_scan_determinismE0ELb1ELb1ES3_N6thrust23THRUST_200600_302600_NS6detail15normal_iteratorINS9_10device_ptrIxEEEESE_x11max_functorIxExEEDaPvRmT3_T4_T5_mT6_P12ihipStream_tbENKUlT_T0_E_clISt17integral_constantIbLb0EEST_IbLb1EEEEDaSP_SQ_EUlSP_E_NS1_11comp_targetILNS1_3genE9ELNS1_11target_archE1100ELNS1_3gpuE3ELNS1_3repE0EEENS1_30default_config_static_selectorELNS0_4arch9wavefront6targetE1EEEvT1_.kd
    .uniform_work_group_size: 1
    .uses_dynamic_stack: false
    .vgpr_count:     0
    .vgpr_spill_count: 0
    .wavefront_size: 64
  - .agpr_count:     0
    .args:
      - .offset:         0
        .size:           104
        .value_kind:     by_value
    .group_segment_fixed_size: 0
    .kernarg_segment_align: 8
    .kernarg_segment_size: 104
    .language:       OpenCL C
    .language_version:
      - 2
      - 0
    .max_flat_workgroup_size: 256
    .name:           _ZN7rocprim17ROCPRIM_400000_NS6detail17trampoline_kernelINS0_14default_configENS1_20scan_config_selectorIxEEZZNS1_9scan_implILNS1_25lookback_scan_determinismE0ELb1ELb1ES3_N6thrust23THRUST_200600_302600_NS6detail15normal_iteratorINS9_10device_ptrIxEEEESE_x11max_functorIxExEEDaPvRmT3_T4_T5_mT6_P12ihipStream_tbENKUlT_T0_E_clISt17integral_constantIbLb0EEST_IbLb1EEEEDaSP_SQ_EUlSP_E_NS1_11comp_targetILNS1_3genE8ELNS1_11target_archE1030ELNS1_3gpuE2ELNS1_3repE0EEENS1_30default_config_static_selectorELNS0_4arch9wavefront6targetE1EEEvT1_
    .private_segment_fixed_size: 0
    .sgpr_count:     4
    .sgpr_spill_count: 0
    .symbol:         _ZN7rocprim17ROCPRIM_400000_NS6detail17trampoline_kernelINS0_14default_configENS1_20scan_config_selectorIxEEZZNS1_9scan_implILNS1_25lookback_scan_determinismE0ELb1ELb1ES3_N6thrust23THRUST_200600_302600_NS6detail15normal_iteratorINS9_10device_ptrIxEEEESE_x11max_functorIxExEEDaPvRmT3_T4_T5_mT6_P12ihipStream_tbENKUlT_T0_E_clISt17integral_constantIbLb0EEST_IbLb1EEEEDaSP_SQ_EUlSP_E_NS1_11comp_targetILNS1_3genE8ELNS1_11target_archE1030ELNS1_3gpuE2ELNS1_3repE0EEENS1_30default_config_static_selectorELNS0_4arch9wavefront6targetE1EEEvT1_.kd
    .uniform_work_group_size: 1
    .uses_dynamic_stack: false
    .vgpr_count:     0
    .vgpr_spill_count: 0
    .wavefront_size: 64
  - .agpr_count:     0
    .args:
      - .offset:         0
        .size:           40
        .value_kind:     by_value
    .group_segment_fixed_size: 0
    .kernarg_segment_align: 8
    .kernarg_segment_size: 40
    .language:       OpenCL C
    .language_version:
      - 2
      - 0
    .max_flat_workgroup_size: 256
    .name:           _ZN7rocprim17ROCPRIM_400000_NS6detail17trampoline_kernelINS0_14default_configENS1_20scan_config_selectorIxEEZZNS1_9scan_implILNS1_25lookback_scan_determinismE0ELb1ELb1ES3_N6thrust23THRUST_200600_302600_NS6detail15normal_iteratorINS9_10device_ptrIxEEEESE_x11max_functorIxExEEDaPvRmT3_T4_T5_mT6_P12ihipStream_tbENKUlT_T0_E_clISt17integral_constantIbLb0EEST_IbLb1EEEEDaSP_SQ_EUlSP_E0_NS1_11comp_targetILNS1_3genE0ELNS1_11target_archE4294967295ELNS1_3gpuE0ELNS1_3repE0EEENS1_30default_config_static_selectorELNS0_4arch9wavefront6targetE1EEEvT1_
    .private_segment_fixed_size: 0
    .sgpr_count:     4
    .sgpr_spill_count: 0
    .symbol:         _ZN7rocprim17ROCPRIM_400000_NS6detail17trampoline_kernelINS0_14default_configENS1_20scan_config_selectorIxEEZZNS1_9scan_implILNS1_25lookback_scan_determinismE0ELb1ELb1ES3_N6thrust23THRUST_200600_302600_NS6detail15normal_iteratorINS9_10device_ptrIxEEEESE_x11max_functorIxExEEDaPvRmT3_T4_T5_mT6_P12ihipStream_tbENKUlT_T0_E_clISt17integral_constantIbLb0EEST_IbLb1EEEEDaSP_SQ_EUlSP_E0_NS1_11comp_targetILNS1_3genE0ELNS1_11target_archE4294967295ELNS1_3gpuE0ELNS1_3repE0EEENS1_30default_config_static_selectorELNS0_4arch9wavefront6targetE1EEEvT1_.kd
    .uniform_work_group_size: 1
    .uses_dynamic_stack: false
    .vgpr_count:     0
    .vgpr_spill_count: 0
    .wavefront_size: 64
  - .agpr_count:     0
    .args:
      - .offset:         0
        .size:           40
        .value_kind:     by_value
    .group_segment_fixed_size: 0
    .kernarg_segment_align: 8
    .kernarg_segment_size: 40
    .language:       OpenCL C
    .language_version:
      - 2
      - 0
    .max_flat_workgroup_size: 256
    .name:           _ZN7rocprim17ROCPRIM_400000_NS6detail17trampoline_kernelINS0_14default_configENS1_20scan_config_selectorIxEEZZNS1_9scan_implILNS1_25lookback_scan_determinismE0ELb1ELb1ES3_N6thrust23THRUST_200600_302600_NS6detail15normal_iteratorINS9_10device_ptrIxEEEESE_x11max_functorIxExEEDaPvRmT3_T4_T5_mT6_P12ihipStream_tbENKUlT_T0_E_clISt17integral_constantIbLb0EEST_IbLb1EEEEDaSP_SQ_EUlSP_E0_NS1_11comp_targetILNS1_3genE5ELNS1_11target_archE942ELNS1_3gpuE9ELNS1_3repE0EEENS1_30default_config_static_selectorELNS0_4arch9wavefront6targetE1EEEvT1_
    .private_segment_fixed_size: 0
    .sgpr_count:     4
    .sgpr_spill_count: 0
    .symbol:         _ZN7rocprim17ROCPRIM_400000_NS6detail17trampoline_kernelINS0_14default_configENS1_20scan_config_selectorIxEEZZNS1_9scan_implILNS1_25lookback_scan_determinismE0ELb1ELb1ES3_N6thrust23THRUST_200600_302600_NS6detail15normal_iteratorINS9_10device_ptrIxEEEESE_x11max_functorIxExEEDaPvRmT3_T4_T5_mT6_P12ihipStream_tbENKUlT_T0_E_clISt17integral_constantIbLb0EEST_IbLb1EEEEDaSP_SQ_EUlSP_E0_NS1_11comp_targetILNS1_3genE5ELNS1_11target_archE942ELNS1_3gpuE9ELNS1_3repE0EEENS1_30default_config_static_selectorELNS0_4arch9wavefront6targetE1EEEvT1_.kd
    .uniform_work_group_size: 1
    .uses_dynamic_stack: false
    .vgpr_count:     0
    .vgpr_spill_count: 0
    .wavefront_size: 64
  - .agpr_count:     0
    .args:
      - .offset:         0
        .size:           40
        .value_kind:     by_value
    .group_segment_fixed_size: 7168
    .kernarg_segment_align: 8
    .kernarg_segment_size: 40
    .language:       OpenCL C
    .language_version:
      - 2
      - 0
    .max_flat_workgroup_size: 128
    .name:           _ZN7rocprim17ROCPRIM_400000_NS6detail17trampoline_kernelINS0_14default_configENS1_20scan_config_selectorIxEEZZNS1_9scan_implILNS1_25lookback_scan_determinismE0ELb1ELb1ES3_N6thrust23THRUST_200600_302600_NS6detail15normal_iteratorINS9_10device_ptrIxEEEESE_x11max_functorIxExEEDaPvRmT3_T4_T5_mT6_P12ihipStream_tbENKUlT_T0_E_clISt17integral_constantIbLb0EEST_IbLb1EEEEDaSP_SQ_EUlSP_E0_NS1_11comp_targetILNS1_3genE4ELNS1_11target_archE910ELNS1_3gpuE8ELNS1_3repE0EEENS1_30default_config_static_selectorELNS0_4arch9wavefront6targetE1EEEvT1_
    .private_segment_fixed_size: 0
    .sgpr_count:     28
    .sgpr_spill_count: 0
    .symbol:         _ZN7rocprim17ROCPRIM_400000_NS6detail17trampoline_kernelINS0_14default_configENS1_20scan_config_selectorIxEEZZNS1_9scan_implILNS1_25lookback_scan_determinismE0ELb1ELb1ES3_N6thrust23THRUST_200600_302600_NS6detail15normal_iteratorINS9_10device_ptrIxEEEESE_x11max_functorIxExEEDaPvRmT3_T4_T5_mT6_P12ihipStream_tbENKUlT_T0_E_clISt17integral_constantIbLb0EEST_IbLb1EEEEDaSP_SQ_EUlSP_E0_NS1_11comp_targetILNS1_3genE4ELNS1_11target_archE910ELNS1_3gpuE8ELNS1_3repE0EEENS1_30default_config_static_selectorELNS0_4arch9wavefront6targetE1EEEvT1_.kd
    .uniform_work_group_size: 1
    .uses_dynamic_stack: false
    .vgpr_count:     30
    .vgpr_spill_count: 0
    .wavefront_size: 64
  - .agpr_count:     0
    .args:
      - .offset:         0
        .size:           40
        .value_kind:     by_value
    .group_segment_fixed_size: 0
    .kernarg_segment_align: 8
    .kernarg_segment_size: 40
    .language:       OpenCL C
    .language_version:
      - 2
      - 0
    .max_flat_workgroup_size: 256
    .name:           _ZN7rocprim17ROCPRIM_400000_NS6detail17trampoline_kernelINS0_14default_configENS1_20scan_config_selectorIxEEZZNS1_9scan_implILNS1_25lookback_scan_determinismE0ELb1ELb1ES3_N6thrust23THRUST_200600_302600_NS6detail15normal_iteratorINS9_10device_ptrIxEEEESE_x11max_functorIxExEEDaPvRmT3_T4_T5_mT6_P12ihipStream_tbENKUlT_T0_E_clISt17integral_constantIbLb0EEST_IbLb1EEEEDaSP_SQ_EUlSP_E0_NS1_11comp_targetILNS1_3genE3ELNS1_11target_archE908ELNS1_3gpuE7ELNS1_3repE0EEENS1_30default_config_static_selectorELNS0_4arch9wavefront6targetE1EEEvT1_
    .private_segment_fixed_size: 0
    .sgpr_count:     4
    .sgpr_spill_count: 0
    .symbol:         _ZN7rocprim17ROCPRIM_400000_NS6detail17trampoline_kernelINS0_14default_configENS1_20scan_config_selectorIxEEZZNS1_9scan_implILNS1_25lookback_scan_determinismE0ELb1ELb1ES3_N6thrust23THRUST_200600_302600_NS6detail15normal_iteratorINS9_10device_ptrIxEEEESE_x11max_functorIxExEEDaPvRmT3_T4_T5_mT6_P12ihipStream_tbENKUlT_T0_E_clISt17integral_constantIbLb0EEST_IbLb1EEEEDaSP_SQ_EUlSP_E0_NS1_11comp_targetILNS1_3genE3ELNS1_11target_archE908ELNS1_3gpuE7ELNS1_3repE0EEENS1_30default_config_static_selectorELNS0_4arch9wavefront6targetE1EEEvT1_.kd
    .uniform_work_group_size: 1
    .uses_dynamic_stack: false
    .vgpr_count:     0
    .vgpr_spill_count: 0
    .wavefront_size: 64
  - .agpr_count:     0
    .args:
      - .offset:         0
        .size:           40
        .value_kind:     by_value
    .group_segment_fixed_size: 0
    .kernarg_segment_align: 8
    .kernarg_segment_size: 40
    .language:       OpenCL C
    .language_version:
      - 2
      - 0
    .max_flat_workgroup_size: 64
    .name:           _ZN7rocprim17ROCPRIM_400000_NS6detail17trampoline_kernelINS0_14default_configENS1_20scan_config_selectorIxEEZZNS1_9scan_implILNS1_25lookback_scan_determinismE0ELb1ELb1ES3_N6thrust23THRUST_200600_302600_NS6detail15normal_iteratorINS9_10device_ptrIxEEEESE_x11max_functorIxExEEDaPvRmT3_T4_T5_mT6_P12ihipStream_tbENKUlT_T0_E_clISt17integral_constantIbLb0EEST_IbLb1EEEEDaSP_SQ_EUlSP_E0_NS1_11comp_targetILNS1_3genE2ELNS1_11target_archE906ELNS1_3gpuE6ELNS1_3repE0EEENS1_30default_config_static_selectorELNS0_4arch9wavefront6targetE1EEEvT1_
    .private_segment_fixed_size: 0
    .sgpr_count:     4
    .sgpr_spill_count: 0
    .symbol:         _ZN7rocprim17ROCPRIM_400000_NS6detail17trampoline_kernelINS0_14default_configENS1_20scan_config_selectorIxEEZZNS1_9scan_implILNS1_25lookback_scan_determinismE0ELb1ELb1ES3_N6thrust23THRUST_200600_302600_NS6detail15normal_iteratorINS9_10device_ptrIxEEEESE_x11max_functorIxExEEDaPvRmT3_T4_T5_mT6_P12ihipStream_tbENKUlT_T0_E_clISt17integral_constantIbLb0EEST_IbLb1EEEEDaSP_SQ_EUlSP_E0_NS1_11comp_targetILNS1_3genE2ELNS1_11target_archE906ELNS1_3gpuE6ELNS1_3repE0EEENS1_30default_config_static_selectorELNS0_4arch9wavefront6targetE1EEEvT1_.kd
    .uniform_work_group_size: 1
    .uses_dynamic_stack: false
    .vgpr_count:     0
    .vgpr_spill_count: 0
    .wavefront_size: 64
  - .agpr_count:     0
    .args:
      - .offset:         0
        .size:           40
        .value_kind:     by_value
    .group_segment_fixed_size: 0
    .kernarg_segment_align: 8
    .kernarg_segment_size: 40
    .language:       OpenCL C
    .language_version:
      - 2
      - 0
    .max_flat_workgroup_size: 256
    .name:           _ZN7rocprim17ROCPRIM_400000_NS6detail17trampoline_kernelINS0_14default_configENS1_20scan_config_selectorIxEEZZNS1_9scan_implILNS1_25lookback_scan_determinismE0ELb1ELb1ES3_N6thrust23THRUST_200600_302600_NS6detail15normal_iteratorINS9_10device_ptrIxEEEESE_x11max_functorIxExEEDaPvRmT3_T4_T5_mT6_P12ihipStream_tbENKUlT_T0_E_clISt17integral_constantIbLb0EEST_IbLb1EEEEDaSP_SQ_EUlSP_E0_NS1_11comp_targetILNS1_3genE10ELNS1_11target_archE1201ELNS1_3gpuE5ELNS1_3repE0EEENS1_30default_config_static_selectorELNS0_4arch9wavefront6targetE1EEEvT1_
    .private_segment_fixed_size: 0
    .sgpr_count:     4
    .sgpr_spill_count: 0
    .symbol:         _ZN7rocprim17ROCPRIM_400000_NS6detail17trampoline_kernelINS0_14default_configENS1_20scan_config_selectorIxEEZZNS1_9scan_implILNS1_25lookback_scan_determinismE0ELb1ELb1ES3_N6thrust23THRUST_200600_302600_NS6detail15normal_iteratorINS9_10device_ptrIxEEEESE_x11max_functorIxExEEDaPvRmT3_T4_T5_mT6_P12ihipStream_tbENKUlT_T0_E_clISt17integral_constantIbLb0EEST_IbLb1EEEEDaSP_SQ_EUlSP_E0_NS1_11comp_targetILNS1_3genE10ELNS1_11target_archE1201ELNS1_3gpuE5ELNS1_3repE0EEENS1_30default_config_static_selectorELNS0_4arch9wavefront6targetE1EEEvT1_.kd
    .uniform_work_group_size: 1
    .uses_dynamic_stack: false
    .vgpr_count:     0
    .vgpr_spill_count: 0
    .wavefront_size: 64
  - .agpr_count:     0
    .args:
      - .offset:         0
        .size:           40
        .value_kind:     by_value
    .group_segment_fixed_size: 0
    .kernarg_segment_align: 8
    .kernarg_segment_size: 40
    .language:       OpenCL C
    .language_version:
      - 2
      - 0
    .max_flat_workgroup_size: 256
    .name:           _ZN7rocprim17ROCPRIM_400000_NS6detail17trampoline_kernelINS0_14default_configENS1_20scan_config_selectorIxEEZZNS1_9scan_implILNS1_25lookback_scan_determinismE0ELb1ELb1ES3_N6thrust23THRUST_200600_302600_NS6detail15normal_iteratorINS9_10device_ptrIxEEEESE_x11max_functorIxExEEDaPvRmT3_T4_T5_mT6_P12ihipStream_tbENKUlT_T0_E_clISt17integral_constantIbLb0EEST_IbLb1EEEEDaSP_SQ_EUlSP_E0_NS1_11comp_targetILNS1_3genE10ELNS1_11target_archE1200ELNS1_3gpuE4ELNS1_3repE0EEENS1_30default_config_static_selectorELNS0_4arch9wavefront6targetE1EEEvT1_
    .private_segment_fixed_size: 0
    .sgpr_count:     4
    .sgpr_spill_count: 0
    .symbol:         _ZN7rocprim17ROCPRIM_400000_NS6detail17trampoline_kernelINS0_14default_configENS1_20scan_config_selectorIxEEZZNS1_9scan_implILNS1_25lookback_scan_determinismE0ELb1ELb1ES3_N6thrust23THRUST_200600_302600_NS6detail15normal_iteratorINS9_10device_ptrIxEEEESE_x11max_functorIxExEEDaPvRmT3_T4_T5_mT6_P12ihipStream_tbENKUlT_T0_E_clISt17integral_constantIbLb0EEST_IbLb1EEEEDaSP_SQ_EUlSP_E0_NS1_11comp_targetILNS1_3genE10ELNS1_11target_archE1200ELNS1_3gpuE4ELNS1_3repE0EEENS1_30default_config_static_selectorELNS0_4arch9wavefront6targetE1EEEvT1_.kd
    .uniform_work_group_size: 1
    .uses_dynamic_stack: false
    .vgpr_count:     0
    .vgpr_spill_count: 0
    .wavefront_size: 64
  - .agpr_count:     0
    .args:
      - .offset:         0
        .size:           40
        .value_kind:     by_value
    .group_segment_fixed_size: 0
    .kernarg_segment_align: 8
    .kernarg_segment_size: 40
    .language:       OpenCL C
    .language_version:
      - 2
      - 0
    .max_flat_workgroup_size: 256
    .name:           _ZN7rocprim17ROCPRIM_400000_NS6detail17trampoline_kernelINS0_14default_configENS1_20scan_config_selectorIxEEZZNS1_9scan_implILNS1_25lookback_scan_determinismE0ELb1ELb1ES3_N6thrust23THRUST_200600_302600_NS6detail15normal_iteratorINS9_10device_ptrIxEEEESE_x11max_functorIxExEEDaPvRmT3_T4_T5_mT6_P12ihipStream_tbENKUlT_T0_E_clISt17integral_constantIbLb0EEST_IbLb1EEEEDaSP_SQ_EUlSP_E0_NS1_11comp_targetILNS1_3genE9ELNS1_11target_archE1100ELNS1_3gpuE3ELNS1_3repE0EEENS1_30default_config_static_selectorELNS0_4arch9wavefront6targetE1EEEvT1_
    .private_segment_fixed_size: 0
    .sgpr_count:     4
    .sgpr_spill_count: 0
    .symbol:         _ZN7rocprim17ROCPRIM_400000_NS6detail17trampoline_kernelINS0_14default_configENS1_20scan_config_selectorIxEEZZNS1_9scan_implILNS1_25lookback_scan_determinismE0ELb1ELb1ES3_N6thrust23THRUST_200600_302600_NS6detail15normal_iteratorINS9_10device_ptrIxEEEESE_x11max_functorIxExEEDaPvRmT3_T4_T5_mT6_P12ihipStream_tbENKUlT_T0_E_clISt17integral_constantIbLb0EEST_IbLb1EEEEDaSP_SQ_EUlSP_E0_NS1_11comp_targetILNS1_3genE9ELNS1_11target_archE1100ELNS1_3gpuE3ELNS1_3repE0EEENS1_30default_config_static_selectorELNS0_4arch9wavefront6targetE1EEEvT1_.kd
    .uniform_work_group_size: 1
    .uses_dynamic_stack: false
    .vgpr_count:     0
    .vgpr_spill_count: 0
    .wavefront_size: 64
  - .agpr_count:     0
    .args:
      - .offset:         0
        .size:           40
        .value_kind:     by_value
    .group_segment_fixed_size: 0
    .kernarg_segment_align: 8
    .kernarg_segment_size: 40
    .language:       OpenCL C
    .language_version:
      - 2
      - 0
    .max_flat_workgroup_size: 256
    .name:           _ZN7rocprim17ROCPRIM_400000_NS6detail17trampoline_kernelINS0_14default_configENS1_20scan_config_selectorIxEEZZNS1_9scan_implILNS1_25lookback_scan_determinismE0ELb1ELb1ES3_N6thrust23THRUST_200600_302600_NS6detail15normal_iteratorINS9_10device_ptrIxEEEESE_x11max_functorIxExEEDaPvRmT3_T4_T5_mT6_P12ihipStream_tbENKUlT_T0_E_clISt17integral_constantIbLb0EEST_IbLb1EEEEDaSP_SQ_EUlSP_E0_NS1_11comp_targetILNS1_3genE8ELNS1_11target_archE1030ELNS1_3gpuE2ELNS1_3repE0EEENS1_30default_config_static_selectorELNS0_4arch9wavefront6targetE1EEEvT1_
    .private_segment_fixed_size: 0
    .sgpr_count:     4
    .sgpr_spill_count: 0
    .symbol:         _ZN7rocprim17ROCPRIM_400000_NS6detail17trampoline_kernelINS0_14default_configENS1_20scan_config_selectorIxEEZZNS1_9scan_implILNS1_25lookback_scan_determinismE0ELb1ELb1ES3_N6thrust23THRUST_200600_302600_NS6detail15normal_iteratorINS9_10device_ptrIxEEEESE_x11max_functorIxExEEDaPvRmT3_T4_T5_mT6_P12ihipStream_tbENKUlT_T0_E_clISt17integral_constantIbLb0EEST_IbLb1EEEEDaSP_SQ_EUlSP_E0_NS1_11comp_targetILNS1_3genE8ELNS1_11target_archE1030ELNS1_3gpuE2ELNS1_3repE0EEENS1_30default_config_static_selectorELNS0_4arch9wavefront6targetE1EEEvT1_.kd
    .uniform_work_group_size: 1
    .uses_dynamic_stack: false
    .vgpr_count:     0
    .vgpr_spill_count: 0
    .wavefront_size: 64
  - .agpr_count:     0
    .args:
      - .offset:         0
        .size:           96
        .value_kind:     by_value
    .group_segment_fixed_size: 0
    .kernarg_segment_align: 8
    .kernarg_segment_size: 96
    .language:       OpenCL C
    .language_version:
      - 2
      - 0
    .max_flat_workgroup_size: 256
    .name:           _ZN7rocprim17ROCPRIM_400000_NS6detail17trampoline_kernelINS0_14default_configENS1_20scan_config_selectorIiEEZZNS1_9scan_implILNS1_25lookback_scan_determinismE0ELb0ELb0ES3_N6thrust23THRUST_200600_302600_NS6detail15normal_iteratorINS9_10device_ptrIiEEEESE_i11max_functorIiEiEEDaPvRmT3_T4_T5_mT6_P12ihipStream_tbENKUlT_T0_E_clISt17integral_constantIbLb0EESU_EEDaSP_SQ_EUlSP_E_NS1_11comp_targetILNS1_3genE0ELNS1_11target_archE4294967295ELNS1_3gpuE0ELNS1_3repE0EEENS1_30default_config_static_selectorELNS0_4arch9wavefront6targetE1EEEvT1_
    .private_segment_fixed_size: 0
    .sgpr_count:     4
    .sgpr_spill_count: 0
    .symbol:         _ZN7rocprim17ROCPRIM_400000_NS6detail17trampoline_kernelINS0_14default_configENS1_20scan_config_selectorIiEEZZNS1_9scan_implILNS1_25lookback_scan_determinismE0ELb0ELb0ES3_N6thrust23THRUST_200600_302600_NS6detail15normal_iteratorINS9_10device_ptrIiEEEESE_i11max_functorIiEiEEDaPvRmT3_T4_T5_mT6_P12ihipStream_tbENKUlT_T0_E_clISt17integral_constantIbLb0EESU_EEDaSP_SQ_EUlSP_E_NS1_11comp_targetILNS1_3genE0ELNS1_11target_archE4294967295ELNS1_3gpuE0ELNS1_3repE0EEENS1_30default_config_static_selectorELNS0_4arch9wavefront6targetE1EEEvT1_.kd
    .uniform_work_group_size: 1
    .uses_dynamic_stack: false
    .vgpr_count:     0
    .vgpr_spill_count: 0
    .wavefront_size: 64
  - .agpr_count:     0
    .args:
      - .offset:         0
        .size:           96
        .value_kind:     by_value
    .group_segment_fixed_size: 0
    .kernarg_segment_align: 8
    .kernarg_segment_size: 96
    .language:       OpenCL C
    .language_version:
      - 2
      - 0
    .max_flat_workgroup_size: 256
    .name:           _ZN7rocprim17ROCPRIM_400000_NS6detail17trampoline_kernelINS0_14default_configENS1_20scan_config_selectorIiEEZZNS1_9scan_implILNS1_25lookback_scan_determinismE0ELb0ELb0ES3_N6thrust23THRUST_200600_302600_NS6detail15normal_iteratorINS9_10device_ptrIiEEEESE_i11max_functorIiEiEEDaPvRmT3_T4_T5_mT6_P12ihipStream_tbENKUlT_T0_E_clISt17integral_constantIbLb0EESU_EEDaSP_SQ_EUlSP_E_NS1_11comp_targetILNS1_3genE5ELNS1_11target_archE942ELNS1_3gpuE9ELNS1_3repE0EEENS1_30default_config_static_selectorELNS0_4arch9wavefront6targetE1EEEvT1_
    .private_segment_fixed_size: 0
    .sgpr_count:     4
    .sgpr_spill_count: 0
    .symbol:         _ZN7rocprim17ROCPRIM_400000_NS6detail17trampoline_kernelINS0_14default_configENS1_20scan_config_selectorIiEEZZNS1_9scan_implILNS1_25lookback_scan_determinismE0ELb0ELb0ES3_N6thrust23THRUST_200600_302600_NS6detail15normal_iteratorINS9_10device_ptrIiEEEESE_i11max_functorIiEiEEDaPvRmT3_T4_T5_mT6_P12ihipStream_tbENKUlT_T0_E_clISt17integral_constantIbLb0EESU_EEDaSP_SQ_EUlSP_E_NS1_11comp_targetILNS1_3genE5ELNS1_11target_archE942ELNS1_3gpuE9ELNS1_3repE0EEENS1_30default_config_static_selectorELNS0_4arch9wavefront6targetE1EEEvT1_.kd
    .uniform_work_group_size: 1
    .uses_dynamic_stack: false
    .vgpr_count:     0
    .vgpr_spill_count: 0
    .wavefront_size: 64
  - .agpr_count:     0
    .args:
      - .offset:         0
        .size:           96
        .value_kind:     by_value
    .group_segment_fixed_size: 5120
    .kernarg_segment_align: 8
    .kernarg_segment_size: 96
    .language:       OpenCL C
    .language_version:
      - 2
      - 0
    .max_flat_workgroup_size: 128
    .name:           _ZN7rocprim17ROCPRIM_400000_NS6detail17trampoline_kernelINS0_14default_configENS1_20scan_config_selectorIiEEZZNS1_9scan_implILNS1_25lookback_scan_determinismE0ELb0ELb0ES3_N6thrust23THRUST_200600_302600_NS6detail15normal_iteratorINS9_10device_ptrIiEEEESE_i11max_functorIiEiEEDaPvRmT3_T4_T5_mT6_P12ihipStream_tbENKUlT_T0_E_clISt17integral_constantIbLb0EESU_EEDaSP_SQ_EUlSP_E_NS1_11comp_targetILNS1_3genE4ELNS1_11target_archE910ELNS1_3gpuE8ELNS1_3repE0EEENS1_30default_config_static_selectorELNS0_4arch9wavefront6targetE1EEEvT1_
    .private_segment_fixed_size: 0
    .sgpr_count:     32
    .sgpr_spill_count: 0
    .symbol:         _ZN7rocprim17ROCPRIM_400000_NS6detail17trampoline_kernelINS0_14default_configENS1_20scan_config_selectorIiEEZZNS1_9scan_implILNS1_25lookback_scan_determinismE0ELb0ELb0ES3_N6thrust23THRUST_200600_302600_NS6detail15normal_iteratorINS9_10device_ptrIiEEEESE_i11max_functorIiEiEEDaPvRmT3_T4_T5_mT6_P12ihipStream_tbENKUlT_T0_E_clISt17integral_constantIbLb0EESU_EEDaSP_SQ_EUlSP_E_NS1_11comp_targetILNS1_3genE4ELNS1_11target_archE910ELNS1_3gpuE8ELNS1_3repE0EEENS1_30default_config_static_selectorELNS0_4arch9wavefront6targetE1EEEvT1_.kd
    .uniform_work_group_size: 1
    .uses_dynamic_stack: false
    .vgpr_count:     40
    .vgpr_spill_count: 0
    .wavefront_size: 64
  - .agpr_count:     0
    .args:
      - .offset:         0
        .size:           96
        .value_kind:     by_value
    .group_segment_fixed_size: 0
    .kernarg_segment_align: 8
    .kernarg_segment_size: 96
    .language:       OpenCL C
    .language_version:
      - 2
      - 0
    .max_flat_workgroup_size: 256
    .name:           _ZN7rocprim17ROCPRIM_400000_NS6detail17trampoline_kernelINS0_14default_configENS1_20scan_config_selectorIiEEZZNS1_9scan_implILNS1_25lookback_scan_determinismE0ELb0ELb0ES3_N6thrust23THRUST_200600_302600_NS6detail15normal_iteratorINS9_10device_ptrIiEEEESE_i11max_functorIiEiEEDaPvRmT3_T4_T5_mT6_P12ihipStream_tbENKUlT_T0_E_clISt17integral_constantIbLb0EESU_EEDaSP_SQ_EUlSP_E_NS1_11comp_targetILNS1_3genE3ELNS1_11target_archE908ELNS1_3gpuE7ELNS1_3repE0EEENS1_30default_config_static_selectorELNS0_4arch9wavefront6targetE1EEEvT1_
    .private_segment_fixed_size: 0
    .sgpr_count:     4
    .sgpr_spill_count: 0
    .symbol:         _ZN7rocprim17ROCPRIM_400000_NS6detail17trampoline_kernelINS0_14default_configENS1_20scan_config_selectorIiEEZZNS1_9scan_implILNS1_25lookback_scan_determinismE0ELb0ELb0ES3_N6thrust23THRUST_200600_302600_NS6detail15normal_iteratorINS9_10device_ptrIiEEEESE_i11max_functorIiEiEEDaPvRmT3_T4_T5_mT6_P12ihipStream_tbENKUlT_T0_E_clISt17integral_constantIbLb0EESU_EEDaSP_SQ_EUlSP_E_NS1_11comp_targetILNS1_3genE3ELNS1_11target_archE908ELNS1_3gpuE7ELNS1_3repE0EEENS1_30default_config_static_selectorELNS0_4arch9wavefront6targetE1EEEvT1_.kd
    .uniform_work_group_size: 1
    .uses_dynamic_stack: false
    .vgpr_count:     0
    .vgpr_spill_count: 0
    .wavefront_size: 64
  - .agpr_count:     0
    .args:
      - .offset:         0
        .size:           96
        .value_kind:     by_value
    .group_segment_fixed_size: 0
    .kernarg_segment_align: 8
    .kernarg_segment_size: 96
    .language:       OpenCL C
    .language_version:
      - 2
      - 0
    .max_flat_workgroup_size: 256
    .name:           _ZN7rocprim17ROCPRIM_400000_NS6detail17trampoline_kernelINS0_14default_configENS1_20scan_config_selectorIiEEZZNS1_9scan_implILNS1_25lookback_scan_determinismE0ELb0ELb0ES3_N6thrust23THRUST_200600_302600_NS6detail15normal_iteratorINS9_10device_ptrIiEEEESE_i11max_functorIiEiEEDaPvRmT3_T4_T5_mT6_P12ihipStream_tbENKUlT_T0_E_clISt17integral_constantIbLb0EESU_EEDaSP_SQ_EUlSP_E_NS1_11comp_targetILNS1_3genE2ELNS1_11target_archE906ELNS1_3gpuE6ELNS1_3repE0EEENS1_30default_config_static_selectorELNS0_4arch9wavefront6targetE1EEEvT1_
    .private_segment_fixed_size: 0
    .sgpr_count:     4
    .sgpr_spill_count: 0
    .symbol:         _ZN7rocprim17ROCPRIM_400000_NS6detail17trampoline_kernelINS0_14default_configENS1_20scan_config_selectorIiEEZZNS1_9scan_implILNS1_25lookback_scan_determinismE0ELb0ELb0ES3_N6thrust23THRUST_200600_302600_NS6detail15normal_iteratorINS9_10device_ptrIiEEEESE_i11max_functorIiEiEEDaPvRmT3_T4_T5_mT6_P12ihipStream_tbENKUlT_T0_E_clISt17integral_constantIbLb0EESU_EEDaSP_SQ_EUlSP_E_NS1_11comp_targetILNS1_3genE2ELNS1_11target_archE906ELNS1_3gpuE6ELNS1_3repE0EEENS1_30default_config_static_selectorELNS0_4arch9wavefront6targetE1EEEvT1_.kd
    .uniform_work_group_size: 1
    .uses_dynamic_stack: false
    .vgpr_count:     0
    .vgpr_spill_count: 0
    .wavefront_size: 64
  - .agpr_count:     0
    .args:
      - .offset:         0
        .size:           96
        .value_kind:     by_value
    .group_segment_fixed_size: 0
    .kernarg_segment_align: 8
    .kernarg_segment_size: 96
    .language:       OpenCL C
    .language_version:
      - 2
      - 0
    .max_flat_workgroup_size: 256
    .name:           _ZN7rocprim17ROCPRIM_400000_NS6detail17trampoline_kernelINS0_14default_configENS1_20scan_config_selectorIiEEZZNS1_9scan_implILNS1_25lookback_scan_determinismE0ELb0ELb0ES3_N6thrust23THRUST_200600_302600_NS6detail15normal_iteratorINS9_10device_ptrIiEEEESE_i11max_functorIiEiEEDaPvRmT3_T4_T5_mT6_P12ihipStream_tbENKUlT_T0_E_clISt17integral_constantIbLb0EESU_EEDaSP_SQ_EUlSP_E_NS1_11comp_targetILNS1_3genE10ELNS1_11target_archE1201ELNS1_3gpuE5ELNS1_3repE0EEENS1_30default_config_static_selectorELNS0_4arch9wavefront6targetE1EEEvT1_
    .private_segment_fixed_size: 0
    .sgpr_count:     4
    .sgpr_spill_count: 0
    .symbol:         _ZN7rocprim17ROCPRIM_400000_NS6detail17trampoline_kernelINS0_14default_configENS1_20scan_config_selectorIiEEZZNS1_9scan_implILNS1_25lookback_scan_determinismE0ELb0ELb0ES3_N6thrust23THRUST_200600_302600_NS6detail15normal_iteratorINS9_10device_ptrIiEEEESE_i11max_functorIiEiEEDaPvRmT3_T4_T5_mT6_P12ihipStream_tbENKUlT_T0_E_clISt17integral_constantIbLb0EESU_EEDaSP_SQ_EUlSP_E_NS1_11comp_targetILNS1_3genE10ELNS1_11target_archE1201ELNS1_3gpuE5ELNS1_3repE0EEENS1_30default_config_static_selectorELNS0_4arch9wavefront6targetE1EEEvT1_.kd
    .uniform_work_group_size: 1
    .uses_dynamic_stack: false
    .vgpr_count:     0
    .vgpr_spill_count: 0
    .wavefront_size: 64
  - .agpr_count:     0
    .args:
      - .offset:         0
        .size:           96
        .value_kind:     by_value
    .group_segment_fixed_size: 0
    .kernarg_segment_align: 8
    .kernarg_segment_size: 96
    .language:       OpenCL C
    .language_version:
      - 2
      - 0
    .max_flat_workgroup_size: 256
    .name:           _ZN7rocprim17ROCPRIM_400000_NS6detail17trampoline_kernelINS0_14default_configENS1_20scan_config_selectorIiEEZZNS1_9scan_implILNS1_25lookback_scan_determinismE0ELb0ELb0ES3_N6thrust23THRUST_200600_302600_NS6detail15normal_iteratorINS9_10device_ptrIiEEEESE_i11max_functorIiEiEEDaPvRmT3_T4_T5_mT6_P12ihipStream_tbENKUlT_T0_E_clISt17integral_constantIbLb0EESU_EEDaSP_SQ_EUlSP_E_NS1_11comp_targetILNS1_3genE10ELNS1_11target_archE1200ELNS1_3gpuE4ELNS1_3repE0EEENS1_30default_config_static_selectorELNS0_4arch9wavefront6targetE1EEEvT1_
    .private_segment_fixed_size: 0
    .sgpr_count:     4
    .sgpr_spill_count: 0
    .symbol:         _ZN7rocprim17ROCPRIM_400000_NS6detail17trampoline_kernelINS0_14default_configENS1_20scan_config_selectorIiEEZZNS1_9scan_implILNS1_25lookback_scan_determinismE0ELb0ELb0ES3_N6thrust23THRUST_200600_302600_NS6detail15normal_iteratorINS9_10device_ptrIiEEEESE_i11max_functorIiEiEEDaPvRmT3_T4_T5_mT6_P12ihipStream_tbENKUlT_T0_E_clISt17integral_constantIbLb0EESU_EEDaSP_SQ_EUlSP_E_NS1_11comp_targetILNS1_3genE10ELNS1_11target_archE1200ELNS1_3gpuE4ELNS1_3repE0EEENS1_30default_config_static_selectorELNS0_4arch9wavefront6targetE1EEEvT1_.kd
    .uniform_work_group_size: 1
    .uses_dynamic_stack: false
    .vgpr_count:     0
    .vgpr_spill_count: 0
    .wavefront_size: 64
  - .agpr_count:     0
    .args:
      - .offset:         0
        .size:           96
        .value_kind:     by_value
    .group_segment_fixed_size: 0
    .kernarg_segment_align: 8
    .kernarg_segment_size: 96
    .language:       OpenCL C
    .language_version:
      - 2
      - 0
    .max_flat_workgroup_size: 256
    .name:           _ZN7rocprim17ROCPRIM_400000_NS6detail17trampoline_kernelINS0_14default_configENS1_20scan_config_selectorIiEEZZNS1_9scan_implILNS1_25lookback_scan_determinismE0ELb0ELb0ES3_N6thrust23THRUST_200600_302600_NS6detail15normal_iteratorINS9_10device_ptrIiEEEESE_i11max_functorIiEiEEDaPvRmT3_T4_T5_mT6_P12ihipStream_tbENKUlT_T0_E_clISt17integral_constantIbLb0EESU_EEDaSP_SQ_EUlSP_E_NS1_11comp_targetILNS1_3genE9ELNS1_11target_archE1100ELNS1_3gpuE3ELNS1_3repE0EEENS1_30default_config_static_selectorELNS0_4arch9wavefront6targetE1EEEvT1_
    .private_segment_fixed_size: 0
    .sgpr_count:     4
    .sgpr_spill_count: 0
    .symbol:         _ZN7rocprim17ROCPRIM_400000_NS6detail17trampoline_kernelINS0_14default_configENS1_20scan_config_selectorIiEEZZNS1_9scan_implILNS1_25lookback_scan_determinismE0ELb0ELb0ES3_N6thrust23THRUST_200600_302600_NS6detail15normal_iteratorINS9_10device_ptrIiEEEESE_i11max_functorIiEiEEDaPvRmT3_T4_T5_mT6_P12ihipStream_tbENKUlT_T0_E_clISt17integral_constantIbLb0EESU_EEDaSP_SQ_EUlSP_E_NS1_11comp_targetILNS1_3genE9ELNS1_11target_archE1100ELNS1_3gpuE3ELNS1_3repE0EEENS1_30default_config_static_selectorELNS0_4arch9wavefront6targetE1EEEvT1_.kd
    .uniform_work_group_size: 1
    .uses_dynamic_stack: false
    .vgpr_count:     0
    .vgpr_spill_count: 0
    .wavefront_size: 64
  - .agpr_count:     0
    .args:
      - .offset:         0
        .size:           96
        .value_kind:     by_value
    .group_segment_fixed_size: 0
    .kernarg_segment_align: 8
    .kernarg_segment_size: 96
    .language:       OpenCL C
    .language_version:
      - 2
      - 0
    .max_flat_workgroup_size: 64
    .name:           _ZN7rocprim17ROCPRIM_400000_NS6detail17trampoline_kernelINS0_14default_configENS1_20scan_config_selectorIiEEZZNS1_9scan_implILNS1_25lookback_scan_determinismE0ELb0ELb0ES3_N6thrust23THRUST_200600_302600_NS6detail15normal_iteratorINS9_10device_ptrIiEEEESE_i11max_functorIiEiEEDaPvRmT3_T4_T5_mT6_P12ihipStream_tbENKUlT_T0_E_clISt17integral_constantIbLb0EESU_EEDaSP_SQ_EUlSP_E_NS1_11comp_targetILNS1_3genE8ELNS1_11target_archE1030ELNS1_3gpuE2ELNS1_3repE0EEENS1_30default_config_static_selectorELNS0_4arch9wavefront6targetE1EEEvT1_
    .private_segment_fixed_size: 0
    .sgpr_count:     4
    .sgpr_spill_count: 0
    .symbol:         _ZN7rocprim17ROCPRIM_400000_NS6detail17trampoline_kernelINS0_14default_configENS1_20scan_config_selectorIiEEZZNS1_9scan_implILNS1_25lookback_scan_determinismE0ELb0ELb0ES3_N6thrust23THRUST_200600_302600_NS6detail15normal_iteratorINS9_10device_ptrIiEEEESE_i11max_functorIiEiEEDaPvRmT3_T4_T5_mT6_P12ihipStream_tbENKUlT_T0_E_clISt17integral_constantIbLb0EESU_EEDaSP_SQ_EUlSP_E_NS1_11comp_targetILNS1_3genE8ELNS1_11target_archE1030ELNS1_3gpuE2ELNS1_3repE0EEENS1_30default_config_static_selectorELNS0_4arch9wavefront6targetE1EEEvT1_.kd
    .uniform_work_group_size: 1
    .uses_dynamic_stack: false
    .vgpr_count:     0
    .vgpr_spill_count: 0
    .wavefront_size: 64
  - .agpr_count:     0
    .args:
      - .offset:         0
        .size:           32
        .value_kind:     by_value
    .group_segment_fixed_size: 0
    .kernarg_segment_align: 8
    .kernarg_segment_size: 32
    .language:       OpenCL C
    .language_version:
      - 2
      - 0
    .max_flat_workgroup_size: 256
    .name:           _ZN7rocprim17ROCPRIM_400000_NS6detail17trampoline_kernelINS0_14default_configENS1_20scan_config_selectorIiEEZZNS1_9scan_implILNS1_25lookback_scan_determinismE0ELb0ELb0ES3_N6thrust23THRUST_200600_302600_NS6detail15normal_iteratorINS9_10device_ptrIiEEEESE_i11max_functorIiEiEEDaPvRmT3_T4_T5_mT6_P12ihipStream_tbENKUlT_T0_E_clISt17integral_constantIbLb0EESU_EEDaSP_SQ_EUlSP_E0_NS1_11comp_targetILNS1_3genE0ELNS1_11target_archE4294967295ELNS1_3gpuE0ELNS1_3repE0EEENS1_30default_config_static_selectorELNS0_4arch9wavefront6targetE1EEEvT1_
    .private_segment_fixed_size: 0
    .sgpr_count:     4
    .sgpr_spill_count: 0
    .symbol:         _ZN7rocprim17ROCPRIM_400000_NS6detail17trampoline_kernelINS0_14default_configENS1_20scan_config_selectorIiEEZZNS1_9scan_implILNS1_25lookback_scan_determinismE0ELb0ELb0ES3_N6thrust23THRUST_200600_302600_NS6detail15normal_iteratorINS9_10device_ptrIiEEEESE_i11max_functorIiEiEEDaPvRmT3_T4_T5_mT6_P12ihipStream_tbENKUlT_T0_E_clISt17integral_constantIbLb0EESU_EEDaSP_SQ_EUlSP_E0_NS1_11comp_targetILNS1_3genE0ELNS1_11target_archE4294967295ELNS1_3gpuE0ELNS1_3repE0EEENS1_30default_config_static_selectorELNS0_4arch9wavefront6targetE1EEEvT1_.kd
    .uniform_work_group_size: 1
    .uses_dynamic_stack: false
    .vgpr_count:     0
    .vgpr_spill_count: 0
    .wavefront_size: 64
  - .agpr_count:     0
    .args:
      - .offset:         0
        .size:           32
        .value_kind:     by_value
    .group_segment_fixed_size: 0
    .kernarg_segment_align: 8
    .kernarg_segment_size: 32
    .language:       OpenCL C
    .language_version:
      - 2
      - 0
    .max_flat_workgroup_size: 256
    .name:           _ZN7rocprim17ROCPRIM_400000_NS6detail17trampoline_kernelINS0_14default_configENS1_20scan_config_selectorIiEEZZNS1_9scan_implILNS1_25lookback_scan_determinismE0ELb0ELb0ES3_N6thrust23THRUST_200600_302600_NS6detail15normal_iteratorINS9_10device_ptrIiEEEESE_i11max_functorIiEiEEDaPvRmT3_T4_T5_mT6_P12ihipStream_tbENKUlT_T0_E_clISt17integral_constantIbLb0EESU_EEDaSP_SQ_EUlSP_E0_NS1_11comp_targetILNS1_3genE5ELNS1_11target_archE942ELNS1_3gpuE9ELNS1_3repE0EEENS1_30default_config_static_selectorELNS0_4arch9wavefront6targetE1EEEvT1_
    .private_segment_fixed_size: 0
    .sgpr_count:     4
    .sgpr_spill_count: 0
    .symbol:         _ZN7rocprim17ROCPRIM_400000_NS6detail17trampoline_kernelINS0_14default_configENS1_20scan_config_selectorIiEEZZNS1_9scan_implILNS1_25lookback_scan_determinismE0ELb0ELb0ES3_N6thrust23THRUST_200600_302600_NS6detail15normal_iteratorINS9_10device_ptrIiEEEESE_i11max_functorIiEiEEDaPvRmT3_T4_T5_mT6_P12ihipStream_tbENKUlT_T0_E_clISt17integral_constantIbLb0EESU_EEDaSP_SQ_EUlSP_E0_NS1_11comp_targetILNS1_3genE5ELNS1_11target_archE942ELNS1_3gpuE9ELNS1_3repE0EEENS1_30default_config_static_selectorELNS0_4arch9wavefront6targetE1EEEvT1_.kd
    .uniform_work_group_size: 1
    .uses_dynamic_stack: false
    .vgpr_count:     0
    .vgpr_spill_count: 0
    .wavefront_size: 64
  - .agpr_count:     0
    .args:
      - .offset:         0
        .size:           32
        .value_kind:     by_value
    .group_segment_fixed_size: 5120
    .kernarg_segment_align: 8
    .kernarg_segment_size: 32
    .language:       OpenCL C
    .language_version:
      - 2
      - 0
    .max_flat_workgroup_size: 128
    .name:           _ZN7rocprim17ROCPRIM_400000_NS6detail17trampoline_kernelINS0_14default_configENS1_20scan_config_selectorIiEEZZNS1_9scan_implILNS1_25lookback_scan_determinismE0ELb0ELb0ES3_N6thrust23THRUST_200600_302600_NS6detail15normal_iteratorINS9_10device_ptrIiEEEESE_i11max_functorIiEiEEDaPvRmT3_T4_T5_mT6_P12ihipStream_tbENKUlT_T0_E_clISt17integral_constantIbLb0EESU_EEDaSP_SQ_EUlSP_E0_NS1_11comp_targetILNS1_3genE4ELNS1_11target_archE910ELNS1_3gpuE8ELNS1_3repE0EEENS1_30default_config_static_selectorELNS0_4arch9wavefront6targetE1EEEvT1_
    .private_segment_fixed_size: 0
    .sgpr_count:     28
    .sgpr_spill_count: 0
    .symbol:         _ZN7rocprim17ROCPRIM_400000_NS6detail17trampoline_kernelINS0_14default_configENS1_20scan_config_selectorIiEEZZNS1_9scan_implILNS1_25lookback_scan_determinismE0ELb0ELb0ES3_N6thrust23THRUST_200600_302600_NS6detail15normal_iteratorINS9_10device_ptrIiEEEESE_i11max_functorIiEiEEDaPvRmT3_T4_T5_mT6_P12ihipStream_tbENKUlT_T0_E_clISt17integral_constantIbLb0EESU_EEDaSP_SQ_EUlSP_E0_NS1_11comp_targetILNS1_3genE4ELNS1_11target_archE910ELNS1_3gpuE8ELNS1_3repE0EEENS1_30default_config_static_selectorELNS0_4arch9wavefront6targetE1EEEvT1_.kd
    .uniform_work_group_size: 1
    .uses_dynamic_stack: false
    .vgpr_count:     28
    .vgpr_spill_count: 0
    .wavefront_size: 64
  - .agpr_count:     0
    .args:
      - .offset:         0
        .size:           32
        .value_kind:     by_value
    .group_segment_fixed_size: 0
    .kernarg_segment_align: 8
    .kernarg_segment_size: 32
    .language:       OpenCL C
    .language_version:
      - 2
      - 0
    .max_flat_workgroup_size: 256
    .name:           _ZN7rocprim17ROCPRIM_400000_NS6detail17trampoline_kernelINS0_14default_configENS1_20scan_config_selectorIiEEZZNS1_9scan_implILNS1_25lookback_scan_determinismE0ELb0ELb0ES3_N6thrust23THRUST_200600_302600_NS6detail15normal_iteratorINS9_10device_ptrIiEEEESE_i11max_functorIiEiEEDaPvRmT3_T4_T5_mT6_P12ihipStream_tbENKUlT_T0_E_clISt17integral_constantIbLb0EESU_EEDaSP_SQ_EUlSP_E0_NS1_11comp_targetILNS1_3genE3ELNS1_11target_archE908ELNS1_3gpuE7ELNS1_3repE0EEENS1_30default_config_static_selectorELNS0_4arch9wavefront6targetE1EEEvT1_
    .private_segment_fixed_size: 0
    .sgpr_count:     4
    .sgpr_spill_count: 0
    .symbol:         _ZN7rocprim17ROCPRIM_400000_NS6detail17trampoline_kernelINS0_14default_configENS1_20scan_config_selectorIiEEZZNS1_9scan_implILNS1_25lookback_scan_determinismE0ELb0ELb0ES3_N6thrust23THRUST_200600_302600_NS6detail15normal_iteratorINS9_10device_ptrIiEEEESE_i11max_functorIiEiEEDaPvRmT3_T4_T5_mT6_P12ihipStream_tbENKUlT_T0_E_clISt17integral_constantIbLb0EESU_EEDaSP_SQ_EUlSP_E0_NS1_11comp_targetILNS1_3genE3ELNS1_11target_archE908ELNS1_3gpuE7ELNS1_3repE0EEENS1_30default_config_static_selectorELNS0_4arch9wavefront6targetE1EEEvT1_.kd
    .uniform_work_group_size: 1
    .uses_dynamic_stack: false
    .vgpr_count:     0
    .vgpr_spill_count: 0
    .wavefront_size: 64
  - .agpr_count:     0
    .args:
      - .offset:         0
        .size:           32
        .value_kind:     by_value
    .group_segment_fixed_size: 0
    .kernarg_segment_align: 8
    .kernarg_segment_size: 32
    .language:       OpenCL C
    .language_version:
      - 2
      - 0
    .max_flat_workgroup_size: 256
    .name:           _ZN7rocprim17ROCPRIM_400000_NS6detail17trampoline_kernelINS0_14default_configENS1_20scan_config_selectorIiEEZZNS1_9scan_implILNS1_25lookback_scan_determinismE0ELb0ELb0ES3_N6thrust23THRUST_200600_302600_NS6detail15normal_iteratorINS9_10device_ptrIiEEEESE_i11max_functorIiEiEEDaPvRmT3_T4_T5_mT6_P12ihipStream_tbENKUlT_T0_E_clISt17integral_constantIbLb0EESU_EEDaSP_SQ_EUlSP_E0_NS1_11comp_targetILNS1_3genE2ELNS1_11target_archE906ELNS1_3gpuE6ELNS1_3repE0EEENS1_30default_config_static_selectorELNS0_4arch9wavefront6targetE1EEEvT1_
    .private_segment_fixed_size: 0
    .sgpr_count:     4
    .sgpr_spill_count: 0
    .symbol:         _ZN7rocprim17ROCPRIM_400000_NS6detail17trampoline_kernelINS0_14default_configENS1_20scan_config_selectorIiEEZZNS1_9scan_implILNS1_25lookback_scan_determinismE0ELb0ELb0ES3_N6thrust23THRUST_200600_302600_NS6detail15normal_iteratorINS9_10device_ptrIiEEEESE_i11max_functorIiEiEEDaPvRmT3_T4_T5_mT6_P12ihipStream_tbENKUlT_T0_E_clISt17integral_constantIbLb0EESU_EEDaSP_SQ_EUlSP_E0_NS1_11comp_targetILNS1_3genE2ELNS1_11target_archE906ELNS1_3gpuE6ELNS1_3repE0EEENS1_30default_config_static_selectorELNS0_4arch9wavefront6targetE1EEEvT1_.kd
    .uniform_work_group_size: 1
    .uses_dynamic_stack: false
    .vgpr_count:     0
    .vgpr_spill_count: 0
    .wavefront_size: 64
  - .agpr_count:     0
    .args:
      - .offset:         0
        .size:           32
        .value_kind:     by_value
    .group_segment_fixed_size: 0
    .kernarg_segment_align: 8
    .kernarg_segment_size: 32
    .language:       OpenCL C
    .language_version:
      - 2
      - 0
    .max_flat_workgroup_size: 256
    .name:           _ZN7rocprim17ROCPRIM_400000_NS6detail17trampoline_kernelINS0_14default_configENS1_20scan_config_selectorIiEEZZNS1_9scan_implILNS1_25lookback_scan_determinismE0ELb0ELb0ES3_N6thrust23THRUST_200600_302600_NS6detail15normal_iteratorINS9_10device_ptrIiEEEESE_i11max_functorIiEiEEDaPvRmT3_T4_T5_mT6_P12ihipStream_tbENKUlT_T0_E_clISt17integral_constantIbLb0EESU_EEDaSP_SQ_EUlSP_E0_NS1_11comp_targetILNS1_3genE10ELNS1_11target_archE1201ELNS1_3gpuE5ELNS1_3repE0EEENS1_30default_config_static_selectorELNS0_4arch9wavefront6targetE1EEEvT1_
    .private_segment_fixed_size: 0
    .sgpr_count:     4
    .sgpr_spill_count: 0
    .symbol:         _ZN7rocprim17ROCPRIM_400000_NS6detail17trampoline_kernelINS0_14default_configENS1_20scan_config_selectorIiEEZZNS1_9scan_implILNS1_25lookback_scan_determinismE0ELb0ELb0ES3_N6thrust23THRUST_200600_302600_NS6detail15normal_iteratorINS9_10device_ptrIiEEEESE_i11max_functorIiEiEEDaPvRmT3_T4_T5_mT6_P12ihipStream_tbENKUlT_T0_E_clISt17integral_constantIbLb0EESU_EEDaSP_SQ_EUlSP_E0_NS1_11comp_targetILNS1_3genE10ELNS1_11target_archE1201ELNS1_3gpuE5ELNS1_3repE0EEENS1_30default_config_static_selectorELNS0_4arch9wavefront6targetE1EEEvT1_.kd
    .uniform_work_group_size: 1
    .uses_dynamic_stack: false
    .vgpr_count:     0
    .vgpr_spill_count: 0
    .wavefront_size: 64
  - .agpr_count:     0
    .args:
      - .offset:         0
        .size:           32
        .value_kind:     by_value
    .group_segment_fixed_size: 0
    .kernarg_segment_align: 8
    .kernarg_segment_size: 32
    .language:       OpenCL C
    .language_version:
      - 2
      - 0
    .max_flat_workgroup_size: 256
    .name:           _ZN7rocprim17ROCPRIM_400000_NS6detail17trampoline_kernelINS0_14default_configENS1_20scan_config_selectorIiEEZZNS1_9scan_implILNS1_25lookback_scan_determinismE0ELb0ELb0ES3_N6thrust23THRUST_200600_302600_NS6detail15normal_iteratorINS9_10device_ptrIiEEEESE_i11max_functorIiEiEEDaPvRmT3_T4_T5_mT6_P12ihipStream_tbENKUlT_T0_E_clISt17integral_constantIbLb0EESU_EEDaSP_SQ_EUlSP_E0_NS1_11comp_targetILNS1_3genE10ELNS1_11target_archE1200ELNS1_3gpuE4ELNS1_3repE0EEENS1_30default_config_static_selectorELNS0_4arch9wavefront6targetE1EEEvT1_
    .private_segment_fixed_size: 0
    .sgpr_count:     4
    .sgpr_spill_count: 0
    .symbol:         _ZN7rocprim17ROCPRIM_400000_NS6detail17trampoline_kernelINS0_14default_configENS1_20scan_config_selectorIiEEZZNS1_9scan_implILNS1_25lookback_scan_determinismE0ELb0ELb0ES3_N6thrust23THRUST_200600_302600_NS6detail15normal_iteratorINS9_10device_ptrIiEEEESE_i11max_functorIiEiEEDaPvRmT3_T4_T5_mT6_P12ihipStream_tbENKUlT_T0_E_clISt17integral_constantIbLb0EESU_EEDaSP_SQ_EUlSP_E0_NS1_11comp_targetILNS1_3genE10ELNS1_11target_archE1200ELNS1_3gpuE4ELNS1_3repE0EEENS1_30default_config_static_selectorELNS0_4arch9wavefront6targetE1EEEvT1_.kd
    .uniform_work_group_size: 1
    .uses_dynamic_stack: false
    .vgpr_count:     0
    .vgpr_spill_count: 0
    .wavefront_size: 64
  - .agpr_count:     0
    .args:
      - .offset:         0
        .size:           32
        .value_kind:     by_value
    .group_segment_fixed_size: 0
    .kernarg_segment_align: 8
    .kernarg_segment_size: 32
    .language:       OpenCL C
    .language_version:
      - 2
      - 0
    .max_flat_workgroup_size: 256
    .name:           _ZN7rocprim17ROCPRIM_400000_NS6detail17trampoline_kernelINS0_14default_configENS1_20scan_config_selectorIiEEZZNS1_9scan_implILNS1_25lookback_scan_determinismE0ELb0ELb0ES3_N6thrust23THRUST_200600_302600_NS6detail15normal_iteratorINS9_10device_ptrIiEEEESE_i11max_functorIiEiEEDaPvRmT3_T4_T5_mT6_P12ihipStream_tbENKUlT_T0_E_clISt17integral_constantIbLb0EESU_EEDaSP_SQ_EUlSP_E0_NS1_11comp_targetILNS1_3genE9ELNS1_11target_archE1100ELNS1_3gpuE3ELNS1_3repE0EEENS1_30default_config_static_selectorELNS0_4arch9wavefront6targetE1EEEvT1_
    .private_segment_fixed_size: 0
    .sgpr_count:     4
    .sgpr_spill_count: 0
    .symbol:         _ZN7rocprim17ROCPRIM_400000_NS6detail17trampoline_kernelINS0_14default_configENS1_20scan_config_selectorIiEEZZNS1_9scan_implILNS1_25lookback_scan_determinismE0ELb0ELb0ES3_N6thrust23THRUST_200600_302600_NS6detail15normal_iteratorINS9_10device_ptrIiEEEESE_i11max_functorIiEiEEDaPvRmT3_T4_T5_mT6_P12ihipStream_tbENKUlT_T0_E_clISt17integral_constantIbLb0EESU_EEDaSP_SQ_EUlSP_E0_NS1_11comp_targetILNS1_3genE9ELNS1_11target_archE1100ELNS1_3gpuE3ELNS1_3repE0EEENS1_30default_config_static_selectorELNS0_4arch9wavefront6targetE1EEEvT1_.kd
    .uniform_work_group_size: 1
    .uses_dynamic_stack: false
    .vgpr_count:     0
    .vgpr_spill_count: 0
    .wavefront_size: 64
  - .agpr_count:     0
    .args:
      - .offset:         0
        .size:           32
        .value_kind:     by_value
    .group_segment_fixed_size: 0
    .kernarg_segment_align: 8
    .kernarg_segment_size: 32
    .language:       OpenCL C
    .language_version:
      - 2
      - 0
    .max_flat_workgroup_size: 64
    .name:           _ZN7rocprim17ROCPRIM_400000_NS6detail17trampoline_kernelINS0_14default_configENS1_20scan_config_selectorIiEEZZNS1_9scan_implILNS1_25lookback_scan_determinismE0ELb0ELb0ES3_N6thrust23THRUST_200600_302600_NS6detail15normal_iteratorINS9_10device_ptrIiEEEESE_i11max_functorIiEiEEDaPvRmT3_T4_T5_mT6_P12ihipStream_tbENKUlT_T0_E_clISt17integral_constantIbLb0EESU_EEDaSP_SQ_EUlSP_E0_NS1_11comp_targetILNS1_3genE8ELNS1_11target_archE1030ELNS1_3gpuE2ELNS1_3repE0EEENS1_30default_config_static_selectorELNS0_4arch9wavefront6targetE1EEEvT1_
    .private_segment_fixed_size: 0
    .sgpr_count:     4
    .sgpr_spill_count: 0
    .symbol:         _ZN7rocprim17ROCPRIM_400000_NS6detail17trampoline_kernelINS0_14default_configENS1_20scan_config_selectorIiEEZZNS1_9scan_implILNS1_25lookback_scan_determinismE0ELb0ELb0ES3_N6thrust23THRUST_200600_302600_NS6detail15normal_iteratorINS9_10device_ptrIiEEEESE_i11max_functorIiEiEEDaPvRmT3_T4_T5_mT6_P12ihipStream_tbENKUlT_T0_E_clISt17integral_constantIbLb0EESU_EEDaSP_SQ_EUlSP_E0_NS1_11comp_targetILNS1_3genE8ELNS1_11target_archE1030ELNS1_3gpuE2ELNS1_3repE0EEENS1_30default_config_static_selectorELNS0_4arch9wavefront6targetE1EEEvT1_.kd
    .uniform_work_group_size: 1
    .uses_dynamic_stack: false
    .vgpr_count:     0
    .vgpr_spill_count: 0
    .wavefront_size: 64
  - .agpr_count:     0
    .args:
      - .offset:         0
        .size:           96
        .value_kind:     by_value
    .group_segment_fixed_size: 0
    .kernarg_segment_align: 8
    .kernarg_segment_size: 96
    .language:       OpenCL C
    .language_version:
      - 2
      - 0
    .max_flat_workgroup_size: 256
    .name:           _ZN7rocprim17ROCPRIM_400000_NS6detail17trampoline_kernelINS0_14default_configENS1_20scan_config_selectorIiEEZZNS1_9scan_implILNS1_25lookback_scan_determinismE0ELb0ELb0ES3_N6thrust23THRUST_200600_302600_NS6detail15normal_iteratorINS9_10device_ptrIiEEEESE_i11max_functorIiEiEEDaPvRmT3_T4_T5_mT6_P12ihipStream_tbENKUlT_T0_E_clISt17integral_constantIbLb1EESU_EEDaSP_SQ_EUlSP_E_NS1_11comp_targetILNS1_3genE0ELNS1_11target_archE4294967295ELNS1_3gpuE0ELNS1_3repE0EEENS1_30default_config_static_selectorELNS0_4arch9wavefront6targetE1EEEvT1_
    .private_segment_fixed_size: 0
    .sgpr_count:     4
    .sgpr_spill_count: 0
    .symbol:         _ZN7rocprim17ROCPRIM_400000_NS6detail17trampoline_kernelINS0_14default_configENS1_20scan_config_selectorIiEEZZNS1_9scan_implILNS1_25lookback_scan_determinismE0ELb0ELb0ES3_N6thrust23THRUST_200600_302600_NS6detail15normal_iteratorINS9_10device_ptrIiEEEESE_i11max_functorIiEiEEDaPvRmT3_T4_T5_mT6_P12ihipStream_tbENKUlT_T0_E_clISt17integral_constantIbLb1EESU_EEDaSP_SQ_EUlSP_E_NS1_11comp_targetILNS1_3genE0ELNS1_11target_archE4294967295ELNS1_3gpuE0ELNS1_3repE0EEENS1_30default_config_static_selectorELNS0_4arch9wavefront6targetE1EEEvT1_.kd
    .uniform_work_group_size: 1
    .uses_dynamic_stack: false
    .vgpr_count:     0
    .vgpr_spill_count: 0
    .wavefront_size: 64
  - .agpr_count:     0
    .args:
      - .offset:         0
        .size:           96
        .value_kind:     by_value
    .group_segment_fixed_size: 0
    .kernarg_segment_align: 8
    .kernarg_segment_size: 96
    .language:       OpenCL C
    .language_version:
      - 2
      - 0
    .max_flat_workgroup_size: 256
    .name:           _ZN7rocprim17ROCPRIM_400000_NS6detail17trampoline_kernelINS0_14default_configENS1_20scan_config_selectorIiEEZZNS1_9scan_implILNS1_25lookback_scan_determinismE0ELb0ELb0ES3_N6thrust23THRUST_200600_302600_NS6detail15normal_iteratorINS9_10device_ptrIiEEEESE_i11max_functorIiEiEEDaPvRmT3_T4_T5_mT6_P12ihipStream_tbENKUlT_T0_E_clISt17integral_constantIbLb1EESU_EEDaSP_SQ_EUlSP_E_NS1_11comp_targetILNS1_3genE5ELNS1_11target_archE942ELNS1_3gpuE9ELNS1_3repE0EEENS1_30default_config_static_selectorELNS0_4arch9wavefront6targetE1EEEvT1_
    .private_segment_fixed_size: 0
    .sgpr_count:     4
    .sgpr_spill_count: 0
    .symbol:         _ZN7rocprim17ROCPRIM_400000_NS6detail17trampoline_kernelINS0_14default_configENS1_20scan_config_selectorIiEEZZNS1_9scan_implILNS1_25lookback_scan_determinismE0ELb0ELb0ES3_N6thrust23THRUST_200600_302600_NS6detail15normal_iteratorINS9_10device_ptrIiEEEESE_i11max_functorIiEiEEDaPvRmT3_T4_T5_mT6_P12ihipStream_tbENKUlT_T0_E_clISt17integral_constantIbLb1EESU_EEDaSP_SQ_EUlSP_E_NS1_11comp_targetILNS1_3genE5ELNS1_11target_archE942ELNS1_3gpuE9ELNS1_3repE0EEENS1_30default_config_static_selectorELNS0_4arch9wavefront6targetE1EEEvT1_.kd
    .uniform_work_group_size: 1
    .uses_dynamic_stack: false
    .vgpr_count:     0
    .vgpr_spill_count: 0
    .wavefront_size: 64
  - .agpr_count:     0
    .args:
      - .offset:         0
        .size:           96
        .value_kind:     by_value
    .group_segment_fixed_size: 5120
    .kernarg_segment_align: 8
    .kernarg_segment_size: 96
    .language:       OpenCL C
    .language_version:
      - 2
      - 0
    .max_flat_workgroup_size: 128
    .name:           _ZN7rocprim17ROCPRIM_400000_NS6detail17trampoline_kernelINS0_14default_configENS1_20scan_config_selectorIiEEZZNS1_9scan_implILNS1_25lookback_scan_determinismE0ELb0ELb0ES3_N6thrust23THRUST_200600_302600_NS6detail15normal_iteratorINS9_10device_ptrIiEEEESE_i11max_functorIiEiEEDaPvRmT3_T4_T5_mT6_P12ihipStream_tbENKUlT_T0_E_clISt17integral_constantIbLb1EESU_EEDaSP_SQ_EUlSP_E_NS1_11comp_targetILNS1_3genE4ELNS1_11target_archE910ELNS1_3gpuE8ELNS1_3repE0EEENS1_30default_config_static_selectorELNS0_4arch9wavefront6targetE1EEEvT1_
    .private_segment_fixed_size: 0
    .sgpr_count:     42
    .sgpr_spill_count: 0
    .symbol:         _ZN7rocprim17ROCPRIM_400000_NS6detail17trampoline_kernelINS0_14default_configENS1_20scan_config_selectorIiEEZZNS1_9scan_implILNS1_25lookback_scan_determinismE0ELb0ELb0ES3_N6thrust23THRUST_200600_302600_NS6detail15normal_iteratorINS9_10device_ptrIiEEEESE_i11max_functorIiEiEEDaPvRmT3_T4_T5_mT6_P12ihipStream_tbENKUlT_T0_E_clISt17integral_constantIbLb1EESU_EEDaSP_SQ_EUlSP_E_NS1_11comp_targetILNS1_3genE4ELNS1_11target_archE910ELNS1_3gpuE8ELNS1_3repE0EEENS1_30default_config_static_selectorELNS0_4arch9wavefront6targetE1EEEvT1_.kd
    .uniform_work_group_size: 1
    .uses_dynamic_stack: false
    .vgpr_count:     40
    .vgpr_spill_count: 0
    .wavefront_size: 64
  - .agpr_count:     0
    .args:
      - .offset:         0
        .size:           96
        .value_kind:     by_value
    .group_segment_fixed_size: 0
    .kernarg_segment_align: 8
    .kernarg_segment_size: 96
    .language:       OpenCL C
    .language_version:
      - 2
      - 0
    .max_flat_workgroup_size: 256
    .name:           _ZN7rocprim17ROCPRIM_400000_NS6detail17trampoline_kernelINS0_14default_configENS1_20scan_config_selectorIiEEZZNS1_9scan_implILNS1_25lookback_scan_determinismE0ELb0ELb0ES3_N6thrust23THRUST_200600_302600_NS6detail15normal_iteratorINS9_10device_ptrIiEEEESE_i11max_functorIiEiEEDaPvRmT3_T4_T5_mT6_P12ihipStream_tbENKUlT_T0_E_clISt17integral_constantIbLb1EESU_EEDaSP_SQ_EUlSP_E_NS1_11comp_targetILNS1_3genE3ELNS1_11target_archE908ELNS1_3gpuE7ELNS1_3repE0EEENS1_30default_config_static_selectorELNS0_4arch9wavefront6targetE1EEEvT1_
    .private_segment_fixed_size: 0
    .sgpr_count:     4
    .sgpr_spill_count: 0
    .symbol:         _ZN7rocprim17ROCPRIM_400000_NS6detail17trampoline_kernelINS0_14default_configENS1_20scan_config_selectorIiEEZZNS1_9scan_implILNS1_25lookback_scan_determinismE0ELb0ELb0ES3_N6thrust23THRUST_200600_302600_NS6detail15normal_iteratorINS9_10device_ptrIiEEEESE_i11max_functorIiEiEEDaPvRmT3_T4_T5_mT6_P12ihipStream_tbENKUlT_T0_E_clISt17integral_constantIbLb1EESU_EEDaSP_SQ_EUlSP_E_NS1_11comp_targetILNS1_3genE3ELNS1_11target_archE908ELNS1_3gpuE7ELNS1_3repE0EEENS1_30default_config_static_selectorELNS0_4arch9wavefront6targetE1EEEvT1_.kd
    .uniform_work_group_size: 1
    .uses_dynamic_stack: false
    .vgpr_count:     0
    .vgpr_spill_count: 0
    .wavefront_size: 64
  - .agpr_count:     0
    .args:
      - .offset:         0
        .size:           96
        .value_kind:     by_value
    .group_segment_fixed_size: 0
    .kernarg_segment_align: 8
    .kernarg_segment_size: 96
    .language:       OpenCL C
    .language_version:
      - 2
      - 0
    .max_flat_workgroup_size: 256
    .name:           _ZN7rocprim17ROCPRIM_400000_NS6detail17trampoline_kernelINS0_14default_configENS1_20scan_config_selectorIiEEZZNS1_9scan_implILNS1_25lookback_scan_determinismE0ELb0ELb0ES3_N6thrust23THRUST_200600_302600_NS6detail15normal_iteratorINS9_10device_ptrIiEEEESE_i11max_functorIiEiEEDaPvRmT3_T4_T5_mT6_P12ihipStream_tbENKUlT_T0_E_clISt17integral_constantIbLb1EESU_EEDaSP_SQ_EUlSP_E_NS1_11comp_targetILNS1_3genE2ELNS1_11target_archE906ELNS1_3gpuE6ELNS1_3repE0EEENS1_30default_config_static_selectorELNS0_4arch9wavefront6targetE1EEEvT1_
    .private_segment_fixed_size: 0
    .sgpr_count:     4
    .sgpr_spill_count: 0
    .symbol:         _ZN7rocprim17ROCPRIM_400000_NS6detail17trampoline_kernelINS0_14default_configENS1_20scan_config_selectorIiEEZZNS1_9scan_implILNS1_25lookback_scan_determinismE0ELb0ELb0ES3_N6thrust23THRUST_200600_302600_NS6detail15normal_iteratorINS9_10device_ptrIiEEEESE_i11max_functorIiEiEEDaPvRmT3_T4_T5_mT6_P12ihipStream_tbENKUlT_T0_E_clISt17integral_constantIbLb1EESU_EEDaSP_SQ_EUlSP_E_NS1_11comp_targetILNS1_3genE2ELNS1_11target_archE906ELNS1_3gpuE6ELNS1_3repE0EEENS1_30default_config_static_selectorELNS0_4arch9wavefront6targetE1EEEvT1_.kd
    .uniform_work_group_size: 1
    .uses_dynamic_stack: false
    .vgpr_count:     0
    .vgpr_spill_count: 0
    .wavefront_size: 64
  - .agpr_count:     0
    .args:
      - .offset:         0
        .size:           96
        .value_kind:     by_value
    .group_segment_fixed_size: 0
    .kernarg_segment_align: 8
    .kernarg_segment_size: 96
    .language:       OpenCL C
    .language_version:
      - 2
      - 0
    .max_flat_workgroup_size: 256
    .name:           _ZN7rocprim17ROCPRIM_400000_NS6detail17trampoline_kernelINS0_14default_configENS1_20scan_config_selectorIiEEZZNS1_9scan_implILNS1_25lookback_scan_determinismE0ELb0ELb0ES3_N6thrust23THRUST_200600_302600_NS6detail15normal_iteratorINS9_10device_ptrIiEEEESE_i11max_functorIiEiEEDaPvRmT3_T4_T5_mT6_P12ihipStream_tbENKUlT_T0_E_clISt17integral_constantIbLb1EESU_EEDaSP_SQ_EUlSP_E_NS1_11comp_targetILNS1_3genE10ELNS1_11target_archE1201ELNS1_3gpuE5ELNS1_3repE0EEENS1_30default_config_static_selectorELNS0_4arch9wavefront6targetE1EEEvT1_
    .private_segment_fixed_size: 0
    .sgpr_count:     4
    .sgpr_spill_count: 0
    .symbol:         _ZN7rocprim17ROCPRIM_400000_NS6detail17trampoline_kernelINS0_14default_configENS1_20scan_config_selectorIiEEZZNS1_9scan_implILNS1_25lookback_scan_determinismE0ELb0ELb0ES3_N6thrust23THRUST_200600_302600_NS6detail15normal_iteratorINS9_10device_ptrIiEEEESE_i11max_functorIiEiEEDaPvRmT3_T4_T5_mT6_P12ihipStream_tbENKUlT_T0_E_clISt17integral_constantIbLb1EESU_EEDaSP_SQ_EUlSP_E_NS1_11comp_targetILNS1_3genE10ELNS1_11target_archE1201ELNS1_3gpuE5ELNS1_3repE0EEENS1_30default_config_static_selectorELNS0_4arch9wavefront6targetE1EEEvT1_.kd
    .uniform_work_group_size: 1
    .uses_dynamic_stack: false
    .vgpr_count:     0
    .vgpr_spill_count: 0
    .wavefront_size: 64
  - .agpr_count:     0
    .args:
      - .offset:         0
        .size:           96
        .value_kind:     by_value
    .group_segment_fixed_size: 0
    .kernarg_segment_align: 8
    .kernarg_segment_size: 96
    .language:       OpenCL C
    .language_version:
      - 2
      - 0
    .max_flat_workgroup_size: 256
    .name:           _ZN7rocprim17ROCPRIM_400000_NS6detail17trampoline_kernelINS0_14default_configENS1_20scan_config_selectorIiEEZZNS1_9scan_implILNS1_25lookback_scan_determinismE0ELb0ELb0ES3_N6thrust23THRUST_200600_302600_NS6detail15normal_iteratorINS9_10device_ptrIiEEEESE_i11max_functorIiEiEEDaPvRmT3_T4_T5_mT6_P12ihipStream_tbENKUlT_T0_E_clISt17integral_constantIbLb1EESU_EEDaSP_SQ_EUlSP_E_NS1_11comp_targetILNS1_3genE10ELNS1_11target_archE1200ELNS1_3gpuE4ELNS1_3repE0EEENS1_30default_config_static_selectorELNS0_4arch9wavefront6targetE1EEEvT1_
    .private_segment_fixed_size: 0
    .sgpr_count:     4
    .sgpr_spill_count: 0
    .symbol:         _ZN7rocprim17ROCPRIM_400000_NS6detail17trampoline_kernelINS0_14default_configENS1_20scan_config_selectorIiEEZZNS1_9scan_implILNS1_25lookback_scan_determinismE0ELb0ELb0ES3_N6thrust23THRUST_200600_302600_NS6detail15normal_iteratorINS9_10device_ptrIiEEEESE_i11max_functorIiEiEEDaPvRmT3_T4_T5_mT6_P12ihipStream_tbENKUlT_T0_E_clISt17integral_constantIbLb1EESU_EEDaSP_SQ_EUlSP_E_NS1_11comp_targetILNS1_3genE10ELNS1_11target_archE1200ELNS1_3gpuE4ELNS1_3repE0EEENS1_30default_config_static_selectorELNS0_4arch9wavefront6targetE1EEEvT1_.kd
    .uniform_work_group_size: 1
    .uses_dynamic_stack: false
    .vgpr_count:     0
    .vgpr_spill_count: 0
    .wavefront_size: 64
  - .agpr_count:     0
    .args:
      - .offset:         0
        .size:           96
        .value_kind:     by_value
    .group_segment_fixed_size: 0
    .kernarg_segment_align: 8
    .kernarg_segment_size: 96
    .language:       OpenCL C
    .language_version:
      - 2
      - 0
    .max_flat_workgroup_size: 256
    .name:           _ZN7rocprim17ROCPRIM_400000_NS6detail17trampoline_kernelINS0_14default_configENS1_20scan_config_selectorIiEEZZNS1_9scan_implILNS1_25lookback_scan_determinismE0ELb0ELb0ES3_N6thrust23THRUST_200600_302600_NS6detail15normal_iteratorINS9_10device_ptrIiEEEESE_i11max_functorIiEiEEDaPvRmT3_T4_T5_mT6_P12ihipStream_tbENKUlT_T0_E_clISt17integral_constantIbLb1EESU_EEDaSP_SQ_EUlSP_E_NS1_11comp_targetILNS1_3genE9ELNS1_11target_archE1100ELNS1_3gpuE3ELNS1_3repE0EEENS1_30default_config_static_selectorELNS0_4arch9wavefront6targetE1EEEvT1_
    .private_segment_fixed_size: 0
    .sgpr_count:     4
    .sgpr_spill_count: 0
    .symbol:         _ZN7rocprim17ROCPRIM_400000_NS6detail17trampoline_kernelINS0_14default_configENS1_20scan_config_selectorIiEEZZNS1_9scan_implILNS1_25lookback_scan_determinismE0ELb0ELb0ES3_N6thrust23THRUST_200600_302600_NS6detail15normal_iteratorINS9_10device_ptrIiEEEESE_i11max_functorIiEiEEDaPvRmT3_T4_T5_mT6_P12ihipStream_tbENKUlT_T0_E_clISt17integral_constantIbLb1EESU_EEDaSP_SQ_EUlSP_E_NS1_11comp_targetILNS1_3genE9ELNS1_11target_archE1100ELNS1_3gpuE3ELNS1_3repE0EEENS1_30default_config_static_selectorELNS0_4arch9wavefront6targetE1EEEvT1_.kd
    .uniform_work_group_size: 1
    .uses_dynamic_stack: false
    .vgpr_count:     0
    .vgpr_spill_count: 0
    .wavefront_size: 64
  - .agpr_count:     0
    .args:
      - .offset:         0
        .size:           96
        .value_kind:     by_value
    .group_segment_fixed_size: 0
    .kernarg_segment_align: 8
    .kernarg_segment_size: 96
    .language:       OpenCL C
    .language_version:
      - 2
      - 0
    .max_flat_workgroup_size: 64
    .name:           _ZN7rocprim17ROCPRIM_400000_NS6detail17trampoline_kernelINS0_14default_configENS1_20scan_config_selectorIiEEZZNS1_9scan_implILNS1_25lookback_scan_determinismE0ELb0ELb0ES3_N6thrust23THRUST_200600_302600_NS6detail15normal_iteratorINS9_10device_ptrIiEEEESE_i11max_functorIiEiEEDaPvRmT3_T4_T5_mT6_P12ihipStream_tbENKUlT_T0_E_clISt17integral_constantIbLb1EESU_EEDaSP_SQ_EUlSP_E_NS1_11comp_targetILNS1_3genE8ELNS1_11target_archE1030ELNS1_3gpuE2ELNS1_3repE0EEENS1_30default_config_static_selectorELNS0_4arch9wavefront6targetE1EEEvT1_
    .private_segment_fixed_size: 0
    .sgpr_count:     4
    .sgpr_spill_count: 0
    .symbol:         _ZN7rocprim17ROCPRIM_400000_NS6detail17trampoline_kernelINS0_14default_configENS1_20scan_config_selectorIiEEZZNS1_9scan_implILNS1_25lookback_scan_determinismE0ELb0ELb0ES3_N6thrust23THRUST_200600_302600_NS6detail15normal_iteratorINS9_10device_ptrIiEEEESE_i11max_functorIiEiEEDaPvRmT3_T4_T5_mT6_P12ihipStream_tbENKUlT_T0_E_clISt17integral_constantIbLb1EESU_EEDaSP_SQ_EUlSP_E_NS1_11comp_targetILNS1_3genE8ELNS1_11target_archE1030ELNS1_3gpuE2ELNS1_3repE0EEENS1_30default_config_static_selectorELNS0_4arch9wavefront6targetE1EEEvT1_.kd
    .uniform_work_group_size: 1
    .uses_dynamic_stack: false
    .vgpr_count:     0
    .vgpr_spill_count: 0
    .wavefront_size: 64
  - .agpr_count:     0
    .args:
      - .offset:         0
        .size:           32
        .value_kind:     by_value
    .group_segment_fixed_size: 0
    .kernarg_segment_align: 8
    .kernarg_segment_size: 32
    .language:       OpenCL C
    .language_version:
      - 2
      - 0
    .max_flat_workgroup_size: 256
    .name:           _ZN7rocprim17ROCPRIM_400000_NS6detail17trampoline_kernelINS0_14default_configENS1_20scan_config_selectorIiEEZZNS1_9scan_implILNS1_25lookback_scan_determinismE0ELb0ELb0ES3_N6thrust23THRUST_200600_302600_NS6detail15normal_iteratorINS9_10device_ptrIiEEEESE_i11max_functorIiEiEEDaPvRmT3_T4_T5_mT6_P12ihipStream_tbENKUlT_T0_E_clISt17integral_constantIbLb1EESU_EEDaSP_SQ_EUlSP_E0_NS1_11comp_targetILNS1_3genE0ELNS1_11target_archE4294967295ELNS1_3gpuE0ELNS1_3repE0EEENS1_30default_config_static_selectorELNS0_4arch9wavefront6targetE1EEEvT1_
    .private_segment_fixed_size: 0
    .sgpr_count:     4
    .sgpr_spill_count: 0
    .symbol:         _ZN7rocprim17ROCPRIM_400000_NS6detail17trampoline_kernelINS0_14default_configENS1_20scan_config_selectorIiEEZZNS1_9scan_implILNS1_25lookback_scan_determinismE0ELb0ELb0ES3_N6thrust23THRUST_200600_302600_NS6detail15normal_iteratorINS9_10device_ptrIiEEEESE_i11max_functorIiEiEEDaPvRmT3_T4_T5_mT6_P12ihipStream_tbENKUlT_T0_E_clISt17integral_constantIbLb1EESU_EEDaSP_SQ_EUlSP_E0_NS1_11comp_targetILNS1_3genE0ELNS1_11target_archE4294967295ELNS1_3gpuE0ELNS1_3repE0EEENS1_30default_config_static_selectorELNS0_4arch9wavefront6targetE1EEEvT1_.kd
    .uniform_work_group_size: 1
    .uses_dynamic_stack: false
    .vgpr_count:     0
    .vgpr_spill_count: 0
    .wavefront_size: 64
  - .agpr_count:     0
    .args:
      - .offset:         0
        .size:           32
        .value_kind:     by_value
    .group_segment_fixed_size: 0
    .kernarg_segment_align: 8
    .kernarg_segment_size: 32
    .language:       OpenCL C
    .language_version:
      - 2
      - 0
    .max_flat_workgroup_size: 256
    .name:           _ZN7rocprim17ROCPRIM_400000_NS6detail17trampoline_kernelINS0_14default_configENS1_20scan_config_selectorIiEEZZNS1_9scan_implILNS1_25lookback_scan_determinismE0ELb0ELb0ES3_N6thrust23THRUST_200600_302600_NS6detail15normal_iteratorINS9_10device_ptrIiEEEESE_i11max_functorIiEiEEDaPvRmT3_T4_T5_mT6_P12ihipStream_tbENKUlT_T0_E_clISt17integral_constantIbLb1EESU_EEDaSP_SQ_EUlSP_E0_NS1_11comp_targetILNS1_3genE5ELNS1_11target_archE942ELNS1_3gpuE9ELNS1_3repE0EEENS1_30default_config_static_selectorELNS0_4arch9wavefront6targetE1EEEvT1_
    .private_segment_fixed_size: 0
    .sgpr_count:     4
    .sgpr_spill_count: 0
    .symbol:         _ZN7rocprim17ROCPRIM_400000_NS6detail17trampoline_kernelINS0_14default_configENS1_20scan_config_selectorIiEEZZNS1_9scan_implILNS1_25lookback_scan_determinismE0ELb0ELb0ES3_N6thrust23THRUST_200600_302600_NS6detail15normal_iteratorINS9_10device_ptrIiEEEESE_i11max_functorIiEiEEDaPvRmT3_T4_T5_mT6_P12ihipStream_tbENKUlT_T0_E_clISt17integral_constantIbLb1EESU_EEDaSP_SQ_EUlSP_E0_NS1_11comp_targetILNS1_3genE5ELNS1_11target_archE942ELNS1_3gpuE9ELNS1_3repE0EEENS1_30default_config_static_selectorELNS0_4arch9wavefront6targetE1EEEvT1_.kd
    .uniform_work_group_size: 1
    .uses_dynamic_stack: false
    .vgpr_count:     0
    .vgpr_spill_count: 0
    .wavefront_size: 64
  - .agpr_count:     0
    .args:
      - .offset:         0
        .size:           32
        .value_kind:     by_value
    .group_segment_fixed_size: 5120
    .kernarg_segment_align: 8
    .kernarg_segment_size: 32
    .language:       OpenCL C
    .language_version:
      - 2
      - 0
    .max_flat_workgroup_size: 128
    .name:           _ZN7rocprim17ROCPRIM_400000_NS6detail17trampoline_kernelINS0_14default_configENS1_20scan_config_selectorIiEEZZNS1_9scan_implILNS1_25lookback_scan_determinismE0ELb0ELb0ES3_N6thrust23THRUST_200600_302600_NS6detail15normal_iteratorINS9_10device_ptrIiEEEESE_i11max_functorIiEiEEDaPvRmT3_T4_T5_mT6_P12ihipStream_tbENKUlT_T0_E_clISt17integral_constantIbLb1EESU_EEDaSP_SQ_EUlSP_E0_NS1_11comp_targetILNS1_3genE4ELNS1_11target_archE910ELNS1_3gpuE8ELNS1_3repE0EEENS1_30default_config_static_selectorELNS0_4arch9wavefront6targetE1EEEvT1_
    .private_segment_fixed_size: 0
    .sgpr_count:     28
    .sgpr_spill_count: 0
    .symbol:         _ZN7rocprim17ROCPRIM_400000_NS6detail17trampoline_kernelINS0_14default_configENS1_20scan_config_selectorIiEEZZNS1_9scan_implILNS1_25lookback_scan_determinismE0ELb0ELb0ES3_N6thrust23THRUST_200600_302600_NS6detail15normal_iteratorINS9_10device_ptrIiEEEESE_i11max_functorIiEiEEDaPvRmT3_T4_T5_mT6_P12ihipStream_tbENKUlT_T0_E_clISt17integral_constantIbLb1EESU_EEDaSP_SQ_EUlSP_E0_NS1_11comp_targetILNS1_3genE4ELNS1_11target_archE910ELNS1_3gpuE8ELNS1_3repE0EEENS1_30default_config_static_selectorELNS0_4arch9wavefront6targetE1EEEvT1_.kd
    .uniform_work_group_size: 1
    .uses_dynamic_stack: false
    .vgpr_count:     28
    .vgpr_spill_count: 0
    .wavefront_size: 64
  - .agpr_count:     0
    .args:
      - .offset:         0
        .size:           32
        .value_kind:     by_value
    .group_segment_fixed_size: 0
    .kernarg_segment_align: 8
    .kernarg_segment_size: 32
    .language:       OpenCL C
    .language_version:
      - 2
      - 0
    .max_flat_workgroup_size: 256
    .name:           _ZN7rocprim17ROCPRIM_400000_NS6detail17trampoline_kernelINS0_14default_configENS1_20scan_config_selectorIiEEZZNS1_9scan_implILNS1_25lookback_scan_determinismE0ELb0ELb0ES3_N6thrust23THRUST_200600_302600_NS6detail15normal_iteratorINS9_10device_ptrIiEEEESE_i11max_functorIiEiEEDaPvRmT3_T4_T5_mT6_P12ihipStream_tbENKUlT_T0_E_clISt17integral_constantIbLb1EESU_EEDaSP_SQ_EUlSP_E0_NS1_11comp_targetILNS1_3genE3ELNS1_11target_archE908ELNS1_3gpuE7ELNS1_3repE0EEENS1_30default_config_static_selectorELNS0_4arch9wavefront6targetE1EEEvT1_
    .private_segment_fixed_size: 0
    .sgpr_count:     4
    .sgpr_spill_count: 0
    .symbol:         _ZN7rocprim17ROCPRIM_400000_NS6detail17trampoline_kernelINS0_14default_configENS1_20scan_config_selectorIiEEZZNS1_9scan_implILNS1_25lookback_scan_determinismE0ELb0ELb0ES3_N6thrust23THRUST_200600_302600_NS6detail15normal_iteratorINS9_10device_ptrIiEEEESE_i11max_functorIiEiEEDaPvRmT3_T4_T5_mT6_P12ihipStream_tbENKUlT_T0_E_clISt17integral_constantIbLb1EESU_EEDaSP_SQ_EUlSP_E0_NS1_11comp_targetILNS1_3genE3ELNS1_11target_archE908ELNS1_3gpuE7ELNS1_3repE0EEENS1_30default_config_static_selectorELNS0_4arch9wavefront6targetE1EEEvT1_.kd
    .uniform_work_group_size: 1
    .uses_dynamic_stack: false
    .vgpr_count:     0
    .vgpr_spill_count: 0
    .wavefront_size: 64
  - .agpr_count:     0
    .args:
      - .offset:         0
        .size:           32
        .value_kind:     by_value
    .group_segment_fixed_size: 0
    .kernarg_segment_align: 8
    .kernarg_segment_size: 32
    .language:       OpenCL C
    .language_version:
      - 2
      - 0
    .max_flat_workgroup_size: 256
    .name:           _ZN7rocprim17ROCPRIM_400000_NS6detail17trampoline_kernelINS0_14default_configENS1_20scan_config_selectorIiEEZZNS1_9scan_implILNS1_25lookback_scan_determinismE0ELb0ELb0ES3_N6thrust23THRUST_200600_302600_NS6detail15normal_iteratorINS9_10device_ptrIiEEEESE_i11max_functorIiEiEEDaPvRmT3_T4_T5_mT6_P12ihipStream_tbENKUlT_T0_E_clISt17integral_constantIbLb1EESU_EEDaSP_SQ_EUlSP_E0_NS1_11comp_targetILNS1_3genE2ELNS1_11target_archE906ELNS1_3gpuE6ELNS1_3repE0EEENS1_30default_config_static_selectorELNS0_4arch9wavefront6targetE1EEEvT1_
    .private_segment_fixed_size: 0
    .sgpr_count:     4
    .sgpr_spill_count: 0
    .symbol:         _ZN7rocprim17ROCPRIM_400000_NS6detail17trampoline_kernelINS0_14default_configENS1_20scan_config_selectorIiEEZZNS1_9scan_implILNS1_25lookback_scan_determinismE0ELb0ELb0ES3_N6thrust23THRUST_200600_302600_NS6detail15normal_iteratorINS9_10device_ptrIiEEEESE_i11max_functorIiEiEEDaPvRmT3_T4_T5_mT6_P12ihipStream_tbENKUlT_T0_E_clISt17integral_constantIbLb1EESU_EEDaSP_SQ_EUlSP_E0_NS1_11comp_targetILNS1_3genE2ELNS1_11target_archE906ELNS1_3gpuE6ELNS1_3repE0EEENS1_30default_config_static_selectorELNS0_4arch9wavefront6targetE1EEEvT1_.kd
    .uniform_work_group_size: 1
    .uses_dynamic_stack: false
    .vgpr_count:     0
    .vgpr_spill_count: 0
    .wavefront_size: 64
  - .agpr_count:     0
    .args:
      - .offset:         0
        .size:           32
        .value_kind:     by_value
    .group_segment_fixed_size: 0
    .kernarg_segment_align: 8
    .kernarg_segment_size: 32
    .language:       OpenCL C
    .language_version:
      - 2
      - 0
    .max_flat_workgroup_size: 256
    .name:           _ZN7rocprim17ROCPRIM_400000_NS6detail17trampoline_kernelINS0_14default_configENS1_20scan_config_selectorIiEEZZNS1_9scan_implILNS1_25lookback_scan_determinismE0ELb0ELb0ES3_N6thrust23THRUST_200600_302600_NS6detail15normal_iteratorINS9_10device_ptrIiEEEESE_i11max_functorIiEiEEDaPvRmT3_T4_T5_mT6_P12ihipStream_tbENKUlT_T0_E_clISt17integral_constantIbLb1EESU_EEDaSP_SQ_EUlSP_E0_NS1_11comp_targetILNS1_3genE10ELNS1_11target_archE1201ELNS1_3gpuE5ELNS1_3repE0EEENS1_30default_config_static_selectorELNS0_4arch9wavefront6targetE1EEEvT1_
    .private_segment_fixed_size: 0
    .sgpr_count:     4
    .sgpr_spill_count: 0
    .symbol:         _ZN7rocprim17ROCPRIM_400000_NS6detail17trampoline_kernelINS0_14default_configENS1_20scan_config_selectorIiEEZZNS1_9scan_implILNS1_25lookback_scan_determinismE0ELb0ELb0ES3_N6thrust23THRUST_200600_302600_NS6detail15normal_iteratorINS9_10device_ptrIiEEEESE_i11max_functorIiEiEEDaPvRmT3_T4_T5_mT6_P12ihipStream_tbENKUlT_T0_E_clISt17integral_constantIbLb1EESU_EEDaSP_SQ_EUlSP_E0_NS1_11comp_targetILNS1_3genE10ELNS1_11target_archE1201ELNS1_3gpuE5ELNS1_3repE0EEENS1_30default_config_static_selectorELNS0_4arch9wavefront6targetE1EEEvT1_.kd
    .uniform_work_group_size: 1
    .uses_dynamic_stack: false
    .vgpr_count:     0
    .vgpr_spill_count: 0
    .wavefront_size: 64
  - .agpr_count:     0
    .args:
      - .offset:         0
        .size:           32
        .value_kind:     by_value
    .group_segment_fixed_size: 0
    .kernarg_segment_align: 8
    .kernarg_segment_size: 32
    .language:       OpenCL C
    .language_version:
      - 2
      - 0
    .max_flat_workgroup_size: 256
    .name:           _ZN7rocprim17ROCPRIM_400000_NS6detail17trampoline_kernelINS0_14default_configENS1_20scan_config_selectorIiEEZZNS1_9scan_implILNS1_25lookback_scan_determinismE0ELb0ELb0ES3_N6thrust23THRUST_200600_302600_NS6detail15normal_iteratorINS9_10device_ptrIiEEEESE_i11max_functorIiEiEEDaPvRmT3_T4_T5_mT6_P12ihipStream_tbENKUlT_T0_E_clISt17integral_constantIbLb1EESU_EEDaSP_SQ_EUlSP_E0_NS1_11comp_targetILNS1_3genE10ELNS1_11target_archE1200ELNS1_3gpuE4ELNS1_3repE0EEENS1_30default_config_static_selectorELNS0_4arch9wavefront6targetE1EEEvT1_
    .private_segment_fixed_size: 0
    .sgpr_count:     4
    .sgpr_spill_count: 0
    .symbol:         _ZN7rocprim17ROCPRIM_400000_NS6detail17trampoline_kernelINS0_14default_configENS1_20scan_config_selectorIiEEZZNS1_9scan_implILNS1_25lookback_scan_determinismE0ELb0ELb0ES3_N6thrust23THRUST_200600_302600_NS6detail15normal_iteratorINS9_10device_ptrIiEEEESE_i11max_functorIiEiEEDaPvRmT3_T4_T5_mT6_P12ihipStream_tbENKUlT_T0_E_clISt17integral_constantIbLb1EESU_EEDaSP_SQ_EUlSP_E0_NS1_11comp_targetILNS1_3genE10ELNS1_11target_archE1200ELNS1_3gpuE4ELNS1_3repE0EEENS1_30default_config_static_selectorELNS0_4arch9wavefront6targetE1EEEvT1_.kd
    .uniform_work_group_size: 1
    .uses_dynamic_stack: false
    .vgpr_count:     0
    .vgpr_spill_count: 0
    .wavefront_size: 64
  - .agpr_count:     0
    .args:
      - .offset:         0
        .size:           32
        .value_kind:     by_value
    .group_segment_fixed_size: 0
    .kernarg_segment_align: 8
    .kernarg_segment_size: 32
    .language:       OpenCL C
    .language_version:
      - 2
      - 0
    .max_flat_workgroup_size: 256
    .name:           _ZN7rocprim17ROCPRIM_400000_NS6detail17trampoline_kernelINS0_14default_configENS1_20scan_config_selectorIiEEZZNS1_9scan_implILNS1_25lookback_scan_determinismE0ELb0ELb0ES3_N6thrust23THRUST_200600_302600_NS6detail15normal_iteratorINS9_10device_ptrIiEEEESE_i11max_functorIiEiEEDaPvRmT3_T4_T5_mT6_P12ihipStream_tbENKUlT_T0_E_clISt17integral_constantIbLb1EESU_EEDaSP_SQ_EUlSP_E0_NS1_11comp_targetILNS1_3genE9ELNS1_11target_archE1100ELNS1_3gpuE3ELNS1_3repE0EEENS1_30default_config_static_selectorELNS0_4arch9wavefront6targetE1EEEvT1_
    .private_segment_fixed_size: 0
    .sgpr_count:     4
    .sgpr_spill_count: 0
    .symbol:         _ZN7rocprim17ROCPRIM_400000_NS6detail17trampoline_kernelINS0_14default_configENS1_20scan_config_selectorIiEEZZNS1_9scan_implILNS1_25lookback_scan_determinismE0ELb0ELb0ES3_N6thrust23THRUST_200600_302600_NS6detail15normal_iteratorINS9_10device_ptrIiEEEESE_i11max_functorIiEiEEDaPvRmT3_T4_T5_mT6_P12ihipStream_tbENKUlT_T0_E_clISt17integral_constantIbLb1EESU_EEDaSP_SQ_EUlSP_E0_NS1_11comp_targetILNS1_3genE9ELNS1_11target_archE1100ELNS1_3gpuE3ELNS1_3repE0EEENS1_30default_config_static_selectorELNS0_4arch9wavefront6targetE1EEEvT1_.kd
    .uniform_work_group_size: 1
    .uses_dynamic_stack: false
    .vgpr_count:     0
    .vgpr_spill_count: 0
    .wavefront_size: 64
  - .agpr_count:     0
    .args:
      - .offset:         0
        .size:           32
        .value_kind:     by_value
    .group_segment_fixed_size: 0
    .kernarg_segment_align: 8
    .kernarg_segment_size: 32
    .language:       OpenCL C
    .language_version:
      - 2
      - 0
    .max_flat_workgroup_size: 64
    .name:           _ZN7rocprim17ROCPRIM_400000_NS6detail17trampoline_kernelINS0_14default_configENS1_20scan_config_selectorIiEEZZNS1_9scan_implILNS1_25lookback_scan_determinismE0ELb0ELb0ES3_N6thrust23THRUST_200600_302600_NS6detail15normal_iteratorINS9_10device_ptrIiEEEESE_i11max_functorIiEiEEDaPvRmT3_T4_T5_mT6_P12ihipStream_tbENKUlT_T0_E_clISt17integral_constantIbLb1EESU_EEDaSP_SQ_EUlSP_E0_NS1_11comp_targetILNS1_3genE8ELNS1_11target_archE1030ELNS1_3gpuE2ELNS1_3repE0EEENS1_30default_config_static_selectorELNS0_4arch9wavefront6targetE1EEEvT1_
    .private_segment_fixed_size: 0
    .sgpr_count:     4
    .sgpr_spill_count: 0
    .symbol:         _ZN7rocprim17ROCPRIM_400000_NS6detail17trampoline_kernelINS0_14default_configENS1_20scan_config_selectorIiEEZZNS1_9scan_implILNS1_25lookback_scan_determinismE0ELb0ELb0ES3_N6thrust23THRUST_200600_302600_NS6detail15normal_iteratorINS9_10device_ptrIiEEEESE_i11max_functorIiEiEEDaPvRmT3_T4_T5_mT6_P12ihipStream_tbENKUlT_T0_E_clISt17integral_constantIbLb1EESU_EEDaSP_SQ_EUlSP_E0_NS1_11comp_targetILNS1_3genE8ELNS1_11target_archE1030ELNS1_3gpuE2ELNS1_3repE0EEENS1_30default_config_static_selectorELNS0_4arch9wavefront6targetE1EEEvT1_.kd
    .uniform_work_group_size: 1
    .uses_dynamic_stack: false
    .vgpr_count:     0
    .vgpr_spill_count: 0
    .wavefront_size: 64
  - .agpr_count:     0
    .args:
      - .offset:         0
        .size:           96
        .value_kind:     by_value
    .group_segment_fixed_size: 0
    .kernarg_segment_align: 8
    .kernarg_segment_size: 96
    .language:       OpenCL C
    .language_version:
      - 2
      - 0
    .max_flat_workgroup_size: 256
    .name:           _ZN7rocprim17ROCPRIM_400000_NS6detail17trampoline_kernelINS0_14default_configENS1_20scan_config_selectorIiEEZZNS1_9scan_implILNS1_25lookback_scan_determinismE0ELb0ELb0ES3_N6thrust23THRUST_200600_302600_NS6detail15normal_iteratorINS9_10device_ptrIiEEEESE_i11max_functorIiEiEEDaPvRmT3_T4_T5_mT6_P12ihipStream_tbENKUlT_T0_E_clISt17integral_constantIbLb1EEST_IbLb0EEEEDaSP_SQ_EUlSP_E_NS1_11comp_targetILNS1_3genE0ELNS1_11target_archE4294967295ELNS1_3gpuE0ELNS1_3repE0EEENS1_30default_config_static_selectorELNS0_4arch9wavefront6targetE1EEEvT1_
    .private_segment_fixed_size: 0
    .sgpr_count:     4
    .sgpr_spill_count: 0
    .symbol:         _ZN7rocprim17ROCPRIM_400000_NS6detail17trampoline_kernelINS0_14default_configENS1_20scan_config_selectorIiEEZZNS1_9scan_implILNS1_25lookback_scan_determinismE0ELb0ELb0ES3_N6thrust23THRUST_200600_302600_NS6detail15normal_iteratorINS9_10device_ptrIiEEEESE_i11max_functorIiEiEEDaPvRmT3_T4_T5_mT6_P12ihipStream_tbENKUlT_T0_E_clISt17integral_constantIbLb1EEST_IbLb0EEEEDaSP_SQ_EUlSP_E_NS1_11comp_targetILNS1_3genE0ELNS1_11target_archE4294967295ELNS1_3gpuE0ELNS1_3repE0EEENS1_30default_config_static_selectorELNS0_4arch9wavefront6targetE1EEEvT1_.kd
    .uniform_work_group_size: 1
    .uses_dynamic_stack: false
    .vgpr_count:     0
    .vgpr_spill_count: 0
    .wavefront_size: 64
  - .agpr_count:     0
    .args:
      - .offset:         0
        .size:           96
        .value_kind:     by_value
    .group_segment_fixed_size: 0
    .kernarg_segment_align: 8
    .kernarg_segment_size: 96
    .language:       OpenCL C
    .language_version:
      - 2
      - 0
    .max_flat_workgroup_size: 256
    .name:           _ZN7rocprim17ROCPRIM_400000_NS6detail17trampoline_kernelINS0_14default_configENS1_20scan_config_selectorIiEEZZNS1_9scan_implILNS1_25lookback_scan_determinismE0ELb0ELb0ES3_N6thrust23THRUST_200600_302600_NS6detail15normal_iteratorINS9_10device_ptrIiEEEESE_i11max_functorIiEiEEDaPvRmT3_T4_T5_mT6_P12ihipStream_tbENKUlT_T0_E_clISt17integral_constantIbLb1EEST_IbLb0EEEEDaSP_SQ_EUlSP_E_NS1_11comp_targetILNS1_3genE5ELNS1_11target_archE942ELNS1_3gpuE9ELNS1_3repE0EEENS1_30default_config_static_selectorELNS0_4arch9wavefront6targetE1EEEvT1_
    .private_segment_fixed_size: 0
    .sgpr_count:     4
    .sgpr_spill_count: 0
    .symbol:         _ZN7rocprim17ROCPRIM_400000_NS6detail17trampoline_kernelINS0_14default_configENS1_20scan_config_selectorIiEEZZNS1_9scan_implILNS1_25lookback_scan_determinismE0ELb0ELb0ES3_N6thrust23THRUST_200600_302600_NS6detail15normal_iteratorINS9_10device_ptrIiEEEESE_i11max_functorIiEiEEDaPvRmT3_T4_T5_mT6_P12ihipStream_tbENKUlT_T0_E_clISt17integral_constantIbLb1EEST_IbLb0EEEEDaSP_SQ_EUlSP_E_NS1_11comp_targetILNS1_3genE5ELNS1_11target_archE942ELNS1_3gpuE9ELNS1_3repE0EEENS1_30default_config_static_selectorELNS0_4arch9wavefront6targetE1EEEvT1_.kd
    .uniform_work_group_size: 1
    .uses_dynamic_stack: false
    .vgpr_count:     0
    .vgpr_spill_count: 0
    .wavefront_size: 64
  - .agpr_count:     0
    .args:
      - .offset:         0
        .size:           96
        .value_kind:     by_value
    .group_segment_fixed_size: 5120
    .kernarg_segment_align: 8
    .kernarg_segment_size: 96
    .language:       OpenCL C
    .language_version:
      - 2
      - 0
    .max_flat_workgroup_size: 128
    .name:           _ZN7rocprim17ROCPRIM_400000_NS6detail17trampoline_kernelINS0_14default_configENS1_20scan_config_selectorIiEEZZNS1_9scan_implILNS1_25lookback_scan_determinismE0ELb0ELb0ES3_N6thrust23THRUST_200600_302600_NS6detail15normal_iteratorINS9_10device_ptrIiEEEESE_i11max_functorIiEiEEDaPvRmT3_T4_T5_mT6_P12ihipStream_tbENKUlT_T0_E_clISt17integral_constantIbLb1EEST_IbLb0EEEEDaSP_SQ_EUlSP_E_NS1_11comp_targetILNS1_3genE4ELNS1_11target_archE910ELNS1_3gpuE8ELNS1_3repE0EEENS1_30default_config_static_selectorELNS0_4arch9wavefront6targetE1EEEvT1_
    .private_segment_fixed_size: 0
    .sgpr_count:     32
    .sgpr_spill_count: 0
    .symbol:         _ZN7rocprim17ROCPRIM_400000_NS6detail17trampoline_kernelINS0_14default_configENS1_20scan_config_selectorIiEEZZNS1_9scan_implILNS1_25lookback_scan_determinismE0ELb0ELb0ES3_N6thrust23THRUST_200600_302600_NS6detail15normal_iteratorINS9_10device_ptrIiEEEESE_i11max_functorIiEiEEDaPvRmT3_T4_T5_mT6_P12ihipStream_tbENKUlT_T0_E_clISt17integral_constantIbLb1EEST_IbLb0EEEEDaSP_SQ_EUlSP_E_NS1_11comp_targetILNS1_3genE4ELNS1_11target_archE910ELNS1_3gpuE8ELNS1_3repE0EEENS1_30default_config_static_selectorELNS0_4arch9wavefront6targetE1EEEvT1_.kd
    .uniform_work_group_size: 1
    .uses_dynamic_stack: false
    .vgpr_count:     40
    .vgpr_spill_count: 0
    .wavefront_size: 64
  - .agpr_count:     0
    .args:
      - .offset:         0
        .size:           96
        .value_kind:     by_value
    .group_segment_fixed_size: 0
    .kernarg_segment_align: 8
    .kernarg_segment_size: 96
    .language:       OpenCL C
    .language_version:
      - 2
      - 0
    .max_flat_workgroup_size: 256
    .name:           _ZN7rocprim17ROCPRIM_400000_NS6detail17trampoline_kernelINS0_14default_configENS1_20scan_config_selectorIiEEZZNS1_9scan_implILNS1_25lookback_scan_determinismE0ELb0ELb0ES3_N6thrust23THRUST_200600_302600_NS6detail15normal_iteratorINS9_10device_ptrIiEEEESE_i11max_functorIiEiEEDaPvRmT3_T4_T5_mT6_P12ihipStream_tbENKUlT_T0_E_clISt17integral_constantIbLb1EEST_IbLb0EEEEDaSP_SQ_EUlSP_E_NS1_11comp_targetILNS1_3genE3ELNS1_11target_archE908ELNS1_3gpuE7ELNS1_3repE0EEENS1_30default_config_static_selectorELNS0_4arch9wavefront6targetE1EEEvT1_
    .private_segment_fixed_size: 0
    .sgpr_count:     4
    .sgpr_spill_count: 0
    .symbol:         _ZN7rocprim17ROCPRIM_400000_NS6detail17trampoline_kernelINS0_14default_configENS1_20scan_config_selectorIiEEZZNS1_9scan_implILNS1_25lookback_scan_determinismE0ELb0ELb0ES3_N6thrust23THRUST_200600_302600_NS6detail15normal_iteratorINS9_10device_ptrIiEEEESE_i11max_functorIiEiEEDaPvRmT3_T4_T5_mT6_P12ihipStream_tbENKUlT_T0_E_clISt17integral_constantIbLb1EEST_IbLb0EEEEDaSP_SQ_EUlSP_E_NS1_11comp_targetILNS1_3genE3ELNS1_11target_archE908ELNS1_3gpuE7ELNS1_3repE0EEENS1_30default_config_static_selectorELNS0_4arch9wavefront6targetE1EEEvT1_.kd
    .uniform_work_group_size: 1
    .uses_dynamic_stack: false
    .vgpr_count:     0
    .vgpr_spill_count: 0
    .wavefront_size: 64
  - .agpr_count:     0
    .args:
      - .offset:         0
        .size:           96
        .value_kind:     by_value
    .group_segment_fixed_size: 0
    .kernarg_segment_align: 8
    .kernarg_segment_size: 96
    .language:       OpenCL C
    .language_version:
      - 2
      - 0
    .max_flat_workgroup_size: 256
    .name:           _ZN7rocprim17ROCPRIM_400000_NS6detail17trampoline_kernelINS0_14default_configENS1_20scan_config_selectorIiEEZZNS1_9scan_implILNS1_25lookback_scan_determinismE0ELb0ELb0ES3_N6thrust23THRUST_200600_302600_NS6detail15normal_iteratorINS9_10device_ptrIiEEEESE_i11max_functorIiEiEEDaPvRmT3_T4_T5_mT6_P12ihipStream_tbENKUlT_T0_E_clISt17integral_constantIbLb1EEST_IbLb0EEEEDaSP_SQ_EUlSP_E_NS1_11comp_targetILNS1_3genE2ELNS1_11target_archE906ELNS1_3gpuE6ELNS1_3repE0EEENS1_30default_config_static_selectorELNS0_4arch9wavefront6targetE1EEEvT1_
    .private_segment_fixed_size: 0
    .sgpr_count:     4
    .sgpr_spill_count: 0
    .symbol:         _ZN7rocprim17ROCPRIM_400000_NS6detail17trampoline_kernelINS0_14default_configENS1_20scan_config_selectorIiEEZZNS1_9scan_implILNS1_25lookback_scan_determinismE0ELb0ELb0ES3_N6thrust23THRUST_200600_302600_NS6detail15normal_iteratorINS9_10device_ptrIiEEEESE_i11max_functorIiEiEEDaPvRmT3_T4_T5_mT6_P12ihipStream_tbENKUlT_T0_E_clISt17integral_constantIbLb1EEST_IbLb0EEEEDaSP_SQ_EUlSP_E_NS1_11comp_targetILNS1_3genE2ELNS1_11target_archE906ELNS1_3gpuE6ELNS1_3repE0EEENS1_30default_config_static_selectorELNS0_4arch9wavefront6targetE1EEEvT1_.kd
    .uniform_work_group_size: 1
    .uses_dynamic_stack: false
    .vgpr_count:     0
    .vgpr_spill_count: 0
    .wavefront_size: 64
  - .agpr_count:     0
    .args:
      - .offset:         0
        .size:           96
        .value_kind:     by_value
    .group_segment_fixed_size: 0
    .kernarg_segment_align: 8
    .kernarg_segment_size: 96
    .language:       OpenCL C
    .language_version:
      - 2
      - 0
    .max_flat_workgroup_size: 256
    .name:           _ZN7rocprim17ROCPRIM_400000_NS6detail17trampoline_kernelINS0_14default_configENS1_20scan_config_selectorIiEEZZNS1_9scan_implILNS1_25lookback_scan_determinismE0ELb0ELb0ES3_N6thrust23THRUST_200600_302600_NS6detail15normal_iteratorINS9_10device_ptrIiEEEESE_i11max_functorIiEiEEDaPvRmT3_T4_T5_mT6_P12ihipStream_tbENKUlT_T0_E_clISt17integral_constantIbLb1EEST_IbLb0EEEEDaSP_SQ_EUlSP_E_NS1_11comp_targetILNS1_3genE10ELNS1_11target_archE1201ELNS1_3gpuE5ELNS1_3repE0EEENS1_30default_config_static_selectorELNS0_4arch9wavefront6targetE1EEEvT1_
    .private_segment_fixed_size: 0
    .sgpr_count:     4
    .sgpr_spill_count: 0
    .symbol:         _ZN7rocprim17ROCPRIM_400000_NS6detail17trampoline_kernelINS0_14default_configENS1_20scan_config_selectorIiEEZZNS1_9scan_implILNS1_25lookback_scan_determinismE0ELb0ELb0ES3_N6thrust23THRUST_200600_302600_NS6detail15normal_iteratorINS9_10device_ptrIiEEEESE_i11max_functorIiEiEEDaPvRmT3_T4_T5_mT6_P12ihipStream_tbENKUlT_T0_E_clISt17integral_constantIbLb1EEST_IbLb0EEEEDaSP_SQ_EUlSP_E_NS1_11comp_targetILNS1_3genE10ELNS1_11target_archE1201ELNS1_3gpuE5ELNS1_3repE0EEENS1_30default_config_static_selectorELNS0_4arch9wavefront6targetE1EEEvT1_.kd
    .uniform_work_group_size: 1
    .uses_dynamic_stack: false
    .vgpr_count:     0
    .vgpr_spill_count: 0
    .wavefront_size: 64
  - .agpr_count:     0
    .args:
      - .offset:         0
        .size:           96
        .value_kind:     by_value
    .group_segment_fixed_size: 0
    .kernarg_segment_align: 8
    .kernarg_segment_size: 96
    .language:       OpenCL C
    .language_version:
      - 2
      - 0
    .max_flat_workgroup_size: 256
    .name:           _ZN7rocprim17ROCPRIM_400000_NS6detail17trampoline_kernelINS0_14default_configENS1_20scan_config_selectorIiEEZZNS1_9scan_implILNS1_25lookback_scan_determinismE0ELb0ELb0ES3_N6thrust23THRUST_200600_302600_NS6detail15normal_iteratorINS9_10device_ptrIiEEEESE_i11max_functorIiEiEEDaPvRmT3_T4_T5_mT6_P12ihipStream_tbENKUlT_T0_E_clISt17integral_constantIbLb1EEST_IbLb0EEEEDaSP_SQ_EUlSP_E_NS1_11comp_targetILNS1_3genE10ELNS1_11target_archE1200ELNS1_3gpuE4ELNS1_3repE0EEENS1_30default_config_static_selectorELNS0_4arch9wavefront6targetE1EEEvT1_
    .private_segment_fixed_size: 0
    .sgpr_count:     4
    .sgpr_spill_count: 0
    .symbol:         _ZN7rocprim17ROCPRIM_400000_NS6detail17trampoline_kernelINS0_14default_configENS1_20scan_config_selectorIiEEZZNS1_9scan_implILNS1_25lookback_scan_determinismE0ELb0ELb0ES3_N6thrust23THRUST_200600_302600_NS6detail15normal_iteratorINS9_10device_ptrIiEEEESE_i11max_functorIiEiEEDaPvRmT3_T4_T5_mT6_P12ihipStream_tbENKUlT_T0_E_clISt17integral_constantIbLb1EEST_IbLb0EEEEDaSP_SQ_EUlSP_E_NS1_11comp_targetILNS1_3genE10ELNS1_11target_archE1200ELNS1_3gpuE4ELNS1_3repE0EEENS1_30default_config_static_selectorELNS0_4arch9wavefront6targetE1EEEvT1_.kd
    .uniform_work_group_size: 1
    .uses_dynamic_stack: false
    .vgpr_count:     0
    .vgpr_spill_count: 0
    .wavefront_size: 64
  - .agpr_count:     0
    .args:
      - .offset:         0
        .size:           96
        .value_kind:     by_value
    .group_segment_fixed_size: 0
    .kernarg_segment_align: 8
    .kernarg_segment_size: 96
    .language:       OpenCL C
    .language_version:
      - 2
      - 0
    .max_flat_workgroup_size: 256
    .name:           _ZN7rocprim17ROCPRIM_400000_NS6detail17trampoline_kernelINS0_14default_configENS1_20scan_config_selectorIiEEZZNS1_9scan_implILNS1_25lookback_scan_determinismE0ELb0ELb0ES3_N6thrust23THRUST_200600_302600_NS6detail15normal_iteratorINS9_10device_ptrIiEEEESE_i11max_functorIiEiEEDaPvRmT3_T4_T5_mT6_P12ihipStream_tbENKUlT_T0_E_clISt17integral_constantIbLb1EEST_IbLb0EEEEDaSP_SQ_EUlSP_E_NS1_11comp_targetILNS1_3genE9ELNS1_11target_archE1100ELNS1_3gpuE3ELNS1_3repE0EEENS1_30default_config_static_selectorELNS0_4arch9wavefront6targetE1EEEvT1_
    .private_segment_fixed_size: 0
    .sgpr_count:     4
    .sgpr_spill_count: 0
    .symbol:         _ZN7rocprim17ROCPRIM_400000_NS6detail17trampoline_kernelINS0_14default_configENS1_20scan_config_selectorIiEEZZNS1_9scan_implILNS1_25lookback_scan_determinismE0ELb0ELb0ES3_N6thrust23THRUST_200600_302600_NS6detail15normal_iteratorINS9_10device_ptrIiEEEESE_i11max_functorIiEiEEDaPvRmT3_T4_T5_mT6_P12ihipStream_tbENKUlT_T0_E_clISt17integral_constantIbLb1EEST_IbLb0EEEEDaSP_SQ_EUlSP_E_NS1_11comp_targetILNS1_3genE9ELNS1_11target_archE1100ELNS1_3gpuE3ELNS1_3repE0EEENS1_30default_config_static_selectorELNS0_4arch9wavefront6targetE1EEEvT1_.kd
    .uniform_work_group_size: 1
    .uses_dynamic_stack: false
    .vgpr_count:     0
    .vgpr_spill_count: 0
    .wavefront_size: 64
  - .agpr_count:     0
    .args:
      - .offset:         0
        .size:           96
        .value_kind:     by_value
    .group_segment_fixed_size: 0
    .kernarg_segment_align: 8
    .kernarg_segment_size: 96
    .language:       OpenCL C
    .language_version:
      - 2
      - 0
    .max_flat_workgroup_size: 64
    .name:           _ZN7rocprim17ROCPRIM_400000_NS6detail17trampoline_kernelINS0_14default_configENS1_20scan_config_selectorIiEEZZNS1_9scan_implILNS1_25lookback_scan_determinismE0ELb0ELb0ES3_N6thrust23THRUST_200600_302600_NS6detail15normal_iteratorINS9_10device_ptrIiEEEESE_i11max_functorIiEiEEDaPvRmT3_T4_T5_mT6_P12ihipStream_tbENKUlT_T0_E_clISt17integral_constantIbLb1EEST_IbLb0EEEEDaSP_SQ_EUlSP_E_NS1_11comp_targetILNS1_3genE8ELNS1_11target_archE1030ELNS1_3gpuE2ELNS1_3repE0EEENS1_30default_config_static_selectorELNS0_4arch9wavefront6targetE1EEEvT1_
    .private_segment_fixed_size: 0
    .sgpr_count:     4
    .sgpr_spill_count: 0
    .symbol:         _ZN7rocprim17ROCPRIM_400000_NS6detail17trampoline_kernelINS0_14default_configENS1_20scan_config_selectorIiEEZZNS1_9scan_implILNS1_25lookback_scan_determinismE0ELb0ELb0ES3_N6thrust23THRUST_200600_302600_NS6detail15normal_iteratorINS9_10device_ptrIiEEEESE_i11max_functorIiEiEEDaPvRmT3_T4_T5_mT6_P12ihipStream_tbENKUlT_T0_E_clISt17integral_constantIbLb1EEST_IbLb0EEEEDaSP_SQ_EUlSP_E_NS1_11comp_targetILNS1_3genE8ELNS1_11target_archE1030ELNS1_3gpuE2ELNS1_3repE0EEENS1_30default_config_static_selectorELNS0_4arch9wavefront6targetE1EEEvT1_.kd
    .uniform_work_group_size: 1
    .uses_dynamic_stack: false
    .vgpr_count:     0
    .vgpr_spill_count: 0
    .wavefront_size: 64
  - .agpr_count:     0
    .args:
      - .offset:         0
        .size:           32
        .value_kind:     by_value
    .group_segment_fixed_size: 0
    .kernarg_segment_align: 8
    .kernarg_segment_size: 32
    .language:       OpenCL C
    .language_version:
      - 2
      - 0
    .max_flat_workgroup_size: 256
    .name:           _ZN7rocprim17ROCPRIM_400000_NS6detail17trampoline_kernelINS0_14default_configENS1_20scan_config_selectorIiEEZZNS1_9scan_implILNS1_25lookback_scan_determinismE0ELb0ELb0ES3_N6thrust23THRUST_200600_302600_NS6detail15normal_iteratorINS9_10device_ptrIiEEEESE_i11max_functorIiEiEEDaPvRmT3_T4_T5_mT6_P12ihipStream_tbENKUlT_T0_E_clISt17integral_constantIbLb1EEST_IbLb0EEEEDaSP_SQ_EUlSP_E0_NS1_11comp_targetILNS1_3genE0ELNS1_11target_archE4294967295ELNS1_3gpuE0ELNS1_3repE0EEENS1_30default_config_static_selectorELNS0_4arch9wavefront6targetE1EEEvT1_
    .private_segment_fixed_size: 0
    .sgpr_count:     4
    .sgpr_spill_count: 0
    .symbol:         _ZN7rocprim17ROCPRIM_400000_NS6detail17trampoline_kernelINS0_14default_configENS1_20scan_config_selectorIiEEZZNS1_9scan_implILNS1_25lookback_scan_determinismE0ELb0ELb0ES3_N6thrust23THRUST_200600_302600_NS6detail15normal_iteratorINS9_10device_ptrIiEEEESE_i11max_functorIiEiEEDaPvRmT3_T4_T5_mT6_P12ihipStream_tbENKUlT_T0_E_clISt17integral_constantIbLb1EEST_IbLb0EEEEDaSP_SQ_EUlSP_E0_NS1_11comp_targetILNS1_3genE0ELNS1_11target_archE4294967295ELNS1_3gpuE0ELNS1_3repE0EEENS1_30default_config_static_selectorELNS0_4arch9wavefront6targetE1EEEvT1_.kd
    .uniform_work_group_size: 1
    .uses_dynamic_stack: false
    .vgpr_count:     0
    .vgpr_spill_count: 0
    .wavefront_size: 64
  - .agpr_count:     0
    .args:
      - .offset:         0
        .size:           32
        .value_kind:     by_value
    .group_segment_fixed_size: 0
    .kernarg_segment_align: 8
    .kernarg_segment_size: 32
    .language:       OpenCL C
    .language_version:
      - 2
      - 0
    .max_flat_workgroup_size: 256
    .name:           _ZN7rocprim17ROCPRIM_400000_NS6detail17trampoline_kernelINS0_14default_configENS1_20scan_config_selectorIiEEZZNS1_9scan_implILNS1_25lookback_scan_determinismE0ELb0ELb0ES3_N6thrust23THRUST_200600_302600_NS6detail15normal_iteratorINS9_10device_ptrIiEEEESE_i11max_functorIiEiEEDaPvRmT3_T4_T5_mT6_P12ihipStream_tbENKUlT_T0_E_clISt17integral_constantIbLb1EEST_IbLb0EEEEDaSP_SQ_EUlSP_E0_NS1_11comp_targetILNS1_3genE5ELNS1_11target_archE942ELNS1_3gpuE9ELNS1_3repE0EEENS1_30default_config_static_selectorELNS0_4arch9wavefront6targetE1EEEvT1_
    .private_segment_fixed_size: 0
    .sgpr_count:     4
    .sgpr_spill_count: 0
    .symbol:         _ZN7rocprim17ROCPRIM_400000_NS6detail17trampoline_kernelINS0_14default_configENS1_20scan_config_selectorIiEEZZNS1_9scan_implILNS1_25lookback_scan_determinismE0ELb0ELb0ES3_N6thrust23THRUST_200600_302600_NS6detail15normal_iteratorINS9_10device_ptrIiEEEESE_i11max_functorIiEiEEDaPvRmT3_T4_T5_mT6_P12ihipStream_tbENKUlT_T0_E_clISt17integral_constantIbLb1EEST_IbLb0EEEEDaSP_SQ_EUlSP_E0_NS1_11comp_targetILNS1_3genE5ELNS1_11target_archE942ELNS1_3gpuE9ELNS1_3repE0EEENS1_30default_config_static_selectorELNS0_4arch9wavefront6targetE1EEEvT1_.kd
    .uniform_work_group_size: 1
    .uses_dynamic_stack: false
    .vgpr_count:     0
    .vgpr_spill_count: 0
    .wavefront_size: 64
  - .agpr_count:     0
    .args:
      - .offset:         0
        .size:           32
        .value_kind:     by_value
    .group_segment_fixed_size: 5120
    .kernarg_segment_align: 8
    .kernarg_segment_size: 32
    .language:       OpenCL C
    .language_version:
      - 2
      - 0
    .max_flat_workgroup_size: 128
    .name:           _ZN7rocprim17ROCPRIM_400000_NS6detail17trampoline_kernelINS0_14default_configENS1_20scan_config_selectorIiEEZZNS1_9scan_implILNS1_25lookback_scan_determinismE0ELb0ELb0ES3_N6thrust23THRUST_200600_302600_NS6detail15normal_iteratorINS9_10device_ptrIiEEEESE_i11max_functorIiEiEEDaPvRmT3_T4_T5_mT6_P12ihipStream_tbENKUlT_T0_E_clISt17integral_constantIbLb1EEST_IbLb0EEEEDaSP_SQ_EUlSP_E0_NS1_11comp_targetILNS1_3genE4ELNS1_11target_archE910ELNS1_3gpuE8ELNS1_3repE0EEENS1_30default_config_static_selectorELNS0_4arch9wavefront6targetE1EEEvT1_
    .private_segment_fixed_size: 0
    .sgpr_count:     28
    .sgpr_spill_count: 0
    .symbol:         _ZN7rocprim17ROCPRIM_400000_NS6detail17trampoline_kernelINS0_14default_configENS1_20scan_config_selectorIiEEZZNS1_9scan_implILNS1_25lookback_scan_determinismE0ELb0ELb0ES3_N6thrust23THRUST_200600_302600_NS6detail15normal_iteratorINS9_10device_ptrIiEEEESE_i11max_functorIiEiEEDaPvRmT3_T4_T5_mT6_P12ihipStream_tbENKUlT_T0_E_clISt17integral_constantIbLb1EEST_IbLb0EEEEDaSP_SQ_EUlSP_E0_NS1_11comp_targetILNS1_3genE4ELNS1_11target_archE910ELNS1_3gpuE8ELNS1_3repE0EEENS1_30default_config_static_selectorELNS0_4arch9wavefront6targetE1EEEvT1_.kd
    .uniform_work_group_size: 1
    .uses_dynamic_stack: false
    .vgpr_count:     28
    .vgpr_spill_count: 0
    .wavefront_size: 64
  - .agpr_count:     0
    .args:
      - .offset:         0
        .size:           32
        .value_kind:     by_value
    .group_segment_fixed_size: 0
    .kernarg_segment_align: 8
    .kernarg_segment_size: 32
    .language:       OpenCL C
    .language_version:
      - 2
      - 0
    .max_flat_workgroup_size: 256
    .name:           _ZN7rocprim17ROCPRIM_400000_NS6detail17trampoline_kernelINS0_14default_configENS1_20scan_config_selectorIiEEZZNS1_9scan_implILNS1_25lookback_scan_determinismE0ELb0ELb0ES3_N6thrust23THRUST_200600_302600_NS6detail15normal_iteratorINS9_10device_ptrIiEEEESE_i11max_functorIiEiEEDaPvRmT3_T4_T5_mT6_P12ihipStream_tbENKUlT_T0_E_clISt17integral_constantIbLb1EEST_IbLb0EEEEDaSP_SQ_EUlSP_E0_NS1_11comp_targetILNS1_3genE3ELNS1_11target_archE908ELNS1_3gpuE7ELNS1_3repE0EEENS1_30default_config_static_selectorELNS0_4arch9wavefront6targetE1EEEvT1_
    .private_segment_fixed_size: 0
    .sgpr_count:     4
    .sgpr_spill_count: 0
    .symbol:         _ZN7rocprim17ROCPRIM_400000_NS6detail17trampoline_kernelINS0_14default_configENS1_20scan_config_selectorIiEEZZNS1_9scan_implILNS1_25lookback_scan_determinismE0ELb0ELb0ES3_N6thrust23THRUST_200600_302600_NS6detail15normal_iteratorINS9_10device_ptrIiEEEESE_i11max_functorIiEiEEDaPvRmT3_T4_T5_mT6_P12ihipStream_tbENKUlT_T0_E_clISt17integral_constantIbLb1EEST_IbLb0EEEEDaSP_SQ_EUlSP_E0_NS1_11comp_targetILNS1_3genE3ELNS1_11target_archE908ELNS1_3gpuE7ELNS1_3repE0EEENS1_30default_config_static_selectorELNS0_4arch9wavefront6targetE1EEEvT1_.kd
    .uniform_work_group_size: 1
    .uses_dynamic_stack: false
    .vgpr_count:     0
    .vgpr_spill_count: 0
    .wavefront_size: 64
  - .agpr_count:     0
    .args:
      - .offset:         0
        .size:           32
        .value_kind:     by_value
    .group_segment_fixed_size: 0
    .kernarg_segment_align: 8
    .kernarg_segment_size: 32
    .language:       OpenCL C
    .language_version:
      - 2
      - 0
    .max_flat_workgroup_size: 256
    .name:           _ZN7rocprim17ROCPRIM_400000_NS6detail17trampoline_kernelINS0_14default_configENS1_20scan_config_selectorIiEEZZNS1_9scan_implILNS1_25lookback_scan_determinismE0ELb0ELb0ES3_N6thrust23THRUST_200600_302600_NS6detail15normal_iteratorINS9_10device_ptrIiEEEESE_i11max_functorIiEiEEDaPvRmT3_T4_T5_mT6_P12ihipStream_tbENKUlT_T0_E_clISt17integral_constantIbLb1EEST_IbLb0EEEEDaSP_SQ_EUlSP_E0_NS1_11comp_targetILNS1_3genE2ELNS1_11target_archE906ELNS1_3gpuE6ELNS1_3repE0EEENS1_30default_config_static_selectorELNS0_4arch9wavefront6targetE1EEEvT1_
    .private_segment_fixed_size: 0
    .sgpr_count:     4
    .sgpr_spill_count: 0
    .symbol:         _ZN7rocprim17ROCPRIM_400000_NS6detail17trampoline_kernelINS0_14default_configENS1_20scan_config_selectorIiEEZZNS1_9scan_implILNS1_25lookback_scan_determinismE0ELb0ELb0ES3_N6thrust23THRUST_200600_302600_NS6detail15normal_iteratorINS9_10device_ptrIiEEEESE_i11max_functorIiEiEEDaPvRmT3_T4_T5_mT6_P12ihipStream_tbENKUlT_T0_E_clISt17integral_constantIbLb1EEST_IbLb0EEEEDaSP_SQ_EUlSP_E0_NS1_11comp_targetILNS1_3genE2ELNS1_11target_archE906ELNS1_3gpuE6ELNS1_3repE0EEENS1_30default_config_static_selectorELNS0_4arch9wavefront6targetE1EEEvT1_.kd
    .uniform_work_group_size: 1
    .uses_dynamic_stack: false
    .vgpr_count:     0
    .vgpr_spill_count: 0
    .wavefront_size: 64
  - .agpr_count:     0
    .args:
      - .offset:         0
        .size:           32
        .value_kind:     by_value
    .group_segment_fixed_size: 0
    .kernarg_segment_align: 8
    .kernarg_segment_size: 32
    .language:       OpenCL C
    .language_version:
      - 2
      - 0
    .max_flat_workgroup_size: 256
    .name:           _ZN7rocprim17ROCPRIM_400000_NS6detail17trampoline_kernelINS0_14default_configENS1_20scan_config_selectorIiEEZZNS1_9scan_implILNS1_25lookback_scan_determinismE0ELb0ELb0ES3_N6thrust23THRUST_200600_302600_NS6detail15normal_iteratorINS9_10device_ptrIiEEEESE_i11max_functorIiEiEEDaPvRmT3_T4_T5_mT6_P12ihipStream_tbENKUlT_T0_E_clISt17integral_constantIbLb1EEST_IbLb0EEEEDaSP_SQ_EUlSP_E0_NS1_11comp_targetILNS1_3genE10ELNS1_11target_archE1201ELNS1_3gpuE5ELNS1_3repE0EEENS1_30default_config_static_selectorELNS0_4arch9wavefront6targetE1EEEvT1_
    .private_segment_fixed_size: 0
    .sgpr_count:     4
    .sgpr_spill_count: 0
    .symbol:         _ZN7rocprim17ROCPRIM_400000_NS6detail17trampoline_kernelINS0_14default_configENS1_20scan_config_selectorIiEEZZNS1_9scan_implILNS1_25lookback_scan_determinismE0ELb0ELb0ES3_N6thrust23THRUST_200600_302600_NS6detail15normal_iteratorINS9_10device_ptrIiEEEESE_i11max_functorIiEiEEDaPvRmT3_T4_T5_mT6_P12ihipStream_tbENKUlT_T0_E_clISt17integral_constantIbLb1EEST_IbLb0EEEEDaSP_SQ_EUlSP_E0_NS1_11comp_targetILNS1_3genE10ELNS1_11target_archE1201ELNS1_3gpuE5ELNS1_3repE0EEENS1_30default_config_static_selectorELNS0_4arch9wavefront6targetE1EEEvT1_.kd
    .uniform_work_group_size: 1
    .uses_dynamic_stack: false
    .vgpr_count:     0
    .vgpr_spill_count: 0
    .wavefront_size: 64
  - .agpr_count:     0
    .args:
      - .offset:         0
        .size:           32
        .value_kind:     by_value
    .group_segment_fixed_size: 0
    .kernarg_segment_align: 8
    .kernarg_segment_size: 32
    .language:       OpenCL C
    .language_version:
      - 2
      - 0
    .max_flat_workgroup_size: 256
    .name:           _ZN7rocprim17ROCPRIM_400000_NS6detail17trampoline_kernelINS0_14default_configENS1_20scan_config_selectorIiEEZZNS1_9scan_implILNS1_25lookback_scan_determinismE0ELb0ELb0ES3_N6thrust23THRUST_200600_302600_NS6detail15normal_iteratorINS9_10device_ptrIiEEEESE_i11max_functorIiEiEEDaPvRmT3_T4_T5_mT6_P12ihipStream_tbENKUlT_T0_E_clISt17integral_constantIbLb1EEST_IbLb0EEEEDaSP_SQ_EUlSP_E0_NS1_11comp_targetILNS1_3genE10ELNS1_11target_archE1200ELNS1_3gpuE4ELNS1_3repE0EEENS1_30default_config_static_selectorELNS0_4arch9wavefront6targetE1EEEvT1_
    .private_segment_fixed_size: 0
    .sgpr_count:     4
    .sgpr_spill_count: 0
    .symbol:         _ZN7rocprim17ROCPRIM_400000_NS6detail17trampoline_kernelINS0_14default_configENS1_20scan_config_selectorIiEEZZNS1_9scan_implILNS1_25lookback_scan_determinismE0ELb0ELb0ES3_N6thrust23THRUST_200600_302600_NS6detail15normal_iteratorINS9_10device_ptrIiEEEESE_i11max_functorIiEiEEDaPvRmT3_T4_T5_mT6_P12ihipStream_tbENKUlT_T0_E_clISt17integral_constantIbLb1EEST_IbLb0EEEEDaSP_SQ_EUlSP_E0_NS1_11comp_targetILNS1_3genE10ELNS1_11target_archE1200ELNS1_3gpuE4ELNS1_3repE0EEENS1_30default_config_static_selectorELNS0_4arch9wavefront6targetE1EEEvT1_.kd
    .uniform_work_group_size: 1
    .uses_dynamic_stack: false
    .vgpr_count:     0
    .vgpr_spill_count: 0
    .wavefront_size: 64
  - .agpr_count:     0
    .args:
      - .offset:         0
        .size:           32
        .value_kind:     by_value
    .group_segment_fixed_size: 0
    .kernarg_segment_align: 8
    .kernarg_segment_size: 32
    .language:       OpenCL C
    .language_version:
      - 2
      - 0
    .max_flat_workgroup_size: 256
    .name:           _ZN7rocprim17ROCPRIM_400000_NS6detail17trampoline_kernelINS0_14default_configENS1_20scan_config_selectorIiEEZZNS1_9scan_implILNS1_25lookback_scan_determinismE0ELb0ELb0ES3_N6thrust23THRUST_200600_302600_NS6detail15normal_iteratorINS9_10device_ptrIiEEEESE_i11max_functorIiEiEEDaPvRmT3_T4_T5_mT6_P12ihipStream_tbENKUlT_T0_E_clISt17integral_constantIbLb1EEST_IbLb0EEEEDaSP_SQ_EUlSP_E0_NS1_11comp_targetILNS1_3genE9ELNS1_11target_archE1100ELNS1_3gpuE3ELNS1_3repE0EEENS1_30default_config_static_selectorELNS0_4arch9wavefront6targetE1EEEvT1_
    .private_segment_fixed_size: 0
    .sgpr_count:     4
    .sgpr_spill_count: 0
    .symbol:         _ZN7rocprim17ROCPRIM_400000_NS6detail17trampoline_kernelINS0_14default_configENS1_20scan_config_selectorIiEEZZNS1_9scan_implILNS1_25lookback_scan_determinismE0ELb0ELb0ES3_N6thrust23THRUST_200600_302600_NS6detail15normal_iteratorINS9_10device_ptrIiEEEESE_i11max_functorIiEiEEDaPvRmT3_T4_T5_mT6_P12ihipStream_tbENKUlT_T0_E_clISt17integral_constantIbLb1EEST_IbLb0EEEEDaSP_SQ_EUlSP_E0_NS1_11comp_targetILNS1_3genE9ELNS1_11target_archE1100ELNS1_3gpuE3ELNS1_3repE0EEENS1_30default_config_static_selectorELNS0_4arch9wavefront6targetE1EEEvT1_.kd
    .uniform_work_group_size: 1
    .uses_dynamic_stack: false
    .vgpr_count:     0
    .vgpr_spill_count: 0
    .wavefront_size: 64
  - .agpr_count:     0
    .args:
      - .offset:         0
        .size:           32
        .value_kind:     by_value
    .group_segment_fixed_size: 0
    .kernarg_segment_align: 8
    .kernarg_segment_size: 32
    .language:       OpenCL C
    .language_version:
      - 2
      - 0
    .max_flat_workgroup_size: 64
    .name:           _ZN7rocprim17ROCPRIM_400000_NS6detail17trampoline_kernelINS0_14default_configENS1_20scan_config_selectorIiEEZZNS1_9scan_implILNS1_25lookback_scan_determinismE0ELb0ELb0ES3_N6thrust23THRUST_200600_302600_NS6detail15normal_iteratorINS9_10device_ptrIiEEEESE_i11max_functorIiEiEEDaPvRmT3_T4_T5_mT6_P12ihipStream_tbENKUlT_T0_E_clISt17integral_constantIbLb1EEST_IbLb0EEEEDaSP_SQ_EUlSP_E0_NS1_11comp_targetILNS1_3genE8ELNS1_11target_archE1030ELNS1_3gpuE2ELNS1_3repE0EEENS1_30default_config_static_selectorELNS0_4arch9wavefront6targetE1EEEvT1_
    .private_segment_fixed_size: 0
    .sgpr_count:     4
    .sgpr_spill_count: 0
    .symbol:         _ZN7rocprim17ROCPRIM_400000_NS6detail17trampoline_kernelINS0_14default_configENS1_20scan_config_selectorIiEEZZNS1_9scan_implILNS1_25lookback_scan_determinismE0ELb0ELb0ES3_N6thrust23THRUST_200600_302600_NS6detail15normal_iteratorINS9_10device_ptrIiEEEESE_i11max_functorIiEiEEDaPvRmT3_T4_T5_mT6_P12ihipStream_tbENKUlT_T0_E_clISt17integral_constantIbLb1EEST_IbLb0EEEEDaSP_SQ_EUlSP_E0_NS1_11comp_targetILNS1_3genE8ELNS1_11target_archE1030ELNS1_3gpuE2ELNS1_3repE0EEENS1_30default_config_static_selectorELNS0_4arch9wavefront6targetE1EEEvT1_.kd
    .uniform_work_group_size: 1
    .uses_dynamic_stack: false
    .vgpr_count:     0
    .vgpr_spill_count: 0
    .wavefront_size: 64
  - .agpr_count:     0
    .args:
      - .offset:         0
        .size:           96
        .value_kind:     by_value
    .group_segment_fixed_size: 0
    .kernarg_segment_align: 8
    .kernarg_segment_size: 96
    .language:       OpenCL C
    .language_version:
      - 2
      - 0
    .max_flat_workgroup_size: 256
    .name:           _ZN7rocprim17ROCPRIM_400000_NS6detail17trampoline_kernelINS0_14default_configENS1_20scan_config_selectorIiEEZZNS1_9scan_implILNS1_25lookback_scan_determinismE0ELb0ELb0ES3_N6thrust23THRUST_200600_302600_NS6detail15normal_iteratorINS9_10device_ptrIiEEEESE_i11max_functorIiEiEEDaPvRmT3_T4_T5_mT6_P12ihipStream_tbENKUlT_T0_E_clISt17integral_constantIbLb0EEST_IbLb1EEEEDaSP_SQ_EUlSP_E_NS1_11comp_targetILNS1_3genE0ELNS1_11target_archE4294967295ELNS1_3gpuE0ELNS1_3repE0EEENS1_30default_config_static_selectorELNS0_4arch9wavefront6targetE1EEEvT1_
    .private_segment_fixed_size: 0
    .sgpr_count:     4
    .sgpr_spill_count: 0
    .symbol:         _ZN7rocprim17ROCPRIM_400000_NS6detail17trampoline_kernelINS0_14default_configENS1_20scan_config_selectorIiEEZZNS1_9scan_implILNS1_25lookback_scan_determinismE0ELb0ELb0ES3_N6thrust23THRUST_200600_302600_NS6detail15normal_iteratorINS9_10device_ptrIiEEEESE_i11max_functorIiEiEEDaPvRmT3_T4_T5_mT6_P12ihipStream_tbENKUlT_T0_E_clISt17integral_constantIbLb0EEST_IbLb1EEEEDaSP_SQ_EUlSP_E_NS1_11comp_targetILNS1_3genE0ELNS1_11target_archE4294967295ELNS1_3gpuE0ELNS1_3repE0EEENS1_30default_config_static_selectorELNS0_4arch9wavefront6targetE1EEEvT1_.kd
    .uniform_work_group_size: 1
    .uses_dynamic_stack: false
    .vgpr_count:     0
    .vgpr_spill_count: 0
    .wavefront_size: 64
  - .agpr_count:     0
    .args:
      - .offset:         0
        .size:           96
        .value_kind:     by_value
    .group_segment_fixed_size: 0
    .kernarg_segment_align: 8
    .kernarg_segment_size: 96
    .language:       OpenCL C
    .language_version:
      - 2
      - 0
    .max_flat_workgroup_size: 256
    .name:           _ZN7rocprim17ROCPRIM_400000_NS6detail17trampoline_kernelINS0_14default_configENS1_20scan_config_selectorIiEEZZNS1_9scan_implILNS1_25lookback_scan_determinismE0ELb0ELb0ES3_N6thrust23THRUST_200600_302600_NS6detail15normal_iteratorINS9_10device_ptrIiEEEESE_i11max_functorIiEiEEDaPvRmT3_T4_T5_mT6_P12ihipStream_tbENKUlT_T0_E_clISt17integral_constantIbLb0EEST_IbLb1EEEEDaSP_SQ_EUlSP_E_NS1_11comp_targetILNS1_3genE5ELNS1_11target_archE942ELNS1_3gpuE9ELNS1_3repE0EEENS1_30default_config_static_selectorELNS0_4arch9wavefront6targetE1EEEvT1_
    .private_segment_fixed_size: 0
    .sgpr_count:     4
    .sgpr_spill_count: 0
    .symbol:         _ZN7rocprim17ROCPRIM_400000_NS6detail17trampoline_kernelINS0_14default_configENS1_20scan_config_selectorIiEEZZNS1_9scan_implILNS1_25lookback_scan_determinismE0ELb0ELb0ES3_N6thrust23THRUST_200600_302600_NS6detail15normal_iteratorINS9_10device_ptrIiEEEESE_i11max_functorIiEiEEDaPvRmT3_T4_T5_mT6_P12ihipStream_tbENKUlT_T0_E_clISt17integral_constantIbLb0EEST_IbLb1EEEEDaSP_SQ_EUlSP_E_NS1_11comp_targetILNS1_3genE5ELNS1_11target_archE942ELNS1_3gpuE9ELNS1_3repE0EEENS1_30default_config_static_selectorELNS0_4arch9wavefront6targetE1EEEvT1_.kd
    .uniform_work_group_size: 1
    .uses_dynamic_stack: false
    .vgpr_count:     0
    .vgpr_spill_count: 0
    .wavefront_size: 64
  - .agpr_count:     0
    .args:
      - .offset:         0
        .size:           96
        .value_kind:     by_value
    .group_segment_fixed_size: 5120
    .kernarg_segment_align: 8
    .kernarg_segment_size: 96
    .language:       OpenCL C
    .language_version:
      - 2
      - 0
    .max_flat_workgroup_size: 128
    .name:           _ZN7rocprim17ROCPRIM_400000_NS6detail17trampoline_kernelINS0_14default_configENS1_20scan_config_selectorIiEEZZNS1_9scan_implILNS1_25lookback_scan_determinismE0ELb0ELb0ES3_N6thrust23THRUST_200600_302600_NS6detail15normal_iteratorINS9_10device_ptrIiEEEESE_i11max_functorIiEiEEDaPvRmT3_T4_T5_mT6_P12ihipStream_tbENKUlT_T0_E_clISt17integral_constantIbLb0EEST_IbLb1EEEEDaSP_SQ_EUlSP_E_NS1_11comp_targetILNS1_3genE4ELNS1_11target_archE910ELNS1_3gpuE8ELNS1_3repE0EEENS1_30default_config_static_selectorELNS0_4arch9wavefront6targetE1EEEvT1_
    .private_segment_fixed_size: 0
    .sgpr_count:     40
    .sgpr_spill_count: 0
    .symbol:         _ZN7rocprim17ROCPRIM_400000_NS6detail17trampoline_kernelINS0_14default_configENS1_20scan_config_selectorIiEEZZNS1_9scan_implILNS1_25lookback_scan_determinismE0ELb0ELb0ES3_N6thrust23THRUST_200600_302600_NS6detail15normal_iteratorINS9_10device_ptrIiEEEESE_i11max_functorIiEiEEDaPvRmT3_T4_T5_mT6_P12ihipStream_tbENKUlT_T0_E_clISt17integral_constantIbLb0EEST_IbLb1EEEEDaSP_SQ_EUlSP_E_NS1_11comp_targetILNS1_3genE4ELNS1_11target_archE910ELNS1_3gpuE8ELNS1_3repE0EEENS1_30default_config_static_selectorELNS0_4arch9wavefront6targetE1EEEvT1_.kd
    .uniform_work_group_size: 1
    .uses_dynamic_stack: false
    .vgpr_count:     40
    .vgpr_spill_count: 0
    .wavefront_size: 64
  - .agpr_count:     0
    .args:
      - .offset:         0
        .size:           96
        .value_kind:     by_value
    .group_segment_fixed_size: 0
    .kernarg_segment_align: 8
    .kernarg_segment_size: 96
    .language:       OpenCL C
    .language_version:
      - 2
      - 0
    .max_flat_workgroup_size: 256
    .name:           _ZN7rocprim17ROCPRIM_400000_NS6detail17trampoline_kernelINS0_14default_configENS1_20scan_config_selectorIiEEZZNS1_9scan_implILNS1_25lookback_scan_determinismE0ELb0ELb0ES3_N6thrust23THRUST_200600_302600_NS6detail15normal_iteratorINS9_10device_ptrIiEEEESE_i11max_functorIiEiEEDaPvRmT3_T4_T5_mT6_P12ihipStream_tbENKUlT_T0_E_clISt17integral_constantIbLb0EEST_IbLb1EEEEDaSP_SQ_EUlSP_E_NS1_11comp_targetILNS1_3genE3ELNS1_11target_archE908ELNS1_3gpuE7ELNS1_3repE0EEENS1_30default_config_static_selectorELNS0_4arch9wavefront6targetE1EEEvT1_
    .private_segment_fixed_size: 0
    .sgpr_count:     4
    .sgpr_spill_count: 0
    .symbol:         _ZN7rocprim17ROCPRIM_400000_NS6detail17trampoline_kernelINS0_14default_configENS1_20scan_config_selectorIiEEZZNS1_9scan_implILNS1_25lookback_scan_determinismE0ELb0ELb0ES3_N6thrust23THRUST_200600_302600_NS6detail15normal_iteratorINS9_10device_ptrIiEEEESE_i11max_functorIiEiEEDaPvRmT3_T4_T5_mT6_P12ihipStream_tbENKUlT_T0_E_clISt17integral_constantIbLb0EEST_IbLb1EEEEDaSP_SQ_EUlSP_E_NS1_11comp_targetILNS1_3genE3ELNS1_11target_archE908ELNS1_3gpuE7ELNS1_3repE0EEENS1_30default_config_static_selectorELNS0_4arch9wavefront6targetE1EEEvT1_.kd
    .uniform_work_group_size: 1
    .uses_dynamic_stack: false
    .vgpr_count:     0
    .vgpr_spill_count: 0
    .wavefront_size: 64
  - .agpr_count:     0
    .args:
      - .offset:         0
        .size:           96
        .value_kind:     by_value
    .group_segment_fixed_size: 0
    .kernarg_segment_align: 8
    .kernarg_segment_size: 96
    .language:       OpenCL C
    .language_version:
      - 2
      - 0
    .max_flat_workgroup_size: 256
    .name:           _ZN7rocprim17ROCPRIM_400000_NS6detail17trampoline_kernelINS0_14default_configENS1_20scan_config_selectorIiEEZZNS1_9scan_implILNS1_25lookback_scan_determinismE0ELb0ELb0ES3_N6thrust23THRUST_200600_302600_NS6detail15normal_iteratorINS9_10device_ptrIiEEEESE_i11max_functorIiEiEEDaPvRmT3_T4_T5_mT6_P12ihipStream_tbENKUlT_T0_E_clISt17integral_constantIbLb0EEST_IbLb1EEEEDaSP_SQ_EUlSP_E_NS1_11comp_targetILNS1_3genE2ELNS1_11target_archE906ELNS1_3gpuE6ELNS1_3repE0EEENS1_30default_config_static_selectorELNS0_4arch9wavefront6targetE1EEEvT1_
    .private_segment_fixed_size: 0
    .sgpr_count:     4
    .sgpr_spill_count: 0
    .symbol:         _ZN7rocprim17ROCPRIM_400000_NS6detail17trampoline_kernelINS0_14default_configENS1_20scan_config_selectorIiEEZZNS1_9scan_implILNS1_25lookback_scan_determinismE0ELb0ELb0ES3_N6thrust23THRUST_200600_302600_NS6detail15normal_iteratorINS9_10device_ptrIiEEEESE_i11max_functorIiEiEEDaPvRmT3_T4_T5_mT6_P12ihipStream_tbENKUlT_T0_E_clISt17integral_constantIbLb0EEST_IbLb1EEEEDaSP_SQ_EUlSP_E_NS1_11comp_targetILNS1_3genE2ELNS1_11target_archE906ELNS1_3gpuE6ELNS1_3repE0EEENS1_30default_config_static_selectorELNS0_4arch9wavefront6targetE1EEEvT1_.kd
    .uniform_work_group_size: 1
    .uses_dynamic_stack: false
    .vgpr_count:     0
    .vgpr_spill_count: 0
    .wavefront_size: 64
  - .agpr_count:     0
    .args:
      - .offset:         0
        .size:           96
        .value_kind:     by_value
    .group_segment_fixed_size: 0
    .kernarg_segment_align: 8
    .kernarg_segment_size: 96
    .language:       OpenCL C
    .language_version:
      - 2
      - 0
    .max_flat_workgroup_size: 256
    .name:           _ZN7rocprim17ROCPRIM_400000_NS6detail17trampoline_kernelINS0_14default_configENS1_20scan_config_selectorIiEEZZNS1_9scan_implILNS1_25lookback_scan_determinismE0ELb0ELb0ES3_N6thrust23THRUST_200600_302600_NS6detail15normal_iteratorINS9_10device_ptrIiEEEESE_i11max_functorIiEiEEDaPvRmT3_T4_T5_mT6_P12ihipStream_tbENKUlT_T0_E_clISt17integral_constantIbLb0EEST_IbLb1EEEEDaSP_SQ_EUlSP_E_NS1_11comp_targetILNS1_3genE10ELNS1_11target_archE1201ELNS1_3gpuE5ELNS1_3repE0EEENS1_30default_config_static_selectorELNS0_4arch9wavefront6targetE1EEEvT1_
    .private_segment_fixed_size: 0
    .sgpr_count:     4
    .sgpr_spill_count: 0
    .symbol:         _ZN7rocprim17ROCPRIM_400000_NS6detail17trampoline_kernelINS0_14default_configENS1_20scan_config_selectorIiEEZZNS1_9scan_implILNS1_25lookback_scan_determinismE0ELb0ELb0ES3_N6thrust23THRUST_200600_302600_NS6detail15normal_iteratorINS9_10device_ptrIiEEEESE_i11max_functorIiEiEEDaPvRmT3_T4_T5_mT6_P12ihipStream_tbENKUlT_T0_E_clISt17integral_constantIbLb0EEST_IbLb1EEEEDaSP_SQ_EUlSP_E_NS1_11comp_targetILNS1_3genE10ELNS1_11target_archE1201ELNS1_3gpuE5ELNS1_3repE0EEENS1_30default_config_static_selectorELNS0_4arch9wavefront6targetE1EEEvT1_.kd
    .uniform_work_group_size: 1
    .uses_dynamic_stack: false
    .vgpr_count:     0
    .vgpr_spill_count: 0
    .wavefront_size: 64
  - .agpr_count:     0
    .args:
      - .offset:         0
        .size:           96
        .value_kind:     by_value
    .group_segment_fixed_size: 0
    .kernarg_segment_align: 8
    .kernarg_segment_size: 96
    .language:       OpenCL C
    .language_version:
      - 2
      - 0
    .max_flat_workgroup_size: 256
    .name:           _ZN7rocprim17ROCPRIM_400000_NS6detail17trampoline_kernelINS0_14default_configENS1_20scan_config_selectorIiEEZZNS1_9scan_implILNS1_25lookback_scan_determinismE0ELb0ELb0ES3_N6thrust23THRUST_200600_302600_NS6detail15normal_iteratorINS9_10device_ptrIiEEEESE_i11max_functorIiEiEEDaPvRmT3_T4_T5_mT6_P12ihipStream_tbENKUlT_T0_E_clISt17integral_constantIbLb0EEST_IbLb1EEEEDaSP_SQ_EUlSP_E_NS1_11comp_targetILNS1_3genE10ELNS1_11target_archE1200ELNS1_3gpuE4ELNS1_3repE0EEENS1_30default_config_static_selectorELNS0_4arch9wavefront6targetE1EEEvT1_
    .private_segment_fixed_size: 0
    .sgpr_count:     4
    .sgpr_spill_count: 0
    .symbol:         _ZN7rocprim17ROCPRIM_400000_NS6detail17trampoline_kernelINS0_14default_configENS1_20scan_config_selectorIiEEZZNS1_9scan_implILNS1_25lookback_scan_determinismE0ELb0ELb0ES3_N6thrust23THRUST_200600_302600_NS6detail15normal_iteratorINS9_10device_ptrIiEEEESE_i11max_functorIiEiEEDaPvRmT3_T4_T5_mT6_P12ihipStream_tbENKUlT_T0_E_clISt17integral_constantIbLb0EEST_IbLb1EEEEDaSP_SQ_EUlSP_E_NS1_11comp_targetILNS1_3genE10ELNS1_11target_archE1200ELNS1_3gpuE4ELNS1_3repE0EEENS1_30default_config_static_selectorELNS0_4arch9wavefront6targetE1EEEvT1_.kd
    .uniform_work_group_size: 1
    .uses_dynamic_stack: false
    .vgpr_count:     0
    .vgpr_spill_count: 0
    .wavefront_size: 64
  - .agpr_count:     0
    .args:
      - .offset:         0
        .size:           96
        .value_kind:     by_value
    .group_segment_fixed_size: 0
    .kernarg_segment_align: 8
    .kernarg_segment_size: 96
    .language:       OpenCL C
    .language_version:
      - 2
      - 0
    .max_flat_workgroup_size: 256
    .name:           _ZN7rocprim17ROCPRIM_400000_NS6detail17trampoline_kernelINS0_14default_configENS1_20scan_config_selectorIiEEZZNS1_9scan_implILNS1_25lookback_scan_determinismE0ELb0ELb0ES3_N6thrust23THRUST_200600_302600_NS6detail15normal_iteratorINS9_10device_ptrIiEEEESE_i11max_functorIiEiEEDaPvRmT3_T4_T5_mT6_P12ihipStream_tbENKUlT_T0_E_clISt17integral_constantIbLb0EEST_IbLb1EEEEDaSP_SQ_EUlSP_E_NS1_11comp_targetILNS1_3genE9ELNS1_11target_archE1100ELNS1_3gpuE3ELNS1_3repE0EEENS1_30default_config_static_selectorELNS0_4arch9wavefront6targetE1EEEvT1_
    .private_segment_fixed_size: 0
    .sgpr_count:     4
    .sgpr_spill_count: 0
    .symbol:         _ZN7rocprim17ROCPRIM_400000_NS6detail17trampoline_kernelINS0_14default_configENS1_20scan_config_selectorIiEEZZNS1_9scan_implILNS1_25lookback_scan_determinismE0ELb0ELb0ES3_N6thrust23THRUST_200600_302600_NS6detail15normal_iteratorINS9_10device_ptrIiEEEESE_i11max_functorIiEiEEDaPvRmT3_T4_T5_mT6_P12ihipStream_tbENKUlT_T0_E_clISt17integral_constantIbLb0EEST_IbLb1EEEEDaSP_SQ_EUlSP_E_NS1_11comp_targetILNS1_3genE9ELNS1_11target_archE1100ELNS1_3gpuE3ELNS1_3repE0EEENS1_30default_config_static_selectorELNS0_4arch9wavefront6targetE1EEEvT1_.kd
    .uniform_work_group_size: 1
    .uses_dynamic_stack: false
    .vgpr_count:     0
    .vgpr_spill_count: 0
    .wavefront_size: 64
  - .agpr_count:     0
    .args:
      - .offset:         0
        .size:           96
        .value_kind:     by_value
    .group_segment_fixed_size: 0
    .kernarg_segment_align: 8
    .kernarg_segment_size: 96
    .language:       OpenCL C
    .language_version:
      - 2
      - 0
    .max_flat_workgroup_size: 64
    .name:           _ZN7rocprim17ROCPRIM_400000_NS6detail17trampoline_kernelINS0_14default_configENS1_20scan_config_selectorIiEEZZNS1_9scan_implILNS1_25lookback_scan_determinismE0ELb0ELb0ES3_N6thrust23THRUST_200600_302600_NS6detail15normal_iteratorINS9_10device_ptrIiEEEESE_i11max_functorIiEiEEDaPvRmT3_T4_T5_mT6_P12ihipStream_tbENKUlT_T0_E_clISt17integral_constantIbLb0EEST_IbLb1EEEEDaSP_SQ_EUlSP_E_NS1_11comp_targetILNS1_3genE8ELNS1_11target_archE1030ELNS1_3gpuE2ELNS1_3repE0EEENS1_30default_config_static_selectorELNS0_4arch9wavefront6targetE1EEEvT1_
    .private_segment_fixed_size: 0
    .sgpr_count:     4
    .sgpr_spill_count: 0
    .symbol:         _ZN7rocprim17ROCPRIM_400000_NS6detail17trampoline_kernelINS0_14default_configENS1_20scan_config_selectorIiEEZZNS1_9scan_implILNS1_25lookback_scan_determinismE0ELb0ELb0ES3_N6thrust23THRUST_200600_302600_NS6detail15normal_iteratorINS9_10device_ptrIiEEEESE_i11max_functorIiEiEEDaPvRmT3_T4_T5_mT6_P12ihipStream_tbENKUlT_T0_E_clISt17integral_constantIbLb0EEST_IbLb1EEEEDaSP_SQ_EUlSP_E_NS1_11comp_targetILNS1_3genE8ELNS1_11target_archE1030ELNS1_3gpuE2ELNS1_3repE0EEENS1_30default_config_static_selectorELNS0_4arch9wavefront6targetE1EEEvT1_.kd
    .uniform_work_group_size: 1
    .uses_dynamic_stack: false
    .vgpr_count:     0
    .vgpr_spill_count: 0
    .wavefront_size: 64
  - .agpr_count:     0
    .args:
      - .offset:         0
        .size:           32
        .value_kind:     by_value
    .group_segment_fixed_size: 0
    .kernarg_segment_align: 8
    .kernarg_segment_size: 32
    .language:       OpenCL C
    .language_version:
      - 2
      - 0
    .max_flat_workgroup_size: 256
    .name:           _ZN7rocprim17ROCPRIM_400000_NS6detail17trampoline_kernelINS0_14default_configENS1_20scan_config_selectorIiEEZZNS1_9scan_implILNS1_25lookback_scan_determinismE0ELb0ELb0ES3_N6thrust23THRUST_200600_302600_NS6detail15normal_iteratorINS9_10device_ptrIiEEEESE_i11max_functorIiEiEEDaPvRmT3_T4_T5_mT6_P12ihipStream_tbENKUlT_T0_E_clISt17integral_constantIbLb0EEST_IbLb1EEEEDaSP_SQ_EUlSP_E0_NS1_11comp_targetILNS1_3genE0ELNS1_11target_archE4294967295ELNS1_3gpuE0ELNS1_3repE0EEENS1_30default_config_static_selectorELNS0_4arch9wavefront6targetE1EEEvT1_
    .private_segment_fixed_size: 0
    .sgpr_count:     4
    .sgpr_spill_count: 0
    .symbol:         _ZN7rocprim17ROCPRIM_400000_NS6detail17trampoline_kernelINS0_14default_configENS1_20scan_config_selectorIiEEZZNS1_9scan_implILNS1_25lookback_scan_determinismE0ELb0ELb0ES3_N6thrust23THRUST_200600_302600_NS6detail15normal_iteratorINS9_10device_ptrIiEEEESE_i11max_functorIiEiEEDaPvRmT3_T4_T5_mT6_P12ihipStream_tbENKUlT_T0_E_clISt17integral_constantIbLb0EEST_IbLb1EEEEDaSP_SQ_EUlSP_E0_NS1_11comp_targetILNS1_3genE0ELNS1_11target_archE4294967295ELNS1_3gpuE0ELNS1_3repE0EEENS1_30default_config_static_selectorELNS0_4arch9wavefront6targetE1EEEvT1_.kd
    .uniform_work_group_size: 1
    .uses_dynamic_stack: false
    .vgpr_count:     0
    .vgpr_spill_count: 0
    .wavefront_size: 64
  - .agpr_count:     0
    .args:
      - .offset:         0
        .size:           32
        .value_kind:     by_value
    .group_segment_fixed_size: 0
    .kernarg_segment_align: 8
    .kernarg_segment_size: 32
    .language:       OpenCL C
    .language_version:
      - 2
      - 0
    .max_flat_workgroup_size: 256
    .name:           _ZN7rocprim17ROCPRIM_400000_NS6detail17trampoline_kernelINS0_14default_configENS1_20scan_config_selectorIiEEZZNS1_9scan_implILNS1_25lookback_scan_determinismE0ELb0ELb0ES3_N6thrust23THRUST_200600_302600_NS6detail15normal_iteratorINS9_10device_ptrIiEEEESE_i11max_functorIiEiEEDaPvRmT3_T4_T5_mT6_P12ihipStream_tbENKUlT_T0_E_clISt17integral_constantIbLb0EEST_IbLb1EEEEDaSP_SQ_EUlSP_E0_NS1_11comp_targetILNS1_3genE5ELNS1_11target_archE942ELNS1_3gpuE9ELNS1_3repE0EEENS1_30default_config_static_selectorELNS0_4arch9wavefront6targetE1EEEvT1_
    .private_segment_fixed_size: 0
    .sgpr_count:     4
    .sgpr_spill_count: 0
    .symbol:         _ZN7rocprim17ROCPRIM_400000_NS6detail17trampoline_kernelINS0_14default_configENS1_20scan_config_selectorIiEEZZNS1_9scan_implILNS1_25lookback_scan_determinismE0ELb0ELb0ES3_N6thrust23THRUST_200600_302600_NS6detail15normal_iteratorINS9_10device_ptrIiEEEESE_i11max_functorIiEiEEDaPvRmT3_T4_T5_mT6_P12ihipStream_tbENKUlT_T0_E_clISt17integral_constantIbLb0EEST_IbLb1EEEEDaSP_SQ_EUlSP_E0_NS1_11comp_targetILNS1_3genE5ELNS1_11target_archE942ELNS1_3gpuE9ELNS1_3repE0EEENS1_30default_config_static_selectorELNS0_4arch9wavefront6targetE1EEEvT1_.kd
    .uniform_work_group_size: 1
    .uses_dynamic_stack: false
    .vgpr_count:     0
    .vgpr_spill_count: 0
    .wavefront_size: 64
  - .agpr_count:     0
    .args:
      - .offset:         0
        .size:           32
        .value_kind:     by_value
    .group_segment_fixed_size: 5120
    .kernarg_segment_align: 8
    .kernarg_segment_size: 32
    .language:       OpenCL C
    .language_version:
      - 2
      - 0
    .max_flat_workgroup_size: 128
    .name:           _ZN7rocprim17ROCPRIM_400000_NS6detail17trampoline_kernelINS0_14default_configENS1_20scan_config_selectorIiEEZZNS1_9scan_implILNS1_25lookback_scan_determinismE0ELb0ELb0ES3_N6thrust23THRUST_200600_302600_NS6detail15normal_iteratorINS9_10device_ptrIiEEEESE_i11max_functorIiEiEEDaPvRmT3_T4_T5_mT6_P12ihipStream_tbENKUlT_T0_E_clISt17integral_constantIbLb0EEST_IbLb1EEEEDaSP_SQ_EUlSP_E0_NS1_11comp_targetILNS1_3genE4ELNS1_11target_archE910ELNS1_3gpuE8ELNS1_3repE0EEENS1_30default_config_static_selectorELNS0_4arch9wavefront6targetE1EEEvT1_
    .private_segment_fixed_size: 0
    .sgpr_count:     28
    .sgpr_spill_count: 0
    .symbol:         _ZN7rocprim17ROCPRIM_400000_NS6detail17trampoline_kernelINS0_14default_configENS1_20scan_config_selectorIiEEZZNS1_9scan_implILNS1_25lookback_scan_determinismE0ELb0ELb0ES3_N6thrust23THRUST_200600_302600_NS6detail15normal_iteratorINS9_10device_ptrIiEEEESE_i11max_functorIiEiEEDaPvRmT3_T4_T5_mT6_P12ihipStream_tbENKUlT_T0_E_clISt17integral_constantIbLb0EEST_IbLb1EEEEDaSP_SQ_EUlSP_E0_NS1_11comp_targetILNS1_3genE4ELNS1_11target_archE910ELNS1_3gpuE8ELNS1_3repE0EEENS1_30default_config_static_selectorELNS0_4arch9wavefront6targetE1EEEvT1_.kd
    .uniform_work_group_size: 1
    .uses_dynamic_stack: false
    .vgpr_count:     28
    .vgpr_spill_count: 0
    .wavefront_size: 64
  - .agpr_count:     0
    .args:
      - .offset:         0
        .size:           32
        .value_kind:     by_value
    .group_segment_fixed_size: 0
    .kernarg_segment_align: 8
    .kernarg_segment_size: 32
    .language:       OpenCL C
    .language_version:
      - 2
      - 0
    .max_flat_workgroup_size: 256
    .name:           _ZN7rocprim17ROCPRIM_400000_NS6detail17trampoline_kernelINS0_14default_configENS1_20scan_config_selectorIiEEZZNS1_9scan_implILNS1_25lookback_scan_determinismE0ELb0ELb0ES3_N6thrust23THRUST_200600_302600_NS6detail15normal_iteratorINS9_10device_ptrIiEEEESE_i11max_functorIiEiEEDaPvRmT3_T4_T5_mT6_P12ihipStream_tbENKUlT_T0_E_clISt17integral_constantIbLb0EEST_IbLb1EEEEDaSP_SQ_EUlSP_E0_NS1_11comp_targetILNS1_3genE3ELNS1_11target_archE908ELNS1_3gpuE7ELNS1_3repE0EEENS1_30default_config_static_selectorELNS0_4arch9wavefront6targetE1EEEvT1_
    .private_segment_fixed_size: 0
    .sgpr_count:     4
    .sgpr_spill_count: 0
    .symbol:         _ZN7rocprim17ROCPRIM_400000_NS6detail17trampoline_kernelINS0_14default_configENS1_20scan_config_selectorIiEEZZNS1_9scan_implILNS1_25lookback_scan_determinismE0ELb0ELb0ES3_N6thrust23THRUST_200600_302600_NS6detail15normal_iteratorINS9_10device_ptrIiEEEESE_i11max_functorIiEiEEDaPvRmT3_T4_T5_mT6_P12ihipStream_tbENKUlT_T0_E_clISt17integral_constantIbLb0EEST_IbLb1EEEEDaSP_SQ_EUlSP_E0_NS1_11comp_targetILNS1_3genE3ELNS1_11target_archE908ELNS1_3gpuE7ELNS1_3repE0EEENS1_30default_config_static_selectorELNS0_4arch9wavefront6targetE1EEEvT1_.kd
    .uniform_work_group_size: 1
    .uses_dynamic_stack: false
    .vgpr_count:     0
    .vgpr_spill_count: 0
    .wavefront_size: 64
  - .agpr_count:     0
    .args:
      - .offset:         0
        .size:           32
        .value_kind:     by_value
    .group_segment_fixed_size: 0
    .kernarg_segment_align: 8
    .kernarg_segment_size: 32
    .language:       OpenCL C
    .language_version:
      - 2
      - 0
    .max_flat_workgroup_size: 256
    .name:           _ZN7rocprim17ROCPRIM_400000_NS6detail17trampoline_kernelINS0_14default_configENS1_20scan_config_selectorIiEEZZNS1_9scan_implILNS1_25lookback_scan_determinismE0ELb0ELb0ES3_N6thrust23THRUST_200600_302600_NS6detail15normal_iteratorINS9_10device_ptrIiEEEESE_i11max_functorIiEiEEDaPvRmT3_T4_T5_mT6_P12ihipStream_tbENKUlT_T0_E_clISt17integral_constantIbLb0EEST_IbLb1EEEEDaSP_SQ_EUlSP_E0_NS1_11comp_targetILNS1_3genE2ELNS1_11target_archE906ELNS1_3gpuE6ELNS1_3repE0EEENS1_30default_config_static_selectorELNS0_4arch9wavefront6targetE1EEEvT1_
    .private_segment_fixed_size: 0
    .sgpr_count:     4
    .sgpr_spill_count: 0
    .symbol:         _ZN7rocprim17ROCPRIM_400000_NS6detail17trampoline_kernelINS0_14default_configENS1_20scan_config_selectorIiEEZZNS1_9scan_implILNS1_25lookback_scan_determinismE0ELb0ELb0ES3_N6thrust23THRUST_200600_302600_NS6detail15normal_iteratorINS9_10device_ptrIiEEEESE_i11max_functorIiEiEEDaPvRmT3_T4_T5_mT6_P12ihipStream_tbENKUlT_T0_E_clISt17integral_constantIbLb0EEST_IbLb1EEEEDaSP_SQ_EUlSP_E0_NS1_11comp_targetILNS1_3genE2ELNS1_11target_archE906ELNS1_3gpuE6ELNS1_3repE0EEENS1_30default_config_static_selectorELNS0_4arch9wavefront6targetE1EEEvT1_.kd
    .uniform_work_group_size: 1
    .uses_dynamic_stack: false
    .vgpr_count:     0
    .vgpr_spill_count: 0
    .wavefront_size: 64
  - .agpr_count:     0
    .args:
      - .offset:         0
        .size:           32
        .value_kind:     by_value
    .group_segment_fixed_size: 0
    .kernarg_segment_align: 8
    .kernarg_segment_size: 32
    .language:       OpenCL C
    .language_version:
      - 2
      - 0
    .max_flat_workgroup_size: 256
    .name:           _ZN7rocprim17ROCPRIM_400000_NS6detail17trampoline_kernelINS0_14default_configENS1_20scan_config_selectorIiEEZZNS1_9scan_implILNS1_25lookback_scan_determinismE0ELb0ELb0ES3_N6thrust23THRUST_200600_302600_NS6detail15normal_iteratorINS9_10device_ptrIiEEEESE_i11max_functorIiEiEEDaPvRmT3_T4_T5_mT6_P12ihipStream_tbENKUlT_T0_E_clISt17integral_constantIbLb0EEST_IbLb1EEEEDaSP_SQ_EUlSP_E0_NS1_11comp_targetILNS1_3genE10ELNS1_11target_archE1201ELNS1_3gpuE5ELNS1_3repE0EEENS1_30default_config_static_selectorELNS0_4arch9wavefront6targetE1EEEvT1_
    .private_segment_fixed_size: 0
    .sgpr_count:     4
    .sgpr_spill_count: 0
    .symbol:         _ZN7rocprim17ROCPRIM_400000_NS6detail17trampoline_kernelINS0_14default_configENS1_20scan_config_selectorIiEEZZNS1_9scan_implILNS1_25lookback_scan_determinismE0ELb0ELb0ES3_N6thrust23THRUST_200600_302600_NS6detail15normal_iteratorINS9_10device_ptrIiEEEESE_i11max_functorIiEiEEDaPvRmT3_T4_T5_mT6_P12ihipStream_tbENKUlT_T0_E_clISt17integral_constantIbLb0EEST_IbLb1EEEEDaSP_SQ_EUlSP_E0_NS1_11comp_targetILNS1_3genE10ELNS1_11target_archE1201ELNS1_3gpuE5ELNS1_3repE0EEENS1_30default_config_static_selectorELNS0_4arch9wavefront6targetE1EEEvT1_.kd
    .uniform_work_group_size: 1
    .uses_dynamic_stack: false
    .vgpr_count:     0
    .vgpr_spill_count: 0
    .wavefront_size: 64
  - .agpr_count:     0
    .args:
      - .offset:         0
        .size:           32
        .value_kind:     by_value
    .group_segment_fixed_size: 0
    .kernarg_segment_align: 8
    .kernarg_segment_size: 32
    .language:       OpenCL C
    .language_version:
      - 2
      - 0
    .max_flat_workgroup_size: 256
    .name:           _ZN7rocprim17ROCPRIM_400000_NS6detail17trampoline_kernelINS0_14default_configENS1_20scan_config_selectorIiEEZZNS1_9scan_implILNS1_25lookback_scan_determinismE0ELb0ELb0ES3_N6thrust23THRUST_200600_302600_NS6detail15normal_iteratorINS9_10device_ptrIiEEEESE_i11max_functorIiEiEEDaPvRmT3_T4_T5_mT6_P12ihipStream_tbENKUlT_T0_E_clISt17integral_constantIbLb0EEST_IbLb1EEEEDaSP_SQ_EUlSP_E0_NS1_11comp_targetILNS1_3genE10ELNS1_11target_archE1200ELNS1_3gpuE4ELNS1_3repE0EEENS1_30default_config_static_selectorELNS0_4arch9wavefront6targetE1EEEvT1_
    .private_segment_fixed_size: 0
    .sgpr_count:     4
    .sgpr_spill_count: 0
    .symbol:         _ZN7rocprim17ROCPRIM_400000_NS6detail17trampoline_kernelINS0_14default_configENS1_20scan_config_selectorIiEEZZNS1_9scan_implILNS1_25lookback_scan_determinismE0ELb0ELb0ES3_N6thrust23THRUST_200600_302600_NS6detail15normal_iteratorINS9_10device_ptrIiEEEESE_i11max_functorIiEiEEDaPvRmT3_T4_T5_mT6_P12ihipStream_tbENKUlT_T0_E_clISt17integral_constantIbLb0EEST_IbLb1EEEEDaSP_SQ_EUlSP_E0_NS1_11comp_targetILNS1_3genE10ELNS1_11target_archE1200ELNS1_3gpuE4ELNS1_3repE0EEENS1_30default_config_static_selectorELNS0_4arch9wavefront6targetE1EEEvT1_.kd
    .uniform_work_group_size: 1
    .uses_dynamic_stack: false
    .vgpr_count:     0
    .vgpr_spill_count: 0
    .wavefront_size: 64
  - .agpr_count:     0
    .args:
      - .offset:         0
        .size:           32
        .value_kind:     by_value
    .group_segment_fixed_size: 0
    .kernarg_segment_align: 8
    .kernarg_segment_size: 32
    .language:       OpenCL C
    .language_version:
      - 2
      - 0
    .max_flat_workgroup_size: 256
    .name:           _ZN7rocprim17ROCPRIM_400000_NS6detail17trampoline_kernelINS0_14default_configENS1_20scan_config_selectorIiEEZZNS1_9scan_implILNS1_25lookback_scan_determinismE0ELb0ELb0ES3_N6thrust23THRUST_200600_302600_NS6detail15normal_iteratorINS9_10device_ptrIiEEEESE_i11max_functorIiEiEEDaPvRmT3_T4_T5_mT6_P12ihipStream_tbENKUlT_T0_E_clISt17integral_constantIbLb0EEST_IbLb1EEEEDaSP_SQ_EUlSP_E0_NS1_11comp_targetILNS1_3genE9ELNS1_11target_archE1100ELNS1_3gpuE3ELNS1_3repE0EEENS1_30default_config_static_selectorELNS0_4arch9wavefront6targetE1EEEvT1_
    .private_segment_fixed_size: 0
    .sgpr_count:     4
    .sgpr_spill_count: 0
    .symbol:         _ZN7rocprim17ROCPRIM_400000_NS6detail17trampoline_kernelINS0_14default_configENS1_20scan_config_selectorIiEEZZNS1_9scan_implILNS1_25lookback_scan_determinismE0ELb0ELb0ES3_N6thrust23THRUST_200600_302600_NS6detail15normal_iteratorINS9_10device_ptrIiEEEESE_i11max_functorIiEiEEDaPvRmT3_T4_T5_mT6_P12ihipStream_tbENKUlT_T0_E_clISt17integral_constantIbLb0EEST_IbLb1EEEEDaSP_SQ_EUlSP_E0_NS1_11comp_targetILNS1_3genE9ELNS1_11target_archE1100ELNS1_3gpuE3ELNS1_3repE0EEENS1_30default_config_static_selectorELNS0_4arch9wavefront6targetE1EEEvT1_.kd
    .uniform_work_group_size: 1
    .uses_dynamic_stack: false
    .vgpr_count:     0
    .vgpr_spill_count: 0
    .wavefront_size: 64
  - .agpr_count:     0
    .args:
      - .offset:         0
        .size:           32
        .value_kind:     by_value
    .group_segment_fixed_size: 0
    .kernarg_segment_align: 8
    .kernarg_segment_size: 32
    .language:       OpenCL C
    .language_version:
      - 2
      - 0
    .max_flat_workgroup_size: 64
    .name:           _ZN7rocprim17ROCPRIM_400000_NS6detail17trampoline_kernelINS0_14default_configENS1_20scan_config_selectorIiEEZZNS1_9scan_implILNS1_25lookback_scan_determinismE0ELb0ELb0ES3_N6thrust23THRUST_200600_302600_NS6detail15normal_iteratorINS9_10device_ptrIiEEEESE_i11max_functorIiEiEEDaPvRmT3_T4_T5_mT6_P12ihipStream_tbENKUlT_T0_E_clISt17integral_constantIbLb0EEST_IbLb1EEEEDaSP_SQ_EUlSP_E0_NS1_11comp_targetILNS1_3genE8ELNS1_11target_archE1030ELNS1_3gpuE2ELNS1_3repE0EEENS1_30default_config_static_selectorELNS0_4arch9wavefront6targetE1EEEvT1_
    .private_segment_fixed_size: 0
    .sgpr_count:     4
    .sgpr_spill_count: 0
    .symbol:         _ZN7rocprim17ROCPRIM_400000_NS6detail17trampoline_kernelINS0_14default_configENS1_20scan_config_selectorIiEEZZNS1_9scan_implILNS1_25lookback_scan_determinismE0ELb0ELb0ES3_N6thrust23THRUST_200600_302600_NS6detail15normal_iteratorINS9_10device_ptrIiEEEESE_i11max_functorIiEiEEDaPvRmT3_T4_T5_mT6_P12ihipStream_tbENKUlT_T0_E_clISt17integral_constantIbLb0EEST_IbLb1EEEEDaSP_SQ_EUlSP_E0_NS1_11comp_targetILNS1_3genE8ELNS1_11target_archE1030ELNS1_3gpuE2ELNS1_3repE0EEENS1_30default_config_static_selectorELNS0_4arch9wavefront6targetE1EEEvT1_.kd
    .uniform_work_group_size: 1
    .uses_dynamic_stack: false
    .vgpr_count:     0
    .vgpr_spill_count: 0
    .wavefront_size: 64
  - .agpr_count:     0
    .args:
      - .offset:         0
        .size:           96
        .value_kind:     by_value
    .group_segment_fixed_size: 0
    .kernarg_segment_align: 8
    .kernarg_segment_size: 96
    .language:       OpenCL C
    .language_version:
      - 2
      - 0
    .max_flat_workgroup_size: 256
    .name:           _ZN7rocprim17ROCPRIM_400000_NS6detail17trampoline_kernelINS0_14default_configENS1_20scan_config_selectorIiEEZZNS1_9scan_implILNS1_25lookback_scan_determinismE0ELb1ELb1ES3_N6thrust23THRUST_200600_302600_NS6detail15normal_iteratorINS9_10device_ptrIiEEEESE_i11max_functorIiEiEEDaPvRmT3_T4_T5_mT6_P12ihipStream_tbENKUlT_T0_E_clISt17integral_constantIbLb0EESU_EEDaSP_SQ_EUlSP_E_NS1_11comp_targetILNS1_3genE0ELNS1_11target_archE4294967295ELNS1_3gpuE0ELNS1_3repE0EEENS1_30default_config_static_selectorELNS0_4arch9wavefront6targetE1EEEvT1_
    .private_segment_fixed_size: 0
    .sgpr_count:     4
    .sgpr_spill_count: 0
    .symbol:         _ZN7rocprim17ROCPRIM_400000_NS6detail17trampoline_kernelINS0_14default_configENS1_20scan_config_selectorIiEEZZNS1_9scan_implILNS1_25lookback_scan_determinismE0ELb1ELb1ES3_N6thrust23THRUST_200600_302600_NS6detail15normal_iteratorINS9_10device_ptrIiEEEESE_i11max_functorIiEiEEDaPvRmT3_T4_T5_mT6_P12ihipStream_tbENKUlT_T0_E_clISt17integral_constantIbLb0EESU_EEDaSP_SQ_EUlSP_E_NS1_11comp_targetILNS1_3genE0ELNS1_11target_archE4294967295ELNS1_3gpuE0ELNS1_3repE0EEENS1_30default_config_static_selectorELNS0_4arch9wavefront6targetE1EEEvT1_.kd
    .uniform_work_group_size: 1
    .uses_dynamic_stack: false
    .vgpr_count:     0
    .vgpr_spill_count: 0
    .wavefront_size: 64
  - .agpr_count:     0
    .args:
      - .offset:         0
        .size:           96
        .value_kind:     by_value
    .group_segment_fixed_size: 0
    .kernarg_segment_align: 8
    .kernarg_segment_size: 96
    .language:       OpenCL C
    .language_version:
      - 2
      - 0
    .max_flat_workgroup_size: 256
    .name:           _ZN7rocprim17ROCPRIM_400000_NS6detail17trampoline_kernelINS0_14default_configENS1_20scan_config_selectorIiEEZZNS1_9scan_implILNS1_25lookback_scan_determinismE0ELb1ELb1ES3_N6thrust23THRUST_200600_302600_NS6detail15normal_iteratorINS9_10device_ptrIiEEEESE_i11max_functorIiEiEEDaPvRmT3_T4_T5_mT6_P12ihipStream_tbENKUlT_T0_E_clISt17integral_constantIbLb0EESU_EEDaSP_SQ_EUlSP_E_NS1_11comp_targetILNS1_3genE5ELNS1_11target_archE942ELNS1_3gpuE9ELNS1_3repE0EEENS1_30default_config_static_selectorELNS0_4arch9wavefront6targetE1EEEvT1_
    .private_segment_fixed_size: 0
    .sgpr_count:     4
    .sgpr_spill_count: 0
    .symbol:         _ZN7rocprim17ROCPRIM_400000_NS6detail17trampoline_kernelINS0_14default_configENS1_20scan_config_selectorIiEEZZNS1_9scan_implILNS1_25lookback_scan_determinismE0ELb1ELb1ES3_N6thrust23THRUST_200600_302600_NS6detail15normal_iteratorINS9_10device_ptrIiEEEESE_i11max_functorIiEiEEDaPvRmT3_T4_T5_mT6_P12ihipStream_tbENKUlT_T0_E_clISt17integral_constantIbLb0EESU_EEDaSP_SQ_EUlSP_E_NS1_11comp_targetILNS1_3genE5ELNS1_11target_archE942ELNS1_3gpuE9ELNS1_3repE0EEENS1_30default_config_static_selectorELNS0_4arch9wavefront6targetE1EEEvT1_.kd
    .uniform_work_group_size: 1
    .uses_dynamic_stack: false
    .vgpr_count:     0
    .vgpr_spill_count: 0
    .wavefront_size: 64
  - .agpr_count:     0
    .args:
      - .offset:         0
        .size:           96
        .value_kind:     by_value
    .group_segment_fixed_size: 5120
    .kernarg_segment_align: 8
    .kernarg_segment_size: 96
    .language:       OpenCL C
    .language_version:
      - 2
      - 0
    .max_flat_workgroup_size: 128
    .name:           _ZN7rocprim17ROCPRIM_400000_NS6detail17trampoline_kernelINS0_14default_configENS1_20scan_config_selectorIiEEZZNS1_9scan_implILNS1_25lookback_scan_determinismE0ELb1ELb1ES3_N6thrust23THRUST_200600_302600_NS6detail15normal_iteratorINS9_10device_ptrIiEEEESE_i11max_functorIiEiEEDaPvRmT3_T4_T5_mT6_P12ihipStream_tbENKUlT_T0_E_clISt17integral_constantIbLb0EESU_EEDaSP_SQ_EUlSP_E_NS1_11comp_targetILNS1_3genE4ELNS1_11target_archE910ELNS1_3gpuE8ELNS1_3repE0EEENS1_30default_config_static_selectorELNS0_4arch9wavefront6targetE1EEEvT1_
    .private_segment_fixed_size: 0
    .sgpr_count:     33
    .sgpr_spill_count: 0
    .symbol:         _ZN7rocprim17ROCPRIM_400000_NS6detail17trampoline_kernelINS0_14default_configENS1_20scan_config_selectorIiEEZZNS1_9scan_implILNS1_25lookback_scan_determinismE0ELb1ELb1ES3_N6thrust23THRUST_200600_302600_NS6detail15normal_iteratorINS9_10device_ptrIiEEEESE_i11max_functorIiEiEEDaPvRmT3_T4_T5_mT6_P12ihipStream_tbENKUlT_T0_E_clISt17integral_constantIbLb0EESU_EEDaSP_SQ_EUlSP_E_NS1_11comp_targetILNS1_3genE4ELNS1_11target_archE910ELNS1_3gpuE8ELNS1_3repE0EEENS1_30default_config_static_selectorELNS0_4arch9wavefront6targetE1EEEvT1_.kd
    .uniform_work_group_size: 1
    .uses_dynamic_stack: false
    .vgpr_count:     41
    .vgpr_spill_count: 0
    .wavefront_size: 64
  - .agpr_count:     0
    .args:
      - .offset:         0
        .size:           96
        .value_kind:     by_value
    .group_segment_fixed_size: 0
    .kernarg_segment_align: 8
    .kernarg_segment_size: 96
    .language:       OpenCL C
    .language_version:
      - 2
      - 0
    .max_flat_workgroup_size: 256
    .name:           _ZN7rocprim17ROCPRIM_400000_NS6detail17trampoline_kernelINS0_14default_configENS1_20scan_config_selectorIiEEZZNS1_9scan_implILNS1_25lookback_scan_determinismE0ELb1ELb1ES3_N6thrust23THRUST_200600_302600_NS6detail15normal_iteratorINS9_10device_ptrIiEEEESE_i11max_functorIiEiEEDaPvRmT3_T4_T5_mT6_P12ihipStream_tbENKUlT_T0_E_clISt17integral_constantIbLb0EESU_EEDaSP_SQ_EUlSP_E_NS1_11comp_targetILNS1_3genE3ELNS1_11target_archE908ELNS1_3gpuE7ELNS1_3repE0EEENS1_30default_config_static_selectorELNS0_4arch9wavefront6targetE1EEEvT1_
    .private_segment_fixed_size: 0
    .sgpr_count:     4
    .sgpr_spill_count: 0
    .symbol:         _ZN7rocprim17ROCPRIM_400000_NS6detail17trampoline_kernelINS0_14default_configENS1_20scan_config_selectorIiEEZZNS1_9scan_implILNS1_25lookback_scan_determinismE0ELb1ELb1ES3_N6thrust23THRUST_200600_302600_NS6detail15normal_iteratorINS9_10device_ptrIiEEEESE_i11max_functorIiEiEEDaPvRmT3_T4_T5_mT6_P12ihipStream_tbENKUlT_T0_E_clISt17integral_constantIbLb0EESU_EEDaSP_SQ_EUlSP_E_NS1_11comp_targetILNS1_3genE3ELNS1_11target_archE908ELNS1_3gpuE7ELNS1_3repE0EEENS1_30default_config_static_selectorELNS0_4arch9wavefront6targetE1EEEvT1_.kd
    .uniform_work_group_size: 1
    .uses_dynamic_stack: false
    .vgpr_count:     0
    .vgpr_spill_count: 0
    .wavefront_size: 64
  - .agpr_count:     0
    .args:
      - .offset:         0
        .size:           96
        .value_kind:     by_value
    .group_segment_fixed_size: 0
    .kernarg_segment_align: 8
    .kernarg_segment_size: 96
    .language:       OpenCL C
    .language_version:
      - 2
      - 0
    .max_flat_workgroup_size: 256
    .name:           _ZN7rocprim17ROCPRIM_400000_NS6detail17trampoline_kernelINS0_14default_configENS1_20scan_config_selectorIiEEZZNS1_9scan_implILNS1_25lookback_scan_determinismE0ELb1ELb1ES3_N6thrust23THRUST_200600_302600_NS6detail15normal_iteratorINS9_10device_ptrIiEEEESE_i11max_functorIiEiEEDaPvRmT3_T4_T5_mT6_P12ihipStream_tbENKUlT_T0_E_clISt17integral_constantIbLb0EESU_EEDaSP_SQ_EUlSP_E_NS1_11comp_targetILNS1_3genE2ELNS1_11target_archE906ELNS1_3gpuE6ELNS1_3repE0EEENS1_30default_config_static_selectorELNS0_4arch9wavefront6targetE1EEEvT1_
    .private_segment_fixed_size: 0
    .sgpr_count:     4
    .sgpr_spill_count: 0
    .symbol:         _ZN7rocprim17ROCPRIM_400000_NS6detail17trampoline_kernelINS0_14default_configENS1_20scan_config_selectorIiEEZZNS1_9scan_implILNS1_25lookback_scan_determinismE0ELb1ELb1ES3_N6thrust23THRUST_200600_302600_NS6detail15normal_iteratorINS9_10device_ptrIiEEEESE_i11max_functorIiEiEEDaPvRmT3_T4_T5_mT6_P12ihipStream_tbENKUlT_T0_E_clISt17integral_constantIbLb0EESU_EEDaSP_SQ_EUlSP_E_NS1_11comp_targetILNS1_3genE2ELNS1_11target_archE906ELNS1_3gpuE6ELNS1_3repE0EEENS1_30default_config_static_selectorELNS0_4arch9wavefront6targetE1EEEvT1_.kd
    .uniform_work_group_size: 1
    .uses_dynamic_stack: false
    .vgpr_count:     0
    .vgpr_spill_count: 0
    .wavefront_size: 64
  - .agpr_count:     0
    .args:
      - .offset:         0
        .size:           96
        .value_kind:     by_value
    .group_segment_fixed_size: 0
    .kernarg_segment_align: 8
    .kernarg_segment_size: 96
    .language:       OpenCL C
    .language_version:
      - 2
      - 0
    .max_flat_workgroup_size: 256
    .name:           _ZN7rocprim17ROCPRIM_400000_NS6detail17trampoline_kernelINS0_14default_configENS1_20scan_config_selectorIiEEZZNS1_9scan_implILNS1_25lookback_scan_determinismE0ELb1ELb1ES3_N6thrust23THRUST_200600_302600_NS6detail15normal_iteratorINS9_10device_ptrIiEEEESE_i11max_functorIiEiEEDaPvRmT3_T4_T5_mT6_P12ihipStream_tbENKUlT_T0_E_clISt17integral_constantIbLb0EESU_EEDaSP_SQ_EUlSP_E_NS1_11comp_targetILNS1_3genE10ELNS1_11target_archE1201ELNS1_3gpuE5ELNS1_3repE0EEENS1_30default_config_static_selectorELNS0_4arch9wavefront6targetE1EEEvT1_
    .private_segment_fixed_size: 0
    .sgpr_count:     4
    .sgpr_spill_count: 0
    .symbol:         _ZN7rocprim17ROCPRIM_400000_NS6detail17trampoline_kernelINS0_14default_configENS1_20scan_config_selectorIiEEZZNS1_9scan_implILNS1_25lookback_scan_determinismE0ELb1ELb1ES3_N6thrust23THRUST_200600_302600_NS6detail15normal_iteratorINS9_10device_ptrIiEEEESE_i11max_functorIiEiEEDaPvRmT3_T4_T5_mT6_P12ihipStream_tbENKUlT_T0_E_clISt17integral_constantIbLb0EESU_EEDaSP_SQ_EUlSP_E_NS1_11comp_targetILNS1_3genE10ELNS1_11target_archE1201ELNS1_3gpuE5ELNS1_3repE0EEENS1_30default_config_static_selectorELNS0_4arch9wavefront6targetE1EEEvT1_.kd
    .uniform_work_group_size: 1
    .uses_dynamic_stack: false
    .vgpr_count:     0
    .vgpr_spill_count: 0
    .wavefront_size: 64
  - .agpr_count:     0
    .args:
      - .offset:         0
        .size:           96
        .value_kind:     by_value
    .group_segment_fixed_size: 0
    .kernarg_segment_align: 8
    .kernarg_segment_size: 96
    .language:       OpenCL C
    .language_version:
      - 2
      - 0
    .max_flat_workgroup_size: 256
    .name:           _ZN7rocprim17ROCPRIM_400000_NS6detail17trampoline_kernelINS0_14default_configENS1_20scan_config_selectorIiEEZZNS1_9scan_implILNS1_25lookback_scan_determinismE0ELb1ELb1ES3_N6thrust23THRUST_200600_302600_NS6detail15normal_iteratorINS9_10device_ptrIiEEEESE_i11max_functorIiEiEEDaPvRmT3_T4_T5_mT6_P12ihipStream_tbENKUlT_T0_E_clISt17integral_constantIbLb0EESU_EEDaSP_SQ_EUlSP_E_NS1_11comp_targetILNS1_3genE10ELNS1_11target_archE1200ELNS1_3gpuE4ELNS1_3repE0EEENS1_30default_config_static_selectorELNS0_4arch9wavefront6targetE1EEEvT1_
    .private_segment_fixed_size: 0
    .sgpr_count:     4
    .sgpr_spill_count: 0
    .symbol:         _ZN7rocprim17ROCPRIM_400000_NS6detail17trampoline_kernelINS0_14default_configENS1_20scan_config_selectorIiEEZZNS1_9scan_implILNS1_25lookback_scan_determinismE0ELb1ELb1ES3_N6thrust23THRUST_200600_302600_NS6detail15normal_iteratorINS9_10device_ptrIiEEEESE_i11max_functorIiEiEEDaPvRmT3_T4_T5_mT6_P12ihipStream_tbENKUlT_T0_E_clISt17integral_constantIbLb0EESU_EEDaSP_SQ_EUlSP_E_NS1_11comp_targetILNS1_3genE10ELNS1_11target_archE1200ELNS1_3gpuE4ELNS1_3repE0EEENS1_30default_config_static_selectorELNS0_4arch9wavefront6targetE1EEEvT1_.kd
    .uniform_work_group_size: 1
    .uses_dynamic_stack: false
    .vgpr_count:     0
    .vgpr_spill_count: 0
    .wavefront_size: 64
  - .agpr_count:     0
    .args:
      - .offset:         0
        .size:           96
        .value_kind:     by_value
    .group_segment_fixed_size: 0
    .kernarg_segment_align: 8
    .kernarg_segment_size: 96
    .language:       OpenCL C
    .language_version:
      - 2
      - 0
    .max_flat_workgroup_size: 256
    .name:           _ZN7rocprim17ROCPRIM_400000_NS6detail17trampoline_kernelINS0_14default_configENS1_20scan_config_selectorIiEEZZNS1_9scan_implILNS1_25lookback_scan_determinismE0ELb1ELb1ES3_N6thrust23THRUST_200600_302600_NS6detail15normal_iteratorINS9_10device_ptrIiEEEESE_i11max_functorIiEiEEDaPvRmT3_T4_T5_mT6_P12ihipStream_tbENKUlT_T0_E_clISt17integral_constantIbLb0EESU_EEDaSP_SQ_EUlSP_E_NS1_11comp_targetILNS1_3genE9ELNS1_11target_archE1100ELNS1_3gpuE3ELNS1_3repE0EEENS1_30default_config_static_selectorELNS0_4arch9wavefront6targetE1EEEvT1_
    .private_segment_fixed_size: 0
    .sgpr_count:     4
    .sgpr_spill_count: 0
    .symbol:         _ZN7rocprim17ROCPRIM_400000_NS6detail17trampoline_kernelINS0_14default_configENS1_20scan_config_selectorIiEEZZNS1_9scan_implILNS1_25lookback_scan_determinismE0ELb1ELb1ES3_N6thrust23THRUST_200600_302600_NS6detail15normal_iteratorINS9_10device_ptrIiEEEESE_i11max_functorIiEiEEDaPvRmT3_T4_T5_mT6_P12ihipStream_tbENKUlT_T0_E_clISt17integral_constantIbLb0EESU_EEDaSP_SQ_EUlSP_E_NS1_11comp_targetILNS1_3genE9ELNS1_11target_archE1100ELNS1_3gpuE3ELNS1_3repE0EEENS1_30default_config_static_selectorELNS0_4arch9wavefront6targetE1EEEvT1_.kd
    .uniform_work_group_size: 1
    .uses_dynamic_stack: false
    .vgpr_count:     0
    .vgpr_spill_count: 0
    .wavefront_size: 64
  - .agpr_count:     0
    .args:
      - .offset:         0
        .size:           96
        .value_kind:     by_value
    .group_segment_fixed_size: 0
    .kernarg_segment_align: 8
    .kernarg_segment_size: 96
    .language:       OpenCL C
    .language_version:
      - 2
      - 0
    .max_flat_workgroup_size: 64
    .name:           _ZN7rocprim17ROCPRIM_400000_NS6detail17trampoline_kernelINS0_14default_configENS1_20scan_config_selectorIiEEZZNS1_9scan_implILNS1_25lookback_scan_determinismE0ELb1ELb1ES3_N6thrust23THRUST_200600_302600_NS6detail15normal_iteratorINS9_10device_ptrIiEEEESE_i11max_functorIiEiEEDaPvRmT3_T4_T5_mT6_P12ihipStream_tbENKUlT_T0_E_clISt17integral_constantIbLb0EESU_EEDaSP_SQ_EUlSP_E_NS1_11comp_targetILNS1_3genE8ELNS1_11target_archE1030ELNS1_3gpuE2ELNS1_3repE0EEENS1_30default_config_static_selectorELNS0_4arch9wavefront6targetE1EEEvT1_
    .private_segment_fixed_size: 0
    .sgpr_count:     4
    .sgpr_spill_count: 0
    .symbol:         _ZN7rocprim17ROCPRIM_400000_NS6detail17trampoline_kernelINS0_14default_configENS1_20scan_config_selectorIiEEZZNS1_9scan_implILNS1_25lookback_scan_determinismE0ELb1ELb1ES3_N6thrust23THRUST_200600_302600_NS6detail15normal_iteratorINS9_10device_ptrIiEEEESE_i11max_functorIiEiEEDaPvRmT3_T4_T5_mT6_P12ihipStream_tbENKUlT_T0_E_clISt17integral_constantIbLb0EESU_EEDaSP_SQ_EUlSP_E_NS1_11comp_targetILNS1_3genE8ELNS1_11target_archE1030ELNS1_3gpuE2ELNS1_3repE0EEENS1_30default_config_static_selectorELNS0_4arch9wavefront6targetE1EEEvT1_.kd
    .uniform_work_group_size: 1
    .uses_dynamic_stack: false
    .vgpr_count:     0
    .vgpr_spill_count: 0
    .wavefront_size: 64
  - .agpr_count:     0
    .args:
      - .offset:         0
        .size:           32
        .value_kind:     by_value
    .group_segment_fixed_size: 0
    .kernarg_segment_align: 8
    .kernarg_segment_size: 32
    .language:       OpenCL C
    .language_version:
      - 2
      - 0
    .max_flat_workgroup_size: 256
    .name:           _ZN7rocprim17ROCPRIM_400000_NS6detail17trampoline_kernelINS0_14default_configENS1_20scan_config_selectorIiEEZZNS1_9scan_implILNS1_25lookback_scan_determinismE0ELb1ELb1ES3_N6thrust23THRUST_200600_302600_NS6detail15normal_iteratorINS9_10device_ptrIiEEEESE_i11max_functorIiEiEEDaPvRmT3_T4_T5_mT6_P12ihipStream_tbENKUlT_T0_E_clISt17integral_constantIbLb0EESU_EEDaSP_SQ_EUlSP_E0_NS1_11comp_targetILNS1_3genE0ELNS1_11target_archE4294967295ELNS1_3gpuE0ELNS1_3repE0EEENS1_30default_config_static_selectorELNS0_4arch9wavefront6targetE1EEEvT1_
    .private_segment_fixed_size: 0
    .sgpr_count:     4
    .sgpr_spill_count: 0
    .symbol:         _ZN7rocprim17ROCPRIM_400000_NS6detail17trampoline_kernelINS0_14default_configENS1_20scan_config_selectorIiEEZZNS1_9scan_implILNS1_25lookback_scan_determinismE0ELb1ELb1ES3_N6thrust23THRUST_200600_302600_NS6detail15normal_iteratorINS9_10device_ptrIiEEEESE_i11max_functorIiEiEEDaPvRmT3_T4_T5_mT6_P12ihipStream_tbENKUlT_T0_E_clISt17integral_constantIbLb0EESU_EEDaSP_SQ_EUlSP_E0_NS1_11comp_targetILNS1_3genE0ELNS1_11target_archE4294967295ELNS1_3gpuE0ELNS1_3repE0EEENS1_30default_config_static_selectorELNS0_4arch9wavefront6targetE1EEEvT1_.kd
    .uniform_work_group_size: 1
    .uses_dynamic_stack: false
    .vgpr_count:     0
    .vgpr_spill_count: 0
    .wavefront_size: 64
  - .agpr_count:     0
    .args:
      - .offset:         0
        .size:           32
        .value_kind:     by_value
    .group_segment_fixed_size: 0
    .kernarg_segment_align: 8
    .kernarg_segment_size: 32
    .language:       OpenCL C
    .language_version:
      - 2
      - 0
    .max_flat_workgroup_size: 256
    .name:           _ZN7rocprim17ROCPRIM_400000_NS6detail17trampoline_kernelINS0_14default_configENS1_20scan_config_selectorIiEEZZNS1_9scan_implILNS1_25lookback_scan_determinismE0ELb1ELb1ES3_N6thrust23THRUST_200600_302600_NS6detail15normal_iteratorINS9_10device_ptrIiEEEESE_i11max_functorIiEiEEDaPvRmT3_T4_T5_mT6_P12ihipStream_tbENKUlT_T0_E_clISt17integral_constantIbLb0EESU_EEDaSP_SQ_EUlSP_E0_NS1_11comp_targetILNS1_3genE5ELNS1_11target_archE942ELNS1_3gpuE9ELNS1_3repE0EEENS1_30default_config_static_selectorELNS0_4arch9wavefront6targetE1EEEvT1_
    .private_segment_fixed_size: 0
    .sgpr_count:     4
    .sgpr_spill_count: 0
    .symbol:         _ZN7rocprim17ROCPRIM_400000_NS6detail17trampoline_kernelINS0_14default_configENS1_20scan_config_selectorIiEEZZNS1_9scan_implILNS1_25lookback_scan_determinismE0ELb1ELb1ES3_N6thrust23THRUST_200600_302600_NS6detail15normal_iteratorINS9_10device_ptrIiEEEESE_i11max_functorIiEiEEDaPvRmT3_T4_T5_mT6_P12ihipStream_tbENKUlT_T0_E_clISt17integral_constantIbLb0EESU_EEDaSP_SQ_EUlSP_E0_NS1_11comp_targetILNS1_3genE5ELNS1_11target_archE942ELNS1_3gpuE9ELNS1_3repE0EEENS1_30default_config_static_selectorELNS0_4arch9wavefront6targetE1EEEvT1_.kd
    .uniform_work_group_size: 1
    .uses_dynamic_stack: false
    .vgpr_count:     0
    .vgpr_spill_count: 0
    .wavefront_size: 64
  - .agpr_count:     0
    .args:
      - .offset:         0
        .size:           32
        .value_kind:     by_value
    .group_segment_fixed_size: 5120
    .kernarg_segment_align: 8
    .kernarg_segment_size: 32
    .language:       OpenCL C
    .language_version:
      - 2
      - 0
    .max_flat_workgroup_size: 128
    .name:           _ZN7rocprim17ROCPRIM_400000_NS6detail17trampoline_kernelINS0_14default_configENS1_20scan_config_selectorIiEEZZNS1_9scan_implILNS1_25lookback_scan_determinismE0ELb1ELb1ES3_N6thrust23THRUST_200600_302600_NS6detail15normal_iteratorINS9_10device_ptrIiEEEESE_i11max_functorIiEiEEDaPvRmT3_T4_T5_mT6_P12ihipStream_tbENKUlT_T0_E_clISt17integral_constantIbLb0EESU_EEDaSP_SQ_EUlSP_E0_NS1_11comp_targetILNS1_3genE4ELNS1_11target_archE910ELNS1_3gpuE8ELNS1_3repE0EEENS1_30default_config_static_selectorELNS0_4arch9wavefront6targetE1EEEvT1_
    .private_segment_fixed_size: 0
    .sgpr_count:     29
    .sgpr_spill_count: 0
    .symbol:         _ZN7rocprim17ROCPRIM_400000_NS6detail17trampoline_kernelINS0_14default_configENS1_20scan_config_selectorIiEEZZNS1_9scan_implILNS1_25lookback_scan_determinismE0ELb1ELb1ES3_N6thrust23THRUST_200600_302600_NS6detail15normal_iteratorINS9_10device_ptrIiEEEESE_i11max_functorIiEiEEDaPvRmT3_T4_T5_mT6_P12ihipStream_tbENKUlT_T0_E_clISt17integral_constantIbLb0EESU_EEDaSP_SQ_EUlSP_E0_NS1_11comp_targetILNS1_3genE4ELNS1_11target_archE910ELNS1_3gpuE8ELNS1_3repE0EEENS1_30default_config_static_selectorELNS0_4arch9wavefront6targetE1EEEvT1_.kd
    .uniform_work_group_size: 1
    .uses_dynamic_stack: false
    .vgpr_count:     19
    .vgpr_spill_count: 0
    .wavefront_size: 64
  - .agpr_count:     0
    .args:
      - .offset:         0
        .size:           32
        .value_kind:     by_value
    .group_segment_fixed_size: 0
    .kernarg_segment_align: 8
    .kernarg_segment_size: 32
    .language:       OpenCL C
    .language_version:
      - 2
      - 0
    .max_flat_workgroup_size: 256
    .name:           _ZN7rocprim17ROCPRIM_400000_NS6detail17trampoline_kernelINS0_14default_configENS1_20scan_config_selectorIiEEZZNS1_9scan_implILNS1_25lookback_scan_determinismE0ELb1ELb1ES3_N6thrust23THRUST_200600_302600_NS6detail15normal_iteratorINS9_10device_ptrIiEEEESE_i11max_functorIiEiEEDaPvRmT3_T4_T5_mT6_P12ihipStream_tbENKUlT_T0_E_clISt17integral_constantIbLb0EESU_EEDaSP_SQ_EUlSP_E0_NS1_11comp_targetILNS1_3genE3ELNS1_11target_archE908ELNS1_3gpuE7ELNS1_3repE0EEENS1_30default_config_static_selectorELNS0_4arch9wavefront6targetE1EEEvT1_
    .private_segment_fixed_size: 0
    .sgpr_count:     4
    .sgpr_spill_count: 0
    .symbol:         _ZN7rocprim17ROCPRIM_400000_NS6detail17trampoline_kernelINS0_14default_configENS1_20scan_config_selectorIiEEZZNS1_9scan_implILNS1_25lookback_scan_determinismE0ELb1ELb1ES3_N6thrust23THRUST_200600_302600_NS6detail15normal_iteratorINS9_10device_ptrIiEEEESE_i11max_functorIiEiEEDaPvRmT3_T4_T5_mT6_P12ihipStream_tbENKUlT_T0_E_clISt17integral_constantIbLb0EESU_EEDaSP_SQ_EUlSP_E0_NS1_11comp_targetILNS1_3genE3ELNS1_11target_archE908ELNS1_3gpuE7ELNS1_3repE0EEENS1_30default_config_static_selectorELNS0_4arch9wavefront6targetE1EEEvT1_.kd
    .uniform_work_group_size: 1
    .uses_dynamic_stack: false
    .vgpr_count:     0
    .vgpr_spill_count: 0
    .wavefront_size: 64
  - .agpr_count:     0
    .args:
      - .offset:         0
        .size:           32
        .value_kind:     by_value
    .group_segment_fixed_size: 0
    .kernarg_segment_align: 8
    .kernarg_segment_size: 32
    .language:       OpenCL C
    .language_version:
      - 2
      - 0
    .max_flat_workgroup_size: 256
    .name:           _ZN7rocprim17ROCPRIM_400000_NS6detail17trampoline_kernelINS0_14default_configENS1_20scan_config_selectorIiEEZZNS1_9scan_implILNS1_25lookback_scan_determinismE0ELb1ELb1ES3_N6thrust23THRUST_200600_302600_NS6detail15normal_iteratorINS9_10device_ptrIiEEEESE_i11max_functorIiEiEEDaPvRmT3_T4_T5_mT6_P12ihipStream_tbENKUlT_T0_E_clISt17integral_constantIbLb0EESU_EEDaSP_SQ_EUlSP_E0_NS1_11comp_targetILNS1_3genE2ELNS1_11target_archE906ELNS1_3gpuE6ELNS1_3repE0EEENS1_30default_config_static_selectorELNS0_4arch9wavefront6targetE1EEEvT1_
    .private_segment_fixed_size: 0
    .sgpr_count:     4
    .sgpr_spill_count: 0
    .symbol:         _ZN7rocprim17ROCPRIM_400000_NS6detail17trampoline_kernelINS0_14default_configENS1_20scan_config_selectorIiEEZZNS1_9scan_implILNS1_25lookback_scan_determinismE0ELb1ELb1ES3_N6thrust23THRUST_200600_302600_NS6detail15normal_iteratorINS9_10device_ptrIiEEEESE_i11max_functorIiEiEEDaPvRmT3_T4_T5_mT6_P12ihipStream_tbENKUlT_T0_E_clISt17integral_constantIbLb0EESU_EEDaSP_SQ_EUlSP_E0_NS1_11comp_targetILNS1_3genE2ELNS1_11target_archE906ELNS1_3gpuE6ELNS1_3repE0EEENS1_30default_config_static_selectorELNS0_4arch9wavefront6targetE1EEEvT1_.kd
    .uniform_work_group_size: 1
    .uses_dynamic_stack: false
    .vgpr_count:     0
    .vgpr_spill_count: 0
    .wavefront_size: 64
  - .agpr_count:     0
    .args:
      - .offset:         0
        .size:           32
        .value_kind:     by_value
    .group_segment_fixed_size: 0
    .kernarg_segment_align: 8
    .kernarg_segment_size: 32
    .language:       OpenCL C
    .language_version:
      - 2
      - 0
    .max_flat_workgroup_size: 256
    .name:           _ZN7rocprim17ROCPRIM_400000_NS6detail17trampoline_kernelINS0_14default_configENS1_20scan_config_selectorIiEEZZNS1_9scan_implILNS1_25lookback_scan_determinismE0ELb1ELb1ES3_N6thrust23THRUST_200600_302600_NS6detail15normal_iteratorINS9_10device_ptrIiEEEESE_i11max_functorIiEiEEDaPvRmT3_T4_T5_mT6_P12ihipStream_tbENKUlT_T0_E_clISt17integral_constantIbLb0EESU_EEDaSP_SQ_EUlSP_E0_NS1_11comp_targetILNS1_3genE10ELNS1_11target_archE1201ELNS1_3gpuE5ELNS1_3repE0EEENS1_30default_config_static_selectorELNS0_4arch9wavefront6targetE1EEEvT1_
    .private_segment_fixed_size: 0
    .sgpr_count:     4
    .sgpr_spill_count: 0
    .symbol:         _ZN7rocprim17ROCPRIM_400000_NS6detail17trampoline_kernelINS0_14default_configENS1_20scan_config_selectorIiEEZZNS1_9scan_implILNS1_25lookback_scan_determinismE0ELb1ELb1ES3_N6thrust23THRUST_200600_302600_NS6detail15normal_iteratorINS9_10device_ptrIiEEEESE_i11max_functorIiEiEEDaPvRmT3_T4_T5_mT6_P12ihipStream_tbENKUlT_T0_E_clISt17integral_constantIbLb0EESU_EEDaSP_SQ_EUlSP_E0_NS1_11comp_targetILNS1_3genE10ELNS1_11target_archE1201ELNS1_3gpuE5ELNS1_3repE0EEENS1_30default_config_static_selectorELNS0_4arch9wavefront6targetE1EEEvT1_.kd
    .uniform_work_group_size: 1
    .uses_dynamic_stack: false
    .vgpr_count:     0
    .vgpr_spill_count: 0
    .wavefront_size: 64
  - .agpr_count:     0
    .args:
      - .offset:         0
        .size:           32
        .value_kind:     by_value
    .group_segment_fixed_size: 0
    .kernarg_segment_align: 8
    .kernarg_segment_size: 32
    .language:       OpenCL C
    .language_version:
      - 2
      - 0
    .max_flat_workgroup_size: 256
    .name:           _ZN7rocprim17ROCPRIM_400000_NS6detail17trampoline_kernelINS0_14default_configENS1_20scan_config_selectorIiEEZZNS1_9scan_implILNS1_25lookback_scan_determinismE0ELb1ELb1ES3_N6thrust23THRUST_200600_302600_NS6detail15normal_iteratorINS9_10device_ptrIiEEEESE_i11max_functorIiEiEEDaPvRmT3_T4_T5_mT6_P12ihipStream_tbENKUlT_T0_E_clISt17integral_constantIbLb0EESU_EEDaSP_SQ_EUlSP_E0_NS1_11comp_targetILNS1_3genE10ELNS1_11target_archE1200ELNS1_3gpuE4ELNS1_3repE0EEENS1_30default_config_static_selectorELNS0_4arch9wavefront6targetE1EEEvT1_
    .private_segment_fixed_size: 0
    .sgpr_count:     4
    .sgpr_spill_count: 0
    .symbol:         _ZN7rocprim17ROCPRIM_400000_NS6detail17trampoline_kernelINS0_14default_configENS1_20scan_config_selectorIiEEZZNS1_9scan_implILNS1_25lookback_scan_determinismE0ELb1ELb1ES3_N6thrust23THRUST_200600_302600_NS6detail15normal_iteratorINS9_10device_ptrIiEEEESE_i11max_functorIiEiEEDaPvRmT3_T4_T5_mT6_P12ihipStream_tbENKUlT_T0_E_clISt17integral_constantIbLb0EESU_EEDaSP_SQ_EUlSP_E0_NS1_11comp_targetILNS1_3genE10ELNS1_11target_archE1200ELNS1_3gpuE4ELNS1_3repE0EEENS1_30default_config_static_selectorELNS0_4arch9wavefront6targetE1EEEvT1_.kd
    .uniform_work_group_size: 1
    .uses_dynamic_stack: false
    .vgpr_count:     0
    .vgpr_spill_count: 0
    .wavefront_size: 64
  - .agpr_count:     0
    .args:
      - .offset:         0
        .size:           32
        .value_kind:     by_value
    .group_segment_fixed_size: 0
    .kernarg_segment_align: 8
    .kernarg_segment_size: 32
    .language:       OpenCL C
    .language_version:
      - 2
      - 0
    .max_flat_workgroup_size: 256
    .name:           _ZN7rocprim17ROCPRIM_400000_NS6detail17trampoline_kernelINS0_14default_configENS1_20scan_config_selectorIiEEZZNS1_9scan_implILNS1_25lookback_scan_determinismE0ELb1ELb1ES3_N6thrust23THRUST_200600_302600_NS6detail15normal_iteratorINS9_10device_ptrIiEEEESE_i11max_functorIiEiEEDaPvRmT3_T4_T5_mT6_P12ihipStream_tbENKUlT_T0_E_clISt17integral_constantIbLb0EESU_EEDaSP_SQ_EUlSP_E0_NS1_11comp_targetILNS1_3genE9ELNS1_11target_archE1100ELNS1_3gpuE3ELNS1_3repE0EEENS1_30default_config_static_selectorELNS0_4arch9wavefront6targetE1EEEvT1_
    .private_segment_fixed_size: 0
    .sgpr_count:     4
    .sgpr_spill_count: 0
    .symbol:         _ZN7rocprim17ROCPRIM_400000_NS6detail17trampoline_kernelINS0_14default_configENS1_20scan_config_selectorIiEEZZNS1_9scan_implILNS1_25lookback_scan_determinismE0ELb1ELb1ES3_N6thrust23THRUST_200600_302600_NS6detail15normal_iteratorINS9_10device_ptrIiEEEESE_i11max_functorIiEiEEDaPvRmT3_T4_T5_mT6_P12ihipStream_tbENKUlT_T0_E_clISt17integral_constantIbLb0EESU_EEDaSP_SQ_EUlSP_E0_NS1_11comp_targetILNS1_3genE9ELNS1_11target_archE1100ELNS1_3gpuE3ELNS1_3repE0EEENS1_30default_config_static_selectorELNS0_4arch9wavefront6targetE1EEEvT1_.kd
    .uniform_work_group_size: 1
    .uses_dynamic_stack: false
    .vgpr_count:     0
    .vgpr_spill_count: 0
    .wavefront_size: 64
  - .agpr_count:     0
    .args:
      - .offset:         0
        .size:           32
        .value_kind:     by_value
    .group_segment_fixed_size: 0
    .kernarg_segment_align: 8
    .kernarg_segment_size: 32
    .language:       OpenCL C
    .language_version:
      - 2
      - 0
    .max_flat_workgroup_size: 64
    .name:           _ZN7rocprim17ROCPRIM_400000_NS6detail17trampoline_kernelINS0_14default_configENS1_20scan_config_selectorIiEEZZNS1_9scan_implILNS1_25lookback_scan_determinismE0ELb1ELb1ES3_N6thrust23THRUST_200600_302600_NS6detail15normal_iteratorINS9_10device_ptrIiEEEESE_i11max_functorIiEiEEDaPvRmT3_T4_T5_mT6_P12ihipStream_tbENKUlT_T0_E_clISt17integral_constantIbLb0EESU_EEDaSP_SQ_EUlSP_E0_NS1_11comp_targetILNS1_3genE8ELNS1_11target_archE1030ELNS1_3gpuE2ELNS1_3repE0EEENS1_30default_config_static_selectorELNS0_4arch9wavefront6targetE1EEEvT1_
    .private_segment_fixed_size: 0
    .sgpr_count:     4
    .sgpr_spill_count: 0
    .symbol:         _ZN7rocprim17ROCPRIM_400000_NS6detail17trampoline_kernelINS0_14default_configENS1_20scan_config_selectorIiEEZZNS1_9scan_implILNS1_25lookback_scan_determinismE0ELb1ELb1ES3_N6thrust23THRUST_200600_302600_NS6detail15normal_iteratorINS9_10device_ptrIiEEEESE_i11max_functorIiEiEEDaPvRmT3_T4_T5_mT6_P12ihipStream_tbENKUlT_T0_E_clISt17integral_constantIbLb0EESU_EEDaSP_SQ_EUlSP_E0_NS1_11comp_targetILNS1_3genE8ELNS1_11target_archE1030ELNS1_3gpuE2ELNS1_3repE0EEENS1_30default_config_static_selectorELNS0_4arch9wavefront6targetE1EEEvT1_.kd
    .uniform_work_group_size: 1
    .uses_dynamic_stack: false
    .vgpr_count:     0
    .vgpr_spill_count: 0
    .wavefront_size: 64
  - .agpr_count:     0
    .args:
      - .offset:         0
        .size:           96
        .value_kind:     by_value
    .group_segment_fixed_size: 0
    .kernarg_segment_align: 8
    .kernarg_segment_size: 96
    .language:       OpenCL C
    .language_version:
      - 2
      - 0
    .max_flat_workgroup_size: 256
    .name:           _ZN7rocprim17ROCPRIM_400000_NS6detail17trampoline_kernelINS0_14default_configENS1_20scan_config_selectorIiEEZZNS1_9scan_implILNS1_25lookback_scan_determinismE0ELb1ELb1ES3_N6thrust23THRUST_200600_302600_NS6detail15normal_iteratorINS9_10device_ptrIiEEEESE_i11max_functorIiEiEEDaPvRmT3_T4_T5_mT6_P12ihipStream_tbENKUlT_T0_E_clISt17integral_constantIbLb1EESU_EEDaSP_SQ_EUlSP_E_NS1_11comp_targetILNS1_3genE0ELNS1_11target_archE4294967295ELNS1_3gpuE0ELNS1_3repE0EEENS1_30default_config_static_selectorELNS0_4arch9wavefront6targetE1EEEvT1_
    .private_segment_fixed_size: 0
    .sgpr_count:     4
    .sgpr_spill_count: 0
    .symbol:         _ZN7rocprim17ROCPRIM_400000_NS6detail17trampoline_kernelINS0_14default_configENS1_20scan_config_selectorIiEEZZNS1_9scan_implILNS1_25lookback_scan_determinismE0ELb1ELb1ES3_N6thrust23THRUST_200600_302600_NS6detail15normal_iteratorINS9_10device_ptrIiEEEESE_i11max_functorIiEiEEDaPvRmT3_T4_T5_mT6_P12ihipStream_tbENKUlT_T0_E_clISt17integral_constantIbLb1EESU_EEDaSP_SQ_EUlSP_E_NS1_11comp_targetILNS1_3genE0ELNS1_11target_archE4294967295ELNS1_3gpuE0ELNS1_3repE0EEENS1_30default_config_static_selectorELNS0_4arch9wavefront6targetE1EEEvT1_.kd
    .uniform_work_group_size: 1
    .uses_dynamic_stack: false
    .vgpr_count:     0
    .vgpr_spill_count: 0
    .wavefront_size: 64
  - .agpr_count:     0
    .args:
      - .offset:         0
        .size:           96
        .value_kind:     by_value
    .group_segment_fixed_size: 0
    .kernarg_segment_align: 8
    .kernarg_segment_size: 96
    .language:       OpenCL C
    .language_version:
      - 2
      - 0
    .max_flat_workgroup_size: 256
    .name:           _ZN7rocprim17ROCPRIM_400000_NS6detail17trampoline_kernelINS0_14default_configENS1_20scan_config_selectorIiEEZZNS1_9scan_implILNS1_25lookback_scan_determinismE0ELb1ELb1ES3_N6thrust23THRUST_200600_302600_NS6detail15normal_iteratorINS9_10device_ptrIiEEEESE_i11max_functorIiEiEEDaPvRmT3_T4_T5_mT6_P12ihipStream_tbENKUlT_T0_E_clISt17integral_constantIbLb1EESU_EEDaSP_SQ_EUlSP_E_NS1_11comp_targetILNS1_3genE5ELNS1_11target_archE942ELNS1_3gpuE9ELNS1_3repE0EEENS1_30default_config_static_selectorELNS0_4arch9wavefront6targetE1EEEvT1_
    .private_segment_fixed_size: 0
    .sgpr_count:     4
    .sgpr_spill_count: 0
    .symbol:         _ZN7rocprim17ROCPRIM_400000_NS6detail17trampoline_kernelINS0_14default_configENS1_20scan_config_selectorIiEEZZNS1_9scan_implILNS1_25lookback_scan_determinismE0ELb1ELb1ES3_N6thrust23THRUST_200600_302600_NS6detail15normal_iteratorINS9_10device_ptrIiEEEESE_i11max_functorIiEiEEDaPvRmT3_T4_T5_mT6_P12ihipStream_tbENKUlT_T0_E_clISt17integral_constantIbLb1EESU_EEDaSP_SQ_EUlSP_E_NS1_11comp_targetILNS1_3genE5ELNS1_11target_archE942ELNS1_3gpuE9ELNS1_3repE0EEENS1_30default_config_static_selectorELNS0_4arch9wavefront6targetE1EEEvT1_.kd
    .uniform_work_group_size: 1
    .uses_dynamic_stack: false
    .vgpr_count:     0
    .vgpr_spill_count: 0
    .wavefront_size: 64
  - .agpr_count:     0
    .args:
      - .offset:         0
        .size:           96
        .value_kind:     by_value
    .group_segment_fixed_size: 5120
    .kernarg_segment_align: 8
    .kernarg_segment_size: 96
    .language:       OpenCL C
    .language_version:
      - 2
      - 0
    .max_flat_workgroup_size: 128
    .name:           _ZN7rocprim17ROCPRIM_400000_NS6detail17trampoline_kernelINS0_14default_configENS1_20scan_config_selectorIiEEZZNS1_9scan_implILNS1_25lookback_scan_determinismE0ELb1ELb1ES3_N6thrust23THRUST_200600_302600_NS6detail15normal_iteratorINS9_10device_ptrIiEEEESE_i11max_functorIiEiEEDaPvRmT3_T4_T5_mT6_P12ihipStream_tbENKUlT_T0_E_clISt17integral_constantIbLb1EESU_EEDaSP_SQ_EUlSP_E_NS1_11comp_targetILNS1_3genE4ELNS1_11target_archE910ELNS1_3gpuE8ELNS1_3repE0EEENS1_30default_config_static_selectorELNS0_4arch9wavefront6targetE1EEEvT1_
    .private_segment_fixed_size: 0
    .sgpr_count:     44
    .sgpr_spill_count: 0
    .symbol:         _ZN7rocprim17ROCPRIM_400000_NS6detail17trampoline_kernelINS0_14default_configENS1_20scan_config_selectorIiEEZZNS1_9scan_implILNS1_25lookback_scan_determinismE0ELb1ELb1ES3_N6thrust23THRUST_200600_302600_NS6detail15normal_iteratorINS9_10device_ptrIiEEEESE_i11max_functorIiEiEEDaPvRmT3_T4_T5_mT6_P12ihipStream_tbENKUlT_T0_E_clISt17integral_constantIbLb1EESU_EEDaSP_SQ_EUlSP_E_NS1_11comp_targetILNS1_3genE4ELNS1_11target_archE910ELNS1_3gpuE8ELNS1_3repE0EEENS1_30default_config_static_selectorELNS0_4arch9wavefront6targetE1EEEvT1_.kd
    .uniform_work_group_size: 1
    .uses_dynamic_stack: false
    .vgpr_count:     41
    .vgpr_spill_count: 0
    .wavefront_size: 64
  - .agpr_count:     0
    .args:
      - .offset:         0
        .size:           96
        .value_kind:     by_value
    .group_segment_fixed_size: 0
    .kernarg_segment_align: 8
    .kernarg_segment_size: 96
    .language:       OpenCL C
    .language_version:
      - 2
      - 0
    .max_flat_workgroup_size: 256
    .name:           _ZN7rocprim17ROCPRIM_400000_NS6detail17trampoline_kernelINS0_14default_configENS1_20scan_config_selectorIiEEZZNS1_9scan_implILNS1_25lookback_scan_determinismE0ELb1ELb1ES3_N6thrust23THRUST_200600_302600_NS6detail15normal_iteratorINS9_10device_ptrIiEEEESE_i11max_functorIiEiEEDaPvRmT3_T4_T5_mT6_P12ihipStream_tbENKUlT_T0_E_clISt17integral_constantIbLb1EESU_EEDaSP_SQ_EUlSP_E_NS1_11comp_targetILNS1_3genE3ELNS1_11target_archE908ELNS1_3gpuE7ELNS1_3repE0EEENS1_30default_config_static_selectorELNS0_4arch9wavefront6targetE1EEEvT1_
    .private_segment_fixed_size: 0
    .sgpr_count:     4
    .sgpr_spill_count: 0
    .symbol:         _ZN7rocprim17ROCPRIM_400000_NS6detail17trampoline_kernelINS0_14default_configENS1_20scan_config_selectorIiEEZZNS1_9scan_implILNS1_25lookback_scan_determinismE0ELb1ELb1ES3_N6thrust23THRUST_200600_302600_NS6detail15normal_iteratorINS9_10device_ptrIiEEEESE_i11max_functorIiEiEEDaPvRmT3_T4_T5_mT6_P12ihipStream_tbENKUlT_T0_E_clISt17integral_constantIbLb1EESU_EEDaSP_SQ_EUlSP_E_NS1_11comp_targetILNS1_3genE3ELNS1_11target_archE908ELNS1_3gpuE7ELNS1_3repE0EEENS1_30default_config_static_selectorELNS0_4arch9wavefront6targetE1EEEvT1_.kd
    .uniform_work_group_size: 1
    .uses_dynamic_stack: false
    .vgpr_count:     0
    .vgpr_spill_count: 0
    .wavefront_size: 64
  - .agpr_count:     0
    .args:
      - .offset:         0
        .size:           96
        .value_kind:     by_value
    .group_segment_fixed_size: 0
    .kernarg_segment_align: 8
    .kernarg_segment_size: 96
    .language:       OpenCL C
    .language_version:
      - 2
      - 0
    .max_flat_workgroup_size: 256
    .name:           _ZN7rocprim17ROCPRIM_400000_NS6detail17trampoline_kernelINS0_14default_configENS1_20scan_config_selectorIiEEZZNS1_9scan_implILNS1_25lookback_scan_determinismE0ELb1ELb1ES3_N6thrust23THRUST_200600_302600_NS6detail15normal_iteratorINS9_10device_ptrIiEEEESE_i11max_functorIiEiEEDaPvRmT3_T4_T5_mT6_P12ihipStream_tbENKUlT_T0_E_clISt17integral_constantIbLb1EESU_EEDaSP_SQ_EUlSP_E_NS1_11comp_targetILNS1_3genE2ELNS1_11target_archE906ELNS1_3gpuE6ELNS1_3repE0EEENS1_30default_config_static_selectorELNS0_4arch9wavefront6targetE1EEEvT1_
    .private_segment_fixed_size: 0
    .sgpr_count:     4
    .sgpr_spill_count: 0
    .symbol:         _ZN7rocprim17ROCPRIM_400000_NS6detail17trampoline_kernelINS0_14default_configENS1_20scan_config_selectorIiEEZZNS1_9scan_implILNS1_25lookback_scan_determinismE0ELb1ELb1ES3_N6thrust23THRUST_200600_302600_NS6detail15normal_iteratorINS9_10device_ptrIiEEEESE_i11max_functorIiEiEEDaPvRmT3_T4_T5_mT6_P12ihipStream_tbENKUlT_T0_E_clISt17integral_constantIbLb1EESU_EEDaSP_SQ_EUlSP_E_NS1_11comp_targetILNS1_3genE2ELNS1_11target_archE906ELNS1_3gpuE6ELNS1_3repE0EEENS1_30default_config_static_selectorELNS0_4arch9wavefront6targetE1EEEvT1_.kd
    .uniform_work_group_size: 1
    .uses_dynamic_stack: false
    .vgpr_count:     0
    .vgpr_spill_count: 0
    .wavefront_size: 64
  - .agpr_count:     0
    .args:
      - .offset:         0
        .size:           96
        .value_kind:     by_value
    .group_segment_fixed_size: 0
    .kernarg_segment_align: 8
    .kernarg_segment_size: 96
    .language:       OpenCL C
    .language_version:
      - 2
      - 0
    .max_flat_workgroup_size: 256
    .name:           _ZN7rocprim17ROCPRIM_400000_NS6detail17trampoline_kernelINS0_14default_configENS1_20scan_config_selectorIiEEZZNS1_9scan_implILNS1_25lookback_scan_determinismE0ELb1ELb1ES3_N6thrust23THRUST_200600_302600_NS6detail15normal_iteratorINS9_10device_ptrIiEEEESE_i11max_functorIiEiEEDaPvRmT3_T4_T5_mT6_P12ihipStream_tbENKUlT_T0_E_clISt17integral_constantIbLb1EESU_EEDaSP_SQ_EUlSP_E_NS1_11comp_targetILNS1_3genE10ELNS1_11target_archE1201ELNS1_3gpuE5ELNS1_3repE0EEENS1_30default_config_static_selectorELNS0_4arch9wavefront6targetE1EEEvT1_
    .private_segment_fixed_size: 0
    .sgpr_count:     4
    .sgpr_spill_count: 0
    .symbol:         _ZN7rocprim17ROCPRIM_400000_NS6detail17trampoline_kernelINS0_14default_configENS1_20scan_config_selectorIiEEZZNS1_9scan_implILNS1_25lookback_scan_determinismE0ELb1ELb1ES3_N6thrust23THRUST_200600_302600_NS6detail15normal_iteratorINS9_10device_ptrIiEEEESE_i11max_functorIiEiEEDaPvRmT3_T4_T5_mT6_P12ihipStream_tbENKUlT_T0_E_clISt17integral_constantIbLb1EESU_EEDaSP_SQ_EUlSP_E_NS1_11comp_targetILNS1_3genE10ELNS1_11target_archE1201ELNS1_3gpuE5ELNS1_3repE0EEENS1_30default_config_static_selectorELNS0_4arch9wavefront6targetE1EEEvT1_.kd
    .uniform_work_group_size: 1
    .uses_dynamic_stack: false
    .vgpr_count:     0
    .vgpr_spill_count: 0
    .wavefront_size: 64
  - .agpr_count:     0
    .args:
      - .offset:         0
        .size:           96
        .value_kind:     by_value
    .group_segment_fixed_size: 0
    .kernarg_segment_align: 8
    .kernarg_segment_size: 96
    .language:       OpenCL C
    .language_version:
      - 2
      - 0
    .max_flat_workgroup_size: 256
    .name:           _ZN7rocprim17ROCPRIM_400000_NS6detail17trampoline_kernelINS0_14default_configENS1_20scan_config_selectorIiEEZZNS1_9scan_implILNS1_25lookback_scan_determinismE0ELb1ELb1ES3_N6thrust23THRUST_200600_302600_NS6detail15normal_iteratorINS9_10device_ptrIiEEEESE_i11max_functorIiEiEEDaPvRmT3_T4_T5_mT6_P12ihipStream_tbENKUlT_T0_E_clISt17integral_constantIbLb1EESU_EEDaSP_SQ_EUlSP_E_NS1_11comp_targetILNS1_3genE10ELNS1_11target_archE1200ELNS1_3gpuE4ELNS1_3repE0EEENS1_30default_config_static_selectorELNS0_4arch9wavefront6targetE1EEEvT1_
    .private_segment_fixed_size: 0
    .sgpr_count:     4
    .sgpr_spill_count: 0
    .symbol:         _ZN7rocprim17ROCPRIM_400000_NS6detail17trampoline_kernelINS0_14default_configENS1_20scan_config_selectorIiEEZZNS1_9scan_implILNS1_25lookback_scan_determinismE0ELb1ELb1ES3_N6thrust23THRUST_200600_302600_NS6detail15normal_iteratorINS9_10device_ptrIiEEEESE_i11max_functorIiEiEEDaPvRmT3_T4_T5_mT6_P12ihipStream_tbENKUlT_T0_E_clISt17integral_constantIbLb1EESU_EEDaSP_SQ_EUlSP_E_NS1_11comp_targetILNS1_3genE10ELNS1_11target_archE1200ELNS1_3gpuE4ELNS1_3repE0EEENS1_30default_config_static_selectorELNS0_4arch9wavefront6targetE1EEEvT1_.kd
    .uniform_work_group_size: 1
    .uses_dynamic_stack: false
    .vgpr_count:     0
    .vgpr_spill_count: 0
    .wavefront_size: 64
  - .agpr_count:     0
    .args:
      - .offset:         0
        .size:           96
        .value_kind:     by_value
    .group_segment_fixed_size: 0
    .kernarg_segment_align: 8
    .kernarg_segment_size: 96
    .language:       OpenCL C
    .language_version:
      - 2
      - 0
    .max_flat_workgroup_size: 256
    .name:           _ZN7rocprim17ROCPRIM_400000_NS6detail17trampoline_kernelINS0_14default_configENS1_20scan_config_selectorIiEEZZNS1_9scan_implILNS1_25lookback_scan_determinismE0ELb1ELb1ES3_N6thrust23THRUST_200600_302600_NS6detail15normal_iteratorINS9_10device_ptrIiEEEESE_i11max_functorIiEiEEDaPvRmT3_T4_T5_mT6_P12ihipStream_tbENKUlT_T0_E_clISt17integral_constantIbLb1EESU_EEDaSP_SQ_EUlSP_E_NS1_11comp_targetILNS1_3genE9ELNS1_11target_archE1100ELNS1_3gpuE3ELNS1_3repE0EEENS1_30default_config_static_selectorELNS0_4arch9wavefront6targetE1EEEvT1_
    .private_segment_fixed_size: 0
    .sgpr_count:     4
    .sgpr_spill_count: 0
    .symbol:         _ZN7rocprim17ROCPRIM_400000_NS6detail17trampoline_kernelINS0_14default_configENS1_20scan_config_selectorIiEEZZNS1_9scan_implILNS1_25lookback_scan_determinismE0ELb1ELb1ES3_N6thrust23THRUST_200600_302600_NS6detail15normal_iteratorINS9_10device_ptrIiEEEESE_i11max_functorIiEiEEDaPvRmT3_T4_T5_mT6_P12ihipStream_tbENKUlT_T0_E_clISt17integral_constantIbLb1EESU_EEDaSP_SQ_EUlSP_E_NS1_11comp_targetILNS1_3genE9ELNS1_11target_archE1100ELNS1_3gpuE3ELNS1_3repE0EEENS1_30default_config_static_selectorELNS0_4arch9wavefront6targetE1EEEvT1_.kd
    .uniform_work_group_size: 1
    .uses_dynamic_stack: false
    .vgpr_count:     0
    .vgpr_spill_count: 0
    .wavefront_size: 64
  - .agpr_count:     0
    .args:
      - .offset:         0
        .size:           96
        .value_kind:     by_value
    .group_segment_fixed_size: 0
    .kernarg_segment_align: 8
    .kernarg_segment_size: 96
    .language:       OpenCL C
    .language_version:
      - 2
      - 0
    .max_flat_workgroup_size: 64
    .name:           _ZN7rocprim17ROCPRIM_400000_NS6detail17trampoline_kernelINS0_14default_configENS1_20scan_config_selectorIiEEZZNS1_9scan_implILNS1_25lookback_scan_determinismE0ELb1ELb1ES3_N6thrust23THRUST_200600_302600_NS6detail15normal_iteratorINS9_10device_ptrIiEEEESE_i11max_functorIiEiEEDaPvRmT3_T4_T5_mT6_P12ihipStream_tbENKUlT_T0_E_clISt17integral_constantIbLb1EESU_EEDaSP_SQ_EUlSP_E_NS1_11comp_targetILNS1_3genE8ELNS1_11target_archE1030ELNS1_3gpuE2ELNS1_3repE0EEENS1_30default_config_static_selectorELNS0_4arch9wavefront6targetE1EEEvT1_
    .private_segment_fixed_size: 0
    .sgpr_count:     4
    .sgpr_spill_count: 0
    .symbol:         _ZN7rocprim17ROCPRIM_400000_NS6detail17trampoline_kernelINS0_14default_configENS1_20scan_config_selectorIiEEZZNS1_9scan_implILNS1_25lookback_scan_determinismE0ELb1ELb1ES3_N6thrust23THRUST_200600_302600_NS6detail15normal_iteratorINS9_10device_ptrIiEEEESE_i11max_functorIiEiEEDaPvRmT3_T4_T5_mT6_P12ihipStream_tbENKUlT_T0_E_clISt17integral_constantIbLb1EESU_EEDaSP_SQ_EUlSP_E_NS1_11comp_targetILNS1_3genE8ELNS1_11target_archE1030ELNS1_3gpuE2ELNS1_3repE0EEENS1_30default_config_static_selectorELNS0_4arch9wavefront6targetE1EEEvT1_.kd
    .uniform_work_group_size: 1
    .uses_dynamic_stack: false
    .vgpr_count:     0
    .vgpr_spill_count: 0
    .wavefront_size: 64
  - .agpr_count:     0
    .args:
      - .offset:         0
        .size:           32
        .value_kind:     by_value
    .group_segment_fixed_size: 0
    .kernarg_segment_align: 8
    .kernarg_segment_size: 32
    .language:       OpenCL C
    .language_version:
      - 2
      - 0
    .max_flat_workgroup_size: 256
    .name:           _ZN7rocprim17ROCPRIM_400000_NS6detail17trampoline_kernelINS0_14default_configENS1_20scan_config_selectorIiEEZZNS1_9scan_implILNS1_25lookback_scan_determinismE0ELb1ELb1ES3_N6thrust23THRUST_200600_302600_NS6detail15normal_iteratorINS9_10device_ptrIiEEEESE_i11max_functorIiEiEEDaPvRmT3_T4_T5_mT6_P12ihipStream_tbENKUlT_T0_E_clISt17integral_constantIbLb1EESU_EEDaSP_SQ_EUlSP_E0_NS1_11comp_targetILNS1_3genE0ELNS1_11target_archE4294967295ELNS1_3gpuE0ELNS1_3repE0EEENS1_30default_config_static_selectorELNS0_4arch9wavefront6targetE1EEEvT1_
    .private_segment_fixed_size: 0
    .sgpr_count:     4
    .sgpr_spill_count: 0
    .symbol:         _ZN7rocprim17ROCPRIM_400000_NS6detail17trampoline_kernelINS0_14default_configENS1_20scan_config_selectorIiEEZZNS1_9scan_implILNS1_25lookback_scan_determinismE0ELb1ELb1ES3_N6thrust23THRUST_200600_302600_NS6detail15normal_iteratorINS9_10device_ptrIiEEEESE_i11max_functorIiEiEEDaPvRmT3_T4_T5_mT6_P12ihipStream_tbENKUlT_T0_E_clISt17integral_constantIbLb1EESU_EEDaSP_SQ_EUlSP_E0_NS1_11comp_targetILNS1_3genE0ELNS1_11target_archE4294967295ELNS1_3gpuE0ELNS1_3repE0EEENS1_30default_config_static_selectorELNS0_4arch9wavefront6targetE1EEEvT1_.kd
    .uniform_work_group_size: 1
    .uses_dynamic_stack: false
    .vgpr_count:     0
    .vgpr_spill_count: 0
    .wavefront_size: 64
  - .agpr_count:     0
    .args:
      - .offset:         0
        .size:           32
        .value_kind:     by_value
    .group_segment_fixed_size: 0
    .kernarg_segment_align: 8
    .kernarg_segment_size: 32
    .language:       OpenCL C
    .language_version:
      - 2
      - 0
    .max_flat_workgroup_size: 256
    .name:           _ZN7rocprim17ROCPRIM_400000_NS6detail17trampoline_kernelINS0_14default_configENS1_20scan_config_selectorIiEEZZNS1_9scan_implILNS1_25lookback_scan_determinismE0ELb1ELb1ES3_N6thrust23THRUST_200600_302600_NS6detail15normal_iteratorINS9_10device_ptrIiEEEESE_i11max_functorIiEiEEDaPvRmT3_T4_T5_mT6_P12ihipStream_tbENKUlT_T0_E_clISt17integral_constantIbLb1EESU_EEDaSP_SQ_EUlSP_E0_NS1_11comp_targetILNS1_3genE5ELNS1_11target_archE942ELNS1_3gpuE9ELNS1_3repE0EEENS1_30default_config_static_selectorELNS0_4arch9wavefront6targetE1EEEvT1_
    .private_segment_fixed_size: 0
    .sgpr_count:     4
    .sgpr_spill_count: 0
    .symbol:         _ZN7rocprim17ROCPRIM_400000_NS6detail17trampoline_kernelINS0_14default_configENS1_20scan_config_selectorIiEEZZNS1_9scan_implILNS1_25lookback_scan_determinismE0ELb1ELb1ES3_N6thrust23THRUST_200600_302600_NS6detail15normal_iteratorINS9_10device_ptrIiEEEESE_i11max_functorIiEiEEDaPvRmT3_T4_T5_mT6_P12ihipStream_tbENKUlT_T0_E_clISt17integral_constantIbLb1EESU_EEDaSP_SQ_EUlSP_E0_NS1_11comp_targetILNS1_3genE5ELNS1_11target_archE942ELNS1_3gpuE9ELNS1_3repE0EEENS1_30default_config_static_selectorELNS0_4arch9wavefront6targetE1EEEvT1_.kd
    .uniform_work_group_size: 1
    .uses_dynamic_stack: false
    .vgpr_count:     0
    .vgpr_spill_count: 0
    .wavefront_size: 64
  - .agpr_count:     0
    .args:
      - .offset:         0
        .size:           32
        .value_kind:     by_value
    .group_segment_fixed_size: 5120
    .kernarg_segment_align: 8
    .kernarg_segment_size: 32
    .language:       OpenCL C
    .language_version:
      - 2
      - 0
    .max_flat_workgroup_size: 128
    .name:           _ZN7rocprim17ROCPRIM_400000_NS6detail17trampoline_kernelINS0_14default_configENS1_20scan_config_selectorIiEEZZNS1_9scan_implILNS1_25lookback_scan_determinismE0ELb1ELb1ES3_N6thrust23THRUST_200600_302600_NS6detail15normal_iteratorINS9_10device_ptrIiEEEESE_i11max_functorIiEiEEDaPvRmT3_T4_T5_mT6_P12ihipStream_tbENKUlT_T0_E_clISt17integral_constantIbLb1EESU_EEDaSP_SQ_EUlSP_E0_NS1_11comp_targetILNS1_3genE4ELNS1_11target_archE910ELNS1_3gpuE8ELNS1_3repE0EEENS1_30default_config_static_selectorELNS0_4arch9wavefront6targetE1EEEvT1_
    .private_segment_fixed_size: 0
    .sgpr_count:     29
    .sgpr_spill_count: 0
    .symbol:         _ZN7rocprim17ROCPRIM_400000_NS6detail17trampoline_kernelINS0_14default_configENS1_20scan_config_selectorIiEEZZNS1_9scan_implILNS1_25lookback_scan_determinismE0ELb1ELb1ES3_N6thrust23THRUST_200600_302600_NS6detail15normal_iteratorINS9_10device_ptrIiEEEESE_i11max_functorIiEiEEDaPvRmT3_T4_T5_mT6_P12ihipStream_tbENKUlT_T0_E_clISt17integral_constantIbLb1EESU_EEDaSP_SQ_EUlSP_E0_NS1_11comp_targetILNS1_3genE4ELNS1_11target_archE910ELNS1_3gpuE8ELNS1_3repE0EEENS1_30default_config_static_selectorELNS0_4arch9wavefront6targetE1EEEvT1_.kd
    .uniform_work_group_size: 1
    .uses_dynamic_stack: false
    .vgpr_count:     19
    .vgpr_spill_count: 0
    .wavefront_size: 64
  - .agpr_count:     0
    .args:
      - .offset:         0
        .size:           32
        .value_kind:     by_value
    .group_segment_fixed_size: 0
    .kernarg_segment_align: 8
    .kernarg_segment_size: 32
    .language:       OpenCL C
    .language_version:
      - 2
      - 0
    .max_flat_workgroup_size: 256
    .name:           _ZN7rocprim17ROCPRIM_400000_NS6detail17trampoline_kernelINS0_14default_configENS1_20scan_config_selectorIiEEZZNS1_9scan_implILNS1_25lookback_scan_determinismE0ELb1ELb1ES3_N6thrust23THRUST_200600_302600_NS6detail15normal_iteratorINS9_10device_ptrIiEEEESE_i11max_functorIiEiEEDaPvRmT3_T4_T5_mT6_P12ihipStream_tbENKUlT_T0_E_clISt17integral_constantIbLb1EESU_EEDaSP_SQ_EUlSP_E0_NS1_11comp_targetILNS1_3genE3ELNS1_11target_archE908ELNS1_3gpuE7ELNS1_3repE0EEENS1_30default_config_static_selectorELNS0_4arch9wavefront6targetE1EEEvT1_
    .private_segment_fixed_size: 0
    .sgpr_count:     4
    .sgpr_spill_count: 0
    .symbol:         _ZN7rocprim17ROCPRIM_400000_NS6detail17trampoline_kernelINS0_14default_configENS1_20scan_config_selectorIiEEZZNS1_9scan_implILNS1_25lookback_scan_determinismE0ELb1ELb1ES3_N6thrust23THRUST_200600_302600_NS6detail15normal_iteratorINS9_10device_ptrIiEEEESE_i11max_functorIiEiEEDaPvRmT3_T4_T5_mT6_P12ihipStream_tbENKUlT_T0_E_clISt17integral_constantIbLb1EESU_EEDaSP_SQ_EUlSP_E0_NS1_11comp_targetILNS1_3genE3ELNS1_11target_archE908ELNS1_3gpuE7ELNS1_3repE0EEENS1_30default_config_static_selectorELNS0_4arch9wavefront6targetE1EEEvT1_.kd
    .uniform_work_group_size: 1
    .uses_dynamic_stack: false
    .vgpr_count:     0
    .vgpr_spill_count: 0
    .wavefront_size: 64
  - .agpr_count:     0
    .args:
      - .offset:         0
        .size:           32
        .value_kind:     by_value
    .group_segment_fixed_size: 0
    .kernarg_segment_align: 8
    .kernarg_segment_size: 32
    .language:       OpenCL C
    .language_version:
      - 2
      - 0
    .max_flat_workgroup_size: 256
    .name:           _ZN7rocprim17ROCPRIM_400000_NS6detail17trampoline_kernelINS0_14default_configENS1_20scan_config_selectorIiEEZZNS1_9scan_implILNS1_25lookback_scan_determinismE0ELb1ELb1ES3_N6thrust23THRUST_200600_302600_NS6detail15normal_iteratorINS9_10device_ptrIiEEEESE_i11max_functorIiEiEEDaPvRmT3_T4_T5_mT6_P12ihipStream_tbENKUlT_T0_E_clISt17integral_constantIbLb1EESU_EEDaSP_SQ_EUlSP_E0_NS1_11comp_targetILNS1_3genE2ELNS1_11target_archE906ELNS1_3gpuE6ELNS1_3repE0EEENS1_30default_config_static_selectorELNS0_4arch9wavefront6targetE1EEEvT1_
    .private_segment_fixed_size: 0
    .sgpr_count:     4
    .sgpr_spill_count: 0
    .symbol:         _ZN7rocprim17ROCPRIM_400000_NS6detail17trampoline_kernelINS0_14default_configENS1_20scan_config_selectorIiEEZZNS1_9scan_implILNS1_25lookback_scan_determinismE0ELb1ELb1ES3_N6thrust23THRUST_200600_302600_NS6detail15normal_iteratorINS9_10device_ptrIiEEEESE_i11max_functorIiEiEEDaPvRmT3_T4_T5_mT6_P12ihipStream_tbENKUlT_T0_E_clISt17integral_constantIbLb1EESU_EEDaSP_SQ_EUlSP_E0_NS1_11comp_targetILNS1_3genE2ELNS1_11target_archE906ELNS1_3gpuE6ELNS1_3repE0EEENS1_30default_config_static_selectorELNS0_4arch9wavefront6targetE1EEEvT1_.kd
    .uniform_work_group_size: 1
    .uses_dynamic_stack: false
    .vgpr_count:     0
    .vgpr_spill_count: 0
    .wavefront_size: 64
  - .agpr_count:     0
    .args:
      - .offset:         0
        .size:           32
        .value_kind:     by_value
    .group_segment_fixed_size: 0
    .kernarg_segment_align: 8
    .kernarg_segment_size: 32
    .language:       OpenCL C
    .language_version:
      - 2
      - 0
    .max_flat_workgroup_size: 256
    .name:           _ZN7rocprim17ROCPRIM_400000_NS6detail17trampoline_kernelINS0_14default_configENS1_20scan_config_selectorIiEEZZNS1_9scan_implILNS1_25lookback_scan_determinismE0ELb1ELb1ES3_N6thrust23THRUST_200600_302600_NS6detail15normal_iteratorINS9_10device_ptrIiEEEESE_i11max_functorIiEiEEDaPvRmT3_T4_T5_mT6_P12ihipStream_tbENKUlT_T0_E_clISt17integral_constantIbLb1EESU_EEDaSP_SQ_EUlSP_E0_NS1_11comp_targetILNS1_3genE10ELNS1_11target_archE1201ELNS1_3gpuE5ELNS1_3repE0EEENS1_30default_config_static_selectorELNS0_4arch9wavefront6targetE1EEEvT1_
    .private_segment_fixed_size: 0
    .sgpr_count:     4
    .sgpr_spill_count: 0
    .symbol:         _ZN7rocprim17ROCPRIM_400000_NS6detail17trampoline_kernelINS0_14default_configENS1_20scan_config_selectorIiEEZZNS1_9scan_implILNS1_25lookback_scan_determinismE0ELb1ELb1ES3_N6thrust23THRUST_200600_302600_NS6detail15normal_iteratorINS9_10device_ptrIiEEEESE_i11max_functorIiEiEEDaPvRmT3_T4_T5_mT6_P12ihipStream_tbENKUlT_T0_E_clISt17integral_constantIbLb1EESU_EEDaSP_SQ_EUlSP_E0_NS1_11comp_targetILNS1_3genE10ELNS1_11target_archE1201ELNS1_3gpuE5ELNS1_3repE0EEENS1_30default_config_static_selectorELNS0_4arch9wavefront6targetE1EEEvT1_.kd
    .uniform_work_group_size: 1
    .uses_dynamic_stack: false
    .vgpr_count:     0
    .vgpr_spill_count: 0
    .wavefront_size: 64
  - .agpr_count:     0
    .args:
      - .offset:         0
        .size:           32
        .value_kind:     by_value
    .group_segment_fixed_size: 0
    .kernarg_segment_align: 8
    .kernarg_segment_size: 32
    .language:       OpenCL C
    .language_version:
      - 2
      - 0
    .max_flat_workgroup_size: 256
    .name:           _ZN7rocprim17ROCPRIM_400000_NS6detail17trampoline_kernelINS0_14default_configENS1_20scan_config_selectorIiEEZZNS1_9scan_implILNS1_25lookback_scan_determinismE0ELb1ELb1ES3_N6thrust23THRUST_200600_302600_NS6detail15normal_iteratorINS9_10device_ptrIiEEEESE_i11max_functorIiEiEEDaPvRmT3_T4_T5_mT6_P12ihipStream_tbENKUlT_T0_E_clISt17integral_constantIbLb1EESU_EEDaSP_SQ_EUlSP_E0_NS1_11comp_targetILNS1_3genE10ELNS1_11target_archE1200ELNS1_3gpuE4ELNS1_3repE0EEENS1_30default_config_static_selectorELNS0_4arch9wavefront6targetE1EEEvT1_
    .private_segment_fixed_size: 0
    .sgpr_count:     4
    .sgpr_spill_count: 0
    .symbol:         _ZN7rocprim17ROCPRIM_400000_NS6detail17trampoline_kernelINS0_14default_configENS1_20scan_config_selectorIiEEZZNS1_9scan_implILNS1_25lookback_scan_determinismE0ELb1ELb1ES3_N6thrust23THRUST_200600_302600_NS6detail15normal_iteratorINS9_10device_ptrIiEEEESE_i11max_functorIiEiEEDaPvRmT3_T4_T5_mT6_P12ihipStream_tbENKUlT_T0_E_clISt17integral_constantIbLb1EESU_EEDaSP_SQ_EUlSP_E0_NS1_11comp_targetILNS1_3genE10ELNS1_11target_archE1200ELNS1_3gpuE4ELNS1_3repE0EEENS1_30default_config_static_selectorELNS0_4arch9wavefront6targetE1EEEvT1_.kd
    .uniform_work_group_size: 1
    .uses_dynamic_stack: false
    .vgpr_count:     0
    .vgpr_spill_count: 0
    .wavefront_size: 64
  - .agpr_count:     0
    .args:
      - .offset:         0
        .size:           32
        .value_kind:     by_value
    .group_segment_fixed_size: 0
    .kernarg_segment_align: 8
    .kernarg_segment_size: 32
    .language:       OpenCL C
    .language_version:
      - 2
      - 0
    .max_flat_workgroup_size: 256
    .name:           _ZN7rocprim17ROCPRIM_400000_NS6detail17trampoline_kernelINS0_14default_configENS1_20scan_config_selectorIiEEZZNS1_9scan_implILNS1_25lookback_scan_determinismE0ELb1ELb1ES3_N6thrust23THRUST_200600_302600_NS6detail15normal_iteratorINS9_10device_ptrIiEEEESE_i11max_functorIiEiEEDaPvRmT3_T4_T5_mT6_P12ihipStream_tbENKUlT_T0_E_clISt17integral_constantIbLb1EESU_EEDaSP_SQ_EUlSP_E0_NS1_11comp_targetILNS1_3genE9ELNS1_11target_archE1100ELNS1_3gpuE3ELNS1_3repE0EEENS1_30default_config_static_selectorELNS0_4arch9wavefront6targetE1EEEvT1_
    .private_segment_fixed_size: 0
    .sgpr_count:     4
    .sgpr_spill_count: 0
    .symbol:         _ZN7rocprim17ROCPRIM_400000_NS6detail17trampoline_kernelINS0_14default_configENS1_20scan_config_selectorIiEEZZNS1_9scan_implILNS1_25lookback_scan_determinismE0ELb1ELb1ES3_N6thrust23THRUST_200600_302600_NS6detail15normal_iteratorINS9_10device_ptrIiEEEESE_i11max_functorIiEiEEDaPvRmT3_T4_T5_mT6_P12ihipStream_tbENKUlT_T0_E_clISt17integral_constantIbLb1EESU_EEDaSP_SQ_EUlSP_E0_NS1_11comp_targetILNS1_3genE9ELNS1_11target_archE1100ELNS1_3gpuE3ELNS1_3repE0EEENS1_30default_config_static_selectorELNS0_4arch9wavefront6targetE1EEEvT1_.kd
    .uniform_work_group_size: 1
    .uses_dynamic_stack: false
    .vgpr_count:     0
    .vgpr_spill_count: 0
    .wavefront_size: 64
  - .agpr_count:     0
    .args:
      - .offset:         0
        .size:           32
        .value_kind:     by_value
    .group_segment_fixed_size: 0
    .kernarg_segment_align: 8
    .kernarg_segment_size: 32
    .language:       OpenCL C
    .language_version:
      - 2
      - 0
    .max_flat_workgroup_size: 64
    .name:           _ZN7rocprim17ROCPRIM_400000_NS6detail17trampoline_kernelINS0_14default_configENS1_20scan_config_selectorIiEEZZNS1_9scan_implILNS1_25lookback_scan_determinismE0ELb1ELb1ES3_N6thrust23THRUST_200600_302600_NS6detail15normal_iteratorINS9_10device_ptrIiEEEESE_i11max_functorIiEiEEDaPvRmT3_T4_T5_mT6_P12ihipStream_tbENKUlT_T0_E_clISt17integral_constantIbLb1EESU_EEDaSP_SQ_EUlSP_E0_NS1_11comp_targetILNS1_3genE8ELNS1_11target_archE1030ELNS1_3gpuE2ELNS1_3repE0EEENS1_30default_config_static_selectorELNS0_4arch9wavefront6targetE1EEEvT1_
    .private_segment_fixed_size: 0
    .sgpr_count:     4
    .sgpr_spill_count: 0
    .symbol:         _ZN7rocprim17ROCPRIM_400000_NS6detail17trampoline_kernelINS0_14default_configENS1_20scan_config_selectorIiEEZZNS1_9scan_implILNS1_25lookback_scan_determinismE0ELb1ELb1ES3_N6thrust23THRUST_200600_302600_NS6detail15normal_iteratorINS9_10device_ptrIiEEEESE_i11max_functorIiEiEEDaPvRmT3_T4_T5_mT6_P12ihipStream_tbENKUlT_T0_E_clISt17integral_constantIbLb1EESU_EEDaSP_SQ_EUlSP_E0_NS1_11comp_targetILNS1_3genE8ELNS1_11target_archE1030ELNS1_3gpuE2ELNS1_3repE0EEENS1_30default_config_static_selectorELNS0_4arch9wavefront6targetE1EEEvT1_.kd
    .uniform_work_group_size: 1
    .uses_dynamic_stack: false
    .vgpr_count:     0
    .vgpr_spill_count: 0
    .wavefront_size: 64
  - .agpr_count:     0
    .args:
      - .offset:         0
        .size:           96
        .value_kind:     by_value
    .group_segment_fixed_size: 0
    .kernarg_segment_align: 8
    .kernarg_segment_size: 96
    .language:       OpenCL C
    .language_version:
      - 2
      - 0
    .max_flat_workgroup_size: 256
    .name:           _ZN7rocprim17ROCPRIM_400000_NS6detail17trampoline_kernelINS0_14default_configENS1_20scan_config_selectorIiEEZZNS1_9scan_implILNS1_25lookback_scan_determinismE0ELb1ELb1ES3_N6thrust23THRUST_200600_302600_NS6detail15normal_iteratorINS9_10device_ptrIiEEEESE_i11max_functorIiEiEEDaPvRmT3_T4_T5_mT6_P12ihipStream_tbENKUlT_T0_E_clISt17integral_constantIbLb1EEST_IbLb0EEEEDaSP_SQ_EUlSP_E_NS1_11comp_targetILNS1_3genE0ELNS1_11target_archE4294967295ELNS1_3gpuE0ELNS1_3repE0EEENS1_30default_config_static_selectorELNS0_4arch9wavefront6targetE1EEEvT1_
    .private_segment_fixed_size: 0
    .sgpr_count:     4
    .sgpr_spill_count: 0
    .symbol:         _ZN7rocprim17ROCPRIM_400000_NS6detail17trampoline_kernelINS0_14default_configENS1_20scan_config_selectorIiEEZZNS1_9scan_implILNS1_25lookback_scan_determinismE0ELb1ELb1ES3_N6thrust23THRUST_200600_302600_NS6detail15normal_iteratorINS9_10device_ptrIiEEEESE_i11max_functorIiEiEEDaPvRmT3_T4_T5_mT6_P12ihipStream_tbENKUlT_T0_E_clISt17integral_constantIbLb1EEST_IbLb0EEEEDaSP_SQ_EUlSP_E_NS1_11comp_targetILNS1_3genE0ELNS1_11target_archE4294967295ELNS1_3gpuE0ELNS1_3repE0EEENS1_30default_config_static_selectorELNS0_4arch9wavefront6targetE1EEEvT1_.kd
    .uniform_work_group_size: 1
    .uses_dynamic_stack: false
    .vgpr_count:     0
    .vgpr_spill_count: 0
    .wavefront_size: 64
  - .agpr_count:     0
    .args:
      - .offset:         0
        .size:           96
        .value_kind:     by_value
    .group_segment_fixed_size: 0
    .kernarg_segment_align: 8
    .kernarg_segment_size: 96
    .language:       OpenCL C
    .language_version:
      - 2
      - 0
    .max_flat_workgroup_size: 256
    .name:           _ZN7rocprim17ROCPRIM_400000_NS6detail17trampoline_kernelINS0_14default_configENS1_20scan_config_selectorIiEEZZNS1_9scan_implILNS1_25lookback_scan_determinismE0ELb1ELb1ES3_N6thrust23THRUST_200600_302600_NS6detail15normal_iteratorINS9_10device_ptrIiEEEESE_i11max_functorIiEiEEDaPvRmT3_T4_T5_mT6_P12ihipStream_tbENKUlT_T0_E_clISt17integral_constantIbLb1EEST_IbLb0EEEEDaSP_SQ_EUlSP_E_NS1_11comp_targetILNS1_3genE5ELNS1_11target_archE942ELNS1_3gpuE9ELNS1_3repE0EEENS1_30default_config_static_selectorELNS0_4arch9wavefront6targetE1EEEvT1_
    .private_segment_fixed_size: 0
    .sgpr_count:     4
    .sgpr_spill_count: 0
    .symbol:         _ZN7rocprim17ROCPRIM_400000_NS6detail17trampoline_kernelINS0_14default_configENS1_20scan_config_selectorIiEEZZNS1_9scan_implILNS1_25lookback_scan_determinismE0ELb1ELb1ES3_N6thrust23THRUST_200600_302600_NS6detail15normal_iteratorINS9_10device_ptrIiEEEESE_i11max_functorIiEiEEDaPvRmT3_T4_T5_mT6_P12ihipStream_tbENKUlT_T0_E_clISt17integral_constantIbLb1EEST_IbLb0EEEEDaSP_SQ_EUlSP_E_NS1_11comp_targetILNS1_3genE5ELNS1_11target_archE942ELNS1_3gpuE9ELNS1_3repE0EEENS1_30default_config_static_selectorELNS0_4arch9wavefront6targetE1EEEvT1_.kd
    .uniform_work_group_size: 1
    .uses_dynamic_stack: false
    .vgpr_count:     0
    .vgpr_spill_count: 0
    .wavefront_size: 64
  - .agpr_count:     0
    .args:
      - .offset:         0
        .size:           96
        .value_kind:     by_value
    .group_segment_fixed_size: 5120
    .kernarg_segment_align: 8
    .kernarg_segment_size: 96
    .language:       OpenCL C
    .language_version:
      - 2
      - 0
    .max_flat_workgroup_size: 128
    .name:           _ZN7rocprim17ROCPRIM_400000_NS6detail17trampoline_kernelINS0_14default_configENS1_20scan_config_selectorIiEEZZNS1_9scan_implILNS1_25lookback_scan_determinismE0ELb1ELb1ES3_N6thrust23THRUST_200600_302600_NS6detail15normal_iteratorINS9_10device_ptrIiEEEESE_i11max_functorIiEiEEDaPvRmT3_T4_T5_mT6_P12ihipStream_tbENKUlT_T0_E_clISt17integral_constantIbLb1EEST_IbLb0EEEEDaSP_SQ_EUlSP_E_NS1_11comp_targetILNS1_3genE4ELNS1_11target_archE910ELNS1_3gpuE8ELNS1_3repE0EEENS1_30default_config_static_selectorELNS0_4arch9wavefront6targetE1EEEvT1_
    .private_segment_fixed_size: 0
    .sgpr_count:     36
    .sgpr_spill_count: 0
    .symbol:         _ZN7rocprim17ROCPRIM_400000_NS6detail17trampoline_kernelINS0_14default_configENS1_20scan_config_selectorIiEEZZNS1_9scan_implILNS1_25lookback_scan_determinismE0ELb1ELb1ES3_N6thrust23THRUST_200600_302600_NS6detail15normal_iteratorINS9_10device_ptrIiEEEESE_i11max_functorIiEiEEDaPvRmT3_T4_T5_mT6_P12ihipStream_tbENKUlT_T0_E_clISt17integral_constantIbLb1EEST_IbLb0EEEEDaSP_SQ_EUlSP_E_NS1_11comp_targetILNS1_3genE4ELNS1_11target_archE910ELNS1_3gpuE8ELNS1_3repE0EEENS1_30default_config_static_selectorELNS0_4arch9wavefront6targetE1EEEvT1_.kd
    .uniform_work_group_size: 1
    .uses_dynamic_stack: false
    .vgpr_count:     41
    .vgpr_spill_count: 0
    .wavefront_size: 64
  - .agpr_count:     0
    .args:
      - .offset:         0
        .size:           96
        .value_kind:     by_value
    .group_segment_fixed_size: 0
    .kernarg_segment_align: 8
    .kernarg_segment_size: 96
    .language:       OpenCL C
    .language_version:
      - 2
      - 0
    .max_flat_workgroup_size: 256
    .name:           _ZN7rocprim17ROCPRIM_400000_NS6detail17trampoline_kernelINS0_14default_configENS1_20scan_config_selectorIiEEZZNS1_9scan_implILNS1_25lookback_scan_determinismE0ELb1ELb1ES3_N6thrust23THRUST_200600_302600_NS6detail15normal_iteratorINS9_10device_ptrIiEEEESE_i11max_functorIiEiEEDaPvRmT3_T4_T5_mT6_P12ihipStream_tbENKUlT_T0_E_clISt17integral_constantIbLb1EEST_IbLb0EEEEDaSP_SQ_EUlSP_E_NS1_11comp_targetILNS1_3genE3ELNS1_11target_archE908ELNS1_3gpuE7ELNS1_3repE0EEENS1_30default_config_static_selectorELNS0_4arch9wavefront6targetE1EEEvT1_
    .private_segment_fixed_size: 0
    .sgpr_count:     4
    .sgpr_spill_count: 0
    .symbol:         _ZN7rocprim17ROCPRIM_400000_NS6detail17trampoline_kernelINS0_14default_configENS1_20scan_config_selectorIiEEZZNS1_9scan_implILNS1_25lookback_scan_determinismE0ELb1ELb1ES3_N6thrust23THRUST_200600_302600_NS6detail15normal_iteratorINS9_10device_ptrIiEEEESE_i11max_functorIiEiEEDaPvRmT3_T4_T5_mT6_P12ihipStream_tbENKUlT_T0_E_clISt17integral_constantIbLb1EEST_IbLb0EEEEDaSP_SQ_EUlSP_E_NS1_11comp_targetILNS1_3genE3ELNS1_11target_archE908ELNS1_3gpuE7ELNS1_3repE0EEENS1_30default_config_static_selectorELNS0_4arch9wavefront6targetE1EEEvT1_.kd
    .uniform_work_group_size: 1
    .uses_dynamic_stack: false
    .vgpr_count:     0
    .vgpr_spill_count: 0
    .wavefront_size: 64
  - .agpr_count:     0
    .args:
      - .offset:         0
        .size:           96
        .value_kind:     by_value
    .group_segment_fixed_size: 0
    .kernarg_segment_align: 8
    .kernarg_segment_size: 96
    .language:       OpenCL C
    .language_version:
      - 2
      - 0
    .max_flat_workgroup_size: 256
    .name:           _ZN7rocprim17ROCPRIM_400000_NS6detail17trampoline_kernelINS0_14default_configENS1_20scan_config_selectorIiEEZZNS1_9scan_implILNS1_25lookback_scan_determinismE0ELb1ELb1ES3_N6thrust23THRUST_200600_302600_NS6detail15normal_iteratorINS9_10device_ptrIiEEEESE_i11max_functorIiEiEEDaPvRmT3_T4_T5_mT6_P12ihipStream_tbENKUlT_T0_E_clISt17integral_constantIbLb1EEST_IbLb0EEEEDaSP_SQ_EUlSP_E_NS1_11comp_targetILNS1_3genE2ELNS1_11target_archE906ELNS1_3gpuE6ELNS1_3repE0EEENS1_30default_config_static_selectorELNS0_4arch9wavefront6targetE1EEEvT1_
    .private_segment_fixed_size: 0
    .sgpr_count:     4
    .sgpr_spill_count: 0
    .symbol:         _ZN7rocprim17ROCPRIM_400000_NS6detail17trampoline_kernelINS0_14default_configENS1_20scan_config_selectorIiEEZZNS1_9scan_implILNS1_25lookback_scan_determinismE0ELb1ELb1ES3_N6thrust23THRUST_200600_302600_NS6detail15normal_iteratorINS9_10device_ptrIiEEEESE_i11max_functorIiEiEEDaPvRmT3_T4_T5_mT6_P12ihipStream_tbENKUlT_T0_E_clISt17integral_constantIbLb1EEST_IbLb0EEEEDaSP_SQ_EUlSP_E_NS1_11comp_targetILNS1_3genE2ELNS1_11target_archE906ELNS1_3gpuE6ELNS1_3repE0EEENS1_30default_config_static_selectorELNS0_4arch9wavefront6targetE1EEEvT1_.kd
    .uniform_work_group_size: 1
    .uses_dynamic_stack: false
    .vgpr_count:     0
    .vgpr_spill_count: 0
    .wavefront_size: 64
  - .agpr_count:     0
    .args:
      - .offset:         0
        .size:           96
        .value_kind:     by_value
    .group_segment_fixed_size: 0
    .kernarg_segment_align: 8
    .kernarg_segment_size: 96
    .language:       OpenCL C
    .language_version:
      - 2
      - 0
    .max_flat_workgroup_size: 256
    .name:           _ZN7rocprim17ROCPRIM_400000_NS6detail17trampoline_kernelINS0_14default_configENS1_20scan_config_selectorIiEEZZNS1_9scan_implILNS1_25lookback_scan_determinismE0ELb1ELb1ES3_N6thrust23THRUST_200600_302600_NS6detail15normal_iteratorINS9_10device_ptrIiEEEESE_i11max_functorIiEiEEDaPvRmT3_T4_T5_mT6_P12ihipStream_tbENKUlT_T0_E_clISt17integral_constantIbLb1EEST_IbLb0EEEEDaSP_SQ_EUlSP_E_NS1_11comp_targetILNS1_3genE10ELNS1_11target_archE1201ELNS1_3gpuE5ELNS1_3repE0EEENS1_30default_config_static_selectorELNS0_4arch9wavefront6targetE1EEEvT1_
    .private_segment_fixed_size: 0
    .sgpr_count:     4
    .sgpr_spill_count: 0
    .symbol:         _ZN7rocprim17ROCPRIM_400000_NS6detail17trampoline_kernelINS0_14default_configENS1_20scan_config_selectorIiEEZZNS1_9scan_implILNS1_25lookback_scan_determinismE0ELb1ELb1ES3_N6thrust23THRUST_200600_302600_NS6detail15normal_iteratorINS9_10device_ptrIiEEEESE_i11max_functorIiEiEEDaPvRmT3_T4_T5_mT6_P12ihipStream_tbENKUlT_T0_E_clISt17integral_constantIbLb1EEST_IbLb0EEEEDaSP_SQ_EUlSP_E_NS1_11comp_targetILNS1_3genE10ELNS1_11target_archE1201ELNS1_3gpuE5ELNS1_3repE0EEENS1_30default_config_static_selectorELNS0_4arch9wavefront6targetE1EEEvT1_.kd
    .uniform_work_group_size: 1
    .uses_dynamic_stack: false
    .vgpr_count:     0
    .vgpr_spill_count: 0
    .wavefront_size: 64
  - .agpr_count:     0
    .args:
      - .offset:         0
        .size:           96
        .value_kind:     by_value
    .group_segment_fixed_size: 0
    .kernarg_segment_align: 8
    .kernarg_segment_size: 96
    .language:       OpenCL C
    .language_version:
      - 2
      - 0
    .max_flat_workgroup_size: 256
    .name:           _ZN7rocprim17ROCPRIM_400000_NS6detail17trampoline_kernelINS0_14default_configENS1_20scan_config_selectorIiEEZZNS1_9scan_implILNS1_25lookback_scan_determinismE0ELb1ELb1ES3_N6thrust23THRUST_200600_302600_NS6detail15normal_iteratorINS9_10device_ptrIiEEEESE_i11max_functorIiEiEEDaPvRmT3_T4_T5_mT6_P12ihipStream_tbENKUlT_T0_E_clISt17integral_constantIbLb1EEST_IbLb0EEEEDaSP_SQ_EUlSP_E_NS1_11comp_targetILNS1_3genE10ELNS1_11target_archE1200ELNS1_3gpuE4ELNS1_3repE0EEENS1_30default_config_static_selectorELNS0_4arch9wavefront6targetE1EEEvT1_
    .private_segment_fixed_size: 0
    .sgpr_count:     4
    .sgpr_spill_count: 0
    .symbol:         _ZN7rocprim17ROCPRIM_400000_NS6detail17trampoline_kernelINS0_14default_configENS1_20scan_config_selectorIiEEZZNS1_9scan_implILNS1_25lookback_scan_determinismE0ELb1ELb1ES3_N6thrust23THRUST_200600_302600_NS6detail15normal_iteratorINS9_10device_ptrIiEEEESE_i11max_functorIiEiEEDaPvRmT3_T4_T5_mT6_P12ihipStream_tbENKUlT_T0_E_clISt17integral_constantIbLb1EEST_IbLb0EEEEDaSP_SQ_EUlSP_E_NS1_11comp_targetILNS1_3genE10ELNS1_11target_archE1200ELNS1_3gpuE4ELNS1_3repE0EEENS1_30default_config_static_selectorELNS0_4arch9wavefront6targetE1EEEvT1_.kd
    .uniform_work_group_size: 1
    .uses_dynamic_stack: false
    .vgpr_count:     0
    .vgpr_spill_count: 0
    .wavefront_size: 64
  - .agpr_count:     0
    .args:
      - .offset:         0
        .size:           96
        .value_kind:     by_value
    .group_segment_fixed_size: 0
    .kernarg_segment_align: 8
    .kernarg_segment_size: 96
    .language:       OpenCL C
    .language_version:
      - 2
      - 0
    .max_flat_workgroup_size: 256
    .name:           _ZN7rocprim17ROCPRIM_400000_NS6detail17trampoline_kernelINS0_14default_configENS1_20scan_config_selectorIiEEZZNS1_9scan_implILNS1_25lookback_scan_determinismE0ELb1ELb1ES3_N6thrust23THRUST_200600_302600_NS6detail15normal_iteratorINS9_10device_ptrIiEEEESE_i11max_functorIiEiEEDaPvRmT3_T4_T5_mT6_P12ihipStream_tbENKUlT_T0_E_clISt17integral_constantIbLb1EEST_IbLb0EEEEDaSP_SQ_EUlSP_E_NS1_11comp_targetILNS1_3genE9ELNS1_11target_archE1100ELNS1_3gpuE3ELNS1_3repE0EEENS1_30default_config_static_selectorELNS0_4arch9wavefront6targetE1EEEvT1_
    .private_segment_fixed_size: 0
    .sgpr_count:     4
    .sgpr_spill_count: 0
    .symbol:         _ZN7rocprim17ROCPRIM_400000_NS6detail17trampoline_kernelINS0_14default_configENS1_20scan_config_selectorIiEEZZNS1_9scan_implILNS1_25lookback_scan_determinismE0ELb1ELb1ES3_N6thrust23THRUST_200600_302600_NS6detail15normal_iteratorINS9_10device_ptrIiEEEESE_i11max_functorIiEiEEDaPvRmT3_T4_T5_mT6_P12ihipStream_tbENKUlT_T0_E_clISt17integral_constantIbLb1EEST_IbLb0EEEEDaSP_SQ_EUlSP_E_NS1_11comp_targetILNS1_3genE9ELNS1_11target_archE1100ELNS1_3gpuE3ELNS1_3repE0EEENS1_30default_config_static_selectorELNS0_4arch9wavefront6targetE1EEEvT1_.kd
    .uniform_work_group_size: 1
    .uses_dynamic_stack: false
    .vgpr_count:     0
    .vgpr_spill_count: 0
    .wavefront_size: 64
  - .agpr_count:     0
    .args:
      - .offset:         0
        .size:           96
        .value_kind:     by_value
    .group_segment_fixed_size: 0
    .kernarg_segment_align: 8
    .kernarg_segment_size: 96
    .language:       OpenCL C
    .language_version:
      - 2
      - 0
    .max_flat_workgroup_size: 64
    .name:           _ZN7rocprim17ROCPRIM_400000_NS6detail17trampoline_kernelINS0_14default_configENS1_20scan_config_selectorIiEEZZNS1_9scan_implILNS1_25lookback_scan_determinismE0ELb1ELb1ES3_N6thrust23THRUST_200600_302600_NS6detail15normal_iteratorINS9_10device_ptrIiEEEESE_i11max_functorIiEiEEDaPvRmT3_T4_T5_mT6_P12ihipStream_tbENKUlT_T0_E_clISt17integral_constantIbLb1EEST_IbLb0EEEEDaSP_SQ_EUlSP_E_NS1_11comp_targetILNS1_3genE8ELNS1_11target_archE1030ELNS1_3gpuE2ELNS1_3repE0EEENS1_30default_config_static_selectorELNS0_4arch9wavefront6targetE1EEEvT1_
    .private_segment_fixed_size: 0
    .sgpr_count:     4
    .sgpr_spill_count: 0
    .symbol:         _ZN7rocprim17ROCPRIM_400000_NS6detail17trampoline_kernelINS0_14default_configENS1_20scan_config_selectorIiEEZZNS1_9scan_implILNS1_25lookback_scan_determinismE0ELb1ELb1ES3_N6thrust23THRUST_200600_302600_NS6detail15normal_iteratorINS9_10device_ptrIiEEEESE_i11max_functorIiEiEEDaPvRmT3_T4_T5_mT6_P12ihipStream_tbENKUlT_T0_E_clISt17integral_constantIbLb1EEST_IbLb0EEEEDaSP_SQ_EUlSP_E_NS1_11comp_targetILNS1_3genE8ELNS1_11target_archE1030ELNS1_3gpuE2ELNS1_3repE0EEENS1_30default_config_static_selectorELNS0_4arch9wavefront6targetE1EEEvT1_.kd
    .uniform_work_group_size: 1
    .uses_dynamic_stack: false
    .vgpr_count:     0
    .vgpr_spill_count: 0
    .wavefront_size: 64
  - .agpr_count:     0
    .args:
      - .offset:         0
        .size:           32
        .value_kind:     by_value
    .group_segment_fixed_size: 0
    .kernarg_segment_align: 8
    .kernarg_segment_size: 32
    .language:       OpenCL C
    .language_version:
      - 2
      - 0
    .max_flat_workgroup_size: 256
    .name:           _ZN7rocprim17ROCPRIM_400000_NS6detail17trampoline_kernelINS0_14default_configENS1_20scan_config_selectorIiEEZZNS1_9scan_implILNS1_25lookback_scan_determinismE0ELb1ELb1ES3_N6thrust23THRUST_200600_302600_NS6detail15normal_iteratorINS9_10device_ptrIiEEEESE_i11max_functorIiEiEEDaPvRmT3_T4_T5_mT6_P12ihipStream_tbENKUlT_T0_E_clISt17integral_constantIbLb1EEST_IbLb0EEEEDaSP_SQ_EUlSP_E0_NS1_11comp_targetILNS1_3genE0ELNS1_11target_archE4294967295ELNS1_3gpuE0ELNS1_3repE0EEENS1_30default_config_static_selectorELNS0_4arch9wavefront6targetE1EEEvT1_
    .private_segment_fixed_size: 0
    .sgpr_count:     4
    .sgpr_spill_count: 0
    .symbol:         _ZN7rocprim17ROCPRIM_400000_NS6detail17trampoline_kernelINS0_14default_configENS1_20scan_config_selectorIiEEZZNS1_9scan_implILNS1_25lookback_scan_determinismE0ELb1ELb1ES3_N6thrust23THRUST_200600_302600_NS6detail15normal_iteratorINS9_10device_ptrIiEEEESE_i11max_functorIiEiEEDaPvRmT3_T4_T5_mT6_P12ihipStream_tbENKUlT_T0_E_clISt17integral_constantIbLb1EEST_IbLb0EEEEDaSP_SQ_EUlSP_E0_NS1_11comp_targetILNS1_3genE0ELNS1_11target_archE4294967295ELNS1_3gpuE0ELNS1_3repE0EEENS1_30default_config_static_selectorELNS0_4arch9wavefront6targetE1EEEvT1_.kd
    .uniform_work_group_size: 1
    .uses_dynamic_stack: false
    .vgpr_count:     0
    .vgpr_spill_count: 0
    .wavefront_size: 64
  - .agpr_count:     0
    .args:
      - .offset:         0
        .size:           32
        .value_kind:     by_value
    .group_segment_fixed_size: 0
    .kernarg_segment_align: 8
    .kernarg_segment_size: 32
    .language:       OpenCL C
    .language_version:
      - 2
      - 0
    .max_flat_workgroup_size: 256
    .name:           _ZN7rocprim17ROCPRIM_400000_NS6detail17trampoline_kernelINS0_14default_configENS1_20scan_config_selectorIiEEZZNS1_9scan_implILNS1_25lookback_scan_determinismE0ELb1ELb1ES3_N6thrust23THRUST_200600_302600_NS6detail15normal_iteratorINS9_10device_ptrIiEEEESE_i11max_functorIiEiEEDaPvRmT3_T4_T5_mT6_P12ihipStream_tbENKUlT_T0_E_clISt17integral_constantIbLb1EEST_IbLb0EEEEDaSP_SQ_EUlSP_E0_NS1_11comp_targetILNS1_3genE5ELNS1_11target_archE942ELNS1_3gpuE9ELNS1_3repE0EEENS1_30default_config_static_selectorELNS0_4arch9wavefront6targetE1EEEvT1_
    .private_segment_fixed_size: 0
    .sgpr_count:     4
    .sgpr_spill_count: 0
    .symbol:         _ZN7rocprim17ROCPRIM_400000_NS6detail17trampoline_kernelINS0_14default_configENS1_20scan_config_selectorIiEEZZNS1_9scan_implILNS1_25lookback_scan_determinismE0ELb1ELb1ES3_N6thrust23THRUST_200600_302600_NS6detail15normal_iteratorINS9_10device_ptrIiEEEESE_i11max_functorIiEiEEDaPvRmT3_T4_T5_mT6_P12ihipStream_tbENKUlT_T0_E_clISt17integral_constantIbLb1EEST_IbLb0EEEEDaSP_SQ_EUlSP_E0_NS1_11comp_targetILNS1_3genE5ELNS1_11target_archE942ELNS1_3gpuE9ELNS1_3repE0EEENS1_30default_config_static_selectorELNS0_4arch9wavefront6targetE1EEEvT1_.kd
    .uniform_work_group_size: 1
    .uses_dynamic_stack: false
    .vgpr_count:     0
    .vgpr_spill_count: 0
    .wavefront_size: 64
  - .agpr_count:     0
    .args:
      - .offset:         0
        .size:           32
        .value_kind:     by_value
    .group_segment_fixed_size: 5120
    .kernarg_segment_align: 8
    .kernarg_segment_size: 32
    .language:       OpenCL C
    .language_version:
      - 2
      - 0
    .max_flat_workgroup_size: 128
    .name:           _ZN7rocprim17ROCPRIM_400000_NS6detail17trampoline_kernelINS0_14default_configENS1_20scan_config_selectorIiEEZZNS1_9scan_implILNS1_25lookback_scan_determinismE0ELb1ELb1ES3_N6thrust23THRUST_200600_302600_NS6detail15normal_iteratorINS9_10device_ptrIiEEEESE_i11max_functorIiEiEEDaPvRmT3_T4_T5_mT6_P12ihipStream_tbENKUlT_T0_E_clISt17integral_constantIbLb1EEST_IbLb0EEEEDaSP_SQ_EUlSP_E0_NS1_11comp_targetILNS1_3genE4ELNS1_11target_archE910ELNS1_3gpuE8ELNS1_3repE0EEENS1_30default_config_static_selectorELNS0_4arch9wavefront6targetE1EEEvT1_
    .private_segment_fixed_size: 0
    .sgpr_count:     29
    .sgpr_spill_count: 0
    .symbol:         _ZN7rocprim17ROCPRIM_400000_NS6detail17trampoline_kernelINS0_14default_configENS1_20scan_config_selectorIiEEZZNS1_9scan_implILNS1_25lookback_scan_determinismE0ELb1ELb1ES3_N6thrust23THRUST_200600_302600_NS6detail15normal_iteratorINS9_10device_ptrIiEEEESE_i11max_functorIiEiEEDaPvRmT3_T4_T5_mT6_P12ihipStream_tbENKUlT_T0_E_clISt17integral_constantIbLb1EEST_IbLb0EEEEDaSP_SQ_EUlSP_E0_NS1_11comp_targetILNS1_3genE4ELNS1_11target_archE910ELNS1_3gpuE8ELNS1_3repE0EEENS1_30default_config_static_selectorELNS0_4arch9wavefront6targetE1EEEvT1_.kd
    .uniform_work_group_size: 1
    .uses_dynamic_stack: false
    .vgpr_count:     19
    .vgpr_spill_count: 0
    .wavefront_size: 64
  - .agpr_count:     0
    .args:
      - .offset:         0
        .size:           32
        .value_kind:     by_value
    .group_segment_fixed_size: 0
    .kernarg_segment_align: 8
    .kernarg_segment_size: 32
    .language:       OpenCL C
    .language_version:
      - 2
      - 0
    .max_flat_workgroup_size: 256
    .name:           _ZN7rocprim17ROCPRIM_400000_NS6detail17trampoline_kernelINS0_14default_configENS1_20scan_config_selectorIiEEZZNS1_9scan_implILNS1_25lookback_scan_determinismE0ELb1ELb1ES3_N6thrust23THRUST_200600_302600_NS6detail15normal_iteratorINS9_10device_ptrIiEEEESE_i11max_functorIiEiEEDaPvRmT3_T4_T5_mT6_P12ihipStream_tbENKUlT_T0_E_clISt17integral_constantIbLb1EEST_IbLb0EEEEDaSP_SQ_EUlSP_E0_NS1_11comp_targetILNS1_3genE3ELNS1_11target_archE908ELNS1_3gpuE7ELNS1_3repE0EEENS1_30default_config_static_selectorELNS0_4arch9wavefront6targetE1EEEvT1_
    .private_segment_fixed_size: 0
    .sgpr_count:     4
    .sgpr_spill_count: 0
    .symbol:         _ZN7rocprim17ROCPRIM_400000_NS6detail17trampoline_kernelINS0_14default_configENS1_20scan_config_selectorIiEEZZNS1_9scan_implILNS1_25lookback_scan_determinismE0ELb1ELb1ES3_N6thrust23THRUST_200600_302600_NS6detail15normal_iteratorINS9_10device_ptrIiEEEESE_i11max_functorIiEiEEDaPvRmT3_T4_T5_mT6_P12ihipStream_tbENKUlT_T0_E_clISt17integral_constantIbLb1EEST_IbLb0EEEEDaSP_SQ_EUlSP_E0_NS1_11comp_targetILNS1_3genE3ELNS1_11target_archE908ELNS1_3gpuE7ELNS1_3repE0EEENS1_30default_config_static_selectorELNS0_4arch9wavefront6targetE1EEEvT1_.kd
    .uniform_work_group_size: 1
    .uses_dynamic_stack: false
    .vgpr_count:     0
    .vgpr_spill_count: 0
    .wavefront_size: 64
  - .agpr_count:     0
    .args:
      - .offset:         0
        .size:           32
        .value_kind:     by_value
    .group_segment_fixed_size: 0
    .kernarg_segment_align: 8
    .kernarg_segment_size: 32
    .language:       OpenCL C
    .language_version:
      - 2
      - 0
    .max_flat_workgroup_size: 256
    .name:           _ZN7rocprim17ROCPRIM_400000_NS6detail17trampoline_kernelINS0_14default_configENS1_20scan_config_selectorIiEEZZNS1_9scan_implILNS1_25lookback_scan_determinismE0ELb1ELb1ES3_N6thrust23THRUST_200600_302600_NS6detail15normal_iteratorINS9_10device_ptrIiEEEESE_i11max_functorIiEiEEDaPvRmT3_T4_T5_mT6_P12ihipStream_tbENKUlT_T0_E_clISt17integral_constantIbLb1EEST_IbLb0EEEEDaSP_SQ_EUlSP_E0_NS1_11comp_targetILNS1_3genE2ELNS1_11target_archE906ELNS1_3gpuE6ELNS1_3repE0EEENS1_30default_config_static_selectorELNS0_4arch9wavefront6targetE1EEEvT1_
    .private_segment_fixed_size: 0
    .sgpr_count:     4
    .sgpr_spill_count: 0
    .symbol:         _ZN7rocprim17ROCPRIM_400000_NS6detail17trampoline_kernelINS0_14default_configENS1_20scan_config_selectorIiEEZZNS1_9scan_implILNS1_25lookback_scan_determinismE0ELb1ELb1ES3_N6thrust23THRUST_200600_302600_NS6detail15normal_iteratorINS9_10device_ptrIiEEEESE_i11max_functorIiEiEEDaPvRmT3_T4_T5_mT6_P12ihipStream_tbENKUlT_T0_E_clISt17integral_constantIbLb1EEST_IbLb0EEEEDaSP_SQ_EUlSP_E0_NS1_11comp_targetILNS1_3genE2ELNS1_11target_archE906ELNS1_3gpuE6ELNS1_3repE0EEENS1_30default_config_static_selectorELNS0_4arch9wavefront6targetE1EEEvT1_.kd
    .uniform_work_group_size: 1
    .uses_dynamic_stack: false
    .vgpr_count:     0
    .vgpr_spill_count: 0
    .wavefront_size: 64
  - .agpr_count:     0
    .args:
      - .offset:         0
        .size:           32
        .value_kind:     by_value
    .group_segment_fixed_size: 0
    .kernarg_segment_align: 8
    .kernarg_segment_size: 32
    .language:       OpenCL C
    .language_version:
      - 2
      - 0
    .max_flat_workgroup_size: 256
    .name:           _ZN7rocprim17ROCPRIM_400000_NS6detail17trampoline_kernelINS0_14default_configENS1_20scan_config_selectorIiEEZZNS1_9scan_implILNS1_25lookback_scan_determinismE0ELb1ELb1ES3_N6thrust23THRUST_200600_302600_NS6detail15normal_iteratorINS9_10device_ptrIiEEEESE_i11max_functorIiEiEEDaPvRmT3_T4_T5_mT6_P12ihipStream_tbENKUlT_T0_E_clISt17integral_constantIbLb1EEST_IbLb0EEEEDaSP_SQ_EUlSP_E0_NS1_11comp_targetILNS1_3genE10ELNS1_11target_archE1201ELNS1_3gpuE5ELNS1_3repE0EEENS1_30default_config_static_selectorELNS0_4arch9wavefront6targetE1EEEvT1_
    .private_segment_fixed_size: 0
    .sgpr_count:     4
    .sgpr_spill_count: 0
    .symbol:         _ZN7rocprim17ROCPRIM_400000_NS6detail17trampoline_kernelINS0_14default_configENS1_20scan_config_selectorIiEEZZNS1_9scan_implILNS1_25lookback_scan_determinismE0ELb1ELb1ES3_N6thrust23THRUST_200600_302600_NS6detail15normal_iteratorINS9_10device_ptrIiEEEESE_i11max_functorIiEiEEDaPvRmT3_T4_T5_mT6_P12ihipStream_tbENKUlT_T0_E_clISt17integral_constantIbLb1EEST_IbLb0EEEEDaSP_SQ_EUlSP_E0_NS1_11comp_targetILNS1_3genE10ELNS1_11target_archE1201ELNS1_3gpuE5ELNS1_3repE0EEENS1_30default_config_static_selectorELNS0_4arch9wavefront6targetE1EEEvT1_.kd
    .uniform_work_group_size: 1
    .uses_dynamic_stack: false
    .vgpr_count:     0
    .vgpr_spill_count: 0
    .wavefront_size: 64
  - .agpr_count:     0
    .args:
      - .offset:         0
        .size:           32
        .value_kind:     by_value
    .group_segment_fixed_size: 0
    .kernarg_segment_align: 8
    .kernarg_segment_size: 32
    .language:       OpenCL C
    .language_version:
      - 2
      - 0
    .max_flat_workgroup_size: 256
    .name:           _ZN7rocprim17ROCPRIM_400000_NS6detail17trampoline_kernelINS0_14default_configENS1_20scan_config_selectorIiEEZZNS1_9scan_implILNS1_25lookback_scan_determinismE0ELb1ELb1ES3_N6thrust23THRUST_200600_302600_NS6detail15normal_iteratorINS9_10device_ptrIiEEEESE_i11max_functorIiEiEEDaPvRmT3_T4_T5_mT6_P12ihipStream_tbENKUlT_T0_E_clISt17integral_constantIbLb1EEST_IbLb0EEEEDaSP_SQ_EUlSP_E0_NS1_11comp_targetILNS1_3genE10ELNS1_11target_archE1200ELNS1_3gpuE4ELNS1_3repE0EEENS1_30default_config_static_selectorELNS0_4arch9wavefront6targetE1EEEvT1_
    .private_segment_fixed_size: 0
    .sgpr_count:     4
    .sgpr_spill_count: 0
    .symbol:         _ZN7rocprim17ROCPRIM_400000_NS6detail17trampoline_kernelINS0_14default_configENS1_20scan_config_selectorIiEEZZNS1_9scan_implILNS1_25lookback_scan_determinismE0ELb1ELb1ES3_N6thrust23THRUST_200600_302600_NS6detail15normal_iteratorINS9_10device_ptrIiEEEESE_i11max_functorIiEiEEDaPvRmT3_T4_T5_mT6_P12ihipStream_tbENKUlT_T0_E_clISt17integral_constantIbLb1EEST_IbLb0EEEEDaSP_SQ_EUlSP_E0_NS1_11comp_targetILNS1_3genE10ELNS1_11target_archE1200ELNS1_3gpuE4ELNS1_3repE0EEENS1_30default_config_static_selectorELNS0_4arch9wavefront6targetE1EEEvT1_.kd
    .uniform_work_group_size: 1
    .uses_dynamic_stack: false
    .vgpr_count:     0
    .vgpr_spill_count: 0
    .wavefront_size: 64
  - .agpr_count:     0
    .args:
      - .offset:         0
        .size:           32
        .value_kind:     by_value
    .group_segment_fixed_size: 0
    .kernarg_segment_align: 8
    .kernarg_segment_size: 32
    .language:       OpenCL C
    .language_version:
      - 2
      - 0
    .max_flat_workgroup_size: 256
    .name:           _ZN7rocprim17ROCPRIM_400000_NS6detail17trampoline_kernelINS0_14default_configENS1_20scan_config_selectorIiEEZZNS1_9scan_implILNS1_25lookback_scan_determinismE0ELb1ELb1ES3_N6thrust23THRUST_200600_302600_NS6detail15normal_iteratorINS9_10device_ptrIiEEEESE_i11max_functorIiEiEEDaPvRmT3_T4_T5_mT6_P12ihipStream_tbENKUlT_T0_E_clISt17integral_constantIbLb1EEST_IbLb0EEEEDaSP_SQ_EUlSP_E0_NS1_11comp_targetILNS1_3genE9ELNS1_11target_archE1100ELNS1_3gpuE3ELNS1_3repE0EEENS1_30default_config_static_selectorELNS0_4arch9wavefront6targetE1EEEvT1_
    .private_segment_fixed_size: 0
    .sgpr_count:     4
    .sgpr_spill_count: 0
    .symbol:         _ZN7rocprim17ROCPRIM_400000_NS6detail17trampoline_kernelINS0_14default_configENS1_20scan_config_selectorIiEEZZNS1_9scan_implILNS1_25lookback_scan_determinismE0ELb1ELb1ES3_N6thrust23THRUST_200600_302600_NS6detail15normal_iteratorINS9_10device_ptrIiEEEESE_i11max_functorIiEiEEDaPvRmT3_T4_T5_mT6_P12ihipStream_tbENKUlT_T0_E_clISt17integral_constantIbLb1EEST_IbLb0EEEEDaSP_SQ_EUlSP_E0_NS1_11comp_targetILNS1_3genE9ELNS1_11target_archE1100ELNS1_3gpuE3ELNS1_3repE0EEENS1_30default_config_static_selectorELNS0_4arch9wavefront6targetE1EEEvT1_.kd
    .uniform_work_group_size: 1
    .uses_dynamic_stack: false
    .vgpr_count:     0
    .vgpr_spill_count: 0
    .wavefront_size: 64
  - .agpr_count:     0
    .args:
      - .offset:         0
        .size:           32
        .value_kind:     by_value
    .group_segment_fixed_size: 0
    .kernarg_segment_align: 8
    .kernarg_segment_size: 32
    .language:       OpenCL C
    .language_version:
      - 2
      - 0
    .max_flat_workgroup_size: 64
    .name:           _ZN7rocprim17ROCPRIM_400000_NS6detail17trampoline_kernelINS0_14default_configENS1_20scan_config_selectorIiEEZZNS1_9scan_implILNS1_25lookback_scan_determinismE0ELb1ELb1ES3_N6thrust23THRUST_200600_302600_NS6detail15normal_iteratorINS9_10device_ptrIiEEEESE_i11max_functorIiEiEEDaPvRmT3_T4_T5_mT6_P12ihipStream_tbENKUlT_T0_E_clISt17integral_constantIbLb1EEST_IbLb0EEEEDaSP_SQ_EUlSP_E0_NS1_11comp_targetILNS1_3genE8ELNS1_11target_archE1030ELNS1_3gpuE2ELNS1_3repE0EEENS1_30default_config_static_selectorELNS0_4arch9wavefront6targetE1EEEvT1_
    .private_segment_fixed_size: 0
    .sgpr_count:     4
    .sgpr_spill_count: 0
    .symbol:         _ZN7rocprim17ROCPRIM_400000_NS6detail17trampoline_kernelINS0_14default_configENS1_20scan_config_selectorIiEEZZNS1_9scan_implILNS1_25lookback_scan_determinismE0ELb1ELb1ES3_N6thrust23THRUST_200600_302600_NS6detail15normal_iteratorINS9_10device_ptrIiEEEESE_i11max_functorIiEiEEDaPvRmT3_T4_T5_mT6_P12ihipStream_tbENKUlT_T0_E_clISt17integral_constantIbLb1EEST_IbLb0EEEEDaSP_SQ_EUlSP_E0_NS1_11comp_targetILNS1_3genE8ELNS1_11target_archE1030ELNS1_3gpuE2ELNS1_3repE0EEENS1_30default_config_static_selectorELNS0_4arch9wavefront6targetE1EEEvT1_.kd
    .uniform_work_group_size: 1
    .uses_dynamic_stack: false
    .vgpr_count:     0
    .vgpr_spill_count: 0
    .wavefront_size: 64
  - .agpr_count:     0
    .args:
      - .offset:         0
        .size:           96
        .value_kind:     by_value
    .group_segment_fixed_size: 0
    .kernarg_segment_align: 8
    .kernarg_segment_size: 96
    .language:       OpenCL C
    .language_version:
      - 2
      - 0
    .max_flat_workgroup_size: 256
    .name:           _ZN7rocprim17ROCPRIM_400000_NS6detail17trampoline_kernelINS0_14default_configENS1_20scan_config_selectorIiEEZZNS1_9scan_implILNS1_25lookback_scan_determinismE0ELb1ELb1ES3_N6thrust23THRUST_200600_302600_NS6detail15normal_iteratorINS9_10device_ptrIiEEEESE_i11max_functorIiEiEEDaPvRmT3_T4_T5_mT6_P12ihipStream_tbENKUlT_T0_E_clISt17integral_constantIbLb0EEST_IbLb1EEEEDaSP_SQ_EUlSP_E_NS1_11comp_targetILNS1_3genE0ELNS1_11target_archE4294967295ELNS1_3gpuE0ELNS1_3repE0EEENS1_30default_config_static_selectorELNS0_4arch9wavefront6targetE1EEEvT1_
    .private_segment_fixed_size: 0
    .sgpr_count:     4
    .sgpr_spill_count: 0
    .symbol:         _ZN7rocprim17ROCPRIM_400000_NS6detail17trampoline_kernelINS0_14default_configENS1_20scan_config_selectorIiEEZZNS1_9scan_implILNS1_25lookback_scan_determinismE0ELb1ELb1ES3_N6thrust23THRUST_200600_302600_NS6detail15normal_iteratorINS9_10device_ptrIiEEEESE_i11max_functorIiEiEEDaPvRmT3_T4_T5_mT6_P12ihipStream_tbENKUlT_T0_E_clISt17integral_constantIbLb0EEST_IbLb1EEEEDaSP_SQ_EUlSP_E_NS1_11comp_targetILNS1_3genE0ELNS1_11target_archE4294967295ELNS1_3gpuE0ELNS1_3repE0EEENS1_30default_config_static_selectorELNS0_4arch9wavefront6targetE1EEEvT1_.kd
    .uniform_work_group_size: 1
    .uses_dynamic_stack: false
    .vgpr_count:     0
    .vgpr_spill_count: 0
    .wavefront_size: 64
  - .agpr_count:     0
    .args:
      - .offset:         0
        .size:           96
        .value_kind:     by_value
    .group_segment_fixed_size: 0
    .kernarg_segment_align: 8
    .kernarg_segment_size: 96
    .language:       OpenCL C
    .language_version:
      - 2
      - 0
    .max_flat_workgroup_size: 256
    .name:           _ZN7rocprim17ROCPRIM_400000_NS6detail17trampoline_kernelINS0_14default_configENS1_20scan_config_selectorIiEEZZNS1_9scan_implILNS1_25lookback_scan_determinismE0ELb1ELb1ES3_N6thrust23THRUST_200600_302600_NS6detail15normal_iteratorINS9_10device_ptrIiEEEESE_i11max_functorIiEiEEDaPvRmT3_T4_T5_mT6_P12ihipStream_tbENKUlT_T0_E_clISt17integral_constantIbLb0EEST_IbLb1EEEEDaSP_SQ_EUlSP_E_NS1_11comp_targetILNS1_3genE5ELNS1_11target_archE942ELNS1_3gpuE9ELNS1_3repE0EEENS1_30default_config_static_selectorELNS0_4arch9wavefront6targetE1EEEvT1_
    .private_segment_fixed_size: 0
    .sgpr_count:     4
    .sgpr_spill_count: 0
    .symbol:         _ZN7rocprim17ROCPRIM_400000_NS6detail17trampoline_kernelINS0_14default_configENS1_20scan_config_selectorIiEEZZNS1_9scan_implILNS1_25lookback_scan_determinismE0ELb1ELb1ES3_N6thrust23THRUST_200600_302600_NS6detail15normal_iteratorINS9_10device_ptrIiEEEESE_i11max_functorIiEiEEDaPvRmT3_T4_T5_mT6_P12ihipStream_tbENKUlT_T0_E_clISt17integral_constantIbLb0EEST_IbLb1EEEEDaSP_SQ_EUlSP_E_NS1_11comp_targetILNS1_3genE5ELNS1_11target_archE942ELNS1_3gpuE9ELNS1_3repE0EEENS1_30default_config_static_selectorELNS0_4arch9wavefront6targetE1EEEvT1_.kd
    .uniform_work_group_size: 1
    .uses_dynamic_stack: false
    .vgpr_count:     0
    .vgpr_spill_count: 0
    .wavefront_size: 64
  - .agpr_count:     0
    .args:
      - .offset:         0
        .size:           96
        .value_kind:     by_value
    .group_segment_fixed_size: 5120
    .kernarg_segment_align: 8
    .kernarg_segment_size: 96
    .language:       OpenCL C
    .language_version:
      - 2
      - 0
    .max_flat_workgroup_size: 128
    .name:           _ZN7rocprim17ROCPRIM_400000_NS6detail17trampoline_kernelINS0_14default_configENS1_20scan_config_selectorIiEEZZNS1_9scan_implILNS1_25lookback_scan_determinismE0ELb1ELb1ES3_N6thrust23THRUST_200600_302600_NS6detail15normal_iteratorINS9_10device_ptrIiEEEESE_i11max_functorIiEiEEDaPvRmT3_T4_T5_mT6_P12ihipStream_tbENKUlT_T0_E_clISt17integral_constantIbLb0EEST_IbLb1EEEEDaSP_SQ_EUlSP_E_NS1_11comp_targetILNS1_3genE4ELNS1_11target_archE910ELNS1_3gpuE8ELNS1_3repE0EEENS1_30default_config_static_selectorELNS0_4arch9wavefront6targetE1EEEvT1_
    .private_segment_fixed_size: 0
    .sgpr_count:     44
    .sgpr_spill_count: 0
    .symbol:         _ZN7rocprim17ROCPRIM_400000_NS6detail17trampoline_kernelINS0_14default_configENS1_20scan_config_selectorIiEEZZNS1_9scan_implILNS1_25lookback_scan_determinismE0ELb1ELb1ES3_N6thrust23THRUST_200600_302600_NS6detail15normal_iteratorINS9_10device_ptrIiEEEESE_i11max_functorIiEiEEDaPvRmT3_T4_T5_mT6_P12ihipStream_tbENKUlT_T0_E_clISt17integral_constantIbLb0EEST_IbLb1EEEEDaSP_SQ_EUlSP_E_NS1_11comp_targetILNS1_3genE4ELNS1_11target_archE910ELNS1_3gpuE8ELNS1_3repE0EEENS1_30default_config_static_selectorELNS0_4arch9wavefront6targetE1EEEvT1_.kd
    .uniform_work_group_size: 1
    .uses_dynamic_stack: false
    .vgpr_count:     41
    .vgpr_spill_count: 0
    .wavefront_size: 64
  - .agpr_count:     0
    .args:
      - .offset:         0
        .size:           96
        .value_kind:     by_value
    .group_segment_fixed_size: 0
    .kernarg_segment_align: 8
    .kernarg_segment_size: 96
    .language:       OpenCL C
    .language_version:
      - 2
      - 0
    .max_flat_workgroup_size: 256
    .name:           _ZN7rocprim17ROCPRIM_400000_NS6detail17trampoline_kernelINS0_14default_configENS1_20scan_config_selectorIiEEZZNS1_9scan_implILNS1_25lookback_scan_determinismE0ELb1ELb1ES3_N6thrust23THRUST_200600_302600_NS6detail15normal_iteratorINS9_10device_ptrIiEEEESE_i11max_functorIiEiEEDaPvRmT3_T4_T5_mT6_P12ihipStream_tbENKUlT_T0_E_clISt17integral_constantIbLb0EEST_IbLb1EEEEDaSP_SQ_EUlSP_E_NS1_11comp_targetILNS1_3genE3ELNS1_11target_archE908ELNS1_3gpuE7ELNS1_3repE0EEENS1_30default_config_static_selectorELNS0_4arch9wavefront6targetE1EEEvT1_
    .private_segment_fixed_size: 0
    .sgpr_count:     4
    .sgpr_spill_count: 0
    .symbol:         _ZN7rocprim17ROCPRIM_400000_NS6detail17trampoline_kernelINS0_14default_configENS1_20scan_config_selectorIiEEZZNS1_9scan_implILNS1_25lookback_scan_determinismE0ELb1ELb1ES3_N6thrust23THRUST_200600_302600_NS6detail15normal_iteratorINS9_10device_ptrIiEEEESE_i11max_functorIiEiEEDaPvRmT3_T4_T5_mT6_P12ihipStream_tbENKUlT_T0_E_clISt17integral_constantIbLb0EEST_IbLb1EEEEDaSP_SQ_EUlSP_E_NS1_11comp_targetILNS1_3genE3ELNS1_11target_archE908ELNS1_3gpuE7ELNS1_3repE0EEENS1_30default_config_static_selectorELNS0_4arch9wavefront6targetE1EEEvT1_.kd
    .uniform_work_group_size: 1
    .uses_dynamic_stack: false
    .vgpr_count:     0
    .vgpr_spill_count: 0
    .wavefront_size: 64
  - .agpr_count:     0
    .args:
      - .offset:         0
        .size:           96
        .value_kind:     by_value
    .group_segment_fixed_size: 0
    .kernarg_segment_align: 8
    .kernarg_segment_size: 96
    .language:       OpenCL C
    .language_version:
      - 2
      - 0
    .max_flat_workgroup_size: 256
    .name:           _ZN7rocprim17ROCPRIM_400000_NS6detail17trampoline_kernelINS0_14default_configENS1_20scan_config_selectorIiEEZZNS1_9scan_implILNS1_25lookback_scan_determinismE0ELb1ELb1ES3_N6thrust23THRUST_200600_302600_NS6detail15normal_iteratorINS9_10device_ptrIiEEEESE_i11max_functorIiEiEEDaPvRmT3_T4_T5_mT6_P12ihipStream_tbENKUlT_T0_E_clISt17integral_constantIbLb0EEST_IbLb1EEEEDaSP_SQ_EUlSP_E_NS1_11comp_targetILNS1_3genE2ELNS1_11target_archE906ELNS1_3gpuE6ELNS1_3repE0EEENS1_30default_config_static_selectorELNS0_4arch9wavefront6targetE1EEEvT1_
    .private_segment_fixed_size: 0
    .sgpr_count:     4
    .sgpr_spill_count: 0
    .symbol:         _ZN7rocprim17ROCPRIM_400000_NS6detail17trampoline_kernelINS0_14default_configENS1_20scan_config_selectorIiEEZZNS1_9scan_implILNS1_25lookback_scan_determinismE0ELb1ELb1ES3_N6thrust23THRUST_200600_302600_NS6detail15normal_iteratorINS9_10device_ptrIiEEEESE_i11max_functorIiEiEEDaPvRmT3_T4_T5_mT6_P12ihipStream_tbENKUlT_T0_E_clISt17integral_constantIbLb0EEST_IbLb1EEEEDaSP_SQ_EUlSP_E_NS1_11comp_targetILNS1_3genE2ELNS1_11target_archE906ELNS1_3gpuE6ELNS1_3repE0EEENS1_30default_config_static_selectorELNS0_4arch9wavefront6targetE1EEEvT1_.kd
    .uniform_work_group_size: 1
    .uses_dynamic_stack: false
    .vgpr_count:     0
    .vgpr_spill_count: 0
    .wavefront_size: 64
  - .agpr_count:     0
    .args:
      - .offset:         0
        .size:           96
        .value_kind:     by_value
    .group_segment_fixed_size: 0
    .kernarg_segment_align: 8
    .kernarg_segment_size: 96
    .language:       OpenCL C
    .language_version:
      - 2
      - 0
    .max_flat_workgroup_size: 256
    .name:           _ZN7rocprim17ROCPRIM_400000_NS6detail17trampoline_kernelINS0_14default_configENS1_20scan_config_selectorIiEEZZNS1_9scan_implILNS1_25lookback_scan_determinismE0ELb1ELb1ES3_N6thrust23THRUST_200600_302600_NS6detail15normal_iteratorINS9_10device_ptrIiEEEESE_i11max_functorIiEiEEDaPvRmT3_T4_T5_mT6_P12ihipStream_tbENKUlT_T0_E_clISt17integral_constantIbLb0EEST_IbLb1EEEEDaSP_SQ_EUlSP_E_NS1_11comp_targetILNS1_3genE10ELNS1_11target_archE1201ELNS1_3gpuE5ELNS1_3repE0EEENS1_30default_config_static_selectorELNS0_4arch9wavefront6targetE1EEEvT1_
    .private_segment_fixed_size: 0
    .sgpr_count:     4
    .sgpr_spill_count: 0
    .symbol:         _ZN7rocprim17ROCPRIM_400000_NS6detail17trampoline_kernelINS0_14default_configENS1_20scan_config_selectorIiEEZZNS1_9scan_implILNS1_25lookback_scan_determinismE0ELb1ELb1ES3_N6thrust23THRUST_200600_302600_NS6detail15normal_iteratorINS9_10device_ptrIiEEEESE_i11max_functorIiEiEEDaPvRmT3_T4_T5_mT6_P12ihipStream_tbENKUlT_T0_E_clISt17integral_constantIbLb0EEST_IbLb1EEEEDaSP_SQ_EUlSP_E_NS1_11comp_targetILNS1_3genE10ELNS1_11target_archE1201ELNS1_3gpuE5ELNS1_3repE0EEENS1_30default_config_static_selectorELNS0_4arch9wavefront6targetE1EEEvT1_.kd
    .uniform_work_group_size: 1
    .uses_dynamic_stack: false
    .vgpr_count:     0
    .vgpr_spill_count: 0
    .wavefront_size: 64
  - .agpr_count:     0
    .args:
      - .offset:         0
        .size:           96
        .value_kind:     by_value
    .group_segment_fixed_size: 0
    .kernarg_segment_align: 8
    .kernarg_segment_size: 96
    .language:       OpenCL C
    .language_version:
      - 2
      - 0
    .max_flat_workgroup_size: 256
    .name:           _ZN7rocprim17ROCPRIM_400000_NS6detail17trampoline_kernelINS0_14default_configENS1_20scan_config_selectorIiEEZZNS1_9scan_implILNS1_25lookback_scan_determinismE0ELb1ELb1ES3_N6thrust23THRUST_200600_302600_NS6detail15normal_iteratorINS9_10device_ptrIiEEEESE_i11max_functorIiEiEEDaPvRmT3_T4_T5_mT6_P12ihipStream_tbENKUlT_T0_E_clISt17integral_constantIbLb0EEST_IbLb1EEEEDaSP_SQ_EUlSP_E_NS1_11comp_targetILNS1_3genE10ELNS1_11target_archE1200ELNS1_3gpuE4ELNS1_3repE0EEENS1_30default_config_static_selectorELNS0_4arch9wavefront6targetE1EEEvT1_
    .private_segment_fixed_size: 0
    .sgpr_count:     4
    .sgpr_spill_count: 0
    .symbol:         _ZN7rocprim17ROCPRIM_400000_NS6detail17trampoline_kernelINS0_14default_configENS1_20scan_config_selectorIiEEZZNS1_9scan_implILNS1_25lookback_scan_determinismE0ELb1ELb1ES3_N6thrust23THRUST_200600_302600_NS6detail15normal_iteratorINS9_10device_ptrIiEEEESE_i11max_functorIiEiEEDaPvRmT3_T4_T5_mT6_P12ihipStream_tbENKUlT_T0_E_clISt17integral_constantIbLb0EEST_IbLb1EEEEDaSP_SQ_EUlSP_E_NS1_11comp_targetILNS1_3genE10ELNS1_11target_archE1200ELNS1_3gpuE4ELNS1_3repE0EEENS1_30default_config_static_selectorELNS0_4arch9wavefront6targetE1EEEvT1_.kd
    .uniform_work_group_size: 1
    .uses_dynamic_stack: false
    .vgpr_count:     0
    .vgpr_spill_count: 0
    .wavefront_size: 64
  - .agpr_count:     0
    .args:
      - .offset:         0
        .size:           96
        .value_kind:     by_value
    .group_segment_fixed_size: 0
    .kernarg_segment_align: 8
    .kernarg_segment_size: 96
    .language:       OpenCL C
    .language_version:
      - 2
      - 0
    .max_flat_workgroup_size: 256
    .name:           _ZN7rocprim17ROCPRIM_400000_NS6detail17trampoline_kernelINS0_14default_configENS1_20scan_config_selectorIiEEZZNS1_9scan_implILNS1_25lookback_scan_determinismE0ELb1ELb1ES3_N6thrust23THRUST_200600_302600_NS6detail15normal_iteratorINS9_10device_ptrIiEEEESE_i11max_functorIiEiEEDaPvRmT3_T4_T5_mT6_P12ihipStream_tbENKUlT_T0_E_clISt17integral_constantIbLb0EEST_IbLb1EEEEDaSP_SQ_EUlSP_E_NS1_11comp_targetILNS1_3genE9ELNS1_11target_archE1100ELNS1_3gpuE3ELNS1_3repE0EEENS1_30default_config_static_selectorELNS0_4arch9wavefront6targetE1EEEvT1_
    .private_segment_fixed_size: 0
    .sgpr_count:     4
    .sgpr_spill_count: 0
    .symbol:         _ZN7rocprim17ROCPRIM_400000_NS6detail17trampoline_kernelINS0_14default_configENS1_20scan_config_selectorIiEEZZNS1_9scan_implILNS1_25lookback_scan_determinismE0ELb1ELb1ES3_N6thrust23THRUST_200600_302600_NS6detail15normal_iteratorINS9_10device_ptrIiEEEESE_i11max_functorIiEiEEDaPvRmT3_T4_T5_mT6_P12ihipStream_tbENKUlT_T0_E_clISt17integral_constantIbLb0EEST_IbLb1EEEEDaSP_SQ_EUlSP_E_NS1_11comp_targetILNS1_3genE9ELNS1_11target_archE1100ELNS1_3gpuE3ELNS1_3repE0EEENS1_30default_config_static_selectorELNS0_4arch9wavefront6targetE1EEEvT1_.kd
    .uniform_work_group_size: 1
    .uses_dynamic_stack: false
    .vgpr_count:     0
    .vgpr_spill_count: 0
    .wavefront_size: 64
  - .agpr_count:     0
    .args:
      - .offset:         0
        .size:           96
        .value_kind:     by_value
    .group_segment_fixed_size: 0
    .kernarg_segment_align: 8
    .kernarg_segment_size: 96
    .language:       OpenCL C
    .language_version:
      - 2
      - 0
    .max_flat_workgroup_size: 64
    .name:           _ZN7rocprim17ROCPRIM_400000_NS6detail17trampoline_kernelINS0_14default_configENS1_20scan_config_selectorIiEEZZNS1_9scan_implILNS1_25lookback_scan_determinismE0ELb1ELb1ES3_N6thrust23THRUST_200600_302600_NS6detail15normal_iteratorINS9_10device_ptrIiEEEESE_i11max_functorIiEiEEDaPvRmT3_T4_T5_mT6_P12ihipStream_tbENKUlT_T0_E_clISt17integral_constantIbLb0EEST_IbLb1EEEEDaSP_SQ_EUlSP_E_NS1_11comp_targetILNS1_3genE8ELNS1_11target_archE1030ELNS1_3gpuE2ELNS1_3repE0EEENS1_30default_config_static_selectorELNS0_4arch9wavefront6targetE1EEEvT1_
    .private_segment_fixed_size: 0
    .sgpr_count:     4
    .sgpr_spill_count: 0
    .symbol:         _ZN7rocprim17ROCPRIM_400000_NS6detail17trampoline_kernelINS0_14default_configENS1_20scan_config_selectorIiEEZZNS1_9scan_implILNS1_25lookback_scan_determinismE0ELb1ELb1ES3_N6thrust23THRUST_200600_302600_NS6detail15normal_iteratorINS9_10device_ptrIiEEEESE_i11max_functorIiEiEEDaPvRmT3_T4_T5_mT6_P12ihipStream_tbENKUlT_T0_E_clISt17integral_constantIbLb0EEST_IbLb1EEEEDaSP_SQ_EUlSP_E_NS1_11comp_targetILNS1_3genE8ELNS1_11target_archE1030ELNS1_3gpuE2ELNS1_3repE0EEENS1_30default_config_static_selectorELNS0_4arch9wavefront6targetE1EEEvT1_.kd
    .uniform_work_group_size: 1
    .uses_dynamic_stack: false
    .vgpr_count:     0
    .vgpr_spill_count: 0
    .wavefront_size: 64
  - .agpr_count:     0
    .args:
      - .offset:         0
        .size:           32
        .value_kind:     by_value
    .group_segment_fixed_size: 0
    .kernarg_segment_align: 8
    .kernarg_segment_size: 32
    .language:       OpenCL C
    .language_version:
      - 2
      - 0
    .max_flat_workgroup_size: 256
    .name:           _ZN7rocprim17ROCPRIM_400000_NS6detail17trampoline_kernelINS0_14default_configENS1_20scan_config_selectorIiEEZZNS1_9scan_implILNS1_25lookback_scan_determinismE0ELb1ELb1ES3_N6thrust23THRUST_200600_302600_NS6detail15normal_iteratorINS9_10device_ptrIiEEEESE_i11max_functorIiEiEEDaPvRmT3_T4_T5_mT6_P12ihipStream_tbENKUlT_T0_E_clISt17integral_constantIbLb0EEST_IbLb1EEEEDaSP_SQ_EUlSP_E0_NS1_11comp_targetILNS1_3genE0ELNS1_11target_archE4294967295ELNS1_3gpuE0ELNS1_3repE0EEENS1_30default_config_static_selectorELNS0_4arch9wavefront6targetE1EEEvT1_
    .private_segment_fixed_size: 0
    .sgpr_count:     4
    .sgpr_spill_count: 0
    .symbol:         _ZN7rocprim17ROCPRIM_400000_NS6detail17trampoline_kernelINS0_14default_configENS1_20scan_config_selectorIiEEZZNS1_9scan_implILNS1_25lookback_scan_determinismE0ELb1ELb1ES3_N6thrust23THRUST_200600_302600_NS6detail15normal_iteratorINS9_10device_ptrIiEEEESE_i11max_functorIiEiEEDaPvRmT3_T4_T5_mT6_P12ihipStream_tbENKUlT_T0_E_clISt17integral_constantIbLb0EEST_IbLb1EEEEDaSP_SQ_EUlSP_E0_NS1_11comp_targetILNS1_3genE0ELNS1_11target_archE4294967295ELNS1_3gpuE0ELNS1_3repE0EEENS1_30default_config_static_selectorELNS0_4arch9wavefront6targetE1EEEvT1_.kd
    .uniform_work_group_size: 1
    .uses_dynamic_stack: false
    .vgpr_count:     0
    .vgpr_spill_count: 0
    .wavefront_size: 64
  - .agpr_count:     0
    .args:
      - .offset:         0
        .size:           32
        .value_kind:     by_value
    .group_segment_fixed_size: 0
    .kernarg_segment_align: 8
    .kernarg_segment_size: 32
    .language:       OpenCL C
    .language_version:
      - 2
      - 0
    .max_flat_workgroup_size: 256
    .name:           _ZN7rocprim17ROCPRIM_400000_NS6detail17trampoline_kernelINS0_14default_configENS1_20scan_config_selectorIiEEZZNS1_9scan_implILNS1_25lookback_scan_determinismE0ELb1ELb1ES3_N6thrust23THRUST_200600_302600_NS6detail15normal_iteratorINS9_10device_ptrIiEEEESE_i11max_functorIiEiEEDaPvRmT3_T4_T5_mT6_P12ihipStream_tbENKUlT_T0_E_clISt17integral_constantIbLb0EEST_IbLb1EEEEDaSP_SQ_EUlSP_E0_NS1_11comp_targetILNS1_3genE5ELNS1_11target_archE942ELNS1_3gpuE9ELNS1_3repE0EEENS1_30default_config_static_selectorELNS0_4arch9wavefront6targetE1EEEvT1_
    .private_segment_fixed_size: 0
    .sgpr_count:     4
    .sgpr_spill_count: 0
    .symbol:         _ZN7rocprim17ROCPRIM_400000_NS6detail17trampoline_kernelINS0_14default_configENS1_20scan_config_selectorIiEEZZNS1_9scan_implILNS1_25lookback_scan_determinismE0ELb1ELb1ES3_N6thrust23THRUST_200600_302600_NS6detail15normal_iteratorINS9_10device_ptrIiEEEESE_i11max_functorIiEiEEDaPvRmT3_T4_T5_mT6_P12ihipStream_tbENKUlT_T0_E_clISt17integral_constantIbLb0EEST_IbLb1EEEEDaSP_SQ_EUlSP_E0_NS1_11comp_targetILNS1_3genE5ELNS1_11target_archE942ELNS1_3gpuE9ELNS1_3repE0EEENS1_30default_config_static_selectorELNS0_4arch9wavefront6targetE1EEEvT1_.kd
    .uniform_work_group_size: 1
    .uses_dynamic_stack: false
    .vgpr_count:     0
    .vgpr_spill_count: 0
    .wavefront_size: 64
  - .agpr_count:     0
    .args:
      - .offset:         0
        .size:           32
        .value_kind:     by_value
    .group_segment_fixed_size: 5120
    .kernarg_segment_align: 8
    .kernarg_segment_size: 32
    .language:       OpenCL C
    .language_version:
      - 2
      - 0
    .max_flat_workgroup_size: 128
    .name:           _ZN7rocprim17ROCPRIM_400000_NS6detail17trampoline_kernelINS0_14default_configENS1_20scan_config_selectorIiEEZZNS1_9scan_implILNS1_25lookback_scan_determinismE0ELb1ELb1ES3_N6thrust23THRUST_200600_302600_NS6detail15normal_iteratorINS9_10device_ptrIiEEEESE_i11max_functorIiEiEEDaPvRmT3_T4_T5_mT6_P12ihipStream_tbENKUlT_T0_E_clISt17integral_constantIbLb0EEST_IbLb1EEEEDaSP_SQ_EUlSP_E0_NS1_11comp_targetILNS1_3genE4ELNS1_11target_archE910ELNS1_3gpuE8ELNS1_3repE0EEENS1_30default_config_static_selectorELNS0_4arch9wavefront6targetE1EEEvT1_
    .private_segment_fixed_size: 0
    .sgpr_count:     29
    .sgpr_spill_count: 0
    .symbol:         _ZN7rocprim17ROCPRIM_400000_NS6detail17trampoline_kernelINS0_14default_configENS1_20scan_config_selectorIiEEZZNS1_9scan_implILNS1_25lookback_scan_determinismE0ELb1ELb1ES3_N6thrust23THRUST_200600_302600_NS6detail15normal_iteratorINS9_10device_ptrIiEEEESE_i11max_functorIiEiEEDaPvRmT3_T4_T5_mT6_P12ihipStream_tbENKUlT_T0_E_clISt17integral_constantIbLb0EEST_IbLb1EEEEDaSP_SQ_EUlSP_E0_NS1_11comp_targetILNS1_3genE4ELNS1_11target_archE910ELNS1_3gpuE8ELNS1_3repE0EEENS1_30default_config_static_selectorELNS0_4arch9wavefront6targetE1EEEvT1_.kd
    .uniform_work_group_size: 1
    .uses_dynamic_stack: false
    .vgpr_count:     19
    .vgpr_spill_count: 0
    .wavefront_size: 64
  - .agpr_count:     0
    .args:
      - .offset:         0
        .size:           32
        .value_kind:     by_value
    .group_segment_fixed_size: 0
    .kernarg_segment_align: 8
    .kernarg_segment_size: 32
    .language:       OpenCL C
    .language_version:
      - 2
      - 0
    .max_flat_workgroup_size: 256
    .name:           _ZN7rocprim17ROCPRIM_400000_NS6detail17trampoline_kernelINS0_14default_configENS1_20scan_config_selectorIiEEZZNS1_9scan_implILNS1_25lookback_scan_determinismE0ELb1ELb1ES3_N6thrust23THRUST_200600_302600_NS6detail15normal_iteratorINS9_10device_ptrIiEEEESE_i11max_functorIiEiEEDaPvRmT3_T4_T5_mT6_P12ihipStream_tbENKUlT_T0_E_clISt17integral_constantIbLb0EEST_IbLb1EEEEDaSP_SQ_EUlSP_E0_NS1_11comp_targetILNS1_3genE3ELNS1_11target_archE908ELNS1_3gpuE7ELNS1_3repE0EEENS1_30default_config_static_selectorELNS0_4arch9wavefront6targetE1EEEvT1_
    .private_segment_fixed_size: 0
    .sgpr_count:     4
    .sgpr_spill_count: 0
    .symbol:         _ZN7rocprim17ROCPRIM_400000_NS6detail17trampoline_kernelINS0_14default_configENS1_20scan_config_selectorIiEEZZNS1_9scan_implILNS1_25lookback_scan_determinismE0ELb1ELb1ES3_N6thrust23THRUST_200600_302600_NS6detail15normal_iteratorINS9_10device_ptrIiEEEESE_i11max_functorIiEiEEDaPvRmT3_T4_T5_mT6_P12ihipStream_tbENKUlT_T0_E_clISt17integral_constantIbLb0EEST_IbLb1EEEEDaSP_SQ_EUlSP_E0_NS1_11comp_targetILNS1_3genE3ELNS1_11target_archE908ELNS1_3gpuE7ELNS1_3repE0EEENS1_30default_config_static_selectorELNS0_4arch9wavefront6targetE1EEEvT1_.kd
    .uniform_work_group_size: 1
    .uses_dynamic_stack: false
    .vgpr_count:     0
    .vgpr_spill_count: 0
    .wavefront_size: 64
  - .agpr_count:     0
    .args:
      - .offset:         0
        .size:           32
        .value_kind:     by_value
    .group_segment_fixed_size: 0
    .kernarg_segment_align: 8
    .kernarg_segment_size: 32
    .language:       OpenCL C
    .language_version:
      - 2
      - 0
    .max_flat_workgroup_size: 256
    .name:           _ZN7rocprim17ROCPRIM_400000_NS6detail17trampoline_kernelINS0_14default_configENS1_20scan_config_selectorIiEEZZNS1_9scan_implILNS1_25lookback_scan_determinismE0ELb1ELb1ES3_N6thrust23THRUST_200600_302600_NS6detail15normal_iteratorINS9_10device_ptrIiEEEESE_i11max_functorIiEiEEDaPvRmT3_T4_T5_mT6_P12ihipStream_tbENKUlT_T0_E_clISt17integral_constantIbLb0EEST_IbLb1EEEEDaSP_SQ_EUlSP_E0_NS1_11comp_targetILNS1_3genE2ELNS1_11target_archE906ELNS1_3gpuE6ELNS1_3repE0EEENS1_30default_config_static_selectorELNS0_4arch9wavefront6targetE1EEEvT1_
    .private_segment_fixed_size: 0
    .sgpr_count:     4
    .sgpr_spill_count: 0
    .symbol:         _ZN7rocprim17ROCPRIM_400000_NS6detail17trampoline_kernelINS0_14default_configENS1_20scan_config_selectorIiEEZZNS1_9scan_implILNS1_25lookback_scan_determinismE0ELb1ELb1ES3_N6thrust23THRUST_200600_302600_NS6detail15normal_iteratorINS9_10device_ptrIiEEEESE_i11max_functorIiEiEEDaPvRmT3_T4_T5_mT6_P12ihipStream_tbENKUlT_T0_E_clISt17integral_constantIbLb0EEST_IbLb1EEEEDaSP_SQ_EUlSP_E0_NS1_11comp_targetILNS1_3genE2ELNS1_11target_archE906ELNS1_3gpuE6ELNS1_3repE0EEENS1_30default_config_static_selectorELNS0_4arch9wavefront6targetE1EEEvT1_.kd
    .uniform_work_group_size: 1
    .uses_dynamic_stack: false
    .vgpr_count:     0
    .vgpr_spill_count: 0
    .wavefront_size: 64
  - .agpr_count:     0
    .args:
      - .offset:         0
        .size:           32
        .value_kind:     by_value
    .group_segment_fixed_size: 0
    .kernarg_segment_align: 8
    .kernarg_segment_size: 32
    .language:       OpenCL C
    .language_version:
      - 2
      - 0
    .max_flat_workgroup_size: 256
    .name:           _ZN7rocprim17ROCPRIM_400000_NS6detail17trampoline_kernelINS0_14default_configENS1_20scan_config_selectorIiEEZZNS1_9scan_implILNS1_25lookback_scan_determinismE0ELb1ELb1ES3_N6thrust23THRUST_200600_302600_NS6detail15normal_iteratorINS9_10device_ptrIiEEEESE_i11max_functorIiEiEEDaPvRmT3_T4_T5_mT6_P12ihipStream_tbENKUlT_T0_E_clISt17integral_constantIbLb0EEST_IbLb1EEEEDaSP_SQ_EUlSP_E0_NS1_11comp_targetILNS1_3genE10ELNS1_11target_archE1201ELNS1_3gpuE5ELNS1_3repE0EEENS1_30default_config_static_selectorELNS0_4arch9wavefront6targetE1EEEvT1_
    .private_segment_fixed_size: 0
    .sgpr_count:     4
    .sgpr_spill_count: 0
    .symbol:         _ZN7rocprim17ROCPRIM_400000_NS6detail17trampoline_kernelINS0_14default_configENS1_20scan_config_selectorIiEEZZNS1_9scan_implILNS1_25lookback_scan_determinismE0ELb1ELb1ES3_N6thrust23THRUST_200600_302600_NS6detail15normal_iteratorINS9_10device_ptrIiEEEESE_i11max_functorIiEiEEDaPvRmT3_T4_T5_mT6_P12ihipStream_tbENKUlT_T0_E_clISt17integral_constantIbLb0EEST_IbLb1EEEEDaSP_SQ_EUlSP_E0_NS1_11comp_targetILNS1_3genE10ELNS1_11target_archE1201ELNS1_3gpuE5ELNS1_3repE0EEENS1_30default_config_static_selectorELNS0_4arch9wavefront6targetE1EEEvT1_.kd
    .uniform_work_group_size: 1
    .uses_dynamic_stack: false
    .vgpr_count:     0
    .vgpr_spill_count: 0
    .wavefront_size: 64
  - .agpr_count:     0
    .args:
      - .offset:         0
        .size:           32
        .value_kind:     by_value
    .group_segment_fixed_size: 0
    .kernarg_segment_align: 8
    .kernarg_segment_size: 32
    .language:       OpenCL C
    .language_version:
      - 2
      - 0
    .max_flat_workgroup_size: 256
    .name:           _ZN7rocprim17ROCPRIM_400000_NS6detail17trampoline_kernelINS0_14default_configENS1_20scan_config_selectorIiEEZZNS1_9scan_implILNS1_25lookback_scan_determinismE0ELb1ELb1ES3_N6thrust23THRUST_200600_302600_NS6detail15normal_iteratorINS9_10device_ptrIiEEEESE_i11max_functorIiEiEEDaPvRmT3_T4_T5_mT6_P12ihipStream_tbENKUlT_T0_E_clISt17integral_constantIbLb0EEST_IbLb1EEEEDaSP_SQ_EUlSP_E0_NS1_11comp_targetILNS1_3genE10ELNS1_11target_archE1200ELNS1_3gpuE4ELNS1_3repE0EEENS1_30default_config_static_selectorELNS0_4arch9wavefront6targetE1EEEvT1_
    .private_segment_fixed_size: 0
    .sgpr_count:     4
    .sgpr_spill_count: 0
    .symbol:         _ZN7rocprim17ROCPRIM_400000_NS6detail17trampoline_kernelINS0_14default_configENS1_20scan_config_selectorIiEEZZNS1_9scan_implILNS1_25lookback_scan_determinismE0ELb1ELb1ES3_N6thrust23THRUST_200600_302600_NS6detail15normal_iteratorINS9_10device_ptrIiEEEESE_i11max_functorIiEiEEDaPvRmT3_T4_T5_mT6_P12ihipStream_tbENKUlT_T0_E_clISt17integral_constantIbLb0EEST_IbLb1EEEEDaSP_SQ_EUlSP_E0_NS1_11comp_targetILNS1_3genE10ELNS1_11target_archE1200ELNS1_3gpuE4ELNS1_3repE0EEENS1_30default_config_static_selectorELNS0_4arch9wavefront6targetE1EEEvT1_.kd
    .uniform_work_group_size: 1
    .uses_dynamic_stack: false
    .vgpr_count:     0
    .vgpr_spill_count: 0
    .wavefront_size: 64
  - .agpr_count:     0
    .args:
      - .offset:         0
        .size:           32
        .value_kind:     by_value
    .group_segment_fixed_size: 0
    .kernarg_segment_align: 8
    .kernarg_segment_size: 32
    .language:       OpenCL C
    .language_version:
      - 2
      - 0
    .max_flat_workgroup_size: 256
    .name:           _ZN7rocprim17ROCPRIM_400000_NS6detail17trampoline_kernelINS0_14default_configENS1_20scan_config_selectorIiEEZZNS1_9scan_implILNS1_25lookback_scan_determinismE0ELb1ELb1ES3_N6thrust23THRUST_200600_302600_NS6detail15normal_iteratorINS9_10device_ptrIiEEEESE_i11max_functorIiEiEEDaPvRmT3_T4_T5_mT6_P12ihipStream_tbENKUlT_T0_E_clISt17integral_constantIbLb0EEST_IbLb1EEEEDaSP_SQ_EUlSP_E0_NS1_11comp_targetILNS1_3genE9ELNS1_11target_archE1100ELNS1_3gpuE3ELNS1_3repE0EEENS1_30default_config_static_selectorELNS0_4arch9wavefront6targetE1EEEvT1_
    .private_segment_fixed_size: 0
    .sgpr_count:     4
    .sgpr_spill_count: 0
    .symbol:         _ZN7rocprim17ROCPRIM_400000_NS6detail17trampoline_kernelINS0_14default_configENS1_20scan_config_selectorIiEEZZNS1_9scan_implILNS1_25lookback_scan_determinismE0ELb1ELb1ES3_N6thrust23THRUST_200600_302600_NS6detail15normal_iteratorINS9_10device_ptrIiEEEESE_i11max_functorIiEiEEDaPvRmT3_T4_T5_mT6_P12ihipStream_tbENKUlT_T0_E_clISt17integral_constantIbLb0EEST_IbLb1EEEEDaSP_SQ_EUlSP_E0_NS1_11comp_targetILNS1_3genE9ELNS1_11target_archE1100ELNS1_3gpuE3ELNS1_3repE0EEENS1_30default_config_static_selectorELNS0_4arch9wavefront6targetE1EEEvT1_.kd
    .uniform_work_group_size: 1
    .uses_dynamic_stack: false
    .vgpr_count:     0
    .vgpr_spill_count: 0
    .wavefront_size: 64
  - .agpr_count:     0
    .args:
      - .offset:         0
        .size:           32
        .value_kind:     by_value
    .group_segment_fixed_size: 0
    .kernarg_segment_align: 8
    .kernarg_segment_size: 32
    .language:       OpenCL C
    .language_version:
      - 2
      - 0
    .max_flat_workgroup_size: 64
    .name:           _ZN7rocprim17ROCPRIM_400000_NS6detail17trampoline_kernelINS0_14default_configENS1_20scan_config_selectorIiEEZZNS1_9scan_implILNS1_25lookback_scan_determinismE0ELb1ELb1ES3_N6thrust23THRUST_200600_302600_NS6detail15normal_iteratorINS9_10device_ptrIiEEEESE_i11max_functorIiEiEEDaPvRmT3_T4_T5_mT6_P12ihipStream_tbENKUlT_T0_E_clISt17integral_constantIbLb0EEST_IbLb1EEEEDaSP_SQ_EUlSP_E0_NS1_11comp_targetILNS1_3genE8ELNS1_11target_archE1030ELNS1_3gpuE2ELNS1_3repE0EEENS1_30default_config_static_selectorELNS0_4arch9wavefront6targetE1EEEvT1_
    .private_segment_fixed_size: 0
    .sgpr_count:     4
    .sgpr_spill_count: 0
    .symbol:         _ZN7rocprim17ROCPRIM_400000_NS6detail17trampoline_kernelINS0_14default_configENS1_20scan_config_selectorIiEEZZNS1_9scan_implILNS1_25lookback_scan_determinismE0ELb1ELb1ES3_N6thrust23THRUST_200600_302600_NS6detail15normal_iteratorINS9_10device_ptrIiEEEESE_i11max_functorIiEiEEDaPvRmT3_T4_T5_mT6_P12ihipStream_tbENKUlT_T0_E_clISt17integral_constantIbLb0EEST_IbLb1EEEEDaSP_SQ_EUlSP_E0_NS1_11comp_targetILNS1_3genE8ELNS1_11target_archE1030ELNS1_3gpuE2ELNS1_3repE0EEENS1_30default_config_static_selectorELNS0_4arch9wavefront6targetE1EEEvT1_.kd
    .uniform_work_group_size: 1
    .uses_dynamic_stack: false
    .vgpr_count:     0
    .vgpr_spill_count: 0
    .wavefront_size: 64
  - .agpr_count:     0
    .args:
      - .offset:         0
        .size:           96
        .value_kind:     by_value
    .group_segment_fixed_size: 0
    .kernarg_segment_align: 8
    .kernarg_segment_size: 96
    .language:       OpenCL C
    .language_version:
      - 2
      - 0
    .max_flat_workgroup_size: 128
    .name:           _ZN7rocprim17ROCPRIM_400000_NS6detail17trampoline_kernelINS0_14default_configENS1_20scan_config_selectorIsEEZZNS1_9scan_implILNS1_25lookback_scan_determinismE0ELb0ELb0ES3_N6thrust23THRUST_200600_302600_NS6detail15normal_iteratorINS9_10device_ptrIsEEEESE_s11max_functorIsEsEEDaPvRmT3_T4_T5_mT6_P12ihipStream_tbENKUlT_T0_E_clISt17integral_constantIbLb0EESU_EEDaSP_SQ_EUlSP_E_NS1_11comp_targetILNS1_3genE0ELNS1_11target_archE4294967295ELNS1_3gpuE0ELNS1_3repE0EEENS1_30default_config_static_selectorELNS0_4arch9wavefront6targetE1EEEvT1_
    .private_segment_fixed_size: 0
    .sgpr_count:     4
    .sgpr_spill_count: 0
    .symbol:         _ZN7rocprim17ROCPRIM_400000_NS6detail17trampoline_kernelINS0_14default_configENS1_20scan_config_selectorIsEEZZNS1_9scan_implILNS1_25lookback_scan_determinismE0ELb0ELb0ES3_N6thrust23THRUST_200600_302600_NS6detail15normal_iteratorINS9_10device_ptrIsEEEESE_s11max_functorIsEsEEDaPvRmT3_T4_T5_mT6_P12ihipStream_tbENKUlT_T0_E_clISt17integral_constantIbLb0EESU_EEDaSP_SQ_EUlSP_E_NS1_11comp_targetILNS1_3genE0ELNS1_11target_archE4294967295ELNS1_3gpuE0ELNS1_3repE0EEENS1_30default_config_static_selectorELNS0_4arch9wavefront6targetE1EEEvT1_.kd
    .uniform_work_group_size: 1
    .uses_dynamic_stack: false
    .vgpr_count:     0
    .vgpr_spill_count: 0
    .wavefront_size: 64
  - .agpr_count:     0
    .args:
      - .offset:         0
        .size:           96
        .value_kind:     by_value
    .group_segment_fixed_size: 0
    .kernarg_segment_align: 8
    .kernarg_segment_size: 96
    .language:       OpenCL C
    .language_version:
      - 2
      - 0
    .max_flat_workgroup_size: 256
    .name:           _ZN7rocprim17ROCPRIM_400000_NS6detail17trampoline_kernelINS0_14default_configENS1_20scan_config_selectorIsEEZZNS1_9scan_implILNS1_25lookback_scan_determinismE0ELb0ELb0ES3_N6thrust23THRUST_200600_302600_NS6detail15normal_iteratorINS9_10device_ptrIsEEEESE_s11max_functorIsEsEEDaPvRmT3_T4_T5_mT6_P12ihipStream_tbENKUlT_T0_E_clISt17integral_constantIbLb0EESU_EEDaSP_SQ_EUlSP_E_NS1_11comp_targetILNS1_3genE5ELNS1_11target_archE942ELNS1_3gpuE9ELNS1_3repE0EEENS1_30default_config_static_selectorELNS0_4arch9wavefront6targetE1EEEvT1_
    .private_segment_fixed_size: 0
    .sgpr_count:     4
    .sgpr_spill_count: 0
    .symbol:         _ZN7rocprim17ROCPRIM_400000_NS6detail17trampoline_kernelINS0_14default_configENS1_20scan_config_selectorIsEEZZNS1_9scan_implILNS1_25lookback_scan_determinismE0ELb0ELb0ES3_N6thrust23THRUST_200600_302600_NS6detail15normal_iteratorINS9_10device_ptrIsEEEESE_s11max_functorIsEsEEDaPvRmT3_T4_T5_mT6_P12ihipStream_tbENKUlT_T0_E_clISt17integral_constantIbLb0EESU_EEDaSP_SQ_EUlSP_E_NS1_11comp_targetILNS1_3genE5ELNS1_11target_archE942ELNS1_3gpuE9ELNS1_3repE0EEENS1_30default_config_static_selectorELNS0_4arch9wavefront6targetE1EEEvT1_.kd
    .uniform_work_group_size: 1
    .uses_dynamic_stack: false
    .vgpr_count:     0
    .vgpr_spill_count: 0
    .wavefront_size: 64
  - .agpr_count:     0
    .args:
      - .offset:         0
        .size:           96
        .value_kind:     by_value
    .group_segment_fixed_size: 3072
    .kernarg_segment_align: 8
    .kernarg_segment_size: 96
    .language:       OpenCL C
    .language_version:
      - 2
      - 0
    .max_flat_workgroup_size: 64
    .name:           _ZN7rocprim17ROCPRIM_400000_NS6detail17trampoline_kernelINS0_14default_configENS1_20scan_config_selectorIsEEZZNS1_9scan_implILNS1_25lookback_scan_determinismE0ELb0ELb0ES3_N6thrust23THRUST_200600_302600_NS6detail15normal_iteratorINS9_10device_ptrIsEEEESE_s11max_functorIsEsEEDaPvRmT3_T4_T5_mT6_P12ihipStream_tbENKUlT_T0_E_clISt17integral_constantIbLb0EESU_EEDaSP_SQ_EUlSP_E_NS1_11comp_targetILNS1_3genE4ELNS1_11target_archE910ELNS1_3gpuE8ELNS1_3repE0EEENS1_30default_config_static_selectorELNS0_4arch9wavefront6targetE1EEEvT1_
    .private_segment_fixed_size: 0
    .sgpr_count:     32
    .sgpr_spill_count: 0
    .symbol:         _ZN7rocprim17ROCPRIM_400000_NS6detail17trampoline_kernelINS0_14default_configENS1_20scan_config_selectorIsEEZZNS1_9scan_implILNS1_25lookback_scan_determinismE0ELb0ELb0ES3_N6thrust23THRUST_200600_302600_NS6detail15normal_iteratorINS9_10device_ptrIsEEEESE_s11max_functorIsEsEEDaPvRmT3_T4_T5_mT6_P12ihipStream_tbENKUlT_T0_E_clISt17integral_constantIbLb0EESU_EEDaSP_SQ_EUlSP_E_NS1_11comp_targetILNS1_3genE4ELNS1_11target_archE910ELNS1_3gpuE8ELNS1_3repE0EEENS1_30default_config_static_selectorELNS0_4arch9wavefront6targetE1EEEvT1_.kd
    .uniform_work_group_size: 1
    .uses_dynamic_stack: false
    .vgpr_count:     57
    .vgpr_spill_count: 0
    .wavefront_size: 64
  - .agpr_count:     0
    .args:
      - .offset:         0
        .size:           96
        .value_kind:     by_value
    .group_segment_fixed_size: 0
    .kernarg_segment_align: 8
    .kernarg_segment_size: 96
    .language:       OpenCL C
    .language_version:
      - 2
      - 0
    .max_flat_workgroup_size: 128
    .name:           _ZN7rocprim17ROCPRIM_400000_NS6detail17trampoline_kernelINS0_14default_configENS1_20scan_config_selectorIsEEZZNS1_9scan_implILNS1_25lookback_scan_determinismE0ELb0ELb0ES3_N6thrust23THRUST_200600_302600_NS6detail15normal_iteratorINS9_10device_ptrIsEEEESE_s11max_functorIsEsEEDaPvRmT3_T4_T5_mT6_P12ihipStream_tbENKUlT_T0_E_clISt17integral_constantIbLb0EESU_EEDaSP_SQ_EUlSP_E_NS1_11comp_targetILNS1_3genE3ELNS1_11target_archE908ELNS1_3gpuE7ELNS1_3repE0EEENS1_30default_config_static_selectorELNS0_4arch9wavefront6targetE1EEEvT1_
    .private_segment_fixed_size: 0
    .sgpr_count:     4
    .sgpr_spill_count: 0
    .symbol:         _ZN7rocprim17ROCPRIM_400000_NS6detail17trampoline_kernelINS0_14default_configENS1_20scan_config_selectorIsEEZZNS1_9scan_implILNS1_25lookback_scan_determinismE0ELb0ELb0ES3_N6thrust23THRUST_200600_302600_NS6detail15normal_iteratorINS9_10device_ptrIsEEEESE_s11max_functorIsEsEEDaPvRmT3_T4_T5_mT6_P12ihipStream_tbENKUlT_T0_E_clISt17integral_constantIbLb0EESU_EEDaSP_SQ_EUlSP_E_NS1_11comp_targetILNS1_3genE3ELNS1_11target_archE908ELNS1_3gpuE7ELNS1_3repE0EEENS1_30default_config_static_selectorELNS0_4arch9wavefront6targetE1EEEvT1_.kd
    .uniform_work_group_size: 1
    .uses_dynamic_stack: false
    .vgpr_count:     0
    .vgpr_spill_count: 0
    .wavefront_size: 64
  - .agpr_count:     0
    .args:
      - .offset:         0
        .size:           96
        .value_kind:     by_value
    .group_segment_fixed_size: 0
    .kernarg_segment_align: 8
    .kernarg_segment_size: 96
    .language:       OpenCL C
    .language_version:
      - 2
      - 0
    .max_flat_workgroup_size: 256
    .name:           _ZN7rocprim17ROCPRIM_400000_NS6detail17trampoline_kernelINS0_14default_configENS1_20scan_config_selectorIsEEZZNS1_9scan_implILNS1_25lookback_scan_determinismE0ELb0ELb0ES3_N6thrust23THRUST_200600_302600_NS6detail15normal_iteratorINS9_10device_ptrIsEEEESE_s11max_functorIsEsEEDaPvRmT3_T4_T5_mT6_P12ihipStream_tbENKUlT_T0_E_clISt17integral_constantIbLb0EESU_EEDaSP_SQ_EUlSP_E_NS1_11comp_targetILNS1_3genE2ELNS1_11target_archE906ELNS1_3gpuE6ELNS1_3repE0EEENS1_30default_config_static_selectorELNS0_4arch9wavefront6targetE1EEEvT1_
    .private_segment_fixed_size: 0
    .sgpr_count:     4
    .sgpr_spill_count: 0
    .symbol:         _ZN7rocprim17ROCPRIM_400000_NS6detail17trampoline_kernelINS0_14default_configENS1_20scan_config_selectorIsEEZZNS1_9scan_implILNS1_25lookback_scan_determinismE0ELb0ELb0ES3_N6thrust23THRUST_200600_302600_NS6detail15normal_iteratorINS9_10device_ptrIsEEEESE_s11max_functorIsEsEEDaPvRmT3_T4_T5_mT6_P12ihipStream_tbENKUlT_T0_E_clISt17integral_constantIbLb0EESU_EEDaSP_SQ_EUlSP_E_NS1_11comp_targetILNS1_3genE2ELNS1_11target_archE906ELNS1_3gpuE6ELNS1_3repE0EEENS1_30default_config_static_selectorELNS0_4arch9wavefront6targetE1EEEvT1_.kd
    .uniform_work_group_size: 1
    .uses_dynamic_stack: false
    .vgpr_count:     0
    .vgpr_spill_count: 0
    .wavefront_size: 64
  - .agpr_count:     0
    .args:
      - .offset:         0
        .size:           96
        .value_kind:     by_value
    .group_segment_fixed_size: 0
    .kernarg_segment_align: 8
    .kernarg_segment_size: 96
    .language:       OpenCL C
    .language_version:
      - 2
      - 0
    .max_flat_workgroup_size: 256
    .name:           _ZN7rocprim17ROCPRIM_400000_NS6detail17trampoline_kernelINS0_14default_configENS1_20scan_config_selectorIsEEZZNS1_9scan_implILNS1_25lookback_scan_determinismE0ELb0ELb0ES3_N6thrust23THRUST_200600_302600_NS6detail15normal_iteratorINS9_10device_ptrIsEEEESE_s11max_functorIsEsEEDaPvRmT3_T4_T5_mT6_P12ihipStream_tbENKUlT_T0_E_clISt17integral_constantIbLb0EESU_EEDaSP_SQ_EUlSP_E_NS1_11comp_targetILNS1_3genE10ELNS1_11target_archE1201ELNS1_3gpuE5ELNS1_3repE0EEENS1_30default_config_static_selectorELNS0_4arch9wavefront6targetE1EEEvT1_
    .private_segment_fixed_size: 0
    .sgpr_count:     4
    .sgpr_spill_count: 0
    .symbol:         _ZN7rocprim17ROCPRIM_400000_NS6detail17trampoline_kernelINS0_14default_configENS1_20scan_config_selectorIsEEZZNS1_9scan_implILNS1_25lookback_scan_determinismE0ELb0ELb0ES3_N6thrust23THRUST_200600_302600_NS6detail15normal_iteratorINS9_10device_ptrIsEEEESE_s11max_functorIsEsEEDaPvRmT3_T4_T5_mT6_P12ihipStream_tbENKUlT_T0_E_clISt17integral_constantIbLb0EESU_EEDaSP_SQ_EUlSP_E_NS1_11comp_targetILNS1_3genE10ELNS1_11target_archE1201ELNS1_3gpuE5ELNS1_3repE0EEENS1_30default_config_static_selectorELNS0_4arch9wavefront6targetE1EEEvT1_.kd
    .uniform_work_group_size: 1
    .uses_dynamic_stack: false
    .vgpr_count:     0
    .vgpr_spill_count: 0
    .wavefront_size: 64
  - .agpr_count:     0
    .args:
      - .offset:         0
        .size:           96
        .value_kind:     by_value
    .group_segment_fixed_size: 0
    .kernarg_segment_align: 8
    .kernarg_segment_size: 96
    .language:       OpenCL C
    .language_version:
      - 2
      - 0
    .max_flat_workgroup_size: 256
    .name:           _ZN7rocprim17ROCPRIM_400000_NS6detail17trampoline_kernelINS0_14default_configENS1_20scan_config_selectorIsEEZZNS1_9scan_implILNS1_25lookback_scan_determinismE0ELb0ELb0ES3_N6thrust23THRUST_200600_302600_NS6detail15normal_iteratorINS9_10device_ptrIsEEEESE_s11max_functorIsEsEEDaPvRmT3_T4_T5_mT6_P12ihipStream_tbENKUlT_T0_E_clISt17integral_constantIbLb0EESU_EEDaSP_SQ_EUlSP_E_NS1_11comp_targetILNS1_3genE10ELNS1_11target_archE1200ELNS1_3gpuE4ELNS1_3repE0EEENS1_30default_config_static_selectorELNS0_4arch9wavefront6targetE1EEEvT1_
    .private_segment_fixed_size: 0
    .sgpr_count:     4
    .sgpr_spill_count: 0
    .symbol:         _ZN7rocprim17ROCPRIM_400000_NS6detail17trampoline_kernelINS0_14default_configENS1_20scan_config_selectorIsEEZZNS1_9scan_implILNS1_25lookback_scan_determinismE0ELb0ELb0ES3_N6thrust23THRUST_200600_302600_NS6detail15normal_iteratorINS9_10device_ptrIsEEEESE_s11max_functorIsEsEEDaPvRmT3_T4_T5_mT6_P12ihipStream_tbENKUlT_T0_E_clISt17integral_constantIbLb0EESU_EEDaSP_SQ_EUlSP_E_NS1_11comp_targetILNS1_3genE10ELNS1_11target_archE1200ELNS1_3gpuE4ELNS1_3repE0EEENS1_30default_config_static_selectorELNS0_4arch9wavefront6targetE1EEEvT1_.kd
    .uniform_work_group_size: 1
    .uses_dynamic_stack: false
    .vgpr_count:     0
    .vgpr_spill_count: 0
    .wavefront_size: 64
  - .agpr_count:     0
    .args:
      - .offset:         0
        .size:           96
        .value_kind:     by_value
    .group_segment_fixed_size: 0
    .kernarg_segment_align: 8
    .kernarg_segment_size: 96
    .language:       OpenCL C
    .language_version:
      - 2
      - 0
    .max_flat_workgroup_size: 64
    .name:           _ZN7rocprim17ROCPRIM_400000_NS6detail17trampoline_kernelINS0_14default_configENS1_20scan_config_selectorIsEEZZNS1_9scan_implILNS1_25lookback_scan_determinismE0ELb0ELb0ES3_N6thrust23THRUST_200600_302600_NS6detail15normal_iteratorINS9_10device_ptrIsEEEESE_s11max_functorIsEsEEDaPvRmT3_T4_T5_mT6_P12ihipStream_tbENKUlT_T0_E_clISt17integral_constantIbLb0EESU_EEDaSP_SQ_EUlSP_E_NS1_11comp_targetILNS1_3genE9ELNS1_11target_archE1100ELNS1_3gpuE3ELNS1_3repE0EEENS1_30default_config_static_selectorELNS0_4arch9wavefront6targetE1EEEvT1_
    .private_segment_fixed_size: 0
    .sgpr_count:     4
    .sgpr_spill_count: 0
    .symbol:         _ZN7rocprim17ROCPRIM_400000_NS6detail17trampoline_kernelINS0_14default_configENS1_20scan_config_selectorIsEEZZNS1_9scan_implILNS1_25lookback_scan_determinismE0ELb0ELb0ES3_N6thrust23THRUST_200600_302600_NS6detail15normal_iteratorINS9_10device_ptrIsEEEESE_s11max_functorIsEsEEDaPvRmT3_T4_T5_mT6_P12ihipStream_tbENKUlT_T0_E_clISt17integral_constantIbLb0EESU_EEDaSP_SQ_EUlSP_E_NS1_11comp_targetILNS1_3genE9ELNS1_11target_archE1100ELNS1_3gpuE3ELNS1_3repE0EEENS1_30default_config_static_selectorELNS0_4arch9wavefront6targetE1EEEvT1_.kd
    .uniform_work_group_size: 1
    .uses_dynamic_stack: false
    .vgpr_count:     0
    .vgpr_spill_count: 0
    .wavefront_size: 64
  - .agpr_count:     0
    .args:
      - .offset:         0
        .size:           96
        .value_kind:     by_value
    .group_segment_fixed_size: 0
    .kernarg_segment_align: 8
    .kernarg_segment_size: 96
    .language:       OpenCL C
    .language_version:
      - 2
      - 0
    .max_flat_workgroup_size: 64
    .name:           _ZN7rocprim17ROCPRIM_400000_NS6detail17trampoline_kernelINS0_14default_configENS1_20scan_config_selectorIsEEZZNS1_9scan_implILNS1_25lookback_scan_determinismE0ELb0ELb0ES3_N6thrust23THRUST_200600_302600_NS6detail15normal_iteratorINS9_10device_ptrIsEEEESE_s11max_functorIsEsEEDaPvRmT3_T4_T5_mT6_P12ihipStream_tbENKUlT_T0_E_clISt17integral_constantIbLb0EESU_EEDaSP_SQ_EUlSP_E_NS1_11comp_targetILNS1_3genE8ELNS1_11target_archE1030ELNS1_3gpuE2ELNS1_3repE0EEENS1_30default_config_static_selectorELNS0_4arch9wavefront6targetE1EEEvT1_
    .private_segment_fixed_size: 0
    .sgpr_count:     4
    .sgpr_spill_count: 0
    .symbol:         _ZN7rocprim17ROCPRIM_400000_NS6detail17trampoline_kernelINS0_14default_configENS1_20scan_config_selectorIsEEZZNS1_9scan_implILNS1_25lookback_scan_determinismE0ELb0ELb0ES3_N6thrust23THRUST_200600_302600_NS6detail15normal_iteratorINS9_10device_ptrIsEEEESE_s11max_functorIsEsEEDaPvRmT3_T4_T5_mT6_P12ihipStream_tbENKUlT_T0_E_clISt17integral_constantIbLb0EESU_EEDaSP_SQ_EUlSP_E_NS1_11comp_targetILNS1_3genE8ELNS1_11target_archE1030ELNS1_3gpuE2ELNS1_3repE0EEENS1_30default_config_static_selectorELNS0_4arch9wavefront6targetE1EEEvT1_.kd
    .uniform_work_group_size: 1
    .uses_dynamic_stack: false
    .vgpr_count:     0
    .vgpr_spill_count: 0
    .wavefront_size: 64
  - .agpr_count:     0
    .args:
      - .offset:         0
        .size:           32
        .value_kind:     by_value
    .group_segment_fixed_size: 0
    .kernarg_segment_align: 8
    .kernarg_segment_size: 32
    .language:       OpenCL C
    .language_version:
      - 2
      - 0
    .max_flat_workgroup_size: 128
    .name:           _ZN7rocprim17ROCPRIM_400000_NS6detail17trampoline_kernelINS0_14default_configENS1_20scan_config_selectorIsEEZZNS1_9scan_implILNS1_25lookback_scan_determinismE0ELb0ELb0ES3_N6thrust23THRUST_200600_302600_NS6detail15normal_iteratorINS9_10device_ptrIsEEEESE_s11max_functorIsEsEEDaPvRmT3_T4_T5_mT6_P12ihipStream_tbENKUlT_T0_E_clISt17integral_constantIbLb0EESU_EEDaSP_SQ_EUlSP_E0_NS1_11comp_targetILNS1_3genE0ELNS1_11target_archE4294967295ELNS1_3gpuE0ELNS1_3repE0EEENS1_30default_config_static_selectorELNS0_4arch9wavefront6targetE1EEEvT1_
    .private_segment_fixed_size: 0
    .sgpr_count:     4
    .sgpr_spill_count: 0
    .symbol:         _ZN7rocprim17ROCPRIM_400000_NS6detail17trampoline_kernelINS0_14default_configENS1_20scan_config_selectorIsEEZZNS1_9scan_implILNS1_25lookback_scan_determinismE0ELb0ELb0ES3_N6thrust23THRUST_200600_302600_NS6detail15normal_iteratorINS9_10device_ptrIsEEEESE_s11max_functorIsEsEEDaPvRmT3_T4_T5_mT6_P12ihipStream_tbENKUlT_T0_E_clISt17integral_constantIbLb0EESU_EEDaSP_SQ_EUlSP_E0_NS1_11comp_targetILNS1_3genE0ELNS1_11target_archE4294967295ELNS1_3gpuE0ELNS1_3repE0EEENS1_30default_config_static_selectorELNS0_4arch9wavefront6targetE1EEEvT1_.kd
    .uniform_work_group_size: 1
    .uses_dynamic_stack: false
    .vgpr_count:     0
    .vgpr_spill_count: 0
    .wavefront_size: 64
  - .agpr_count:     0
    .args:
      - .offset:         0
        .size:           32
        .value_kind:     by_value
    .group_segment_fixed_size: 0
    .kernarg_segment_align: 8
    .kernarg_segment_size: 32
    .language:       OpenCL C
    .language_version:
      - 2
      - 0
    .max_flat_workgroup_size: 256
    .name:           _ZN7rocprim17ROCPRIM_400000_NS6detail17trampoline_kernelINS0_14default_configENS1_20scan_config_selectorIsEEZZNS1_9scan_implILNS1_25lookback_scan_determinismE0ELb0ELb0ES3_N6thrust23THRUST_200600_302600_NS6detail15normal_iteratorINS9_10device_ptrIsEEEESE_s11max_functorIsEsEEDaPvRmT3_T4_T5_mT6_P12ihipStream_tbENKUlT_T0_E_clISt17integral_constantIbLb0EESU_EEDaSP_SQ_EUlSP_E0_NS1_11comp_targetILNS1_3genE5ELNS1_11target_archE942ELNS1_3gpuE9ELNS1_3repE0EEENS1_30default_config_static_selectorELNS0_4arch9wavefront6targetE1EEEvT1_
    .private_segment_fixed_size: 0
    .sgpr_count:     4
    .sgpr_spill_count: 0
    .symbol:         _ZN7rocprim17ROCPRIM_400000_NS6detail17trampoline_kernelINS0_14default_configENS1_20scan_config_selectorIsEEZZNS1_9scan_implILNS1_25lookback_scan_determinismE0ELb0ELb0ES3_N6thrust23THRUST_200600_302600_NS6detail15normal_iteratorINS9_10device_ptrIsEEEESE_s11max_functorIsEsEEDaPvRmT3_T4_T5_mT6_P12ihipStream_tbENKUlT_T0_E_clISt17integral_constantIbLb0EESU_EEDaSP_SQ_EUlSP_E0_NS1_11comp_targetILNS1_3genE5ELNS1_11target_archE942ELNS1_3gpuE9ELNS1_3repE0EEENS1_30default_config_static_selectorELNS0_4arch9wavefront6targetE1EEEvT1_.kd
    .uniform_work_group_size: 1
    .uses_dynamic_stack: false
    .vgpr_count:     0
    .vgpr_spill_count: 0
    .wavefront_size: 64
  - .agpr_count:     0
    .args:
      - .offset:         0
        .size:           32
        .value_kind:     by_value
    .group_segment_fixed_size: 3072
    .kernarg_segment_align: 8
    .kernarg_segment_size: 32
    .language:       OpenCL C
    .language_version:
      - 2
      - 0
    .max_flat_workgroup_size: 64
    .name:           _ZN7rocprim17ROCPRIM_400000_NS6detail17trampoline_kernelINS0_14default_configENS1_20scan_config_selectorIsEEZZNS1_9scan_implILNS1_25lookback_scan_determinismE0ELb0ELb0ES3_N6thrust23THRUST_200600_302600_NS6detail15normal_iteratorINS9_10device_ptrIsEEEESE_s11max_functorIsEsEEDaPvRmT3_T4_T5_mT6_P12ihipStream_tbENKUlT_T0_E_clISt17integral_constantIbLb0EESU_EEDaSP_SQ_EUlSP_E0_NS1_11comp_targetILNS1_3genE4ELNS1_11target_archE910ELNS1_3gpuE8ELNS1_3repE0EEENS1_30default_config_static_selectorELNS0_4arch9wavefront6targetE1EEEvT1_
    .private_segment_fixed_size: 0
    .sgpr_count:     60
    .sgpr_spill_count: 0
    .symbol:         _ZN7rocprim17ROCPRIM_400000_NS6detail17trampoline_kernelINS0_14default_configENS1_20scan_config_selectorIsEEZZNS1_9scan_implILNS1_25lookback_scan_determinismE0ELb0ELb0ES3_N6thrust23THRUST_200600_302600_NS6detail15normal_iteratorINS9_10device_ptrIsEEEESE_s11max_functorIsEsEEDaPvRmT3_T4_T5_mT6_P12ihipStream_tbENKUlT_T0_E_clISt17integral_constantIbLb0EESU_EEDaSP_SQ_EUlSP_E0_NS1_11comp_targetILNS1_3genE4ELNS1_11target_archE910ELNS1_3gpuE8ELNS1_3repE0EEENS1_30default_config_static_selectorELNS0_4arch9wavefront6targetE1EEEvT1_.kd
    .uniform_work_group_size: 1
    .uses_dynamic_stack: false
    .vgpr_count:     43
    .vgpr_spill_count: 0
    .wavefront_size: 64
  - .agpr_count:     0
    .args:
      - .offset:         0
        .size:           32
        .value_kind:     by_value
    .group_segment_fixed_size: 0
    .kernarg_segment_align: 8
    .kernarg_segment_size: 32
    .language:       OpenCL C
    .language_version:
      - 2
      - 0
    .max_flat_workgroup_size: 128
    .name:           _ZN7rocprim17ROCPRIM_400000_NS6detail17trampoline_kernelINS0_14default_configENS1_20scan_config_selectorIsEEZZNS1_9scan_implILNS1_25lookback_scan_determinismE0ELb0ELb0ES3_N6thrust23THRUST_200600_302600_NS6detail15normal_iteratorINS9_10device_ptrIsEEEESE_s11max_functorIsEsEEDaPvRmT3_T4_T5_mT6_P12ihipStream_tbENKUlT_T0_E_clISt17integral_constantIbLb0EESU_EEDaSP_SQ_EUlSP_E0_NS1_11comp_targetILNS1_3genE3ELNS1_11target_archE908ELNS1_3gpuE7ELNS1_3repE0EEENS1_30default_config_static_selectorELNS0_4arch9wavefront6targetE1EEEvT1_
    .private_segment_fixed_size: 0
    .sgpr_count:     4
    .sgpr_spill_count: 0
    .symbol:         _ZN7rocprim17ROCPRIM_400000_NS6detail17trampoline_kernelINS0_14default_configENS1_20scan_config_selectorIsEEZZNS1_9scan_implILNS1_25lookback_scan_determinismE0ELb0ELb0ES3_N6thrust23THRUST_200600_302600_NS6detail15normal_iteratorINS9_10device_ptrIsEEEESE_s11max_functorIsEsEEDaPvRmT3_T4_T5_mT6_P12ihipStream_tbENKUlT_T0_E_clISt17integral_constantIbLb0EESU_EEDaSP_SQ_EUlSP_E0_NS1_11comp_targetILNS1_3genE3ELNS1_11target_archE908ELNS1_3gpuE7ELNS1_3repE0EEENS1_30default_config_static_selectorELNS0_4arch9wavefront6targetE1EEEvT1_.kd
    .uniform_work_group_size: 1
    .uses_dynamic_stack: false
    .vgpr_count:     0
    .vgpr_spill_count: 0
    .wavefront_size: 64
  - .agpr_count:     0
    .args:
      - .offset:         0
        .size:           32
        .value_kind:     by_value
    .group_segment_fixed_size: 0
    .kernarg_segment_align: 8
    .kernarg_segment_size: 32
    .language:       OpenCL C
    .language_version:
      - 2
      - 0
    .max_flat_workgroup_size: 256
    .name:           _ZN7rocprim17ROCPRIM_400000_NS6detail17trampoline_kernelINS0_14default_configENS1_20scan_config_selectorIsEEZZNS1_9scan_implILNS1_25lookback_scan_determinismE0ELb0ELb0ES3_N6thrust23THRUST_200600_302600_NS6detail15normal_iteratorINS9_10device_ptrIsEEEESE_s11max_functorIsEsEEDaPvRmT3_T4_T5_mT6_P12ihipStream_tbENKUlT_T0_E_clISt17integral_constantIbLb0EESU_EEDaSP_SQ_EUlSP_E0_NS1_11comp_targetILNS1_3genE2ELNS1_11target_archE906ELNS1_3gpuE6ELNS1_3repE0EEENS1_30default_config_static_selectorELNS0_4arch9wavefront6targetE1EEEvT1_
    .private_segment_fixed_size: 0
    .sgpr_count:     4
    .sgpr_spill_count: 0
    .symbol:         _ZN7rocprim17ROCPRIM_400000_NS6detail17trampoline_kernelINS0_14default_configENS1_20scan_config_selectorIsEEZZNS1_9scan_implILNS1_25lookback_scan_determinismE0ELb0ELb0ES3_N6thrust23THRUST_200600_302600_NS6detail15normal_iteratorINS9_10device_ptrIsEEEESE_s11max_functorIsEsEEDaPvRmT3_T4_T5_mT6_P12ihipStream_tbENKUlT_T0_E_clISt17integral_constantIbLb0EESU_EEDaSP_SQ_EUlSP_E0_NS1_11comp_targetILNS1_3genE2ELNS1_11target_archE906ELNS1_3gpuE6ELNS1_3repE0EEENS1_30default_config_static_selectorELNS0_4arch9wavefront6targetE1EEEvT1_.kd
    .uniform_work_group_size: 1
    .uses_dynamic_stack: false
    .vgpr_count:     0
    .vgpr_spill_count: 0
    .wavefront_size: 64
  - .agpr_count:     0
    .args:
      - .offset:         0
        .size:           32
        .value_kind:     by_value
    .group_segment_fixed_size: 0
    .kernarg_segment_align: 8
    .kernarg_segment_size: 32
    .language:       OpenCL C
    .language_version:
      - 2
      - 0
    .max_flat_workgroup_size: 256
    .name:           _ZN7rocprim17ROCPRIM_400000_NS6detail17trampoline_kernelINS0_14default_configENS1_20scan_config_selectorIsEEZZNS1_9scan_implILNS1_25lookback_scan_determinismE0ELb0ELb0ES3_N6thrust23THRUST_200600_302600_NS6detail15normal_iteratorINS9_10device_ptrIsEEEESE_s11max_functorIsEsEEDaPvRmT3_T4_T5_mT6_P12ihipStream_tbENKUlT_T0_E_clISt17integral_constantIbLb0EESU_EEDaSP_SQ_EUlSP_E0_NS1_11comp_targetILNS1_3genE10ELNS1_11target_archE1201ELNS1_3gpuE5ELNS1_3repE0EEENS1_30default_config_static_selectorELNS0_4arch9wavefront6targetE1EEEvT1_
    .private_segment_fixed_size: 0
    .sgpr_count:     4
    .sgpr_spill_count: 0
    .symbol:         _ZN7rocprim17ROCPRIM_400000_NS6detail17trampoline_kernelINS0_14default_configENS1_20scan_config_selectorIsEEZZNS1_9scan_implILNS1_25lookback_scan_determinismE0ELb0ELb0ES3_N6thrust23THRUST_200600_302600_NS6detail15normal_iteratorINS9_10device_ptrIsEEEESE_s11max_functorIsEsEEDaPvRmT3_T4_T5_mT6_P12ihipStream_tbENKUlT_T0_E_clISt17integral_constantIbLb0EESU_EEDaSP_SQ_EUlSP_E0_NS1_11comp_targetILNS1_3genE10ELNS1_11target_archE1201ELNS1_3gpuE5ELNS1_3repE0EEENS1_30default_config_static_selectorELNS0_4arch9wavefront6targetE1EEEvT1_.kd
    .uniform_work_group_size: 1
    .uses_dynamic_stack: false
    .vgpr_count:     0
    .vgpr_spill_count: 0
    .wavefront_size: 64
  - .agpr_count:     0
    .args:
      - .offset:         0
        .size:           32
        .value_kind:     by_value
    .group_segment_fixed_size: 0
    .kernarg_segment_align: 8
    .kernarg_segment_size: 32
    .language:       OpenCL C
    .language_version:
      - 2
      - 0
    .max_flat_workgroup_size: 256
    .name:           _ZN7rocprim17ROCPRIM_400000_NS6detail17trampoline_kernelINS0_14default_configENS1_20scan_config_selectorIsEEZZNS1_9scan_implILNS1_25lookback_scan_determinismE0ELb0ELb0ES3_N6thrust23THRUST_200600_302600_NS6detail15normal_iteratorINS9_10device_ptrIsEEEESE_s11max_functorIsEsEEDaPvRmT3_T4_T5_mT6_P12ihipStream_tbENKUlT_T0_E_clISt17integral_constantIbLb0EESU_EEDaSP_SQ_EUlSP_E0_NS1_11comp_targetILNS1_3genE10ELNS1_11target_archE1200ELNS1_3gpuE4ELNS1_3repE0EEENS1_30default_config_static_selectorELNS0_4arch9wavefront6targetE1EEEvT1_
    .private_segment_fixed_size: 0
    .sgpr_count:     4
    .sgpr_spill_count: 0
    .symbol:         _ZN7rocprim17ROCPRIM_400000_NS6detail17trampoline_kernelINS0_14default_configENS1_20scan_config_selectorIsEEZZNS1_9scan_implILNS1_25lookback_scan_determinismE0ELb0ELb0ES3_N6thrust23THRUST_200600_302600_NS6detail15normal_iteratorINS9_10device_ptrIsEEEESE_s11max_functorIsEsEEDaPvRmT3_T4_T5_mT6_P12ihipStream_tbENKUlT_T0_E_clISt17integral_constantIbLb0EESU_EEDaSP_SQ_EUlSP_E0_NS1_11comp_targetILNS1_3genE10ELNS1_11target_archE1200ELNS1_3gpuE4ELNS1_3repE0EEENS1_30default_config_static_selectorELNS0_4arch9wavefront6targetE1EEEvT1_.kd
    .uniform_work_group_size: 1
    .uses_dynamic_stack: false
    .vgpr_count:     0
    .vgpr_spill_count: 0
    .wavefront_size: 64
  - .agpr_count:     0
    .args:
      - .offset:         0
        .size:           32
        .value_kind:     by_value
    .group_segment_fixed_size: 0
    .kernarg_segment_align: 8
    .kernarg_segment_size: 32
    .language:       OpenCL C
    .language_version:
      - 2
      - 0
    .max_flat_workgroup_size: 64
    .name:           _ZN7rocprim17ROCPRIM_400000_NS6detail17trampoline_kernelINS0_14default_configENS1_20scan_config_selectorIsEEZZNS1_9scan_implILNS1_25lookback_scan_determinismE0ELb0ELb0ES3_N6thrust23THRUST_200600_302600_NS6detail15normal_iteratorINS9_10device_ptrIsEEEESE_s11max_functorIsEsEEDaPvRmT3_T4_T5_mT6_P12ihipStream_tbENKUlT_T0_E_clISt17integral_constantIbLb0EESU_EEDaSP_SQ_EUlSP_E0_NS1_11comp_targetILNS1_3genE9ELNS1_11target_archE1100ELNS1_3gpuE3ELNS1_3repE0EEENS1_30default_config_static_selectorELNS0_4arch9wavefront6targetE1EEEvT1_
    .private_segment_fixed_size: 0
    .sgpr_count:     4
    .sgpr_spill_count: 0
    .symbol:         _ZN7rocprim17ROCPRIM_400000_NS6detail17trampoline_kernelINS0_14default_configENS1_20scan_config_selectorIsEEZZNS1_9scan_implILNS1_25lookback_scan_determinismE0ELb0ELb0ES3_N6thrust23THRUST_200600_302600_NS6detail15normal_iteratorINS9_10device_ptrIsEEEESE_s11max_functorIsEsEEDaPvRmT3_T4_T5_mT6_P12ihipStream_tbENKUlT_T0_E_clISt17integral_constantIbLb0EESU_EEDaSP_SQ_EUlSP_E0_NS1_11comp_targetILNS1_3genE9ELNS1_11target_archE1100ELNS1_3gpuE3ELNS1_3repE0EEENS1_30default_config_static_selectorELNS0_4arch9wavefront6targetE1EEEvT1_.kd
    .uniform_work_group_size: 1
    .uses_dynamic_stack: false
    .vgpr_count:     0
    .vgpr_spill_count: 0
    .wavefront_size: 64
  - .agpr_count:     0
    .args:
      - .offset:         0
        .size:           32
        .value_kind:     by_value
    .group_segment_fixed_size: 0
    .kernarg_segment_align: 8
    .kernarg_segment_size: 32
    .language:       OpenCL C
    .language_version:
      - 2
      - 0
    .max_flat_workgroup_size: 64
    .name:           _ZN7rocprim17ROCPRIM_400000_NS6detail17trampoline_kernelINS0_14default_configENS1_20scan_config_selectorIsEEZZNS1_9scan_implILNS1_25lookback_scan_determinismE0ELb0ELb0ES3_N6thrust23THRUST_200600_302600_NS6detail15normal_iteratorINS9_10device_ptrIsEEEESE_s11max_functorIsEsEEDaPvRmT3_T4_T5_mT6_P12ihipStream_tbENKUlT_T0_E_clISt17integral_constantIbLb0EESU_EEDaSP_SQ_EUlSP_E0_NS1_11comp_targetILNS1_3genE8ELNS1_11target_archE1030ELNS1_3gpuE2ELNS1_3repE0EEENS1_30default_config_static_selectorELNS0_4arch9wavefront6targetE1EEEvT1_
    .private_segment_fixed_size: 0
    .sgpr_count:     4
    .sgpr_spill_count: 0
    .symbol:         _ZN7rocprim17ROCPRIM_400000_NS6detail17trampoline_kernelINS0_14default_configENS1_20scan_config_selectorIsEEZZNS1_9scan_implILNS1_25lookback_scan_determinismE0ELb0ELb0ES3_N6thrust23THRUST_200600_302600_NS6detail15normal_iteratorINS9_10device_ptrIsEEEESE_s11max_functorIsEsEEDaPvRmT3_T4_T5_mT6_P12ihipStream_tbENKUlT_T0_E_clISt17integral_constantIbLb0EESU_EEDaSP_SQ_EUlSP_E0_NS1_11comp_targetILNS1_3genE8ELNS1_11target_archE1030ELNS1_3gpuE2ELNS1_3repE0EEENS1_30default_config_static_selectorELNS0_4arch9wavefront6targetE1EEEvT1_.kd
    .uniform_work_group_size: 1
    .uses_dynamic_stack: false
    .vgpr_count:     0
    .vgpr_spill_count: 0
    .wavefront_size: 64
  - .agpr_count:     0
    .args:
      - .offset:         0
        .size:           96
        .value_kind:     by_value
    .group_segment_fixed_size: 0
    .kernarg_segment_align: 8
    .kernarg_segment_size: 96
    .language:       OpenCL C
    .language_version:
      - 2
      - 0
    .max_flat_workgroup_size: 128
    .name:           _ZN7rocprim17ROCPRIM_400000_NS6detail17trampoline_kernelINS0_14default_configENS1_20scan_config_selectorIsEEZZNS1_9scan_implILNS1_25lookback_scan_determinismE0ELb0ELb0ES3_N6thrust23THRUST_200600_302600_NS6detail15normal_iteratorINS9_10device_ptrIsEEEESE_s11max_functorIsEsEEDaPvRmT3_T4_T5_mT6_P12ihipStream_tbENKUlT_T0_E_clISt17integral_constantIbLb1EESU_EEDaSP_SQ_EUlSP_E_NS1_11comp_targetILNS1_3genE0ELNS1_11target_archE4294967295ELNS1_3gpuE0ELNS1_3repE0EEENS1_30default_config_static_selectorELNS0_4arch9wavefront6targetE1EEEvT1_
    .private_segment_fixed_size: 0
    .sgpr_count:     4
    .sgpr_spill_count: 0
    .symbol:         _ZN7rocprim17ROCPRIM_400000_NS6detail17trampoline_kernelINS0_14default_configENS1_20scan_config_selectorIsEEZZNS1_9scan_implILNS1_25lookback_scan_determinismE0ELb0ELb0ES3_N6thrust23THRUST_200600_302600_NS6detail15normal_iteratorINS9_10device_ptrIsEEEESE_s11max_functorIsEsEEDaPvRmT3_T4_T5_mT6_P12ihipStream_tbENKUlT_T0_E_clISt17integral_constantIbLb1EESU_EEDaSP_SQ_EUlSP_E_NS1_11comp_targetILNS1_3genE0ELNS1_11target_archE4294967295ELNS1_3gpuE0ELNS1_3repE0EEENS1_30default_config_static_selectorELNS0_4arch9wavefront6targetE1EEEvT1_.kd
    .uniform_work_group_size: 1
    .uses_dynamic_stack: false
    .vgpr_count:     0
    .vgpr_spill_count: 0
    .wavefront_size: 64
  - .agpr_count:     0
    .args:
      - .offset:         0
        .size:           96
        .value_kind:     by_value
    .group_segment_fixed_size: 0
    .kernarg_segment_align: 8
    .kernarg_segment_size: 96
    .language:       OpenCL C
    .language_version:
      - 2
      - 0
    .max_flat_workgroup_size: 256
    .name:           _ZN7rocprim17ROCPRIM_400000_NS6detail17trampoline_kernelINS0_14default_configENS1_20scan_config_selectorIsEEZZNS1_9scan_implILNS1_25lookback_scan_determinismE0ELb0ELb0ES3_N6thrust23THRUST_200600_302600_NS6detail15normal_iteratorINS9_10device_ptrIsEEEESE_s11max_functorIsEsEEDaPvRmT3_T4_T5_mT6_P12ihipStream_tbENKUlT_T0_E_clISt17integral_constantIbLb1EESU_EEDaSP_SQ_EUlSP_E_NS1_11comp_targetILNS1_3genE5ELNS1_11target_archE942ELNS1_3gpuE9ELNS1_3repE0EEENS1_30default_config_static_selectorELNS0_4arch9wavefront6targetE1EEEvT1_
    .private_segment_fixed_size: 0
    .sgpr_count:     4
    .sgpr_spill_count: 0
    .symbol:         _ZN7rocprim17ROCPRIM_400000_NS6detail17trampoline_kernelINS0_14default_configENS1_20scan_config_selectorIsEEZZNS1_9scan_implILNS1_25lookback_scan_determinismE0ELb0ELb0ES3_N6thrust23THRUST_200600_302600_NS6detail15normal_iteratorINS9_10device_ptrIsEEEESE_s11max_functorIsEsEEDaPvRmT3_T4_T5_mT6_P12ihipStream_tbENKUlT_T0_E_clISt17integral_constantIbLb1EESU_EEDaSP_SQ_EUlSP_E_NS1_11comp_targetILNS1_3genE5ELNS1_11target_archE942ELNS1_3gpuE9ELNS1_3repE0EEENS1_30default_config_static_selectorELNS0_4arch9wavefront6targetE1EEEvT1_.kd
    .uniform_work_group_size: 1
    .uses_dynamic_stack: false
    .vgpr_count:     0
    .vgpr_spill_count: 0
    .wavefront_size: 64
  - .agpr_count:     0
    .args:
      - .offset:         0
        .size:           96
        .value_kind:     by_value
    .group_segment_fixed_size: 3072
    .kernarg_segment_align: 8
    .kernarg_segment_size: 96
    .language:       OpenCL C
    .language_version:
      - 2
      - 0
    .max_flat_workgroup_size: 64
    .name:           _ZN7rocprim17ROCPRIM_400000_NS6detail17trampoline_kernelINS0_14default_configENS1_20scan_config_selectorIsEEZZNS1_9scan_implILNS1_25lookback_scan_determinismE0ELb0ELb0ES3_N6thrust23THRUST_200600_302600_NS6detail15normal_iteratorINS9_10device_ptrIsEEEESE_s11max_functorIsEsEEDaPvRmT3_T4_T5_mT6_P12ihipStream_tbENKUlT_T0_E_clISt17integral_constantIbLb1EESU_EEDaSP_SQ_EUlSP_E_NS1_11comp_targetILNS1_3genE4ELNS1_11target_archE910ELNS1_3gpuE8ELNS1_3repE0EEENS1_30default_config_static_selectorELNS0_4arch9wavefront6targetE1EEEvT1_
    .private_segment_fixed_size: 0
    .sgpr_count:     42
    .sgpr_spill_count: 0
    .symbol:         _ZN7rocprim17ROCPRIM_400000_NS6detail17trampoline_kernelINS0_14default_configENS1_20scan_config_selectorIsEEZZNS1_9scan_implILNS1_25lookback_scan_determinismE0ELb0ELb0ES3_N6thrust23THRUST_200600_302600_NS6detail15normal_iteratorINS9_10device_ptrIsEEEESE_s11max_functorIsEsEEDaPvRmT3_T4_T5_mT6_P12ihipStream_tbENKUlT_T0_E_clISt17integral_constantIbLb1EESU_EEDaSP_SQ_EUlSP_E_NS1_11comp_targetILNS1_3genE4ELNS1_11target_archE910ELNS1_3gpuE8ELNS1_3repE0EEENS1_30default_config_static_selectorELNS0_4arch9wavefront6targetE1EEEvT1_.kd
    .uniform_work_group_size: 1
    .uses_dynamic_stack: false
    .vgpr_count:     57
    .vgpr_spill_count: 0
    .wavefront_size: 64
  - .agpr_count:     0
    .args:
      - .offset:         0
        .size:           96
        .value_kind:     by_value
    .group_segment_fixed_size: 0
    .kernarg_segment_align: 8
    .kernarg_segment_size: 96
    .language:       OpenCL C
    .language_version:
      - 2
      - 0
    .max_flat_workgroup_size: 128
    .name:           _ZN7rocprim17ROCPRIM_400000_NS6detail17trampoline_kernelINS0_14default_configENS1_20scan_config_selectorIsEEZZNS1_9scan_implILNS1_25lookback_scan_determinismE0ELb0ELb0ES3_N6thrust23THRUST_200600_302600_NS6detail15normal_iteratorINS9_10device_ptrIsEEEESE_s11max_functorIsEsEEDaPvRmT3_T4_T5_mT6_P12ihipStream_tbENKUlT_T0_E_clISt17integral_constantIbLb1EESU_EEDaSP_SQ_EUlSP_E_NS1_11comp_targetILNS1_3genE3ELNS1_11target_archE908ELNS1_3gpuE7ELNS1_3repE0EEENS1_30default_config_static_selectorELNS0_4arch9wavefront6targetE1EEEvT1_
    .private_segment_fixed_size: 0
    .sgpr_count:     4
    .sgpr_spill_count: 0
    .symbol:         _ZN7rocprim17ROCPRIM_400000_NS6detail17trampoline_kernelINS0_14default_configENS1_20scan_config_selectorIsEEZZNS1_9scan_implILNS1_25lookback_scan_determinismE0ELb0ELb0ES3_N6thrust23THRUST_200600_302600_NS6detail15normal_iteratorINS9_10device_ptrIsEEEESE_s11max_functorIsEsEEDaPvRmT3_T4_T5_mT6_P12ihipStream_tbENKUlT_T0_E_clISt17integral_constantIbLb1EESU_EEDaSP_SQ_EUlSP_E_NS1_11comp_targetILNS1_3genE3ELNS1_11target_archE908ELNS1_3gpuE7ELNS1_3repE0EEENS1_30default_config_static_selectorELNS0_4arch9wavefront6targetE1EEEvT1_.kd
    .uniform_work_group_size: 1
    .uses_dynamic_stack: false
    .vgpr_count:     0
    .vgpr_spill_count: 0
    .wavefront_size: 64
  - .agpr_count:     0
    .args:
      - .offset:         0
        .size:           96
        .value_kind:     by_value
    .group_segment_fixed_size: 0
    .kernarg_segment_align: 8
    .kernarg_segment_size: 96
    .language:       OpenCL C
    .language_version:
      - 2
      - 0
    .max_flat_workgroup_size: 256
    .name:           _ZN7rocprim17ROCPRIM_400000_NS6detail17trampoline_kernelINS0_14default_configENS1_20scan_config_selectorIsEEZZNS1_9scan_implILNS1_25lookback_scan_determinismE0ELb0ELb0ES3_N6thrust23THRUST_200600_302600_NS6detail15normal_iteratorINS9_10device_ptrIsEEEESE_s11max_functorIsEsEEDaPvRmT3_T4_T5_mT6_P12ihipStream_tbENKUlT_T0_E_clISt17integral_constantIbLb1EESU_EEDaSP_SQ_EUlSP_E_NS1_11comp_targetILNS1_3genE2ELNS1_11target_archE906ELNS1_3gpuE6ELNS1_3repE0EEENS1_30default_config_static_selectorELNS0_4arch9wavefront6targetE1EEEvT1_
    .private_segment_fixed_size: 0
    .sgpr_count:     4
    .sgpr_spill_count: 0
    .symbol:         _ZN7rocprim17ROCPRIM_400000_NS6detail17trampoline_kernelINS0_14default_configENS1_20scan_config_selectorIsEEZZNS1_9scan_implILNS1_25lookback_scan_determinismE0ELb0ELb0ES3_N6thrust23THRUST_200600_302600_NS6detail15normal_iteratorINS9_10device_ptrIsEEEESE_s11max_functorIsEsEEDaPvRmT3_T4_T5_mT6_P12ihipStream_tbENKUlT_T0_E_clISt17integral_constantIbLb1EESU_EEDaSP_SQ_EUlSP_E_NS1_11comp_targetILNS1_3genE2ELNS1_11target_archE906ELNS1_3gpuE6ELNS1_3repE0EEENS1_30default_config_static_selectorELNS0_4arch9wavefront6targetE1EEEvT1_.kd
    .uniform_work_group_size: 1
    .uses_dynamic_stack: false
    .vgpr_count:     0
    .vgpr_spill_count: 0
    .wavefront_size: 64
  - .agpr_count:     0
    .args:
      - .offset:         0
        .size:           96
        .value_kind:     by_value
    .group_segment_fixed_size: 0
    .kernarg_segment_align: 8
    .kernarg_segment_size: 96
    .language:       OpenCL C
    .language_version:
      - 2
      - 0
    .max_flat_workgroup_size: 256
    .name:           _ZN7rocprim17ROCPRIM_400000_NS6detail17trampoline_kernelINS0_14default_configENS1_20scan_config_selectorIsEEZZNS1_9scan_implILNS1_25lookback_scan_determinismE0ELb0ELb0ES3_N6thrust23THRUST_200600_302600_NS6detail15normal_iteratorINS9_10device_ptrIsEEEESE_s11max_functorIsEsEEDaPvRmT3_T4_T5_mT6_P12ihipStream_tbENKUlT_T0_E_clISt17integral_constantIbLb1EESU_EEDaSP_SQ_EUlSP_E_NS1_11comp_targetILNS1_3genE10ELNS1_11target_archE1201ELNS1_3gpuE5ELNS1_3repE0EEENS1_30default_config_static_selectorELNS0_4arch9wavefront6targetE1EEEvT1_
    .private_segment_fixed_size: 0
    .sgpr_count:     4
    .sgpr_spill_count: 0
    .symbol:         _ZN7rocprim17ROCPRIM_400000_NS6detail17trampoline_kernelINS0_14default_configENS1_20scan_config_selectorIsEEZZNS1_9scan_implILNS1_25lookback_scan_determinismE0ELb0ELb0ES3_N6thrust23THRUST_200600_302600_NS6detail15normal_iteratorINS9_10device_ptrIsEEEESE_s11max_functorIsEsEEDaPvRmT3_T4_T5_mT6_P12ihipStream_tbENKUlT_T0_E_clISt17integral_constantIbLb1EESU_EEDaSP_SQ_EUlSP_E_NS1_11comp_targetILNS1_3genE10ELNS1_11target_archE1201ELNS1_3gpuE5ELNS1_3repE0EEENS1_30default_config_static_selectorELNS0_4arch9wavefront6targetE1EEEvT1_.kd
    .uniform_work_group_size: 1
    .uses_dynamic_stack: false
    .vgpr_count:     0
    .vgpr_spill_count: 0
    .wavefront_size: 64
  - .agpr_count:     0
    .args:
      - .offset:         0
        .size:           96
        .value_kind:     by_value
    .group_segment_fixed_size: 0
    .kernarg_segment_align: 8
    .kernarg_segment_size: 96
    .language:       OpenCL C
    .language_version:
      - 2
      - 0
    .max_flat_workgroup_size: 256
    .name:           _ZN7rocprim17ROCPRIM_400000_NS6detail17trampoline_kernelINS0_14default_configENS1_20scan_config_selectorIsEEZZNS1_9scan_implILNS1_25lookback_scan_determinismE0ELb0ELb0ES3_N6thrust23THRUST_200600_302600_NS6detail15normal_iteratorINS9_10device_ptrIsEEEESE_s11max_functorIsEsEEDaPvRmT3_T4_T5_mT6_P12ihipStream_tbENKUlT_T0_E_clISt17integral_constantIbLb1EESU_EEDaSP_SQ_EUlSP_E_NS1_11comp_targetILNS1_3genE10ELNS1_11target_archE1200ELNS1_3gpuE4ELNS1_3repE0EEENS1_30default_config_static_selectorELNS0_4arch9wavefront6targetE1EEEvT1_
    .private_segment_fixed_size: 0
    .sgpr_count:     4
    .sgpr_spill_count: 0
    .symbol:         _ZN7rocprim17ROCPRIM_400000_NS6detail17trampoline_kernelINS0_14default_configENS1_20scan_config_selectorIsEEZZNS1_9scan_implILNS1_25lookback_scan_determinismE0ELb0ELb0ES3_N6thrust23THRUST_200600_302600_NS6detail15normal_iteratorINS9_10device_ptrIsEEEESE_s11max_functorIsEsEEDaPvRmT3_T4_T5_mT6_P12ihipStream_tbENKUlT_T0_E_clISt17integral_constantIbLb1EESU_EEDaSP_SQ_EUlSP_E_NS1_11comp_targetILNS1_3genE10ELNS1_11target_archE1200ELNS1_3gpuE4ELNS1_3repE0EEENS1_30default_config_static_selectorELNS0_4arch9wavefront6targetE1EEEvT1_.kd
    .uniform_work_group_size: 1
    .uses_dynamic_stack: false
    .vgpr_count:     0
    .vgpr_spill_count: 0
    .wavefront_size: 64
  - .agpr_count:     0
    .args:
      - .offset:         0
        .size:           96
        .value_kind:     by_value
    .group_segment_fixed_size: 0
    .kernarg_segment_align: 8
    .kernarg_segment_size: 96
    .language:       OpenCL C
    .language_version:
      - 2
      - 0
    .max_flat_workgroup_size: 64
    .name:           _ZN7rocprim17ROCPRIM_400000_NS6detail17trampoline_kernelINS0_14default_configENS1_20scan_config_selectorIsEEZZNS1_9scan_implILNS1_25lookback_scan_determinismE0ELb0ELb0ES3_N6thrust23THRUST_200600_302600_NS6detail15normal_iteratorINS9_10device_ptrIsEEEESE_s11max_functorIsEsEEDaPvRmT3_T4_T5_mT6_P12ihipStream_tbENKUlT_T0_E_clISt17integral_constantIbLb1EESU_EEDaSP_SQ_EUlSP_E_NS1_11comp_targetILNS1_3genE9ELNS1_11target_archE1100ELNS1_3gpuE3ELNS1_3repE0EEENS1_30default_config_static_selectorELNS0_4arch9wavefront6targetE1EEEvT1_
    .private_segment_fixed_size: 0
    .sgpr_count:     4
    .sgpr_spill_count: 0
    .symbol:         _ZN7rocprim17ROCPRIM_400000_NS6detail17trampoline_kernelINS0_14default_configENS1_20scan_config_selectorIsEEZZNS1_9scan_implILNS1_25lookback_scan_determinismE0ELb0ELb0ES3_N6thrust23THRUST_200600_302600_NS6detail15normal_iteratorINS9_10device_ptrIsEEEESE_s11max_functorIsEsEEDaPvRmT3_T4_T5_mT6_P12ihipStream_tbENKUlT_T0_E_clISt17integral_constantIbLb1EESU_EEDaSP_SQ_EUlSP_E_NS1_11comp_targetILNS1_3genE9ELNS1_11target_archE1100ELNS1_3gpuE3ELNS1_3repE0EEENS1_30default_config_static_selectorELNS0_4arch9wavefront6targetE1EEEvT1_.kd
    .uniform_work_group_size: 1
    .uses_dynamic_stack: false
    .vgpr_count:     0
    .vgpr_spill_count: 0
    .wavefront_size: 64
  - .agpr_count:     0
    .args:
      - .offset:         0
        .size:           96
        .value_kind:     by_value
    .group_segment_fixed_size: 0
    .kernarg_segment_align: 8
    .kernarg_segment_size: 96
    .language:       OpenCL C
    .language_version:
      - 2
      - 0
    .max_flat_workgroup_size: 64
    .name:           _ZN7rocprim17ROCPRIM_400000_NS6detail17trampoline_kernelINS0_14default_configENS1_20scan_config_selectorIsEEZZNS1_9scan_implILNS1_25lookback_scan_determinismE0ELb0ELb0ES3_N6thrust23THRUST_200600_302600_NS6detail15normal_iteratorINS9_10device_ptrIsEEEESE_s11max_functorIsEsEEDaPvRmT3_T4_T5_mT6_P12ihipStream_tbENKUlT_T0_E_clISt17integral_constantIbLb1EESU_EEDaSP_SQ_EUlSP_E_NS1_11comp_targetILNS1_3genE8ELNS1_11target_archE1030ELNS1_3gpuE2ELNS1_3repE0EEENS1_30default_config_static_selectorELNS0_4arch9wavefront6targetE1EEEvT1_
    .private_segment_fixed_size: 0
    .sgpr_count:     4
    .sgpr_spill_count: 0
    .symbol:         _ZN7rocprim17ROCPRIM_400000_NS6detail17trampoline_kernelINS0_14default_configENS1_20scan_config_selectorIsEEZZNS1_9scan_implILNS1_25lookback_scan_determinismE0ELb0ELb0ES3_N6thrust23THRUST_200600_302600_NS6detail15normal_iteratorINS9_10device_ptrIsEEEESE_s11max_functorIsEsEEDaPvRmT3_T4_T5_mT6_P12ihipStream_tbENKUlT_T0_E_clISt17integral_constantIbLb1EESU_EEDaSP_SQ_EUlSP_E_NS1_11comp_targetILNS1_3genE8ELNS1_11target_archE1030ELNS1_3gpuE2ELNS1_3repE0EEENS1_30default_config_static_selectorELNS0_4arch9wavefront6targetE1EEEvT1_.kd
    .uniform_work_group_size: 1
    .uses_dynamic_stack: false
    .vgpr_count:     0
    .vgpr_spill_count: 0
    .wavefront_size: 64
  - .agpr_count:     0
    .args:
      - .offset:         0
        .size:           32
        .value_kind:     by_value
    .group_segment_fixed_size: 0
    .kernarg_segment_align: 8
    .kernarg_segment_size: 32
    .language:       OpenCL C
    .language_version:
      - 2
      - 0
    .max_flat_workgroup_size: 128
    .name:           _ZN7rocprim17ROCPRIM_400000_NS6detail17trampoline_kernelINS0_14default_configENS1_20scan_config_selectorIsEEZZNS1_9scan_implILNS1_25lookback_scan_determinismE0ELb0ELb0ES3_N6thrust23THRUST_200600_302600_NS6detail15normal_iteratorINS9_10device_ptrIsEEEESE_s11max_functorIsEsEEDaPvRmT3_T4_T5_mT6_P12ihipStream_tbENKUlT_T0_E_clISt17integral_constantIbLb1EESU_EEDaSP_SQ_EUlSP_E0_NS1_11comp_targetILNS1_3genE0ELNS1_11target_archE4294967295ELNS1_3gpuE0ELNS1_3repE0EEENS1_30default_config_static_selectorELNS0_4arch9wavefront6targetE1EEEvT1_
    .private_segment_fixed_size: 0
    .sgpr_count:     4
    .sgpr_spill_count: 0
    .symbol:         _ZN7rocprim17ROCPRIM_400000_NS6detail17trampoline_kernelINS0_14default_configENS1_20scan_config_selectorIsEEZZNS1_9scan_implILNS1_25lookback_scan_determinismE0ELb0ELb0ES3_N6thrust23THRUST_200600_302600_NS6detail15normal_iteratorINS9_10device_ptrIsEEEESE_s11max_functorIsEsEEDaPvRmT3_T4_T5_mT6_P12ihipStream_tbENKUlT_T0_E_clISt17integral_constantIbLb1EESU_EEDaSP_SQ_EUlSP_E0_NS1_11comp_targetILNS1_3genE0ELNS1_11target_archE4294967295ELNS1_3gpuE0ELNS1_3repE0EEENS1_30default_config_static_selectorELNS0_4arch9wavefront6targetE1EEEvT1_.kd
    .uniform_work_group_size: 1
    .uses_dynamic_stack: false
    .vgpr_count:     0
    .vgpr_spill_count: 0
    .wavefront_size: 64
  - .agpr_count:     0
    .args:
      - .offset:         0
        .size:           32
        .value_kind:     by_value
    .group_segment_fixed_size: 0
    .kernarg_segment_align: 8
    .kernarg_segment_size: 32
    .language:       OpenCL C
    .language_version:
      - 2
      - 0
    .max_flat_workgroup_size: 256
    .name:           _ZN7rocprim17ROCPRIM_400000_NS6detail17trampoline_kernelINS0_14default_configENS1_20scan_config_selectorIsEEZZNS1_9scan_implILNS1_25lookback_scan_determinismE0ELb0ELb0ES3_N6thrust23THRUST_200600_302600_NS6detail15normal_iteratorINS9_10device_ptrIsEEEESE_s11max_functorIsEsEEDaPvRmT3_T4_T5_mT6_P12ihipStream_tbENKUlT_T0_E_clISt17integral_constantIbLb1EESU_EEDaSP_SQ_EUlSP_E0_NS1_11comp_targetILNS1_3genE5ELNS1_11target_archE942ELNS1_3gpuE9ELNS1_3repE0EEENS1_30default_config_static_selectorELNS0_4arch9wavefront6targetE1EEEvT1_
    .private_segment_fixed_size: 0
    .sgpr_count:     4
    .sgpr_spill_count: 0
    .symbol:         _ZN7rocprim17ROCPRIM_400000_NS6detail17trampoline_kernelINS0_14default_configENS1_20scan_config_selectorIsEEZZNS1_9scan_implILNS1_25lookback_scan_determinismE0ELb0ELb0ES3_N6thrust23THRUST_200600_302600_NS6detail15normal_iteratorINS9_10device_ptrIsEEEESE_s11max_functorIsEsEEDaPvRmT3_T4_T5_mT6_P12ihipStream_tbENKUlT_T0_E_clISt17integral_constantIbLb1EESU_EEDaSP_SQ_EUlSP_E0_NS1_11comp_targetILNS1_3genE5ELNS1_11target_archE942ELNS1_3gpuE9ELNS1_3repE0EEENS1_30default_config_static_selectorELNS0_4arch9wavefront6targetE1EEEvT1_.kd
    .uniform_work_group_size: 1
    .uses_dynamic_stack: false
    .vgpr_count:     0
    .vgpr_spill_count: 0
    .wavefront_size: 64
  - .agpr_count:     0
    .args:
      - .offset:         0
        .size:           32
        .value_kind:     by_value
    .group_segment_fixed_size: 3072
    .kernarg_segment_align: 8
    .kernarg_segment_size: 32
    .language:       OpenCL C
    .language_version:
      - 2
      - 0
    .max_flat_workgroup_size: 64
    .name:           _ZN7rocprim17ROCPRIM_400000_NS6detail17trampoline_kernelINS0_14default_configENS1_20scan_config_selectorIsEEZZNS1_9scan_implILNS1_25lookback_scan_determinismE0ELb0ELb0ES3_N6thrust23THRUST_200600_302600_NS6detail15normal_iteratorINS9_10device_ptrIsEEEESE_s11max_functorIsEsEEDaPvRmT3_T4_T5_mT6_P12ihipStream_tbENKUlT_T0_E_clISt17integral_constantIbLb1EESU_EEDaSP_SQ_EUlSP_E0_NS1_11comp_targetILNS1_3genE4ELNS1_11target_archE910ELNS1_3gpuE8ELNS1_3repE0EEENS1_30default_config_static_selectorELNS0_4arch9wavefront6targetE1EEEvT1_
    .private_segment_fixed_size: 0
    .sgpr_count:     60
    .sgpr_spill_count: 0
    .symbol:         _ZN7rocprim17ROCPRIM_400000_NS6detail17trampoline_kernelINS0_14default_configENS1_20scan_config_selectorIsEEZZNS1_9scan_implILNS1_25lookback_scan_determinismE0ELb0ELb0ES3_N6thrust23THRUST_200600_302600_NS6detail15normal_iteratorINS9_10device_ptrIsEEEESE_s11max_functorIsEsEEDaPvRmT3_T4_T5_mT6_P12ihipStream_tbENKUlT_T0_E_clISt17integral_constantIbLb1EESU_EEDaSP_SQ_EUlSP_E0_NS1_11comp_targetILNS1_3genE4ELNS1_11target_archE910ELNS1_3gpuE8ELNS1_3repE0EEENS1_30default_config_static_selectorELNS0_4arch9wavefront6targetE1EEEvT1_.kd
    .uniform_work_group_size: 1
    .uses_dynamic_stack: false
    .vgpr_count:     43
    .vgpr_spill_count: 0
    .wavefront_size: 64
  - .agpr_count:     0
    .args:
      - .offset:         0
        .size:           32
        .value_kind:     by_value
    .group_segment_fixed_size: 0
    .kernarg_segment_align: 8
    .kernarg_segment_size: 32
    .language:       OpenCL C
    .language_version:
      - 2
      - 0
    .max_flat_workgroup_size: 128
    .name:           _ZN7rocprim17ROCPRIM_400000_NS6detail17trampoline_kernelINS0_14default_configENS1_20scan_config_selectorIsEEZZNS1_9scan_implILNS1_25lookback_scan_determinismE0ELb0ELb0ES3_N6thrust23THRUST_200600_302600_NS6detail15normal_iteratorINS9_10device_ptrIsEEEESE_s11max_functorIsEsEEDaPvRmT3_T4_T5_mT6_P12ihipStream_tbENKUlT_T0_E_clISt17integral_constantIbLb1EESU_EEDaSP_SQ_EUlSP_E0_NS1_11comp_targetILNS1_3genE3ELNS1_11target_archE908ELNS1_3gpuE7ELNS1_3repE0EEENS1_30default_config_static_selectorELNS0_4arch9wavefront6targetE1EEEvT1_
    .private_segment_fixed_size: 0
    .sgpr_count:     4
    .sgpr_spill_count: 0
    .symbol:         _ZN7rocprim17ROCPRIM_400000_NS6detail17trampoline_kernelINS0_14default_configENS1_20scan_config_selectorIsEEZZNS1_9scan_implILNS1_25lookback_scan_determinismE0ELb0ELb0ES3_N6thrust23THRUST_200600_302600_NS6detail15normal_iteratorINS9_10device_ptrIsEEEESE_s11max_functorIsEsEEDaPvRmT3_T4_T5_mT6_P12ihipStream_tbENKUlT_T0_E_clISt17integral_constantIbLb1EESU_EEDaSP_SQ_EUlSP_E0_NS1_11comp_targetILNS1_3genE3ELNS1_11target_archE908ELNS1_3gpuE7ELNS1_3repE0EEENS1_30default_config_static_selectorELNS0_4arch9wavefront6targetE1EEEvT1_.kd
    .uniform_work_group_size: 1
    .uses_dynamic_stack: false
    .vgpr_count:     0
    .vgpr_spill_count: 0
    .wavefront_size: 64
  - .agpr_count:     0
    .args:
      - .offset:         0
        .size:           32
        .value_kind:     by_value
    .group_segment_fixed_size: 0
    .kernarg_segment_align: 8
    .kernarg_segment_size: 32
    .language:       OpenCL C
    .language_version:
      - 2
      - 0
    .max_flat_workgroup_size: 256
    .name:           _ZN7rocprim17ROCPRIM_400000_NS6detail17trampoline_kernelINS0_14default_configENS1_20scan_config_selectorIsEEZZNS1_9scan_implILNS1_25lookback_scan_determinismE0ELb0ELb0ES3_N6thrust23THRUST_200600_302600_NS6detail15normal_iteratorINS9_10device_ptrIsEEEESE_s11max_functorIsEsEEDaPvRmT3_T4_T5_mT6_P12ihipStream_tbENKUlT_T0_E_clISt17integral_constantIbLb1EESU_EEDaSP_SQ_EUlSP_E0_NS1_11comp_targetILNS1_3genE2ELNS1_11target_archE906ELNS1_3gpuE6ELNS1_3repE0EEENS1_30default_config_static_selectorELNS0_4arch9wavefront6targetE1EEEvT1_
    .private_segment_fixed_size: 0
    .sgpr_count:     4
    .sgpr_spill_count: 0
    .symbol:         _ZN7rocprim17ROCPRIM_400000_NS6detail17trampoline_kernelINS0_14default_configENS1_20scan_config_selectorIsEEZZNS1_9scan_implILNS1_25lookback_scan_determinismE0ELb0ELb0ES3_N6thrust23THRUST_200600_302600_NS6detail15normal_iteratorINS9_10device_ptrIsEEEESE_s11max_functorIsEsEEDaPvRmT3_T4_T5_mT6_P12ihipStream_tbENKUlT_T0_E_clISt17integral_constantIbLb1EESU_EEDaSP_SQ_EUlSP_E0_NS1_11comp_targetILNS1_3genE2ELNS1_11target_archE906ELNS1_3gpuE6ELNS1_3repE0EEENS1_30default_config_static_selectorELNS0_4arch9wavefront6targetE1EEEvT1_.kd
    .uniform_work_group_size: 1
    .uses_dynamic_stack: false
    .vgpr_count:     0
    .vgpr_spill_count: 0
    .wavefront_size: 64
  - .agpr_count:     0
    .args:
      - .offset:         0
        .size:           32
        .value_kind:     by_value
    .group_segment_fixed_size: 0
    .kernarg_segment_align: 8
    .kernarg_segment_size: 32
    .language:       OpenCL C
    .language_version:
      - 2
      - 0
    .max_flat_workgroup_size: 256
    .name:           _ZN7rocprim17ROCPRIM_400000_NS6detail17trampoline_kernelINS0_14default_configENS1_20scan_config_selectorIsEEZZNS1_9scan_implILNS1_25lookback_scan_determinismE0ELb0ELb0ES3_N6thrust23THRUST_200600_302600_NS6detail15normal_iteratorINS9_10device_ptrIsEEEESE_s11max_functorIsEsEEDaPvRmT3_T4_T5_mT6_P12ihipStream_tbENKUlT_T0_E_clISt17integral_constantIbLb1EESU_EEDaSP_SQ_EUlSP_E0_NS1_11comp_targetILNS1_3genE10ELNS1_11target_archE1201ELNS1_3gpuE5ELNS1_3repE0EEENS1_30default_config_static_selectorELNS0_4arch9wavefront6targetE1EEEvT1_
    .private_segment_fixed_size: 0
    .sgpr_count:     4
    .sgpr_spill_count: 0
    .symbol:         _ZN7rocprim17ROCPRIM_400000_NS6detail17trampoline_kernelINS0_14default_configENS1_20scan_config_selectorIsEEZZNS1_9scan_implILNS1_25lookback_scan_determinismE0ELb0ELb0ES3_N6thrust23THRUST_200600_302600_NS6detail15normal_iteratorINS9_10device_ptrIsEEEESE_s11max_functorIsEsEEDaPvRmT3_T4_T5_mT6_P12ihipStream_tbENKUlT_T0_E_clISt17integral_constantIbLb1EESU_EEDaSP_SQ_EUlSP_E0_NS1_11comp_targetILNS1_3genE10ELNS1_11target_archE1201ELNS1_3gpuE5ELNS1_3repE0EEENS1_30default_config_static_selectorELNS0_4arch9wavefront6targetE1EEEvT1_.kd
    .uniform_work_group_size: 1
    .uses_dynamic_stack: false
    .vgpr_count:     0
    .vgpr_spill_count: 0
    .wavefront_size: 64
  - .agpr_count:     0
    .args:
      - .offset:         0
        .size:           32
        .value_kind:     by_value
    .group_segment_fixed_size: 0
    .kernarg_segment_align: 8
    .kernarg_segment_size: 32
    .language:       OpenCL C
    .language_version:
      - 2
      - 0
    .max_flat_workgroup_size: 256
    .name:           _ZN7rocprim17ROCPRIM_400000_NS6detail17trampoline_kernelINS0_14default_configENS1_20scan_config_selectorIsEEZZNS1_9scan_implILNS1_25lookback_scan_determinismE0ELb0ELb0ES3_N6thrust23THRUST_200600_302600_NS6detail15normal_iteratorINS9_10device_ptrIsEEEESE_s11max_functorIsEsEEDaPvRmT3_T4_T5_mT6_P12ihipStream_tbENKUlT_T0_E_clISt17integral_constantIbLb1EESU_EEDaSP_SQ_EUlSP_E0_NS1_11comp_targetILNS1_3genE10ELNS1_11target_archE1200ELNS1_3gpuE4ELNS1_3repE0EEENS1_30default_config_static_selectorELNS0_4arch9wavefront6targetE1EEEvT1_
    .private_segment_fixed_size: 0
    .sgpr_count:     4
    .sgpr_spill_count: 0
    .symbol:         _ZN7rocprim17ROCPRIM_400000_NS6detail17trampoline_kernelINS0_14default_configENS1_20scan_config_selectorIsEEZZNS1_9scan_implILNS1_25lookback_scan_determinismE0ELb0ELb0ES3_N6thrust23THRUST_200600_302600_NS6detail15normal_iteratorINS9_10device_ptrIsEEEESE_s11max_functorIsEsEEDaPvRmT3_T4_T5_mT6_P12ihipStream_tbENKUlT_T0_E_clISt17integral_constantIbLb1EESU_EEDaSP_SQ_EUlSP_E0_NS1_11comp_targetILNS1_3genE10ELNS1_11target_archE1200ELNS1_3gpuE4ELNS1_3repE0EEENS1_30default_config_static_selectorELNS0_4arch9wavefront6targetE1EEEvT1_.kd
    .uniform_work_group_size: 1
    .uses_dynamic_stack: false
    .vgpr_count:     0
    .vgpr_spill_count: 0
    .wavefront_size: 64
  - .agpr_count:     0
    .args:
      - .offset:         0
        .size:           32
        .value_kind:     by_value
    .group_segment_fixed_size: 0
    .kernarg_segment_align: 8
    .kernarg_segment_size: 32
    .language:       OpenCL C
    .language_version:
      - 2
      - 0
    .max_flat_workgroup_size: 64
    .name:           _ZN7rocprim17ROCPRIM_400000_NS6detail17trampoline_kernelINS0_14default_configENS1_20scan_config_selectorIsEEZZNS1_9scan_implILNS1_25lookback_scan_determinismE0ELb0ELb0ES3_N6thrust23THRUST_200600_302600_NS6detail15normal_iteratorINS9_10device_ptrIsEEEESE_s11max_functorIsEsEEDaPvRmT3_T4_T5_mT6_P12ihipStream_tbENKUlT_T0_E_clISt17integral_constantIbLb1EESU_EEDaSP_SQ_EUlSP_E0_NS1_11comp_targetILNS1_3genE9ELNS1_11target_archE1100ELNS1_3gpuE3ELNS1_3repE0EEENS1_30default_config_static_selectorELNS0_4arch9wavefront6targetE1EEEvT1_
    .private_segment_fixed_size: 0
    .sgpr_count:     4
    .sgpr_spill_count: 0
    .symbol:         _ZN7rocprim17ROCPRIM_400000_NS6detail17trampoline_kernelINS0_14default_configENS1_20scan_config_selectorIsEEZZNS1_9scan_implILNS1_25lookback_scan_determinismE0ELb0ELb0ES3_N6thrust23THRUST_200600_302600_NS6detail15normal_iteratorINS9_10device_ptrIsEEEESE_s11max_functorIsEsEEDaPvRmT3_T4_T5_mT6_P12ihipStream_tbENKUlT_T0_E_clISt17integral_constantIbLb1EESU_EEDaSP_SQ_EUlSP_E0_NS1_11comp_targetILNS1_3genE9ELNS1_11target_archE1100ELNS1_3gpuE3ELNS1_3repE0EEENS1_30default_config_static_selectorELNS0_4arch9wavefront6targetE1EEEvT1_.kd
    .uniform_work_group_size: 1
    .uses_dynamic_stack: false
    .vgpr_count:     0
    .vgpr_spill_count: 0
    .wavefront_size: 64
  - .agpr_count:     0
    .args:
      - .offset:         0
        .size:           32
        .value_kind:     by_value
    .group_segment_fixed_size: 0
    .kernarg_segment_align: 8
    .kernarg_segment_size: 32
    .language:       OpenCL C
    .language_version:
      - 2
      - 0
    .max_flat_workgroup_size: 64
    .name:           _ZN7rocprim17ROCPRIM_400000_NS6detail17trampoline_kernelINS0_14default_configENS1_20scan_config_selectorIsEEZZNS1_9scan_implILNS1_25lookback_scan_determinismE0ELb0ELb0ES3_N6thrust23THRUST_200600_302600_NS6detail15normal_iteratorINS9_10device_ptrIsEEEESE_s11max_functorIsEsEEDaPvRmT3_T4_T5_mT6_P12ihipStream_tbENKUlT_T0_E_clISt17integral_constantIbLb1EESU_EEDaSP_SQ_EUlSP_E0_NS1_11comp_targetILNS1_3genE8ELNS1_11target_archE1030ELNS1_3gpuE2ELNS1_3repE0EEENS1_30default_config_static_selectorELNS0_4arch9wavefront6targetE1EEEvT1_
    .private_segment_fixed_size: 0
    .sgpr_count:     4
    .sgpr_spill_count: 0
    .symbol:         _ZN7rocprim17ROCPRIM_400000_NS6detail17trampoline_kernelINS0_14default_configENS1_20scan_config_selectorIsEEZZNS1_9scan_implILNS1_25lookback_scan_determinismE0ELb0ELb0ES3_N6thrust23THRUST_200600_302600_NS6detail15normal_iteratorINS9_10device_ptrIsEEEESE_s11max_functorIsEsEEDaPvRmT3_T4_T5_mT6_P12ihipStream_tbENKUlT_T0_E_clISt17integral_constantIbLb1EESU_EEDaSP_SQ_EUlSP_E0_NS1_11comp_targetILNS1_3genE8ELNS1_11target_archE1030ELNS1_3gpuE2ELNS1_3repE0EEENS1_30default_config_static_selectorELNS0_4arch9wavefront6targetE1EEEvT1_.kd
    .uniform_work_group_size: 1
    .uses_dynamic_stack: false
    .vgpr_count:     0
    .vgpr_spill_count: 0
    .wavefront_size: 64
  - .agpr_count:     0
    .args:
      - .offset:         0
        .size:           96
        .value_kind:     by_value
    .group_segment_fixed_size: 0
    .kernarg_segment_align: 8
    .kernarg_segment_size: 96
    .language:       OpenCL C
    .language_version:
      - 2
      - 0
    .max_flat_workgroup_size: 128
    .name:           _ZN7rocprim17ROCPRIM_400000_NS6detail17trampoline_kernelINS0_14default_configENS1_20scan_config_selectorIsEEZZNS1_9scan_implILNS1_25lookback_scan_determinismE0ELb0ELb0ES3_N6thrust23THRUST_200600_302600_NS6detail15normal_iteratorINS9_10device_ptrIsEEEESE_s11max_functorIsEsEEDaPvRmT3_T4_T5_mT6_P12ihipStream_tbENKUlT_T0_E_clISt17integral_constantIbLb1EEST_IbLb0EEEEDaSP_SQ_EUlSP_E_NS1_11comp_targetILNS1_3genE0ELNS1_11target_archE4294967295ELNS1_3gpuE0ELNS1_3repE0EEENS1_30default_config_static_selectorELNS0_4arch9wavefront6targetE1EEEvT1_
    .private_segment_fixed_size: 0
    .sgpr_count:     4
    .sgpr_spill_count: 0
    .symbol:         _ZN7rocprim17ROCPRIM_400000_NS6detail17trampoline_kernelINS0_14default_configENS1_20scan_config_selectorIsEEZZNS1_9scan_implILNS1_25lookback_scan_determinismE0ELb0ELb0ES3_N6thrust23THRUST_200600_302600_NS6detail15normal_iteratorINS9_10device_ptrIsEEEESE_s11max_functorIsEsEEDaPvRmT3_T4_T5_mT6_P12ihipStream_tbENKUlT_T0_E_clISt17integral_constantIbLb1EEST_IbLb0EEEEDaSP_SQ_EUlSP_E_NS1_11comp_targetILNS1_3genE0ELNS1_11target_archE4294967295ELNS1_3gpuE0ELNS1_3repE0EEENS1_30default_config_static_selectorELNS0_4arch9wavefront6targetE1EEEvT1_.kd
    .uniform_work_group_size: 1
    .uses_dynamic_stack: false
    .vgpr_count:     0
    .vgpr_spill_count: 0
    .wavefront_size: 64
  - .agpr_count:     0
    .args:
      - .offset:         0
        .size:           96
        .value_kind:     by_value
    .group_segment_fixed_size: 0
    .kernarg_segment_align: 8
    .kernarg_segment_size: 96
    .language:       OpenCL C
    .language_version:
      - 2
      - 0
    .max_flat_workgroup_size: 256
    .name:           _ZN7rocprim17ROCPRIM_400000_NS6detail17trampoline_kernelINS0_14default_configENS1_20scan_config_selectorIsEEZZNS1_9scan_implILNS1_25lookback_scan_determinismE0ELb0ELb0ES3_N6thrust23THRUST_200600_302600_NS6detail15normal_iteratorINS9_10device_ptrIsEEEESE_s11max_functorIsEsEEDaPvRmT3_T4_T5_mT6_P12ihipStream_tbENKUlT_T0_E_clISt17integral_constantIbLb1EEST_IbLb0EEEEDaSP_SQ_EUlSP_E_NS1_11comp_targetILNS1_3genE5ELNS1_11target_archE942ELNS1_3gpuE9ELNS1_3repE0EEENS1_30default_config_static_selectorELNS0_4arch9wavefront6targetE1EEEvT1_
    .private_segment_fixed_size: 0
    .sgpr_count:     4
    .sgpr_spill_count: 0
    .symbol:         _ZN7rocprim17ROCPRIM_400000_NS6detail17trampoline_kernelINS0_14default_configENS1_20scan_config_selectorIsEEZZNS1_9scan_implILNS1_25lookback_scan_determinismE0ELb0ELb0ES3_N6thrust23THRUST_200600_302600_NS6detail15normal_iteratorINS9_10device_ptrIsEEEESE_s11max_functorIsEsEEDaPvRmT3_T4_T5_mT6_P12ihipStream_tbENKUlT_T0_E_clISt17integral_constantIbLb1EEST_IbLb0EEEEDaSP_SQ_EUlSP_E_NS1_11comp_targetILNS1_3genE5ELNS1_11target_archE942ELNS1_3gpuE9ELNS1_3repE0EEENS1_30default_config_static_selectorELNS0_4arch9wavefront6targetE1EEEvT1_.kd
    .uniform_work_group_size: 1
    .uses_dynamic_stack: false
    .vgpr_count:     0
    .vgpr_spill_count: 0
    .wavefront_size: 64
  - .agpr_count:     0
    .args:
      - .offset:         0
        .size:           96
        .value_kind:     by_value
    .group_segment_fixed_size: 3072
    .kernarg_segment_align: 8
    .kernarg_segment_size: 96
    .language:       OpenCL C
    .language_version:
      - 2
      - 0
    .max_flat_workgroup_size: 64
    .name:           _ZN7rocprim17ROCPRIM_400000_NS6detail17trampoline_kernelINS0_14default_configENS1_20scan_config_selectorIsEEZZNS1_9scan_implILNS1_25lookback_scan_determinismE0ELb0ELb0ES3_N6thrust23THRUST_200600_302600_NS6detail15normal_iteratorINS9_10device_ptrIsEEEESE_s11max_functorIsEsEEDaPvRmT3_T4_T5_mT6_P12ihipStream_tbENKUlT_T0_E_clISt17integral_constantIbLb1EEST_IbLb0EEEEDaSP_SQ_EUlSP_E_NS1_11comp_targetILNS1_3genE4ELNS1_11target_archE910ELNS1_3gpuE8ELNS1_3repE0EEENS1_30default_config_static_selectorELNS0_4arch9wavefront6targetE1EEEvT1_
    .private_segment_fixed_size: 0
    .sgpr_count:     32
    .sgpr_spill_count: 0
    .symbol:         _ZN7rocprim17ROCPRIM_400000_NS6detail17trampoline_kernelINS0_14default_configENS1_20scan_config_selectorIsEEZZNS1_9scan_implILNS1_25lookback_scan_determinismE0ELb0ELb0ES3_N6thrust23THRUST_200600_302600_NS6detail15normal_iteratorINS9_10device_ptrIsEEEESE_s11max_functorIsEsEEDaPvRmT3_T4_T5_mT6_P12ihipStream_tbENKUlT_T0_E_clISt17integral_constantIbLb1EEST_IbLb0EEEEDaSP_SQ_EUlSP_E_NS1_11comp_targetILNS1_3genE4ELNS1_11target_archE910ELNS1_3gpuE8ELNS1_3repE0EEENS1_30default_config_static_selectorELNS0_4arch9wavefront6targetE1EEEvT1_.kd
    .uniform_work_group_size: 1
    .uses_dynamic_stack: false
    .vgpr_count:     57
    .vgpr_spill_count: 0
    .wavefront_size: 64
  - .agpr_count:     0
    .args:
      - .offset:         0
        .size:           96
        .value_kind:     by_value
    .group_segment_fixed_size: 0
    .kernarg_segment_align: 8
    .kernarg_segment_size: 96
    .language:       OpenCL C
    .language_version:
      - 2
      - 0
    .max_flat_workgroup_size: 128
    .name:           _ZN7rocprim17ROCPRIM_400000_NS6detail17trampoline_kernelINS0_14default_configENS1_20scan_config_selectorIsEEZZNS1_9scan_implILNS1_25lookback_scan_determinismE0ELb0ELb0ES3_N6thrust23THRUST_200600_302600_NS6detail15normal_iteratorINS9_10device_ptrIsEEEESE_s11max_functorIsEsEEDaPvRmT3_T4_T5_mT6_P12ihipStream_tbENKUlT_T0_E_clISt17integral_constantIbLb1EEST_IbLb0EEEEDaSP_SQ_EUlSP_E_NS1_11comp_targetILNS1_3genE3ELNS1_11target_archE908ELNS1_3gpuE7ELNS1_3repE0EEENS1_30default_config_static_selectorELNS0_4arch9wavefront6targetE1EEEvT1_
    .private_segment_fixed_size: 0
    .sgpr_count:     4
    .sgpr_spill_count: 0
    .symbol:         _ZN7rocprim17ROCPRIM_400000_NS6detail17trampoline_kernelINS0_14default_configENS1_20scan_config_selectorIsEEZZNS1_9scan_implILNS1_25lookback_scan_determinismE0ELb0ELb0ES3_N6thrust23THRUST_200600_302600_NS6detail15normal_iteratorINS9_10device_ptrIsEEEESE_s11max_functorIsEsEEDaPvRmT3_T4_T5_mT6_P12ihipStream_tbENKUlT_T0_E_clISt17integral_constantIbLb1EEST_IbLb0EEEEDaSP_SQ_EUlSP_E_NS1_11comp_targetILNS1_3genE3ELNS1_11target_archE908ELNS1_3gpuE7ELNS1_3repE0EEENS1_30default_config_static_selectorELNS0_4arch9wavefront6targetE1EEEvT1_.kd
    .uniform_work_group_size: 1
    .uses_dynamic_stack: false
    .vgpr_count:     0
    .vgpr_spill_count: 0
    .wavefront_size: 64
  - .agpr_count:     0
    .args:
      - .offset:         0
        .size:           96
        .value_kind:     by_value
    .group_segment_fixed_size: 0
    .kernarg_segment_align: 8
    .kernarg_segment_size: 96
    .language:       OpenCL C
    .language_version:
      - 2
      - 0
    .max_flat_workgroup_size: 256
    .name:           _ZN7rocprim17ROCPRIM_400000_NS6detail17trampoline_kernelINS0_14default_configENS1_20scan_config_selectorIsEEZZNS1_9scan_implILNS1_25lookback_scan_determinismE0ELb0ELb0ES3_N6thrust23THRUST_200600_302600_NS6detail15normal_iteratorINS9_10device_ptrIsEEEESE_s11max_functorIsEsEEDaPvRmT3_T4_T5_mT6_P12ihipStream_tbENKUlT_T0_E_clISt17integral_constantIbLb1EEST_IbLb0EEEEDaSP_SQ_EUlSP_E_NS1_11comp_targetILNS1_3genE2ELNS1_11target_archE906ELNS1_3gpuE6ELNS1_3repE0EEENS1_30default_config_static_selectorELNS0_4arch9wavefront6targetE1EEEvT1_
    .private_segment_fixed_size: 0
    .sgpr_count:     4
    .sgpr_spill_count: 0
    .symbol:         _ZN7rocprim17ROCPRIM_400000_NS6detail17trampoline_kernelINS0_14default_configENS1_20scan_config_selectorIsEEZZNS1_9scan_implILNS1_25lookback_scan_determinismE0ELb0ELb0ES3_N6thrust23THRUST_200600_302600_NS6detail15normal_iteratorINS9_10device_ptrIsEEEESE_s11max_functorIsEsEEDaPvRmT3_T4_T5_mT6_P12ihipStream_tbENKUlT_T0_E_clISt17integral_constantIbLb1EEST_IbLb0EEEEDaSP_SQ_EUlSP_E_NS1_11comp_targetILNS1_3genE2ELNS1_11target_archE906ELNS1_3gpuE6ELNS1_3repE0EEENS1_30default_config_static_selectorELNS0_4arch9wavefront6targetE1EEEvT1_.kd
    .uniform_work_group_size: 1
    .uses_dynamic_stack: false
    .vgpr_count:     0
    .vgpr_spill_count: 0
    .wavefront_size: 64
  - .agpr_count:     0
    .args:
      - .offset:         0
        .size:           96
        .value_kind:     by_value
    .group_segment_fixed_size: 0
    .kernarg_segment_align: 8
    .kernarg_segment_size: 96
    .language:       OpenCL C
    .language_version:
      - 2
      - 0
    .max_flat_workgroup_size: 256
    .name:           _ZN7rocprim17ROCPRIM_400000_NS6detail17trampoline_kernelINS0_14default_configENS1_20scan_config_selectorIsEEZZNS1_9scan_implILNS1_25lookback_scan_determinismE0ELb0ELb0ES3_N6thrust23THRUST_200600_302600_NS6detail15normal_iteratorINS9_10device_ptrIsEEEESE_s11max_functorIsEsEEDaPvRmT3_T4_T5_mT6_P12ihipStream_tbENKUlT_T0_E_clISt17integral_constantIbLb1EEST_IbLb0EEEEDaSP_SQ_EUlSP_E_NS1_11comp_targetILNS1_3genE10ELNS1_11target_archE1201ELNS1_3gpuE5ELNS1_3repE0EEENS1_30default_config_static_selectorELNS0_4arch9wavefront6targetE1EEEvT1_
    .private_segment_fixed_size: 0
    .sgpr_count:     4
    .sgpr_spill_count: 0
    .symbol:         _ZN7rocprim17ROCPRIM_400000_NS6detail17trampoline_kernelINS0_14default_configENS1_20scan_config_selectorIsEEZZNS1_9scan_implILNS1_25lookback_scan_determinismE0ELb0ELb0ES3_N6thrust23THRUST_200600_302600_NS6detail15normal_iteratorINS9_10device_ptrIsEEEESE_s11max_functorIsEsEEDaPvRmT3_T4_T5_mT6_P12ihipStream_tbENKUlT_T0_E_clISt17integral_constantIbLb1EEST_IbLb0EEEEDaSP_SQ_EUlSP_E_NS1_11comp_targetILNS1_3genE10ELNS1_11target_archE1201ELNS1_3gpuE5ELNS1_3repE0EEENS1_30default_config_static_selectorELNS0_4arch9wavefront6targetE1EEEvT1_.kd
    .uniform_work_group_size: 1
    .uses_dynamic_stack: false
    .vgpr_count:     0
    .vgpr_spill_count: 0
    .wavefront_size: 64
  - .agpr_count:     0
    .args:
      - .offset:         0
        .size:           96
        .value_kind:     by_value
    .group_segment_fixed_size: 0
    .kernarg_segment_align: 8
    .kernarg_segment_size: 96
    .language:       OpenCL C
    .language_version:
      - 2
      - 0
    .max_flat_workgroup_size: 256
    .name:           _ZN7rocprim17ROCPRIM_400000_NS6detail17trampoline_kernelINS0_14default_configENS1_20scan_config_selectorIsEEZZNS1_9scan_implILNS1_25lookback_scan_determinismE0ELb0ELb0ES3_N6thrust23THRUST_200600_302600_NS6detail15normal_iteratorINS9_10device_ptrIsEEEESE_s11max_functorIsEsEEDaPvRmT3_T4_T5_mT6_P12ihipStream_tbENKUlT_T0_E_clISt17integral_constantIbLb1EEST_IbLb0EEEEDaSP_SQ_EUlSP_E_NS1_11comp_targetILNS1_3genE10ELNS1_11target_archE1200ELNS1_3gpuE4ELNS1_3repE0EEENS1_30default_config_static_selectorELNS0_4arch9wavefront6targetE1EEEvT1_
    .private_segment_fixed_size: 0
    .sgpr_count:     4
    .sgpr_spill_count: 0
    .symbol:         _ZN7rocprim17ROCPRIM_400000_NS6detail17trampoline_kernelINS0_14default_configENS1_20scan_config_selectorIsEEZZNS1_9scan_implILNS1_25lookback_scan_determinismE0ELb0ELb0ES3_N6thrust23THRUST_200600_302600_NS6detail15normal_iteratorINS9_10device_ptrIsEEEESE_s11max_functorIsEsEEDaPvRmT3_T4_T5_mT6_P12ihipStream_tbENKUlT_T0_E_clISt17integral_constantIbLb1EEST_IbLb0EEEEDaSP_SQ_EUlSP_E_NS1_11comp_targetILNS1_3genE10ELNS1_11target_archE1200ELNS1_3gpuE4ELNS1_3repE0EEENS1_30default_config_static_selectorELNS0_4arch9wavefront6targetE1EEEvT1_.kd
    .uniform_work_group_size: 1
    .uses_dynamic_stack: false
    .vgpr_count:     0
    .vgpr_spill_count: 0
    .wavefront_size: 64
  - .agpr_count:     0
    .args:
      - .offset:         0
        .size:           96
        .value_kind:     by_value
    .group_segment_fixed_size: 0
    .kernarg_segment_align: 8
    .kernarg_segment_size: 96
    .language:       OpenCL C
    .language_version:
      - 2
      - 0
    .max_flat_workgroup_size: 64
    .name:           _ZN7rocprim17ROCPRIM_400000_NS6detail17trampoline_kernelINS0_14default_configENS1_20scan_config_selectorIsEEZZNS1_9scan_implILNS1_25lookback_scan_determinismE0ELb0ELb0ES3_N6thrust23THRUST_200600_302600_NS6detail15normal_iteratorINS9_10device_ptrIsEEEESE_s11max_functorIsEsEEDaPvRmT3_T4_T5_mT6_P12ihipStream_tbENKUlT_T0_E_clISt17integral_constantIbLb1EEST_IbLb0EEEEDaSP_SQ_EUlSP_E_NS1_11comp_targetILNS1_3genE9ELNS1_11target_archE1100ELNS1_3gpuE3ELNS1_3repE0EEENS1_30default_config_static_selectorELNS0_4arch9wavefront6targetE1EEEvT1_
    .private_segment_fixed_size: 0
    .sgpr_count:     4
    .sgpr_spill_count: 0
    .symbol:         _ZN7rocprim17ROCPRIM_400000_NS6detail17trampoline_kernelINS0_14default_configENS1_20scan_config_selectorIsEEZZNS1_9scan_implILNS1_25lookback_scan_determinismE0ELb0ELb0ES3_N6thrust23THRUST_200600_302600_NS6detail15normal_iteratorINS9_10device_ptrIsEEEESE_s11max_functorIsEsEEDaPvRmT3_T4_T5_mT6_P12ihipStream_tbENKUlT_T0_E_clISt17integral_constantIbLb1EEST_IbLb0EEEEDaSP_SQ_EUlSP_E_NS1_11comp_targetILNS1_3genE9ELNS1_11target_archE1100ELNS1_3gpuE3ELNS1_3repE0EEENS1_30default_config_static_selectorELNS0_4arch9wavefront6targetE1EEEvT1_.kd
    .uniform_work_group_size: 1
    .uses_dynamic_stack: false
    .vgpr_count:     0
    .vgpr_spill_count: 0
    .wavefront_size: 64
  - .agpr_count:     0
    .args:
      - .offset:         0
        .size:           96
        .value_kind:     by_value
    .group_segment_fixed_size: 0
    .kernarg_segment_align: 8
    .kernarg_segment_size: 96
    .language:       OpenCL C
    .language_version:
      - 2
      - 0
    .max_flat_workgroup_size: 64
    .name:           _ZN7rocprim17ROCPRIM_400000_NS6detail17trampoline_kernelINS0_14default_configENS1_20scan_config_selectorIsEEZZNS1_9scan_implILNS1_25lookback_scan_determinismE0ELb0ELb0ES3_N6thrust23THRUST_200600_302600_NS6detail15normal_iteratorINS9_10device_ptrIsEEEESE_s11max_functorIsEsEEDaPvRmT3_T4_T5_mT6_P12ihipStream_tbENKUlT_T0_E_clISt17integral_constantIbLb1EEST_IbLb0EEEEDaSP_SQ_EUlSP_E_NS1_11comp_targetILNS1_3genE8ELNS1_11target_archE1030ELNS1_3gpuE2ELNS1_3repE0EEENS1_30default_config_static_selectorELNS0_4arch9wavefront6targetE1EEEvT1_
    .private_segment_fixed_size: 0
    .sgpr_count:     4
    .sgpr_spill_count: 0
    .symbol:         _ZN7rocprim17ROCPRIM_400000_NS6detail17trampoline_kernelINS0_14default_configENS1_20scan_config_selectorIsEEZZNS1_9scan_implILNS1_25lookback_scan_determinismE0ELb0ELb0ES3_N6thrust23THRUST_200600_302600_NS6detail15normal_iteratorINS9_10device_ptrIsEEEESE_s11max_functorIsEsEEDaPvRmT3_T4_T5_mT6_P12ihipStream_tbENKUlT_T0_E_clISt17integral_constantIbLb1EEST_IbLb0EEEEDaSP_SQ_EUlSP_E_NS1_11comp_targetILNS1_3genE8ELNS1_11target_archE1030ELNS1_3gpuE2ELNS1_3repE0EEENS1_30default_config_static_selectorELNS0_4arch9wavefront6targetE1EEEvT1_.kd
    .uniform_work_group_size: 1
    .uses_dynamic_stack: false
    .vgpr_count:     0
    .vgpr_spill_count: 0
    .wavefront_size: 64
  - .agpr_count:     0
    .args:
      - .offset:         0
        .size:           32
        .value_kind:     by_value
    .group_segment_fixed_size: 0
    .kernarg_segment_align: 8
    .kernarg_segment_size: 32
    .language:       OpenCL C
    .language_version:
      - 2
      - 0
    .max_flat_workgroup_size: 128
    .name:           _ZN7rocprim17ROCPRIM_400000_NS6detail17trampoline_kernelINS0_14default_configENS1_20scan_config_selectorIsEEZZNS1_9scan_implILNS1_25lookback_scan_determinismE0ELb0ELb0ES3_N6thrust23THRUST_200600_302600_NS6detail15normal_iteratorINS9_10device_ptrIsEEEESE_s11max_functorIsEsEEDaPvRmT3_T4_T5_mT6_P12ihipStream_tbENKUlT_T0_E_clISt17integral_constantIbLb1EEST_IbLb0EEEEDaSP_SQ_EUlSP_E0_NS1_11comp_targetILNS1_3genE0ELNS1_11target_archE4294967295ELNS1_3gpuE0ELNS1_3repE0EEENS1_30default_config_static_selectorELNS0_4arch9wavefront6targetE1EEEvT1_
    .private_segment_fixed_size: 0
    .sgpr_count:     4
    .sgpr_spill_count: 0
    .symbol:         _ZN7rocprim17ROCPRIM_400000_NS6detail17trampoline_kernelINS0_14default_configENS1_20scan_config_selectorIsEEZZNS1_9scan_implILNS1_25lookback_scan_determinismE0ELb0ELb0ES3_N6thrust23THRUST_200600_302600_NS6detail15normal_iteratorINS9_10device_ptrIsEEEESE_s11max_functorIsEsEEDaPvRmT3_T4_T5_mT6_P12ihipStream_tbENKUlT_T0_E_clISt17integral_constantIbLb1EEST_IbLb0EEEEDaSP_SQ_EUlSP_E0_NS1_11comp_targetILNS1_3genE0ELNS1_11target_archE4294967295ELNS1_3gpuE0ELNS1_3repE0EEENS1_30default_config_static_selectorELNS0_4arch9wavefront6targetE1EEEvT1_.kd
    .uniform_work_group_size: 1
    .uses_dynamic_stack: false
    .vgpr_count:     0
    .vgpr_spill_count: 0
    .wavefront_size: 64
  - .agpr_count:     0
    .args:
      - .offset:         0
        .size:           32
        .value_kind:     by_value
    .group_segment_fixed_size: 0
    .kernarg_segment_align: 8
    .kernarg_segment_size: 32
    .language:       OpenCL C
    .language_version:
      - 2
      - 0
    .max_flat_workgroup_size: 256
    .name:           _ZN7rocprim17ROCPRIM_400000_NS6detail17trampoline_kernelINS0_14default_configENS1_20scan_config_selectorIsEEZZNS1_9scan_implILNS1_25lookback_scan_determinismE0ELb0ELb0ES3_N6thrust23THRUST_200600_302600_NS6detail15normal_iteratorINS9_10device_ptrIsEEEESE_s11max_functorIsEsEEDaPvRmT3_T4_T5_mT6_P12ihipStream_tbENKUlT_T0_E_clISt17integral_constantIbLb1EEST_IbLb0EEEEDaSP_SQ_EUlSP_E0_NS1_11comp_targetILNS1_3genE5ELNS1_11target_archE942ELNS1_3gpuE9ELNS1_3repE0EEENS1_30default_config_static_selectorELNS0_4arch9wavefront6targetE1EEEvT1_
    .private_segment_fixed_size: 0
    .sgpr_count:     4
    .sgpr_spill_count: 0
    .symbol:         _ZN7rocprim17ROCPRIM_400000_NS6detail17trampoline_kernelINS0_14default_configENS1_20scan_config_selectorIsEEZZNS1_9scan_implILNS1_25lookback_scan_determinismE0ELb0ELb0ES3_N6thrust23THRUST_200600_302600_NS6detail15normal_iteratorINS9_10device_ptrIsEEEESE_s11max_functorIsEsEEDaPvRmT3_T4_T5_mT6_P12ihipStream_tbENKUlT_T0_E_clISt17integral_constantIbLb1EEST_IbLb0EEEEDaSP_SQ_EUlSP_E0_NS1_11comp_targetILNS1_3genE5ELNS1_11target_archE942ELNS1_3gpuE9ELNS1_3repE0EEENS1_30default_config_static_selectorELNS0_4arch9wavefront6targetE1EEEvT1_.kd
    .uniform_work_group_size: 1
    .uses_dynamic_stack: false
    .vgpr_count:     0
    .vgpr_spill_count: 0
    .wavefront_size: 64
  - .agpr_count:     0
    .args:
      - .offset:         0
        .size:           32
        .value_kind:     by_value
    .group_segment_fixed_size: 3072
    .kernarg_segment_align: 8
    .kernarg_segment_size: 32
    .language:       OpenCL C
    .language_version:
      - 2
      - 0
    .max_flat_workgroup_size: 64
    .name:           _ZN7rocprim17ROCPRIM_400000_NS6detail17trampoline_kernelINS0_14default_configENS1_20scan_config_selectorIsEEZZNS1_9scan_implILNS1_25lookback_scan_determinismE0ELb0ELb0ES3_N6thrust23THRUST_200600_302600_NS6detail15normal_iteratorINS9_10device_ptrIsEEEESE_s11max_functorIsEsEEDaPvRmT3_T4_T5_mT6_P12ihipStream_tbENKUlT_T0_E_clISt17integral_constantIbLb1EEST_IbLb0EEEEDaSP_SQ_EUlSP_E0_NS1_11comp_targetILNS1_3genE4ELNS1_11target_archE910ELNS1_3gpuE8ELNS1_3repE0EEENS1_30default_config_static_selectorELNS0_4arch9wavefront6targetE1EEEvT1_
    .private_segment_fixed_size: 0
    .sgpr_count:     60
    .sgpr_spill_count: 0
    .symbol:         _ZN7rocprim17ROCPRIM_400000_NS6detail17trampoline_kernelINS0_14default_configENS1_20scan_config_selectorIsEEZZNS1_9scan_implILNS1_25lookback_scan_determinismE0ELb0ELb0ES3_N6thrust23THRUST_200600_302600_NS6detail15normal_iteratorINS9_10device_ptrIsEEEESE_s11max_functorIsEsEEDaPvRmT3_T4_T5_mT6_P12ihipStream_tbENKUlT_T0_E_clISt17integral_constantIbLb1EEST_IbLb0EEEEDaSP_SQ_EUlSP_E0_NS1_11comp_targetILNS1_3genE4ELNS1_11target_archE910ELNS1_3gpuE8ELNS1_3repE0EEENS1_30default_config_static_selectorELNS0_4arch9wavefront6targetE1EEEvT1_.kd
    .uniform_work_group_size: 1
    .uses_dynamic_stack: false
    .vgpr_count:     43
    .vgpr_spill_count: 0
    .wavefront_size: 64
  - .agpr_count:     0
    .args:
      - .offset:         0
        .size:           32
        .value_kind:     by_value
    .group_segment_fixed_size: 0
    .kernarg_segment_align: 8
    .kernarg_segment_size: 32
    .language:       OpenCL C
    .language_version:
      - 2
      - 0
    .max_flat_workgroup_size: 128
    .name:           _ZN7rocprim17ROCPRIM_400000_NS6detail17trampoline_kernelINS0_14default_configENS1_20scan_config_selectorIsEEZZNS1_9scan_implILNS1_25lookback_scan_determinismE0ELb0ELb0ES3_N6thrust23THRUST_200600_302600_NS6detail15normal_iteratorINS9_10device_ptrIsEEEESE_s11max_functorIsEsEEDaPvRmT3_T4_T5_mT6_P12ihipStream_tbENKUlT_T0_E_clISt17integral_constantIbLb1EEST_IbLb0EEEEDaSP_SQ_EUlSP_E0_NS1_11comp_targetILNS1_3genE3ELNS1_11target_archE908ELNS1_3gpuE7ELNS1_3repE0EEENS1_30default_config_static_selectorELNS0_4arch9wavefront6targetE1EEEvT1_
    .private_segment_fixed_size: 0
    .sgpr_count:     4
    .sgpr_spill_count: 0
    .symbol:         _ZN7rocprim17ROCPRIM_400000_NS6detail17trampoline_kernelINS0_14default_configENS1_20scan_config_selectorIsEEZZNS1_9scan_implILNS1_25lookback_scan_determinismE0ELb0ELb0ES3_N6thrust23THRUST_200600_302600_NS6detail15normal_iteratorINS9_10device_ptrIsEEEESE_s11max_functorIsEsEEDaPvRmT3_T4_T5_mT6_P12ihipStream_tbENKUlT_T0_E_clISt17integral_constantIbLb1EEST_IbLb0EEEEDaSP_SQ_EUlSP_E0_NS1_11comp_targetILNS1_3genE3ELNS1_11target_archE908ELNS1_3gpuE7ELNS1_3repE0EEENS1_30default_config_static_selectorELNS0_4arch9wavefront6targetE1EEEvT1_.kd
    .uniform_work_group_size: 1
    .uses_dynamic_stack: false
    .vgpr_count:     0
    .vgpr_spill_count: 0
    .wavefront_size: 64
  - .agpr_count:     0
    .args:
      - .offset:         0
        .size:           32
        .value_kind:     by_value
    .group_segment_fixed_size: 0
    .kernarg_segment_align: 8
    .kernarg_segment_size: 32
    .language:       OpenCL C
    .language_version:
      - 2
      - 0
    .max_flat_workgroup_size: 256
    .name:           _ZN7rocprim17ROCPRIM_400000_NS6detail17trampoline_kernelINS0_14default_configENS1_20scan_config_selectorIsEEZZNS1_9scan_implILNS1_25lookback_scan_determinismE0ELb0ELb0ES3_N6thrust23THRUST_200600_302600_NS6detail15normal_iteratorINS9_10device_ptrIsEEEESE_s11max_functorIsEsEEDaPvRmT3_T4_T5_mT6_P12ihipStream_tbENKUlT_T0_E_clISt17integral_constantIbLb1EEST_IbLb0EEEEDaSP_SQ_EUlSP_E0_NS1_11comp_targetILNS1_3genE2ELNS1_11target_archE906ELNS1_3gpuE6ELNS1_3repE0EEENS1_30default_config_static_selectorELNS0_4arch9wavefront6targetE1EEEvT1_
    .private_segment_fixed_size: 0
    .sgpr_count:     4
    .sgpr_spill_count: 0
    .symbol:         _ZN7rocprim17ROCPRIM_400000_NS6detail17trampoline_kernelINS0_14default_configENS1_20scan_config_selectorIsEEZZNS1_9scan_implILNS1_25lookback_scan_determinismE0ELb0ELb0ES3_N6thrust23THRUST_200600_302600_NS6detail15normal_iteratorINS9_10device_ptrIsEEEESE_s11max_functorIsEsEEDaPvRmT3_T4_T5_mT6_P12ihipStream_tbENKUlT_T0_E_clISt17integral_constantIbLb1EEST_IbLb0EEEEDaSP_SQ_EUlSP_E0_NS1_11comp_targetILNS1_3genE2ELNS1_11target_archE906ELNS1_3gpuE6ELNS1_3repE0EEENS1_30default_config_static_selectorELNS0_4arch9wavefront6targetE1EEEvT1_.kd
    .uniform_work_group_size: 1
    .uses_dynamic_stack: false
    .vgpr_count:     0
    .vgpr_spill_count: 0
    .wavefront_size: 64
  - .agpr_count:     0
    .args:
      - .offset:         0
        .size:           32
        .value_kind:     by_value
    .group_segment_fixed_size: 0
    .kernarg_segment_align: 8
    .kernarg_segment_size: 32
    .language:       OpenCL C
    .language_version:
      - 2
      - 0
    .max_flat_workgroup_size: 256
    .name:           _ZN7rocprim17ROCPRIM_400000_NS6detail17trampoline_kernelINS0_14default_configENS1_20scan_config_selectorIsEEZZNS1_9scan_implILNS1_25lookback_scan_determinismE0ELb0ELb0ES3_N6thrust23THRUST_200600_302600_NS6detail15normal_iteratorINS9_10device_ptrIsEEEESE_s11max_functorIsEsEEDaPvRmT3_T4_T5_mT6_P12ihipStream_tbENKUlT_T0_E_clISt17integral_constantIbLb1EEST_IbLb0EEEEDaSP_SQ_EUlSP_E0_NS1_11comp_targetILNS1_3genE10ELNS1_11target_archE1201ELNS1_3gpuE5ELNS1_3repE0EEENS1_30default_config_static_selectorELNS0_4arch9wavefront6targetE1EEEvT1_
    .private_segment_fixed_size: 0
    .sgpr_count:     4
    .sgpr_spill_count: 0
    .symbol:         _ZN7rocprim17ROCPRIM_400000_NS6detail17trampoline_kernelINS0_14default_configENS1_20scan_config_selectorIsEEZZNS1_9scan_implILNS1_25lookback_scan_determinismE0ELb0ELb0ES3_N6thrust23THRUST_200600_302600_NS6detail15normal_iteratorINS9_10device_ptrIsEEEESE_s11max_functorIsEsEEDaPvRmT3_T4_T5_mT6_P12ihipStream_tbENKUlT_T0_E_clISt17integral_constantIbLb1EEST_IbLb0EEEEDaSP_SQ_EUlSP_E0_NS1_11comp_targetILNS1_3genE10ELNS1_11target_archE1201ELNS1_3gpuE5ELNS1_3repE0EEENS1_30default_config_static_selectorELNS0_4arch9wavefront6targetE1EEEvT1_.kd
    .uniform_work_group_size: 1
    .uses_dynamic_stack: false
    .vgpr_count:     0
    .vgpr_spill_count: 0
    .wavefront_size: 64
  - .agpr_count:     0
    .args:
      - .offset:         0
        .size:           32
        .value_kind:     by_value
    .group_segment_fixed_size: 0
    .kernarg_segment_align: 8
    .kernarg_segment_size: 32
    .language:       OpenCL C
    .language_version:
      - 2
      - 0
    .max_flat_workgroup_size: 256
    .name:           _ZN7rocprim17ROCPRIM_400000_NS6detail17trampoline_kernelINS0_14default_configENS1_20scan_config_selectorIsEEZZNS1_9scan_implILNS1_25lookback_scan_determinismE0ELb0ELb0ES3_N6thrust23THRUST_200600_302600_NS6detail15normal_iteratorINS9_10device_ptrIsEEEESE_s11max_functorIsEsEEDaPvRmT3_T4_T5_mT6_P12ihipStream_tbENKUlT_T0_E_clISt17integral_constantIbLb1EEST_IbLb0EEEEDaSP_SQ_EUlSP_E0_NS1_11comp_targetILNS1_3genE10ELNS1_11target_archE1200ELNS1_3gpuE4ELNS1_3repE0EEENS1_30default_config_static_selectorELNS0_4arch9wavefront6targetE1EEEvT1_
    .private_segment_fixed_size: 0
    .sgpr_count:     4
    .sgpr_spill_count: 0
    .symbol:         _ZN7rocprim17ROCPRIM_400000_NS6detail17trampoline_kernelINS0_14default_configENS1_20scan_config_selectorIsEEZZNS1_9scan_implILNS1_25lookback_scan_determinismE0ELb0ELb0ES3_N6thrust23THRUST_200600_302600_NS6detail15normal_iteratorINS9_10device_ptrIsEEEESE_s11max_functorIsEsEEDaPvRmT3_T4_T5_mT6_P12ihipStream_tbENKUlT_T0_E_clISt17integral_constantIbLb1EEST_IbLb0EEEEDaSP_SQ_EUlSP_E0_NS1_11comp_targetILNS1_3genE10ELNS1_11target_archE1200ELNS1_3gpuE4ELNS1_3repE0EEENS1_30default_config_static_selectorELNS0_4arch9wavefront6targetE1EEEvT1_.kd
    .uniform_work_group_size: 1
    .uses_dynamic_stack: false
    .vgpr_count:     0
    .vgpr_spill_count: 0
    .wavefront_size: 64
  - .agpr_count:     0
    .args:
      - .offset:         0
        .size:           32
        .value_kind:     by_value
    .group_segment_fixed_size: 0
    .kernarg_segment_align: 8
    .kernarg_segment_size: 32
    .language:       OpenCL C
    .language_version:
      - 2
      - 0
    .max_flat_workgroup_size: 64
    .name:           _ZN7rocprim17ROCPRIM_400000_NS6detail17trampoline_kernelINS0_14default_configENS1_20scan_config_selectorIsEEZZNS1_9scan_implILNS1_25lookback_scan_determinismE0ELb0ELb0ES3_N6thrust23THRUST_200600_302600_NS6detail15normal_iteratorINS9_10device_ptrIsEEEESE_s11max_functorIsEsEEDaPvRmT3_T4_T5_mT6_P12ihipStream_tbENKUlT_T0_E_clISt17integral_constantIbLb1EEST_IbLb0EEEEDaSP_SQ_EUlSP_E0_NS1_11comp_targetILNS1_3genE9ELNS1_11target_archE1100ELNS1_3gpuE3ELNS1_3repE0EEENS1_30default_config_static_selectorELNS0_4arch9wavefront6targetE1EEEvT1_
    .private_segment_fixed_size: 0
    .sgpr_count:     4
    .sgpr_spill_count: 0
    .symbol:         _ZN7rocprim17ROCPRIM_400000_NS6detail17trampoline_kernelINS0_14default_configENS1_20scan_config_selectorIsEEZZNS1_9scan_implILNS1_25lookback_scan_determinismE0ELb0ELb0ES3_N6thrust23THRUST_200600_302600_NS6detail15normal_iteratorINS9_10device_ptrIsEEEESE_s11max_functorIsEsEEDaPvRmT3_T4_T5_mT6_P12ihipStream_tbENKUlT_T0_E_clISt17integral_constantIbLb1EEST_IbLb0EEEEDaSP_SQ_EUlSP_E0_NS1_11comp_targetILNS1_3genE9ELNS1_11target_archE1100ELNS1_3gpuE3ELNS1_3repE0EEENS1_30default_config_static_selectorELNS0_4arch9wavefront6targetE1EEEvT1_.kd
    .uniform_work_group_size: 1
    .uses_dynamic_stack: false
    .vgpr_count:     0
    .vgpr_spill_count: 0
    .wavefront_size: 64
  - .agpr_count:     0
    .args:
      - .offset:         0
        .size:           32
        .value_kind:     by_value
    .group_segment_fixed_size: 0
    .kernarg_segment_align: 8
    .kernarg_segment_size: 32
    .language:       OpenCL C
    .language_version:
      - 2
      - 0
    .max_flat_workgroup_size: 64
    .name:           _ZN7rocprim17ROCPRIM_400000_NS6detail17trampoline_kernelINS0_14default_configENS1_20scan_config_selectorIsEEZZNS1_9scan_implILNS1_25lookback_scan_determinismE0ELb0ELb0ES3_N6thrust23THRUST_200600_302600_NS6detail15normal_iteratorINS9_10device_ptrIsEEEESE_s11max_functorIsEsEEDaPvRmT3_T4_T5_mT6_P12ihipStream_tbENKUlT_T0_E_clISt17integral_constantIbLb1EEST_IbLb0EEEEDaSP_SQ_EUlSP_E0_NS1_11comp_targetILNS1_3genE8ELNS1_11target_archE1030ELNS1_3gpuE2ELNS1_3repE0EEENS1_30default_config_static_selectorELNS0_4arch9wavefront6targetE1EEEvT1_
    .private_segment_fixed_size: 0
    .sgpr_count:     4
    .sgpr_spill_count: 0
    .symbol:         _ZN7rocprim17ROCPRIM_400000_NS6detail17trampoline_kernelINS0_14default_configENS1_20scan_config_selectorIsEEZZNS1_9scan_implILNS1_25lookback_scan_determinismE0ELb0ELb0ES3_N6thrust23THRUST_200600_302600_NS6detail15normal_iteratorINS9_10device_ptrIsEEEESE_s11max_functorIsEsEEDaPvRmT3_T4_T5_mT6_P12ihipStream_tbENKUlT_T0_E_clISt17integral_constantIbLb1EEST_IbLb0EEEEDaSP_SQ_EUlSP_E0_NS1_11comp_targetILNS1_3genE8ELNS1_11target_archE1030ELNS1_3gpuE2ELNS1_3repE0EEENS1_30default_config_static_selectorELNS0_4arch9wavefront6targetE1EEEvT1_.kd
    .uniform_work_group_size: 1
    .uses_dynamic_stack: false
    .vgpr_count:     0
    .vgpr_spill_count: 0
    .wavefront_size: 64
  - .agpr_count:     0
    .args:
      - .offset:         0
        .size:           96
        .value_kind:     by_value
    .group_segment_fixed_size: 0
    .kernarg_segment_align: 8
    .kernarg_segment_size: 96
    .language:       OpenCL C
    .language_version:
      - 2
      - 0
    .max_flat_workgroup_size: 128
    .name:           _ZN7rocprim17ROCPRIM_400000_NS6detail17trampoline_kernelINS0_14default_configENS1_20scan_config_selectorIsEEZZNS1_9scan_implILNS1_25lookback_scan_determinismE0ELb0ELb0ES3_N6thrust23THRUST_200600_302600_NS6detail15normal_iteratorINS9_10device_ptrIsEEEESE_s11max_functorIsEsEEDaPvRmT3_T4_T5_mT6_P12ihipStream_tbENKUlT_T0_E_clISt17integral_constantIbLb0EEST_IbLb1EEEEDaSP_SQ_EUlSP_E_NS1_11comp_targetILNS1_3genE0ELNS1_11target_archE4294967295ELNS1_3gpuE0ELNS1_3repE0EEENS1_30default_config_static_selectorELNS0_4arch9wavefront6targetE1EEEvT1_
    .private_segment_fixed_size: 0
    .sgpr_count:     4
    .sgpr_spill_count: 0
    .symbol:         _ZN7rocprim17ROCPRIM_400000_NS6detail17trampoline_kernelINS0_14default_configENS1_20scan_config_selectorIsEEZZNS1_9scan_implILNS1_25lookback_scan_determinismE0ELb0ELb0ES3_N6thrust23THRUST_200600_302600_NS6detail15normal_iteratorINS9_10device_ptrIsEEEESE_s11max_functorIsEsEEDaPvRmT3_T4_T5_mT6_P12ihipStream_tbENKUlT_T0_E_clISt17integral_constantIbLb0EEST_IbLb1EEEEDaSP_SQ_EUlSP_E_NS1_11comp_targetILNS1_3genE0ELNS1_11target_archE4294967295ELNS1_3gpuE0ELNS1_3repE0EEENS1_30default_config_static_selectorELNS0_4arch9wavefront6targetE1EEEvT1_.kd
    .uniform_work_group_size: 1
    .uses_dynamic_stack: false
    .vgpr_count:     0
    .vgpr_spill_count: 0
    .wavefront_size: 64
  - .agpr_count:     0
    .args:
      - .offset:         0
        .size:           96
        .value_kind:     by_value
    .group_segment_fixed_size: 0
    .kernarg_segment_align: 8
    .kernarg_segment_size: 96
    .language:       OpenCL C
    .language_version:
      - 2
      - 0
    .max_flat_workgroup_size: 256
    .name:           _ZN7rocprim17ROCPRIM_400000_NS6detail17trampoline_kernelINS0_14default_configENS1_20scan_config_selectorIsEEZZNS1_9scan_implILNS1_25lookback_scan_determinismE0ELb0ELb0ES3_N6thrust23THRUST_200600_302600_NS6detail15normal_iteratorINS9_10device_ptrIsEEEESE_s11max_functorIsEsEEDaPvRmT3_T4_T5_mT6_P12ihipStream_tbENKUlT_T0_E_clISt17integral_constantIbLb0EEST_IbLb1EEEEDaSP_SQ_EUlSP_E_NS1_11comp_targetILNS1_3genE5ELNS1_11target_archE942ELNS1_3gpuE9ELNS1_3repE0EEENS1_30default_config_static_selectorELNS0_4arch9wavefront6targetE1EEEvT1_
    .private_segment_fixed_size: 0
    .sgpr_count:     4
    .sgpr_spill_count: 0
    .symbol:         _ZN7rocprim17ROCPRIM_400000_NS6detail17trampoline_kernelINS0_14default_configENS1_20scan_config_selectorIsEEZZNS1_9scan_implILNS1_25lookback_scan_determinismE0ELb0ELb0ES3_N6thrust23THRUST_200600_302600_NS6detail15normal_iteratorINS9_10device_ptrIsEEEESE_s11max_functorIsEsEEDaPvRmT3_T4_T5_mT6_P12ihipStream_tbENKUlT_T0_E_clISt17integral_constantIbLb0EEST_IbLb1EEEEDaSP_SQ_EUlSP_E_NS1_11comp_targetILNS1_3genE5ELNS1_11target_archE942ELNS1_3gpuE9ELNS1_3repE0EEENS1_30default_config_static_selectorELNS0_4arch9wavefront6targetE1EEEvT1_.kd
    .uniform_work_group_size: 1
    .uses_dynamic_stack: false
    .vgpr_count:     0
    .vgpr_spill_count: 0
    .wavefront_size: 64
  - .agpr_count:     0
    .args:
      - .offset:         0
        .size:           96
        .value_kind:     by_value
    .group_segment_fixed_size: 3072
    .kernarg_segment_align: 8
    .kernarg_segment_size: 96
    .language:       OpenCL C
    .language_version:
      - 2
      - 0
    .max_flat_workgroup_size: 64
    .name:           _ZN7rocprim17ROCPRIM_400000_NS6detail17trampoline_kernelINS0_14default_configENS1_20scan_config_selectorIsEEZZNS1_9scan_implILNS1_25lookback_scan_determinismE0ELb0ELb0ES3_N6thrust23THRUST_200600_302600_NS6detail15normal_iteratorINS9_10device_ptrIsEEEESE_s11max_functorIsEsEEDaPvRmT3_T4_T5_mT6_P12ihipStream_tbENKUlT_T0_E_clISt17integral_constantIbLb0EEST_IbLb1EEEEDaSP_SQ_EUlSP_E_NS1_11comp_targetILNS1_3genE4ELNS1_11target_archE910ELNS1_3gpuE8ELNS1_3repE0EEENS1_30default_config_static_selectorELNS0_4arch9wavefront6targetE1EEEvT1_
    .private_segment_fixed_size: 0
    .sgpr_count:     42
    .sgpr_spill_count: 0
    .symbol:         _ZN7rocprim17ROCPRIM_400000_NS6detail17trampoline_kernelINS0_14default_configENS1_20scan_config_selectorIsEEZZNS1_9scan_implILNS1_25lookback_scan_determinismE0ELb0ELb0ES3_N6thrust23THRUST_200600_302600_NS6detail15normal_iteratorINS9_10device_ptrIsEEEESE_s11max_functorIsEsEEDaPvRmT3_T4_T5_mT6_P12ihipStream_tbENKUlT_T0_E_clISt17integral_constantIbLb0EEST_IbLb1EEEEDaSP_SQ_EUlSP_E_NS1_11comp_targetILNS1_3genE4ELNS1_11target_archE910ELNS1_3gpuE8ELNS1_3repE0EEENS1_30default_config_static_selectorELNS0_4arch9wavefront6targetE1EEEvT1_.kd
    .uniform_work_group_size: 1
    .uses_dynamic_stack: false
    .vgpr_count:     57
    .vgpr_spill_count: 0
    .wavefront_size: 64
  - .agpr_count:     0
    .args:
      - .offset:         0
        .size:           96
        .value_kind:     by_value
    .group_segment_fixed_size: 0
    .kernarg_segment_align: 8
    .kernarg_segment_size: 96
    .language:       OpenCL C
    .language_version:
      - 2
      - 0
    .max_flat_workgroup_size: 128
    .name:           _ZN7rocprim17ROCPRIM_400000_NS6detail17trampoline_kernelINS0_14default_configENS1_20scan_config_selectorIsEEZZNS1_9scan_implILNS1_25lookback_scan_determinismE0ELb0ELb0ES3_N6thrust23THRUST_200600_302600_NS6detail15normal_iteratorINS9_10device_ptrIsEEEESE_s11max_functorIsEsEEDaPvRmT3_T4_T5_mT6_P12ihipStream_tbENKUlT_T0_E_clISt17integral_constantIbLb0EEST_IbLb1EEEEDaSP_SQ_EUlSP_E_NS1_11comp_targetILNS1_3genE3ELNS1_11target_archE908ELNS1_3gpuE7ELNS1_3repE0EEENS1_30default_config_static_selectorELNS0_4arch9wavefront6targetE1EEEvT1_
    .private_segment_fixed_size: 0
    .sgpr_count:     4
    .sgpr_spill_count: 0
    .symbol:         _ZN7rocprim17ROCPRIM_400000_NS6detail17trampoline_kernelINS0_14default_configENS1_20scan_config_selectorIsEEZZNS1_9scan_implILNS1_25lookback_scan_determinismE0ELb0ELb0ES3_N6thrust23THRUST_200600_302600_NS6detail15normal_iteratorINS9_10device_ptrIsEEEESE_s11max_functorIsEsEEDaPvRmT3_T4_T5_mT6_P12ihipStream_tbENKUlT_T0_E_clISt17integral_constantIbLb0EEST_IbLb1EEEEDaSP_SQ_EUlSP_E_NS1_11comp_targetILNS1_3genE3ELNS1_11target_archE908ELNS1_3gpuE7ELNS1_3repE0EEENS1_30default_config_static_selectorELNS0_4arch9wavefront6targetE1EEEvT1_.kd
    .uniform_work_group_size: 1
    .uses_dynamic_stack: false
    .vgpr_count:     0
    .vgpr_spill_count: 0
    .wavefront_size: 64
  - .agpr_count:     0
    .args:
      - .offset:         0
        .size:           96
        .value_kind:     by_value
    .group_segment_fixed_size: 0
    .kernarg_segment_align: 8
    .kernarg_segment_size: 96
    .language:       OpenCL C
    .language_version:
      - 2
      - 0
    .max_flat_workgroup_size: 256
    .name:           _ZN7rocprim17ROCPRIM_400000_NS6detail17trampoline_kernelINS0_14default_configENS1_20scan_config_selectorIsEEZZNS1_9scan_implILNS1_25lookback_scan_determinismE0ELb0ELb0ES3_N6thrust23THRUST_200600_302600_NS6detail15normal_iteratorINS9_10device_ptrIsEEEESE_s11max_functorIsEsEEDaPvRmT3_T4_T5_mT6_P12ihipStream_tbENKUlT_T0_E_clISt17integral_constantIbLb0EEST_IbLb1EEEEDaSP_SQ_EUlSP_E_NS1_11comp_targetILNS1_3genE2ELNS1_11target_archE906ELNS1_3gpuE6ELNS1_3repE0EEENS1_30default_config_static_selectorELNS0_4arch9wavefront6targetE1EEEvT1_
    .private_segment_fixed_size: 0
    .sgpr_count:     4
    .sgpr_spill_count: 0
    .symbol:         _ZN7rocprim17ROCPRIM_400000_NS6detail17trampoline_kernelINS0_14default_configENS1_20scan_config_selectorIsEEZZNS1_9scan_implILNS1_25lookback_scan_determinismE0ELb0ELb0ES3_N6thrust23THRUST_200600_302600_NS6detail15normal_iteratorINS9_10device_ptrIsEEEESE_s11max_functorIsEsEEDaPvRmT3_T4_T5_mT6_P12ihipStream_tbENKUlT_T0_E_clISt17integral_constantIbLb0EEST_IbLb1EEEEDaSP_SQ_EUlSP_E_NS1_11comp_targetILNS1_3genE2ELNS1_11target_archE906ELNS1_3gpuE6ELNS1_3repE0EEENS1_30default_config_static_selectorELNS0_4arch9wavefront6targetE1EEEvT1_.kd
    .uniform_work_group_size: 1
    .uses_dynamic_stack: false
    .vgpr_count:     0
    .vgpr_spill_count: 0
    .wavefront_size: 64
  - .agpr_count:     0
    .args:
      - .offset:         0
        .size:           96
        .value_kind:     by_value
    .group_segment_fixed_size: 0
    .kernarg_segment_align: 8
    .kernarg_segment_size: 96
    .language:       OpenCL C
    .language_version:
      - 2
      - 0
    .max_flat_workgroup_size: 256
    .name:           _ZN7rocprim17ROCPRIM_400000_NS6detail17trampoline_kernelINS0_14default_configENS1_20scan_config_selectorIsEEZZNS1_9scan_implILNS1_25lookback_scan_determinismE0ELb0ELb0ES3_N6thrust23THRUST_200600_302600_NS6detail15normal_iteratorINS9_10device_ptrIsEEEESE_s11max_functorIsEsEEDaPvRmT3_T4_T5_mT6_P12ihipStream_tbENKUlT_T0_E_clISt17integral_constantIbLb0EEST_IbLb1EEEEDaSP_SQ_EUlSP_E_NS1_11comp_targetILNS1_3genE10ELNS1_11target_archE1201ELNS1_3gpuE5ELNS1_3repE0EEENS1_30default_config_static_selectorELNS0_4arch9wavefront6targetE1EEEvT1_
    .private_segment_fixed_size: 0
    .sgpr_count:     4
    .sgpr_spill_count: 0
    .symbol:         _ZN7rocprim17ROCPRIM_400000_NS6detail17trampoline_kernelINS0_14default_configENS1_20scan_config_selectorIsEEZZNS1_9scan_implILNS1_25lookback_scan_determinismE0ELb0ELb0ES3_N6thrust23THRUST_200600_302600_NS6detail15normal_iteratorINS9_10device_ptrIsEEEESE_s11max_functorIsEsEEDaPvRmT3_T4_T5_mT6_P12ihipStream_tbENKUlT_T0_E_clISt17integral_constantIbLb0EEST_IbLb1EEEEDaSP_SQ_EUlSP_E_NS1_11comp_targetILNS1_3genE10ELNS1_11target_archE1201ELNS1_3gpuE5ELNS1_3repE0EEENS1_30default_config_static_selectorELNS0_4arch9wavefront6targetE1EEEvT1_.kd
    .uniform_work_group_size: 1
    .uses_dynamic_stack: false
    .vgpr_count:     0
    .vgpr_spill_count: 0
    .wavefront_size: 64
  - .agpr_count:     0
    .args:
      - .offset:         0
        .size:           96
        .value_kind:     by_value
    .group_segment_fixed_size: 0
    .kernarg_segment_align: 8
    .kernarg_segment_size: 96
    .language:       OpenCL C
    .language_version:
      - 2
      - 0
    .max_flat_workgroup_size: 256
    .name:           _ZN7rocprim17ROCPRIM_400000_NS6detail17trampoline_kernelINS0_14default_configENS1_20scan_config_selectorIsEEZZNS1_9scan_implILNS1_25lookback_scan_determinismE0ELb0ELb0ES3_N6thrust23THRUST_200600_302600_NS6detail15normal_iteratorINS9_10device_ptrIsEEEESE_s11max_functorIsEsEEDaPvRmT3_T4_T5_mT6_P12ihipStream_tbENKUlT_T0_E_clISt17integral_constantIbLb0EEST_IbLb1EEEEDaSP_SQ_EUlSP_E_NS1_11comp_targetILNS1_3genE10ELNS1_11target_archE1200ELNS1_3gpuE4ELNS1_3repE0EEENS1_30default_config_static_selectorELNS0_4arch9wavefront6targetE1EEEvT1_
    .private_segment_fixed_size: 0
    .sgpr_count:     4
    .sgpr_spill_count: 0
    .symbol:         _ZN7rocprim17ROCPRIM_400000_NS6detail17trampoline_kernelINS0_14default_configENS1_20scan_config_selectorIsEEZZNS1_9scan_implILNS1_25lookback_scan_determinismE0ELb0ELb0ES3_N6thrust23THRUST_200600_302600_NS6detail15normal_iteratorINS9_10device_ptrIsEEEESE_s11max_functorIsEsEEDaPvRmT3_T4_T5_mT6_P12ihipStream_tbENKUlT_T0_E_clISt17integral_constantIbLb0EEST_IbLb1EEEEDaSP_SQ_EUlSP_E_NS1_11comp_targetILNS1_3genE10ELNS1_11target_archE1200ELNS1_3gpuE4ELNS1_3repE0EEENS1_30default_config_static_selectorELNS0_4arch9wavefront6targetE1EEEvT1_.kd
    .uniform_work_group_size: 1
    .uses_dynamic_stack: false
    .vgpr_count:     0
    .vgpr_spill_count: 0
    .wavefront_size: 64
  - .agpr_count:     0
    .args:
      - .offset:         0
        .size:           96
        .value_kind:     by_value
    .group_segment_fixed_size: 0
    .kernarg_segment_align: 8
    .kernarg_segment_size: 96
    .language:       OpenCL C
    .language_version:
      - 2
      - 0
    .max_flat_workgroup_size: 64
    .name:           _ZN7rocprim17ROCPRIM_400000_NS6detail17trampoline_kernelINS0_14default_configENS1_20scan_config_selectorIsEEZZNS1_9scan_implILNS1_25lookback_scan_determinismE0ELb0ELb0ES3_N6thrust23THRUST_200600_302600_NS6detail15normal_iteratorINS9_10device_ptrIsEEEESE_s11max_functorIsEsEEDaPvRmT3_T4_T5_mT6_P12ihipStream_tbENKUlT_T0_E_clISt17integral_constantIbLb0EEST_IbLb1EEEEDaSP_SQ_EUlSP_E_NS1_11comp_targetILNS1_3genE9ELNS1_11target_archE1100ELNS1_3gpuE3ELNS1_3repE0EEENS1_30default_config_static_selectorELNS0_4arch9wavefront6targetE1EEEvT1_
    .private_segment_fixed_size: 0
    .sgpr_count:     4
    .sgpr_spill_count: 0
    .symbol:         _ZN7rocprim17ROCPRIM_400000_NS6detail17trampoline_kernelINS0_14default_configENS1_20scan_config_selectorIsEEZZNS1_9scan_implILNS1_25lookback_scan_determinismE0ELb0ELb0ES3_N6thrust23THRUST_200600_302600_NS6detail15normal_iteratorINS9_10device_ptrIsEEEESE_s11max_functorIsEsEEDaPvRmT3_T4_T5_mT6_P12ihipStream_tbENKUlT_T0_E_clISt17integral_constantIbLb0EEST_IbLb1EEEEDaSP_SQ_EUlSP_E_NS1_11comp_targetILNS1_3genE9ELNS1_11target_archE1100ELNS1_3gpuE3ELNS1_3repE0EEENS1_30default_config_static_selectorELNS0_4arch9wavefront6targetE1EEEvT1_.kd
    .uniform_work_group_size: 1
    .uses_dynamic_stack: false
    .vgpr_count:     0
    .vgpr_spill_count: 0
    .wavefront_size: 64
  - .agpr_count:     0
    .args:
      - .offset:         0
        .size:           96
        .value_kind:     by_value
    .group_segment_fixed_size: 0
    .kernarg_segment_align: 8
    .kernarg_segment_size: 96
    .language:       OpenCL C
    .language_version:
      - 2
      - 0
    .max_flat_workgroup_size: 64
    .name:           _ZN7rocprim17ROCPRIM_400000_NS6detail17trampoline_kernelINS0_14default_configENS1_20scan_config_selectorIsEEZZNS1_9scan_implILNS1_25lookback_scan_determinismE0ELb0ELb0ES3_N6thrust23THRUST_200600_302600_NS6detail15normal_iteratorINS9_10device_ptrIsEEEESE_s11max_functorIsEsEEDaPvRmT3_T4_T5_mT6_P12ihipStream_tbENKUlT_T0_E_clISt17integral_constantIbLb0EEST_IbLb1EEEEDaSP_SQ_EUlSP_E_NS1_11comp_targetILNS1_3genE8ELNS1_11target_archE1030ELNS1_3gpuE2ELNS1_3repE0EEENS1_30default_config_static_selectorELNS0_4arch9wavefront6targetE1EEEvT1_
    .private_segment_fixed_size: 0
    .sgpr_count:     4
    .sgpr_spill_count: 0
    .symbol:         _ZN7rocprim17ROCPRIM_400000_NS6detail17trampoline_kernelINS0_14default_configENS1_20scan_config_selectorIsEEZZNS1_9scan_implILNS1_25lookback_scan_determinismE0ELb0ELb0ES3_N6thrust23THRUST_200600_302600_NS6detail15normal_iteratorINS9_10device_ptrIsEEEESE_s11max_functorIsEsEEDaPvRmT3_T4_T5_mT6_P12ihipStream_tbENKUlT_T0_E_clISt17integral_constantIbLb0EEST_IbLb1EEEEDaSP_SQ_EUlSP_E_NS1_11comp_targetILNS1_3genE8ELNS1_11target_archE1030ELNS1_3gpuE2ELNS1_3repE0EEENS1_30default_config_static_selectorELNS0_4arch9wavefront6targetE1EEEvT1_.kd
    .uniform_work_group_size: 1
    .uses_dynamic_stack: false
    .vgpr_count:     0
    .vgpr_spill_count: 0
    .wavefront_size: 64
  - .agpr_count:     0
    .args:
      - .offset:         0
        .size:           32
        .value_kind:     by_value
    .group_segment_fixed_size: 0
    .kernarg_segment_align: 8
    .kernarg_segment_size: 32
    .language:       OpenCL C
    .language_version:
      - 2
      - 0
    .max_flat_workgroup_size: 128
    .name:           _ZN7rocprim17ROCPRIM_400000_NS6detail17trampoline_kernelINS0_14default_configENS1_20scan_config_selectorIsEEZZNS1_9scan_implILNS1_25lookback_scan_determinismE0ELb0ELb0ES3_N6thrust23THRUST_200600_302600_NS6detail15normal_iteratorINS9_10device_ptrIsEEEESE_s11max_functorIsEsEEDaPvRmT3_T4_T5_mT6_P12ihipStream_tbENKUlT_T0_E_clISt17integral_constantIbLb0EEST_IbLb1EEEEDaSP_SQ_EUlSP_E0_NS1_11comp_targetILNS1_3genE0ELNS1_11target_archE4294967295ELNS1_3gpuE0ELNS1_3repE0EEENS1_30default_config_static_selectorELNS0_4arch9wavefront6targetE1EEEvT1_
    .private_segment_fixed_size: 0
    .sgpr_count:     4
    .sgpr_spill_count: 0
    .symbol:         _ZN7rocprim17ROCPRIM_400000_NS6detail17trampoline_kernelINS0_14default_configENS1_20scan_config_selectorIsEEZZNS1_9scan_implILNS1_25lookback_scan_determinismE0ELb0ELb0ES3_N6thrust23THRUST_200600_302600_NS6detail15normal_iteratorINS9_10device_ptrIsEEEESE_s11max_functorIsEsEEDaPvRmT3_T4_T5_mT6_P12ihipStream_tbENKUlT_T0_E_clISt17integral_constantIbLb0EEST_IbLb1EEEEDaSP_SQ_EUlSP_E0_NS1_11comp_targetILNS1_3genE0ELNS1_11target_archE4294967295ELNS1_3gpuE0ELNS1_3repE0EEENS1_30default_config_static_selectorELNS0_4arch9wavefront6targetE1EEEvT1_.kd
    .uniform_work_group_size: 1
    .uses_dynamic_stack: false
    .vgpr_count:     0
    .vgpr_spill_count: 0
    .wavefront_size: 64
  - .agpr_count:     0
    .args:
      - .offset:         0
        .size:           32
        .value_kind:     by_value
    .group_segment_fixed_size: 0
    .kernarg_segment_align: 8
    .kernarg_segment_size: 32
    .language:       OpenCL C
    .language_version:
      - 2
      - 0
    .max_flat_workgroup_size: 256
    .name:           _ZN7rocprim17ROCPRIM_400000_NS6detail17trampoline_kernelINS0_14default_configENS1_20scan_config_selectorIsEEZZNS1_9scan_implILNS1_25lookback_scan_determinismE0ELb0ELb0ES3_N6thrust23THRUST_200600_302600_NS6detail15normal_iteratorINS9_10device_ptrIsEEEESE_s11max_functorIsEsEEDaPvRmT3_T4_T5_mT6_P12ihipStream_tbENKUlT_T0_E_clISt17integral_constantIbLb0EEST_IbLb1EEEEDaSP_SQ_EUlSP_E0_NS1_11comp_targetILNS1_3genE5ELNS1_11target_archE942ELNS1_3gpuE9ELNS1_3repE0EEENS1_30default_config_static_selectorELNS0_4arch9wavefront6targetE1EEEvT1_
    .private_segment_fixed_size: 0
    .sgpr_count:     4
    .sgpr_spill_count: 0
    .symbol:         _ZN7rocprim17ROCPRIM_400000_NS6detail17trampoline_kernelINS0_14default_configENS1_20scan_config_selectorIsEEZZNS1_9scan_implILNS1_25lookback_scan_determinismE0ELb0ELb0ES3_N6thrust23THRUST_200600_302600_NS6detail15normal_iteratorINS9_10device_ptrIsEEEESE_s11max_functorIsEsEEDaPvRmT3_T4_T5_mT6_P12ihipStream_tbENKUlT_T0_E_clISt17integral_constantIbLb0EEST_IbLb1EEEEDaSP_SQ_EUlSP_E0_NS1_11comp_targetILNS1_3genE5ELNS1_11target_archE942ELNS1_3gpuE9ELNS1_3repE0EEENS1_30default_config_static_selectorELNS0_4arch9wavefront6targetE1EEEvT1_.kd
    .uniform_work_group_size: 1
    .uses_dynamic_stack: false
    .vgpr_count:     0
    .vgpr_spill_count: 0
    .wavefront_size: 64
  - .agpr_count:     0
    .args:
      - .offset:         0
        .size:           32
        .value_kind:     by_value
    .group_segment_fixed_size: 3072
    .kernarg_segment_align: 8
    .kernarg_segment_size: 32
    .language:       OpenCL C
    .language_version:
      - 2
      - 0
    .max_flat_workgroup_size: 64
    .name:           _ZN7rocprim17ROCPRIM_400000_NS6detail17trampoline_kernelINS0_14default_configENS1_20scan_config_selectorIsEEZZNS1_9scan_implILNS1_25lookback_scan_determinismE0ELb0ELb0ES3_N6thrust23THRUST_200600_302600_NS6detail15normal_iteratorINS9_10device_ptrIsEEEESE_s11max_functorIsEsEEDaPvRmT3_T4_T5_mT6_P12ihipStream_tbENKUlT_T0_E_clISt17integral_constantIbLb0EEST_IbLb1EEEEDaSP_SQ_EUlSP_E0_NS1_11comp_targetILNS1_3genE4ELNS1_11target_archE910ELNS1_3gpuE8ELNS1_3repE0EEENS1_30default_config_static_selectorELNS0_4arch9wavefront6targetE1EEEvT1_
    .private_segment_fixed_size: 0
    .sgpr_count:     60
    .sgpr_spill_count: 0
    .symbol:         _ZN7rocprim17ROCPRIM_400000_NS6detail17trampoline_kernelINS0_14default_configENS1_20scan_config_selectorIsEEZZNS1_9scan_implILNS1_25lookback_scan_determinismE0ELb0ELb0ES3_N6thrust23THRUST_200600_302600_NS6detail15normal_iteratorINS9_10device_ptrIsEEEESE_s11max_functorIsEsEEDaPvRmT3_T4_T5_mT6_P12ihipStream_tbENKUlT_T0_E_clISt17integral_constantIbLb0EEST_IbLb1EEEEDaSP_SQ_EUlSP_E0_NS1_11comp_targetILNS1_3genE4ELNS1_11target_archE910ELNS1_3gpuE8ELNS1_3repE0EEENS1_30default_config_static_selectorELNS0_4arch9wavefront6targetE1EEEvT1_.kd
    .uniform_work_group_size: 1
    .uses_dynamic_stack: false
    .vgpr_count:     43
    .vgpr_spill_count: 0
    .wavefront_size: 64
  - .agpr_count:     0
    .args:
      - .offset:         0
        .size:           32
        .value_kind:     by_value
    .group_segment_fixed_size: 0
    .kernarg_segment_align: 8
    .kernarg_segment_size: 32
    .language:       OpenCL C
    .language_version:
      - 2
      - 0
    .max_flat_workgroup_size: 128
    .name:           _ZN7rocprim17ROCPRIM_400000_NS6detail17trampoline_kernelINS0_14default_configENS1_20scan_config_selectorIsEEZZNS1_9scan_implILNS1_25lookback_scan_determinismE0ELb0ELb0ES3_N6thrust23THRUST_200600_302600_NS6detail15normal_iteratorINS9_10device_ptrIsEEEESE_s11max_functorIsEsEEDaPvRmT3_T4_T5_mT6_P12ihipStream_tbENKUlT_T0_E_clISt17integral_constantIbLb0EEST_IbLb1EEEEDaSP_SQ_EUlSP_E0_NS1_11comp_targetILNS1_3genE3ELNS1_11target_archE908ELNS1_3gpuE7ELNS1_3repE0EEENS1_30default_config_static_selectorELNS0_4arch9wavefront6targetE1EEEvT1_
    .private_segment_fixed_size: 0
    .sgpr_count:     4
    .sgpr_spill_count: 0
    .symbol:         _ZN7rocprim17ROCPRIM_400000_NS6detail17trampoline_kernelINS0_14default_configENS1_20scan_config_selectorIsEEZZNS1_9scan_implILNS1_25lookback_scan_determinismE0ELb0ELb0ES3_N6thrust23THRUST_200600_302600_NS6detail15normal_iteratorINS9_10device_ptrIsEEEESE_s11max_functorIsEsEEDaPvRmT3_T4_T5_mT6_P12ihipStream_tbENKUlT_T0_E_clISt17integral_constantIbLb0EEST_IbLb1EEEEDaSP_SQ_EUlSP_E0_NS1_11comp_targetILNS1_3genE3ELNS1_11target_archE908ELNS1_3gpuE7ELNS1_3repE0EEENS1_30default_config_static_selectorELNS0_4arch9wavefront6targetE1EEEvT1_.kd
    .uniform_work_group_size: 1
    .uses_dynamic_stack: false
    .vgpr_count:     0
    .vgpr_spill_count: 0
    .wavefront_size: 64
  - .agpr_count:     0
    .args:
      - .offset:         0
        .size:           32
        .value_kind:     by_value
    .group_segment_fixed_size: 0
    .kernarg_segment_align: 8
    .kernarg_segment_size: 32
    .language:       OpenCL C
    .language_version:
      - 2
      - 0
    .max_flat_workgroup_size: 256
    .name:           _ZN7rocprim17ROCPRIM_400000_NS6detail17trampoline_kernelINS0_14default_configENS1_20scan_config_selectorIsEEZZNS1_9scan_implILNS1_25lookback_scan_determinismE0ELb0ELb0ES3_N6thrust23THRUST_200600_302600_NS6detail15normal_iteratorINS9_10device_ptrIsEEEESE_s11max_functorIsEsEEDaPvRmT3_T4_T5_mT6_P12ihipStream_tbENKUlT_T0_E_clISt17integral_constantIbLb0EEST_IbLb1EEEEDaSP_SQ_EUlSP_E0_NS1_11comp_targetILNS1_3genE2ELNS1_11target_archE906ELNS1_3gpuE6ELNS1_3repE0EEENS1_30default_config_static_selectorELNS0_4arch9wavefront6targetE1EEEvT1_
    .private_segment_fixed_size: 0
    .sgpr_count:     4
    .sgpr_spill_count: 0
    .symbol:         _ZN7rocprim17ROCPRIM_400000_NS6detail17trampoline_kernelINS0_14default_configENS1_20scan_config_selectorIsEEZZNS1_9scan_implILNS1_25lookback_scan_determinismE0ELb0ELb0ES3_N6thrust23THRUST_200600_302600_NS6detail15normal_iteratorINS9_10device_ptrIsEEEESE_s11max_functorIsEsEEDaPvRmT3_T4_T5_mT6_P12ihipStream_tbENKUlT_T0_E_clISt17integral_constantIbLb0EEST_IbLb1EEEEDaSP_SQ_EUlSP_E0_NS1_11comp_targetILNS1_3genE2ELNS1_11target_archE906ELNS1_3gpuE6ELNS1_3repE0EEENS1_30default_config_static_selectorELNS0_4arch9wavefront6targetE1EEEvT1_.kd
    .uniform_work_group_size: 1
    .uses_dynamic_stack: false
    .vgpr_count:     0
    .vgpr_spill_count: 0
    .wavefront_size: 64
  - .agpr_count:     0
    .args:
      - .offset:         0
        .size:           32
        .value_kind:     by_value
    .group_segment_fixed_size: 0
    .kernarg_segment_align: 8
    .kernarg_segment_size: 32
    .language:       OpenCL C
    .language_version:
      - 2
      - 0
    .max_flat_workgroup_size: 256
    .name:           _ZN7rocprim17ROCPRIM_400000_NS6detail17trampoline_kernelINS0_14default_configENS1_20scan_config_selectorIsEEZZNS1_9scan_implILNS1_25lookback_scan_determinismE0ELb0ELb0ES3_N6thrust23THRUST_200600_302600_NS6detail15normal_iteratorINS9_10device_ptrIsEEEESE_s11max_functorIsEsEEDaPvRmT3_T4_T5_mT6_P12ihipStream_tbENKUlT_T0_E_clISt17integral_constantIbLb0EEST_IbLb1EEEEDaSP_SQ_EUlSP_E0_NS1_11comp_targetILNS1_3genE10ELNS1_11target_archE1201ELNS1_3gpuE5ELNS1_3repE0EEENS1_30default_config_static_selectorELNS0_4arch9wavefront6targetE1EEEvT1_
    .private_segment_fixed_size: 0
    .sgpr_count:     4
    .sgpr_spill_count: 0
    .symbol:         _ZN7rocprim17ROCPRIM_400000_NS6detail17trampoline_kernelINS0_14default_configENS1_20scan_config_selectorIsEEZZNS1_9scan_implILNS1_25lookback_scan_determinismE0ELb0ELb0ES3_N6thrust23THRUST_200600_302600_NS6detail15normal_iteratorINS9_10device_ptrIsEEEESE_s11max_functorIsEsEEDaPvRmT3_T4_T5_mT6_P12ihipStream_tbENKUlT_T0_E_clISt17integral_constantIbLb0EEST_IbLb1EEEEDaSP_SQ_EUlSP_E0_NS1_11comp_targetILNS1_3genE10ELNS1_11target_archE1201ELNS1_3gpuE5ELNS1_3repE0EEENS1_30default_config_static_selectorELNS0_4arch9wavefront6targetE1EEEvT1_.kd
    .uniform_work_group_size: 1
    .uses_dynamic_stack: false
    .vgpr_count:     0
    .vgpr_spill_count: 0
    .wavefront_size: 64
  - .agpr_count:     0
    .args:
      - .offset:         0
        .size:           32
        .value_kind:     by_value
    .group_segment_fixed_size: 0
    .kernarg_segment_align: 8
    .kernarg_segment_size: 32
    .language:       OpenCL C
    .language_version:
      - 2
      - 0
    .max_flat_workgroup_size: 256
    .name:           _ZN7rocprim17ROCPRIM_400000_NS6detail17trampoline_kernelINS0_14default_configENS1_20scan_config_selectorIsEEZZNS1_9scan_implILNS1_25lookback_scan_determinismE0ELb0ELb0ES3_N6thrust23THRUST_200600_302600_NS6detail15normal_iteratorINS9_10device_ptrIsEEEESE_s11max_functorIsEsEEDaPvRmT3_T4_T5_mT6_P12ihipStream_tbENKUlT_T0_E_clISt17integral_constantIbLb0EEST_IbLb1EEEEDaSP_SQ_EUlSP_E0_NS1_11comp_targetILNS1_3genE10ELNS1_11target_archE1200ELNS1_3gpuE4ELNS1_3repE0EEENS1_30default_config_static_selectorELNS0_4arch9wavefront6targetE1EEEvT1_
    .private_segment_fixed_size: 0
    .sgpr_count:     4
    .sgpr_spill_count: 0
    .symbol:         _ZN7rocprim17ROCPRIM_400000_NS6detail17trampoline_kernelINS0_14default_configENS1_20scan_config_selectorIsEEZZNS1_9scan_implILNS1_25lookback_scan_determinismE0ELb0ELb0ES3_N6thrust23THRUST_200600_302600_NS6detail15normal_iteratorINS9_10device_ptrIsEEEESE_s11max_functorIsEsEEDaPvRmT3_T4_T5_mT6_P12ihipStream_tbENKUlT_T0_E_clISt17integral_constantIbLb0EEST_IbLb1EEEEDaSP_SQ_EUlSP_E0_NS1_11comp_targetILNS1_3genE10ELNS1_11target_archE1200ELNS1_3gpuE4ELNS1_3repE0EEENS1_30default_config_static_selectorELNS0_4arch9wavefront6targetE1EEEvT1_.kd
    .uniform_work_group_size: 1
    .uses_dynamic_stack: false
    .vgpr_count:     0
    .vgpr_spill_count: 0
    .wavefront_size: 64
  - .agpr_count:     0
    .args:
      - .offset:         0
        .size:           32
        .value_kind:     by_value
    .group_segment_fixed_size: 0
    .kernarg_segment_align: 8
    .kernarg_segment_size: 32
    .language:       OpenCL C
    .language_version:
      - 2
      - 0
    .max_flat_workgroup_size: 64
    .name:           _ZN7rocprim17ROCPRIM_400000_NS6detail17trampoline_kernelINS0_14default_configENS1_20scan_config_selectorIsEEZZNS1_9scan_implILNS1_25lookback_scan_determinismE0ELb0ELb0ES3_N6thrust23THRUST_200600_302600_NS6detail15normal_iteratorINS9_10device_ptrIsEEEESE_s11max_functorIsEsEEDaPvRmT3_T4_T5_mT6_P12ihipStream_tbENKUlT_T0_E_clISt17integral_constantIbLb0EEST_IbLb1EEEEDaSP_SQ_EUlSP_E0_NS1_11comp_targetILNS1_3genE9ELNS1_11target_archE1100ELNS1_3gpuE3ELNS1_3repE0EEENS1_30default_config_static_selectorELNS0_4arch9wavefront6targetE1EEEvT1_
    .private_segment_fixed_size: 0
    .sgpr_count:     4
    .sgpr_spill_count: 0
    .symbol:         _ZN7rocprim17ROCPRIM_400000_NS6detail17trampoline_kernelINS0_14default_configENS1_20scan_config_selectorIsEEZZNS1_9scan_implILNS1_25lookback_scan_determinismE0ELb0ELb0ES3_N6thrust23THRUST_200600_302600_NS6detail15normal_iteratorINS9_10device_ptrIsEEEESE_s11max_functorIsEsEEDaPvRmT3_T4_T5_mT6_P12ihipStream_tbENKUlT_T0_E_clISt17integral_constantIbLb0EEST_IbLb1EEEEDaSP_SQ_EUlSP_E0_NS1_11comp_targetILNS1_3genE9ELNS1_11target_archE1100ELNS1_3gpuE3ELNS1_3repE0EEENS1_30default_config_static_selectorELNS0_4arch9wavefront6targetE1EEEvT1_.kd
    .uniform_work_group_size: 1
    .uses_dynamic_stack: false
    .vgpr_count:     0
    .vgpr_spill_count: 0
    .wavefront_size: 64
  - .agpr_count:     0
    .args:
      - .offset:         0
        .size:           32
        .value_kind:     by_value
    .group_segment_fixed_size: 0
    .kernarg_segment_align: 8
    .kernarg_segment_size: 32
    .language:       OpenCL C
    .language_version:
      - 2
      - 0
    .max_flat_workgroup_size: 64
    .name:           _ZN7rocprim17ROCPRIM_400000_NS6detail17trampoline_kernelINS0_14default_configENS1_20scan_config_selectorIsEEZZNS1_9scan_implILNS1_25lookback_scan_determinismE0ELb0ELb0ES3_N6thrust23THRUST_200600_302600_NS6detail15normal_iteratorINS9_10device_ptrIsEEEESE_s11max_functorIsEsEEDaPvRmT3_T4_T5_mT6_P12ihipStream_tbENKUlT_T0_E_clISt17integral_constantIbLb0EEST_IbLb1EEEEDaSP_SQ_EUlSP_E0_NS1_11comp_targetILNS1_3genE8ELNS1_11target_archE1030ELNS1_3gpuE2ELNS1_3repE0EEENS1_30default_config_static_selectorELNS0_4arch9wavefront6targetE1EEEvT1_
    .private_segment_fixed_size: 0
    .sgpr_count:     4
    .sgpr_spill_count: 0
    .symbol:         _ZN7rocprim17ROCPRIM_400000_NS6detail17trampoline_kernelINS0_14default_configENS1_20scan_config_selectorIsEEZZNS1_9scan_implILNS1_25lookback_scan_determinismE0ELb0ELb0ES3_N6thrust23THRUST_200600_302600_NS6detail15normal_iteratorINS9_10device_ptrIsEEEESE_s11max_functorIsEsEEDaPvRmT3_T4_T5_mT6_P12ihipStream_tbENKUlT_T0_E_clISt17integral_constantIbLb0EEST_IbLb1EEEEDaSP_SQ_EUlSP_E0_NS1_11comp_targetILNS1_3genE8ELNS1_11target_archE1030ELNS1_3gpuE2ELNS1_3repE0EEENS1_30default_config_static_selectorELNS0_4arch9wavefront6targetE1EEEvT1_.kd
    .uniform_work_group_size: 1
    .uses_dynamic_stack: false
    .vgpr_count:     0
    .vgpr_spill_count: 0
    .wavefront_size: 64
  - .agpr_count:     0
    .args:
      - .offset:         0
        .size:           96
        .value_kind:     by_value
    .group_segment_fixed_size: 0
    .kernarg_segment_align: 8
    .kernarg_segment_size: 96
    .language:       OpenCL C
    .language_version:
      - 2
      - 0
    .max_flat_workgroup_size: 128
    .name:           _ZN7rocprim17ROCPRIM_400000_NS6detail17trampoline_kernelINS0_14default_configENS1_20scan_config_selectorIsEEZZNS1_9scan_implILNS1_25lookback_scan_determinismE0ELb1ELb1ES3_N6thrust23THRUST_200600_302600_NS6detail15normal_iteratorINS9_10device_ptrIsEEEESE_s11max_functorIsEsEEDaPvRmT3_T4_T5_mT6_P12ihipStream_tbENKUlT_T0_E_clISt17integral_constantIbLb0EESU_EEDaSP_SQ_EUlSP_E_NS1_11comp_targetILNS1_3genE0ELNS1_11target_archE4294967295ELNS1_3gpuE0ELNS1_3repE0EEENS1_30default_config_static_selectorELNS0_4arch9wavefront6targetE1EEEvT1_
    .private_segment_fixed_size: 0
    .sgpr_count:     4
    .sgpr_spill_count: 0
    .symbol:         _ZN7rocprim17ROCPRIM_400000_NS6detail17trampoline_kernelINS0_14default_configENS1_20scan_config_selectorIsEEZZNS1_9scan_implILNS1_25lookback_scan_determinismE0ELb1ELb1ES3_N6thrust23THRUST_200600_302600_NS6detail15normal_iteratorINS9_10device_ptrIsEEEESE_s11max_functorIsEsEEDaPvRmT3_T4_T5_mT6_P12ihipStream_tbENKUlT_T0_E_clISt17integral_constantIbLb0EESU_EEDaSP_SQ_EUlSP_E_NS1_11comp_targetILNS1_3genE0ELNS1_11target_archE4294967295ELNS1_3gpuE0ELNS1_3repE0EEENS1_30default_config_static_selectorELNS0_4arch9wavefront6targetE1EEEvT1_.kd
    .uniform_work_group_size: 1
    .uses_dynamic_stack: false
    .vgpr_count:     0
    .vgpr_spill_count: 0
    .wavefront_size: 64
  - .agpr_count:     0
    .args:
      - .offset:         0
        .size:           96
        .value_kind:     by_value
    .group_segment_fixed_size: 0
    .kernarg_segment_align: 8
    .kernarg_segment_size: 96
    .language:       OpenCL C
    .language_version:
      - 2
      - 0
    .max_flat_workgroup_size: 256
    .name:           _ZN7rocprim17ROCPRIM_400000_NS6detail17trampoline_kernelINS0_14default_configENS1_20scan_config_selectorIsEEZZNS1_9scan_implILNS1_25lookback_scan_determinismE0ELb1ELb1ES3_N6thrust23THRUST_200600_302600_NS6detail15normal_iteratorINS9_10device_ptrIsEEEESE_s11max_functorIsEsEEDaPvRmT3_T4_T5_mT6_P12ihipStream_tbENKUlT_T0_E_clISt17integral_constantIbLb0EESU_EEDaSP_SQ_EUlSP_E_NS1_11comp_targetILNS1_3genE5ELNS1_11target_archE942ELNS1_3gpuE9ELNS1_3repE0EEENS1_30default_config_static_selectorELNS0_4arch9wavefront6targetE1EEEvT1_
    .private_segment_fixed_size: 0
    .sgpr_count:     4
    .sgpr_spill_count: 0
    .symbol:         _ZN7rocprim17ROCPRIM_400000_NS6detail17trampoline_kernelINS0_14default_configENS1_20scan_config_selectorIsEEZZNS1_9scan_implILNS1_25lookback_scan_determinismE0ELb1ELb1ES3_N6thrust23THRUST_200600_302600_NS6detail15normal_iteratorINS9_10device_ptrIsEEEESE_s11max_functorIsEsEEDaPvRmT3_T4_T5_mT6_P12ihipStream_tbENKUlT_T0_E_clISt17integral_constantIbLb0EESU_EEDaSP_SQ_EUlSP_E_NS1_11comp_targetILNS1_3genE5ELNS1_11target_archE942ELNS1_3gpuE9ELNS1_3repE0EEENS1_30default_config_static_selectorELNS0_4arch9wavefront6targetE1EEEvT1_.kd
    .uniform_work_group_size: 1
    .uses_dynamic_stack: false
    .vgpr_count:     0
    .vgpr_spill_count: 0
    .wavefront_size: 64
  - .agpr_count:     0
    .args:
      - .offset:         0
        .size:           96
        .value_kind:     by_value
    .group_segment_fixed_size: 3072
    .kernarg_segment_align: 8
    .kernarg_segment_size: 96
    .language:       OpenCL C
    .language_version:
      - 2
      - 0
    .max_flat_workgroup_size: 64
    .name:           _ZN7rocprim17ROCPRIM_400000_NS6detail17trampoline_kernelINS0_14default_configENS1_20scan_config_selectorIsEEZZNS1_9scan_implILNS1_25lookback_scan_determinismE0ELb1ELb1ES3_N6thrust23THRUST_200600_302600_NS6detail15normal_iteratorINS9_10device_ptrIsEEEESE_s11max_functorIsEsEEDaPvRmT3_T4_T5_mT6_P12ihipStream_tbENKUlT_T0_E_clISt17integral_constantIbLb0EESU_EEDaSP_SQ_EUlSP_E_NS1_11comp_targetILNS1_3genE4ELNS1_11target_archE910ELNS1_3gpuE8ELNS1_3repE0EEENS1_30default_config_static_selectorELNS0_4arch9wavefront6targetE1EEEvT1_
    .private_segment_fixed_size: 0
    .sgpr_count:     33
    .sgpr_spill_count: 0
    .symbol:         _ZN7rocprim17ROCPRIM_400000_NS6detail17trampoline_kernelINS0_14default_configENS1_20scan_config_selectorIsEEZZNS1_9scan_implILNS1_25lookback_scan_determinismE0ELb1ELb1ES3_N6thrust23THRUST_200600_302600_NS6detail15normal_iteratorINS9_10device_ptrIsEEEESE_s11max_functorIsEsEEDaPvRmT3_T4_T5_mT6_P12ihipStream_tbENKUlT_T0_E_clISt17integral_constantIbLb0EESU_EEDaSP_SQ_EUlSP_E_NS1_11comp_targetILNS1_3genE4ELNS1_11target_archE910ELNS1_3gpuE8ELNS1_3repE0EEENS1_30default_config_static_selectorELNS0_4arch9wavefront6targetE1EEEvT1_.kd
    .uniform_work_group_size: 1
    .uses_dynamic_stack: false
    .vgpr_count:     58
    .vgpr_spill_count: 0
    .wavefront_size: 64
  - .agpr_count:     0
    .args:
      - .offset:         0
        .size:           96
        .value_kind:     by_value
    .group_segment_fixed_size: 0
    .kernarg_segment_align: 8
    .kernarg_segment_size: 96
    .language:       OpenCL C
    .language_version:
      - 2
      - 0
    .max_flat_workgroup_size: 128
    .name:           _ZN7rocprim17ROCPRIM_400000_NS6detail17trampoline_kernelINS0_14default_configENS1_20scan_config_selectorIsEEZZNS1_9scan_implILNS1_25lookback_scan_determinismE0ELb1ELb1ES3_N6thrust23THRUST_200600_302600_NS6detail15normal_iteratorINS9_10device_ptrIsEEEESE_s11max_functorIsEsEEDaPvRmT3_T4_T5_mT6_P12ihipStream_tbENKUlT_T0_E_clISt17integral_constantIbLb0EESU_EEDaSP_SQ_EUlSP_E_NS1_11comp_targetILNS1_3genE3ELNS1_11target_archE908ELNS1_3gpuE7ELNS1_3repE0EEENS1_30default_config_static_selectorELNS0_4arch9wavefront6targetE1EEEvT1_
    .private_segment_fixed_size: 0
    .sgpr_count:     4
    .sgpr_spill_count: 0
    .symbol:         _ZN7rocprim17ROCPRIM_400000_NS6detail17trampoline_kernelINS0_14default_configENS1_20scan_config_selectorIsEEZZNS1_9scan_implILNS1_25lookback_scan_determinismE0ELb1ELb1ES3_N6thrust23THRUST_200600_302600_NS6detail15normal_iteratorINS9_10device_ptrIsEEEESE_s11max_functorIsEsEEDaPvRmT3_T4_T5_mT6_P12ihipStream_tbENKUlT_T0_E_clISt17integral_constantIbLb0EESU_EEDaSP_SQ_EUlSP_E_NS1_11comp_targetILNS1_3genE3ELNS1_11target_archE908ELNS1_3gpuE7ELNS1_3repE0EEENS1_30default_config_static_selectorELNS0_4arch9wavefront6targetE1EEEvT1_.kd
    .uniform_work_group_size: 1
    .uses_dynamic_stack: false
    .vgpr_count:     0
    .vgpr_spill_count: 0
    .wavefront_size: 64
  - .agpr_count:     0
    .args:
      - .offset:         0
        .size:           96
        .value_kind:     by_value
    .group_segment_fixed_size: 0
    .kernarg_segment_align: 8
    .kernarg_segment_size: 96
    .language:       OpenCL C
    .language_version:
      - 2
      - 0
    .max_flat_workgroup_size: 256
    .name:           _ZN7rocprim17ROCPRIM_400000_NS6detail17trampoline_kernelINS0_14default_configENS1_20scan_config_selectorIsEEZZNS1_9scan_implILNS1_25lookback_scan_determinismE0ELb1ELb1ES3_N6thrust23THRUST_200600_302600_NS6detail15normal_iteratorINS9_10device_ptrIsEEEESE_s11max_functorIsEsEEDaPvRmT3_T4_T5_mT6_P12ihipStream_tbENKUlT_T0_E_clISt17integral_constantIbLb0EESU_EEDaSP_SQ_EUlSP_E_NS1_11comp_targetILNS1_3genE2ELNS1_11target_archE906ELNS1_3gpuE6ELNS1_3repE0EEENS1_30default_config_static_selectorELNS0_4arch9wavefront6targetE1EEEvT1_
    .private_segment_fixed_size: 0
    .sgpr_count:     4
    .sgpr_spill_count: 0
    .symbol:         _ZN7rocprim17ROCPRIM_400000_NS6detail17trampoline_kernelINS0_14default_configENS1_20scan_config_selectorIsEEZZNS1_9scan_implILNS1_25lookback_scan_determinismE0ELb1ELb1ES3_N6thrust23THRUST_200600_302600_NS6detail15normal_iteratorINS9_10device_ptrIsEEEESE_s11max_functorIsEsEEDaPvRmT3_T4_T5_mT6_P12ihipStream_tbENKUlT_T0_E_clISt17integral_constantIbLb0EESU_EEDaSP_SQ_EUlSP_E_NS1_11comp_targetILNS1_3genE2ELNS1_11target_archE906ELNS1_3gpuE6ELNS1_3repE0EEENS1_30default_config_static_selectorELNS0_4arch9wavefront6targetE1EEEvT1_.kd
    .uniform_work_group_size: 1
    .uses_dynamic_stack: false
    .vgpr_count:     0
    .vgpr_spill_count: 0
    .wavefront_size: 64
  - .agpr_count:     0
    .args:
      - .offset:         0
        .size:           96
        .value_kind:     by_value
    .group_segment_fixed_size: 0
    .kernarg_segment_align: 8
    .kernarg_segment_size: 96
    .language:       OpenCL C
    .language_version:
      - 2
      - 0
    .max_flat_workgroup_size: 256
    .name:           _ZN7rocprim17ROCPRIM_400000_NS6detail17trampoline_kernelINS0_14default_configENS1_20scan_config_selectorIsEEZZNS1_9scan_implILNS1_25lookback_scan_determinismE0ELb1ELb1ES3_N6thrust23THRUST_200600_302600_NS6detail15normal_iteratorINS9_10device_ptrIsEEEESE_s11max_functorIsEsEEDaPvRmT3_T4_T5_mT6_P12ihipStream_tbENKUlT_T0_E_clISt17integral_constantIbLb0EESU_EEDaSP_SQ_EUlSP_E_NS1_11comp_targetILNS1_3genE10ELNS1_11target_archE1201ELNS1_3gpuE5ELNS1_3repE0EEENS1_30default_config_static_selectorELNS0_4arch9wavefront6targetE1EEEvT1_
    .private_segment_fixed_size: 0
    .sgpr_count:     4
    .sgpr_spill_count: 0
    .symbol:         _ZN7rocprim17ROCPRIM_400000_NS6detail17trampoline_kernelINS0_14default_configENS1_20scan_config_selectorIsEEZZNS1_9scan_implILNS1_25lookback_scan_determinismE0ELb1ELb1ES3_N6thrust23THRUST_200600_302600_NS6detail15normal_iteratorINS9_10device_ptrIsEEEESE_s11max_functorIsEsEEDaPvRmT3_T4_T5_mT6_P12ihipStream_tbENKUlT_T0_E_clISt17integral_constantIbLb0EESU_EEDaSP_SQ_EUlSP_E_NS1_11comp_targetILNS1_3genE10ELNS1_11target_archE1201ELNS1_3gpuE5ELNS1_3repE0EEENS1_30default_config_static_selectorELNS0_4arch9wavefront6targetE1EEEvT1_.kd
    .uniform_work_group_size: 1
    .uses_dynamic_stack: false
    .vgpr_count:     0
    .vgpr_spill_count: 0
    .wavefront_size: 64
  - .agpr_count:     0
    .args:
      - .offset:         0
        .size:           96
        .value_kind:     by_value
    .group_segment_fixed_size: 0
    .kernarg_segment_align: 8
    .kernarg_segment_size: 96
    .language:       OpenCL C
    .language_version:
      - 2
      - 0
    .max_flat_workgroup_size: 256
    .name:           _ZN7rocprim17ROCPRIM_400000_NS6detail17trampoline_kernelINS0_14default_configENS1_20scan_config_selectorIsEEZZNS1_9scan_implILNS1_25lookback_scan_determinismE0ELb1ELb1ES3_N6thrust23THRUST_200600_302600_NS6detail15normal_iteratorINS9_10device_ptrIsEEEESE_s11max_functorIsEsEEDaPvRmT3_T4_T5_mT6_P12ihipStream_tbENKUlT_T0_E_clISt17integral_constantIbLb0EESU_EEDaSP_SQ_EUlSP_E_NS1_11comp_targetILNS1_3genE10ELNS1_11target_archE1200ELNS1_3gpuE4ELNS1_3repE0EEENS1_30default_config_static_selectorELNS0_4arch9wavefront6targetE1EEEvT1_
    .private_segment_fixed_size: 0
    .sgpr_count:     4
    .sgpr_spill_count: 0
    .symbol:         _ZN7rocprim17ROCPRIM_400000_NS6detail17trampoline_kernelINS0_14default_configENS1_20scan_config_selectorIsEEZZNS1_9scan_implILNS1_25lookback_scan_determinismE0ELb1ELb1ES3_N6thrust23THRUST_200600_302600_NS6detail15normal_iteratorINS9_10device_ptrIsEEEESE_s11max_functorIsEsEEDaPvRmT3_T4_T5_mT6_P12ihipStream_tbENKUlT_T0_E_clISt17integral_constantIbLb0EESU_EEDaSP_SQ_EUlSP_E_NS1_11comp_targetILNS1_3genE10ELNS1_11target_archE1200ELNS1_3gpuE4ELNS1_3repE0EEENS1_30default_config_static_selectorELNS0_4arch9wavefront6targetE1EEEvT1_.kd
    .uniform_work_group_size: 1
    .uses_dynamic_stack: false
    .vgpr_count:     0
    .vgpr_spill_count: 0
    .wavefront_size: 64
  - .agpr_count:     0
    .args:
      - .offset:         0
        .size:           96
        .value_kind:     by_value
    .group_segment_fixed_size: 0
    .kernarg_segment_align: 8
    .kernarg_segment_size: 96
    .language:       OpenCL C
    .language_version:
      - 2
      - 0
    .max_flat_workgroup_size: 64
    .name:           _ZN7rocprim17ROCPRIM_400000_NS6detail17trampoline_kernelINS0_14default_configENS1_20scan_config_selectorIsEEZZNS1_9scan_implILNS1_25lookback_scan_determinismE0ELb1ELb1ES3_N6thrust23THRUST_200600_302600_NS6detail15normal_iteratorINS9_10device_ptrIsEEEESE_s11max_functorIsEsEEDaPvRmT3_T4_T5_mT6_P12ihipStream_tbENKUlT_T0_E_clISt17integral_constantIbLb0EESU_EEDaSP_SQ_EUlSP_E_NS1_11comp_targetILNS1_3genE9ELNS1_11target_archE1100ELNS1_3gpuE3ELNS1_3repE0EEENS1_30default_config_static_selectorELNS0_4arch9wavefront6targetE1EEEvT1_
    .private_segment_fixed_size: 0
    .sgpr_count:     4
    .sgpr_spill_count: 0
    .symbol:         _ZN7rocprim17ROCPRIM_400000_NS6detail17trampoline_kernelINS0_14default_configENS1_20scan_config_selectorIsEEZZNS1_9scan_implILNS1_25lookback_scan_determinismE0ELb1ELb1ES3_N6thrust23THRUST_200600_302600_NS6detail15normal_iteratorINS9_10device_ptrIsEEEESE_s11max_functorIsEsEEDaPvRmT3_T4_T5_mT6_P12ihipStream_tbENKUlT_T0_E_clISt17integral_constantIbLb0EESU_EEDaSP_SQ_EUlSP_E_NS1_11comp_targetILNS1_3genE9ELNS1_11target_archE1100ELNS1_3gpuE3ELNS1_3repE0EEENS1_30default_config_static_selectorELNS0_4arch9wavefront6targetE1EEEvT1_.kd
    .uniform_work_group_size: 1
    .uses_dynamic_stack: false
    .vgpr_count:     0
    .vgpr_spill_count: 0
    .wavefront_size: 64
  - .agpr_count:     0
    .args:
      - .offset:         0
        .size:           96
        .value_kind:     by_value
    .group_segment_fixed_size: 0
    .kernarg_segment_align: 8
    .kernarg_segment_size: 96
    .language:       OpenCL C
    .language_version:
      - 2
      - 0
    .max_flat_workgroup_size: 64
    .name:           _ZN7rocprim17ROCPRIM_400000_NS6detail17trampoline_kernelINS0_14default_configENS1_20scan_config_selectorIsEEZZNS1_9scan_implILNS1_25lookback_scan_determinismE0ELb1ELb1ES3_N6thrust23THRUST_200600_302600_NS6detail15normal_iteratorINS9_10device_ptrIsEEEESE_s11max_functorIsEsEEDaPvRmT3_T4_T5_mT6_P12ihipStream_tbENKUlT_T0_E_clISt17integral_constantIbLb0EESU_EEDaSP_SQ_EUlSP_E_NS1_11comp_targetILNS1_3genE8ELNS1_11target_archE1030ELNS1_3gpuE2ELNS1_3repE0EEENS1_30default_config_static_selectorELNS0_4arch9wavefront6targetE1EEEvT1_
    .private_segment_fixed_size: 0
    .sgpr_count:     4
    .sgpr_spill_count: 0
    .symbol:         _ZN7rocprim17ROCPRIM_400000_NS6detail17trampoline_kernelINS0_14default_configENS1_20scan_config_selectorIsEEZZNS1_9scan_implILNS1_25lookback_scan_determinismE0ELb1ELb1ES3_N6thrust23THRUST_200600_302600_NS6detail15normal_iteratorINS9_10device_ptrIsEEEESE_s11max_functorIsEsEEDaPvRmT3_T4_T5_mT6_P12ihipStream_tbENKUlT_T0_E_clISt17integral_constantIbLb0EESU_EEDaSP_SQ_EUlSP_E_NS1_11comp_targetILNS1_3genE8ELNS1_11target_archE1030ELNS1_3gpuE2ELNS1_3repE0EEENS1_30default_config_static_selectorELNS0_4arch9wavefront6targetE1EEEvT1_.kd
    .uniform_work_group_size: 1
    .uses_dynamic_stack: false
    .vgpr_count:     0
    .vgpr_spill_count: 0
    .wavefront_size: 64
  - .agpr_count:     0
    .args:
      - .offset:         0
        .size:           32
        .value_kind:     by_value
    .group_segment_fixed_size: 0
    .kernarg_segment_align: 8
    .kernarg_segment_size: 32
    .language:       OpenCL C
    .language_version:
      - 2
      - 0
    .max_flat_workgroup_size: 128
    .name:           _ZN7rocprim17ROCPRIM_400000_NS6detail17trampoline_kernelINS0_14default_configENS1_20scan_config_selectorIsEEZZNS1_9scan_implILNS1_25lookback_scan_determinismE0ELb1ELb1ES3_N6thrust23THRUST_200600_302600_NS6detail15normal_iteratorINS9_10device_ptrIsEEEESE_s11max_functorIsEsEEDaPvRmT3_T4_T5_mT6_P12ihipStream_tbENKUlT_T0_E_clISt17integral_constantIbLb0EESU_EEDaSP_SQ_EUlSP_E0_NS1_11comp_targetILNS1_3genE0ELNS1_11target_archE4294967295ELNS1_3gpuE0ELNS1_3repE0EEENS1_30default_config_static_selectorELNS0_4arch9wavefront6targetE1EEEvT1_
    .private_segment_fixed_size: 0
    .sgpr_count:     4
    .sgpr_spill_count: 0
    .symbol:         _ZN7rocprim17ROCPRIM_400000_NS6detail17trampoline_kernelINS0_14default_configENS1_20scan_config_selectorIsEEZZNS1_9scan_implILNS1_25lookback_scan_determinismE0ELb1ELb1ES3_N6thrust23THRUST_200600_302600_NS6detail15normal_iteratorINS9_10device_ptrIsEEEESE_s11max_functorIsEsEEDaPvRmT3_T4_T5_mT6_P12ihipStream_tbENKUlT_T0_E_clISt17integral_constantIbLb0EESU_EEDaSP_SQ_EUlSP_E0_NS1_11comp_targetILNS1_3genE0ELNS1_11target_archE4294967295ELNS1_3gpuE0ELNS1_3repE0EEENS1_30default_config_static_selectorELNS0_4arch9wavefront6targetE1EEEvT1_.kd
    .uniform_work_group_size: 1
    .uses_dynamic_stack: false
    .vgpr_count:     0
    .vgpr_spill_count: 0
    .wavefront_size: 64
  - .agpr_count:     0
    .args:
      - .offset:         0
        .size:           32
        .value_kind:     by_value
    .group_segment_fixed_size: 0
    .kernarg_segment_align: 8
    .kernarg_segment_size: 32
    .language:       OpenCL C
    .language_version:
      - 2
      - 0
    .max_flat_workgroup_size: 256
    .name:           _ZN7rocprim17ROCPRIM_400000_NS6detail17trampoline_kernelINS0_14default_configENS1_20scan_config_selectorIsEEZZNS1_9scan_implILNS1_25lookback_scan_determinismE0ELb1ELb1ES3_N6thrust23THRUST_200600_302600_NS6detail15normal_iteratorINS9_10device_ptrIsEEEESE_s11max_functorIsEsEEDaPvRmT3_T4_T5_mT6_P12ihipStream_tbENKUlT_T0_E_clISt17integral_constantIbLb0EESU_EEDaSP_SQ_EUlSP_E0_NS1_11comp_targetILNS1_3genE5ELNS1_11target_archE942ELNS1_3gpuE9ELNS1_3repE0EEENS1_30default_config_static_selectorELNS0_4arch9wavefront6targetE1EEEvT1_
    .private_segment_fixed_size: 0
    .sgpr_count:     4
    .sgpr_spill_count: 0
    .symbol:         _ZN7rocprim17ROCPRIM_400000_NS6detail17trampoline_kernelINS0_14default_configENS1_20scan_config_selectorIsEEZZNS1_9scan_implILNS1_25lookback_scan_determinismE0ELb1ELb1ES3_N6thrust23THRUST_200600_302600_NS6detail15normal_iteratorINS9_10device_ptrIsEEEESE_s11max_functorIsEsEEDaPvRmT3_T4_T5_mT6_P12ihipStream_tbENKUlT_T0_E_clISt17integral_constantIbLb0EESU_EEDaSP_SQ_EUlSP_E0_NS1_11comp_targetILNS1_3genE5ELNS1_11target_archE942ELNS1_3gpuE9ELNS1_3repE0EEENS1_30default_config_static_selectorELNS0_4arch9wavefront6targetE1EEEvT1_.kd
    .uniform_work_group_size: 1
    .uses_dynamic_stack: false
    .vgpr_count:     0
    .vgpr_spill_count: 0
    .wavefront_size: 64
  - .agpr_count:     0
    .args:
      - .offset:         0
        .size:           32
        .value_kind:     by_value
    .group_segment_fixed_size: 3072
    .kernarg_segment_align: 8
    .kernarg_segment_size: 32
    .language:       OpenCL C
    .language_version:
      - 2
      - 0
    .max_flat_workgroup_size: 64
    .name:           _ZN7rocprim17ROCPRIM_400000_NS6detail17trampoline_kernelINS0_14default_configENS1_20scan_config_selectorIsEEZZNS1_9scan_implILNS1_25lookback_scan_determinismE0ELb1ELb1ES3_N6thrust23THRUST_200600_302600_NS6detail15normal_iteratorINS9_10device_ptrIsEEEESE_s11max_functorIsEsEEDaPvRmT3_T4_T5_mT6_P12ihipStream_tbENKUlT_T0_E_clISt17integral_constantIbLb0EESU_EEDaSP_SQ_EUlSP_E0_NS1_11comp_targetILNS1_3genE4ELNS1_11target_archE910ELNS1_3gpuE8ELNS1_3repE0EEENS1_30default_config_static_selectorELNS0_4arch9wavefront6targetE1EEEvT1_
    .private_segment_fixed_size: 0
    .sgpr_count:     60
    .sgpr_spill_count: 0
    .symbol:         _ZN7rocprim17ROCPRIM_400000_NS6detail17trampoline_kernelINS0_14default_configENS1_20scan_config_selectorIsEEZZNS1_9scan_implILNS1_25lookback_scan_determinismE0ELb1ELb1ES3_N6thrust23THRUST_200600_302600_NS6detail15normal_iteratorINS9_10device_ptrIsEEEESE_s11max_functorIsEsEEDaPvRmT3_T4_T5_mT6_P12ihipStream_tbENKUlT_T0_E_clISt17integral_constantIbLb0EESU_EEDaSP_SQ_EUlSP_E0_NS1_11comp_targetILNS1_3genE4ELNS1_11target_archE910ELNS1_3gpuE8ELNS1_3repE0EEENS1_30default_config_static_selectorELNS0_4arch9wavefront6targetE1EEEvT1_.kd
    .uniform_work_group_size: 1
    .uses_dynamic_stack: false
    .vgpr_count:     32
    .vgpr_spill_count: 0
    .wavefront_size: 64
  - .agpr_count:     0
    .args:
      - .offset:         0
        .size:           32
        .value_kind:     by_value
    .group_segment_fixed_size: 0
    .kernarg_segment_align: 8
    .kernarg_segment_size: 32
    .language:       OpenCL C
    .language_version:
      - 2
      - 0
    .max_flat_workgroup_size: 128
    .name:           _ZN7rocprim17ROCPRIM_400000_NS6detail17trampoline_kernelINS0_14default_configENS1_20scan_config_selectorIsEEZZNS1_9scan_implILNS1_25lookback_scan_determinismE0ELb1ELb1ES3_N6thrust23THRUST_200600_302600_NS6detail15normal_iteratorINS9_10device_ptrIsEEEESE_s11max_functorIsEsEEDaPvRmT3_T4_T5_mT6_P12ihipStream_tbENKUlT_T0_E_clISt17integral_constantIbLb0EESU_EEDaSP_SQ_EUlSP_E0_NS1_11comp_targetILNS1_3genE3ELNS1_11target_archE908ELNS1_3gpuE7ELNS1_3repE0EEENS1_30default_config_static_selectorELNS0_4arch9wavefront6targetE1EEEvT1_
    .private_segment_fixed_size: 0
    .sgpr_count:     4
    .sgpr_spill_count: 0
    .symbol:         _ZN7rocprim17ROCPRIM_400000_NS6detail17trampoline_kernelINS0_14default_configENS1_20scan_config_selectorIsEEZZNS1_9scan_implILNS1_25lookback_scan_determinismE0ELb1ELb1ES3_N6thrust23THRUST_200600_302600_NS6detail15normal_iteratorINS9_10device_ptrIsEEEESE_s11max_functorIsEsEEDaPvRmT3_T4_T5_mT6_P12ihipStream_tbENKUlT_T0_E_clISt17integral_constantIbLb0EESU_EEDaSP_SQ_EUlSP_E0_NS1_11comp_targetILNS1_3genE3ELNS1_11target_archE908ELNS1_3gpuE7ELNS1_3repE0EEENS1_30default_config_static_selectorELNS0_4arch9wavefront6targetE1EEEvT1_.kd
    .uniform_work_group_size: 1
    .uses_dynamic_stack: false
    .vgpr_count:     0
    .vgpr_spill_count: 0
    .wavefront_size: 64
  - .agpr_count:     0
    .args:
      - .offset:         0
        .size:           32
        .value_kind:     by_value
    .group_segment_fixed_size: 0
    .kernarg_segment_align: 8
    .kernarg_segment_size: 32
    .language:       OpenCL C
    .language_version:
      - 2
      - 0
    .max_flat_workgroup_size: 256
    .name:           _ZN7rocprim17ROCPRIM_400000_NS6detail17trampoline_kernelINS0_14default_configENS1_20scan_config_selectorIsEEZZNS1_9scan_implILNS1_25lookback_scan_determinismE0ELb1ELb1ES3_N6thrust23THRUST_200600_302600_NS6detail15normal_iteratorINS9_10device_ptrIsEEEESE_s11max_functorIsEsEEDaPvRmT3_T4_T5_mT6_P12ihipStream_tbENKUlT_T0_E_clISt17integral_constantIbLb0EESU_EEDaSP_SQ_EUlSP_E0_NS1_11comp_targetILNS1_3genE2ELNS1_11target_archE906ELNS1_3gpuE6ELNS1_3repE0EEENS1_30default_config_static_selectorELNS0_4arch9wavefront6targetE1EEEvT1_
    .private_segment_fixed_size: 0
    .sgpr_count:     4
    .sgpr_spill_count: 0
    .symbol:         _ZN7rocprim17ROCPRIM_400000_NS6detail17trampoline_kernelINS0_14default_configENS1_20scan_config_selectorIsEEZZNS1_9scan_implILNS1_25lookback_scan_determinismE0ELb1ELb1ES3_N6thrust23THRUST_200600_302600_NS6detail15normal_iteratorINS9_10device_ptrIsEEEESE_s11max_functorIsEsEEDaPvRmT3_T4_T5_mT6_P12ihipStream_tbENKUlT_T0_E_clISt17integral_constantIbLb0EESU_EEDaSP_SQ_EUlSP_E0_NS1_11comp_targetILNS1_3genE2ELNS1_11target_archE906ELNS1_3gpuE6ELNS1_3repE0EEENS1_30default_config_static_selectorELNS0_4arch9wavefront6targetE1EEEvT1_.kd
    .uniform_work_group_size: 1
    .uses_dynamic_stack: false
    .vgpr_count:     0
    .vgpr_spill_count: 0
    .wavefront_size: 64
  - .agpr_count:     0
    .args:
      - .offset:         0
        .size:           32
        .value_kind:     by_value
    .group_segment_fixed_size: 0
    .kernarg_segment_align: 8
    .kernarg_segment_size: 32
    .language:       OpenCL C
    .language_version:
      - 2
      - 0
    .max_flat_workgroup_size: 256
    .name:           _ZN7rocprim17ROCPRIM_400000_NS6detail17trampoline_kernelINS0_14default_configENS1_20scan_config_selectorIsEEZZNS1_9scan_implILNS1_25lookback_scan_determinismE0ELb1ELb1ES3_N6thrust23THRUST_200600_302600_NS6detail15normal_iteratorINS9_10device_ptrIsEEEESE_s11max_functorIsEsEEDaPvRmT3_T4_T5_mT6_P12ihipStream_tbENKUlT_T0_E_clISt17integral_constantIbLb0EESU_EEDaSP_SQ_EUlSP_E0_NS1_11comp_targetILNS1_3genE10ELNS1_11target_archE1201ELNS1_3gpuE5ELNS1_3repE0EEENS1_30default_config_static_selectorELNS0_4arch9wavefront6targetE1EEEvT1_
    .private_segment_fixed_size: 0
    .sgpr_count:     4
    .sgpr_spill_count: 0
    .symbol:         _ZN7rocprim17ROCPRIM_400000_NS6detail17trampoline_kernelINS0_14default_configENS1_20scan_config_selectorIsEEZZNS1_9scan_implILNS1_25lookback_scan_determinismE0ELb1ELb1ES3_N6thrust23THRUST_200600_302600_NS6detail15normal_iteratorINS9_10device_ptrIsEEEESE_s11max_functorIsEsEEDaPvRmT3_T4_T5_mT6_P12ihipStream_tbENKUlT_T0_E_clISt17integral_constantIbLb0EESU_EEDaSP_SQ_EUlSP_E0_NS1_11comp_targetILNS1_3genE10ELNS1_11target_archE1201ELNS1_3gpuE5ELNS1_3repE0EEENS1_30default_config_static_selectorELNS0_4arch9wavefront6targetE1EEEvT1_.kd
    .uniform_work_group_size: 1
    .uses_dynamic_stack: false
    .vgpr_count:     0
    .vgpr_spill_count: 0
    .wavefront_size: 64
  - .agpr_count:     0
    .args:
      - .offset:         0
        .size:           32
        .value_kind:     by_value
    .group_segment_fixed_size: 0
    .kernarg_segment_align: 8
    .kernarg_segment_size: 32
    .language:       OpenCL C
    .language_version:
      - 2
      - 0
    .max_flat_workgroup_size: 256
    .name:           _ZN7rocprim17ROCPRIM_400000_NS6detail17trampoline_kernelINS0_14default_configENS1_20scan_config_selectorIsEEZZNS1_9scan_implILNS1_25lookback_scan_determinismE0ELb1ELb1ES3_N6thrust23THRUST_200600_302600_NS6detail15normal_iteratorINS9_10device_ptrIsEEEESE_s11max_functorIsEsEEDaPvRmT3_T4_T5_mT6_P12ihipStream_tbENKUlT_T0_E_clISt17integral_constantIbLb0EESU_EEDaSP_SQ_EUlSP_E0_NS1_11comp_targetILNS1_3genE10ELNS1_11target_archE1200ELNS1_3gpuE4ELNS1_3repE0EEENS1_30default_config_static_selectorELNS0_4arch9wavefront6targetE1EEEvT1_
    .private_segment_fixed_size: 0
    .sgpr_count:     4
    .sgpr_spill_count: 0
    .symbol:         _ZN7rocprim17ROCPRIM_400000_NS6detail17trampoline_kernelINS0_14default_configENS1_20scan_config_selectorIsEEZZNS1_9scan_implILNS1_25lookback_scan_determinismE0ELb1ELb1ES3_N6thrust23THRUST_200600_302600_NS6detail15normal_iteratorINS9_10device_ptrIsEEEESE_s11max_functorIsEsEEDaPvRmT3_T4_T5_mT6_P12ihipStream_tbENKUlT_T0_E_clISt17integral_constantIbLb0EESU_EEDaSP_SQ_EUlSP_E0_NS1_11comp_targetILNS1_3genE10ELNS1_11target_archE1200ELNS1_3gpuE4ELNS1_3repE0EEENS1_30default_config_static_selectorELNS0_4arch9wavefront6targetE1EEEvT1_.kd
    .uniform_work_group_size: 1
    .uses_dynamic_stack: false
    .vgpr_count:     0
    .vgpr_spill_count: 0
    .wavefront_size: 64
  - .agpr_count:     0
    .args:
      - .offset:         0
        .size:           32
        .value_kind:     by_value
    .group_segment_fixed_size: 0
    .kernarg_segment_align: 8
    .kernarg_segment_size: 32
    .language:       OpenCL C
    .language_version:
      - 2
      - 0
    .max_flat_workgroup_size: 64
    .name:           _ZN7rocprim17ROCPRIM_400000_NS6detail17trampoline_kernelINS0_14default_configENS1_20scan_config_selectorIsEEZZNS1_9scan_implILNS1_25lookback_scan_determinismE0ELb1ELb1ES3_N6thrust23THRUST_200600_302600_NS6detail15normal_iteratorINS9_10device_ptrIsEEEESE_s11max_functorIsEsEEDaPvRmT3_T4_T5_mT6_P12ihipStream_tbENKUlT_T0_E_clISt17integral_constantIbLb0EESU_EEDaSP_SQ_EUlSP_E0_NS1_11comp_targetILNS1_3genE9ELNS1_11target_archE1100ELNS1_3gpuE3ELNS1_3repE0EEENS1_30default_config_static_selectorELNS0_4arch9wavefront6targetE1EEEvT1_
    .private_segment_fixed_size: 0
    .sgpr_count:     4
    .sgpr_spill_count: 0
    .symbol:         _ZN7rocprim17ROCPRIM_400000_NS6detail17trampoline_kernelINS0_14default_configENS1_20scan_config_selectorIsEEZZNS1_9scan_implILNS1_25lookback_scan_determinismE0ELb1ELb1ES3_N6thrust23THRUST_200600_302600_NS6detail15normal_iteratorINS9_10device_ptrIsEEEESE_s11max_functorIsEsEEDaPvRmT3_T4_T5_mT6_P12ihipStream_tbENKUlT_T0_E_clISt17integral_constantIbLb0EESU_EEDaSP_SQ_EUlSP_E0_NS1_11comp_targetILNS1_3genE9ELNS1_11target_archE1100ELNS1_3gpuE3ELNS1_3repE0EEENS1_30default_config_static_selectorELNS0_4arch9wavefront6targetE1EEEvT1_.kd
    .uniform_work_group_size: 1
    .uses_dynamic_stack: false
    .vgpr_count:     0
    .vgpr_spill_count: 0
    .wavefront_size: 64
  - .agpr_count:     0
    .args:
      - .offset:         0
        .size:           32
        .value_kind:     by_value
    .group_segment_fixed_size: 0
    .kernarg_segment_align: 8
    .kernarg_segment_size: 32
    .language:       OpenCL C
    .language_version:
      - 2
      - 0
    .max_flat_workgroup_size: 64
    .name:           _ZN7rocprim17ROCPRIM_400000_NS6detail17trampoline_kernelINS0_14default_configENS1_20scan_config_selectorIsEEZZNS1_9scan_implILNS1_25lookback_scan_determinismE0ELb1ELb1ES3_N6thrust23THRUST_200600_302600_NS6detail15normal_iteratorINS9_10device_ptrIsEEEESE_s11max_functorIsEsEEDaPvRmT3_T4_T5_mT6_P12ihipStream_tbENKUlT_T0_E_clISt17integral_constantIbLb0EESU_EEDaSP_SQ_EUlSP_E0_NS1_11comp_targetILNS1_3genE8ELNS1_11target_archE1030ELNS1_3gpuE2ELNS1_3repE0EEENS1_30default_config_static_selectorELNS0_4arch9wavefront6targetE1EEEvT1_
    .private_segment_fixed_size: 0
    .sgpr_count:     4
    .sgpr_spill_count: 0
    .symbol:         _ZN7rocprim17ROCPRIM_400000_NS6detail17trampoline_kernelINS0_14default_configENS1_20scan_config_selectorIsEEZZNS1_9scan_implILNS1_25lookback_scan_determinismE0ELb1ELb1ES3_N6thrust23THRUST_200600_302600_NS6detail15normal_iteratorINS9_10device_ptrIsEEEESE_s11max_functorIsEsEEDaPvRmT3_T4_T5_mT6_P12ihipStream_tbENKUlT_T0_E_clISt17integral_constantIbLb0EESU_EEDaSP_SQ_EUlSP_E0_NS1_11comp_targetILNS1_3genE8ELNS1_11target_archE1030ELNS1_3gpuE2ELNS1_3repE0EEENS1_30default_config_static_selectorELNS0_4arch9wavefront6targetE1EEEvT1_.kd
    .uniform_work_group_size: 1
    .uses_dynamic_stack: false
    .vgpr_count:     0
    .vgpr_spill_count: 0
    .wavefront_size: 64
  - .agpr_count:     0
    .args:
      - .offset:         0
        .size:           96
        .value_kind:     by_value
    .group_segment_fixed_size: 0
    .kernarg_segment_align: 8
    .kernarg_segment_size: 96
    .language:       OpenCL C
    .language_version:
      - 2
      - 0
    .max_flat_workgroup_size: 128
    .name:           _ZN7rocprim17ROCPRIM_400000_NS6detail17trampoline_kernelINS0_14default_configENS1_20scan_config_selectorIsEEZZNS1_9scan_implILNS1_25lookback_scan_determinismE0ELb1ELb1ES3_N6thrust23THRUST_200600_302600_NS6detail15normal_iteratorINS9_10device_ptrIsEEEESE_s11max_functorIsEsEEDaPvRmT3_T4_T5_mT6_P12ihipStream_tbENKUlT_T0_E_clISt17integral_constantIbLb1EESU_EEDaSP_SQ_EUlSP_E_NS1_11comp_targetILNS1_3genE0ELNS1_11target_archE4294967295ELNS1_3gpuE0ELNS1_3repE0EEENS1_30default_config_static_selectorELNS0_4arch9wavefront6targetE1EEEvT1_
    .private_segment_fixed_size: 0
    .sgpr_count:     4
    .sgpr_spill_count: 0
    .symbol:         _ZN7rocprim17ROCPRIM_400000_NS6detail17trampoline_kernelINS0_14default_configENS1_20scan_config_selectorIsEEZZNS1_9scan_implILNS1_25lookback_scan_determinismE0ELb1ELb1ES3_N6thrust23THRUST_200600_302600_NS6detail15normal_iteratorINS9_10device_ptrIsEEEESE_s11max_functorIsEsEEDaPvRmT3_T4_T5_mT6_P12ihipStream_tbENKUlT_T0_E_clISt17integral_constantIbLb1EESU_EEDaSP_SQ_EUlSP_E_NS1_11comp_targetILNS1_3genE0ELNS1_11target_archE4294967295ELNS1_3gpuE0ELNS1_3repE0EEENS1_30default_config_static_selectorELNS0_4arch9wavefront6targetE1EEEvT1_.kd
    .uniform_work_group_size: 1
    .uses_dynamic_stack: false
    .vgpr_count:     0
    .vgpr_spill_count: 0
    .wavefront_size: 64
  - .agpr_count:     0
    .args:
      - .offset:         0
        .size:           96
        .value_kind:     by_value
    .group_segment_fixed_size: 0
    .kernarg_segment_align: 8
    .kernarg_segment_size: 96
    .language:       OpenCL C
    .language_version:
      - 2
      - 0
    .max_flat_workgroup_size: 256
    .name:           _ZN7rocprim17ROCPRIM_400000_NS6detail17trampoline_kernelINS0_14default_configENS1_20scan_config_selectorIsEEZZNS1_9scan_implILNS1_25lookback_scan_determinismE0ELb1ELb1ES3_N6thrust23THRUST_200600_302600_NS6detail15normal_iteratorINS9_10device_ptrIsEEEESE_s11max_functorIsEsEEDaPvRmT3_T4_T5_mT6_P12ihipStream_tbENKUlT_T0_E_clISt17integral_constantIbLb1EESU_EEDaSP_SQ_EUlSP_E_NS1_11comp_targetILNS1_3genE5ELNS1_11target_archE942ELNS1_3gpuE9ELNS1_3repE0EEENS1_30default_config_static_selectorELNS0_4arch9wavefront6targetE1EEEvT1_
    .private_segment_fixed_size: 0
    .sgpr_count:     4
    .sgpr_spill_count: 0
    .symbol:         _ZN7rocprim17ROCPRIM_400000_NS6detail17trampoline_kernelINS0_14default_configENS1_20scan_config_selectorIsEEZZNS1_9scan_implILNS1_25lookback_scan_determinismE0ELb1ELb1ES3_N6thrust23THRUST_200600_302600_NS6detail15normal_iteratorINS9_10device_ptrIsEEEESE_s11max_functorIsEsEEDaPvRmT3_T4_T5_mT6_P12ihipStream_tbENKUlT_T0_E_clISt17integral_constantIbLb1EESU_EEDaSP_SQ_EUlSP_E_NS1_11comp_targetILNS1_3genE5ELNS1_11target_archE942ELNS1_3gpuE9ELNS1_3repE0EEENS1_30default_config_static_selectorELNS0_4arch9wavefront6targetE1EEEvT1_.kd
    .uniform_work_group_size: 1
    .uses_dynamic_stack: false
    .vgpr_count:     0
    .vgpr_spill_count: 0
    .wavefront_size: 64
  - .agpr_count:     0
    .args:
      - .offset:         0
        .size:           96
        .value_kind:     by_value
    .group_segment_fixed_size: 3072
    .kernarg_segment_align: 8
    .kernarg_segment_size: 96
    .language:       OpenCL C
    .language_version:
      - 2
      - 0
    .max_flat_workgroup_size: 64
    .name:           _ZN7rocprim17ROCPRIM_400000_NS6detail17trampoline_kernelINS0_14default_configENS1_20scan_config_selectorIsEEZZNS1_9scan_implILNS1_25lookback_scan_determinismE0ELb1ELb1ES3_N6thrust23THRUST_200600_302600_NS6detail15normal_iteratorINS9_10device_ptrIsEEEESE_s11max_functorIsEsEEDaPvRmT3_T4_T5_mT6_P12ihipStream_tbENKUlT_T0_E_clISt17integral_constantIbLb1EESU_EEDaSP_SQ_EUlSP_E_NS1_11comp_targetILNS1_3genE4ELNS1_11target_archE910ELNS1_3gpuE8ELNS1_3repE0EEENS1_30default_config_static_selectorELNS0_4arch9wavefront6targetE1EEEvT1_
    .private_segment_fixed_size: 0
    .sgpr_count:     43
    .sgpr_spill_count: 0
    .symbol:         _ZN7rocprim17ROCPRIM_400000_NS6detail17trampoline_kernelINS0_14default_configENS1_20scan_config_selectorIsEEZZNS1_9scan_implILNS1_25lookback_scan_determinismE0ELb1ELb1ES3_N6thrust23THRUST_200600_302600_NS6detail15normal_iteratorINS9_10device_ptrIsEEEESE_s11max_functorIsEsEEDaPvRmT3_T4_T5_mT6_P12ihipStream_tbENKUlT_T0_E_clISt17integral_constantIbLb1EESU_EEDaSP_SQ_EUlSP_E_NS1_11comp_targetILNS1_3genE4ELNS1_11target_archE910ELNS1_3gpuE8ELNS1_3repE0EEENS1_30default_config_static_selectorELNS0_4arch9wavefront6targetE1EEEvT1_.kd
    .uniform_work_group_size: 1
    .uses_dynamic_stack: false
    .vgpr_count:     58
    .vgpr_spill_count: 0
    .wavefront_size: 64
  - .agpr_count:     0
    .args:
      - .offset:         0
        .size:           96
        .value_kind:     by_value
    .group_segment_fixed_size: 0
    .kernarg_segment_align: 8
    .kernarg_segment_size: 96
    .language:       OpenCL C
    .language_version:
      - 2
      - 0
    .max_flat_workgroup_size: 128
    .name:           _ZN7rocprim17ROCPRIM_400000_NS6detail17trampoline_kernelINS0_14default_configENS1_20scan_config_selectorIsEEZZNS1_9scan_implILNS1_25lookback_scan_determinismE0ELb1ELb1ES3_N6thrust23THRUST_200600_302600_NS6detail15normal_iteratorINS9_10device_ptrIsEEEESE_s11max_functorIsEsEEDaPvRmT3_T4_T5_mT6_P12ihipStream_tbENKUlT_T0_E_clISt17integral_constantIbLb1EESU_EEDaSP_SQ_EUlSP_E_NS1_11comp_targetILNS1_3genE3ELNS1_11target_archE908ELNS1_3gpuE7ELNS1_3repE0EEENS1_30default_config_static_selectorELNS0_4arch9wavefront6targetE1EEEvT1_
    .private_segment_fixed_size: 0
    .sgpr_count:     4
    .sgpr_spill_count: 0
    .symbol:         _ZN7rocprim17ROCPRIM_400000_NS6detail17trampoline_kernelINS0_14default_configENS1_20scan_config_selectorIsEEZZNS1_9scan_implILNS1_25lookback_scan_determinismE0ELb1ELb1ES3_N6thrust23THRUST_200600_302600_NS6detail15normal_iteratorINS9_10device_ptrIsEEEESE_s11max_functorIsEsEEDaPvRmT3_T4_T5_mT6_P12ihipStream_tbENKUlT_T0_E_clISt17integral_constantIbLb1EESU_EEDaSP_SQ_EUlSP_E_NS1_11comp_targetILNS1_3genE3ELNS1_11target_archE908ELNS1_3gpuE7ELNS1_3repE0EEENS1_30default_config_static_selectorELNS0_4arch9wavefront6targetE1EEEvT1_.kd
    .uniform_work_group_size: 1
    .uses_dynamic_stack: false
    .vgpr_count:     0
    .vgpr_spill_count: 0
    .wavefront_size: 64
  - .agpr_count:     0
    .args:
      - .offset:         0
        .size:           96
        .value_kind:     by_value
    .group_segment_fixed_size: 0
    .kernarg_segment_align: 8
    .kernarg_segment_size: 96
    .language:       OpenCL C
    .language_version:
      - 2
      - 0
    .max_flat_workgroup_size: 256
    .name:           _ZN7rocprim17ROCPRIM_400000_NS6detail17trampoline_kernelINS0_14default_configENS1_20scan_config_selectorIsEEZZNS1_9scan_implILNS1_25lookback_scan_determinismE0ELb1ELb1ES3_N6thrust23THRUST_200600_302600_NS6detail15normal_iteratorINS9_10device_ptrIsEEEESE_s11max_functorIsEsEEDaPvRmT3_T4_T5_mT6_P12ihipStream_tbENKUlT_T0_E_clISt17integral_constantIbLb1EESU_EEDaSP_SQ_EUlSP_E_NS1_11comp_targetILNS1_3genE2ELNS1_11target_archE906ELNS1_3gpuE6ELNS1_3repE0EEENS1_30default_config_static_selectorELNS0_4arch9wavefront6targetE1EEEvT1_
    .private_segment_fixed_size: 0
    .sgpr_count:     4
    .sgpr_spill_count: 0
    .symbol:         _ZN7rocprim17ROCPRIM_400000_NS6detail17trampoline_kernelINS0_14default_configENS1_20scan_config_selectorIsEEZZNS1_9scan_implILNS1_25lookback_scan_determinismE0ELb1ELb1ES3_N6thrust23THRUST_200600_302600_NS6detail15normal_iteratorINS9_10device_ptrIsEEEESE_s11max_functorIsEsEEDaPvRmT3_T4_T5_mT6_P12ihipStream_tbENKUlT_T0_E_clISt17integral_constantIbLb1EESU_EEDaSP_SQ_EUlSP_E_NS1_11comp_targetILNS1_3genE2ELNS1_11target_archE906ELNS1_3gpuE6ELNS1_3repE0EEENS1_30default_config_static_selectorELNS0_4arch9wavefront6targetE1EEEvT1_.kd
    .uniform_work_group_size: 1
    .uses_dynamic_stack: false
    .vgpr_count:     0
    .vgpr_spill_count: 0
    .wavefront_size: 64
  - .agpr_count:     0
    .args:
      - .offset:         0
        .size:           96
        .value_kind:     by_value
    .group_segment_fixed_size: 0
    .kernarg_segment_align: 8
    .kernarg_segment_size: 96
    .language:       OpenCL C
    .language_version:
      - 2
      - 0
    .max_flat_workgroup_size: 256
    .name:           _ZN7rocprim17ROCPRIM_400000_NS6detail17trampoline_kernelINS0_14default_configENS1_20scan_config_selectorIsEEZZNS1_9scan_implILNS1_25lookback_scan_determinismE0ELb1ELb1ES3_N6thrust23THRUST_200600_302600_NS6detail15normal_iteratorINS9_10device_ptrIsEEEESE_s11max_functorIsEsEEDaPvRmT3_T4_T5_mT6_P12ihipStream_tbENKUlT_T0_E_clISt17integral_constantIbLb1EESU_EEDaSP_SQ_EUlSP_E_NS1_11comp_targetILNS1_3genE10ELNS1_11target_archE1201ELNS1_3gpuE5ELNS1_3repE0EEENS1_30default_config_static_selectorELNS0_4arch9wavefront6targetE1EEEvT1_
    .private_segment_fixed_size: 0
    .sgpr_count:     4
    .sgpr_spill_count: 0
    .symbol:         _ZN7rocprim17ROCPRIM_400000_NS6detail17trampoline_kernelINS0_14default_configENS1_20scan_config_selectorIsEEZZNS1_9scan_implILNS1_25lookback_scan_determinismE0ELb1ELb1ES3_N6thrust23THRUST_200600_302600_NS6detail15normal_iteratorINS9_10device_ptrIsEEEESE_s11max_functorIsEsEEDaPvRmT3_T4_T5_mT6_P12ihipStream_tbENKUlT_T0_E_clISt17integral_constantIbLb1EESU_EEDaSP_SQ_EUlSP_E_NS1_11comp_targetILNS1_3genE10ELNS1_11target_archE1201ELNS1_3gpuE5ELNS1_3repE0EEENS1_30default_config_static_selectorELNS0_4arch9wavefront6targetE1EEEvT1_.kd
    .uniform_work_group_size: 1
    .uses_dynamic_stack: false
    .vgpr_count:     0
    .vgpr_spill_count: 0
    .wavefront_size: 64
  - .agpr_count:     0
    .args:
      - .offset:         0
        .size:           96
        .value_kind:     by_value
    .group_segment_fixed_size: 0
    .kernarg_segment_align: 8
    .kernarg_segment_size: 96
    .language:       OpenCL C
    .language_version:
      - 2
      - 0
    .max_flat_workgroup_size: 256
    .name:           _ZN7rocprim17ROCPRIM_400000_NS6detail17trampoline_kernelINS0_14default_configENS1_20scan_config_selectorIsEEZZNS1_9scan_implILNS1_25lookback_scan_determinismE0ELb1ELb1ES3_N6thrust23THRUST_200600_302600_NS6detail15normal_iteratorINS9_10device_ptrIsEEEESE_s11max_functorIsEsEEDaPvRmT3_T4_T5_mT6_P12ihipStream_tbENKUlT_T0_E_clISt17integral_constantIbLb1EESU_EEDaSP_SQ_EUlSP_E_NS1_11comp_targetILNS1_3genE10ELNS1_11target_archE1200ELNS1_3gpuE4ELNS1_3repE0EEENS1_30default_config_static_selectorELNS0_4arch9wavefront6targetE1EEEvT1_
    .private_segment_fixed_size: 0
    .sgpr_count:     4
    .sgpr_spill_count: 0
    .symbol:         _ZN7rocprim17ROCPRIM_400000_NS6detail17trampoline_kernelINS0_14default_configENS1_20scan_config_selectorIsEEZZNS1_9scan_implILNS1_25lookback_scan_determinismE0ELb1ELb1ES3_N6thrust23THRUST_200600_302600_NS6detail15normal_iteratorINS9_10device_ptrIsEEEESE_s11max_functorIsEsEEDaPvRmT3_T4_T5_mT6_P12ihipStream_tbENKUlT_T0_E_clISt17integral_constantIbLb1EESU_EEDaSP_SQ_EUlSP_E_NS1_11comp_targetILNS1_3genE10ELNS1_11target_archE1200ELNS1_3gpuE4ELNS1_3repE0EEENS1_30default_config_static_selectorELNS0_4arch9wavefront6targetE1EEEvT1_.kd
    .uniform_work_group_size: 1
    .uses_dynamic_stack: false
    .vgpr_count:     0
    .vgpr_spill_count: 0
    .wavefront_size: 64
  - .agpr_count:     0
    .args:
      - .offset:         0
        .size:           96
        .value_kind:     by_value
    .group_segment_fixed_size: 0
    .kernarg_segment_align: 8
    .kernarg_segment_size: 96
    .language:       OpenCL C
    .language_version:
      - 2
      - 0
    .max_flat_workgroup_size: 64
    .name:           _ZN7rocprim17ROCPRIM_400000_NS6detail17trampoline_kernelINS0_14default_configENS1_20scan_config_selectorIsEEZZNS1_9scan_implILNS1_25lookback_scan_determinismE0ELb1ELb1ES3_N6thrust23THRUST_200600_302600_NS6detail15normal_iteratorINS9_10device_ptrIsEEEESE_s11max_functorIsEsEEDaPvRmT3_T4_T5_mT6_P12ihipStream_tbENKUlT_T0_E_clISt17integral_constantIbLb1EESU_EEDaSP_SQ_EUlSP_E_NS1_11comp_targetILNS1_3genE9ELNS1_11target_archE1100ELNS1_3gpuE3ELNS1_3repE0EEENS1_30default_config_static_selectorELNS0_4arch9wavefront6targetE1EEEvT1_
    .private_segment_fixed_size: 0
    .sgpr_count:     4
    .sgpr_spill_count: 0
    .symbol:         _ZN7rocprim17ROCPRIM_400000_NS6detail17trampoline_kernelINS0_14default_configENS1_20scan_config_selectorIsEEZZNS1_9scan_implILNS1_25lookback_scan_determinismE0ELb1ELb1ES3_N6thrust23THRUST_200600_302600_NS6detail15normal_iteratorINS9_10device_ptrIsEEEESE_s11max_functorIsEsEEDaPvRmT3_T4_T5_mT6_P12ihipStream_tbENKUlT_T0_E_clISt17integral_constantIbLb1EESU_EEDaSP_SQ_EUlSP_E_NS1_11comp_targetILNS1_3genE9ELNS1_11target_archE1100ELNS1_3gpuE3ELNS1_3repE0EEENS1_30default_config_static_selectorELNS0_4arch9wavefront6targetE1EEEvT1_.kd
    .uniform_work_group_size: 1
    .uses_dynamic_stack: false
    .vgpr_count:     0
    .vgpr_spill_count: 0
    .wavefront_size: 64
  - .agpr_count:     0
    .args:
      - .offset:         0
        .size:           96
        .value_kind:     by_value
    .group_segment_fixed_size: 0
    .kernarg_segment_align: 8
    .kernarg_segment_size: 96
    .language:       OpenCL C
    .language_version:
      - 2
      - 0
    .max_flat_workgroup_size: 64
    .name:           _ZN7rocprim17ROCPRIM_400000_NS6detail17trampoline_kernelINS0_14default_configENS1_20scan_config_selectorIsEEZZNS1_9scan_implILNS1_25lookback_scan_determinismE0ELb1ELb1ES3_N6thrust23THRUST_200600_302600_NS6detail15normal_iteratorINS9_10device_ptrIsEEEESE_s11max_functorIsEsEEDaPvRmT3_T4_T5_mT6_P12ihipStream_tbENKUlT_T0_E_clISt17integral_constantIbLb1EESU_EEDaSP_SQ_EUlSP_E_NS1_11comp_targetILNS1_3genE8ELNS1_11target_archE1030ELNS1_3gpuE2ELNS1_3repE0EEENS1_30default_config_static_selectorELNS0_4arch9wavefront6targetE1EEEvT1_
    .private_segment_fixed_size: 0
    .sgpr_count:     4
    .sgpr_spill_count: 0
    .symbol:         _ZN7rocprim17ROCPRIM_400000_NS6detail17trampoline_kernelINS0_14default_configENS1_20scan_config_selectorIsEEZZNS1_9scan_implILNS1_25lookback_scan_determinismE0ELb1ELb1ES3_N6thrust23THRUST_200600_302600_NS6detail15normal_iteratorINS9_10device_ptrIsEEEESE_s11max_functorIsEsEEDaPvRmT3_T4_T5_mT6_P12ihipStream_tbENKUlT_T0_E_clISt17integral_constantIbLb1EESU_EEDaSP_SQ_EUlSP_E_NS1_11comp_targetILNS1_3genE8ELNS1_11target_archE1030ELNS1_3gpuE2ELNS1_3repE0EEENS1_30default_config_static_selectorELNS0_4arch9wavefront6targetE1EEEvT1_.kd
    .uniform_work_group_size: 1
    .uses_dynamic_stack: false
    .vgpr_count:     0
    .vgpr_spill_count: 0
    .wavefront_size: 64
  - .agpr_count:     0
    .args:
      - .offset:         0
        .size:           32
        .value_kind:     by_value
    .group_segment_fixed_size: 0
    .kernarg_segment_align: 8
    .kernarg_segment_size: 32
    .language:       OpenCL C
    .language_version:
      - 2
      - 0
    .max_flat_workgroup_size: 128
    .name:           _ZN7rocprim17ROCPRIM_400000_NS6detail17trampoline_kernelINS0_14default_configENS1_20scan_config_selectorIsEEZZNS1_9scan_implILNS1_25lookback_scan_determinismE0ELb1ELb1ES3_N6thrust23THRUST_200600_302600_NS6detail15normal_iteratorINS9_10device_ptrIsEEEESE_s11max_functorIsEsEEDaPvRmT3_T4_T5_mT6_P12ihipStream_tbENKUlT_T0_E_clISt17integral_constantIbLb1EESU_EEDaSP_SQ_EUlSP_E0_NS1_11comp_targetILNS1_3genE0ELNS1_11target_archE4294967295ELNS1_3gpuE0ELNS1_3repE0EEENS1_30default_config_static_selectorELNS0_4arch9wavefront6targetE1EEEvT1_
    .private_segment_fixed_size: 0
    .sgpr_count:     4
    .sgpr_spill_count: 0
    .symbol:         _ZN7rocprim17ROCPRIM_400000_NS6detail17trampoline_kernelINS0_14default_configENS1_20scan_config_selectorIsEEZZNS1_9scan_implILNS1_25lookback_scan_determinismE0ELb1ELb1ES3_N6thrust23THRUST_200600_302600_NS6detail15normal_iteratorINS9_10device_ptrIsEEEESE_s11max_functorIsEsEEDaPvRmT3_T4_T5_mT6_P12ihipStream_tbENKUlT_T0_E_clISt17integral_constantIbLb1EESU_EEDaSP_SQ_EUlSP_E0_NS1_11comp_targetILNS1_3genE0ELNS1_11target_archE4294967295ELNS1_3gpuE0ELNS1_3repE0EEENS1_30default_config_static_selectorELNS0_4arch9wavefront6targetE1EEEvT1_.kd
    .uniform_work_group_size: 1
    .uses_dynamic_stack: false
    .vgpr_count:     0
    .vgpr_spill_count: 0
    .wavefront_size: 64
  - .agpr_count:     0
    .args:
      - .offset:         0
        .size:           32
        .value_kind:     by_value
    .group_segment_fixed_size: 0
    .kernarg_segment_align: 8
    .kernarg_segment_size: 32
    .language:       OpenCL C
    .language_version:
      - 2
      - 0
    .max_flat_workgroup_size: 256
    .name:           _ZN7rocprim17ROCPRIM_400000_NS6detail17trampoline_kernelINS0_14default_configENS1_20scan_config_selectorIsEEZZNS1_9scan_implILNS1_25lookback_scan_determinismE0ELb1ELb1ES3_N6thrust23THRUST_200600_302600_NS6detail15normal_iteratorINS9_10device_ptrIsEEEESE_s11max_functorIsEsEEDaPvRmT3_T4_T5_mT6_P12ihipStream_tbENKUlT_T0_E_clISt17integral_constantIbLb1EESU_EEDaSP_SQ_EUlSP_E0_NS1_11comp_targetILNS1_3genE5ELNS1_11target_archE942ELNS1_3gpuE9ELNS1_3repE0EEENS1_30default_config_static_selectorELNS0_4arch9wavefront6targetE1EEEvT1_
    .private_segment_fixed_size: 0
    .sgpr_count:     4
    .sgpr_spill_count: 0
    .symbol:         _ZN7rocprim17ROCPRIM_400000_NS6detail17trampoline_kernelINS0_14default_configENS1_20scan_config_selectorIsEEZZNS1_9scan_implILNS1_25lookback_scan_determinismE0ELb1ELb1ES3_N6thrust23THRUST_200600_302600_NS6detail15normal_iteratorINS9_10device_ptrIsEEEESE_s11max_functorIsEsEEDaPvRmT3_T4_T5_mT6_P12ihipStream_tbENKUlT_T0_E_clISt17integral_constantIbLb1EESU_EEDaSP_SQ_EUlSP_E0_NS1_11comp_targetILNS1_3genE5ELNS1_11target_archE942ELNS1_3gpuE9ELNS1_3repE0EEENS1_30default_config_static_selectorELNS0_4arch9wavefront6targetE1EEEvT1_.kd
    .uniform_work_group_size: 1
    .uses_dynamic_stack: false
    .vgpr_count:     0
    .vgpr_spill_count: 0
    .wavefront_size: 64
  - .agpr_count:     0
    .args:
      - .offset:         0
        .size:           32
        .value_kind:     by_value
    .group_segment_fixed_size: 3072
    .kernarg_segment_align: 8
    .kernarg_segment_size: 32
    .language:       OpenCL C
    .language_version:
      - 2
      - 0
    .max_flat_workgroup_size: 64
    .name:           _ZN7rocprim17ROCPRIM_400000_NS6detail17trampoline_kernelINS0_14default_configENS1_20scan_config_selectorIsEEZZNS1_9scan_implILNS1_25lookback_scan_determinismE0ELb1ELb1ES3_N6thrust23THRUST_200600_302600_NS6detail15normal_iteratorINS9_10device_ptrIsEEEESE_s11max_functorIsEsEEDaPvRmT3_T4_T5_mT6_P12ihipStream_tbENKUlT_T0_E_clISt17integral_constantIbLb1EESU_EEDaSP_SQ_EUlSP_E0_NS1_11comp_targetILNS1_3genE4ELNS1_11target_archE910ELNS1_3gpuE8ELNS1_3repE0EEENS1_30default_config_static_selectorELNS0_4arch9wavefront6targetE1EEEvT1_
    .private_segment_fixed_size: 0
    .sgpr_count:     60
    .sgpr_spill_count: 0
    .symbol:         _ZN7rocprim17ROCPRIM_400000_NS6detail17trampoline_kernelINS0_14default_configENS1_20scan_config_selectorIsEEZZNS1_9scan_implILNS1_25lookback_scan_determinismE0ELb1ELb1ES3_N6thrust23THRUST_200600_302600_NS6detail15normal_iteratorINS9_10device_ptrIsEEEESE_s11max_functorIsEsEEDaPvRmT3_T4_T5_mT6_P12ihipStream_tbENKUlT_T0_E_clISt17integral_constantIbLb1EESU_EEDaSP_SQ_EUlSP_E0_NS1_11comp_targetILNS1_3genE4ELNS1_11target_archE910ELNS1_3gpuE8ELNS1_3repE0EEENS1_30default_config_static_selectorELNS0_4arch9wavefront6targetE1EEEvT1_.kd
    .uniform_work_group_size: 1
    .uses_dynamic_stack: false
    .vgpr_count:     32
    .vgpr_spill_count: 0
    .wavefront_size: 64
  - .agpr_count:     0
    .args:
      - .offset:         0
        .size:           32
        .value_kind:     by_value
    .group_segment_fixed_size: 0
    .kernarg_segment_align: 8
    .kernarg_segment_size: 32
    .language:       OpenCL C
    .language_version:
      - 2
      - 0
    .max_flat_workgroup_size: 128
    .name:           _ZN7rocprim17ROCPRIM_400000_NS6detail17trampoline_kernelINS0_14default_configENS1_20scan_config_selectorIsEEZZNS1_9scan_implILNS1_25lookback_scan_determinismE0ELb1ELb1ES3_N6thrust23THRUST_200600_302600_NS6detail15normal_iteratorINS9_10device_ptrIsEEEESE_s11max_functorIsEsEEDaPvRmT3_T4_T5_mT6_P12ihipStream_tbENKUlT_T0_E_clISt17integral_constantIbLb1EESU_EEDaSP_SQ_EUlSP_E0_NS1_11comp_targetILNS1_3genE3ELNS1_11target_archE908ELNS1_3gpuE7ELNS1_3repE0EEENS1_30default_config_static_selectorELNS0_4arch9wavefront6targetE1EEEvT1_
    .private_segment_fixed_size: 0
    .sgpr_count:     4
    .sgpr_spill_count: 0
    .symbol:         _ZN7rocprim17ROCPRIM_400000_NS6detail17trampoline_kernelINS0_14default_configENS1_20scan_config_selectorIsEEZZNS1_9scan_implILNS1_25lookback_scan_determinismE0ELb1ELb1ES3_N6thrust23THRUST_200600_302600_NS6detail15normal_iteratorINS9_10device_ptrIsEEEESE_s11max_functorIsEsEEDaPvRmT3_T4_T5_mT6_P12ihipStream_tbENKUlT_T0_E_clISt17integral_constantIbLb1EESU_EEDaSP_SQ_EUlSP_E0_NS1_11comp_targetILNS1_3genE3ELNS1_11target_archE908ELNS1_3gpuE7ELNS1_3repE0EEENS1_30default_config_static_selectorELNS0_4arch9wavefront6targetE1EEEvT1_.kd
    .uniform_work_group_size: 1
    .uses_dynamic_stack: false
    .vgpr_count:     0
    .vgpr_spill_count: 0
    .wavefront_size: 64
  - .agpr_count:     0
    .args:
      - .offset:         0
        .size:           32
        .value_kind:     by_value
    .group_segment_fixed_size: 0
    .kernarg_segment_align: 8
    .kernarg_segment_size: 32
    .language:       OpenCL C
    .language_version:
      - 2
      - 0
    .max_flat_workgroup_size: 256
    .name:           _ZN7rocprim17ROCPRIM_400000_NS6detail17trampoline_kernelINS0_14default_configENS1_20scan_config_selectorIsEEZZNS1_9scan_implILNS1_25lookback_scan_determinismE0ELb1ELb1ES3_N6thrust23THRUST_200600_302600_NS6detail15normal_iteratorINS9_10device_ptrIsEEEESE_s11max_functorIsEsEEDaPvRmT3_T4_T5_mT6_P12ihipStream_tbENKUlT_T0_E_clISt17integral_constantIbLb1EESU_EEDaSP_SQ_EUlSP_E0_NS1_11comp_targetILNS1_3genE2ELNS1_11target_archE906ELNS1_3gpuE6ELNS1_3repE0EEENS1_30default_config_static_selectorELNS0_4arch9wavefront6targetE1EEEvT1_
    .private_segment_fixed_size: 0
    .sgpr_count:     4
    .sgpr_spill_count: 0
    .symbol:         _ZN7rocprim17ROCPRIM_400000_NS6detail17trampoline_kernelINS0_14default_configENS1_20scan_config_selectorIsEEZZNS1_9scan_implILNS1_25lookback_scan_determinismE0ELb1ELb1ES3_N6thrust23THRUST_200600_302600_NS6detail15normal_iteratorINS9_10device_ptrIsEEEESE_s11max_functorIsEsEEDaPvRmT3_T4_T5_mT6_P12ihipStream_tbENKUlT_T0_E_clISt17integral_constantIbLb1EESU_EEDaSP_SQ_EUlSP_E0_NS1_11comp_targetILNS1_3genE2ELNS1_11target_archE906ELNS1_3gpuE6ELNS1_3repE0EEENS1_30default_config_static_selectorELNS0_4arch9wavefront6targetE1EEEvT1_.kd
    .uniform_work_group_size: 1
    .uses_dynamic_stack: false
    .vgpr_count:     0
    .vgpr_spill_count: 0
    .wavefront_size: 64
  - .agpr_count:     0
    .args:
      - .offset:         0
        .size:           32
        .value_kind:     by_value
    .group_segment_fixed_size: 0
    .kernarg_segment_align: 8
    .kernarg_segment_size: 32
    .language:       OpenCL C
    .language_version:
      - 2
      - 0
    .max_flat_workgroup_size: 256
    .name:           _ZN7rocprim17ROCPRIM_400000_NS6detail17trampoline_kernelINS0_14default_configENS1_20scan_config_selectorIsEEZZNS1_9scan_implILNS1_25lookback_scan_determinismE0ELb1ELb1ES3_N6thrust23THRUST_200600_302600_NS6detail15normal_iteratorINS9_10device_ptrIsEEEESE_s11max_functorIsEsEEDaPvRmT3_T4_T5_mT6_P12ihipStream_tbENKUlT_T0_E_clISt17integral_constantIbLb1EESU_EEDaSP_SQ_EUlSP_E0_NS1_11comp_targetILNS1_3genE10ELNS1_11target_archE1201ELNS1_3gpuE5ELNS1_3repE0EEENS1_30default_config_static_selectorELNS0_4arch9wavefront6targetE1EEEvT1_
    .private_segment_fixed_size: 0
    .sgpr_count:     4
    .sgpr_spill_count: 0
    .symbol:         _ZN7rocprim17ROCPRIM_400000_NS6detail17trampoline_kernelINS0_14default_configENS1_20scan_config_selectorIsEEZZNS1_9scan_implILNS1_25lookback_scan_determinismE0ELb1ELb1ES3_N6thrust23THRUST_200600_302600_NS6detail15normal_iteratorINS9_10device_ptrIsEEEESE_s11max_functorIsEsEEDaPvRmT3_T4_T5_mT6_P12ihipStream_tbENKUlT_T0_E_clISt17integral_constantIbLb1EESU_EEDaSP_SQ_EUlSP_E0_NS1_11comp_targetILNS1_3genE10ELNS1_11target_archE1201ELNS1_3gpuE5ELNS1_3repE0EEENS1_30default_config_static_selectorELNS0_4arch9wavefront6targetE1EEEvT1_.kd
    .uniform_work_group_size: 1
    .uses_dynamic_stack: false
    .vgpr_count:     0
    .vgpr_spill_count: 0
    .wavefront_size: 64
  - .agpr_count:     0
    .args:
      - .offset:         0
        .size:           32
        .value_kind:     by_value
    .group_segment_fixed_size: 0
    .kernarg_segment_align: 8
    .kernarg_segment_size: 32
    .language:       OpenCL C
    .language_version:
      - 2
      - 0
    .max_flat_workgroup_size: 256
    .name:           _ZN7rocprim17ROCPRIM_400000_NS6detail17trampoline_kernelINS0_14default_configENS1_20scan_config_selectorIsEEZZNS1_9scan_implILNS1_25lookback_scan_determinismE0ELb1ELb1ES3_N6thrust23THRUST_200600_302600_NS6detail15normal_iteratorINS9_10device_ptrIsEEEESE_s11max_functorIsEsEEDaPvRmT3_T4_T5_mT6_P12ihipStream_tbENKUlT_T0_E_clISt17integral_constantIbLb1EESU_EEDaSP_SQ_EUlSP_E0_NS1_11comp_targetILNS1_3genE10ELNS1_11target_archE1200ELNS1_3gpuE4ELNS1_3repE0EEENS1_30default_config_static_selectorELNS0_4arch9wavefront6targetE1EEEvT1_
    .private_segment_fixed_size: 0
    .sgpr_count:     4
    .sgpr_spill_count: 0
    .symbol:         _ZN7rocprim17ROCPRIM_400000_NS6detail17trampoline_kernelINS0_14default_configENS1_20scan_config_selectorIsEEZZNS1_9scan_implILNS1_25lookback_scan_determinismE0ELb1ELb1ES3_N6thrust23THRUST_200600_302600_NS6detail15normal_iteratorINS9_10device_ptrIsEEEESE_s11max_functorIsEsEEDaPvRmT3_T4_T5_mT6_P12ihipStream_tbENKUlT_T0_E_clISt17integral_constantIbLb1EESU_EEDaSP_SQ_EUlSP_E0_NS1_11comp_targetILNS1_3genE10ELNS1_11target_archE1200ELNS1_3gpuE4ELNS1_3repE0EEENS1_30default_config_static_selectorELNS0_4arch9wavefront6targetE1EEEvT1_.kd
    .uniform_work_group_size: 1
    .uses_dynamic_stack: false
    .vgpr_count:     0
    .vgpr_spill_count: 0
    .wavefront_size: 64
  - .agpr_count:     0
    .args:
      - .offset:         0
        .size:           32
        .value_kind:     by_value
    .group_segment_fixed_size: 0
    .kernarg_segment_align: 8
    .kernarg_segment_size: 32
    .language:       OpenCL C
    .language_version:
      - 2
      - 0
    .max_flat_workgroup_size: 64
    .name:           _ZN7rocprim17ROCPRIM_400000_NS6detail17trampoline_kernelINS0_14default_configENS1_20scan_config_selectorIsEEZZNS1_9scan_implILNS1_25lookback_scan_determinismE0ELb1ELb1ES3_N6thrust23THRUST_200600_302600_NS6detail15normal_iteratorINS9_10device_ptrIsEEEESE_s11max_functorIsEsEEDaPvRmT3_T4_T5_mT6_P12ihipStream_tbENKUlT_T0_E_clISt17integral_constantIbLb1EESU_EEDaSP_SQ_EUlSP_E0_NS1_11comp_targetILNS1_3genE9ELNS1_11target_archE1100ELNS1_3gpuE3ELNS1_3repE0EEENS1_30default_config_static_selectorELNS0_4arch9wavefront6targetE1EEEvT1_
    .private_segment_fixed_size: 0
    .sgpr_count:     4
    .sgpr_spill_count: 0
    .symbol:         _ZN7rocprim17ROCPRIM_400000_NS6detail17trampoline_kernelINS0_14default_configENS1_20scan_config_selectorIsEEZZNS1_9scan_implILNS1_25lookback_scan_determinismE0ELb1ELb1ES3_N6thrust23THRUST_200600_302600_NS6detail15normal_iteratorINS9_10device_ptrIsEEEESE_s11max_functorIsEsEEDaPvRmT3_T4_T5_mT6_P12ihipStream_tbENKUlT_T0_E_clISt17integral_constantIbLb1EESU_EEDaSP_SQ_EUlSP_E0_NS1_11comp_targetILNS1_3genE9ELNS1_11target_archE1100ELNS1_3gpuE3ELNS1_3repE0EEENS1_30default_config_static_selectorELNS0_4arch9wavefront6targetE1EEEvT1_.kd
    .uniform_work_group_size: 1
    .uses_dynamic_stack: false
    .vgpr_count:     0
    .vgpr_spill_count: 0
    .wavefront_size: 64
  - .agpr_count:     0
    .args:
      - .offset:         0
        .size:           32
        .value_kind:     by_value
    .group_segment_fixed_size: 0
    .kernarg_segment_align: 8
    .kernarg_segment_size: 32
    .language:       OpenCL C
    .language_version:
      - 2
      - 0
    .max_flat_workgroup_size: 64
    .name:           _ZN7rocprim17ROCPRIM_400000_NS6detail17trampoline_kernelINS0_14default_configENS1_20scan_config_selectorIsEEZZNS1_9scan_implILNS1_25lookback_scan_determinismE0ELb1ELb1ES3_N6thrust23THRUST_200600_302600_NS6detail15normal_iteratorINS9_10device_ptrIsEEEESE_s11max_functorIsEsEEDaPvRmT3_T4_T5_mT6_P12ihipStream_tbENKUlT_T0_E_clISt17integral_constantIbLb1EESU_EEDaSP_SQ_EUlSP_E0_NS1_11comp_targetILNS1_3genE8ELNS1_11target_archE1030ELNS1_3gpuE2ELNS1_3repE0EEENS1_30default_config_static_selectorELNS0_4arch9wavefront6targetE1EEEvT1_
    .private_segment_fixed_size: 0
    .sgpr_count:     4
    .sgpr_spill_count: 0
    .symbol:         _ZN7rocprim17ROCPRIM_400000_NS6detail17trampoline_kernelINS0_14default_configENS1_20scan_config_selectorIsEEZZNS1_9scan_implILNS1_25lookback_scan_determinismE0ELb1ELb1ES3_N6thrust23THRUST_200600_302600_NS6detail15normal_iteratorINS9_10device_ptrIsEEEESE_s11max_functorIsEsEEDaPvRmT3_T4_T5_mT6_P12ihipStream_tbENKUlT_T0_E_clISt17integral_constantIbLb1EESU_EEDaSP_SQ_EUlSP_E0_NS1_11comp_targetILNS1_3genE8ELNS1_11target_archE1030ELNS1_3gpuE2ELNS1_3repE0EEENS1_30default_config_static_selectorELNS0_4arch9wavefront6targetE1EEEvT1_.kd
    .uniform_work_group_size: 1
    .uses_dynamic_stack: false
    .vgpr_count:     0
    .vgpr_spill_count: 0
    .wavefront_size: 64
  - .agpr_count:     0
    .args:
      - .offset:         0
        .size:           96
        .value_kind:     by_value
    .group_segment_fixed_size: 0
    .kernarg_segment_align: 8
    .kernarg_segment_size: 96
    .language:       OpenCL C
    .language_version:
      - 2
      - 0
    .max_flat_workgroup_size: 128
    .name:           _ZN7rocprim17ROCPRIM_400000_NS6detail17trampoline_kernelINS0_14default_configENS1_20scan_config_selectorIsEEZZNS1_9scan_implILNS1_25lookback_scan_determinismE0ELb1ELb1ES3_N6thrust23THRUST_200600_302600_NS6detail15normal_iteratorINS9_10device_ptrIsEEEESE_s11max_functorIsEsEEDaPvRmT3_T4_T5_mT6_P12ihipStream_tbENKUlT_T0_E_clISt17integral_constantIbLb1EEST_IbLb0EEEEDaSP_SQ_EUlSP_E_NS1_11comp_targetILNS1_3genE0ELNS1_11target_archE4294967295ELNS1_3gpuE0ELNS1_3repE0EEENS1_30default_config_static_selectorELNS0_4arch9wavefront6targetE1EEEvT1_
    .private_segment_fixed_size: 0
    .sgpr_count:     4
    .sgpr_spill_count: 0
    .symbol:         _ZN7rocprim17ROCPRIM_400000_NS6detail17trampoline_kernelINS0_14default_configENS1_20scan_config_selectorIsEEZZNS1_9scan_implILNS1_25lookback_scan_determinismE0ELb1ELb1ES3_N6thrust23THRUST_200600_302600_NS6detail15normal_iteratorINS9_10device_ptrIsEEEESE_s11max_functorIsEsEEDaPvRmT3_T4_T5_mT6_P12ihipStream_tbENKUlT_T0_E_clISt17integral_constantIbLb1EEST_IbLb0EEEEDaSP_SQ_EUlSP_E_NS1_11comp_targetILNS1_3genE0ELNS1_11target_archE4294967295ELNS1_3gpuE0ELNS1_3repE0EEENS1_30default_config_static_selectorELNS0_4arch9wavefront6targetE1EEEvT1_.kd
    .uniform_work_group_size: 1
    .uses_dynamic_stack: false
    .vgpr_count:     0
    .vgpr_spill_count: 0
    .wavefront_size: 64
  - .agpr_count:     0
    .args:
      - .offset:         0
        .size:           96
        .value_kind:     by_value
    .group_segment_fixed_size: 0
    .kernarg_segment_align: 8
    .kernarg_segment_size: 96
    .language:       OpenCL C
    .language_version:
      - 2
      - 0
    .max_flat_workgroup_size: 256
    .name:           _ZN7rocprim17ROCPRIM_400000_NS6detail17trampoline_kernelINS0_14default_configENS1_20scan_config_selectorIsEEZZNS1_9scan_implILNS1_25lookback_scan_determinismE0ELb1ELb1ES3_N6thrust23THRUST_200600_302600_NS6detail15normal_iteratorINS9_10device_ptrIsEEEESE_s11max_functorIsEsEEDaPvRmT3_T4_T5_mT6_P12ihipStream_tbENKUlT_T0_E_clISt17integral_constantIbLb1EEST_IbLb0EEEEDaSP_SQ_EUlSP_E_NS1_11comp_targetILNS1_3genE5ELNS1_11target_archE942ELNS1_3gpuE9ELNS1_3repE0EEENS1_30default_config_static_selectorELNS0_4arch9wavefront6targetE1EEEvT1_
    .private_segment_fixed_size: 0
    .sgpr_count:     4
    .sgpr_spill_count: 0
    .symbol:         _ZN7rocprim17ROCPRIM_400000_NS6detail17trampoline_kernelINS0_14default_configENS1_20scan_config_selectorIsEEZZNS1_9scan_implILNS1_25lookback_scan_determinismE0ELb1ELb1ES3_N6thrust23THRUST_200600_302600_NS6detail15normal_iteratorINS9_10device_ptrIsEEEESE_s11max_functorIsEsEEDaPvRmT3_T4_T5_mT6_P12ihipStream_tbENKUlT_T0_E_clISt17integral_constantIbLb1EEST_IbLb0EEEEDaSP_SQ_EUlSP_E_NS1_11comp_targetILNS1_3genE5ELNS1_11target_archE942ELNS1_3gpuE9ELNS1_3repE0EEENS1_30default_config_static_selectorELNS0_4arch9wavefront6targetE1EEEvT1_.kd
    .uniform_work_group_size: 1
    .uses_dynamic_stack: false
    .vgpr_count:     0
    .vgpr_spill_count: 0
    .wavefront_size: 64
  - .agpr_count:     0
    .args:
      - .offset:         0
        .size:           96
        .value_kind:     by_value
    .group_segment_fixed_size: 3072
    .kernarg_segment_align: 8
    .kernarg_segment_size: 96
    .language:       OpenCL C
    .language_version:
      - 2
      - 0
    .max_flat_workgroup_size: 64
    .name:           _ZN7rocprim17ROCPRIM_400000_NS6detail17trampoline_kernelINS0_14default_configENS1_20scan_config_selectorIsEEZZNS1_9scan_implILNS1_25lookback_scan_determinismE0ELb1ELb1ES3_N6thrust23THRUST_200600_302600_NS6detail15normal_iteratorINS9_10device_ptrIsEEEESE_s11max_functorIsEsEEDaPvRmT3_T4_T5_mT6_P12ihipStream_tbENKUlT_T0_E_clISt17integral_constantIbLb1EEST_IbLb0EEEEDaSP_SQ_EUlSP_E_NS1_11comp_targetILNS1_3genE4ELNS1_11target_archE910ELNS1_3gpuE8ELNS1_3repE0EEENS1_30default_config_static_selectorELNS0_4arch9wavefront6targetE1EEEvT1_
    .private_segment_fixed_size: 0
    .sgpr_count:     33
    .sgpr_spill_count: 0
    .symbol:         _ZN7rocprim17ROCPRIM_400000_NS6detail17trampoline_kernelINS0_14default_configENS1_20scan_config_selectorIsEEZZNS1_9scan_implILNS1_25lookback_scan_determinismE0ELb1ELb1ES3_N6thrust23THRUST_200600_302600_NS6detail15normal_iteratorINS9_10device_ptrIsEEEESE_s11max_functorIsEsEEDaPvRmT3_T4_T5_mT6_P12ihipStream_tbENKUlT_T0_E_clISt17integral_constantIbLb1EEST_IbLb0EEEEDaSP_SQ_EUlSP_E_NS1_11comp_targetILNS1_3genE4ELNS1_11target_archE910ELNS1_3gpuE8ELNS1_3repE0EEENS1_30default_config_static_selectorELNS0_4arch9wavefront6targetE1EEEvT1_.kd
    .uniform_work_group_size: 1
    .uses_dynamic_stack: false
    .vgpr_count:     58
    .vgpr_spill_count: 0
    .wavefront_size: 64
  - .agpr_count:     0
    .args:
      - .offset:         0
        .size:           96
        .value_kind:     by_value
    .group_segment_fixed_size: 0
    .kernarg_segment_align: 8
    .kernarg_segment_size: 96
    .language:       OpenCL C
    .language_version:
      - 2
      - 0
    .max_flat_workgroup_size: 128
    .name:           _ZN7rocprim17ROCPRIM_400000_NS6detail17trampoline_kernelINS0_14default_configENS1_20scan_config_selectorIsEEZZNS1_9scan_implILNS1_25lookback_scan_determinismE0ELb1ELb1ES3_N6thrust23THRUST_200600_302600_NS6detail15normal_iteratorINS9_10device_ptrIsEEEESE_s11max_functorIsEsEEDaPvRmT3_T4_T5_mT6_P12ihipStream_tbENKUlT_T0_E_clISt17integral_constantIbLb1EEST_IbLb0EEEEDaSP_SQ_EUlSP_E_NS1_11comp_targetILNS1_3genE3ELNS1_11target_archE908ELNS1_3gpuE7ELNS1_3repE0EEENS1_30default_config_static_selectorELNS0_4arch9wavefront6targetE1EEEvT1_
    .private_segment_fixed_size: 0
    .sgpr_count:     4
    .sgpr_spill_count: 0
    .symbol:         _ZN7rocprim17ROCPRIM_400000_NS6detail17trampoline_kernelINS0_14default_configENS1_20scan_config_selectorIsEEZZNS1_9scan_implILNS1_25lookback_scan_determinismE0ELb1ELb1ES3_N6thrust23THRUST_200600_302600_NS6detail15normal_iteratorINS9_10device_ptrIsEEEESE_s11max_functorIsEsEEDaPvRmT3_T4_T5_mT6_P12ihipStream_tbENKUlT_T0_E_clISt17integral_constantIbLb1EEST_IbLb0EEEEDaSP_SQ_EUlSP_E_NS1_11comp_targetILNS1_3genE3ELNS1_11target_archE908ELNS1_3gpuE7ELNS1_3repE0EEENS1_30default_config_static_selectorELNS0_4arch9wavefront6targetE1EEEvT1_.kd
    .uniform_work_group_size: 1
    .uses_dynamic_stack: false
    .vgpr_count:     0
    .vgpr_spill_count: 0
    .wavefront_size: 64
  - .agpr_count:     0
    .args:
      - .offset:         0
        .size:           96
        .value_kind:     by_value
    .group_segment_fixed_size: 0
    .kernarg_segment_align: 8
    .kernarg_segment_size: 96
    .language:       OpenCL C
    .language_version:
      - 2
      - 0
    .max_flat_workgroup_size: 256
    .name:           _ZN7rocprim17ROCPRIM_400000_NS6detail17trampoline_kernelINS0_14default_configENS1_20scan_config_selectorIsEEZZNS1_9scan_implILNS1_25lookback_scan_determinismE0ELb1ELb1ES3_N6thrust23THRUST_200600_302600_NS6detail15normal_iteratorINS9_10device_ptrIsEEEESE_s11max_functorIsEsEEDaPvRmT3_T4_T5_mT6_P12ihipStream_tbENKUlT_T0_E_clISt17integral_constantIbLb1EEST_IbLb0EEEEDaSP_SQ_EUlSP_E_NS1_11comp_targetILNS1_3genE2ELNS1_11target_archE906ELNS1_3gpuE6ELNS1_3repE0EEENS1_30default_config_static_selectorELNS0_4arch9wavefront6targetE1EEEvT1_
    .private_segment_fixed_size: 0
    .sgpr_count:     4
    .sgpr_spill_count: 0
    .symbol:         _ZN7rocprim17ROCPRIM_400000_NS6detail17trampoline_kernelINS0_14default_configENS1_20scan_config_selectorIsEEZZNS1_9scan_implILNS1_25lookback_scan_determinismE0ELb1ELb1ES3_N6thrust23THRUST_200600_302600_NS6detail15normal_iteratorINS9_10device_ptrIsEEEESE_s11max_functorIsEsEEDaPvRmT3_T4_T5_mT6_P12ihipStream_tbENKUlT_T0_E_clISt17integral_constantIbLb1EEST_IbLb0EEEEDaSP_SQ_EUlSP_E_NS1_11comp_targetILNS1_3genE2ELNS1_11target_archE906ELNS1_3gpuE6ELNS1_3repE0EEENS1_30default_config_static_selectorELNS0_4arch9wavefront6targetE1EEEvT1_.kd
    .uniform_work_group_size: 1
    .uses_dynamic_stack: false
    .vgpr_count:     0
    .vgpr_spill_count: 0
    .wavefront_size: 64
  - .agpr_count:     0
    .args:
      - .offset:         0
        .size:           96
        .value_kind:     by_value
    .group_segment_fixed_size: 0
    .kernarg_segment_align: 8
    .kernarg_segment_size: 96
    .language:       OpenCL C
    .language_version:
      - 2
      - 0
    .max_flat_workgroup_size: 256
    .name:           _ZN7rocprim17ROCPRIM_400000_NS6detail17trampoline_kernelINS0_14default_configENS1_20scan_config_selectorIsEEZZNS1_9scan_implILNS1_25lookback_scan_determinismE0ELb1ELb1ES3_N6thrust23THRUST_200600_302600_NS6detail15normal_iteratorINS9_10device_ptrIsEEEESE_s11max_functorIsEsEEDaPvRmT3_T4_T5_mT6_P12ihipStream_tbENKUlT_T0_E_clISt17integral_constantIbLb1EEST_IbLb0EEEEDaSP_SQ_EUlSP_E_NS1_11comp_targetILNS1_3genE10ELNS1_11target_archE1201ELNS1_3gpuE5ELNS1_3repE0EEENS1_30default_config_static_selectorELNS0_4arch9wavefront6targetE1EEEvT1_
    .private_segment_fixed_size: 0
    .sgpr_count:     4
    .sgpr_spill_count: 0
    .symbol:         _ZN7rocprim17ROCPRIM_400000_NS6detail17trampoline_kernelINS0_14default_configENS1_20scan_config_selectorIsEEZZNS1_9scan_implILNS1_25lookback_scan_determinismE0ELb1ELb1ES3_N6thrust23THRUST_200600_302600_NS6detail15normal_iteratorINS9_10device_ptrIsEEEESE_s11max_functorIsEsEEDaPvRmT3_T4_T5_mT6_P12ihipStream_tbENKUlT_T0_E_clISt17integral_constantIbLb1EEST_IbLb0EEEEDaSP_SQ_EUlSP_E_NS1_11comp_targetILNS1_3genE10ELNS1_11target_archE1201ELNS1_3gpuE5ELNS1_3repE0EEENS1_30default_config_static_selectorELNS0_4arch9wavefront6targetE1EEEvT1_.kd
    .uniform_work_group_size: 1
    .uses_dynamic_stack: false
    .vgpr_count:     0
    .vgpr_spill_count: 0
    .wavefront_size: 64
  - .agpr_count:     0
    .args:
      - .offset:         0
        .size:           96
        .value_kind:     by_value
    .group_segment_fixed_size: 0
    .kernarg_segment_align: 8
    .kernarg_segment_size: 96
    .language:       OpenCL C
    .language_version:
      - 2
      - 0
    .max_flat_workgroup_size: 256
    .name:           _ZN7rocprim17ROCPRIM_400000_NS6detail17trampoline_kernelINS0_14default_configENS1_20scan_config_selectorIsEEZZNS1_9scan_implILNS1_25lookback_scan_determinismE0ELb1ELb1ES3_N6thrust23THRUST_200600_302600_NS6detail15normal_iteratorINS9_10device_ptrIsEEEESE_s11max_functorIsEsEEDaPvRmT3_T4_T5_mT6_P12ihipStream_tbENKUlT_T0_E_clISt17integral_constantIbLb1EEST_IbLb0EEEEDaSP_SQ_EUlSP_E_NS1_11comp_targetILNS1_3genE10ELNS1_11target_archE1200ELNS1_3gpuE4ELNS1_3repE0EEENS1_30default_config_static_selectorELNS0_4arch9wavefront6targetE1EEEvT1_
    .private_segment_fixed_size: 0
    .sgpr_count:     4
    .sgpr_spill_count: 0
    .symbol:         _ZN7rocprim17ROCPRIM_400000_NS6detail17trampoline_kernelINS0_14default_configENS1_20scan_config_selectorIsEEZZNS1_9scan_implILNS1_25lookback_scan_determinismE0ELb1ELb1ES3_N6thrust23THRUST_200600_302600_NS6detail15normal_iteratorINS9_10device_ptrIsEEEESE_s11max_functorIsEsEEDaPvRmT3_T4_T5_mT6_P12ihipStream_tbENKUlT_T0_E_clISt17integral_constantIbLb1EEST_IbLb0EEEEDaSP_SQ_EUlSP_E_NS1_11comp_targetILNS1_3genE10ELNS1_11target_archE1200ELNS1_3gpuE4ELNS1_3repE0EEENS1_30default_config_static_selectorELNS0_4arch9wavefront6targetE1EEEvT1_.kd
    .uniform_work_group_size: 1
    .uses_dynamic_stack: false
    .vgpr_count:     0
    .vgpr_spill_count: 0
    .wavefront_size: 64
  - .agpr_count:     0
    .args:
      - .offset:         0
        .size:           96
        .value_kind:     by_value
    .group_segment_fixed_size: 0
    .kernarg_segment_align: 8
    .kernarg_segment_size: 96
    .language:       OpenCL C
    .language_version:
      - 2
      - 0
    .max_flat_workgroup_size: 64
    .name:           _ZN7rocprim17ROCPRIM_400000_NS6detail17trampoline_kernelINS0_14default_configENS1_20scan_config_selectorIsEEZZNS1_9scan_implILNS1_25lookback_scan_determinismE0ELb1ELb1ES3_N6thrust23THRUST_200600_302600_NS6detail15normal_iteratorINS9_10device_ptrIsEEEESE_s11max_functorIsEsEEDaPvRmT3_T4_T5_mT6_P12ihipStream_tbENKUlT_T0_E_clISt17integral_constantIbLb1EEST_IbLb0EEEEDaSP_SQ_EUlSP_E_NS1_11comp_targetILNS1_3genE9ELNS1_11target_archE1100ELNS1_3gpuE3ELNS1_3repE0EEENS1_30default_config_static_selectorELNS0_4arch9wavefront6targetE1EEEvT1_
    .private_segment_fixed_size: 0
    .sgpr_count:     4
    .sgpr_spill_count: 0
    .symbol:         _ZN7rocprim17ROCPRIM_400000_NS6detail17trampoline_kernelINS0_14default_configENS1_20scan_config_selectorIsEEZZNS1_9scan_implILNS1_25lookback_scan_determinismE0ELb1ELb1ES3_N6thrust23THRUST_200600_302600_NS6detail15normal_iteratorINS9_10device_ptrIsEEEESE_s11max_functorIsEsEEDaPvRmT3_T4_T5_mT6_P12ihipStream_tbENKUlT_T0_E_clISt17integral_constantIbLb1EEST_IbLb0EEEEDaSP_SQ_EUlSP_E_NS1_11comp_targetILNS1_3genE9ELNS1_11target_archE1100ELNS1_3gpuE3ELNS1_3repE0EEENS1_30default_config_static_selectorELNS0_4arch9wavefront6targetE1EEEvT1_.kd
    .uniform_work_group_size: 1
    .uses_dynamic_stack: false
    .vgpr_count:     0
    .vgpr_spill_count: 0
    .wavefront_size: 64
  - .agpr_count:     0
    .args:
      - .offset:         0
        .size:           96
        .value_kind:     by_value
    .group_segment_fixed_size: 0
    .kernarg_segment_align: 8
    .kernarg_segment_size: 96
    .language:       OpenCL C
    .language_version:
      - 2
      - 0
    .max_flat_workgroup_size: 64
    .name:           _ZN7rocprim17ROCPRIM_400000_NS6detail17trampoline_kernelINS0_14default_configENS1_20scan_config_selectorIsEEZZNS1_9scan_implILNS1_25lookback_scan_determinismE0ELb1ELb1ES3_N6thrust23THRUST_200600_302600_NS6detail15normal_iteratorINS9_10device_ptrIsEEEESE_s11max_functorIsEsEEDaPvRmT3_T4_T5_mT6_P12ihipStream_tbENKUlT_T0_E_clISt17integral_constantIbLb1EEST_IbLb0EEEEDaSP_SQ_EUlSP_E_NS1_11comp_targetILNS1_3genE8ELNS1_11target_archE1030ELNS1_3gpuE2ELNS1_3repE0EEENS1_30default_config_static_selectorELNS0_4arch9wavefront6targetE1EEEvT1_
    .private_segment_fixed_size: 0
    .sgpr_count:     4
    .sgpr_spill_count: 0
    .symbol:         _ZN7rocprim17ROCPRIM_400000_NS6detail17trampoline_kernelINS0_14default_configENS1_20scan_config_selectorIsEEZZNS1_9scan_implILNS1_25lookback_scan_determinismE0ELb1ELb1ES3_N6thrust23THRUST_200600_302600_NS6detail15normal_iteratorINS9_10device_ptrIsEEEESE_s11max_functorIsEsEEDaPvRmT3_T4_T5_mT6_P12ihipStream_tbENKUlT_T0_E_clISt17integral_constantIbLb1EEST_IbLb0EEEEDaSP_SQ_EUlSP_E_NS1_11comp_targetILNS1_3genE8ELNS1_11target_archE1030ELNS1_3gpuE2ELNS1_3repE0EEENS1_30default_config_static_selectorELNS0_4arch9wavefront6targetE1EEEvT1_.kd
    .uniform_work_group_size: 1
    .uses_dynamic_stack: false
    .vgpr_count:     0
    .vgpr_spill_count: 0
    .wavefront_size: 64
  - .agpr_count:     0
    .args:
      - .offset:         0
        .size:           32
        .value_kind:     by_value
    .group_segment_fixed_size: 0
    .kernarg_segment_align: 8
    .kernarg_segment_size: 32
    .language:       OpenCL C
    .language_version:
      - 2
      - 0
    .max_flat_workgroup_size: 128
    .name:           _ZN7rocprim17ROCPRIM_400000_NS6detail17trampoline_kernelINS0_14default_configENS1_20scan_config_selectorIsEEZZNS1_9scan_implILNS1_25lookback_scan_determinismE0ELb1ELb1ES3_N6thrust23THRUST_200600_302600_NS6detail15normal_iteratorINS9_10device_ptrIsEEEESE_s11max_functorIsEsEEDaPvRmT3_T4_T5_mT6_P12ihipStream_tbENKUlT_T0_E_clISt17integral_constantIbLb1EEST_IbLb0EEEEDaSP_SQ_EUlSP_E0_NS1_11comp_targetILNS1_3genE0ELNS1_11target_archE4294967295ELNS1_3gpuE0ELNS1_3repE0EEENS1_30default_config_static_selectorELNS0_4arch9wavefront6targetE1EEEvT1_
    .private_segment_fixed_size: 0
    .sgpr_count:     4
    .sgpr_spill_count: 0
    .symbol:         _ZN7rocprim17ROCPRIM_400000_NS6detail17trampoline_kernelINS0_14default_configENS1_20scan_config_selectorIsEEZZNS1_9scan_implILNS1_25lookback_scan_determinismE0ELb1ELb1ES3_N6thrust23THRUST_200600_302600_NS6detail15normal_iteratorINS9_10device_ptrIsEEEESE_s11max_functorIsEsEEDaPvRmT3_T4_T5_mT6_P12ihipStream_tbENKUlT_T0_E_clISt17integral_constantIbLb1EEST_IbLb0EEEEDaSP_SQ_EUlSP_E0_NS1_11comp_targetILNS1_3genE0ELNS1_11target_archE4294967295ELNS1_3gpuE0ELNS1_3repE0EEENS1_30default_config_static_selectorELNS0_4arch9wavefront6targetE1EEEvT1_.kd
    .uniform_work_group_size: 1
    .uses_dynamic_stack: false
    .vgpr_count:     0
    .vgpr_spill_count: 0
    .wavefront_size: 64
  - .agpr_count:     0
    .args:
      - .offset:         0
        .size:           32
        .value_kind:     by_value
    .group_segment_fixed_size: 0
    .kernarg_segment_align: 8
    .kernarg_segment_size: 32
    .language:       OpenCL C
    .language_version:
      - 2
      - 0
    .max_flat_workgroup_size: 256
    .name:           _ZN7rocprim17ROCPRIM_400000_NS6detail17trampoline_kernelINS0_14default_configENS1_20scan_config_selectorIsEEZZNS1_9scan_implILNS1_25lookback_scan_determinismE0ELb1ELb1ES3_N6thrust23THRUST_200600_302600_NS6detail15normal_iteratorINS9_10device_ptrIsEEEESE_s11max_functorIsEsEEDaPvRmT3_T4_T5_mT6_P12ihipStream_tbENKUlT_T0_E_clISt17integral_constantIbLb1EEST_IbLb0EEEEDaSP_SQ_EUlSP_E0_NS1_11comp_targetILNS1_3genE5ELNS1_11target_archE942ELNS1_3gpuE9ELNS1_3repE0EEENS1_30default_config_static_selectorELNS0_4arch9wavefront6targetE1EEEvT1_
    .private_segment_fixed_size: 0
    .sgpr_count:     4
    .sgpr_spill_count: 0
    .symbol:         _ZN7rocprim17ROCPRIM_400000_NS6detail17trampoline_kernelINS0_14default_configENS1_20scan_config_selectorIsEEZZNS1_9scan_implILNS1_25lookback_scan_determinismE0ELb1ELb1ES3_N6thrust23THRUST_200600_302600_NS6detail15normal_iteratorINS9_10device_ptrIsEEEESE_s11max_functorIsEsEEDaPvRmT3_T4_T5_mT6_P12ihipStream_tbENKUlT_T0_E_clISt17integral_constantIbLb1EEST_IbLb0EEEEDaSP_SQ_EUlSP_E0_NS1_11comp_targetILNS1_3genE5ELNS1_11target_archE942ELNS1_3gpuE9ELNS1_3repE0EEENS1_30default_config_static_selectorELNS0_4arch9wavefront6targetE1EEEvT1_.kd
    .uniform_work_group_size: 1
    .uses_dynamic_stack: false
    .vgpr_count:     0
    .vgpr_spill_count: 0
    .wavefront_size: 64
  - .agpr_count:     0
    .args:
      - .offset:         0
        .size:           32
        .value_kind:     by_value
    .group_segment_fixed_size: 3072
    .kernarg_segment_align: 8
    .kernarg_segment_size: 32
    .language:       OpenCL C
    .language_version:
      - 2
      - 0
    .max_flat_workgroup_size: 64
    .name:           _ZN7rocprim17ROCPRIM_400000_NS6detail17trampoline_kernelINS0_14default_configENS1_20scan_config_selectorIsEEZZNS1_9scan_implILNS1_25lookback_scan_determinismE0ELb1ELb1ES3_N6thrust23THRUST_200600_302600_NS6detail15normal_iteratorINS9_10device_ptrIsEEEESE_s11max_functorIsEsEEDaPvRmT3_T4_T5_mT6_P12ihipStream_tbENKUlT_T0_E_clISt17integral_constantIbLb1EEST_IbLb0EEEEDaSP_SQ_EUlSP_E0_NS1_11comp_targetILNS1_3genE4ELNS1_11target_archE910ELNS1_3gpuE8ELNS1_3repE0EEENS1_30default_config_static_selectorELNS0_4arch9wavefront6targetE1EEEvT1_
    .private_segment_fixed_size: 0
    .sgpr_count:     60
    .sgpr_spill_count: 0
    .symbol:         _ZN7rocprim17ROCPRIM_400000_NS6detail17trampoline_kernelINS0_14default_configENS1_20scan_config_selectorIsEEZZNS1_9scan_implILNS1_25lookback_scan_determinismE0ELb1ELb1ES3_N6thrust23THRUST_200600_302600_NS6detail15normal_iteratorINS9_10device_ptrIsEEEESE_s11max_functorIsEsEEDaPvRmT3_T4_T5_mT6_P12ihipStream_tbENKUlT_T0_E_clISt17integral_constantIbLb1EEST_IbLb0EEEEDaSP_SQ_EUlSP_E0_NS1_11comp_targetILNS1_3genE4ELNS1_11target_archE910ELNS1_3gpuE8ELNS1_3repE0EEENS1_30default_config_static_selectorELNS0_4arch9wavefront6targetE1EEEvT1_.kd
    .uniform_work_group_size: 1
    .uses_dynamic_stack: false
    .vgpr_count:     32
    .vgpr_spill_count: 0
    .wavefront_size: 64
  - .agpr_count:     0
    .args:
      - .offset:         0
        .size:           32
        .value_kind:     by_value
    .group_segment_fixed_size: 0
    .kernarg_segment_align: 8
    .kernarg_segment_size: 32
    .language:       OpenCL C
    .language_version:
      - 2
      - 0
    .max_flat_workgroup_size: 128
    .name:           _ZN7rocprim17ROCPRIM_400000_NS6detail17trampoline_kernelINS0_14default_configENS1_20scan_config_selectorIsEEZZNS1_9scan_implILNS1_25lookback_scan_determinismE0ELb1ELb1ES3_N6thrust23THRUST_200600_302600_NS6detail15normal_iteratorINS9_10device_ptrIsEEEESE_s11max_functorIsEsEEDaPvRmT3_T4_T5_mT6_P12ihipStream_tbENKUlT_T0_E_clISt17integral_constantIbLb1EEST_IbLb0EEEEDaSP_SQ_EUlSP_E0_NS1_11comp_targetILNS1_3genE3ELNS1_11target_archE908ELNS1_3gpuE7ELNS1_3repE0EEENS1_30default_config_static_selectorELNS0_4arch9wavefront6targetE1EEEvT1_
    .private_segment_fixed_size: 0
    .sgpr_count:     4
    .sgpr_spill_count: 0
    .symbol:         _ZN7rocprim17ROCPRIM_400000_NS6detail17trampoline_kernelINS0_14default_configENS1_20scan_config_selectorIsEEZZNS1_9scan_implILNS1_25lookback_scan_determinismE0ELb1ELb1ES3_N6thrust23THRUST_200600_302600_NS6detail15normal_iteratorINS9_10device_ptrIsEEEESE_s11max_functorIsEsEEDaPvRmT3_T4_T5_mT6_P12ihipStream_tbENKUlT_T0_E_clISt17integral_constantIbLb1EEST_IbLb0EEEEDaSP_SQ_EUlSP_E0_NS1_11comp_targetILNS1_3genE3ELNS1_11target_archE908ELNS1_3gpuE7ELNS1_3repE0EEENS1_30default_config_static_selectorELNS0_4arch9wavefront6targetE1EEEvT1_.kd
    .uniform_work_group_size: 1
    .uses_dynamic_stack: false
    .vgpr_count:     0
    .vgpr_spill_count: 0
    .wavefront_size: 64
  - .agpr_count:     0
    .args:
      - .offset:         0
        .size:           32
        .value_kind:     by_value
    .group_segment_fixed_size: 0
    .kernarg_segment_align: 8
    .kernarg_segment_size: 32
    .language:       OpenCL C
    .language_version:
      - 2
      - 0
    .max_flat_workgroup_size: 256
    .name:           _ZN7rocprim17ROCPRIM_400000_NS6detail17trampoline_kernelINS0_14default_configENS1_20scan_config_selectorIsEEZZNS1_9scan_implILNS1_25lookback_scan_determinismE0ELb1ELb1ES3_N6thrust23THRUST_200600_302600_NS6detail15normal_iteratorINS9_10device_ptrIsEEEESE_s11max_functorIsEsEEDaPvRmT3_T4_T5_mT6_P12ihipStream_tbENKUlT_T0_E_clISt17integral_constantIbLb1EEST_IbLb0EEEEDaSP_SQ_EUlSP_E0_NS1_11comp_targetILNS1_3genE2ELNS1_11target_archE906ELNS1_3gpuE6ELNS1_3repE0EEENS1_30default_config_static_selectorELNS0_4arch9wavefront6targetE1EEEvT1_
    .private_segment_fixed_size: 0
    .sgpr_count:     4
    .sgpr_spill_count: 0
    .symbol:         _ZN7rocprim17ROCPRIM_400000_NS6detail17trampoline_kernelINS0_14default_configENS1_20scan_config_selectorIsEEZZNS1_9scan_implILNS1_25lookback_scan_determinismE0ELb1ELb1ES3_N6thrust23THRUST_200600_302600_NS6detail15normal_iteratorINS9_10device_ptrIsEEEESE_s11max_functorIsEsEEDaPvRmT3_T4_T5_mT6_P12ihipStream_tbENKUlT_T0_E_clISt17integral_constantIbLb1EEST_IbLb0EEEEDaSP_SQ_EUlSP_E0_NS1_11comp_targetILNS1_3genE2ELNS1_11target_archE906ELNS1_3gpuE6ELNS1_3repE0EEENS1_30default_config_static_selectorELNS0_4arch9wavefront6targetE1EEEvT1_.kd
    .uniform_work_group_size: 1
    .uses_dynamic_stack: false
    .vgpr_count:     0
    .vgpr_spill_count: 0
    .wavefront_size: 64
  - .agpr_count:     0
    .args:
      - .offset:         0
        .size:           32
        .value_kind:     by_value
    .group_segment_fixed_size: 0
    .kernarg_segment_align: 8
    .kernarg_segment_size: 32
    .language:       OpenCL C
    .language_version:
      - 2
      - 0
    .max_flat_workgroup_size: 256
    .name:           _ZN7rocprim17ROCPRIM_400000_NS6detail17trampoline_kernelINS0_14default_configENS1_20scan_config_selectorIsEEZZNS1_9scan_implILNS1_25lookback_scan_determinismE0ELb1ELb1ES3_N6thrust23THRUST_200600_302600_NS6detail15normal_iteratorINS9_10device_ptrIsEEEESE_s11max_functorIsEsEEDaPvRmT3_T4_T5_mT6_P12ihipStream_tbENKUlT_T0_E_clISt17integral_constantIbLb1EEST_IbLb0EEEEDaSP_SQ_EUlSP_E0_NS1_11comp_targetILNS1_3genE10ELNS1_11target_archE1201ELNS1_3gpuE5ELNS1_3repE0EEENS1_30default_config_static_selectorELNS0_4arch9wavefront6targetE1EEEvT1_
    .private_segment_fixed_size: 0
    .sgpr_count:     4
    .sgpr_spill_count: 0
    .symbol:         _ZN7rocprim17ROCPRIM_400000_NS6detail17trampoline_kernelINS0_14default_configENS1_20scan_config_selectorIsEEZZNS1_9scan_implILNS1_25lookback_scan_determinismE0ELb1ELb1ES3_N6thrust23THRUST_200600_302600_NS6detail15normal_iteratorINS9_10device_ptrIsEEEESE_s11max_functorIsEsEEDaPvRmT3_T4_T5_mT6_P12ihipStream_tbENKUlT_T0_E_clISt17integral_constantIbLb1EEST_IbLb0EEEEDaSP_SQ_EUlSP_E0_NS1_11comp_targetILNS1_3genE10ELNS1_11target_archE1201ELNS1_3gpuE5ELNS1_3repE0EEENS1_30default_config_static_selectorELNS0_4arch9wavefront6targetE1EEEvT1_.kd
    .uniform_work_group_size: 1
    .uses_dynamic_stack: false
    .vgpr_count:     0
    .vgpr_spill_count: 0
    .wavefront_size: 64
  - .agpr_count:     0
    .args:
      - .offset:         0
        .size:           32
        .value_kind:     by_value
    .group_segment_fixed_size: 0
    .kernarg_segment_align: 8
    .kernarg_segment_size: 32
    .language:       OpenCL C
    .language_version:
      - 2
      - 0
    .max_flat_workgroup_size: 256
    .name:           _ZN7rocprim17ROCPRIM_400000_NS6detail17trampoline_kernelINS0_14default_configENS1_20scan_config_selectorIsEEZZNS1_9scan_implILNS1_25lookback_scan_determinismE0ELb1ELb1ES3_N6thrust23THRUST_200600_302600_NS6detail15normal_iteratorINS9_10device_ptrIsEEEESE_s11max_functorIsEsEEDaPvRmT3_T4_T5_mT6_P12ihipStream_tbENKUlT_T0_E_clISt17integral_constantIbLb1EEST_IbLb0EEEEDaSP_SQ_EUlSP_E0_NS1_11comp_targetILNS1_3genE10ELNS1_11target_archE1200ELNS1_3gpuE4ELNS1_3repE0EEENS1_30default_config_static_selectorELNS0_4arch9wavefront6targetE1EEEvT1_
    .private_segment_fixed_size: 0
    .sgpr_count:     4
    .sgpr_spill_count: 0
    .symbol:         _ZN7rocprim17ROCPRIM_400000_NS6detail17trampoline_kernelINS0_14default_configENS1_20scan_config_selectorIsEEZZNS1_9scan_implILNS1_25lookback_scan_determinismE0ELb1ELb1ES3_N6thrust23THRUST_200600_302600_NS6detail15normal_iteratorINS9_10device_ptrIsEEEESE_s11max_functorIsEsEEDaPvRmT3_T4_T5_mT6_P12ihipStream_tbENKUlT_T0_E_clISt17integral_constantIbLb1EEST_IbLb0EEEEDaSP_SQ_EUlSP_E0_NS1_11comp_targetILNS1_3genE10ELNS1_11target_archE1200ELNS1_3gpuE4ELNS1_3repE0EEENS1_30default_config_static_selectorELNS0_4arch9wavefront6targetE1EEEvT1_.kd
    .uniform_work_group_size: 1
    .uses_dynamic_stack: false
    .vgpr_count:     0
    .vgpr_spill_count: 0
    .wavefront_size: 64
  - .agpr_count:     0
    .args:
      - .offset:         0
        .size:           32
        .value_kind:     by_value
    .group_segment_fixed_size: 0
    .kernarg_segment_align: 8
    .kernarg_segment_size: 32
    .language:       OpenCL C
    .language_version:
      - 2
      - 0
    .max_flat_workgroup_size: 64
    .name:           _ZN7rocprim17ROCPRIM_400000_NS6detail17trampoline_kernelINS0_14default_configENS1_20scan_config_selectorIsEEZZNS1_9scan_implILNS1_25lookback_scan_determinismE0ELb1ELb1ES3_N6thrust23THRUST_200600_302600_NS6detail15normal_iteratorINS9_10device_ptrIsEEEESE_s11max_functorIsEsEEDaPvRmT3_T4_T5_mT6_P12ihipStream_tbENKUlT_T0_E_clISt17integral_constantIbLb1EEST_IbLb0EEEEDaSP_SQ_EUlSP_E0_NS1_11comp_targetILNS1_3genE9ELNS1_11target_archE1100ELNS1_3gpuE3ELNS1_3repE0EEENS1_30default_config_static_selectorELNS0_4arch9wavefront6targetE1EEEvT1_
    .private_segment_fixed_size: 0
    .sgpr_count:     4
    .sgpr_spill_count: 0
    .symbol:         _ZN7rocprim17ROCPRIM_400000_NS6detail17trampoline_kernelINS0_14default_configENS1_20scan_config_selectorIsEEZZNS1_9scan_implILNS1_25lookback_scan_determinismE0ELb1ELb1ES3_N6thrust23THRUST_200600_302600_NS6detail15normal_iteratorINS9_10device_ptrIsEEEESE_s11max_functorIsEsEEDaPvRmT3_T4_T5_mT6_P12ihipStream_tbENKUlT_T0_E_clISt17integral_constantIbLb1EEST_IbLb0EEEEDaSP_SQ_EUlSP_E0_NS1_11comp_targetILNS1_3genE9ELNS1_11target_archE1100ELNS1_3gpuE3ELNS1_3repE0EEENS1_30default_config_static_selectorELNS0_4arch9wavefront6targetE1EEEvT1_.kd
    .uniform_work_group_size: 1
    .uses_dynamic_stack: false
    .vgpr_count:     0
    .vgpr_spill_count: 0
    .wavefront_size: 64
  - .agpr_count:     0
    .args:
      - .offset:         0
        .size:           32
        .value_kind:     by_value
    .group_segment_fixed_size: 0
    .kernarg_segment_align: 8
    .kernarg_segment_size: 32
    .language:       OpenCL C
    .language_version:
      - 2
      - 0
    .max_flat_workgroup_size: 64
    .name:           _ZN7rocprim17ROCPRIM_400000_NS6detail17trampoline_kernelINS0_14default_configENS1_20scan_config_selectorIsEEZZNS1_9scan_implILNS1_25lookback_scan_determinismE0ELb1ELb1ES3_N6thrust23THRUST_200600_302600_NS6detail15normal_iteratorINS9_10device_ptrIsEEEESE_s11max_functorIsEsEEDaPvRmT3_T4_T5_mT6_P12ihipStream_tbENKUlT_T0_E_clISt17integral_constantIbLb1EEST_IbLb0EEEEDaSP_SQ_EUlSP_E0_NS1_11comp_targetILNS1_3genE8ELNS1_11target_archE1030ELNS1_3gpuE2ELNS1_3repE0EEENS1_30default_config_static_selectorELNS0_4arch9wavefront6targetE1EEEvT1_
    .private_segment_fixed_size: 0
    .sgpr_count:     4
    .sgpr_spill_count: 0
    .symbol:         _ZN7rocprim17ROCPRIM_400000_NS6detail17trampoline_kernelINS0_14default_configENS1_20scan_config_selectorIsEEZZNS1_9scan_implILNS1_25lookback_scan_determinismE0ELb1ELb1ES3_N6thrust23THRUST_200600_302600_NS6detail15normal_iteratorINS9_10device_ptrIsEEEESE_s11max_functorIsEsEEDaPvRmT3_T4_T5_mT6_P12ihipStream_tbENKUlT_T0_E_clISt17integral_constantIbLb1EEST_IbLb0EEEEDaSP_SQ_EUlSP_E0_NS1_11comp_targetILNS1_3genE8ELNS1_11target_archE1030ELNS1_3gpuE2ELNS1_3repE0EEENS1_30default_config_static_selectorELNS0_4arch9wavefront6targetE1EEEvT1_.kd
    .uniform_work_group_size: 1
    .uses_dynamic_stack: false
    .vgpr_count:     0
    .vgpr_spill_count: 0
    .wavefront_size: 64
  - .agpr_count:     0
    .args:
      - .offset:         0
        .size:           96
        .value_kind:     by_value
    .group_segment_fixed_size: 0
    .kernarg_segment_align: 8
    .kernarg_segment_size: 96
    .language:       OpenCL C
    .language_version:
      - 2
      - 0
    .max_flat_workgroup_size: 128
    .name:           _ZN7rocprim17ROCPRIM_400000_NS6detail17trampoline_kernelINS0_14default_configENS1_20scan_config_selectorIsEEZZNS1_9scan_implILNS1_25lookback_scan_determinismE0ELb1ELb1ES3_N6thrust23THRUST_200600_302600_NS6detail15normal_iteratorINS9_10device_ptrIsEEEESE_s11max_functorIsEsEEDaPvRmT3_T4_T5_mT6_P12ihipStream_tbENKUlT_T0_E_clISt17integral_constantIbLb0EEST_IbLb1EEEEDaSP_SQ_EUlSP_E_NS1_11comp_targetILNS1_3genE0ELNS1_11target_archE4294967295ELNS1_3gpuE0ELNS1_3repE0EEENS1_30default_config_static_selectorELNS0_4arch9wavefront6targetE1EEEvT1_
    .private_segment_fixed_size: 0
    .sgpr_count:     4
    .sgpr_spill_count: 0
    .symbol:         _ZN7rocprim17ROCPRIM_400000_NS6detail17trampoline_kernelINS0_14default_configENS1_20scan_config_selectorIsEEZZNS1_9scan_implILNS1_25lookback_scan_determinismE0ELb1ELb1ES3_N6thrust23THRUST_200600_302600_NS6detail15normal_iteratorINS9_10device_ptrIsEEEESE_s11max_functorIsEsEEDaPvRmT3_T4_T5_mT6_P12ihipStream_tbENKUlT_T0_E_clISt17integral_constantIbLb0EEST_IbLb1EEEEDaSP_SQ_EUlSP_E_NS1_11comp_targetILNS1_3genE0ELNS1_11target_archE4294967295ELNS1_3gpuE0ELNS1_3repE0EEENS1_30default_config_static_selectorELNS0_4arch9wavefront6targetE1EEEvT1_.kd
    .uniform_work_group_size: 1
    .uses_dynamic_stack: false
    .vgpr_count:     0
    .vgpr_spill_count: 0
    .wavefront_size: 64
  - .agpr_count:     0
    .args:
      - .offset:         0
        .size:           96
        .value_kind:     by_value
    .group_segment_fixed_size: 0
    .kernarg_segment_align: 8
    .kernarg_segment_size: 96
    .language:       OpenCL C
    .language_version:
      - 2
      - 0
    .max_flat_workgroup_size: 256
    .name:           _ZN7rocprim17ROCPRIM_400000_NS6detail17trampoline_kernelINS0_14default_configENS1_20scan_config_selectorIsEEZZNS1_9scan_implILNS1_25lookback_scan_determinismE0ELb1ELb1ES3_N6thrust23THRUST_200600_302600_NS6detail15normal_iteratorINS9_10device_ptrIsEEEESE_s11max_functorIsEsEEDaPvRmT3_T4_T5_mT6_P12ihipStream_tbENKUlT_T0_E_clISt17integral_constantIbLb0EEST_IbLb1EEEEDaSP_SQ_EUlSP_E_NS1_11comp_targetILNS1_3genE5ELNS1_11target_archE942ELNS1_3gpuE9ELNS1_3repE0EEENS1_30default_config_static_selectorELNS0_4arch9wavefront6targetE1EEEvT1_
    .private_segment_fixed_size: 0
    .sgpr_count:     4
    .sgpr_spill_count: 0
    .symbol:         _ZN7rocprim17ROCPRIM_400000_NS6detail17trampoline_kernelINS0_14default_configENS1_20scan_config_selectorIsEEZZNS1_9scan_implILNS1_25lookback_scan_determinismE0ELb1ELb1ES3_N6thrust23THRUST_200600_302600_NS6detail15normal_iteratorINS9_10device_ptrIsEEEESE_s11max_functorIsEsEEDaPvRmT3_T4_T5_mT6_P12ihipStream_tbENKUlT_T0_E_clISt17integral_constantIbLb0EEST_IbLb1EEEEDaSP_SQ_EUlSP_E_NS1_11comp_targetILNS1_3genE5ELNS1_11target_archE942ELNS1_3gpuE9ELNS1_3repE0EEENS1_30default_config_static_selectorELNS0_4arch9wavefront6targetE1EEEvT1_.kd
    .uniform_work_group_size: 1
    .uses_dynamic_stack: false
    .vgpr_count:     0
    .vgpr_spill_count: 0
    .wavefront_size: 64
  - .agpr_count:     0
    .args:
      - .offset:         0
        .size:           96
        .value_kind:     by_value
    .group_segment_fixed_size: 3072
    .kernarg_segment_align: 8
    .kernarg_segment_size: 96
    .language:       OpenCL C
    .language_version:
      - 2
      - 0
    .max_flat_workgroup_size: 64
    .name:           _ZN7rocprim17ROCPRIM_400000_NS6detail17trampoline_kernelINS0_14default_configENS1_20scan_config_selectorIsEEZZNS1_9scan_implILNS1_25lookback_scan_determinismE0ELb1ELb1ES3_N6thrust23THRUST_200600_302600_NS6detail15normal_iteratorINS9_10device_ptrIsEEEESE_s11max_functorIsEsEEDaPvRmT3_T4_T5_mT6_P12ihipStream_tbENKUlT_T0_E_clISt17integral_constantIbLb0EEST_IbLb1EEEEDaSP_SQ_EUlSP_E_NS1_11comp_targetILNS1_3genE4ELNS1_11target_archE910ELNS1_3gpuE8ELNS1_3repE0EEENS1_30default_config_static_selectorELNS0_4arch9wavefront6targetE1EEEvT1_
    .private_segment_fixed_size: 0
    .sgpr_count:     43
    .sgpr_spill_count: 0
    .symbol:         _ZN7rocprim17ROCPRIM_400000_NS6detail17trampoline_kernelINS0_14default_configENS1_20scan_config_selectorIsEEZZNS1_9scan_implILNS1_25lookback_scan_determinismE0ELb1ELb1ES3_N6thrust23THRUST_200600_302600_NS6detail15normal_iteratorINS9_10device_ptrIsEEEESE_s11max_functorIsEsEEDaPvRmT3_T4_T5_mT6_P12ihipStream_tbENKUlT_T0_E_clISt17integral_constantIbLb0EEST_IbLb1EEEEDaSP_SQ_EUlSP_E_NS1_11comp_targetILNS1_3genE4ELNS1_11target_archE910ELNS1_3gpuE8ELNS1_3repE0EEENS1_30default_config_static_selectorELNS0_4arch9wavefront6targetE1EEEvT1_.kd
    .uniform_work_group_size: 1
    .uses_dynamic_stack: false
    .vgpr_count:     58
    .vgpr_spill_count: 0
    .wavefront_size: 64
  - .agpr_count:     0
    .args:
      - .offset:         0
        .size:           96
        .value_kind:     by_value
    .group_segment_fixed_size: 0
    .kernarg_segment_align: 8
    .kernarg_segment_size: 96
    .language:       OpenCL C
    .language_version:
      - 2
      - 0
    .max_flat_workgroup_size: 128
    .name:           _ZN7rocprim17ROCPRIM_400000_NS6detail17trampoline_kernelINS0_14default_configENS1_20scan_config_selectorIsEEZZNS1_9scan_implILNS1_25lookback_scan_determinismE0ELb1ELb1ES3_N6thrust23THRUST_200600_302600_NS6detail15normal_iteratorINS9_10device_ptrIsEEEESE_s11max_functorIsEsEEDaPvRmT3_T4_T5_mT6_P12ihipStream_tbENKUlT_T0_E_clISt17integral_constantIbLb0EEST_IbLb1EEEEDaSP_SQ_EUlSP_E_NS1_11comp_targetILNS1_3genE3ELNS1_11target_archE908ELNS1_3gpuE7ELNS1_3repE0EEENS1_30default_config_static_selectorELNS0_4arch9wavefront6targetE1EEEvT1_
    .private_segment_fixed_size: 0
    .sgpr_count:     4
    .sgpr_spill_count: 0
    .symbol:         _ZN7rocprim17ROCPRIM_400000_NS6detail17trampoline_kernelINS0_14default_configENS1_20scan_config_selectorIsEEZZNS1_9scan_implILNS1_25lookback_scan_determinismE0ELb1ELb1ES3_N6thrust23THRUST_200600_302600_NS6detail15normal_iteratorINS9_10device_ptrIsEEEESE_s11max_functorIsEsEEDaPvRmT3_T4_T5_mT6_P12ihipStream_tbENKUlT_T0_E_clISt17integral_constantIbLb0EEST_IbLb1EEEEDaSP_SQ_EUlSP_E_NS1_11comp_targetILNS1_3genE3ELNS1_11target_archE908ELNS1_3gpuE7ELNS1_3repE0EEENS1_30default_config_static_selectorELNS0_4arch9wavefront6targetE1EEEvT1_.kd
    .uniform_work_group_size: 1
    .uses_dynamic_stack: false
    .vgpr_count:     0
    .vgpr_spill_count: 0
    .wavefront_size: 64
  - .agpr_count:     0
    .args:
      - .offset:         0
        .size:           96
        .value_kind:     by_value
    .group_segment_fixed_size: 0
    .kernarg_segment_align: 8
    .kernarg_segment_size: 96
    .language:       OpenCL C
    .language_version:
      - 2
      - 0
    .max_flat_workgroup_size: 256
    .name:           _ZN7rocprim17ROCPRIM_400000_NS6detail17trampoline_kernelINS0_14default_configENS1_20scan_config_selectorIsEEZZNS1_9scan_implILNS1_25lookback_scan_determinismE0ELb1ELb1ES3_N6thrust23THRUST_200600_302600_NS6detail15normal_iteratorINS9_10device_ptrIsEEEESE_s11max_functorIsEsEEDaPvRmT3_T4_T5_mT6_P12ihipStream_tbENKUlT_T0_E_clISt17integral_constantIbLb0EEST_IbLb1EEEEDaSP_SQ_EUlSP_E_NS1_11comp_targetILNS1_3genE2ELNS1_11target_archE906ELNS1_3gpuE6ELNS1_3repE0EEENS1_30default_config_static_selectorELNS0_4arch9wavefront6targetE1EEEvT1_
    .private_segment_fixed_size: 0
    .sgpr_count:     4
    .sgpr_spill_count: 0
    .symbol:         _ZN7rocprim17ROCPRIM_400000_NS6detail17trampoline_kernelINS0_14default_configENS1_20scan_config_selectorIsEEZZNS1_9scan_implILNS1_25lookback_scan_determinismE0ELb1ELb1ES3_N6thrust23THRUST_200600_302600_NS6detail15normal_iteratorINS9_10device_ptrIsEEEESE_s11max_functorIsEsEEDaPvRmT3_T4_T5_mT6_P12ihipStream_tbENKUlT_T0_E_clISt17integral_constantIbLb0EEST_IbLb1EEEEDaSP_SQ_EUlSP_E_NS1_11comp_targetILNS1_3genE2ELNS1_11target_archE906ELNS1_3gpuE6ELNS1_3repE0EEENS1_30default_config_static_selectorELNS0_4arch9wavefront6targetE1EEEvT1_.kd
    .uniform_work_group_size: 1
    .uses_dynamic_stack: false
    .vgpr_count:     0
    .vgpr_spill_count: 0
    .wavefront_size: 64
  - .agpr_count:     0
    .args:
      - .offset:         0
        .size:           96
        .value_kind:     by_value
    .group_segment_fixed_size: 0
    .kernarg_segment_align: 8
    .kernarg_segment_size: 96
    .language:       OpenCL C
    .language_version:
      - 2
      - 0
    .max_flat_workgroup_size: 256
    .name:           _ZN7rocprim17ROCPRIM_400000_NS6detail17trampoline_kernelINS0_14default_configENS1_20scan_config_selectorIsEEZZNS1_9scan_implILNS1_25lookback_scan_determinismE0ELb1ELb1ES3_N6thrust23THRUST_200600_302600_NS6detail15normal_iteratorINS9_10device_ptrIsEEEESE_s11max_functorIsEsEEDaPvRmT3_T4_T5_mT6_P12ihipStream_tbENKUlT_T0_E_clISt17integral_constantIbLb0EEST_IbLb1EEEEDaSP_SQ_EUlSP_E_NS1_11comp_targetILNS1_3genE10ELNS1_11target_archE1201ELNS1_3gpuE5ELNS1_3repE0EEENS1_30default_config_static_selectorELNS0_4arch9wavefront6targetE1EEEvT1_
    .private_segment_fixed_size: 0
    .sgpr_count:     4
    .sgpr_spill_count: 0
    .symbol:         _ZN7rocprim17ROCPRIM_400000_NS6detail17trampoline_kernelINS0_14default_configENS1_20scan_config_selectorIsEEZZNS1_9scan_implILNS1_25lookback_scan_determinismE0ELb1ELb1ES3_N6thrust23THRUST_200600_302600_NS6detail15normal_iteratorINS9_10device_ptrIsEEEESE_s11max_functorIsEsEEDaPvRmT3_T4_T5_mT6_P12ihipStream_tbENKUlT_T0_E_clISt17integral_constantIbLb0EEST_IbLb1EEEEDaSP_SQ_EUlSP_E_NS1_11comp_targetILNS1_3genE10ELNS1_11target_archE1201ELNS1_3gpuE5ELNS1_3repE0EEENS1_30default_config_static_selectorELNS0_4arch9wavefront6targetE1EEEvT1_.kd
    .uniform_work_group_size: 1
    .uses_dynamic_stack: false
    .vgpr_count:     0
    .vgpr_spill_count: 0
    .wavefront_size: 64
  - .agpr_count:     0
    .args:
      - .offset:         0
        .size:           96
        .value_kind:     by_value
    .group_segment_fixed_size: 0
    .kernarg_segment_align: 8
    .kernarg_segment_size: 96
    .language:       OpenCL C
    .language_version:
      - 2
      - 0
    .max_flat_workgroup_size: 256
    .name:           _ZN7rocprim17ROCPRIM_400000_NS6detail17trampoline_kernelINS0_14default_configENS1_20scan_config_selectorIsEEZZNS1_9scan_implILNS1_25lookback_scan_determinismE0ELb1ELb1ES3_N6thrust23THRUST_200600_302600_NS6detail15normal_iteratorINS9_10device_ptrIsEEEESE_s11max_functorIsEsEEDaPvRmT3_T4_T5_mT6_P12ihipStream_tbENKUlT_T0_E_clISt17integral_constantIbLb0EEST_IbLb1EEEEDaSP_SQ_EUlSP_E_NS1_11comp_targetILNS1_3genE10ELNS1_11target_archE1200ELNS1_3gpuE4ELNS1_3repE0EEENS1_30default_config_static_selectorELNS0_4arch9wavefront6targetE1EEEvT1_
    .private_segment_fixed_size: 0
    .sgpr_count:     4
    .sgpr_spill_count: 0
    .symbol:         _ZN7rocprim17ROCPRIM_400000_NS6detail17trampoline_kernelINS0_14default_configENS1_20scan_config_selectorIsEEZZNS1_9scan_implILNS1_25lookback_scan_determinismE0ELb1ELb1ES3_N6thrust23THRUST_200600_302600_NS6detail15normal_iteratorINS9_10device_ptrIsEEEESE_s11max_functorIsEsEEDaPvRmT3_T4_T5_mT6_P12ihipStream_tbENKUlT_T0_E_clISt17integral_constantIbLb0EEST_IbLb1EEEEDaSP_SQ_EUlSP_E_NS1_11comp_targetILNS1_3genE10ELNS1_11target_archE1200ELNS1_3gpuE4ELNS1_3repE0EEENS1_30default_config_static_selectorELNS0_4arch9wavefront6targetE1EEEvT1_.kd
    .uniform_work_group_size: 1
    .uses_dynamic_stack: false
    .vgpr_count:     0
    .vgpr_spill_count: 0
    .wavefront_size: 64
  - .agpr_count:     0
    .args:
      - .offset:         0
        .size:           96
        .value_kind:     by_value
    .group_segment_fixed_size: 0
    .kernarg_segment_align: 8
    .kernarg_segment_size: 96
    .language:       OpenCL C
    .language_version:
      - 2
      - 0
    .max_flat_workgroup_size: 64
    .name:           _ZN7rocprim17ROCPRIM_400000_NS6detail17trampoline_kernelINS0_14default_configENS1_20scan_config_selectorIsEEZZNS1_9scan_implILNS1_25lookback_scan_determinismE0ELb1ELb1ES3_N6thrust23THRUST_200600_302600_NS6detail15normal_iteratorINS9_10device_ptrIsEEEESE_s11max_functorIsEsEEDaPvRmT3_T4_T5_mT6_P12ihipStream_tbENKUlT_T0_E_clISt17integral_constantIbLb0EEST_IbLb1EEEEDaSP_SQ_EUlSP_E_NS1_11comp_targetILNS1_3genE9ELNS1_11target_archE1100ELNS1_3gpuE3ELNS1_3repE0EEENS1_30default_config_static_selectorELNS0_4arch9wavefront6targetE1EEEvT1_
    .private_segment_fixed_size: 0
    .sgpr_count:     4
    .sgpr_spill_count: 0
    .symbol:         _ZN7rocprim17ROCPRIM_400000_NS6detail17trampoline_kernelINS0_14default_configENS1_20scan_config_selectorIsEEZZNS1_9scan_implILNS1_25lookback_scan_determinismE0ELb1ELb1ES3_N6thrust23THRUST_200600_302600_NS6detail15normal_iteratorINS9_10device_ptrIsEEEESE_s11max_functorIsEsEEDaPvRmT3_T4_T5_mT6_P12ihipStream_tbENKUlT_T0_E_clISt17integral_constantIbLb0EEST_IbLb1EEEEDaSP_SQ_EUlSP_E_NS1_11comp_targetILNS1_3genE9ELNS1_11target_archE1100ELNS1_3gpuE3ELNS1_3repE0EEENS1_30default_config_static_selectorELNS0_4arch9wavefront6targetE1EEEvT1_.kd
    .uniform_work_group_size: 1
    .uses_dynamic_stack: false
    .vgpr_count:     0
    .vgpr_spill_count: 0
    .wavefront_size: 64
  - .agpr_count:     0
    .args:
      - .offset:         0
        .size:           96
        .value_kind:     by_value
    .group_segment_fixed_size: 0
    .kernarg_segment_align: 8
    .kernarg_segment_size: 96
    .language:       OpenCL C
    .language_version:
      - 2
      - 0
    .max_flat_workgroup_size: 64
    .name:           _ZN7rocprim17ROCPRIM_400000_NS6detail17trampoline_kernelINS0_14default_configENS1_20scan_config_selectorIsEEZZNS1_9scan_implILNS1_25lookback_scan_determinismE0ELb1ELb1ES3_N6thrust23THRUST_200600_302600_NS6detail15normal_iteratorINS9_10device_ptrIsEEEESE_s11max_functorIsEsEEDaPvRmT3_T4_T5_mT6_P12ihipStream_tbENKUlT_T0_E_clISt17integral_constantIbLb0EEST_IbLb1EEEEDaSP_SQ_EUlSP_E_NS1_11comp_targetILNS1_3genE8ELNS1_11target_archE1030ELNS1_3gpuE2ELNS1_3repE0EEENS1_30default_config_static_selectorELNS0_4arch9wavefront6targetE1EEEvT1_
    .private_segment_fixed_size: 0
    .sgpr_count:     4
    .sgpr_spill_count: 0
    .symbol:         _ZN7rocprim17ROCPRIM_400000_NS6detail17trampoline_kernelINS0_14default_configENS1_20scan_config_selectorIsEEZZNS1_9scan_implILNS1_25lookback_scan_determinismE0ELb1ELb1ES3_N6thrust23THRUST_200600_302600_NS6detail15normal_iteratorINS9_10device_ptrIsEEEESE_s11max_functorIsEsEEDaPvRmT3_T4_T5_mT6_P12ihipStream_tbENKUlT_T0_E_clISt17integral_constantIbLb0EEST_IbLb1EEEEDaSP_SQ_EUlSP_E_NS1_11comp_targetILNS1_3genE8ELNS1_11target_archE1030ELNS1_3gpuE2ELNS1_3repE0EEENS1_30default_config_static_selectorELNS0_4arch9wavefront6targetE1EEEvT1_.kd
    .uniform_work_group_size: 1
    .uses_dynamic_stack: false
    .vgpr_count:     0
    .vgpr_spill_count: 0
    .wavefront_size: 64
  - .agpr_count:     0
    .args:
      - .offset:         0
        .size:           32
        .value_kind:     by_value
    .group_segment_fixed_size: 0
    .kernarg_segment_align: 8
    .kernarg_segment_size: 32
    .language:       OpenCL C
    .language_version:
      - 2
      - 0
    .max_flat_workgroup_size: 128
    .name:           _ZN7rocprim17ROCPRIM_400000_NS6detail17trampoline_kernelINS0_14default_configENS1_20scan_config_selectorIsEEZZNS1_9scan_implILNS1_25lookback_scan_determinismE0ELb1ELb1ES3_N6thrust23THRUST_200600_302600_NS6detail15normal_iteratorINS9_10device_ptrIsEEEESE_s11max_functorIsEsEEDaPvRmT3_T4_T5_mT6_P12ihipStream_tbENKUlT_T0_E_clISt17integral_constantIbLb0EEST_IbLb1EEEEDaSP_SQ_EUlSP_E0_NS1_11comp_targetILNS1_3genE0ELNS1_11target_archE4294967295ELNS1_3gpuE0ELNS1_3repE0EEENS1_30default_config_static_selectorELNS0_4arch9wavefront6targetE1EEEvT1_
    .private_segment_fixed_size: 0
    .sgpr_count:     4
    .sgpr_spill_count: 0
    .symbol:         _ZN7rocprim17ROCPRIM_400000_NS6detail17trampoline_kernelINS0_14default_configENS1_20scan_config_selectorIsEEZZNS1_9scan_implILNS1_25lookback_scan_determinismE0ELb1ELb1ES3_N6thrust23THRUST_200600_302600_NS6detail15normal_iteratorINS9_10device_ptrIsEEEESE_s11max_functorIsEsEEDaPvRmT3_T4_T5_mT6_P12ihipStream_tbENKUlT_T0_E_clISt17integral_constantIbLb0EEST_IbLb1EEEEDaSP_SQ_EUlSP_E0_NS1_11comp_targetILNS1_3genE0ELNS1_11target_archE4294967295ELNS1_3gpuE0ELNS1_3repE0EEENS1_30default_config_static_selectorELNS0_4arch9wavefront6targetE1EEEvT1_.kd
    .uniform_work_group_size: 1
    .uses_dynamic_stack: false
    .vgpr_count:     0
    .vgpr_spill_count: 0
    .wavefront_size: 64
  - .agpr_count:     0
    .args:
      - .offset:         0
        .size:           32
        .value_kind:     by_value
    .group_segment_fixed_size: 0
    .kernarg_segment_align: 8
    .kernarg_segment_size: 32
    .language:       OpenCL C
    .language_version:
      - 2
      - 0
    .max_flat_workgroup_size: 256
    .name:           _ZN7rocprim17ROCPRIM_400000_NS6detail17trampoline_kernelINS0_14default_configENS1_20scan_config_selectorIsEEZZNS1_9scan_implILNS1_25lookback_scan_determinismE0ELb1ELb1ES3_N6thrust23THRUST_200600_302600_NS6detail15normal_iteratorINS9_10device_ptrIsEEEESE_s11max_functorIsEsEEDaPvRmT3_T4_T5_mT6_P12ihipStream_tbENKUlT_T0_E_clISt17integral_constantIbLb0EEST_IbLb1EEEEDaSP_SQ_EUlSP_E0_NS1_11comp_targetILNS1_3genE5ELNS1_11target_archE942ELNS1_3gpuE9ELNS1_3repE0EEENS1_30default_config_static_selectorELNS0_4arch9wavefront6targetE1EEEvT1_
    .private_segment_fixed_size: 0
    .sgpr_count:     4
    .sgpr_spill_count: 0
    .symbol:         _ZN7rocprim17ROCPRIM_400000_NS6detail17trampoline_kernelINS0_14default_configENS1_20scan_config_selectorIsEEZZNS1_9scan_implILNS1_25lookback_scan_determinismE0ELb1ELb1ES3_N6thrust23THRUST_200600_302600_NS6detail15normal_iteratorINS9_10device_ptrIsEEEESE_s11max_functorIsEsEEDaPvRmT3_T4_T5_mT6_P12ihipStream_tbENKUlT_T0_E_clISt17integral_constantIbLb0EEST_IbLb1EEEEDaSP_SQ_EUlSP_E0_NS1_11comp_targetILNS1_3genE5ELNS1_11target_archE942ELNS1_3gpuE9ELNS1_3repE0EEENS1_30default_config_static_selectorELNS0_4arch9wavefront6targetE1EEEvT1_.kd
    .uniform_work_group_size: 1
    .uses_dynamic_stack: false
    .vgpr_count:     0
    .vgpr_spill_count: 0
    .wavefront_size: 64
  - .agpr_count:     0
    .args:
      - .offset:         0
        .size:           32
        .value_kind:     by_value
    .group_segment_fixed_size: 3072
    .kernarg_segment_align: 8
    .kernarg_segment_size: 32
    .language:       OpenCL C
    .language_version:
      - 2
      - 0
    .max_flat_workgroup_size: 64
    .name:           _ZN7rocprim17ROCPRIM_400000_NS6detail17trampoline_kernelINS0_14default_configENS1_20scan_config_selectorIsEEZZNS1_9scan_implILNS1_25lookback_scan_determinismE0ELb1ELb1ES3_N6thrust23THRUST_200600_302600_NS6detail15normal_iteratorINS9_10device_ptrIsEEEESE_s11max_functorIsEsEEDaPvRmT3_T4_T5_mT6_P12ihipStream_tbENKUlT_T0_E_clISt17integral_constantIbLb0EEST_IbLb1EEEEDaSP_SQ_EUlSP_E0_NS1_11comp_targetILNS1_3genE4ELNS1_11target_archE910ELNS1_3gpuE8ELNS1_3repE0EEENS1_30default_config_static_selectorELNS0_4arch9wavefront6targetE1EEEvT1_
    .private_segment_fixed_size: 0
    .sgpr_count:     60
    .sgpr_spill_count: 0
    .symbol:         _ZN7rocprim17ROCPRIM_400000_NS6detail17trampoline_kernelINS0_14default_configENS1_20scan_config_selectorIsEEZZNS1_9scan_implILNS1_25lookback_scan_determinismE0ELb1ELb1ES3_N6thrust23THRUST_200600_302600_NS6detail15normal_iteratorINS9_10device_ptrIsEEEESE_s11max_functorIsEsEEDaPvRmT3_T4_T5_mT6_P12ihipStream_tbENKUlT_T0_E_clISt17integral_constantIbLb0EEST_IbLb1EEEEDaSP_SQ_EUlSP_E0_NS1_11comp_targetILNS1_3genE4ELNS1_11target_archE910ELNS1_3gpuE8ELNS1_3repE0EEENS1_30default_config_static_selectorELNS0_4arch9wavefront6targetE1EEEvT1_.kd
    .uniform_work_group_size: 1
    .uses_dynamic_stack: false
    .vgpr_count:     32
    .vgpr_spill_count: 0
    .wavefront_size: 64
  - .agpr_count:     0
    .args:
      - .offset:         0
        .size:           32
        .value_kind:     by_value
    .group_segment_fixed_size: 0
    .kernarg_segment_align: 8
    .kernarg_segment_size: 32
    .language:       OpenCL C
    .language_version:
      - 2
      - 0
    .max_flat_workgroup_size: 128
    .name:           _ZN7rocprim17ROCPRIM_400000_NS6detail17trampoline_kernelINS0_14default_configENS1_20scan_config_selectorIsEEZZNS1_9scan_implILNS1_25lookback_scan_determinismE0ELb1ELb1ES3_N6thrust23THRUST_200600_302600_NS6detail15normal_iteratorINS9_10device_ptrIsEEEESE_s11max_functorIsEsEEDaPvRmT3_T4_T5_mT6_P12ihipStream_tbENKUlT_T0_E_clISt17integral_constantIbLb0EEST_IbLb1EEEEDaSP_SQ_EUlSP_E0_NS1_11comp_targetILNS1_3genE3ELNS1_11target_archE908ELNS1_3gpuE7ELNS1_3repE0EEENS1_30default_config_static_selectorELNS0_4arch9wavefront6targetE1EEEvT1_
    .private_segment_fixed_size: 0
    .sgpr_count:     4
    .sgpr_spill_count: 0
    .symbol:         _ZN7rocprim17ROCPRIM_400000_NS6detail17trampoline_kernelINS0_14default_configENS1_20scan_config_selectorIsEEZZNS1_9scan_implILNS1_25lookback_scan_determinismE0ELb1ELb1ES3_N6thrust23THRUST_200600_302600_NS6detail15normal_iteratorINS9_10device_ptrIsEEEESE_s11max_functorIsEsEEDaPvRmT3_T4_T5_mT6_P12ihipStream_tbENKUlT_T0_E_clISt17integral_constantIbLb0EEST_IbLb1EEEEDaSP_SQ_EUlSP_E0_NS1_11comp_targetILNS1_3genE3ELNS1_11target_archE908ELNS1_3gpuE7ELNS1_3repE0EEENS1_30default_config_static_selectorELNS0_4arch9wavefront6targetE1EEEvT1_.kd
    .uniform_work_group_size: 1
    .uses_dynamic_stack: false
    .vgpr_count:     0
    .vgpr_spill_count: 0
    .wavefront_size: 64
  - .agpr_count:     0
    .args:
      - .offset:         0
        .size:           32
        .value_kind:     by_value
    .group_segment_fixed_size: 0
    .kernarg_segment_align: 8
    .kernarg_segment_size: 32
    .language:       OpenCL C
    .language_version:
      - 2
      - 0
    .max_flat_workgroup_size: 256
    .name:           _ZN7rocprim17ROCPRIM_400000_NS6detail17trampoline_kernelINS0_14default_configENS1_20scan_config_selectorIsEEZZNS1_9scan_implILNS1_25lookback_scan_determinismE0ELb1ELb1ES3_N6thrust23THRUST_200600_302600_NS6detail15normal_iteratorINS9_10device_ptrIsEEEESE_s11max_functorIsEsEEDaPvRmT3_T4_T5_mT6_P12ihipStream_tbENKUlT_T0_E_clISt17integral_constantIbLb0EEST_IbLb1EEEEDaSP_SQ_EUlSP_E0_NS1_11comp_targetILNS1_3genE2ELNS1_11target_archE906ELNS1_3gpuE6ELNS1_3repE0EEENS1_30default_config_static_selectorELNS0_4arch9wavefront6targetE1EEEvT1_
    .private_segment_fixed_size: 0
    .sgpr_count:     4
    .sgpr_spill_count: 0
    .symbol:         _ZN7rocprim17ROCPRIM_400000_NS6detail17trampoline_kernelINS0_14default_configENS1_20scan_config_selectorIsEEZZNS1_9scan_implILNS1_25lookback_scan_determinismE0ELb1ELb1ES3_N6thrust23THRUST_200600_302600_NS6detail15normal_iteratorINS9_10device_ptrIsEEEESE_s11max_functorIsEsEEDaPvRmT3_T4_T5_mT6_P12ihipStream_tbENKUlT_T0_E_clISt17integral_constantIbLb0EEST_IbLb1EEEEDaSP_SQ_EUlSP_E0_NS1_11comp_targetILNS1_3genE2ELNS1_11target_archE906ELNS1_3gpuE6ELNS1_3repE0EEENS1_30default_config_static_selectorELNS0_4arch9wavefront6targetE1EEEvT1_.kd
    .uniform_work_group_size: 1
    .uses_dynamic_stack: false
    .vgpr_count:     0
    .vgpr_spill_count: 0
    .wavefront_size: 64
  - .agpr_count:     0
    .args:
      - .offset:         0
        .size:           32
        .value_kind:     by_value
    .group_segment_fixed_size: 0
    .kernarg_segment_align: 8
    .kernarg_segment_size: 32
    .language:       OpenCL C
    .language_version:
      - 2
      - 0
    .max_flat_workgroup_size: 256
    .name:           _ZN7rocprim17ROCPRIM_400000_NS6detail17trampoline_kernelINS0_14default_configENS1_20scan_config_selectorIsEEZZNS1_9scan_implILNS1_25lookback_scan_determinismE0ELb1ELb1ES3_N6thrust23THRUST_200600_302600_NS6detail15normal_iteratorINS9_10device_ptrIsEEEESE_s11max_functorIsEsEEDaPvRmT3_T4_T5_mT6_P12ihipStream_tbENKUlT_T0_E_clISt17integral_constantIbLb0EEST_IbLb1EEEEDaSP_SQ_EUlSP_E0_NS1_11comp_targetILNS1_3genE10ELNS1_11target_archE1201ELNS1_3gpuE5ELNS1_3repE0EEENS1_30default_config_static_selectorELNS0_4arch9wavefront6targetE1EEEvT1_
    .private_segment_fixed_size: 0
    .sgpr_count:     4
    .sgpr_spill_count: 0
    .symbol:         _ZN7rocprim17ROCPRIM_400000_NS6detail17trampoline_kernelINS0_14default_configENS1_20scan_config_selectorIsEEZZNS1_9scan_implILNS1_25lookback_scan_determinismE0ELb1ELb1ES3_N6thrust23THRUST_200600_302600_NS6detail15normal_iteratorINS9_10device_ptrIsEEEESE_s11max_functorIsEsEEDaPvRmT3_T4_T5_mT6_P12ihipStream_tbENKUlT_T0_E_clISt17integral_constantIbLb0EEST_IbLb1EEEEDaSP_SQ_EUlSP_E0_NS1_11comp_targetILNS1_3genE10ELNS1_11target_archE1201ELNS1_3gpuE5ELNS1_3repE0EEENS1_30default_config_static_selectorELNS0_4arch9wavefront6targetE1EEEvT1_.kd
    .uniform_work_group_size: 1
    .uses_dynamic_stack: false
    .vgpr_count:     0
    .vgpr_spill_count: 0
    .wavefront_size: 64
  - .agpr_count:     0
    .args:
      - .offset:         0
        .size:           32
        .value_kind:     by_value
    .group_segment_fixed_size: 0
    .kernarg_segment_align: 8
    .kernarg_segment_size: 32
    .language:       OpenCL C
    .language_version:
      - 2
      - 0
    .max_flat_workgroup_size: 256
    .name:           _ZN7rocprim17ROCPRIM_400000_NS6detail17trampoline_kernelINS0_14default_configENS1_20scan_config_selectorIsEEZZNS1_9scan_implILNS1_25lookback_scan_determinismE0ELb1ELb1ES3_N6thrust23THRUST_200600_302600_NS6detail15normal_iteratorINS9_10device_ptrIsEEEESE_s11max_functorIsEsEEDaPvRmT3_T4_T5_mT6_P12ihipStream_tbENKUlT_T0_E_clISt17integral_constantIbLb0EEST_IbLb1EEEEDaSP_SQ_EUlSP_E0_NS1_11comp_targetILNS1_3genE10ELNS1_11target_archE1200ELNS1_3gpuE4ELNS1_3repE0EEENS1_30default_config_static_selectorELNS0_4arch9wavefront6targetE1EEEvT1_
    .private_segment_fixed_size: 0
    .sgpr_count:     4
    .sgpr_spill_count: 0
    .symbol:         _ZN7rocprim17ROCPRIM_400000_NS6detail17trampoline_kernelINS0_14default_configENS1_20scan_config_selectorIsEEZZNS1_9scan_implILNS1_25lookback_scan_determinismE0ELb1ELb1ES3_N6thrust23THRUST_200600_302600_NS6detail15normal_iteratorINS9_10device_ptrIsEEEESE_s11max_functorIsEsEEDaPvRmT3_T4_T5_mT6_P12ihipStream_tbENKUlT_T0_E_clISt17integral_constantIbLb0EEST_IbLb1EEEEDaSP_SQ_EUlSP_E0_NS1_11comp_targetILNS1_3genE10ELNS1_11target_archE1200ELNS1_3gpuE4ELNS1_3repE0EEENS1_30default_config_static_selectorELNS0_4arch9wavefront6targetE1EEEvT1_.kd
    .uniform_work_group_size: 1
    .uses_dynamic_stack: false
    .vgpr_count:     0
    .vgpr_spill_count: 0
    .wavefront_size: 64
  - .agpr_count:     0
    .args:
      - .offset:         0
        .size:           32
        .value_kind:     by_value
    .group_segment_fixed_size: 0
    .kernarg_segment_align: 8
    .kernarg_segment_size: 32
    .language:       OpenCL C
    .language_version:
      - 2
      - 0
    .max_flat_workgroup_size: 64
    .name:           _ZN7rocprim17ROCPRIM_400000_NS6detail17trampoline_kernelINS0_14default_configENS1_20scan_config_selectorIsEEZZNS1_9scan_implILNS1_25lookback_scan_determinismE0ELb1ELb1ES3_N6thrust23THRUST_200600_302600_NS6detail15normal_iteratorINS9_10device_ptrIsEEEESE_s11max_functorIsEsEEDaPvRmT3_T4_T5_mT6_P12ihipStream_tbENKUlT_T0_E_clISt17integral_constantIbLb0EEST_IbLb1EEEEDaSP_SQ_EUlSP_E0_NS1_11comp_targetILNS1_3genE9ELNS1_11target_archE1100ELNS1_3gpuE3ELNS1_3repE0EEENS1_30default_config_static_selectorELNS0_4arch9wavefront6targetE1EEEvT1_
    .private_segment_fixed_size: 0
    .sgpr_count:     4
    .sgpr_spill_count: 0
    .symbol:         _ZN7rocprim17ROCPRIM_400000_NS6detail17trampoline_kernelINS0_14default_configENS1_20scan_config_selectorIsEEZZNS1_9scan_implILNS1_25lookback_scan_determinismE0ELb1ELb1ES3_N6thrust23THRUST_200600_302600_NS6detail15normal_iteratorINS9_10device_ptrIsEEEESE_s11max_functorIsEsEEDaPvRmT3_T4_T5_mT6_P12ihipStream_tbENKUlT_T0_E_clISt17integral_constantIbLb0EEST_IbLb1EEEEDaSP_SQ_EUlSP_E0_NS1_11comp_targetILNS1_3genE9ELNS1_11target_archE1100ELNS1_3gpuE3ELNS1_3repE0EEENS1_30default_config_static_selectorELNS0_4arch9wavefront6targetE1EEEvT1_.kd
    .uniform_work_group_size: 1
    .uses_dynamic_stack: false
    .vgpr_count:     0
    .vgpr_spill_count: 0
    .wavefront_size: 64
  - .agpr_count:     0
    .args:
      - .offset:         0
        .size:           32
        .value_kind:     by_value
    .group_segment_fixed_size: 0
    .kernarg_segment_align: 8
    .kernarg_segment_size: 32
    .language:       OpenCL C
    .language_version:
      - 2
      - 0
    .max_flat_workgroup_size: 64
    .name:           _ZN7rocprim17ROCPRIM_400000_NS6detail17trampoline_kernelINS0_14default_configENS1_20scan_config_selectorIsEEZZNS1_9scan_implILNS1_25lookback_scan_determinismE0ELb1ELb1ES3_N6thrust23THRUST_200600_302600_NS6detail15normal_iteratorINS9_10device_ptrIsEEEESE_s11max_functorIsEsEEDaPvRmT3_T4_T5_mT6_P12ihipStream_tbENKUlT_T0_E_clISt17integral_constantIbLb0EEST_IbLb1EEEEDaSP_SQ_EUlSP_E0_NS1_11comp_targetILNS1_3genE8ELNS1_11target_archE1030ELNS1_3gpuE2ELNS1_3repE0EEENS1_30default_config_static_selectorELNS0_4arch9wavefront6targetE1EEEvT1_
    .private_segment_fixed_size: 0
    .sgpr_count:     4
    .sgpr_spill_count: 0
    .symbol:         _ZN7rocprim17ROCPRIM_400000_NS6detail17trampoline_kernelINS0_14default_configENS1_20scan_config_selectorIsEEZZNS1_9scan_implILNS1_25lookback_scan_determinismE0ELb1ELb1ES3_N6thrust23THRUST_200600_302600_NS6detail15normal_iteratorINS9_10device_ptrIsEEEESE_s11max_functorIsEsEEDaPvRmT3_T4_T5_mT6_P12ihipStream_tbENKUlT_T0_E_clISt17integral_constantIbLb0EEST_IbLb1EEEEDaSP_SQ_EUlSP_E0_NS1_11comp_targetILNS1_3genE8ELNS1_11target_archE1030ELNS1_3gpuE2ELNS1_3repE0EEENS1_30default_config_static_selectorELNS0_4arch9wavefront6targetE1EEEvT1_.kd
    .uniform_work_group_size: 1
    .uses_dynamic_stack: false
    .vgpr_count:     0
    .vgpr_spill_count: 0
    .wavefront_size: 64
  - .agpr_count:     0
    .args:
      - .offset:         0
        .size:           112
        .value_kind:     by_value
    .group_segment_fixed_size: 0
    .kernarg_segment_align: 8
    .kernarg_segment_size: 112
    .language:       OpenCL C
    .language_version:
      - 2
      - 0
    .max_flat_workgroup_size: 256
    .name:           _ZN7rocprim17ROCPRIM_400000_NS6detail17trampoline_kernelINS0_14default_configENS1_20scan_config_selectorIdEEZZNS1_9scan_implILNS1_25lookback_scan_determinismE0ELb0ELb0ES3_N6thrust23THRUST_200600_302600_NS6detail15normal_iteratorINS9_10device_ptrIdEEEENS9_16discard_iteratorINS9_11use_defaultEEEd11max_functorIdEdEEDaPvRmT3_T4_T5_mT6_P12ihipStream_tbENKUlT_T0_E_clISt17integral_constantIbLb0EESX_EEDaSS_ST_EUlSS_E_NS1_11comp_targetILNS1_3genE0ELNS1_11target_archE4294967295ELNS1_3gpuE0ELNS1_3repE0EEENS1_30default_config_static_selectorELNS0_4arch9wavefront6targetE1EEEvT1_
    .private_segment_fixed_size: 0
    .sgpr_count:     4
    .sgpr_spill_count: 0
    .symbol:         _ZN7rocprim17ROCPRIM_400000_NS6detail17trampoline_kernelINS0_14default_configENS1_20scan_config_selectorIdEEZZNS1_9scan_implILNS1_25lookback_scan_determinismE0ELb0ELb0ES3_N6thrust23THRUST_200600_302600_NS6detail15normal_iteratorINS9_10device_ptrIdEEEENS9_16discard_iteratorINS9_11use_defaultEEEd11max_functorIdEdEEDaPvRmT3_T4_T5_mT6_P12ihipStream_tbENKUlT_T0_E_clISt17integral_constantIbLb0EESX_EEDaSS_ST_EUlSS_E_NS1_11comp_targetILNS1_3genE0ELNS1_11target_archE4294967295ELNS1_3gpuE0ELNS1_3repE0EEENS1_30default_config_static_selectorELNS0_4arch9wavefront6targetE1EEEvT1_.kd
    .uniform_work_group_size: 1
    .uses_dynamic_stack: false
    .vgpr_count:     0
    .vgpr_spill_count: 0
    .wavefront_size: 64
  - .agpr_count:     0
    .args:
      - .offset:         0
        .size:           112
        .value_kind:     by_value
    .group_segment_fixed_size: 0
    .kernarg_segment_align: 8
    .kernarg_segment_size: 112
    .language:       OpenCL C
    .language_version:
      - 2
      - 0
    .max_flat_workgroup_size: 256
    .name:           _ZN7rocprim17ROCPRIM_400000_NS6detail17trampoline_kernelINS0_14default_configENS1_20scan_config_selectorIdEEZZNS1_9scan_implILNS1_25lookback_scan_determinismE0ELb0ELb0ES3_N6thrust23THRUST_200600_302600_NS6detail15normal_iteratorINS9_10device_ptrIdEEEENS9_16discard_iteratorINS9_11use_defaultEEEd11max_functorIdEdEEDaPvRmT3_T4_T5_mT6_P12ihipStream_tbENKUlT_T0_E_clISt17integral_constantIbLb0EESX_EEDaSS_ST_EUlSS_E_NS1_11comp_targetILNS1_3genE5ELNS1_11target_archE942ELNS1_3gpuE9ELNS1_3repE0EEENS1_30default_config_static_selectorELNS0_4arch9wavefront6targetE1EEEvT1_
    .private_segment_fixed_size: 0
    .sgpr_count:     4
    .sgpr_spill_count: 0
    .symbol:         _ZN7rocprim17ROCPRIM_400000_NS6detail17trampoline_kernelINS0_14default_configENS1_20scan_config_selectorIdEEZZNS1_9scan_implILNS1_25lookback_scan_determinismE0ELb0ELb0ES3_N6thrust23THRUST_200600_302600_NS6detail15normal_iteratorINS9_10device_ptrIdEEEENS9_16discard_iteratorINS9_11use_defaultEEEd11max_functorIdEdEEDaPvRmT3_T4_T5_mT6_P12ihipStream_tbENKUlT_T0_E_clISt17integral_constantIbLb0EESX_EEDaSS_ST_EUlSS_E_NS1_11comp_targetILNS1_3genE5ELNS1_11target_archE942ELNS1_3gpuE9ELNS1_3repE0EEENS1_30default_config_static_selectorELNS0_4arch9wavefront6targetE1EEEvT1_.kd
    .uniform_work_group_size: 1
    .uses_dynamic_stack: false
    .vgpr_count:     0
    .vgpr_spill_count: 0
    .wavefront_size: 64
  - .agpr_count:     0
    .args:
      - .offset:         0
        .size:           112
        .value_kind:     by_value
    .group_segment_fixed_size: 10240
    .kernarg_segment_align: 8
    .kernarg_segment_size: 112
    .language:       OpenCL C
    .language_version:
      - 2
      - 0
    .max_flat_workgroup_size: 128
    .name:           _ZN7rocprim17ROCPRIM_400000_NS6detail17trampoline_kernelINS0_14default_configENS1_20scan_config_selectorIdEEZZNS1_9scan_implILNS1_25lookback_scan_determinismE0ELb0ELb0ES3_N6thrust23THRUST_200600_302600_NS6detail15normal_iteratorINS9_10device_ptrIdEEEENS9_16discard_iteratorINS9_11use_defaultEEEd11max_functorIdEdEEDaPvRmT3_T4_T5_mT6_P12ihipStream_tbENKUlT_T0_E_clISt17integral_constantIbLb0EESX_EEDaSS_ST_EUlSS_E_NS1_11comp_targetILNS1_3genE4ELNS1_11target_archE910ELNS1_3gpuE8ELNS1_3repE0EEENS1_30default_config_static_selectorELNS0_4arch9wavefront6targetE1EEEvT1_
    .private_segment_fixed_size: 0
    .sgpr_count:     24
    .sgpr_spill_count: 0
    .symbol:         _ZN7rocprim17ROCPRIM_400000_NS6detail17trampoline_kernelINS0_14default_configENS1_20scan_config_selectorIdEEZZNS1_9scan_implILNS1_25lookback_scan_determinismE0ELb0ELb0ES3_N6thrust23THRUST_200600_302600_NS6detail15normal_iteratorINS9_10device_ptrIdEEEENS9_16discard_iteratorINS9_11use_defaultEEEd11max_functorIdEdEEDaPvRmT3_T4_T5_mT6_P12ihipStream_tbENKUlT_T0_E_clISt17integral_constantIbLb0EESX_EEDaSS_ST_EUlSS_E_NS1_11comp_targetILNS1_3genE4ELNS1_11target_archE910ELNS1_3gpuE8ELNS1_3repE0EEENS1_30default_config_static_selectorELNS0_4arch9wavefront6targetE1EEEvT1_.kd
    .uniform_work_group_size: 1
    .uses_dynamic_stack: false
    .vgpr_count:     58
    .vgpr_spill_count: 0
    .wavefront_size: 64
  - .agpr_count:     0
    .args:
      - .offset:         0
        .size:           112
        .value_kind:     by_value
    .group_segment_fixed_size: 0
    .kernarg_segment_align: 8
    .kernarg_segment_size: 112
    .language:       OpenCL C
    .language_version:
      - 2
      - 0
    .max_flat_workgroup_size: 256
    .name:           _ZN7rocprim17ROCPRIM_400000_NS6detail17trampoline_kernelINS0_14default_configENS1_20scan_config_selectorIdEEZZNS1_9scan_implILNS1_25lookback_scan_determinismE0ELb0ELb0ES3_N6thrust23THRUST_200600_302600_NS6detail15normal_iteratorINS9_10device_ptrIdEEEENS9_16discard_iteratorINS9_11use_defaultEEEd11max_functorIdEdEEDaPvRmT3_T4_T5_mT6_P12ihipStream_tbENKUlT_T0_E_clISt17integral_constantIbLb0EESX_EEDaSS_ST_EUlSS_E_NS1_11comp_targetILNS1_3genE3ELNS1_11target_archE908ELNS1_3gpuE7ELNS1_3repE0EEENS1_30default_config_static_selectorELNS0_4arch9wavefront6targetE1EEEvT1_
    .private_segment_fixed_size: 0
    .sgpr_count:     4
    .sgpr_spill_count: 0
    .symbol:         _ZN7rocprim17ROCPRIM_400000_NS6detail17trampoline_kernelINS0_14default_configENS1_20scan_config_selectorIdEEZZNS1_9scan_implILNS1_25lookback_scan_determinismE0ELb0ELb0ES3_N6thrust23THRUST_200600_302600_NS6detail15normal_iteratorINS9_10device_ptrIdEEEENS9_16discard_iteratorINS9_11use_defaultEEEd11max_functorIdEdEEDaPvRmT3_T4_T5_mT6_P12ihipStream_tbENKUlT_T0_E_clISt17integral_constantIbLb0EESX_EEDaSS_ST_EUlSS_E_NS1_11comp_targetILNS1_3genE3ELNS1_11target_archE908ELNS1_3gpuE7ELNS1_3repE0EEENS1_30default_config_static_selectorELNS0_4arch9wavefront6targetE1EEEvT1_.kd
    .uniform_work_group_size: 1
    .uses_dynamic_stack: false
    .vgpr_count:     0
    .vgpr_spill_count: 0
    .wavefront_size: 64
  - .agpr_count:     0
    .args:
      - .offset:         0
        .size:           112
        .value_kind:     by_value
    .group_segment_fixed_size: 0
    .kernarg_segment_align: 8
    .kernarg_segment_size: 112
    .language:       OpenCL C
    .language_version:
      - 2
      - 0
    .max_flat_workgroup_size: 128
    .name:           _ZN7rocprim17ROCPRIM_400000_NS6detail17trampoline_kernelINS0_14default_configENS1_20scan_config_selectorIdEEZZNS1_9scan_implILNS1_25lookback_scan_determinismE0ELb0ELb0ES3_N6thrust23THRUST_200600_302600_NS6detail15normal_iteratorINS9_10device_ptrIdEEEENS9_16discard_iteratorINS9_11use_defaultEEEd11max_functorIdEdEEDaPvRmT3_T4_T5_mT6_P12ihipStream_tbENKUlT_T0_E_clISt17integral_constantIbLb0EESX_EEDaSS_ST_EUlSS_E_NS1_11comp_targetILNS1_3genE2ELNS1_11target_archE906ELNS1_3gpuE6ELNS1_3repE0EEENS1_30default_config_static_selectorELNS0_4arch9wavefront6targetE1EEEvT1_
    .private_segment_fixed_size: 0
    .sgpr_count:     4
    .sgpr_spill_count: 0
    .symbol:         _ZN7rocprim17ROCPRIM_400000_NS6detail17trampoline_kernelINS0_14default_configENS1_20scan_config_selectorIdEEZZNS1_9scan_implILNS1_25lookback_scan_determinismE0ELb0ELb0ES3_N6thrust23THRUST_200600_302600_NS6detail15normal_iteratorINS9_10device_ptrIdEEEENS9_16discard_iteratorINS9_11use_defaultEEEd11max_functorIdEdEEDaPvRmT3_T4_T5_mT6_P12ihipStream_tbENKUlT_T0_E_clISt17integral_constantIbLb0EESX_EEDaSS_ST_EUlSS_E_NS1_11comp_targetILNS1_3genE2ELNS1_11target_archE906ELNS1_3gpuE6ELNS1_3repE0EEENS1_30default_config_static_selectorELNS0_4arch9wavefront6targetE1EEEvT1_.kd
    .uniform_work_group_size: 1
    .uses_dynamic_stack: false
    .vgpr_count:     0
    .vgpr_spill_count: 0
    .wavefront_size: 64
  - .agpr_count:     0
    .args:
      - .offset:         0
        .size:           112
        .value_kind:     by_value
    .group_segment_fixed_size: 0
    .kernarg_segment_align: 8
    .kernarg_segment_size: 112
    .language:       OpenCL C
    .language_version:
      - 2
      - 0
    .max_flat_workgroup_size: 256
    .name:           _ZN7rocprim17ROCPRIM_400000_NS6detail17trampoline_kernelINS0_14default_configENS1_20scan_config_selectorIdEEZZNS1_9scan_implILNS1_25lookback_scan_determinismE0ELb0ELb0ES3_N6thrust23THRUST_200600_302600_NS6detail15normal_iteratorINS9_10device_ptrIdEEEENS9_16discard_iteratorINS9_11use_defaultEEEd11max_functorIdEdEEDaPvRmT3_T4_T5_mT6_P12ihipStream_tbENKUlT_T0_E_clISt17integral_constantIbLb0EESX_EEDaSS_ST_EUlSS_E_NS1_11comp_targetILNS1_3genE10ELNS1_11target_archE1201ELNS1_3gpuE5ELNS1_3repE0EEENS1_30default_config_static_selectorELNS0_4arch9wavefront6targetE1EEEvT1_
    .private_segment_fixed_size: 0
    .sgpr_count:     4
    .sgpr_spill_count: 0
    .symbol:         _ZN7rocprim17ROCPRIM_400000_NS6detail17trampoline_kernelINS0_14default_configENS1_20scan_config_selectorIdEEZZNS1_9scan_implILNS1_25lookback_scan_determinismE0ELb0ELb0ES3_N6thrust23THRUST_200600_302600_NS6detail15normal_iteratorINS9_10device_ptrIdEEEENS9_16discard_iteratorINS9_11use_defaultEEEd11max_functorIdEdEEDaPvRmT3_T4_T5_mT6_P12ihipStream_tbENKUlT_T0_E_clISt17integral_constantIbLb0EESX_EEDaSS_ST_EUlSS_E_NS1_11comp_targetILNS1_3genE10ELNS1_11target_archE1201ELNS1_3gpuE5ELNS1_3repE0EEENS1_30default_config_static_selectorELNS0_4arch9wavefront6targetE1EEEvT1_.kd
    .uniform_work_group_size: 1
    .uses_dynamic_stack: false
    .vgpr_count:     0
    .vgpr_spill_count: 0
    .wavefront_size: 64
  - .agpr_count:     0
    .args:
      - .offset:         0
        .size:           112
        .value_kind:     by_value
    .group_segment_fixed_size: 0
    .kernarg_segment_align: 8
    .kernarg_segment_size: 112
    .language:       OpenCL C
    .language_version:
      - 2
      - 0
    .max_flat_workgroup_size: 256
    .name:           _ZN7rocprim17ROCPRIM_400000_NS6detail17trampoline_kernelINS0_14default_configENS1_20scan_config_selectorIdEEZZNS1_9scan_implILNS1_25lookback_scan_determinismE0ELb0ELb0ES3_N6thrust23THRUST_200600_302600_NS6detail15normal_iteratorINS9_10device_ptrIdEEEENS9_16discard_iteratorINS9_11use_defaultEEEd11max_functorIdEdEEDaPvRmT3_T4_T5_mT6_P12ihipStream_tbENKUlT_T0_E_clISt17integral_constantIbLb0EESX_EEDaSS_ST_EUlSS_E_NS1_11comp_targetILNS1_3genE10ELNS1_11target_archE1200ELNS1_3gpuE4ELNS1_3repE0EEENS1_30default_config_static_selectorELNS0_4arch9wavefront6targetE1EEEvT1_
    .private_segment_fixed_size: 0
    .sgpr_count:     4
    .sgpr_spill_count: 0
    .symbol:         _ZN7rocprim17ROCPRIM_400000_NS6detail17trampoline_kernelINS0_14default_configENS1_20scan_config_selectorIdEEZZNS1_9scan_implILNS1_25lookback_scan_determinismE0ELb0ELb0ES3_N6thrust23THRUST_200600_302600_NS6detail15normal_iteratorINS9_10device_ptrIdEEEENS9_16discard_iteratorINS9_11use_defaultEEEd11max_functorIdEdEEDaPvRmT3_T4_T5_mT6_P12ihipStream_tbENKUlT_T0_E_clISt17integral_constantIbLb0EESX_EEDaSS_ST_EUlSS_E_NS1_11comp_targetILNS1_3genE10ELNS1_11target_archE1200ELNS1_3gpuE4ELNS1_3repE0EEENS1_30default_config_static_selectorELNS0_4arch9wavefront6targetE1EEEvT1_.kd
    .uniform_work_group_size: 1
    .uses_dynamic_stack: false
    .vgpr_count:     0
    .vgpr_spill_count: 0
    .wavefront_size: 64
  - .agpr_count:     0
    .args:
      - .offset:         0
        .size:           112
        .value_kind:     by_value
    .group_segment_fixed_size: 0
    .kernarg_segment_align: 8
    .kernarg_segment_size: 112
    .language:       OpenCL C
    .language_version:
      - 2
      - 0
    .max_flat_workgroup_size: 256
    .name:           _ZN7rocprim17ROCPRIM_400000_NS6detail17trampoline_kernelINS0_14default_configENS1_20scan_config_selectorIdEEZZNS1_9scan_implILNS1_25lookback_scan_determinismE0ELb0ELb0ES3_N6thrust23THRUST_200600_302600_NS6detail15normal_iteratorINS9_10device_ptrIdEEEENS9_16discard_iteratorINS9_11use_defaultEEEd11max_functorIdEdEEDaPvRmT3_T4_T5_mT6_P12ihipStream_tbENKUlT_T0_E_clISt17integral_constantIbLb0EESX_EEDaSS_ST_EUlSS_E_NS1_11comp_targetILNS1_3genE9ELNS1_11target_archE1100ELNS1_3gpuE3ELNS1_3repE0EEENS1_30default_config_static_selectorELNS0_4arch9wavefront6targetE1EEEvT1_
    .private_segment_fixed_size: 0
    .sgpr_count:     4
    .sgpr_spill_count: 0
    .symbol:         _ZN7rocprim17ROCPRIM_400000_NS6detail17trampoline_kernelINS0_14default_configENS1_20scan_config_selectorIdEEZZNS1_9scan_implILNS1_25lookback_scan_determinismE0ELb0ELb0ES3_N6thrust23THRUST_200600_302600_NS6detail15normal_iteratorINS9_10device_ptrIdEEEENS9_16discard_iteratorINS9_11use_defaultEEEd11max_functorIdEdEEDaPvRmT3_T4_T5_mT6_P12ihipStream_tbENKUlT_T0_E_clISt17integral_constantIbLb0EESX_EEDaSS_ST_EUlSS_E_NS1_11comp_targetILNS1_3genE9ELNS1_11target_archE1100ELNS1_3gpuE3ELNS1_3repE0EEENS1_30default_config_static_selectorELNS0_4arch9wavefront6targetE1EEEvT1_.kd
    .uniform_work_group_size: 1
    .uses_dynamic_stack: false
    .vgpr_count:     0
    .vgpr_spill_count: 0
    .wavefront_size: 64
  - .agpr_count:     0
    .args:
      - .offset:         0
        .size:           112
        .value_kind:     by_value
    .group_segment_fixed_size: 0
    .kernarg_segment_align: 8
    .kernarg_segment_size: 112
    .language:       OpenCL C
    .language_version:
      - 2
      - 0
    .max_flat_workgroup_size: 128
    .name:           _ZN7rocprim17ROCPRIM_400000_NS6detail17trampoline_kernelINS0_14default_configENS1_20scan_config_selectorIdEEZZNS1_9scan_implILNS1_25lookback_scan_determinismE0ELb0ELb0ES3_N6thrust23THRUST_200600_302600_NS6detail15normal_iteratorINS9_10device_ptrIdEEEENS9_16discard_iteratorINS9_11use_defaultEEEd11max_functorIdEdEEDaPvRmT3_T4_T5_mT6_P12ihipStream_tbENKUlT_T0_E_clISt17integral_constantIbLb0EESX_EEDaSS_ST_EUlSS_E_NS1_11comp_targetILNS1_3genE8ELNS1_11target_archE1030ELNS1_3gpuE2ELNS1_3repE0EEENS1_30default_config_static_selectorELNS0_4arch9wavefront6targetE1EEEvT1_
    .private_segment_fixed_size: 0
    .sgpr_count:     4
    .sgpr_spill_count: 0
    .symbol:         _ZN7rocprim17ROCPRIM_400000_NS6detail17trampoline_kernelINS0_14default_configENS1_20scan_config_selectorIdEEZZNS1_9scan_implILNS1_25lookback_scan_determinismE0ELb0ELb0ES3_N6thrust23THRUST_200600_302600_NS6detail15normal_iteratorINS9_10device_ptrIdEEEENS9_16discard_iteratorINS9_11use_defaultEEEd11max_functorIdEdEEDaPvRmT3_T4_T5_mT6_P12ihipStream_tbENKUlT_T0_E_clISt17integral_constantIbLb0EESX_EEDaSS_ST_EUlSS_E_NS1_11comp_targetILNS1_3genE8ELNS1_11target_archE1030ELNS1_3gpuE2ELNS1_3repE0EEENS1_30default_config_static_selectorELNS0_4arch9wavefront6targetE1EEEvT1_.kd
    .uniform_work_group_size: 1
    .uses_dynamic_stack: false
    .vgpr_count:     0
    .vgpr_spill_count: 0
    .wavefront_size: 64
  - .agpr_count:     0
    .args:
      - .offset:         0
        .size:           48
        .value_kind:     by_value
    .group_segment_fixed_size: 0
    .kernarg_segment_align: 8
    .kernarg_segment_size: 48
    .language:       OpenCL C
    .language_version:
      - 2
      - 0
    .max_flat_workgroup_size: 256
    .name:           _ZN7rocprim17ROCPRIM_400000_NS6detail17trampoline_kernelINS0_14default_configENS1_20scan_config_selectorIdEEZZNS1_9scan_implILNS1_25lookback_scan_determinismE0ELb0ELb0ES3_N6thrust23THRUST_200600_302600_NS6detail15normal_iteratorINS9_10device_ptrIdEEEENS9_16discard_iteratorINS9_11use_defaultEEEd11max_functorIdEdEEDaPvRmT3_T4_T5_mT6_P12ihipStream_tbENKUlT_T0_E_clISt17integral_constantIbLb0EESX_EEDaSS_ST_EUlSS_E0_NS1_11comp_targetILNS1_3genE0ELNS1_11target_archE4294967295ELNS1_3gpuE0ELNS1_3repE0EEENS1_30default_config_static_selectorELNS0_4arch9wavefront6targetE1EEEvT1_
    .private_segment_fixed_size: 0
    .sgpr_count:     4
    .sgpr_spill_count: 0
    .symbol:         _ZN7rocprim17ROCPRIM_400000_NS6detail17trampoline_kernelINS0_14default_configENS1_20scan_config_selectorIdEEZZNS1_9scan_implILNS1_25lookback_scan_determinismE0ELb0ELb0ES3_N6thrust23THRUST_200600_302600_NS6detail15normal_iteratorINS9_10device_ptrIdEEEENS9_16discard_iteratorINS9_11use_defaultEEEd11max_functorIdEdEEDaPvRmT3_T4_T5_mT6_P12ihipStream_tbENKUlT_T0_E_clISt17integral_constantIbLb0EESX_EEDaSS_ST_EUlSS_E0_NS1_11comp_targetILNS1_3genE0ELNS1_11target_archE4294967295ELNS1_3gpuE0ELNS1_3repE0EEENS1_30default_config_static_selectorELNS0_4arch9wavefront6targetE1EEEvT1_.kd
    .uniform_work_group_size: 1
    .uses_dynamic_stack: false
    .vgpr_count:     0
    .vgpr_spill_count: 0
    .wavefront_size: 64
  - .agpr_count:     0
    .args:
      - .offset:         0
        .size:           48
        .value_kind:     by_value
    .group_segment_fixed_size: 0
    .kernarg_segment_align: 8
    .kernarg_segment_size: 48
    .language:       OpenCL C
    .language_version:
      - 2
      - 0
    .max_flat_workgroup_size: 256
    .name:           _ZN7rocprim17ROCPRIM_400000_NS6detail17trampoline_kernelINS0_14default_configENS1_20scan_config_selectorIdEEZZNS1_9scan_implILNS1_25lookback_scan_determinismE0ELb0ELb0ES3_N6thrust23THRUST_200600_302600_NS6detail15normal_iteratorINS9_10device_ptrIdEEEENS9_16discard_iteratorINS9_11use_defaultEEEd11max_functorIdEdEEDaPvRmT3_T4_T5_mT6_P12ihipStream_tbENKUlT_T0_E_clISt17integral_constantIbLb0EESX_EEDaSS_ST_EUlSS_E0_NS1_11comp_targetILNS1_3genE5ELNS1_11target_archE942ELNS1_3gpuE9ELNS1_3repE0EEENS1_30default_config_static_selectorELNS0_4arch9wavefront6targetE1EEEvT1_
    .private_segment_fixed_size: 0
    .sgpr_count:     4
    .sgpr_spill_count: 0
    .symbol:         _ZN7rocprim17ROCPRIM_400000_NS6detail17trampoline_kernelINS0_14default_configENS1_20scan_config_selectorIdEEZZNS1_9scan_implILNS1_25lookback_scan_determinismE0ELb0ELb0ES3_N6thrust23THRUST_200600_302600_NS6detail15normal_iteratorINS9_10device_ptrIdEEEENS9_16discard_iteratorINS9_11use_defaultEEEd11max_functorIdEdEEDaPvRmT3_T4_T5_mT6_P12ihipStream_tbENKUlT_T0_E_clISt17integral_constantIbLb0EESX_EEDaSS_ST_EUlSS_E0_NS1_11comp_targetILNS1_3genE5ELNS1_11target_archE942ELNS1_3gpuE9ELNS1_3repE0EEENS1_30default_config_static_selectorELNS0_4arch9wavefront6targetE1EEEvT1_.kd
    .uniform_work_group_size: 1
    .uses_dynamic_stack: false
    .vgpr_count:     0
    .vgpr_spill_count: 0
    .wavefront_size: 64
  - .agpr_count:     0
    .args:
      - .offset:         0
        .size:           48
        .value_kind:     by_value
    .group_segment_fixed_size: 10240
    .kernarg_segment_align: 8
    .kernarg_segment_size: 48
    .language:       OpenCL C
    .language_version:
      - 2
      - 0
    .max_flat_workgroup_size: 128
    .name:           _ZN7rocprim17ROCPRIM_400000_NS6detail17trampoline_kernelINS0_14default_configENS1_20scan_config_selectorIdEEZZNS1_9scan_implILNS1_25lookback_scan_determinismE0ELb0ELb0ES3_N6thrust23THRUST_200600_302600_NS6detail15normal_iteratorINS9_10device_ptrIdEEEENS9_16discard_iteratorINS9_11use_defaultEEEd11max_functorIdEdEEDaPvRmT3_T4_T5_mT6_P12ihipStream_tbENKUlT_T0_E_clISt17integral_constantIbLb0EESX_EEDaSS_ST_EUlSS_E0_NS1_11comp_targetILNS1_3genE4ELNS1_11target_archE910ELNS1_3gpuE8ELNS1_3repE0EEENS1_30default_config_static_selectorELNS0_4arch9wavefront6targetE1EEEvT1_
    .private_segment_fixed_size: 0
    .sgpr_count:     12
    .sgpr_spill_count: 0
    .symbol:         _ZN7rocprim17ROCPRIM_400000_NS6detail17trampoline_kernelINS0_14default_configENS1_20scan_config_selectorIdEEZZNS1_9scan_implILNS1_25lookback_scan_determinismE0ELb0ELb0ES3_N6thrust23THRUST_200600_302600_NS6detail15normal_iteratorINS9_10device_ptrIdEEEENS9_16discard_iteratorINS9_11use_defaultEEEd11max_functorIdEdEEDaPvRmT3_T4_T5_mT6_P12ihipStream_tbENKUlT_T0_E_clISt17integral_constantIbLb0EESX_EEDaSS_ST_EUlSS_E0_NS1_11comp_targetILNS1_3genE4ELNS1_11target_archE910ELNS1_3gpuE8ELNS1_3repE0EEENS1_30default_config_static_selectorELNS0_4arch9wavefront6targetE1EEEvT1_.kd
    .uniform_work_group_size: 1
    .uses_dynamic_stack: false
    .vgpr_count:     31
    .vgpr_spill_count: 0
    .wavefront_size: 64
  - .agpr_count:     0
    .args:
      - .offset:         0
        .size:           48
        .value_kind:     by_value
    .group_segment_fixed_size: 0
    .kernarg_segment_align: 8
    .kernarg_segment_size: 48
    .language:       OpenCL C
    .language_version:
      - 2
      - 0
    .max_flat_workgroup_size: 256
    .name:           _ZN7rocprim17ROCPRIM_400000_NS6detail17trampoline_kernelINS0_14default_configENS1_20scan_config_selectorIdEEZZNS1_9scan_implILNS1_25lookback_scan_determinismE0ELb0ELb0ES3_N6thrust23THRUST_200600_302600_NS6detail15normal_iteratorINS9_10device_ptrIdEEEENS9_16discard_iteratorINS9_11use_defaultEEEd11max_functorIdEdEEDaPvRmT3_T4_T5_mT6_P12ihipStream_tbENKUlT_T0_E_clISt17integral_constantIbLb0EESX_EEDaSS_ST_EUlSS_E0_NS1_11comp_targetILNS1_3genE3ELNS1_11target_archE908ELNS1_3gpuE7ELNS1_3repE0EEENS1_30default_config_static_selectorELNS0_4arch9wavefront6targetE1EEEvT1_
    .private_segment_fixed_size: 0
    .sgpr_count:     4
    .sgpr_spill_count: 0
    .symbol:         _ZN7rocprim17ROCPRIM_400000_NS6detail17trampoline_kernelINS0_14default_configENS1_20scan_config_selectorIdEEZZNS1_9scan_implILNS1_25lookback_scan_determinismE0ELb0ELb0ES3_N6thrust23THRUST_200600_302600_NS6detail15normal_iteratorINS9_10device_ptrIdEEEENS9_16discard_iteratorINS9_11use_defaultEEEd11max_functorIdEdEEDaPvRmT3_T4_T5_mT6_P12ihipStream_tbENKUlT_T0_E_clISt17integral_constantIbLb0EESX_EEDaSS_ST_EUlSS_E0_NS1_11comp_targetILNS1_3genE3ELNS1_11target_archE908ELNS1_3gpuE7ELNS1_3repE0EEENS1_30default_config_static_selectorELNS0_4arch9wavefront6targetE1EEEvT1_.kd
    .uniform_work_group_size: 1
    .uses_dynamic_stack: false
    .vgpr_count:     0
    .vgpr_spill_count: 0
    .wavefront_size: 64
  - .agpr_count:     0
    .args:
      - .offset:         0
        .size:           48
        .value_kind:     by_value
    .group_segment_fixed_size: 0
    .kernarg_segment_align: 8
    .kernarg_segment_size: 48
    .language:       OpenCL C
    .language_version:
      - 2
      - 0
    .max_flat_workgroup_size: 128
    .name:           _ZN7rocprim17ROCPRIM_400000_NS6detail17trampoline_kernelINS0_14default_configENS1_20scan_config_selectorIdEEZZNS1_9scan_implILNS1_25lookback_scan_determinismE0ELb0ELb0ES3_N6thrust23THRUST_200600_302600_NS6detail15normal_iteratorINS9_10device_ptrIdEEEENS9_16discard_iteratorINS9_11use_defaultEEEd11max_functorIdEdEEDaPvRmT3_T4_T5_mT6_P12ihipStream_tbENKUlT_T0_E_clISt17integral_constantIbLb0EESX_EEDaSS_ST_EUlSS_E0_NS1_11comp_targetILNS1_3genE2ELNS1_11target_archE906ELNS1_3gpuE6ELNS1_3repE0EEENS1_30default_config_static_selectorELNS0_4arch9wavefront6targetE1EEEvT1_
    .private_segment_fixed_size: 0
    .sgpr_count:     4
    .sgpr_spill_count: 0
    .symbol:         _ZN7rocprim17ROCPRIM_400000_NS6detail17trampoline_kernelINS0_14default_configENS1_20scan_config_selectorIdEEZZNS1_9scan_implILNS1_25lookback_scan_determinismE0ELb0ELb0ES3_N6thrust23THRUST_200600_302600_NS6detail15normal_iteratorINS9_10device_ptrIdEEEENS9_16discard_iteratorINS9_11use_defaultEEEd11max_functorIdEdEEDaPvRmT3_T4_T5_mT6_P12ihipStream_tbENKUlT_T0_E_clISt17integral_constantIbLb0EESX_EEDaSS_ST_EUlSS_E0_NS1_11comp_targetILNS1_3genE2ELNS1_11target_archE906ELNS1_3gpuE6ELNS1_3repE0EEENS1_30default_config_static_selectorELNS0_4arch9wavefront6targetE1EEEvT1_.kd
    .uniform_work_group_size: 1
    .uses_dynamic_stack: false
    .vgpr_count:     0
    .vgpr_spill_count: 0
    .wavefront_size: 64
  - .agpr_count:     0
    .args:
      - .offset:         0
        .size:           48
        .value_kind:     by_value
    .group_segment_fixed_size: 0
    .kernarg_segment_align: 8
    .kernarg_segment_size: 48
    .language:       OpenCL C
    .language_version:
      - 2
      - 0
    .max_flat_workgroup_size: 256
    .name:           _ZN7rocprim17ROCPRIM_400000_NS6detail17trampoline_kernelINS0_14default_configENS1_20scan_config_selectorIdEEZZNS1_9scan_implILNS1_25lookback_scan_determinismE0ELb0ELb0ES3_N6thrust23THRUST_200600_302600_NS6detail15normal_iteratorINS9_10device_ptrIdEEEENS9_16discard_iteratorINS9_11use_defaultEEEd11max_functorIdEdEEDaPvRmT3_T4_T5_mT6_P12ihipStream_tbENKUlT_T0_E_clISt17integral_constantIbLb0EESX_EEDaSS_ST_EUlSS_E0_NS1_11comp_targetILNS1_3genE10ELNS1_11target_archE1201ELNS1_3gpuE5ELNS1_3repE0EEENS1_30default_config_static_selectorELNS0_4arch9wavefront6targetE1EEEvT1_
    .private_segment_fixed_size: 0
    .sgpr_count:     4
    .sgpr_spill_count: 0
    .symbol:         _ZN7rocprim17ROCPRIM_400000_NS6detail17trampoline_kernelINS0_14default_configENS1_20scan_config_selectorIdEEZZNS1_9scan_implILNS1_25lookback_scan_determinismE0ELb0ELb0ES3_N6thrust23THRUST_200600_302600_NS6detail15normal_iteratorINS9_10device_ptrIdEEEENS9_16discard_iteratorINS9_11use_defaultEEEd11max_functorIdEdEEDaPvRmT3_T4_T5_mT6_P12ihipStream_tbENKUlT_T0_E_clISt17integral_constantIbLb0EESX_EEDaSS_ST_EUlSS_E0_NS1_11comp_targetILNS1_3genE10ELNS1_11target_archE1201ELNS1_3gpuE5ELNS1_3repE0EEENS1_30default_config_static_selectorELNS0_4arch9wavefront6targetE1EEEvT1_.kd
    .uniform_work_group_size: 1
    .uses_dynamic_stack: false
    .vgpr_count:     0
    .vgpr_spill_count: 0
    .wavefront_size: 64
  - .agpr_count:     0
    .args:
      - .offset:         0
        .size:           48
        .value_kind:     by_value
    .group_segment_fixed_size: 0
    .kernarg_segment_align: 8
    .kernarg_segment_size: 48
    .language:       OpenCL C
    .language_version:
      - 2
      - 0
    .max_flat_workgroup_size: 256
    .name:           _ZN7rocprim17ROCPRIM_400000_NS6detail17trampoline_kernelINS0_14default_configENS1_20scan_config_selectorIdEEZZNS1_9scan_implILNS1_25lookback_scan_determinismE0ELb0ELb0ES3_N6thrust23THRUST_200600_302600_NS6detail15normal_iteratorINS9_10device_ptrIdEEEENS9_16discard_iteratorINS9_11use_defaultEEEd11max_functorIdEdEEDaPvRmT3_T4_T5_mT6_P12ihipStream_tbENKUlT_T0_E_clISt17integral_constantIbLb0EESX_EEDaSS_ST_EUlSS_E0_NS1_11comp_targetILNS1_3genE10ELNS1_11target_archE1200ELNS1_3gpuE4ELNS1_3repE0EEENS1_30default_config_static_selectorELNS0_4arch9wavefront6targetE1EEEvT1_
    .private_segment_fixed_size: 0
    .sgpr_count:     4
    .sgpr_spill_count: 0
    .symbol:         _ZN7rocprim17ROCPRIM_400000_NS6detail17trampoline_kernelINS0_14default_configENS1_20scan_config_selectorIdEEZZNS1_9scan_implILNS1_25lookback_scan_determinismE0ELb0ELb0ES3_N6thrust23THRUST_200600_302600_NS6detail15normal_iteratorINS9_10device_ptrIdEEEENS9_16discard_iteratorINS9_11use_defaultEEEd11max_functorIdEdEEDaPvRmT3_T4_T5_mT6_P12ihipStream_tbENKUlT_T0_E_clISt17integral_constantIbLb0EESX_EEDaSS_ST_EUlSS_E0_NS1_11comp_targetILNS1_3genE10ELNS1_11target_archE1200ELNS1_3gpuE4ELNS1_3repE0EEENS1_30default_config_static_selectorELNS0_4arch9wavefront6targetE1EEEvT1_.kd
    .uniform_work_group_size: 1
    .uses_dynamic_stack: false
    .vgpr_count:     0
    .vgpr_spill_count: 0
    .wavefront_size: 64
  - .agpr_count:     0
    .args:
      - .offset:         0
        .size:           48
        .value_kind:     by_value
    .group_segment_fixed_size: 0
    .kernarg_segment_align: 8
    .kernarg_segment_size: 48
    .language:       OpenCL C
    .language_version:
      - 2
      - 0
    .max_flat_workgroup_size: 256
    .name:           _ZN7rocprim17ROCPRIM_400000_NS6detail17trampoline_kernelINS0_14default_configENS1_20scan_config_selectorIdEEZZNS1_9scan_implILNS1_25lookback_scan_determinismE0ELb0ELb0ES3_N6thrust23THRUST_200600_302600_NS6detail15normal_iteratorINS9_10device_ptrIdEEEENS9_16discard_iteratorINS9_11use_defaultEEEd11max_functorIdEdEEDaPvRmT3_T4_T5_mT6_P12ihipStream_tbENKUlT_T0_E_clISt17integral_constantIbLb0EESX_EEDaSS_ST_EUlSS_E0_NS1_11comp_targetILNS1_3genE9ELNS1_11target_archE1100ELNS1_3gpuE3ELNS1_3repE0EEENS1_30default_config_static_selectorELNS0_4arch9wavefront6targetE1EEEvT1_
    .private_segment_fixed_size: 0
    .sgpr_count:     4
    .sgpr_spill_count: 0
    .symbol:         _ZN7rocprim17ROCPRIM_400000_NS6detail17trampoline_kernelINS0_14default_configENS1_20scan_config_selectorIdEEZZNS1_9scan_implILNS1_25lookback_scan_determinismE0ELb0ELb0ES3_N6thrust23THRUST_200600_302600_NS6detail15normal_iteratorINS9_10device_ptrIdEEEENS9_16discard_iteratorINS9_11use_defaultEEEd11max_functorIdEdEEDaPvRmT3_T4_T5_mT6_P12ihipStream_tbENKUlT_T0_E_clISt17integral_constantIbLb0EESX_EEDaSS_ST_EUlSS_E0_NS1_11comp_targetILNS1_3genE9ELNS1_11target_archE1100ELNS1_3gpuE3ELNS1_3repE0EEENS1_30default_config_static_selectorELNS0_4arch9wavefront6targetE1EEEvT1_.kd
    .uniform_work_group_size: 1
    .uses_dynamic_stack: false
    .vgpr_count:     0
    .vgpr_spill_count: 0
    .wavefront_size: 64
  - .agpr_count:     0
    .args:
      - .offset:         0
        .size:           48
        .value_kind:     by_value
    .group_segment_fixed_size: 0
    .kernarg_segment_align: 8
    .kernarg_segment_size: 48
    .language:       OpenCL C
    .language_version:
      - 2
      - 0
    .max_flat_workgroup_size: 128
    .name:           _ZN7rocprim17ROCPRIM_400000_NS6detail17trampoline_kernelINS0_14default_configENS1_20scan_config_selectorIdEEZZNS1_9scan_implILNS1_25lookback_scan_determinismE0ELb0ELb0ES3_N6thrust23THRUST_200600_302600_NS6detail15normal_iteratorINS9_10device_ptrIdEEEENS9_16discard_iteratorINS9_11use_defaultEEEd11max_functorIdEdEEDaPvRmT3_T4_T5_mT6_P12ihipStream_tbENKUlT_T0_E_clISt17integral_constantIbLb0EESX_EEDaSS_ST_EUlSS_E0_NS1_11comp_targetILNS1_3genE8ELNS1_11target_archE1030ELNS1_3gpuE2ELNS1_3repE0EEENS1_30default_config_static_selectorELNS0_4arch9wavefront6targetE1EEEvT1_
    .private_segment_fixed_size: 0
    .sgpr_count:     4
    .sgpr_spill_count: 0
    .symbol:         _ZN7rocprim17ROCPRIM_400000_NS6detail17trampoline_kernelINS0_14default_configENS1_20scan_config_selectorIdEEZZNS1_9scan_implILNS1_25lookback_scan_determinismE0ELb0ELb0ES3_N6thrust23THRUST_200600_302600_NS6detail15normal_iteratorINS9_10device_ptrIdEEEENS9_16discard_iteratorINS9_11use_defaultEEEd11max_functorIdEdEEDaPvRmT3_T4_T5_mT6_P12ihipStream_tbENKUlT_T0_E_clISt17integral_constantIbLb0EESX_EEDaSS_ST_EUlSS_E0_NS1_11comp_targetILNS1_3genE8ELNS1_11target_archE1030ELNS1_3gpuE2ELNS1_3repE0EEENS1_30default_config_static_selectorELNS0_4arch9wavefront6targetE1EEEvT1_.kd
    .uniform_work_group_size: 1
    .uses_dynamic_stack: false
    .vgpr_count:     0
    .vgpr_spill_count: 0
    .wavefront_size: 64
  - .agpr_count:     0
    .args:
      - .offset:         0
        .size:           112
        .value_kind:     by_value
    .group_segment_fixed_size: 0
    .kernarg_segment_align: 8
    .kernarg_segment_size: 112
    .language:       OpenCL C
    .language_version:
      - 2
      - 0
    .max_flat_workgroup_size: 256
    .name:           _ZN7rocprim17ROCPRIM_400000_NS6detail17trampoline_kernelINS0_14default_configENS1_20scan_config_selectorIdEEZZNS1_9scan_implILNS1_25lookback_scan_determinismE0ELb0ELb0ES3_N6thrust23THRUST_200600_302600_NS6detail15normal_iteratorINS9_10device_ptrIdEEEENS9_16discard_iteratorINS9_11use_defaultEEEd11max_functorIdEdEEDaPvRmT3_T4_T5_mT6_P12ihipStream_tbENKUlT_T0_E_clISt17integral_constantIbLb1EESX_EEDaSS_ST_EUlSS_E_NS1_11comp_targetILNS1_3genE0ELNS1_11target_archE4294967295ELNS1_3gpuE0ELNS1_3repE0EEENS1_30default_config_static_selectorELNS0_4arch9wavefront6targetE1EEEvT1_
    .private_segment_fixed_size: 0
    .sgpr_count:     4
    .sgpr_spill_count: 0
    .symbol:         _ZN7rocprim17ROCPRIM_400000_NS6detail17trampoline_kernelINS0_14default_configENS1_20scan_config_selectorIdEEZZNS1_9scan_implILNS1_25lookback_scan_determinismE0ELb0ELb0ES3_N6thrust23THRUST_200600_302600_NS6detail15normal_iteratorINS9_10device_ptrIdEEEENS9_16discard_iteratorINS9_11use_defaultEEEd11max_functorIdEdEEDaPvRmT3_T4_T5_mT6_P12ihipStream_tbENKUlT_T0_E_clISt17integral_constantIbLb1EESX_EEDaSS_ST_EUlSS_E_NS1_11comp_targetILNS1_3genE0ELNS1_11target_archE4294967295ELNS1_3gpuE0ELNS1_3repE0EEENS1_30default_config_static_selectorELNS0_4arch9wavefront6targetE1EEEvT1_.kd
    .uniform_work_group_size: 1
    .uses_dynamic_stack: false
    .vgpr_count:     0
    .vgpr_spill_count: 0
    .wavefront_size: 64
  - .agpr_count:     0
    .args:
      - .offset:         0
        .size:           112
        .value_kind:     by_value
    .group_segment_fixed_size: 0
    .kernarg_segment_align: 8
    .kernarg_segment_size: 112
    .language:       OpenCL C
    .language_version:
      - 2
      - 0
    .max_flat_workgroup_size: 256
    .name:           _ZN7rocprim17ROCPRIM_400000_NS6detail17trampoline_kernelINS0_14default_configENS1_20scan_config_selectorIdEEZZNS1_9scan_implILNS1_25lookback_scan_determinismE0ELb0ELb0ES3_N6thrust23THRUST_200600_302600_NS6detail15normal_iteratorINS9_10device_ptrIdEEEENS9_16discard_iteratorINS9_11use_defaultEEEd11max_functorIdEdEEDaPvRmT3_T4_T5_mT6_P12ihipStream_tbENKUlT_T0_E_clISt17integral_constantIbLb1EESX_EEDaSS_ST_EUlSS_E_NS1_11comp_targetILNS1_3genE5ELNS1_11target_archE942ELNS1_3gpuE9ELNS1_3repE0EEENS1_30default_config_static_selectorELNS0_4arch9wavefront6targetE1EEEvT1_
    .private_segment_fixed_size: 0
    .sgpr_count:     4
    .sgpr_spill_count: 0
    .symbol:         _ZN7rocprim17ROCPRIM_400000_NS6detail17trampoline_kernelINS0_14default_configENS1_20scan_config_selectorIdEEZZNS1_9scan_implILNS1_25lookback_scan_determinismE0ELb0ELb0ES3_N6thrust23THRUST_200600_302600_NS6detail15normal_iteratorINS9_10device_ptrIdEEEENS9_16discard_iteratorINS9_11use_defaultEEEd11max_functorIdEdEEDaPvRmT3_T4_T5_mT6_P12ihipStream_tbENKUlT_T0_E_clISt17integral_constantIbLb1EESX_EEDaSS_ST_EUlSS_E_NS1_11comp_targetILNS1_3genE5ELNS1_11target_archE942ELNS1_3gpuE9ELNS1_3repE0EEENS1_30default_config_static_selectorELNS0_4arch9wavefront6targetE1EEEvT1_.kd
    .uniform_work_group_size: 1
    .uses_dynamic_stack: false
    .vgpr_count:     0
    .vgpr_spill_count: 0
    .wavefront_size: 64
  - .agpr_count:     0
    .args:
      - .offset:         0
        .size:           112
        .value_kind:     by_value
    .group_segment_fixed_size: 10240
    .kernarg_segment_align: 8
    .kernarg_segment_size: 112
    .language:       OpenCL C
    .language_version:
      - 2
      - 0
    .max_flat_workgroup_size: 128
    .name:           _ZN7rocprim17ROCPRIM_400000_NS6detail17trampoline_kernelINS0_14default_configENS1_20scan_config_selectorIdEEZZNS1_9scan_implILNS1_25lookback_scan_determinismE0ELb0ELb0ES3_N6thrust23THRUST_200600_302600_NS6detail15normal_iteratorINS9_10device_ptrIdEEEENS9_16discard_iteratorINS9_11use_defaultEEEd11max_functorIdEdEEDaPvRmT3_T4_T5_mT6_P12ihipStream_tbENKUlT_T0_E_clISt17integral_constantIbLb1EESX_EEDaSS_ST_EUlSS_E_NS1_11comp_targetILNS1_3genE4ELNS1_11target_archE910ELNS1_3gpuE8ELNS1_3repE0EEENS1_30default_config_static_selectorELNS0_4arch9wavefront6targetE1EEEvT1_
    .private_segment_fixed_size: 0
    .sgpr_count:     34
    .sgpr_spill_count: 0
    .symbol:         _ZN7rocprim17ROCPRIM_400000_NS6detail17trampoline_kernelINS0_14default_configENS1_20scan_config_selectorIdEEZZNS1_9scan_implILNS1_25lookback_scan_determinismE0ELb0ELb0ES3_N6thrust23THRUST_200600_302600_NS6detail15normal_iteratorINS9_10device_ptrIdEEEENS9_16discard_iteratorINS9_11use_defaultEEEd11max_functorIdEdEEDaPvRmT3_T4_T5_mT6_P12ihipStream_tbENKUlT_T0_E_clISt17integral_constantIbLb1EESX_EEDaSS_ST_EUlSS_E_NS1_11comp_targetILNS1_3genE4ELNS1_11target_archE910ELNS1_3gpuE8ELNS1_3repE0EEENS1_30default_config_static_selectorELNS0_4arch9wavefront6targetE1EEEvT1_.kd
    .uniform_work_group_size: 1
    .uses_dynamic_stack: false
    .vgpr_count:     58
    .vgpr_spill_count: 0
    .wavefront_size: 64
  - .agpr_count:     0
    .args:
      - .offset:         0
        .size:           112
        .value_kind:     by_value
    .group_segment_fixed_size: 0
    .kernarg_segment_align: 8
    .kernarg_segment_size: 112
    .language:       OpenCL C
    .language_version:
      - 2
      - 0
    .max_flat_workgroup_size: 256
    .name:           _ZN7rocprim17ROCPRIM_400000_NS6detail17trampoline_kernelINS0_14default_configENS1_20scan_config_selectorIdEEZZNS1_9scan_implILNS1_25lookback_scan_determinismE0ELb0ELb0ES3_N6thrust23THRUST_200600_302600_NS6detail15normal_iteratorINS9_10device_ptrIdEEEENS9_16discard_iteratorINS9_11use_defaultEEEd11max_functorIdEdEEDaPvRmT3_T4_T5_mT6_P12ihipStream_tbENKUlT_T0_E_clISt17integral_constantIbLb1EESX_EEDaSS_ST_EUlSS_E_NS1_11comp_targetILNS1_3genE3ELNS1_11target_archE908ELNS1_3gpuE7ELNS1_3repE0EEENS1_30default_config_static_selectorELNS0_4arch9wavefront6targetE1EEEvT1_
    .private_segment_fixed_size: 0
    .sgpr_count:     4
    .sgpr_spill_count: 0
    .symbol:         _ZN7rocprim17ROCPRIM_400000_NS6detail17trampoline_kernelINS0_14default_configENS1_20scan_config_selectorIdEEZZNS1_9scan_implILNS1_25lookback_scan_determinismE0ELb0ELb0ES3_N6thrust23THRUST_200600_302600_NS6detail15normal_iteratorINS9_10device_ptrIdEEEENS9_16discard_iteratorINS9_11use_defaultEEEd11max_functorIdEdEEDaPvRmT3_T4_T5_mT6_P12ihipStream_tbENKUlT_T0_E_clISt17integral_constantIbLb1EESX_EEDaSS_ST_EUlSS_E_NS1_11comp_targetILNS1_3genE3ELNS1_11target_archE908ELNS1_3gpuE7ELNS1_3repE0EEENS1_30default_config_static_selectorELNS0_4arch9wavefront6targetE1EEEvT1_.kd
    .uniform_work_group_size: 1
    .uses_dynamic_stack: false
    .vgpr_count:     0
    .vgpr_spill_count: 0
    .wavefront_size: 64
  - .agpr_count:     0
    .args:
      - .offset:         0
        .size:           112
        .value_kind:     by_value
    .group_segment_fixed_size: 0
    .kernarg_segment_align: 8
    .kernarg_segment_size: 112
    .language:       OpenCL C
    .language_version:
      - 2
      - 0
    .max_flat_workgroup_size: 128
    .name:           _ZN7rocprim17ROCPRIM_400000_NS6detail17trampoline_kernelINS0_14default_configENS1_20scan_config_selectorIdEEZZNS1_9scan_implILNS1_25lookback_scan_determinismE0ELb0ELb0ES3_N6thrust23THRUST_200600_302600_NS6detail15normal_iteratorINS9_10device_ptrIdEEEENS9_16discard_iteratorINS9_11use_defaultEEEd11max_functorIdEdEEDaPvRmT3_T4_T5_mT6_P12ihipStream_tbENKUlT_T0_E_clISt17integral_constantIbLb1EESX_EEDaSS_ST_EUlSS_E_NS1_11comp_targetILNS1_3genE2ELNS1_11target_archE906ELNS1_3gpuE6ELNS1_3repE0EEENS1_30default_config_static_selectorELNS0_4arch9wavefront6targetE1EEEvT1_
    .private_segment_fixed_size: 0
    .sgpr_count:     4
    .sgpr_spill_count: 0
    .symbol:         _ZN7rocprim17ROCPRIM_400000_NS6detail17trampoline_kernelINS0_14default_configENS1_20scan_config_selectorIdEEZZNS1_9scan_implILNS1_25lookback_scan_determinismE0ELb0ELb0ES3_N6thrust23THRUST_200600_302600_NS6detail15normal_iteratorINS9_10device_ptrIdEEEENS9_16discard_iteratorINS9_11use_defaultEEEd11max_functorIdEdEEDaPvRmT3_T4_T5_mT6_P12ihipStream_tbENKUlT_T0_E_clISt17integral_constantIbLb1EESX_EEDaSS_ST_EUlSS_E_NS1_11comp_targetILNS1_3genE2ELNS1_11target_archE906ELNS1_3gpuE6ELNS1_3repE0EEENS1_30default_config_static_selectorELNS0_4arch9wavefront6targetE1EEEvT1_.kd
    .uniform_work_group_size: 1
    .uses_dynamic_stack: false
    .vgpr_count:     0
    .vgpr_spill_count: 0
    .wavefront_size: 64
  - .agpr_count:     0
    .args:
      - .offset:         0
        .size:           112
        .value_kind:     by_value
    .group_segment_fixed_size: 0
    .kernarg_segment_align: 8
    .kernarg_segment_size: 112
    .language:       OpenCL C
    .language_version:
      - 2
      - 0
    .max_flat_workgroup_size: 256
    .name:           _ZN7rocprim17ROCPRIM_400000_NS6detail17trampoline_kernelINS0_14default_configENS1_20scan_config_selectorIdEEZZNS1_9scan_implILNS1_25lookback_scan_determinismE0ELb0ELb0ES3_N6thrust23THRUST_200600_302600_NS6detail15normal_iteratorINS9_10device_ptrIdEEEENS9_16discard_iteratorINS9_11use_defaultEEEd11max_functorIdEdEEDaPvRmT3_T4_T5_mT6_P12ihipStream_tbENKUlT_T0_E_clISt17integral_constantIbLb1EESX_EEDaSS_ST_EUlSS_E_NS1_11comp_targetILNS1_3genE10ELNS1_11target_archE1201ELNS1_3gpuE5ELNS1_3repE0EEENS1_30default_config_static_selectorELNS0_4arch9wavefront6targetE1EEEvT1_
    .private_segment_fixed_size: 0
    .sgpr_count:     4
    .sgpr_spill_count: 0
    .symbol:         _ZN7rocprim17ROCPRIM_400000_NS6detail17trampoline_kernelINS0_14default_configENS1_20scan_config_selectorIdEEZZNS1_9scan_implILNS1_25lookback_scan_determinismE0ELb0ELb0ES3_N6thrust23THRUST_200600_302600_NS6detail15normal_iteratorINS9_10device_ptrIdEEEENS9_16discard_iteratorINS9_11use_defaultEEEd11max_functorIdEdEEDaPvRmT3_T4_T5_mT6_P12ihipStream_tbENKUlT_T0_E_clISt17integral_constantIbLb1EESX_EEDaSS_ST_EUlSS_E_NS1_11comp_targetILNS1_3genE10ELNS1_11target_archE1201ELNS1_3gpuE5ELNS1_3repE0EEENS1_30default_config_static_selectorELNS0_4arch9wavefront6targetE1EEEvT1_.kd
    .uniform_work_group_size: 1
    .uses_dynamic_stack: false
    .vgpr_count:     0
    .vgpr_spill_count: 0
    .wavefront_size: 64
  - .agpr_count:     0
    .args:
      - .offset:         0
        .size:           112
        .value_kind:     by_value
    .group_segment_fixed_size: 0
    .kernarg_segment_align: 8
    .kernarg_segment_size: 112
    .language:       OpenCL C
    .language_version:
      - 2
      - 0
    .max_flat_workgroup_size: 256
    .name:           _ZN7rocprim17ROCPRIM_400000_NS6detail17trampoline_kernelINS0_14default_configENS1_20scan_config_selectorIdEEZZNS1_9scan_implILNS1_25lookback_scan_determinismE0ELb0ELb0ES3_N6thrust23THRUST_200600_302600_NS6detail15normal_iteratorINS9_10device_ptrIdEEEENS9_16discard_iteratorINS9_11use_defaultEEEd11max_functorIdEdEEDaPvRmT3_T4_T5_mT6_P12ihipStream_tbENKUlT_T0_E_clISt17integral_constantIbLb1EESX_EEDaSS_ST_EUlSS_E_NS1_11comp_targetILNS1_3genE10ELNS1_11target_archE1200ELNS1_3gpuE4ELNS1_3repE0EEENS1_30default_config_static_selectorELNS0_4arch9wavefront6targetE1EEEvT1_
    .private_segment_fixed_size: 0
    .sgpr_count:     4
    .sgpr_spill_count: 0
    .symbol:         _ZN7rocprim17ROCPRIM_400000_NS6detail17trampoline_kernelINS0_14default_configENS1_20scan_config_selectorIdEEZZNS1_9scan_implILNS1_25lookback_scan_determinismE0ELb0ELb0ES3_N6thrust23THRUST_200600_302600_NS6detail15normal_iteratorINS9_10device_ptrIdEEEENS9_16discard_iteratorINS9_11use_defaultEEEd11max_functorIdEdEEDaPvRmT3_T4_T5_mT6_P12ihipStream_tbENKUlT_T0_E_clISt17integral_constantIbLb1EESX_EEDaSS_ST_EUlSS_E_NS1_11comp_targetILNS1_3genE10ELNS1_11target_archE1200ELNS1_3gpuE4ELNS1_3repE0EEENS1_30default_config_static_selectorELNS0_4arch9wavefront6targetE1EEEvT1_.kd
    .uniform_work_group_size: 1
    .uses_dynamic_stack: false
    .vgpr_count:     0
    .vgpr_spill_count: 0
    .wavefront_size: 64
  - .agpr_count:     0
    .args:
      - .offset:         0
        .size:           112
        .value_kind:     by_value
    .group_segment_fixed_size: 0
    .kernarg_segment_align: 8
    .kernarg_segment_size: 112
    .language:       OpenCL C
    .language_version:
      - 2
      - 0
    .max_flat_workgroup_size: 256
    .name:           _ZN7rocprim17ROCPRIM_400000_NS6detail17trampoline_kernelINS0_14default_configENS1_20scan_config_selectorIdEEZZNS1_9scan_implILNS1_25lookback_scan_determinismE0ELb0ELb0ES3_N6thrust23THRUST_200600_302600_NS6detail15normal_iteratorINS9_10device_ptrIdEEEENS9_16discard_iteratorINS9_11use_defaultEEEd11max_functorIdEdEEDaPvRmT3_T4_T5_mT6_P12ihipStream_tbENKUlT_T0_E_clISt17integral_constantIbLb1EESX_EEDaSS_ST_EUlSS_E_NS1_11comp_targetILNS1_3genE9ELNS1_11target_archE1100ELNS1_3gpuE3ELNS1_3repE0EEENS1_30default_config_static_selectorELNS0_4arch9wavefront6targetE1EEEvT1_
    .private_segment_fixed_size: 0
    .sgpr_count:     4
    .sgpr_spill_count: 0
    .symbol:         _ZN7rocprim17ROCPRIM_400000_NS6detail17trampoline_kernelINS0_14default_configENS1_20scan_config_selectorIdEEZZNS1_9scan_implILNS1_25lookback_scan_determinismE0ELb0ELb0ES3_N6thrust23THRUST_200600_302600_NS6detail15normal_iteratorINS9_10device_ptrIdEEEENS9_16discard_iteratorINS9_11use_defaultEEEd11max_functorIdEdEEDaPvRmT3_T4_T5_mT6_P12ihipStream_tbENKUlT_T0_E_clISt17integral_constantIbLb1EESX_EEDaSS_ST_EUlSS_E_NS1_11comp_targetILNS1_3genE9ELNS1_11target_archE1100ELNS1_3gpuE3ELNS1_3repE0EEENS1_30default_config_static_selectorELNS0_4arch9wavefront6targetE1EEEvT1_.kd
    .uniform_work_group_size: 1
    .uses_dynamic_stack: false
    .vgpr_count:     0
    .vgpr_spill_count: 0
    .wavefront_size: 64
  - .agpr_count:     0
    .args:
      - .offset:         0
        .size:           112
        .value_kind:     by_value
    .group_segment_fixed_size: 0
    .kernarg_segment_align: 8
    .kernarg_segment_size: 112
    .language:       OpenCL C
    .language_version:
      - 2
      - 0
    .max_flat_workgroup_size: 128
    .name:           _ZN7rocprim17ROCPRIM_400000_NS6detail17trampoline_kernelINS0_14default_configENS1_20scan_config_selectorIdEEZZNS1_9scan_implILNS1_25lookback_scan_determinismE0ELb0ELb0ES3_N6thrust23THRUST_200600_302600_NS6detail15normal_iteratorINS9_10device_ptrIdEEEENS9_16discard_iteratorINS9_11use_defaultEEEd11max_functorIdEdEEDaPvRmT3_T4_T5_mT6_P12ihipStream_tbENKUlT_T0_E_clISt17integral_constantIbLb1EESX_EEDaSS_ST_EUlSS_E_NS1_11comp_targetILNS1_3genE8ELNS1_11target_archE1030ELNS1_3gpuE2ELNS1_3repE0EEENS1_30default_config_static_selectorELNS0_4arch9wavefront6targetE1EEEvT1_
    .private_segment_fixed_size: 0
    .sgpr_count:     4
    .sgpr_spill_count: 0
    .symbol:         _ZN7rocprim17ROCPRIM_400000_NS6detail17trampoline_kernelINS0_14default_configENS1_20scan_config_selectorIdEEZZNS1_9scan_implILNS1_25lookback_scan_determinismE0ELb0ELb0ES3_N6thrust23THRUST_200600_302600_NS6detail15normal_iteratorINS9_10device_ptrIdEEEENS9_16discard_iteratorINS9_11use_defaultEEEd11max_functorIdEdEEDaPvRmT3_T4_T5_mT6_P12ihipStream_tbENKUlT_T0_E_clISt17integral_constantIbLb1EESX_EEDaSS_ST_EUlSS_E_NS1_11comp_targetILNS1_3genE8ELNS1_11target_archE1030ELNS1_3gpuE2ELNS1_3repE0EEENS1_30default_config_static_selectorELNS0_4arch9wavefront6targetE1EEEvT1_.kd
    .uniform_work_group_size: 1
    .uses_dynamic_stack: false
    .vgpr_count:     0
    .vgpr_spill_count: 0
    .wavefront_size: 64
  - .agpr_count:     0
    .args:
      - .offset:         0
        .size:           48
        .value_kind:     by_value
    .group_segment_fixed_size: 0
    .kernarg_segment_align: 8
    .kernarg_segment_size: 48
    .language:       OpenCL C
    .language_version:
      - 2
      - 0
    .max_flat_workgroup_size: 256
    .name:           _ZN7rocprim17ROCPRIM_400000_NS6detail17trampoline_kernelINS0_14default_configENS1_20scan_config_selectorIdEEZZNS1_9scan_implILNS1_25lookback_scan_determinismE0ELb0ELb0ES3_N6thrust23THRUST_200600_302600_NS6detail15normal_iteratorINS9_10device_ptrIdEEEENS9_16discard_iteratorINS9_11use_defaultEEEd11max_functorIdEdEEDaPvRmT3_T4_T5_mT6_P12ihipStream_tbENKUlT_T0_E_clISt17integral_constantIbLb1EESX_EEDaSS_ST_EUlSS_E0_NS1_11comp_targetILNS1_3genE0ELNS1_11target_archE4294967295ELNS1_3gpuE0ELNS1_3repE0EEENS1_30default_config_static_selectorELNS0_4arch9wavefront6targetE1EEEvT1_
    .private_segment_fixed_size: 0
    .sgpr_count:     4
    .sgpr_spill_count: 0
    .symbol:         _ZN7rocprim17ROCPRIM_400000_NS6detail17trampoline_kernelINS0_14default_configENS1_20scan_config_selectorIdEEZZNS1_9scan_implILNS1_25lookback_scan_determinismE0ELb0ELb0ES3_N6thrust23THRUST_200600_302600_NS6detail15normal_iteratorINS9_10device_ptrIdEEEENS9_16discard_iteratorINS9_11use_defaultEEEd11max_functorIdEdEEDaPvRmT3_T4_T5_mT6_P12ihipStream_tbENKUlT_T0_E_clISt17integral_constantIbLb1EESX_EEDaSS_ST_EUlSS_E0_NS1_11comp_targetILNS1_3genE0ELNS1_11target_archE4294967295ELNS1_3gpuE0ELNS1_3repE0EEENS1_30default_config_static_selectorELNS0_4arch9wavefront6targetE1EEEvT1_.kd
    .uniform_work_group_size: 1
    .uses_dynamic_stack: false
    .vgpr_count:     0
    .vgpr_spill_count: 0
    .wavefront_size: 64
  - .agpr_count:     0
    .args:
      - .offset:         0
        .size:           48
        .value_kind:     by_value
    .group_segment_fixed_size: 0
    .kernarg_segment_align: 8
    .kernarg_segment_size: 48
    .language:       OpenCL C
    .language_version:
      - 2
      - 0
    .max_flat_workgroup_size: 256
    .name:           _ZN7rocprim17ROCPRIM_400000_NS6detail17trampoline_kernelINS0_14default_configENS1_20scan_config_selectorIdEEZZNS1_9scan_implILNS1_25lookback_scan_determinismE0ELb0ELb0ES3_N6thrust23THRUST_200600_302600_NS6detail15normal_iteratorINS9_10device_ptrIdEEEENS9_16discard_iteratorINS9_11use_defaultEEEd11max_functorIdEdEEDaPvRmT3_T4_T5_mT6_P12ihipStream_tbENKUlT_T0_E_clISt17integral_constantIbLb1EESX_EEDaSS_ST_EUlSS_E0_NS1_11comp_targetILNS1_3genE5ELNS1_11target_archE942ELNS1_3gpuE9ELNS1_3repE0EEENS1_30default_config_static_selectorELNS0_4arch9wavefront6targetE1EEEvT1_
    .private_segment_fixed_size: 0
    .sgpr_count:     4
    .sgpr_spill_count: 0
    .symbol:         _ZN7rocprim17ROCPRIM_400000_NS6detail17trampoline_kernelINS0_14default_configENS1_20scan_config_selectorIdEEZZNS1_9scan_implILNS1_25lookback_scan_determinismE0ELb0ELb0ES3_N6thrust23THRUST_200600_302600_NS6detail15normal_iteratorINS9_10device_ptrIdEEEENS9_16discard_iteratorINS9_11use_defaultEEEd11max_functorIdEdEEDaPvRmT3_T4_T5_mT6_P12ihipStream_tbENKUlT_T0_E_clISt17integral_constantIbLb1EESX_EEDaSS_ST_EUlSS_E0_NS1_11comp_targetILNS1_3genE5ELNS1_11target_archE942ELNS1_3gpuE9ELNS1_3repE0EEENS1_30default_config_static_selectorELNS0_4arch9wavefront6targetE1EEEvT1_.kd
    .uniform_work_group_size: 1
    .uses_dynamic_stack: false
    .vgpr_count:     0
    .vgpr_spill_count: 0
    .wavefront_size: 64
  - .agpr_count:     0
    .args:
      - .offset:         0
        .size:           48
        .value_kind:     by_value
    .group_segment_fixed_size: 10240
    .kernarg_segment_align: 8
    .kernarg_segment_size: 48
    .language:       OpenCL C
    .language_version:
      - 2
      - 0
    .max_flat_workgroup_size: 128
    .name:           _ZN7rocprim17ROCPRIM_400000_NS6detail17trampoline_kernelINS0_14default_configENS1_20scan_config_selectorIdEEZZNS1_9scan_implILNS1_25lookback_scan_determinismE0ELb0ELb0ES3_N6thrust23THRUST_200600_302600_NS6detail15normal_iteratorINS9_10device_ptrIdEEEENS9_16discard_iteratorINS9_11use_defaultEEEd11max_functorIdEdEEDaPvRmT3_T4_T5_mT6_P12ihipStream_tbENKUlT_T0_E_clISt17integral_constantIbLb1EESX_EEDaSS_ST_EUlSS_E0_NS1_11comp_targetILNS1_3genE4ELNS1_11target_archE910ELNS1_3gpuE8ELNS1_3repE0EEENS1_30default_config_static_selectorELNS0_4arch9wavefront6targetE1EEEvT1_
    .private_segment_fixed_size: 0
    .sgpr_count:     12
    .sgpr_spill_count: 0
    .symbol:         _ZN7rocprim17ROCPRIM_400000_NS6detail17trampoline_kernelINS0_14default_configENS1_20scan_config_selectorIdEEZZNS1_9scan_implILNS1_25lookback_scan_determinismE0ELb0ELb0ES3_N6thrust23THRUST_200600_302600_NS6detail15normal_iteratorINS9_10device_ptrIdEEEENS9_16discard_iteratorINS9_11use_defaultEEEd11max_functorIdEdEEDaPvRmT3_T4_T5_mT6_P12ihipStream_tbENKUlT_T0_E_clISt17integral_constantIbLb1EESX_EEDaSS_ST_EUlSS_E0_NS1_11comp_targetILNS1_3genE4ELNS1_11target_archE910ELNS1_3gpuE8ELNS1_3repE0EEENS1_30default_config_static_selectorELNS0_4arch9wavefront6targetE1EEEvT1_.kd
    .uniform_work_group_size: 1
    .uses_dynamic_stack: false
    .vgpr_count:     31
    .vgpr_spill_count: 0
    .wavefront_size: 64
  - .agpr_count:     0
    .args:
      - .offset:         0
        .size:           48
        .value_kind:     by_value
    .group_segment_fixed_size: 0
    .kernarg_segment_align: 8
    .kernarg_segment_size: 48
    .language:       OpenCL C
    .language_version:
      - 2
      - 0
    .max_flat_workgroup_size: 256
    .name:           _ZN7rocprim17ROCPRIM_400000_NS6detail17trampoline_kernelINS0_14default_configENS1_20scan_config_selectorIdEEZZNS1_9scan_implILNS1_25lookback_scan_determinismE0ELb0ELb0ES3_N6thrust23THRUST_200600_302600_NS6detail15normal_iteratorINS9_10device_ptrIdEEEENS9_16discard_iteratorINS9_11use_defaultEEEd11max_functorIdEdEEDaPvRmT3_T4_T5_mT6_P12ihipStream_tbENKUlT_T0_E_clISt17integral_constantIbLb1EESX_EEDaSS_ST_EUlSS_E0_NS1_11comp_targetILNS1_3genE3ELNS1_11target_archE908ELNS1_3gpuE7ELNS1_3repE0EEENS1_30default_config_static_selectorELNS0_4arch9wavefront6targetE1EEEvT1_
    .private_segment_fixed_size: 0
    .sgpr_count:     4
    .sgpr_spill_count: 0
    .symbol:         _ZN7rocprim17ROCPRIM_400000_NS6detail17trampoline_kernelINS0_14default_configENS1_20scan_config_selectorIdEEZZNS1_9scan_implILNS1_25lookback_scan_determinismE0ELb0ELb0ES3_N6thrust23THRUST_200600_302600_NS6detail15normal_iteratorINS9_10device_ptrIdEEEENS9_16discard_iteratorINS9_11use_defaultEEEd11max_functorIdEdEEDaPvRmT3_T4_T5_mT6_P12ihipStream_tbENKUlT_T0_E_clISt17integral_constantIbLb1EESX_EEDaSS_ST_EUlSS_E0_NS1_11comp_targetILNS1_3genE3ELNS1_11target_archE908ELNS1_3gpuE7ELNS1_3repE0EEENS1_30default_config_static_selectorELNS0_4arch9wavefront6targetE1EEEvT1_.kd
    .uniform_work_group_size: 1
    .uses_dynamic_stack: false
    .vgpr_count:     0
    .vgpr_spill_count: 0
    .wavefront_size: 64
  - .agpr_count:     0
    .args:
      - .offset:         0
        .size:           48
        .value_kind:     by_value
    .group_segment_fixed_size: 0
    .kernarg_segment_align: 8
    .kernarg_segment_size: 48
    .language:       OpenCL C
    .language_version:
      - 2
      - 0
    .max_flat_workgroup_size: 128
    .name:           _ZN7rocprim17ROCPRIM_400000_NS6detail17trampoline_kernelINS0_14default_configENS1_20scan_config_selectorIdEEZZNS1_9scan_implILNS1_25lookback_scan_determinismE0ELb0ELb0ES3_N6thrust23THRUST_200600_302600_NS6detail15normal_iteratorINS9_10device_ptrIdEEEENS9_16discard_iteratorINS9_11use_defaultEEEd11max_functorIdEdEEDaPvRmT3_T4_T5_mT6_P12ihipStream_tbENKUlT_T0_E_clISt17integral_constantIbLb1EESX_EEDaSS_ST_EUlSS_E0_NS1_11comp_targetILNS1_3genE2ELNS1_11target_archE906ELNS1_3gpuE6ELNS1_3repE0EEENS1_30default_config_static_selectorELNS0_4arch9wavefront6targetE1EEEvT1_
    .private_segment_fixed_size: 0
    .sgpr_count:     4
    .sgpr_spill_count: 0
    .symbol:         _ZN7rocprim17ROCPRIM_400000_NS6detail17trampoline_kernelINS0_14default_configENS1_20scan_config_selectorIdEEZZNS1_9scan_implILNS1_25lookback_scan_determinismE0ELb0ELb0ES3_N6thrust23THRUST_200600_302600_NS6detail15normal_iteratorINS9_10device_ptrIdEEEENS9_16discard_iteratorINS9_11use_defaultEEEd11max_functorIdEdEEDaPvRmT3_T4_T5_mT6_P12ihipStream_tbENKUlT_T0_E_clISt17integral_constantIbLb1EESX_EEDaSS_ST_EUlSS_E0_NS1_11comp_targetILNS1_3genE2ELNS1_11target_archE906ELNS1_3gpuE6ELNS1_3repE0EEENS1_30default_config_static_selectorELNS0_4arch9wavefront6targetE1EEEvT1_.kd
    .uniform_work_group_size: 1
    .uses_dynamic_stack: false
    .vgpr_count:     0
    .vgpr_spill_count: 0
    .wavefront_size: 64
  - .agpr_count:     0
    .args:
      - .offset:         0
        .size:           48
        .value_kind:     by_value
    .group_segment_fixed_size: 0
    .kernarg_segment_align: 8
    .kernarg_segment_size: 48
    .language:       OpenCL C
    .language_version:
      - 2
      - 0
    .max_flat_workgroup_size: 256
    .name:           _ZN7rocprim17ROCPRIM_400000_NS6detail17trampoline_kernelINS0_14default_configENS1_20scan_config_selectorIdEEZZNS1_9scan_implILNS1_25lookback_scan_determinismE0ELb0ELb0ES3_N6thrust23THRUST_200600_302600_NS6detail15normal_iteratorINS9_10device_ptrIdEEEENS9_16discard_iteratorINS9_11use_defaultEEEd11max_functorIdEdEEDaPvRmT3_T4_T5_mT6_P12ihipStream_tbENKUlT_T0_E_clISt17integral_constantIbLb1EESX_EEDaSS_ST_EUlSS_E0_NS1_11comp_targetILNS1_3genE10ELNS1_11target_archE1201ELNS1_3gpuE5ELNS1_3repE0EEENS1_30default_config_static_selectorELNS0_4arch9wavefront6targetE1EEEvT1_
    .private_segment_fixed_size: 0
    .sgpr_count:     4
    .sgpr_spill_count: 0
    .symbol:         _ZN7rocprim17ROCPRIM_400000_NS6detail17trampoline_kernelINS0_14default_configENS1_20scan_config_selectorIdEEZZNS1_9scan_implILNS1_25lookback_scan_determinismE0ELb0ELb0ES3_N6thrust23THRUST_200600_302600_NS6detail15normal_iteratorINS9_10device_ptrIdEEEENS9_16discard_iteratorINS9_11use_defaultEEEd11max_functorIdEdEEDaPvRmT3_T4_T5_mT6_P12ihipStream_tbENKUlT_T0_E_clISt17integral_constantIbLb1EESX_EEDaSS_ST_EUlSS_E0_NS1_11comp_targetILNS1_3genE10ELNS1_11target_archE1201ELNS1_3gpuE5ELNS1_3repE0EEENS1_30default_config_static_selectorELNS0_4arch9wavefront6targetE1EEEvT1_.kd
    .uniform_work_group_size: 1
    .uses_dynamic_stack: false
    .vgpr_count:     0
    .vgpr_spill_count: 0
    .wavefront_size: 64
  - .agpr_count:     0
    .args:
      - .offset:         0
        .size:           48
        .value_kind:     by_value
    .group_segment_fixed_size: 0
    .kernarg_segment_align: 8
    .kernarg_segment_size: 48
    .language:       OpenCL C
    .language_version:
      - 2
      - 0
    .max_flat_workgroup_size: 256
    .name:           _ZN7rocprim17ROCPRIM_400000_NS6detail17trampoline_kernelINS0_14default_configENS1_20scan_config_selectorIdEEZZNS1_9scan_implILNS1_25lookback_scan_determinismE0ELb0ELb0ES3_N6thrust23THRUST_200600_302600_NS6detail15normal_iteratorINS9_10device_ptrIdEEEENS9_16discard_iteratorINS9_11use_defaultEEEd11max_functorIdEdEEDaPvRmT3_T4_T5_mT6_P12ihipStream_tbENKUlT_T0_E_clISt17integral_constantIbLb1EESX_EEDaSS_ST_EUlSS_E0_NS1_11comp_targetILNS1_3genE10ELNS1_11target_archE1200ELNS1_3gpuE4ELNS1_3repE0EEENS1_30default_config_static_selectorELNS0_4arch9wavefront6targetE1EEEvT1_
    .private_segment_fixed_size: 0
    .sgpr_count:     4
    .sgpr_spill_count: 0
    .symbol:         _ZN7rocprim17ROCPRIM_400000_NS6detail17trampoline_kernelINS0_14default_configENS1_20scan_config_selectorIdEEZZNS1_9scan_implILNS1_25lookback_scan_determinismE0ELb0ELb0ES3_N6thrust23THRUST_200600_302600_NS6detail15normal_iteratorINS9_10device_ptrIdEEEENS9_16discard_iteratorINS9_11use_defaultEEEd11max_functorIdEdEEDaPvRmT3_T4_T5_mT6_P12ihipStream_tbENKUlT_T0_E_clISt17integral_constantIbLb1EESX_EEDaSS_ST_EUlSS_E0_NS1_11comp_targetILNS1_3genE10ELNS1_11target_archE1200ELNS1_3gpuE4ELNS1_3repE0EEENS1_30default_config_static_selectorELNS0_4arch9wavefront6targetE1EEEvT1_.kd
    .uniform_work_group_size: 1
    .uses_dynamic_stack: false
    .vgpr_count:     0
    .vgpr_spill_count: 0
    .wavefront_size: 64
  - .agpr_count:     0
    .args:
      - .offset:         0
        .size:           48
        .value_kind:     by_value
    .group_segment_fixed_size: 0
    .kernarg_segment_align: 8
    .kernarg_segment_size: 48
    .language:       OpenCL C
    .language_version:
      - 2
      - 0
    .max_flat_workgroup_size: 256
    .name:           _ZN7rocprim17ROCPRIM_400000_NS6detail17trampoline_kernelINS0_14default_configENS1_20scan_config_selectorIdEEZZNS1_9scan_implILNS1_25lookback_scan_determinismE0ELb0ELb0ES3_N6thrust23THRUST_200600_302600_NS6detail15normal_iteratorINS9_10device_ptrIdEEEENS9_16discard_iteratorINS9_11use_defaultEEEd11max_functorIdEdEEDaPvRmT3_T4_T5_mT6_P12ihipStream_tbENKUlT_T0_E_clISt17integral_constantIbLb1EESX_EEDaSS_ST_EUlSS_E0_NS1_11comp_targetILNS1_3genE9ELNS1_11target_archE1100ELNS1_3gpuE3ELNS1_3repE0EEENS1_30default_config_static_selectorELNS0_4arch9wavefront6targetE1EEEvT1_
    .private_segment_fixed_size: 0
    .sgpr_count:     4
    .sgpr_spill_count: 0
    .symbol:         _ZN7rocprim17ROCPRIM_400000_NS6detail17trampoline_kernelINS0_14default_configENS1_20scan_config_selectorIdEEZZNS1_9scan_implILNS1_25lookback_scan_determinismE0ELb0ELb0ES3_N6thrust23THRUST_200600_302600_NS6detail15normal_iteratorINS9_10device_ptrIdEEEENS9_16discard_iteratorINS9_11use_defaultEEEd11max_functorIdEdEEDaPvRmT3_T4_T5_mT6_P12ihipStream_tbENKUlT_T0_E_clISt17integral_constantIbLb1EESX_EEDaSS_ST_EUlSS_E0_NS1_11comp_targetILNS1_3genE9ELNS1_11target_archE1100ELNS1_3gpuE3ELNS1_3repE0EEENS1_30default_config_static_selectorELNS0_4arch9wavefront6targetE1EEEvT1_.kd
    .uniform_work_group_size: 1
    .uses_dynamic_stack: false
    .vgpr_count:     0
    .vgpr_spill_count: 0
    .wavefront_size: 64
  - .agpr_count:     0
    .args:
      - .offset:         0
        .size:           48
        .value_kind:     by_value
    .group_segment_fixed_size: 0
    .kernarg_segment_align: 8
    .kernarg_segment_size: 48
    .language:       OpenCL C
    .language_version:
      - 2
      - 0
    .max_flat_workgroup_size: 128
    .name:           _ZN7rocprim17ROCPRIM_400000_NS6detail17trampoline_kernelINS0_14default_configENS1_20scan_config_selectorIdEEZZNS1_9scan_implILNS1_25lookback_scan_determinismE0ELb0ELb0ES3_N6thrust23THRUST_200600_302600_NS6detail15normal_iteratorINS9_10device_ptrIdEEEENS9_16discard_iteratorINS9_11use_defaultEEEd11max_functorIdEdEEDaPvRmT3_T4_T5_mT6_P12ihipStream_tbENKUlT_T0_E_clISt17integral_constantIbLb1EESX_EEDaSS_ST_EUlSS_E0_NS1_11comp_targetILNS1_3genE8ELNS1_11target_archE1030ELNS1_3gpuE2ELNS1_3repE0EEENS1_30default_config_static_selectorELNS0_4arch9wavefront6targetE1EEEvT1_
    .private_segment_fixed_size: 0
    .sgpr_count:     4
    .sgpr_spill_count: 0
    .symbol:         _ZN7rocprim17ROCPRIM_400000_NS6detail17trampoline_kernelINS0_14default_configENS1_20scan_config_selectorIdEEZZNS1_9scan_implILNS1_25lookback_scan_determinismE0ELb0ELb0ES3_N6thrust23THRUST_200600_302600_NS6detail15normal_iteratorINS9_10device_ptrIdEEEENS9_16discard_iteratorINS9_11use_defaultEEEd11max_functorIdEdEEDaPvRmT3_T4_T5_mT6_P12ihipStream_tbENKUlT_T0_E_clISt17integral_constantIbLb1EESX_EEDaSS_ST_EUlSS_E0_NS1_11comp_targetILNS1_3genE8ELNS1_11target_archE1030ELNS1_3gpuE2ELNS1_3repE0EEENS1_30default_config_static_selectorELNS0_4arch9wavefront6targetE1EEEvT1_.kd
    .uniform_work_group_size: 1
    .uses_dynamic_stack: false
    .vgpr_count:     0
    .vgpr_spill_count: 0
    .wavefront_size: 64
  - .agpr_count:     0
    .args:
      - .offset:         0
        .size:           112
        .value_kind:     by_value
    .group_segment_fixed_size: 0
    .kernarg_segment_align: 8
    .kernarg_segment_size: 112
    .language:       OpenCL C
    .language_version:
      - 2
      - 0
    .max_flat_workgroup_size: 256
    .name:           _ZN7rocprim17ROCPRIM_400000_NS6detail17trampoline_kernelINS0_14default_configENS1_20scan_config_selectorIdEEZZNS1_9scan_implILNS1_25lookback_scan_determinismE0ELb0ELb0ES3_N6thrust23THRUST_200600_302600_NS6detail15normal_iteratorINS9_10device_ptrIdEEEENS9_16discard_iteratorINS9_11use_defaultEEEd11max_functorIdEdEEDaPvRmT3_T4_T5_mT6_P12ihipStream_tbENKUlT_T0_E_clISt17integral_constantIbLb1EESW_IbLb0EEEEDaSS_ST_EUlSS_E_NS1_11comp_targetILNS1_3genE0ELNS1_11target_archE4294967295ELNS1_3gpuE0ELNS1_3repE0EEENS1_30default_config_static_selectorELNS0_4arch9wavefront6targetE1EEEvT1_
    .private_segment_fixed_size: 0
    .sgpr_count:     4
    .sgpr_spill_count: 0
    .symbol:         _ZN7rocprim17ROCPRIM_400000_NS6detail17trampoline_kernelINS0_14default_configENS1_20scan_config_selectorIdEEZZNS1_9scan_implILNS1_25lookback_scan_determinismE0ELb0ELb0ES3_N6thrust23THRUST_200600_302600_NS6detail15normal_iteratorINS9_10device_ptrIdEEEENS9_16discard_iteratorINS9_11use_defaultEEEd11max_functorIdEdEEDaPvRmT3_T4_T5_mT6_P12ihipStream_tbENKUlT_T0_E_clISt17integral_constantIbLb1EESW_IbLb0EEEEDaSS_ST_EUlSS_E_NS1_11comp_targetILNS1_3genE0ELNS1_11target_archE4294967295ELNS1_3gpuE0ELNS1_3repE0EEENS1_30default_config_static_selectorELNS0_4arch9wavefront6targetE1EEEvT1_.kd
    .uniform_work_group_size: 1
    .uses_dynamic_stack: false
    .vgpr_count:     0
    .vgpr_spill_count: 0
    .wavefront_size: 64
  - .agpr_count:     0
    .args:
      - .offset:         0
        .size:           112
        .value_kind:     by_value
    .group_segment_fixed_size: 0
    .kernarg_segment_align: 8
    .kernarg_segment_size: 112
    .language:       OpenCL C
    .language_version:
      - 2
      - 0
    .max_flat_workgroup_size: 256
    .name:           _ZN7rocprim17ROCPRIM_400000_NS6detail17trampoline_kernelINS0_14default_configENS1_20scan_config_selectorIdEEZZNS1_9scan_implILNS1_25lookback_scan_determinismE0ELb0ELb0ES3_N6thrust23THRUST_200600_302600_NS6detail15normal_iteratorINS9_10device_ptrIdEEEENS9_16discard_iteratorINS9_11use_defaultEEEd11max_functorIdEdEEDaPvRmT3_T4_T5_mT6_P12ihipStream_tbENKUlT_T0_E_clISt17integral_constantIbLb1EESW_IbLb0EEEEDaSS_ST_EUlSS_E_NS1_11comp_targetILNS1_3genE5ELNS1_11target_archE942ELNS1_3gpuE9ELNS1_3repE0EEENS1_30default_config_static_selectorELNS0_4arch9wavefront6targetE1EEEvT1_
    .private_segment_fixed_size: 0
    .sgpr_count:     4
    .sgpr_spill_count: 0
    .symbol:         _ZN7rocprim17ROCPRIM_400000_NS6detail17trampoline_kernelINS0_14default_configENS1_20scan_config_selectorIdEEZZNS1_9scan_implILNS1_25lookback_scan_determinismE0ELb0ELb0ES3_N6thrust23THRUST_200600_302600_NS6detail15normal_iteratorINS9_10device_ptrIdEEEENS9_16discard_iteratorINS9_11use_defaultEEEd11max_functorIdEdEEDaPvRmT3_T4_T5_mT6_P12ihipStream_tbENKUlT_T0_E_clISt17integral_constantIbLb1EESW_IbLb0EEEEDaSS_ST_EUlSS_E_NS1_11comp_targetILNS1_3genE5ELNS1_11target_archE942ELNS1_3gpuE9ELNS1_3repE0EEENS1_30default_config_static_selectorELNS0_4arch9wavefront6targetE1EEEvT1_.kd
    .uniform_work_group_size: 1
    .uses_dynamic_stack: false
    .vgpr_count:     0
    .vgpr_spill_count: 0
    .wavefront_size: 64
  - .agpr_count:     0
    .args:
      - .offset:         0
        .size:           112
        .value_kind:     by_value
    .group_segment_fixed_size: 10240
    .kernarg_segment_align: 8
    .kernarg_segment_size: 112
    .language:       OpenCL C
    .language_version:
      - 2
      - 0
    .max_flat_workgroup_size: 128
    .name:           _ZN7rocprim17ROCPRIM_400000_NS6detail17trampoline_kernelINS0_14default_configENS1_20scan_config_selectorIdEEZZNS1_9scan_implILNS1_25lookback_scan_determinismE0ELb0ELb0ES3_N6thrust23THRUST_200600_302600_NS6detail15normal_iteratorINS9_10device_ptrIdEEEENS9_16discard_iteratorINS9_11use_defaultEEEd11max_functorIdEdEEDaPvRmT3_T4_T5_mT6_P12ihipStream_tbENKUlT_T0_E_clISt17integral_constantIbLb1EESW_IbLb0EEEEDaSS_ST_EUlSS_E_NS1_11comp_targetILNS1_3genE4ELNS1_11target_archE910ELNS1_3gpuE8ELNS1_3repE0EEENS1_30default_config_static_selectorELNS0_4arch9wavefront6targetE1EEEvT1_
    .private_segment_fixed_size: 0
    .sgpr_count:     24
    .sgpr_spill_count: 0
    .symbol:         _ZN7rocprim17ROCPRIM_400000_NS6detail17trampoline_kernelINS0_14default_configENS1_20scan_config_selectorIdEEZZNS1_9scan_implILNS1_25lookback_scan_determinismE0ELb0ELb0ES3_N6thrust23THRUST_200600_302600_NS6detail15normal_iteratorINS9_10device_ptrIdEEEENS9_16discard_iteratorINS9_11use_defaultEEEd11max_functorIdEdEEDaPvRmT3_T4_T5_mT6_P12ihipStream_tbENKUlT_T0_E_clISt17integral_constantIbLb1EESW_IbLb0EEEEDaSS_ST_EUlSS_E_NS1_11comp_targetILNS1_3genE4ELNS1_11target_archE910ELNS1_3gpuE8ELNS1_3repE0EEENS1_30default_config_static_selectorELNS0_4arch9wavefront6targetE1EEEvT1_.kd
    .uniform_work_group_size: 1
    .uses_dynamic_stack: false
    .vgpr_count:     58
    .vgpr_spill_count: 0
    .wavefront_size: 64
  - .agpr_count:     0
    .args:
      - .offset:         0
        .size:           112
        .value_kind:     by_value
    .group_segment_fixed_size: 0
    .kernarg_segment_align: 8
    .kernarg_segment_size: 112
    .language:       OpenCL C
    .language_version:
      - 2
      - 0
    .max_flat_workgroup_size: 256
    .name:           _ZN7rocprim17ROCPRIM_400000_NS6detail17trampoline_kernelINS0_14default_configENS1_20scan_config_selectorIdEEZZNS1_9scan_implILNS1_25lookback_scan_determinismE0ELb0ELb0ES3_N6thrust23THRUST_200600_302600_NS6detail15normal_iteratorINS9_10device_ptrIdEEEENS9_16discard_iteratorINS9_11use_defaultEEEd11max_functorIdEdEEDaPvRmT3_T4_T5_mT6_P12ihipStream_tbENKUlT_T0_E_clISt17integral_constantIbLb1EESW_IbLb0EEEEDaSS_ST_EUlSS_E_NS1_11comp_targetILNS1_3genE3ELNS1_11target_archE908ELNS1_3gpuE7ELNS1_3repE0EEENS1_30default_config_static_selectorELNS0_4arch9wavefront6targetE1EEEvT1_
    .private_segment_fixed_size: 0
    .sgpr_count:     4
    .sgpr_spill_count: 0
    .symbol:         _ZN7rocprim17ROCPRIM_400000_NS6detail17trampoline_kernelINS0_14default_configENS1_20scan_config_selectorIdEEZZNS1_9scan_implILNS1_25lookback_scan_determinismE0ELb0ELb0ES3_N6thrust23THRUST_200600_302600_NS6detail15normal_iteratorINS9_10device_ptrIdEEEENS9_16discard_iteratorINS9_11use_defaultEEEd11max_functorIdEdEEDaPvRmT3_T4_T5_mT6_P12ihipStream_tbENKUlT_T0_E_clISt17integral_constantIbLb1EESW_IbLb0EEEEDaSS_ST_EUlSS_E_NS1_11comp_targetILNS1_3genE3ELNS1_11target_archE908ELNS1_3gpuE7ELNS1_3repE0EEENS1_30default_config_static_selectorELNS0_4arch9wavefront6targetE1EEEvT1_.kd
    .uniform_work_group_size: 1
    .uses_dynamic_stack: false
    .vgpr_count:     0
    .vgpr_spill_count: 0
    .wavefront_size: 64
  - .agpr_count:     0
    .args:
      - .offset:         0
        .size:           112
        .value_kind:     by_value
    .group_segment_fixed_size: 0
    .kernarg_segment_align: 8
    .kernarg_segment_size: 112
    .language:       OpenCL C
    .language_version:
      - 2
      - 0
    .max_flat_workgroup_size: 128
    .name:           _ZN7rocprim17ROCPRIM_400000_NS6detail17trampoline_kernelINS0_14default_configENS1_20scan_config_selectorIdEEZZNS1_9scan_implILNS1_25lookback_scan_determinismE0ELb0ELb0ES3_N6thrust23THRUST_200600_302600_NS6detail15normal_iteratorINS9_10device_ptrIdEEEENS9_16discard_iteratorINS9_11use_defaultEEEd11max_functorIdEdEEDaPvRmT3_T4_T5_mT6_P12ihipStream_tbENKUlT_T0_E_clISt17integral_constantIbLb1EESW_IbLb0EEEEDaSS_ST_EUlSS_E_NS1_11comp_targetILNS1_3genE2ELNS1_11target_archE906ELNS1_3gpuE6ELNS1_3repE0EEENS1_30default_config_static_selectorELNS0_4arch9wavefront6targetE1EEEvT1_
    .private_segment_fixed_size: 0
    .sgpr_count:     4
    .sgpr_spill_count: 0
    .symbol:         _ZN7rocprim17ROCPRIM_400000_NS6detail17trampoline_kernelINS0_14default_configENS1_20scan_config_selectorIdEEZZNS1_9scan_implILNS1_25lookback_scan_determinismE0ELb0ELb0ES3_N6thrust23THRUST_200600_302600_NS6detail15normal_iteratorINS9_10device_ptrIdEEEENS9_16discard_iteratorINS9_11use_defaultEEEd11max_functorIdEdEEDaPvRmT3_T4_T5_mT6_P12ihipStream_tbENKUlT_T0_E_clISt17integral_constantIbLb1EESW_IbLb0EEEEDaSS_ST_EUlSS_E_NS1_11comp_targetILNS1_3genE2ELNS1_11target_archE906ELNS1_3gpuE6ELNS1_3repE0EEENS1_30default_config_static_selectorELNS0_4arch9wavefront6targetE1EEEvT1_.kd
    .uniform_work_group_size: 1
    .uses_dynamic_stack: false
    .vgpr_count:     0
    .vgpr_spill_count: 0
    .wavefront_size: 64
  - .agpr_count:     0
    .args:
      - .offset:         0
        .size:           112
        .value_kind:     by_value
    .group_segment_fixed_size: 0
    .kernarg_segment_align: 8
    .kernarg_segment_size: 112
    .language:       OpenCL C
    .language_version:
      - 2
      - 0
    .max_flat_workgroup_size: 256
    .name:           _ZN7rocprim17ROCPRIM_400000_NS6detail17trampoline_kernelINS0_14default_configENS1_20scan_config_selectorIdEEZZNS1_9scan_implILNS1_25lookback_scan_determinismE0ELb0ELb0ES3_N6thrust23THRUST_200600_302600_NS6detail15normal_iteratorINS9_10device_ptrIdEEEENS9_16discard_iteratorINS9_11use_defaultEEEd11max_functorIdEdEEDaPvRmT3_T4_T5_mT6_P12ihipStream_tbENKUlT_T0_E_clISt17integral_constantIbLb1EESW_IbLb0EEEEDaSS_ST_EUlSS_E_NS1_11comp_targetILNS1_3genE10ELNS1_11target_archE1201ELNS1_3gpuE5ELNS1_3repE0EEENS1_30default_config_static_selectorELNS0_4arch9wavefront6targetE1EEEvT1_
    .private_segment_fixed_size: 0
    .sgpr_count:     4
    .sgpr_spill_count: 0
    .symbol:         _ZN7rocprim17ROCPRIM_400000_NS6detail17trampoline_kernelINS0_14default_configENS1_20scan_config_selectorIdEEZZNS1_9scan_implILNS1_25lookback_scan_determinismE0ELb0ELb0ES3_N6thrust23THRUST_200600_302600_NS6detail15normal_iteratorINS9_10device_ptrIdEEEENS9_16discard_iteratorINS9_11use_defaultEEEd11max_functorIdEdEEDaPvRmT3_T4_T5_mT6_P12ihipStream_tbENKUlT_T0_E_clISt17integral_constantIbLb1EESW_IbLb0EEEEDaSS_ST_EUlSS_E_NS1_11comp_targetILNS1_3genE10ELNS1_11target_archE1201ELNS1_3gpuE5ELNS1_3repE0EEENS1_30default_config_static_selectorELNS0_4arch9wavefront6targetE1EEEvT1_.kd
    .uniform_work_group_size: 1
    .uses_dynamic_stack: false
    .vgpr_count:     0
    .vgpr_spill_count: 0
    .wavefront_size: 64
  - .agpr_count:     0
    .args:
      - .offset:         0
        .size:           112
        .value_kind:     by_value
    .group_segment_fixed_size: 0
    .kernarg_segment_align: 8
    .kernarg_segment_size: 112
    .language:       OpenCL C
    .language_version:
      - 2
      - 0
    .max_flat_workgroup_size: 256
    .name:           _ZN7rocprim17ROCPRIM_400000_NS6detail17trampoline_kernelINS0_14default_configENS1_20scan_config_selectorIdEEZZNS1_9scan_implILNS1_25lookback_scan_determinismE0ELb0ELb0ES3_N6thrust23THRUST_200600_302600_NS6detail15normal_iteratorINS9_10device_ptrIdEEEENS9_16discard_iteratorINS9_11use_defaultEEEd11max_functorIdEdEEDaPvRmT3_T4_T5_mT6_P12ihipStream_tbENKUlT_T0_E_clISt17integral_constantIbLb1EESW_IbLb0EEEEDaSS_ST_EUlSS_E_NS1_11comp_targetILNS1_3genE10ELNS1_11target_archE1200ELNS1_3gpuE4ELNS1_3repE0EEENS1_30default_config_static_selectorELNS0_4arch9wavefront6targetE1EEEvT1_
    .private_segment_fixed_size: 0
    .sgpr_count:     4
    .sgpr_spill_count: 0
    .symbol:         _ZN7rocprim17ROCPRIM_400000_NS6detail17trampoline_kernelINS0_14default_configENS1_20scan_config_selectorIdEEZZNS1_9scan_implILNS1_25lookback_scan_determinismE0ELb0ELb0ES3_N6thrust23THRUST_200600_302600_NS6detail15normal_iteratorINS9_10device_ptrIdEEEENS9_16discard_iteratorINS9_11use_defaultEEEd11max_functorIdEdEEDaPvRmT3_T4_T5_mT6_P12ihipStream_tbENKUlT_T0_E_clISt17integral_constantIbLb1EESW_IbLb0EEEEDaSS_ST_EUlSS_E_NS1_11comp_targetILNS1_3genE10ELNS1_11target_archE1200ELNS1_3gpuE4ELNS1_3repE0EEENS1_30default_config_static_selectorELNS0_4arch9wavefront6targetE1EEEvT1_.kd
    .uniform_work_group_size: 1
    .uses_dynamic_stack: false
    .vgpr_count:     0
    .vgpr_spill_count: 0
    .wavefront_size: 64
  - .agpr_count:     0
    .args:
      - .offset:         0
        .size:           112
        .value_kind:     by_value
    .group_segment_fixed_size: 0
    .kernarg_segment_align: 8
    .kernarg_segment_size: 112
    .language:       OpenCL C
    .language_version:
      - 2
      - 0
    .max_flat_workgroup_size: 256
    .name:           _ZN7rocprim17ROCPRIM_400000_NS6detail17trampoline_kernelINS0_14default_configENS1_20scan_config_selectorIdEEZZNS1_9scan_implILNS1_25lookback_scan_determinismE0ELb0ELb0ES3_N6thrust23THRUST_200600_302600_NS6detail15normal_iteratorINS9_10device_ptrIdEEEENS9_16discard_iteratorINS9_11use_defaultEEEd11max_functorIdEdEEDaPvRmT3_T4_T5_mT6_P12ihipStream_tbENKUlT_T0_E_clISt17integral_constantIbLb1EESW_IbLb0EEEEDaSS_ST_EUlSS_E_NS1_11comp_targetILNS1_3genE9ELNS1_11target_archE1100ELNS1_3gpuE3ELNS1_3repE0EEENS1_30default_config_static_selectorELNS0_4arch9wavefront6targetE1EEEvT1_
    .private_segment_fixed_size: 0
    .sgpr_count:     4
    .sgpr_spill_count: 0
    .symbol:         _ZN7rocprim17ROCPRIM_400000_NS6detail17trampoline_kernelINS0_14default_configENS1_20scan_config_selectorIdEEZZNS1_9scan_implILNS1_25lookback_scan_determinismE0ELb0ELb0ES3_N6thrust23THRUST_200600_302600_NS6detail15normal_iteratorINS9_10device_ptrIdEEEENS9_16discard_iteratorINS9_11use_defaultEEEd11max_functorIdEdEEDaPvRmT3_T4_T5_mT6_P12ihipStream_tbENKUlT_T0_E_clISt17integral_constantIbLb1EESW_IbLb0EEEEDaSS_ST_EUlSS_E_NS1_11comp_targetILNS1_3genE9ELNS1_11target_archE1100ELNS1_3gpuE3ELNS1_3repE0EEENS1_30default_config_static_selectorELNS0_4arch9wavefront6targetE1EEEvT1_.kd
    .uniform_work_group_size: 1
    .uses_dynamic_stack: false
    .vgpr_count:     0
    .vgpr_spill_count: 0
    .wavefront_size: 64
  - .agpr_count:     0
    .args:
      - .offset:         0
        .size:           112
        .value_kind:     by_value
    .group_segment_fixed_size: 0
    .kernarg_segment_align: 8
    .kernarg_segment_size: 112
    .language:       OpenCL C
    .language_version:
      - 2
      - 0
    .max_flat_workgroup_size: 128
    .name:           _ZN7rocprim17ROCPRIM_400000_NS6detail17trampoline_kernelINS0_14default_configENS1_20scan_config_selectorIdEEZZNS1_9scan_implILNS1_25lookback_scan_determinismE0ELb0ELb0ES3_N6thrust23THRUST_200600_302600_NS6detail15normal_iteratorINS9_10device_ptrIdEEEENS9_16discard_iteratorINS9_11use_defaultEEEd11max_functorIdEdEEDaPvRmT3_T4_T5_mT6_P12ihipStream_tbENKUlT_T0_E_clISt17integral_constantIbLb1EESW_IbLb0EEEEDaSS_ST_EUlSS_E_NS1_11comp_targetILNS1_3genE8ELNS1_11target_archE1030ELNS1_3gpuE2ELNS1_3repE0EEENS1_30default_config_static_selectorELNS0_4arch9wavefront6targetE1EEEvT1_
    .private_segment_fixed_size: 0
    .sgpr_count:     4
    .sgpr_spill_count: 0
    .symbol:         _ZN7rocprim17ROCPRIM_400000_NS6detail17trampoline_kernelINS0_14default_configENS1_20scan_config_selectorIdEEZZNS1_9scan_implILNS1_25lookback_scan_determinismE0ELb0ELb0ES3_N6thrust23THRUST_200600_302600_NS6detail15normal_iteratorINS9_10device_ptrIdEEEENS9_16discard_iteratorINS9_11use_defaultEEEd11max_functorIdEdEEDaPvRmT3_T4_T5_mT6_P12ihipStream_tbENKUlT_T0_E_clISt17integral_constantIbLb1EESW_IbLb0EEEEDaSS_ST_EUlSS_E_NS1_11comp_targetILNS1_3genE8ELNS1_11target_archE1030ELNS1_3gpuE2ELNS1_3repE0EEENS1_30default_config_static_selectorELNS0_4arch9wavefront6targetE1EEEvT1_.kd
    .uniform_work_group_size: 1
    .uses_dynamic_stack: false
    .vgpr_count:     0
    .vgpr_spill_count: 0
    .wavefront_size: 64
  - .agpr_count:     0
    .args:
      - .offset:         0
        .size:           48
        .value_kind:     by_value
    .group_segment_fixed_size: 0
    .kernarg_segment_align: 8
    .kernarg_segment_size: 48
    .language:       OpenCL C
    .language_version:
      - 2
      - 0
    .max_flat_workgroup_size: 256
    .name:           _ZN7rocprim17ROCPRIM_400000_NS6detail17trampoline_kernelINS0_14default_configENS1_20scan_config_selectorIdEEZZNS1_9scan_implILNS1_25lookback_scan_determinismE0ELb0ELb0ES3_N6thrust23THRUST_200600_302600_NS6detail15normal_iteratorINS9_10device_ptrIdEEEENS9_16discard_iteratorINS9_11use_defaultEEEd11max_functorIdEdEEDaPvRmT3_T4_T5_mT6_P12ihipStream_tbENKUlT_T0_E_clISt17integral_constantIbLb1EESW_IbLb0EEEEDaSS_ST_EUlSS_E0_NS1_11comp_targetILNS1_3genE0ELNS1_11target_archE4294967295ELNS1_3gpuE0ELNS1_3repE0EEENS1_30default_config_static_selectorELNS0_4arch9wavefront6targetE1EEEvT1_
    .private_segment_fixed_size: 0
    .sgpr_count:     4
    .sgpr_spill_count: 0
    .symbol:         _ZN7rocprim17ROCPRIM_400000_NS6detail17trampoline_kernelINS0_14default_configENS1_20scan_config_selectorIdEEZZNS1_9scan_implILNS1_25lookback_scan_determinismE0ELb0ELb0ES3_N6thrust23THRUST_200600_302600_NS6detail15normal_iteratorINS9_10device_ptrIdEEEENS9_16discard_iteratorINS9_11use_defaultEEEd11max_functorIdEdEEDaPvRmT3_T4_T5_mT6_P12ihipStream_tbENKUlT_T0_E_clISt17integral_constantIbLb1EESW_IbLb0EEEEDaSS_ST_EUlSS_E0_NS1_11comp_targetILNS1_3genE0ELNS1_11target_archE4294967295ELNS1_3gpuE0ELNS1_3repE0EEENS1_30default_config_static_selectorELNS0_4arch9wavefront6targetE1EEEvT1_.kd
    .uniform_work_group_size: 1
    .uses_dynamic_stack: false
    .vgpr_count:     0
    .vgpr_spill_count: 0
    .wavefront_size: 64
  - .agpr_count:     0
    .args:
      - .offset:         0
        .size:           48
        .value_kind:     by_value
    .group_segment_fixed_size: 0
    .kernarg_segment_align: 8
    .kernarg_segment_size: 48
    .language:       OpenCL C
    .language_version:
      - 2
      - 0
    .max_flat_workgroup_size: 256
    .name:           _ZN7rocprim17ROCPRIM_400000_NS6detail17trampoline_kernelINS0_14default_configENS1_20scan_config_selectorIdEEZZNS1_9scan_implILNS1_25lookback_scan_determinismE0ELb0ELb0ES3_N6thrust23THRUST_200600_302600_NS6detail15normal_iteratorINS9_10device_ptrIdEEEENS9_16discard_iteratorINS9_11use_defaultEEEd11max_functorIdEdEEDaPvRmT3_T4_T5_mT6_P12ihipStream_tbENKUlT_T0_E_clISt17integral_constantIbLb1EESW_IbLb0EEEEDaSS_ST_EUlSS_E0_NS1_11comp_targetILNS1_3genE5ELNS1_11target_archE942ELNS1_3gpuE9ELNS1_3repE0EEENS1_30default_config_static_selectorELNS0_4arch9wavefront6targetE1EEEvT1_
    .private_segment_fixed_size: 0
    .sgpr_count:     4
    .sgpr_spill_count: 0
    .symbol:         _ZN7rocprim17ROCPRIM_400000_NS6detail17trampoline_kernelINS0_14default_configENS1_20scan_config_selectorIdEEZZNS1_9scan_implILNS1_25lookback_scan_determinismE0ELb0ELb0ES3_N6thrust23THRUST_200600_302600_NS6detail15normal_iteratorINS9_10device_ptrIdEEEENS9_16discard_iteratorINS9_11use_defaultEEEd11max_functorIdEdEEDaPvRmT3_T4_T5_mT6_P12ihipStream_tbENKUlT_T0_E_clISt17integral_constantIbLb1EESW_IbLb0EEEEDaSS_ST_EUlSS_E0_NS1_11comp_targetILNS1_3genE5ELNS1_11target_archE942ELNS1_3gpuE9ELNS1_3repE0EEENS1_30default_config_static_selectorELNS0_4arch9wavefront6targetE1EEEvT1_.kd
    .uniform_work_group_size: 1
    .uses_dynamic_stack: false
    .vgpr_count:     0
    .vgpr_spill_count: 0
    .wavefront_size: 64
  - .agpr_count:     0
    .args:
      - .offset:         0
        .size:           48
        .value_kind:     by_value
    .group_segment_fixed_size: 10240
    .kernarg_segment_align: 8
    .kernarg_segment_size: 48
    .language:       OpenCL C
    .language_version:
      - 2
      - 0
    .max_flat_workgroup_size: 128
    .name:           _ZN7rocprim17ROCPRIM_400000_NS6detail17trampoline_kernelINS0_14default_configENS1_20scan_config_selectorIdEEZZNS1_9scan_implILNS1_25lookback_scan_determinismE0ELb0ELb0ES3_N6thrust23THRUST_200600_302600_NS6detail15normal_iteratorINS9_10device_ptrIdEEEENS9_16discard_iteratorINS9_11use_defaultEEEd11max_functorIdEdEEDaPvRmT3_T4_T5_mT6_P12ihipStream_tbENKUlT_T0_E_clISt17integral_constantIbLb1EESW_IbLb0EEEEDaSS_ST_EUlSS_E0_NS1_11comp_targetILNS1_3genE4ELNS1_11target_archE910ELNS1_3gpuE8ELNS1_3repE0EEENS1_30default_config_static_selectorELNS0_4arch9wavefront6targetE1EEEvT1_
    .private_segment_fixed_size: 0
    .sgpr_count:     12
    .sgpr_spill_count: 0
    .symbol:         _ZN7rocprim17ROCPRIM_400000_NS6detail17trampoline_kernelINS0_14default_configENS1_20scan_config_selectorIdEEZZNS1_9scan_implILNS1_25lookback_scan_determinismE0ELb0ELb0ES3_N6thrust23THRUST_200600_302600_NS6detail15normal_iteratorINS9_10device_ptrIdEEEENS9_16discard_iteratorINS9_11use_defaultEEEd11max_functorIdEdEEDaPvRmT3_T4_T5_mT6_P12ihipStream_tbENKUlT_T0_E_clISt17integral_constantIbLb1EESW_IbLb0EEEEDaSS_ST_EUlSS_E0_NS1_11comp_targetILNS1_3genE4ELNS1_11target_archE910ELNS1_3gpuE8ELNS1_3repE0EEENS1_30default_config_static_selectorELNS0_4arch9wavefront6targetE1EEEvT1_.kd
    .uniform_work_group_size: 1
    .uses_dynamic_stack: false
    .vgpr_count:     31
    .vgpr_spill_count: 0
    .wavefront_size: 64
  - .agpr_count:     0
    .args:
      - .offset:         0
        .size:           48
        .value_kind:     by_value
    .group_segment_fixed_size: 0
    .kernarg_segment_align: 8
    .kernarg_segment_size: 48
    .language:       OpenCL C
    .language_version:
      - 2
      - 0
    .max_flat_workgroup_size: 256
    .name:           _ZN7rocprim17ROCPRIM_400000_NS6detail17trampoline_kernelINS0_14default_configENS1_20scan_config_selectorIdEEZZNS1_9scan_implILNS1_25lookback_scan_determinismE0ELb0ELb0ES3_N6thrust23THRUST_200600_302600_NS6detail15normal_iteratorINS9_10device_ptrIdEEEENS9_16discard_iteratorINS9_11use_defaultEEEd11max_functorIdEdEEDaPvRmT3_T4_T5_mT6_P12ihipStream_tbENKUlT_T0_E_clISt17integral_constantIbLb1EESW_IbLb0EEEEDaSS_ST_EUlSS_E0_NS1_11comp_targetILNS1_3genE3ELNS1_11target_archE908ELNS1_3gpuE7ELNS1_3repE0EEENS1_30default_config_static_selectorELNS0_4arch9wavefront6targetE1EEEvT1_
    .private_segment_fixed_size: 0
    .sgpr_count:     4
    .sgpr_spill_count: 0
    .symbol:         _ZN7rocprim17ROCPRIM_400000_NS6detail17trampoline_kernelINS0_14default_configENS1_20scan_config_selectorIdEEZZNS1_9scan_implILNS1_25lookback_scan_determinismE0ELb0ELb0ES3_N6thrust23THRUST_200600_302600_NS6detail15normal_iteratorINS9_10device_ptrIdEEEENS9_16discard_iteratorINS9_11use_defaultEEEd11max_functorIdEdEEDaPvRmT3_T4_T5_mT6_P12ihipStream_tbENKUlT_T0_E_clISt17integral_constantIbLb1EESW_IbLb0EEEEDaSS_ST_EUlSS_E0_NS1_11comp_targetILNS1_3genE3ELNS1_11target_archE908ELNS1_3gpuE7ELNS1_3repE0EEENS1_30default_config_static_selectorELNS0_4arch9wavefront6targetE1EEEvT1_.kd
    .uniform_work_group_size: 1
    .uses_dynamic_stack: false
    .vgpr_count:     0
    .vgpr_spill_count: 0
    .wavefront_size: 64
  - .agpr_count:     0
    .args:
      - .offset:         0
        .size:           48
        .value_kind:     by_value
    .group_segment_fixed_size: 0
    .kernarg_segment_align: 8
    .kernarg_segment_size: 48
    .language:       OpenCL C
    .language_version:
      - 2
      - 0
    .max_flat_workgroup_size: 128
    .name:           _ZN7rocprim17ROCPRIM_400000_NS6detail17trampoline_kernelINS0_14default_configENS1_20scan_config_selectorIdEEZZNS1_9scan_implILNS1_25lookback_scan_determinismE0ELb0ELb0ES3_N6thrust23THRUST_200600_302600_NS6detail15normal_iteratorINS9_10device_ptrIdEEEENS9_16discard_iteratorINS9_11use_defaultEEEd11max_functorIdEdEEDaPvRmT3_T4_T5_mT6_P12ihipStream_tbENKUlT_T0_E_clISt17integral_constantIbLb1EESW_IbLb0EEEEDaSS_ST_EUlSS_E0_NS1_11comp_targetILNS1_3genE2ELNS1_11target_archE906ELNS1_3gpuE6ELNS1_3repE0EEENS1_30default_config_static_selectorELNS0_4arch9wavefront6targetE1EEEvT1_
    .private_segment_fixed_size: 0
    .sgpr_count:     4
    .sgpr_spill_count: 0
    .symbol:         _ZN7rocprim17ROCPRIM_400000_NS6detail17trampoline_kernelINS0_14default_configENS1_20scan_config_selectorIdEEZZNS1_9scan_implILNS1_25lookback_scan_determinismE0ELb0ELb0ES3_N6thrust23THRUST_200600_302600_NS6detail15normal_iteratorINS9_10device_ptrIdEEEENS9_16discard_iteratorINS9_11use_defaultEEEd11max_functorIdEdEEDaPvRmT3_T4_T5_mT6_P12ihipStream_tbENKUlT_T0_E_clISt17integral_constantIbLb1EESW_IbLb0EEEEDaSS_ST_EUlSS_E0_NS1_11comp_targetILNS1_3genE2ELNS1_11target_archE906ELNS1_3gpuE6ELNS1_3repE0EEENS1_30default_config_static_selectorELNS0_4arch9wavefront6targetE1EEEvT1_.kd
    .uniform_work_group_size: 1
    .uses_dynamic_stack: false
    .vgpr_count:     0
    .vgpr_spill_count: 0
    .wavefront_size: 64
  - .agpr_count:     0
    .args:
      - .offset:         0
        .size:           48
        .value_kind:     by_value
    .group_segment_fixed_size: 0
    .kernarg_segment_align: 8
    .kernarg_segment_size: 48
    .language:       OpenCL C
    .language_version:
      - 2
      - 0
    .max_flat_workgroup_size: 256
    .name:           _ZN7rocprim17ROCPRIM_400000_NS6detail17trampoline_kernelINS0_14default_configENS1_20scan_config_selectorIdEEZZNS1_9scan_implILNS1_25lookback_scan_determinismE0ELb0ELb0ES3_N6thrust23THRUST_200600_302600_NS6detail15normal_iteratorINS9_10device_ptrIdEEEENS9_16discard_iteratorINS9_11use_defaultEEEd11max_functorIdEdEEDaPvRmT3_T4_T5_mT6_P12ihipStream_tbENKUlT_T0_E_clISt17integral_constantIbLb1EESW_IbLb0EEEEDaSS_ST_EUlSS_E0_NS1_11comp_targetILNS1_3genE10ELNS1_11target_archE1201ELNS1_3gpuE5ELNS1_3repE0EEENS1_30default_config_static_selectorELNS0_4arch9wavefront6targetE1EEEvT1_
    .private_segment_fixed_size: 0
    .sgpr_count:     4
    .sgpr_spill_count: 0
    .symbol:         _ZN7rocprim17ROCPRIM_400000_NS6detail17trampoline_kernelINS0_14default_configENS1_20scan_config_selectorIdEEZZNS1_9scan_implILNS1_25lookback_scan_determinismE0ELb0ELb0ES3_N6thrust23THRUST_200600_302600_NS6detail15normal_iteratorINS9_10device_ptrIdEEEENS9_16discard_iteratorINS9_11use_defaultEEEd11max_functorIdEdEEDaPvRmT3_T4_T5_mT6_P12ihipStream_tbENKUlT_T0_E_clISt17integral_constantIbLb1EESW_IbLb0EEEEDaSS_ST_EUlSS_E0_NS1_11comp_targetILNS1_3genE10ELNS1_11target_archE1201ELNS1_3gpuE5ELNS1_3repE0EEENS1_30default_config_static_selectorELNS0_4arch9wavefront6targetE1EEEvT1_.kd
    .uniform_work_group_size: 1
    .uses_dynamic_stack: false
    .vgpr_count:     0
    .vgpr_spill_count: 0
    .wavefront_size: 64
  - .agpr_count:     0
    .args:
      - .offset:         0
        .size:           48
        .value_kind:     by_value
    .group_segment_fixed_size: 0
    .kernarg_segment_align: 8
    .kernarg_segment_size: 48
    .language:       OpenCL C
    .language_version:
      - 2
      - 0
    .max_flat_workgroup_size: 256
    .name:           _ZN7rocprim17ROCPRIM_400000_NS6detail17trampoline_kernelINS0_14default_configENS1_20scan_config_selectorIdEEZZNS1_9scan_implILNS1_25lookback_scan_determinismE0ELb0ELb0ES3_N6thrust23THRUST_200600_302600_NS6detail15normal_iteratorINS9_10device_ptrIdEEEENS9_16discard_iteratorINS9_11use_defaultEEEd11max_functorIdEdEEDaPvRmT3_T4_T5_mT6_P12ihipStream_tbENKUlT_T0_E_clISt17integral_constantIbLb1EESW_IbLb0EEEEDaSS_ST_EUlSS_E0_NS1_11comp_targetILNS1_3genE10ELNS1_11target_archE1200ELNS1_3gpuE4ELNS1_3repE0EEENS1_30default_config_static_selectorELNS0_4arch9wavefront6targetE1EEEvT1_
    .private_segment_fixed_size: 0
    .sgpr_count:     4
    .sgpr_spill_count: 0
    .symbol:         _ZN7rocprim17ROCPRIM_400000_NS6detail17trampoline_kernelINS0_14default_configENS1_20scan_config_selectorIdEEZZNS1_9scan_implILNS1_25lookback_scan_determinismE0ELb0ELb0ES3_N6thrust23THRUST_200600_302600_NS6detail15normal_iteratorINS9_10device_ptrIdEEEENS9_16discard_iteratorINS9_11use_defaultEEEd11max_functorIdEdEEDaPvRmT3_T4_T5_mT6_P12ihipStream_tbENKUlT_T0_E_clISt17integral_constantIbLb1EESW_IbLb0EEEEDaSS_ST_EUlSS_E0_NS1_11comp_targetILNS1_3genE10ELNS1_11target_archE1200ELNS1_3gpuE4ELNS1_3repE0EEENS1_30default_config_static_selectorELNS0_4arch9wavefront6targetE1EEEvT1_.kd
    .uniform_work_group_size: 1
    .uses_dynamic_stack: false
    .vgpr_count:     0
    .vgpr_spill_count: 0
    .wavefront_size: 64
  - .agpr_count:     0
    .args:
      - .offset:         0
        .size:           48
        .value_kind:     by_value
    .group_segment_fixed_size: 0
    .kernarg_segment_align: 8
    .kernarg_segment_size: 48
    .language:       OpenCL C
    .language_version:
      - 2
      - 0
    .max_flat_workgroup_size: 256
    .name:           _ZN7rocprim17ROCPRIM_400000_NS6detail17trampoline_kernelINS0_14default_configENS1_20scan_config_selectorIdEEZZNS1_9scan_implILNS1_25lookback_scan_determinismE0ELb0ELb0ES3_N6thrust23THRUST_200600_302600_NS6detail15normal_iteratorINS9_10device_ptrIdEEEENS9_16discard_iteratorINS9_11use_defaultEEEd11max_functorIdEdEEDaPvRmT3_T4_T5_mT6_P12ihipStream_tbENKUlT_T0_E_clISt17integral_constantIbLb1EESW_IbLb0EEEEDaSS_ST_EUlSS_E0_NS1_11comp_targetILNS1_3genE9ELNS1_11target_archE1100ELNS1_3gpuE3ELNS1_3repE0EEENS1_30default_config_static_selectorELNS0_4arch9wavefront6targetE1EEEvT1_
    .private_segment_fixed_size: 0
    .sgpr_count:     4
    .sgpr_spill_count: 0
    .symbol:         _ZN7rocprim17ROCPRIM_400000_NS6detail17trampoline_kernelINS0_14default_configENS1_20scan_config_selectorIdEEZZNS1_9scan_implILNS1_25lookback_scan_determinismE0ELb0ELb0ES3_N6thrust23THRUST_200600_302600_NS6detail15normal_iteratorINS9_10device_ptrIdEEEENS9_16discard_iteratorINS9_11use_defaultEEEd11max_functorIdEdEEDaPvRmT3_T4_T5_mT6_P12ihipStream_tbENKUlT_T0_E_clISt17integral_constantIbLb1EESW_IbLb0EEEEDaSS_ST_EUlSS_E0_NS1_11comp_targetILNS1_3genE9ELNS1_11target_archE1100ELNS1_3gpuE3ELNS1_3repE0EEENS1_30default_config_static_selectorELNS0_4arch9wavefront6targetE1EEEvT1_.kd
    .uniform_work_group_size: 1
    .uses_dynamic_stack: false
    .vgpr_count:     0
    .vgpr_spill_count: 0
    .wavefront_size: 64
  - .agpr_count:     0
    .args:
      - .offset:         0
        .size:           48
        .value_kind:     by_value
    .group_segment_fixed_size: 0
    .kernarg_segment_align: 8
    .kernarg_segment_size: 48
    .language:       OpenCL C
    .language_version:
      - 2
      - 0
    .max_flat_workgroup_size: 128
    .name:           _ZN7rocprim17ROCPRIM_400000_NS6detail17trampoline_kernelINS0_14default_configENS1_20scan_config_selectorIdEEZZNS1_9scan_implILNS1_25lookback_scan_determinismE0ELb0ELb0ES3_N6thrust23THRUST_200600_302600_NS6detail15normal_iteratorINS9_10device_ptrIdEEEENS9_16discard_iteratorINS9_11use_defaultEEEd11max_functorIdEdEEDaPvRmT3_T4_T5_mT6_P12ihipStream_tbENKUlT_T0_E_clISt17integral_constantIbLb1EESW_IbLb0EEEEDaSS_ST_EUlSS_E0_NS1_11comp_targetILNS1_3genE8ELNS1_11target_archE1030ELNS1_3gpuE2ELNS1_3repE0EEENS1_30default_config_static_selectorELNS0_4arch9wavefront6targetE1EEEvT1_
    .private_segment_fixed_size: 0
    .sgpr_count:     4
    .sgpr_spill_count: 0
    .symbol:         _ZN7rocprim17ROCPRIM_400000_NS6detail17trampoline_kernelINS0_14default_configENS1_20scan_config_selectorIdEEZZNS1_9scan_implILNS1_25lookback_scan_determinismE0ELb0ELb0ES3_N6thrust23THRUST_200600_302600_NS6detail15normal_iteratorINS9_10device_ptrIdEEEENS9_16discard_iteratorINS9_11use_defaultEEEd11max_functorIdEdEEDaPvRmT3_T4_T5_mT6_P12ihipStream_tbENKUlT_T0_E_clISt17integral_constantIbLb1EESW_IbLb0EEEEDaSS_ST_EUlSS_E0_NS1_11comp_targetILNS1_3genE8ELNS1_11target_archE1030ELNS1_3gpuE2ELNS1_3repE0EEENS1_30default_config_static_selectorELNS0_4arch9wavefront6targetE1EEEvT1_.kd
    .uniform_work_group_size: 1
    .uses_dynamic_stack: false
    .vgpr_count:     0
    .vgpr_spill_count: 0
    .wavefront_size: 64
  - .agpr_count:     0
    .args:
      - .offset:         0
        .size:           112
        .value_kind:     by_value
    .group_segment_fixed_size: 0
    .kernarg_segment_align: 8
    .kernarg_segment_size: 112
    .language:       OpenCL C
    .language_version:
      - 2
      - 0
    .max_flat_workgroup_size: 256
    .name:           _ZN7rocprim17ROCPRIM_400000_NS6detail17trampoline_kernelINS0_14default_configENS1_20scan_config_selectorIdEEZZNS1_9scan_implILNS1_25lookback_scan_determinismE0ELb0ELb0ES3_N6thrust23THRUST_200600_302600_NS6detail15normal_iteratorINS9_10device_ptrIdEEEENS9_16discard_iteratorINS9_11use_defaultEEEd11max_functorIdEdEEDaPvRmT3_T4_T5_mT6_P12ihipStream_tbENKUlT_T0_E_clISt17integral_constantIbLb0EESW_IbLb1EEEEDaSS_ST_EUlSS_E_NS1_11comp_targetILNS1_3genE0ELNS1_11target_archE4294967295ELNS1_3gpuE0ELNS1_3repE0EEENS1_30default_config_static_selectorELNS0_4arch9wavefront6targetE1EEEvT1_
    .private_segment_fixed_size: 0
    .sgpr_count:     4
    .sgpr_spill_count: 0
    .symbol:         _ZN7rocprim17ROCPRIM_400000_NS6detail17trampoline_kernelINS0_14default_configENS1_20scan_config_selectorIdEEZZNS1_9scan_implILNS1_25lookback_scan_determinismE0ELb0ELb0ES3_N6thrust23THRUST_200600_302600_NS6detail15normal_iteratorINS9_10device_ptrIdEEEENS9_16discard_iteratorINS9_11use_defaultEEEd11max_functorIdEdEEDaPvRmT3_T4_T5_mT6_P12ihipStream_tbENKUlT_T0_E_clISt17integral_constantIbLb0EESW_IbLb1EEEEDaSS_ST_EUlSS_E_NS1_11comp_targetILNS1_3genE0ELNS1_11target_archE4294967295ELNS1_3gpuE0ELNS1_3repE0EEENS1_30default_config_static_selectorELNS0_4arch9wavefront6targetE1EEEvT1_.kd
    .uniform_work_group_size: 1
    .uses_dynamic_stack: false
    .vgpr_count:     0
    .vgpr_spill_count: 0
    .wavefront_size: 64
  - .agpr_count:     0
    .args:
      - .offset:         0
        .size:           112
        .value_kind:     by_value
    .group_segment_fixed_size: 0
    .kernarg_segment_align: 8
    .kernarg_segment_size: 112
    .language:       OpenCL C
    .language_version:
      - 2
      - 0
    .max_flat_workgroup_size: 256
    .name:           _ZN7rocprim17ROCPRIM_400000_NS6detail17trampoline_kernelINS0_14default_configENS1_20scan_config_selectorIdEEZZNS1_9scan_implILNS1_25lookback_scan_determinismE0ELb0ELb0ES3_N6thrust23THRUST_200600_302600_NS6detail15normal_iteratorINS9_10device_ptrIdEEEENS9_16discard_iteratorINS9_11use_defaultEEEd11max_functorIdEdEEDaPvRmT3_T4_T5_mT6_P12ihipStream_tbENKUlT_T0_E_clISt17integral_constantIbLb0EESW_IbLb1EEEEDaSS_ST_EUlSS_E_NS1_11comp_targetILNS1_3genE5ELNS1_11target_archE942ELNS1_3gpuE9ELNS1_3repE0EEENS1_30default_config_static_selectorELNS0_4arch9wavefront6targetE1EEEvT1_
    .private_segment_fixed_size: 0
    .sgpr_count:     4
    .sgpr_spill_count: 0
    .symbol:         _ZN7rocprim17ROCPRIM_400000_NS6detail17trampoline_kernelINS0_14default_configENS1_20scan_config_selectorIdEEZZNS1_9scan_implILNS1_25lookback_scan_determinismE0ELb0ELb0ES3_N6thrust23THRUST_200600_302600_NS6detail15normal_iteratorINS9_10device_ptrIdEEEENS9_16discard_iteratorINS9_11use_defaultEEEd11max_functorIdEdEEDaPvRmT3_T4_T5_mT6_P12ihipStream_tbENKUlT_T0_E_clISt17integral_constantIbLb0EESW_IbLb1EEEEDaSS_ST_EUlSS_E_NS1_11comp_targetILNS1_3genE5ELNS1_11target_archE942ELNS1_3gpuE9ELNS1_3repE0EEENS1_30default_config_static_selectorELNS0_4arch9wavefront6targetE1EEEvT1_.kd
    .uniform_work_group_size: 1
    .uses_dynamic_stack: false
    .vgpr_count:     0
    .vgpr_spill_count: 0
    .wavefront_size: 64
  - .agpr_count:     0
    .args:
      - .offset:         0
        .size:           112
        .value_kind:     by_value
    .group_segment_fixed_size: 10240
    .kernarg_segment_align: 8
    .kernarg_segment_size: 112
    .language:       OpenCL C
    .language_version:
      - 2
      - 0
    .max_flat_workgroup_size: 128
    .name:           _ZN7rocprim17ROCPRIM_400000_NS6detail17trampoline_kernelINS0_14default_configENS1_20scan_config_selectorIdEEZZNS1_9scan_implILNS1_25lookback_scan_determinismE0ELb0ELb0ES3_N6thrust23THRUST_200600_302600_NS6detail15normal_iteratorINS9_10device_ptrIdEEEENS9_16discard_iteratorINS9_11use_defaultEEEd11max_functorIdEdEEDaPvRmT3_T4_T5_mT6_P12ihipStream_tbENKUlT_T0_E_clISt17integral_constantIbLb0EESW_IbLb1EEEEDaSS_ST_EUlSS_E_NS1_11comp_targetILNS1_3genE4ELNS1_11target_archE910ELNS1_3gpuE8ELNS1_3repE0EEENS1_30default_config_static_selectorELNS0_4arch9wavefront6targetE1EEEvT1_
    .private_segment_fixed_size: 0
    .sgpr_count:     34
    .sgpr_spill_count: 0
    .symbol:         _ZN7rocprim17ROCPRIM_400000_NS6detail17trampoline_kernelINS0_14default_configENS1_20scan_config_selectorIdEEZZNS1_9scan_implILNS1_25lookback_scan_determinismE0ELb0ELb0ES3_N6thrust23THRUST_200600_302600_NS6detail15normal_iteratorINS9_10device_ptrIdEEEENS9_16discard_iteratorINS9_11use_defaultEEEd11max_functorIdEdEEDaPvRmT3_T4_T5_mT6_P12ihipStream_tbENKUlT_T0_E_clISt17integral_constantIbLb0EESW_IbLb1EEEEDaSS_ST_EUlSS_E_NS1_11comp_targetILNS1_3genE4ELNS1_11target_archE910ELNS1_3gpuE8ELNS1_3repE0EEENS1_30default_config_static_selectorELNS0_4arch9wavefront6targetE1EEEvT1_.kd
    .uniform_work_group_size: 1
    .uses_dynamic_stack: false
    .vgpr_count:     58
    .vgpr_spill_count: 0
    .wavefront_size: 64
  - .agpr_count:     0
    .args:
      - .offset:         0
        .size:           112
        .value_kind:     by_value
    .group_segment_fixed_size: 0
    .kernarg_segment_align: 8
    .kernarg_segment_size: 112
    .language:       OpenCL C
    .language_version:
      - 2
      - 0
    .max_flat_workgroup_size: 256
    .name:           _ZN7rocprim17ROCPRIM_400000_NS6detail17trampoline_kernelINS0_14default_configENS1_20scan_config_selectorIdEEZZNS1_9scan_implILNS1_25lookback_scan_determinismE0ELb0ELb0ES3_N6thrust23THRUST_200600_302600_NS6detail15normal_iteratorINS9_10device_ptrIdEEEENS9_16discard_iteratorINS9_11use_defaultEEEd11max_functorIdEdEEDaPvRmT3_T4_T5_mT6_P12ihipStream_tbENKUlT_T0_E_clISt17integral_constantIbLb0EESW_IbLb1EEEEDaSS_ST_EUlSS_E_NS1_11comp_targetILNS1_3genE3ELNS1_11target_archE908ELNS1_3gpuE7ELNS1_3repE0EEENS1_30default_config_static_selectorELNS0_4arch9wavefront6targetE1EEEvT1_
    .private_segment_fixed_size: 0
    .sgpr_count:     4
    .sgpr_spill_count: 0
    .symbol:         _ZN7rocprim17ROCPRIM_400000_NS6detail17trampoline_kernelINS0_14default_configENS1_20scan_config_selectorIdEEZZNS1_9scan_implILNS1_25lookback_scan_determinismE0ELb0ELb0ES3_N6thrust23THRUST_200600_302600_NS6detail15normal_iteratorINS9_10device_ptrIdEEEENS9_16discard_iteratorINS9_11use_defaultEEEd11max_functorIdEdEEDaPvRmT3_T4_T5_mT6_P12ihipStream_tbENKUlT_T0_E_clISt17integral_constantIbLb0EESW_IbLb1EEEEDaSS_ST_EUlSS_E_NS1_11comp_targetILNS1_3genE3ELNS1_11target_archE908ELNS1_3gpuE7ELNS1_3repE0EEENS1_30default_config_static_selectorELNS0_4arch9wavefront6targetE1EEEvT1_.kd
    .uniform_work_group_size: 1
    .uses_dynamic_stack: false
    .vgpr_count:     0
    .vgpr_spill_count: 0
    .wavefront_size: 64
  - .agpr_count:     0
    .args:
      - .offset:         0
        .size:           112
        .value_kind:     by_value
    .group_segment_fixed_size: 0
    .kernarg_segment_align: 8
    .kernarg_segment_size: 112
    .language:       OpenCL C
    .language_version:
      - 2
      - 0
    .max_flat_workgroup_size: 128
    .name:           _ZN7rocprim17ROCPRIM_400000_NS6detail17trampoline_kernelINS0_14default_configENS1_20scan_config_selectorIdEEZZNS1_9scan_implILNS1_25lookback_scan_determinismE0ELb0ELb0ES3_N6thrust23THRUST_200600_302600_NS6detail15normal_iteratorINS9_10device_ptrIdEEEENS9_16discard_iteratorINS9_11use_defaultEEEd11max_functorIdEdEEDaPvRmT3_T4_T5_mT6_P12ihipStream_tbENKUlT_T0_E_clISt17integral_constantIbLb0EESW_IbLb1EEEEDaSS_ST_EUlSS_E_NS1_11comp_targetILNS1_3genE2ELNS1_11target_archE906ELNS1_3gpuE6ELNS1_3repE0EEENS1_30default_config_static_selectorELNS0_4arch9wavefront6targetE1EEEvT1_
    .private_segment_fixed_size: 0
    .sgpr_count:     4
    .sgpr_spill_count: 0
    .symbol:         _ZN7rocprim17ROCPRIM_400000_NS6detail17trampoline_kernelINS0_14default_configENS1_20scan_config_selectorIdEEZZNS1_9scan_implILNS1_25lookback_scan_determinismE0ELb0ELb0ES3_N6thrust23THRUST_200600_302600_NS6detail15normal_iteratorINS9_10device_ptrIdEEEENS9_16discard_iteratorINS9_11use_defaultEEEd11max_functorIdEdEEDaPvRmT3_T4_T5_mT6_P12ihipStream_tbENKUlT_T0_E_clISt17integral_constantIbLb0EESW_IbLb1EEEEDaSS_ST_EUlSS_E_NS1_11comp_targetILNS1_3genE2ELNS1_11target_archE906ELNS1_3gpuE6ELNS1_3repE0EEENS1_30default_config_static_selectorELNS0_4arch9wavefront6targetE1EEEvT1_.kd
    .uniform_work_group_size: 1
    .uses_dynamic_stack: false
    .vgpr_count:     0
    .vgpr_spill_count: 0
    .wavefront_size: 64
  - .agpr_count:     0
    .args:
      - .offset:         0
        .size:           112
        .value_kind:     by_value
    .group_segment_fixed_size: 0
    .kernarg_segment_align: 8
    .kernarg_segment_size: 112
    .language:       OpenCL C
    .language_version:
      - 2
      - 0
    .max_flat_workgroup_size: 256
    .name:           _ZN7rocprim17ROCPRIM_400000_NS6detail17trampoline_kernelINS0_14default_configENS1_20scan_config_selectorIdEEZZNS1_9scan_implILNS1_25lookback_scan_determinismE0ELb0ELb0ES3_N6thrust23THRUST_200600_302600_NS6detail15normal_iteratorINS9_10device_ptrIdEEEENS9_16discard_iteratorINS9_11use_defaultEEEd11max_functorIdEdEEDaPvRmT3_T4_T5_mT6_P12ihipStream_tbENKUlT_T0_E_clISt17integral_constantIbLb0EESW_IbLb1EEEEDaSS_ST_EUlSS_E_NS1_11comp_targetILNS1_3genE10ELNS1_11target_archE1201ELNS1_3gpuE5ELNS1_3repE0EEENS1_30default_config_static_selectorELNS0_4arch9wavefront6targetE1EEEvT1_
    .private_segment_fixed_size: 0
    .sgpr_count:     4
    .sgpr_spill_count: 0
    .symbol:         _ZN7rocprim17ROCPRIM_400000_NS6detail17trampoline_kernelINS0_14default_configENS1_20scan_config_selectorIdEEZZNS1_9scan_implILNS1_25lookback_scan_determinismE0ELb0ELb0ES3_N6thrust23THRUST_200600_302600_NS6detail15normal_iteratorINS9_10device_ptrIdEEEENS9_16discard_iteratorINS9_11use_defaultEEEd11max_functorIdEdEEDaPvRmT3_T4_T5_mT6_P12ihipStream_tbENKUlT_T0_E_clISt17integral_constantIbLb0EESW_IbLb1EEEEDaSS_ST_EUlSS_E_NS1_11comp_targetILNS1_3genE10ELNS1_11target_archE1201ELNS1_3gpuE5ELNS1_3repE0EEENS1_30default_config_static_selectorELNS0_4arch9wavefront6targetE1EEEvT1_.kd
    .uniform_work_group_size: 1
    .uses_dynamic_stack: false
    .vgpr_count:     0
    .vgpr_spill_count: 0
    .wavefront_size: 64
  - .agpr_count:     0
    .args:
      - .offset:         0
        .size:           112
        .value_kind:     by_value
    .group_segment_fixed_size: 0
    .kernarg_segment_align: 8
    .kernarg_segment_size: 112
    .language:       OpenCL C
    .language_version:
      - 2
      - 0
    .max_flat_workgroup_size: 256
    .name:           _ZN7rocprim17ROCPRIM_400000_NS6detail17trampoline_kernelINS0_14default_configENS1_20scan_config_selectorIdEEZZNS1_9scan_implILNS1_25lookback_scan_determinismE0ELb0ELb0ES3_N6thrust23THRUST_200600_302600_NS6detail15normal_iteratorINS9_10device_ptrIdEEEENS9_16discard_iteratorINS9_11use_defaultEEEd11max_functorIdEdEEDaPvRmT3_T4_T5_mT6_P12ihipStream_tbENKUlT_T0_E_clISt17integral_constantIbLb0EESW_IbLb1EEEEDaSS_ST_EUlSS_E_NS1_11comp_targetILNS1_3genE10ELNS1_11target_archE1200ELNS1_3gpuE4ELNS1_3repE0EEENS1_30default_config_static_selectorELNS0_4arch9wavefront6targetE1EEEvT1_
    .private_segment_fixed_size: 0
    .sgpr_count:     4
    .sgpr_spill_count: 0
    .symbol:         _ZN7rocprim17ROCPRIM_400000_NS6detail17trampoline_kernelINS0_14default_configENS1_20scan_config_selectorIdEEZZNS1_9scan_implILNS1_25lookback_scan_determinismE0ELb0ELb0ES3_N6thrust23THRUST_200600_302600_NS6detail15normal_iteratorINS9_10device_ptrIdEEEENS9_16discard_iteratorINS9_11use_defaultEEEd11max_functorIdEdEEDaPvRmT3_T4_T5_mT6_P12ihipStream_tbENKUlT_T0_E_clISt17integral_constantIbLb0EESW_IbLb1EEEEDaSS_ST_EUlSS_E_NS1_11comp_targetILNS1_3genE10ELNS1_11target_archE1200ELNS1_3gpuE4ELNS1_3repE0EEENS1_30default_config_static_selectorELNS0_4arch9wavefront6targetE1EEEvT1_.kd
    .uniform_work_group_size: 1
    .uses_dynamic_stack: false
    .vgpr_count:     0
    .vgpr_spill_count: 0
    .wavefront_size: 64
  - .agpr_count:     0
    .args:
      - .offset:         0
        .size:           112
        .value_kind:     by_value
    .group_segment_fixed_size: 0
    .kernarg_segment_align: 8
    .kernarg_segment_size: 112
    .language:       OpenCL C
    .language_version:
      - 2
      - 0
    .max_flat_workgroup_size: 256
    .name:           _ZN7rocprim17ROCPRIM_400000_NS6detail17trampoline_kernelINS0_14default_configENS1_20scan_config_selectorIdEEZZNS1_9scan_implILNS1_25lookback_scan_determinismE0ELb0ELb0ES3_N6thrust23THRUST_200600_302600_NS6detail15normal_iteratorINS9_10device_ptrIdEEEENS9_16discard_iteratorINS9_11use_defaultEEEd11max_functorIdEdEEDaPvRmT3_T4_T5_mT6_P12ihipStream_tbENKUlT_T0_E_clISt17integral_constantIbLb0EESW_IbLb1EEEEDaSS_ST_EUlSS_E_NS1_11comp_targetILNS1_3genE9ELNS1_11target_archE1100ELNS1_3gpuE3ELNS1_3repE0EEENS1_30default_config_static_selectorELNS0_4arch9wavefront6targetE1EEEvT1_
    .private_segment_fixed_size: 0
    .sgpr_count:     4
    .sgpr_spill_count: 0
    .symbol:         _ZN7rocprim17ROCPRIM_400000_NS6detail17trampoline_kernelINS0_14default_configENS1_20scan_config_selectorIdEEZZNS1_9scan_implILNS1_25lookback_scan_determinismE0ELb0ELb0ES3_N6thrust23THRUST_200600_302600_NS6detail15normal_iteratorINS9_10device_ptrIdEEEENS9_16discard_iteratorINS9_11use_defaultEEEd11max_functorIdEdEEDaPvRmT3_T4_T5_mT6_P12ihipStream_tbENKUlT_T0_E_clISt17integral_constantIbLb0EESW_IbLb1EEEEDaSS_ST_EUlSS_E_NS1_11comp_targetILNS1_3genE9ELNS1_11target_archE1100ELNS1_3gpuE3ELNS1_3repE0EEENS1_30default_config_static_selectorELNS0_4arch9wavefront6targetE1EEEvT1_.kd
    .uniform_work_group_size: 1
    .uses_dynamic_stack: false
    .vgpr_count:     0
    .vgpr_spill_count: 0
    .wavefront_size: 64
  - .agpr_count:     0
    .args:
      - .offset:         0
        .size:           112
        .value_kind:     by_value
    .group_segment_fixed_size: 0
    .kernarg_segment_align: 8
    .kernarg_segment_size: 112
    .language:       OpenCL C
    .language_version:
      - 2
      - 0
    .max_flat_workgroup_size: 128
    .name:           _ZN7rocprim17ROCPRIM_400000_NS6detail17trampoline_kernelINS0_14default_configENS1_20scan_config_selectorIdEEZZNS1_9scan_implILNS1_25lookback_scan_determinismE0ELb0ELb0ES3_N6thrust23THRUST_200600_302600_NS6detail15normal_iteratorINS9_10device_ptrIdEEEENS9_16discard_iteratorINS9_11use_defaultEEEd11max_functorIdEdEEDaPvRmT3_T4_T5_mT6_P12ihipStream_tbENKUlT_T0_E_clISt17integral_constantIbLb0EESW_IbLb1EEEEDaSS_ST_EUlSS_E_NS1_11comp_targetILNS1_3genE8ELNS1_11target_archE1030ELNS1_3gpuE2ELNS1_3repE0EEENS1_30default_config_static_selectorELNS0_4arch9wavefront6targetE1EEEvT1_
    .private_segment_fixed_size: 0
    .sgpr_count:     4
    .sgpr_spill_count: 0
    .symbol:         _ZN7rocprim17ROCPRIM_400000_NS6detail17trampoline_kernelINS0_14default_configENS1_20scan_config_selectorIdEEZZNS1_9scan_implILNS1_25lookback_scan_determinismE0ELb0ELb0ES3_N6thrust23THRUST_200600_302600_NS6detail15normal_iteratorINS9_10device_ptrIdEEEENS9_16discard_iteratorINS9_11use_defaultEEEd11max_functorIdEdEEDaPvRmT3_T4_T5_mT6_P12ihipStream_tbENKUlT_T0_E_clISt17integral_constantIbLb0EESW_IbLb1EEEEDaSS_ST_EUlSS_E_NS1_11comp_targetILNS1_3genE8ELNS1_11target_archE1030ELNS1_3gpuE2ELNS1_3repE0EEENS1_30default_config_static_selectorELNS0_4arch9wavefront6targetE1EEEvT1_.kd
    .uniform_work_group_size: 1
    .uses_dynamic_stack: false
    .vgpr_count:     0
    .vgpr_spill_count: 0
    .wavefront_size: 64
  - .agpr_count:     0
    .args:
      - .offset:         0
        .size:           48
        .value_kind:     by_value
    .group_segment_fixed_size: 0
    .kernarg_segment_align: 8
    .kernarg_segment_size: 48
    .language:       OpenCL C
    .language_version:
      - 2
      - 0
    .max_flat_workgroup_size: 256
    .name:           _ZN7rocprim17ROCPRIM_400000_NS6detail17trampoline_kernelINS0_14default_configENS1_20scan_config_selectorIdEEZZNS1_9scan_implILNS1_25lookback_scan_determinismE0ELb0ELb0ES3_N6thrust23THRUST_200600_302600_NS6detail15normal_iteratorINS9_10device_ptrIdEEEENS9_16discard_iteratorINS9_11use_defaultEEEd11max_functorIdEdEEDaPvRmT3_T4_T5_mT6_P12ihipStream_tbENKUlT_T0_E_clISt17integral_constantIbLb0EESW_IbLb1EEEEDaSS_ST_EUlSS_E0_NS1_11comp_targetILNS1_3genE0ELNS1_11target_archE4294967295ELNS1_3gpuE0ELNS1_3repE0EEENS1_30default_config_static_selectorELNS0_4arch9wavefront6targetE1EEEvT1_
    .private_segment_fixed_size: 0
    .sgpr_count:     4
    .sgpr_spill_count: 0
    .symbol:         _ZN7rocprim17ROCPRIM_400000_NS6detail17trampoline_kernelINS0_14default_configENS1_20scan_config_selectorIdEEZZNS1_9scan_implILNS1_25lookback_scan_determinismE0ELb0ELb0ES3_N6thrust23THRUST_200600_302600_NS6detail15normal_iteratorINS9_10device_ptrIdEEEENS9_16discard_iteratorINS9_11use_defaultEEEd11max_functorIdEdEEDaPvRmT3_T4_T5_mT6_P12ihipStream_tbENKUlT_T0_E_clISt17integral_constantIbLb0EESW_IbLb1EEEEDaSS_ST_EUlSS_E0_NS1_11comp_targetILNS1_3genE0ELNS1_11target_archE4294967295ELNS1_3gpuE0ELNS1_3repE0EEENS1_30default_config_static_selectorELNS0_4arch9wavefront6targetE1EEEvT1_.kd
    .uniform_work_group_size: 1
    .uses_dynamic_stack: false
    .vgpr_count:     0
    .vgpr_spill_count: 0
    .wavefront_size: 64
  - .agpr_count:     0
    .args:
      - .offset:         0
        .size:           48
        .value_kind:     by_value
    .group_segment_fixed_size: 0
    .kernarg_segment_align: 8
    .kernarg_segment_size: 48
    .language:       OpenCL C
    .language_version:
      - 2
      - 0
    .max_flat_workgroup_size: 256
    .name:           _ZN7rocprim17ROCPRIM_400000_NS6detail17trampoline_kernelINS0_14default_configENS1_20scan_config_selectorIdEEZZNS1_9scan_implILNS1_25lookback_scan_determinismE0ELb0ELb0ES3_N6thrust23THRUST_200600_302600_NS6detail15normal_iteratorINS9_10device_ptrIdEEEENS9_16discard_iteratorINS9_11use_defaultEEEd11max_functorIdEdEEDaPvRmT3_T4_T5_mT6_P12ihipStream_tbENKUlT_T0_E_clISt17integral_constantIbLb0EESW_IbLb1EEEEDaSS_ST_EUlSS_E0_NS1_11comp_targetILNS1_3genE5ELNS1_11target_archE942ELNS1_3gpuE9ELNS1_3repE0EEENS1_30default_config_static_selectorELNS0_4arch9wavefront6targetE1EEEvT1_
    .private_segment_fixed_size: 0
    .sgpr_count:     4
    .sgpr_spill_count: 0
    .symbol:         _ZN7rocprim17ROCPRIM_400000_NS6detail17trampoline_kernelINS0_14default_configENS1_20scan_config_selectorIdEEZZNS1_9scan_implILNS1_25lookback_scan_determinismE0ELb0ELb0ES3_N6thrust23THRUST_200600_302600_NS6detail15normal_iteratorINS9_10device_ptrIdEEEENS9_16discard_iteratorINS9_11use_defaultEEEd11max_functorIdEdEEDaPvRmT3_T4_T5_mT6_P12ihipStream_tbENKUlT_T0_E_clISt17integral_constantIbLb0EESW_IbLb1EEEEDaSS_ST_EUlSS_E0_NS1_11comp_targetILNS1_3genE5ELNS1_11target_archE942ELNS1_3gpuE9ELNS1_3repE0EEENS1_30default_config_static_selectorELNS0_4arch9wavefront6targetE1EEEvT1_.kd
    .uniform_work_group_size: 1
    .uses_dynamic_stack: false
    .vgpr_count:     0
    .vgpr_spill_count: 0
    .wavefront_size: 64
  - .agpr_count:     0
    .args:
      - .offset:         0
        .size:           48
        .value_kind:     by_value
    .group_segment_fixed_size: 10240
    .kernarg_segment_align: 8
    .kernarg_segment_size: 48
    .language:       OpenCL C
    .language_version:
      - 2
      - 0
    .max_flat_workgroup_size: 128
    .name:           _ZN7rocprim17ROCPRIM_400000_NS6detail17trampoline_kernelINS0_14default_configENS1_20scan_config_selectorIdEEZZNS1_9scan_implILNS1_25lookback_scan_determinismE0ELb0ELb0ES3_N6thrust23THRUST_200600_302600_NS6detail15normal_iteratorINS9_10device_ptrIdEEEENS9_16discard_iteratorINS9_11use_defaultEEEd11max_functorIdEdEEDaPvRmT3_T4_T5_mT6_P12ihipStream_tbENKUlT_T0_E_clISt17integral_constantIbLb0EESW_IbLb1EEEEDaSS_ST_EUlSS_E0_NS1_11comp_targetILNS1_3genE4ELNS1_11target_archE910ELNS1_3gpuE8ELNS1_3repE0EEENS1_30default_config_static_selectorELNS0_4arch9wavefront6targetE1EEEvT1_
    .private_segment_fixed_size: 0
    .sgpr_count:     12
    .sgpr_spill_count: 0
    .symbol:         _ZN7rocprim17ROCPRIM_400000_NS6detail17trampoline_kernelINS0_14default_configENS1_20scan_config_selectorIdEEZZNS1_9scan_implILNS1_25lookback_scan_determinismE0ELb0ELb0ES3_N6thrust23THRUST_200600_302600_NS6detail15normal_iteratorINS9_10device_ptrIdEEEENS9_16discard_iteratorINS9_11use_defaultEEEd11max_functorIdEdEEDaPvRmT3_T4_T5_mT6_P12ihipStream_tbENKUlT_T0_E_clISt17integral_constantIbLb0EESW_IbLb1EEEEDaSS_ST_EUlSS_E0_NS1_11comp_targetILNS1_3genE4ELNS1_11target_archE910ELNS1_3gpuE8ELNS1_3repE0EEENS1_30default_config_static_selectorELNS0_4arch9wavefront6targetE1EEEvT1_.kd
    .uniform_work_group_size: 1
    .uses_dynamic_stack: false
    .vgpr_count:     31
    .vgpr_spill_count: 0
    .wavefront_size: 64
  - .agpr_count:     0
    .args:
      - .offset:         0
        .size:           48
        .value_kind:     by_value
    .group_segment_fixed_size: 0
    .kernarg_segment_align: 8
    .kernarg_segment_size: 48
    .language:       OpenCL C
    .language_version:
      - 2
      - 0
    .max_flat_workgroup_size: 256
    .name:           _ZN7rocprim17ROCPRIM_400000_NS6detail17trampoline_kernelINS0_14default_configENS1_20scan_config_selectorIdEEZZNS1_9scan_implILNS1_25lookback_scan_determinismE0ELb0ELb0ES3_N6thrust23THRUST_200600_302600_NS6detail15normal_iteratorINS9_10device_ptrIdEEEENS9_16discard_iteratorINS9_11use_defaultEEEd11max_functorIdEdEEDaPvRmT3_T4_T5_mT6_P12ihipStream_tbENKUlT_T0_E_clISt17integral_constantIbLb0EESW_IbLb1EEEEDaSS_ST_EUlSS_E0_NS1_11comp_targetILNS1_3genE3ELNS1_11target_archE908ELNS1_3gpuE7ELNS1_3repE0EEENS1_30default_config_static_selectorELNS0_4arch9wavefront6targetE1EEEvT1_
    .private_segment_fixed_size: 0
    .sgpr_count:     4
    .sgpr_spill_count: 0
    .symbol:         _ZN7rocprim17ROCPRIM_400000_NS6detail17trampoline_kernelINS0_14default_configENS1_20scan_config_selectorIdEEZZNS1_9scan_implILNS1_25lookback_scan_determinismE0ELb0ELb0ES3_N6thrust23THRUST_200600_302600_NS6detail15normal_iteratorINS9_10device_ptrIdEEEENS9_16discard_iteratorINS9_11use_defaultEEEd11max_functorIdEdEEDaPvRmT3_T4_T5_mT6_P12ihipStream_tbENKUlT_T0_E_clISt17integral_constantIbLb0EESW_IbLb1EEEEDaSS_ST_EUlSS_E0_NS1_11comp_targetILNS1_3genE3ELNS1_11target_archE908ELNS1_3gpuE7ELNS1_3repE0EEENS1_30default_config_static_selectorELNS0_4arch9wavefront6targetE1EEEvT1_.kd
    .uniform_work_group_size: 1
    .uses_dynamic_stack: false
    .vgpr_count:     0
    .vgpr_spill_count: 0
    .wavefront_size: 64
  - .agpr_count:     0
    .args:
      - .offset:         0
        .size:           48
        .value_kind:     by_value
    .group_segment_fixed_size: 0
    .kernarg_segment_align: 8
    .kernarg_segment_size: 48
    .language:       OpenCL C
    .language_version:
      - 2
      - 0
    .max_flat_workgroup_size: 128
    .name:           _ZN7rocprim17ROCPRIM_400000_NS6detail17trampoline_kernelINS0_14default_configENS1_20scan_config_selectorIdEEZZNS1_9scan_implILNS1_25lookback_scan_determinismE0ELb0ELb0ES3_N6thrust23THRUST_200600_302600_NS6detail15normal_iteratorINS9_10device_ptrIdEEEENS9_16discard_iteratorINS9_11use_defaultEEEd11max_functorIdEdEEDaPvRmT3_T4_T5_mT6_P12ihipStream_tbENKUlT_T0_E_clISt17integral_constantIbLb0EESW_IbLb1EEEEDaSS_ST_EUlSS_E0_NS1_11comp_targetILNS1_3genE2ELNS1_11target_archE906ELNS1_3gpuE6ELNS1_3repE0EEENS1_30default_config_static_selectorELNS0_4arch9wavefront6targetE1EEEvT1_
    .private_segment_fixed_size: 0
    .sgpr_count:     4
    .sgpr_spill_count: 0
    .symbol:         _ZN7rocprim17ROCPRIM_400000_NS6detail17trampoline_kernelINS0_14default_configENS1_20scan_config_selectorIdEEZZNS1_9scan_implILNS1_25lookback_scan_determinismE0ELb0ELb0ES3_N6thrust23THRUST_200600_302600_NS6detail15normal_iteratorINS9_10device_ptrIdEEEENS9_16discard_iteratorINS9_11use_defaultEEEd11max_functorIdEdEEDaPvRmT3_T4_T5_mT6_P12ihipStream_tbENKUlT_T0_E_clISt17integral_constantIbLb0EESW_IbLb1EEEEDaSS_ST_EUlSS_E0_NS1_11comp_targetILNS1_3genE2ELNS1_11target_archE906ELNS1_3gpuE6ELNS1_3repE0EEENS1_30default_config_static_selectorELNS0_4arch9wavefront6targetE1EEEvT1_.kd
    .uniform_work_group_size: 1
    .uses_dynamic_stack: false
    .vgpr_count:     0
    .vgpr_spill_count: 0
    .wavefront_size: 64
  - .agpr_count:     0
    .args:
      - .offset:         0
        .size:           48
        .value_kind:     by_value
    .group_segment_fixed_size: 0
    .kernarg_segment_align: 8
    .kernarg_segment_size: 48
    .language:       OpenCL C
    .language_version:
      - 2
      - 0
    .max_flat_workgroup_size: 256
    .name:           _ZN7rocprim17ROCPRIM_400000_NS6detail17trampoline_kernelINS0_14default_configENS1_20scan_config_selectorIdEEZZNS1_9scan_implILNS1_25lookback_scan_determinismE0ELb0ELb0ES3_N6thrust23THRUST_200600_302600_NS6detail15normal_iteratorINS9_10device_ptrIdEEEENS9_16discard_iteratorINS9_11use_defaultEEEd11max_functorIdEdEEDaPvRmT3_T4_T5_mT6_P12ihipStream_tbENKUlT_T0_E_clISt17integral_constantIbLb0EESW_IbLb1EEEEDaSS_ST_EUlSS_E0_NS1_11comp_targetILNS1_3genE10ELNS1_11target_archE1201ELNS1_3gpuE5ELNS1_3repE0EEENS1_30default_config_static_selectorELNS0_4arch9wavefront6targetE1EEEvT1_
    .private_segment_fixed_size: 0
    .sgpr_count:     4
    .sgpr_spill_count: 0
    .symbol:         _ZN7rocprim17ROCPRIM_400000_NS6detail17trampoline_kernelINS0_14default_configENS1_20scan_config_selectorIdEEZZNS1_9scan_implILNS1_25lookback_scan_determinismE0ELb0ELb0ES3_N6thrust23THRUST_200600_302600_NS6detail15normal_iteratorINS9_10device_ptrIdEEEENS9_16discard_iteratorINS9_11use_defaultEEEd11max_functorIdEdEEDaPvRmT3_T4_T5_mT6_P12ihipStream_tbENKUlT_T0_E_clISt17integral_constantIbLb0EESW_IbLb1EEEEDaSS_ST_EUlSS_E0_NS1_11comp_targetILNS1_3genE10ELNS1_11target_archE1201ELNS1_3gpuE5ELNS1_3repE0EEENS1_30default_config_static_selectorELNS0_4arch9wavefront6targetE1EEEvT1_.kd
    .uniform_work_group_size: 1
    .uses_dynamic_stack: false
    .vgpr_count:     0
    .vgpr_spill_count: 0
    .wavefront_size: 64
  - .agpr_count:     0
    .args:
      - .offset:         0
        .size:           48
        .value_kind:     by_value
    .group_segment_fixed_size: 0
    .kernarg_segment_align: 8
    .kernarg_segment_size: 48
    .language:       OpenCL C
    .language_version:
      - 2
      - 0
    .max_flat_workgroup_size: 256
    .name:           _ZN7rocprim17ROCPRIM_400000_NS6detail17trampoline_kernelINS0_14default_configENS1_20scan_config_selectorIdEEZZNS1_9scan_implILNS1_25lookback_scan_determinismE0ELb0ELb0ES3_N6thrust23THRUST_200600_302600_NS6detail15normal_iteratorINS9_10device_ptrIdEEEENS9_16discard_iteratorINS9_11use_defaultEEEd11max_functorIdEdEEDaPvRmT3_T4_T5_mT6_P12ihipStream_tbENKUlT_T0_E_clISt17integral_constantIbLb0EESW_IbLb1EEEEDaSS_ST_EUlSS_E0_NS1_11comp_targetILNS1_3genE10ELNS1_11target_archE1200ELNS1_3gpuE4ELNS1_3repE0EEENS1_30default_config_static_selectorELNS0_4arch9wavefront6targetE1EEEvT1_
    .private_segment_fixed_size: 0
    .sgpr_count:     4
    .sgpr_spill_count: 0
    .symbol:         _ZN7rocprim17ROCPRIM_400000_NS6detail17trampoline_kernelINS0_14default_configENS1_20scan_config_selectorIdEEZZNS1_9scan_implILNS1_25lookback_scan_determinismE0ELb0ELb0ES3_N6thrust23THRUST_200600_302600_NS6detail15normal_iteratorINS9_10device_ptrIdEEEENS9_16discard_iteratorINS9_11use_defaultEEEd11max_functorIdEdEEDaPvRmT3_T4_T5_mT6_P12ihipStream_tbENKUlT_T0_E_clISt17integral_constantIbLb0EESW_IbLb1EEEEDaSS_ST_EUlSS_E0_NS1_11comp_targetILNS1_3genE10ELNS1_11target_archE1200ELNS1_3gpuE4ELNS1_3repE0EEENS1_30default_config_static_selectorELNS0_4arch9wavefront6targetE1EEEvT1_.kd
    .uniform_work_group_size: 1
    .uses_dynamic_stack: false
    .vgpr_count:     0
    .vgpr_spill_count: 0
    .wavefront_size: 64
  - .agpr_count:     0
    .args:
      - .offset:         0
        .size:           48
        .value_kind:     by_value
    .group_segment_fixed_size: 0
    .kernarg_segment_align: 8
    .kernarg_segment_size: 48
    .language:       OpenCL C
    .language_version:
      - 2
      - 0
    .max_flat_workgroup_size: 256
    .name:           _ZN7rocprim17ROCPRIM_400000_NS6detail17trampoline_kernelINS0_14default_configENS1_20scan_config_selectorIdEEZZNS1_9scan_implILNS1_25lookback_scan_determinismE0ELb0ELb0ES3_N6thrust23THRUST_200600_302600_NS6detail15normal_iteratorINS9_10device_ptrIdEEEENS9_16discard_iteratorINS9_11use_defaultEEEd11max_functorIdEdEEDaPvRmT3_T4_T5_mT6_P12ihipStream_tbENKUlT_T0_E_clISt17integral_constantIbLb0EESW_IbLb1EEEEDaSS_ST_EUlSS_E0_NS1_11comp_targetILNS1_3genE9ELNS1_11target_archE1100ELNS1_3gpuE3ELNS1_3repE0EEENS1_30default_config_static_selectorELNS0_4arch9wavefront6targetE1EEEvT1_
    .private_segment_fixed_size: 0
    .sgpr_count:     4
    .sgpr_spill_count: 0
    .symbol:         _ZN7rocprim17ROCPRIM_400000_NS6detail17trampoline_kernelINS0_14default_configENS1_20scan_config_selectorIdEEZZNS1_9scan_implILNS1_25lookback_scan_determinismE0ELb0ELb0ES3_N6thrust23THRUST_200600_302600_NS6detail15normal_iteratorINS9_10device_ptrIdEEEENS9_16discard_iteratorINS9_11use_defaultEEEd11max_functorIdEdEEDaPvRmT3_T4_T5_mT6_P12ihipStream_tbENKUlT_T0_E_clISt17integral_constantIbLb0EESW_IbLb1EEEEDaSS_ST_EUlSS_E0_NS1_11comp_targetILNS1_3genE9ELNS1_11target_archE1100ELNS1_3gpuE3ELNS1_3repE0EEENS1_30default_config_static_selectorELNS0_4arch9wavefront6targetE1EEEvT1_.kd
    .uniform_work_group_size: 1
    .uses_dynamic_stack: false
    .vgpr_count:     0
    .vgpr_spill_count: 0
    .wavefront_size: 64
  - .agpr_count:     0
    .args:
      - .offset:         0
        .size:           48
        .value_kind:     by_value
    .group_segment_fixed_size: 0
    .kernarg_segment_align: 8
    .kernarg_segment_size: 48
    .language:       OpenCL C
    .language_version:
      - 2
      - 0
    .max_flat_workgroup_size: 128
    .name:           _ZN7rocprim17ROCPRIM_400000_NS6detail17trampoline_kernelINS0_14default_configENS1_20scan_config_selectorIdEEZZNS1_9scan_implILNS1_25lookback_scan_determinismE0ELb0ELb0ES3_N6thrust23THRUST_200600_302600_NS6detail15normal_iteratorINS9_10device_ptrIdEEEENS9_16discard_iteratorINS9_11use_defaultEEEd11max_functorIdEdEEDaPvRmT3_T4_T5_mT6_P12ihipStream_tbENKUlT_T0_E_clISt17integral_constantIbLb0EESW_IbLb1EEEEDaSS_ST_EUlSS_E0_NS1_11comp_targetILNS1_3genE8ELNS1_11target_archE1030ELNS1_3gpuE2ELNS1_3repE0EEENS1_30default_config_static_selectorELNS0_4arch9wavefront6targetE1EEEvT1_
    .private_segment_fixed_size: 0
    .sgpr_count:     4
    .sgpr_spill_count: 0
    .symbol:         _ZN7rocprim17ROCPRIM_400000_NS6detail17trampoline_kernelINS0_14default_configENS1_20scan_config_selectorIdEEZZNS1_9scan_implILNS1_25lookback_scan_determinismE0ELb0ELb0ES3_N6thrust23THRUST_200600_302600_NS6detail15normal_iteratorINS9_10device_ptrIdEEEENS9_16discard_iteratorINS9_11use_defaultEEEd11max_functorIdEdEEDaPvRmT3_T4_T5_mT6_P12ihipStream_tbENKUlT_T0_E_clISt17integral_constantIbLb0EESW_IbLb1EEEEDaSS_ST_EUlSS_E0_NS1_11comp_targetILNS1_3genE8ELNS1_11target_archE1030ELNS1_3gpuE2ELNS1_3repE0EEENS1_30default_config_static_selectorELNS0_4arch9wavefront6targetE1EEEvT1_.kd
    .uniform_work_group_size: 1
    .uses_dynamic_stack: false
    .vgpr_count:     0
    .vgpr_spill_count: 0
    .wavefront_size: 64
  - .agpr_count:     0
    .args:
      - .offset:         0
        .size:           112
        .value_kind:     by_value
    .group_segment_fixed_size: 0
    .kernarg_segment_align: 8
    .kernarg_segment_size: 112
    .language:       OpenCL C
    .language_version:
      - 2
      - 0
    .max_flat_workgroup_size: 256
    .name:           _ZN7rocprim17ROCPRIM_400000_NS6detail17trampoline_kernelINS0_14default_configENS1_20scan_config_selectorIdEEZZNS1_9scan_implILNS1_25lookback_scan_determinismE0ELb1ELb1ES3_N6thrust23THRUST_200600_302600_NS6detail15normal_iteratorINS9_10device_ptrIdEEEENS9_16discard_iteratorINS9_11use_defaultEEEd11max_functorIdEdEEDaPvRmT3_T4_T5_mT6_P12ihipStream_tbENKUlT_T0_E_clISt17integral_constantIbLb0EESX_EEDaSS_ST_EUlSS_E_NS1_11comp_targetILNS1_3genE0ELNS1_11target_archE4294967295ELNS1_3gpuE0ELNS1_3repE0EEENS1_30default_config_static_selectorELNS0_4arch9wavefront6targetE1EEEvT1_
    .private_segment_fixed_size: 0
    .sgpr_count:     4
    .sgpr_spill_count: 0
    .symbol:         _ZN7rocprim17ROCPRIM_400000_NS6detail17trampoline_kernelINS0_14default_configENS1_20scan_config_selectorIdEEZZNS1_9scan_implILNS1_25lookback_scan_determinismE0ELb1ELb1ES3_N6thrust23THRUST_200600_302600_NS6detail15normal_iteratorINS9_10device_ptrIdEEEENS9_16discard_iteratorINS9_11use_defaultEEEd11max_functorIdEdEEDaPvRmT3_T4_T5_mT6_P12ihipStream_tbENKUlT_T0_E_clISt17integral_constantIbLb0EESX_EEDaSS_ST_EUlSS_E_NS1_11comp_targetILNS1_3genE0ELNS1_11target_archE4294967295ELNS1_3gpuE0ELNS1_3repE0EEENS1_30default_config_static_selectorELNS0_4arch9wavefront6targetE1EEEvT1_.kd
    .uniform_work_group_size: 1
    .uses_dynamic_stack: false
    .vgpr_count:     0
    .vgpr_spill_count: 0
    .wavefront_size: 64
  - .agpr_count:     0
    .args:
      - .offset:         0
        .size:           112
        .value_kind:     by_value
    .group_segment_fixed_size: 0
    .kernarg_segment_align: 8
    .kernarg_segment_size: 112
    .language:       OpenCL C
    .language_version:
      - 2
      - 0
    .max_flat_workgroup_size: 256
    .name:           _ZN7rocprim17ROCPRIM_400000_NS6detail17trampoline_kernelINS0_14default_configENS1_20scan_config_selectorIdEEZZNS1_9scan_implILNS1_25lookback_scan_determinismE0ELb1ELb1ES3_N6thrust23THRUST_200600_302600_NS6detail15normal_iteratorINS9_10device_ptrIdEEEENS9_16discard_iteratorINS9_11use_defaultEEEd11max_functorIdEdEEDaPvRmT3_T4_T5_mT6_P12ihipStream_tbENKUlT_T0_E_clISt17integral_constantIbLb0EESX_EEDaSS_ST_EUlSS_E_NS1_11comp_targetILNS1_3genE5ELNS1_11target_archE942ELNS1_3gpuE9ELNS1_3repE0EEENS1_30default_config_static_selectorELNS0_4arch9wavefront6targetE1EEEvT1_
    .private_segment_fixed_size: 0
    .sgpr_count:     4
    .sgpr_spill_count: 0
    .symbol:         _ZN7rocprim17ROCPRIM_400000_NS6detail17trampoline_kernelINS0_14default_configENS1_20scan_config_selectorIdEEZZNS1_9scan_implILNS1_25lookback_scan_determinismE0ELb1ELb1ES3_N6thrust23THRUST_200600_302600_NS6detail15normal_iteratorINS9_10device_ptrIdEEEENS9_16discard_iteratorINS9_11use_defaultEEEd11max_functorIdEdEEDaPvRmT3_T4_T5_mT6_P12ihipStream_tbENKUlT_T0_E_clISt17integral_constantIbLb0EESX_EEDaSS_ST_EUlSS_E_NS1_11comp_targetILNS1_3genE5ELNS1_11target_archE942ELNS1_3gpuE9ELNS1_3repE0EEENS1_30default_config_static_selectorELNS0_4arch9wavefront6targetE1EEEvT1_.kd
    .uniform_work_group_size: 1
    .uses_dynamic_stack: false
    .vgpr_count:     0
    .vgpr_spill_count: 0
    .wavefront_size: 64
  - .agpr_count:     0
    .args:
      - .offset:         0
        .size:           112
        .value_kind:     by_value
    .group_segment_fixed_size: 10240
    .kernarg_segment_align: 8
    .kernarg_segment_size: 112
    .language:       OpenCL C
    .language_version:
      - 2
      - 0
    .max_flat_workgroup_size: 128
    .name:           _ZN7rocprim17ROCPRIM_400000_NS6detail17trampoline_kernelINS0_14default_configENS1_20scan_config_selectorIdEEZZNS1_9scan_implILNS1_25lookback_scan_determinismE0ELb1ELb1ES3_N6thrust23THRUST_200600_302600_NS6detail15normal_iteratorINS9_10device_ptrIdEEEENS9_16discard_iteratorINS9_11use_defaultEEEd11max_functorIdEdEEDaPvRmT3_T4_T5_mT6_P12ihipStream_tbENKUlT_T0_E_clISt17integral_constantIbLb0EESX_EEDaSS_ST_EUlSS_E_NS1_11comp_targetILNS1_3genE4ELNS1_11target_archE910ELNS1_3gpuE8ELNS1_3repE0EEENS1_30default_config_static_selectorELNS0_4arch9wavefront6targetE1EEEvT1_
    .private_segment_fixed_size: 0
    .sgpr_count:     28
    .sgpr_spill_count: 0
    .symbol:         _ZN7rocprim17ROCPRIM_400000_NS6detail17trampoline_kernelINS0_14default_configENS1_20scan_config_selectorIdEEZZNS1_9scan_implILNS1_25lookback_scan_determinismE0ELb1ELb1ES3_N6thrust23THRUST_200600_302600_NS6detail15normal_iteratorINS9_10device_ptrIdEEEENS9_16discard_iteratorINS9_11use_defaultEEEd11max_functorIdEdEEDaPvRmT3_T4_T5_mT6_P12ihipStream_tbENKUlT_T0_E_clISt17integral_constantIbLb0EESX_EEDaSS_ST_EUlSS_E_NS1_11comp_targetILNS1_3genE4ELNS1_11target_archE910ELNS1_3gpuE8ELNS1_3repE0EEENS1_30default_config_static_selectorELNS0_4arch9wavefront6targetE1EEEvT1_.kd
    .uniform_work_group_size: 1
    .uses_dynamic_stack: false
    .vgpr_count:     58
    .vgpr_spill_count: 0
    .wavefront_size: 64
  - .agpr_count:     0
    .args:
      - .offset:         0
        .size:           112
        .value_kind:     by_value
    .group_segment_fixed_size: 0
    .kernarg_segment_align: 8
    .kernarg_segment_size: 112
    .language:       OpenCL C
    .language_version:
      - 2
      - 0
    .max_flat_workgroup_size: 256
    .name:           _ZN7rocprim17ROCPRIM_400000_NS6detail17trampoline_kernelINS0_14default_configENS1_20scan_config_selectorIdEEZZNS1_9scan_implILNS1_25lookback_scan_determinismE0ELb1ELb1ES3_N6thrust23THRUST_200600_302600_NS6detail15normal_iteratorINS9_10device_ptrIdEEEENS9_16discard_iteratorINS9_11use_defaultEEEd11max_functorIdEdEEDaPvRmT3_T4_T5_mT6_P12ihipStream_tbENKUlT_T0_E_clISt17integral_constantIbLb0EESX_EEDaSS_ST_EUlSS_E_NS1_11comp_targetILNS1_3genE3ELNS1_11target_archE908ELNS1_3gpuE7ELNS1_3repE0EEENS1_30default_config_static_selectorELNS0_4arch9wavefront6targetE1EEEvT1_
    .private_segment_fixed_size: 0
    .sgpr_count:     4
    .sgpr_spill_count: 0
    .symbol:         _ZN7rocprim17ROCPRIM_400000_NS6detail17trampoline_kernelINS0_14default_configENS1_20scan_config_selectorIdEEZZNS1_9scan_implILNS1_25lookback_scan_determinismE0ELb1ELb1ES3_N6thrust23THRUST_200600_302600_NS6detail15normal_iteratorINS9_10device_ptrIdEEEENS9_16discard_iteratorINS9_11use_defaultEEEd11max_functorIdEdEEDaPvRmT3_T4_T5_mT6_P12ihipStream_tbENKUlT_T0_E_clISt17integral_constantIbLb0EESX_EEDaSS_ST_EUlSS_E_NS1_11comp_targetILNS1_3genE3ELNS1_11target_archE908ELNS1_3gpuE7ELNS1_3repE0EEENS1_30default_config_static_selectorELNS0_4arch9wavefront6targetE1EEEvT1_.kd
    .uniform_work_group_size: 1
    .uses_dynamic_stack: false
    .vgpr_count:     0
    .vgpr_spill_count: 0
    .wavefront_size: 64
  - .agpr_count:     0
    .args:
      - .offset:         0
        .size:           112
        .value_kind:     by_value
    .group_segment_fixed_size: 0
    .kernarg_segment_align: 8
    .kernarg_segment_size: 112
    .language:       OpenCL C
    .language_version:
      - 2
      - 0
    .max_flat_workgroup_size: 128
    .name:           _ZN7rocprim17ROCPRIM_400000_NS6detail17trampoline_kernelINS0_14default_configENS1_20scan_config_selectorIdEEZZNS1_9scan_implILNS1_25lookback_scan_determinismE0ELb1ELb1ES3_N6thrust23THRUST_200600_302600_NS6detail15normal_iteratorINS9_10device_ptrIdEEEENS9_16discard_iteratorINS9_11use_defaultEEEd11max_functorIdEdEEDaPvRmT3_T4_T5_mT6_P12ihipStream_tbENKUlT_T0_E_clISt17integral_constantIbLb0EESX_EEDaSS_ST_EUlSS_E_NS1_11comp_targetILNS1_3genE2ELNS1_11target_archE906ELNS1_3gpuE6ELNS1_3repE0EEENS1_30default_config_static_selectorELNS0_4arch9wavefront6targetE1EEEvT1_
    .private_segment_fixed_size: 0
    .sgpr_count:     4
    .sgpr_spill_count: 0
    .symbol:         _ZN7rocprim17ROCPRIM_400000_NS6detail17trampoline_kernelINS0_14default_configENS1_20scan_config_selectorIdEEZZNS1_9scan_implILNS1_25lookback_scan_determinismE0ELb1ELb1ES3_N6thrust23THRUST_200600_302600_NS6detail15normal_iteratorINS9_10device_ptrIdEEEENS9_16discard_iteratorINS9_11use_defaultEEEd11max_functorIdEdEEDaPvRmT3_T4_T5_mT6_P12ihipStream_tbENKUlT_T0_E_clISt17integral_constantIbLb0EESX_EEDaSS_ST_EUlSS_E_NS1_11comp_targetILNS1_3genE2ELNS1_11target_archE906ELNS1_3gpuE6ELNS1_3repE0EEENS1_30default_config_static_selectorELNS0_4arch9wavefront6targetE1EEEvT1_.kd
    .uniform_work_group_size: 1
    .uses_dynamic_stack: false
    .vgpr_count:     0
    .vgpr_spill_count: 0
    .wavefront_size: 64
  - .agpr_count:     0
    .args:
      - .offset:         0
        .size:           112
        .value_kind:     by_value
    .group_segment_fixed_size: 0
    .kernarg_segment_align: 8
    .kernarg_segment_size: 112
    .language:       OpenCL C
    .language_version:
      - 2
      - 0
    .max_flat_workgroup_size: 256
    .name:           _ZN7rocprim17ROCPRIM_400000_NS6detail17trampoline_kernelINS0_14default_configENS1_20scan_config_selectorIdEEZZNS1_9scan_implILNS1_25lookback_scan_determinismE0ELb1ELb1ES3_N6thrust23THRUST_200600_302600_NS6detail15normal_iteratorINS9_10device_ptrIdEEEENS9_16discard_iteratorINS9_11use_defaultEEEd11max_functorIdEdEEDaPvRmT3_T4_T5_mT6_P12ihipStream_tbENKUlT_T0_E_clISt17integral_constantIbLb0EESX_EEDaSS_ST_EUlSS_E_NS1_11comp_targetILNS1_3genE10ELNS1_11target_archE1201ELNS1_3gpuE5ELNS1_3repE0EEENS1_30default_config_static_selectorELNS0_4arch9wavefront6targetE1EEEvT1_
    .private_segment_fixed_size: 0
    .sgpr_count:     4
    .sgpr_spill_count: 0
    .symbol:         _ZN7rocprim17ROCPRIM_400000_NS6detail17trampoline_kernelINS0_14default_configENS1_20scan_config_selectorIdEEZZNS1_9scan_implILNS1_25lookback_scan_determinismE0ELb1ELb1ES3_N6thrust23THRUST_200600_302600_NS6detail15normal_iteratorINS9_10device_ptrIdEEEENS9_16discard_iteratorINS9_11use_defaultEEEd11max_functorIdEdEEDaPvRmT3_T4_T5_mT6_P12ihipStream_tbENKUlT_T0_E_clISt17integral_constantIbLb0EESX_EEDaSS_ST_EUlSS_E_NS1_11comp_targetILNS1_3genE10ELNS1_11target_archE1201ELNS1_3gpuE5ELNS1_3repE0EEENS1_30default_config_static_selectorELNS0_4arch9wavefront6targetE1EEEvT1_.kd
    .uniform_work_group_size: 1
    .uses_dynamic_stack: false
    .vgpr_count:     0
    .vgpr_spill_count: 0
    .wavefront_size: 64
  - .agpr_count:     0
    .args:
      - .offset:         0
        .size:           112
        .value_kind:     by_value
    .group_segment_fixed_size: 0
    .kernarg_segment_align: 8
    .kernarg_segment_size: 112
    .language:       OpenCL C
    .language_version:
      - 2
      - 0
    .max_flat_workgroup_size: 256
    .name:           _ZN7rocprim17ROCPRIM_400000_NS6detail17trampoline_kernelINS0_14default_configENS1_20scan_config_selectorIdEEZZNS1_9scan_implILNS1_25lookback_scan_determinismE0ELb1ELb1ES3_N6thrust23THRUST_200600_302600_NS6detail15normal_iteratorINS9_10device_ptrIdEEEENS9_16discard_iteratorINS9_11use_defaultEEEd11max_functorIdEdEEDaPvRmT3_T4_T5_mT6_P12ihipStream_tbENKUlT_T0_E_clISt17integral_constantIbLb0EESX_EEDaSS_ST_EUlSS_E_NS1_11comp_targetILNS1_3genE10ELNS1_11target_archE1200ELNS1_3gpuE4ELNS1_3repE0EEENS1_30default_config_static_selectorELNS0_4arch9wavefront6targetE1EEEvT1_
    .private_segment_fixed_size: 0
    .sgpr_count:     4
    .sgpr_spill_count: 0
    .symbol:         _ZN7rocprim17ROCPRIM_400000_NS6detail17trampoline_kernelINS0_14default_configENS1_20scan_config_selectorIdEEZZNS1_9scan_implILNS1_25lookback_scan_determinismE0ELb1ELb1ES3_N6thrust23THRUST_200600_302600_NS6detail15normal_iteratorINS9_10device_ptrIdEEEENS9_16discard_iteratorINS9_11use_defaultEEEd11max_functorIdEdEEDaPvRmT3_T4_T5_mT6_P12ihipStream_tbENKUlT_T0_E_clISt17integral_constantIbLb0EESX_EEDaSS_ST_EUlSS_E_NS1_11comp_targetILNS1_3genE10ELNS1_11target_archE1200ELNS1_3gpuE4ELNS1_3repE0EEENS1_30default_config_static_selectorELNS0_4arch9wavefront6targetE1EEEvT1_.kd
    .uniform_work_group_size: 1
    .uses_dynamic_stack: false
    .vgpr_count:     0
    .vgpr_spill_count: 0
    .wavefront_size: 64
  - .agpr_count:     0
    .args:
      - .offset:         0
        .size:           112
        .value_kind:     by_value
    .group_segment_fixed_size: 0
    .kernarg_segment_align: 8
    .kernarg_segment_size: 112
    .language:       OpenCL C
    .language_version:
      - 2
      - 0
    .max_flat_workgroup_size: 256
    .name:           _ZN7rocprim17ROCPRIM_400000_NS6detail17trampoline_kernelINS0_14default_configENS1_20scan_config_selectorIdEEZZNS1_9scan_implILNS1_25lookback_scan_determinismE0ELb1ELb1ES3_N6thrust23THRUST_200600_302600_NS6detail15normal_iteratorINS9_10device_ptrIdEEEENS9_16discard_iteratorINS9_11use_defaultEEEd11max_functorIdEdEEDaPvRmT3_T4_T5_mT6_P12ihipStream_tbENKUlT_T0_E_clISt17integral_constantIbLb0EESX_EEDaSS_ST_EUlSS_E_NS1_11comp_targetILNS1_3genE9ELNS1_11target_archE1100ELNS1_3gpuE3ELNS1_3repE0EEENS1_30default_config_static_selectorELNS0_4arch9wavefront6targetE1EEEvT1_
    .private_segment_fixed_size: 0
    .sgpr_count:     4
    .sgpr_spill_count: 0
    .symbol:         _ZN7rocprim17ROCPRIM_400000_NS6detail17trampoline_kernelINS0_14default_configENS1_20scan_config_selectorIdEEZZNS1_9scan_implILNS1_25lookback_scan_determinismE0ELb1ELb1ES3_N6thrust23THRUST_200600_302600_NS6detail15normal_iteratorINS9_10device_ptrIdEEEENS9_16discard_iteratorINS9_11use_defaultEEEd11max_functorIdEdEEDaPvRmT3_T4_T5_mT6_P12ihipStream_tbENKUlT_T0_E_clISt17integral_constantIbLb0EESX_EEDaSS_ST_EUlSS_E_NS1_11comp_targetILNS1_3genE9ELNS1_11target_archE1100ELNS1_3gpuE3ELNS1_3repE0EEENS1_30default_config_static_selectorELNS0_4arch9wavefront6targetE1EEEvT1_.kd
    .uniform_work_group_size: 1
    .uses_dynamic_stack: false
    .vgpr_count:     0
    .vgpr_spill_count: 0
    .wavefront_size: 64
  - .agpr_count:     0
    .args:
      - .offset:         0
        .size:           112
        .value_kind:     by_value
    .group_segment_fixed_size: 0
    .kernarg_segment_align: 8
    .kernarg_segment_size: 112
    .language:       OpenCL C
    .language_version:
      - 2
      - 0
    .max_flat_workgroup_size: 128
    .name:           _ZN7rocprim17ROCPRIM_400000_NS6detail17trampoline_kernelINS0_14default_configENS1_20scan_config_selectorIdEEZZNS1_9scan_implILNS1_25lookback_scan_determinismE0ELb1ELb1ES3_N6thrust23THRUST_200600_302600_NS6detail15normal_iteratorINS9_10device_ptrIdEEEENS9_16discard_iteratorINS9_11use_defaultEEEd11max_functorIdEdEEDaPvRmT3_T4_T5_mT6_P12ihipStream_tbENKUlT_T0_E_clISt17integral_constantIbLb0EESX_EEDaSS_ST_EUlSS_E_NS1_11comp_targetILNS1_3genE8ELNS1_11target_archE1030ELNS1_3gpuE2ELNS1_3repE0EEENS1_30default_config_static_selectorELNS0_4arch9wavefront6targetE1EEEvT1_
    .private_segment_fixed_size: 0
    .sgpr_count:     4
    .sgpr_spill_count: 0
    .symbol:         _ZN7rocprim17ROCPRIM_400000_NS6detail17trampoline_kernelINS0_14default_configENS1_20scan_config_selectorIdEEZZNS1_9scan_implILNS1_25lookback_scan_determinismE0ELb1ELb1ES3_N6thrust23THRUST_200600_302600_NS6detail15normal_iteratorINS9_10device_ptrIdEEEENS9_16discard_iteratorINS9_11use_defaultEEEd11max_functorIdEdEEDaPvRmT3_T4_T5_mT6_P12ihipStream_tbENKUlT_T0_E_clISt17integral_constantIbLb0EESX_EEDaSS_ST_EUlSS_E_NS1_11comp_targetILNS1_3genE8ELNS1_11target_archE1030ELNS1_3gpuE2ELNS1_3repE0EEENS1_30default_config_static_selectorELNS0_4arch9wavefront6targetE1EEEvT1_.kd
    .uniform_work_group_size: 1
    .uses_dynamic_stack: false
    .vgpr_count:     0
    .vgpr_spill_count: 0
    .wavefront_size: 64
  - .agpr_count:     0
    .args:
      - .offset:         0
        .size:           48
        .value_kind:     by_value
    .group_segment_fixed_size: 0
    .kernarg_segment_align: 8
    .kernarg_segment_size: 48
    .language:       OpenCL C
    .language_version:
      - 2
      - 0
    .max_flat_workgroup_size: 256
    .name:           _ZN7rocprim17ROCPRIM_400000_NS6detail17trampoline_kernelINS0_14default_configENS1_20scan_config_selectorIdEEZZNS1_9scan_implILNS1_25lookback_scan_determinismE0ELb1ELb1ES3_N6thrust23THRUST_200600_302600_NS6detail15normal_iteratorINS9_10device_ptrIdEEEENS9_16discard_iteratorINS9_11use_defaultEEEd11max_functorIdEdEEDaPvRmT3_T4_T5_mT6_P12ihipStream_tbENKUlT_T0_E_clISt17integral_constantIbLb0EESX_EEDaSS_ST_EUlSS_E0_NS1_11comp_targetILNS1_3genE0ELNS1_11target_archE4294967295ELNS1_3gpuE0ELNS1_3repE0EEENS1_30default_config_static_selectorELNS0_4arch9wavefront6targetE1EEEvT1_
    .private_segment_fixed_size: 0
    .sgpr_count:     4
    .sgpr_spill_count: 0
    .symbol:         _ZN7rocprim17ROCPRIM_400000_NS6detail17trampoline_kernelINS0_14default_configENS1_20scan_config_selectorIdEEZZNS1_9scan_implILNS1_25lookback_scan_determinismE0ELb1ELb1ES3_N6thrust23THRUST_200600_302600_NS6detail15normal_iteratorINS9_10device_ptrIdEEEENS9_16discard_iteratorINS9_11use_defaultEEEd11max_functorIdEdEEDaPvRmT3_T4_T5_mT6_P12ihipStream_tbENKUlT_T0_E_clISt17integral_constantIbLb0EESX_EEDaSS_ST_EUlSS_E0_NS1_11comp_targetILNS1_3genE0ELNS1_11target_archE4294967295ELNS1_3gpuE0ELNS1_3repE0EEENS1_30default_config_static_selectorELNS0_4arch9wavefront6targetE1EEEvT1_.kd
    .uniform_work_group_size: 1
    .uses_dynamic_stack: false
    .vgpr_count:     0
    .vgpr_spill_count: 0
    .wavefront_size: 64
  - .agpr_count:     0
    .args:
      - .offset:         0
        .size:           48
        .value_kind:     by_value
    .group_segment_fixed_size: 0
    .kernarg_segment_align: 8
    .kernarg_segment_size: 48
    .language:       OpenCL C
    .language_version:
      - 2
      - 0
    .max_flat_workgroup_size: 256
    .name:           _ZN7rocprim17ROCPRIM_400000_NS6detail17trampoline_kernelINS0_14default_configENS1_20scan_config_selectorIdEEZZNS1_9scan_implILNS1_25lookback_scan_determinismE0ELb1ELb1ES3_N6thrust23THRUST_200600_302600_NS6detail15normal_iteratorINS9_10device_ptrIdEEEENS9_16discard_iteratorINS9_11use_defaultEEEd11max_functorIdEdEEDaPvRmT3_T4_T5_mT6_P12ihipStream_tbENKUlT_T0_E_clISt17integral_constantIbLb0EESX_EEDaSS_ST_EUlSS_E0_NS1_11comp_targetILNS1_3genE5ELNS1_11target_archE942ELNS1_3gpuE9ELNS1_3repE0EEENS1_30default_config_static_selectorELNS0_4arch9wavefront6targetE1EEEvT1_
    .private_segment_fixed_size: 0
    .sgpr_count:     4
    .sgpr_spill_count: 0
    .symbol:         _ZN7rocprim17ROCPRIM_400000_NS6detail17trampoline_kernelINS0_14default_configENS1_20scan_config_selectorIdEEZZNS1_9scan_implILNS1_25lookback_scan_determinismE0ELb1ELb1ES3_N6thrust23THRUST_200600_302600_NS6detail15normal_iteratorINS9_10device_ptrIdEEEENS9_16discard_iteratorINS9_11use_defaultEEEd11max_functorIdEdEEDaPvRmT3_T4_T5_mT6_P12ihipStream_tbENKUlT_T0_E_clISt17integral_constantIbLb0EESX_EEDaSS_ST_EUlSS_E0_NS1_11comp_targetILNS1_3genE5ELNS1_11target_archE942ELNS1_3gpuE9ELNS1_3repE0EEENS1_30default_config_static_selectorELNS0_4arch9wavefront6targetE1EEEvT1_.kd
    .uniform_work_group_size: 1
    .uses_dynamic_stack: false
    .vgpr_count:     0
    .vgpr_spill_count: 0
    .wavefront_size: 64
  - .agpr_count:     0
    .args:
      - .offset:         0
        .size:           48
        .value_kind:     by_value
    .group_segment_fixed_size: 10240
    .kernarg_segment_align: 8
    .kernarg_segment_size: 48
    .language:       OpenCL C
    .language_version:
      - 2
      - 0
    .max_flat_workgroup_size: 128
    .name:           _ZN7rocprim17ROCPRIM_400000_NS6detail17trampoline_kernelINS0_14default_configENS1_20scan_config_selectorIdEEZZNS1_9scan_implILNS1_25lookback_scan_determinismE0ELb1ELb1ES3_N6thrust23THRUST_200600_302600_NS6detail15normal_iteratorINS9_10device_ptrIdEEEENS9_16discard_iteratorINS9_11use_defaultEEEd11max_functorIdEdEEDaPvRmT3_T4_T5_mT6_P12ihipStream_tbENKUlT_T0_E_clISt17integral_constantIbLb0EESX_EEDaSS_ST_EUlSS_E0_NS1_11comp_targetILNS1_3genE4ELNS1_11target_archE910ELNS1_3gpuE8ELNS1_3repE0EEENS1_30default_config_static_selectorELNS0_4arch9wavefront6targetE1EEEvT1_
    .private_segment_fixed_size: 0
    .sgpr_count:     14
    .sgpr_spill_count: 0
    .symbol:         _ZN7rocprim17ROCPRIM_400000_NS6detail17trampoline_kernelINS0_14default_configENS1_20scan_config_selectorIdEEZZNS1_9scan_implILNS1_25lookback_scan_determinismE0ELb1ELb1ES3_N6thrust23THRUST_200600_302600_NS6detail15normal_iteratorINS9_10device_ptrIdEEEENS9_16discard_iteratorINS9_11use_defaultEEEd11max_functorIdEdEEDaPvRmT3_T4_T5_mT6_P12ihipStream_tbENKUlT_T0_E_clISt17integral_constantIbLb0EESX_EEDaSS_ST_EUlSS_E0_NS1_11comp_targetILNS1_3genE4ELNS1_11target_archE910ELNS1_3gpuE8ELNS1_3repE0EEENS1_30default_config_static_selectorELNS0_4arch9wavefront6targetE1EEEvT1_.kd
    .uniform_work_group_size: 1
    .uses_dynamic_stack: false
    .vgpr_count:     31
    .vgpr_spill_count: 0
    .wavefront_size: 64
  - .agpr_count:     0
    .args:
      - .offset:         0
        .size:           48
        .value_kind:     by_value
    .group_segment_fixed_size: 0
    .kernarg_segment_align: 8
    .kernarg_segment_size: 48
    .language:       OpenCL C
    .language_version:
      - 2
      - 0
    .max_flat_workgroup_size: 256
    .name:           _ZN7rocprim17ROCPRIM_400000_NS6detail17trampoline_kernelINS0_14default_configENS1_20scan_config_selectorIdEEZZNS1_9scan_implILNS1_25lookback_scan_determinismE0ELb1ELb1ES3_N6thrust23THRUST_200600_302600_NS6detail15normal_iteratorINS9_10device_ptrIdEEEENS9_16discard_iteratorINS9_11use_defaultEEEd11max_functorIdEdEEDaPvRmT3_T4_T5_mT6_P12ihipStream_tbENKUlT_T0_E_clISt17integral_constantIbLb0EESX_EEDaSS_ST_EUlSS_E0_NS1_11comp_targetILNS1_3genE3ELNS1_11target_archE908ELNS1_3gpuE7ELNS1_3repE0EEENS1_30default_config_static_selectorELNS0_4arch9wavefront6targetE1EEEvT1_
    .private_segment_fixed_size: 0
    .sgpr_count:     4
    .sgpr_spill_count: 0
    .symbol:         _ZN7rocprim17ROCPRIM_400000_NS6detail17trampoline_kernelINS0_14default_configENS1_20scan_config_selectorIdEEZZNS1_9scan_implILNS1_25lookback_scan_determinismE0ELb1ELb1ES3_N6thrust23THRUST_200600_302600_NS6detail15normal_iteratorINS9_10device_ptrIdEEEENS9_16discard_iteratorINS9_11use_defaultEEEd11max_functorIdEdEEDaPvRmT3_T4_T5_mT6_P12ihipStream_tbENKUlT_T0_E_clISt17integral_constantIbLb0EESX_EEDaSS_ST_EUlSS_E0_NS1_11comp_targetILNS1_3genE3ELNS1_11target_archE908ELNS1_3gpuE7ELNS1_3repE0EEENS1_30default_config_static_selectorELNS0_4arch9wavefront6targetE1EEEvT1_.kd
    .uniform_work_group_size: 1
    .uses_dynamic_stack: false
    .vgpr_count:     0
    .vgpr_spill_count: 0
    .wavefront_size: 64
  - .agpr_count:     0
    .args:
      - .offset:         0
        .size:           48
        .value_kind:     by_value
    .group_segment_fixed_size: 0
    .kernarg_segment_align: 8
    .kernarg_segment_size: 48
    .language:       OpenCL C
    .language_version:
      - 2
      - 0
    .max_flat_workgroup_size: 128
    .name:           _ZN7rocprim17ROCPRIM_400000_NS6detail17trampoline_kernelINS0_14default_configENS1_20scan_config_selectorIdEEZZNS1_9scan_implILNS1_25lookback_scan_determinismE0ELb1ELb1ES3_N6thrust23THRUST_200600_302600_NS6detail15normal_iteratorINS9_10device_ptrIdEEEENS9_16discard_iteratorINS9_11use_defaultEEEd11max_functorIdEdEEDaPvRmT3_T4_T5_mT6_P12ihipStream_tbENKUlT_T0_E_clISt17integral_constantIbLb0EESX_EEDaSS_ST_EUlSS_E0_NS1_11comp_targetILNS1_3genE2ELNS1_11target_archE906ELNS1_3gpuE6ELNS1_3repE0EEENS1_30default_config_static_selectorELNS0_4arch9wavefront6targetE1EEEvT1_
    .private_segment_fixed_size: 0
    .sgpr_count:     4
    .sgpr_spill_count: 0
    .symbol:         _ZN7rocprim17ROCPRIM_400000_NS6detail17trampoline_kernelINS0_14default_configENS1_20scan_config_selectorIdEEZZNS1_9scan_implILNS1_25lookback_scan_determinismE0ELb1ELb1ES3_N6thrust23THRUST_200600_302600_NS6detail15normal_iteratorINS9_10device_ptrIdEEEENS9_16discard_iteratorINS9_11use_defaultEEEd11max_functorIdEdEEDaPvRmT3_T4_T5_mT6_P12ihipStream_tbENKUlT_T0_E_clISt17integral_constantIbLb0EESX_EEDaSS_ST_EUlSS_E0_NS1_11comp_targetILNS1_3genE2ELNS1_11target_archE906ELNS1_3gpuE6ELNS1_3repE0EEENS1_30default_config_static_selectorELNS0_4arch9wavefront6targetE1EEEvT1_.kd
    .uniform_work_group_size: 1
    .uses_dynamic_stack: false
    .vgpr_count:     0
    .vgpr_spill_count: 0
    .wavefront_size: 64
  - .agpr_count:     0
    .args:
      - .offset:         0
        .size:           48
        .value_kind:     by_value
    .group_segment_fixed_size: 0
    .kernarg_segment_align: 8
    .kernarg_segment_size: 48
    .language:       OpenCL C
    .language_version:
      - 2
      - 0
    .max_flat_workgroup_size: 256
    .name:           _ZN7rocprim17ROCPRIM_400000_NS6detail17trampoline_kernelINS0_14default_configENS1_20scan_config_selectorIdEEZZNS1_9scan_implILNS1_25lookback_scan_determinismE0ELb1ELb1ES3_N6thrust23THRUST_200600_302600_NS6detail15normal_iteratorINS9_10device_ptrIdEEEENS9_16discard_iteratorINS9_11use_defaultEEEd11max_functorIdEdEEDaPvRmT3_T4_T5_mT6_P12ihipStream_tbENKUlT_T0_E_clISt17integral_constantIbLb0EESX_EEDaSS_ST_EUlSS_E0_NS1_11comp_targetILNS1_3genE10ELNS1_11target_archE1201ELNS1_3gpuE5ELNS1_3repE0EEENS1_30default_config_static_selectorELNS0_4arch9wavefront6targetE1EEEvT1_
    .private_segment_fixed_size: 0
    .sgpr_count:     4
    .sgpr_spill_count: 0
    .symbol:         _ZN7rocprim17ROCPRIM_400000_NS6detail17trampoline_kernelINS0_14default_configENS1_20scan_config_selectorIdEEZZNS1_9scan_implILNS1_25lookback_scan_determinismE0ELb1ELb1ES3_N6thrust23THRUST_200600_302600_NS6detail15normal_iteratorINS9_10device_ptrIdEEEENS9_16discard_iteratorINS9_11use_defaultEEEd11max_functorIdEdEEDaPvRmT3_T4_T5_mT6_P12ihipStream_tbENKUlT_T0_E_clISt17integral_constantIbLb0EESX_EEDaSS_ST_EUlSS_E0_NS1_11comp_targetILNS1_3genE10ELNS1_11target_archE1201ELNS1_3gpuE5ELNS1_3repE0EEENS1_30default_config_static_selectorELNS0_4arch9wavefront6targetE1EEEvT1_.kd
    .uniform_work_group_size: 1
    .uses_dynamic_stack: false
    .vgpr_count:     0
    .vgpr_spill_count: 0
    .wavefront_size: 64
  - .agpr_count:     0
    .args:
      - .offset:         0
        .size:           48
        .value_kind:     by_value
    .group_segment_fixed_size: 0
    .kernarg_segment_align: 8
    .kernarg_segment_size: 48
    .language:       OpenCL C
    .language_version:
      - 2
      - 0
    .max_flat_workgroup_size: 256
    .name:           _ZN7rocprim17ROCPRIM_400000_NS6detail17trampoline_kernelINS0_14default_configENS1_20scan_config_selectorIdEEZZNS1_9scan_implILNS1_25lookback_scan_determinismE0ELb1ELb1ES3_N6thrust23THRUST_200600_302600_NS6detail15normal_iteratorINS9_10device_ptrIdEEEENS9_16discard_iteratorINS9_11use_defaultEEEd11max_functorIdEdEEDaPvRmT3_T4_T5_mT6_P12ihipStream_tbENKUlT_T0_E_clISt17integral_constantIbLb0EESX_EEDaSS_ST_EUlSS_E0_NS1_11comp_targetILNS1_3genE10ELNS1_11target_archE1200ELNS1_3gpuE4ELNS1_3repE0EEENS1_30default_config_static_selectorELNS0_4arch9wavefront6targetE1EEEvT1_
    .private_segment_fixed_size: 0
    .sgpr_count:     4
    .sgpr_spill_count: 0
    .symbol:         _ZN7rocprim17ROCPRIM_400000_NS6detail17trampoline_kernelINS0_14default_configENS1_20scan_config_selectorIdEEZZNS1_9scan_implILNS1_25lookback_scan_determinismE0ELb1ELb1ES3_N6thrust23THRUST_200600_302600_NS6detail15normal_iteratorINS9_10device_ptrIdEEEENS9_16discard_iteratorINS9_11use_defaultEEEd11max_functorIdEdEEDaPvRmT3_T4_T5_mT6_P12ihipStream_tbENKUlT_T0_E_clISt17integral_constantIbLb0EESX_EEDaSS_ST_EUlSS_E0_NS1_11comp_targetILNS1_3genE10ELNS1_11target_archE1200ELNS1_3gpuE4ELNS1_3repE0EEENS1_30default_config_static_selectorELNS0_4arch9wavefront6targetE1EEEvT1_.kd
    .uniform_work_group_size: 1
    .uses_dynamic_stack: false
    .vgpr_count:     0
    .vgpr_spill_count: 0
    .wavefront_size: 64
  - .agpr_count:     0
    .args:
      - .offset:         0
        .size:           48
        .value_kind:     by_value
    .group_segment_fixed_size: 0
    .kernarg_segment_align: 8
    .kernarg_segment_size: 48
    .language:       OpenCL C
    .language_version:
      - 2
      - 0
    .max_flat_workgroup_size: 256
    .name:           _ZN7rocprim17ROCPRIM_400000_NS6detail17trampoline_kernelINS0_14default_configENS1_20scan_config_selectorIdEEZZNS1_9scan_implILNS1_25lookback_scan_determinismE0ELb1ELb1ES3_N6thrust23THRUST_200600_302600_NS6detail15normal_iteratorINS9_10device_ptrIdEEEENS9_16discard_iteratorINS9_11use_defaultEEEd11max_functorIdEdEEDaPvRmT3_T4_T5_mT6_P12ihipStream_tbENKUlT_T0_E_clISt17integral_constantIbLb0EESX_EEDaSS_ST_EUlSS_E0_NS1_11comp_targetILNS1_3genE9ELNS1_11target_archE1100ELNS1_3gpuE3ELNS1_3repE0EEENS1_30default_config_static_selectorELNS0_4arch9wavefront6targetE1EEEvT1_
    .private_segment_fixed_size: 0
    .sgpr_count:     4
    .sgpr_spill_count: 0
    .symbol:         _ZN7rocprim17ROCPRIM_400000_NS6detail17trampoline_kernelINS0_14default_configENS1_20scan_config_selectorIdEEZZNS1_9scan_implILNS1_25lookback_scan_determinismE0ELb1ELb1ES3_N6thrust23THRUST_200600_302600_NS6detail15normal_iteratorINS9_10device_ptrIdEEEENS9_16discard_iteratorINS9_11use_defaultEEEd11max_functorIdEdEEDaPvRmT3_T4_T5_mT6_P12ihipStream_tbENKUlT_T0_E_clISt17integral_constantIbLb0EESX_EEDaSS_ST_EUlSS_E0_NS1_11comp_targetILNS1_3genE9ELNS1_11target_archE1100ELNS1_3gpuE3ELNS1_3repE0EEENS1_30default_config_static_selectorELNS0_4arch9wavefront6targetE1EEEvT1_.kd
    .uniform_work_group_size: 1
    .uses_dynamic_stack: false
    .vgpr_count:     0
    .vgpr_spill_count: 0
    .wavefront_size: 64
  - .agpr_count:     0
    .args:
      - .offset:         0
        .size:           48
        .value_kind:     by_value
    .group_segment_fixed_size: 0
    .kernarg_segment_align: 8
    .kernarg_segment_size: 48
    .language:       OpenCL C
    .language_version:
      - 2
      - 0
    .max_flat_workgroup_size: 128
    .name:           _ZN7rocprim17ROCPRIM_400000_NS6detail17trampoline_kernelINS0_14default_configENS1_20scan_config_selectorIdEEZZNS1_9scan_implILNS1_25lookback_scan_determinismE0ELb1ELb1ES3_N6thrust23THRUST_200600_302600_NS6detail15normal_iteratorINS9_10device_ptrIdEEEENS9_16discard_iteratorINS9_11use_defaultEEEd11max_functorIdEdEEDaPvRmT3_T4_T5_mT6_P12ihipStream_tbENKUlT_T0_E_clISt17integral_constantIbLb0EESX_EEDaSS_ST_EUlSS_E0_NS1_11comp_targetILNS1_3genE8ELNS1_11target_archE1030ELNS1_3gpuE2ELNS1_3repE0EEENS1_30default_config_static_selectorELNS0_4arch9wavefront6targetE1EEEvT1_
    .private_segment_fixed_size: 0
    .sgpr_count:     4
    .sgpr_spill_count: 0
    .symbol:         _ZN7rocprim17ROCPRIM_400000_NS6detail17trampoline_kernelINS0_14default_configENS1_20scan_config_selectorIdEEZZNS1_9scan_implILNS1_25lookback_scan_determinismE0ELb1ELb1ES3_N6thrust23THRUST_200600_302600_NS6detail15normal_iteratorINS9_10device_ptrIdEEEENS9_16discard_iteratorINS9_11use_defaultEEEd11max_functorIdEdEEDaPvRmT3_T4_T5_mT6_P12ihipStream_tbENKUlT_T0_E_clISt17integral_constantIbLb0EESX_EEDaSS_ST_EUlSS_E0_NS1_11comp_targetILNS1_3genE8ELNS1_11target_archE1030ELNS1_3gpuE2ELNS1_3repE0EEENS1_30default_config_static_selectorELNS0_4arch9wavefront6targetE1EEEvT1_.kd
    .uniform_work_group_size: 1
    .uses_dynamic_stack: false
    .vgpr_count:     0
    .vgpr_spill_count: 0
    .wavefront_size: 64
  - .agpr_count:     0
    .args:
      - .offset:         0
        .size:           112
        .value_kind:     by_value
    .group_segment_fixed_size: 0
    .kernarg_segment_align: 8
    .kernarg_segment_size: 112
    .language:       OpenCL C
    .language_version:
      - 2
      - 0
    .max_flat_workgroup_size: 256
    .name:           _ZN7rocprim17ROCPRIM_400000_NS6detail17trampoline_kernelINS0_14default_configENS1_20scan_config_selectorIdEEZZNS1_9scan_implILNS1_25lookback_scan_determinismE0ELb1ELb1ES3_N6thrust23THRUST_200600_302600_NS6detail15normal_iteratorINS9_10device_ptrIdEEEENS9_16discard_iteratorINS9_11use_defaultEEEd11max_functorIdEdEEDaPvRmT3_T4_T5_mT6_P12ihipStream_tbENKUlT_T0_E_clISt17integral_constantIbLb1EESX_EEDaSS_ST_EUlSS_E_NS1_11comp_targetILNS1_3genE0ELNS1_11target_archE4294967295ELNS1_3gpuE0ELNS1_3repE0EEENS1_30default_config_static_selectorELNS0_4arch9wavefront6targetE1EEEvT1_
    .private_segment_fixed_size: 0
    .sgpr_count:     4
    .sgpr_spill_count: 0
    .symbol:         _ZN7rocprim17ROCPRIM_400000_NS6detail17trampoline_kernelINS0_14default_configENS1_20scan_config_selectorIdEEZZNS1_9scan_implILNS1_25lookback_scan_determinismE0ELb1ELb1ES3_N6thrust23THRUST_200600_302600_NS6detail15normal_iteratorINS9_10device_ptrIdEEEENS9_16discard_iteratorINS9_11use_defaultEEEd11max_functorIdEdEEDaPvRmT3_T4_T5_mT6_P12ihipStream_tbENKUlT_T0_E_clISt17integral_constantIbLb1EESX_EEDaSS_ST_EUlSS_E_NS1_11comp_targetILNS1_3genE0ELNS1_11target_archE4294967295ELNS1_3gpuE0ELNS1_3repE0EEENS1_30default_config_static_selectorELNS0_4arch9wavefront6targetE1EEEvT1_.kd
    .uniform_work_group_size: 1
    .uses_dynamic_stack: false
    .vgpr_count:     0
    .vgpr_spill_count: 0
    .wavefront_size: 64
  - .agpr_count:     0
    .args:
      - .offset:         0
        .size:           112
        .value_kind:     by_value
    .group_segment_fixed_size: 0
    .kernarg_segment_align: 8
    .kernarg_segment_size: 112
    .language:       OpenCL C
    .language_version:
      - 2
      - 0
    .max_flat_workgroup_size: 256
    .name:           _ZN7rocprim17ROCPRIM_400000_NS6detail17trampoline_kernelINS0_14default_configENS1_20scan_config_selectorIdEEZZNS1_9scan_implILNS1_25lookback_scan_determinismE0ELb1ELb1ES3_N6thrust23THRUST_200600_302600_NS6detail15normal_iteratorINS9_10device_ptrIdEEEENS9_16discard_iteratorINS9_11use_defaultEEEd11max_functorIdEdEEDaPvRmT3_T4_T5_mT6_P12ihipStream_tbENKUlT_T0_E_clISt17integral_constantIbLb1EESX_EEDaSS_ST_EUlSS_E_NS1_11comp_targetILNS1_3genE5ELNS1_11target_archE942ELNS1_3gpuE9ELNS1_3repE0EEENS1_30default_config_static_selectorELNS0_4arch9wavefront6targetE1EEEvT1_
    .private_segment_fixed_size: 0
    .sgpr_count:     4
    .sgpr_spill_count: 0
    .symbol:         _ZN7rocprim17ROCPRIM_400000_NS6detail17trampoline_kernelINS0_14default_configENS1_20scan_config_selectorIdEEZZNS1_9scan_implILNS1_25lookback_scan_determinismE0ELb1ELb1ES3_N6thrust23THRUST_200600_302600_NS6detail15normal_iteratorINS9_10device_ptrIdEEEENS9_16discard_iteratorINS9_11use_defaultEEEd11max_functorIdEdEEDaPvRmT3_T4_T5_mT6_P12ihipStream_tbENKUlT_T0_E_clISt17integral_constantIbLb1EESX_EEDaSS_ST_EUlSS_E_NS1_11comp_targetILNS1_3genE5ELNS1_11target_archE942ELNS1_3gpuE9ELNS1_3repE0EEENS1_30default_config_static_selectorELNS0_4arch9wavefront6targetE1EEEvT1_.kd
    .uniform_work_group_size: 1
    .uses_dynamic_stack: false
    .vgpr_count:     0
    .vgpr_spill_count: 0
    .wavefront_size: 64
  - .agpr_count:     0
    .args:
      - .offset:         0
        .size:           112
        .value_kind:     by_value
    .group_segment_fixed_size: 10240
    .kernarg_segment_align: 8
    .kernarg_segment_size: 112
    .language:       OpenCL C
    .language_version:
      - 2
      - 0
    .max_flat_workgroup_size: 128
    .name:           _ZN7rocprim17ROCPRIM_400000_NS6detail17trampoline_kernelINS0_14default_configENS1_20scan_config_selectorIdEEZZNS1_9scan_implILNS1_25lookback_scan_determinismE0ELb1ELb1ES3_N6thrust23THRUST_200600_302600_NS6detail15normal_iteratorINS9_10device_ptrIdEEEENS9_16discard_iteratorINS9_11use_defaultEEEd11max_functorIdEdEEDaPvRmT3_T4_T5_mT6_P12ihipStream_tbENKUlT_T0_E_clISt17integral_constantIbLb1EESX_EEDaSS_ST_EUlSS_E_NS1_11comp_targetILNS1_3genE4ELNS1_11target_archE910ELNS1_3gpuE8ELNS1_3repE0EEENS1_30default_config_static_selectorELNS0_4arch9wavefront6targetE1EEEvT1_
    .private_segment_fixed_size: 0
    .sgpr_count:     36
    .sgpr_spill_count: 0
    .symbol:         _ZN7rocprim17ROCPRIM_400000_NS6detail17trampoline_kernelINS0_14default_configENS1_20scan_config_selectorIdEEZZNS1_9scan_implILNS1_25lookback_scan_determinismE0ELb1ELb1ES3_N6thrust23THRUST_200600_302600_NS6detail15normal_iteratorINS9_10device_ptrIdEEEENS9_16discard_iteratorINS9_11use_defaultEEEd11max_functorIdEdEEDaPvRmT3_T4_T5_mT6_P12ihipStream_tbENKUlT_T0_E_clISt17integral_constantIbLb1EESX_EEDaSS_ST_EUlSS_E_NS1_11comp_targetILNS1_3genE4ELNS1_11target_archE910ELNS1_3gpuE8ELNS1_3repE0EEENS1_30default_config_static_selectorELNS0_4arch9wavefront6targetE1EEEvT1_.kd
    .uniform_work_group_size: 1
    .uses_dynamic_stack: false
    .vgpr_count:     58
    .vgpr_spill_count: 0
    .wavefront_size: 64
  - .agpr_count:     0
    .args:
      - .offset:         0
        .size:           112
        .value_kind:     by_value
    .group_segment_fixed_size: 0
    .kernarg_segment_align: 8
    .kernarg_segment_size: 112
    .language:       OpenCL C
    .language_version:
      - 2
      - 0
    .max_flat_workgroup_size: 256
    .name:           _ZN7rocprim17ROCPRIM_400000_NS6detail17trampoline_kernelINS0_14default_configENS1_20scan_config_selectorIdEEZZNS1_9scan_implILNS1_25lookback_scan_determinismE0ELb1ELb1ES3_N6thrust23THRUST_200600_302600_NS6detail15normal_iteratorINS9_10device_ptrIdEEEENS9_16discard_iteratorINS9_11use_defaultEEEd11max_functorIdEdEEDaPvRmT3_T4_T5_mT6_P12ihipStream_tbENKUlT_T0_E_clISt17integral_constantIbLb1EESX_EEDaSS_ST_EUlSS_E_NS1_11comp_targetILNS1_3genE3ELNS1_11target_archE908ELNS1_3gpuE7ELNS1_3repE0EEENS1_30default_config_static_selectorELNS0_4arch9wavefront6targetE1EEEvT1_
    .private_segment_fixed_size: 0
    .sgpr_count:     4
    .sgpr_spill_count: 0
    .symbol:         _ZN7rocprim17ROCPRIM_400000_NS6detail17trampoline_kernelINS0_14default_configENS1_20scan_config_selectorIdEEZZNS1_9scan_implILNS1_25lookback_scan_determinismE0ELb1ELb1ES3_N6thrust23THRUST_200600_302600_NS6detail15normal_iteratorINS9_10device_ptrIdEEEENS9_16discard_iteratorINS9_11use_defaultEEEd11max_functorIdEdEEDaPvRmT3_T4_T5_mT6_P12ihipStream_tbENKUlT_T0_E_clISt17integral_constantIbLb1EESX_EEDaSS_ST_EUlSS_E_NS1_11comp_targetILNS1_3genE3ELNS1_11target_archE908ELNS1_3gpuE7ELNS1_3repE0EEENS1_30default_config_static_selectorELNS0_4arch9wavefront6targetE1EEEvT1_.kd
    .uniform_work_group_size: 1
    .uses_dynamic_stack: false
    .vgpr_count:     0
    .vgpr_spill_count: 0
    .wavefront_size: 64
  - .agpr_count:     0
    .args:
      - .offset:         0
        .size:           112
        .value_kind:     by_value
    .group_segment_fixed_size: 0
    .kernarg_segment_align: 8
    .kernarg_segment_size: 112
    .language:       OpenCL C
    .language_version:
      - 2
      - 0
    .max_flat_workgroup_size: 128
    .name:           _ZN7rocprim17ROCPRIM_400000_NS6detail17trampoline_kernelINS0_14default_configENS1_20scan_config_selectorIdEEZZNS1_9scan_implILNS1_25lookback_scan_determinismE0ELb1ELb1ES3_N6thrust23THRUST_200600_302600_NS6detail15normal_iteratorINS9_10device_ptrIdEEEENS9_16discard_iteratorINS9_11use_defaultEEEd11max_functorIdEdEEDaPvRmT3_T4_T5_mT6_P12ihipStream_tbENKUlT_T0_E_clISt17integral_constantIbLb1EESX_EEDaSS_ST_EUlSS_E_NS1_11comp_targetILNS1_3genE2ELNS1_11target_archE906ELNS1_3gpuE6ELNS1_3repE0EEENS1_30default_config_static_selectorELNS0_4arch9wavefront6targetE1EEEvT1_
    .private_segment_fixed_size: 0
    .sgpr_count:     4
    .sgpr_spill_count: 0
    .symbol:         _ZN7rocprim17ROCPRIM_400000_NS6detail17trampoline_kernelINS0_14default_configENS1_20scan_config_selectorIdEEZZNS1_9scan_implILNS1_25lookback_scan_determinismE0ELb1ELb1ES3_N6thrust23THRUST_200600_302600_NS6detail15normal_iteratorINS9_10device_ptrIdEEEENS9_16discard_iteratorINS9_11use_defaultEEEd11max_functorIdEdEEDaPvRmT3_T4_T5_mT6_P12ihipStream_tbENKUlT_T0_E_clISt17integral_constantIbLb1EESX_EEDaSS_ST_EUlSS_E_NS1_11comp_targetILNS1_3genE2ELNS1_11target_archE906ELNS1_3gpuE6ELNS1_3repE0EEENS1_30default_config_static_selectorELNS0_4arch9wavefront6targetE1EEEvT1_.kd
    .uniform_work_group_size: 1
    .uses_dynamic_stack: false
    .vgpr_count:     0
    .vgpr_spill_count: 0
    .wavefront_size: 64
  - .agpr_count:     0
    .args:
      - .offset:         0
        .size:           112
        .value_kind:     by_value
    .group_segment_fixed_size: 0
    .kernarg_segment_align: 8
    .kernarg_segment_size: 112
    .language:       OpenCL C
    .language_version:
      - 2
      - 0
    .max_flat_workgroup_size: 256
    .name:           _ZN7rocprim17ROCPRIM_400000_NS6detail17trampoline_kernelINS0_14default_configENS1_20scan_config_selectorIdEEZZNS1_9scan_implILNS1_25lookback_scan_determinismE0ELb1ELb1ES3_N6thrust23THRUST_200600_302600_NS6detail15normal_iteratorINS9_10device_ptrIdEEEENS9_16discard_iteratorINS9_11use_defaultEEEd11max_functorIdEdEEDaPvRmT3_T4_T5_mT6_P12ihipStream_tbENKUlT_T0_E_clISt17integral_constantIbLb1EESX_EEDaSS_ST_EUlSS_E_NS1_11comp_targetILNS1_3genE10ELNS1_11target_archE1201ELNS1_3gpuE5ELNS1_3repE0EEENS1_30default_config_static_selectorELNS0_4arch9wavefront6targetE1EEEvT1_
    .private_segment_fixed_size: 0
    .sgpr_count:     4
    .sgpr_spill_count: 0
    .symbol:         _ZN7rocprim17ROCPRIM_400000_NS6detail17trampoline_kernelINS0_14default_configENS1_20scan_config_selectorIdEEZZNS1_9scan_implILNS1_25lookback_scan_determinismE0ELb1ELb1ES3_N6thrust23THRUST_200600_302600_NS6detail15normal_iteratorINS9_10device_ptrIdEEEENS9_16discard_iteratorINS9_11use_defaultEEEd11max_functorIdEdEEDaPvRmT3_T4_T5_mT6_P12ihipStream_tbENKUlT_T0_E_clISt17integral_constantIbLb1EESX_EEDaSS_ST_EUlSS_E_NS1_11comp_targetILNS1_3genE10ELNS1_11target_archE1201ELNS1_3gpuE5ELNS1_3repE0EEENS1_30default_config_static_selectorELNS0_4arch9wavefront6targetE1EEEvT1_.kd
    .uniform_work_group_size: 1
    .uses_dynamic_stack: false
    .vgpr_count:     0
    .vgpr_spill_count: 0
    .wavefront_size: 64
  - .agpr_count:     0
    .args:
      - .offset:         0
        .size:           112
        .value_kind:     by_value
    .group_segment_fixed_size: 0
    .kernarg_segment_align: 8
    .kernarg_segment_size: 112
    .language:       OpenCL C
    .language_version:
      - 2
      - 0
    .max_flat_workgroup_size: 256
    .name:           _ZN7rocprim17ROCPRIM_400000_NS6detail17trampoline_kernelINS0_14default_configENS1_20scan_config_selectorIdEEZZNS1_9scan_implILNS1_25lookback_scan_determinismE0ELb1ELb1ES3_N6thrust23THRUST_200600_302600_NS6detail15normal_iteratorINS9_10device_ptrIdEEEENS9_16discard_iteratorINS9_11use_defaultEEEd11max_functorIdEdEEDaPvRmT3_T4_T5_mT6_P12ihipStream_tbENKUlT_T0_E_clISt17integral_constantIbLb1EESX_EEDaSS_ST_EUlSS_E_NS1_11comp_targetILNS1_3genE10ELNS1_11target_archE1200ELNS1_3gpuE4ELNS1_3repE0EEENS1_30default_config_static_selectorELNS0_4arch9wavefront6targetE1EEEvT1_
    .private_segment_fixed_size: 0
    .sgpr_count:     4
    .sgpr_spill_count: 0
    .symbol:         _ZN7rocprim17ROCPRIM_400000_NS6detail17trampoline_kernelINS0_14default_configENS1_20scan_config_selectorIdEEZZNS1_9scan_implILNS1_25lookback_scan_determinismE0ELb1ELb1ES3_N6thrust23THRUST_200600_302600_NS6detail15normal_iteratorINS9_10device_ptrIdEEEENS9_16discard_iteratorINS9_11use_defaultEEEd11max_functorIdEdEEDaPvRmT3_T4_T5_mT6_P12ihipStream_tbENKUlT_T0_E_clISt17integral_constantIbLb1EESX_EEDaSS_ST_EUlSS_E_NS1_11comp_targetILNS1_3genE10ELNS1_11target_archE1200ELNS1_3gpuE4ELNS1_3repE0EEENS1_30default_config_static_selectorELNS0_4arch9wavefront6targetE1EEEvT1_.kd
    .uniform_work_group_size: 1
    .uses_dynamic_stack: false
    .vgpr_count:     0
    .vgpr_spill_count: 0
    .wavefront_size: 64
  - .agpr_count:     0
    .args:
      - .offset:         0
        .size:           112
        .value_kind:     by_value
    .group_segment_fixed_size: 0
    .kernarg_segment_align: 8
    .kernarg_segment_size: 112
    .language:       OpenCL C
    .language_version:
      - 2
      - 0
    .max_flat_workgroup_size: 256
    .name:           _ZN7rocprim17ROCPRIM_400000_NS6detail17trampoline_kernelINS0_14default_configENS1_20scan_config_selectorIdEEZZNS1_9scan_implILNS1_25lookback_scan_determinismE0ELb1ELb1ES3_N6thrust23THRUST_200600_302600_NS6detail15normal_iteratorINS9_10device_ptrIdEEEENS9_16discard_iteratorINS9_11use_defaultEEEd11max_functorIdEdEEDaPvRmT3_T4_T5_mT6_P12ihipStream_tbENKUlT_T0_E_clISt17integral_constantIbLb1EESX_EEDaSS_ST_EUlSS_E_NS1_11comp_targetILNS1_3genE9ELNS1_11target_archE1100ELNS1_3gpuE3ELNS1_3repE0EEENS1_30default_config_static_selectorELNS0_4arch9wavefront6targetE1EEEvT1_
    .private_segment_fixed_size: 0
    .sgpr_count:     4
    .sgpr_spill_count: 0
    .symbol:         _ZN7rocprim17ROCPRIM_400000_NS6detail17trampoline_kernelINS0_14default_configENS1_20scan_config_selectorIdEEZZNS1_9scan_implILNS1_25lookback_scan_determinismE0ELb1ELb1ES3_N6thrust23THRUST_200600_302600_NS6detail15normal_iteratorINS9_10device_ptrIdEEEENS9_16discard_iteratorINS9_11use_defaultEEEd11max_functorIdEdEEDaPvRmT3_T4_T5_mT6_P12ihipStream_tbENKUlT_T0_E_clISt17integral_constantIbLb1EESX_EEDaSS_ST_EUlSS_E_NS1_11comp_targetILNS1_3genE9ELNS1_11target_archE1100ELNS1_3gpuE3ELNS1_3repE0EEENS1_30default_config_static_selectorELNS0_4arch9wavefront6targetE1EEEvT1_.kd
    .uniform_work_group_size: 1
    .uses_dynamic_stack: false
    .vgpr_count:     0
    .vgpr_spill_count: 0
    .wavefront_size: 64
  - .agpr_count:     0
    .args:
      - .offset:         0
        .size:           112
        .value_kind:     by_value
    .group_segment_fixed_size: 0
    .kernarg_segment_align: 8
    .kernarg_segment_size: 112
    .language:       OpenCL C
    .language_version:
      - 2
      - 0
    .max_flat_workgroup_size: 128
    .name:           _ZN7rocprim17ROCPRIM_400000_NS6detail17trampoline_kernelINS0_14default_configENS1_20scan_config_selectorIdEEZZNS1_9scan_implILNS1_25lookback_scan_determinismE0ELb1ELb1ES3_N6thrust23THRUST_200600_302600_NS6detail15normal_iteratorINS9_10device_ptrIdEEEENS9_16discard_iteratorINS9_11use_defaultEEEd11max_functorIdEdEEDaPvRmT3_T4_T5_mT6_P12ihipStream_tbENKUlT_T0_E_clISt17integral_constantIbLb1EESX_EEDaSS_ST_EUlSS_E_NS1_11comp_targetILNS1_3genE8ELNS1_11target_archE1030ELNS1_3gpuE2ELNS1_3repE0EEENS1_30default_config_static_selectorELNS0_4arch9wavefront6targetE1EEEvT1_
    .private_segment_fixed_size: 0
    .sgpr_count:     4
    .sgpr_spill_count: 0
    .symbol:         _ZN7rocprim17ROCPRIM_400000_NS6detail17trampoline_kernelINS0_14default_configENS1_20scan_config_selectorIdEEZZNS1_9scan_implILNS1_25lookback_scan_determinismE0ELb1ELb1ES3_N6thrust23THRUST_200600_302600_NS6detail15normal_iteratorINS9_10device_ptrIdEEEENS9_16discard_iteratorINS9_11use_defaultEEEd11max_functorIdEdEEDaPvRmT3_T4_T5_mT6_P12ihipStream_tbENKUlT_T0_E_clISt17integral_constantIbLb1EESX_EEDaSS_ST_EUlSS_E_NS1_11comp_targetILNS1_3genE8ELNS1_11target_archE1030ELNS1_3gpuE2ELNS1_3repE0EEENS1_30default_config_static_selectorELNS0_4arch9wavefront6targetE1EEEvT1_.kd
    .uniform_work_group_size: 1
    .uses_dynamic_stack: false
    .vgpr_count:     0
    .vgpr_spill_count: 0
    .wavefront_size: 64
  - .agpr_count:     0
    .args:
      - .offset:         0
        .size:           48
        .value_kind:     by_value
    .group_segment_fixed_size: 0
    .kernarg_segment_align: 8
    .kernarg_segment_size: 48
    .language:       OpenCL C
    .language_version:
      - 2
      - 0
    .max_flat_workgroup_size: 256
    .name:           _ZN7rocprim17ROCPRIM_400000_NS6detail17trampoline_kernelINS0_14default_configENS1_20scan_config_selectorIdEEZZNS1_9scan_implILNS1_25lookback_scan_determinismE0ELb1ELb1ES3_N6thrust23THRUST_200600_302600_NS6detail15normal_iteratorINS9_10device_ptrIdEEEENS9_16discard_iteratorINS9_11use_defaultEEEd11max_functorIdEdEEDaPvRmT3_T4_T5_mT6_P12ihipStream_tbENKUlT_T0_E_clISt17integral_constantIbLb1EESX_EEDaSS_ST_EUlSS_E0_NS1_11comp_targetILNS1_3genE0ELNS1_11target_archE4294967295ELNS1_3gpuE0ELNS1_3repE0EEENS1_30default_config_static_selectorELNS0_4arch9wavefront6targetE1EEEvT1_
    .private_segment_fixed_size: 0
    .sgpr_count:     4
    .sgpr_spill_count: 0
    .symbol:         _ZN7rocprim17ROCPRIM_400000_NS6detail17trampoline_kernelINS0_14default_configENS1_20scan_config_selectorIdEEZZNS1_9scan_implILNS1_25lookback_scan_determinismE0ELb1ELb1ES3_N6thrust23THRUST_200600_302600_NS6detail15normal_iteratorINS9_10device_ptrIdEEEENS9_16discard_iteratorINS9_11use_defaultEEEd11max_functorIdEdEEDaPvRmT3_T4_T5_mT6_P12ihipStream_tbENKUlT_T0_E_clISt17integral_constantIbLb1EESX_EEDaSS_ST_EUlSS_E0_NS1_11comp_targetILNS1_3genE0ELNS1_11target_archE4294967295ELNS1_3gpuE0ELNS1_3repE0EEENS1_30default_config_static_selectorELNS0_4arch9wavefront6targetE1EEEvT1_.kd
    .uniform_work_group_size: 1
    .uses_dynamic_stack: false
    .vgpr_count:     0
    .vgpr_spill_count: 0
    .wavefront_size: 64
  - .agpr_count:     0
    .args:
      - .offset:         0
        .size:           48
        .value_kind:     by_value
    .group_segment_fixed_size: 0
    .kernarg_segment_align: 8
    .kernarg_segment_size: 48
    .language:       OpenCL C
    .language_version:
      - 2
      - 0
    .max_flat_workgroup_size: 256
    .name:           _ZN7rocprim17ROCPRIM_400000_NS6detail17trampoline_kernelINS0_14default_configENS1_20scan_config_selectorIdEEZZNS1_9scan_implILNS1_25lookback_scan_determinismE0ELb1ELb1ES3_N6thrust23THRUST_200600_302600_NS6detail15normal_iteratorINS9_10device_ptrIdEEEENS9_16discard_iteratorINS9_11use_defaultEEEd11max_functorIdEdEEDaPvRmT3_T4_T5_mT6_P12ihipStream_tbENKUlT_T0_E_clISt17integral_constantIbLb1EESX_EEDaSS_ST_EUlSS_E0_NS1_11comp_targetILNS1_3genE5ELNS1_11target_archE942ELNS1_3gpuE9ELNS1_3repE0EEENS1_30default_config_static_selectorELNS0_4arch9wavefront6targetE1EEEvT1_
    .private_segment_fixed_size: 0
    .sgpr_count:     4
    .sgpr_spill_count: 0
    .symbol:         _ZN7rocprim17ROCPRIM_400000_NS6detail17trampoline_kernelINS0_14default_configENS1_20scan_config_selectorIdEEZZNS1_9scan_implILNS1_25lookback_scan_determinismE0ELb1ELb1ES3_N6thrust23THRUST_200600_302600_NS6detail15normal_iteratorINS9_10device_ptrIdEEEENS9_16discard_iteratorINS9_11use_defaultEEEd11max_functorIdEdEEDaPvRmT3_T4_T5_mT6_P12ihipStream_tbENKUlT_T0_E_clISt17integral_constantIbLb1EESX_EEDaSS_ST_EUlSS_E0_NS1_11comp_targetILNS1_3genE5ELNS1_11target_archE942ELNS1_3gpuE9ELNS1_3repE0EEENS1_30default_config_static_selectorELNS0_4arch9wavefront6targetE1EEEvT1_.kd
    .uniform_work_group_size: 1
    .uses_dynamic_stack: false
    .vgpr_count:     0
    .vgpr_spill_count: 0
    .wavefront_size: 64
  - .agpr_count:     0
    .args:
      - .offset:         0
        .size:           48
        .value_kind:     by_value
    .group_segment_fixed_size: 10240
    .kernarg_segment_align: 8
    .kernarg_segment_size: 48
    .language:       OpenCL C
    .language_version:
      - 2
      - 0
    .max_flat_workgroup_size: 128
    .name:           _ZN7rocprim17ROCPRIM_400000_NS6detail17trampoline_kernelINS0_14default_configENS1_20scan_config_selectorIdEEZZNS1_9scan_implILNS1_25lookback_scan_determinismE0ELb1ELb1ES3_N6thrust23THRUST_200600_302600_NS6detail15normal_iteratorINS9_10device_ptrIdEEEENS9_16discard_iteratorINS9_11use_defaultEEEd11max_functorIdEdEEDaPvRmT3_T4_T5_mT6_P12ihipStream_tbENKUlT_T0_E_clISt17integral_constantIbLb1EESX_EEDaSS_ST_EUlSS_E0_NS1_11comp_targetILNS1_3genE4ELNS1_11target_archE910ELNS1_3gpuE8ELNS1_3repE0EEENS1_30default_config_static_selectorELNS0_4arch9wavefront6targetE1EEEvT1_
    .private_segment_fixed_size: 0
    .sgpr_count:     14
    .sgpr_spill_count: 0
    .symbol:         _ZN7rocprim17ROCPRIM_400000_NS6detail17trampoline_kernelINS0_14default_configENS1_20scan_config_selectorIdEEZZNS1_9scan_implILNS1_25lookback_scan_determinismE0ELb1ELb1ES3_N6thrust23THRUST_200600_302600_NS6detail15normal_iteratorINS9_10device_ptrIdEEEENS9_16discard_iteratorINS9_11use_defaultEEEd11max_functorIdEdEEDaPvRmT3_T4_T5_mT6_P12ihipStream_tbENKUlT_T0_E_clISt17integral_constantIbLb1EESX_EEDaSS_ST_EUlSS_E0_NS1_11comp_targetILNS1_3genE4ELNS1_11target_archE910ELNS1_3gpuE8ELNS1_3repE0EEENS1_30default_config_static_selectorELNS0_4arch9wavefront6targetE1EEEvT1_.kd
    .uniform_work_group_size: 1
    .uses_dynamic_stack: false
    .vgpr_count:     31
    .vgpr_spill_count: 0
    .wavefront_size: 64
  - .agpr_count:     0
    .args:
      - .offset:         0
        .size:           48
        .value_kind:     by_value
    .group_segment_fixed_size: 0
    .kernarg_segment_align: 8
    .kernarg_segment_size: 48
    .language:       OpenCL C
    .language_version:
      - 2
      - 0
    .max_flat_workgroup_size: 256
    .name:           _ZN7rocprim17ROCPRIM_400000_NS6detail17trampoline_kernelINS0_14default_configENS1_20scan_config_selectorIdEEZZNS1_9scan_implILNS1_25lookback_scan_determinismE0ELb1ELb1ES3_N6thrust23THRUST_200600_302600_NS6detail15normal_iteratorINS9_10device_ptrIdEEEENS9_16discard_iteratorINS9_11use_defaultEEEd11max_functorIdEdEEDaPvRmT3_T4_T5_mT6_P12ihipStream_tbENKUlT_T0_E_clISt17integral_constantIbLb1EESX_EEDaSS_ST_EUlSS_E0_NS1_11comp_targetILNS1_3genE3ELNS1_11target_archE908ELNS1_3gpuE7ELNS1_3repE0EEENS1_30default_config_static_selectorELNS0_4arch9wavefront6targetE1EEEvT1_
    .private_segment_fixed_size: 0
    .sgpr_count:     4
    .sgpr_spill_count: 0
    .symbol:         _ZN7rocprim17ROCPRIM_400000_NS6detail17trampoline_kernelINS0_14default_configENS1_20scan_config_selectorIdEEZZNS1_9scan_implILNS1_25lookback_scan_determinismE0ELb1ELb1ES3_N6thrust23THRUST_200600_302600_NS6detail15normal_iteratorINS9_10device_ptrIdEEEENS9_16discard_iteratorINS9_11use_defaultEEEd11max_functorIdEdEEDaPvRmT3_T4_T5_mT6_P12ihipStream_tbENKUlT_T0_E_clISt17integral_constantIbLb1EESX_EEDaSS_ST_EUlSS_E0_NS1_11comp_targetILNS1_3genE3ELNS1_11target_archE908ELNS1_3gpuE7ELNS1_3repE0EEENS1_30default_config_static_selectorELNS0_4arch9wavefront6targetE1EEEvT1_.kd
    .uniform_work_group_size: 1
    .uses_dynamic_stack: false
    .vgpr_count:     0
    .vgpr_spill_count: 0
    .wavefront_size: 64
  - .agpr_count:     0
    .args:
      - .offset:         0
        .size:           48
        .value_kind:     by_value
    .group_segment_fixed_size: 0
    .kernarg_segment_align: 8
    .kernarg_segment_size: 48
    .language:       OpenCL C
    .language_version:
      - 2
      - 0
    .max_flat_workgroup_size: 128
    .name:           _ZN7rocprim17ROCPRIM_400000_NS6detail17trampoline_kernelINS0_14default_configENS1_20scan_config_selectorIdEEZZNS1_9scan_implILNS1_25lookback_scan_determinismE0ELb1ELb1ES3_N6thrust23THRUST_200600_302600_NS6detail15normal_iteratorINS9_10device_ptrIdEEEENS9_16discard_iteratorINS9_11use_defaultEEEd11max_functorIdEdEEDaPvRmT3_T4_T5_mT6_P12ihipStream_tbENKUlT_T0_E_clISt17integral_constantIbLb1EESX_EEDaSS_ST_EUlSS_E0_NS1_11comp_targetILNS1_3genE2ELNS1_11target_archE906ELNS1_3gpuE6ELNS1_3repE0EEENS1_30default_config_static_selectorELNS0_4arch9wavefront6targetE1EEEvT1_
    .private_segment_fixed_size: 0
    .sgpr_count:     4
    .sgpr_spill_count: 0
    .symbol:         _ZN7rocprim17ROCPRIM_400000_NS6detail17trampoline_kernelINS0_14default_configENS1_20scan_config_selectorIdEEZZNS1_9scan_implILNS1_25lookback_scan_determinismE0ELb1ELb1ES3_N6thrust23THRUST_200600_302600_NS6detail15normal_iteratorINS9_10device_ptrIdEEEENS9_16discard_iteratorINS9_11use_defaultEEEd11max_functorIdEdEEDaPvRmT3_T4_T5_mT6_P12ihipStream_tbENKUlT_T0_E_clISt17integral_constantIbLb1EESX_EEDaSS_ST_EUlSS_E0_NS1_11comp_targetILNS1_3genE2ELNS1_11target_archE906ELNS1_3gpuE6ELNS1_3repE0EEENS1_30default_config_static_selectorELNS0_4arch9wavefront6targetE1EEEvT1_.kd
    .uniform_work_group_size: 1
    .uses_dynamic_stack: false
    .vgpr_count:     0
    .vgpr_spill_count: 0
    .wavefront_size: 64
  - .agpr_count:     0
    .args:
      - .offset:         0
        .size:           48
        .value_kind:     by_value
    .group_segment_fixed_size: 0
    .kernarg_segment_align: 8
    .kernarg_segment_size: 48
    .language:       OpenCL C
    .language_version:
      - 2
      - 0
    .max_flat_workgroup_size: 256
    .name:           _ZN7rocprim17ROCPRIM_400000_NS6detail17trampoline_kernelINS0_14default_configENS1_20scan_config_selectorIdEEZZNS1_9scan_implILNS1_25lookback_scan_determinismE0ELb1ELb1ES3_N6thrust23THRUST_200600_302600_NS6detail15normal_iteratorINS9_10device_ptrIdEEEENS9_16discard_iteratorINS9_11use_defaultEEEd11max_functorIdEdEEDaPvRmT3_T4_T5_mT6_P12ihipStream_tbENKUlT_T0_E_clISt17integral_constantIbLb1EESX_EEDaSS_ST_EUlSS_E0_NS1_11comp_targetILNS1_3genE10ELNS1_11target_archE1201ELNS1_3gpuE5ELNS1_3repE0EEENS1_30default_config_static_selectorELNS0_4arch9wavefront6targetE1EEEvT1_
    .private_segment_fixed_size: 0
    .sgpr_count:     4
    .sgpr_spill_count: 0
    .symbol:         _ZN7rocprim17ROCPRIM_400000_NS6detail17trampoline_kernelINS0_14default_configENS1_20scan_config_selectorIdEEZZNS1_9scan_implILNS1_25lookback_scan_determinismE0ELb1ELb1ES3_N6thrust23THRUST_200600_302600_NS6detail15normal_iteratorINS9_10device_ptrIdEEEENS9_16discard_iteratorINS9_11use_defaultEEEd11max_functorIdEdEEDaPvRmT3_T4_T5_mT6_P12ihipStream_tbENKUlT_T0_E_clISt17integral_constantIbLb1EESX_EEDaSS_ST_EUlSS_E0_NS1_11comp_targetILNS1_3genE10ELNS1_11target_archE1201ELNS1_3gpuE5ELNS1_3repE0EEENS1_30default_config_static_selectorELNS0_4arch9wavefront6targetE1EEEvT1_.kd
    .uniform_work_group_size: 1
    .uses_dynamic_stack: false
    .vgpr_count:     0
    .vgpr_spill_count: 0
    .wavefront_size: 64
  - .agpr_count:     0
    .args:
      - .offset:         0
        .size:           48
        .value_kind:     by_value
    .group_segment_fixed_size: 0
    .kernarg_segment_align: 8
    .kernarg_segment_size: 48
    .language:       OpenCL C
    .language_version:
      - 2
      - 0
    .max_flat_workgroup_size: 256
    .name:           _ZN7rocprim17ROCPRIM_400000_NS6detail17trampoline_kernelINS0_14default_configENS1_20scan_config_selectorIdEEZZNS1_9scan_implILNS1_25lookback_scan_determinismE0ELb1ELb1ES3_N6thrust23THRUST_200600_302600_NS6detail15normal_iteratorINS9_10device_ptrIdEEEENS9_16discard_iteratorINS9_11use_defaultEEEd11max_functorIdEdEEDaPvRmT3_T4_T5_mT6_P12ihipStream_tbENKUlT_T0_E_clISt17integral_constantIbLb1EESX_EEDaSS_ST_EUlSS_E0_NS1_11comp_targetILNS1_3genE10ELNS1_11target_archE1200ELNS1_3gpuE4ELNS1_3repE0EEENS1_30default_config_static_selectorELNS0_4arch9wavefront6targetE1EEEvT1_
    .private_segment_fixed_size: 0
    .sgpr_count:     4
    .sgpr_spill_count: 0
    .symbol:         _ZN7rocprim17ROCPRIM_400000_NS6detail17trampoline_kernelINS0_14default_configENS1_20scan_config_selectorIdEEZZNS1_9scan_implILNS1_25lookback_scan_determinismE0ELb1ELb1ES3_N6thrust23THRUST_200600_302600_NS6detail15normal_iteratorINS9_10device_ptrIdEEEENS9_16discard_iteratorINS9_11use_defaultEEEd11max_functorIdEdEEDaPvRmT3_T4_T5_mT6_P12ihipStream_tbENKUlT_T0_E_clISt17integral_constantIbLb1EESX_EEDaSS_ST_EUlSS_E0_NS1_11comp_targetILNS1_3genE10ELNS1_11target_archE1200ELNS1_3gpuE4ELNS1_3repE0EEENS1_30default_config_static_selectorELNS0_4arch9wavefront6targetE1EEEvT1_.kd
    .uniform_work_group_size: 1
    .uses_dynamic_stack: false
    .vgpr_count:     0
    .vgpr_spill_count: 0
    .wavefront_size: 64
  - .agpr_count:     0
    .args:
      - .offset:         0
        .size:           48
        .value_kind:     by_value
    .group_segment_fixed_size: 0
    .kernarg_segment_align: 8
    .kernarg_segment_size: 48
    .language:       OpenCL C
    .language_version:
      - 2
      - 0
    .max_flat_workgroup_size: 256
    .name:           _ZN7rocprim17ROCPRIM_400000_NS6detail17trampoline_kernelINS0_14default_configENS1_20scan_config_selectorIdEEZZNS1_9scan_implILNS1_25lookback_scan_determinismE0ELb1ELb1ES3_N6thrust23THRUST_200600_302600_NS6detail15normal_iteratorINS9_10device_ptrIdEEEENS9_16discard_iteratorINS9_11use_defaultEEEd11max_functorIdEdEEDaPvRmT3_T4_T5_mT6_P12ihipStream_tbENKUlT_T0_E_clISt17integral_constantIbLb1EESX_EEDaSS_ST_EUlSS_E0_NS1_11comp_targetILNS1_3genE9ELNS1_11target_archE1100ELNS1_3gpuE3ELNS1_3repE0EEENS1_30default_config_static_selectorELNS0_4arch9wavefront6targetE1EEEvT1_
    .private_segment_fixed_size: 0
    .sgpr_count:     4
    .sgpr_spill_count: 0
    .symbol:         _ZN7rocprim17ROCPRIM_400000_NS6detail17trampoline_kernelINS0_14default_configENS1_20scan_config_selectorIdEEZZNS1_9scan_implILNS1_25lookback_scan_determinismE0ELb1ELb1ES3_N6thrust23THRUST_200600_302600_NS6detail15normal_iteratorINS9_10device_ptrIdEEEENS9_16discard_iteratorINS9_11use_defaultEEEd11max_functorIdEdEEDaPvRmT3_T4_T5_mT6_P12ihipStream_tbENKUlT_T0_E_clISt17integral_constantIbLb1EESX_EEDaSS_ST_EUlSS_E0_NS1_11comp_targetILNS1_3genE9ELNS1_11target_archE1100ELNS1_3gpuE3ELNS1_3repE0EEENS1_30default_config_static_selectorELNS0_4arch9wavefront6targetE1EEEvT1_.kd
    .uniform_work_group_size: 1
    .uses_dynamic_stack: false
    .vgpr_count:     0
    .vgpr_spill_count: 0
    .wavefront_size: 64
  - .agpr_count:     0
    .args:
      - .offset:         0
        .size:           48
        .value_kind:     by_value
    .group_segment_fixed_size: 0
    .kernarg_segment_align: 8
    .kernarg_segment_size: 48
    .language:       OpenCL C
    .language_version:
      - 2
      - 0
    .max_flat_workgroup_size: 128
    .name:           _ZN7rocprim17ROCPRIM_400000_NS6detail17trampoline_kernelINS0_14default_configENS1_20scan_config_selectorIdEEZZNS1_9scan_implILNS1_25lookback_scan_determinismE0ELb1ELb1ES3_N6thrust23THRUST_200600_302600_NS6detail15normal_iteratorINS9_10device_ptrIdEEEENS9_16discard_iteratorINS9_11use_defaultEEEd11max_functorIdEdEEDaPvRmT3_T4_T5_mT6_P12ihipStream_tbENKUlT_T0_E_clISt17integral_constantIbLb1EESX_EEDaSS_ST_EUlSS_E0_NS1_11comp_targetILNS1_3genE8ELNS1_11target_archE1030ELNS1_3gpuE2ELNS1_3repE0EEENS1_30default_config_static_selectorELNS0_4arch9wavefront6targetE1EEEvT1_
    .private_segment_fixed_size: 0
    .sgpr_count:     4
    .sgpr_spill_count: 0
    .symbol:         _ZN7rocprim17ROCPRIM_400000_NS6detail17trampoline_kernelINS0_14default_configENS1_20scan_config_selectorIdEEZZNS1_9scan_implILNS1_25lookback_scan_determinismE0ELb1ELb1ES3_N6thrust23THRUST_200600_302600_NS6detail15normal_iteratorINS9_10device_ptrIdEEEENS9_16discard_iteratorINS9_11use_defaultEEEd11max_functorIdEdEEDaPvRmT3_T4_T5_mT6_P12ihipStream_tbENKUlT_T0_E_clISt17integral_constantIbLb1EESX_EEDaSS_ST_EUlSS_E0_NS1_11comp_targetILNS1_3genE8ELNS1_11target_archE1030ELNS1_3gpuE2ELNS1_3repE0EEENS1_30default_config_static_selectorELNS0_4arch9wavefront6targetE1EEEvT1_.kd
    .uniform_work_group_size: 1
    .uses_dynamic_stack: false
    .vgpr_count:     0
    .vgpr_spill_count: 0
    .wavefront_size: 64
  - .agpr_count:     0
    .args:
      - .offset:         0
        .size:           112
        .value_kind:     by_value
    .group_segment_fixed_size: 0
    .kernarg_segment_align: 8
    .kernarg_segment_size: 112
    .language:       OpenCL C
    .language_version:
      - 2
      - 0
    .max_flat_workgroup_size: 256
    .name:           _ZN7rocprim17ROCPRIM_400000_NS6detail17trampoline_kernelINS0_14default_configENS1_20scan_config_selectorIdEEZZNS1_9scan_implILNS1_25lookback_scan_determinismE0ELb1ELb1ES3_N6thrust23THRUST_200600_302600_NS6detail15normal_iteratorINS9_10device_ptrIdEEEENS9_16discard_iteratorINS9_11use_defaultEEEd11max_functorIdEdEEDaPvRmT3_T4_T5_mT6_P12ihipStream_tbENKUlT_T0_E_clISt17integral_constantIbLb1EESW_IbLb0EEEEDaSS_ST_EUlSS_E_NS1_11comp_targetILNS1_3genE0ELNS1_11target_archE4294967295ELNS1_3gpuE0ELNS1_3repE0EEENS1_30default_config_static_selectorELNS0_4arch9wavefront6targetE1EEEvT1_
    .private_segment_fixed_size: 0
    .sgpr_count:     4
    .sgpr_spill_count: 0
    .symbol:         _ZN7rocprim17ROCPRIM_400000_NS6detail17trampoline_kernelINS0_14default_configENS1_20scan_config_selectorIdEEZZNS1_9scan_implILNS1_25lookback_scan_determinismE0ELb1ELb1ES3_N6thrust23THRUST_200600_302600_NS6detail15normal_iteratorINS9_10device_ptrIdEEEENS9_16discard_iteratorINS9_11use_defaultEEEd11max_functorIdEdEEDaPvRmT3_T4_T5_mT6_P12ihipStream_tbENKUlT_T0_E_clISt17integral_constantIbLb1EESW_IbLb0EEEEDaSS_ST_EUlSS_E_NS1_11comp_targetILNS1_3genE0ELNS1_11target_archE4294967295ELNS1_3gpuE0ELNS1_3repE0EEENS1_30default_config_static_selectorELNS0_4arch9wavefront6targetE1EEEvT1_.kd
    .uniform_work_group_size: 1
    .uses_dynamic_stack: false
    .vgpr_count:     0
    .vgpr_spill_count: 0
    .wavefront_size: 64
  - .agpr_count:     0
    .args:
      - .offset:         0
        .size:           112
        .value_kind:     by_value
    .group_segment_fixed_size: 0
    .kernarg_segment_align: 8
    .kernarg_segment_size: 112
    .language:       OpenCL C
    .language_version:
      - 2
      - 0
    .max_flat_workgroup_size: 256
    .name:           _ZN7rocprim17ROCPRIM_400000_NS6detail17trampoline_kernelINS0_14default_configENS1_20scan_config_selectorIdEEZZNS1_9scan_implILNS1_25lookback_scan_determinismE0ELb1ELb1ES3_N6thrust23THRUST_200600_302600_NS6detail15normal_iteratorINS9_10device_ptrIdEEEENS9_16discard_iteratorINS9_11use_defaultEEEd11max_functorIdEdEEDaPvRmT3_T4_T5_mT6_P12ihipStream_tbENKUlT_T0_E_clISt17integral_constantIbLb1EESW_IbLb0EEEEDaSS_ST_EUlSS_E_NS1_11comp_targetILNS1_3genE5ELNS1_11target_archE942ELNS1_3gpuE9ELNS1_3repE0EEENS1_30default_config_static_selectorELNS0_4arch9wavefront6targetE1EEEvT1_
    .private_segment_fixed_size: 0
    .sgpr_count:     4
    .sgpr_spill_count: 0
    .symbol:         _ZN7rocprim17ROCPRIM_400000_NS6detail17trampoline_kernelINS0_14default_configENS1_20scan_config_selectorIdEEZZNS1_9scan_implILNS1_25lookback_scan_determinismE0ELb1ELb1ES3_N6thrust23THRUST_200600_302600_NS6detail15normal_iteratorINS9_10device_ptrIdEEEENS9_16discard_iteratorINS9_11use_defaultEEEd11max_functorIdEdEEDaPvRmT3_T4_T5_mT6_P12ihipStream_tbENKUlT_T0_E_clISt17integral_constantIbLb1EESW_IbLb0EEEEDaSS_ST_EUlSS_E_NS1_11comp_targetILNS1_3genE5ELNS1_11target_archE942ELNS1_3gpuE9ELNS1_3repE0EEENS1_30default_config_static_selectorELNS0_4arch9wavefront6targetE1EEEvT1_.kd
    .uniform_work_group_size: 1
    .uses_dynamic_stack: false
    .vgpr_count:     0
    .vgpr_spill_count: 0
    .wavefront_size: 64
  - .agpr_count:     0
    .args:
      - .offset:         0
        .size:           112
        .value_kind:     by_value
    .group_segment_fixed_size: 10240
    .kernarg_segment_align: 8
    .kernarg_segment_size: 112
    .language:       OpenCL C
    .language_version:
      - 2
      - 0
    .max_flat_workgroup_size: 128
    .name:           _ZN7rocprim17ROCPRIM_400000_NS6detail17trampoline_kernelINS0_14default_configENS1_20scan_config_selectorIdEEZZNS1_9scan_implILNS1_25lookback_scan_determinismE0ELb1ELb1ES3_N6thrust23THRUST_200600_302600_NS6detail15normal_iteratorINS9_10device_ptrIdEEEENS9_16discard_iteratorINS9_11use_defaultEEEd11max_functorIdEdEEDaPvRmT3_T4_T5_mT6_P12ihipStream_tbENKUlT_T0_E_clISt17integral_constantIbLb1EESW_IbLb0EEEEDaSS_ST_EUlSS_E_NS1_11comp_targetILNS1_3genE4ELNS1_11target_archE910ELNS1_3gpuE8ELNS1_3repE0EEENS1_30default_config_static_selectorELNS0_4arch9wavefront6targetE1EEEvT1_
    .private_segment_fixed_size: 0
    .sgpr_count:     28
    .sgpr_spill_count: 0
    .symbol:         _ZN7rocprim17ROCPRIM_400000_NS6detail17trampoline_kernelINS0_14default_configENS1_20scan_config_selectorIdEEZZNS1_9scan_implILNS1_25lookback_scan_determinismE0ELb1ELb1ES3_N6thrust23THRUST_200600_302600_NS6detail15normal_iteratorINS9_10device_ptrIdEEEENS9_16discard_iteratorINS9_11use_defaultEEEd11max_functorIdEdEEDaPvRmT3_T4_T5_mT6_P12ihipStream_tbENKUlT_T0_E_clISt17integral_constantIbLb1EESW_IbLb0EEEEDaSS_ST_EUlSS_E_NS1_11comp_targetILNS1_3genE4ELNS1_11target_archE910ELNS1_3gpuE8ELNS1_3repE0EEENS1_30default_config_static_selectorELNS0_4arch9wavefront6targetE1EEEvT1_.kd
    .uniform_work_group_size: 1
    .uses_dynamic_stack: false
    .vgpr_count:     58
    .vgpr_spill_count: 0
    .wavefront_size: 64
  - .agpr_count:     0
    .args:
      - .offset:         0
        .size:           112
        .value_kind:     by_value
    .group_segment_fixed_size: 0
    .kernarg_segment_align: 8
    .kernarg_segment_size: 112
    .language:       OpenCL C
    .language_version:
      - 2
      - 0
    .max_flat_workgroup_size: 256
    .name:           _ZN7rocprim17ROCPRIM_400000_NS6detail17trampoline_kernelINS0_14default_configENS1_20scan_config_selectorIdEEZZNS1_9scan_implILNS1_25lookback_scan_determinismE0ELb1ELb1ES3_N6thrust23THRUST_200600_302600_NS6detail15normal_iteratorINS9_10device_ptrIdEEEENS9_16discard_iteratorINS9_11use_defaultEEEd11max_functorIdEdEEDaPvRmT3_T4_T5_mT6_P12ihipStream_tbENKUlT_T0_E_clISt17integral_constantIbLb1EESW_IbLb0EEEEDaSS_ST_EUlSS_E_NS1_11comp_targetILNS1_3genE3ELNS1_11target_archE908ELNS1_3gpuE7ELNS1_3repE0EEENS1_30default_config_static_selectorELNS0_4arch9wavefront6targetE1EEEvT1_
    .private_segment_fixed_size: 0
    .sgpr_count:     4
    .sgpr_spill_count: 0
    .symbol:         _ZN7rocprim17ROCPRIM_400000_NS6detail17trampoline_kernelINS0_14default_configENS1_20scan_config_selectorIdEEZZNS1_9scan_implILNS1_25lookback_scan_determinismE0ELb1ELb1ES3_N6thrust23THRUST_200600_302600_NS6detail15normal_iteratorINS9_10device_ptrIdEEEENS9_16discard_iteratorINS9_11use_defaultEEEd11max_functorIdEdEEDaPvRmT3_T4_T5_mT6_P12ihipStream_tbENKUlT_T0_E_clISt17integral_constantIbLb1EESW_IbLb0EEEEDaSS_ST_EUlSS_E_NS1_11comp_targetILNS1_3genE3ELNS1_11target_archE908ELNS1_3gpuE7ELNS1_3repE0EEENS1_30default_config_static_selectorELNS0_4arch9wavefront6targetE1EEEvT1_.kd
    .uniform_work_group_size: 1
    .uses_dynamic_stack: false
    .vgpr_count:     0
    .vgpr_spill_count: 0
    .wavefront_size: 64
  - .agpr_count:     0
    .args:
      - .offset:         0
        .size:           112
        .value_kind:     by_value
    .group_segment_fixed_size: 0
    .kernarg_segment_align: 8
    .kernarg_segment_size: 112
    .language:       OpenCL C
    .language_version:
      - 2
      - 0
    .max_flat_workgroup_size: 128
    .name:           _ZN7rocprim17ROCPRIM_400000_NS6detail17trampoline_kernelINS0_14default_configENS1_20scan_config_selectorIdEEZZNS1_9scan_implILNS1_25lookback_scan_determinismE0ELb1ELb1ES3_N6thrust23THRUST_200600_302600_NS6detail15normal_iteratorINS9_10device_ptrIdEEEENS9_16discard_iteratorINS9_11use_defaultEEEd11max_functorIdEdEEDaPvRmT3_T4_T5_mT6_P12ihipStream_tbENKUlT_T0_E_clISt17integral_constantIbLb1EESW_IbLb0EEEEDaSS_ST_EUlSS_E_NS1_11comp_targetILNS1_3genE2ELNS1_11target_archE906ELNS1_3gpuE6ELNS1_3repE0EEENS1_30default_config_static_selectorELNS0_4arch9wavefront6targetE1EEEvT1_
    .private_segment_fixed_size: 0
    .sgpr_count:     4
    .sgpr_spill_count: 0
    .symbol:         _ZN7rocprim17ROCPRIM_400000_NS6detail17trampoline_kernelINS0_14default_configENS1_20scan_config_selectorIdEEZZNS1_9scan_implILNS1_25lookback_scan_determinismE0ELb1ELb1ES3_N6thrust23THRUST_200600_302600_NS6detail15normal_iteratorINS9_10device_ptrIdEEEENS9_16discard_iteratorINS9_11use_defaultEEEd11max_functorIdEdEEDaPvRmT3_T4_T5_mT6_P12ihipStream_tbENKUlT_T0_E_clISt17integral_constantIbLb1EESW_IbLb0EEEEDaSS_ST_EUlSS_E_NS1_11comp_targetILNS1_3genE2ELNS1_11target_archE906ELNS1_3gpuE6ELNS1_3repE0EEENS1_30default_config_static_selectorELNS0_4arch9wavefront6targetE1EEEvT1_.kd
    .uniform_work_group_size: 1
    .uses_dynamic_stack: false
    .vgpr_count:     0
    .vgpr_spill_count: 0
    .wavefront_size: 64
  - .agpr_count:     0
    .args:
      - .offset:         0
        .size:           112
        .value_kind:     by_value
    .group_segment_fixed_size: 0
    .kernarg_segment_align: 8
    .kernarg_segment_size: 112
    .language:       OpenCL C
    .language_version:
      - 2
      - 0
    .max_flat_workgroup_size: 256
    .name:           _ZN7rocprim17ROCPRIM_400000_NS6detail17trampoline_kernelINS0_14default_configENS1_20scan_config_selectorIdEEZZNS1_9scan_implILNS1_25lookback_scan_determinismE0ELb1ELb1ES3_N6thrust23THRUST_200600_302600_NS6detail15normal_iteratorINS9_10device_ptrIdEEEENS9_16discard_iteratorINS9_11use_defaultEEEd11max_functorIdEdEEDaPvRmT3_T4_T5_mT6_P12ihipStream_tbENKUlT_T0_E_clISt17integral_constantIbLb1EESW_IbLb0EEEEDaSS_ST_EUlSS_E_NS1_11comp_targetILNS1_3genE10ELNS1_11target_archE1201ELNS1_3gpuE5ELNS1_3repE0EEENS1_30default_config_static_selectorELNS0_4arch9wavefront6targetE1EEEvT1_
    .private_segment_fixed_size: 0
    .sgpr_count:     4
    .sgpr_spill_count: 0
    .symbol:         _ZN7rocprim17ROCPRIM_400000_NS6detail17trampoline_kernelINS0_14default_configENS1_20scan_config_selectorIdEEZZNS1_9scan_implILNS1_25lookback_scan_determinismE0ELb1ELb1ES3_N6thrust23THRUST_200600_302600_NS6detail15normal_iteratorINS9_10device_ptrIdEEEENS9_16discard_iteratorINS9_11use_defaultEEEd11max_functorIdEdEEDaPvRmT3_T4_T5_mT6_P12ihipStream_tbENKUlT_T0_E_clISt17integral_constantIbLb1EESW_IbLb0EEEEDaSS_ST_EUlSS_E_NS1_11comp_targetILNS1_3genE10ELNS1_11target_archE1201ELNS1_3gpuE5ELNS1_3repE0EEENS1_30default_config_static_selectorELNS0_4arch9wavefront6targetE1EEEvT1_.kd
    .uniform_work_group_size: 1
    .uses_dynamic_stack: false
    .vgpr_count:     0
    .vgpr_spill_count: 0
    .wavefront_size: 64
  - .agpr_count:     0
    .args:
      - .offset:         0
        .size:           112
        .value_kind:     by_value
    .group_segment_fixed_size: 0
    .kernarg_segment_align: 8
    .kernarg_segment_size: 112
    .language:       OpenCL C
    .language_version:
      - 2
      - 0
    .max_flat_workgroup_size: 256
    .name:           _ZN7rocprim17ROCPRIM_400000_NS6detail17trampoline_kernelINS0_14default_configENS1_20scan_config_selectorIdEEZZNS1_9scan_implILNS1_25lookback_scan_determinismE0ELb1ELb1ES3_N6thrust23THRUST_200600_302600_NS6detail15normal_iteratorINS9_10device_ptrIdEEEENS9_16discard_iteratorINS9_11use_defaultEEEd11max_functorIdEdEEDaPvRmT3_T4_T5_mT6_P12ihipStream_tbENKUlT_T0_E_clISt17integral_constantIbLb1EESW_IbLb0EEEEDaSS_ST_EUlSS_E_NS1_11comp_targetILNS1_3genE10ELNS1_11target_archE1200ELNS1_3gpuE4ELNS1_3repE0EEENS1_30default_config_static_selectorELNS0_4arch9wavefront6targetE1EEEvT1_
    .private_segment_fixed_size: 0
    .sgpr_count:     4
    .sgpr_spill_count: 0
    .symbol:         _ZN7rocprim17ROCPRIM_400000_NS6detail17trampoline_kernelINS0_14default_configENS1_20scan_config_selectorIdEEZZNS1_9scan_implILNS1_25lookback_scan_determinismE0ELb1ELb1ES3_N6thrust23THRUST_200600_302600_NS6detail15normal_iteratorINS9_10device_ptrIdEEEENS9_16discard_iteratorINS9_11use_defaultEEEd11max_functorIdEdEEDaPvRmT3_T4_T5_mT6_P12ihipStream_tbENKUlT_T0_E_clISt17integral_constantIbLb1EESW_IbLb0EEEEDaSS_ST_EUlSS_E_NS1_11comp_targetILNS1_3genE10ELNS1_11target_archE1200ELNS1_3gpuE4ELNS1_3repE0EEENS1_30default_config_static_selectorELNS0_4arch9wavefront6targetE1EEEvT1_.kd
    .uniform_work_group_size: 1
    .uses_dynamic_stack: false
    .vgpr_count:     0
    .vgpr_spill_count: 0
    .wavefront_size: 64
  - .agpr_count:     0
    .args:
      - .offset:         0
        .size:           112
        .value_kind:     by_value
    .group_segment_fixed_size: 0
    .kernarg_segment_align: 8
    .kernarg_segment_size: 112
    .language:       OpenCL C
    .language_version:
      - 2
      - 0
    .max_flat_workgroup_size: 256
    .name:           _ZN7rocprim17ROCPRIM_400000_NS6detail17trampoline_kernelINS0_14default_configENS1_20scan_config_selectorIdEEZZNS1_9scan_implILNS1_25lookback_scan_determinismE0ELb1ELb1ES3_N6thrust23THRUST_200600_302600_NS6detail15normal_iteratorINS9_10device_ptrIdEEEENS9_16discard_iteratorINS9_11use_defaultEEEd11max_functorIdEdEEDaPvRmT3_T4_T5_mT6_P12ihipStream_tbENKUlT_T0_E_clISt17integral_constantIbLb1EESW_IbLb0EEEEDaSS_ST_EUlSS_E_NS1_11comp_targetILNS1_3genE9ELNS1_11target_archE1100ELNS1_3gpuE3ELNS1_3repE0EEENS1_30default_config_static_selectorELNS0_4arch9wavefront6targetE1EEEvT1_
    .private_segment_fixed_size: 0
    .sgpr_count:     4
    .sgpr_spill_count: 0
    .symbol:         _ZN7rocprim17ROCPRIM_400000_NS6detail17trampoline_kernelINS0_14default_configENS1_20scan_config_selectorIdEEZZNS1_9scan_implILNS1_25lookback_scan_determinismE0ELb1ELb1ES3_N6thrust23THRUST_200600_302600_NS6detail15normal_iteratorINS9_10device_ptrIdEEEENS9_16discard_iteratorINS9_11use_defaultEEEd11max_functorIdEdEEDaPvRmT3_T4_T5_mT6_P12ihipStream_tbENKUlT_T0_E_clISt17integral_constantIbLb1EESW_IbLb0EEEEDaSS_ST_EUlSS_E_NS1_11comp_targetILNS1_3genE9ELNS1_11target_archE1100ELNS1_3gpuE3ELNS1_3repE0EEENS1_30default_config_static_selectorELNS0_4arch9wavefront6targetE1EEEvT1_.kd
    .uniform_work_group_size: 1
    .uses_dynamic_stack: false
    .vgpr_count:     0
    .vgpr_spill_count: 0
    .wavefront_size: 64
  - .agpr_count:     0
    .args:
      - .offset:         0
        .size:           112
        .value_kind:     by_value
    .group_segment_fixed_size: 0
    .kernarg_segment_align: 8
    .kernarg_segment_size: 112
    .language:       OpenCL C
    .language_version:
      - 2
      - 0
    .max_flat_workgroup_size: 128
    .name:           _ZN7rocprim17ROCPRIM_400000_NS6detail17trampoline_kernelINS0_14default_configENS1_20scan_config_selectorIdEEZZNS1_9scan_implILNS1_25lookback_scan_determinismE0ELb1ELb1ES3_N6thrust23THRUST_200600_302600_NS6detail15normal_iteratorINS9_10device_ptrIdEEEENS9_16discard_iteratorINS9_11use_defaultEEEd11max_functorIdEdEEDaPvRmT3_T4_T5_mT6_P12ihipStream_tbENKUlT_T0_E_clISt17integral_constantIbLb1EESW_IbLb0EEEEDaSS_ST_EUlSS_E_NS1_11comp_targetILNS1_3genE8ELNS1_11target_archE1030ELNS1_3gpuE2ELNS1_3repE0EEENS1_30default_config_static_selectorELNS0_4arch9wavefront6targetE1EEEvT1_
    .private_segment_fixed_size: 0
    .sgpr_count:     4
    .sgpr_spill_count: 0
    .symbol:         _ZN7rocprim17ROCPRIM_400000_NS6detail17trampoline_kernelINS0_14default_configENS1_20scan_config_selectorIdEEZZNS1_9scan_implILNS1_25lookback_scan_determinismE0ELb1ELb1ES3_N6thrust23THRUST_200600_302600_NS6detail15normal_iteratorINS9_10device_ptrIdEEEENS9_16discard_iteratorINS9_11use_defaultEEEd11max_functorIdEdEEDaPvRmT3_T4_T5_mT6_P12ihipStream_tbENKUlT_T0_E_clISt17integral_constantIbLb1EESW_IbLb0EEEEDaSS_ST_EUlSS_E_NS1_11comp_targetILNS1_3genE8ELNS1_11target_archE1030ELNS1_3gpuE2ELNS1_3repE0EEENS1_30default_config_static_selectorELNS0_4arch9wavefront6targetE1EEEvT1_.kd
    .uniform_work_group_size: 1
    .uses_dynamic_stack: false
    .vgpr_count:     0
    .vgpr_spill_count: 0
    .wavefront_size: 64
  - .agpr_count:     0
    .args:
      - .offset:         0
        .size:           48
        .value_kind:     by_value
    .group_segment_fixed_size: 0
    .kernarg_segment_align: 8
    .kernarg_segment_size: 48
    .language:       OpenCL C
    .language_version:
      - 2
      - 0
    .max_flat_workgroup_size: 256
    .name:           _ZN7rocprim17ROCPRIM_400000_NS6detail17trampoline_kernelINS0_14default_configENS1_20scan_config_selectorIdEEZZNS1_9scan_implILNS1_25lookback_scan_determinismE0ELb1ELb1ES3_N6thrust23THRUST_200600_302600_NS6detail15normal_iteratorINS9_10device_ptrIdEEEENS9_16discard_iteratorINS9_11use_defaultEEEd11max_functorIdEdEEDaPvRmT3_T4_T5_mT6_P12ihipStream_tbENKUlT_T0_E_clISt17integral_constantIbLb1EESW_IbLb0EEEEDaSS_ST_EUlSS_E0_NS1_11comp_targetILNS1_3genE0ELNS1_11target_archE4294967295ELNS1_3gpuE0ELNS1_3repE0EEENS1_30default_config_static_selectorELNS0_4arch9wavefront6targetE1EEEvT1_
    .private_segment_fixed_size: 0
    .sgpr_count:     4
    .sgpr_spill_count: 0
    .symbol:         _ZN7rocprim17ROCPRIM_400000_NS6detail17trampoline_kernelINS0_14default_configENS1_20scan_config_selectorIdEEZZNS1_9scan_implILNS1_25lookback_scan_determinismE0ELb1ELb1ES3_N6thrust23THRUST_200600_302600_NS6detail15normal_iteratorINS9_10device_ptrIdEEEENS9_16discard_iteratorINS9_11use_defaultEEEd11max_functorIdEdEEDaPvRmT3_T4_T5_mT6_P12ihipStream_tbENKUlT_T0_E_clISt17integral_constantIbLb1EESW_IbLb0EEEEDaSS_ST_EUlSS_E0_NS1_11comp_targetILNS1_3genE0ELNS1_11target_archE4294967295ELNS1_3gpuE0ELNS1_3repE0EEENS1_30default_config_static_selectorELNS0_4arch9wavefront6targetE1EEEvT1_.kd
    .uniform_work_group_size: 1
    .uses_dynamic_stack: false
    .vgpr_count:     0
    .vgpr_spill_count: 0
    .wavefront_size: 64
  - .agpr_count:     0
    .args:
      - .offset:         0
        .size:           48
        .value_kind:     by_value
    .group_segment_fixed_size: 0
    .kernarg_segment_align: 8
    .kernarg_segment_size: 48
    .language:       OpenCL C
    .language_version:
      - 2
      - 0
    .max_flat_workgroup_size: 256
    .name:           _ZN7rocprim17ROCPRIM_400000_NS6detail17trampoline_kernelINS0_14default_configENS1_20scan_config_selectorIdEEZZNS1_9scan_implILNS1_25lookback_scan_determinismE0ELb1ELb1ES3_N6thrust23THRUST_200600_302600_NS6detail15normal_iteratorINS9_10device_ptrIdEEEENS9_16discard_iteratorINS9_11use_defaultEEEd11max_functorIdEdEEDaPvRmT3_T4_T5_mT6_P12ihipStream_tbENKUlT_T0_E_clISt17integral_constantIbLb1EESW_IbLb0EEEEDaSS_ST_EUlSS_E0_NS1_11comp_targetILNS1_3genE5ELNS1_11target_archE942ELNS1_3gpuE9ELNS1_3repE0EEENS1_30default_config_static_selectorELNS0_4arch9wavefront6targetE1EEEvT1_
    .private_segment_fixed_size: 0
    .sgpr_count:     4
    .sgpr_spill_count: 0
    .symbol:         _ZN7rocprim17ROCPRIM_400000_NS6detail17trampoline_kernelINS0_14default_configENS1_20scan_config_selectorIdEEZZNS1_9scan_implILNS1_25lookback_scan_determinismE0ELb1ELb1ES3_N6thrust23THRUST_200600_302600_NS6detail15normal_iteratorINS9_10device_ptrIdEEEENS9_16discard_iteratorINS9_11use_defaultEEEd11max_functorIdEdEEDaPvRmT3_T4_T5_mT6_P12ihipStream_tbENKUlT_T0_E_clISt17integral_constantIbLb1EESW_IbLb0EEEEDaSS_ST_EUlSS_E0_NS1_11comp_targetILNS1_3genE5ELNS1_11target_archE942ELNS1_3gpuE9ELNS1_3repE0EEENS1_30default_config_static_selectorELNS0_4arch9wavefront6targetE1EEEvT1_.kd
    .uniform_work_group_size: 1
    .uses_dynamic_stack: false
    .vgpr_count:     0
    .vgpr_spill_count: 0
    .wavefront_size: 64
  - .agpr_count:     0
    .args:
      - .offset:         0
        .size:           48
        .value_kind:     by_value
    .group_segment_fixed_size: 10240
    .kernarg_segment_align: 8
    .kernarg_segment_size: 48
    .language:       OpenCL C
    .language_version:
      - 2
      - 0
    .max_flat_workgroup_size: 128
    .name:           _ZN7rocprim17ROCPRIM_400000_NS6detail17trampoline_kernelINS0_14default_configENS1_20scan_config_selectorIdEEZZNS1_9scan_implILNS1_25lookback_scan_determinismE0ELb1ELb1ES3_N6thrust23THRUST_200600_302600_NS6detail15normal_iteratorINS9_10device_ptrIdEEEENS9_16discard_iteratorINS9_11use_defaultEEEd11max_functorIdEdEEDaPvRmT3_T4_T5_mT6_P12ihipStream_tbENKUlT_T0_E_clISt17integral_constantIbLb1EESW_IbLb0EEEEDaSS_ST_EUlSS_E0_NS1_11comp_targetILNS1_3genE4ELNS1_11target_archE910ELNS1_3gpuE8ELNS1_3repE0EEENS1_30default_config_static_selectorELNS0_4arch9wavefront6targetE1EEEvT1_
    .private_segment_fixed_size: 0
    .sgpr_count:     14
    .sgpr_spill_count: 0
    .symbol:         _ZN7rocprim17ROCPRIM_400000_NS6detail17trampoline_kernelINS0_14default_configENS1_20scan_config_selectorIdEEZZNS1_9scan_implILNS1_25lookback_scan_determinismE0ELb1ELb1ES3_N6thrust23THRUST_200600_302600_NS6detail15normal_iteratorINS9_10device_ptrIdEEEENS9_16discard_iteratorINS9_11use_defaultEEEd11max_functorIdEdEEDaPvRmT3_T4_T5_mT6_P12ihipStream_tbENKUlT_T0_E_clISt17integral_constantIbLb1EESW_IbLb0EEEEDaSS_ST_EUlSS_E0_NS1_11comp_targetILNS1_3genE4ELNS1_11target_archE910ELNS1_3gpuE8ELNS1_3repE0EEENS1_30default_config_static_selectorELNS0_4arch9wavefront6targetE1EEEvT1_.kd
    .uniform_work_group_size: 1
    .uses_dynamic_stack: false
    .vgpr_count:     31
    .vgpr_spill_count: 0
    .wavefront_size: 64
  - .agpr_count:     0
    .args:
      - .offset:         0
        .size:           48
        .value_kind:     by_value
    .group_segment_fixed_size: 0
    .kernarg_segment_align: 8
    .kernarg_segment_size: 48
    .language:       OpenCL C
    .language_version:
      - 2
      - 0
    .max_flat_workgroup_size: 256
    .name:           _ZN7rocprim17ROCPRIM_400000_NS6detail17trampoline_kernelINS0_14default_configENS1_20scan_config_selectorIdEEZZNS1_9scan_implILNS1_25lookback_scan_determinismE0ELb1ELb1ES3_N6thrust23THRUST_200600_302600_NS6detail15normal_iteratorINS9_10device_ptrIdEEEENS9_16discard_iteratorINS9_11use_defaultEEEd11max_functorIdEdEEDaPvRmT3_T4_T5_mT6_P12ihipStream_tbENKUlT_T0_E_clISt17integral_constantIbLb1EESW_IbLb0EEEEDaSS_ST_EUlSS_E0_NS1_11comp_targetILNS1_3genE3ELNS1_11target_archE908ELNS1_3gpuE7ELNS1_3repE0EEENS1_30default_config_static_selectorELNS0_4arch9wavefront6targetE1EEEvT1_
    .private_segment_fixed_size: 0
    .sgpr_count:     4
    .sgpr_spill_count: 0
    .symbol:         _ZN7rocprim17ROCPRIM_400000_NS6detail17trampoline_kernelINS0_14default_configENS1_20scan_config_selectorIdEEZZNS1_9scan_implILNS1_25lookback_scan_determinismE0ELb1ELb1ES3_N6thrust23THRUST_200600_302600_NS6detail15normal_iteratorINS9_10device_ptrIdEEEENS9_16discard_iteratorINS9_11use_defaultEEEd11max_functorIdEdEEDaPvRmT3_T4_T5_mT6_P12ihipStream_tbENKUlT_T0_E_clISt17integral_constantIbLb1EESW_IbLb0EEEEDaSS_ST_EUlSS_E0_NS1_11comp_targetILNS1_3genE3ELNS1_11target_archE908ELNS1_3gpuE7ELNS1_3repE0EEENS1_30default_config_static_selectorELNS0_4arch9wavefront6targetE1EEEvT1_.kd
    .uniform_work_group_size: 1
    .uses_dynamic_stack: false
    .vgpr_count:     0
    .vgpr_spill_count: 0
    .wavefront_size: 64
  - .agpr_count:     0
    .args:
      - .offset:         0
        .size:           48
        .value_kind:     by_value
    .group_segment_fixed_size: 0
    .kernarg_segment_align: 8
    .kernarg_segment_size: 48
    .language:       OpenCL C
    .language_version:
      - 2
      - 0
    .max_flat_workgroup_size: 128
    .name:           _ZN7rocprim17ROCPRIM_400000_NS6detail17trampoline_kernelINS0_14default_configENS1_20scan_config_selectorIdEEZZNS1_9scan_implILNS1_25lookback_scan_determinismE0ELb1ELb1ES3_N6thrust23THRUST_200600_302600_NS6detail15normal_iteratorINS9_10device_ptrIdEEEENS9_16discard_iteratorINS9_11use_defaultEEEd11max_functorIdEdEEDaPvRmT3_T4_T5_mT6_P12ihipStream_tbENKUlT_T0_E_clISt17integral_constantIbLb1EESW_IbLb0EEEEDaSS_ST_EUlSS_E0_NS1_11comp_targetILNS1_3genE2ELNS1_11target_archE906ELNS1_3gpuE6ELNS1_3repE0EEENS1_30default_config_static_selectorELNS0_4arch9wavefront6targetE1EEEvT1_
    .private_segment_fixed_size: 0
    .sgpr_count:     4
    .sgpr_spill_count: 0
    .symbol:         _ZN7rocprim17ROCPRIM_400000_NS6detail17trampoline_kernelINS0_14default_configENS1_20scan_config_selectorIdEEZZNS1_9scan_implILNS1_25lookback_scan_determinismE0ELb1ELb1ES3_N6thrust23THRUST_200600_302600_NS6detail15normal_iteratorINS9_10device_ptrIdEEEENS9_16discard_iteratorINS9_11use_defaultEEEd11max_functorIdEdEEDaPvRmT3_T4_T5_mT6_P12ihipStream_tbENKUlT_T0_E_clISt17integral_constantIbLb1EESW_IbLb0EEEEDaSS_ST_EUlSS_E0_NS1_11comp_targetILNS1_3genE2ELNS1_11target_archE906ELNS1_3gpuE6ELNS1_3repE0EEENS1_30default_config_static_selectorELNS0_4arch9wavefront6targetE1EEEvT1_.kd
    .uniform_work_group_size: 1
    .uses_dynamic_stack: false
    .vgpr_count:     0
    .vgpr_spill_count: 0
    .wavefront_size: 64
  - .agpr_count:     0
    .args:
      - .offset:         0
        .size:           48
        .value_kind:     by_value
    .group_segment_fixed_size: 0
    .kernarg_segment_align: 8
    .kernarg_segment_size: 48
    .language:       OpenCL C
    .language_version:
      - 2
      - 0
    .max_flat_workgroup_size: 256
    .name:           _ZN7rocprim17ROCPRIM_400000_NS6detail17trampoline_kernelINS0_14default_configENS1_20scan_config_selectorIdEEZZNS1_9scan_implILNS1_25lookback_scan_determinismE0ELb1ELb1ES3_N6thrust23THRUST_200600_302600_NS6detail15normal_iteratorINS9_10device_ptrIdEEEENS9_16discard_iteratorINS9_11use_defaultEEEd11max_functorIdEdEEDaPvRmT3_T4_T5_mT6_P12ihipStream_tbENKUlT_T0_E_clISt17integral_constantIbLb1EESW_IbLb0EEEEDaSS_ST_EUlSS_E0_NS1_11comp_targetILNS1_3genE10ELNS1_11target_archE1201ELNS1_3gpuE5ELNS1_3repE0EEENS1_30default_config_static_selectorELNS0_4arch9wavefront6targetE1EEEvT1_
    .private_segment_fixed_size: 0
    .sgpr_count:     4
    .sgpr_spill_count: 0
    .symbol:         _ZN7rocprim17ROCPRIM_400000_NS6detail17trampoline_kernelINS0_14default_configENS1_20scan_config_selectorIdEEZZNS1_9scan_implILNS1_25lookback_scan_determinismE0ELb1ELb1ES3_N6thrust23THRUST_200600_302600_NS6detail15normal_iteratorINS9_10device_ptrIdEEEENS9_16discard_iteratorINS9_11use_defaultEEEd11max_functorIdEdEEDaPvRmT3_T4_T5_mT6_P12ihipStream_tbENKUlT_T0_E_clISt17integral_constantIbLb1EESW_IbLb0EEEEDaSS_ST_EUlSS_E0_NS1_11comp_targetILNS1_3genE10ELNS1_11target_archE1201ELNS1_3gpuE5ELNS1_3repE0EEENS1_30default_config_static_selectorELNS0_4arch9wavefront6targetE1EEEvT1_.kd
    .uniform_work_group_size: 1
    .uses_dynamic_stack: false
    .vgpr_count:     0
    .vgpr_spill_count: 0
    .wavefront_size: 64
  - .agpr_count:     0
    .args:
      - .offset:         0
        .size:           48
        .value_kind:     by_value
    .group_segment_fixed_size: 0
    .kernarg_segment_align: 8
    .kernarg_segment_size: 48
    .language:       OpenCL C
    .language_version:
      - 2
      - 0
    .max_flat_workgroup_size: 256
    .name:           _ZN7rocprim17ROCPRIM_400000_NS6detail17trampoline_kernelINS0_14default_configENS1_20scan_config_selectorIdEEZZNS1_9scan_implILNS1_25lookback_scan_determinismE0ELb1ELb1ES3_N6thrust23THRUST_200600_302600_NS6detail15normal_iteratorINS9_10device_ptrIdEEEENS9_16discard_iteratorINS9_11use_defaultEEEd11max_functorIdEdEEDaPvRmT3_T4_T5_mT6_P12ihipStream_tbENKUlT_T0_E_clISt17integral_constantIbLb1EESW_IbLb0EEEEDaSS_ST_EUlSS_E0_NS1_11comp_targetILNS1_3genE10ELNS1_11target_archE1200ELNS1_3gpuE4ELNS1_3repE0EEENS1_30default_config_static_selectorELNS0_4arch9wavefront6targetE1EEEvT1_
    .private_segment_fixed_size: 0
    .sgpr_count:     4
    .sgpr_spill_count: 0
    .symbol:         _ZN7rocprim17ROCPRIM_400000_NS6detail17trampoline_kernelINS0_14default_configENS1_20scan_config_selectorIdEEZZNS1_9scan_implILNS1_25lookback_scan_determinismE0ELb1ELb1ES3_N6thrust23THRUST_200600_302600_NS6detail15normal_iteratorINS9_10device_ptrIdEEEENS9_16discard_iteratorINS9_11use_defaultEEEd11max_functorIdEdEEDaPvRmT3_T4_T5_mT6_P12ihipStream_tbENKUlT_T0_E_clISt17integral_constantIbLb1EESW_IbLb0EEEEDaSS_ST_EUlSS_E0_NS1_11comp_targetILNS1_3genE10ELNS1_11target_archE1200ELNS1_3gpuE4ELNS1_3repE0EEENS1_30default_config_static_selectorELNS0_4arch9wavefront6targetE1EEEvT1_.kd
    .uniform_work_group_size: 1
    .uses_dynamic_stack: false
    .vgpr_count:     0
    .vgpr_spill_count: 0
    .wavefront_size: 64
  - .agpr_count:     0
    .args:
      - .offset:         0
        .size:           48
        .value_kind:     by_value
    .group_segment_fixed_size: 0
    .kernarg_segment_align: 8
    .kernarg_segment_size: 48
    .language:       OpenCL C
    .language_version:
      - 2
      - 0
    .max_flat_workgroup_size: 256
    .name:           _ZN7rocprim17ROCPRIM_400000_NS6detail17trampoline_kernelINS0_14default_configENS1_20scan_config_selectorIdEEZZNS1_9scan_implILNS1_25lookback_scan_determinismE0ELb1ELb1ES3_N6thrust23THRUST_200600_302600_NS6detail15normal_iteratorINS9_10device_ptrIdEEEENS9_16discard_iteratorINS9_11use_defaultEEEd11max_functorIdEdEEDaPvRmT3_T4_T5_mT6_P12ihipStream_tbENKUlT_T0_E_clISt17integral_constantIbLb1EESW_IbLb0EEEEDaSS_ST_EUlSS_E0_NS1_11comp_targetILNS1_3genE9ELNS1_11target_archE1100ELNS1_3gpuE3ELNS1_3repE0EEENS1_30default_config_static_selectorELNS0_4arch9wavefront6targetE1EEEvT1_
    .private_segment_fixed_size: 0
    .sgpr_count:     4
    .sgpr_spill_count: 0
    .symbol:         _ZN7rocprim17ROCPRIM_400000_NS6detail17trampoline_kernelINS0_14default_configENS1_20scan_config_selectorIdEEZZNS1_9scan_implILNS1_25lookback_scan_determinismE0ELb1ELb1ES3_N6thrust23THRUST_200600_302600_NS6detail15normal_iteratorINS9_10device_ptrIdEEEENS9_16discard_iteratorINS9_11use_defaultEEEd11max_functorIdEdEEDaPvRmT3_T4_T5_mT6_P12ihipStream_tbENKUlT_T0_E_clISt17integral_constantIbLb1EESW_IbLb0EEEEDaSS_ST_EUlSS_E0_NS1_11comp_targetILNS1_3genE9ELNS1_11target_archE1100ELNS1_3gpuE3ELNS1_3repE0EEENS1_30default_config_static_selectorELNS0_4arch9wavefront6targetE1EEEvT1_.kd
    .uniform_work_group_size: 1
    .uses_dynamic_stack: false
    .vgpr_count:     0
    .vgpr_spill_count: 0
    .wavefront_size: 64
  - .agpr_count:     0
    .args:
      - .offset:         0
        .size:           48
        .value_kind:     by_value
    .group_segment_fixed_size: 0
    .kernarg_segment_align: 8
    .kernarg_segment_size: 48
    .language:       OpenCL C
    .language_version:
      - 2
      - 0
    .max_flat_workgroup_size: 128
    .name:           _ZN7rocprim17ROCPRIM_400000_NS6detail17trampoline_kernelINS0_14default_configENS1_20scan_config_selectorIdEEZZNS1_9scan_implILNS1_25lookback_scan_determinismE0ELb1ELb1ES3_N6thrust23THRUST_200600_302600_NS6detail15normal_iteratorINS9_10device_ptrIdEEEENS9_16discard_iteratorINS9_11use_defaultEEEd11max_functorIdEdEEDaPvRmT3_T4_T5_mT6_P12ihipStream_tbENKUlT_T0_E_clISt17integral_constantIbLb1EESW_IbLb0EEEEDaSS_ST_EUlSS_E0_NS1_11comp_targetILNS1_3genE8ELNS1_11target_archE1030ELNS1_3gpuE2ELNS1_3repE0EEENS1_30default_config_static_selectorELNS0_4arch9wavefront6targetE1EEEvT1_
    .private_segment_fixed_size: 0
    .sgpr_count:     4
    .sgpr_spill_count: 0
    .symbol:         _ZN7rocprim17ROCPRIM_400000_NS6detail17trampoline_kernelINS0_14default_configENS1_20scan_config_selectorIdEEZZNS1_9scan_implILNS1_25lookback_scan_determinismE0ELb1ELb1ES3_N6thrust23THRUST_200600_302600_NS6detail15normal_iteratorINS9_10device_ptrIdEEEENS9_16discard_iteratorINS9_11use_defaultEEEd11max_functorIdEdEEDaPvRmT3_T4_T5_mT6_P12ihipStream_tbENKUlT_T0_E_clISt17integral_constantIbLb1EESW_IbLb0EEEEDaSS_ST_EUlSS_E0_NS1_11comp_targetILNS1_3genE8ELNS1_11target_archE1030ELNS1_3gpuE2ELNS1_3repE0EEENS1_30default_config_static_selectorELNS0_4arch9wavefront6targetE1EEEvT1_.kd
    .uniform_work_group_size: 1
    .uses_dynamic_stack: false
    .vgpr_count:     0
    .vgpr_spill_count: 0
    .wavefront_size: 64
  - .agpr_count:     0
    .args:
      - .offset:         0
        .size:           112
        .value_kind:     by_value
    .group_segment_fixed_size: 0
    .kernarg_segment_align: 8
    .kernarg_segment_size: 112
    .language:       OpenCL C
    .language_version:
      - 2
      - 0
    .max_flat_workgroup_size: 256
    .name:           _ZN7rocprim17ROCPRIM_400000_NS6detail17trampoline_kernelINS0_14default_configENS1_20scan_config_selectorIdEEZZNS1_9scan_implILNS1_25lookback_scan_determinismE0ELb1ELb1ES3_N6thrust23THRUST_200600_302600_NS6detail15normal_iteratorINS9_10device_ptrIdEEEENS9_16discard_iteratorINS9_11use_defaultEEEd11max_functorIdEdEEDaPvRmT3_T4_T5_mT6_P12ihipStream_tbENKUlT_T0_E_clISt17integral_constantIbLb0EESW_IbLb1EEEEDaSS_ST_EUlSS_E_NS1_11comp_targetILNS1_3genE0ELNS1_11target_archE4294967295ELNS1_3gpuE0ELNS1_3repE0EEENS1_30default_config_static_selectorELNS0_4arch9wavefront6targetE1EEEvT1_
    .private_segment_fixed_size: 0
    .sgpr_count:     4
    .sgpr_spill_count: 0
    .symbol:         _ZN7rocprim17ROCPRIM_400000_NS6detail17trampoline_kernelINS0_14default_configENS1_20scan_config_selectorIdEEZZNS1_9scan_implILNS1_25lookback_scan_determinismE0ELb1ELb1ES3_N6thrust23THRUST_200600_302600_NS6detail15normal_iteratorINS9_10device_ptrIdEEEENS9_16discard_iteratorINS9_11use_defaultEEEd11max_functorIdEdEEDaPvRmT3_T4_T5_mT6_P12ihipStream_tbENKUlT_T0_E_clISt17integral_constantIbLb0EESW_IbLb1EEEEDaSS_ST_EUlSS_E_NS1_11comp_targetILNS1_3genE0ELNS1_11target_archE4294967295ELNS1_3gpuE0ELNS1_3repE0EEENS1_30default_config_static_selectorELNS0_4arch9wavefront6targetE1EEEvT1_.kd
    .uniform_work_group_size: 1
    .uses_dynamic_stack: false
    .vgpr_count:     0
    .vgpr_spill_count: 0
    .wavefront_size: 64
  - .agpr_count:     0
    .args:
      - .offset:         0
        .size:           112
        .value_kind:     by_value
    .group_segment_fixed_size: 0
    .kernarg_segment_align: 8
    .kernarg_segment_size: 112
    .language:       OpenCL C
    .language_version:
      - 2
      - 0
    .max_flat_workgroup_size: 256
    .name:           _ZN7rocprim17ROCPRIM_400000_NS6detail17trampoline_kernelINS0_14default_configENS1_20scan_config_selectorIdEEZZNS1_9scan_implILNS1_25lookback_scan_determinismE0ELb1ELb1ES3_N6thrust23THRUST_200600_302600_NS6detail15normal_iteratorINS9_10device_ptrIdEEEENS9_16discard_iteratorINS9_11use_defaultEEEd11max_functorIdEdEEDaPvRmT3_T4_T5_mT6_P12ihipStream_tbENKUlT_T0_E_clISt17integral_constantIbLb0EESW_IbLb1EEEEDaSS_ST_EUlSS_E_NS1_11comp_targetILNS1_3genE5ELNS1_11target_archE942ELNS1_3gpuE9ELNS1_3repE0EEENS1_30default_config_static_selectorELNS0_4arch9wavefront6targetE1EEEvT1_
    .private_segment_fixed_size: 0
    .sgpr_count:     4
    .sgpr_spill_count: 0
    .symbol:         _ZN7rocprim17ROCPRIM_400000_NS6detail17trampoline_kernelINS0_14default_configENS1_20scan_config_selectorIdEEZZNS1_9scan_implILNS1_25lookback_scan_determinismE0ELb1ELb1ES3_N6thrust23THRUST_200600_302600_NS6detail15normal_iteratorINS9_10device_ptrIdEEEENS9_16discard_iteratorINS9_11use_defaultEEEd11max_functorIdEdEEDaPvRmT3_T4_T5_mT6_P12ihipStream_tbENKUlT_T0_E_clISt17integral_constantIbLb0EESW_IbLb1EEEEDaSS_ST_EUlSS_E_NS1_11comp_targetILNS1_3genE5ELNS1_11target_archE942ELNS1_3gpuE9ELNS1_3repE0EEENS1_30default_config_static_selectorELNS0_4arch9wavefront6targetE1EEEvT1_.kd
    .uniform_work_group_size: 1
    .uses_dynamic_stack: false
    .vgpr_count:     0
    .vgpr_spill_count: 0
    .wavefront_size: 64
  - .agpr_count:     0
    .args:
      - .offset:         0
        .size:           112
        .value_kind:     by_value
    .group_segment_fixed_size: 10240
    .kernarg_segment_align: 8
    .kernarg_segment_size: 112
    .language:       OpenCL C
    .language_version:
      - 2
      - 0
    .max_flat_workgroup_size: 128
    .name:           _ZN7rocprim17ROCPRIM_400000_NS6detail17trampoline_kernelINS0_14default_configENS1_20scan_config_selectorIdEEZZNS1_9scan_implILNS1_25lookback_scan_determinismE0ELb1ELb1ES3_N6thrust23THRUST_200600_302600_NS6detail15normal_iteratorINS9_10device_ptrIdEEEENS9_16discard_iteratorINS9_11use_defaultEEEd11max_functorIdEdEEDaPvRmT3_T4_T5_mT6_P12ihipStream_tbENKUlT_T0_E_clISt17integral_constantIbLb0EESW_IbLb1EEEEDaSS_ST_EUlSS_E_NS1_11comp_targetILNS1_3genE4ELNS1_11target_archE910ELNS1_3gpuE8ELNS1_3repE0EEENS1_30default_config_static_selectorELNS0_4arch9wavefront6targetE1EEEvT1_
    .private_segment_fixed_size: 0
    .sgpr_count:     36
    .sgpr_spill_count: 0
    .symbol:         _ZN7rocprim17ROCPRIM_400000_NS6detail17trampoline_kernelINS0_14default_configENS1_20scan_config_selectorIdEEZZNS1_9scan_implILNS1_25lookback_scan_determinismE0ELb1ELb1ES3_N6thrust23THRUST_200600_302600_NS6detail15normal_iteratorINS9_10device_ptrIdEEEENS9_16discard_iteratorINS9_11use_defaultEEEd11max_functorIdEdEEDaPvRmT3_T4_T5_mT6_P12ihipStream_tbENKUlT_T0_E_clISt17integral_constantIbLb0EESW_IbLb1EEEEDaSS_ST_EUlSS_E_NS1_11comp_targetILNS1_3genE4ELNS1_11target_archE910ELNS1_3gpuE8ELNS1_3repE0EEENS1_30default_config_static_selectorELNS0_4arch9wavefront6targetE1EEEvT1_.kd
    .uniform_work_group_size: 1
    .uses_dynamic_stack: false
    .vgpr_count:     58
    .vgpr_spill_count: 0
    .wavefront_size: 64
  - .agpr_count:     0
    .args:
      - .offset:         0
        .size:           112
        .value_kind:     by_value
    .group_segment_fixed_size: 0
    .kernarg_segment_align: 8
    .kernarg_segment_size: 112
    .language:       OpenCL C
    .language_version:
      - 2
      - 0
    .max_flat_workgroup_size: 256
    .name:           _ZN7rocprim17ROCPRIM_400000_NS6detail17trampoline_kernelINS0_14default_configENS1_20scan_config_selectorIdEEZZNS1_9scan_implILNS1_25lookback_scan_determinismE0ELb1ELb1ES3_N6thrust23THRUST_200600_302600_NS6detail15normal_iteratorINS9_10device_ptrIdEEEENS9_16discard_iteratorINS9_11use_defaultEEEd11max_functorIdEdEEDaPvRmT3_T4_T5_mT6_P12ihipStream_tbENKUlT_T0_E_clISt17integral_constantIbLb0EESW_IbLb1EEEEDaSS_ST_EUlSS_E_NS1_11comp_targetILNS1_3genE3ELNS1_11target_archE908ELNS1_3gpuE7ELNS1_3repE0EEENS1_30default_config_static_selectorELNS0_4arch9wavefront6targetE1EEEvT1_
    .private_segment_fixed_size: 0
    .sgpr_count:     4
    .sgpr_spill_count: 0
    .symbol:         _ZN7rocprim17ROCPRIM_400000_NS6detail17trampoline_kernelINS0_14default_configENS1_20scan_config_selectorIdEEZZNS1_9scan_implILNS1_25lookback_scan_determinismE0ELb1ELb1ES3_N6thrust23THRUST_200600_302600_NS6detail15normal_iteratorINS9_10device_ptrIdEEEENS9_16discard_iteratorINS9_11use_defaultEEEd11max_functorIdEdEEDaPvRmT3_T4_T5_mT6_P12ihipStream_tbENKUlT_T0_E_clISt17integral_constantIbLb0EESW_IbLb1EEEEDaSS_ST_EUlSS_E_NS1_11comp_targetILNS1_3genE3ELNS1_11target_archE908ELNS1_3gpuE7ELNS1_3repE0EEENS1_30default_config_static_selectorELNS0_4arch9wavefront6targetE1EEEvT1_.kd
    .uniform_work_group_size: 1
    .uses_dynamic_stack: false
    .vgpr_count:     0
    .vgpr_spill_count: 0
    .wavefront_size: 64
  - .agpr_count:     0
    .args:
      - .offset:         0
        .size:           112
        .value_kind:     by_value
    .group_segment_fixed_size: 0
    .kernarg_segment_align: 8
    .kernarg_segment_size: 112
    .language:       OpenCL C
    .language_version:
      - 2
      - 0
    .max_flat_workgroup_size: 128
    .name:           _ZN7rocprim17ROCPRIM_400000_NS6detail17trampoline_kernelINS0_14default_configENS1_20scan_config_selectorIdEEZZNS1_9scan_implILNS1_25lookback_scan_determinismE0ELb1ELb1ES3_N6thrust23THRUST_200600_302600_NS6detail15normal_iteratorINS9_10device_ptrIdEEEENS9_16discard_iteratorINS9_11use_defaultEEEd11max_functorIdEdEEDaPvRmT3_T4_T5_mT6_P12ihipStream_tbENKUlT_T0_E_clISt17integral_constantIbLb0EESW_IbLb1EEEEDaSS_ST_EUlSS_E_NS1_11comp_targetILNS1_3genE2ELNS1_11target_archE906ELNS1_3gpuE6ELNS1_3repE0EEENS1_30default_config_static_selectorELNS0_4arch9wavefront6targetE1EEEvT1_
    .private_segment_fixed_size: 0
    .sgpr_count:     4
    .sgpr_spill_count: 0
    .symbol:         _ZN7rocprim17ROCPRIM_400000_NS6detail17trampoline_kernelINS0_14default_configENS1_20scan_config_selectorIdEEZZNS1_9scan_implILNS1_25lookback_scan_determinismE0ELb1ELb1ES3_N6thrust23THRUST_200600_302600_NS6detail15normal_iteratorINS9_10device_ptrIdEEEENS9_16discard_iteratorINS9_11use_defaultEEEd11max_functorIdEdEEDaPvRmT3_T4_T5_mT6_P12ihipStream_tbENKUlT_T0_E_clISt17integral_constantIbLb0EESW_IbLb1EEEEDaSS_ST_EUlSS_E_NS1_11comp_targetILNS1_3genE2ELNS1_11target_archE906ELNS1_3gpuE6ELNS1_3repE0EEENS1_30default_config_static_selectorELNS0_4arch9wavefront6targetE1EEEvT1_.kd
    .uniform_work_group_size: 1
    .uses_dynamic_stack: false
    .vgpr_count:     0
    .vgpr_spill_count: 0
    .wavefront_size: 64
  - .agpr_count:     0
    .args:
      - .offset:         0
        .size:           112
        .value_kind:     by_value
    .group_segment_fixed_size: 0
    .kernarg_segment_align: 8
    .kernarg_segment_size: 112
    .language:       OpenCL C
    .language_version:
      - 2
      - 0
    .max_flat_workgroup_size: 256
    .name:           _ZN7rocprim17ROCPRIM_400000_NS6detail17trampoline_kernelINS0_14default_configENS1_20scan_config_selectorIdEEZZNS1_9scan_implILNS1_25lookback_scan_determinismE0ELb1ELb1ES3_N6thrust23THRUST_200600_302600_NS6detail15normal_iteratorINS9_10device_ptrIdEEEENS9_16discard_iteratorINS9_11use_defaultEEEd11max_functorIdEdEEDaPvRmT3_T4_T5_mT6_P12ihipStream_tbENKUlT_T0_E_clISt17integral_constantIbLb0EESW_IbLb1EEEEDaSS_ST_EUlSS_E_NS1_11comp_targetILNS1_3genE10ELNS1_11target_archE1201ELNS1_3gpuE5ELNS1_3repE0EEENS1_30default_config_static_selectorELNS0_4arch9wavefront6targetE1EEEvT1_
    .private_segment_fixed_size: 0
    .sgpr_count:     4
    .sgpr_spill_count: 0
    .symbol:         _ZN7rocprim17ROCPRIM_400000_NS6detail17trampoline_kernelINS0_14default_configENS1_20scan_config_selectorIdEEZZNS1_9scan_implILNS1_25lookback_scan_determinismE0ELb1ELb1ES3_N6thrust23THRUST_200600_302600_NS6detail15normal_iteratorINS9_10device_ptrIdEEEENS9_16discard_iteratorINS9_11use_defaultEEEd11max_functorIdEdEEDaPvRmT3_T4_T5_mT6_P12ihipStream_tbENKUlT_T0_E_clISt17integral_constantIbLb0EESW_IbLb1EEEEDaSS_ST_EUlSS_E_NS1_11comp_targetILNS1_3genE10ELNS1_11target_archE1201ELNS1_3gpuE5ELNS1_3repE0EEENS1_30default_config_static_selectorELNS0_4arch9wavefront6targetE1EEEvT1_.kd
    .uniform_work_group_size: 1
    .uses_dynamic_stack: false
    .vgpr_count:     0
    .vgpr_spill_count: 0
    .wavefront_size: 64
  - .agpr_count:     0
    .args:
      - .offset:         0
        .size:           112
        .value_kind:     by_value
    .group_segment_fixed_size: 0
    .kernarg_segment_align: 8
    .kernarg_segment_size: 112
    .language:       OpenCL C
    .language_version:
      - 2
      - 0
    .max_flat_workgroup_size: 256
    .name:           _ZN7rocprim17ROCPRIM_400000_NS6detail17trampoline_kernelINS0_14default_configENS1_20scan_config_selectorIdEEZZNS1_9scan_implILNS1_25lookback_scan_determinismE0ELb1ELb1ES3_N6thrust23THRUST_200600_302600_NS6detail15normal_iteratorINS9_10device_ptrIdEEEENS9_16discard_iteratorINS9_11use_defaultEEEd11max_functorIdEdEEDaPvRmT3_T4_T5_mT6_P12ihipStream_tbENKUlT_T0_E_clISt17integral_constantIbLb0EESW_IbLb1EEEEDaSS_ST_EUlSS_E_NS1_11comp_targetILNS1_3genE10ELNS1_11target_archE1200ELNS1_3gpuE4ELNS1_3repE0EEENS1_30default_config_static_selectorELNS0_4arch9wavefront6targetE1EEEvT1_
    .private_segment_fixed_size: 0
    .sgpr_count:     4
    .sgpr_spill_count: 0
    .symbol:         _ZN7rocprim17ROCPRIM_400000_NS6detail17trampoline_kernelINS0_14default_configENS1_20scan_config_selectorIdEEZZNS1_9scan_implILNS1_25lookback_scan_determinismE0ELb1ELb1ES3_N6thrust23THRUST_200600_302600_NS6detail15normal_iteratorINS9_10device_ptrIdEEEENS9_16discard_iteratorINS9_11use_defaultEEEd11max_functorIdEdEEDaPvRmT3_T4_T5_mT6_P12ihipStream_tbENKUlT_T0_E_clISt17integral_constantIbLb0EESW_IbLb1EEEEDaSS_ST_EUlSS_E_NS1_11comp_targetILNS1_3genE10ELNS1_11target_archE1200ELNS1_3gpuE4ELNS1_3repE0EEENS1_30default_config_static_selectorELNS0_4arch9wavefront6targetE1EEEvT1_.kd
    .uniform_work_group_size: 1
    .uses_dynamic_stack: false
    .vgpr_count:     0
    .vgpr_spill_count: 0
    .wavefront_size: 64
  - .agpr_count:     0
    .args:
      - .offset:         0
        .size:           112
        .value_kind:     by_value
    .group_segment_fixed_size: 0
    .kernarg_segment_align: 8
    .kernarg_segment_size: 112
    .language:       OpenCL C
    .language_version:
      - 2
      - 0
    .max_flat_workgroup_size: 256
    .name:           _ZN7rocprim17ROCPRIM_400000_NS6detail17trampoline_kernelINS0_14default_configENS1_20scan_config_selectorIdEEZZNS1_9scan_implILNS1_25lookback_scan_determinismE0ELb1ELb1ES3_N6thrust23THRUST_200600_302600_NS6detail15normal_iteratorINS9_10device_ptrIdEEEENS9_16discard_iteratorINS9_11use_defaultEEEd11max_functorIdEdEEDaPvRmT3_T4_T5_mT6_P12ihipStream_tbENKUlT_T0_E_clISt17integral_constantIbLb0EESW_IbLb1EEEEDaSS_ST_EUlSS_E_NS1_11comp_targetILNS1_3genE9ELNS1_11target_archE1100ELNS1_3gpuE3ELNS1_3repE0EEENS1_30default_config_static_selectorELNS0_4arch9wavefront6targetE1EEEvT1_
    .private_segment_fixed_size: 0
    .sgpr_count:     4
    .sgpr_spill_count: 0
    .symbol:         _ZN7rocprim17ROCPRIM_400000_NS6detail17trampoline_kernelINS0_14default_configENS1_20scan_config_selectorIdEEZZNS1_9scan_implILNS1_25lookback_scan_determinismE0ELb1ELb1ES3_N6thrust23THRUST_200600_302600_NS6detail15normal_iteratorINS9_10device_ptrIdEEEENS9_16discard_iteratorINS9_11use_defaultEEEd11max_functorIdEdEEDaPvRmT3_T4_T5_mT6_P12ihipStream_tbENKUlT_T0_E_clISt17integral_constantIbLb0EESW_IbLb1EEEEDaSS_ST_EUlSS_E_NS1_11comp_targetILNS1_3genE9ELNS1_11target_archE1100ELNS1_3gpuE3ELNS1_3repE0EEENS1_30default_config_static_selectorELNS0_4arch9wavefront6targetE1EEEvT1_.kd
    .uniform_work_group_size: 1
    .uses_dynamic_stack: false
    .vgpr_count:     0
    .vgpr_spill_count: 0
    .wavefront_size: 64
  - .agpr_count:     0
    .args:
      - .offset:         0
        .size:           112
        .value_kind:     by_value
    .group_segment_fixed_size: 0
    .kernarg_segment_align: 8
    .kernarg_segment_size: 112
    .language:       OpenCL C
    .language_version:
      - 2
      - 0
    .max_flat_workgroup_size: 128
    .name:           _ZN7rocprim17ROCPRIM_400000_NS6detail17trampoline_kernelINS0_14default_configENS1_20scan_config_selectorIdEEZZNS1_9scan_implILNS1_25lookback_scan_determinismE0ELb1ELb1ES3_N6thrust23THRUST_200600_302600_NS6detail15normal_iteratorINS9_10device_ptrIdEEEENS9_16discard_iteratorINS9_11use_defaultEEEd11max_functorIdEdEEDaPvRmT3_T4_T5_mT6_P12ihipStream_tbENKUlT_T0_E_clISt17integral_constantIbLb0EESW_IbLb1EEEEDaSS_ST_EUlSS_E_NS1_11comp_targetILNS1_3genE8ELNS1_11target_archE1030ELNS1_3gpuE2ELNS1_3repE0EEENS1_30default_config_static_selectorELNS0_4arch9wavefront6targetE1EEEvT1_
    .private_segment_fixed_size: 0
    .sgpr_count:     4
    .sgpr_spill_count: 0
    .symbol:         _ZN7rocprim17ROCPRIM_400000_NS6detail17trampoline_kernelINS0_14default_configENS1_20scan_config_selectorIdEEZZNS1_9scan_implILNS1_25lookback_scan_determinismE0ELb1ELb1ES3_N6thrust23THRUST_200600_302600_NS6detail15normal_iteratorINS9_10device_ptrIdEEEENS9_16discard_iteratorINS9_11use_defaultEEEd11max_functorIdEdEEDaPvRmT3_T4_T5_mT6_P12ihipStream_tbENKUlT_T0_E_clISt17integral_constantIbLb0EESW_IbLb1EEEEDaSS_ST_EUlSS_E_NS1_11comp_targetILNS1_3genE8ELNS1_11target_archE1030ELNS1_3gpuE2ELNS1_3repE0EEENS1_30default_config_static_selectorELNS0_4arch9wavefront6targetE1EEEvT1_.kd
    .uniform_work_group_size: 1
    .uses_dynamic_stack: false
    .vgpr_count:     0
    .vgpr_spill_count: 0
    .wavefront_size: 64
  - .agpr_count:     0
    .args:
      - .offset:         0
        .size:           48
        .value_kind:     by_value
    .group_segment_fixed_size: 0
    .kernarg_segment_align: 8
    .kernarg_segment_size: 48
    .language:       OpenCL C
    .language_version:
      - 2
      - 0
    .max_flat_workgroup_size: 256
    .name:           _ZN7rocprim17ROCPRIM_400000_NS6detail17trampoline_kernelINS0_14default_configENS1_20scan_config_selectorIdEEZZNS1_9scan_implILNS1_25lookback_scan_determinismE0ELb1ELb1ES3_N6thrust23THRUST_200600_302600_NS6detail15normal_iteratorINS9_10device_ptrIdEEEENS9_16discard_iteratorINS9_11use_defaultEEEd11max_functorIdEdEEDaPvRmT3_T4_T5_mT6_P12ihipStream_tbENKUlT_T0_E_clISt17integral_constantIbLb0EESW_IbLb1EEEEDaSS_ST_EUlSS_E0_NS1_11comp_targetILNS1_3genE0ELNS1_11target_archE4294967295ELNS1_3gpuE0ELNS1_3repE0EEENS1_30default_config_static_selectorELNS0_4arch9wavefront6targetE1EEEvT1_
    .private_segment_fixed_size: 0
    .sgpr_count:     4
    .sgpr_spill_count: 0
    .symbol:         _ZN7rocprim17ROCPRIM_400000_NS6detail17trampoline_kernelINS0_14default_configENS1_20scan_config_selectorIdEEZZNS1_9scan_implILNS1_25lookback_scan_determinismE0ELb1ELb1ES3_N6thrust23THRUST_200600_302600_NS6detail15normal_iteratorINS9_10device_ptrIdEEEENS9_16discard_iteratorINS9_11use_defaultEEEd11max_functorIdEdEEDaPvRmT3_T4_T5_mT6_P12ihipStream_tbENKUlT_T0_E_clISt17integral_constantIbLb0EESW_IbLb1EEEEDaSS_ST_EUlSS_E0_NS1_11comp_targetILNS1_3genE0ELNS1_11target_archE4294967295ELNS1_3gpuE0ELNS1_3repE0EEENS1_30default_config_static_selectorELNS0_4arch9wavefront6targetE1EEEvT1_.kd
    .uniform_work_group_size: 1
    .uses_dynamic_stack: false
    .vgpr_count:     0
    .vgpr_spill_count: 0
    .wavefront_size: 64
  - .agpr_count:     0
    .args:
      - .offset:         0
        .size:           48
        .value_kind:     by_value
    .group_segment_fixed_size: 0
    .kernarg_segment_align: 8
    .kernarg_segment_size: 48
    .language:       OpenCL C
    .language_version:
      - 2
      - 0
    .max_flat_workgroup_size: 256
    .name:           _ZN7rocprim17ROCPRIM_400000_NS6detail17trampoline_kernelINS0_14default_configENS1_20scan_config_selectorIdEEZZNS1_9scan_implILNS1_25lookback_scan_determinismE0ELb1ELb1ES3_N6thrust23THRUST_200600_302600_NS6detail15normal_iteratorINS9_10device_ptrIdEEEENS9_16discard_iteratorINS9_11use_defaultEEEd11max_functorIdEdEEDaPvRmT3_T4_T5_mT6_P12ihipStream_tbENKUlT_T0_E_clISt17integral_constantIbLb0EESW_IbLb1EEEEDaSS_ST_EUlSS_E0_NS1_11comp_targetILNS1_3genE5ELNS1_11target_archE942ELNS1_3gpuE9ELNS1_3repE0EEENS1_30default_config_static_selectorELNS0_4arch9wavefront6targetE1EEEvT1_
    .private_segment_fixed_size: 0
    .sgpr_count:     4
    .sgpr_spill_count: 0
    .symbol:         _ZN7rocprim17ROCPRIM_400000_NS6detail17trampoline_kernelINS0_14default_configENS1_20scan_config_selectorIdEEZZNS1_9scan_implILNS1_25lookback_scan_determinismE0ELb1ELb1ES3_N6thrust23THRUST_200600_302600_NS6detail15normal_iteratorINS9_10device_ptrIdEEEENS9_16discard_iteratorINS9_11use_defaultEEEd11max_functorIdEdEEDaPvRmT3_T4_T5_mT6_P12ihipStream_tbENKUlT_T0_E_clISt17integral_constantIbLb0EESW_IbLb1EEEEDaSS_ST_EUlSS_E0_NS1_11comp_targetILNS1_3genE5ELNS1_11target_archE942ELNS1_3gpuE9ELNS1_3repE0EEENS1_30default_config_static_selectorELNS0_4arch9wavefront6targetE1EEEvT1_.kd
    .uniform_work_group_size: 1
    .uses_dynamic_stack: false
    .vgpr_count:     0
    .vgpr_spill_count: 0
    .wavefront_size: 64
  - .agpr_count:     0
    .args:
      - .offset:         0
        .size:           48
        .value_kind:     by_value
    .group_segment_fixed_size: 10240
    .kernarg_segment_align: 8
    .kernarg_segment_size: 48
    .language:       OpenCL C
    .language_version:
      - 2
      - 0
    .max_flat_workgroup_size: 128
    .name:           _ZN7rocprim17ROCPRIM_400000_NS6detail17trampoline_kernelINS0_14default_configENS1_20scan_config_selectorIdEEZZNS1_9scan_implILNS1_25lookback_scan_determinismE0ELb1ELb1ES3_N6thrust23THRUST_200600_302600_NS6detail15normal_iteratorINS9_10device_ptrIdEEEENS9_16discard_iteratorINS9_11use_defaultEEEd11max_functorIdEdEEDaPvRmT3_T4_T5_mT6_P12ihipStream_tbENKUlT_T0_E_clISt17integral_constantIbLb0EESW_IbLb1EEEEDaSS_ST_EUlSS_E0_NS1_11comp_targetILNS1_3genE4ELNS1_11target_archE910ELNS1_3gpuE8ELNS1_3repE0EEENS1_30default_config_static_selectorELNS0_4arch9wavefront6targetE1EEEvT1_
    .private_segment_fixed_size: 0
    .sgpr_count:     14
    .sgpr_spill_count: 0
    .symbol:         _ZN7rocprim17ROCPRIM_400000_NS6detail17trampoline_kernelINS0_14default_configENS1_20scan_config_selectorIdEEZZNS1_9scan_implILNS1_25lookback_scan_determinismE0ELb1ELb1ES3_N6thrust23THRUST_200600_302600_NS6detail15normal_iteratorINS9_10device_ptrIdEEEENS9_16discard_iteratorINS9_11use_defaultEEEd11max_functorIdEdEEDaPvRmT3_T4_T5_mT6_P12ihipStream_tbENKUlT_T0_E_clISt17integral_constantIbLb0EESW_IbLb1EEEEDaSS_ST_EUlSS_E0_NS1_11comp_targetILNS1_3genE4ELNS1_11target_archE910ELNS1_3gpuE8ELNS1_3repE0EEENS1_30default_config_static_selectorELNS0_4arch9wavefront6targetE1EEEvT1_.kd
    .uniform_work_group_size: 1
    .uses_dynamic_stack: false
    .vgpr_count:     31
    .vgpr_spill_count: 0
    .wavefront_size: 64
  - .agpr_count:     0
    .args:
      - .offset:         0
        .size:           48
        .value_kind:     by_value
    .group_segment_fixed_size: 0
    .kernarg_segment_align: 8
    .kernarg_segment_size: 48
    .language:       OpenCL C
    .language_version:
      - 2
      - 0
    .max_flat_workgroup_size: 256
    .name:           _ZN7rocprim17ROCPRIM_400000_NS6detail17trampoline_kernelINS0_14default_configENS1_20scan_config_selectorIdEEZZNS1_9scan_implILNS1_25lookback_scan_determinismE0ELb1ELb1ES3_N6thrust23THRUST_200600_302600_NS6detail15normal_iteratorINS9_10device_ptrIdEEEENS9_16discard_iteratorINS9_11use_defaultEEEd11max_functorIdEdEEDaPvRmT3_T4_T5_mT6_P12ihipStream_tbENKUlT_T0_E_clISt17integral_constantIbLb0EESW_IbLb1EEEEDaSS_ST_EUlSS_E0_NS1_11comp_targetILNS1_3genE3ELNS1_11target_archE908ELNS1_3gpuE7ELNS1_3repE0EEENS1_30default_config_static_selectorELNS0_4arch9wavefront6targetE1EEEvT1_
    .private_segment_fixed_size: 0
    .sgpr_count:     4
    .sgpr_spill_count: 0
    .symbol:         _ZN7rocprim17ROCPRIM_400000_NS6detail17trampoline_kernelINS0_14default_configENS1_20scan_config_selectorIdEEZZNS1_9scan_implILNS1_25lookback_scan_determinismE0ELb1ELb1ES3_N6thrust23THRUST_200600_302600_NS6detail15normal_iteratorINS9_10device_ptrIdEEEENS9_16discard_iteratorINS9_11use_defaultEEEd11max_functorIdEdEEDaPvRmT3_T4_T5_mT6_P12ihipStream_tbENKUlT_T0_E_clISt17integral_constantIbLb0EESW_IbLb1EEEEDaSS_ST_EUlSS_E0_NS1_11comp_targetILNS1_3genE3ELNS1_11target_archE908ELNS1_3gpuE7ELNS1_3repE0EEENS1_30default_config_static_selectorELNS0_4arch9wavefront6targetE1EEEvT1_.kd
    .uniform_work_group_size: 1
    .uses_dynamic_stack: false
    .vgpr_count:     0
    .vgpr_spill_count: 0
    .wavefront_size: 64
  - .agpr_count:     0
    .args:
      - .offset:         0
        .size:           48
        .value_kind:     by_value
    .group_segment_fixed_size: 0
    .kernarg_segment_align: 8
    .kernarg_segment_size: 48
    .language:       OpenCL C
    .language_version:
      - 2
      - 0
    .max_flat_workgroup_size: 128
    .name:           _ZN7rocprim17ROCPRIM_400000_NS6detail17trampoline_kernelINS0_14default_configENS1_20scan_config_selectorIdEEZZNS1_9scan_implILNS1_25lookback_scan_determinismE0ELb1ELb1ES3_N6thrust23THRUST_200600_302600_NS6detail15normal_iteratorINS9_10device_ptrIdEEEENS9_16discard_iteratorINS9_11use_defaultEEEd11max_functorIdEdEEDaPvRmT3_T4_T5_mT6_P12ihipStream_tbENKUlT_T0_E_clISt17integral_constantIbLb0EESW_IbLb1EEEEDaSS_ST_EUlSS_E0_NS1_11comp_targetILNS1_3genE2ELNS1_11target_archE906ELNS1_3gpuE6ELNS1_3repE0EEENS1_30default_config_static_selectorELNS0_4arch9wavefront6targetE1EEEvT1_
    .private_segment_fixed_size: 0
    .sgpr_count:     4
    .sgpr_spill_count: 0
    .symbol:         _ZN7rocprim17ROCPRIM_400000_NS6detail17trampoline_kernelINS0_14default_configENS1_20scan_config_selectorIdEEZZNS1_9scan_implILNS1_25lookback_scan_determinismE0ELb1ELb1ES3_N6thrust23THRUST_200600_302600_NS6detail15normal_iteratorINS9_10device_ptrIdEEEENS9_16discard_iteratorINS9_11use_defaultEEEd11max_functorIdEdEEDaPvRmT3_T4_T5_mT6_P12ihipStream_tbENKUlT_T0_E_clISt17integral_constantIbLb0EESW_IbLb1EEEEDaSS_ST_EUlSS_E0_NS1_11comp_targetILNS1_3genE2ELNS1_11target_archE906ELNS1_3gpuE6ELNS1_3repE0EEENS1_30default_config_static_selectorELNS0_4arch9wavefront6targetE1EEEvT1_.kd
    .uniform_work_group_size: 1
    .uses_dynamic_stack: false
    .vgpr_count:     0
    .vgpr_spill_count: 0
    .wavefront_size: 64
  - .agpr_count:     0
    .args:
      - .offset:         0
        .size:           48
        .value_kind:     by_value
    .group_segment_fixed_size: 0
    .kernarg_segment_align: 8
    .kernarg_segment_size: 48
    .language:       OpenCL C
    .language_version:
      - 2
      - 0
    .max_flat_workgroup_size: 256
    .name:           _ZN7rocprim17ROCPRIM_400000_NS6detail17trampoline_kernelINS0_14default_configENS1_20scan_config_selectorIdEEZZNS1_9scan_implILNS1_25lookback_scan_determinismE0ELb1ELb1ES3_N6thrust23THRUST_200600_302600_NS6detail15normal_iteratorINS9_10device_ptrIdEEEENS9_16discard_iteratorINS9_11use_defaultEEEd11max_functorIdEdEEDaPvRmT3_T4_T5_mT6_P12ihipStream_tbENKUlT_T0_E_clISt17integral_constantIbLb0EESW_IbLb1EEEEDaSS_ST_EUlSS_E0_NS1_11comp_targetILNS1_3genE10ELNS1_11target_archE1201ELNS1_3gpuE5ELNS1_3repE0EEENS1_30default_config_static_selectorELNS0_4arch9wavefront6targetE1EEEvT1_
    .private_segment_fixed_size: 0
    .sgpr_count:     4
    .sgpr_spill_count: 0
    .symbol:         _ZN7rocprim17ROCPRIM_400000_NS6detail17trampoline_kernelINS0_14default_configENS1_20scan_config_selectorIdEEZZNS1_9scan_implILNS1_25lookback_scan_determinismE0ELb1ELb1ES3_N6thrust23THRUST_200600_302600_NS6detail15normal_iteratorINS9_10device_ptrIdEEEENS9_16discard_iteratorINS9_11use_defaultEEEd11max_functorIdEdEEDaPvRmT3_T4_T5_mT6_P12ihipStream_tbENKUlT_T0_E_clISt17integral_constantIbLb0EESW_IbLb1EEEEDaSS_ST_EUlSS_E0_NS1_11comp_targetILNS1_3genE10ELNS1_11target_archE1201ELNS1_3gpuE5ELNS1_3repE0EEENS1_30default_config_static_selectorELNS0_4arch9wavefront6targetE1EEEvT1_.kd
    .uniform_work_group_size: 1
    .uses_dynamic_stack: false
    .vgpr_count:     0
    .vgpr_spill_count: 0
    .wavefront_size: 64
  - .agpr_count:     0
    .args:
      - .offset:         0
        .size:           48
        .value_kind:     by_value
    .group_segment_fixed_size: 0
    .kernarg_segment_align: 8
    .kernarg_segment_size: 48
    .language:       OpenCL C
    .language_version:
      - 2
      - 0
    .max_flat_workgroup_size: 256
    .name:           _ZN7rocprim17ROCPRIM_400000_NS6detail17trampoline_kernelINS0_14default_configENS1_20scan_config_selectorIdEEZZNS1_9scan_implILNS1_25lookback_scan_determinismE0ELb1ELb1ES3_N6thrust23THRUST_200600_302600_NS6detail15normal_iteratorINS9_10device_ptrIdEEEENS9_16discard_iteratorINS9_11use_defaultEEEd11max_functorIdEdEEDaPvRmT3_T4_T5_mT6_P12ihipStream_tbENKUlT_T0_E_clISt17integral_constantIbLb0EESW_IbLb1EEEEDaSS_ST_EUlSS_E0_NS1_11comp_targetILNS1_3genE10ELNS1_11target_archE1200ELNS1_3gpuE4ELNS1_3repE0EEENS1_30default_config_static_selectorELNS0_4arch9wavefront6targetE1EEEvT1_
    .private_segment_fixed_size: 0
    .sgpr_count:     4
    .sgpr_spill_count: 0
    .symbol:         _ZN7rocprim17ROCPRIM_400000_NS6detail17trampoline_kernelINS0_14default_configENS1_20scan_config_selectorIdEEZZNS1_9scan_implILNS1_25lookback_scan_determinismE0ELb1ELb1ES3_N6thrust23THRUST_200600_302600_NS6detail15normal_iteratorINS9_10device_ptrIdEEEENS9_16discard_iteratorINS9_11use_defaultEEEd11max_functorIdEdEEDaPvRmT3_T4_T5_mT6_P12ihipStream_tbENKUlT_T0_E_clISt17integral_constantIbLb0EESW_IbLb1EEEEDaSS_ST_EUlSS_E0_NS1_11comp_targetILNS1_3genE10ELNS1_11target_archE1200ELNS1_3gpuE4ELNS1_3repE0EEENS1_30default_config_static_selectorELNS0_4arch9wavefront6targetE1EEEvT1_.kd
    .uniform_work_group_size: 1
    .uses_dynamic_stack: false
    .vgpr_count:     0
    .vgpr_spill_count: 0
    .wavefront_size: 64
  - .agpr_count:     0
    .args:
      - .offset:         0
        .size:           48
        .value_kind:     by_value
    .group_segment_fixed_size: 0
    .kernarg_segment_align: 8
    .kernarg_segment_size: 48
    .language:       OpenCL C
    .language_version:
      - 2
      - 0
    .max_flat_workgroup_size: 256
    .name:           _ZN7rocprim17ROCPRIM_400000_NS6detail17trampoline_kernelINS0_14default_configENS1_20scan_config_selectorIdEEZZNS1_9scan_implILNS1_25lookback_scan_determinismE0ELb1ELb1ES3_N6thrust23THRUST_200600_302600_NS6detail15normal_iteratorINS9_10device_ptrIdEEEENS9_16discard_iteratorINS9_11use_defaultEEEd11max_functorIdEdEEDaPvRmT3_T4_T5_mT6_P12ihipStream_tbENKUlT_T0_E_clISt17integral_constantIbLb0EESW_IbLb1EEEEDaSS_ST_EUlSS_E0_NS1_11comp_targetILNS1_3genE9ELNS1_11target_archE1100ELNS1_3gpuE3ELNS1_3repE0EEENS1_30default_config_static_selectorELNS0_4arch9wavefront6targetE1EEEvT1_
    .private_segment_fixed_size: 0
    .sgpr_count:     4
    .sgpr_spill_count: 0
    .symbol:         _ZN7rocprim17ROCPRIM_400000_NS6detail17trampoline_kernelINS0_14default_configENS1_20scan_config_selectorIdEEZZNS1_9scan_implILNS1_25lookback_scan_determinismE0ELb1ELb1ES3_N6thrust23THRUST_200600_302600_NS6detail15normal_iteratorINS9_10device_ptrIdEEEENS9_16discard_iteratorINS9_11use_defaultEEEd11max_functorIdEdEEDaPvRmT3_T4_T5_mT6_P12ihipStream_tbENKUlT_T0_E_clISt17integral_constantIbLb0EESW_IbLb1EEEEDaSS_ST_EUlSS_E0_NS1_11comp_targetILNS1_3genE9ELNS1_11target_archE1100ELNS1_3gpuE3ELNS1_3repE0EEENS1_30default_config_static_selectorELNS0_4arch9wavefront6targetE1EEEvT1_.kd
    .uniform_work_group_size: 1
    .uses_dynamic_stack: false
    .vgpr_count:     0
    .vgpr_spill_count: 0
    .wavefront_size: 64
  - .agpr_count:     0
    .args:
      - .offset:         0
        .size:           48
        .value_kind:     by_value
    .group_segment_fixed_size: 0
    .kernarg_segment_align: 8
    .kernarg_segment_size: 48
    .language:       OpenCL C
    .language_version:
      - 2
      - 0
    .max_flat_workgroup_size: 128
    .name:           _ZN7rocprim17ROCPRIM_400000_NS6detail17trampoline_kernelINS0_14default_configENS1_20scan_config_selectorIdEEZZNS1_9scan_implILNS1_25lookback_scan_determinismE0ELb1ELb1ES3_N6thrust23THRUST_200600_302600_NS6detail15normal_iteratorINS9_10device_ptrIdEEEENS9_16discard_iteratorINS9_11use_defaultEEEd11max_functorIdEdEEDaPvRmT3_T4_T5_mT6_P12ihipStream_tbENKUlT_T0_E_clISt17integral_constantIbLb0EESW_IbLb1EEEEDaSS_ST_EUlSS_E0_NS1_11comp_targetILNS1_3genE8ELNS1_11target_archE1030ELNS1_3gpuE2ELNS1_3repE0EEENS1_30default_config_static_selectorELNS0_4arch9wavefront6targetE1EEEvT1_
    .private_segment_fixed_size: 0
    .sgpr_count:     4
    .sgpr_spill_count: 0
    .symbol:         _ZN7rocprim17ROCPRIM_400000_NS6detail17trampoline_kernelINS0_14default_configENS1_20scan_config_selectorIdEEZZNS1_9scan_implILNS1_25lookback_scan_determinismE0ELb1ELb1ES3_N6thrust23THRUST_200600_302600_NS6detail15normal_iteratorINS9_10device_ptrIdEEEENS9_16discard_iteratorINS9_11use_defaultEEEd11max_functorIdEdEEDaPvRmT3_T4_T5_mT6_P12ihipStream_tbENKUlT_T0_E_clISt17integral_constantIbLb0EESW_IbLb1EEEEDaSS_ST_EUlSS_E0_NS1_11comp_targetILNS1_3genE8ELNS1_11target_archE1030ELNS1_3gpuE2ELNS1_3repE0EEENS1_30default_config_static_selectorELNS0_4arch9wavefront6targetE1EEEvT1_.kd
    .uniform_work_group_size: 1
    .uses_dynamic_stack: false
    .vgpr_count:     0
    .vgpr_spill_count: 0
    .wavefront_size: 64
  - .agpr_count:     0
    .args:
      - .offset:         0
        .size:           104
        .value_kind:     by_value
    .group_segment_fixed_size: 0
    .kernarg_segment_align: 8
    .kernarg_segment_size: 104
    .language:       OpenCL C
    .language_version:
      - 2
      - 0
    .max_flat_workgroup_size: 256
    .name:           _ZN7rocprim17ROCPRIM_400000_NS6detail17trampoline_kernelINS0_14default_configENS1_20scan_config_selectorIfEEZZNS1_9scan_implILNS1_25lookback_scan_determinismE0ELb0ELb0ES3_N6thrust23THRUST_200600_302600_NS6detail15normal_iteratorINS9_10device_ptrIfEEEENS9_16discard_iteratorINS9_11use_defaultEEEf11max_functorIfEfEEDaPvRmT3_T4_T5_mT6_P12ihipStream_tbENKUlT_T0_E_clISt17integral_constantIbLb0EESX_EEDaSS_ST_EUlSS_E_NS1_11comp_targetILNS1_3genE0ELNS1_11target_archE4294967295ELNS1_3gpuE0ELNS1_3repE0EEENS1_30default_config_static_selectorELNS0_4arch9wavefront6targetE1EEEvT1_
    .private_segment_fixed_size: 0
    .sgpr_count:     4
    .sgpr_spill_count: 0
    .symbol:         _ZN7rocprim17ROCPRIM_400000_NS6detail17trampoline_kernelINS0_14default_configENS1_20scan_config_selectorIfEEZZNS1_9scan_implILNS1_25lookback_scan_determinismE0ELb0ELb0ES3_N6thrust23THRUST_200600_302600_NS6detail15normal_iteratorINS9_10device_ptrIfEEEENS9_16discard_iteratorINS9_11use_defaultEEEf11max_functorIfEfEEDaPvRmT3_T4_T5_mT6_P12ihipStream_tbENKUlT_T0_E_clISt17integral_constantIbLb0EESX_EEDaSS_ST_EUlSS_E_NS1_11comp_targetILNS1_3genE0ELNS1_11target_archE4294967295ELNS1_3gpuE0ELNS1_3repE0EEENS1_30default_config_static_selectorELNS0_4arch9wavefront6targetE1EEEvT1_.kd
    .uniform_work_group_size: 1
    .uses_dynamic_stack: false
    .vgpr_count:     0
    .vgpr_spill_count: 0
    .wavefront_size: 64
  - .agpr_count:     0
    .args:
      - .offset:         0
        .size:           104
        .value_kind:     by_value
    .group_segment_fixed_size: 0
    .kernarg_segment_align: 8
    .kernarg_segment_size: 104
    .language:       OpenCL C
    .language_version:
      - 2
      - 0
    .max_flat_workgroup_size: 256
    .name:           _ZN7rocprim17ROCPRIM_400000_NS6detail17trampoline_kernelINS0_14default_configENS1_20scan_config_selectorIfEEZZNS1_9scan_implILNS1_25lookback_scan_determinismE0ELb0ELb0ES3_N6thrust23THRUST_200600_302600_NS6detail15normal_iteratorINS9_10device_ptrIfEEEENS9_16discard_iteratorINS9_11use_defaultEEEf11max_functorIfEfEEDaPvRmT3_T4_T5_mT6_P12ihipStream_tbENKUlT_T0_E_clISt17integral_constantIbLb0EESX_EEDaSS_ST_EUlSS_E_NS1_11comp_targetILNS1_3genE5ELNS1_11target_archE942ELNS1_3gpuE9ELNS1_3repE0EEENS1_30default_config_static_selectorELNS0_4arch9wavefront6targetE1EEEvT1_
    .private_segment_fixed_size: 0
    .sgpr_count:     4
    .sgpr_spill_count: 0
    .symbol:         _ZN7rocprim17ROCPRIM_400000_NS6detail17trampoline_kernelINS0_14default_configENS1_20scan_config_selectorIfEEZZNS1_9scan_implILNS1_25lookback_scan_determinismE0ELb0ELb0ES3_N6thrust23THRUST_200600_302600_NS6detail15normal_iteratorINS9_10device_ptrIfEEEENS9_16discard_iteratorINS9_11use_defaultEEEf11max_functorIfEfEEDaPvRmT3_T4_T5_mT6_P12ihipStream_tbENKUlT_T0_E_clISt17integral_constantIbLb0EESX_EEDaSS_ST_EUlSS_E_NS1_11comp_targetILNS1_3genE5ELNS1_11target_archE942ELNS1_3gpuE9ELNS1_3repE0EEENS1_30default_config_static_selectorELNS0_4arch9wavefront6targetE1EEEvT1_.kd
    .uniform_work_group_size: 1
    .uses_dynamic_stack: false
    .vgpr_count:     0
    .vgpr_spill_count: 0
    .wavefront_size: 64
  - .agpr_count:     0
    .args:
      - .offset:         0
        .size:           104
        .value_kind:     by_value
    .group_segment_fixed_size: 7168
    .kernarg_segment_align: 8
    .kernarg_segment_size: 104
    .language:       OpenCL C
    .language_version:
      - 2
      - 0
    .max_flat_workgroup_size: 128
    .name:           _ZN7rocprim17ROCPRIM_400000_NS6detail17trampoline_kernelINS0_14default_configENS1_20scan_config_selectorIfEEZZNS1_9scan_implILNS1_25lookback_scan_determinismE0ELb0ELb0ES3_N6thrust23THRUST_200600_302600_NS6detail15normal_iteratorINS9_10device_ptrIfEEEENS9_16discard_iteratorINS9_11use_defaultEEEf11max_functorIfEfEEDaPvRmT3_T4_T5_mT6_P12ihipStream_tbENKUlT_T0_E_clISt17integral_constantIbLb0EESX_EEDaSS_ST_EUlSS_E_NS1_11comp_targetILNS1_3genE4ELNS1_11target_archE910ELNS1_3gpuE8ELNS1_3repE0EEENS1_30default_config_static_selectorELNS0_4arch9wavefront6targetE1EEEvT1_
    .private_segment_fixed_size: 0
    .sgpr_count:     26
    .sgpr_spill_count: 0
    .symbol:         _ZN7rocprim17ROCPRIM_400000_NS6detail17trampoline_kernelINS0_14default_configENS1_20scan_config_selectorIfEEZZNS1_9scan_implILNS1_25lookback_scan_determinismE0ELb0ELb0ES3_N6thrust23THRUST_200600_302600_NS6detail15normal_iteratorINS9_10device_ptrIfEEEENS9_16discard_iteratorINS9_11use_defaultEEEf11max_functorIfEfEEDaPvRmT3_T4_T5_mT6_P12ihipStream_tbENKUlT_T0_E_clISt17integral_constantIbLb0EESX_EEDaSS_ST_EUlSS_E_NS1_11comp_targetILNS1_3genE4ELNS1_11target_archE910ELNS1_3gpuE8ELNS1_3repE0EEENS1_30default_config_static_selectorELNS0_4arch9wavefront6targetE1EEEvT1_.kd
    .uniform_work_group_size: 1
    .uses_dynamic_stack: false
    .vgpr_count:     43
    .vgpr_spill_count: 0
    .wavefront_size: 64
  - .agpr_count:     0
    .args:
      - .offset:         0
        .size:           104
        .value_kind:     by_value
    .group_segment_fixed_size: 0
    .kernarg_segment_align: 8
    .kernarg_segment_size: 104
    .language:       OpenCL C
    .language_version:
      - 2
      - 0
    .max_flat_workgroup_size: 256
    .name:           _ZN7rocprim17ROCPRIM_400000_NS6detail17trampoline_kernelINS0_14default_configENS1_20scan_config_selectorIfEEZZNS1_9scan_implILNS1_25lookback_scan_determinismE0ELb0ELb0ES3_N6thrust23THRUST_200600_302600_NS6detail15normal_iteratorINS9_10device_ptrIfEEEENS9_16discard_iteratorINS9_11use_defaultEEEf11max_functorIfEfEEDaPvRmT3_T4_T5_mT6_P12ihipStream_tbENKUlT_T0_E_clISt17integral_constantIbLb0EESX_EEDaSS_ST_EUlSS_E_NS1_11comp_targetILNS1_3genE3ELNS1_11target_archE908ELNS1_3gpuE7ELNS1_3repE0EEENS1_30default_config_static_selectorELNS0_4arch9wavefront6targetE1EEEvT1_
    .private_segment_fixed_size: 0
    .sgpr_count:     4
    .sgpr_spill_count: 0
    .symbol:         _ZN7rocprim17ROCPRIM_400000_NS6detail17trampoline_kernelINS0_14default_configENS1_20scan_config_selectorIfEEZZNS1_9scan_implILNS1_25lookback_scan_determinismE0ELb0ELb0ES3_N6thrust23THRUST_200600_302600_NS6detail15normal_iteratorINS9_10device_ptrIfEEEENS9_16discard_iteratorINS9_11use_defaultEEEf11max_functorIfEfEEDaPvRmT3_T4_T5_mT6_P12ihipStream_tbENKUlT_T0_E_clISt17integral_constantIbLb0EESX_EEDaSS_ST_EUlSS_E_NS1_11comp_targetILNS1_3genE3ELNS1_11target_archE908ELNS1_3gpuE7ELNS1_3repE0EEENS1_30default_config_static_selectorELNS0_4arch9wavefront6targetE1EEEvT1_.kd
    .uniform_work_group_size: 1
    .uses_dynamic_stack: false
    .vgpr_count:     0
    .vgpr_spill_count: 0
    .wavefront_size: 64
  - .agpr_count:     0
    .args:
      - .offset:         0
        .size:           104
        .value_kind:     by_value
    .group_segment_fixed_size: 0
    .kernarg_segment_align: 8
    .kernarg_segment_size: 104
    .language:       OpenCL C
    .language_version:
      - 2
      - 0
    .max_flat_workgroup_size: 256
    .name:           _ZN7rocprim17ROCPRIM_400000_NS6detail17trampoline_kernelINS0_14default_configENS1_20scan_config_selectorIfEEZZNS1_9scan_implILNS1_25lookback_scan_determinismE0ELb0ELb0ES3_N6thrust23THRUST_200600_302600_NS6detail15normal_iteratorINS9_10device_ptrIfEEEENS9_16discard_iteratorINS9_11use_defaultEEEf11max_functorIfEfEEDaPvRmT3_T4_T5_mT6_P12ihipStream_tbENKUlT_T0_E_clISt17integral_constantIbLb0EESX_EEDaSS_ST_EUlSS_E_NS1_11comp_targetILNS1_3genE2ELNS1_11target_archE906ELNS1_3gpuE6ELNS1_3repE0EEENS1_30default_config_static_selectorELNS0_4arch9wavefront6targetE1EEEvT1_
    .private_segment_fixed_size: 0
    .sgpr_count:     4
    .sgpr_spill_count: 0
    .symbol:         _ZN7rocprim17ROCPRIM_400000_NS6detail17trampoline_kernelINS0_14default_configENS1_20scan_config_selectorIfEEZZNS1_9scan_implILNS1_25lookback_scan_determinismE0ELb0ELb0ES3_N6thrust23THRUST_200600_302600_NS6detail15normal_iteratorINS9_10device_ptrIfEEEENS9_16discard_iteratorINS9_11use_defaultEEEf11max_functorIfEfEEDaPvRmT3_T4_T5_mT6_P12ihipStream_tbENKUlT_T0_E_clISt17integral_constantIbLb0EESX_EEDaSS_ST_EUlSS_E_NS1_11comp_targetILNS1_3genE2ELNS1_11target_archE906ELNS1_3gpuE6ELNS1_3repE0EEENS1_30default_config_static_selectorELNS0_4arch9wavefront6targetE1EEEvT1_.kd
    .uniform_work_group_size: 1
    .uses_dynamic_stack: false
    .vgpr_count:     0
    .vgpr_spill_count: 0
    .wavefront_size: 64
  - .agpr_count:     0
    .args:
      - .offset:         0
        .size:           104
        .value_kind:     by_value
    .group_segment_fixed_size: 0
    .kernarg_segment_align: 8
    .kernarg_segment_size: 104
    .language:       OpenCL C
    .language_version:
      - 2
      - 0
    .max_flat_workgroup_size: 256
    .name:           _ZN7rocprim17ROCPRIM_400000_NS6detail17trampoline_kernelINS0_14default_configENS1_20scan_config_selectorIfEEZZNS1_9scan_implILNS1_25lookback_scan_determinismE0ELb0ELb0ES3_N6thrust23THRUST_200600_302600_NS6detail15normal_iteratorINS9_10device_ptrIfEEEENS9_16discard_iteratorINS9_11use_defaultEEEf11max_functorIfEfEEDaPvRmT3_T4_T5_mT6_P12ihipStream_tbENKUlT_T0_E_clISt17integral_constantIbLb0EESX_EEDaSS_ST_EUlSS_E_NS1_11comp_targetILNS1_3genE10ELNS1_11target_archE1201ELNS1_3gpuE5ELNS1_3repE0EEENS1_30default_config_static_selectorELNS0_4arch9wavefront6targetE1EEEvT1_
    .private_segment_fixed_size: 0
    .sgpr_count:     4
    .sgpr_spill_count: 0
    .symbol:         _ZN7rocprim17ROCPRIM_400000_NS6detail17trampoline_kernelINS0_14default_configENS1_20scan_config_selectorIfEEZZNS1_9scan_implILNS1_25lookback_scan_determinismE0ELb0ELb0ES3_N6thrust23THRUST_200600_302600_NS6detail15normal_iteratorINS9_10device_ptrIfEEEENS9_16discard_iteratorINS9_11use_defaultEEEf11max_functorIfEfEEDaPvRmT3_T4_T5_mT6_P12ihipStream_tbENKUlT_T0_E_clISt17integral_constantIbLb0EESX_EEDaSS_ST_EUlSS_E_NS1_11comp_targetILNS1_3genE10ELNS1_11target_archE1201ELNS1_3gpuE5ELNS1_3repE0EEENS1_30default_config_static_selectorELNS0_4arch9wavefront6targetE1EEEvT1_.kd
    .uniform_work_group_size: 1
    .uses_dynamic_stack: false
    .vgpr_count:     0
    .vgpr_spill_count: 0
    .wavefront_size: 64
  - .agpr_count:     0
    .args:
      - .offset:         0
        .size:           104
        .value_kind:     by_value
    .group_segment_fixed_size: 0
    .kernarg_segment_align: 8
    .kernarg_segment_size: 104
    .language:       OpenCL C
    .language_version:
      - 2
      - 0
    .max_flat_workgroup_size: 256
    .name:           _ZN7rocprim17ROCPRIM_400000_NS6detail17trampoline_kernelINS0_14default_configENS1_20scan_config_selectorIfEEZZNS1_9scan_implILNS1_25lookback_scan_determinismE0ELb0ELb0ES3_N6thrust23THRUST_200600_302600_NS6detail15normal_iteratorINS9_10device_ptrIfEEEENS9_16discard_iteratorINS9_11use_defaultEEEf11max_functorIfEfEEDaPvRmT3_T4_T5_mT6_P12ihipStream_tbENKUlT_T0_E_clISt17integral_constantIbLb0EESX_EEDaSS_ST_EUlSS_E_NS1_11comp_targetILNS1_3genE10ELNS1_11target_archE1200ELNS1_3gpuE4ELNS1_3repE0EEENS1_30default_config_static_selectorELNS0_4arch9wavefront6targetE1EEEvT1_
    .private_segment_fixed_size: 0
    .sgpr_count:     4
    .sgpr_spill_count: 0
    .symbol:         _ZN7rocprim17ROCPRIM_400000_NS6detail17trampoline_kernelINS0_14default_configENS1_20scan_config_selectorIfEEZZNS1_9scan_implILNS1_25lookback_scan_determinismE0ELb0ELb0ES3_N6thrust23THRUST_200600_302600_NS6detail15normal_iteratorINS9_10device_ptrIfEEEENS9_16discard_iteratorINS9_11use_defaultEEEf11max_functorIfEfEEDaPvRmT3_T4_T5_mT6_P12ihipStream_tbENKUlT_T0_E_clISt17integral_constantIbLb0EESX_EEDaSS_ST_EUlSS_E_NS1_11comp_targetILNS1_3genE10ELNS1_11target_archE1200ELNS1_3gpuE4ELNS1_3repE0EEENS1_30default_config_static_selectorELNS0_4arch9wavefront6targetE1EEEvT1_.kd
    .uniform_work_group_size: 1
    .uses_dynamic_stack: false
    .vgpr_count:     0
    .vgpr_spill_count: 0
    .wavefront_size: 64
  - .agpr_count:     0
    .args:
      - .offset:         0
        .size:           104
        .value_kind:     by_value
    .group_segment_fixed_size: 0
    .kernarg_segment_align: 8
    .kernarg_segment_size: 104
    .language:       OpenCL C
    .language_version:
      - 2
      - 0
    .max_flat_workgroup_size: 256
    .name:           _ZN7rocprim17ROCPRIM_400000_NS6detail17trampoline_kernelINS0_14default_configENS1_20scan_config_selectorIfEEZZNS1_9scan_implILNS1_25lookback_scan_determinismE0ELb0ELb0ES3_N6thrust23THRUST_200600_302600_NS6detail15normal_iteratorINS9_10device_ptrIfEEEENS9_16discard_iteratorINS9_11use_defaultEEEf11max_functorIfEfEEDaPvRmT3_T4_T5_mT6_P12ihipStream_tbENKUlT_T0_E_clISt17integral_constantIbLb0EESX_EEDaSS_ST_EUlSS_E_NS1_11comp_targetILNS1_3genE9ELNS1_11target_archE1100ELNS1_3gpuE3ELNS1_3repE0EEENS1_30default_config_static_selectorELNS0_4arch9wavefront6targetE1EEEvT1_
    .private_segment_fixed_size: 0
    .sgpr_count:     4
    .sgpr_spill_count: 0
    .symbol:         _ZN7rocprim17ROCPRIM_400000_NS6detail17trampoline_kernelINS0_14default_configENS1_20scan_config_selectorIfEEZZNS1_9scan_implILNS1_25lookback_scan_determinismE0ELb0ELb0ES3_N6thrust23THRUST_200600_302600_NS6detail15normal_iteratorINS9_10device_ptrIfEEEENS9_16discard_iteratorINS9_11use_defaultEEEf11max_functorIfEfEEDaPvRmT3_T4_T5_mT6_P12ihipStream_tbENKUlT_T0_E_clISt17integral_constantIbLb0EESX_EEDaSS_ST_EUlSS_E_NS1_11comp_targetILNS1_3genE9ELNS1_11target_archE1100ELNS1_3gpuE3ELNS1_3repE0EEENS1_30default_config_static_selectorELNS0_4arch9wavefront6targetE1EEEvT1_.kd
    .uniform_work_group_size: 1
    .uses_dynamic_stack: false
    .vgpr_count:     0
    .vgpr_spill_count: 0
    .wavefront_size: 64
  - .agpr_count:     0
    .args:
      - .offset:         0
        .size:           104
        .value_kind:     by_value
    .group_segment_fixed_size: 0
    .kernarg_segment_align: 8
    .kernarg_segment_size: 104
    .language:       OpenCL C
    .language_version:
      - 2
      - 0
    .max_flat_workgroup_size: 64
    .name:           _ZN7rocprim17ROCPRIM_400000_NS6detail17trampoline_kernelINS0_14default_configENS1_20scan_config_selectorIfEEZZNS1_9scan_implILNS1_25lookback_scan_determinismE0ELb0ELb0ES3_N6thrust23THRUST_200600_302600_NS6detail15normal_iteratorINS9_10device_ptrIfEEEENS9_16discard_iteratorINS9_11use_defaultEEEf11max_functorIfEfEEDaPvRmT3_T4_T5_mT6_P12ihipStream_tbENKUlT_T0_E_clISt17integral_constantIbLb0EESX_EEDaSS_ST_EUlSS_E_NS1_11comp_targetILNS1_3genE8ELNS1_11target_archE1030ELNS1_3gpuE2ELNS1_3repE0EEENS1_30default_config_static_selectorELNS0_4arch9wavefront6targetE1EEEvT1_
    .private_segment_fixed_size: 0
    .sgpr_count:     4
    .sgpr_spill_count: 0
    .symbol:         _ZN7rocprim17ROCPRIM_400000_NS6detail17trampoline_kernelINS0_14default_configENS1_20scan_config_selectorIfEEZZNS1_9scan_implILNS1_25lookback_scan_determinismE0ELb0ELb0ES3_N6thrust23THRUST_200600_302600_NS6detail15normal_iteratorINS9_10device_ptrIfEEEENS9_16discard_iteratorINS9_11use_defaultEEEf11max_functorIfEfEEDaPvRmT3_T4_T5_mT6_P12ihipStream_tbENKUlT_T0_E_clISt17integral_constantIbLb0EESX_EEDaSS_ST_EUlSS_E_NS1_11comp_targetILNS1_3genE8ELNS1_11target_archE1030ELNS1_3gpuE2ELNS1_3repE0EEENS1_30default_config_static_selectorELNS0_4arch9wavefront6targetE1EEEvT1_.kd
    .uniform_work_group_size: 1
    .uses_dynamic_stack: false
    .vgpr_count:     0
    .vgpr_spill_count: 0
    .wavefront_size: 64
  - .agpr_count:     0
    .args:
      - .offset:         0
        .size:           40
        .value_kind:     by_value
    .group_segment_fixed_size: 0
    .kernarg_segment_align: 8
    .kernarg_segment_size: 40
    .language:       OpenCL C
    .language_version:
      - 2
      - 0
    .max_flat_workgroup_size: 256
    .name:           _ZN7rocprim17ROCPRIM_400000_NS6detail17trampoline_kernelINS0_14default_configENS1_20scan_config_selectorIfEEZZNS1_9scan_implILNS1_25lookback_scan_determinismE0ELb0ELb0ES3_N6thrust23THRUST_200600_302600_NS6detail15normal_iteratorINS9_10device_ptrIfEEEENS9_16discard_iteratorINS9_11use_defaultEEEf11max_functorIfEfEEDaPvRmT3_T4_T5_mT6_P12ihipStream_tbENKUlT_T0_E_clISt17integral_constantIbLb0EESX_EEDaSS_ST_EUlSS_E0_NS1_11comp_targetILNS1_3genE0ELNS1_11target_archE4294967295ELNS1_3gpuE0ELNS1_3repE0EEENS1_30default_config_static_selectorELNS0_4arch9wavefront6targetE1EEEvT1_
    .private_segment_fixed_size: 0
    .sgpr_count:     4
    .sgpr_spill_count: 0
    .symbol:         _ZN7rocprim17ROCPRIM_400000_NS6detail17trampoline_kernelINS0_14default_configENS1_20scan_config_selectorIfEEZZNS1_9scan_implILNS1_25lookback_scan_determinismE0ELb0ELb0ES3_N6thrust23THRUST_200600_302600_NS6detail15normal_iteratorINS9_10device_ptrIfEEEENS9_16discard_iteratorINS9_11use_defaultEEEf11max_functorIfEfEEDaPvRmT3_T4_T5_mT6_P12ihipStream_tbENKUlT_T0_E_clISt17integral_constantIbLb0EESX_EEDaSS_ST_EUlSS_E0_NS1_11comp_targetILNS1_3genE0ELNS1_11target_archE4294967295ELNS1_3gpuE0ELNS1_3repE0EEENS1_30default_config_static_selectorELNS0_4arch9wavefront6targetE1EEEvT1_.kd
    .uniform_work_group_size: 1
    .uses_dynamic_stack: false
    .vgpr_count:     0
    .vgpr_spill_count: 0
    .wavefront_size: 64
  - .agpr_count:     0
    .args:
      - .offset:         0
        .size:           40
        .value_kind:     by_value
    .group_segment_fixed_size: 0
    .kernarg_segment_align: 8
    .kernarg_segment_size: 40
    .language:       OpenCL C
    .language_version:
      - 2
      - 0
    .max_flat_workgroup_size: 256
    .name:           _ZN7rocprim17ROCPRIM_400000_NS6detail17trampoline_kernelINS0_14default_configENS1_20scan_config_selectorIfEEZZNS1_9scan_implILNS1_25lookback_scan_determinismE0ELb0ELb0ES3_N6thrust23THRUST_200600_302600_NS6detail15normal_iteratorINS9_10device_ptrIfEEEENS9_16discard_iteratorINS9_11use_defaultEEEf11max_functorIfEfEEDaPvRmT3_T4_T5_mT6_P12ihipStream_tbENKUlT_T0_E_clISt17integral_constantIbLb0EESX_EEDaSS_ST_EUlSS_E0_NS1_11comp_targetILNS1_3genE5ELNS1_11target_archE942ELNS1_3gpuE9ELNS1_3repE0EEENS1_30default_config_static_selectorELNS0_4arch9wavefront6targetE1EEEvT1_
    .private_segment_fixed_size: 0
    .sgpr_count:     4
    .sgpr_spill_count: 0
    .symbol:         _ZN7rocprim17ROCPRIM_400000_NS6detail17trampoline_kernelINS0_14default_configENS1_20scan_config_selectorIfEEZZNS1_9scan_implILNS1_25lookback_scan_determinismE0ELb0ELb0ES3_N6thrust23THRUST_200600_302600_NS6detail15normal_iteratorINS9_10device_ptrIfEEEENS9_16discard_iteratorINS9_11use_defaultEEEf11max_functorIfEfEEDaPvRmT3_T4_T5_mT6_P12ihipStream_tbENKUlT_T0_E_clISt17integral_constantIbLb0EESX_EEDaSS_ST_EUlSS_E0_NS1_11comp_targetILNS1_3genE5ELNS1_11target_archE942ELNS1_3gpuE9ELNS1_3repE0EEENS1_30default_config_static_selectorELNS0_4arch9wavefront6targetE1EEEvT1_.kd
    .uniform_work_group_size: 1
    .uses_dynamic_stack: false
    .vgpr_count:     0
    .vgpr_spill_count: 0
    .wavefront_size: 64
  - .agpr_count:     0
    .args:
      - .offset:         0
        .size:           40
        .value_kind:     by_value
    .group_segment_fixed_size: 7168
    .kernarg_segment_align: 8
    .kernarg_segment_size: 40
    .language:       OpenCL C
    .language_version:
      - 2
      - 0
    .max_flat_workgroup_size: 128
    .name:           _ZN7rocprim17ROCPRIM_400000_NS6detail17trampoline_kernelINS0_14default_configENS1_20scan_config_selectorIfEEZZNS1_9scan_implILNS1_25lookback_scan_determinismE0ELb0ELb0ES3_N6thrust23THRUST_200600_302600_NS6detail15normal_iteratorINS9_10device_ptrIfEEEENS9_16discard_iteratorINS9_11use_defaultEEEf11max_functorIfEfEEDaPvRmT3_T4_T5_mT6_P12ihipStream_tbENKUlT_T0_E_clISt17integral_constantIbLb0EESX_EEDaSS_ST_EUlSS_E0_NS1_11comp_targetILNS1_3genE4ELNS1_11target_archE910ELNS1_3gpuE8ELNS1_3repE0EEENS1_30default_config_static_selectorELNS0_4arch9wavefront6targetE1EEEvT1_
    .private_segment_fixed_size: 0
    .sgpr_count:     12
    .sgpr_spill_count: 0
    .symbol:         _ZN7rocprim17ROCPRIM_400000_NS6detail17trampoline_kernelINS0_14default_configENS1_20scan_config_selectorIfEEZZNS1_9scan_implILNS1_25lookback_scan_determinismE0ELb0ELb0ES3_N6thrust23THRUST_200600_302600_NS6detail15normal_iteratorINS9_10device_ptrIfEEEENS9_16discard_iteratorINS9_11use_defaultEEEf11max_functorIfEfEEDaPvRmT3_T4_T5_mT6_P12ihipStream_tbENKUlT_T0_E_clISt17integral_constantIbLb0EESX_EEDaSS_ST_EUlSS_E0_NS1_11comp_targetILNS1_3genE4ELNS1_11target_archE910ELNS1_3gpuE8ELNS1_3repE0EEENS1_30default_config_static_selectorELNS0_4arch9wavefront6targetE1EEEvT1_.kd
    .uniform_work_group_size: 1
    .uses_dynamic_stack: false
    .vgpr_count:     24
    .vgpr_spill_count: 0
    .wavefront_size: 64
  - .agpr_count:     0
    .args:
      - .offset:         0
        .size:           40
        .value_kind:     by_value
    .group_segment_fixed_size: 0
    .kernarg_segment_align: 8
    .kernarg_segment_size: 40
    .language:       OpenCL C
    .language_version:
      - 2
      - 0
    .max_flat_workgroup_size: 256
    .name:           _ZN7rocprim17ROCPRIM_400000_NS6detail17trampoline_kernelINS0_14default_configENS1_20scan_config_selectorIfEEZZNS1_9scan_implILNS1_25lookback_scan_determinismE0ELb0ELb0ES3_N6thrust23THRUST_200600_302600_NS6detail15normal_iteratorINS9_10device_ptrIfEEEENS9_16discard_iteratorINS9_11use_defaultEEEf11max_functorIfEfEEDaPvRmT3_T4_T5_mT6_P12ihipStream_tbENKUlT_T0_E_clISt17integral_constantIbLb0EESX_EEDaSS_ST_EUlSS_E0_NS1_11comp_targetILNS1_3genE3ELNS1_11target_archE908ELNS1_3gpuE7ELNS1_3repE0EEENS1_30default_config_static_selectorELNS0_4arch9wavefront6targetE1EEEvT1_
    .private_segment_fixed_size: 0
    .sgpr_count:     4
    .sgpr_spill_count: 0
    .symbol:         _ZN7rocprim17ROCPRIM_400000_NS6detail17trampoline_kernelINS0_14default_configENS1_20scan_config_selectorIfEEZZNS1_9scan_implILNS1_25lookback_scan_determinismE0ELb0ELb0ES3_N6thrust23THRUST_200600_302600_NS6detail15normal_iteratorINS9_10device_ptrIfEEEENS9_16discard_iteratorINS9_11use_defaultEEEf11max_functorIfEfEEDaPvRmT3_T4_T5_mT6_P12ihipStream_tbENKUlT_T0_E_clISt17integral_constantIbLb0EESX_EEDaSS_ST_EUlSS_E0_NS1_11comp_targetILNS1_3genE3ELNS1_11target_archE908ELNS1_3gpuE7ELNS1_3repE0EEENS1_30default_config_static_selectorELNS0_4arch9wavefront6targetE1EEEvT1_.kd
    .uniform_work_group_size: 1
    .uses_dynamic_stack: false
    .vgpr_count:     0
    .vgpr_spill_count: 0
    .wavefront_size: 64
  - .agpr_count:     0
    .args:
      - .offset:         0
        .size:           40
        .value_kind:     by_value
    .group_segment_fixed_size: 0
    .kernarg_segment_align: 8
    .kernarg_segment_size: 40
    .language:       OpenCL C
    .language_version:
      - 2
      - 0
    .max_flat_workgroup_size: 256
    .name:           _ZN7rocprim17ROCPRIM_400000_NS6detail17trampoline_kernelINS0_14default_configENS1_20scan_config_selectorIfEEZZNS1_9scan_implILNS1_25lookback_scan_determinismE0ELb0ELb0ES3_N6thrust23THRUST_200600_302600_NS6detail15normal_iteratorINS9_10device_ptrIfEEEENS9_16discard_iteratorINS9_11use_defaultEEEf11max_functorIfEfEEDaPvRmT3_T4_T5_mT6_P12ihipStream_tbENKUlT_T0_E_clISt17integral_constantIbLb0EESX_EEDaSS_ST_EUlSS_E0_NS1_11comp_targetILNS1_3genE2ELNS1_11target_archE906ELNS1_3gpuE6ELNS1_3repE0EEENS1_30default_config_static_selectorELNS0_4arch9wavefront6targetE1EEEvT1_
    .private_segment_fixed_size: 0
    .sgpr_count:     4
    .sgpr_spill_count: 0
    .symbol:         _ZN7rocprim17ROCPRIM_400000_NS6detail17trampoline_kernelINS0_14default_configENS1_20scan_config_selectorIfEEZZNS1_9scan_implILNS1_25lookback_scan_determinismE0ELb0ELb0ES3_N6thrust23THRUST_200600_302600_NS6detail15normal_iteratorINS9_10device_ptrIfEEEENS9_16discard_iteratorINS9_11use_defaultEEEf11max_functorIfEfEEDaPvRmT3_T4_T5_mT6_P12ihipStream_tbENKUlT_T0_E_clISt17integral_constantIbLb0EESX_EEDaSS_ST_EUlSS_E0_NS1_11comp_targetILNS1_3genE2ELNS1_11target_archE906ELNS1_3gpuE6ELNS1_3repE0EEENS1_30default_config_static_selectorELNS0_4arch9wavefront6targetE1EEEvT1_.kd
    .uniform_work_group_size: 1
    .uses_dynamic_stack: false
    .vgpr_count:     0
    .vgpr_spill_count: 0
    .wavefront_size: 64
  - .agpr_count:     0
    .args:
      - .offset:         0
        .size:           40
        .value_kind:     by_value
    .group_segment_fixed_size: 0
    .kernarg_segment_align: 8
    .kernarg_segment_size: 40
    .language:       OpenCL C
    .language_version:
      - 2
      - 0
    .max_flat_workgroup_size: 256
    .name:           _ZN7rocprim17ROCPRIM_400000_NS6detail17trampoline_kernelINS0_14default_configENS1_20scan_config_selectorIfEEZZNS1_9scan_implILNS1_25lookback_scan_determinismE0ELb0ELb0ES3_N6thrust23THRUST_200600_302600_NS6detail15normal_iteratorINS9_10device_ptrIfEEEENS9_16discard_iteratorINS9_11use_defaultEEEf11max_functorIfEfEEDaPvRmT3_T4_T5_mT6_P12ihipStream_tbENKUlT_T0_E_clISt17integral_constantIbLb0EESX_EEDaSS_ST_EUlSS_E0_NS1_11comp_targetILNS1_3genE10ELNS1_11target_archE1201ELNS1_3gpuE5ELNS1_3repE0EEENS1_30default_config_static_selectorELNS0_4arch9wavefront6targetE1EEEvT1_
    .private_segment_fixed_size: 0
    .sgpr_count:     4
    .sgpr_spill_count: 0
    .symbol:         _ZN7rocprim17ROCPRIM_400000_NS6detail17trampoline_kernelINS0_14default_configENS1_20scan_config_selectorIfEEZZNS1_9scan_implILNS1_25lookback_scan_determinismE0ELb0ELb0ES3_N6thrust23THRUST_200600_302600_NS6detail15normal_iteratorINS9_10device_ptrIfEEEENS9_16discard_iteratorINS9_11use_defaultEEEf11max_functorIfEfEEDaPvRmT3_T4_T5_mT6_P12ihipStream_tbENKUlT_T0_E_clISt17integral_constantIbLb0EESX_EEDaSS_ST_EUlSS_E0_NS1_11comp_targetILNS1_3genE10ELNS1_11target_archE1201ELNS1_3gpuE5ELNS1_3repE0EEENS1_30default_config_static_selectorELNS0_4arch9wavefront6targetE1EEEvT1_.kd
    .uniform_work_group_size: 1
    .uses_dynamic_stack: false
    .vgpr_count:     0
    .vgpr_spill_count: 0
    .wavefront_size: 64
  - .agpr_count:     0
    .args:
      - .offset:         0
        .size:           40
        .value_kind:     by_value
    .group_segment_fixed_size: 0
    .kernarg_segment_align: 8
    .kernarg_segment_size: 40
    .language:       OpenCL C
    .language_version:
      - 2
      - 0
    .max_flat_workgroup_size: 256
    .name:           _ZN7rocprim17ROCPRIM_400000_NS6detail17trampoline_kernelINS0_14default_configENS1_20scan_config_selectorIfEEZZNS1_9scan_implILNS1_25lookback_scan_determinismE0ELb0ELb0ES3_N6thrust23THRUST_200600_302600_NS6detail15normal_iteratorINS9_10device_ptrIfEEEENS9_16discard_iteratorINS9_11use_defaultEEEf11max_functorIfEfEEDaPvRmT3_T4_T5_mT6_P12ihipStream_tbENKUlT_T0_E_clISt17integral_constantIbLb0EESX_EEDaSS_ST_EUlSS_E0_NS1_11comp_targetILNS1_3genE10ELNS1_11target_archE1200ELNS1_3gpuE4ELNS1_3repE0EEENS1_30default_config_static_selectorELNS0_4arch9wavefront6targetE1EEEvT1_
    .private_segment_fixed_size: 0
    .sgpr_count:     4
    .sgpr_spill_count: 0
    .symbol:         _ZN7rocprim17ROCPRIM_400000_NS6detail17trampoline_kernelINS0_14default_configENS1_20scan_config_selectorIfEEZZNS1_9scan_implILNS1_25lookback_scan_determinismE0ELb0ELb0ES3_N6thrust23THRUST_200600_302600_NS6detail15normal_iteratorINS9_10device_ptrIfEEEENS9_16discard_iteratorINS9_11use_defaultEEEf11max_functorIfEfEEDaPvRmT3_T4_T5_mT6_P12ihipStream_tbENKUlT_T0_E_clISt17integral_constantIbLb0EESX_EEDaSS_ST_EUlSS_E0_NS1_11comp_targetILNS1_3genE10ELNS1_11target_archE1200ELNS1_3gpuE4ELNS1_3repE0EEENS1_30default_config_static_selectorELNS0_4arch9wavefront6targetE1EEEvT1_.kd
    .uniform_work_group_size: 1
    .uses_dynamic_stack: false
    .vgpr_count:     0
    .vgpr_spill_count: 0
    .wavefront_size: 64
  - .agpr_count:     0
    .args:
      - .offset:         0
        .size:           40
        .value_kind:     by_value
    .group_segment_fixed_size: 0
    .kernarg_segment_align: 8
    .kernarg_segment_size: 40
    .language:       OpenCL C
    .language_version:
      - 2
      - 0
    .max_flat_workgroup_size: 256
    .name:           _ZN7rocprim17ROCPRIM_400000_NS6detail17trampoline_kernelINS0_14default_configENS1_20scan_config_selectorIfEEZZNS1_9scan_implILNS1_25lookback_scan_determinismE0ELb0ELb0ES3_N6thrust23THRUST_200600_302600_NS6detail15normal_iteratorINS9_10device_ptrIfEEEENS9_16discard_iteratorINS9_11use_defaultEEEf11max_functorIfEfEEDaPvRmT3_T4_T5_mT6_P12ihipStream_tbENKUlT_T0_E_clISt17integral_constantIbLb0EESX_EEDaSS_ST_EUlSS_E0_NS1_11comp_targetILNS1_3genE9ELNS1_11target_archE1100ELNS1_3gpuE3ELNS1_3repE0EEENS1_30default_config_static_selectorELNS0_4arch9wavefront6targetE1EEEvT1_
    .private_segment_fixed_size: 0
    .sgpr_count:     4
    .sgpr_spill_count: 0
    .symbol:         _ZN7rocprim17ROCPRIM_400000_NS6detail17trampoline_kernelINS0_14default_configENS1_20scan_config_selectorIfEEZZNS1_9scan_implILNS1_25lookback_scan_determinismE0ELb0ELb0ES3_N6thrust23THRUST_200600_302600_NS6detail15normal_iteratorINS9_10device_ptrIfEEEENS9_16discard_iteratorINS9_11use_defaultEEEf11max_functorIfEfEEDaPvRmT3_T4_T5_mT6_P12ihipStream_tbENKUlT_T0_E_clISt17integral_constantIbLb0EESX_EEDaSS_ST_EUlSS_E0_NS1_11comp_targetILNS1_3genE9ELNS1_11target_archE1100ELNS1_3gpuE3ELNS1_3repE0EEENS1_30default_config_static_selectorELNS0_4arch9wavefront6targetE1EEEvT1_.kd
    .uniform_work_group_size: 1
    .uses_dynamic_stack: false
    .vgpr_count:     0
    .vgpr_spill_count: 0
    .wavefront_size: 64
  - .agpr_count:     0
    .args:
      - .offset:         0
        .size:           40
        .value_kind:     by_value
    .group_segment_fixed_size: 0
    .kernarg_segment_align: 8
    .kernarg_segment_size: 40
    .language:       OpenCL C
    .language_version:
      - 2
      - 0
    .max_flat_workgroup_size: 64
    .name:           _ZN7rocprim17ROCPRIM_400000_NS6detail17trampoline_kernelINS0_14default_configENS1_20scan_config_selectorIfEEZZNS1_9scan_implILNS1_25lookback_scan_determinismE0ELb0ELb0ES3_N6thrust23THRUST_200600_302600_NS6detail15normal_iteratorINS9_10device_ptrIfEEEENS9_16discard_iteratorINS9_11use_defaultEEEf11max_functorIfEfEEDaPvRmT3_T4_T5_mT6_P12ihipStream_tbENKUlT_T0_E_clISt17integral_constantIbLb0EESX_EEDaSS_ST_EUlSS_E0_NS1_11comp_targetILNS1_3genE8ELNS1_11target_archE1030ELNS1_3gpuE2ELNS1_3repE0EEENS1_30default_config_static_selectorELNS0_4arch9wavefront6targetE1EEEvT1_
    .private_segment_fixed_size: 0
    .sgpr_count:     4
    .sgpr_spill_count: 0
    .symbol:         _ZN7rocprim17ROCPRIM_400000_NS6detail17trampoline_kernelINS0_14default_configENS1_20scan_config_selectorIfEEZZNS1_9scan_implILNS1_25lookback_scan_determinismE0ELb0ELb0ES3_N6thrust23THRUST_200600_302600_NS6detail15normal_iteratorINS9_10device_ptrIfEEEENS9_16discard_iteratorINS9_11use_defaultEEEf11max_functorIfEfEEDaPvRmT3_T4_T5_mT6_P12ihipStream_tbENKUlT_T0_E_clISt17integral_constantIbLb0EESX_EEDaSS_ST_EUlSS_E0_NS1_11comp_targetILNS1_3genE8ELNS1_11target_archE1030ELNS1_3gpuE2ELNS1_3repE0EEENS1_30default_config_static_selectorELNS0_4arch9wavefront6targetE1EEEvT1_.kd
    .uniform_work_group_size: 1
    .uses_dynamic_stack: false
    .vgpr_count:     0
    .vgpr_spill_count: 0
    .wavefront_size: 64
  - .agpr_count:     0
    .args:
      - .offset:         0
        .size:           104
        .value_kind:     by_value
    .group_segment_fixed_size: 0
    .kernarg_segment_align: 8
    .kernarg_segment_size: 104
    .language:       OpenCL C
    .language_version:
      - 2
      - 0
    .max_flat_workgroup_size: 256
    .name:           _ZN7rocprim17ROCPRIM_400000_NS6detail17trampoline_kernelINS0_14default_configENS1_20scan_config_selectorIfEEZZNS1_9scan_implILNS1_25lookback_scan_determinismE0ELb0ELb0ES3_N6thrust23THRUST_200600_302600_NS6detail15normal_iteratorINS9_10device_ptrIfEEEENS9_16discard_iteratorINS9_11use_defaultEEEf11max_functorIfEfEEDaPvRmT3_T4_T5_mT6_P12ihipStream_tbENKUlT_T0_E_clISt17integral_constantIbLb1EESX_EEDaSS_ST_EUlSS_E_NS1_11comp_targetILNS1_3genE0ELNS1_11target_archE4294967295ELNS1_3gpuE0ELNS1_3repE0EEENS1_30default_config_static_selectorELNS0_4arch9wavefront6targetE1EEEvT1_
    .private_segment_fixed_size: 0
    .sgpr_count:     4
    .sgpr_spill_count: 0
    .symbol:         _ZN7rocprim17ROCPRIM_400000_NS6detail17trampoline_kernelINS0_14default_configENS1_20scan_config_selectorIfEEZZNS1_9scan_implILNS1_25lookback_scan_determinismE0ELb0ELb0ES3_N6thrust23THRUST_200600_302600_NS6detail15normal_iteratorINS9_10device_ptrIfEEEENS9_16discard_iteratorINS9_11use_defaultEEEf11max_functorIfEfEEDaPvRmT3_T4_T5_mT6_P12ihipStream_tbENKUlT_T0_E_clISt17integral_constantIbLb1EESX_EEDaSS_ST_EUlSS_E_NS1_11comp_targetILNS1_3genE0ELNS1_11target_archE4294967295ELNS1_3gpuE0ELNS1_3repE0EEENS1_30default_config_static_selectorELNS0_4arch9wavefront6targetE1EEEvT1_.kd
    .uniform_work_group_size: 1
    .uses_dynamic_stack: false
    .vgpr_count:     0
    .vgpr_spill_count: 0
    .wavefront_size: 64
  - .agpr_count:     0
    .args:
      - .offset:         0
        .size:           104
        .value_kind:     by_value
    .group_segment_fixed_size: 0
    .kernarg_segment_align: 8
    .kernarg_segment_size: 104
    .language:       OpenCL C
    .language_version:
      - 2
      - 0
    .max_flat_workgroup_size: 256
    .name:           _ZN7rocprim17ROCPRIM_400000_NS6detail17trampoline_kernelINS0_14default_configENS1_20scan_config_selectorIfEEZZNS1_9scan_implILNS1_25lookback_scan_determinismE0ELb0ELb0ES3_N6thrust23THRUST_200600_302600_NS6detail15normal_iteratorINS9_10device_ptrIfEEEENS9_16discard_iteratorINS9_11use_defaultEEEf11max_functorIfEfEEDaPvRmT3_T4_T5_mT6_P12ihipStream_tbENKUlT_T0_E_clISt17integral_constantIbLb1EESX_EEDaSS_ST_EUlSS_E_NS1_11comp_targetILNS1_3genE5ELNS1_11target_archE942ELNS1_3gpuE9ELNS1_3repE0EEENS1_30default_config_static_selectorELNS0_4arch9wavefront6targetE1EEEvT1_
    .private_segment_fixed_size: 0
    .sgpr_count:     4
    .sgpr_spill_count: 0
    .symbol:         _ZN7rocprim17ROCPRIM_400000_NS6detail17trampoline_kernelINS0_14default_configENS1_20scan_config_selectorIfEEZZNS1_9scan_implILNS1_25lookback_scan_determinismE0ELb0ELb0ES3_N6thrust23THRUST_200600_302600_NS6detail15normal_iteratorINS9_10device_ptrIfEEEENS9_16discard_iteratorINS9_11use_defaultEEEf11max_functorIfEfEEDaPvRmT3_T4_T5_mT6_P12ihipStream_tbENKUlT_T0_E_clISt17integral_constantIbLb1EESX_EEDaSS_ST_EUlSS_E_NS1_11comp_targetILNS1_3genE5ELNS1_11target_archE942ELNS1_3gpuE9ELNS1_3repE0EEENS1_30default_config_static_selectorELNS0_4arch9wavefront6targetE1EEEvT1_.kd
    .uniform_work_group_size: 1
    .uses_dynamic_stack: false
    .vgpr_count:     0
    .vgpr_spill_count: 0
    .wavefront_size: 64
  - .agpr_count:     0
    .args:
      - .offset:         0
        .size:           104
        .value_kind:     by_value
    .group_segment_fixed_size: 7168
    .kernarg_segment_align: 8
    .kernarg_segment_size: 104
    .language:       OpenCL C
    .language_version:
      - 2
      - 0
    .max_flat_workgroup_size: 128
    .name:           _ZN7rocprim17ROCPRIM_400000_NS6detail17trampoline_kernelINS0_14default_configENS1_20scan_config_selectorIfEEZZNS1_9scan_implILNS1_25lookback_scan_determinismE0ELb0ELb0ES3_N6thrust23THRUST_200600_302600_NS6detail15normal_iteratorINS9_10device_ptrIfEEEENS9_16discard_iteratorINS9_11use_defaultEEEf11max_functorIfEfEEDaPvRmT3_T4_T5_mT6_P12ihipStream_tbENKUlT_T0_E_clISt17integral_constantIbLb1EESX_EEDaSS_ST_EUlSS_E_NS1_11comp_targetILNS1_3genE4ELNS1_11target_archE910ELNS1_3gpuE8ELNS1_3repE0EEENS1_30default_config_static_selectorELNS0_4arch9wavefront6targetE1EEEvT1_
    .private_segment_fixed_size: 0
    .sgpr_count:     36
    .sgpr_spill_count: 0
    .symbol:         _ZN7rocprim17ROCPRIM_400000_NS6detail17trampoline_kernelINS0_14default_configENS1_20scan_config_selectorIfEEZZNS1_9scan_implILNS1_25lookback_scan_determinismE0ELb0ELb0ES3_N6thrust23THRUST_200600_302600_NS6detail15normal_iteratorINS9_10device_ptrIfEEEENS9_16discard_iteratorINS9_11use_defaultEEEf11max_functorIfEfEEDaPvRmT3_T4_T5_mT6_P12ihipStream_tbENKUlT_T0_E_clISt17integral_constantIbLb1EESX_EEDaSS_ST_EUlSS_E_NS1_11comp_targetILNS1_3genE4ELNS1_11target_archE910ELNS1_3gpuE8ELNS1_3repE0EEENS1_30default_config_static_selectorELNS0_4arch9wavefront6targetE1EEEvT1_.kd
    .uniform_work_group_size: 1
    .uses_dynamic_stack: false
    .vgpr_count:     43
    .vgpr_spill_count: 0
    .wavefront_size: 64
  - .agpr_count:     0
    .args:
      - .offset:         0
        .size:           104
        .value_kind:     by_value
    .group_segment_fixed_size: 0
    .kernarg_segment_align: 8
    .kernarg_segment_size: 104
    .language:       OpenCL C
    .language_version:
      - 2
      - 0
    .max_flat_workgroup_size: 256
    .name:           _ZN7rocprim17ROCPRIM_400000_NS6detail17trampoline_kernelINS0_14default_configENS1_20scan_config_selectorIfEEZZNS1_9scan_implILNS1_25lookback_scan_determinismE0ELb0ELb0ES3_N6thrust23THRUST_200600_302600_NS6detail15normal_iteratorINS9_10device_ptrIfEEEENS9_16discard_iteratorINS9_11use_defaultEEEf11max_functorIfEfEEDaPvRmT3_T4_T5_mT6_P12ihipStream_tbENKUlT_T0_E_clISt17integral_constantIbLb1EESX_EEDaSS_ST_EUlSS_E_NS1_11comp_targetILNS1_3genE3ELNS1_11target_archE908ELNS1_3gpuE7ELNS1_3repE0EEENS1_30default_config_static_selectorELNS0_4arch9wavefront6targetE1EEEvT1_
    .private_segment_fixed_size: 0
    .sgpr_count:     4
    .sgpr_spill_count: 0
    .symbol:         _ZN7rocprim17ROCPRIM_400000_NS6detail17trampoline_kernelINS0_14default_configENS1_20scan_config_selectorIfEEZZNS1_9scan_implILNS1_25lookback_scan_determinismE0ELb0ELb0ES3_N6thrust23THRUST_200600_302600_NS6detail15normal_iteratorINS9_10device_ptrIfEEEENS9_16discard_iteratorINS9_11use_defaultEEEf11max_functorIfEfEEDaPvRmT3_T4_T5_mT6_P12ihipStream_tbENKUlT_T0_E_clISt17integral_constantIbLb1EESX_EEDaSS_ST_EUlSS_E_NS1_11comp_targetILNS1_3genE3ELNS1_11target_archE908ELNS1_3gpuE7ELNS1_3repE0EEENS1_30default_config_static_selectorELNS0_4arch9wavefront6targetE1EEEvT1_.kd
    .uniform_work_group_size: 1
    .uses_dynamic_stack: false
    .vgpr_count:     0
    .vgpr_spill_count: 0
    .wavefront_size: 64
  - .agpr_count:     0
    .args:
      - .offset:         0
        .size:           104
        .value_kind:     by_value
    .group_segment_fixed_size: 0
    .kernarg_segment_align: 8
    .kernarg_segment_size: 104
    .language:       OpenCL C
    .language_version:
      - 2
      - 0
    .max_flat_workgroup_size: 256
    .name:           _ZN7rocprim17ROCPRIM_400000_NS6detail17trampoline_kernelINS0_14default_configENS1_20scan_config_selectorIfEEZZNS1_9scan_implILNS1_25lookback_scan_determinismE0ELb0ELb0ES3_N6thrust23THRUST_200600_302600_NS6detail15normal_iteratorINS9_10device_ptrIfEEEENS9_16discard_iteratorINS9_11use_defaultEEEf11max_functorIfEfEEDaPvRmT3_T4_T5_mT6_P12ihipStream_tbENKUlT_T0_E_clISt17integral_constantIbLb1EESX_EEDaSS_ST_EUlSS_E_NS1_11comp_targetILNS1_3genE2ELNS1_11target_archE906ELNS1_3gpuE6ELNS1_3repE0EEENS1_30default_config_static_selectorELNS0_4arch9wavefront6targetE1EEEvT1_
    .private_segment_fixed_size: 0
    .sgpr_count:     4
    .sgpr_spill_count: 0
    .symbol:         _ZN7rocprim17ROCPRIM_400000_NS6detail17trampoline_kernelINS0_14default_configENS1_20scan_config_selectorIfEEZZNS1_9scan_implILNS1_25lookback_scan_determinismE0ELb0ELb0ES3_N6thrust23THRUST_200600_302600_NS6detail15normal_iteratorINS9_10device_ptrIfEEEENS9_16discard_iteratorINS9_11use_defaultEEEf11max_functorIfEfEEDaPvRmT3_T4_T5_mT6_P12ihipStream_tbENKUlT_T0_E_clISt17integral_constantIbLb1EESX_EEDaSS_ST_EUlSS_E_NS1_11comp_targetILNS1_3genE2ELNS1_11target_archE906ELNS1_3gpuE6ELNS1_3repE0EEENS1_30default_config_static_selectorELNS0_4arch9wavefront6targetE1EEEvT1_.kd
    .uniform_work_group_size: 1
    .uses_dynamic_stack: false
    .vgpr_count:     0
    .vgpr_spill_count: 0
    .wavefront_size: 64
  - .agpr_count:     0
    .args:
      - .offset:         0
        .size:           104
        .value_kind:     by_value
    .group_segment_fixed_size: 0
    .kernarg_segment_align: 8
    .kernarg_segment_size: 104
    .language:       OpenCL C
    .language_version:
      - 2
      - 0
    .max_flat_workgroup_size: 256
    .name:           _ZN7rocprim17ROCPRIM_400000_NS6detail17trampoline_kernelINS0_14default_configENS1_20scan_config_selectorIfEEZZNS1_9scan_implILNS1_25lookback_scan_determinismE0ELb0ELb0ES3_N6thrust23THRUST_200600_302600_NS6detail15normal_iteratorINS9_10device_ptrIfEEEENS9_16discard_iteratorINS9_11use_defaultEEEf11max_functorIfEfEEDaPvRmT3_T4_T5_mT6_P12ihipStream_tbENKUlT_T0_E_clISt17integral_constantIbLb1EESX_EEDaSS_ST_EUlSS_E_NS1_11comp_targetILNS1_3genE10ELNS1_11target_archE1201ELNS1_3gpuE5ELNS1_3repE0EEENS1_30default_config_static_selectorELNS0_4arch9wavefront6targetE1EEEvT1_
    .private_segment_fixed_size: 0
    .sgpr_count:     4
    .sgpr_spill_count: 0
    .symbol:         _ZN7rocprim17ROCPRIM_400000_NS6detail17trampoline_kernelINS0_14default_configENS1_20scan_config_selectorIfEEZZNS1_9scan_implILNS1_25lookback_scan_determinismE0ELb0ELb0ES3_N6thrust23THRUST_200600_302600_NS6detail15normal_iteratorINS9_10device_ptrIfEEEENS9_16discard_iteratorINS9_11use_defaultEEEf11max_functorIfEfEEDaPvRmT3_T4_T5_mT6_P12ihipStream_tbENKUlT_T0_E_clISt17integral_constantIbLb1EESX_EEDaSS_ST_EUlSS_E_NS1_11comp_targetILNS1_3genE10ELNS1_11target_archE1201ELNS1_3gpuE5ELNS1_3repE0EEENS1_30default_config_static_selectorELNS0_4arch9wavefront6targetE1EEEvT1_.kd
    .uniform_work_group_size: 1
    .uses_dynamic_stack: false
    .vgpr_count:     0
    .vgpr_spill_count: 0
    .wavefront_size: 64
  - .agpr_count:     0
    .args:
      - .offset:         0
        .size:           104
        .value_kind:     by_value
    .group_segment_fixed_size: 0
    .kernarg_segment_align: 8
    .kernarg_segment_size: 104
    .language:       OpenCL C
    .language_version:
      - 2
      - 0
    .max_flat_workgroup_size: 256
    .name:           _ZN7rocprim17ROCPRIM_400000_NS6detail17trampoline_kernelINS0_14default_configENS1_20scan_config_selectorIfEEZZNS1_9scan_implILNS1_25lookback_scan_determinismE0ELb0ELb0ES3_N6thrust23THRUST_200600_302600_NS6detail15normal_iteratorINS9_10device_ptrIfEEEENS9_16discard_iteratorINS9_11use_defaultEEEf11max_functorIfEfEEDaPvRmT3_T4_T5_mT6_P12ihipStream_tbENKUlT_T0_E_clISt17integral_constantIbLb1EESX_EEDaSS_ST_EUlSS_E_NS1_11comp_targetILNS1_3genE10ELNS1_11target_archE1200ELNS1_3gpuE4ELNS1_3repE0EEENS1_30default_config_static_selectorELNS0_4arch9wavefront6targetE1EEEvT1_
    .private_segment_fixed_size: 0
    .sgpr_count:     4
    .sgpr_spill_count: 0
    .symbol:         _ZN7rocprim17ROCPRIM_400000_NS6detail17trampoline_kernelINS0_14default_configENS1_20scan_config_selectorIfEEZZNS1_9scan_implILNS1_25lookback_scan_determinismE0ELb0ELb0ES3_N6thrust23THRUST_200600_302600_NS6detail15normal_iteratorINS9_10device_ptrIfEEEENS9_16discard_iteratorINS9_11use_defaultEEEf11max_functorIfEfEEDaPvRmT3_T4_T5_mT6_P12ihipStream_tbENKUlT_T0_E_clISt17integral_constantIbLb1EESX_EEDaSS_ST_EUlSS_E_NS1_11comp_targetILNS1_3genE10ELNS1_11target_archE1200ELNS1_3gpuE4ELNS1_3repE0EEENS1_30default_config_static_selectorELNS0_4arch9wavefront6targetE1EEEvT1_.kd
    .uniform_work_group_size: 1
    .uses_dynamic_stack: false
    .vgpr_count:     0
    .vgpr_spill_count: 0
    .wavefront_size: 64
  - .agpr_count:     0
    .args:
      - .offset:         0
        .size:           104
        .value_kind:     by_value
    .group_segment_fixed_size: 0
    .kernarg_segment_align: 8
    .kernarg_segment_size: 104
    .language:       OpenCL C
    .language_version:
      - 2
      - 0
    .max_flat_workgroup_size: 256
    .name:           _ZN7rocprim17ROCPRIM_400000_NS6detail17trampoline_kernelINS0_14default_configENS1_20scan_config_selectorIfEEZZNS1_9scan_implILNS1_25lookback_scan_determinismE0ELb0ELb0ES3_N6thrust23THRUST_200600_302600_NS6detail15normal_iteratorINS9_10device_ptrIfEEEENS9_16discard_iteratorINS9_11use_defaultEEEf11max_functorIfEfEEDaPvRmT3_T4_T5_mT6_P12ihipStream_tbENKUlT_T0_E_clISt17integral_constantIbLb1EESX_EEDaSS_ST_EUlSS_E_NS1_11comp_targetILNS1_3genE9ELNS1_11target_archE1100ELNS1_3gpuE3ELNS1_3repE0EEENS1_30default_config_static_selectorELNS0_4arch9wavefront6targetE1EEEvT1_
    .private_segment_fixed_size: 0
    .sgpr_count:     4
    .sgpr_spill_count: 0
    .symbol:         _ZN7rocprim17ROCPRIM_400000_NS6detail17trampoline_kernelINS0_14default_configENS1_20scan_config_selectorIfEEZZNS1_9scan_implILNS1_25lookback_scan_determinismE0ELb0ELb0ES3_N6thrust23THRUST_200600_302600_NS6detail15normal_iteratorINS9_10device_ptrIfEEEENS9_16discard_iteratorINS9_11use_defaultEEEf11max_functorIfEfEEDaPvRmT3_T4_T5_mT6_P12ihipStream_tbENKUlT_T0_E_clISt17integral_constantIbLb1EESX_EEDaSS_ST_EUlSS_E_NS1_11comp_targetILNS1_3genE9ELNS1_11target_archE1100ELNS1_3gpuE3ELNS1_3repE0EEENS1_30default_config_static_selectorELNS0_4arch9wavefront6targetE1EEEvT1_.kd
    .uniform_work_group_size: 1
    .uses_dynamic_stack: false
    .vgpr_count:     0
    .vgpr_spill_count: 0
    .wavefront_size: 64
  - .agpr_count:     0
    .args:
      - .offset:         0
        .size:           104
        .value_kind:     by_value
    .group_segment_fixed_size: 0
    .kernarg_segment_align: 8
    .kernarg_segment_size: 104
    .language:       OpenCL C
    .language_version:
      - 2
      - 0
    .max_flat_workgroup_size: 64
    .name:           _ZN7rocprim17ROCPRIM_400000_NS6detail17trampoline_kernelINS0_14default_configENS1_20scan_config_selectorIfEEZZNS1_9scan_implILNS1_25lookback_scan_determinismE0ELb0ELb0ES3_N6thrust23THRUST_200600_302600_NS6detail15normal_iteratorINS9_10device_ptrIfEEEENS9_16discard_iteratorINS9_11use_defaultEEEf11max_functorIfEfEEDaPvRmT3_T4_T5_mT6_P12ihipStream_tbENKUlT_T0_E_clISt17integral_constantIbLb1EESX_EEDaSS_ST_EUlSS_E_NS1_11comp_targetILNS1_3genE8ELNS1_11target_archE1030ELNS1_3gpuE2ELNS1_3repE0EEENS1_30default_config_static_selectorELNS0_4arch9wavefront6targetE1EEEvT1_
    .private_segment_fixed_size: 0
    .sgpr_count:     4
    .sgpr_spill_count: 0
    .symbol:         _ZN7rocprim17ROCPRIM_400000_NS6detail17trampoline_kernelINS0_14default_configENS1_20scan_config_selectorIfEEZZNS1_9scan_implILNS1_25lookback_scan_determinismE0ELb0ELb0ES3_N6thrust23THRUST_200600_302600_NS6detail15normal_iteratorINS9_10device_ptrIfEEEENS9_16discard_iteratorINS9_11use_defaultEEEf11max_functorIfEfEEDaPvRmT3_T4_T5_mT6_P12ihipStream_tbENKUlT_T0_E_clISt17integral_constantIbLb1EESX_EEDaSS_ST_EUlSS_E_NS1_11comp_targetILNS1_3genE8ELNS1_11target_archE1030ELNS1_3gpuE2ELNS1_3repE0EEENS1_30default_config_static_selectorELNS0_4arch9wavefront6targetE1EEEvT1_.kd
    .uniform_work_group_size: 1
    .uses_dynamic_stack: false
    .vgpr_count:     0
    .vgpr_spill_count: 0
    .wavefront_size: 64
  - .agpr_count:     0
    .args:
      - .offset:         0
        .size:           40
        .value_kind:     by_value
    .group_segment_fixed_size: 0
    .kernarg_segment_align: 8
    .kernarg_segment_size: 40
    .language:       OpenCL C
    .language_version:
      - 2
      - 0
    .max_flat_workgroup_size: 256
    .name:           _ZN7rocprim17ROCPRIM_400000_NS6detail17trampoline_kernelINS0_14default_configENS1_20scan_config_selectorIfEEZZNS1_9scan_implILNS1_25lookback_scan_determinismE0ELb0ELb0ES3_N6thrust23THRUST_200600_302600_NS6detail15normal_iteratorINS9_10device_ptrIfEEEENS9_16discard_iteratorINS9_11use_defaultEEEf11max_functorIfEfEEDaPvRmT3_T4_T5_mT6_P12ihipStream_tbENKUlT_T0_E_clISt17integral_constantIbLb1EESX_EEDaSS_ST_EUlSS_E0_NS1_11comp_targetILNS1_3genE0ELNS1_11target_archE4294967295ELNS1_3gpuE0ELNS1_3repE0EEENS1_30default_config_static_selectorELNS0_4arch9wavefront6targetE1EEEvT1_
    .private_segment_fixed_size: 0
    .sgpr_count:     4
    .sgpr_spill_count: 0
    .symbol:         _ZN7rocprim17ROCPRIM_400000_NS6detail17trampoline_kernelINS0_14default_configENS1_20scan_config_selectorIfEEZZNS1_9scan_implILNS1_25lookback_scan_determinismE0ELb0ELb0ES3_N6thrust23THRUST_200600_302600_NS6detail15normal_iteratorINS9_10device_ptrIfEEEENS9_16discard_iteratorINS9_11use_defaultEEEf11max_functorIfEfEEDaPvRmT3_T4_T5_mT6_P12ihipStream_tbENKUlT_T0_E_clISt17integral_constantIbLb1EESX_EEDaSS_ST_EUlSS_E0_NS1_11comp_targetILNS1_3genE0ELNS1_11target_archE4294967295ELNS1_3gpuE0ELNS1_3repE0EEENS1_30default_config_static_selectorELNS0_4arch9wavefront6targetE1EEEvT1_.kd
    .uniform_work_group_size: 1
    .uses_dynamic_stack: false
    .vgpr_count:     0
    .vgpr_spill_count: 0
    .wavefront_size: 64
  - .agpr_count:     0
    .args:
      - .offset:         0
        .size:           40
        .value_kind:     by_value
    .group_segment_fixed_size: 0
    .kernarg_segment_align: 8
    .kernarg_segment_size: 40
    .language:       OpenCL C
    .language_version:
      - 2
      - 0
    .max_flat_workgroup_size: 256
    .name:           _ZN7rocprim17ROCPRIM_400000_NS6detail17trampoline_kernelINS0_14default_configENS1_20scan_config_selectorIfEEZZNS1_9scan_implILNS1_25lookback_scan_determinismE0ELb0ELb0ES3_N6thrust23THRUST_200600_302600_NS6detail15normal_iteratorINS9_10device_ptrIfEEEENS9_16discard_iteratorINS9_11use_defaultEEEf11max_functorIfEfEEDaPvRmT3_T4_T5_mT6_P12ihipStream_tbENKUlT_T0_E_clISt17integral_constantIbLb1EESX_EEDaSS_ST_EUlSS_E0_NS1_11comp_targetILNS1_3genE5ELNS1_11target_archE942ELNS1_3gpuE9ELNS1_3repE0EEENS1_30default_config_static_selectorELNS0_4arch9wavefront6targetE1EEEvT1_
    .private_segment_fixed_size: 0
    .sgpr_count:     4
    .sgpr_spill_count: 0
    .symbol:         _ZN7rocprim17ROCPRIM_400000_NS6detail17trampoline_kernelINS0_14default_configENS1_20scan_config_selectorIfEEZZNS1_9scan_implILNS1_25lookback_scan_determinismE0ELb0ELb0ES3_N6thrust23THRUST_200600_302600_NS6detail15normal_iteratorINS9_10device_ptrIfEEEENS9_16discard_iteratorINS9_11use_defaultEEEf11max_functorIfEfEEDaPvRmT3_T4_T5_mT6_P12ihipStream_tbENKUlT_T0_E_clISt17integral_constantIbLb1EESX_EEDaSS_ST_EUlSS_E0_NS1_11comp_targetILNS1_3genE5ELNS1_11target_archE942ELNS1_3gpuE9ELNS1_3repE0EEENS1_30default_config_static_selectorELNS0_4arch9wavefront6targetE1EEEvT1_.kd
    .uniform_work_group_size: 1
    .uses_dynamic_stack: false
    .vgpr_count:     0
    .vgpr_spill_count: 0
    .wavefront_size: 64
  - .agpr_count:     0
    .args:
      - .offset:         0
        .size:           40
        .value_kind:     by_value
    .group_segment_fixed_size: 7168
    .kernarg_segment_align: 8
    .kernarg_segment_size: 40
    .language:       OpenCL C
    .language_version:
      - 2
      - 0
    .max_flat_workgroup_size: 128
    .name:           _ZN7rocprim17ROCPRIM_400000_NS6detail17trampoline_kernelINS0_14default_configENS1_20scan_config_selectorIfEEZZNS1_9scan_implILNS1_25lookback_scan_determinismE0ELb0ELb0ES3_N6thrust23THRUST_200600_302600_NS6detail15normal_iteratorINS9_10device_ptrIfEEEENS9_16discard_iteratorINS9_11use_defaultEEEf11max_functorIfEfEEDaPvRmT3_T4_T5_mT6_P12ihipStream_tbENKUlT_T0_E_clISt17integral_constantIbLb1EESX_EEDaSS_ST_EUlSS_E0_NS1_11comp_targetILNS1_3genE4ELNS1_11target_archE910ELNS1_3gpuE8ELNS1_3repE0EEENS1_30default_config_static_selectorELNS0_4arch9wavefront6targetE1EEEvT1_
    .private_segment_fixed_size: 0
    .sgpr_count:     12
    .sgpr_spill_count: 0
    .symbol:         _ZN7rocprim17ROCPRIM_400000_NS6detail17trampoline_kernelINS0_14default_configENS1_20scan_config_selectorIfEEZZNS1_9scan_implILNS1_25lookback_scan_determinismE0ELb0ELb0ES3_N6thrust23THRUST_200600_302600_NS6detail15normal_iteratorINS9_10device_ptrIfEEEENS9_16discard_iteratorINS9_11use_defaultEEEf11max_functorIfEfEEDaPvRmT3_T4_T5_mT6_P12ihipStream_tbENKUlT_T0_E_clISt17integral_constantIbLb1EESX_EEDaSS_ST_EUlSS_E0_NS1_11comp_targetILNS1_3genE4ELNS1_11target_archE910ELNS1_3gpuE8ELNS1_3repE0EEENS1_30default_config_static_selectorELNS0_4arch9wavefront6targetE1EEEvT1_.kd
    .uniform_work_group_size: 1
    .uses_dynamic_stack: false
    .vgpr_count:     24
    .vgpr_spill_count: 0
    .wavefront_size: 64
  - .agpr_count:     0
    .args:
      - .offset:         0
        .size:           40
        .value_kind:     by_value
    .group_segment_fixed_size: 0
    .kernarg_segment_align: 8
    .kernarg_segment_size: 40
    .language:       OpenCL C
    .language_version:
      - 2
      - 0
    .max_flat_workgroup_size: 256
    .name:           _ZN7rocprim17ROCPRIM_400000_NS6detail17trampoline_kernelINS0_14default_configENS1_20scan_config_selectorIfEEZZNS1_9scan_implILNS1_25lookback_scan_determinismE0ELb0ELb0ES3_N6thrust23THRUST_200600_302600_NS6detail15normal_iteratorINS9_10device_ptrIfEEEENS9_16discard_iteratorINS9_11use_defaultEEEf11max_functorIfEfEEDaPvRmT3_T4_T5_mT6_P12ihipStream_tbENKUlT_T0_E_clISt17integral_constantIbLb1EESX_EEDaSS_ST_EUlSS_E0_NS1_11comp_targetILNS1_3genE3ELNS1_11target_archE908ELNS1_3gpuE7ELNS1_3repE0EEENS1_30default_config_static_selectorELNS0_4arch9wavefront6targetE1EEEvT1_
    .private_segment_fixed_size: 0
    .sgpr_count:     4
    .sgpr_spill_count: 0
    .symbol:         _ZN7rocprim17ROCPRIM_400000_NS6detail17trampoline_kernelINS0_14default_configENS1_20scan_config_selectorIfEEZZNS1_9scan_implILNS1_25lookback_scan_determinismE0ELb0ELb0ES3_N6thrust23THRUST_200600_302600_NS6detail15normal_iteratorINS9_10device_ptrIfEEEENS9_16discard_iteratorINS9_11use_defaultEEEf11max_functorIfEfEEDaPvRmT3_T4_T5_mT6_P12ihipStream_tbENKUlT_T0_E_clISt17integral_constantIbLb1EESX_EEDaSS_ST_EUlSS_E0_NS1_11comp_targetILNS1_3genE3ELNS1_11target_archE908ELNS1_3gpuE7ELNS1_3repE0EEENS1_30default_config_static_selectorELNS0_4arch9wavefront6targetE1EEEvT1_.kd
    .uniform_work_group_size: 1
    .uses_dynamic_stack: false
    .vgpr_count:     0
    .vgpr_spill_count: 0
    .wavefront_size: 64
  - .agpr_count:     0
    .args:
      - .offset:         0
        .size:           40
        .value_kind:     by_value
    .group_segment_fixed_size: 0
    .kernarg_segment_align: 8
    .kernarg_segment_size: 40
    .language:       OpenCL C
    .language_version:
      - 2
      - 0
    .max_flat_workgroup_size: 256
    .name:           _ZN7rocprim17ROCPRIM_400000_NS6detail17trampoline_kernelINS0_14default_configENS1_20scan_config_selectorIfEEZZNS1_9scan_implILNS1_25lookback_scan_determinismE0ELb0ELb0ES3_N6thrust23THRUST_200600_302600_NS6detail15normal_iteratorINS9_10device_ptrIfEEEENS9_16discard_iteratorINS9_11use_defaultEEEf11max_functorIfEfEEDaPvRmT3_T4_T5_mT6_P12ihipStream_tbENKUlT_T0_E_clISt17integral_constantIbLb1EESX_EEDaSS_ST_EUlSS_E0_NS1_11comp_targetILNS1_3genE2ELNS1_11target_archE906ELNS1_3gpuE6ELNS1_3repE0EEENS1_30default_config_static_selectorELNS0_4arch9wavefront6targetE1EEEvT1_
    .private_segment_fixed_size: 0
    .sgpr_count:     4
    .sgpr_spill_count: 0
    .symbol:         _ZN7rocprim17ROCPRIM_400000_NS6detail17trampoline_kernelINS0_14default_configENS1_20scan_config_selectorIfEEZZNS1_9scan_implILNS1_25lookback_scan_determinismE0ELb0ELb0ES3_N6thrust23THRUST_200600_302600_NS6detail15normal_iteratorINS9_10device_ptrIfEEEENS9_16discard_iteratorINS9_11use_defaultEEEf11max_functorIfEfEEDaPvRmT3_T4_T5_mT6_P12ihipStream_tbENKUlT_T0_E_clISt17integral_constantIbLb1EESX_EEDaSS_ST_EUlSS_E0_NS1_11comp_targetILNS1_3genE2ELNS1_11target_archE906ELNS1_3gpuE6ELNS1_3repE0EEENS1_30default_config_static_selectorELNS0_4arch9wavefront6targetE1EEEvT1_.kd
    .uniform_work_group_size: 1
    .uses_dynamic_stack: false
    .vgpr_count:     0
    .vgpr_spill_count: 0
    .wavefront_size: 64
  - .agpr_count:     0
    .args:
      - .offset:         0
        .size:           40
        .value_kind:     by_value
    .group_segment_fixed_size: 0
    .kernarg_segment_align: 8
    .kernarg_segment_size: 40
    .language:       OpenCL C
    .language_version:
      - 2
      - 0
    .max_flat_workgroup_size: 256
    .name:           _ZN7rocprim17ROCPRIM_400000_NS6detail17trampoline_kernelINS0_14default_configENS1_20scan_config_selectorIfEEZZNS1_9scan_implILNS1_25lookback_scan_determinismE0ELb0ELb0ES3_N6thrust23THRUST_200600_302600_NS6detail15normal_iteratorINS9_10device_ptrIfEEEENS9_16discard_iteratorINS9_11use_defaultEEEf11max_functorIfEfEEDaPvRmT3_T4_T5_mT6_P12ihipStream_tbENKUlT_T0_E_clISt17integral_constantIbLb1EESX_EEDaSS_ST_EUlSS_E0_NS1_11comp_targetILNS1_3genE10ELNS1_11target_archE1201ELNS1_3gpuE5ELNS1_3repE0EEENS1_30default_config_static_selectorELNS0_4arch9wavefront6targetE1EEEvT1_
    .private_segment_fixed_size: 0
    .sgpr_count:     4
    .sgpr_spill_count: 0
    .symbol:         _ZN7rocprim17ROCPRIM_400000_NS6detail17trampoline_kernelINS0_14default_configENS1_20scan_config_selectorIfEEZZNS1_9scan_implILNS1_25lookback_scan_determinismE0ELb0ELb0ES3_N6thrust23THRUST_200600_302600_NS6detail15normal_iteratorINS9_10device_ptrIfEEEENS9_16discard_iteratorINS9_11use_defaultEEEf11max_functorIfEfEEDaPvRmT3_T4_T5_mT6_P12ihipStream_tbENKUlT_T0_E_clISt17integral_constantIbLb1EESX_EEDaSS_ST_EUlSS_E0_NS1_11comp_targetILNS1_3genE10ELNS1_11target_archE1201ELNS1_3gpuE5ELNS1_3repE0EEENS1_30default_config_static_selectorELNS0_4arch9wavefront6targetE1EEEvT1_.kd
    .uniform_work_group_size: 1
    .uses_dynamic_stack: false
    .vgpr_count:     0
    .vgpr_spill_count: 0
    .wavefront_size: 64
  - .agpr_count:     0
    .args:
      - .offset:         0
        .size:           40
        .value_kind:     by_value
    .group_segment_fixed_size: 0
    .kernarg_segment_align: 8
    .kernarg_segment_size: 40
    .language:       OpenCL C
    .language_version:
      - 2
      - 0
    .max_flat_workgroup_size: 256
    .name:           _ZN7rocprim17ROCPRIM_400000_NS6detail17trampoline_kernelINS0_14default_configENS1_20scan_config_selectorIfEEZZNS1_9scan_implILNS1_25lookback_scan_determinismE0ELb0ELb0ES3_N6thrust23THRUST_200600_302600_NS6detail15normal_iteratorINS9_10device_ptrIfEEEENS9_16discard_iteratorINS9_11use_defaultEEEf11max_functorIfEfEEDaPvRmT3_T4_T5_mT6_P12ihipStream_tbENKUlT_T0_E_clISt17integral_constantIbLb1EESX_EEDaSS_ST_EUlSS_E0_NS1_11comp_targetILNS1_3genE10ELNS1_11target_archE1200ELNS1_3gpuE4ELNS1_3repE0EEENS1_30default_config_static_selectorELNS0_4arch9wavefront6targetE1EEEvT1_
    .private_segment_fixed_size: 0
    .sgpr_count:     4
    .sgpr_spill_count: 0
    .symbol:         _ZN7rocprim17ROCPRIM_400000_NS6detail17trampoline_kernelINS0_14default_configENS1_20scan_config_selectorIfEEZZNS1_9scan_implILNS1_25lookback_scan_determinismE0ELb0ELb0ES3_N6thrust23THRUST_200600_302600_NS6detail15normal_iteratorINS9_10device_ptrIfEEEENS9_16discard_iteratorINS9_11use_defaultEEEf11max_functorIfEfEEDaPvRmT3_T4_T5_mT6_P12ihipStream_tbENKUlT_T0_E_clISt17integral_constantIbLb1EESX_EEDaSS_ST_EUlSS_E0_NS1_11comp_targetILNS1_3genE10ELNS1_11target_archE1200ELNS1_3gpuE4ELNS1_3repE0EEENS1_30default_config_static_selectorELNS0_4arch9wavefront6targetE1EEEvT1_.kd
    .uniform_work_group_size: 1
    .uses_dynamic_stack: false
    .vgpr_count:     0
    .vgpr_spill_count: 0
    .wavefront_size: 64
  - .agpr_count:     0
    .args:
      - .offset:         0
        .size:           40
        .value_kind:     by_value
    .group_segment_fixed_size: 0
    .kernarg_segment_align: 8
    .kernarg_segment_size: 40
    .language:       OpenCL C
    .language_version:
      - 2
      - 0
    .max_flat_workgroup_size: 256
    .name:           _ZN7rocprim17ROCPRIM_400000_NS6detail17trampoline_kernelINS0_14default_configENS1_20scan_config_selectorIfEEZZNS1_9scan_implILNS1_25lookback_scan_determinismE0ELb0ELb0ES3_N6thrust23THRUST_200600_302600_NS6detail15normal_iteratorINS9_10device_ptrIfEEEENS9_16discard_iteratorINS9_11use_defaultEEEf11max_functorIfEfEEDaPvRmT3_T4_T5_mT6_P12ihipStream_tbENKUlT_T0_E_clISt17integral_constantIbLb1EESX_EEDaSS_ST_EUlSS_E0_NS1_11comp_targetILNS1_3genE9ELNS1_11target_archE1100ELNS1_3gpuE3ELNS1_3repE0EEENS1_30default_config_static_selectorELNS0_4arch9wavefront6targetE1EEEvT1_
    .private_segment_fixed_size: 0
    .sgpr_count:     4
    .sgpr_spill_count: 0
    .symbol:         _ZN7rocprim17ROCPRIM_400000_NS6detail17trampoline_kernelINS0_14default_configENS1_20scan_config_selectorIfEEZZNS1_9scan_implILNS1_25lookback_scan_determinismE0ELb0ELb0ES3_N6thrust23THRUST_200600_302600_NS6detail15normal_iteratorINS9_10device_ptrIfEEEENS9_16discard_iteratorINS9_11use_defaultEEEf11max_functorIfEfEEDaPvRmT3_T4_T5_mT6_P12ihipStream_tbENKUlT_T0_E_clISt17integral_constantIbLb1EESX_EEDaSS_ST_EUlSS_E0_NS1_11comp_targetILNS1_3genE9ELNS1_11target_archE1100ELNS1_3gpuE3ELNS1_3repE0EEENS1_30default_config_static_selectorELNS0_4arch9wavefront6targetE1EEEvT1_.kd
    .uniform_work_group_size: 1
    .uses_dynamic_stack: false
    .vgpr_count:     0
    .vgpr_spill_count: 0
    .wavefront_size: 64
  - .agpr_count:     0
    .args:
      - .offset:         0
        .size:           40
        .value_kind:     by_value
    .group_segment_fixed_size: 0
    .kernarg_segment_align: 8
    .kernarg_segment_size: 40
    .language:       OpenCL C
    .language_version:
      - 2
      - 0
    .max_flat_workgroup_size: 64
    .name:           _ZN7rocprim17ROCPRIM_400000_NS6detail17trampoline_kernelINS0_14default_configENS1_20scan_config_selectorIfEEZZNS1_9scan_implILNS1_25lookback_scan_determinismE0ELb0ELb0ES3_N6thrust23THRUST_200600_302600_NS6detail15normal_iteratorINS9_10device_ptrIfEEEENS9_16discard_iteratorINS9_11use_defaultEEEf11max_functorIfEfEEDaPvRmT3_T4_T5_mT6_P12ihipStream_tbENKUlT_T0_E_clISt17integral_constantIbLb1EESX_EEDaSS_ST_EUlSS_E0_NS1_11comp_targetILNS1_3genE8ELNS1_11target_archE1030ELNS1_3gpuE2ELNS1_3repE0EEENS1_30default_config_static_selectorELNS0_4arch9wavefront6targetE1EEEvT1_
    .private_segment_fixed_size: 0
    .sgpr_count:     4
    .sgpr_spill_count: 0
    .symbol:         _ZN7rocprim17ROCPRIM_400000_NS6detail17trampoline_kernelINS0_14default_configENS1_20scan_config_selectorIfEEZZNS1_9scan_implILNS1_25lookback_scan_determinismE0ELb0ELb0ES3_N6thrust23THRUST_200600_302600_NS6detail15normal_iteratorINS9_10device_ptrIfEEEENS9_16discard_iteratorINS9_11use_defaultEEEf11max_functorIfEfEEDaPvRmT3_T4_T5_mT6_P12ihipStream_tbENKUlT_T0_E_clISt17integral_constantIbLb1EESX_EEDaSS_ST_EUlSS_E0_NS1_11comp_targetILNS1_3genE8ELNS1_11target_archE1030ELNS1_3gpuE2ELNS1_3repE0EEENS1_30default_config_static_selectorELNS0_4arch9wavefront6targetE1EEEvT1_.kd
    .uniform_work_group_size: 1
    .uses_dynamic_stack: false
    .vgpr_count:     0
    .vgpr_spill_count: 0
    .wavefront_size: 64
  - .agpr_count:     0
    .args:
      - .offset:         0
        .size:           104
        .value_kind:     by_value
    .group_segment_fixed_size: 0
    .kernarg_segment_align: 8
    .kernarg_segment_size: 104
    .language:       OpenCL C
    .language_version:
      - 2
      - 0
    .max_flat_workgroup_size: 256
    .name:           _ZN7rocprim17ROCPRIM_400000_NS6detail17trampoline_kernelINS0_14default_configENS1_20scan_config_selectorIfEEZZNS1_9scan_implILNS1_25lookback_scan_determinismE0ELb0ELb0ES3_N6thrust23THRUST_200600_302600_NS6detail15normal_iteratorINS9_10device_ptrIfEEEENS9_16discard_iteratorINS9_11use_defaultEEEf11max_functorIfEfEEDaPvRmT3_T4_T5_mT6_P12ihipStream_tbENKUlT_T0_E_clISt17integral_constantIbLb1EESW_IbLb0EEEEDaSS_ST_EUlSS_E_NS1_11comp_targetILNS1_3genE0ELNS1_11target_archE4294967295ELNS1_3gpuE0ELNS1_3repE0EEENS1_30default_config_static_selectorELNS0_4arch9wavefront6targetE1EEEvT1_
    .private_segment_fixed_size: 0
    .sgpr_count:     4
    .sgpr_spill_count: 0
    .symbol:         _ZN7rocprim17ROCPRIM_400000_NS6detail17trampoline_kernelINS0_14default_configENS1_20scan_config_selectorIfEEZZNS1_9scan_implILNS1_25lookback_scan_determinismE0ELb0ELb0ES3_N6thrust23THRUST_200600_302600_NS6detail15normal_iteratorINS9_10device_ptrIfEEEENS9_16discard_iteratorINS9_11use_defaultEEEf11max_functorIfEfEEDaPvRmT3_T4_T5_mT6_P12ihipStream_tbENKUlT_T0_E_clISt17integral_constantIbLb1EESW_IbLb0EEEEDaSS_ST_EUlSS_E_NS1_11comp_targetILNS1_3genE0ELNS1_11target_archE4294967295ELNS1_3gpuE0ELNS1_3repE0EEENS1_30default_config_static_selectorELNS0_4arch9wavefront6targetE1EEEvT1_.kd
    .uniform_work_group_size: 1
    .uses_dynamic_stack: false
    .vgpr_count:     0
    .vgpr_spill_count: 0
    .wavefront_size: 64
  - .agpr_count:     0
    .args:
      - .offset:         0
        .size:           104
        .value_kind:     by_value
    .group_segment_fixed_size: 0
    .kernarg_segment_align: 8
    .kernarg_segment_size: 104
    .language:       OpenCL C
    .language_version:
      - 2
      - 0
    .max_flat_workgroup_size: 256
    .name:           _ZN7rocprim17ROCPRIM_400000_NS6detail17trampoline_kernelINS0_14default_configENS1_20scan_config_selectorIfEEZZNS1_9scan_implILNS1_25lookback_scan_determinismE0ELb0ELb0ES3_N6thrust23THRUST_200600_302600_NS6detail15normal_iteratorINS9_10device_ptrIfEEEENS9_16discard_iteratorINS9_11use_defaultEEEf11max_functorIfEfEEDaPvRmT3_T4_T5_mT6_P12ihipStream_tbENKUlT_T0_E_clISt17integral_constantIbLb1EESW_IbLb0EEEEDaSS_ST_EUlSS_E_NS1_11comp_targetILNS1_3genE5ELNS1_11target_archE942ELNS1_3gpuE9ELNS1_3repE0EEENS1_30default_config_static_selectorELNS0_4arch9wavefront6targetE1EEEvT1_
    .private_segment_fixed_size: 0
    .sgpr_count:     4
    .sgpr_spill_count: 0
    .symbol:         _ZN7rocprim17ROCPRIM_400000_NS6detail17trampoline_kernelINS0_14default_configENS1_20scan_config_selectorIfEEZZNS1_9scan_implILNS1_25lookback_scan_determinismE0ELb0ELb0ES3_N6thrust23THRUST_200600_302600_NS6detail15normal_iteratorINS9_10device_ptrIfEEEENS9_16discard_iteratorINS9_11use_defaultEEEf11max_functorIfEfEEDaPvRmT3_T4_T5_mT6_P12ihipStream_tbENKUlT_T0_E_clISt17integral_constantIbLb1EESW_IbLb0EEEEDaSS_ST_EUlSS_E_NS1_11comp_targetILNS1_3genE5ELNS1_11target_archE942ELNS1_3gpuE9ELNS1_3repE0EEENS1_30default_config_static_selectorELNS0_4arch9wavefront6targetE1EEEvT1_.kd
    .uniform_work_group_size: 1
    .uses_dynamic_stack: false
    .vgpr_count:     0
    .vgpr_spill_count: 0
    .wavefront_size: 64
  - .agpr_count:     0
    .args:
      - .offset:         0
        .size:           104
        .value_kind:     by_value
    .group_segment_fixed_size: 7168
    .kernarg_segment_align: 8
    .kernarg_segment_size: 104
    .language:       OpenCL C
    .language_version:
      - 2
      - 0
    .max_flat_workgroup_size: 128
    .name:           _ZN7rocprim17ROCPRIM_400000_NS6detail17trampoline_kernelINS0_14default_configENS1_20scan_config_selectorIfEEZZNS1_9scan_implILNS1_25lookback_scan_determinismE0ELb0ELb0ES3_N6thrust23THRUST_200600_302600_NS6detail15normal_iteratorINS9_10device_ptrIfEEEENS9_16discard_iteratorINS9_11use_defaultEEEf11max_functorIfEfEEDaPvRmT3_T4_T5_mT6_P12ihipStream_tbENKUlT_T0_E_clISt17integral_constantIbLb1EESW_IbLb0EEEEDaSS_ST_EUlSS_E_NS1_11comp_targetILNS1_3genE4ELNS1_11target_archE910ELNS1_3gpuE8ELNS1_3repE0EEENS1_30default_config_static_selectorELNS0_4arch9wavefront6targetE1EEEvT1_
    .private_segment_fixed_size: 0
    .sgpr_count:     26
    .sgpr_spill_count: 0
    .symbol:         _ZN7rocprim17ROCPRIM_400000_NS6detail17trampoline_kernelINS0_14default_configENS1_20scan_config_selectorIfEEZZNS1_9scan_implILNS1_25lookback_scan_determinismE0ELb0ELb0ES3_N6thrust23THRUST_200600_302600_NS6detail15normal_iteratorINS9_10device_ptrIfEEEENS9_16discard_iteratorINS9_11use_defaultEEEf11max_functorIfEfEEDaPvRmT3_T4_T5_mT6_P12ihipStream_tbENKUlT_T0_E_clISt17integral_constantIbLb1EESW_IbLb0EEEEDaSS_ST_EUlSS_E_NS1_11comp_targetILNS1_3genE4ELNS1_11target_archE910ELNS1_3gpuE8ELNS1_3repE0EEENS1_30default_config_static_selectorELNS0_4arch9wavefront6targetE1EEEvT1_.kd
    .uniform_work_group_size: 1
    .uses_dynamic_stack: false
    .vgpr_count:     43
    .vgpr_spill_count: 0
    .wavefront_size: 64
  - .agpr_count:     0
    .args:
      - .offset:         0
        .size:           104
        .value_kind:     by_value
    .group_segment_fixed_size: 0
    .kernarg_segment_align: 8
    .kernarg_segment_size: 104
    .language:       OpenCL C
    .language_version:
      - 2
      - 0
    .max_flat_workgroup_size: 256
    .name:           _ZN7rocprim17ROCPRIM_400000_NS6detail17trampoline_kernelINS0_14default_configENS1_20scan_config_selectorIfEEZZNS1_9scan_implILNS1_25lookback_scan_determinismE0ELb0ELb0ES3_N6thrust23THRUST_200600_302600_NS6detail15normal_iteratorINS9_10device_ptrIfEEEENS9_16discard_iteratorINS9_11use_defaultEEEf11max_functorIfEfEEDaPvRmT3_T4_T5_mT6_P12ihipStream_tbENKUlT_T0_E_clISt17integral_constantIbLb1EESW_IbLb0EEEEDaSS_ST_EUlSS_E_NS1_11comp_targetILNS1_3genE3ELNS1_11target_archE908ELNS1_3gpuE7ELNS1_3repE0EEENS1_30default_config_static_selectorELNS0_4arch9wavefront6targetE1EEEvT1_
    .private_segment_fixed_size: 0
    .sgpr_count:     4
    .sgpr_spill_count: 0
    .symbol:         _ZN7rocprim17ROCPRIM_400000_NS6detail17trampoline_kernelINS0_14default_configENS1_20scan_config_selectorIfEEZZNS1_9scan_implILNS1_25lookback_scan_determinismE0ELb0ELb0ES3_N6thrust23THRUST_200600_302600_NS6detail15normal_iteratorINS9_10device_ptrIfEEEENS9_16discard_iteratorINS9_11use_defaultEEEf11max_functorIfEfEEDaPvRmT3_T4_T5_mT6_P12ihipStream_tbENKUlT_T0_E_clISt17integral_constantIbLb1EESW_IbLb0EEEEDaSS_ST_EUlSS_E_NS1_11comp_targetILNS1_3genE3ELNS1_11target_archE908ELNS1_3gpuE7ELNS1_3repE0EEENS1_30default_config_static_selectorELNS0_4arch9wavefront6targetE1EEEvT1_.kd
    .uniform_work_group_size: 1
    .uses_dynamic_stack: false
    .vgpr_count:     0
    .vgpr_spill_count: 0
    .wavefront_size: 64
  - .agpr_count:     0
    .args:
      - .offset:         0
        .size:           104
        .value_kind:     by_value
    .group_segment_fixed_size: 0
    .kernarg_segment_align: 8
    .kernarg_segment_size: 104
    .language:       OpenCL C
    .language_version:
      - 2
      - 0
    .max_flat_workgroup_size: 256
    .name:           _ZN7rocprim17ROCPRIM_400000_NS6detail17trampoline_kernelINS0_14default_configENS1_20scan_config_selectorIfEEZZNS1_9scan_implILNS1_25lookback_scan_determinismE0ELb0ELb0ES3_N6thrust23THRUST_200600_302600_NS6detail15normal_iteratorINS9_10device_ptrIfEEEENS9_16discard_iteratorINS9_11use_defaultEEEf11max_functorIfEfEEDaPvRmT3_T4_T5_mT6_P12ihipStream_tbENKUlT_T0_E_clISt17integral_constantIbLb1EESW_IbLb0EEEEDaSS_ST_EUlSS_E_NS1_11comp_targetILNS1_3genE2ELNS1_11target_archE906ELNS1_3gpuE6ELNS1_3repE0EEENS1_30default_config_static_selectorELNS0_4arch9wavefront6targetE1EEEvT1_
    .private_segment_fixed_size: 0
    .sgpr_count:     4
    .sgpr_spill_count: 0
    .symbol:         _ZN7rocprim17ROCPRIM_400000_NS6detail17trampoline_kernelINS0_14default_configENS1_20scan_config_selectorIfEEZZNS1_9scan_implILNS1_25lookback_scan_determinismE0ELb0ELb0ES3_N6thrust23THRUST_200600_302600_NS6detail15normal_iteratorINS9_10device_ptrIfEEEENS9_16discard_iteratorINS9_11use_defaultEEEf11max_functorIfEfEEDaPvRmT3_T4_T5_mT6_P12ihipStream_tbENKUlT_T0_E_clISt17integral_constantIbLb1EESW_IbLb0EEEEDaSS_ST_EUlSS_E_NS1_11comp_targetILNS1_3genE2ELNS1_11target_archE906ELNS1_3gpuE6ELNS1_3repE0EEENS1_30default_config_static_selectorELNS0_4arch9wavefront6targetE1EEEvT1_.kd
    .uniform_work_group_size: 1
    .uses_dynamic_stack: false
    .vgpr_count:     0
    .vgpr_spill_count: 0
    .wavefront_size: 64
  - .agpr_count:     0
    .args:
      - .offset:         0
        .size:           104
        .value_kind:     by_value
    .group_segment_fixed_size: 0
    .kernarg_segment_align: 8
    .kernarg_segment_size: 104
    .language:       OpenCL C
    .language_version:
      - 2
      - 0
    .max_flat_workgroup_size: 256
    .name:           _ZN7rocprim17ROCPRIM_400000_NS6detail17trampoline_kernelINS0_14default_configENS1_20scan_config_selectorIfEEZZNS1_9scan_implILNS1_25lookback_scan_determinismE0ELb0ELb0ES3_N6thrust23THRUST_200600_302600_NS6detail15normal_iteratorINS9_10device_ptrIfEEEENS9_16discard_iteratorINS9_11use_defaultEEEf11max_functorIfEfEEDaPvRmT3_T4_T5_mT6_P12ihipStream_tbENKUlT_T0_E_clISt17integral_constantIbLb1EESW_IbLb0EEEEDaSS_ST_EUlSS_E_NS1_11comp_targetILNS1_3genE10ELNS1_11target_archE1201ELNS1_3gpuE5ELNS1_3repE0EEENS1_30default_config_static_selectorELNS0_4arch9wavefront6targetE1EEEvT1_
    .private_segment_fixed_size: 0
    .sgpr_count:     4
    .sgpr_spill_count: 0
    .symbol:         _ZN7rocprim17ROCPRIM_400000_NS6detail17trampoline_kernelINS0_14default_configENS1_20scan_config_selectorIfEEZZNS1_9scan_implILNS1_25lookback_scan_determinismE0ELb0ELb0ES3_N6thrust23THRUST_200600_302600_NS6detail15normal_iteratorINS9_10device_ptrIfEEEENS9_16discard_iteratorINS9_11use_defaultEEEf11max_functorIfEfEEDaPvRmT3_T4_T5_mT6_P12ihipStream_tbENKUlT_T0_E_clISt17integral_constantIbLb1EESW_IbLb0EEEEDaSS_ST_EUlSS_E_NS1_11comp_targetILNS1_3genE10ELNS1_11target_archE1201ELNS1_3gpuE5ELNS1_3repE0EEENS1_30default_config_static_selectorELNS0_4arch9wavefront6targetE1EEEvT1_.kd
    .uniform_work_group_size: 1
    .uses_dynamic_stack: false
    .vgpr_count:     0
    .vgpr_spill_count: 0
    .wavefront_size: 64
  - .agpr_count:     0
    .args:
      - .offset:         0
        .size:           104
        .value_kind:     by_value
    .group_segment_fixed_size: 0
    .kernarg_segment_align: 8
    .kernarg_segment_size: 104
    .language:       OpenCL C
    .language_version:
      - 2
      - 0
    .max_flat_workgroup_size: 256
    .name:           _ZN7rocprim17ROCPRIM_400000_NS6detail17trampoline_kernelINS0_14default_configENS1_20scan_config_selectorIfEEZZNS1_9scan_implILNS1_25lookback_scan_determinismE0ELb0ELb0ES3_N6thrust23THRUST_200600_302600_NS6detail15normal_iteratorINS9_10device_ptrIfEEEENS9_16discard_iteratorINS9_11use_defaultEEEf11max_functorIfEfEEDaPvRmT3_T4_T5_mT6_P12ihipStream_tbENKUlT_T0_E_clISt17integral_constantIbLb1EESW_IbLb0EEEEDaSS_ST_EUlSS_E_NS1_11comp_targetILNS1_3genE10ELNS1_11target_archE1200ELNS1_3gpuE4ELNS1_3repE0EEENS1_30default_config_static_selectorELNS0_4arch9wavefront6targetE1EEEvT1_
    .private_segment_fixed_size: 0
    .sgpr_count:     4
    .sgpr_spill_count: 0
    .symbol:         _ZN7rocprim17ROCPRIM_400000_NS6detail17trampoline_kernelINS0_14default_configENS1_20scan_config_selectorIfEEZZNS1_9scan_implILNS1_25lookback_scan_determinismE0ELb0ELb0ES3_N6thrust23THRUST_200600_302600_NS6detail15normal_iteratorINS9_10device_ptrIfEEEENS9_16discard_iteratorINS9_11use_defaultEEEf11max_functorIfEfEEDaPvRmT3_T4_T5_mT6_P12ihipStream_tbENKUlT_T0_E_clISt17integral_constantIbLb1EESW_IbLb0EEEEDaSS_ST_EUlSS_E_NS1_11comp_targetILNS1_3genE10ELNS1_11target_archE1200ELNS1_3gpuE4ELNS1_3repE0EEENS1_30default_config_static_selectorELNS0_4arch9wavefront6targetE1EEEvT1_.kd
    .uniform_work_group_size: 1
    .uses_dynamic_stack: false
    .vgpr_count:     0
    .vgpr_spill_count: 0
    .wavefront_size: 64
  - .agpr_count:     0
    .args:
      - .offset:         0
        .size:           104
        .value_kind:     by_value
    .group_segment_fixed_size: 0
    .kernarg_segment_align: 8
    .kernarg_segment_size: 104
    .language:       OpenCL C
    .language_version:
      - 2
      - 0
    .max_flat_workgroup_size: 256
    .name:           _ZN7rocprim17ROCPRIM_400000_NS6detail17trampoline_kernelINS0_14default_configENS1_20scan_config_selectorIfEEZZNS1_9scan_implILNS1_25lookback_scan_determinismE0ELb0ELb0ES3_N6thrust23THRUST_200600_302600_NS6detail15normal_iteratorINS9_10device_ptrIfEEEENS9_16discard_iteratorINS9_11use_defaultEEEf11max_functorIfEfEEDaPvRmT3_T4_T5_mT6_P12ihipStream_tbENKUlT_T0_E_clISt17integral_constantIbLb1EESW_IbLb0EEEEDaSS_ST_EUlSS_E_NS1_11comp_targetILNS1_3genE9ELNS1_11target_archE1100ELNS1_3gpuE3ELNS1_3repE0EEENS1_30default_config_static_selectorELNS0_4arch9wavefront6targetE1EEEvT1_
    .private_segment_fixed_size: 0
    .sgpr_count:     4
    .sgpr_spill_count: 0
    .symbol:         _ZN7rocprim17ROCPRIM_400000_NS6detail17trampoline_kernelINS0_14default_configENS1_20scan_config_selectorIfEEZZNS1_9scan_implILNS1_25lookback_scan_determinismE0ELb0ELb0ES3_N6thrust23THRUST_200600_302600_NS6detail15normal_iteratorINS9_10device_ptrIfEEEENS9_16discard_iteratorINS9_11use_defaultEEEf11max_functorIfEfEEDaPvRmT3_T4_T5_mT6_P12ihipStream_tbENKUlT_T0_E_clISt17integral_constantIbLb1EESW_IbLb0EEEEDaSS_ST_EUlSS_E_NS1_11comp_targetILNS1_3genE9ELNS1_11target_archE1100ELNS1_3gpuE3ELNS1_3repE0EEENS1_30default_config_static_selectorELNS0_4arch9wavefront6targetE1EEEvT1_.kd
    .uniform_work_group_size: 1
    .uses_dynamic_stack: false
    .vgpr_count:     0
    .vgpr_spill_count: 0
    .wavefront_size: 64
  - .agpr_count:     0
    .args:
      - .offset:         0
        .size:           104
        .value_kind:     by_value
    .group_segment_fixed_size: 0
    .kernarg_segment_align: 8
    .kernarg_segment_size: 104
    .language:       OpenCL C
    .language_version:
      - 2
      - 0
    .max_flat_workgroup_size: 64
    .name:           _ZN7rocprim17ROCPRIM_400000_NS6detail17trampoline_kernelINS0_14default_configENS1_20scan_config_selectorIfEEZZNS1_9scan_implILNS1_25lookback_scan_determinismE0ELb0ELb0ES3_N6thrust23THRUST_200600_302600_NS6detail15normal_iteratorINS9_10device_ptrIfEEEENS9_16discard_iteratorINS9_11use_defaultEEEf11max_functorIfEfEEDaPvRmT3_T4_T5_mT6_P12ihipStream_tbENKUlT_T0_E_clISt17integral_constantIbLb1EESW_IbLb0EEEEDaSS_ST_EUlSS_E_NS1_11comp_targetILNS1_3genE8ELNS1_11target_archE1030ELNS1_3gpuE2ELNS1_3repE0EEENS1_30default_config_static_selectorELNS0_4arch9wavefront6targetE1EEEvT1_
    .private_segment_fixed_size: 0
    .sgpr_count:     4
    .sgpr_spill_count: 0
    .symbol:         _ZN7rocprim17ROCPRIM_400000_NS6detail17trampoline_kernelINS0_14default_configENS1_20scan_config_selectorIfEEZZNS1_9scan_implILNS1_25lookback_scan_determinismE0ELb0ELb0ES3_N6thrust23THRUST_200600_302600_NS6detail15normal_iteratorINS9_10device_ptrIfEEEENS9_16discard_iteratorINS9_11use_defaultEEEf11max_functorIfEfEEDaPvRmT3_T4_T5_mT6_P12ihipStream_tbENKUlT_T0_E_clISt17integral_constantIbLb1EESW_IbLb0EEEEDaSS_ST_EUlSS_E_NS1_11comp_targetILNS1_3genE8ELNS1_11target_archE1030ELNS1_3gpuE2ELNS1_3repE0EEENS1_30default_config_static_selectorELNS0_4arch9wavefront6targetE1EEEvT1_.kd
    .uniform_work_group_size: 1
    .uses_dynamic_stack: false
    .vgpr_count:     0
    .vgpr_spill_count: 0
    .wavefront_size: 64
  - .agpr_count:     0
    .args:
      - .offset:         0
        .size:           40
        .value_kind:     by_value
    .group_segment_fixed_size: 0
    .kernarg_segment_align: 8
    .kernarg_segment_size: 40
    .language:       OpenCL C
    .language_version:
      - 2
      - 0
    .max_flat_workgroup_size: 256
    .name:           _ZN7rocprim17ROCPRIM_400000_NS6detail17trampoline_kernelINS0_14default_configENS1_20scan_config_selectorIfEEZZNS1_9scan_implILNS1_25lookback_scan_determinismE0ELb0ELb0ES3_N6thrust23THRUST_200600_302600_NS6detail15normal_iteratorINS9_10device_ptrIfEEEENS9_16discard_iteratorINS9_11use_defaultEEEf11max_functorIfEfEEDaPvRmT3_T4_T5_mT6_P12ihipStream_tbENKUlT_T0_E_clISt17integral_constantIbLb1EESW_IbLb0EEEEDaSS_ST_EUlSS_E0_NS1_11comp_targetILNS1_3genE0ELNS1_11target_archE4294967295ELNS1_3gpuE0ELNS1_3repE0EEENS1_30default_config_static_selectorELNS0_4arch9wavefront6targetE1EEEvT1_
    .private_segment_fixed_size: 0
    .sgpr_count:     4
    .sgpr_spill_count: 0
    .symbol:         _ZN7rocprim17ROCPRIM_400000_NS6detail17trampoline_kernelINS0_14default_configENS1_20scan_config_selectorIfEEZZNS1_9scan_implILNS1_25lookback_scan_determinismE0ELb0ELb0ES3_N6thrust23THRUST_200600_302600_NS6detail15normal_iteratorINS9_10device_ptrIfEEEENS9_16discard_iteratorINS9_11use_defaultEEEf11max_functorIfEfEEDaPvRmT3_T4_T5_mT6_P12ihipStream_tbENKUlT_T0_E_clISt17integral_constantIbLb1EESW_IbLb0EEEEDaSS_ST_EUlSS_E0_NS1_11comp_targetILNS1_3genE0ELNS1_11target_archE4294967295ELNS1_3gpuE0ELNS1_3repE0EEENS1_30default_config_static_selectorELNS0_4arch9wavefront6targetE1EEEvT1_.kd
    .uniform_work_group_size: 1
    .uses_dynamic_stack: false
    .vgpr_count:     0
    .vgpr_spill_count: 0
    .wavefront_size: 64
  - .agpr_count:     0
    .args:
      - .offset:         0
        .size:           40
        .value_kind:     by_value
    .group_segment_fixed_size: 0
    .kernarg_segment_align: 8
    .kernarg_segment_size: 40
    .language:       OpenCL C
    .language_version:
      - 2
      - 0
    .max_flat_workgroup_size: 256
    .name:           _ZN7rocprim17ROCPRIM_400000_NS6detail17trampoline_kernelINS0_14default_configENS1_20scan_config_selectorIfEEZZNS1_9scan_implILNS1_25lookback_scan_determinismE0ELb0ELb0ES3_N6thrust23THRUST_200600_302600_NS6detail15normal_iteratorINS9_10device_ptrIfEEEENS9_16discard_iteratorINS9_11use_defaultEEEf11max_functorIfEfEEDaPvRmT3_T4_T5_mT6_P12ihipStream_tbENKUlT_T0_E_clISt17integral_constantIbLb1EESW_IbLb0EEEEDaSS_ST_EUlSS_E0_NS1_11comp_targetILNS1_3genE5ELNS1_11target_archE942ELNS1_3gpuE9ELNS1_3repE0EEENS1_30default_config_static_selectorELNS0_4arch9wavefront6targetE1EEEvT1_
    .private_segment_fixed_size: 0
    .sgpr_count:     4
    .sgpr_spill_count: 0
    .symbol:         _ZN7rocprim17ROCPRIM_400000_NS6detail17trampoline_kernelINS0_14default_configENS1_20scan_config_selectorIfEEZZNS1_9scan_implILNS1_25lookback_scan_determinismE0ELb0ELb0ES3_N6thrust23THRUST_200600_302600_NS6detail15normal_iteratorINS9_10device_ptrIfEEEENS9_16discard_iteratorINS9_11use_defaultEEEf11max_functorIfEfEEDaPvRmT3_T4_T5_mT6_P12ihipStream_tbENKUlT_T0_E_clISt17integral_constantIbLb1EESW_IbLb0EEEEDaSS_ST_EUlSS_E0_NS1_11comp_targetILNS1_3genE5ELNS1_11target_archE942ELNS1_3gpuE9ELNS1_3repE0EEENS1_30default_config_static_selectorELNS0_4arch9wavefront6targetE1EEEvT1_.kd
    .uniform_work_group_size: 1
    .uses_dynamic_stack: false
    .vgpr_count:     0
    .vgpr_spill_count: 0
    .wavefront_size: 64
  - .agpr_count:     0
    .args:
      - .offset:         0
        .size:           40
        .value_kind:     by_value
    .group_segment_fixed_size: 7168
    .kernarg_segment_align: 8
    .kernarg_segment_size: 40
    .language:       OpenCL C
    .language_version:
      - 2
      - 0
    .max_flat_workgroup_size: 128
    .name:           _ZN7rocprim17ROCPRIM_400000_NS6detail17trampoline_kernelINS0_14default_configENS1_20scan_config_selectorIfEEZZNS1_9scan_implILNS1_25lookback_scan_determinismE0ELb0ELb0ES3_N6thrust23THRUST_200600_302600_NS6detail15normal_iteratorINS9_10device_ptrIfEEEENS9_16discard_iteratorINS9_11use_defaultEEEf11max_functorIfEfEEDaPvRmT3_T4_T5_mT6_P12ihipStream_tbENKUlT_T0_E_clISt17integral_constantIbLb1EESW_IbLb0EEEEDaSS_ST_EUlSS_E0_NS1_11comp_targetILNS1_3genE4ELNS1_11target_archE910ELNS1_3gpuE8ELNS1_3repE0EEENS1_30default_config_static_selectorELNS0_4arch9wavefront6targetE1EEEvT1_
    .private_segment_fixed_size: 0
    .sgpr_count:     12
    .sgpr_spill_count: 0
    .symbol:         _ZN7rocprim17ROCPRIM_400000_NS6detail17trampoline_kernelINS0_14default_configENS1_20scan_config_selectorIfEEZZNS1_9scan_implILNS1_25lookback_scan_determinismE0ELb0ELb0ES3_N6thrust23THRUST_200600_302600_NS6detail15normal_iteratorINS9_10device_ptrIfEEEENS9_16discard_iteratorINS9_11use_defaultEEEf11max_functorIfEfEEDaPvRmT3_T4_T5_mT6_P12ihipStream_tbENKUlT_T0_E_clISt17integral_constantIbLb1EESW_IbLb0EEEEDaSS_ST_EUlSS_E0_NS1_11comp_targetILNS1_3genE4ELNS1_11target_archE910ELNS1_3gpuE8ELNS1_3repE0EEENS1_30default_config_static_selectorELNS0_4arch9wavefront6targetE1EEEvT1_.kd
    .uniform_work_group_size: 1
    .uses_dynamic_stack: false
    .vgpr_count:     24
    .vgpr_spill_count: 0
    .wavefront_size: 64
  - .agpr_count:     0
    .args:
      - .offset:         0
        .size:           40
        .value_kind:     by_value
    .group_segment_fixed_size: 0
    .kernarg_segment_align: 8
    .kernarg_segment_size: 40
    .language:       OpenCL C
    .language_version:
      - 2
      - 0
    .max_flat_workgroup_size: 256
    .name:           _ZN7rocprim17ROCPRIM_400000_NS6detail17trampoline_kernelINS0_14default_configENS1_20scan_config_selectorIfEEZZNS1_9scan_implILNS1_25lookback_scan_determinismE0ELb0ELb0ES3_N6thrust23THRUST_200600_302600_NS6detail15normal_iteratorINS9_10device_ptrIfEEEENS9_16discard_iteratorINS9_11use_defaultEEEf11max_functorIfEfEEDaPvRmT3_T4_T5_mT6_P12ihipStream_tbENKUlT_T0_E_clISt17integral_constantIbLb1EESW_IbLb0EEEEDaSS_ST_EUlSS_E0_NS1_11comp_targetILNS1_3genE3ELNS1_11target_archE908ELNS1_3gpuE7ELNS1_3repE0EEENS1_30default_config_static_selectorELNS0_4arch9wavefront6targetE1EEEvT1_
    .private_segment_fixed_size: 0
    .sgpr_count:     4
    .sgpr_spill_count: 0
    .symbol:         _ZN7rocprim17ROCPRIM_400000_NS6detail17trampoline_kernelINS0_14default_configENS1_20scan_config_selectorIfEEZZNS1_9scan_implILNS1_25lookback_scan_determinismE0ELb0ELb0ES3_N6thrust23THRUST_200600_302600_NS6detail15normal_iteratorINS9_10device_ptrIfEEEENS9_16discard_iteratorINS9_11use_defaultEEEf11max_functorIfEfEEDaPvRmT3_T4_T5_mT6_P12ihipStream_tbENKUlT_T0_E_clISt17integral_constantIbLb1EESW_IbLb0EEEEDaSS_ST_EUlSS_E0_NS1_11comp_targetILNS1_3genE3ELNS1_11target_archE908ELNS1_3gpuE7ELNS1_3repE0EEENS1_30default_config_static_selectorELNS0_4arch9wavefront6targetE1EEEvT1_.kd
    .uniform_work_group_size: 1
    .uses_dynamic_stack: false
    .vgpr_count:     0
    .vgpr_spill_count: 0
    .wavefront_size: 64
  - .agpr_count:     0
    .args:
      - .offset:         0
        .size:           40
        .value_kind:     by_value
    .group_segment_fixed_size: 0
    .kernarg_segment_align: 8
    .kernarg_segment_size: 40
    .language:       OpenCL C
    .language_version:
      - 2
      - 0
    .max_flat_workgroup_size: 256
    .name:           _ZN7rocprim17ROCPRIM_400000_NS6detail17trampoline_kernelINS0_14default_configENS1_20scan_config_selectorIfEEZZNS1_9scan_implILNS1_25lookback_scan_determinismE0ELb0ELb0ES3_N6thrust23THRUST_200600_302600_NS6detail15normal_iteratorINS9_10device_ptrIfEEEENS9_16discard_iteratorINS9_11use_defaultEEEf11max_functorIfEfEEDaPvRmT3_T4_T5_mT6_P12ihipStream_tbENKUlT_T0_E_clISt17integral_constantIbLb1EESW_IbLb0EEEEDaSS_ST_EUlSS_E0_NS1_11comp_targetILNS1_3genE2ELNS1_11target_archE906ELNS1_3gpuE6ELNS1_3repE0EEENS1_30default_config_static_selectorELNS0_4arch9wavefront6targetE1EEEvT1_
    .private_segment_fixed_size: 0
    .sgpr_count:     4
    .sgpr_spill_count: 0
    .symbol:         _ZN7rocprim17ROCPRIM_400000_NS6detail17trampoline_kernelINS0_14default_configENS1_20scan_config_selectorIfEEZZNS1_9scan_implILNS1_25lookback_scan_determinismE0ELb0ELb0ES3_N6thrust23THRUST_200600_302600_NS6detail15normal_iteratorINS9_10device_ptrIfEEEENS9_16discard_iteratorINS9_11use_defaultEEEf11max_functorIfEfEEDaPvRmT3_T4_T5_mT6_P12ihipStream_tbENKUlT_T0_E_clISt17integral_constantIbLb1EESW_IbLb0EEEEDaSS_ST_EUlSS_E0_NS1_11comp_targetILNS1_3genE2ELNS1_11target_archE906ELNS1_3gpuE6ELNS1_3repE0EEENS1_30default_config_static_selectorELNS0_4arch9wavefront6targetE1EEEvT1_.kd
    .uniform_work_group_size: 1
    .uses_dynamic_stack: false
    .vgpr_count:     0
    .vgpr_spill_count: 0
    .wavefront_size: 64
  - .agpr_count:     0
    .args:
      - .offset:         0
        .size:           40
        .value_kind:     by_value
    .group_segment_fixed_size: 0
    .kernarg_segment_align: 8
    .kernarg_segment_size: 40
    .language:       OpenCL C
    .language_version:
      - 2
      - 0
    .max_flat_workgroup_size: 256
    .name:           _ZN7rocprim17ROCPRIM_400000_NS6detail17trampoline_kernelINS0_14default_configENS1_20scan_config_selectorIfEEZZNS1_9scan_implILNS1_25lookback_scan_determinismE0ELb0ELb0ES3_N6thrust23THRUST_200600_302600_NS6detail15normal_iteratorINS9_10device_ptrIfEEEENS9_16discard_iteratorINS9_11use_defaultEEEf11max_functorIfEfEEDaPvRmT3_T4_T5_mT6_P12ihipStream_tbENKUlT_T0_E_clISt17integral_constantIbLb1EESW_IbLb0EEEEDaSS_ST_EUlSS_E0_NS1_11comp_targetILNS1_3genE10ELNS1_11target_archE1201ELNS1_3gpuE5ELNS1_3repE0EEENS1_30default_config_static_selectorELNS0_4arch9wavefront6targetE1EEEvT1_
    .private_segment_fixed_size: 0
    .sgpr_count:     4
    .sgpr_spill_count: 0
    .symbol:         _ZN7rocprim17ROCPRIM_400000_NS6detail17trampoline_kernelINS0_14default_configENS1_20scan_config_selectorIfEEZZNS1_9scan_implILNS1_25lookback_scan_determinismE0ELb0ELb0ES3_N6thrust23THRUST_200600_302600_NS6detail15normal_iteratorINS9_10device_ptrIfEEEENS9_16discard_iteratorINS9_11use_defaultEEEf11max_functorIfEfEEDaPvRmT3_T4_T5_mT6_P12ihipStream_tbENKUlT_T0_E_clISt17integral_constantIbLb1EESW_IbLb0EEEEDaSS_ST_EUlSS_E0_NS1_11comp_targetILNS1_3genE10ELNS1_11target_archE1201ELNS1_3gpuE5ELNS1_3repE0EEENS1_30default_config_static_selectorELNS0_4arch9wavefront6targetE1EEEvT1_.kd
    .uniform_work_group_size: 1
    .uses_dynamic_stack: false
    .vgpr_count:     0
    .vgpr_spill_count: 0
    .wavefront_size: 64
  - .agpr_count:     0
    .args:
      - .offset:         0
        .size:           40
        .value_kind:     by_value
    .group_segment_fixed_size: 0
    .kernarg_segment_align: 8
    .kernarg_segment_size: 40
    .language:       OpenCL C
    .language_version:
      - 2
      - 0
    .max_flat_workgroup_size: 256
    .name:           _ZN7rocprim17ROCPRIM_400000_NS6detail17trampoline_kernelINS0_14default_configENS1_20scan_config_selectorIfEEZZNS1_9scan_implILNS1_25lookback_scan_determinismE0ELb0ELb0ES3_N6thrust23THRUST_200600_302600_NS6detail15normal_iteratorINS9_10device_ptrIfEEEENS9_16discard_iteratorINS9_11use_defaultEEEf11max_functorIfEfEEDaPvRmT3_T4_T5_mT6_P12ihipStream_tbENKUlT_T0_E_clISt17integral_constantIbLb1EESW_IbLb0EEEEDaSS_ST_EUlSS_E0_NS1_11comp_targetILNS1_3genE10ELNS1_11target_archE1200ELNS1_3gpuE4ELNS1_3repE0EEENS1_30default_config_static_selectorELNS0_4arch9wavefront6targetE1EEEvT1_
    .private_segment_fixed_size: 0
    .sgpr_count:     4
    .sgpr_spill_count: 0
    .symbol:         _ZN7rocprim17ROCPRIM_400000_NS6detail17trampoline_kernelINS0_14default_configENS1_20scan_config_selectorIfEEZZNS1_9scan_implILNS1_25lookback_scan_determinismE0ELb0ELb0ES3_N6thrust23THRUST_200600_302600_NS6detail15normal_iteratorINS9_10device_ptrIfEEEENS9_16discard_iteratorINS9_11use_defaultEEEf11max_functorIfEfEEDaPvRmT3_T4_T5_mT6_P12ihipStream_tbENKUlT_T0_E_clISt17integral_constantIbLb1EESW_IbLb0EEEEDaSS_ST_EUlSS_E0_NS1_11comp_targetILNS1_3genE10ELNS1_11target_archE1200ELNS1_3gpuE4ELNS1_3repE0EEENS1_30default_config_static_selectorELNS0_4arch9wavefront6targetE1EEEvT1_.kd
    .uniform_work_group_size: 1
    .uses_dynamic_stack: false
    .vgpr_count:     0
    .vgpr_spill_count: 0
    .wavefront_size: 64
  - .agpr_count:     0
    .args:
      - .offset:         0
        .size:           40
        .value_kind:     by_value
    .group_segment_fixed_size: 0
    .kernarg_segment_align: 8
    .kernarg_segment_size: 40
    .language:       OpenCL C
    .language_version:
      - 2
      - 0
    .max_flat_workgroup_size: 256
    .name:           _ZN7rocprim17ROCPRIM_400000_NS6detail17trampoline_kernelINS0_14default_configENS1_20scan_config_selectorIfEEZZNS1_9scan_implILNS1_25lookback_scan_determinismE0ELb0ELb0ES3_N6thrust23THRUST_200600_302600_NS6detail15normal_iteratorINS9_10device_ptrIfEEEENS9_16discard_iteratorINS9_11use_defaultEEEf11max_functorIfEfEEDaPvRmT3_T4_T5_mT6_P12ihipStream_tbENKUlT_T0_E_clISt17integral_constantIbLb1EESW_IbLb0EEEEDaSS_ST_EUlSS_E0_NS1_11comp_targetILNS1_3genE9ELNS1_11target_archE1100ELNS1_3gpuE3ELNS1_3repE0EEENS1_30default_config_static_selectorELNS0_4arch9wavefront6targetE1EEEvT1_
    .private_segment_fixed_size: 0
    .sgpr_count:     4
    .sgpr_spill_count: 0
    .symbol:         _ZN7rocprim17ROCPRIM_400000_NS6detail17trampoline_kernelINS0_14default_configENS1_20scan_config_selectorIfEEZZNS1_9scan_implILNS1_25lookback_scan_determinismE0ELb0ELb0ES3_N6thrust23THRUST_200600_302600_NS6detail15normal_iteratorINS9_10device_ptrIfEEEENS9_16discard_iteratorINS9_11use_defaultEEEf11max_functorIfEfEEDaPvRmT3_T4_T5_mT6_P12ihipStream_tbENKUlT_T0_E_clISt17integral_constantIbLb1EESW_IbLb0EEEEDaSS_ST_EUlSS_E0_NS1_11comp_targetILNS1_3genE9ELNS1_11target_archE1100ELNS1_3gpuE3ELNS1_3repE0EEENS1_30default_config_static_selectorELNS0_4arch9wavefront6targetE1EEEvT1_.kd
    .uniform_work_group_size: 1
    .uses_dynamic_stack: false
    .vgpr_count:     0
    .vgpr_spill_count: 0
    .wavefront_size: 64
  - .agpr_count:     0
    .args:
      - .offset:         0
        .size:           40
        .value_kind:     by_value
    .group_segment_fixed_size: 0
    .kernarg_segment_align: 8
    .kernarg_segment_size: 40
    .language:       OpenCL C
    .language_version:
      - 2
      - 0
    .max_flat_workgroup_size: 64
    .name:           _ZN7rocprim17ROCPRIM_400000_NS6detail17trampoline_kernelINS0_14default_configENS1_20scan_config_selectorIfEEZZNS1_9scan_implILNS1_25lookback_scan_determinismE0ELb0ELb0ES3_N6thrust23THRUST_200600_302600_NS6detail15normal_iteratorINS9_10device_ptrIfEEEENS9_16discard_iteratorINS9_11use_defaultEEEf11max_functorIfEfEEDaPvRmT3_T4_T5_mT6_P12ihipStream_tbENKUlT_T0_E_clISt17integral_constantIbLb1EESW_IbLb0EEEEDaSS_ST_EUlSS_E0_NS1_11comp_targetILNS1_3genE8ELNS1_11target_archE1030ELNS1_3gpuE2ELNS1_3repE0EEENS1_30default_config_static_selectorELNS0_4arch9wavefront6targetE1EEEvT1_
    .private_segment_fixed_size: 0
    .sgpr_count:     4
    .sgpr_spill_count: 0
    .symbol:         _ZN7rocprim17ROCPRIM_400000_NS6detail17trampoline_kernelINS0_14default_configENS1_20scan_config_selectorIfEEZZNS1_9scan_implILNS1_25lookback_scan_determinismE0ELb0ELb0ES3_N6thrust23THRUST_200600_302600_NS6detail15normal_iteratorINS9_10device_ptrIfEEEENS9_16discard_iteratorINS9_11use_defaultEEEf11max_functorIfEfEEDaPvRmT3_T4_T5_mT6_P12ihipStream_tbENKUlT_T0_E_clISt17integral_constantIbLb1EESW_IbLb0EEEEDaSS_ST_EUlSS_E0_NS1_11comp_targetILNS1_3genE8ELNS1_11target_archE1030ELNS1_3gpuE2ELNS1_3repE0EEENS1_30default_config_static_selectorELNS0_4arch9wavefront6targetE1EEEvT1_.kd
    .uniform_work_group_size: 1
    .uses_dynamic_stack: false
    .vgpr_count:     0
    .vgpr_spill_count: 0
    .wavefront_size: 64
  - .agpr_count:     0
    .args:
      - .offset:         0
        .size:           104
        .value_kind:     by_value
    .group_segment_fixed_size: 0
    .kernarg_segment_align: 8
    .kernarg_segment_size: 104
    .language:       OpenCL C
    .language_version:
      - 2
      - 0
    .max_flat_workgroup_size: 256
    .name:           _ZN7rocprim17ROCPRIM_400000_NS6detail17trampoline_kernelINS0_14default_configENS1_20scan_config_selectorIfEEZZNS1_9scan_implILNS1_25lookback_scan_determinismE0ELb0ELb0ES3_N6thrust23THRUST_200600_302600_NS6detail15normal_iteratorINS9_10device_ptrIfEEEENS9_16discard_iteratorINS9_11use_defaultEEEf11max_functorIfEfEEDaPvRmT3_T4_T5_mT6_P12ihipStream_tbENKUlT_T0_E_clISt17integral_constantIbLb0EESW_IbLb1EEEEDaSS_ST_EUlSS_E_NS1_11comp_targetILNS1_3genE0ELNS1_11target_archE4294967295ELNS1_3gpuE0ELNS1_3repE0EEENS1_30default_config_static_selectorELNS0_4arch9wavefront6targetE1EEEvT1_
    .private_segment_fixed_size: 0
    .sgpr_count:     4
    .sgpr_spill_count: 0
    .symbol:         _ZN7rocprim17ROCPRIM_400000_NS6detail17trampoline_kernelINS0_14default_configENS1_20scan_config_selectorIfEEZZNS1_9scan_implILNS1_25lookback_scan_determinismE0ELb0ELb0ES3_N6thrust23THRUST_200600_302600_NS6detail15normal_iteratorINS9_10device_ptrIfEEEENS9_16discard_iteratorINS9_11use_defaultEEEf11max_functorIfEfEEDaPvRmT3_T4_T5_mT6_P12ihipStream_tbENKUlT_T0_E_clISt17integral_constantIbLb0EESW_IbLb1EEEEDaSS_ST_EUlSS_E_NS1_11comp_targetILNS1_3genE0ELNS1_11target_archE4294967295ELNS1_3gpuE0ELNS1_3repE0EEENS1_30default_config_static_selectorELNS0_4arch9wavefront6targetE1EEEvT1_.kd
    .uniform_work_group_size: 1
    .uses_dynamic_stack: false
    .vgpr_count:     0
    .vgpr_spill_count: 0
    .wavefront_size: 64
  - .agpr_count:     0
    .args:
      - .offset:         0
        .size:           104
        .value_kind:     by_value
    .group_segment_fixed_size: 0
    .kernarg_segment_align: 8
    .kernarg_segment_size: 104
    .language:       OpenCL C
    .language_version:
      - 2
      - 0
    .max_flat_workgroup_size: 256
    .name:           _ZN7rocprim17ROCPRIM_400000_NS6detail17trampoline_kernelINS0_14default_configENS1_20scan_config_selectorIfEEZZNS1_9scan_implILNS1_25lookback_scan_determinismE0ELb0ELb0ES3_N6thrust23THRUST_200600_302600_NS6detail15normal_iteratorINS9_10device_ptrIfEEEENS9_16discard_iteratorINS9_11use_defaultEEEf11max_functorIfEfEEDaPvRmT3_T4_T5_mT6_P12ihipStream_tbENKUlT_T0_E_clISt17integral_constantIbLb0EESW_IbLb1EEEEDaSS_ST_EUlSS_E_NS1_11comp_targetILNS1_3genE5ELNS1_11target_archE942ELNS1_3gpuE9ELNS1_3repE0EEENS1_30default_config_static_selectorELNS0_4arch9wavefront6targetE1EEEvT1_
    .private_segment_fixed_size: 0
    .sgpr_count:     4
    .sgpr_spill_count: 0
    .symbol:         _ZN7rocprim17ROCPRIM_400000_NS6detail17trampoline_kernelINS0_14default_configENS1_20scan_config_selectorIfEEZZNS1_9scan_implILNS1_25lookback_scan_determinismE0ELb0ELb0ES3_N6thrust23THRUST_200600_302600_NS6detail15normal_iteratorINS9_10device_ptrIfEEEENS9_16discard_iteratorINS9_11use_defaultEEEf11max_functorIfEfEEDaPvRmT3_T4_T5_mT6_P12ihipStream_tbENKUlT_T0_E_clISt17integral_constantIbLb0EESW_IbLb1EEEEDaSS_ST_EUlSS_E_NS1_11comp_targetILNS1_3genE5ELNS1_11target_archE942ELNS1_3gpuE9ELNS1_3repE0EEENS1_30default_config_static_selectorELNS0_4arch9wavefront6targetE1EEEvT1_.kd
    .uniform_work_group_size: 1
    .uses_dynamic_stack: false
    .vgpr_count:     0
    .vgpr_spill_count: 0
    .wavefront_size: 64
  - .agpr_count:     0
    .args:
      - .offset:         0
        .size:           104
        .value_kind:     by_value
    .group_segment_fixed_size: 7168
    .kernarg_segment_align: 8
    .kernarg_segment_size: 104
    .language:       OpenCL C
    .language_version:
      - 2
      - 0
    .max_flat_workgroup_size: 128
    .name:           _ZN7rocprim17ROCPRIM_400000_NS6detail17trampoline_kernelINS0_14default_configENS1_20scan_config_selectorIfEEZZNS1_9scan_implILNS1_25lookback_scan_determinismE0ELb0ELb0ES3_N6thrust23THRUST_200600_302600_NS6detail15normal_iteratorINS9_10device_ptrIfEEEENS9_16discard_iteratorINS9_11use_defaultEEEf11max_functorIfEfEEDaPvRmT3_T4_T5_mT6_P12ihipStream_tbENKUlT_T0_E_clISt17integral_constantIbLb0EESW_IbLb1EEEEDaSS_ST_EUlSS_E_NS1_11comp_targetILNS1_3genE4ELNS1_11target_archE910ELNS1_3gpuE8ELNS1_3repE0EEENS1_30default_config_static_selectorELNS0_4arch9wavefront6targetE1EEEvT1_
    .private_segment_fixed_size: 0
    .sgpr_count:     33
    .sgpr_spill_count: 0
    .symbol:         _ZN7rocprim17ROCPRIM_400000_NS6detail17trampoline_kernelINS0_14default_configENS1_20scan_config_selectorIfEEZZNS1_9scan_implILNS1_25lookback_scan_determinismE0ELb0ELb0ES3_N6thrust23THRUST_200600_302600_NS6detail15normal_iteratorINS9_10device_ptrIfEEEENS9_16discard_iteratorINS9_11use_defaultEEEf11max_functorIfEfEEDaPvRmT3_T4_T5_mT6_P12ihipStream_tbENKUlT_T0_E_clISt17integral_constantIbLb0EESW_IbLb1EEEEDaSS_ST_EUlSS_E_NS1_11comp_targetILNS1_3genE4ELNS1_11target_archE910ELNS1_3gpuE8ELNS1_3repE0EEENS1_30default_config_static_selectorELNS0_4arch9wavefront6targetE1EEEvT1_.kd
    .uniform_work_group_size: 1
    .uses_dynamic_stack: false
    .vgpr_count:     43
    .vgpr_spill_count: 0
    .wavefront_size: 64
  - .agpr_count:     0
    .args:
      - .offset:         0
        .size:           104
        .value_kind:     by_value
    .group_segment_fixed_size: 0
    .kernarg_segment_align: 8
    .kernarg_segment_size: 104
    .language:       OpenCL C
    .language_version:
      - 2
      - 0
    .max_flat_workgroup_size: 256
    .name:           _ZN7rocprim17ROCPRIM_400000_NS6detail17trampoline_kernelINS0_14default_configENS1_20scan_config_selectorIfEEZZNS1_9scan_implILNS1_25lookback_scan_determinismE0ELb0ELb0ES3_N6thrust23THRUST_200600_302600_NS6detail15normal_iteratorINS9_10device_ptrIfEEEENS9_16discard_iteratorINS9_11use_defaultEEEf11max_functorIfEfEEDaPvRmT3_T4_T5_mT6_P12ihipStream_tbENKUlT_T0_E_clISt17integral_constantIbLb0EESW_IbLb1EEEEDaSS_ST_EUlSS_E_NS1_11comp_targetILNS1_3genE3ELNS1_11target_archE908ELNS1_3gpuE7ELNS1_3repE0EEENS1_30default_config_static_selectorELNS0_4arch9wavefront6targetE1EEEvT1_
    .private_segment_fixed_size: 0
    .sgpr_count:     4
    .sgpr_spill_count: 0
    .symbol:         _ZN7rocprim17ROCPRIM_400000_NS6detail17trampoline_kernelINS0_14default_configENS1_20scan_config_selectorIfEEZZNS1_9scan_implILNS1_25lookback_scan_determinismE0ELb0ELb0ES3_N6thrust23THRUST_200600_302600_NS6detail15normal_iteratorINS9_10device_ptrIfEEEENS9_16discard_iteratorINS9_11use_defaultEEEf11max_functorIfEfEEDaPvRmT3_T4_T5_mT6_P12ihipStream_tbENKUlT_T0_E_clISt17integral_constantIbLb0EESW_IbLb1EEEEDaSS_ST_EUlSS_E_NS1_11comp_targetILNS1_3genE3ELNS1_11target_archE908ELNS1_3gpuE7ELNS1_3repE0EEENS1_30default_config_static_selectorELNS0_4arch9wavefront6targetE1EEEvT1_.kd
    .uniform_work_group_size: 1
    .uses_dynamic_stack: false
    .vgpr_count:     0
    .vgpr_spill_count: 0
    .wavefront_size: 64
  - .agpr_count:     0
    .args:
      - .offset:         0
        .size:           104
        .value_kind:     by_value
    .group_segment_fixed_size: 0
    .kernarg_segment_align: 8
    .kernarg_segment_size: 104
    .language:       OpenCL C
    .language_version:
      - 2
      - 0
    .max_flat_workgroup_size: 256
    .name:           _ZN7rocprim17ROCPRIM_400000_NS6detail17trampoline_kernelINS0_14default_configENS1_20scan_config_selectorIfEEZZNS1_9scan_implILNS1_25lookback_scan_determinismE0ELb0ELb0ES3_N6thrust23THRUST_200600_302600_NS6detail15normal_iteratorINS9_10device_ptrIfEEEENS9_16discard_iteratorINS9_11use_defaultEEEf11max_functorIfEfEEDaPvRmT3_T4_T5_mT6_P12ihipStream_tbENKUlT_T0_E_clISt17integral_constantIbLb0EESW_IbLb1EEEEDaSS_ST_EUlSS_E_NS1_11comp_targetILNS1_3genE2ELNS1_11target_archE906ELNS1_3gpuE6ELNS1_3repE0EEENS1_30default_config_static_selectorELNS0_4arch9wavefront6targetE1EEEvT1_
    .private_segment_fixed_size: 0
    .sgpr_count:     4
    .sgpr_spill_count: 0
    .symbol:         _ZN7rocprim17ROCPRIM_400000_NS6detail17trampoline_kernelINS0_14default_configENS1_20scan_config_selectorIfEEZZNS1_9scan_implILNS1_25lookback_scan_determinismE0ELb0ELb0ES3_N6thrust23THRUST_200600_302600_NS6detail15normal_iteratorINS9_10device_ptrIfEEEENS9_16discard_iteratorINS9_11use_defaultEEEf11max_functorIfEfEEDaPvRmT3_T4_T5_mT6_P12ihipStream_tbENKUlT_T0_E_clISt17integral_constantIbLb0EESW_IbLb1EEEEDaSS_ST_EUlSS_E_NS1_11comp_targetILNS1_3genE2ELNS1_11target_archE906ELNS1_3gpuE6ELNS1_3repE0EEENS1_30default_config_static_selectorELNS0_4arch9wavefront6targetE1EEEvT1_.kd
    .uniform_work_group_size: 1
    .uses_dynamic_stack: false
    .vgpr_count:     0
    .vgpr_spill_count: 0
    .wavefront_size: 64
  - .agpr_count:     0
    .args:
      - .offset:         0
        .size:           104
        .value_kind:     by_value
    .group_segment_fixed_size: 0
    .kernarg_segment_align: 8
    .kernarg_segment_size: 104
    .language:       OpenCL C
    .language_version:
      - 2
      - 0
    .max_flat_workgroup_size: 256
    .name:           _ZN7rocprim17ROCPRIM_400000_NS6detail17trampoline_kernelINS0_14default_configENS1_20scan_config_selectorIfEEZZNS1_9scan_implILNS1_25lookback_scan_determinismE0ELb0ELb0ES3_N6thrust23THRUST_200600_302600_NS6detail15normal_iteratorINS9_10device_ptrIfEEEENS9_16discard_iteratorINS9_11use_defaultEEEf11max_functorIfEfEEDaPvRmT3_T4_T5_mT6_P12ihipStream_tbENKUlT_T0_E_clISt17integral_constantIbLb0EESW_IbLb1EEEEDaSS_ST_EUlSS_E_NS1_11comp_targetILNS1_3genE10ELNS1_11target_archE1201ELNS1_3gpuE5ELNS1_3repE0EEENS1_30default_config_static_selectorELNS0_4arch9wavefront6targetE1EEEvT1_
    .private_segment_fixed_size: 0
    .sgpr_count:     4
    .sgpr_spill_count: 0
    .symbol:         _ZN7rocprim17ROCPRIM_400000_NS6detail17trampoline_kernelINS0_14default_configENS1_20scan_config_selectorIfEEZZNS1_9scan_implILNS1_25lookback_scan_determinismE0ELb0ELb0ES3_N6thrust23THRUST_200600_302600_NS6detail15normal_iteratorINS9_10device_ptrIfEEEENS9_16discard_iteratorINS9_11use_defaultEEEf11max_functorIfEfEEDaPvRmT3_T4_T5_mT6_P12ihipStream_tbENKUlT_T0_E_clISt17integral_constantIbLb0EESW_IbLb1EEEEDaSS_ST_EUlSS_E_NS1_11comp_targetILNS1_3genE10ELNS1_11target_archE1201ELNS1_3gpuE5ELNS1_3repE0EEENS1_30default_config_static_selectorELNS0_4arch9wavefront6targetE1EEEvT1_.kd
    .uniform_work_group_size: 1
    .uses_dynamic_stack: false
    .vgpr_count:     0
    .vgpr_spill_count: 0
    .wavefront_size: 64
  - .agpr_count:     0
    .args:
      - .offset:         0
        .size:           104
        .value_kind:     by_value
    .group_segment_fixed_size: 0
    .kernarg_segment_align: 8
    .kernarg_segment_size: 104
    .language:       OpenCL C
    .language_version:
      - 2
      - 0
    .max_flat_workgroup_size: 256
    .name:           _ZN7rocprim17ROCPRIM_400000_NS6detail17trampoline_kernelINS0_14default_configENS1_20scan_config_selectorIfEEZZNS1_9scan_implILNS1_25lookback_scan_determinismE0ELb0ELb0ES3_N6thrust23THRUST_200600_302600_NS6detail15normal_iteratorINS9_10device_ptrIfEEEENS9_16discard_iteratorINS9_11use_defaultEEEf11max_functorIfEfEEDaPvRmT3_T4_T5_mT6_P12ihipStream_tbENKUlT_T0_E_clISt17integral_constantIbLb0EESW_IbLb1EEEEDaSS_ST_EUlSS_E_NS1_11comp_targetILNS1_3genE10ELNS1_11target_archE1200ELNS1_3gpuE4ELNS1_3repE0EEENS1_30default_config_static_selectorELNS0_4arch9wavefront6targetE1EEEvT1_
    .private_segment_fixed_size: 0
    .sgpr_count:     4
    .sgpr_spill_count: 0
    .symbol:         _ZN7rocprim17ROCPRIM_400000_NS6detail17trampoline_kernelINS0_14default_configENS1_20scan_config_selectorIfEEZZNS1_9scan_implILNS1_25lookback_scan_determinismE0ELb0ELb0ES3_N6thrust23THRUST_200600_302600_NS6detail15normal_iteratorINS9_10device_ptrIfEEEENS9_16discard_iteratorINS9_11use_defaultEEEf11max_functorIfEfEEDaPvRmT3_T4_T5_mT6_P12ihipStream_tbENKUlT_T0_E_clISt17integral_constantIbLb0EESW_IbLb1EEEEDaSS_ST_EUlSS_E_NS1_11comp_targetILNS1_3genE10ELNS1_11target_archE1200ELNS1_3gpuE4ELNS1_3repE0EEENS1_30default_config_static_selectorELNS0_4arch9wavefront6targetE1EEEvT1_.kd
    .uniform_work_group_size: 1
    .uses_dynamic_stack: false
    .vgpr_count:     0
    .vgpr_spill_count: 0
    .wavefront_size: 64
  - .agpr_count:     0
    .args:
      - .offset:         0
        .size:           104
        .value_kind:     by_value
    .group_segment_fixed_size: 0
    .kernarg_segment_align: 8
    .kernarg_segment_size: 104
    .language:       OpenCL C
    .language_version:
      - 2
      - 0
    .max_flat_workgroup_size: 256
    .name:           _ZN7rocprim17ROCPRIM_400000_NS6detail17trampoline_kernelINS0_14default_configENS1_20scan_config_selectorIfEEZZNS1_9scan_implILNS1_25lookback_scan_determinismE0ELb0ELb0ES3_N6thrust23THRUST_200600_302600_NS6detail15normal_iteratorINS9_10device_ptrIfEEEENS9_16discard_iteratorINS9_11use_defaultEEEf11max_functorIfEfEEDaPvRmT3_T4_T5_mT6_P12ihipStream_tbENKUlT_T0_E_clISt17integral_constantIbLb0EESW_IbLb1EEEEDaSS_ST_EUlSS_E_NS1_11comp_targetILNS1_3genE9ELNS1_11target_archE1100ELNS1_3gpuE3ELNS1_3repE0EEENS1_30default_config_static_selectorELNS0_4arch9wavefront6targetE1EEEvT1_
    .private_segment_fixed_size: 0
    .sgpr_count:     4
    .sgpr_spill_count: 0
    .symbol:         _ZN7rocprim17ROCPRIM_400000_NS6detail17trampoline_kernelINS0_14default_configENS1_20scan_config_selectorIfEEZZNS1_9scan_implILNS1_25lookback_scan_determinismE0ELb0ELb0ES3_N6thrust23THRUST_200600_302600_NS6detail15normal_iteratorINS9_10device_ptrIfEEEENS9_16discard_iteratorINS9_11use_defaultEEEf11max_functorIfEfEEDaPvRmT3_T4_T5_mT6_P12ihipStream_tbENKUlT_T0_E_clISt17integral_constantIbLb0EESW_IbLb1EEEEDaSS_ST_EUlSS_E_NS1_11comp_targetILNS1_3genE9ELNS1_11target_archE1100ELNS1_3gpuE3ELNS1_3repE0EEENS1_30default_config_static_selectorELNS0_4arch9wavefront6targetE1EEEvT1_.kd
    .uniform_work_group_size: 1
    .uses_dynamic_stack: false
    .vgpr_count:     0
    .vgpr_spill_count: 0
    .wavefront_size: 64
  - .agpr_count:     0
    .args:
      - .offset:         0
        .size:           104
        .value_kind:     by_value
    .group_segment_fixed_size: 0
    .kernarg_segment_align: 8
    .kernarg_segment_size: 104
    .language:       OpenCL C
    .language_version:
      - 2
      - 0
    .max_flat_workgroup_size: 64
    .name:           _ZN7rocprim17ROCPRIM_400000_NS6detail17trampoline_kernelINS0_14default_configENS1_20scan_config_selectorIfEEZZNS1_9scan_implILNS1_25lookback_scan_determinismE0ELb0ELb0ES3_N6thrust23THRUST_200600_302600_NS6detail15normal_iteratorINS9_10device_ptrIfEEEENS9_16discard_iteratorINS9_11use_defaultEEEf11max_functorIfEfEEDaPvRmT3_T4_T5_mT6_P12ihipStream_tbENKUlT_T0_E_clISt17integral_constantIbLb0EESW_IbLb1EEEEDaSS_ST_EUlSS_E_NS1_11comp_targetILNS1_3genE8ELNS1_11target_archE1030ELNS1_3gpuE2ELNS1_3repE0EEENS1_30default_config_static_selectorELNS0_4arch9wavefront6targetE1EEEvT1_
    .private_segment_fixed_size: 0
    .sgpr_count:     4
    .sgpr_spill_count: 0
    .symbol:         _ZN7rocprim17ROCPRIM_400000_NS6detail17trampoline_kernelINS0_14default_configENS1_20scan_config_selectorIfEEZZNS1_9scan_implILNS1_25lookback_scan_determinismE0ELb0ELb0ES3_N6thrust23THRUST_200600_302600_NS6detail15normal_iteratorINS9_10device_ptrIfEEEENS9_16discard_iteratorINS9_11use_defaultEEEf11max_functorIfEfEEDaPvRmT3_T4_T5_mT6_P12ihipStream_tbENKUlT_T0_E_clISt17integral_constantIbLb0EESW_IbLb1EEEEDaSS_ST_EUlSS_E_NS1_11comp_targetILNS1_3genE8ELNS1_11target_archE1030ELNS1_3gpuE2ELNS1_3repE0EEENS1_30default_config_static_selectorELNS0_4arch9wavefront6targetE1EEEvT1_.kd
    .uniform_work_group_size: 1
    .uses_dynamic_stack: false
    .vgpr_count:     0
    .vgpr_spill_count: 0
    .wavefront_size: 64
  - .agpr_count:     0
    .args:
      - .offset:         0
        .size:           40
        .value_kind:     by_value
    .group_segment_fixed_size: 0
    .kernarg_segment_align: 8
    .kernarg_segment_size: 40
    .language:       OpenCL C
    .language_version:
      - 2
      - 0
    .max_flat_workgroup_size: 256
    .name:           _ZN7rocprim17ROCPRIM_400000_NS6detail17trampoline_kernelINS0_14default_configENS1_20scan_config_selectorIfEEZZNS1_9scan_implILNS1_25lookback_scan_determinismE0ELb0ELb0ES3_N6thrust23THRUST_200600_302600_NS6detail15normal_iteratorINS9_10device_ptrIfEEEENS9_16discard_iteratorINS9_11use_defaultEEEf11max_functorIfEfEEDaPvRmT3_T4_T5_mT6_P12ihipStream_tbENKUlT_T0_E_clISt17integral_constantIbLb0EESW_IbLb1EEEEDaSS_ST_EUlSS_E0_NS1_11comp_targetILNS1_3genE0ELNS1_11target_archE4294967295ELNS1_3gpuE0ELNS1_3repE0EEENS1_30default_config_static_selectorELNS0_4arch9wavefront6targetE1EEEvT1_
    .private_segment_fixed_size: 0
    .sgpr_count:     4
    .sgpr_spill_count: 0
    .symbol:         _ZN7rocprim17ROCPRIM_400000_NS6detail17trampoline_kernelINS0_14default_configENS1_20scan_config_selectorIfEEZZNS1_9scan_implILNS1_25lookback_scan_determinismE0ELb0ELb0ES3_N6thrust23THRUST_200600_302600_NS6detail15normal_iteratorINS9_10device_ptrIfEEEENS9_16discard_iteratorINS9_11use_defaultEEEf11max_functorIfEfEEDaPvRmT3_T4_T5_mT6_P12ihipStream_tbENKUlT_T0_E_clISt17integral_constantIbLb0EESW_IbLb1EEEEDaSS_ST_EUlSS_E0_NS1_11comp_targetILNS1_3genE0ELNS1_11target_archE4294967295ELNS1_3gpuE0ELNS1_3repE0EEENS1_30default_config_static_selectorELNS0_4arch9wavefront6targetE1EEEvT1_.kd
    .uniform_work_group_size: 1
    .uses_dynamic_stack: false
    .vgpr_count:     0
    .vgpr_spill_count: 0
    .wavefront_size: 64
  - .agpr_count:     0
    .args:
      - .offset:         0
        .size:           40
        .value_kind:     by_value
    .group_segment_fixed_size: 0
    .kernarg_segment_align: 8
    .kernarg_segment_size: 40
    .language:       OpenCL C
    .language_version:
      - 2
      - 0
    .max_flat_workgroup_size: 256
    .name:           _ZN7rocprim17ROCPRIM_400000_NS6detail17trampoline_kernelINS0_14default_configENS1_20scan_config_selectorIfEEZZNS1_9scan_implILNS1_25lookback_scan_determinismE0ELb0ELb0ES3_N6thrust23THRUST_200600_302600_NS6detail15normal_iteratorINS9_10device_ptrIfEEEENS9_16discard_iteratorINS9_11use_defaultEEEf11max_functorIfEfEEDaPvRmT3_T4_T5_mT6_P12ihipStream_tbENKUlT_T0_E_clISt17integral_constantIbLb0EESW_IbLb1EEEEDaSS_ST_EUlSS_E0_NS1_11comp_targetILNS1_3genE5ELNS1_11target_archE942ELNS1_3gpuE9ELNS1_3repE0EEENS1_30default_config_static_selectorELNS0_4arch9wavefront6targetE1EEEvT1_
    .private_segment_fixed_size: 0
    .sgpr_count:     4
    .sgpr_spill_count: 0
    .symbol:         _ZN7rocprim17ROCPRIM_400000_NS6detail17trampoline_kernelINS0_14default_configENS1_20scan_config_selectorIfEEZZNS1_9scan_implILNS1_25lookback_scan_determinismE0ELb0ELb0ES3_N6thrust23THRUST_200600_302600_NS6detail15normal_iteratorINS9_10device_ptrIfEEEENS9_16discard_iteratorINS9_11use_defaultEEEf11max_functorIfEfEEDaPvRmT3_T4_T5_mT6_P12ihipStream_tbENKUlT_T0_E_clISt17integral_constantIbLb0EESW_IbLb1EEEEDaSS_ST_EUlSS_E0_NS1_11comp_targetILNS1_3genE5ELNS1_11target_archE942ELNS1_3gpuE9ELNS1_3repE0EEENS1_30default_config_static_selectorELNS0_4arch9wavefront6targetE1EEEvT1_.kd
    .uniform_work_group_size: 1
    .uses_dynamic_stack: false
    .vgpr_count:     0
    .vgpr_spill_count: 0
    .wavefront_size: 64
  - .agpr_count:     0
    .args:
      - .offset:         0
        .size:           40
        .value_kind:     by_value
    .group_segment_fixed_size: 7168
    .kernarg_segment_align: 8
    .kernarg_segment_size: 40
    .language:       OpenCL C
    .language_version:
      - 2
      - 0
    .max_flat_workgroup_size: 128
    .name:           _ZN7rocprim17ROCPRIM_400000_NS6detail17trampoline_kernelINS0_14default_configENS1_20scan_config_selectorIfEEZZNS1_9scan_implILNS1_25lookback_scan_determinismE0ELb0ELb0ES3_N6thrust23THRUST_200600_302600_NS6detail15normal_iteratorINS9_10device_ptrIfEEEENS9_16discard_iteratorINS9_11use_defaultEEEf11max_functorIfEfEEDaPvRmT3_T4_T5_mT6_P12ihipStream_tbENKUlT_T0_E_clISt17integral_constantIbLb0EESW_IbLb1EEEEDaSS_ST_EUlSS_E0_NS1_11comp_targetILNS1_3genE4ELNS1_11target_archE910ELNS1_3gpuE8ELNS1_3repE0EEENS1_30default_config_static_selectorELNS0_4arch9wavefront6targetE1EEEvT1_
    .private_segment_fixed_size: 0
    .sgpr_count:     12
    .sgpr_spill_count: 0
    .symbol:         _ZN7rocprim17ROCPRIM_400000_NS6detail17trampoline_kernelINS0_14default_configENS1_20scan_config_selectorIfEEZZNS1_9scan_implILNS1_25lookback_scan_determinismE0ELb0ELb0ES3_N6thrust23THRUST_200600_302600_NS6detail15normal_iteratorINS9_10device_ptrIfEEEENS9_16discard_iteratorINS9_11use_defaultEEEf11max_functorIfEfEEDaPvRmT3_T4_T5_mT6_P12ihipStream_tbENKUlT_T0_E_clISt17integral_constantIbLb0EESW_IbLb1EEEEDaSS_ST_EUlSS_E0_NS1_11comp_targetILNS1_3genE4ELNS1_11target_archE910ELNS1_3gpuE8ELNS1_3repE0EEENS1_30default_config_static_selectorELNS0_4arch9wavefront6targetE1EEEvT1_.kd
    .uniform_work_group_size: 1
    .uses_dynamic_stack: false
    .vgpr_count:     24
    .vgpr_spill_count: 0
    .wavefront_size: 64
  - .agpr_count:     0
    .args:
      - .offset:         0
        .size:           40
        .value_kind:     by_value
    .group_segment_fixed_size: 0
    .kernarg_segment_align: 8
    .kernarg_segment_size: 40
    .language:       OpenCL C
    .language_version:
      - 2
      - 0
    .max_flat_workgroup_size: 256
    .name:           _ZN7rocprim17ROCPRIM_400000_NS6detail17trampoline_kernelINS0_14default_configENS1_20scan_config_selectorIfEEZZNS1_9scan_implILNS1_25lookback_scan_determinismE0ELb0ELb0ES3_N6thrust23THRUST_200600_302600_NS6detail15normal_iteratorINS9_10device_ptrIfEEEENS9_16discard_iteratorINS9_11use_defaultEEEf11max_functorIfEfEEDaPvRmT3_T4_T5_mT6_P12ihipStream_tbENKUlT_T0_E_clISt17integral_constantIbLb0EESW_IbLb1EEEEDaSS_ST_EUlSS_E0_NS1_11comp_targetILNS1_3genE3ELNS1_11target_archE908ELNS1_3gpuE7ELNS1_3repE0EEENS1_30default_config_static_selectorELNS0_4arch9wavefront6targetE1EEEvT1_
    .private_segment_fixed_size: 0
    .sgpr_count:     4
    .sgpr_spill_count: 0
    .symbol:         _ZN7rocprim17ROCPRIM_400000_NS6detail17trampoline_kernelINS0_14default_configENS1_20scan_config_selectorIfEEZZNS1_9scan_implILNS1_25lookback_scan_determinismE0ELb0ELb0ES3_N6thrust23THRUST_200600_302600_NS6detail15normal_iteratorINS9_10device_ptrIfEEEENS9_16discard_iteratorINS9_11use_defaultEEEf11max_functorIfEfEEDaPvRmT3_T4_T5_mT6_P12ihipStream_tbENKUlT_T0_E_clISt17integral_constantIbLb0EESW_IbLb1EEEEDaSS_ST_EUlSS_E0_NS1_11comp_targetILNS1_3genE3ELNS1_11target_archE908ELNS1_3gpuE7ELNS1_3repE0EEENS1_30default_config_static_selectorELNS0_4arch9wavefront6targetE1EEEvT1_.kd
    .uniform_work_group_size: 1
    .uses_dynamic_stack: false
    .vgpr_count:     0
    .vgpr_spill_count: 0
    .wavefront_size: 64
  - .agpr_count:     0
    .args:
      - .offset:         0
        .size:           40
        .value_kind:     by_value
    .group_segment_fixed_size: 0
    .kernarg_segment_align: 8
    .kernarg_segment_size: 40
    .language:       OpenCL C
    .language_version:
      - 2
      - 0
    .max_flat_workgroup_size: 256
    .name:           _ZN7rocprim17ROCPRIM_400000_NS6detail17trampoline_kernelINS0_14default_configENS1_20scan_config_selectorIfEEZZNS1_9scan_implILNS1_25lookback_scan_determinismE0ELb0ELb0ES3_N6thrust23THRUST_200600_302600_NS6detail15normal_iteratorINS9_10device_ptrIfEEEENS9_16discard_iteratorINS9_11use_defaultEEEf11max_functorIfEfEEDaPvRmT3_T4_T5_mT6_P12ihipStream_tbENKUlT_T0_E_clISt17integral_constantIbLb0EESW_IbLb1EEEEDaSS_ST_EUlSS_E0_NS1_11comp_targetILNS1_3genE2ELNS1_11target_archE906ELNS1_3gpuE6ELNS1_3repE0EEENS1_30default_config_static_selectorELNS0_4arch9wavefront6targetE1EEEvT1_
    .private_segment_fixed_size: 0
    .sgpr_count:     4
    .sgpr_spill_count: 0
    .symbol:         _ZN7rocprim17ROCPRIM_400000_NS6detail17trampoline_kernelINS0_14default_configENS1_20scan_config_selectorIfEEZZNS1_9scan_implILNS1_25lookback_scan_determinismE0ELb0ELb0ES3_N6thrust23THRUST_200600_302600_NS6detail15normal_iteratorINS9_10device_ptrIfEEEENS9_16discard_iteratorINS9_11use_defaultEEEf11max_functorIfEfEEDaPvRmT3_T4_T5_mT6_P12ihipStream_tbENKUlT_T0_E_clISt17integral_constantIbLb0EESW_IbLb1EEEEDaSS_ST_EUlSS_E0_NS1_11comp_targetILNS1_3genE2ELNS1_11target_archE906ELNS1_3gpuE6ELNS1_3repE0EEENS1_30default_config_static_selectorELNS0_4arch9wavefront6targetE1EEEvT1_.kd
    .uniform_work_group_size: 1
    .uses_dynamic_stack: false
    .vgpr_count:     0
    .vgpr_spill_count: 0
    .wavefront_size: 64
  - .agpr_count:     0
    .args:
      - .offset:         0
        .size:           40
        .value_kind:     by_value
    .group_segment_fixed_size: 0
    .kernarg_segment_align: 8
    .kernarg_segment_size: 40
    .language:       OpenCL C
    .language_version:
      - 2
      - 0
    .max_flat_workgroup_size: 256
    .name:           _ZN7rocprim17ROCPRIM_400000_NS6detail17trampoline_kernelINS0_14default_configENS1_20scan_config_selectorIfEEZZNS1_9scan_implILNS1_25lookback_scan_determinismE0ELb0ELb0ES3_N6thrust23THRUST_200600_302600_NS6detail15normal_iteratorINS9_10device_ptrIfEEEENS9_16discard_iteratorINS9_11use_defaultEEEf11max_functorIfEfEEDaPvRmT3_T4_T5_mT6_P12ihipStream_tbENKUlT_T0_E_clISt17integral_constantIbLb0EESW_IbLb1EEEEDaSS_ST_EUlSS_E0_NS1_11comp_targetILNS1_3genE10ELNS1_11target_archE1201ELNS1_3gpuE5ELNS1_3repE0EEENS1_30default_config_static_selectorELNS0_4arch9wavefront6targetE1EEEvT1_
    .private_segment_fixed_size: 0
    .sgpr_count:     4
    .sgpr_spill_count: 0
    .symbol:         _ZN7rocprim17ROCPRIM_400000_NS6detail17trampoline_kernelINS0_14default_configENS1_20scan_config_selectorIfEEZZNS1_9scan_implILNS1_25lookback_scan_determinismE0ELb0ELb0ES3_N6thrust23THRUST_200600_302600_NS6detail15normal_iteratorINS9_10device_ptrIfEEEENS9_16discard_iteratorINS9_11use_defaultEEEf11max_functorIfEfEEDaPvRmT3_T4_T5_mT6_P12ihipStream_tbENKUlT_T0_E_clISt17integral_constantIbLb0EESW_IbLb1EEEEDaSS_ST_EUlSS_E0_NS1_11comp_targetILNS1_3genE10ELNS1_11target_archE1201ELNS1_3gpuE5ELNS1_3repE0EEENS1_30default_config_static_selectorELNS0_4arch9wavefront6targetE1EEEvT1_.kd
    .uniform_work_group_size: 1
    .uses_dynamic_stack: false
    .vgpr_count:     0
    .vgpr_spill_count: 0
    .wavefront_size: 64
  - .agpr_count:     0
    .args:
      - .offset:         0
        .size:           40
        .value_kind:     by_value
    .group_segment_fixed_size: 0
    .kernarg_segment_align: 8
    .kernarg_segment_size: 40
    .language:       OpenCL C
    .language_version:
      - 2
      - 0
    .max_flat_workgroup_size: 256
    .name:           _ZN7rocprim17ROCPRIM_400000_NS6detail17trampoline_kernelINS0_14default_configENS1_20scan_config_selectorIfEEZZNS1_9scan_implILNS1_25lookback_scan_determinismE0ELb0ELb0ES3_N6thrust23THRUST_200600_302600_NS6detail15normal_iteratorINS9_10device_ptrIfEEEENS9_16discard_iteratorINS9_11use_defaultEEEf11max_functorIfEfEEDaPvRmT3_T4_T5_mT6_P12ihipStream_tbENKUlT_T0_E_clISt17integral_constantIbLb0EESW_IbLb1EEEEDaSS_ST_EUlSS_E0_NS1_11comp_targetILNS1_3genE10ELNS1_11target_archE1200ELNS1_3gpuE4ELNS1_3repE0EEENS1_30default_config_static_selectorELNS0_4arch9wavefront6targetE1EEEvT1_
    .private_segment_fixed_size: 0
    .sgpr_count:     4
    .sgpr_spill_count: 0
    .symbol:         _ZN7rocprim17ROCPRIM_400000_NS6detail17trampoline_kernelINS0_14default_configENS1_20scan_config_selectorIfEEZZNS1_9scan_implILNS1_25lookback_scan_determinismE0ELb0ELb0ES3_N6thrust23THRUST_200600_302600_NS6detail15normal_iteratorINS9_10device_ptrIfEEEENS9_16discard_iteratorINS9_11use_defaultEEEf11max_functorIfEfEEDaPvRmT3_T4_T5_mT6_P12ihipStream_tbENKUlT_T0_E_clISt17integral_constantIbLb0EESW_IbLb1EEEEDaSS_ST_EUlSS_E0_NS1_11comp_targetILNS1_3genE10ELNS1_11target_archE1200ELNS1_3gpuE4ELNS1_3repE0EEENS1_30default_config_static_selectorELNS0_4arch9wavefront6targetE1EEEvT1_.kd
    .uniform_work_group_size: 1
    .uses_dynamic_stack: false
    .vgpr_count:     0
    .vgpr_spill_count: 0
    .wavefront_size: 64
  - .agpr_count:     0
    .args:
      - .offset:         0
        .size:           40
        .value_kind:     by_value
    .group_segment_fixed_size: 0
    .kernarg_segment_align: 8
    .kernarg_segment_size: 40
    .language:       OpenCL C
    .language_version:
      - 2
      - 0
    .max_flat_workgroup_size: 256
    .name:           _ZN7rocprim17ROCPRIM_400000_NS6detail17trampoline_kernelINS0_14default_configENS1_20scan_config_selectorIfEEZZNS1_9scan_implILNS1_25lookback_scan_determinismE0ELb0ELb0ES3_N6thrust23THRUST_200600_302600_NS6detail15normal_iteratorINS9_10device_ptrIfEEEENS9_16discard_iteratorINS9_11use_defaultEEEf11max_functorIfEfEEDaPvRmT3_T4_T5_mT6_P12ihipStream_tbENKUlT_T0_E_clISt17integral_constantIbLb0EESW_IbLb1EEEEDaSS_ST_EUlSS_E0_NS1_11comp_targetILNS1_3genE9ELNS1_11target_archE1100ELNS1_3gpuE3ELNS1_3repE0EEENS1_30default_config_static_selectorELNS0_4arch9wavefront6targetE1EEEvT1_
    .private_segment_fixed_size: 0
    .sgpr_count:     4
    .sgpr_spill_count: 0
    .symbol:         _ZN7rocprim17ROCPRIM_400000_NS6detail17trampoline_kernelINS0_14default_configENS1_20scan_config_selectorIfEEZZNS1_9scan_implILNS1_25lookback_scan_determinismE0ELb0ELb0ES3_N6thrust23THRUST_200600_302600_NS6detail15normal_iteratorINS9_10device_ptrIfEEEENS9_16discard_iteratorINS9_11use_defaultEEEf11max_functorIfEfEEDaPvRmT3_T4_T5_mT6_P12ihipStream_tbENKUlT_T0_E_clISt17integral_constantIbLb0EESW_IbLb1EEEEDaSS_ST_EUlSS_E0_NS1_11comp_targetILNS1_3genE9ELNS1_11target_archE1100ELNS1_3gpuE3ELNS1_3repE0EEENS1_30default_config_static_selectorELNS0_4arch9wavefront6targetE1EEEvT1_.kd
    .uniform_work_group_size: 1
    .uses_dynamic_stack: false
    .vgpr_count:     0
    .vgpr_spill_count: 0
    .wavefront_size: 64
  - .agpr_count:     0
    .args:
      - .offset:         0
        .size:           40
        .value_kind:     by_value
    .group_segment_fixed_size: 0
    .kernarg_segment_align: 8
    .kernarg_segment_size: 40
    .language:       OpenCL C
    .language_version:
      - 2
      - 0
    .max_flat_workgroup_size: 64
    .name:           _ZN7rocprim17ROCPRIM_400000_NS6detail17trampoline_kernelINS0_14default_configENS1_20scan_config_selectorIfEEZZNS1_9scan_implILNS1_25lookback_scan_determinismE0ELb0ELb0ES3_N6thrust23THRUST_200600_302600_NS6detail15normal_iteratorINS9_10device_ptrIfEEEENS9_16discard_iteratorINS9_11use_defaultEEEf11max_functorIfEfEEDaPvRmT3_T4_T5_mT6_P12ihipStream_tbENKUlT_T0_E_clISt17integral_constantIbLb0EESW_IbLb1EEEEDaSS_ST_EUlSS_E0_NS1_11comp_targetILNS1_3genE8ELNS1_11target_archE1030ELNS1_3gpuE2ELNS1_3repE0EEENS1_30default_config_static_selectorELNS0_4arch9wavefront6targetE1EEEvT1_
    .private_segment_fixed_size: 0
    .sgpr_count:     4
    .sgpr_spill_count: 0
    .symbol:         _ZN7rocprim17ROCPRIM_400000_NS6detail17trampoline_kernelINS0_14default_configENS1_20scan_config_selectorIfEEZZNS1_9scan_implILNS1_25lookback_scan_determinismE0ELb0ELb0ES3_N6thrust23THRUST_200600_302600_NS6detail15normal_iteratorINS9_10device_ptrIfEEEENS9_16discard_iteratorINS9_11use_defaultEEEf11max_functorIfEfEEDaPvRmT3_T4_T5_mT6_P12ihipStream_tbENKUlT_T0_E_clISt17integral_constantIbLb0EESW_IbLb1EEEEDaSS_ST_EUlSS_E0_NS1_11comp_targetILNS1_3genE8ELNS1_11target_archE1030ELNS1_3gpuE2ELNS1_3repE0EEENS1_30default_config_static_selectorELNS0_4arch9wavefront6targetE1EEEvT1_.kd
    .uniform_work_group_size: 1
    .uses_dynamic_stack: false
    .vgpr_count:     0
    .vgpr_spill_count: 0
    .wavefront_size: 64
  - .agpr_count:     0
    .args:
      - .offset:         0
        .size:           104
        .value_kind:     by_value
    .group_segment_fixed_size: 0
    .kernarg_segment_align: 8
    .kernarg_segment_size: 104
    .language:       OpenCL C
    .language_version:
      - 2
      - 0
    .max_flat_workgroup_size: 256
    .name:           _ZN7rocprim17ROCPRIM_400000_NS6detail17trampoline_kernelINS0_14default_configENS1_20scan_config_selectorIfEEZZNS1_9scan_implILNS1_25lookback_scan_determinismE0ELb1ELb1ES3_N6thrust23THRUST_200600_302600_NS6detail15normal_iteratorINS9_10device_ptrIfEEEENS9_16discard_iteratorINS9_11use_defaultEEEf11max_functorIfEfEEDaPvRmT3_T4_T5_mT6_P12ihipStream_tbENKUlT_T0_E_clISt17integral_constantIbLb0EESX_EEDaSS_ST_EUlSS_E_NS1_11comp_targetILNS1_3genE0ELNS1_11target_archE4294967295ELNS1_3gpuE0ELNS1_3repE0EEENS1_30default_config_static_selectorELNS0_4arch9wavefront6targetE1EEEvT1_
    .private_segment_fixed_size: 0
    .sgpr_count:     4
    .sgpr_spill_count: 0
    .symbol:         _ZN7rocprim17ROCPRIM_400000_NS6detail17trampoline_kernelINS0_14default_configENS1_20scan_config_selectorIfEEZZNS1_9scan_implILNS1_25lookback_scan_determinismE0ELb1ELb1ES3_N6thrust23THRUST_200600_302600_NS6detail15normal_iteratorINS9_10device_ptrIfEEEENS9_16discard_iteratorINS9_11use_defaultEEEf11max_functorIfEfEEDaPvRmT3_T4_T5_mT6_P12ihipStream_tbENKUlT_T0_E_clISt17integral_constantIbLb0EESX_EEDaSS_ST_EUlSS_E_NS1_11comp_targetILNS1_3genE0ELNS1_11target_archE4294967295ELNS1_3gpuE0ELNS1_3repE0EEENS1_30default_config_static_selectorELNS0_4arch9wavefront6targetE1EEEvT1_.kd
    .uniform_work_group_size: 1
    .uses_dynamic_stack: false
    .vgpr_count:     0
    .vgpr_spill_count: 0
    .wavefront_size: 64
  - .agpr_count:     0
    .args:
      - .offset:         0
        .size:           104
        .value_kind:     by_value
    .group_segment_fixed_size: 0
    .kernarg_segment_align: 8
    .kernarg_segment_size: 104
    .language:       OpenCL C
    .language_version:
      - 2
      - 0
    .max_flat_workgroup_size: 256
    .name:           _ZN7rocprim17ROCPRIM_400000_NS6detail17trampoline_kernelINS0_14default_configENS1_20scan_config_selectorIfEEZZNS1_9scan_implILNS1_25lookback_scan_determinismE0ELb1ELb1ES3_N6thrust23THRUST_200600_302600_NS6detail15normal_iteratorINS9_10device_ptrIfEEEENS9_16discard_iteratorINS9_11use_defaultEEEf11max_functorIfEfEEDaPvRmT3_T4_T5_mT6_P12ihipStream_tbENKUlT_T0_E_clISt17integral_constantIbLb0EESX_EEDaSS_ST_EUlSS_E_NS1_11comp_targetILNS1_3genE5ELNS1_11target_archE942ELNS1_3gpuE9ELNS1_3repE0EEENS1_30default_config_static_selectorELNS0_4arch9wavefront6targetE1EEEvT1_
    .private_segment_fixed_size: 0
    .sgpr_count:     4
    .sgpr_spill_count: 0
    .symbol:         _ZN7rocprim17ROCPRIM_400000_NS6detail17trampoline_kernelINS0_14default_configENS1_20scan_config_selectorIfEEZZNS1_9scan_implILNS1_25lookback_scan_determinismE0ELb1ELb1ES3_N6thrust23THRUST_200600_302600_NS6detail15normal_iteratorINS9_10device_ptrIfEEEENS9_16discard_iteratorINS9_11use_defaultEEEf11max_functorIfEfEEDaPvRmT3_T4_T5_mT6_P12ihipStream_tbENKUlT_T0_E_clISt17integral_constantIbLb0EESX_EEDaSS_ST_EUlSS_E_NS1_11comp_targetILNS1_3genE5ELNS1_11target_archE942ELNS1_3gpuE9ELNS1_3repE0EEENS1_30default_config_static_selectorELNS0_4arch9wavefront6targetE1EEEvT1_.kd
    .uniform_work_group_size: 1
    .uses_dynamic_stack: false
    .vgpr_count:     0
    .vgpr_spill_count: 0
    .wavefront_size: 64
  - .agpr_count:     0
    .args:
      - .offset:         0
        .size:           104
        .value_kind:     by_value
    .group_segment_fixed_size: 7168
    .kernarg_segment_align: 8
    .kernarg_segment_size: 104
    .language:       OpenCL C
    .language_version:
      - 2
      - 0
    .max_flat_workgroup_size: 128
    .name:           _ZN7rocprim17ROCPRIM_400000_NS6detail17trampoline_kernelINS0_14default_configENS1_20scan_config_selectorIfEEZZNS1_9scan_implILNS1_25lookback_scan_determinismE0ELb1ELb1ES3_N6thrust23THRUST_200600_302600_NS6detail15normal_iteratorINS9_10device_ptrIfEEEENS9_16discard_iteratorINS9_11use_defaultEEEf11max_functorIfEfEEDaPvRmT3_T4_T5_mT6_P12ihipStream_tbENKUlT_T0_E_clISt17integral_constantIbLb0EESX_EEDaSS_ST_EUlSS_E_NS1_11comp_targetILNS1_3genE4ELNS1_11target_archE910ELNS1_3gpuE8ELNS1_3repE0EEENS1_30default_config_static_selectorELNS0_4arch9wavefront6targetE1EEEvT1_
    .private_segment_fixed_size: 0
    .sgpr_count:     27
    .sgpr_spill_count: 0
    .symbol:         _ZN7rocprim17ROCPRIM_400000_NS6detail17trampoline_kernelINS0_14default_configENS1_20scan_config_selectorIfEEZZNS1_9scan_implILNS1_25lookback_scan_determinismE0ELb1ELb1ES3_N6thrust23THRUST_200600_302600_NS6detail15normal_iteratorINS9_10device_ptrIfEEEENS9_16discard_iteratorINS9_11use_defaultEEEf11max_functorIfEfEEDaPvRmT3_T4_T5_mT6_P12ihipStream_tbENKUlT_T0_E_clISt17integral_constantIbLb0EESX_EEDaSS_ST_EUlSS_E_NS1_11comp_targetILNS1_3genE4ELNS1_11target_archE910ELNS1_3gpuE8ELNS1_3repE0EEENS1_30default_config_static_selectorELNS0_4arch9wavefront6targetE1EEEvT1_.kd
    .uniform_work_group_size: 1
    .uses_dynamic_stack: false
    .vgpr_count:     43
    .vgpr_spill_count: 0
    .wavefront_size: 64
  - .agpr_count:     0
    .args:
      - .offset:         0
        .size:           104
        .value_kind:     by_value
    .group_segment_fixed_size: 0
    .kernarg_segment_align: 8
    .kernarg_segment_size: 104
    .language:       OpenCL C
    .language_version:
      - 2
      - 0
    .max_flat_workgroup_size: 256
    .name:           _ZN7rocprim17ROCPRIM_400000_NS6detail17trampoline_kernelINS0_14default_configENS1_20scan_config_selectorIfEEZZNS1_9scan_implILNS1_25lookback_scan_determinismE0ELb1ELb1ES3_N6thrust23THRUST_200600_302600_NS6detail15normal_iteratorINS9_10device_ptrIfEEEENS9_16discard_iteratorINS9_11use_defaultEEEf11max_functorIfEfEEDaPvRmT3_T4_T5_mT6_P12ihipStream_tbENKUlT_T0_E_clISt17integral_constantIbLb0EESX_EEDaSS_ST_EUlSS_E_NS1_11comp_targetILNS1_3genE3ELNS1_11target_archE908ELNS1_3gpuE7ELNS1_3repE0EEENS1_30default_config_static_selectorELNS0_4arch9wavefront6targetE1EEEvT1_
    .private_segment_fixed_size: 0
    .sgpr_count:     4
    .sgpr_spill_count: 0
    .symbol:         _ZN7rocprim17ROCPRIM_400000_NS6detail17trampoline_kernelINS0_14default_configENS1_20scan_config_selectorIfEEZZNS1_9scan_implILNS1_25lookback_scan_determinismE0ELb1ELb1ES3_N6thrust23THRUST_200600_302600_NS6detail15normal_iteratorINS9_10device_ptrIfEEEENS9_16discard_iteratorINS9_11use_defaultEEEf11max_functorIfEfEEDaPvRmT3_T4_T5_mT6_P12ihipStream_tbENKUlT_T0_E_clISt17integral_constantIbLb0EESX_EEDaSS_ST_EUlSS_E_NS1_11comp_targetILNS1_3genE3ELNS1_11target_archE908ELNS1_3gpuE7ELNS1_3repE0EEENS1_30default_config_static_selectorELNS0_4arch9wavefront6targetE1EEEvT1_.kd
    .uniform_work_group_size: 1
    .uses_dynamic_stack: false
    .vgpr_count:     0
    .vgpr_spill_count: 0
    .wavefront_size: 64
  - .agpr_count:     0
    .args:
      - .offset:         0
        .size:           104
        .value_kind:     by_value
    .group_segment_fixed_size: 0
    .kernarg_segment_align: 8
    .kernarg_segment_size: 104
    .language:       OpenCL C
    .language_version:
      - 2
      - 0
    .max_flat_workgroup_size: 256
    .name:           _ZN7rocprim17ROCPRIM_400000_NS6detail17trampoline_kernelINS0_14default_configENS1_20scan_config_selectorIfEEZZNS1_9scan_implILNS1_25lookback_scan_determinismE0ELb1ELb1ES3_N6thrust23THRUST_200600_302600_NS6detail15normal_iteratorINS9_10device_ptrIfEEEENS9_16discard_iteratorINS9_11use_defaultEEEf11max_functorIfEfEEDaPvRmT3_T4_T5_mT6_P12ihipStream_tbENKUlT_T0_E_clISt17integral_constantIbLb0EESX_EEDaSS_ST_EUlSS_E_NS1_11comp_targetILNS1_3genE2ELNS1_11target_archE906ELNS1_3gpuE6ELNS1_3repE0EEENS1_30default_config_static_selectorELNS0_4arch9wavefront6targetE1EEEvT1_
    .private_segment_fixed_size: 0
    .sgpr_count:     4
    .sgpr_spill_count: 0
    .symbol:         _ZN7rocprim17ROCPRIM_400000_NS6detail17trampoline_kernelINS0_14default_configENS1_20scan_config_selectorIfEEZZNS1_9scan_implILNS1_25lookback_scan_determinismE0ELb1ELb1ES3_N6thrust23THRUST_200600_302600_NS6detail15normal_iteratorINS9_10device_ptrIfEEEENS9_16discard_iteratorINS9_11use_defaultEEEf11max_functorIfEfEEDaPvRmT3_T4_T5_mT6_P12ihipStream_tbENKUlT_T0_E_clISt17integral_constantIbLb0EESX_EEDaSS_ST_EUlSS_E_NS1_11comp_targetILNS1_3genE2ELNS1_11target_archE906ELNS1_3gpuE6ELNS1_3repE0EEENS1_30default_config_static_selectorELNS0_4arch9wavefront6targetE1EEEvT1_.kd
    .uniform_work_group_size: 1
    .uses_dynamic_stack: false
    .vgpr_count:     0
    .vgpr_spill_count: 0
    .wavefront_size: 64
  - .agpr_count:     0
    .args:
      - .offset:         0
        .size:           104
        .value_kind:     by_value
    .group_segment_fixed_size: 0
    .kernarg_segment_align: 8
    .kernarg_segment_size: 104
    .language:       OpenCL C
    .language_version:
      - 2
      - 0
    .max_flat_workgroup_size: 256
    .name:           _ZN7rocprim17ROCPRIM_400000_NS6detail17trampoline_kernelINS0_14default_configENS1_20scan_config_selectorIfEEZZNS1_9scan_implILNS1_25lookback_scan_determinismE0ELb1ELb1ES3_N6thrust23THRUST_200600_302600_NS6detail15normal_iteratorINS9_10device_ptrIfEEEENS9_16discard_iteratorINS9_11use_defaultEEEf11max_functorIfEfEEDaPvRmT3_T4_T5_mT6_P12ihipStream_tbENKUlT_T0_E_clISt17integral_constantIbLb0EESX_EEDaSS_ST_EUlSS_E_NS1_11comp_targetILNS1_3genE10ELNS1_11target_archE1201ELNS1_3gpuE5ELNS1_3repE0EEENS1_30default_config_static_selectorELNS0_4arch9wavefront6targetE1EEEvT1_
    .private_segment_fixed_size: 0
    .sgpr_count:     4
    .sgpr_spill_count: 0
    .symbol:         _ZN7rocprim17ROCPRIM_400000_NS6detail17trampoline_kernelINS0_14default_configENS1_20scan_config_selectorIfEEZZNS1_9scan_implILNS1_25lookback_scan_determinismE0ELb1ELb1ES3_N6thrust23THRUST_200600_302600_NS6detail15normal_iteratorINS9_10device_ptrIfEEEENS9_16discard_iteratorINS9_11use_defaultEEEf11max_functorIfEfEEDaPvRmT3_T4_T5_mT6_P12ihipStream_tbENKUlT_T0_E_clISt17integral_constantIbLb0EESX_EEDaSS_ST_EUlSS_E_NS1_11comp_targetILNS1_3genE10ELNS1_11target_archE1201ELNS1_3gpuE5ELNS1_3repE0EEENS1_30default_config_static_selectorELNS0_4arch9wavefront6targetE1EEEvT1_.kd
    .uniform_work_group_size: 1
    .uses_dynamic_stack: false
    .vgpr_count:     0
    .vgpr_spill_count: 0
    .wavefront_size: 64
  - .agpr_count:     0
    .args:
      - .offset:         0
        .size:           104
        .value_kind:     by_value
    .group_segment_fixed_size: 0
    .kernarg_segment_align: 8
    .kernarg_segment_size: 104
    .language:       OpenCL C
    .language_version:
      - 2
      - 0
    .max_flat_workgroup_size: 256
    .name:           _ZN7rocprim17ROCPRIM_400000_NS6detail17trampoline_kernelINS0_14default_configENS1_20scan_config_selectorIfEEZZNS1_9scan_implILNS1_25lookback_scan_determinismE0ELb1ELb1ES3_N6thrust23THRUST_200600_302600_NS6detail15normal_iteratorINS9_10device_ptrIfEEEENS9_16discard_iteratorINS9_11use_defaultEEEf11max_functorIfEfEEDaPvRmT3_T4_T5_mT6_P12ihipStream_tbENKUlT_T0_E_clISt17integral_constantIbLb0EESX_EEDaSS_ST_EUlSS_E_NS1_11comp_targetILNS1_3genE10ELNS1_11target_archE1200ELNS1_3gpuE4ELNS1_3repE0EEENS1_30default_config_static_selectorELNS0_4arch9wavefront6targetE1EEEvT1_
    .private_segment_fixed_size: 0
    .sgpr_count:     4
    .sgpr_spill_count: 0
    .symbol:         _ZN7rocprim17ROCPRIM_400000_NS6detail17trampoline_kernelINS0_14default_configENS1_20scan_config_selectorIfEEZZNS1_9scan_implILNS1_25lookback_scan_determinismE0ELb1ELb1ES3_N6thrust23THRUST_200600_302600_NS6detail15normal_iteratorINS9_10device_ptrIfEEEENS9_16discard_iteratorINS9_11use_defaultEEEf11max_functorIfEfEEDaPvRmT3_T4_T5_mT6_P12ihipStream_tbENKUlT_T0_E_clISt17integral_constantIbLb0EESX_EEDaSS_ST_EUlSS_E_NS1_11comp_targetILNS1_3genE10ELNS1_11target_archE1200ELNS1_3gpuE4ELNS1_3repE0EEENS1_30default_config_static_selectorELNS0_4arch9wavefront6targetE1EEEvT1_.kd
    .uniform_work_group_size: 1
    .uses_dynamic_stack: false
    .vgpr_count:     0
    .vgpr_spill_count: 0
    .wavefront_size: 64
  - .agpr_count:     0
    .args:
      - .offset:         0
        .size:           104
        .value_kind:     by_value
    .group_segment_fixed_size: 0
    .kernarg_segment_align: 8
    .kernarg_segment_size: 104
    .language:       OpenCL C
    .language_version:
      - 2
      - 0
    .max_flat_workgroup_size: 256
    .name:           _ZN7rocprim17ROCPRIM_400000_NS6detail17trampoline_kernelINS0_14default_configENS1_20scan_config_selectorIfEEZZNS1_9scan_implILNS1_25lookback_scan_determinismE0ELb1ELb1ES3_N6thrust23THRUST_200600_302600_NS6detail15normal_iteratorINS9_10device_ptrIfEEEENS9_16discard_iteratorINS9_11use_defaultEEEf11max_functorIfEfEEDaPvRmT3_T4_T5_mT6_P12ihipStream_tbENKUlT_T0_E_clISt17integral_constantIbLb0EESX_EEDaSS_ST_EUlSS_E_NS1_11comp_targetILNS1_3genE9ELNS1_11target_archE1100ELNS1_3gpuE3ELNS1_3repE0EEENS1_30default_config_static_selectorELNS0_4arch9wavefront6targetE1EEEvT1_
    .private_segment_fixed_size: 0
    .sgpr_count:     4
    .sgpr_spill_count: 0
    .symbol:         _ZN7rocprim17ROCPRIM_400000_NS6detail17trampoline_kernelINS0_14default_configENS1_20scan_config_selectorIfEEZZNS1_9scan_implILNS1_25lookback_scan_determinismE0ELb1ELb1ES3_N6thrust23THRUST_200600_302600_NS6detail15normal_iteratorINS9_10device_ptrIfEEEENS9_16discard_iteratorINS9_11use_defaultEEEf11max_functorIfEfEEDaPvRmT3_T4_T5_mT6_P12ihipStream_tbENKUlT_T0_E_clISt17integral_constantIbLb0EESX_EEDaSS_ST_EUlSS_E_NS1_11comp_targetILNS1_3genE9ELNS1_11target_archE1100ELNS1_3gpuE3ELNS1_3repE0EEENS1_30default_config_static_selectorELNS0_4arch9wavefront6targetE1EEEvT1_.kd
    .uniform_work_group_size: 1
    .uses_dynamic_stack: false
    .vgpr_count:     0
    .vgpr_spill_count: 0
    .wavefront_size: 64
  - .agpr_count:     0
    .args:
      - .offset:         0
        .size:           104
        .value_kind:     by_value
    .group_segment_fixed_size: 0
    .kernarg_segment_align: 8
    .kernarg_segment_size: 104
    .language:       OpenCL C
    .language_version:
      - 2
      - 0
    .max_flat_workgroup_size: 64
    .name:           _ZN7rocprim17ROCPRIM_400000_NS6detail17trampoline_kernelINS0_14default_configENS1_20scan_config_selectorIfEEZZNS1_9scan_implILNS1_25lookback_scan_determinismE0ELb1ELb1ES3_N6thrust23THRUST_200600_302600_NS6detail15normal_iteratorINS9_10device_ptrIfEEEENS9_16discard_iteratorINS9_11use_defaultEEEf11max_functorIfEfEEDaPvRmT3_T4_T5_mT6_P12ihipStream_tbENKUlT_T0_E_clISt17integral_constantIbLb0EESX_EEDaSS_ST_EUlSS_E_NS1_11comp_targetILNS1_3genE8ELNS1_11target_archE1030ELNS1_3gpuE2ELNS1_3repE0EEENS1_30default_config_static_selectorELNS0_4arch9wavefront6targetE1EEEvT1_
    .private_segment_fixed_size: 0
    .sgpr_count:     4
    .sgpr_spill_count: 0
    .symbol:         _ZN7rocprim17ROCPRIM_400000_NS6detail17trampoline_kernelINS0_14default_configENS1_20scan_config_selectorIfEEZZNS1_9scan_implILNS1_25lookback_scan_determinismE0ELb1ELb1ES3_N6thrust23THRUST_200600_302600_NS6detail15normal_iteratorINS9_10device_ptrIfEEEENS9_16discard_iteratorINS9_11use_defaultEEEf11max_functorIfEfEEDaPvRmT3_T4_T5_mT6_P12ihipStream_tbENKUlT_T0_E_clISt17integral_constantIbLb0EESX_EEDaSS_ST_EUlSS_E_NS1_11comp_targetILNS1_3genE8ELNS1_11target_archE1030ELNS1_3gpuE2ELNS1_3repE0EEENS1_30default_config_static_selectorELNS0_4arch9wavefront6targetE1EEEvT1_.kd
    .uniform_work_group_size: 1
    .uses_dynamic_stack: false
    .vgpr_count:     0
    .vgpr_spill_count: 0
    .wavefront_size: 64
  - .agpr_count:     0
    .args:
      - .offset:         0
        .size:           40
        .value_kind:     by_value
    .group_segment_fixed_size: 0
    .kernarg_segment_align: 8
    .kernarg_segment_size: 40
    .language:       OpenCL C
    .language_version:
      - 2
      - 0
    .max_flat_workgroup_size: 256
    .name:           _ZN7rocprim17ROCPRIM_400000_NS6detail17trampoline_kernelINS0_14default_configENS1_20scan_config_selectorIfEEZZNS1_9scan_implILNS1_25lookback_scan_determinismE0ELb1ELb1ES3_N6thrust23THRUST_200600_302600_NS6detail15normal_iteratorINS9_10device_ptrIfEEEENS9_16discard_iteratorINS9_11use_defaultEEEf11max_functorIfEfEEDaPvRmT3_T4_T5_mT6_P12ihipStream_tbENKUlT_T0_E_clISt17integral_constantIbLb0EESX_EEDaSS_ST_EUlSS_E0_NS1_11comp_targetILNS1_3genE0ELNS1_11target_archE4294967295ELNS1_3gpuE0ELNS1_3repE0EEENS1_30default_config_static_selectorELNS0_4arch9wavefront6targetE1EEEvT1_
    .private_segment_fixed_size: 0
    .sgpr_count:     4
    .sgpr_spill_count: 0
    .symbol:         _ZN7rocprim17ROCPRIM_400000_NS6detail17trampoline_kernelINS0_14default_configENS1_20scan_config_selectorIfEEZZNS1_9scan_implILNS1_25lookback_scan_determinismE0ELb1ELb1ES3_N6thrust23THRUST_200600_302600_NS6detail15normal_iteratorINS9_10device_ptrIfEEEENS9_16discard_iteratorINS9_11use_defaultEEEf11max_functorIfEfEEDaPvRmT3_T4_T5_mT6_P12ihipStream_tbENKUlT_T0_E_clISt17integral_constantIbLb0EESX_EEDaSS_ST_EUlSS_E0_NS1_11comp_targetILNS1_3genE0ELNS1_11target_archE4294967295ELNS1_3gpuE0ELNS1_3repE0EEENS1_30default_config_static_selectorELNS0_4arch9wavefront6targetE1EEEvT1_.kd
    .uniform_work_group_size: 1
    .uses_dynamic_stack: false
    .vgpr_count:     0
    .vgpr_spill_count: 0
    .wavefront_size: 64
  - .agpr_count:     0
    .args:
      - .offset:         0
        .size:           40
        .value_kind:     by_value
    .group_segment_fixed_size: 0
    .kernarg_segment_align: 8
    .kernarg_segment_size: 40
    .language:       OpenCL C
    .language_version:
      - 2
      - 0
    .max_flat_workgroup_size: 256
    .name:           _ZN7rocprim17ROCPRIM_400000_NS6detail17trampoline_kernelINS0_14default_configENS1_20scan_config_selectorIfEEZZNS1_9scan_implILNS1_25lookback_scan_determinismE0ELb1ELb1ES3_N6thrust23THRUST_200600_302600_NS6detail15normal_iteratorINS9_10device_ptrIfEEEENS9_16discard_iteratorINS9_11use_defaultEEEf11max_functorIfEfEEDaPvRmT3_T4_T5_mT6_P12ihipStream_tbENKUlT_T0_E_clISt17integral_constantIbLb0EESX_EEDaSS_ST_EUlSS_E0_NS1_11comp_targetILNS1_3genE5ELNS1_11target_archE942ELNS1_3gpuE9ELNS1_3repE0EEENS1_30default_config_static_selectorELNS0_4arch9wavefront6targetE1EEEvT1_
    .private_segment_fixed_size: 0
    .sgpr_count:     4
    .sgpr_spill_count: 0
    .symbol:         _ZN7rocprim17ROCPRIM_400000_NS6detail17trampoline_kernelINS0_14default_configENS1_20scan_config_selectorIfEEZZNS1_9scan_implILNS1_25lookback_scan_determinismE0ELb1ELb1ES3_N6thrust23THRUST_200600_302600_NS6detail15normal_iteratorINS9_10device_ptrIfEEEENS9_16discard_iteratorINS9_11use_defaultEEEf11max_functorIfEfEEDaPvRmT3_T4_T5_mT6_P12ihipStream_tbENKUlT_T0_E_clISt17integral_constantIbLb0EESX_EEDaSS_ST_EUlSS_E0_NS1_11comp_targetILNS1_3genE5ELNS1_11target_archE942ELNS1_3gpuE9ELNS1_3repE0EEENS1_30default_config_static_selectorELNS0_4arch9wavefront6targetE1EEEvT1_.kd
    .uniform_work_group_size: 1
    .uses_dynamic_stack: false
    .vgpr_count:     0
    .vgpr_spill_count: 0
    .wavefront_size: 64
  - .agpr_count:     0
    .args:
      - .offset:         0
        .size:           40
        .value_kind:     by_value
    .group_segment_fixed_size: 7168
    .kernarg_segment_align: 8
    .kernarg_segment_size: 40
    .language:       OpenCL C
    .language_version:
      - 2
      - 0
    .max_flat_workgroup_size: 128
    .name:           _ZN7rocprim17ROCPRIM_400000_NS6detail17trampoline_kernelINS0_14default_configENS1_20scan_config_selectorIfEEZZNS1_9scan_implILNS1_25lookback_scan_determinismE0ELb1ELb1ES3_N6thrust23THRUST_200600_302600_NS6detail15normal_iteratorINS9_10device_ptrIfEEEENS9_16discard_iteratorINS9_11use_defaultEEEf11max_functorIfEfEEDaPvRmT3_T4_T5_mT6_P12ihipStream_tbENKUlT_T0_E_clISt17integral_constantIbLb0EESX_EEDaSS_ST_EUlSS_E0_NS1_11comp_targetILNS1_3genE4ELNS1_11target_archE910ELNS1_3gpuE8ELNS1_3repE0EEENS1_30default_config_static_selectorELNS0_4arch9wavefront6targetE1EEEvT1_
    .private_segment_fixed_size: 0
    .sgpr_count:     13
    .sgpr_spill_count: 0
    .symbol:         _ZN7rocprim17ROCPRIM_400000_NS6detail17trampoline_kernelINS0_14default_configENS1_20scan_config_selectorIfEEZZNS1_9scan_implILNS1_25lookback_scan_determinismE0ELb1ELb1ES3_N6thrust23THRUST_200600_302600_NS6detail15normal_iteratorINS9_10device_ptrIfEEEENS9_16discard_iteratorINS9_11use_defaultEEEf11max_functorIfEfEEDaPvRmT3_T4_T5_mT6_P12ihipStream_tbENKUlT_T0_E_clISt17integral_constantIbLb0EESX_EEDaSS_ST_EUlSS_E0_NS1_11comp_targetILNS1_3genE4ELNS1_11target_archE910ELNS1_3gpuE8ELNS1_3repE0EEENS1_30default_config_static_selectorELNS0_4arch9wavefront6targetE1EEEvT1_.kd
    .uniform_work_group_size: 1
    .uses_dynamic_stack: false
    .vgpr_count:     23
    .vgpr_spill_count: 0
    .wavefront_size: 64
  - .agpr_count:     0
    .args:
      - .offset:         0
        .size:           40
        .value_kind:     by_value
    .group_segment_fixed_size: 0
    .kernarg_segment_align: 8
    .kernarg_segment_size: 40
    .language:       OpenCL C
    .language_version:
      - 2
      - 0
    .max_flat_workgroup_size: 256
    .name:           _ZN7rocprim17ROCPRIM_400000_NS6detail17trampoline_kernelINS0_14default_configENS1_20scan_config_selectorIfEEZZNS1_9scan_implILNS1_25lookback_scan_determinismE0ELb1ELb1ES3_N6thrust23THRUST_200600_302600_NS6detail15normal_iteratorINS9_10device_ptrIfEEEENS9_16discard_iteratorINS9_11use_defaultEEEf11max_functorIfEfEEDaPvRmT3_T4_T5_mT6_P12ihipStream_tbENKUlT_T0_E_clISt17integral_constantIbLb0EESX_EEDaSS_ST_EUlSS_E0_NS1_11comp_targetILNS1_3genE3ELNS1_11target_archE908ELNS1_3gpuE7ELNS1_3repE0EEENS1_30default_config_static_selectorELNS0_4arch9wavefront6targetE1EEEvT1_
    .private_segment_fixed_size: 0
    .sgpr_count:     4
    .sgpr_spill_count: 0
    .symbol:         _ZN7rocprim17ROCPRIM_400000_NS6detail17trampoline_kernelINS0_14default_configENS1_20scan_config_selectorIfEEZZNS1_9scan_implILNS1_25lookback_scan_determinismE0ELb1ELb1ES3_N6thrust23THRUST_200600_302600_NS6detail15normal_iteratorINS9_10device_ptrIfEEEENS9_16discard_iteratorINS9_11use_defaultEEEf11max_functorIfEfEEDaPvRmT3_T4_T5_mT6_P12ihipStream_tbENKUlT_T0_E_clISt17integral_constantIbLb0EESX_EEDaSS_ST_EUlSS_E0_NS1_11comp_targetILNS1_3genE3ELNS1_11target_archE908ELNS1_3gpuE7ELNS1_3repE0EEENS1_30default_config_static_selectorELNS0_4arch9wavefront6targetE1EEEvT1_.kd
    .uniform_work_group_size: 1
    .uses_dynamic_stack: false
    .vgpr_count:     0
    .vgpr_spill_count: 0
    .wavefront_size: 64
  - .agpr_count:     0
    .args:
      - .offset:         0
        .size:           40
        .value_kind:     by_value
    .group_segment_fixed_size: 0
    .kernarg_segment_align: 8
    .kernarg_segment_size: 40
    .language:       OpenCL C
    .language_version:
      - 2
      - 0
    .max_flat_workgroup_size: 256
    .name:           _ZN7rocprim17ROCPRIM_400000_NS6detail17trampoline_kernelINS0_14default_configENS1_20scan_config_selectorIfEEZZNS1_9scan_implILNS1_25lookback_scan_determinismE0ELb1ELb1ES3_N6thrust23THRUST_200600_302600_NS6detail15normal_iteratorINS9_10device_ptrIfEEEENS9_16discard_iteratorINS9_11use_defaultEEEf11max_functorIfEfEEDaPvRmT3_T4_T5_mT6_P12ihipStream_tbENKUlT_T0_E_clISt17integral_constantIbLb0EESX_EEDaSS_ST_EUlSS_E0_NS1_11comp_targetILNS1_3genE2ELNS1_11target_archE906ELNS1_3gpuE6ELNS1_3repE0EEENS1_30default_config_static_selectorELNS0_4arch9wavefront6targetE1EEEvT1_
    .private_segment_fixed_size: 0
    .sgpr_count:     4
    .sgpr_spill_count: 0
    .symbol:         _ZN7rocprim17ROCPRIM_400000_NS6detail17trampoline_kernelINS0_14default_configENS1_20scan_config_selectorIfEEZZNS1_9scan_implILNS1_25lookback_scan_determinismE0ELb1ELb1ES3_N6thrust23THRUST_200600_302600_NS6detail15normal_iteratorINS9_10device_ptrIfEEEENS9_16discard_iteratorINS9_11use_defaultEEEf11max_functorIfEfEEDaPvRmT3_T4_T5_mT6_P12ihipStream_tbENKUlT_T0_E_clISt17integral_constantIbLb0EESX_EEDaSS_ST_EUlSS_E0_NS1_11comp_targetILNS1_3genE2ELNS1_11target_archE906ELNS1_3gpuE6ELNS1_3repE0EEENS1_30default_config_static_selectorELNS0_4arch9wavefront6targetE1EEEvT1_.kd
    .uniform_work_group_size: 1
    .uses_dynamic_stack: false
    .vgpr_count:     0
    .vgpr_spill_count: 0
    .wavefront_size: 64
  - .agpr_count:     0
    .args:
      - .offset:         0
        .size:           40
        .value_kind:     by_value
    .group_segment_fixed_size: 0
    .kernarg_segment_align: 8
    .kernarg_segment_size: 40
    .language:       OpenCL C
    .language_version:
      - 2
      - 0
    .max_flat_workgroup_size: 256
    .name:           _ZN7rocprim17ROCPRIM_400000_NS6detail17trampoline_kernelINS0_14default_configENS1_20scan_config_selectorIfEEZZNS1_9scan_implILNS1_25lookback_scan_determinismE0ELb1ELb1ES3_N6thrust23THRUST_200600_302600_NS6detail15normal_iteratorINS9_10device_ptrIfEEEENS9_16discard_iteratorINS9_11use_defaultEEEf11max_functorIfEfEEDaPvRmT3_T4_T5_mT6_P12ihipStream_tbENKUlT_T0_E_clISt17integral_constantIbLb0EESX_EEDaSS_ST_EUlSS_E0_NS1_11comp_targetILNS1_3genE10ELNS1_11target_archE1201ELNS1_3gpuE5ELNS1_3repE0EEENS1_30default_config_static_selectorELNS0_4arch9wavefront6targetE1EEEvT1_
    .private_segment_fixed_size: 0
    .sgpr_count:     4
    .sgpr_spill_count: 0
    .symbol:         _ZN7rocprim17ROCPRIM_400000_NS6detail17trampoline_kernelINS0_14default_configENS1_20scan_config_selectorIfEEZZNS1_9scan_implILNS1_25lookback_scan_determinismE0ELb1ELb1ES3_N6thrust23THRUST_200600_302600_NS6detail15normal_iteratorINS9_10device_ptrIfEEEENS9_16discard_iteratorINS9_11use_defaultEEEf11max_functorIfEfEEDaPvRmT3_T4_T5_mT6_P12ihipStream_tbENKUlT_T0_E_clISt17integral_constantIbLb0EESX_EEDaSS_ST_EUlSS_E0_NS1_11comp_targetILNS1_3genE10ELNS1_11target_archE1201ELNS1_3gpuE5ELNS1_3repE0EEENS1_30default_config_static_selectorELNS0_4arch9wavefront6targetE1EEEvT1_.kd
    .uniform_work_group_size: 1
    .uses_dynamic_stack: false
    .vgpr_count:     0
    .vgpr_spill_count: 0
    .wavefront_size: 64
  - .agpr_count:     0
    .args:
      - .offset:         0
        .size:           40
        .value_kind:     by_value
    .group_segment_fixed_size: 0
    .kernarg_segment_align: 8
    .kernarg_segment_size: 40
    .language:       OpenCL C
    .language_version:
      - 2
      - 0
    .max_flat_workgroup_size: 256
    .name:           _ZN7rocprim17ROCPRIM_400000_NS6detail17trampoline_kernelINS0_14default_configENS1_20scan_config_selectorIfEEZZNS1_9scan_implILNS1_25lookback_scan_determinismE0ELb1ELb1ES3_N6thrust23THRUST_200600_302600_NS6detail15normal_iteratorINS9_10device_ptrIfEEEENS9_16discard_iteratorINS9_11use_defaultEEEf11max_functorIfEfEEDaPvRmT3_T4_T5_mT6_P12ihipStream_tbENKUlT_T0_E_clISt17integral_constantIbLb0EESX_EEDaSS_ST_EUlSS_E0_NS1_11comp_targetILNS1_3genE10ELNS1_11target_archE1200ELNS1_3gpuE4ELNS1_3repE0EEENS1_30default_config_static_selectorELNS0_4arch9wavefront6targetE1EEEvT1_
    .private_segment_fixed_size: 0
    .sgpr_count:     4
    .sgpr_spill_count: 0
    .symbol:         _ZN7rocprim17ROCPRIM_400000_NS6detail17trampoline_kernelINS0_14default_configENS1_20scan_config_selectorIfEEZZNS1_9scan_implILNS1_25lookback_scan_determinismE0ELb1ELb1ES3_N6thrust23THRUST_200600_302600_NS6detail15normal_iteratorINS9_10device_ptrIfEEEENS9_16discard_iteratorINS9_11use_defaultEEEf11max_functorIfEfEEDaPvRmT3_T4_T5_mT6_P12ihipStream_tbENKUlT_T0_E_clISt17integral_constantIbLb0EESX_EEDaSS_ST_EUlSS_E0_NS1_11comp_targetILNS1_3genE10ELNS1_11target_archE1200ELNS1_3gpuE4ELNS1_3repE0EEENS1_30default_config_static_selectorELNS0_4arch9wavefront6targetE1EEEvT1_.kd
    .uniform_work_group_size: 1
    .uses_dynamic_stack: false
    .vgpr_count:     0
    .vgpr_spill_count: 0
    .wavefront_size: 64
  - .agpr_count:     0
    .args:
      - .offset:         0
        .size:           40
        .value_kind:     by_value
    .group_segment_fixed_size: 0
    .kernarg_segment_align: 8
    .kernarg_segment_size: 40
    .language:       OpenCL C
    .language_version:
      - 2
      - 0
    .max_flat_workgroup_size: 256
    .name:           _ZN7rocprim17ROCPRIM_400000_NS6detail17trampoline_kernelINS0_14default_configENS1_20scan_config_selectorIfEEZZNS1_9scan_implILNS1_25lookback_scan_determinismE0ELb1ELb1ES3_N6thrust23THRUST_200600_302600_NS6detail15normal_iteratorINS9_10device_ptrIfEEEENS9_16discard_iteratorINS9_11use_defaultEEEf11max_functorIfEfEEDaPvRmT3_T4_T5_mT6_P12ihipStream_tbENKUlT_T0_E_clISt17integral_constantIbLb0EESX_EEDaSS_ST_EUlSS_E0_NS1_11comp_targetILNS1_3genE9ELNS1_11target_archE1100ELNS1_3gpuE3ELNS1_3repE0EEENS1_30default_config_static_selectorELNS0_4arch9wavefront6targetE1EEEvT1_
    .private_segment_fixed_size: 0
    .sgpr_count:     4
    .sgpr_spill_count: 0
    .symbol:         _ZN7rocprim17ROCPRIM_400000_NS6detail17trampoline_kernelINS0_14default_configENS1_20scan_config_selectorIfEEZZNS1_9scan_implILNS1_25lookback_scan_determinismE0ELb1ELb1ES3_N6thrust23THRUST_200600_302600_NS6detail15normal_iteratorINS9_10device_ptrIfEEEENS9_16discard_iteratorINS9_11use_defaultEEEf11max_functorIfEfEEDaPvRmT3_T4_T5_mT6_P12ihipStream_tbENKUlT_T0_E_clISt17integral_constantIbLb0EESX_EEDaSS_ST_EUlSS_E0_NS1_11comp_targetILNS1_3genE9ELNS1_11target_archE1100ELNS1_3gpuE3ELNS1_3repE0EEENS1_30default_config_static_selectorELNS0_4arch9wavefront6targetE1EEEvT1_.kd
    .uniform_work_group_size: 1
    .uses_dynamic_stack: false
    .vgpr_count:     0
    .vgpr_spill_count: 0
    .wavefront_size: 64
  - .agpr_count:     0
    .args:
      - .offset:         0
        .size:           40
        .value_kind:     by_value
    .group_segment_fixed_size: 0
    .kernarg_segment_align: 8
    .kernarg_segment_size: 40
    .language:       OpenCL C
    .language_version:
      - 2
      - 0
    .max_flat_workgroup_size: 64
    .name:           _ZN7rocprim17ROCPRIM_400000_NS6detail17trampoline_kernelINS0_14default_configENS1_20scan_config_selectorIfEEZZNS1_9scan_implILNS1_25lookback_scan_determinismE0ELb1ELb1ES3_N6thrust23THRUST_200600_302600_NS6detail15normal_iteratorINS9_10device_ptrIfEEEENS9_16discard_iteratorINS9_11use_defaultEEEf11max_functorIfEfEEDaPvRmT3_T4_T5_mT6_P12ihipStream_tbENKUlT_T0_E_clISt17integral_constantIbLb0EESX_EEDaSS_ST_EUlSS_E0_NS1_11comp_targetILNS1_3genE8ELNS1_11target_archE1030ELNS1_3gpuE2ELNS1_3repE0EEENS1_30default_config_static_selectorELNS0_4arch9wavefront6targetE1EEEvT1_
    .private_segment_fixed_size: 0
    .sgpr_count:     4
    .sgpr_spill_count: 0
    .symbol:         _ZN7rocprim17ROCPRIM_400000_NS6detail17trampoline_kernelINS0_14default_configENS1_20scan_config_selectorIfEEZZNS1_9scan_implILNS1_25lookback_scan_determinismE0ELb1ELb1ES3_N6thrust23THRUST_200600_302600_NS6detail15normal_iteratorINS9_10device_ptrIfEEEENS9_16discard_iteratorINS9_11use_defaultEEEf11max_functorIfEfEEDaPvRmT3_T4_T5_mT6_P12ihipStream_tbENKUlT_T0_E_clISt17integral_constantIbLb0EESX_EEDaSS_ST_EUlSS_E0_NS1_11comp_targetILNS1_3genE8ELNS1_11target_archE1030ELNS1_3gpuE2ELNS1_3repE0EEENS1_30default_config_static_selectorELNS0_4arch9wavefront6targetE1EEEvT1_.kd
    .uniform_work_group_size: 1
    .uses_dynamic_stack: false
    .vgpr_count:     0
    .vgpr_spill_count: 0
    .wavefront_size: 64
  - .agpr_count:     0
    .args:
      - .offset:         0
        .size:           104
        .value_kind:     by_value
    .group_segment_fixed_size: 0
    .kernarg_segment_align: 8
    .kernarg_segment_size: 104
    .language:       OpenCL C
    .language_version:
      - 2
      - 0
    .max_flat_workgroup_size: 256
    .name:           _ZN7rocprim17ROCPRIM_400000_NS6detail17trampoline_kernelINS0_14default_configENS1_20scan_config_selectorIfEEZZNS1_9scan_implILNS1_25lookback_scan_determinismE0ELb1ELb1ES3_N6thrust23THRUST_200600_302600_NS6detail15normal_iteratorINS9_10device_ptrIfEEEENS9_16discard_iteratorINS9_11use_defaultEEEf11max_functorIfEfEEDaPvRmT3_T4_T5_mT6_P12ihipStream_tbENKUlT_T0_E_clISt17integral_constantIbLb1EESX_EEDaSS_ST_EUlSS_E_NS1_11comp_targetILNS1_3genE0ELNS1_11target_archE4294967295ELNS1_3gpuE0ELNS1_3repE0EEENS1_30default_config_static_selectorELNS0_4arch9wavefront6targetE1EEEvT1_
    .private_segment_fixed_size: 0
    .sgpr_count:     4
    .sgpr_spill_count: 0
    .symbol:         _ZN7rocprim17ROCPRIM_400000_NS6detail17trampoline_kernelINS0_14default_configENS1_20scan_config_selectorIfEEZZNS1_9scan_implILNS1_25lookback_scan_determinismE0ELb1ELb1ES3_N6thrust23THRUST_200600_302600_NS6detail15normal_iteratorINS9_10device_ptrIfEEEENS9_16discard_iteratorINS9_11use_defaultEEEf11max_functorIfEfEEDaPvRmT3_T4_T5_mT6_P12ihipStream_tbENKUlT_T0_E_clISt17integral_constantIbLb1EESX_EEDaSS_ST_EUlSS_E_NS1_11comp_targetILNS1_3genE0ELNS1_11target_archE4294967295ELNS1_3gpuE0ELNS1_3repE0EEENS1_30default_config_static_selectorELNS0_4arch9wavefront6targetE1EEEvT1_.kd
    .uniform_work_group_size: 1
    .uses_dynamic_stack: false
    .vgpr_count:     0
    .vgpr_spill_count: 0
    .wavefront_size: 64
  - .agpr_count:     0
    .args:
      - .offset:         0
        .size:           104
        .value_kind:     by_value
    .group_segment_fixed_size: 0
    .kernarg_segment_align: 8
    .kernarg_segment_size: 104
    .language:       OpenCL C
    .language_version:
      - 2
      - 0
    .max_flat_workgroup_size: 256
    .name:           _ZN7rocprim17ROCPRIM_400000_NS6detail17trampoline_kernelINS0_14default_configENS1_20scan_config_selectorIfEEZZNS1_9scan_implILNS1_25lookback_scan_determinismE0ELb1ELb1ES3_N6thrust23THRUST_200600_302600_NS6detail15normal_iteratorINS9_10device_ptrIfEEEENS9_16discard_iteratorINS9_11use_defaultEEEf11max_functorIfEfEEDaPvRmT3_T4_T5_mT6_P12ihipStream_tbENKUlT_T0_E_clISt17integral_constantIbLb1EESX_EEDaSS_ST_EUlSS_E_NS1_11comp_targetILNS1_3genE5ELNS1_11target_archE942ELNS1_3gpuE9ELNS1_3repE0EEENS1_30default_config_static_selectorELNS0_4arch9wavefront6targetE1EEEvT1_
    .private_segment_fixed_size: 0
    .sgpr_count:     4
    .sgpr_spill_count: 0
    .symbol:         _ZN7rocprim17ROCPRIM_400000_NS6detail17trampoline_kernelINS0_14default_configENS1_20scan_config_selectorIfEEZZNS1_9scan_implILNS1_25lookback_scan_determinismE0ELb1ELb1ES3_N6thrust23THRUST_200600_302600_NS6detail15normal_iteratorINS9_10device_ptrIfEEEENS9_16discard_iteratorINS9_11use_defaultEEEf11max_functorIfEfEEDaPvRmT3_T4_T5_mT6_P12ihipStream_tbENKUlT_T0_E_clISt17integral_constantIbLb1EESX_EEDaSS_ST_EUlSS_E_NS1_11comp_targetILNS1_3genE5ELNS1_11target_archE942ELNS1_3gpuE9ELNS1_3repE0EEENS1_30default_config_static_selectorELNS0_4arch9wavefront6targetE1EEEvT1_.kd
    .uniform_work_group_size: 1
    .uses_dynamic_stack: false
    .vgpr_count:     0
    .vgpr_spill_count: 0
    .wavefront_size: 64
  - .agpr_count:     0
    .args:
      - .offset:         0
        .size:           104
        .value_kind:     by_value
    .group_segment_fixed_size: 7168
    .kernarg_segment_align: 8
    .kernarg_segment_size: 104
    .language:       OpenCL C
    .language_version:
      - 2
      - 0
    .max_flat_workgroup_size: 128
    .name:           _ZN7rocprim17ROCPRIM_400000_NS6detail17trampoline_kernelINS0_14default_configENS1_20scan_config_selectorIfEEZZNS1_9scan_implILNS1_25lookback_scan_determinismE0ELb1ELb1ES3_N6thrust23THRUST_200600_302600_NS6detail15normal_iteratorINS9_10device_ptrIfEEEENS9_16discard_iteratorINS9_11use_defaultEEEf11max_functorIfEfEEDaPvRmT3_T4_T5_mT6_P12ihipStream_tbENKUlT_T0_E_clISt17integral_constantIbLb1EESX_EEDaSS_ST_EUlSS_E_NS1_11comp_targetILNS1_3genE4ELNS1_11target_archE910ELNS1_3gpuE8ELNS1_3repE0EEENS1_30default_config_static_selectorELNS0_4arch9wavefront6targetE1EEEvT1_
    .private_segment_fixed_size: 0
    .sgpr_count:     40
    .sgpr_spill_count: 0
    .symbol:         _ZN7rocprim17ROCPRIM_400000_NS6detail17trampoline_kernelINS0_14default_configENS1_20scan_config_selectorIfEEZZNS1_9scan_implILNS1_25lookback_scan_determinismE0ELb1ELb1ES3_N6thrust23THRUST_200600_302600_NS6detail15normal_iteratorINS9_10device_ptrIfEEEENS9_16discard_iteratorINS9_11use_defaultEEEf11max_functorIfEfEEDaPvRmT3_T4_T5_mT6_P12ihipStream_tbENKUlT_T0_E_clISt17integral_constantIbLb1EESX_EEDaSS_ST_EUlSS_E_NS1_11comp_targetILNS1_3genE4ELNS1_11target_archE910ELNS1_3gpuE8ELNS1_3repE0EEENS1_30default_config_static_selectorELNS0_4arch9wavefront6targetE1EEEvT1_.kd
    .uniform_work_group_size: 1
    .uses_dynamic_stack: false
    .vgpr_count:     43
    .vgpr_spill_count: 0
    .wavefront_size: 64
  - .agpr_count:     0
    .args:
      - .offset:         0
        .size:           104
        .value_kind:     by_value
    .group_segment_fixed_size: 0
    .kernarg_segment_align: 8
    .kernarg_segment_size: 104
    .language:       OpenCL C
    .language_version:
      - 2
      - 0
    .max_flat_workgroup_size: 256
    .name:           _ZN7rocprim17ROCPRIM_400000_NS6detail17trampoline_kernelINS0_14default_configENS1_20scan_config_selectorIfEEZZNS1_9scan_implILNS1_25lookback_scan_determinismE0ELb1ELb1ES3_N6thrust23THRUST_200600_302600_NS6detail15normal_iteratorINS9_10device_ptrIfEEEENS9_16discard_iteratorINS9_11use_defaultEEEf11max_functorIfEfEEDaPvRmT3_T4_T5_mT6_P12ihipStream_tbENKUlT_T0_E_clISt17integral_constantIbLb1EESX_EEDaSS_ST_EUlSS_E_NS1_11comp_targetILNS1_3genE3ELNS1_11target_archE908ELNS1_3gpuE7ELNS1_3repE0EEENS1_30default_config_static_selectorELNS0_4arch9wavefront6targetE1EEEvT1_
    .private_segment_fixed_size: 0
    .sgpr_count:     4
    .sgpr_spill_count: 0
    .symbol:         _ZN7rocprim17ROCPRIM_400000_NS6detail17trampoline_kernelINS0_14default_configENS1_20scan_config_selectorIfEEZZNS1_9scan_implILNS1_25lookback_scan_determinismE0ELb1ELb1ES3_N6thrust23THRUST_200600_302600_NS6detail15normal_iteratorINS9_10device_ptrIfEEEENS9_16discard_iteratorINS9_11use_defaultEEEf11max_functorIfEfEEDaPvRmT3_T4_T5_mT6_P12ihipStream_tbENKUlT_T0_E_clISt17integral_constantIbLb1EESX_EEDaSS_ST_EUlSS_E_NS1_11comp_targetILNS1_3genE3ELNS1_11target_archE908ELNS1_3gpuE7ELNS1_3repE0EEENS1_30default_config_static_selectorELNS0_4arch9wavefront6targetE1EEEvT1_.kd
    .uniform_work_group_size: 1
    .uses_dynamic_stack: false
    .vgpr_count:     0
    .vgpr_spill_count: 0
    .wavefront_size: 64
  - .agpr_count:     0
    .args:
      - .offset:         0
        .size:           104
        .value_kind:     by_value
    .group_segment_fixed_size: 0
    .kernarg_segment_align: 8
    .kernarg_segment_size: 104
    .language:       OpenCL C
    .language_version:
      - 2
      - 0
    .max_flat_workgroup_size: 256
    .name:           _ZN7rocprim17ROCPRIM_400000_NS6detail17trampoline_kernelINS0_14default_configENS1_20scan_config_selectorIfEEZZNS1_9scan_implILNS1_25lookback_scan_determinismE0ELb1ELb1ES3_N6thrust23THRUST_200600_302600_NS6detail15normal_iteratorINS9_10device_ptrIfEEEENS9_16discard_iteratorINS9_11use_defaultEEEf11max_functorIfEfEEDaPvRmT3_T4_T5_mT6_P12ihipStream_tbENKUlT_T0_E_clISt17integral_constantIbLb1EESX_EEDaSS_ST_EUlSS_E_NS1_11comp_targetILNS1_3genE2ELNS1_11target_archE906ELNS1_3gpuE6ELNS1_3repE0EEENS1_30default_config_static_selectorELNS0_4arch9wavefront6targetE1EEEvT1_
    .private_segment_fixed_size: 0
    .sgpr_count:     4
    .sgpr_spill_count: 0
    .symbol:         _ZN7rocprim17ROCPRIM_400000_NS6detail17trampoline_kernelINS0_14default_configENS1_20scan_config_selectorIfEEZZNS1_9scan_implILNS1_25lookback_scan_determinismE0ELb1ELb1ES3_N6thrust23THRUST_200600_302600_NS6detail15normal_iteratorINS9_10device_ptrIfEEEENS9_16discard_iteratorINS9_11use_defaultEEEf11max_functorIfEfEEDaPvRmT3_T4_T5_mT6_P12ihipStream_tbENKUlT_T0_E_clISt17integral_constantIbLb1EESX_EEDaSS_ST_EUlSS_E_NS1_11comp_targetILNS1_3genE2ELNS1_11target_archE906ELNS1_3gpuE6ELNS1_3repE0EEENS1_30default_config_static_selectorELNS0_4arch9wavefront6targetE1EEEvT1_.kd
    .uniform_work_group_size: 1
    .uses_dynamic_stack: false
    .vgpr_count:     0
    .vgpr_spill_count: 0
    .wavefront_size: 64
  - .agpr_count:     0
    .args:
      - .offset:         0
        .size:           104
        .value_kind:     by_value
    .group_segment_fixed_size: 0
    .kernarg_segment_align: 8
    .kernarg_segment_size: 104
    .language:       OpenCL C
    .language_version:
      - 2
      - 0
    .max_flat_workgroup_size: 256
    .name:           _ZN7rocprim17ROCPRIM_400000_NS6detail17trampoline_kernelINS0_14default_configENS1_20scan_config_selectorIfEEZZNS1_9scan_implILNS1_25lookback_scan_determinismE0ELb1ELb1ES3_N6thrust23THRUST_200600_302600_NS6detail15normal_iteratorINS9_10device_ptrIfEEEENS9_16discard_iteratorINS9_11use_defaultEEEf11max_functorIfEfEEDaPvRmT3_T4_T5_mT6_P12ihipStream_tbENKUlT_T0_E_clISt17integral_constantIbLb1EESX_EEDaSS_ST_EUlSS_E_NS1_11comp_targetILNS1_3genE10ELNS1_11target_archE1201ELNS1_3gpuE5ELNS1_3repE0EEENS1_30default_config_static_selectorELNS0_4arch9wavefront6targetE1EEEvT1_
    .private_segment_fixed_size: 0
    .sgpr_count:     4
    .sgpr_spill_count: 0
    .symbol:         _ZN7rocprim17ROCPRIM_400000_NS6detail17trampoline_kernelINS0_14default_configENS1_20scan_config_selectorIfEEZZNS1_9scan_implILNS1_25lookback_scan_determinismE0ELb1ELb1ES3_N6thrust23THRUST_200600_302600_NS6detail15normal_iteratorINS9_10device_ptrIfEEEENS9_16discard_iteratorINS9_11use_defaultEEEf11max_functorIfEfEEDaPvRmT3_T4_T5_mT6_P12ihipStream_tbENKUlT_T0_E_clISt17integral_constantIbLb1EESX_EEDaSS_ST_EUlSS_E_NS1_11comp_targetILNS1_3genE10ELNS1_11target_archE1201ELNS1_3gpuE5ELNS1_3repE0EEENS1_30default_config_static_selectorELNS0_4arch9wavefront6targetE1EEEvT1_.kd
    .uniform_work_group_size: 1
    .uses_dynamic_stack: false
    .vgpr_count:     0
    .vgpr_spill_count: 0
    .wavefront_size: 64
  - .agpr_count:     0
    .args:
      - .offset:         0
        .size:           104
        .value_kind:     by_value
    .group_segment_fixed_size: 0
    .kernarg_segment_align: 8
    .kernarg_segment_size: 104
    .language:       OpenCL C
    .language_version:
      - 2
      - 0
    .max_flat_workgroup_size: 256
    .name:           _ZN7rocprim17ROCPRIM_400000_NS6detail17trampoline_kernelINS0_14default_configENS1_20scan_config_selectorIfEEZZNS1_9scan_implILNS1_25lookback_scan_determinismE0ELb1ELb1ES3_N6thrust23THRUST_200600_302600_NS6detail15normal_iteratorINS9_10device_ptrIfEEEENS9_16discard_iteratorINS9_11use_defaultEEEf11max_functorIfEfEEDaPvRmT3_T4_T5_mT6_P12ihipStream_tbENKUlT_T0_E_clISt17integral_constantIbLb1EESX_EEDaSS_ST_EUlSS_E_NS1_11comp_targetILNS1_3genE10ELNS1_11target_archE1200ELNS1_3gpuE4ELNS1_3repE0EEENS1_30default_config_static_selectorELNS0_4arch9wavefront6targetE1EEEvT1_
    .private_segment_fixed_size: 0
    .sgpr_count:     4
    .sgpr_spill_count: 0
    .symbol:         _ZN7rocprim17ROCPRIM_400000_NS6detail17trampoline_kernelINS0_14default_configENS1_20scan_config_selectorIfEEZZNS1_9scan_implILNS1_25lookback_scan_determinismE0ELb1ELb1ES3_N6thrust23THRUST_200600_302600_NS6detail15normal_iteratorINS9_10device_ptrIfEEEENS9_16discard_iteratorINS9_11use_defaultEEEf11max_functorIfEfEEDaPvRmT3_T4_T5_mT6_P12ihipStream_tbENKUlT_T0_E_clISt17integral_constantIbLb1EESX_EEDaSS_ST_EUlSS_E_NS1_11comp_targetILNS1_3genE10ELNS1_11target_archE1200ELNS1_3gpuE4ELNS1_3repE0EEENS1_30default_config_static_selectorELNS0_4arch9wavefront6targetE1EEEvT1_.kd
    .uniform_work_group_size: 1
    .uses_dynamic_stack: false
    .vgpr_count:     0
    .vgpr_spill_count: 0
    .wavefront_size: 64
  - .agpr_count:     0
    .args:
      - .offset:         0
        .size:           104
        .value_kind:     by_value
    .group_segment_fixed_size: 0
    .kernarg_segment_align: 8
    .kernarg_segment_size: 104
    .language:       OpenCL C
    .language_version:
      - 2
      - 0
    .max_flat_workgroup_size: 256
    .name:           _ZN7rocprim17ROCPRIM_400000_NS6detail17trampoline_kernelINS0_14default_configENS1_20scan_config_selectorIfEEZZNS1_9scan_implILNS1_25lookback_scan_determinismE0ELb1ELb1ES3_N6thrust23THRUST_200600_302600_NS6detail15normal_iteratorINS9_10device_ptrIfEEEENS9_16discard_iteratorINS9_11use_defaultEEEf11max_functorIfEfEEDaPvRmT3_T4_T5_mT6_P12ihipStream_tbENKUlT_T0_E_clISt17integral_constantIbLb1EESX_EEDaSS_ST_EUlSS_E_NS1_11comp_targetILNS1_3genE9ELNS1_11target_archE1100ELNS1_3gpuE3ELNS1_3repE0EEENS1_30default_config_static_selectorELNS0_4arch9wavefront6targetE1EEEvT1_
    .private_segment_fixed_size: 0
    .sgpr_count:     4
    .sgpr_spill_count: 0
    .symbol:         _ZN7rocprim17ROCPRIM_400000_NS6detail17trampoline_kernelINS0_14default_configENS1_20scan_config_selectorIfEEZZNS1_9scan_implILNS1_25lookback_scan_determinismE0ELb1ELb1ES3_N6thrust23THRUST_200600_302600_NS6detail15normal_iteratorINS9_10device_ptrIfEEEENS9_16discard_iteratorINS9_11use_defaultEEEf11max_functorIfEfEEDaPvRmT3_T4_T5_mT6_P12ihipStream_tbENKUlT_T0_E_clISt17integral_constantIbLb1EESX_EEDaSS_ST_EUlSS_E_NS1_11comp_targetILNS1_3genE9ELNS1_11target_archE1100ELNS1_3gpuE3ELNS1_3repE0EEENS1_30default_config_static_selectorELNS0_4arch9wavefront6targetE1EEEvT1_.kd
    .uniform_work_group_size: 1
    .uses_dynamic_stack: false
    .vgpr_count:     0
    .vgpr_spill_count: 0
    .wavefront_size: 64
  - .agpr_count:     0
    .args:
      - .offset:         0
        .size:           104
        .value_kind:     by_value
    .group_segment_fixed_size: 0
    .kernarg_segment_align: 8
    .kernarg_segment_size: 104
    .language:       OpenCL C
    .language_version:
      - 2
      - 0
    .max_flat_workgroup_size: 64
    .name:           _ZN7rocprim17ROCPRIM_400000_NS6detail17trampoline_kernelINS0_14default_configENS1_20scan_config_selectorIfEEZZNS1_9scan_implILNS1_25lookback_scan_determinismE0ELb1ELb1ES3_N6thrust23THRUST_200600_302600_NS6detail15normal_iteratorINS9_10device_ptrIfEEEENS9_16discard_iteratorINS9_11use_defaultEEEf11max_functorIfEfEEDaPvRmT3_T4_T5_mT6_P12ihipStream_tbENKUlT_T0_E_clISt17integral_constantIbLb1EESX_EEDaSS_ST_EUlSS_E_NS1_11comp_targetILNS1_3genE8ELNS1_11target_archE1030ELNS1_3gpuE2ELNS1_3repE0EEENS1_30default_config_static_selectorELNS0_4arch9wavefront6targetE1EEEvT1_
    .private_segment_fixed_size: 0
    .sgpr_count:     4
    .sgpr_spill_count: 0
    .symbol:         _ZN7rocprim17ROCPRIM_400000_NS6detail17trampoline_kernelINS0_14default_configENS1_20scan_config_selectorIfEEZZNS1_9scan_implILNS1_25lookback_scan_determinismE0ELb1ELb1ES3_N6thrust23THRUST_200600_302600_NS6detail15normal_iteratorINS9_10device_ptrIfEEEENS9_16discard_iteratorINS9_11use_defaultEEEf11max_functorIfEfEEDaPvRmT3_T4_T5_mT6_P12ihipStream_tbENKUlT_T0_E_clISt17integral_constantIbLb1EESX_EEDaSS_ST_EUlSS_E_NS1_11comp_targetILNS1_3genE8ELNS1_11target_archE1030ELNS1_3gpuE2ELNS1_3repE0EEENS1_30default_config_static_selectorELNS0_4arch9wavefront6targetE1EEEvT1_.kd
    .uniform_work_group_size: 1
    .uses_dynamic_stack: false
    .vgpr_count:     0
    .vgpr_spill_count: 0
    .wavefront_size: 64
  - .agpr_count:     0
    .args:
      - .offset:         0
        .size:           40
        .value_kind:     by_value
    .group_segment_fixed_size: 0
    .kernarg_segment_align: 8
    .kernarg_segment_size: 40
    .language:       OpenCL C
    .language_version:
      - 2
      - 0
    .max_flat_workgroup_size: 256
    .name:           _ZN7rocprim17ROCPRIM_400000_NS6detail17trampoline_kernelINS0_14default_configENS1_20scan_config_selectorIfEEZZNS1_9scan_implILNS1_25lookback_scan_determinismE0ELb1ELb1ES3_N6thrust23THRUST_200600_302600_NS6detail15normal_iteratorINS9_10device_ptrIfEEEENS9_16discard_iteratorINS9_11use_defaultEEEf11max_functorIfEfEEDaPvRmT3_T4_T5_mT6_P12ihipStream_tbENKUlT_T0_E_clISt17integral_constantIbLb1EESX_EEDaSS_ST_EUlSS_E0_NS1_11comp_targetILNS1_3genE0ELNS1_11target_archE4294967295ELNS1_3gpuE0ELNS1_3repE0EEENS1_30default_config_static_selectorELNS0_4arch9wavefront6targetE1EEEvT1_
    .private_segment_fixed_size: 0
    .sgpr_count:     4
    .sgpr_spill_count: 0
    .symbol:         _ZN7rocprim17ROCPRIM_400000_NS6detail17trampoline_kernelINS0_14default_configENS1_20scan_config_selectorIfEEZZNS1_9scan_implILNS1_25lookback_scan_determinismE0ELb1ELb1ES3_N6thrust23THRUST_200600_302600_NS6detail15normal_iteratorINS9_10device_ptrIfEEEENS9_16discard_iteratorINS9_11use_defaultEEEf11max_functorIfEfEEDaPvRmT3_T4_T5_mT6_P12ihipStream_tbENKUlT_T0_E_clISt17integral_constantIbLb1EESX_EEDaSS_ST_EUlSS_E0_NS1_11comp_targetILNS1_3genE0ELNS1_11target_archE4294967295ELNS1_3gpuE0ELNS1_3repE0EEENS1_30default_config_static_selectorELNS0_4arch9wavefront6targetE1EEEvT1_.kd
    .uniform_work_group_size: 1
    .uses_dynamic_stack: false
    .vgpr_count:     0
    .vgpr_spill_count: 0
    .wavefront_size: 64
  - .agpr_count:     0
    .args:
      - .offset:         0
        .size:           40
        .value_kind:     by_value
    .group_segment_fixed_size: 0
    .kernarg_segment_align: 8
    .kernarg_segment_size: 40
    .language:       OpenCL C
    .language_version:
      - 2
      - 0
    .max_flat_workgroup_size: 256
    .name:           _ZN7rocprim17ROCPRIM_400000_NS6detail17trampoline_kernelINS0_14default_configENS1_20scan_config_selectorIfEEZZNS1_9scan_implILNS1_25lookback_scan_determinismE0ELb1ELb1ES3_N6thrust23THRUST_200600_302600_NS6detail15normal_iteratorINS9_10device_ptrIfEEEENS9_16discard_iteratorINS9_11use_defaultEEEf11max_functorIfEfEEDaPvRmT3_T4_T5_mT6_P12ihipStream_tbENKUlT_T0_E_clISt17integral_constantIbLb1EESX_EEDaSS_ST_EUlSS_E0_NS1_11comp_targetILNS1_3genE5ELNS1_11target_archE942ELNS1_3gpuE9ELNS1_3repE0EEENS1_30default_config_static_selectorELNS0_4arch9wavefront6targetE1EEEvT1_
    .private_segment_fixed_size: 0
    .sgpr_count:     4
    .sgpr_spill_count: 0
    .symbol:         _ZN7rocprim17ROCPRIM_400000_NS6detail17trampoline_kernelINS0_14default_configENS1_20scan_config_selectorIfEEZZNS1_9scan_implILNS1_25lookback_scan_determinismE0ELb1ELb1ES3_N6thrust23THRUST_200600_302600_NS6detail15normal_iteratorINS9_10device_ptrIfEEEENS9_16discard_iteratorINS9_11use_defaultEEEf11max_functorIfEfEEDaPvRmT3_T4_T5_mT6_P12ihipStream_tbENKUlT_T0_E_clISt17integral_constantIbLb1EESX_EEDaSS_ST_EUlSS_E0_NS1_11comp_targetILNS1_3genE5ELNS1_11target_archE942ELNS1_3gpuE9ELNS1_3repE0EEENS1_30default_config_static_selectorELNS0_4arch9wavefront6targetE1EEEvT1_.kd
    .uniform_work_group_size: 1
    .uses_dynamic_stack: false
    .vgpr_count:     0
    .vgpr_spill_count: 0
    .wavefront_size: 64
  - .agpr_count:     0
    .args:
      - .offset:         0
        .size:           40
        .value_kind:     by_value
    .group_segment_fixed_size: 7168
    .kernarg_segment_align: 8
    .kernarg_segment_size: 40
    .language:       OpenCL C
    .language_version:
      - 2
      - 0
    .max_flat_workgroup_size: 128
    .name:           _ZN7rocprim17ROCPRIM_400000_NS6detail17trampoline_kernelINS0_14default_configENS1_20scan_config_selectorIfEEZZNS1_9scan_implILNS1_25lookback_scan_determinismE0ELb1ELb1ES3_N6thrust23THRUST_200600_302600_NS6detail15normal_iteratorINS9_10device_ptrIfEEEENS9_16discard_iteratorINS9_11use_defaultEEEf11max_functorIfEfEEDaPvRmT3_T4_T5_mT6_P12ihipStream_tbENKUlT_T0_E_clISt17integral_constantIbLb1EESX_EEDaSS_ST_EUlSS_E0_NS1_11comp_targetILNS1_3genE4ELNS1_11target_archE910ELNS1_3gpuE8ELNS1_3repE0EEENS1_30default_config_static_selectorELNS0_4arch9wavefront6targetE1EEEvT1_
    .private_segment_fixed_size: 0
    .sgpr_count:     13
    .sgpr_spill_count: 0
    .symbol:         _ZN7rocprim17ROCPRIM_400000_NS6detail17trampoline_kernelINS0_14default_configENS1_20scan_config_selectorIfEEZZNS1_9scan_implILNS1_25lookback_scan_determinismE0ELb1ELb1ES3_N6thrust23THRUST_200600_302600_NS6detail15normal_iteratorINS9_10device_ptrIfEEEENS9_16discard_iteratorINS9_11use_defaultEEEf11max_functorIfEfEEDaPvRmT3_T4_T5_mT6_P12ihipStream_tbENKUlT_T0_E_clISt17integral_constantIbLb1EESX_EEDaSS_ST_EUlSS_E0_NS1_11comp_targetILNS1_3genE4ELNS1_11target_archE910ELNS1_3gpuE8ELNS1_3repE0EEENS1_30default_config_static_selectorELNS0_4arch9wavefront6targetE1EEEvT1_.kd
    .uniform_work_group_size: 1
    .uses_dynamic_stack: false
    .vgpr_count:     23
    .vgpr_spill_count: 0
    .wavefront_size: 64
  - .agpr_count:     0
    .args:
      - .offset:         0
        .size:           40
        .value_kind:     by_value
    .group_segment_fixed_size: 0
    .kernarg_segment_align: 8
    .kernarg_segment_size: 40
    .language:       OpenCL C
    .language_version:
      - 2
      - 0
    .max_flat_workgroup_size: 256
    .name:           _ZN7rocprim17ROCPRIM_400000_NS6detail17trampoline_kernelINS0_14default_configENS1_20scan_config_selectorIfEEZZNS1_9scan_implILNS1_25lookback_scan_determinismE0ELb1ELb1ES3_N6thrust23THRUST_200600_302600_NS6detail15normal_iteratorINS9_10device_ptrIfEEEENS9_16discard_iteratorINS9_11use_defaultEEEf11max_functorIfEfEEDaPvRmT3_T4_T5_mT6_P12ihipStream_tbENKUlT_T0_E_clISt17integral_constantIbLb1EESX_EEDaSS_ST_EUlSS_E0_NS1_11comp_targetILNS1_3genE3ELNS1_11target_archE908ELNS1_3gpuE7ELNS1_3repE0EEENS1_30default_config_static_selectorELNS0_4arch9wavefront6targetE1EEEvT1_
    .private_segment_fixed_size: 0
    .sgpr_count:     4
    .sgpr_spill_count: 0
    .symbol:         _ZN7rocprim17ROCPRIM_400000_NS6detail17trampoline_kernelINS0_14default_configENS1_20scan_config_selectorIfEEZZNS1_9scan_implILNS1_25lookback_scan_determinismE0ELb1ELb1ES3_N6thrust23THRUST_200600_302600_NS6detail15normal_iteratorINS9_10device_ptrIfEEEENS9_16discard_iteratorINS9_11use_defaultEEEf11max_functorIfEfEEDaPvRmT3_T4_T5_mT6_P12ihipStream_tbENKUlT_T0_E_clISt17integral_constantIbLb1EESX_EEDaSS_ST_EUlSS_E0_NS1_11comp_targetILNS1_3genE3ELNS1_11target_archE908ELNS1_3gpuE7ELNS1_3repE0EEENS1_30default_config_static_selectorELNS0_4arch9wavefront6targetE1EEEvT1_.kd
    .uniform_work_group_size: 1
    .uses_dynamic_stack: false
    .vgpr_count:     0
    .vgpr_spill_count: 0
    .wavefront_size: 64
  - .agpr_count:     0
    .args:
      - .offset:         0
        .size:           40
        .value_kind:     by_value
    .group_segment_fixed_size: 0
    .kernarg_segment_align: 8
    .kernarg_segment_size: 40
    .language:       OpenCL C
    .language_version:
      - 2
      - 0
    .max_flat_workgroup_size: 256
    .name:           _ZN7rocprim17ROCPRIM_400000_NS6detail17trampoline_kernelINS0_14default_configENS1_20scan_config_selectorIfEEZZNS1_9scan_implILNS1_25lookback_scan_determinismE0ELb1ELb1ES3_N6thrust23THRUST_200600_302600_NS6detail15normal_iteratorINS9_10device_ptrIfEEEENS9_16discard_iteratorINS9_11use_defaultEEEf11max_functorIfEfEEDaPvRmT3_T4_T5_mT6_P12ihipStream_tbENKUlT_T0_E_clISt17integral_constantIbLb1EESX_EEDaSS_ST_EUlSS_E0_NS1_11comp_targetILNS1_3genE2ELNS1_11target_archE906ELNS1_3gpuE6ELNS1_3repE0EEENS1_30default_config_static_selectorELNS0_4arch9wavefront6targetE1EEEvT1_
    .private_segment_fixed_size: 0
    .sgpr_count:     4
    .sgpr_spill_count: 0
    .symbol:         _ZN7rocprim17ROCPRIM_400000_NS6detail17trampoline_kernelINS0_14default_configENS1_20scan_config_selectorIfEEZZNS1_9scan_implILNS1_25lookback_scan_determinismE0ELb1ELb1ES3_N6thrust23THRUST_200600_302600_NS6detail15normal_iteratorINS9_10device_ptrIfEEEENS9_16discard_iteratorINS9_11use_defaultEEEf11max_functorIfEfEEDaPvRmT3_T4_T5_mT6_P12ihipStream_tbENKUlT_T0_E_clISt17integral_constantIbLb1EESX_EEDaSS_ST_EUlSS_E0_NS1_11comp_targetILNS1_3genE2ELNS1_11target_archE906ELNS1_3gpuE6ELNS1_3repE0EEENS1_30default_config_static_selectorELNS0_4arch9wavefront6targetE1EEEvT1_.kd
    .uniform_work_group_size: 1
    .uses_dynamic_stack: false
    .vgpr_count:     0
    .vgpr_spill_count: 0
    .wavefront_size: 64
  - .agpr_count:     0
    .args:
      - .offset:         0
        .size:           40
        .value_kind:     by_value
    .group_segment_fixed_size: 0
    .kernarg_segment_align: 8
    .kernarg_segment_size: 40
    .language:       OpenCL C
    .language_version:
      - 2
      - 0
    .max_flat_workgroup_size: 256
    .name:           _ZN7rocprim17ROCPRIM_400000_NS6detail17trampoline_kernelINS0_14default_configENS1_20scan_config_selectorIfEEZZNS1_9scan_implILNS1_25lookback_scan_determinismE0ELb1ELb1ES3_N6thrust23THRUST_200600_302600_NS6detail15normal_iteratorINS9_10device_ptrIfEEEENS9_16discard_iteratorINS9_11use_defaultEEEf11max_functorIfEfEEDaPvRmT3_T4_T5_mT6_P12ihipStream_tbENKUlT_T0_E_clISt17integral_constantIbLb1EESX_EEDaSS_ST_EUlSS_E0_NS1_11comp_targetILNS1_3genE10ELNS1_11target_archE1201ELNS1_3gpuE5ELNS1_3repE0EEENS1_30default_config_static_selectorELNS0_4arch9wavefront6targetE1EEEvT1_
    .private_segment_fixed_size: 0
    .sgpr_count:     4
    .sgpr_spill_count: 0
    .symbol:         _ZN7rocprim17ROCPRIM_400000_NS6detail17trampoline_kernelINS0_14default_configENS1_20scan_config_selectorIfEEZZNS1_9scan_implILNS1_25lookback_scan_determinismE0ELb1ELb1ES3_N6thrust23THRUST_200600_302600_NS6detail15normal_iteratorINS9_10device_ptrIfEEEENS9_16discard_iteratorINS9_11use_defaultEEEf11max_functorIfEfEEDaPvRmT3_T4_T5_mT6_P12ihipStream_tbENKUlT_T0_E_clISt17integral_constantIbLb1EESX_EEDaSS_ST_EUlSS_E0_NS1_11comp_targetILNS1_3genE10ELNS1_11target_archE1201ELNS1_3gpuE5ELNS1_3repE0EEENS1_30default_config_static_selectorELNS0_4arch9wavefront6targetE1EEEvT1_.kd
    .uniform_work_group_size: 1
    .uses_dynamic_stack: false
    .vgpr_count:     0
    .vgpr_spill_count: 0
    .wavefront_size: 64
  - .agpr_count:     0
    .args:
      - .offset:         0
        .size:           40
        .value_kind:     by_value
    .group_segment_fixed_size: 0
    .kernarg_segment_align: 8
    .kernarg_segment_size: 40
    .language:       OpenCL C
    .language_version:
      - 2
      - 0
    .max_flat_workgroup_size: 256
    .name:           _ZN7rocprim17ROCPRIM_400000_NS6detail17trampoline_kernelINS0_14default_configENS1_20scan_config_selectorIfEEZZNS1_9scan_implILNS1_25lookback_scan_determinismE0ELb1ELb1ES3_N6thrust23THRUST_200600_302600_NS6detail15normal_iteratorINS9_10device_ptrIfEEEENS9_16discard_iteratorINS9_11use_defaultEEEf11max_functorIfEfEEDaPvRmT3_T4_T5_mT6_P12ihipStream_tbENKUlT_T0_E_clISt17integral_constantIbLb1EESX_EEDaSS_ST_EUlSS_E0_NS1_11comp_targetILNS1_3genE10ELNS1_11target_archE1200ELNS1_3gpuE4ELNS1_3repE0EEENS1_30default_config_static_selectorELNS0_4arch9wavefront6targetE1EEEvT1_
    .private_segment_fixed_size: 0
    .sgpr_count:     4
    .sgpr_spill_count: 0
    .symbol:         _ZN7rocprim17ROCPRIM_400000_NS6detail17trampoline_kernelINS0_14default_configENS1_20scan_config_selectorIfEEZZNS1_9scan_implILNS1_25lookback_scan_determinismE0ELb1ELb1ES3_N6thrust23THRUST_200600_302600_NS6detail15normal_iteratorINS9_10device_ptrIfEEEENS9_16discard_iteratorINS9_11use_defaultEEEf11max_functorIfEfEEDaPvRmT3_T4_T5_mT6_P12ihipStream_tbENKUlT_T0_E_clISt17integral_constantIbLb1EESX_EEDaSS_ST_EUlSS_E0_NS1_11comp_targetILNS1_3genE10ELNS1_11target_archE1200ELNS1_3gpuE4ELNS1_3repE0EEENS1_30default_config_static_selectorELNS0_4arch9wavefront6targetE1EEEvT1_.kd
    .uniform_work_group_size: 1
    .uses_dynamic_stack: false
    .vgpr_count:     0
    .vgpr_spill_count: 0
    .wavefront_size: 64
  - .agpr_count:     0
    .args:
      - .offset:         0
        .size:           40
        .value_kind:     by_value
    .group_segment_fixed_size: 0
    .kernarg_segment_align: 8
    .kernarg_segment_size: 40
    .language:       OpenCL C
    .language_version:
      - 2
      - 0
    .max_flat_workgroup_size: 256
    .name:           _ZN7rocprim17ROCPRIM_400000_NS6detail17trampoline_kernelINS0_14default_configENS1_20scan_config_selectorIfEEZZNS1_9scan_implILNS1_25lookback_scan_determinismE0ELb1ELb1ES3_N6thrust23THRUST_200600_302600_NS6detail15normal_iteratorINS9_10device_ptrIfEEEENS9_16discard_iteratorINS9_11use_defaultEEEf11max_functorIfEfEEDaPvRmT3_T4_T5_mT6_P12ihipStream_tbENKUlT_T0_E_clISt17integral_constantIbLb1EESX_EEDaSS_ST_EUlSS_E0_NS1_11comp_targetILNS1_3genE9ELNS1_11target_archE1100ELNS1_3gpuE3ELNS1_3repE0EEENS1_30default_config_static_selectorELNS0_4arch9wavefront6targetE1EEEvT1_
    .private_segment_fixed_size: 0
    .sgpr_count:     4
    .sgpr_spill_count: 0
    .symbol:         _ZN7rocprim17ROCPRIM_400000_NS6detail17trampoline_kernelINS0_14default_configENS1_20scan_config_selectorIfEEZZNS1_9scan_implILNS1_25lookback_scan_determinismE0ELb1ELb1ES3_N6thrust23THRUST_200600_302600_NS6detail15normal_iteratorINS9_10device_ptrIfEEEENS9_16discard_iteratorINS9_11use_defaultEEEf11max_functorIfEfEEDaPvRmT3_T4_T5_mT6_P12ihipStream_tbENKUlT_T0_E_clISt17integral_constantIbLb1EESX_EEDaSS_ST_EUlSS_E0_NS1_11comp_targetILNS1_3genE9ELNS1_11target_archE1100ELNS1_3gpuE3ELNS1_3repE0EEENS1_30default_config_static_selectorELNS0_4arch9wavefront6targetE1EEEvT1_.kd
    .uniform_work_group_size: 1
    .uses_dynamic_stack: false
    .vgpr_count:     0
    .vgpr_spill_count: 0
    .wavefront_size: 64
  - .agpr_count:     0
    .args:
      - .offset:         0
        .size:           40
        .value_kind:     by_value
    .group_segment_fixed_size: 0
    .kernarg_segment_align: 8
    .kernarg_segment_size: 40
    .language:       OpenCL C
    .language_version:
      - 2
      - 0
    .max_flat_workgroup_size: 64
    .name:           _ZN7rocprim17ROCPRIM_400000_NS6detail17trampoline_kernelINS0_14default_configENS1_20scan_config_selectorIfEEZZNS1_9scan_implILNS1_25lookback_scan_determinismE0ELb1ELb1ES3_N6thrust23THRUST_200600_302600_NS6detail15normal_iteratorINS9_10device_ptrIfEEEENS9_16discard_iteratorINS9_11use_defaultEEEf11max_functorIfEfEEDaPvRmT3_T4_T5_mT6_P12ihipStream_tbENKUlT_T0_E_clISt17integral_constantIbLb1EESX_EEDaSS_ST_EUlSS_E0_NS1_11comp_targetILNS1_3genE8ELNS1_11target_archE1030ELNS1_3gpuE2ELNS1_3repE0EEENS1_30default_config_static_selectorELNS0_4arch9wavefront6targetE1EEEvT1_
    .private_segment_fixed_size: 0
    .sgpr_count:     4
    .sgpr_spill_count: 0
    .symbol:         _ZN7rocprim17ROCPRIM_400000_NS6detail17trampoline_kernelINS0_14default_configENS1_20scan_config_selectorIfEEZZNS1_9scan_implILNS1_25lookback_scan_determinismE0ELb1ELb1ES3_N6thrust23THRUST_200600_302600_NS6detail15normal_iteratorINS9_10device_ptrIfEEEENS9_16discard_iteratorINS9_11use_defaultEEEf11max_functorIfEfEEDaPvRmT3_T4_T5_mT6_P12ihipStream_tbENKUlT_T0_E_clISt17integral_constantIbLb1EESX_EEDaSS_ST_EUlSS_E0_NS1_11comp_targetILNS1_3genE8ELNS1_11target_archE1030ELNS1_3gpuE2ELNS1_3repE0EEENS1_30default_config_static_selectorELNS0_4arch9wavefront6targetE1EEEvT1_.kd
    .uniform_work_group_size: 1
    .uses_dynamic_stack: false
    .vgpr_count:     0
    .vgpr_spill_count: 0
    .wavefront_size: 64
  - .agpr_count:     0
    .args:
      - .offset:         0
        .size:           104
        .value_kind:     by_value
    .group_segment_fixed_size: 0
    .kernarg_segment_align: 8
    .kernarg_segment_size: 104
    .language:       OpenCL C
    .language_version:
      - 2
      - 0
    .max_flat_workgroup_size: 256
    .name:           _ZN7rocprim17ROCPRIM_400000_NS6detail17trampoline_kernelINS0_14default_configENS1_20scan_config_selectorIfEEZZNS1_9scan_implILNS1_25lookback_scan_determinismE0ELb1ELb1ES3_N6thrust23THRUST_200600_302600_NS6detail15normal_iteratorINS9_10device_ptrIfEEEENS9_16discard_iteratorINS9_11use_defaultEEEf11max_functorIfEfEEDaPvRmT3_T4_T5_mT6_P12ihipStream_tbENKUlT_T0_E_clISt17integral_constantIbLb1EESW_IbLb0EEEEDaSS_ST_EUlSS_E_NS1_11comp_targetILNS1_3genE0ELNS1_11target_archE4294967295ELNS1_3gpuE0ELNS1_3repE0EEENS1_30default_config_static_selectorELNS0_4arch9wavefront6targetE1EEEvT1_
    .private_segment_fixed_size: 0
    .sgpr_count:     4
    .sgpr_spill_count: 0
    .symbol:         _ZN7rocprim17ROCPRIM_400000_NS6detail17trampoline_kernelINS0_14default_configENS1_20scan_config_selectorIfEEZZNS1_9scan_implILNS1_25lookback_scan_determinismE0ELb1ELb1ES3_N6thrust23THRUST_200600_302600_NS6detail15normal_iteratorINS9_10device_ptrIfEEEENS9_16discard_iteratorINS9_11use_defaultEEEf11max_functorIfEfEEDaPvRmT3_T4_T5_mT6_P12ihipStream_tbENKUlT_T0_E_clISt17integral_constantIbLb1EESW_IbLb0EEEEDaSS_ST_EUlSS_E_NS1_11comp_targetILNS1_3genE0ELNS1_11target_archE4294967295ELNS1_3gpuE0ELNS1_3repE0EEENS1_30default_config_static_selectorELNS0_4arch9wavefront6targetE1EEEvT1_.kd
    .uniform_work_group_size: 1
    .uses_dynamic_stack: false
    .vgpr_count:     0
    .vgpr_spill_count: 0
    .wavefront_size: 64
  - .agpr_count:     0
    .args:
      - .offset:         0
        .size:           104
        .value_kind:     by_value
    .group_segment_fixed_size: 0
    .kernarg_segment_align: 8
    .kernarg_segment_size: 104
    .language:       OpenCL C
    .language_version:
      - 2
      - 0
    .max_flat_workgroup_size: 256
    .name:           _ZN7rocprim17ROCPRIM_400000_NS6detail17trampoline_kernelINS0_14default_configENS1_20scan_config_selectorIfEEZZNS1_9scan_implILNS1_25lookback_scan_determinismE0ELb1ELb1ES3_N6thrust23THRUST_200600_302600_NS6detail15normal_iteratorINS9_10device_ptrIfEEEENS9_16discard_iteratorINS9_11use_defaultEEEf11max_functorIfEfEEDaPvRmT3_T4_T5_mT6_P12ihipStream_tbENKUlT_T0_E_clISt17integral_constantIbLb1EESW_IbLb0EEEEDaSS_ST_EUlSS_E_NS1_11comp_targetILNS1_3genE5ELNS1_11target_archE942ELNS1_3gpuE9ELNS1_3repE0EEENS1_30default_config_static_selectorELNS0_4arch9wavefront6targetE1EEEvT1_
    .private_segment_fixed_size: 0
    .sgpr_count:     4
    .sgpr_spill_count: 0
    .symbol:         _ZN7rocprim17ROCPRIM_400000_NS6detail17trampoline_kernelINS0_14default_configENS1_20scan_config_selectorIfEEZZNS1_9scan_implILNS1_25lookback_scan_determinismE0ELb1ELb1ES3_N6thrust23THRUST_200600_302600_NS6detail15normal_iteratorINS9_10device_ptrIfEEEENS9_16discard_iteratorINS9_11use_defaultEEEf11max_functorIfEfEEDaPvRmT3_T4_T5_mT6_P12ihipStream_tbENKUlT_T0_E_clISt17integral_constantIbLb1EESW_IbLb0EEEEDaSS_ST_EUlSS_E_NS1_11comp_targetILNS1_3genE5ELNS1_11target_archE942ELNS1_3gpuE9ELNS1_3repE0EEENS1_30default_config_static_selectorELNS0_4arch9wavefront6targetE1EEEvT1_.kd
    .uniform_work_group_size: 1
    .uses_dynamic_stack: false
    .vgpr_count:     0
    .vgpr_spill_count: 0
    .wavefront_size: 64
  - .agpr_count:     0
    .args:
      - .offset:         0
        .size:           104
        .value_kind:     by_value
    .group_segment_fixed_size: 7168
    .kernarg_segment_align: 8
    .kernarg_segment_size: 104
    .language:       OpenCL C
    .language_version:
      - 2
      - 0
    .max_flat_workgroup_size: 128
    .name:           _ZN7rocprim17ROCPRIM_400000_NS6detail17trampoline_kernelINS0_14default_configENS1_20scan_config_selectorIfEEZZNS1_9scan_implILNS1_25lookback_scan_determinismE0ELb1ELb1ES3_N6thrust23THRUST_200600_302600_NS6detail15normal_iteratorINS9_10device_ptrIfEEEENS9_16discard_iteratorINS9_11use_defaultEEEf11max_functorIfEfEEDaPvRmT3_T4_T5_mT6_P12ihipStream_tbENKUlT_T0_E_clISt17integral_constantIbLb1EESW_IbLb0EEEEDaSS_ST_EUlSS_E_NS1_11comp_targetILNS1_3genE4ELNS1_11target_archE910ELNS1_3gpuE8ELNS1_3repE0EEENS1_30default_config_static_selectorELNS0_4arch9wavefront6targetE1EEEvT1_
    .private_segment_fixed_size: 0
    .sgpr_count:     30
    .sgpr_spill_count: 0
    .symbol:         _ZN7rocprim17ROCPRIM_400000_NS6detail17trampoline_kernelINS0_14default_configENS1_20scan_config_selectorIfEEZZNS1_9scan_implILNS1_25lookback_scan_determinismE0ELb1ELb1ES3_N6thrust23THRUST_200600_302600_NS6detail15normal_iteratorINS9_10device_ptrIfEEEENS9_16discard_iteratorINS9_11use_defaultEEEf11max_functorIfEfEEDaPvRmT3_T4_T5_mT6_P12ihipStream_tbENKUlT_T0_E_clISt17integral_constantIbLb1EESW_IbLb0EEEEDaSS_ST_EUlSS_E_NS1_11comp_targetILNS1_3genE4ELNS1_11target_archE910ELNS1_3gpuE8ELNS1_3repE0EEENS1_30default_config_static_selectorELNS0_4arch9wavefront6targetE1EEEvT1_.kd
    .uniform_work_group_size: 1
    .uses_dynamic_stack: false
    .vgpr_count:     43
    .vgpr_spill_count: 0
    .wavefront_size: 64
  - .agpr_count:     0
    .args:
      - .offset:         0
        .size:           104
        .value_kind:     by_value
    .group_segment_fixed_size: 0
    .kernarg_segment_align: 8
    .kernarg_segment_size: 104
    .language:       OpenCL C
    .language_version:
      - 2
      - 0
    .max_flat_workgroup_size: 256
    .name:           _ZN7rocprim17ROCPRIM_400000_NS6detail17trampoline_kernelINS0_14default_configENS1_20scan_config_selectorIfEEZZNS1_9scan_implILNS1_25lookback_scan_determinismE0ELb1ELb1ES3_N6thrust23THRUST_200600_302600_NS6detail15normal_iteratorINS9_10device_ptrIfEEEENS9_16discard_iteratorINS9_11use_defaultEEEf11max_functorIfEfEEDaPvRmT3_T4_T5_mT6_P12ihipStream_tbENKUlT_T0_E_clISt17integral_constantIbLb1EESW_IbLb0EEEEDaSS_ST_EUlSS_E_NS1_11comp_targetILNS1_3genE3ELNS1_11target_archE908ELNS1_3gpuE7ELNS1_3repE0EEENS1_30default_config_static_selectorELNS0_4arch9wavefront6targetE1EEEvT1_
    .private_segment_fixed_size: 0
    .sgpr_count:     4
    .sgpr_spill_count: 0
    .symbol:         _ZN7rocprim17ROCPRIM_400000_NS6detail17trampoline_kernelINS0_14default_configENS1_20scan_config_selectorIfEEZZNS1_9scan_implILNS1_25lookback_scan_determinismE0ELb1ELb1ES3_N6thrust23THRUST_200600_302600_NS6detail15normal_iteratorINS9_10device_ptrIfEEEENS9_16discard_iteratorINS9_11use_defaultEEEf11max_functorIfEfEEDaPvRmT3_T4_T5_mT6_P12ihipStream_tbENKUlT_T0_E_clISt17integral_constantIbLb1EESW_IbLb0EEEEDaSS_ST_EUlSS_E_NS1_11comp_targetILNS1_3genE3ELNS1_11target_archE908ELNS1_3gpuE7ELNS1_3repE0EEENS1_30default_config_static_selectorELNS0_4arch9wavefront6targetE1EEEvT1_.kd
    .uniform_work_group_size: 1
    .uses_dynamic_stack: false
    .vgpr_count:     0
    .vgpr_spill_count: 0
    .wavefront_size: 64
  - .agpr_count:     0
    .args:
      - .offset:         0
        .size:           104
        .value_kind:     by_value
    .group_segment_fixed_size: 0
    .kernarg_segment_align: 8
    .kernarg_segment_size: 104
    .language:       OpenCL C
    .language_version:
      - 2
      - 0
    .max_flat_workgroup_size: 256
    .name:           _ZN7rocprim17ROCPRIM_400000_NS6detail17trampoline_kernelINS0_14default_configENS1_20scan_config_selectorIfEEZZNS1_9scan_implILNS1_25lookback_scan_determinismE0ELb1ELb1ES3_N6thrust23THRUST_200600_302600_NS6detail15normal_iteratorINS9_10device_ptrIfEEEENS9_16discard_iteratorINS9_11use_defaultEEEf11max_functorIfEfEEDaPvRmT3_T4_T5_mT6_P12ihipStream_tbENKUlT_T0_E_clISt17integral_constantIbLb1EESW_IbLb0EEEEDaSS_ST_EUlSS_E_NS1_11comp_targetILNS1_3genE2ELNS1_11target_archE906ELNS1_3gpuE6ELNS1_3repE0EEENS1_30default_config_static_selectorELNS0_4arch9wavefront6targetE1EEEvT1_
    .private_segment_fixed_size: 0
    .sgpr_count:     4
    .sgpr_spill_count: 0
    .symbol:         _ZN7rocprim17ROCPRIM_400000_NS6detail17trampoline_kernelINS0_14default_configENS1_20scan_config_selectorIfEEZZNS1_9scan_implILNS1_25lookback_scan_determinismE0ELb1ELb1ES3_N6thrust23THRUST_200600_302600_NS6detail15normal_iteratorINS9_10device_ptrIfEEEENS9_16discard_iteratorINS9_11use_defaultEEEf11max_functorIfEfEEDaPvRmT3_T4_T5_mT6_P12ihipStream_tbENKUlT_T0_E_clISt17integral_constantIbLb1EESW_IbLb0EEEEDaSS_ST_EUlSS_E_NS1_11comp_targetILNS1_3genE2ELNS1_11target_archE906ELNS1_3gpuE6ELNS1_3repE0EEENS1_30default_config_static_selectorELNS0_4arch9wavefront6targetE1EEEvT1_.kd
    .uniform_work_group_size: 1
    .uses_dynamic_stack: false
    .vgpr_count:     0
    .vgpr_spill_count: 0
    .wavefront_size: 64
  - .agpr_count:     0
    .args:
      - .offset:         0
        .size:           104
        .value_kind:     by_value
    .group_segment_fixed_size: 0
    .kernarg_segment_align: 8
    .kernarg_segment_size: 104
    .language:       OpenCL C
    .language_version:
      - 2
      - 0
    .max_flat_workgroup_size: 256
    .name:           _ZN7rocprim17ROCPRIM_400000_NS6detail17trampoline_kernelINS0_14default_configENS1_20scan_config_selectorIfEEZZNS1_9scan_implILNS1_25lookback_scan_determinismE0ELb1ELb1ES3_N6thrust23THRUST_200600_302600_NS6detail15normal_iteratorINS9_10device_ptrIfEEEENS9_16discard_iteratorINS9_11use_defaultEEEf11max_functorIfEfEEDaPvRmT3_T4_T5_mT6_P12ihipStream_tbENKUlT_T0_E_clISt17integral_constantIbLb1EESW_IbLb0EEEEDaSS_ST_EUlSS_E_NS1_11comp_targetILNS1_3genE10ELNS1_11target_archE1201ELNS1_3gpuE5ELNS1_3repE0EEENS1_30default_config_static_selectorELNS0_4arch9wavefront6targetE1EEEvT1_
    .private_segment_fixed_size: 0
    .sgpr_count:     4
    .sgpr_spill_count: 0
    .symbol:         _ZN7rocprim17ROCPRIM_400000_NS6detail17trampoline_kernelINS0_14default_configENS1_20scan_config_selectorIfEEZZNS1_9scan_implILNS1_25lookback_scan_determinismE0ELb1ELb1ES3_N6thrust23THRUST_200600_302600_NS6detail15normal_iteratorINS9_10device_ptrIfEEEENS9_16discard_iteratorINS9_11use_defaultEEEf11max_functorIfEfEEDaPvRmT3_T4_T5_mT6_P12ihipStream_tbENKUlT_T0_E_clISt17integral_constantIbLb1EESW_IbLb0EEEEDaSS_ST_EUlSS_E_NS1_11comp_targetILNS1_3genE10ELNS1_11target_archE1201ELNS1_3gpuE5ELNS1_3repE0EEENS1_30default_config_static_selectorELNS0_4arch9wavefront6targetE1EEEvT1_.kd
    .uniform_work_group_size: 1
    .uses_dynamic_stack: false
    .vgpr_count:     0
    .vgpr_spill_count: 0
    .wavefront_size: 64
  - .agpr_count:     0
    .args:
      - .offset:         0
        .size:           104
        .value_kind:     by_value
    .group_segment_fixed_size: 0
    .kernarg_segment_align: 8
    .kernarg_segment_size: 104
    .language:       OpenCL C
    .language_version:
      - 2
      - 0
    .max_flat_workgroup_size: 256
    .name:           _ZN7rocprim17ROCPRIM_400000_NS6detail17trampoline_kernelINS0_14default_configENS1_20scan_config_selectorIfEEZZNS1_9scan_implILNS1_25lookback_scan_determinismE0ELb1ELb1ES3_N6thrust23THRUST_200600_302600_NS6detail15normal_iteratorINS9_10device_ptrIfEEEENS9_16discard_iteratorINS9_11use_defaultEEEf11max_functorIfEfEEDaPvRmT3_T4_T5_mT6_P12ihipStream_tbENKUlT_T0_E_clISt17integral_constantIbLb1EESW_IbLb0EEEEDaSS_ST_EUlSS_E_NS1_11comp_targetILNS1_3genE10ELNS1_11target_archE1200ELNS1_3gpuE4ELNS1_3repE0EEENS1_30default_config_static_selectorELNS0_4arch9wavefront6targetE1EEEvT1_
    .private_segment_fixed_size: 0
    .sgpr_count:     4
    .sgpr_spill_count: 0
    .symbol:         _ZN7rocprim17ROCPRIM_400000_NS6detail17trampoline_kernelINS0_14default_configENS1_20scan_config_selectorIfEEZZNS1_9scan_implILNS1_25lookback_scan_determinismE0ELb1ELb1ES3_N6thrust23THRUST_200600_302600_NS6detail15normal_iteratorINS9_10device_ptrIfEEEENS9_16discard_iteratorINS9_11use_defaultEEEf11max_functorIfEfEEDaPvRmT3_T4_T5_mT6_P12ihipStream_tbENKUlT_T0_E_clISt17integral_constantIbLb1EESW_IbLb0EEEEDaSS_ST_EUlSS_E_NS1_11comp_targetILNS1_3genE10ELNS1_11target_archE1200ELNS1_3gpuE4ELNS1_3repE0EEENS1_30default_config_static_selectorELNS0_4arch9wavefront6targetE1EEEvT1_.kd
    .uniform_work_group_size: 1
    .uses_dynamic_stack: false
    .vgpr_count:     0
    .vgpr_spill_count: 0
    .wavefront_size: 64
  - .agpr_count:     0
    .args:
      - .offset:         0
        .size:           104
        .value_kind:     by_value
    .group_segment_fixed_size: 0
    .kernarg_segment_align: 8
    .kernarg_segment_size: 104
    .language:       OpenCL C
    .language_version:
      - 2
      - 0
    .max_flat_workgroup_size: 256
    .name:           _ZN7rocprim17ROCPRIM_400000_NS6detail17trampoline_kernelINS0_14default_configENS1_20scan_config_selectorIfEEZZNS1_9scan_implILNS1_25lookback_scan_determinismE0ELb1ELb1ES3_N6thrust23THRUST_200600_302600_NS6detail15normal_iteratorINS9_10device_ptrIfEEEENS9_16discard_iteratorINS9_11use_defaultEEEf11max_functorIfEfEEDaPvRmT3_T4_T5_mT6_P12ihipStream_tbENKUlT_T0_E_clISt17integral_constantIbLb1EESW_IbLb0EEEEDaSS_ST_EUlSS_E_NS1_11comp_targetILNS1_3genE9ELNS1_11target_archE1100ELNS1_3gpuE3ELNS1_3repE0EEENS1_30default_config_static_selectorELNS0_4arch9wavefront6targetE1EEEvT1_
    .private_segment_fixed_size: 0
    .sgpr_count:     4
    .sgpr_spill_count: 0
    .symbol:         _ZN7rocprim17ROCPRIM_400000_NS6detail17trampoline_kernelINS0_14default_configENS1_20scan_config_selectorIfEEZZNS1_9scan_implILNS1_25lookback_scan_determinismE0ELb1ELb1ES3_N6thrust23THRUST_200600_302600_NS6detail15normal_iteratorINS9_10device_ptrIfEEEENS9_16discard_iteratorINS9_11use_defaultEEEf11max_functorIfEfEEDaPvRmT3_T4_T5_mT6_P12ihipStream_tbENKUlT_T0_E_clISt17integral_constantIbLb1EESW_IbLb0EEEEDaSS_ST_EUlSS_E_NS1_11comp_targetILNS1_3genE9ELNS1_11target_archE1100ELNS1_3gpuE3ELNS1_3repE0EEENS1_30default_config_static_selectorELNS0_4arch9wavefront6targetE1EEEvT1_.kd
    .uniform_work_group_size: 1
    .uses_dynamic_stack: false
    .vgpr_count:     0
    .vgpr_spill_count: 0
    .wavefront_size: 64
  - .agpr_count:     0
    .args:
      - .offset:         0
        .size:           104
        .value_kind:     by_value
    .group_segment_fixed_size: 0
    .kernarg_segment_align: 8
    .kernarg_segment_size: 104
    .language:       OpenCL C
    .language_version:
      - 2
      - 0
    .max_flat_workgroup_size: 64
    .name:           _ZN7rocprim17ROCPRIM_400000_NS6detail17trampoline_kernelINS0_14default_configENS1_20scan_config_selectorIfEEZZNS1_9scan_implILNS1_25lookback_scan_determinismE0ELb1ELb1ES3_N6thrust23THRUST_200600_302600_NS6detail15normal_iteratorINS9_10device_ptrIfEEEENS9_16discard_iteratorINS9_11use_defaultEEEf11max_functorIfEfEEDaPvRmT3_T4_T5_mT6_P12ihipStream_tbENKUlT_T0_E_clISt17integral_constantIbLb1EESW_IbLb0EEEEDaSS_ST_EUlSS_E_NS1_11comp_targetILNS1_3genE8ELNS1_11target_archE1030ELNS1_3gpuE2ELNS1_3repE0EEENS1_30default_config_static_selectorELNS0_4arch9wavefront6targetE1EEEvT1_
    .private_segment_fixed_size: 0
    .sgpr_count:     4
    .sgpr_spill_count: 0
    .symbol:         _ZN7rocprim17ROCPRIM_400000_NS6detail17trampoline_kernelINS0_14default_configENS1_20scan_config_selectorIfEEZZNS1_9scan_implILNS1_25lookback_scan_determinismE0ELb1ELb1ES3_N6thrust23THRUST_200600_302600_NS6detail15normal_iteratorINS9_10device_ptrIfEEEENS9_16discard_iteratorINS9_11use_defaultEEEf11max_functorIfEfEEDaPvRmT3_T4_T5_mT6_P12ihipStream_tbENKUlT_T0_E_clISt17integral_constantIbLb1EESW_IbLb0EEEEDaSS_ST_EUlSS_E_NS1_11comp_targetILNS1_3genE8ELNS1_11target_archE1030ELNS1_3gpuE2ELNS1_3repE0EEENS1_30default_config_static_selectorELNS0_4arch9wavefront6targetE1EEEvT1_.kd
    .uniform_work_group_size: 1
    .uses_dynamic_stack: false
    .vgpr_count:     0
    .vgpr_spill_count: 0
    .wavefront_size: 64
  - .agpr_count:     0
    .args:
      - .offset:         0
        .size:           40
        .value_kind:     by_value
    .group_segment_fixed_size: 0
    .kernarg_segment_align: 8
    .kernarg_segment_size: 40
    .language:       OpenCL C
    .language_version:
      - 2
      - 0
    .max_flat_workgroup_size: 256
    .name:           _ZN7rocprim17ROCPRIM_400000_NS6detail17trampoline_kernelINS0_14default_configENS1_20scan_config_selectorIfEEZZNS1_9scan_implILNS1_25lookback_scan_determinismE0ELb1ELb1ES3_N6thrust23THRUST_200600_302600_NS6detail15normal_iteratorINS9_10device_ptrIfEEEENS9_16discard_iteratorINS9_11use_defaultEEEf11max_functorIfEfEEDaPvRmT3_T4_T5_mT6_P12ihipStream_tbENKUlT_T0_E_clISt17integral_constantIbLb1EESW_IbLb0EEEEDaSS_ST_EUlSS_E0_NS1_11comp_targetILNS1_3genE0ELNS1_11target_archE4294967295ELNS1_3gpuE0ELNS1_3repE0EEENS1_30default_config_static_selectorELNS0_4arch9wavefront6targetE1EEEvT1_
    .private_segment_fixed_size: 0
    .sgpr_count:     4
    .sgpr_spill_count: 0
    .symbol:         _ZN7rocprim17ROCPRIM_400000_NS6detail17trampoline_kernelINS0_14default_configENS1_20scan_config_selectorIfEEZZNS1_9scan_implILNS1_25lookback_scan_determinismE0ELb1ELb1ES3_N6thrust23THRUST_200600_302600_NS6detail15normal_iteratorINS9_10device_ptrIfEEEENS9_16discard_iteratorINS9_11use_defaultEEEf11max_functorIfEfEEDaPvRmT3_T4_T5_mT6_P12ihipStream_tbENKUlT_T0_E_clISt17integral_constantIbLb1EESW_IbLb0EEEEDaSS_ST_EUlSS_E0_NS1_11comp_targetILNS1_3genE0ELNS1_11target_archE4294967295ELNS1_3gpuE0ELNS1_3repE0EEENS1_30default_config_static_selectorELNS0_4arch9wavefront6targetE1EEEvT1_.kd
    .uniform_work_group_size: 1
    .uses_dynamic_stack: false
    .vgpr_count:     0
    .vgpr_spill_count: 0
    .wavefront_size: 64
  - .agpr_count:     0
    .args:
      - .offset:         0
        .size:           40
        .value_kind:     by_value
    .group_segment_fixed_size: 0
    .kernarg_segment_align: 8
    .kernarg_segment_size: 40
    .language:       OpenCL C
    .language_version:
      - 2
      - 0
    .max_flat_workgroup_size: 256
    .name:           _ZN7rocprim17ROCPRIM_400000_NS6detail17trampoline_kernelINS0_14default_configENS1_20scan_config_selectorIfEEZZNS1_9scan_implILNS1_25lookback_scan_determinismE0ELb1ELb1ES3_N6thrust23THRUST_200600_302600_NS6detail15normal_iteratorINS9_10device_ptrIfEEEENS9_16discard_iteratorINS9_11use_defaultEEEf11max_functorIfEfEEDaPvRmT3_T4_T5_mT6_P12ihipStream_tbENKUlT_T0_E_clISt17integral_constantIbLb1EESW_IbLb0EEEEDaSS_ST_EUlSS_E0_NS1_11comp_targetILNS1_3genE5ELNS1_11target_archE942ELNS1_3gpuE9ELNS1_3repE0EEENS1_30default_config_static_selectorELNS0_4arch9wavefront6targetE1EEEvT1_
    .private_segment_fixed_size: 0
    .sgpr_count:     4
    .sgpr_spill_count: 0
    .symbol:         _ZN7rocprim17ROCPRIM_400000_NS6detail17trampoline_kernelINS0_14default_configENS1_20scan_config_selectorIfEEZZNS1_9scan_implILNS1_25lookback_scan_determinismE0ELb1ELb1ES3_N6thrust23THRUST_200600_302600_NS6detail15normal_iteratorINS9_10device_ptrIfEEEENS9_16discard_iteratorINS9_11use_defaultEEEf11max_functorIfEfEEDaPvRmT3_T4_T5_mT6_P12ihipStream_tbENKUlT_T0_E_clISt17integral_constantIbLb1EESW_IbLb0EEEEDaSS_ST_EUlSS_E0_NS1_11comp_targetILNS1_3genE5ELNS1_11target_archE942ELNS1_3gpuE9ELNS1_3repE0EEENS1_30default_config_static_selectorELNS0_4arch9wavefront6targetE1EEEvT1_.kd
    .uniform_work_group_size: 1
    .uses_dynamic_stack: false
    .vgpr_count:     0
    .vgpr_spill_count: 0
    .wavefront_size: 64
  - .agpr_count:     0
    .args:
      - .offset:         0
        .size:           40
        .value_kind:     by_value
    .group_segment_fixed_size: 7168
    .kernarg_segment_align: 8
    .kernarg_segment_size: 40
    .language:       OpenCL C
    .language_version:
      - 2
      - 0
    .max_flat_workgroup_size: 128
    .name:           _ZN7rocprim17ROCPRIM_400000_NS6detail17trampoline_kernelINS0_14default_configENS1_20scan_config_selectorIfEEZZNS1_9scan_implILNS1_25lookback_scan_determinismE0ELb1ELb1ES3_N6thrust23THRUST_200600_302600_NS6detail15normal_iteratorINS9_10device_ptrIfEEEENS9_16discard_iteratorINS9_11use_defaultEEEf11max_functorIfEfEEDaPvRmT3_T4_T5_mT6_P12ihipStream_tbENKUlT_T0_E_clISt17integral_constantIbLb1EESW_IbLb0EEEEDaSS_ST_EUlSS_E0_NS1_11comp_targetILNS1_3genE4ELNS1_11target_archE910ELNS1_3gpuE8ELNS1_3repE0EEENS1_30default_config_static_selectorELNS0_4arch9wavefront6targetE1EEEvT1_
    .private_segment_fixed_size: 0
    .sgpr_count:     13
    .sgpr_spill_count: 0
    .symbol:         _ZN7rocprim17ROCPRIM_400000_NS6detail17trampoline_kernelINS0_14default_configENS1_20scan_config_selectorIfEEZZNS1_9scan_implILNS1_25lookback_scan_determinismE0ELb1ELb1ES3_N6thrust23THRUST_200600_302600_NS6detail15normal_iteratorINS9_10device_ptrIfEEEENS9_16discard_iteratorINS9_11use_defaultEEEf11max_functorIfEfEEDaPvRmT3_T4_T5_mT6_P12ihipStream_tbENKUlT_T0_E_clISt17integral_constantIbLb1EESW_IbLb0EEEEDaSS_ST_EUlSS_E0_NS1_11comp_targetILNS1_3genE4ELNS1_11target_archE910ELNS1_3gpuE8ELNS1_3repE0EEENS1_30default_config_static_selectorELNS0_4arch9wavefront6targetE1EEEvT1_.kd
    .uniform_work_group_size: 1
    .uses_dynamic_stack: false
    .vgpr_count:     23
    .vgpr_spill_count: 0
    .wavefront_size: 64
  - .agpr_count:     0
    .args:
      - .offset:         0
        .size:           40
        .value_kind:     by_value
    .group_segment_fixed_size: 0
    .kernarg_segment_align: 8
    .kernarg_segment_size: 40
    .language:       OpenCL C
    .language_version:
      - 2
      - 0
    .max_flat_workgroup_size: 256
    .name:           _ZN7rocprim17ROCPRIM_400000_NS6detail17trampoline_kernelINS0_14default_configENS1_20scan_config_selectorIfEEZZNS1_9scan_implILNS1_25lookback_scan_determinismE0ELb1ELb1ES3_N6thrust23THRUST_200600_302600_NS6detail15normal_iteratorINS9_10device_ptrIfEEEENS9_16discard_iteratorINS9_11use_defaultEEEf11max_functorIfEfEEDaPvRmT3_T4_T5_mT6_P12ihipStream_tbENKUlT_T0_E_clISt17integral_constantIbLb1EESW_IbLb0EEEEDaSS_ST_EUlSS_E0_NS1_11comp_targetILNS1_3genE3ELNS1_11target_archE908ELNS1_3gpuE7ELNS1_3repE0EEENS1_30default_config_static_selectorELNS0_4arch9wavefront6targetE1EEEvT1_
    .private_segment_fixed_size: 0
    .sgpr_count:     4
    .sgpr_spill_count: 0
    .symbol:         _ZN7rocprim17ROCPRIM_400000_NS6detail17trampoline_kernelINS0_14default_configENS1_20scan_config_selectorIfEEZZNS1_9scan_implILNS1_25lookback_scan_determinismE0ELb1ELb1ES3_N6thrust23THRUST_200600_302600_NS6detail15normal_iteratorINS9_10device_ptrIfEEEENS9_16discard_iteratorINS9_11use_defaultEEEf11max_functorIfEfEEDaPvRmT3_T4_T5_mT6_P12ihipStream_tbENKUlT_T0_E_clISt17integral_constantIbLb1EESW_IbLb0EEEEDaSS_ST_EUlSS_E0_NS1_11comp_targetILNS1_3genE3ELNS1_11target_archE908ELNS1_3gpuE7ELNS1_3repE0EEENS1_30default_config_static_selectorELNS0_4arch9wavefront6targetE1EEEvT1_.kd
    .uniform_work_group_size: 1
    .uses_dynamic_stack: false
    .vgpr_count:     0
    .vgpr_spill_count: 0
    .wavefront_size: 64
  - .agpr_count:     0
    .args:
      - .offset:         0
        .size:           40
        .value_kind:     by_value
    .group_segment_fixed_size: 0
    .kernarg_segment_align: 8
    .kernarg_segment_size: 40
    .language:       OpenCL C
    .language_version:
      - 2
      - 0
    .max_flat_workgroup_size: 256
    .name:           _ZN7rocprim17ROCPRIM_400000_NS6detail17trampoline_kernelINS0_14default_configENS1_20scan_config_selectorIfEEZZNS1_9scan_implILNS1_25lookback_scan_determinismE0ELb1ELb1ES3_N6thrust23THRUST_200600_302600_NS6detail15normal_iteratorINS9_10device_ptrIfEEEENS9_16discard_iteratorINS9_11use_defaultEEEf11max_functorIfEfEEDaPvRmT3_T4_T5_mT6_P12ihipStream_tbENKUlT_T0_E_clISt17integral_constantIbLb1EESW_IbLb0EEEEDaSS_ST_EUlSS_E0_NS1_11comp_targetILNS1_3genE2ELNS1_11target_archE906ELNS1_3gpuE6ELNS1_3repE0EEENS1_30default_config_static_selectorELNS0_4arch9wavefront6targetE1EEEvT1_
    .private_segment_fixed_size: 0
    .sgpr_count:     4
    .sgpr_spill_count: 0
    .symbol:         _ZN7rocprim17ROCPRIM_400000_NS6detail17trampoline_kernelINS0_14default_configENS1_20scan_config_selectorIfEEZZNS1_9scan_implILNS1_25lookback_scan_determinismE0ELb1ELb1ES3_N6thrust23THRUST_200600_302600_NS6detail15normal_iteratorINS9_10device_ptrIfEEEENS9_16discard_iteratorINS9_11use_defaultEEEf11max_functorIfEfEEDaPvRmT3_T4_T5_mT6_P12ihipStream_tbENKUlT_T0_E_clISt17integral_constantIbLb1EESW_IbLb0EEEEDaSS_ST_EUlSS_E0_NS1_11comp_targetILNS1_3genE2ELNS1_11target_archE906ELNS1_3gpuE6ELNS1_3repE0EEENS1_30default_config_static_selectorELNS0_4arch9wavefront6targetE1EEEvT1_.kd
    .uniform_work_group_size: 1
    .uses_dynamic_stack: false
    .vgpr_count:     0
    .vgpr_spill_count: 0
    .wavefront_size: 64
  - .agpr_count:     0
    .args:
      - .offset:         0
        .size:           40
        .value_kind:     by_value
    .group_segment_fixed_size: 0
    .kernarg_segment_align: 8
    .kernarg_segment_size: 40
    .language:       OpenCL C
    .language_version:
      - 2
      - 0
    .max_flat_workgroup_size: 256
    .name:           _ZN7rocprim17ROCPRIM_400000_NS6detail17trampoline_kernelINS0_14default_configENS1_20scan_config_selectorIfEEZZNS1_9scan_implILNS1_25lookback_scan_determinismE0ELb1ELb1ES3_N6thrust23THRUST_200600_302600_NS6detail15normal_iteratorINS9_10device_ptrIfEEEENS9_16discard_iteratorINS9_11use_defaultEEEf11max_functorIfEfEEDaPvRmT3_T4_T5_mT6_P12ihipStream_tbENKUlT_T0_E_clISt17integral_constantIbLb1EESW_IbLb0EEEEDaSS_ST_EUlSS_E0_NS1_11comp_targetILNS1_3genE10ELNS1_11target_archE1201ELNS1_3gpuE5ELNS1_3repE0EEENS1_30default_config_static_selectorELNS0_4arch9wavefront6targetE1EEEvT1_
    .private_segment_fixed_size: 0
    .sgpr_count:     4
    .sgpr_spill_count: 0
    .symbol:         _ZN7rocprim17ROCPRIM_400000_NS6detail17trampoline_kernelINS0_14default_configENS1_20scan_config_selectorIfEEZZNS1_9scan_implILNS1_25lookback_scan_determinismE0ELb1ELb1ES3_N6thrust23THRUST_200600_302600_NS6detail15normal_iteratorINS9_10device_ptrIfEEEENS9_16discard_iteratorINS9_11use_defaultEEEf11max_functorIfEfEEDaPvRmT3_T4_T5_mT6_P12ihipStream_tbENKUlT_T0_E_clISt17integral_constantIbLb1EESW_IbLb0EEEEDaSS_ST_EUlSS_E0_NS1_11comp_targetILNS1_3genE10ELNS1_11target_archE1201ELNS1_3gpuE5ELNS1_3repE0EEENS1_30default_config_static_selectorELNS0_4arch9wavefront6targetE1EEEvT1_.kd
    .uniform_work_group_size: 1
    .uses_dynamic_stack: false
    .vgpr_count:     0
    .vgpr_spill_count: 0
    .wavefront_size: 64
  - .agpr_count:     0
    .args:
      - .offset:         0
        .size:           40
        .value_kind:     by_value
    .group_segment_fixed_size: 0
    .kernarg_segment_align: 8
    .kernarg_segment_size: 40
    .language:       OpenCL C
    .language_version:
      - 2
      - 0
    .max_flat_workgroup_size: 256
    .name:           _ZN7rocprim17ROCPRIM_400000_NS6detail17trampoline_kernelINS0_14default_configENS1_20scan_config_selectorIfEEZZNS1_9scan_implILNS1_25lookback_scan_determinismE0ELb1ELb1ES3_N6thrust23THRUST_200600_302600_NS6detail15normal_iteratorINS9_10device_ptrIfEEEENS9_16discard_iteratorINS9_11use_defaultEEEf11max_functorIfEfEEDaPvRmT3_T4_T5_mT6_P12ihipStream_tbENKUlT_T0_E_clISt17integral_constantIbLb1EESW_IbLb0EEEEDaSS_ST_EUlSS_E0_NS1_11comp_targetILNS1_3genE10ELNS1_11target_archE1200ELNS1_3gpuE4ELNS1_3repE0EEENS1_30default_config_static_selectorELNS0_4arch9wavefront6targetE1EEEvT1_
    .private_segment_fixed_size: 0
    .sgpr_count:     4
    .sgpr_spill_count: 0
    .symbol:         _ZN7rocprim17ROCPRIM_400000_NS6detail17trampoline_kernelINS0_14default_configENS1_20scan_config_selectorIfEEZZNS1_9scan_implILNS1_25lookback_scan_determinismE0ELb1ELb1ES3_N6thrust23THRUST_200600_302600_NS6detail15normal_iteratorINS9_10device_ptrIfEEEENS9_16discard_iteratorINS9_11use_defaultEEEf11max_functorIfEfEEDaPvRmT3_T4_T5_mT6_P12ihipStream_tbENKUlT_T0_E_clISt17integral_constantIbLb1EESW_IbLb0EEEEDaSS_ST_EUlSS_E0_NS1_11comp_targetILNS1_3genE10ELNS1_11target_archE1200ELNS1_3gpuE4ELNS1_3repE0EEENS1_30default_config_static_selectorELNS0_4arch9wavefront6targetE1EEEvT1_.kd
    .uniform_work_group_size: 1
    .uses_dynamic_stack: false
    .vgpr_count:     0
    .vgpr_spill_count: 0
    .wavefront_size: 64
  - .agpr_count:     0
    .args:
      - .offset:         0
        .size:           40
        .value_kind:     by_value
    .group_segment_fixed_size: 0
    .kernarg_segment_align: 8
    .kernarg_segment_size: 40
    .language:       OpenCL C
    .language_version:
      - 2
      - 0
    .max_flat_workgroup_size: 256
    .name:           _ZN7rocprim17ROCPRIM_400000_NS6detail17trampoline_kernelINS0_14default_configENS1_20scan_config_selectorIfEEZZNS1_9scan_implILNS1_25lookback_scan_determinismE0ELb1ELb1ES3_N6thrust23THRUST_200600_302600_NS6detail15normal_iteratorINS9_10device_ptrIfEEEENS9_16discard_iteratorINS9_11use_defaultEEEf11max_functorIfEfEEDaPvRmT3_T4_T5_mT6_P12ihipStream_tbENKUlT_T0_E_clISt17integral_constantIbLb1EESW_IbLb0EEEEDaSS_ST_EUlSS_E0_NS1_11comp_targetILNS1_3genE9ELNS1_11target_archE1100ELNS1_3gpuE3ELNS1_3repE0EEENS1_30default_config_static_selectorELNS0_4arch9wavefront6targetE1EEEvT1_
    .private_segment_fixed_size: 0
    .sgpr_count:     4
    .sgpr_spill_count: 0
    .symbol:         _ZN7rocprim17ROCPRIM_400000_NS6detail17trampoline_kernelINS0_14default_configENS1_20scan_config_selectorIfEEZZNS1_9scan_implILNS1_25lookback_scan_determinismE0ELb1ELb1ES3_N6thrust23THRUST_200600_302600_NS6detail15normal_iteratorINS9_10device_ptrIfEEEENS9_16discard_iteratorINS9_11use_defaultEEEf11max_functorIfEfEEDaPvRmT3_T4_T5_mT6_P12ihipStream_tbENKUlT_T0_E_clISt17integral_constantIbLb1EESW_IbLb0EEEEDaSS_ST_EUlSS_E0_NS1_11comp_targetILNS1_3genE9ELNS1_11target_archE1100ELNS1_3gpuE3ELNS1_3repE0EEENS1_30default_config_static_selectorELNS0_4arch9wavefront6targetE1EEEvT1_.kd
    .uniform_work_group_size: 1
    .uses_dynamic_stack: false
    .vgpr_count:     0
    .vgpr_spill_count: 0
    .wavefront_size: 64
  - .agpr_count:     0
    .args:
      - .offset:         0
        .size:           40
        .value_kind:     by_value
    .group_segment_fixed_size: 0
    .kernarg_segment_align: 8
    .kernarg_segment_size: 40
    .language:       OpenCL C
    .language_version:
      - 2
      - 0
    .max_flat_workgroup_size: 64
    .name:           _ZN7rocprim17ROCPRIM_400000_NS6detail17trampoline_kernelINS0_14default_configENS1_20scan_config_selectorIfEEZZNS1_9scan_implILNS1_25lookback_scan_determinismE0ELb1ELb1ES3_N6thrust23THRUST_200600_302600_NS6detail15normal_iteratorINS9_10device_ptrIfEEEENS9_16discard_iteratorINS9_11use_defaultEEEf11max_functorIfEfEEDaPvRmT3_T4_T5_mT6_P12ihipStream_tbENKUlT_T0_E_clISt17integral_constantIbLb1EESW_IbLb0EEEEDaSS_ST_EUlSS_E0_NS1_11comp_targetILNS1_3genE8ELNS1_11target_archE1030ELNS1_3gpuE2ELNS1_3repE0EEENS1_30default_config_static_selectorELNS0_4arch9wavefront6targetE1EEEvT1_
    .private_segment_fixed_size: 0
    .sgpr_count:     4
    .sgpr_spill_count: 0
    .symbol:         _ZN7rocprim17ROCPRIM_400000_NS6detail17trampoline_kernelINS0_14default_configENS1_20scan_config_selectorIfEEZZNS1_9scan_implILNS1_25lookback_scan_determinismE0ELb1ELb1ES3_N6thrust23THRUST_200600_302600_NS6detail15normal_iteratorINS9_10device_ptrIfEEEENS9_16discard_iteratorINS9_11use_defaultEEEf11max_functorIfEfEEDaPvRmT3_T4_T5_mT6_P12ihipStream_tbENKUlT_T0_E_clISt17integral_constantIbLb1EESW_IbLb0EEEEDaSS_ST_EUlSS_E0_NS1_11comp_targetILNS1_3genE8ELNS1_11target_archE1030ELNS1_3gpuE2ELNS1_3repE0EEENS1_30default_config_static_selectorELNS0_4arch9wavefront6targetE1EEEvT1_.kd
    .uniform_work_group_size: 1
    .uses_dynamic_stack: false
    .vgpr_count:     0
    .vgpr_spill_count: 0
    .wavefront_size: 64
  - .agpr_count:     0
    .args:
      - .offset:         0
        .size:           104
        .value_kind:     by_value
    .group_segment_fixed_size: 0
    .kernarg_segment_align: 8
    .kernarg_segment_size: 104
    .language:       OpenCL C
    .language_version:
      - 2
      - 0
    .max_flat_workgroup_size: 256
    .name:           _ZN7rocprim17ROCPRIM_400000_NS6detail17trampoline_kernelINS0_14default_configENS1_20scan_config_selectorIfEEZZNS1_9scan_implILNS1_25lookback_scan_determinismE0ELb1ELb1ES3_N6thrust23THRUST_200600_302600_NS6detail15normal_iteratorINS9_10device_ptrIfEEEENS9_16discard_iteratorINS9_11use_defaultEEEf11max_functorIfEfEEDaPvRmT3_T4_T5_mT6_P12ihipStream_tbENKUlT_T0_E_clISt17integral_constantIbLb0EESW_IbLb1EEEEDaSS_ST_EUlSS_E_NS1_11comp_targetILNS1_3genE0ELNS1_11target_archE4294967295ELNS1_3gpuE0ELNS1_3repE0EEENS1_30default_config_static_selectorELNS0_4arch9wavefront6targetE1EEEvT1_
    .private_segment_fixed_size: 0
    .sgpr_count:     4
    .sgpr_spill_count: 0
    .symbol:         _ZN7rocprim17ROCPRIM_400000_NS6detail17trampoline_kernelINS0_14default_configENS1_20scan_config_selectorIfEEZZNS1_9scan_implILNS1_25lookback_scan_determinismE0ELb1ELb1ES3_N6thrust23THRUST_200600_302600_NS6detail15normal_iteratorINS9_10device_ptrIfEEEENS9_16discard_iteratorINS9_11use_defaultEEEf11max_functorIfEfEEDaPvRmT3_T4_T5_mT6_P12ihipStream_tbENKUlT_T0_E_clISt17integral_constantIbLb0EESW_IbLb1EEEEDaSS_ST_EUlSS_E_NS1_11comp_targetILNS1_3genE0ELNS1_11target_archE4294967295ELNS1_3gpuE0ELNS1_3repE0EEENS1_30default_config_static_selectorELNS0_4arch9wavefront6targetE1EEEvT1_.kd
    .uniform_work_group_size: 1
    .uses_dynamic_stack: false
    .vgpr_count:     0
    .vgpr_spill_count: 0
    .wavefront_size: 64
  - .agpr_count:     0
    .args:
      - .offset:         0
        .size:           104
        .value_kind:     by_value
    .group_segment_fixed_size: 0
    .kernarg_segment_align: 8
    .kernarg_segment_size: 104
    .language:       OpenCL C
    .language_version:
      - 2
      - 0
    .max_flat_workgroup_size: 256
    .name:           _ZN7rocprim17ROCPRIM_400000_NS6detail17trampoline_kernelINS0_14default_configENS1_20scan_config_selectorIfEEZZNS1_9scan_implILNS1_25lookback_scan_determinismE0ELb1ELb1ES3_N6thrust23THRUST_200600_302600_NS6detail15normal_iteratorINS9_10device_ptrIfEEEENS9_16discard_iteratorINS9_11use_defaultEEEf11max_functorIfEfEEDaPvRmT3_T4_T5_mT6_P12ihipStream_tbENKUlT_T0_E_clISt17integral_constantIbLb0EESW_IbLb1EEEEDaSS_ST_EUlSS_E_NS1_11comp_targetILNS1_3genE5ELNS1_11target_archE942ELNS1_3gpuE9ELNS1_3repE0EEENS1_30default_config_static_selectorELNS0_4arch9wavefront6targetE1EEEvT1_
    .private_segment_fixed_size: 0
    .sgpr_count:     4
    .sgpr_spill_count: 0
    .symbol:         _ZN7rocprim17ROCPRIM_400000_NS6detail17trampoline_kernelINS0_14default_configENS1_20scan_config_selectorIfEEZZNS1_9scan_implILNS1_25lookback_scan_determinismE0ELb1ELb1ES3_N6thrust23THRUST_200600_302600_NS6detail15normal_iteratorINS9_10device_ptrIfEEEENS9_16discard_iteratorINS9_11use_defaultEEEf11max_functorIfEfEEDaPvRmT3_T4_T5_mT6_P12ihipStream_tbENKUlT_T0_E_clISt17integral_constantIbLb0EESW_IbLb1EEEEDaSS_ST_EUlSS_E_NS1_11comp_targetILNS1_3genE5ELNS1_11target_archE942ELNS1_3gpuE9ELNS1_3repE0EEENS1_30default_config_static_selectorELNS0_4arch9wavefront6targetE1EEEvT1_.kd
    .uniform_work_group_size: 1
    .uses_dynamic_stack: false
    .vgpr_count:     0
    .vgpr_spill_count: 0
    .wavefront_size: 64
  - .agpr_count:     0
    .args:
      - .offset:         0
        .size:           104
        .value_kind:     by_value
    .group_segment_fixed_size: 7168
    .kernarg_segment_align: 8
    .kernarg_segment_size: 104
    .language:       OpenCL C
    .language_version:
      - 2
      - 0
    .max_flat_workgroup_size: 128
    .name:           _ZN7rocprim17ROCPRIM_400000_NS6detail17trampoline_kernelINS0_14default_configENS1_20scan_config_selectorIfEEZZNS1_9scan_implILNS1_25lookback_scan_determinismE0ELb1ELb1ES3_N6thrust23THRUST_200600_302600_NS6detail15normal_iteratorINS9_10device_ptrIfEEEENS9_16discard_iteratorINS9_11use_defaultEEEf11max_functorIfEfEEDaPvRmT3_T4_T5_mT6_P12ihipStream_tbENKUlT_T0_E_clISt17integral_constantIbLb0EESW_IbLb1EEEEDaSS_ST_EUlSS_E_NS1_11comp_targetILNS1_3genE4ELNS1_11target_archE910ELNS1_3gpuE8ELNS1_3repE0EEENS1_30default_config_static_selectorELNS0_4arch9wavefront6targetE1EEEvT1_
    .private_segment_fixed_size: 0
    .sgpr_count:     36
    .sgpr_spill_count: 0
    .symbol:         _ZN7rocprim17ROCPRIM_400000_NS6detail17trampoline_kernelINS0_14default_configENS1_20scan_config_selectorIfEEZZNS1_9scan_implILNS1_25lookback_scan_determinismE0ELb1ELb1ES3_N6thrust23THRUST_200600_302600_NS6detail15normal_iteratorINS9_10device_ptrIfEEEENS9_16discard_iteratorINS9_11use_defaultEEEf11max_functorIfEfEEDaPvRmT3_T4_T5_mT6_P12ihipStream_tbENKUlT_T0_E_clISt17integral_constantIbLb0EESW_IbLb1EEEEDaSS_ST_EUlSS_E_NS1_11comp_targetILNS1_3genE4ELNS1_11target_archE910ELNS1_3gpuE8ELNS1_3repE0EEENS1_30default_config_static_selectorELNS0_4arch9wavefront6targetE1EEEvT1_.kd
    .uniform_work_group_size: 1
    .uses_dynamic_stack: false
    .vgpr_count:     43
    .vgpr_spill_count: 0
    .wavefront_size: 64
  - .agpr_count:     0
    .args:
      - .offset:         0
        .size:           104
        .value_kind:     by_value
    .group_segment_fixed_size: 0
    .kernarg_segment_align: 8
    .kernarg_segment_size: 104
    .language:       OpenCL C
    .language_version:
      - 2
      - 0
    .max_flat_workgroup_size: 256
    .name:           _ZN7rocprim17ROCPRIM_400000_NS6detail17trampoline_kernelINS0_14default_configENS1_20scan_config_selectorIfEEZZNS1_9scan_implILNS1_25lookback_scan_determinismE0ELb1ELb1ES3_N6thrust23THRUST_200600_302600_NS6detail15normal_iteratorINS9_10device_ptrIfEEEENS9_16discard_iteratorINS9_11use_defaultEEEf11max_functorIfEfEEDaPvRmT3_T4_T5_mT6_P12ihipStream_tbENKUlT_T0_E_clISt17integral_constantIbLb0EESW_IbLb1EEEEDaSS_ST_EUlSS_E_NS1_11comp_targetILNS1_3genE3ELNS1_11target_archE908ELNS1_3gpuE7ELNS1_3repE0EEENS1_30default_config_static_selectorELNS0_4arch9wavefront6targetE1EEEvT1_
    .private_segment_fixed_size: 0
    .sgpr_count:     4
    .sgpr_spill_count: 0
    .symbol:         _ZN7rocprim17ROCPRIM_400000_NS6detail17trampoline_kernelINS0_14default_configENS1_20scan_config_selectorIfEEZZNS1_9scan_implILNS1_25lookback_scan_determinismE0ELb1ELb1ES3_N6thrust23THRUST_200600_302600_NS6detail15normal_iteratorINS9_10device_ptrIfEEEENS9_16discard_iteratorINS9_11use_defaultEEEf11max_functorIfEfEEDaPvRmT3_T4_T5_mT6_P12ihipStream_tbENKUlT_T0_E_clISt17integral_constantIbLb0EESW_IbLb1EEEEDaSS_ST_EUlSS_E_NS1_11comp_targetILNS1_3genE3ELNS1_11target_archE908ELNS1_3gpuE7ELNS1_3repE0EEENS1_30default_config_static_selectorELNS0_4arch9wavefront6targetE1EEEvT1_.kd
    .uniform_work_group_size: 1
    .uses_dynamic_stack: false
    .vgpr_count:     0
    .vgpr_spill_count: 0
    .wavefront_size: 64
  - .agpr_count:     0
    .args:
      - .offset:         0
        .size:           104
        .value_kind:     by_value
    .group_segment_fixed_size: 0
    .kernarg_segment_align: 8
    .kernarg_segment_size: 104
    .language:       OpenCL C
    .language_version:
      - 2
      - 0
    .max_flat_workgroup_size: 256
    .name:           _ZN7rocprim17ROCPRIM_400000_NS6detail17trampoline_kernelINS0_14default_configENS1_20scan_config_selectorIfEEZZNS1_9scan_implILNS1_25lookback_scan_determinismE0ELb1ELb1ES3_N6thrust23THRUST_200600_302600_NS6detail15normal_iteratorINS9_10device_ptrIfEEEENS9_16discard_iteratorINS9_11use_defaultEEEf11max_functorIfEfEEDaPvRmT3_T4_T5_mT6_P12ihipStream_tbENKUlT_T0_E_clISt17integral_constantIbLb0EESW_IbLb1EEEEDaSS_ST_EUlSS_E_NS1_11comp_targetILNS1_3genE2ELNS1_11target_archE906ELNS1_3gpuE6ELNS1_3repE0EEENS1_30default_config_static_selectorELNS0_4arch9wavefront6targetE1EEEvT1_
    .private_segment_fixed_size: 0
    .sgpr_count:     4
    .sgpr_spill_count: 0
    .symbol:         _ZN7rocprim17ROCPRIM_400000_NS6detail17trampoline_kernelINS0_14default_configENS1_20scan_config_selectorIfEEZZNS1_9scan_implILNS1_25lookback_scan_determinismE0ELb1ELb1ES3_N6thrust23THRUST_200600_302600_NS6detail15normal_iteratorINS9_10device_ptrIfEEEENS9_16discard_iteratorINS9_11use_defaultEEEf11max_functorIfEfEEDaPvRmT3_T4_T5_mT6_P12ihipStream_tbENKUlT_T0_E_clISt17integral_constantIbLb0EESW_IbLb1EEEEDaSS_ST_EUlSS_E_NS1_11comp_targetILNS1_3genE2ELNS1_11target_archE906ELNS1_3gpuE6ELNS1_3repE0EEENS1_30default_config_static_selectorELNS0_4arch9wavefront6targetE1EEEvT1_.kd
    .uniform_work_group_size: 1
    .uses_dynamic_stack: false
    .vgpr_count:     0
    .vgpr_spill_count: 0
    .wavefront_size: 64
  - .agpr_count:     0
    .args:
      - .offset:         0
        .size:           104
        .value_kind:     by_value
    .group_segment_fixed_size: 0
    .kernarg_segment_align: 8
    .kernarg_segment_size: 104
    .language:       OpenCL C
    .language_version:
      - 2
      - 0
    .max_flat_workgroup_size: 256
    .name:           _ZN7rocprim17ROCPRIM_400000_NS6detail17trampoline_kernelINS0_14default_configENS1_20scan_config_selectorIfEEZZNS1_9scan_implILNS1_25lookback_scan_determinismE0ELb1ELb1ES3_N6thrust23THRUST_200600_302600_NS6detail15normal_iteratorINS9_10device_ptrIfEEEENS9_16discard_iteratorINS9_11use_defaultEEEf11max_functorIfEfEEDaPvRmT3_T4_T5_mT6_P12ihipStream_tbENKUlT_T0_E_clISt17integral_constantIbLb0EESW_IbLb1EEEEDaSS_ST_EUlSS_E_NS1_11comp_targetILNS1_3genE10ELNS1_11target_archE1201ELNS1_3gpuE5ELNS1_3repE0EEENS1_30default_config_static_selectorELNS0_4arch9wavefront6targetE1EEEvT1_
    .private_segment_fixed_size: 0
    .sgpr_count:     4
    .sgpr_spill_count: 0
    .symbol:         _ZN7rocprim17ROCPRIM_400000_NS6detail17trampoline_kernelINS0_14default_configENS1_20scan_config_selectorIfEEZZNS1_9scan_implILNS1_25lookback_scan_determinismE0ELb1ELb1ES3_N6thrust23THRUST_200600_302600_NS6detail15normal_iteratorINS9_10device_ptrIfEEEENS9_16discard_iteratorINS9_11use_defaultEEEf11max_functorIfEfEEDaPvRmT3_T4_T5_mT6_P12ihipStream_tbENKUlT_T0_E_clISt17integral_constantIbLb0EESW_IbLb1EEEEDaSS_ST_EUlSS_E_NS1_11comp_targetILNS1_3genE10ELNS1_11target_archE1201ELNS1_3gpuE5ELNS1_3repE0EEENS1_30default_config_static_selectorELNS0_4arch9wavefront6targetE1EEEvT1_.kd
    .uniform_work_group_size: 1
    .uses_dynamic_stack: false
    .vgpr_count:     0
    .vgpr_spill_count: 0
    .wavefront_size: 64
  - .agpr_count:     0
    .args:
      - .offset:         0
        .size:           104
        .value_kind:     by_value
    .group_segment_fixed_size: 0
    .kernarg_segment_align: 8
    .kernarg_segment_size: 104
    .language:       OpenCL C
    .language_version:
      - 2
      - 0
    .max_flat_workgroup_size: 256
    .name:           _ZN7rocprim17ROCPRIM_400000_NS6detail17trampoline_kernelINS0_14default_configENS1_20scan_config_selectorIfEEZZNS1_9scan_implILNS1_25lookback_scan_determinismE0ELb1ELb1ES3_N6thrust23THRUST_200600_302600_NS6detail15normal_iteratorINS9_10device_ptrIfEEEENS9_16discard_iteratorINS9_11use_defaultEEEf11max_functorIfEfEEDaPvRmT3_T4_T5_mT6_P12ihipStream_tbENKUlT_T0_E_clISt17integral_constantIbLb0EESW_IbLb1EEEEDaSS_ST_EUlSS_E_NS1_11comp_targetILNS1_3genE10ELNS1_11target_archE1200ELNS1_3gpuE4ELNS1_3repE0EEENS1_30default_config_static_selectorELNS0_4arch9wavefront6targetE1EEEvT1_
    .private_segment_fixed_size: 0
    .sgpr_count:     4
    .sgpr_spill_count: 0
    .symbol:         _ZN7rocprim17ROCPRIM_400000_NS6detail17trampoline_kernelINS0_14default_configENS1_20scan_config_selectorIfEEZZNS1_9scan_implILNS1_25lookback_scan_determinismE0ELb1ELb1ES3_N6thrust23THRUST_200600_302600_NS6detail15normal_iteratorINS9_10device_ptrIfEEEENS9_16discard_iteratorINS9_11use_defaultEEEf11max_functorIfEfEEDaPvRmT3_T4_T5_mT6_P12ihipStream_tbENKUlT_T0_E_clISt17integral_constantIbLb0EESW_IbLb1EEEEDaSS_ST_EUlSS_E_NS1_11comp_targetILNS1_3genE10ELNS1_11target_archE1200ELNS1_3gpuE4ELNS1_3repE0EEENS1_30default_config_static_selectorELNS0_4arch9wavefront6targetE1EEEvT1_.kd
    .uniform_work_group_size: 1
    .uses_dynamic_stack: false
    .vgpr_count:     0
    .vgpr_spill_count: 0
    .wavefront_size: 64
  - .agpr_count:     0
    .args:
      - .offset:         0
        .size:           104
        .value_kind:     by_value
    .group_segment_fixed_size: 0
    .kernarg_segment_align: 8
    .kernarg_segment_size: 104
    .language:       OpenCL C
    .language_version:
      - 2
      - 0
    .max_flat_workgroup_size: 256
    .name:           _ZN7rocprim17ROCPRIM_400000_NS6detail17trampoline_kernelINS0_14default_configENS1_20scan_config_selectorIfEEZZNS1_9scan_implILNS1_25lookback_scan_determinismE0ELb1ELb1ES3_N6thrust23THRUST_200600_302600_NS6detail15normal_iteratorINS9_10device_ptrIfEEEENS9_16discard_iteratorINS9_11use_defaultEEEf11max_functorIfEfEEDaPvRmT3_T4_T5_mT6_P12ihipStream_tbENKUlT_T0_E_clISt17integral_constantIbLb0EESW_IbLb1EEEEDaSS_ST_EUlSS_E_NS1_11comp_targetILNS1_3genE9ELNS1_11target_archE1100ELNS1_3gpuE3ELNS1_3repE0EEENS1_30default_config_static_selectorELNS0_4arch9wavefront6targetE1EEEvT1_
    .private_segment_fixed_size: 0
    .sgpr_count:     4
    .sgpr_spill_count: 0
    .symbol:         _ZN7rocprim17ROCPRIM_400000_NS6detail17trampoline_kernelINS0_14default_configENS1_20scan_config_selectorIfEEZZNS1_9scan_implILNS1_25lookback_scan_determinismE0ELb1ELb1ES3_N6thrust23THRUST_200600_302600_NS6detail15normal_iteratorINS9_10device_ptrIfEEEENS9_16discard_iteratorINS9_11use_defaultEEEf11max_functorIfEfEEDaPvRmT3_T4_T5_mT6_P12ihipStream_tbENKUlT_T0_E_clISt17integral_constantIbLb0EESW_IbLb1EEEEDaSS_ST_EUlSS_E_NS1_11comp_targetILNS1_3genE9ELNS1_11target_archE1100ELNS1_3gpuE3ELNS1_3repE0EEENS1_30default_config_static_selectorELNS0_4arch9wavefront6targetE1EEEvT1_.kd
    .uniform_work_group_size: 1
    .uses_dynamic_stack: false
    .vgpr_count:     0
    .vgpr_spill_count: 0
    .wavefront_size: 64
  - .agpr_count:     0
    .args:
      - .offset:         0
        .size:           104
        .value_kind:     by_value
    .group_segment_fixed_size: 0
    .kernarg_segment_align: 8
    .kernarg_segment_size: 104
    .language:       OpenCL C
    .language_version:
      - 2
      - 0
    .max_flat_workgroup_size: 64
    .name:           _ZN7rocprim17ROCPRIM_400000_NS6detail17trampoline_kernelINS0_14default_configENS1_20scan_config_selectorIfEEZZNS1_9scan_implILNS1_25lookback_scan_determinismE0ELb1ELb1ES3_N6thrust23THRUST_200600_302600_NS6detail15normal_iteratorINS9_10device_ptrIfEEEENS9_16discard_iteratorINS9_11use_defaultEEEf11max_functorIfEfEEDaPvRmT3_T4_T5_mT6_P12ihipStream_tbENKUlT_T0_E_clISt17integral_constantIbLb0EESW_IbLb1EEEEDaSS_ST_EUlSS_E_NS1_11comp_targetILNS1_3genE8ELNS1_11target_archE1030ELNS1_3gpuE2ELNS1_3repE0EEENS1_30default_config_static_selectorELNS0_4arch9wavefront6targetE1EEEvT1_
    .private_segment_fixed_size: 0
    .sgpr_count:     4
    .sgpr_spill_count: 0
    .symbol:         _ZN7rocprim17ROCPRIM_400000_NS6detail17trampoline_kernelINS0_14default_configENS1_20scan_config_selectorIfEEZZNS1_9scan_implILNS1_25lookback_scan_determinismE0ELb1ELb1ES3_N6thrust23THRUST_200600_302600_NS6detail15normal_iteratorINS9_10device_ptrIfEEEENS9_16discard_iteratorINS9_11use_defaultEEEf11max_functorIfEfEEDaPvRmT3_T4_T5_mT6_P12ihipStream_tbENKUlT_T0_E_clISt17integral_constantIbLb0EESW_IbLb1EEEEDaSS_ST_EUlSS_E_NS1_11comp_targetILNS1_3genE8ELNS1_11target_archE1030ELNS1_3gpuE2ELNS1_3repE0EEENS1_30default_config_static_selectorELNS0_4arch9wavefront6targetE1EEEvT1_.kd
    .uniform_work_group_size: 1
    .uses_dynamic_stack: false
    .vgpr_count:     0
    .vgpr_spill_count: 0
    .wavefront_size: 64
  - .agpr_count:     0
    .args:
      - .offset:         0
        .size:           40
        .value_kind:     by_value
    .group_segment_fixed_size: 0
    .kernarg_segment_align: 8
    .kernarg_segment_size: 40
    .language:       OpenCL C
    .language_version:
      - 2
      - 0
    .max_flat_workgroup_size: 256
    .name:           _ZN7rocprim17ROCPRIM_400000_NS6detail17trampoline_kernelINS0_14default_configENS1_20scan_config_selectorIfEEZZNS1_9scan_implILNS1_25lookback_scan_determinismE0ELb1ELb1ES3_N6thrust23THRUST_200600_302600_NS6detail15normal_iteratorINS9_10device_ptrIfEEEENS9_16discard_iteratorINS9_11use_defaultEEEf11max_functorIfEfEEDaPvRmT3_T4_T5_mT6_P12ihipStream_tbENKUlT_T0_E_clISt17integral_constantIbLb0EESW_IbLb1EEEEDaSS_ST_EUlSS_E0_NS1_11comp_targetILNS1_3genE0ELNS1_11target_archE4294967295ELNS1_3gpuE0ELNS1_3repE0EEENS1_30default_config_static_selectorELNS0_4arch9wavefront6targetE1EEEvT1_
    .private_segment_fixed_size: 0
    .sgpr_count:     4
    .sgpr_spill_count: 0
    .symbol:         _ZN7rocprim17ROCPRIM_400000_NS6detail17trampoline_kernelINS0_14default_configENS1_20scan_config_selectorIfEEZZNS1_9scan_implILNS1_25lookback_scan_determinismE0ELb1ELb1ES3_N6thrust23THRUST_200600_302600_NS6detail15normal_iteratorINS9_10device_ptrIfEEEENS9_16discard_iteratorINS9_11use_defaultEEEf11max_functorIfEfEEDaPvRmT3_T4_T5_mT6_P12ihipStream_tbENKUlT_T0_E_clISt17integral_constantIbLb0EESW_IbLb1EEEEDaSS_ST_EUlSS_E0_NS1_11comp_targetILNS1_3genE0ELNS1_11target_archE4294967295ELNS1_3gpuE0ELNS1_3repE0EEENS1_30default_config_static_selectorELNS0_4arch9wavefront6targetE1EEEvT1_.kd
    .uniform_work_group_size: 1
    .uses_dynamic_stack: false
    .vgpr_count:     0
    .vgpr_spill_count: 0
    .wavefront_size: 64
  - .agpr_count:     0
    .args:
      - .offset:         0
        .size:           40
        .value_kind:     by_value
    .group_segment_fixed_size: 0
    .kernarg_segment_align: 8
    .kernarg_segment_size: 40
    .language:       OpenCL C
    .language_version:
      - 2
      - 0
    .max_flat_workgroup_size: 256
    .name:           _ZN7rocprim17ROCPRIM_400000_NS6detail17trampoline_kernelINS0_14default_configENS1_20scan_config_selectorIfEEZZNS1_9scan_implILNS1_25lookback_scan_determinismE0ELb1ELb1ES3_N6thrust23THRUST_200600_302600_NS6detail15normal_iteratorINS9_10device_ptrIfEEEENS9_16discard_iteratorINS9_11use_defaultEEEf11max_functorIfEfEEDaPvRmT3_T4_T5_mT6_P12ihipStream_tbENKUlT_T0_E_clISt17integral_constantIbLb0EESW_IbLb1EEEEDaSS_ST_EUlSS_E0_NS1_11comp_targetILNS1_3genE5ELNS1_11target_archE942ELNS1_3gpuE9ELNS1_3repE0EEENS1_30default_config_static_selectorELNS0_4arch9wavefront6targetE1EEEvT1_
    .private_segment_fixed_size: 0
    .sgpr_count:     4
    .sgpr_spill_count: 0
    .symbol:         _ZN7rocprim17ROCPRIM_400000_NS6detail17trampoline_kernelINS0_14default_configENS1_20scan_config_selectorIfEEZZNS1_9scan_implILNS1_25lookback_scan_determinismE0ELb1ELb1ES3_N6thrust23THRUST_200600_302600_NS6detail15normal_iteratorINS9_10device_ptrIfEEEENS9_16discard_iteratorINS9_11use_defaultEEEf11max_functorIfEfEEDaPvRmT3_T4_T5_mT6_P12ihipStream_tbENKUlT_T0_E_clISt17integral_constantIbLb0EESW_IbLb1EEEEDaSS_ST_EUlSS_E0_NS1_11comp_targetILNS1_3genE5ELNS1_11target_archE942ELNS1_3gpuE9ELNS1_3repE0EEENS1_30default_config_static_selectorELNS0_4arch9wavefront6targetE1EEEvT1_.kd
    .uniform_work_group_size: 1
    .uses_dynamic_stack: false
    .vgpr_count:     0
    .vgpr_spill_count: 0
    .wavefront_size: 64
  - .agpr_count:     0
    .args:
      - .offset:         0
        .size:           40
        .value_kind:     by_value
    .group_segment_fixed_size: 7168
    .kernarg_segment_align: 8
    .kernarg_segment_size: 40
    .language:       OpenCL C
    .language_version:
      - 2
      - 0
    .max_flat_workgroup_size: 128
    .name:           _ZN7rocprim17ROCPRIM_400000_NS6detail17trampoline_kernelINS0_14default_configENS1_20scan_config_selectorIfEEZZNS1_9scan_implILNS1_25lookback_scan_determinismE0ELb1ELb1ES3_N6thrust23THRUST_200600_302600_NS6detail15normal_iteratorINS9_10device_ptrIfEEEENS9_16discard_iteratorINS9_11use_defaultEEEf11max_functorIfEfEEDaPvRmT3_T4_T5_mT6_P12ihipStream_tbENKUlT_T0_E_clISt17integral_constantIbLb0EESW_IbLb1EEEEDaSS_ST_EUlSS_E0_NS1_11comp_targetILNS1_3genE4ELNS1_11target_archE910ELNS1_3gpuE8ELNS1_3repE0EEENS1_30default_config_static_selectorELNS0_4arch9wavefront6targetE1EEEvT1_
    .private_segment_fixed_size: 0
    .sgpr_count:     13
    .sgpr_spill_count: 0
    .symbol:         _ZN7rocprim17ROCPRIM_400000_NS6detail17trampoline_kernelINS0_14default_configENS1_20scan_config_selectorIfEEZZNS1_9scan_implILNS1_25lookback_scan_determinismE0ELb1ELb1ES3_N6thrust23THRUST_200600_302600_NS6detail15normal_iteratorINS9_10device_ptrIfEEEENS9_16discard_iteratorINS9_11use_defaultEEEf11max_functorIfEfEEDaPvRmT3_T4_T5_mT6_P12ihipStream_tbENKUlT_T0_E_clISt17integral_constantIbLb0EESW_IbLb1EEEEDaSS_ST_EUlSS_E0_NS1_11comp_targetILNS1_3genE4ELNS1_11target_archE910ELNS1_3gpuE8ELNS1_3repE0EEENS1_30default_config_static_selectorELNS0_4arch9wavefront6targetE1EEEvT1_.kd
    .uniform_work_group_size: 1
    .uses_dynamic_stack: false
    .vgpr_count:     23
    .vgpr_spill_count: 0
    .wavefront_size: 64
  - .agpr_count:     0
    .args:
      - .offset:         0
        .size:           40
        .value_kind:     by_value
    .group_segment_fixed_size: 0
    .kernarg_segment_align: 8
    .kernarg_segment_size: 40
    .language:       OpenCL C
    .language_version:
      - 2
      - 0
    .max_flat_workgroup_size: 256
    .name:           _ZN7rocprim17ROCPRIM_400000_NS6detail17trampoline_kernelINS0_14default_configENS1_20scan_config_selectorIfEEZZNS1_9scan_implILNS1_25lookback_scan_determinismE0ELb1ELb1ES3_N6thrust23THRUST_200600_302600_NS6detail15normal_iteratorINS9_10device_ptrIfEEEENS9_16discard_iteratorINS9_11use_defaultEEEf11max_functorIfEfEEDaPvRmT3_T4_T5_mT6_P12ihipStream_tbENKUlT_T0_E_clISt17integral_constantIbLb0EESW_IbLb1EEEEDaSS_ST_EUlSS_E0_NS1_11comp_targetILNS1_3genE3ELNS1_11target_archE908ELNS1_3gpuE7ELNS1_3repE0EEENS1_30default_config_static_selectorELNS0_4arch9wavefront6targetE1EEEvT1_
    .private_segment_fixed_size: 0
    .sgpr_count:     4
    .sgpr_spill_count: 0
    .symbol:         _ZN7rocprim17ROCPRIM_400000_NS6detail17trampoline_kernelINS0_14default_configENS1_20scan_config_selectorIfEEZZNS1_9scan_implILNS1_25lookback_scan_determinismE0ELb1ELb1ES3_N6thrust23THRUST_200600_302600_NS6detail15normal_iteratorINS9_10device_ptrIfEEEENS9_16discard_iteratorINS9_11use_defaultEEEf11max_functorIfEfEEDaPvRmT3_T4_T5_mT6_P12ihipStream_tbENKUlT_T0_E_clISt17integral_constantIbLb0EESW_IbLb1EEEEDaSS_ST_EUlSS_E0_NS1_11comp_targetILNS1_3genE3ELNS1_11target_archE908ELNS1_3gpuE7ELNS1_3repE0EEENS1_30default_config_static_selectorELNS0_4arch9wavefront6targetE1EEEvT1_.kd
    .uniform_work_group_size: 1
    .uses_dynamic_stack: false
    .vgpr_count:     0
    .vgpr_spill_count: 0
    .wavefront_size: 64
  - .agpr_count:     0
    .args:
      - .offset:         0
        .size:           40
        .value_kind:     by_value
    .group_segment_fixed_size: 0
    .kernarg_segment_align: 8
    .kernarg_segment_size: 40
    .language:       OpenCL C
    .language_version:
      - 2
      - 0
    .max_flat_workgroup_size: 256
    .name:           _ZN7rocprim17ROCPRIM_400000_NS6detail17trampoline_kernelINS0_14default_configENS1_20scan_config_selectorIfEEZZNS1_9scan_implILNS1_25lookback_scan_determinismE0ELb1ELb1ES3_N6thrust23THRUST_200600_302600_NS6detail15normal_iteratorINS9_10device_ptrIfEEEENS9_16discard_iteratorINS9_11use_defaultEEEf11max_functorIfEfEEDaPvRmT3_T4_T5_mT6_P12ihipStream_tbENKUlT_T0_E_clISt17integral_constantIbLb0EESW_IbLb1EEEEDaSS_ST_EUlSS_E0_NS1_11comp_targetILNS1_3genE2ELNS1_11target_archE906ELNS1_3gpuE6ELNS1_3repE0EEENS1_30default_config_static_selectorELNS0_4arch9wavefront6targetE1EEEvT1_
    .private_segment_fixed_size: 0
    .sgpr_count:     4
    .sgpr_spill_count: 0
    .symbol:         _ZN7rocprim17ROCPRIM_400000_NS6detail17trampoline_kernelINS0_14default_configENS1_20scan_config_selectorIfEEZZNS1_9scan_implILNS1_25lookback_scan_determinismE0ELb1ELb1ES3_N6thrust23THRUST_200600_302600_NS6detail15normal_iteratorINS9_10device_ptrIfEEEENS9_16discard_iteratorINS9_11use_defaultEEEf11max_functorIfEfEEDaPvRmT3_T4_T5_mT6_P12ihipStream_tbENKUlT_T0_E_clISt17integral_constantIbLb0EESW_IbLb1EEEEDaSS_ST_EUlSS_E0_NS1_11comp_targetILNS1_3genE2ELNS1_11target_archE906ELNS1_3gpuE6ELNS1_3repE0EEENS1_30default_config_static_selectorELNS0_4arch9wavefront6targetE1EEEvT1_.kd
    .uniform_work_group_size: 1
    .uses_dynamic_stack: false
    .vgpr_count:     0
    .vgpr_spill_count: 0
    .wavefront_size: 64
  - .agpr_count:     0
    .args:
      - .offset:         0
        .size:           40
        .value_kind:     by_value
    .group_segment_fixed_size: 0
    .kernarg_segment_align: 8
    .kernarg_segment_size: 40
    .language:       OpenCL C
    .language_version:
      - 2
      - 0
    .max_flat_workgroup_size: 256
    .name:           _ZN7rocprim17ROCPRIM_400000_NS6detail17trampoline_kernelINS0_14default_configENS1_20scan_config_selectorIfEEZZNS1_9scan_implILNS1_25lookback_scan_determinismE0ELb1ELb1ES3_N6thrust23THRUST_200600_302600_NS6detail15normal_iteratorINS9_10device_ptrIfEEEENS9_16discard_iteratorINS9_11use_defaultEEEf11max_functorIfEfEEDaPvRmT3_T4_T5_mT6_P12ihipStream_tbENKUlT_T0_E_clISt17integral_constantIbLb0EESW_IbLb1EEEEDaSS_ST_EUlSS_E0_NS1_11comp_targetILNS1_3genE10ELNS1_11target_archE1201ELNS1_3gpuE5ELNS1_3repE0EEENS1_30default_config_static_selectorELNS0_4arch9wavefront6targetE1EEEvT1_
    .private_segment_fixed_size: 0
    .sgpr_count:     4
    .sgpr_spill_count: 0
    .symbol:         _ZN7rocprim17ROCPRIM_400000_NS6detail17trampoline_kernelINS0_14default_configENS1_20scan_config_selectorIfEEZZNS1_9scan_implILNS1_25lookback_scan_determinismE0ELb1ELb1ES3_N6thrust23THRUST_200600_302600_NS6detail15normal_iteratorINS9_10device_ptrIfEEEENS9_16discard_iteratorINS9_11use_defaultEEEf11max_functorIfEfEEDaPvRmT3_T4_T5_mT6_P12ihipStream_tbENKUlT_T0_E_clISt17integral_constantIbLb0EESW_IbLb1EEEEDaSS_ST_EUlSS_E0_NS1_11comp_targetILNS1_3genE10ELNS1_11target_archE1201ELNS1_3gpuE5ELNS1_3repE0EEENS1_30default_config_static_selectorELNS0_4arch9wavefront6targetE1EEEvT1_.kd
    .uniform_work_group_size: 1
    .uses_dynamic_stack: false
    .vgpr_count:     0
    .vgpr_spill_count: 0
    .wavefront_size: 64
  - .agpr_count:     0
    .args:
      - .offset:         0
        .size:           40
        .value_kind:     by_value
    .group_segment_fixed_size: 0
    .kernarg_segment_align: 8
    .kernarg_segment_size: 40
    .language:       OpenCL C
    .language_version:
      - 2
      - 0
    .max_flat_workgroup_size: 256
    .name:           _ZN7rocprim17ROCPRIM_400000_NS6detail17trampoline_kernelINS0_14default_configENS1_20scan_config_selectorIfEEZZNS1_9scan_implILNS1_25lookback_scan_determinismE0ELb1ELb1ES3_N6thrust23THRUST_200600_302600_NS6detail15normal_iteratorINS9_10device_ptrIfEEEENS9_16discard_iteratorINS9_11use_defaultEEEf11max_functorIfEfEEDaPvRmT3_T4_T5_mT6_P12ihipStream_tbENKUlT_T0_E_clISt17integral_constantIbLb0EESW_IbLb1EEEEDaSS_ST_EUlSS_E0_NS1_11comp_targetILNS1_3genE10ELNS1_11target_archE1200ELNS1_3gpuE4ELNS1_3repE0EEENS1_30default_config_static_selectorELNS0_4arch9wavefront6targetE1EEEvT1_
    .private_segment_fixed_size: 0
    .sgpr_count:     4
    .sgpr_spill_count: 0
    .symbol:         _ZN7rocprim17ROCPRIM_400000_NS6detail17trampoline_kernelINS0_14default_configENS1_20scan_config_selectorIfEEZZNS1_9scan_implILNS1_25lookback_scan_determinismE0ELb1ELb1ES3_N6thrust23THRUST_200600_302600_NS6detail15normal_iteratorINS9_10device_ptrIfEEEENS9_16discard_iteratorINS9_11use_defaultEEEf11max_functorIfEfEEDaPvRmT3_T4_T5_mT6_P12ihipStream_tbENKUlT_T0_E_clISt17integral_constantIbLb0EESW_IbLb1EEEEDaSS_ST_EUlSS_E0_NS1_11comp_targetILNS1_3genE10ELNS1_11target_archE1200ELNS1_3gpuE4ELNS1_3repE0EEENS1_30default_config_static_selectorELNS0_4arch9wavefront6targetE1EEEvT1_.kd
    .uniform_work_group_size: 1
    .uses_dynamic_stack: false
    .vgpr_count:     0
    .vgpr_spill_count: 0
    .wavefront_size: 64
  - .agpr_count:     0
    .args:
      - .offset:         0
        .size:           40
        .value_kind:     by_value
    .group_segment_fixed_size: 0
    .kernarg_segment_align: 8
    .kernarg_segment_size: 40
    .language:       OpenCL C
    .language_version:
      - 2
      - 0
    .max_flat_workgroup_size: 256
    .name:           _ZN7rocprim17ROCPRIM_400000_NS6detail17trampoline_kernelINS0_14default_configENS1_20scan_config_selectorIfEEZZNS1_9scan_implILNS1_25lookback_scan_determinismE0ELb1ELb1ES3_N6thrust23THRUST_200600_302600_NS6detail15normal_iteratorINS9_10device_ptrIfEEEENS9_16discard_iteratorINS9_11use_defaultEEEf11max_functorIfEfEEDaPvRmT3_T4_T5_mT6_P12ihipStream_tbENKUlT_T0_E_clISt17integral_constantIbLb0EESW_IbLb1EEEEDaSS_ST_EUlSS_E0_NS1_11comp_targetILNS1_3genE9ELNS1_11target_archE1100ELNS1_3gpuE3ELNS1_3repE0EEENS1_30default_config_static_selectorELNS0_4arch9wavefront6targetE1EEEvT1_
    .private_segment_fixed_size: 0
    .sgpr_count:     4
    .sgpr_spill_count: 0
    .symbol:         _ZN7rocprim17ROCPRIM_400000_NS6detail17trampoline_kernelINS0_14default_configENS1_20scan_config_selectorIfEEZZNS1_9scan_implILNS1_25lookback_scan_determinismE0ELb1ELb1ES3_N6thrust23THRUST_200600_302600_NS6detail15normal_iteratorINS9_10device_ptrIfEEEENS9_16discard_iteratorINS9_11use_defaultEEEf11max_functorIfEfEEDaPvRmT3_T4_T5_mT6_P12ihipStream_tbENKUlT_T0_E_clISt17integral_constantIbLb0EESW_IbLb1EEEEDaSS_ST_EUlSS_E0_NS1_11comp_targetILNS1_3genE9ELNS1_11target_archE1100ELNS1_3gpuE3ELNS1_3repE0EEENS1_30default_config_static_selectorELNS0_4arch9wavefront6targetE1EEEvT1_.kd
    .uniform_work_group_size: 1
    .uses_dynamic_stack: false
    .vgpr_count:     0
    .vgpr_spill_count: 0
    .wavefront_size: 64
  - .agpr_count:     0
    .args:
      - .offset:         0
        .size:           40
        .value_kind:     by_value
    .group_segment_fixed_size: 0
    .kernarg_segment_align: 8
    .kernarg_segment_size: 40
    .language:       OpenCL C
    .language_version:
      - 2
      - 0
    .max_flat_workgroup_size: 64
    .name:           _ZN7rocprim17ROCPRIM_400000_NS6detail17trampoline_kernelINS0_14default_configENS1_20scan_config_selectorIfEEZZNS1_9scan_implILNS1_25lookback_scan_determinismE0ELb1ELb1ES3_N6thrust23THRUST_200600_302600_NS6detail15normal_iteratorINS9_10device_ptrIfEEEENS9_16discard_iteratorINS9_11use_defaultEEEf11max_functorIfEfEEDaPvRmT3_T4_T5_mT6_P12ihipStream_tbENKUlT_T0_E_clISt17integral_constantIbLb0EESW_IbLb1EEEEDaSS_ST_EUlSS_E0_NS1_11comp_targetILNS1_3genE8ELNS1_11target_archE1030ELNS1_3gpuE2ELNS1_3repE0EEENS1_30default_config_static_selectorELNS0_4arch9wavefront6targetE1EEEvT1_
    .private_segment_fixed_size: 0
    .sgpr_count:     4
    .sgpr_spill_count: 0
    .symbol:         _ZN7rocprim17ROCPRIM_400000_NS6detail17trampoline_kernelINS0_14default_configENS1_20scan_config_selectorIfEEZZNS1_9scan_implILNS1_25lookback_scan_determinismE0ELb1ELb1ES3_N6thrust23THRUST_200600_302600_NS6detail15normal_iteratorINS9_10device_ptrIfEEEENS9_16discard_iteratorINS9_11use_defaultEEEf11max_functorIfEfEEDaPvRmT3_T4_T5_mT6_P12ihipStream_tbENKUlT_T0_E_clISt17integral_constantIbLb0EESW_IbLb1EEEEDaSS_ST_EUlSS_E0_NS1_11comp_targetILNS1_3genE8ELNS1_11target_archE1030ELNS1_3gpuE2ELNS1_3repE0EEENS1_30default_config_static_selectorELNS0_4arch9wavefront6targetE1EEEvT1_.kd
    .uniform_work_group_size: 1
    .uses_dynamic_stack: false
    .vgpr_count:     0
    .vgpr_spill_count: 0
    .wavefront_size: 64
  - .agpr_count:     0
    .args:
      - .offset:         0
        .size:           112
        .value_kind:     by_value
    .group_segment_fixed_size: 0
    .kernarg_segment_align: 8
    .kernarg_segment_size: 112
    .language:       OpenCL C
    .language_version:
      - 2
      - 0
    .max_flat_workgroup_size: 256
    .name:           _ZN7rocprim17ROCPRIM_400000_NS6detail17trampoline_kernelINS0_14default_configENS1_20scan_config_selectorIyEEZZNS1_9scan_implILNS1_25lookback_scan_determinismE0ELb0ELb0ES3_N6thrust23THRUST_200600_302600_NS6detail15normal_iteratorINS9_10device_ptrIyEEEENS9_16discard_iteratorINS9_11use_defaultEEEy11max_functorIyEyEEDaPvRmT3_T4_T5_mT6_P12ihipStream_tbENKUlT_T0_E_clISt17integral_constantIbLb0EESX_EEDaSS_ST_EUlSS_E_NS1_11comp_targetILNS1_3genE0ELNS1_11target_archE4294967295ELNS1_3gpuE0ELNS1_3repE0EEENS1_30default_config_static_selectorELNS0_4arch9wavefront6targetE1EEEvT1_
    .private_segment_fixed_size: 0
    .sgpr_count:     4
    .sgpr_spill_count: 0
    .symbol:         _ZN7rocprim17ROCPRIM_400000_NS6detail17trampoline_kernelINS0_14default_configENS1_20scan_config_selectorIyEEZZNS1_9scan_implILNS1_25lookback_scan_determinismE0ELb0ELb0ES3_N6thrust23THRUST_200600_302600_NS6detail15normal_iteratorINS9_10device_ptrIyEEEENS9_16discard_iteratorINS9_11use_defaultEEEy11max_functorIyEyEEDaPvRmT3_T4_T5_mT6_P12ihipStream_tbENKUlT_T0_E_clISt17integral_constantIbLb0EESX_EEDaSS_ST_EUlSS_E_NS1_11comp_targetILNS1_3genE0ELNS1_11target_archE4294967295ELNS1_3gpuE0ELNS1_3repE0EEENS1_30default_config_static_selectorELNS0_4arch9wavefront6targetE1EEEvT1_.kd
    .uniform_work_group_size: 1
    .uses_dynamic_stack: false
    .vgpr_count:     0
    .vgpr_spill_count: 0
    .wavefront_size: 64
  - .agpr_count:     0
    .args:
      - .offset:         0
        .size:           112
        .value_kind:     by_value
    .group_segment_fixed_size: 0
    .kernarg_segment_align: 8
    .kernarg_segment_size: 112
    .language:       OpenCL C
    .language_version:
      - 2
      - 0
    .max_flat_workgroup_size: 256
    .name:           _ZN7rocprim17ROCPRIM_400000_NS6detail17trampoline_kernelINS0_14default_configENS1_20scan_config_selectorIyEEZZNS1_9scan_implILNS1_25lookback_scan_determinismE0ELb0ELb0ES3_N6thrust23THRUST_200600_302600_NS6detail15normal_iteratorINS9_10device_ptrIyEEEENS9_16discard_iteratorINS9_11use_defaultEEEy11max_functorIyEyEEDaPvRmT3_T4_T5_mT6_P12ihipStream_tbENKUlT_T0_E_clISt17integral_constantIbLb0EESX_EEDaSS_ST_EUlSS_E_NS1_11comp_targetILNS1_3genE5ELNS1_11target_archE942ELNS1_3gpuE9ELNS1_3repE0EEENS1_30default_config_static_selectorELNS0_4arch9wavefront6targetE1EEEvT1_
    .private_segment_fixed_size: 0
    .sgpr_count:     4
    .sgpr_spill_count: 0
    .symbol:         _ZN7rocprim17ROCPRIM_400000_NS6detail17trampoline_kernelINS0_14default_configENS1_20scan_config_selectorIyEEZZNS1_9scan_implILNS1_25lookback_scan_determinismE0ELb0ELb0ES3_N6thrust23THRUST_200600_302600_NS6detail15normal_iteratorINS9_10device_ptrIyEEEENS9_16discard_iteratorINS9_11use_defaultEEEy11max_functorIyEyEEDaPvRmT3_T4_T5_mT6_P12ihipStream_tbENKUlT_T0_E_clISt17integral_constantIbLb0EESX_EEDaSS_ST_EUlSS_E_NS1_11comp_targetILNS1_3genE5ELNS1_11target_archE942ELNS1_3gpuE9ELNS1_3repE0EEENS1_30default_config_static_selectorELNS0_4arch9wavefront6targetE1EEEvT1_.kd
    .uniform_work_group_size: 1
    .uses_dynamic_stack: false
    .vgpr_count:     0
    .vgpr_spill_count: 0
    .wavefront_size: 64
  - .agpr_count:     0
    .args:
      - .offset:         0
        .size:           112
        .value_kind:     by_value
    .group_segment_fixed_size: 7168
    .kernarg_segment_align: 8
    .kernarg_segment_size: 112
    .language:       OpenCL C
    .language_version:
      - 2
      - 0
    .max_flat_workgroup_size: 128
    .name:           _ZN7rocprim17ROCPRIM_400000_NS6detail17trampoline_kernelINS0_14default_configENS1_20scan_config_selectorIyEEZZNS1_9scan_implILNS1_25lookback_scan_determinismE0ELb0ELb0ES3_N6thrust23THRUST_200600_302600_NS6detail15normal_iteratorINS9_10device_ptrIyEEEENS9_16discard_iteratorINS9_11use_defaultEEEy11max_functorIyEyEEDaPvRmT3_T4_T5_mT6_P12ihipStream_tbENKUlT_T0_E_clISt17integral_constantIbLb0EESX_EEDaSS_ST_EUlSS_E_NS1_11comp_targetILNS1_3genE4ELNS1_11target_archE910ELNS1_3gpuE8ELNS1_3repE0EEENS1_30default_config_static_selectorELNS0_4arch9wavefront6targetE1EEEvT1_
    .private_segment_fixed_size: 0
    .sgpr_count:     28
    .sgpr_spill_count: 0
    .symbol:         _ZN7rocprim17ROCPRIM_400000_NS6detail17trampoline_kernelINS0_14default_configENS1_20scan_config_selectorIyEEZZNS1_9scan_implILNS1_25lookback_scan_determinismE0ELb0ELb0ES3_N6thrust23THRUST_200600_302600_NS6detail15normal_iteratorINS9_10device_ptrIyEEEENS9_16discard_iteratorINS9_11use_defaultEEEy11max_functorIyEyEEDaPvRmT3_T4_T5_mT6_P12ihipStream_tbENKUlT_T0_E_clISt17integral_constantIbLb0EESX_EEDaSS_ST_EUlSS_E_NS1_11comp_targetILNS1_3genE4ELNS1_11target_archE910ELNS1_3gpuE8ELNS1_3repE0EEENS1_30default_config_static_selectorELNS0_4arch9wavefront6targetE1EEEvT1_.kd
    .uniform_work_group_size: 1
    .uses_dynamic_stack: false
    .vgpr_count:     57
    .vgpr_spill_count: 0
    .wavefront_size: 64
  - .agpr_count:     0
    .args:
      - .offset:         0
        .size:           112
        .value_kind:     by_value
    .group_segment_fixed_size: 0
    .kernarg_segment_align: 8
    .kernarg_segment_size: 112
    .language:       OpenCL C
    .language_version:
      - 2
      - 0
    .max_flat_workgroup_size: 256
    .name:           _ZN7rocprim17ROCPRIM_400000_NS6detail17trampoline_kernelINS0_14default_configENS1_20scan_config_selectorIyEEZZNS1_9scan_implILNS1_25lookback_scan_determinismE0ELb0ELb0ES3_N6thrust23THRUST_200600_302600_NS6detail15normal_iteratorINS9_10device_ptrIyEEEENS9_16discard_iteratorINS9_11use_defaultEEEy11max_functorIyEyEEDaPvRmT3_T4_T5_mT6_P12ihipStream_tbENKUlT_T0_E_clISt17integral_constantIbLb0EESX_EEDaSS_ST_EUlSS_E_NS1_11comp_targetILNS1_3genE3ELNS1_11target_archE908ELNS1_3gpuE7ELNS1_3repE0EEENS1_30default_config_static_selectorELNS0_4arch9wavefront6targetE1EEEvT1_
    .private_segment_fixed_size: 0
    .sgpr_count:     4
    .sgpr_spill_count: 0
    .symbol:         _ZN7rocprim17ROCPRIM_400000_NS6detail17trampoline_kernelINS0_14default_configENS1_20scan_config_selectorIyEEZZNS1_9scan_implILNS1_25lookback_scan_determinismE0ELb0ELb0ES3_N6thrust23THRUST_200600_302600_NS6detail15normal_iteratorINS9_10device_ptrIyEEEENS9_16discard_iteratorINS9_11use_defaultEEEy11max_functorIyEyEEDaPvRmT3_T4_T5_mT6_P12ihipStream_tbENKUlT_T0_E_clISt17integral_constantIbLb0EESX_EEDaSS_ST_EUlSS_E_NS1_11comp_targetILNS1_3genE3ELNS1_11target_archE908ELNS1_3gpuE7ELNS1_3repE0EEENS1_30default_config_static_selectorELNS0_4arch9wavefront6targetE1EEEvT1_.kd
    .uniform_work_group_size: 1
    .uses_dynamic_stack: false
    .vgpr_count:     0
    .vgpr_spill_count: 0
    .wavefront_size: 64
  - .agpr_count:     0
    .args:
      - .offset:         0
        .size:           112
        .value_kind:     by_value
    .group_segment_fixed_size: 0
    .kernarg_segment_align: 8
    .kernarg_segment_size: 112
    .language:       OpenCL C
    .language_version:
      - 2
      - 0
    .max_flat_workgroup_size: 64
    .name:           _ZN7rocprim17ROCPRIM_400000_NS6detail17trampoline_kernelINS0_14default_configENS1_20scan_config_selectorIyEEZZNS1_9scan_implILNS1_25lookback_scan_determinismE0ELb0ELb0ES3_N6thrust23THRUST_200600_302600_NS6detail15normal_iteratorINS9_10device_ptrIyEEEENS9_16discard_iteratorINS9_11use_defaultEEEy11max_functorIyEyEEDaPvRmT3_T4_T5_mT6_P12ihipStream_tbENKUlT_T0_E_clISt17integral_constantIbLb0EESX_EEDaSS_ST_EUlSS_E_NS1_11comp_targetILNS1_3genE2ELNS1_11target_archE906ELNS1_3gpuE6ELNS1_3repE0EEENS1_30default_config_static_selectorELNS0_4arch9wavefront6targetE1EEEvT1_
    .private_segment_fixed_size: 0
    .sgpr_count:     4
    .sgpr_spill_count: 0
    .symbol:         _ZN7rocprim17ROCPRIM_400000_NS6detail17trampoline_kernelINS0_14default_configENS1_20scan_config_selectorIyEEZZNS1_9scan_implILNS1_25lookback_scan_determinismE0ELb0ELb0ES3_N6thrust23THRUST_200600_302600_NS6detail15normal_iteratorINS9_10device_ptrIyEEEENS9_16discard_iteratorINS9_11use_defaultEEEy11max_functorIyEyEEDaPvRmT3_T4_T5_mT6_P12ihipStream_tbENKUlT_T0_E_clISt17integral_constantIbLb0EESX_EEDaSS_ST_EUlSS_E_NS1_11comp_targetILNS1_3genE2ELNS1_11target_archE906ELNS1_3gpuE6ELNS1_3repE0EEENS1_30default_config_static_selectorELNS0_4arch9wavefront6targetE1EEEvT1_.kd
    .uniform_work_group_size: 1
    .uses_dynamic_stack: false
    .vgpr_count:     0
    .vgpr_spill_count: 0
    .wavefront_size: 64
  - .agpr_count:     0
    .args:
      - .offset:         0
        .size:           112
        .value_kind:     by_value
    .group_segment_fixed_size: 0
    .kernarg_segment_align: 8
    .kernarg_segment_size: 112
    .language:       OpenCL C
    .language_version:
      - 2
      - 0
    .max_flat_workgroup_size: 256
    .name:           _ZN7rocprim17ROCPRIM_400000_NS6detail17trampoline_kernelINS0_14default_configENS1_20scan_config_selectorIyEEZZNS1_9scan_implILNS1_25lookback_scan_determinismE0ELb0ELb0ES3_N6thrust23THRUST_200600_302600_NS6detail15normal_iteratorINS9_10device_ptrIyEEEENS9_16discard_iteratorINS9_11use_defaultEEEy11max_functorIyEyEEDaPvRmT3_T4_T5_mT6_P12ihipStream_tbENKUlT_T0_E_clISt17integral_constantIbLb0EESX_EEDaSS_ST_EUlSS_E_NS1_11comp_targetILNS1_3genE10ELNS1_11target_archE1201ELNS1_3gpuE5ELNS1_3repE0EEENS1_30default_config_static_selectorELNS0_4arch9wavefront6targetE1EEEvT1_
    .private_segment_fixed_size: 0
    .sgpr_count:     4
    .sgpr_spill_count: 0
    .symbol:         _ZN7rocprim17ROCPRIM_400000_NS6detail17trampoline_kernelINS0_14default_configENS1_20scan_config_selectorIyEEZZNS1_9scan_implILNS1_25lookback_scan_determinismE0ELb0ELb0ES3_N6thrust23THRUST_200600_302600_NS6detail15normal_iteratorINS9_10device_ptrIyEEEENS9_16discard_iteratorINS9_11use_defaultEEEy11max_functorIyEyEEDaPvRmT3_T4_T5_mT6_P12ihipStream_tbENKUlT_T0_E_clISt17integral_constantIbLb0EESX_EEDaSS_ST_EUlSS_E_NS1_11comp_targetILNS1_3genE10ELNS1_11target_archE1201ELNS1_3gpuE5ELNS1_3repE0EEENS1_30default_config_static_selectorELNS0_4arch9wavefront6targetE1EEEvT1_.kd
    .uniform_work_group_size: 1
    .uses_dynamic_stack: false
    .vgpr_count:     0
    .vgpr_spill_count: 0
    .wavefront_size: 64
  - .agpr_count:     0
    .args:
      - .offset:         0
        .size:           112
        .value_kind:     by_value
    .group_segment_fixed_size: 0
    .kernarg_segment_align: 8
    .kernarg_segment_size: 112
    .language:       OpenCL C
    .language_version:
      - 2
      - 0
    .max_flat_workgroup_size: 256
    .name:           _ZN7rocprim17ROCPRIM_400000_NS6detail17trampoline_kernelINS0_14default_configENS1_20scan_config_selectorIyEEZZNS1_9scan_implILNS1_25lookback_scan_determinismE0ELb0ELb0ES3_N6thrust23THRUST_200600_302600_NS6detail15normal_iteratorINS9_10device_ptrIyEEEENS9_16discard_iteratorINS9_11use_defaultEEEy11max_functorIyEyEEDaPvRmT3_T4_T5_mT6_P12ihipStream_tbENKUlT_T0_E_clISt17integral_constantIbLb0EESX_EEDaSS_ST_EUlSS_E_NS1_11comp_targetILNS1_3genE10ELNS1_11target_archE1200ELNS1_3gpuE4ELNS1_3repE0EEENS1_30default_config_static_selectorELNS0_4arch9wavefront6targetE1EEEvT1_
    .private_segment_fixed_size: 0
    .sgpr_count:     4
    .sgpr_spill_count: 0
    .symbol:         _ZN7rocprim17ROCPRIM_400000_NS6detail17trampoline_kernelINS0_14default_configENS1_20scan_config_selectorIyEEZZNS1_9scan_implILNS1_25lookback_scan_determinismE0ELb0ELb0ES3_N6thrust23THRUST_200600_302600_NS6detail15normal_iteratorINS9_10device_ptrIyEEEENS9_16discard_iteratorINS9_11use_defaultEEEy11max_functorIyEyEEDaPvRmT3_T4_T5_mT6_P12ihipStream_tbENKUlT_T0_E_clISt17integral_constantIbLb0EESX_EEDaSS_ST_EUlSS_E_NS1_11comp_targetILNS1_3genE10ELNS1_11target_archE1200ELNS1_3gpuE4ELNS1_3repE0EEENS1_30default_config_static_selectorELNS0_4arch9wavefront6targetE1EEEvT1_.kd
    .uniform_work_group_size: 1
    .uses_dynamic_stack: false
    .vgpr_count:     0
    .vgpr_spill_count: 0
    .wavefront_size: 64
  - .agpr_count:     0
    .args:
      - .offset:         0
        .size:           112
        .value_kind:     by_value
    .group_segment_fixed_size: 0
    .kernarg_segment_align: 8
    .kernarg_segment_size: 112
    .language:       OpenCL C
    .language_version:
      - 2
      - 0
    .max_flat_workgroup_size: 256
    .name:           _ZN7rocprim17ROCPRIM_400000_NS6detail17trampoline_kernelINS0_14default_configENS1_20scan_config_selectorIyEEZZNS1_9scan_implILNS1_25lookback_scan_determinismE0ELb0ELb0ES3_N6thrust23THRUST_200600_302600_NS6detail15normal_iteratorINS9_10device_ptrIyEEEENS9_16discard_iteratorINS9_11use_defaultEEEy11max_functorIyEyEEDaPvRmT3_T4_T5_mT6_P12ihipStream_tbENKUlT_T0_E_clISt17integral_constantIbLb0EESX_EEDaSS_ST_EUlSS_E_NS1_11comp_targetILNS1_3genE9ELNS1_11target_archE1100ELNS1_3gpuE3ELNS1_3repE0EEENS1_30default_config_static_selectorELNS0_4arch9wavefront6targetE1EEEvT1_
    .private_segment_fixed_size: 0
    .sgpr_count:     4
    .sgpr_spill_count: 0
    .symbol:         _ZN7rocprim17ROCPRIM_400000_NS6detail17trampoline_kernelINS0_14default_configENS1_20scan_config_selectorIyEEZZNS1_9scan_implILNS1_25lookback_scan_determinismE0ELb0ELb0ES3_N6thrust23THRUST_200600_302600_NS6detail15normal_iteratorINS9_10device_ptrIyEEEENS9_16discard_iteratorINS9_11use_defaultEEEy11max_functorIyEyEEDaPvRmT3_T4_T5_mT6_P12ihipStream_tbENKUlT_T0_E_clISt17integral_constantIbLb0EESX_EEDaSS_ST_EUlSS_E_NS1_11comp_targetILNS1_3genE9ELNS1_11target_archE1100ELNS1_3gpuE3ELNS1_3repE0EEENS1_30default_config_static_selectorELNS0_4arch9wavefront6targetE1EEEvT1_.kd
    .uniform_work_group_size: 1
    .uses_dynamic_stack: false
    .vgpr_count:     0
    .vgpr_spill_count: 0
    .wavefront_size: 64
  - .agpr_count:     0
    .args:
      - .offset:         0
        .size:           112
        .value_kind:     by_value
    .group_segment_fixed_size: 0
    .kernarg_segment_align: 8
    .kernarg_segment_size: 112
    .language:       OpenCL C
    .language_version:
      - 2
      - 0
    .max_flat_workgroup_size: 256
    .name:           _ZN7rocprim17ROCPRIM_400000_NS6detail17trampoline_kernelINS0_14default_configENS1_20scan_config_selectorIyEEZZNS1_9scan_implILNS1_25lookback_scan_determinismE0ELb0ELb0ES3_N6thrust23THRUST_200600_302600_NS6detail15normal_iteratorINS9_10device_ptrIyEEEENS9_16discard_iteratorINS9_11use_defaultEEEy11max_functorIyEyEEDaPvRmT3_T4_T5_mT6_P12ihipStream_tbENKUlT_T0_E_clISt17integral_constantIbLb0EESX_EEDaSS_ST_EUlSS_E_NS1_11comp_targetILNS1_3genE8ELNS1_11target_archE1030ELNS1_3gpuE2ELNS1_3repE0EEENS1_30default_config_static_selectorELNS0_4arch9wavefront6targetE1EEEvT1_
    .private_segment_fixed_size: 0
    .sgpr_count:     4
    .sgpr_spill_count: 0
    .symbol:         _ZN7rocprim17ROCPRIM_400000_NS6detail17trampoline_kernelINS0_14default_configENS1_20scan_config_selectorIyEEZZNS1_9scan_implILNS1_25lookback_scan_determinismE0ELb0ELb0ES3_N6thrust23THRUST_200600_302600_NS6detail15normal_iteratorINS9_10device_ptrIyEEEENS9_16discard_iteratorINS9_11use_defaultEEEy11max_functorIyEyEEDaPvRmT3_T4_T5_mT6_P12ihipStream_tbENKUlT_T0_E_clISt17integral_constantIbLb0EESX_EEDaSS_ST_EUlSS_E_NS1_11comp_targetILNS1_3genE8ELNS1_11target_archE1030ELNS1_3gpuE2ELNS1_3repE0EEENS1_30default_config_static_selectorELNS0_4arch9wavefront6targetE1EEEvT1_.kd
    .uniform_work_group_size: 1
    .uses_dynamic_stack: false
    .vgpr_count:     0
    .vgpr_spill_count: 0
    .wavefront_size: 64
  - .agpr_count:     0
    .args:
      - .offset:         0
        .size:           48
        .value_kind:     by_value
    .group_segment_fixed_size: 0
    .kernarg_segment_align: 8
    .kernarg_segment_size: 48
    .language:       OpenCL C
    .language_version:
      - 2
      - 0
    .max_flat_workgroup_size: 256
    .name:           _ZN7rocprim17ROCPRIM_400000_NS6detail17trampoline_kernelINS0_14default_configENS1_20scan_config_selectorIyEEZZNS1_9scan_implILNS1_25lookback_scan_determinismE0ELb0ELb0ES3_N6thrust23THRUST_200600_302600_NS6detail15normal_iteratorINS9_10device_ptrIyEEEENS9_16discard_iteratorINS9_11use_defaultEEEy11max_functorIyEyEEDaPvRmT3_T4_T5_mT6_P12ihipStream_tbENKUlT_T0_E_clISt17integral_constantIbLb0EESX_EEDaSS_ST_EUlSS_E0_NS1_11comp_targetILNS1_3genE0ELNS1_11target_archE4294967295ELNS1_3gpuE0ELNS1_3repE0EEENS1_30default_config_static_selectorELNS0_4arch9wavefront6targetE1EEEvT1_
    .private_segment_fixed_size: 0
    .sgpr_count:     4
    .sgpr_spill_count: 0
    .symbol:         _ZN7rocprim17ROCPRIM_400000_NS6detail17trampoline_kernelINS0_14default_configENS1_20scan_config_selectorIyEEZZNS1_9scan_implILNS1_25lookback_scan_determinismE0ELb0ELb0ES3_N6thrust23THRUST_200600_302600_NS6detail15normal_iteratorINS9_10device_ptrIyEEEENS9_16discard_iteratorINS9_11use_defaultEEEy11max_functorIyEyEEDaPvRmT3_T4_T5_mT6_P12ihipStream_tbENKUlT_T0_E_clISt17integral_constantIbLb0EESX_EEDaSS_ST_EUlSS_E0_NS1_11comp_targetILNS1_3genE0ELNS1_11target_archE4294967295ELNS1_3gpuE0ELNS1_3repE0EEENS1_30default_config_static_selectorELNS0_4arch9wavefront6targetE1EEEvT1_.kd
    .uniform_work_group_size: 1
    .uses_dynamic_stack: false
    .vgpr_count:     0
    .vgpr_spill_count: 0
    .wavefront_size: 64
  - .agpr_count:     0
    .args:
      - .offset:         0
        .size:           48
        .value_kind:     by_value
    .group_segment_fixed_size: 0
    .kernarg_segment_align: 8
    .kernarg_segment_size: 48
    .language:       OpenCL C
    .language_version:
      - 2
      - 0
    .max_flat_workgroup_size: 256
    .name:           _ZN7rocprim17ROCPRIM_400000_NS6detail17trampoline_kernelINS0_14default_configENS1_20scan_config_selectorIyEEZZNS1_9scan_implILNS1_25lookback_scan_determinismE0ELb0ELb0ES3_N6thrust23THRUST_200600_302600_NS6detail15normal_iteratorINS9_10device_ptrIyEEEENS9_16discard_iteratorINS9_11use_defaultEEEy11max_functorIyEyEEDaPvRmT3_T4_T5_mT6_P12ihipStream_tbENKUlT_T0_E_clISt17integral_constantIbLb0EESX_EEDaSS_ST_EUlSS_E0_NS1_11comp_targetILNS1_3genE5ELNS1_11target_archE942ELNS1_3gpuE9ELNS1_3repE0EEENS1_30default_config_static_selectorELNS0_4arch9wavefront6targetE1EEEvT1_
    .private_segment_fixed_size: 0
    .sgpr_count:     4
    .sgpr_spill_count: 0
    .symbol:         _ZN7rocprim17ROCPRIM_400000_NS6detail17trampoline_kernelINS0_14default_configENS1_20scan_config_selectorIyEEZZNS1_9scan_implILNS1_25lookback_scan_determinismE0ELb0ELb0ES3_N6thrust23THRUST_200600_302600_NS6detail15normal_iteratorINS9_10device_ptrIyEEEENS9_16discard_iteratorINS9_11use_defaultEEEy11max_functorIyEyEEDaPvRmT3_T4_T5_mT6_P12ihipStream_tbENKUlT_T0_E_clISt17integral_constantIbLb0EESX_EEDaSS_ST_EUlSS_E0_NS1_11comp_targetILNS1_3genE5ELNS1_11target_archE942ELNS1_3gpuE9ELNS1_3repE0EEENS1_30default_config_static_selectorELNS0_4arch9wavefront6targetE1EEEvT1_.kd
    .uniform_work_group_size: 1
    .uses_dynamic_stack: false
    .vgpr_count:     0
    .vgpr_spill_count: 0
    .wavefront_size: 64
  - .agpr_count:     0
    .args:
      - .offset:         0
        .size:           48
        .value_kind:     by_value
    .group_segment_fixed_size: 7168
    .kernarg_segment_align: 8
    .kernarg_segment_size: 48
    .language:       OpenCL C
    .language_version:
      - 2
      - 0
    .max_flat_workgroup_size: 128
    .name:           _ZN7rocprim17ROCPRIM_400000_NS6detail17trampoline_kernelINS0_14default_configENS1_20scan_config_selectorIyEEZZNS1_9scan_implILNS1_25lookback_scan_determinismE0ELb0ELb0ES3_N6thrust23THRUST_200600_302600_NS6detail15normal_iteratorINS9_10device_ptrIyEEEENS9_16discard_iteratorINS9_11use_defaultEEEy11max_functorIyEyEEDaPvRmT3_T4_T5_mT6_P12ihipStream_tbENKUlT_T0_E_clISt17integral_constantIbLb0EESX_EEDaSS_ST_EUlSS_E0_NS1_11comp_targetILNS1_3genE4ELNS1_11target_archE910ELNS1_3gpuE8ELNS1_3repE0EEENS1_30default_config_static_selectorELNS0_4arch9wavefront6targetE1EEEvT1_
    .private_segment_fixed_size: 0
    .sgpr_count:     12
    .sgpr_spill_count: 0
    .symbol:         _ZN7rocprim17ROCPRIM_400000_NS6detail17trampoline_kernelINS0_14default_configENS1_20scan_config_selectorIyEEZZNS1_9scan_implILNS1_25lookback_scan_determinismE0ELb0ELb0ES3_N6thrust23THRUST_200600_302600_NS6detail15normal_iteratorINS9_10device_ptrIyEEEENS9_16discard_iteratorINS9_11use_defaultEEEy11max_functorIyEyEEDaPvRmT3_T4_T5_mT6_P12ihipStream_tbENKUlT_T0_E_clISt17integral_constantIbLb0EESX_EEDaSS_ST_EUlSS_E0_NS1_11comp_targetILNS1_3genE4ELNS1_11target_archE910ELNS1_3gpuE8ELNS1_3repE0EEENS1_30default_config_static_selectorELNS0_4arch9wavefront6targetE1EEEvT1_.kd
    .uniform_work_group_size: 1
    .uses_dynamic_stack: false
    .vgpr_count:     41
    .vgpr_spill_count: 0
    .wavefront_size: 64
  - .agpr_count:     0
    .args:
      - .offset:         0
        .size:           48
        .value_kind:     by_value
    .group_segment_fixed_size: 0
    .kernarg_segment_align: 8
    .kernarg_segment_size: 48
    .language:       OpenCL C
    .language_version:
      - 2
      - 0
    .max_flat_workgroup_size: 256
    .name:           _ZN7rocprim17ROCPRIM_400000_NS6detail17trampoline_kernelINS0_14default_configENS1_20scan_config_selectorIyEEZZNS1_9scan_implILNS1_25lookback_scan_determinismE0ELb0ELb0ES3_N6thrust23THRUST_200600_302600_NS6detail15normal_iteratorINS9_10device_ptrIyEEEENS9_16discard_iteratorINS9_11use_defaultEEEy11max_functorIyEyEEDaPvRmT3_T4_T5_mT6_P12ihipStream_tbENKUlT_T0_E_clISt17integral_constantIbLb0EESX_EEDaSS_ST_EUlSS_E0_NS1_11comp_targetILNS1_3genE3ELNS1_11target_archE908ELNS1_3gpuE7ELNS1_3repE0EEENS1_30default_config_static_selectorELNS0_4arch9wavefront6targetE1EEEvT1_
    .private_segment_fixed_size: 0
    .sgpr_count:     4
    .sgpr_spill_count: 0
    .symbol:         _ZN7rocprim17ROCPRIM_400000_NS6detail17trampoline_kernelINS0_14default_configENS1_20scan_config_selectorIyEEZZNS1_9scan_implILNS1_25lookback_scan_determinismE0ELb0ELb0ES3_N6thrust23THRUST_200600_302600_NS6detail15normal_iteratorINS9_10device_ptrIyEEEENS9_16discard_iteratorINS9_11use_defaultEEEy11max_functorIyEyEEDaPvRmT3_T4_T5_mT6_P12ihipStream_tbENKUlT_T0_E_clISt17integral_constantIbLb0EESX_EEDaSS_ST_EUlSS_E0_NS1_11comp_targetILNS1_3genE3ELNS1_11target_archE908ELNS1_3gpuE7ELNS1_3repE0EEENS1_30default_config_static_selectorELNS0_4arch9wavefront6targetE1EEEvT1_.kd
    .uniform_work_group_size: 1
    .uses_dynamic_stack: false
    .vgpr_count:     0
    .vgpr_spill_count: 0
    .wavefront_size: 64
  - .agpr_count:     0
    .args:
      - .offset:         0
        .size:           48
        .value_kind:     by_value
    .group_segment_fixed_size: 0
    .kernarg_segment_align: 8
    .kernarg_segment_size: 48
    .language:       OpenCL C
    .language_version:
      - 2
      - 0
    .max_flat_workgroup_size: 64
    .name:           _ZN7rocprim17ROCPRIM_400000_NS6detail17trampoline_kernelINS0_14default_configENS1_20scan_config_selectorIyEEZZNS1_9scan_implILNS1_25lookback_scan_determinismE0ELb0ELb0ES3_N6thrust23THRUST_200600_302600_NS6detail15normal_iteratorINS9_10device_ptrIyEEEENS9_16discard_iteratorINS9_11use_defaultEEEy11max_functorIyEyEEDaPvRmT3_T4_T5_mT6_P12ihipStream_tbENKUlT_T0_E_clISt17integral_constantIbLb0EESX_EEDaSS_ST_EUlSS_E0_NS1_11comp_targetILNS1_3genE2ELNS1_11target_archE906ELNS1_3gpuE6ELNS1_3repE0EEENS1_30default_config_static_selectorELNS0_4arch9wavefront6targetE1EEEvT1_
    .private_segment_fixed_size: 0
    .sgpr_count:     4
    .sgpr_spill_count: 0
    .symbol:         _ZN7rocprim17ROCPRIM_400000_NS6detail17trampoline_kernelINS0_14default_configENS1_20scan_config_selectorIyEEZZNS1_9scan_implILNS1_25lookback_scan_determinismE0ELb0ELb0ES3_N6thrust23THRUST_200600_302600_NS6detail15normal_iteratorINS9_10device_ptrIyEEEENS9_16discard_iteratorINS9_11use_defaultEEEy11max_functorIyEyEEDaPvRmT3_T4_T5_mT6_P12ihipStream_tbENKUlT_T0_E_clISt17integral_constantIbLb0EESX_EEDaSS_ST_EUlSS_E0_NS1_11comp_targetILNS1_3genE2ELNS1_11target_archE906ELNS1_3gpuE6ELNS1_3repE0EEENS1_30default_config_static_selectorELNS0_4arch9wavefront6targetE1EEEvT1_.kd
    .uniform_work_group_size: 1
    .uses_dynamic_stack: false
    .vgpr_count:     0
    .vgpr_spill_count: 0
    .wavefront_size: 64
  - .agpr_count:     0
    .args:
      - .offset:         0
        .size:           48
        .value_kind:     by_value
    .group_segment_fixed_size: 0
    .kernarg_segment_align: 8
    .kernarg_segment_size: 48
    .language:       OpenCL C
    .language_version:
      - 2
      - 0
    .max_flat_workgroup_size: 256
    .name:           _ZN7rocprim17ROCPRIM_400000_NS6detail17trampoline_kernelINS0_14default_configENS1_20scan_config_selectorIyEEZZNS1_9scan_implILNS1_25lookback_scan_determinismE0ELb0ELb0ES3_N6thrust23THRUST_200600_302600_NS6detail15normal_iteratorINS9_10device_ptrIyEEEENS9_16discard_iteratorINS9_11use_defaultEEEy11max_functorIyEyEEDaPvRmT3_T4_T5_mT6_P12ihipStream_tbENKUlT_T0_E_clISt17integral_constantIbLb0EESX_EEDaSS_ST_EUlSS_E0_NS1_11comp_targetILNS1_3genE10ELNS1_11target_archE1201ELNS1_3gpuE5ELNS1_3repE0EEENS1_30default_config_static_selectorELNS0_4arch9wavefront6targetE1EEEvT1_
    .private_segment_fixed_size: 0
    .sgpr_count:     4
    .sgpr_spill_count: 0
    .symbol:         _ZN7rocprim17ROCPRIM_400000_NS6detail17trampoline_kernelINS0_14default_configENS1_20scan_config_selectorIyEEZZNS1_9scan_implILNS1_25lookback_scan_determinismE0ELb0ELb0ES3_N6thrust23THRUST_200600_302600_NS6detail15normal_iteratorINS9_10device_ptrIyEEEENS9_16discard_iteratorINS9_11use_defaultEEEy11max_functorIyEyEEDaPvRmT3_T4_T5_mT6_P12ihipStream_tbENKUlT_T0_E_clISt17integral_constantIbLb0EESX_EEDaSS_ST_EUlSS_E0_NS1_11comp_targetILNS1_3genE10ELNS1_11target_archE1201ELNS1_3gpuE5ELNS1_3repE0EEENS1_30default_config_static_selectorELNS0_4arch9wavefront6targetE1EEEvT1_.kd
    .uniform_work_group_size: 1
    .uses_dynamic_stack: false
    .vgpr_count:     0
    .vgpr_spill_count: 0
    .wavefront_size: 64
  - .agpr_count:     0
    .args:
      - .offset:         0
        .size:           48
        .value_kind:     by_value
    .group_segment_fixed_size: 0
    .kernarg_segment_align: 8
    .kernarg_segment_size: 48
    .language:       OpenCL C
    .language_version:
      - 2
      - 0
    .max_flat_workgroup_size: 256
    .name:           _ZN7rocprim17ROCPRIM_400000_NS6detail17trampoline_kernelINS0_14default_configENS1_20scan_config_selectorIyEEZZNS1_9scan_implILNS1_25lookback_scan_determinismE0ELb0ELb0ES3_N6thrust23THRUST_200600_302600_NS6detail15normal_iteratorINS9_10device_ptrIyEEEENS9_16discard_iteratorINS9_11use_defaultEEEy11max_functorIyEyEEDaPvRmT3_T4_T5_mT6_P12ihipStream_tbENKUlT_T0_E_clISt17integral_constantIbLb0EESX_EEDaSS_ST_EUlSS_E0_NS1_11comp_targetILNS1_3genE10ELNS1_11target_archE1200ELNS1_3gpuE4ELNS1_3repE0EEENS1_30default_config_static_selectorELNS0_4arch9wavefront6targetE1EEEvT1_
    .private_segment_fixed_size: 0
    .sgpr_count:     4
    .sgpr_spill_count: 0
    .symbol:         _ZN7rocprim17ROCPRIM_400000_NS6detail17trampoline_kernelINS0_14default_configENS1_20scan_config_selectorIyEEZZNS1_9scan_implILNS1_25lookback_scan_determinismE0ELb0ELb0ES3_N6thrust23THRUST_200600_302600_NS6detail15normal_iteratorINS9_10device_ptrIyEEEENS9_16discard_iteratorINS9_11use_defaultEEEy11max_functorIyEyEEDaPvRmT3_T4_T5_mT6_P12ihipStream_tbENKUlT_T0_E_clISt17integral_constantIbLb0EESX_EEDaSS_ST_EUlSS_E0_NS1_11comp_targetILNS1_3genE10ELNS1_11target_archE1200ELNS1_3gpuE4ELNS1_3repE0EEENS1_30default_config_static_selectorELNS0_4arch9wavefront6targetE1EEEvT1_.kd
    .uniform_work_group_size: 1
    .uses_dynamic_stack: false
    .vgpr_count:     0
    .vgpr_spill_count: 0
    .wavefront_size: 64
  - .agpr_count:     0
    .args:
      - .offset:         0
        .size:           48
        .value_kind:     by_value
    .group_segment_fixed_size: 0
    .kernarg_segment_align: 8
    .kernarg_segment_size: 48
    .language:       OpenCL C
    .language_version:
      - 2
      - 0
    .max_flat_workgroup_size: 256
    .name:           _ZN7rocprim17ROCPRIM_400000_NS6detail17trampoline_kernelINS0_14default_configENS1_20scan_config_selectorIyEEZZNS1_9scan_implILNS1_25lookback_scan_determinismE0ELb0ELb0ES3_N6thrust23THRUST_200600_302600_NS6detail15normal_iteratorINS9_10device_ptrIyEEEENS9_16discard_iteratorINS9_11use_defaultEEEy11max_functorIyEyEEDaPvRmT3_T4_T5_mT6_P12ihipStream_tbENKUlT_T0_E_clISt17integral_constantIbLb0EESX_EEDaSS_ST_EUlSS_E0_NS1_11comp_targetILNS1_3genE9ELNS1_11target_archE1100ELNS1_3gpuE3ELNS1_3repE0EEENS1_30default_config_static_selectorELNS0_4arch9wavefront6targetE1EEEvT1_
    .private_segment_fixed_size: 0
    .sgpr_count:     4
    .sgpr_spill_count: 0
    .symbol:         _ZN7rocprim17ROCPRIM_400000_NS6detail17trampoline_kernelINS0_14default_configENS1_20scan_config_selectorIyEEZZNS1_9scan_implILNS1_25lookback_scan_determinismE0ELb0ELb0ES3_N6thrust23THRUST_200600_302600_NS6detail15normal_iteratorINS9_10device_ptrIyEEEENS9_16discard_iteratorINS9_11use_defaultEEEy11max_functorIyEyEEDaPvRmT3_T4_T5_mT6_P12ihipStream_tbENKUlT_T0_E_clISt17integral_constantIbLb0EESX_EEDaSS_ST_EUlSS_E0_NS1_11comp_targetILNS1_3genE9ELNS1_11target_archE1100ELNS1_3gpuE3ELNS1_3repE0EEENS1_30default_config_static_selectorELNS0_4arch9wavefront6targetE1EEEvT1_.kd
    .uniform_work_group_size: 1
    .uses_dynamic_stack: false
    .vgpr_count:     0
    .vgpr_spill_count: 0
    .wavefront_size: 64
  - .agpr_count:     0
    .args:
      - .offset:         0
        .size:           48
        .value_kind:     by_value
    .group_segment_fixed_size: 0
    .kernarg_segment_align: 8
    .kernarg_segment_size: 48
    .language:       OpenCL C
    .language_version:
      - 2
      - 0
    .max_flat_workgroup_size: 256
    .name:           _ZN7rocprim17ROCPRIM_400000_NS6detail17trampoline_kernelINS0_14default_configENS1_20scan_config_selectorIyEEZZNS1_9scan_implILNS1_25lookback_scan_determinismE0ELb0ELb0ES3_N6thrust23THRUST_200600_302600_NS6detail15normal_iteratorINS9_10device_ptrIyEEEENS9_16discard_iteratorINS9_11use_defaultEEEy11max_functorIyEyEEDaPvRmT3_T4_T5_mT6_P12ihipStream_tbENKUlT_T0_E_clISt17integral_constantIbLb0EESX_EEDaSS_ST_EUlSS_E0_NS1_11comp_targetILNS1_3genE8ELNS1_11target_archE1030ELNS1_3gpuE2ELNS1_3repE0EEENS1_30default_config_static_selectorELNS0_4arch9wavefront6targetE1EEEvT1_
    .private_segment_fixed_size: 0
    .sgpr_count:     4
    .sgpr_spill_count: 0
    .symbol:         _ZN7rocprim17ROCPRIM_400000_NS6detail17trampoline_kernelINS0_14default_configENS1_20scan_config_selectorIyEEZZNS1_9scan_implILNS1_25lookback_scan_determinismE0ELb0ELb0ES3_N6thrust23THRUST_200600_302600_NS6detail15normal_iteratorINS9_10device_ptrIyEEEENS9_16discard_iteratorINS9_11use_defaultEEEy11max_functorIyEyEEDaPvRmT3_T4_T5_mT6_P12ihipStream_tbENKUlT_T0_E_clISt17integral_constantIbLb0EESX_EEDaSS_ST_EUlSS_E0_NS1_11comp_targetILNS1_3genE8ELNS1_11target_archE1030ELNS1_3gpuE2ELNS1_3repE0EEENS1_30default_config_static_selectorELNS0_4arch9wavefront6targetE1EEEvT1_.kd
    .uniform_work_group_size: 1
    .uses_dynamic_stack: false
    .vgpr_count:     0
    .vgpr_spill_count: 0
    .wavefront_size: 64
  - .agpr_count:     0
    .args:
      - .offset:         0
        .size:           112
        .value_kind:     by_value
    .group_segment_fixed_size: 0
    .kernarg_segment_align: 8
    .kernarg_segment_size: 112
    .language:       OpenCL C
    .language_version:
      - 2
      - 0
    .max_flat_workgroup_size: 256
    .name:           _ZN7rocprim17ROCPRIM_400000_NS6detail17trampoline_kernelINS0_14default_configENS1_20scan_config_selectorIyEEZZNS1_9scan_implILNS1_25lookback_scan_determinismE0ELb0ELb0ES3_N6thrust23THRUST_200600_302600_NS6detail15normal_iteratorINS9_10device_ptrIyEEEENS9_16discard_iteratorINS9_11use_defaultEEEy11max_functorIyEyEEDaPvRmT3_T4_T5_mT6_P12ihipStream_tbENKUlT_T0_E_clISt17integral_constantIbLb1EESX_EEDaSS_ST_EUlSS_E_NS1_11comp_targetILNS1_3genE0ELNS1_11target_archE4294967295ELNS1_3gpuE0ELNS1_3repE0EEENS1_30default_config_static_selectorELNS0_4arch9wavefront6targetE1EEEvT1_
    .private_segment_fixed_size: 0
    .sgpr_count:     4
    .sgpr_spill_count: 0
    .symbol:         _ZN7rocprim17ROCPRIM_400000_NS6detail17trampoline_kernelINS0_14default_configENS1_20scan_config_selectorIyEEZZNS1_9scan_implILNS1_25lookback_scan_determinismE0ELb0ELb0ES3_N6thrust23THRUST_200600_302600_NS6detail15normal_iteratorINS9_10device_ptrIyEEEENS9_16discard_iteratorINS9_11use_defaultEEEy11max_functorIyEyEEDaPvRmT3_T4_T5_mT6_P12ihipStream_tbENKUlT_T0_E_clISt17integral_constantIbLb1EESX_EEDaSS_ST_EUlSS_E_NS1_11comp_targetILNS1_3genE0ELNS1_11target_archE4294967295ELNS1_3gpuE0ELNS1_3repE0EEENS1_30default_config_static_selectorELNS0_4arch9wavefront6targetE1EEEvT1_.kd
    .uniform_work_group_size: 1
    .uses_dynamic_stack: false
    .vgpr_count:     0
    .vgpr_spill_count: 0
    .wavefront_size: 64
  - .agpr_count:     0
    .args:
      - .offset:         0
        .size:           112
        .value_kind:     by_value
    .group_segment_fixed_size: 0
    .kernarg_segment_align: 8
    .kernarg_segment_size: 112
    .language:       OpenCL C
    .language_version:
      - 2
      - 0
    .max_flat_workgroup_size: 256
    .name:           _ZN7rocprim17ROCPRIM_400000_NS6detail17trampoline_kernelINS0_14default_configENS1_20scan_config_selectorIyEEZZNS1_9scan_implILNS1_25lookback_scan_determinismE0ELb0ELb0ES3_N6thrust23THRUST_200600_302600_NS6detail15normal_iteratorINS9_10device_ptrIyEEEENS9_16discard_iteratorINS9_11use_defaultEEEy11max_functorIyEyEEDaPvRmT3_T4_T5_mT6_P12ihipStream_tbENKUlT_T0_E_clISt17integral_constantIbLb1EESX_EEDaSS_ST_EUlSS_E_NS1_11comp_targetILNS1_3genE5ELNS1_11target_archE942ELNS1_3gpuE9ELNS1_3repE0EEENS1_30default_config_static_selectorELNS0_4arch9wavefront6targetE1EEEvT1_
    .private_segment_fixed_size: 0
    .sgpr_count:     4
    .sgpr_spill_count: 0
    .symbol:         _ZN7rocprim17ROCPRIM_400000_NS6detail17trampoline_kernelINS0_14default_configENS1_20scan_config_selectorIyEEZZNS1_9scan_implILNS1_25lookback_scan_determinismE0ELb0ELb0ES3_N6thrust23THRUST_200600_302600_NS6detail15normal_iteratorINS9_10device_ptrIyEEEENS9_16discard_iteratorINS9_11use_defaultEEEy11max_functorIyEyEEDaPvRmT3_T4_T5_mT6_P12ihipStream_tbENKUlT_T0_E_clISt17integral_constantIbLb1EESX_EEDaSS_ST_EUlSS_E_NS1_11comp_targetILNS1_3genE5ELNS1_11target_archE942ELNS1_3gpuE9ELNS1_3repE0EEENS1_30default_config_static_selectorELNS0_4arch9wavefront6targetE1EEEvT1_.kd
    .uniform_work_group_size: 1
    .uses_dynamic_stack: false
    .vgpr_count:     0
    .vgpr_spill_count: 0
    .wavefront_size: 64
  - .agpr_count:     0
    .args:
      - .offset:         0
        .size:           112
        .value_kind:     by_value
    .group_segment_fixed_size: 7168
    .kernarg_segment_align: 8
    .kernarg_segment_size: 112
    .language:       OpenCL C
    .language_version:
      - 2
      - 0
    .max_flat_workgroup_size: 128
    .name:           _ZN7rocprim17ROCPRIM_400000_NS6detail17trampoline_kernelINS0_14default_configENS1_20scan_config_selectorIyEEZZNS1_9scan_implILNS1_25lookback_scan_determinismE0ELb0ELb0ES3_N6thrust23THRUST_200600_302600_NS6detail15normal_iteratorINS9_10device_ptrIyEEEENS9_16discard_iteratorINS9_11use_defaultEEEy11max_functorIyEyEEDaPvRmT3_T4_T5_mT6_P12ihipStream_tbENKUlT_T0_E_clISt17integral_constantIbLb1EESX_EEDaSS_ST_EUlSS_E_NS1_11comp_targetILNS1_3genE4ELNS1_11target_archE910ELNS1_3gpuE8ELNS1_3repE0EEENS1_30default_config_static_selectorELNS0_4arch9wavefront6targetE1EEEvT1_
    .private_segment_fixed_size: 0
    .sgpr_count:     35
    .sgpr_spill_count: 0
    .symbol:         _ZN7rocprim17ROCPRIM_400000_NS6detail17trampoline_kernelINS0_14default_configENS1_20scan_config_selectorIyEEZZNS1_9scan_implILNS1_25lookback_scan_determinismE0ELb0ELb0ES3_N6thrust23THRUST_200600_302600_NS6detail15normal_iteratorINS9_10device_ptrIyEEEENS9_16discard_iteratorINS9_11use_defaultEEEy11max_functorIyEyEEDaPvRmT3_T4_T5_mT6_P12ihipStream_tbENKUlT_T0_E_clISt17integral_constantIbLb1EESX_EEDaSS_ST_EUlSS_E_NS1_11comp_targetILNS1_3genE4ELNS1_11target_archE910ELNS1_3gpuE8ELNS1_3repE0EEENS1_30default_config_static_selectorELNS0_4arch9wavefront6targetE1EEEvT1_.kd
    .uniform_work_group_size: 1
    .uses_dynamic_stack: false
    .vgpr_count:     57
    .vgpr_spill_count: 0
    .wavefront_size: 64
  - .agpr_count:     0
    .args:
      - .offset:         0
        .size:           112
        .value_kind:     by_value
    .group_segment_fixed_size: 0
    .kernarg_segment_align: 8
    .kernarg_segment_size: 112
    .language:       OpenCL C
    .language_version:
      - 2
      - 0
    .max_flat_workgroup_size: 256
    .name:           _ZN7rocprim17ROCPRIM_400000_NS6detail17trampoline_kernelINS0_14default_configENS1_20scan_config_selectorIyEEZZNS1_9scan_implILNS1_25lookback_scan_determinismE0ELb0ELb0ES3_N6thrust23THRUST_200600_302600_NS6detail15normal_iteratorINS9_10device_ptrIyEEEENS9_16discard_iteratorINS9_11use_defaultEEEy11max_functorIyEyEEDaPvRmT3_T4_T5_mT6_P12ihipStream_tbENKUlT_T0_E_clISt17integral_constantIbLb1EESX_EEDaSS_ST_EUlSS_E_NS1_11comp_targetILNS1_3genE3ELNS1_11target_archE908ELNS1_3gpuE7ELNS1_3repE0EEENS1_30default_config_static_selectorELNS0_4arch9wavefront6targetE1EEEvT1_
    .private_segment_fixed_size: 0
    .sgpr_count:     4
    .sgpr_spill_count: 0
    .symbol:         _ZN7rocprim17ROCPRIM_400000_NS6detail17trampoline_kernelINS0_14default_configENS1_20scan_config_selectorIyEEZZNS1_9scan_implILNS1_25lookback_scan_determinismE0ELb0ELb0ES3_N6thrust23THRUST_200600_302600_NS6detail15normal_iteratorINS9_10device_ptrIyEEEENS9_16discard_iteratorINS9_11use_defaultEEEy11max_functorIyEyEEDaPvRmT3_T4_T5_mT6_P12ihipStream_tbENKUlT_T0_E_clISt17integral_constantIbLb1EESX_EEDaSS_ST_EUlSS_E_NS1_11comp_targetILNS1_3genE3ELNS1_11target_archE908ELNS1_3gpuE7ELNS1_3repE0EEENS1_30default_config_static_selectorELNS0_4arch9wavefront6targetE1EEEvT1_.kd
    .uniform_work_group_size: 1
    .uses_dynamic_stack: false
    .vgpr_count:     0
    .vgpr_spill_count: 0
    .wavefront_size: 64
  - .agpr_count:     0
    .args:
      - .offset:         0
        .size:           112
        .value_kind:     by_value
    .group_segment_fixed_size: 0
    .kernarg_segment_align: 8
    .kernarg_segment_size: 112
    .language:       OpenCL C
    .language_version:
      - 2
      - 0
    .max_flat_workgroup_size: 64
    .name:           _ZN7rocprim17ROCPRIM_400000_NS6detail17trampoline_kernelINS0_14default_configENS1_20scan_config_selectorIyEEZZNS1_9scan_implILNS1_25lookback_scan_determinismE0ELb0ELb0ES3_N6thrust23THRUST_200600_302600_NS6detail15normal_iteratorINS9_10device_ptrIyEEEENS9_16discard_iteratorINS9_11use_defaultEEEy11max_functorIyEyEEDaPvRmT3_T4_T5_mT6_P12ihipStream_tbENKUlT_T0_E_clISt17integral_constantIbLb1EESX_EEDaSS_ST_EUlSS_E_NS1_11comp_targetILNS1_3genE2ELNS1_11target_archE906ELNS1_3gpuE6ELNS1_3repE0EEENS1_30default_config_static_selectorELNS0_4arch9wavefront6targetE1EEEvT1_
    .private_segment_fixed_size: 0
    .sgpr_count:     4
    .sgpr_spill_count: 0
    .symbol:         _ZN7rocprim17ROCPRIM_400000_NS6detail17trampoline_kernelINS0_14default_configENS1_20scan_config_selectorIyEEZZNS1_9scan_implILNS1_25lookback_scan_determinismE0ELb0ELb0ES3_N6thrust23THRUST_200600_302600_NS6detail15normal_iteratorINS9_10device_ptrIyEEEENS9_16discard_iteratorINS9_11use_defaultEEEy11max_functorIyEyEEDaPvRmT3_T4_T5_mT6_P12ihipStream_tbENKUlT_T0_E_clISt17integral_constantIbLb1EESX_EEDaSS_ST_EUlSS_E_NS1_11comp_targetILNS1_3genE2ELNS1_11target_archE906ELNS1_3gpuE6ELNS1_3repE0EEENS1_30default_config_static_selectorELNS0_4arch9wavefront6targetE1EEEvT1_.kd
    .uniform_work_group_size: 1
    .uses_dynamic_stack: false
    .vgpr_count:     0
    .vgpr_spill_count: 0
    .wavefront_size: 64
  - .agpr_count:     0
    .args:
      - .offset:         0
        .size:           112
        .value_kind:     by_value
    .group_segment_fixed_size: 0
    .kernarg_segment_align: 8
    .kernarg_segment_size: 112
    .language:       OpenCL C
    .language_version:
      - 2
      - 0
    .max_flat_workgroup_size: 256
    .name:           _ZN7rocprim17ROCPRIM_400000_NS6detail17trampoline_kernelINS0_14default_configENS1_20scan_config_selectorIyEEZZNS1_9scan_implILNS1_25lookback_scan_determinismE0ELb0ELb0ES3_N6thrust23THRUST_200600_302600_NS6detail15normal_iteratorINS9_10device_ptrIyEEEENS9_16discard_iteratorINS9_11use_defaultEEEy11max_functorIyEyEEDaPvRmT3_T4_T5_mT6_P12ihipStream_tbENKUlT_T0_E_clISt17integral_constantIbLb1EESX_EEDaSS_ST_EUlSS_E_NS1_11comp_targetILNS1_3genE10ELNS1_11target_archE1201ELNS1_3gpuE5ELNS1_3repE0EEENS1_30default_config_static_selectorELNS0_4arch9wavefront6targetE1EEEvT1_
    .private_segment_fixed_size: 0
    .sgpr_count:     4
    .sgpr_spill_count: 0
    .symbol:         _ZN7rocprim17ROCPRIM_400000_NS6detail17trampoline_kernelINS0_14default_configENS1_20scan_config_selectorIyEEZZNS1_9scan_implILNS1_25lookback_scan_determinismE0ELb0ELb0ES3_N6thrust23THRUST_200600_302600_NS6detail15normal_iteratorINS9_10device_ptrIyEEEENS9_16discard_iteratorINS9_11use_defaultEEEy11max_functorIyEyEEDaPvRmT3_T4_T5_mT6_P12ihipStream_tbENKUlT_T0_E_clISt17integral_constantIbLb1EESX_EEDaSS_ST_EUlSS_E_NS1_11comp_targetILNS1_3genE10ELNS1_11target_archE1201ELNS1_3gpuE5ELNS1_3repE0EEENS1_30default_config_static_selectorELNS0_4arch9wavefront6targetE1EEEvT1_.kd
    .uniform_work_group_size: 1
    .uses_dynamic_stack: false
    .vgpr_count:     0
    .vgpr_spill_count: 0
    .wavefront_size: 64
  - .agpr_count:     0
    .args:
      - .offset:         0
        .size:           112
        .value_kind:     by_value
    .group_segment_fixed_size: 0
    .kernarg_segment_align: 8
    .kernarg_segment_size: 112
    .language:       OpenCL C
    .language_version:
      - 2
      - 0
    .max_flat_workgroup_size: 256
    .name:           _ZN7rocprim17ROCPRIM_400000_NS6detail17trampoline_kernelINS0_14default_configENS1_20scan_config_selectorIyEEZZNS1_9scan_implILNS1_25lookback_scan_determinismE0ELb0ELb0ES3_N6thrust23THRUST_200600_302600_NS6detail15normal_iteratorINS9_10device_ptrIyEEEENS9_16discard_iteratorINS9_11use_defaultEEEy11max_functorIyEyEEDaPvRmT3_T4_T5_mT6_P12ihipStream_tbENKUlT_T0_E_clISt17integral_constantIbLb1EESX_EEDaSS_ST_EUlSS_E_NS1_11comp_targetILNS1_3genE10ELNS1_11target_archE1200ELNS1_3gpuE4ELNS1_3repE0EEENS1_30default_config_static_selectorELNS0_4arch9wavefront6targetE1EEEvT1_
    .private_segment_fixed_size: 0
    .sgpr_count:     4
    .sgpr_spill_count: 0
    .symbol:         _ZN7rocprim17ROCPRIM_400000_NS6detail17trampoline_kernelINS0_14default_configENS1_20scan_config_selectorIyEEZZNS1_9scan_implILNS1_25lookback_scan_determinismE0ELb0ELb0ES3_N6thrust23THRUST_200600_302600_NS6detail15normal_iteratorINS9_10device_ptrIyEEEENS9_16discard_iteratorINS9_11use_defaultEEEy11max_functorIyEyEEDaPvRmT3_T4_T5_mT6_P12ihipStream_tbENKUlT_T0_E_clISt17integral_constantIbLb1EESX_EEDaSS_ST_EUlSS_E_NS1_11comp_targetILNS1_3genE10ELNS1_11target_archE1200ELNS1_3gpuE4ELNS1_3repE0EEENS1_30default_config_static_selectorELNS0_4arch9wavefront6targetE1EEEvT1_.kd
    .uniform_work_group_size: 1
    .uses_dynamic_stack: false
    .vgpr_count:     0
    .vgpr_spill_count: 0
    .wavefront_size: 64
  - .agpr_count:     0
    .args:
      - .offset:         0
        .size:           112
        .value_kind:     by_value
    .group_segment_fixed_size: 0
    .kernarg_segment_align: 8
    .kernarg_segment_size: 112
    .language:       OpenCL C
    .language_version:
      - 2
      - 0
    .max_flat_workgroup_size: 256
    .name:           _ZN7rocprim17ROCPRIM_400000_NS6detail17trampoline_kernelINS0_14default_configENS1_20scan_config_selectorIyEEZZNS1_9scan_implILNS1_25lookback_scan_determinismE0ELb0ELb0ES3_N6thrust23THRUST_200600_302600_NS6detail15normal_iteratorINS9_10device_ptrIyEEEENS9_16discard_iteratorINS9_11use_defaultEEEy11max_functorIyEyEEDaPvRmT3_T4_T5_mT6_P12ihipStream_tbENKUlT_T0_E_clISt17integral_constantIbLb1EESX_EEDaSS_ST_EUlSS_E_NS1_11comp_targetILNS1_3genE9ELNS1_11target_archE1100ELNS1_3gpuE3ELNS1_3repE0EEENS1_30default_config_static_selectorELNS0_4arch9wavefront6targetE1EEEvT1_
    .private_segment_fixed_size: 0
    .sgpr_count:     4
    .sgpr_spill_count: 0
    .symbol:         _ZN7rocprim17ROCPRIM_400000_NS6detail17trampoline_kernelINS0_14default_configENS1_20scan_config_selectorIyEEZZNS1_9scan_implILNS1_25lookback_scan_determinismE0ELb0ELb0ES3_N6thrust23THRUST_200600_302600_NS6detail15normal_iteratorINS9_10device_ptrIyEEEENS9_16discard_iteratorINS9_11use_defaultEEEy11max_functorIyEyEEDaPvRmT3_T4_T5_mT6_P12ihipStream_tbENKUlT_T0_E_clISt17integral_constantIbLb1EESX_EEDaSS_ST_EUlSS_E_NS1_11comp_targetILNS1_3genE9ELNS1_11target_archE1100ELNS1_3gpuE3ELNS1_3repE0EEENS1_30default_config_static_selectorELNS0_4arch9wavefront6targetE1EEEvT1_.kd
    .uniform_work_group_size: 1
    .uses_dynamic_stack: false
    .vgpr_count:     0
    .vgpr_spill_count: 0
    .wavefront_size: 64
  - .agpr_count:     0
    .args:
      - .offset:         0
        .size:           112
        .value_kind:     by_value
    .group_segment_fixed_size: 0
    .kernarg_segment_align: 8
    .kernarg_segment_size: 112
    .language:       OpenCL C
    .language_version:
      - 2
      - 0
    .max_flat_workgroup_size: 256
    .name:           _ZN7rocprim17ROCPRIM_400000_NS6detail17trampoline_kernelINS0_14default_configENS1_20scan_config_selectorIyEEZZNS1_9scan_implILNS1_25lookback_scan_determinismE0ELb0ELb0ES3_N6thrust23THRUST_200600_302600_NS6detail15normal_iteratorINS9_10device_ptrIyEEEENS9_16discard_iteratorINS9_11use_defaultEEEy11max_functorIyEyEEDaPvRmT3_T4_T5_mT6_P12ihipStream_tbENKUlT_T0_E_clISt17integral_constantIbLb1EESX_EEDaSS_ST_EUlSS_E_NS1_11comp_targetILNS1_3genE8ELNS1_11target_archE1030ELNS1_3gpuE2ELNS1_3repE0EEENS1_30default_config_static_selectorELNS0_4arch9wavefront6targetE1EEEvT1_
    .private_segment_fixed_size: 0
    .sgpr_count:     4
    .sgpr_spill_count: 0
    .symbol:         _ZN7rocprim17ROCPRIM_400000_NS6detail17trampoline_kernelINS0_14default_configENS1_20scan_config_selectorIyEEZZNS1_9scan_implILNS1_25lookback_scan_determinismE0ELb0ELb0ES3_N6thrust23THRUST_200600_302600_NS6detail15normal_iteratorINS9_10device_ptrIyEEEENS9_16discard_iteratorINS9_11use_defaultEEEy11max_functorIyEyEEDaPvRmT3_T4_T5_mT6_P12ihipStream_tbENKUlT_T0_E_clISt17integral_constantIbLb1EESX_EEDaSS_ST_EUlSS_E_NS1_11comp_targetILNS1_3genE8ELNS1_11target_archE1030ELNS1_3gpuE2ELNS1_3repE0EEENS1_30default_config_static_selectorELNS0_4arch9wavefront6targetE1EEEvT1_.kd
    .uniform_work_group_size: 1
    .uses_dynamic_stack: false
    .vgpr_count:     0
    .vgpr_spill_count: 0
    .wavefront_size: 64
  - .agpr_count:     0
    .args:
      - .offset:         0
        .size:           48
        .value_kind:     by_value
    .group_segment_fixed_size: 0
    .kernarg_segment_align: 8
    .kernarg_segment_size: 48
    .language:       OpenCL C
    .language_version:
      - 2
      - 0
    .max_flat_workgroup_size: 256
    .name:           _ZN7rocprim17ROCPRIM_400000_NS6detail17trampoline_kernelINS0_14default_configENS1_20scan_config_selectorIyEEZZNS1_9scan_implILNS1_25lookback_scan_determinismE0ELb0ELb0ES3_N6thrust23THRUST_200600_302600_NS6detail15normal_iteratorINS9_10device_ptrIyEEEENS9_16discard_iteratorINS9_11use_defaultEEEy11max_functorIyEyEEDaPvRmT3_T4_T5_mT6_P12ihipStream_tbENKUlT_T0_E_clISt17integral_constantIbLb1EESX_EEDaSS_ST_EUlSS_E0_NS1_11comp_targetILNS1_3genE0ELNS1_11target_archE4294967295ELNS1_3gpuE0ELNS1_3repE0EEENS1_30default_config_static_selectorELNS0_4arch9wavefront6targetE1EEEvT1_
    .private_segment_fixed_size: 0
    .sgpr_count:     4
    .sgpr_spill_count: 0
    .symbol:         _ZN7rocprim17ROCPRIM_400000_NS6detail17trampoline_kernelINS0_14default_configENS1_20scan_config_selectorIyEEZZNS1_9scan_implILNS1_25lookback_scan_determinismE0ELb0ELb0ES3_N6thrust23THRUST_200600_302600_NS6detail15normal_iteratorINS9_10device_ptrIyEEEENS9_16discard_iteratorINS9_11use_defaultEEEy11max_functorIyEyEEDaPvRmT3_T4_T5_mT6_P12ihipStream_tbENKUlT_T0_E_clISt17integral_constantIbLb1EESX_EEDaSS_ST_EUlSS_E0_NS1_11comp_targetILNS1_3genE0ELNS1_11target_archE4294967295ELNS1_3gpuE0ELNS1_3repE0EEENS1_30default_config_static_selectorELNS0_4arch9wavefront6targetE1EEEvT1_.kd
    .uniform_work_group_size: 1
    .uses_dynamic_stack: false
    .vgpr_count:     0
    .vgpr_spill_count: 0
    .wavefront_size: 64
  - .agpr_count:     0
    .args:
      - .offset:         0
        .size:           48
        .value_kind:     by_value
    .group_segment_fixed_size: 0
    .kernarg_segment_align: 8
    .kernarg_segment_size: 48
    .language:       OpenCL C
    .language_version:
      - 2
      - 0
    .max_flat_workgroup_size: 256
    .name:           _ZN7rocprim17ROCPRIM_400000_NS6detail17trampoline_kernelINS0_14default_configENS1_20scan_config_selectorIyEEZZNS1_9scan_implILNS1_25lookback_scan_determinismE0ELb0ELb0ES3_N6thrust23THRUST_200600_302600_NS6detail15normal_iteratorINS9_10device_ptrIyEEEENS9_16discard_iteratorINS9_11use_defaultEEEy11max_functorIyEyEEDaPvRmT3_T4_T5_mT6_P12ihipStream_tbENKUlT_T0_E_clISt17integral_constantIbLb1EESX_EEDaSS_ST_EUlSS_E0_NS1_11comp_targetILNS1_3genE5ELNS1_11target_archE942ELNS1_3gpuE9ELNS1_3repE0EEENS1_30default_config_static_selectorELNS0_4arch9wavefront6targetE1EEEvT1_
    .private_segment_fixed_size: 0
    .sgpr_count:     4
    .sgpr_spill_count: 0
    .symbol:         _ZN7rocprim17ROCPRIM_400000_NS6detail17trampoline_kernelINS0_14default_configENS1_20scan_config_selectorIyEEZZNS1_9scan_implILNS1_25lookback_scan_determinismE0ELb0ELb0ES3_N6thrust23THRUST_200600_302600_NS6detail15normal_iteratorINS9_10device_ptrIyEEEENS9_16discard_iteratorINS9_11use_defaultEEEy11max_functorIyEyEEDaPvRmT3_T4_T5_mT6_P12ihipStream_tbENKUlT_T0_E_clISt17integral_constantIbLb1EESX_EEDaSS_ST_EUlSS_E0_NS1_11comp_targetILNS1_3genE5ELNS1_11target_archE942ELNS1_3gpuE9ELNS1_3repE0EEENS1_30default_config_static_selectorELNS0_4arch9wavefront6targetE1EEEvT1_.kd
    .uniform_work_group_size: 1
    .uses_dynamic_stack: false
    .vgpr_count:     0
    .vgpr_spill_count: 0
    .wavefront_size: 64
  - .agpr_count:     0
    .args:
      - .offset:         0
        .size:           48
        .value_kind:     by_value
    .group_segment_fixed_size: 7168
    .kernarg_segment_align: 8
    .kernarg_segment_size: 48
    .language:       OpenCL C
    .language_version:
      - 2
      - 0
    .max_flat_workgroup_size: 128
    .name:           _ZN7rocprim17ROCPRIM_400000_NS6detail17trampoline_kernelINS0_14default_configENS1_20scan_config_selectorIyEEZZNS1_9scan_implILNS1_25lookback_scan_determinismE0ELb0ELb0ES3_N6thrust23THRUST_200600_302600_NS6detail15normal_iteratorINS9_10device_ptrIyEEEENS9_16discard_iteratorINS9_11use_defaultEEEy11max_functorIyEyEEDaPvRmT3_T4_T5_mT6_P12ihipStream_tbENKUlT_T0_E_clISt17integral_constantIbLb1EESX_EEDaSS_ST_EUlSS_E0_NS1_11comp_targetILNS1_3genE4ELNS1_11target_archE910ELNS1_3gpuE8ELNS1_3repE0EEENS1_30default_config_static_selectorELNS0_4arch9wavefront6targetE1EEEvT1_
    .private_segment_fixed_size: 0
    .sgpr_count:     12
    .sgpr_spill_count: 0
    .symbol:         _ZN7rocprim17ROCPRIM_400000_NS6detail17trampoline_kernelINS0_14default_configENS1_20scan_config_selectorIyEEZZNS1_9scan_implILNS1_25lookback_scan_determinismE0ELb0ELb0ES3_N6thrust23THRUST_200600_302600_NS6detail15normal_iteratorINS9_10device_ptrIyEEEENS9_16discard_iteratorINS9_11use_defaultEEEy11max_functorIyEyEEDaPvRmT3_T4_T5_mT6_P12ihipStream_tbENKUlT_T0_E_clISt17integral_constantIbLb1EESX_EEDaSS_ST_EUlSS_E0_NS1_11comp_targetILNS1_3genE4ELNS1_11target_archE910ELNS1_3gpuE8ELNS1_3repE0EEENS1_30default_config_static_selectorELNS0_4arch9wavefront6targetE1EEEvT1_.kd
    .uniform_work_group_size: 1
    .uses_dynamic_stack: false
    .vgpr_count:     41
    .vgpr_spill_count: 0
    .wavefront_size: 64
  - .agpr_count:     0
    .args:
      - .offset:         0
        .size:           48
        .value_kind:     by_value
    .group_segment_fixed_size: 0
    .kernarg_segment_align: 8
    .kernarg_segment_size: 48
    .language:       OpenCL C
    .language_version:
      - 2
      - 0
    .max_flat_workgroup_size: 256
    .name:           _ZN7rocprim17ROCPRIM_400000_NS6detail17trampoline_kernelINS0_14default_configENS1_20scan_config_selectorIyEEZZNS1_9scan_implILNS1_25lookback_scan_determinismE0ELb0ELb0ES3_N6thrust23THRUST_200600_302600_NS6detail15normal_iteratorINS9_10device_ptrIyEEEENS9_16discard_iteratorINS9_11use_defaultEEEy11max_functorIyEyEEDaPvRmT3_T4_T5_mT6_P12ihipStream_tbENKUlT_T0_E_clISt17integral_constantIbLb1EESX_EEDaSS_ST_EUlSS_E0_NS1_11comp_targetILNS1_3genE3ELNS1_11target_archE908ELNS1_3gpuE7ELNS1_3repE0EEENS1_30default_config_static_selectorELNS0_4arch9wavefront6targetE1EEEvT1_
    .private_segment_fixed_size: 0
    .sgpr_count:     4
    .sgpr_spill_count: 0
    .symbol:         _ZN7rocprim17ROCPRIM_400000_NS6detail17trampoline_kernelINS0_14default_configENS1_20scan_config_selectorIyEEZZNS1_9scan_implILNS1_25lookback_scan_determinismE0ELb0ELb0ES3_N6thrust23THRUST_200600_302600_NS6detail15normal_iteratorINS9_10device_ptrIyEEEENS9_16discard_iteratorINS9_11use_defaultEEEy11max_functorIyEyEEDaPvRmT3_T4_T5_mT6_P12ihipStream_tbENKUlT_T0_E_clISt17integral_constantIbLb1EESX_EEDaSS_ST_EUlSS_E0_NS1_11comp_targetILNS1_3genE3ELNS1_11target_archE908ELNS1_3gpuE7ELNS1_3repE0EEENS1_30default_config_static_selectorELNS0_4arch9wavefront6targetE1EEEvT1_.kd
    .uniform_work_group_size: 1
    .uses_dynamic_stack: false
    .vgpr_count:     0
    .vgpr_spill_count: 0
    .wavefront_size: 64
  - .agpr_count:     0
    .args:
      - .offset:         0
        .size:           48
        .value_kind:     by_value
    .group_segment_fixed_size: 0
    .kernarg_segment_align: 8
    .kernarg_segment_size: 48
    .language:       OpenCL C
    .language_version:
      - 2
      - 0
    .max_flat_workgroup_size: 64
    .name:           _ZN7rocprim17ROCPRIM_400000_NS6detail17trampoline_kernelINS0_14default_configENS1_20scan_config_selectorIyEEZZNS1_9scan_implILNS1_25lookback_scan_determinismE0ELb0ELb0ES3_N6thrust23THRUST_200600_302600_NS6detail15normal_iteratorINS9_10device_ptrIyEEEENS9_16discard_iteratorINS9_11use_defaultEEEy11max_functorIyEyEEDaPvRmT3_T4_T5_mT6_P12ihipStream_tbENKUlT_T0_E_clISt17integral_constantIbLb1EESX_EEDaSS_ST_EUlSS_E0_NS1_11comp_targetILNS1_3genE2ELNS1_11target_archE906ELNS1_3gpuE6ELNS1_3repE0EEENS1_30default_config_static_selectorELNS0_4arch9wavefront6targetE1EEEvT1_
    .private_segment_fixed_size: 0
    .sgpr_count:     4
    .sgpr_spill_count: 0
    .symbol:         _ZN7rocprim17ROCPRIM_400000_NS6detail17trampoline_kernelINS0_14default_configENS1_20scan_config_selectorIyEEZZNS1_9scan_implILNS1_25lookback_scan_determinismE0ELb0ELb0ES3_N6thrust23THRUST_200600_302600_NS6detail15normal_iteratorINS9_10device_ptrIyEEEENS9_16discard_iteratorINS9_11use_defaultEEEy11max_functorIyEyEEDaPvRmT3_T4_T5_mT6_P12ihipStream_tbENKUlT_T0_E_clISt17integral_constantIbLb1EESX_EEDaSS_ST_EUlSS_E0_NS1_11comp_targetILNS1_3genE2ELNS1_11target_archE906ELNS1_3gpuE6ELNS1_3repE0EEENS1_30default_config_static_selectorELNS0_4arch9wavefront6targetE1EEEvT1_.kd
    .uniform_work_group_size: 1
    .uses_dynamic_stack: false
    .vgpr_count:     0
    .vgpr_spill_count: 0
    .wavefront_size: 64
  - .agpr_count:     0
    .args:
      - .offset:         0
        .size:           48
        .value_kind:     by_value
    .group_segment_fixed_size: 0
    .kernarg_segment_align: 8
    .kernarg_segment_size: 48
    .language:       OpenCL C
    .language_version:
      - 2
      - 0
    .max_flat_workgroup_size: 256
    .name:           _ZN7rocprim17ROCPRIM_400000_NS6detail17trampoline_kernelINS0_14default_configENS1_20scan_config_selectorIyEEZZNS1_9scan_implILNS1_25lookback_scan_determinismE0ELb0ELb0ES3_N6thrust23THRUST_200600_302600_NS6detail15normal_iteratorINS9_10device_ptrIyEEEENS9_16discard_iteratorINS9_11use_defaultEEEy11max_functorIyEyEEDaPvRmT3_T4_T5_mT6_P12ihipStream_tbENKUlT_T0_E_clISt17integral_constantIbLb1EESX_EEDaSS_ST_EUlSS_E0_NS1_11comp_targetILNS1_3genE10ELNS1_11target_archE1201ELNS1_3gpuE5ELNS1_3repE0EEENS1_30default_config_static_selectorELNS0_4arch9wavefront6targetE1EEEvT1_
    .private_segment_fixed_size: 0
    .sgpr_count:     4
    .sgpr_spill_count: 0
    .symbol:         _ZN7rocprim17ROCPRIM_400000_NS6detail17trampoline_kernelINS0_14default_configENS1_20scan_config_selectorIyEEZZNS1_9scan_implILNS1_25lookback_scan_determinismE0ELb0ELb0ES3_N6thrust23THRUST_200600_302600_NS6detail15normal_iteratorINS9_10device_ptrIyEEEENS9_16discard_iteratorINS9_11use_defaultEEEy11max_functorIyEyEEDaPvRmT3_T4_T5_mT6_P12ihipStream_tbENKUlT_T0_E_clISt17integral_constantIbLb1EESX_EEDaSS_ST_EUlSS_E0_NS1_11comp_targetILNS1_3genE10ELNS1_11target_archE1201ELNS1_3gpuE5ELNS1_3repE0EEENS1_30default_config_static_selectorELNS0_4arch9wavefront6targetE1EEEvT1_.kd
    .uniform_work_group_size: 1
    .uses_dynamic_stack: false
    .vgpr_count:     0
    .vgpr_spill_count: 0
    .wavefront_size: 64
  - .agpr_count:     0
    .args:
      - .offset:         0
        .size:           48
        .value_kind:     by_value
    .group_segment_fixed_size: 0
    .kernarg_segment_align: 8
    .kernarg_segment_size: 48
    .language:       OpenCL C
    .language_version:
      - 2
      - 0
    .max_flat_workgroup_size: 256
    .name:           _ZN7rocprim17ROCPRIM_400000_NS6detail17trampoline_kernelINS0_14default_configENS1_20scan_config_selectorIyEEZZNS1_9scan_implILNS1_25lookback_scan_determinismE0ELb0ELb0ES3_N6thrust23THRUST_200600_302600_NS6detail15normal_iteratorINS9_10device_ptrIyEEEENS9_16discard_iteratorINS9_11use_defaultEEEy11max_functorIyEyEEDaPvRmT3_T4_T5_mT6_P12ihipStream_tbENKUlT_T0_E_clISt17integral_constantIbLb1EESX_EEDaSS_ST_EUlSS_E0_NS1_11comp_targetILNS1_3genE10ELNS1_11target_archE1200ELNS1_3gpuE4ELNS1_3repE0EEENS1_30default_config_static_selectorELNS0_4arch9wavefront6targetE1EEEvT1_
    .private_segment_fixed_size: 0
    .sgpr_count:     4
    .sgpr_spill_count: 0
    .symbol:         _ZN7rocprim17ROCPRIM_400000_NS6detail17trampoline_kernelINS0_14default_configENS1_20scan_config_selectorIyEEZZNS1_9scan_implILNS1_25lookback_scan_determinismE0ELb0ELb0ES3_N6thrust23THRUST_200600_302600_NS6detail15normal_iteratorINS9_10device_ptrIyEEEENS9_16discard_iteratorINS9_11use_defaultEEEy11max_functorIyEyEEDaPvRmT3_T4_T5_mT6_P12ihipStream_tbENKUlT_T0_E_clISt17integral_constantIbLb1EESX_EEDaSS_ST_EUlSS_E0_NS1_11comp_targetILNS1_3genE10ELNS1_11target_archE1200ELNS1_3gpuE4ELNS1_3repE0EEENS1_30default_config_static_selectorELNS0_4arch9wavefront6targetE1EEEvT1_.kd
    .uniform_work_group_size: 1
    .uses_dynamic_stack: false
    .vgpr_count:     0
    .vgpr_spill_count: 0
    .wavefront_size: 64
  - .agpr_count:     0
    .args:
      - .offset:         0
        .size:           48
        .value_kind:     by_value
    .group_segment_fixed_size: 0
    .kernarg_segment_align: 8
    .kernarg_segment_size: 48
    .language:       OpenCL C
    .language_version:
      - 2
      - 0
    .max_flat_workgroup_size: 256
    .name:           _ZN7rocprim17ROCPRIM_400000_NS6detail17trampoline_kernelINS0_14default_configENS1_20scan_config_selectorIyEEZZNS1_9scan_implILNS1_25lookback_scan_determinismE0ELb0ELb0ES3_N6thrust23THRUST_200600_302600_NS6detail15normal_iteratorINS9_10device_ptrIyEEEENS9_16discard_iteratorINS9_11use_defaultEEEy11max_functorIyEyEEDaPvRmT3_T4_T5_mT6_P12ihipStream_tbENKUlT_T0_E_clISt17integral_constantIbLb1EESX_EEDaSS_ST_EUlSS_E0_NS1_11comp_targetILNS1_3genE9ELNS1_11target_archE1100ELNS1_3gpuE3ELNS1_3repE0EEENS1_30default_config_static_selectorELNS0_4arch9wavefront6targetE1EEEvT1_
    .private_segment_fixed_size: 0
    .sgpr_count:     4
    .sgpr_spill_count: 0
    .symbol:         _ZN7rocprim17ROCPRIM_400000_NS6detail17trampoline_kernelINS0_14default_configENS1_20scan_config_selectorIyEEZZNS1_9scan_implILNS1_25lookback_scan_determinismE0ELb0ELb0ES3_N6thrust23THRUST_200600_302600_NS6detail15normal_iteratorINS9_10device_ptrIyEEEENS9_16discard_iteratorINS9_11use_defaultEEEy11max_functorIyEyEEDaPvRmT3_T4_T5_mT6_P12ihipStream_tbENKUlT_T0_E_clISt17integral_constantIbLb1EESX_EEDaSS_ST_EUlSS_E0_NS1_11comp_targetILNS1_3genE9ELNS1_11target_archE1100ELNS1_3gpuE3ELNS1_3repE0EEENS1_30default_config_static_selectorELNS0_4arch9wavefront6targetE1EEEvT1_.kd
    .uniform_work_group_size: 1
    .uses_dynamic_stack: false
    .vgpr_count:     0
    .vgpr_spill_count: 0
    .wavefront_size: 64
  - .agpr_count:     0
    .args:
      - .offset:         0
        .size:           48
        .value_kind:     by_value
    .group_segment_fixed_size: 0
    .kernarg_segment_align: 8
    .kernarg_segment_size: 48
    .language:       OpenCL C
    .language_version:
      - 2
      - 0
    .max_flat_workgroup_size: 256
    .name:           _ZN7rocprim17ROCPRIM_400000_NS6detail17trampoline_kernelINS0_14default_configENS1_20scan_config_selectorIyEEZZNS1_9scan_implILNS1_25lookback_scan_determinismE0ELb0ELb0ES3_N6thrust23THRUST_200600_302600_NS6detail15normal_iteratorINS9_10device_ptrIyEEEENS9_16discard_iteratorINS9_11use_defaultEEEy11max_functorIyEyEEDaPvRmT3_T4_T5_mT6_P12ihipStream_tbENKUlT_T0_E_clISt17integral_constantIbLb1EESX_EEDaSS_ST_EUlSS_E0_NS1_11comp_targetILNS1_3genE8ELNS1_11target_archE1030ELNS1_3gpuE2ELNS1_3repE0EEENS1_30default_config_static_selectorELNS0_4arch9wavefront6targetE1EEEvT1_
    .private_segment_fixed_size: 0
    .sgpr_count:     4
    .sgpr_spill_count: 0
    .symbol:         _ZN7rocprim17ROCPRIM_400000_NS6detail17trampoline_kernelINS0_14default_configENS1_20scan_config_selectorIyEEZZNS1_9scan_implILNS1_25lookback_scan_determinismE0ELb0ELb0ES3_N6thrust23THRUST_200600_302600_NS6detail15normal_iteratorINS9_10device_ptrIyEEEENS9_16discard_iteratorINS9_11use_defaultEEEy11max_functorIyEyEEDaPvRmT3_T4_T5_mT6_P12ihipStream_tbENKUlT_T0_E_clISt17integral_constantIbLb1EESX_EEDaSS_ST_EUlSS_E0_NS1_11comp_targetILNS1_3genE8ELNS1_11target_archE1030ELNS1_3gpuE2ELNS1_3repE0EEENS1_30default_config_static_selectorELNS0_4arch9wavefront6targetE1EEEvT1_.kd
    .uniform_work_group_size: 1
    .uses_dynamic_stack: false
    .vgpr_count:     0
    .vgpr_spill_count: 0
    .wavefront_size: 64
  - .agpr_count:     0
    .args:
      - .offset:         0
        .size:           112
        .value_kind:     by_value
    .group_segment_fixed_size: 0
    .kernarg_segment_align: 8
    .kernarg_segment_size: 112
    .language:       OpenCL C
    .language_version:
      - 2
      - 0
    .max_flat_workgroup_size: 256
    .name:           _ZN7rocprim17ROCPRIM_400000_NS6detail17trampoline_kernelINS0_14default_configENS1_20scan_config_selectorIyEEZZNS1_9scan_implILNS1_25lookback_scan_determinismE0ELb0ELb0ES3_N6thrust23THRUST_200600_302600_NS6detail15normal_iteratorINS9_10device_ptrIyEEEENS9_16discard_iteratorINS9_11use_defaultEEEy11max_functorIyEyEEDaPvRmT3_T4_T5_mT6_P12ihipStream_tbENKUlT_T0_E_clISt17integral_constantIbLb1EESW_IbLb0EEEEDaSS_ST_EUlSS_E_NS1_11comp_targetILNS1_3genE0ELNS1_11target_archE4294967295ELNS1_3gpuE0ELNS1_3repE0EEENS1_30default_config_static_selectorELNS0_4arch9wavefront6targetE1EEEvT1_
    .private_segment_fixed_size: 0
    .sgpr_count:     4
    .sgpr_spill_count: 0
    .symbol:         _ZN7rocprim17ROCPRIM_400000_NS6detail17trampoline_kernelINS0_14default_configENS1_20scan_config_selectorIyEEZZNS1_9scan_implILNS1_25lookback_scan_determinismE0ELb0ELb0ES3_N6thrust23THRUST_200600_302600_NS6detail15normal_iteratorINS9_10device_ptrIyEEEENS9_16discard_iteratorINS9_11use_defaultEEEy11max_functorIyEyEEDaPvRmT3_T4_T5_mT6_P12ihipStream_tbENKUlT_T0_E_clISt17integral_constantIbLb1EESW_IbLb0EEEEDaSS_ST_EUlSS_E_NS1_11comp_targetILNS1_3genE0ELNS1_11target_archE4294967295ELNS1_3gpuE0ELNS1_3repE0EEENS1_30default_config_static_selectorELNS0_4arch9wavefront6targetE1EEEvT1_.kd
    .uniform_work_group_size: 1
    .uses_dynamic_stack: false
    .vgpr_count:     0
    .vgpr_spill_count: 0
    .wavefront_size: 64
  - .agpr_count:     0
    .args:
      - .offset:         0
        .size:           112
        .value_kind:     by_value
    .group_segment_fixed_size: 0
    .kernarg_segment_align: 8
    .kernarg_segment_size: 112
    .language:       OpenCL C
    .language_version:
      - 2
      - 0
    .max_flat_workgroup_size: 256
    .name:           _ZN7rocprim17ROCPRIM_400000_NS6detail17trampoline_kernelINS0_14default_configENS1_20scan_config_selectorIyEEZZNS1_9scan_implILNS1_25lookback_scan_determinismE0ELb0ELb0ES3_N6thrust23THRUST_200600_302600_NS6detail15normal_iteratorINS9_10device_ptrIyEEEENS9_16discard_iteratorINS9_11use_defaultEEEy11max_functorIyEyEEDaPvRmT3_T4_T5_mT6_P12ihipStream_tbENKUlT_T0_E_clISt17integral_constantIbLb1EESW_IbLb0EEEEDaSS_ST_EUlSS_E_NS1_11comp_targetILNS1_3genE5ELNS1_11target_archE942ELNS1_3gpuE9ELNS1_3repE0EEENS1_30default_config_static_selectorELNS0_4arch9wavefront6targetE1EEEvT1_
    .private_segment_fixed_size: 0
    .sgpr_count:     4
    .sgpr_spill_count: 0
    .symbol:         _ZN7rocprim17ROCPRIM_400000_NS6detail17trampoline_kernelINS0_14default_configENS1_20scan_config_selectorIyEEZZNS1_9scan_implILNS1_25lookback_scan_determinismE0ELb0ELb0ES3_N6thrust23THRUST_200600_302600_NS6detail15normal_iteratorINS9_10device_ptrIyEEEENS9_16discard_iteratorINS9_11use_defaultEEEy11max_functorIyEyEEDaPvRmT3_T4_T5_mT6_P12ihipStream_tbENKUlT_T0_E_clISt17integral_constantIbLb1EESW_IbLb0EEEEDaSS_ST_EUlSS_E_NS1_11comp_targetILNS1_3genE5ELNS1_11target_archE942ELNS1_3gpuE9ELNS1_3repE0EEENS1_30default_config_static_selectorELNS0_4arch9wavefront6targetE1EEEvT1_.kd
    .uniform_work_group_size: 1
    .uses_dynamic_stack: false
    .vgpr_count:     0
    .vgpr_spill_count: 0
    .wavefront_size: 64
  - .agpr_count:     0
    .args:
      - .offset:         0
        .size:           112
        .value_kind:     by_value
    .group_segment_fixed_size: 7168
    .kernarg_segment_align: 8
    .kernarg_segment_size: 112
    .language:       OpenCL C
    .language_version:
      - 2
      - 0
    .max_flat_workgroup_size: 128
    .name:           _ZN7rocprim17ROCPRIM_400000_NS6detail17trampoline_kernelINS0_14default_configENS1_20scan_config_selectorIyEEZZNS1_9scan_implILNS1_25lookback_scan_determinismE0ELb0ELb0ES3_N6thrust23THRUST_200600_302600_NS6detail15normal_iteratorINS9_10device_ptrIyEEEENS9_16discard_iteratorINS9_11use_defaultEEEy11max_functorIyEyEEDaPvRmT3_T4_T5_mT6_P12ihipStream_tbENKUlT_T0_E_clISt17integral_constantIbLb1EESW_IbLb0EEEEDaSS_ST_EUlSS_E_NS1_11comp_targetILNS1_3genE4ELNS1_11target_archE910ELNS1_3gpuE8ELNS1_3repE0EEENS1_30default_config_static_selectorELNS0_4arch9wavefront6targetE1EEEvT1_
    .private_segment_fixed_size: 0
    .sgpr_count:     28
    .sgpr_spill_count: 0
    .symbol:         _ZN7rocprim17ROCPRIM_400000_NS6detail17trampoline_kernelINS0_14default_configENS1_20scan_config_selectorIyEEZZNS1_9scan_implILNS1_25lookback_scan_determinismE0ELb0ELb0ES3_N6thrust23THRUST_200600_302600_NS6detail15normal_iteratorINS9_10device_ptrIyEEEENS9_16discard_iteratorINS9_11use_defaultEEEy11max_functorIyEyEEDaPvRmT3_T4_T5_mT6_P12ihipStream_tbENKUlT_T0_E_clISt17integral_constantIbLb1EESW_IbLb0EEEEDaSS_ST_EUlSS_E_NS1_11comp_targetILNS1_3genE4ELNS1_11target_archE910ELNS1_3gpuE8ELNS1_3repE0EEENS1_30default_config_static_selectorELNS0_4arch9wavefront6targetE1EEEvT1_.kd
    .uniform_work_group_size: 1
    .uses_dynamic_stack: false
    .vgpr_count:     57
    .vgpr_spill_count: 0
    .wavefront_size: 64
  - .agpr_count:     0
    .args:
      - .offset:         0
        .size:           112
        .value_kind:     by_value
    .group_segment_fixed_size: 0
    .kernarg_segment_align: 8
    .kernarg_segment_size: 112
    .language:       OpenCL C
    .language_version:
      - 2
      - 0
    .max_flat_workgroup_size: 256
    .name:           _ZN7rocprim17ROCPRIM_400000_NS6detail17trampoline_kernelINS0_14default_configENS1_20scan_config_selectorIyEEZZNS1_9scan_implILNS1_25lookback_scan_determinismE0ELb0ELb0ES3_N6thrust23THRUST_200600_302600_NS6detail15normal_iteratorINS9_10device_ptrIyEEEENS9_16discard_iteratorINS9_11use_defaultEEEy11max_functorIyEyEEDaPvRmT3_T4_T5_mT6_P12ihipStream_tbENKUlT_T0_E_clISt17integral_constantIbLb1EESW_IbLb0EEEEDaSS_ST_EUlSS_E_NS1_11comp_targetILNS1_3genE3ELNS1_11target_archE908ELNS1_3gpuE7ELNS1_3repE0EEENS1_30default_config_static_selectorELNS0_4arch9wavefront6targetE1EEEvT1_
    .private_segment_fixed_size: 0
    .sgpr_count:     4
    .sgpr_spill_count: 0
    .symbol:         _ZN7rocprim17ROCPRIM_400000_NS6detail17trampoline_kernelINS0_14default_configENS1_20scan_config_selectorIyEEZZNS1_9scan_implILNS1_25lookback_scan_determinismE0ELb0ELb0ES3_N6thrust23THRUST_200600_302600_NS6detail15normal_iteratorINS9_10device_ptrIyEEEENS9_16discard_iteratorINS9_11use_defaultEEEy11max_functorIyEyEEDaPvRmT3_T4_T5_mT6_P12ihipStream_tbENKUlT_T0_E_clISt17integral_constantIbLb1EESW_IbLb0EEEEDaSS_ST_EUlSS_E_NS1_11comp_targetILNS1_3genE3ELNS1_11target_archE908ELNS1_3gpuE7ELNS1_3repE0EEENS1_30default_config_static_selectorELNS0_4arch9wavefront6targetE1EEEvT1_.kd
    .uniform_work_group_size: 1
    .uses_dynamic_stack: false
    .vgpr_count:     0
    .vgpr_spill_count: 0
    .wavefront_size: 64
  - .agpr_count:     0
    .args:
      - .offset:         0
        .size:           112
        .value_kind:     by_value
    .group_segment_fixed_size: 0
    .kernarg_segment_align: 8
    .kernarg_segment_size: 112
    .language:       OpenCL C
    .language_version:
      - 2
      - 0
    .max_flat_workgroup_size: 64
    .name:           _ZN7rocprim17ROCPRIM_400000_NS6detail17trampoline_kernelINS0_14default_configENS1_20scan_config_selectorIyEEZZNS1_9scan_implILNS1_25lookback_scan_determinismE0ELb0ELb0ES3_N6thrust23THRUST_200600_302600_NS6detail15normal_iteratorINS9_10device_ptrIyEEEENS9_16discard_iteratorINS9_11use_defaultEEEy11max_functorIyEyEEDaPvRmT3_T4_T5_mT6_P12ihipStream_tbENKUlT_T0_E_clISt17integral_constantIbLb1EESW_IbLb0EEEEDaSS_ST_EUlSS_E_NS1_11comp_targetILNS1_3genE2ELNS1_11target_archE906ELNS1_3gpuE6ELNS1_3repE0EEENS1_30default_config_static_selectorELNS0_4arch9wavefront6targetE1EEEvT1_
    .private_segment_fixed_size: 0
    .sgpr_count:     4
    .sgpr_spill_count: 0
    .symbol:         _ZN7rocprim17ROCPRIM_400000_NS6detail17trampoline_kernelINS0_14default_configENS1_20scan_config_selectorIyEEZZNS1_9scan_implILNS1_25lookback_scan_determinismE0ELb0ELb0ES3_N6thrust23THRUST_200600_302600_NS6detail15normal_iteratorINS9_10device_ptrIyEEEENS9_16discard_iteratorINS9_11use_defaultEEEy11max_functorIyEyEEDaPvRmT3_T4_T5_mT6_P12ihipStream_tbENKUlT_T0_E_clISt17integral_constantIbLb1EESW_IbLb0EEEEDaSS_ST_EUlSS_E_NS1_11comp_targetILNS1_3genE2ELNS1_11target_archE906ELNS1_3gpuE6ELNS1_3repE0EEENS1_30default_config_static_selectorELNS0_4arch9wavefront6targetE1EEEvT1_.kd
    .uniform_work_group_size: 1
    .uses_dynamic_stack: false
    .vgpr_count:     0
    .vgpr_spill_count: 0
    .wavefront_size: 64
  - .agpr_count:     0
    .args:
      - .offset:         0
        .size:           112
        .value_kind:     by_value
    .group_segment_fixed_size: 0
    .kernarg_segment_align: 8
    .kernarg_segment_size: 112
    .language:       OpenCL C
    .language_version:
      - 2
      - 0
    .max_flat_workgroup_size: 256
    .name:           _ZN7rocprim17ROCPRIM_400000_NS6detail17trampoline_kernelINS0_14default_configENS1_20scan_config_selectorIyEEZZNS1_9scan_implILNS1_25lookback_scan_determinismE0ELb0ELb0ES3_N6thrust23THRUST_200600_302600_NS6detail15normal_iteratorINS9_10device_ptrIyEEEENS9_16discard_iteratorINS9_11use_defaultEEEy11max_functorIyEyEEDaPvRmT3_T4_T5_mT6_P12ihipStream_tbENKUlT_T0_E_clISt17integral_constantIbLb1EESW_IbLb0EEEEDaSS_ST_EUlSS_E_NS1_11comp_targetILNS1_3genE10ELNS1_11target_archE1201ELNS1_3gpuE5ELNS1_3repE0EEENS1_30default_config_static_selectorELNS0_4arch9wavefront6targetE1EEEvT1_
    .private_segment_fixed_size: 0
    .sgpr_count:     4
    .sgpr_spill_count: 0
    .symbol:         _ZN7rocprim17ROCPRIM_400000_NS6detail17trampoline_kernelINS0_14default_configENS1_20scan_config_selectorIyEEZZNS1_9scan_implILNS1_25lookback_scan_determinismE0ELb0ELb0ES3_N6thrust23THRUST_200600_302600_NS6detail15normal_iteratorINS9_10device_ptrIyEEEENS9_16discard_iteratorINS9_11use_defaultEEEy11max_functorIyEyEEDaPvRmT3_T4_T5_mT6_P12ihipStream_tbENKUlT_T0_E_clISt17integral_constantIbLb1EESW_IbLb0EEEEDaSS_ST_EUlSS_E_NS1_11comp_targetILNS1_3genE10ELNS1_11target_archE1201ELNS1_3gpuE5ELNS1_3repE0EEENS1_30default_config_static_selectorELNS0_4arch9wavefront6targetE1EEEvT1_.kd
    .uniform_work_group_size: 1
    .uses_dynamic_stack: false
    .vgpr_count:     0
    .vgpr_spill_count: 0
    .wavefront_size: 64
  - .agpr_count:     0
    .args:
      - .offset:         0
        .size:           112
        .value_kind:     by_value
    .group_segment_fixed_size: 0
    .kernarg_segment_align: 8
    .kernarg_segment_size: 112
    .language:       OpenCL C
    .language_version:
      - 2
      - 0
    .max_flat_workgroup_size: 256
    .name:           _ZN7rocprim17ROCPRIM_400000_NS6detail17trampoline_kernelINS0_14default_configENS1_20scan_config_selectorIyEEZZNS1_9scan_implILNS1_25lookback_scan_determinismE0ELb0ELb0ES3_N6thrust23THRUST_200600_302600_NS6detail15normal_iteratorINS9_10device_ptrIyEEEENS9_16discard_iteratorINS9_11use_defaultEEEy11max_functorIyEyEEDaPvRmT3_T4_T5_mT6_P12ihipStream_tbENKUlT_T0_E_clISt17integral_constantIbLb1EESW_IbLb0EEEEDaSS_ST_EUlSS_E_NS1_11comp_targetILNS1_3genE10ELNS1_11target_archE1200ELNS1_3gpuE4ELNS1_3repE0EEENS1_30default_config_static_selectorELNS0_4arch9wavefront6targetE1EEEvT1_
    .private_segment_fixed_size: 0
    .sgpr_count:     4
    .sgpr_spill_count: 0
    .symbol:         _ZN7rocprim17ROCPRIM_400000_NS6detail17trampoline_kernelINS0_14default_configENS1_20scan_config_selectorIyEEZZNS1_9scan_implILNS1_25lookback_scan_determinismE0ELb0ELb0ES3_N6thrust23THRUST_200600_302600_NS6detail15normal_iteratorINS9_10device_ptrIyEEEENS9_16discard_iteratorINS9_11use_defaultEEEy11max_functorIyEyEEDaPvRmT3_T4_T5_mT6_P12ihipStream_tbENKUlT_T0_E_clISt17integral_constantIbLb1EESW_IbLb0EEEEDaSS_ST_EUlSS_E_NS1_11comp_targetILNS1_3genE10ELNS1_11target_archE1200ELNS1_3gpuE4ELNS1_3repE0EEENS1_30default_config_static_selectorELNS0_4arch9wavefront6targetE1EEEvT1_.kd
    .uniform_work_group_size: 1
    .uses_dynamic_stack: false
    .vgpr_count:     0
    .vgpr_spill_count: 0
    .wavefront_size: 64
  - .agpr_count:     0
    .args:
      - .offset:         0
        .size:           112
        .value_kind:     by_value
    .group_segment_fixed_size: 0
    .kernarg_segment_align: 8
    .kernarg_segment_size: 112
    .language:       OpenCL C
    .language_version:
      - 2
      - 0
    .max_flat_workgroup_size: 256
    .name:           _ZN7rocprim17ROCPRIM_400000_NS6detail17trampoline_kernelINS0_14default_configENS1_20scan_config_selectorIyEEZZNS1_9scan_implILNS1_25lookback_scan_determinismE0ELb0ELb0ES3_N6thrust23THRUST_200600_302600_NS6detail15normal_iteratorINS9_10device_ptrIyEEEENS9_16discard_iteratorINS9_11use_defaultEEEy11max_functorIyEyEEDaPvRmT3_T4_T5_mT6_P12ihipStream_tbENKUlT_T0_E_clISt17integral_constantIbLb1EESW_IbLb0EEEEDaSS_ST_EUlSS_E_NS1_11comp_targetILNS1_3genE9ELNS1_11target_archE1100ELNS1_3gpuE3ELNS1_3repE0EEENS1_30default_config_static_selectorELNS0_4arch9wavefront6targetE1EEEvT1_
    .private_segment_fixed_size: 0
    .sgpr_count:     4
    .sgpr_spill_count: 0
    .symbol:         _ZN7rocprim17ROCPRIM_400000_NS6detail17trampoline_kernelINS0_14default_configENS1_20scan_config_selectorIyEEZZNS1_9scan_implILNS1_25lookback_scan_determinismE0ELb0ELb0ES3_N6thrust23THRUST_200600_302600_NS6detail15normal_iteratorINS9_10device_ptrIyEEEENS9_16discard_iteratorINS9_11use_defaultEEEy11max_functorIyEyEEDaPvRmT3_T4_T5_mT6_P12ihipStream_tbENKUlT_T0_E_clISt17integral_constantIbLb1EESW_IbLb0EEEEDaSS_ST_EUlSS_E_NS1_11comp_targetILNS1_3genE9ELNS1_11target_archE1100ELNS1_3gpuE3ELNS1_3repE0EEENS1_30default_config_static_selectorELNS0_4arch9wavefront6targetE1EEEvT1_.kd
    .uniform_work_group_size: 1
    .uses_dynamic_stack: false
    .vgpr_count:     0
    .vgpr_spill_count: 0
    .wavefront_size: 64
  - .agpr_count:     0
    .args:
      - .offset:         0
        .size:           112
        .value_kind:     by_value
    .group_segment_fixed_size: 0
    .kernarg_segment_align: 8
    .kernarg_segment_size: 112
    .language:       OpenCL C
    .language_version:
      - 2
      - 0
    .max_flat_workgroup_size: 256
    .name:           _ZN7rocprim17ROCPRIM_400000_NS6detail17trampoline_kernelINS0_14default_configENS1_20scan_config_selectorIyEEZZNS1_9scan_implILNS1_25lookback_scan_determinismE0ELb0ELb0ES3_N6thrust23THRUST_200600_302600_NS6detail15normal_iteratorINS9_10device_ptrIyEEEENS9_16discard_iteratorINS9_11use_defaultEEEy11max_functorIyEyEEDaPvRmT3_T4_T5_mT6_P12ihipStream_tbENKUlT_T0_E_clISt17integral_constantIbLb1EESW_IbLb0EEEEDaSS_ST_EUlSS_E_NS1_11comp_targetILNS1_3genE8ELNS1_11target_archE1030ELNS1_3gpuE2ELNS1_3repE0EEENS1_30default_config_static_selectorELNS0_4arch9wavefront6targetE1EEEvT1_
    .private_segment_fixed_size: 0
    .sgpr_count:     4
    .sgpr_spill_count: 0
    .symbol:         _ZN7rocprim17ROCPRIM_400000_NS6detail17trampoline_kernelINS0_14default_configENS1_20scan_config_selectorIyEEZZNS1_9scan_implILNS1_25lookback_scan_determinismE0ELb0ELb0ES3_N6thrust23THRUST_200600_302600_NS6detail15normal_iteratorINS9_10device_ptrIyEEEENS9_16discard_iteratorINS9_11use_defaultEEEy11max_functorIyEyEEDaPvRmT3_T4_T5_mT6_P12ihipStream_tbENKUlT_T0_E_clISt17integral_constantIbLb1EESW_IbLb0EEEEDaSS_ST_EUlSS_E_NS1_11comp_targetILNS1_3genE8ELNS1_11target_archE1030ELNS1_3gpuE2ELNS1_3repE0EEENS1_30default_config_static_selectorELNS0_4arch9wavefront6targetE1EEEvT1_.kd
    .uniform_work_group_size: 1
    .uses_dynamic_stack: false
    .vgpr_count:     0
    .vgpr_spill_count: 0
    .wavefront_size: 64
  - .agpr_count:     0
    .args:
      - .offset:         0
        .size:           48
        .value_kind:     by_value
    .group_segment_fixed_size: 0
    .kernarg_segment_align: 8
    .kernarg_segment_size: 48
    .language:       OpenCL C
    .language_version:
      - 2
      - 0
    .max_flat_workgroup_size: 256
    .name:           _ZN7rocprim17ROCPRIM_400000_NS6detail17trampoline_kernelINS0_14default_configENS1_20scan_config_selectorIyEEZZNS1_9scan_implILNS1_25lookback_scan_determinismE0ELb0ELb0ES3_N6thrust23THRUST_200600_302600_NS6detail15normal_iteratorINS9_10device_ptrIyEEEENS9_16discard_iteratorINS9_11use_defaultEEEy11max_functorIyEyEEDaPvRmT3_T4_T5_mT6_P12ihipStream_tbENKUlT_T0_E_clISt17integral_constantIbLb1EESW_IbLb0EEEEDaSS_ST_EUlSS_E0_NS1_11comp_targetILNS1_3genE0ELNS1_11target_archE4294967295ELNS1_3gpuE0ELNS1_3repE0EEENS1_30default_config_static_selectorELNS0_4arch9wavefront6targetE1EEEvT1_
    .private_segment_fixed_size: 0
    .sgpr_count:     4
    .sgpr_spill_count: 0
    .symbol:         _ZN7rocprim17ROCPRIM_400000_NS6detail17trampoline_kernelINS0_14default_configENS1_20scan_config_selectorIyEEZZNS1_9scan_implILNS1_25lookback_scan_determinismE0ELb0ELb0ES3_N6thrust23THRUST_200600_302600_NS6detail15normal_iteratorINS9_10device_ptrIyEEEENS9_16discard_iteratorINS9_11use_defaultEEEy11max_functorIyEyEEDaPvRmT3_T4_T5_mT6_P12ihipStream_tbENKUlT_T0_E_clISt17integral_constantIbLb1EESW_IbLb0EEEEDaSS_ST_EUlSS_E0_NS1_11comp_targetILNS1_3genE0ELNS1_11target_archE4294967295ELNS1_3gpuE0ELNS1_3repE0EEENS1_30default_config_static_selectorELNS0_4arch9wavefront6targetE1EEEvT1_.kd
    .uniform_work_group_size: 1
    .uses_dynamic_stack: false
    .vgpr_count:     0
    .vgpr_spill_count: 0
    .wavefront_size: 64
  - .agpr_count:     0
    .args:
      - .offset:         0
        .size:           48
        .value_kind:     by_value
    .group_segment_fixed_size: 0
    .kernarg_segment_align: 8
    .kernarg_segment_size: 48
    .language:       OpenCL C
    .language_version:
      - 2
      - 0
    .max_flat_workgroup_size: 256
    .name:           _ZN7rocprim17ROCPRIM_400000_NS6detail17trampoline_kernelINS0_14default_configENS1_20scan_config_selectorIyEEZZNS1_9scan_implILNS1_25lookback_scan_determinismE0ELb0ELb0ES3_N6thrust23THRUST_200600_302600_NS6detail15normal_iteratorINS9_10device_ptrIyEEEENS9_16discard_iteratorINS9_11use_defaultEEEy11max_functorIyEyEEDaPvRmT3_T4_T5_mT6_P12ihipStream_tbENKUlT_T0_E_clISt17integral_constantIbLb1EESW_IbLb0EEEEDaSS_ST_EUlSS_E0_NS1_11comp_targetILNS1_3genE5ELNS1_11target_archE942ELNS1_3gpuE9ELNS1_3repE0EEENS1_30default_config_static_selectorELNS0_4arch9wavefront6targetE1EEEvT1_
    .private_segment_fixed_size: 0
    .sgpr_count:     4
    .sgpr_spill_count: 0
    .symbol:         _ZN7rocprim17ROCPRIM_400000_NS6detail17trampoline_kernelINS0_14default_configENS1_20scan_config_selectorIyEEZZNS1_9scan_implILNS1_25lookback_scan_determinismE0ELb0ELb0ES3_N6thrust23THRUST_200600_302600_NS6detail15normal_iteratorINS9_10device_ptrIyEEEENS9_16discard_iteratorINS9_11use_defaultEEEy11max_functorIyEyEEDaPvRmT3_T4_T5_mT6_P12ihipStream_tbENKUlT_T0_E_clISt17integral_constantIbLb1EESW_IbLb0EEEEDaSS_ST_EUlSS_E0_NS1_11comp_targetILNS1_3genE5ELNS1_11target_archE942ELNS1_3gpuE9ELNS1_3repE0EEENS1_30default_config_static_selectorELNS0_4arch9wavefront6targetE1EEEvT1_.kd
    .uniform_work_group_size: 1
    .uses_dynamic_stack: false
    .vgpr_count:     0
    .vgpr_spill_count: 0
    .wavefront_size: 64
  - .agpr_count:     0
    .args:
      - .offset:         0
        .size:           48
        .value_kind:     by_value
    .group_segment_fixed_size: 7168
    .kernarg_segment_align: 8
    .kernarg_segment_size: 48
    .language:       OpenCL C
    .language_version:
      - 2
      - 0
    .max_flat_workgroup_size: 128
    .name:           _ZN7rocprim17ROCPRIM_400000_NS6detail17trampoline_kernelINS0_14default_configENS1_20scan_config_selectorIyEEZZNS1_9scan_implILNS1_25lookback_scan_determinismE0ELb0ELb0ES3_N6thrust23THRUST_200600_302600_NS6detail15normal_iteratorINS9_10device_ptrIyEEEENS9_16discard_iteratorINS9_11use_defaultEEEy11max_functorIyEyEEDaPvRmT3_T4_T5_mT6_P12ihipStream_tbENKUlT_T0_E_clISt17integral_constantIbLb1EESW_IbLb0EEEEDaSS_ST_EUlSS_E0_NS1_11comp_targetILNS1_3genE4ELNS1_11target_archE910ELNS1_3gpuE8ELNS1_3repE0EEENS1_30default_config_static_selectorELNS0_4arch9wavefront6targetE1EEEvT1_
    .private_segment_fixed_size: 0
    .sgpr_count:     12
    .sgpr_spill_count: 0
    .symbol:         _ZN7rocprim17ROCPRIM_400000_NS6detail17trampoline_kernelINS0_14default_configENS1_20scan_config_selectorIyEEZZNS1_9scan_implILNS1_25lookback_scan_determinismE0ELb0ELb0ES3_N6thrust23THRUST_200600_302600_NS6detail15normal_iteratorINS9_10device_ptrIyEEEENS9_16discard_iteratorINS9_11use_defaultEEEy11max_functorIyEyEEDaPvRmT3_T4_T5_mT6_P12ihipStream_tbENKUlT_T0_E_clISt17integral_constantIbLb1EESW_IbLb0EEEEDaSS_ST_EUlSS_E0_NS1_11comp_targetILNS1_3genE4ELNS1_11target_archE910ELNS1_3gpuE8ELNS1_3repE0EEENS1_30default_config_static_selectorELNS0_4arch9wavefront6targetE1EEEvT1_.kd
    .uniform_work_group_size: 1
    .uses_dynamic_stack: false
    .vgpr_count:     41
    .vgpr_spill_count: 0
    .wavefront_size: 64
  - .agpr_count:     0
    .args:
      - .offset:         0
        .size:           48
        .value_kind:     by_value
    .group_segment_fixed_size: 0
    .kernarg_segment_align: 8
    .kernarg_segment_size: 48
    .language:       OpenCL C
    .language_version:
      - 2
      - 0
    .max_flat_workgroup_size: 256
    .name:           _ZN7rocprim17ROCPRIM_400000_NS6detail17trampoline_kernelINS0_14default_configENS1_20scan_config_selectorIyEEZZNS1_9scan_implILNS1_25lookback_scan_determinismE0ELb0ELb0ES3_N6thrust23THRUST_200600_302600_NS6detail15normal_iteratorINS9_10device_ptrIyEEEENS9_16discard_iteratorINS9_11use_defaultEEEy11max_functorIyEyEEDaPvRmT3_T4_T5_mT6_P12ihipStream_tbENKUlT_T0_E_clISt17integral_constantIbLb1EESW_IbLb0EEEEDaSS_ST_EUlSS_E0_NS1_11comp_targetILNS1_3genE3ELNS1_11target_archE908ELNS1_3gpuE7ELNS1_3repE0EEENS1_30default_config_static_selectorELNS0_4arch9wavefront6targetE1EEEvT1_
    .private_segment_fixed_size: 0
    .sgpr_count:     4
    .sgpr_spill_count: 0
    .symbol:         _ZN7rocprim17ROCPRIM_400000_NS6detail17trampoline_kernelINS0_14default_configENS1_20scan_config_selectorIyEEZZNS1_9scan_implILNS1_25lookback_scan_determinismE0ELb0ELb0ES3_N6thrust23THRUST_200600_302600_NS6detail15normal_iteratorINS9_10device_ptrIyEEEENS9_16discard_iteratorINS9_11use_defaultEEEy11max_functorIyEyEEDaPvRmT3_T4_T5_mT6_P12ihipStream_tbENKUlT_T0_E_clISt17integral_constantIbLb1EESW_IbLb0EEEEDaSS_ST_EUlSS_E0_NS1_11comp_targetILNS1_3genE3ELNS1_11target_archE908ELNS1_3gpuE7ELNS1_3repE0EEENS1_30default_config_static_selectorELNS0_4arch9wavefront6targetE1EEEvT1_.kd
    .uniform_work_group_size: 1
    .uses_dynamic_stack: false
    .vgpr_count:     0
    .vgpr_spill_count: 0
    .wavefront_size: 64
  - .agpr_count:     0
    .args:
      - .offset:         0
        .size:           48
        .value_kind:     by_value
    .group_segment_fixed_size: 0
    .kernarg_segment_align: 8
    .kernarg_segment_size: 48
    .language:       OpenCL C
    .language_version:
      - 2
      - 0
    .max_flat_workgroup_size: 64
    .name:           _ZN7rocprim17ROCPRIM_400000_NS6detail17trampoline_kernelINS0_14default_configENS1_20scan_config_selectorIyEEZZNS1_9scan_implILNS1_25lookback_scan_determinismE0ELb0ELb0ES3_N6thrust23THRUST_200600_302600_NS6detail15normal_iteratorINS9_10device_ptrIyEEEENS9_16discard_iteratorINS9_11use_defaultEEEy11max_functorIyEyEEDaPvRmT3_T4_T5_mT6_P12ihipStream_tbENKUlT_T0_E_clISt17integral_constantIbLb1EESW_IbLb0EEEEDaSS_ST_EUlSS_E0_NS1_11comp_targetILNS1_3genE2ELNS1_11target_archE906ELNS1_3gpuE6ELNS1_3repE0EEENS1_30default_config_static_selectorELNS0_4arch9wavefront6targetE1EEEvT1_
    .private_segment_fixed_size: 0
    .sgpr_count:     4
    .sgpr_spill_count: 0
    .symbol:         _ZN7rocprim17ROCPRIM_400000_NS6detail17trampoline_kernelINS0_14default_configENS1_20scan_config_selectorIyEEZZNS1_9scan_implILNS1_25lookback_scan_determinismE0ELb0ELb0ES3_N6thrust23THRUST_200600_302600_NS6detail15normal_iteratorINS9_10device_ptrIyEEEENS9_16discard_iteratorINS9_11use_defaultEEEy11max_functorIyEyEEDaPvRmT3_T4_T5_mT6_P12ihipStream_tbENKUlT_T0_E_clISt17integral_constantIbLb1EESW_IbLb0EEEEDaSS_ST_EUlSS_E0_NS1_11comp_targetILNS1_3genE2ELNS1_11target_archE906ELNS1_3gpuE6ELNS1_3repE0EEENS1_30default_config_static_selectorELNS0_4arch9wavefront6targetE1EEEvT1_.kd
    .uniform_work_group_size: 1
    .uses_dynamic_stack: false
    .vgpr_count:     0
    .vgpr_spill_count: 0
    .wavefront_size: 64
  - .agpr_count:     0
    .args:
      - .offset:         0
        .size:           48
        .value_kind:     by_value
    .group_segment_fixed_size: 0
    .kernarg_segment_align: 8
    .kernarg_segment_size: 48
    .language:       OpenCL C
    .language_version:
      - 2
      - 0
    .max_flat_workgroup_size: 256
    .name:           _ZN7rocprim17ROCPRIM_400000_NS6detail17trampoline_kernelINS0_14default_configENS1_20scan_config_selectorIyEEZZNS1_9scan_implILNS1_25lookback_scan_determinismE0ELb0ELb0ES3_N6thrust23THRUST_200600_302600_NS6detail15normal_iteratorINS9_10device_ptrIyEEEENS9_16discard_iteratorINS9_11use_defaultEEEy11max_functorIyEyEEDaPvRmT3_T4_T5_mT6_P12ihipStream_tbENKUlT_T0_E_clISt17integral_constantIbLb1EESW_IbLb0EEEEDaSS_ST_EUlSS_E0_NS1_11comp_targetILNS1_3genE10ELNS1_11target_archE1201ELNS1_3gpuE5ELNS1_3repE0EEENS1_30default_config_static_selectorELNS0_4arch9wavefront6targetE1EEEvT1_
    .private_segment_fixed_size: 0
    .sgpr_count:     4
    .sgpr_spill_count: 0
    .symbol:         _ZN7rocprim17ROCPRIM_400000_NS6detail17trampoline_kernelINS0_14default_configENS1_20scan_config_selectorIyEEZZNS1_9scan_implILNS1_25lookback_scan_determinismE0ELb0ELb0ES3_N6thrust23THRUST_200600_302600_NS6detail15normal_iteratorINS9_10device_ptrIyEEEENS9_16discard_iteratorINS9_11use_defaultEEEy11max_functorIyEyEEDaPvRmT3_T4_T5_mT6_P12ihipStream_tbENKUlT_T0_E_clISt17integral_constantIbLb1EESW_IbLb0EEEEDaSS_ST_EUlSS_E0_NS1_11comp_targetILNS1_3genE10ELNS1_11target_archE1201ELNS1_3gpuE5ELNS1_3repE0EEENS1_30default_config_static_selectorELNS0_4arch9wavefront6targetE1EEEvT1_.kd
    .uniform_work_group_size: 1
    .uses_dynamic_stack: false
    .vgpr_count:     0
    .vgpr_spill_count: 0
    .wavefront_size: 64
  - .agpr_count:     0
    .args:
      - .offset:         0
        .size:           48
        .value_kind:     by_value
    .group_segment_fixed_size: 0
    .kernarg_segment_align: 8
    .kernarg_segment_size: 48
    .language:       OpenCL C
    .language_version:
      - 2
      - 0
    .max_flat_workgroup_size: 256
    .name:           _ZN7rocprim17ROCPRIM_400000_NS6detail17trampoline_kernelINS0_14default_configENS1_20scan_config_selectorIyEEZZNS1_9scan_implILNS1_25lookback_scan_determinismE0ELb0ELb0ES3_N6thrust23THRUST_200600_302600_NS6detail15normal_iteratorINS9_10device_ptrIyEEEENS9_16discard_iteratorINS9_11use_defaultEEEy11max_functorIyEyEEDaPvRmT3_T4_T5_mT6_P12ihipStream_tbENKUlT_T0_E_clISt17integral_constantIbLb1EESW_IbLb0EEEEDaSS_ST_EUlSS_E0_NS1_11comp_targetILNS1_3genE10ELNS1_11target_archE1200ELNS1_3gpuE4ELNS1_3repE0EEENS1_30default_config_static_selectorELNS0_4arch9wavefront6targetE1EEEvT1_
    .private_segment_fixed_size: 0
    .sgpr_count:     4
    .sgpr_spill_count: 0
    .symbol:         _ZN7rocprim17ROCPRIM_400000_NS6detail17trampoline_kernelINS0_14default_configENS1_20scan_config_selectorIyEEZZNS1_9scan_implILNS1_25lookback_scan_determinismE0ELb0ELb0ES3_N6thrust23THRUST_200600_302600_NS6detail15normal_iteratorINS9_10device_ptrIyEEEENS9_16discard_iteratorINS9_11use_defaultEEEy11max_functorIyEyEEDaPvRmT3_T4_T5_mT6_P12ihipStream_tbENKUlT_T0_E_clISt17integral_constantIbLb1EESW_IbLb0EEEEDaSS_ST_EUlSS_E0_NS1_11comp_targetILNS1_3genE10ELNS1_11target_archE1200ELNS1_3gpuE4ELNS1_3repE0EEENS1_30default_config_static_selectorELNS0_4arch9wavefront6targetE1EEEvT1_.kd
    .uniform_work_group_size: 1
    .uses_dynamic_stack: false
    .vgpr_count:     0
    .vgpr_spill_count: 0
    .wavefront_size: 64
  - .agpr_count:     0
    .args:
      - .offset:         0
        .size:           48
        .value_kind:     by_value
    .group_segment_fixed_size: 0
    .kernarg_segment_align: 8
    .kernarg_segment_size: 48
    .language:       OpenCL C
    .language_version:
      - 2
      - 0
    .max_flat_workgroup_size: 256
    .name:           _ZN7rocprim17ROCPRIM_400000_NS6detail17trampoline_kernelINS0_14default_configENS1_20scan_config_selectorIyEEZZNS1_9scan_implILNS1_25lookback_scan_determinismE0ELb0ELb0ES3_N6thrust23THRUST_200600_302600_NS6detail15normal_iteratorINS9_10device_ptrIyEEEENS9_16discard_iteratorINS9_11use_defaultEEEy11max_functorIyEyEEDaPvRmT3_T4_T5_mT6_P12ihipStream_tbENKUlT_T0_E_clISt17integral_constantIbLb1EESW_IbLb0EEEEDaSS_ST_EUlSS_E0_NS1_11comp_targetILNS1_3genE9ELNS1_11target_archE1100ELNS1_3gpuE3ELNS1_3repE0EEENS1_30default_config_static_selectorELNS0_4arch9wavefront6targetE1EEEvT1_
    .private_segment_fixed_size: 0
    .sgpr_count:     4
    .sgpr_spill_count: 0
    .symbol:         _ZN7rocprim17ROCPRIM_400000_NS6detail17trampoline_kernelINS0_14default_configENS1_20scan_config_selectorIyEEZZNS1_9scan_implILNS1_25lookback_scan_determinismE0ELb0ELb0ES3_N6thrust23THRUST_200600_302600_NS6detail15normal_iteratorINS9_10device_ptrIyEEEENS9_16discard_iteratorINS9_11use_defaultEEEy11max_functorIyEyEEDaPvRmT3_T4_T5_mT6_P12ihipStream_tbENKUlT_T0_E_clISt17integral_constantIbLb1EESW_IbLb0EEEEDaSS_ST_EUlSS_E0_NS1_11comp_targetILNS1_3genE9ELNS1_11target_archE1100ELNS1_3gpuE3ELNS1_3repE0EEENS1_30default_config_static_selectorELNS0_4arch9wavefront6targetE1EEEvT1_.kd
    .uniform_work_group_size: 1
    .uses_dynamic_stack: false
    .vgpr_count:     0
    .vgpr_spill_count: 0
    .wavefront_size: 64
  - .agpr_count:     0
    .args:
      - .offset:         0
        .size:           48
        .value_kind:     by_value
    .group_segment_fixed_size: 0
    .kernarg_segment_align: 8
    .kernarg_segment_size: 48
    .language:       OpenCL C
    .language_version:
      - 2
      - 0
    .max_flat_workgroup_size: 256
    .name:           _ZN7rocprim17ROCPRIM_400000_NS6detail17trampoline_kernelINS0_14default_configENS1_20scan_config_selectorIyEEZZNS1_9scan_implILNS1_25lookback_scan_determinismE0ELb0ELb0ES3_N6thrust23THRUST_200600_302600_NS6detail15normal_iteratorINS9_10device_ptrIyEEEENS9_16discard_iteratorINS9_11use_defaultEEEy11max_functorIyEyEEDaPvRmT3_T4_T5_mT6_P12ihipStream_tbENKUlT_T0_E_clISt17integral_constantIbLb1EESW_IbLb0EEEEDaSS_ST_EUlSS_E0_NS1_11comp_targetILNS1_3genE8ELNS1_11target_archE1030ELNS1_3gpuE2ELNS1_3repE0EEENS1_30default_config_static_selectorELNS0_4arch9wavefront6targetE1EEEvT1_
    .private_segment_fixed_size: 0
    .sgpr_count:     4
    .sgpr_spill_count: 0
    .symbol:         _ZN7rocprim17ROCPRIM_400000_NS6detail17trampoline_kernelINS0_14default_configENS1_20scan_config_selectorIyEEZZNS1_9scan_implILNS1_25lookback_scan_determinismE0ELb0ELb0ES3_N6thrust23THRUST_200600_302600_NS6detail15normal_iteratorINS9_10device_ptrIyEEEENS9_16discard_iteratorINS9_11use_defaultEEEy11max_functorIyEyEEDaPvRmT3_T4_T5_mT6_P12ihipStream_tbENKUlT_T0_E_clISt17integral_constantIbLb1EESW_IbLb0EEEEDaSS_ST_EUlSS_E0_NS1_11comp_targetILNS1_3genE8ELNS1_11target_archE1030ELNS1_3gpuE2ELNS1_3repE0EEENS1_30default_config_static_selectorELNS0_4arch9wavefront6targetE1EEEvT1_.kd
    .uniform_work_group_size: 1
    .uses_dynamic_stack: false
    .vgpr_count:     0
    .vgpr_spill_count: 0
    .wavefront_size: 64
  - .agpr_count:     0
    .args:
      - .offset:         0
        .size:           112
        .value_kind:     by_value
    .group_segment_fixed_size: 0
    .kernarg_segment_align: 8
    .kernarg_segment_size: 112
    .language:       OpenCL C
    .language_version:
      - 2
      - 0
    .max_flat_workgroup_size: 256
    .name:           _ZN7rocprim17ROCPRIM_400000_NS6detail17trampoline_kernelINS0_14default_configENS1_20scan_config_selectorIyEEZZNS1_9scan_implILNS1_25lookback_scan_determinismE0ELb0ELb0ES3_N6thrust23THRUST_200600_302600_NS6detail15normal_iteratorINS9_10device_ptrIyEEEENS9_16discard_iteratorINS9_11use_defaultEEEy11max_functorIyEyEEDaPvRmT3_T4_T5_mT6_P12ihipStream_tbENKUlT_T0_E_clISt17integral_constantIbLb0EESW_IbLb1EEEEDaSS_ST_EUlSS_E_NS1_11comp_targetILNS1_3genE0ELNS1_11target_archE4294967295ELNS1_3gpuE0ELNS1_3repE0EEENS1_30default_config_static_selectorELNS0_4arch9wavefront6targetE1EEEvT1_
    .private_segment_fixed_size: 0
    .sgpr_count:     4
    .sgpr_spill_count: 0
    .symbol:         _ZN7rocprim17ROCPRIM_400000_NS6detail17trampoline_kernelINS0_14default_configENS1_20scan_config_selectorIyEEZZNS1_9scan_implILNS1_25lookback_scan_determinismE0ELb0ELb0ES3_N6thrust23THRUST_200600_302600_NS6detail15normal_iteratorINS9_10device_ptrIyEEEENS9_16discard_iteratorINS9_11use_defaultEEEy11max_functorIyEyEEDaPvRmT3_T4_T5_mT6_P12ihipStream_tbENKUlT_T0_E_clISt17integral_constantIbLb0EESW_IbLb1EEEEDaSS_ST_EUlSS_E_NS1_11comp_targetILNS1_3genE0ELNS1_11target_archE4294967295ELNS1_3gpuE0ELNS1_3repE0EEENS1_30default_config_static_selectorELNS0_4arch9wavefront6targetE1EEEvT1_.kd
    .uniform_work_group_size: 1
    .uses_dynamic_stack: false
    .vgpr_count:     0
    .vgpr_spill_count: 0
    .wavefront_size: 64
  - .agpr_count:     0
    .args:
      - .offset:         0
        .size:           112
        .value_kind:     by_value
    .group_segment_fixed_size: 0
    .kernarg_segment_align: 8
    .kernarg_segment_size: 112
    .language:       OpenCL C
    .language_version:
      - 2
      - 0
    .max_flat_workgroup_size: 256
    .name:           _ZN7rocprim17ROCPRIM_400000_NS6detail17trampoline_kernelINS0_14default_configENS1_20scan_config_selectorIyEEZZNS1_9scan_implILNS1_25lookback_scan_determinismE0ELb0ELb0ES3_N6thrust23THRUST_200600_302600_NS6detail15normal_iteratorINS9_10device_ptrIyEEEENS9_16discard_iteratorINS9_11use_defaultEEEy11max_functorIyEyEEDaPvRmT3_T4_T5_mT6_P12ihipStream_tbENKUlT_T0_E_clISt17integral_constantIbLb0EESW_IbLb1EEEEDaSS_ST_EUlSS_E_NS1_11comp_targetILNS1_3genE5ELNS1_11target_archE942ELNS1_3gpuE9ELNS1_3repE0EEENS1_30default_config_static_selectorELNS0_4arch9wavefront6targetE1EEEvT1_
    .private_segment_fixed_size: 0
    .sgpr_count:     4
    .sgpr_spill_count: 0
    .symbol:         _ZN7rocprim17ROCPRIM_400000_NS6detail17trampoline_kernelINS0_14default_configENS1_20scan_config_selectorIyEEZZNS1_9scan_implILNS1_25lookback_scan_determinismE0ELb0ELb0ES3_N6thrust23THRUST_200600_302600_NS6detail15normal_iteratorINS9_10device_ptrIyEEEENS9_16discard_iteratorINS9_11use_defaultEEEy11max_functorIyEyEEDaPvRmT3_T4_T5_mT6_P12ihipStream_tbENKUlT_T0_E_clISt17integral_constantIbLb0EESW_IbLb1EEEEDaSS_ST_EUlSS_E_NS1_11comp_targetILNS1_3genE5ELNS1_11target_archE942ELNS1_3gpuE9ELNS1_3repE0EEENS1_30default_config_static_selectorELNS0_4arch9wavefront6targetE1EEEvT1_.kd
    .uniform_work_group_size: 1
    .uses_dynamic_stack: false
    .vgpr_count:     0
    .vgpr_spill_count: 0
    .wavefront_size: 64
  - .agpr_count:     0
    .args:
      - .offset:         0
        .size:           112
        .value_kind:     by_value
    .group_segment_fixed_size: 7168
    .kernarg_segment_align: 8
    .kernarg_segment_size: 112
    .language:       OpenCL C
    .language_version:
      - 2
      - 0
    .max_flat_workgroup_size: 128
    .name:           _ZN7rocprim17ROCPRIM_400000_NS6detail17trampoline_kernelINS0_14default_configENS1_20scan_config_selectorIyEEZZNS1_9scan_implILNS1_25lookback_scan_determinismE0ELb0ELb0ES3_N6thrust23THRUST_200600_302600_NS6detail15normal_iteratorINS9_10device_ptrIyEEEENS9_16discard_iteratorINS9_11use_defaultEEEy11max_functorIyEyEEDaPvRmT3_T4_T5_mT6_P12ihipStream_tbENKUlT_T0_E_clISt17integral_constantIbLb0EESW_IbLb1EEEEDaSS_ST_EUlSS_E_NS1_11comp_targetILNS1_3genE4ELNS1_11target_archE910ELNS1_3gpuE8ELNS1_3repE0EEENS1_30default_config_static_selectorELNS0_4arch9wavefront6targetE1EEEvT1_
    .private_segment_fixed_size: 0
    .sgpr_count:     35
    .sgpr_spill_count: 0
    .symbol:         _ZN7rocprim17ROCPRIM_400000_NS6detail17trampoline_kernelINS0_14default_configENS1_20scan_config_selectorIyEEZZNS1_9scan_implILNS1_25lookback_scan_determinismE0ELb0ELb0ES3_N6thrust23THRUST_200600_302600_NS6detail15normal_iteratorINS9_10device_ptrIyEEEENS9_16discard_iteratorINS9_11use_defaultEEEy11max_functorIyEyEEDaPvRmT3_T4_T5_mT6_P12ihipStream_tbENKUlT_T0_E_clISt17integral_constantIbLb0EESW_IbLb1EEEEDaSS_ST_EUlSS_E_NS1_11comp_targetILNS1_3genE4ELNS1_11target_archE910ELNS1_3gpuE8ELNS1_3repE0EEENS1_30default_config_static_selectorELNS0_4arch9wavefront6targetE1EEEvT1_.kd
    .uniform_work_group_size: 1
    .uses_dynamic_stack: false
    .vgpr_count:     57
    .vgpr_spill_count: 0
    .wavefront_size: 64
  - .agpr_count:     0
    .args:
      - .offset:         0
        .size:           112
        .value_kind:     by_value
    .group_segment_fixed_size: 0
    .kernarg_segment_align: 8
    .kernarg_segment_size: 112
    .language:       OpenCL C
    .language_version:
      - 2
      - 0
    .max_flat_workgroup_size: 256
    .name:           _ZN7rocprim17ROCPRIM_400000_NS6detail17trampoline_kernelINS0_14default_configENS1_20scan_config_selectorIyEEZZNS1_9scan_implILNS1_25lookback_scan_determinismE0ELb0ELb0ES3_N6thrust23THRUST_200600_302600_NS6detail15normal_iteratorINS9_10device_ptrIyEEEENS9_16discard_iteratorINS9_11use_defaultEEEy11max_functorIyEyEEDaPvRmT3_T4_T5_mT6_P12ihipStream_tbENKUlT_T0_E_clISt17integral_constantIbLb0EESW_IbLb1EEEEDaSS_ST_EUlSS_E_NS1_11comp_targetILNS1_3genE3ELNS1_11target_archE908ELNS1_3gpuE7ELNS1_3repE0EEENS1_30default_config_static_selectorELNS0_4arch9wavefront6targetE1EEEvT1_
    .private_segment_fixed_size: 0
    .sgpr_count:     4
    .sgpr_spill_count: 0
    .symbol:         _ZN7rocprim17ROCPRIM_400000_NS6detail17trampoline_kernelINS0_14default_configENS1_20scan_config_selectorIyEEZZNS1_9scan_implILNS1_25lookback_scan_determinismE0ELb0ELb0ES3_N6thrust23THRUST_200600_302600_NS6detail15normal_iteratorINS9_10device_ptrIyEEEENS9_16discard_iteratorINS9_11use_defaultEEEy11max_functorIyEyEEDaPvRmT3_T4_T5_mT6_P12ihipStream_tbENKUlT_T0_E_clISt17integral_constantIbLb0EESW_IbLb1EEEEDaSS_ST_EUlSS_E_NS1_11comp_targetILNS1_3genE3ELNS1_11target_archE908ELNS1_3gpuE7ELNS1_3repE0EEENS1_30default_config_static_selectorELNS0_4arch9wavefront6targetE1EEEvT1_.kd
    .uniform_work_group_size: 1
    .uses_dynamic_stack: false
    .vgpr_count:     0
    .vgpr_spill_count: 0
    .wavefront_size: 64
  - .agpr_count:     0
    .args:
      - .offset:         0
        .size:           112
        .value_kind:     by_value
    .group_segment_fixed_size: 0
    .kernarg_segment_align: 8
    .kernarg_segment_size: 112
    .language:       OpenCL C
    .language_version:
      - 2
      - 0
    .max_flat_workgroup_size: 64
    .name:           _ZN7rocprim17ROCPRIM_400000_NS6detail17trampoline_kernelINS0_14default_configENS1_20scan_config_selectorIyEEZZNS1_9scan_implILNS1_25lookback_scan_determinismE0ELb0ELb0ES3_N6thrust23THRUST_200600_302600_NS6detail15normal_iteratorINS9_10device_ptrIyEEEENS9_16discard_iteratorINS9_11use_defaultEEEy11max_functorIyEyEEDaPvRmT3_T4_T5_mT6_P12ihipStream_tbENKUlT_T0_E_clISt17integral_constantIbLb0EESW_IbLb1EEEEDaSS_ST_EUlSS_E_NS1_11comp_targetILNS1_3genE2ELNS1_11target_archE906ELNS1_3gpuE6ELNS1_3repE0EEENS1_30default_config_static_selectorELNS0_4arch9wavefront6targetE1EEEvT1_
    .private_segment_fixed_size: 0
    .sgpr_count:     4
    .sgpr_spill_count: 0
    .symbol:         _ZN7rocprim17ROCPRIM_400000_NS6detail17trampoline_kernelINS0_14default_configENS1_20scan_config_selectorIyEEZZNS1_9scan_implILNS1_25lookback_scan_determinismE0ELb0ELb0ES3_N6thrust23THRUST_200600_302600_NS6detail15normal_iteratorINS9_10device_ptrIyEEEENS9_16discard_iteratorINS9_11use_defaultEEEy11max_functorIyEyEEDaPvRmT3_T4_T5_mT6_P12ihipStream_tbENKUlT_T0_E_clISt17integral_constantIbLb0EESW_IbLb1EEEEDaSS_ST_EUlSS_E_NS1_11comp_targetILNS1_3genE2ELNS1_11target_archE906ELNS1_3gpuE6ELNS1_3repE0EEENS1_30default_config_static_selectorELNS0_4arch9wavefront6targetE1EEEvT1_.kd
    .uniform_work_group_size: 1
    .uses_dynamic_stack: false
    .vgpr_count:     0
    .vgpr_spill_count: 0
    .wavefront_size: 64
  - .agpr_count:     0
    .args:
      - .offset:         0
        .size:           112
        .value_kind:     by_value
    .group_segment_fixed_size: 0
    .kernarg_segment_align: 8
    .kernarg_segment_size: 112
    .language:       OpenCL C
    .language_version:
      - 2
      - 0
    .max_flat_workgroup_size: 256
    .name:           _ZN7rocprim17ROCPRIM_400000_NS6detail17trampoline_kernelINS0_14default_configENS1_20scan_config_selectorIyEEZZNS1_9scan_implILNS1_25lookback_scan_determinismE0ELb0ELb0ES3_N6thrust23THRUST_200600_302600_NS6detail15normal_iteratorINS9_10device_ptrIyEEEENS9_16discard_iteratorINS9_11use_defaultEEEy11max_functorIyEyEEDaPvRmT3_T4_T5_mT6_P12ihipStream_tbENKUlT_T0_E_clISt17integral_constantIbLb0EESW_IbLb1EEEEDaSS_ST_EUlSS_E_NS1_11comp_targetILNS1_3genE10ELNS1_11target_archE1201ELNS1_3gpuE5ELNS1_3repE0EEENS1_30default_config_static_selectorELNS0_4arch9wavefront6targetE1EEEvT1_
    .private_segment_fixed_size: 0
    .sgpr_count:     4
    .sgpr_spill_count: 0
    .symbol:         _ZN7rocprim17ROCPRIM_400000_NS6detail17trampoline_kernelINS0_14default_configENS1_20scan_config_selectorIyEEZZNS1_9scan_implILNS1_25lookback_scan_determinismE0ELb0ELb0ES3_N6thrust23THRUST_200600_302600_NS6detail15normal_iteratorINS9_10device_ptrIyEEEENS9_16discard_iteratorINS9_11use_defaultEEEy11max_functorIyEyEEDaPvRmT3_T4_T5_mT6_P12ihipStream_tbENKUlT_T0_E_clISt17integral_constantIbLb0EESW_IbLb1EEEEDaSS_ST_EUlSS_E_NS1_11comp_targetILNS1_3genE10ELNS1_11target_archE1201ELNS1_3gpuE5ELNS1_3repE0EEENS1_30default_config_static_selectorELNS0_4arch9wavefront6targetE1EEEvT1_.kd
    .uniform_work_group_size: 1
    .uses_dynamic_stack: false
    .vgpr_count:     0
    .vgpr_spill_count: 0
    .wavefront_size: 64
  - .agpr_count:     0
    .args:
      - .offset:         0
        .size:           112
        .value_kind:     by_value
    .group_segment_fixed_size: 0
    .kernarg_segment_align: 8
    .kernarg_segment_size: 112
    .language:       OpenCL C
    .language_version:
      - 2
      - 0
    .max_flat_workgroup_size: 256
    .name:           _ZN7rocprim17ROCPRIM_400000_NS6detail17trampoline_kernelINS0_14default_configENS1_20scan_config_selectorIyEEZZNS1_9scan_implILNS1_25lookback_scan_determinismE0ELb0ELb0ES3_N6thrust23THRUST_200600_302600_NS6detail15normal_iteratorINS9_10device_ptrIyEEEENS9_16discard_iteratorINS9_11use_defaultEEEy11max_functorIyEyEEDaPvRmT3_T4_T5_mT6_P12ihipStream_tbENKUlT_T0_E_clISt17integral_constantIbLb0EESW_IbLb1EEEEDaSS_ST_EUlSS_E_NS1_11comp_targetILNS1_3genE10ELNS1_11target_archE1200ELNS1_3gpuE4ELNS1_3repE0EEENS1_30default_config_static_selectorELNS0_4arch9wavefront6targetE1EEEvT1_
    .private_segment_fixed_size: 0
    .sgpr_count:     4
    .sgpr_spill_count: 0
    .symbol:         _ZN7rocprim17ROCPRIM_400000_NS6detail17trampoline_kernelINS0_14default_configENS1_20scan_config_selectorIyEEZZNS1_9scan_implILNS1_25lookback_scan_determinismE0ELb0ELb0ES3_N6thrust23THRUST_200600_302600_NS6detail15normal_iteratorINS9_10device_ptrIyEEEENS9_16discard_iteratorINS9_11use_defaultEEEy11max_functorIyEyEEDaPvRmT3_T4_T5_mT6_P12ihipStream_tbENKUlT_T0_E_clISt17integral_constantIbLb0EESW_IbLb1EEEEDaSS_ST_EUlSS_E_NS1_11comp_targetILNS1_3genE10ELNS1_11target_archE1200ELNS1_3gpuE4ELNS1_3repE0EEENS1_30default_config_static_selectorELNS0_4arch9wavefront6targetE1EEEvT1_.kd
    .uniform_work_group_size: 1
    .uses_dynamic_stack: false
    .vgpr_count:     0
    .vgpr_spill_count: 0
    .wavefront_size: 64
  - .agpr_count:     0
    .args:
      - .offset:         0
        .size:           112
        .value_kind:     by_value
    .group_segment_fixed_size: 0
    .kernarg_segment_align: 8
    .kernarg_segment_size: 112
    .language:       OpenCL C
    .language_version:
      - 2
      - 0
    .max_flat_workgroup_size: 256
    .name:           _ZN7rocprim17ROCPRIM_400000_NS6detail17trampoline_kernelINS0_14default_configENS1_20scan_config_selectorIyEEZZNS1_9scan_implILNS1_25lookback_scan_determinismE0ELb0ELb0ES3_N6thrust23THRUST_200600_302600_NS6detail15normal_iteratorINS9_10device_ptrIyEEEENS9_16discard_iteratorINS9_11use_defaultEEEy11max_functorIyEyEEDaPvRmT3_T4_T5_mT6_P12ihipStream_tbENKUlT_T0_E_clISt17integral_constantIbLb0EESW_IbLb1EEEEDaSS_ST_EUlSS_E_NS1_11comp_targetILNS1_3genE9ELNS1_11target_archE1100ELNS1_3gpuE3ELNS1_3repE0EEENS1_30default_config_static_selectorELNS0_4arch9wavefront6targetE1EEEvT1_
    .private_segment_fixed_size: 0
    .sgpr_count:     4
    .sgpr_spill_count: 0
    .symbol:         _ZN7rocprim17ROCPRIM_400000_NS6detail17trampoline_kernelINS0_14default_configENS1_20scan_config_selectorIyEEZZNS1_9scan_implILNS1_25lookback_scan_determinismE0ELb0ELb0ES3_N6thrust23THRUST_200600_302600_NS6detail15normal_iteratorINS9_10device_ptrIyEEEENS9_16discard_iteratorINS9_11use_defaultEEEy11max_functorIyEyEEDaPvRmT3_T4_T5_mT6_P12ihipStream_tbENKUlT_T0_E_clISt17integral_constantIbLb0EESW_IbLb1EEEEDaSS_ST_EUlSS_E_NS1_11comp_targetILNS1_3genE9ELNS1_11target_archE1100ELNS1_3gpuE3ELNS1_3repE0EEENS1_30default_config_static_selectorELNS0_4arch9wavefront6targetE1EEEvT1_.kd
    .uniform_work_group_size: 1
    .uses_dynamic_stack: false
    .vgpr_count:     0
    .vgpr_spill_count: 0
    .wavefront_size: 64
  - .agpr_count:     0
    .args:
      - .offset:         0
        .size:           112
        .value_kind:     by_value
    .group_segment_fixed_size: 0
    .kernarg_segment_align: 8
    .kernarg_segment_size: 112
    .language:       OpenCL C
    .language_version:
      - 2
      - 0
    .max_flat_workgroup_size: 256
    .name:           _ZN7rocprim17ROCPRIM_400000_NS6detail17trampoline_kernelINS0_14default_configENS1_20scan_config_selectorIyEEZZNS1_9scan_implILNS1_25lookback_scan_determinismE0ELb0ELb0ES3_N6thrust23THRUST_200600_302600_NS6detail15normal_iteratorINS9_10device_ptrIyEEEENS9_16discard_iteratorINS9_11use_defaultEEEy11max_functorIyEyEEDaPvRmT3_T4_T5_mT6_P12ihipStream_tbENKUlT_T0_E_clISt17integral_constantIbLb0EESW_IbLb1EEEEDaSS_ST_EUlSS_E_NS1_11comp_targetILNS1_3genE8ELNS1_11target_archE1030ELNS1_3gpuE2ELNS1_3repE0EEENS1_30default_config_static_selectorELNS0_4arch9wavefront6targetE1EEEvT1_
    .private_segment_fixed_size: 0
    .sgpr_count:     4
    .sgpr_spill_count: 0
    .symbol:         _ZN7rocprim17ROCPRIM_400000_NS6detail17trampoline_kernelINS0_14default_configENS1_20scan_config_selectorIyEEZZNS1_9scan_implILNS1_25lookback_scan_determinismE0ELb0ELb0ES3_N6thrust23THRUST_200600_302600_NS6detail15normal_iteratorINS9_10device_ptrIyEEEENS9_16discard_iteratorINS9_11use_defaultEEEy11max_functorIyEyEEDaPvRmT3_T4_T5_mT6_P12ihipStream_tbENKUlT_T0_E_clISt17integral_constantIbLb0EESW_IbLb1EEEEDaSS_ST_EUlSS_E_NS1_11comp_targetILNS1_3genE8ELNS1_11target_archE1030ELNS1_3gpuE2ELNS1_3repE0EEENS1_30default_config_static_selectorELNS0_4arch9wavefront6targetE1EEEvT1_.kd
    .uniform_work_group_size: 1
    .uses_dynamic_stack: false
    .vgpr_count:     0
    .vgpr_spill_count: 0
    .wavefront_size: 64
  - .agpr_count:     0
    .args:
      - .offset:         0
        .size:           48
        .value_kind:     by_value
    .group_segment_fixed_size: 0
    .kernarg_segment_align: 8
    .kernarg_segment_size: 48
    .language:       OpenCL C
    .language_version:
      - 2
      - 0
    .max_flat_workgroup_size: 256
    .name:           _ZN7rocprim17ROCPRIM_400000_NS6detail17trampoline_kernelINS0_14default_configENS1_20scan_config_selectorIyEEZZNS1_9scan_implILNS1_25lookback_scan_determinismE0ELb0ELb0ES3_N6thrust23THRUST_200600_302600_NS6detail15normal_iteratorINS9_10device_ptrIyEEEENS9_16discard_iteratorINS9_11use_defaultEEEy11max_functorIyEyEEDaPvRmT3_T4_T5_mT6_P12ihipStream_tbENKUlT_T0_E_clISt17integral_constantIbLb0EESW_IbLb1EEEEDaSS_ST_EUlSS_E0_NS1_11comp_targetILNS1_3genE0ELNS1_11target_archE4294967295ELNS1_3gpuE0ELNS1_3repE0EEENS1_30default_config_static_selectorELNS0_4arch9wavefront6targetE1EEEvT1_
    .private_segment_fixed_size: 0
    .sgpr_count:     4
    .sgpr_spill_count: 0
    .symbol:         _ZN7rocprim17ROCPRIM_400000_NS6detail17trampoline_kernelINS0_14default_configENS1_20scan_config_selectorIyEEZZNS1_9scan_implILNS1_25lookback_scan_determinismE0ELb0ELb0ES3_N6thrust23THRUST_200600_302600_NS6detail15normal_iteratorINS9_10device_ptrIyEEEENS9_16discard_iteratorINS9_11use_defaultEEEy11max_functorIyEyEEDaPvRmT3_T4_T5_mT6_P12ihipStream_tbENKUlT_T0_E_clISt17integral_constantIbLb0EESW_IbLb1EEEEDaSS_ST_EUlSS_E0_NS1_11comp_targetILNS1_3genE0ELNS1_11target_archE4294967295ELNS1_3gpuE0ELNS1_3repE0EEENS1_30default_config_static_selectorELNS0_4arch9wavefront6targetE1EEEvT1_.kd
    .uniform_work_group_size: 1
    .uses_dynamic_stack: false
    .vgpr_count:     0
    .vgpr_spill_count: 0
    .wavefront_size: 64
  - .agpr_count:     0
    .args:
      - .offset:         0
        .size:           48
        .value_kind:     by_value
    .group_segment_fixed_size: 0
    .kernarg_segment_align: 8
    .kernarg_segment_size: 48
    .language:       OpenCL C
    .language_version:
      - 2
      - 0
    .max_flat_workgroup_size: 256
    .name:           _ZN7rocprim17ROCPRIM_400000_NS6detail17trampoline_kernelINS0_14default_configENS1_20scan_config_selectorIyEEZZNS1_9scan_implILNS1_25lookback_scan_determinismE0ELb0ELb0ES3_N6thrust23THRUST_200600_302600_NS6detail15normal_iteratorINS9_10device_ptrIyEEEENS9_16discard_iteratorINS9_11use_defaultEEEy11max_functorIyEyEEDaPvRmT3_T4_T5_mT6_P12ihipStream_tbENKUlT_T0_E_clISt17integral_constantIbLb0EESW_IbLb1EEEEDaSS_ST_EUlSS_E0_NS1_11comp_targetILNS1_3genE5ELNS1_11target_archE942ELNS1_3gpuE9ELNS1_3repE0EEENS1_30default_config_static_selectorELNS0_4arch9wavefront6targetE1EEEvT1_
    .private_segment_fixed_size: 0
    .sgpr_count:     4
    .sgpr_spill_count: 0
    .symbol:         _ZN7rocprim17ROCPRIM_400000_NS6detail17trampoline_kernelINS0_14default_configENS1_20scan_config_selectorIyEEZZNS1_9scan_implILNS1_25lookback_scan_determinismE0ELb0ELb0ES3_N6thrust23THRUST_200600_302600_NS6detail15normal_iteratorINS9_10device_ptrIyEEEENS9_16discard_iteratorINS9_11use_defaultEEEy11max_functorIyEyEEDaPvRmT3_T4_T5_mT6_P12ihipStream_tbENKUlT_T0_E_clISt17integral_constantIbLb0EESW_IbLb1EEEEDaSS_ST_EUlSS_E0_NS1_11comp_targetILNS1_3genE5ELNS1_11target_archE942ELNS1_3gpuE9ELNS1_3repE0EEENS1_30default_config_static_selectorELNS0_4arch9wavefront6targetE1EEEvT1_.kd
    .uniform_work_group_size: 1
    .uses_dynamic_stack: false
    .vgpr_count:     0
    .vgpr_spill_count: 0
    .wavefront_size: 64
  - .agpr_count:     0
    .args:
      - .offset:         0
        .size:           48
        .value_kind:     by_value
    .group_segment_fixed_size: 7168
    .kernarg_segment_align: 8
    .kernarg_segment_size: 48
    .language:       OpenCL C
    .language_version:
      - 2
      - 0
    .max_flat_workgroup_size: 128
    .name:           _ZN7rocprim17ROCPRIM_400000_NS6detail17trampoline_kernelINS0_14default_configENS1_20scan_config_selectorIyEEZZNS1_9scan_implILNS1_25lookback_scan_determinismE0ELb0ELb0ES3_N6thrust23THRUST_200600_302600_NS6detail15normal_iteratorINS9_10device_ptrIyEEEENS9_16discard_iteratorINS9_11use_defaultEEEy11max_functorIyEyEEDaPvRmT3_T4_T5_mT6_P12ihipStream_tbENKUlT_T0_E_clISt17integral_constantIbLb0EESW_IbLb1EEEEDaSS_ST_EUlSS_E0_NS1_11comp_targetILNS1_3genE4ELNS1_11target_archE910ELNS1_3gpuE8ELNS1_3repE0EEENS1_30default_config_static_selectorELNS0_4arch9wavefront6targetE1EEEvT1_
    .private_segment_fixed_size: 0
    .sgpr_count:     12
    .sgpr_spill_count: 0
    .symbol:         _ZN7rocprim17ROCPRIM_400000_NS6detail17trampoline_kernelINS0_14default_configENS1_20scan_config_selectorIyEEZZNS1_9scan_implILNS1_25lookback_scan_determinismE0ELb0ELb0ES3_N6thrust23THRUST_200600_302600_NS6detail15normal_iteratorINS9_10device_ptrIyEEEENS9_16discard_iteratorINS9_11use_defaultEEEy11max_functorIyEyEEDaPvRmT3_T4_T5_mT6_P12ihipStream_tbENKUlT_T0_E_clISt17integral_constantIbLb0EESW_IbLb1EEEEDaSS_ST_EUlSS_E0_NS1_11comp_targetILNS1_3genE4ELNS1_11target_archE910ELNS1_3gpuE8ELNS1_3repE0EEENS1_30default_config_static_selectorELNS0_4arch9wavefront6targetE1EEEvT1_.kd
    .uniform_work_group_size: 1
    .uses_dynamic_stack: false
    .vgpr_count:     41
    .vgpr_spill_count: 0
    .wavefront_size: 64
  - .agpr_count:     0
    .args:
      - .offset:         0
        .size:           48
        .value_kind:     by_value
    .group_segment_fixed_size: 0
    .kernarg_segment_align: 8
    .kernarg_segment_size: 48
    .language:       OpenCL C
    .language_version:
      - 2
      - 0
    .max_flat_workgroup_size: 256
    .name:           _ZN7rocprim17ROCPRIM_400000_NS6detail17trampoline_kernelINS0_14default_configENS1_20scan_config_selectorIyEEZZNS1_9scan_implILNS1_25lookback_scan_determinismE0ELb0ELb0ES3_N6thrust23THRUST_200600_302600_NS6detail15normal_iteratorINS9_10device_ptrIyEEEENS9_16discard_iteratorINS9_11use_defaultEEEy11max_functorIyEyEEDaPvRmT3_T4_T5_mT6_P12ihipStream_tbENKUlT_T0_E_clISt17integral_constantIbLb0EESW_IbLb1EEEEDaSS_ST_EUlSS_E0_NS1_11comp_targetILNS1_3genE3ELNS1_11target_archE908ELNS1_3gpuE7ELNS1_3repE0EEENS1_30default_config_static_selectorELNS0_4arch9wavefront6targetE1EEEvT1_
    .private_segment_fixed_size: 0
    .sgpr_count:     4
    .sgpr_spill_count: 0
    .symbol:         _ZN7rocprim17ROCPRIM_400000_NS6detail17trampoline_kernelINS0_14default_configENS1_20scan_config_selectorIyEEZZNS1_9scan_implILNS1_25lookback_scan_determinismE0ELb0ELb0ES3_N6thrust23THRUST_200600_302600_NS6detail15normal_iteratorINS9_10device_ptrIyEEEENS9_16discard_iteratorINS9_11use_defaultEEEy11max_functorIyEyEEDaPvRmT3_T4_T5_mT6_P12ihipStream_tbENKUlT_T0_E_clISt17integral_constantIbLb0EESW_IbLb1EEEEDaSS_ST_EUlSS_E0_NS1_11comp_targetILNS1_3genE3ELNS1_11target_archE908ELNS1_3gpuE7ELNS1_3repE0EEENS1_30default_config_static_selectorELNS0_4arch9wavefront6targetE1EEEvT1_.kd
    .uniform_work_group_size: 1
    .uses_dynamic_stack: false
    .vgpr_count:     0
    .vgpr_spill_count: 0
    .wavefront_size: 64
  - .agpr_count:     0
    .args:
      - .offset:         0
        .size:           48
        .value_kind:     by_value
    .group_segment_fixed_size: 0
    .kernarg_segment_align: 8
    .kernarg_segment_size: 48
    .language:       OpenCL C
    .language_version:
      - 2
      - 0
    .max_flat_workgroup_size: 64
    .name:           _ZN7rocprim17ROCPRIM_400000_NS6detail17trampoline_kernelINS0_14default_configENS1_20scan_config_selectorIyEEZZNS1_9scan_implILNS1_25lookback_scan_determinismE0ELb0ELb0ES3_N6thrust23THRUST_200600_302600_NS6detail15normal_iteratorINS9_10device_ptrIyEEEENS9_16discard_iteratorINS9_11use_defaultEEEy11max_functorIyEyEEDaPvRmT3_T4_T5_mT6_P12ihipStream_tbENKUlT_T0_E_clISt17integral_constantIbLb0EESW_IbLb1EEEEDaSS_ST_EUlSS_E0_NS1_11comp_targetILNS1_3genE2ELNS1_11target_archE906ELNS1_3gpuE6ELNS1_3repE0EEENS1_30default_config_static_selectorELNS0_4arch9wavefront6targetE1EEEvT1_
    .private_segment_fixed_size: 0
    .sgpr_count:     4
    .sgpr_spill_count: 0
    .symbol:         _ZN7rocprim17ROCPRIM_400000_NS6detail17trampoline_kernelINS0_14default_configENS1_20scan_config_selectorIyEEZZNS1_9scan_implILNS1_25lookback_scan_determinismE0ELb0ELb0ES3_N6thrust23THRUST_200600_302600_NS6detail15normal_iteratorINS9_10device_ptrIyEEEENS9_16discard_iteratorINS9_11use_defaultEEEy11max_functorIyEyEEDaPvRmT3_T4_T5_mT6_P12ihipStream_tbENKUlT_T0_E_clISt17integral_constantIbLb0EESW_IbLb1EEEEDaSS_ST_EUlSS_E0_NS1_11comp_targetILNS1_3genE2ELNS1_11target_archE906ELNS1_3gpuE6ELNS1_3repE0EEENS1_30default_config_static_selectorELNS0_4arch9wavefront6targetE1EEEvT1_.kd
    .uniform_work_group_size: 1
    .uses_dynamic_stack: false
    .vgpr_count:     0
    .vgpr_spill_count: 0
    .wavefront_size: 64
  - .agpr_count:     0
    .args:
      - .offset:         0
        .size:           48
        .value_kind:     by_value
    .group_segment_fixed_size: 0
    .kernarg_segment_align: 8
    .kernarg_segment_size: 48
    .language:       OpenCL C
    .language_version:
      - 2
      - 0
    .max_flat_workgroup_size: 256
    .name:           _ZN7rocprim17ROCPRIM_400000_NS6detail17trampoline_kernelINS0_14default_configENS1_20scan_config_selectorIyEEZZNS1_9scan_implILNS1_25lookback_scan_determinismE0ELb0ELb0ES3_N6thrust23THRUST_200600_302600_NS6detail15normal_iteratorINS9_10device_ptrIyEEEENS9_16discard_iteratorINS9_11use_defaultEEEy11max_functorIyEyEEDaPvRmT3_T4_T5_mT6_P12ihipStream_tbENKUlT_T0_E_clISt17integral_constantIbLb0EESW_IbLb1EEEEDaSS_ST_EUlSS_E0_NS1_11comp_targetILNS1_3genE10ELNS1_11target_archE1201ELNS1_3gpuE5ELNS1_3repE0EEENS1_30default_config_static_selectorELNS0_4arch9wavefront6targetE1EEEvT1_
    .private_segment_fixed_size: 0
    .sgpr_count:     4
    .sgpr_spill_count: 0
    .symbol:         _ZN7rocprim17ROCPRIM_400000_NS6detail17trampoline_kernelINS0_14default_configENS1_20scan_config_selectorIyEEZZNS1_9scan_implILNS1_25lookback_scan_determinismE0ELb0ELb0ES3_N6thrust23THRUST_200600_302600_NS6detail15normal_iteratorINS9_10device_ptrIyEEEENS9_16discard_iteratorINS9_11use_defaultEEEy11max_functorIyEyEEDaPvRmT3_T4_T5_mT6_P12ihipStream_tbENKUlT_T0_E_clISt17integral_constantIbLb0EESW_IbLb1EEEEDaSS_ST_EUlSS_E0_NS1_11comp_targetILNS1_3genE10ELNS1_11target_archE1201ELNS1_3gpuE5ELNS1_3repE0EEENS1_30default_config_static_selectorELNS0_4arch9wavefront6targetE1EEEvT1_.kd
    .uniform_work_group_size: 1
    .uses_dynamic_stack: false
    .vgpr_count:     0
    .vgpr_spill_count: 0
    .wavefront_size: 64
  - .agpr_count:     0
    .args:
      - .offset:         0
        .size:           48
        .value_kind:     by_value
    .group_segment_fixed_size: 0
    .kernarg_segment_align: 8
    .kernarg_segment_size: 48
    .language:       OpenCL C
    .language_version:
      - 2
      - 0
    .max_flat_workgroup_size: 256
    .name:           _ZN7rocprim17ROCPRIM_400000_NS6detail17trampoline_kernelINS0_14default_configENS1_20scan_config_selectorIyEEZZNS1_9scan_implILNS1_25lookback_scan_determinismE0ELb0ELb0ES3_N6thrust23THRUST_200600_302600_NS6detail15normal_iteratorINS9_10device_ptrIyEEEENS9_16discard_iteratorINS9_11use_defaultEEEy11max_functorIyEyEEDaPvRmT3_T4_T5_mT6_P12ihipStream_tbENKUlT_T0_E_clISt17integral_constantIbLb0EESW_IbLb1EEEEDaSS_ST_EUlSS_E0_NS1_11comp_targetILNS1_3genE10ELNS1_11target_archE1200ELNS1_3gpuE4ELNS1_3repE0EEENS1_30default_config_static_selectorELNS0_4arch9wavefront6targetE1EEEvT1_
    .private_segment_fixed_size: 0
    .sgpr_count:     4
    .sgpr_spill_count: 0
    .symbol:         _ZN7rocprim17ROCPRIM_400000_NS6detail17trampoline_kernelINS0_14default_configENS1_20scan_config_selectorIyEEZZNS1_9scan_implILNS1_25lookback_scan_determinismE0ELb0ELb0ES3_N6thrust23THRUST_200600_302600_NS6detail15normal_iteratorINS9_10device_ptrIyEEEENS9_16discard_iteratorINS9_11use_defaultEEEy11max_functorIyEyEEDaPvRmT3_T4_T5_mT6_P12ihipStream_tbENKUlT_T0_E_clISt17integral_constantIbLb0EESW_IbLb1EEEEDaSS_ST_EUlSS_E0_NS1_11comp_targetILNS1_3genE10ELNS1_11target_archE1200ELNS1_3gpuE4ELNS1_3repE0EEENS1_30default_config_static_selectorELNS0_4arch9wavefront6targetE1EEEvT1_.kd
    .uniform_work_group_size: 1
    .uses_dynamic_stack: false
    .vgpr_count:     0
    .vgpr_spill_count: 0
    .wavefront_size: 64
  - .agpr_count:     0
    .args:
      - .offset:         0
        .size:           48
        .value_kind:     by_value
    .group_segment_fixed_size: 0
    .kernarg_segment_align: 8
    .kernarg_segment_size: 48
    .language:       OpenCL C
    .language_version:
      - 2
      - 0
    .max_flat_workgroup_size: 256
    .name:           _ZN7rocprim17ROCPRIM_400000_NS6detail17trampoline_kernelINS0_14default_configENS1_20scan_config_selectorIyEEZZNS1_9scan_implILNS1_25lookback_scan_determinismE0ELb0ELb0ES3_N6thrust23THRUST_200600_302600_NS6detail15normal_iteratorINS9_10device_ptrIyEEEENS9_16discard_iteratorINS9_11use_defaultEEEy11max_functorIyEyEEDaPvRmT3_T4_T5_mT6_P12ihipStream_tbENKUlT_T0_E_clISt17integral_constantIbLb0EESW_IbLb1EEEEDaSS_ST_EUlSS_E0_NS1_11comp_targetILNS1_3genE9ELNS1_11target_archE1100ELNS1_3gpuE3ELNS1_3repE0EEENS1_30default_config_static_selectorELNS0_4arch9wavefront6targetE1EEEvT1_
    .private_segment_fixed_size: 0
    .sgpr_count:     4
    .sgpr_spill_count: 0
    .symbol:         _ZN7rocprim17ROCPRIM_400000_NS6detail17trampoline_kernelINS0_14default_configENS1_20scan_config_selectorIyEEZZNS1_9scan_implILNS1_25lookback_scan_determinismE0ELb0ELb0ES3_N6thrust23THRUST_200600_302600_NS6detail15normal_iteratorINS9_10device_ptrIyEEEENS9_16discard_iteratorINS9_11use_defaultEEEy11max_functorIyEyEEDaPvRmT3_T4_T5_mT6_P12ihipStream_tbENKUlT_T0_E_clISt17integral_constantIbLb0EESW_IbLb1EEEEDaSS_ST_EUlSS_E0_NS1_11comp_targetILNS1_3genE9ELNS1_11target_archE1100ELNS1_3gpuE3ELNS1_3repE0EEENS1_30default_config_static_selectorELNS0_4arch9wavefront6targetE1EEEvT1_.kd
    .uniform_work_group_size: 1
    .uses_dynamic_stack: false
    .vgpr_count:     0
    .vgpr_spill_count: 0
    .wavefront_size: 64
  - .agpr_count:     0
    .args:
      - .offset:         0
        .size:           48
        .value_kind:     by_value
    .group_segment_fixed_size: 0
    .kernarg_segment_align: 8
    .kernarg_segment_size: 48
    .language:       OpenCL C
    .language_version:
      - 2
      - 0
    .max_flat_workgroup_size: 256
    .name:           _ZN7rocprim17ROCPRIM_400000_NS6detail17trampoline_kernelINS0_14default_configENS1_20scan_config_selectorIyEEZZNS1_9scan_implILNS1_25lookback_scan_determinismE0ELb0ELb0ES3_N6thrust23THRUST_200600_302600_NS6detail15normal_iteratorINS9_10device_ptrIyEEEENS9_16discard_iteratorINS9_11use_defaultEEEy11max_functorIyEyEEDaPvRmT3_T4_T5_mT6_P12ihipStream_tbENKUlT_T0_E_clISt17integral_constantIbLb0EESW_IbLb1EEEEDaSS_ST_EUlSS_E0_NS1_11comp_targetILNS1_3genE8ELNS1_11target_archE1030ELNS1_3gpuE2ELNS1_3repE0EEENS1_30default_config_static_selectorELNS0_4arch9wavefront6targetE1EEEvT1_
    .private_segment_fixed_size: 0
    .sgpr_count:     4
    .sgpr_spill_count: 0
    .symbol:         _ZN7rocprim17ROCPRIM_400000_NS6detail17trampoline_kernelINS0_14default_configENS1_20scan_config_selectorIyEEZZNS1_9scan_implILNS1_25lookback_scan_determinismE0ELb0ELb0ES3_N6thrust23THRUST_200600_302600_NS6detail15normal_iteratorINS9_10device_ptrIyEEEENS9_16discard_iteratorINS9_11use_defaultEEEy11max_functorIyEyEEDaPvRmT3_T4_T5_mT6_P12ihipStream_tbENKUlT_T0_E_clISt17integral_constantIbLb0EESW_IbLb1EEEEDaSS_ST_EUlSS_E0_NS1_11comp_targetILNS1_3genE8ELNS1_11target_archE1030ELNS1_3gpuE2ELNS1_3repE0EEENS1_30default_config_static_selectorELNS0_4arch9wavefront6targetE1EEEvT1_.kd
    .uniform_work_group_size: 1
    .uses_dynamic_stack: false
    .vgpr_count:     0
    .vgpr_spill_count: 0
    .wavefront_size: 64
  - .agpr_count:     0
    .args:
      - .offset:         0
        .size:           112
        .value_kind:     by_value
    .group_segment_fixed_size: 0
    .kernarg_segment_align: 8
    .kernarg_segment_size: 112
    .language:       OpenCL C
    .language_version:
      - 2
      - 0
    .max_flat_workgroup_size: 256
    .name:           _ZN7rocprim17ROCPRIM_400000_NS6detail17trampoline_kernelINS0_14default_configENS1_20scan_config_selectorIyEEZZNS1_9scan_implILNS1_25lookback_scan_determinismE0ELb1ELb1ES3_N6thrust23THRUST_200600_302600_NS6detail15normal_iteratorINS9_10device_ptrIyEEEENS9_16discard_iteratorINS9_11use_defaultEEEy11max_functorIyEyEEDaPvRmT3_T4_T5_mT6_P12ihipStream_tbENKUlT_T0_E_clISt17integral_constantIbLb0EESX_EEDaSS_ST_EUlSS_E_NS1_11comp_targetILNS1_3genE0ELNS1_11target_archE4294967295ELNS1_3gpuE0ELNS1_3repE0EEENS1_30default_config_static_selectorELNS0_4arch9wavefront6targetE1EEEvT1_
    .private_segment_fixed_size: 0
    .sgpr_count:     4
    .sgpr_spill_count: 0
    .symbol:         _ZN7rocprim17ROCPRIM_400000_NS6detail17trampoline_kernelINS0_14default_configENS1_20scan_config_selectorIyEEZZNS1_9scan_implILNS1_25lookback_scan_determinismE0ELb1ELb1ES3_N6thrust23THRUST_200600_302600_NS6detail15normal_iteratorINS9_10device_ptrIyEEEENS9_16discard_iteratorINS9_11use_defaultEEEy11max_functorIyEyEEDaPvRmT3_T4_T5_mT6_P12ihipStream_tbENKUlT_T0_E_clISt17integral_constantIbLb0EESX_EEDaSS_ST_EUlSS_E_NS1_11comp_targetILNS1_3genE0ELNS1_11target_archE4294967295ELNS1_3gpuE0ELNS1_3repE0EEENS1_30default_config_static_selectorELNS0_4arch9wavefront6targetE1EEEvT1_.kd
    .uniform_work_group_size: 1
    .uses_dynamic_stack: false
    .vgpr_count:     0
    .vgpr_spill_count: 0
    .wavefront_size: 64
  - .agpr_count:     0
    .args:
      - .offset:         0
        .size:           112
        .value_kind:     by_value
    .group_segment_fixed_size: 0
    .kernarg_segment_align: 8
    .kernarg_segment_size: 112
    .language:       OpenCL C
    .language_version:
      - 2
      - 0
    .max_flat_workgroup_size: 256
    .name:           _ZN7rocprim17ROCPRIM_400000_NS6detail17trampoline_kernelINS0_14default_configENS1_20scan_config_selectorIyEEZZNS1_9scan_implILNS1_25lookback_scan_determinismE0ELb1ELb1ES3_N6thrust23THRUST_200600_302600_NS6detail15normal_iteratorINS9_10device_ptrIyEEEENS9_16discard_iteratorINS9_11use_defaultEEEy11max_functorIyEyEEDaPvRmT3_T4_T5_mT6_P12ihipStream_tbENKUlT_T0_E_clISt17integral_constantIbLb0EESX_EEDaSS_ST_EUlSS_E_NS1_11comp_targetILNS1_3genE5ELNS1_11target_archE942ELNS1_3gpuE9ELNS1_3repE0EEENS1_30default_config_static_selectorELNS0_4arch9wavefront6targetE1EEEvT1_
    .private_segment_fixed_size: 0
    .sgpr_count:     4
    .sgpr_spill_count: 0
    .symbol:         _ZN7rocprim17ROCPRIM_400000_NS6detail17trampoline_kernelINS0_14default_configENS1_20scan_config_selectorIyEEZZNS1_9scan_implILNS1_25lookback_scan_determinismE0ELb1ELb1ES3_N6thrust23THRUST_200600_302600_NS6detail15normal_iteratorINS9_10device_ptrIyEEEENS9_16discard_iteratorINS9_11use_defaultEEEy11max_functorIyEyEEDaPvRmT3_T4_T5_mT6_P12ihipStream_tbENKUlT_T0_E_clISt17integral_constantIbLb0EESX_EEDaSS_ST_EUlSS_E_NS1_11comp_targetILNS1_3genE5ELNS1_11target_archE942ELNS1_3gpuE9ELNS1_3repE0EEENS1_30default_config_static_selectorELNS0_4arch9wavefront6targetE1EEEvT1_.kd
    .uniform_work_group_size: 1
    .uses_dynamic_stack: false
    .vgpr_count:     0
    .vgpr_spill_count: 0
    .wavefront_size: 64
  - .agpr_count:     0
    .args:
      - .offset:         0
        .size:           112
        .value_kind:     by_value
    .group_segment_fixed_size: 7168
    .kernarg_segment_align: 8
    .kernarg_segment_size: 112
    .language:       OpenCL C
    .language_version:
      - 2
      - 0
    .max_flat_workgroup_size: 128
    .name:           _ZN7rocprim17ROCPRIM_400000_NS6detail17trampoline_kernelINS0_14default_configENS1_20scan_config_selectorIyEEZZNS1_9scan_implILNS1_25lookback_scan_determinismE0ELb1ELb1ES3_N6thrust23THRUST_200600_302600_NS6detail15normal_iteratorINS9_10device_ptrIyEEEENS9_16discard_iteratorINS9_11use_defaultEEEy11max_functorIyEyEEDaPvRmT3_T4_T5_mT6_P12ihipStream_tbENKUlT_T0_E_clISt17integral_constantIbLb0EESX_EEDaSS_ST_EUlSS_E_NS1_11comp_targetILNS1_3genE4ELNS1_11target_archE910ELNS1_3gpuE8ELNS1_3repE0EEENS1_30default_config_static_selectorELNS0_4arch9wavefront6targetE1EEEvT1_
    .private_segment_fixed_size: 0
    .sgpr_count:     32
    .sgpr_spill_count: 0
    .symbol:         _ZN7rocprim17ROCPRIM_400000_NS6detail17trampoline_kernelINS0_14default_configENS1_20scan_config_selectorIyEEZZNS1_9scan_implILNS1_25lookback_scan_determinismE0ELb1ELb1ES3_N6thrust23THRUST_200600_302600_NS6detail15normal_iteratorINS9_10device_ptrIyEEEENS9_16discard_iteratorINS9_11use_defaultEEEy11max_functorIyEyEEDaPvRmT3_T4_T5_mT6_P12ihipStream_tbENKUlT_T0_E_clISt17integral_constantIbLb0EESX_EEDaSS_ST_EUlSS_E_NS1_11comp_targetILNS1_3genE4ELNS1_11target_archE910ELNS1_3gpuE8ELNS1_3repE0EEENS1_30default_config_static_selectorELNS0_4arch9wavefront6targetE1EEEvT1_.kd
    .uniform_work_group_size: 1
    .uses_dynamic_stack: false
    .vgpr_count:     57
    .vgpr_spill_count: 0
    .wavefront_size: 64
  - .agpr_count:     0
    .args:
      - .offset:         0
        .size:           112
        .value_kind:     by_value
    .group_segment_fixed_size: 0
    .kernarg_segment_align: 8
    .kernarg_segment_size: 112
    .language:       OpenCL C
    .language_version:
      - 2
      - 0
    .max_flat_workgroup_size: 256
    .name:           _ZN7rocprim17ROCPRIM_400000_NS6detail17trampoline_kernelINS0_14default_configENS1_20scan_config_selectorIyEEZZNS1_9scan_implILNS1_25lookback_scan_determinismE0ELb1ELb1ES3_N6thrust23THRUST_200600_302600_NS6detail15normal_iteratorINS9_10device_ptrIyEEEENS9_16discard_iteratorINS9_11use_defaultEEEy11max_functorIyEyEEDaPvRmT3_T4_T5_mT6_P12ihipStream_tbENKUlT_T0_E_clISt17integral_constantIbLb0EESX_EEDaSS_ST_EUlSS_E_NS1_11comp_targetILNS1_3genE3ELNS1_11target_archE908ELNS1_3gpuE7ELNS1_3repE0EEENS1_30default_config_static_selectorELNS0_4arch9wavefront6targetE1EEEvT1_
    .private_segment_fixed_size: 0
    .sgpr_count:     4
    .sgpr_spill_count: 0
    .symbol:         _ZN7rocprim17ROCPRIM_400000_NS6detail17trampoline_kernelINS0_14default_configENS1_20scan_config_selectorIyEEZZNS1_9scan_implILNS1_25lookback_scan_determinismE0ELb1ELb1ES3_N6thrust23THRUST_200600_302600_NS6detail15normal_iteratorINS9_10device_ptrIyEEEENS9_16discard_iteratorINS9_11use_defaultEEEy11max_functorIyEyEEDaPvRmT3_T4_T5_mT6_P12ihipStream_tbENKUlT_T0_E_clISt17integral_constantIbLb0EESX_EEDaSS_ST_EUlSS_E_NS1_11comp_targetILNS1_3genE3ELNS1_11target_archE908ELNS1_3gpuE7ELNS1_3repE0EEENS1_30default_config_static_selectorELNS0_4arch9wavefront6targetE1EEEvT1_.kd
    .uniform_work_group_size: 1
    .uses_dynamic_stack: false
    .vgpr_count:     0
    .vgpr_spill_count: 0
    .wavefront_size: 64
  - .agpr_count:     0
    .args:
      - .offset:         0
        .size:           112
        .value_kind:     by_value
    .group_segment_fixed_size: 0
    .kernarg_segment_align: 8
    .kernarg_segment_size: 112
    .language:       OpenCL C
    .language_version:
      - 2
      - 0
    .max_flat_workgroup_size: 64
    .name:           _ZN7rocprim17ROCPRIM_400000_NS6detail17trampoline_kernelINS0_14default_configENS1_20scan_config_selectorIyEEZZNS1_9scan_implILNS1_25lookback_scan_determinismE0ELb1ELb1ES3_N6thrust23THRUST_200600_302600_NS6detail15normal_iteratorINS9_10device_ptrIyEEEENS9_16discard_iteratorINS9_11use_defaultEEEy11max_functorIyEyEEDaPvRmT3_T4_T5_mT6_P12ihipStream_tbENKUlT_T0_E_clISt17integral_constantIbLb0EESX_EEDaSS_ST_EUlSS_E_NS1_11comp_targetILNS1_3genE2ELNS1_11target_archE906ELNS1_3gpuE6ELNS1_3repE0EEENS1_30default_config_static_selectorELNS0_4arch9wavefront6targetE1EEEvT1_
    .private_segment_fixed_size: 0
    .sgpr_count:     4
    .sgpr_spill_count: 0
    .symbol:         _ZN7rocprim17ROCPRIM_400000_NS6detail17trampoline_kernelINS0_14default_configENS1_20scan_config_selectorIyEEZZNS1_9scan_implILNS1_25lookback_scan_determinismE0ELb1ELb1ES3_N6thrust23THRUST_200600_302600_NS6detail15normal_iteratorINS9_10device_ptrIyEEEENS9_16discard_iteratorINS9_11use_defaultEEEy11max_functorIyEyEEDaPvRmT3_T4_T5_mT6_P12ihipStream_tbENKUlT_T0_E_clISt17integral_constantIbLb0EESX_EEDaSS_ST_EUlSS_E_NS1_11comp_targetILNS1_3genE2ELNS1_11target_archE906ELNS1_3gpuE6ELNS1_3repE0EEENS1_30default_config_static_selectorELNS0_4arch9wavefront6targetE1EEEvT1_.kd
    .uniform_work_group_size: 1
    .uses_dynamic_stack: false
    .vgpr_count:     0
    .vgpr_spill_count: 0
    .wavefront_size: 64
  - .agpr_count:     0
    .args:
      - .offset:         0
        .size:           112
        .value_kind:     by_value
    .group_segment_fixed_size: 0
    .kernarg_segment_align: 8
    .kernarg_segment_size: 112
    .language:       OpenCL C
    .language_version:
      - 2
      - 0
    .max_flat_workgroup_size: 256
    .name:           _ZN7rocprim17ROCPRIM_400000_NS6detail17trampoline_kernelINS0_14default_configENS1_20scan_config_selectorIyEEZZNS1_9scan_implILNS1_25lookback_scan_determinismE0ELb1ELb1ES3_N6thrust23THRUST_200600_302600_NS6detail15normal_iteratorINS9_10device_ptrIyEEEENS9_16discard_iteratorINS9_11use_defaultEEEy11max_functorIyEyEEDaPvRmT3_T4_T5_mT6_P12ihipStream_tbENKUlT_T0_E_clISt17integral_constantIbLb0EESX_EEDaSS_ST_EUlSS_E_NS1_11comp_targetILNS1_3genE10ELNS1_11target_archE1201ELNS1_3gpuE5ELNS1_3repE0EEENS1_30default_config_static_selectorELNS0_4arch9wavefront6targetE1EEEvT1_
    .private_segment_fixed_size: 0
    .sgpr_count:     4
    .sgpr_spill_count: 0
    .symbol:         _ZN7rocprim17ROCPRIM_400000_NS6detail17trampoline_kernelINS0_14default_configENS1_20scan_config_selectorIyEEZZNS1_9scan_implILNS1_25lookback_scan_determinismE0ELb1ELb1ES3_N6thrust23THRUST_200600_302600_NS6detail15normal_iteratorINS9_10device_ptrIyEEEENS9_16discard_iteratorINS9_11use_defaultEEEy11max_functorIyEyEEDaPvRmT3_T4_T5_mT6_P12ihipStream_tbENKUlT_T0_E_clISt17integral_constantIbLb0EESX_EEDaSS_ST_EUlSS_E_NS1_11comp_targetILNS1_3genE10ELNS1_11target_archE1201ELNS1_3gpuE5ELNS1_3repE0EEENS1_30default_config_static_selectorELNS0_4arch9wavefront6targetE1EEEvT1_.kd
    .uniform_work_group_size: 1
    .uses_dynamic_stack: false
    .vgpr_count:     0
    .vgpr_spill_count: 0
    .wavefront_size: 64
  - .agpr_count:     0
    .args:
      - .offset:         0
        .size:           112
        .value_kind:     by_value
    .group_segment_fixed_size: 0
    .kernarg_segment_align: 8
    .kernarg_segment_size: 112
    .language:       OpenCL C
    .language_version:
      - 2
      - 0
    .max_flat_workgroup_size: 256
    .name:           _ZN7rocprim17ROCPRIM_400000_NS6detail17trampoline_kernelINS0_14default_configENS1_20scan_config_selectorIyEEZZNS1_9scan_implILNS1_25lookback_scan_determinismE0ELb1ELb1ES3_N6thrust23THRUST_200600_302600_NS6detail15normal_iteratorINS9_10device_ptrIyEEEENS9_16discard_iteratorINS9_11use_defaultEEEy11max_functorIyEyEEDaPvRmT3_T4_T5_mT6_P12ihipStream_tbENKUlT_T0_E_clISt17integral_constantIbLb0EESX_EEDaSS_ST_EUlSS_E_NS1_11comp_targetILNS1_3genE10ELNS1_11target_archE1200ELNS1_3gpuE4ELNS1_3repE0EEENS1_30default_config_static_selectorELNS0_4arch9wavefront6targetE1EEEvT1_
    .private_segment_fixed_size: 0
    .sgpr_count:     4
    .sgpr_spill_count: 0
    .symbol:         _ZN7rocprim17ROCPRIM_400000_NS6detail17trampoline_kernelINS0_14default_configENS1_20scan_config_selectorIyEEZZNS1_9scan_implILNS1_25lookback_scan_determinismE0ELb1ELb1ES3_N6thrust23THRUST_200600_302600_NS6detail15normal_iteratorINS9_10device_ptrIyEEEENS9_16discard_iteratorINS9_11use_defaultEEEy11max_functorIyEyEEDaPvRmT3_T4_T5_mT6_P12ihipStream_tbENKUlT_T0_E_clISt17integral_constantIbLb0EESX_EEDaSS_ST_EUlSS_E_NS1_11comp_targetILNS1_3genE10ELNS1_11target_archE1200ELNS1_3gpuE4ELNS1_3repE0EEENS1_30default_config_static_selectorELNS0_4arch9wavefront6targetE1EEEvT1_.kd
    .uniform_work_group_size: 1
    .uses_dynamic_stack: false
    .vgpr_count:     0
    .vgpr_spill_count: 0
    .wavefront_size: 64
  - .agpr_count:     0
    .args:
      - .offset:         0
        .size:           112
        .value_kind:     by_value
    .group_segment_fixed_size: 0
    .kernarg_segment_align: 8
    .kernarg_segment_size: 112
    .language:       OpenCL C
    .language_version:
      - 2
      - 0
    .max_flat_workgroup_size: 256
    .name:           _ZN7rocprim17ROCPRIM_400000_NS6detail17trampoline_kernelINS0_14default_configENS1_20scan_config_selectorIyEEZZNS1_9scan_implILNS1_25lookback_scan_determinismE0ELb1ELb1ES3_N6thrust23THRUST_200600_302600_NS6detail15normal_iteratorINS9_10device_ptrIyEEEENS9_16discard_iteratorINS9_11use_defaultEEEy11max_functorIyEyEEDaPvRmT3_T4_T5_mT6_P12ihipStream_tbENKUlT_T0_E_clISt17integral_constantIbLb0EESX_EEDaSS_ST_EUlSS_E_NS1_11comp_targetILNS1_3genE9ELNS1_11target_archE1100ELNS1_3gpuE3ELNS1_3repE0EEENS1_30default_config_static_selectorELNS0_4arch9wavefront6targetE1EEEvT1_
    .private_segment_fixed_size: 0
    .sgpr_count:     4
    .sgpr_spill_count: 0
    .symbol:         _ZN7rocprim17ROCPRIM_400000_NS6detail17trampoline_kernelINS0_14default_configENS1_20scan_config_selectorIyEEZZNS1_9scan_implILNS1_25lookback_scan_determinismE0ELb1ELb1ES3_N6thrust23THRUST_200600_302600_NS6detail15normal_iteratorINS9_10device_ptrIyEEEENS9_16discard_iteratorINS9_11use_defaultEEEy11max_functorIyEyEEDaPvRmT3_T4_T5_mT6_P12ihipStream_tbENKUlT_T0_E_clISt17integral_constantIbLb0EESX_EEDaSS_ST_EUlSS_E_NS1_11comp_targetILNS1_3genE9ELNS1_11target_archE1100ELNS1_3gpuE3ELNS1_3repE0EEENS1_30default_config_static_selectorELNS0_4arch9wavefront6targetE1EEEvT1_.kd
    .uniform_work_group_size: 1
    .uses_dynamic_stack: false
    .vgpr_count:     0
    .vgpr_spill_count: 0
    .wavefront_size: 64
  - .agpr_count:     0
    .args:
      - .offset:         0
        .size:           112
        .value_kind:     by_value
    .group_segment_fixed_size: 0
    .kernarg_segment_align: 8
    .kernarg_segment_size: 112
    .language:       OpenCL C
    .language_version:
      - 2
      - 0
    .max_flat_workgroup_size: 256
    .name:           _ZN7rocprim17ROCPRIM_400000_NS6detail17trampoline_kernelINS0_14default_configENS1_20scan_config_selectorIyEEZZNS1_9scan_implILNS1_25lookback_scan_determinismE0ELb1ELb1ES3_N6thrust23THRUST_200600_302600_NS6detail15normal_iteratorINS9_10device_ptrIyEEEENS9_16discard_iteratorINS9_11use_defaultEEEy11max_functorIyEyEEDaPvRmT3_T4_T5_mT6_P12ihipStream_tbENKUlT_T0_E_clISt17integral_constantIbLb0EESX_EEDaSS_ST_EUlSS_E_NS1_11comp_targetILNS1_3genE8ELNS1_11target_archE1030ELNS1_3gpuE2ELNS1_3repE0EEENS1_30default_config_static_selectorELNS0_4arch9wavefront6targetE1EEEvT1_
    .private_segment_fixed_size: 0
    .sgpr_count:     4
    .sgpr_spill_count: 0
    .symbol:         _ZN7rocprim17ROCPRIM_400000_NS6detail17trampoline_kernelINS0_14default_configENS1_20scan_config_selectorIyEEZZNS1_9scan_implILNS1_25lookback_scan_determinismE0ELb1ELb1ES3_N6thrust23THRUST_200600_302600_NS6detail15normal_iteratorINS9_10device_ptrIyEEEENS9_16discard_iteratorINS9_11use_defaultEEEy11max_functorIyEyEEDaPvRmT3_T4_T5_mT6_P12ihipStream_tbENKUlT_T0_E_clISt17integral_constantIbLb0EESX_EEDaSS_ST_EUlSS_E_NS1_11comp_targetILNS1_3genE8ELNS1_11target_archE1030ELNS1_3gpuE2ELNS1_3repE0EEENS1_30default_config_static_selectorELNS0_4arch9wavefront6targetE1EEEvT1_.kd
    .uniform_work_group_size: 1
    .uses_dynamic_stack: false
    .vgpr_count:     0
    .vgpr_spill_count: 0
    .wavefront_size: 64
  - .agpr_count:     0
    .args:
      - .offset:         0
        .size:           48
        .value_kind:     by_value
    .group_segment_fixed_size: 0
    .kernarg_segment_align: 8
    .kernarg_segment_size: 48
    .language:       OpenCL C
    .language_version:
      - 2
      - 0
    .max_flat_workgroup_size: 256
    .name:           _ZN7rocprim17ROCPRIM_400000_NS6detail17trampoline_kernelINS0_14default_configENS1_20scan_config_selectorIyEEZZNS1_9scan_implILNS1_25lookback_scan_determinismE0ELb1ELb1ES3_N6thrust23THRUST_200600_302600_NS6detail15normal_iteratorINS9_10device_ptrIyEEEENS9_16discard_iteratorINS9_11use_defaultEEEy11max_functorIyEyEEDaPvRmT3_T4_T5_mT6_P12ihipStream_tbENKUlT_T0_E_clISt17integral_constantIbLb0EESX_EEDaSS_ST_EUlSS_E0_NS1_11comp_targetILNS1_3genE0ELNS1_11target_archE4294967295ELNS1_3gpuE0ELNS1_3repE0EEENS1_30default_config_static_selectorELNS0_4arch9wavefront6targetE1EEEvT1_
    .private_segment_fixed_size: 0
    .sgpr_count:     4
    .sgpr_spill_count: 0
    .symbol:         _ZN7rocprim17ROCPRIM_400000_NS6detail17trampoline_kernelINS0_14default_configENS1_20scan_config_selectorIyEEZZNS1_9scan_implILNS1_25lookback_scan_determinismE0ELb1ELb1ES3_N6thrust23THRUST_200600_302600_NS6detail15normal_iteratorINS9_10device_ptrIyEEEENS9_16discard_iteratorINS9_11use_defaultEEEy11max_functorIyEyEEDaPvRmT3_T4_T5_mT6_P12ihipStream_tbENKUlT_T0_E_clISt17integral_constantIbLb0EESX_EEDaSS_ST_EUlSS_E0_NS1_11comp_targetILNS1_3genE0ELNS1_11target_archE4294967295ELNS1_3gpuE0ELNS1_3repE0EEENS1_30default_config_static_selectorELNS0_4arch9wavefront6targetE1EEEvT1_.kd
    .uniform_work_group_size: 1
    .uses_dynamic_stack: false
    .vgpr_count:     0
    .vgpr_spill_count: 0
    .wavefront_size: 64
  - .agpr_count:     0
    .args:
      - .offset:         0
        .size:           48
        .value_kind:     by_value
    .group_segment_fixed_size: 0
    .kernarg_segment_align: 8
    .kernarg_segment_size: 48
    .language:       OpenCL C
    .language_version:
      - 2
      - 0
    .max_flat_workgroup_size: 256
    .name:           _ZN7rocprim17ROCPRIM_400000_NS6detail17trampoline_kernelINS0_14default_configENS1_20scan_config_selectorIyEEZZNS1_9scan_implILNS1_25lookback_scan_determinismE0ELb1ELb1ES3_N6thrust23THRUST_200600_302600_NS6detail15normal_iteratorINS9_10device_ptrIyEEEENS9_16discard_iteratorINS9_11use_defaultEEEy11max_functorIyEyEEDaPvRmT3_T4_T5_mT6_P12ihipStream_tbENKUlT_T0_E_clISt17integral_constantIbLb0EESX_EEDaSS_ST_EUlSS_E0_NS1_11comp_targetILNS1_3genE5ELNS1_11target_archE942ELNS1_3gpuE9ELNS1_3repE0EEENS1_30default_config_static_selectorELNS0_4arch9wavefront6targetE1EEEvT1_
    .private_segment_fixed_size: 0
    .sgpr_count:     4
    .sgpr_spill_count: 0
    .symbol:         _ZN7rocprim17ROCPRIM_400000_NS6detail17trampoline_kernelINS0_14default_configENS1_20scan_config_selectorIyEEZZNS1_9scan_implILNS1_25lookback_scan_determinismE0ELb1ELb1ES3_N6thrust23THRUST_200600_302600_NS6detail15normal_iteratorINS9_10device_ptrIyEEEENS9_16discard_iteratorINS9_11use_defaultEEEy11max_functorIyEyEEDaPvRmT3_T4_T5_mT6_P12ihipStream_tbENKUlT_T0_E_clISt17integral_constantIbLb0EESX_EEDaSS_ST_EUlSS_E0_NS1_11comp_targetILNS1_3genE5ELNS1_11target_archE942ELNS1_3gpuE9ELNS1_3repE0EEENS1_30default_config_static_selectorELNS0_4arch9wavefront6targetE1EEEvT1_.kd
    .uniform_work_group_size: 1
    .uses_dynamic_stack: false
    .vgpr_count:     0
    .vgpr_spill_count: 0
    .wavefront_size: 64
  - .agpr_count:     0
    .args:
      - .offset:         0
        .size:           48
        .value_kind:     by_value
    .group_segment_fixed_size: 7168
    .kernarg_segment_align: 8
    .kernarg_segment_size: 48
    .language:       OpenCL C
    .language_version:
      - 2
      - 0
    .max_flat_workgroup_size: 128
    .name:           _ZN7rocprim17ROCPRIM_400000_NS6detail17trampoline_kernelINS0_14default_configENS1_20scan_config_selectorIyEEZZNS1_9scan_implILNS1_25lookback_scan_determinismE0ELb1ELb1ES3_N6thrust23THRUST_200600_302600_NS6detail15normal_iteratorINS9_10device_ptrIyEEEENS9_16discard_iteratorINS9_11use_defaultEEEy11max_functorIyEyEEDaPvRmT3_T4_T5_mT6_P12ihipStream_tbENKUlT_T0_E_clISt17integral_constantIbLb0EESX_EEDaSS_ST_EUlSS_E0_NS1_11comp_targetILNS1_3genE4ELNS1_11target_archE910ELNS1_3gpuE8ELNS1_3repE0EEENS1_30default_config_static_selectorELNS0_4arch9wavefront6targetE1EEEvT1_
    .private_segment_fixed_size: 0
    .sgpr_count:     14
    .sgpr_spill_count: 0
    .symbol:         _ZN7rocprim17ROCPRIM_400000_NS6detail17trampoline_kernelINS0_14default_configENS1_20scan_config_selectorIyEEZZNS1_9scan_implILNS1_25lookback_scan_determinismE0ELb1ELb1ES3_N6thrust23THRUST_200600_302600_NS6detail15normal_iteratorINS9_10device_ptrIyEEEENS9_16discard_iteratorINS9_11use_defaultEEEy11max_functorIyEyEEDaPvRmT3_T4_T5_mT6_P12ihipStream_tbENKUlT_T0_E_clISt17integral_constantIbLb0EESX_EEDaSS_ST_EUlSS_E0_NS1_11comp_targetILNS1_3genE4ELNS1_11target_archE910ELNS1_3gpuE8ELNS1_3repE0EEENS1_30default_config_static_selectorELNS0_4arch9wavefront6targetE1EEEvT1_.kd
    .uniform_work_group_size: 1
    .uses_dynamic_stack: false
    .vgpr_count:     29
    .vgpr_spill_count: 0
    .wavefront_size: 64
  - .agpr_count:     0
    .args:
      - .offset:         0
        .size:           48
        .value_kind:     by_value
    .group_segment_fixed_size: 0
    .kernarg_segment_align: 8
    .kernarg_segment_size: 48
    .language:       OpenCL C
    .language_version:
      - 2
      - 0
    .max_flat_workgroup_size: 256
    .name:           _ZN7rocprim17ROCPRIM_400000_NS6detail17trampoline_kernelINS0_14default_configENS1_20scan_config_selectorIyEEZZNS1_9scan_implILNS1_25lookback_scan_determinismE0ELb1ELb1ES3_N6thrust23THRUST_200600_302600_NS6detail15normal_iteratorINS9_10device_ptrIyEEEENS9_16discard_iteratorINS9_11use_defaultEEEy11max_functorIyEyEEDaPvRmT3_T4_T5_mT6_P12ihipStream_tbENKUlT_T0_E_clISt17integral_constantIbLb0EESX_EEDaSS_ST_EUlSS_E0_NS1_11comp_targetILNS1_3genE3ELNS1_11target_archE908ELNS1_3gpuE7ELNS1_3repE0EEENS1_30default_config_static_selectorELNS0_4arch9wavefront6targetE1EEEvT1_
    .private_segment_fixed_size: 0
    .sgpr_count:     4
    .sgpr_spill_count: 0
    .symbol:         _ZN7rocprim17ROCPRIM_400000_NS6detail17trampoline_kernelINS0_14default_configENS1_20scan_config_selectorIyEEZZNS1_9scan_implILNS1_25lookback_scan_determinismE0ELb1ELb1ES3_N6thrust23THRUST_200600_302600_NS6detail15normal_iteratorINS9_10device_ptrIyEEEENS9_16discard_iteratorINS9_11use_defaultEEEy11max_functorIyEyEEDaPvRmT3_T4_T5_mT6_P12ihipStream_tbENKUlT_T0_E_clISt17integral_constantIbLb0EESX_EEDaSS_ST_EUlSS_E0_NS1_11comp_targetILNS1_3genE3ELNS1_11target_archE908ELNS1_3gpuE7ELNS1_3repE0EEENS1_30default_config_static_selectorELNS0_4arch9wavefront6targetE1EEEvT1_.kd
    .uniform_work_group_size: 1
    .uses_dynamic_stack: false
    .vgpr_count:     0
    .vgpr_spill_count: 0
    .wavefront_size: 64
  - .agpr_count:     0
    .args:
      - .offset:         0
        .size:           48
        .value_kind:     by_value
    .group_segment_fixed_size: 0
    .kernarg_segment_align: 8
    .kernarg_segment_size: 48
    .language:       OpenCL C
    .language_version:
      - 2
      - 0
    .max_flat_workgroup_size: 64
    .name:           _ZN7rocprim17ROCPRIM_400000_NS6detail17trampoline_kernelINS0_14default_configENS1_20scan_config_selectorIyEEZZNS1_9scan_implILNS1_25lookback_scan_determinismE0ELb1ELb1ES3_N6thrust23THRUST_200600_302600_NS6detail15normal_iteratorINS9_10device_ptrIyEEEENS9_16discard_iteratorINS9_11use_defaultEEEy11max_functorIyEyEEDaPvRmT3_T4_T5_mT6_P12ihipStream_tbENKUlT_T0_E_clISt17integral_constantIbLb0EESX_EEDaSS_ST_EUlSS_E0_NS1_11comp_targetILNS1_3genE2ELNS1_11target_archE906ELNS1_3gpuE6ELNS1_3repE0EEENS1_30default_config_static_selectorELNS0_4arch9wavefront6targetE1EEEvT1_
    .private_segment_fixed_size: 0
    .sgpr_count:     4
    .sgpr_spill_count: 0
    .symbol:         _ZN7rocprim17ROCPRIM_400000_NS6detail17trampoline_kernelINS0_14default_configENS1_20scan_config_selectorIyEEZZNS1_9scan_implILNS1_25lookback_scan_determinismE0ELb1ELb1ES3_N6thrust23THRUST_200600_302600_NS6detail15normal_iteratorINS9_10device_ptrIyEEEENS9_16discard_iteratorINS9_11use_defaultEEEy11max_functorIyEyEEDaPvRmT3_T4_T5_mT6_P12ihipStream_tbENKUlT_T0_E_clISt17integral_constantIbLb0EESX_EEDaSS_ST_EUlSS_E0_NS1_11comp_targetILNS1_3genE2ELNS1_11target_archE906ELNS1_3gpuE6ELNS1_3repE0EEENS1_30default_config_static_selectorELNS0_4arch9wavefront6targetE1EEEvT1_.kd
    .uniform_work_group_size: 1
    .uses_dynamic_stack: false
    .vgpr_count:     0
    .vgpr_spill_count: 0
    .wavefront_size: 64
  - .agpr_count:     0
    .args:
      - .offset:         0
        .size:           48
        .value_kind:     by_value
    .group_segment_fixed_size: 0
    .kernarg_segment_align: 8
    .kernarg_segment_size: 48
    .language:       OpenCL C
    .language_version:
      - 2
      - 0
    .max_flat_workgroup_size: 256
    .name:           _ZN7rocprim17ROCPRIM_400000_NS6detail17trampoline_kernelINS0_14default_configENS1_20scan_config_selectorIyEEZZNS1_9scan_implILNS1_25lookback_scan_determinismE0ELb1ELb1ES3_N6thrust23THRUST_200600_302600_NS6detail15normal_iteratorINS9_10device_ptrIyEEEENS9_16discard_iteratorINS9_11use_defaultEEEy11max_functorIyEyEEDaPvRmT3_T4_T5_mT6_P12ihipStream_tbENKUlT_T0_E_clISt17integral_constantIbLb0EESX_EEDaSS_ST_EUlSS_E0_NS1_11comp_targetILNS1_3genE10ELNS1_11target_archE1201ELNS1_3gpuE5ELNS1_3repE0EEENS1_30default_config_static_selectorELNS0_4arch9wavefront6targetE1EEEvT1_
    .private_segment_fixed_size: 0
    .sgpr_count:     4
    .sgpr_spill_count: 0
    .symbol:         _ZN7rocprim17ROCPRIM_400000_NS6detail17trampoline_kernelINS0_14default_configENS1_20scan_config_selectorIyEEZZNS1_9scan_implILNS1_25lookback_scan_determinismE0ELb1ELb1ES3_N6thrust23THRUST_200600_302600_NS6detail15normal_iteratorINS9_10device_ptrIyEEEENS9_16discard_iteratorINS9_11use_defaultEEEy11max_functorIyEyEEDaPvRmT3_T4_T5_mT6_P12ihipStream_tbENKUlT_T0_E_clISt17integral_constantIbLb0EESX_EEDaSS_ST_EUlSS_E0_NS1_11comp_targetILNS1_3genE10ELNS1_11target_archE1201ELNS1_3gpuE5ELNS1_3repE0EEENS1_30default_config_static_selectorELNS0_4arch9wavefront6targetE1EEEvT1_.kd
    .uniform_work_group_size: 1
    .uses_dynamic_stack: false
    .vgpr_count:     0
    .vgpr_spill_count: 0
    .wavefront_size: 64
  - .agpr_count:     0
    .args:
      - .offset:         0
        .size:           48
        .value_kind:     by_value
    .group_segment_fixed_size: 0
    .kernarg_segment_align: 8
    .kernarg_segment_size: 48
    .language:       OpenCL C
    .language_version:
      - 2
      - 0
    .max_flat_workgroup_size: 256
    .name:           _ZN7rocprim17ROCPRIM_400000_NS6detail17trampoline_kernelINS0_14default_configENS1_20scan_config_selectorIyEEZZNS1_9scan_implILNS1_25lookback_scan_determinismE0ELb1ELb1ES3_N6thrust23THRUST_200600_302600_NS6detail15normal_iteratorINS9_10device_ptrIyEEEENS9_16discard_iteratorINS9_11use_defaultEEEy11max_functorIyEyEEDaPvRmT3_T4_T5_mT6_P12ihipStream_tbENKUlT_T0_E_clISt17integral_constantIbLb0EESX_EEDaSS_ST_EUlSS_E0_NS1_11comp_targetILNS1_3genE10ELNS1_11target_archE1200ELNS1_3gpuE4ELNS1_3repE0EEENS1_30default_config_static_selectorELNS0_4arch9wavefront6targetE1EEEvT1_
    .private_segment_fixed_size: 0
    .sgpr_count:     4
    .sgpr_spill_count: 0
    .symbol:         _ZN7rocprim17ROCPRIM_400000_NS6detail17trampoline_kernelINS0_14default_configENS1_20scan_config_selectorIyEEZZNS1_9scan_implILNS1_25lookback_scan_determinismE0ELb1ELb1ES3_N6thrust23THRUST_200600_302600_NS6detail15normal_iteratorINS9_10device_ptrIyEEEENS9_16discard_iteratorINS9_11use_defaultEEEy11max_functorIyEyEEDaPvRmT3_T4_T5_mT6_P12ihipStream_tbENKUlT_T0_E_clISt17integral_constantIbLb0EESX_EEDaSS_ST_EUlSS_E0_NS1_11comp_targetILNS1_3genE10ELNS1_11target_archE1200ELNS1_3gpuE4ELNS1_3repE0EEENS1_30default_config_static_selectorELNS0_4arch9wavefront6targetE1EEEvT1_.kd
    .uniform_work_group_size: 1
    .uses_dynamic_stack: false
    .vgpr_count:     0
    .vgpr_spill_count: 0
    .wavefront_size: 64
  - .agpr_count:     0
    .args:
      - .offset:         0
        .size:           48
        .value_kind:     by_value
    .group_segment_fixed_size: 0
    .kernarg_segment_align: 8
    .kernarg_segment_size: 48
    .language:       OpenCL C
    .language_version:
      - 2
      - 0
    .max_flat_workgroup_size: 256
    .name:           _ZN7rocprim17ROCPRIM_400000_NS6detail17trampoline_kernelINS0_14default_configENS1_20scan_config_selectorIyEEZZNS1_9scan_implILNS1_25lookback_scan_determinismE0ELb1ELb1ES3_N6thrust23THRUST_200600_302600_NS6detail15normal_iteratorINS9_10device_ptrIyEEEENS9_16discard_iteratorINS9_11use_defaultEEEy11max_functorIyEyEEDaPvRmT3_T4_T5_mT6_P12ihipStream_tbENKUlT_T0_E_clISt17integral_constantIbLb0EESX_EEDaSS_ST_EUlSS_E0_NS1_11comp_targetILNS1_3genE9ELNS1_11target_archE1100ELNS1_3gpuE3ELNS1_3repE0EEENS1_30default_config_static_selectorELNS0_4arch9wavefront6targetE1EEEvT1_
    .private_segment_fixed_size: 0
    .sgpr_count:     4
    .sgpr_spill_count: 0
    .symbol:         _ZN7rocprim17ROCPRIM_400000_NS6detail17trampoline_kernelINS0_14default_configENS1_20scan_config_selectorIyEEZZNS1_9scan_implILNS1_25lookback_scan_determinismE0ELb1ELb1ES3_N6thrust23THRUST_200600_302600_NS6detail15normal_iteratorINS9_10device_ptrIyEEEENS9_16discard_iteratorINS9_11use_defaultEEEy11max_functorIyEyEEDaPvRmT3_T4_T5_mT6_P12ihipStream_tbENKUlT_T0_E_clISt17integral_constantIbLb0EESX_EEDaSS_ST_EUlSS_E0_NS1_11comp_targetILNS1_3genE9ELNS1_11target_archE1100ELNS1_3gpuE3ELNS1_3repE0EEENS1_30default_config_static_selectorELNS0_4arch9wavefront6targetE1EEEvT1_.kd
    .uniform_work_group_size: 1
    .uses_dynamic_stack: false
    .vgpr_count:     0
    .vgpr_spill_count: 0
    .wavefront_size: 64
  - .agpr_count:     0
    .args:
      - .offset:         0
        .size:           48
        .value_kind:     by_value
    .group_segment_fixed_size: 0
    .kernarg_segment_align: 8
    .kernarg_segment_size: 48
    .language:       OpenCL C
    .language_version:
      - 2
      - 0
    .max_flat_workgroup_size: 256
    .name:           _ZN7rocprim17ROCPRIM_400000_NS6detail17trampoline_kernelINS0_14default_configENS1_20scan_config_selectorIyEEZZNS1_9scan_implILNS1_25lookback_scan_determinismE0ELb1ELb1ES3_N6thrust23THRUST_200600_302600_NS6detail15normal_iteratorINS9_10device_ptrIyEEEENS9_16discard_iteratorINS9_11use_defaultEEEy11max_functorIyEyEEDaPvRmT3_T4_T5_mT6_P12ihipStream_tbENKUlT_T0_E_clISt17integral_constantIbLb0EESX_EEDaSS_ST_EUlSS_E0_NS1_11comp_targetILNS1_3genE8ELNS1_11target_archE1030ELNS1_3gpuE2ELNS1_3repE0EEENS1_30default_config_static_selectorELNS0_4arch9wavefront6targetE1EEEvT1_
    .private_segment_fixed_size: 0
    .sgpr_count:     4
    .sgpr_spill_count: 0
    .symbol:         _ZN7rocprim17ROCPRIM_400000_NS6detail17trampoline_kernelINS0_14default_configENS1_20scan_config_selectorIyEEZZNS1_9scan_implILNS1_25lookback_scan_determinismE0ELb1ELb1ES3_N6thrust23THRUST_200600_302600_NS6detail15normal_iteratorINS9_10device_ptrIyEEEENS9_16discard_iteratorINS9_11use_defaultEEEy11max_functorIyEyEEDaPvRmT3_T4_T5_mT6_P12ihipStream_tbENKUlT_T0_E_clISt17integral_constantIbLb0EESX_EEDaSS_ST_EUlSS_E0_NS1_11comp_targetILNS1_3genE8ELNS1_11target_archE1030ELNS1_3gpuE2ELNS1_3repE0EEENS1_30default_config_static_selectorELNS0_4arch9wavefront6targetE1EEEvT1_.kd
    .uniform_work_group_size: 1
    .uses_dynamic_stack: false
    .vgpr_count:     0
    .vgpr_spill_count: 0
    .wavefront_size: 64
  - .agpr_count:     0
    .args:
      - .offset:         0
        .size:           112
        .value_kind:     by_value
    .group_segment_fixed_size: 0
    .kernarg_segment_align: 8
    .kernarg_segment_size: 112
    .language:       OpenCL C
    .language_version:
      - 2
      - 0
    .max_flat_workgroup_size: 256
    .name:           _ZN7rocprim17ROCPRIM_400000_NS6detail17trampoline_kernelINS0_14default_configENS1_20scan_config_selectorIyEEZZNS1_9scan_implILNS1_25lookback_scan_determinismE0ELb1ELb1ES3_N6thrust23THRUST_200600_302600_NS6detail15normal_iteratorINS9_10device_ptrIyEEEENS9_16discard_iteratorINS9_11use_defaultEEEy11max_functorIyEyEEDaPvRmT3_T4_T5_mT6_P12ihipStream_tbENKUlT_T0_E_clISt17integral_constantIbLb1EESX_EEDaSS_ST_EUlSS_E_NS1_11comp_targetILNS1_3genE0ELNS1_11target_archE4294967295ELNS1_3gpuE0ELNS1_3repE0EEENS1_30default_config_static_selectorELNS0_4arch9wavefront6targetE1EEEvT1_
    .private_segment_fixed_size: 0
    .sgpr_count:     4
    .sgpr_spill_count: 0
    .symbol:         _ZN7rocprim17ROCPRIM_400000_NS6detail17trampoline_kernelINS0_14default_configENS1_20scan_config_selectorIyEEZZNS1_9scan_implILNS1_25lookback_scan_determinismE0ELb1ELb1ES3_N6thrust23THRUST_200600_302600_NS6detail15normal_iteratorINS9_10device_ptrIyEEEENS9_16discard_iteratorINS9_11use_defaultEEEy11max_functorIyEyEEDaPvRmT3_T4_T5_mT6_P12ihipStream_tbENKUlT_T0_E_clISt17integral_constantIbLb1EESX_EEDaSS_ST_EUlSS_E_NS1_11comp_targetILNS1_3genE0ELNS1_11target_archE4294967295ELNS1_3gpuE0ELNS1_3repE0EEENS1_30default_config_static_selectorELNS0_4arch9wavefront6targetE1EEEvT1_.kd
    .uniform_work_group_size: 1
    .uses_dynamic_stack: false
    .vgpr_count:     0
    .vgpr_spill_count: 0
    .wavefront_size: 64
  - .agpr_count:     0
    .args:
      - .offset:         0
        .size:           112
        .value_kind:     by_value
    .group_segment_fixed_size: 0
    .kernarg_segment_align: 8
    .kernarg_segment_size: 112
    .language:       OpenCL C
    .language_version:
      - 2
      - 0
    .max_flat_workgroup_size: 256
    .name:           _ZN7rocprim17ROCPRIM_400000_NS6detail17trampoline_kernelINS0_14default_configENS1_20scan_config_selectorIyEEZZNS1_9scan_implILNS1_25lookback_scan_determinismE0ELb1ELb1ES3_N6thrust23THRUST_200600_302600_NS6detail15normal_iteratorINS9_10device_ptrIyEEEENS9_16discard_iteratorINS9_11use_defaultEEEy11max_functorIyEyEEDaPvRmT3_T4_T5_mT6_P12ihipStream_tbENKUlT_T0_E_clISt17integral_constantIbLb1EESX_EEDaSS_ST_EUlSS_E_NS1_11comp_targetILNS1_3genE5ELNS1_11target_archE942ELNS1_3gpuE9ELNS1_3repE0EEENS1_30default_config_static_selectorELNS0_4arch9wavefront6targetE1EEEvT1_
    .private_segment_fixed_size: 0
    .sgpr_count:     4
    .sgpr_spill_count: 0
    .symbol:         _ZN7rocprim17ROCPRIM_400000_NS6detail17trampoline_kernelINS0_14default_configENS1_20scan_config_selectorIyEEZZNS1_9scan_implILNS1_25lookback_scan_determinismE0ELb1ELb1ES3_N6thrust23THRUST_200600_302600_NS6detail15normal_iteratorINS9_10device_ptrIyEEEENS9_16discard_iteratorINS9_11use_defaultEEEy11max_functorIyEyEEDaPvRmT3_T4_T5_mT6_P12ihipStream_tbENKUlT_T0_E_clISt17integral_constantIbLb1EESX_EEDaSS_ST_EUlSS_E_NS1_11comp_targetILNS1_3genE5ELNS1_11target_archE942ELNS1_3gpuE9ELNS1_3repE0EEENS1_30default_config_static_selectorELNS0_4arch9wavefront6targetE1EEEvT1_.kd
    .uniform_work_group_size: 1
    .uses_dynamic_stack: false
    .vgpr_count:     0
    .vgpr_spill_count: 0
    .wavefront_size: 64
  - .agpr_count:     0
    .args:
      - .offset:         0
        .size:           112
        .value_kind:     by_value
    .group_segment_fixed_size: 7168
    .kernarg_segment_align: 8
    .kernarg_segment_size: 112
    .language:       OpenCL C
    .language_version:
      - 2
      - 0
    .max_flat_workgroup_size: 128
    .name:           _ZN7rocprim17ROCPRIM_400000_NS6detail17trampoline_kernelINS0_14default_configENS1_20scan_config_selectorIyEEZZNS1_9scan_implILNS1_25lookback_scan_determinismE0ELb1ELb1ES3_N6thrust23THRUST_200600_302600_NS6detail15normal_iteratorINS9_10device_ptrIyEEEENS9_16discard_iteratorINS9_11use_defaultEEEy11max_functorIyEyEEDaPvRmT3_T4_T5_mT6_P12ihipStream_tbENKUlT_T0_E_clISt17integral_constantIbLb1EESX_EEDaSS_ST_EUlSS_E_NS1_11comp_targetILNS1_3genE4ELNS1_11target_archE910ELNS1_3gpuE8ELNS1_3repE0EEENS1_30default_config_static_selectorELNS0_4arch9wavefront6targetE1EEEvT1_
    .private_segment_fixed_size: 0
    .sgpr_count:     40
    .sgpr_spill_count: 0
    .symbol:         _ZN7rocprim17ROCPRIM_400000_NS6detail17trampoline_kernelINS0_14default_configENS1_20scan_config_selectorIyEEZZNS1_9scan_implILNS1_25lookback_scan_determinismE0ELb1ELb1ES3_N6thrust23THRUST_200600_302600_NS6detail15normal_iteratorINS9_10device_ptrIyEEEENS9_16discard_iteratorINS9_11use_defaultEEEy11max_functorIyEyEEDaPvRmT3_T4_T5_mT6_P12ihipStream_tbENKUlT_T0_E_clISt17integral_constantIbLb1EESX_EEDaSS_ST_EUlSS_E_NS1_11comp_targetILNS1_3genE4ELNS1_11target_archE910ELNS1_3gpuE8ELNS1_3repE0EEENS1_30default_config_static_selectorELNS0_4arch9wavefront6targetE1EEEvT1_.kd
    .uniform_work_group_size: 1
    .uses_dynamic_stack: false
    .vgpr_count:     57
    .vgpr_spill_count: 0
    .wavefront_size: 64
  - .agpr_count:     0
    .args:
      - .offset:         0
        .size:           112
        .value_kind:     by_value
    .group_segment_fixed_size: 0
    .kernarg_segment_align: 8
    .kernarg_segment_size: 112
    .language:       OpenCL C
    .language_version:
      - 2
      - 0
    .max_flat_workgroup_size: 256
    .name:           _ZN7rocprim17ROCPRIM_400000_NS6detail17trampoline_kernelINS0_14default_configENS1_20scan_config_selectorIyEEZZNS1_9scan_implILNS1_25lookback_scan_determinismE0ELb1ELb1ES3_N6thrust23THRUST_200600_302600_NS6detail15normal_iteratorINS9_10device_ptrIyEEEENS9_16discard_iteratorINS9_11use_defaultEEEy11max_functorIyEyEEDaPvRmT3_T4_T5_mT6_P12ihipStream_tbENKUlT_T0_E_clISt17integral_constantIbLb1EESX_EEDaSS_ST_EUlSS_E_NS1_11comp_targetILNS1_3genE3ELNS1_11target_archE908ELNS1_3gpuE7ELNS1_3repE0EEENS1_30default_config_static_selectorELNS0_4arch9wavefront6targetE1EEEvT1_
    .private_segment_fixed_size: 0
    .sgpr_count:     4
    .sgpr_spill_count: 0
    .symbol:         _ZN7rocprim17ROCPRIM_400000_NS6detail17trampoline_kernelINS0_14default_configENS1_20scan_config_selectorIyEEZZNS1_9scan_implILNS1_25lookback_scan_determinismE0ELb1ELb1ES3_N6thrust23THRUST_200600_302600_NS6detail15normal_iteratorINS9_10device_ptrIyEEEENS9_16discard_iteratorINS9_11use_defaultEEEy11max_functorIyEyEEDaPvRmT3_T4_T5_mT6_P12ihipStream_tbENKUlT_T0_E_clISt17integral_constantIbLb1EESX_EEDaSS_ST_EUlSS_E_NS1_11comp_targetILNS1_3genE3ELNS1_11target_archE908ELNS1_3gpuE7ELNS1_3repE0EEENS1_30default_config_static_selectorELNS0_4arch9wavefront6targetE1EEEvT1_.kd
    .uniform_work_group_size: 1
    .uses_dynamic_stack: false
    .vgpr_count:     0
    .vgpr_spill_count: 0
    .wavefront_size: 64
  - .agpr_count:     0
    .args:
      - .offset:         0
        .size:           112
        .value_kind:     by_value
    .group_segment_fixed_size: 0
    .kernarg_segment_align: 8
    .kernarg_segment_size: 112
    .language:       OpenCL C
    .language_version:
      - 2
      - 0
    .max_flat_workgroup_size: 64
    .name:           _ZN7rocprim17ROCPRIM_400000_NS6detail17trampoline_kernelINS0_14default_configENS1_20scan_config_selectorIyEEZZNS1_9scan_implILNS1_25lookback_scan_determinismE0ELb1ELb1ES3_N6thrust23THRUST_200600_302600_NS6detail15normal_iteratorINS9_10device_ptrIyEEEENS9_16discard_iteratorINS9_11use_defaultEEEy11max_functorIyEyEEDaPvRmT3_T4_T5_mT6_P12ihipStream_tbENKUlT_T0_E_clISt17integral_constantIbLb1EESX_EEDaSS_ST_EUlSS_E_NS1_11comp_targetILNS1_3genE2ELNS1_11target_archE906ELNS1_3gpuE6ELNS1_3repE0EEENS1_30default_config_static_selectorELNS0_4arch9wavefront6targetE1EEEvT1_
    .private_segment_fixed_size: 0
    .sgpr_count:     4
    .sgpr_spill_count: 0
    .symbol:         _ZN7rocprim17ROCPRIM_400000_NS6detail17trampoline_kernelINS0_14default_configENS1_20scan_config_selectorIyEEZZNS1_9scan_implILNS1_25lookback_scan_determinismE0ELb1ELb1ES3_N6thrust23THRUST_200600_302600_NS6detail15normal_iteratorINS9_10device_ptrIyEEEENS9_16discard_iteratorINS9_11use_defaultEEEy11max_functorIyEyEEDaPvRmT3_T4_T5_mT6_P12ihipStream_tbENKUlT_T0_E_clISt17integral_constantIbLb1EESX_EEDaSS_ST_EUlSS_E_NS1_11comp_targetILNS1_3genE2ELNS1_11target_archE906ELNS1_3gpuE6ELNS1_3repE0EEENS1_30default_config_static_selectorELNS0_4arch9wavefront6targetE1EEEvT1_.kd
    .uniform_work_group_size: 1
    .uses_dynamic_stack: false
    .vgpr_count:     0
    .vgpr_spill_count: 0
    .wavefront_size: 64
  - .agpr_count:     0
    .args:
      - .offset:         0
        .size:           112
        .value_kind:     by_value
    .group_segment_fixed_size: 0
    .kernarg_segment_align: 8
    .kernarg_segment_size: 112
    .language:       OpenCL C
    .language_version:
      - 2
      - 0
    .max_flat_workgroup_size: 256
    .name:           _ZN7rocprim17ROCPRIM_400000_NS6detail17trampoline_kernelINS0_14default_configENS1_20scan_config_selectorIyEEZZNS1_9scan_implILNS1_25lookback_scan_determinismE0ELb1ELb1ES3_N6thrust23THRUST_200600_302600_NS6detail15normal_iteratorINS9_10device_ptrIyEEEENS9_16discard_iteratorINS9_11use_defaultEEEy11max_functorIyEyEEDaPvRmT3_T4_T5_mT6_P12ihipStream_tbENKUlT_T0_E_clISt17integral_constantIbLb1EESX_EEDaSS_ST_EUlSS_E_NS1_11comp_targetILNS1_3genE10ELNS1_11target_archE1201ELNS1_3gpuE5ELNS1_3repE0EEENS1_30default_config_static_selectorELNS0_4arch9wavefront6targetE1EEEvT1_
    .private_segment_fixed_size: 0
    .sgpr_count:     4
    .sgpr_spill_count: 0
    .symbol:         _ZN7rocprim17ROCPRIM_400000_NS6detail17trampoline_kernelINS0_14default_configENS1_20scan_config_selectorIyEEZZNS1_9scan_implILNS1_25lookback_scan_determinismE0ELb1ELb1ES3_N6thrust23THRUST_200600_302600_NS6detail15normal_iteratorINS9_10device_ptrIyEEEENS9_16discard_iteratorINS9_11use_defaultEEEy11max_functorIyEyEEDaPvRmT3_T4_T5_mT6_P12ihipStream_tbENKUlT_T0_E_clISt17integral_constantIbLb1EESX_EEDaSS_ST_EUlSS_E_NS1_11comp_targetILNS1_3genE10ELNS1_11target_archE1201ELNS1_3gpuE5ELNS1_3repE0EEENS1_30default_config_static_selectorELNS0_4arch9wavefront6targetE1EEEvT1_.kd
    .uniform_work_group_size: 1
    .uses_dynamic_stack: false
    .vgpr_count:     0
    .vgpr_spill_count: 0
    .wavefront_size: 64
  - .agpr_count:     0
    .args:
      - .offset:         0
        .size:           112
        .value_kind:     by_value
    .group_segment_fixed_size: 0
    .kernarg_segment_align: 8
    .kernarg_segment_size: 112
    .language:       OpenCL C
    .language_version:
      - 2
      - 0
    .max_flat_workgroup_size: 256
    .name:           _ZN7rocprim17ROCPRIM_400000_NS6detail17trampoline_kernelINS0_14default_configENS1_20scan_config_selectorIyEEZZNS1_9scan_implILNS1_25lookback_scan_determinismE0ELb1ELb1ES3_N6thrust23THRUST_200600_302600_NS6detail15normal_iteratorINS9_10device_ptrIyEEEENS9_16discard_iteratorINS9_11use_defaultEEEy11max_functorIyEyEEDaPvRmT3_T4_T5_mT6_P12ihipStream_tbENKUlT_T0_E_clISt17integral_constantIbLb1EESX_EEDaSS_ST_EUlSS_E_NS1_11comp_targetILNS1_3genE10ELNS1_11target_archE1200ELNS1_3gpuE4ELNS1_3repE0EEENS1_30default_config_static_selectorELNS0_4arch9wavefront6targetE1EEEvT1_
    .private_segment_fixed_size: 0
    .sgpr_count:     4
    .sgpr_spill_count: 0
    .symbol:         _ZN7rocprim17ROCPRIM_400000_NS6detail17trampoline_kernelINS0_14default_configENS1_20scan_config_selectorIyEEZZNS1_9scan_implILNS1_25lookback_scan_determinismE0ELb1ELb1ES3_N6thrust23THRUST_200600_302600_NS6detail15normal_iteratorINS9_10device_ptrIyEEEENS9_16discard_iteratorINS9_11use_defaultEEEy11max_functorIyEyEEDaPvRmT3_T4_T5_mT6_P12ihipStream_tbENKUlT_T0_E_clISt17integral_constantIbLb1EESX_EEDaSS_ST_EUlSS_E_NS1_11comp_targetILNS1_3genE10ELNS1_11target_archE1200ELNS1_3gpuE4ELNS1_3repE0EEENS1_30default_config_static_selectorELNS0_4arch9wavefront6targetE1EEEvT1_.kd
    .uniform_work_group_size: 1
    .uses_dynamic_stack: false
    .vgpr_count:     0
    .vgpr_spill_count: 0
    .wavefront_size: 64
  - .agpr_count:     0
    .args:
      - .offset:         0
        .size:           112
        .value_kind:     by_value
    .group_segment_fixed_size: 0
    .kernarg_segment_align: 8
    .kernarg_segment_size: 112
    .language:       OpenCL C
    .language_version:
      - 2
      - 0
    .max_flat_workgroup_size: 256
    .name:           _ZN7rocprim17ROCPRIM_400000_NS6detail17trampoline_kernelINS0_14default_configENS1_20scan_config_selectorIyEEZZNS1_9scan_implILNS1_25lookback_scan_determinismE0ELb1ELb1ES3_N6thrust23THRUST_200600_302600_NS6detail15normal_iteratorINS9_10device_ptrIyEEEENS9_16discard_iteratorINS9_11use_defaultEEEy11max_functorIyEyEEDaPvRmT3_T4_T5_mT6_P12ihipStream_tbENKUlT_T0_E_clISt17integral_constantIbLb1EESX_EEDaSS_ST_EUlSS_E_NS1_11comp_targetILNS1_3genE9ELNS1_11target_archE1100ELNS1_3gpuE3ELNS1_3repE0EEENS1_30default_config_static_selectorELNS0_4arch9wavefront6targetE1EEEvT1_
    .private_segment_fixed_size: 0
    .sgpr_count:     4
    .sgpr_spill_count: 0
    .symbol:         _ZN7rocprim17ROCPRIM_400000_NS6detail17trampoline_kernelINS0_14default_configENS1_20scan_config_selectorIyEEZZNS1_9scan_implILNS1_25lookback_scan_determinismE0ELb1ELb1ES3_N6thrust23THRUST_200600_302600_NS6detail15normal_iteratorINS9_10device_ptrIyEEEENS9_16discard_iteratorINS9_11use_defaultEEEy11max_functorIyEyEEDaPvRmT3_T4_T5_mT6_P12ihipStream_tbENKUlT_T0_E_clISt17integral_constantIbLb1EESX_EEDaSS_ST_EUlSS_E_NS1_11comp_targetILNS1_3genE9ELNS1_11target_archE1100ELNS1_3gpuE3ELNS1_3repE0EEENS1_30default_config_static_selectorELNS0_4arch9wavefront6targetE1EEEvT1_.kd
    .uniform_work_group_size: 1
    .uses_dynamic_stack: false
    .vgpr_count:     0
    .vgpr_spill_count: 0
    .wavefront_size: 64
  - .agpr_count:     0
    .args:
      - .offset:         0
        .size:           112
        .value_kind:     by_value
    .group_segment_fixed_size: 0
    .kernarg_segment_align: 8
    .kernarg_segment_size: 112
    .language:       OpenCL C
    .language_version:
      - 2
      - 0
    .max_flat_workgroup_size: 256
    .name:           _ZN7rocprim17ROCPRIM_400000_NS6detail17trampoline_kernelINS0_14default_configENS1_20scan_config_selectorIyEEZZNS1_9scan_implILNS1_25lookback_scan_determinismE0ELb1ELb1ES3_N6thrust23THRUST_200600_302600_NS6detail15normal_iteratorINS9_10device_ptrIyEEEENS9_16discard_iteratorINS9_11use_defaultEEEy11max_functorIyEyEEDaPvRmT3_T4_T5_mT6_P12ihipStream_tbENKUlT_T0_E_clISt17integral_constantIbLb1EESX_EEDaSS_ST_EUlSS_E_NS1_11comp_targetILNS1_3genE8ELNS1_11target_archE1030ELNS1_3gpuE2ELNS1_3repE0EEENS1_30default_config_static_selectorELNS0_4arch9wavefront6targetE1EEEvT1_
    .private_segment_fixed_size: 0
    .sgpr_count:     4
    .sgpr_spill_count: 0
    .symbol:         _ZN7rocprim17ROCPRIM_400000_NS6detail17trampoline_kernelINS0_14default_configENS1_20scan_config_selectorIyEEZZNS1_9scan_implILNS1_25lookback_scan_determinismE0ELb1ELb1ES3_N6thrust23THRUST_200600_302600_NS6detail15normal_iteratorINS9_10device_ptrIyEEEENS9_16discard_iteratorINS9_11use_defaultEEEy11max_functorIyEyEEDaPvRmT3_T4_T5_mT6_P12ihipStream_tbENKUlT_T0_E_clISt17integral_constantIbLb1EESX_EEDaSS_ST_EUlSS_E_NS1_11comp_targetILNS1_3genE8ELNS1_11target_archE1030ELNS1_3gpuE2ELNS1_3repE0EEENS1_30default_config_static_selectorELNS0_4arch9wavefront6targetE1EEEvT1_.kd
    .uniform_work_group_size: 1
    .uses_dynamic_stack: false
    .vgpr_count:     0
    .vgpr_spill_count: 0
    .wavefront_size: 64
  - .agpr_count:     0
    .args:
      - .offset:         0
        .size:           48
        .value_kind:     by_value
    .group_segment_fixed_size: 0
    .kernarg_segment_align: 8
    .kernarg_segment_size: 48
    .language:       OpenCL C
    .language_version:
      - 2
      - 0
    .max_flat_workgroup_size: 256
    .name:           _ZN7rocprim17ROCPRIM_400000_NS6detail17trampoline_kernelINS0_14default_configENS1_20scan_config_selectorIyEEZZNS1_9scan_implILNS1_25lookback_scan_determinismE0ELb1ELb1ES3_N6thrust23THRUST_200600_302600_NS6detail15normal_iteratorINS9_10device_ptrIyEEEENS9_16discard_iteratorINS9_11use_defaultEEEy11max_functorIyEyEEDaPvRmT3_T4_T5_mT6_P12ihipStream_tbENKUlT_T0_E_clISt17integral_constantIbLb1EESX_EEDaSS_ST_EUlSS_E0_NS1_11comp_targetILNS1_3genE0ELNS1_11target_archE4294967295ELNS1_3gpuE0ELNS1_3repE0EEENS1_30default_config_static_selectorELNS0_4arch9wavefront6targetE1EEEvT1_
    .private_segment_fixed_size: 0
    .sgpr_count:     4
    .sgpr_spill_count: 0
    .symbol:         _ZN7rocprim17ROCPRIM_400000_NS6detail17trampoline_kernelINS0_14default_configENS1_20scan_config_selectorIyEEZZNS1_9scan_implILNS1_25lookback_scan_determinismE0ELb1ELb1ES3_N6thrust23THRUST_200600_302600_NS6detail15normal_iteratorINS9_10device_ptrIyEEEENS9_16discard_iteratorINS9_11use_defaultEEEy11max_functorIyEyEEDaPvRmT3_T4_T5_mT6_P12ihipStream_tbENKUlT_T0_E_clISt17integral_constantIbLb1EESX_EEDaSS_ST_EUlSS_E0_NS1_11comp_targetILNS1_3genE0ELNS1_11target_archE4294967295ELNS1_3gpuE0ELNS1_3repE0EEENS1_30default_config_static_selectorELNS0_4arch9wavefront6targetE1EEEvT1_.kd
    .uniform_work_group_size: 1
    .uses_dynamic_stack: false
    .vgpr_count:     0
    .vgpr_spill_count: 0
    .wavefront_size: 64
  - .agpr_count:     0
    .args:
      - .offset:         0
        .size:           48
        .value_kind:     by_value
    .group_segment_fixed_size: 0
    .kernarg_segment_align: 8
    .kernarg_segment_size: 48
    .language:       OpenCL C
    .language_version:
      - 2
      - 0
    .max_flat_workgroup_size: 256
    .name:           _ZN7rocprim17ROCPRIM_400000_NS6detail17trampoline_kernelINS0_14default_configENS1_20scan_config_selectorIyEEZZNS1_9scan_implILNS1_25lookback_scan_determinismE0ELb1ELb1ES3_N6thrust23THRUST_200600_302600_NS6detail15normal_iteratorINS9_10device_ptrIyEEEENS9_16discard_iteratorINS9_11use_defaultEEEy11max_functorIyEyEEDaPvRmT3_T4_T5_mT6_P12ihipStream_tbENKUlT_T0_E_clISt17integral_constantIbLb1EESX_EEDaSS_ST_EUlSS_E0_NS1_11comp_targetILNS1_3genE5ELNS1_11target_archE942ELNS1_3gpuE9ELNS1_3repE0EEENS1_30default_config_static_selectorELNS0_4arch9wavefront6targetE1EEEvT1_
    .private_segment_fixed_size: 0
    .sgpr_count:     4
    .sgpr_spill_count: 0
    .symbol:         _ZN7rocprim17ROCPRIM_400000_NS6detail17trampoline_kernelINS0_14default_configENS1_20scan_config_selectorIyEEZZNS1_9scan_implILNS1_25lookback_scan_determinismE0ELb1ELb1ES3_N6thrust23THRUST_200600_302600_NS6detail15normal_iteratorINS9_10device_ptrIyEEEENS9_16discard_iteratorINS9_11use_defaultEEEy11max_functorIyEyEEDaPvRmT3_T4_T5_mT6_P12ihipStream_tbENKUlT_T0_E_clISt17integral_constantIbLb1EESX_EEDaSS_ST_EUlSS_E0_NS1_11comp_targetILNS1_3genE5ELNS1_11target_archE942ELNS1_3gpuE9ELNS1_3repE0EEENS1_30default_config_static_selectorELNS0_4arch9wavefront6targetE1EEEvT1_.kd
    .uniform_work_group_size: 1
    .uses_dynamic_stack: false
    .vgpr_count:     0
    .vgpr_spill_count: 0
    .wavefront_size: 64
  - .agpr_count:     0
    .args:
      - .offset:         0
        .size:           48
        .value_kind:     by_value
    .group_segment_fixed_size: 7168
    .kernarg_segment_align: 8
    .kernarg_segment_size: 48
    .language:       OpenCL C
    .language_version:
      - 2
      - 0
    .max_flat_workgroup_size: 128
    .name:           _ZN7rocprim17ROCPRIM_400000_NS6detail17trampoline_kernelINS0_14default_configENS1_20scan_config_selectorIyEEZZNS1_9scan_implILNS1_25lookback_scan_determinismE0ELb1ELb1ES3_N6thrust23THRUST_200600_302600_NS6detail15normal_iteratorINS9_10device_ptrIyEEEENS9_16discard_iteratorINS9_11use_defaultEEEy11max_functorIyEyEEDaPvRmT3_T4_T5_mT6_P12ihipStream_tbENKUlT_T0_E_clISt17integral_constantIbLb1EESX_EEDaSS_ST_EUlSS_E0_NS1_11comp_targetILNS1_3genE4ELNS1_11target_archE910ELNS1_3gpuE8ELNS1_3repE0EEENS1_30default_config_static_selectorELNS0_4arch9wavefront6targetE1EEEvT1_
    .private_segment_fixed_size: 0
    .sgpr_count:     14
    .sgpr_spill_count: 0
    .symbol:         _ZN7rocprim17ROCPRIM_400000_NS6detail17trampoline_kernelINS0_14default_configENS1_20scan_config_selectorIyEEZZNS1_9scan_implILNS1_25lookback_scan_determinismE0ELb1ELb1ES3_N6thrust23THRUST_200600_302600_NS6detail15normal_iteratorINS9_10device_ptrIyEEEENS9_16discard_iteratorINS9_11use_defaultEEEy11max_functorIyEyEEDaPvRmT3_T4_T5_mT6_P12ihipStream_tbENKUlT_T0_E_clISt17integral_constantIbLb1EESX_EEDaSS_ST_EUlSS_E0_NS1_11comp_targetILNS1_3genE4ELNS1_11target_archE910ELNS1_3gpuE8ELNS1_3repE0EEENS1_30default_config_static_selectorELNS0_4arch9wavefront6targetE1EEEvT1_.kd
    .uniform_work_group_size: 1
    .uses_dynamic_stack: false
    .vgpr_count:     29
    .vgpr_spill_count: 0
    .wavefront_size: 64
  - .agpr_count:     0
    .args:
      - .offset:         0
        .size:           48
        .value_kind:     by_value
    .group_segment_fixed_size: 0
    .kernarg_segment_align: 8
    .kernarg_segment_size: 48
    .language:       OpenCL C
    .language_version:
      - 2
      - 0
    .max_flat_workgroup_size: 256
    .name:           _ZN7rocprim17ROCPRIM_400000_NS6detail17trampoline_kernelINS0_14default_configENS1_20scan_config_selectorIyEEZZNS1_9scan_implILNS1_25lookback_scan_determinismE0ELb1ELb1ES3_N6thrust23THRUST_200600_302600_NS6detail15normal_iteratorINS9_10device_ptrIyEEEENS9_16discard_iteratorINS9_11use_defaultEEEy11max_functorIyEyEEDaPvRmT3_T4_T5_mT6_P12ihipStream_tbENKUlT_T0_E_clISt17integral_constantIbLb1EESX_EEDaSS_ST_EUlSS_E0_NS1_11comp_targetILNS1_3genE3ELNS1_11target_archE908ELNS1_3gpuE7ELNS1_3repE0EEENS1_30default_config_static_selectorELNS0_4arch9wavefront6targetE1EEEvT1_
    .private_segment_fixed_size: 0
    .sgpr_count:     4
    .sgpr_spill_count: 0
    .symbol:         _ZN7rocprim17ROCPRIM_400000_NS6detail17trampoline_kernelINS0_14default_configENS1_20scan_config_selectorIyEEZZNS1_9scan_implILNS1_25lookback_scan_determinismE0ELb1ELb1ES3_N6thrust23THRUST_200600_302600_NS6detail15normal_iteratorINS9_10device_ptrIyEEEENS9_16discard_iteratorINS9_11use_defaultEEEy11max_functorIyEyEEDaPvRmT3_T4_T5_mT6_P12ihipStream_tbENKUlT_T0_E_clISt17integral_constantIbLb1EESX_EEDaSS_ST_EUlSS_E0_NS1_11comp_targetILNS1_3genE3ELNS1_11target_archE908ELNS1_3gpuE7ELNS1_3repE0EEENS1_30default_config_static_selectorELNS0_4arch9wavefront6targetE1EEEvT1_.kd
    .uniform_work_group_size: 1
    .uses_dynamic_stack: false
    .vgpr_count:     0
    .vgpr_spill_count: 0
    .wavefront_size: 64
  - .agpr_count:     0
    .args:
      - .offset:         0
        .size:           48
        .value_kind:     by_value
    .group_segment_fixed_size: 0
    .kernarg_segment_align: 8
    .kernarg_segment_size: 48
    .language:       OpenCL C
    .language_version:
      - 2
      - 0
    .max_flat_workgroup_size: 64
    .name:           _ZN7rocprim17ROCPRIM_400000_NS6detail17trampoline_kernelINS0_14default_configENS1_20scan_config_selectorIyEEZZNS1_9scan_implILNS1_25lookback_scan_determinismE0ELb1ELb1ES3_N6thrust23THRUST_200600_302600_NS6detail15normal_iteratorINS9_10device_ptrIyEEEENS9_16discard_iteratorINS9_11use_defaultEEEy11max_functorIyEyEEDaPvRmT3_T4_T5_mT6_P12ihipStream_tbENKUlT_T0_E_clISt17integral_constantIbLb1EESX_EEDaSS_ST_EUlSS_E0_NS1_11comp_targetILNS1_3genE2ELNS1_11target_archE906ELNS1_3gpuE6ELNS1_3repE0EEENS1_30default_config_static_selectorELNS0_4arch9wavefront6targetE1EEEvT1_
    .private_segment_fixed_size: 0
    .sgpr_count:     4
    .sgpr_spill_count: 0
    .symbol:         _ZN7rocprim17ROCPRIM_400000_NS6detail17trampoline_kernelINS0_14default_configENS1_20scan_config_selectorIyEEZZNS1_9scan_implILNS1_25lookback_scan_determinismE0ELb1ELb1ES3_N6thrust23THRUST_200600_302600_NS6detail15normal_iteratorINS9_10device_ptrIyEEEENS9_16discard_iteratorINS9_11use_defaultEEEy11max_functorIyEyEEDaPvRmT3_T4_T5_mT6_P12ihipStream_tbENKUlT_T0_E_clISt17integral_constantIbLb1EESX_EEDaSS_ST_EUlSS_E0_NS1_11comp_targetILNS1_3genE2ELNS1_11target_archE906ELNS1_3gpuE6ELNS1_3repE0EEENS1_30default_config_static_selectorELNS0_4arch9wavefront6targetE1EEEvT1_.kd
    .uniform_work_group_size: 1
    .uses_dynamic_stack: false
    .vgpr_count:     0
    .vgpr_spill_count: 0
    .wavefront_size: 64
  - .agpr_count:     0
    .args:
      - .offset:         0
        .size:           48
        .value_kind:     by_value
    .group_segment_fixed_size: 0
    .kernarg_segment_align: 8
    .kernarg_segment_size: 48
    .language:       OpenCL C
    .language_version:
      - 2
      - 0
    .max_flat_workgroup_size: 256
    .name:           _ZN7rocprim17ROCPRIM_400000_NS6detail17trampoline_kernelINS0_14default_configENS1_20scan_config_selectorIyEEZZNS1_9scan_implILNS1_25lookback_scan_determinismE0ELb1ELb1ES3_N6thrust23THRUST_200600_302600_NS6detail15normal_iteratorINS9_10device_ptrIyEEEENS9_16discard_iteratorINS9_11use_defaultEEEy11max_functorIyEyEEDaPvRmT3_T4_T5_mT6_P12ihipStream_tbENKUlT_T0_E_clISt17integral_constantIbLb1EESX_EEDaSS_ST_EUlSS_E0_NS1_11comp_targetILNS1_3genE10ELNS1_11target_archE1201ELNS1_3gpuE5ELNS1_3repE0EEENS1_30default_config_static_selectorELNS0_4arch9wavefront6targetE1EEEvT1_
    .private_segment_fixed_size: 0
    .sgpr_count:     4
    .sgpr_spill_count: 0
    .symbol:         _ZN7rocprim17ROCPRIM_400000_NS6detail17trampoline_kernelINS0_14default_configENS1_20scan_config_selectorIyEEZZNS1_9scan_implILNS1_25lookback_scan_determinismE0ELb1ELb1ES3_N6thrust23THRUST_200600_302600_NS6detail15normal_iteratorINS9_10device_ptrIyEEEENS9_16discard_iteratorINS9_11use_defaultEEEy11max_functorIyEyEEDaPvRmT3_T4_T5_mT6_P12ihipStream_tbENKUlT_T0_E_clISt17integral_constantIbLb1EESX_EEDaSS_ST_EUlSS_E0_NS1_11comp_targetILNS1_3genE10ELNS1_11target_archE1201ELNS1_3gpuE5ELNS1_3repE0EEENS1_30default_config_static_selectorELNS0_4arch9wavefront6targetE1EEEvT1_.kd
    .uniform_work_group_size: 1
    .uses_dynamic_stack: false
    .vgpr_count:     0
    .vgpr_spill_count: 0
    .wavefront_size: 64
  - .agpr_count:     0
    .args:
      - .offset:         0
        .size:           48
        .value_kind:     by_value
    .group_segment_fixed_size: 0
    .kernarg_segment_align: 8
    .kernarg_segment_size: 48
    .language:       OpenCL C
    .language_version:
      - 2
      - 0
    .max_flat_workgroup_size: 256
    .name:           _ZN7rocprim17ROCPRIM_400000_NS6detail17trampoline_kernelINS0_14default_configENS1_20scan_config_selectorIyEEZZNS1_9scan_implILNS1_25lookback_scan_determinismE0ELb1ELb1ES3_N6thrust23THRUST_200600_302600_NS6detail15normal_iteratorINS9_10device_ptrIyEEEENS9_16discard_iteratorINS9_11use_defaultEEEy11max_functorIyEyEEDaPvRmT3_T4_T5_mT6_P12ihipStream_tbENKUlT_T0_E_clISt17integral_constantIbLb1EESX_EEDaSS_ST_EUlSS_E0_NS1_11comp_targetILNS1_3genE10ELNS1_11target_archE1200ELNS1_3gpuE4ELNS1_3repE0EEENS1_30default_config_static_selectorELNS0_4arch9wavefront6targetE1EEEvT1_
    .private_segment_fixed_size: 0
    .sgpr_count:     4
    .sgpr_spill_count: 0
    .symbol:         _ZN7rocprim17ROCPRIM_400000_NS6detail17trampoline_kernelINS0_14default_configENS1_20scan_config_selectorIyEEZZNS1_9scan_implILNS1_25lookback_scan_determinismE0ELb1ELb1ES3_N6thrust23THRUST_200600_302600_NS6detail15normal_iteratorINS9_10device_ptrIyEEEENS9_16discard_iteratorINS9_11use_defaultEEEy11max_functorIyEyEEDaPvRmT3_T4_T5_mT6_P12ihipStream_tbENKUlT_T0_E_clISt17integral_constantIbLb1EESX_EEDaSS_ST_EUlSS_E0_NS1_11comp_targetILNS1_3genE10ELNS1_11target_archE1200ELNS1_3gpuE4ELNS1_3repE0EEENS1_30default_config_static_selectorELNS0_4arch9wavefront6targetE1EEEvT1_.kd
    .uniform_work_group_size: 1
    .uses_dynamic_stack: false
    .vgpr_count:     0
    .vgpr_spill_count: 0
    .wavefront_size: 64
  - .agpr_count:     0
    .args:
      - .offset:         0
        .size:           48
        .value_kind:     by_value
    .group_segment_fixed_size: 0
    .kernarg_segment_align: 8
    .kernarg_segment_size: 48
    .language:       OpenCL C
    .language_version:
      - 2
      - 0
    .max_flat_workgroup_size: 256
    .name:           _ZN7rocprim17ROCPRIM_400000_NS6detail17trampoline_kernelINS0_14default_configENS1_20scan_config_selectorIyEEZZNS1_9scan_implILNS1_25lookback_scan_determinismE0ELb1ELb1ES3_N6thrust23THRUST_200600_302600_NS6detail15normal_iteratorINS9_10device_ptrIyEEEENS9_16discard_iteratorINS9_11use_defaultEEEy11max_functorIyEyEEDaPvRmT3_T4_T5_mT6_P12ihipStream_tbENKUlT_T0_E_clISt17integral_constantIbLb1EESX_EEDaSS_ST_EUlSS_E0_NS1_11comp_targetILNS1_3genE9ELNS1_11target_archE1100ELNS1_3gpuE3ELNS1_3repE0EEENS1_30default_config_static_selectorELNS0_4arch9wavefront6targetE1EEEvT1_
    .private_segment_fixed_size: 0
    .sgpr_count:     4
    .sgpr_spill_count: 0
    .symbol:         _ZN7rocprim17ROCPRIM_400000_NS6detail17trampoline_kernelINS0_14default_configENS1_20scan_config_selectorIyEEZZNS1_9scan_implILNS1_25lookback_scan_determinismE0ELb1ELb1ES3_N6thrust23THRUST_200600_302600_NS6detail15normal_iteratorINS9_10device_ptrIyEEEENS9_16discard_iteratorINS9_11use_defaultEEEy11max_functorIyEyEEDaPvRmT3_T4_T5_mT6_P12ihipStream_tbENKUlT_T0_E_clISt17integral_constantIbLb1EESX_EEDaSS_ST_EUlSS_E0_NS1_11comp_targetILNS1_3genE9ELNS1_11target_archE1100ELNS1_3gpuE3ELNS1_3repE0EEENS1_30default_config_static_selectorELNS0_4arch9wavefront6targetE1EEEvT1_.kd
    .uniform_work_group_size: 1
    .uses_dynamic_stack: false
    .vgpr_count:     0
    .vgpr_spill_count: 0
    .wavefront_size: 64
  - .agpr_count:     0
    .args:
      - .offset:         0
        .size:           48
        .value_kind:     by_value
    .group_segment_fixed_size: 0
    .kernarg_segment_align: 8
    .kernarg_segment_size: 48
    .language:       OpenCL C
    .language_version:
      - 2
      - 0
    .max_flat_workgroup_size: 256
    .name:           _ZN7rocprim17ROCPRIM_400000_NS6detail17trampoline_kernelINS0_14default_configENS1_20scan_config_selectorIyEEZZNS1_9scan_implILNS1_25lookback_scan_determinismE0ELb1ELb1ES3_N6thrust23THRUST_200600_302600_NS6detail15normal_iteratorINS9_10device_ptrIyEEEENS9_16discard_iteratorINS9_11use_defaultEEEy11max_functorIyEyEEDaPvRmT3_T4_T5_mT6_P12ihipStream_tbENKUlT_T0_E_clISt17integral_constantIbLb1EESX_EEDaSS_ST_EUlSS_E0_NS1_11comp_targetILNS1_3genE8ELNS1_11target_archE1030ELNS1_3gpuE2ELNS1_3repE0EEENS1_30default_config_static_selectorELNS0_4arch9wavefront6targetE1EEEvT1_
    .private_segment_fixed_size: 0
    .sgpr_count:     4
    .sgpr_spill_count: 0
    .symbol:         _ZN7rocprim17ROCPRIM_400000_NS6detail17trampoline_kernelINS0_14default_configENS1_20scan_config_selectorIyEEZZNS1_9scan_implILNS1_25lookback_scan_determinismE0ELb1ELb1ES3_N6thrust23THRUST_200600_302600_NS6detail15normal_iteratorINS9_10device_ptrIyEEEENS9_16discard_iteratorINS9_11use_defaultEEEy11max_functorIyEyEEDaPvRmT3_T4_T5_mT6_P12ihipStream_tbENKUlT_T0_E_clISt17integral_constantIbLb1EESX_EEDaSS_ST_EUlSS_E0_NS1_11comp_targetILNS1_3genE8ELNS1_11target_archE1030ELNS1_3gpuE2ELNS1_3repE0EEENS1_30default_config_static_selectorELNS0_4arch9wavefront6targetE1EEEvT1_.kd
    .uniform_work_group_size: 1
    .uses_dynamic_stack: false
    .vgpr_count:     0
    .vgpr_spill_count: 0
    .wavefront_size: 64
  - .agpr_count:     0
    .args:
      - .offset:         0
        .size:           112
        .value_kind:     by_value
    .group_segment_fixed_size: 0
    .kernarg_segment_align: 8
    .kernarg_segment_size: 112
    .language:       OpenCL C
    .language_version:
      - 2
      - 0
    .max_flat_workgroup_size: 256
    .name:           _ZN7rocprim17ROCPRIM_400000_NS6detail17trampoline_kernelINS0_14default_configENS1_20scan_config_selectorIyEEZZNS1_9scan_implILNS1_25lookback_scan_determinismE0ELb1ELb1ES3_N6thrust23THRUST_200600_302600_NS6detail15normal_iteratorINS9_10device_ptrIyEEEENS9_16discard_iteratorINS9_11use_defaultEEEy11max_functorIyEyEEDaPvRmT3_T4_T5_mT6_P12ihipStream_tbENKUlT_T0_E_clISt17integral_constantIbLb1EESW_IbLb0EEEEDaSS_ST_EUlSS_E_NS1_11comp_targetILNS1_3genE0ELNS1_11target_archE4294967295ELNS1_3gpuE0ELNS1_3repE0EEENS1_30default_config_static_selectorELNS0_4arch9wavefront6targetE1EEEvT1_
    .private_segment_fixed_size: 0
    .sgpr_count:     4
    .sgpr_spill_count: 0
    .symbol:         _ZN7rocprim17ROCPRIM_400000_NS6detail17trampoline_kernelINS0_14default_configENS1_20scan_config_selectorIyEEZZNS1_9scan_implILNS1_25lookback_scan_determinismE0ELb1ELb1ES3_N6thrust23THRUST_200600_302600_NS6detail15normal_iteratorINS9_10device_ptrIyEEEENS9_16discard_iteratorINS9_11use_defaultEEEy11max_functorIyEyEEDaPvRmT3_T4_T5_mT6_P12ihipStream_tbENKUlT_T0_E_clISt17integral_constantIbLb1EESW_IbLb0EEEEDaSS_ST_EUlSS_E_NS1_11comp_targetILNS1_3genE0ELNS1_11target_archE4294967295ELNS1_3gpuE0ELNS1_3repE0EEENS1_30default_config_static_selectorELNS0_4arch9wavefront6targetE1EEEvT1_.kd
    .uniform_work_group_size: 1
    .uses_dynamic_stack: false
    .vgpr_count:     0
    .vgpr_spill_count: 0
    .wavefront_size: 64
  - .agpr_count:     0
    .args:
      - .offset:         0
        .size:           112
        .value_kind:     by_value
    .group_segment_fixed_size: 0
    .kernarg_segment_align: 8
    .kernarg_segment_size: 112
    .language:       OpenCL C
    .language_version:
      - 2
      - 0
    .max_flat_workgroup_size: 256
    .name:           _ZN7rocprim17ROCPRIM_400000_NS6detail17trampoline_kernelINS0_14default_configENS1_20scan_config_selectorIyEEZZNS1_9scan_implILNS1_25lookback_scan_determinismE0ELb1ELb1ES3_N6thrust23THRUST_200600_302600_NS6detail15normal_iteratorINS9_10device_ptrIyEEEENS9_16discard_iteratorINS9_11use_defaultEEEy11max_functorIyEyEEDaPvRmT3_T4_T5_mT6_P12ihipStream_tbENKUlT_T0_E_clISt17integral_constantIbLb1EESW_IbLb0EEEEDaSS_ST_EUlSS_E_NS1_11comp_targetILNS1_3genE5ELNS1_11target_archE942ELNS1_3gpuE9ELNS1_3repE0EEENS1_30default_config_static_selectorELNS0_4arch9wavefront6targetE1EEEvT1_
    .private_segment_fixed_size: 0
    .sgpr_count:     4
    .sgpr_spill_count: 0
    .symbol:         _ZN7rocprim17ROCPRIM_400000_NS6detail17trampoline_kernelINS0_14default_configENS1_20scan_config_selectorIyEEZZNS1_9scan_implILNS1_25lookback_scan_determinismE0ELb1ELb1ES3_N6thrust23THRUST_200600_302600_NS6detail15normal_iteratorINS9_10device_ptrIyEEEENS9_16discard_iteratorINS9_11use_defaultEEEy11max_functorIyEyEEDaPvRmT3_T4_T5_mT6_P12ihipStream_tbENKUlT_T0_E_clISt17integral_constantIbLb1EESW_IbLb0EEEEDaSS_ST_EUlSS_E_NS1_11comp_targetILNS1_3genE5ELNS1_11target_archE942ELNS1_3gpuE9ELNS1_3repE0EEENS1_30default_config_static_selectorELNS0_4arch9wavefront6targetE1EEEvT1_.kd
    .uniform_work_group_size: 1
    .uses_dynamic_stack: false
    .vgpr_count:     0
    .vgpr_spill_count: 0
    .wavefront_size: 64
  - .agpr_count:     0
    .args:
      - .offset:         0
        .size:           112
        .value_kind:     by_value
    .group_segment_fixed_size: 7168
    .kernarg_segment_align: 8
    .kernarg_segment_size: 112
    .language:       OpenCL C
    .language_version:
      - 2
      - 0
    .max_flat_workgroup_size: 128
    .name:           _ZN7rocprim17ROCPRIM_400000_NS6detail17trampoline_kernelINS0_14default_configENS1_20scan_config_selectorIyEEZZNS1_9scan_implILNS1_25lookback_scan_determinismE0ELb1ELb1ES3_N6thrust23THRUST_200600_302600_NS6detail15normal_iteratorINS9_10device_ptrIyEEEENS9_16discard_iteratorINS9_11use_defaultEEEy11max_functorIyEyEEDaPvRmT3_T4_T5_mT6_P12ihipStream_tbENKUlT_T0_E_clISt17integral_constantIbLb1EESW_IbLb0EEEEDaSS_ST_EUlSS_E_NS1_11comp_targetILNS1_3genE4ELNS1_11target_archE910ELNS1_3gpuE8ELNS1_3repE0EEENS1_30default_config_static_selectorELNS0_4arch9wavefront6targetE1EEEvT1_
    .private_segment_fixed_size: 0
    .sgpr_count:     32
    .sgpr_spill_count: 0
    .symbol:         _ZN7rocprim17ROCPRIM_400000_NS6detail17trampoline_kernelINS0_14default_configENS1_20scan_config_selectorIyEEZZNS1_9scan_implILNS1_25lookback_scan_determinismE0ELb1ELb1ES3_N6thrust23THRUST_200600_302600_NS6detail15normal_iteratorINS9_10device_ptrIyEEEENS9_16discard_iteratorINS9_11use_defaultEEEy11max_functorIyEyEEDaPvRmT3_T4_T5_mT6_P12ihipStream_tbENKUlT_T0_E_clISt17integral_constantIbLb1EESW_IbLb0EEEEDaSS_ST_EUlSS_E_NS1_11comp_targetILNS1_3genE4ELNS1_11target_archE910ELNS1_3gpuE8ELNS1_3repE0EEENS1_30default_config_static_selectorELNS0_4arch9wavefront6targetE1EEEvT1_.kd
    .uniform_work_group_size: 1
    .uses_dynamic_stack: false
    .vgpr_count:     57
    .vgpr_spill_count: 0
    .wavefront_size: 64
  - .agpr_count:     0
    .args:
      - .offset:         0
        .size:           112
        .value_kind:     by_value
    .group_segment_fixed_size: 0
    .kernarg_segment_align: 8
    .kernarg_segment_size: 112
    .language:       OpenCL C
    .language_version:
      - 2
      - 0
    .max_flat_workgroup_size: 256
    .name:           _ZN7rocprim17ROCPRIM_400000_NS6detail17trampoline_kernelINS0_14default_configENS1_20scan_config_selectorIyEEZZNS1_9scan_implILNS1_25lookback_scan_determinismE0ELb1ELb1ES3_N6thrust23THRUST_200600_302600_NS6detail15normal_iteratorINS9_10device_ptrIyEEEENS9_16discard_iteratorINS9_11use_defaultEEEy11max_functorIyEyEEDaPvRmT3_T4_T5_mT6_P12ihipStream_tbENKUlT_T0_E_clISt17integral_constantIbLb1EESW_IbLb0EEEEDaSS_ST_EUlSS_E_NS1_11comp_targetILNS1_3genE3ELNS1_11target_archE908ELNS1_3gpuE7ELNS1_3repE0EEENS1_30default_config_static_selectorELNS0_4arch9wavefront6targetE1EEEvT1_
    .private_segment_fixed_size: 0
    .sgpr_count:     4
    .sgpr_spill_count: 0
    .symbol:         _ZN7rocprim17ROCPRIM_400000_NS6detail17trampoline_kernelINS0_14default_configENS1_20scan_config_selectorIyEEZZNS1_9scan_implILNS1_25lookback_scan_determinismE0ELb1ELb1ES3_N6thrust23THRUST_200600_302600_NS6detail15normal_iteratorINS9_10device_ptrIyEEEENS9_16discard_iteratorINS9_11use_defaultEEEy11max_functorIyEyEEDaPvRmT3_T4_T5_mT6_P12ihipStream_tbENKUlT_T0_E_clISt17integral_constantIbLb1EESW_IbLb0EEEEDaSS_ST_EUlSS_E_NS1_11comp_targetILNS1_3genE3ELNS1_11target_archE908ELNS1_3gpuE7ELNS1_3repE0EEENS1_30default_config_static_selectorELNS0_4arch9wavefront6targetE1EEEvT1_.kd
    .uniform_work_group_size: 1
    .uses_dynamic_stack: false
    .vgpr_count:     0
    .vgpr_spill_count: 0
    .wavefront_size: 64
  - .agpr_count:     0
    .args:
      - .offset:         0
        .size:           112
        .value_kind:     by_value
    .group_segment_fixed_size: 0
    .kernarg_segment_align: 8
    .kernarg_segment_size: 112
    .language:       OpenCL C
    .language_version:
      - 2
      - 0
    .max_flat_workgroup_size: 64
    .name:           _ZN7rocprim17ROCPRIM_400000_NS6detail17trampoline_kernelINS0_14default_configENS1_20scan_config_selectorIyEEZZNS1_9scan_implILNS1_25lookback_scan_determinismE0ELb1ELb1ES3_N6thrust23THRUST_200600_302600_NS6detail15normal_iteratorINS9_10device_ptrIyEEEENS9_16discard_iteratorINS9_11use_defaultEEEy11max_functorIyEyEEDaPvRmT3_T4_T5_mT6_P12ihipStream_tbENKUlT_T0_E_clISt17integral_constantIbLb1EESW_IbLb0EEEEDaSS_ST_EUlSS_E_NS1_11comp_targetILNS1_3genE2ELNS1_11target_archE906ELNS1_3gpuE6ELNS1_3repE0EEENS1_30default_config_static_selectorELNS0_4arch9wavefront6targetE1EEEvT1_
    .private_segment_fixed_size: 0
    .sgpr_count:     4
    .sgpr_spill_count: 0
    .symbol:         _ZN7rocprim17ROCPRIM_400000_NS6detail17trampoline_kernelINS0_14default_configENS1_20scan_config_selectorIyEEZZNS1_9scan_implILNS1_25lookback_scan_determinismE0ELb1ELb1ES3_N6thrust23THRUST_200600_302600_NS6detail15normal_iteratorINS9_10device_ptrIyEEEENS9_16discard_iteratorINS9_11use_defaultEEEy11max_functorIyEyEEDaPvRmT3_T4_T5_mT6_P12ihipStream_tbENKUlT_T0_E_clISt17integral_constantIbLb1EESW_IbLb0EEEEDaSS_ST_EUlSS_E_NS1_11comp_targetILNS1_3genE2ELNS1_11target_archE906ELNS1_3gpuE6ELNS1_3repE0EEENS1_30default_config_static_selectorELNS0_4arch9wavefront6targetE1EEEvT1_.kd
    .uniform_work_group_size: 1
    .uses_dynamic_stack: false
    .vgpr_count:     0
    .vgpr_spill_count: 0
    .wavefront_size: 64
  - .agpr_count:     0
    .args:
      - .offset:         0
        .size:           112
        .value_kind:     by_value
    .group_segment_fixed_size: 0
    .kernarg_segment_align: 8
    .kernarg_segment_size: 112
    .language:       OpenCL C
    .language_version:
      - 2
      - 0
    .max_flat_workgroup_size: 256
    .name:           _ZN7rocprim17ROCPRIM_400000_NS6detail17trampoline_kernelINS0_14default_configENS1_20scan_config_selectorIyEEZZNS1_9scan_implILNS1_25lookback_scan_determinismE0ELb1ELb1ES3_N6thrust23THRUST_200600_302600_NS6detail15normal_iteratorINS9_10device_ptrIyEEEENS9_16discard_iteratorINS9_11use_defaultEEEy11max_functorIyEyEEDaPvRmT3_T4_T5_mT6_P12ihipStream_tbENKUlT_T0_E_clISt17integral_constantIbLb1EESW_IbLb0EEEEDaSS_ST_EUlSS_E_NS1_11comp_targetILNS1_3genE10ELNS1_11target_archE1201ELNS1_3gpuE5ELNS1_3repE0EEENS1_30default_config_static_selectorELNS0_4arch9wavefront6targetE1EEEvT1_
    .private_segment_fixed_size: 0
    .sgpr_count:     4
    .sgpr_spill_count: 0
    .symbol:         _ZN7rocprim17ROCPRIM_400000_NS6detail17trampoline_kernelINS0_14default_configENS1_20scan_config_selectorIyEEZZNS1_9scan_implILNS1_25lookback_scan_determinismE0ELb1ELb1ES3_N6thrust23THRUST_200600_302600_NS6detail15normal_iteratorINS9_10device_ptrIyEEEENS9_16discard_iteratorINS9_11use_defaultEEEy11max_functorIyEyEEDaPvRmT3_T4_T5_mT6_P12ihipStream_tbENKUlT_T0_E_clISt17integral_constantIbLb1EESW_IbLb0EEEEDaSS_ST_EUlSS_E_NS1_11comp_targetILNS1_3genE10ELNS1_11target_archE1201ELNS1_3gpuE5ELNS1_3repE0EEENS1_30default_config_static_selectorELNS0_4arch9wavefront6targetE1EEEvT1_.kd
    .uniform_work_group_size: 1
    .uses_dynamic_stack: false
    .vgpr_count:     0
    .vgpr_spill_count: 0
    .wavefront_size: 64
  - .agpr_count:     0
    .args:
      - .offset:         0
        .size:           112
        .value_kind:     by_value
    .group_segment_fixed_size: 0
    .kernarg_segment_align: 8
    .kernarg_segment_size: 112
    .language:       OpenCL C
    .language_version:
      - 2
      - 0
    .max_flat_workgroup_size: 256
    .name:           _ZN7rocprim17ROCPRIM_400000_NS6detail17trampoline_kernelINS0_14default_configENS1_20scan_config_selectorIyEEZZNS1_9scan_implILNS1_25lookback_scan_determinismE0ELb1ELb1ES3_N6thrust23THRUST_200600_302600_NS6detail15normal_iteratorINS9_10device_ptrIyEEEENS9_16discard_iteratorINS9_11use_defaultEEEy11max_functorIyEyEEDaPvRmT3_T4_T5_mT6_P12ihipStream_tbENKUlT_T0_E_clISt17integral_constantIbLb1EESW_IbLb0EEEEDaSS_ST_EUlSS_E_NS1_11comp_targetILNS1_3genE10ELNS1_11target_archE1200ELNS1_3gpuE4ELNS1_3repE0EEENS1_30default_config_static_selectorELNS0_4arch9wavefront6targetE1EEEvT1_
    .private_segment_fixed_size: 0
    .sgpr_count:     4
    .sgpr_spill_count: 0
    .symbol:         _ZN7rocprim17ROCPRIM_400000_NS6detail17trampoline_kernelINS0_14default_configENS1_20scan_config_selectorIyEEZZNS1_9scan_implILNS1_25lookback_scan_determinismE0ELb1ELb1ES3_N6thrust23THRUST_200600_302600_NS6detail15normal_iteratorINS9_10device_ptrIyEEEENS9_16discard_iteratorINS9_11use_defaultEEEy11max_functorIyEyEEDaPvRmT3_T4_T5_mT6_P12ihipStream_tbENKUlT_T0_E_clISt17integral_constantIbLb1EESW_IbLb0EEEEDaSS_ST_EUlSS_E_NS1_11comp_targetILNS1_3genE10ELNS1_11target_archE1200ELNS1_3gpuE4ELNS1_3repE0EEENS1_30default_config_static_selectorELNS0_4arch9wavefront6targetE1EEEvT1_.kd
    .uniform_work_group_size: 1
    .uses_dynamic_stack: false
    .vgpr_count:     0
    .vgpr_spill_count: 0
    .wavefront_size: 64
  - .agpr_count:     0
    .args:
      - .offset:         0
        .size:           112
        .value_kind:     by_value
    .group_segment_fixed_size: 0
    .kernarg_segment_align: 8
    .kernarg_segment_size: 112
    .language:       OpenCL C
    .language_version:
      - 2
      - 0
    .max_flat_workgroup_size: 256
    .name:           _ZN7rocprim17ROCPRIM_400000_NS6detail17trampoline_kernelINS0_14default_configENS1_20scan_config_selectorIyEEZZNS1_9scan_implILNS1_25lookback_scan_determinismE0ELb1ELb1ES3_N6thrust23THRUST_200600_302600_NS6detail15normal_iteratorINS9_10device_ptrIyEEEENS9_16discard_iteratorINS9_11use_defaultEEEy11max_functorIyEyEEDaPvRmT3_T4_T5_mT6_P12ihipStream_tbENKUlT_T0_E_clISt17integral_constantIbLb1EESW_IbLb0EEEEDaSS_ST_EUlSS_E_NS1_11comp_targetILNS1_3genE9ELNS1_11target_archE1100ELNS1_3gpuE3ELNS1_3repE0EEENS1_30default_config_static_selectorELNS0_4arch9wavefront6targetE1EEEvT1_
    .private_segment_fixed_size: 0
    .sgpr_count:     4
    .sgpr_spill_count: 0
    .symbol:         _ZN7rocprim17ROCPRIM_400000_NS6detail17trampoline_kernelINS0_14default_configENS1_20scan_config_selectorIyEEZZNS1_9scan_implILNS1_25lookback_scan_determinismE0ELb1ELb1ES3_N6thrust23THRUST_200600_302600_NS6detail15normal_iteratorINS9_10device_ptrIyEEEENS9_16discard_iteratorINS9_11use_defaultEEEy11max_functorIyEyEEDaPvRmT3_T4_T5_mT6_P12ihipStream_tbENKUlT_T0_E_clISt17integral_constantIbLb1EESW_IbLb0EEEEDaSS_ST_EUlSS_E_NS1_11comp_targetILNS1_3genE9ELNS1_11target_archE1100ELNS1_3gpuE3ELNS1_3repE0EEENS1_30default_config_static_selectorELNS0_4arch9wavefront6targetE1EEEvT1_.kd
    .uniform_work_group_size: 1
    .uses_dynamic_stack: false
    .vgpr_count:     0
    .vgpr_spill_count: 0
    .wavefront_size: 64
  - .agpr_count:     0
    .args:
      - .offset:         0
        .size:           112
        .value_kind:     by_value
    .group_segment_fixed_size: 0
    .kernarg_segment_align: 8
    .kernarg_segment_size: 112
    .language:       OpenCL C
    .language_version:
      - 2
      - 0
    .max_flat_workgroup_size: 256
    .name:           _ZN7rocprim17ROCPRIM_400000_NS6detail17trampoline_kernelINS0_14default_configENS1_20scan_config_selectorIyEEZZNS1_9scan_implILNS1_25lookback_scan_determinismE0ELb1ELb1ES3_N6thrust23THRUST_200600_302600_NS6detail15normal_iteratorINS9_10device_ptrIyEEEENS9_16discard_iteratorINS9_11use_defaultEEEy11max_functorIyEyEEDaPvRmT3_T4_T5_mT6_P12ihipStream_tbENKUlT_T0_E_clISt17integral_constantIbLb1EESW_IbLb0EEEEDaSS_ST_EUlSS_E_NS1_11comp_targetILNS1_3genE8ELNS1_11target_archE1030ELNS1_3gpuE2ELNS1_3repE0EEENS1_30default_config_static_selectorELNS0_4arch9wavefront6targetE1EEEvT1_
    .private_segment_fixed_size: 0
    .sgpr_count:     4
    .sgpr_spill_count: 0
    .symbol:         _ZN7rocprim17ROCPRIM_400000_NS6detail17trampoline_kernelINS0_14default_configENS1_20scan_config_selectorIyEEZZNS1_9scan_implILNS1_25lookback_scan_determinismE0ELb1ELb1ES3_N6thrust23THRUST_200600_302600_NS6detail15normal_iteratorINS9_10device_ptrIyEEEENS9_16discard_iteratorINS9_11use_defaultEEEy11max_functorIyEyEEDaPvRmT3_T4_T5_mT6_P12ihipStream_tbENKUlT_T0_E_clISt17integral_constantIbLb1EESW_IbLb0EEEEDaSS_ST_EUlSS_E_NS1_11comp_targetILNS1_3genE8ELNS1_11target_archE1030ELNS1_3gpuE2ELNS1_3repE0EEENS1_30default_config_static_selectorELNS0_4arch9wavefront6targetE1EEEvT1_.kd
    .uniform_work_group_size: 1
    .uses_dynamic_stack: false
    .vgpr_count:     0
    .vgpr_spill_count: 0
    .wavefront_size: 64
  - .agpr_count:     0
    .args:
      - .offset:         0
        .size:           48
        .value_kind:     by_value
    .group_segment_fixed_size: 0
    .kernarg_segment_align: 8
    .kernarg_segment_size: 48
    .language:       OpenCL C
    .language_version:
      - 2
      - 0
    .max_flat_workgroup_size: 256
    .name:           _ZN7rocprim17ROCPRIM_400000_NS6detail17trampoline_kernelINS0_14default_configENS1_20scan_config_selectorIyEEZZNS1_9scan_implILNS1_25lookback_scan_determinismE0ELb1ELb1ES3_N6thrust23THRUST_200600_302600_NS6detail15normal_iteratorINS9_10device_ptrIyEEEENS9_16discard_iteratorINS9_11use_defaultEEEy11max_functorIyEyEEDaPvRmT3_T4_T5_mT6_P12ihipStream_tbENKUlT_T0_E_clISt17integral_constantIbLb1EESW_IbLb0EEEEDaSS_ST_EUlSS_E0_NS1_11comp_targetILNS1_3genE0ELNS1_11target_archE4294967295ELNS1_3gpuE0ELNS1_3repE0EEENS1_30default_config_static_selectorELNS0_4arch9wavefront6targetE1EEEvT1_
    .private_segment_fixed_size: 0
    .sgpr_count:     4
    .sgpr_spill_count: 0
    .symbol:         _ZN7rocprim17ROCPRIM_400000_NS6detail17trampoline_kernelINS0_14default_configENS1_20scan_config_selectorIyEEZZNS1_9scan_implILNS1_25lookback_scan_determinismE0ELb1ELb1ES3_N6thrust23THRUST_200600_302600_NS6detail15normal_iteratorINS9_10device_ptrIyEEEENS9_16discard_iteratorINS9_11use_defaultEEEy11max_functorIyEyEEDaPvRmT3_T4_T5_mT6_P12ihipStream_tbENKUlT_T0_E_clISt17integral_constantIbLb1EESW_IbLb0EEEEDaSS_ST_EUlSS_E0_NS1_11comp_targetILNS1_3genE0ELNS1_11target_archE4294967295ELNS1_3gpuE0ELNS1_3repE0EEENS1_30default_config_static_selectorELNS0_4arch9wavefront6targetE1EEEvT1_.kd
    .uniform_work_group_size: 1
    .uses_dynamic_stack: false
    .vgpr_count:     0
    .vgpr_spill_count: 0
    .wavefront_size: 64
  - .agpr_count:     0
    .args:
      - .offset:         0
        .size:           48
        .value_kind:     by_value
    .group_segment_fixed_size: 0
    .kernarg_segment_align: 8
    .kernarg_segment_size: 48
    .language:       OpenCL C
    .language_version:
      - 2
      - 0
    .max_flat_workgroup_size: 256
    .name:           _ZN7rocprim17ROCPRIM_400000_NS6detail17trampoline_kernelINS0_14default_configENS1_20scan_config_selectorIyEEZZNS1_9scan_implILNS1_25lookback_scan_determinismE0ELb1ELb1ES3_N6thrust23THRUST_200600_302600_NS6detail15normal_iteratorINS9_10device_ptrIyEEEENS9_16discard_iteratorINS9_11use_defaultEEEy11max_functorIyEyEEDaPvRmT3_T4_T5_mT6_P12ihipStream_tbENKUlT_T0_E_clISt17integral_constantIbLb1EESW_IbLb0EEEEDaSS_ST_EUlSS_E0_NS1_11comp_targetILNS1_3genE5ELNS1_11target_archE942ELNS1_3gpuE9ELNS1_3repE0EEENS1_30default_config_static_selectorELNS0_4arch9wavefront6targetE1EEEvT1_
    .private_segment_fixed_size: 0
    .sgpr_count:     4
    .sgpr_spill_count: 0
    .symbol:         _ZN7rocprim17ROCPRIM_400000_NS6detail17trampoline_kernelINS0_14default_configENS1_20scan_config_selectorIyEEZZNS1_9scan_implILNS1_25lookback_scan_determinismE0ELb1ELb1ES3_N6thrust23THRUST_200600_302600_NS6detail15normal_iteratorINS9_10device_ptrIyEEEENS9_16discard_iteratorINS9_11use_defaultEEEy11max_functorIyEyEEDaPvRmT3_T4_T5_mT6_P12ihipStream_tbENKUlT_T0_E_clISt17integral_constantIbLb1EESW_IbLb0EEEEDaSS_ST_EUlSS_E0_NS1_11comp_targetILNS1_3genE5ELNS1_11target_archE942ELNS1_3gpuE9ELNS1_3repE0EEENS1_30default_config_static_selectorELNS0_4arch9wavefront6targetE1EEEvT1_.kd
    .uniform_work_group_size: 1
    .uses_dynamic_stack: false
    .vgpr_count:     0
    .vgpr_spill_count: 0
    .wavefront_size: 64
  - .agpr_count:     0
    .args:
      - .offset:         0
        .size:           48
        .value_kind:     by_value
    .group_segment_fixed_size: 7168
    .kernarg_segment_align: 8
    .kernarg_segment_size: 48
    .language:       OpenCL C
    .language_version:
      - 2
      - 0
    .max_flat_workgroup_size: 128
    .name:           _ZN7rocprim17ROCPRIM_400000_NS6detail17trampoline_kernelINS0_14default_configENS1_20scan_config_selectorIyEEZZNS1_9scan_implILNS1_25lookback_scan_determinismE0ELb1ELb1ES3_N6thrust23THRUST_200600_302600_NS6detail15normal_iteratorINS9_10device_ptrIyEEEENS9_16discard_iteratorINS9_11use_defaultEEEy11max_functorIyEyEEDaPvRmT3_T4_T5_mT6_P12ihipStream_tbENKUlT_T0_E_clISt17integral_constantIbLb1EESW_IbLb0EEEEDaSS_ST_EUlSS_E0_NS1_11comp_targetILNS1_3genE4ELNS1_11target_archE910ELNS1_3gpuE8ELNS1_3repE0EEENS1_30default_config_static_selectorELNS0_4arch9wavefront6targetE1EEEvT1_
    .private_segment_fixed_size: 0
    .sgpr_count:     14
    .sgpr_spill_count: 0
    .symbol:         _ZN7rocprim17ROCPRIM_400000_NS6detail17trampoline_kernelINS0_14default_configENS1_20scan_config_selectorIyEEZZNS1_9scan_implILNS1_25lookback_scan_determinismE0ELb1ELb1ES3_N6thrust23THRUST_200600_302600_NS6detail15normal_iteratorINS9_10device_ptrIyEEEENS9_16discard_iteratorINS9_11use_defaultEEEy11max_functorIyEyEEDaPvRmT3_T4_T5_mT6_P12ihipStream_tbENKUlT_T0_E_clISt17integral_constantIbLb1EESW_IbLb0EEEEDaSS_ST_EUlSS_E0_NS1_11comp_targetILNS1_3genE4ELNS1_11target_archE910ELNS1_3gpuE8ELNS1_3repE0EEENS1_30default_config_static_selectorELNS0_4arch9wavefront6targetE1EEEvT1_.kd
    .uniform_work_group_size: 1
    .uses_dynamic_stack: false
    .vgpr_count:     29
    .vgpr_spill_count: 0
    .wavefront_size: 64
  - .agpr_count:     0
    .args:
      - .offset:         0
        .size:           48
        .value_kind:     by_value
    .group_segment_fixed_size: 0
    .kernarg_segment_align: 8
    .kernarg_segment_size: 48
    .language:       OpenCL C
    .language_version:
      - 2
      - 0
    .max_flat_workgroup_size: 256
    .name:           _ZN7rocprim17ROCPRIM_400000_NS6detail17trampoline_kernelINS0_14default_configENS1_20scan_config_selectorIyEEZZNS1_9scan_implILNS1_25lookback_scan_determinismE0ELb1ELb1ES3_N6thrust23THRUST_200600_302600_NS6detail15normal_iteratorINS9_10device_ptrIyEEEENS9_16discard_iteratorINS9_11use_defaultEEEy11max_functorIyEyEEDaPvRmT3_T4_T5_mT6_P12ihipStream_tbENKUlT_T0_E_clISt17integral_constantIbLb1EESW_IbLb0EEEEDaSS_ST_EUlSS_E0_NS1_11comp_targetILNS1_3genE3ELNS1_11target_archE908ELNS1_3gpuE7ELNS1_3repE0EEENS1_30default_config_static_selectorELNS0_4arch9wavefront6targetE1EEEvT1_
    .private_segment_fixed_size: 0
    .sgpr_count:     4
    .sgpr_spill_count: 0
    .symbol:         _ZN7rocprim17ROCPRIM_400000_NS6detail17trampoline_kernelINS0_14default_configENS1_20scan_config_selectorIyEEZZNS1_9scan_implILNS1_25lookback_scan_determinismE0ELb1ELb1ES3_N6thrust23THRUST_200600_302600_NS6detail15normal_iteratorINS9_10device_ptrIyEEEENS9_16discard_iteratorINS9_11use_defaultEEEy11max_functorIyEyEEDaPvRmT3_T4_T5_mT6_P12ihipStream_tbENKUlT_T0_E_clISt17integral_constantIbLb1EESW_IbLb0EEEEDaSS_ST_EUlSS_E0_NS1_11comp_targetILNS1_3genE3ELNS1_11target_archE908ELNS1_3gpuE7ELNS1_3repE0EEENS1_30default_config_static_selectorELNS0_4arch9wavefront6targetE1EEEvT1_.kd
    .uniform_work_group_size: 1
    .uses_dynamic_stack: false
    .vgpr_count:     0
    .vgpr_spill_count: 0
    .wavefront_size: 64
  - .agpr_count:     0
    .args:
      - .offset:         0
        .size:           48
        .value_kind:     by_value
    .group_segment_fixed_size: 0
    .kernarg_segment_align: 8
    .kernarg_segment_size: 48
    .language:       OpenCL C
    .language_version:
      - 2
      - 0
    .max_flat_workgroup_size: 64
    .name:           _ZN7rocprim17ROCPRIM_400000_NS6detail17trampoline_kernelINS0_14default_configENS1_20scan_config_selectorIyEEZZNS1_9scan_implILNS1_25lookback_scan_determinismE0ELb1ELb1ES3_N6thrust23THRUST_200600_302600_NS6detail15normal_iteratorINS9_10device_ptrIyEEEENS9_16discard_iteratorINS9_11use_defaultEEEy11max_functorIyEyEEDaPvRmT3_T4_T5_mT6_P12ihipStream_tbENKUlT_T0_E_clISt17integral_constantIbLb1EESW_IbLb0EEEEDaSS_ST_EUlSS_E0_NS1_11comp_targetILNS1_3genE2ELNS1_11target_archE906ELNS1_3gpuE6ELNS1_3repE0EEENS1_30default_config_static_selectorELNS0_4arch9wavefront6targetE1EEEvT1_
    .private_segment_fixed_size: 0
    .sgpr_count:     4
    .sgpr_spill_count: 0
    .symbol:         _ZN7rocprim17ROCPRIM_400000_NS6detail17trampoline_kernelINS0_14default_configENS1_20scan_config_selectorIyEEZZNS1_9scan_implILNS1_25lookback_scan_determinismE0ELb1ELb1ES3_N6thrust23THRUST_200600_302600_NS6detail15normal_iteratorINS9_10device_ptrIyEEEENS9_16discard_iteratorINS9_11use_defaultEEEy11max_functorIyEyEEDaPvRmT3_T4_T5_mT6_P12ihipStream_tbENKUlT_T0_E_clISt17integral_constantIbLb1EESW_IbLb0EEEEDaSS_ST_EUlSS_E0_NS1_11comp_targetILNS1_3genE2ELNS1_11target_archE906ELNS1_3gpuE6ELNS1_3repE0EEENS1_30default_config_static_selectorELNS0_4arch9wavefront6targetE1EEEvT1_.kd
    .uniform_work_group_size: 1
    .uses_dynamic_stack: false
    .vgpr_count:     0
    .vgpr_spill_count: 0
    .wavefront_size: 64
  - .agpr_count:     0
    .args:
      - .offset:         0
        .size:           48
        .value_kind:     by_value
    .group_segment_fixed_size: 0
    .kernarg_segment_align: 8
    .kernarg_segment_size: 48
    .language:       OpenCL C
    .language_version:
      - 2
      - 0
    .max_flat_workgroup_size: 256
    .name:           _ZN7rocprim17ROCPRIM_400000_NS6detail17trampoline_kernelINS0_14default_configENS1_20scan_config_selectorIyEEZZNS1_9scan_implILNS1_25lookback_scan_determinismE0ELb1ELb1ES3_N6thrust23THRUST_200600_302600_NS6detail15normal_iteratorINS9_10device_ptrIyEEEENS9_16discard_iteratorINS9_11use_defaultEEEy11max_functorIyEyEEDaPvRmT3_T4_T5_mT6_P12ihipStream_tbENKUlT_T0_E_clISt17integral_constantIbLb1EESW_IbLb0EEEEDaSS_ST_EUlSS_E0_NS1_11comp_targetILNS1_3genE10ELNS1_11target_archE1201ELNS1_3gpuE5ELNS1_3repE0EEENS1_30default_config_static_selectorELNS0_4arch9wavefront6targetE1EEEvT1_
    .private_segment_fixed_size: 0
    .sgpr_count:     4
    .sgpr_spill_count: 0
    .symbol:         _ZN7rocprim17ROCPRIM_400000_NS6detail17trampoline_kernelINS0_14default_configENS1_20scan_config_selectorIyEEZZNS1_9scan_implILNS1_25lookback_scan_determinismE0ELb1ELb1ES3_N6thrust23THRUST_200600_302600_NS6detail15normal_iteratorINS9_10device_ptrIyEEEENS9_16discard_iteratorINS9_11use_defaultEEEy11max_functorIyEyEEDaPvRmT3_T4_T5_mT6_P12ihipStream_tbENKUlT_T0_E_clISt17integral_constantIbLb1EESW_IbLb0EEEEDaSS_ST_EUlSS_E0_NS1_11comp_targetILNS1_3genE10ELNS1_11target_archE1201ELNS1_3gpuE5ELNS1_3repE0EEENS1_30default_config_static_selectorELNS0_4arch9wavefront6targetE1EEEvT1_.kd
    .uniform_work_group_size: 1
    .uses_dynamic_stack: false
    .vgpr_count:     0
    .vgpr_spill_count: 0
    .wavefront_size: 64
  - .agpr_count:     0
    .args:
      - .offset:         0
        .size:           48
        .value_kind:     by_value
    .group_segment_fixed_size: 0
    .kernarg_segment_align: 8
    .kernarg_segment_size: 48
    .language:       OpenCL C
    .language_version:
      - 2
      - 0
    .max_flat_workgroup_size: 256
    .name:           _ZN7rocprim17ROCPRIM_400000_NS6detail17trampoline_kernelINS0_14default_configENS1_20scan_config_selectorIyEEZZNS1_9scan_implILNS1_25lookback_scan_determinismE0ELb1ELb1ES3_N6thrust23THRUST_200600_302600_NS6detail15normal_iteratorINS9_10device_ptrIyEEEENS9_16discard_iteratorINS9_11use_defaultEEEy11max_functorIyEyEEDaPvRmT3_T4_T5_mT6_P12ihipStream_tbENKUlT_T0_E_clISt17integral_constantIbLb1EESW_IbLb0EEEEDaSS_ST_EUlSS_E0_NS1_11comp_targetILNS1_3genE10ELNS1_11target_archE1200ELNS1_3gpuE4ELNS1_3repE0EEENS1_30default_config_static_selectorELNS0_4arch9wavefront6targetE1EEEvT1_
    .private_segment_fixed_size: 0
    .sgpr_count:     4
    .sgpr_spill_count: 0
    .symbol:         _ZN7rocprim17ROCPRIM_400000_NS6detail17trampoline_kernelINS0_14default_configENS1_20scan_config_selectorIyEEZZNS1_9scan_implILNS1_25lookback_scan_determinismE0ELb1ELb1ES3_N6thrust23THRUST_200600_302600_NS6detail15normal_iteratorINS9_10device_ptrIyEEEENS9_16discard_iteratorINS9_11use_defaultEEEy11max_functorIyEyEEDaPvRmT3_T4_T5_mT6_P12ihipStream_tbENKUlT_T0_E_clISt17integral_constantIbLb1EESW_IbLb0EEEEDaSS_ST_EUlSS_E0_NS1_11comp_targetILNS1_3genE10ELNS1_11target_archE1200ELNS1_3gpuE4ELNS1_3repE0EEENS1_30default_config_static_selectorELNS0_4arch9wavefront6targetE1EEEvT1_.kd
    .uniform_work_group_size: 1
    .uses_dynamic_stack: false
    .vgpr_count:     0
    .vgpr_spill_count: 0
    .wavefront_size: 64
  - .agpr_count:     0
    .args:
      - .offset:         0
        .size:           48
        .value_kind:     by_value
    .group_segment_fixed_size: 0
    .kernarg_segment_align: 8
    .kernarg_segment_size: 48
    .language:       OpenCL C
    .language_version:
      - 2
      - 0
    .max_flat_workgroup_size: 256
    .name:           _ZN7rocprim17ROCPRIM_400000_NS6detail17trampoline_kernelINS0_14default_configENS1_20scan_config_selectorIyEEZZNS1_9scan_implILNS1_25lookback_scan_determinismE0ELb1ELb1ES3_N6thrust23THRUST_200600_302600_NS6detail15normal_iteratorINS9_10device_ptrIyEEEENS9_16discard_iteratorINS9_11use_defaultEEEy11max_functorIyEyEEDaPvRmT3_T4_T5_mT6_P12ihipStream_tbENKUlT_T0_E_clISt17integral_constantIbLb1EESW_IbLb0EEEEDaSS_ST_EUlSS_E0_NS1_11comp_targetILNS1_3genE9ELNS1_11target_archE1100ELNS1_3gpuE3ELNS1_3repE0EEENS1_30default_config_static_selectorELNS0_4arch9wavefront6targetE1EEEvT1_
    .private_segment_fixed_size: 0
    .sgpr_count:     4
    .sgpr_spill_count: 0
    .symbol:         _ZN7rocprim17ROCPRIM_400000_NS6detail17trampoline_kernelINS0_14default_configENS1_20scan_config_selectorIyEEZZNS1_9scan_implILNS1_25lookback_scan_determinismE0ELb1ELb1ES3_N6thrust23THRUST_200600_302600_NS6detail15normal_iteratorINS9_10device_ptrIyEEEENS9_16discard_iteratorINS9_11use_defaultEEEy11max_functorIyEyEEDaPvRmT3_T4_T5_mT6_P12ihipStream_tbENKUlT_T0_E_clISt17integral_constantIbLb1EESW_IbLb0EEEEDaSS_ST_EUlSS_E0_NS1_11comp_targetILNS1_3genE9ELNS1_11target_archE1100ELNS1_3gpuE3ELNS1_3repE0EEENS1_30default_config_static_selectorELNS0_4arch9wavefront6targetE1EEEvT1_.kd
    .uniform_work_group_size: 1
    .uses_dynamic_stack: false
    .vgpr_count:     0
    .vgpr_spill_count: 0
    .wavefront_size: 64
  - .agpr_count:     0
    .args:
      - .offset:         0
        .size:           48
        .value_kind:     by_value
    .group_segment_fixed_size: 0
    .kernarg_segment_align: 8
    .kernarg_segment_size: 48
    .language:       OpenCL C
    .language_version:
      - 2
      - 0
    .max_flat_workgroup_size: 256
    .name:           _ZN7rocprim17ROCPRIM_400000_NS6detail17trampoline_kernelINS0_14default_configENS1_20scan_config_selectorIyEEZZNS1_9scan_implILNS1_25lookback_scan_determinismE0ELb1ELb1ES3_N6thrust23THRUST_200600_302600_NS6detail15normal_iteratorINS9_10device_ptrIyEEEENS9_16discard_iteratorINS9_11use_defaultEEEy11max_functorIyEyEEDaPvRmT3_T4_T5_mT6_P12ihipStream_tbENKUlT_T0_E_clISt17integral_constantIbLb1EESW_IbLb0EEEEDaSS_ST_EUlSS_E0_NS1_11comp_targetILNS1_3genE8ELNS1_11target_archE1030ELNS1_3gpuE2ELNS1_3repE0EEENS1_30default_config_static_selectorELNS0_4arch9wavefront6targetE1EEEvT1_
    .private_segment_fixed_size: 0
    .sgpr_count:     4
    .sgpr_spill_count: 0
    .symbol:         _ZN7rocprim17ROCPRIM_400000_NS6detail17trampoline_kernelINS0_14default_configENS1_20scan_config_selectorIyEEZZNS1_9scan_implILNS1_25lookback_scan_determinismE0ELb1ELb1ES3_N6thrust23THRUST_200600_302600_NS6detail15normal_iteratorINS9_10device_ptrIyEEEENS9_16discard_iteratorINS9_11use_defaultEEEy11max_functorIyEyEEDaPvRmT3_T4_T5_mT6_P12ihipStream_tbENKUlT_T0_E_clISt17integral_constantIbLb1EESW_IbLb0EEEEDaSS_ST_EUlSS_E0_NS1_11comp_targetILNS1_3genE8ELNS1_11target_archE1030ELNS1_3gpuE2ELNS1_3repE0EEENS1_30default_config_static_selectorELNS0_4arch9wavefront6targetE1EEEvT1_.kd
    .uniform_work_group_size: 1
    .uses_dynamic_stack: false
    .vgpr_count:     0
    .vgpr_spill_count: 0
    .wavefront_size: 64
  - .agpr_count:     0
    .args:
      - .offset:         0
        .size:           112
        .value_kind:     by_value
    .group_segment_fixed_size: 0
    .kernarg_segment_align: 8
    .kernarg_segment_size: 112
    .language:       OpenCL C
    .language_version:
      - 2
      - 0
    .max_flat_workgroup_size: 256
    .name:           _ZN7rocprim17ROCPRIM_400000_NS6detail17trampoline_kernelINS0_14default_configENS1_20scan_config_selectorIyEEZZNS1_9scan_implILNS1_25lookback_scan_determinismE0ELb1ELb1ES3_N6thrust23THRUST_200600_302600_NS6detail15normal_iteratorINS9_10device_ptrIyEEEENS9_16discard_iteratorINS9_11use_defaultEEEy11max_functorIyEyEEDaPvRmT3_T4_T5_mT6_P12ihipStream_tbENKUlT_T0_E_clISt17integral_constantIbLb0EESW_IbLb1EEEEDaSS_ST_EUlSS_E_NS1_11comp_targetILNS1_3genE0ELNS1_11target_archE4294967295ELNS1_3gpuE0ELNS1_3repE0EEENS1_30default_config_static_selectorELNS0_4arch9wavefront6targetE1EEEvT1_
    .private_segment_fixed_size: 0
    .sgpr_count:     4
    .sgpr_spill_count: 0
    .symbol:         _ZN7rocprim17ROCPRIM_400000_NS6detail17trampoline_kernelINS0_14default_configENS1_20scan_config_selectorIyEEZZNS1_9scan_implILNS1_25lookback_scan_determinismE0ELb1ELb1ES3_N6thrust23THRUST_200600_302600_NS6detail15normal_iteratorINS9_10device_ptrIyEEEENS9_16discard_iteratorINS9_11use_defaultEEEy11max_functorIyEyEEDaPvRmT3_T4_T5_mT6_P12ihipStream_tbENKUlT_T0_E_clISt17integral_constantIbLb0EESW_IbLb1EEEEDaSS_ST_EUlSS_E_NS1_11comp_targetILNS1_3genE0ELNS1_11target_archE4294967295ELNS1_3gpuE0ELNS1_3repE0EEENS1_30default_config_static_selectorELNS0_4arch9wavefront6targetE1EEEvT1_.kd
    .uniform_work_group_size: 1
    .uses_dynamic_stack: false
    .vgpr_count:     0
    .vgpr_spill_count: 0
    .wavefront_size: 64
  - .agpr_count:     0
    .args:
      - .offset:         0
        .size:           112
        .value_kind:     by_value
    .group_segment_fixed_size: 0
    .kernarg_segment_align: 8
    .kernarg_segment_size: 112
    .language:       OpenCL C
    .language_version:
      - 2
      - 0
    .max_flat_workgroup_size: 256
    .name:           _ZN7rocprim17ROCPRIM_400000_NS6detail17trampoline_kernelINS0_14default_configENS1_20scan_config_selectorIyEEZZNS1_9scan_implILNS1_25lookback_scan_determinismE0ELb1ELb1ES3_N6thrust23THRUST_200600_302600_NS6detail15normal_iteratorINS9_10device_ptrIyEEEENS9_16discard_iteratorINS9_11use_defaultEEEy11max_functorIyEyEEDaPvRmT3_T4_T5_mT6_P12ihipStream_tbENKUlT_T0_E_clISt17integral_constantIbLb0EESW_IbLb1EEEEDaSS_ST_EUlSS_E_NS1_11comp_targetILNS1_3genE5ELNS1_11target_archE942ELNS1_3gpuE9ELNS1_3repE0EEENS1_30default_config_static_selectorELNS0_4arch9wavefront6targetE1EEEvT1_
    .private_segment_fixed_size: 0
    .sgpr_count:     4
    .sgpr_spill_count: 0
    .symbol:         _ZN7rocprim17ROCPRIM_400000_NS6detail17trampoline_kernelINS0_14default_configENS1_20scan_config_selectorIyEEZZNS1_9scan_implILNS1_25lookback_scan_determinismE0ELb1ELb1ES3_N6thrust23THRUST_200600_302600_NS6detail15normal_iteratorINS9_10device_ptrIyEEEENS9_16discard_iteratorINS9_11use_defaultEEEy11max_functorIyEyEEDaPvRmT3_T4_T5_mT6_P12ihipStream_tbENKUlT_T0_E_clISt17integral_constantIbLb0EESW_IbLb1EEEEDaSS_ST_EUlSS_E_NS1_11comp_targetILNS1_3genE5ELNS1_11target_archE942ELNS1_3gpuE9ELNS1_3repE0EEENS1_30default_config_static_selectorELNS0_4arch9wavefront6targetE1EEEvT1_.kd
    .uniform_work_group_size: 1
    .uses_dynamic_stack: false
    .vgpr_count:     0
    .vgpr_spill_count: 0
    .wavefront_size: 64
  - .agpr_count:     0
    .args:
      - .offset:         0
        .size:           112
        .value_kind:     by_value
    .group_segment_fixed_size: 7168
    .kernarg_segment_align: 8
    .kernarg_segment_size: 112
    .language:       OpenCL C
    .language_version:
      - 2
      - 0
    .max_flat_workgroup_size: 128
    .name:           _ZN7rocprim17ROCPRIM_400000_NS6detail17trampoline_kernelINS0_14default_configENS1_20scan_config_selectorIyEEZZNS1_9scan_implILNS1_25lookback_scan_determinismE0ELb1ELb1ES3_N6thrust23THRUST_200600_302600_NS6detail15normal_iteratorINS9_10device_ptrIyEEEENS9_16discard_iteratorINS9_11use_defaultEEEy11max_functorIyEyEEDaPvRmT3_T4_T5_mT6_P12ihipStream_tbENKUlT_T0_E_clISt17integral_constantIbLb0EESW_IbLb1EEEEDaSS_ST_EUlSS_E_NS1_11comp_targetILNS1_3genE4ELNS1_11target_archE910ELNS1_3gpuE8ELNS1_3repE0EEENS1_30default_config_static_selectorELNS0_4arch9wavefront6targetE1EEEvT1_
    .private_segment_fixed_size: 0
    .sgpr_count:     40
    .sgpr_spill_count: 0
    .symbol:         _ZN7rocprim17ROCPRIM_400000_NS6detail17trampoline_kernelINS0_14default_configENS1_20scan_config_selectorIyEEZZNS1_9scan_implILNS1_25lookback_scan_determinismE0ELb1ELb1ES3_N6thrust23THRUST_200600_302600_NS6detail15normal_iteratorINS9_10device_ptrIyEEEENS9_16discard_iteratorINS9_11use_defaultEEEy11max_functorIyEyEEDaPvRmT3_T4_T5_mT6_P12ihipStream_tbENKUlT_T0_E_clISt17integral_constantIbLb0EESW_IbLb1EEEEDaSS_ST_EUlSS_E_NS1_11comp_targetILNS1_3genE4ELNS1_11target_archE910ELNS1_3gpuE8ELNS1_3repE0EEENS1_30default_config_static_selectorELNS0_4arch9wavefront6targetE1EEEvT1_.kd
    .uniform_work_group_size: 1
    .uses_dynamic_stack: false
    .vgpr_count:     57
    .vgpr_spill_count: 0
    .wavefront_size: 64
  - .agpr_count:     0
    .args:
      - .offset:         0
        .size:           112
        .value_kind:     by_value
    .group_segment_fixed_size: 0
    .kernarg_segment_align: 8
    .kernarg_segment_size: 112
    .language:       OpenCL C
    .language_version:
      - 2
      - 0
    .max_flat_workgroup_size: 256
    .name:           _ZN7rocprim17ROCPRIM_400000_NS6detail17trampoline_kernelINS0_14default_configENS1_20scan_config_selectorIyEEZZNS1_9scan_implILNS1_25lookback_scan_determinismE0ELb1ELb1ES3_N6thrust23THRUST_200600_302600_NS6detail15normal_iteratorINS9_10device_ptrIyEEEENS9_16discard_iteratorINS9_11use_defaultEEEy11max_functorIyEyEEDaPvRmT3_T4_T5_mT6_P12ihipStream_tbENKUlT_T0_E_clISt17integral_constantIbLb0EESW_IbLb1EEEEDaSS_ST_EUlSS_E_NS1_11comp_targetILNS1_3genE3ELNS1_11target_archE908ELNS1_3gpuE7ELNS1_3repE0EEENS1_30default_config_static_selectorELNS0_4arch9wavefront6targetE1EEEvT1_
    .private_segment_fixed_size: 0
    .sgpr_count:     4
    .sgpr_spill_count: 0
    .symbol:         _ZN7rocprim17ROCPRIM_400000_NS6detail17trampoline_kernelINS0_14default_configENS1_20scan_config_selectorIyEEZZNS1_9scan_implILNS1_25lookback_scan_determinismE0ELb1ELb1ES3_N6thrust23THRUST_200600_302600_NS6detail15normal_iteratorINS9_10device_ptrIyEEEENS9_16discard_iteratorINS9_11use_defaultEEEy11max_functorIyEyEEDaPvRmT3_T4_T5_mT6_P12ihipStream_tbENKUlT_T0_E_clISt17integral_constantIbLb0EESW_IbLb1EEEEDaSS_ST_EUlSS_E_NS1_11comp_targetILNS1_3genE3ELNS1_11target_archE908ELNS1_3gpuE7ELNS1_3repE0EEENS1_30default_config_static_selectorELNS0_4arch9wavefront6targetE1EEEvT1_.kd
    .uniform_work_group_size: 1
    .uses_dynamic_stack: false
    .vgpr_count:     0
    .vgpr_spill_count: 0
    .wavefront_size: 64
  - .agpr_count:     0
    .args:
      - .offset:         0
        .size:           112
        .value_kind:     by_value
    .group_segment_fixed_size: 0
    .kernarg_segment_align: 8
    .kernarg_segment_size: 112
    .language:       OpenCL C
    .language_version:
      - 2
      - 0
    .max_flat_workgroup_size: 64
    .name:           _ZN7rocprim17ROCPRIM_400000_NS6detail17trampoline_kernelINS0_14default_configENS1_20scan_config_selectorIyEEZZNS1_9scan_implILNS1_25lookback_scan_determinismE0ELb1ELb1ES3_N6thrust23THRUST_200600_302600_NS6detail15normal_iteratorINS9_10device_ptrIyEEEENS9_16discard_iteratorINS9_11use_defaultEEEy11max_functorIyEyEEDaPvRmT3_T4_T5_mT6_P12ihipStream_tbENKUlT_T0_E_clISt17integral_constantIbLb0EESW_IbLb1EEEEDaSS_ST_EUlSS_E_NS1_11comp_targetILNS1_3genE2ELNS1_11target_archE906ELNS1_3gpuE6ELNS1_3repE0EEENS1_30default_config_static_selectorELNS0_4arch9wavefront6targetE1EEEvT1_
    .private_segment_fixed_size: 0
    .sgpr_count:     4
    .sgpr_spill_count: 0
    .symbol:         _ZN7rocprim17ROCPRIM_400000_NS6detail17trampoline_kernelINS0_14default_configENS1_20scan_config_selectorIyEEZZNS1_9scan_implILNS1_25lookback_scan_determinismE0ELb1ELb1ES3_N6thrust23THRUST_200600_302600_NS6detail15normal_iteratorINS9_10device_ptrIyEEEENS9_16discard_iteratorINS9_11use_defaultEEEy11max_functorIyEyEEDaPvRmT3_T4_T5_mT6_P12ihipStream_tbENKUlT_T0_E_clISt17integral_constantIbLb0EESW_IbLb1EEEEDaSS_ST_EUlSS_E_NS1_11comp_targetILNS1_3genE2ELNS1_11target_archE906ELNS1_3gpuE6ELNS1_3repE0EEENS1_30default_config_static_selectorELNS0_4arch9wavefront6targetE1EEEvT1_.kd
    .uniform_work_group_size: 1
    .uses_dynamic_stack: false
    .vgpr_count:     0
    .vgpr_spill_count: 0
    .wavefront_size: 64
  - .agpr_count:     0
    .args:
      - .offset:         0
        .size:           112
        .value_kind:     by_value
    .group_segment_fixed_size: 0
    .kernarg_segment_align: 8
    .kernarg_segment_size: 112
    .language:       OpenCL C
    .language_version:
      - 2
      - 0
    .max_flat_workgroup_size: 256
    .name:           _ZN7rocprim17ROCPRIM_400000_NS6detail17trampoline_kernelINS0_14default_configENS1_20scan_config_selectorIyEEZZNS1_9scan_implILNS1_25lookback_scan_determinismE0ELb1ELb1ES3_N6thrust23THRUST_200600_302600_NS6detail15normal_iteratorINS9_10device_ptrIyEEEENS9_16discard_iteratorINS9_11use_defaultEEEy11max_functorIyEyEEDaPvRmT3_T4_T5_mT6_P12ihipStream_tbENKUlT_T0_E_clISt17integral_constantIbLb0EESW_IbLb1EEEEDaSS_ST_EUlSS_E_NS1_11comp_targetILNS1_3genE10ELNS1_11target_archE1201ELNS1_3gpuE5ELNS1_3repE0EEENS1_30default_config_static_selectorELNS0_4arch9wavefront6targetE1EEEvT1_
    .private_segment_fixed_size: 0
    .sgpr_count:     4
    .sgpr_spill_count: 0
    .symbol:         _ZN7rocprim17ROCPRIM_400000_NS6detail17trampoline_kernelINS0_14default_configENS1_20scan_config_selectorIyEEZZNS1_9scan_implILNS1_25lookback_scan_determinismE0ELb1ELb1ES3_N6thrust23THRUST_200600_302600_NS6detail15normal_iteratorINS9_10device_ptrIyEEEENS9_16discard_iteratorINS9_11use_defaultEEEy11max_functorIyEyEEDaPvRmT3_T4_T5_mT6_P12ihipStream_tbENKUlT_T0_E_clISt17integral_constantIbLb0EESW_IbLb1EEEEDaSS_ST_EUlSS_E_NS1_11comp_targetILNS1_3genE10ELNS1_11target_archE1201ELNS1_3gpuE5ELNS1_3repE0EEENS1_30default_config_static_selectorELNS0_4arch9wavefront6targetE1EEEvT1_.kd
    .uniform_work_group_size: 1
    .uses_dynamic_stack: false
    .vgpr_count:     0
    .vgpr_spill_count: 0
    .wavefront_size: 64
  - .agpr_count:     0
    .args:
      - .offset:         0
        .size:           112
        .value_kind:     by_value
    .group_segment_fixed_size: 0
    .kernarg_segment_align: 8
    .kernarg_segment_size: 112
    .language:       OpenCL C
    .language_version:
      - 2
      - 0
    .max_flat_workgroup_size: 256
    .name:           _ZN7rocprim17ROCPRIM_400000_NS6detail17trampoline_kernelINS0_14default_configENS1_20scan_config_selectorIyEEZZNS1_9scan_implILNS1_25lookback_scan_determinismE0ELb1ELb1ES3_N6thrust23THRUST_200600_302600_NS6detail15normal_iteratorINS9_10device_ptrIyEEEENS9_16discard_iteratorINS9_11use_defaultEEEy11max_functorIyEyEEDaPvRmT3_T4_T5_mT6_P12ihipStream_tbENKUlT_T0_E_clISt17integral_constantIbLb0EESW_IbLb1EEEEDaSS_ST_EUlSS_E_NS1_11comp_targetILNS1_3genE10ELNS1_11target_archE1200ELNS1_3gpuE4ELNS1_3repE0EEENS1_30default_config_static_selectorELNS0_4arch9wavefront6targetE1EEEvT1_
    .private_segment_fixed_size: 0
    .sgpr_count:     4
    .sgpr_spill_count: 0
    .symbol:         _ZN7rocprim17ROCPRIM_400000_NS6detail17trampoline_kernelINS0_14default_configENS1_20scan_config_selectorIyEEZZNS1_9scan_implILNS1_25lookback_scan_determinismE0ELb1ELb1ES3_N6thrust23THRUST_200600_302600_NS6detail15normal_iteratorINS9_10device_ptrIyEEEENS9_16discard_iteratorINS9_11use_defaultEEEy11max_functorIyEyEEDaPvRmT3_T4_T5_mT6_P12ihipStream_tbENKUlT_T0_E_clISt17integral_constantIbLb0EESW_IbLb1EEEEDaSS_ST_EUlSS_E_NS1_11comp_targetILNS1_3genE10ELNS1_11target_archE1200ELNS1_3gpuE4ELNS1_3repE0EEENS1_30default_config_static_selectorELNS0_4arch9wavefront6targetE1EEEvT1_.kd
    .uniform_work_group_size: 1
    .uses_dynamic_stack: false
    .vgpr_count:     0
    .vgpr_spill_count: 0
    .wavefront_size: 64
  - .agpr_count:     0
    .args:
      - .offset:         0
        .size:           112
        .value_kind:     by_value
    .group_segment_fixed_size: 0
    .kernarg_segment_align: 8
    .kernarg_segment_size: 112
    .language:       OpenCL C
    .language_version:
      - 2
      - 0
    .max_flat_workgroup_size: 256
    .name:           _ZN7rocprim17ROCPRIM_400000_NS6detail17trampoline_kernelINS0_14default_configENS1_20scan_config_selectorIyEEZZNS1_9scan_implILNS1_25lookback_scan_determinismE0ELb1ELb1ES3_N6thrust23THRUST_200600_302600_NS6detail15normal_iteratorINS9_10device_ptrIyEEEENS9_16discard_iteratorINS9_11use_defaultEEEy11max_functorIyEyEEDaPvRmT3_T4_T5_mT6_P12ihipStream_tbENKUlT_T0_E_clISt17integral_constantIbLb0EESW_IbLb1EEEEDaSS_ST_EUlSS_E_NS1_11comp_targetILNS1_3genE9ELNS1_11target_archE1100ELNS1_3gpuE3ELNS1_3repE0EEENS1_30default_config_static_selectorELNS0_4arch9wavefront6targetE1EEEvT1_
    .private_segment_fixed_size: 0
    .sgpr_count:     4
    .sgpr_spill_count: 0
    .symbol:         _ZN7rocprim17ROCPRIM_400000_NS6detail17trampoline_kernelINS0_14default_configENS1_20scan_config_selectorIyEEZZNS1_9scan_implILNS1_25lookback_scan_determinismE0ELb1ELb1ES3_N6thrust23THRUST_200600_302600_NS6detail15normal_iteratorINS9_10device_ptrIyEEEENS9_16discard_iteratorINS9_11use_defaultEEEy11max_functorIyEyEEDaPvRmT3_T4_T5_mT6_P12ihipStream_tbENKUlT_T0_E_clISt17integral_constantIbLb0EESW_IbLb1EEEEDaSS_ST_EUlSS_E_NS1_11comp_targetILNS1_3genE9ELNS1_11target_archE1100ELNS1_3gpuE3ELNS1_3repE0EEENS1_30default_config_static_selectorELNS0_4arch9wavefront6targetE1EEEvT1_.kd
    .uniform_work_group_size: 1
    .uses_dynamic_stack: false
    .vgpr_count:     0
    .vgpr_spill_count: 0
    .wavefront_size: 64
  - .agpr_count:     0
    .args:
      - .offset:         0
        .size:           112
        .value_kind:     by_value
    .group_segment_fixed_size: 0
    .kernarg_segment_align: 8
    .kernarg_segment_size: 112
    .language:       OpenCL C
    .language_version:
      - 2
      - 0
    .max_flat_workgroup_size: 256
    .name:           _ZN7rocprim17ROCPRIM_400000_NS6detail17trampoline_kernelINS0_14default_configENS1_20scan_config_selectorIyEEZZNS1_9scan_implILNS1_25lookback_scan_determinismE0ELb1ELb1ES3_N6thrust23THRUST_200600_302600_NS6detail15normal_iteratorINS9_10device_ptrIyEEEENS9_16discard_iteratorINS9_11use_defaultEEEy11max_functorIyEyEEDaPvRmT3_T4_T5_mT6_P12ihipStream_tbENKUlT_T0_E_clISt17integral_constantIbLb0EESW_IbLb1EEEEDaSS_ST_EUlSS_E_NS1_11comp_targetILNS1_3genE8ELNS1_11target_archE1030ELNS1_3gpuE2ELNS1_3repE0EEENS1_30default_config_static_selectorELNS0_4arch9wavefront6targetE1EEEvT1_
    .private_segment_fixed_size: 0
    .sgpr_count:     4
    .sgpr_spill_count: 0
    .symbol:         _ZN7rocprim17ROCPRIM_400000_NS6detail17trampoline_kernelINS0_14default_configENS1_20scan_config_selectorIyEEZZNS1_9scan_implILNS1_25lookback_scan_determinismE0ELb1ELb1ES3_N6thrust23THRUST_200600_302600_NS6detail15normal_iteratorINS9_10device_ptrIyEEEENS9_16discard_iteratorINS9_11use_defaultEEEy11max_functorIyEyEEDaPvRmT3_T4_T5_mT6_P12ihipStream_tbENKUlT_T0_E_clISt17integral_constantIbLb0EESW_IbLb1EEEEDaSS_ST_EUlSS_E_NS1_11comp_targetILNS1_3genE8ELNS1_11target_archE1030ELNS1_3gpuE2ELNS1_3repE0EEENS1_30default_config_static_selectorELNS0_4arch9wavefront6targetE1EEEvT1_.kd
    .uniform_work_group_size: 1
    .uses_dynamic_stack: false
    .vgpr_count:     0
    .vgpr_spill_count: 0
    .wavefront_size: 64
  - .agpr_count:     0
    .args:
      - .offset:         0
        .size:           48
        .value_kind:     by_value
    .group_segment_fixed_size: 0
    .kernarg_segment_align: 8
    .kernarg_segment_size: 48
    .language:       OpenCL C
    .language_version:
      - 2
      - 0
    .max_flat_workgroup_size: 256
    .name:           _ZN7rocprim17ROCPRIM_400000_NS6detail17trampoline_kernelINS0_14default_configENS1_20scan_config_selectorIyEEZZNS1_9scan_implILNS1_25lookback_scan_determinismE0ELb1ELb1ES3_N6thrust23THRUST_200600_302600_NS6detail15normal_iteratorINS9_10device_ptrIyEEEENS9_16discard_iteratorINS9_11use_defaultEEEy11max_functorIyEyEEDaPvRmT3_T4_T5_mT6_P12ihipStream_tbENKUlT_T0_E_clISt17integral_constantIbLb0EESW_IbLb1EEEEDaSS_ST_EUlSS_E0_NS1_11comp_targetILNS1_3genE0ELNS1_11target_archE4294967295ELNS1_3gpuE0ELNS1_3repE0EEENS1_30default_config_static_selectorELNS0_4arch9wavefront6targetE1EEEvT1_
    .private_segment_fixed_size: 0
    .sgpr_count:     4
    .sgpr_spill_count: 0
    .symbol:         _ZN7rocprim17ROCPRIM_400000_NS6detail17trampoline_kernelINS0_14default_configENS1_20scan_config_selectorIyEEZZNS1_9scan_implILNS1_25lookback_scan_determinismE0ELb1ELb1ES3_N6thrust23THRUST_200600_302600_NS6detail15normal_iteratorINS9_10device_ptrIyEEEENS9_16discard_iteratorINS9_11use_defaultEEEy11max_functorIyEyEEDaPvRmT3_T4_T5_mT6_P12ihipStream_tbENKUlT_T0_E_clISt17integral_constantIbLb0EESW_IbLb1EEEEDaSS_ST_EUlSS_E0_NS1_11comp_targetILNS1_3genE0ELNS1_11target_archE4294967295ELNS1_3gpuE0ELNS1_3repE0EEENS1_30default_config_static_selectorELNS0_4arch9wavefront6targetE1EEEvT1_.kd
    .uniform_work_group_size: 1
    .uses_dynamic_stack: false
    .vgpr_count:     0
    .vgpr_spill_count: 0
    .wavefront_size: 64
  - .agpr_count:     0
    .args:
      - .offset:         0
        .size:           48
        .value_kind:     by_value
    .group_segment_fixed_size: 0
    .kernarg_segment_align: 8
    .kernarg_segment_size: 48
    .language:       OpenCL C
    .language_version:
      - 2
      - 0
    .max_flat_workgroup_size: 256
    .name:           _ZN7rocprim17ROCPRIM_400000_NS6detail17trampoline_kernelINS0_14default_configENS1_20scan_config_selectorIyEEZZNS1_9scan_implILNS1_25lookback_scan_determinismE0ELb1ELb1ES3_N6thrust23THRUST_200600_302600_NS6detail15normal_iteratorINS9_10device_ptrIyEEEENS9_16discard_iteratorINS9_11use_defaultEEEy11max_functorIyEyEEDaPvRmT3_T4_T5_mT6_P12ihipStream_tbENKUlT_T0_E_clISt17integral_constantIbLb0EESW_IbLb1EEEEDaSS_ST_EUlSS_E0_NS1_11comp_targetILNS1_3genE5ELNS1_11target_archE942ELNS1_3gpuE9ELNS1_3repE0EEENS1_30default_config_static_selectorELNS0_4arch9wavefront6targetE1EEEvT1_
    .private_segment_fixed_size: 0
    .sgpr_count:     4
    .sgpr_spill_count: 0
    .symbol:         _ZN7rocprim17ROCPRIM_400000_NS6detail17trampoline_kernelINS0_14default_configENS1_20scan_config_selectorIyEEZZNS1_9scan_implILNS1_25lookback_scan_determinismE0ELb1ELb1ES3_N6thrust23THRUST_200600_302600_NS6detail15normal_iteratorINS9_10device_ptrIyEEEENS9_16discard_iteratorINS9_11use_defaultEEEy11max_functorIyEyEEDaPvRmT3_T4_T5_mT6_P12ihipStream_tbENKUlT_T0_E_clISt17integral_constantIbLb0EESW_IbLb1EEEEDaSS_ST_EUlSS_E0_NS1_11comp_targetILNS1_3genE5ELNS1_11target_archE942ELNS1_3gpuE9ELNS1_3repE0EEENS1_30default_config_static_selectorELNS0_4arch9wavefront6targetE1EEEvT1_.kd
    .uniform_work_group_size: 1
    .uses_dynamic_stack: false
    .vgpr_count:     0
    .vgpr_spill_count: 0
    .wavefront_size: 64
  - .agpr_count:     0
    .args:
      - .offset:         0
        .size:           48
        .value_kind:     by_value
    .group_segment_fixed_size: 7168
    .kernarg_segment_align: 8
    .kernarg_segment_size: 48
    .language:       OpenCL C
    .language_version:
      - 2
      - 0
    .max_flat_workgroup_size: 128
    .name:           _ZN7rocprim17ROCPRIM_400000_NS6detail17trampoline_kernelINS0_14default_configENS1_20scan_config_selectorIyEEZZNS1_9scan_implILNS1_25lookback_scan_determinismE0ELb1ELb1ES3_N6thrust23THRUST_200600_302600_NS6detail15normal_iteratorINS9_10device_ptrIyEEEENS9_16discard_iteratorINS9_11use_defaultEEEy11max_functorIyEyEEDaPvRmT3_T4_T5_mT6_P12ihipStream_tbENKUlT_T0_E_clISt17integral_constantIbLb0EESW_IbLb1EEEEDaSS_ST_EUlSS_E0_NS1_11comp_targetILNS1_3genE4ELNS1_11target_archE910ELNS1_3gpuE8ELNS1_3repE0EEENS1_30default_config_static_selectorELNS0_4arch9wavefront6targetE1EEEvT1_
    .private_segment_fixed_size: 0
    .sgpr_count:     14
    .sgpr_spill_count: 0
    .symbol:         _ZN7rocprim17ROCPRIM_400000_NS6detail17trampoline_kernelINS0_14default_configENS1_20scan_config_selectorIyEEZZNS1_9scan_implILNS1_25lookback_scan_determinismE0ELb1ELb1ES3_N6thrust23THRUST_200600_302600_NS6detail15normal_iteratorINS9_10device_ptrIyEEEENS9_16discard_iteratorINS9_11use_defaultEEEy11max_functorIyEyEEDaPvRmT3_T4_T5_mT6_P12ihipStream_tbENKUlT_T0_E_clISt17integral_constantIbLb0EESW_IbLb1EEEEDaSS_ST_EUlSS_E0_NS1_11comp_targetILNS1_3genE4ELNS1_11target_archE910ELNS1_3gpuE8ELNS1_3repE0EEENS1_30default_config_static_selectorELNS0_4arch9wavefront6targetE1EEEvT1_.kd
    .uniform_work_group_size: 1
    .uses_dynamic_stack: false
    .vgpr_count:     29
    .vgpr_spill_count: 0
    .wavefront_size: 64
  - .agpr_count:     0
    .args:
      - .offset:         0
        .size:           48
        .value_kind:     by_value
    .group_segment_fixed_size: 0
    .kernarg_segment_align: 8
    .kernarg_segment_size: 48
    .language:       OpenCL C
    .language_version:
      - 2
      - 0
    .max_flat_workgroup_size: 256
    .name:           _ZN7rocprim17ROCPRIM_400000_NS6detail17trampoline_kernelINS0_14default_configENS1_20scan_config_selectorIyEEZZNS1_9scan_implILNS1_25lookback_scan_determinismE0ELb1ELb1ES3_N6thrust23THRUST_200600_302600_NS6detail15normal_iteratorINS9_10device_ptrIyEEEENS9_16discard_iteratorINS9_11use_defaultEEEy11max_functorIyEyEEDaPvRmT3_T4_T5_mT6_P12ihipStream_tbENKUlT_T0_E_clISt17integral_constantIbLb0EESW_IbLb1EEEEDaSS_ST_EUlSS_E0_NS1_11comp_targetILNS1_3genE3ELNS1_11target_archE908ELNS1_3gpuE7ELNS1_3repE0EEENS1_30default_config_static_selectorELNS0_4arch9wavefront6targetE1EEEvT1_
    .private_segment_fixed_size: 0
    .sgpr_count:     4
    .sgpr_spill_count: 0
    .symbol:         _ZN7rocprim17ROCPRIM_400000_NS6detail17trampoline_kernelINS0_14default_configENS1_20scan_config_selectorIyEEZZNS1_9scan_implILNS1_25lookback_scan_determinismE0ELb1ELb1ES3_N6thrust23THRUST_200600_302600_NS6detail15normal_iteratorINS9_10device_ptrIyEEEENS9_16discard_iteratorINS9_11use_defaultEEEy11max_functorIyEyEEDaPvRmT3_T4_T5_mT6_P12ihipStream_tbENKUlT_T0_E_clISt17integral_constantIbLb0EESW_IbLb1EEEEDaSS_ST_EUlSS_E0_NS1_11comp_targetILNS1_3genE3ELNS1_11target_archE908ELNS1_3gpuE7ELNS1_3repE0EEENS1_30default_config_static_selectorELNS0_4arch9wavefront6targetE1EEEvT1_.kd
    .uniform_work_group_size: 1
    .uses_dynamic_stack: false
    .vgpr_count:     0
    .vgpr_spill_count: 0
    .wavefront_size: 64
  - .agpr_count:     0
    .args:
      - .offset:         0
        .size:           48
        .value_kind:     by_value
    .group_segment_fixed_size: 0
    .kernarg_segment_align: 8
    .kernarg_segment_size: 48
    .language:       OpenCL C
    .language_version:
      - 2
      - 0
    .max_flat_workgroup_size: 64
    .name:           _ZN7rocprim17ROCPRIM_400000_NS6detail17trampoline_kernelINS0_14default_configENS1_20scan_config_selectorIyEEZZNS1_9scan_implILNS1_25lookback_scan_determinismE0ELb1ELb1ES3_N6thrust23THRUST_200600_302600_NS6detail15normal_iteratorINS9_10device_ptrIyEEEENS9_16discard_iteratorINS9_11use_defaultEEEy11max_functorIyEyEEDaPvRmT3_T4_T5_mT6_P12ihipStream_tbENKUlT_T0_E_clISt17integral_constantIbLb0EESW_IbLb1EEEEDaSS_ST_EUlSS_E0_NS1_11comp_targetILNS1_3genE2ELNS1_11target_archE906ELNS1_3gpuE6ELNS1_3repE0EEENS1_30default_config_static_selectorELNS0_4arch9wavefront6targetE1EEEvT1_
    .private_segment_fixed_size: 0
    .sgpr_count:     4
    .sgpr_spill_count: 0
    .symbol:         _ZN7rocprim17ROCPRIM_400000_NS6detail17trampoline_kernelINS0_14default_configENS1_20scan_config_selectorIyEEZZNS1_9scan_implILNS1_25lookback_scan_determinismE0ELb1ELb1ES3_N6thrust23THRUST_200600_302600_NS6detail15normal_iteratorINS9_10device_ptrIyEEEENS9_16discard_iteratorINS9_11use_defaultEEEy11max_functorIyEyEEDaPvRmT3_T4_T5_mT6_P12ihipStream_tbENKUlT_T0_E_clISt17integral_constantIbLb0EESW_IbLb1EEEEDaSS_ST_EUlSS_E0_NS1_11comp_targetILNS1_3genE2ELNS1_11target_archE906ELNS1_3gpuE6ELNS1_3repE0EEENS1_30default_config_static_selectorELNS0_4arch9wavefront6targetE1EEEvT1_.kd
    .uniform_work_group_size: 1
    .uses_dynamic_stack: false
    .vgpr_count:     0
    .vgpr_spill_count: 0
    .wavefront_size: 64
  - .agpr_count:     0
    .args:
      - .offset:         0
        .size:           48
        .value_kind:     by_value
    .group_segment_fixed_size: 0
    .kernarg_segment_align: 8
    .kernarg_segment_size: 48
    .language:       OpenCL C
    .language_version:
      - 2
      - 0
    .max_flat_workgroup_size: 256
    .name:           _ZN7rocprim17ROCPRIM_400000_NS6detail17trampoline_kernelINS0_14default_configENS1_20scan_config_selectorIyEEZZNS1_9scan_implILNS1_25lookback_scan_determinismE0ELb1ELb1ES3_N6thrust23THRUST_200600_302600_NS6detail15normal_iteratorINS9_10device_ptrIyEEEENS9_16discard_iteratorINS9_11use_defaultEEEy11max_functorIyEyEEDaPvRmT3_T4_T5_mT6_P12ihipStream_tbENKUlT_T0_E_clISt17integral_constantIbLb0EESW_IbLb1EEEEDaSS_ST_EUlSS_E0_NS1_11comp_targetILNS1_3genE10ELNS1_11target_archE1201ELNS1_3gpuE5ELNS1_3repE0EEENS1_30default_config_static_selectorELNS0_4arch9wavefront6targetE1EEEvT1_
    .private_segment_fixed_size: 0
    .sgpr_count:     4
    .sgpr_spill_count: 0
    .symbol:         _ZN7rocprim17ROCPRIM_400000_NS6detail17trampoline_kernelINS0_14default_configENS1_20scan_config_selectorIyEEZZNS1_9scan_implILNS1_25lookback_scan_determinismE0ELb1ELb1ES3_N6thrust23THRUST_200600_302600_NS6detail15normal_iteratorINS9_10device_ptrIyEEEENS9_16discard_iteratorINS9_11use_defaultEEEy11max_functorIyEyEEDaPvRmT3_T4_T5_mT6_P12ihipStream_tbENKUlT_T0_E_clISt17integral_constantIbLb0EESW_IbLb1EEEEDaSS_ST_EUlSS_E0_NS1_11comp_targetILNS1_3genE10ELNS1_11target_archE1201ELNS1_3gpuE5ELNS1_3repE0EEENS1_30default_config_static_selectorELNS0_4arch9wavefront6targetE1EEEvT1_.kd
    .uniform_work_group_size: 1
    .uses_dynamic_stack: false
    .vgpr_count:     0
    .vgpr_spill_count: 0
    .wavefront_size: 64
  - .agpr_count:     0
    .args:
      - .offset:         0
        .size:           48
        .value_kind:     by_value
    .group_segment_fixed_size: 0
    .kernarg_segment_align: 8
    .kernarg_segment_size: 48
    .language:       OpenCL C
    .language_version:
      - 2
      - 0
    .max_flat_workgroup_size: 256
    .name:           _ZN7rocprim17ROCPRIM_400000_NS6detail17trampoline_kernelINS0_14default_configENS1_20scan_config_selectorIyEEZZNS1_9scan_implILNS1_25lookback_scan_determinismE0ELb1ELb1ES3_N6thrust23THRUST_200600_302600_NS6detail15normal_iteratorINS9_10device_ptrIyEEEENS9_16discard_iteratorINS9_11use_defaultEEEy11max_functorIyEyEEDaPvRmT3_T4_T5_mT6_P12ihipStream_tbENKUlT_T0_E_clISt17integral_constantIbLb0EESW_IbLb1EEEEDaSS_ST_EUlSS_E0_NS1_11comp_targetILNS1_3genE10ELNS1_11target_archE1200ELNS1_3gpuE4ELNS1_3repE0EEENS1_30default_config_static_selectorELNS0_4arch9wavefront6targetE1EEEvT1_
    .private_segment_fixed_size: 0
    .sgpr_count:     4
    .sgpr_spill_count: 0
    .symbol:         _ZN7rocprim17ROCPRIM_400000_NS6detail17trampoline_kernelINS0_14default_configENS1_20scan_config_selectorIyEEZZNS1_9scan_implILNS1_25lookback_scan_determinismE0ELb1ELb1ES3_N6thrust23THRUST_200600_302600_NS6detail15normal_iteratorINS9_10device_ptrIyEEEENS9_16discard_iteratorINS9_11use_defaultEEEy11max_functorIyEyEEDaPvRmT3_T4_T5_mT6_P12ihipStream_tbENKUlT_T0_E_clISt17integral_constantIbLb0EESW_IbLb1EEEEDaSS_ST_EUlSS_E0_NS1_11comp_targetILNS1_3genE10ELNS1_11target_archE1200ELNS1_3gpuE4ELNS1_3repE0EEENS1_30default_config_static_selectorELNS0_4arch9wavefront6targetE1EEEvT1_.kd
    .uniform_work_group_size: 1
    .uses_dynamic_stack: false
    .vgpr_count:     0
    .vgpr_spill_count: 0
    .wavefront_size: 64
  - .agpr_count:     0
    .args:
      - .offset:         0
        .size:           48
        .value_kind:     by_value
    .group_segment_fixed_size: 0
    .kernarg_segment_align: 8
    .kernarg_segment_size: 48
    .language:       OpenCL C
    .language_version:
      - 2
      - 0
    .max_flat_workgroup_size: 256
    .name:           _ZN7rocprim17ROCPRIM_400000_NS6detail17trampoline_kernelINS0_14default_configENS1_20scan_config_selectorIyEEZZNS1_9scan_implILNS1_25lookback_scan_determinismE0ELb1ELb1ES3_N6thrust23THRUST_200600_302600_NS6detail15normal_iteratorINS9_10device_ptrIyEEEENS9_16discard_iteratorINS9_11use_defaultEEEy11max_functorIyEyEEDaPvRmT3_T4_T5_mT6_P12ihipStream_tbENKUlT_T0_E_clISt17integral_constantIbLb0EESW_IbLb1EEEEDaSS_ST_EUlSS_E0_NS1_11comp_targetILNS1_3genE9ELNS1_11target_archE1100ELNS1_3gpuE3ELNS1_3repE0EEENS1_30default_config_static_selectorELNS0_4arch9wavefront6targetE1EEEvT1_
    .private_segment_fixed_size: 0
    .sgpr_count:     4
    .sgpr_spill_count: 0
    .symbol:         _ZN7rocprim17ROCPRIM_400000_NS6detail17trampoline_kernelINS0_14default_configENS1_20scan_config_selectorIyEEZZNS1_9scan_implILNS1_25lookback_scan_determinismE0ELb1ELb1ES3_N6thrust23THRUST_200600_302600_NS6detail15normal_iteratorINS9_10device_ptrIyEEEENS9_16discard_iteratorINS9_11use_defaultEEEy11max_functorIyEyEEDaPvRmT3_T4_T5_mT6_P12ihipStream_tbENKUlT_T0_E_clISt17integral_constantIbLb0EESW_IbLb1EEEEDaSS_ST_EUlSS_E0_NS1_11comp_targetILNS1_3genE9ELNS1_11target_archE1100ELNS1_3gpuE3ELNS1_3repE0EEENS1_30default_config_static_selectorELNS0_4arch9wavefront6targetE1EEEvT1_.kd
    .uniform_work_group_size: 1
    .uses_dynamic_stack: false
    .vgpr_count:     0
    .vgpr_spill_count: 0
    .wavefront_size: 64
  - .agpr_count:     0
    .args:
      - .offset:         0
        .size:           48
        .value_kind:     by_value
    .group_segment_fixed_size: 0
    .kernarg_segment_align: 8
    .kernarg_segment_size: 48
    .language:       OpenCL C
    .language_version:
      - 2
      - 0
    .max_flat_workgroup_size: 256
    .name:           _ZN7rocprim17ROCPRIM_400000_NS6detail17trampoline_kernelINS0_14default_configENS1_20scan_config_selectorIyEEZZNS1_9scan_implILNS1_25lookback_scan_determinismE0ELb1ELb1ES3_N6thrust23THRUST_200600_302600_NS6detail15normal_iteratorINS9_10device_ptrIyEEEENS9_16discard_iteratorINS9_11use_defaultEEEy11max_functorIyEyEEDaPvRmT3_T4_T5_mT6_P12ihipStream_tbENKUlT_T0_E_clISt17integral_constantIbLb0EESW_IbLb1EEEEDaSS_ST_EUlSS_E0_NS1_11comp_targetILNS1_3genE8ELNS1_11target_archE1030ELNS1_3gpuE2ELNS1_3repE0EEENS1_30default_config_static_selectorELNS0_4arch9wavefront6targetE1EEEvT1_
    .private_segment_fixed_size: 0
    .sgpr_count:     4
    .sgpr_spill_count: 0
    .symbol:         _ZN7rocprim17ROCPRIM_400000_NS6detail17trampoline_kernelINS0_14default_configENS1_20scan_config_selectorIyEEZZNS1_9scan_implILNS1_25lookback_scan_determinismE0ELb1ELb1ES3_N6thrust23THRUST_200600_302600_NS6detail15normal_iteratorINS9_10device_ptrIyEEEENS9_16discard_iteratorINS9_11use_defaultEEEy11max_functorIyEyEEDaPvRmT3_T4_T5_mT6_P12ihipStream_tbENKUlT_T0_E_clISt17integral_constantIbLb0EESW_IbLb1EEEEDaSS_ST_EUlSS_E0_NS1_11comp_targetILNS1_3genE8ELNS1_11target_archE1030ELNS1_3gpuE2ELNS1_3repE0EEENS1_30default_config_static_selectorELNS0_4arch9wavefront6targetE1EEEvT1_.kd
    .uniform_work_group_size: 1
    .uses_dynamic_stack: false
    .vgpr_count:     0
    .vgpr_spill_count: 0
    .wavefront_size: 64
  - .agpr_count:     0
    .args:
      - .offset:         0
        .size:           104
        .value_kind:     by_value
    .group_segment_fixed_size: 0
    .kernarg_segment_align: 8
    .kernarg_segment_size: 104
    .language:       OpenCL C
    .language_version:
      - 2
      - 0
    .max_flat_workgroup_size: 256
    .name:           _ZN7rocprim17ROCPRIM_400000_NS6detail17trampoline_kernelINS0_14default_configENS1_20scan_config_selectorIjEEZZNS1_9scan_implILNS1_25lookback_scan_determinismE0ELb0ELb0ES3_N6thrust23THRUST_200600_302600_NS6detail15normal_iteratorINS9_10device_ptrIjEEEENS9_16discard_iteratorINS9_11use_defaultEEEj11max_functorIjEjEEDaPvRmT3_T4_T5_mT6_P12ihipStream_tbENKUlT_T0_E_clISt17integral_constantIbLb0EESX_EEDaSS_ST_EUlSS_E_NS1_11comp_targetILNS1_3genE0ELNS1_11target_archE4294967295ELNS1_3gpuE0ELNS1_3repE0EEENS1_30default_config_static_selectorELNS0_4arch9wavefront6targetE1EEEvT1_
    .private_segment_fixed_size: 0
    .sgpr_count:     4
    .sgpr_spill_count: 0
    .symbol:         _ZN7rocprim17ROCPRIM_400000_NS6detail17trampoline_kernelINS0_14default_configENS1_20scan_config_selectorIjEEZZNS1_9scan_implILNS1_25lookback_scan_determinismE0ELb0ELb0ES3_N6thrust23THRUST_200600_302600_NS6detail15normal_iteratorINS9_10device_ptrIjEEEENS9_16discard_iteratorINS9_11use_defaultEEEj11max_functorIjEjEEDaPvRmT3_T4_T5_mT6_P12ihipStream_tbENKUlT_T0_E_clISt17integral_constantIbLb0EESX_EEDaSS_ST_EUlSS_E_NS1_11comp_targetILNS1_3genE0ELNS1_11target_archE4294967295ELNS1_3gpuE0ELNS1_3repE0EEENS1_30default_config_static_selectorELNS0_4arch9wavefront6targetE1EEEvT1_.kd
    .uniform_work_group_size: 1
    .uses_dynamic_stack: false
    .vgpr_count:     0
    .vgpr_spill_count: 0
    .wavefront_size: 64
  - .agpr_count:     0
    .args:
      - .offset:         0
        .size:           104
        .value_kind:     by_value
    .group_segment_fixed_size: 0
    .kernarg_segment_align: 8
    .kernarg_segment_size: 104
    .language:       OpenCL C
    .language_version:
      - 2
      - 0
    .max_flat_workgroup_size: 256
    .name:           _ZN7rocprim17ROCPRIM_400000_NS6detail17trampoline_kernelINS0_14default_configENS1_20scan_config_selectorIjEEZZNS1_9scan_implILNS1_25lookback_scan_determinismE0ELb0ELb0ES3_N6thrust23THRUST_200600_302600_NS6detail15normal_iteratorINS9_10device_ptrIjEEEENS9_16discard_iteratorINS9_11use_defaultEEEj11max_functorIjEjEEDaPvRmT3_T4_T5_mT6_P12ihipStream_tbENKUlT_T0_E_clISt17integral_constantIbLb0EESX_EEDaSS_ST_EUlSS_E_NS1_11comp_targetILNS1_3genE5ELNS1_11target_archE942ELNS1_3gpuE9ELNS1_3repE0EEENS1_30default_config_static_selectorELNS0_4arch9wavefront6targetE1EEEvT1_
    .private_segment_fixed_size: 0
    .sgpr_count:     4
    .sgpr_spill_count: 0
    .symbol:         _ZN7rocprim17ROCPRIM_400000_NS6detail17trampoline_kernelINS0_14default_configENS1_20scan_config_selectorIjEEZZNS1_9scan_implILNS1_25lookback_scan_determinismE0ELb0ELb0ES3_N6thrust23THRUST_200600_302600_NS6detail15normal_iteratorINS9_10device_ptrIjEEEENS9_16discard_iteratorINS9_11use_defaultEEEj11max_functorIjEjEEDaPvRmT3_T4_T5_mT6_P12ihipStream_tbENKUlT_T0_E_clISt17integral_constantIbLb0EESX_EEDaSS_ST_EUlSS_E_NS1_11comp_targetILNS1_3genE5ELNS1_11target_archE942ELNS1_3gpuE9ELNS1_3repE0EEENS1_30default_config_static_selectorELNS0_4arch9wavefront6targetE1EEEvT1_.kd
    .uniform_work_group_size: 1
    .uses_dynamic_stack: false
    .vgpr_count:     0
    .vgpr_spill_count: 0
    .wavefront_size: 64
  - .agpr_count:     0
    .args:
      - .offset:         0
        .size:           104
        .value_kind:     by_value
    .group_segment_fixed_size: 5120
    .kernarg_segment_align: 8
    .kernarg_segment_size: 104
    .language:       OpenCL C
    .language_version:
      - 2
      - 0
    .max_flat_workgroup_size: 128
    .name:           _ZN7rocprim17ROCPRIM_400000_NS6detail17trampoline_kernelINS0_14default_configENS1_20scan_config_selectorIjEEZZNS1_9scan_implILNS1_25lookback_scan_determinismE0ELb0ELb0ES3_N6thrust23THRUST_200600_302600_NS6detail15normal_iteratorINS9_10device_ptrIjEEEENS9_16discard_iteratorINS9_11use_defaultEEEj11max_functorIjEjEEDaPvRmT3_T4_T5_mT6_P12ihipStream_tbENKUlT_T0_E_clISt17integral_constantIbLb0EESX_EEDaSS_ST_EUlSS_E_NS1_11comp_targetILNS1_3genE4ELNS1_11target_archE910ELNS1_3gpuE8ELNS1_3repE0EEENS1_30default_config_static_selectorELNS0_4arch9wavefront6targetE1EEEvT1_
    .private_segment_fixed_size: 0
    .sgpr_count:     26
    .sgpr_spill_count: 0
    .symbol:         _ZN7rocprim17ROCPRIM_400000_NS6detail17trampoline_kernelINS0_14default_configENS1_20scan_config_selectorIjEEZZNS1_9scan_implILNS1_25lookback_scan_determinismE0ELb0ELb0ES3_N6thrust23THRUST_200600_302600_NS6detail15normal_iteratorINS9_10device_ptrIjEEEENS9_16discard_iteratorINS9_11use_defaultEEEj11max_functorIjEjEEDaPvRmT3_T4_T5_mT6_P12ihipStream_tbENKUlT_T0_E_clISt17integral_constantIbLb0EESX_EEDaSS_ST_EUlSS_E_NS1_11comp_targetILNS1_3genE4ELNS1_11target_archE910ELNS1_3gpuE8ELNS1_3repE0EEENS1_30default_config_static_selectorELNS0_4arch9wavefront6targetE1EEEvT1_.kd
    .uniform_work_group_size: 1
    .uses_dynamic_stack: false
    .vgpr_count:     39
    .vgpr_spill_count: 0
    .wavefront_size: 64
  - .agpr_count:     0
    .args:
      - .offset:         0
        .size:           104
        .value_kind:     by_value
    .group_segment_fixed_size: 0
    .kernarg_segment_align: 8
    .kernarg_segment_size: 104
    .language:       OpenCL C
    .language_version:
      - 2
      - 0
    .max_flat_workgroup_size: 256
    .name:           _ZN7rocprim17ROCPRIM_400000_NS6detail17trampoline_kernelINS0_14default_configENS1_20scan_config_selectorIjEEZZNS1_9scan_implILNS1_25lookback_scan_determinismE0ELb0ELb0ES3_N6thrust23THRUST_200600_302600_NS6detail15normal_iteratorINS9_10device_ptrIjEEEENS9_16discard_iteratorINS9_11use_defaultEEEj11max_functorIjEjEEDaPvRmT3_T4_T5_mT6_P12ihipStream_tbENKUlT_T0_E_clISt17integral_constantIbLb0EESX_EEDaSS_ST_EUlSS_E_NS1_11comp_targetILNS1_3genE3ELNS1_11target_archE908ELNS1_3gpuE7ELNS1_3repE0EEENS1_30default_config_static_selectorELNS0_4arch9wavefront6targetE1EEEvT1_
    .private_segment_fixed_size: 0
    .sgpr_count:     4
    .sgpr_spill_count: 0
    .symbol:         _ZN7rocprim17ROCPRIM_400000_NS6detail17trampoline_kernelINS0_14default_configENS1_20scan_config_selectorIjEEZZNS1_9scan_implILNS1_25lookback_scan_determinismE0ELb0ELb0ES3_N6thrust23THRUST_200600_302600_NS6detail15normal_iteratorINS9_10device_ptrIjEEEENS9_16discard_iteratorINS9_11use_defaultEEEj11max_functorIjEjEEDaPvRmT3_T4_T5_mT6_P12ihipStream_tbENKUlT_T0_E_clISt17integral_constantIbLb0EESX_EEDaSS_ST_EUlSS_E_NS1_11comp_targetILNS1_3genE3ELNS1_11target_archE908ELNS1_3gpuE7ELNS1_3repE0EEENS1_30default_config_static_selectorELNS0_4arch9wavefront6targetE1EEEvT1_.kd
    .uniform_work_group_size: 1
    .uses_dynamic_stack: false
    .vgpr_count:     0
    .vgpr_spill_count: 0
    .wavefront_size: 64
  - .agpr_count:     0
    .args:
      - .offset:         0
        .size:           104
        .value_kind:     by_value
    .group_segment_fixed_size: 0
    .kernarg_segment_align: 8
    .kernarg_segment_size: 104
    .language:       OpenCL C
    .language_version:
      - 2
      - 0
    .max_flat_workgroup_size: 256
    .name:           _ZN7rocprim17ROCPRIM_400000_NS6detail17trampoline_kernelINS0_14default_configENS1_20scan_config_selectorIjEEZZNS1_9scan_implILNS1_25lookback_scan_determinismE0ELb0ELb0ES3_N6thrust23THRUST_200600_302600_NS6detail15normal_iteratorINS9_10device_ptrIjEEEENS9_16discard_iteratorINS9_11use_defaultEEEj11max_functorIjEjEEDaPvRmT3_T4_T5_mT6_P12ihipStream_tbENKUlT_T0_E_clISt17integral_constantIbLb0EESX_EEDaSS_ST_EUlSS_E_NS1_11comp_targetILNS1_3genE2ELNS1_11target_archE906ELNS1_3gpuE6ELNS1_3repE0EEENS1_30default_config_static_selectorELNS0_4arch9wavefront6targetE1EEEvT1_
    .private_segment_fixed_size: 0
    .sgpr_count:     4
    .sgpr_spill_count: 0
    .symbol:         _ZN7rocprim17ROCPRIM_400000_NS6detail17trampoline_kernelINS0_14default_configENS1_20scan_config_selectorIjEEZZNS1_9scan_implILNS1_25lookback_scan_determinismE0ELb0ELb0ES3_N6thrust23THRUST_200600_302600_NS6detail15normal_iteratorINS9_10device_ptrIjEEEENS9_16discard_iteratorINS9_11use_defaultEEEj11max_functorIjEjEEDaPvRmT3_T4_T5_mT6_P12ihipStream_tbENKUlT_T0_E_clISt17integral_constantIbLb0EESX_EEDaSS_ST_EUlSS_E_NS1_11comp_targetILNS1_3genE2ELNS1_11target_archE906ELNS1_3gpuE6ELNS1_3repE0EEENS1_30default_config_static_selectorELNS0_4arch9wavefront6targetE1EEEvT1_.kd
    .uniform_work_group_size: 1
    .uses_dynamic_stack: false
    .vgpr_count:     0
    .vgpr_spill_count: 0
    .wavefront_size: 64
  - .agpr_count:     0
    .args:
      - .offset:         0
        .size:           104
        .value_kind:     by_value
    .group_segment_fixed_size: 0
    .kernarg_segment_align: 8
    .kernarg_segment_size: 104
    .language:       OpenCL C
    .language_version:
      - 2
      - 0
    .max_flat_workgroup_size: 256
    .name:           _ZN7rocprim17ROCPRIM_400000_NS6detail17trampoline_kernelINS0_14default_configENS1_20scan_config_selectorIjEEZZNS1_9scan_implILNS1_25lookback_scan_determinismE0ELb0ELb0ES3_N6thrust23THRUST_200600_302600_NS6detail15normal_iteratorINS9_10device_ptrIjEEEENS9_16discard_iteratorINS9_11use_defaultEEEj11max_functorIjEjEEDaPvRmT3_T4_T5_mT6_P12ihipStream_tbENKUlT_T0_E_clISt17integral_constantIbLb0EESX_EEDaSS_ST_EUlSS_E_NS1_11comp_targetILNS1_3genE10ELNS1_11target_archE1201ELNS1_3gpuE5ELNS1_3repE0EEENS1_30default_config_static_selectorELNS0_4arch9wavefront6targetE1EEEvT1_
    .private_segment_fixed_size: 0
    .sgpr_count:     4
    .sgpr_spill_count: 0
    .symbol:         _ZN7rocprim17ROCPRIM_400000_NS6detail17trampoline_kernelINS0_14default_configENS1_20scan_config_selectorIjEEZZNS1_9scan_implILNS1_25lookback_scan_determinismE0ELb0ELb0ES3_N6thrust23THRUST_200600_302600_NS6detail15normal_iteratorINS9_10device_ptrIjEEEENS9_16discard_iteratorINS9_11use_defaultEEEj11max_functorIjEjEEDaPvRmT3_T4_T5_mT6_P12ihipStream_tbENKUlT_T0_E_clISt17integral_constantIbLb0EESX_EEDaSS_ST_EUlSS_E_NS1_11comp_targetILNS1_3genE10ELNS1_11target_archE1201ELNS1_3gpuE5ELNS1_3repE0EEENS1_30default_config_static_selectorELNS0_4arch9wavefront6targetE1EEEvT1_.kd
    .uniform_work_group_size: 1
    .uses_dynamic_stack: false
    .vgpr_count:     0
    .vgpr_spill_count: 0
    .wavefront_size: 64
  - .agpr_count:     0
    .args:
      - .offset:         0
        .size:           104
        .value_kind:     by_value
    .group_segment_fixed_size: 0
    .kernarg_segment_align: 8
    .kernarg_segment_size: 104
    .language:       OpenCL C
    .language_version:
      - 2
      - 0
    .max_flat_workgroup_size: 256
    .name:           _ZN7rocprim17ROCPRIM_400000_NS6detail17trampoline_kernelINS0_14default_configENS1_20scan_config_selectorIjEEZZNS1_9scan_implILNS1_25lookback_scan_determinismE0ELb0ELb0ES3_N6thrust23THRUST_200600_302600_NS6detail15normal_iteratorINS9_10device_ptrIjEEEENS9_16discard_iteratorINS9_11use_defaultEEEj11max_functorIjEjEEDaPvRmT3_T4_T5_mT6_P12ihipStream_tbENKUlT_T0_E_clISt17integral_constantIbLb0EESX_EEDaSS_ST_EUlSS_E_NS1_11comp_targetILNS1_3genE10ELNS1_11target_archE1200ELNS1_3gpuE4ELNS1_3repE0EEENS1_30default_config_static_selectorELNS0_4arch9wavefront6targetE1EEEvT1_
    .private_segment_fixed_size: 0
    .sgpr_count:     4
    .sgpr_spill_count: 0
    .symbol:         _ZN7rocprim17ROCPRIM_400000_NS6detail17trampoline_kernelINS0_14default_configENS1_20scan_config_selectorIjEEZZNS1_9scan_implILNS1_25lookback_scan_determinismE0ELb0ELb0ES3_N6thrust23THRUST_200600_302600_NS6detail15normal_iteratorINS9_10device_ptrIjEEEENS9_16discard_iteratorINS9_11use_defaultEEEj11max_functorIjEjEEDaPvRmT3_T4_T5_mT6_P12ihipStream_tbENKUlT_T0_E_clISt17integral_constantIbLb0EESX_EEDaSS_ST_EUlSS_E_NS1_11comp_targetILNS1_3genE10ELNS1_11target_archE1200ELNS1_3gpuE4ELNS1_3repE0EEENS1_30default_config_static_selectorELNS0_4arch9wavefront6targetE1EEEvT1_.kd
    .uniform_work_group_size: 1
    .uses_dynamic_stack: false
    .vgpr_count:     0
    .vgpr_spill_count: 0
    .wavefront_size: 64
  - .agpr_count:     0
    .args:
      - .offset:         0
        .size:           104
        .value_kind:     by_value
    .group_segment_fixed_size: 0
    .kernarg_segment_align: 8
    .kernarg_segment_size: 104
    .language:       OpenCL C
    .language_version:
      - 2
      - 0
    .max_flat_workgroup_size: 256
    .name:           _ZN7rocprim17ROCPRIM_400000_NS6detail17trampoline_kernelINS0_14default_configENS1_20scan_config_selectorIjEEZZNS1_9scan_implILNS1_25lookback_scan_determinismE0ELb0ELb0ES3_N6thrust23THRUST_200600_302600_NS6detail15normal_iteratorINS9_10device_ptrIjEEEENS9_16discard_iteratorINS9_11use_defaultEEEj11max_functorIjEjEEDaPvRmT3_T4_T5_mT6_P12ihipStream_tbENKUlT_T0_E_clISt17integral_constantIbLb0EESX_EEDaSS_ST_EUlSS_E_NS1_11comp_targetILNS1_3genE9ELNS1_11target_archE1100ELNS1_3gpuE3ELNS1_3repE0EEENS1_30default_config_static_selectorELNS0_4arch9wavefront6targetE1EEEvT1_
    .private_segment_fixed_size: 0
    .sgpr_count:     4
    .sgpr_spill_count: 0
    .symbol:         _ZN7rocprim17ROCPRIM_400000_NS6detail17trampoline_kernelINS0_14default_configENS1_20scan_config_selectorIjEEZZNS1_9scan_implILNS1_25lookback_scan_determinismE0ELb0ELb0ES3_N6thrust23THRUST_200600_302600_NS6detail15normal_iteratorINS9_10device_ptrIjEEEENS9_16discard_iteratorINS9_11use_defaultEEEj11max_functorIjEjEEDaPvRmT3_T4_T5_mT6_P12ihipStream_tbENKUlT_T0_E_clISt17integral_constantIbLb0EESX_EEDaSS_ST_EUlSS_E_NS1_11comp_targetILNS1_3genE9ELNS1_11target_archE1100ELNS1_3gpuE3ELNS1_3repE0EEENS1_30default_config_static_selectorELNS0_4arch9wavefront6targetE1EEEvT1_.kd
    .uniform_work_group_size: 1
    .uses_dynamic_stack: false
    .vgpr_count:     0
    .vgpr_spill_count: 0
    .wavefront_size: 64
  - .agpr_count:     0
    .args:
      - .offset:         0
        .size:           104
        .value_kind:     by_value
    .group_segment_fixed_size: 0
    .kernarg_segment_align: 8
    .kernarg_segment_size: 104
    .language:       OpenCL C
    .language_version:
      - 2
      - 0
    .max_flat_workgroup_size: 64
    .name:           _ZN7rocprim17ROCPRIM_400000_NS6detail17trampoline_kernelINS0_14default_configENS1_20scan_config_selectorIjEEZZNS1_9scan_implILNS1_25lookback_scan_determinismE0ELb0ELb0ES3_N6thrust23THRUST_200600_302600_NS6detail15normal_iteratorINS9_10device_ptrIjEEEENS9_16discard_iteratorINS9_11use_defaultEEEj11max_functorIjEjEEDaPvRmT3_T4_T5_mT6_P12ihipStream_tbENKUlT_T0_E_clISt17integral_constantIbLb0EESX_EEDaSS_ST_EUlSS_E_NS1_11comp_targetILNS1_3genE8ELNS1_11target_archE1030ELNS1_3gpuE2ELNS1_3repE0EEENS1_30default_config_static_selectorELNS0_4arch9wavefront6targetE1EEEvT1_
    .private_segment_fixed_size: 0
    .sgpr_count:     4
    .sgpr_spill_count: 0
    .symbol:         _ZN7rocprim17ROCPRIM_400000_NS6detail17trampoline_kernelINS0_14default_configENS1_20scan_config_selectorIjEEZZNS1_9scan_implILNS1_25lookback_scan_determinismE0ELb0ELb0ES3_N6thrust23THRUST_200600_302600_NS6detail15normal_iteratorINS9_10device_ptrIjEEEENS9_16discard_iteratorINS9_11use_defaultEEEj11max_functorIjEjEEDaPvRmT3_T4_T5_mT6_P12ihipStream_tbENKUlT_T0_E_clISt17integral_constantIbLb0EESX_EEDaSS_ST_EUlSS_E_NS1_11comp_targetILNS1_3genE8ELNS1_11target_archE1030ELNS1_3gpuE2ELNS1_3repE0EEENS1_30default_config_static_selectorELNS0_4arch9wavefront6targetE1EEEvT1_.kd
    .uniform_work_group_size: 1
    .uses_dynamic_stack: false
    .vgpr_count:     0
    .vgpr_spill_count: 0
    .wavefront_size: 64
  - .agpr_count:     0
    .args:
      - .offset:         0
        .size:           40
        .value_kind:     by_value
    .group_segment_fixed_size: 0
    .kernarg_segment_align: 8
    .kernarg_segment_size: 40
    .language:       OpenCL C
    .language_version:
      - 2
      - 0
    .max_flat_workgroup_size: 256
    .name:           _ZN7rocprim17ROCPRIM_400000_NS6detail17trampoline_kernelINS0_14default_configENS1_20scan_config_selectorIjEEZZNS1_9scan_implILNS1_25lookback_scan_determinismE0ELb0ELb0ES3_N6thrust23THRUST_200600_302600_NS6detail15normal_iteratorINS9_10device_ptrIjEEEENS9_16discard_iteratorINS9_11use_defaultEEEj11max_functorIjEjEEDaPvRmT3_T4_T5_mT6_P12ihipStream_tbENKUlT_T0_E_clISt17integral_constantIbLb0EESX_EEDaSS_ST_EUlSS_E0_NS1_11comp_targetILNS1_3genE0ELNS1_11target_archE4294967295ELNS1_3gpuE0ELNS1_3repE0EEENS1_30default_config_static_selectorELNS0_4arch9wavefront6targetE1EEEvT1_
    .private_segment_fixed_size: 0
    .sgpr_count:     4
    .sgpr_spill_count: 0
    .symbol:         _ZN7rocprim17ROCPRIM_400000_NS6detail17trampoline_kernelINS0_14default_configENS1_20scan_config_selectorIjEEZZNS1_9scan_implILNS1_25lookback_scan_determinismE0ELb0ELb0ES3_N6thrust23THRUST_200600_302600_NS6detail15normal_iteratorINS9_10device_ptrIjEEEENS9_16discard_iteratorINS9_11use_defaultEEEj11max_functorIjEjEEDaPvRmT3_T4_T5_mT6_P12ihipStream_tbENKUlT_T0_E_clISt17integral_constantIbLb0EESX_EEDaSS_ST_EUlSS_E0_NS1_11comp_targetILNS1_3genE0ELNS1_11target_archE4294967295ELNS1_3gpuE0ELNS1_3repE0EEENS1_30default_config_static_selectorELNS0_4arch9wavefront6targetE1EEEvT1_.kd
    .uniform_work_group_size: 1
    .uses_dynamic_stack: false
    .vgpr_count:     0
    .vgpr_spill_count: 0
    .wavefront_size: 64
  - .agpr_count:     0
    .args:
      - .offset:         0
        .size:           40
        .value_kind:     by_value
    .group_segment_fixed_size: 0
    .kernarg_segment_align: 8
    .kernarg_segment_size: 40
    .language:       OpenCL C
    .language_version:
      - 2
      - 0
    .max_flat_workgroup_size: 256
    .name:           _ZN7rocprim17ROCPRIM_400000_NS6detail17trampoline_kernelINS0_14default_configENS1_20scan_config_selectorIjEEZZNS1_9scan_implILNS1_25lookback_scan_determinismE0ELb0ELb0ES3_N6thrust23THRUST_200600_302600_NS6detail15normal_iteratorINS9_10device_ptrIjEEEENS9_16discard_iteratorINS9_11use_defaultEEEj11max_functorIjEjEEDaPvRmT3_T4_T5_mT6_P12ihipStream_tbENKUlT_T0_E_clISt17integral_constantIbLb0EESX_EEDaSS_ST_EUlSS_E0_NS1_11comp_targetILNS1_3genE5ELNS1_11target_archE942ELNS1_3gpuE9ELNS1_3repE0EEENS1_30default_config_static_selectorELNS0_4arch9wavefront6targetE1EEEvT1_
    .private_segment_fixed_size: 0
    .sgpr_count:     4
    .sgpr_spill_count: 0
    .symbol:         _ZN7rocprim17ROCPRIM_400000_NS6detail17trampoline_kernelINS0_14default_configENS1_20scan_config_selectorIjEEZZNS1_9scan_implILNS1_25lookback_scan_determinismE0ELb0ELb0ES3_N6thrust23THRUST_200600_302600_NS6detail15normal_iteratorINS9_10device_ptrIjEEEENS9_16discard_iteratorINS9_11use_defaultEEEj11max_functorIjEjEEDaPvRmT3_T4_T5_mT6_P12ihipStream_tbENKUlT_T0_E_clISt17integral_constantIbLb0EESX_EEDaSS_ST_EUlSS_E0_NS1_11comp_targetILNS1_3genE5ELNS1_11target_archE942ELNS1_3gpuE9ELNS1_3repE0EEENS1_30default_config_static_selectorELNS0_4arch9wavefront6targetE1EEEvT1_.kd
    .uniform_work_group_size: 1
    .uses_dynamic_stack: false
    .vgpr_count:     0
    .vgpr_spill_count: 0
    .wavefront_size: 64
  - .agpr_count:     0
    .args:
      - .offset:         0
        .size:           40
        .value_kind:     by_value
    .group_segment_fixed_size: 5120
    .kernarg_segment_align: 8
    .kernarg_segment_size: 40
    .language:       OpenCL C
    .language_version:
      - 2
      - 0
    .max_flat_workgroup_size: 128
    .name:           _ZN7rocprim17ROCPRIM_400000_NS6detail17trampoline_kernelINS0_14default_configENS1_20scan_config_selectorIjEEZZNS1_9scan_implILNS1_25lookback_scan_determinismE0ELb0ELb0ES3_N6thrust23THRUST_200600_302600_NS6detail15normal_iteratorINS9_10device_ptrIjEEEENS9_16discard_iteratorINS9_11use_defaultEEEj11max_functorIjEjEEDaPvRmT3_T4_T5_mT6_P12ihipStream_tbENKUlT_T0_E_clISt17integral_constantIbLb0EESX_EEDaSS_ST_EUlSS_E0_NS1_11comp_targetILNS1_3genE4ELNS1_11target_archE910ELNS1_3gpuE8ELNS1_3repE0EEENS1_30default_config_static_selectorELNS0_4arch9wavefront6targetE1EEEvT1_
    .private_segment_fixed_size: 0
    .sgpr_count:     10
    .sgpr_spill_count: 0
    .symbol:         _ZN7rocprim17ROCPRIM_400000_NS6detail17trampoline_kernelINS0_14default_configENS1_20scan_config_selectorIjEEZZNS1_9scan_implILNS1_25lookback_scan_determinismE0ELb0ELb0ES3_N6thrust23THRUST_200600_302600_NS6detail15normal_iteratorINS9_10device_ptrIjEEEENS9_16discard_iteratorINS9_11use_defaultEEEj11max_functorIjEjEEDaPvRmT3_T4_T5_mT6_P12ihipStream_tbENKUlT_T0_E_clISt17integral_constantIbLb0EESX_EEDaSS_ST_EUlSS_E0_NS1_11comp_targetILNS1_3genE4ELNS1_11target_archE910ELNS1_3gpuE8ELNS1_3repE0EEENS1_30default_config_static_selectorELNS0_4arch9wavefront6targetE1EEEvT1_.kd
    .uniform_work_group_size: 1
    .uses_dynamic_stack: false
    .vgpr_count:     27
    .vgpr_spill_count: 0
    .wavefront_size: 64
  - .agpr_count:     0
    .args:
      - .offset:         0
        .size:           40
        .value_kind:     by_value
    .group_segment_fixed_size: 0
    .kernarg_segment_align: 8
    .kernarg_segment_size: 40
    .language:       OpenCL C
    .language_version:
      - 2
      - 0
    .max_flat_workgroup_size: 256
    .name:           _ZN7rocprim17ROCPRIM_400000_NS6detail17trampoline_kernelINS0_14default_configENS1_20scan_config_selectorIjEEZZNS1_9scan_implILNS1_25lookback_scan_determinismE0ELb0ELb0ES3_N6thrust23THRUST_200600_302600_NS6detail15normal_iteratorINS9_10device_ptrIjEEEENS9_16discard_iteratorINS9_11use_defaultEEEj11max_functorIjEjEEDaPvRmT3_T4_T5_mT6_P12ihipStream_tbENKUlT_T0_E_clISt17integral_constantIbLb0EESX_EEDaSS_ST_EUlSS_E0_NS1_11comp_targetILNS1_3genE3ELNS1_11target_archE908ELNS1_3gpuE7ELNS1_3repE0EEENS1_30default_config_static_selectorELNS0_4arch9wavefront6targetE1EEEvT1_
    .private_segment_fixed_size: 0
    .sgpr_count:     4
    .sgpr_spill_count: 0
    .symbol:         _ZN7rocprim17ROCPRIM_400000_NS6detail17trampoline_kernelINS0_14default_configENS1_20scan_config_selectorIjEEZZNS1_9scan_implILNS1_25lookback_scan_determinismE0ELb0ELb0ES3_N6thrust23THRUST_200600_302600_NS6detail15normal_iteratorINS9_10device_ptrIjEEEENS9_16discard_iteratorINS9_11use_defaultEEEj11max_functorIjEjEEDaPvRmT3_T4_T5_mT6_P12ihipStream_tbENKUlT_T0_E_clISt17integral_constantIbLb0EESX_EEDaSS_ST_EUlSS_E0_NS1_11comp_targetILNS1_3genE3ELNS1_11target_archE908ELNS1_3gpuE7ELNS1_3repE0EEENS1_30default_config_static_selectorELNS0_4arch9wavefront6targetE1EEEvT1_.kd
    .uniform_work_group_size: 1
    .uses_dynamic_stack: false
    .vgpr_count:     0
    .vgpr_spill_count: 0
    .wavefront_size: 64
  - .agpr_count:     0
    .args:
      - .offset:         0
        .size:           40
        .value_kind:     by_value
    .group_segment_fixed_size: 0
    .kernarg_segment_align: 8
    .kernarg_segment_size: 40
    .language:       OpenCL C
    .language_version:
      - 2
      - 0
    .max_flat_workgroup_size: 256
    .name:           _ZN7rocprim17ROCPRIM_400000_NS6detail17trampoline_kernelINS0_14default_configENS1_20scan_config_selectorIjEEZZNS1_9scan_implILNS1_25lookback_scan_determinismE0ELb0ELb0ES3_N6thrust23THRUST_200600_302600_NS6detail15normal_iteratorINS9_10device_ptrIjEEEENS9_16discard_iteratorINS9_11use_defaultEEEj11max_functorIjEjEEDaPvRmT3_T4_T5_mT6_P12ihipStream_tbENKUlT_T0_E_clISt17integral_constantIbLb0EESX_EEDaSS_ST_EUlSS_E0_NS1_11comp_targetILNS1_3genE2ELNS1_11target_archE906ELNS1_3gpuE6ELNS1_3repE0EEENS1_30default_config_static_selectorELNS0_4arch9wavefront6targetE1EEEvT1_
    .private_segment_fixed_size: 0
    .sgpr_count:     4
    .sgpr_spill_count: 0
    .symbol:         _ZN7rocprim17ROCPRIM_400000_NS6detail17trampoline_kernelINS0_14default_configENS1_20scan_config_selectorIjEEZZNS1_9scan_implILNS1_25lookback_scan_determinismE0ELb0ELb0ES3_N6thrust23THRUST_200600_302600_NS6detail15normal_iteratorINS9_10device_ptrIjEEEENS9_16discard_iteratorINS9_11use_defaultEEEj11max_functorIjEjEEDaPvRmT3_T4_T5_mT6_P12ihipStream_tbENKUlT_T0_E_clISt17integral_constantIbLb0EESX_EEDaSS_ST_EUlSS_E0_NS1_11comp_targetILNS1_3genE2ELNS1_11target_archE906ELNS1_3gpuE6ELNS1_3repE0EEENS1_30default_config_static_selectorELNS0_4arch9wavefront6targetE1EEEvT1_.kd
    .uniform_work_group_size: 1
    .uses_dynamic_stack: false
    .vgpr_count:     0
    .vgpr_spill_count: 0
    .wavefront_size: 64
  - .agpr_count:     0
    .args:
      - .offset:         0
        .size:           40
        .value_kind:     by_value
    .group_segment_fixed_size: 0
    .kernarg_segment_align: 8
    .kernarg_segment_size: 40
    .language:       OpenCL C
    .language_version:
      - 2
      - 0
    .max_flat_workgroup_size: 256
    .name:           _ZN7rocprim17ROCPRIM_400000_NS6detail17trampoline_kernelINS0_14default_configENS1_20scan_config_selectorIjEEZZNS1_9scan_implILNS1_25lookback_scan_determinismE0ELb0ELb0ES3_N6thrust23THRUST_200600_302600_NS6detail15normal_iteratorINS9_10device_ptrIjEEEENS9_16discard_iteratorINS9_11use_defaultEEEj11max_functorIjEjEEDaPvRmT3_T4_T5_mT6_P12ihipStream_tbENKUlT_T0_E_clISt17integral_constantIbLb0EESX_EEDaSS_ST_EUlSS_E0_NS1_11comp_targetILNS1_3genE10ELNS1_11target_archE1201ELNS1_3gpuE5ELNS1_3repE0EEENS1_30default_config_static_selectorELNS0_4arch9wavefront6targetE1EEEvT1_
    .private_segment_fixed_size: 0
    .sgpr_count:     4
    .sgpr_spill_count: 0
    .symbol:         _ZN7rocprim17ROCPRIM_400000_NS6detail17trampoline_kernelINS0_14default_configENS1_20scan_config_selectorIjEEZZNS1_9scan_implILNS1_25lookback_scan_determinismE0ELb0ELb0ES3_N6thrust23THRUST_200600_302600_NS6detail15normal_iteratorINS9_10device_ptrIjEEEENS9_16discard_iteratorINS9_11use_defaultEEEj11max_functorIjEjEEDaPvRmT3_T4_T5_mT6_P12ihipStream_tbENKUlT_T0_E_clISt17integral_constantIbLb0EESX_EEDaSS_ST_EUlSS_E0_NS1_11comp_targetILNS1_3genE10ELNS1_11target_archE1201ELNS1_3gpuE5ELNS1_3repE0EEENS1_30default_config_static_selectorELNS0_4arch9wavefront6targetE1EEEvT1_.kd
    .uniform_work_group_size: 1
    .uses_dynamic_stack: false
    .vgpr_count:     0
    .vgpr_spill_count: 0
    .wavefront_size: 64
  - .agpr_count:     0
    .args:
      - .offset:         0
        .size:           40
        .value_kind:     by_value
    .group_segment_fixed_size: 0
    .kernarg_segment_align: 8
    .kernarg_segment_size: 40
    .language:       OpenCL C
    .language_version:
      - 2
      - 0
    .max_flat_workgroup_size: 256
    .name:           _ZN7rocprim17ROCPRIM_400000_NS6detail17trampoline_kernelINS0_14default_configENS1_20scan_config_selectorIjEEZZNS1_9scan_implILNS1_25lookback_scan_determinismE0ELb0ELb0ES3_N6thrust23THRUST_200600_302600_NS6detail15normal_iteratorINS9_10device_ptrIjEEEENS9_16discard_iteratorINS9_11use_defaultEEEj11max_functorIjEjEEDaPvRmT3_T4_T5_mT6_P12ihipStream_tbENKUlT_T0_E_clISt17integral_constantIbLb0EESX_EEDaSS_ST_EUlSS_E0_NS1_11comp_targetILNS1_3genE10ELNS1_11target_archE1200ELNS1_3gpuE4ELNS1_3repE0EEENS1_30default_config_static_selectorELNS0_4arch9wavefront6targetE1EEEvT1_
    .private_segment_fixed_size: 0
    .sgpr_count:     4
    .sgpr_spill_count: 0
    .symbol:         _ZN7rocprim17ROCPRIM_400000_NS6detail17trampoline_kernelINS0_14default_configENS1_20scan_config_selectorIjEEZZNS1_9scan_implILNS1_25lookback_scan_determinismE0ELb0ELb0ES3_N6thrust23THRUST_200600_302600_NS6detail15normal_iteratorINS9_10device_ptrIjEEEENS9_16discard_iteratorINS9_11use_defaultEEEj11max_functorIjEjEEDaPvRmT3_T4_T5_mT6_P12ihipStream_tbENKUlT_T0_E_clISt17integral_constantIbLb0EESX_EEDaSS_ST_EUlSS_E0_NS1_11comp_targetILNS1_3genE10ELNS1_11target_archE1200ELNS1_3gpuE4ELNS1_3repE0EEENS1_30default_config_static_selectorELNS0_4arch9wavefront6targetE1EEEvT1_.kd
    .uniform_work_group_size: 1
    .uses_dynamic_stack: false
    .vgpr_count:     0
    .vgpr_spill_count: 0
    .wavefront_size: 64
  - .agpr_count:     0
    .args:
      - .offset:         0
        .size:           40
        .value_kind:     by_value
    .group_segment_fixed_size: 0
    .kernarg_segment_align: 8
    .kernarg_segment_size: 40
    .language:       OpenCL C
    .language_version:
      - 2
      - 0
    .max_flat_workgroup_size: 256
    .name:           _ZN7rocprim17ROCPRIM_400000_NS6detail17trampoline_kernelINS0_14default_configENS1_20scan_config_selectorIjEEZZNS1_9scan_implILNS1_25lookback_scan_determinismE0ELb0ELb0ES3_N6thrust23THRUST_200600_302600_NS6detail15normal_iteratorINS9_10device_ptrIjEEEENS9_16discard_iteratorINS9_11use_defaultEEEj11max_functorIjEjEEDaPvRmT3_T4_T5_mT6_P12ihipStream_tbENKUlT_T0_E_clISt17integral_constantIbLb0EESX_EEDaSS_ST_EUlSS_E0_NS1_11comp_targetILNS1_3genE9ELNS1_11target_archE1100ELNS1_3gpuE3ELNS1_3repE0EEENS1_30default_config_static_selectorELNS0_4arch9wavefront6targetE1EEEvT1_
    .private_segment_fixed_size: 0
    .sgpr_count:     4
    .sgpr_spill_count: 0
    .symbol:         _ZN7rocprim17ROCPRIM_400000_NS6detail17trampoline_kernelINS0_14default_configENS1_20scan_config_selectorIjEEZZNS1_9scan_implILNS1_25lookback_scan_determinismE0ELb0ELb0ES3_N6thrust23THRUST_200600_302600_NS6detail15normal_iteratorINS9_10device_ptrIjEEEENS9_16discard_iteratorINS9_11use_defaultEEEj11max_functorIjEjEEDaPvRmT3_T4_T5_mT6_P12ihipStream_tbENKUlT_T0_E_clISt17integral_constantIbLb0EESX_EEDaSS_ST_EUlSS_E0_NS1_11comp_targetILNS1_3genE9ELNS1_11target_archE1100ELNS1_3gpuE3ELNS1_3repE0EEENS1_30default_config_static_selectorELNS0_4arch9wavefront6targetE1EEEvT1_.kd
    .uniform_work_group_size: 1
    .uses_dynamic_stack: false
    .vgpr_count:     0
    .vgpr_spill_count: 0
    .wavefront_size: 64
  - .agpr_count:     0
    .args:
      - .offset:         0
        .size:           40
        .value_kind:     by_value
    .group_segment_fixed_size: 0
    .kernarg_segment_align: 8
    .kernarg_segment_size: 40
    .language:       OpenCL C
    .language_version:
      - 2
      - 0
    .max_flat_workgroup_size: 64
    .name:           _ZN7rocprim17ROCPRIM_400000_NS6detail17trampoline_kernelINS0_14default_configENS1_20scan_config_selectorIjEEZZNS1_9scan_implILNS1_25lookback_scan_determinismE0ELb0ELb0ES3_N6thrust23THRUST_200600_302600_NS6detail15normal_iteratorINS9_10device_ptrIjEEEENS9_16discard_iteratorINS9_11use_defaultEEEj11max_functorIjEjEEDaPvRmT3_T4_T5_mT6_P12ihipStream_tbENKUlT_T0_E_clISt17integral_constantIbLb0EESX_EEDaSS_ST_EUlSS_E0_NS1_11comp_targetILNS1_3genE8ELNS1_11target_archE1030ELNS1_3gpuE2ELNS1_3repE0EEENS1_30default_config_static_selectorELNS0_4arch9wavefront6targetE1EEEvT1_
    .private_segment_fixed_size: 0
    .sgpr_count:     4
    .sgpr_spill_count: 0
    .symbol:         _ZN7rocprim17ROCPRIM_400000_NS6detail17trampoline_kernelINS0_14default_configENS1_20scan_config_selectorIjEEZZNS1_9scan_implILNS1_25lookback_scan_determinismE0ELb0ELb0ES3_N6thrust23THRUST_200600_302600_NS6detail15normal_iteratorINS9_10device_ptrIjEEEENS9_16discard_iteratorINS9_11use_defaultEEEj11max_functorIjEjEEDaPvRmT3_T4_T5_mT6_P12ihipStream_tbENKUlT_T0_E_clISt17integral_constantIbLb0EESX_EEDaSS_ST_EUlSS_E0_NS1_11comp_targetILNS1_3genE8ELNS1_11target_archE1030ELNS1_3gpuE2ELNS1_3repE0EEENS1_30default_config_static_selectorELNS0_4arch9wavefront6targetE1EEEvT1_.kd
    .uniform_work_group_size: 1
    .uses_dynamic_stack: false
    .vgpr_count:     0
    .vgpr_spill_count: 0
    .wavefront_size: 64
  - .agpr_count:     0
    .args:
      - .offset:         0
        .size:           104
        .value_kind:     by_value
    .group_segment_fixed_size: 0
    .kernarg_segment_align: 8
    .kernarg_segment_size: 104
    .language:       OpenCL C
    .language_version:
      - 2
      - 0
    .max_flat_workgroup_size: 256
    .name:           _ZN7rocprim17ROCPRIM_400000_NS6detail17trampoline_kernelINS0_14default_configENS1_20scan_config_selectorIjEEZZNS1_9scan_implILNS1_25lookback_scan_determinismE0ELb0ELb0ES3_N6thrust23THRUST_200600_302600_NS6detail15normal_iteratorINS9_10device_ptrIjEEEENS9_16discard_iteratorINS9_11use_defaultEEEj11max_functorIjEjEEDaPvRmT3_T4_T5_mT6_P12ihipStream_tbENKUlT_T0_E_clISt17integral_constantIbLb1EESX_EEDaSS_ST_EUlSS_E_NS1_11comp_targetILNS1_3genE0ELNS1_11target_archE4294967295ELNS1_3gpuE0ELNS1_3repE0EEENS1_30default_config_static_selectorELNS0_4arch9wavefront6targetE1EEEvT1_
    .private_segment_fixed_size: 0
    .sgpr_count:     4
    .sgpr_spill_count: 0
    .symbol:         _ZN7rocprim17ROCPRIM_400000_NS6detail17trampoline_kernelINS0_14default_configENS1_20scan_config_selectorIjEEZZNS1_9scan_implILNS1_25lookback_scan_determinismE0ELb0ELb0ES3_N6thrust23THRUST_200600_302600_NS6detail15normal_iteratorINS9_10device_ptrIjEEEENS9_16discard_iteratorINS9_11use_defaultEEEj11max_functorIjEjEEDaPvRmT3_T4_T5_mT6_P12ihipStream_tbENKUlT_T0_E_clISt17integral_constantIbLb1EESX_EEDaSS_ST_EUlSS_E_NS1_11comp_targetILNS1_3genE0ELNS1_11target_archE4294967295ELNS1_3gpuE0ELNS1_3repE0EEENS1_30default_config_static_selectorELNS0_4arch9wavefront6targetE1EEEvT1_.kd
    .uniform_work_group_size: 1
    .uses_dynamic_stack: false
    .vgpr_count:     0
    .vgpr_spill_count: 0
    .wavefront_size: 64
  - .agpr_count:     0
    .args:
      - .offset:         0
        .size:           104
        .value_kind:     by_value
    .group_segment_fixed_size: 0
    .kernarg_segment_align: 8
    .kernarg_segment_size: 104
    .language:       OpenCL C
    .language_version:
      - 2
      - 0
    .max_flat_workgroup_size: 256
    .name:           _ZN7rocprim17ROCPRIM_400000_NS6detail17trampoline_kernelINS0_14default_configENS1_20scan_config_selectorIjEEZZNS1_9scan_implILNS1_25lookback_scan_determinismE0ELb0ELb0ES3_N6thrust23THRUST_200600_302600_NS6detail15normal_iteratorINS9_10device_ptrIjEEEENS9_16discard_iteratorINS9_11use_defaultEEEj11max_functorIjEjEEDaPvRmT3_T4_T5_mT6_P12ihipStream_tbENKUlT_T0_E_clISt17integral_constantIbLb1EESX_EEDaSS_ST_EUlSS_E_NS1_11comp_targetILNS1_3genE5ELNS1_11target_archE942ELNS1_3gpuE9ELNS1_3repE0EEENS1_30default_config_static_selectorELNS0_4arch9wavefront6targetE1EEEvT1_
    .private_segment_fixed_size: 0
    .sgpr_count:     4
    .sgpr_spill_count: 0
    .symbol:         _ZN7rocprim17ROCPRIM_400000_NS6detail17trampoline_kernelINS0_14default_configENS1_20scan_config_selectorIjEEZZNS1_9scan_implILNS1_25lookback_scan_determinismE0ELb0ELb0ES3_N6thrust23THRUST_200600_302600_NS6detail15normal_iteratorINS9_10device_ptrIjEEEENS9_16discard_iteratorINS9_11use_defaultEEEj11max_functorIjEjEEDaPvRmT3_T4_T5_mT6_P12ihipStream_tbENKUlT_T0_E_clISt17integral_constantIbLb1EESX_EEDaSS_ST_EUlSS_E_NS1_11comp_targetILNS1_3genE5ELNS1_11target_archE942ELNS1_3gpuE9ELNS1_3repE0EEENS1_30default_config_static_selectorELNS0_4arch9wavefront6targetE1EEEvT1_.kd
    .uniform_work_group_size: 1
    .uses_dynamic_stack: false
    .vgpr_count:     0
    .vgpr_spill_count: 0
    .wavefront_size: 64
  - .agpr_count:     0
    .args:
      - .offset:         0
        .size:           104
        .value_kind:     by_value
    .group_segment_fixed_size: 5120
    .kernarg_segment_align: 8
    .kernarg_segment_size: 104
    .language:       OpenCL C
    .language_version:
      - 2
      - 0
    .max_flat_workgroup_size: 128
    .name:           _ZN7rocprim17ROCPRIM_400000_NS6detail17trampoline_kernelINS0_14default_configENS1_20scan_config_selectorIjEEZZNS1_9scan_implILNS1_25lookback_scan_determinismE0ELb0ELb0ES3_N6thrust23THRUST_200600_302600_NS6detail15normal_iteratorINS9_10device_ptrIjEEEENS9_16discard_iteratorINS9_11use_defaultEEEj11max_functorIjEjEEDaPvRmT3_T4_T5_mT6_P12ihipStream_tbENKUlT_T0_E_clISt17integral_constantIbLb1EESX_EEDaSS_ST_EUlSS_E_NS1_11comp_targetILNS1_3genE4ELNS1_11target_archE910ELNS1_3gpuE8ELNS1_3repE0EEENS1_30default_config_static_selectorELNS0_4arch9wavefront6targetE1EEEvT1_
    .private_segment_fixed_size: 0
    .sgpr_count:     34
    .sgpr_spill_count: 0
    .symbol:         _ZN7rocprim17ROCPRIM_400000_NS6detail17trampoline_kernelINS0_14default_configENS1_20scan_config_selectorIjEEZZNS1_9scan_implILNS1_25lookback_scan_determinismE0ELb0ELb0ES3_N6thrust23THRUST_200600_302600_NS6detail15normal_iteratorINS9_10device_ptrIjEEEENS9_16discard_iteratorINS9_11use_defaultEEEj11max_functorIjEjEEDaPvRmT3_T4_T5_mT6_P12ihipStream_tbENKUlT_T0_E_clISt17integral_constantIbLb1EESX_EEDaSS_ST_EUlSS_E_NS1_11comp_targetILNS1_3genE4ELNS1_11target_archE910ELNS1_3gpuE8ELNS1_3repE0EEENS1_30default_config_static_selectorELNS0_4arch9wavefront6targetE1EEEvT1_.kd
    .uniform_work_group_size: 1
    .uses_dynamic_stack: false
    .vgpr_count:     39
    .vgpr_spill_count: 0
    .wavefront_size: 64
  - .agpr_count:     0
    .args:
      - .offset:         0
        .size:           104
        .value_kind:     by_value
    .group_segment_fixed_size: 0
    .kernarg_segment_align: 8
    .kernarg_segment_size: 104
    .language:       OpenCL C
    .language_version:
      - 2
      - 0
    .max_flat_workgroup_size: 256
    .name:           _ZN7rocprim17ROCPRIM_400000_NS6detail17trampoline_kernelINS0_14default_configENS1_20scan_config_selectorIjEEZZNS1_9scan_implILNS1_25lookback_scan_determinismE0ELb0ELb0ES3_N6thrust23THRUST_200600_302600_NS6detail15normal_iteratorINS9_10device_ptrIjEEEENS9_16discard_iteratorINS9_11use_defaultEEEj11max_functorIjEjEEDaPvRmT3_T4_T5_mT6_P12ihipStream_tbENKUlT_T0_E_clISt17integral_constantIbLb1EESX_EEDaSS_ST_EUlSS_E_NS1_11comp_targetILNS1_3genE3ELNS1_11target_archE908ELNS1_3gpuE7ELNS1_3repE0EEENS1_30default_config_static_selectorELNS0_4arch9wavefront6targetE1EEEvT1_
    .private_segment_fixed_size: 0
    .sgpr_count:     4
    .sgpr_spill_count: 0
    .symbol:         _ZN7rocprim17ROCPRIM_400000_NS6detail17trampoline_kernelINS0_14default_configENS1_20scan_config_selectorIjEEZZNS1_9scan_implILNS1_25lookback_scan_determinismE0ELb0ELb0ES3_N6thrust23THRUST_200600_302600_NS6detail15normal_iteratorINS9_10device_ptrIjEEEENS9_16discard_iteratorINS9_11use_defaultEEEj11max_functorIjEjEEDaPvRmT3_T4_T5_mT6_P12ihipStream_tbENKUlT_T0_E_clISt17integral_constantIbLb1EESX_EEDaSS_ST_EUlSS_E_NS1_11comp_targetILNS1_3genE3ELNS1_11target_archE908ELNS1_3gpuE7ELNS1_3repE0EEENS1_30default_config_static_selectorELNS0_4arch9wavefront6targetE1EEEvT1_.kd
    .uniform_work_group_size: 1
    .uses_dynamic_stack: false
    .vgpr_count:     0
    .vgpr_spill_count: 0
    .wavefront_size: 64
  - .agpr_count:     0
    .args:
      - .offset:         0
        .size:           104
        .value_kind:     by_value
    .group_segment_fixed_size: 0
    .kernarg_segment_align: 8
    .kernarg_segment_size: 104
    .language:       OpenCL C
    .language_version:
      - 2
      - 0
    .max_flat_workgroup_size: 256
    .name:           _ZN7rocprim17ROCPRIM_400000_NS6detail17trampoline_kernelINS0_14default_configENS1_20scan_config_selectorIjEEZZNS1_9scan_implILNS1_25lookback_scan_determinismE0ELb0ELb0ES3_N6thrust23THRUST_200600_302600_NS6detail15normal_iteratorINS9_10device_ptrIjEEEENS9_16discard_iteratorINS9_11use_defaultEEEj11max_functorIjEjEEDaPvRmT3_T4_T5_mT6_P12ihipStream_tbENKUlT_T0_E_clISt17integral_constantIbLb1EESX_EEDaSS_ST_EUlSS_E_NS1_11comp_targetILNS1_3genE2ELNS1_11target_archE906ELNS1_3gpuE6ELNS1_3repE0EEENS1_30default_config_static_selectorELNS0_4arch9wavefront6targetE1EEEvT1_
    .private_segment_fixed_size: 0
    .sgpr_count:     4
    .sgpr_spill_count: 0
    .symbol:         _ZN7rocprim17ROCPRIM_400000_NS6detail17trampoline_kernelINS0_14default_configENS1_20scan_config_selectorIjEEZZNS1_9scan_implILNS1_25lookback_scan_determinismE0ELb0ELb0ES3_N6thrust23THRUST_200600_302600_NS6detail15normal_iteratorINS9_10device_ptrIjEEEENS9_16discard_iteratorINS9_11use_defaultEEEj11max_functorIjEjEEDaPvRmT3_T4_T5_mT6_P12ihipStream_tbENKUlT_T0_E_clISt17integral_constantIbLb1EESX_EEDaSS_ST_EUlSS_E_NS1_11comp_targetILNS1_3genE2ELNS1_11target_archE906ELNS1_3gpuE6ELNS1_3repE0EEENS1_30default_config_static_selectorELNS0_4arch9wavefront6targetE1EEEvT1_.kd
    .uniform_work_group_size: 1
    .uses_dynamic_stack: false
    .vgpr_count:     0
    .vgpr_spill_count: 0
    .wavefront_size: 64
  - .agpr_count:     0
    .args:
      - .offset:         0
        .size:           104
        .value_kind:     by_value
    .group_segment_fixed_size: 0
    .kernarg_segment_align: 8
    .kernarg_segment_size: 104
    .language:       OpenCL C
    .language_version:
      - 2
      - 0
    .max_flat_workgroup_size: 256
    .name:           _ZN7rocprim17ROCPRIM_400000_NS6detail17trampoline_kernelINS0_14default_configENS1_20scan_config_selectorIjEEZZNS1_9scan_implILNS1_25lookback_scan_determinismE0ELb0ELb0ES3_N6thrust23THRUST_200600_302600_NS6detail15normal_iteratorINS9_10device_ptrIjEEEENS9_16discard_iteratorINS9_11use_defaultEEEj11max_functorIjEjEEDaPvRmT3_T4_T5_mT6_P12ihipStream_tbENKUlT_T0_E_clISt17integral_constantIbLb1EESX_EEDaSS_ST_EUlSS_E_NS1_11comp_targetILNS1_3genE10ELNS1_11target_archE1201ELNS1_3gpuE5ELNS1_3repE0EEENS1_30default_config_static_selectorELNS0_4arch9wavefront6targetE1EEEvT1_
    .private_segment_fixed_size: 0
    .sgpr_count:     4
    .sgpr_spill_count: 0
    .symbol:         _ZN7rocprim17ROCPRIM_400000_NS6detail17trampoline_kernelINS0_14default_configENS1_20scan_config_selectorIjEEZZNS1_9scan_implILNS1_25lookback_scan_determinismE0ELb0ELb0ES3_N6thrust23THRUST_200600_302600_NS6detail15normal_iteratorINS9_10device_ptrIjEEEENS9_16discard_iteratorINS9_11use_defaultEEEj11max_functorIjEjEEDaPvRmT3_T4_T5_mT6_P12ihipStream_tbENKUlT_T0_E_clISt17integral_constantIbLb1EESX_EEDaSS_ST_EUlSS_E_NS1_11comp_targetILNS1_3genE10ELNS1_11target_archE1201ELNS1_3gpuE5ELNS1_3repE0EEENS1_30default_config_static_selectorELNS0_4arch9wavefront6targetE1EEEvT1_.kd
    .uniform_work_group_size: 1
    .uses_dynamic_stack: false
    .vgpr_count:     0
    .vgpr_spill_count: 0
    .wavefront_size: 64
  - .agpr_count:     0
    .args:
      - .offset:         0
        .size:           104
        .value_kind:     by_value
    .group_segment_fixed_size: 0
    .kernarg_segment_align: 8
    .kernarg_segment_size: 104
    .language:       OpenCL C
    .language_version:
      - 2
      - 0
    .max_flat_workgroup_size: 256
    .name:           _ZN7rocprim17ROCPRIM_400000_NS6detail17trampoline_kernelINS0_14default_configENS1_20scan_config_selectorIjEEZZNS1_9scan_implILNS1_25lookback_scan_determinismE0ELb0ELb0ES3_N6thrust23THRUST_200600_302600_NS6detail15normal_iteratorINS9_10device_ptrIjEEEENS9_16discard_iteratorINS9_11use_defaultEEEj11max_functorIjEjEEDaPvRmT3_T4_T5_mT6_P12ihipStream_tbENKUlT_T0_E_clISt17integral_constantIbLb1EESX_EEDaSS_ST_EUlSS_E_NS1_11comp_targetILNS1_3genE10ELNS1_11target_archE1200ELNS1_3gpuE4ELNS1_3repE0EEENS1_30default_config_static_selectorELNS0_4arch9wavefront6targetE1EEEvT1_
    .private_segment_fixed_size: 0
    .sgpr_count:     4
    .sgpr_spill_count: 0
    .symbol:         _ZN7rocprim17ROCPRIM_400000_NS6detail17trampoline_kernelINS0_14default_configENS1_20scan_config_selectorIjEEZZNS1_9scan_implILNS1_25lookback_scan_determinismE0ELb0ELb0ES3_N6thrust23THRUST_200600_302600_NS6detail15normal_iteratorINS9_10device_ptrIjEEEENS9_16discard_iteratorINS9_11use_defaultEEEj11max_functorIjEjEEDaPvRmT3_T4_T5_mT6_P12ihipStream_tbENKUlT_T0_E_clISt17integral_constantIbLb1EESX_EEDaSS_ST_EUlSS_E_NS1_11comp_targetILNS1_3genE10ELNS1_11target_archE1200ELNS1_3gpuE4ELNS1_3repE0EEENS1_30default_config_static_selectorELNS0_4arch9wavefront6targetE1EEEvT1_.kd
    .uniform_work_group_size: 1
    .uses_dynamic_stack: false
    .vgpr_count:     0
    .vgpr_spill_count: 0
    .wavefront_size: 64
  - .agpr_count:     0
    .args:
      - .offset:         0
        .size:           104
        .value_kind:     by_value
    .group_segment_fixed_size: 0
    .kernarg_segment_align: 8
    .kernarg_segment_size: 104
    .language:       OpenCL C
    .language_version:
      - 2
      - 0
    .max_flat_workgroup_size: 256
    .name:           _ZN7rocprim17ROCPRIM_400000_NS6detail17trampoline_kernelINS0_14default_configENS1_20scan_config_selectorIjEEZZNS1_9scan_implILNS1_25lookback_scan_determinismE0ELb0ELb0ES3_N6thrust23THRUST_200600_302600_NS6detail15normal_iteratorINS9_10device_ptrIjEEEENS9_16discard_iteratorINS9_11use_defaultEEEj11max_functorIjEjEEDaPvRmT3_T4_T5_mT6_P12ihipStream_tbENKUlT_T0_E_clISt17integral_constantIbLb1EESX_EEDaSS_ST_EUlSS_E_NS1_11comp_targetILNS1_3genE9ELNS1_11target_archE1100ELNS1_3gpuE3ELNS1_3repE0EEENS1_30default_config_static_selectorELNS0_4arch9wavefront6targetE1EEEvT1_
    .private_segment_fixed_size: 0
    .sgpr_count:     4
    .sgpr_spill_count: 0
    .symbol:         _ZN7rocprim17ROCPRIM_400000_NS6detail17trampoline_kernelINS0_14default_configENS1_20scan_config_selectorIjEEZZNS1_9scan_implILNS1_25lookback_scan_determinismE0ELb0ELb0ES3_N6thrust23THRUST_200600_302600_NS6detail15normal_iteratorINS9_10device_ptrIjEEEENS9_16discard_iteratorINS9_11use_defaultEEEj11max_functorIjEjEEDaPvRmT3_T4_T5_mT6_P12ihipStream_tbENKUlT_T0_E_clISt17integral_constantIbLb1EESX_EEDaSS_ST_EUlSS_E_NS1_11comp_targetILNS1_3genE9ELNS1_11target_archE1100ELNS1_3gpuE3ELNS1_3repE0EEENS1_30default_config_static_selectorELNS0_4arch9wavefront6targetE1EEEvT1_.kd
    .uniform_work_group_size: 1
    .uses_dynamic_stack: false
    .vgpr_count:     0
    .vgpr_spill_count: 0
    .wavefront_size: 64
  - .agpr_count:     0
    .args:
      - .offset:         0
        .size:           104
        .value_kind:     by_value
    .group_segment_fixed_size: 0
    .kernarg_segment_align: 8
    .kernarg_segment_size: 104
    .language:       OpenCL C
    .language_version:
      - 2
      - 0
    .max_flat_workgroup_size: 64
    .name:           _ZN7rocprim17ROCPRIM_400000_NS6detail17trampoline_kernelINS0_14default_configENS1_20scan_config_selectorIjEEZZNS1_9scan_implILNS1_25lookback_scan_determinismE0ELb0ELb0ES3_N6thrust23THRUST_200600_302600_NS6detail15normal_iteratorINS9_10device_ptrIjEEEENS9_16discard_iteratorINS9_11use_defaultEEEj11max_functorIjEjEEDaPvRmT3_T4_T5_mT6_P12ihipStream_tbENKUlT_T0_E_clISt17integral_constantIbLb1EESX_EEDaSS_ST_EUlSS_E_NS1_11comp_targetILNS1_3genE8ELNS1_11target_archE1030ELNS1_3gpuE2ELNS1_3repE0EEENS1_30default_config_static_selectorELNS0_4arch9wavefront6targetE1EEEvT1_
    .private_segment_fixed_size: 0
    .sgpr_count:     4
    .sgpr_spill_count: 0
    .symbol:         _ZN7rocprim17ROCPRIM_400000_NS6detail17trampoline_kernelINS0_14default_configENS1_20scan_config_selectorIjEEZZNS1_9scan_implILNS1_25lookback_scan_determinismE0ELb0ELb0ES3_N6thrust23THRUST_200600_302600_NS6detail15normal_iteratorINS9_10device_ptrIjEEEENS9_16discard_iteratorINS9_11use_defaultEEEj11max_functorIjEjEEDaPvRmT3_T4_T5_mT6_P12ihipStream_tbENKUlT_T0_E_clISt17integral_constantIbLb1EESX_EEDaSS_ST_EUlSS_E_NS1_11comp_targetILNS1_3genE8ELNS1_11target_archE1030ELNS1_3gpuE2ELNS1_3repE0EEENS1_30default_config_static_selectorELNS0_4arch9wavefront6targetE1EEEvT1_.kd
    .uniform_work_group_size: 1
    .uses_dynamic_stack: false
    .vgpr_count:     0
    .vgpr_spill_count: 0
    .wavefront_size: 64
  - .agpr_count:     0
    .args:
      - .offset:         0
        .size:           40
        .value_kind:     by_value
    .group_segment_fixed_size: 0
    .kernarg_segment_align: 8
    .kernarg_segment_size: 40
    .language:       OpenCL C
    .language_version:
      - 2
      - 0
    .max_flat_workgroup_size: 256
    .name:           _ZN7rocprim17ROCPRIM_400000_NS6detail17trampoline_kernelINS0_14default_configENS1_20scan_config_selectorIjEEZZNS1_9scan_implILNS1_25lookback_scan_determinismE0ELb0ELb0ES3_N6thrust23THRUST_200600_302600_NS6detail15normal_iteratorINS9_10device_ptrIjEEEENS9_16discard_iteratorINS9_11use_defaultEEEj11max_functorIjEjEEDaPvRmT3_T4_T5_mT6_P12ihipStream_tbENKUlT_T0_E_clISt17integral_constantIbLb1EESX_EEDaSS_ST_EUlSS_E0_NS1_11comp_targetILNS1_3genE0ELNS1_11target_archE4294967295ELNS1_3gpuE0ELNS1_3repE0EEENS1_30default_config_static_selectorELNS0_4arch9wavefront6targetE1EEEvT1_
    .private_segment_fixed_size: 0
    .sgpr_count:     4
    .sgpr_spill_count: 0
    .symbol:         _ZN7rocprim17ROCPRIM_400000_NS6detail17trampoline_kernelINS0_14default_configENS1_20scan_config_selectorIjEEZZNS1_9scan_implILNS1_25lookback_scan_determinismE0ELb0ELb0ES3_N6thrust23THRUST_200600_302600_NS6detail15normal_iteratorINS9_10device_ptrIjEEEENS9_16discard_iteratorINS9_11use_defaultEEEj11max_functorIjEjEEDaPvRmT3_T4_T5_mT6_P12ihipStream_tbENKUlT_T0_E_clISt17integral_constantIbLb1EESX_EEDaSS_ST_EUlSS_E0_NS1_11comp_targetILNS1_3genE0ELNS1_11target_archE4294967295ELNS1_3gpuE0ELNS1_3repE0EEENS1_30default_config_static_selectorELNS0_4arch9wavefront6targetE1EEEvT1_.kd
    .uniform_work_group_size: 1
    .uses_dynamic_stack: false
    .vgpr_count:     0
    .vgpr_spill_count: 0
    .wavefront_size: 64
  - .agpr_count:     0
    .args:
      - .offset:         0
        .size:           40
        .value_kind:     by_value
    .group_segment_fixed_size: 0
    .kernarg_segment_align: 8
    .kernarg_segment_size: 40
    .language:       OpenCL C
    .language_version:
      - 2
      - 0
    .max_flat_workgroup_size: 256
    .name:           _ZN7rocprim17ROCPRIM_400000_NS6detail17trampoline_kernelINS0_14default_configENS1_20scan_config_selectorIjEEZZNS1_9scan_implILNS1_25lookback_scan_determinismE0ELb0ELb0ES3_N6thrust23THRUST_200600_302600_NS6detail15normal_iteratorINS9_10device_ptrIjEEEENS9_16discard_iteratorINS9_11use_defaultEEEj11max_functorIjEjEEDaPvRmT3_T4_T5_mT6_P12ihipStream_tbENKUlT_T0_E_clISt17integral_constantIbLb1EESX_EEDaSS_ST_EUlSS_E0_NS1_11comp_targetILNS1_3genE5ELNS1_11target_archE942ELNS1_3gpuE9ELNS1_3repE0EEENS1_30default_config_static_selectorELNS0_4arch9wavefront6targetE1EEEvT1_
    .private_segment_fixed_size: 0
    .sgpr_count:     4
    .sgpr_spill_count: 0
    .symbol:         _ZN7rocprim17ROCPRIM_400000_NS6detail17trampoline_kernelINS0_14default_configENS1_20scan_config_selectorIjEEZZNS1_9scan_implILNS1_25lookback_scan_determinismE0ELb0ELb0ES3_N6thrust23THRUST_200600_302600_NS6detail15normal_iteratorINS9_10device_ptrIjEEEENS9_16discard_iteratorINS9_11use_defaultEEEj11max_functorIjEjEEDaPvRmT3_T4_T5_mT6_P12ihipStream_tbENKUlT_T0_E_clISt17integral_constantIbLb1EESX_EEDaSS_ST_EUlSS_E0_NS1_11comp_targetILNS1_3genE5ELNS1_11target_archE942ELNS1_3gpuE9ELNS1_3repE0EEENS1_30default_config_static_selectorELNS0_4arch9wavefront6targetE1EEEvT1_.kd
    .uniform_work_group_size: 1
    .uses_dynamic_stack: false
    .vgpr_count:     0
    .vgpr_spill_count: 0
    .wavefront_size: 64
  - .agpr_count:     0
    .args:
      - .offset:         0
        .size:           40
        .value_kind:     by_value
    .group_segment_fixed_size: 5120
    .kernarg_segment_align: 8
    .kernarg_segment_size: 40
    .language:       OpenCL C
    .language_version:
      - 2
      - 0
    .max_flat_workgroup_size: 128
    .name:           _ZN7rocprim17ROCPRIM_400000_NS6detail17trampoline_kernelINS0_14default_configENS1_20scan_config_selectorIjEEZZNS1_9scan_implILNS1_25lookback_scan_determinismE0ELb0ELb0ES3_N6thrust23THRUST_200600_302600_NS6detail15normal_iteratorINS9_10device_ptrIjEEEENS9_16discard_iteratorINS9_11use_defaultEEEj11max_functorIjEjEEDaPvRmT3_T4_T5_mT6_P12ihipStream_tbENKUlT_T0_E_clISt17integral_constantIbLb1EESX_EEDaSS_ST_EUlSS_E0_NS1_11comp_targetILNS1_3genE4ELNS1_11target_archE910ELNS1_3gpuE8ELNS1_3repE0EEENS1_30default_config_static_selectorELNS0_4arch9wavefront6targetE1EEEvT1_
    .private_segment_fixed_size: 0
    .sgpr_count:     10
    .sgpr_spill_count: 0
    .symbol:         _ZN7rocprim17ROCPRIM_400000_NS6detail17trampoline_kernelINS0_14default_configENS1_20scan_config_selectorIjEEZZNS1_9scan_implILNS1_25lookback_scan_determinismE0ELb0ELb0ES3_N6thrust23THRUST_200600_302600_NS6detail15normal_iteratorINS9_10device_ptrIjEEEENS9_16discard_iteratorINS9_11use_defaultEEEj11max_functorIjEjEEDaPvRmT3_T4_T5_mT6_P12ihipStream_tbENKUlT_T0_E_clISt17integral_constantIbLb1EESX_EEDaSS_ST_EUlSS_E0_NS1_11comp_targetILNS1_3genE4ELNS1_11target_archE910ELNS1_3gpuE8ELNS1_3repE0EEENS1_30default_config_static_selectorELNS0_4arch9wavefront6targetE1EEEvT1_.kd
    .uniform_work_group_size: 1
    .uses_dynamic_stack: false
    .vgpr_count:     27
    .vgpr_spill_count: 0
    .wavefront_size: 64
  - .agpr_count:     0
    .args:
      - .offset:         0
        .size:           40
        .value_kind:     by_value
    .group_segment_fixed_size: 0
    .kernarg_segment_align: 8
    .kernarg_segment_size: 40
    .language:       OpenCL C
    .language_version:
      - 2
      - 0
    .max_flat_workgroup_size: 256
    .name:           _ZN7rocprim17ROCPRIM_400000_NS6detail17trampoline_kernelINS0_14default_configENS1_20scan_config_selectorIjEEZZNS1_9scan_implILNS1_25lookback_scan_determinismE0ELb0ELb0ES3_N6thrust23THRUST_200600_302600_NS6detail15normal_iteratorINS9_10device_ptrIjEEEENS9_16discard_iteratorINS9_11use_defaultEEEj11max_functorIjEjEEDaPvRmT3_T4_T5_mT6_P12ihipStream_tbENKUlT_T0_E_clISt17integral_constantIbLb1EESX_EEDaSS_ST_EUlSS_E0_NS1_11comp_targetILNS1_3genE3ELNS1_11target_archE908ELNS1_3gpuE7ELNS1_3repE0EEENS1_30default_config_static_selectorELNS0_4arch9wavefront6targetE1EEEvT1_
    .private_segment_fixed_size: 0
    .sgpr_count:     4
    .sgpr_spill_count: 0
    .symbol:         _ZN7rocprim17ROCPRIM_400000_NS6detail17trampoline_kernelINS0_14default_configENS1_20scan_config_selectorIjEEZZNS1_9scan_implILNS1_25lookback_scan_determinismE0ELb0ELb0ES3_N6thrust23THRUST_200600_302600_NS6detail15normal_iteratorINS9_10device_ptrIjEEEENS9_16discard_iteratorINS9_11use_defaultEEEj11max_functorIjEjEEDaPvRmT3_T4_T5_mT6_P12ihipStream_tbENKUlT_T0_E_clISt17integral_constantIbLb1EESX_EEDaSS_ST_EUlSS_E0_NS1_11comp_targetILNS1_3genE3ELNS1_11target_archE908ELNS1_3gpuE7ELNS1_3repE0EEENS1_30default_config_static_selectorELNS0_4arch9wavefront6targetE1EEEvT1_.kd
    .uniform_work_group_size: 1
    .uses_dynamic_stack: false
    .vgpr_count:     0
    .vgpr_spill_count: 0
    .wavefront_size: 64
  - .agpr_count:     0
    .args:
      - .offset:         0
        .size:           40
        .value_kind:     by_value
    .group_segment_fixed_size: 0
    .kernarg_segment_align: 8
    .kernarg_segment_size: 40
    .language:       OpenCL C
    .language_version:
      - 2
      - 0
    .max_flat_workgroup_size: 256
    .name:           _ZN7rocprim17ROCPRIM_400000_NS6detail17trampoline_kernelINS0_14default_configENS1_20scan_config_selectorIjEEZZNS1_9scan_implILNS1_25lookback_scan_determinismE0ELb0ELb0ES3_N6thrust23THRUST_200600_302600_NS6detail15normal_iteratorINS9_10device_ptrIjEEEENS9_16discard_iteratorINS9_11use_defaultEEEj11max_functorIjEjEEDaPvRmT3_T4_T5_mT6_P12ihipStream_tbENKUlT_T0_E_clISt17integral_constantIbLb1EESX_EEDaSS_ST_EUlSS_E0_NS1_11comp_targetILNS1_3genE2ELNS1_11target_archE906ELNS1_3gpuE6ELNS1_3repE0EEENS1_30default_config_static_selectorELNS0_4arch9wavefront6targetE1EEEvT1_
    .private_segment_fixed_size: 0
    .sgpr_count:     4
    .sgpr_spill_count: 0
    .symbol:         _ZN7rocprim17ROCPRIM_400000_NS6detail17trampoline_kernelINS0_14default_configENS1_20scan_config_selectorIjEEZZNS1_9scan_implILNS1_25lookback_scan_determinismE0ELb0ELb0ES3_N6thrust23THRUST_200600_302600_NS6detail15normal_iteratorINS9_10device_ptrIjEEEENS9_16discard_iteratorINS9_11use_defaultEEEj11max_functorIjEjEEDaPvRmT3_T4_T5_mT6_P12ihipStream_tbENKUlT_T0_E_clISt17integral_constantIbLb1EESX_EEDaSS_ST_EUlSS_E0_NS1_11comp_targetILNS1_3genE2ELNS1_11target_archE906ELNS1_3gpuE6ELNS1_3repE0EEENS1_30default_config_static_selectorELNS0_4arch9wavefront6targetE1EEEvT1_.kd
    .uniform_work_group_size: 1
    .uses_dynamic_stack: false
    .vgpr_count:     0
    .vgpr_spill_count: 0
    .wavefront_size: 64
  - .agpr_count:     0
    .args:
      - .offset:         0
        .size:           40
        .value_kind:     by_value
    .group_segment_fixed_size: 0
    .kernarg_segment_align: 8
    .kernarg_segment_size: 40
    .language:       OpenCL C
    .language_version:
      - 2
      - 0
    .max_flat_workgroup_size: 256
    .name:           _ZN7rocprim17ROCPRIM_400000_NS6detail17trampoline_kernelINS0_14default_configENS1_20scan_config_selectorIjEEZZNS1_9scan_implILNS1_25lookback_scan_determinismE0ELb0ELb0ES3_N6thrust23THRUST_200600_302600_NS6detail15normal_iteratorINS9_10device_ptrIjEEEENS9_16discard_iteratorINS9_11use_defaultEEEj11max_functorIjEjEEDaPvRmT3_T4_T5_mT6_P12ihipStream_tbENKUlT_T0_E_clISt17integral_constantIbLb1EESX_EEDaSS_ST_EUlSS_E0_NS1_11comp_targetILNS1_3genE10ELNS1_11target_archE1201ELNS1_3gpuE5ELNS1_3repE0EEENS1_30default_config_static_selectorELNS0_4arch9wavefront6targetE1EEEvT1_
    .private_segment_fixed_size: 0
    .sgpr_count:     4
    .sgpr_spill_count: 0
    .symbol:         _ZN7rocprim17ROCPRIM_400000_NS6detail17trampoline_kernelINS0_14default_configENS1_20scan_config_selectorIjEEZZNS1_9scan_implILNS1_25lookback_scan_determinismE0ELb0ELb0ES3_N6thrust23THRUST_200600_302600_NS6detail15normal_iteratorINS9_10device_ptrIjEEEENS9_16discard_iteratorINS9_11use_defaultEEEj11max_functorIjEjEEDaPvRmT3_T4_T5_mT6_P12ihipStream_tbENKUlT_T0_E_clISt17integral_constantIbLb1EESX_EEDaSS_ST_EUlSS_E0_NS1_11comp_targetILNS1_3genE10ELNS1_11target_archE1201ELNS1_3gpuE5ELNS1_3repE0EEENS1_30default_config_static_selectorELNS0_4arch9wavefront6targetE1EEEvT1_.kd
    .uniform_work_group_size: 1
    .uses_dynamic_stack: false
    .vgpr_count:     0
    .vgpr_spill_count: 0
    .wavefront_size: 64
  - .agpr_count:     0
    .args:
      - .offset:         0
        .size:           40
        .value_kind:     by_value
    .group_segment_fixed_size: 0
    .kernarg_segment_align: 8
    .kernarg_segment_size: 40
    .language:       OpenCL C
    .language_version:
      - 2
      - 0
    .max_flat_workgroup_size: 256
    .name:           _ZN7rocprim17ROCPRIM_400000_NS6detail17trampoline_kernelINS0_14default_configENS1_20scan_config_selectorIjEEZZNS1_9scan_implILNS1_25lookback_scan_determinismE0ELb0ELb0ES3_N6thrust23THRUST_200600_302600_NS6detail15normal_iteratorINS9_10device_ptrIjEEEENS9_16discard_iteratorINS9_11use_defaultEEEj11max_functorIjEjEEDaPvRmT3_T4_T5_mT6_P12ihipStream_tbENKUlT_T0_E_clISt17integral_constantIbLb1EESX_EEDaSS_ST_EUlSS_E0_NS1_11comp_targetILNS1_3genE10ELNS1_11target_archE1200ELNS1_3gpuE4ELNS1_3repE0EEENS1_30default_config_static_selectorELNS0_4arch9wavefront6targetE1EEEvT1_
    .private_segment_fixed_size: 0
    .sgpr_count:     4
    .sgpr_spill_count: 0
    .symbol:         _ZN7rocprim17ROCPRIM_400000_NS6detail17trampoline_kernelINS0_14default_configENS1_20scan_config_selectorIjEEZZNS1_9scan_implILNS1_25lookback_scan_determinismE0ELb0ELb0ES3_N6thrust23THRUST_200600_302600_NS6detail15normal_iteratorINS9_10device_ptrIjEEEENS9_16discard_iteratorINS9_11use_defaultEEEj11max_functorIjEjEEDaPvRmT3_T4_T5_mT6_P12ihipStream_tbENKUlT_T0_E_clISt17integral_constantIbLb1EESX_EEDaSS_ST_EUlSS_E0_NS1_11comp_targetILNS1_3genE10ELNS1_11target_archE1200ELNS1_3gpuE4ELNS1_3repE0EEENS1_30default_config_static_selectorELNS0_4arch9wavefront6targetE1EEEvT1_.kd
    .uniform_work_group_size: 1
    .uses_dynamic_stack: false
    .vgpr_count:     0
    .vgpr_spill_count: 0
    .wavefront_size: 64
  - .agpr_count:     0
    .args:
      - .offset:         0
        .size:           40
        .value_kind:     by_value
    .group_segment_fixed_size: 0
    .kernarg_segment_align: 8
    .kernarg_segment_size: 40
    .language:       OpenCL C
    .language_version:
      - 2
      - 0
    .max_flat_workgroup_size: 256
    .name:           _ZN7rocprim17ROCPRIM_400000_NS6detail17trampoline_kernelINS0_14default_configENS1_20scan_config_selectorIjEEZZNS1_9scan_implILNS1_25lookback_scan_determinismE0ELb0ELb0ES3_N6thrust23THRUST_200600_302600_NS6detail15normal_iteratorINS9_10device_ptrIjEEEENS9_16discard_iteratorINS9_11use_defaultEEEj11max_functorIjEjEEDaPvRmT3_T4_T5_mT6_P12ihipStream_tbENKUlT_T0_E_clISt17integral_constantIbLb1EESX_EEDaSS_ST_EUlSS_E0_NS1_11comp_targetILNS1_3genE9ELNS1_11target_archE1100ELNS1_3gpuE3ELNS1_3repE0EEENS1_30default_config_static_selectorELNS0_4arch9wavefront6targetE1EEEvT1_
    .private_segment_fixed_size: 0
    .sgpr_count:     4
    .sgpr_spill_count: 0
    .symbol:         _ZN7rocprim17ROCPRIM_400000_NS6detail17trampoline_kernelINS0_14default_configENS1_20scan_config_selectorIjEEZZNS1_9scan_implILNS1_25lookback_scan_determinismE0ELb0ELb0ES3_N6thrust23THRUST_200600_302600_NS6detail15normal_iteratorINS9_10device_ptrIjEEEENS9_16discard_iteratorINS9_11use_defaultEEEj11max_functorIjEjEEDaPvRmT3_T4_T5_mT6_P12ihipStream_tbENKUlT_T0_E_clISt17integral_constantIbLb1EESX_EEDaSS_ST_EUlSS_E0_NS1_11comp_targetILNS1_3genE9ELNS1_11target_archE1100ELNS1_3gpuE3ELNS1_3repE0EEENS1_30default_config_static_selectorELNS0_4arch9wavefront6targetE1EEEvT1_.kd
    .uniform_work_group_size: 1
    .uses_dynamic_stack: false
    .vgpr_count:     0
    .vgpr_spill_count: 0
    .wavefront_size: 64
  - .agpr_count:     0
    .args:
      - .offset:         0
        .size:           40
        .value_kind:     by_value
    .group_segment_fixed_size: 0
    .kernarg_segment_align: 8
    .kernarg_segment_size: 40
    .language:       OpenCL C
    .language_version:
      - 2
      - 0
    .max_flat_workgroup_size: 64
    .name:           _ZN7rocprim17ROCPRIM_400000_NS6detail17trampoline_kernelINS0_14default_configENS1_20scan_config_selectorIjEEZZNS1_9scan_implILNS1_25lookback_scan_determinismE0ELb0ELb0ES3_N6thrust23THRUST_200600_302600_NS6detail15normal_iteratorINS9_10device_ptrIjEEEENS9_16discard_iteratorINS9_11use_defaultEEEj11max_functorIjEjEEDaPvRmT3_T4_T5_mT6_P12ihipStream_tbENKUlT_T0_E_clISt17integral_constantIbLb1EESX_EEDaSS_ST_EUlSS_E0_NS1_11comp_targetILNS1_3genE8ELNS1_11target_archE1030ELNS1_3gpuE2ELNS1_3repE0EEENS1_30default_config_static_selectorELNS0_4arch9wavefront6targetE1EEEvT1_
    .private_segment_fixed_size: 0
    .sgpr_count:     4
    .sgpr_spill_count: 0
    .symbol:         _ZN7rocprim17ROCPRIM_400000_NS6detail17trampoline_kernelINS0_14default_configENS1_20scan_config_selectorIjEEZZNS1_9scan_implILNS1_25lookback_scan_determinismE0ELb0ELb0ES3_N6thrust23THRUST_200600_302600_NS6detail15normal_iteratorINS9_10device_ptrIjEEEENS9_16discard_iteratorINS9_11use_defaultEEEj11max_functorIjEjEEDaPvRmT3_T4_T5_mT6_P12ihipStream_tbENKUlT_T0_E_clISt17integral_constantIbLb1EESX_EEDaSS_ST_EUlSS_E0_NS1_11comp_targetILNS1_3genE8ELNS1_11target_archE1030ELNS1_3gpuE2ELNS1_3repE0EEENS1_30default_config_static_selectorELNS0_4arch9wavefront6targetE1EEEvT1_.kd
    .uniform_work_group_size: 1
    .uses_dynamic_stack: false
    .vgpr_count:     0
    .vgpr_spill_count: 0
    .wavefront_size: 64
  - .agpr_count:     0
    .args:
      - .offset:         0
        .size:           104
        .value_kind:     by_value
    .group_segment_fixed_size: 0
    .kernarg_segment_align: 8
    .kernarg_segment_size: 104
    .language:       OpenCL C
    .language_version:
      - 2
      - 0
    .max_flat_workgroup_size: 256
    .name:           _ZN7rocprim17ROCPRIM_400000_NS6detail17trampoline_kernelINS0_14default_configENS1_20scan_config_selectorIjEEZZNS1_9scan_implILNS1_25lookback_scan_determinismE0ELb0ELb0ES3_N6thrust23THRUST_200600_302600_NS6detail15normal_iteratorINS9_10device_ptrIjEEEENS9_16discard_iteratorINS9_11use_defaultEEEj11max_functorIjEjEEDaPvRmT3_T4_T5_mT6_P12ihipStream_tbENKUlT_T0_E_clISt17integral_constantIbLb1EESW_IbLb0EEEEDaSS_ST_EUlSS_E_NS1_11comp_targetILNS1_3genE0ELNS1_11target_archE4294967295ELNS1_3gpuE0ELNS1_3repE0EEENS1_30default_config_static_selectorELNS0_4arch9wavefront6targetE1EEEvT1_
    .private_segment_fixed_size: 0
    .sgpr_count:     4
    .sgpr_spill_count: 0
    .symbol:         _ZN7rocprim17ROCPRIM_400000_NS6detail17trampoline_kernelINS0_14default_configENS1_20scan_config_selectorIjEEZZNS1_9scan_implILNS1_25lookback_scan_determinismE0ELb0ELb0ES3_N6thrust23THRUST_200600_302600_NS6detail15normal_iteratorINS9_10device_ptrIjEEEENS9_16discard_iteratorINS9_11use_defaultEEEj11max_functorIjEjEEDaPvRmT3_T4_T5_mT6_P12ihipStream_tbENKUlT_T0_E_clISt17integral_constantIbLb1EESW_IbLb0EEEEDaSS_ST_EUlSS_E_NS1_11comp_targetILNS1_3genE0ELNS1_11target_archE4294967295ELNS1_3gpuE0ELNS1_3repE0EEENS1_30default_config_static_selectorELNS0_4arch9wavefront6targetE1EEEvT1_.kd
    .uniform_work_group_size: 1
    .uses_dynamic_stack: false
    .vgpr_count:     0
    .vgpr_spill_count: 0
    .wavefront_size: 64
  - .agpr_count:     0
    .args:
      - .offset:         0
        .size:           104
        .value_kind:     by_value
    .group_segment_fixed_size: 0
    .kernarg_segment_align: 8
    .kernarg_segment_size: 104
    .language:       OpenCL C
    .language_version:
      - 2
      - 0
    .max_flat_workgroup_size: 256
    .name:           _ZN7rocprim17ROCPRIM_400000_NS6detail17trampoline_kernelINS0_14default_configENS1_20scan_config_selectorIjEEZZNS1_9scan_implILNS1_25lookback_scan_determinismE0ELb0ELb0ES3_N6thrust23THRUST_200600_302600_NS6detail15normal_iteratorINS9_10device_ptrIjEEEENS9_16discard_iteratorINS9_11use_defaultEEEj11max_functorIjEjEEDaPvRmT3_T4_T5_mT6_P12ihipStream_tbENKUlT_T0_E_clISt17integral_constantIbLb1EESW_IbLb0EEEEDaSS_ST_EUlSS_E_NS1_11comp_targetILNS1_3genE5ELNS1_11target_archE942ELNS1_3gpuE9ELNS1_3repE0EEENS1_30default_config_static_selectorELNS0_4arch9wavefront6targetE1EEEvT1_
    .private_segment_fixed_size: 0
    .sgpr_count:     4
    .sgpr_spill_count: 0
    .symbol:         _ZN7rocprim17ROCPRIM_400000_NS6detail17trampoline_kernelINS0_14default_configENS1_20scan_config_selectorIjEEZZNS1_9scan_implILNS1_25lookback_scan_determinismE0ELb0ELb0ES3_N6thrust23THRUST_200600_302600_NS6detail15normal_iteratorINS9_10device_ptrIjEEEENS9_16discard_iteratorINS9_11use_defaultEEEj11max_functorIjEjEEDaPvRmT3_T4_T5_mT6_P12ihipStream_tbENKUlT_T0_E_clISt17integral_constantIbLb1EESW_IbLb0EEEEDaSS_ST_EUlSS_E_NS1_11comp_targetILNS1_3genE5ELNS1_11target_archE942ELNS1_3gpuE9ELNS1_3repE0EEENS1_30default_config_static_selectorELNS0_4arch9wavefront6targetE1EEEvT1_.kd
    .uniform_work_group_size: 1
    .uses_dynamic_stack: false
    .vgpr_count:     0
    .vgpr_spill_count: 0
    .wavefront_size: 64
  - .agpr_count:     0
    .args:
      - .offset:         0
        .size:           104
        .value_kind:     by_value
    .group_segment_fixed_size: 5120
    .kernarg_segment_align: 8
    .kernarg_segment_size: 104
    .language:       OpenCL C
    .language_version:
      - 2
      - 0
    .max_flat_workgroup_size: 128
    .name:           _ZN7rocprim17ROCPRIM_400000_NS6detail17trampoline_kernelINS0_14default_configENS1_20scan_config_selectorIjEEZZNS1_9scan_implILNS1_25lookback_scan_determinismE0ELb0ELb0ES3_N6thrust23THRUST_200600_302600_NS6detail15normal_iteratorINS9_10device_ptrIjEEEENS9_16discard_iteratorINS9_11use_defaultEEEj11max_functorIjEjEEDaPvRmT3_T4_T5_mT6_P12ihipStream_tbENKUlT_T0_E_clISt17integral_constantIbLb1EESW_IbLb0EEEEDaSS_ST_EUlSS_E_NS1_11comp_targetILNS1_3genE4ELNS1_11target_archE910ELNS1_3gpuE8ELNS1_3repE0EEENS1_30default_config_static_selectorELNS0_4arch9wavefront6targetE1EEEvT1_
    .private_segment_fixed_size: 0
    .sgpr_count:     26
    .sgpr_spill_count: 0
    .symbol:         _ZN7rocprim17ROCPRIM_400000_NS6detail17trampoline_kernelINS0_14default_configENS1_20scan_config_selectorIjEEZZNS1_9scan_implILNS1_25lookback_scan_determinismE0ELb0ELb0ES3_N6thrust23THRUST_200600_302600_NS6detail15normal_iteratorINS9_10device_ptrIjEEEENS9_16discard_iteratorINS9_11use_defaultEEEj11max_functorIjEjEEDaPvRmT3_T4_T5_mT6_P12ihipStream_tbENKUlT_T0_E_clISt17integral_constantIbLb1EESW_IbLb0EEEEDaSS_ST_EUlSS_E_NS1_11comp_targetILNS1_3genE4ELNS1_11target_archE910ELNS1_3gpuE8ELNS1_3repE0EEENS1_30default_config_static_selectorELNS0_4arch9wavefront6targetE1EEEvT1_.kd
    .uniform_work_group_size: 1
    .uses_dynamic_stack: false
    .vgpr_count:     39
    .vgpr_spill_count: 0
    .wavefront_size: 64
  - .agpr_count:     0
    .args:
      - .offset:         0
        .size:           104
        .value_kind:     by_value
    .group_segment_fixed_size: 0
    .kernarg_segment_align: 8
    .kernarg_segment_size: 104
    .language:       OpenCL C
    .language_version:
      - 2
      - 0
    .max_flat_workgroup_size: 256
    .name:           _ZN7rocprim17ROCPRIM_400000_NS6detail17trampoline_kernelINS0_14default_configENS1_20scan_config_selectorIjEEZZNS1_9scan_implILNS1_25lookback_scan_determinismE0ELb0ELb0ES3_N6thrust23THRUST_200600_302600_NS6detail15normal_iteratorINS9_10device_ptrIjEEEENS9_16discard_iteratorINS9_11use_defaultEEEj11max_functorIjEjEEDaPvRmT3_T4_T5_mT6_P12ihipStream_tbENKUlT_T0_E_clISt17integral_constantIbLb1EESW_IbLb0EEEEDaSS_ST_EUlSS_E_NS1_11comp_targetILNS1_3genE3ELNS1_11target_archE908ELNS1_3gpuE7ELNS1_3repE0EEENS1_30default_config_static_selectorELNS0_4arch9wavefront6targetE1EEEvT1_
    .private_segment_fixed_size: 0
    .sgpr_count:     4
    .sgpr_spill_count: 0
    .symbol:         _ZN7rocprim17ROCPRIM_400000_NS6detail17trampoline_kernelINS0_14default_configENS1_20scan_config_selectorIjEEZZNS1_9scan_implILNS1_25lookback_scan_determinismE0ELb0ELb0ES3_N6thrust23THRUST_200600_302600_NS6detail15normal_iteratorINS9_10device_ptrIjEEEENS9_16discard_iteratorINS9_11use_defaultEEEj11max_functorIjEjEEDaPvRmT3_T4_T5_mT6_P12ihipStream_tbENKUlT_T0_E_clISt17integral_constantIbLb1EESW_IbLb0EEEEDaSS_ST_EUlSS_E_NS1_11comp_targetILNS1_3genE3ELNS1_11target_archE908ELNS1_3gpuE7ELNS1_3repE0EEENS1_30default_config_static_selectorELNS0_4arch9wavefront6targetE1EEEvT1_.kd
    .uniform_work_group_size: 1
    .uses_dynamic_stack: false
    .vgpr_count:     0
    .vgpr_spill_count: 0
    .wavefront_size: 64
  - .agpr_count:     0
    .args:
      - .offset:         0
        .size:           104
        .value_kind:     by_value
    .group_segment_fixed_size: 0
    .kernarg_segment_align: 8
    .kernarg_segment_size: 104
    .language:       OpenCL C
    .language_version:
      - 2
      - 0
    .max_flat_workgroup_size: 256
    .name:           _ZN7rocprim17ROCPRIM_400000_NS6detail17trampoline_kernelINS0_14default_configENS1_20scan_config_selectorIjEEZZNS1_9scan_implILNS1_25lookback_scan_determinismE0ELb0ELb0ES3_N6thrust23THRUST_200600_302600_NS6detail15normal_iteratorINS9_10device_ptrIjEEEENS9_16discard_iteratorINS9_11use_defaultEEEj11max_functorIjEjEEDaPvRmT3_T4_T5_mT6_P12ihipStream_tbENKUlT_T0_E_clISt17integral_constantIbLb1EESW_IbLb0EEEEDaSS_ST_EUlSS_E_NS1_11comp_targetILNS1_3genE2ELNS1_11target_archE906ELNS1_3gpuE6ELNS1_3repE0EEENS1_30default_config_static_selectorELNS0_4arch9wavefront6targetE1EEEvT1_
    .private_segment_fixed_size: 0
    .sgpr_count:     4
    .sgpr_spill_count: 0
    .symbol:         _ZN7rocprim17ROCPRIM_400000_NS6detail17trampoline_kernelINS0_14default_configENS1_20scan_config_selectorIjEEZZNS1_9scan_implILNS1_25lookback_scan_determinismE0ELb0ELb0ES3_N6thrust23THRUST_200600_302600_NS6detail15normal_iteratorINS9_10device_ptrIjEEEENS9_16discard_iteratorINS9_11use_defaultEEEj11max_functorIjEjEEDaPvRmT3_T4_T5_mT6_P12ihipStream_tbENKUlT_T0_E_clISt17integral_constantIbLb1EESW_IbLb0EEEEDaSS_ST_EUlSS_E_NS1_11comp_targetILNS1_3genE2ELNS1_11target_archE906ELNS1_3gpuE6ELNS1_3repE0EEENS1_30default_config_static_selectorELNS0_4arch9wavefront6targetE1EEEvT1_.kd
    .uniform_work_group_size: 1
    .uses_dynamic_stack: false
    .vgpr_count:     0
    .vgpr_spill_count: 0
    .wavefront_size: 64
  - .agpr_count:     0
    .args:
      - .offset:         0
        .size:           104
        .value_kind:     by_value
    .group_segment_fixed_size: 0
    .kernarg_segment_align: 8
    .kernarg_segment_size: 104
    .language:       OpenCL C
    .language_version:
      - 2
      - 0
    .max_flat_workgroup_size: 256
    .name:           _ZN7rocprim17ROCPRIM_400000_NS6detail17trampoline_kernelINS0_14default_configENS1_20scan_config_selectorIjEEZZNS1_9scan_implILNS1_25lookback_scan_determinismE0ELb0ELb0ES3_N6thrust23THRUST_200600_302600_NS6detail15normal_iteratorINS9_10device_ptrIjEEEENS9_16discard_iteratorINS9_11use_defaultEEEj11max_functorIjEjEEDaPvRmT3_T4_T5_mT6_P12ihipStream_tbENKUlT_T0_E_clISt17integral_constantIbLb1EESW_IbLb0EEEEDaSS_ST_EUlSS_E_NS1_11comp_targetILNS1_3genE10ELNS1_11target_archE1201ELNS1_3gpuE5ELNS1_3repE0EEENS1_30default_config_static_selectorELNS0_4arch9wavefront6targetE1EEEvT1_
    .private_segment_fixed_size: 0
    .sgpr_count:     4
    .sgpr_spill_count: 0
    .symbol:         _ZN7rocprim17ROCPRIM_400000_NS6detail17trampoline_kernelINS0_14default_configENS1_20scan_config_selectorIjEEZZNS1_9scan_implILNS1_25lookback_scan_determinismE0ELb0ELb0ES3_N6thrust23THRUST_200600_302600_NS6detail15normal_iteratorINS9_10device_ptrIjEEEENS9_16discard_iteratorINS9_11use_defaultEEEj11max_functorIjEjEEDaPvRmT3_T4_T5_mT6_P12ihipStream_tbENKUlT_T0_E_clISt17integral_constantIbLb1EESW_IbLb0EEEEDaSS_ST_EUlSS_E_NS1_11comp_targetILNS1_3genE10ELNS1_11target_archE1201ELNS1_3gpuE5ELNS1_3repE0EEENS1_30default_config_static_selectorELNS0_4arch9wavefront6targetE1EEEvT1_.kd
    .uniform_work_group_size: 1
    .uses_dynamic_stack: false
    .vgpr_count:     0
    .vgpr_spill_count: 0
    .wavefront_size: 64
  - .agpr_count:     0
    .args:
      - .offset:         0
        .size:           104
        .value_kind:     by_value
    .group_segment_fixed_size: 0
    .kernarg_segment_align: 8
    .kernarg_segment_size: 104
    .language:       OpenCL C
    .language_version:
      - 2
      - 0
    .max_flat_workgroup_size: 256
    .name:           _ZN7rocprim17ROCPRIM_400000_NS6detail17trampoline_kernelINS0_14default_configENS1_20scan_config_selectorIjEEZZNS1_9scan_implILNS1_25lookback_scan_determinismE0ELb0ELb0ES3_N6thrust23THRUST_200600_302600_NS6detail15normal_iteratorINS9_10device_ptrIjEEEENS9_16discard_iteratorINS9_11use_defaultEEEj11max_functorIjEjEEDaPvRmT3_T4_T5_mT6_P12ihipStream_tbENKUlT_T0_E_clISt17integral_constantIbLb1EESW_IbLb0EEEEDaSS_ST_EUlSS_E_NS1_11comp_targetILNS1_3genE10ELNS1_11target_archE1200ELNS1_3gpuE4ELNS1_3repE0EEENS1_30default_config_static_selectorELNS0_4arch9wavefront6targetE1EEEvT1_
    .private_segment_fixed_size: 0
    .sgpr_count:     4
    .sgpr_spill_count: 0
    .symbol:         _ZN7rocprim17ROCPRIM_400000_NS6detail17trampoline_kernelINS0_14default_configENS1_20scan_config_selectorIjEEZZNS1_9scan_implILNS1_25lookback_scan_determinismE0ELb0ELb0ES3_N6thrust23THRUST_200600_302600_NS6detail15normal_iteratorINS9_10device_ptrIjEEEENS9_16discard_iteratorINS9_11use_defaultEEEj11max_functorIjEjEEDaPvRmT3_T4_T5_mT6_P12ihipStream_tbENKUlT_T0_E_clISt17integral_constantIbLb1EESW_IbLb0EEEEDaSS_ST_EUlSS_E_NS1_11comp_targetILNS1_3genE10ELNS1_11target_archE1200ELNS1_3gpuE4ELNS1_3repE0EEENS1_30default_config_static_selectorELNS0_4arch9wavefront6targetE1EEEvT1_.kd
    .uniform_work_group_size: 1
    .uses_dynamic_stack: false
    .vgpr_count:     0
    .vgpr_spill_count: 0
    .wavefront_size: 64
  - .agpr_count:     0
    .args:
      - .offset:         0
        .size:           104
        .value_kind:     by_value
    .group_segment_fixed_size: 0
    .kernarg_segment_align: 8
    .kernarg_segment_size: 104
    .language:       OpenCL C
    .language_version:
      - 2
      - 0
    .max_flat_workgroup_size: 256
    .name:           _ZN7rocprim17ROCPRIM_400000_NS6detail17trampoline_kernelINS0_14default_configENS1_20scan_config_selectorIjEEZZNS1_9scan_implILNS1_25lookback_scan_determinismE0ELb0ELb0ES3_N6thrust23THRUST_200600_302600_NS6detail15normal_iteratorINS9_10device_ptrIjEEEENS9_16discard_iteratorINS9_11use_defaultEEEj11max_functorIjEjEEDaPvRmT3_T4_T5_mT6_P12ihipStream_tbENKUlT_T0_E_clISt17integral_constantIbLb1EESW_IbLb0EEEEDaSS_ST_EUlSS_E_NS1_11comp_targetILNS1_3genE9ELNS1_11target_archE1100ELNS1_3gpuE3ELNS1_3repE0EEENS1_30default_config_static_selectorELNS0_4arch9wavefront6targetE1EEEvT1_
    .private_segment_fixed_size: 0
    .sgpr_count:     4
    .sgpr_spill_count: 0
    .symbol:         _ZN7rocprim17ROCPRIM_400000_NS6detail17trampoline_kernelINS0_14default_configENS1_20scan_config_selectorIjEEZZNS1_9scan_implILNS1_25lookback_scan_determinismE0ELb0ELb0ES3_N6thrust23THRUST_200600_302600_NS6detail15normal_iteratorINS9_10device_ptrIjEEEENS9_16discard_iteratorINS9_11use_defaultEEEj11max_functorIjEjEEDaPvRmT3_T4_T5_mT6_P12ihipStream_tbENKUlT_T0_E_clISt17integral_constantIbLb1EESW_IbLb0EEEEDaSS_ST_EUlSS_E_NS1_11comp_targetILNS1_3genE9ELNS1_11target_archE1100ELNS1_3gpuE3ELNS1_3repE0EEENS1_30default_config_static_selectorELNS0_4arch9wavefront6targetE1EEEvT1_.kd
    .uniform_work_group_size: 1
    .uses_dynamic_stack: false
    .vgpr_count:     0
    .vgpr_spill_count: 0
    .wavefront_size: 64
  - .agpr_count:     0
    .args:
      - .offset:         0
        .size:           104
        .value_kind:     by_value
    .group_segment_fixed_size: 0
    .kernarg_segment_align: 8
    .kernarg_segment_size: 104
    .language:       OpenCL C
    .language_version:
      - 2
      - 0
    .max_flat_workgroup_size: 64
    .name:           _ZN7rocprim17ROCPRIM_400000_NS6detail17trampoline_kernelINS0_14default_configENS1_20scan_config_selectorIjEEZZNS1_9scan_implILNS1_25lookback_scan_determinismE0ELb0ELb0ES3_N6thrust23THRUST_200600_302600_NS6detail15normal_iteratorINS9_10device_ptrIjEEEENS9_16discard_iteratorINS9_11use_defaultEEEj11max_functorIjEjEEDaPvRmT3_T4_T5_mT6_P12ihipStream_tbENKUlT_T0_E_clISt17integral_constantIbLb1EESW_IbLb0EEEEDaSS_ST_EUlSS_E_NS1_11comp_targetILNS1_3genE8ELNS1_11target_archE1030ELNS1_3gpuE2ELNS1_3repE0EEENS1_30default_config_static_selectorELNS0_4arch9wavefront6targetE1EEEvT1_
    .private_segment_fixed_size: 0
    .sgpr_count:     4
    .sgpr_spill_count: 0
    .symbol:         _ZN7rocprim17ROCPRIM_400000_NS6detail17trampoline_kernelINS0_14default_configENS1_20scan_config_selectorIjEEZZNS1_9scan_implILNS1_25lookback_scan_determinismE0ELb0ELb0ES3_N6thrust23THRUST_200600_302600_NS6detail15normal_iteratorINS9_10device_ptrIjEEEENS9_16discard_iteratorINS9_11use_defaultEEEj11max_functorIjEjEEDaPvRmT3_T4_T5_mT6_P12ihipStream_tbENKUlT_T0_E_clISt17integral_constantIbLb1EESW_IbLb0EEEEDaSS_ST_EUlSS_E_NS1_11comp_targetILNS1_3genE8ELNS1_11target_archE1030ELNS1_3gpuE2ELNS1_3repE0EEENS1_30default_config_static_selectorELNS0_4arch9wavefront6targetE1EEEvT1_.kd
    .uniform_work_group_size: 1
    .uses_dynamic_stack: false
    .vgpr_count:     0
    .vgpr_spill_count: 0
    .wavefront_size: 64
  - .agpr_count:     0
    .args:
      - .offset:         0
        .size:           40
        .value_kind:     by_value
    .group_segment_fixed_size: 0
    .kernarg_segment_align: 8
    .kernarg_segment_size: 40
    .language:       OpenCL C
    .language_version:
      - 2
      - 0
    .max_flat_workgroup_size: 256
    .name:           _ZN7rocprim17ROCPRIM_400000_NS6detail17trampoline_kernelINS0_14default_configENS1_20scan_config_selectorIjEEZZNS1_9scan_implILNS1_25lookback_scan_determinismE0ELb0ELb0ES3_N6thrust23THRUST_200600_302600_NS6detail15normal_iteratorINS9_10device_ptrIjEEEENS9_16discard_iteratorINS9_11use_defaultEEEj11max_functorIjEjEEDaPvRmT3_T4_T5_mT6_P12ihipStream_tbENKUlT_T0_E_clISt17integral_constantIbLb1EESW_IbLb0EEEEDaSS_ST_EUlSS_E0_NS1_11comp_targetILNS1_3genE0ELNS1_11target_archE4294967295ELNS1_3gpuE0ELNS1_3repE0EEENS1_30default_config_static_selectorELNS0_4arch9wavefront6targetE1EEEvT1_
    .private_segment_fixed_size: 0
    .sgpr_count:     4
    .sgpr_spill_count: 0
    .symbol:         _ZN7rocprim17ROCPRIM_400000_NS6detail17trampoline_kernelINS0_14default_configENS1_20scan_config_selectorIjEEZZNS1_9scan_implILNS1_25lookback_scan_determinismE0ELb0ELb0ES3_N6thrust23THRUST_200600_302600_NS6detail15normal_iteratorINS9_10device_ptrIjEEEENS9_16discard_iteratorINS9_11use_defaultEEEj11max_functorIjEjEEDaPvRmT3_T4_T5_mT6_P12ihipStream_tbENKUlT_T0_E_clISt17integral_constantIbLb1EESW_IbLb0EEEEDaSS_ST_EUlSS_E0_NS1_11comp_targetILNS1_3genE0ELNS1_11target_archE4294967295ELNS1_3gpuE0ELNS1_3repE0EEENS1_30default_config_static_selectorELNS0_4arch9wavefront6targetE1EEEvT1_.kd
    .uniform_work_group_size: 1
    .uses_dynamic_stack: false
    .vgpr_count:     0
    .vgpr_spill_count: 0
    .wavefront_size: 64
  - .agpr_count:     0
    .args:
      - .offset:         0
        .size:           40
        .value_kind:     by_value
    .group_segment_fixed_size: 0
    .kernarg_segment_align: 8
    .kernarg_segment_size: 40
    .language:       OpenCL C
    .language_version:
      - 2
      - 0
    .max_flat_workgroup_size: 256
    .name:           _ZN7rocprim17ROCPRIM_400000_NS6detail17trampoline_kernelINS0_14default_configENS1_20scan_config_selectorIjEEZZNS1_9scan_implILNS1_25lookback_scan_determinismE0ELb0ELb0ES3_N6thrust23THRUST_200600_302600_NS6detail15normal_iteratorINS9_10device_ptrIjEEEENS9_16discard_iteratorINS9_11use_defaultEEEj11max_functorIjEjEEDaPvRmT3_T4_T5_mT6_P12ihipStream_tbENKUlT_T0_E_clISt17integral_constantIbLb1EESW_IbLb0EEEEDaSS_ST_EUlSS_E0_NS1_11comp_targetILNS1_3genE5ELNS1_11target_archE942ELNS1_3gpuE9ELNS1_3repE0EEENS1_30default_config_static_selectorELNS0_4arch9wavefront6targetE1EEEvT1_
    .private_segment_fixed_size: 0
    .sgpr_count:     4
    .sgpr_spill_count: 0
    .symbol:         _ZN7rocprim17ROCPRIM_400000_NS6detail17trampoline_kernelINS0_14default_configENS1_20scan_config_selectorIjEEZZNS1_9scan_implILNS1_25lookback_scan_determinismE0ELb0ELb0ES3_N6thrust23THRUST_200600_302600_NS6detail15normal_iteratorINS9_10device_ptrIjEEEENS9_16discard_iteratorINS9_11use_defaultEEEj11max_functorIjEjEEDaPvRmT3_T4_T5_mT6_P12ihipStream_tbENKUlT_T0_E_clISt17integral_constantIbLb1EESW_IbLb0EEEEDaSS_ST_EUlSS_E0_NS1_11comp_targetILNS1_3genE5ELNS1_11target_archE942ELNS1_3gpuE9ELNS1_3repE0EEENS1_30default_config_static_selectorELNS0_4arch9wavefront6targetE1EEEvT1_.kd
    .uniform_work_group_size: 1
    .uses_dynamic_stack: false
    .vgpr_count:     0
    .vgpr_spill_count: 0
    .wavefront_size: 64
  - .agpr_count:     0
    .args:
      - .offset:         0
        .size:           40
        .value_kind:     by_value
    .group_segment_fixed_size: 5120
    .kernarg_segment_align: 8
    .kernarg_segment_size: 40
    .language:       OpenCL C
    .language_version:
      - 2
      - 0
    .max_flat_workgroup_size: 128
    .name:           _ZN7rocprim17ROCPRIM_400000_NS6detail17trampoline_kernelINS0_14default_configENS1_20scan_config_selectorIjEEZZNS1_9scan_implILNS1_25lookback_scan_determinismE0ELb0ELb0ES3_N6thrust23THRUST_200600_302600_NS6detail15normal_iteratorINS9_10device_ptrIjEEEENS9_16discard_iteratorINS9_11use_defaultEEEj11max_functorIjEjEEDaPvRmT3_T4_T5_mT6_P12ihipStream_tbENKUlT_T0_E_clISt17integral_constantIbLb1EESW_IbLb0EEEEDaSS_ST_EUlSS_E0_NS1_11comp_targetILNS1_3genE4ELNS1_11target_archE910ELNS1_3gpuE8ELNS1_3repE0EEENS1_30default_config_static_selectorELNS0_4arch9wavefront6targetE1EEEvT1_
    .private_segment_fixed_size: 0
    .sgpr_count:     10
    .sgpr_spill_count: 0
    .symbol:         _ZN7rocprim17ROCPRIM_400000_NS6detail17trampoline_kernelINS0_14default_configENS1_20scan_config_selectorIjEEZZNS1_9scan_implILNS1_25lookback_scan_determinismE0ELb0ELb0ES3_N6thrust23THRUST_200600_302600_NS6detail15normal_iteratorINS9_10device_ptrIjEEEENS9_16discard_iteratorINS9_11use_defaultEEEj11max_functorIjEjEEDaPvRmT3_T4_T5_mT6_P12ihipStream_tbENKUlT_T0_E_clISt17integral_constantIbLb1EESW_IbLb0EEEEDaSS_ST_EUlSS_E0_NS1_11comp_targetILNS1_3genE4ELNS1_11target_archE910ELNS1_3gpuE8ELNS1_3repE0EEENS1_30default_config_static_selectorELNS0_4arch9wavefront6targetE1EEEvT1_.kd
    .uniform_work_group_size: 1
    .uses_dynamic_stack: false
    .vgpr_count:     27
    .vgpr_spill_count: 0
    .wavefront_size: 64
  - .agpr_count:     0
    .args:
      - .offset:         0
        .size:           40
        .value_kind:     by_value
    .group_segment_fixed_size: 0
    .kernarg_segment_align: 8
    .kernarg_segment_size: 40
    .language:       OpenCL C
    .language_version:
      - 2
      - 0
    .max_flat_workgroup_size: 256
    .name:           _ZN7rocprim17ROCPRIM_400000_NS6detail17trampoline_kernelINS0_14default_configENS1_20scan_config_selectorIjEEZZNS1_9scan_implILNS1_25lookback_scan_determinismE0ELb0ELb0ES3_N6thrust23THRUST_200600_302600_NS6detail15normal_iteratorINS9_10device_ptrIjEEEENS9_16discard_iteratorINS9_11use_defaultEEEj11max_functorIjEjEEDaPvRmT3_T4_T5_mT6_P12ihipStream_tbENKUlT_T0_E_clISt17integral_constantIbLb1EESW_IbLb0EEEEDaSS_ST_EUlSS_E0_NS1_11comp_targetILNS1_3genE3ELNS1_11target_archE908ELNS1_3gpuE7ELNS1_3repE0EEENS1_30default_config_static_selectorELNS0_4arch9wavefront6targetE1EEEvT1_
    .private_segment_fixed_size: 0
    .sgpr_count:     4
    .sgpr_spill_count: 0
    .symbol:         _ZN7rocprim17ROCPRIM_400000_NS6detail17trampoline_kernelINS0_14default_configENS1_20scan_config_selectorIjEEZZNS1_9scan_implILNS1_25lookback_scan_determinismE0ELb0ELb0ES3_N6thrust23THRUST_200600_302600_NS6detail15normal_iteratorINS9_10device_ptrIjEEEENS9_16discard_iteratorINS9_11use_defaultEEEj11max_functorIjEjEEDaPvRmT3_T4_T5_mT6_P12ihipStream_tbENKUlT_T0_E_clISt17integral_constantIbLb1EESW_IbLb0EEEEDaSS_ST_EUlSS_E0_NS1_11comp_targetILNS1_3genE3ELNS1_11target_archE908ELNS1_3gpuE7ELNS1_3repE0EEENS1_30default_config_static_selectorELNS0_4arch9wavefront6targetE1EEEvT1_.kd
    .uniform_work_group_size: 1
    .uses_dynamic_stack: false
    .vgpr_count:     0
    .vgpr_spill_count: 0
    .wavefront_size: 64
  - .agpr_count:     0
    .args:
      - .offset:         0
        .size:           40
        .value_kind:     by_value
    .group_segment_fixed_size: 0
    .kernarg_segment_align: 8
    .kernarg_segment_size: 40
    .language:       OpenCL C
    .language_version:
      - 2
      - 0
    .max_flat_workgroup_size: 256
    .name:           _ZN7rocprim17ROCPRIM_400000_NS6detail17trampoline_kernelINS0_14default_configENS1_20scan_config_selectorIjEEZZNS1_9scan_implILNS1_25lookback_scan_determinismE0ELb0ELb0ES3_N6thrust23THRUST_200600_302600_NS6detail15normal_iteratorINS9_10device_ptrIjEEEENS9_16discard_iteratorINS9_11use_defaultEEEj11max_functorIjEjEEDaPvRmT3_T4_T5_mT6_P12ihipStream_tbENKUlT_T0_E_clISt17integral_constantIbLb1EESW_IbLb0EEEEDaSS_ST_EUlSS_E0_NS1_11comp_targetILNS1_3genE2ELNS1_11target_archE906ELNS1_3gpuE6ELNS1_3repE0EEENS1_30default_config_static_selectorELNS0_4arch9wavefront6targetE1EEEvT1_
    .private_segment_fixed_size: 0
    .sgpr_count:     4
    .sgpr_spill_count: 0
    .symbol:         _ZN7rocprim17ROCPRIM_400000_NS6detail17trampoline_kernelINS0_14default_configENS1_20scan_config_selectorIjEEZZNS1_9scan_implILNS1_25lookback_scan_determinismE0ELb0ELb0ES3_N6thrust23THRUST_200600_302600_NS6detail15normal_iteratorINS9_10device_ptrIjEEEENS9_16discard_iteratorINS9_11use_defaultEEEj11max_functorIjEjEEDaPvRmT3_T4_T5_mT6_P12ihipStream_tbENKUlT_T0_E_clISt17integral_constantIbLb1EESW_IbLb0EEEEDaSS_ST_EUlSS_E0_NS1_11comp_targetILNS1_3genE2ELNS1_11target_archE906ELNS1_3gpuE6ELNS1_3repE0EEENS1_30default_config_static_selectorELNS0_4arch9wavefront6targetE1EEEvT1_.kd
    .uniform_work_group_size: 1
    .uses_dynamic_stack: false
    .vgpr_count:     0
    .vgpr_spill_count: 0
    .wavefront_size: 64
  - .agpr_count:     0
    .args:
      - .offset:         0
        .size:           40
        .value_kind:     by_value
    .group_segment_fixed_size: 0
    .kernarg_segment_align: 8
    .kernarg_segment_size: 40
    .language:       OpenCL C
    .language_version:
      - 2
      - 0
    .max_flat_workgroup_size: 256
    .name:           _ZN7rocprim17ROCPRIM_400000_NS6detail17trampoline_kernelINS0_14default_configENS1_20scan_config_selectorIjEEZZNS1_9scan_implILNS1_25lookback_scan_determinismE0ELb0ELb0ES3_N6thrust23THRUST_200600_302600_NS6detail15normal_iteratorINS9_10device_ptrIjEEEENS9_16discard_iteratorINS9_11use_defaultEEEj11max_functorIjEjEEDaPvRmT3_T4_T5_mT6_P12ihipStream_tbENKUlT_T0_E_clISt17integral_constantIbLb1EESW_IbLb0EEEEDaSS_ST_EUlSS_E0_NS1_11comp_targetILNS1_3genE10ELNS1_11target_archE1201ELNS1_3gpuE5ELNS1_3repE0EEENS1_30default_config_static_selectorELNS0_4arch9wavefront6targetE1EEEvT1_
    .private_segment_fixed_size: 0
    .sgpr_count:     4
    .sgpr_spill_count: 0
    .symbol:         _ZN7rocprim17ROCPRIM_400000_NS6detail17trampoline_kernelINS0_14default_configENS1_20scan_config_selectorIjEEZZNS1_9scan_implILNS1_25lookback_scan_determinismE0ELb0ELb0ES3_N6thrust23THRUST_200600_302600_NS6detail15normal_iteratorINS9_10device_ptrIjEEEENS9_16discard_iteratorINS9_11use_defaultEEEj11max_functorIjEjEEDaPvRmT3_T4_T5_mT6_P12ihipStream_tbENKUlT_T0_E_clISt17integral_constantIbLb1EESW_IbLb0EEEEDaSS_ST_EUlSS_E0_NS1_11comp_targetILNS1_3genE10ELNS1_11target_archE1201ELNS1_3gpuE5ELNS1_3repE0EEENS1_30default_config_static_selectorELNS0_4arch9wavefront6targetE1EEEvT1_.kd
    .uniform_work_group_size: 1
    .uses_dynamic_stack: false
    .vgpr_count:     0
    .vgpr_spill_count: 0
    .wavefront_size: 64
  - .agpr_count:     0
    .args:
      - .offset:         0
        .size:           40
        .value_kind:     by_value
    .group_segment_fixed_size: 0
    .kernarg_segment_align: 8
    .kernarg_segment_size: 40
    .language:       OpenCL C
    .language_version:
      - 2
      - 0
    .max_flat_workgroup_size: 256
    .name:           _ZN7rocprim17ROCPRIM_400000_NS6detail17trampoline_kernelINS0_14default_configENS1_20scan_config_selectorIjEEZZNS1_9scan_implILNS1_25lookback_scan_determinismE0ELb0ELb0ES3_N6thrust23THRUST_200600_302600_NS6detail15normal_iteratorINS9_10device_ptrIjEEEENS9_16discard_iteratorINS9_11use_defaultEEEj11max_functorIjEjEEDaPvRmT3_T4_T5_mT6_P12ihipStream_tbENKUlT_T0_E_clISt17integral_constantIbLb1EESW_IbLb0EEEEDaSS_ST_EUlSS_E0_NS1_11comp_targetILNS1_3genE10ELNS1_11target_archE1200ELNS1_3gpuE4ELNS1_3repE0EEENS1_30default_config_static_selectorELNS0_4arch9wavefront6targetE1EEEvT1_
    .private_segment_fixed_size: 0
    .sgpr_count:     4
    .sgpr_spill_count: 0
    .symbol:         _ZN7rocprim17ROCPRIM_400000_NS6detail17trampoline_kernelINS0_14default_configENS1_20scan_config_selectorIjEEZZNS1_9scan_implILNS1_25lookback_scan_determinismE0ELb0ELb0ES3_N6thrust23THRUST_200600_302600_NS6detail15normal_iteratorINS9_10device_ptrIjEEEENS9_16discard_iteratorINS9_11use_defaultEEEj11max_functorIjEjEEDaPvRmT3_T4_T5_mT6_P12ihipStream_tbENKUlT_T0_E_clISt17integral_constantIbLb1EESW_IbLb0EEEEDaSS_ST_EUlSS_E0_NS1_11comp_targetILNS1_3genE10ELNS1_11target_archE1200ELNS1_3gpuE4ELNS1_3repE0EEENS1_30default_config_static_selectorELNS0_4arch9wavefront6targetE1EEEvT1_.kd
    .uniform_work_group_size: 1
    .uses_dynamic_stack: false
    .vgpr_count:     0
    .vgpr_spill_count: 0
    .wavefront_size: 64
  - .agpr_count:     0
    .args:
      - .offset:         0
        .size:           40
        .value_kind:     by_value
    .group_segment_fixed_size: 0
    .kernarg_segment_align: 8
    .kernarg_segment_size: 40
    .language:       OpenCL C
    .language_version:
      - 2
      - 0
    .max_flat_workgroup_size: 256
    .name:           _ZN7rocprim17ROCPRIM_400000_NS6detail17trampoline_kernelINS0_14default_configENS1_20scan_config_selectorIjEEZZNS1_9scan_implILNS1_25lookback_scan_determinismE0ELb0ELb0ES3_N6thrust23THRUST_200600_302600_NS6detail15normal_iteratorINS9_10device_ptrIjEEEENS9_16discard_iteratorINS9_11use_defaultEEEj11max_functorIjEjEEDaPvRmT3_T4_T5_mT6_P12ihipStream_tbENKUlT_T0_E_clISt17integral_constantIbLb1EESW_IbLb0EEEEDaSS_ST_EUlSS_E0_NS1_11comp_targetILNS1_3genE9ELNS1_11target_archE1100ELNS1_3gpuE3ELNS1_3repE0EEENS1_30default_config_static_selectorELNS0_4arch9wavefront6targetE1EEEvT1_
    .private_segment_fixed_size: 0
    .sgpr_count:     4
    .sgpr_spill_count: 0
    .symbol:         _ZN7rocprim17ROCPRIM_400000_NS6detail17trampoline_kernelINS0_14default_configENS1_20scan_config_selectorIjEEZZNS1_9scan_implILNS1_25lookback_scan_determinismE0ELb0ELb0ES3_N6thrust23THRUST_200600_302600_NS6detail15normal_iteratorINS9_10device_ptrIjEEEENS9_16discard_iteratorINS9_11use_defaultEEEj11max_functorIjEjEEDaPvRmT3_T4_T5_mT6_P12ihipStream_tbENKUlT_T0_E_clISt17integral_constantIbLb1EESW_IbLb0EEEEDaSS_ST_EUlSS_E0_NS1_11comp_targetILNS1_3genE9ELNS1_11target_archE1100ELNS1_3gpuE3ELNS1_3repE0EEENS1_30default_config_static_selectorELNS0_4arch9wavefront6targetE1EEEvT1_.kd
    .uniform_work_group_size: 1
    .uses_dynamic_stack: false
    .vgpr_count:     0
    .vgpr_spill_count: 0
    .wavefront_size: 64
  - .agpr_count:     0
    .args:
      - .offset:         0
        .size:           40
        .value_kind:     by_value
    .group_segment_fixed_size: 0
    .kernarg_segment_align: 8
    .kernarg_segment_size: 40
    .language:       OpenCL C
    .language_version:
      - 2
      - 0
    .max_flat_workgroup_size: 64
    .name:           _ZN7rocprim17ROCPRIM_400000_NS6detail17trampoline_kernelINS0_14default_configENS1_20scan_config_selectorIjEEZZNS1_9scan_implILNS1_25lookback_scan_determinismE0ELb0ELb0ES3_N6thrust23THRUST_200600_302600_NS6detail15normal_iteratorINS9_10device_ptrIjEEEENS9_16discard_iteratorINS9_11use_defaultEEEj11max_functorIjEjEEDaPvRmT3_T4_T5_mT6_P12ihipStream_tbENKUlT_T0_E_clISt17integral_constantIbLb1EESW_IbLb0EEEEDaSS_ST_EUlSS_E0_NS1_11comp_targetILNS1_3genE8ELNS1_11target_archE1030ELNS1_3gpuE2ELNS1_3repE0EEENS1_30default_config_static_selectorELNS0_4arch9wavefront6targetE1EEEvT1_
    .private_segment_fixed_size: 0
    .sgpr_count:     4
    .sgpr_spill_count: 0
    .symbol:         _ZN7rocprim17ROCPRIM_400000_NS6detail17trampoline_kernelINS0_14default_configENS1_20scan_config_selectorIjEEZZNS1_9scan_implILNS1_25lookback_scan_determinismE0ELb0ELb0ES3_N6thrust23THRUST_200600_302600_NS6detail15normal_iteratorINS9_10device_ptrIjEEEENS9_16discard_iteratorINS9_11use_defaultEEEj11max_functorIjEjEEDaPvRmT3_T4_T5_mT6_P12ihipStream_tbENKUlT_T0_E_clISt17integral_constantIbLb1EESW_IbLb0EEEEDaSS_ST_EUlSS_E0_NS1_11comp_targetILNS1_3genE8ELNS1_11target_archE1030ELNS1_3gpuE2ELNS1_3repE0EEENS1_30default_config_static_selectorELNS0_4arch9wavefront6targetE1EEEvT1_.kd
    .uniform_work_group_size: 1
    .uses_dynamic_stack: false
    .vgpr_count:     0
    .vgpr_spill_count: 0
    .wavefront_size: 64
  - .agpr_count:     0
    .args:
      - .offset:         0
        .size:           104
        .value_kind:     by_value
    .group_segment_fixed_size: 0
    .kernarg_segment_align: 8
    .kernarg_segment_size: 104
    .language:       OpenCL C
    .language_version:
      - 2
      - 0
    .max_flat_workgroup_size: 256
    .name:           _ZN7rocprim17ROCPRIM_400000_NS6detail17trampoline_kernelINS0_14default_configENS1_20scan_config_selectorIjEEZZNS1_9scan_implILNS1_25lookback_scan_determinismE0ELb0ELb0ES3_N6thrust23THRUST_200600_302600_NS6detail15normal_iteratorINS9_10device_ptrIjEEEENS9_16discard_iteratorINS9_11use_defaultEEEj11max_functorIjEjEEDaPvRmT3_T4_T5_mT6_P12ihipStream_tbENKUlT_T0_E_clISt17integral_constantIbLb0EESW_IbLb1EEEEDaSS_ST_EUlSS_E_NS1_11comp_targetILNS1_3genE0ELNS1_11target_archE4294967295ELNS1_3gpuE0ELNS1_3repE0EEENS1_30default_config_static_selectorELNS0_4arch9wavefront6targetE1EEEvT1_
    .private_segment_fixed_size: 0
    .sgpr_count:     4
    .sgpr_spill_count: 0
    .symbol:         _ZN7rocprim17ROCPRIM_400000_NS6detail17trampoline_kernelINS0_14default_configENS1_20scan_config_selectorIjEEZZNS1_9scan_implILNS1_25lookback_scan_determinismE0ELb0ELb0ES3_N6thrust23THRUST_200600_302600_NS6detail15normal_iteratorINS9_10device_ptrIjEEEENS9_16discard_iteratorINS9_11use_defaultEEEj11max_functorIjEjEEDaPvRmT3_T4_T5_mT6_P12ihipStream_tbENKUlT_T0_E_clISt17integral_constantIbLb0EESW_IbLb1EEEEDaSS_ST_EUlSS_E_NS1_11comp_targetILNS1_3genE0ELNS1_11target_archE4294967295ELNS1_3gpuE0ELNS1_3repE0EEENS1_30default_config_static_selectorELNS0_4arch9wavefront6targetE1EEEvT1_.kd
    .uniform_work_group_size: 1
    .uses_dynamic_stack: false
    .vgpr_count:     0
    .vgpr_spill_count: 0
    .wavefront_size: 64
  - .agpr_count:     0
    .args:
      - .offset:         0
        .size:           104
        .value_kind:     by_value
    .group_segment_fixed_size: 0
    .kernarg_segment_align: 8
    .kernarg_segment_size: 104
    .language:       OpenCL C
    .language_version:
      - 2
      - 0
    .max_flat_workgroup_size: 256
    .name:           _ZN7rocprim17ROCPRIM_400000_NS6detail17trampoline_kernelINS0_14default_configENS1_20scan_config_selectorIjEEZZNS1_9scan_implILNS1_25lookback_scan_determinismE0ELb0ELb0ES3_N6thrust23THRUST_200600_302600_NS6detail15normal_iteratorINS9_10device_ptrIjEEEENS9_16discard_iteratorINS9_11use_defaultEEEj11max_functorIjEjEEDaPvRmT3_T4_T5_mT6_P12ihipStream_tbENKUlT_T0_E_clISt17integral_constantIbLb0EESW_IbLb1EEEEDaSS_ST_EUlSS_E_NS1_11comp_targetILNS1_3genE5ELNS1_11target_archE942ELNS1_3gpuE9ELNS1_3repE0EEENS1_30default_config_static_selectorELNS0_4arch9wavefront6targetE1EEEvT1_
    .private_segment_fixed_size: 0
    .sgpr_count:     4
    .sgpr_spill_count: 0
    .symbol:         _ZN7rocprim17ROCPRIM_400000_NS6detail17trampoline_kernelINS0_14default_configENS1_20scan_config_selectorIjEEZZNS1_9scan_implILNS1_25lookback_scan_determinismE0ELb0ELb0ES3_N6thrust23THRUST_200600_302600_NS6detail15normal_iteratorINS9_10device_ptrIjEEEENS9_16discard_iteratorINS9_11use_defaultEEEj11max_functorIjEjEEDaPvRmT3_T4_T5_mT6_P12ihipStream_tbENKUlT_T0_E_clISt17integral_constantIbLb0EESW_IbLb1EEEEDaSS_ST_EUlSS_E_NS1_11comp_targetILNS1_3genE5ELNS1_11target_archE942ELNS1_3gpuE9ELNS1_3repE0EEENS1_30default_config_static_selectorELNS0_4arch9wavefront6targetE1EEEvT1_.kd
    .uniform_work_group_size: 1
    .uses_dynamic_stack: false
    .vgpr_count:     0
    .vgpr_spill_count: 0
    .wavefront_size: 64
  - .agpr_count:     0
    .args:
      - .offset:         0
        .size:           104
        .value_kind:     by_value
    .group_segment_fixed_size: 5120
    .kernarg_segment_align: 8
    .kernarg_segment_size: 104
    .language:       OpenCL C
    .language_version:
      - 2
      - 0
    .max_flat_workgroup_size: 128
    .name:           _ZN7rocprim17ROCPRIM_400000_NS6detail17trampoline_kernelINS0_14default_configENS1_20scan_config_selectorIjEEZZNS1_9scan_implILNS1_25lookback_scan_determinismE0ELb0ELb0ES3_N6thrust23THRUST_200600_302600_NS6detail15normal_iteratorINS9_10device_ptrIjEEEENS9_16discard_iteratorINS9_11use_defaultEEEj11max_functorIjEjEEDaPvRmT3_T4_T5_mT6_P12ihipStream_tbENKUlT_T0_E_clISt17integral_constantIbLb0EESW_IbLb1EEEEDaSS_ST_EUlSS_E_NS1_11comp_targetILNS1_3genE4ELNS1_11target_archE910ELNS1_3gpuE8ELNS1_3repE0EEENS1_30default_config_static_selectorELNS0_4arch9wavefront6targetE1EEEvT1_
    .private_segment_fixed_size: 0
    .sgpr_count:     34
    .sgpr_spill_count: 0
    .symbol:         _ZN7rocprim17ROCPRIM_400000_NS6detail17trampoline_kernelINS0_14default_configENS1_20scan_config_selectorIjEEZZNS1_9scan_implILNS1_25lookback_scan_determinismE0ELb0ELb0ES3_N6thrust23THRUST_200600_302600_NS6detail15normal_iteratorINS9_10device_ptrIjEEEENS9_16discard_iteratorINS9_11use_defaultEEEj11max_functorIjEjEEDaPvRmT3_T4_T5_mT6_P12ihipStream_tbENKUlT_T0_E_clISt17integral_constantIbLb0EESW_IbLb1EEEEDaSS_ST_EUlSS_E_NS1_11comp_targetILNS1_3genE4ELNS1_11target_archE910ELNS1_3gpuE8ELNS1_3repE0EEENS1_30default_config_static_selectorELNS0_4arch9wavefront6targetE1EEEvT1_.kd
    .uniform_work_group_size: 1
    .uses_dynamic_stack: false
    .vgpr_count:     39
    .vgpr_spill_count: 0
    .wavefront_size: 64
  - .agpr_count:     0
    .args:
      - .offset:         0
        .size:           104
        .value_kind:     by_value
    .group_segment_fixed_size: 0
    .kernarg_segment_align: 8
    .kernarg_segment_size: 104
    .language:       OpenCL C
    .language_version:
      - 2
      - 0
    .max_flat_workgroup_size: 256
    .name:           _ZN7rocprim17ROCPRIM_400000_NS6detail17trampoline_kernelINS0_14default_configENS1_20scan_config_selectorIjEEZZNS1_9scan_implILNS1_25lookback_scan_determinismE0ELb0ELb0ES3_N6thrust23THRUST_200600_302600_NS6detail15normal_iteratorINS9_10device_ptrIjEEEENS9_16discard_iteratorINS9_11use_defaultEEEj11max_functorIjEjEEDaPvRmT3_T4_T5_mT6_P12ihipStream_tbENKUlT_T0_E_clISt17integral_constantIbLb0EESW_IbLb1EEEEDaSS_ST_EUlSS_E_NS1_11comp_targetILNS1_3genE3ELNS1_11target_archE908ELNS1_3gpuE7ELNS1_3repE0EEENS1_30default_config_static_selectorELNS0_4arch9wavefront6targetE1EEEvT1_
    .private_segment_fixed_size: 0
    .sgpr_count:     4
    .sgpr_spill_count: 0
    .symbol:         _ZN7rocprim17ROCPRIM_400000_NS6detail17trampoline_kernelINS0_14default_configENS1_20scan_config_selectorIjEEZZNS1_9scan_implILNS1_25lookback_scan_determinismE0ELb0ELb0ES3_N6thrust23THRUST_200600_302600_NS6detail15normal_iteratorINS9_10device_ptrIjEEEENS9_16discard_iteratorINS9_11use_defaultEEEj11max_functorIjEjEEDaPvRmT3_T4_T5_mT6_P12ihipStream_tbENKUlT_T0_E_clISt17integral_constantIbLb0EESW_IbLb1EEEEDaSS_ST_EUlSS_E_NS1_11comp_targetILNS1_3genE3ELNS1_11target_archE908ELNS1_3gpuE7ELNS1_3repE0EEENS1_30default_config_static_selectorELNS0_4arch9wavefront6targetE1EEEvT1_.kd
    .uniform_work_group_size: 1
    .uses_dynamic_stack: false
    .vgpr_count:     0
    .vgpr_spill_count: 0
    .wavefront_size: 64
  - .agpr_count:     0
    .args:
      - .offset:         0
        .size:           104
        .value_kind:     by_value
    .group_segment_fixed_size: 0
    .kernarg_segment_align: 8
    .kernarg_segment_size: 104
    .language:       OpenCL C
    .language_version:
      - 2
      - 0
    .max_flat_workgroup_size: 256
    .name:           _ZN7rocprim17ROCPRIM_400000_NS6detail17trampoline_kernelINS0_14default_configENS1_20scan_config_selectorIjEEZZNS1_9scan_implILNS1_25lookback_scan_determinismE0ELb0ELb0ES3_N6thrust23THRUST_200600_302600_NS6detail15normal_iteratorINS9_10device_ptrIjEEEENS9_16discard_iteratorINS9_11use_defaultEEEj11max_functorIjEjEEDaPvRmT3_T4_T5_mT6_P12ihipStream_tbENKUlT_T0_E_clISt17integral_constantIbLb0EESW_IbLb1EEEEDaSS_ST_EUlSS_E_NS1_11comp_targetILNS1_3genE2ELNS1_11target_archE906ELNS1_3gpuE6ELNS1_3repE0EEENS1_30default_config_static_selectorELNS0_4arch9wavefront6targetE1EEEvT1_
    .private_segment_fixed_size: 0
    .sgpr_count:     4
    .sgpr_spill_count: 0
    .symbol:         _ZN7rocprim17ROCPRIM_400000_NS6detail17trampoline_kernelINS0_14default_configENS1_20scan_config_selectorIjEEZZNS1_9scan_implILNS1_25lookback_scan_determinismE0ELb0ELb0ES3_N6thrust23THRUST_200600_302600_NS6detail15normal_iteratorINS9_10device_ptrIjEEEENS9_16discard_iteratorINS9_11use_defaultEEEj11max_functorIjEjEEDaPvRmT3_T4_T5_mT6_P12ihipStream_tbENKUlT_T0_E_clISt17integral_constantIbLb0EESW_IbLb1EEEEDaSS_ST_EUlSS_E_NS1_11comp_targetILNS1_3genE2ELNS1_11target_archE906ELNS1_3gpuE6ELNS1_3repE0EEENS1_30default_config_static_selectorELNS0_4arch9wavefront6targetE1EEEvT1_.kd
    .uniform_work_group_size: 1
    .uses_dynamic_stack: false
    .vgpr_count:     0
    .vgpr_spill_count: 0
    .wavefront_size: 64
  - .agpr_count:     0
    .args:
      - .offset:         0
        .size:           104
        .value_kind:     by_value
    .group_segment_fixed_size: 0
    .kernarg_segment_align: 8
    .kernarg_segment_size: 104
    .language:       OpenCL C
    .language_version:
      - 2
      - 0
    .max_flat_workgroup_size: 256
    .name:           _ZN7rocprim17ROCPRIM_400000_NS6detail17trampoline_kernelINS0_14default_configENS1_20scan_config_selectorIjEEZZNS1_9scan_implILNS1_25lookback_scan_determinismE0ELb0ELb0ES3_N6thrust23THRUST_200600_302600_NS6detail15normal_iteratorINS9_10device_ptrIjEEEENS9_16discard_iteratorINS9_11use_defaultEEEj11max_functorIjEjEEDaPvRmT3_T4_T5_mT6_P12ihipStream_tbENKUlT_T0_E_clISt17integral_constantIbLb0EESW_IbLb1EEEEDaSS_ST_EUlSS_E_NS1_11comp_targetILNS1_3genE10ELNS1_11target_archE1201ELNS1_3gpuE5ELNS1_3repE0EEENS1_30default_config_static_selectorELNS0_4arch9wavefront6targetE1EEEvT1_
    .private_segment_fixed_size: 0
    .sgpr_count:     4
    .sgpr_spill_count: 0
    .symbol:         _ZN7rocprim17ROCPRIM_400000_NS6detail17trampoline_kernelINS0_14default_configENS1_20scan_config_selectorIjEEZZNS1_9scan_implILNS1_25lookback_scan_determinismE0ELb0ELb0ES3_N6thrust23THRUST_200600_302600_NS6detail15normal_iteratorINS9_10device_ptrIjEEEENS9_16discard_iteratorINS9_11use_defaultEEEj11max_functorIjEjEEDaPvRmT3_T4_T5_mT6_P12ihipStream_tbENKUlT_T0_E_clISt17integral_constantIbLb0EESW_IbLb1EEEEDaSS_ST_EUlSS_E_NS1_11comp_targetILNS1_3genE10ELNS1_11target_archE1201ELNS1_3gpuE5ELNS1_3repE0EEENS1_30default_config_static_selectorELNS0_4arch9wavefront6targetE1EEEvT1_.kd
    .uniform_work_group_size: 1
    .uses_dynamic_stack: false
    .vgpr_count:     0
    .vgpr_spill_count: 0
    .wavefront_size: 64
  - .agpr_count:     0
    .args:
      - .offset:         0
        .size:           104
        .value_kind:     by_value
    .group_segment_fixed_size: 0
    .kernarg_segment_align: 8
    .kernarg_segment_size: 104
    .language:       OpenCL C
    .language_version:
      - 2
      - 0
    .max_flat_workgroup_size: 256
    .name:           _ZN7rocprim17ROCPRIM_400000_NS6detail17trampoline_kernelINS0_14default_configENS1_20scan_config_selectorIjEEZZNS1_9scan_implILNS1_25lookback_scan_determinismE0ELb0ELb0ES3_N6thrust23THRUST_200600_302600_NS6detail15normal_iteratorINS9_10device_ptrIjEEEENS9_16discard_iteratorINS9_11use_defaultEEEj11max_functorIjEjEEDaPvRmT3_T4_T5_mT6_P12ihipStream_tbENKUlT_T0_E_clISt17integral_constantIbLb0EESW_IbLb1EEEEDaSS_ST_EUlSS_E_NS1_11comp_targetILNS1_3genE10ELNS1_11target_archE1200ELNS1_3gpuE4ELNS1_3repE0EEENS1_30default_config_static_selectorELNS0_4arch9wavefront6targetE1EEEvT1_
    .private_segment_fixed_size: 0
    .sgpr_count:     4
    .sgpr_spill_count: 0
    .symbol:         _ZN7rocprim17ROCPRIM_400000_NS6detail17trampoline_kernelINS0_14default_configENS1_20scan_config_selectorIjEEZZNS1_9scan_implILNS1_25lookback_scan_determinismE0ELb0ELb0ES3_N6thrust23THRUST_200600_302600_NS6detail15normal_iteratorINS9_10device_ptrIjEEEENS9_16discard_iteratorINS9_11use_defaultEEEj11max_functorIjEjEEDaPvRmT3_T4_T5_mT6_P12ihipStream_tbENKUlT_T0_E_clISt17integral_constantIbLb0EESW_IbLb1EEEEDaSS_ST_EUlSS_E_NS1_11comp_targetILNS1_3genE10ELNS1_11target_archE1200ELNS1_3gpuE4ELNS1_3repE0EEENS1_30default_config_static_selectorELNS0_4arch9wavefront6targetE1EEEvT1_.kd
    .uniform_work_group_size: 1
    .uses_dynamic_stack: false
    .vgpr_count:     0
    .vgpr_spill_count: 0
    .wavefront_size: 64
  - .agpr_count:     0
    .args:
      - .offset:         0
        .size:           104
        .value_kind:     by_value
    .group_segment_fixed_size: 0
    .kernarg_segment_align: 8
    .kernarg_segment_size: 104
    .language:       OpenCL C
    .language_version:
      - 2
      - 0
    .max_flat_workgroup_size: 256
    .name:           _ZN7rocprim17ROCPRIM_400000_NS6detail17trampoline_kernelINS0_14default_configENS1_20scan_config_selectorIjEEZZNS1_9scan_implILNS1_25lookback_scan_determinismE0ELb0ELb0ES3_N6thrust23THRUST_200600_302600_NS6detail15normal_iteratorINS9_10device_ptrIjEEEENS9_16discard_iteratorINS9_11use_defaultEEEj11max_functorIjEjEEDaPvRmT3_T4_T5_mT6_P12ihipStream_tbENKUlT_T0_E_clISt17integral_constantIbLb0EESW_IbLb1EEEEDaSS_ST_EUlSS_E_NS1_11comp_targetILNS1_3genE9ELNS1_11target_archE1100ELNS1_3gpuE3ELNS1_3repE0EEENS1_30default_config_static_selectorELNS0_4arch9wavefront6targetE1EEEvT1_
    .private_segment_fixed_size: 0
    .sgpr_count:     4
    .sgpr_spill_count: 0
    .symbol:         _ZN7rocprim17ROCPRIM_400000_NS6detail17trampoline_kernelINS0_14default_configENS1_20scan_config_selectorIjEEZZNS1_9scan_implILNS1_25lookback_scan_determinismE0ELb0ELb0ES3_N6thrust23THRUST_200600_302600_NS6detail15normal_iteratorINS9_10device_ptrIjEEEENS9_16discard_iteratorINS9_11use_defaultEEEj11max_functorIjEjEEDaPvRmT3_T4_T5_mT6_P12ihipStream_tbENKUlT_T0_E_clISt17integral_constantIbLb0EESW_IbLb1EEEEDaSS_ST_EUlSS_E_NS1_11comp_targetILNS1_3genE9ELNS1_11target_archE1100ELNS1_3gpuE3ELNS1_3repE0EEENS1_30default_config_static_selectorELNS0_4arch9wavefront6targetE1EEEvT1_.kd
    .uniform_work_group_size: 1
    .uses_dynamic_stack: false
    .vgpr_count:     0
    .vgpr_spill_count: 0
    .wavefront_size: 64
  - .agpr_count:     0
    .args:
      - .offset:         0
        .size:           104
        .value_kind:     by_value
    .group_segment_fixed_size: 0
    .kernarg_segment_align: 8
    .kernarg_segment_size: 104
    .language:       OpenCL C
    .language_version:
      - 2
      - 0
    .max_flat_workgroup_size: 64
    .name:           _ZN7rocprim17ROCPRIM_400000_NS6detail17trampoline_kernelINS0_14default_configENS1_20scan_config_selectorIjEEZZNS1_9scan_implILNS1_25lookback_scan_determinismE0ELb0ELb0ES3_N6thrust23THRUST_200600_302600_NS6detail15normal_iteratorINS9_10device_ptrIjEEEENS9_16discard_iteratorINS9_11use_defaultEEEj11max_functorIjEjEEDaPvRmT3_T4_T5_mT6_P12ihipStream_tbENKUlT_T0_E_clISt17integral_constantIbLb0EESW_IbLb1EEEEDaSS_ST_EUlSS_E_NS1_11comp_targetILNS1_3genE8ELNS1_11target_archE1030ELNS1_3gpuE2ELNS1_3repE0EEENS1_30default_config_static_selectorELNS0_4arch9wavefront6targetE1EEEvT1_
    .private_segment_fixed_size: 0
    .sgpr_count:     4
    .sgpr_spill_count: 0
    .symbol:         _ZN7rocprim17ROCPRIM_400000_NS6detail17trampoline_kernelINS0_14default_configENS1_20scan_config_selectorIjEEZZNS1_9scan_implILNS1_25lookback_scan_determinismE0ELb0ELb0ES3_N6thrust23THRUST_200600_302600_NS6detail15normal_iteratorINS9_10device_ptrIjEEEENS9_16discard_iteratorINS9_11use_defaultEEEj11max_functorIjEjEEDaPvRmT3_T4_T5_mT6_P12ihipStream_tbENKUlT_T0_E_clISt17integral_constantIbLb0EESW_IbLb1EEEEDaSS_ST_EUlSS_E_NS1_11comp_targetILNS1_3genE8ELNS1_11target_archE1030ELNS1_3gpuE2ELNS1_3repE0EEENS1_30default_config_static_selectorELNS0_4arch9wavefront6targetE1EEEvT1_.kd
    .uniform_work_group_size: 1
    .uses_dynamic_stack: false
    .vgpr_count:     0
    .vgpr_spill_count: 0
    .wavefront_size: 64
  - .agpr_count:     0
    .args:
      - .offset:         0
        .size:           40
        .value_kind:     by_value
    .group_segment_fixed_size: 0
    .kernarg_segment_align: 8
    .kernarg_segment_size: 40
    .language:       OpenCL C
    .language_version:
      - 2
      - 0
    .max_flat_workgroup_size: 256
    .name:           _ZN7rocprim17ROCPRIM_400000_NS6detail17trampoline_kernelINS0_14default_configENS1_20scan_config_selectorIjEEZZNS1_9scan_implILNS1_25lookback_scan_determinismE0ELb0ELb0ES3_N6thrust23THRUST_200600_302600_NS6detail15normal_iteratorINS9_10device_ptrIjEEEENS9_16discard_iteratorINS9_11use_defaultEEEj11max_functorIjEjEEDaPvRmT3_T4_T5_mT6_P12ihipStream_tbENKUlT_T0_E_clISt17integral_constantIbLb0EESW_IbLb1EEEEDaSS_ST_EUlSS_E0_NS1_11comp_targetILNS1_3genE0ELNS1_11target_archE4294967295ELNS1_3gpuE0ELNS1_3repE0EEENS1_30default_config_static_selectorELNS0_4arch9wavefront6targetE1EEEvT1_
    .private_segment_fixed_size: 0
    .sgpr_count:     4
    .sgpr_spill_count: 0
    .symbol:         _ZN7rocprim17ROCPRIM_400000_NS6detail17trampoline_kernelINS0_14default_configENS1_20scan_config_selectorIjEEZZNS1_9scan_implILNS1_25lookback_scan_determinismE0ELb0ELb0ES3_N6thrust23THRUST_200600_302600_NS6detail15normal_iteratorINS9_10device_ptrIjEEEENS9_16discard_iteratorINS9_11use_defaultEEEj11max_functorIjEjEEDaPvRmT3_T4_T5_mT6_P12ihipStream_tbENKUlT_T0_E_clISt17integral_constantIbLb0EESW_IbLb1EEEEDaSS_ST_EUlSS_E0_NS1_11comp_targetILNS1_3genE0ELNS1_11target_archE4294967295ELNS1_3gpuE0ELNS1_3repE0EEENS1_30default_config_static_selectorELNS0_4arch9wavefront6targetE1EEEvT1_.kd
    .uniform_work_group_size: 1
    .uses_dynamic_stack: false
    .vgpr_count:     0
    .vgpr_spill_count: 0
    .wavefront_size: 64
  - .agpr_count:     0
    .args:
      - .offset:         0
        .size:           40
        .value_kind:     by_value
    .group_segment_fixed_size: 0
    .kernarg_segment_align: 8
    .kernarg_segment_size: 40
    .language:       OpenCL C
    .language_version:
      - 2
      - 0
    .max_flat_workgroup_size: 256
    .name:           _ZN7rocprim17ROCPRIM_400000_NS6detail17trampoline_kernelINS0_14default_configENS1_20scan_config_selectorIjEEZZNS1_9scan_implILNS1_25lookback_scan_determinismE0ELb0ELb0ES3_N6thrust23THRUST_200600_302600_NS6detail15normal_iteratorINS9_10device_ptrIjEEEENS9_16discard_iteratorINS9_11use_defaultEEEj11max_functorIjEjEEDaPvRmT3_T4_T5_mT6_P12ihipStream_tbENKUlT_T0_E_clISt17integral_constantIbLb0EESW_IbLb1EEEEDaSS_ST_EUlSS_E0_NS1_11comp_targetILNS1_3genE5ELNS1_11target_archE942ELNS1_3gpuE9ELNS1_3repE0EEENS1_30default_config_static_selectorELNS0_4arch9wavefront6targetE1EEEvT1_
    .private_segment_fixed_size: 0
    .sgpr_count:     4
    .sgpr_spill_count: 0
    .symbol:         _ZN7rocprim17ROCPRIM_400000_NS6detail17trampoline_kernelINS0_14default_configENS1_20scan_config_selectorIjEEZZNS1_9scan_implILNS1_25lookback_scan_determinismE0ELb0ELb0ES3_N6thrust23THRUST_200600_302600_NS6detail15normal_iteratorINS9_10device_ptrIjEEEENS9_16discard_iteratorINS9_11use_defaultEEEj11max_functorIjEjEEDaPvRmT3_T4_T5_mT6_P12ihipStream_tbENKUlT_T0_E_clISt17integral_constantIbLb0EESW_IbLb1EEEEDaSS_ST_EUlSS_E0_NS1_11comp_targetILNS1_3genE5ELNS1_11target_archE942ELNS1_3gpuE9ELNS1_3repE0EEENS1_30default_config_static_selectorELNS0_4arch9wavefront6targetE1EEEvT1_.kd
    .uniform_work_group_size: 1
    .uses_dynamic_stack: false
    .vgpr_count:     0
    .vgpr_spill_count: 0
    .wavefront_size: 64
  - .agpr_count:     0
    .args:
      - .offset:         0
        .size:           40
        .value_kind:     by_value
    .group_segment_fixed_size: 5120
    .kernarg_segment_align: 8
    .kernarg_segment_size: 40
    .language:       OpenCL C
    .language_version:
      - 2
      - 0
    .max_flat_workgroup_size: 128
    .name:           _ZN7rocprim17ROCPRIM_400000_NS6detail17trampoline_kernelINS0_14default_configENS1_20scan_config_selectorIjEEZZNS1_9scan_implILNS1_25lookback_scan_determinismE0ELb0ELb0ES3_N6thrust23THRUST_200600_302600_NS6detail15normal_iteratorINS9_10device_ptrIjEEEENS9_16discard_iteratorINS9_11use_defaultEEEj11max_functorIjEjEEDaPvRmT3_T4_T5_mT6_P12ihipStream_tbENKUlT_T0_E_clISt17integral_constantIbLb0EESW_IbLb1EEEEDaSS_ST_EUlSS_E0_NS1_11comp_targetILNS1_3genE4ELNS1_11target_archE910ELNS1_3gpuE8ELNS1_3repE0EEENS1_30default_config_static_selectorELNS0_4arch9wavefront6targetE1EEEvT1_
    .private_segment_fixed_size: 0
    .sgpr_count:     10
    .sgpr_spill_count: 0
    .symbol:         _ZN7rocprim17ROCPRIM_400000_NS6detail17trampoline_kernelINS0_14default_configENS1_20scan_config_selectorIjEEZZNS1_9scan_implILNS1_25lookback_scan_determinismE0ELb0ELb0ES3_N6thrust23THRUST_200600_302600_NS6detail15normal_iteratorINS9_10device_ptrIjEEEENS9_16discard_iteratorINS9_11use_defaultEEEj11max_functorIjEjEEDaPvRmT3_T4_T5_mT6_P12ihipStream_tbENKUlT_T0_E_clISt17integral_constantIbLb0EESW_IbLb1EEEEDaSS_ST_EUlSS_E0_NS1_11comp_targetILNS1_3genE4ELNS1_11target_archE910ELNS1_3gpuE8ELNS1_3repE0EEENS1_30default_config_static_selectorELNS0_4arch9wavefront6targetE1EEEvT1_.kd
    .uniform_work_group_size: 1
    .uses_dynamic_stack: false
    .vgpr_count:     27
    .vgpr_spill_count: 0
    .wavefront_size: 64
  - .agpr_count:     0
    .args:
      - .offset:         0
        .size:           40
        .value_kind:     by_value
    .group_segment_fixed_size: 0
    .kernarg_segment_align: 8
    .kernarg_segment_size: 40
    .language:       OpenCL C
    .language_version:
      - 2
      - 0
    .max_flat_workgroup_size: 256
    .name:           _ZN7rocprim17ROCPRIM_400000_NS6detail17trampoline_kernelINS0_14default_configENS1_20scan_config_selectorIjEEZZNS1_9scan_implILNS1_25lookback_scan_determinismE0ELb0ELb0ES3_N6thrust23THRUST_200600_302600_NS6detail15normal_iteratorINS9_10device_ptrIjEEEENS9_16discard_iteratorINS9_11use_defaultEEEj11max_functorIjEjEEDaPvRmT3_T4_T5_mT6_P12ihipStream_tbENKUlT_T0_E_clISt17integral_constantIbLb0EESW_IbLb1EEEEDaSS_ST_EUlSS_E0_NS1_11comp_targetILNS1_3genE3ELNS1_11target_archE908ELNS1_3gpuE7ELNS1_3repE0EEENS1_30default_config_static_selectorELNS0_4arch9wavefront6targetE1EEEvT1_
    .private_segment_fixed_size: 0
    .sgpr_count:     4
    .sgpr_spill_count: 0
    .symbol:         _ZN7rocprim17ROCPRIM_400000_NS6detail17trampoline_kernelINS0_14default_configENS1_20scan_config_selectorIjEEZZNS1_9scan_implILNS1_25lookback_scan_determinismE0ELb0ELb0ES3_N6thrust23THRUST_200600_302600_NS6detail15normal_iteratorINS9_10device_ptrIjEEEENS9_16discard_iteratorINS9_11use_defaultEEEj11max_functorIjEjEEDaPvRmT3_T4_T5_mT6_P12ihipStream_tbENKUlT_T0_E_clISt17integral_constantIbLb0EESW_IbLb1EEEEDaSS_ST_EUlSS_E0_NS1_11comp_targetILNS1_3genE3ELNS1_11target_archE908ELNS1_3gpuE7ELNS1_3repE0EEENS1_30default_config_static_selectorELNS0_4arch9wavefront6targetE1EEEvT1_.kd
    .uniform_work_group_size: 1
    .uses_dynamic_stack: false
    .vgpr_count:     0
    .vgpr_spill_count: 0
    .wavefront_size: 64
  - .agpr_count:     0
    .args:
      - .offset:         0
        .size:           40
        .value_kind:     by_value
    .group_segment_fixed_size: 0
    .kernarg_segment_align: 8
    .kernarg_segment_size: 40
    .language:       OpenCL C
    .language_version:
      - 2
      - 0
    .max_flat_workgroup_size: 256
    .name:           _ZN7rocprim17ROCPRIM_400000_NS6detail17trampoline_kernelINS0_14default_configENS1_20scan_config_selectorIjEEZZNS1_9scan_implILNS1_25lookback_scan_determinismE0ELb0ELb0ES3_N6thrust23THRUST_200600_302600_NS6detail15normal_iteratorINS9_10device_ptrIjEEEENS9_16discard_iteratorINS9_11use_defaultEEEj11max_functorIjEjEEDaPvRmT3_T4_T5_mT6_P12ihipStream_tbENKUlT_T0_E_clISt17integral_constantIbLb0EESW_IbLb1EEEEDaSS_ST_EUlSS_E0_NS1_11comp_targetILNS1_3genE2ELNS1_11target_archE906ELNS1_3gpuE6ELNS1_3repE0EEENS1_30default_config_static_selectorELNS0_4arch9wavefront6targetE1EEEvT1_
    .private_segment_fixed_size: 0
    .sgpr_count:     4
    .sgpr_spill_count: 0
    .symbol:         _ZN7rocprim17ROCPRIM_400000_NS6detail17trampoline_kernelINS0_14default_configENS1_20scan_config_selectorIjEEZZNS1_9scan_implILNS1_25lookback_scan_determinismE0ELb0ELb0ES3_N6thrust23THRUST_200600_302600_NS6detail15normal_iteratorINS9_10device_ptrIjEEEENS9_16discard_iteratorINS9_11use_defaultEEEj11max_functorIjEjEEDaPvRmT3_T4_T5_mT6_P12ihipStream_tbENKUlT_T0_E_clISt17integral_constantIbLb0EESW_IbLb1EEEEDaSS_ST_EUlSS_E0_NS1_11comp_targetILNS1_3genE2ELNS1_11target_archE906ELNS1_3gpuE6ELNS1_3repE0EEENS1_30default_config_static_selectorELNS0_4arch9wavefront6targetE1EEEvT1_.kd
    .uniform_work_group_size: 1
    .uses_dynamic_stack: false
    .vgpr_count:     0
    .vgpr_spill_count: 0
    .wavefront_size: 64
  - .agpr_count:     0
    .args:
      - .offset:         0
        .size:           40
        .value_kind:     by_value
    .group_segment_fixed_size: 0
    .kernarg_segment_align: 8
    .kernarg_segment_size: 40
    .language:       OpenCL C
    .language_version:
      - 2
      - 0
    .max_flat_workgroup_size: 256
    .name:           _ZN7rocprim17ROCPRIM_400000_NS6detail17trampoline_kernelINS0_14default_configENS1_20scan_config_selectorIjEEZZNS1_9scan_implILNS1_25lookback_scan_determinismE0ELb0ELb0ES3_N6thrust23THRUST_200600_302600_NS6detail15normal_iteratorINS9_10device_ptrIjEEEENS9_16discard_iteratorINS9_11use_defaultEEEj11max_functorIjEjEEDaPvRmT3_T4_T5_mT6_P12ihipStream_tbENKUlT_T0_E_clISt17integral_constantIbLb0EESW_IbLb1EEEEDaSS_ST_EUlSS_E0_NS1_11comp_targetILNS1_3genE10ELNS1_11target_archE1201ELNS1_3gpuE5ELNS1_3repE0EEENS1_30default_config_static_selectorELNS0_4arch9wavefront6targetE1EEEvT1_
    .private_segment_fixed_size: 0
    .sgpr_count:     4
    .sgpr_spill_count: 0
    .symbol:         _ZN7rocprim17ROCPRIM_400000_NS6detail17trampoline_kernelINS0_14default_configENS1_20scan_config_selectorIjEEZZNS1_9scan_implILNS1_25lookback_scan_determinismE0ELb0ELb0ES3_N6thrust23THRUST_200600_302600_NS6detail15normal_iteratorINS9_10device_ptrIjEEEENS9_16discard_iteratorINS9_11use_defaultEEEj11max_functorIjEjEEDaPvRmT3_T4_T5_mT6_P12ihipStream_tbENKUlT_T0_E_clISt17integral_constantIbLb0EESW_IbLb1EEEEDaSS_ST_EUlSS_E0_NS1_11comp_targetILNS1_3genE10ELNS1_11target_archE1201ELNS1_3gpuE5ELNS1_3repE0EEENS1_30default_config_static_selectorELNS0_4arch9wavefront6targetE1EEEvT1_.kd
    .uniform_work_group_size: 1
    .uses_dynamic_stack: false
    .vgpr_count:     0
    .vgpr_spill_count: 0
    .wavefront_size: 64
  - .agpr_count:     0
    .args:
      - .offset:         0
        .size:           40
        .value_kind:     by_value
    .group_segment_fixed_size: 0
    .kernarg_segment_align: 8
    .kernarg_segment_size: 40
    .language:       OpenCL C
    .language_version:
      - 2
      - 0
    .max_flat_workgroup_size: 256
    .name:           _ZN7rocprim17ROCPRIM_400000_NS6detail17trampoline_kernelINS0_14default_configENS1_20scan_config_selectorIjEEZZNS1_9scan_implILNS1_25lookback_scan_determinismE0ELb0ELb0ES3_N6thrust23THRUST_200600_302600_NS6detail15normal_iteratorINS9_10device_ptrIjEEEENS9_16discard_iteratorINS9_11use_defaultEEEj11max_functorIjEjEEDaPvRmT3_T4_T5_mT6_P12ihipStream_tbENKUlT_T0_E_clISt17integral_constantIbLb0EESW_IbLb1EEEEDaSS_ST_EUlSS_E0_NS1_11comp_targetILNS1_3genE10ELNS1_11target_archE1200ELNS1_3gpuE4ELNS1_3repE0EEENS1_30default_config_static_selectorELNS0_4arch9wavefront6targetE1EEEvT1_
    .private_segment_fixed_size: 0
    .sgpr_count:     4
    .sgpr_spill_count: 0
    .symbol:         _ZN7rocprim17ROCPRIM_400000_NS6detail17trampoline_kernelINS0_14default_configENS1_20scan_config_selectorIjEEZZNS1_9scan_implILNS1_25lookback_scan_determinismE0ELb0ELb0ES3_N6thrust23THRUST_200600_302600_NS6detail15normal_iteratorINS9_10device_ptrIjEEEENS9_16discard_iteratorINS9_11use_defaultEEEj11max_functorIjEjEEDaPvRmT3_T4_T5_mT6_P12ihipStream_tbENKUlT_T0_E_clISt17integral_constantIbLb0EESW_IbLb1EEEEDaSS_ST_EUlSS_E0_NS1_11comp_targetILNS1_3genE10ELNS1_11target_archE1200ELNS1_3gpuE4ELNS1_3repE0EEENS1_30default_config_static_selectorELNS0_4arch9wavefront6targetE1EEEvT1_.kd
    .uniform_work_group_size: 1
    .uses_dynamic_stack: false
    .vgpr_count:     0
    .vgpr_spill_count: 0
    .wavefront_size: 64
  - .agpr_count:     0
    .args:
      - .offset:         0
        .size:           40
        .value_kind:     by_value
    .group_segment_fixed_size: 0
    .kernarg_segment_align: 8
    .kernarg_segment_size: 40
    .language:       OpenCL C
    .language_version:
      - 2
      - 0
    .max_flat_workgroup_size: 256
    .name:           _ZN7rocprim17ROCPRIM_400000_NS6detail17trampoline_kernelINS0_14default_configENS1_20scan_config_selectorIjEEZZNS1_9scan_implILNS1_25lookback_scan_determinismE0ELb0ELb0ES3_N6thrust23THRUST_200600_302600_NS6detail15normal_iteratorINS9_10device_ptrIjEEEENS9_16discard_iteratorINS9_11use_defaultEEEj11max_functorIjEjEEDaPvRmT3_T4_T5_mT6_P12ihipStream_tbENKUlT_T0_E_clISt17integral_constantIbLb0EESW_IbLb1EEEEDaSS_ST_EUlSS_E0_NS1_11comp_targetILNS1_3genE9ELNS1_11target_archE1100ELNS1_3gpuE3ELNS1_3repE0EEENS1_30default_config_static_selectorELNS0_4arch9wavefront6targetE1EEEvT1_
    .private_segment_fixed_size: 0
    .sgpr_count:     4
    .sgpr_spill_count: 0
    .symbol:         _ZN7rocprim17ROCPRIM_400000_NS6detail17trampoline_kernelINS0_14default_configENS1_20scan_config_selectorIjEEZZNS1_9scan_implILNS1_25lookback_scan_determinismE0ELb0ELb0ES3_N6thrust23THRUST_200600_302600_NS6detail15normal_iteratorINS9_10device_ptrIjEEEENS9_16discard_iteratorINS9_11use_defaultEEEj11max_functorIjEjEEDaPvRmT3_T4_T5_mT6_P12ihipStream_tbENKUlT_T0_E_clISt17integral_constantIbLb0EESW_IbLb1EEEEDaSS_ST_EUlSS_E0_NS1_11comp_targetILNS1_3genE9ELNS1_11target_archE1100ELNS1_3gpuE3ELNS1_3repE0EEENS1_30default_config_static_selectorELNS0_4arch9wavefront6targetE1EEEvT1_.kd
    .uniform_work_group_size: 1
    .uses_dynamic_stack: false
    .vgpr_count:     0
    .vgpr_spill_count: 0
    .wavefront_size: 64
  - .agpr_count:     0
    .args:
      - .offset:         0
        .size:           40
        .value_kind:     by_value
    .group_segment_fixed_size: 0
    .kernarg_segment_align: 8
    .kernarg_segment_size: 40
    .language:       OpenCL C
    .language_version:
      - 2
      - 0
    .max_flat_workgroup_size: 64
    .name:           _ZN7rocprim17ROCPRIM_400000_NS6detail17trampoline_kernelINS0_14default_configENS1_20scan_config_selectorIjEEZZNS1_9scan_implILNS1_25lookback_scan_determinismE0ELb0ELb0ES3_N6thrust23THRUST_200600_302600_NS6detail15normal_iteratorINS9_10device_ptrIjEEEENS9_16discard_iteratorINS9_11use_defaultEEEj11max_functorIjEjEEDaPvRmT3_T4_T5_mT6_P12ihipStream_tbENKUlT_T0_E_clISt17integral_constantIbLb0EESW_IbLb1EEEEDaSS_ST_EUlSS_E0_NS1_11comp_targetILNS1_3genE8ELNS1_11target_archE1030ELNS1_3gpuE2ELNS1_3repE0EEENS1_30default_config_static_selectorELNS0_4arch9wavefront6targetE1EEEvT1_
    .private_segment_fixed_size: 0
    .sgpr_count:     4
    .sgpr_spill_count: 0
    .symbol:         _ZN7rocprim17ROCPRIM_400000_NS6detail17trampoline_kernelINS0_14default_configENS1_20scan_config_selectorIjEEZZNS1_9scan_implILNS1_25lookback_scan_determinismE0ELb0ELb0ES3_N6thrust23THRUST_200600_302600_NS6detail15normal_iteratorINS9_10device_ptrIjEEEENS9_16discard_iteratorINS9_11use_defaultEEEj11max_functorIjEjEEDaPvRmT3_T4_T5_mT6_P12ihipStream_tbENKUlT_T0_E_clISt17integral_constantIbLb0EESW_IbLb1EEEEDaSS_ST_EUlSS_E0_NS1_11comp_targetILNS1_3genE8ELNS1_11target_archE1030ELNS1_3gpuE2ELNS1_3repE0EEENS1_30default_config_static_selectorELNS0_4arch9wavefront6targetE1EEEvT1_.kd
    .uniform_work_group_size: 1
    .uses_dynamic_stack: false
    .vgpr_count:     0
    .vgpr_spill_count: 0
    .wavefront_size: 64
  - .agpr_count:     0
    .args:
      - .offset:         0
        .size:           104
        .value_kind:     by_value
    .group_segment_fixed_size: 0
    .kernarg_segment_align: 8
    .kernarg_segment_size: 104
    .language:       OpenCL C
    .language_version:
      - 2
      - 0
    .max_flat_workgroup_size: 256
    .name:           _ZN7rocprim17ROCPRIM_400000_NS6detail17trampoline_kernelINS0_14default_configENS1_20scan_config_selectorIjEEZZNS1_9scan_implILNS1_25lookback_scan_determinismE0ELb1ELb1ES3_N6thrust23THRUST_200600_302600_NS6detail15normal_iteratorINS9_10device_ptrIjEEEENS9_16discard_iteratorINS9_11use_defaultEEEj11max_functorIjEjEEDaPvRmT3_T4_T5_mT6_P12ihipStream_tbENKUlT_T0_E_clISt17integral_constantIbLb0EESX_EEDaSS_ST_EUlSS_E_NS1_11comp_targetILNS1_3genE0ELNS1_11target_archE4294967295ELNS1_3gpuE0ELNS1_3repE0EEENS1_30default_config_static_selectorELNS0_4arch9wavefront6targetE1EEEvT1_
    .private_segment_fixed_size: 0
    .sgpr_count:     4
    .sgpr_spill_count: 0
    .symbol:         _ZN7rocprim17ROCPRIM_400000_NS6detail17trampoline_kernelINS0_14default_configENS1_20scan_config_selectorIjEEZZNS1_9scan_implILNS1_25lookback_scan_determinismE0ELb1ELb1ES3_N6thrust23THRUST_200600_302600_NS6detail15normal_iteratorINS9_10device_ptrIjEEEENS9_16discard_iteratorINS9_11use_defaultEEEj11max_functorIjEjEEDaPvRmT3_T4_T5_mT6_P12ihipStream_tbENKUlT_T0_E_clISt17integral_constantIbLb0EESX_EEDaSS_ST_EUlSS_E_NS1_11comp_targetILNS1_3genE0ELNS1_11target_archE4294967295ELNS1_3gpuE0ELNS1_3repE0EEENS1_30default_config_static_selectorELNS0_4arch9wavefront6targetE1EEEvT1_.kd
    .uniform_work_group_size: 1
    .uses_dynamic_stack: false
    .vgpr_count:     0
    .vgpr_spill_count: 0
    .wavefront_size: 64
  - .agpr_count:     0
    .args:
      - .offset:         0
        .size:           104
        .value_kind:     by_value
    .group_segment_fixed_size: 0
    .kernarg_segment_align: 8
    .kernarg_segment_size: 104
    .language:       OpenCL C
    .language_version:
      - 2
      - 0
    .max_flat_workgroup_size: 256
    .name:           _ZN7rocprim17ROCPRIM_400000_NS6detail17trampoline_kernelINS0_14default_configENS1_20scan_config_selectorIjEEZZNS1_9scan_implILNS1_25lookback_scan_determinismE0ELb1ELb1ES3_N6thrust23THRUST_200600_302600_NS6detail15normal_iteratorINS9_10device_ptrIjEEEENS9_16discard_iteratorINS9_11use_defaultEEEj11max_functorIjEjEEDaPvRmT3_T4_T5_mT6_P12ihipStream_tbENKUlT_T0_E_clISt17integral_constantIbLb0EESX_EEDaSS_ST_EUlSS_E_NS1_11comp_targetILNS1_3genE5ELNS1_11target_archE942ELNS1_3gpuE9ELNS1_3repE0EEENS1_30default_config_static_selectorELNS0_4arch9wavefront6targetE1EEEvT1_
    .private_segment_fixed_size: 0
    .sgpr_count:     4
    .sgpr_spill_count: 0
    .symbol:         _ZN7rocprim17ROCPRIM_400000_NS6detail17trampoline_kernelINS0_14default_configENS1_20scan_config_selectorIjEEZZNS1_9scan_implILNS1_25lookback_scan_determinismE0ELb1ELb1ES3_N6thrust23THRUST_200600_302600_NS6detail15normal_iteratorINS9_10device_ptrIjEEEENS9_16discard_iteratorINS9_11use_defaultEEEj11max_functorIjEjEEDaPvRmT3_T4_T5_mT6_P12ihipStream_tbENKUlT_T0_E_clISt17integral_constantIbLb0EESX_EEDaSS_ST_EUlSS_E_NS1_11comp_targetILNS1_3genE5ELNS1_11target_archE942ELNS1_3gpuE9ELNS1_3repE0EEENS1_30default_config_static_selectorELNS0_4arch9wavefront6targetE1EEEvT1_.kd
    .uniform_work_group_size: 1
    .uses_dynamic_stack: false
    .vgpr_count:     0
    .vgpr_spill_count: 0
    .wavefront_size: 64
  - .agpr_count:     0
    .args:
      - .offset:         0
        .size:           104
        .value_kind:     by_value
    .group_segment_fixed_size: 5120
    .kernarg_segment_align: 8
    .kernarg_segment_size: 104
    .language:       OpenCL C
    .language_version:
      - 2
      - 0
    .max_flat_workgroup_size: 128
    .name:           _ZN7rocprim17ROCPRIM_400000_NS6detail17trampoline_kernelINS0_14default_configENS1_20scan_config_selectorIjEEZZNS1_9scan_implILNS1_25lookback_scan_determinismE0ELb1ELb1ES3_N6thrust23THRUST_200600_302600_NS6detail15normal_iteratorINS9_10device_ptrIjEEEENS9_16discard_iteratorINS9_11use_defaultEEEj11max_functorIjEjEEDaPvRmT3_T4_T5_mT6_P12ihipStream_tbENKUlT_T0_E_clISt17integral_constantIbLb0EESX_EEDaSS_ST_EUlSS_E_NS1_11comp_targetILNS1_3genE4ELNS1_11target_archE910ELNS1_3gpuE8ELNS1_3repE0EEENS1_30default_config_static_selectorELNS0_4arch9wavefront6targetE1EEEvT1_
    .private_segment_fixed_size: 0
    .sgpr_count:     27
    .sgpr_spill_count: 0
    .symbol:         _ZN7rocprim17ROCPRIM_400000_NS6detail17trampoline_kernelINS0_14default_configENS1_20scan_config_selectorIjEEZZNS1_9scan_implILNS1_25lookback_scan_determinismE0ELb1ELb1ES3_N6thrust23THRUST_200600_302600_NS6detail15normal_iteratorINS9_10device_ptrIjEEEENS9_16discard_iteratorINS9_11use_defaultEEEj11max_functorIjEjEEDaPvRmT3_T4_T5_mT6_P12ihipStream_tbENKUlT_T0_E_clISt17integral_constantIbLb0EESX_EEDaSS_ST_EUlSS_E_NS1_11comp_targetILNS1_3genE4ELNS1_11target_archE910ELNS1_3gpuE8ELNS1_3repE0EEENS1_30default_config_static_selectorELNS0_4arch9wavefront6targetE1EEEvT1_.kd
    .uniform_work_group_size: 1
    .uses_dynamic_stack: false
    .vgpr_count:     40
    .vgpr_spill_count: 0
    .wavefront_size: 64
  - .agpr_count:     0
    .args:
      - .offset:         0
        .size:           104
        .value_kind:     by_value
    .group_segment_fixed_size: 0
    .kernarg_segment_align: 8
    .kernarg_segment_size: 104
    .language:       OpenCL C
    .language_version:
      - 2
      - 0
    .max_flat_workgroup_size: 256
    .name:           _ZN7rocprim17ROCPRIM_400000_NS6detail17trampoline_kernelINS0_14default_configENS1_20scan_config_selectorIjEEZZNS1_9scan_implILNS1_25lookback_scan_determinismE0ELb1ELb1ES3_N6thrust23THRUST_200600_302600_NS6detail15normal_iteratorINS9_10device_ptrIjEEEENS9_16discard_iteratorINS9_11use_defaultEEEj11max_functorIjEjEEDaPvRmT3_T4_T5_mT6_P12ihipStream_tbENKUlT_T0_E_clISt17integral_constantIbLb0EESX_EEDaSS_ST_EUlSS_E_NS1_11comp_targetILNS1_3genE3ELNS1_11target_archE908ELNS1_3gpuE7ELNS1_3repE0EEENS1_30default_config_static_selectorELNS0_4arch9wavefront6targetE1EEEvT1_
    .private_segment_fixed_size: 0
    .sgpr_count:     4
    .sgpr_spill_count: 0
    .symbol:         _ZN7rocprim17ROCPRIM_400000_NS6detail17trampoline_kernelINS0_14default_configENS1_20scan_config_selectorIjEEZZNS1_9scan_implILNS1_25lookback_scan_determinismE0ELb1ELb1ES3_N6thrust23THRUST_200600_302600_NS6detail15normal_iteratorINS9_10device_ptrIjEEEENS9_16discard_iteratorINS9_11use_defaultEEEj11max_functorIjEjEEDaPvRmT3_T4_T5_mT6_P12ihipStream_tbENKUlT_T0_E_clISt17integral_constantIbLb0EESX_EEDaSS_ST_EUlSS_E_NS1_11comp_targetILNS1_3genE3ELNS1_11target_archE908ELNS1_3gpuE7ELNS1_3repE0EEENS1_30default_config_static_selectorELNS0_4arch9wavefront6targetE1EEEvT1_.kd
    .uniform_work_group_size: 1
    .uses_dynamic_stack: false
    .vgpr_count:     0
    .vgpr_spill_count: 0
    .wavefront_size: 64
  - .agpr_count:     0
    .args:
      - .offset:         0
        .size:           104
        .value_kind:     by_value
    .group_segment_fixed_size: 0
    .kernarg_segment_align: 8
    .kernarg_segment_size: 104
    .language:       OpenCL C
    .language_version:
      - 2
      - 0
    .max_flat_workgroup_size: 256
    .name:           _ZN7rocprim17ROCPRIM_400000_NS6detail17trampoline_kernelINS0_14default_configENS1_20scan_config_selectorIjEEZZNS1_9scan_implILNS1_25lookback_scan_determinismE0ELb1ELb1ES3_N6thrust23THRUST_200600_302600_NS6detail15normal_iteratorINS9_10device_ptrIjEEEENS9_16discard_iteratorINS9_11use_defaultEEEj11max_functorIjEjEEDaPvRmT3_T4_T5_mT6_P12ihipStream_tbENKUlT_T0_E_clISt17integral_constantIbLb0EESX_EEDaSS_ST_EUlSS_E_NS1_11comp_targetILNS1_3genE2ELNS1_11target_archE906ELNS1_3gpuE6ELNS1_3repE0EEENS1_30default_config_static_selectorELNS0_4arch9wavefront6targetE1EEEvT1_
    .private_segment_fixed_size: 0
    .sgpr_count:     4
    .sgpr_spill_count: 0
    .symbol:         _ZN7rocprim17ROCPRIM_400000_NS6detail17trampoline_kernelINS0_14default_configENS1_20scan_config_selectorIjEEZZNS1_9scan_implILNS1_25lookback_scan_determinismE0ELb1ELb1ES3_N6thrust23THRUST_200600_302600_NS6detail15normal_iteratorINS9_10device_ptrIjEEEENS9_16discard_iteratorINS9_11use_defaultEEEj11max_functorIjEjEEDaPvRmT3_T4_T5_mT6_P12ihipStream_tbENKUlT_T0_E_clISt17integral_constantIbLb0EESX_EEDaSS_ST_EUlSS_E_NS1_11comp_targetILNS1_3genE2ELNS1_11target_archE906ELNS1_3gpuE6ELNS1_3repE0EEENS1_30default_config_static_selectorELNS0_4arch9wavefront6targetE1EEEvT1_.kd
    .uniform_work_group_size: 1
    .uses_dynamic_stack: false
    .vgpr_count:     0
    .vgpr_spill_count: 0
    .wavefront_size: 64
  - .agpr_count:     0
    .args:
      - .offset:         0
        .size:           104
        .value_kind:     by_value
    .group_segment_fixed_size: 0
    .kernarg_segment_align: 8
    .kernarg_segment_size: 104
    .language:       OpenCL C
    .language_version:
      - 2
      - 0
    .max_flat_workgroup_size: 256
    .name:           _ZN7rocprim17ROCPRIM_400000_NS6detail17trampoline_kernelINS0_14default_configENS1_20scan_config_selectorIjEEZZNS1_9scan_implILNS1_25lookback_scan_determinismE0ELb1ELb1ES3_N6thrust23THRUST_200600_302600_NS6detail15normal_iteratorINS9_10device_ptrIjEEEENS9_16discard_iteratorINS9_11use_defaultEEEj11max_functorIjEjEEDaPvRmT3_T4_T5_mT6_P12ihipStream_tbENKUlT_T0_E_clISt17integral_constantIbLb0EESX_EEDaSS_ST_EUlSS_E_NS1_11comp_targetILNS1_3genE10ELNS1_11target_archE1201ELNS1_3gpuE5ELNS1_3repE0EEENS1_30default_config_static_selectorELNS0_4arch9wavefront6targetE1EEEvT1_
    .private_segment_fixed_size: 0
    .sgpr_count:     4
    .sgpr_spill_count: 0
    .symbol:         _ZN7rocprim17ROCPRIM_400000_NS6detail17trampoline_kernelINS0_14default_configENS1_20scan_config_selectorIjEEZZNS1_9scan_implILNS1_25lookback_scan_determinismE0ELb1ELb1ES3_N6thrust23THRUST_200600_302600_NS6detail15normal_iteratorINS9_10device_ptrIjEEEENS9_16discard_iteratorINS9_11use_defaultEEEj11max_functorIjEjEEDaPvRmT3_T4_T5_mT6_P12ihipStream_tbENKUlT_T0_E_clISt17integral_constantIbLb0EESX_EEDaSS_ST_EUlSS_E_NS1_11comp_targetILNS1_3genE10ELNS1_11target_archE1201ELNS1_3gpuE5ELNS1_3repE0EEENS1_30default_config_static_selectorELNS0_4arch9wavefront6targetE1EEEvT1_.kd
    .uniform_work_group_size: 1
    .uses_dynamic_stack: false
    .vgpr_count:     0
    .vgpr_spill_count: 0
    .wavefront_size: 64
  - .agpr_count:     0
    .args:
      - .offset:         0
        .size:           104
        .value_kind:     by_value
    .group_segment_fixed_size: 0
    .kernarg_segment_align: 8
    .kernarg_segment_size: 104
    .language:       OpenCL C
    .language_version:
      - 2
      - 0
    .max_flat_workgroup_size: 256
    .name:           _ZN7rocprim17ROCPRIM_400000_NS6detail17trampoline_kernelINS0_14default_configENS1_20scan_config_selectorIjEEZZNS1_9scan_implILNS1_25lookback_scan_determinismE0ELb1ELb1ES3_N6thrust23THRUST_200600_302600_NS6detail15normal_iteratorINS9_10device_ptrIjEEEENS9_16discard_iteratorINS9_11use_defaultEEEj11max_functorIjEjEEDaPvRmT3_T4_T5_mT6_P12ihipStream_tbENKUlT_T0_E_clISt17integral_constantIbLb0EESX_EEDaSS_ST_EUlSS_E_NS1_11comp_targetILNS1_3genE10ELNS1_11target_archE1200ELNS1_3gpuE4ELNS1_3repE0EEENS1_30default_config_static_selectorELNS0_4arch9wavefront6targetE1EEEvT1_
    .private_segment_fixed_size: 0
    .sgpr_count:     4
    .sgpr_spill_count: 0
    .symbol:         _ZN7rocprim17ROCPRIM_400000_NS6detail17trampoline_kernelINS0_14default_configENS1_20scan_config_selectorIjEEZZNS1_9scan_implILNS1_25lookback_scan_determinismE0ELb1ELb1ES3_N6thrust23THRUST_200600_302600_NS6detail15normal_iteratorINS9_10device_ptrIjEEEENS9_16discard_iteratorINS9_11use_defaultEEEj11max_functorIjEjEEDaPvRmT3_T4_T5_mT6_P12ihipStream_tbENKUlT_T0_E_clISt17integral_constantIbLb0EESX_EEDaSS_ST_EUlSS_E_NS1_11comp_targetILNS1_3genE10ELNS1_11target_archE1200ELNS1_3gpuE4ELNS1_3repE0EEENS1_30default_config_static_selectorELNS0_4arch9wavefront6targetE1EEEvT1_.kd
    .uniform_work_group_size: 1
    .uses_dynamic_stack: false
    .vgpr_count:     0
    .vgpr_spill_count: 0
    .wavefront_size: 64
  - .agpr_count:     0
    .args:
      - .offset:         0
        .size:           104
        .value_kind:     by_value
    .group_segment_fixed_size: 0
    .kernarg_segment_align: 8
    .kernarg_segment_size: 104
    .language:       OpenCL C
    .language_version:
      - 2
      - 0
    .max_flat_workgroup_size: 256
    .name:           _ZN7rocprim17ROCPRIM_400000_NS6detail17trampoline_kernelINS0_14default_configENS1_20scan_config_selectorIjEEZZNS1_9scan_implILNS1_25lookback_scan_determinismE0ELb1ELb1ES3_N6thrust23THRUST_200600_302600_NS6detail15normal_iteratorINS9_10device_ptrIjEEEENS9_16discard_iteratorINS9_11use_defaultEEEj11max_functorIjEjEEDaPvRmT3_T4_T5_mT6_P12ihipStream_tbENKUlT_T0_E_clISt17integral_constantIbLb0EESX_EEDaSS_ST_EUlSS_E_NS1_11comp_targetILNS1_3genE9ELNS1_11target_archE1100ELNS1_3gpuE3ELNS1_3repE0EEENS1_30default_config_static_selectorELNS0_4arch9wavefront6targetE1EEEvT1_
    .private_segment_fixed_size: 0
    .sgpr_count:     4
    .sgpr_spill_count: 0
    .symbol:         _ZN7rocprim17ROCPRIM_400000_NS6detail17trampoline_kernelINS0_14default_configENS1_20scan_config_selectorIjEEZZNS1_9scan_implILNS1_25lookback_scan_determinismE0ELb1ELb1ES3_N6thrust23THRUST_200600_302600_NS6detail15normal_iteratorINS9_10device_ptrIjEEEENS9_16discard_iteratorINS9_11use_defaultEEEj11max_functorIjEjEEDaPvRmT3_T4_T5_mT6_P12ihipStream_tbENKUlT_T0_E_clISt17integral_constantIbLb0EESX_EEDaSS_ST_EUlSS_E_NS1_11comp_targetILNS1_3genE9ELNS1_11target_archE1100ELNS1_3gpuE3ELNS1_3repE0EEENS1_30default_config_static_selectorELNS0_4arch9wavefront6targetE1EEEvT1_.kd
    .uniform_work_group_size: 1
    .uses_dynamic_stack: false
    .vgpr_count:     0
    .vgpr_spill_count: 0
    .wavefront_size: 64
  - .agpr_count:     0
    .args:
      - .offset:         0
        .size:           104
        .value_kind:     by_value
    .group_segment_fixed_size: 0
    .kernarg_segment_align: 8
    .kernarg_segment_size: 104
    .language:       OpenCL C
    .language_version:
      - 2
      - 0
    .max_flat_workgroup_size: 64
    .name:           _ZN7rocprim17ROCPRIM_400000_NS6detail17trampoline_kernelINS0_14default_configENS1_20scan_config_selectorIjEEZZNS1_9scan_implILNS1_25lookback_scan_determinismE0ELb1ELb1ES3_N6thrust23THRUST_200600_302600_NS6detail15normal_iteratorINS9_10device_ptrIjEEEENS9_16discard_iteratorINS9_11use_defaultEEEj11max_functorIjEjEEDaPvRmT3_T4_T5_mT6_P12ihipStream_tbENKUlT_T0_E_clISt17integral_constantIbLb0EESX_EEDaSS_ST_EUlSS_E_NS1_11comp_targetILNS1_3genE8ELNS1_11target_archE1030ELNS1_3gpuE2ELNS1_3repE0EEENS1_30default_config_static_selectorELNS0_4arch9wavefront6targetE1EEEvT1_
    .private_segment_fixed_size: 0
    .sgpr_count:     4
    .sgpr_spill_count: 0
    .symbol:         _ZN7rocprim17ROCPRIM_400000_NS6detail17trampoline_kernelINS0_14default_configENS1_20scan_config_selectorIjEEZZNS1_9scan_implILNS1_25lookback_scan_determinismE0ELb1ELb1ES3_N6thrust23THRUST_200600_302600_NS6detail15normal_iteratorINS9_10device_ptrIjEEEENS9_16discard_iteratorINS9_11use_defaultEEEj11max_functorIjEjEEDaPvRmT3_T4_T5_mT6_P12ihipStream_tbENKUlT_T0_E_clISt17integral_constantIbLb0EESX_EEDaSS_ST_EUlSS_E_NS1_11comp_targetILNS1_3genE8ELNS1_11target_archE1030ELNS1_3gpuE2ELNS1_3repE0EEENS1_30default_config_static_selectorELNS0_4arch9wavefront6targetE1EEEvT1_.kd
    .uniform_work_group_size: 1
    .uses_dynamic_stack: false
    .vgpr_count:     0
    .vgpr_spill_count: 0
    .wavefront_size: 64
  - .agpr_count:     0
    .args:
      - .offset:         0
        .size:           40
        .value_kind:     by_value
    .group_segment_fixed_size: 0
    .kernarg_segment_align: 8
    .kernarg_segment_size: 40
    .language:       OpenCL C
    .language_version:
      - 2
      - 0
    .max_flat_workgroup_size: 256
    .name:           _ZN7rocprim17ROCPRIM_400000_NS6detail17trampoline_kernelINS0_14default_configENS1_20scan_config_selectorIjEEZZNS1_9scan_implILNS1_25lookback_scan_determinismE0ELb1ELb1ES3_N6thrust23THRUST_200600_302600_NS6detail15normal_iteratorINS9_10device_ptrIjEEEENS9_16discard_iteratorINS9_11use_defaultEEEj11max_functorIjEjEEDaPvRmT3_T4_T5_mT6_P12ihipStream_tbENKUlT_T0_E_clISt17integral_constantIbLb0EESX_EEDaSS_ST_EUlSS_E0_NS1_11comp_targetILNS1_3genE0ELNS1_11target_archE4294967295ELNS1_3gpuE0ELNS1_3repE0EEENS1_30default_config_static_selectorELNS0_4arch9wavefront6targetE1EEEvT1_
    .private_segment_fixed_size: 0
    .sgpr_count:     4
    .sgpr_spill_count: 0
    .symbol:         _ZN7rocprim17ROCPRIM_400000_NS6detail17trampoline_kernelINS0_14default_configENS1_20scan_config_selectorIjEEZZNS1_9scan_implILNS1_25lookback_scan_determinismE0ELb1ELb1ES3_N6thrust23THRUST_200600_302600_NS6detail15normal_iteratorINS9_10device_ptrIjEEEENS9_16discard_iteratorINS9_11use_defaultEEEj11max_functorIjEjEEDaPvRmT3_T4_T5_mT6_P12ihipStream_tbENKUlT_T0_E_clISt17integral_constantIbLb0EESX_EEDaSS_ST_EUlSS_E0_NS1_11comp_targetILNS1_3genE0ELNS1_11target_archE4294967295ELNS1_3gpuE0ELNS1_3repE0EEENS1_30default_config_static_selectorELNS0_4arch9wavefront6targetE1EEEvT1_.kd
    .uniform_work_group_size: 1
    .uses_dynamic_stack: false
    .vgpr_count:     0
    .vgpr_spill_count: 0
    .wavefront_size: 64
  - .agpr_count:     0
    .args:
      - .offset:         0
        .size:           40
        .value_kind:     by_value
    .group_segment_fixed_size: 0
    .kernarg_segment_align: 8
    .kernarg_segment_size: 40
    .language:       OpenCL C
    .language_version:
      - 2
      - 0
    .max_flat_workgroup_size: 256
    .name:           _ZN7rocprim17ROCPRIM_400000_NS6detail17trampoline_kernelINS0_14default_configENS1_20scan_config_selectorIjEEZZNS1_9scan_implILNS1_25lookback_scan_determinismE0ELb1ELb1ES3_N6thrust23THRUST_200600_302600_NS6detail15normal_iteratorINS9_10device_ptrIjEEEENS9_16discard_iteratorINS9_11use_defaultEEEj11max_functorIjEjEEDaPvRmT3_T4_T5_mT6_P12ihipStream_tbENKUlT_T0_E_clISt17integral_constantIbLb0EESX_EEDaSS_ST_EUlSS_E0_NS1_11comp_targetILNS1_3genE5ELNS1_11target_archE942ELNS1_3gpuE9ELNS1_3repE0EEENS1_30default_config_static_selectorELNS0_4arch9wavefront6targetE1EEEvT1_
    .private_segment_fixed_size: 0
    .sgpr_count:     4
    .sgpr_spill_count: 0
    .symbol:         _ZN7rocprim17ROCPRIM_400000_NS6detail17trampoline_kernelINS0_14default_configENS1_20scan_config_selectorIjEEZZNS1_9scan_implILNS1_25lookback_scan_determinismE0ELb1ELb1ES3_N6thrust23THRUST_200600_302600_NS6detail15normal_iteratorINS9_10device_ptrIjEEEENS9_16discard_iteratorINS9_11use_defaultEEEj11max_functorIjEjEEDaPvRmT3_T4_T5_mT6_P12ihipStream_tbENKUlT_T0_E_clISt17integral_constantIbLb0EESX_EEDaSS_ST_EUlSS_E0_NS1_11comp_targetILNS1_3genE5ELNS1_11target_archE942ELNS1_3gpuE9ELNS1_3repE0EEENS1_30default_config_static_selectorELNS0_4arch9wavefront6targetE1EEEvT1_.kd
    .uniform_work_group_size: 1
    .uses_dynamic_stack: false
    .vgpr_count:     0
    .vgpr_spill_count: 0
    .wavefront_size: 64
  - .agpr_count:     0
    .args:
      - .offset:         0
        .size:           40
        .value_kind:     by_value
    .group_segment_fixed_size: 5120
    .kernarg_segment_align: 8
    .kernarg_segment_size: 40
    .language:       OpenCL C
    .language_version:
      - 2
      - 0
    .max_flat_workgroup_size: 128
    .name:           _ZN7rocprim17ROCPRIM_400000_NS6detail17trampoline_kernelINS0_14default_configENS1_20scan_config_selectorIjEEZZNS1_9scan_implILNS1_25lookback_scan_determinismE0ELb1ELb1ES3_N6thrust23THRUST_200600_302600_NS6detail15normal_iteratorINS9_10device_ptrIjEEEENS9_16discard_iteratorINS9_11use_defaultEEEj11max_functorIjEjEEDaPvRmT3_T4_T5_mT6_P12ihipStream_tbENKUlT_T0_E_clISt17integral_constantIbLb0EESX_EEDaSS_ST_EUlSS_E0_NS1_11comp_targetILNS1_3genE4ELNS1_11target_archE910ELNS1_3gpuE8ELNS1_3repE0EEENS1_30default_config_static_selectorELNS0_4arch9wavefront6targetE1EEEvT1_
    .private_segment_fixed_size: 0
    .sgpr_count:     12
    .sgpr_spill_count: 0
    .symbol:         _ZN7rocprim17ROCPRIM_400000_NS6detail17trampoline_kernelINS0_14default_configENS1_20scan_config_selectorIjEEZZNS1_9scan_implILNS1_25lookback_scan_determinismE0ELb1ELb1ES3_N6thrust23THRUST_200600_302600_NS6detail15normal_iteratorINS9_10device_ptrIjEEEENS9_16discard_iteratorINS9_11use_defaultEEEj11max_functorIjEjEEDaPvRmT3_T4_T5_mT6_P12ihipStream_tbENKUlT_T0_E_clISt17integral_constantIbLb0EESX_EEDaSS_ST_EUlSS_E0_NS1_11comp_targetILNS1_3genE4ELNS1_11target_archE910ELNS1_3gpuE8ELNS1_3repE0EEENS1_30default_config_static_selectorELNS0_4arch9wavefront6targetE1EEEvT1_.kd
    .uniform_work_group_size: 1
    .uses_dynamic_stack: false
    .vgpr_count:     18
    .vgpr_spill_count: 0
    .wavefront_size: 64
  - .agpr_count:     0
    .args:
      - .offset:         0
        .size:           40
        .value_kind:     by_value
    .group_segment_fixed_size: 0
    .kernarg_segment_align: 8
    .kernarg_segment_size: 40
    .language:       OpenCL C
    .language_version:
      - 2
      - 0
    .max_flat_workgroup_size: 256
    .name:           _ZN7rocprim17ROCPRIM_400000_NS6detail17trampoline_kernelINS0_14default_configENS1_20scan_config_selectorIjEEZZNS1_9scan_implILNS1_25lookback_scan_determinismE0ELb1ELb1ES3_N6thrust23THRUST_200600_302600_NS6detail15normal_iteratorINS9_10device_ptrIjEEEENS9_16discard_iteratorINS9_11use_defaultEEEj11max_functorIjEjEEDaPvRmT3_T4_T5_mT6_P12ihipStream_tbENKUlT_T0_E_clISt17integral_constantIbLb0EESX_EEDaSS_ST_EUlSS_E0_NS1_11comp_targetILNS1_3genE3ELNS1_11target_archE908ELNS1_3gpuE7ELNS1_3repE0EEENS1_30default_config_static_selectorELNS0_4arch9wavefront6targetE1EEEvT1_
    .private_segment_fixed_size: 0
    .sgpr_count:     4
    .sgpr_spill_count: 0
    .symbol:         _ZN7rocprim17ROCPRIM_400000_NS6detail17trampoline_kernelINS0_14default_configENS1_20scan_config_selectorIjEEZZNS1_9scan_implILNS1_25lookback_scan_determinismE0ELb1ELb1ES3_N6thrust23THRUST_200600_302600_NS6detail15normal_iteratorINS9_10device_ptrIjEEEENS9_16discard_iteratorINS9_11use_defaultEEEj11max_functorIjEjEEDaPvRmT3_T4_T5_mT6_P12ihipStream_tbENKUlT_T0_E_clISt17integral_constantIbLb0EESX_EEDaSS_ST_EUlSS_E0_NS1_11comp_targetILNS1_3genE3ELNS1_11target_archE908ELNS1_3gpuE7ELNS1_3repE0EEENS1_30default_config_static_selectorELNS0_4arch9wavefront6targetE1EEEvT1_.kd
    .uniform_work_group_size: 1
    .uses_dynamic_stack: false
    .vgpr_count:     0
    .vgpr_spill_count: 0
    .wavefront_size: 64
  - .agpr_count:     0
    .args:
      - .offset:         0
        .size:           40
        .value_kind:     by_value
    .group_segment_fixed_size: 0
    .kernarg_segment_align: 8
    .kernarg_segment_size: 40
    .language:       OpenCL C
    .language_version:
      - 2
      - 0
    .max_flat_workgroup_size: 256
    .name:           _ZN7rocprim17ROCPRIM_400000_NS6detail17trampoline_kernelINS0_14default_configENS1_20scan_config_selectorIjEEZZNS1_9scan_implILNS1_25lookback_scan_determinismE0ELb1ELb1ES3_N6thrust23THRUST_200600_302600_NS6detail15normal_iteratorINS9_10device_ptrIjEEEENS9_16discard_iteratorINS9_11use_defaultEEEj11max_functorIjEjEEDaPvRmT3_T4_T5_mT6_P12ihipStream_tbENKUlT_T0_E_clISt17integral_constantIbLb0EESX_EEDaSS_ST_EUlSS_E0_NS1_11comp_targetILNS1_3genE2ELNS1_11target_archE906ELNS1_3gpuE6ELNS1_3repE0EEENS1_30default_config_static_selectorELNS0_4arch9wavefront6targetE1EEEvT1_
    .private_segment_fixed_size: 0
    .sgpr_count:     4
    .sgpr_spill_count: 0
    .symbol:         _ZN7rocprim17ROCPRIM_400000_NS6detail17trampoline_kernelINS0_14default_configENS1_20scan_config_selectorIjEEZZNS1_9scan_implILNS1_25lookback_scan_determinismE0ELb1ELb1ES3_N6thrust23THRUST_200600_302600_NS6detail15normal_iteratorINS9_10device_ptrIjEEEENS9_16discard_iteratorINS9_11use_defaultEEEj11max_functorIjEjEEDaPvRmT3_T4_T5_mT6_P12ihipStream_tbENKUlT_T0_E_clISt17integral_constantIbLb0EESX_EEDaSS_ST_EUlSS_E0_NS1_11comp_targetILNS1_3genE2ELNS1_11target_archE906ELNS1_3gpuE6ELNS1_3repE0EEENS1_30default_config_static_selectorELNS0_4arch9wavefront6targetE1EEEvT1_.kd
    .uniform_work_group_size: 1
    .uses_dynamic_stack: false
    .vgpr_count:     0
    .vgpr_spill_count: 0
    .wavefront_size: 64
  - .agpr_count:     0
    .args:
      - .offset:         0
        .size:           40
        .value_kind:     by_value
    .group_segment_fixed_size: 0
    .kernarg_segment_align: 8
    .kernarg_segment_size: 40
    .language:       OpenCL C
    .language_version:
      - 2
      - 0
    .max_flat_workgroup_size: 256
    .name:           _ZN7rocprim17ROCPRIM_400000_NS6detail17trampoline_kernelINS0_14default_configENS1_20scan_config_selectorIjEEZZNS1_9scan_implILNS1_25lookback_scan_determinismE0ELb1ELb1ES3_N6thrust23THRUST_200600_302600_NS6detail15normal_iteratorINS9_10device_ptrIjEEEENS9_16discard_iteratorINS9_11use_defaultEEEj11max_functorIjEjEEDaPvRmT3_T4_T5_mT6_P12ihipStream_tbENKUlT_T0_E_clISt17integral_constantIbLb0EESX_EEDaSS_ST_EUlSS_E0_NS1_11comp_targetILNS1_3genE10ELNS1_11target_archE1201ELNS1_3gpuE5ELNS1_3repE0EEENS1_30default_config_static_selectorELNS0_4arch9wavefront6targetE1EEEvT1_
    .private_segment_fixed_size: 0
    .sgpr_count:     4
    .sgpr_spill_count: 0
    .symbol:         _ZN7rocprim17ROCPRIM_400000_NS6detail17trampoline_kernelINS0_14default_configENS1_20scan_config_selectorIjEEZZNS1_9scan_implILNS1_25lookback_scan_determinismE0ELb1ELb1ES3_N6thrust23THRUST_200600_302600_NS6detail15normal_iteratorINS9_10device_ptrIjEEEENS9_16discard_iteratorINS9_11use_defaultEEEj11max_functorIjEjEEDaPvRmT3_T4_T5_mT6_P12ihipStream_tbENKUlT_T0_E_clISt17integral_constantIbLb0EESX_EEDaSS_ST_EUlSS_E0_NS1_11comp_targetILNS1_3genE10ELNS1_11target_archE1201ELNS1_3gpuE5ELNS1_3repE0EEENS1_30default_config_static_selectorELNS0_4arch9wavefront6targetE1EEEvT1_.kd
    .uniform_work_group_size: 1
    .uses_dynamic_stack: false
    .vgpr_count:     0
    .vgpr_spill_count: 0
    .wavefront_size: 64
  - .agpr_count:     0
    .args:
      - .offset:         0
        .size:           40
        .value_kind:     by_value
    .group_segment_fixed_size: 0
    .kernarg_segment_align: 8
    .kernarg_segment_size: 40
    .language:       OpenCL C
    .language_version:
      - 2
      - 0
    .max_flat_workgroup_size: 256
    .name:           _ZN7rocprim17ROCPRIM_400000_NS6detail17trampoline_kernelINS0_14default_configENS1_20scan_config_selectorIjEEZZNS1_9scan_implILNS1_25lookback_scan_determinismE0ELb1ELb1ES3_N6thrust23THRUST_200600_302600_NS6detail15normal_iteratorINS9_10device_ptrIjEEEENS9_16discard_iteratorINS9_11use_defaultEEEj11max_functorIjEjEEDaPvRmT3_T4_T5_mT6_P12ihipStream_tbENKUlT_T0_E_clISt17integral_constantIbLb0EESX_EEDaSS_ST_EUlSS_E0_NS1_11comp_targetILNS1_3genE10ELNS1_11target_archE1200ELNS1_3gpuE4ELNS1_3repE0EEENS1_30default_config_static_selectorELNS0_4arch9wavefront6targetE1EEEvT1_
    .private_segment_fixed_size: 0
    .sgpr_count:     4
    .sgpr_spill_count: 0
    .symbol:         _ZN7rocprim17ROCPRIM_400000_NS6detail17trampoline_kernelINS0_14default_configENS1_20scan_config_selectorIjEEZZNS1_9scan_implILNS1_25lookback_scan_determinismE0ELb1ELb1ES3_N6thrust23THRUST_200600_302600_NS6detail15normal_iteratorINS9_10device_ptrIjEEEENS9_16discard_iteratorINS9_11use_defaultEEEj11max_functorIjEjEEDaPvRmT3_T4_T5_mT6_P12ihipStream_tbENKUlT_T0_E_clISt17integral_constantIbLb0EESX_EEDaSS_ST_EUlSS_E0_NS1_11comp_targetILNS1_3genE10ELNS1_11target_archE1200ELNS1_3gpuE4ELNS1_3repE0EEENS1_30default_config_static_selectorELNS0_4arch9wavefront6targetE1EEEvT1_.kd
    .uniform_work_group_size: 1
    .uses_dynamic_stack: false
    .vgpr_count:     0
    .vgpr_spill_count: 0
    .wavefront_size: 64
  - .agpr_count:     0
    .args:
      - .offset:         0
        .size:           40
        .value_kind:     by_value
    .group_segment_fixed_size: 0
    .kernarg_segment_align: 8
    .kernarg_segment_size: 40
    .language:       OpenCL C
    .language_version:
      - 2
      - 0
    .max_flat_workgroup_size: 256
    .name:           _ZN7rocprim17ROCPRIM_400000_NS6detail17trampoline_kernelINS0_14default_configENS1_20scan_config_selectorIjEEZZNS1_9scan_implILNS1_25lookback_scan_determinismE0ELb1ELb1ES3_N6thrust23THRUST_200600_302600_NS6detail15normal_iteratorINS9_10device_ptrIjEEEENS9_16discard_iteratorINS9_11use_defaultEEEj11max_functorIjEjEEDaPvRmT3_T4_T5_mT6_P12ihipStream_tbENKUlT_T0_E_clISt17integral_constantIbLb0EESX_EEDaSS_ST_EUlSS_E0_NS1_11comp_targetILNS1_3genE9ELNS1_11target_archE1100ELNS1_3gpuE3ELNS1_3repE0EEENS1_30default_config_static_selectorELNS0_4arch9wavefront6targetE1EEEvT1_
    .private_segment_fixed_size: 0
    .sgpr_count:     4
    .sgpr_spill_count: 0
    .symbol:         _ZN7rocprim17ROCPRIM_400000_NS6detail17trampoline_kernelINS0_14default_configENS1_20scan_config_selectorIjEEZZNS1_9scan_implILNS1_25lookback_scan_determinismE0ELb1ELb1ES3_N6thrust23THRUST_200600_302600_NS6detail15normal_iteratorINS9_10device_ptrIjEEEENS9_16discard_iteratorINS9_11use_defaultEEEj11max_functorIjEjEEDaPvRmT3_T4_T5_mT6_P12ihipStream_tbENKUlT_T0_E_clISt17integral_constantIbLb0EESX_EEDaSS_ST_EUlSS_E0_NS1_11comp_targetILNS1_3genE9ELNS1_11target_archE1100ELNS1_3gpuE3ELNS1_3repE0EEENS1_30default_config_static_selectorELNS0_4arch9wavefront6targetE1EEEvT1_.kd
    .uniform_work_group_size: 1
    .uses_dynamic_stack: false
    .vgpr_count:     0
    .vgpr_spill_count: 0
    .wavefront_size: 64
  - .agpr_count:     0
    .args:
      - .offset:         0
        .size:           40
        .value_kind:     by_value
    .group_segment_fixed_size: 0
    .kernarg_segment_align: 8
    .kernarg_segment_size: 40
    .language:       OpenCL C
    .language_version:
      - 2
      - 0
    .max_flat_workgroup_size: 64
    .name:           _ZN7rocprim17ROCPRIM_400000_NS6detail17trampoline_kernelINS0_14default_configENS1_20scan_config_selectorIjEEZZNS1_9scan_implILNS1_25lookback_scan_determinismE0ELb1ELb1ES3_N6thrust23THRUST_200600_302600_NS6detail15normal_iteratorINS9_10device_ptrIjEEEENS9_16discard_iteratorINS9_11use_defaultEEEj11max_functorIjEjEEDaPvRmT3_T4_T5_mT6_P12ihipStream_tbENKUlT_T0_E_clISt17integral_constantIbLb0EESX_EEDaSS_ST_EUlSS_E0_NS1_11comp_targetILNS1_3genE8ELNS1_11target_archE1030ELNS1_3gpuE2ELNS1_3repE0EEENS1_30default_config_static_selectorELNS0_4arch9wavefront6targetE1EEEvT1_
    .private_segment_fixed_size: 0
    .sgpr_count:     4
    .sgpr_spill_count: 0
    .symbol:         _ZN7rocprim17ROCPRIM_400000_NS6detail17trampoline_kernelINS0_14default_configENS1_20scan_config_selectorIjEEZZNS1_9scan_implILNS1_25lookback_scan_determinismE0ELb1ELb1ES3_N6thrust23THRUST_200600_302600_NS6detail15normal_iteratorINS9_10device_ptrIjEEEENS9_16discard_iteratorINS9_11use_defaultEEEj11max_functorIjEjEEDaPvRmT3_T4_T5_mT6_P12ihipStream_tbENKUlT_T0_E_clISt17integral_constantIbLb0EESX_EEDaSS_ST_EUlSS_E0_NS1_11comp_targetILNS1_3genE8ELNS1_11target_archE1030ELNS1_3gpuE2ELNS1_3repE0EEENS1_30default_config_static_selectorELNS0_4arch9wavefront6targetE1EEEvT1_.kd
    .uniform_work_group_size: 1
    .uses_dynamic_stack: false
    .vgpr_count:     0
    .vgpr_spill_count: 0
    .wavefront_size: 64
  - .agpr_count:     0
    .args:
      - .offset:         0
        .size:           104
        .value_kind:     by_value
    .group_segment_fixed_size: 0
    .kernarg_segment_align: 8
    .kernarg_segment_size: 104
    .language:       OpenCL C
    .language_version:
      - 2
      - 0
    .max_flat_workgroup_size: 256
    .name:           _ZN7rocprim17ROCPRIM_400000_NS6detail17trampoline_kernelINS0_14default_configENS1_20scan_config_selectorIjEEZZNS1_9scan_implILNS1_25lookback_scan_determinismE0ELb1ELb1ES3_N6thrust23THRUST_200600_302600_NS6detail15normal_iteratorINS9_10device_ptrIjEEEENS9_16discard_iteratorINS9_11use_defaultEEEj11max_functorIjEjEEDaPvRmT3_T4_T5_mT6_P12ihipStream_tbENKUlT_T0_E_clISt17integral_constantIbLb1EESX_EEDaSS_ST_EUlSS_E_NS1_11comp_targetILNS1_3genE0ELNS1_11target_archE4294967295ELNS1_3gpuE0ELNS1_3repE0EEENS1_30default_config_static_selectorELNS0_4arch9wavefront6targetE1EEEvT1_
    .private_segment_fixed_size: 0
    .sgpr_count:     4
    .sgpr_spill_count: 0
    .symbol:         _ZN7rocprim17ROCPRIM_400000_NS6detail17trampoline_kernelINS0_14default_configENS1_20scan_config_selectorIjEEZZNS1_9scan_implILNS1_25lookback_scan_determinismE0ELb1ELb1ES3_N6thrust23THRUST_200600_302600_NS6detail15normal_iteratorINS9_10device_ptrIjEEEENS9_16discard_iteratorINS9_11use_defaultEEEj11max_functorIjEjEEDaPvRmT3_T4_T5_mT6_P12ihipStream_tbENKUlT_T0_E_clISt17integral_constantIbLb1EESX_EEDaSS_ST_EUlSS_E_NS1_11comp_targetILNS1_3genE0ELNS1_11target_archE4294967295ELNS1_3gpuE0ELNS1_3repE0EEENS1_30default_config_static_selectorELNS0_4arch9wavefront6targetE1EEEvT1_.kd
    .uniform_work_group_size: 1
    .uses_dynamic_stack: false
    .vgpr_count:     0
    .vgpr_spill_count: 0
    .wavefront_size: 64
  - .agpr_count:     0
    .args:
      - .offset:         0
        .size:           104
        .value_kind:     by_value
    .group_segment_fixed_size: 0
    .kernarg_segment_align: 8
    .kernarg_segment_size: 104
    .language:       OpenCL C
    .language_version:
      - 2
      - 0
    .max_flat_workgroup_size: 256
    .name:           _ZN7rocprim17ROCPRIM_400000_NS6detail17trampoline_kernelINS0_14default_configENS1_20scan_config_selectorIjEEZZNS1_9scan_implILNS1_25lookback_scan_determinismE0ELb1ELb1ES3_N6thrust23THRUST_200600_302600_NS6detail15normal_iteratorINS9_10device_ptrIjEEEENS9_16discard_iteratorINS9_11use_defaultEEEj11max_functorIjEjEEDaPvRmT3_T4_T5_mT6_P12ihipStream_tbENKUlT_T0_E_clISt17integral_constantIbLb1EESX_EEDaSS_ST_EUlSS_E_NS1_11comp_targetILNS1_3genE5ELNS1_11target_archE942ELNS1_3gpuE9ELNS1_3repE0EEENS1_30default_config_static_selectorELNS0_4arch9wavefront6targetE1EEEvT1_
    .private_segment_fixed_size: 0
    .sgpr_count:     4
    .sgpr_spill_count: 0
    .symbol:         _ZN7rocprim17ROCPRIM_400000_NS6detail17trampoline_kernelINS0_14default_configENS1_20scan_config_selectorIjEEZZNS1_9scan_implILNS1_25lookback_scan_determinismE0ELb1ELb1ES3_N6thrust23THRUST_200600_302600_NS6detail15normal_iteratorINS9_10device_ptrIjEEEENS9_16discard_iteratorINS9_11use_defaultEEEj11max_functorIjEjEEDaPvRmT3_T4_T5_mT6_P12ihipStream_tbENKUlT_T0_E_clISt17integral_constantIbLb1EESX_EEDaSS_ST_EUlSS_E_NS1_11comp_targetILNS1_3genE5ELNS1_11target_archE942ELNS1_3gpuE9ELNS1_3repE0EEENS1_30default_config_static_selectorELNS0_4arch9wavefront6targetE1EEEvT1_.kd
    .uniform_work_group_size: 1
    .uses_dynamic_stack: false
    .vgpr_count:     0
    .vgpr_spill_count: 0
    .wavefront_size: 64
  - .agpr_count:     0
    .args:
      - .offset:         0
        .size:           104
        .value_kind:     by_value
    .group_segment_fixed_size: 5120
    .kernarg_segment_align: 8
    .kernarg_segment_size: 104
    .language:       OpenCL C
    .language_version:
      - 2
      - 0
    .max_flat_workgroup_size: 128
    .name:           _ZN7rocprim17ROCPRIM_400000_NS6detail17trampoline_kernelINS0_14default_configENS1_20scan_config_selectorIjEEZZNS1_9scan_implILNS1_25lookback_scan_determinismE0ELb1ELb1ES3_N6thrust23THRUST_200600_302600_NS6detail15normal_iteratorINS9_10device_ptrIjEEEENS9_16discard_iteratorINS9_11use_defaultEEEj11max_functorIjEjEEDaPvRmT3_T4_T5_mT6_P12ihipStream_tbENKUlT_T0_E_clISt17integral_constantIbLb1EESX_EEDaSS_ST_EUlSS_E_NS1_11comp_targetILNS1_3genE4ELNS1_11target_archE910ELNS1_3gpuE8ELNS1_3repE0EEENS1_30default_config_static_selectorELNS0_4arch9wavefront6targetE1EEEvT1_
    .private_segment_fixed_size: 0
    .sgpr_count:     40
    .sgpr_spill_count: 0
    .symbol:         _ZN7rocprim17ROCPRIM_400000_NS6detail17trampoline_kernelINS0_14default_configENS1_20scan_config_selectorIjEEZZNS1_9scan_implILNS1_25lookback_scan_determinismE0ELb1ELb1ES3_N6thrust23THRUST_200600_302600_NS6detail15normal_iteratorINS9_10device_ptrIjEEEENS9_16discard_iteratorINS9_11use_defaultEEEj11max_functorIjEjEEDaPvRmT3_T4_T5_mT6_P12ihipStream_tbENKUlT_T0_E_clISt17integral_constantIbLb1EESX_EEDaSS_ST_EUlSS_E_NS1_11comp_targetILNS1_3genE4ELNS1_11target_archE910ELNS1_3gpuE8ELNS1_3repE0EEENS1_30default_config_static_selectorELNS0_4arch9wavefront6targetE1EEEvT1_.kd
    .uniform_work_group_size: 1
    .uses_dynamic_stack: false
    .vgpr_count:     40
    .vgpr_spill_count: 0
    .wavefront_size: 64
  - .agpr_count:     0
    .args:
      - .offset:         0
        .size:           104
        .value_kind:     by_value
    .group_segment_fixed_size: 0
    .kernarg_segment_align: 8
    .kernarg_segment_size: 104
    .language:       OpenCL C
    .language_version:
      - 2
      - 0
    .max_flat_workgroup_size: 256
    .name:           _ZN7rocprim17ROCPRIM_400000_NS6detail17trampoline_kernelINS0_14default_configENS1_20scan_config_selectorIjEEZZNS1_9scan_implILNS1_25lookback_scan_determinismE0ELb1ELb1ES3_N6thrust23THRUST_200600_302600_NS6detail15normal_iteratorINS9_10device_ptrIjEEEENS9_16discard_iteratorINS9_11use_defaultEEEj11max_functorIjEjEEDaPvRmT3_T4_T5_mT6_P12ihipStream_tbENKUlT_T0_E_clISt17integral_constantIbLb1EESX_EEDaSS_ST_EUlSS_E_NS1_11comp_targetILNS1_3genE3ELNS1_11target_archE908ELNS1_3gpuE7ELNS1_3repE0EEENS1_30default_config_static_selectorELNS0_4arch9wavefront6targetE1EEEvT1_
    .private_segment_fixed_size: 0
    .sgpr_count:     4
    .sgpr_spill_count: 0
    .symbol:         _ZN7rocprim17ROCPRIM_400000_NS6detail17trampoline_kernelINS0_14default_configENS1_20scan_config_selectorIjEEZZNS1_9scan_implILNS1_25lookback_scan_determinismE0ELb1ELb1ES3_N6thrust23THRUST_200600_302600_NS6detail15normal_iteratorINS9_10device_ptrIjEEEENS9_16discard_iteratorINS9_11use_defaultEEEj11max_functorIjEjEEDaPvRmT3_T4_T5_mT6_P12ihipStream_tbENKUlT_T0_E_clISt17integral_constantIbLb1EESX_EEDaSS_ST_EUlSS_E_NS1_11comp_targetILNS1_3genE3ELNS1_11target_archE908ELNS1_3gpuE7ELNS1_3repE0EEENS1_30default_config_static_selectorELNS0_4arch9wavefront6targetE1EEEvT1_.kd
    .uniform_work_group_size: 1
    .uses_dynamic_stack: false
    .vgpr_count:     0
    .vgpr_spill_count: 0
    .wavefront_size: 64
  - .agpr_count:     0
    .args:
      - .offset:         0
        .size:           104
        .value_kind:     by_value
    .group_segment_fixed_size: 0
    .kernarg_segment_align: 8
    .kernarg_segment_size: 104
    .language:       OpenCL C
    .language_version:
      - 2
      - 0
    .max_flat_workgroup_size: 256
    .name:           _ZN7rocprim17ROCPRIM_400000_NS6detail17trampoline_kernelINS0_14default_configENS1_20scan_config_selectorIjEEZZNS1_9scan_implILNS1_25lookback_scan_determinismE0ELb1ELb1ES3_N6thrust23THRUST_200600_302600_NS6detail15normal_iteratorINS9_10device_ptrIjEEEENS9_16discard_iteratorINS9_11use_defaultEEEj11max_functorIjEjEEDaPvRmT3_T4_T5_mT6_P12ihipStream_tbENKUlT_T0_E_clISt17integral_constantIbLb1EESX_EEDaSS_ST_EUlSS_E_NS1_11comp_targetILNS1_3genE2ELNS1_11target_archE906ELNS1_3gpuE6ELNS1_3repE0EEENS1_30default_config_static_selectorELNS0_4arch9wavefront6targetE1EEEvT1_
    .private_segment_fixed_size: 0
    .sgpr_count:     4
    .sgpr_spill_count: 0
    .symbol:         _ZN7rocprim17ROCPRIM_400000_NS6detail17trampoline_kernelINS0_14default_configENS1_20scan_config_selectorIjEEZZNS1_9scan_implILNS1_25lookback_scan_determinismE0ELb1ELb1ES3_N6thrust23THRUST_200600_302600_NS6detail15normal_iteratorINS9_10device_ptrIjEEEENS9_16discard_iteratorINS9_11use_defaultEEEj11max_functorIjEjEEDaPvRmT3_T4_T5_mT6_P12ihipStream_tbENKUlT_T0_E_clISt17integral_constantIbLb1EESX_EEDaSS_ST_EUlSS_E_NS1_11comp_targetILNS1_3genE2ELNS1_11target_archE906ELNS1_3gpuE6ELNS1_3repE0EEENS1_30default_config_static_selectorELNS0_4arch9wavefront6targetE1EEEvT1_.kd
    .uniform_work_group_size: 1
    .uses_dynamic_stack: false
    .vgpr_count:     0
    .vgpr_spill_count: 0
    .wavefront_size: 64
  - .agpr_count:     0
    .args:
      - .offset:         0
        .size:           104
        .value_kind:     by_value
    .group_segment_fixed_size: 0
    .kernarg_segment_align: 8
    .kernarg_segment_size: 104
    .language:       OpenCL C
    .language_version:
      - 2
      - 0
    .max_flat_workgroup_size: 256
    .name:           _ZN7rocprim17ROCPRIM_400000_NS6detail17trampoline_kernelINS0_14default_configENS1_20scan_config_selectorIjEEZZNS1_9scan_implILNS1_25lookback_scan_determinismE0ELb1ELb1ES3_N6thrust23THRUST_200600_302600_NS6detail15normal_iteratorINS9_10device_ptrIjEEEENS9_16discard_iteratorINS9_11use_defaultEEEj11max_functorIjEjEEDaPvRmT3_T4_T5_mT6_P12ihipStream_tbENKUlT_T0_E_clISt17integral_constantIbLb1EESX_EEDaSS_ST_EUlSS_E_NS1_11comp_targetILNS1_3genE10ELNS1_11target_archE1201ELNS1_3gpuE5ELNS1_3repE0EEENS1_30default_config_static_selectorELNS0_4arch9wavefront6targetE1EEEvT1_
    .private_segment_fixed_size: 0
    .sgpr_count:     4
    .sgpr_spill_count: 0
    .symbol:         _ZN7rocprim17ROCPRIM_400000_NS6detail17trampoline_kernelINS0_14default_configENS1_20scan_config_selectorIjEEZZNS1_9scan_implILNS1_25lookback_scan_determinismE0ELb1ELb1ES3_N6thrust23THRUST_200600_302600_NS6detail15normal_iteratorINS9_10device_ptrIjEEEENS9_16discard_iteratorINS9_11use_defaultEEEj11max_functorIjEjEEDaPvRmT3_T4_T5_mT6_P12ihipStream_tbENKUlT_T0_E_clISt17integral_constantIbLb1EESX_EEDaSS_ST_EUlSS_E_NS1_11comp_targetILNS1_3genE10ELNS1_11target_archE1201ELNS1_3gpuE5ELNS1_3repE0EEENS1_30default_config_static_selectorELNS0_4arch9wavefront6targetE1EEEvT1_.kd
    .uniform_work_group_size: 1
    .uses_dynamic_stack: false
    .vgpr_count:     0
    .vgpr_spill_count: 0
    .wavefront_size: 64
  - .agpr_count:     0
    .args:
      - .offset:         0
        .size:           104
        .value_kind:     by_value
    .group_segment_fixed_size: 0
    .kernarg_segment_align: 8
    .kernarg_segment_size: 104
    .language:       OpenCL C
    .language_version:
      - 2
      - 0
    .max_flat_workgroup_size: 256
    .name:           _ZN7rocprim17ROCPRIM_400000_NS6detail17trampoline_kernelINS0_14default_configENS1_20scan_config_selectorIjEEZZNS1_9scan_implILNS1_25lookback_scan_determinismE0ELb1ELb1ES3_N6thrust23THRUST_200600_302600_NS6detail15normal_iteratorINS9_10device_ptrIjEEEENS9_16discard_iteratorINS9_11use_defaultEEEj11max_functorIjEjEEDaPvRmT3_T4_T5_mT6_P12ihipStream_tbENKUlT_T0_E_clISt17integral_constantIbLb1EESX_EEDaSS_ST_EUlSS_E_NS1_11comp_targetILNS1_3genE10ELNS1_11target_archE1200ELNS1_3gpuE4ELNS1_3repE0EEENS1_30default_config_static_selectorELNS0_4arch9wavefront6targetE1EEEvT1_
    .private_segment_fixed_size: 0
    .sgpr_count:     4
    .sgpr_spill_count: 0
    .symbol:         _ZN7rocprim17ROCPRIM_400000_NS6detail17trampoline_kernelINS0_14default_configENS1_20scan_config_selectorIjEEZZNS1_9scan_implILNS1_25lookback_scan_determinismE0ELb1ELb1ES3_N6thrust23THRUST_200600_302600_NS6detail15normal_iteratorINS9_10device_ptrIjEEEENS9_16discard_iteratorINS9_11use_defaultEEEj11max_functorIjEjEEDaPvRmT3_T4_T5_mT6_P12ihipStream_tbENKUlT_T0_E_clISt17integral_constantIbLb1EESX_EEDaSS_ST_EUlSS_E_NS1_11comp_targetILNS1_3genE10ELNS1_11target_archE1200ELNS1_3gpuE4ELNS1_3repE0EEENS1_30default_config_static_selectorELNS0_4arch9wavefront6targetE1EEEvT1_.kd
    .uniform_work_group_size: 1
    .uses_dynamic_stack: false
    .vgpr_count:     0
    .vgpr_spill_count: 0
    .wavefront_size: 64
  - .agpr_count:     0
    .args:
      - .offset:         0
        .size:           104
        .value_kind:     by_value
    .group_segment_fixed_size: 0
    .kernarg_segment_align: 8
    .kernarg_segment_size: 104
    .language:       OpenCL C
    .language_version:
      - 2
      - 0
    .max_flat_workgroup_size: 256
    .name:           _ZN7rocprim17ROCPRIM_400000_NS6detail17trampoline_kernelINS0_14default_configENS1_20scan_config_selectorIjEEZZNS1_9scan_implILNS1_25lookback_scan_determinismE0ELb1ELb1ES3_N6thrust23THRUST_200600_302600_NS6detail15normal_iteratorINS9_10device_ptrIjEEEENS9_16discard_iteratorINS9_11use_defaultEEEj11max_functorIjEjEEDaPvRmT3_T4_T5_mT6_P12ihipStream_tbENKUlT_T0_E_clISt17integral_constantIbLb1EESX_EEDaSS_ST_EUlSS_E_NS1_11comp_targetILNS1_3genE9ELNS1_11target_archE1100ELNS1_3gpuE3ELNS1_3repE0EEENS1_30default_config_static_selectorELNS0_4arch9wavefront6targetE1EEEvT1_
    .private_segment_fixed_size: 0
    .sgpr_count:     4
    .sgpr_spill_count: 0
    .symbol:         _ZN7rocprim17ROCPRIM_400000_NS6detail17trampoline_kernelINS0_14default_configENS1_20scan_config_selectorIjEEZZNS1_9scan_implILNS1_25lookback_scan_determinismE0ELb1ELb1ES3_N6thrust23THRUST_200600_302600_NS6detail15normal_iteratorINS9_10device_ptrIjEEEENS9_16discard_iteratorINS9_11use_defaultEEEj11max_functorIjEjEEDaPvRmT3_T4_T5_mT6_P12ihipStream_tbENKUlT_T0_E_clISt17integral_constantIbLb1EESX_EEDaSS_ST_EUlSS_E_NS1_11comp_targetILNS1_3genE9ELNS1_11target_archE1100ELNS1_3gpuE3ELNS1_3repE0EEENS1_30default_config_static_selectorELNS0_4arch9wavefront6targetE1EEEvT1_.kd
    .uniform_work_group_size: 1
    .uses_dynamic_stack: false
    .vgpr_count:     0
    .vgpr_spill_count: 0
    .wavefront_size: 64
  - .agpr_count:     0
    .args:
      - .offset:         0
        .size:           104
        .value_kind:     by_value
    .group_segment_fixed_size: 0
    .kernarg_segment_align: 8
    .kernarg_segment_size: 104
    .language:       OpenCL C
    .language_version:
      - 2
      - 0
    .max_flat_workgroup_size: 64
    .name:           _ZN7rocprim17ROCPRIM_400000_NS6detail17trampoline_kernelINS0_14default_configENS1_20scan_config_selectorIjEEZZNS1_9scan_implILNS1_25lookback_scan_determinismE0ELb1ELb1ES3_N6thrust23THRUST_200600_302600_NS6detail15normal_iteratorINS9_10device_ptrIjEEEENS9_16discard_iteratorINS9_11use_defaultEEEj11max_functorIjEjEEDaPvRmT3_T4_T5_mT6_P12ihipStream_tbENKUlT_T0_E_clISt17integral_constantIbLb1EESX_EEDaSS_ST_EUlSS_E_NS1_11comp_targetILNS1_3genE8ELNS1_11target_archE1030ELNS1_3gpuE2ELNS1_3repE0EEENS1_30default_config_static_selectorELNS0_4arch9wavefront6targetE1EEEvT1_
    .private_segment_fixed_size: 0
    .sgpr_count:     4
    .sgpr_spill_count: 0
    .symbol:         _ZN7rocprim17ROCPRIM_400000_NS6detail17trampoline_kernelINS0_14default_configENS1_20scan_config_selectorIjEEZZNS1_9scan_implILNS1_25lookback_scan_determinismE0ELb1ELb1ES3_N6thrust23THRUST_200600_302600_NS6detail15normal_iteratorINS9_10device_ptrIjEEEENS9_16discard_iteratorINS9_11use_defaultEEEj11max_functorIjEjEEDaPvRmT3_T4_T5_mT6_P12ihipStream_tbENKUlT_T0_E_clISt17integral_constantIbLb1EESX_EEDaSS_ST_EUlSS_E_NS1_11comp_targetILNS1_3genE8ELNS1_11target_archE1030ELNS1_3gpuE2ELNS1_3repE0EEENS1_30default_config_static_selectorELNS0_4arch9wavefront6targetE1EEEvT1_.kd
    .uniform_work_group_size: 1
    .uses_dynamic_stack: false
    .vgpr_count:     0
    .vgpr_spill_count: 0
    .wavefront_size: 64
  - .agpr_count:     0
    .args:
      - .offset:         0
        .size:           40
        .value_kind:     by_value
    .group_segment_fixed_size: 0
    .kernarg_segment_align: 8
    .kernarg_segment_size: 40
    .language:       OpenCL C
    .language_version:
      - 2
      - 0
    .max_flat_workgroup_size: 256
    .name:           _ZN7rocprim17ROCPRIM_400000_NS6detail17trampoline_kernelINS0_14default_configENS1_20scan_config_selectorIjEEZZNS1_9scan_implILNS1_25lookback_scan_determinismE0ELb1ELb1ES3_N6thrust23THRUST_200600_302600_NS6detail15normal_iteratorINS9_10device_ptrIjEEEENS9_16discard_iteratorINS9_11use_defaultEEEj11max_functorIjEjEEDaPvRmT3_T4_T5_mT6_P12ihipStream_tbENKUlT_T0_E_clISt17integral_constantIbLb1EESX_EEDaSS_ST_EUlSS_E0_NS1_11comp_targetILNS1_3genE0ELNS1_11target_archE4294967295ELNS1_3gpuE0ELNS1_3repE0EEENS1_30default_config_static_selectorELNS0_4arch9wavefront6targetE1EEEvT1_
    .private_segment_fixed_size: 0
    .sgpr_count:     4
    .sgpr_spill_count: 0
    .symbol:         _ZN7rocprim17ROCPRIM_400000_NS6detail17trampoline_kernelINS0_14default_configENS1_20scan_config_selectorIjEEZZNS1_9scan_implILNS1_25lookback_scan_determinismE0ELb1ELb1ES3_N6thrust23THRUST_200600_302600_NS6detail15normal_iteratorINS9_10device_ptrIjEEEENS9_16discard_iteratorINS9_11use_defaultEEEj11max_functorIjEjEEDaPvRmT3_T4_T5_mT6_P12ihipStream_tbENKUlT_T0_E_clISt17integral_constantIbLb1EESX_EEDaSS_ST_EUlSS_E0_NS1_11comp_targetILNS1_3genE0ELNS1_11target_archE4294967295ELNS1_3gpuE0ELNS1_3repE0EEENS1_30default_config_static_selectorELNS0_4arch9wavefront6targetE1EEEvT1_.kd
    .uniform_work_group_size: 1
    .uses_dynamic_stack: false
    .vgpr_count:     0
    .vgpr_spill_count: 0
    .wavefront_size: 64
  - .agpr_count:     0
    .args:
      - .offset:         0
        .size:           40
        .value_kind:     by_value
    .group_segment_fixed_size: 0
    .kernarg_segment_align: 8
    .kernarg_segment_size: 40
    .language:       OpenCL C
    .language_version:
      - 2
      - 0
    .max_flat_workgroup_size: 256
    .name:           _ZN7rocprim17ROCPRIM_400000_NS6detail17trampoline_kernelINS0_14default_configENS1_20scan_config_selectorIjEEZZNS1_9scan_implILNS1_25lookback_scan_determinismE0ELb1ELb1ES3_N6thrust23THRUST_200600_302600_NS6detail15normal_iteratorINS9_10device_ptrIjEEEENS9_16discard_iteratorINS9_11use_defaultEEEj11max_functorIjEjEEDaPvRmT3_T4_T5_mT6_P12ihipStream_tbENKUlT_T0_E_clISt17integral_constantIbLb1EESX_EEDaSS_ST_EUlSS_E0_NS1_11comp_targetILNS1_3genE5ELNS1_11target_archE942ELNS1_3gpuE9ELNS1_3repE0EEENS1_30default_config_static_selectorELNS0_4arch9wavefront6targetE1EEEvT1_
    .private_segment_fixed_size: 0
    .sgpr_count:     4
    .sgpr_spill_count: 0
    .symbol:         _ZN7rocprim17ROCPRIM_400000_NS6detail17trampoline_kernelINS0_14default_configENS1_20scan_config_selectorIjEEZZNS1_9scan_implILNS1_25lookback_scan_determinismE0ELb1ELb1ES3_N6thrust23THRUST_200600_302600_NS6detail15normal_iteratorINS9_10device_ptrIjEEEENS9_16discard_iteratorINS9_11use_defaultEEEj11max_functorIjEjEEDaPvRmT3_T4_T5_mT6_P12ihipStream_tbENKUlT_T0_E_clISt17integral_constantIbLb1EESX_EEDaSS_ST_EUlSS_E0_NS1_11comp_targetILNS1_3genE5ELNS1_11target_archE942ELNS1_3gpuE9ELNS1_3repE0EEENS1_30default_config_static_selectorELNS0_4arch9wavefront6targetE1EEEvT1_.kd
    .uniform_work_group_size: 1
    .uses_dynamic_stack: false
    .vgpr_count:     0
    .vgpr_spill_count: 0
    .wavefront_size: 64
  - .agpr_count:     0
    .args:
      - .offset:         0
        .size:           40
        .value_kind:     by_value
    .group_segment_fixed_size: 5120
    .kernarg_segment_align: 8
    .kernarg_segment_size: 40
    .language:       OpenCL C
    .language_version:
      - 2
      - 0
    .max_flat_workgroup_size: 128
    .name:           _ZN7rocprim17ROCPRIM_400000_NS6detail17trampoline_kernelINS0_14default_configENS1_20scan_config_selectorIjEEZZNS1_9scan_implILNS1_25lookback_scan_determinismE0ELb1ELb1ES3_N6thrust23THRUST_200600_302600_NS6detail15normal_iteratorINS9_10device_ptrIjEEEENS9_16discard_iteratorINS9_11use_defaultEEEj11max_functorIjEjEEDaPvRmT3_T4_T5_mT6_P12ihipStream_tbENKUlT_T0_E_clISt17integral_constantIbLb1EESX_EEDaSS_ST_EUlSS_E0_NS1_11comp_targetILNS1_3genE4ELNS1_11target_archE910ELNS1_3gpuE8ELNS1_3repE0EEENS1_30default_config_static_selectorELNS0_4arch9wavefront6targetE1EEEvT1_
    .private_segment_fixed_size: 0
    .sgpr_count:     12
    .sgpr_spill_count: 0
    .symbol:         _ZN7rocprim17ROCPRIM_400000_NS6detail17trampoline_kernelINS0_14default_configENS1_20scan_config_selectorIjEEZZNS1_9scan_implILNS1_25lookback_scan_determinismE0ELb1ELb1ES3_N6thrust23THRUST_200600_302600_NS6detail15normal_iteratorINS9_10device_ptrIjEEEENS9_16discard_iteratorINS9_11use_defaultEEEj11max_functorIjEjEEDaPvRmT3_T4_T5_mT6_P12ihipStream_tbENKUlT_T0_E_clISt17integral_constantIbLb1EESX_EEDaSS_ST_EUlSS_E0_NS1_11comp_targetILNS1_3genE4ELNS1_11target_archE910ELNS1_3gpuE8ELNS1_3repE0EEENS1_30default_config_static_selectorELNS0_4arch9wavefront6targetE1EEEvT1_.kd
    .uniform_work_group_size: 1
    .uses_dynamic_stack: false
    .vgpr_count:     18
    .vgpr_spill_count: 0
    .wavefront_size: 64
  - .agpr_count:     0
    .args:
      - .offset:         0
        .size:           40
        .value_kind:     by_value
    .group_segment_fixed_size: 0
    .kernarg_segment_align: 8
    .kernarg_segment_size: 40
    .language:       OpenCL C
    .language_version:
      - 2
      - 0
    .max_flat_workgroup_size: 256
    .name:           _ZN7rocprim17ROCPRIM_400000_NS6detail17trampoline_kernelINS0_14default_configENS1_20scan_config_selectorIjEEZZNS1_9scan_implILNS1_25lookback_scan_determinismE0ELb1ELb1ES3_N6thrust23THRUST_200600_302600_NS6detail15normal_iteratorINS9_10device_ptrIjEEEENS9_16discard_iteratorINS9_11use_defaultEEEj11max_functorIjEjEEDaPvRmT3_T4_T5_mT6_P12ihipStream_tbENKUlT_T0_E_clISt17integral_constantIbLb1EESX_EEDaSS_ST_EUlSS_E0_NS1_11comp_targetILNS1_3genE3ELNS1_11target_archE908ELNS1_3gpuE7ELNS1_3repE0EEENS1_30default_config_static_selectorELNS0_4arch9wavefront6targetE1EEEvT1_
    .private_segment_fixed_size: 0
    .sgpr_count:     4
    .sgpr_spill_count: 0
    .symbol:         _ZN7rocprim17ROCPRIM_400000_NS6detail17trampoline_kernelINS0_14default_configENS1_20scan_config_selectorIjEEZZNS1_9scan_implILNS1_25lookback_scan_determinismE0ELb1ELb1ES3_N6thrust23THRUST_200600_302600_NS6detail15normal_iteratorINS9_10device_ptrIjEEEENS9_16discard_iteratorINS9_11use_defaultEEEj11max_functorIjEjEEDaPvRmT3_T4_T5_mT6_P12ihipStream_tbENKUlT_T0_E_clISt17integral_constantIbLb1EESX_EEDaSS_ST_EUlSS_E0_NS1_11comp_targetILNS1_3genE3ELNS1_11target_archE908ELNS1_3gpuE7ELNS1_3repE0EEENS1_30default_config_static_selectorELNS0_4arch9wavefront6targetE1EEEvT1_.kd
    .uniform_work_group_size: 1
    .uses_dynamic_stack: false
    .vgpr_count:     0
    .vgpr_spill_count: 0
    .wavefront_size: 64
  - .agpr_count:     0
    .args:
      - .offset:         0
        .size:           40
        .value_kind:     by_value
    .group_segment_fixed_size: 0
    .kernarg_segment_align: 8
    .kernarg_segment_size: 40
    .language:       OpenCL C
    .language_version:
      - 2
      - 0
    .max_flat_workgroup_size: 256
    .name:           _ZN7rocprim17ROCPRIM_400000_NS6detail17trampoline_kernelINS0_14default_configENS1_20scan_config_selectorIjEEZZNS1_9scan_implILNS1_25lookback_scan_determinismE0ELb1ELb1ES3_N6thrust23THRUST_200600_302600_NS6detail15normal_iteratorINS9_10device_ptrIjEEEENS9_16discard_iteratorINS9_11use_defaultEEEj11max_functorIjEjEEDaPvRmT3_T4_T5_mT6_P12ihipStream_tbENKUlT_T0_E_clISt17integral_constantIbLb1EESX_EEDaSS_ST_EUlSS_E0_NS1_11comp_targetILNS1_3genE2ELNS1_11target_archE906ELNS1_3gpuE6ELNS1_3repE0EEENS1_30default_config_static_selectorELNS0_4arch9wavefront6targetE1EEEvT1_
    .private_segment_fixed_size: 0
    .sgpr_count:     4
    .sgpr_spill_count: 0
    .symbol:         _ZN7rocprim17ROCPRIM_400000_NS6detail17trampoline_kernelINS0_14default_configENS1_20scan_config_selectorIjEEZZNS1_9scan_implILNS1_25lookback_scan_determinismE0ELb1ELb1ES3_N6thrust23THRUST_200600_302600_NS6detail15normal_iteratorINS9_10device_ptrIjEEEENS9_16discard_iteratorINS9_11use_defaultEEEj11max_functorIjEjEEDaPvRmT3_T4_T5_mT6_P12ihipStream_tbENKUlT_T0_E_clISt17integral_constantIbLb1EESX_EEDaSS_ST_EUlSS_E0_NS1_11comp_targetILNS1_3genE2ELNS1_11target_archE906ELNS1_3gpuE6ELNS1_3repE0EEENS1_30default_config_static_selectorELNS0_4arch9wavefront6targetE1EEEvT1_.kd
    .uniform_work_group_size: 1
    .uses_dynamic_stack: false
    .vgpr_count:     0
    .vgpr_spill_count: 0
    .wavefront_size: 64
  - .agpr_count:     0
    .args:
      - .offset:         0
        .size:           40
        .value_kind:     by_value
    .group_segment_fixed_size: 0
    .kernarg_segment_align: 8
    .kernarg_segment_size: 40
    .language:       OpenCL C
    .language_version:
      - 2
      - 0
    .max_flat_workgroup_size: 256
    .name:           _ZN7rocprim17ROCPRIM_400000_NS6detail17trampoline_kernelINS0_14default_configENS1_20scan_config_selectorIjEEZZNS1_9scan_implILNS1_25lookback_scan_determinismE0ELb1ELb1ES3_N6thrust23THRUST_200600_302600_NS6detail15normal_iteratorINS9_10device_ptrIjEEEENS9_16discard_iteratorINS9_11use_defaultEEEj11max_functorIjEjEEDaPvRmT3_T4_T5_mT6_P12ihipStream_tbENKUlT_T0_E_clISt17integral_constantIbLb1EESX_EEDaSS_ST_EUlSS_E0_NS1_11comp_targetILNS1_3genE10ELNS1_11target_archE1201ELNS1_3gpuE5ELNS1_3repE0EEENS1_30default_config_static_selectorELNS0_4arch9wavefront6targetE1EEEvT1_
    .private_segment_fixed_size: 0
    .sgpr_count:     4
    .sgpr_spill_count: 0
    .symbol:         _ZN7rocprim17ROCPRIM_400000_NS6detail17trampoline_kernelINS0_14default_configENS1_20scan_config_selectorIjEEZZNS1_9scan_implILNS1_25lookback_scan_determinismE0ELb1ELb1ES3_N6thrust23THRUST_200600_302600_NS6detail15normal_iteratorINS9_10device_ptrIjEEEENS9_16discard_iteratorINS9_11use_defaultEEEj11max_functorIjEjEEDaPvRmT3_T4_T5_mT6_P12ihipStream_tbENKUlT_T0_E_clISt17integral_constantIbLb1EESX_EEDaSS_ST_EUlSS_E0_NS1_11comp_targetILNS1_3genE10ELNS1_11target_archE1201ELNS1_3gpuE5ELNS1_3repE0EEENS1_30default_config_static_selectorELNS0_4arch9wavefront6targetE1EEEvT1_.kd
    .uniform_work_group_size: 1
    .uses_dynamic_stack: false
    .vgpr_count:     0
    .vgpr_spill_count: 0
    .wavefront_size: 64
  - .agpr_count:     0
    .args:
      - .offset:         0
        .size:           40
        .value_kind:     by_value
    .group_segment_fixed_size: 0
    .kernarg_segment_align: 8
    .kernarg_segment_size: 40
    .language:       OpenCL C
    .language_version:
      - 2
      - 0
    .max_flat_workgroup_size: 256
    .name:           _ZN7rocprim17ROCPRIM_400000_NS6detail17trampoline_kernelINS0_14default_configENS1_20scan_config_selectorIjEEZZNS1_9scan_implILNS1_25lookback_scan_determinismE0ELb1ELb1ES3_N6thrust23THRUST_200600_302600_NS6detail15normal_iteratorINS9_10device_ptrIjEEEENS9_16discard_iteratorINS9_11use_defaultEEEj11max_functorIjEjEEDaPvRmT3_T4_T5_mT6_P12ihipStream_tbENKUlT_T0_E_clISt17integral_constantIbLb1EESX_EEDaSS_ST_EUlSS_E0_NS1_11comp_targetILNS1_3genE10ELNS1_11target_archE1200ELNS1_3gpuE4ELNS1_3repE0EEENS1_30default_config_static_selectorELNS0_4arch9wavefront6targetE1EEEvT1_
    .private_segment_fixed_size: 0
    .sgpr_count:     4
    .sgpr_spill_count: 0
    .symbol:         _ZN7rocprim17ROCPRIM_400000_NS6detail17trampoline_kernelINS0_14default_configENS1_20scan_config_selectorIjEEZZNS1_9scan_implILNS1_25lookback_scan_determinismE0ELb1ELb1ES3_N6thrust23THRUST_200600_302600_NS6detail15normal_iteratorINS9_10device_ptrIjEEEENS9_16discard_iteratorINS9_11use_defaultEEEj11max_functorIjEjEEDaPvRmT3_T4_T5_mT6_P12ihipStream_tbENKUlT_T0_E_clISt17integral_constantIbLb1EESX_EEDaSS_ST_EUlSS_E0_NS1_11comp_targetILNS1_3genE10ELNS1_11target_archE1200ELNS1_3gpuE4ELNS1_3repE0EEENS1_30default_config_static_selectorELNS0_4arch9wavefront6targetE1EEEvT1_.kd
    .uniform_work_group_size: 1
    .uses_dynamic_stack: false
    .vgpr_count:     0
    .vgpr_spill_count: 0
    .wavefront_size: 64
  - .agpr_count:     0
    .args:
      - .offset:         0
        .size:           40
        .value_kind:     by_value
    .group_segment_fixed_size: 0
    .kernarg_segment_align: 8
    .kernarg_segment_size: 40
    .language:       OpenCL C
    .language_version:
      - 2
      - 0
    .max_flat_workgroup_size: 256
    .name:           _ZN7rocprim17ROCPRIM_400000_NS6detail17trampoline_kernelINS0_14default_configENS1_20scan_config_selectorIjEEZZNS1_9scan_implILNS1_25lookback_scan_determinismE0ELb1ELb1ES3_N6thrust23THRUST_200600_302600_NS6detail15normal_iteratorINS9_10device_ptrIjEEEENS9_16discard_iteratorINS9_11use_defaultEEEj11max_functorIjEjEEDaPvRmT3_T4_T5_mT6_P12ihipStream_tbENKUlT_T0_E_clISt17integral_constantIbLb1EESX_EEDaSS_ST_EUlSS_E0_NS1_11comp_targetILNS1_3genE9ELNS1_11target_archE1100ELNS1_3gpuE3ELNS1_3repE0EEENS1_30default_config_static_selectorELNS0_4arch9wavefront6targetE1EEEvT1_
    .private_segment_fixed_size: 0
    .sgpr_count:     4
    .sgpr_spill_count: 0
    .symbol:         _ZN7rocprim17ROCPRIM_400000_NS6detail17trampoline_kernelINS0_14default_configENS1_20scan_config_selectorIjEEZZNS1_9scan_implILNS1_25lookback_scan_determinismE0ELb1ELb1ES3_N6thrust23THRUST_200600_302600_NS6detail15normal_iteratorINS9_10device_ptrIjEEEENS9_16discard_iteratorINS9_11use_defaultEEEj11max_functorIjEjEEDaPvRmT3_T4_T5_mT6_P12ihipStream_tbENKUlT_T0_E_clISt17integral_constantIbLb1EESX_EEDaSS_ST_EUlSS_E0_NS1_11comp_targetILNS1_3genE9ELNS1_11target_archE1100ELNS1_3gpuE3ELNS1_3repE0EEENS1_30default_config_static_selectorELNS0_4arch9wavefront6targetE1EEEvT1_.kd
    .uniform_work_group_size: 1
    .uses_dynamic_stack: false
    .vgpr_count:     0
    .vgpr_spill_count: 0
    .wavefront_size: 64
  - .agpr_count:     0
    .args:
      - .offset:         0
        .size:           40
        .value_kind:     by_value
    .group_segment_fixed_size: 0
    .kernarg_segment_align: 8
    .kernarg_segment_size: 40
    .language:       OpenCL C
    .language_version:
      - 2
      - 0
    .max_flat_workgroup_size: 64
    .name:           _ZN7rocprim17ROCPRIM_400000_NS6detail17trampoline_kernelINS0_14default_configENS1_20scan_config_selectorIjEEZZNS1_9scan_implILNS1_25lookback_scan_determinismE0ELb1ELb1ES3_N6thrust23THRUST_200600_302600_NS6detail15normal_iteratorINS9_10device_ptrIjEEEENS9_16discard_iteratorINS9_11use_defaultEEEj11max_functorIjEjEEDaPvRmT3_T4_T5_mT6_P12ihipStream_tbENKUlT_T0_E_clISt17integral_constantIbLb1EESX_EEDaSS_ST_EUlSS_E0_NS1_11comp_targetILNS1_3genE8ELNS1_11target_archE1030ELNS1_3gpuE2ELNS1_3repE0EEENS1_30default_config_static_selectorELNS0_4arch9wavefront6targetE1EEEvT1_
    .private_segment_fixed_size: 0
    .sgpr_count:     4
    .sgpr_spill_count: 0
    .symbol:         _ZN7rocprim17ROCPRIM_400000_NS6detail17trampoline_kernelINS0_14default_configENS1_20scan_config_selectorIjEEZZNS1_9scan_implILNS1_25lookback_scan_determinismE0ELb1ELb1ES3_N6thrust23THRUST_200600_302600_NS6detail15normal_iteratorINS9_10device_ptrIjEEEENS9_16discard_iteratorINS9_11use_defaultEEEj11max_functorIjEjEEDaPvRmT3_T4_T5_mT6_P12ihipStream_tbENKUlT_T0_E_clISt17integral_constantIbLb1EESX_EEDaSS_ST_EUlSS_E0_NS1_11comp_targetILNS1_3genE8ELNS1_11target_archE1030ELNS1_3gpuE2ELNS1_3repE0EEENS1_30default_config_static_selectorELNS0_4arch9wavefront6targetE1EEEvT1_.kd
    .uniform_work_group_size: 1
    .uses_dynamic_stack: false
    .vgpr_count:     0
    .vgpr_spill_count: 0
    .wavefront_size: 64
  - .agpr_count:     0
    .args:
      - .offset:         0
        .size:           104
        .value_kind:     by_value
    .group_segment_fixed_size: 0
    .kernarg_segment_align: 8
    .kernarg_segment_size: 104
    .language:       OpenCL C
    .language_version:
      - 2
      - 0
    .max_flat_workgroup_size: 256
    .name:           _ZN7rocprim17ROCPRIM_400000_NS6detail17trampoline_kernelINS0_14default_configENS1_20scan_config_selectorIjEEZZNS1_9scan_implILNS1_25lookback_scan_determinismE0ELb1ELb1ES3_N6thrust23THRUST_200600_302600_NS6detail15normal_iteratorINS9_10device_ptrIjEEEENS9_16discard_iteratorINS9_11use_defaultEEEj11max_functorIjEjEEDaPvRmT3_T4_T5_mT6_P12ihipStream_tbENKUlT_T0_E_clISt17integral_constantIbLb1EESW_IbLb0EEEEDaSS_ST_EUlSS_E_NS1_11comp_targetILNS1_3genE0ELNS1_11target_archE4294967295ELNS1_3gpuE0ELNS1_3repE0EEENS1_30default_config_static_selectorELNS0_4arch9wavefront6targetE1EEEvT1_
    .private_segment_fixed_size: 0
    .sgpr_count:     4
    .sgpr_spill_count: 0
    .symbol:         _ZN7rocprim17ROCPRIM_400000_NS6detail17trampoline_kernelINS0_14default_configENS1_20scan_config_selectorIjEEZZNS1_9scan_implILNS1_25lookback_scan_determinismE0ELb1ELb1ES3_N6thrust23THRUST_200600_302600_NS6detail15normal_iteratorINS9_10device_ptrIjEEEENS9_16discard_iteratorINS9_11use_defaultEEEj11max_functorIjEjEEDaPvRmT3_T4_T5_mT6_P12ihipStream_tbENKUlT_T0_E_clISt17integral_constantIbLb1EESW_IbLb0EEEEDaSS_ST_EUlSS_E_NS1_11comp_targetILNS1_3genE0ELNS1_11target_archE4294967295ELNS1_3gpuE0ELNS1_3repE0EEENS1_30default_config_static_selectorELNS0_4arch9wavefront6targetE1EEEvT1_.kd
    .uniform_work_group_size: 1
    .uses_dynamic_stack: false
    .vgpr_count:     0
    .vgpr_spill_count: 0
    .wavefront_size: 64
  - .agpr_count:     0
    .args:
      - .offset:         0
        .size:           104
        .value_kind:     by_value
    .group_segment_fixed_size: 0
    .kernarg_segment_align: 8
    .kernarg_segment_size: 104
    .language:       OpenCL C
    .language_version:
      - 2
      - 0
    .max_flat_workgroup_size: 256
    .name:           _ZN7rocprim17ROCPRIM_400000_NS6detail17trampoline_kernelINS0_14default_configENS1_20scan_config_selectorIjEEZZNS1_9scan_implILNS1_25lookback_scan_determinismE0ELb1ELb1ES3_N6thrust23THRUST_200600_302600_NS6detail15normal_iteratorINS9_10device_ptrIjEEEENS9_16discard_iteratorINS9_11use_defaultEEEj11max_functorIjEjEEDaPvRmT3_T4_T5_mT6_P12ihipStream_tbENKUlT_T0_E_clISt17integral_constantIbLb1EESW_IbLb0EEEEDaSS_ST_EUlSS_E_NS1_11comp_targetILNS1_3genE5ELNS1_11target_archE942ELNS1_3gpuE9ELNS1_3repE0EEENS1_30default_config_static_selectorELNS0_4arch9wavefront6targetE1EEEvT1_
    .private_segment_fixed_size: 0
    .sgpr_count:     4
    .sgpr_spill_count: 0
    .symbol:         _ZN7rocprim17ROCPRIM_400000_NS6detail17trampoline_kernelINS0_14default_configENS1_20scan_config_selectorIjEEZZNS1_9scan_implILNS1_25lookback_scan_determinismE0ELb1ELb1ES3_N6thrust23THRUST_200600_302600_NS6detail15normal_iteratorINS9_10device_ptrIjEEEENS9_16discard_iteratorINS9_11use_defaultEEEj11max_functorIjEjEEDaPvRmT3_T4_T5_mT6_P12ihipStream_tbENKUlT_T0_E_clISt17integral_constantIbLb1EESW_IbLb0EEEEDaSS_ST_EUlSS_E_NS1_11comp_targetILNS1_3genE5ELNS1_11target_archE942ELNS1_3gpuE9ELNS1_3repE0EEENS1_30default_config_static_selectorELNS0_4arch9wavefront6targetE1EEEvT1_.kd
    .uniform_work_group_size: 1
    .uses_dynamic_stack: false
    .vgpr_count:     0
    .vgpr_spill_count: 0
    .wavefront_size: 64
  - .agpr_count:     0
    .args:
      - .offset:         0
        .size:           104
        .value_kind:     by_value
    .group_segment_fixed_size: 5120
    .kernarg_segment_align: 8
    .kernarg_segment_size: 104
    .language:       OpenCL C
    .language_version:
      - 2
      - 0
    .max_flat_workgroup_size: 128
    .name:           _ZN7rocprim17ROCPRIM_400000_NS6detail17trampoline_kernelINS0_14default_configENS1_20scan_config_selectorIjEEZZNS1_9scan_implILNS1_25lookback_scan_determinismE0ELb1ELb1ES3_N6thrust23THRUST_200600_302600_NS6detail15normal_iteratorINS9_10device_ptrIjEEEENS9_16discard_iteratorINS9_11use_defaultEEEj11max_functorIjEjEEDaPvRmT3_T4_T5_mT6_P12ihipStream_tbENKUlT_T0_E_clISt17integral_constantIbLb1EESW_IbLb0EEEEDaSS_ST_EUlSS_E_NS1_11comp_targetILNS1_3genE4ELNS1_11target_archE910ELNS1_3gpuE8ELNS1_3repE0EEENS1_30default_config_static_selectorELNS0_4arch9wavefront6targetE1EEEvT1_
    .private_segment_fixed_size: 0
    .sgpr_count:     30
    .sgpr_spill_count: 0
    .symbol:         _ZN7rocprim17ROCPRIM_400000_NS6detail17trampoline_kernelINS0_14default_configENS1_20scan_config_selectorIjEEZZNS1_9scan_implILNS1_25lookback_scan_determinismE0ELb1ELb1ES3_N6thrust23THRUST_200600_302600_NS6detail15normal_iteratorINS9_10device_ptrIjEEEENS9_16discard_iteratorINS9_11use_defaultEEEj11max_functorIjEjEEDaPvRmT3_T4_T5_mT6_P12ihipStream_tbENKUlT_T0_E_clISt17integral_constantIbLb1EESW_IbLb0EEEEDaSS_ST_EUlSS_E_NS1_11comp_targetILNS1_3genE4ELNS1_11target_archE910ELNS1_3gpuE8ELNS1_3repE0EEENS1_30default_config_static_selectorELNS0_4arch9wavefront6targetE1EEEvT1_.kd
    .uniform_work_group_size: 1
    .uses_dynamic_stack: false
    .vgpr_count:     40
    .vgpr_spill_count: 0
    .wavefront_size: 64
  - .agpr_count:     0
    .args:
      - .offset:         0
        .size:           104
        .value_kind:     by_value
    .group_segment_fixed_size: 0
    .kernarg_segment_align: 8
    .kernarg_segment_size: 104
    .language:       OpenCL C
    .language_version:
      - 2
      - 0
    .max_flat_workgroup_size: 256
    .name:           _ZN7rocprim17ROCPRIM_400000_NS6detail17trampoline_kernelINS0_14default_configENS1_20scan_config_selectorIjEEZZNS1_9scan_implILNS1_25lookback_scan_determinismE0ELb1ELb1ES3_N6thrust23THRUST_200600_302600_NS6detail15normal_iteratorINS9_10device_ptrIjEEEENS9_16discard_iteratorINS9_11use_defaultEEEj11max_functorIjEjEEDaPvRmT3_T4_T5_mT6_P12ihipStream_tbENKUlT_T0_E_clISt17integral_constantIbLb1EESW_IbLb0EEEEDaSS_ST_EUlSS_E_NS1_11comp_targetILNS1_3genE3ELNS1_11target_archE908ELNS1_3gpuE7ELNS1_3repE0EEENS1_30default_config_static_selectorELNS0_4arch9wavefront6targetE1EEEvT1_
    .private_segment_fixed_size: 0
    .sgpr_count:     4
    .sgpr_spill_count: 0
    .symbol:         _ZN7rocprim17ROCPRIM_400000_NS6detail17trampoline_kernelINS0_14default_configENS1_20scan_config_selectorIjEEZZNS1_9scan_implILNS1_25lookback_scan_determinismE0ELb1ELb1ES3_N6thrust23THRUST_200600_302600_NS6detail15normal_iteratorINS9_10device_ptrIjEEEENS9_16discard_iteratorINS9_11use_defaultEEEj11max_functorIjEjEEDaPvRmT3_T4_T5_mT6_P12ihipStream_tbENKUlT_T0_E_clISt17integral_constantIbLb1EESW_IbLb0EEEEDaSS_ST_EUlSS_E_NS1_11comp_targetILNS1_3genE3ELNS1_11target_archE908ELNS1_3gpuE7ELNS1_3repE0EEENS1_30default_config_static_selectorELNS0_4arch9wavefront6targetE1EEEvT1_.kd
    .uniform_work_group_size: 1
    .uses_dynamic_stack: false
    .vgpr_count:     0
    .vgpr_spill_count: 0
    .wavefront_size: 64
  - .agpr_count:     0
    .args:
      - .offset:         0
        .size:           104
        .value_kind:     by_value
    .group_segment_fixed_size: 0
    .kernarg_segment_align: 8
    .kernarg_segment_size: 104
    .language:       OpenCL C
    .language_version:
      - 2
      - 0
    .max_flat_workgroup_size: 256
    .name:           _ZN7rocprim17ROCPRIM_400000_NS6detail17trampoline_kernelINS0_14default_configENS1_20scan_config_selectorIjEEZZNS1_9scan_implILNS1_25lookback_scan_determinismE0ELb1ELb1ES3_N6thrust23THRUST_200600_302600_NS6detail15normal_iteratorINS9_10device_ptrIjEEEENS9_16discard_iteratorINS9_11use_defaultEEEj11max_functorIjEjEEDaPvRmT3_T4_T5_mT6_P12ihipStream_tbENKUlT_T0_E_clISt17integral_constantIbLb1EESW_IbLb0EEEEDaSS_ST_EUlSS_E_NS1_11comp_targetILNS1_3genE2ELNS1_11target_archE906ELNS1_3gpuE6ELNS1_3repE0EEENS1_30default_config_static_selectorELNS0_4arch9wavefront6targetE1EEEvT1_
    .private_segment_fixed_size: 0
    .sgpr_count:     4
    .sgpr_spill_count: 0
    .symbol:         _ZN7rocprim17ROCPRIM_400000_NS6detail17trampoline_kernelINS0_14default_configENS1_20scan_config_selectorIjEEZZNS1_9scan_implILNS1_25lookback_scan_determinismE0ELb1ELb1ES3_N6thrust23THRUST_200600_302600_NS6detail15normal_iteratorINS9_10device_ptrIjEEEENS9_16discard_iteratorINS9_11use_defaultEEEj11max_functorIjEjEEDaPvRmT3_T4_T5_mT6_P12ihipStream_tbENKUlT_T0_E_clISt17integral_constantIbLb1EESW_IbLb0EEEEDaSS_ST_EUlSS_E_NS1_11comp_targetILNS1_3genE2ELNS1_11target_archE906ELNS1_3gpuE6ELNS1_3repE0EEENS1_30default_config_static_selectorELNS0_4arch9wavefront6targetE1EEEvT1_.kd
    .uniform_work_group_size: 1
    .uses_dynamic_stack: false
    .vgpr_count:     0
    .vgpr_spill_count: 0
    .wavefront_size: 64
  - .agpr_count:     0
    .args:
      - .offset:         0
        .size:           104
        .value_kind:     by_value
    .group_segment_fixed_size: 0
    .kernarg_segment_align: 8
    .kernarg_segment_size: 104
    .language:       OpenCL C
    .language_version:
      - 2
      - 0
    .max_flat_workgroup_size: 256
    .name:           _ZN7rocprim17ROCPRIM_400000_NS6detail17trampoline_kernelINS0_14default_configENS1_20scan_config_selectorIjEEZZNS1_9scan_implILNS1_25lookback_scan_determinismE0ELb1ELb1ES3_N6thrust23THRUST_200600_302600_NS6detail15normal_iteratorINS9_10device_ptrIjEEEENS9_16discard_iteratorINS9_11use_defaultEEEj11max_functorIjEjEEDaPvRmT3_T4_T5_mT6_P12ihipStream_tbENKUlT_T0_E_clISt17integral_constantIbLb1EESW_IbLb0EEEEDaSS_ST_EUlSS_E_NS1_11comp_targetILNS1_3genE10ELNS1_11target_archE1201ELNS1_3gpuE5ELNS1_3repE0EEENS1_30default_config_static_selectorELNS0_4arch9wavefront6targetE1EEEvT1_
    .private_segment_fixed_size: 0
    .sgpr_count:     4
    .sgpr_spill_count: 0
    .symbol:         _ZN7rocprim17ROCPRIM_400000_NS6detail17trampoline_kernelINS0_14default_configENS1_20scan_config_selectorIjEEZZNS1_9scan_implILNS1_25lookback_scan_determinismE0ELb1ELb1ES3_N6thrust23THRUST_200600_302600_NS6detail15normal_iteratorINS9_10device_ptrIjEEEENS9_16discard_iteratorINS9_11use_defaultEEEj11max_functorIjEjEEDaPvRmT3_T4_T5_mT6_P12ihipStream_tbENKUlT_T0_E_clISt17integral_constantIbLb1EESW_IbLb0EEEEDaSS_ST_EUlSS_E_NS1_11comp_targetILNS1_3genE10ELNS1_11target_archE1201ELNS1_3gpuE5ELNS1_3repE0EEENS1_30default_config_static_selectorELNS0_4arch9wavefront6targetE1EEEvT1_.kd
    .uniform_work_group_size: 1
    .uses_dynamic_stack: false
    .vgpr_count:     0
    .vgpr_spill_count: 0
    .wavefront_size: 64
  - .agpr_count:     0
    .args:
      - .offset:         0
        .size:           104
        .value_kind:     by_value
    .group_segment_fixed_size: 0
    .kernarg_segment_align: 8
    .kernarg_segment_size: 104
    .language:       OpenCL C
    .language_version:
      - 2
      - 0
    .max_flat_workgroup_size: 256
    .name:           _ZN7rocprim17ROCPRIM_400000_NS6detail17trampoline_kernelINS0_14default_configENS1_20scan_config_selectorIjEEZZNS1_9scan_implILNS1_25lookback_scan_determinismE0ELb1ELb1ES3_N6thrust23THRUST_200600_302600_NS6detail15normal_iteratorINS9_10device_ptrIjEEEENS9_16discard_iteratorINS9_11use_defaultEEEj11max_functorIjEjEEDaPvRmT3_T4_T5_mT6_P12ihipStream_tbENKUlT_T0_E_clISt17integral_constantIbLb1EESW_IbLb0EEEEDaSS_ST_EUlSS_E_NS1_11comp_targetILNS1_3genE10ELNS1_11target_archE1200ELNS1_3gpuE4ELNS1_3repE0EEENS1_30default_config_static_selectorELNS0_4arch9wavefront6targetE1EEEvT1_
    .private_segment_fixed_size: 0
    .sgpr_count:     4
    .sgpr_spill_count: 0
    .symbol:         _ZN7rocprim17ROCPRIM_400000_NS6detail17trampoline_kernelINS0_14default_configENS1_20scan_config_selectorIjEEZZNS1_9scan_implILNS1_25lookback_scan_determinismE0ELb1ELb1ES3_N6thrust23THRUST_200600_302600_NS6detail15normal_iteratorINS9_10device_ptrIjEEEENS9_16discard_iteratorINS9_11use_defaultEEEj11max_functorIjEjEEDaPvRmT3_T4_T5_mT6_P12ihipStream_tbENKUlT_T0_E_clISt17integral_constantIbLb1EESW_IbLb0EEEEDaSS_ST_EUlSS_E_NS1_11comp_targetILNS1_3genE10ELNS1_11target_archE1200ELNS1_3gpuE4ELNS1_3repE0EEENS1_30default_config_static_selectorELNS0_4arch9wavefront6targetE1EEEvT1_.kd
    .uniform_work_group_size: 1
    .uses_dynamic_stack: false
    .vgpr_count:     0
    .vgpr_spill_count: 0
    .wavefront_size: 64
  - .agpr_count:     0
    .args:
      - .offset:         0
        .size:           104
        .value_kind:     by_value
    .group_segment_fixed_size: 0
    .kernarg_segment_align: 8
    .kernarg_segment_size: 104
    .language:       OpenCL C
    .language_version:
      - 2
      - 0
    .max_flat_workgroup_size: 256
    .name:           _ZN7rocprim17ROCPRIM_400000_NS6detail17trampoline_kernelINS0_14default_configENS1_20scan_config_selectorIjEEZZNS1_9scan_implILNS1_25lookback_scan_determinismE0ELb1ELb1ES3_N6thrust23THRUST_200600_302600_NS6detail15normal_iteratorINS9_10device_ptrIjEEEENS9_16discard_iteratorINS9_11use_defaultEEEj11max_functorIjEjEEDaPvRmT3_T4_T5_mT6_P12ihipStream_tbENKUlT_T0_E_clISt17integral_constantIbLb1EESW_IbLb0EEEEDaSS_ST_EUlSS_E_NS1_11comp_targetILNS1_3genE9ELNS1_11target_archE1100ELNS1_3gpuE3ELNS1_3repE0EEENS1_30default_config_static_selectorELNS0_4arch9wavefront6targetE1EEEvT1_
    .private_segment_fixed_size: 0
    .sgpr_count:     4
    .sgpr_spill_count: 0
    .symbol:         _ZN7rocprim17ROCPRIM_400000_NS6detail17trampoline_kernelINS0_14default_configENS1_20scan_config_selectorIjEEZZNS1_9scan_implILNS1_25lookback_scan_determinismE0ELb1ELb1ES3_N6thrust23THRUST_200600_302600_NS6detail15normal_iteratorINS9_10device_ptrIjEEEENS9_16discard_iteratorINS9_11use_defaultEEEj11max_functorIjEjEEDaPvRmT3_T4_T5_mT6_P12ihipStream_tbENKUlT_T0_E_clISt17integral_constantIbLb1EESW_IbLb0EEEEDaSS_ST_EUlSS_E_NS1_11comp_targetILNS1_3genE9ELNS1_11target_archE1100ELNS1_3gpuE3ELNS1_3repE0EEENS1_30default_config_static_selectorELNS0_4arch9wavefront6targetE1EEEvT1_.kd
    .uniform_work_group_size: 1
    .uses_dynamic_stack: false
    .vgpr_count:     0
    .vgpr_spill_count: 0
    .wavefront_size: 64
  - .agpr_count:     0
    .args:
      - .offset:         0
        .size:           104
        .value_kind:     by_value
    .group_segment_fixed_size: 0
    .kernarg_segment_align: 8
    .kernarg_segment_size: 104
    .language:       OpenCL C
    .language_version:
      - 2
      - 0
    .max_flat_workgroup_size: 64
    .name:           _ZN7rocprim17ROCPRIM_400000_NS6detail17trampoline_kernelINS0_14default_configENS1_20scan_config_selectorIjEEZZNS1_9scan_implILNS1_25lookback_scan_determinismE0ELb1ELb1ES3_N6thrust23THRUST_200600_302600_NS6detail15normal_iteratorINS9_10device_ptrIjEEEENS9_16discard_iteratorINS9_11use_defaultEEEj11max_functorIjEjEEDaPvRmT3_T4_T5_mT6_P12ihipStream_tbENKUlT_T0_E_clISt17integral_constantIbLb1EESW_IbLb0EEEEDaSS_ST_EUlSS_E_NS1_11comp_targetILNS1_3genE8ELNS1_11target_archE1030ELNS1_3gpuE2ELNS1_3repE0EEENS1_30default_config_static_selectorELNS0_4arch9wavefront6targetE1EEEvT1_
    .private_segment_fixed_size: 0
    .sgpr_count:     4
    .sgpr_spill_count: 0
    .symbol:         _ZN7rocprim17ROCPRIM_400000_NS6detail17trampoline_kernelINS0_14default_configENS1_20scan_config_selectorIjEEZZNS1_9scan_implILNS1_25lookback_scan_determinismE0ELb1ELb1ES3_N6thrust23THRUST_200600_302600_NS6detail15normal_iteratorINS9_10device_ptrIjEEEENS9_16discard_iteratorINS9_11use_defaultEEEj11max_functorIjEjEEDaPvRmT3_T4_T5_mT6_P12ihipStream_tbENKUlT_T0_E_clISt17integral_constantIbLb1EESW_IbLb0EEEEDaSS_ST_EUlSS_E_NS1_11comp_targetILNS1_3genE8ELNS1_11target_archE1030ELNS1_3gpuE2ELNS1_3repE0EEENS1_30default_config_static_selectorELNS0_4arch9wavefront6targetE1EEEvT1_.kd
    .uniform_work_group_size: 1
    .uses_dynamic_stack: false
    .vgpr_count:     0
    .vgpr_spill_count: 0
    .wavefront_size: 64
  - .agpr_count:     0
    .args:
      - .offset:         0
        .size:           40
        .value_kind:     by_value
    .group_segment_fixed_size: 0
    .kernarg_segment_align: 8
    .kernarg_segment_size: 40
    .language:       OpenCL C
    .language_version:
      - 2
      - 0
    .max_flat_workgroup_size: 256
    .name:           _ZN7rocprim17ROCPRIM_400000_NS6detail17trampoline_kernelINS0_14default_configENS1_20scan_config_selectorIjEEZZNS1_9scan_implILNS1_25lookback_scan_determinismE0ELb1ELb1ES3_N6thrust23THRUST_200600_302600_NS6detail15normal_iteratorINS9_10device_ptrIjEEEENS9_16discard_iteratorINS9_11use_defaultEEEj11max_functorIjEjEEDaPvRmT3_T4_T5_mT6_P12ihipStream_tbENKUlT_T0_E_clISt17integral_constantIbLb1EESW_IbLb0EEEEDaSS_ST_EUlSS_E0_NS1_11comp_targetILNS1_3genE0ELNS1_11target_archE4294967295ELNS1_3gpuE0ELNS1_3repE0EEENS1_30default_config_static_selectorELNS0_4arch9wavefront6targetE1EEEvT1_
    .private_segment_fixed_size: 0
    .sgpr_count:     4
    .sgpr_spill_count: 0
    .symbol:         _ZN7rocprim17ROCPRIM_400000_NS6detail17trampoline_kernelINS0_14default_configENS1_20scan_config_selectorIjEEZZNS1_9scan_implILNS1_25lookback_scan_determinismE0ELb1ELb1ES3_N6thrust23THRUST_200600_302600_NS6detail15normal_iteratorINS9_10device_ptrIjEEEENS9_16discard_iteratorINS9_11use_defaultEEEj11max_functorIjEjEEDaPvRmT3_T4_T5_mT6_P12ihipStream_tbENKUlT_T0_E_clISt17integral_constantIbLb1EESW_IbLb0EEEEDaSS_ST_EUlSS_E0_NS1_11comp_targetILNS1_3genE0ELNS1_11target_archE4294967295ELNS1_3gpuE0ELNS1_3repE0EEENS1_30default_config_static_selectorELNS0_4arch9wavefront6targetE1EEEvT1_.kd
    .uniform_work_group_size: 1
    .uses_dynamic_stack: false
    .vgpr_count:     0
    .vgpr_spill_count: 0
    .wavefront_size: 64
  - .agpr_count:     0
    .args:
      - .offset:         0
        .size:           40
        .value_kind:     by_value
    .group_segment_fixed_size: 0
    .kernarg_segment_align: 8
    .kernarg_segment_size: 40
    .language:       OpenCL C
    .language_version:
      - 2
      - 0
    .max_flat_workgroup_size: 256
    .name:           _ZN7rocprim17ROCPRIM_400000_NS6detail17trampoline_kernelINS0_14default_configENS1_20scan_config_selectorIjEEZZNS1_9scan_implILNS1_25lookback_scan_determinismE0ELb1ELb1ES3_N6thrust23THRUST_200600_302600_NS6detail15normal_iteratorINS9_10device_ptrIjEEEENS9_16discard_iteratorINS9_11use_defaultEEEj11max_functorIjEjEEDaPvRmT3_T4_T5_mT6_P12ihipStream_tbENKUlT_T0_E_clISt17integral_constantIbLb1EESW_IbLb0EEEEDaSS_ST_EUlSS_E0_NS1_11comp_targetILNS1_3genE5ELNS1_11target_archE942ELNS1_3gpuE9ELNS1_3repE0EEENS1_30default_config_static_selectorELNS0_4arch9wavefront6targetE1EEEvT1_
    .private_segment_fixed_size: 0
    .sgpr_count:     4
    .sgpr_spill_count: 0
    .symbol:         _ZN7rocprim17ROCPRIM_400000_NS6detail17trampoline_kernelINS0_14default_configENS1_20scan_config_selectorIjEEZZNS1_9scan_implILNS1_25lookback_scan_determinismE0ELb1ELb1ES3_N6thrust23THRUST_200600_302600_NS6detail15normal_iteratorINS9_10device_ptrIjEEEENS9_16discard_iteratorINS9_11use_defaultEEEj11max_functorIjEjEEDaPvRmT3_T4_T5_mT6_P12ihipStream_tbENKUlT_T0_E_clISt17integral_constantIbLb1EESW_IbLb0EEEEDaSS_ST_EUlSS_E0_NS1_11comp_targetILNS1_3genE5ELNS1_11target_archE942ELNS1_3gpuE9ELNS1_3repE0EEENS1_30default_config_static_selectorELNS0_4arch9wavefront6targetE1EEEvT1_.kd
    .uniform_work_group_size: 1
    .uses_dynamic_stack: false
    .vgpr_count:     0
    .vgpr_spill_count: 0
    .wavefront_size: 64
  - .agpr_count:     0
    .args:
      - .offset:         0
        .size:           40
        .value_kind:     by_value
    .group_segment_fixed_size: 5120
    .kernarg_segment_align: 8
    .kernarg_segment_size: 40
    .language:       OpenCL C
    .language_version:
      - 2
      - 0
    .max_flat_workgroup_size: 128
    .name:           _ZN7rocprim17ROCPRIM_400000_NS6detail17trampoline_kernelINS0_14default_configENS1_20scan_config_selectorIjEEZZNS1_9scan_implILNS1_25lookback_scan_determinismE0ELb1ELb1ES3_N6thrust23THRUST_200600_302600_NS6detail15normal_iteratorINS9_10device_ptrIjEEEENS9_16discard_iteratorINS9_11use_defaultEEEj11max_functorIjEjEEDaPvRmT3_T4_T5_mT6_P12ihipStream_tbENKUlT_T0_E_clISt17integral_constantIbLb1EESW_IbLb0EEEEDaSS_ST_EUlSS_E0_NS1_11comp_targetILNS1_3genE4ELNS1_11target_archE910ELNS1_3gpuE8ELNS1_3repE0EEENS1_30default_config_static_selectorELNS0_4arch9wavefront6targetE1EEEvT1_
    .private_segment_fixed_size: 0
    .sgpr_count:     12
    .sgpr_spill_count: 0
    .symbol:         _ZN7rocprim17ROCPRIM_400000_NS6detail17trampoline_kernelINS0_14default_configENS1_20scan_config_selectorIjEEZZNS1_9scan_implILNS1_25lookback_scan_determinismE0ELb1ELb1ES3_N6thrust23THRUST_200600_302600_NS6detail15normal_iteratorINS9_10device_ptrIjEEEENS9_16discard_iteratorINS9_11use_defaultEEEj11max_functorIjEjEEDaPvRmT3_T4_T5_mT6_P12ihipStream_tbENKUlT_T0_E_clISt17integral_constantIbLb1EESW_IbLb0EEEEDaSS_ST_EUlSS_E0_NS1_11comp_targetILNS1_3genE4ELNS1_11target_archE910ELNS1_3gpuE8ELNS1_3repE0EEENS1_30default_config_static_selectorELNS0_4arch9wavefront6targetE1EEEvT1_.kd
    .uniform_work_group_size: 1
    .uses_dynamic_stack: false
    .vgpr_count:     18
    .vgpr_spill_count: 0
    .wavefront_size: 64
  - .agpr_count:     0
    .args:
      - .offset:         0
        .size:           40
        .value_kind:     by_value
    .group_segment_fixed_size: 0
    .kernarg_segment_align: 8
    .kernarg_segment_size: 40
    .language:       OpenCL C
    .language_version:
      - 2
      - 0
    .max_flat_workgroup_size: 256
    .name:           _ZN7rocprim17ROCPRIM_400000_NS6detail17trampoline_kernelINS0_14default_configENS1_20scan_config_selectorIjEEZZNS1_9scan_implILNS1_25lookback_scan_determinismE0ELb1ELb1ES3_N6thrust23THRUST_200600_302600_NS6detail15normal_iteratorINS9_10device_ptrIjEEEENS9_16discard_iteratorINS9_11use_defaultEEEj11max_functorIjEjEEDaPvRmT3_T4_T5_mT6_P12ihipStream_tbENKUlT_T0_E_clISt17integral_constantIbLb1EESW_IbLb0EEEEDaSS_ST_EUlSS_E0_NS1_11comp_targetILNS1_3genE3ELNS1_11target_archE908ELNS1_3gpuE7ELNS1_3repE0EEENS1_30default_config_static_selectorELNS0_4arch9wavefront6targetE1EEEvT1_
    .private_segment_fixed_size: 0
    .sgpr_count:     4
    .sgpr_spill_count: 0
    .symbol:         _ZN7rocprim17ROCPRIM_400000_NS6detail17trampoline_kernelINS0_14default_configENS1_20scan_config_selectorIjEEZZNS1_9scan_implILNS1_25lookback_scan_determinismE0ELb1ELb1ES3_N6thrust23THRUST_200600_302600_NS6detail15normal_iteratorINS9_10device_ptrIjEEEENS9_16discard_iteratorINS9_11use_defaultEEEj11max_functorIjEjEEDaPvRmT3_T4_T5_mT6_P12ihipStream_tbENKUlT_T0_E_clISt17integral_constantIbLb1EESW_IbLb0EEEEDaSS_ST_EUlSS_E0_NS1_11comp_targetILNS1_3genE3ELNS1_11target_archE908ELNS1_3gpuE7ELNS1_3repE0EEENS1_30default_config_static_selectorELNS0_4arch9wavefront6targetE1EEEvT1_.kd
    .uniform_work_group_size: 1
    .uses_dynamic_stack: false
    .vgpr_count:     0
    .vgpr_spill_count: 0
    .wavefront_size: 64
  - .agpr_count:     0
    .args:
      - .offset:         0
        .size:           40
        .value_kind:     by_value
    .group_segment_fixed_size: 0
    .kernarg_segment_align: 8
    .kernarg_segment_size: 40
    .language:       OpenCL C
    .language_version:
      - 2
      - 0
    .max_flat_workgroup_size: 256
    .name:           _ZN7rocprim17ROCPRIM_400000_NS6detail17trampoline_kernelINS0_14default_configENS1_20scan_config_selectorIjEEZZNS1_9scan_implILNS1_25lookback_scan_determinismE0ELb1ELb1ES3_N6thrust23THRUST_200600_302600_NS6detail15normal_iteratorINS9_10device_ptrIjEEEENS9_16discard_iteratorINS9_11use_defaultEEEj11max_functorIjEjEEDaPvRmT3_T4_T5_mT6_P12ihipStream_tbENKUlT_T0_E_clISt17integral_constantIbLb1EESW_IbLb0EEEEDaSS_ST_EUlSS_E0_NS1_11comp_targetILNS1_3genE2ELNS1_11target_archE906ELNS1_3gpuE6ELNS1_3repE0EEENS1_30default_config_static_selectorELNS0_4arch9wavefront6targetE1EEEvT1_
    .private_segment_fixed_size: 0
    .sgpr_count:     4
    .sgpr_spill_count: 0
    .symbol:         _ZN7rocprim17ROCPRIM_400000_NS6detail17trampoline_kernelINS0_14default_configENS1_20scan_config_selectorIjEEZZNS1_9scan_implILNS1_25lookback_scan_determinismE0ELb1ELb1ES3_N6thrust23THRUST_200600_302600_NS6detail15normal_iteratorINS9_10device_ptrIjEEEENS9_16discard_iteratorINS9_11use_defaultEEEj11max_functorIjEjEEDaPvRmT3_T4_T5_mT6_P12ihipStream_tbENKUlT_T0_E_clISt17integral_constantIbLb1EESW_IbLb0EEEEDaSS_ST_EUlSS_E0_NS1_11comp_targetILNS1_3genE2ELNS1_11target_archE906ELNS1_3gpuE6ELNS1_3repE0EEENS1_30default_config_static_selectorELNS0_4arch9wavefront6targetE1EEEvT1_.kd
    .uniform_work_group_size: 1
    .uses_dynamic_stack: false
    .vgpr_count:     0
    .vgpr_spill_count: 0
    .wavefront_size: 64
  - .agpr_count:     0
    .args:
      - .offset:         0
        .size:           40
        .value_kind:     by_value
    .group_segment_fixed_size: 0
    .kernarg_segment_align: 8
    .kernarg_segment_size: 40
    .language:       OpenCL C
    .language_version:
      - 2
      - 0
    .max_flat_workgroup_size: 256
    .name:           _ZN7rocprim17ROCPRIM_400000_NS6detail17trampoline_kernelINS0_14default_configENS1_20scan_config_selectorIjEEZZNS1_9scan_implILNS1_25lookback_scan_determinismE0ELb1ELb1ES3_N6thrust23THRUST_200600_302600_NS6detail15normal_iteratorINS9_10device_ptrIjEEEENS9_16discard_iteratorINS9_11use_defaultEEEj11max_functorIjEjEEDaPvRmT3_T4_T5_mT6_P12ihipStream_tbENKUlT_T0_E_clISt17integral_constantIbLb1EESW_IbLb0EEEEDaSS_ST_EUlSS_E0_NS1_11comp_targetILNS1_3genE10ELNS1_11target_archE1201ELNS1_3gpuE5ELNS1_3repE0EEENS1_30default_config_static_selectorELNS0_4arch9wavefront6targetE1EEEvT1_
    .private_segment_fixed_size: 0
    .sgpr_count:     4
    .sgpr_spill_count: 0
    .symbol:         _ZN7rocprim17ROCPRIM_400000_NS6detail17trampoline_kernelINS0_14default_configENS1_20scan_config_selectorIjEEZZNS1_9scan_implILNS1_25lookback_scan_determinismE0ELb1ELb1ES3_N6thrust23THRUST_200600_302600_NS6detail15normal_iteratorINS9_10device_ptrIjEEEENS9_16discard_iteratorINS9_11use_defaultEEEj11max_functorIjEjEEDaPvRmT3_T4_T5_mT6_P12ihipStream_tbENKUlT_T0_E_clISt17integral_constantIbLb1EESW_IbLb0EEEEDaSS_ST_EUlSS_E0_NS1_11comp_targetILNS1_3genE10ELNS1_11target_archE1201ELNS1_3gpuE5ELNS1_3repE0EEENS1_30default_config_static_selectorELNS0_4arch9wavefront6targetE1EEEvT1_.kd
    .uniform_work_group_size: 1
    .uses_dynamic_stack: false
    .vgpr_count:     0
    .vgpr_spill_count: 0
    .wavefront_size: 64
  - .agpr_count:     0
    .args:
      - .offset:         0
        .size:           40
        .value_kind:     by_value
    .group_segment_fixed_size: 0
    .kernarg_segment_align: 8
    .kernarg_segment_size: 40
    .language:       OpenCL C
    .language_version:
      - 2
      - 0
    .max_flat_workgroup_size: 256
    .name:           _ZN7rocprim17ROCPRIM_400000_NS6detail17trampoline_kernelINS0_14default_configENS1_20scan_config_selectorIjEEZZNS1_9scan_implILNS1_25lookback_scan_determinismE0ELb1ELb1ES3_N6thrust23THRUST_200600_302600_NS6detail15normal_iteratorINS9_10device_ptrIjEEEENS9_16discard_iteratorINS9_11use_defaultEEEj11max_functorIjEjEEDaPvRmT3_T4_T5_mT6_P12ihipStream_tbENKUlT_T0_E_clISt17integral_constantIbLb1EESW_IbLb0EEEEDaSS_ST_EUlSS_E0_NS1_11comp_targetILNS1_3genE10ELNS1_11target_archE1200ELNS1_3gpuE4ELNS1_3repE0EEENS1_30default_config_static_selectorELNS0_4arch9wavefront6targetE1EEEvT1_
    .private_segment_fixed_size: 0
    .sgpr_count:     4
    .sgpr_spill_count: 0
    .symbol:         _ZN7rocprim17ROCPRIM_400000_NS6detail17trampoline_kernelINS0_14default_configENS1_20scan_config_selectorIjEEZZNS1_9scan_implILNS1_25lookback_scan_determinismE0ELb1ELb1ES3_N6thrust23THRUST_200600_302600_NS6detail15normal_iteratorINS9_10device_ptrIjEEEENS9_16discard_iteratorINS9_11use_defaultEEEj11max_functorIjEjEEDaPvRmT3_T4_T5_mT6_P12ihipStream_tbENKUlT_T0_E_clISt17integral_constantIbLb1EESW_IbLb0EEEEDaSS_ST_EUlSS_E0_NS1_11comp_targetILNS1_3genE10ELNS1_11target_archE1200ELNS1_3gpuE4ELNS1_3repE0EEENS1_30default_config_static_selectorELNS0_4arch9wavefront6targetE1EEEvT1_.kd
    .uniform_work_group_size: 1
    .uses_dynamic_stack: false
    .vgpr_count:     0
    .vgpr_spill_count: 0
    .wavefront_size: 64
  - .agpr_count:     0
    .args:
      - .offset:         0
        .size:           40
        .value_kind:     by_value
    .group_segment_fixed_size: 0
    .kernarg_segment_align: 8
    .kernarg_segment_size: 40
    .language:       OpenCL C
    .language_version:
      - 2
      - 0
    .max_flat_workgroup_size: 256
    .name:           _ZN7rocprim17ROCPRIM_400000_NS6detail17trampoline_kernelINS0_14default_configENS1_20scan_config_selectorIjEEZZNS1_9scan_implILNS1_25lookback_scan_determinismE0ELb1ELb1ES3_N6thrust23THRUST_200600_302600_NS6detail15normal_iteratorINS9_10device_ptrIjEEEENS9_16discard_iteratorINS9_11use_defaultEEEj11max_functorIjEjEEDaPvRmT3_T4_T5_mT6_P12ihipStream_tbENKUlT_T0_E_clISt17integral_constantIbLb1EESW_IbLb0EEEEDaSS_ST_EUlSS_E0_NS1_11comp_targetILNS1_3genE9ELNS1_11target_archE1100ELNS1_3gpuE3ELNS1_3repE0EEENS1_30default_config_static_selectorELNS0_4arch9wavefront6targetE1EEEvT1_
    .private_segment_fixed_size: 0
    .sgpr_count:     4
    .sgpr_spill_count: 0
    .symbol:         _ZN7rocprim17ROCPRIM_400000_NS6detail17trampoline_kernelINS0_14default_configENS1_20scan_config_selectorIjEEZZNS1_9scan_implILNS1_25lookback_scan_determinismE0ELb1ELb1ES3_N6thrust23THRUST_200600_302600_NS6detail15normal_iteratorINS9_10device_ptrIjEEEENS9_16discard_iteratorINS9_11use_defaultEEEj11max_functorIjEjEEDaPvRmT3_T4_T5_mT6_P12ihipStream_tbENKUlT_T0_E_clISt17integral_constantIbLb1EESW_IbLb0EEEEDaSS_ST_EUlSS_E0_NS1_11comp_targetILNS1_3genE9ELNS1_11target_archE1100ELNS1_3gpuE3ELNS1_3repE0EEENS1_30default_config_static_selectorELNS0_4arch9wavefront6targetE1EEEvT1_.kd
    .uniform_work_group_size: 1
    .uses_dynamic_stack: false
    .vgpr_count:     0
    .vgpr_spill_count: 0
    .wavefront_size: 64
  - .agpr_count:     0
    .args:
      - .offset:         0
        .size:           40
        .value_kind:     by_value
    .group_segment_fixed_size: 0
    .kernarg_segment_align: 8
    .kernarg_segment_size: 40
    .language:       OpenCL C
    .language_version:
      - 2
      - 0
    .max_flat_workgroup_size: 64
    .name:           _ZN7rocprim17ROCPRIM_400000_NS6detail17trampoline_kernelINS0_14default_configENS1_20scan_config_selectorIjEEZZNS1_9scan_implILNS1_25lookback_scan_determinismE0ELb1ELb1ES3_N6thrust23THRUST_200600_302600_NS6detail15normal_iteratorINS9_10device_ptrIjEEEENS9_16discard_iteratorINS9_11use_defaultEEEj11max_functorIjEjEEDaPvRmT3_T4_T5_mT6_P12ihipStream_tbENKUlT_T0_E_clISt17integral_constantIbLb1EESW_IbLb0EEEEDaSS_ST_EUlSS_E0_NS1_11comp_targetILNS1_3genE8ELNS1_11target_archE1030ELNS1_3gpuE2ELNS1_3repE0EEENS1_30default_config_static_selectorELNS0_4arch9wavefront6targetE1EEEvT1_
    .private_segment_fixed_size: 0
    .sgpr_count:     4
    .sgpr_spill_count: 0
    .symbol:         _ZN7rocprim17ROCPRIM_400000_NS6detail17trampoline_kernelINS0_14default_configENS1_20scan_config_selectorIjEEZZNS1_9scan_implILNS1_25lookback_scan_determinismE0ELb1ELb1ES3_N6thrust23THRUST_200600_302600_NS6detail15normal_iteratorINS9_10device_ptrIjEEEENS9_16discard_iteratorINS9_11use_defaultEEEj11max_functorIjEjEEDaPvRmT3_T4_T5_mT6_P12ihipStream_tbENKUlT_T0_E_clISt17integral_constantIbLb1EESW_IbLb0EEEEDaSS_ST_EUlSS_E0_NS1_11comp_targetILNS1_3genE8ELNS1_11target_archE1030ELNS1_3gpuE2ELNS1_3repE0EEENS1_30default_config_static_selectorELNS0_4arch9wavefront6targetE1EEEvT1_.kd
    .uniform_work_group_size: 1
    .uses_dynamic_stack: false
    .vgpr_count:     0
    .vgpr_spill_count: 0
    .wavefront_size: 64
  - .agpr_count:     0
    .args:
      - .offset:         0
        .size:           104
        .value_kind:     by_value
    .group_segment_fixed_size: 0
    .kernarg_segment_align: 8
    .kernarg_segment_size: 104
    .language:       OpenCL C
    .language_version:
      - 2
      - 0
    .max_flat_workgroup_size: 256
    .name:           _ZN7rocprim17ROCPRIM_400000_NS6detail17trampoline_kernelINS0_14default_configENS1_20scan_config_selectorIjEEZZNS1_9scan_implILNS1_25lookback_scan_determinismE0ELb1ELb1ES3_N6thrust23THRUST_200600_302600_NS6detail15normal_iteratorINS9_10device_ptrIjEEEENS9_16discard_iteratorINS9_11use_defaultEEEj11max_functorIjEjEEDaPvRmT3_T4_T5_mT6_P12ihipStream_tbENKUlT_T0_E_clISt17integral_constantIbLb0EESW_IbLb1EEEEDaSS_ST_EUlSS_E_NS1_11comp_targetILNS1_3genE0ELNS1_11target_archE4294967295ELNS1_3gpuE0ELNS1_3repE0EEENS1_30default_config_static_selectorELNS0_4arch9wavefront6targetE1EEEvT1_
    .private_segment_fixed_size: 0
    .sgpr_count:     4
    .sgpr_spill_count: 0
    .symbol:         _ZN7rocprim17ROCPRIM_400000_NS6detail17trampoline_kernelINS0_14default_configENS1_20scan_config_selectorIjEEZZNS1_9scan_implILNS1_25lookback_scan_determinismE0ELb1ELb1ES3_N6thrust23THRUST_200600_302600_NS6detail15normal_iteratorINS9_10device_ptrIjEEEENS9_16discard_iteratorINS9_11use_defaultEEEj11max_functorIjEjEEDaPvRmT3_T4_T5_mT6_P12ihipStream_tbENKUlT_T0_E_clISt17integral_constantIbLb0EESW_IbLb1EEEEDaSS_ST_EUlSS_E_NS1_11comp_targetILNS1_3genE0ELNS1_11target_archE4294967295ELNS1_3gpuE0ELNS1_3repE0EEENS1_30default_config_static_selectorELNS0_4arch9wavefront6targetE1EEEvT1_.kd
    .uniform_work_group_size: 1
    .uses_dynamic_stack: false
    .vgpr_count:     0
    .vgpr_spill_count: 0
    .wavefront_size: 64
  - .agpr_count:     0
    .args:
      - .offset:         0
        .size:           104
        .value_kind:     by_value
    .group_segment_fixed_size: 0
    .kernarg_segment_align: 8
    .kernarg_segment_size: 104
    .language:       OpenCL C
    .language_version:
      - 2
      - 0
    .max_flat_workgroup_size: 256
    .name:           _ZN7rocprim17ROCPRIM_400000_NS6detail17trampoline_kernelINS0_14default_configENS1_20scan_config_selectorIjEEZZNS1_9scan_implILNS1_25lookback_scan_determinismE0ELb1ELb1ES3_N6thrust23THRUST_200600_302600_NS6detail15normal_iteratorINS9_10device_ptrIjEEEENS9_16discard_iteratorINS9_11use_defaultEEEj11max_functorIjEjEEDaPvRmT3_T4_T5_mT6_P12ihipStream_tbENKUlT_T0_E_clISt17integral_constantIbLb0EESW_IbLb1EEEEDaSS_ST_EUlSS_E_NS1_11comp_targetILNS1_3genE5ELNS1_11target_archE942ELNS1_3gpuE9ELNS1_3repE0EEENS1_30default_config_static_selectorELNS0_4arch9wavefront6targetE1EEEvT1_
    .private_segment_fixed_size: 0
    .sgpr_count:     4
    .sgpr_spill_count: 0
    .symbol:         _ZN7rocprim17ROCPRIM_400000_NS6detail17trampoline_kernelINS0_14default_configENS1_20scan_config_selectorIjEEZZNS1_9scan_implILNS1_25lookback_scan_determinismE0ELb1ELb1ES3_N6thrust23THRUST_200600_302600_NS6detail15normal_iteratorINS9_10device_ptrIjEEEENS9_16discard_iteratorINS9_11use_defaultEEEj11max_functorIjEjEEDaPvRmT3_T4_T5_mT6_P12ihipStream_tbENKUlT_T0_E_clISt17integral_constantIbLb0EESW_IbLb1EEEEDaSS_ST_EUlSS_E_NS1_11comp_targetILNS1_3genE5ELNS1_11target_archE942ELNS1_3gpuE9ELNS1_3repE0EEENS1_30default_config_static_selectorELNS0_4arch9wavefront6targetE1EEEvT1_.kd
    .uniform_work_group_size: 1
    .uses_dynamic_stack: false
    .vgpr_count:     0
    .vgpr_spill_count: 0
    .wavefront_size: 64
  - .agpr_count:     0
    .args:
      - .offset:         0
        .size:           104
        .value_kind:     by_value
    .group_segment_fixed_size: 5120
    .kernarg_segment_align: 8
    .kernarg_segment_size: 104
    .language:       OpenCL C
    .language_version:
      - 2
      - 0
    .max_flat_workgroup_size: 128
    .name:           _ZN7rocprim17ROCPRIM_400000_NS6detail17trampoline_kernelINS0_14default_configENS1_20scan_config_selectorIjEEZZNS1_9scan_implILNS1_25lookback_scan_determinismE0ELb1ELb1ES3_N6thrust23THRUST_200600_302600_NS6detail15normal_iteratorINS9_10device_ptrIjEEEENS9_16discard_iteratorINS9_11use_defaultEEEj11max_functorIjEjEEDaPvRmT3_T4_T5_mT6_P12ihipStream_tbENKUlT_T0_E_clISt17integral_constantIbLb0EESW_IbLb1EEEEDaSS_ST_EUlSS_E_NS1_11comp_targetILNS1_3genE4ELNS1_11target_archE910ELNS1_3gpuE8ELNS1_3repE0EEENS1_30default_config_static_selectorELNS0_4arch9wavefront6targetE1EEEvT1_
    .private_segment_fixed_size: 0
    .sgpr_count:     36
    .sgpr_spill_count: 0
    .symbol:         _ZN7rocprim17ROCPRIM_400000_NS6detail17trampoline_kernelINS0_14default_configENS1_20scan_config_selectorIjEEZZNS1_9scan_implILNS1_25lookback_scan_determinismE0ELb1ELb1ES3_N6thrust23THRUST_200600_302600_NS6detail15normal_iteratorINS9_10device_ptrIjEEEENS9_16discard_iteratorINS9_11use_defaultEEEj11max_functorIjEjEEDaPvRmT3_T4_T5_mT6_P12ihipStream_tbENKUlT_T0_E_clISt17integral_constantIbLb0EESW_IbLb1EEEEDaSS_ST_EUlSS_E_NS1_11comp_targetILNS1_3genE4ELNS1_11target_archE910ELNS1_3gpuE8ELNS1_3repE0EEENS1_30default_config_static_selectorELNS0_4arch9wavefront6targetE1EEEvT1_.kd
    .uniform_work_group_size: 1
    .uses_dynamic_stack: false
    .vgpr_count:     40
    .vgpr_spill_count: 0
    .wavefront_size: 64
  - .agpr_count:     0
    .args:
      - .offset:         0
        .size:           104
        .value_kind:     by_value
    .group_segment_fixed_size: 0
    .kernarg_segment_align: 8
    .kernarg_segment_size: 104
    .language:       OpenCL C
    .language_version:
      - 2
      - 0
    .max_flat_workgroup_size: 256
    .name:           _ZN7rocprim17ROCPRIM_400000_NS6detail17trampoline_kernelINS0_14default_configENS1_20scan_config_selectorIjEEZZNS1_9scan_implILNS1_25lookback_scan_determinismE0ELb1ELb1ES3_N6thrust23THRUST_200600_302600_NS6detail15normal_iteratorINS9_10device_ptrIjEEEENS9_16discard_iteratorINS9_11use_defaultEEEj11max_functorIjEjEEDaPvRmT3_T4_T5_mT6_P12ihipStream_tbENKUlT_T0_E_clISt17integral_constantIbLb0EESW_IbLb1EEEEDaSS_ST_EUlSS_E_NS1_11comp_targetILNS1_3genE3ELNS1_11target_archE908ELNS1_3gpuE7ELNS1_3repE0EEENS1_30default_config_static_selectorELNS0_4arch9wavefront6targetE1EEEvT1_
    .private_segment_fixed_size: 0
    .sgpr_count:     4
    .sgpr_spill_count: 0
    .symbol:         _ZN7rocprim17ROCPRIM_400000_NS6detail17trampoline_kernelINS0_14default_configENS1_20scan_config_selectorIjEEZZNS1_9scan_implILNS1_25lookback_scan_determinismE0ELb1ELb1ES3_N6thrust23THRUST_200600_302600_NS6detail15normal_iteratorINS9_10device_ptrIjEEEENS9_16discard_iteratorINS9_11use_defaultEEEj11max_functorIjEjEEDaPvRmT3_T4_T5_mT6_P12ihipStream_tbENKUlT_T0_E_clISt17integral_constantIbLb0EESW_IbLb1EEEEDaSS_ST_EUlSS_E_NS1_11comp_targetILNS1_3genE3ELNS1_11target_archE908ELNS1_3gpuE7ELNS1_3repE0EEENS1_30default_config_static_selectorELNS0_4arch9wavefront6targetE1EEEvT1_.kd
    .uniform_work_group_size: 1
    .uses_dynamic_stack: false
    .vgpr_count:     0
    .vgpr_spill_count: 0
    .wavefront_size: 64
  - .agpr_count:     0
    .args:
      - .offset:         0
        .size:           104
        .value_kind:     by_value
    .group_segment_fixed_size: 0
    .kernarg_segment_align: 8
    .kernarg_segment_size: 104
    .language:       OpenCL C
    .language_version:
      - 2
      - 0
    .max_flat_workgroup_size: 256
    .name:           _ZN7rocprim17ROCPRIM_400000_NS6detail17trampoline_kernelINS0_14default_configENS1_20scan_config_selectorIjEEZZNS1_9scan_implILNS1_25lookback_scan_determinismE0ELb1ELb1ES3_N6thrust23THRUST_200600_302600_NS6detail15normal_iteratorINS9_10device_ptrIjEEEENS9_16discard_iteratorINS9_11use_defaultEEEj11max_functorIjEjEEDaPvRmT3_T4_T5_mT6_P12ihipStream_tbENKUlT_T0_E_clISt17integral_constantIbLb0EESW_IbLb1EEEEDaSS_ST_EUlSS_E_NS1_11comp_targetILNS1_3genE2ELNS1_11target_archE906ELNS1_3gpuE6ELNS1_3repE0EEENS1_30default_config_static_selectorELNS0_4arch9wavefront6targetE1EEEvT1_
    .private_segment_fixed_size: 0
    .sgpr_count:     4
    .sgpr_spill_count: 0
    .symbol:         _ZN7rocprim17ROCPRIM_400000_NS6detail17trampoline_kernelINS0_14default_configENS1_20scan_config_selectorIjEEZZNS1_9scan_implILNS1_25lookback_scan_determinismE0ELb1ELb1ES3_N6thrust23THRUST_200600_302600_NS6detail15normal_iteratorINS9_10device_ptrIjEEEENS9_16discard_iteratorINS9_11use_defaultEEEj11max_functorIjEjEEDaPvRmT3_T4_T5_mT6_P12ihipStream_tbENKUlT_T0_E_clISt17integral_constantIbLb0EESW_IbLb1EEEEDaSS_ST_EUlSS_E_NS1_11comp_targetILNS1_3genE2ELNS1_11target_archE906ELNS1_3gpuE6ELNS1_3repE0EEENS1_30default_config_static_selectorELNS0_4arch9wavefront6targetE1EEEvT1_.kd
    .uniform_work_group_size: 1
    .uses_dynamic_stack: false
    .vgpr_count:     0
    .vgpr_spill_count: 0
    .wavefront_size: 64
  - .agpr_count:     0
    .args:
      - .offset:         0
        .size:           104
        .value_kind:     by_value
    .group_segment_fixed_size: 0
    .kernarg_segment_align: 8
    .kernarg_segment_size: 104
    .language:       OpenCL C
    .language_version:
      - 2
      - 0
    .max_flat_workgroup_size: 256
    .name:           _ZN7rocprim17ROCPRIM_400000_NS6detail17trampoline_kernelINS0_14default_configENS1_20scan_config_selectorIjEEZZNS1_9scan_implILNS1_25lookback_scan_determinismE0ELb1ELb1ES3_N6thrust23THRUST_200600_302600_NS6detail15normal_iteratorINS9_10device_ptrIjEEEENS9_16discard_iteratorINS9_11use_defaultEEEj11max_functorIjEjEEDaPvRmT3_T4_T5_mT6_P12ihipStream_tbENKUlT_T0_E_clISt17integral_constantIbLb0EESW_IbLb1EEEEDaSS_ST_EUlSS_E_NS1_11comp_targetILNS1_3genE10ELNS1_11target_archE1201ELNS1_3gpuE5ELNS1_3repE0EEENS1_30default_config_static_selectorELNS0_4arch9wavefront6targetE1EEEvT1_
    .private_segment_fixed_size: 0
    .sgpr_count:     4
    .sgpr_spill_count: 0
    .symbol:         _ZN7rocprim17ROCPRIM_400000_NS6detail17trampoline_kernelINS0_14default_configENS1_20scan_config_selectorIjEEZZNS1_9scan_implILNS1_25lookback_scan_determinismE0ELb1ELb1ES3_N6thrust23THRUST_200600_302600_NS6detail15normal_iteratorINS9_10device_ptrIjEEEENS9_16discard_iteratorINS9_11use_defaultEEEj11max_functorIjEjEEDaPvRmT3_T4_T5_mT6_P12ihipStream_tbENKUlT_T0_E_clISt17integral_constantIbLb0EESW_IbLb1EEEEDaSS_ST_EUlSS_E_NS1_11comp_targetILNS1_3genE10ELNS1_11target_archE1201ELNS1_3gpuE5ELNS1_3repE0EEENS1_30default_config_static_selectorELNS0_4arch9wavefront6targetE1EEEvT1_.kd
    .uniform_work_group_size: 1
    .uses_dynamic_stack: false
    .vgpr_count:     0
    .vgpr_spill_count: 0
    .wavefront_size: 64
  - .agpr_count:     0
    .args:
      - .offset:         0
        .size:           104
        .value_kind:     by_value
    .group_segment_fixed_size: 0
    .kernarg_segment_align: 8
    .kernarg_segment_size: 104
    .language:       OpenCL C
    .language_version:
      - 2
      - 0
    .max_flat_workgroup_size: 256
    .name:           _ZN7rocprim17ROCPRIM_400000_NS6detail17trampoline_kernelINS0_14default_configENS1_20scan_config_selectorIjEEZZNS1_9scan_implILNS1_25lookback_scan_determinismE0ELb1ELb1ES3_N6thrust23THRUST_200600_302600_NS6detail15normal_iteratorINS9_10device_ptrIjEEEENS9_16discard_iteratorINS9_11use_defaultEEEj11max_functorIjEjEEDaPvRmT3_T4_T5_mT6_P12ihipStream_tbENKUlT_T0_E_clISt17integral_constantIbLb0EESW_IbLb1EEEEDaSS_ST_EUlSS_E_NS1_11comp_targetILNS1_3genE10ELNS1_11target_archE1200ELNS1_3gpuE4ELNS1_3repE0EEENS1_30default_config_static_selectorELNS0_4arch9wavefront6targetE1EEEvT1_
    .private_segment_fixed_size: 0
    .sgpr_count:     4
    .sgpr_spill_count: 0
    .symbol:         _ZN7rocprim17ROCPRIM_400000_NS6detail17trampoline_kernelINS0_14default_configENS1_20scan_config_selectorIjEEZZNS1_9scan_implILNS1_25lookback_scan_determinismE0ELb1ELb1ES3_N6thrust23THRUST_200600_302600_NS6detail15normal_iteratorINS9_10device_ptrIjEEEENS9_16discard_iteratorINS9_11use_defaultEEEj11max_functorIjEjEEDaPvRmT3_T4_T5_mT6_P12ihipStream_tbENKUlT_T0_E_clISt17integral_constantIbLb0EESW_IbLb1EEEEDaSS_ST_EUlSS_E_NS1_11comp_targetILNS1_3genE10ELNS1_11target_archE1200ELNS1_3gpuE4ELNS1_3repE0EEENS1_30default_config_static_selectorELNS0_4arch9wavefront6targetE1EEEvT1_.kd
    .uniform_work_group_size: 1
    .uses_dynamic_stack: false
    .vgpr_count:     0
    .vgpr_spill_count: 0
    .wavefront_size: 64
  - .agpr_count:     0
    .args:
      - .offset:         0
        .size:           104
        .value_kind:     by_value
    .group_segment_fixed_size: 0
    .kernarg_segment_align: 8
    .kernarg_segment_size: 104
    .language:       OpenCL C
    .language_version:
      - 2
      - 0
    .max_flat_workgroup_size: 256
    .name:           _ZN7rocprim17ROCPRIM_400000_NS6detail17trampoline_kernelINS0_14default_configENS1_20scan_config_selectorIjEEZZNS1_9scan_implILNS1_25lookback_scan_determinismE0ELb1ELb1ES3_N6thrust23THRUST_200600_302600_NS6detail15normal_iteratorINS9_10device_ptrIjEEEENS9_16discard_iteratorINS9_11use_defaultEEEj11max_functorIjEjEEDaPvRmT3_T4_T5_mT6_P12ihipStream_tbENKUlT_T0_E_clISt17integral_constantIbLb0EESW_IbLb1EEEEDaSS_ST_EUlSS_E_NS1_11comp_targetILNS1_3genE9ELNS1_11target_archE1100ELNS1_3gpuE3ELNS1_3repE0EEENS1_30default_config_static_selectorELNS0_4arch9wavefront6targetE1EEEvT1_
    .private_segment_fixed_size: 0
    .sgpr_count:     4
    .sgpr_spill_count: 0
    .symbol:         _ZN7rocprim17ROCPRIM_400000_NS6detail17trampoline_kernelINS0_14default_configENS1_20scan_config_selectorIjEEZZNS1_9scan_implILNS1_25lookback_scan_determinismE0ELb1ELb1ES3_N6thrust23THRUST_200600_302600_NS6detail15normal_iteratorINS9_10device_ptrIjEEEENS9_16discard_iteratorINS9_11use_defaultEEEj11max_functorIjEjEEDaPvRmT3_T4_T5_mT6_P12ihipStream_tbENKUlT_T0_E_clISt17integral_constantIbLb0EESW_IbLb1EEEEDaSS_ST_EUlSS_E_NS1_11comp_targetILNS1_3genE9ELNS1_11target_archE1100ELNS1_3gpuE3ELNS1_3repE0EEENS1_30default_config_static_selectorELNS0_4arch9wavefront6targetE1EEEvT1_.kd
    .uniform_work_group_size: 1
    .uses_dynamic_stack: false
    .vgpr_count:     0
    .vgpr_spill_count: 0
    .wavefront_size: 64
  - .agpr_count:     0
    .args:
      - .offset:         0
        .size:           104
        .value_kind:     by_value
    .group_segment_fixed_size: 0
    .kernarg_segment_align: 8
    .kernarg_segment_size: 104
    .language:       OpenCL C
    .language_version:
      - 2
      - 0
    .max_flat_workgroup_size: 64
    .name:           _ZN7rocprim17ROCPRIM_400000_NS6detail17trampoline_kernelINS0_14default_configENS1_20scan_config_selectorIjEEZZNS1_9scan_implILNS1_25lookback_scan_determinismE0ELb1ELb1ES3_N6thrust23THRUST_200600_302600_NS6detail15normal_iteratorINS9_10device_ptrIjEEEENS9_16discard_iteratorINS9_11use_defaultEEEj11max_functorIjEjEEDaPvRmT3_T4_T5_mT6_P12ihipStream_tbENKUlT_T0_E_clISt17integral_constantIbLb0EESW_IbLb1EEEEDaSS_ST_EUlSS_E_NS1_11comp_targetILNS1_3genE8ELNS1_11target_archE1030ELNS1_3gpuE2ELNS1_3repE0EEENS1_30default_config_static_selectorELNS0_4arch9wavefront6targetE1EEEvT1_
    .private_segment_fixed_size: 0
    .sgpr_count:     4
    .sgpr_spill_count: 0
    .symbol:         _ZN7rocprim17ROCPRIM_400000_NS6detail17trampoline_kernelINS0_14default_configENS1_20scan_config_selectorIjEEZZNS1_9scan_implILNS1_25lookback_scan_determinismE0ELb1ELb1ES3_N6thrust23THRUST_200600_302600_NS6detail15normal_iteratorINS9_10device_ptrIjEEEENS9_16discard_iteratorINS9_11use_defaultEEEj11max_functorIjEjEEDaPvRmT3_T4_T5_mT6_P12ihipStream_tbENKUlT_T0_E_clISt17integral_constantIbLb0EESW_IbLb1EEEEDaSS_ST_EUlSS_E_NS1_11comp_targetILNS1_3genE8ELNS1_11target_archE1030ELNS1_3gpuE2ELNS1_3repE0EEENS1_30default_config_static_selectorELNS0_4arch9wavefront6targetE1EEEvT1_.kd
    .uniform_work_group_size: 1
    .uses_dynamic_stack: false
    .vgpr_count:     0
    .vgpr_spill_count: 0
    .wavefront_size: 64
  - .agpr_count:     0
    .args:
      - .offset:         0
        .size:           40
        .value_kind:     by_value
    .group_segment_fixed_size: 0
    .kernarg_segment_align: 8
    .kernarg_segment_size: 40
    .language:       OpenCL C
    .language_version:
      - 2
      - 0
    .max_flat_workgroup_size: 256
    .name:           _ZN7rocprim17ROCPRIM_400000_NS6detail17trampoline_kernelINS0_14default_configENS1_20scan_config_selectorIjEEZZNS1_9scan_implILNS1_25lookback_scan_determinismE0ELb1ELb1ES3_N6thrust23THRUST_200600_302600_NS6detail15normal_iteratorINS9_10device_ptrIjEEEENS9_16discard_iteratorINS9_11use_defaultEEEj11max_functorIjEjEEDaPvRmT3_T4_T5_mT6_P12ihipStream_tbENKUlT_T0_E_clISt17integral_constantIbLb0EESW_IbLb1EEEEDaSS_ST_EUlSS_E0_NS1_11comp_targetILNS1_3genE0ELNS1_11target_archE4294967295ELNS1_3gpuE0ELNS1_3repE0EEENS1_30default_config_static_selectorELNS0_4arch9wavefront6targetE1EEEvT1_
    .private_segment_fixed_size: 0
    .sgpr_count:     4
    .sgpr_spill_count: 0
    .symbol:         _ZN7rocprim17ROCPRIM_400000_NS6detail17trampoline_kernelINS0_14default_configENS1_20scan_config_selectorIjEEZZNS1_9scan_implILNS1_25lookback_scan_determinismE0ELb1ELb1ES3_N6thrust23THRUST_200600_302600_NS6detail15normal_iteratorINS9_10device_ptrIjEEEENS9_16discard_iteratorINS9_11use_defaultEEEj11max_functorIjEjEEDaPvRmT3_T4_T5_mT6_P12ihipStream_tbENKUlT_T0_E_clISt17integral_constantIbLb0EESW_IbLb1EEEEDaSS_ST_EUlSS_E0_NS1_11comp_targetILNS1_3genE0ELNS1_11target_archE4294967295ELNS1_3gpuE0ELNS1_3repE0EEENS1_30default_config_static_selectorELNS0_4arch9wavefront6targetE1EEEvT1_.kd
    .uniform_work_group_size: 1
    .uses_dynamic_stack: false
    .vgpr_count:     0
    .vgpr_spill_count: 0
    .wavefront_size: 64
  - .agpr_count:     0
    .args:
      - .offset:         0
        .size:           40
        .value_kind:     by_value
    .group_segment_fixed_size: 0
    .kernarg_segment_align: 8
    .kernarg_segment_size: 40
    .language:       OpenCL C
    .language_version:
      - 2
      - 0
    .max_flat_workgroup_size: 256
    .name:           _ZN7rocprim17ROCPRIM_400000_NS6detail17trampoline_kernelINS0_14default_configENS1_20scan_config_selectorIjEEZZNS1_9scan_implILNS1_25lookback_scan_determinismE0ELb1ELb1ES3_N6thrust23THRUST_200600_302600_NS6detail15normal_iteratorINS9_10device_ptrIjEEEENS9_16discard_iteratorINS9_11use_defaultEEEj11max_functorIjEjEEDaPvRmT3_T4_T5_mT6_P12ihipStream_tbENKUlT_T0_E_clISt17integral_constantIbLb0EESW_IbLb1EEEEDaSS_ST_EUlSS_E0_NS1_11comp_targetILNS1_3genE5ELNS1_11target_archE942ELNS1_3gpuE9ELNS1_3repE0EEENS1_30default_config_static_selectorELNS0_4arch9wavefront6targetE1EEEvT1_
    .private_segment_fixed_size: 0
    .sgpr_count:     4
    .sgpr_spill_count: 0
    .symbol:         _ZN7rocprim17ROCPRIM_400000_NS6detail17trampoline_kernelINS0_14default_configENS1_20scan_config_selectorIjEEZZNS1_9scan_implILNS1_25lookback_scan_determinismE0ELb1ELb1ES3_N6thrust23THRUST_200600_302600_NS6detail15normal_iteratorINS9_10device_ptrIjEEEENS9_16discard_iteratorINS9_11use_defaultEEEj11max_functorIjEjEEDaPvRmT3_T4_T5_mT6_P12ihipStream_tbENKUlT_T0_E_clISt17integral_constantIbLb0EESW_IbLb1EEEEDaSS_ST_EUlSS_E0_NS1_11comp_targetILNS1_3genE5ELNS1_11target_archE942ELNS1_3gpuE9ELNS1_3repE0EEENS1_30default_config_static_selectorELNS0_4arch9wavefront6targetE1EEEvT1_.kd
    .uniform_work_group_size: 1
    .uses_dynamic_stack: false
    .vgpr_count:     0
    .vgpr_spill_count: 0
    .wavefront_size: 64
  - .agpr_count:     0
    .args:
      - .offset:         0
        .size:           40
        .value_kind:     by_value
    .group_segment_fixed_size: 5120
    .kernarg_segment_align: 8
    .kernarg_segment_size: 40
    .language:       OpenCL C
    .language_version:
      - 2
      - 0
    .max_flat_workgroup_size: 128
    .name:           _ZN7rocprim17ROCPRIM_400000_NS6detail17trampoline_kernelINS0_14default_configENS1_20scan_config_selectorIjEEZZNS1_9scan_implILNS1_25lookback_scan_determinismE0ELb1ELb1ES3_N6thrust23THRUST_200600_302600_NS6detail15normal_iteratorINS9_10device_ptrIjEEEENS9_16discard_iteratorINS9_11use_defaultEEEj11max_functorIjEjEEDaPvRmT3_T4_T5_mT6_P12ihipStream_tbENKUlT_T0_E_clISt17integral_constantIbLb0EESW_IbLb1EEEEDaSS_ST_EUlSS_E0_NS1_11comp_targetILNS1_3genE4ELNS1_11target_archE910ELNS1_3gpuE8ELNS1_3repE0EEENS1_30default_config_static_selectorELNS0_4arch9wavefront6targetE1EEEvT1_
    .private_segment_fixed_size: 0
    .sgpr_count:     12
    .sgpr_spill_count: 0
    .symbol:         _ZN7rocprim17ROCPRIM_400000_NS6detail17trampoline_kernelINS0_14default_configENS1_20scan_config_selectorIjEEZZNS1_9scan_implILNS1_25lookback_scan_determinismE0ELb1ELb1ES3_N6thrust23THRUST_200600_302600_NS6detail15normal_iteratorINS9_10device_ptrIjEEEENS9_16discard_iteratorINS9_11use_defaultEEEj11max_functorIjEjEEDaPvRmT3_T4_T5_mT6_P12ihipStream_tbENKUlT_T0_E_clISt17integral_constantIbLb0EESW_IbLb1EEEEDaSS_ST_EUlSS_E0_NS1_11comp_targetILNS1_3genE4ELNS1_11target_archE910ELNS1_3gpuE8ELNS1_3repE0EEENS1_30default_config_static_selectorELNS0_4arch9wavefront6targetE1EEEvT1_.kd
    .uniform_work_group_size: 1
    .uses_dynamic_stack: false
    .vgpr_count:     18
    .vgpr_spill_count: 0
    .wavefront_size: 64
  - .agpr_count:     0
    .args:
      - .offset:         0
        .size:           40
        .value_kind:     by_value
    .group_segment_fixed_size: 0
    .kernarg_segment_align: 8
    .kernarg_segment_size: 40
    .language:       OpenCL C
    .language_version:
      - 2
      - 0
    .max_flat_workgroup_size: 256
    .name:           _ZN7rocprim17ROCPRIM_400000_NS6detail17trampoline_kernelINS0_14default_configENS1_20scan_config_selectorIjEEZZNS1_9scan_implILNS1_25lookback_scan_determinismE0ELb1ELb1ES3_N6thrust23THRUST_200600_302600_NS6detail15normal_iteratorINS9_10device_ptrIjEEEENS9_16discard_iteratorINS9_11use_defaultEEEj11max_functorIjEjEEDaPvRmT3_T4_T5_mT6_P12ihipStream_tbENKUlT_T0_E_clISt17integral_constantIbLb0EESW_IbLb1EEEEDaSS_ST_EUlSS_E0_NS1_11comp_targetILNS1_3genE3ELNS1_11target_archE908ELNS1_3gpuE7ELNS1_3repE0EEENS1_30default_config_static_selectorELNS0_4arch9wavefront6targetE1EEEvT1_
    .private_segment_fixed_size: 0
    .sgpr_count:     4
    .sgpr_spill_count: 0
    .symbol:         _ZN7rocprim17ROCPRIM_400000_NS6detail17trampoline_kernelINS0_14default_configENS1_20scan_config_selectorIjEEZZNS1_9scan_implILNS1_25lookback_scan_determinismE0ELb1ELb1ES3_N6thrust23THRUST_200600_302600_NS6detail15normal_iteratorINS9_10device_ptrIjEEEENS9_16discard_iteratorINS9_11use_defaultEEEj11max_functorIjEjEEDaPvRmT3_T4_T5_mT6_P12ihipStream_tbENKUlT_T0_E_clISt17integral_constantIbLb0EESW_IbLb1EEEEDaSS_ST_EUlSS_E0_NS1_11comp_targetILNS1_3genE3ELNS1_11target_archE908ELNS1_3gpuE7ELNS1_3repE0EEENS1_30default_config_static_selectorELNS0_4arch9wavefront6targetE1EEEvT1_.kd
    .uniform_work_group_size: 1
    .uses_dynamic_stack: false
    .vgpr_count:     0
    .vgpr_spill_count: 0
    .wavefront_size: 64
  - .agpr_count:     0
    .args:
      - .offset:         0
        .size:           40
        .value_kind:     by_value
    .group_segment_fixed_size: 0
    .kernarg_segment_align: 8
    .kernarg_segment_size: 40
    .language:       OpenCL C
    .language_version:
      - 2
      - 0
    .max_flat_workgroup_size: 256
    .name:           _ZN7rocprim17ROCPRIM_400000_NS6detail17trampoline_kernelINS0_14default_configENS1_20scan_config_selectorIjEEZZNS1_9scan_implILNS1_25lookback_scan_determinismE0ELb1ELb1ES3_N6thrust23THRUST_200600_302600_NS6detail15normal_iteratorINS9_10device_ptrIjEEEENS9_16discard_iteratorINS9_11use_defaultEEEj11max_functorIjEjEEDaPvRmT3_T4_T5_mT6_P12ihipStream_tbENKUlT_T0_E_clISt17integral_constantIbLb0EESW_IbLb1EEEEDaSS_ST_EUlSS_E0_NS1_11comp_targetILNS1_3genE2ELNS1_11target_archE906ELNS1_3gpuE6ELNS1_3repE0EEENS1_30default_config_static_selectorELNS0_4arch9wavefront6targetE1EEEvT1_
    .private_segment_fixed_size: 0
    .sgpr_count:     4
    .sgpr_spill_count: 0
    .symbol:         _ZN7rocprim17ROCPRIM_400000_NS6detail17trampoline_kernelINS0_14default_configENS1_20scan_config_selectorIjEEZZNS1_9scan_implILNS1_25lookback_scan_determinismE0ELb1ELb1ES3_N6thrust23THRUST_200600_302600_NS6detail15normal_iteratorINS9_10device_ptrIjEEEENS9_16discard_iteratorINS9_11use_defaultEEEj11max_functorIjEjEEDaPvRmT3_T4_T5_mT6_P12ihipStream_tbENKUlT_T0_E_clISt17integral_constantIbLb0EESW_IbLb1EEEEDaSS_ST_EUlSS_E0_NS1_11comp_targetILNS1_3genE2ELNS1_11target_archE906ELNS1_3gpuE6ELNS1_3repE0EEENS1_30default_config_static_selectorELNS0_4arch9wavefront6targetE1EEEvT1_.kd
    .uniform_work_group_size: 1
    .uses_dynamic_stack: false
    .vgpr_count:     0
    .vgpr_spill_count: 0
    .wavefront_size: 64
  - .agpr_count:     0
    .args:
      - .offset:         0
        .size:           40
        .value_kind:     by_value
    .group_segment_fixed_size: 0
    .kernarg_segment_align: 8
    .kernarg_segment_size: 40
    .language:       OpenCL C
    .language_version:
      - 2
      - 0
    .max_flat_workgroup_size: 256
    .name:           _ZN7rocprim17ROCPRIM_400000_NS6detail17trampoline_kernelINS0_14default_configENS1_20scan_config_selectorIjEEZZNS1_9scan_implILNS1_25lookback_scan_determinismE0ELb1ELb1ES3_N6thrust23THRUST_200600_302600_NS6detail15normal_iteratorINS9_10device_ptrIjEEEENS9_16discard_iteratorINS9_11use_defaultEEEj11max_functorIjEjEEDaPvRmT3_T4_T5_mT6_P12ihipStream_tbENKUlT_T0_E_clISt17integral_constantIbLb0EESW_IbLb1EEEEDaSS_ST_EUlSS_E0_NS1_11comp_targetILNS1_3genE10ELNS1_11target_archE1201ELNS1_3gpuE5ELNS1_3repE0EEENS1_30default_config_static_selectorELNS0_4arch9wavefront6targetE1EEEvT1_
    .private_segment_fixed_size: 0
    .sgpr_count:     4
    .sgpr_spill_count: 0
    .symbol:         _ZN7rocprim17ROCPRIM_400000_NS6detail17trampoline_kernelINS0_14default_configENS1_20scan_config_selectorIjEEZZNS1_9scan_implILNS1_25lookback_scan_determinismE0ELb1ELb1ES3_N6thrust23THRUST_200600_302600_NS6detail15normal_iteratorINS9_10device_ptrIjEEEENS9_16discard_iteratorINS9_11use_defaultEEEj11max_functorIjEjEEDaPvRmT3_T4_T5_mT6_P12ihipStream_tbENKUlT_T0_E_clISt17integral_constantIbLb0EESW_IbLb1EEEEDaSS_ST_EUlSS_E0_NS1_11comp_targetILNS1_3genE10ELNS1_11target_archE1201ELNS1_3gpuE5ELNS1_3repE0EEENS1_30default_config_static_selectorELNS0_4arch9wavefront6targetE1EEEvT1_.kd
    .uniform_work_group_size: 1
    .uses_dynamic_stack: false
    .vgpr_count:     0
    .vgpr_spill_count: 0
    .wavefront_size: 64
  - .agpr_count:     0
    .args:
      - .offset:         0
        .size:           40
        .value_kind:     by_value
    .group_segment_fixed_size: 0
    .kernarg_segment_align: 8
    .kernarg_segment_size: 40
    .language:       OpenCL C
    .language_version:
      - 2
      - 0
    .max_flat_workgroup_size: 256
    .name:           _ZN7rocprim17ROCPRIM_400000_NS6detail17trampoline_kernelINS0_14default_configENS1_20scan_config_selectorIjEEZZNS1_9scan_implILNS1_25lookback_scan_determinismE0ELb1ELb1ES3_N6thrust23THRUST_200600_302600_NS6detail15normal_iteratorINS9_10device_ptrIjEEEENS9_16discard_iteratorINS9_11use_defaultEEEj11max_functorIjEjEEDaPvRmT3_T4_T5_mT6_P12ihipStream_tbENKUlT_T0_E_clISt17integral_constantIbLb0EESW_IbLb1EEEEDaSS_ST_EUlSS_E0_NS1_11comp_targetILNS1_3genE10ELNS1_11target_archE1200ELNS1_3gpuE4ELNS1_3repE0EEENS1_30default_config_static_selectorELNS0_4arch9wavefront6targetE1EEEvT1_
    .private_segment_fixed_size: 0
    .sgpr_count:     4
    .sgpr_spill_count: 0
    .symbol:         _ZN7rocprim17ROCPRIM_400000_NS6detail17trampoline_kernelINS0_14default_configENS1_20scan_config_selectorIjEEZZNS1_9scan_implILNS1_25lookback_scan_determinismE0ELb1ELb1ES3_N6thrust23THRUST_200600_302600_NS6detail15normal_iteratorINS9_10device_ptrIjEEEENS9_16discard_iteratorINS9_11use_defaultEEEj11max_functorIjEjEEDaPvRmT3_T4_T5_mT6_P12ihipStream_tbENKUlT_T0_E_clISt17integral_constantIbLb0EESW_IbLb1EEEEDaSS_ST_EUlSS_E0_NS1_11comp_targetILNS1_3genE10ELNS1_11target_archE1200ELNS1_3gpuE4ELNS1_3repE0EEENS1_30default_config_static_selectorELNS0_4arch9wavefront6targetE1EEEvT1_.kd
    .uniform_work_group_size: 1
    .uses_dynamic_stack: false
    .vgpr_count:     0
    .vgpr_spill_count: 0
    .wavefront_size: 64
  - .agpr_count:     0
    .args:
      - .offset:         0
        .size:           40
        .value_kind:     by_value
    .group_segment_fixed_size: 0
    .kernarg_segment_align: 8
    .kernarg_segment_size: 40
    .language:       OpenCL C
    .language_version:
      - 2
      - 0
    .max_flat_workgroup_size: 256
    .name:           _ZN7rocprim17ROCPRIM_400000_NS6detail17trampoline_kernelINS0_14default_configENS1_20scan_config_selectorIjEEZZNS1_9scan_implILNS1_25lookback_scan_determinismE0ELb1ELb1ES3_N6thrust23THRUST_200600_302600_NS6detail15normal_iteratorINS9_10device_ptrIjEEEENS9_16discard_iteratorINS9_11use_defaultEEEj11max_functorIjEjEEDaPvRmT3_T4_T5_mT6_P12ihipStream_tbENKUlT_T0_E_clISt17integral_constantIbLb0EESW_IbLb1EEEEDaSS_ST_EUlSS_E0_NS1_11comp_targetILNS1_3genE9ELNS1_11target_archE1100ELNS1_3gpuE3ELNS1_3repE0EEENS1_30default_config_static_selectorELNS0_4arch9wavefront6targetE1EEEvT1_
    .private_segment_fixed_size: 0
    .sgpr_count:     4
    .sgpr_spill_count: 0
    .symbol:         _ZN7rocprim17ROCPRIM_400000_NS6detail17trampoline_kernelINS0_14default_configENS1_20scan_config_selectorIjEEZZNS1_9scan_implILNS1_25lookback_scan_determinismE0ELb1ELb1ES3_N6thrust23THRUST_200600_302600_NS6detail15normal_iteratorINS9_10device_ptrIjEEEENS9_16discard_iteratorINS9_11use_defaultEEEj11max_functorIjEjEEDaPvRmT3_T4_T5_mT6_P12ihipStream_tbENKUlT_T0_E_clISt17integral_constantIbLb0EESW_IbLb1EEEEDaSS_ST_EUlSS_E0_NS1_11comp_targetILNS1_3genE9ELNS1_11target_archE1100ELNS1_3gpuE3ELNS1_3repE0EEENS1_30default_config_static_selectorELNS0_4arch9wavefront6targetE1EEEvT1_.kd
    .uniform_work_group_size: 1
    .uses_dynamic_stack: false
    .vgpr_count:     0
    .vgpr_spill_count: 0
    .wavefront_size: 64
  - .agpr_count:     0
    .args:
      - .offset:         0
        .size:           40
        .value_kind:     by_value
    .group_segment_fixed_size: 0
    .kernarg_segment_align: 8
    .kernarg_segment_size: 40
    .language:       OpenCL C
    .language_version:
      - 2
      - 0
    .max_flat_workgroup_size: 64
    .name:           _ZN7rocprim17ROCPRIM_400000_NS6detail17trampoline_kernelINS0_14default_configENS1_20scan_config_selectorIjEEZZNS1_9scan_implILNS1_25lookback_scan_determinismE0ELb1ELb1ES3_N6thrust23THRUST_200600_302600_NS6detail15normal_iteratorINS9_10device_ptrIjEEEENS9_16discard_iteratorINS9_11use_defaultEEEj11max_functorIjEjEEDaPvRmT3_T4_T5_mT6_P12ihipStream_tbENKUlT_T0_E_clISt17integral_constantIbLb0EESW_IbLb1EEEEDaSS_ST_EUlSS_E0_NS1_11comp_targetILNS1_3genE8ELNS1_11target_archE1030ELNS1_3gpuE2ELNS1_3repE0EEENS1_30default_config_static_selectorELNS0_4arch9wavefront6targetE1EEEvT1_
    .private_segment_fixed_size: 0
    .sgpr_count:     4
    .sgpr_spill_count: 0
    .symbol:         _ZN7rocprim17ROCPRIM_400000_NS6detail17trampoline_kernelINS0_14default_configENS1_20scan_config_selectorIjEEZZNS1_9scan_implILNS1_25lookback_scan_determinismE0ELb1ELb1ES3_N6thrust23THRUST_200600_302600_NS6detail15normal_iteratorINS9_10device_ptrIjEEEENS9_16discard_iteratorINS9_11use_defaultEEEj11max_functorIjEjEEDaPvRmT3_T4_T5_mT6_P12ihipStream_tbENKUlT_T0_E_clISt17integral_constantIbLb0EESW_IbLb1EEEEDaSS_ST_EUlSS_E0_NS1_11comp_targetILNS1_3genE8ELNS1_11target_archE1030ELNS1_3gpuE2ELNS1_3repE0EEENS1_30default_config_static_selectorELNS0_4arch9wavefront6targetE1EEEvT1_.kd
    .uniform_work_group_size: 1
    .uses_dynamic_stack: false
    .vgpr_count:     0
    .vgpr_spill_count: 0
    .wavefront_size: 64
  - .agpr_count:     0
    .args:
      - .offset:         0
        .size:           104
        .value_kind:     by_value
    .group_segment_fixed_size: 0
    .kernarg_segment_align: 8
    .kernarg_segment_size: 104
    .language:       OpenCL C
    .language_version:
      - 2
      - 0
    .max_flat_workgroup_size: 128
    .name:           _ZN7rocprim17ROCPRIM_400000_NS6detail17trampoline_kernelINS0_14default_configENS1_20scan_config_selectorItEEZZNS1_9scan_implILNS1_25lookback_scan_determinismE0ELb0ELb0ES3_N6thrust23THRUST_200600_302600_NS6detail15normal_iteratorINS9_10device_ptrItEEEENS9_16discard_iteratorINS9_11use_defaultEEEt11max_functorItEtEEDaPvRmT3_T4_T5_mT6_P12ihipStream_tbENKUlT_T0_E_clISt17integral_constantIbLb0EESX_EEDaSS_ST_EUlSS_E_NS1_11comp_targetILNS1_3genE0ELNS1_11target_archE4294967295ELNS1_3gpuE0ELNS1_3repE0EEENS1_30default_config_static_selectorELNS0_4arch9wavefront6targetE1EEEvT1_
    .private_segment_fixed_size: 0
    .sgpr_count:     4
    .sgpr_spill_count: 0
    .symbol:         _ZN7rocprim17ROCPRIM_400000_NS6detail17trampoline_kernelINS0_14default_configENS1_20scan_config_selectorItEEZZNS1_9scan_implILNS1_25lookback_scan_determinismE0ELb0ELb0ES3_N6thrust23THRUST_200600_302600_NS6detail15normal_iteratorINS9_10device_ptrItEEEENS9_16discard_iteratorINS9_11use_defaultEEEt11max_functorItEtEEDaPvRmT3_T4_T5_mT6_P12ihipStream_tbENKUlT_T0_E_clISt17integral_constantIbLb0EESX_EEDaSS_ST_EUlSS_E_NS1_11comp_targetILNS1_3genE0ELNS1_11target_archE4294967295ELNS1_3gpuE0ELNS1_3repE0EEENS1_30default_config_static_selectorELNS0_4arch9wavefront6targetE1EEEvT1_.kd
    .uniform_work_group_size: 1
    .uses_dynamic_stack: false
    .vgpr_count:     0
    .vgpr_spill_count: 0
    .wavefront_size: 64
  - .agpr_count:     0
    .args:
      - .offset:         0
        .size:           104
        .value_kind:     by_value
    .group_segment_fixed_size: 0
    .kernarg_segment_align: 8
    .kernarg_segment_size: 104
    .language:       OpenCL C
    .language_version:
      - 2
      - 0
    .max_flat_workgroup_size: 256
    .name:           _ZN7rocprim17ROCPRIM_400000_NS6detail17trampoline_kernelINS0_14default_configENS1_20scan_config_selectorItEEZZNS1_9scan_implILNS1_25lookback_scan_determinismE0ELb0ELb0ES3_N6thrust23THRUST_200600_302600_NS6detail15normal_iteratorINS9_10device_ptrItEEEENS9_16discard_iteratorINS9_11use_defaultEEEt11max_functorItEtEEDaPvRmT3_T4_T5_mT6_P12ihipStream_tbENKUlT_T0_E_clISt17integral_constantIbLb0EESX_EEDaSS_ST_EUlSS_E_NS1_11comp_targetILNS1_3genE5ELNS1_11target_archE942ELNS1_3gpuE9ELNS1_3repE0EEENS1_30default_config_static_selectorELNS0_4arch9wavefront6targetE1EEEvT1_
    .private_segment_fixed_size: 0
    .sgpr_count:     4
    .sgpr_spill_count: 0
    .symbol:         _ZN7rocprim17ROCPRIM_400000_NS6detail17trampoline_kernelINS0_14default_configENS1_20scan_config_selectorItEEZZNS1_9scan_implILNS1_25lookback_scan_determinismE0ELb0ELb0ES3_N6thrust23THRUST_200600_302600_NS6detail15normal_iteratorINS9_10device_ptrItEEEENS9_16discard_iteratorINS9_11use_defaultEEEt11max_functorItEtEEDaPvRmT3_T4_T5_mT6_P12ihipStream_tbENKUlT_T0_E_clISt17integral_constantIbLb0EESX_EEDaSS_ST_EUlSS_E_NS1_11comp_targetILNS1_3genE5ELNS1_11target_archE942ELNS1_3gpuE9ELNS1_3repE0EEENS1_30default_config_static_selectorELNS0_4arch9wavefront6targetE1EEEvT1_.kd
    .uniform_work_group_size: 1
    .uses_dynamic_stack: false
    .vgpr_count:     0
    .vgpr_spill_count: 0
    .wavefront_size: 64
  - .agpr_count:     0
    .args:
      - .offset:         0
        .size:           104
        .value_kind:     by_value
    .group_segment_fixed_size: 3072
    .kernarg_segment_align: 8
    .kernarg_segment_size: 104
    .language:       OpenCL C
    .language_version:
      - 2
      - 0
    .max_flat_workgroup_size: 64
    .name:           _ZN7rocprim17ROCPRIM_400000_NS6detail17trampoline_kernelINS0_14default_configENS1_20scan_config_selectorItEEZZNS1_9scan_implILNS1_25lookback_scan_determinismE0ELb0ELb0ES3_N6thrust23THRUST_200600_302600_NS6detail15normal_iteratorINS9_10device_ptrItEEEENS9_16discard_iteratorINS9_11use_defaultEEEt11max_functorItEtEEDaPvRmT3_T4_T5_mT6_P12ihipStream_tbENKUlT_T0_E_clISt17integral_constantIbLb0EESX_EEDaSS_ST_EUlSS_E_NS1_11comp_targetILNS1_3genE4ELNS1_11target_archE910ELNS1_3gpuE8ELNS1_3repE0EEENS1_30default_config_static_selectorELNS0_4arch9wavefront6targetE1EEEvT1_
    .private_segment_fixed_size: 0
    .sgpr_count:     30
    .sgpr_spill_count: 0
    .symbol:         _ZN7rocprim17ROCPRIM_400000_NS6detail17trampoline_kernelINS0_14default_configENS1_20scan_config_selectorItEEZZNS1_9scan_implILNS1_25lookback_scan_determinismE0ELb0ELb0ES3_N6thrust23THRUST_200600_302600_NS6detail15normal_iteratorINS9_10device_ptrItEEEENS9_16discard_iteratorINS9_11use_defaultEEEt11max_functorItEtEEDaPvRmT3_T4_T5_mT6_P12ihipStream_tbENKUlT_T0_E_clISt17integral_constantIbLb0EESX_EEDaSS_ST_EUlSS_E_NS1_11comp_targetILNS1_3genE4ELNS1_11target_archE910ELNS1_3gpuE8ELNS1_3repE0EEENS1_30default_config_static_selectorELNS0_4arch9wavefront6targetE1EEEvT1_.kd
    .uniform_work_group_size: 1
    .uses_dynamic_stack: false
    .vgpr_count:     56
    .vgpr_spill_count: 0
    .wavefront_size: 64
  - .agpr_count:     0
    .args:
      - .offset:         0
        .size:           104
        .value_kind:     by_value
    .group_segment_fixed_size: 0
    .kernarg_segment_align: 8
    .kernarg_segment_size: 104
    .language:       OpenCL C
    .language_version:
      - 2
      - 0
    .max_flat_workgroup_size: 128
    .name:           _ZN7rocprim17ROCPRIM_400000_NS6detail17trampoline_kernelINS0_14default_configENS1_20scan_config_selectorItEEZZNS1_9scan_implILNS1_25lookback_scan_determinismE0ELb0ELb0ES3_N6thrust23THRUST_200600_302600_NS6detail15normal_iteratorINS9_10device_ptrItEEEENS9_16discard_iteratorINS9_11use_defaultEEEt11max_functorItEtEEDaPvRmT3_T4_T5_mT6_P12ihipStream_tbENKUlT_T0_E_clISt17integral_constantIbLb0EESX_EEDaSS_ST_EUlSS_E_NS1_11comp_targetILNS1_3genE3ELNS1_11target_archE908ELNS1_3gpuE7ELNS1_3repE0EEENS1_30default_config_static_selectorELNS0_4arch9wavefront6targetE1EEEvT1_
    .private_segment_fixed_size: 0
    .sgpr_count:     4
    .sgpr_spill_count: 0
    .symbol:         _ZN7rocprim17ROCPRIM_400000_NS6detail17trampoline_kernelINS0_14default_configENS1_20scan_config_selectorItEEZZNS1_9scan_implILNS1_25lookback_scan_determinismE0ELb0ELb0ES3_N6thrust23THRUST_200600_302600_NS6detail15normal_iteratorINS9_10device_ptrItEEEENS9_16discard_iteratorINS9_11use_defaultEEEt11max_functorItEtEEDaPvRmT3_T4_T5_mT6_P12ihipStream_tbENKUlT_T0_E_clISt17integral_constantIbLb0EESX_EEDaSS_ST_EUlSS_E_NS1_11comp_targetILNS1_3genE3ELNS1_11target_archE908ELNS1_3gpuE7ELNS1_3repE0EEENS1_30default_config_static_selectorELNS0_4arch9wavefront6targetE1EEEvT1_.kd
    .uniform_work_group_size: 1
    .uses_dynamic_stack: false
    .vgpr_count:     0
    .vgpr_spill_count: 0
    .wavefront_size: 64
  - .agpr_count:     0
    .args:
      - .offset:         0
        .size:           104
        .value_kind:     by_value
    .group_segment_fixed_size: 0
    .kernarg_segment_align: 8
    .kernarg_segment_size: 104
    .language:       OpenCL C
    .language_version:
      - 2
      - 0
    .max_flat_workgroup_size: 256
    .name:           _ZN7rocprim17ROCPRIM_400000_NS6detail17trampoline_kernelINS0_14default_configENS1_20scan_config_selectorItEEZZNS1_9scan_implILNS1_25lookback_scan_determinismE0ELb0ELb0ES3_N6thrust23THRUST_200600_302600_NS6detail15normal_iteratorINS9_10device_ptrItEEEENS9_16discard_iteratorINS9_11use_defaultEEEt11max_functorItEtEEDaPvRmT3_T4_T5_mT6_P12ihipStream_tbENKUlT_T0_E_clISt17integral_constantIbLb0EESX_EEDaSS_ST_EUlSS_E_NS1_11comp_targetILNS1_3genE2ELNS1_11target_archE906ELNS1_3gpuE6ELNS1_3repE0EEENS1_30default_config_static_selectorELNS0_4arch9wavefront6targetE1EEEvT1_
    .private_segment_fixed_size: 0
    .sgpr_count:     4
    .sgpr_spill_count: 0
    .symbol:         _ZN7rocprim17ROCPRIM_400000_NS6detail17trampoline_kernelINS0_14default_configENS1_20scan_config_selectorItEEZZNS1_9scan_implILNS1_25lookback_scan_determinismE0ELb0ELb0ES3_N6thrust23THRUST_200600_302600_NS6detail15normal_iteratorINS9_10device_ptrItEEEENS9_16discard_iteratorINS9_11use_defaultEEEt11max_functorItEtEEDaPvRmT3_T4_T5_mT6_P12ihipStream_tbENKUlT_T0_E_clISt17integral_constantIbLb0EESX_EEDaSS_ST_EUlSS_E_NS1_11comp_targetILNS1_3genE2ELNS1_11target_archE906ELNS1_3gpuE6ELNS1_3repE0EEENS1_30default_config_static_selectorELNS0_4arch9wavefront6targetE1EEEvT1_.kd
    .uniform_work_group_size: 1
    .uses_dynamic_stack: false
    .vgpr_count:     0
    .vgpr_spill_count: 0
    .wavefront_size: 64
  - .agpr_count:     0
    .args:
      - .offset:         0
        .size:           104
        .value_kind:     by_value
    .group_segment_fixed_size: 0
    .kernarg_segment_align: 8
    .kernarg_segment_size: 104
    .language:       OpenCL C
    .language_version:
      - 2
      - 0
    .max_flat_workgroup_size: 256
    .name:           _ZN7rocprim17ROCPRIM_400000_NS6detail17trampoline_kernelINS0_14default_configENS1_20scan_config_selectorItEEZZNS1_9scan_implILNS1_25lookback_scan_determinismE0ELb0ELb0ES3_N6thrust23THRUST_200600_302600_NS6detail15normal_iteratorINS9_10device_ptrItEEEENS9_16discard_iteratorINS9_11use_defaultEEEt11max_functorItEtEEDaPvRmT3_T4_T5_mT6_P12ihipStream_tbENKUlT_T0_E_clISt17integral_constantIbLb0EESX_EEDaSS_ST_EUlSS_E_NS1_11comp_targetILNS1_3genE10ELNS1_11target_archE1201ELNS1_3gpuE5ELNS1_3repE0EEENS1_30default_config_static_selectorELNS0_4arch9wavefront6targetE1EEEvT1_
    .private_segment_fixed_size: 0
    .sgpr_count:     4
    .sgpr_spill_count: 0
    .symbol:         _ZN7rocprim17ROCPRIM_400000_NS6detail17trampoline_kernelINS0_14default_configENS1_20scan_config_selectorItEEZZNS1_9scan_implILNS1_25lookback_scan_determinismE0ELb0ELb0ES3_N6thrust23THRUST_200600_302600_NS6detail15normal_iteratorINS9_10device_ptrItEEEENS9_16discard_iteratorINS9_11use_defaultEEEt11max_functorItEtEEDaPvRmT3_T4_T5_mT6_P12ihipStream_tbENKUlT_T0_E_clISt17integral_constantIbLb0EESX_EEDaSS_ST_EUlSS_E_NS1_11comp_targetILNS1_3genE10ELNS1_11target_archE1201ELNS1_3gpuE5ELNS1_3repE0EEENS1_30default_config_static_selectorELNS0_4arch9wavefront6targetE1EEEvT1_.kd
    .uniform_work_group_size: 1
    .uses_dynamic_stack: false
    .vgpr_count:     0
    .vgpr_spill_count: 0
    .wavefront_size: 64
  - .agpr_count:     0
    .args:
      - .offset:         0
        .size:           104
        .value_kind:     by_value
    .group_segment_fixed_size: 0
    .kernarg_segment_align: 8
    .kernarg_segment_size: 104
    .language:       OpenCL C
    .language_version:
      - 2
      - 0
    .max_flat_workgroup_size: 256
    .name:           _ZN7rocprim17ROCPRIM_400000_NS6detail17trampoline_kernelINS0_14default_configENS1_20scan_config_selectorItEEZZNS1_9scan_implILNS1_25lookback_scan_determinismE0ELb0ELb0ES3_N6thrust23THRUST_200600_302600_NS6detail15normal_iteratorINS9_10device_ptrItEEEENS9_16discard_iteratorINS9_11use_defaultEEEt11max_functorItEtEEDaPvRmT3_T4_T5_mT6_P12ihipStream_tbENKUlT_T0_E_clISt17integral_constantIbLb0EESX_EEDaSS_ST_EUlSS_E_NS1_11comp_targetILNS1_3genE10ELNS1_11target_archE1200ELNS1_3gpuE4ELNS1_3repE0EEENS1_30default_config_static_selectorELNS0_4arch9wavefront6targetE1EEEvT1_
    .private_segment_fixed_size: 0
    .sgpr_count:     4
    .sgpr_spill_count: 0
    .symbol:         _ZN7rocprim17ROCPRIM_400000_NS6detail17trampoline_kernelINS0_14default_configENS1_20scan_config_selectorItEEZZNS1_9scan_implILNS1_25lookback_scan_determinismE0ELb0ELb0ES3_N6thrust23THRUST_200600_302600_NS6detail15normal_iteratorINS9_10device_ptrItEEEENS9_16discard_iteratorINS9_11use_defaultEEEt11max_functorItEtEEDaPvRmT3_T4_T5_mT6_P12ihipStream_tbENKUlT_T0_E_clISt17integral_constantIbLb0EESX_EEDaSS_ST_EUlSS_E_NS1_11comp_targetILNS1_3genE10ELNS1_11target_archE1200ELNS1_3gpuE4ELNS1_3repE0EEENS1_30default_config_static_selectorELNS0_4arch9wavefront6targetE1EEEvT1_.kd
    .uniform_work_group_size: 1
    .uses_dynamic_stack: false
    .vgpr_count:     0
    .vgpr_spill_count: 0
    .wavefront_size: 64
  - .agpr_count:     0
    .args:
      - .offset:         0
        .size:           104
        .value_kind:     by_value
    .group_segment_fixed_size: 0
    .kernarg_segment_align: 8
    .kernarg_segment_size: 104
    .language:       OpenCL C
    .language_version:
      - 2
      - 0
    .max_flat_workgroup_size: 64
    .name:           _ZN7rocprim17ROCPRIM_400000_NS6detail17trampoline_kernelINS0_14default_configENS1_20scan_config_selectorItEEZZNS1_9scan_implILNS1_25lookback_scan_determinismE0ELb0ELb0ES3_N6thrust23THRUST_200600_302600_NS6detail15normal_iteratorINS9_10device_ptrItEEEENS9_16discard_iteratorINS9_11use_defaultEEEt11max_functorItEtEEDaPvRmT3_T4_T5_mT6_P12ihipStream_tbENKUlT_T0_E_clISt17integral_constantIbLb0EESX_EEDaSS_ST_EUlSS_E_NS1_11comp_targetILNS1_3genE9ELNS1_11target_archE1100ELNS1_3gpuE3ELNS1_3repE0EEENS1_30default_config_static_selectorELNS0_4arch9wavefront6targetE1EEEvT1_
    .private_segment_fixed_size: 0
    .sgpr_count:     4
    .sgpr_spill_count: 0
    .symbol:         _ZN7rocprim17ROCPRIM_400000_NS6detail17trampoline_kernelINS0_14default_configENS1_20scan_config_selectorItEEZZNS1_9scan_implILNS1_25lookback_scan_determinismE0ELb0ELb0ES3_N6thrust23THRUST_200600_302600_NS6detail15normal_iteratorINS9_10device_ptrItEEEENS9_16discard_iteratorINS9_11use_defaultEEEt11max_functorItEtEEDaPvRmT3_T4_T5_mT6_P12ihipStream_tbENKUlT_T0_E_clISt17integral_constantIbLb0EESX_EEDaSS_ST_EUlSS_E_NS1_11comp_targetILNS1_3genE9ELNS1_11target_archE1100ELNS1_3gpuE3ELNS1_3repE0EEENS1_30default_config_static_selectorELNS0_4arch9wavefront6targetE1EEEvT1_.kd
    .uniform_work_group_size: 1
    .uses_dynamic_stack: false
    .vgpr_count:     0
    .vgpr_spill_count: 0
    .wavefront_size: 64
  - .agpr_count:     0
    .args:
      - .offset:         0
        .size:           104
        .value_kind:     by_value
    .group_segment_fixed_size: 0
    .kernarg_segment_align: 8
    .kernarg_segment_size: 104
    .language:       OpenCL C
    .language_version:
      - 2
      - 0
    .max_flat_workgroup_size: 64
    .name:           _ZN7rocprim17ROCPRIM_400000_NS6detail17trampoline_kernelINS0_14default_configENS1_20scan_config_selectorItEEZZNS1_9scan_implILNS1_25lookback_scan_determinismE0ELb0ELb0ES3_N6thrust23THRUST_200600_302600_NS6detail15normal_iteratorINS9_10device_ptrItEEEENS9_16discard_iteratorINS9_11use_defaultEEEt11max_functorItEtEEDaPvRmT3_T4_T5_mT6_P12ihipStream_tbENKUlT_T0_E_clISt17integral_constantIbLb0EESX_EEDaSS_ST_EUlSS_E_NS1_11comp_targetILNS1_3genE8ELNS1_11target_archE1030ELNS1_3gpuE2ELNS1_3repE0EEENS1_30default_config_static_selectorELNS0_4arch9wavefront6targetE1EEEvT1_
    .private_segment_fixed_size: 0
    .sgpr_count:     4
    .sgpr_spill_count: 0
    .symbol:         _ZN7rocprim17ROCPRIM_400000_NS6detail17trampoline_kernelINS0_14default_configENS1_20scan_config_selectorItEEZZNS1_9scan_implILNS1_25lookback_scan_determinismE0ELb0ELb0ES3_N6thrust23THRUST_200600_302600_NS6detail15normal_iteratorINS9_10device_ptrItEEEENS9_16discard_iteratorINS9_11use_defaultEEEt11max_functorItEtEEDaPvRmT3_T4_T5_mT6_P12ihipStream_tbENKUlT_T0_E_clISt17integral_constantIbLb0EESX_EEDaSS_ST_EUlSS_E_NS1_11comp_targetILNS1_3genE8ELNS1_11target_archE1030ELNS1_3gpuE2ELNS1_3repE0EEENS1_30default_config_static_selectorELNS0_4arch9wavefront6targetE1EEEvT1_.kd
    .uniform_work_group_size: 1
    .uses_dynamic_stack: false
    .vgpr_count:     0
    .vgpr_spill_count: 0
    .wavefront_size: 64
  - .agpr_count:     0
    .args:
      - .offset:         0
        .size:           40
        .value_kind:     by_value
    .group_segment_fixed_size: 0
    .kernarg_segment_align: 8
    .kernarg_segment_size: 40
    .language:       OpenCL C
    .language_version:
      - 2
      - 0
    .max_flat_workgroup_size: 128
    .name:           _ZN7rocprim17ROCPRIM_400000_NS6detail17trampoline_kernelINS0_14default_configENS1_20scan_config_selectorItEEZZNS1_9scan_implILNS1_25lookback_scan_determinismE0ELb0ELb0ES3_N6thrust23THRUST_200600_302600_NS6detail15normal_iteratorINS9_10device_ptrItEEEENS9_16discard_iteratorINS9_11use_defaultEEEt11max_functorItEtEEDaPvRmT3_T4_T5_mT6_P12ihipStream_tbENKUlT_T0_E_clISt17integral_constantIbLb0EESX_EEDaSS_ST_EUlSS_E0_NS1_11comp_targetILNS1_3genE0ELNS1_11target_archE4294967295ELNS1_3gpuE0ELNS1_3repE0EEENS1_30default_config_static_selectorELNS0_4arch9wavefront6targetE1EEEvT1_
    .private_segment_fixed_size: 0
    .sgpr_count:     4
    .sgpr_spill_count: 0
    .symbol:         _ZN7rocprim17ROCPRIM_400000_NS6detail17trampoline_kernelINS0_14default_configENS1_20scan_config_selectorItEEZZNS1_9scan_implILNS1_25lookback_scan_determinismE0ELb0ELb0ES3_N6thrust23THRUST_200600_302600_NS6detail15normal_iteratorINS9_10device_ptrItEEEENS9_16discard_iteratorINS9_11use_defaultEEEt11max_functorItEtEEDaPvRmT3_T4_T5_mT6_P12ihipStream_tbENKUlT_T0_E_clISt17integral_constantIbLb0EESX_EEDaSS_ST_EUlSS_E0_NS1_11comp_targetILNS1_3genE0ELNS1_11target_archE4294967295ELNS1_3gpuE0ELNS1_3repE0EEENS1_30default_config_static_selectorELNS0_4arch9wavefront6targetE1EEEvT1_.kd
    .uniform_work_group_size: 1
    .uses_dynamic_stack: false
    .vgpr_count:     0
    .vgpr_spill_count: 0
    .wavefront_size: 64
  - .agpr_count:     0
    .args:
      - .offset:         0
        .size:           40
        .value_kind:     by_value
    .group_segment_fixed_size: 0
    .kernarg_segment_align: 8
    .kernarg_segment_size: 40
    .language:       OpenCL C
    .language_version:
      - 2
      - 0
    .max_flat_workgroup_size: 256
    .name:           _ZN7rocprim17ROCPRIM_400000_NS6detail17trampoline_kernelINS0_14default_configENS1_20scan_config_selectorItEEZZNS1_9scan_implILNS1_25lookback_scan_determinismE0ELb0ELb0ES3_N6thrust23THRUST_200600_302600_NS6detail15normal_iteratorINS9_10device_ptrItEEEENS9_16discard_iteratorINS9_11use_defaultEEEt11max_functorItEtEEDaPvRmT3_T4_T5_mT6_P12ihipStream_tbENKUlT_T0_E_clISt17integral_constantIbLb0EESX_EEDaSS_ST_EUlSS_E0_NS1_11comp_targetILNS1_3genE5ELNS1_11target_archE942ELNS1_3gpuE9ELNS1_3repE0EEENS1_30default_config_static_selectorELNS0_4arch9wavefront6targetE1EEEvT1_
    .private_segment_fixed_size: 0
    .sgpr_count:     4
    .sgpr_spill_count: 0
    .symbol:         _ZN7rocprim17ROCPRIM_400000_NS6detail17trampoline_kernelINS0_14default_configENS1_20scan_config_selectorItEEZZNS1_9scan_implILNS1_25lookback_scan_determinismE0ELb0ELb0ES3_N6thrust23THRUST_200600_302600_NS6detail15normal_iteratorINS9_10device_ptrItEEEENS9_16discard_iteratorINS9_11use_defaultEEEt11max_functorItEtEEDaPvRmT3_T4_T5_mT6_P12ihipStream_tbENKUlT_T0_E_clISt17integral_constantIbLb0EESX_EEDaSS_ST_EUlSS_E0_NS1_11comp_targetILNS1_3genE5ELNS1_11target_archE942ELNS1_3gpuE9ELNS1_3repE0EEENS1_30default_config_static_selectorELNS0_4arch9wavefront6targetE1EEEvT1_.kd
    .uniform_work_group_size: 1
    .uses_dynamic_stack: false
    .vgpr_count:     0
    .vgpr_spill_count: 0
    .wavefront_size: 64
  - .agpr_count:     0
    .args:
      - .offset:         0
        .size:           40
        .value_kind:     by_value
    .group_segment_fixed_size: 3072
    .kernarg_segment_align: 8
    .kernarg_segment_size: 40
    .language:       OpenCL C
    .language_version:
      - 2
      - 0
    .max_flat_workgroup_size: 64
    .name:           _ZN7rocprim17ROCPRIM_400000_NS6detail17trampoline_kernelINS0_14default_configENS1_20scan_config_selectorItEEZZNS1_9scan_implILNS1_25lookback_scan_determinismE0ELb0ELb0ES3_N6thrust23THRUST_200600_302600_NS6detail15normal_iteratorINS9_10device_ptrItEEEENS9_16discard_iteratorINS9_11use_defaultEEEt11max_functorItEtEEDaPvRmT3_T4_T5_mT6_P12ihipStream_tbENKUlT_T0_E_clISt17integral_constantIbLb0EESX_EEDaSS_ST_EUlSS_E0_NS1_11comp_targetILNS1_3genE4ELNS1_11target_archE910ELNS1_3gpuE8ELNS1_3repE0EEENS1_30default_config_static_selectorELNS0_4arch9wavefront6targetE1EEEvT1_
    .private_segment_fixed_size: 0
    .sgpr_count:     10
    .sgpr_spill_count: 0
    .symbol:         _ZN7rocprim17ROCPRIM_400000_NS6detail17trampoline_kernelINS0_14default_configENS1_20scan_config_selectorItEEZZNS1_9scan_implILNS1_25lookback_scan_determinismE0ELb0ELb0ES3_N6thrust23THRUST_200600_302600_NS6detail15normal_iteratorINS9_10device_ptrItEEEENS9_16discard_iteratorINS9_11use_defaultEEEt11max_functorItEtEEDaPvRmT3_T4_T5_mT6_P12ihipStream_tbENKUlT_T0_E_clISt17integral_constantIbLb0EESX_EEDaSS_ST_EUlSS_E0_NS1_11comp_targetILNS1_3genE4ELNS1_11target_archE910ELNS1_3gpuE8ELNS1_3repE0EEENS1_30default_config_static_selectorELNS0_4arch9wavefront6targetE1EEEvT1_.kd
    .uniform_work_group_size: 1
    .uses_dynamic_stack: false
    .vgpr_count:     41
    .vgpr_spill_count: 0
    .wavefront_size: 64
  - .agpr_count:     0
    .args:
      - .offset:         0
        .size:           40
        .value_kind:     by_value
    .group_segment_fixed_size: 0
    .kernarg_segment_align: 8
    .kernarg_segment_size: 40
    .language:       OpenCL C
    .language_version:
      - 2
      - 0
    .max_flat_workgroup_size: 128
    .name:           _ZN7rocprim17ROCPRIM_400000_NS6detail17trampoline_kernelINS0_14default_configENS1_20scan_config_selectorItEEZZNS1_9scan_implILNS1_25lookback_scan_determinismE0ELb0ELb0ES3_N6thrust23THRUST_200600_302600_NS6detail15normal_iteratorINS9_10device_ptrItEEEENS9_16discard_iteratorINS9_11use_defaultEEEt11max_functorItEtEEDaPvRmT3_T4_T5_mT6_P12ihipStream_tbENKUlT_T0_E_clISt17integral_constantIbLb0EESX_EEDaSS_ST_EUlSS_E0_NS1_11comp_targetILNS1_3genE3ELNS1_11target_archE908ELNS1_3gpuE7ELNS1_3repE0EEENS1_30default_config_static_selectorELNS0_4arch9wavefront6targetE1EEEvT1_
    .private_segment_fixed_size: 0
    .sgpr_count:     4
    .sgpr_spill_count: 0
    .symbol:         _ZN7rocprim17ROCPRIM_400000_NS6detail17trampoline_kernelINS0_14default_configENS1_20scan_config_selectorItEEZZNS1_9scan_implILNS1_25lookback_scan_determinismE0ELb0ELb0ES3_N6thrust23THRUST_200600_302600_NS6detail15normal_iteratorINS9_10device_ptrItEEEENS9_16discard_iteratorINS9_11use_defaultEEEt11max_functorItEtEEDaPvRmT3_T4_T5_mT6_P12ihipStream_tbENKUlT_T0_E_clISt17integral_constantIbLb0EESX_EEDaSS_ST_EUlSS_E0_NS1_11comp_targetILNS1_3genE3ELNS1_11target_archE908ELNS1_3gpuE7ELNS1_3repE0EEENS1_30default_config_static_selectorELNS0_4arch9wavefront6targetE1EEEvT1_.kd
    .uniform_work_group_size: 1
    .uses_dynamic_stack: false
    .vgpr_count:     0
    .vgpr_spill_count: 0
    .wavefront_size: 64
  - .agpr_count:     0
    .args:
      - .offset:         0
        .size:           40
        .value_kind:     by_value
    .group_segment_fixed_size: 0
    .kernarg_segment_align: 8
    .kernarg_segment_size: 40
    .language:       OpenCL C
    .language_version:
      - 2
      - 0
    .max_flat_workgroup_size: 256
    .name:           _ZN7rocprim17ROCPRIM_400000_NS6detail17trampoline_kernelINS0_14default_configENS1_20scan_config_selectorItEEZZNS1_9scan_implILNS1_25lookback_scan_determinismE0ELb0ELb0ES3_N6thrust23THRUST_200600_302600_NS6detail15normal_iteratorINS9_10device_ptrItEEEENS9_16discard_iteratorINS9_11use_defaultEEEt11max_functorItEtEEDaPvRmT3_T4_T5_mT6_P12ihipStream_tbENKUlT_T0_E_clISt17integral_constantIbLb0EESX_EEDaSS_ST_EUlSS_E0_NS1_11comp_targetILNS1_3genE2ELNS1_11target_archE906ELNS1_3gpuE6ELNS1_3repE0EEENS1_30default_config_static_selectorELNS0_4arch9wavefront6targetE1EEEvT1_
    .private_segment_fixed_size: 0
    .sgpr_count:     4
    .sgpr_spill_count: 0
    .symbol:         _ZN7rocprim17ROCPRIM_400000_NS6detail17trampoline_kernelINS0_14default_configENS1_20scan_config_selectorItEEZZNS1_9scan_implILNS1_25lookback_scan_determinismE0ELb0ELb0ES3_N6thrust23THRUST_200600_302600_NS6detail15normal_iteratorINS9_10device_ptrItEEEENS9_16discard_iteratorINS9_11use_defaultEEEt11max_functorItEtEEDaPvRmT3_T4_T5_mT6_P12ihipStream_tbENKUlT_T0_E_clISt17integral_constantIbLb0EESX_EEDaSS_ST_EUlSS_E0_NS1_11comp_targetILNS1_3genE2ELNS1_11target_archE906ELNS1_3gpuE6ELNS1_3repE0EEENS1_30default_config_static_selectorELNS0_4arch9wavefront6targetE1EEEvT1_.kd
    .uniform_work_group_size: 1
    .uses_dynamic_stack: false
    .vgpr_count:     0
    .vgpr_spill_count: 0
    .wavefront_size: 64
  - .agpr_count:     0
    .args:
      - .offset:         0
        .size:           40
        .value_kind:     by_value
    .group_segment_fixed_size: 0
    .kernarg_segment_align: 8
    .kernarg_segment_size: 40
    .language:       OpenCL C
    .language_version:
      - 2
      - 0
    .max_flat_workgroup_size: 256
    .name:           _ZN7rocprim17ROCPRIM_400000_NS6detail17trampoline_kernelINS0_14default_configENS1_20scan_config_selectorItEEZZNS1_9scan_implILNS1_25lookback_scan_determinismE0ELb0ELb0ES3_N6thrust23THRUST_200600_302600_NS6detail15normal_iteratorINS9_10device_ptrItEEEENS9_16discard_iteratorINS9_11use_defaultEEEt11max_functorItEtEEDaPvRmT3_T4_T5_mT6_P12ihipStream_tbENKUlT_T0_E_clISt17integral_constantIbLb0EESX_EEDaSS_ST_EUlSS_E0_NS1_11comp_targetILNS1_3genE10ELNS1_11target_archE1201ELNS1_3gpuE5ELNS1_3repE0EEENS1_30default_config_static_selectorELNS0_4arch9wavefront6targetE1EEEvT1_
    .private_segment_fixed_size: 0
    .sgpr_count:     4
    .sgpr_spill_count: 0
    .symbol:         _ZN7rocprim17ROCPRIM_400000_NS6detail17trampoline_kernelINS0_14default_configENS1_20scan_config_selectorItEEZZNS1_9scan_implILNS1_25lookback_scan_determinismE0ELb0ELb0ES3_N6thrust23THRUST_200600_302600_NS6detail15normal_iteratorINS9_10device_ptrItEEEENS9_16discard_iteratorINS9_11use_defaultEEEt11max_functorItEtEEDaPvRmT3_T4_T5_mT6_P12ihipStream_tbENKUlT_T0_E_clISt17integral_constantIbLb0EESX_EEDaSS_ST_EUlSS_E0_NS1_11comp_targetILNS1_3genE10ELNS1_11target_archE1201ELNS1_3gpuE5ELNS1_3repE0EEENS1_30default_config_static_selectorELNS0_4arch9wavefront6targetE1EEEvT1_.kd
    .uniform_work_group_size: 1
    .uses_dynamic_stack: false
    .vgpr_count:     0
    .vgpr_spill_count: 0
    .wavefront_size: 64
  - .agpr_count:     0
    .args:
      - .offset:         0
        .size:           40
        .value_kind:     by_value
    .group_segment_fixed_size: 0
    .kernarg_segment_align: 8
    .kernarg_segment_size: 40
    .language:       OpenCL C
    .language_version:
      - 2
      - 0
    .max_flat_workgroup_size: 256
    .name:           _ZN7rocprim17ROCPRIM_400000_NS6detail17trampoline_kernelINS0_14default_configENS1_20scan_config_selectorItEEZZNS1_9scan_implILNS1_25lookback_scan_determinismE0ELb0ELb0ES3_N6thrust23THRUST_200600_302600_NS6detail15normal_iteratorINS9_10device_ptrItEEEENS9_16discard_iteratorINS9_11use_defaultEEEt11max_functorItEtEEDaPvRmT3_T4_T5_mT6_P12ihipStream_tbENKUlT_T0_E_clISt17integral_constantIbLb0EESX_EEDaSS_ST_EUlSS_E0_NS1_11comp_targetILNS1_3genE10ELNS1_11target_archE1200ELNS1_3gpuE4ELNS1_3repE0EEENS1_30default_config_static_selectorELNS0_4arch9wavefront6targetE1EEEvT1_
    .private_segment_fixed_size: 0
    .sgpr_count:     4
    .sgpr_spill_count: 0
    .symbol:         _ZN7rocprim17ROCPRIM_400000_NS6detail17trampoline_kernelINS0_14default_configENS1_20scan_config_selectorItEEZZNS1_9scan_implILNS1_25lookback_scan_determinismE0ELb0ELb0ES3_N6thrust23THRUST_200600_302600_NS6detail15normal_iteratorINS9_10device_ptrItEEEENS9_16discard_iteratorINS9_11use_defaultEEEt11max_functorItEtEEDaPvRmT3_T4_T5_mT6_P12ihipStream_tbENKUlT_T0_E_clISt17integral_constantIbLb0EESX_EEDaSS_ST_EUlSS_E0_NS1_11comp_targetILNS1_3genE10ELNS1_11target_archE1200ELNS1_3gpuE4ELNS1_3repE0EEENS1_30default_config_static_selectorELNS0_4arch9wavefront6targetE1EEEvT1_.kd
    .uniform_work_group_size: 1
    .uses_dynamic_stack: false
    .vgpr_count:     0
    .vgpr_spill_count: 0
    .wavefront_size: 64
  - .agpr_count:     0
    .args:
      - .offset:         0
        .size:           40
        .value_kind:     by_value
    .group_segment_fixed_size: 0
    .kernarg_segment_align: 8
    .kernarg_segment_size: 40
    .language:       OpenCL C
    .language_version:
      - 2
      - 0
    .max_flat_workgroup_size: 64
    .name:           _ZN7rocprim17ROCPRIM_400000_NS6detail17trampoline_kernelINS0_14default_configENS1_20scan_config_selectorItEEZZNS1_9scan_implILNS1_25lookback_scan_determinismE0ELb0ELb0ES3_N6thrust23THRUST_200600_302600_NS6detail15normal_iteratorINS9_10device_ptrItEEEENS9_16discard_iteratorINS9_11use_defaultEEEt11max_functorItEtEEDaPvRmT3_T4_T5_mT6_P12ihipStream_tbENKUlT_T0_E_clISt17integral_constantIbLb0EESX_EEDaSS_ST_EUlSS_E0_NS1_11comp_targetILNS1_3genE9ELNS1_11target_archE1100ELNS1_3gpuE3ELNS1_3repE0EEENS1_30default_config_static_selectorELNS0_4arch9wavefront6targetE1EEEvT1_
    .private_segment_fixed_size: 0
    .sgpr_count:     4
    .sgpr_spill_count: 0
    .symbol:         _ZN7rocprim17ROCPRIM_400000_NS6detail17trampoline_kernelINS0_14default_configENS1_20scan_config_selectorItEEZZNS1_9scan_implILNS1_25lookback_scan_determinismE0ELb0ELb0ES3_N6thrust23THRUST_200600_302600_NS6detail15normal_iteratorINS9_10device_ptrItEEEENS9_16discard_iteratorINS9_11use_defaultEEEt11max_functorItEtEEDaPvRmT3_T4_T5_mT6_P12ihipStream_tbENKUlT_T0_E_clISt17integral_constantIbLb0EESX_EEDaSS_ST_EUlSS_E0_NS1_11comp_targetILNS1_3genE9ELNS1_11target_archE1100ELNS1_3gpuE3ELNS1_3repE0EEENS1_30default_config_static_selectorELNS0_4arch9wavefront6targetE1EEEvT1_.kd
    .uniform_work_group_size: 1
    .uses_dynamic_stack: false
    .vgpr_count:     0
    .vgpr_spill_count: 0
    .wavefront_size: 64
  - .agpr_count:     0
    .args:
      - .offset:         0
        .size:           40
        .value_kind:     by_value
    .group_segment_fixed_size: 0
    .kernarg_segment_align: 8
    .kernarg_segment_size: 40
    .language:       OpenCL C
    .language_version:
      - 2
      - 0
    .max_flat_workgroup_size: 64
    .name:           _ZN7rocprim17ROCPRIM_400000_NS6detail17trampoline_kernelINS0_14default_configENS1_20scan_config_selectorItEEZZNS1_9scan_implILNS1_25lookback_scan_determinismE0ELb0ELb0ES3_N6thrust23THRUST_200600_302600_NS6detail15normal_iteratorINS9_10device_ptrItEEEENS9_16discard_iteratorINS9_11use_defaultEEEt11max_functorItEtEEDaPvRmT3_T4_T5_mT6_P12ihipStream_tbENKUlT_T0_E_clISt17integral_constantIbLb0EESX_EEDaSS_ST_EUlSS_E0_NS1_11comp_targetILNS1_3genE8ELNS1_11target_archE1030ELNS1_3gpuE2ELNS1_3repE0EEENS1_30default_config_static_selectorELNS0_4arch9wavefront6targetE1EEEvT1_
    .private_segment_fixed_size: 0
    .sgpr_count:     4
    .sgpr_spill_count: 0
    .symbol:         _ZN7rocprim17ROCPRIM_400000_NS6detail17trampoline_kernelINS0_14default_configENS1_20scan_config_selectorItEEZZNS1_9scan_implILNS1_25lookback_scan_determinismE0ELb0ELb0ES3_N6thrust23THRUST_200600_302600_NS6detail15normal_iteratorINS9_10device_ptrItEEEENS9_16discard_iteratorINS9_11use_defaultEEEt11max_functorItEtEEDaPvRmT3_T4_T5_mT6_P12ihipStream_tbENKUlT_T0_E_clISt17integral_constantIbLb0EESX_EEDaSS_ST_EUlSS_E0_NS1_11comp_targetILNS1_3genE8ELNS1_11target_archE1030ELNS1_3gpuE2ELNS1_3repE0EEENS1_30default_config_static_selectorELNS0_4arch9wavefront6targetE1EEEvT1_.kd
    .uniform_work_group_size: 1
    .uses_dynamic_stack: false
    .vgpr_count:     0
    .vgpr_spill_count: 0
    .wavefront_size: 64
  - .agpr_count:     0
    .args:
      - .offset:         0
        .size:           104
        .value_kind:     by_value
    .group_segment_fixed_size: 0
    .kernarg_segment_align: 8
    .kernarg_segment_size: 104
    .language:       OpenCL C
    .language_version:
      - 2
      - 0
    .max_flat_workgroup_size: 128
    .name:           _ZN7rocprim17ROCPRIM_400000_NS6detail17trampoline_kernelINS0_14default_configENS1_20scan_config_selectorItEEZZNS1_9scan_implILNS1_25lookback_scan_determinismE0ELb0ELb0ES3_N6thrust23THRUST_200600_302600_NS6detail15normal_iteratorINS9_10device_ptrItEEEENS9_16discard_iteratorINS9_11use_defaultEEEt11max_functorItEtEEDaPvRmT3_T4_T5_mT6_P12ihipStream_tbENKUlT_T0_E_clISt17integral_constantIbLb1EESX_EEDaSS_ST_EUlSS_E_NS1_11comp_targetILNS1_3genE0ELNS1_11target_archE4294967295ELNS1_3gpuE0ELNS1_3repE0EEENS1_30default_config_static_selectorELNS0_4arch9wavefront6targetE1EEEvT1_
    .private_segment_fixed_size: 0
    .sgpr_count:     4
    .sgpr_spill_count: 0
    .symbol:         _ZN7rocprim17ROCPRIM_400000_NS6detail17trampoline_kernelINS0_14default_configENS1_20scan_config_selectorItEEZZNS1_9scan_implILNS1_25lookback_scan_determinismE0ELb0ELb0ES3_N6thrust23THRUST_200600_302600_NS6detail15normal_iteratorINS9_10device_ptrItEEEENS9_16discard_iteratorINS9_11use_defaultEEEt11max_functorItEtEEDaPvRmT3_T4_T5_mT6_P12ihipStream_tbENKUlT_T0_E_clISt17integral_constantIbLb1EESX_EEDaSS_ST_EUlSS_E_NS1_11comp_targetILNS1_3genE0ELNS1_11target_archE4294967295ELNS1_3gpuE0ELNS1_3repE0EEENS1_30default_config_static_selectorELNS0_4arch9wavefront6targetE1EEEvT1_.kd
    .uniform_work_group_size: 1
    .uses_dynamic_stack: false
    .vgpr_count:     0
    .vgpr_spill_count: 0
    .wavefront_size: 64
  - .agpr_count:     0
    .args:
      - .offset:         0
        .size:           104
        .value_kind:     by_value
    .group_segment_fixed_size: 0
    .kernarg_segment_align: 8
    .kernarg_segment_size: 104
    .language:       OpenCL C
    .language_version:
      - 2
      - 0
    .max_flat_workgroup_size: 256
    .name:           _ZN7rocprim17ROCPRIM_400000_NS6detail17trampoline_kernelINS0_14default_configENS1_20scan_config_selectorItEEZZNS1_9scan_implILNS1_25lookback_scan_determinismE0ELb0ELb0ES3_N6thrust23THRUST_200600_302600_NS6detail15normal_iteratorINS9_10device_ptrItEEEENS9_16discard_iteratorINS9_11use_defaultEEEt11max_functorItEtEEDaPvRmT3_T4_T5_mT6_P12ihipStream_tbENKUlT_T0_E_clISt17integral_constantIbLb1EESX_EEDaSS_ST_EUlSS_E_NS1_11comp_targetILNS1_3genE5ELNS1_11target_archE942ELNS1_3gpuE9ELNS1_3repE0EEENS1_30default_config_static_selectorELNS0_4arch9wavefront6targetE1EEEvT1_
    .private_segment_fixed_size: 0
    .sgpr_count:     4
    .sgpr_spill_count: 0
    .symbol:         _ZN7rocprim17ROCPRIM_400000_NS6detail17trampoline_kernelINS0_14default_configENS1_20scan_config_selectorItEEZZNS1_9scan_implILNS1_25lookback_scan_determinismE0ELb0ELb0ES3_N6thrust23THRUST_200600_302600_NS6detail15normal_iteratorINS9_10device_ptrItEEEENS9_16discard_iteratorINS9_11use_defaultEEEt11max_functorItEtEEDaPvRmT3_T4_T5_mT6_P12ihipStream_tbENKUlT_T0_E_clISt17integral_constantIbLb1EESX_EEDaSS_ST_EUlSS_E_NS1_11comp_targetILNS1_3genE5ELNS1_11target_archE942ELNS1_3gpuE9ELNS1_3repE0EEENS1_30default_config_static_selectorELNS0_4arch9wavefront6targetE1EEEvT1_.kd
    .uniform_work_group_size: 1
    .uses_dynamic_stack: false
    .vgpr_count:     0
    .vgpr_spill_count: 0
    .wavefront_size: 64
  - .agpr_count:     0
    .args:
      - .offset:         0
        .size:           104
        .value_kind:     by_value
    .group_segment_fixed_size: 3072
    .kernarg_segment_align: 8
    .kernarg_segment_size: 104
    .language:       OpenCL C
    .language_version:
      - 2
      - 0
    .max_flat_workgroup_size: 64
    .name:           _ZN7rocprim17ROCPRIM_400000_NS6detail17trampoline_kernelINS0_14default_configENS1_20scan_config_selectorItEEZZNS1_9scan_implILNS1_25lookback_scan_determinismE0ELb0ELb0ES3_N6thrust23THRUST_200600_302600_NS6detail15normal_iteratorINS9_10device_ptrItEEEENS9_16discard_iteratorINS9_11use_defaultEEEt11max_functorItEtEEDaPvRmT3_T4_T5_mT6_P12ihipStream_tbENKUlT_T0_E_clISt17integral_constantIbLb1EESX_EEDaSS_ST_EUlSS_E_NS1_11comp_targetILNS1_3genE4ELNS1_11target_archE910ELNS1_3gpuE8ELNS1_3repE0EEENS1_30default_config_static_selectorELNS0_4arch9wavefront6targetE1EEEvT1_
    .private_segment_fixed_size: 0
    .sgpr_count:     35
    .sgpr_spill_count: 0
    .symbol:         _ZN7rocprim17ROCPRIM_400000_NS6detail17trampoline_kernelINS0_14default_configENS1_20scan_config_selectorItEEZZNS1_9scan_implILNS1_25lookback_scan_determinismE0ELb0ELb0ES3_N6thrust23THRUST_200600_302600_NS6detail15normal_iteratorINS9_10device_ptrItEEEENS9_16discard_iteratorINS9_11use_defaultEEEt11max_functorItEtEEDaPvRmT3_T4_T5_mT6_P12ihipStream_tbENKUlT_T0_E_clISt17integral_constantIbLb1EESX_EEDaSS_ST_EUlSS_E_NS1_11comp_targetILNS1_3genE4ELNS1_11target_archE910ELNS1_3gpuE8ELNS1_3repE0EEENS1_30default_config_static_selectorELNS0_4arch9wavefront6targetE1EEEvT1_.kd
    .uniform_work_group_size: 1
    .uses_dynamic_stack: false
    .vgpr_count:     56
    .vgpr_spill_count: 0
    .wavefront_size: 64
  - .agpr_count:     0
    .args:
      - .offset:         0
        .size:           104
        .value_kind:     by_value
    .group_segment_fixed_size: 0
    .kernarg_segment_align: 8
    .kernarg_segment_size: 104
    .language:       OpenCL C
    .language_version:
      - 2
      - 0
    .max_flat_workgroup_size: 128
    .name:           _ZN7rocprim17ROCPRIM_400000_NS6detail17trampoline_kernelINS0_14default_configENS1_20scan_config_selectorItEEZZNS1_9scan_implILNS1_25lookback_scan_determinismE0ELb0ELb0ES3_N6thrust23THRUST_200600_302600_NS6detail15normal_iteratorINS9_10device_ptrItEEEENS9_16discard_iteratorINS9_11use_defaultEEEt11max_functorItEtEEDaPvRmT3_T4_T5_mT6_P12ihipStream_tbENKUlT_T0_E_clISt17integral_constantIbLb1EESX_EEDaSS_ST_EUlSS_E_NS1_11comp_targetILNS1_3genE3ELNS1_11target_archE908ELNS1_3gpuE7ELNS1_3repE0EEENS1_30default_config_static_selectorELNS0_4arch9wavefront6targetE1EEEvT1_
    .private_segment_fixed_size: 0
    .sgpr_count:     4
    .sgpr_spill_count: 0
    .symbol:         _ZN7rocprim17ROCPRIM_400000_NS6detail17trampoline_kernelINS0_14default_configENS1_20scan_config_selectorItEEZZNS1_9scan_implILNS1_25lookback_scan_determinismE0ELb0ELb0ES3_N6thrust23THRUST_200600_302600_NS6detail15normal_iteratorINS9_10device_ptrItEEEENS9_16discard_iteratorINS9_11use_defaultEEEt11max_functorItEtEEDaPvRmT3_T4_T5_mT6_P12ihipStream_tbENKUlT_T0_E_clISt17integral_constantIbLb1EESX_EEDaSS_ST_EUlSS_E_NS1_11comp_targetILNS1_3genE3ELNS1_11target_archE908ELNS1_3gpuE7ELNS1_3repE0EEENS1_30default_config_static_selectorELNS0_4arch9wavefront6targetE1EEEvT1_.kd
    .uniform_work_group_size: 1
    .uses_dynamic_stack: false
    .vgpr_count:     0
    .vgpr_spill_count: 0
    .wavefront_size: 64
  - .agpr_count:     0
    .args:
      - .offset:         0
        .size:           104
        .value_kind:     by_value
    .group_segment_fixed_size: 0
    .kernarg_segment_align: 8
    .kernarg_segment_size: 104
    .language:       OpenCL C
    .language_version:
      - 2
      - 0
    .max_flat_workgroup_size: 256
    .name:           _ZN7rocprim17ROCPRIM_400000_NS6detail17trampoline_kernelINS0_14default_configENS1_20scan_config_selectorItEEZZNS1_9scan_implILNS1_25lookback_scan_determinismE0ELb0ELb0ES3_N6thrust23THRUST_200600_302600_NS6detail15normal_iteratorINS9_10device_ptrItEEEENS9_16discard_iteratorINS9_11use_defaultEEEt11max_functorItEtEEDaPvRmT3_T4_T5_mT6_P12ihipStream_tbENKUlT_T0_E_clISt17integral_constantIbLb1EESX_EEDaSS_ST_EUlSS_E_NS1_11comp_targetILNS1_3genE2ELNS1_11target_archE906ELNS1_3gpuE6ELNS1_3repE0EEENS1_30default_config_static_selectorELNS0_4arch9wavefront6targetE1EEEvT1_
    .private_segment_fixed_size: 0
    .sgpr_count:     4
    .sgpr_spill_count: 0
    .symbol:         _ZN7rocprim17ROCPRIM_400000_NS6detail17trampoline_kernelINS0_14default_configENS1_20scan_config_selectorItEEZZNS1_9scan_implILNS1_25lookback_scan_determinismE0ELb0ELb0ES3_N6thrust23THRUST_200600_302600_NS6detail15normal_iteratorINS9_10device_ptrItEEEENS9_16discard_iteratorINS9_11use_defaultEEEt11max_functorItEtEEDaPvRmT3_T4_T5_mT6_P12ihipStream_tbENKUlT_T0_E_clISt17integral_constantIbLb1EESX_EEDaSS_ST_EUlSS_E_NS1_11comp_targetILNS1_3genE2ELNS1_11target_archE906ELNS1_3gpuE6ELNS1_3repE0EEENS1_30default_config_static_selectorELNS0_4arch9wavefront6targetE1EEEvT1_.kd
    .uniform_work_group_size: 1
    .uses_dynamic_stack: false
    .vgpr_count:     0
    .vgpr_spill_count: 0
    .wavefront_size: 64
  - .agpr_count:     0
    .args:
      - .offset:         0
        .size:           104
        .value_kind:     by_value
    .group_segment_fixed_size: 0
    .kernarg_segment_align: 8
    .kernarg_segment_size: 104
    .language:       OpenCL C
    .language_version:
      - 2
      - 0
    .max_flat_workgroup_size: 256
    .name:           _ZN7rocprim17ROCPRIM_400000_NS6detail17trampoline_kernelINS0_14default_configENS1_20scan_config_selectorItEEZZNS1_9scan_implILNS1_25lookback_scan_determinismE0ELb0ELb0ES3_N6thrust23THRUST_200600_302600_NS6detail15normal_iteratorINS9_10device_ptrItEEEENS9_16discard_iteratorINS9_11use_defaultEEEt11max_functorItEtEEDaPvRmT3_T4_T5_mT6_P12ihipStream_tbENKUlT_T0_E_clISt17integral_constantIbLb1EESX_EEDaSS_ST_EUlSS_E_NS1_11comp_targetILNS1_3genE10ELNS1_11target_archE1201ELNS1_3gpuE5ELNS1_3repE0EEENS1_30default_config_static_selectorELNS0_4arch9wavefront6targetE1EEEvT1_
    .private_segment_fixed_size: 0
    .sgpr_count:     4
    .sgpr_spill_count: 0
    .symbol:         _ZN7rocprim17ROCPRIM_400000_NS6detail17trampoline_kernelINS0_14default_configENS1_20scan_config_selectorItEEZZNS1_9scan_implILNS1_25lookback_scan_determinismE0ELb0ELb0ES3_N6thrust23THRUST_200600_302600_NS6detail15normal_iteratorINS9_10device_ptrItEEEENS9_16discard_iteratorINS9_11use_defaultEEEt11max_functorItEtEEDaPvRmT3_T4_T5_mT6_P12ihipStream_tbENKUlT_T0_E_clISt17integral_constantIbLb1EESX_EEDaSS_ST_EUlSS_E_NS1_11comp_targetILNS1_3genE10ELNS1_11target_archE1201ELNS1_3gpuE5ELNS1_3repE0EEENS1_30default_config_static_selectorELNS0_4arch9wavefront6targetE1EEEvT1_.kd
    .uniform_work_group_size: 1
    .uses_dynamic_stack: false
    .vgpr_count:     0
    .vgpr_spill_count: 0
    .wavefront_size: 64
  - .agpr_count:     0
    .args:
      - .offset:         0
        .size:           104
        .value_kind:     by_value
    .group_segment_fixed_size: 0
    .kernarg_segment_align: 8
    .kernarg_segment_size: 104
    .language:       OpenCL C
    .language_version:
      - 2
      - 0
    .max_flat_workgroup_size: 256
    .name:           _ZN7rocprim17ROCPRIM_400000_NS6detail17trampoline_kernelINS0_14default_configENS1_20scan_config_selectorItEEZZNS1_9scan_implILNS1_25lookback_scan_determinismE0ELb0ELb0ES3_N6thrust23THRUST_200600_302600_NS6detail15normal_iteratorINS9_10device_ptrItEEEENS9_16discard_iteratorINS9_11use_defaultEEEt11max_functorItEtEEDaPvRmT3_T4_T5_mT6_P12ihipStream_tbENKUlT_T0_E_clISt17integral_constantIbLb1EESX_EEDaSS_ST_EUlSS_E_NS1_11comp_targetILNS1_3genE10ELNS1_11target_archE1200ELNS1_3gpuE4ELNS1_3repE0EEENS1_30default_config_static_selectorELNS0_4arch9wavefront6targetE1EEEvT1_
    .private_segment_fixed_size: 0
    .sgpr_count:     4
    .sgpr_spill_count: 0
    .symbol:         _ZN7rocprim17ROCPRIM_400000_NS6detail17trampoline_kernelINS0_14default_configENS1_20scan_config_selectorItEEZZNS1_9scan_implILNS1_25lookback_scan_determinismE0ELb0ELb0ES3_N6thrust23THRUST_200600_302600_NS6detail15normal_iteratorINS9_10device_ptrItEEEENS9_16discard_iteratorINS9_11use_defaultEEEt11max_functorItEtEEDaPvRmT3_T4_T5_mT6_P12ihipStream_tbENKUlT_T0_E_clISt17integral_constantIbLb1EESX_EEDaSS_ST_EUlSS_E_NS1_11comp_targetILNS1_3genE10ELNS1_11target_archE1200ELNS1_3gpuE4ELNS1_3repE0EEENS1_30default_config_static_selectorELNS0_4arch9wavefront6targetE1EEEvT1_.kd
    .uniform_work_group_size: 1
    .uses_dynamic_stack: false
    .vgpr_count:     0
    .vgpr_spill_count: 0
    .wavefront_size: 64
  - .agpr_count:     0
    .args:
      - .offset:         0
        .size:           104
        .value_kind:     by_value
    .group_segment_fixed_size: 0
    .kernarg_segment_align: 8
    .kernarg_segment_size: 104
    .language:       OpenCL C
    .language_version:
      - 2
      - 0
    .max_flat_workgroup_size: 64
    .name:           _ZN7rocprim17ROCPRIM_400000_NS6detail17trampoline_kernelINS0_14default_configENS1_20scan_config_selectorItEEZZNS1_9scan_implILNS1_25lookback_scan_determinismE0ELb0ELb0ES3_N6thrust23THRUST_200600_302600_NS6detail15normal_iteratorINS9_10device_ptrItEEEENS9_16discard_iteratorINS9_11use_defaultEEEt11max_functorItEtEEDaPvRmT3_T4_T5_mT6_P12ihipStream_tbENKUlT_T0_E_clISt17integral_constantIbLb1EESX_EEDaSS_ST_EUlSS_E_NS1_11comp_targetILNS1_3genE9ELNS1_11target_archE1100ELNS1_3gpuE3ELNS1_3repE0EEENS1_30default_config_static_selectorELNS0_4arch9wavefront6targetE1EEEvT1_
    .private_segment_fixed_size: 0
    .sgpr_count:     4
    .sgpr_spill_count: 0
    .symbol:         _ZN7rocprim17ROCPRIM_400000_NS6detail17trampoline_kernelINS0_14default_configENS1_20scan_config_selectorItEEZZNS1_9scan_implILNS1_25lookback_scan_determinismE0ELb0ELb0ES3_N6thrust23THRUST_200600_302600_NS6detail15normal_iteratorINS9_10device_ptrItEEEENS9_16discard_iteratorINS9_11use_defaultEEEt11max_functorItEtEEDaPvRmT3_T4_T5_mT6_P12ihipStream_tbENKUlT_T0_E_clISt17integral_constantIbLb1EESX_EEDaSS_ST_EUlSS_E_NS1_11comp_targetILNS1_3genE9ELNS1_11target_archE1100ELNS1_3gpuE3ELNS1_3repE0EEENS1_30default_config_static_selectorELNS0_4arch9wavefront6targetE1EEEvT1_.kd
    .uniform_work_group_size: 1
    .uses_dynamic_stack: false
    .vgpr_count:     0
    .vgpr_spill_count: 0
    .wavefront_size: 64
  - .agpr_count:     0
    .args:
      - .offset:         0
        .size:           104
        .value_kind:     by_value
    .group_segment_fixed_size: 0
    .kernarg_segment_align: 8
    .kernarg_segment_size: 104
    .language:       OpenCL C
    .language_version:
      - 2
      - 0
    .max_flat_workgroup_size: 64
    .name:           _ZN7rocprim17ROCPRIM_400000_NS6detail17trampoline_kernelINS0_14default_configENS1_20scan_config_selectorItEEZZNS1_9scan_implILNS1_25lookback_scan_determinismE0ELb0ELb0ES3_N6thrust23THRUST_200600_302600_NS6detail15normal_iteratorINS9_10device_ptrItEEEENS9_16discard_iteratorINS9_11use_defaultEEEt11max_functorItEtEEDaPvRmT3_T4_T5_mT6_P12ihipStream_tbENKUlT_T0_E_clISt17integral_constantIbLb1EESX_EEDaSS_ST_EUlSS_E_NS1_11comp_targetILNS1_3genE8ELNS1_11target_archE1030ELNS1_3gpuE2ELNS1_3repE0EEENS1_30default_config_static_selectorELNS0_4arch9wavefront6targetE1EEEvT1_
    .private_segment_fixed_size: 0
    .sgpr_count:     4
    .sgpr_spill_count: 0
    .symbol:         _ZN7rocprim17ROCPRIM_400000_NS6detail17trampoline_kernelINS0_14default_configENS1_20scan_config_selectorItEEZZNS1_9scan_implILNS1_25lookback_scan_determinismE0ELb0ELb0ES3_N6thrust23THRUST_200600_302600_NS6detail15normal_iteratorINS9_10device_ptrItEEEENS9_16discard_iteratorINS9_11use_defaultEEEt11max_functorItEtEEDaPvRmT3_T4_T5_mT6_P12ihipStream_tbENKUlT_T0_E_clISt17integral_constantIbLb1EESX_EEDaSS_ST_EUlSS_E_NS1_11comp_targetILNS1_3genE8ELNS1_11target_archE1030ELNS1_3gpuE2ELNS1_3repE0EEENS1_30default_config_static_selectorELNS0_4arch9wavefront6targetE1EEEvT1_.kd
    .uniform_work_group_size: 1
    .uses_dynamic_stack: false
    .vgpr_count:     0
    .vgpr_spill_count: 0
    .wavefront_size: 64
  - .agpr_count:     0
    .args:
      - .offset:         0
        .size:           40
        .value_kind:     by_value
    .group_segment_fixed_size: 0
    .kernarg_segment_align: 8
    .kernarg_segment_size: 40
    .language:       OpenCL C
    .language_version:
      - 2
      - 0
    .max_flat_workgroup_size: 128
    .name:           _ZN7rocprim17ROCPRIM_400000_NS6detail17trampoline_kernelINS0_14default_configENS1_20scan_config_selectorItEEZZNS1_9scan_implILNS1_25lookback_scan_determinismE0ELb0ELb0ES3_N6thrust23THRUST_200600_302600_NS6detail15normal_iteratorINS9_10device_ptrItEEEENS9_16discard_iteratorINS9_11use_defaultEEEt11max_functorItEtEEDaPvRmT3_T4_T5_mT6_P12ihipStream_tbENKUlT_T0_E_clISt17integral_constantIbLb1EESX_EEDaSS_ST_EUlSS_E0_NS1_11comp_targetILNS1_3genE0ELNS1_11target_archE4294967295ELNS1_3gpuE0ELNS1_3repE0EEENS1_30default_config_static_selectorELNS0_4arch9wavefront6targetE1EEEvT1_
    .private_segment_fixed_size: 0
    .sgpr_count:     4
    .sgpr_spill_count: 0
    .symbol:         _ZN7rocprim17ROCPRIM_400000_NS6detail17trampoline_kernelINS0_14default_configENS1_20scan_config_selectorItEEZZNS1_9scan_implILNS1_25lookback_scan_determinismE0ELb0ELb0ES3_N6thrust23THRUST_200600_302600_NS6detail15normal_iteratorINS9_10device_ptrItEEEENS9_16discard_iteratorINS9_11use_defaultEEEt11max_functorItEtEEDaPvRmT3_T4_T5_mT6_P12ihipStream_tbENKUlT_T0_E_clISt17integral_constantIbLb1EESX_EEDaSS_ST_EUlSS_E0_NS1_11comp_targetILNS1_3genE0ELNS1_11target_archE4294967295ELNS1_3gpuE0ELNS1_3repE0EEENS1_30default_config_static_selectorELNS0_4arch9wavefront6targetE1EEEvT1_.kd
    .uniform_work_group_size: 1
    .uses_dynamic_stack: false
    .vgpr_count:     0
    .vgpr_spill_count: 0
    .wavefront_size: 64
  - .agpr_count:     0
    .args:
      - .offset:         0
        .size:           40
        .value_kind:     by_value
    .group_segment_fixed_size: 0
    .kernarg_segment_align: 8
    .kernarg_segment_size: 40
    .language:       OpenCL C
    .language_version:
      - 2
      - 0
    .max_flat_workgroup_size: 256
    .name:           _ZN7rocprim17ROCPRIM_400000_NS6detail17trampoline_kernelINS0_14default_configENS1_20scan_config_selectorItEEZZNS1_9scan_implILNS1_25lookback_scan_determinismE0ELb0ELb0ES3_N6thrust23THRUST_200600_302600_NS6detail15normal_iteratorINS9_10device_ptrItEEEENS9_16discard_iteratorINS9_11use_defaultEEEt11max_functorItEtEEDaPvRmT3_T4_T5_mT6_P12ihipStream_tbENKUlT_T0_E_clISt17integral_constantIbLb1EESX_EEDaSS_ST_EUlSS_E0_NS1_11comp_targetILNS1_3genE5ELNS1_11target_archE942ELNS1_3gpuE9ELNS1_3repE0EEENS1_30default_config_static_selectorELNS0_4arch9wavefront6targetE1EEEvT1_
    .private_segment_fixed_size: 0
    .sgpr_count:     4
    .sgpr_spill_count: 0
    .symbol:         _ZN7rocprim17ROCPRIM_400000_NS6detail17trampoline_kernelINS0_14default_configENS1_20scan_config_selectorItEEZZNS1_9scan_implILNS1_25lookback_scan_determinismE0ELb0ELb0ES3_N6thrust23THRUST_200600_302600_NS6detail15normal_iteratorINS9_10device_ptrItEEEENS9_16discard_iteratorINS9_11use_defaultEEEt11max_functorItEtEEDaPvRmT3_T4_T5_mT6_P12ihipStream_tbENKUlT_T0_E_clISt17integral_constantIbLb1EESX_EEDaSS_ST_EUlSS_E0_NS1_11comp_targetILNS1_3genE5ELNS1_11target_archE942ELNS1_3gpuE9ELNS1_3repE0EEENS1_30default_config_static_selectorELNS0_4arch9wavefront6targetE1EEEvT1_.kd
    .uniform_work_group_size: 1
    .uses_dynamic_stack: false
    .vgpr_count:     0
    .vgpr_spill_count: 0
    .wavefront_size: 64
  - .agpr_count:     0
    .args:
      - .offset:         0
        .size:           40
        .value_kind:     by_value
    .group_segment_fixed_size: 3072
    .kernarg_segment_align: 8
    .kernarg_segment_size: 40
    .language:       OpenCL C
    .language_version:
      - 2
      - 0
    .max_flat_workgroup_size: 64
    .name:           _ZN7rocprim17ROCPRIM_400000_NS6detail17trampoline_kernelINS0_14default_configENS1_20scan_config_selectorItEEZZNS1_9scan_implILNS1_25lookback_scan_determinismE0ELb0ELb0ES3_N6thrust23THRUST_200600_302600_NS6detail15normal_iteratorINS9_10device_ptrItEEEENS9_16discard_iteratorINS9_11use_defaultEEEt11max_functorItEtEEDaPvRmT3_T4_T5_mT6_P12ihipStream_tbENKUlT_T0_E_clISt17integral_constantIbLb1EESX_EEDaSS_ST_EUlSS_E0_NS1_11comp_targetILNS1_3genE4ELNS1_11target_archE910ELNS1_3gpuE8ELNS1_3repE0EEENS1_30default_config_static_selectorELNS0_4arch9wavefront6targetE1EEEvT1_
    .private_segment_fixed_size: 0
    .sgpr_count:     10
    .sgpr_spill_count: 0
    .symbol:         _ZN7rocprim17ROCPRIM_400000_NS6detail17trampoline_kernelINS0_14default_configENS1_20scan_config_selectorItEEZZNS1_9scan_implILNS1_25lookback_scan_determinismE0ELb0ELb0ES3_N6thrust23THRUST_200600_302600_NS6detail15normal_iteratorINS9_10device_ptrItEEEENS9_16discard_iteratorINS9_11use_defaultEEEt11max_functorItEtEEDaPvRmT3_T4_T5_mT6_P12ihipStream_tbENKUlT_T0_E_clISt17integral_constantIbLb1EESX_EEDaSS_ST_EUlSS_E0_NS1_11comp_targetILNS1_3genE4ELNS1_11target_archE910ELNS1_3gpuE8ELNS1_3repE0EEENS1_30default_config_static_selectorELNS0_4arch9wavefront6targetE1EEEvT1_.kd
    .uniform_work_group_size: 1
    .uses_dynamic_stack: false
    .vgpr_count:     41
    .vgpr_spill_count: 0
    .wavefront_size: 64
  - .agpr_count:     0
    .args:
      - .offset:         0
        .size:           40
        .value_kind:     by_value
    .group_segment_fixed_size: 0
    .kernarg_segment_align: 8
    .kernarg_segment_size: 40
    .language:       OpenCL C
    .language_version:
      - 2
      - 0
    .max_flat_workgroup_size: 128
    .name:           _ZN7rocprim17ROCPRIM_400000_NS6detail17trampoline_kernelINS0_14default_configENS1_20scan_config_selectorItEEZZNS1_9scan_implILNS1_25lookback_scan_determinismE0ELb0ELb0ES3_N6thrust23THRUST_200600_302600_NS6detail15normal_iteratorINS9_10device_ptrItEEEENS9_16discard_iteratorINS9_11use_defaultEEEt11max_functorItEtEEDaPvRmT3_T4_T5_mT6_P12ihipStream_tbENKUlT_T0_E_clISt17integral_constantIbLb1EESX_EEDaSS_ST_EUlSS_E0_NS1_11comp_targetILNS1_3genE3ELNS1_11target_archE908ELNS1_3gpuE7ELNS1_3repE0EEENS1_30default_config_static_selectorELNS0_4arch9wavefront6targetE1EEEvT1_
    .private_segment_fixed_size: 0
    .sgpr_count:     4
    .sgpr_spill_count: 0
    .symbol:         _ZN7rocprim17ROCPRIM_400000_NS6detail17trampoline_kernelINS0_14default_configENS1_20scan_config_selectorItEEZZNS1_9scan_implILNS1_25lookback_scan_determinismE0ELb0ELb0ES3_N6thrust23THRUST_200600_302600_NS6detail15normal_iteratorINS9_10device_ptrItEEEENS9_16discard_iteratorINS9_11use_defaultEEEt11max_functorItEtEEDaPvRmT3_T4_T5_mT6_P12ihipStream_tbENKUlT_T0_E_clISt17integral_constantIbLb1EESX_EEDaSS_ST_EUlSS_E0_NS1_11comp_targetILNS1_3genE3ELNS1_11target_archE908ELNS1_3gpuE7ELNS1_3repE0EEENS1_30default_config_static_selectorELNS0_4arch9wavefront6targetE1EEEvT1_.kd
    .uniform_work_group_size: 1
    .uses_dynamic_stack: false
    .vgpr_count:     0
    .vgpr_spill_count: 0
    .wavefront_size: 64
  - .agpr_count:     0
    .args:
      - .offset:         0
        .size:           40
        .value_kind:     by_value
    .group_segment_fixed_size: 0
    .kernarg_segment_align: 8
    .kernarg_segment_size: 40
    .language:       OpenCL C
    .language_version:
      - 2
      - 0
    .max_flat_workgroup_size: 256
    .name:           _ZN7rocprim17ROCPRIM_400000_NS6detail17trampoline_kernelINS0_14default_configENS1_20scan_config_selectorItEEZZNS1_9scan_implILNS1_25lookback_scan_determinismE0ELb0ELb0ES3_N6thrust23THRUST_200600_302600_NS6detail15normal_iteratorINS9_10device_ptrItEEEENS9_16discard_iteratorINS9_11use_defaultEEEt11max_functorItEtEEDaPvRmT3_T4_T5_mT6_P12ihipStream_tbENKUlT_T0_E_clISt17integral_constantIbLb1EESX_EEDaSS_ST_EUlSS_E0_NS1_11comp_targetILNS1_3genE2ELNS1_11target_archE906ELNS1_3gpuE6ELNS1_3repE0EEENS1_30default_config_static_selectorELNS0_4arch9wavefront6targetE1EEEvT1_
    .private_segment_fixed_size: 0
    .sgpr_count:     4
    .sgpr_spill_count: 0
    .symbol:         _ZN7rocprim17ROCPRIM_400000_NS6detail17trampoline_kernelINS0_14default_configENS1_20scan_config_selectorItEEZZNS1_9scan_implILNS1_25lookback_scan_determinismE0ELb0ELb0ES3_N6thrust23THRUST_200600_302600_NS6detail15normal_iteratorINS9_10device_ptrItEEEENS9_16discard_iteratorINS9_11use_defaultEEEt11max_functorItEtEEDaPvRmT3_T4_T5_mT6_P12ihipStream_tbENKUlT_T0_E_clISt17integral_constantIbLb1EESX_EEDaSS_ST_EUlSS_E0_NS1_11comp_targetILNS1_3genE2ELNS1_11target_archE906ELNS1_3gpuE6ELNS1_3repE0EEENS1_30default_config_static_selectorELNS0_4arch9wavefront6targetE1EEEvT1_.kd
    .uniform_work_group_size: 1
    .uses_dynamic_stack: false
    .vgpr_count:     0
    .vgpr_spill_count: 0
    .wavefront_size: 64
  - .agpr_count:     0
    .args:
      - .offset:         0
        .size:           40
        .value_kind:     by_value
    .group_segment_fixed_size: 0
    .kernarg_segment_align: 8
    .kernarg_segment_size: 40
    .language:       OpenCL C
    .language_version:
      - 2
      - 0
    .max_flat_workgroup_size: 256
    .name:           _ZN7rocprim17ROCPRIM_400000_NS6detail17trampoline_kernelINS0_14default_configENS1_20scan_config_selectorItEEZZNS1_9scan_implILNS1_25lookback_scan_determinismE0ELb0ELb0ES3_N6thrust23THRUST_200600_302600_NS6detail15normal_iteratorINS9_10device_ptrItEEEENS9_16discard_iteratorINS9_11use_defaultEEEt11max_functorItEtEEDaPvRmT3_T4_T5_mT6_P12ihipStream_tbENKUlT_T0_E_clISt17integral_constantIbLb1EESX_EEDaSS_ST_EUlSS_E0_NS1_11comp_targetILNS1_3genE10ELNS1_11target_archE1201ELNS1_3gpuE5ELNS1_3repE0EEENS1_30default_config_static_selectorELNS0_4arch9wavefront6targetE1EEEvT1_
    .private_segment_fixed_size: 0
    .sgpr_count:     4
    .sgpr_spill_count: 0
    .symbol:         _ZN7rocprim17ROCPRIM_400000_NS6detail17trampoline_kernelINS0_14default_configENS1_20scan_config_selectorItEEZZNS1_9scan_implILNS1_25lookback_scan_determinismE0ELb0ELb0ES3_N6thrust23THRUST_200600_302600_NS6detail15normal_iteratorINS9_10device_ptrItEEEENS9_16discard_iteratorINS9_11use_defaultEEEt11max_functorItEtEEDaPvRmT3_T4_T5_mT6_P12ihipStream_tbENKUlT_T0_E_clISt17integral_constantIbLb1EESX_EEDaSS_ST_EUlSS_E0_NS1_11comp_targetILNS1_3genE10ELNS1_11target_archE1201ELNS1_3gpuE5ELNS1_3repE0EEENS1_30default_config_static_selectorELNS0_4arch9wavefront6targetE1EEEvT1_.kd
    .uniform_work_group_size: 1
    .uses_dynamic_stack: false
    .vgpr_count:     0
    .vgpr_spill_count: 0
    .wavefront_size: 64
  - .agpr_count:     0
    .args:
      - .offset:         0
        .size:           40
        .value_kind:     by_value
    .group_segment_fixed_size: 0
    .kernarg_segment_align: 8
    .kernarg_segment_size: 40
    .language:       OpenCL C
    .language_version:
      - 2
      - 0
    .max_flat_workgroup_size: 256
    .name:           _ZN7rocprim17ROCPRIM_400000_NS6detail17trampoline_kernelINS0_14default_configENS1_20scan_config_selectorItEEZZNS1_9scan_implILNS1_25lookback_scan_determinismE0ELb0ELb0ES3_N6thrust23THRUST_200600_302600_NS6detail15normal_iteratorINS9_10device_ptrItEEEENS9_16discard_iteratorINS9_11use_defaultEEEt11max_functorItEtEEDaPvRmT3_T4_T5_mT6_P12ihipStream_tbENKUlT_T0_E_clISt17integral_constantIbLb1EESX_EEDaSS_ST_EUlSS_E0_NS1_11comp_targetILNS1_3genE10ELNS1_11target_archE1200ELNS1_3gpuE4ELNS1_3repE0EEENS1_30default_config_static_selectorELNS0_4arch9wavefront6targetE1EEEvT1_
    .private_segment_fixed_size: 0
    .sgpr_count:     4
    .sgpr_spill_count: 0
    .symbol:         _ZN7rocprim17ROCPRIM_400000_NS6detail17trampoline_kernelINS0_14default_configENS1_20scan_config_selectorItEEZZNS1_9scan_implILNS1_25lookback_scan_determinismE0ELb0ELb0ES3_N6thrust23THRUST_200600_302600_NS6detail15normal_iteratorINS9_10device_ptrItEEEENS9_16discard_iteratorINS9_11use_defaultEEEt11max_functorItEtEEDaPvRmT3_T4_T5_mT6_P12ihipStream_tbENKUlT_T0_E_clISt17integral_constantIbLb1EESX_EEDaSS_ST_EUlSS_E0_NS1_11comp_targetILNS1_3genE10ELNS1_11target_archE1200ELNS1_3gpuE4ELNS1_3repE0EEENS1_30default_config_static_selectorELNS0_4arch9wavefront6targetE1EEEvT1_.kd
    .uniform_work_group_size: 1
    .uses_dynamic_stack: false
    .vgpr_count:     0
    .vgpr_spill_count: 0
    .wavefront_size: 64
  - .agpr_count:     0
    .args:
      - .offset:         0
        .size:           40
        .value_kind:     by_value
    .group_segment_fixed_size: 0
    .kernarg_segment_align: 8
    .kernarg_segment_size: 40
    .language:       OpenCL C
    .language_version:
      - 2
      - 0
    .max_flat_workgroup_size: 64
    .name:           _ZN7rocprim17ROCPRIM_400000_NS6detail17trampoline_kernelINS0_14default_configENS1_20scan_config_selectorItEEZZNS1_9scan_implILNS1_25lookback_scan_determinismE0ELb0ELb0ES3_N6thrust23THRUST_200600_302600_NS6detail15normal_iteratorINS9_10device_ptrItEEEENS9_16discard_iteratorINS9_11use_defaultEEEt11max_functorItEtEEDaPvRmT3_T4_T5_mT6_P12ihipStream_tbENKUlT_T0_E_clISt17integral_constantIbLb1EESX_EEDaSS_ST_EUlSS_E0_NS1_11comp_targetILNS1_3genE9ELNS1_11target_archE1100ELNS1_3gpuE3ELNS1_3repE0EEENS1_30default_config_static_selectorELNS0_4arch9wavefront6targetE1EEEvT1_
    .private_segment_fixed_size: 0
    .sgpr_count:     4
    .sgpr_spill_count: 0
    .symbol:         _ZN7rocprim17ROCPRIM_400000_NS6detail17trampoline_kernelINS0_14default_configENS1_20scan_config_selectorItEEZZNS1_9scan_implILNS1_25lookback_scan_determinismE0ELb0ELb0ES3_N6thrust23THRUST_200600_302600_NS6detail15normal_iteratorINS9_10device_ptrItEEEENS9_16discard_iteratorINS9_11use_defaultEEEt11max_functorItEtEEDaPvRmT3_T4_T5_mT6_P12ihipStream_tbENKUlT_T0_E_clISt17integral_constantIbLb1EESX_EEDaSS_ST_EUlSS_E0_NS1_11comp_targetILNS1_3genE9ELNS1_11target_archE1100ELNS1_3gpuE3ELNS1_3repE0EEENS1_30default_config_static_selectorELNS0_4arch9wavefront6targetE1EEEvT1_.kd
    .uniform_work_group_size: 1
    .uses_dynamic_stack: false
    .vgpr_count:     0
    .vgpr_spill_count: 0
    .wavefront_size: 64
  - .agpr_count:     0
    .args:
      - .offset:         0
        .size:           40
        .value_kind:     by_value
    .group_segment_fixed_size: 0
    .kernarg_segment_align: 8
    .kernarg_segment_size: 40
    .language:       OpenCL C
    .language_version:
      - 2
      - 0
    .max_flat_workgroup_size: 64
    .name:           _ZN7rocprim17ROCPRIM_400000_NS6detail17trampoline_kernelINS0_14default_configENS1_20scan_config_selectorItEEZZNS1_9scan_implILNS1_25lookback_scan_determinismE0ELb0ELb0ES3_N6thrust23THRUST_200600_302600_NS6detail15normal_iteratorINS9_10device_ptrItEEEENS9_16discard_iteratorINS9_11use_defaultEEEt11max_functorItEtEEDaPvRmT3_T4_T5_mT6_P12ihipStream_tbENKUlT_T0_E_clISt17integral_constantIbLb1EESX_EEDaSS_ST_EUlSS_E0_NS1_11comp_targetILNS1_3genE8ELNS1_11target_archE1030ELNS1_3gpuE2ELNS1_3repE0EEENS1_30default_config_static_selectorELNS0_4arch9wavefront6targetE1EEEvT1_
    .private_segment_fixed_size: 0
    .sgpr_count:     4
    .sgpr_spill_count: 0
    .symbol:         _ZN7rocprim17ROCPRIM_400000_NS6detail17trampoline_kernelINS0_14default_configENS1_20scan_config_selectorItEEZZNS1_9scan_implILNS1_25lookback_scan_determinismE0ELb0ELb0ES3_N6thrust23THRUST_200600_302600_NS6detail15normal_iteratorINS9_10device_ptrItEEEENS9_16discard_iteratorINS9_11use_defaultEEEt11max_functorItEtEEDaPvRmT3_T4_T5_mT6_P12ihipStream_tbENKUlT_T0_E_clISt17integral_constantIbLb1EESX_EEDaSS_ST_EUlSS_E0_NS1_11comp_targetILNS1_3genE8ELNS1_11target_archE1030ELNS1_3gpuE2ELNS1_3repE0EEENS1_30default_config_static_selectorELNS0_4arch9wavefront6targetE1EEEvT1_.kd
    .uniform_work_group_size: 1
    .uses_dynamic_stack: false
    .vgpr_count:     0
    .vgpr_spill_count: 0
    .wavefront_size: 64
  - .agpr_count:     0
    .args:
      - .offset:         0
        .size:           104
        .value_kind:     by_value
    .group_segment_fixed_size: 0
    .kernarg_segment_align: 8
    .kernarg_segment_size: 104
    .language:       OpenCL C
    .language_version:
      - 2
      - 0
    .max_flat_workgroup_size: 128
    .name:           _ZN7rocprim17ROCPRIM_400000_NS6detail17trampoline_kernelINS0_14default_configENS1_20scan_config_selectorItEEZZNS1_9scan_implILNS1_25lookback_scan_determinismE0ELb0ELb0ES3_N6thrust23THRUST_200600_302600_NS6detail15normal_iteratorINS9_10device_ptrItEEEENS9_16discard_iteratorINS9_11use_defaultEEEt11max_functorItEtEEDaPvRmT3_T4_T5_mT6_P12ihipStream_tbENKUlT_T0_E_clISt17integral_constantIbLb1EESW_IbLb0EEEEDaSS_ST_EUlSS_E_NS1_11comp_targetILNS1_3genE0ELNS1_11target_archE4294967295ELNS1_3gpuE0ELNS1_3repE0EEENS1_30default_config_static_selectorELNS0_4arch9wavefront6targetE1EEEvT1_
    .private_segment_fixed_size: 0
    .sgpr_count:     4
    .sgpr_spill_count: 0
    .symbol:         _ZN7rocprim17ROCPRIM_400000_NS6detail17trampoline_kernelINS0_14default_configENS1_20scan_config_selectorItEEZZNS1_9scan_implILNS1_25lookback_scan_determinismE0ELb0ELb0ES3_N6thrust23THRUST_200600_302600_NS6detail15normal_iteratorINS9_10device_ptrItEEEENS9_16discard_iteratorINS9_11use_defaultEEEt11max_functorItEtEEDaPvRmT3_T4_T5_mT6_P12ihipStream_tbENKUlT_T0_E_clISt17integral_constantIbLb1EESW_IbLb0EEEEDaSS_ST_EUlSS_E_NS1_11comp_targetILNS1_3genE0ELNS1_11target_archE4294967295ELNS1_3gpuE0ELNS1_3repE0EEENS1_30default_config_static_selectorELNS0_4arch9wavefront6targetE1EEEvT1_.kd
    .uniform_work_group_size: 1
    .uses_dynamic_stack: false
    .vgpr_count:     0
    .vgpr_spill_count: 0
    .wavefront_size: 64
  - .agpr_count:     0
    .args:
      - .offset:         0
        .size:           104
        .value_kind:     by_value
    .group_segment_fixed_size: 0
    .kernarg_segment_align: 8
    .kernarg_segment_size: 104
    .language:       OpenCL C
    .language_version:
      - 2
      - 0
    .max_flat_workgroup_size: 256
    .name:           _ZN7rocprim17ROCPRIM_400000_NS6detail17trampoline_kernelINS0_14default_configENS1_20scan_config_selectorItEEZZNS1_9scan_implILNS1_25lookback_scan_determinismE0ELb0ELb0ES3_N6thrust23THRUST_200600_302600_NS6detail15normal_iteratorINS9_10device_ptrItEEEENS9_16discard_iteratorINS9_11use_defaultEEEt11max_functorItEtEEDaPvRmT3_T4_T5_mT6_P12ihipStream_tbENKUlT_T0_E_clISt17integral_constantIbLb1EESW_IbLb0EEEEDaSS_ST_EUlSS_E_NS1_11comp_targetILNS1_3genE5ELNS1_11target_archE942ELNS1_3gpuE9ELNS1_3repE0EEENS1_30default_config_static_selectorELNS0_4arch9wavefront6targetE1EEEvT1_
    .private_segment_fixed_size: 0
    .sgpr_count:     4
    .sgpr_spill_count: 0
    .symbol:         _ZN7rocprim17ROCPRIM_400000_NS6detail17trampoline_kernelINS0_14default_configENS1_20scan_config_selectorItEEZZNS1_9scan_implILNS1_25lookback_scan_determinismE0ELb0ELb0ES3_N6thrust23THRUST_200600_302600_NS6detail15normal_iteratorINS9_10device_ptrItEEEENS9_16discard_iteratorINS9_11use_defaultEEEt11max_functorItEtEEDaPvRmT3_T4_T5_mT6_P12ihipStream_tbENKUlT_T0_E_clISt17integral_constantIbLb1EESW_IbLb0EEEEDaSS_ST_EUlSS_E_NS1_11comp_targetILNS1_3genE5ELNS1_11target_archE942ELNS1_3gpuE9ELNS1_3repE0EEENS1_30default_config_static_selectorELNS0_4arch9wavefront6targetE1EEEvT1_.kd
    .uniform_work_group_size: 1
    .uses_dynamic_stack: false
    .vgpr_count:     0
    .vgpr_spill_count: 0
    .wavefront_size: 64
  - .agpr_count:     0
    .args:
      - .offset:         0
        .size:           104
        .value_kind:     by_value
    .group_segment_fixed_size: 3072
    .kernarg_segment_align: 8
    .kernarg_segment_size: 104
    .language:       OpenCL C
    .language_version:
      - 2
      - 0
    .max_flat_workgroup_size: 64
    .name:           _ZN7rocprim17ROCPRIM_400000_NS6detail17trampoline_kernelINS0_14default_configENS1_20scan_config_selectorItEEZZNS1_9scan_implILNS1_25lookback_scan_determinismE0ELb0ELb0ES3_N6thrust23THRUST_200600_302600_NS6detail15normal_iteratorINS9_10device_ptrItEEEENS9_16discard_iteratorINS9_11use_defaultEEEt11max_functorItEtEEDaPvRmT3_T4_T5_mT6_P12ihipStream_tbENKUlT_T0_E_clISt17integral_constantIbLb1EESW_IbLb0EEEEDaSS_ST_EUlSS_E_NS1_11comp_targetILNS1_3genE4ELNS1_11target_archE910ELNS1_3gpuE8ELNS1_3repE0EEENS1_30default_config_static_selectorELNS0_4arch9wavefront6targetE1EEEvT1_
    .private_segment_fixed_size: 0
    .sgpr_count:     30
    .sgpr_spill_count: 0
    .symbol:         _ZN7rocprim17ROCPRIM_400000_NS6detail17trampoline_kernelINS0_14default_configENS1_20scan_config_selectorItEEZZNS1_9scan_implILNS1_25lookback_scan_determinismE0ELb0ELb0ES3_N6thrust23THRUST_200600_302600_NS6detail15normal_iteratorINS9_10device_ptrItEEEENS9_16discard_iteratorINS9_11use_defaultEEEt11max_functorItEtEEDaPvRmT3_T4_T5_mT6_P12ihipStream_tbENKUlT_T0_E_clISt17integral_constantIbLb1EESW_IbLb0EEEEDaSS_ST_EUlSS_E_NS1_11comp_targetILNS1_3genE4ELNS1_11target_archE910ELNS1_3gpuE8ELNS1_3repE0EEENS1_30default_config_static_selectorELNS0_4arch9wavefront6targetE1EEEvT1_.kd
    .uniform_work_group_size: 1
    .uses_dynamic_stack: false
    .vgpr_count:     56
    .vgpr_spill_count: 0
    .wavefront_size: 64
  - .agpr_count:     0
    .args:
      - .offset:         0
        .size:           104
        .value_kind:     by_value
    .group_segment_fixed_size: 0
    .kernarg_segment_align: 8
    .kernarg_segment_size: 104
    .language:       OpenCL C
    .language_version:
      - 2
      - 0
    .max_flat_workgroup_size: 128
    .name:           _ZN7rocprim17ROCPRIM_400000_NS6detail17trampoline_kernelINS0_14default_configENS1_20scan_config_selectorItEEZZNS1_9scan_implILNS1_25lookback_scan_determinismE0ELb0ELb0ES3_N6thrust23THRUST_200600_302600_NS6detail15normal_iteratorINS9_10device_ptrItEEEENS9_16discard_iteratorINS9_11use_defaultEEEt11max_functorItEtEEDaPvRmT3_T4_T5_mT6_P12ihipStream_tbENKUlT_T0_E_clISt17integral_constantIbLb1EESW_IbLb0EEEEDaSS_ST_EUlSS_E_NS1_11comp_targetILNS1_3genE3ELNS1_11target_archE908ELNS1_3gpuE7ELNS1_3repE0EEENS1_30default_config_static_selectorELNS0_4arch9wavefront6targetE1EEEvT1_
    .private_segment_fixed_size: 0
    .sgpr_count:     4
    .sgpr_spill_count: 0
    .symbol:         _ZN7rocprim17ROCPRIM_400000_NS6detail17trampoline_kernelINS0_14default_configENS1_20scan_config_selectorItEEZZNS1_9scan_implILNS1_25lookback_scan_determinismE0ELb0ELb0ES3_N6thrust23THRUST_200600_302600_NS6detail15normal_iteratorINS9_10device_ptrItEEEENS9_16discard_iteratorINS9_11use_defaultEEEt11max_functorItEtEEDaPvRmT3_T4_T5_mT6_P12ihipStream_tbENKUlT_T0_E_clISt17integral_constantIbLb1EESW_IbLb0EEEEDaSS_ST_EUlSS_E_NS1_11comp_targetILNS1_3genE3ELNS1_11target_archE908ELNS1_3gpuE7ELNS1_3repE0EEENS1_30default_config_static_selectorELNS0_4arch9wavefront6targetE1EEEvT1_.kd
    .uniform_work_group_size: 1
    .uses_dynamic_stack: false
    .vgpr_count:     0
    .vgpr_spill_count: 0
    .wavefront_size: 64
  - .agpr_count:     0
    .args:
      - .offset:         0
        .size:           104
        .value_kind:     by_value
    .group_segment_fixed_size: 0
    .kernarg_segment_align: 8
    .kernarg_segment_size: 104
    .language:       OpenCL C
    .language_version:
      - 2
      - 0
    .max_flat_workgroup_size: 256
    .name:           _ZN7rocprim17ROCPRIM_400000_NS6detail17trampoline_kernelINS0_14default_configENS1_20scan_config_selectorItEEZZNS1_9scan_implILNS1_25lookback_scan_determinismE0ELb0ELb0ES3_N6thrust23THRUST_200600_302600_NS6detail15normal_iteratorINS9_10device_ptrItEEEENS9_16discard_iteratorINS9_11use_defaultEEEt11max_functorItEtEEDaPvRmT3_T4_T5_mT6_P12ihipStream_tbENKUlT_T0_E_clISt17integral_constantIbLb1EESW_IbLb0EEEEDaSS_ST_EUlSS_E_NS1_11comp_targetILNS1_3genE2ELNS1_11target_archE906ELNS1_3gpuE6ELNS1_3repE0EEENS1_30default_config_static_selectorELNS0_4arch9wavefront6targetE1EEEvT1_
    .private_segment_fixed_size: 0
    .sgpr_count:     4
    .sgpr_spill_count: 0
    .symbol:         _ZN7rocprim17ROCPRIM_400000_NS6detail17trampoline_kernelINS0_14default_configENS1_20scan_config_selectorItEEZZNS1_9scan_implILNS1_25lookback_scan_determinismE0ELb0ELb0ES3_N6thrust23THRUST_200600_302600_NS6detail15normal_iteratorINS9_10device_ptrItEEEENS9_16discard_iteratorINS9_11use_defaultEEEt11max_functorItEtEEDaPvRmT3_T4_T5_mT6_P12ihipStream_tbENKUlT_T0_E_clISt17integral_constantIbLb1EESW_IbLb0EEEEDaSS_ST_EUlSS_E_NS1_11comp_targetILNS1_3genE2ELNS1_11target_archE906ELNS1_3gpuE6ELNS1_3repE0EEENS1_30default_config_static_selectorELNS0_4arch9wavefront6targetE1EEEvT1_.kd
    .uniform_work_group_size: 1
    .uses_dynamic_stack: false
    .vgpr_count:     0
    .vgpr_spill_count: 0
    .wavefront_size: 64
  - .agpr_count:     0
    .args:
      - .offset:         0
        .size:           104
        .value_kind:     by_value
    .group_segment_fixed_size: 0
    .kernarg_segment_align: 8
    .kernarg_segment_size: 104
    .language:       OpenCL C
    .language_version:
      - 2
      - 0
    .max_flat_workgroup_size: 256
    .name:           _ZN7rocprim17ROCPRIM_400000_NS6detail17trampoline_kernelINS0_14default_configENS1_20scan_config_selectorItEEZZNS1_9scan_implILNS1_25lookback_scan_determinismE0ELb0ELb0ES3_N6thrust23THRUST_200600_302600_NS6detail15normal_iteratorINS9_10device_ptrItEEEENS9_16discard_iteratorINS9_11use_defaultEEEt11max_functorItEtEEDaPvRmT3_T4_T5_mT6_P12ihipStream_tbENKUlT_T0_E_clISt17integral_constantIbLb1EESW_IbLb0EEEEDaSS_ST_EUlSS_E_NS1_11comp_targetILNS1_3genE10ELNS1_11target_archE1201ELNS1_3gpuE5ELNS1_3repE0EEENS1_30default_config_static_selectorELNS0_4arch9wavefront6targetE1EEEvT1_
    .private_segment_fixed_size: 0
    .sgpr_count:     4
    .sgpr_spill_count: 0
    .symbol:         _ZN7rocprim17ROCPRIM_400000_NS6detail17trampoline_kernelINS0_14default_configENS1_20scan_config_selectorItEEZZNS1_9scan_implILNS1_25lookback_scan_determinismE0ELb0ELb0ES3_N6thrust23THRUST_200600_302600_NS6detail15normal_iteratorINS9_10device_ptrItEEEENS9_16discard_iteratorINS9_11use_defaultEEEt11max_functorItEtEEDaPvRmT3_T4_T5_mT6_P12ihipStream_tbENKUlT_T0_E_clISt17integral_constantIbLb1EESW_IbLb0EEEEDaSS_ST_EUlSS_E_NS1_11comp_targetILNS1_3genE10ELNS1_11target_archE1201ELNS1_3gpuE5ELNS1_3repE0EEENS1_30default_config_static_selectorELNS0_4arch9wavefront6targetE1EEEvT1_.kd
    .uniform_work_group_size: 1
    .uses_dynamic_stack: false
    .vgpr_count:     0
    .vgpr_spill_count: 0
    .wavefront_size: 64
  - .agpr_count:     0
    .args:
      - .offset:         0
        .size:           104
        .value_kind:     by_value
    .group_segment_fixed_size: 0
    .kernarg_segment_align: 8
    .kernarg_segment_size: 104
    .language:       OpenCL C
    .language_version:
      - 2
      - 0
    .max_flat_workgroup_size: 256
    .name:           _ZN7rocprim17ROCPRIM_400000_NS6detail17trampoline_kernelINS0_14default_configENS1_20scan_config_selectorItEEZZNS1_9scan_implILNS1_25lookback_scan_determinismE0ELb0ELb0ES3_N6thrust23THRUST_200600_302600_NS6detail15normal_iteratorINS9_10device_ptrItEEEENS9_16discard_iteratorINS9_11use_defaultEEEt11max_functorItEtEEDaPvRmT3_T4_T5_mT6_P12ihipStream_tbENKUlT_T0_E_clISt17integral_constantIbLb1EESW_IbLb0EEEEDaSS_ST_EUlSS_E_NS1_11comp_targetILNS1_3genE10ELNS1_11target_archE1200ELNS1_3gpuE4ELNS1_3repE0EEENS1_30default_config_static_selectorELNS0_4arch9wavefront6targetE1EEEvT1_
    .private_segment_fixed_size: 0
    .sgpr_count:     4
    .sgpr_spill_count: 0
    .symbol:         _ZN7rocprim17ROCPRIM_400000_NS6detail17trampoline_kernelINS0_14default_configENS1_20scan_config_selectorItEEZZNS1_9scan_implILNS1_25lookback_scan_determinismE0ELb0ELb0ES3_N6thrust23THRUST_200600_302600_NS6detail15normal_iteratorINS9_10device_ptrItEEEENS9_16discard_iteratorINS9_11use_defaultEEEt11max_functorItEtEEDaPvRmT3_T4_T5_mT6_P12ihipStream_tbENKUlT_T0_E_clISt17integral_constantIbLb1EESW_IbLb0EEEEDaSS_ST_EUlSS_E_NS1_11comp_targetILNS1_3genE10ELNS1_11target_archE1200ELNS1_3gpuE4ELNS1_3repE0EEENS1_30default_config_static_selectorELNS0_4arch9wavefront6targetE1EEEvT1_.kd
    .uniform_work_group_size: 1
    .uses_dynamic_stack: false
    .vgpr_count:     0
    .vgpr_spill_count: 0
    .wavefront_size: 64
  - .agpr_count:     0
    .args:
      - .offset:         0
        .size:           104
        .value_kind:     by_value
    .group_segment_fixed_size: 0
    .kernarg_segment_align: 8
    .kernarg_segment_size: 104
    .language:       OpenCL C
    .language_version:
      - 2
      - 0
    .max_flat_workgroup_size: 64
    .name:           _ZN7rocprim17ROCPRIM_400000_NS6detail17trampoline_kernelINS0_14default_configENS1_20scan_config_selectorItEEZZNS1_9scan_implILNS1_25lookback_scan_determinismE0ELb0ELb0ES3_N6thrust23THRUST_200600_302600_NS6detail15normal_iteratorINS9_10device_ptrItEEEENS9_16discard_iteratorINS9_11use_defaultEEEt11max_functorItEtEEDaPvRmT3_T4_T5_mT6_P12ihipStream_tbENKUlT_T0_E_clISt17integral_constantIbLb1EESW_IbLb0EEEEDaSS_ST_EUlSS_E_NS1_11comp_targetILNS1_3genE9ELNS1_11target_archE1100ELNS1_3gpuE3ELNS1_3repE0EEENS1_30default_config_static_selectorELNS0_4arch9wavefront6targetE1EEEvT1_
    .private_segment_fixed_size: 0
    .sgpr_count:     4
    .sgpr_spill_count: 0
    .symbol:         _ZN7rocprim17ROCPRIM_400000_NS6detail17trampoline_kernelINS0_14default_configENS1_20scan_config_selectorItEEZZNS1_9scan_implILNS1_25lookback_scan_determinismE0ELb0ELb0ES3_N6thrust23THRUST_200600_302600_NS6detail15normal_iteratorINS9_10device_ptrItEEEENS9_16discard_iteratorINS9_11use_defaultEEEt11max_functorItEtEEDaPvRmT3_T4_T5_mT6_P12ihipStream_tbENKUlT_T0_E_clISt17integral_constantIbLb1EESW_IbLb0EEEEDaSS_ST_EUlSS_E_NS1_11comp_targetILNS1_3genE9ELNS1_11target_archE1100ELNS1_3gpuE3ELNS1_3repE0EEENS1_30default_config_static_selectorELNS0_4arch9wavefront6targetE1EEEvT1_.kd
    .uniform_work_group_size: 1
    .uses_dynamic_stack: false
    .vgpr_count:     0
    .vgpr_spill_count: 0
    .wavefront_size: 64
  - .agpr_count:     0
    .args:
      - .offset:         0
        .size:           104
        .value_kind:     by_value
    .group_segment_fixed_size: 0
    .kernarg_segment_align: 8
    .kernarg_segment_size: 104
    .language:       OpenCL C
    .language_version:
      - 2
      - 0
    .max_flat_workgroup_size: 64
    .name:           _ZN7rocprim17ROCPRIM_400000_NS6detail17trampoline_kernelINS0_14default_configENS1_20scan_config_selectorItEEZZNS1_9scan_implILNS1_25lookback_scan_determinismE0ELb0ELb0ES3_N6thrust23THRUST_200600_302600_NS6detail15normal_iteratorINS9_10device_ptrItEEEENS9_16discard_iteratorINS9_11use_defaultEEEt11max_functorItEtEEDaPvRmT3_T4_T5_mT6_P12ihipStream_tbENKUlT_T0_E_clISt17integral_constantIbLb1EESW_IbLb0EEEEDaSS_ST_EUlSS_E_NS1_11comp_targetILNS1_3genE8ELNS1_11target_archE1030ELNS1_3gpuE2ELNS1_3repE0EEENS1_30default_config_static_selectorELNS0_4arch9wavefront6targetE1EEEvT1_
    .private_segment_fixed_size: 0
    .sgpr_count:     4
    .sgpr_spill_count: 0
    .symbol:         _ZN7rocprim17ROCPRIM_400000_NS6detail17trampoline_kernelINS0_14default_configENS1_20scan_config_selectorItEEZZNS1_9scan_implILNS1_25lookback_scan_determinismE0ELb0ELb0ES3_N6thrust23THRUST_200600_302600_NS6detail15normal_iteratorINS9_10device_ptrItEEEENS9_16discard_iteratorINS9_11use_defaultEEEt11max_functorItEtEEDaPvRmT3_T4_T5_mT6_P12ihipStream_tbENKUlT_T0_E_clISt17integral_constantIbLb1EESW_IbLb0EEEEDaSS_ST_EUlSS_E_NS1_11comp_targetILNS1_3genE8ELNS1_11target_archE1030ELNS1_3gpuE2ELNS1_3repE0EEENS1_30default_config_static_selectorELNS0_4arch9wavefront6targetE1EEEvT1_.kd
    .uniform_work_group_size: 1
    .uses_dynamic_stack: false
    .vgpr_count:     0
    .vgpr_spill_count: 0
    .wavefront_size: 64
  - .agpr_count:     0
    .args:
      - .offset:         0
        .size:           40
        .value_kind:     by_value
    .group_segment_fixed_size: 0
    .kernarg_segment_align: 8
    .kernarg_segment_size: 40
    .language:       OpenCL C
    .language_version:
      - 2
      - 0
    .max_flat_workgroup_size: 128
    .name:           _ZN7rocprim17ROCPRIM_400000_NS6detail17trampoline_kernelINS0_14default_configENS1_20scan_config_selectorItEEZZNS1_9scan_implILNS1_25lookback_scan_determinismE0ELb0ELb0ES3_N6thrust23THRUST_200600_302600_NS6detail15normal_iteratorINS9_10device_ptrItEEEENS9_16discard_iteratorINS9_11use_defaultEEEt11max_functorItEtEEDaPvRmT3_T4_T5_mT6_P12ihipStream_tbENKUlT_T0_E_clISt17integral_constantIbLb1EESW_IbLb0EEEEDaSS_ST_EUlSS_E0_NS1_11comp_targetILNS1_3genE0ELNS1_11target_archE4294967295ELNS1_3gpuE0ELNS1_3repE0EEENS1_30default_config_static_selectorELNS0_4arch9wavefront6targetE1EEEvT1_
    .private_segment_fixed_size: 0
    .sgpr_count:     4
    .sgpr_spill_count: 0
    .symbol:         _ZN7rocprim17ROCPRIM_400000_NS6detail17trampoline_kernelINS0_14default_configENS1_20scan_config_selectorItEEZZNS1_9scan_implILNS1_25lookback_scan_determinismE0ELb0ELb0ES3_N6thrust23THRUST_200600_302600_NS6detail15normal_iteratorINS9_10device_ptrItEEEENS9_16discard_iteratorINS9_11use_defaultEEEt11max_functorItEtEEDaPvRmT3_T4_T5_mT6_P12ihipStream_tbENKUlT_T0_E_clISt17integral_constantIbLb1EESW_IbLb0EEEEDaSS_ST_EUlSS_E0_NS1_11comp_targetILNS1_3genE0ELNS1_11target_archE4294967295ELNS1_3gpuE0ELNS1_3repE0EEENS1_30default_config_static_selectorELNS0_4arch9wavefront6targetE1EEEvT1_.kd
    .uniform_work_group_size: 1
    .uses_dynamic_stack: false
    .vgpr_count:     0
    .vgpr_spill_count: 0
    .wavefront_size: 64
  - .agpr_count:     0
    .args:
      - .offset:         0
        .size:           40
        .value_kind:     by_value
    .group_segment_fixed_size: 0
    .kernarg_segment_align: 8
    .kernarg_segment_size: 40
    .language:       OpenCL C
    .language_version:
      - 2
      - 0
    .max_flat_workgroup_size: 256
    .name:           _ZN7rocprim17ROCPRIM_400000_NS6detail17trampoline_kernelINS0_14default_configENS1_20scan_config_selectorItEEZZNS1_9scan_implILNS1_25lookback_scan_determinismE0ELb0ELb0ES3_N6thrust23THRUST_200600_302600_NS6detail15normal_iteratorINS9_10device_ptrItEEEENS9_16discard_iteratorINS9_11use_defaultEEEt11max_functorItEtEEDaPvRmT3_T4_T5_mT6_P12ihipStream_tbENKUlT_T0_E_clISt17integral_constantIbLb1EESW_IbLb0EEEEDaSS_ST_EUlSS_E0_NS1_11comp_targetILNS1_3genE5ELNS1_11target_archE942ELNS1_3gpuE9ELNS1_3repE0EEENS1_30default_config_static_selectorELNS0_4arch9wavefront6targetE1EEEvT1_
    .private_segment_fixed_size: 0
    .sgpr_count:     4
    .sgpr_spill_count: 0
    .symbol:         _ZN7rocprim17ROCPRIM_400000_NS6detail17trampoline_kernelINS0_14default_configENS1_20scan_config_selectorItEEZZNS1_9scan_implILNS1_25lookback_scan_determinismE0ELb0ELb0ES3_N6thrust23THRUST_200600_302600_NS6detail15normal_iteratorINS9_10device_ptrItEEEENS9_16discard_iteratorINS9_11use_defaultEEEt11max_functorItEtEEDaPvRmT3_T4_T5_mT6_P12ihipStream_tbENKUlT_T0_E_clISt17integral_constantIbLb1EESW_IbLb0EEEEDaSS_ST_EUlSS_E0_NS1_11comp_targetILNS1_3genE5ELNS1_11target_archE942ELNS1_3gpuE9ELNS1_3repE0EEENS1_30default_config_static_selectorELNS0_4arch9wavefront6targetE1EEEvT1_.kd
    .uniform_work_group_size: 1
    .uses_dynamic_stack: false
    .vgpr_count:     0
    .vgpr_spill_count: 0
    .wavefront_size: 64
  - .agpr_count:     0
    .args:
      - .offset:         0
        .size:           40
        .value_kind:     by_value
    .group_segment_fixed_size: 3072
    .kernarg_segment_align: 8
    .kernarg_segment_size: 40
    .language:       OpenCL C
    .language_version:
      - 2
      - 0
    .max_flat_workgroup_size: 64
    .name:           _ZN7rocprim17ROCPRIM_400000_NS6detail17trampoline_kernelINS0_14default_configENS1_20scan_config_selectorItEEZZNS1_9scan_implILNS1_25lookback_scan_determinismE0ELb0ELb0ES3_N6thrust23THRUST_200600_302600_NS6detail15normal_iteratorINS9_10device_ptrItEEEENS9_16discard_iteratorINS9_11use_defaultEEEt11max_functorItEtEEDaPvRmT3_T4_T5_mT6_P12ihipStream_tbENKUlT_T0_E_clISt17integral_constantIbLb1EESW_IbLb0EEEEDaSS_ST_EUlSS_E0_NS1_11comp_targetILNS1_3genE4ELNS1_11target_archE910ELNS1_3gpuE8ELNS1_3repE0EEENS1_30default_config_static_selectorELNS0_4arch9wavefront6targetE1EEEvT1_
    .private_segment_fixed_size: 0
    .sgpr_count:     10
    .sgpr_spill_count: 0
    .symbol:         _ZN7rocprim17ROCPRIM_400000_NS6detail17trampoline_kernelINS0_14default_configENS1_20scan_config_selectorItEEZZNS1_9scan_implILNS1_25lookback_scan_determinismE0ELb0ELb0ES3_N6thrust23THRUST_200600_302600_NS6detail15normal_iteratorINS9_10device_ptrItEEEENS9_16discard_iteratorINS9_11use_defaultEEEt11max_functorItEtEEDaPvRmT3_T4_T5_mT6_P12ihipStream_tbENKUlT_T0_E_clISt17integral_constantIbLb1EESW_IbLb0EEEEDaSS_ST_EUlSS_E0_NS1_11comp_targetILNS1_3genE4ELNS1_11target_archE910ELNS1_3gpuE8ELNS1_3repE0EEENS1_30default_config_static_selectorELNS0_4arch9wavefront6targetE1EEEvT1_.kd
    .uniform_work_group_size: 1
    .uses_dynamic_stack: false
    .vgpr_count:     41
    .vgpr_spill_count: 0
    .wavefront_size: 64
  - .agpr_count:     0
    .args:
      - .offset:         0
        .size:           40
        .value_kind:     by_value
    .group_segment_fixed_size: 0
    .kernarg_segment_align: 8
    .kernarg_segment_size: 40
    .language:       OpenCL C
    .language_version:
      - 2
      - 0
    .max_flat_workgroup_size: 128
    .name:           _ZN7rocprim17ROCPRIM_400000_NS6detail17trampoline_kernelINS0_14default_configENS1_20scan_config_selectorItEEZZNS1_9scan_implILNS1_25lookback_scan_determinismE0ELb0ELb0ES3_N6thrust23THRUST_200600_302600_NS6detail15normal_iteratorINS9_10device_ptrItEEEENS9_16discard_iteratorINS9_11use_defaultEEEt11max_functorItEtEEDaPvRmT3_T4_T5_mT6_P12ihipStream_tbENKUlT_T0_E_clISt17integral_constantIbLb1EESW_IbLb0EEEEDaSS_ST_EUlSS_E0_NS1_11comp_targetILNS1_3genE3ELNS1_11target_archE908ELNS1_3gpuE7ELNS1_3repE0EEENS1_30default_config_static_selectorELNS0_4arch9wavefront6targetE1EEEvT1_
    .private_segment_fixed_size: 0
    .sgpr_count:     4
    .sgpr_spill_count: 0
    .symbol:         _ZN7rocprim17ROCPRIM_400000_NS6detail17trampoline_kernelINS0_14default_configENS1_20scan_config_selectorItEEZZNS1_9scan_implILNS1_25lookback_scan_determinismE0ELb0ELb0ES3_N6thrust23THRUST_200600_302600_NS6detail15normal_iteratorINS9_10device_ptrItEEEENS9_16discard_iteratorINS9_11use_defaultEEEt11max_functorItEtEEDaPvRmT3_T4_T5_mT6_P12ihipStream_tbENKUlT_T0_E_clISt17integral_constantIbLb1EESW_IbLb0EEEEDaSS_ST_EUlSS_E0_NS1_11comp_targetILNS1_3genE3ELNS1_11target_archE908ELNS1_3gpuE7ELNS1_3repE0EEENS1_30default_config_static_selectorELNS0_4arch9wavefront6targetE1EEEvT1_.kd
    .uniform_work_group_size: 1
    .uses_dynamic_stack: false
    .vgpr_count:     0
    .vgpr_spill_count: 0
    .wavefront_size: 64
  - .agpr_count:     0
    .args:
      - .offset:         0
        .size:           40
        .value_kind:     by_value
    .group_segment_fixed_size: 0
    .kernarg_segment_align: 8
    .kernarg_segment_size: 40
    .language:       OpenCL C
    .language_version:
      - 2
      - 0
    .max_flat_workgroup_size: 256
    .name:           _ZN7rocprim17ROCPRIM_400000_NS6detail17trampoline_kernelINS0_14default_configENS1_20scan_config_selectorItEEZZNS1_9scan_implILNS1_25lookback_scan_determinismE0ELb0ELb0ES3_N6thrust23THRUST_200600_302600_NS6detail15normal_iteratorINS9_10device_ptrItEEEENS9_16discard_iteratorINS9_11use_defaultEEEt11max_functorItEtEEDaPvRmT3_T4_T5_mT6_P12ihipStream_tbENKUlT_T0_E_clISt17integral_constantIbLb1EESW_IbLb0EEEEDaSS_ST_EUlSS_E0_NS1_11comp_targetILNS1_3genE2ELNS1_11target_archE906ELNS1_3gpuE6ELNS1_3repE0EEENS1_30default_config_static_selectorELNS0_4arch9wavefront6targetE1EEEvT1_
    .private_segment_fixed_size: 0
    .sgpr_count:     4
    .sgpr_spill_count: 0
    .symbol:         _ZN7rocprim17ROCPRIM_400000_NS6detail17trampoline_kernelINS0_14default_configENS1_20scan_config_selectorItEEZZNS1_9scan_implILNS1_25lookback_scan_determinismE0ELb0ELb0ES3_N6thrust23THRUST_200600_302600_NS6detail15normal_iteratorINS9_10device_ptrItEEEENS9_16discard_iteratorINS9_11use_defaultEEEt11max_functorItEtEEDaPvRmT3_T4_T5_mT6_P12ihipStream_tbENKUlT_T0_E_clISt17integral_constantIbLb1EESW_IbLb0EEEEDaSS_ST_EUlSS_E0_NS1_11comp_targetILNS1_3genE2ELNS1_11target_archE906ELNS1_3gpuE6ELNS1_3repE0EEENS1_30default_config_static_selectorELNS0_4arch9wavefront6targetE1EEEvT1_.kd
    .uniform_work_group_size: 1
    .uses_dynamic_stack: false
    .vgpr_count:     0
    .vgpr_spill_count: 0
    .wavefront_size: 64
  - .agpr_count:     0
    .args:
      - .offset:         0
        .size:           40
        .value_kind:     by_value
    .group_segment_fixed_size: 0
    .kernarg_segment_align: 8
    .kernarg_segment_size: 40
    .language:       OpenCL C
    .language_version:
      - 2
      - 0
    .max_flat_workgroup_size: 256
    .name:           _ZN7rocprim17ROCPRIM_400000_NS6detail17trampoline_kernelINS0_14default_configENS1_20scan_config_selectorItEEZZNS1_9scan_implILNS1_25lookback_scan_determinismE0ELb0ELb0ES3_N6thrust23THRUST_200600_302600_NS6detail15normal_iteratorINS9_10device_ptrItEEEENS9_16discard_iteratorINS9_11use_defaultEEEt11max_functorItEtEEDaPvRmT3_T4_T5_mT6_P12ihipStream_tbENKUlT_T0_E_clISt17integral_constantIbLb1EESW_IbLb0EEEEDaSS_ST_EUlSS_E0_NS1_11comp_targetILNS1_3genE10ELNS1_11target_archE1201ELNS1_3gpuE5ELNS1_3repE0EEENS1_30default_config_static_selectorELNS0_4arch9wavefront6targetE1EEEvT1_
    .private_segment_fixed_size: 0
    .sgpr_count:     4
    .sgpr_spill_count: 0
    .symbol:         _ZN7rocprim17ROCPRIM_400000_NS6detail17trampoline_kernelINS0_14default_configENS1_20scan_config_selectorItEEZZNS1_9scan_implILNS1_25lookback_scan_determinismE0ELb0ELb0ES3_N6thrust23THRUST_200600_302600_NS6detail15normal_iteratorINS9_10device_ptrItEEEENS9_16discard_iteratorINS9_11use_defaultEEEt11max_functorItEtEEDaPvRmT3_T4_T5_mT6_P12ihipStream_tbENKUlT_T0_E_clISt17integral_constantIbLb1EESW_IbLb0EEEEDaSS_ST_EUlSS_E0_NS1_11comp_targetILNS1_3genE10ELNS1_11target_archE1201ELNS1_3gpuE5ELNS1_3repE0EEENS1_30default_config_static_selectorELNS0_4arch9wavefront6targetE1EEEvT1_.kd
    .uniform_work_group_size: 1
    .uses_dynamic_stack: false
    .vgpr_count:     0
    .vgpr_spill_count: 0
    .wavefront_size: 64
  - .agpr_count:     0
    .args:
      - .offset:         0
        .size:           40
        .value_kind:     by_value
    .group_segment_fixed_size: 0
    .kernarg_segment_align: 8
    .kernarg_segment_size: 40
    .language:       OpenCL C
    .language_version:
      - 2
      - 0
    .max_flat_workgroup_size: 256
    .name:           _ZN7rocprim17ROCPRIM_400000_NS6detail17trampoline_kernelINS0_14default_configENS1_20scan_config_selectorItEEZZNS1_9scan_implILNS1_25lookback_scan_determinismE0ELb0ELb0ES3_N6thrust23THRUST_200600_302600_NS6detail15normal_iteratorINS9_10device_ptrItEEEENS9_16discard_iteratorINS9_11use_defaultEEEt11max_functorItEtEEDaPvRmT3_T4_T5_mT6_P12ihipStream_tbENKUlT_T0_E_clISt17integral_constantIbLb1EESW_IbLb0EEEEDaSS_ST_EUlSS_E0_NS1_11comp_targetILNS1_3genE10ELNS1_11target_archE1200ELNS1_3gpuE4ELNS1_3repE0EEENS1_30default_config_static_selectorELNS0_4arch9wavefront6targetE1EEEvT1_
    .private_segment_fixed_size: 0
    .sgpr_count:     4
    .sgpr_spill_count: 0
    .symbol:         _ZN7rocprim17ROCPRIM_400000_NS6detail17trampoline_kernelINS0_14default_configENS1_20scan_config_selectorItEEZZNS1_9scan_implILNS1_25lookback_scan_determinismE0ELb0ELb0ES3_N6thrust23THRUST_200600_302600_NS6detail15normal_iteratorINS9_10device_ptrItEEEENS9_16discard_iteratorINS9_11use_defaultEEEt11max_functorItEtEEDaPvRmT3_T4_T5_mT6_P12ihipStream_tbENKUlT_T0_E_clISt17integral_constantIbLb1EESW_IbLb0EEEEDaSS_ST_EUlSS_E0_NS1_11comp_targetILNS1_3genE10ELNS1_11target_archE1200ELNS1_3gpuE4ELNS1_3repE0EEENS1_30default_config_static_selectorELNS0_4arch9wavefront6targetE1EEEvT1_.kd
    .uniform_work_group_size: 1
    .uses_dynamic_stack: false
    .vgpr_count:     0
    .vgpr_spill_count: 0
    .wavefront_size: 64
  - .agpr_count:     0
    .args:
      - .offset:         0
        .size:           40
        .value_kind:     by_value
    .group_segment_fixed_size: 0
    .kernarg_segment_align: 8
    .kernarg_segment_size: 40
    .language:       OpenCL C
    .language_version:
      - 2
      - 0
    .max_flat_workgroup_size: 64
    .name:           _ZN7rocprim17ROCPRIM_400000_NS6detail17trampoline_kernelINS0_14default_configENS1_20scan_config_selectorItEEZZNS1_9scan_implILNS1_25lookback_scan_determinismE0ELb0ELb0ES3_N6thrust23THRUST_200600_302600_NS6detail15normal_iteratorINS9_10device_ptrItEEEENS9_16discard_iteratorINS9_11use_defaultEEEt11max_functorItEtEEDaPvRmT3_T4_T5_mT6_P12ihipStream_tbENKUlT_T0_E_clISt17integral_constantIbLb1EESW_IbLb0EEEEDaSS_ST_EUlSS_E0_NS1_11comp_targetILNS1_3genE9ELNS1_11target_archE1100ELNS1_3gpuE3ELNS1_3repE0EEENS1_30default_config_static_selectorELNS0_4arch9wavefront6targetE1EEEvT1_
    .private_segment_fixed_size: 0
    .sgpr_count:     4
    .sgpr_spill_count: 0
    .symbol:         _ZN7rocprim17ROCPRIM_400000_NS6detail17trampoline_kernelINS0_14default_configENS1_20scan_config_selectorItEEZZNS1_9scan_implILNS1_25lookback_scan_determinismE0ELb0ELb0ES3_N6thrust23THRUST_200600_302600_NS6detail15normal_iteratorINS9_10device_ptrItEEEENS9_16discard_iteratorINS9_11use_defaultEEEt11max_functorItEtEEDaPvRmT3_T4_T5_mT6_P12ihipStream_tbENKUlT_T0_E_clISt17integral_constantIbLb1EESW_IbLb0EEEEDaSS_ST_EUlSS_E0_NS1_11comp_targetILNS1_3genE9ELNS1_11target_archE1100ELNS1_3gpuE3ELNS1_3repE0EEENS1_30default_config_static_selectorELNS0_4arch9wavefront6targetE1EEEvT1_.kd
    .uniform_work_group_size: 1
    .uses_dynamic_stack: false
    .vgpr_count:     0
    .vgpr_spill_count: 0
    .wavefront_size: 64
  - .agpr_count:     0
    .args:
      - .offset:         0
        .size:           40
        .value_kind:     by_value
    .group_segment_fixed_size: 0
    .kernarg_segment_align: 8
    .kernarg_segment_size: 40
    .language:       OpenCL C
    .language_version:
      - 2
      - 0
    .max_flat_workgroup_size: 64
    .name:           _ZN7rocprim17ROCPRIM_400000_NS6detail17trampoline_kernelINS0_14default_configENS1_20scan_config_selectorItEEZZNS1_9scan_implILNS1_25lookback_scan_determinismE0ELb0ELb0ES3_N6thrust23THRUST_200600_302600_NS6detail15normal_iteratorINS9_10device_ptrItEEEENS9_16discard_iteratorINS9_11use_defaultEEEt11max_functorItEtEEDaPvRmT3_T4_T5_mT6_P12ihipStream_tbENKUlT_T0_E_clISt17integral_constantIbLb1EESW_IbLb0EEEEDaSS_ST_EUlSS_E0_NS1_11comp_targetILNS1_3genE8ELNS1_11target_archE1030ELNS1_3gpuE2ELNS1_3repE0EEENS1_30default_config_static_selectorELNS0_4arch9wavefront6targetE1EEEvT1_
    .private_segment_fixed_size: 0
    .sgpr_count:     4
    .sgpr_spill_count: 0
    .symbol:         _ZN7rocprim17ROCPRIM_400000_NS6detail17trampoline_kernelINS0_14default_configENS1_20scan_config_selectorItEEZZNS1_9scan_implILNS1_25lookback_scan_determinismE0ELb0ELb0ES3_N6thrust23THRUST_200600_302600_NS6detail15normal_iteratorINS9_10device_ptrItEEEENS9_16discard_iteratorINS9_11use_defaultEEEt11max_functorItEtEEDaPvRmT3_T4_T5_mT6_P12ihipStream_tbENKUlT_T0_E_clISt17integral_constantIbLb1EESW_IbLb0EEEEDaSS_ST_EUlSS_E0_NS1_11comp_targetILNS1_3genE8ELNS1_11target_archE1030ELNS1_3gpuE2ELNS1_3repE0EEENS1_30default_config_static_selectorELNS0_4arch9wavefront6targetE1EEEvT1_.kd
    .uniform_work_group_size: 1
    .uses_dynamic_stack: false
    .vgpr_count:     0
    .vgpr_spill_count: 0
    .wavefront_size: 64
  - .agpr_count:     0
    .args:
      - .offset:         0
        .size:           104
        .value_kind:     by_value
    .group_segment_fixed_size: 0
    .kernarg_segment_align: 8
    .kernarg_segment_size: 104
    .language:       OpenCL C
    .language_version:
      - 2
      - 0
    .max_flat_workgroup_size: 128
    .name:           _ZN7rocprim17ROCPRIM_400000_NS6detail17trampoline_kernelINS0_14default_configENS1_20scan_config_selectorItEEZZNS1_9scan_implILNS1_25lookback_scan_determinismE0ELb0ELb0ES3_N6thrust23THRUST_200600_302600_NS6detail15normal_iteratorINS9_10device_ptrItEEEENS9_16discard_iteratorINS9_11use_defaultEEEt11max_functorItEtEEDaPvRmT3_T4_T5_mT6_P12ihipStream_tbENKUlT_T0_E_clISt17integral_constantIbLb0EESW_IbLb1EEEEDaSS_ST_EUlSS_E_NS1_11comp_targetILNS1_3genE0ELNS1_11target_archE4294967295ELNS1_3gpuE0ELNS1_3repE0EEENS1_30default_config_static_selectorELNS0_4arch9wavefront6targetE1EEEvT1_
    .private_segment_fixed_size: 0
    .sgpr_count:     4
    .sgpr_spill_count: 0
    .symbol:         _ZN7rocprim17ROCPRIM_400000_NS6detail17trampoline_kernelINS0_14default_configENS1_20scan_config_selectorItEEZZNS1_9scan_implILNS1_25lookback_scan_determinismE0ELb0ELb0ES3_N6thrust23THRUST_200600_302600_NS6detail15normal_iteratorINS9_10device_ptrItEEEENS9_16discard_iteratorINS9_11use_defaultEEEt11max_functorItEtEEDaPvRmT3_T4_T5_mT6_P12ihipStream_tbENKUlT_T0_E_clISt17integral_constantIbLb0EESW_IbLb1EEEEDaSS_ST_EUlSS_E_NS1_11comp_targetILNS1_3genE0ELNS1_11target_archE4294967295ELNS1_3gpuE0ELNS1_3repE0EEENS1_30default_config_static_selectorELNS0_4arch9wavefront6targetE1EEEvT1_.kd
    .uniform_work_group_size: 1
    .uses_dynamic_stack: false
    .vgpr_count:     0
    .vgpr_spill_count: 0
    .wavefront_size: 64
  - .agpr_count:     0
    .args:
      - .offset:         0
        .size:           104
        .value_kind:     by_value
    .group_segment_fixed_size: 0
    .kernarg_segment_align: 8
    .kernarg_segment_size: 104
    .language:       OpenCL C
    .language_version:
      - 2
      - 0
    .max_flat_workgroup_size: 256
    .name:           _ZN7rocprim17ROCPRIM_400000_NS6detail17trampoline_kernelINS0_14default_configENS1_20scan_config_selectorItEEZZNS1_9scan_implILNS1_25lookback_scan_determinismE0ELb0ELb0ES3_N6thrust23THRUST_200600_302600_NS6detail15normal_iteratorINS9_10device_ptrItEEEENS9_16discard_iteratorINS9_11use_defaultEEEt11max_functorItEtEEDaPvRmT3_T4_T5_mT6_P12ihipStream_tbENKUlT_T0_E_clISt17integral_constantIbLb0EESW_IbLb1EEEEDaSS_ST_EUlSS_E_NS1_11comp_targetILNS1_3genE5ELNS1_11target_archE942ELNS1_3gpuE9ELNS1_3repE0EEENS1_30default_config_static_selectorELNS0_4arch9wavefront6targetE1EEEvT1_
    .private_segment_fixed_size: 0
    .sgpr_count:     4
    .sgpr_spill_count: 0
    .symbol:         _ZN7rocprim17ROCPRIM_400000_NS6detail17trampoline_kernelINS0_14default_configENS1_20scan_config_selectorItEEZZNS1_9scan_implILNS1_25lookback_scan_determinismE0ELb0ELb0ES3_N6thrust23THRUST_200600_302600_NS6detail15normal_iteratorINS9_10device_ptrItEEEENS9_16discard_iteratorINS9_11use_defaultEEEt11max_functorItEtEEDaPvRmT3_T4_T5_mT6_P12ihipStream_tbENKUlT_T0_E_clISt17integral_constantIbLb0EESW_IbLb1EEEEDaSS_ST_EUlSS_E_NS1_11comp_targetILNS1_3genE5ELNS1_11target_archE942ELNS1_3gpuE9ELNS1_3repE0EEENS1_30default_config_static_selectorELNS0_4arch9wavefront6targetE1EEEvT1_.kd
    .uniform_work_group_size: 1
    .uses_dynamic_stack: false
    .vgpr_count:     0
    .vgpr_spill_count: 0
    .wavefront_size: 64
  - .agpr_count:     0
    .args:
      - .offset:         0
        .size:           104
        .value_kind:     by_value
    .group_segment_fixed_size: 3072
    .kernarg_segment_align: 8
    .kernarg_segment_size: 104
    .language:       OpenCL C
    .language_version:
      - 2
      - 0
    .max_flat_workgroup_size: 64
    .name:           _ZN7rocprim17ROCPRIM_400000_NS6detail17trampoline_kernelINS0_14default_configENS1_20scan_config_selectorItEEZZNS1_9scan_implILNS1_25lookback_scan_determinismE0ELb0ELb0ES3_N6thrust23THRUST_200600_302600_NS6detail15normal_iteratorINS9_10device_ptrItEEEENS9_16discard_iteratorINS9_11use_defaultEEEt11max_functorItEtEEDaPvRmT3_T4_T5_mT6_P12ihipStream_tbENKUlT_T0_E_clISt17integral_constantIbLb0EESW_IbLb1EEEEDaSS_ST_EUlSS_E_NS1_11comp_targetILNS1_3genE4ELNS1_11target_archE910ELNS1_3gpuE8ELNS1_3repE0EEENS1_30default_config_static_selectorELNS0_4arch9wavefront6targetE1EEEvT1_
    .private_segment_fixed_size: 0
    .sgpr_count:     35
    .sgpr_spill_count: 0
    .symbol:         _ZN7rocprim17ROCPRIM_400000_NS6detail17trampoline_kernelINS0_14default_configENS1_20scan_config_selectorItEEZZNS1_9scan_implILNS1_25lookback_scan_determinismE0ELb0ELb0ES3_N6thrust23THRUST_200600_302600_NS6detail15normal_iteratorINS9_10device_ptrItEEEENS9_16discard_iteratorINS9_11use_defaultEEEt11max_functorItEtEEDaPvRmT3_T4_T5_mT6_P12ihipStream_tbENKUlT_T0_E_clISt17integral_constantIbLb0EESW_IbLb1EEEEDaSS_ST_EUlSS_E_NS1_11comp_targetILNS1_3genE4ELNS1_11target_archE910ELNS1_3gpuE8ELNS1_3repE0EEENS1_30default_config_static_selectorELNS0_4arch9wavefront6targetE1EEEvT1_.kd
    .uniform_work_group_size: 1
    .uses_dynamic_stack: false
    .vgpr_count:     56
    .vgpr_spill_count: 0
    .wavefront_size: 64
  - .agpr_count:     0
    .args:
      - .offset:         0
        .size:           104
        .value_kind:     by_value
    .group_segment_fixed_size: 0
    .kernarg_segment_align: 8
    .kernarg_segment_size: 104
    .language:       OpenCL C
    .language_version:
      - 2
      - 0
    .max_flat_workgroup_size: 128
    .name:           _ZN7rocprim17ROCPRIM_400000_NS6detail17trampoline_kernelINS0_14default_configENS1_20scan_config_selectorItEEZZNS1_9scan_implILNS1_25lookback_scan_determinismE0ELb0ELb0ES3_N6thrust23THRUST_200600_302600_NS6detail15normal_iteratorINS9_10device_ptrItEEEENS9_16discard_iteratorINS9_11use_defaultEEEt11max_functorItEtEEDaPvRmT3_T4_T5_mT6_P12ihipStream_tbENKUlT_T0_E_clISt17integral_constantIbLb0EESW_IbLb1EEEEDaSS_ST_EUlSS_E_NS1_11comp_targetILNS1_3genE3ELNS1_11target_archE908ELNS1_3gpuE7ELNS1_3repE0EEENS1_30default_config_static_selectorELNS0_4arch9wavefront6targetE1EEEvT1_
    .private_segment_fixed_size: 0
    .sgpr_count:     4
    .sgpr_spill_count: 0
    .symbol:         _ZN7rocprim17ROCPRIM_400000_NS6detail17trampoline_kernelINS0_14default_configENS1_20scan_config_selectorItEEZZNS1_9scan_implILNS1_25lookback_scan_determinismE0ELb0ELb0ES3_N6thrust23THRUST_200600_302600_NS6detail15normal_iteratorINS9_10device_ptrItEEEENS9_16discard_iteratorINS9_11use_defaultEEEt11max_functorItEtEEDaPvRmT3_T4_T5_mT6_P12ihipStream_tbENKUlT_T0_E_clISt17integral_constantIbLb0EESW_IbLb1EEEEDaSS_ST_EUlSS_E_NS1_11comp_targetILNS1_3genE3ELNS1_11target_archE908ELNS1_3gpuE7ELNS1_3repE0EEENS1_30default_config_static_selectorELNS0_4arch9wavefront6targetE1EEEvT1_.kd
    .uniform_work_group_size: 1
    .uses_dynamic_stack: false
    .vgpr_count:     0
    .vgpr_spill_count: 0
    .wavefront_size: 64
  - .agpr_count:     0
    .args:
      - .offset:         0
        .size:           104
        .value_kind:     by_value
    .group_segment_fixed_size: 0
    .kernarg_segment_align: 8
    .kernarg_segment_size: 104
    .language:       OpenCL C
    .language_version:
      - 2
      - 0
    .max_flat_workgroup_size: 256
    .name:           _ZN7rocprim17ROCPRIM_400000_NS6detail17trampoline_kernelINS0_14default_configENS1_20scan_config_selectorItEEZZNS1_9scan_implILNS1_25lookback_scan_determinismE0ELb0ELb0ES3_N6thrust23THRUST_200600_302600_NS6detail15normal_iteratorINS9_10device_ptrItEEEENS9_16discard_iteratorINS9_11use_defaultEEEt11max_functorItEtEEDaPvRmT3_T4_T5_mT6_P12ihipStream_tbENKUlT_T0_E_clISt17integral_constantIbLb0EESW_IbLb1EEEEDaSS_ST_EUlSS_E_NS1_11comp_targetILNS1_3genE2ELNS1_11target_archE906ELNS1_3gpuE6ELNS1_3repE0EEENS1_30default_config_static_selectorELNS0_4arch9wavefront6targetE1EEEvT1_
    .private_segment_fixed_size: 0
    .sgpr_count:     4
    .sgpr_spill_count: 0
    .symbol:         _ZN7rocprim17ROCPRIM_400000_NS6detail17trampoline_kernelINS0_14default_configENS1_20scan_config_selectorItEEZZNS1_9scan_implILNS1_25lookback_scan_determinismE0ELb0ELb0ES3_N6thrust23THRUST_200600_302600_NS6detail15normal_iteratorINS9_10device_ptrItEEEENS9_16discard_iteratorINS9_11use_defaultEEEt11max_functorItEtEEDaPvRmT3_T4_T5_mT6_P12ihipStream_tbENKUlT_T0_E_clISt17integral_constantIbLb0EESW_IbLb1EEEEDaSS_ST_EUlSS_E_NS1_11comp_targetILNS1_3genE2ELNS1_11target_archE906ELNS1_3gpuE6ELNS1_3repE0EEENS1_30default_config_static_selectorELNS0_4arch9wavefront6targetE1EEEvT1_.kd
    .uniform_work_group_size: 1
    .uses_dynamic_stack: false
    .vgpr_count:     0
    .vgpr_spill_count: 0
    .wavefront_size: 64
  - .agpr_count:     0
    .args:
      - .offset:         0
        .size:           104
        .value_kind:     by_value
    .group_segment_fixed_size: 0
    .kernarg_segment_align: 8
    .kernarg_segment_size: 104
    .language:       OpenCL C
    .language_version:
      - 2
      - 0
    .max_flat_workgroup_size: 256
    .name:           _ZN7rocprim17ROCPRIM_400000_NS6detail17trampoline_kernelINS0_14default_configENS1_20scan_config_selectorItEEZZNS1_9scan_implILNS1_25lookback_scan_determinismE0ELb0ELb0ES3_N6thrust23THRUST_200600_302600_NS6detail15normal_iteratorINS9_10device_ptrItEEEENS9_16discard_iteratorINS9_11use_defaultEEEt11max_functorItEtEEDaPvRmT3_T4_T5_mT6_P12ihipStream_tbENKUlT_T0_E_clISt17integral_constantIbLb0EESW_IbLb1EEEEDaSS_ST_EUlSS_E_NS1_11comp_targetILNS1_3genE10ELNS1_11target_archE1201ELNS1_3gpuE5ELNS1_3repE0EEENS1_30default_config_static_selectorELNS0_4arch9wavefront6targetE1EEEvT1_
    .private_segment_fixed_size: 0
    .sgpr_count:     4
    .sgpr_spill_count: 0
    .symbol:         _ZN7rocprim17ROCPRIM_400000_NS6detail17trampoline_kernelINS0_14default_configENS1_20scan_config_selectorItEEZZNS1_9scan_implILNS1_25lookback_scan_determinismE0ELb0ELb0ES3_N6thrust23THRUST_200600_302600_NS6detail15normal_iteratorINS9_10device_ptrItEEEENS9_16discard_iteratorINS9_11use_defaultEEEt11max_functorItEtEEDaPvRmT3_T4_T5_mT6_P12ihipStream_tbENKUlT_T0_E_clISt17integral_constantIbLb0EESW_IbLb1EEEEDaSS_ST_EUlSS_E_NS1_11comp_targetILNS1_3genE10ELNS1_11target_archE1201ELNS1_3gpuE5ELNS1_3repE0EEENS1_30default_config_static_selectorELNS0_4arch9wavefront6targetE1EEEvT1_.kd
    .uniform_work_group_size: 1
    .uses_dynamic_stack: false
    .vgpr_count:     0
    .vgpr_spill_count: 0
    .wavefront_size: 64
  - .agpr_count:     0
    .args:
      - .offset:         0
        .size:           104
        .value_kind:     by_value
    .group_segment_fixed_size: 0
    .kernarg_segment_align: 8
    .kernarg_segment_size: 104
    .language:       OpenCL C
    .language_version:
      - 2
      - 0
    .max_flat_workgroup_size: 256
    .name:           _ZN7rocprim17ROCPRIM_400000_NS6detail17trampoline_kernelINS0_14default_configENS1_20scan_config_selectorItEEZZNS1_9scan_implILNS1_25lookback_scan_determinismE0ELb0ELb0ES3_N6thrust23THRUST_200600_302600_NS6detail15normal_iteratorINS9_10device_ptrItEEEENS9_16discard_iteratorINS9_11use_defaultEEEt11max_functorItEtEEDaPvRmT3_T4_T5_mT6_P12ihipStream_tbENKUlT_T0_E_clISt17integral_constantIbLb0EESW_IbLb1EEEEDaSS_ST_EUlSS_E_NS1_11comp_targetILNS1_3genE10ELNS1_11target_archE1200ELNS1_3gpuE4ELNS1_3repE0EEENS1_30default_config_static_selectorELNS0_4arch9wavefront6targetE1EEEvT1_
    .private_segment_fixed_size: 0
    .sgpr_count:     4
    .sgpr_spill_count: 0
    .symbol:         _ZN7rocprim17ROCPRIM_400000_NS6detail17trampoline_kernelINS0_14default_configENS1_20scan_config_selectorItEEZZNS1_9scan_implILNS1_25lookback_scan_determinismE0ELb0ELb0ES3_N6thrust23THRUST_200600_302600_NS6detail15normal_iteratorINS9_10device_ptrItEEEENS9_16discard_iteratorINS9_11use_defaultEEEt11max_functorItEtEEDaPvRmT3_T4_T5_mT6_P12ihipStream_tbENKUlT_T0_E_clISt17integral_constantIbLb0EESW_IbLb1EEEEDaSS_ST_EUlSS_E_NS1_11comp_targetILNS1_3genE10ELNS1_11target_archE1200ELNS1_3gpuE4ELNS1_3repE0EEENS1_30default_config_static_selectorELNS0_4arch9wavefront6targetE1EEEvT1_.kd
    .uniform_work_group_size: 1
    .uses_dynamic_stack: false
    .vgpr_count:     0
    .vgpr_spill_count: 0
    .wavefront_size: 64
  - .agpr_count:     0
    .args:
      - .offset:         0
        .size:           104
        .value_kind:     by_value
    .group_segment_fixed_size: 0
    .kernarg_segment_align: 8
    .kernarg_segment_size: 104
    .language:       OpenCL C
    .language_version:
      - 2
      - 0
    .max_flat_workgroup_size: 64
    .name:           _ZN7rocprim17ROCPRIM_400000_NS6detail17trampoline_kernelINS0_14default_configENS1_20scan_config_selectorItEEZZNS1_9scan_implILNS1_25lookback_scan_determinismE0ELb0ELb0ES3_N6thrust23THRUST_200600_302600_NS6detail15normal_iteratorINS9_10device_ptrItEEEENS9_16discard_iteratorINS9_11use_defaultEEEt11max_functorItEtEEDaPvRmT3_T4_T5_mT6_P12ihipStream_tbENKUlT_T0_E_clISt17integral_constantIbLb0EESW_IbLb1EEEEDaSS_ST_EUlSS_E_NS1_11comp_targetILNS1_3genE9ELNS1_11target_archE1100ELNS1_3gpuE3ELNS1_3repE0EEENS1_30default_config_static_selectorELNS0_4arch9wavefront6targetE1EEEvT1_
    .private_segment_fixed_size: 0
    .sgpr_count:     4
    .sgpr_spill_count: 0
    .symbol:         _ZN7rocprim17ROCPRIM_400000_NS6detail17trampoline_kernelINS0_14default_configENS1_20scan_config_selectorItEEZZNS1_9scan_implILNS1_25lookback_scan_determinismE0ELb0ELb0ES3_N6thrust23THRUST_200600_302600_NS6detail15normal_iteratorINS9_10device_ptrItEEEENS9_16discard_iteratorINS9_11use_defaultEEEt11max_functorItEtEEDaPvRmT3_T4_T5_mT6_P12ihipStream_tbENKUlT_T0_E_clISt17integral_constantIbLb0EESW_IbLb1EEEEDaSS_ST_EUlSS_E_NS1_11comp_targetILNS1_3genE9ELNS1_11target_archE1100ELNS1_3gpuE3ELNS1_3repE0EEENS1_30default_config_static_selectorELNS0_4arch9wavefront6targetE1EEEvT1_.kd
    .uniform_work_group_size: 1
    .uses_dynamic_stack: false
    .vgpr_count:     0
    .vgpr_spill_count: 0
    .wavefront_size: 64
  - .agpr_count:     0
    .args:
      - .offset:         0
        .size:           104
        .value_kind:     by_value
    .group_segment_fixed_size: 0
    .kernarg_segment_align: 8
    .kernarg_segment_size: 104
    .language:       OpenCL C
    .language_version:
      - 2
      - 0
    .max_flat_workgroup_size: 64
    .name:           _ZN7rocprim17ROCPRIM_400000_NS6detail17trampoline_kernelINS0_14default_configENS1_20scan_config_selectorItEEZZNS1_9scan_implILNS1_25lookback_scan_determinismE0ELb0ELb0ES3_N6thrust23THRUST_200600_302600_NS6detail15normal_iteratorINS9_10device_ptrItEEEENS9_16discard_iteratorINS9_11use_defaultEEEt11max_functorItEtEEDaPvRmT3_T4_T5_mT6_P12ihipStream_tbENKUlT_T0_E_clISt17integral_constantIbLb0EESW_IbLb1EEEEDaSS_ST_EUlSS_E_NS1_11comp_targetILNS1_3genE8ELNS1_11target_archE1030ELNS1_3gpuE2ELNS1_3repE0EEENS1_30default_config_static_selectorELNS0_4arch9wavefront6targetE1EEEvT1_
    .private_segment_fixed_size: 0
    .sgpr_count:     4
    .sgpr_spill_count: 0
    .symbol:         _ZN7rocprim17ROCPRIM_400000_NS6detail17trampoline_kernelINS0_14default_configENS1_20scan_config_selectorItEEZZNS1_9scan_implILNS1_25lookback_scan_determinismE0ELb0ELb0ES3_N6thrust23THRUST_200600_302600_NS6detail15normal_iteratorINS9_10device_ptrItEEEENS9_16discard_iteratorINS9_11use_defaultEEEt11max_functorItEtEEDaPvRmT3_T4_T5_mT6_P12ihipStream_tbENKUlT_T0_E_clISt17integral_constantIbLb0EESW_IbLb1EEEEDaSS_ST_EUlSS_E_NS1_11comp_targetILNS1_3genE8ELNS1_11target_archE1030ELNS1_3gpuE2ELNS1_3repE0EEENS1_30default_config_static_selectorELNS0_4arch9wavefront6targetE1EEEvT1_.kd
    .uniform_work_group_size: 1
    .uses_dynamic_stack: false
    .vgpr_count:     0
    .vgpr_spill_count: 0
    .wavefront_size: 64
  - .agpr_count:     0
    .args:
      - .offset:         0
        .size:           40
        .value_kind:     by_value
    .group_segment_fixed_size: 0
    .kernarg_segment_align: 8
    .kernarg_segment_size: 40
    .language:       OpenCL C
    .language_version:
      - 2
      - 0
    .max_flat_workgroup_size: 128
    .name:           _ZN7rocprim17ROCPRIM_400000_NS6detail17trampoline_kernelINS0_14default_configENS1_20scan_config_selectorItEEZZNS1_9scan_implILNS1_25lookback_scan_determinismE0ELb0ELb0ES3_N6thrust23THRUST_200600_302600_NS6detail15normal_iteratorINS9_10device_ptrItEEEENS9_16discard_iteratorINS9_11use_defaultEEEt11max_functorItEtEEDaPvRmT3_T4_T5_mT6_P12ihipStream_tbENKUlT_T0_E_clISt17integral_constantIbLb0EESW_IbLb1EEEEDaSS_ST_EUlSS_E0_NS1_11comp_targetILNS1_3genE0ELNS1_11target_archE4294967295ELNS1_3gpuE0ELNS1_3repE0EEENS1_30default_config_static_selectorELNS0_4arch9wavefront6targetE1EEEvT1_
    .private_segment_fixed_size: 0
    .sgpr_count:     4
    .sgpr_spill_count: 0
    .symbol:         _ZN7rocprim17ROCPRIM_400000_NS6detail17trampoline_kernelINS0_14default_configENS1_20scan_config_selectorItEEZZNS1_9scan_implILNS1_25lookback_scan_determinismE0ELb0ELb0ES3_N6thrust23THRUST_200600_302600_NS6detail15normal_iteratorINS9_10device_ptrItEEEENS9_16discard_iteratorINS9_11use_defaultEEEt11max_functorItEtEEDaPvRmT3_T4_T5_mT6_P12ihipStream_tbENKUlT_T0_E_clISt17integral_constantIbLb0EESW_IbLb1EEEEDaSS_ST_EUlSS_E0_NS1_11comp_targetILNS1_3genE0ELNS1_11target_archE4294967295ELNS1_3gpuE0ELNS1_3repE0EEENS1_30default_config_static_selectorELNS0_4arch9wavefront6targetE1EEEvT1_.kd
    .uniform_work_group_size: 1
    .uses_dynamic_stack: false
    .vgpr_count:     0
    .vgpr_spill_count: 0
    .wavefront_size: 64
  - .agpr_count:     0
    .args:
      - .offset:         0
        .size:           40
        .value_kind:     by_value
    .group_segment_fixed_size: 0
    .kernarg_segment_align: 8
    .kernarg_segment_size: 40
    .language:       OpenCL C
    .language_version:
      - 2
      - 0
    .max_flat_workgroup_size: 256
    .name:           _ZN7rocprim17ROCPRIM_400000_NS6detail17trampoline_kernelINS0_14default_configENS1_20scan_config_selectorItEEZZNS1_9scan_implILNS1_25lookback_scan_determinismE0ELb0ELb0ES3_N6thrust23THRUST_200600_302600_NS6detail15normal_iteratorINS9_10device_ptrItEEEENS9_16discard_iteratorINS9_11use_defaultEEEt11max_functorItEtEEDaPvRmT3_T4_T5_mT6_P12ihipStream_tbENKUlT_T0_E_clISt17integral_constantIbLb0EESW_IbLb1EEEEDaSS_ST_EUlSS_E0_NS1_11comp_targetILNS1_3genE5ELNS1_11target_archE942ELNS1_3gpuE9ELNS1_3repE0EEENS1_30default_config_static_selectorELNS0_4arch9wavefront6targetE1EEEvT1_
    .private_segment_fixed_size: 0
    .sgpr_count:     4
    .sgpr_spill_count: 0
    .symbol:         _ZN7rocprim17ROCPRIM_400000_NS6detail17trampoline_kernelINS0_14default_configENS1_20scan_config_selectorItEEZZNS1_9scan_implILNS1_25lookback_scan_determinismE0ELb0ELb0ES3_N6thrust23THRUST_200600_302600_NS6detail15normal_iteratorINS9_10device_ptrItEEEENS9_16discard_iteratorINS9_11use_defaultEEEt11max_functorItEtEEDaPvRmT3_T4_T5_mT6_P12ihipStream_tbENKUlT_T0_E_clISt17integral_constantIbLb0EESW_IbLb1EEEEDaSS_ST_EUlSS_E0_NS1_11comp_targetILNS1_3genE5ELNS1_11target_archE942ELNS1_3gpuE9ELNS1_3repE0EEENS1_30default_config_static_selectorELNS0_4arch9wavefront6targetE1EEEvT1_.kd
    .uniform_work_group_size: 1
    .uses_dynamic_stack: false
    .vgpr_count:     0
    .vgpr_spill_count: 0
    .wavefront_size: 64
  - .agpr_count:     0
    .args:
      - .offset:         0
        .size:           40
        .value_kind:     by_value
    .group_segment_fixed_size: 3072
    .kernarg_segment_align: 8
    .kernarg_segment_size: 40
    .language:       OpenCL C
    .language_version:
      - 2
      - 0
    .max_flat_workgroup_size: 64
    .name:           _ZN7rocprim17ROCPRIM_400000_NS6detail17trampoline_kernelINS0_14default_configENS1_20scan_config_selectorItEEZZNS1_9scan_implILNS1_25lookback_scan_determinismE0ELb0ELb0ES3_N6thrust23THRUST_200600_302600_NS6detail15normal_iteratorINS9_10device_ptrItEEEENS9_16discard_iteratorINS9_11use_defaultEEEt11max_functorItEtEEDaPvRmT3_T4_T5_mT6_P12ihipStream_tbENKUlT_T0_E_clISt17integral_constantIbLb0EESW_IbLb1EEEEDaSS_ST_EUlSS_E0_NS1_11comp_targetILNS1_3genE4ELNS1_11target_archE910ELNS1_3gpuE8ELNS1_3repE0EEENS1_30default_config_static_selectorELNS0_4arch9wavefront6targetE1EEEvT1_
    .private_segment_fixed_size: 0
    .sgpr_count:     10
    .sgpr_spill_count: 0
    .symbol:         _ZN7rocprim17ROCPRIM_400000_NS6detail17trampoline_kernelINS0_14default_configENS1_20scan_config_selectorItEEZZNS1_9scan_implILNS1_25lookback_scan_determinismE0ELb0ELb0ES3_N6thrust23THRUST_200600_302600_NS6detail15normal_iteratorINS9_10device_ptrItEEEENS9_16discard_iteratorINS9_11use_defaultEEEt11max_functorItEtEEDaPvRmT3_T4_T5_mT6_P12ihipStream_tbENKUlT_T0_E_clISt17integral_constantIbLb0EESW_IbLb1EEEEDaSS_ST_EUlSS_E0_NS1_11comp_targetILNS1_3genE4ELNS1_11target_archE910ELNS1_3gpuE8ELNS1_3repE0EEENS1_30default_config_static_selectorELNS0_4arch9wavefront6targetE1EEEvT1_.kd
    .uniform_work_group_size: 1
    .uses_dynamic_stack: false
    .vgpr_count:     41
    .vgpr_spill_count: 0
    .wavefront_size: 64
  - .agpr_count:     0
    .args:
      - .offset:         0
        .size:           40
        .value_kind:     by_value
    .group_segment_fixed_size: 0
    .kernarg_segment_align: 8
    .kernarg_segment_size: 40
    .language:       OpenCL C
    .language_version:
      - 2
      - 0
    .max_flat_workgroup_size: 128
    .name:           _ZN7rocprim17ROCPRIM_400000_NS6detail17trampoline_kernelINS0_14default_configENS1_20scan_config_selectorItEEZZNS1_9scan_implILNS1_25lookback_scan_determinismE0ELb0ELb0ES3_N6thrust23THRUST_200600_302600_NS6detail15normal_iteratorINS9_10device_ptrItEEEENS9_16discard_iteratorINS9_11use_defaultEEEt11max_functorItEtEEDaPvRmT3_T4_T5_mT6_P12ihipStream_tbENKUlT_T0_E_clISt17integral_constantIbLb0EESW_IbLb1EEEEDaSS_ST_EUlSS_E0_NS1_11comp_targetILNS1_3genE3ELNS1_11target_archE908ELNS1_3gpuE7ELNS1_3repE0EEENS1_30default_config_static_selectorELNS0_4arch9wavefront6targetE1EEEvT1_
    .private_segment_fixed_size: 0
    .sgpr_count:     4
    .sgpr_spill_count: 0
    .symbol:         _ZN7rocprim17ROCPRIM_400000_NS6detail17trampoline_kernelINS0_14default_configENS1_20scan_config_selectorItEEZZNS1_9scan_implILNS1_25lookback_scan_determinismE0ELb0ELb0ES3_N6thrust23THRUST_200600_302600_NS6detail15normal_iteratorINS9_10device_ptrItEEEENS9_16discard_iteratorINS9_11use_defaultEEEt11max_functorItEtEEDaPvRmT3_T4_T5_mT6_P12ihipStream_tbENKUlT_T0_E_clISt17integral_constantIbLb0EESW_IbLb1EEEEDaSS_ST_EUlSS_E0_NS1_11comp_targetILNS1_3genE3ELNS1_11target_archE908ELNS1_3gpuE7ELNS1_3repE0EEENS1_30default_config_static_selectorELNS0_4arch9wavefront6targetE1EEEvT1_.kd
    .uniform_work_group_size: 1
    .uses_dynamic_stack: false
    .vgpr_count:     0
    .vgpr_spill_count: 0
    .wavefront_size: 64
  - .agpr_count:     0
    .args:
      - .offset:         0
        .size:           40
        .value_kind:     by_value
    .group_segment_fixed_size: 0
    .kernarg_segment_align: 8
    .kernarg_segment_size: 40
    .language:       OpenCL C
    .language_version:
      - 2
      - 0
    .max_flat_workgroup_size: 256
    .name:           _ZN7rocprim17ROCPRIM_400000_NS6detail17trampoline_kernelINS0_14default_configENS1_20scan_config_selectorItEEZZNS1_9scan_implILNS1_25lookback_scan_determinismE0ELb0ELb0ES3_N6thrust23THRUST_200600_302600_NS6detail15normal_iteratorINS9_10device_ptrItEEEENS9_16discard_iteratorINS9_11use_defaultEEEt11max_functorItEtEEDaPvRmT3_T4_T5_mT6_P12ihipStream_tbENKUlT_T0_E_clISt17integral_constantIbLb0EESW_IbLb1EEEEDaSS_ST_EUlSS_E0_NS1_11comp_targetILNS1_3genE2ELNS1_11target_archE906ELNS1_3gpuE6ELNS1_3repE0EEENS1_30default_config_static_selectorELNS0_4arch9wavefront6targetE1EEEvT1_
    .private_segment_fixed_size: 0
    .sgpr_count:     4
    .sgpr_spill_count: 0
    .symbol:         _ZN7rocprim17ROCPRIM_400000_NS6detail17trampoline_kernelINS0_14default_configENS1_20scan_config_selectorItEEZZNS1_9scan_implILNS1_25lookback_scan_determinismE0ELb0ELb0ES3_N6thrust23THRUST_200600_302600_NS6detail15normal_iteratorINS9_10device_ptrItEEEENS9_16discard_iteratorINS9_11use_defaultEEEt11max_functorItEtEEDaPvRmT3_T4_T5_mT6_P12ihipStream_tbENKUlT_T0_E_clISt17integral_constantIbLb0EESW_IbLb1EEEEDaSS_ST_EUlSS_E0_NS1_11comp_targetILNS1_3genE2ELNS1_11target_archE906ELNS1_3gpuE6ELNS1_3repE0EEENS1_30default_config_static_selectorELNS0_4arch9wavefront6targetE1EEEvT1_.kd
    .uniform_work_group_size: 1
    .uses_dynamic_stack: false
    .vgpr_count:     0
    .vgpr_spill_count: 0
    .wavefront_size: 64
  - .agpr_count:     0
    .args:
      - .offset:         0
        .size:           40
        .value_kind:     by_value
    .group_segment_fixed_size: 0
    .kernarg_segment_align: 8
    .kernarg_segment_size: 40
    .language:       OpenCL C
    .language_version:
      - 2
      - 0
    .max_flat_workgroup_size: 256
    .name:           _ZN7rocprim17ROCPRIM_400000_NS6detail17trampoline_kernelINS0_14default_configENS1_20scan_config_selectorItEEZZNS1_9scan_implILNS1_25lookback_scan_determinismE0ELb0ELb0ES3_N6thrust23THRUST_200600_302600_NS6detail15normal_iteratorINS9_10device_ptrItEEEENS9_16discard_iteratorINS9_11use_defaultEEEt11max_functorItEtEEDaPvRmT3_T4_T5_mT6_P12ihipStream_tbENKUlT_T0_E_clISt17integral_constantIbLb0EESW_IbLb1EEEEDaSS_ST_EUlSS_E0_NS1_11comp_targetILNS1_3genE10ELNS1_11target_archE1201ELNS1_3gpuE5ELNS1_3repE0EEENS1_30default_config_static_selectorELNS0_4arch9wavefront6targetE1EEEvT1_
    .private_segment_fixed_size: 0
    .sgpr_count:     4
    .sgpr_spill_count: 0
    .symbol:         _ZN7rocprim17ROCPRIM_400000_NS6detail17trampoline_kernelINS0_14default_configENS1_20scan_config_selectorItEEZZNS1_9scan_implILNS1_25lookback_scan_determinismE0ELb0ELb0ES3_N6thrust23THRUST_200600_302600_NS6detail15normal_iteratorINS9_10device_ptrItEEEENS9_16discard_iteratorINS9_11use_defaultEEEt11max_functorItEtEEDaPvRmT3_T4_T5_mT6_P12ihipStream_tbENKUlT_T0_E_clISt17integral_constantIbLb0EESW_IbLb1EEEEDaSS_ST_EUlSS_E0_NS1_11comp_targetILNS1_3genE10ELNS1_11target_archE1201ELNS1_3gpuE5ELNS1_3repE0EEENS1_30default_config_static_selectorELNS0_4arch9wavefront6targetE1EEEvT1_.kd
    .uniform_work_group_size: 1
    .uses_dynamic_stack: false
    .vgpr_count:     0
    .vgpr_spill_count: 0
    .wavefront_size: 64
  - .agpr_count:     0
    .args:
      - .offset:         0
        .size:           40
        .value_kind:     by_value
    .group_segment_fixed_size: 0
    .kernarg_segment_align: 8
    .kernarg_segment_size: 40
    .language:       OpenCL C
    .language_version:
      - 2
      - 0
    .max_flat_workgroup_size: 256
    .name:           _ZN7rocprim17ROCPRIM_400000_NS6detail17trampoline_kernelINS0_14default_configENS1_20scan_config_selectorItEEZZNS1_9scan_implILNS1_25lookback_scan_determinismE0ELb0ELb0ES3_N6thrust23THRUST_200600_302600_NS6detail15normal_iteratorINS9_10device_ptrItEEEENS9_16discard_iteratorINS9_11use_defaultEEEt11max_functorItEtEEDaPvRmT3_T4_T5_mT6_P12ihipStream_tbENKUlT_T0_E_clISt17integral_constantIbLb0EESW_IbLb1EEEEDaSS_ST_EUlSS_E0_NS1_11comp_targetILNS1_3genE10ELNS1_11target_archE1200ELNS1_3gpuE4ELNS1_3repE0EEENS1_30default_config_static_selectorELNS0_4arch9wavefront6targetE1EEEvT1_
    .private_segment_fixed_size: 0
    .sgpr_count:     4
    .sgpr_spill_count: 0
    .symbol:         _ZN7rocprim17ROCPRIM_400000_NS6detail17trampoline_kernelINS0_14default_configENS1_20scan_config_selectorItEEZZNS1_9scan_implILNS1_25lookback_scan_determinismE0ELb0ELb0ES3_N6thrust23THRUST_200600_302600_NS6detail15normal_iteratorINS9_10device_ptrItEEEENS9_16discard_iteratorINS9_11use_defaultEEEt11max_functorItEtEEDaPvRmT3_T4_T5_mT6_P12ihipStream_tbENKUlT_T0_E_clISt17integral_constantIbLb0EESW_IbLb1EEEEDaSS_ST_EUlSS_E0_NS1_11comp_targetILNS1_3genE10ELNS1_11target_archE1200ELNS1_3gpuE4ELNS1_3repE0EEENS1_30default_config_static_selectorELNS0_4arch9wavefront6targetE1EEEvT1_.kd
    .uniform_work_group_size: 1
    .uses_dynamic_stack: false
    .vgpr_count:     0
    .vgpr_spill_count: 0
    .wavefront_size: 64
  - .agpr_count:     0
    .args:
      - .offset:         0
        .size:           40
        .value_kind:     by_value
    .group_segment_fixed_size: 0
    .kernarg_segment_align: 8
    .kernarg_segment_size: 40
    .language:       OpenCL C
    .language_version:
      - 2
      - 0
    .max_flat_workgroup_size: 64
    .name:           _ZN7rocprim17ROCPRIM_400000_NS6detail17trampoline_kernelINS0_14default_configENS1_20scan_config_selectorItEEZZNS1_9scan_implILNS1_25lookback_scan_determinismE0ELb0ELb0ES3_N6thrust23THRUST_200600_302600_NS6detail15normal_iteratorINS9_10device_ptrItEEEENS9_16discard_iteratorINS9_11use_defaultEEEt11max_functorItEtEEDaPvRmT3_T4_T5_mT6_P12ihipStream_tbENKUlT_T0_E_clISt17integral_constantIbLb0EESW_IbLb1EEEEDaSS_ST_EUlSS_E0_NS1_11comp_targetILNS1_3genE9ELNS1_11target_archE1100ELNS1_3gpuE3ELNS1_3repE0EEENS1_30default_config_static_selectorELNS0_4arch9wavefront6targetE1EEEvT1_
    .private_segment_fixed_size: 0
    .sgpr_count:     4
    .sgpr_spill_count: 0
    .symbol:         _ZN7rocprim17ROCPRIM_400000_NS6detail17trampoline_kernelINS0_14default_configENS1_20scan_config_selectorItEEZZNS1_9scan_implILNS1_25lookback_scan_determinismE0ELb0ELb0ES3_N6thrust23THRUST_200600_302600_NS6detail15normal_iteratorINS9_10device_ptrItEEEENS9_16discard_iteratorINS9_11use_defaultEEEt11max_functorItEtEEDaPvRmT3_T4_T5_mT6_P12ihipStream_tbENKUlT_T0_E_clISt17integral_constantIbLb0EESW_IbLb1EEEEDaSS_ST_EUlSS_E0_NS1_11comp_targetILNS1_3genE9ELNS1_11target_archE1100ELNS1_3gpuE3ELNS1_3repE0EEENS1_30default_config_static_selectorELNS0_4arch9wavefront6targetE1EEEvT1_.kd
    .uniform_work_group_size: 1
    .uses_dynamic_stack: false
    .vgpr_count:     0
    .vgpr_spill_count: 0
    .wavefront_size: 64
  - .agpr_count:     0
    .args:
      - .offset:         0
        .size:           40
        .value_kind:     by_value
    .group_segment_fixed_size: 0
    .kernarg_segment_align: 8
    .kernarg_segment_size: 40
    .language:       OpenCL C
    .language_version:
      - 2
      - 0
    .max_flat_workgroup_size: 64
    .name:           _ZN7rocprim17ROCPRIM_400000_NS6detail17trampoline_kernelINS0_14default_configENS1_20scan_config_selectorItEEZZNS1_9scan_implILNS1_25lookback_scan_determinismE0ELb0ELb0ES3_N6thrust23THRUST_200600_302600_NS6detail15normal_iteratorINS9_10device_ptrItEEEENS9_16discard_iteratorINS9_11use_defaultEEEt11max_functorItEtEEDaPvRmT3_T4_T5_mT6_P12ihipStream_tbENKUlT_T0_E_clISt17integral_constantIbLb0EESW_IbLb1EEEEDaSS_ST_EUlSS_E0_NS1_11comp_targetILNS1_3genE8ELNS1_11target_archE1030ELNS1_3gpuE2ELNS1_3repE0EEENS1_30default_config_static_selectorELNS0_4arch9wavefront6targetE1EEEvT1_
    .private_segment_fixed_size: 0
    .sgpr_count:     4
    .sgpr_spill_count: 0
    .symbol:         _ZN7rocprim17ROCPRIM_400000_NS6detail17trampoline_kernelINS0_14default_configENS1_20scan_config_selectorItEEZZNS1_9scan_implILNS1_25lookback_scan_determinismE0ELb0ELb0ES3_N6thrust23THRUST_200600_302600_NS6detail15normal_iteratorINS9_10device_ptrItEEEENS9_16discard_iteratorINS9_11use_defaultEEEt11max_functorItEtEEDaPvRmT3_T4_T5_mT6_P12ihipStream_tbENKUlT_T0_E_clISt17integral_constantIbLb0EESW_IbLb1EEEEDaSS_ST_EUlSS_E0_NS1_11comp_targetILNS1_3genE8ELNS1_11target_archE1030ELNS1_3gpuE2ELNS1_3repE0EEENS1_30default_config_static_selectorELNS0_4arch9wavefront6targetE1EEEvT1_.kd
    .uniform_work_group_size: 1
    .uses_dynamic_stack: false
    .vgpr_count:     0
    .vgpr_spill_count: 0
    .wavefront_size: 64
  - .agpr_count:     0
    .args:
      - .offset:         0
        .size:           104
        .value_kind:     by_value
    .group_segment_fixed_size: 0
    .kernarg_segment_align: 8
    .kernarg_segment_size: 104
    .language:       OpenCL C
    .language_version:
      - 2
      - 0
    .max_flat_workgroup_size: 128
    .name:           _ZN7rocprim17ROCPRIM_400000_NS6detail17trampoline_kernelINS0_14default_configENS1_20scan_config_selectorItEEZZNS1_9scan_implILNS1_25lookback_scan_determinismE0ELb1ELb1ES3_N6thrust23THRUST_200600_302600_NS6detail15normal_iteratorINS9_10device_ptrItEEEENS9_16discard_iteratorINS9_11use_defaultEEEt11max_functorItEtEEDaPvRmT3_T4_T5_mT6_P12ihipStream_tbENKUlT_T0_E_clISt17integral_constantIbLb0EESX_EEDaSS_ST_EUlSS_E_NS1_11comp_targetILNS1_3genE0ELNS1_11target_archE4294967295ELNS1_3gpuE0ELNS1_3repE0EEENS1_30default_config_static_selectorELNS0_4arch9wavefront6targetE1EEEvT1_
    .private_segment_fixed_size: 0
    .sgpr_count:     4
    .sgpr_spill_count: 0
    .symbol:         _ZN7rocprim17ROCPRIM_400000_NS6detail17trampoline_kernelINS0_14default_configENS1_20scan_config_selectorItEEZZNS1_9scan_implILNS1_25lookback_scan_determinismE0ELb1ELb1ES3_N6thrust23THRUST_200600_302600_NS6detail15normal_iteratorINS9_10device_ptrItEEEENS9_16discard_iteratorINS9_11use_defaultEEEt11max_functorItEtEEDaPvRmT3_T4_T5_mT6_P12ihipStream_tbENKUlT_T0_E_clISt17integral_constantIbLb0EESX_EEDaSS_ST_EUlSS_E_NS1_11comp_targetILNS1_3genE0ELNS1_11target_archE4294967295ELNS1_3gpuE0ELNS1_3repE0EEENS1_30default_config_static_selectorELNS0_4arch9wavefront6targetE1EEEvT1_.kd
    .uniform_work_group_size: 1
    .uses_dynamic_stack: false
    .vgpr_count:     0
    .vgpr_spill_count: 0
    .wavefront_size: 64
  - .agpr_count:     0
    .args:
      - .offset:         0
        .size:           104
        .value_kind:     by_value
    .group_segment_fixed_size: 0
    .kernarg_segment_align: 8
    .kernarg_segment_size: 104
    .language:       OpenCL C
    .language_version:
      - 2
      - 0
    .max_flat_workgroup_size: 256
    .name:           _ZN7rocprim17ROCPRIM_400000_NS6detail17trampoline_kernelINS0_14default_configENS1_20scan_config_selectorItEEZZNS1_9scan_implILNS1_25lookback_scan_determinismE0ELb1ELb1ES3_N6thrust23THRUST_200600_302600_NS6detail15normal_iteratorINS9_10device_ptrItEEEENS9_16discard_iteratorINS9_11use_defaultEEEt11max_functorItEtEEDaPvRmT3_T4_T5_mT6_P12ihipStream_tbENKUlT_T0_E_clISt17integral_constantIbLb0EESX_EEDaSS_ST_EUlSS_E_NS1_11comp_targetILNS1_3genE5ELNS1_11target_archE942ELNS1_3gpuE9ELNS1_3repE0EEENS1_30default_config_static_selectorELNS0_4arch9wavefront6targetE1EEEvT1_
    .private_segment_fixed_size: 0
    .sgpr_count:     4
    .sgpr_spill_count: 0
    .symbol:         _ZN7rocprim17ROCPRIM_400000_NS6detail17trampoline_kernelINS0_14default_configENS1_20scan_config_selectorItEEZZNS1_9scan_implILNS1_25lookback_scan_determinismE0ELb1ELb1ES3_N6thrust23THRUST_200600_302600_NS6detail15normal_iteratorINS9_10device_ptrItEEEENS9_16discard_iteratorINS9_11use_defaultEEEt11max_functorItEtEEDaPvRmT3_T4_T5_mT6_P12ihipStream_tbENKUlT_T0_E_clISt17integral_constantIbLb0EESX_EEDaSS_ST_EUlSS_E_NS1_11comp_targetILNS1_3genE5ELNS1_11target_archE942ELNS1_3gpuE9ELNS1_3repE0EEENS1_30default_config_static_selectorELNS0_4arch9wavefront6targetE1EEEvT1_.kd
    .uniform_work_group_size: 1
    .uses_dynamic_stack: false
    .vgpr_count:     0
    .vgpr_spill_count: 0
    .wavefront_size: 64
  - .agpr_count:     0
    .args:
      - .offset:         0
        .size:           104
        .value_kind:     by_value
    .group_segment_fixed_size: 3072
    .kernarg_segment_align: 8
    .kernarg_segment_size: 104
    .language:       OpenCL C
    .language_version:
      - 2
      - 0
    .max_flat_workgroup_size: 64
    .name:           _ZN7rocprim17ROCPRIM_400000_NS6detail17trampoline_kernelINS0_14default_configENS1_20scan_config_selectorItEEZZNS1_9scan_implILNS1_25lookback_scan_determinismE0ELb1ELb1ES3_N6thrust23THRUST_200600_302600_NS6detail15normal_iteratorINS9_10device_ptrItEEEENS9_16discard_iteratorINS9_11use_defaultEEEt11max_functorItEtEEDaPvRmT3_T4_T5_mT6_P12ihipStream_tbENKUlT_T0_E_clISt17integral_constantIbLb0EESX_EEDaSS_ST_EUlSS_E_NS1_11comp_targetILNS1_3genE4ELNS1_11target_archE910ELNS1_3gpuE8ELNS1_3repE0EEENS1_30default_config_static_selectorELNS0_4arch9wavefront6targetE1EEEvT1_
    .private_segment_fixed_size: 0
    .sgpr_count:     30
    .sgpr_spill_count: 0
    .symbol:         _ZN7rocprim17ROCPRIM_400000_NS6detail17trampoline_kernelINS0_14default_configENS1_20scan_config_selectorItEEZZNS1_9scan_implILNS1_25lookback_scan_determinismE0ELb1ELb1ES3_N6thrust23THRUST_200600_302600_NS6detail15normal_iteratorINS9_10device_ptrItEEEENS9_16discard_iteratorINS9_11use_defaultEEEt11max_functorItEtEEDaPvRmT3_T4_T5_mT6_P12ihipStream_tbENKUlT_T0_E_clISt17integral_constantIbLb0EESX_EEDaSS_ST_EUlSS_E_NS1_11comp_targetILNS1_3genE4ELNS1_11target_archE910ELNS1_3gpuE8ELNS1_3repE0EEENS1_30default_config_static_selectorELNS0_4arch9wavefront6targetE1EEEvT1_.kd
    .uniform_work_group_size: 1
    .uses_dynamic_stack: false
    .vgpr_count:     57
    .vgpr_spill_count: 0
    .wavefront_size: 64
  - .agpr_count:     0
    .args:
      - .offset:         0
        .size:           104
        .value_kind:     by_value
    .group_segment_fixed_size: 0
    .kernarg_segment_align: 8
    .kernarg_segment_size: 104
    .language:       OpenCL C
    .language_version:
      - 2
      - 0
    .max_flat_workgroup_size: 128
    .name:           _ZN7rocprim17ROCPRIM_400000_NS6detail17trampoline_kernelINS0_14default_configENS1_20scan_config_selectorItEEZZNS1_9scan_implILNS1_25lookback_scan_determinismE0ELb1ELb1ES3_N6thrust23THRUST_200600_302600_NS6detail15normal_iteratorINS9_10device_ptrItEEEENS9_16discard_iteratorINS9_11use_defaultEEEt11max_functorItEtEEDaPvRmT3_T4_T5_mT6_P12ihipStream_tbENKUlT_T0_E_clISt17integral_constantIbLb0EESX_EEDaSS_ST_EUlSS_E_NS1_11comp_targetILNS1_3genE3ELNS1_11target_archE908ELNS1_3gpuE7ELNS1_3repE0EEENS1_30default_config_static_selectorELNS0_4arch9wavefront6targetE1EEEvT1_
    .private_segment_fixed_size: 0
    .sgpr_count:     4
    .sgpr_spill_count: 0
    .symbol:         _ZN7rocprim17ROCPRIM_400000_NS6detail17trampoline_kernelINS0_14default_configENS1_20scan_config_selectorItEEZZNS1_9scan_implILNS1_25lookback_scan_determinismE0ELb1ELb1ES3_N6thrust23THRUST_200600_302600_NS6detail15normal_iteratorINS9_10device_ptrItEEEENS9_16discard_iteratorINS9_11use_defaultEEEt11max_functorItEtEEDaPvRmT3_T4_T5_mT6_P12ihipStream_tbENKUlT_T0_E_clISt17integral_constantIbLb0EESX_EEDaSS_ST_EUlSS_E_NS1_11comp_targetILNS1_3genE3ELNS1_11target_archE908ELNS1_3gpuE7ELNS1_3repE0EEENS1_30default_config_static_selectorELNS0_4arch9wavefront6targetE1EEEvT1_.kd
    .uniform_work_group_size: 1
    .uses_dynamic_stack: false
    .vgpr_count:     0
    .vgpr_spill_count: 0
    .wavefront_size: 64
  - .agpr_count:     0
    .args:
      - .offset:         0
        .size:           104
        .value_kind:     by_value
    .group_segment_fixed_size: 0
    .kernarg_segment_align: 8
    .kernarg_segment_size: 104
    .language:       OpenCL C
    .language_version:
      - 2
      - 0
    .max_flat_workgroup_size: 256
    .name:           _ZN7rocprim17ROCPRIM_400000_NS6detail17trampoline_kernelINS0_14default_configENS1_20scan_config_selectorItEEZZNS1_9scan_implILNS1_25lookback_scan_determinismE0ELb1ELb1ES3_N6thrust23THRUST_200600_302600_NS6detail15normal_iteratorINS9_10device_ptrItEEEENS9_16discard_iteratorINS9_11use_defaultEEEt11max_functorItEtEEDaPvRmT3_T4_T5_mT6_P12ihipStream_tbENKUlT_T0_E_clISt17integral_constantIbLb0EESX_EEDaSS_ST_EUlSS_E_NS1_11comp_targetILNS1_3genE2ELNS1_11target_archE906ELNS1_3gpuE6ELNS1_3repE0EEENS1_30default_config_static_selectorELNS0_4arch9wavefront6targetE1EEEvT1_
    .private_segment_fixed_size: 0
    .sgpr_count:     4
    .sgpr_spill_count: 0
    .symbol:         _ZN7rocprim17ROCPRIM_400000_NS6detail17trampoline_kernelINS0_14default_configENS1_20scan_config_selectorItEEZZNS1_9scan_implILNS1_25lookback_scan_determinismE0ELb1ELb1ES3_N6thrust23THRUST_200600_302600_NS6detail15normal_iteratorINS9_10device_ptrItEEEENS9_16discard_iteratorINS9_11use_defaultEEEt11max_functorItEtEEDaPvRmT3_T4_T5_mT6_P12ihipStream_tbENKUlT_T0_E_clISt17integral_constantIbLb0EESX_EEDaSS_ST_EUlSS_E_NS1_11comp_targetILNS1_3genE2ELNS1_11target_archE906ELNS1_3gpuE6ELNS1_3repE0EEENS1_30default_config_static_selectorELNS0_4arch9wavefront6targetE1EEEvT1_.kd
    .uniform_work_group_size: 1
    .uses_dynamic_stack: false
    .vgpr_count:     0
    .vgpr_spill_count: 0
    .wavefront_size: 64
  - .agpr_count:     0
    .args:
      - .offset:         0
        .size:           104
        .value_kind:     by_value
    .group_segment_fixed_size: 0
    .kernarg_segment_align: 8
    .kernarg_segment_size: 104
    .language:       OpenCL C
    .language_version:
      - 2
      - 0
    .max_flat_workgroup_size: 256
    .name:           _ZN7rocprim17ROCPRIM_400000_NS6detail17trampoline_kernelINS0_14default_configENS1_20scan_config_selectorItEEZZNS1_9scan_implILNS1_25lookback_scan_determinismE0ELb1ELb1ES3_N6thrust23THRUST_200600_302600_NS6detail15normal_iteratorINS9_10device_ptrItEEEENS9_16discard_iteratorINS9_11use_defaultEEEt11max_functorItEtEEDaPvRmT3_T4_T5_mT6_P12ihipStream_tbENKUlT_T0_E_clISt17integral_constantIbLb0EESX_EEDaSS_ST_EUlSS_E_NS1_11comp_targetILNS1_3genE10ELNS1_11target_archE1201ELNS1_3gpuE5ELNS1_3repE0EEENS1_30default_config_static_selectorELNS0_4arch9wavefront6targetE1EEEvT1_
    .private_segment_fixed_size: 0
    .sgpr_count:     4
    .sgpr_spill_count: 0
    .symbol:         _ZN7rocprim17ROCPRIM_400000_NS6detail17trampoline_kernelINS0_14default_configENS1_20scan_config_selectorItEEZZNS1_9scan_implILNS1_25lookback_scan_determinismE0ELb1ELb1ES3_N6thrust23THRUST_200600_302600_NS6detail15normal_iteratorINS9_10device_ptrItEEEENS9_16discard_iteratorINS9_11use_defaultEEEt11max_functorItEtEEDaPvRmT3_T4_T5_mT6_P12ihipStream_tbENKUlT_T0_E_clISt17integral_constantIbLb0EESX_EEDaSS_ST_EUlSS_E_NS1_11comp_targetILNS1_3genE10ELNS1_11target_archE1201ELNS1_3gpuE5ELNS1_3repE0EEENS1_30default_config_static_selectorELNS0_4arch9wavefront6targetE1EEEvT1_.kd
    .uniform_work_group_size: 1
    .uses_dynamic_stack: false
    .vgpr_count:     0
    .vgpr_spill_count: 0
    .wavefront_size: 64
  - .agpr_count:     0
    .args:
      - .offset:         0
        .size:           104
        .value_kind:     by_value
    .group_segment_fixed_size: 0
    .kernarg_segment_align: 8
    .kernarg_segment_size: 104
    .language:       OpenCL C
    .language_version:
      - 2
      - 0
    .max_flat_workgroup_size: 256
    .name:           _ZN7rocprim17ROCPRIM_400000_NS6detail17trampoline_kernelINS0_14default_configENS1_20scan_config_selectorItEEZZNS1_9scan_implILNS1_25lookback_scan_determinismE0ELb1ELb1ES3_N6thrust23THRUST_200600_302600_NS6detail15normal_iteratorINS9_10device_ptrItEEEENS9_16discard_iteratorINS9_11use_defaultEEEt11max_functorItEtEEDaPvRmT3_T4_T5_mT6_P12ihipStream_tbENKUlT_T0_E_clISt17integral_constantIbLb0EESX_EEDaSS_ST_EUlSS_E_NS1_11comp_targetILNS1_3genE10ELNS1_11target_archE1200ELNS1_3gpuE4ELNS1_3repE0EEENS1_30default_config_static_selectorELNS0_4arch9wavefront6targetE1EEEvT1_
    .private_segment_fixed_size: 0
    .sgpr_count:     4
    .sgpr_spill_count: 0
    .symbol:         _ZN7rocprim17ROCPRIM_400000_NS6detail17trampoline_kernelINS0_14default_configENS1_20scan_config_selectorItEEZZNS1_9scan_implILNS1_25lookback_scan_determinismE0ELb1ELb1ES3_N6thrust23THRUST_200600_302600_NS6detail15normal_iteratorINS9_10device_ptrItEEEENS9_16discard_iteratorINS9_11use_defaultEEEt11max_functorItEtEEDaPvRmT3_T4_T5_mT6_P12ihipStream_tbENKUlT_T0_E_clISt17integral_constantIbLb0EESX_EEDaSS_ST_EUlSS_E_NS1_11comp_targetILNS1_3genE10ELNS1_11target_archE1200ELNS1_3gpuE4ELNS1_3repE0EEENS1_30default_config_static_selectorELNS0_4arch9wavefront6targetE1EEEvT1_.kd
    .uniform_work_group_size: 1
    .uses_dynamic_stack: false
    .vgpr_count:     0
    .vgpr_spill_count: 0
    .wavefront_size: 64
  - .agpr_count:     0
    .args:
      - .offset:         0
        .size:           104
        .value_kind:     by_value
    .group_segment_fixed_size: 0
    .kernarg_segment_align: 8
    .kernarg_segment_size: 104
    .language:       OpenCL C
    .language_version:
      - 2
      - 0
    .max_flat_workgroup_size: 64
    .name:           _ZN7rocprim17ROCPRIM_400000_NS6detail17trampoline_kernelINS0_14default_configENS1_20scan_config_selectorItEEZZNS1_9scan_implILNS1_25lookback_scan_determinismE0ELb1ELb1ES3_N6thrust23THRUST_200600_302600_NS6detail15normal_iteratorINS9_10device_ptrItEEEENS9_16discard_iteratorINS9_11use_defaultEEEt11max_functorItEtEEDaPvRmT3_T4_T5_mT6_P12ihipStream_tbENKUlT_T0_E_clISt17integral_constantIbLb0EESX_EEDaSS_ST_EUlSS_E_NS1_11comp_targetILNS1_3genE9ELNS1_11target_archE1100ELNS1_3gpuE3ELNS1_3repE0EEENS1_30default_config_static_selectorELNS0_4arch9wavefront6targetE1EEEvT1_
    .private_segment_fixed_size: 0
    .sgpr_count:     4
    .sgpr_spill_count: 0
    .symbol:         _ZN7rocprim17ROCPRIM_400000_NS6detail17trampoline_kernelINS0_14default_configENS1_20scan_config_selectorItEEZZNS1_9scan_implILNS1_25lookback_scan_determinismE0ELb1ELb1ES3_N6thrust23THRUST_200600_302600_NS6detail15normal_iteratorINS9_10device_ptrItEEEENS9_16discard_iteratorINS9_11use_defaultEEEt11max_functorItEtEEDaPvRmT3_T4_T5_mT6_P12ihipStream_tbENKUlT_T0_E_clISt17integral_constantIbLb0EESX_EEDaSS_ST_EUlSS_E_NS1_11comp_targetILNS1_3genE9ELNS1_11target_archE1100ELNS1_3gpuE3ELNS1_3repE0EEENS1_30default_config_static_selectorELNS0_4arch9wavefront6targetE1EEEvT1_.kd
    .uniform_work_group_size: 1
    .uses_dynamic_stack: false
    .vgpr_count:     0
    .vgpr_spill_count: 0
    .wavefront_size: 64
  - .agpr_count:     0
    .args:
      - .offset:         0
        .size:           104
        .value_kind:     by_value
    .group_segment_fixed_size: 0
    .kernarg_segment_align: 8
    .kernarg_segment_size: 104
    .language:       OpenCL C
    .language_version:
      - 2
      - 0
    .max_flat_workgroup_size: 64
    .name:           _ZN7rocprim17ROCPRIM_400000_NS6detail17trampoline_kernelINS0_14default_configENS1_20scan_config_selectorItEEZZNS1_9scan_implILNS1_25lookback_scan_determinismE0ELb1ELb1ES3_N6thrust23THRUST_200600_302600_NS6detail15normal_iteratorINS9_10device_ptrItEEEENS9_16discard_iteratorINS9_11use_defaultEEEt11max_functorItEtEEDaPvRmT3_T4_T5_mT6_P12ihipStream_tbENKUlT_T0_E_clISt17integral_constantIbLb0EESX_EEDaSS_ST_EUlSS_E_NS1_11comp_targetILNS1_3genE8ELNS1_11target_archE1030ELNS1_3gpuE2ELNS1_3repE0EEENS1_30default_config_static_selectorELNS0_4arch9wavefront6targetE1EEEvT1_
    .private_segment_fixed_size: 0
    .sgpr_count:     4
    .sgpr_spill_count: 0
    .symbol:         _ZN7rocprim17ROCPRIM_400000_NS6detail17trampoline_kernelINS0_14default_configENS1_20scan_config_selectorItEEZZNS1_9scan_implILNS1_25lookback_scan_determinismE0ELb1ELb1ES3_N6thrust23THRUST_200600_302600_NS6detail15normal_iteratorINS9_10device_ptrItEEEENS9_16discard_iteratorINS9_11use_defaultEEEt11max_functorItEtEEDaPvRmT3_T4_T5_mT6_P12ihipStream_tbENKUlT_T0_E_clISt17integral_constantIbLb0EESX_EEDaSS_ST_EUlSS_E_NS1_11comp_targetILNS1_3genE8ELNS1_11target_archE1030ELNS1_3gpuE2ELNS1_3repE0EEENS1_30default_config_static_selectorELNS0_4arch9wavefront6targetE1EEEvT1_.kd
    .uniform_work_group_size: 1
    .uses_dynamic_stack: false
    .vgpr_count:     0
    .vgpr_spill_count: 0
    .wavefront_size: 64
  - .agpr_count:     0
    .args:
      - .offset:         0
        .size:           40
        .value_kind:     by_value
    .group_segment_fixed_size: 0
    .kernarg_segment_align: 8
    .kernarg_segment_size: 40
    .language:       OpenCL C
    .language_version:
      - 2
      - 0
    .max_flat_workgroup_size: 128
    .name:           _ZN7rocprim17ROCPRIM_400000_NS6detail17trampoline_kernelINS0_14default_configENS1_20scan_config_selectorItEEZZNS1_9scan_implILNS1_25lookback_scan_determinismE0ELb1ELb1ES3_N6thrust23THRUST_200600_302600_NS6detail15normal_iteratorINS9_10device_ptrItEEEENS9_16discard_iteratorINS9_11use_defaultEEEt11max_functorItEtEEDaPvRmT3_T4_T5_mT6_P12ihipStream_tbENKUlT_T0_E_clISt17integral_constantIbLb0EESX_EEDaSS_ST_EUlSS_E0_NS1_11comp_targetILNS1_3genE0ELNS1_11target_archE4294967295ELNS1_3gpuE0ELNS1_3repE0EEENS1_30default_config_static_selectorELNS0_4arch9wavefront6targetE1EEEvT1_
    .private_segment_fixed_size: 0
    .sgpr_count:     4
    .sgpr_spill_count: 0
    .symbol:         _ZN7rocprim17ROCPRIM_400000_NS6detail17trampoline_kernelINS0_14default_configENS1_20scan_config_selectorItEEZZNS1_9scan_implILNS1_25lookback_scan_determinismE0ELb1ELb1ES3_N6thrust23THRUST_200600_302600_NS6detail15normal_iteratorINS9_10device_ptrItEEEENS9_16discard_iteratorINS9_11use_defaultEEEt11max_functorItEtEEDaPvRmT3_T4_T5_mT6_P12ihipStream_tbENKUlT_T0_E_clISt17integral_constantIbLb0EESX_EEDaSS_ST_EUlSS_E0_NS1_11comp_targetILNS1_3genE0ELNS1_11target_archE4294967295ELNS1_3gpuE0ELNS1_3repE0EEENS1_30default_config_static_selectorELNS0_4arch9wavefront6targetE1EEEvT1_.kd
    .uniform_work_group_size: 1
    .uses_dynamic_stack: false
    .vgpr_count:     0
    .vgpr_spill_count: 0
    .wavefront_size: 64
  - .agpr_count:     0
    .args:
      - .offset:         0
        .size:           40
        .value_kind:     by_value
    .group_segment_fixed_size: 0
    .kernarg_segment_align: 8
    .kernarg_segment_size: 40
    .language:       OpenCL C
    .language_version:
      - 2
      - 0
    .max_flat_workgroup_size: 256
    .name:           _ZN7rocprim17ROCPRIM_400000_NS6detail17trampoline_kernelINS0_14default_configENS1_20scan_config_selectorItEEZZNS1_9scan_implILNS1_25lookback_scan_determinismE0ELb1ELb1ES3_N6thrust23THRUST_200600_302600_NS6detail15normal_iteratorINS9_10device_ptrItEEEENS9_16discard_iteratorINS9_11use_defaultEEEt11max_functorItEtEEDaPvRmT3_T4_T5_mT6_P12ihipStream_tbENKUlT_T0_E_clISt17integral_constantIbLb0EESX_EEDaSS_ST_EUlSS_E0_NS1_11comp_targetILNS1_3genE5ELNS1_11target_archE942ELNS1_3gpuE9ELNS1_3repE0EEENS1_30default_config_static_selectorELNS0_4arch9wavefront6targetE1EEEvT1_
    .private_segment_fixed_size: 0
    .sgpr_count:     4
    .sgpr_spill_count: 0
    .symbol:         _ZN7rocprim17ROCPRIM_400000_NS6detail17trampoline_kernelINS0_14default_configENS1_20scan_config_selectorItEEZZNS1_9scan_implILNS1_25lookback_scan_determinismE0ELb1ELb1ES3_N6thrust23THRUST_200600_302600_NS6detail15normal_iteratorINS9_10device_ptrItEEEENS9_16discard_iteratorINS9_11use_defaultEEEt11max_functorItEtEEDaPvRmT3_T4_T5_mT6_P12ihipStream_tbENKUlT_T0_E_clISt17integral_constantIbLb0EESX_EEDaSS_ST_EUlSS_E0_NS1_11comp_targetILNS1_3genE5ELNS1_11target_archE942ELNS1_3gpuE9ELNS1_3repE0EEENS1_30default_config_static_selectorELNS0_4arch9wavefront6targetE1EEEvT1_.kd
    .uniform_work_group_size: 1
    .uses_dynamic_stack: false
    .vgpr_count:     0
    .vgpr_spill_count: 0
    .wavefront_size: 64
  - .agpr_count:     0
    .args:
      - .offset:         0
        .size:           40
        .value_kind:     by_value
    .group_segment_fixed_size: 3072
    .kernarg_segment_align: 8
    .kernarg_segment_size: 40
    .language:       OpenCL C
    .language_version:
      - 2
      - 0
    .max_flat_workgroup_size: 64
    .name:           _ZN7rocprim17ROCPRIM_400000_NS6detail17trampoline_kernelINS0_14default_configENS1_20scan_config_selectorItEEZZNS1_9scan_implILNS1_25lookback_scan_determinismE0ELb1ELb1ES3_N6thrust23THRUST_200600_302600_NS6detail15normal_iteratorINS9_10device_ptrItEEEENS9_16discard_iteratorINS9_11use_defaultEEEt11max_functorItEtEEDaPvRmT3_T4_T5_mT6_P12ihipStream_tbENKUlT_T0_E_clISt17integral_constantIbLb0EESX_EEDaSS_ST_EUlSS_E0_NS1_11comp_targetILNS1_3genE4ELNS1_11target_archE910ELNS1_3gpuE8ELNS1_3repE0EEENS1_30default_config_static_selectorELNS0_4arch9wavefront6targetE1EEEvT1_
    .private_segment_fixed_size: 0
    .sgpr_count:     12
    .sgpr_spill_count: 0
    .symbol:         _ZN7rocprim17ROCPRIM_400000_NS6detail17trampoline_kernelINS0_14default_configENS1_20scan_config_selectorItEEZZNS1_9scan_implILNS1_25lookback_scan_determinismE0ELb1ELb1ES3_N6thrust23THRUST_200600_302600_NS6detail15normal_iteratorINS9_10device_ptrItEEEENS9_16discard_iteratorINS9_11use_defaultEEEt11max_functorItEtEEDaPvRmT3_T4_T5_mT6_P12ihipStream_tbENKUlT_T0_E_clISt17integral_constantIbLb0EESX_EEDaSS_ST_EUlSS_E0_NS1_11comp_targetILNS1_3genE4ELNS1_11target_archE910ELNS1_3gpuE8ELNS1_3repE0EEENS1_30default_config_static_selectorELNS0_4arch9wavefront6targetE1EEEvT1_.kd
    .uniform_work_group_size: 1
    .uses_dynamic_stack: false
    .vgpr_count:     29
    .vgpr_spill_count: 0
    .wavefront_size: 64
  - .agpr_count:     0
    .args:
      - .offset:         0
        .size:           40
        .value_kind:     by_value
    .group_segment_fixed_size: 0
    .kernarg_segment_align: 8
    .kernarg_segment_size: 40
    .language:       OpenCL C
    .language_version:
      - 2
      - 0
    .max_flat_workgroup_size: 128
    .name:           _ZN7rocprim17ROCPRIM_400000_NS6detail17trampoline_kernelINS0_14default_configENS1_20scan_config_selectorItEEZZNS1_9scan_implILNS1_25lookback_scan_determinismE0ELb1ELb1ES3_N6thrust23THRUST_200600_302600_NS6detail15normal_iteratorINS9_10device_ptrItEEEENS9_16discard_iteratorINS9_11use_defaultEEEt11max_functorItEtEEDaPvRmT3_T4_T5_mT6_P12ihipStream_tbENKUlT_T0_E_clISt17integral_constantIbLb0EESX_EEDaSS_ST_EUlSS_E0_NS1_11comp_targetILNS1_3genE3ELNS1_11target_archE908ELNS1_3gpuE7ELNS1_3repE0EEENS1_30default_config_static_selectorELNS0_4arch9wavefront6targetE1EEEvT1_
    .private_segment_fixed_size: 0
    .sgpr_count:     4
    .sgpr_spill_count: 0
    .symbol:         _ZN7rocprim17ROCPRIM_400000_NS6detail17trampoline_kernelINS0_14default_configENS1_20scan_config_selectorItEEZZNS1_9scan_implILNS1_25lookback_scan_determinismE0ELb1ELb1ES3_N6thrust23THRUST_200600_302600_NS6detail15normal_iteratorINS9_10device_ptrItEEEENS9_16discard_iteratorINS9_11use_defaultEEEt11max_functorItEtEEDaPvRmT3_T4_T5_mT6_P12ihipStream_tbENKUlT_T0_E_clISt17integral_constantIbLb0EESX_EEDaSS_ST_EUlSS_E0_NS1_11comp_targetILNS1_3genE3ELNS1_11target_archE908ELNS1_3gpuE7ELNS1_3repE0EEENS1_30default_config_static_selectorELNS0_4arch9wavefront6targetE1EEEvT1_.kd
    .uniform_work_group_size: 1
    .uses_dynamic_stack: false
    .vgpr_count:     0
    .vgpr_spill_count: 0
    .wavefront_size: 64
  - .agpr_count:     0
    .args:
      - .offset:         0
        .size:           40
        .value_kind:     by_value
    .group_segment_fixed_size: 0
    .kernarg_segment_align: 8
    .kernarg_segment_size: 40
    .language:       OpenCL C
    .language_version:
      - 2
      - 0
    .max_flat_workgroup_size: 256
    .name:           _ZN7rocprim17ROCPRIM_400000_NS6detail17trampoline_kernelINS0_14default_configENS1_20scan_config_selectorItEEZZNS1_9scan_implILNS1_25lookback_scan_determinismE0ELb1ELb1ES3_N6thrust23THRUST_200600_302600_NS6detail15normal_iteratorINS9_10device_ptrItEEEENS9_16discard_iteratorINS9_11use_defaultEEEt11max_functorItEtEEDaPvRmT3_T4_T5_mT6_P12ihipStream_tbENKUlT_T0_E_clISt17integral_constantIbLb0EESX_EEDaSS_ST_EUlSS_E0_NS1_11comp_targetILNS1_3genE2ELNS1_11target_archE906ELNS1_3gpuE6ELNS1_3repE0EEENS1_30default_config_static_selectorELNS0_4arch9wavefront6targetE1EEEvT1_
    .private_segment_fixed_size: 0
    .sgpr_count:     4
    .sgpr_spill_count: 0
    .symbol:         _ZN7rocprim17ROCPRIM_400000_NS6detail17trampoline_kernelINS0_14default_configENS1_20scan_config_selectorItEEZZNS1_9scan_implILNS1_25lookback_scan_determinismE0ELb1ELb1ES3_N6thrust23THRUST_200600_302600_NS6detail15normal_iteratorINS9_10device_ptrItEEEENS9_16discard_iteratorINS9_11use_defaultEEEt11max_functorItEtEEDaPvRmT3_T4_T5_mT6_P12ihipStream_tbENKUlT_T0_E_clISt17integral_constantIbLb0EESX_EEDaSS_ST_EUlSS_E0_NS1_11comp_targetILNS1_3genE2ELNS1_11target_archE906ELNS1_3gpuE6ELNS1_3repE0EEENS1_30default_config_static_selectorELNS0_4arch9wavefront6targetE1EEEvT1_.kd
    .uniform_work_group_size: 1
    .uses_dynamic_stack: false
    .vgpr_count:     0
    .vgpr_spill_count: 0
    .wavefront_size: 64
  - .agpr_count:     0
    .args:
      - .offset:         0
        .size:           40
        .value_kind:     by_value
    .group_segment_fixed_size: 0
    .kernarg_segment_align: 8
    .kernarg_segment_size: 40
    .language:       OpenCL C
    .language_version:
      - 2
      - 0
    .max_flat_workgroup_size: 256
    .name:           _ZN7rocprim17ROCPRIM_400000_NS6detail17trampoline_kernelINS0_14default_configENS1_20scan_config_selectorItEEZZNS1_9scan_implILNS1_25lookback_scan_determinismE0ELb1ELb1ES3_N6thrust23THRUST_200600_302600_NS6detail15normal_iteratorINS9_10device_ptrItEEEENS9_16discard_iteratorINS9_11use_defaultEEEt11max_functorItEtEEDaPvRmT3_T4_T5_mT6_P12ihipStream_tbENKUlT_T0_E_clISt17integral_constantIbLb0EESX_EEDaSS_ST_EUlSS_E0_NS1_11comp_targetILNS1_3genE10ELNS1_11target_archE1201ELNS1_3gpuE5ELNS1_3repE0EEENS1_30default_config_static_selectorELNS0_4arch9wavefront6targetE1EEEvT1_
    .private_segment_fixed_size: 0
    .sgpr_count:     4
    .sgpr_spill_count: 0
    .symbol:         _ZN7rocprim17ROCPRIM_400000_NS6detail17trampoline_kernelINS0_14default_configENS1_20scan_config_selectorItEEZZNS1_9scan_implILNS1_25lookback_scan_determinismE0ELb1ELb1ES3_N6thrust23THRUST_200600_302600_NS6detail15normal_iteratorINS9_10device_ptrItEEEENS9_16discard_iteratorINS9_11use_defaultEEEt11max_functorItEtEEDaPvRmT3_T4_T5_mT6_P12ihipStream_tbENKUlT_T0_E_clISt17integral_constantIbLb0EESX_EEDaSS_ST_EUlSS_E0_NS1_11comp_targetILNS1_3genE10ELNS1_11target_archE1201ELNS1_3gpuE5ELNS1_3repE0EEENS1_30default_config_static_selectorELNS0_4arch9wavefront6targetE1EEEvT1_.kd
    .uniform_work_group_size: 1
    .uses_dynamic_stack: false
    .vgpr_count:     0
    .vgpr_spill_count: 0
    .wavefront_size: 64
  - .agpr_count:     0
    .args:
      - .offset:         0
        .size:           40
        .value_kind:     by_value
    .group_segment_fixed_size: 0
    .kernarg_segment_align: 8
    .kernarg_segment_size: 40
    .language:       OpenCL C
    .language_version:
      - 2
      - 0
    .max_flat_workgroup_size: 256
    .name:           _ZN7rocprim17ROCPRIM_400000_NS6detail17trampoline_kernelINS0_14default_configENS1_20scan_config_selectorItEEZZNS1_9scan_implILNS1_25lookback_scan_determinismE0ELb1ELb1ES3_N6thrust23THRUST_200600_302600_NS6detail15normal_iteratorINS9_10device_ptrItEEEENS9_16discard_iteratorINS9_11use_defaultEEEt11max_functorItEtEEDaPvRmT3_T4_T5_mT6_P12ihipStream_tbENKUlT_T0_E_clISt17integral_constantIbLb0EESX_EEDaSS_ST_EUlSS_E0_NS1_11comp_targetILNS1_3genE10ELNS1_11target_archE1200ELNS1_3gpuE4ELNS1_3repE0EEENS1_30default_config_static_selectorELNS0_4arch9wavefront6targetE1EEEvT1_
    .private_segment_fixed_size: 0
    .sgpr_count:     4
    .sgpr_spill_count: 0
    .symbol:         _ZN7rocprim17ROCPRIM_400000_NS6detail17trampoline_kernelINS0_14default_configENS1_20scan_config_selectorItEEZZNS1_9scan_implILNS1_25lookback_scan_determinismE0ELb1ELb1ES3_N6thrust23THRUST_200600_302600_NS6detail15normal_iteratorINS9_10device_ptrItEEEENS9_16discard_iteratorINS9_11use_defaultEEEt11max_functorItEtEEDaPvRmT3_T4_T5_mT6_P12ihipStream_tbENKUlT_T0_E_clISt17integral_constantIbLb0EESX_EEDaSS_ST_EUlSS_E0_NS1_11comp_targetILNS1_3genE10ELNS1_11target_archE1200ELNS1_3gpuE4ELNS1_3repE0EEENS1_30default_config_static_selectorELNS0_4arch9wavefront6targetE1EEEvT1_.kd
    .uniform_work_group_size: 1
    .uses_dynamic_stack: false
    .vgpr_count:     0
    .vgpr_spill_count: 0
    .wavefront_size: 64
  - .agpr_count:     0
    .args:
      - .offset:         0
        .size:           40
        .value_kind:     by_value
    .group_segment_fixed_size: 0
    .kernarg_segment_align: 8
    .kernarg_segment_size: 40
    .language:       OpenCL C
    .language_version:
      - 2
      - 0
    .max_flat_workgroup_size: 64
    .name:           _ZN7rocprim17ROCPRIM_400000_NS6detail17trampoline_kernelINS0_14default_configENS1_20scan_config_selectorItEEZZNS1_9scan_implILNS1_25lookback_scan_determinismE0ELb1ELb1ES3_N6thrust23THRUST_200600_302600_NS6detail15normal_iteratorINS9_10device_ptrItEEEENS9_16discard_iteratorINS9_11use_defaultEEEt11max_functorItEtEEDaPvRmT3_T4_T5_mT6_P12ihipStream_tbENKUlT_T0_E_clISt17integral_constantIbLb0EESX_EEDaSS_ST_EUlSS_E0_NS1_11comp_targetILNS1_3genE9ELNS1_11target_archE1100ELNS1_3gpuE3ELNS1_3repE0EEENS1_30default_config_static_selectorELNS0_4arch9wavefront6targetE1EEEvT1_
    .private_segment_fixed_size: 0
    .sgpr_count:     4
    .sgpr_spill_count: 0
    .symbol:         _ZN7rocprim17ROCPRIM_400000_NS6detail17trampoline_kernelINS0_14default_configENS1_20scan_config_selectorItEEZZNS1_9scan_implILNS1_25lookback_scan_determinismE0ELb1ELb1ES3_N6thrust23THRUST_200600_302600_NS6detail15normal_iteratorINS9_10device_ptrItEEEENS9_16discard_iteratorINS9_11use_defaultEEEt11max_functorItEtEEDaPvRmT3_T4_T5_mT6_P12ihipStream_tbENKUlT_T0_E_clISt17integral_constantIbLb0EESX_EEDaSS_ST_EUlSS_E0_NS1_11comp_targetILNS1_3genE9ELNS1_11target_archE1100ELNS1_3gpuE3ELNS1_3repE0EEENS1_30default_config_static_selectorELNS0_4arch9wavefront6targetE1EEEvT1_.kd
    .uniform_work_group_size: 1
    .uses_dynamic_stack: false
    .vgpr_count:     0
    .vgpr_spill_count: 0
    .wavefront_size: 64
  - .agpr_count:     0
    .args:
      - .offset:         0
        .size:           40
        .value_kind:     by_value
    .group_segment_fixed_size: 0
    .kernarg_segment_align: 8
    .kernarg_segment_size: 40
    .language:       OpenCL C
    .language_version:
      - 2
      - 0
    .max_flat_workgroup_size: 64
    .name:           _ZN7rocprim17ROCPRIM_400000_NS6detail17trampoline_kernelINS0_14default_configENS1_20scan_config_selectorItEEZZNS1_9scan_implILNS1_25lookback_scan_determinismE0ELb1ELb1ES3_N6thrust23THRUST_200600_302600_NS6detail15normal_iteratorINS9_10device_ptrItEEEENS9_16discard_iteratorINS9_11use_defaultEEEt11max_functorItEtEEDaPvRmT3_T4_T5_mT6_P12ihipStream_tbENKUlT_T0_E_clISt17integral_constantIbLb0EESX_EEDaSS_ST_EUlSS_E0_NS1_11comp_targetILNS1_3genE8ELNS1_11target_archE1030ELNS1_3gpuE2ELNS1_3repE0EEENS1_30default_config_static_selectorELNS0_4arch9wavefront6targetE1EEEvT1_
    .private_segment_fixed_size: 0
    .sgpr_count:     4
    .sgpr_spill_count: 0
    .symbol:         _ZN7rocprim17ROCPRIM_400000_NS6detail17trampoline_kernelINS0_14default_configENS1_20scan_config_selectorItEEZZNS1_9scan_implILNS1_25lookback_scan_determinismE0ELb1ELb1ES3_N6thrust23THRUST_200600_302600_NS6detail15normal_iteratorINS9_10device_ptrItEEEENS9_16discard_iteratorINS9_11use_defaultEEEt11max_functorItEtEEDaPvRmT3_T4_T5_mT6_P12ihipStream_tbENKUlT_T0_E_clISt17integral_constantIbLb0EESX_EEDaSS_ST_EUlSS_E0_NS1_11comp_targetILNS1_3genE8ELNS1_11target_archE1030ELNS1_3gpuE2ELNS1_3repE0EEENS1_30default_config_static_selectorELNS0_4arch9wavefront6targetE1EEEvT1_.kd
    .uniform_work_group_size: 1
    .uses_dynamic_stack: false
    .vgpr_count:     0
    .vgpr_spill_count: 0
    .wavefront_size: 64
  - .agpr_count:     0
    .args:
      - .offset:         0
        .size:           104
        .value_kind:     by_value
    .group_segment_fixed_size: 0
    .kernarg_segment_align: 8
    .kernarg_segment_size: 104
    .language:       OpenCL C
    .language_version:
      - 2
      - 0
    .max_flat_workgroup_size: 128
    .name:           _ZN7rocprim17ROCPRIM_400000_NS6detail17trampoline_kernelINS0_14default_configENS1_20scan_config_selectorItEEZZNS1_9scan_implILNS1_25lookback_scan_determinismE0ELb1ELb1ES3_N6thrust23THRUST_200600_302600_NS6detail15normal_iteratorINS9_10device_ptrItEEEENS9_16discard_iteratorINS9_11use_defaultEEEt11max_functorItEtEEDaPvRmT3_T4_T5_mT6_P12ihipStream_tbENKUlT_T0_E_clISt17integral_constantIbLb1EESX_EEDaSS_ST_EUlSS_E_NS1_11comp_targetILNS1_3genE0ELNS1_11target_archE4294967295ELNS1_3gpuE0ELNS1_3repE0EEENS1_30default_config_static_selectorELNS0_4arch9wavefront6targetE1EEEvT1_
    .private_segment_fixed_size: 0
    .sgpr_count:     4
    .sgpr_spill_count: 0
    .symbol:         _ZN7rocprim17ROCPRIM_400000_NS6detail17trampoline_kernelINS0_14default_configENS1_20scan_config_selectorItEEZZNS1_9scan_implILNS1_25lookback_scan_determinismE0ELb1ELb1ES3_N6thrust23THRUST_200600_302600_NS6detail15normal_iteratorINS9_10device_ptrItEEEENS9_16discard_iteratorINS9_11use_defaultEEEt11max_functorItEtEEDaPvRmT3_T4_T5_mT6_P12ihipStream_tbENKUlT_T0_E_clISt17integral_constantIbLb1EESX_EEDaSS_ST_EUlSS_E_NS1_11comp_targetILNS1_3genE0ELNS1_11target_archE4294967295ELNS1_3gpuE0ELNS1_3repE0EEENS1_30default_config_static_selectorELNS0_4arch9wavefront6targetE1EEEvT1_.kd
    .uniform_work_group_size: 1
    .uses_dynamic_stack: false
    .vgpr_count:     0
    .vgpr_spill_count: 0
    .wavefront_size: 64
  - .agpr_count:     0
    .args:
      - .offset:         0
        .size:           104
        .value_kind:     by_value
    .group_segment_fixed_size: 0
    .kernarg_segment_align: 8
    .kernarg_segment_size: 104
    .language:       OpenCL C
    .language_version:
      - 2
      - 0
    .max_flat_workgroup_size: 256
    .name:           _ZN7rocprim17ROCPRIM_400000_NS6detail17trampoline_kernelINS0_14default_configENS1_20scan_config_selectorItEEZZNS1_9scan_implILNS1_25lookback_scan_determinismE0ELb1ELb1ES3_N6thrust23THRUST_200600_302600_NS6detail15normal_iteratorINS9_10device_ptrItEEEENS9_16discard_iteratorINS9_11use_defaultEEEt11max_functorItEtEEDaPvRmT3_T4_T5_mT6_P12ihipStream_tbENKUlT_T0_E_clISt17integral_constantIbLb1EESX_EEDaSS_ST_EUlSS_E_NS1_11comp_targetILNS1_3genE5ELNS1_11target_archE942ELNS1_3gpuE9ELNS1_3repE0EEENS1_30default_config_static_selectorELNS0_4arch9wavefront6targetE1EEEvT1_
    .private_segment_fixed_size: 0
    .sgpr_count:     4
    .sgpr_spill_count: 0
    .symbol:         _ZN7rocprim17ROCPRIM_400000_NS6detail17trampoline_kernelINS0_14default_configENS1_20scan_config_selectorItEEZZNS1_9scan_implILNS1_25lookback_scan_determinismE0ELb1ELb1ES3_N6thrust23THRUST_200600_302600_NS6detail15normal_iteratorINS9_10device_ptrItEEEENS9_16discard_iteratorINS9_11use_defaultEEEt11max_functorItEtEEDaPvRmT3_T4_T5_mT6_P12ihipStream_tbENKUlT_T0_E_clISt17integral_constantIbLb1EESX_EEDaSS_ST_EUlSS_E_NS1_11comp_targetILNS1_3genE5ELNS1_11target_archE942ELNS1_3gpuE9ELNS1_3repE0EEENS1_30default_config_static_selectorELNS0_4arch9wavefront6targetE1EEEvT1_.kd
    .uniform_work_group_size: 1
    .uses_dynamic_stack: false
    .vgpr_count:     0
    .vgpr_spill_count: 0
    .wavefront_size: 64
  - .agpr_count:     0
    .args:
      - .offset:         0
        .size:           104
        .value_kind:     by_value
    .group_segment_fixed_size: 3072
    .kernarg_segment_align: 8
    .kernarg_segment_size: 104
    .language:       OpenCL C
    .language_version:
      - 2
      - 0
    .max_flat_workgroup_size: 64
    .name:           _ZN7rocprim17ROCPRIM_400000_NS6detail17trampoline_kernelINS0_14default_configENS1_20scan_config_selectorItEEZZNS1_9scan_implILNS1_25lookback_scan_determinismE0ELb1ELb1ES3_N6thrust23THRUST_200600_302600_NS6detail15normal_iteratorINS9_10device_ptrItEEEENS9_16discard_iteratorINS9_11use_defaultEEEt11max_functorItEtEEDaPvRmT3_T4_T5_mT6_P12ihipStream_tbENKUlT_T0_E_clISt17integral_constantIbLb1EESX_EEDaSS_ST_EUlSS_E_NS1_11comp_targetILNS1_3genE4ELNS1_11target_archE910ELNS1_3gpuE8ELNS1_3repE0EEENS1_30default_config_static_selectorELNS0_4arch9wavefront6targetE1EEEvT1_
    .private_segment_fixed_size: 0
    .sgpr_count:     36
    .sgpr_spill_count: 0
    .symbol:         _ZN7rocprim17ROCPRIM_400000_NS6detail17trampoline_kernelINS0_14default_configENS1_20scan_config_selectorItEEZZNS1_9scan_implILNS1_25lookback_scan_determinismE0ELb1ELb1ES3_N6thrust23THRUST_200600_302600_NS6detail15normal_iteratorINS9_10device_ptrItEEEENS9_16discard_iteratorINS9_11use_defaultEEEt11max_functorItEtEEDaPvRmT3_T4_T5_mT6_P12ihipStream_tbENKUlT_T0_E_clISt17integral_constantIbLb1EESX_EEDaSS_ST_EUlSS_E_NS1_11comp_targetILNS1_3genE4ELNS1_11target_archE910ELNS1_3gpuE8ELNS1_3repE0EEENS1_30default_config_static_selectorELNS0_4arch9wavefront6targetE1EEEvT1_.kd
    .uniform_work_group_size: 1
    .uses_dynamic_stack: false
    .vgpr_count:     57
    .vgpr_spill_count: 0
    .wavefront_size: 64
  - .agpr_count:     0
    .args:
      - .offset:         0
        .size:           104
        .value_kind:     by_value
    .group_segment_fixed_size: 0
    .kernarg_segment_align: 8
    .kernarg_segment_size: 104
    .language:       OpenCL C
    .language_version:
      - 2
      - 0
    .max_flat_workgroup_size: 128
    .name:           _ZN7rocprim17ROCPRIM_400000_NS6detail17trampoline_kernelINS0_14default_configENS1_20scan_config_selectorItEEZZNS1_9scan_implILNS1_25lookback_scan_determinismE0ELb1ELb1ES3_N6thrust23THRUST_200600_302600_NS6detail15normal_iteratorINS9_10device_ptrItEEEENS9_16discard_iteratorINS9_11use_defaultEEEt11max_functorItEtEEDaPvRmT3_T4_T5_mT6_P12ihipStream_tbENKUlT_T0_E_clISt17integral_constantIbLb1EESX_EEDaSS_ST_EUlSS_E_NS1_11comp_targetILNS1_3genE3ELNS1_11target_archE908ELNS1_3gpuE7ELNS1_3repE0EEENS1_30default_config_static_selectorELNS0_4arch9wavefront6targetE1EEEvT1_
    .private_segment_fixed_size: 0
    .sgpr_count:     4
    .sgpr_spill_count: 0
    .symbol:         _ZN7rocprim17ROCPRIM_400000_NS6detail17trampoline_kernelINS0_14default_configENS1_20scan_config_selectorItEEZZNS1_9scan_implILNS1_25lookback_scan_determinismE0ELb1ELb1ES3_N6thrust23THRUST_200600_302600_NS6detail15normal_iteratorINS9_10device_ptrItEEEENS9_16discard_iteratorINS9_11use_defaultEEEt11max_functorItEtEEDaPvRmT3_T4_T5_mT6_P12ihipStream_tbENKUlT_T0_E_clISt17integral_constantIbLb1EESX_EEDaSS_ST_EUlSS_E_NS1_11comp_targetILNS1_3genE3ELNS1_11target_archE908ELNS1_3gpuE7ELNS1_3repE0EEENS1_30default_config_static_selectorELNS0_4arch9wavefront6targetE1EEEvT1_.kd
    .uniform_work_group_size: 1
    .uses_dynamic_stack: false
    .vgpr_count:     0
    .vgpr_spill_count: 0
    .wavefront_size: 64
  - .agpr_count:     0
    .args:
      - .offset:         0
        .size:           104
        .value_kind:     by_value
    .group_segment_fixed_size: 0
    .kernarg_segment_align: 8
    .kernarg_segment_size: 104
    .language:       OpenCL C
    .language_version:
      - 2
      - 0
    .max_flat_workgroup_size: 256
    .name:           _ZN7rocprim17ROCPRIM_400000_NS6detail17trampoline_kernelINS0_14default_configENS1_20scan_config_selectorItEEZZNS1_9scan_implILNS1_25lookback_scan_determinismE0ELb1ELb1ES3_N6thrust23THRUST_200600_302600_NS6detail15normal_iteratorINS9_10device_ptrItEEEENS9_16discard_iteratorINS9_11use_defaultEEEt11max_functorItEtEEDaPvRmT3_T4_T5_mT6_P12ihipStream_tbENKUlT_T0_E_clISt17integral_constantIbLb1EESX_EEDaSS_ST_EUlSS_E_NS1_11comp_targetILNS1_3genE2ELNS1_11target_archE906ELNS1_3gpuE6ELNS1_3repE0EEENS1_30default_config_static_selectorELNS0_4arch9wavefront6targetE1EEEvT1_
    .private_segment_fixed_size: 0
    .sgpr_count:     4
    .sgpr_spill_count: 0
    .symbol:         _ZN7rocprim17ROCPRIM_400000_NS6detail17trampoline_kernelINS0_14default_configENS1_20scan_config_selectorItEEZZNS1_9scan_implILNS1_25lookback_scan_determinismE0ELb1ELb1ES3_N6thrust23THRUST_200600_302600_NS6detail15normal_iteratorINS9_10device_ptrItEEEENS9_16discard_iteratorINS9_11use_defaultEEEt11max_functorItEtEEDaPvRmT3_T4_T5_mT6_P12ihipStream_tbENKUlT_T0_E_clISt17integral_constantIbLb1EESX_EEDaSS_ST_EUlSS_E_NS1_11comp_targetILNS1_3genE2ELNS1_11target_archE906ELNS1_3gpuE6ELNS1_3repE0EEENS1_30default_config_static_selectorELNS0_4arch9wavefront6targetE1EEEvT1_.kd
    .uniform_work_group_size: 1
    .uses_dynamic_stack: false
    .vgpr_count:     0
    .vgpr_spill_count: 0
    .wavefront_size: 64
  - .agpr_count:     0
    .args:
      - .offset:         0
        .size:           104
        .value_kind:     by_value
    .group_segment_fixed_size: 0
    .kernarg_segment_align: 8
    .kernarg_segment_size: 104
    .language:       OpenCL C
    .language_version:
      - 2
      - 0
    .max_flat_workgroup_size: 256
    .name:           _ZN7rocprim17ROCPRIM_400000_NS6detail17trampoline_kernelINS0_14default_configENS1_20scan_config_selectorItEEZZNS1_9scan_implILNS1_25lookback_scan_determinismE0ELb1ELb1ES3_N6thrust23THRUST_200600_302600_NS6detail15normal_iteratorINS9_10device_ptrItEEEENS9_16discard_iteratorINS9_11use_defaultEEEt11max_functorItEtEEDaPvRmT3_T4_T5_mT6_P12ihipStream_tbENKUlT_T0_E_clISt17integral_constantIbLb1EESX_EEDaSS_ST_EUlSS_E_NS1_11comp_targetILNS1_3genE10ELNS1_11target_archE1201ELNS1_3gpuE5ELNS1_3repE0EEENS1_30default_config_static_selectorELNS0_4arch9wavefront6targetE1EEEvT1_
    .private_segment_fixed_size: 0
    .sgpr_count:     4
    .sgpr_spill_count: 0
    .symbol:         _ZN7rocprim17ROCPRIM_400000_NS6detail17trampoline_kernelINS0_14default_configENS1_20scan_config_selectorItEEZZNS1_9scan_implILNS1_25lookback_scan_determinismE0ELb1ELb1ES3_N6thrust23THRUST_200600_302600_NS6detail15normal_iteratorINS9_10device_ptrItEEEENS9_16discard_iteratorINS9_11use_defaultEEEt11max_functorItEtEEDaPvRmT3_T4_T5_mT6_P12ihipStream_tbENKUlT_T0_E_clISt17integral_constantIbLb1EESX_EEDaSS_ST_EUlSS_E_NS1_11comp_targetILNS1_3genE10ELNS1_11target_archE1201ELNS1_3gpuE5ELNS1_3repE0EEENS1_30default_config_static_selectorELNS0_4arch9wavefront6targetE1EEEvT1_.kd
    .uniform_work_group_size: 1
    .uses_dynamic_stack: false
    .vgpr_count:     0
    .vgpr_spill_count: 0
    .wavefront_size: 64
  - .agpr_count:     0
    .args:
      - .offset:         0
        .size:           104
        .value_kind:     by_value
    .group_segment_fixed_size: 0
    .kernarg_segment_align: 8
    .kernarg_segment_size: 104
    .language:       OpenCL C
    .language_version:
      - 2
      - 0
    .max_flat_workgroup_size: 256
    .name:           _ZN7rocprim17ROCPRIM_400000_NS6detail17trampoline_kernelINS0_14default_configENS1_20scan_config_selectorItEEZZNS1_9scan_implILNS1_25lookback_scan_determinismE0ELb1ELb1ES3_N6thrust23THRUST_200600_302600_NS6detail15normal_iteratorINS9_10device_ptrItEEEENS9_16discard_iteratorINS9_11use_defaultEEEt11max_functorItEtEEDaPvRmT3_T4_T5_mT6_P12ihipStream_tbENKUlT_T0_E_clISt17integral_constantIbLb1EESX_EEDaSS_ST_EUlSS_E_NS1_11comp_targetILNS1_3genE10ELNS1_11target_archE1200ELNS1_3gpuE4ELNS1_3repE0EEENS1_30default_config_static_selectorELNS0_4arch9wavefront6targetE1EEEvT1_
    .private_segment_fixed_size: 0
    .sgpr_count:     4
    .sgpr_spill_count: 0
    .symbol:         _ZN7rocprim17ROCPRIM_400000_NS6detail17trampoline_kernelINS0_14default_configENS1_20scan_config_selectorItEEZZNS1_9scan_implILNS1_25lookback_scan_determinismE0ELb1ELb1ES3_N6thrust23THRUST_200600_302600_NS6detail15normal_iteratorINS9_10device_ptrItEEEENS9_16discard_iteratorINS9_11use_defaultEEEt11max_functorItEtEEDaPvRmT3_T4_T5_mT6_P12ihipStream_tbENKUlT_T0_E_clISt17integral_constantIbLb1EESX_EEDaSS_ST_EUlSS_E_NS1_11comp_targetILNS1_3genE10ELNS1_11target_archE1200ELNS1_3gpuE4ELNS1_3repE0EEENS1_30default_config_static_selectorELNS0_4arch9wavefront6targetE1EEEvT1_.kd
    .uniform_work_group_size: 1
    .uses_dynamic_stack: false
    .vgpr_count:     0
    .vgpr_spill_count: 0
    .wavefront_size: 64
  - .agpr_count:     0
    .args:
      - .offset:         0
        .size:           104
        .value_kind:     by_value
    .group_segment_fixed_size: 0
    .kernarg_segment_align: 8
    .kernarg_segment_size: 104
    .language:       OpenCL C
    .language_version:
      - 2
      - 0
    .max_flat_workgroup_size: 64
    .name:           _ZN7rocprim17ROCPRIM_400000_NS6detail17trampoline_kernelINS0_14default_configENS1_20scan_config_selectorItEEZZNS1_9scan_implILNS1_25lookback_scan_determinismE0ELb1ELb1ES3_N6thrust23THRUST_200600_302600_NS6detail15normal_iteratorINS9_10device_ptrItEEEENS9_16discard_iteratorINS9_11use_defaultEEEt11max_functorItEtEEDaPvRmT3_T4_T5_mT6_P12ihipStream_tbENKUlT_T0_E_clISt17integral_constantIbLb1EESX_EEDaSS_ST_EUlSS_E_NS1_11comp_targetILNS1_3genE9ELNS1_11target_archE1100ELNS1_3gpuE3ELNS1_3repE0EEENS1_30default_config_static_selectorELNS0_4arch9wavefront6targetE1EEEvT1_
    .private_segment_fixed_size: 0
    .sgpr_count:     4
    .sgpr_spill_count: 0
    .symbol:         _ZN7rocprim17ROCPRIM_400000_NS6detail17trampoline_kernelINS0_14default_configENS1_20scan_config_selectorItEEZZNS1_9scan_implILNS1_25lookback_scan_determinismE0ELb1ELb1ES3_N6thrust23THRUST_200600_302600_NS6detail15normal_iteratorINS9_10device_ptrItEEEENS9_16discard_iteratorINS9_11use_defaultEEEt11max_functorItEtEEDaPvRmT3_T4_T5_mT6_P12ihipStream_tbENKUlT_T0_E_clISt17integral_constantIbLb1EESX_EEDaSS_ST_EUlSS_E_NS1_11comp_targetILNS1_3genE9ELNS1_11target_archE1100ELNS1_3gpuE3ELNS1_3repE0EEENS1_30default_config_static_selectorELNS0_4arch9wavefront6targetE1EEEvT1_.kd
    .uniform_work_group_size: 1
    .uses_dynamic_stack: false
    .vgpr_count:     0
    .vgpr_spill_count: 0
    .wavefront_size: 64
  - .agpr_count:     0
    .args:
      - .offset:         0
        .size:           104
        .value_kind:     by_value
    .group_segment_fixed_size: 0
    .kernarg_segment_align: 8
    .kernarg_segment_size: 104
    .language:       OpenCL C
    .language_version:
      - 2
      - 0
    .max_flat_workgroup_size: 64
    .name:           _ZN7rocprim17ROCPRIM_400000_NS6detail17trampoline_kernelINS0_14default_configENS1_20scan_config_selectorItEEZZNS1_9scan_implILNS1_25lookback_scan_determinismE0ELb1ELb1ES3_N6thrust23THRUST_200600_302600_NS6detail15normal_iteratorINS9_10device_ptrItEEEENS9_16discard_iteratorINS9_11use_defaultEEEt11max_functorItEtEEDaPvRmT3_T4_T5_mT6_P12ihipStream_tbENKUlT_T0_E_clISt17integral_constantIbLb1EESX_EEDaSS_ST_EUlSS_E_NS1_11comp_targetILNS1_3genE8ELNS1_11target_archE1030ELNS1_3gpuE2ELNS1_3repE0EEENS1_30default_config_static_selectorELNS0_4arch9wavefront6targetE1EEEvT1_
    .private_segment_fixed_size: 0
    .sgpr_count:     4
    .sgpr_spill_count: 0
    .symbol:         _ZN7rocprim17ROCPRIM_400000_NS6detail17trampoline_kernelINS0_14default_configENS1_20scan_config_selectorItEEZZNS1_9scan_implILNS1_25lookback_scan_determinismE0ELb1ELb1ES3_N6thrust23THRUST_200600_302600_NS6detail15normal_iteratorINS9_10device_ptrItEEEENS9_16discard_iteratorINS9_11use_defaultEEEt11max_functorItEtEEDaPvRmT3_T4_T5_mT6_P12ihipStream_tbENKUlT_T0_E_clISt17integral_constantIbLb1EESX_EEDaSS_ST_EUlSS_E_NS1_11comp_targetILNS1_3genE8ELNS1_11target_archE1030ELNS1_3gpuE2ELNS1_3repE0EEENS1_30default_config_static_selectorELNS0_4arch9wavefront6targetE1EEEvT1_.kd
    .uniform_work_group_size: 1
    .uses_dynamic_stack: false
    .vgpr_count:     0
    .vgpr_spill_count: 0
    .wavefront_size: 64
  - .agpr_count:     0
    .args:
      - .offset:         0
        .size:           40
        .value_kind:     by_value
    .group_segment_fixed_size: 0
    .kernarg_segment_align: 8
    .kernarg_segment_size: 40
    .language:       OpenCL C
    .language_version:
      - 2
      - 0
    .max_flat_workgroup_size: 128
    .name:           _ZN7rocprim17ROCPRIM_400000_NS6detail17trampoline_kernelINS0_14default_configENS1_20scan_config_selectorItEEZZNS1_9scan_implILNS1_25lookback_scan_determinismE0ELb1ELb1ES3_N6thrust23THRUST_200600_302600_NS6detail15normal_iteratorINS9_10device_ptrItEEEENS9_16discard_iteratorINS9_11use_defaultEEEt11max_functorItEtEEDaPvRmT3_T4_T5_mT6_P12ihipStream_tbENKUlT_T0_E_clISt17integral_constantIbLb1EESX_EEDaSS_ST_EUlSS_E0_NS1_11comp_targetILNS1_3genE0ELNS1_11target_archE4294967295ELNS1_3gpuE0ELNS1_3repE0EEENS1_30default_config_static_selectorELNS0_4arch9wavefront6targetE1EEEvT1_
    .private_segment_fixed_size: 0
    .sgpr_count:     4
    .sgpr_spill_count: 0
    .symbol:         _ZN7rocprim17ROCPRIM_400000_NS6detail17trampoline_kernelINS0_14default_configENS1_20scan_config_selectorItEEZZNS1_9scan_implILNS1_25lookback_scan_determinismE0ELb1ELb1ES3_N6thrust23THRUST_200600_302600_NS6detail15normal_iteratorINS9_10device_ptrItEEEENS9_16discard_iteratorINS9_11use_defaultEEEt11max_functorItEtEEDaPvRmT3_T4_T5_mT6_P12ihipStream_tbENKUlT_T0_E_clISt17integral_constantIbLb1EESX_EEDaSS_ST_EUlSS_E0_NS1_11comp_targetILNS1_3genE0ELNS1_11target_archE4294967295ELNS1_3gpuE0ELNS1_3repE0EEENS1_30default_config_static_selectorELNS0_4arch9wavefront6targetE1EEEvT1_.kd
    .uniform_work_group_size: 1
    .uses_dynamic_stack: false
    .vgpr_count:     0
    .vgpr_spill_count: 0
    .wavefront_size: 64
  - .agpr_count:     0
    .args:
      - .offset:         0
        .size:           40
        .value_kind:     by_value
    .group_segment_fixed_size: 0
    .kernarg_segment_align: 8
    .kernarg_segment_size: 40
    .language:       OpenCL C
    .language_version:
      - 2
      - 0
    .max_flat_workgroup_size: 256
    .name:           _ZN7rocprim17ROCPRIM_400000_NS6detail17trampoline_kernelINS0_14default_configENS1_20scan_config_selectorItEEZZNS1_9scan_implILNS1_25lookback_scan_determinismE0ELb1ELb1ES3_N6thrust23THRUST_200600_302600_NS6detail15normal_iteratorINS9_10device_ptrItEEEENS9_16discard_iteratorINS9_11use_defaultEEEt11max_functorItEtEEDaPvRmT3_T4_T5_mT6_P12ihipStream_tbENKUlT_T0_E_clISt17integral_constantIbLb1EESX_EEDaSS_ST_EUlSS_E0_NS1_11comp_targetILNS1_3genE5ELNS1_11target_archE942ELNS1_3gpuE9ELNS1_3repE0EEENS1_30default_config_static_selectorELNS0_4arch9wavefront6targetE1EEEvT1_
    .private_segment_fixed_size: 0
    .sgpr_count:     4
    .sgpr_spill_count: 0
    .symbol:         _ZN7rocprim17ROCPRIM_400000_NS6detail17trampoline_kernelINS0_14default_configENS1_20scan_config_selectorItEEZZNS1_9scan_implILNS1_25lookback_scan_determinismE0ELb1ELb1ES3_N6thrust23THRUST_200600_302600_NS6detail15normal_iteratorINS9_10device_ptrItEEEENS9_16discard_iteratorINS9_11use_defaultEEEt11max_functorItEtEEDaPvRmT3_T4_T5_mT6_P12ihipStream_tbENKUlT_T0_E_clISt17integral_constantIbLb1EESX_EEDaSS_ST_EUlSS_E0_NS1_11comp_targetILNS1_3genE5ELNS1_11target_archE942ELNS1_3gpuE9ELNS1_3repE0EEENS1_30default_config_static_selectorELNS0_4arch9wavefront6targetE1EEEvT1_.kd
    .uniform_work_group_size: 1
    .uses_dynamic_stack: false
    .vgpr_count:     0
    .vgpr_spill_count: 0
    .wavefront_size: 64
  - .agpr_count:     0
    .args:
      - .offset:         0
        .size:           40
        .value_kind:     by_value
    .group_segment_fixed_size: 3072
    .kernarg_segment_align: 8
    .kernarg_segment_size: 40
    .language:       OpenCL C
    .language_version:
      - 2
      - 0
    .max_flat_workgroup_size: 64
    .name:           _ZN7rocprim17ROCPRIM_400000_NS6detail17trampoline_kernelINS0_14default_configENS1_20scan_config_selectorItEEZZNS1_9scan_implILNS1_25lookback_scan_determinismE0ELb1ELb1ES3_N6thrust23THRUST_200600_302600_NS6detail15normal_iteratorINS9_10device_ptrItEEEENS9_16discard_iteratorINS9_11use_defaultEEEt11max_functorItEtEEDaPvRmT3_T4_T5_mT6_P12ihipStream_tbENKUlT_T0_E_clISt17integral_constantIbLb1EESX_EEDaSS_ST_EUlSS_E0_NS1_11comp_targetILNS1_3genE4ELNS1_11target_archE910ELNS1_3gpuE8ELNS1_3repE0EEENS1_30default_config_static_selectorELNS0_4arch9wavefront6targetE1EEEvT1_
    .private_segment_fixed_size: 0
    .sgpr_count:     12
    .sgpr_spill_count: 0
    .symbol:         _ZN7rocprim17ROCPRIM_400000_NS6detail17trampoline_kernelINS0_14default_configENS1_20scan_config_selectorItEEZZNS1_9scan_implILNS1_25lookback_scan_determinismE0ELb1ELb1ES3_N6thrust23THRUST_200600_302600_NS6detail15normal_iteratorINS9_10device_ptrItEEEENS9_16discard_iteratorINS9_11use_defaultEEEt11max_functorItEtEEDaPvRmT3_T4_T5_mT6_P12ihipStream_tbENKUlT_T0_E_clISt17integral_constantIbLb1EESX_EEDaSS_ST_EUlSS_E0_NS1_11comp_targetILNS1_3genE4ELNS1_11target_archE910ELNS1_3gpuE8ELNS1_3repE0EEENS1_30default_config_static_selectorELNS0_4arch9wavefront6targetE1EEEvT1_.kd
    .uniform_work_group_size: 1
    .uses_dynamic_stack: false
    .vgpr_count:     29
    .vgpr_spill_count: 0
    .wavefront_size: 64
  - .agpr_count:     0
    .args:
      - .offset:         0
        .size:           40
        .value_kind:     by_value
    .group_segment_fixed_size: 0
    .kernarg_segment_align: 8
    .kernarg_segment_size: 40
    .language:       OpenCL C
    .language_version:
      - 2
      - 0
    .max_flat_workgroup_size: 128
    .name:           _ZN7rocprim17ROCPRIM_400000_NS6detail17trampoline_kernelINS0_14default_configENS1_20scan_config_selectorItEEZZNS1_9scan_implILNS1_25lookback_scan_determinismE0ELb1ELb1ES3_N6thrust23THRUST_200600_302600_NS6detail15normal_iteratorINS9_10device_ptrItEEEENS9_16discard_iteratorINS9_11use_defaultEEEt11max_functorItEtEEDaPvRmT3_T4_T5_mT6_P12ihipStream_tbENKUlT_T0_E_clISt17integral_constantIbLb1EESX_EEDaSS_ST_EUlSS_E0_NS1_11comp_targetILNS1_3genE3ELNS1_11target_archE908ELNS1_3gpuE7ELNS1_3repE0EEENS1_30default_config_static_selectorELNS0_4arch9wavefront6targetE1EEEvT1_
    .private_segment_fixed_size: 0
    .sgpr_count:     4
    .sgpr_spill_count: 0
    .symbol:         _ZN7rocprim17ROCPRIM_400000_NS6detail17trampoline_kernelINS0_14default_configENS1_20scan_config_selectorItEEZZNS1_9scan_implILNS1_25lookback_scan_determinismE0ELb1ELb1ES3_N6thrust23THRUST_200600_302600_NS6detail15normal_iteratorINS9_10device_ptrItEEEENS9_16discard_iteratorINS9_11use_defaultEEEt11max_functorItEtEEDaPvRmT3_T4_T5_mT6_P12ihipStream_tbENKUlT_T0_E_clISt17integral_constantIbLb1EESX_EEDaSS_ST_EUlSS_E0_NS1_11comp_targetILNS1_3genE3ELNS1_11target_archE908ELNS1_3gpuE7ELNS1_3repE0EEENS1_30default_config_static_selectorELNS0_4arch9wavefront6targetE1EEEvT1_.kd
    .uniform_work_group_size: 1
    .uses_dynamic_stack: false
    .vgpr_count:     0
    .vgpr_spill_count: 0
    .wavefront_size: 64
  - .agpr_count:     0
    .args:
      - .offset:         0
        .size:           40
        .value_kind:     by_value
    .group_segment_fixed_size: 0
    .kernarg_segment_align: 8
    .kernarg_segment_size: 40
    .language:       OpenCL C
    .language_version:
      - 2
      - 0
    .max_flat_workgroup_size: 256
    .name:           _ZN7rocprim17ROCPRIM_400000_NS6detail17trampoline_kernelINS0_14default_configENS1_20scan_config_selectorItEEZZNS1_9scan_implILNS1_25lookback_scan_determinismE0ELb1ELb1ES3_N6thrust23THRUST_200600_302600_NS6detail15normal_iteratorINS9_10device_ptrItEEEENS9_16discard_iteratorINS9_11use_defaultEEEt11max_functorItEtEEDaPvRmT3_T4_T5_mT6_P12ihipStream_tbENKUlT_T0_E_clISt17integral_constantIbLb1EESX_EEDaSS_ST_EUlSS_E0_NS1_11comp_targetILNS1_3genE2ELNS1_11target_archE906ELNS1_3gpuE6ELNS1_3repE0EEENS1_30default_config_static_selectorELNS0_4arch9wavefront6targetE1EEEvT1_
    .private_segment_fixed_size: 0
    .sgpr_count:     4
    .sgpr_spill_count: 0
    .symbol:         _ZN7rocprim17ROCPRIM_400000_NS6detail17trampoline_kernelINS0_14default_configENS1_20scan_config_selectorItEEZZNS1_9scan_implILNS1_25lookback_scan_determinismE0ELb1ELb1ES3_N6thrust23THRUST_200600_302600_NS6detail15normal_iteratorINS9_10device_ptrItEEEENS9_16discard_iteratorINS9_11use_defaultEEEt11max_functorItEtEEDaPvRmT3_T4_T5_mT6_P12ihipStream_tbENKUlT_T0_E_clISt17integral_constantIbLb1EESX_EEDaSS_ST_EUlSS_E0_NS1_11comp_targetILNS1_3genE2ELNS1_11target_archE906ELNS1_3gpuE6ELNS1_3repE0EEENS1_30default_config_static_selectorELNS0_4arch9wavefront6targetE1EEEvT1_.kd
    .uniform_work_group_size: 1
    .uses_dynamic_stack: false
    .vgpr_count:     0
    .vgpr_spill_count: 0
    .wavefront_size: 64
  - .agpr_count:     0
    .args:
      - .offset:         0
        .size:           40
        .value_kind:     by_value
    .group_segment_fixed_size: 0
    .kernarg_segment_align: 8
    .kernarg_segment_size: 40
    .language:       OpenCL C
    .language_version:
      - 2
      - 0
    .max_flat_workgroup_size: 256
    .name:           _ZN7rocprim17ROCPRIM_400000_NS6detail17trampoline_kernelINS0_14default_configENS1_20scan_config_selectorItEEZZNS1_9scan_implILNS1_25lookback_scan_determinismE0ELb1ELb1ES3_N6thrust23THRUST_200600_302600_NS6detail15normal_iteratorINS9_10device_ptrItEEEENS9_16discard_iteratorINS9_11use_defaultEEEt11max_functorItEtEEDaPvRmT3_T4_T5_mT6_P12ihipStream_tbENKUlT_T0_E_clISt17integral_constantIbLb1EESX_EEDaSS_ST_EUlSS_E0_NS1_11comp_targetILNS1_3genE10ELNS1_11target_archE1201ELNS1_3gpuE5ELNS1_3repE0EEENS1_30default_config_static_selectorELNS0_4arch9wavefront6targetE1EEEvT1_
    .private_segment_fixed_size: 0
    .sgpr_count:     4
    .sgpr_spill_count: 0
    .symbol:         _ZN7rocprim17ROCPRIM_400000_NS6detail17trampoline_kernelINS0_14default_configENS1_20scan_config_selectorItEEZZNS1_9scan_implILNS1_25lookback_scan_determinismE0ELb1ELb1ES3_N6thrust23THRUST_200600_302600_NS6detail15normal_iteratorINS9_10device_ptrItEEEENS9_16discard_iteratorINS9_11use_defaultEEEt11max_functorItEtEEDaPvRmT3_T4_T5_mT6_P12ihipStream_tbENKUlT_T0_E_clISt17integral_constantIbLb1EESX_EEDaSS_ST_EUlSS_E0_NS1_11comp_targetILNS1_3genE10ELNS1_11target_archE1201ELNS1_3gpuE5ELNS1_3repE0EEENS1_30default_config_static_selectorELNS0_4arch9wavefront6targetE1EEEvT1_.kd
    .uniform_work_group_size: 1
    .uses_dynamic_stack: false
    .vgpr_count:     0
    .vgpr_spill_count: 0
    .wavefront_size: 64
  - .agpr_count:     0
    .args:
      - .offset:         0
        .size:           40
        .value_kind:     by_value
    .group_segment_fixed_size: 0
    .kernarg_segment_align: 8
    .kernarg_segment_size: 40
    .language:       OpenCL C
    .language_version:
      - 2
      - 0
    .max_flat_workgroup_size: 256
    .name:           _ZN7rocprim17ROCPRIM_400000_NS6detail17trampoline_kernelINS0_14default_configENS1_20scan_config_selectorItEEZZNS1_9scan_implILNS1_25lookback_scan_determinismE0ELb1ELb1ES3_N6thrust23THRUST_200600_302600_NS6detail15normal_iteratorINS9_10device_ptrItEEEENS9_16discard_iteratorINS9_11use_defaultEEEt11max_functorItEtEEDaPvRmT3_T4_T5_mT6_P12ihipStream_tbENKUlT_T0_E_clISt17integral_constantIbLb1EESX_EEDaSS_ST_EUlSS_E0_NS1_11comp_targetILNS1_3genE10ELNS1_11target_archE1200ELNS1_3gpuE4ELNS1_3repE0EEENS1_30default_config_static_selectorELNS0_4arch9wavefront6targetE1EEEvT1_
    .private_segment_fixed_size: 0
    .sgpr_count:     4
    .sgpr_spill_count: 0
    .symbol:         _ZN7rocprim17ROCPRIM_400000_NS6detail17trampoline_kernelINS0_14default_configENS1_20scan_config_selectorItEEZZNS1_9scan_implILNS1_25lookback_scan_determinismE0ELb1ELb1ES3_N6thrust23THRUST_200600_302600_NS6detail15normal_iteratorINS9_10device_ptrItEEEENS9_16discard_iteratorINS9_11use_defaultEEEt11max_functorItEtEEDaPvRmT3_T4_T5_mT6_P12ihipStream_tbENKUlT_T0_E_clISt17integral_constantIbLb1EESX_EEDaSS_ST_EUlSS_E0_NS1_11comp_targetILNS1_3genE10ELNS1_11target_archE1200ELNS1_3gpuE4ELNS1_3repE0EEENS1_30default_config_static_selectorELNS0_4arch9wavefront6targetE1EEEvT1_.kd
    .uniform_work_group_size: 1
    .uses_dynamic_stack: false
    .vgpr_count:     0
    .vgpr_spill_count: 0
    .wavefront_size: 64
  - .agpr_count:     0
    .args:
      - .offset:         0
        .size:           40
        .value_kind:     by_value
    .group_segment_fixed_size: 0
    .kernarg_segment_align: 8
    .kernarg_segment_size: 40
    .language:       OpenCL C
    .language_version:
      - 2
      - 0
    .max_flat_workgroup_size: 64
    .name:           _ZN7rocprim17ROCPRIM_400000_NS6detail17trampoline_kernelINS0_14default_configENS1_20scan_config_selectorItEEZZNS1_9scan_implILNS1_25lookback_scan_determinismE0ELb1ELb1ES3_N6thrust23THRUST_200600_302600_NS6detail15normal_iteratorINS9_10device_ptrItEEEENS9_16discard_iteratorINS9_11use_defaultEEEt11max_functorItEtEEDaPvRmT3_T4_T5_mT6_P12ihipStream_tbENKUlT_T0_E_clISt17integral_constantIbLb1EESX_EEDaSS_ST_EUlSS_E0_NS1_11comp_targetILNS1_3genE9ELNS1_11target_archE1100ELNS1_3gpuE3ELNS1_3repE0EEENS1_30default_config_static_selectorELNS0_4arch9wavefront6targetE1EEEvT1_
    .private_segment_fixed_size: 0
    .sgpr_count:     4
    .sgpr_spill_count: 0
    .symbol:         _ZN7rocprim17ROCPRIM_400000_NS6detail17trampoline_kernelINS0_14default_configENS1_20scan_config_selectorItEEZZNS1_9scan_implILNS1_25lookback_scan_determinismE0ELb1ELb1ES3_N6thrust23THRUST_200600_302600_NS6detail15normal_iteratorINS9_10device_ptrItEEEENS9_16discard_iteratorINS9_11use_defaultEEEt11max_functorItEtEEDaPvRmT3_T4_T5_mT6_P12ihipStream_tbENKUlT_T0_E_clISt17integral_constantIbLb1EESX_EEDaSS_ST_EUlSS_E0_NS1_11comp_targetILNS1_3genE9ELNS1_11target_archE1100ELNS1_3gpuE3ELNS1_3repE0EEENS1_30default_config_static_selectorELNS0_4arch9wavefront6targetE1EEEvT1_.kd
    .uniform_work_group_size: 1
    .uses_dynamic_stack: false
    .vgpr_count:     0
    .vgpr_spill_count: 0
    .wavefront_size: 64
  - .agpr_count:     0
    .args:
      - .offset:         0
        .size:           40
        .value_kind:     by_value
    .group_segment_fixed_size: 0
    .kernarg_segment_align: 8
    .kernarg_segment_size: 40
    .language:       OpenCL C
    .language_version:
      - 2
      - 0
    .max_flat_workgroup_size: 64
    .name:           _ZN7rocprim17ROCPRIM_400000_NS6detail17trampoline_kernelINS0_14default_configENS1_20scan_config_selectorItEEZZNS1_9scan_implILNS1_25lookback_scan_determinismE0ELb1ELb1ES3_N6thrust23THRUST_200600_302600_NS6detail15normal_iteratorINS9_10device_ptrItEEEENS9_16discard_iteratorINS9_11use_defaultEEEt11max_functorItEtEEDaPvRmT3_T4_T5_mT6_P12ihipStream_tbENKUlT_T0_E_clISt17integral_constantIbLb1EESX_EEDaSS_ST_EUlSS_E0_NS1_11comp_targetILNS1_3genE8ELNS1_11target_archE1030ELNS1_3gpuE2ELNS1_3repE0EEENS1_30default_config_static_selectorELNS0_4arch9wavefront6targetE1EEEvT1_
    .private_segment_fixed_size: 0
    .sgpr_count:     4
    .sgpr_spill_count: 0
    .symbol:         _ZN7rocprim17ROCPRIM_400000_NS6detail17trampoline_kernelINS0_14default_configENS1_20scan_config_selectorItEEZZNS1_9scan_implILNS1_25lookback_scan_determinismE0ELb1ELb1ES3_N6thrust23THRUST_200600_302600_NS6detail15normal_iteratorINS9_10device_ptrItEEEENS9_16discard_iteratorINS9_11use_defaultEEEt11max_functorItEtEEDaPvRmT3_T4_T5_mT6_P12ihipStream_tbENKUlT_T0_E_clISt17integral_constantIbLb1EESX_EEDaSS_ST_EUlSS_E0_NS1_11comp_targetILNS1_3genE8ELNS1_11target_archE1030ELNS1_3gpuE2ELNS1_3repE0EEENS1_30default_config_static_selectorELNS0_4arch9wavefront6targetE1EEEvT1_.kd
    .uniform_work_group_size: 1
    .uses_dynamic_stack: false
    .vgpr_count:     0
    .vgpr_spill_count: 0
    .wavefront_size: 64
  - .agpr_count:     0
    .args:
      - .offset:         0
        .size:           104
        .value_kind:     by_value
    .group_segment_fixed_size: 0
    .kernarg_segment_align: 8
    .kernarg_segment_size: 104
    .language:       OpenCL C
    .language_version:
      - 2
      - 0
    .max_flat_workgroup_size: 128
    .name:           _ZN7rocprim17ROCPRIM_400000_NS6detail17trampoline_kernelINS0_14default_configENS1_20scan_config_selectorItEEZZNS1_9scan_implILNS1_25lookback_scan_determinismE0ELb1ELb1ES3_N6thrust23THRUST_200600_302600_NS6detail15normal_iteratorINS9_10device_ptrItEEEENS9_16discard_iteratorINS9_11use_defaultEEEt11max_functorItEtEEDaPvRmT3_T4_T5_mT6_P12ihipStream_tbENKUlT_T0_E_clISt17integral_constantIbLb1EESW_IbLb0EEEEDaSS_ST_EUlSS_E_NS1_11comp_targetILNS1_3genE0ELNS1_11target_archE4294967295ELNS1_3gpuE0ELNS1_3repE0EEENS1_30default_config_static_selectorELNS0_4arch9wavefront6targetE1EEEvT1_
    .private_segment_fixed_size: 0
    .sgpr_count:     4
    .sgpr_spill_count: 0
    .symbol:         _ZN7rocprim17ROCPRIM_400000_NS6detail17trampoline_kernelINS0_14default_configENS1_20scan_config_selectorItEEZZNS1_9scan_implILNS1_25lookback_scan_determinismE0ELb1ELb1ES3_N6thrust23THRUST_200600_302600_NS6detail15normal_iteratorINS9_10device_ptrItEEEENS9_16discard_iteratorINS9_11use_defaultEEEt11max_functorItEtEEDaPvRmT3_T4_T5_mT6_P12ihipStream_tbENKUlT_T0_E_clISt17integral_constantIbLb1EESW_IbLb0EEEEDaSS_ST_EUlSS_E_NS1_11comp_targetILNS1_3genE0ELNS1_11target_archE4294967295ELNS1_3gpuE0ELNS1_3repE0EEENS1_30default_config_static_selectorELNS0_4arch9wavefront6targetE1EEEvT1_.kd
    .uniform_work_group_size: 1
    .uses_dynamic_stack: false
    .vgpr_count:     0
    .vgpr_spill_count: 0
    .wavefront_size: 64
  - .agpr_count:     0
    .args:
      - .offset:         0
        .size:           104
        .value_kind:     by_value
    .group_segment_fixed_size: 0
    .kernarg_segment_align: 8
    .kernarg_segment_size: 104
    .language:       OpenCL C
    .language_version:
      - 2
      - 0
    .max_flat_workgroup_size: 256
    .name:           _ZN7rocprim17ROCPRIM_400000_NS6detail17trampoline_kernelINS0_14default_configENS1_20scan_config_selectorItEEZZNS1_9scan_implILNS1_25lookback_scan_determinismE0ELb1ELb1ES3_N6thrust23THRUST_200600_302600_NS6detail15normal_iteratorINS9_10device_ptrItEEEENS9_16discard_iteratorINS9_11use_defaultEEEt11max_functorItEtEEDaPvRmT3_T4_T5_mT6_P12ihipStream_tbENKUlT_T0_E_clISt17integral_constantIbLb1EESW_IbLb0EEEEDaSS_ST_EUlSS_E_NS1_11comp_targetILNS1_3genE5ELNS1_11target_archE942ELNS1_3gpuE9ELNS1_3repE0EEENS1_30default_config_static_selectorELNS0_4arch9wavefront6targetE1EEEvT1_
    .private_segment_fixed_size: 0
    .sgpr_count:     4
    .sgpr_spill_count: 0
    .symbol:         _ZN7rocprim17ROCPRIM_400000_NS6detail17trampoline_kernelINS0_14default_configENS1_20scan_config_selectorItEEZZNS1_9scan_implILNS1_25lookback_scan_determinismE0ELb1ELb1ES3_N6thrust23THRUST_200600_302600_NS6detail15normal_iteratorINS9_10device_ptrItEEEENS9_16discard_iteratorINS9_11use_defaultEEEt11max_functorItEtEEDaPvRmT3_T4_T5_mT6_P12ihipStream_tbENKUlT_T0_E_clISt17integral_constantIbLb1EESW_IbLb0EEEEDaSS_ST_EUlSS_E_NS1_11comp_targetILNS1_3genE5ELNS1_11target_archE942ELNS1_3gpuE9ELNS1_3repE0EEENS1_30default_config_static_selectorELNS0_4arch9wavefront6targetE1EEEvT1_.kd
    .uniform_work_group_size: 1
    .uses_dynamic_stack: false
    .vgpr_count:     0
    .vgpr_spill_count: 0
    .wavefront_size: 64
  - .agpr_count:     0
    .args:
      - .offset:         0
        .size:           104
        .value_kind:     by_value
    .group_segment_fixed_size: 3072
    .kernarg_segment_align: 8
    .kernarg_segment_size: 104
    .language:       OpenCL C
    .language_version:
      - 2
      - 0
    .max_flat_workgroup_size: 64
    .name:           _ZN7rocprim17ROCPRIM_400000_NS6detail17trampoline_kernelINS0_14default_configENS1_20scan_config_selectorItEEZZNS1_9scan_implILNS1_25lookback_scan_determinismE0ELb1ELb1ES3_N6thrust23THRUST_200600_302600_NS6detail15normal_iteratorINS9_10device_ptrItEEEENS9_16discard_iteratorINS9_11use_defaultEEEt11max_functorItEtEEDaPvRmT3_T4_T5_mT6_P12ihipStream_tbENKUlT_T0_E_clISt17integral_constantIbLb1EESW_IbLb0EEEEDaSS_ST_EUlSS_E_NS1_11comp_targetILNS1_3genE4ELNS1_11target_archE910ELNS1_3gpuE8ELNS1_3repE0EEENS1_30default_config_static_selectorELNS0_4arch9wavefront6targetE1EEEvT1_
    .private_segment_fixed_size: 0
    .sgpr_count:     30
    .sgpr_spill_count: 0
    .symbol:         _ZN7rocprim17ROCPRIM_400000_NS6detail17trampoline_kernelINS0_14default_configENS1_20scan_config_selectorItEEZZNS1_9scan_implILNS1_25lookback_scan_determinismE0ELb1ELb1ES3_N6thrust23THRUST_200600_302600_NS6detail15normal_iteratorINS9_10device_ptrItEEEENS9_16discard_iteratorINS9_11use_defaultEEEt11max_functorItEtEEDaPvRmT3_T4_T5_mT6_P12ihipStream_tbENKUlT_T0_E_clISt17integral_constantIbLb1EESW_IbLb0EEEEDaSS_ST_EUlSS_E_NS1_11comp_targetILNS1_3genE4ELNS1_11target_archE910ELNS1_3gpuE8ELNS1_3repE0EEENS1_30default_config_static_selectorELNS0_4arch9wavefront6targetE1EEEvT1_.kd
    .uniform_work_group_size: 1
    .uses_dynamic_stack: false
    .vgpr_count:     57
    .vgpr_spill_count: 0
    .wavefront_size: 64
  - .agpr_count:     0
    .args:
      - .offset:         0
        .size:           104
        .value_kind:     by_value
    .group_segment_fixed_size: 0
    .kernarg_segment_align: 8
    .kernarg_segment_size: 104
    .language:       OpenCL C
    .language_version:
      - 2
      - 0
    .max_flat_workgroup_size: 128
    .name:           _ZN7rocprim17ROCPRIM_400000_NS6detail17trampoline_kernelINS0_14default_configENS1_20scan_config_selectorItEEZZNS1_9scan_implILNS1_25lookback_scan_determinismE0ELb1ELb1ES3_N6thrust23THRUST_200600_302600_NS6detail15normal_iteratorINS9_10device_ptrItEEEENS9_16discard_iteratorINS9_11use_defaultEEEt11max_functorItEtEEDaPvRmT3_T4_T5_mT6_P12ihipStream_tbENKUlT_T0_E_clISt17integral_constantIbLb1EESW_IbLb0EEEEDaSS_ST_EUlSS_E_NS1_11comp_targetILNS1_3genE3ELNS1_11target_archE908ELNS1_3gpuE7ELNS1_3repE0EEENS1_30default_config_static_selectorELNS0_4arch9wavefront6targetE1EEEvT1_
    .private_segment_fixed_size: 0
    .sgpr_count:     4
    .sgpr_spill_count: 0
    .symbol:         _ZN7rocprim17ROCPRIM_400000_NS6detail17trampoline_kernelINS0_14default_configENS1_20scan_config_selectorItEEZZNS1_9scan_implILNS1_25lookback_scan_determinismE0ELb1ELb1ES3_N6thrust23THRUST_200600_302600_NS6detail15normal_iteratorINS9_10device_ptrItEEEENS9_16discard_iteratorINS9_11use_defaultEEEt11max_functorItEtEEDaPvRmT3_T4_T5_mT6_P12ihipStream_tbENKUlT_T0_E_clISt17integral_constantIbLb1EESW_IbLb0EEEEDaSS_ST_EUlSS_E_NS1_11comp_targetILNS1_3genE3ELNS1_11target_archE908ELNS1_3gpuE7ELNS1_3repE0EEENS1_30default_config_static_selectorELNS0_4arch9wavefront6targetE1EEEvT1_.kd
    .uniform_work_group_size: 1
    .uses_dynamic_stack: false
    .vgpr_count:     0
    .vgpr_spill_count: 0
    .wavefront_size: 64
  - .agpr_count:     0
    .args:
      - .offset:         0
        .size:           104
        .value_kind:     by_value
    .group_segment_fixed_size: 0
    .kernarg_segment_align: 8
    .kernarg_segment_size: 104
    .language:       OpenCL C
    .language_version:
      - 2
      - 0
    .max_flat_workgroup_size: 256
    .name:           _ZN7rocprim17ROCPRIM_400000_NS6detail17trampoline_kernelINS0_14default_configENS1_20scan_config_selectorItEEZZNS1_9scan_implILNS1_25lookback_scan_determinismE0ELb1ELb1ES3_N6thrust23THRUST_200600_302600_NS6detail15normal_iteratorINS9_10device_ptrItEEEENS9_16discard_iteratorINS9_11use_defaultEEEt11max_functorItEtEEDaPvRmT3_T4_T5_mT6_P12ihipStream_tbENKUlT_T0_E_clISt17integral_constantIbLb1EESW_IbLb0EEEEDaSS_ST_EUlSS_E_NS1_11comp_targetILNS1_3genE2ELNS1_11target_archE906ELNS1_3gpuE6ELNS1_3repE0EEENS1_30default_config_static_selectorELNS0_4arch9wavefront6targetE1EEEvT1_
    .private_segment_fixed_size: 0
    .sgpr_count:     4
    .sgpr_spill_count: 0
    .symbol:         _ZN7rocprim17ROCPRIM_400000_NS6detail17trampoline_kernelINS0_14default_configENS1_20scan_config_selectorItEEZZNS1_9scan_implILNS1_25lookback_scan_determinismE0ELb1ELb1ES3_N6thrust23THRUST_200600_302600_NS6detail15normal_iteratorINS9_10device_ptrItEEEENS9_16discard_iteratorINS9_11use_defaultEEEt11max_functorItEtEEDaPvRmT3_T4_T5_mT6_P12ihipStream_tbENKUlT_T0_E_clISt17integral_constantIbLb1EESW_IbLb0EEEEDaSS_ST_EUlSS_E_NS1_11comp_targetILNS1_3genE2ELNS1_11target_archE906ELNS1_3gpuE6ELNS1_3repE0EEENS1_30default_config_static_selectorELNS0_4arch9wavefront6targetE1EEEvT1_.kd
    .uniform_work_group_size: 1
    .uses_dynamic_stack: false
    .vgpr_count:     0
    .vgpr_spill_count: 0
    .wavefront_size: 64
  - .agpr_count:     0
    .args:
      - .offset:         0
        .size:           104
        .value_kind:     by_value
    .group_segment_fixed_size: 0
    .kernarg_segment_align: 8
    .kernarg_segment_size: 104
    .language:       OpenCL C
    .language_version:
      - 2
      - 0
    .max_flat_workgroup_size: 256
    .name:           _ZN7rocprim17ROCPRIM_400000_NS6detail17trampoline_kernelINS0_14default_configENS1_20scan_config_selectorItEEZZNS1_9scan_implILNS1_25lookback_scan_determinismE0ELb1ELb1ES3_N6thrust23THRUST_200600_302600_NS6detail15normal_iteratorINS9_10device_ptrItEEEENS9_16discard_iteratorINS9_11use_defaultEEEt11max_functorItEtEEDaPvRmT3_T4_T5_mT6_P12ihipStream_tbENKUlT_T0_E_clISt17integral_constantIbLb1EESW_IbLb0EEEEDaSS_ST_EUlSS_E_NS1_11comp_targetILNS1_3genE10ELNS1_11target_archE1201ELNS1_3gpuE5ELNS1_3repE0EEENS1_30default_config_static_selectorELNS0_4arch9wavefront6targetE1EEEvT1_
    .private_segment_fixed_size: 0
    .sgpr_count:     4
    .sgpr_spill_count: 0
    .symbol:         _ZN7rocprim17ROCPRIM_400000_NS6detail17trampoline_kernelINS0_14default_configENS1_20scan_config_selectorItEEZZNS1_9scan_implILNS1_25lookback_scan_determinismE0ELb1ELb1ES3_N6thrust23THRUST_200600_302600_NS6detail15normal_iteratorINS9_10device_ptrItEEEENS9_16discard_iteratorINS9_11use_defaultEEEt11max_functorItEtEEDaPvRmT3_T4_T5_mT6_P12ihipStream_tbENKUlT_T0_E_clISt17integral_constantIbLb1EESW_IbLb0EEEEDaSS_ST_EUlSS_E_NS1_11comp_targetILNS1_3genE10ELNS1_11target_archE1201ELNS1_3gpuE5ELNS1_3repE0EEENS1_30default_config_static_selectorELNS0_4arch9wavefront6targetE1EEEvT1_.kd
    .uniform_work_group_size: 1
    .uses_dynamic_stack: false
    .vgpr_count:     0
    .vgpr_spill_count: 0
    .wavefront_size: 64
  - .agpr_count:     0
    .args:
      - .offset:         0
        .size:           104
        .value_kind:     by_value
    .group_segment_fixed_size: 0
    .kernarg_segment_align: 8
    .kernarg_segment_size: 104
    .language:       OpenCL C
    .language_version:
      - 2
      - 0
    .max_flat_workgroup_size: 256
    .name:           _ZN7rocprim17ROCPRIM_400000_NS6detail17trampoline_kernelINS0_14default_configENS1_20scan_config_selectorItEEZZNS1_9scan_implILNS1_25lookback_scan_determinismE0ELb1ELb1ES3_N6thrust23THRUST_200600_302600_NS6detail15normal_iteratorINS9_10device_ptrItEEEENS9_16discard_iteratorINS9_11use_defaultEEEt11max_functorItEtEEDaPvRmT3_T4_T5_mT6_P12ihipStream_tbENKUlT_T0_E_clISt17integral_constantIbLb1EESW_IbLb0EEEEDaSS_ST_EUlSS_E_NS1_11comp_targetILNS1_3genE10ELNS1_11target_archE1200ELNS1_3gpuE4ELNS1_3repE0EEENS1_30default_config_static_selectorELNS0_4arch9wavefront6targetE1EEEvT1_
    .private_segment_fixed_size: 0
    .sgpr_count:     4
    .sgpr_spill_count: 0
    .symbol:         _ZN7rocprim17ROCPRIM_400000_NS6detail17trampoline_kernelINS0_14default_configENS1_20scan_config_selectorItEEZZNS1_9scan_implILNS1_25lookback_scan_determinismE0ELb1ELb1ES3_N6thrust23THRUST_200600_302600_NS6detail15normal_iteratorINS9_10device_ptrItEEEENS9_16discard_iteratorINS9_11use_defaultEEEt11max_functorItEtEEDaPvRmT3_T4_T5_mT6_P12ihipStream_tbENKUlT_T0_E_clISt17integral_constantIbLb1EESW_IbLb0EEEEDaSS_ST_EUlSS_E_NS1_11comp_targetILNS1_3genE10ELNS1_11target_archE1200ELNS1_3gpuE4ELNS1_3repE0EEENS1_30default_config_static_selectorELNS0_4arch9wavefront6targetE1EEEvT1_.kd
    .uniform_work_group_size: 1
    .uses_dynamic_stack: false
    .vgpr_count:     0
    .vgpr_spill_count: 0
    .wavefront_size: 64
  - .agpr_count:     0
    .args:
      - .offset:         0
        .size:           104
        .value_kind:     by_value
    .group_segment_fixed_size: 0
    .kernarg_segment_align: 8
    .kernarg_segment_size: 104
    .language:       OpenCL C
    .language_version:
      - 2
      - 0
    .max_flat_workgroup_size: 64
    .name:           _ZN7rocprim17ROCPRIM_400000_NS6detail17trampoline_kernelINS0_14default_configENS1_20scan_config_selectorItEEZZNS1_9scan_implILNS1_25lookback_scan_determinismE0ELb1ELb1ES3_N6thrust23THRUST_200600_302600_NS6detail15normal_iteratorINS9_10device_ptrItEEEENS9_16discard_iteratorINS9_11use_defaultEEEt11max_functorItEtEEDaPvRmT3_T4_T5_mT6_P12ihipStream_tbENKUlT_T0_E_clISt17integral_constantIbLb1EESW_IbLb0EEEEDaSS_ST_EUlSS_E_NS1_11comp_targetILNS1_3genE9ELNS1_11target_archE1100ELNS1_3gpuE3ELNS1_3repE0EEENS1_30default_config_static_selectorELNS0_4arch9wavefront6targetE1EEEvT1_
    .private_segment_fixed_size: 0
    .sgpr_count:     4
    .sgpr_spill_count: 0
    .symbol:         _ZN7rocprim17ROCPRIM_400000_NS6detail17trampoline_kernelINS0_14default_configENS1_20scan_config_selectorItEEZZNS1_9scan_implILNS1_25lookback_scan_determinismE0ELb1ELb1ES3_N6thrust23THRUST_200600_302600_NS6detail15normal_iteratorINS9_10device_ptrItEEEENS9_16discard_iteratorINS9_11use_defaultEEEt11max_functorItEtEEDaPvRmT3_T4_T5_mT6_P12ihipStream_tbENKUlT_T0_E_clISt17integral_constantIbLb1EESW_IbLb0EEEEDaSS_ST_EUlSS_E_NS1_11comp_targetILNS1_3genE9ELNS1_11target_archE1100ELNS1_3gpuE3ELNS1_3repE0EEENS1_30default_config_static_selectorELNS0_4arch9wavefront6targetE1EEEvT1_.kd
    .uniform_work_group_size: 1
    .uses_dynamic_stack: false
    .vgpr_count:     0
    .vgpr_spill_count: 0
    .wavefront_size: 64
  - .agpr_count:     0
    .args:
      - .offset:         0
        .size:           104
        .value_kind:     by_value
    .group_segment_fixed_size: 0
    .kernarg_segment_align: 8
    .kernarg_segment_size: 104
    .language:       OpenCL C
    .language_version:
      - 2
      - 0
    .max_flat_workgroup_size: 64
    .name:           _ZN7rocprim17ROCPRIM_400000_NS6detail17trampoline_kernelINS0_14default_configENS1_20scan_config_selectorItEEZZNS1_9scan_implILNS1_25lookback_scan_determinismE0ELb1ELb1ES3_N6thrust23THRUST_200600_302600_NS6detail15normal_iteratorINS9_10device_ptrItEEEENS9_16discard_iteratorINS9_11use_defaultEEEt11max_functorItEtEEDaPvRmT3_T4_T5_mT6_P12ihipStream_tbENKUlT_T0_E_clISt17integral_constantIbLb1EESW_IbLb0EEEEDaSS_ST_EUlSS_E_NS1_11comp_targetILNS1_3genE8ELNS1_11target_archE1030ELNS1_3gpuE2ELNS1_3repE0EEENS1_30default_config_static_selectorELNS0_4arch9wavefront6targetE1EEEvT1_
    .private_segment_fixed_size: 0
    .sgpr_count:     4
    .sgpr_spill_count: 0
    .symbol:         _ZN7rocprim17ROCPRIM_400000_NS6detail17trampoline_kernelINS0_14default_configENS1_20scan_config_selectorItEEZZNS1_9scan_implILNS1_25lookback_scan_determinismE0ELb1ELb1ES3_N6thrust23THRUST_200600_302600_NS6detail15normal_iteratorINS9_10device_ptrItEEEENS9_16discard_iteratorINS9_11use_defaultEEEt11max_functorItEtEEDaPvRmT3_T4_T5_mT6_P12ihipStream_tbENKUlT_T0_E_clISt17integral_constantIbLb1EESW_IbLb0EEEEDaSS_ST_EUlSS_E_NS1_11comp_targetILNS1_3genE8ELNS1_11target_archE1030ELNS1_3gpuE2ELNS1_3repE0EEENS1_30default_config_static_selectorELNS0_4arch9wavefront6targetE1EEEvT1_.kd
    .uniform_work_group_size: 1
    .uses_dynamic_stack: false
    .vgpr_count:     0
    .vgpr_spill_count: 0
    .wavefront_size: 64
  - .agpr_count:     0
    .args:
      - .offset:         0
        .size:           40
        .value_kind:     by_value
    .group_segment_fixed_size: 0
    .kernarg_segment_align: 8
    .kernarg_segment_size: 40
    .language:       OpenCL C
    .language_version:
      - 2
      - 0
    .max_flat_workgroup_size: 128
    .name:           _ZN7rocprim17ROCPRIM_400000_NS6detail17trampoline_kernelINS0_14default_configENS1_20scan_config_selectorItEEZZNS1_9scan_implILNS1_25lookback_scan_determinismE0ELb1ELb1ES3_N6thrust23THRUST_200600_302600_NS6detail15normal_iteratorINS9_10device_ptrItEEEENS9_16discard_iteratorINS9_11use_defaultEEEt11max_functorItEtEEDaPvRmT3_T4_T5_mT6_P12ihipStream_tbENKUlT_T0_E_clISt17integral_constantIbLb1EESW_IbLb0EEEEDaSS_ST_EUlSS_E0_NS1_11comp_targetILNS1_3genE0ELNS1_11target_archE4294967295ELNS1_3gpuE0ELNS1_3repE0EEENS1_30default_config_static_selectorELNS0_4arch9wavefront6targetE1EEEvT1_
    .private_segment_fixed_size: 0
    .sgpr_count:     4
    .sgpr_spill_count: 0
    .symbol:         _ZN7rocprim17ROCPRIM_400000_NS6detail17trampoline_kernelINS0_14default_configENS1_20scan_config_selectorItEEZZNS1_9scan_implILNS1_25lookback_scan_determinismE0ELb1ELb1ES3_N6thrust23THRUST_200600_302600_NS6detail15normal_iteratorINS9_10device_ptrItEEEENS9_16discard_iteratorINS9_11use_defaultEEEt11max_functorItEtEEDaPvRmT3_T4_T5_mT6_P12ihipStream_tbENKUlT_T0_E_clISt17integral_constantIbLb1EESW_IbLb0EEEEDaSS_ST_EUlSS_E0_NS1_11comp_targetILNS1_3genE0ELNS1_11target_archE4294967295ELNS1_3gpuE0ELNS1_3repE0EEENS1_30default_config_static_selectorELNS0_4arch9wavefront6targetE1EEEvT1_.kd
    .uniform_work_group_size: 1
    .uses_dynamic_stack: false
    .vgpr_count:     0
    .vgpr_spill_count: 0
    .wavefront_size: 64
  - .agpr_count:     0
    .args:
      - .offset:         0
        .size:           40
        .value_kind:     by_value
    .group_segment_fixed_size: 0
    .kernarg_segment_align: 8
    .kernarg_segment_size: 40
    .language:       OpenCL C
    .language_version:
      - 2
      - 0
    .max_flat_workgroup_size: 256
    .name:           _ZN7rocprim17ROCPRIM_400000_NS6detail17trampoline_kernelINS0_14default_configENS1_20scan_config_selectorItEEZZNS1_9scan_implILNS1_25lookback_scan_determinismE0ELb1ELb1ES3_N6thrust23THRUST_200600_302600_NS6detail15normal_iteratorINS9_10device_ptrItEEEENS9_16discard_iteratorINS9_11use_defaultEEEt11max_functorItEtEEDaPvRmT3_T4_T5_mT6_P12ihipStream_tbENKUlT_T0_E_clISt17integral_constantIbLb1EESW_IbLb0EEEEDaSS_ST_EUlSS_E0_NS1_11comp_targetILNS1_3genE5ELNS1_11target_archE942ELNS1_3gpuE9ELNS1_3repE0EEENS1_30default_config_static_selectorELNS0_4arch9wavefront6targetE1EEEvT1_
    .private_segment_fixed_size: 0
    .sgpr_count:     4
    .sgpr_spill_count: 0
    .symbol:         _ZN7rocprim17ROCPRIM_400000_NS6detail17trampoline_kernelINS0_14default_configENS1_20scan_config_selectorItEEZZNS1_9scan_implILNS1_25lookback_scan_determinismE0ELb1ELb1ES3_N6thrust23THRUST_200600_302600_NS6detail15normal_iteratorINS9_10device_ptrItEEEENS9_16discard_iteratorINS9_11use_defaultEEEt11max_functorItEtEEDaPvRmT3_T4_T5_mT6_P12ihipStream_tbENKUlT_T0_E_clISt17integral_constantIbLb1EESW_IbLb0EEEEDaSS_ST_EUlSS_E0_NS1_11comp_targetILNS1_3genE5ELNS1_11target_archE942ELNS1_3gpuE9ELNS1_3repE0EEENS1_30default_config_static_selectorELNS0_4arch9wavefront6targetE1EEEvT1_.kd
    .uniform_work_group_size: 1
    .uses_dynamic_stack: false
    .vgpr_count:     0
    .vgpr_spill_count: 0
    .wavefront_size: 64
  - .agpr_count:     0
    .args:
      - .offset:         0
        .size:           40
        .value_kind:     by_value
    .group_segment_fixed_size: 3072
    .kernarg_segment_align: 8
    .kernarg_segment_size: 40
    .language:       OpenCL C
    .language_version:
      - 2
      - 0
    .max_flat_workgroup_size: 64
    .name:           _ZN7rocprim17ROCPRIM_400000_NS6detail17trampoline_kernelINS0_14default_configENS1_20scan_config_selectorItEEZZNS1_9scan_implILNS1_25lookback_scan_determinismE0ELb1ELb1ES3_N6thrust23THRUST_200600_302600_NS6detail15normal_iteratorINS9_10device_ptrItEEEENS9_16discard_iteratorINS9_11use_defaultEEEt11max_functorItEtEEDaPvRmT3_T4_T5_mT6_P12ihipStream_tbENKUlT_T0_E_clISt17integral_constantIbLb1EESW_IbLb0EEEEDaSS_ST_EUlSS_E0_NS1_11comp_targetILNS1_3genE4ELNS1_11target_archE910ELNS1_3gpuE8ELNS1_3repE0EEENS1_30default_config_static_selectorELNS0_4arch9wavefront6targetE1EEEvT1_
    .private_segment_fixed_size: 0
    .sgpr_count:     12
    .sgpr_spill_count: 0
    .symbol:         _ZN7rocprim17ROCPRIM_400000_NS6detail17trampoline_kernelINS0_14default_configENS1_20scan_config_selectorItEEZZNS1_9scan_implILNS1_25lookback_scan_determinismE0ELb1ELb1ES3_N6thrust23THRUST_200600_302600_NS6detail15normal_iteratorINS9_10device_ptrItEEEENS9_16discard_iteratorINS9_11use_defaultEEEt11max_functorItEtEEDaPvRmT3_T4_T5_mT6_P12ihipStream_tbENKUlT_T0_E_clISt17integral_constantIbLb1EESW_IbLb0EEEEDaSS_ST_EUlSS_E0_NS1_11comp_targetILNS1_3genE4ELNS1_11target_archE910ELNS1_3gpuE8ELNS1_3repE0EEENS1_30default_config_static_selectorELNS0_4arch9wavefront6targetE1EEEvT1_.kd
    .uniform_work_group_size: 1
    .uses_dynamic_stack: false
    .vgpr_count:     29
    .vgpr_spill_count: 0
    .wavefront_size: 64
  - .agpr_count:     0
    .args:
      - .offset:         0
        .size:           40
        .value_kind:     by_value
    .group_segment_fixed_size: 0
    .kernarg_segment_align: 8
    .kernarg_segment_size: 40
    .language:       OpenCL C
    .language_version:
      - 2
      - 0
    .max_flat_workgroup_size: 128
    .name:           _ZN7rocprim17ROCPRIM_400000_NS6detail17trampoline_kernelINS0_14default_configENS1_20scan_config_selectorItEEZZNS1_9scan_implILNS1_25lookback_scan_determinismE0ELb1ELb1ES3_N6thrust23THRUST_200600_302600_NS6detail15normal_iteratorINS9_10device_ptrItEEEENS9_16discard_iteratorINS9_11use_defaultEEEt11max_functorItEtEEDaPvRmT3_T4_T5_mT6_P12ihipStream_tbENKUlT_T0_E_clISt17integral_constantIbLb1EESW_IbLb0EEEEDaSS_ST_EUlSS_E0_NS1_11comp_targetILNS1_3genE3ELNS1_11target_archE908ELNS1_3gpuE7ELNS1_3repE0EEENS1_30default_config_static_selectorELNS0_4arch9wavefront6targetE1EEEvT1_
    .private_segment_fixed_size: 0
    .sgpr_count:     4
    .sgpr_spill_count: 0
    .symbol:         _ZN7rocprim17ROCPRIM_400000_NS6detail17trampoline_kernelINS0_14default_configENS1_20scan_config_selectorItEEZZNS1_9scan_implILNS1_25lookback_scan_determinismE0ELb1ELb1ES3_N6thrust23THRUST_200600_302600_NS6detail15normal_iteratorINS9_10device_ptrItEEEENS9_16discard_iteratorINS9_11use_defaultEEEt11max_functorItEtEEDaPvRmT3_T4_T5_mT6_P12ihipStream_tbENKUlT_T0_E_clISt17integral_constantIbLb1EESW_IbLb0EEEEDaSS_ST_EUlSS_E0_NS1_11comp_targetILNS1_3genE3ELNS1_11target_archE908ELNS1_3gpuE7ELNS1_3repE0EEENS1_30default_config_static_selectorELNS0_4arch9wavefront6targetE1EEEvT1_.kd
    .uniform_work_group_size: 1
    .uses_dynamic_stack: false
    .vgpr_count:     0
    .vgpr_spill_count: 0
    .wavefront_size: 64
  - .agpr_count:     0
    .args:
      - .offset:         0
        .size:           40
        .value_kind:     by_value
    .group_segment_fixed_size: 0
    .kernarg_segment_align: 8
    .kernarg_segment_size: 40
    .language:       OpenCL C
    .language_version:
      - 2
      - 0
    .max_flat_workgroup_size: 256
    .name:           _ZN7rocprim17ROCPRIM_400000_NS6detail17trampoline_kernelINS0_14default_configENS1_20scan_config_selectorItEEZZNS1_9scan_implILNS1_25lookback_scan_determinismE0ELb1ELb1ES3_N6thrust23THRUST_200600_302600_NS6detail15normal_iteratorINS9_10device_ptrItEEEENS9_16discard_iteratorINS9_11use_defaultEEEt11max_functorItEtEEDaPvRmT3_T4_T5_mT6_P12ihipStream_tbENKUlT_T0_E_clISt17integral_constantIbLb1EESW_IbLb0EEEEDaSS_ST_EUlSS_E0_NS1_11comp_targetILNS1_3genE2ELNS1_11target_archE906ELNS1_3gpuE6ELNS1_3repE0EEENS1_30default_config_static_selectorELNS0_4arch9wavefront6targetE1EEEvT1_
    .private_segment_fixed_size: 0
    .sgpr_count:     4
    .sgpr_spill_count: 0
    .symbol:         _ZN7rocprim17ROCPRIM_400000_NS6detail17trampoline_kernelINS0_14default_configENS1_20scan_config_selectorItEEZZNS1_9scan_implILNS1_25lookback_scan_determinismE0ELb1ELb1ES3_N6thrust23THRUST_200600_302600_NS6detail15normal_iteratorINS9_10device_ptrItEEEENS9_16discard_iteratorINS9_11use_defaultEEEt11max_functorItEtEEDaPvRmT3_T4_T5_mT6_P12ihipStream_tbENKUlT_T0_E_clISt17integral_constantIbLb1EESW_IbLb0EEEEDaSS_ST_EUlSS_E0_NS1_11comp_targetILNS1_3genE2ELNS1_11target_archE906ELNS1_3gpuE6ELNS1_3repE0EEENS1_30default_config_static_selectorELNS0_4arch9wavefront6targetE1EEEvT1_.kd
    .uniform_work_group_size: 1
    .uses_dynamic_stack: false
    .vgpr_count:     0
    .vgpr_spill_count: 0
    .wavefront_size: 64
  - .agpr_count:     0
    .args:
      - .offset:         0
        .size:           40
        .value_kind:     by_value
    .group_segment_fixed_size: 0
    .kernarg_segment_align: 8
    .kernarg_segment_size: 40
    .language:       OpenCL C
    .language_version:
      - 2
      - 0
    .max_flat_workgroup_size: 256
    .name:           _ZN7rocprim17ROCPRIM_400000_NS6detail17trampoline_kernelINS0_14default_configENS1_20scan_config_selectorItEEZZNS1_9scan_implILNS1_25lookback_scan_determinismE0ELb1ELb1ES3_N6thrust23THRUST_200600_302600_NS6detail15normal_iteratorINS9_10device_ptrItEEEENS9_16discard_iteratorINS9_11use_defaultEEEt11max_functorItEtEEDaPvRmT3_T4_T5_mT6_P12ihipStream_tbENKUlT_T0_E_clISt17integral_constantIbLb1EESW_IbLb0EEEEDaSS_ST_EUlSS_E0_NS1_11comp_targetILNS1_3genE10ELNS1_11target_archE1201ELNS1_3gpuE5ELNS1_3repE0EEENS1_30default_config_static_selectorELNS0_4arch9wavefront6targetE1EEEvT1_
    .private_segment_fixed_size: 0
    .sgpr_count:     4
    .sgpr_spill_count: 0
    .symbol:         _ZN7rocprim17ROCPRIM_400000_NS6detail17trampoline_kernelINS0_14default_configENS1_20scan_config_selectorItEEZZNS1_9scan_implILNS1_25lookback_scan_determinismE0ELb1ELb1ES3_N6thrust23THRUST_200600_302600_NS6detail15normal_iteratorINS9_10device_ptrItEEEENS9_16discard_iteratorINS9_11use_defaultEEEt11max_functorItEtEEDaPvRmT3_T4_T5_mT6_P12ihipStream_tbENKUlT_T0_E_clISt17integral_constantIbLb1EESW_IbLb0EEEEDaSS_ST_EUlSS_E0_NS1_11comp_targetILNS1_3genE10ELNS1_11target_archE1201ELNS1_3gpuE5ELNS1_3repE0EEENS1_30default_config_static_selectorELNS0_4arch9wavefront6targetE1EEEvT1_.kd
    .uniform_work_group_size: 1
    .uses_dynamic_stack: false
    .vgpr_count:     0
    .vgpr_spill_count: 0
    .wavefront_size: 64
  - .agpr_count:     0
    .args:
      - .offset:         0
        .size:           40
        .value_kind:     by_value
    .group_segment_fixed_size: 0
    .kernarg_segment_align: 8
    .kernarg_segment_size: 40
    .language:       OpenCL C
    .language_version:
      - 2
      - 0
    .max_flat_workgroup_size: 256
    .name:           _ZN7rocprim17ROCPRIM_400000_NS6detail17trampoline_kernelINS0_14default_configENS1_20scan_config_selectorItEEZZNS1_9scan_implILNS1_25lookback_scan_determinismE0ELb1ELb1ES3_N6thrust23THRUST_200600_302600_NS6detail15normal_iteratorINS9_10device_ptrItEEEENS9_16discard_iteratorINS9_11use_defaultEEEt11max_functorItEtEEDaPvRmT3_T4_T5_mT6_P12ihipStream_tbENKUlT_T0_E_clISt17integral_constantIbLb1EESW_IbLb0EEEEDaSS_ST_EUlSS_E0_NS1_11comp_targetILNS1_3genE10ELNS1_11target_archE1200ELNS1_3gpuE4ELNS1_3repE0EEENS1_30default_config_static_selectorELNS0_4arch9wavefront6targetE1EEEvT1_
    .private_segment_fixed_size: 0
    .sgpr_count:     4
    .sgpr_spill_count: 0
    .symbol:         _ZN7rocprim17ROCPRIM_400000_NS6detail17trampoline_kernelINS0_14default_configENS1_20scan_config_selectorItEEZZNS1_9scan_implILNS1_25lookback_scan_determinismE0ELb1ELb1ES3_N6thrust23THRUST_200600_302600_NS6detail15normal_iteratorINS9_10device_ptrItEEEENS9_16discard_iteratorINS9_11use_defaultEEEt11max_functorItEtEEDaPvRmT3_T4_T5_mT6_P12ihipStream_tbENKUlT_T0_E_clISt17integral_constantIbLb1EESW_IbLb0EEEEDaSS_ST_EUlSS_E0_NS1_11comp_targetILNS1_3genE10ELNS1_11target_archE1200ELNS1_3gpuE4ELNS1_3repE0EEENS1_30default_config_static_selectorELNS0_4arch9wavefront6targetE1EEEvT1_.kd
    .uniform_work_group_size: 1
    .uses_dynamic_stack: false
    .vgpr_count:     0
    .vgpr_spill_count: 0
    .wavefront_size: 64
  - .agpr_count:     0
    .args:
      - .offset:         0
        .size:           40
        .value_kind:     by_value
    .group_segment_fixed_size: 0
    .kernarg_segment_align: 8
    .kernarg_segment_size: 40
    .language:       OpenCL C
    .language_version:
      - 2
      - 0
    .max_flat_workgroup_size: 64
    .name:           _ZN7rocprim17ROCPRIM_400000_NS6detail17trampoline_kernelINS0_14default_configENS1_20scan_config_selectorItEEZZNS1_9scan_implILNS1_25lookback_scan_determinismE0ELb1ELb1ES3_N6thrust23THRUST_200600_302600_NS6detail15normal_iteratorINS9_10device_ptrItEEEENS9_16discard_iteratorINS9_11use_defaultEEEt11max_functorItEtEEDaPvRmT3_T4_T5_mT6_P12ihipStream_tbENKUlT_T0_E_clISt17integral_constantIbLb1EESW_IbLb0EEEEDaSS_ST_EUlSS_E0_NS1_11comp_targetILNS1_3genE9ELNS1_11target_archE1100ELNS1_3gpuE3ELNS1_3repE0EEENS1_30default_config_static_selectorELNS0_4arch9wavefront6targetE1EEEvT1_
    .private_segment_fixed_size: 0
    .sgpr_count:     4
    .sgpr_spill_count: 0
    .symbol:         _ZN7rocprim17ROCPRIM_400000_NS6detail17trampoline_kernelINS0_14default_configENS1_20scan_config_selectorItEEZZNS1_9scan_implILNS1_25lookback_scan_determinismE0ELb1ELb1ES3_N6thrust23THRUST_200600_302600_NS6detail15normal_iteratorINS9_10device_ptrItEEEENS9_16discard_iteratorINS9_11use_defaultEEEt11max_functorItEtEEDaPvRmT3_T4_T5_mT6_P12ihipStream_tbENKUlT_T0_E_clISt17integral_constantIbLb1EESW_IbLb0EEEEDaSS_ST_EUlSS_E0_NS1_11comp_targetILNS1_3genE9ELNS1_11target_archE1100ELNS1_3gpuE3ELNS1_3repE0EEENS1_30default_config_static_selectorELNS0_4arch9wavefront6targetE1EEEvT1_.kd
    .uniform_work_group_size: 1
    .uses_dynamic_stack: false
    .vgpr_count:     0
    .vgpr_spill_count: 0
    .wavefront_size: 64
  - .agpr_count:     0
    .args:
      - .offset:         0
        .size:           40
        .value_kind:     by_value
    .group_segment_fixed_size: 0
    .kernarg_segment_align: 8
    .kernarg_segment_size: 40
    .language:       OpenCL C
    .language_version:
      - 2
      - 0
    .max_flat_workgroup_size: 64
    .name:           _ZN7rocprim17ROCPRIM_400000_NS6detail17trampoline_kernelINS0_14default_configENS1_20scan_config_selectorItEEZZNS1_9scan_implILNS1_25lookback_scan_determinismE0ELb1ELb1ES3_N6thrust23THRUST_200600_302600_NS6detail15normal_iteratorINS9_10device_ptrItEEEENS9_16discard_iteratorINS9_11use_defaultEEEt11max_functorItEtEEDaPvRmT3_T4_T5_mT6_P12ihipStream_tbENKUlT_T0_E_clISt17integral_constantIbLb1EESW_IbLb0EEEEDaSS_ST_EUlSS_E0_NS1_11comp_targetILNS1_3genE8ELNS1_11target_archE1030ELNS1_3gpuE2ELNS1_3repE0EEENS1_30default_config_static_selectorELNS0_4arch9wavefront6targetE1EEEvT1_
    .private_segment_fixed_size: 0
    .sgpr_count:     4
    .sgpr_spill_count: 0
    .symbol:         _ZN7rocprim17ROCPRIM_400000_NS6detail17trampoline_kernelINS0_14default_configENS1_20scan_config_selectorItEEZZNS1_9scan_implILNS1_25lookback_scan_determinismE0ELb1ELb1ES3_N6thrust23THRUST_200600_302600_NS6detail15normal_iteratorINS9_10device_ptrItEEEENS9_16discard_iteratorINS9_11use_defaultEEEt11max_functorItEtEEDaPvRmT3_T4_T5_mT6_P12ihipStream_tbENKUlT_T0_E_clISt17integral_constantIbLb1EESW_IbLb0EEEEDaSS_ST_EUlSS_E0_NS1_11comp_targetILNS1_3genE8ELNS1_11target_archE1030ELNS1_3gpuE2ELNS1_3repE0EEENS1_30default_config_static_selectorELNS0_4arch9wavefront6targetE1EEEvT1_.kd
    .uniform_work_group_size: 1
    .uses_dynamic_stack: false
    .vgpr_count:     0
    .vgpr_spill_count: 0
    .wavefront_size: 64
  - .agpr_count:     0
    .args:
      - .offset:         0
        .size:           104
        .value_kind:     by_value
    .group_segment_fixed_size: 0
    .kernarg_segment_align: 8
    .kernarg_segment_size: 104
    .language:       OpenCL C
    .language_version:
      - 2
      - 0
    .max_flat_workgroup_size: 128
    .name:           _ZN7rocprim17ROCPRIM_400000_NS6detail17trampoline_kernelINS0_14default_configENS1_20scan_config_selectorItEEZZNS1_9scan_implILNS1_25lookback_scan_determinismE0ELb1ELb1ES3_N6thrust23THRUST_200600_302600_NS6detail15normal_iteratorINS9_10device_ptrItEEEENS9_16discard_iteratorINS9_11use_defaultEEEt11max_functorItEtEEDaPvRmT3_T4_T5_mT6_P12ihipStream_tbENKUlT_T0_E_clISt17integral_constantIbLb0EESW_IbLb1EEEEDaSS_ST_EUlSS_E_NS1_11comp_targetILNS1_3genE0ELNS1_11target_archE4294967295ELNS1_3gpuE0ELNS1_3repE0EEENS1_30default_config_static_selectorELNS0_4arch9wavefront6targetE1EEEvT1_
    .private_segment_fixed_size: 0
    .sgpr_count:     4
    .sgpr_spill_count: 0
    .symbol:         _ZN7rocprim17ROCPRIM_400000_NS6detail17trampoline_kernelINS0_14default_configENS1_20scan_config_selectorItEEZZNS1_9scan_implILNS1_25lookback_scan_determinismE0ELb1ELb1ES3_N6thrust23THRUST_200600_302600_NS6detail15normal_iteratorINS9_10device_ptrItEEEENS9_16discard_iteratorINS9_11use_defaultEEEt11max_functorItEtEEDaPvRmT3_T4_T5_mT6_P12ihipStream_tbENKUlT_T0_E_clISt17integral_constantIbLb0EESW_IbLb1EEEEDaSS_ST_EUlSS_E_NS1_11comp_targetILNS1_3genE0ELNS1_11target_archE4294967295ELNS1_3gpuE0ELNS1_3repE0EEENS1_30default_config_static_selectorELNS0_4arch9wavefront6targetE1EEEvT1_.kd
    .uniform_work_group_size: 1
    .uses_dynamic_stack: false
    .vgpr_count:     0
    .vgpr_spill_count: 0
    .wavefront_size: 64
  - .agpr_count:     0
    .args:
      - .offset:         0
        .size:           104
        .value_kind:     by_value
    .group_segment_fixed_size: 0
    .kernarg_segment_align: 8
    .kernarg_segment_size: 104
    .language:       OpenCL C
    .language_version:
      - 2
      - 0
    .max_flat_workgroup_size: 256
    .name:           _ZN7rocprim17ROCPRIM_400000_NS6detail17trampoline_kernelINS0_14default_configENS1_20scan_config_selectorItEEZZNS1_9scan_implILNS1_25lookback_scan_determinismE0ELb1ELb1ES3_N6thrust23THRUST_200600_302600_NS6detail15normal_iteratorINS9_10device_ptrItEEEENS9_16discard_iteratorINS9_11use_defaultEEEt11max_functorItEtEEDaPvRmT3_T4_T5_mT6_P12ihipStream_tbENKUlT_T0_E_clISt17integral_constantIbLb0EESW_IbLb1EEEEDaSS_ST_EUlSS_E_NS1_11comp_targetILNS1_3genE5ELNS1_11target_archE942ELNS1_3gpuE9ELNS1_3repE0EEENS1_30default_config_static_selectorELNS0_4arch9wavefront6targetE1EEEvT1_
    .private_segment_fixed_size: 0
    .sgpr_count:     4
    .sgpr_spill_count: 0
    .symbol:         _ZN7rocprim17ROCPRIM_400000_NS6detail17trampoline_kernelINS0_14default_configENS1_20scan_config_selectorItEEZZNS1_9scan_implILNS1_25lookback_scan_determinismE0ELb1ELb1ES3_N6thrust23THRUST_200600_302600_NS6detail15normal_iteratorINS9_10device_ptrItEEEENS9_16discard_iteratorINS9_11use_defaultEEEt11max_functorItEtEEDaPvRmT3_T4_T5_mT6_P12ihipStream_tbENKUlT_T0_E_clISt17integral_constantIbLb0EESW_IbLb1EEEEDaSS_ST_EUlSS_E_NS1_11comp_targetILNS1_3genE5ELNS1_11target_archE942ELNS1_3gpuE9ELNS1_3repE0EEENS1_30default_config_static_selectorELNS0_4arch9wavefront6targetE1EEEvT1_.kd
    .uniform_work_group_size: 1
    .uses_dynamic_stack: false
    .vgpr_count:     0
    .vgpr_spill_count: 0
    .wavefront_size: 64
  - .agpr_count:     0
    .args:
      - .offset:         0
        .size:           104
        .value_kind:     by_value
    .group_segment_fixed_size: 3072
    .kernarg_segment_align: 8
    .kernarg_segment_size: 104
    .language:       OpenCL C
    .language_version:
      - 2
      - 0
    .max_flat_workgroup_size: 64
    .name:           _ZN7rocprim17ROCPRIM_400000_NS6detail17trampoline_kernelINS0_14default_configENS1_20scan_config_selectorItEEZZNS1_9scan_implILNS1_25lookback_scan_determinismE0ELb1ELb1ES3_N6thrust23THRUST_200600_302600_NS6detail15normal_iteratorINS9_10device_ptrItEEEENS9_16discard_iteratorINS9_11use_defaultEEEt11max_functorItEtEEDaPvRmT3_T4_T5_mT6_P12ihipStream_tbENKUlT_T0_E_clISt17integral_constantIbLb0EESW_IbLb1EEEEDaSS_ST_EUlSS_E_NS1_11comp_targetILNS1_3genE4ELNS1_11target_archE910ELNS1_3gpuE8ELNS1_3repE0EEENS1_30default_config_static_selectorELNS0_4arch9wavefront6targetE1EEEvT1_
    .private_segment_fixed_size: 0
    .sgpr_count:     36
    .sgpr_spill_count: 0
    .symbol:         _ZN7rocprim17ROCPRIM_400000_NS6detail17trampoline_kernelINS0_14default_configENS1_20scan_config_selectorItEEZZNS1_9scan_implILNS1_25lookback_scan_determinismE0ELb1ELb1ES3_N6thrust23THRUST_200600_302600_NS6detail15normal_iteratorINS9_10device_ptrItEEEENS9_16discard_iteratorINS9_11use_defaultEEEt11max_functorItEtEEDaPvRmT3_T4_T5_mT6_P12ihipStream_tbENKUlT_T0_E_clISt17integral_constantIbLb0EESW_IbLb1EEEEDaSS_ST_EUlSS_E_NS1_11comp_targetILNS1_3genE4ELNS1_11target_archE910ELNS1_3gpuE8ELNS1_3repE0EEENS1_30default_config_static_selectorELNS0_4arch9wavefront6targetE1EEEvT1_.kd
    .uniform_work_group_size: 1
    .uses_dynamic_stack: false
    .vgpr_count:     57
    .vgpr_spill_count: 0
    .wavefront_size: 64
  - .agpr_count:     0
    .args:
      - .offset:         0
        .size:           104
        .value_kind:     by_value
    .group_segment_fixed_size: 0
    .kernarg_segment_align: 8
    .kernarg_segment_size: 104
    .language:       OpenCL C
    .language_version:
      - 2
      - 0
    .max_flat_workgroup_size: 128
    .name:           _ZN7rocprim17ROCPRIM_400000_NS6detail17trampoline_kernelINS0_14default_configENS1_20scan_config_selectorItEEZZNS1_9scan_implILNS1_25lookback_scan_determinismE0ELb1ELb1ES3_N6thrust23THRUST_200600_302600_NS6detail15normal_iteratorINS9_10device_ptrItEEEENS9_16discard_iteratorINS9_11use_defaultEEEt11max_functorItEtEEDaPvRmT3_T4_T5_mT6_P12ihipStream_tbENKUlT_T0_E_clISt17integral_constantIbLb0EESW_IbLb1EEEEDaSS_ST_EUlSS_E_NS1_11comp_targetILNS1_3genE3ELNS1_11target_archE908ELNS1_3gpuE7ELNS1_3repE0EEENS1_30default_config_static_selectorELNS0_4arch9wavefront6targetE1EEEvT1_
    .private_segment_fixed_size: 0
    .sgpr_count:     4
    .sgpr_spill_count: 0
    .symbol:         _ZN7rocprim17ROCPRIM_400000_NS6detail17trampoline_kernelINS0_14default_configENS1_20scan_config_selectorItEEZZNS1_9scan_implILNS1_25lookback_scan_determinismE0ELb1ELb1ES3_N6thrust23THRUST_200600_302600_NS6detail15normal_iteratorINS9_10device_ptrItEEEENS9_16discard_iteratorINS9_11use_defaultEEEt11max_functorItEtEEDaPvRmT3_T4_T5_mT6_P12ihipStream_tbENKUlT_T0_E_clISt17integral_constantIbLb0EESW_IbLb1EEEEDaSS_ST_EUlSS_E_NS1_11comp_targetILNS1_3genE3ELNS1_11target_archE908ELNS1_3gpuE7ELNS1_3repE0EEENS1_30default_config_static_selectorELNS0_4arch9wavefront6targetE1EEEvT1_.kd
    .uniform_work_group_size: 1
    .uses_dynamic_stack: false
    .vgpr_count:     0
    .vgpr_spill_count: 0
    .wavefront_size: 64
  - .agpr_count:     0
    .args:
      - .offset:         0
        .size:           104
        .value_kind:     by_value
    .group_segment_fixed_size: 0
    .kernarg_segment_align: 8
    .kernarg_segment_size: 104
    .language:       OpenCL C
    .language_version:
      - 2
      - 0
    .max_flat_workgroup_size: 256
    .name:           _ZN7rocprim17ROCPRIM_400000_NS6detail17trampoline_kernelINS0_14default_configENS1_20scan_config_selectorItEEZZNS1_9scan_implILNS1_25lookback_scan_determinismE0ELb1ELb1ES3_N6thrust23THRUST_200600_302600_NS6detail15normal_iteratorINS9_10device_ptrItEEEENS9_16discard_iteratorINS9_11use_defaultEEEt11max_functorItEtEEDaPvRmT3_T4_T5_mT6_P12ihipStream_tbENKUlT_T0_E_clISt17integral_constantIbLb0EESW_IbLb1EEEEDaSS_ST_EUlSS_E_NS1_11comp_targetILNS1_3genE2ELNS1_11target_archE906ELNS1_3gpuE6ELNS1_3repE0EEENS1_30default_config_static_selectorELNS0_4arch9wavefront6targetE1EEEvT1_
    .private_segment_fixed_size: 0
    .sgpr_count:     4
    .sgpr_spill_count: 0
    .symbol:         _ZN7rocprim17ROCPRIM_400000_NS6detail17trampoline_kernelINS0_14default_configENS1_20scan_config_selectorItEEZZNS1_9scan_implILNS1_25lookback_scan_determinismE0ELb1ELb1ES3_N6thrust23THRUST_200600_302600_NS6detail15normal_iteratorINS9_10device_ptrItEEEENS9_16discard_iteratorINS9_11use_defaultEEEt11max_functorItEtEEDaPvRmT3_T4_T5_mT6_P12ihipStream_tbENKUlT_T0_E_clISt17integral_constantIbLb0EESW_IbLb1EEEEDaSS_ST_EUlSS_E_NS1_11comp_targetILNS1_3genE2ELNS1_11target_archE906ELNS1_3gpuE6ELNS1_3repE0EEENS1_30default_config_static_selectorELNS0_4arch9wavefront6targetE1EEEvT1_.kd
    .uniform_work_group_size: 1
    .uses_dynamic_stack: false
    .vgpr_count:     0
    .vgpr_spill_count: 0
    .wavefront_size: 64
  - .agpr_count:     0
    .args:
      - .offset:         0
        .size:           104
        .value_kind:     by_value
    .group_segment_fixed_size: 0
    .kernarg_segment_align: 8
    .kernarg_segment_size: 104
    .language:       OpenCL C
    .language_version:
      - 2
      - 0
    .max_flat_workgroup_size: 256
    .name:           _ZN7rocprim17ROCPRIM_400000_NS6detail17trampoline_kernelINS0_14default_configENS1_20scan_config_selectorItEEZZNS1_9scan_implILNS1_25lookback_scan_determinismE0ELb1ELb1ES3_N6thrust23THRUST_200600_302600_NS6detail15normal_iteratorINS9_10device_ptrItEEEENS9_16discard_iteratorINS9_11use_defaultEEEt11max_functorItEtEEDaPvRmT3_T4_T5_mT6_P12ihipStream_tbENKUlT_T0_E_clISt17integral_constantIbLb0EESW_IbLb1EEEEDaSS_ST_EUlSS_E_NS1_11comp_targetILNS1_3genE10ELNS1_11target_archE1201ELNS1_3gpuE5ELNS1_3repE0EEENS1_30default_config_static_selectorELNS0_4arch9wavefront6targetE1EEEvT1_
    .private_segment_fixed_size: 0
    .sgpr_count:     4
    .sgpr_spill_count: 0
    .symbol:         _ZN7rocprim17ROCPRIM_400000_NS6detail17trampoline_kernelINS0_14default_configENS1_20scan_config_selectorItEEZZNS1_9scan_implILNS1_25lookback_scan_determinismE0ELb1ELb1ES3_N6thrust23THRUST_200600_302600_NS6detail15normal_iteratorINS9_10device_ptrItEEEENS9_16discard_iteratorINS9_11use_defaultEEEt11max_functorItEtEEDaPvRmT3_T4_T5_mT6_P12ihipStream_tbENKUlT_T0_E_clISt17integral_constantIbLb0EESW_IbLb1EEEEDaSS_ST_EUlSS_E_NS1_11comp_targetILNS1_3genE10ELNS1_11target_archE1201ELNS1_3gpuE5ELNS1_3repE0EEENS1_30default_config_static_selectorELNS0_4arch9wavefront6targetE1EEEvT1_.kd
    .uniform_work_group_size: 1
    .uses_dynamic_stack: false
    .vgpr_count:     0
    .vgpr_spill_count: 0
    .wavefront_size: 64
  - .agpr_count:     0
    .args:
      - .offset:         0
        .size:           104
        .value_kind:     by_value
    .group_segment_fixed_size: 0
    .kernarg_segment_align: 8
    .kernarg_segment_size: 104
    .language:       OpenCL C
    .language_version:
      - 2
      - 0
    .max_flat_workgroup_size: 256
    .name:           _ZN7rocprim17ROCPRIM_400000_NS6detail17trampoline_kernelINS0_14default_configENS1_20scan_config_selectorItEEZZNS1_9scan_implILNS1_25lookback_scan_determinismE0ELb1ELb1ES3_N6thrust23THRUST_200600_302600_NS6detail15normal_iteratorINS9_10device_ptrItEEEENS9_16discard_iteratorINS9_11use_defaultEEEt11max_functorItEtEEDaPvRmT3_T4_T5_mT6_P12ihipStream_tbENKUlT_T0_E_clISt17integral_constantIbLb0EESW_IbLb1EEEEDaSS_ST_EUlSS_E_NS1_11comp_targetILNS1_3genE10ELNS1_11target_archE1200ELNS1_3gpuE4ELNS1_3repE0EEENS1_30default_config_static_selectorELNS0_4arch9wavefront6targetE1EEEvT1_
    .private_segment_fixed_size: 0
    .sgpr_count:     4
    .sgpr_spill_count: 0
    .symbol:         _ZN7rocprim17ROCPRIM_400000_NS6detail17trampoline_kernelINS0_14default_configENS1_20scan_config_selectorItEEZZNS1_9scan_implILNS1_25lookback_scan_determinismE0ELb1ELb1ES3_N6thrust23THRUST_200600_302600_NS6detail15normal_iteratorINS9_10device_ptrItEEEENS9_16discard_iteratorINS9_11use_defaultEEEt11max_functorItEtEEDaPvRmT3_T4_T5_mT6_P12ihipStream_tbENKUlT_T0_E_clISt17integral_constantIbLb0EESW_IbLb1EEEEDaSS_ST_EUlSS_E_NS1_11comp_targetILNS1_3genE10ELNS1_11target_archE1200ELNS1_3gpuE4ELNS1_3repE0EEENS1_30default_config_static_selectorELNS0_4arch9wavefront6targetE1EEEvT1_.kd
    .uniform_work_group_size: 1
    .uses_dynamic_stack: false
    .vgpr_count:     0
    .vgpr_spill_count: 0
    .wavefront_size: 64
  - .agpr_count:     0
    .args:
      - .offset:         0
        .size:           104
        .value_kind:     by_value
    .group_segment_fixed_size: 0
    .kernarg_segment_align: 8
    .kernarg_segment_size: 104
    .language:       OpenCL C
    .language_version:
      - 2
      - 0
    .max_flat_workgroup_size: 64
    .name:           _ZN7rocprim17ROCPRIM_400000_NS6detail17trampoline_kernelINS0_14default_configENS1_20scan_config_selectorItEEZZNS1_9scan_implILNS1_25lookback_scan_determinismE0ELb1ELb1ES3_N6thrust23THRUST_200600_302600_NS6detail15normal_iteratorINS9_10device_ptrItEEEENS9_16discard_iteratorINS9_11use_defaultEEEt11max_functorItEtEEDaPvRmT3_T4_T5_mT6_P12ihipStream_tbENKUlT_T0_E_clISt17integral_constantIbLb0EESW_IbLb1EEEEDaSS_ST_EUlSS_E_NS1_11comp_targetILNS1_3genE9ELNS1_11target_archE1100ELNS1_3gpuE3ELNS1_3repE0EEENS1_30default_config_static_selectorELNS0_4arch9wavefront6targetE1EEEvT1_
    .private_segment_fixed_size: 0
    .sgpr_count:     4
    .sgpr_spill_count: 0
    .symbol:         _ZN7rocprim17ROCPRIM_400000_NS6detail17trampoline_kernelINS0_14default_configENS1_20scan_config_selectorItEEZZNS1_9scan_implILNS1_25lookback_scan_determinismE0ELb1ELb1ES3_N6thrust23THRUST_200600_302600_NS6detail15normal_iteratorINS9_10device_ptrItEEEENS9_16discard_iteratorINS9_11use_defaultEEEt11max_functorItEtEEDaPvRmT3_T4_T5_mT6_P12ihipStream_tbENKUlT_T0_E_clISt17integral_constantIbLb0EESW_IbLb1EEEEDaSS_ST_EUlSS_E_NS1_11comp_targetILNS1_3genE9ELNS1_11target_archE1100ELNS1_3gpuE3ELNS1_3repE0EEENS1_30default_config_static_selectorELNS0_4arch9wavefront6targetE1EEEvT1_.kd
    .uniform_work_group_size: 1
    .uses_dynamic_stack: false
    .vgpr_count:     0
    .vgpr_spill_count: 0
    .wavefront_size: 64
  - .agpr_count:     0
    .args:
      - .offset:         0
        .size:           104
        .value_kind:     by_value
    .group_segment_fixed_size: 0
    .kernarg_segment_align: 8
    .kernarg_segment_size: 104
    .language:       OpenCL C
    .language_version:
      - 2
      - 0
    .max_flat_workgroup_size: 64
    .name:           _ZN7rocprim17ROCPRIM_400000_NS6detail17trampoline_kernelINS0_14default_configENS1_20scan_config_selectorItEEZZNS1_9scan_implILNS1_25lookback_scan_determinismE0ELb1ELb1ES3_N6thrust23THRUST_200600_302600_NS6detail15normal_iteratorINS9_10device_ptrItEEEENS9_16discard_iteratorINS9_11use_defaultEEEt11max_functorItEtEEDaPvRmT3_T4_T5_mT6_P12ihipStream_tbENKUlT_T0_E_clISt17integral_constantIbLb0EESW_IbLb1EEEEDaSS_ST_EUlSS_E_NS1_11comp_targetILNS1_3genE8ELNS1_11target_archE1030ELNS1_3gpuE2ELNS1_3repE0EEENS1_30default_config_static_selectorELNS0_4arch9wavefront6targetE1EEEvT1_
    .private_segment_fixed_size: 0
    .sgpr_count:     4
    .sgpr_spill_count: 0
    .symbol:         _ZN7rocprim17ROCPRIM_400000_NS6detail17trampoline_kernelINS0_14default_configENS1_20scan_config_selectorItEEZZNS1_9scan_implILNS1_25lookback_scan_determinismE0ELb1ELb1ES3_N6thrust23THRUST_200600_302600_NS6detail15normal_iteratorINS9_10device_ptrItEEEENS9_16discard_iteratorINS9_11use_defaultEEEt11max_functorItEtEEDaPvRmT3_T4_T5_mT6_P12ihipStream_tbENKUlT_T0_E_clISt17integral_constantIbLb0EESW_IbLb1EEEEDaSS_ST_EUlSS_E_NS1_11comp_targetILNS1_3genE8ELNS1_11target_archE1030ELNS1_3gpuE2ELNS1_3repE0EEENS1_30default_config_static_selectorELNS0_4arch9wavefront6targetE1EEEvT1_.kd
    .uniform_work_group_size: 1
    .uses_dynamic_stack: false
    .vgpr_count:     0
    .vgpr_spill_count: 0
    .wavefront_size: 64
  - .agpr_count:     0
    .args:
      - .offset:         0
        .size:           40
        .value_kind:     by_value
    .group_segment_fixed_size: 0
    .kernarg_segment_align: 8
    .kernarg_segment_size: 40
    .language:       OpenCL C
    .language_version:
      - 2
      - 0
    .max_flat_workgroup_size: 128
    .name:           _ZN7rocprim17ROCPRIM_400000_NS6detail17trampoline_kernelINS0_14default_configENS1_20scan_config_selectorItEEZZNS1_9scan_implILNS1_25lookback_scan_determinismE0ELb1ELb1ES3_N6thrust23THRUST_200600_302600_NS6detail15normal_iteratorINS9_10device_ptrItEEEENS9_16discard_iteratorINS9_11use_defaultEEEt11max_functorItEtEEDaPvRmT3_T4_T5_mT6_P12ihipStream_tbENKUlT_T0_E_clISt17integral_constantIbLb0EESW_IbLb1EEEEDaSS_ST_EUlSS_E0_NS1_11comp_targetILNS1_3genE0ELNS1_11target_archE4294967295ELNS1_3gpuE0ELNS1_3repE0EEENS1_30default_config_static_selectorELNS0_4arch9wavefront6targetE1EEEvT1_
    .private_segment_fixed_size: 0
    .sgpr_count:     4
    .sgpr_spill_count: 0
    .symbol:         _ZN7rocprim17ROCPRIM_400000_NS6detail17trampoline_kernelINS0_14default_configENS1_20scan_config_selectorItEEZZNS1_9scan_implILNS1_25lookback_scan_determinismE0ELb1ELb1ES3_N6thrust23THRUST_200600_302600_NS6detail15normal_iteratorINS9_10device_ptrItEEEENS9_16discard_iteratorINS9_11use_defaultEEEt11max_functorItEtEEDaPvRmT3_T4_T5_mT6_P12ihipStream_tbENKUlT_T0_E_clISt17integral_constantIbLb0EESW_IbLb1EEEEDaSS_ST_EUlSS_E0_NS1_11comp_targetILNS1_3genE0ELNS1_11target_archE4294967295ELNS1_3gpuE0ELNS1_3repE0EEENS1_30default_config_static_selectorELNS0_4arch9wavefront6targetE1EEEvT1_.kd
    .uniform_work_group_size: 1
    .uses_dynamic_stack: false
    .vgpr_count:     0
    .vgpr_spill_count: 0
    .wavefront_size: 64
  - .agpr_count:     0
    .args:
      - .offset:         0
        .size:           40
        .value_kind:     by_value
    .group_segment_fixed_size: 0
    .kernarg_segment_align: 8
    .kernarg_segment_size: 40
    .language:       OpenCL C
    .language_version:
      - 2
      - 0
    .max_flat_workgroup_size: 256
    .name:           _ZN7rocprim17ROCPRIM_400000_NS6detail17trampoline_kernelINS0_14default_configENS1_20scan_config_selectorItEEZZNS1_9scan_implILNS1_25lookback_scan_determinismE0ELb1ELb1ES3_N6thrust23THRUST_200600_302600_NS6detail15normal_iteratorINS9_10device_ptrItEEEENS9_16discard_iteratorINS9_11use_defaultEEEt11max_functorItEtEEDaPvRmT3_T4_T5_mT6_P12ihipStream_tbENKUlT_T0_E_clISt17integral_constantIbLb0EESW_IbLb1EEEEDaSS_ST_EUlSS_E0_NS1_11comp_targetILNS1_3genE5ELNS1_11target_archE942ELNS1_3gpuE9ELNS1_3repE0EEENS1_30default_config_static_selectorELNS0_4arch9wavefront6targetE1EEEvT1_
    .private_segment_fixed_size: 0
    .sgpr_count:     4
    .sgpr_spill_count: 0
    .symbol:         _ZN7rocprim17ROCPRIM_400000_NS6detail17trampoline_kernelINS0_14default_configENS1_20scan_config_selectorItEEZZNS1_9scan_implILNS1_25lookback_scan_determinismE0ELb1ELb1ES3_N6thrust23THRUST_200600_302600_NS6detail15normal_iteratorINS9_10device_ptrItEEEENS9_16discard_iteratorINS9_11use_defaultEEEt11max_functorItEtEEDaPvRmT3_T4_T5_mT6_P12ihipStream_tbENKUlT_T0_E_clISt17integral_constantIbLb0EESW_IbLb1EEEEDaSS_ST_EUlSS_E0_NS1_11comp_targetILNS1_3genE5ELNS1_11target_archE942ELNS1_3gpuE9ELNS1_3repE0EEENS1_30default_config_static_selectorELNS0_4arch9wavefront6targetE1EEEvT1_.kd
    .uniform_work_group_size: 1
    .uses_dynamic_stack: false
    .vgpr_count:     0
    .vgpr_spill_count: 0
    .wavefront_size: 64
  - .agpr_count:     0
    .args:
      - .offset:         0
        .size:           40
        .value_kind:     by_value
    .group_segment_fixed_size: 3072
    .kernarg_segment_align: 8
    .kernarg_segment_size: 40
    .language:       OpenCL C
    .language_version:
      - 2
      - 0
    .max_flat_workgroup_size: 64
    .name:           _ZN7rocprim17ROCPRIM_400000_NS6detail17trampoline_kernelINS0_14default_configENS1_20scan_config_selectorItEEZZNS1_9scan_implILNS1_25lookback_scan_determinismE0ELb1ELb1ES3_N6thrust23THRUST_200600_302600_NS6detail15normal_iteratorINS9_10device_ptrItEEEENS9_16discard_iteratorINS9_11use_defaultEEEt11max_functorItEtEEDaPvRmT3_T4_T5_mT6_P12ihipStream_tbENKUlT_T0_E_clISt17integral_constantIbLb0EESW_IbLb1EEEEDaSS_ST_EUlSS_E0_NS1_11comp_targetILNS1_3genE4ELNS1_11target_archE910ELNS1_3gpuE8ELNS1_3repE0EEENS1_30default_config_static_selectorELNS0_4arch9wavefront6targetE1EEEvT1_
    .private_segment_fixed_size: 0
    .sgpr_count:     12
    .sgpr_spill_count: 0
    .symbol:         _ZN7rocprim17ROCPRIM_400000_NS6detail17trampoline_kernelINS0_14default_configENS1_20scan_config_selectorItEEZZNS1_9scan_implILNS1_25lookback_scan_determinismE0ELb1ELb1ES3_N6thrust23THRUST_200600_302600_NS6detail15normal_iteratorINS9_10device_ptrItEEEENS9_16discard_iteratorINS9_11use_defaultEEEt11max_functorItEtEEDaPvRmT3_T4_T5_mT6_P12ihipStream_tbENKUlT_T0_E_clISt17integral_constantIbLb0EESW_IbLb1EEEEDaSS_ST_EUlSS_E0_NS1_11comp_targetILNS1_3genE4ELNS1_11target_archE910ELNS1_3gpuE8ELNS1_3repE0EEENS1_30default_config_static_selectorELNS0_4arch9wavefront6targetE1EEEvT1_.kd
    .uniform_work_group_size: 1
    .uses_dynamic_stack: false
    .vgpr_count:     29
    .vgpr_spill_count: 0
    .wavefront_size: 64
  - .agpr_count:     0
    .args:
      - .offset:         0
        .size:           40
        .value_kind:     by_value
    .group_segment_fixed_size: 0
    .kernarg_segment_align: 8
    .kernarg_segment_size: 40
    .language:       OpenCL C
    .language_version:
      - 2
      - 0
    .max_flat_workgroup_size: 128
    .name:           _ZN7rocprim17ROCPRIM_400000_NS6detail17trampoline_kernelINS0_14default_configENS1_20scan_config_selectorItEEZZNS1_9scan_implILNS1_25lookback_scan_determinismE0ELb1ELb1ES3_N6thrust23THRUST_200600_302600_NS6detail15normal_iteratorINS9_10device_ptrItEEEENS9_16discard_iteratorINS9_11use_defaultEEEt11max_functorItEtEEDaPvRmT3_T4_T5_mT6_P12ihipStream_tbENKUlT_T0_E_clISt17integral_constantIbLb0EESW_IbLb1EEEEDaSS_ST_EUlSS_E0_NS1_11comp_targetILNS1_3genE3ELNS1_11target_archE908ELNS1_3gpuE7ELNS1_3repE0EEENS1_30default_config_static_selectorELNS0_4arch9wavefront6targetE1EEEvT1_
    .private_segment_fixed_size: 0
    .sgpr_count:     4
    .sgpr_spill_count: 0
    .symbol:         _ZN7rocprim17ROCPRIM_400000_NS6detail17trampoline_kernelINS0_14default_configENS1_20scan_config_selectorItEEZZNS1_9scan_implILNS1_25lookback_scan_determinismE0ELb1ELb1ES3_N6thrust23THRUST_200600_302600_NS6detail15normal_iteratorINS9_10device_ptrItEEEENS9_16discard_iteratorINS9_11use_defaultEEEt11max_functorItEtEEDaPvRmT3_T4_T5_mT6_P12ihipStream_tbENKUlT_T0_E_clISt17integral_constantIbLb0EESW_IbLb1EEEEDaSS_ST_EUlSS_E0_NS1_11comp_targetILNS1_3genE3ELNS1_11target_archE908ELNS1_3gpuE7ELNS1_3repE0EEENS1_30default_config_static_selectorELNS0_4arch9wavefront6targetE1EEEvT1_.kd
    .uniform_work_group_size: 1
    .uses_dynamic_stack: false
    .vgpr_count:     0
    .vgpr_spill_count: 0
    .wavefront_size: 64
  - .agpr_count:     0
    .args:
      - .offset:         0
        .size:           40
        .value_kind:     by_value
    .group_segment_fixed_size: 0
    .kernarg_segment_align: 8
    .kernarg_segment_size: 40
    .language:       OpenCL C
    .language_version:
      - 2
      - 0
    .max_flat_workgroup_size: 256
    .name:           _ZN7rocprim17ROCPRIM_400000_NS6detail17trampoline_kernelINS0_14default_configENS1_20scan_config_selectorItEEZZNS1_9scan_implILNS1_25lookback_scan_determinismE0ELb1ELb1ES3_N6thrust23THRUST_200600_302600_NS6detail15normal_iteratorINS9_10device_ptrItEEEENS9_16discard_iteratorINS9_11use_defaultEEEt11max_functorItEtEEDaPvRmT3_T4_T5_mT6_P12ihipStream_tbENKUlT_T0_E_clISt17integral_constantIbLb0EESW_IbLb1EEEEDaSS_ST_EUlSS_E0_NS1_11comp_targetILNS1_3genE2ELNS1_11target_archE906ELNS1_3gpuE6ELNS1_3repE0EEENS1_30default_config_static_selectorELNS0_4arch9wavefront6targetE1EEEvT1_
    .private_segment_fixed_size: 0
    .sgpr_count:     4
    .sgpr_spill_count: 0
    .symbol:         _ZN7rocprim17ROCPRIM_400000_NS6detail17trampoline_kernelINS0_14default_configENS1_20scan_config_selectorItEEZZNS1_9scan_implILNS1_25lookback_scan_determinismE0ELb1ELb1ES3_N6thrust23THRUST_200600_302600_NS6detail15normal_iteratorINS9_10device_ptrItEEEENS9_16discard_iteratorINS9_11use_defaultEEEt11max_functorItEtEEDaPvRmT3_T4_T5_mT6_P12ihipStream_tbENKUlT_T0_E_clISt17integral_constantIbLb0EESW_IbLb1EEEEDaSS_ST_EUlSS_E0_NS1_11comp_targetILNS1_3genE2ELNS1_11target_archE906ELNS1_3gpuE6ELNS1_3repE0EEENS1_30default_config_static_selectorELNS0_4arch9wavefront6targetE1EEEvT1_.kd
    .uniform_work_group_size: 1
    .uses_dynamic_stack: false
    .vgpr_count:     0
    .vgpr_spill_count: 0
    .wavefront_size: 64
  - .agpr_count:     0
    .args:
      - .offset:         0
        .size:           40
        .value_kind:     by_value
    .group_segment_fixed_size: 0
    .kernarg_segment_align: 8
    .kernarg_segment_size: 40
    .language:       OpenCL C
    .language_version:
      - 2
      - 0
    .max_flat_workgroup_size: 256
    .name:           _ZN7rocprim17ROCPRIM_400000_NS6detail17trampoline_kernelINS0_14default_configENS1_20scan_config_selectorItEEZZNS1_9scan_implILNS1_25lookback_scan_determinismE0ELb1ELb1ES3_N6thrust23THRUST_200600_302600_NS6detail15normal_iteratorINS9_10device_ptrItEEEENS9_16discard_iteratorINS9_11use_defaultEEEt11max_functorItEtEEDaPvRmT3_T4_T5_mT6_P12ihipStream_tbENKUlT_T0_E_clISt17integral_constantIbLb0EESW_IbLb1EEEEDaSS_ST_EUlSS_E0_NS1_11comp_targetILNS1_3genE10ELNS1_11target_archE1201ELNS1_3gpuE5ELNS1_3repE0EEENS1_30default_config_static_selectorELNS0_4arch9wavefront6targetE1EEEvT1_
    .private_segment_fixed_size: 0
    .sgpr_count:     4
    .sgpr_spill_count: 0
    .symbol:         _ZN7rocprim17ROCPRIM_400000_NS6detail17trampoline_kernelINS0_14default_configENS1_20scan_config_selectorItEEZZNS1_9scan_implILNS1_25lookback_scan_determinismE0ELb1ELb1ES3_N6thrust23THRUST_200600_302600_NS6detail15normal_iteratorINS9_10device_ptrItEEEENS9_16discard_iteratorINS9_11use_defaultEEEt11max_functorItEtEEDaPvRmT3_T4_T5_mT6_P12ihipStream_tbENKUlT_T0_E_clISt17integral_constantIbLb0EESW_IbLb1EEEEDaSS_ST_EUlSS_E0_NS1_11comp_targetILNS1_3genE10ELNS1_11target_archE1201ELNS1_3gpuE5ELNS1_3repE0EEENS1_30default_config_static_selectorELNS0_4arch9wavefront6targetE1EEEvT1_.kd
    .uniform_work_group_size: 1
    .uses_dynamic_stack: false
    .vgpr_count:     0
    .vgpr_spill_count: 0
    .wavefront_size: 64
  - .agpr_count:     0
    .args:
      - .offset:         0
        .size:           40
        .value_kind:     by_value
    .group_segment_fixed_size: 0
    .kernarg_segment_align: 8
    .kernarg_segment_size: 40
    .language:       OpenCL C
    .language_version:
      - 2
      - 0
    .max_flat_workgroup_size: 256
    .name:           _ZN7rocprim17ROCPRIM_400000_NS6detail17trampoline_kernelINS0_14default_configENS1_20scan_config_selectorItEEZZNS1_9scan_implILNS1_25lookback_scan_determinismE0ELb1ELb1ES3_N6thrust23THRUST_200600_302600_NS6detail15normal_iteratorINS9_10device_ptrItEEEENS9_16discard_iteratorINS9_11use_defaultEEEt11max_functorItEtEEDaPvRmT3_T4_T5_mT6_P12ihipStream_tbENKUlT_T0_E_clISt17integral_constantIbLb0EESW_IbLb1EEEEDaSS_ST_EUlSS_E0_NS1_11comp_targetILNS1_3genE10ELNS1_11target_archE1200ELNS1_3gpuE4ELNS1_3repE0EEENS1_30default_config_static_selectorELNS0_4arch9wavefront6targetE1EEEvT1_
    .private_segment_fixed_size: 0
    .sgpr_count:     4
    .sgpr_spill_count: 0
    .symbol:         _ZN7rocprim17ROCPRIM_400000_NS6detail17trampoline_kernelINS0_14default_configENS1_20scan_config_selectorItEEZZNS1_9scan_implILNS1_25lookback_scan_determinismE0ELb1ELb1ES3_N6thrust23THRUST_200600_302600_NS6detail15normal_iteratorINS9_10device_ptrItEEEENS9_16discard_iteratorINS9_11use_defaultEEEt11max_functorItEtEEDaPvRmT3_T4_T5_mT6_P12ihipStream_tbENKUlT_T0_E_clISt17integral_constantIbLb0EESW_IbLb1EEEEDaSS_ST_EUlSS_E0_NS1_11comp_targetILNS1_3genE10ELNS1_11target_archE1200ELNS1_3gpuE4ELNS1_3repE0EEENS1_30default_config_static_selectorELNS0_4arch9wavefront6targetE1EEEvT1_.kd
    .uniform_work_group_size: 1
    .uses_dynamic_stack: false
    .vgpr_count:     0
    .vgpr_spill_count: 0
    .wavefront_size: 64
  - .agpr_count:     0
    .args:
      - .offset:         0
        .size:           40
        .value_kind:     by_value
    .group_segment_fixed_size: 0
    .kernarg_segment_align: 8
    .kernarg_segment_size: 40
    .language:       OpenCL C
    .language_version:
      - 2
      - 0
    .max_flat_workgroup_size: 64
    .name:           _ZN7rocprim17ROCPRIM_400000_NS6detail17trampoline_kernelINS0_14default_configENS1_20scan_config_selectorItEEZZNS1_9scan_implILNS1_25lookback_scan_determinismE0ELb1ELb1ES3_N6thrust23THRUST_200600_302600_NS6detail15normal_iteratorINS9_10device_ptrItEEEENS9_16discard_iteratorINS9_11use_defaultEEEt11max_functorItEtEEDaPvRmT3_T4_T5_mT6_P12ihipStream_tbENKUlT_T0_E_clISt17integral_constantIbLb0EESW_IbLb1EEEEDaSS_ST_EUlSS_E0_NS1_11comp_targetILNS1_3genE9ELNS1_11target_archE1100ELNS1_3gpuE3ELNS1_3repE0EEENS1_30default_config_static_selectorELNS0_4arch9wavefront6targetE1EEEvT1_
    .private_segment_fixed_size: 0
    .sgpr_count:     4
    .sgpr_spill_count: 0
    .symbol:         _ZN7rocprim17ROCPRIM_400000_NS6detail17trampoline_kernelINS0_14default_configENS1_20scan_config_selectorItEEZZNS1_9scan_implILNS1_25lookback_scan_determinismE0ELb1ELb1ES3_N6thrust23THRUST_200600_302600_NS6detail15normal_iteratorINS9_10device_ptrItEEEENS9_16discard_iteratorINS9_11use_defaultEEEt11max_functorItEtEEDaPvRmT3_T4_T5_mT6_P12ihipStream_tbENKUlT_T0_E_clISt17integral_constantIbLb0EESW_IbLb1EEEEDaSS_ST_EUlSS_E0_NS1_11comp_targetILNS1_3genE9ELNS1_11target_archE1100ELNS1_3gpuE3ELNS1_3repE0EEENS1_30default_config_static_selectorELNS0_4arch9wavefront6targetE1EEEvT1_.kd
    .uniform_work_group_size: 1
    .uses_dynamic_stack: false
    .vgpr_count:     0
    .vgpr_spill_count: 0
    .wavefront_size: 64
  - .agpr_count:     0
    .args:
      - .offset:         0
        .size:           40
        .value_kind:     by_value
    .group_segment_fixed_size: 0
    .kernarg_segment_align: 8
    .kernarg_segment_size: 40
    .language:       OpenCL C
    .language_version:
      - 2
      - 0
    .max_flat_workgroup_size: 64
    .name:           _ZN7rocprim17ROCPRIM_400000_NS6detail17trampoline_kernelINS0_14default_configENS1_20scan_config_selectorItEEZZNS1_9scan_implILNS1_25lookback_scan_determinismE0ELb1ELb1ES3_N6thrust23THRUST_200600_302600_NS6detail15normal_iteratorINS9_10device_ptrItEEEENS9_16discard_iteratorINS9_11use_defaultEEEt11max_functorItEtEEDaPvRmT3_T4_T5_mT6_P12ihipStream_tbENKUlT_T0_E_clISt17integral_constantIbLb0EESW_IbLb1EEEEDaSS_ST_EUlSS_E0_NS1_11comp_targetILNS1_3genE8ELNS1_11target_archE1030ELNS1_3gpuE2ELNS1_3repE0EEENS1_30default_config_static_selectorELNS0_4arch9wavefront6targetE1EEEvT1_
    .private_segment_fixed_size: 0
    .sgpr_count:     4
    .sgpr_spill_count: 0
    .symbol:         _ZN7rocprim17ROCPRIM_400000_NS6detail17trampoline_kernelINS0_14default_configENS1_20scan_config_selectorItEEZZNS1_9scan_implILNS1_25lookback_scan_determinismE0ELb1ELb1ES3_N6thrust23THRUST_200600_302600_NS6detail15normal_iteratorINS9_10device_ptrItEEEENS9_16discard_iteratorINS9_11use_defaultEEEt11max_functorItEtEEDaPvRmT3_T4_T5_mT6_P12ihipStream_tbENKUlT_T0_E_clISt17integral_constantIbLb0EESW_IbLb1EEEEDaSS_ST_EUlSS_E0_NS1_11comp_targetILNS1_3genE8ELNS1_11target_archE1030ELNS1_3gpuE2ELNS1_3repE0EEENS1_30default_config_static_selectorELNS0_4arch9wavefront6targetE1EEEvT1_.kd
    .uniform_work_group_size: 1
    .uses_dynamic_stack: false
    .vgpr_count:     0
    .vgpr_spill_count: 0
    .wavefront_size: 64
  - .agpr_count:     0
    .args:
      - .offset:         0
        .size:           112
        .value_kind:     by_value
    .group_segment_fixed_size: 0
    .kernarg_segment_align: 8
    .kernarg_segment_size: 112
    .language:       OpenCL C
    .language_version:
      - 2
      - 0
    .max_flat_workgroup_size: 256
    .name:           _ZN7rocprim17ROCPRIM_400000_NS6detail17trampoline_kernelINS0_14default_configENS1_20scan_config_selectorIxEEZZNS1_9scan_implILNS1_25lookback_scan_determinismE0ELb0ELb0ES3_N6thrust23THRUST_200600_302600_NS6detail15normal_iteratorINS9_10device_ptrIxEEEENS9_16discard_iteratorINS9_11use_defaultEEEx11max_functorIxExEEDaPvRmT3_T4_T5_mT6_P12ihipStream_tbENKUlT_T0_E_clISt17integral_constantIbLb0EESX_EEDaSS_ST_EUlSS_E_NS1_11comp_targetILNS1_3genE0ELNS1_11target_archE4294967295ELNS1_3gpuE0ELNS1_3repE0EEENS1_30default_config_static_selectorELNS0_4arch9wavefront6targetE1EEEvT1_
    .private_segment_fixed_size: 0
    .sgpr_count:     4
    .sgpr_spill_count: 0
    .symbol:         _ZN7rocprim17ROCPRIM_400000_NS6detail17trampoline_kernelINS0_14default_configENS1_20scan_config_selectorIxEEZZNS1_9scan_implILNS1_25lookback_scan_determinismE0ELb0ELb0ES3_N6thrust23THRUST_200600_302600_NS6detail15normal_iteratorINS9_10device_ptrIxEEEENS9_16discard_iteratorINS9_11use_defaultEEEx11max_functorIxExEEDaPvRmT3_T4_T5_mT6_P12ihipStream_tbENKUlT_T0_E_clISt17integral_constantIbLb0EESX_EEDaSS_ST_EUlSS_E_NS1_11comp_targetILNS1_3genE0ELNS1_11target_archE4294967295ELNS1_3gpuE0ELNS1_3repE0EEENS1_30default_config_static_selectorELNS0_4arch9wavefront6targetE1EEEvT1_.kd
    .uniform_work_group_size: 1
    .uses_dynamic_stack: false
    .vgpr_count:     0
    .vgpr_spill_count: 0
    .wavefront_size: 64
  - .agpr_count:     0
    .args:
      - .offset:         0
        .size:           112
        .value_kind:     by_value
    .group_segment_fixed_size: 0
    .kernarg_segment_align: 8
    .kernarg_segment_size: 112
    .language:       OpenCL C
    .language_version:
      - 2
      - 0
    .max_flat_workgroup_size: 256
    .name:           _ZN7rocprim17ROCPRIM_400000_NS6detail17trampoline_kernelINS0_14default_configENS1_20scan_config_selectorIxEEZZNS1_9scan_implILNS1_25lookback_scan_determinismE0ELb0ELb0ES3_N6thrust23THRUST_200600_302600_NS6detail15normal_iteratorINS9_10device_ptrIxEEEENS9_16discard_iteratorINS9_11use_defaultEEEx11max_functorIxExEEDaPvRmT3_T4_T5_mT6_P12ihipStream_tbENKUlT_T0_E_clISt17integral_constantIbLb0EESX_EEDaSS_ST_EUlSS_E_NS1_11comp_targetILNS1_3genE5ELNS1_11target_archE942ELNS1_3gpuE9ELNS1_3repE0EEENS1_30default_config_static_selectorELNS0_4arch9wavefront6targetE1EEEvT1_
    .private_segment_fixed_size: 0
    .sgpr_count:     4
    .sgpr_spill_count: 0
    .symbol:         _ZN7rocprim17ROCPRIM_400000_NS6detail17trampoline_kernelINS0_14default_configENS1_20scan_config_selectorIxEEZZNS1_9scan_implILNS1_25lookback_scan_determinismE0ELb0ELb0ES3_N6thrust23THRUST_200600_302600_NS6detail15normal_iteratorINS9_10device_ptrIxEEEENS9_16discard_iteratorINS9_11use_defaultEEEx11max_functorIxExEEDaPvRmT3_T4_T5_mT6_P12ihipStream_tbENKUlT_T0_E_clISt17integral_constantIbLb0EESX_EEDaSS_ST_EUlSS_E_NS1_11comp_targetILNS1_3genE5ELNS1_11target_archE942ELNS1_3gpuE9ELNS1_3repE0EEENS1_30default_config_static_selectorELNS0_4arch9wavefront6targetE1EEEvT1_.kd
    .uniform_work_group_size: 1
    .uses_dynamic_stack: false
    .vgpr_count:     0
    .vgpr_spill_count: 0
    .wavefront_size: 64
  - .agpr_count:     0
    .args:
      - .offset:         0
        .size:           112
        .value_kind:     by_value
    .group_segment_fixed_size: 7168
    .kernarg_segment_align: 8
    .kernarg_segment_size: 112
    .language:       OpenCL C
    .language_version:
      - 2
      - 0
    .max_flat_workgroup_size: 128
    .name:           _ZN7rocprim17ROCPRIM_400000_NS6detail17trampoline_kernelINS0_14default_configENS1_20scan_config_selectorIxEEZZNS1_9scan_implILNS1_25lookback_scan_determinismE0ELb0ELb0ES3_N6thrust23THRUST_200600_302600_NS6detail15normal_iteratorINS9_10device_ptrIxEEEENS9_16discard_iteratorINS9_11use_defaultEEEx11max_functorIxExEEDaPvRmT3_T4_T5_mT6_P12ihipStream_tbENKUlT_T0_E_clISt17integral_constantIbLb0EESX_EEDaSS_ST_EUlSS_E_NS1_11comp_targetILNS1_3genE4ELNS1_11target_archE910ELNS1_3gpuE8ELNS1_3repE0EEENS1_30default_config_static_selectorELNS0_4arch9wavefront6targetE1EEEvT1_
    .private_segment_fixed_size: 0
    .sgpr_count:     28
    .sgpr_spill_count: 0
    .symbol:         _ZN7rocprim17ROCPRIM_400000_NS6detail17trampoline_kernelINS0_14default_configENS1_20scan_config_selectorIxEEZZNS1_9scan_implILNS1_25lookback_scan_determinismE0ELb0ELb0ES3_N6thrust23THRUST_200600_302600_NS6detail15normal_iteratorINS9_10device_ptrIxEEEENS9_16discard_iteratorINS9_11use_defaultEEEx11max_functorIxExEEDaPvRmT3_T4_T5_mT6_P12ihipStream_tbENKUlT_T0_E_clISt17integral_constantIbLb0EESX_EEDaSS_ST_EUlSS_E_NS1_11comp_targetILNS1_3genE4ELNS1_11target_archE910ELNS1_3gpuE8ELNS1_3repE0EEENS1_30default_config_static_selectorELNS0_4arch9wavefront6targetE1EEEvT1_.kd
    .uniform_work_group_size: 1
    .uses_dynamic_stack: false
    .vgpr_count:     57
    .vgpr_spill_count: 0
    .wavefront_size: 64
  - .agpr_count:     0
    .args:
      - .offset:         0
        .size:           112
        .value_kind:     by_value
    .group_segment_fixed_size: 0
    .kernarg_segment_align: 8
    .kernarg_segment_size: 112
    .language:       OpenCL C
    .language_version:
      - 2
      - 0
    .max_flat_workgroup_size: 256
    .name:           _ZN7rocprim17ROCPRIM_400000_NS6detail17trampoline_kernelINS0_14default_configENS1_20scan_config_selectorIxEEZZNS1_9scan_implILNS1_25lookback_scan_determinismE0ELb0ELb0ES3_N6thrust23THRUST_200600_302600_NS6detail15normal_iteratorINS9_10device_ptrIxEEEENS9_16discard_iteratorINS9_11use_defaultEEEx11max_functorIxExEEDaPvRmT3_T4_T5_mT6_P12ihipStream_tbENKUlT_T0_E_clISt17integral_constantIbLb0EESX_EEDaSS_ST_EUlSS_E_NS1_11comp_targetILNS1_3genE3ELNS1_11target_archE908ELNS1_3gpuE7ELNS1_3repE0EEENS1_30default_config_static_selectorELNS0_4arch9wavefront6targetE1EEEvT1_
    .private_segment_fixed_size: 0
    .sgpr_count:     4
    .sgpr_spill_count: 0
    .symbol:         _ZN7rocprim17ROCPRIM_400000_NS6detail17trampoline_kernelINS0_14default_configENS1_20scan_config_selectorIxEEZZNS1_9scan_implILNS1_25lookback_scan_determinismE0ELb0ELb0ES3_N6thrust23THRUST_200600_302600_NS6detail15normal_iteratorINS9_10device_ptrIxEEEENS9_16discard_iteratorINS9_11use_defaultEEEx11max_functorIxExEEDaPvRmT3_T4_T5_mT6_P12ihipStream_tbENKUlT_T0_E_clISt17integral_constantIbLb0EESX_EEDaSS_ST_EUlSS_E_NS1_11comp_targetILNS1_3genE3ELNS1_11target_archE908ELNS1_3gpuE7ELNS1_3repE0EEENS1_30default_config_static_selectorELNS0_4arch9wavefront6targetE1EEEvT1_.kd
    .uniform_work_group_size: 1
    .uses_dynamic_stack: false
    .vgpr_count:     0
    .vgpr_spill_count: 0
    .wavefront_size: 64
  - .agpr_count:     0
    .args:
      - .offset:         0
        .size:           112
        .value_kind:     by_value
    .group_segment_fixed_size: 0
    .kernarg_segment_align: 8
    .kernarg_segment_size: 112
    .language:       OpenCL C
    .language_version:
      - 2
      - 0
    .max_flat_workgroup_size: 64
    .name:           _ZN7rocprim17ROCPRIM_400000_NS6detail17trampoline_kernelINS0_14default_configENS1_20scan_config_selectorIxEEZZNS1_9scan_implILNS1_25lookback_scan_determinismE0ELb0ELb0ES3_N6thrust23THRUST_200600_302600_NS6detail15normal_iteratorINS9_10device_ptrIxEEEENS9_16discard_iteratorINS9_11use_defaultEEEx11max_functorIxExEEDaPvRmT3_T4_T5_mT6_P12ihipStream_tbENKUlT_T0_E_clISt17integral_constantIbLb0EESX_EEDaSS_ST_EUlSS_E_NS1_11comp_targetILNS1_3genE2ELNS1_11target_archE906ELNS1_3gpuE6ELNS1_3repE0EEENS1_30default_config_static_selectorELNS0_4arch9wavefront6targetE1EEEvT1_
    .private_segment_fixed_size: 0
    .sgpr_count:     4
    .sgpr_spill_count: 0
    .symbol:         _ZN7rocprim17ROCPRIM_400000_NS6detail17trampoline_kernelINS0_14default_configENS1_20scan_config_selectorIxEEZZNS1_9scan_implILNS1_25lookback_scan_determinismE0ELb0ELb0ES3_N6thrust23THRUST_200600_302600_NS6detail15normal_iteratorINS9_10device_ptrIxEEEENS9_16discard_iteratorINS9_11use_defaultEEEx11max_functorIxExEEDaPvRmT3_T4_T5_mT6_P12ihipStream_tbENKUlT_T0_E_clISt17integral_constantIbLb0EESX_EEDaSS_ST_EUlSS_E_NS1_11comp_targetILNS1_3genE2ELNS1_11target_archE906ELNS1_3gpuE6ELNS1_3repE0EEENS1_30default_config_static_selectorELNS0_4arch9wavefront6targetE1EEEvT1_.kd
    .uniform_work_group_size: 1
    .uses_dynamic_stack: false
    .vgpr_count:     0
    .vgpr_spill_count: 0
    .wavefront_size: 64
  - .agpr_count:     0
    .args:
      - .offset:         0
        .size:           112
        .value_kind:     by_value
    .group_segment_fixed_size: 0
    .kernarg_segment_align: 8
    .kernarg_segment_size: 112
    .language:       OpenCL C
    .language_version:
      - 2
      - 0
    .max_flat_workgroup_size: 256
    .name:           _ZN7rocprim17ROCPRIM_400000_NS6detail17trampoline_kernelINS0_14default_configENS1_20scan_config_selectorIxEEZZNS1_9scan_implILNS1_25lookback_scan_determinismE0ELb0ELb0ES3_N6thrust23THRUST_200600_302600_NS6detail15normal_iteratorINS9_10device_ptrIxEEEENS9_16discard_iteratorINS9_11use_defaultEEEx11max_functorIxExEEDaPvRmT3_T4_T5_mT6_P12ihipStream_tbENKUlT_T0_E_clISt17integral_constantIbLb0EESX_EEDaSS_ST_EUlSS_E_NS1_11comp_targetILNS1_3genE10ELNS1_11target_archE1201ELNS1_3gpuE5ELNS1_3repE0EEENS1_30default_config_static_selectorELNS0_4arch9wavefront6targetE1EEEvT1_
    .private_segment_fixed_size: 0
    .sgpr_count:     4
    .sgpr_spill_count: 0
    .symbol:         _ZN7rocprim17ROCPRIM_400000_NS6detail17trampoline_kernelINS0_14default_configENS1_20scan_config_selectorIxEEZZNS1_9scan_implILNS1_25lookback_scan_determinismE0ELb0ELb0ES3_N6thrust23THRUST_200600_302600_NS6detail15normal_iteratorINS9_10device_ptrIxEEEENS9_16discard_iteratorINS9_11use_defaultEEEx11max_functorIxExEEDaPvRmT3_T4_T5_mT6_P12ihipStream_tbENKUlT_T0_E_clISt17integral_constantIbLb0EESX_EEDaSS_ST_EUlSS_E_NS1_11comp_targetILNS1_3genE10ELNS1_11target_archE1201ELNS1_3gpuE5ELNS1_3repE0EEENS1_30default_config_static_selectorELNS0_4arch9wavefront6targetE1EEEvT1_.kd
    .uniform_work_group_size: 1
    .uses_dynamic_stack: false
    .vgpr_count:     0
    .vgpr_spill_count: 0
    .wavefront_size: 64
  - .agpr_count:     0
    .args:
      - .offset:         0
        .size:           112
        .value_kind:     by_value
    .group_segment_fixed_size: 0
    .kernarg_segment_align: 8
    .kernarg_segment_size: 112
    .language:       OpenCL C
    .language_version:
      - 2
      - 0
    .max_flat_workgroup_size: 256
    .name:           _ZN7rocprim17ROCPRIM_400000_NS6detail17trampoline_kernelINS0_14default_configENS1_20scan_config_selectorIxEEZZNS1_9scan_implILNS1_25lookback_scan_determinismE0ELb0ELb0ES3_N6thrust23THRUST_200600_302600_NS6detail15normal_iteratorINS9_10device_ptrIxEEEENS9_16discard_iteratorINS9_11use_defaultEEEx11max_functorIxExEEDaPvRmT3_T4_T5_mT6_P12ihipStream_tbENKUlT_T0_E_clISt17integral_constantIbLb0EESX_EEDaSS_ST_EUlSS_E_NS1_11comp_targetILNS1_3genE10ELNS1_11target_archE1200ELNS1_3gpuE4ELNS1_3repE0EEENS1_30default_config_static_selectorELNS0_4arch9wavefront6targetE1EEEvT1_
    .private_segment_fixed_size: 0
    .sgpr_count:     4
    .sgpr_spill_count: 0
    .symbol:         _ZN7rocprim17ROCPRIM_400000_NS6detail17trampoline_kernelINS0_14default_configENS1_20scan_config_selectorIxEEZZNS1_9scan_implILNS1_25lookback_scan_determinismE0ELb0ELb0ES3_N6thrust23THRUST_200600_302600_NS6detail15normal_iteratorINS9_10device_ptrIxEEEENS9_16discard_iteratorINS9_11use_defaultEEEx11max_functorIxExEEDaPvRmT3_T4_T5_mT6_P12ihipStream_tbENKUlT_T0_E_clISt17integral_constantIbLb0EESX_EEDaSS_ST_EUlSS_E_NS1_11comp_targetILNS1_3genE10ELNS1_11target_archE1200ELNS1_3gpuE4ELNS1_3repE0EEENS1_30default_config_static_selectorELNS0_4arch9wavefront6targetE1EEEvT1_.kd
    .uniform_work_group_size: 1
    .uses_dynamic_stack: false
    .vgpr_count:     0
    .vgpr_spill_count: 0
    .wavefront_size: 64
  - .agpr_count:     0
    .args:
      - .offset:         0
        .size:           112
        .value_kind:     by_value
    .group_segment_fixed_size: 0
    .kernarg_segment_align: 8
    .kernarg_segment_size: 112
    .language:       OpenCL C
    .language_version:
      - 2
      - 0
    .max_flat_workgroup_size: 256
    .name:           _ZN7rocprim17ROCPRIM_400000_NS6detail17trampoline_kernelINS0_14default_configENS1_20scan_config_selectorIxEEZZNS1_9scan_implILNS1_25lookback_scan_determinismE0ELb0ELb0ES3_N6thrust23THRUST_200600_302600_NS6detail15normal_iteratorINS9_10device_ptrIxEEEENS9_16discard_iteratorINS9_11use_defaultEEEx11max_functorIxExEEDaPvRmT3_T4_T5_mT6_P12ihipStream_tbENKUlT_T0_E_clISt17integral_constantIbLb0EESX_EEDaSS_ST_EUlSS_E_NS1_11comp_targetILNS1_3genE9ELNS1_11target_archE1100ELNS1_3gpuE3ELNS1_3repE0EEENS1_30default_config_static_selectorELNS0_4arch9wavefront6targetE1EEEvT1_
    .private_segment_fixed_size: 0
    .sgpr_count:     4
    .sgpr_spill_count: 0
    .symbol:         _ZN7rocprim17ROCPRIM_400000_NS6detail17trampoline_kernelINS0_14default_configENS1_20scan_config_selectorIxEEZZNS1_9scan_implILNS1_25lookback_scan_determinismE0ELb0ELb0ES3_N6thrust23THRUST_200600_302600_NS6detail15normal_iteratorINS9_10device_ptrIxEEEENS9_16discard_iteratorINS9_11use_defaultEEEx11max_functorIxExEEDaPvRmT3_T4_T5_mT6_P12ihipStream_tbENKUlT_T0_E_clISt17integral_constantIbLb0EESX_EEDaSS_ST_EUlSS_E_NS1_11comp_targetILNS1_3genE9ELNS1_11target_archE1100ELNS1_3gpuE3ELNS1_3repE0EEENS1_30default_config_static_selectorELNS0_4arch9wavefront6targetE1EEEvT1_.kd
    .uniform_work_group_size: 1
    .uses_dynamic_stack: false
    .vgpr_count:     0
    .vgpr_spill_count: 0
    .wavefront_size: 64
  - .agpr_count:     0
    .args:
      - .offset:         0
        .size:           112
        .value_kind:     by_value
    .group_segment_fixed_size: 0
    .kernarg_segment_align: 8
    .kernarg_segment_size: 112
    .language:       OpenCL C
    .language_version:
      - 2
      - 0
    .max_flat_workgroup_size: 256
    .name:           _ZN7rocprim17ROCPRIM_400000_NS6detail17trampoline_kernelINS0_14default_configENS1_20scan_config_selectorIxEEZZNS1_9scan_implILNS1_25lookback_scan_determinismE0ELb0ELb0ES3_N6thrust23THRUST_200600_302600_NS6detail15normal_iteratorINS9_10device_ptrIxEEEENS9_16discard_iteratorINS9_11use_defaultEEEx11max_functorIxExEEDaPvRmT3_T4_T5_mT6_P12ihipStream_tbENKUlT_T0_E_clISt17integral_constantIbLb0EESX_EEDaSS_ST_EUlSS_E_NS1_11comp_targetILNS1_3genE8ELNS1_11target_archE1030ELNS1_3gpuE2ELNS1_3repE0EEENS1_30default_config_static_selectorELNS0_4arch9wavefront6targetE1EEEvT1_
    .private_segment_fixed_size: 0
    .sgpr_count:     4
    .sgpr_spill_count: 0
    .symbol:         _ZN7rocprim17ROCPRIM_400000_NS6detail17trampoline_kernelINS0_14default_configENS1_20scan_config_selectorIxEEZZNS1_9scan_implILNS1_25lookback_scan_determinismE0ELb0ELb0ES3_N6thrust23THRUST_200600_302600_NS6detail15normal_iteratorINS9_10device_ptrIxEEEENS9_16discard_iteratorINS9_11use_defaultEEEx11max_functorIxExEEDaPvRmT3_T4_T5_mT6_P12ihipStream_tbENKUlT_T0_E_clISt17integral_constantIbLb0EESX_EEDaSS_ST_EUlSS_E_NS1_11comp_targetILNS1_3genE8ELNS1_11target_archE1030ELNS1_3gpuE2ELNS1_3repE0EEENS1_30default_config_static_selectorELNS0_4arch9wavefront6targetE1EEEvT1_.kd
    .uniform_work_group_size: 1
    .uses_dynamic_stack: false
    .vgpr_count:     0
    .vgpr_spill_count: 0
    .wavefront_size: 64
  - .agpr_count:     0
    .args:
      - .offset:         0
        .size:           48
        .value_kind:     by_value
    .group_segment_fixed_size: 0
    .kernarg_segment_align: 8
    .kernarg_segment_size: 48
    .language:       OpenCL C
    .language_version:
      - 2
      - 0
    .max_flat_workgroup_size: 256
    .name:           _ZN7rocprim17ROCPRIM_400000_NS6detail17trampoline_kernelINS0_14default_configENS1_20scan_config_selectorIxEEZZNS1_9scan_implILNS1_25lookback_scan_determinismE0ELb0ELb0ES3_N6thrust23THRUST_200600_302600_NS6detail15normal_iteratorINS9_10device_ptrIxEEEENS9_16discard_iteratorINS9_11use_defaultEEEx11max_functorIxExEEDaPvRmT3_T4_T5_mT6_P12ihipStream_tbENKUlT_T0_E_clISt17integral_constantIbLb0EESX_EEDaSS_ST_EUlSS_E0_NS1_11comp_targetILNS1_3genE0ELNS1_11target_archE4294967295ELNS1_3gpuE0ELNS1_3repE0EEENS1_30default_config_static_selectorELNS0_4arch9wavefront6targetE1EEEvT1_
    .private_segment_fixed_size: 0
    .sgpr_count:     4
    .sgpr_spill_count: 0
    .symbol:         _ZN7rocprim17ROCPRIM_400000_NS6detail17trampoline_kernelINS0_14default_configENS1_20scan_config_selectorIxEEZZNS1_9scan_implILNS1_25lookback_scan_determinismE0ELb0ELb0ES3_N6thrust23THRUST_200600_302600_NS6detail15normal_iteratorINS9_10device_ptrIxEEEENS9_16discard_iteratorINS9_11use_defaultEEEx11max_functorIxExEEDaPvRmT3_T4_T5_mT6_P12ihipStream_tbENKUlT_T0_E_clISt17integral_constantIbLb0EESX_EEDaSS_ST_EUlSS_E0_NS1_11comp_targetILNS1_3genE0ELNS1_11target_archE4294967295ELNS1_3gpuE0ELNS1_3repE0EEENS1_30default_config_static_selectorELNS0_4arch9wavefront6targetE1EEEvT1_.kd
    .uniform_work_group_size: 1
    .uses_dynamic_stack: false
    .vgpr_count:     0
    .vgpr_spill_count: 0
    .wavefront_size: 64
  - .agpr_count:     0
    .args:
      - .offset:         0
        .size:           48
        .value_kind:     by_value
    .group_segment_fixed_size: 0
    .kernarg_segment_align: 8
    .kernarg_segment_size: 48
    .language:       OpenCL C
    .language_version:
      - 2
      - 0
    .max_flat_workgroup_size: 256
    .name:           _ZN7rocprim17ROCPRIM_400000_NS6detail17trampoline_kernelINS0_14default_configENS1_20scan_config_selectorIxEEZZNS1_9scan_implILNS1_25lookback_scan_determinismE0ELb0ELb0ES3_N6thrust23THRUST_200600_302600_NS6detail15normal_iteratorINS9_10device_ptrIxEEEENS9_16discard_iteratorINS9_11use_defaultEEEx11max_functorIxExEEDaPvRmT3_T4_T5_mT6_P12ihipStream_tbENKUlT_T0_E_clISt17integral_constantIbLb0EESX_EEDaSS_ST_EUlSS_E0_NS1_11comp_targetILNS1_3genE5ELNS1_11target_archE942ELNS1_3gpuE9ELNS1_3repE0EEENS1_30default_config_static_selectorELNS0_4arch9wavefront6targetE1EEEvT1_
    .private_segment_fixed_size: 0
    .sgpr_count:     4
    .sgpr_spill_count: 0
    .symbol:         _ZN7rocprim17ROCPRIM_400000_NS6detail17trampoline_kernelINS0_14default_configENS1_20scan_config_selectorIxEEZZNS1_9scan_implILNS1_25lookback_scan_determinismE0ELb0ELb0ES3_N6thrust23THRUST_200600_302600_NS6detail15normal_iteratorINS9_10device_ptrIxEEEENS9_16discard_iteratorINS9_11use_defaultEEEx11max_functorIxExEEDaPvRmT3_T4_T5_mT6_P12ihipStream_tbENKUlT_T0_E_clISt17integral_constantIbLb0EESX_EEDaSS_ST_EUlSS_E0_NS1_11comp_targetILNS1_3genE5ELNS1_11target_archE942ELNS1_3gpuE9ELNS1_3repE0EEENS1_30default_config_static_selectorELNS0_4arch9wavefront6targetE1EEEvT1_.kd
    .uniform_work_group_size: 1
    .uses_dynamic_stack: false
    .vgpr_count:     0
    .vgpr_spill_count: 0
    .wavefront_size: 64
  - .agpr_count:     0
    .args:
      - .offset:         0
        .size:           48
        .value_kind:     by_value
    .group_segment_fixed_size: 7168
    .kernarg_segment_align: 8
    .kernarg_segment_size: 48
    .language:       OpenCL C
    .language_version:
      - 2
      - 0
    .max_flat_workgroup_size: 128
    .name:           _ZN7rocprim17ROCPRIM_400000_NS6detail17trampoline_kernelINS0_14default_configENS1_20scan_config_selectorIxEEZZNS1_9scan_implILNS1_25lookback_scan_determinismE0ELb0ELb0ES3_N6thrust23THRUST_200600_302600_NS6detail15normal_iteratorINS9_10device_ptrIxEEEENS9_16discard_iteratorINS9_11use_defaultEEEx11max_functorIxExEEDaPvRmT3_T4_T5_mT6_P12ihipStream_tbENKUlT_T0_E_clISt17integral_constantIbLb0EESX_EEDaSS_ST_EUlSS_E0_NS1_11comp_targetILNS1_3genE4ELNS1_11target_archE910ELNS1_3gpuE8ELNS1_3repE0EEENS1_30default_config_static_selectorELNS0_4arch9wavefront6targetE1EEEvT1_
    .private_segment_fixed_size: 0
    .sgpr_count:     12
    .sgpr_spill_count: 0
    .symbol:         _ZN7rocprim17ROCPRIM_400000_NS6detail17trampoline_kernelINS0_14default_configENS1_20scan_config_selectorIxEEZZNS1_9scan_implILNS1_25lookback_scan_determinismE0ELb0ELb0ES3_N6thrust23THRUST_200600_302600_NS6detail15normal_iteratorINS9_10device_ptrIxEEEENS9_16discard_iteratorINS9_11use_defaultEEEx11max_functorIxExEEDaPvRmT3_T4_T5_mT6_P12ihipStream_tbENKUlT_T0_E_clISt17integral_constantIbLb0EESX_EEDaSS_ST_EUlSS_E0_NS1_11comp_targetILNS1_3genE4ELNS1_11target_archE910ELNS1_3gpuE8ELNS1_3repE0EEENS1_30default_config_static_selectorELNS0_4arch9wavefront6targetE1EEEvT1_.kd
    .uniform_work_group_size: 1
    .uses_dynamic_stack: false
    .vgpr_count:     41
    .vgpr_spill_count: 0
    .wavefront_size: 64
  - .agpr_count:     0
    .args:
      - .offset:         0
        .size:           48
        .value_kind:     by_value
    .group_segment_fixed_size: 0
    .kernarg_segment_align: 8
    .kernarg_segment_size: 48
    .language:       OpenCL C
    .language_version:
      - 2
      - 0
    .max_flat_workgroup_size: 256
    .name:           _ZN7rocprim17ROCPRIM_400000_NS6detail17trampoline_kernelINS0_14default_configENS1_20scan_config_selectorIxEEZZNS1_9scan_implILNS1_25lookback_scan_determinismE0ELb0ELb0ES3_N6thrust23THRUST_200600_302600_NS6detail15normal_iteratorINS9_10device_ptrIxEEEENS9_16discard_iteratorINS9_11use_defaultEEEx11max_functorIxExEEDaPvRmT3_T4_T5_mT6_P12ihipStream_tbENKUlT_T0_E_clISt17integral_constantIbLb0EESX_EEDaSS_ST_EUlSS_E0_NS1_11comp_targetILNS1_3genE3ELNS1_11target_archE908ELNS1_3gpuE7ELNS1_3repE0EEENS1_30default_config_static_selectorELNS0_4arch9wavefront6targetE1EEEvT1_
    .private_segment_fixed_size: 0
    .sgpr_count:     4
    .sgpr_spill_count: 0
    .symbol:         _ZN7rocprim17ROCPRIM_400000_NS6detail17trampoline_kernelINS0_14default_configENS1_20scan_config_selectorIxEEZZNS1_9scan_implILNS1_25lookback_scan_determinismE0ELb0ELb0ES3_N6thrust23THRUST_200600_302600_NS6detail15normal_iteratorINS9_10device_ptrIxEEEENS9_16discard_iteratorINS9_11use_defaultEEEx11max_functorIxExEEDaPvRmT3_T4_T5_mT6_P12ihipStream_tbENKUlT_T0_E_clISt17integral_constantIbLb0EESX_EEDaSS_ST_EUlSS_E0_NS1_11comp_targetILNS1_3genE3ELNS1_11target_archE908ELNS1_3gpuE7ELNS1_3repE0EEENS1_30default_config_static_selectorELNS0_4arch9wavefront6targetE1EEEvT1_.kd
    .uniform_work_group_size: 1
    .uses_dynamic_stack: false
    .vgpr_count:     0
    .vgpr_spill_count: 0
    .wavefront_size: 64
  - .agpr_count:     0
    .args:
      - .offset:         0
        .size:           48
        .value_kind:     by_value
    .group_segment_fixed_size: 0
    .kernarg_segment_align: 8
    .kernarg_segment_size: 48
    .language:       OpenCL C
    .language_version:
      - 2
      - 0
    .max_flat_workgroup_size: 64
    .name:           _ZN7rocprim17ROCPRIM_400000_NS6detail17trampoline_kernelINS0_14default_configENS1_20scan_config_selectorIxEEZZNS1_9scan_implILNS1_25lookback_scan_determinismE0ELb0ELb0ES3_N6thrust23THRUST_200600_302600_NS6detail15normal_iteratorINS9_10device_ptrIxEEEENS9_16discard_iteratorINS9_11use_defaultEEEx11max_functorIxExEEDaPvRmT3_T4_T5_mT6_P12ihipStream_tbENKUlT_T0_E_clISt17integral_constantIbLb0EESX_EEDaSS_ST_EUlSS_E0_NS1_11comp_targetILNS1_3genE2ELNS1_11target_archE906ELNS1_3gpuE6ELNS1_3repE0EEENS1_30default_config_static_selectorELNS0_4arch9wavefront6targetE1EEEvT1_
    .private_segment_fixed_size: 0
    .sgpr_count:     4
    .sgpr_spill_count: 0
    .symbol:         _ZN7rocprim17ROCPRIM_400000_NS6detail17trampoline_kernelINS0_14default_configENS1_20scan_config_selectorIxEEZZNS1_9scan_implILNS1_25lookback_scan_determinismE0ELb0ELb0ES3_N6thrust23THRUST_200600_302600_NS6detail15normal_iteratorINS9_10device_ptrIxEEEENS9_16discard_iteratorINS9_11use_defaultEEEx11max_functorIxExEEDaPvRmT3_T4_T5_mT6_P12ihipStream_tbENKUlT_T0_E_clISt17integral_constantIbLb0EESX_EEDaSS_ST_EUlSS_E0_NS1_11comp_targetILNS1_3genE2ELNS1_11target_archE906ELNS1_3gpuE6ELNS1_3repE0EEENS1_30default_config_static_selectorELNS0_4arch9wavefront6targetE1EEEvT1_.kd
    .uniform_work_group_size: 1
    .uses_dynamic_stack: false
    .vgpr_count:     0
    .vgpr_spill_count: 0
    .wavefront_size: 64
  - .agpr_count:     0
    .args:
      - .offset:         0
        .size:           48
        .value_kind:     by_value
    .group_segment_fixed_size: 0
    .kernarg_segment_align: 8
    .kernarg_segment_size: 48
    .language:       OpenCL C
    .language_version:
      - 2
      - 0
    .max_flat_workgroup_size: 256
    .name:           _ZN7rocprim17ROCPRIM_400000_NS6detail17trampoline_kernelINS0_14default_configENS1_20scan_config_selectorIxEEZZNS1_9scan_implILNS1_25lookback_scan_determinismE0ELb0ELb0ES3_N6thrust23THRUST_200600_302600_NS6detail15normal_iteratorINS9_10device_ptrIxEEEENS9_16discard_iteratorINS9_11use_defaultEEEx11max_functorIxExEEDaPvRmT3_T4_T5_mT6_P12ihipStream_tbENKUlT_T0_E_clISt17integral_constantIbLb0EESX_EEDaSS_ST_EUlSS_E0_NS1_11comp_targetILNS1_3genE10ELNS1_11target_archE1201ELNS1_3gpuE5ELNS1_3repE0EEENS1_30default_config_static_selectorELNS0_4arch9wavefront6targetE1EEEvT1_
    .private_segment_fixed_size: 0
    .sgpr_count:     4
    .sgpr_spill_count: 0
    .symbol:         _ZN7rocprim17ROCPRIM_400000_NS6detail17trampoline_kernelINS0_14default_configENS1_20scan_config_selectorIxEEZZNS1_9scan_implILNS1_25lookback_scan_determinismE0ELb0ELb0ES3_N6thrust23THRUST_200600_302600_NS6detail15normal_iteratorINS9_10device_ptrIxEEEENS9_16discard_iteratorINS9_11use_defaultEEEx11max_functorIxExEEDaPvRmT3_T4_T5_mT6_P12ihipStream_tbENKUlT_T0_E_clISt17integral_constantIbLb0EESX_EEDaSS_ST_EUlSS_E0_NS1_11comp_targetILNS1_3genE10ELNS1_11target_archE1201ELNS1_3gpuE5ELNS1_3repE0EEENS1_30default_config_static_selectorELNS0_4arch9wavefront6targetE1EEEvT1_.kd
    .uniform_work_group_size: 1
    .uses_dynamic_stack: false
    .vgpr_count:     0
    .vgpr_spill_count: 0
    .wavefront_size: 64
  - .agpr_count:     0
    .args:
      - .offset:         0
        .size:           48
        .value_kind:     by_value
    .group_segment_fixed_size: 0
    .kernarg_segment_align: 8
    .kernarg_segment_size: 48
    .language:       OpenCL C
    .language_version:
      - 2
      - 0
    .max_flat_workgroup_size: 256
    .name:           _ZN7rocprim17ROCPRIM_400000_NS6detail17trampoline_kernelINS0_14default_configENS1_20scan_config_selectorIxEEZZNS1_9scan_implILNS1_25lookback_scan_determinismE0ELb0ELb0ES3_N6thrust23THRUST_200600_302600_NS6detail15normal_iteratorINS9_10device_ptrIxEEEENS9_16discard_iteratorINS9_11use_defaultEEEx11max_functorIxExEEDaPvRmT3_T4_T5_mT6_P12ihipStream_tbENKUlT_T0_E_clISt17integral_constantIbLb0EESX_EEDaSS_ST_EUlSS_E0_NS1_11comp_targetILNS1_3genE10ELNS1_11target_archE1200ELNS1_3gpuE4ELNS1_3repE0EEENS1_30default_config_static_selectorELNS0_4arch9wavefront6targetE1EEEvT1_
    .private_segment_fixed_size: 0
    .sgpr_count:     4
    .sgpr_spill_count: 0
    .symbol:         _ZN7rocprim17ROCPRIM_400000_NS6detail17trampoline_kernelINS0_14default_configENS1_20scan_config_selectorIxEEZZNS1_9scan_implILNS1_25lookback_scan_determinismE0ELb0ELb0ES3_N6thrust23THRUST_200600_302600_NS6detail15normal_iteratorINS9_10device_ptrIxEEEENS9_16discard_iteratorINS9_11use_defaultEEEx11max_functorIxExEEDaPvRmT3_T4_T5_mT6_P12ihipStream_tbENKUlT_T0_E_clISt17integral_constantIbLb0EESX_EEDaSS_ST_EUlSS_E0_NS1_11comp_targetILNS1_3genE10ELNS1_11target_archE1200ELNS1_3gpuE4ELNS1_3repE0EEENS1_30default_config_static_selectorELNS0_4arch9wavefront6targetE1EEEvT1_.kd
    .uniform_work_group_size: 1
    .uses_dynamic_stack: false
    .vgpr_count:     0
    .vgpr_spill_count: 0
    .wavefront_size: 64
  - .agpr_count:     0
    .args:
      - .offset:         0
        .size:           48
        .value_kind:     by_value
    .group_segment_fixed_size: 0
    .kernarg_segment_align: 8
    .kernarg_segment_size: 48
    .language:       OpenCL C
    .language_version:
      - 2
      - 0
    .max_flat_workgroup_size: 256
    .name:           _ZN7rocprim17ROCPRIM_400000_NS6detail17trampoline_kernelINS0_14default_configENS1_20scan_config_selectorIxEEZZNS1_9scan_implILNS1_25lookback_scan_determinismE0ELb0ELb0ES3_N6thrust23THRUST_200600_302600_NS6detail15normal_iteratorINS9_10device_ptrIxEEEENS9_16discard_iteratorINS9_11use_defaultEEEx11max_functorIxExEEDaPvRmT3_T4_T5_mT6_P12ihipStream_tbENKUlT_T0_E_clISt17integral_constantIbLb0EESX_EEDaSS_ST_EUlSS_E0_NS1_11comp_targetILNS1_3genE9ELNS1_11target_archE1100ELNS1_3gpuE3ELNS1_3repE0EEENS1_30default_config_static_selectorELNS0_4arch9wavefront6targetE1EEEvT1_
    .private_segment_fixed_size: 0
    .sgpr_count:     4
    .sgpr_spill_count: 0
    .symbol:         _ZN7rocprim17ROCPRIM_400000_NS6detail17trampoline_kernelINS0_14default_configENS1_20scan_config_selectorIxEEZZNS1_9scan_implILNS1_25lookback_scan_determinismE0ELb0ELb0ES3_N6thrust23THRUST_200600_302600_NS6detail15normal_iteratorINS9_10device_ptrIxEEEENS9_16discard_iteratorINS9_11use_defaultEEEx11max_functorIxExEEDaPvRmT3_T4_T5_mT6_P12ihipStream_tbENKUlT_T0_E_clISt17integral_constantIbLb0EESX_EEDaSS_ST_EUlSS_E0_NS1_11comp_targetILNS1_3genE9ELNS1_11target_archE1100ELNS1_3gpuE3ELNS1_3repE0EEENS1_30default_config_static_selectorELNS0_4arch9wavefront6targetE1EEEvT1_.kd
    .uniform_work_group_size: 1
    .uses_dynamic_stack: false
    .vgpr_count:     0
    .vgpr_spill_count: 0
    .wavefront_size: 64
  - .agpr_count:     0
    .args:
      - .offset:         0
        .size:           48
        .value_kind:     by_value
    .group_segment_fixed_size: 0
    .kernarg_segment_align: 8
    .kernarg_segment_size: 48
    .language:       OpenCL C
    .language_version:
      - 2
      - 0
    .max_flat_workgroup_size: 256
    .name:           _ZN7rocprim17ROCPRIM_400000_NS6detail17trampoline_kernelINS0_14default_configENS1_20scan_config_selectorIxEEZZNS1_9scan_implILNS1_25lookback_scan_determinismE0ELb0ELb0ES3_N6thrust23THRUST_200600_302600_NS6detail15normal_iteratorINS9_10device_ptrIxEEEENS9_16discard_iteratorINS9_11use_defaultEEEx11max_functorIxExEEDaPvRmT3_T4_T5_mT6_P12ihipStream_tbENKUlT_T0_E_clISt17integral_constantIbLb0EESX_EEDaSS_ST_EUlSS_E0_NS1_11comp_targetILNS1_3genE8ELNS1_11target_archE1030ELNS1_3gpuE2ELNS1_3repE0EEENS1_30default_config_static_selectorELNS0_4arch9wavefront6targetE1EEEvT1_
    .private_segment_fixed_size: 0
    .sgpr_count:     4
    .sgpr_spill_count: 0
    .symbol:         _ZN7rocprim17ROCPRIM_400000_NS6detail17trampoline_kernelINS0_14default_configENS1_20scan_config_selectorIxEEZZNS1_9scan_implILNS1_25lookback_scan_determinismE0ELb0ELb0ES3_N6thrust23THRUST_200600_302600_NS6detail15normal_iteratorINS9_10device_ptrIxEEEENS9_16discard_iteratorINS9_11use_defaultEEEx11max_functorIxExEEDaPvRmT3_T4_T5_mT6_P12ihipStream_tbENKUlT_T0_E_clISt17integral_constantIbLb0EESX_EEDaSS_ST_EUlSS_E0_NS1_11comp_targetILNS1_3genE8ELNS1_11target_archE1030ELNS1_3gpuE2ELNS1_3repE0EEENS1_30default_config_static_selectorELNS0_4arch9wavefront6targetE1EEEvT1_.kd
    .uniform_work_group_size: 1
    .uses_dynamic_stack: false
    .vgpr_count:     0
    .vgpr_spill_count: 0
    .wavefront_size: 64
  - .agpr_count:     0
    .args:
      - .offset:         0
        .size:           112
        .value_kind:     by_value
    .group_segment_fixed_size: 0
    .kernarg_segment_align: 8
    .kernarg_segment_size: 112
    .language:       OpenCL C
    .language_version:
      - 2
      - 0
    .max_flat_workgroup_size: 256
    .name:           _ZN7rocprim17ROCPRIM_400000_NS6detail17trampoline_kernelINS0_14default_configENS1_20scan_config_selectorIxEEZZNS1_9scan_implILNS1_25lookback_scan_determinismE0ELb0ELb0ES3_N6thrust23THRUST_200600_302600_NS6detail15normal_iteratorINS9_10device_ptrIxEEEENS9_16discard_iteratorINS9_11use_defaultEEEx11max_functorIxExEEDaPvRmT3_T4_T5_mT6_P12ihipStream_tbENKUlT_T0_E_clISt17integral_constantIbLb1EESX_EEDaSS_ST_EUlSS_E_NS1_11comp_targetILNS1_3genE0ELNS1_11target_archE4294967295ELNS1_3gpuE0ELNS1_3repE0EEENS1_30default_config_static_selectorELNS0_4arch9wavefront6targetE1EEEvT1_
    .private_segment_fixed_size: 0
    .sgpr_count:     4
    .sgpr_spill_count: 0
    .symbol:         _ZN7rocprim17ROCPRIM_400000_NS6detail17trampoline_kernelINS0_14default_configENS1_20scan_config_selectorIxEEZZNS1_9scan_implILNS1_25lookback_scan_determinismE0ELb0ELb0ES3_N6thrust23THRUST_200600_302600_NS6detail15normal_iteratorINS9_10device_ptrIxEEEENS9_16discard_iteratorINS9_11use_defaultEEEx11max_functorIxExEEDaPvRmT3_T4_T5_mT6_P12ihipStream_tbENKUlT_T0_E_clISt17integral_constantIbLb1EESX_EEDaSS_ST_EUlSS_E_NS1_11comp_targetILNS1_3genE0ELNS1_11target_archE4294967295ELNS1_3gpuE0ELNS1_3repE0EEENS1_30default_config_static_selectorELNS0_4arch9wavefront6targetE1EEEvT1_.kd
    .uniform_work_group_size: 1
    .uses_dynamic_stack: false
    .vgpr_count:     0
    .vgpr_spill_count: 0
    .wavefront_size: 64
  - .agpr_count:     0
    .args:
      - .offset:         0
        .size:           112
        .value_kind:     by_value
    .group_segment_fixed_size: 0
    .kernarg_segment_align: 8
    .kernarg_segment_size: 112
    .language:       OpenCL C
    .language_version:
      - 2
      - 0
    .max_flat_workgroup_size: 256
    .name:           _ZN7rocprim17ROCPRIM_400000_NS6detail17trampoline_kernelINS0_14default_configENS1_20scan_config_selectorIxEEZZNS1_9scan_implILNS1_25lookback_scan_determinismE0ELb0ELb0ES3_N6thrust23THRUST_200600_302600_NS6detail15normal_iteratorINS9_10device_ptrIxEEEENS9_16discard_iteratorINS9_11use_defaultEEEx11max_functorIxExEEDaPvRmT3_T4_T5_mT6_P12ihipStream_tbENKUlT_T0_E_clISt17integral_constantIbLb1EESX_EEDaSS_ST_EUlSS_E_NS1_11comp_targetILNS1_3genE5ELNS1_11target_archE942ELNS1_3gpuE9ELNS1_3repE0EEENS1_30default_config_static_selectorELNS0_4arch9wavefront6targetE1EEEvT1_
    .private_segment_fixed_size: 0
    .sgpr_count:     4
    .sgpr_spill_count: 0
    .symbol:         _ZN7rocprim17ROCPRIM_400000_NS6detail17trampoline_kernelINS0_14default_configENS1_20scan_config_selectorIxEEZZNS1_9scan_implILNS1_25lookback_scan_determinismE0ELb0ELb0ES3_N6thrust23THRUST_200600_302600_NS6detail15normal_iteratorINS9_10device_ptrIxEEEENS9_16discard_iteratorINS9_11use_defaultEEEx11max_functorIxExEEDaPvRmT3_T4_T5_mT6_P12ihipStream_tbENKUlT_T0_E_clISt17integral_constantIbLb1EESX_EEDaSS_ST_EUlSS_E_NS1_11comp_targetILNS1_3genE5ELNS1_11target_archE942ELNS1_3gpuE9ELNS1_3repE0EEENS1_30default_config_static_selectorELNS0_4arch9wavefront6targetE1EEEvT1_.kd
    .uniform_work_group_size: 1
    .uses_dynamic_stack: false
    .vgpr_count:     0
    .vgpr_spill_count: 0
    .wavefront_size: 64
  - .agpr_count:     0
    .args:
      - .offset:         0
        .size:           112
        .value_kind:     by_value
    .group_segment_fixed_size: 7168
    .kernarg_segment_align: 8
    .kernarg_segment_size: 112
    .language:       OpenCL C
    .language_version:
      - 2
      - 0
    .max_flat_workgroup_size: 128
    .name:           _ZN7rocprim17ROCPRIM_400000_NS6detail17trampoline_kernelINS0_14default_configENS1_20scan_config_selectorIxEEZZNS1_9scan_implILNS1_25lookback_scan_determinismE0ELb0ELb0ES3_N6thrust23THRUST_200600_302600_NS6detail15normal_iteratorINS9_10device_ptrIxEEEENS9_16discard_iteratorINS9_11use_defaultEEEx11max_functorIxExEEDaPvRmT3_T4_T5_mT6_P12ihipStream_tbENKUlT_T0_E_clISt17integral_constantIbLb1EESX_EEDaSS_ST_EUlSS_E_NS1_11comp_targetILNS1_3genE4ELNS1_11target_archE910ELNS1_3gpuE8ELNS1_3repE0EEENS1_30default_config_static_selectorELNS0_4arch9wavefront6targetE1EEEvT1_
    .private_segment_fixed_size: 0
    .sgpr_count:     35
    .sgpr_spill_count: 0
    .symbol:         _ZN7rocprim17ROCPRIM_400000_NS6detail17trampoline_kernelINS0_14default_configENS1_20scan_config_selectorIxEEZZNS1_9scan_implILNS1_25lookback_scan_determinismE0ELb0ELb0ES3_N6thrust23THRUST_200600_302600_NS6detail15normal_iteratorINS9_10device_ptrIxEEEENS9_16discard_iteratorINS9_11use_defaultEEEx11max_functorIxExEEDaPvRmT3_T4_T5_mT6_P12ihipStream_tbENKUlT_T0_E_clISt17integral_constantIbLb1EESX_EEDaSS_ST_EUlSS_E_NS1_11comp_targetILNS1_3genE4ELNS1_11target_archE910ELNS1_3gpuE8ELNS1_3repE0EEENS1_30default_config_static_selectorELNS0_4arch9wavefront6targetE1EEEvT1_.kd
    .uniform_work_group_size: 1
    .uses_dynamic_stack: false
    .vgpr_count:     57
    .vgpr_spill_count: 0
    .wavefront_size: 64
  - .agpr_count:     0
    .args:
      - .offset:         0
        .size:           112
        .value_kind:     by_value
    .group_segment_fixed_size: 0
    .kernarg_segment_align: 8
    .kernarg_segment_size: 112
    .language:       OpenCL C
    .language_version:
      - 2
      - 0
    .max_flat_workgroup_size: 256
    .name:           _ZN7rocprim17ROCPRIM_400000_NS6detail17trampoline_kernelINS0_14default_configENS1_20scan_config_selectorIxEEZZNS1_9scan_implILNS1_25lookback_scan_determinismE0ELb0ELb0ES3_N6thrust23THRUST_200600_302600_NS6detail15normal_iteratorINS9_10device_ptrIxEEEENS9_16discard_iteratorINS9_11use_defaultEEEx11max_functorIxExEEDaPvRmT3_T4_T5_mT6_P12ihipStream_tbENKUlT_T0_E_clISt17integral_constantIbLb1EESX_EEDaSS_ST_EUlSS_E_NS1_11comp_targetILNS1_3genE3ELNS1_11target_archE908ELNS1_3gpuE7ELNS1_3repE0EEENS1_30default_config_static_selectorELNS0_4arch9wavefront6targetE1EEEvT1_
    .private_segment_fixed_size: 0
    .sgpr_count:     4
    .sgpr_spill_count: 0
    .symbol:         _ZN7rocprim17ROCPRIM_400000_NS6detail17trampoline_kernelINS0_14default_configENS1_20scan_config_selectorIxEEZZNS1_9scan_implILNS1_25lookback_scan_determinismE0ELb0ELb0ES3_N6thrust23THRUST_200600_302600_NS6detail15normal_iteratorINS9_10device_ptrIxEEEENS9_16discard_iteratorINS9_11use_defaultEEEx11max_functorIxExEEDaPvRmT3_T4_T5_mT6_P12ihipStream_tbENKUlT_T0_E_clISt17integral_constantIbLb1EESX_EEDaSS_ST_EUlSS_E_NS1_11comp_targetILNS1_3genE3ELNS1_11target_archE908ELNS1_3gpuE7ELNS1_3repE0EEENS1_30default_config_static_selectorELNS0_4arch9wavefront6targetE1EEEvT1_.kd
    .uniform_work_group_size: 1
    .uses_dynamic_stack: false
    .vgpr_count:     0
    .vgpr_spill_count: 0
    .wavefront_size: 64
  - .agpr_count:     0
    .args:
      - .offset:         0
        .size:           112
        .value_kind:     by_value
    .group_segment_fixed_size: 0
    .kernarg_segment_align: 8
    .kernarg_segment_size: 112
    .language:       OpenCL C
    .language_version:
      - 2
      - 0
    .max_flat_workgroup_size: 64
    .name:           _ZN7rocprim17ROCPRIM_400000_NS6detail17trampoline_kernelINS0_14default_configENS1_20scan_config_selectorIxEEZZNS1_9scan_implILNS1_25lookback_scan_determinismE0ELb0ELb0ES3_N6thrust23THRUST_200600_302600_NS6detail15normal_iteratorINS9_10device_ptrIxEEEENS9_16discard_iteratorINS9_11use_defaultEEEx11max_functorIxExEEDaPvRmT3_T4_T5_mT6_P12ihipStream_tbENKUlT_T0_E_clISt17integral_constantIbLb1EESX_EEDaSS_ST_EUlSS_E_NS1_11comp_targetILNS1_3genE2ELNS1_11target_archE906ELNS1_3gpuE6ELNS1_3repE0EEENS1_30default_config_static_selectorELNS0_4arch9wavefront6targetE1EEEvT1_
    .private_segment_fixed_size: 0
    .sgpr_count:     4
    .sgpr_spill_count: 0
    .symbol:         _ZN7rocprim17ROCPRIM_400000_NS6detail17trampoline_kernelINS0_14default_configENS1_20scan_config_selectorIxEEZZNS1_9scan_implILNS1_25lookback_scan_determinismE0ELb0ELb0ES3_N6thrust23THRUST_200600_302600_NS6detail15normal_iteratorINS9_10device_ptrIxEEEENS9_16discard_iteratorINS9_11use_defaultEEEx11max_functorIxExEEDaPvRmT3_T4_T5_mT6_P12ihipStream_tbENKUlT_T0_E_clISt17integral_constantIbLb1EESX_EEDaSS_ST_EUlSS_E_NS1_11comp_targetILNS1_3genE2ELNS1_11target_archE906ELNS1_3gpuE6ELNS1_3repE0EEENS1_30default_config_static_selectorELNS0_4arch9wavefront6targetE1EEEvT1_.kd
    .uniform_work_group_size: 1
    .uses_dynamic_stack: false
    .vgpr_count:     0
    .vgpr_spill_count: 0
    .wavefront_size: 64
  - .agpr_count:     0
    .args:
      - .offset:         0
        .size:           112
        .value_kind:     by_value
    .group_segment_fixed_size: 0
    .kernarg_segment_align: 8
    .kernarg_segment_size: 112
    .language:       OpenCL C
    .language_version:
      - 2
      - 0
    .max_flat_workgroup_size: 256
    .name:           _ZN7rocprim17ROCPRIM_400000_NS6detail17trampoline_kernelINS0_14default_configENS1_20scan_config_selectorIxEEZZNS1_9scan_implILNS1_25lookback_scan_determinismE0ELb0ELb0ES3_N6thrust23THRUST_200600_302600_NS6detail15normal_iteratorINS9_10device_ptrIxEEEENS9_16discard_iteratorINS9_11use_defaultEEEx11max_functorIxExEEDaPvRmT3_T4_T5_mT6_P12ihipStream_tbENKUlT_T0_E_clISt17integral_constantIbLb1EESX_EEDaSS_ST_EUlSS_E_NS1_11comp_targetILNS1_3genE10ELNS1_11target_archE1201ELNS1_3gpuE5ELNS1_3repE0EEENS1_30default_config_static_selectorELNS0_4arch9wavefront6targetE1EEEvT1_
    .private_segment_fixed_size: 0
    .sgpr_count:     4
    .sgpr_spill_count: 0
    .symbol:         _ZN7rocprim17ROCPRIM_400000_NS6detail17trampoline_kernelINS0_14default_configENS1_20scan_config_selectorIxEEZZNS1_9scan_implILNS1_25lookback_scan_determinismE0ELb0ELb0ES3_N6thrust23THRUST_200600_302600_NS6detail15normal_iteratorINS9_10device_ptrIxEEEENS9_16discard_iteratorINS9_11use_defaultEEEx11max_functorIxExEEDaPvRmT3_T4_T5_mT6_P12ihipStream_tbENKUlT_T0_E_clISt17integral_constantIbLb1EESX_EEDaSS_ST_EUlSS_E_NS1_11comp_targetILNS1_3genE10ELNS1_11target_archE1201ELNS1_3gpuE5ELNS1_3repE0EEENS1_30default_config_static_selectorELNS0_4arch9wavefront6targetE1EEEvT1_.kd
    .uniform_work_group_size: 1
    .uses_dynamic_stack: false
    .vgpr_count:     0
    .vgpr_spill_count: 0
    .wavefront_size: 64
  - .agpr_count:     0
    .args:
      - .offset:         0
        .size:           112
        .value_kind:     by_value
    .group_segment_fixed_size: 0
    .kernarg_segment_align: 8
    .kernarg_segment_size: 112
    .language:       OpenCL C
    .language_version:
      - 2
      - 0
    .max_flat_workgroup_size: 256
    .name:           _ZN7rocprim17ROCPRIM_400000_NS6detail17trampoline_kernelINS0_14default_configENS1_20scan_config_selectorIxEEZZNS1_9scan_implILNS1_25lookback_scan_determinismE0ELb0ELb0ES3_N6thrust23THRUST_200600_302600_NS6detail15normal_iteratorINS9_10device_ptrIxEEEENS9_16discard_iteratorINS9_11use_defaultEEEx11max_functorIxExEEDaPvRmT3_T4_T5_mT6_P12ihipStream_tbENKUlT_T0_E_clISt17integral_constantIbLb1EESX_EEDaSS_ST_EUlSS_E_NS1_11comp_targetILNS1_3genE10ELNS1_11target_archE1200ELNS1_3gpuE4ELNS1_3repE0EEENS1_30default_config_static_selectorELNS0_4arch9wavefront6targetE1EEEvT1_
    .private_segment_fixed_size: 0
    .sgpr_count:     4
    .sgpr_spill_count: 0
    .symbol:         _ZN7rocprim17ROCPRIM_400000_NS6detail17trampoline_kernelINS0_14default_configENS1_20scan_config_selectorIxEEZZNS1_9scan_implILNS1_25lookback_scan_determinismE0ELb0ELb0ES3_N6thrust23THRUST_200600_302600_NS6detail15normal_iteratorINS9_10device_ptrIxEEEENS9_16discard_iteratorINS9_11use_defaultEEEx11max_functorIxExEEDaPvRmT3_T4_T5_mT6_P12ihipStream_tbENKUlT_T0_E_clISt17integral_constantIbLb1EESX_EEDaSS_ST_EUlSS_E_NS1_11comp_targetILNS1_3genE10ELNS1_11target_archE1200ELNS1_3gpuE4ELNS1_3repE0EEENS1_30default_config_static_selectorELNS0_4arch9wavefront6targetE1EEEvT1_.kd
    .uniform_work_group_size: 1
    .uses_dynamic_stack: false
    .vgpr_count:     0
    .vgpr_spill_count: 0
    .wavefront_size: 64
  - .agpr_count:     0
    .args:
      - .offset:         0
        .size:           112
        .value_kind:     by_value
    .group_segment_fixed_size: 0
    .kernarg_segment_align: 8
    .kernarg_segment_size: 112
    .language:       OpenCL C
    .language_version:
      - 2
      - 0
    .max_flat_workgroup_size: 256
    .name:           _ZN7rocprim17ROCPRIM_400000_NS6detail17trampoline_kernelINS0_14default_configENS1_20scan_config_selectorIxEEZZNS1_9scan_implILNS1_25lookback_scan_determinismE0ELb0ELb0ES3_N6thrust23THRUST_200600_302600_NS6detail15normal_iteratorINS9_10device_ptrIxEEEENS9_16discard_iteratorINS9_11use_defaultEEEx11max_functorIxExEEDaPvRmT3_T4_T5_mT6_P12ihipStream_tbENKUlT_T0_E_clISt17integral_constantIbLb1EESX_EEDaSS_ST_EUlSS_E_NS1_11comp_targetILNS1_3genE9ELNS1_11target_archE1100ELNS1_3gpuE3ELNS1_3repE0EEENS1_30default_config_static_selectorELNS0_4arch9wavefront6targetE1EEEvT1_
    .private_segment_fixed_size: 0
    .sgpr_count:     4
    .sgpr_spill_count: 0
    .symbol:         _ZN7rocprim17ROCPRIM_400000_NS6detail17trampoline_kernelINS0_14default_configENS1_20scan_config_selectorIxEEZZNS1_9scan_implILNS1_25lookback_scan_determinismE0ELb0ELb0ES3_N6thrust23THRUST_200600_302600_NS6detail15normal_iteratorINS9_10device_ptrIxEEEENS9_16discard_iteratorINS9_11use_defaultEEEx11max_functorIxExEEDaPvRmT3_T4_T5_mT6_P12ihipStream_tbENKUlT_T0_E_clISt17integral_constantIbLb1EESX_EEDaSS_ST_EUlSS_E_NS1_11comp_targetILNS1_3genE9ELNS1_11target_archE1100ELNS1_3gpuE3ELNS1_3repE0EEENS1_30default_config_static_selectorELNS0_4arch9wavefront6targetE1EEEvT1_.kd
    .uniform_work_group_size: 1
    .uses_dynamic_stack: false
    .vgpr_count:     0
    .vgpr_spill_count: 0
    .wavefront_size: 64
  - .agpr_count:     0
    .args:
      - .offset:         0
        .size:           112
        .value_kind:     by_value
    .group_segment_fixed_size: 0
    .kernarg_segment_align: 8
    .kernarg_segment_size: 112
    .language:       OpenCL C
    .language_version:
      - 2
      - 0
    .max_flat_workgroup_size: 256
    .name:           _ZN7rocprim17ROCPRIM_400000_NS6detail17trampoline_kernelINS0_14default_configENS1_20scan_config_selectorIxEEZZNS1_9scan_implILNS1_25lookback_scan_determinismE0ELb0ELb0ES3_N6thrust23THRUST_200600_302600_NS6detail15normal_iteratorINS9_10device_ptrIxEEEENS9_16discard_iteratorINS9_11use_defaultEEEx11max_functorIxExEEDaPvRmT3_T4_T5_mT6_P12ihipStream_tbENKUlT_T0_E_clISt17integral_constantIbLb1EESX_EEDaSS_ST_EUlSS_E_NS1_11comp_targetILNS1_3genE8ELNS1_11target_archE1030ELNS1_3gpuE2ELNS1_3repE0EEENS1_30default_config_static_selectorELNS0_4arch9wavefront6targetE1EEEvT1_
    .private_segment_fixed_size: 0
    .sgpr_count:     4
    .sgpr_spill_count: 0
    .symbol:         _ZN7rocprim17ROCPRIM_400000_NS6detail17trampoline_kernelINS0_14default_configENS1_20scan_config_selectorIxEEZZNS1_9scan_implILNS1_25lookback_scan_determinismE0ELb0ELb0ES3_N6thrust23THRUST_200600_302600_NS6detail15normal_iteratorINS9_10device_ptrIxEEEENS9_16discard_iteratorINS9_11use_defaultEEEx11max_functorIxExEEDaPvRmT3_T4_T5_mT6_P12ihipStream_tbENKUlT_T0_E_clISt17integral_constantIbLb1EESX_EEDaSS_ST_EUlSS_E_NS1_11comp_targetILNS1_3genE8ELNS1_11target_archE1030ELNS1_3gpuE2ELNS1_3repE0EEENS1_30default_config_static_selectorELNS0_4arch9wavefront6targetE1EEEvT1_.kd
    .uniform_work_group_size: 1
    .uses_dynamic_stack: false
    .vgpr_count:     0
    .vgpr_spill_count: 0
    .wavefront_size: 64
  - .agpr_count:     0
    .args:
      - .offset:         0
        .size:           48
        .value_kind:     by_value
    .group_segment_fixed_size: 0
    .kernarg_segment_align: 8
    .kernarg_segment_size: 48
    .language:       OpenCL C
    .language_version:
      - 2
      - 0
    .max_flat_workgroup_size: 256
    .name:           _ZN7rocprim17ROCPRIM_400000_NS6detail17trampoline_kernelINS0_14default_configENS1_20scan_config_selectorIxEEZZNS1_9scan_implILNS1_25lookback_scan_determinismE0ELb0ELb0ES3_N6thrust23THRUST_200600_302600_NS6detail15normal_iteratorINS9_10device_ptrIxEEEENS9_16discard_iteratorINS9_11use_defaultEEEx11max_functorIxExEEDaPvRmT3_T4_T5_mT6_P12ihipStream_tbENKUlT_T0_E_clISt17integral_constantIbLb1EESX_EEDaSS_ST_EUlSS_E0_NS1_11comp_targetILNS1_3genE0ELNS1_11target_archE4294967295ELNS1_3gpuE0ELNS1_3repE0EEENS1_30default_config_static_selectorELNS0_4arch9wavefront6targetE1EEEvT1_
    .private_segment_fixed_size: 0
    .sgpr_count:     4
    .sgpr_spill_count: 0
    .symbol:         _ZN7rocprim17ROCPRIM_400000_NS6detail17trampoline_kernelINS0_14default_configENS1_20scan_config_selectorIxEEZZNS1_9scan_implILNS1_25lookback_scan_determinismE0ELb0ELb0ES3_N6thrust23THRUST_200600_302600_NS6detail15normal_iteratorINS9_10device_ptrIxEEEENS9_16discard_iteratorINS9_11use_defaultEEEx11max_functorIxExEEDaPvRmT3_T4_T5_mT6_P12ihipStream_tbENKUlT_T0_E_clISt17integral_constantIbLb1EESX_EEDaSS_ST_EUlSS_E0_NS1_11comp_targetILNS1_3genE0ELNS1_11target_archE4294967295ELNS1_3gpuE0ELNS1_3repE0EEENS1_30default_config_static_selectorELNS0_4arch9wavefront6targetE1EEEvT1_.kd
    .uniform_work_group_size: 1
    .uses_dynamic_stack: false
    .vgpr_count:     0
    .vgpr_spill_count: 0
    .wavefront_size: 64
  - .agpr_count:     0
    .args:
      - .offset:         0
        .size:           48
        .value_kind:     by_value
    .group_segment_fixed_size: 0
    .kernarg_segment_align: 8
    .kernarg_segment_size: 48
    .language:       OpenCL C
    .language_version:
      - 2
      - 0
    .max_flat_workgroup_size: 256
    .name:           _ZN7rocprim17ROCPRIM_400000_NS6detail17trampoline_kernelINS0_14default_configENS1_20scan_config_selectorIxEEZZNS1_9scan_implILNS1_25lookback_scan_determinismE0ELb0ELb0ES3_N6thrust23THRUST_200600_302600_NS6detail15normal_iteratorINS9_10device_ptrIxEEEENS9_16discard_iteratorINS9_11use_defaultEEEx11max_functorIxExEEDaPvRmT3_T4_T5_mT6_P12ihipStream_tbENKUlT_T0_E_clISt17integral_constantIbLb1EESX_EEDaSS_ST_EUlSS_E0_NS1_11comp_targetILNS1_3genE5ELNS1_11target_archE942ELNS1_3gpuE9ELNS1_3repE0EEENS1_30default_config_static_selectorELNS0_4arch9wavefront6targetE1EEEvT1_
    .private_segment_fixed_size: 0
    .sgpr_count:     4
    .sgpr_spill_count: 0
    .symbol:         _ZN7rocprim17ROCPRIM_400000_NS6detail17trampoline_kernelINS0_14default_configENS1_20scan_config_selectorIxEEZZNS1_9scan_implILNS1_25lookback_scan_determinismE0ELb0ELb0ES3_N6thrust23THRUST_200600_302600_NS6detail15normal_iteratorINS9_10device_ptrIxEEEENS9_16discard_iteratorINS9_11use_defaultEEEx11max_functorIxExEEDaPvRmT3_T4_T5_mT6_P12ihipStream_tbENKUlT_T0_E_clISt17integral_constantIbLb1EESX_EEDaSS_ST_EUlSS_E0_NS1_11comp_targetILNS1_3genE5ELNS1_11target_archE942ELNS1_3gpuE9ELNS1_3repE0EEENS1_30default_config_static_selectorELNS0_4arch9wavefront6targetE1EEEvT1_.kd
    .uniform_work_group_size: 1
    .uses_dynamic_stack: false
    .vgpr_count:     0
    .vgpr_spill_count: 0
    .wavefront_size: 64
  - .agpr_count:     0
    .args:
      - .offset:         0
        .size:           48
        .value_kind:     by_value
    .group_segment_fixed_size: 7168
    .kernarg_segment_align: 8
    .kernarg_segment_size: 48
    .language:       OpenCL C
    .language_version:
      - 2
      - 0
    .max_flat_workgroup_size: 128
    .name:           _ZN7rocprim17ROCPRIM_400000_NS6detail17trampoline_kernelINS0_14default_configENS1_20scan_config_selectorIxEEZZNS1_9scan_implILNS1_25lookback_scan_determinismE0ELb0ELb0ES3_N6thrust23THRUST_200600_302600_NS6detail15normal_iteratorINS9_10device_ptrIxEEEENS9_16discard_iteratorINS9_11use_defaultEEEx11max_functorIxExEEDaPvRmT3_T4_T5_mT6_P12ihipStream_tbENKUlT_T0_E_clISt17integral_constantIbLb1EESX_EEDaSS_ST_EUlSS_E0_NS1_11comp_targetILNS1_3genE4ELNS1_11target_archE910ELNS1_3gpuE8ELNS1_3repE0EEENS1_30default_config_static_selectorELNS0_4arch9wavefront6targetE1EEEvT1_
    .private_segment_fixed_size: 0
    .sgpr_count:     12
    .sgpr_spill_count: 0
    .symbol:         _ZN7rocprim17ROCPRIM_400000_NS6detail17trampoline_kernelINS0_14default_configENS1_20scan_config_selectorIxEEZZNS1_9scan_implILNS1_25lookback_scan_determinismE0ELb0ELb0ES3_N6thrust23THRUST_200600_302600_NS6detail15normal_iteratorINS9_10device_ptrIxEEEENS9_16discard_iteratorINS9_11use_defaultEEEx11max_functorIxExEEDaPvRmT3_T4_T5_mT6_P12ihipStream_tbENKUlT_T0_E_clISt17integral_constantIbLb1EESX_EEDaSS_ST_EUlSS_E0_NS1_11comp_targetILNS1_3genE4ELNS1_11target_archE910ELNS1_3gpuE8ELNS1_3repE0EEENS1_30default_config_static_selectorELNS0_4arch9wavefront6targetE1EEEvT1_.kd
    .uniform_work_group_size: 1
    .uses_dynamic_stack: false
    .vgpr_count:     41
    .vgpr_spill_count: 0
    .wavefront_size: 64
  - .agpr_count:     0
    .args:
      - .offset:         0
        .size:           48
        .value_kind:     by_value
    .group_segment_fixed_size: 0
    .kernarg_segment_align: 8
    .kernarg_segment_size: 48
    .language:       OpenCL C
    .language_version:
      - 2
      - 0
    .max_flat_workgroup_size: 256
    .name:           _ZN7rocprim17ROCPRIM_400000_NS6detail17trampoline_kernelINS0_14default_configENS1_20scan_config_selectorIxEEZZNS1_9scan_implILNS1_25lookback_scan_determinismE0ELb0ELb0ES3_N6thrust23THRUST_200600_302600_NS6detail15normal_iteratorINS9_10device_ptrIxEEEENS9_16discard_iteratorINS9_11use_defaultEEEx11max_functorIxExEEDaPvRmT3_T4_T5_mT6_P12ihipStream_tbENKUlT_T0_E_clISt17integral_constantIbLb1EESX_EEDaSS_ST_EUlSS_E0_NS1_11comp_targetILNS1_3genE3ELNS1_11target_archE908ELNS1_3gpuE7ELNS1_3repE0EEENS1_30default_config_static_selectorELNS0_4arch9wavefront6targetE1EEEvT1_
    .private_segment_fixed_size: 0
    .sgpr_count:     4
    .sgpr_spill_count: 0
    .symbol:         _ZN7rocprim17ROCPRIM_400000_NS6detail17trampoline_kernelINS0_14default_configENS1_20scan_config_selectorIxEEZZNS1_9scan_implILNS1_25lookback_scan_determinismE0ELb0ELb0ES3_N6thrust23THRUST_200600_302600_NS6detail15normal_iteratorINS9_10device_ptrIxEEEENS9_16discard_iteratorINS9_11use_defaultEEEx11max_functorIxExEEDaPvRmT3_T4_T5_mT6_P12ihipStream_tbENKUlT_T0_E_clISt17integral_constantIbLb1EESX_EEDaSS_ST_EUlSS_E0_NS1_11comp_targetILNS1_3genE3ELNS1_11target_archE908ELNS1_3gpuE7ELNS1_3repE0EEENS1_30default_config_static_selectorELNS0_4arch9wavefront6targetE1EEEvT1_.kd
    .uniform_work_group_size: 1
    .uses_dynamic_stack: false
    .vgpr_count:     0
    .vgpr_spill_count: 0
    .wavefront_size: 64
  - .agpr_count:     0
    .args:
      - .offset:         0
        .size:           48
        .value_kind:     by_value
    .group_segment_fixed_size: 0
    .kernarg_segment_align: 8
    .kernarg_segment_size: 48
    .language:       OpenCL C
    .language_version:
      - 2
      - 0
    .max_flat_workgroup_size: 64
    .name:           _ZN7rocprim17ROCPRIM_400000_NS6detail17trampoline_kernelINS0_14default_configENS1_20scan_config_selectorIxEEZZNS1_9scan_implILNS1_25lookback_scan_determinismE0ELb0ELb0ES3_N6thrust23THRUST_200600_302600_NS6detail15normal_iteratorINS9_10device_ptrIxEEEENS9_16discard_iteratorINS9_11use_defaultEEEx11max_functorIxExEEDaPvRmT3_T4_T5_mT6_P12ihipStream_tbENKUlT_T0_E_clISt17integral_constantIbLb1EESX_EEDaSS_ST_EUlSS_E0_NS1_11comp_targetILNS1_3genE2ELNS1_11target_archE906ELNS1_3gpuE6ELNS1_3repE0EEENS1_30default_config_static_selectorELNS0_4arch9wavefront6targetE1EEEvT1_
    .private_segment_fixed_size: 0
    .sgpr_count:     4
    .sgpr_spill_count: 0
    .symbol:         _ZN7rocprim17ROCPRIM_400000_NS6detail17trampoline_kernelINS0_14default_configENS1_20scan_config_selectorIxEEZZNS1_9scan_implILNS1_25lookback_scan_determinismE0ELb0ELb0ES3_N6thrust23THRUST_200600_302600_NS6detail15normal_iteratorINS9_10device_ptrIxEEEENS9_16discard_iteratorINS9_11use_defaultEEEx11max_functorIxExEEDaPvRmT3_T4_T5_mT6_P12ihipStream_tbENKUlT_T0_E_clISt17integral_constantIbLb1EESX_EEDaSS_ST_EUlSS_E0_NS1_11comp_targetILNS1_3genE2ELNS1_11target_archE906ELNS1_3gpuE6ELNS1_3repE0EEENS1_30default_config_static_selectorELNS0_4arch9wavefront6targetE1EEEvT1_.kd
    .uniform_work_group_size: 1
    .uses_dynamic_stack: false
    .vgpr_count:     0
    .vgpr_spill_count: 0
    .wavefront_size: 64
  - .agpr_count:     0
    .args:
      - .offset:         0
        .size:           48
        .value_kind:     by_value
    .group_segment_fixed_size: 0
    .kernarg_segment_align: 8
    .kernarg_segment_size: 48
    .language:       OpenCL C
    .language_version:
      - 2
      - 0
    .max_flat_workgroup_size: 256
    .name:           _ZN7rocprim17ROCPRIM_400000_NS6detail17trampoline_kernelINS0_14default_configENS1_20scan_config_selectorIxEEZZNS1_9scan_implILNS1_25lookback_scan_determinismE0ELb0ELb0ES3_N6thrust23THRUST_200600_302600_NS6detail15normal_iteratorINS9_10device_ptrIxEEEENS9_16discard_iteratorINS9_11use_defaultEEEx11max_functorIxExEEDaPvRmT3_T4_T5_mT6_P12ihipStream_tbENKUlT_T0_E_clISt17integral_constantIbLb1EESX_EEDaSS_ST_EUlSS_E0_NS1_11comp_targetILNS1_3genE10ELNS1_11target_archE1201ELNS1_3gpuE5ELNS1_3repE0EEENS1_30default_config_static_selectorELNS0_4arch9wavefront6targetE1EEEvT1_
    .private_segment_fixed_size: 0
    .sgpr_count:     4
    .sgpr_spill_count: 0
    .symbol:         _ZN7rocprim17ROCPRIM_400000_NS6detail17trampoline_kernelINS0_14default_configENS1_20scan_config_selectorIxEEZZNS1_9scan_implILNS1_25lookback_scan_determinismE0ELb0ELb0ES3_N6thrust23THRUST_200600_302600_NS6detail15normal_iteratorINS9_10device_ptrIxEEEENS9_16discard_iteratorINS9_11use_defaultEEEx11max_functorIxExEEDaPvRmT3_T4_T5_mT6_P12ihipStream_tbENKUlT_T0_E_clISt17integral_constantIbLb1EESX_EEDaSS_ST_EUlSS_E0_NS1_11comp_targetILNS1_3genE10ELNS1_11target_archE1201ELNS1_3gpuE5ELNS1_3repE0EEENS1_30default_config_static_selectorELNS0_4arch9wavefront6targetE1EEEvT1_.kd
    .uniform_work_group_size: 1
    .uses_dynamic_stack: false
    .vgpr_count:     0
    .vgpr_spill_count: 0
    .wavefront_size: 64
  - .agpr_count:     0
    .args:
      - .offset:         0
        .size:           48
        .value_kind:     by_value
    .group_segment_fixed_size: 0
    .kernarg_segment_align: 8
    .kernarg_segment_size: 48
    .language:       OpenCL C
    .language_version:
      - 2
      - 0
    .max_flat_workgroup_size: 256
    .name:           _ZN7rocprim17ROCPRIM_400000_NS6detail17trampoline_kernelINS0_14default_configENS1_20scan_config_selectorIxEEZZNS1_9scan_implILNS1_25lookback_scan_determinismE0ELb0ELb0ES3_N6thrust23THRUST_200600_302600_NS6detail15normal_iteratorINS9_10device_ptrIxEEEENS9_16discard_iteratorINS9_11use_defaultEEEx11max_functorIxExEEDaPvRmT3_T4_T5_mT6_P12ihipStream_tbENKUlT_T0_E_clISt17integral_constantIbLb1EESX_EEDaSS_ST_EUlSS_E0_NS1_11comp_targetILNS1_3genE10ELNS1_11target_archE1200ELNS1_3gpuE4ELNS1_3repE0EEENS1_30default_config_static_selectorELNS0_4arch9wavefront6targetE1EEEvT1_
    .private_segment_fixed_size: 0
    .sgpr_count:     4
    .sgpr_spill_count: 0
    .symbol:         _ZN7rocprim17ROCPRIM_400000_NS6detail17trampoline_kernelINS0_14default_configENS1_20scan_config_selectorIxEEZZNS1_9scan_implILNS1_25lookback_scan_determinismE0ELb0ELb0ES3_N6thrust23THRUST_200600_302600_NS6detail15normal_iteratorINS9_10device_ptrIxEEEENS9_16discard_iteratorINS9_11use_defaultEEEx11max_functorIxExEEDaPvRmT3_T4_T5_mT6_P12ihipStream_tbENKUlT_T0_E_clISt17integral_constantIbLb1EESX_EEDaSS_ST_EUlSS_E0_NS1_11comp_targetILNS1_3genE10ELNS1_11target_archE1200ELNS1_3gpuE4ELNS1_3repE0EEENS1_30default_config_static_selectorELNS0_4arch9wavefront6targetE1EEEvT1_.kd
    .uniform_work_group_size: 1
    .uses_dynamic_stack: false
    .vgpr_count:     0
    .vgpr_spill_count: 0
    .wavefront_size: 64
  - .agpr_count:     0
    .args:
      - .offset:         0
        .size:           48
        .value_kind:     by_value
    .group_segment_fixed_size: 0
    .kernarg_segment_align: 8
    .kernarg_segment_size: 48
    .language:       OpenCL C
    .language_version:
      - 2
      - 0
    .max_flat_workgroup_size: 256
    .name:           _ZN7rocprim17ROCPRIM_400000_NS6detail17trampoline_kernelINS0_14default_configENS1_20scan_config_selectorIxEEZZNS1_9scan_implILNS1_25lookback_scan_determinismE0ELb0ELb0ES3_N6thrust23THRUST_200600_302600_NS6detail15normal_iteratorINS9_10device_ptrIxEEEENS9_16discard_iteratorINS9_11use_defaultEEEx11max_functorIxExEEDaPvRmT3_T4_T5_mT6_P12ihipStream_tbENKUlT_T0_E_clISt17integral_constantIbLb1EESX_EEDaSS_ST_EUlSS_E0_NS1_11comp_targetILNS1_3genE9ELNS1_11target_archE1100ELNS1_3gpuE3ELNS1_3repE0EEENS1_30default_config_static_selectorELNS0_4arch9wavefront6targetE1EEEvT1_
    .private_segment_fixed_size: 0
    .sgpr_count:     4
    .sgpr_spill_count: 0
    .symbol:         _ZN7rocprim17ROCPRIM_400000_NS6detail17trampoline_kernelINS0_14default_configENS1_20scan_config_selectorIxEEZZNS1_9scan_implILNS1_25lookback_scan_determinismE0ELb0ELb0ES3_N6thrust23THRUST_200600_302600_NS6detail15normal_iteratorINS9_10device_ptrIxEEEENS9_16discard_iteratorINS9_11use_defaultEEEx11max_functorIxExEEDaPvRmT3_T4_T5_mT6_P12ihipStream_tbENKUlT_T0_E_clISt17integral_constantIbLb1EESX_EEDaSS_ST_EUlSS_E0_NS1_11comp_targetILNS1_3genE9ELNS1_11target_archE1100ELNS1_3gpuE3ELNS1_3repE0EEENS1_30default_config_static_selectorELNS0_4arch9wavefront6targetE1EEEvT1_.kd
    .uniform_work_group_size: 1
    .uses_dynamic_stack: false
    .vgpr_count:     0
    .vgpr_spill_count: 0
    .wavefront_size: 64
  - .agpr_count:     0
    .args:
      - .offset:         0
        .size:           48
        .value_kind:     by_value
    .group_segment_fixed_size: 0
    .kernarg_segment_align: 8
    .kernarg_segment_size: 48
    .language:       OpenCL C
    .language_version:
      - 2
      - 0
    .max_flat_workgroup_size: 256
    .name:           _ZN7rocprim17ROCPRIM_400000_NS6detail17trampoline_kernelINS0_14default_configENS1_20scan_config_selectorIxEEZZNS1_9scan_implILNS1_25lookback_scan_determinismE0ELb0ELb0ES3_N6thrust23THRUST_200600_302600_NS6detail15normal_iteratorINS9_10device_ptrIxEEEENS9_16discard_iteratorINS9_11use_defaultEEEx11max_functorIxExEEDaPvRmT3_T4_T5_mT6_P12ihipStream_tbENKUlT_T0_E_clISt17integral_constantIbLb1EESX_EEDaSS_ST_EUlSS_E0_NS1_11comp_targetILNS1_3genE8ELNS1_11target_archE1030ELNS1_3gpuE2ELNS1_3repE0EEENS1_30default_config_static_selectorELNS0_4arch9wavefront6targetE1EEEvT1_
    .private_segment_fixed_size: 0
    .sgpr_count:     4
    .sgpr_spill_count: 0
    .symbol:         _ZN7rocprim17ROCPRIM_400000_NS6detail17trampoline_kernelINS0_14default_configENS1_20scan_config_selectorIxEEZZNS1_9scan_implILNS1_25lookback_scan_determinismE0ELb0ELb0ES3_N6thrust23THRUST_200600_302600_NS6detail15normal_iteratorINS9_10device_ptrIxEEEENS9_16discard_iteratorINS9_11use_defaultEEEx11max_functorIxExEEDaPvRmT3_T4_T5_mT6_P12ihipStream_tbENKUlT_T0_E_clISt17integral_constantIbLb1EESX_EEDaSS_ST_EUlSS_E0_NS1_11comp_targetILNS1_3genE8ELNS1_11target_archE1030ELNS1_3gpuE2ELNS1_3repE0EEENS1_30default_config_static_selectorELNS0_4arch9wavefront6targetE1EEEvT1_.kd
    .uniform_work_group_size: 1
    .uses_dynamic_stack: false
    .vgpr_count:     0
    .vgpr_spill_count: 0
    .wavefront_size: 64
  - .agpr_count:     0
    .args:
      - .offset:         0
        .size:           112
        .value_kind:     by_value
    .group_segment_fixed_size: 0
    .kernarg_segment_align: 8
    .kernarg_segment_size: 112
    .language:       OpenCL C
    .language_version:
      - 2
      - 0
    .max_flat_workgroup_size: 256
    .name:           _ZN7rocprim17ROCPRIM_400000_NS6detail17trampoline_kernelINS0_14default_configENS1_20scan_config_selectorIxEEZZNS1_9scan_implILNS1_25lookback_scan_determinismE0ELb0ELb0ES3_N6thrust23THRUST_200600_302600_NS6detail15normal_iteratorINS9_10device_ptrIxEEEENS9_16discard_iteratorINS9_11use_defaultEEEx11max_functorIxExEEDaPvRmT3_T4_T5_mT6_P12ihipStream_tbENKUlT_T0_E_clISt17integral_constantIbLb1EESW_IbLb0EEEEDaSS_ST_EUlSS_E_NS1_11comp_targetILNS1_3genE0ELNS1_11target_archE4294967295ELNS1_3gpuE0ELNS1_3repE0EEENS1_30default_config_static_selectorELNS0_4arch9wavefront6targetE1EEEvT1_
    .private_segment_fixed_size: 0
    .sgpr_count:     4
    .sgpr_spill_count: 0
    .symbol:         _ZN7rocprim17ROCPRIM_400000_NS6detail17trampoline_kernelINS0_14default_configENS1_20scan_config_selectorIxEEZZNS1_9scan_implILNS1_25lookback_scan_determinismE0ELb0ELb0ES3_N6thrust23THRUST_200600_302600_NS6detail15normal_iteratorINS9_10device_ptrIxEEEENS9_16discard_iteratorINS9_11use_defaultEEEx11max_functorIxExEEDaPvRmT3_T4_T5_mT6_P12ihipStream_tbENKUlT_T0_E_clISt17integral_constantIbLb1EESW_IbLb0EEEEDaSS_ST_EUlSS_E_NS1_11comp_targetILNS1_3genE0ELNS1_11target_archE4294967295ELNS1_3gpuE0ELNS1_3repE0EEENS1_30default_config_static_selectorELNS0_4arch9wavefront6targetE1EEEvT1_.kd
    .uniform_work_group_size: 1
    .uses_dynamic_stack: false
    .vgpr_count:     0
    .vgpr_spill_count: 0
    .wavefront_size: 64
  - .agpr_count:     0
    .args:
      - .offset:         0
        .size:           112
        .value_kind:     by_value
    .group_segment_fixed_size: 0
    .kernarg_segment_align: 8
    .kernarg_segment_size: 112
    .language:       OpenCL C
    .language_version:
      - 2
      - 0
    .max_flat_workgroup_size: 256
    .name:           _ZN7rocprim17ROCPRIM_400000_NS6detail17trampoline_kernelINS0_14default_configENS1_20scan_config_selectorIxEEZZNS1_9scan_implILNS1_25lookback_scan_determinismE0ELb0ELb0ES3_N6thrust23THRUST_200600_302600_NS6detail15normal_iteratorINS9_10device_ptrIxEEEENS9_16discard_iteratorINS9_11use_defaultEEEx11max_functorIxExEEDaPvRmT3_T4_T5_mT6_P12ihipStream_tbENKUlT_T0_E_clISt17integral_constantIbLb1EESW_IbLb0EEEEDaSS_ST_EUlSS_E_NS1_11comp_targetILNS1_3genE5ELNS1_11target_archE942ELNS1_3gpuE9ELNS1_3repE0EEENS1_30default_config_static_selectorELNS0_4arch9wavefront6targetE1EEEvT1_
    .private_segment_fixed_size: 0
    .sgpr_count:     4
    .sgpr_spill_count: 0
    .symbol:         _ZN7rocprim17ROCPRIM_400000_NS6detail17trampoline_kernelINS0_14default_configENS1_20scan_config_selectorIxEEZZNS1_9scan_implILNS1_25lookback_scan_determinismE0ELb0ELb0ES3_N6thrust23THRUST_200600_302600_NS6detail15normal_iteratorINS9_10device_ptrIxEEEENS9_16discard_iteratorINS9_11use_defaultEEEx11max_functorIxExEEDaPvRmT3_T4_T5_mT6_P12ihipStream_tbENKUlT_T0_E_clISt17integral_constantIbLb1EESW_IbLb0EEEEDaSS_ST_EUlSS_E_NS1_11comp_targetILNS1_3genE5ELNS1_11target_archE942ELNS1_3gpuE9ELNS1_3repE0EEENS1_30default_config_static_selectorELNS0_4arch9wavefront6targetE1EEEvT1_.kd
    .uniform_work_group_size: 1
    .uses_dynamic_stack: false
    .vgpr_count:     0
    .vgpr_spill_count: 0
    .wavefront_size: 64
  - .agpr_count:     0
    .args:
      - .offset:         0
        .size:           112
        .value_kind:     by_value
    .group_segment_fixed_size: 7168
    .kernarg_segment_align: 8
    .kernarg_segment_size: 112
    .language:       OpenCL C
    .language_version:
      - 2
      - 0
    .max_flat_workgroup_size: 128
    .name:           _ZN7rocprim17ROCPRIM_400000_NS6detail17trampoline_kernelINS0_14default_configENS1_20scan_config_selectorIxEEZZNS1_9scan_implILNS1_25lookback_scan_determinismE0ELb0ELb0ES3_N6thrust23THRUST_200600_302600_NS6detail15normal_iteratorINS9_10device_ptrIxEEEENS9_16discard_iteratorINS9_11use_defaultEEEx11max_functorIxExEEDaPvRmT3_T4_T5_mT6_P12ihipStream_tbENKUlT_T0_E_clISt17integral_constantIbLb1EESW_IbLb0EEEEDaSS_ST_EUlSS_E_NS1_11comp_targetILNS1_3genE4ELNS1_11target_archE910ELNS1_3gpuE8ELNS1_3repE0EEENS1_30default_config_static_selectorELNS0_4arch9wavefront6targetE1EEEvT1_
    .private_segment_fixed_size: 0
    .sgpr_count:     28
    .sgpr_spill_count: 0
    .symbol:         _ZN7rocprim17ROCPRIM_400000_NS6detail17trampoline_kernelINS0_14default_configENS1_20scan_config_selectorIxEEZZNS1_9scan_implILNS1_25lookback_scan_determinismE0ELb0ELb0ES3_N6thrust23THRUST_200600_302600_NS6detail15normal_iteratorINS9_10device_ptrIxEEEENS9_16discard_iteratorINS9_11use_defaultEEEx11max_functorIxExEEDaPvRmT3_T4_T5_mT6_P12ihipStream_tbENKUlT_T0_E_clISt17integral_constantIbLb1EESW_IbLb0EEEEDaSS_ST_EUlSS_E_NS1_11comp_targetILNS1_3genE4ELNS1_11target_archE910ELNS1_3gpuE8ELNS1_3repE0EEENS1_30default_config_static_selectorELNS0_4arch9wavefront6targetE1EEEvT1_.kd
    .uniform_work_group_size: 1
    .uses_dynamic_stack: false
    .vgpr_count:     57
    .vgpr_spill_count: 0
    .wavefront_size: 64
  - .agpr_count:     0
    .args:
      - .offset:         0
        .size:           112
        .value_kind:     by_value
    .group_segment_fixed_size: 0
    .kernarg_segment_align: 8
    .kernarg_segment_size: 112
    .language:       OpenCL C
    .language_version:
      - 2
      - 0
    .max_flat_workgroup_size: 256
    .name:           _ZN7rocprim17ROCPRIM_400000_NS6detail17trampoline_kernelINS0_14default_configENS1_20scan_config_selectorIxEEZZNS1_9scan_implILNS1_25lookback_scan_determinismE0ELb0ELb0ES3_N6thrust23THRUST_200600_302600_NS6detail15normal_iteratorINS9_10device_ptrIxEEEENS9_16discard_iteratorINS9_11use_defaultEEEx11max_functorIxExEEDaPvRmT3_T4_T5_mT6_P12ihipStream_tbENKUlT_T0_E_clISt17integral_constantIbLb1EESW_IbLb0EEEEDaSS_ST_EUlSS_E_NS1_11comp_targetILNS1_3genE3ELNS1_11target_archE908ELNS1_3gpuE7ELNS1_3repE0EEENS1_30default_config_static_selectorELNS0_4arch9wavefront6targetE1EEEvT1_
    .private_segment_fixed_size: 0
    .sgpr_count:     4
    .sgpr_spill_count: 0
    .symbol:         _ZN7rocprim17ROCPRIM_400000_NS6detail17trampoline_kernelINS0_14default_configENS1_20scan_config_selectorIxEEZZNS1_9scan_implILNS1_25lookback_scan_determinismE0ELb0ELb0ES3_N6thrust23THRUST_200600_302600_NS6detail15normal_iteratorINS9_10device_ptrIxEEEENS9_16discard_iteratorINS9_11use_defaultEEEx11max_functorIxExEEDaPvRmT3_T4_T5_mT6_P12ihipStream_tbENKUlT_T0_E_clISt17integral_constantIbLb1EESW_IbLb0EEEEDaSS_ST_EUlSS_E_NS1_11comp_targetILNS1_3genE3ELNS1_11target_archE908ELNS1_3gpuE7ELNS1_3repE0EEENS1_30default_config_static_selectorELNS0_4arch9wavefront6targetE1EEEvT1_.kd
    .uniform_work_group_size: 1
    .uses_dynamic_stack: false
    .vgpr_count:     0
    .vgpr_spill_count: 0
    .wavefront_size: 64
  - .agpr_count:     0
    .args:
      - .offset:         0
        .size:           112
        .value_kind:     by_value
    .group_segment_fixed_size: 0
    .kernarg_segment_align: 8
    .kernarg_segment_size: 112
    .language:       OpenCL C
    .language_version:
      - 2
      - 0
    .max_flat_workgroup_size: 64
    .name:           _ZN7rocprim17ROCPRIM_400000_NS6detail17trampoline_kernelINS0_14default_configENS1_20scan_config_selectorIxEEZZNS1_9scan_implILNS1_25lookback_scan_determinismE0ELb0ELb0ES3_N6thrust23THRUST_200600_302600_NS6detail15normal_iteratorINS9_10device_ptrIxEEEENS9_16discard_iteratorINS9_11use_defaultEEEx11max_functorIxExEEDaPvRmT3_T4_T5_mT6_P12ihipStream_tbENKUlT_T0_E_clISt17integral_constantIbLb1EESW_IbLb0EEEEDaSS_ST_EUlSS_E_NS1_11comp_targetILNS1_3genE2ELNS1_11target_archE906ELNS1_3gpuE6ELNS1_3repE0EEENS1_30default_config_static_selectorELNS0_4arch9wavefront6targetE1EEEvT1_
    .private_segment_fixed_size: 0
    .sgpr_count:     4
    .sgpr_spill_count: 0
    .symbol:         _ZN7rocprim17ROCPRIM_400000_NS6detail17trampoline_kernelINS0_14default_configENS1_20scan_config_selectorIxEEZZNS1_9scan_implILNS1_25lookback_scan_determinismE0ELb0ELb0ES3_N6thrust23THRUST_200600_302600_NS6detail15normal_iteratorINS9_10device_ptrIxEEEENS9_16discard_iteratorINS9_11use_defaultEEEx11max_functorIxExEEDaPvRmT3_T4_T5_mT6_P12ihipStream_tbENKUlT_T0_E_clISt17integral_constantIbLb1EESW_IbLb0EEEEDaSS_ST_EUlSS_E_NS1_11comp_targetILNS1_3genE2ELNS1_11target_archE906ELNS1_3gpuE6ELNS1_3repE0EEENS1_30default_config_static_selectorELNS0_4arch9wavefront6targetE1EEEvT1_.kd
    .uniform_work_group_size: 1
    .uses_dynamic_stack: false
    .vgpr_count:     0
    .vgpr_spill_count: 0
    .wavefront_size: 64
  - .agpr_count:     0
    .args:
      - .offset:         0
        .size:           112
        .value_kind:     by_value
    .group_segment_fixed_size: 0
    .kernarg_segment_align: 8
    .kernarg_segment_size: 112
    .language:       OpenCL C
    .language_version:
      - 2
      - 0
    .max_flat_workgroup_size: 256
    .name:           _ZN7rocprim17ROCPRIM_400000_NS6detail17trampoline_kernelINS0_14default_configENS1_20scan_config_selectorIxEEZZNS1_9scan_implILNS1_25lookback_scan_determinismE0ELb0ELb0ES3_N6thrust23THRUST_200600_302600_NS6detail15normal_iteratorINS9_10device_ptrIxEEEENS9_16discard_iteratorINS9_11use_defaultEEEx11max_functorIxExEEDaPvRmT3_T4_T5_mT6_P12ihipStream_tbENKUlT_T0_E_clISt17integral_constantIbLb1EESW_IbLb0EEEEDaSS_ST_EUlSS_E_NS1_11comp_targetILNS1_3genE10ELNS1_11target_archE1201ELNS1_3gpuE5ELNS1_3repE0EEENS1_30default_config_static_selectorELNS0_4arch9wavefront6targetE1EEEvT1_
    .private_segment_fixed_size: 0
    .sgpr_count:     4
    .sgpr_spill_count: 0
    .symbol:         _ZN7rocprim17ROCPRIM_400000_NS6detail17trampoline_kernelINS0_14default_configENS1_20scan_config_selectorIxEEZZNS1_9scan_implILNS1_25lookback_scan_determinismE0ELb0ELb0ES3_N6thrust23THRUST_200600_302600_NS6detail15normal_iteratorINS9_10device_ptrIxEEEENS9_16discard_iteratorINS9_11use_defaultEEEx11max_functorIxExEEDaPvRmT3_T4_T5_mT6_P12ihipStream_tbENKUlT_T0_E_clISt17integral_constantIbLb1EESW_IbLb0EEEEDaSS_ST_EUlSS_E_NS1_11comp_targetILNS1_3genE10ELNS1_11target_archE1201ELNS1_3gpuE5ELNS1_3repE0EEENS1_30default_config_static_selectorELNS0_4arch9wavefront6targetE1EEEvT1_.kd
    .uniform_work_group_size: 1
    .uses_dynamic_stack: false
    .vgpr_count:     0
    .vgpr_spill_count: 0
    .wavefront_size: 64
  - .agpr_count:     0
    .args:
      - .offset:         0
        .size:           112
        .value_kind:     by_value
    .group_segment_fixed_size: 0
    .kernarg_segment_align: 8
    .kernarg_segment_size: 112
    .language:       OpenCL C
    .language_version:
      - 2
      - 0
    .max_flat_workgroup_size: 256
    .name:           _ZN7rocprim17ROCPRIM_400000_NS6detail17trampoline_kernelINS0_14default_configENS1_20scan_config_selectorIxEEZZNS1_9scan_implILNS1_25lookback_scan_determinismE0ELb0ELb0ES3_N6thrust23THRUST_200600_302600_NS6detail15normal_iteratorINS9_10device_ptrIxEEEENS9_16discard_iteratorINS9_11use_defaultEEEx11max_functorIxExEEDaPvRmT3_T4_T5_mT6_P12ihipStream_tbENKUlT_T0_E_clISt17integral_constantIbLb1EESW_IbLb0EEEEDaSS_ST_EUlSS_E_NS1_11comp_targetILNS1_3genE10ELNS1_11target_archE1200ELNS1_3gpuE4ELNS1_3repE0EEENS1_30default_config_static_selectorELNS0_4arch9wavefront6targetE1EEEvT1_
    .private_segment_fixed_size: 0
    .sgpr_count:     4
    .sgpr_spill_count: 0
    .symbol:         _ZN7rocprim17ROCPRIM_400000_NS6detail17trampoline_kernelINS0_14default_configENS1_20scan_config_selectorIxEEZZNS1_9scan_implILNS1_25lookback_scan_determinismE0ELb0ELb0ES3_N6thrust23THRUST_200600_302600_NS6detail15normal_iteratorINS9_10device_ptrIxEEEENS9_16discard_iteratorINS9_11use_defaultEEEx11max_functorIxExEEDaPvRmT3_T4_T5_mT6_P12ihipStream_tbENKUlT_T0_E_clISt17integral_constantIbLb1EESW_IbLb0EEEEDaSS_ST_EUlSS_E_NS1_11comp_targetILNS1_3genE10ELNS1_11target_archE1200ELNS1_3gpuE4ELNS1_3repE0EEENS1_30default_config_static_selectorELNS0_4arch9wavefront6targetE1EEEvT1_.kd
    .uniform_work_group_size: 1
    .uses_dynamic_stack: false
    .vgpr_count:     0
    .vgpr_spill_count: 0
    .wavefront_size: 64
  - .agpr_count:     0
    .args:
      - .offset:         0
        .size:           112
        .value_kind:     by_value
    .group_segment_fixed_size: 0
    .kernarg_segment_align: 8
    .kernarg_segment_size: 112
    .language:       OpenCL C
    .language_version:
      - 2
      - 0
    .max_flat_workgroup_size: 256
    .name:           _ZN7rocprim17ROCPRIM_400000_NS6detail17trampoline_kernelINS0_14default_configENS1_20scan_config_selectorIxEEZZNS1_9scan_implILNS1_25lookback_scan_determinismE0ELb0ELb0ES3_N6thrust23THRUST_200600_302600_NS6detail15normal_iteratorINS9_10device_ptrIxEEEENS9_16discard_iteratorINS9_11use_defaultEEEx11max_functorIxExEEDaPvRmT3_T4_T5_mT6_P12ihipStream_tbENKUlT_T0_E_clISt17integral_constantIbLb1EESW_IbLb0EEEEDaSS_ST_EUlSS_E_NS1_11comp_targetILNS1_3genE9ELNS1_11target_archE1100ELNS1_3gpuE3ELNS1_3repE0EEENS1_30default_config_static_selectorELNS0_4arch9wavefront6targetE1EEEvT1_
    .private_segment_fixed_size: 0
    .sgpr_count:     4
    .sgpr_spill_count: 0
    .symbol:         _ZN7rocprim17ROCPRIM_400000_NS6detail17trampoline_kernelINS0_14default_configENS1_20scan_config_selectorIxEEZZNS1_9scan_implILNS1_25lookback_scan_determinismE0ELb0ELb0ES3_N6thrust23THRUST_200600_302600_NS6detail15normal_iteratorINS9_10device_ptrIxEEEENS9_16discard_iteratorINS9_11use_defaultEEEx11max_functorIxExEEDaPvRmT3_T4_T5_mT6_P12ihipStream_tbENKUlT_T0_E_clISt17integral_constantIbLb1EESW_IbLb0EEEEDaSS_ST_EUlSS_E_NS1_11comp_targetILNS1_3genE9ELNS1_11target_archE1100ELNS1_3gpuE3ELNS1_3repE0EEENS1_30default_config_static_selectorELNS0_4arch9wavefront6targetE1EEEvT1_.kd
    .uniform_work_group_size: 1
    .uses_dynamic_stack: false
    .vgpr_count:     0
    .vgpr_spill_count: 0
    .wavefront_size: 64
  - .agpr_count:     0
    .args:
      - .offset:         0
        .size:           112
        .value_kind:     by_value
    .group_segment_fixed_size: 0
    .kernarg_segment_align: 8
    .kernarg_segment_size: 112
    .language:       OpenCL C
    .language_version:
      - 2
      - 0
    .max_flat_workgroup_size: 256
    .name:           _ZN7rocprim17ROCPRIM_400000_NS6detail17trampoline_kernelINS0_14default_configENS1_20scan_config_selectorIxEEZZNS1_9scan_implILNS1_25lookback_scan_determinismE0ELb0ELb0ES3_N6thrust23THRUST_200600_302600_NS6detail15normal_iteratorINS9_10device_ptrIxEEEENS9_16discard_iteratorINS9_11use_defaultEEEx11max_functorIxExEEDaPvRmT3_T4_T5_mT6_P12ihipStream_tbENKUlT_T0_E_clISt17integral_constantIbLb1EESW_IbLb0EEEEDaSS_ST_EUlSS_E_NS1_11comp_targetILNS1_3genE8ELNS1_11target_archE1030ELNS1_3gpuE2ELNS1_3repE0EEENS1_30default_config_static_selectorELNS0_4arch9wavefront6targetE1EEEvT1_
    .private_segment_fixed_size: 0
    .sgpr_count:     4
    .sgpr_spill_count: 0
    .symbol:         _ZN7rocprim17ROCPRIM_400000_NS6detail17trampoline_kernelINS0_14default_configENS1_20scan_config_selectorIxEEZZNS1_9scan_implILNS1_25lookback_scan_determinismE0ELb0ELb0ES3_N6thrust23THRUST_200600_302600_NS6detail15normal_iteratorINS9_10device_ptrIxEEEENS9_16discard_iteratorINS9_11use_defaultEEEx11max_functorIxExEEDaPvRmT3_T4_T5_mT6_P12ihipStream_tbENKUlT_T0_E_clISt17integral_constantIbLb1EESW_IbLb0EEEEDaSS_ST_EUlSS_E_NS1_11comp_targetILNS1_3genE8ELNS1_11target_archE1030ELNS1_3gpuE2ELNS1_3repE0EEENS1_30default_config_static_selectorELNS0_4arch9wavefront6targetE1EEEvT1_.kd
    .uniform_work_group_size: 1
    .uses_dynamic_stack: false
    .vgpr_count:     0
    .vgpr_spill_count: 0
    .wavefront_size: 64
  - .agpr_count:     0
    .args:
      - .offset:         0
        .size:           48
        .value_kind:     by_value
    .group_segment_fixed_size: 0
    .kernarg_segment_align: 8
    .kernarg_segment_size: 48
    .language:       OpenCL C
    .language_version:
      - 2
      - 0
    .max_flat_workgroup_size: 256
    .name:           _ZN7rocprim17ROCPRIM_400000_NS6detail17trampoline_kernelINS0_14default_configENS1_20scan_config_selectorIxEEZZNS1_9scan_implILNS1_25lookback_scan_determinismE0ELb0ELb0ES3_N6thrust23THRUST_200600_302600_NS6detail15normal_iteratorINS9_10device_ptrIxEEEENS9_16discard_iteratorINS9_11use_defaultEEEx11max_functorIxExEEDaPvRmT3_T4_T5_mT6_P12ihipStream_tbENKUlT_T0_E_clISt17integral_constantIbLb1EESW_IbLb0EEEEDaSS_ST_EUlSS_E0_NS1_11comp_targetILNS1_3genE0ELNS1_11target_archE4294967295ELNS1_3gpuE0ELNS1_3repE0EEENS1_30default_config_static_selectorELNS0_4arch9wavefront6targetE1EEEvT1_
    .private_segment_fixed_size: 0
    .sgpr_count:     4
    .sgpr_spill_count: 0
    .symbol:         _ZN7rocprim17ROCPRIM_400000_NS6detail17trampoline_kernelINS0_14default_configENS1_20scan_config_selectorIxEEZZNS1_9scan_implILNS1_25lookback_scan_determinismE0ELb0ELb0ES3_N6thrust23THRUST_200600_302600_NS6detail15normal_iteratorINS9_10device_ptrIxEEEENS9_16discard_iteratorINS9_11use_defaultEEEx11max_functorIxExEEDaPvRmT3_T4_T5_mT6_P12ihipStream_tbENKUlT_T0_E_clISt17integral_constantIbLb1EESW_IbLb0EEEEDaSS_ST_EUlSS_E0_NS1_11comp_targetILNS1_3genE0ELNS1_11target_archE4294967295ELNS1_3gpuE0ELNS1_3repE0EEENS1_30default_config_static_selectorELNS0_4arch9wavefront6targetE1EEEvT1_.kd
    .uniform_work_group_size: 1
    .uses_dynamic_stack: false
    .vgpr_count:     0
    .vgpr_spill_count: 0
    .wavefront_size: 64
  - .agpr_count:     0
    .args:
      - .offset:         0
        .size:           48
        .value_kind:     by_value
    .group_segment_fixed_size: 0
    .kernarg_segment_align: 8
    .kernarg_segment_size: 48
    .language:       OpenCL C
    .language_version:
      - 2
      - 0
    .max_flat_workgroup_size: 256
    .name:           _ZN7rocprim17ROCPRIM_400000_NS6detail17trampoline_kernelINS0_14default_configENS1_20scan_config_selectorIxEEZZNS1_9scan_implILNS1_25lookback_scan_determinismE0ELb0ELb0ES3_N6thrust23THRUST_200600_302600_NS6detail15normal_iteratorINS9_10device_ptrIxEEEENS9_16discard_iteratorINS9_11use_defaultEEEx11max_functorIxExEEDaPvRmT3_T4_T5_mT6_P12ihipStream_tbENKUlT_T0_E_clISt17integral_constantIbLb1EESW_IbLb0EEEEDaSS_ST_EUlSS_E0_NS1_11comp_targetILNS1_3genE5ELNS1_11target_archE942ELNS1_3gpuE9ELNS1_3repE0EEENS1_30default_config_static_selectorELNS0_4arch9wavefront6targetE1EEEvT1_
    .private_segment_fixed_size: 0
    .sgpr_count:     4
    .sgpr_spill_count: 0
    .symbol:         _ZN7rocprim17ROCPRIM_400000_NS6detail17trampoline_kernelINS0_14default_configENS1_20scan_config_selectorIxEEZZNS1_9scan_implILNS1_25lookback_scan_determinismE0ELb0ELb0ES3_N6thrust23THRUST_200600_302600_NS6detail15normal_iteratorINS9_10device_ptrIxEEEENS9_16discard_iteratorINS9_11use_defaultEEEx11max_functorIxExEEDaPvRmT3_T4_T5_mT6_P12ihipStream_tbENKUlT_T0_E_clISt17integral_constantIbLb1EESW_IbLb0EEEEDaSS_ST_EUlSS_E0_NS1_11comp_targetILNS1_3genE5ELNS1_11target_archE942ELNS1_3gpuE9ELNS1_3repE0EEENS1_30default_config_static_selectorELNS0_4arch9wavefront6targetE1EEEvT1_.kd
    .uniform_work_group_size: 1
    .uses_dynamic_stack: false
    .vgpr_count:     0
    .vgpr_spill_count: 0
    .wavefront_size: 64
  - .agpr_count:     0
    .args:
      - .offset:         0
        .size:           48
        .value_kind:     by_value
    .group_segment_fixed_size: 7168
    .kernarg_segment_align: 8
    .kernarg_segment_size: 48
    .language:       OpenCL C
    .language_version:
      - 2
      - 0
    .max_flat_workgroup_size: 128
    .name:           _ZN7rocprim17ROCPRIM_400000_NS6detail17trampoline_kernelINS0_14default_configENS1_20scan_config_selectorIxEEZZNS1_9scan_implILNS1_25lookback_scan_determinismE0ELb0ELb0ES3_N6thrust23THRUST_200600_302600_NS6detail15normal_iteratorINS9_10device_ptrIxEEEENS9_16discard_iteratorINS9_11use_defaultEEEx11max_functorIxExEEDaPvRmT3_T4_T5_mT6_P12ihipStream_tbENKUlT_T0_E_clISt17integral_constantIbLb1EESW_IbLb0EEEEDaSS_ST_EUlSS_E0_NS1_11comp_targetILNS1_3genE4ELNS1_11target_archE910ELNS1_3gpuE8ELNS1_3repE0EEENS1_30default_config_static_selectorELNS0_4arch9wavefront6targetE1EEEvT1_
    .private_segment_fixed_size: 0
    .sgpr_count:     12
    .sgpr_spill_count: 0
    .symbol:         _ZN7rocprim17ROCPRIM_400000_NS6detail17trampoline_kernelINS0_14default_configENS1_20scan_config_selectorIxEEZZNS1_9scan_implILNS1_25lookback_scan_determinismE0ELb0ELb0ES3_N6thrust23THRUST_200600_302600_NS6detail15normal_iteratorINS9_10device_ptrIxEEEENS9_16discard_iteratorINS9_11use_defaultEEEx11max_functorIxExEEDaPvRmT3_T4_T5_mT6_P12ihipStream_tbENKUlT_T0_E_clISt17integral_constantIbLb1EESW_IbLb0EEEEDaSS_ST_EUlSS_E0_NS1_11comp_targetILNS1_3genE4ELNS1_11target_archE910ELNS1_3gpuE8ELNS1_3repE0EEENS1_30default_config_static_selectorELNS0_4arch9wavefront6targetE1EEEvT1_.kd
    .uniform_work_group_size: 1
    .uses_dynamic_stack: false
    .vgpr_count:     41
    .vgpr_spill_count: 0
    .wavefront_size: 64
  - .agpr_count:     0
    .args:
      - .offset:         0
        .size:           48
        .value_kind:     by_value
    .group_segment_fixed_size: 0
    .kernarg_segment_align: 8
    .kernarg_segment_size: 48
    .language:       OpenCL C
    .language_version:
      - 2
      - 0
    .max_flat_workgroup_size: 256
    .name:           _ZN7rocprim17ROCPRIM_400000_NS6detail17trampoline_kernelINS0_14default_configENS1_20scan_config_selectorIxEEZZNS1_9scan_implILNS1_25lookback_scan_determinismE0ELb0ELb0ES3_N6thrust23THRUST_200600_302600_NS6detail15normal_iteratorINS9_10device_ptrIxEEEENS9_16discard_iteratorINS9_11use_defaultEEEx11max_functorIxExEEDaPvRmT3_T4_T5_mT6_P12ihipStream_tbENKUlT_T0_E_clISt17integral_constantIbLb1EESW_IbLb0EEEEDaSS_ST_EUlSS_E0_NS1_11comp_targetILNS1_3genE3ELNS1_11target_archE908ELNS1_3gpuE7ELNS1_3repE0EEENS1_30default_config_static_selectorELNS0_4arch9wavefront6targetE1EEEvT1_
    .private_segment_fixed_size: 0
    .sgpr_count:     4
    .sgpr_spill_count: 0
    .symbol:         _ZN7rocprim17ROCPRIM_400000_NS6detail17trampoline_kernelINS0_14default_configENS1_20scan_config_selectorIxEEZZNS1_9scan_implILNS1_25lookback_scan_determinismE0ELb0ELb0ES3_N6thrust23THRUST_200600_302600_NS6detail15normal_iteratorINS9_10device_ptrIxEEEENS9_16discard_iteratorINS9_11use_defaultEEEx11max_functorIxExEEDaPvRmT3_T4_T5_mT6_P12ihipStream_tbENKUlT_T0_E_clISt17integral_constantIbLb1EESW_IbLb0EEEEDaSS_ST_EUlSS_E0_NS1_11comp_targetILNS1_3genE3ELNS1_11target_archE908ELNS1_3gpuE7ELNS1_3repE0EEENS1_30default_config_static_selectorELNS0_4arch9wavefront6targetE1EEEvT1_.kd
    .uniform_work_group_size: 1
    .uses_dynamic_stack: false
    .vgpr_count:     0
    .vgpr_spill_count: 0
    .wavefront_size: 64
  - .agpr_count:     0
    .args:
      - .offset:         0
        .size:           48
        .value_kind:     by_value
    .group_segment_fixed_size: 0
    .kernarg_segment_align: 8
    .kernarg_segment_size: 48
    .language:       OpenCL C
    .language_version:
      - 2
      - 0
    .max_flat_workgroup_size: 64
    .name:           _ZN7rocprim17ROCPRIM_400000_NS6detail17trampoline_kernelINS0_14default_configENS1_20scan_config_selectorIxEEZZNS1_9scan_implILNS1_25lookback_scan_determinismE0ELb0ELb0ES3_N6thrust23THRUST_200600_302600_NS6detail15normal_iteratorINS9_10device_ptrIxEEEENS9_16discard_iteratorINS9_11use_defaultEEEx11max_functorIxExEEDaPvRmT3_T4_T5_mT6_P12ihipStream_tbENKUlT_T0_E_clISt17integral_constantIbLb1EESW_IbLb0EEEEDaSS_ST_EUlSS_E0_NS1_11comp_targetILNS1_3genE2ELNS1_11target_archE906ELNS1_3gpuE6ELNS1_3repE0EEENS1_30default_config_static_selectorELNS0_4arch9wavefront6targetE1EEEvT1_
    .private_segment_fixed_size: 0
    .sgpr_count:     4
    .sgpr_spill_count: 0
    .symbol:         _ZN7rocprim17ROCPRIM_400000_NS6detail17trampoline_kernelINS0_14default_configENS1_20scan_config_selectorIxEEZZNS1_9scan_implILNS1_25lookback_scan_determinismE0ELb0ELb0ES3_N6thrust23THRUST_200600_302600_NS6detail15normal_iteratorINS9_10device_ptrIxEEEENS9_16discard_iteratorINS9_11use_defaultEEEx11max_functorIxExEEDaPvRmT3_T4_T5_mT6_P12ihipStream_tbENKUlT_T0_E_clISt17integral_constantIbLb1EESW_IbLb0EEEEDaSS_ST_EUlSS_E0_NS1_11comp_targetILNS1_3genE2ELNS1_11target_archE906ELNS1_3gpuE6ELNS1_3repE0EEENS1_30default_config_static_selectorELNS0_4arch9wavefront6targetE1EEEvT1_.kd
    .uniform_work_group_size: 1
    .uses_dynamic_stack: false
    .vgpr_count:     0
    .vgpr_spill_count: 0
    .wavefront_size: 64
  - .agpr_count:     0
    .args:
      - .offset:         0
        .size:           48
        .value_kind:     by_value
    .group_segment_fixed_size: 0
    .kernarg_segment_align: 8
    .kernarg_segment_size: 48
    .language:       OpenCL C
    .language_version:
      - 2
      - 0
    .max_flat_workgroup_size: 256
    .name:           _ZN7rocprim17ROCPRIM_400000_NS6detail17trampoline_kernelINS0_14default_configENS1_20scan_config_selectorIxEEZZNS1_9scan_implILNS1_25lookback_scan_determinismE0ELb0ELb0ES3_N6thrust23THRUST_200600_302600_NS6detail15normal_iteratorINS9_10device_ptrIxEEEENS9_16discard_iteratorINS9_11use_defaultEEEx11max_functorIxExEEDaPvRmT3_T4_T5_mT6_P12ihipStream_tbENKUlT_T0_E_clISt17integral_constantIbLb1EESW_IbLb0EEEEDaSS_ST_EUlSS_E0_NS1_11comp_targetILNS1_3genE10ELNS1_11target_archE1201ELNS1_3gpuE5ELNS1_3repE0EEENS1_30default_config_static_selectorELNS0_4arch9wavefront6targetE1EEEvT1_
    .private_segment_fixed_size: 0
    .sgpr_count:     4
    .sgpr_spill_count: 0
    .symbol:         _ZN7rocprim17ROCPRIM_400000_NS6detail17trampoline_kernelINS0_14default_configENS1_20scan_config_selectorIxEEZZNS1_9scan_implILNS1_25lookback_scan_determinismE0ELb0ELb0ES3_N6thrust23THRUST_200600_302600_NS6detail15normal_iteratorINS9_10device_ptrIxEEEENS9_16discard_iteratorINS9_11use_defaultEEEx11max_functorIxExEEDaPvRmT3_T4_T5_mT6_P12ihipStream_tbENKUlT_T0_E_clISt17integral_constantIbLb1EESW_IbLb0EEEEDaSS_ST_EUlSS_E0_NS1_11comp_targetILNS1_3genE10ELNS1_11target_archE1201ELNS1_3gpuE5ELNS1_3repE0EEENS1_30default_config_static_selectorELNS0_4arch9wavefront6targetE1EEEvT1_.kd
    .uniform_work_group_size: 1
    .uses_dynamic_stack: false
    .vgpr_count:     0
    .vgpr_spill_count: 0
    .wavefront_size: 64
  - .agpr_count:     0
    .args:
      - .offset:         0
        .size:           48
        .value_kind:     by_value
    .group_segment_fixed_size: 0
    .kernarg_segment_align: 8
    .kernarg_segment_size: 48
    .language:       OpenCL C
    .language_version:
      - 2
      - 0
    .max_flat_workgroup_size: 256
    .name:           _ZN7rocprim17ROCPRIM_400000_NS6detail17trampoline_kernelINS0_14default_configENS1_20scan_config_selectorIxEEZZNS1_9scan_implILNS1_25lookback_scan_determinismE0ELb0ELb0ES3_N6thrust23THRUST_200600_302600_NS6detail15normal_iteratorINS9_10device_ptrIxEEEENS9_16discard_iteratorINS9_11use_defaultEEEx11max_functorIxExEEDaPvRmT3_T4_T5_mT6_P12ihipStream_tbENKUlT_T0_E_clISt17integral_constantIbLb1EESW_IbLb0EEEEDaSS_ST_EUlSS_E0_NS1_11comp_targetILNS1_3genE10ELNS1_11target_archE1200ELNS1_3gpuE4ELNS1_3repE0EEENS1_30default_config_static_selectorELNS0_4arch9wavefront6targetE1EEEvT1_
    .private_segment_fixed_size: 0
    .sgpr_count:     4
    .sgpr_spill_count: 0
    .symbol:         _ZN7rocprim17ROCPRIM_400000_NS6detail17trampoline_kernelINS0_14default_configENS1_20scan_config_selectorIxEEZZNS1_9scan_implILNS1_25lookback_scan_determinismE0ELb0ELb0ES3_N6thrust23THRUST_200600_302600_NS6detail15normal_iteratorINS9_10device_ptrIxEEEENS9_16discard_iteratorINS9_11use_defaultEEEx11max_functorIxExEEDaPvRmT3_T4_T5_mT6_P12ihipStream_tbENKUlT_T0_E_clISt17integral_constantIbLb1EESW_IbLb0EEEEDaSS_ST_EUlSS_E0_NS1_11comp_targetILNS1_3genE10ELNS1_11target_archE1200ELNS1_3gpuE4ELNS1_3repE0EEENS1_30default_config_static_selectorELNS0_4arch9wavefront6targetE1EEEvT1_.kd
    .uniform_work_group_size: 1
    .uses_dynamic_stack: false
    .vgpr_count:     0
    .vgpr_spill_count: 0
    .wavefront_size: 64
  - .agpr_count:     0
    .args:
      - .offset:         0
        .size:           48
        .value_kind:     by_value
    .group_segment_fixed_size: 0
    .kernarg_segment_align: 8
    .kernarg_segment_size: 48
    .language:       OpenCL C
    .language_version:
      - 2
      - 0
    .max_flat_workgroup_size: 256
    .name:           _ZN7rocprim17ROCPRIM_400000_NS6detail17trampoline_kernelINS0_14default_configENS1_20scan_config_selectorIxEEZZNS1_9scan_implILNS1_25lookback_scan_determinismE0ELb0ELb0ES3_N6thrust23THRUST_200600_302600_NS6detail15normal_iteratorINS9_10device_ptrIxEEEENS9_16discard_iteratorINS9_11use_defaultEEEx11max_functorIxExEEDaPvRmT3_T4_T5_mT6_P12ihipStream_tbENKUlT_T0_E_clISt17integral_constantIbLb1EESW_IbLb0EEEEDaSS_ST_EUlSS_E0_NS1_11comp_targetILNS1_3genE9ELNS1_11target_archE1100ELNS1_3gpuE3ELNS1_3repE0EEENS1_30default_config_static_selectorELNS0_4arch9wavefront6targetE1EEEvT1_
    .private_segment_fixed_size: 0
    .sgpr_count:     4
    .sgpr_spill_count: 0
    .symbol:         _ZN7rocprim17ROCPRIM_400000_NS6detail17trampoline_kernelINS0_14default_configENS1_20scan_config_selectorIxEEZZNS1_9scan_implILNS1_25lookback_scan_determinismE0ELb0ELb0ES3_N6thrust23THRUST_200600_302600_NS6detail15normal_iteratorINS9_10device_ptrIxEEEENS9_16discard_iteratorINS9_11use_defaultEEEx11max_functorIxExEEDaPvRmT3_T4_T5_mT6_P12ihipStream_tbENKUlT_T0_E_clISt17integral_constantIbLb1EESW_IbLb0EEEEDaSS_ST_EUlSS_E0_NS1_11comp_targetILNS1_3genE9ELNS1_11target_archE1100ELNS1_3gpuE3ELNS1_3repE0EEENS1_30default_config_static_selectorELNS0_4arch9wavefront6targetE1EEEvT1_.kd
    .uniform_work_group_size: 1
    .uses_dynamic_stack: false
    .vgpr_count:     0
    .vgpr_spill_count: 0
    .wavefront_size: 64
  - .agpr_count:     0
    .args:
      - .offset:         0
        .size:           48
        .value_kind:     by_value
    .group_segment_fixed_size: 0
    .kernarg_segment_align: 8
    .kernarg_segment_size: 48
    .language:       OpenCL C
    .language_version:
      - 2
      - 0
    .max_flat_workgroup_size: 256
    .name:           _ZN7rocprim17ROCPRIM_400000_NS6detail17trampoline_kernelINS0_14default_configENS1_20scan_config_selectorIxEEZZNS1_9scan_implILNS1_25lookback_scan_determinismE0ELb0ELb0ES3_N6thrust23THRUST_200600_302600_NS6detail15normal_iteratorINS9_10device_ptrIxEEEENS9_16discard_iteratorINS9_11use_defaultEEEx11max_functorIxExEEDaPvRmT3_T4_T5_mT6_P12ihipStream_tbENKUlT_T0_E_clISt17integral_constantIbLb1EESW_IbLb0EEEEDaSS_ST_EUlSS_E0_NS1_11comp_targetILNS1_3genE8ELNS1_11target_archE1030ELNS1_3gpuE2ELNS1_3repE0EEENS1_30default_config_static_selectorELNS0_4arch9wavefront6targetE1EEEvT1_
    .private_segment_fixed_size: 0
    .sgpr_count:     4
    .sgpr_spill_count: 0
    .symbol:         _ZN7rocprim17ROCPRIM_400000_NS6detail17trampoline_kernelINS0_14default_configENS1_20scan_config_selectorIxEEZZNS1_9scan_implILNS1_25lookback_scan_determinismE0ELb0ELb0ES3_N6thrust23THRUST_200600_302600_NS6detail15normal_iteratorINS9_10device_ptrIxEEEENS9_16discard_iteratorINS9_11use_defaultEEEx11max_functorIxExEEDaPvRmT3_T4_T5_mT6_P12ihipStream_tbENKUlT_T0_E_clISt17integral_constantIbLb1EESW_IbLb0EEEEDaSS_ST_EUlSS_E0_NS1_11comp_targetILNS1_3genE8ELNS1_11target_archE1030ELNS1_3gpuE2ELNS1_3repE0EEENS1_30default_config_static_selectorELNS0_4arch9wavefront6targetE1EEEvT1_.kd
    .uniform_work_group_size: 1
    .uses_dynamic_stack: false
    .vgpr_count:     0
    .vgpr_spill_count: 0
    .wavefront_size: 64
  - .agpr_count:     0
    .args:
      - .offset:         0
        .size:           112
        .value_kind:     by_value
    .group_segment_fixed_size: 0
    .kernarg_segment_align: 8
    .kernarg_segment_size: 112
    .language:       OpenCL C
    .language_version:
      - 2
      - 0
    .max_flat_workgroup_size: 256
    .name:           _ZN7rocprim17ROCPRIM_400000_NS6detail17trampoline_kernelINS0_14default_configENS1_20scan_config_selectorIxEEZZNS1_9scan_implILNS1_25lookback_scan_determinismE0ELb0ELb0ES3_N6thrust23THRUST_200600_302600_NS6detail15normal_iteratorINS9_10device_ptrIxEEEENS9_16discard_iteratorINS9_11use_defaultEEEx11max_functorIxExEEDaPvRmT3_T4_T5_mT6_P12ihipStream_tbENKUlT_T0_E_clISt17integral_constantIbLb0EESW_IbLb1EEEEDaSS_ST_EUlSS_E_NS1_11comp_targetILNS1_3genE0ELNS1_11target_archE4294967295ELNS1_3gpuE0ELNS1_3repE0EEENS1_30default_config_static_selectorELNS0_4arch9wavefront6targetE1EEEvT1_
    .private_segment_fixed_size: 0
    .sgpr_count:     4
    .sgpr_spill_count: 0
    .symbol:         _ZN7rocprim17ROCPRIM_400000_NS6detail17trampoline_kernelINS0_14default_configENS1_20scan_config_selectorIxEEZZNS1_9scan_implILNS1_25lookback_scan_determinismE0ELb0ELb0ES3_N6thrust23THRUST_200600_302600_NS6detail15normal_iteratorINS9_10device_ptrIxEEEENS9_16discard_iteratorINS9_11use_defaultEEEx11max_functorIxExEEDaPvRmT3_T4_T5_mT6_P12ihipStream_tbENKUlT_T0_E_clISt17integral_constantIbLb0EESW_IbLb1EEEEDaSS_ST_EUlSS_E_NS1_11comp_targetILNS1_3genE0ELNS1_11target_archE4294967295ELNS1_3gpuE0ELNS1_3repE0EEENS1_30default_config_static_selectorELNS0_4arch9wavefront6targetE1EEEvT1_.kd
    .uniform_work_group_size: 1
    .uses_dynamic_stack: false
    .vgpr_count:     0
    .vgpr_spill_count: 0
    .wavefront_size: 64
  - .agpr_count:     0
    .args:
      - .offset:         0
        .size:           112
        .value_kind:     by_value
    .group_segment_fixed_size: 0
    .kernarg_segment_align: 8
    .kernarg_segment_size: 112
    .language:       OpenCL C
    .language_version:
      - 2
      - 0
    .max_flat_workgroup_size: 256
    .name:           _ZN7rocprim17ROCPRIM_400000_NS6detail17trampoline_kernelINS0_14default_configENS1_20scan_config_selectorIxEEZZNS1_9scan_implILNS1_25lookback_scan_determinismE0ELb0ELb0ES3_N6thrust23THRUST_200600_302600_NS6detail15normal_iteratorINS9_10device_ptrIxEEEENS9_16discard_iteratorINS9_11use_defaultEEEx11max_functorIxExEEDaPvRmT3_T4_T5_mT6_P12ihipStream_tbENKUlT_T0_E_clISt17integral_constantIbLb0EESW_IbLb1EEEEDaSS_ST_EUlSS_E_NS1_11comp_targetILNS1_3genE5ELNS1_11target_archE942ELNS1_3gpuE9ELNS1_3repE0EEENS1_30default_config_static_selectorELNS0_4arch9wavefront6targetE1EEEvT1_
    .private_segment_fixed_size: 0
    .sgpr_count:     4
    .sgpr_spill_count: 0
    .symbol:         _ZN7rocprim17ROCPRIM_400000_NS6detail17trampoline_kernelINS0_14default_configENS1_20scan_config_selectorIxEEZZNS1_9scan_implILNS1_25lookback_scan_determinismE0ELb0ELb0ES3_N6thrust23THRUST_200600_302600_NS6detail15normal_iteratorINS9_10device_ptrIxEEEENS9_16discard_iteratorINS9_11use_defaultEEEx11max_functorIxExEEDaPvRmT3_T4_T5_mT6_P12ihipStream_tbENKUlT_T0_E_clISt17integral_constantIbLb0EESW_IbLb1EEEEDaSS_ST_EUlSS_E_NS1_11comp_targetILNS1_3genE5ELNS1_11target_archE942ELNS1_3gpuE9ELNS1_3repE0EEENS1_30default_config_static_selectorELNS0_4arch9wavefront6targetE1EEEvT1_.kd
    .uniform_work_group_size: 1
    .uses_dynamic_stack: false
    .vgpr_count:     0
    .vgpr_spill_count: 0
    .wavefront_size: 64
  - .agpr_count:     0
    .args:
      - .offset:         0
        .size:           112
        .value_kind:     by_value
    .group_segment_fixed_size: 7168
    .kernarg_segment_align: 8
    .kernarg_segment_size: 112
    .language:       OpenCL C
    .language_version:
      - 2
      - 0
    .max_flat_workgroup_size: 128
    .name:           _ZN7rocprim17ROCPRIM_400000_NS6detail17trampoline_kernelINS0_14default_configENS1_20scan_config_selectorIxEEZZNS1_9scan_implILNS1_25lookback_scan_determinismE0ELb0ELb0ES3_N6thrust23THRUST_200600_302600_NS6detail15normal_iteratorINS9_10device_ptrIxEEEENS9_16discard_iteratorINS9_11use_defaultEEEx11max_functorIxExEEDaPvRmT3_T4_T5_mT6_P12ihipStream_tbENKUlT_T0_E_clISt17integral_constantIbLb0EESW_IbLb1EEEEDaSS_ST_EUlSS_E_NS1_11comp_targetILNS1_3genE4ELNS1_11target_archE910ELNS1_3gpuE8ELNS1_3repE0EEENS1_30default_config_static_selectorELNS0_4arch9wavefront6targetE1EEEvT1_
    .private_segment_fixed_size: 0
    .sgpr_count:     35
    .sgpr_spill_count: 0
    .symbol:         _ZN7rocprim17ROCPRIM_400000_NS6detail17trampoline_kernelINS0_14default_configENS1_20scan_config_selectorIxEEZZNS1_9scan_implILNS1_25lookback_scan_determinismE0ELb0ELb0ES3_N6thrust23THRUST_200600_302600_NS6detail15normal_iteratorINS9_10device_ptrIxEEEENS9_16discard_iteratorINS9_11use_defaultEEEx11max_functorIxExEEDaPvRmT3_T4_T5_mT6_P12ihipStream_tbENKUlT_T0_E_clISt17integral_constantIbLb0EESW_IbLb1EEEEDaSS_ST_EUlSS_E_NS1_11comp_targetILNS1_3genE4ELNS1_11target_archE910ELNS1_3gpuE8ELNS1_3repE0EEENS1_30default_config_static_selectorELNS0_4arch9wavefront6targetE1EEEvT1_.kd
    .uniform_work_group_size: 1
    .uses_dynamic_stack: false
    .vgpr_count:     57
    .vgpr_spill_count: 0
    .wavefront_size: 64
  - .agpr_count:     0
    .args:
      - .offset:         0
        .size:           112
        .value_kind:     by_value
    .group_segment_fixed_size: 0
    .kernarg_segment_align: 8
    .kernarg_segment_size: 112
    .language:       OpenCL C
    .language_version:
      - 2
      - 0
    .max_flat_workgroup_size: 256
    .name:           _ZN7rocprim17ROCPRIM_400000_NS6detail17trampoline_kernelINS0_14default_configENS1_20scan_config_selectorIxEEZZNS1_9scan_implILNS1_25lookback_scan_determinismE0ELb0ELb0ES3_N6thrust23THRUST_200600_302600_NS6detail15normal_iteratorINS9_10device_ptrIxEEEENS9_16discard_iteratorINS9_11use_defaultEEEx11max_functorIxExEEDaPvRmT3_T4_T5_mT6_P12ihipStream_tbENKUlT_T0_E_clISt17integral_constantIbLb0EESW_IbLb1EEEEDaSS_ST_EUlSS_E_NS1_11comp_targetILNS1_3genE3ELNS1_11target_archE908ELNS1_3gpuE7ELNS1_3repE0EEENS1_30default_config_static_selectorELNS0_4arch9wavefront6targetE1EEEvT1_
    .private_segment_fixed_size: 0
    .sgpr_count:     4
    .sgpr_spill_count: 0
    .symbol:         _ZN7rocprim17ROCPRIM_400000_NS6detail17trampoline_kernelINS0_14default_configENS1_20scan_config_selectorIxEEZZNS1_9scan_implILNS1_25lookback_scan_determinismE0ELb0ELb0ES3_N6thrust23THRUST_200600_302600_NS6detail15normal_iteratorINS9_10device_ptrIxEEEENS9_16discard_iteratorINS9_11use_defaultEEEx11max_functorIxExEEDaPvRmT3_T4_T5_mT6_P12ihipStream_tbENKUlT_T0_E_clISt17integral_constantIbLb0EESW_IbLb1EEEEDaSS_ST_EUlSS_E_NS1_11comp_targetILNS1_3genE3ELNS1_11target_archE908ELNS1_3gpuE7ELNS1_3repE0EEENS1_30default_config_static_selectorELNS0_4arch9wavefront6targetE1EEEvT1_.kd
    .uniform_work_group_size: 1
    .uses_dynamic_stack: false
    .vgpr_count:     0
    .vgpr_spill_count: 0
    .wavefront_size: 64
  - .agpr_count:     0
    .args:
      - .offset:         0
        .size:           112
        .value_kind:     by_value
    .group_segment_fixed_size: 0
    .kernarg_segment_align: 8
    .kernarg_segment_size: 112
    .language:       OpenCL C
    .language_version:
      - 2
      - 0
    .max_flat_workgroup_size: 64
    .name:           _ZN7rocprim17ROCPRIM_400000_NS6detail17trampoline_kernelINS0_14default_configENS1_20scan_config_selectorIxEEZZNS1_9scan_implILNS1_25lookback_scan_determinismE0ELb0ELb0ES3_N6thrust23THRUST_200600_302600_NS6detail15normal_iteratorINS9_10device_ptrIxEEEENS9_16discard_iteratorINS9_11use_defaultEEEx11max_functorIxExEEDaPvRmT3_T4_T5_mT6_P12ihipStream_tbENKUlT_T0_E_clISt17integral_constantIbLb0EESW_IbLb1EEEEDaSS_ST_EUlSS_E_NS1_11comp_targetILNS1_3genE2ELNS1_11target_archE906ELNS1_3gpuE6ELNS1_3repE0EEENS1_30default_config_static_selectorELNS0_4arch9wavefront6targetE1EEEvT1_
    .private_segment_fixed_size: 0
    .sgpr_count:     4
    .sgpr_spill_count: 0
    .symbol:         _ZN7rocprim17ROCPRIM_400000_NS6detail17trampoline_kernelINS0_14default_configENS1_20scan_config_selectorIxEEZZNS1_9scan_implILNS1_25lookback_scan_determinismE0ELb0ELb0ES3_N6thrust23THRUST_200600_302600_NS6detail15normal_iteratorINS9_10device_ptrIxEEEENS9_16discard_iteratorINS9_11use_defaultEEEx11max_functorIxExEEDaPvRmT3_T4_T5_mT6_P12ihipStream_tbENKUlT_T0_E_clISt17integral_constantIbLb0EESW_IbLb1EEEEDaSS_ST_EUlSS_E_NS1_11comp_targetILNS1_3genE2ELNS1_11target_archE906ELNS1_3gpuE6ELNS1_3repE0EEENS1_30default_config_static_selectorELNS0_4arch9wavefront6targetE1EEEvT1_.kd
    .uniform_work_group_size: 1
    .uses_dynamic_stack: false
    .vgpr_count:     0
    .vgpr_spill_count: 0
    .wavefront_size: 64
  - .agpr_count:     0
    .args:
      - .offset:         0
        .size:           112
        .value_kind:     by_value
    .group_segment_fixed_size: 0
    .kernarg_segment_align: 8
    .kernarg_segment_size: 112
    .language:       OpenCL C
    .language_version:
      - 2
      - 0
    .max_flat_workgroup_size: 256
    .name:           _ZN7rocprim17ROCPRIM_400000_NS6detail17trampoline_kernelINS0_14default_configENS1_20scan_config_selectorIxEEZZNS1_9scan_implILNS1_25lookback_scan_determinismE0ELb0ELb0ES3_N6thrust23THRUST_200600_302600_NS6detail15normal_iteratorINS9_10device_ptrIxEEEENS9_16discard_iteratorINS9_11use_defaultEEEx11max_functorIxExEEDaPvRmT3_T4_T5_mT6_P12ihipStream_tbENKUlT_T0_E_clISt17integral_constantIbLb0EESW_IbLb1EEEEDaSS_ST_EUlSS_E_NS1_11comp_targetILNS1_3genE10ELNS1_11target_archE1201ELNS1_3gpuE5ELNS1_3repE0EEENS1_30default_config_static_selectorELNS0_4arch9wavefront6targetE1EEEvT1_
    .private_segment_fixed_size: 0
    .sgpr_count:     4
    .sgpr_spill_count: 0
    .symbol:         _ZN7rocprim17ROCPRIM_400000_NS6detail17trampoline_kernelINS0_14default_configENS1_20scan_config_selectorIxEEZZNS1_9scan_implILNS1_25lookback_scan_determinismE0ELb0ELb0ES3_N6thrust23THRUST_200600_302600_NS6detail15normal_iteratorINS9_10device_ptrIxEEEENS9_16discard_iteratorINS9_11use_defaultEEEx11max_functorIxExEEDaPvRmT3_T4_T5_mT6_P12ihipStream_tbENKUlT_T0_E_clISt17integral_constantIbLb0EESW_IbLb1EEEEDaSS_ST_EUlSS_E_NS1_11comp_targetILNS1_3genE10ELNS1_11target_archE1201ELNS1_3gpuE5ELNS1_3repE0EEENS1_30default_config_static_selectorELNS0_4arch9wavefront6targetE1EEEvT1_.kd
    .uniform_work_group_size: 1
    .uses_dynamic_stack: false
    .vgpr_count:     0
    .vgpr_spill_count: 0
    .wavefront_size: 64
  - .agpr_count:     0
    .args:
      - .offset:         0
        .size:           112
        .value_kind:     by_value
    .group_segment_fixed_size: 0
    .kernarg_segment_align: 8
    .kernarg_segment_size: 112
    .language:       OpenCL C
    .language_version:
      - 2
      - 0
    .max_flat_workgroup_size: 256
    .name:           _ZN7rocprim17ROCPRIM_400000_NS6detail17trampoline_kernelINS0_14default_configENS1_20scan_config_selectorIxEEZZNS1_9scan_implILNS1_25lookback_scan_determinismE0ELb0ELb0ES3_N6thrust23THRUST_200600_302600_NS6detail15normal_iteratorINS9_10device_ptrIxEEEENS9_16discard_iteratorINS9_11use_defaultEEEx11max_functorIxExEEDaPvRmT3_T4_T5_mT6_P12ihipStream_tbENKUlT_T0_E_clISt17integral_constantIbLb0EESW_IbLb1EEEEDaSS_ST_EUlSS_E_NS1_11comp_targetILNS1_3genE10ELNS1_11target_archE1200ELNS1_3gpuE4ELNS1_3repE0EEENS1_30default_config_static_selectorELNS0_4arch9wavefront6targetE1EEEvT1_
    .private_segment_fixed_size: 0
    .sgpr_count:     4
    .sgpr_spill_count: 0
    .symbol:         _ZN7rocprim17ROCPRIM_400000_NS6detail17trampoline_kernelINS0_14default_configENS1_20scan_config_selectorIxEEZZNS1_9scan_implILNS1_25lookback_scan_determinismE0ELb0ELb0ES3_N6thrust23THRUST_200600_302600_NS6detail15normal_iteratorINS9_10device_ptrIxEEEENS9_16discard_iteratorINS9_11use_defaultEEEx11max_functorIxExEEDaPvRmT3_T4_T5_mT6_P12ihipStream_tbENKUlT_T0_E_clISt17integral_constantIbLb0EESW_IbLb1EEEEDaSS_ST_EUlSS_E_NS1_11comp_targetILNS1_3genE10ELNS1_11target_archE1200ELNS1_3gpuE4ELNS1_3repE0EEENS1_30default_config_static_selectorELNS0_4arch9wavefront6targetE1EEEvT1_.kd
    .uniform_work_group_size: 1
    .uses_dynamic_stack: false
    .vgpr_count:     0
    .vgpr_spill_count: 0
    .wavefront_size: 64
  - .agpr_count:     0
    .args:
      - .offset:         0
        .size:           112
        .value_kind:     by_value
    .group_segment_fixed_size: 0
    .kernarg_segment_align: 8
    .kernarg_segment_size: 112
    .language:       OpenCL C
    .language_version:
      - 2
      - 0
    .max_flat_workgroup_size: 256
    .name:           _ZN7rocprim17ROCPRIM_400000_NS6detail17trampoline_kernelINS0_14default_configENS1_20scan_config_selectorIxEEZZNS1_9scan_implILNS1_25lookback_scan_determinismE0ELb0ELb0ES3_N6thrust23THRUST_200600_302600_NS6detail15normal_iteratorINS9_10device_ptrIxEEEENS9_16discard_iteratorINS9_11use_defaultEEEx11max_functorIxExEEDaPvRmT3_T4_T5_mT6_P12ihipStream_tbENKUlT_T0_E_clISt17integral_constantIbLb0EESW_IbLb1EEEEDaSS_ST_EUlSS_E_NS1_11comp_targetILNS1_3genE9ELNS1_11target_archE1100ELNS1_3gpuE3ELNS1_3repE0EEENS1_30default_config_static_selectorELNS0_4arch9wavefront6targetE1EEEvT1_
    .private_segment_fixed_size: 0
    .sgpr_count:     4
    .sgpr_spill_count: 0
    .symbol:         _ZN7rocprim17ROCPRIM_400000_NS6detail17trampoline_kernelINS0_14default_configENS1_20scan_config_selectorIxEEZZNS1_9scan_implILNS1_25lookback_scan_determinismE0ELb0ELb0ES3_N6thrust23THRUST_200600_302600_NS6detail15normal_iteratorINS9_10device_ptrIxEEEENS9_16discard_iteratorINS9_11use_defaultEEEx11max_functorIxExEEDaPvRmT3_T4_T5_mT6_P12ihipStream_tbENKUlT_T0_E_clISt17integral_constantIbLb0EESW_IbLb1EEEEDaSS_ST_EUlSS_E_NS1_11comp_targetILNS1_3genE9ELNS1_11target_archE1100ELNS1_3gpuE3ELNS1_3repE0EEENS1_30default_config_static_selectorELNS0_4arch9wavefront6targetE1EEEvT1_.kd
    .uniform_work_group_size: 1
    .uses_dynamic_stack: false
    .vgpr_count:     0
    .vgpr_spill_count: 0
    .wavefront_size: 64
  - .agpr_count:     0
    .args:
      - .offset:         0
        .size:           112
        .value_kind:     by_value
    .group_segment_fixed_size: 0
    .kernarg_segment_align: 8
    .kernarg_segment_size: 112
    .language:       OpenCL C
    .language_version:
      - 2
      - 0
    .max_flat_workgroup_size: 256
    .name:           _ZN7rocprim17ROCPRIM_400000_NS6detail17trampoline_kernelINS0_14default_configENS1_20scan_config_selectorIxEEZZNS1_9scan_implILNS1_25lookback_scan_determinismE0ELb0ELb0ES3_N6thrust23THRUST_200600_302600_NS6detail15normal_iteratorINS9_10device_ptrIxEEEENS9_16discard_iteratorINS9_11use_defaultEEEx11max_functorIxExEEDaPvRmT3_T4_T5_mT6_P12ihipStream_tbENKUlT_T0_E_clISt17integral_constantIbLb0EESW_IbLb1EEEEDaSS_ST_EUlSS_E_NS1_11comp_targetILNS1_3genE8ELNS1_11target_archE1030ELNS1_3gpuE2ELNS1_3repE0EEENS1_30default_config_static_selectorELNS0_4arch9wavefront6targetE1EEEvT1_
    .private_segment_fixed_size: 0
    .sgpr_count:     4
    .sgpr_spill_count: 0
    .symbol:         _ZN7rocprim17ROCPRIM_400000_NS6detail17trampoline_kernelINS0_14default_configENS1_20scan_config_selectorIxEEZZNS1_9scan_implILNS1_25lookback_scan_determinismE0ELb0ELb0ES3_N6thrust23THRUST_200600_302600_NS6detail15normal_iteratorINS9_10device_ptrIxEEEENS9_16discard_iteratorINS9_11use_defaultEEEx11max_functorIxExEEDaPvRmT3_T4_T5_mT6_P12ihipStream_tbENKUlT_T0_E_clISt17integral_constantIbLb0EESW_IbLb1EEEEDaSS_ST_EUlSS_E_NS1_11comp_targetILNS1_3genE8ELNS1_11target_archE1030ELNS1_3gpuE2ELNS1_3repE0EEENS1_30default_config_static_selectorELNS0_4arch9wavefront6targetE1EEEvT1_.kd
    .uniform_work_group_size: 1
    .uses_dynamic_stack: false
    .vgpr_count:     0
    .vgpr_spill_count: 0
    .wavefront_size: 64
  - .agpr_count:     0
    .args:
      - .offset:         0
        .size:           48
        .value_kind:     by_value
    .group_segment_fixed_size: 0
    .kernarg_segment_align: 8
    .kernarg_segment_size: 48
    .language:       OpenCL C
    .language_version:
      - 2
      - 0
    .max_flat_workgroup_size: 256
    .name:           _ZN7rocprim17ROCPRIM_400000_NS6detail17trampoline_kernelINS0_14default_configENS1_20scan_config_selectorIxEEZZNS1_9scan_implILNS1_25lookback_scan_determinismE0ELb0ELb0ES3_N6thrust23THRUST_200600_302600_NS6detail15normal_iteratorINS9_10device_ptrIxEEEENS9_16discard_iteratorINS9_11use_defaultEEEx11max_functorIxExEEDaPvRmT3_T4_T5_mT6_P12ihipStream_tbENKUlT_T0_E_clISt17integral_constantIbLb0EESW_IbLb1EEEEDaSS_ST_EUlSS_E0_NS1_11comp_targetILNS1_3genE0ELNS1_11target_archE4294967295ELNS1_3gpuE0ELNS1_3repE0EEENS1_30default_config_static_selectorELNS0_4arch9wavefront6targetE1EEEvT1_
    .private_segment_fixed_size: 0
    .sgpr_count:     4
    .sgpr_spill_count: 0
    .symbol:         _ZN7rocprim17ROCPRIM_400000_NS6detail17trampoline_kernelINS0_14default_configENS1_20scan_config_selectorIxEEZZNS1_9scan_implILNS1_25lookback_scan_determinismE0ELb0ELb0ES3_N6thrust23THRUST_200600_302600_NS6detail15normal_iteratorINS9_10device_ptrIxEEEENS9_16discard_iteratorINS9_11use_defaultEEEx11max_functorIxExEEDaPvRmT3_T4_T5_mT6_P12ihipStream_tbENKUlT_T0_E_clISt17integral_constantIbLb0EESW_IbLb1EEEEDaSS_ST_EUlSS_E0_NS1_11comp_targetILNS1_3genE0ELNS1_11target_archE4294967295ELNS1_3gpuE0ELNS1_3repE0EEENS1_30default_config_static_selectorELNS0_4arch9wavefront6targetE1EEEvT1_.kd
    .uniform_work_group_size: 1
    .uses_dynamic_stack: false
    .vgpr_count:     0
    .vgpr_spill_count: 0
    .wavefront_size: 64
  - .agpr_count:     0
    .args:
      - .offset:         0
        .size:           48
        .value_kind:     by_value
    .group_segment_fixed_size: 0
    .kernarg_segment_align: 8
    .kernarg_segment_size: 48
    .language:       OpenCL C
    .language_version:
      - 2
      - 0
    .max_flat_workgroup_size: 256
    .name:           _ZN7rocprim17ROCPRIM_400000_NS6detail17trampoline_kernelINS0_14default_configENS1_20scan_config_selectorIxEEZZNS1_9scan_implILNS1_25lookback_scan_determinismE0ELb0ELb0ES3_N6thrust23THRUST_200600_302600_NS6detail15normal_iteratorINS9_10device_ptrIxEEEENS9_16discard_iteratorINS9_11use_defaultEEEx11max_functorIxExEEDaPvRmT3_T4_T5_mT6_P12ihipStream_tbENKUlT_T0_E_clISt17integral_constantIbLb0EESW_IbLb1EEEEDaSS_ST_EUlSS_E0_NS1_11comp_targetILNS1_3genE5ELNS1_11target_archE942ELNS1_3gpuE9ELNS1_3repE0EEENS1_30default_config_static_selectorELNS0_4arch9wavefront6targetE1EEEvT1_
    .private_segment_fixed_size: 0
    .sgpr_count:     4
    .sgpr_spill_count: 0
    .symbol:         _ZN7rocprim17ROCPRIM_400000_NS6detail17trampoline_kernelINS0_14default_configENS1_20scan_config_selectorIxEEZZNS1_9scan_implILNS1_25lookback_scan_determinismE0ELb0ELb0ES3_N6thrust23THRUST_200600_302600_NS6detail15normal_iteratorINS9_10device_ptrIxEEEENS9_16discard_iteratorINS9_11use_defaultEEEx11max_functorIxExEEDaPvRmT3_T4_T5_mT6_P12ihipStream_tbENKUlT_T0_E_clISt17integral_constantIbLb0EESW_IbLb1EEEEDaSS_ST_EUlSS_E0_NS1_11comp_targetILNS1_3genE5ELNS1_11target_archE942ELNS1_3gpuE9ELNS1_3repE0EEENS1_30default_config_static_selectorELNS0_4arch9wavefront6targetE1EEEvT1_.kd
    .uniform_work_group_size: 1
    .uses_dynamic_stack: false
    .vgpr_count:     0
    .vgpr_spill_count: 0
    .wavefront_size: 64
  - .agpr_count:     0
    .args:
      - .offset:         0
        .size:           48
        .value_kind:     by_value
    .group_segment_fixed_size: 7168
    .kernarg_segment_align: 8
    .kernarg_segment_size: 48
    .language:       OpenCL C
    .language_version:
      - 2
      - 0
    .max_flat_workgroup_size: 128
    .name:           _ZN7rocprim17ROCPRIM_400000_NS6detail17trampoline_kernelINS0_14default_configENS1_20scan_config_selectorIxEEZZNS1_9scan_implILNS1_25lookback_scan_determinismE0ELb0ELb0ES3_N6thrust23THRUST_200600_302600_NS6detail15normal_iteratorINS9_10device_ptrIxEEEENS9_16discard_iteratorINS9_11use_defaultEEEx11max_functorIxExEEDaPvRmT3_T4_T5_mT6_P12ihipStream_tbENKUlT_T0_E_clISt17integral_constantIbLb0EESW_IbLb1EEEEDaSS_ST_EUlSS_E0_NS1_11comp_targetILNS1_3genE4ELNS1_11target_archE910ELNS1_3gpuE8ELNS1_3repE0EEENS1_30default_config_static_selectorELNS0_4arch9wavefront6targetE1EEEvT1_
    .private_segment_fixed_size: 0
    .sgpr_count:     12
    .sgpr_spill_count: 0
    .symbol:         _ZN7rocprim17ROCPRIM_400000_NS6detail17trampoline_kernelINS0_14default_configENS1_20scan_config_selectorIxEEZZNS1_9scan_implILNS1_25lookback_scan_determinismE0ELb0ELb0ES3_N6thrust23THRUST_200600_302600_NS6detail15normal_iteratorINS9_10device_ptrIxEEEENS9_16discard_iteratorINS9_11use_defaultEEEx11max_functorIxExEEDaPvRmT3_T4_T5_mT6_P12ihipStream_tbENKUlT_T0_E_clISt17integral_constantIbLb0EESW_IbLb1EEEEDaSS_ST_EUlSS_E0_NS1_11comp_targetILNS1_3genE4ELNS1_11target_archE910ELNS1_3gpuE8ELNS1_3repE0EEENS1_30default_config_static_selectorELNS0_4arch9wavefront6targetE1EEEvT1_.kd
    .uniform_work_group_size: 1
    .uses_dynamic_stack: false
    .vgpr_count:     41
    .vgpr_spill_count: 0
    .wavefront_size: 64
  - .agpr_count:     0
    .args:
      - .offset:         0
        .size:           48
        .value_kind:     by_value
    .group_segment_fixed_size: 0
    .kernarg_segment_align: 8
    .kernarg_segment_size: 48
    .language:       OpenCL C
    .language_version:
      - 2
      - 0
    .max_flat_workgroup_size: 256
    .name:           _ZN7rocprim17ROCPRIM_400000_NS6detail17trampoline_kernelINS0_14default_configENS1_20scan_config_selectorIxEEZZNS1_9scan_implILNS1_25lookback_scan_determinismE0ELb0ELb0ES3_N6thrust23THRUST_200600_302600_NS6detail15normal_iteratorINS9_10device_ptrIxEEEENS9_16discard_iteratorINS9_11use_defaultEEEx11max_functorIxExEEDaPvRmT3_T4_T5_mT6_P12ihipStream_tbENKUlT_T0_E_clISt17integral_constantIbLb0EESW_IbLb1EEEEDaSS_ST_EUlSS_E0_NS1_11comp_targetILNS1_3genE3ELNS1_11target_archE908ELNS1_3gpuE7ELNS1_3repE0EEENS1_30default_config_static_selectorELNS0_4arch9wavefront6targetE1EEEvT1_
    .private_segment_fixed_size: 0
    .sgpr_count:     4
    .sgpr_spill_count: 0
    .symbol:         _ZN7rocprim17ROCPRIM_400000_NS6detail17trampoline_kernelINS0_14default_configENS1_20scan_config_selectorIxEEZZNS1_9scan_implILNS1_25lookback_scan_determinismE0ELb0ELb0ES3_N6thrust23THRUST_200600_302600_NS6detail15normal_iteratorINS9_10device_ptrIxEEEENS9_16discard_iteratorINS9_11use_defaultEEEx11max_functorIxExEEDaPvRmT3_T4_T5_mT6_P12ihipStream_tbENKUlT_T0_E_clISt17integral_constantIbLb0EESW_IbLb1EEEEDaSS_ST_EUlSS_E0_NS1_11comp_targetILNS1_3genE3ELNS1_11target_archE908ELNS1_3gpuE7ELNS1_3repE0EEENS1_30default_config_static_selectorELNS0_4arch9wavefront6targetE1EEEvT1_.kd
    .uniform_work_group_size: 1
    .uses_dynamic_stack: false
    .vgpr_count:     0
    .vgpr_spill_count: 0
    .wavefront_size: 64
  - .agpr_count:     0
    .args:
      - .offset:         0
        .size:           48
        .value_kind:     by_value
    .group_segment_fixed_size: 0
    .kernarg_segment_align: 8
    .kernarg_segment_size: 48
    .language:       OpenCL C
    .language_version:
      - 2
      - 0
    .max_flat_workgroup_size: 64
    .name:           _ZN7rocprim17ROCPRIM_400000_NS6detail17trampoline_kernelINS0_14default_configENS1_20scan_config_selectorIxEEZZNS1_9scan_implILNS1_25lookback_scan_determinismE0ELb0ELb0ES3_N6thrust23THRUST_200600_302600_NS6detail15normal_iteratorINS9_10device_ptrIxEEEENS9_16discard_iteratorINS9_11use_defaultEEEx11max_functorIxExEEDaPvRmT3_T4_T5_mT6_P12ihipStream_tbENKUlT_T0_E_clISt17integral_constantIbLb0EESW_IbLb1EEEEDaSS_ST_EUlSS_E0_NS1_11comp_targetILNS1_3genE2ELNS1_11target_archE906ELNS1_3gpuE6ELNS1_3repE0EEENS1_30default_config_static_selectorELNS0_4arch9wavefront6targetE1EEEvT1_
    .private_segment_fixed_size: 0
    .sgpr_count:     4
    .sgpr_spill_count: 0
    .symbol:         _ZN7rocprim17ROCPRIM_400000_NS6detail17trampoline_kernelINS0_14default_configENS1_20scan_config_selectorIxEEZZNS1_9scan_implILNS1_25lookback_scan_determinismE0ELb0ELb0ES3_N6thrust23THRUST_200600_302600_NS6detail15normal_iteratorINS9_10device_ptrIxEEEENS9_16discard_iteratorINS9_11use_defaultEEEx11max_functorIxExEEDaPvRmT3_T4_T5_mT6_P12ihipStream_tbENKUlT_T0_E_clISt17integral_constantIbLb0EESW_IbLb1EEEEDaSS_ST_EUlSS_E0_NS1_11comp_targetILNS1_3genE2ELNS1_11target_archE906ELNS1_3gpuE6ELNS1_3repE0EEENS1_30default_config_static_selectorELNS0_4arch9wavefront6targetE1EEEvT1_.kd
    .uniform_work_group_size: 1
    .uses_dynamic_stack: false
    .vgpr_count:     0
    .vgpr_spill_count: 0
    .wavefront_size: 64
  - .agpr_count:     0
    .args:
      - .offset:         0
        .size:           48
        .value_kind:     by_value
    .group_segment_fixed_size: 0
    .kernarg_segment_align: 8
    .kernarg_segment_size: 48
    .language:       OpenCL C
    .language_version:
      - 2
      - 0
    .max_flat_workgroup_size: 256
    .name:           _ZN7rocprim17ROCPRIM_400000_NS6detail17trampoline_kernelINS0_14default_configENS1_20scan_config_selectorIxEEZZNS1_9scan_implILNS1_25lookback_scan_determinismE0ELb0ELb0ES3_N6thrust23THRUST_200600_302600_NS6detail15normal_iteratorINS9_10device_ptrIxEEEENS9_16discard_iteratorINS9_11use_defaultEEEx11max_functorIxExEEDaPvRmT3_T4_T5_mT6_P12ihipStream_tbENKUlT_T0_E_clISt17integral_constantIbLb0EESW_IbLb1EEEEDaSS_ST_EUlSS_E0_NS1_11comp_targetILNS1_3genE10ELNS1_11target_archE1201ELNS1_3gpuE5ELNS1_3repE0EEENS1_30default_config_static_selectorELNS0_4arch9wavefront6targetE1EEEvT1_
    .private_segment_fixed_size: 0
    .sgpr_count:     4
    .sgpr_spill_count: 0
    .symbol:         _ZN7rocprim17ROCPRIM_400000_NS6detail17trampoline_kernelINS0_14default_configENS1_20scan_config_selectorIxEEZZNS1_9scan_implILNS1_25lookback_scan_determinismE0ELb0ELb0ES3_N6thrust23THRUST_200600_302600_NS6detail15normal_iteratorINS9_10device_ptrIxEEEENS9_16discard_iteratorINS9_11use_defaultEEEx11max_functorIxExEEDaPvRmT3_T4_T5_mT6_P12ihipStream_tbENKUlT_T0_E_clISt17integral_constantIbLb0EESW_IbLb1EEEEDaSS_ST_EUlSS_E0_NS1_11comp_targetILNS1_3genE10ELNS1_11target_archE1201ELNS1_3gpuE5ELNS1_3repE0EEENS1_30default_config_static_selectorELNS0_4arch9wavefront6targetE1EEEvT1_.kd
    .uniform_work_group_size: 1
    .uses_dynamic_stack: false
    .vgpr_count:     0
    .vgpr_spill_count: 0
    .wavefront_size: 64
  - .agpr_count:     0
    .args:
      - .offset:         0
        .size:           48
        .value_kind:     by_value
    .group_segment_fixed_size: 0
    .kernarg_segment_align: 8
    .kernarg_segment_size: 48
    .language:       OpenCL C
    .language_version:
      - 2
      - 0
    .max_flat_workgroup_size: 256
    .name:           _ZN7rocprim17ROCPRIM_400000_NS6detail17trampoline_kernelINS0_14default_configENS1_20scan_config_selectorIxEEZZNS1_9scan_implILNS1_25lookback_scan_determinismE0ELb0ELb0ES3_N6thrust23THRUST_200600_302600_NS6detail15normal_iteratorINS9_10device_ptrIxEEEENS9_16discard_iteratorINS9_11use_defaultEEEx11max_functorIxExEEDaPvRmT3_T4_T5_mT6_P12ihipStream_tbENKUlT_T0_E_clISt17integral_constantIbLb0EESW_IbLb1EEEEDaSS_ST_EUlSS_E0_NS1_11comp_targetILNS1_3genE10ELNS1_11target_archE1200ELNS1_3gpuE4ELNS1_3repE0EEENS1_30default_config_static_selectorELNS0_4arch9wavefront6targetE1EEEvT1_
    .private_segment_fixed_size: 0
    .sgpr_count:     4
    .sgpr_spill_count: 0
    .symbol:         _ZN7rocprim17ROCPRIM_400000_NS6detail17trampoline_kernelINS0_14default_configENS1_20scan_config_selectorIxEEZZNS1_9scan_implILNS1_25lookback_scan_determinismE0ELb0ELb0ES3_N6thrust23THRUST_200600_302600_NS6detail15normal_iteratorINS9_10device_ptrIxEEEENS9_16discard_iteratorINS9_11use_defaultEEEx11max_functorIxExEEDaPvRmT3_T4_T5_mT6_P12ihipStream_tbENKUlT_T0_E_clISt17integral_constantIbLb0EESW_IbLb1EEEEDaSS_ST_EUlSS_E0_NS1_11comp_targetILNS1_3genE10ELNS1_11target_archE1200ELNS1_3gpuE4ELNS1_3repE0EEENS1_30default_config_static_selectorELNS0_4arch9wavefront6targetE1EEEvT1_.kd
    .uniform_work_group_size: 1
    .uses_dynamic_stack: false
    .vgpr_count:     0
    .vgpr_spill_count: 0
    .wavefront_size: 64
  - .agpr_count:     0
    .args:
      - .offset:         0
        .size:           48
        .value_kind:     by_value
    .group_segment_fixed_size: 0
    .kernarg_segment_align: 8
    .kernarg_segment_size: 48
    .language:       OpenCL C
    .language_version:
      - 2
      - 0
    .max_flat_workgroup_size: 256
    .name:           _ZN7rocprim17ROCPRIM_400000_NS6detail17trampoline_kernelINS0_14default_configENS1_20scan_config_selectorIxEEZZNS1_9scan_implILNS1_25lookback_scan_determinismE0ELb0ELb0ES3_N6thrust23THRUST_200600_302600_NS6detail15normal_iteratorINS9_10device_ptrIxEEEENS9_16discard_iteratorINS9_11use_defaultEEEx11max_functorIxExEEDaPvRmT3_T4_T5_mT6_P12ihipStream_tbENKUlT_T0_E_clISt17integral_constantIbLb0EESW_IbLb1EEEEDaSS_ST_EUlSS_E0_NS1_11comp_targetILNS1_3genE9ELNS1_11target_archE1100ELNS1_3gpuE3ELNS1_3repE0EEENS1_30default_config_static_selectorELNS0_4arch9wavefront6targetE1EEEvT1_
    .private_segment_fixed_size: 0
    .sgpr_count:     4
    .sgpr_spill_count: 0
    .symbol:         _ZN7rocprim17ROCPRIM_400000_NS6detail17trampoline_kernelINS0_14default_configENS1_20scan_config_selectorIxEEZZNS1_9scan_implILNS1_25lookback_scan_determinismE0ELb0ELb0ES3_N6thrust23THRUST_200600_302600_NS6detail15normal_iteratorINS9_10device_ptrIxEEEENS9_16discard_iteratorINS9_11use_defaultEEEx11max_functorIxExEEDaPvRmT3_T4_T5_mT6_P12ihipStream_tbENKUlT_T0_E_clISt17integral_constantIbLb0EESW_IbLb1EEEEDaSS_ST_EUlSS_E0_NS1_11comp_targetILNS1_3genE9ELNS1_11target_archE1100ELNS1_3gpuE3ELNS1_3repE0EEENS1_30default_config_static_selectorELNS0_4arch9wavefront6targetE1EEEvT1_.kd
    .uniform_work_group_size: 1
    .uses_dynamic_stack: false
    .vgpr_count:     0
    .vgpr_spill_count: 0
    .wavefront_size: 64
  - .agpr_count:     0
    .args:
      - .offset:         0
        .size:           48
        .value_kind:     by_value
    .group_segment_fixed_size: 0
    .kernarg_segment_align: 8
    .kernarg_segment_size: 48
    .language:       OpenCL C
    .language_version:
      - 2
      - 0
    .max_flat_workgroup_size: 256
    .name:           _ZN7rocprim17ROCPRIM_400000_NS6detail17trampoline_kernelINS0_14default_configENS1_20scan_config_selectorIxEEZZNS1_9scan_implILNS1_25lookback_scan_determinismE0ELb0ELb0ES3_N6thrust23THRUST_200600_302600_NS6detail15normal_iteratorINS9_10device_ptrIxEEEENS9_16discard_iteratorINS9_11use_defaultEEEx11max_functorIxExEEDaPvRmT3_T4_T5_mT6_P12ihipStream_tbENKUlT_T0_E_clISt17integral_constantIbLb0EESW_IbLb1EEEEDaSS_ST_EUlSS_E0_NS1_11comp_targetILNS1_3genE8ELNS1_11target_archE1030ELNS1_3gpuE2ELNS1_3repE0EEENS1_30default_config_static_selectorELNS0_4arch9wavefront6targetE1EEEvT1_
    .private_segment_fixed_size: 0
    .sgpr_count:     4
    .sgpr_spill_count: 0
    .symbol:         _ZN7rocprim17ROCPRIM_400000_NS6detail17trampoline_kernelINS0_14default_configENS1_20scan_config_selectorIxEEZZNS1_9scan_implILNS1_25lookback_scan_determinismE0ELb0ELb0ES3_N6thrust23THRUST_200600_302600_NS6detail15normal_iteratorINS9_10device_ptrIxEEEENS9_16discard_iteratorINS9_11use_defaultEEEx11max_functorIxExEEDaPvRmT3_T4_T5_mT6_P12ihipStream_tbENKUlT_T0_E_clISt17integral_constantIbLb0EESW_IbLb1EEEEDaSS_ST_EUlSS_E0_NS1_11comp_targetILNS1_3genE8ELNS1_11target_archE1030ELNS1_3gpuE2ELNS1_3repE0EEENS1_30default_config_static_selectorELNS0_4arch9wavefront6targetE1EEEvT1_.kd
    .uniform_work_group_size: 1
    .uses_dynamic_stack: false
    .vgpr_count:     0
    .vgpr_spill_count: 0
    .wavefront_size: 64
  - .agpr_count:     0
    .args:
      - .offset:         0
        .size:           112
        .value_kind:     by_value
    .group_segment_fixed_size: 0
    .kernarg_segment_align: 8
    .kernarg_segment_size: 112
    .language:       OpenCL C
    .language_version:
      - 2
      - 0
    .max_flat_workgroup_size: 256
    .name:           _ZN7rocprim17ROCPRIM_400000_NS6detail17trampoline_kernelINS0_14default_configENS1_20scan_config_selectorIxEEZZNS1_9scan_implILNS1_25lookback_scan_determinismE0ELb1ELb1ES3_N6thrust23THRUST_200600_302600_NS6detail15normal_iteratorINS9_10device_ptrIxEEEENS9_16discard_iteratorINS9_11use_defaultEEEx11max_functorIxExEEDaPvRmT3_T4_T5_mT6_P12ihipStream_tbENKUlT_T0_E_clISt17integral_constantIbLb0EESX_EEDaSS_ST_EUlSS_E_NS1_11comp_targetILNS1_3genE0ELNS1_11target_archE4294967295ELNS1_3gpuE0ELNS1_3repE0EEENS1_30default_config_static_selectorELNS0_4arch9wavefront6targetE1EEEvT1_
    .private_segment_fixed_size: 0
    .sgpr_count:     4
    .sgpr_spill_count: 0
    .symbol:         _ZN7rocprim17ROCPRIM_400000_NS6detail17trampoline_kernelINS0_14default_configENS1_20scan_config_selectorIxEEZZNS1_9scan_implILNS1_25lookback_scan_determinismE0ELb1ELb1ES3_N6thrust23THRUST_200600_302600_NS6detail15normal_iteratorINS9_10device_ptrIxEEEENS9_16discard_iteratorINS9_11use_defaultEEEx11max_functorIxExEEDaPvRmT3_T4_T5_mT6_P12ihipStream_tbENKUlT_T0_E_clISt17integral_constantIbLb0EESX_EEDaSS_ST_EUlSS_E_NS1_11comp_targetILNS1_3genE0ELNS1_11target_archE4294967295ELNS1_3gpuE0ELNS1_3repE0EEENS1_30default_config_static_selectorELNS0_4arch9wavefront6targetE1EEEvT1_.kd
    .uniform_work_group_size: 1
    .uses_dynamic_stack: false
    .vgpr_count:     0
    .vgpr_spill_count: 0
    .wavefront_size: 64
  - .agpr_count:     0
    .args:
      - .offset:         0
        .size:           112
        .value_kind:     by_value
    .group_segment_fixed_size: 0
    .kernarg_segment_align: 8
    .kernarg_segment_size: 112
    .language:       OpenCL C
    .language_version:
      - 2
      - 0
    .max_flat_workgroup_size: 256
    .name:           _ZN7rocprim17ROCPRIM_400000_NS6detail17trampoline_kernelINS0_14default_configENS1_20scan_config_selectorIxEEZZNS1_9scan_implILNS1_25lookback_scan_determinismE0ELb1ELb1ES3_N6thrust23THRUST_200600_302600_NS6detail15normal_iteratorINS9_10device_ptrIxEEEENS9_16discard_iteratorINS9_11use_defaultEEEx11max_functorIxExEEDaPvRmT3_T4_T5_mT6_P12ihipStream_tbENKUlT_T0_E_clISt17integral_constantIbLb0EESX_EEDaSS_ST_EUlSS_E_NS1_11comp_targetILNS1_3genE5ELNS1_11target_archE942ELNS1_3gpuE9ELNS1_3repE0EEENS1_30default_config_static_selectorELNS0_4arch9wavefront6targetE1EEEvT1_
    .private_segment_fixed_size: 0
    .sgpr_count:     4
    .sgpr_spill_count: 0
    .symbol:         _ZN7rocprim17ROCPRIM_400000_NS6detail17trampoline_kernelINS0_14default_configENS1_20scan_config_selectorIxEEZZNS1_9scan_implILNS1_25lookback_scan_determinismE0ELb1ELb1ES3_N6thrust23THRUST_200600_302600_NS6detail15normal_iteratorINS9_10device_ptrIxEEEENS9_16discard_iteratorINS9_11use_defaultEEEx11max_functorIxExEEDaPvRmT3_T4_T5_mT6_P12ihipStream_tbENKUlT_T0_E_clISt17integral_constantIbLb0EESX_EEDaSS_ST_EUlSS_E_NS1_11comp_targetILNS1_3genE5ELNS1_11target_archE942ELNS1_3gpuE9ELNS1_3repE0EEENS1_30default_config_static_selectorELNS0_4arch9wavefront6targetE1EEEvT1_.kd
    .uniform_work_group_size: 1
    .uses_dynamic_stack: false
    .vgpr_count:     0
    .vgpr_spill_count: 0
    .wavefront_size: 64
  - .agpr_count:     0
    .args:
      - .offset:         0
        .size:           112
        .value_kind:     by_value
    .group_segment_fixed_size: 7168
    .kernarg_segment_align: 8
    .kernarg_segment_size: 112
    .language:       OpenCL C
    .language_version:
      - 2
      - 0
    .max_flat_workgroup_size: 128
    .name:           _ZN7rocprim17ROCPRIM_400000_NS6detail17trampoline_kernelINS0_14default_configENS1_20scan_config_selectorIxEEZZNS1_9scan_implILNS1_25lookback_scan_determinismE0ELb1ELb1ES3_N6thrust23THRUST_200600_302600_NS6detail15normal_iteratorINS9_10device_ptrIxEEEENS9_16discard_iteratorINS9_11use_defaultEEEx11max_functorIxExEEDaPvRmT3_T4_T5_mT6_P12ihipStream_tbENKUlT_T0_E_clISt17integral_constantIbLb0EESX_EEDaSS_ST_EUlSS_E_NS1_11comp_targetILNS1_3genE4ELNS1_11target_archE910ELNS1_3gpuE8ELNS1_3repE0EEENS1_30default_config_static_selectorELNS0_4arch9wavefront6targetE1EEEvT1_
    .private_segment_fixed_size: 0
    .sgpr_count:     32
    .sgpr_spill_count: 0
    .symbol:         _ZN7rocprim17ROCPRIM_400000_NS6detail17trampoline_kernelINS0_14default_configENS1_20scan_config_selectorIxEEZZNS1_9scan_implILNS1_25lookback_scan_determinismE0ELb1ELb1ES3_N6thrust23THRUST_200600_302600_NS6detail15normal_iteratorINS9_10device_ptrIxEEEENS9_16discard_iteratorINS9_11use_defaultEEEx11max_functorIxExEEDaPvRmT3_T4_T5_mT6_P12ihipStream_tbENKUlT_T0_E_clISt17integral_constantIbLb0EESX_EEDaSS_ST_EUlSS_E_NS1_11comp_targetILNS1_3genE4ELNS1_11target_archE910ELNS1_3gpuE8ELNS1_3repE0EEENS1_30default_config_static_selectorELNS0_4arch9wavefront6targetE1EEEvT1_.kd
    .uniform_work_group_size: 1
    .uses_dynamic_stack: false
    .vgpr_count:     57
    .vgpr_spill_count: 0
    .wavefront_size: 64
  - .agpr_count:     0
    .args:
      - .offset:         0
        .size:           112
        .value_kind:     by_value
    .group_segment_fixed_size: 0
    .kernarg_segment_align: 8
    .kernarg_segment_size: 112
    .language:       OpenCL C
    .language_version:
      - 2
      - 0
    .max_flat_workgroup_size: 256
    .name:           _ZN7rocprim17ROCPRIM_400000_NS6detail17trampoline_kernelINS0_14default_configENS1_20scan_config_selectorIxEEZZNS1_9scan_implILNS1_25lookback_scan_determinismE0ELb1ELb1ES3_N6thrust23THRUST_200600_302600_NS6detail15normal_iteratorINS9_10device_ptrIxEEEENS9_16discard_iteratorINS9_11use_defaultEEEx11max_functorIxExEEDaPvRmT3_T4_T5_mT6_P12ihipStream_tbENKUlT_T0_E_clISt17integral_constantIbLb0EESX_EEDaSS_ST_EUlSS_E_NS1_11comp_targetILNS1_3genE3ELNS1_11target_archE908ELNS1_3gpuE7ELNS1_3repE0EEENS1_30default_config_static_selectorELNS0_4arch9wavefront6targetE1EEEvT1_
    .private_segment_fixed_size: 0
    .sgpr_count:     4
    .sgpr_spill_count: 0
    .symbol:         _ZN7rocprim17ROCPRIM_400000_NS6detail17trampoline_kernelINS0_14default_configENS1_20scan_config_selectorIxEEZZNS1_9scan_implILNS1_25lookback_scan_determinismE0ELb1ELb1ES3_N6thrust23THRUST_200600_302600_NS6detail15normal_iteratorINS9_10device_ptrIxEEEENS9_16discard_iteratorINS9_11use_defaultEEEx11max_functorIxExEEDaPvRmT3_T4_T5_mT6_P12ihipStream_tbENKUlT_T0_E_clISt17integral_constantIbLb0EESX_EEDaSS_ST_EUlSS_E_NS1_11comp_targetILNS1_3genE3ELNS1_11target_archE908ELNS1_3gpuE7ELNS1_3repE0EEENS1_30default_config_static_selectorELNS0_4arch9wavefront6targetE1EEEvT1_.kd
    .uniform_work_group_size: 1
    .uses_dynamic_stack: false
    .vgpr_count:     0
    .vgpr_spill_count: 0
    .wavefront_size: 64
  - .agpr_count:     0
    .args:
      - .offset:         0
        .size:           112
        .value_kind:     by_value
    .group_segment_fixed_size: 0
    .kernarg_segment_align: 8
    .kernarg_segment_size: 112
    .language:       OpenCL C
    .language_version:
      - 2
      - 0
    .max_flat_workgroup_size: 64
    .name:           _ZN7rocprim17ROCPRIM_400000_NS6detail17trampoline_kernelINS0_14default_configENS1_20scan_config_selectorIxEEZZNS1_9scan_implILNS1_25lookback_scan_determinismE0ELb1ELb1ES3_N6thrust23THRUST_200600_302600_NS6detail15normal_iteratorINS9_10device_ptrIxEEEENS9_16discard_iteratorINS9_11use_defaultEEEx11max_functorIxExEEDaPvRmT3_T4_T5_mT6_P12ihipStream_tbENKUlT_T0_E_clISt17integral_constantIbLb0EESX_EEDaSS_ST_EUlSS_E_NS1_11comp_targetILNS1_3genE2ELNS1_11target_archE906ELNS1_3gpuE6ELNS1_3repE0EEENS1_30default_config_static_selectorELNS0_4arch9wavefront6targetE1EEEvT1_
    .private_segment_fixed_size: 0
    .sgpr_count:     4
    .sgpr_spill_count: 0
    .symbol:         _ZN7rocprim17ROCPRIM_400000_NS6detail17trampoline_kernelINS0_14default_configENS1_20scan_config_selectorIxEEZZNS1_9scan_implILNS1_25lookback_scan_determinismE0ELb1ELb1ES3_N6thrust23THRUST_200600_302600_NS6detail15normal_iteratorINS9_10device_ptrIxEEEENS9_16discard_iteratorINS9_11use_defaultEEEx11max_functorIxExEEDaPvRmT3_T4_T5_mT6_P12ihipStream_tbENKUlT_T0_E_clISt17integral_constantIbLb0EESX_EEDaSS_ST_EUlSS_E_NS1_11comp_targetILNS1_3genE2ELNS1_11target_archE906ELNS1_3gpuE6ELNS1_3repE0EEENS1_30default_config_static_selectorELNS0_4arch9wavefront6targetE1EEEvT1_.kd
    .uniform_work_group_size: 1
    .uses_dynamic_stack: false
    .vgpr_count:     0
    .vgpr_spill_count: 0
    .wavefront_size: 64
  - .agpr_count:     0
    .args:
      - .offset:         0
        .size:           112
        .value_kind:     by_value
    .group_segment_fixed_size: 0
    .kernarg_segment_align: 8
    .kernarg_segment_size: 112
    .language:       OpenCL C
    .language_version:
      - 2
      - 0
    .max_flat_workgroup_size: 256
    .name:           _ZN7rocprim17ROCPRIM_400000_NS6detail17trampoline_kernelINS0_14default_configENS1_20scan_config_selectorIxEEZZNS1_9scan_implILNS1_25lookback_scan_determinismE0ELb1ELb1ES3_N6thrust23THRUST_200600_302600_NS6detail15normal_iteratorINS9_10device_ptrIxEEEENS9_16discard_iteratorINS9_11use_defaultEEEx11max_functorIxExEEDaPvRmT3_T4_T5_mT6_P12ihipStream_tbENKUlT_T0_E_clISt17integral_constantIbLb0EESX_EEDaSS_ST_EUlSS_E_NS1_11comp_targetILNS1_3genE10ELNS1_11target_archE1201ELNS1_3gpuE5ELNS1_3repE0EEENS1_30default_config_static_selectorELNS0_4arch9wavefront6targetE1EEEvT1_
    .private_segment_fixed_size: 0
    .sgpr_count:     4
    .sgpr_spill_count: 0
    .symbol:         _ZN7rocprim17ROCPRIM_400000_NS6detail17trampoline_kernelINS0_14default_configENS1_20scan_config_selectorIxEEZZNS1_9scan_implILNS1_25lookback_scan_determinismE0ELb1ELb1ES3_N6thrust23THRUST_200600_302600_NS6detail15normal_iteratorINS9_10device_ptrIxEEEENS9_16discard_iteratorINS9_11use_defaultEEEx11max_functorIxExEEDaPvRmT3_T4_T5_mT6_P12ihipStream_tbENKUlT_T0_E_clISt17integral_constantIbLb0EESX_EEDaSS_ST_EUlSS_E_NS1_11comp_targetILNS1_3genE10ELNS1_11target_archE1201ELNS1_3gpuE5ELNS1_3repE0EEENS1_30default_config_static_selectorELNS0_4arch9wavefront6targetE1EEEvT1_.kd
    .uniform_work_group_size: 1
    .uses_dynamic_stack: false
    .vgpr_count:     0
    .vgpr_spill_count: 0
    .wavefront_size: 64
  - .agpr_count:     0
    .args:
      - .offset:         0
        .size:           112
        .value_kind:     by_value
    .group_segment_fixed_size: 0
    .kernarg_segment_align: 8
    .kernarg_segment_size: 112
    .language:       OpenCL C
    .language_version:
      - 2
      - 0
    .max_flat_workgroup_size: 256
    .name:           _ZN7rocprim17ROCPRIM_400000_NS6detail17trampoline_kernelINS0_14default_configENS1_20scan_config_selectorIxEEZZNS1_9scan_implILNS1_25lookback_scan_determinismE0ELb1ELb1ES3_N6thrust23THRUST_200600_302600_NS6detail15normal_iteratorINS9_10device_ptrIxEEEENS9_16discard_iteratorINS9_11use_defaultEEEx11max_functorIxExEEDaPvRmT3_T4_T5_mT6_P12ihipStream_tbENKUlT_T0_E_clISt17integral_constantIbLb0EESX_EEDaSS_ST_EUlSS_E_NS1_11comp_targetILNS1_3genE10ELNS1_11target_archE1200ELNS1_3gpuE4ELNS1_3repE0EEENS1_30default_config_static_selectorELNS0_4arch9wavefront6targetE1EEEvT1_
    .private_segment_fixed_size: 0
    .sgpr_count:     4
    .sgpr_spill_count: 0
    .symbol:         _ZN7rocprim17ROCPRIM_400000_NS6detail17trampoline_kernelINS0_14default_configENS1_20scan_config_selectorIxEEZZNS1_9scan_implILNS1_25lookback_scan_determinismE0ELb1ELb1ES3_N6thrust23THRUST_200600_302600_NS6detail15normal_iteratorINS9_10device_ptrIxEEEENS9_16discard_iteratorINS9_11use_defaultEEEx11max_functorIxExEEDaPvRmT3_T4_T5_mT6_P12ihipStream_tbENKUlT_T0_E_clISt17integral_constantIbLb0EESX_EEDaSS_ST_EUlSS_E_NS1_11comp_targetILNS1_3genE10ELNS1_11target_archE1200ELNS1_3gpuE4ELNS1_3repE0EEENS1_30default_config_static_selectorELNS0_4arch9wavefront6targetE1EEEvT1_.kd
    .uniform_work_group_size: 1
    .uses_dynamic_stack: false
    .vgpr_count:     0
    .vgpr_spill_count: 0
    .wavefront_size: 64
  - .agpr_count:     0
    .args:
      - .offset:         0
        .size:           112
        .value_kind:     by_value
    .group_segment_fixed_size: 0
    .kernarg_segment_align: 8
    .kernarg_segment_size: 112
    .language:       OpenCL C
    .language_version:
      - 2
      - 0
    .max_flat_workgroup_size: 256
    .name:           _ZN7rocprim17ROCPRIM_400000_NS6detail17trampoline_kernelINS0_14default_configENS1_20scan_config_selectorIxEEZZNS1_9scan_implILNS1_25lookback_scan_determinismE0ELb1ELb1ES3_N6thrust23THRUST_200600_302600_NS6detail15normal_iteratorINS9_10device_ptrIxEEEENS9_16discard_iteratorINS9_11use_defaultEEEx11max_functorIxExEEDaPvRmT3_T4_T5_mT6_P12ihipStream_tbENKUlT_T0_E_clISt17integral_constantIbLb0EESX_EEDaSS_ST_EUlSS_E_NS1_11comp_targetILNS1_3genE9ELNS1_11target_archE1100ELNS1_3gpuE3ELNS1_3repE0EEENS1_30default_config_static_selectorELNS0_4arch9wavefront6targetE1EEEvT1_
    .private_segment_fixed_size: 0
    .sgpr_count:     4
    .sgpr_spill_count: 0
    .symbol:         _ZN7rocprim17ROCPRIM_400000_NS6detail17trampoline_kernelINS0_14default_configENS1_20scan_config_selectorIxEEZZNS1_9scan_implILNS1_25lookback_scan_determinismE0ELb1ELb1ES3_N6thrust23THRUST_200600_302600_NS6detail15normal_iteratorINS9_10device_ptrIxEEEENS9_16discard_iteratorINS9_11use_defaultEEEx11max_functorIxExEEDaPvRmT3_T4_T5_mT6_P12ihipStream_tbENKUlT_T0_E_clISt17integral_constantIbLb0EESX_EEDaSS_ST_EUlSS_E_NS1_11comp_targetILNS1_3genE9ELNS1_11target_archE1100ELNS1_3gpuE3ELNS1_3repE0EEENS1_30default_config_static_selectorELNS0_4arch9wavefront6targetE1EEEvT1_.kd
    .uniform_work_group_size: 1
    .uses_dynamic_stack: false
    .vgpr_count:     0
    .vgpr_spill_count: 0
    .wavefront_size: 64
  - .agpr_count:     0
    .args:
      - .offset:         0
        .size:           112
        .value_kind:     by_value
    .group_segment_fixed_size: 0
    .kernarg_segment_align: 8
    .kernarg_segment_size: 112
    .language:       OpenCL C
    .language_version:
      - 2
      - 0
    .max_flat_workgroup_size: 256
    .name:           _ZN7rocprim17ROCPRIM_400000_NS6detail17trampoline_kernelINS0_14default_configENS1_20scan_config_selectorIxEEZZNS1_9scan_implILNS1_25lookback_scan_determinismE0ELb1ELb1ES3_N6thrust23THRUST_200600_302600_NS6detail15normal_iteratorINS9_10device_ptrIxEEEENS9_16discard_iteratorINS9_11use_defaultEEEx11max_functorIxExEEDaPvRmT3_T4_T5_mT6_P12ihipStream_tbENKUlT_T0_E_clISt17integral_constantIbLb0EESX_EEDaSS_ST_EUlSS_E_NS1_11comp_targetILNS1_3genE8ELNS1_11target_archE1030ELNS1_3gpuE2ELNS1_3repE0EEENS1_30default_config_static_selectorELNS0_4arch9wavefront6targetE1EEEvT1_
    .private_segment_fixed_size: 0
    .sgpr_count:     4
    .sgpr_spill_count: 0
    .symbol:         _ZN7rocprim17ROCPRIM_400000_NS6detail17trampoline_kernelINS0_14default_configENS1_20scan_config_selectorIxEEZZNS1_9scan_implILNS1_25lookback_scan_determinismE0ELb1ELb1ES3_N6thrust23THRUST_200600_302600_NS6detail15normal_iteratorINS9_10device_ptrIxEEEENS9_16discard_iteratorINS9_11use_defaultEEEx11max_functorIxExEEDaPvRmT3_T4_T5_mT6_P12ihipStream_tbENKUlT_T0_E_clISt17integral_constantIbLb0EESX_EEDaSS_ST_EUlSS_E_NS1_11comp_targetILNS1_3genE8ELNS1_11target_archE1030ELNS1_3gpuE2ELNS1_3repE0EEENS1_30default_config_static_selectorELNS0_4arch9wavefront6targetE1EEEvT1_.kd
    .uniform_work_group_size: 1
    .uses_dynamic_stack: false
    .vgpr_count:     0
    .vgpr_spill_count: 0
    .wavefront_size: 64
  - .agpr_count:     0
    .args:
      - .offset:         0
        .size:           48
        .value_kind:     by_value
    .group_segment_fixed_size: 0
    .kernarg_segment_align: 8
    .kernarg_segment_size: 48
    .language:       OpenCL C
    .language_version:
      - 2
      - 0
    .max_flat_workgroup_size: 256
    .name:           _ZN7rocprim17ROCPRIM_400000_NS6detail17trampoline_kernelINS0_14default_configENS1_20scan_config_selectorIxEEZZNS1_9scan_implILNS1_25lookback_scan_determinismE0ELb1ELb1ES3_N6thrust23THRUST_200600_302600_NS6detail15normal_iteratorINS9_10device_ptrIxEEEENS9_16discard_iteratorINS9_11use_defaultEEEx11max_functorIxExEEDaPvRmT3_T4_T5_mT6_P12ihipStream_tbENKUlT_T0_E_clISt17integral_constantIbLb0EESX_EEDaSS_ST_EUlSS_E0_NS1_11comp_targetILNS1_3genE0ELNS1_11target_archE4294967295ELNS1_3gpuE0ELNS1_3repE0EEENS1_30default_config_static_selectorELNS0_4arch9wavefront6targetE1EEEvT1_
    .private_segment_fixed_size: 0
    .sgpr_count:     4
    .sgpr_spill_count: 0
    .symbol:         _ZN7rocprim17ROCPRIM_400000_NS6detail17trampoline_kernelINS0_14default_configENS1_20scan_config_selectorIxEEZZNS1_9scan_implILNS1_25lookback_scan_determinismE0ELb1ELb1ES3_N6thrust23THRUST_200600_302600_NS6detail15normal_iteratorINS9_10device_ptrIxEEEENS9_16discard_iteratorINS9_11use_defaultEEEx11max_functorIxExEEDaPvRmT3_T4_T5_mT6_P12ihipStream_tbENKUlT_T0_E_clISt17integral_constantIbLb0EESX_EEDaSS_ST_EUlSS_E0_NS1_11comp_targetILNS1_3genE0ELNS1_11target_archE4294967295ELNS1_3gpuE0ELNS1_3repE0EEENS1_30default_config_static_selectorELNS0_4arch9wavefront6targetE1EEEvT1_.kd
    .uniform_work_group_size: 1
    .uses_dynamic_stack: false
    .vgpr_count:     0
    .vgpr_spill_count: 0
    .wavefront_size: 64
  - .agpr_count:     0
    .args:
      - .offset:         0
        .size:           48
        .value_kind:     by_value
    .group_segment_fixed_size: 0
    .kernarg_segment_align: 8
    .kernarg_segment_size: 48
    .language:       OpenCL C
    .language_version:
      - 2
      - 0
    .max_flat_workgroup_size: 256
    .name:           _ZN7rocprim17ROCPRIM_400000_NS6detail17trampoline_kernelINS0_14default_configENS1_20scan_config_selectorIxEEZZNS1_9scan_implILNS1_25lookback_scan_determinismE0ELb1ELb1ES3_N6thrust23THRUST_200600_302600_NS6detail15normal_iteratorINS9_10device_ptrIxEEEENS9_16discard_iteratorINS9_11use_defaultEEEx11max_functorIxExEEDaPvRmT3_T4_T5_mT6_P12ihipStream_tbENKUlT_T0_E_clISt17integral_constantIbLb0EESX_EEDaSS_ST_EUlSS_E0_NS1_11comp_targetILNS1_3genE5ELNS1_11target_archE942ELNS1_3gpuE9ELNS1_3repE0EEENS1_30default_config_static_selectorELNS0_4arch9wavefront6targetE1EEEvT1_
    .private_segment_fixed_size: 0
    .sgpr_count:     4
    .sgpr_spill_count: 0
    .symbol:         _ZN7rocprim17ROCPRIM_400000_NS6detail17trampoline_kernelINS0_14default_configENS1_20scan_config_selectorIxEEZZNS1_9scan_implILNS1_25lookback_scan_determinismE0ELb1ELb1ES3_N6thrust23THRUST_200600_302600_NS6detail15normal_iteratorINS9_10device_ptrIxEEEENS9_16discard_iteratorINS9_11use_defaultEEEx11max_functorIxExEEDaPvRmT3_T4_T5_mT6_P12ihipStream_tbENKUlT_T0_E_clISt17integral_constantIbLb0EESX_EEDaSS_ST_EUlSS_E0_NS1_11comp_targetILNS1_3genE5ELNS1_11target_archE942ELNS1_3gpuE9ELNS1_3repE0EEENS1_30default_config_static_selectorELNS0_4arch9wavefront6targetE1EEEvT1_.kd
    .uniform_work_group_size: 1
    .uses_dynamic_stack: false
    .vgpr_count:     0
    .vgpr_spill_count: 0
    .wavefront_size: 64
  - .agpr_count:     0
    .args:
      - .offset:         0
        .size:           48
        .value_kind:     by_value
    .group_segment_fixed_size: 7168
    .kernarg_segment_align: 8
    .kernarg_segment_size: 48
    .language:       OpenCL C
    .language_version:
      - 2
      - 0
    .max_flat_workgroup_size: 128
    .name:           _ZN7rocprim17ROCPRIM_400000_NS6detail17trampoline_kernelINS0_14default_configENS1_20scan_config_selectorIxEEZZNS1_9scan_implILNS1_25lookback_scan_determinismE0ELb1ELb1ES3_N6thrust23THRUST_200600_302600_NS6detail15normal_iteratorINS9_10device_ptrIxEEEENS9_16discard_iteratorINS9_11use_defaultEEEx11max_functorIxExEEDaPvRmT3_T4_T5_mT6_P12ihipStream_tbENKUlT_T0_E_clISt17integral_constantIbLb0EESX_EEDaSS_ST_EUlSS_E0_NS1_11comp_targetILNS1_3genE4ELNS1_11target_archE910ELNS1_3gpuE8ELNS1_3repE0EEENS1_30default_config_static_selectorELNS0_4arch9wavefront6targetE1EEEvT1_
    .private_segment_fixed_size: 0
    .sgpr_count:     14
    .sgpr_spill_count: 0
    .symbol:         _ZN7rocprim17ROCPRIM_400000_NS6detail17trampoline_kernelINS0_14default_configENS1_20scan_config_selectorIxEEZZNS1_9scan_implILNS1_25lookback_scan_determinismE0ELb1ELb1ES3_N6thrust23THRUST_200600_302600_NS6detail15normal_iteratorINS9_10device_ptrIxEEEENS9_16discard_iteratorINS9_11use_defaultEEEx11max_functorIxExEEDaPvRmT3_T4_T5_mT6_P12ihipStream_tbENKUlT_T0_E_clISt17integral_constantIbLb0EESX_EEDaSS_ST_EUlSS_E0_NS1_11comp_targetILNS1_3genE4ELNS1_11target_archE910ELNS1_3gpuE8ELNS1_3repE0EEENS1_30default_config_static_selectorELNS0_4arch9wavefront6targetE1EEEvT1_.kd
    .uniform_work_group_size: 1
    .uses_dynamic_stack: false
    .vgpr_count:     29
    .vgpr_spill_count: 0
    .wavefront_size: 64
  - .agpr_count:     0
    .args:
      - .offset:         0
        .size:           48
        .value_kind:     by_value
    .group_segment_fixed_size: 0
    .kernarg_segment_align: 8
    .kernarg_segment_size: 48
    .language:       OpenCL C
    .language_version:
      - 2
      - 0
    .max_flat_workgroup_size: 256
    .name:           _ZN7rocprim17ROCPRIM_400000_NS6detail17trampoline_kernelINS0_14default_configENS1_20scan_config_selectorIxEEZZNS1_9scan_implILNS1_25lookback_scan_determinismE0ELb1ELb1ES3_N6thrust23THRUST_200600_302600_NS6detail15normal_iteratorINS9_10device_ptrIxEEEENS9_16discard_iteratorINS9_11use_defaultEEEx11max_functorIxExEEDaPvRmT3_T4_T5_mT6_P12ihipStream_tbENKUlT_T0_E_clISt17integral_constantIbLb0EESX_EEDaSS_ST_EUlSS_E0_NS1_11comp_targetILNS1_3genE3ELNS1_11target_archE908ELNS1_3gpuE7ELNS1_3repE0EEENS1_30default_config_static_selectorELNS0_4arch9wavefront6targetE1EEEvT1_
    .private_segment_fixed_size: 0
    .sgpr_count:     4
    .sgpr_spill_count: 0
    .symbol:         _ZN7rocprim17ROCPRIM_400000_NS6detail17trampoline_kernelINS0_14default_configENS1_20scan_config_selectorIxEEZZNS1_9scan_implILNS1_25lookback_scan_determinismE0ELb1ELb1ES3_N6thrust23THRUST_200600_302600_NS6detail15normal_iteratorINS9_10device_ptrIxEEEENS9_16discard_iteratorINS9_11use_defaultEEEx11max_functorIxExEEDaPvRmT3_T4_T5_mT6_P12ihipStream_tbENKUlT_T0_E_clISt17integral_constantIbLb0EESX_EEDaSS_ST_EUlSS_E0_NS1_11comp_targetILNS1_3genE3ELNS1_11target_archE908ELNS1_3gpuE7ELNS1_3repE0EEENS1_30default_config_static_selectorELNS0_4arch9wavefront6targetE1EEEvT1_.kd
    .uniform_work_group_size: 1
    .uses_dynamic_stack: false
    .vgpr_count:     0
    .vgpr_spill_count: 0
    .wavefront_size: 64
  - .agpr_count:     0
    .args:
      - .offset:         0
        .size:           48
        .value_kind:     by_value
    .group_segment_fixed_size: 0
    .kernarg_segment_align: 8
    .kernarg_segment_size: 48
    .language:       OpenCL C
    .language_version:
      - 2
      - 0
    .max_flat_workgroup_size: 64
    .name:           _ZN7rocprim17ROCPRIM_400000_NS6detail17trampoline_kernelINS0_14default_configENS1_20scan_config_selectorIxEEZZNS1_9scan_implILNS1_25lookback_scan_determinismE0ELb1ELb1ES3_N6thrust23THRUST_200600_302600_NS6detail15normal_iteratorINS9_10device_ptrIxEEEENS9_16discard_iteratorINS9_11use_defaultEEEx11max_functorIxExEEDaPvRmT3_T4_T5_mT6_P12ihipStream_tbENKUlT_T0_E_clISt17integral_constantIbLb0EESX_EEDaSS_ST_EUlSS_E0_NS1_11comp_targetILNS1_3genE2ELNS1_11target_archE906ELNS1_3gpuE6ELNS1_3repE0EEENS1_30default_config_static_selectorELNS0_4arch9wavefront6targetE1EEEvT1_
    .private_segment_fixed_size: 0
    .sgpr_count:     4
    .sgpr_spill_count: 0
    .symbol:         _ZN7rocprim17ROCPRIM_400000_NS6detail17trampoline_kernelINS0_14default_configENS1_20scan_config_selectorIxEEZZNS1_9scan_implILNS1_25lookback_scan_determinismE0ELb1ELb1ES3_N6thrust23THRUST_200600_302600_NS6detail15normal_iteratorINS9_10device_ptrIxEEEENS9_16discard_iteratorINS9_11use_defaultEEEx11max_functorIxExEEDaPvRmT3_T4_T5_mT6_P12ihipStream_tbENKUlT_T0_E_clISt17integral_constantIbLb0EESX_EEDaSS_ST_EUlSS_E0_NS1_11comp_targetILNS1_3genE2ELNS1_11target_archE906ELNS1_3gpuE6ELNS1_3repE0EEENS1_30default_config_static_selectorELNS0_4arch9wavefront6targetE1EEEvT1_.kd
    .uniform_work_group_size: 1
    .uses_dynamic_stack: false
    .vgpr_count:     0
    .vgpr_spill_count: 0
    .wavefront_size: 64
  - .agpr_count:     0
    .args:
      - .offset:         0
        .size:           48
        .value_kind:     by_value
    .group_segment_fixed_size: 0
    .kernarg_segment_align: 8
    .kernarg_segment_size: 48
    .language:       OpenCL C
    .language_version:
      - 2
      - 0
    .max_flat_workgroup_size: 256
    .name:           _ZN7rocprim17ROCPRIM_400000_NS6detail17trampoline_kernelINS0_14default_configENS1_20scan_config_selectorIxEEZZNS1_9scan_implILNS1_25lookback_scan_determinismE0ELb1ELb1ES3_N6thrust23THRUST_200600_302600_NS6detail15normal_iteratorINS9_10device_ptrIxEEEENS9_16discard_iteratorINS9_11use_defaultEEEx11max_functorIxExEEDaPvRmT3_T4_T5_mT6_P12ihipStream_tbENKUlT_T0_E_clISt17integral_constantIbLb0EESX_EEDaSS_ST_EUlSS_E0_NS1_11comp_targetILNS1_3genE10ELNS1_11target_archE1201ELNS1_3gpuE5ELNS1_3repE0EEENS1_30default_config_static_selectorELNS0_4arch9wavefront6targetE1EEEvT1_
    .private_segment_fixed_size: 0
    .sgpr_count:     4
    .sgpr_spill_count: 0
    .symbol:         _ZN7rocprim17ROCPRIM_400000_NS6detail17trampoline_kernelINS0_14default_configENS1_20scan_config_selectorIxEEZZNS1_9scan_implILNS1_25lookback_scan_determinismE0ELb1ELb1ES3_N6thrust23THRUST_200600_302600_NS6detail15normal_iteratorINS9_10device_ptrIxEEEENS9_16discard_iteratorINS9_11use_defaultEEEx11max_functorIxExEEDaPvRmT3_T4_T5_mT6_P12ihipStream_tbENKUlT_T0_E_clISt17integral_constantIbLb0EESX_EEDaSS_ST_EUlSS_E0_NS1_11comp_targetILNS1_3genE10ELNS1_11target_archE1201ELNS1_3gpuE5ELNS1_3repE0EEENS1_30default_config_static_selectorELNS0_4arch9wavefront6targetE1EEEvT1_.kd
    .uniform_work_group_size: 1
    .uses_dynamic_stack: false
    .vgpr_count:     0
    .vgpr_spill_count: 0
    .wavefront_size: 64
  - .agpr_count:     0
    .args:
      - .offset:         0
        .size:           48
        .value_kind:     by_value
    .group_segment_fixed_size: 0
    .kernarg_segment_align: 8
    .kernarg_segment_size: 48
    .language:       OpenCL C
    .language_version:
      - 2
      - 0
    .max_flat_workgroup_size: 256
    .name:           _ZN7rocprim17ROCPRIM_400000_NS6detail17trampoline_kernelINS0_14default_configENS1_20scan_config_selectorIxEEZZNS1_9scan_implILNS1_25lookback_scan_determinismE0ELb1ELb1ES3_N6thrust23THRUST_200600_302600_NS6detail15normal_iteratorINS9_10device_ptrIxEEEENS9_16discard_iteratorINS9_11use_defaultEEEx11max_functorIxExEEDaPvRmT3_T4_T5_mT6_P12ihipStream_tbENKUlT_T0_E_clISt17integral_constantIbLb0EESX_EEDaSS_ST_EUlSS_E0_NS1_11comp_targetILNS1_3genE10ELNS1_11target_archE1200ELNS1_3gpuE4ELNS1_3repE0EEENS1_30default_config_static_selectorELNS0_4arch9wavefront6targetE1EEEvT1_
    .private_segment_fixed_size: 0
    .sgpr_count:     4
    .sgpr_spill_count: 0
    .symbol:         _ZN7rocprim17ROCPRIM_400000_NS6detail17trampoline_kernelINS0_14default_configENS1_20scan_config_selectorIxEEZZNS1_9scan_implILNS1_25lookback_scan_determinismE0ELb1ELb1ES3_N6thrust23THRUST_200600_302600_NS6detail15normal_iteratorINS9_10device_ptrIxEEEENS9_16discard_iteratorINS9_11use_defaultEEEx11max_functorIxExEEDaPvRmT3_T4_T5_mT6_P12ihipStream_tbENKUlT_T0_E_clISt17integral_constantIbLb0EESX_EEDaSS_ST_EUlSS_E0_NS1_11comp_targetILNS1_3genE10ELNS1_11target_archE1200ELNS1_3gpuE4ELNS1_3repE0EEENS1_30default_config_static_selectorELNS0_4arch9wavefront6targetE1EEEvT1_.kd
    .uniform_work_group_size: 1
    .uses_dynamic_stack: false
    .vgpr_count:     0
    .vgpr_spill_count: 0
    .wavefront_size: 64
  - .agpr_count:     0
    .args:
      - .offset:         0
        .size:           48
        .value_kind:     by_value
    .group_segment_fixed_size: 0
    .kernarg_segment_align: 8
    .kernarg_segment_size: 48
    .language:       OpenCL C
    .language_version:
      - 2
      - 0
    .max_flat_workgroup_size: 256
    .name:           _ZN7rocprim17ROCPRIM_400000_NS6detail17trampoline_kernelINS0_14default_configENS1_20scan_config_selectorIxEEZZNS1_9scan_implILNS1_25lookback_scan_determinismE0ELb1ELb1ES3_N6thrust23THRUST_200600_302600_NS6detail15normal_iteratorINS9_10device_ptrIxEEEENS9_16discard_iteratorINS9_11use_defaultEEEx11max_functorIxExEEDaPvRmT3_T4_T5_mT6_P12ihipStream_tbENKUlT_T0_E_clISt17integral_constantIbLb0EESX_EEDaSS_ST_EUlSS_E0_NS1_11comp_targetILNS1_3genE9ELNS1_11target_archE1100ELNS1_3gpuE3ELNS1_3repE0EEENS1_30default_config_static_selectorELNS0_4arch9wavefront6targetE1EEEvT1_
    .private_segment_fixed_size: 0
    .sgpr_count:     4
    .sgpr_spill_count: 0
    .symbol:         _ZN7rocprim17ROCPRIM_400000_NS6detail17trampoline_kernelINS0_14default_configENS1_20scan_config_selectorIxEEZZNS1_9scan_implILNS1_25lookback_scan_determinismE0ELb1ELb1ES3_N6thrust23THRUST_200600_302600_NS6detail15normal_iteratorINS9_10device_ptrIxEEEENS9_16discard_iteratorINS9_11use_defaultEEEx11max_functorIxExEEDaPvRmT3_T4_T5_mT6_P12ihipStream_tbENKUlT_T0_E_clISt17integral_constantIbLb0EESX_EEDaSS_ST_EUlSS_E0_NS1_11comp_targetILNS1_3genE9ELNS1_11target_archE1100ELNS1_3gpuE3ELNS1_3repE0EEENS1_30default_config_static_selectorELNS0_4arch9wavefront6targetE1EEEvT1_.kd
    .uniform_work_group_size: 1
    .uses_dynamic_stack: false
    .vgpr_count:     0
    .vgpr_spill_count: 0
    .wavefront_size: 64
  - .agpr_count:     0
    .args:
      - .offset:         0
        .size:           48
        .value_kind:     by_value
    .group_segment_fixed_size: 0
    .kernarg_segment_align: 8
    .kernarg_segment_size: 48
    .language:       OpenCL C
    .language_version:
      - 2
      - 0
    .max_flat_workgroup_size: 256
    .name:           _ZN7rocprim17ROCPRIM_400000_NS6detail17trampoline_kernelINS0_14default_configENS1_20scan_config_selectorIxEEZZNS1_9scan_implILNS1_25lookback_scan_determinismE0ELb1ELb1ES3_N6thrust23THRUST_200600_302600_NS6detail15normal_iteratorINS9_10device_ptrIxEEEENS9_16discard_iteratorINS9_11use_defaultEEEx11max_functorIxExEEDaPvRmT3_T4_T5_mT6_P12ihipStream_tbENKUlT_T0_E_clISt17integral_constantIbLb0EESX_EEDaSS_ST_EUlSS_E0_NS1_11comp_targetILNS1_3genE8ELNS1_11target_archE1030ELNS1_3gpuE2ELNS1_3repE0EEENS1_30default_config_static_selectorELNS0_4arch9wavefront6targetE1EEEvT1_
    .private_segment_fixed_size: 0
    .sgpr_count:     4
    .sgpr_spill_count: 0
    .symbol:         _ZN7rocprim17ROCPRIM_400000_NS6detail17trampoline_kernelINS0_14default_configENS1_20scan_config_selectorIxEEZZNS1_9scan_implILNS1_25lookback_scan_determinismE0ELb1ELb1ES3_N6thrust23THRUST_200600_302600_NS6detail15normal_iteratorINS9_10device_ptrIxEEEENS9_16discard_iteratorINS9_11use_defaultEEEx11max_functorIxExEEDaPvRmT3_T4_T5_mT6_P12ihipStream_tbENKUlT_T0_E_clISt17integral_constantIbLb0EESX_EEDaSS_ST_EUlSS_E0_NS1_11comp_targetILNS1_3genE8ELNS1_11target_archE1030ELNS1_3gpuE2ELNS1_3repE0EEENS1_30default_config_static_selectorELNS0_4arch9wavefront6targetE1EEEvT1_.kd
    .uniform_work_group_size: 1
    .uses_dynamic_stack: false
    .vgpr_count:     0
    .vgpr_spill_count: 0
    .wavefront_size: 64
  - .agpr_count:     0
    .args:
      - .offset:         0
        .size:           112
        .value_kind:     by_value
    .group_segment_fixed_size: 0
    .kernarg_segment_align: 8
    .kernarg_segment_size: 112
    .language:       OpenCL C
    .language_version:
      - 2
      - 0
    .max_flat_workgroup_size: 256
    .name:           _ZN7rocprim17ROCPRIM_400000_NS6detail17trampoline_kernelINS0_14default_configENS1_20scan_config_selectorIxEEZZNS1_9scan_implILNS1_25lookback_scan_determinismE0ELb1ELb1ES3_N6thrust23THRUST_200600_302600_NS6detail15normal_iteratorINS9_10device_ptrIxEEEENS9_16discard_iteratorINS9_11use_defaultEEEx11max_functorIxExEEDaPvRmT3_T4_T5_mT6_P12ihipStream_tbENKUlT_T0_E_clISt17integral_constantIbLb1EESX_EEDaSS_ST_EUlSS_E_NS1_11comp_targetILNS1_3genE0ELNS1_11target_archE4294967295ELNS1_3gpuE0ELNS1_3repE0EEENS1_30default_config_static_selectorELNS0_4arch9wavefront6targetE1EEEvT1_
    .private_segment_fixed_size: 0
    .sgpr_count:     4
    .sgpr_spill_count: 0
    .symbol:         _ZN7rocprim17ROCPRIM_400000_NS6detail17trampoline_kernelINS0_14default_configENS1_20scan_config_selectorIxEEZZNS1_9scan_implILNS1_25lookback_scan_determinismE0ELb1ELb1ES3_N6thrust23THRUST_200600_302600_NS6detail15normal_iteratorINS9_10device_ptrIxEEEENS9_16discard_iteratorINS9_11use_defaultEEEx11max_functorIxExEEDaPvRmT3_T4_T5_mT6_P12ihipStream_tbENKUlT_T0_E_clISt17integral_constantIbLb1EESX_EEDaSS_ST_EUlSS_E_NS1_11comp_targetILNS1_3genE0ELNS1_11target_archE4294967295ELNS1_3gpuE0ELNS1_3repE0EEENS1_30default_config_static_selectorELNS0_4arch9wavefront6targetE1EEEvT1_.kd
    .uniform_work_group_size: 1
    .uses_dynamic_stack: false
    .vgpr_count:     0
    .vgpr_spill_count: 0
    .wavefront_size: 64
  - .agpr_count:     0
    .args:
      - .offset:         0
        .size:           112
        .value_kind:     by_value
    .group_segment_fixed_size: 0
    .kernarg_segment_align: 8
    .kernarg_segment_size: 112
    .language:       OpenCL C
    .language_version:
      - 2
      - 0
    .max_flat_workgroup_size: 256
    .name:           _ZN7rocprim17ROCPRIM_400000_NS6detail17trampoline_kernelINS0_14default_configENS1_20scan_config_selectorIxEEZZNS1_9scan_implILNS1_25lookback_scan_determinismE0ELb1ELb1ES3_N6thrust23THRUST_200600_302600_NS6detail15normal_iteratorINS9_10device_ptrIxEEEENS9_16discard_iteratorINS9_11use_defaultEEEx11max_functorIxExEEDaPvRmT3_T4_T5_mT6_P12ihipStream_tbENKUlT_T0_E_clISt17integral_constantIbLb1EESX_EEDaSS_ST_EUlSS_E_NS1_11comp_targetILNS1_3genE5ELNS1_11target_archE942ELNS1_3gpuE9ELNS1_3repE0EEENS1_30default_config_static_selectorELNS0_4arch9wavefront6targetE1EEEvT1_
    .private_segment_fixed_size: 0
    .sgpr_count:     4
    .sgpr_spill_count: 0
    .symbol:         _ZN7rocprim17ROCPRIM_400000_NS6detail17trampoline_kernelINS0_14default_configENS1_20scan_config_selectorIxEEZZNS1_9scan_implILNS1_25lookback_scan_determinismE0ELb1ELb1ES3_N6thrust23THRUST_200600_302600_NS6detail15normal_iteratorINS9_10device_ptrIxEEEENS9_16discard_iteratorINS9_11use_defaultEEEx11max_functorIxExEEDaPvRmT3_T4_T5_mT6_P12ihipStream_tbENKUlT_T0_E_clISt17integral_constantIbLb1EESX_EEDaSS_ST_EUlSS_E_NS1_11comp_targetILNS1_3genE5ELNS1_11target_archE942ELNS1_3gpuE9ELNS1_3repE0EEENS1_30default_config_static_selectorELNS0_4arch9wavefront6targetE1EEEvT1_.kd
    .uniform_work_group_size: 1
    .uses_dynamic_stack: false
    .vgpr_count:     0
    .vgpr_spill_count: 0
    .wavefront_size: 64
  - .agpr_count:     0
    .args:
      - .offset:         0
        .size:           112
        .value_kind:     by_value
    .group_segment_fixed_size: 7168
    .kernarg_segment_align: 8
    .kernarg_segment_size: 112
    .language:       OpenCL C
    .language_version:
      - 2
      - 0
    .max_flat_workgroup_size: 128
    .name:           _ZN7rocprim17ROCPRIM_400000_NS6detail17trampoline_kernelINS0_14default_configENS1_20scan_config_selectorIxEEZZNS1_9scan_implILNS1_25lookback_scan_determinismE0ELb1ELb1ES3_N6thrust23THRUST_200600_302600_NS6detail15normal_iteratorINS9_10device_ptrIxEEEENS9_16discard_iteratorINS9_11use_defaultEEEx11max_functorIxExEEDaPvRmT3_T4_T5_mT6_P12ihipStream_tbENKUlT_T0_E_clISt17integral_constantIbLb1EESX_EEDaSS_ST_EUlSS_E_NS1_11comp_targetILNS1_3genE4ELNS1_11target_archE910ELNS1_3gpuE8ELNS1_3repE0EEENS1_30default_config_static_selectorELNS0_4arch9wavefront6targetE1EEEvT1_
    .private_segment_fixed_size: 0
    .sgpr_count:     40
    .sgpr_spill_count: 0
    .symbol:         _ZN7rocprim17ROCPRIM_400000_NS6detail17trampoline_kernelINS0_14default_configENS1_20scan_config_selectorIxEEZZNS1_9scan_implILNS1_25lookback_scan_determinismE0ELb1ELb1ES3_N6thrust23THRUST_200600_302600_NS6detail15normal_iteratorINS9_10device_ptrIxEEEENS9_16discard_iteratorINS9_11use_defaultEEEx11max_functorIxExEEDaPvRmT3_T4_T5_mT6_P12ihipStream_tbENKUlT_T0_E_clISt17integral_constantIbLb1EESX_EEDaSS_ST_EUlSS_E_NS1_11comp_targetILNS1_3genE4ELNS1_11target_archE910ELNS1_3gpuE8ELNS1_3repE0EEENS1_30default_config_static_selectorELNS0_4arch9wavefront6targetE1EEEvT1_.kd
    .uniform_work_group_size: 1
    .uses_dynamic_stack: false
    .vgpr_count:     57
    .vgpr_spill_count: 0
    .wavefront_size: 64
  - .agpr_count:     0
    .args:
      - .offset:         0
        .size:           112
        .value_kind:     by_value
    .group_segment_fixed_size: 0
    .kernarg_segment_align: 8
    .kernarg_segment_size: 112
    .language:       OpenCL C
    .language_version:
      - 2
      - 0
    .max_flat_workgroup_size: 256
    .name:           _ZN7rocprim17ROCPRIM_400000_NS6detail17trampoline_kernelINS0_14default_configENS1_20scan_config_selectorIxEEZZNS1_9scan_implILNS1_25lookback_scan_determinismE0ELb1ELb1ES3_N6thrust23THRUST_200600_302600_NS6detail15normal_iteratorINS9_10device_ptrIxEEEENS9_16discard_iteratorINS9_11use_defaultEEEx11max_functorIxExEEDaPvRmT3_T4_T5_mT6_P12ihipStream_tbENKUlT_T0_E_clISt17integral_constantIbLb1EESX_EEDaSS_ST_EUlSS_E_NS1_11comp_targetILNS1_3genE3ELNS1_11target_archE908ELNS1_3gpuE7ELNS1_3repE0EEENS1_30default_config_static_selectorELNS0_4arch9wavefront6targetE1EEEvT1_
    .private_segment_fixed_size: 0
    .sgpr_count:     4
    .sgpr_spill_count: 0
    .symbol:         _ZN7rocprim17ROCPRIM_400000_NS6detail17trampoline_kernelINS0_14default_configENS1_20scan_config_selectorIxEEZZNS1_9scan_implILNS1_25lookback_scan_determinismE0ELb1ELb1ES3_N6thrust23THRUST_200600_302600_NS6detail15normal_iteratorINS9_10device_ptrIxEEEENS9_16discard_iteratorINS9_11use_defaultEEEx11max_functorIxExEEDaPvRmT3_T4_T5_mT6_P12ihipStream_tbENKUlT_T0_E_clISt17integral_constantIbLb1EESX_EEDaSS_ST_EUlSS_E_NS1_11comp_targetILNS1_3genE3ELNS1_11target_archE908ELNS1_3gpuE7ELNS1_3repE0EEENS1_30default_config_static_selectorELNS0_4arch9wavefront6targetE1EEEvT1_.kd
    .uniform_work_group_size: 1
    .uses_dynamic_stack: false
    .vgpr_count:     0
    .vgpr_spill_count: 0
    .wavefront_size: 64
  - .agpr_count:     0
    .args:
      - .offset:         0
        .size:           112
        .value_kind:     by_value
    .group_segment_fixed_size: 0
    .kernarg_segment_align: 8
    .kernarg_segment_size: 112
    .language:       OpenCL C
    .language_version:
      - 2
      - 0
    .max_flat_workgroup_size: 64
    .name:           _ZN7rocprim17ROCPRIM_400000_NS6detail17trampoline_kernelINS0_14default_configENS1_20scan_config_selectorIxEEZZNS1_9scan_implILNS1_25lookback_scan_determinismE0ELb1ELb1ES3_N6thrust23THRUST_200600_302600_NS6detail15normal_iteratorINS9_10device_ptrIxEEEENS9_16discard_iteratorINS9_11use_defaultEEEx11max_functorIxExEEDaPvRmT3_T4_T5_mT6_P12ihipStream_tbENKUlT_T0_E_clISt17integral_constantIbLb1EESX_EEDaSS_ST_EUlSS_E_NS1_11comp_targetILNS1_3genE2ELNS1_11target_archE906ELNS1_3gpuE6ELNS1_3repE0EEENS1_30default_config_static_selectorELNS0_4arch9wavefront6targetE1EEEvT1_
    .private_segment_fixed_size: 0
    .sgpr_count:     4
    .sgpr_spill_count: 0
    .symbol:         _ZN7rocprim17ROCPRIM_400000_NS6detail17trampoline_kernelINS0_14default_configENS1_20scan_config_selectorIxEEZZNS1_9scan_implILNS1_25lookback_scan_determinismE0ELb1ELb1ES3_N6thrust23THRUST_200600_302600_NS6detail15normal_iteratorINS9_10device_ptrIxEEEENS9_16discard_iteratorINS9_11use_defaultEEEx11max_functorIxExEEDaPvRmT3_T4_T5_mT6_P12ihipStream_tbENKUlT_T0_E_clISt17integral_constantIbLb1EESX_EEDaSS_ST_EUlSS_E_NS1_11comp_targetILNS1_3genE2ELNS1_11target_archE906ELNS1_3gpuE6ELNS1_3repE0EEENS1_30default_config_static_selectorELNS0_4arch9wavefront6targetE1EEEvT1_.kd
    .uniform_work_group_size: 1
    .uses_dynamic_stack: false
    .vgpr_count:     0
    .vgpr_spill_count: 0
    .wavefront_size: 64
  - .agpr_count:     0
    .args:
      - .offset:         0
        .size:           112
        .value_kind:     by_value
    .group_segment_fixed_size: 0
    .kernarg_segment_align: 8
    .kernarg_segment_size: 112
    .language:       OpenCL C
    .language_version:
      - 2
      - 0
    .max_flat_workgroup_size: 256
    .name:           _ZN7rocprim17ROCPRIM_400000_NS6detail17trampoline_kernelINS0_14default_configENS1_20scan_config_selectorIxEEZZNS1_9scan_implILNS1_25lookback_scan_determinismE0ELb1ELb1ES3_N6thrust23THRUST_200600_302600_NS6detail15normal_iteratorINS9_10device_ptrIxEEEENS9_16discard_iteratorINS9_11use_defaultEEEx11max_functorIxExEEDaPvRmT3_T4_T5_mT6_P12ihipStream_tbENKUlT_T0_E_clISt17integral_constantIbLb1EESX_EEDaSS_ST_EUlSS_E_NS1_11comp_targetILNS1_3genE10ELNS1_11target_archE1201ELNS1_3gpuE5ELNS1_3repE0EEENS1_30default_config_static_selectorELNS0_4arch9wavefront6targetE1EEEvT1_
    .private_segment_fixed_size: 0
    .sgpr_count:     4
    .sgpr_spill_count: 0
    .symbol:         _ZN7rocprim17ROCPRIM_400000_NS6detail17trampoline_kernelINS0_14default_configENS1_20scan_config_selectorIxEEZZNS1_9scan_implILNS1_25lookback_scan_determinismE0ELb1ELb1ES3_N6thrust23THRUST_200600_302600_NS6detail15normal_iteratorINS9_10device_ptrIxEEEENS9_16discard_iteratorINS9_11use_defaultEEEx11max_functorIxExEEDaPvRmT3_T4_T5_mT6_P12ihipStream_tbENKUlT_T0_E_clISt17integral_constantIbLb1EESX_EEDaSS_ST_EUlSS_E_NS1_11comp_targetILNS1_3genE10ELNS1_11target_archE1201ELNS1_3gpuE5ELNS1_3repE0EEENS1_30default_config_static_selectorELNS0_4arch9wavefront6targetE1EEEvT1_.kd
    .uniform_work_group_size: 1
    .uses_dynamic_stack: false
    .vgpr_count:     0
    .vgpr_spill_count: 0
    .wavefront_size: 64
  - .agpr_count:     0
    .args:
      - .offset:         0
        .size:           112
        .value_kind:     by_value
    .group_segment_fixed_size: 0
    .kernarg_segment_align: 8
    .kernarg_segment_size: 112
    .language:       OpenCL C
    .language_version:
      - 2
      - 0
    .max_flat_workgroup_size: 256
    .name:           _ZN7rocprim17ROCPRIM_400000_NS6detail17trampoline_kernelINS0_14default_configENS1_20scan_config_selectorIxEEZZNS1_9scan_implILNS1_25lookback_scan_determinismE0ELb1ELb1ES3_N6thrust23THRUST_200600_302600_NS6detail15normal_iteratorINS9_10device_ptrIxEEEENS9_16discard_iteratorINS9_11use_defaultEEEx11max_functorIxExEEDaPvRmT3_T4_T5_mT6_P12ihipStream_tbENKUlT_T0_E_clISt17integral_constantIbLb1EESX_EEDaSS_ST_EUlSS_E_NS1_11comp_targetILNS1_3genE10ELNS1_11target_archE1200ELNS1_3gpuE4ELNS1_3repE0EEENS1_30default_config_static_selectorELNS0_4arch9wavefront6targetE1EEEvT1_
    .private_segment_fixed_size: 0
    .sgpr_count:     4
    .sgpr_spill_count: 0
    .symbol:         _ZN7rocprim17ROCPRIM_400000_NS6detail17trampoline_kernelINS0_14default_configENS1_20scan_config_selectorIxEEZZNS1_9scan_implILNS1_25lookback_scan_determinismE0ELb1ELb1ES3_N6thrust23THRUST_200600_302600_NS6detail15normal_iteratorINS9_10device_ptrIxEEEENS9_16discard_iteratorINS9_11use_defaultEEEx11max_functorIxExEEDaPvRmT3_T4_T5_mT6_P12ihipStream_tbENKUlT_T0_E_clISt17integral_constantIbLb1EESX_EEDaSS_ST_EUlSS_E_NS1_11comp_targetILNS1_3genE10ELNS1_11target_archE1200ELNS1_3gpuE4ELNS1_3repE0EEENS1_30default_config_static_selectorELNS0_4arch9wavefront6targetE1EEEvT1_.kd
    .uniform_work_group_size: 1
    .uses_dynamic_stack: false
    .vgpr_count:     0
    .vgpr_spill_count: 0
    .wavefront_size: 64
  - .agpr_count:     0
    .args:
      - .offset:         0
        .size:           112
        .value_kind:     by_value
    .group_segment_fixed_size: 0
    .kernarg_segment_align: 8
    .kernarg_segment_size: 112
    .language:       OpenCL C
    .language_version:
      - 2
      - 0
    .max_flat_workgroup_size: 256
    .name:           _ZN7rocprim17ROCPRIM_400000_NS6detail17trampoline_kernelINS0_14default_configENS1_20scan_config_selectorIxEEZZNS1_9scan_implILNS1_25lookback_scan_determinismE0ELb1ELb1ES3_N6thrust23THRUST_200600_302600_NS6detail15normal_iteratorINS9_10device_ptrIxEEEENS9_16discard_iteratorINS9_11use_defaultEEEx11max_functorIxExEEDaPvRmT3_T4_T5_mT6_P12ihipStream_tbENKUlT_T0_E_clISt17integral_constantIbLb1EESX_EEDaSS_ST_EUlSS_E_NS1_11comp_targetILNS1_3genE9ELNS1_11target_archE1100ELNS1_3gpuE3ELNS1_3repE0EEENS1_30default_config_static_selectorELNS0_4arch9wavefront6targetE1EEEvT1_
    .private_segment_fixed_size: 0
    .sgpr_count:     4
    .sgpr_spill_count: 0
    .symbol:         _ZN7rocprim17ROCPRIM_400000_NS6detail17trampoline_kernelINS0_14default_configENS1_20scan_config_selectorIxEEZZNS1_9scan_implILNS1_25lookback_scan_determinismE0ELb1ELb1ES3_N6thrust23THRUST_200600_302600_NS6detail15normal_iteratorINS9_10device_ptrIxEEEENS9_16discard_iteratorINS9_11use_defaultEEEx11max_functorIxExEEDaPvRmT3_T4_T5_mT6_P12ihipStream_tbENKUlT_T0_E_clISt17integral_constantIbLb1EESX_EEDaSS_ST_EUlSS_E_NS1_11comp_targetILNS1_3genE9ELNS1_11target_archE1100ELNS1_3gpuE3ELNS1_3repE0EEENS1_30default_config_static_selectorELNS0_4arch9wavefront6targetE1EEEvT1_.kd
    .uniform_work_group_size: 1
    .uses_dynamic_stack: false
    .vgpr_count:     0
    .vgpr_spill_count: 0
    .wavefront_size: 64
  - .agpr_count:     0
    .args:
      - .offset:         0
        .size:           112
        .value_kind:     by_value
    .group_segment_fixed_size: 0
    .kernarg_segment_align: 8
    .kernarg_segment_size: 112
    .language:       OpenCL C
    .language_version:
      - 2
      - 0
    .max_flat_workgroup_size: 256
    .name:           _ZN7rocprim17ROCPRIM_400000_NS6detail17trampoline_kernelINS0_14default_configENS1_20scan_config_selectorIxEEZZNS1_9scan_implILNS1_25lookback_scan_determinismE0ELb1ELb1ES3_N6thrust23THRUST_200600_302600_NS6detail15normal_iteratorINS9_10device_ptrIxEEEENS9_16discard_iteratorINS9_11use_defaultEEEx11max_functorIxExEEDaPvRmT3_T4_T5_mT6_P12ihipStream_tbENKUlT_T0_E_clISt17integral_constantIbLb1EESX_EEDaSS_ST_EUlSS_E_NS1_11comp_targetILNS1_3genE8ELNS1_11target_archE1030ELNS1_3gpuE2ELNS1_3repE0EEENS1_30default_config_static_selectorELNS0_4arch9wavefront6targetE1EEEvT1_
    .private_segment_fixed_size: 0
    .sgpr_count:     4
    .sgpr_spill_count: 0
    .symbol:         _ZN7rocprim17ROCPRIM_400000_NS6detail17trampoline_kernelINS0_14default_configENS1_20scan_config_selectorIxEEZZNS1_9scan_implILNS1_25lookback_scan_determinismE0ELb1ELb1ES3_N6thrust23THRUST_200600_302600_NS6detail15normal_iteratorINS9_10device_ptrIxEEEENS9_16discard_iteratorINS9_11use_defaultEEEx11max_functorIxExEEDaPvRmT3_T4_T5_mT6_P12ihipStream_tbENKUlT_T0_E_clISt17integral_constantIbLb1EESX_EEDaSS_ST_EUlSS_E_NS1_11comp_targetILNS1_3genE8ELNS1_11target_archE1030ELNS1_3gpuE2ELNS1_3repE0EEENS1_30default_config_static_selectorELNS0_4arch9wavefront6targetE1EEEvT1_.kd
    .uniform_work_group_size: 1
    .uses_dynamic_stack: false
    .vgpr_count:     0
    .vgpr_spill_count: 0
    .wavefront_size: 64
  - .agpr_count:     0
    .args:
      - .offset:         0
        .size:           48
        .value_kind:     by_value
    .group_segment_fixed_size: 0
    .kernarg_segment_align: 8
    .kernarg_segment_size: 48
    .language:       OpenCL C
    .language_version:
      - 2
      - 0
    .max_flat_workgroup_size: 256
    .name:           _ZN7rocprim17ROCPRIM_400000_NS6detail17trampoline_kernelINS0_14default_configENS1_20scan_config_selectorIxEEZZNS1_9scan_implILNS1_25lookback_scan_determinismE0ELb1ELb1ES3_N6thrust23THRUST_200600_302600_NS6detail15normal_iteratorINS9_10device_ptrIxEEEENS9_16discard_iteratorINS9_11use_defaultEEEx11max_functorIxExEEDaPvRmT3_T4_T5_mT6_P12ihipStream_tbENKUlT_T0_E_clISt17integral_constantIbLb1EESX_EEDaSS_ST_EUlSS_E0_NS1_11comp_targetILNS1_3genE0ELNS1_11target_archE4294967295ELNS1_3gpuE0ELNS1_3repE0EEENS1_30default_config_static_selectorELNS0_4arch9wavefront6targetE1EEEvT1_
    .private_segment_fixed_size: 0
    .sgpr_count:     4
    .sgpr_spill_count: 0
    .symbol:         _ZN7rocprim17ROCPRIM_400000_NS6detail17trampoline_kernelINS0_14default_configENS1_20scan_config_selectorIxEEZZNS1_9scan_implILNS1_25lookback_scan_determinismE0ELb1ELb1ES3_N6thrust23THRUST_200600_302600_NS6detail15normal_iteratorINS9_10device_ptrIxEEEENS9_16discard_iteratorINS9_11use_defaultEEEx11max_functorIxExEEDaPvRmT3_T4_T5_mT6_P12ihipStream_tbENKUlT_T0_E_clISt17integral_constantIbLb1EESX_EEDaSS_ST_EUlSS_E0_NS1_11comp_targetILNS1_3genE0ELNS1_11target_archE4294967295ELNS1_3gpuE0ELNS1_3repE0EEENS1_30default_config_static_selectorELNS0_4arch9wavefront6targetE1EEEvT1_.kd
    .uniform_work_group_size: 1
    .uses_dynamic_stack: false
    .vgpr_count:     0
    .vgpr_spill_count: 0
    .wavefront_size: 64
  - .agpr_count:     0
    .args:
      - .offset:         0
        .size:           48
        .value_kind:     by_value
    .group_segment_fixed_size: 0
    .kernarg_segment_align: 8
    .kernarg_segment_size: 48
    .language:       OpenCL C
    .language_version:
      - 2
      - 0
    .max_flat_workgroup_size: 256
    .name:           _ZN7rocprim17ROCPRIM_400000_NS6detail17trampoline_kernelINS0_14default_configENS1_20scan_config_selectorIxEEZZNS1_9scan_implILNS1_25lookback_scan_determinismE0ELb1ELb1ES3_N6thrust23THRUST_200600_302600_NS6detail15normal_iteratorINS9_10device_ptrIxEEEENS9_16discard_iteratorINS9_11use_defaultEEEx11max_functorIxExEEDaPvRmT3_T4_T5_mT6_P12ihipStream_tbENKUlT_T0_E_clISt17integral_constantIbLb1EESX_EEDaSS_ST_EUlSS_E0_NS1_11comp_targetILNS1_3genE5ELNS1_11target_archE942ELNS1_3gpuE9ELNS1_3repE0EEENS1_30default_config_static_selectorELNS0_4arch9wavefront6targetE1EEEvT1_
    .private_segment_fixed_size: 0
    .sgpr_count:     4
    .sgpr_spill_count: 0
    .symbol:         _ZN7rocprim17ROCPRIM_400000_NS6detail17trampoline_kernelINS0_14default_configENS1_20scan_config_selectorIxEEZZNS1_9scan_implILNS1_25lookback_scan_determinismE0ELb1ELb1ES3_N6thrust23THRUST_200600_302600_NS6detail15normal_iteratorINS9_10device_ptrIxEEEENS9_16discard_iteratorINS9_11use_defaultEEEx11max_functorIxExEEDaPvRmT3_T4_T5_mT6_P12ihipStream_tbENKUlT_T0_E_clISt17integral_constantIbLb1EESX_EEDaSS_ST_EUlSS_E0_NS1_11comp_targetILNS1_3genE5ELNS1_11target_archE942ELNS1_3gpuE9ELNS1_3repE0EEENS1_30default_config_static_selectorELNS0_4arch9wavefront6targetE1EEEvT1_.kd
    .uniform_work_group_size: 1
    .uses_dynamic_stack: false
    .vgpr_count:     0
    .vgpr_spill_count: 0
    .wavefront_size: 64
  - .agpr_count:     0
    .args:
      - .offset:         0
        .size:           48
        .value_kind:     by_value
    .group_segment_fixed_size: 7168
    .kernarg_segment_align: 8
    .kernarg_segment_size: 48
    .language:       OpenCL C
    .language_version:
      - 2
      - 0
    .max_flat_workgroup_size: 128
    .name:           _ZN7rocprim17ROCPRIM_400000_NS6detail17trampoline_kernelINS0_14default_configENS1_20scan_config_selectorIxEEZZNS1_9scan_implILNS1_25lookback_scan_determinismE0ELb1ELb1ES3_N6thrust23THRUST_200600_302600_NS6detail15normal_iteratorINS9_10device_ptrIxEEEENS9_16discard_iteratorINS9_11use_defaultEEEx11max_functorIxExEEDaPvRmT3_T4_T5_mT6_P12ihipStream_tbENKUlT_T0_E_clISt17integral_constantIbLb1EESX_EEDaSS_ST_EUlSS_E0_NS1_11comp_targetILNS1_3genE4ELNS1_11target_archE910ELNS1_3gpuE8ELNS1_3repE0EEENS1_30default_config_static_selectorELNS0_4arch9wavefront6targetE1EEEvT1_
    .private_segment_fixed_size: 0
    .sgpr_count:     14
    .sgpr_spill_count: 0
    .symbol:         _ZN7rocprim17ROCPRIM_400000_NS6detail17trampoline_kernelINS0_14default_configENS1_20scan_config_selectorIxEEZZNS1_9scan_implILNS1_25lookback_scan_determinismE0ELb1ELb1ES3_N6thrust23THRUST_200600_302600_NS6detail15normal_iteratorINS9_10device_ptrIxEEEENS9_16discard_iteratorINS9_11use_defaultEEEx11max_functorIxExEEDaPvRmT3_T4_T5_mT6_P12ihipStream_tbENKUlT_T0_E_clISt17integral_constantIbLb1EESX_EEDaSS_ST_EUlSS_E0_NS1_11comp_targetILNS1_3genE4ELNS1_11target_archE910ELNS1_3gpuE8ELNS1_3repE0EEENS1_30default_config_static_selectorELNS0_4arch9wavefront6targetE1EEEvT1_.kd
    .uniform_work_group_size: 1
    .uses_dynamic_stack: false
    .vgpr_count:     29
    .vgpr_spill_count: 0
    .wavefront_size: 64
  - .agpr_count:     0
    .args:
      - .offset:         0
        .size:           48
        .value_kind:     by_value
    .group_segment_fixed_size: 0
    .kernarg_segment_align: 8
    .kernarg_segment_size: 48
    .language:       OpenCL C
    .language_version:
      - 2
      - 0
    .max_flat_workgroup_size: 256
    .name:           _ZN7rocprim17ROCPRIM_400000_NS6detail17trampoline_kernelINS0_14default_configENS1_20scan_config_selectorIxEEZZNS1_9scan_implILNS1_25lookback_scan_determinismE0ELb1ELb1ES3_N6thrust23THRUST_200600_302600_NS6detail15normal_iteratorINS9_10device_ptrIxEEEENS9_16discard_iteratorINS9_11use_defaultEEEx11max_functorIxExEEDaPvRmT3_T4_T5_mT6_P12ihipStream_tbENKUlT_T0_E_clISt17integral_constantIbLb1EESX_EEDaSS_ST_EUlSS_E0_NS1_11comp_targetILNS1_3genE3ELNS1_11target_archE908ELNS1_3gpuE7ELNS1_3repE0EEENS1_30default_config_static_selectorELNS0_4arch9wavefront6targetE1EEEvT1_
    .private_segment_fixed_size: 0
    .sgpr_count:     4
    .sgpr_spill_count: 0
    .symbol:         _ZN7rocprim17ROCPRIM_400000_NS6detail17trampoline_kernelINS0_14default_configENS1_20scan_config_selectorIxEEZZNS1_9scan_implILNS1_25lookback_scan_determinismE0ELb1ELb1ES3_N6thrust23THRUST_200600_302600_NS6detail15normal_iteratorINS9_10device_ptrIxEEEENS9_16discard_iteratorINS9_11use_defaultEEEx11max_functorIxExEEDaPvRmT3_T4_T5_mT6_P12ihipStream_tbENKUlT_T0_E_clISt17integral_constantIbLb1EESX_EEDaSS_ST_EUlSS_E0_NS1_11comp_targetILNS1_3genE3ELNS1_11target_archE908ELNS1_3gpuE7ELNS1_3repE0EEENS1_30default_config_static_selectorELNS0_4arch9wavefront6targetE1EEEvT1_.kd
    .uniform_work_group_size: 1
    .uses_dynamic_stack: false
    .vgpr_count:     0
    .vgpr_spill_count: 0
    .wavefront_size: 64
  - .agpr_count:     0
    .args:
      - .offset:         0
        .size:           48
        .value_kind:     by_value
    .group_segment_fixed_size: 0
    .kernarg_segment_align: 8
    .kernarg_segment_size: 48
    .language:       OpenCL C
    .language_version:
      - 2
      - 0
    .max_flat_workgroup_size: 64
    .name:           _ZN7rocprim17ROCPRIM_400000_NS6detail17trampoline_kernelINS0_14default_configENS1_20scan_config_selectorIxEEZZNS1_9scan_implILNS1_25lookback_scan_determinismE0ELb1ELb1ES3_N6thrust23THRUST_200600_302600_NS6detail15normal_iteratorINS9_10device_ptrIxEEEENS9_16discard_iteratorINS9_11use_defaultEEEx11max_functorIxExEEDaPvRmT3_T4_T5_mT6_P12ihipStream_tbENKUlT_T0_E_clISt17integral_constantIbLb1EESX_EEDaSS_ST_EUlSS_E0_NS1_11comp_targetILNS1_3genE2ELNS1_11target_archE906ELNS1_3gpuE6ELNS1_3repE0EEENS1_30default_config_static_selectorELNS0_4arch9wavefront6targetE1EEEvT1_
    .private_segment_fixed_size: 0
    .sgpr_count:     4
    .sgpr_spill_count: 0
    .symbol:         _ZN7rocprim17ROCPRIM_400000_NS6detail17trampoline_kernelINS0_14default_configENS1_20scan_config_selectorIxEEZZNS1_9scan_implILNS1_25lookback_scan_determinismE0ELb1ELb1ES3_N6thrust23THRUST_200600_302600_NS6detail15normal_iteratorINS9_10device_ptrIxEEEENS9_16discard_iteratorINS9_11use_defaultEEEx11max_functorIxExEEDaPvRmT3_T4_T5_mT6_P12ihipStream_tbENKUlT_T0_E_clISt17integral_constantIbLb1EESX_EEDaSS_ST_EUlSS_E0_NS1_11comp_targetILNS1_3genE2ELNS1_11target_archE906ELNS1_3gpuE6ELNS1_3repE0EEENS1_30default_config_static_selectorELNS0_4arch9wavefront6targetE1EEEvT1_.kd
    .uniform_work_group_size: 1
    .uses_dynamic_stack: false
    .vgpr_count:     0
    .vgpr_spill_count: 0
    .wavefront_size: 64
  - .agpr_count:     0
    .args:
      - .offset:         0
        .size:           48
        .value_kind:     by_value
    .group_segment_fixed_size: 0
    .kernarg_segment_align: 8
    .kernarg_segment_size: 48
    .language:       OpenCL C
    .language_version:
      - 2
      - 0
    .max_flat_workgroup_size: 256
    .name:           _ZN7rocprim17ROCPRIM_400000_NS6detail17trampoline_kernelINS0_14default_configENS1_20scan_config_selectorIxEEZZNS1_9scan_implILNS1_25lookback_scan_determinismE0ELb1ELb1ES3_N6thrust23THRUST_200600_302600_NS6detail15normal_iteratorINS9_10device_ptrIxEEEENS9_16discard_iteratorINS9_11use_defaultEEEx11max_functorIxExEEDaPvRmT3_T4_T5_mT6_P12ihipStream_tbENKUlT_T0_E_clISt17integral_constantIbLb1EESX_EEDaSS_ST_EUlSS_E0_NS1_11comp_targetILNS1_3genE10ELNS1_11target_archE1201ELNS1_3gpuE5ELNS1_3repE0EEENS1_30default_config_static_selectorELNS0_4arch9wavefront6targetE1EEEvT1_
    .private_segment_fixed_size: 0
    .sgpr_count:     4
    .sgpr_spill_count: 0
    .symbol:         _ZN7rocprim17ROCPRIM_400000_NS6detail17trampoline_kernelINS0_14default_configENS1_20scan_config_selectorIxEEZZNS1_9scan_implILNS1_25lookback_scan_determinismE0ELb1ELb1ES3_N6thrust23THRUST_200600_302600_NS6detail15normal_iteratorINS9_10device_ptrIxEEEENS9_16discard_iteratorINS9_11use_defaultEEEx11max_functorIxExEEDaPvRmT3_T4_T5_mT6_P12ihipStream_tbENKUlT_T0_E_clISt17integral_constantIbLb1EESX_EEDaSS_ST_EUlSS_E0_NS1_11comp_targetILNS1_3genE10ELNS1_11target_archE1201ELNS1_3gpuE5ELNS1_3repE0EEENS1_30default_config_static_selectorELNS0_4arch9wavefront6targetE1EEEvT1_.kd
    .uniform_work_group_size: 1
    .uses_dynamic_stack: false
    .vgpr_count:     0
    .vgpr_spill_count: 0
    .wavefront_size: 64
  - .agpr_count:     0
    .args:
      - .offset:         0
        .size:           48
        .value_kind:     by_value
    .group_segment_fixed_size: 0
    .kernarg_segment_align: 8
    .kernarg_segment_size: 48
    .language:       OpenCL C
    .language_version:
      - 2
      - 0
    .max_flat_workgroup_size: 256
    .name:           _ZN7rocprim17ROCPRIM_400000_NS6detail17trampoline_kernelINS0_14default_configENS1_20scan_config_selectorIxEEZZNS1_9scan_implILNS1_25lookback_scan_determinismE0ELb1ELb1ES3_N6thrust23THRUST_200600_302600_NS6detail15normal_iteratorINS9_10device_ptrIxEEEENS9_16discard_iteratorINS9_11use_defaultEEEx11max_functorIxExEEDaPvRmT3_T4_T5_mT6_P12ihipStream_tbENKUlT_T0_E_clISt17integral_constantIbLb1EESX_EEDaSS_ST_EUlSS_E0_NS1_11comp_targetILNS1_3genE10ELNS1_11target_archE1200ELNS1_3gpuE4ELNS1_3repE0EEENS1_30default_config_static_selectorELNS0_4arch9wavefront6targetE1EEEvT1_
    .private_segment_fixed_size: 0
    .sgpr_count:     4
    .sgpr_spill_count: 0
    .symbol:         _ZN7rocprim17ROCPRIM_400000_NS6detail17trampoline_kernelINS0_14default_configENS1_20scan_config_selectorIxEEZZNS1_9scan_implILNS1_25lookback_scan_determinismE0ELb1ELb1ES3_N6thrust23THRUST_200600_302600_NS6detail15normal_iteratorINS9_10device_ptrIxEEEENS9_16discard_iteratorINS9_11use_defaultEEEx11max_functorIxExEEDaPvRmT3_T4_T5_mT6_P12ihipStream_tbENKUlT_T0_E_clISt17integral_constantIbLb1EESX_EEDaSS_ST_EUlSS_E0_NS1_11comp_targetILNS1_3genE10ELNS1_11target_archE1200ELNS1_3gpuE4ELNS1_3repE0EEENS1_30default_config_static_selectorELNS0_4arch9wavefront6targetE1EEEvT1_.kd
    .uniform_work_group_size: 1
    .uses_dynamic_stack: false
    .vgpr_count:     0
    .vgpr_spill_count: 0
    .wavefront_size: 64
  - .agpr_count:     0
    .args:
      - .offset:         0
        .size:           48
        .value_kind:     by_value
    .group_segment_fixed_size: 0
    .kernarg_segment_align: 8
    .kernarg_segment_size: 48
    .language:       OpenCL C
    .language_version:
      - 2
      - 0
    .max_flat_workgroup_size: 256
    .name:           _ZN7rocprim17ROCPRIM_400000_NS6detail17trampoline_kernelINS0_14default_configENS1_20scan_config_selectorIxEEZZNS1_9scan_implILNS1_25lookback_scan_determinismE0ELb1ELb1ES3_N6thrust23THRUST_200600_302600_NS6detail15normal_iteratorINS9_10device_ptrIxEEEENS9_16discard_iteratorINS9_11use_defaultEEEx11max_functorIxExEEDaPvRmT3_T4_T5_mT6_P12ihipStream_tbENKUlT_T0_E_clISt17integral_constantIbLb1EESX_EEDaSS_ST_EUlSS_E0_NS1_11comp_targetILNS1_3genE9ELNS1_11target_archE1100ELNS1_3gpuE3ELNS1_3repE0EEENS1_30default_config_static_selectorELNS0_4arch9wavefront6targetE1EEEvT1_
    .private_segment_fixed_size: 0
    .sgpr_count:     4
    .sgpr_spill_count: 0
    .symbol:         _ZN7rocprim17ROCPRIM_400000_NS6detail17trampoline_kernelINS0_14default_configENS1_20scan_config_selectorIxEEZZNS1_9scan_implILNS1_25lookback_scan_determinismE0ELb1ELb1ES3_N6thrust23THRUST_200600_302600_NS6detail15normal_iteratorINS9_10device_ptrIxEEEENS9_16discard_iteratorINS9_11use_defaultEEEx11max_functorIxExEEDaPvRmT3_T4_T5_mT6_P12ihipStream_tbENKUlT_T0_E_clISt17integral_constantIbLb1EESX_EEDaSS_ST_EUlSS_E0_NS1_11comp_targetILNS1_3genE9ELNS1_11target_archE1100ELNS1_3gpuE3ELNS1_3repE0EEENS1_30default_config_static_selectorELNS0_4arch9wavefront6targetE1EEEvT1_.kd
    .uniform_work_group_size: 1
    .uses_dynamic_stack: false
    .vgpr_count:     0
    .vgpr_spill_count: 0
    .wavefront_size: 64
  - .agpr_count:     0
    .args:
      - .offset:         0
        .size:           48
        .value_kind:     by_value
    .group_segment_fixed_size: 0
    .kernarg_segment_align: 8
    .kernarg_segment_size: 48
    .language:       OpenCL C
    .language_version:
      - 2
      - 0
    .max_flat_workgroup_size: 256
    .name:           _ZN7rocprim17ROCPRIM_400000_NS6detail17trampoline_kernelINS0_14default_configENS1_20scan_config_selectorIxEEZZNS1_9scan_implILNS1_25lookback_scan_determinismE0ELb1ELb1ES3_N6thrust23THRUST_200600_302600_NS6detail15normal_iteratorINS9_10device_ptrIxEEEENS9_16discard_iteratorINS9_11use_defaultEEEx11max_functorIxExEEDaPvRmT3_T4_T5_mT6_P12ihipStream_tbENKUlT_T0_E_clISt17integral_constantIbLb1EESX_EEDaSS_ST_EUlSS_E0_NS1_11comp_targetILNS1_3genE8ELNS1_11target_archE1030ELNS1_3gpuE2ELNS1_3repE0EEENS1_30default_config_static_selectorELNS0_4arch9wavefront6targetE1EEEvT1_
    .private_segment_fixed_size: 0
    .sgpr_count:     4
    .sgpr_spill_count: 0
    .symbol:         _ZN7rocprim17ROCPRIM_400000_NS6detail17trampoline_kernelINS0_14default_configENS1_20scan_config_selectorIxEEZZNS1_9scan_implILNS1_25lookback_scan_determinismE0ELb1ELb1ES3_N6thrust23THRUST_200600_302600_NS6detail15normal_iteratorINS9_10device_ptrIxEEEENS9_16discard_iteratorINS9_11use_defaultEEEx11max_functorIxExEEDaPvRmT3_T4_T5_mT6_P12ihipStream_tbENKUlT_T0_E_clISt17integral_constantIbLb1EESX_EEDaSS_ST_EUlSS_E0_NS1_11comp_targetILNS1_3genE8ELNS1_11target_archE1030ELNS1_3gpuE2ELNS1_3repE0EEENS1_30default_config_static_selectorELNS0_4arch9wavefront6targetE1EEEvT1_.kd
    .uniform_work_group_size: 1
    .uses_dynamic_stack: false
    .vgpr_count:     0
    .vgpr_spill_count: 0
    .wavefront_size: 64
  - .agpr_count:     0
    .args:
      - .offset:         0
        .size:           112
        .value_kind:     by_value
    .group_segment_fixed_size: 0
    .kernarg_segment_align: 8
    .kernarg_segment_size: 112
    .language:       OpenCL C
    .language_version:
      - 2
      - 0
    .max_flat_workgroup_size: 256
    .name:           _ZN7rocprim17ROCPRIM_400000_NS6detail17trampoline_kernelINS0_14default_configENS1_20scan_config_selectorIxEEZZNS1_9scan_implILNS1_25lookback_scan_determinismE0ELb1ELb1ES3_N6thrust23THRUST_200600_302600_NS6detail15normal_iteratorINS9_10device_ptrIxEEEENS9_16discard_iteratorINS9_11use_defaultEEEx11max_functorIxExEEDaPvRmT3_T4_T5_mT6_P12ihipStream_tbENKUlT_T0_E_clISt17integral_constantIbLb1EESW_IbLb0EEEEDaSS_ST_EUlSS_E_NS1_11comp_targetILNS1_3genE0ELNS1_11target_archE4294967295ELNS1_3gpuE0ELNS1_3repE0EEENS1_30default_config_static_selectorELNS0_4arch9wavefront6targetE1EEEvT1_
    .private_segment_fixed_size: 0
    .sgpr_count:     4
    .sgpr_spill_count: 0
    .symbol:         _ZN7rocprim17ROCPRIM_400000_NS6detail17trampoline_kernelINS0_14default_configENS1_20scan_config_selectorIxEEZZNS1_9scan_implILNS1_25lookback_scan_determinismE0ELb1ELb1ES3_N6thrust23THRUST_200600_302600_NS6detail15normal_iteratorINS9_10device_ptrIxEEEENS9_16discard_iteratorINS9_11use_defaultEEEx11max_functorIxExEEDaPvRmT3_T4_T5_mT6_P12ihipStream_tbENKUlT_T0_E_clISt17integral_constantIbLb1EESW_IbLb0EEEEDaSS_ST_EUlSS_E_NS1_11comp_targetILNS1_3genE0ELNS1_11target_archE4294967295ELNS1_3gpuE0ELNS1_3repE0EEENS1_30default_config_static_selectorELNS0_4arch9wavefront6targetE1EEEvT1_.kd
    .uniform_work_group_size: 1
    .uses_dynamic_stack: false
    .vgpr_count:     0
    .vgpr_spill_count: 0
    .wavefront_size: 64
  - .agpr_count:     0
    .args:
      - .offset:         0
        .size:           112
        .value_kind:     by_value
    .group_segment_fixed_size: 0
    .kernarg_segment_align: 8
    .kernarg_segment_size: 112
    .language:       OpenCL C
    .language_version:
      - 2
      - 0
    .max_flat_workgroup_size: 256
    .name:           _ZN7rocprim17ROCPRIM_400000_NS6detail17trampoline_kernelINS0_14default_configENS1_20scan_config_selectorIxEEZZNS1_9scan_implILNS1_25lookback_scan_determinismE0ELb1ELb1ES3_N6thrust23THRUST_200600_302600_NS6detail15normal_iteratorINS9_10device_ptrIxEEEENS9_16discard_iteratorINS9_11use_defaultEEEx11max_functorIxExEEDaPvRmT3_T4_T5_mT6_P12ihipStream_tbENKUlT_T0_E_clISt17integral_constantIbLb1EESW_IbLb0EEEEDaSS_ST_EUlSS_E_NS1_11comp_targetILNS1_3genE5ELNS1_11target_archE942ELNS1_3gpuE9ELNS1_3repE0EEENS1_30default_config_static_selectorELNS0_4arch9wavefront6targetE1EEEvT1_
    .private_segment_fixed_size: 0
    .sgpr_count:     4
    .sgpr_spill_count: 0
    .symbol:         _ZN7rocprim17ROCPRIM_400000_NS6detail17trampoline_kernelINS0_14default_configENS1_20scan_config_selectorIxEEZZNS1_9scan_implILNS1_25lookback_scan_determinismE0ELb1ELb1ES3_N6thrust23THRUST_200600_302600_NS6detail15normal_iteratorINS9_10device_ptrIxEEEENS9_16discard_iteratorINS9_11use_defaultEEEx11max_functorIxExEEDaPvRmT3_T4_T5_mT6_P12ihipStream_tbENKUlT_T0_E_clISt17integral_constantIbLb1EESW_IbLb0EEEEDaSS_ST_EUlSS_E_NS1_11comp_targetILNS1_3genE5ELNS1_11target_archE942ELNS1_3gpuE9ELNS1_3repE0EEENS1_30default_config_static_selectorELNS0_4arch9wavefront6targetE1EEEvT1_.kd
    .uniform_work_group_size: 1
    .uses_dynamic_stack: false
    .vgpr_count:     0
    .vgpr_spill_count: 0
    .wavefront_size: 64
  - .agpr_count:     0
    .args:
      - .offset:         0
        .size:           112
        .value_kind:     by_value
    .group_segment_fixed_size: 7168
    .kernarg_segment_align: 8
    .kernarg_segment_size: 112
    .language:       OpenCL C
    .language_version:
      - 2
      - 0
    .max_flat_workgroup_size: 128
    .name:           _ZN7rocprim17ROCPRIM_400000_NS6detail17trampoline_kernelINS0_14default_configENS1_20scan_config_selectorIxEEZZNS1_9scan_implILNS1_25lookback_scan_determinismE0ELb1ELb1ES3_N6thrust23THRUST_200600_302600_NS6detail15normal_iteratorINS9_10device_ptrIxEEEENS9_16discard_iteratorINS9_11use_defaultEEEx11max_functorIxExEEDaPvRmT3_T4_T5_mT6_P12ihipStream_tbENKUlT_T0_E_clISt17integral_constantIbLb1EESW_IbLb0EEEEDaSS_ST_EUlSS_E_NS1_11comp_targetILNS1_3genE4ELNS1_11target_archE910ELNS1_3gpuE8ELNS1_3repE0EEENS1_30default_config_static_selectorELNS0_4arch9wavefront6targetE1EEEvT1_
    .private_segment_fixed_size: 0
    .sgpr_count:     32
    .sgpr_spill_count: 0
    .symbol:         _ZN7rocprim17ROCPRIM_400000_NS6detail17trampoline_kernelINS0_14default_configENS1_20scan_config_selectorIxEEZZNS1_9scan_implILNS1_25lookback_scan_determinismE0ELb1ELb1ES3_N6thrust23THRUST_200600_302600_NS6detail15normal_iteratorINS9_10device_ptrIxEEEENS9_16discard_iteratorINS9_11use_defaultEEEx11max_functorIxExEEDaPvRmT3_T4_T5_mT6_P12ihipStream_tbENKUlT_T0_E_clISt17integral_constantIbLb1EESW_IbLb0EEEEDaSS_ST_EUlSS_E_NS1_11comp_targetILNS1_3genE4ELNS1_11target_archE910ELNS1_3gpuE8ELNS1_3repE0EEENS1_30default_config_static_selectorELNS0_4arch9wavefront6targetE1EEEvT1_.kd
    .uniform_work_group_size: 1
    .uses_dynamic_stack: false
    .vgpr_count:     57
    .vgpr_spill_count: 0
    .wavefront_size: 64
  - .agpr_count:     0
    .args:
      - .offset:         0
        .size:           112
        .value_kind:     by_value
    .group_segment_fixed_size: 0
    .kernarg_segment_align: 8
    .kernarg_segment_size: 112
    .language:       OpenCL C
    .language_version:
      - 2
      - 0
    .max_flat_workgroup_size: 256
    .name:           _ZN7rocprim17ROCPRIM_400000_NS6detail17trampoline_kernelINS0_14default_configENS1_20scan_config_selectorIxEEZZNS1_9scan_implILNS1_25lookback_scan_determinismE0ELb1ELb1ES3_N6thrust23THRUST_200600_302600_NS6detail15normal_iteratorINS9_10device_ptrIxEEEENS9_16discard_iteratorINS9_11use_defaultEEEx11max_functorIxExEEDaPvRmT3_T4_T5_mT6_P12ihipStream_tbENKUlT_T0_E_clISt17integral_constantIbLb1EESW_IbLb0EEEEDaSS_ST_EUlSS_E_NS1_11comp_targetILNS1_3genE3ELNS1_11target_archE908ELNS1_3gpuE7ELNS1_3repE0EEENS1_30default_config_static_selectorELNS0_4arch9wavefront6targetE1EEEvT1_
    .private_segment_fixed_size: 0
    .sgpr_count:     4
    .sgpr_spill_count: 0
    .symbol:         _ZN7rocprim17ROCPRIM_400000_NS6detail17trampoline_kernelINS0_14default_configENS1_20scan_config_selectorIxEEZZNS1_9scan_implILNS1_25lookback_scan_determinismE0ELb1ELb1ES3_N6thrust23THRUST_200600_302600_NS6detail15normal_iteratorINS9_10device_ptrIxEEEENS9_16discard_iteratorINS9_11use_defaultEEEx11max_functorIxExEEDaPvRmT3_T4_T5_mT6_P12ihipStream_tbENKUlT_T0_E_clISt17integral_constantIbLb1EESW_IbLb0EEEEDaSS_ST_EUlSS_E_NS1_11comp_targetILNS1_3genE3ELNS1_11target_archE908ELNS1_3gpuE7ELNS1_3repE0EEENS1_30default_config_static_selectorELNS0_4arch9wavefront6targetE1EEEvT1_.kd
    .uniform_work_group_size: 1
    .uses_dynamic_stack: false
    .vgpr_count:     0
    .vgpr_spill_count: 0
    .wavefront_size: 64
  - .agpr_count:     0
    .args:
      - .offset:         0
        .size:           112
        .value_kind:     by_value
    .group_segment_fixed_size: 0
    .kernarg_segment_align: 8
    .kernarg_segment_size: 112
    .language:       OpenCL C
    .language_version:
      - 2
      - 0
    .max_flat_workgroup_size: 64
    .name:           _ZN7rocprim17ROCPRIM_400000_NS6detail17trampoline_kernelINS0_14default_configENS1_20scan_config_selectorIxEEZZNS1_9scan_implILNS1_25lookback_scan_determinismE0ELb1ELb1ES3_N6thrust23THRUST_200600_302600_NS6detail15normal_iteratorINS9_10device_ptrIxEEEENS9_16discard_iteratorINS9_11use_defaultEEEx11max_functorIxExEEDaPvRmT3_T4_T5_mT6_P12ihipStream_tbENKUlT_T0_E_clISt17integral_constantIbLb1EESW_IbLb0EEEEDaSS_ST_EUlSS_E_NS1_11comp_targetILNS1_3genE2ELNS1_11target_archE906ELNS1_3gpuE6ELNS1_3repE0EEENS1_30default_config_static_selectorELNS0_4arch9wavefront6targetE1EEEvT1_
    .private_segment_fixed_size: 0
    .sgpr_count:     4
    .sgpr_spill_count: 0
    .symbol:         _ZN7rocprim17ROCPRIM_400000_NS6detail17trampoline_kernelINS0_14default_configENS1_20scan_config_selectorIxEEZZNS1_9scan_implILNS1_25lookback_scan_determinismE0ELb1ELb1ES3_N6thrust23THRUST_200600_302600_NS6detail15normal_iteratorINS9_10device_ptrIxEEEENS9_16discard_iteratorINS9_11use_defaultEEEx11max_functorIxExEEDaPvRmT3_T4_T5_mT6_P12ihipStream_tbENKUlT_T0_E_clISt17integral_constantIbLb1EESW_IbLb0EEEEDaSS_ST_EUlSS_E_NS1_11comp_targetILNS1_3genE2ELNS1_11target_archE906ELNS1_3gpuE6ELNS1_3repE0EEENS1_30default_config_static_selectorELNS0_4arch9wavefront6targetE1EEEvT1_.kd
    .uniform_work_group_size: 1
    .uses_dynamic_stack: false
    .vgpr_count:     0
    .vgpr_spill_count: 0
    .wavefront_size: 64
  - .agpr_count:     0
    .args:
      - .offset:         0
        .size:           112
        .value_kind:     by_value
    .group_segment_fixed_size: 0
    .kernarg_segment_align: 8
    .kernarg_segment_size: 112
    .language:       OpenCL C
    .language_version:
      - 2
      - 0
    .max_flat_workgroup_size: 256
    .name:           _ZN7rocprim17ROCPRIM_400000_NS6detail17trampoline_kernelINS0_14default_configENS1_20scan_config_selectorIxEEZZNS1_9scan_implILNS1_25lookback_scan_determinismE0ELb1ELb1ES3_N6thrust23THRUST_200600_302600_NS6detail15normal_iteratorINS9_10device_ptrIxEEEENS9_16discard_iteratorINS9_11use_defaultEEEx11max_functorIxExEEDaPvRmT3_T4_T5_mT6_P12ihipStream_tbENKUlT_T0_E_clISt17integral_constantIbLb1EESW_IbLb0EEEEDaSS_ST_EUlSS_E_NS1_11comp_targetILNS1_3genE10ELNS1_11target_archE1201ELNS1_3gpuE5ELNS1_3repE0EEENS1_30default_config_static_selectorELNS0_4arch9wavefront6targetE1EEEvT1_
    .private_segment_fixed_size: 0
    .sgpr_count:     4
    .sgpr_spill_count: 0
    .symbol:         _ZN7rocprim17ROCPRIM_400000_NS6detail17trampoline_kernelINS0_14default_configENS1_20scan_config_selectorIxEEZZNS1_9scan_implILNS1_25lookback_scan_determinismE0ELb1ELb1ES3_N6thrust23THRUST_200600_302600_NS6detail15normal_iteratorINS9_10device_ptrIxEEEENS9_16discard_iteratorINS9_11use_defaultEEEx11max_functorIxExEEDaPvRmT3_T4_T5_mT6_P12ihipStream_tbENKUlT_T0_E_clISt17integral_constantIbLb1EESW_IbLb0EEEEDaSS_ST_EUlSS_E_NS1_11comp_targetILNS1_3genE10ELNS1_11target_archE1201ELNS1_3gpuE5ELNS1_3repE0EEENS1_30default_config_static_selectorELNS0_4arch9wavefront6targetE1EEEvT1_.kd
    .uniform_work_group_size: 1
    .uses_dynamic_stack: false
    .vgpr_count:     0
    .vgpr_spill_count: 0
    .wavefront_size: 64
  - .agpr_count:     0
    .args:
      - .offset:         0
        .size:           112
        .value_kind:     by_value
    .group_segment_fixed_size: 0
    .kernarg_segment_align: 8
    .kernarg_segment_size: 112
    .language:       OpenCL C
    .language_version:
      - 2
      - 0
    .max_flat_workgroup_size: 256
    .name:           _ZN7rocprim17ROCPRIM_400000_NS6detail17trampoline_kernelINS0_14default_configENS1_20scan_config_selectorIxEEZZNS1_9scan_implILNS1_25lookback_scan_determinismE0ELb1ELb1ES3_N6thrust23THRUST_200600_302600_NS6detail15normal_iteratorINS9_10device_ptrIxEEEENS9_16discard_iteratorINS9_11use_defaultEEEx11max_functorIxExEEDaPvRmT3_T4_T5_mT6_P12ihipStream_tbENKUlT_T0_E_clISt17integral_constantIbLb1EESW_IbLb0EEEEDaSS_ST_EUlSS_E_NS1_11comp_targetILNS1_3genE10ELNS1_11target_archE1200ELNS1_3gpuE4ELNS1_3repE0EEENS1_30default_config_static_selectorELNS0_4arch9wavefront6targetE1EEEvT1_
    .private_segment_fixed_size: 0
    .sgpr_count:     4
    .sgpr_spill_count: 0
    .symbol:         _ZN7rocprim17ROCPRIM_400000_NS6detail17trampoline_kernelINS0_14default_configENS1_20scan_config_selectorIxEEZZNS1_9scan_implILNS1_25lookback_scan_determinismE0ELb1ELb1ES3_N6thrust23THRUST_200600_302600_NS6detail15normal_iteratorINS9_10device_ptrIxEEEENS9_16discard_iteratorINS9_11use_defaultEEEx11max_functorIxExEEDaPvRmT3_T4_T5_mT6_P12ihipStream_tbENKUlT_T0_E_clISt17integral_constantIbLb1EESW_IbLb0EEEEDaSS_ST_EUlSS_E_NS1_11comp_targetILNS1_3genE10ELNS1_11target_archE1200ELNS1_3gpuE4ELNS1_3repE0EEENS1_30default_config_static_selectorELNS0_4arch9wavefront6targetE1EEEvT1_.kd
    .uniform_work_group_size: 1
    .uses_dynamic_stack: false
    .vgpr_count:     0
    .vgpr_spill_count: 0
    .wavefront_size: 64
  - .agpr_count:     0
    .args:
      - .offset:         0
        .size:           112
        .value_kind:     by_value
    .group_segment_fixed_size: 0
    .kernarg_segment_align: 8
    .kernarg_segment_size: 112
    .language:       OpenCL C
    .language_version:
      - 2
      - 0
    .max_flat_workgroup_size: 256
    .name:           _ZN7rocprim17ROCPRIM_400000_NS6detail17trampoline_kernelINS0_14default_configENS1_20scan_config_selectorIxEEZZNS1_9scan_implILNS1_25lookback_scan_determinismE0ELb1ELb1ES3_N6thrust23THRUST_200600_302600_NS6detail15normal_iteratorINS9_10device_ptrIxEEEENS9_16discard_iteratorINS9_11use_defaultEEEx11max_functorIxExEEDaPvRmT3_T4_T5_mT6_P12ihipStream_tbENKUlT_T0_E_clISt17integral_constantIbLb1EESW_IbLb0EEEEDaSS_ST_EUlSS_E_NS1_11comp_targetILNS1_3genE9ELNS1_11target_archE1100ELNS1_3gpuE3ELNS1_3repE0EEENS1_30default_config_static_selectorELNS0_4arch9wavefront6targetE1EEEvT1_
    .private_segment_fixed_size: 0
    .sgpr_count:     4
    .sgpr_spill_count: 0
    .symbol:         _ZN7rocprim17ROCPRIM_400000_NS6detail17trampoline_kernelINS0_14default_configENS1_20scan_config_selectorIxEEZZNS1_9scan_implILNS1_25lookback_scan_determinismE0ELb1ELb1ES3_N6thrust23THRUST_200600_302600_NS6detail15normal_iteratorINS9_10device_ptrIxEEEENS9_16discard_iteratorINS9_11use_defaultEEEx11max_functorIxExEEDaPvRmT3_T4_T5_mT6_P12ihipStream_tbENKUlT_T0_E_clISt17integral_constantIbLb1EESW_IbLb0EEEEDaSS_ST_EUlSS_E_NS1_11comp_targetILNS1_3genE9ELNS1_11target_archE1100ELNS1_3gpuE3ELNS1_3repE0EEENS1_30default_config_static_selectorELNS0_4arch9wavefront6targetE1EEEvT1_.kd
    .uniform_work_group_size: 1
    .uses_dynamic_stack: false
    .vgpr_count:     0
    .vgpr_spill_count: 0
    .wavefront_size: 64
  - .agpr_count:     0
    .args:
      - .offset:         0
        .size:           112
        .value_kind:     by_value
    .group_segment_fixed_size: 0
    .kernarg_segment_align: 8
    .kernarg_segment_size: 112
    .language:       OpenCL C
    .language_version:
      - 2
      - 0
    .max_flat_workgroup_size: 256
    .name:           _ZN7rocprim17ROCPRIM_400000_NS6detail17trampoline_kernelINS0_14default_configENS1_20scan_config_selectorIxEEZZNS1_9scan_implILNS1_25lookback_scan_determinismE0ELb1ELb1ES3_N6thrust23THRUST_200600_302600_NS6detail15normal_iteratorINS9_10device_ptrIxEEEENS9_16discard_iteratorINS9_11use_defaultEEEx11max_functorIxExEEDaPvRmT3_T4_T5_mT6_P12ihipStream_tbENKUlT_T0_E_clISt17integral_constantIbLb1EESW_IbLb0EEEEDaSS_ST_EUlSS_E_NS1_11comp_targetILNS1_3genE8ELNS1_11target_archE1030ELNS1_3gpuE2ELNS1_3repE0EEENS1_30default_config_static_selectorELNS0_4arch9wavefront6targetE1EEEvT1_
    .private_segment_fixed_size: 0
    .sgpr_count:     4
    .sgpr_spill_count: 0
    .symbol:         _ZN7rocprim17ROCPRIM_400000_NS6detail17trampoline_kernelINS0_14default_configENS1_20scan_config_selectorIxEEZZNS1_9scan_implILNS1_25lookback_scan_determinismE0ELb1ELb1ES3_N6thrust23THRUST_200600_302600_NS6detail15normal_iteratorINS9_10device_ptrIxEEEENS9_16discard_iteratorINS9_11use_defaultEEEx11max_functorIxExEEDaPvRmT3_T4_T5_mT6_P12ihipStream_tbENKUlT_T0_E_clISt17integral_constantIbLb1EESW_IbLb0EEEEDaSS_ST_EUlSS_E_NS1_11comp_targetILNS1_3genE8ELNS1_11target_archE1030ELNS1_3gpuE2ELNS1_3repE0EEENS1_30default_config_static_selectorELNS0_4arch9wavefront6targetE1EEEvT1_.kd
    .uniform_work_group_size: 1
    .uses_dynamic_stack: false
    .vgpr_count:     0
    .vgpr_spill_count: 0
    .wavefront_size: 64
  - .agpr_count:     0
    .args:
      - .offset:         0
        .size:           48
        .value_kind:     by_value
    .group_segment_fixed_size: 0
    .kernarg_segment_align: 8
    .kernarg_segment_size: 48
    .language:       OpenCL C
    .language_version:
      - 2
      - 0
    .max_flat_workgroup_size: 256
    .name:           _ZN7rocprim17ROCPRIM_400000_NS6detail17trampoline_kernelINS0_14default_configENS1_20scan_config_selectorIxEEZZNS1_9scan_implILNS1_25lookback_scan_determinismE0ELb1ELb1ES3_N6thrust23THRUST_200600_302600_NS6detail15normal_iteratorINS9_10device_ptrIxEEEENS9_16discard_iteratorINS9_11use_defaultEEEx11max_functorIxExEEDaPvRmT3_T4_T5_mT6_P12ihipStream_tbENKUlT_T0_E_clISt17integral_constantIbLb1EESW_IbLb0EEEEDaSS_ST_EUlSS_E0_NS1_11comp_targetILNS1_3genE0ELNS1_11target_archE4294967295ELNS1_3gpuE0ELNS1_3repE0EEENS1_30default_config_static_selectorELNS0_4arch9wavefront6targetE1EEEvT1_
    .private_segment_fixed_size: 0
    .sgpr_count:     4
    .sgpr_spill_count: 0
    .symbol:         _ZN7rocprim17ROCPRIM_400000_NS6detail17trampoline_kernelINS0_14default_configENS1_20scan_config_selectorIxEEZZNS1_9scan_implILNS1_25lookback_scan_determinismE0ELb1ELb1ES3_N6thrust23THRUST_200600_302600_NS6detail15normal_iteratorINS9_10device_ptrIxEEEENS9_16discard_iteratorINS9_11use_defaultEEEx11max_functorIxExEEDaPvRmT3_T4_T5_mT6_P12ihipStream_tbENKUlT_T0_E_clISt17integral_constantIbLb1EESW_IbLb0EEEEDaSS_ST_EUlSS_E0_NS1_11comp_targetILNS1_3genE0ELNS1_11target_archE4294967295ELNS1_3gpuE0ELNS1_3repE0EEENS1_30default_config_static_selectorELNS0_4arch9wavefront6targetE1EEEvT1_.kd
    .uniform_work_group_size: 1
    .uses_dynamic_stack: false
    .vgpr_count:     0
    .vgpr_spill_count: 0
    .wavefront_size: 64
  - .agpr_count:     0
    .args:
      - .offset:         0
        .size:           48
        .value_kind:     by_value
    .group_segment_fixed_size: 0
    .kernarg_segment_align: 8
    .kernarg_segment_size: 48
    .language:       OpenCL C
    .language_version:
      - 2
      - 0
    .max_flat_workgroup_size: 256
    .name:           _ZN7rocprim17ROCPRIM_400000_NS6detail17trampoline_kernelINS0_14default_configENS1_20scan_config_selectorIxEEZZNS1_9scan_implILNS1_25lookback_scan_determinismE0ELb1ELb1ES3_N6thrust23THRUST_200600_302600_NS6detail15normal_iteratorINS9_10device_ptrIxEEEENS9_16discard_iteratorINS9_11use_defaultEEEx11max_functorIxExEEDaPvRmT3_T4_T5_mT6_P12ihipStream_tbENKUlT_T0_E_clISt17integral_constantIbLb1EESW_IbLb0EEEEDaSS_ST_EUlSS_E0_NS1_11comp_targetILNS1_3genE5ELNS1_11target_archE942ELNS1_3gpuE9ELNS1_3repE0EEENS1_30default_config_static_selectorELNS0_4arch9wavefront6targetE1EEEvT1_
    .private_segment_fixed_size: 0
    .sgpr_count:     4
    .sgpr_spill_count: 0
    .symbol:         _ZN7rocprim17ROCPRIM_400000_NS6detail17trampoline_kernelINS0_14default_configENS1_20scan_config_selectorIxEEZZNS1_9scan_implILNS1_25lookback_scan_determinismE0ELb1ELb1ES3_N6thrust23THRUST_200600_302600_NS6detail15normal_iteratorINS9_10device_ptrIxEEEENS9_16discard_iteratorINS9_11use_defaultEEEx11max_functorIxExEEDaPvRmT3_T4_T5_mT6_P12ihipStream_tbENKUlT_T0_E_clISt17integral_constantIbLb1EESW_IbLb0EEEEDaSS_ST_EUlSS_E0_NS1_11comp_targetILNS1_3genE5ELNS1_11target_archE942ELNS1_3gpuE9ELNS1_3repE0EEENS1_30default_config_static_selectorELNS0_4arch9wavefront6targetE1EEEvT1_.kd
    .uniform_work_group_size: 1
    .uses_dynamic_stack: false
    .vgpr_count:     0
    .vgpr_spill_count: 0
    .wavefront_size: 64
  - .agpr_count:     0
    .args:
      - .offset:         0
        .size:           48
        .value_kind:     by_value
    .group_segment_fixed_size: 7168
    .kernarg_segment_align: 8
    .kernarg_segment_size: 48
    .language:       OpenCL C
    .language_version:
      - 2
      - 0
    .max_flat_workgroup_size: 128
    .name:           _ZN7rocprim17ROCPRIM_400000_NS6detail17trampoline_kernelINS0_14default_configENS1_20scan_config_selectorIxEEZZNS1_9scan_implILNS1_25lookback_scan_determinismE0ELb1ELb1ES3_N6thrust23THRUST_200600_302600_NS6detail15normal_iteratorINS9_10device_ptrIxEEEENS9_16discard_iteratorINS9_11use_defaultEEEx11max_functorIxExEEDaPvRmT3_T4_T5_mT6_P12ihipStream_tbENKUlT_T0_E_clISt17integral_constantIbLb1EESW_IbLb0EEEEDaSS_ST_EUlSS_E0_NS1_11comp_targetILNS1_3genE4ELNS1_11target_archE910ELNS1_3gpuE8ELNS1_3repE0EEENS1_30default_config_static_selectorELNS0_4arch9wavefront6targetE1EEEvT1_
    .private_segment_fixed_size: 0
    .sgpr_count:     14
    .sgpr_spill_count: 0
    .symbol:         _ZN7rocprim17ROCPRIM_400000_NS6detail17trampoline_kernelINS0_14default_configENS1_20scan_config_selectorIxEEZZNS1_9scan_implILNS1_25lookback_scan_determinismE0ELb1ELb1ES3_N6thrust23THRUST_200600_302600_NS6detail15normal_iteratorINS9_10device_ptrIxEEEENS9_16discard_iteratorINS9_11use_defaultEEEx11max_functorIxExEEDaPvRmT3_T4_T5_mT6_P12ihipStream_tbENKUlT_T0_E_clISt17integral_constantIbLb1EESW_IbLb0EEEEDaSS_ST_EUlSS_E0_NS1_11comp_targetILNS1_3genE4ELNS1_11target_archE910ELNS1_3gpuE8ELNS1_3repE0EEENS1_30default_config_static_selectorELNS0_4arch9wavefront6targetE1EEEvT1_.kd
    .uniform_work_group_size: 1
    .uses_dynamic_stack: false
    .vgpr_count:     29
    .vgpr_spill_count: 0
    .wavefront_size: 64
  - .agpr_count:     0
    .args:
      - .offset:         0
        .size:           48
        .value_kind:     by_value
    .group_segment_fixed_size: 0
    .kernarg_segment_align: 8
    .kernarg_segment_size: 48
    .language:       OpenCL C
    .language_version:
      - 2
      - 0
    .max_flat_workgroup_size: 256
    .name:           _ZN7rocprim17ROCPRIM_400000_NS6detail17trampoline_kernelINS0_14default_configENS1_20scan_config_selectorIxEEZZNS1_9scan_implILNS1_25lookback_scan_determinismE0ELb1ELb1ES3_N6thrust23THRUST_200600_302600_NS6detail15normal_iteratorINS9_10device_ptrIxEEEENS9_16discard_iteratorINS9_11use_defaultEEEx11max_functorIxExEEDaPvRmT3_T4_T5_mT6_P12ihipStream_tbENKUlT_T0_E_clISt17integral_constantIbLb1EESW_IbLb0EEEEDaSS_ST_EUlSS_E0_NS1_11comp_targetILNS1_3genE3ELNS1_11target_archE908ELNS1_3gpuE7ELNS1_3repE0EEENS1_30default_config_static_selectorELNS0_4arch9wavefront6targetE1EEEvT1_
    .private_segment_fixed_size: 0
    .sgpr_count:     4
    .sgpr_spill_count: 0
    .symbol:         _ZN7rocprim17ROCPRIM_400000_NS6detail17trampoline_kernelINS0_14default_configENS1_20scan_config_selectorIxEEZZNS1_9scan_implILNS1_25lookback_scan_determinismE0ELb1ELb1ES3_N6thrust23THRUST_200600_302600_NS6detail15normal_iteratorINS9_10device_ptrIxEEEENS9_16discard_iteratorINS9_11use_defaultEEEx11max_functorIxExEEDaPvRmT3_T4_T5_mT6_P12ihipStream_tbENKUlT_T0_E_clISt17integral_constantIbLb1EESW_IbLb0EEEEDaSS_ST_EUlSS_E0_NS1_11comp_targetILNS1_3genE3ELNS1_11target_archE908ELNS1_3gpuE7ELNS1_3repE0EEENS1_30default_config_static_selectorELNS0_4arch9wavefront6targetE1EEEvT1_.kd
    .uniform_work_group_size: 1
    .uses_dynamic_stack: false
    .vgpr_count:     0
    .vgpr_spill_count: 0
    .wavefront_size: 64
  - .agpr_count:     0
    .args:
      - .offset:         0
        .size:           48
        .value_kind:     by_value
    .group_segment_fixed_size: 0
    .kernarg_segment_align: 8
    .kernarg_segment_size: 48
    .language:       OpenCL C
    .language_version:
      - 2
      - 0
    .max_flat_workgroup_size: 64
    .name:           _ZN7rocprim17ROCPRIM_400000_NS6detail17trampoline_kernelINS0_14default_configENS1_20scan_config_selectorIxEEZZNS1_9scan_implILNS1_25lookback_scan_determinismE0ELb1ELb1ES3_N6thrust23THRUST_200600_302600_NS6detail15normal_iteratorINS9_10device_ptrIxEEEENS9_16discard_iteratorINS9_11use_defaultEEEx11max_functorIxExEEDaPvRmT3_T4_T5_mT6_P12ihipStream_tbENKUlT_T0_E_clISt17integral_constantIbLb1EESW_IbLb0EEEEDaSS_ST_EUlSS_E0_NS1_11comp_targetILNS1_3genE2ELNS1_11target_archE906ELNS1_3gpuE6ELNS1_3repE0EEENS1_30default_config_static_selectorELNS0_4arch9wavefront6targetE1EEEvT1_
    .private_segment_fixed_size: 0
    .sgpr_count:     4
    .sgpr_spill_count: 0
    .symbol:         _ZN7rocprim17ROCPRIM_400000_NS6detail17trampoline_kernelINS0_14default_configENS1_20scan_config_selectorIxEEZZNS1_9scan_implILNS1_25lookback_scan_determinismE0ELb1ELb1ES3_N6thrust23THRUST_200600_302600_NS6detail15normal_iteratorINS9_10device_ptrIxEEEENS9_16discard_iteratorINS9_11use_defaultEEEx11max_functorIxExEEDaPvRmT3_T4_T5_mT6_P12ihipStream_tbENKUlT_T0_E_clISt17integral_constantIbLb1EESW_IbLb0EEEEDaSS_ST_EUlSS_E0_NS1_11comp_targetILNS1_3genE2ELNS1_11target_archE906ELNS1_3gpuE6ELNS1_3repE0EEENS1_30default_config_static_selectorELNS0_4arch9wavefront6targetE1EEEvT1_.kd
    .uniform_work_group_size: 1
    .uses_dynamic_stack: false
    .vgpr_count:     0
    .vgpr_spill_count: 0
    .wavefront_size: 64
  - .agpr_count:     0
    .args:
      - .offset:         0
        .size:           48
        .value_kind:     by_value
    .group_segment_fixed_size: 0
    .kernarg_segment_align: 8
    .kernarg_segment_size: 48
    .language:       OpenCL C
    .language_version:
      - 2
      - 0
    .max_flat_workgroup_size: 256
    .name:           _ZN7rocprim17ROCPRIM_400000_NS6detail17trampoline_kernelINS0_14default_configENS1_20scan_config_selectorIxEEZZNS1_9scan_implILNS1_25lookback_scan_determinismE0ELb1ELb1ES3_N6thrust23THRUST_200600_302600_NS6detail15normal_iteratorINS9_10device_ptrIxEEEENS9_16discard_iteratorINS9_11use_defaultEEEx11max_functorIxExEEDaPvRmT3_T4_T5_mT6_P12ihipStream_tbENKUlT_T0_E_clISt17integral_constantIbLb1EESW_IbLb0EEEEDaSS_ST_EUlSS_E0_NS1_11comp_targetILNS1_3genE10ELNS1_11target_archE1201ELNS1_3gpuE5ELNS1_3repE0EEENS1_30default_config_static_selectorELNS0_4arch9wavefront6targetE1EEEvT1_
    .private_segment_fixed_size: 0
    .sgpr_count:     4
    .sgpr_spill_count: 0
    .symbol:         _ZN7rocprim17ROCPRIM_400000_NS6detail17trampoline_kernelINS0_14default_configENS1_20scan_config_selectorIxEEZZNS1_9scan_implILNS1_25lookback_scan_determinismE0ELb1ELb1ES3_N6thrust23THRUST_200600_302600_NS6detail15normal_iteratorINS9_10device_ptrIxEEEENS9_16discard_iteratorINS9_11use_defaultEEEx11max_functorIxExEEDaPvRmT3_T4_T5_mT6_P12ihipStream_tbENKUlT_T0_E_clISt17integral_constantIbLb1EESW_IbLb0EEEEDaSS_ST_EUlSS_E0_NS1_11comp_targetILNS1_3genE10ELNS1_11target_archE1201ELNS1_3gpuE5ELNS1_3repE0EEENS1_30default_config_static_selectorELNS0_4arch9wavefront6targetE1EEEvT1_.kd
    .uniform_work_group_size: 1
    .uses_dynamic_stack: false
    .vgpr_count:     0
    .vgpr_spill_count: 0
    .wavefront_size: 64
  - .agpr_count:     0
    .args:
      - .offset:         0
        .size:           48
        .value_kind:     by_value
    .group_segment_fixed_size: 0
    .kernarg_segment_align: 8
    .kernarg_segment_size: 48
    .language:       OpenCL C
    .language_version:
      - 2
      - 0
    .max_flat_workgroup_size: 256
    .name:           _ZN7rocprim17ROCPRIM_400000_NS6detail17trampoline_kernelINS0_14default_configENS1_20scan_config_selectorIxEEZZNS1_9scan_implILNS1_25lookback_scan_determinismE0ELb1ELb1ES3_N6thrust23THRUST_200600_302600_NS6detail15normal_iteratorINS9_10device_ptrIxEEEENS9_16discard_iteratorINS9_11use_defaultEEEx11max_functorIxExEEDaPvRmT3_T4_T5_mT6_P12ihipStream_tbENKUlT_T0_E_clISt17integral_constantIbLb1EESW_IbLb0EEEEDaSS_ST_EUlSS_E0_NS1_11comp_targetILNS1_3genE10ELNS1_11target_archE1200ELNS1_3gpuE4ELNS1_3repE0EEENS1_30default_config_static_selectorELNS0_4arch9wavefront6targetE1EEEvT1_
    .private_segment_fixed_size: 0
    .sgpr_count:     4
    .sgpr_spill_count: 0
    .symbol:         _ZN7rocprim17ROCPRIM_400000_NS6detail17trampoline_kernelINS0_14default_configENS1_20scan_config_selectorIxEEZZNS1_9scan_implILNS1_25lookback_scan_determinismE0ELb1ELb1ES3_N6thrust23THRUST_200600_302600_NS6detail15normal_iteratorINS9_10device_ptrIxEEEENS9_16discard_iteratorINS9_11use_defaultEEEx11max_functorIxExEEDaPvRmT3_T4_T5_mT6_P12ihipStream_tbENKUlT_T0_E_clISt17integral_constantIbLb1EESW_IbLb0EEEEDaSS_ST_EUlSS_E0_NS1_11comp_targetILNS1_3genE10ELNS1_11target_archE1200ELNS1_3gpuE4ELNS1_3repE0EEENS1_30default_config_static_selectorELNS0_4arch9wavefront6targetE1EEEvT1_.kd
    .uniform_work_group_size: 1
    .uses_dynamic_stack: false
    .vgpr_count:     0
    .vgpr_spill_count: 0
    .wavefront_size: 64
  - .agpr_count:     0
    .args:
      - .offset:         0
        .size:           48
        .value_kind:     by_value
    .group_segment_fixed_size: 0
    .kernarg_segment_align: 8
    .kernarg_segment_size: 48
    .language:       OpenCL C
    .language_version:
      - 2
      - 0
    .max_flat_workgroup_size: 256
    .name:           _ZN7rocprim17ROCPRIM_400000_NS6detail17trampoline_kernelINS0_14default_configENS1_20scan_config_selectorIxEEZZNS1_9scan_implILNS1_25lookback_scan_determinismE0ELb1ELb1ES3_N6thrust23THRUST_200600_302600_NS6detail15normal_iteratorINS9_10device_ptrIxEEEENS9_16discard_iteratorINS9_11use_defaultEEEx11max_functorIxExEEDaPvRmT3_T4_T5_mT6_P12ihipStream_tbENKUlT_T0_E_clISt17integral_constantIbLb1EESW_IbLb0EEEEDaSS_ST_EUlSS_E0_NS1_11comp_targetILNS1_3genE9ELNS1_11target_archE1100ELNS1_3gpuE3ELNS1_3repE0EEENS1_30default_config_static_selectorELNS0_4arch9wavefront6targetE1EEEvT1_
    .private_segment_fixed_size: 0
    .sgpr_count:     4
    .sgpr_spill_count: 0
    .symbol:         _ZN7rocprim17ROCPRIM_400000_NS6detail17trampoline_kernelINS0_14default_configENS1_20scan_config_selectorIxEEZZNS1_9scan_implILNS1_25lookback_scan_determinismE0ELb1ELb1ES3_N6thrust23THRUST_200600_302600_NS6detail15normal_iteratorINS9_10device_ptrIxEEEENS9_16discard_iteratorINS9_11use_defaultEEEx11max_functorIxExEEDaPvRmT3_T4_T5_mT6_P12ihipStream_tbENKUlT_T0_E_clISt17integral_constantIbLb1EESW_IbLb0EEEEDaSS_ST_EUlSS_E0_NS1_11comp_targetILNS1_3genE9ELNS1_11target_archE1100ELNS1_3gpuE3ELNS1_3repE0EEENS1_30default_config_static_selectorELNS0_4arch9wavefront6targetE1EEEvT1_.kd
    .uniform_work_group_size: 1
    .uses_dynamic_stack: false
    .vgpr_count:     0
    .vgpr_spill_count: 0
    .wavefront_size: 64
  - .agpr_count:     0
    .args:
      - .offset:         0
        .size:           48
        .value_kind:     by_value
    .group_segment_fixed_size: 0
    .kernarg_segment_align: 8
    .kernarg_segment_size: 48
    .language:       OpenCL C
    .language_version:
      - 2
      - 0
    .max_flat_workgroup_size: 256
    .name:           _ZN7rocprim17ROCPRIM_400000_NS6detail17trampoline_kernelINS0_14default_configENS1_20scan_config_selectorIxEEZZNS1_9scan_implILNS1_25lookback_scan_determinismE0ELb1ELb1ES3_N6thrust23THRUST_200600_302600_NS6detail15normal_iteratorINS9_10device_ptrIxEEEENS9_16discard_iteratorINS9_11use_defaultEEEx11max_functorIxExEEDaPvRmT3_T4_T5_mT6_P12ihipStream_tbENKUlT_T0_E_clISt17integral_constantIbLb1EESW_IbLb0EEEEDaSS_ST_EUlSS_E0_NS1_11comp_targetILNS1_3genE8ELNS1_11target_archE1030ELNS1_3gpuE2ELNS1_3repE0EEENS1_30default_config_static_selectorELNS0_4arch9wavefront6targetE1EEEvT1_
    .private_segment_fixed_size: 0
    .sgpr_count:     4
    .sgpr_spill_count: 0
    .symbol:         _ZN7rocprim17ROCPRIM_400000_NS6detail17trampoline_kernelINS0_14default_configENS1_20scan_config_selectorIxEEZZNS1_9scan_implILNS1_25lookback_scan_determinismE0ELb1ELb1ES3_N6thrust23THRUST_200600_302600_NS6detail15normal_iteratorINS9_10device_ptrIxEEEENS9_16discard_iteratorINS9_11use_defaultEEEx11max_functorIxExEEDaPvRmT3_T4_T5_mT6_P12ihipStream_tbENKUlT_T0_E_clISt17integral_constantIbLb1EESW_IbLb0EEEEDaSS_ST_EUlSS_E0_NS1_11comp_targetILNS1_3genE8ELNS1_11target_archE1030ELNS1_3gpuE2ELNS1_3repE0EEENS1_30default_config_static_selectorELNS0_4arch9wavefront6targetE1EEEvT1_.kd
    .uniform_work_group_size: 1
    .uses_dynamic_stack: false
    .vgpr_count:     0
    .vgpr_spill_count: 0
    .wavefront_size: 64
  - .agpr_count:     0
    .args:
      - .offset:         0
        .size:           112
        .value_kind:     by_value
    .group_segment_fixed_size: 0
    .kernarg_segment_align: 8
    .kernarg_segment_size: 112
    .language:       OpenCL C
    .language_version:
      - 2
      - 0
    .max_flat_workgroup_size: 256
    .name:           _ZN7rocprim17ROCPRIM_400000_NS6detail17trampoline_kernelINS0_14default_configENS1_20scan_config_selectorIxEEZZNS1_9scan_implILNS1_25lookback_scan_determinismE0ELb1ELb1ES3_N6thrust23THRUST_200600_302600_NS6detail15normal_iteratorINS9_10device_ptrIxEEEENS9_16discard_iteratorINS9_11use_defaultEEEx11max_functorIxExEEDaPvRmT3_T4_T5_mT6_P12ihipStream_tbENKUlT_T0_E_clISt17integral_constantIbLb0EESW_IbLb1EEEEDaSS_ST_EUlSS_E_NS1_11comp_targetILNS1_3genE0ELNS1_11target_archE4294967295ELNS1_3gpuE0ELNS1_3repE0EEENS1_30default_config_static_selectorELNS0_4arch9wavefront6targetE1EEEvT1_
    .private_segment_fixed_size: 0
    .sgpr_count:     4
    .sgpr_spill_count: 0
    .symbol:         _ZN7rocprim17ROCPRIM_400000_NS6detail17trampoline_kernelINS0_14default_configENS1_20scan_config_selectorIxEEZZNS1_9scan_implILNS1_25lookback_scan_determinismE0ELb1ELb1ES3_N6thrust23THRUST_200600_302600_NS6detail15normal_iteratorINS9_10device_ptrIxEEEENS9_16discard_iteratorINS9_11use_defaultEEEx11max_functorIxExEEDaPvRmT3_T4_T5_mT6_P12ihipStream_tbENKUlT_T0_E_clISt17integral_constantIbLb0EESW_IbLb1EEEEDaSS_ST_EUlSS_E_NS1_11comp_targetILNS1_3genE0ELNS1_11target_archE4294967295ELNS1_3gpuE0ELNS1_3repE0EEENS1_30default_config_static_selectorELNS0_4arch9wavefront6targetE1EEEvT1_.kd
    .uniform_work_group_size: 1
    .uses_dynamic_stack: false
    .vgpr_count:     0
    .vgpr_spill_count: 0
    .wavefront_size: 64
  - .agpr_count:     0
    .args:
      - .offset:         0
        .size:           112
        .value_kind:     by_value
    .group_segment_fixed_size: 0
    .kernarg_segment_align: 8
    .kernarg_segment_size: 112
    .language:       OpenCL C
    .language_version:
      - 2
      - 0
    .max_flat_workgroup_size: 256
    .name:           _ZN7rocprim17ROCPRIM_400000_NS6detail17trampoline_kernelINS0_14default_configENS1_20scan_config_selectorIxEEZZNS1_9scan_implILNS1_25lookback_scan_determinismE0ELb1ELb1ES3_N6thrust23THRUST_200600_302600_NS6detail15normal_iteratorINS9_10device_ptrIxEEEENS9_16discard_iteratorINS9_11use_defaultEEEx11max_functorIxExEEDaPvRmT3_T4_T5_mT6_P12ihipStream_tbENKUlT_T0_E_clISt17integral_constantIbLb0EESW_IbLb1EEEEDaSS_ST_EUlSS_E_NS1_11comp_targetILNS1_3genE5ELNS1_11target_archE942ELNS1_3gpuE9ELNS1_3repE0EEENS1_30default_config_static_selectorELNS0_4arch9wavefront6targetE1EEEvT1_
    .private_segment_fixed_size: 0
    .sgpr_count:     4
    .sgpr_spill_count: 0
    .symbol:         _ZN7rocprim17ROCPRIM_400000_NS6detail17trampoline_kernelINS0_14default_configENS1_20scan_config_selectorIxEEZZNS1_9scan_implILNS1_25lookback_scan_determinismE0ELb1ELb1ES3_N6thrust23THRUST_200600_302600_NS6detail15normal_iteratorINS9_10device_ptrIxEEEENS9_16discard_iteratorINS9_11use_defaultEEEx11max_functorIxExEEDaPvRmT3_T4_T5_mT6_P12ihipStream_tbENKUlT_T0_E_clISt17integral_constantIbLb0EESW_IbLb1EEEEDaSS_ST_EUlSS_E_NS1_11comp_targetILNS1_3genE5ELNS1_11target_archE942ELNS1_3gpuE9ELNS1_3repE0EEENS1_30default_config_static_selectorELNS0_4arch9wavefront6targetE1EEEvT1_.kd
    .uniform_work_group_size: 1
    .uses_dynamic_stack: false
    .vgpr_count:     0
    .vgpr_spill_count: 0
    .wavefront_size: 64
  - .agpr_count:     0
    .args:
      - .offset:         0
        .size:           112
        .value_kind:     by_value
    .group_segment_fixed_size: 7168
    .kernarg_segment_align: 8
    .kernarg_segment_size: 112
    .language:       OpenCL C
    .language_version:
      - 2
      - 0
    .max_flat_workgroup_size: 128
    .name:           _ZN7rocprim17ROCPRIM_400000_NS6detail17trampoline_kernelINS0_14default_configENS1_20scan_config_selectorIxEEZZNS1_9scan_implILNS1_25lookback_scan_determinismE0ELb1ELb1ES3_N6thrust23THRUST_200600_302600_NS6detail15normal_iteratorINS9_10device_ptrIxEEEENS9_16discard_iteratorINS9_11use_defaultEEEx11max_functorIxExEEDaPvRmT3_T4_T5_mT6_P12ihipStream_tbENKUlT_T0_E_clISt17integral_constantIbLb0EESW_IbLb1EEEEDaSS_ST_EUlSS_E_NS1_11comp_targetILNS1_3genE4ELNS1_11target_archE910ELNS1_3gpuE8ELNS1_3repE0EEENS1_30default_config_static_selectorELNS0_4arch9wavefront6targetE1EEEvT1_
    .private_segment_fixed_size: 0
    .sgpr_count:     40
    .sgpr_spill_count: 0
    .symbol:         _ZN7rocprim17ROCPRIM_400000_NS6detail17trampoline_kernelINS0_14default_configENS1_20scan_config_selectorIxEEZZNS1_9scan_implILNS1_25lookback_scan_determinismE0ELb1ELb1ES3_N6thrust23THRUST_200600_302600_NS6detail15normal_iteratorINS9_10device_ptrIxEEEENS9_16discard_iteratorINS9_11use_defaultEEEx11max_functorIxExEEDaPvRmT3_T4_T5_mT6_P12ihipStream_tbENKUlT_T0_E_clISt17integral_constantIbLb0EESW_IbLb1EEEEDaSS_ST_EUlSS_E_NS1_11comp_targetILNS1_3genE4ELNS1_11target_archE910ELNS1_3gpuE8ELNS1_3repE0EEENS1_30default_config_static_selectorELNS0_4arch9wavefront6targetE1EEEvT1_.kd
    .uniform_work_group_size: 1
    .uses_dynamic_stack: false
    .vgpr_count:     57
    .vgpr_spill_count: 0
    .wavefront_size: 64
  - .agpr_count:     0
    .args:
      - .offset:         0
        .size:           112
        .value_kind:     by_value
    .group_segment_fixed_size: 0
    .kernarg_segment_align: 8
    .kernarg_segment_size: 112
    .language:       OpenCL C
    .language_version:
      - 2
      - 0
    .max_flat_workgroup_size: 256
    .name:           _ZN7rocprim17ROCPRIM_400000_NS6detail17trampoline_kernelINS0_14default_configENS1_20scan_config_selectorIxEEZZNS1_9scan_implILNS1_25lookback_scan_determinismE0ELb1ELb1ES3_N6thrust23THRUST_200600_302600_NS6detail15normal_iteratorINS9_10device_ptrIxEEEENS9_16discard_iteratorINS9_11use_defaultEEEx11max_functorIxExEEDaPvRmT3_T4_T5_mT6_P12ihipStream_tbENKUlT_T0_E_clISt17integral_constantIbLb0EESW_IbLb1EEEEDaSS_ST_EUlSS_E_NS1_11comp_targetILNS1_3genE3ELNS1_11target_archE908ELNS1_3gpuE7ELNS1_3repE0EEENS1_30default_config_static_selectorELNS0_4arch9wavefront6targetE1EEEvT1_
    .private_segment_fixed_size: 0
    .sgpr_count:     4
    .sgpr_spill_count: 0
    .symbol:         _ZN7rocprim17ROCPRIM_400000_NS6detail17trampoline_kernelINS0_14default_configENS1_20scan_config_selectorIxEEZZNS1_9scan_implILNS1_25lookback_scan_determinismE0ELb1ELb1ES3_N6thrust23THRUST_200600_302600_NS6detail15normal_iteratorINS9_10device_ptrIxEEEENS9_16discard_iteratorINS9_11use_defaultEEEx11max_functorIxExEEDaPvRmT3_T4_T5_mT6_P12ihipStream_tbENKUlT_T0_E_clISt17integral_constantIbLb0EESW_IbLb1EEEEDaSS_ST_EUlSS_E_NS1_11comp_targetILNS1_3genE3ELNS1_11target_archE908ELNS1_3gpuE7ELNS1_3repE0EEENS1_30default_config_static_selectorELNS0_4arch9wavefront6targetE1EEEvT1_.kd
    .uniform_work_group_size: 1
    .uses_dynamic_stack: false
    .vgpr_count:     0
    .vgpr_spill_count: 0
    .wavefront_size: 64
  - .agpr_count:     0
    .args:
      - .offset:         0
        .size:           112
        .value_kind:     by_value
    .group_segment_fixed_size: 0
    .kernarg_segment_align: 8
    .kernarg_segment_size: 112
    .language:       OpenCL C
    .language_version:
      - 2
      - 0
    .max_flat_workgroup_size: 64
    .name:           _ZN7rocprim17ROCPRIM_400000_NS6detail17trampoline_kernelINS0_14default_configENS1_20scan_config_selectorIxEEZZNS1_9scan_implILNS1_25lookback_scan_determinismE0ELb1ELb1ES3_N6thrust23THRUST_200600_302600_NS6detail15normal_iteratorINS9_10device_ptrIxEEEENS9_16discard_iteratorINS9_11use_defaultEEEx11max_functorIxExEEDaPvRmT3_T4_T5_mT6_P12ihipStream_tbENKUlT_T0_E_clISt17integral_constantIbLb0EESW_IbLb1EEEEDaSS_ST_EUlSS_E_NS1_11comp_targetILNS1_3genE2ELNS1_11target_archE906ELNS1_3gpuE6ELNS1_3repE0EEENS1_30default_config_static_selectorELNS0_4arch9wavefront6targetE1EEEvT1_
    .private_segment_fixed_size: 0
    .sgpr_count:     4
    .sgpr_spill_count: 0
    .symbol:         _ZN7rocprim17ROCPRIM_400000_NS6detail17trampoline_kernelINS0_14default_configENS1_20scan_config_selectorIxEEZZNS1_9scan_implILNS1_25lookback_scan_determinismE0ELb1ELb1ES3_N6thrust23THRUST_200600_302600_NS6detail15normal_iteratorINS9_10device_ptrIxEEEENS9_16discard_iteratorINS9_11use_defaultEEEx11max_functorIxExEEDaPvRmT3_T4_T5_mT6_P12ihipStream_tbENKUlT_T0_E_clISt17integral_constantIbLb0EESW_IbLb1EEEEDaSS_ST_EUlSS_E_NS1_11comp_targetILNS1_3genE2ELNS1_11target_archE906ELNS1_3gpuE6ELNS1_3repE0EEENS1_30default_config_static_selectorELNS0_4arch9wavefront6targetE1EEEvT1_.kd
    .uniform_work_group_size: 1
    .uses_dynamic_stack: false
    .vgpr_count:     0
    .vgpr_spill_count: 0
    .wavefront_size: 64
  - .agpr_count:     0
    .args:
      - .offset:         0
        .size:           112
        .value_kind:     by_value
    .group_segment_fixed_size: 0
    .kernarg_segment_align: 8
    .kernarg_segment_size: 112
    .language:       OpenCL C
    .language_version:
      - 2
      - 0
    .max_flat_workgroup_size: 256
    .name:           _ZN7rocprim17ROCPRIM_400000_NS6detail17trampoline_kernelINS0_14default_configENS1_20scan_config_selectorIxEEZZNS1_9scan_implILNS1_25lookback_scan_determinismE0ELb1ELb1ES3_N6thrust23THRUST_200600_302600_NS6detail15normal_iteratorINS9_10device_ptrIxEEEENS9_16discard_iteratorINS9_11use_defaultEEEx11max_functorIxExEEDaPvRmT3_T4_T5_mT6_P12ihipStream_tbENKUlT_T0_E_clISt17integral_constantIbLb0EESW_IbLb1EEEEDaSS_ST_EUlSS_E_NS1_11comp_targetILNS1_3genE10ELNS1_11target_archE1201ELNS1_3gpuE5ELNS1_3repE0EEENS1_30default_config_static_selectorELNS0_4arch9wavefront6targetE1EEEvT1_
    .private_segment_fixed_size: 0
    .sgpr_count:     4
    .sgpr_spill_count: 0
    .symbol:         _ZN7rocprim17ROCPRIM_400000_NS6detail17trampoline_kernelINS0_14default_configENS1_20scan_config_selectorIxEEZZNS1_9scan_implILNS1_25lookback_scan_determinismE0ELb1ELb1ES3_N6thrust23THRUST_200600_302600_NS6detail15normal_iteratorINS9_10device_ptrIxEEEENS9_16discard_iteratorINS9_11use_defaultEEEx11max_functorIxExEEDaPvRmT3_T4_T5_mT6_P12ihipStream_tbENKUlT_T0_E_clISt17integral_constantIbLb0EESW_IbLb1EEEEDaSS_ST_EUlSS_E_NS1_11comp_targetILNS1_3genE10ELNS1_11target_archE1201ELNS1_3gpuE5ELNS1_3repE0EEENS1_30default_config_static_selectorELNS0_4arch9wavefront6targetE1EEEvT1_.kd
    .uniform_work_group_size: 1
    .uses_dynamic_stack: false
    .vgpr_count:     0
    .vgpr_spill_count: 0
    .wavefront_size: 64
  - .agpr_count:     0
    .args:
      - .offset:         0
        .size:           112
        .value_kind:     by_value
    .group_segment_fixed_size: 0
    .kernarg_segment_align: 8
    .kernarg_segment_size: 112
    .language:       OpenCL C
    .language_version:
      - 2
      - 0
    .max_flat_workgroup_size: 256
    .name:           _ZN7rocprim17ROCPRIM_400000_NS6detail17trampoline_kernelINS0_14default_configENS1_20scan_config_selectorIxEEZZNS1_9scan_implILNS1_25lookback_scan_determinismE0ELb1ELb1ES3_N6thrust23THRUST_200600_302600_NS6detail15normal_iteratorINS9_10device_ptrIxEEEENS9_16discard_iteratorINS9_11use_defaultEEEx11max_functorIxExEEDaPvRmT3_T4_T5_mT6_P12ihipStream_tbENKUlT_T0_E_clISt17integral_constantIbLb0EESW_IbLb1EEEEDaSS_ST_EUlSS_E_NS1_11comp_targetILNS1_3genE10ELNS1_11target_archE1200ELNS1_3gpuE4ELNS1_3repE0EEENS1_30default_config_static_selectorELNS0_4arch9wavefront6targetE1EEEvT1_
    .private_segment_fixed_size: 0
    .sgpr_count:     4
    .sgpr_spill_count: 0
    .symbol:         _ZN7rocprim17ROCPRIM_400000_NS6detail17trampoline_kernelINS0_14default_configENS1_20scan_config_selectorIxEEZZNS1_9scan_implILNS1_25lookback_scan_determinismE0ELb1ELb1ES3_N6thrust23THRUST_200600_302600_NS6detail15normal_iteratorINS9_10device_ptrIxEEEENS9_16discard_iteratorINS9_11use_defaultEEEx11max_functorIxExEEDaPvRmT3_T4_T5_mT6_P12ihipStream_tbENKUlT_T0_E_clISt17integral_constantIbLb0EESW_IbLb1EEEEDaSS_ST_EUlSS_E_NS1_11comp_targetILNS1_3genE10ELNS1_11target_archE1200ELNS1_3gpuE4ELNS1_3repE0EEENS1_30default_config_static_selectorELNS0_4arch9wavefront6targetE1EEEvT1_.kd
    .uniform_work_group_size: 1
    .uses_dynamic_stack: false
    .vgpr_count:     0
    .vgpr_spill_count: 0
    .wavefront_size: 64
  - .agpr_count:     0
    .args:
      - .offset:         0
        .size:           112
        .value_kind:     by_value
    .group_segment_fixed_size: 0
    .kernarg_segment_align: 8
    .kernarg_segment_size: 112
    .language:       OpenCL C
    .language_version:
      - 2
      - 0
    .max_flat_workgroup_size: 256
    .name:           _ZN7rocprim17ROCPRIM_400000_NS6detail17trampoline_kernelINS0_14default_configENS1_20scan_config_selectorIxEEZZNS1_9scan_implILNS1_25lookback_scan_determinismE0ELb1ELb1ES3_N6thrust23THRUST_200600_302600_NS6detail15normal_iteratorINS9_10device_ptrIxEEEENS9_16discard_iteratorINS9_11use_defaultEEEx11max_functorIxExEEDaPvRmT3_T4_T5_mT6_P12ihipStream_tbENKUlT_T0_E_clISt17integral_constantIbLb0EESW_IbLb1EEEEDaSS_ST_EUlSS_E_NS1_11comp_targetILNS1_3genE9ELNS1_11target_archE1100ELNS1_3gpuE3ELNS1_3repE0EEENS1_30default_config_static_selectorELNS0_4arch9wavefront6targetE1EEEvT1_
    .private_segment_fixed_size: 0
    .sgpr_count:     4
    .sgpr_spill_count: 0
    .symbol:         _ZN7rocprim17ROCPRIM_400000_NS6detail17trampoline_kernelINS0_14default_configENS1_20scan_config_selectorIxEEZZNS1_9scan_implILNS1_25lookback_scan_determinismE0ELb1ELb1ES3_N6thrust23THRUST_200600_302600_NS6detail15normal_iteratorINS9_10device_ptrIxEEEENS9_16discard_iteratorINS9_11use_defaultEEEx11max_functorIxExEEDaPvRmT3_T4_T5_mT6_P12ihipStream_tbENKUlT_T0_E_clISt17integral_constantIbLb0EESW_IbLb1EEEEDaSS_ST_EUlSS_E_NS1_11comp_targetILNS1_3genE9ELNS1_11target_archE1100ELNS1_3gpuE3ELNS1_3repE0EEENS1_30default_config_static_selectorELNS0_4arch9wavefront6targetE1EEEvT1_.kd
    .uniform_work_group_size: 1
    .uses_dynamic_stack: false
    .vgpr_count:     0
    .vgpr_spill_count: 0
    .wavefront_size: 64
  - .agpr_count:     0
    .args:
      - .offset:         0
        .size:           112
        .value_kind:     by_value
    .group_segment_fixed_size: 0
    .kernarg_segment_align: 8
    .kernarg_segment_size: 112
    .language:       OpenCL C
    .language_version:
      - 2
      - 0
    .max_flat_workgroup_size: 256
    .name:           _ZN7rocprim17ROCPRIM_400000_NS6detail17trampoline_kernelINS0_14default_configENS1_20scan_config_selectorIxEEZZNS1_9scan_implILNS1_25lookback_scan_determinismE0ELb1ELb1ES3_N6thrust23THRUST_200600_302600_NS6detail15normal_iteratorINS9_10device_ptrIxEEEENS9_16discard_iteratorINS9_11use_defaultEEEx11max_functorIxExEEDaPvRmT3_T4_T5_mT6_P12ihipStream_tbENKUlT_T0_E_clISt17integral_constantIbLb0EESW_IbLb1EEEEDaSS_ST_EUlSS_E_NS1_11comp_targetILNS1_3genE8ELNS1_11target_archE1030ELNS1_3gpuE2ELNS1_3repE0EEENS1_30default_config_static_selectorELNS0_4arch9wavefront6targetE1EEEvT1_
    .private_segment_fixed_size: 0
    .sgpr_count:     4
    .sgpr_spill_count: 0
    .symbol:         _ZN7rocprim17ROCPRIM_400000_NS6detail17trampoline_kernelINS0_14default_configENS1_20scan_config_selectorIxEEZZNS1_9scan_implILNS1_25lookback_scan_determinismE0ELb1ELb1ES3_N6thrust23THRUST_200600_302600_NS6detail15normal_iteratorINS9_10device_ptrIxEEEENS9_16discard_iteratorINS9_11use_defaultEEEx11max_functorIxExEEDaPvRmT3_T4_T5_mT6_P12ihipStream_tbENKUlT_T0_E_clISt17integral_constantIbLb0EESW_IbLb1EEEEDaSS_ST_EUlSS_E_NS1_11comp_targetILNS1_3genE8ELNS1_11target_archE1030ELNS1_3gpuE2ELNS1_3repE0EEENS1_30default_config_static_selectorELNS0_4arch9wavefront6targetE1EEEvT1_.kd
    .uniform_work_group_size: 1
    .uses_dynamic_stack: false
    .vgpr_count:     0
    .vgpr_spill_count: 0
    .wavefront_size: 64
  - .agpr_count:     0
    .args:
      - .offset:         0
        .size:           48
        .value_kind:     by_value
    .group_segment_fixed_size: 0
    .kernarg_segment_align: 8
    .kernarg_segment_size: 48
    .language:       OpenCL C
    .language_version:
      - 2
      - 0
    .max_flat_workgroup_size: 256
    .name:           _ZN7rocprim17ROCPRIM_400000_NS6detail17trampoline_kernelINS0_14default_configENS1_20scan_config_selectorIxEEZZNS1_9scan_implILNS1_25lookback_scan_determinismE0ELb1ELb1ES3_N6thrust23THRUST_200600_302600_NS6detail15normal_iteratorINS9_10device_ptrIxEEEENS9_16discard_iteratorINS9_11use_defaultEEEx11max_functorIxExEEDaPvRmT3_T4_T5_mT6_P12ihipStream_tbENKUlT_T0_E_clISt17integral_constantIbLb0EESW_IbLb1EEEEDaSS_ST_EUlSS_E0_NS1_11comp_targetILNS1_3genE0ELNS1_11target_archE4294967295ELNS1_3gpuE0ELNS1_3repE0EEENS1_30default_config_static_selectorELNS0_4arch9wavefront6targetE1EEEvT1_
    .private_segment_fixed_size: 0
    .sgpr_count:     4
    .sgpr_spill_count: 0
    .symbol:         _ZN7rocprim17ROCPRIM_400000_NS6detail17trampoline_kernelINS0_14default_configENS1_20scan_config_selectorIxEEZZNS1_9scan_implILNS1_25lookback_scan_determinismE0ELb1ELb1ES3_N6thrust23THRUST_200600_302600_NS6detail15normal_iteratorINS9_10device_ptrIxEEEENS9_16discard_iteratorINS9_11use_defaultEEEx11max_functorIxExEEDaPvRmT3_T4_T5_mT6_P12ihipStream_tbENKUlT_T0_E_clISt17integral_constantIbLb0EESW_IbLb1EEEEDaSS_ST_EUlSS_E0_NS1_11comp_targetILNS1_3genE0ELNS1_11target_archE4294967295ELNS1_3gpuE0ELNS1_3repE0EEENS1_30default_config_static_selectorELNS0_4arch9wavefront6targetE1EEEvT1_.kd
    .uniform_work_group_size: 1
    .uses_dynamic_stack: false
    .vgpr_count:     0
    .vgpr_spill_count: 0
    .wavefront_size: 64
  - .agpr_count:     0
    .args:
      - .offset:         0
        .size:           48
        .value_kind:     by_value
    .group_segment_fixed_size: 0
    .kernarg_segment_align: 8
    .kernarg_segment_size: 48
    .language:       OpenCL C
    .language_version:
      - 2
      - 0
    .max_flat_workgroup_size: 256
    .name:           _ZN7rocprim17ROCPRIM_400000_NS6detail17trampoline_kernelINS0_14default_configENS1_20scan_config_selectorIxEEZZNS1_9scan_implILNS1_25lookback_scan_determinismE0ELb1ELb1ES3_N6thrust23THRUST_200600_302600_NS6detail15normal_iteratorINS9_10device_ptrIxEEEENS9_16discard_iteratorINS9_11use_defaultEEEx11max_functorIxExEEDaPvRmT3_T4_T5_mT6_P12ihipStream_tbENKUlT_T0_E_clISt17integral_constantIbLb0EESW_IbLb1EEEEDaSS_ST_EUlSS_E0_NS1_11comp_targetILNS1_3genE5ELNS1_11target_archE942ELNS1_3gpuE9ELNS1_3repE0EEENS1_30default_config_static_selectorELNS0_4arch9wavefront6targetE1EEEvT1_
    .private_segment_fixed_size: 0
    .sgpr_count:     4
    .sgpr_spill_count: 0
    .symbol:         _ZN7rocprim17ROCPRIM_400000_NS6detail17trampoline_kernelINS0_14default_configENS1_20scan_config_selectorIxEEZZNS1_9scan_implILNS1_25lookback_scan_determinismE0ELb1ELb1ES3_N6thrust23THRUST_200600_302600_NS6detail15normal_iteratorINS9_10device_ptrIxEEEENS9_16discard_iteratorINS9_11use_defaultEEEx11max_functorIxExEEDaPvRmT3_T4_T5_mT6_P12ihipStream_tbENKUlT_T0_E_clISt17integral_constantIbLb0EESW_IbLb1EEEEDaSS_ST_EUlSS_E0_NS1_11comp_targetILNS1_3genE5ELNS1_11target_archE942ELNS1_3gpuE9ELNS1_3repE0EEENS1_30default_config_static_selectorELNS0_4arch9wavefront6targetE1EEEvT1_.kd
    .uniform_work_group_size: 1
    .uses_dynamic_stack: false
    .vgpr_count:     0
    .vgpr_spill_count: 0
    .wavefront_size: 64
  - .agpr_count:     0
    .args:
      - .offset:         0
        .size:           48
        .value_kind:     by_value
    .group_segment_fixed_size: 7168
    .kernarg_segment_align: 8
    .kernarg_segment_size: 48
    .language:       OpenCL C
    .language_version:
      - 2
      - 0
    .max_flat_workgroup_size: 128
    .name:           _ZN7rocprim17ROCPRIM_400000_NS6detail17trampoline_kernelINS0_14default_configENS1_20scan_config_selectorIxEEZZNS1_9scan_implILNS1_25lookback_scan_determinismE0ELb1ELb1ES3_N6thrust23THRUST_200600_302600_NS6detail15normal_iteratorINS9_10device_ptrIxEEEENS9_16discard_iteratorINS9_11use_defaultEEEx11max_functorIxExEEDaPvRmT3_T4_T5_mT6_P12ihipStream_tbENKUlT_T0_E_clISt17integral_constantIbLb0EESW_IbLb1EEEEDaSS_ST_EUlSS_E0_NS1_11comp_targetILNS1_3genE4ELNS1_11target_archE910ELNS1_3gpuE8ELNS1_3repE0EEENS1_30default_config_static_selectorELNS0_4arch9wavefront6targetE1EEEvT1_
    .private_segment_fixed_size: 0
    .sgpr_count:     14
    .sgpr_spill_count: 0
    .symbol:         _ZN7rocprim17ROCPRIM_400000_NS6detail17trampoline_kernelINS0_14default_configENS1_20scan_config_selectorIxEEZZNS1_9scan_implILNS1_25lookback_scan_determinismE0ELb1ELb1ES3_N6thrust23THRUST_200600_302600_NS6detail15normal_iteratorINS9_10device_ptrIxEEEENS9_16discard_iteratorINS9_11use_defaultEEEx11max_functorIxExEEDaPvRmT3_T4_T5_mT6_P12ihipStream_tbENKUlT_T0_E_clISt17integral_constantIbLb0EESW_IbLb1EEEEDaSS_ST_EUlSS_E0_NS1_11comp_targetILNS1_3genE4ELNS1_11target_archE910ELNS1_3gpuE8ELNS1_3repE0EEENS1_30default_config_static_selectorELNS0_4arch9wavefront6targetE1EEEvT1_.kd
    .uniform_work_group_size: 1
    .uses_dynamic_stack: false
    .vgpr_count:     29
    .vgpr_spill_count: 0
    .wavefront_size: 64
  - .agpr_count:     0
    .args:
      - .offset:         0
        .size:           48
        .value_kind:     by_value
    .group_segment_fixed_size: 0
    .kernarg_segment_align: 8
    .kernarg_segment_size: 48
    .language:       OpenCL C
    .language_version:
      - 2
      - 0
    .max_flat_workgroup_size: 256
    .name:           _ZN7rocprim17ROCPRIM_400000_NS6detail17trampoline_kernelINS0_14default_configENS1_20scan_config_selectorIxEEZZNS1_9scan_implILNS1_25lookback_scan_determinismE0ELb1ELb1ES3_N6thrust23THRUST_200600_302600_NS6detail15normal_iteratorINS9_10device_ptrIxEEEENS9_16discard_iteratorINS9_11use_defaultEEEx11max_functorIxExEEDaPvRmT3_T4_T5_mT6_P12ihipStream_tbENKUlT_T0_E_clISt17integral_constantIbLb0EESW_IbLb1EEEEDaSS_ST_EUlSS_E0_NS1_11comp_targetILNS1_3genE3ELNS1_11target_archE908ELNS1_3gpuE7ELNS1_3repE0EEENS1_30default_config_static_selectorELNS0_4arch9wavefront6targetE1EEEvT1_
    .private_segment_fixed_size: 0
    .sgpr_count:     4
    .sgpr_spill_count: 0
    .symbol:         _ZN7rocprim17ROCPRIM_400000_NS6detail17trampoline_kernelINS0_14default_configENS1_20scan_config_selectorIxEEZZNS1_9scan_implILNS1_25lookback_scan_determinismE0ELb1ELb1ES3_N6thrust23THRUST_200600_302600_NS6detail15normal_iteratorINS9_10device_ptrIxEEEENS9_16discard_iteratorINS9_11use_defaultEEEx11max_functorIxExEEDaPvRmT3_T4_T5_mT6_P12ihipStream_tbENKUlT_T0_E_clISt17integral_constantIbLb0EESW_IbLb1EEEEDaSS_ST_EUlSS_E0_NS1_11comp_targetILNS1_3genE3ELNS1_11target_archE908ELNS1_3gpuE7ELNS1_3repE0EEENS1_30default_config_static_selectorELNS0_4arch9wavefront6targetE1EEEvT1_.kd
    .uniform_work_group_size: 1
    .uses_dynamic_stack: false
    .vgpr_count:     0
    .vgpr_spill_count: 0
    .wavefront_size: 64
  - .agpr_count:     0
    .args:
      - .offset:         0
        .size:           48
        .value_kind:     by_value
    .group_segment_fixed_size: 0
    .kernarg_segment_align: 8
    .kernarg_segment_size: 48
    .language:       OpenCL C
    .language_version:
      - 2
      - 0
    .max_flat_workgroup_size: 64
    .name:           _ZN7rocprim17ROCPRIM_400000_NS6detail17trampoline_kernelINS0_14default_configENS1_20scan_config_selectorIxEEZZNS1_9scan_implILNS1_25lookback_scan_determinismE0ELb1ELb1ES3_N6thrust23THRUST_200600_302600_NS6detail15normal_iteratorINS9_10device_ptrIxEEEENS9_16discard_iteratorINS9_11use_defaultEEEx11max_functorIxExEEDaPvRmT3_T4_T5_mT6_P12ihipStream_tbENKUlT_T0_E_clISt17integral_constantIbLb0EESW_IbLb1EEEEDaSS_ST_EUlSS_E0_NS1_11comp_targetILNS1_3genE2ELNS1_11target_archE906ELNS1_3gpuE6ELNS1_3repE0EEENS1_30default_config_static_selectorELNS0_4arch9wavefront6targetE1EEEvT1_
    .private_segment_fixed_size: 0
    .sgpr_count:     4
    .sgpr_spill_count: 0
    .symbol:         _ZN7rocprim17ROCPRIM_400000_NS6detail17trampoline_kernelINS0_14default_configENS1_20scan_config_selectorIxEEZZNS1_9scan_implILNS1_25lookback_scan_determinismE0ELb1ELb1ES3_N6thrust23THRUST_200600_302600_NS6detail15normal_iteratorINS9_10device_ptrIxEEEENS9_16discard_iteratorINS9_11use_defaultEEEx11max_functorIxExEEDaPvRmT3_T4_T5_mT6_P12ihipStream_tbENKUlT_T0_E_clISt17integral_constantIbLb0EESW_IbLb1EEEEDaSS_ST_EUlSS_E0_NS1_11comp_targetILNS1_3genE2ELNS1_11target_archE906ELNS1_3gpuE6ELNS1_3repE0EEENS1_30default_config_static_selectorELNS0_4arch9wavefront6targetE1EEEvT1_.kd
    .uniform_work_group_size: 1
    .uses_dynamic_stack: false
    .vgpr_count:     0
    .vgpr_spill_count: 0
    .wavefront_size: 64
  - .agpr_count:     0
    .args:
      - .offset:         0
        .size:           48
        .value_kind:     by_value
    .group_segment_fixed_size: 0
    .kernarg_segment_align: 8
    .kernarg_segment_size: 48
    .language:       OpenCL C
    .language_version:
      - 2
      - 0
    .max_flat_workgroup_size: 256
    .name:           _ZN7rocprim17ROCPRIM_400000_NS6detail17trampoline_kernelINS0_14default_configENS1_20scan_config_selectorIxEEZZNS1_9scan_implILNS1_25lookback_scan_determinismE0ELb1ELb1ES3_N6thrust23THRUST_200600_302600_NS6detail15normal_iteratorINS9_10device_ptrIxEEEENS9_16discard_iteratorINS9_11use_defaultEEEx11max_functorIxExEEDaPvRmT3_T4_T5_mT6_P12ihipStream_tbENKUlT_T0_E_clISt17integral_constantIbLb0EESW_IbLb1EEEEDaSS_ST_EUlSS_E0_NS1_11comp_targetILNS1_3genE10ELNS1_11target_archE1201ELNS1_3gpuE5ELNS1_3repE0EEENS1_30default_config_static_selectorELNS0_4arch9wavefront6targetE1EEEvT1_
    .private_segment_fixed_size: 0
    .sgpr_count:     4
    .sgpr_spill_count: 0
    .symbol:         _ZN7rocprim17ROCPRIM_400000_NS6detail17trampoline_kernelINS0_14default_configENS1_20scan_config_selectorIxEEZZNS1_9scan_implILNS1_25lookback_scan_determinismE0ELb1ELb1ES3_N6thrust23THRUST_200600_302600_NS6detail15normal_iteratorINS9_10device_ptrIxEEEENS9_16discard_iteratorINS9_11use_defaultEEEx11max_functorIxExEEDaPvRmT3_T4_T5_mT6_P12ihipStream_tbENKUlT_T0_E_clISt17integral_constantIbLb0EESW_IbLb1EEEEDaSS_ST_EUlSS_E0_NS1_11comp_targetILNS1_3genE10ELNS1_11target_archE1201ELNS1_3gpuE5ELNS1_3repE0EEENS1_30default_config_static_selectorELNS0_4arch9wavefront6targetE1EEEvT1_.kd
    .uniform_work_group_size: 1
    .uses_dynamic_stack: false
    .vgpr_count:     0
    .vgpr_spill_count: 0
    .wavefront_size: 64
  - .agpr_count:     0
    .args:
      - .offset:         0
        .size:           48
        .value_kind:     by_value
    .group_segment_fixed_size: 0
    .kernarg_segment_align: 8
    .kernarg_segment_size: 48
    .language:       OpenCL C
    .language_version:
      - 2
      - 0
    .max_flat_workgroup_size: 256
    .name:           _ZN7rocprim17ROCPRIM_400000_NS6detail17trampoline_kernelINS0_14default_configENS1_20scan_config_selectorIxEEZZNS1_9scan_implILNS1_25lookback_scan_determinismE0ELb1ELb1ES3_N6thrust23THRUST_200600_302600_NS6detail15normal_iteratorINS9_10device_ptrIxEEEENS9_16discard_iteratorINS9_11use_defaultEEEx11max_functorIxExEEDaPvRmT3_T4_T5_mT6_P12ihipStream_tbENKUlT_T0_E_clISt17integral_constantIbLb0EESW_IbLb1EEEEDaSS_ST_EUlSS_E0_NS1_11comp_targetILNS1_3genE10ELNS1_11target_archE1200ELNS1_3gpuE4ELNS1_3repE0EEENS1_30default_config_static_selectorELNS0_4arch9wavefront6targetE1EEEvT1_
    .private_segment_fixed_size: 0
    .sgpr_count:     4
    .sgpr_spill_count: 0
    .symbol:         _ZN7rocprim17ROCPRIM_400000_NS6detail17trampoline_kernelINS0_14default_configENS1_20scan_config_selectorIxEEZZNS1_9scan_implILNS1_25lookback_scan_determinismE0ELb1ELb1ES3_N6thrust23THRUST_200600_302600_NS6detail15normal_iteratorINS9_10device_ptrIxEEEENS9_16discard_iteratorINS9_11use_defaultEEEx11max_functorIxExEEDaPvRmT3_T4_T5_mT6_P12ihipStream_tbENKUlT_T0_E_clISt17integral_constantIbLb0EESW_IbLb1EEEEDaSS_ST_EUlSS_E0_NS1_11comp_targetILNS1_3genE10ELNS1_11target_archE1200ELNS1_3gpuE4ELNS1_3repE0EEENS1_30default_config_static_selectorELNS0_4arch9wavefront6targetE1EEEvT1_.kd
    .uniform_work_group_size: 1
    .uses_dynamic_stack: false
    .vgpr_count:     0
    .vgpr_spill_count: 0
    .wavefront_size: 64
  - .agpr_count:     0
    .args:
      - .offset:         0
        .size:           48
        .value_kind:     by_value
    .group_segment_fixed_size: 0
    .kernarg_segment_align: 8
    .kernarg_segment_size: 48
    .language:       OpenCL C
    .language_version:
      - 2
      - 0
    .max_flat_workgroup_size: 256
    .name:           _ZN7rocprim17ROCPRIM_400000_NS6detail17trampoline_kernelINS0_14default_configENS1_20scan_config_selectorIxEEZZNS1_9scan_implILNS1_25lookback_scan_determinismE0ELb1ELb1ES3_N6thrust23THRUST_200600_302600_NS6detail15normal_iteratorINS9_10device_ptrIxEEEENS9_16discard_iteratorINS9_11use_defaultEEEx11max_functorIxExEEDaPvRmT3_T4_T5_mT6_P12ihipStream_tbENKUlT_T0_E_clISt17integral_constantIbLb0EESW_IbLb1EEEEDaSS_ST_EUlSS_E0_NS1_11comp_targetILNS1_3genE9ELNS1_11target_archE1100ELNS1_3gpuE3ELNS1_3repE0EEENS1_30default_config_static_selectorELNS0_4arch9wavefront6targetE1EEEvT1_
    .private_segment_fixed_size: 0
    .sgpr_count:     4
    .sgpr_spill_count: 0
    .symbol:         _ZN7rocprim17ROCPRIM_400000_NS6detail17trampoline_kernelINS0_14default_configENS1_20scan_config_selectorIxEEZZNS1_9scan_implILNS1_25lookback_scan_determinismE0ELb1ELb1ES3_N6thrust23THRUST_200600_302600_NS6detail15normal_iteratorINS9_10device_ptrIxEEEENS9_16discard_iteratorINS9_11use_defaultEEEx11max_functorIxExEEDaPvRmT3_T4_T5_mT6_P12ihipStream_tbENKUlT_T0_E_clISt17integral_constantIbLb0EESW_IbLb1EEEEDaSS_ST_EUlSS_E0_NS1_11comp_targetILNS1_3genE9ELNS1_11target_archE1100ELNS1_3gpuE3ELNS1_3repE0EEENS1_30default_config_static_selectorELNS0_4arch9wavefront6targetE1EEEvT1_.kd
    .uniform_work_group_size: 1
    .uses_dynamic_stack: false
    .vgpr_count:     0
    .vgpr_spill_count: 0
    .wavefront_size: 64
  - .agpr_count:     0
    .args:
      - .offset:         0
        .size:           48
        .value_kind:     by_value
    .group_segment_fixed_size: 0
    .kernarg_segment_align: 8
    .kernarg_segment_size: 48
    .language:       OpenCL C
    .language_version:
      - 2
      - 0
    .max_flat_workgroup_size: 256
    .name:           _ZN7rocprim17ROCPRIM_400000_NS6detail17trampoline_kernelINS0_14default_configENS1_20scan_config_selectorIxEEZZNS1_9scan_implILNS1_25lookback_scan_determinismE0ELb1ELb1ES3_N6thrust23THRUST_200600_302600_NS6detail15normal_iteratorINS9_10device_ptrIxEEEENS9_16discard_iteratorINS9_11use_defaultEEEx11max_functorIxExEEDaPvRmT3_T4_T5_mT6_P12ihipStream_tbENKUlT_T0_E_clISt17integral_constantIbLb0EESW_IbLb1EEEEDaSS_ST_EUlSS_E0_NS1_11comp_targetILNS1_3genE8ELNS1_11target_archE1030ELNS1_3gpuE2ELNS1_3repE0EEENS1_30default_config_static_selectorELNS0_4arch9wavefront6targetE1EEEvT1_
    .private_segment_fixed_size: 0
    .sgpr_count:     4
    .sgpr_spill_count: 0
    .symbol:         _ZN7rocprim17ROCPRIM_400000_NS6detail17trampoline_kernelINS0_14default_configENS1_20scan_config_selectorIxEEZZNS1_9scan_implILNS1_25lookback_scan_determinismE0ELb1ELb1ES3_N6thrust23THRUST_200600_302600_NS6detail15normal_iteratorINS9_10device_ptrIxEEEENS9_16discard_iteratorINS9_11use_defaultEEEx11max_functorIxExEEDaPvRmT3_T4_T5_mT6_P12ihipStream_tbENKUlT_T0_E_clISt17integral_constantIbLb0EESW_IbLb1EEEEDaSS_ST_EUlSS_E0_NS1_11comp_targetILNS1_3genE8ELNS1_11target_archE1030ELNS1_3gpuE2ELNS1_3repE0EEENS1_30default_config_static_selectorELNS0_4arch9wavefront6targetE1EEEvT1_.kd
    .uniform_work_group_size: 1
    .uses_dynamic_stack: false
    .vgpr_count:     0
    .vgpr_spill_count: 0
    .wavefront_size: 64
  - .agpr_count:     0
    .args:
      - .offset:         0
        .size:           104
        .value_kind:     by_value
    .group_segment_fixed_size: 0
    .kernarg_segment_align: 8
    .kernarg_segment_size: 104
    .language:       OpenCL C
    .language_version:
      - 2
      - 0
    .max_flat_workgroup_size: 256
    .name:           _ZN7rocprim17ROCPRIM_400000_NS6detail17trampoline_kernelINS0_14default_configENS1_20scan_config_selectorIiEEZZNS1_9scan_implILNS1_25lookback_scan_determinismE0ELb0ELb0ES3_N6thrust23THRUST_200600_302600_NS6detail15normal_iteratorINS9_10device_ptrIiEEEENS9_16discard_iteratorINS9_11use_defaultEEEi11max_functorIiEiEEDaPvRmT3_T4_T5_mT6_P12ihipStream_tbENKUlT_T0_E_clISt17integral_constantIbLb0EESX_EEDaSS_ST_EUlSS_E_NS1_11comp_targetILNS1_3genE0ELNS1_11target_archE4294967295ELNS1_3gpuE0ELNS1_3repE0EEENS1_30default_config_static_selectorELNS0_4arch9wavefront6targetE1EEEvT1_
    .private_segment_fixed_size: 0
    .sgpr_count:     4
    .sgpr_spill_count: 0
    .symbol:         _ZN7rocprim17ROCPRIM_400000_NS6detail17trampoline_kernelINS0_14default_configENS1_20scan_config_selectorIiEEZZNS1_9scan_implILNS1_25lookback_scan_determinismE0ELb0ELb0ES3_N6thrust23THRUST_200600_302600_NS6detail15normal_iteratorINS9_10device_ptrIiEEEENS9_16discard_iteratorINS9_11use_defaultEEEi11max_functorIiEiEEDaPvRmT3_T4_T5_mT6_P12ihipStream_tbENKUlT_T0_E_clISt17integral_constantIbLb0EESX_EEDaSS_ST_EUlSS_E_NS1_11comp_targetILNS1_3genE0ELNS1_11target_archE4294967295ELNS1_3gpuE0ELNS1_3repE0EEENS1_30default_config_static_selectorELNS0_4arch9wavefront6targetE1EEEvT1_.kd
    .uniform_work_group_size: 1
    .uses_dynamic_stack: false
    .vgpr_count:     0
    .vgpr_spill_count: 0
    .wavefront_size: 64
  - .agpr_count:     0
    .args:
      - .offset:         0
        .size:           104
        .value_kind:     by_value
    .group_segment_fixed_size: 0
    .kernarg_segment_align: 8
    .kernarg_segment_size: 104
    .language:       OpenCL C
    .language_version:
      - 2
      - 0
    .max_flat_workgroup_size: 256
    .name:           _ZN7rocprim17ROCPRIM_400000_NS6detail17trampoline_kernelINS0_14default_configENS1_20scan_config_selectorIiEEZZNS1_9scan_implILNS1_25lookback_scan_determinismE0ELb0ELb0ES3_N6thrust23THRUST_200600_302600_NS6detail15normal_iteratorINS9_10device_ptrIiEEEENS9_16discard_iteratorINS9_11use_defaultEEEi11max_functorIiEiEEDaPvRmT3_T4_T5_mT6_P12ihipStream_tbENKUlT_T0_E_clISt17integral_constantIbLb0EESX_EEDaSS_ST_EUlSS_E_NS1_11comp_targetILNS1_3genE5ELNS1_11target_archE942ELNS1_3gpuE9ELNS1_3repE0EEENS1_30default_config_static_selectorELNS0_4arch9wavefront6targetE1EEEvT1_
    .private_segment_fixed_size: 0
    .sgpr_count:     4
    .sgpr_spill_count: 0
    .symbol:         _ZN7rocprim17ROCPRIM_400000_NS6detail17trampoline_kernelINS0_14default_configENS1_20scan_config_selectorIiEEZZNS1_9scan_implILNS1_25lookback_scan_determinismE0ELb0ELb0ES3_N6thrust23THRUST_200600_302600_NS6detail15normal_iteratorINS9_10device_ptrIiEEEENS9_16discard_iteratorINS9_11use_defaultEEEi11max_functorIiEiEEDaPvRmT3_T4_T5_mT6_P12ihipStream_tbENKUlT_T0_E_clISt17integral_constantIbLb0EESX_EEDaSS_ST_EUlSS_E_NS1_11comp_targetILNS1_3genE5ELNS1_11target_archE942ELNS1_3gpuE9ELNS1_3repE0EEENS1_30default_config_static_selectorELNS0_4arch9wavefront6targetE1EEEvT1_.kd
    .uniform_work_group_size: 1
    .uses_dynamic_stack: false
    .vgpr_count:     0
    .vgpr_spill_count: 0
    .wavefront_size: 64
  - .agpr_count:     0
    .args:
      - .offset:         0
        .size:           104
        .value_kind:     by_value
    .group_segment_fixed_size: 5120
    .kernarg_segment_align: 8
    .kernarg_segment_size: 104
    .language:       OpenCL C
    .language_version:
      - 2
      - 0
    .max_flat_workgroup_size: 128
    .name:           _ZN7rocprim17ROCPRIM_400000_NS6detail17trampoline_kernelINS0_14default_configENS1_20scan_config_selectorIiEEZZNS1_9scan_implILNS1_25lookback_scan_determinismE0ELb0ELb0ES3_N6thrust23THRUST_200600_302600_NS6detail15normal_iteratorINS9_10device_ptrIiEEEENS9_16discard_iteratorINS9_11use_defaultEEEi11max_functorIiEiEEDaPvRmT3_T4_T5_mT6_P12ihipStream_tbENKUlT_T0_E_clISt17integral_constantIbLb0EESX_EEDaSS_ST_EUlSS_E_NS1_11comp_targetILNS1_3genE4ELNS1_11target_archE910ELNS1_3gpuE8ELNS1_3repE0EEENS1_30default_config_static_selectorELNS0_4arch9wavefront6targetE1EEEvT1_
    .private_segment_fixed_size: 0
    .sgpr_count:     26
    .sgpr_spill_count: 0
    .symbol:         _ZN7rocprim17ROCPRIM_400000_NS6detail17trampoline_kernelINS0_14default_configENS1_20scan_config_selectorIiEEZZNS1_9scan_implILNS1_25lookback_scan_determinismE0ELb0ELb0ES3_N6thrust23THRUST_200600_302600_NS6detail15normal_iteratorINS9_10device_ptrIiEEEENS9_16discard_iteratorINS9_11use_defaultEEEi11max_functorIiEiEEDaPvRmT3_T4_T5_mT6_P12ihipStream_tbENKUlT_T0_E_clISt17integral_constantIbLb0EESX_EEDaSS_ST_EUlSS_E_NS1_11comp_targetILNS1_3genE4ELNS1_11target_archE910ELNS1_3gpuE8ELNS1_3repE0EEENS1_30default_config_static_selectorELNS0_4arch9wavefront6targetE1EEEvT1_.kd
    .uniform_work_group_size: 1
    .uses_dynamic_stack: false
    .vgpr_count:     39
    .vgpr_spill_count: 0
    .wavefront_size: 64
  - .agpr_count:     0
    .args:
      - .offset:         0
        .size:           104
        .value_kind:     by_value
    .group_segment_fixed_size: 0
    .kernarg_segment_align: 8
    .kernarg_segment_size: 104
    .language:       OpenCL C
    .language_version:
      - 2
      - 0
    .max_flat_workgroup_size: 256
    .name:           _ZN7rocprim17ROCPRIM_400000_NS6detail17trampoline_kernelINS0_14default_configENS1_20scan_config_selectorIiEEZZNS1_9scan_implILNS1_25lookback_scan_determinismE0ELb0ELb0ES3_N6thrust23THRUST_200600_302600_NS6detail15normal_iteratorINS9_10device_ptrIiEEEENS9_16discard_iteratorINS9_11use_defaultEEEi11max_functorIiEiEEDaPvRmT3_T4_T5_mT6_P12ihipStream_tbENKUlT_T0_E_clISt17integral_constantIbLb0EESX_EEDaSS_ST_EUlSS_E_NS1_11comp_targetILNS1_3genE3ELNS1_11target_archE908ELNS1_3gpuE7ELNS1_3repE0EEENS1_30default_config_static_selectorELNS0_4arch9wavefront6targetE1EEEvT1_
    .private_segment_fixed_size: 0
    .sgpr_count:     4
    .sgpr_spill_count: 0
    .symbol:         _ZN7rocprim17ROCPRIM_400000_NS6detail17trampoline_kernelINS0_14default_configENS1_20scan_config_selectorIiEEZZNS1_9scan_implILNS1_25lookback_scan_determinismE0ELb0ELb0ES3_N6thrust23THRUST_200600_302600_NS6detail15normal_iteratorINS9_10device_ptrIiEEEENS9_16discard_iteratorINS9_11use_defaultEEEi11max_functorIiEiEEDaPvRmT3_T4_T5_mT6_P12ihipStream_tbENKUlT_T0_E_clISt17integral_constantIbLb0EESX_EEDaSS_ST_EUlSS_E_NS1_11comp_targetILNS1_3genE3ELNS1_11target_archE908ELNS1_3gpuE7ELNS1_3repE0EEENS1_30default_config_static_selectorELNS0_4arch9wavefront6targetE1EEEvT1_.kd
    .uniform_work_group_size: 1
    .uses_dynamic_stack: false
    .vgpr_count:     0
    .vgpr_spill_count: 0
    .wavefront_size: 64
  - .agpr_count:     0
    .args:
      - .offset:         0
        .size:           104
        .value_kind:     by_value
    .group_segment_fixed_size: 0
    .kernarg_segment_align: 8
    .kernarg_segment_size: 104
    .language:       OpenCL C
    .language_version:
      - 2
      - 0
    .max_flat_workgroup_size: 256
    .name:           _ZN7rocprim17ROCPRIM_400000_NS6detail17trampoline_kernelINS0_14default_configENS1_20scan_config_selectorIiEEZZNS1_9scan_implILNS1_25lookback_scan_determinismE0ELb0ELb0ES3_N6thrust23THRUST_200600_302600_NS6detail15normal_iteratorINS9_10device_ptrIiEEEENS9_16discard_iteratorINS9_11use_defaultEEEi11max_functorIiEiEEDaPvRmT3_T4_T5_mT6_P12ihipStream_tbENKUlT_T0_E_clISt17integral_constantIbLb0EESX_EEDaSS_ST_EUlSS_E_NS1_11comp_targetILNS1_3genE2ELNS1_11target_archE906ELNS1_3gpuE6ELNS1_3repE0EEENS1_30default_config_static_selectorELNS0_4arch9wavefront6targetE1EEEvT1_
    .private_segment_fixed_size: 0
    .sgpr_count:     4
    .sgpr_spill_count: 0
    .symbol:         _ZN7rocprim17ROCPRIM_400000_NS6detail17trampoline_kernelINS0_14default_configENS1_20scan_config_selectorIiEEZZNS1_9scan_implILNS1_25lookback_scan_determinismE0ELb0ELb0ES3_N6thrust23THRUST_200600_302600_NS6detail15normal_iteratorINS9_10device_ptrIiEEEENS9_16discard_iteratorINS9_11use_defaultEEEi11max_functorIiEiEEDaPvRmT3_T4_T5_mT6_P12ihipStream_tbENKUlT_T0_E_clISt17integral_constantIbLb0EESX_EEDaSS_ST_EUlSS_E_NS1_11comp_targetILNS1_3genE2ELNS1_11target_archE906ELNS1_3gpuE6ELNS1_3repE0EEENS1_30default_config_static_selectorELNS0_4arch9wavefront6targetE1EEEvT1_.kd
    .uniform_work_group_size: 1
    .uses_dynamic_stack: false
    .vgpr_count:     0
    .vgpr_spill_count: 0
    .wavefront_size: 64
  - .agpr_count:     0
    .args:
      - .offset:         0
        .size:           104
        .value_kind:     by_value
    .group_segment_fixed_size: 0
    .kernarg_segment_align: 8
    .kernarg_segment_size: 104
    .language:       OpenCL C
    .language_version:
      - 2
      - 0
    .max_flat_workgroup_size: 256
    .name:           _ZN7rocprim17ROCPRIM_400000_NS6detail17trampoline_kernelINS0_14default_configENS1_20scan_config_selectorIiEEZZNS1_9scan_implILNS1_25lookback_scan_determinismE0ELb0ELb0ES3_N6thrust23THRUST_200600_302600_NS6detail15normal_iteratorINS9_10device_ptrIiEEEENS9_16discard_iteratorINS9_11use_defaultEEEi11max_functorIiEiEEDaPvRmT3_T4_T5_mT6_P12ihipStream_tbENKUlT_T0_E_clISt17integral_constantIbLb0EESX_EEDaSS_ST_EUlSS_E_NS1_11comp_targetILNS1_3genE10ELNS1_11target_archE1201ELNS1_3gpuE5ELNS1_3repE0EEENS1_30default_config_static_selectorELNS0_4arch9wavefront6targetE1EEEvT1_
    .private_segment_fixed_size: 0
    .sgpr_count:     4
    .sgpr_spill_count: 0
    .symbol:         _ZN7rocprim17ROCPRIM_400000_NS6detail17trampoline_kernelINS0_14default_configENS1_20scan_config_selectorIiEEZZNS1_9scan_implILNS1_25lookback_scan_determinismE0ELb0ELb0ES3_N6thrust23THRUST_200600_302600_NS6detail15normal_iteratorINS9_10device_ptrIiEEEENS9_16discard_iteratorINS9_11use_defaultEEEi11max_functorIiEiEEDaPvRmT3_T4_T5_mT6_P12ihipStream_tbENKUlT_T0_E_clISt17integral_constantIbLb0EESX_EEDaSS_ST_EUlSS_E_NS1_11comp_targetILNS1_3genE10ELNS1_11target_archE1201ELNS1_3gpuE5ELNS1_3repE0EEENS1_30default_config_static_selectorELNS0_4arch9wavefront6targetE1EEEvT1_.kd
    .uniform_work_group_size: 1
    .uses_dynamic_stack: false
    .vgpr_count:     0
    .vgpr_spill_count: 0
    .wavefront_size: 64
  - .agpr_count:     0
    .args:
      - .offset:         0
        .size:           104
        .value_kind:     by_value
    .group_segment_fixed_size: 0
    .kernarg_segment_align: 8
    .kernarg_segment_size: 104
    .language:       OpenCL C
    .language_version:
      - 2
      - 0
    .max_flat_workgroup_size: 256
    .name:           _ZN7rocprim17ROCPRIM_400000_NS6detail17trampoline_kernelINS0_14default_configENS1_20scan_config_selectorIiEEZZNS1_9scan_implILNS1_25lookback_scan_determinismE0ELb0ELb0ES3_N6thrust23THRUST_200600_302600_NS6detail15normal_iteratorINS9_10device_ptrIiEEEENS9_16discard_iteratorINS9_11use_defaultEEEi11max_functorIiEiEEDaPvRmT3_T4_T5_mT6_P12ihipStream_tbENKUlT_T0_E_clISt17integral_constantIbLb0EESX_EEDaSS_ST_EUlSS_E_NS1_11comp_targetILNS1_3genE10ELNS1_11target_archE1200ELNS1_3gpuE4ELNS1_3repE0EEENS1_30default_config_static_selectorELNS0_4arch9wavefront6targetE1EEEvT1_
    .private_segment_fixed_size: 0
    .sgpr_count:     4
    .sgpr_spill_count: 0
    .symbol:         _ZN7rocprim17ROCPRIM_400000_NS6detail17trampoline_kernelINS0_14default_configENS1_20scan_config_selectorIiEEZZNS1_9scan_implILNS1_25lookback_scan_determinismE0ELb0ELb0ES3_N6thrust23THRUST_200600_302600_NS6detail15normal_iteratorINS9_10device_ptrIiEEEENS9_16discard_iteratorINS9_11use_defaultEEEi11max_functorIiEiEEDaPvRmT3_T4_T5_mT6_P12ihipStream_tbENKUlT_T0_E_clISt17integral_constantIbLb0EESX_EEDaSS_ST_EUlSS_E_NS1_11comp_targetILNS1_3genE10ELNS1_11target_archE1200ELNS1_3gpuE4ELNS1_3repE0EEENS1_30default_config_static_selectorELNS0_4arch9wavefront6targetE1EEEvT1_.kd
    .uniform_work_group_size: 1
    .uses_dynamic_stack: false
    .vgpr_count:     0
    .vgpr_spill_count: 0
    .wavefront_size: 64
  - .agpr_count:     0
    .args:
      - .offset:         0
        .size:           104
        .value_kind:     by_value
    .group_segment_fixed_size: 0
    .kernarg_segment_align: 8
    .kernarg_segment_size: 104
    .language:       OpenCL C
    .language_version:
      - 2
      - 0
    .max_flat_workgroup_size: 256
    .name:           _ZN7rocprim17ROCPRIM_400000_NS6detail17trampoline_kernelINS0_14default_configENS1_20scan_config_selectorIiEEZZNS1_9scan_implILNS1_25lookback_scan_determinismE0ELb0ELb0ES3_N6thrust23THRUST_200600_302600_NS6detail15normal_iteratorINS9_10device_ptrIiEEEENS9_16discard_iteratorINS9_11use_defaultEEEi11max_functorIiEiEEDaPvRmT3_T4_T5_mT6_P12ihipStream_tbENKUlT_T0_E_clISt17integral_constantIbLb0EESX_EEDaSS_ST_EUlSS_E_NS1_11comp_targetILNS1_3genE9ELNS1_11target_archE1100ELNS1_3gpuE3ELNS1_3repE0EEENS1_30default_config_static_selectorELNS0_4arch9wavefront6targetE1EEEvT1_
    .private_segment_fixed_size: 0
    .sgpr_count:     4
    .sgpr_spill_count: 0
    .symbol:         _ZN7rocprim17ROCPRIM_400000_NS6detail17trampoline_kernelINS0_14default_configENS1_20scan_config_selectorIiEEZZNS1_9scan_implILNS1_25lookback_scan_determinismE0ELb0ELb0ES3_N6thrust23THRUST_200600_302600_NS6detail15normal_iteratorINS9_10device_ptrIiEEEENS9_16discard_iteratorINS9_11use_defaultEEEi11max_functorIiEiEEDaPvRmT3_T4_T5_mT6_P12ihipStream_tbENKUlT_T0_E_clISt17integral_constantIbLb0EESX_EEDaSS_ST_EUlSS_E_NS1_11comp_targetILNS1_3genE9ELNS1_11target_archE1100ELNS1_3gpuE3ELNS1_3repE0EEENS1_30default_config_static_selectorELNS0_4arch9wavefront6targetE1EEEvT1_.kd
    .uniform_work_group_size: 1
    .uses_dynamic_stack: false
    .vgpr_count:     0
    .vgpr_spill_count: 0
    .wavefront_size: 64
  - .agpr_count:     0
    .args:
      - .offset:         0
        .size:           104
        .value_kind:     by_value
    .group_segment_fixed_size: 0
    .kernarg_segment_align: 8
    .kernarg_segment_size: 104
    .language:       OpenCL C
    .language_version:
      - 2
      - 0
    .max_flat_workgroup_size: 64
    .name:           _ZN7rocprim17ROCPRIM_400000_NS6detail17trampoline_kernelINS0_14default_configENS1_20scan_config_selectorIiEEZZNS1_9scan_implILNS1_25lookback_scan_determinismE0ELb0ELb0ES3_N6thrust23THRUST_200600_302600_NS6detail15normal_iteratorINS9_10device_ptrIiEEEENS9_16discard_iteratorINS9_11use_defaultEEEi11max_functorIiEiEEDaPvRmT3_T4_T5_mT6_P12ihipStream_tbENKUlT_T0_E_clISt17integral_constantIbLb0EESX_EEDaSS_ST_EUlSS_E_NS1_11comp_targetILNS1_3genE8ELNS1_11target_archE1030ELNS1_3gpuE2ELNS1_3repE0EEENS1_30default_config_static_selectorELNS0_4arch9wavefront6targetE1EEEvT1_
    .private_segment_fixed_size: 0
    .sgpr_count:     4
    .sgpr_spill_count: 0
    .symbol:         _ZN7rocprim17ROCPRIM_400000_NS6detail17trampoline_kernelINS0_14default_configENS1_20scan_config_selectorIiEEZZNS1_9scan_implILNS1_25lookback_scan_determinismE0ELb0ELb0ES3_N6thrust23THRUST_200600_302600_NS6detail15normal_iteratorINS9_10device_ptrIiEEEENS9_16discard_iteratorINS9_11use_defaultEEEi11max_functorIiEiEEDaPvRmT3_T4_T5_mT6_P12ihipStream_tbENKUlT_T0_E_clISt17integral_constantIbLb0EESX_EEDaSS_ST_EUlSS_E_NS1_11comp_targetILNS1_3genE8ELNS1_11target_archE1030ELNS1_3gpuE2ELNS1_3repE0EEENS1_30default_config_static_selectorELNS0_4arch9wavefront6targetE1EEEvT1_.kd
    .uniform_work_group_size: 1
    .uses_dynamic_stack: false
    .vgpr_count:     0
    .vgpr_spill_count: 0
    .wavefront_size: 64
  - .agpr_count:     0
    .args:
      - .offset:         0
        .size:           40
        .value_kind:     by_value
    .group_segment_fixed_size: 0
    .kernarg_segment_align: 8
    .kernarg_segment_size: 40
    .language:       OpenCL C
    .language_version:
      - 2
      - 0
    .max_flat_workgroup_size: 256
    .name:           _ZN7rocprim17ROCPRIM_400000_NS6detail17trampoline_kernelINS0_14default_configENS1_20scan_config_selectorIiEEZZNS1_9scan_implILNS1_25lookback_scan_determinismE0ELb0ELb0ES3_N6thrust23THRUST_200600_302600_NS6detail15normal_iteratorINS9_10device_ptrIiEEEENS9_16discard_iteratorINS9_11use_defaultEEEi11max_functorIiEiEEDaPvRmT3_T4_T5_mT6_P12ihipStream_tbENKUlT_T0_E_clISt17integral_constantIbLb0EESX_EEDaSS_ST_EUlSS_E0_NS1_11comp_targetILNS1_3genE0ELNS1_11target_archE4294967295ELNS1_3gpuE0ELNS1_3repE0EEENS1_30default_config_static_selectorELNS0_4arch9wavefront6targetE1EEEvT1_
    .private_segment_fixed_size: 0
    .sgpr_count:     4
    .sgpr_spill_count: 0
    .symbol:         _ZN7rocprim17ROCPRIM_400000_NS6detail17trampoline_kernelINS0_14default_configENS1_20scan_config_selectorIiEEZZNS1_9scan_implILNS1_25lookback_scan_determinismE0ELb0ELb0ES3_N6thrust23THRUST_200600_302600_NS6detail15normal_iteratorINS9_10device_ptrIiEEEENS9_16discard_iteratorINS9_11use_defaultEEEi11max_functorIiEiEEDaPvRmT3_T4_T5_mT6_P12ihipStream_tbENKUlT_T0_E_clISt17integral_constantIbLb0EESX_EEDaSS_ST_EUlSS_E0_NS1_11comp_targetILNS1_3genE0ELNS1_11target_archE4294967295ELNS1_3gpuE0ELNS1_3repE0EEENS1_30default_config_static_selectorELNS0_4arch9wavefront6targetE1EEEvT1_.kd
    .uniform_work_group_size: 1
    .uses_dynamic_stack: false
    .vgpr_count:     0
    .vgpr_spill_count: 0
    .wavefront_size: 64
  - .agpr_count:     0
    .args:
      - .offset:         0
        .size:           40
        .value_kind:     by_value
    .group_segment_fixed_size: 0
    .kernarg_segment_align: 8
    .kernarg_segment_size: 40
    .language:       OpenCL C
    .language_version:
      - 2
      - 0
    .max_flat_workgroup_size: 256
    .name:           _ZN7rocprim17ROCPRIM_400000_NS6detail17trampoline_kernelINS0_14default_configENS1_20scan_config_selectorIiEEZZNS1_9scan_implILNS1_25lookback_scan_determinismE0ELb0ELb0ES3_N6thrust23THRUST_200600_302600_NS6detail15normal_iteratorINS9_10device_ptrIiEEEENS9_16discard_iteratorINS9_11use_defaultEEEi11max_functorIiEiEEDaPvRmT3_T4_T5_mT6_P12ihipStream_tbENKUlT_T0_E_clISt17integral_constantIbLb0EESX_EEDaSS_ST_EUlSS_E0_NS1_11comp_targetILNS1_3genE5ELNS1_11target_archE942ELNS1_3gpuE9ELNS1_3repE0EEENS1_30default_config_static_selectorELNS0_4arch9wavefront6targetE1EEEvT1_
    .private_segment_fixed_size: 0
    .sgpr_count:     4
    .sgpr_spill_count: 0
    .symbol:         _ZN7rocprim17ROCPRIM_400000_NS6detail17trampoline_kernelINS0_14default_configENS1_20scan_config_selectorIiEEZZNS1_9scan_implILNS1_25lookback_scan_determinismE0ELb0ELb0ES3_N6thrust23THRUST_200600_302600_NS6detail15normal_iteratorINS9_10device_ptrIiEEEENS9_16discard_iteratorINS9_11use_defaultEEEi11max_functorIiEiEEDaPvRmT3_T4_T5_mT6_P12ihipStream_tbENKUlT_T0_E_clISt17integral_constantIbLb0EESX_EEDaSS_ST_EUlSS_E0_NS1_11comp_targetILNS1_3genE5ELNS1_11target_archE942ELNS1_3gpuE9ELNS1_3repE0EEENS1_30default_config_static_selectorELNS0_4arch9wavefront6targetE1EEEvT1_.kd
    .uniform_work_group_size: 1
    .uses_dynamic_stack: false
    .vgpr_count:     0
    .vgpr_spill_count: 0
    .wavefront_size: 64
  - .agpr_count:     0
    .args:
      - .offset:         0
        .size:           40
        .value_kind:     by_value
    .group_segment_fixed_size: 5120
    .kernarg_segment_align: 8
    .kernarg_segment_size: 40
    .language:       OpenCL C
    .language_version:
      - 2
      - 0
    .max_flat_workgroup_size: 128
    .name:           _ZN7rocprim17ROCPRIM_400000_NS6detail17trampoline_kernelINS0_14default_configENS1_20scan_config_selectorIiEEZZNS1_9scan_implILNS1_25lookback_scan_determinismE0ELb0ELb0ES3_N6thrust23THRUST_200600_302600_NS6detail15normal_iteratorINS9_10device_ptrIiEEEENS9_16discard_iteratorINS9_11use_defaultEEEi11max_functorIiEiEEDaPvRmT3_T4_T5_mT6_P12ihipStream_tbENKUlT_T0_E_clISt17integral_constantIbLb0EESX_EEDaSS_ST_EUlSS_E0_NS1_11comp_targetILNS1_3genE4ELNS1_11target_archE910ELNS1_3gpuE8ELNS1_3repE0EEENS1_30default_config_static_selectorELNS0_4arch9wavefront6targetE1EEEvT1_
    .private_segment_fixed_size: 0
    .sgpr_count:     10
    .sgpr_spill_count: 0
    .symbol:         _ZN7rocprim17ROCPRIM_400000_NS6detail17trampoline_kernelINS0_14default_configENS1_20scan_config_selectorIiEEZZNS1_9scan_implILNS1_25lookback_scan_determinismE0ELb0ELb0ES3_N6thrust23THRUST_200600_302600_NS6detail15normal_iteratorINS9_10device_ptrIiEEEENS9_16discard_iteratorINS9_11use_defaultEEEi11max_functorIiEiEEDaPvRmT3_T4_T5_mT6_P12ihipStream_tbENKUlT_T0_E_clISt17integral_constantIbLb0EESX_EEDaSS_ST_EUlSS_E0_NS1_11comp_targetILNS1_3genE4ELNS1_11target_archE910ELNS1_3gpuE8ELNS1_3repE0EEENS1_30default_config_static_selectorELNS0_4arch9wavefront6targetE1EEEvT1_.kd
    .uniform_work_group_size: 1
    .uses_dynamic_stack: false
    .vgpr_count:     27
    .vgpr_spill_count: 0
    .wavefront_size: 64
  - .agpr_count:     0
    .args:
      - .offset:         0
        .size:           40
        .value_kind:     by_value
    .group_segment_fixed_size: 0
    .kernarg_segment_align: 8
    .kernarg_segment_size: 40
    .language:       OpenCL C
    .language_version:
      - 2
      - 0
    .max_flat_workgroup_size: 256
    .name:           _ZN7rocprim17ROCPRIM_400000_NS6detail17trampoline_kernelINS0_14default_configENS1_20scan_config_selectorIiEEZZNS1_9scan_implILNS1_25lookback_scan_determinismE0ELb0ELb0ES3_N6thrust23THRUST_200600_302600_NS6detail15normal_iteratorINS9_10device_ptrIiEEEENS9_16discard_iteratorINS9_11use_defaultEEEi11max_functorIiEiEEDaPvRmT3_T4_T5_mT6_P12ihipStream_tbENKUlT_T0_E_clISt17integral_constantIbLb0EESX_EEDaSS_ST_EUlSS_E0_NS1_11comp_targetILNS1_3genE3ELNS1_11target_archE908ELNS1_3gpuE7ELNS1_3repE0EEENS1_30default_config_static_selectorELNS0_4arch9wavefront6targetE1EEEvT1_
    .private_segment_fixed_size: 0
    .sgpr_count:     4
    .sgpr_spill_count: 0
    .symbol:         _ZN7rocprim17ROCPRIM_400000_NS6detail17trampoline_kernelINS0_14default_configENS1_20scan_config_selectorIiEEZZNS1_9scan_implILNS1_25lookback_scan_determinismE0ELb0ELb0ES3_N6thrust23THRUST_200600_302600_NS6detail15normal_iteratorINS9_10device_ptrIiEEEENS9_16discard_iteratorINS9_11use_defaultEEEi11max_functorIiEiEEDaPvRmT3_T4_T5_mT6_P12ihipStream_tbENKUlT_T0_E_clISt17integral_constantIbLb0EESX_EEDaSS_ST_EUlSS_E0_NS1_11comp_targetILNS1_3genE3ELNS1_11target_archE908ELNS1_3gpuE7ELNS1_3repE0EEENS1_30default_config_static_selectorELNS0_4arch9wavefront6targetE1EEEvT1_.kd
    .uniform_work_group_size: 1
    .uses_dynamic_stack: false
    .vgpr_count:     0
    .vgpr_spill_count: 0
    .wavefront_size: 64
  - .agpr_count:     0
    .args:
      - .offset:         0
        .size:           40
        .value_kind:     by_value
    .group_segment_fixed_size: 0
    .kernarg_segment_align: 8
    .kernarg_segment_size: 40
    .language:       OpenCL C
    .language_version:
      - 2
      - 0
    .max_flat_workgroup_size: 256
    .name:           _ZN7rocprim17ROCPRIM_400000_NS6detail17trampoline_kernelINS0_14default_configENS1_20scan_config_selectorIiEEZZNS1_9scan_implILNS1_25lookback_scan_determinismE0ELb0ELb0ES3_N6thrust23THRUST_200600_302600_NS6detail15normal_iteratorINS9_10device_ptrIiEEEENS9_16discard_iteratorINS9_11use_defaultEEEi11max_functorIiEiEEDaPvRmT3_T4_T5_mT6_P12ihipStream_tbENKUlT_T0_E_clISt17integral_constantIbLb0EESX_EEDaSS_ST_EUlSS_E0_NS1_11comp_targetILNS1_3genE2ELNS1_11target_archE906ELNS1_3gpuE6ELNS1_3repE0EEENS1_30default_config_static_selectorELNS0_4arch9wavefront6targetE1EEEvT1_
    .private_segment_fixed_size: 0
    .sgpr_count:     4
    .sgpr_spill_count: 0
    .symbol:         _ZN7rocprim17ROCPRIM_400000_NS6detail17trampoline_kernelINS0_14default_configENS1_20scan_config_selectorIiEEZZNS1_9scan_implILNS1_25lookback_scan_determinismE0ELb0ELb0ES3_N6thrust23THRUST_200600_302600_NS6detail15normal_iteratorINS9_10device_ptrIiEEEENS9_16discard_iteratorINS9_11use_defaultEEEi11max_functorIiEiEEDaPvRmT3_T4_T5_mT6_P12ihipStream_tbENKUlT_T0_E_clISt17integral_constantIbLb0EESX_EEDaSS_ST_EUlSS_E0_NS1_11comp_targetILNS1_3genE2ELNS1_11target_archE906ELNS1_3gpuE6ELNS1_3repE0EEENS1_30default_config_static_selectorELNS0_4arch9wavefront6targetE1EEEvT1_.kd
    .uniform_work_group_size: 1
    .uses_dynamic_stack: false
    .vgpr_count:     0
    .vgpr_spill_count: 0
    .wavefront_size: 64
  - .agpr_count:     0
    .args:
      - .offset:         0
        .size:           40
        .value_kind:     by_value
    .group_segment_fixed_size: 0
    .kernarg_segment_align: 8
    .kernarg_segment_size: 40
    .language:       OpenCL C
    .language_version:
      - 2
      - 0
    .max_flat_workgroup_size: 256
    .name:           _ZN7rocprim17ROCPRIM_400000_NS6detail17trampoline_kernelINS0_14default_configENS1_20scan_config_selectorIiEEZZNS1_9scan_implILNS1_25lookback_scan_determinismE0ELb0ELb0ES3_N6thrust23THRUST_200600_302600_NS6detail15normal_iteratorINS9_10device_ptrIiEEEENS9_16discard_iteratorINS9_11use_defaultEEEi11max_functorIiEiEEDaPvRmT3_T4_T5_mT6_P12ihipStream_tbENKUlT_T0_E_clISt17integral_constantIbLb0EESX_EEDaSS_ST_EUlSS_E0_NS1_11comp_targetILNS1_3genE10ELNS1_11target_archE1201ELNS1_3gpuE5ELNS1_3repE0EEENS1_30default_config_static_selectorELNS0_4arch9wavefront6targetE1EEEvT1_
    .private_segment_fixed_size: 0
    .sgpr_count:     4
    .sgpr_spill_count: 0
    .symbol:         _ZN7rocprim17ROCPRIM_400000_NS6detail17trampoline_kernelINS0_14default_configENS1_20scan_config_selectorIiEEZZNS1_9scan_implILNS1_25lookback_scan_determinismE0ELb0ELb0ES3_N6thrust23THRUST_200600_302600_NS6detail15normal_iteratorINS9_10device_ptrIiEEEENS9_16discard_iteratorINS9_11use_defaultEEEi11max_functorIiEiEEDaPvRmT3_T4_T5_mT6_P12ihipStream_tbENKUlT_T0_E_clISt17integral_constantIbLb0EESX_EEDaSS_ST_EUlSS_E0_NS1_11comp_targetILNS1_3genE10ELNS1_11target_archE1201ELNS1_3gpuE5ELNS1_3repE0EEENS1_30default_config_static_selectorELNS0_4arch9wavefront6targetE1EEEvT1_.kd
    .uniform_work_group_size: 1
    .uses_dynamic_stack: false
    .vgpr_count:     0
    .vgpr_spill_count: 0
    .wavefront_size: 64
  - .agpr_count:     0
    .args:
      - .offset:         0
        .size:           40
        .value_kind:     by_value
    .group_segment_fixed_size: 0
    .kernarg_segment_align: 8
    .kernarg_segment_size: 40
    .language:       OpenCL C
    .language_version:
      - 2
      - 0
    .max_flat_workgroup_size: 256
    .name:           _ZN7rocprim17ROCPRIM_400000_NS6detail17trampoline_kernelINS0_14default_configENS1_20scan_config_selectorIiEEZZNS1_9scan_implILNS1_25lookback_scan_determinismE0ELb0ELb0ES3_N6thrust23THRUST_200600_302600_NS6detail15normal_iteratorINS9_10device_ptrIiEEEENS9_16discard_iteratorINS9_11use_defaultEEEi11max_functorIiEiEEDaPvRmT3_T4_T5_mT6_P12ihipStream_tbENKUlT_T0_E_clISt17integral_constantIbLb0EESX_EEDaSS_ST_EUlSS_E0_NS1_11comp_targetILNS1_3genE10ELNS1_11target_archE1200ELNS1_3gpuE4ELNS1_3repE0EEENS1_30default_config_static_selectorELNS0_4arch9wavefront6targetE1EEEvT1_
    .private_segment_fixed_size: 0
    .sgpr_count:     4
    .sgpr_spill_count: 0
    .symbol:         _ZN7rocprim17ROCPRIM_400000_NS6detail17trampoline_kernelINS0_14default_configENS1_20scan_config_selectorIiEEZZNS1_9scan_implILNS1_25lookback_scan_determinismE0ELb0ELb0ES3_N6thrust23THRUST_200600_302600_NS6detail15normal_iteratorINS9_10device_ptrIiEEEENS9_16discard_iteratorINS9_11use_defaultEEEi11max_functorIiEiEEDaPvRmT3_T4_T5_mT6_P12ihipStream_tbENKUlT_T0_E_clISt17integral_constantIbLb0EESX_EEDaSS_ST_EUlSS_E0_NS1_11comp_targetILNS1_3genE10ELNS1_11target_archE1200ELNS1_3gpuE4ELNS1_3repE0EEENS1_30default_config_static_selectorELNS0_4arch9wavefront6targetE1EEEvT1_.kd
    .uniform_work_group_size: 1
    .uses_dynamic_stack: false
    .vgpr_count:     0
    .vgpr_spill_count: 0
    .wavefront_size: 64
  - .agpr_count:     0
    .args:
      - .offset:         0
        .size:           40
        .value_kind:     by_value
    .group_segment_fixed_size: 0
    .kernarg_segment_align: 8
    .kernarg_segment_size: 40
    .language:       OpenCL C
    .language_version:
      - 2
      - 0
    .max_flat_workgroup_size: 256
    .name:           _ZN7rocprim17ROCPRIM_400000_NS6detail17trampoline_kernelINS0_14default_configENS1_20scan_config_selectorIiEEZZNS1_9scan_implILNS1_25lookback_scan_determinismE0ELb0ELb0ES3_N6thrust23THRUST_200600_302600_NS6detail15normal_iteratorINS9_10device_ptrIiEEEENS9_16discard_iteratorINS9_11use_defaultEEEi11max_functorIiEiEEDaPvRmT3_T4_T5_mT6_P12ihipStream_tbENKUlT_T0_E_clISt17integral_constantIbLb0EESX_EEDaSS_ST_EUlSS_E0_NS1_11comp_targetILNS1_3genE9ELNS1_11target_archE1100ELNS1_3gpuE3ELNS1_3repE0EEENS1_30default_config_static_selectorELNS0_4arch9wavefront6targetE1EEEvT1_
    .private_segment_fixed_size: 0
    .sgpr_count:     4
    .sgpr_spill_count: 0
    .symbol:         _ZN7rocprim17ROCPRIM_400000_NS6detail17trampoline_kernelINS0_14default_configENS1_20scan_config_selectorIiEEZZNS1_9scan_implILNS1_25lookback_scan_determinismE0ELb0ELb0ES3_N6thrust23THRUST_200600_302600_NS6detail15normal_iteratorINS9_10device_ptrIiEEEENS9_16discard_iteratorINS9_11use_defaultEEEi11max_functorIiEiEEDaPvRmT3_T4_T5_mT6_P12ihipStream_tbENKUlT_T0_E_clISt17integral_constantIbLb0EESX_EEDaSS_ST_EUlSS_E0_NS1_11comp_targetILNS1_3genE9ELNS1_11target_archE1100ELNS1_3gpuE3ELNS1_3repE0EEENS1_30default_config_static_selectorELNS0_4arch9wavefront6targetE1EEEvT1_.kd
    .uniform_work_group_size: 1
    .uses_dynamic_stack: false
    .vgpr_count:     0
    .vgpr_spill_count: 0
    .wavefront_size: 64
  - .agpr_count:     0
    .args:
      - .offset:         0
        .size:           40
        .value_kind:     by_value
    .group_segment_fixed_size: 0
    .kernarg_segment_align: 8
    .kernarg_segment_size: 40
    .language:       OpenCL C
    .language_version:
      - 2
      - 0
    .max_flat_workgroup_size: 64
    .name:           _ZN7rocprim17ROCPRIM_400000_NS6detail17trampoline_kernelINS0_14default_configENS1_20scan_config_selectorIiEEZZNS1_9scan_implILNS1_25lookback_scan_determinismE0ELb0ELb0ES3_N6thrust23THRUST_200600_302600_NS6detail15normal_iteratorINS9_10device_ptrIiEEEENS9_16discard_iteratorINS9_11use_defaultEEEi11max_functorIiEiEEDaPvRmT3_T4_T5_mT6_P12ihipStream_tbENKUlT_T0_E_clISt17integral_constantIbLb0EESX_EEDaSS_ST_EUlSS_E0_NS1_11comp_targetILNS1_3genE8ELNS1_11target_archE1030ELNS1_3gpuE2ELNS1_3repE0EEENS1_30default_config_static_selectorELNS0_4arch9wavefront6targetE1EEEvT1_
    .private_segment_fixed_size: 0
    .sgpr_count:     4
    .sgpr_spill_count: 0
    .symbol:         _ZN7rocprim17ROCPRIM_400000_NS6detail17trampoline_kernelINS0_14default_configENS1_20scan_config_selectorIiEEZZNS1_9scan_implILNS1_25lookback_scan_determinismE0ELb0ELb0ES3_N6thrust23THRUST_200600_302600_NS6detail15normal_iteratorINS9_10device_ptrIiEEEENS9_16discard_iteratorINS9_11use_defaultEEEi11max_functorIiEiEEDaPvRmT3_T4_T5_mT6_P12ihipStream_tbENKUlT_T0_E_clISt17integral_constantIbLb0EESX_EEDaSS_ST_EUlSS_E0_NS1_11comp_targetILNS1_3genE8ELNS1_11target_archE1030ELNS1_3gpuE2ELNS1_3repE0EEENS1_30default_config_static_selectorELNS0_4arch9wavefront6targetE1EEEvT1_.kd
    .uniform_work_group_size: 1
    .uses_dynamic_stack: false
    .vgpr_count:     0
    .vgpr_spill_count: 0
    .wavefront_size: 64
  - .agpr_count:     0
    .args:
      - .offset:         0
        .size:           104
        .value_kind:     by_value
    .group_segment_fixed_size: 0
    .kernarg_segment_align: 8
    .kernarg_segment_size: 104
    .language:       OpenCL C
    .language_version:
      - 2
      - 0
    .max_flat_workgroup_size: 256
    .name:           _ZN7rocprim17ROCPRIM_400000_NS6detail17trampoline_kernelINS0_14default_configENS1_20scan_config_selectorIiEEZZNS1_9scan_implILNS1_25lookback_scan_determinismE0ELb0ELb0ES3_N6thrust23THRUST_200600_302600_NS6detail15normal_iteratorINS9_10device_ptrIiEEEENS9_16discard_iteratorINS9_11use_defaultEEEi11max_functorIiEiEEDaPvRmT3_T4_T5_mT6_P12ihipStream_tbENKUlT_T0_E_clISt17integral_constantIbLb1EESX_EEDaSS_ST_EUlSS_E_NS1_11comp_targetILNS1_3genE0ELNS1_11target_archE4294967295ELNS1_3gpuE0ELNS1_3repE0EEENS1_30default_config_static_selectorELNS0_4arch9wavefront6targetE1EEEvT1_
    .private_segment_fixed_size: 0
    .sgpr_count:     4
    .sgpr_spill_count: 0
    .symbol:         _ZN7rocprim17ROCPRIM_400000_NS6detail17trampoline_kernelINS0_14default_configENS1_20scan_config_selectorIiEEZZNS1_9scan_implILNS1_25lookback_scan_determinismE0ELb0ELb0ES3_N6thrust23THRUST_200600_302600_NS6detail15normal_iteratorINS9_10device_ptrIiEEEENS9_16discard_iteratorINS9_11use_defaultEEEi11max_functorIiEiEEDaPvRmT3_T4_T5_mT6_P12ihipStream_tbENKUlT_T0_E_clISt17integral_constantIbLb1EESX_EEDaSS_ST_EUlSS_E_NS1_11comp_targetILNS1_3genE0ELNS1_11target_archE4294967295ELNS1_3gpuE0ELNS1_3repE0EEENS1_30default_config_static_selectorELNS0_4arch9wavefront6targetE1EEEvT1_.kd
    .uniform_work_group_size: 1
    .uses_dynamic_stack: false
    .vgpr_count:     0
    .vgpr_spill_count: 0
    .wavefront_size: 64
  - .agpr_count:     0
    .args:
      - .offset:         0
        .size:           104
        .value_kind:     by_value
    .group_segment_fixed_size: 0
    .kernarg_segment_align: 8
    .kernarg_segment_size: 104
    .language:       OpenCL C
    .language_version:
      - 2
      - 0
    .max_flat_workgroup_size: 256
    .name:           _ZN7rocprim17ROCPRIM_400000_NS6detail17trampoline_kernelINS0_14default_configENS1_20scan_config_selectorIiEEZZNS1_9scan_implILNS1_25lookback_scan_determinismE0ELb0ELb0ES3_N6thrust23THRUST_200600_302600_NS6detail15normal_iteratorINS9_10device_ptrIiEEEENS9_16discard_iteratorINS9_11use_defaultEEEi11max_functorIiEiEEDaPvRmT3_T4_T5_mT6_P12ihipStream_tbENKUlT_T0_E_clISt17integral_constantIbLb1EESX_EEDaSS_ST_EUlSS_E_NS1_11comp_targetILNS1_3genE5ELNS1_11target_archE942ELNS1_3gpuE9ELNS1_3repE0EEENS1_30default_config_static_selectorELNS0_4arch9wavefront6targetE1EEEvT1_
    .private_segment_fixed_size: 0
    .sgpr_count:     4
    .sgpr_spill_count: 0
    .symbol:         _ZN7rocprim17ROCPRIM_400000_NS6detail17trampoline_kernelINS0_14default_configENS1_20scan_config_selectorIiEEZZNS1_9scan_implILNS1_25lookback_scan_determinismE0ELb0ELb0ES3_N6thrust23THRUST_200600_302600_NS6detail15normal_iteratorINS9_10device_ptrIiEEEENS9_16discard_iteratorINS9_11use_defaultEEEi11max_functorIiEiEEDaPvRmT3_T4_T5_mT6_P12ihipStream_tbENKUlT_T0_E_clISt17integral_constantIbLb1EESX_EEDaSS_ST_EUlSS_E_NS1_11comp_targetILNS1_3genE5ELNS1_11target_archE942ELNS1_3gpuE9ELNS1_3repE0EEENS1_30default_config_static_selectorELNS0_4arch9wavefront6targetE1EEEvT1_.kd
    .uniform_work_group_size: 1
    .uses_dynamic_stack: false
    .vgpr_count:     0
    .vgpr_spill_count: 0
    .wavefront_size: 64
  - .agpr_count:     0
    .args:
      - .offset:         0
        .size:           104
        .value_kind:     by_value
    .group_segment_fixed_size: 5120
    .kernarg_segment_align: 8
    .kernarg_segment_size: 104
    .language:       OpenCL C
    .language_version:
      - 2
      - 0
    .max_flat_workgroup_size: 128
    .name:           _ZN7rocprim17ROCPRIM_400000_NS6detail17trampoline_kernelINS0_14default_configENS1_20scan_config_selectorIiEEZZNS1_9scan_implILNS1_25lookback_scan_determinismE0ELb0ELb0ES3_N6thrust23THRUST_200600_302600_NS6detail15normal_iteratorINS9_10device_ptrIiEEEENS9_16discard_iteratorINS9_11use_defaultEEEi11max_functorIiEiEEDaPvRmT3_T4_T5_mT6_P12ihipStream_tbENKUlT_T0_E_clISt17integral_constantIbLb1EESX_EEDaSS_ST_EUlSS_E_NS1_11comp_targetILNS1_3genE4ELNS1_11target_archE910ELNS1_3gpuE8ELNS1_3repE0EEENS1_30default_config_static_selectorELNS0_4arch9wavefront6targetE1EEEvT1_
    .private_segment_fixed_size: 0
    .sgpr_count:     34
    .sgpr_spill_count: 0
    .symbol:         _ZN7rocprim17ROCPRIM_400000_NS6detail17trampoline_kernelINS0_14default_configENS1_20scan_config_selectorIiEEZZNS1_9scan_implILNS1_25lookback_scan_determinismE0ELb0ELb0ES3_N6thrust23THRUST_200600_302600_NS6detail15normal_iteratorINS9_10device_ptrIiEEEENS9_16discard_iteratorINS9_11use_defaultEEEi11max_functorIiEiEEDaPvRmT3_T4_T5_mT6_P12ihipStream_tbENKUlT_T0_E_clISt17integral_constantIbLb1EESX_EEDaSS_ST_EUlSS_E_NS1_11comp_targetILNS1_3genE4ELNS1_11target_archE910ELNS1_3gpuE8ELNS1_3repE0EEENS1_30default_config_static_selectorELNS0_4arch9wavefront6targetE1EEEvT1_.kd
    .uniform_work_group_size: 1
    .uses_dynamic_stack: false
    .vgpr_count:     39
    .vgpr_spill_count: 0
    .wavefront_size: 64
  - .agpr_count:     0
    .args:
      - .offset:         0
        .size:           104
        .value_kind:     by_value
    .group_segment_fixed_size: 0
    .kernarg_segment_align: 8
    .kernarg_segment_size: 104
    .language:       OpenCL C
    .language_version:
      - 2
      - 0
    .max_flat_workgroup_size: 256
    .name:           _ZN7rocprim17ROCPRIM_400000_NS6detail17trampoline_kernelINS0_14default_configENS1_20scan_config_selectorIiEEZZNS1_9scan_implILNS1_25lookback_scan_determinismE0ELb0ELb0ES3_N6thrust23THRUST_200600_302600_NS6detail15normal_iteratorINS9_10device_ptrIiEEEENS9_16discard_iteratorINS9_11use_defaultEEEi11max_functorIiEiEEDaPvRmT3_T4_T5_mT6_P12ihipStream_tbENKUlT_T0_E_clISt17integral_constantIbLb1EESX_EEDaSS_ST_EUlSS_E_NS1_11comp_targetILNS1_3genE3ELNS1_11target_archE908ELNS1_3gpuE7ELNS1_3repE0EEENS1_30default_config_static_selectorELNS0_4arch9wavefront6targetE1EEEvT1_
    .private_segment_fixed_size: 0
    .sgpr_count:     4
    .sgpr_spill_count: 0
    .symbol:         _ZN7rocprim17ROCPRIM_400000_NS6detail17trampoline_kernelINS0_14default_configENS1_20scan_config_selectorIiEEZZNS1_9scan_implILNS1_25lookback_scan_determinismE0ELb0ELb0ES3_N6thrust23THRUST_200600_302600_NS6detail15normal_iteratorINS9_10device_ptrIiEEEENS9_16discard_iteratorINS9_11use_defaultEEEi11max_functorIiEiEEDaPvRmT3_T4_T5_mT6_P12ihipStream_tbENKUlT_T0_E_clISt17integral_constantIbLb1EESX_EEDaSS_ST_EUlSS_E_NS1_11comp_targetILNS1_3genE3ELNS1_11target_archE908ELNS1_3gpuE7ELNS1_3repE0EEENS1_30default_config_static_selectorELNS0_4arch9wavefront6targetE1EEEvT1_.kd
    .uniform_work_group_size: 1
    .uses_dynamic_stack: false
    .vgpr_count:     0
    .vgpr_spill_count: 0
    .wavefront_size: 64
  - .agpr_count:     0
    .args:
      - .offset:         0
        .size:           104
        .value_kind:     by_value
    .group_segment_fixed_size: 0
    .kernarg_segment_align: 8
    .kernarg_segment_size: 104
    .language:       OpenCL C
    .language_version:
      - 2
      - 0
    .max_flat_workgroup_size: 256
    .name:           _ZN7rocprim17ROCPRIM_400000_NS6detail17trampoline_kernelINS0_14default_configENS1_20scan_config_selectorIiEEZZNS1_9scan_implILNS1_25lookback_scan_determinismE0ELb0ELb0ES3_N6thrust23THRUST_200600_302600_NS6detail15normal_iteratorINS9_10device_ptrIiEEEENS9_16discard_iteratorINS9_11use_defaultEEEi11max_functorIiEiEEDaPvRmT3_T4_T5_mT6_P12ihipStream_tbENKUlT_T0_E_clISt17integral_constantIbLb1EESX_EEDaSS_ST_EUlSS_E_NS1_11comp_targetILNS1_3genE2ELNS1_11target_archE906ELNS1_3gpuE6ELNS1_3repE0EEENS1_30default_config_static_selectorELNS0_4arch9wavefront6targetE1EEEvT1_
    .private_segment_fixed_size: 0
    .sgpr_count:     4
    .sgpr_spill_count: 0
    .symbol:         _ZN7rocprim17ROCPRIM_400000_NS6detail17trampoline_kernelINS0_14default_configENS1_20scan_config_selectorIiEEZZNS1_9scan_implILNS1_25lookback_scan_determinismE0ELb0ELb0ES3_N6thrust23THRUST_200600_302600_NS6detail15normal_iteratorINS9_10device_ptrIiEEEENS9_16discard_iteratorINS9_11use_defaultEEEi11max_functorIiEiEEDaPvRmT3_T4_T5_mT6_P12ihipStream_tbENKUlT_T0_E_clISt17integral_constantIbLb1EESX_EEDaSS_ST_EUlSS_E_NS1_11comp_targetILNS1_3genE2ELNS1_11target_archE906ELNS1_3gpuE6ELNS1_3repE0EEENS1_30default_config_static_selectorELNS0_4arch9wavefront6targetE1EEEvT1_.kd
    .uniform_work_group_size: 1
    .uses_dynamic_stack: false
    .vgpr_count:     0
    .vgpr_spill_count: 0
    .wavefront_size: 64
  - .agpr_count:     0
    .args:
      - .offset:         0
        .size:           104
        .value_kind:     by_value
    .group_segment_fixed_size: 0
    .kernarg_segment_align: 8
    .kernarg_segment_size: 104
    .language:       OpenCL C
    .language_version:
      - 2
      - 0
    .max_flat_workgroup_size: 256
    .name:           _ZN7rocprim17ROCPRIM_400000_NS6detail17trampoline_kernelINS0_14default_configENS1_20scan_config_selectorIiEEZZNS1_9scan_implILNS1_25lookback_scan_determinismE0ELb0ELb0ES3_N6thrust23THRUST_200600_302600_NS6detail15normal_iteratorINS9_10device_ptrIiEEEENS9_16discard_iteratorINS9_11use_defaultEEEi11max_functorIiEiEEDaPvRmT3_T4_T5_mT6_P12ihipStream_tbENKUlT_T0_E_clISt17integral_constantIbLb1EESX_EEDaSS_ST_EUlSS_E_NS1_11comp_targetILNS1_3genE10ELNS1_11target_archE1201ELNS1_3gpuE5ELNS1_3repE0EEENS1_30default_config_static_selectorELNS0_4arch9wavefront6targetE1EEEvT1_
    .private_segment_fixed_size: 0
    .sgpr_count:     4
    .sgpr_spill_count: 0
    .symbol:         _ZN7rocprim17ROCPRIM_400000_NS6detail17trampoline_kernelINS0_14default_configENS1_20scan_config_selectorIiEEZZNS1_9scan_implILNS1_25lookback_scan_determinismE0ELb0ELb0ES3_N6thrust23THRUST_200600_302600_NS6detail15normal_iteratorINS9_10device_ptrIiEEEENS9_16discard_iteratorINS9_11use_defaultEEEi11max_functorIiEiEEDaPvRmT3_T4_T5_mT6_P12ihipStream_tbENKUlT_T0_E_clISt17integral_constantIbLb1EESX_EEDaSS_ST_EUlSS_E_NS1_11comp_targetILNS1_3genE10ELNS1_11target_archE1201ELNS1_3gpuE5ELNS1_3repE0EEENS1_30default_config_static_selectorELNS0_4arch9wavefront6targetE1EEEvT1_.kd
    .uniform_work_group_size: 1
    .uses_dynamic_stack: false
    .vgpr_count:     0
    .vgpr_spill_count: 0
    .wavefront_size: 64
  - .agpr_count:     0
    .args:
      - .offset:         0
        .size:           104
        .value_kind:     by_value
    .group_segment_fixed_size: 0
    .kernarg_segment_align: 8
    .kernarg_segment_size: 104
    .language:       OpenCL C
    .language_version:
      - 2
      - 0
    .max_flat_workgroup_size: 256
    .name:           _ZN7rocprim17ROCPRIM_400000_NS6detail17trampoline_kernelINS0_14default_configENS1_20scan_config_selectorIiEEZZNS1_9scan_implILNS1_25lookback_scan_determinismE0ELb0ELb0ES3_N6thrust23THRUST_200600_302600_NS6detail15normal_iteratorINS9_10device_ptrIiEEEENS9_16discard_iteratorINS9_11use_defaultEEEi11max_functorIiEiEEDaPvRmT3_T4_T5_mT6_P12ihipStream_tbENKUlT_T0_E_clISt17integral_constantIbLb1EESX_EEDaSS_ST_EUlSS_E_NS1_11comp_targetILNS1_3genE10ELNS1_11target_archE1200ELNS1_3gpuE4ELNS1_3repE0EEENS1_30default_config_static_selectorELNS0_4arch9wavefront6targetE1EEEvT1_
    .private_segment_fixed_size: 0
    .sgpr_count:     4
    .sgpr_spill_count: 0
    .symbol:         _ZN7rocprim17ROCPRIM_400000_NS6detail17trampoline_kernelINS0_14default_configENS1_20scan_config_selectorIiEEZZNS1_9scan_implILNS1_25lookback_scan_determinismE0ELb0ELb0ES3_N6thrust23THRUST_200600_302600_NS6detail15normal_iteratorINS9_10device_ptrIiEEEENS9_16discard_iteratorINS9_11use_defaultEEEi11max_functorIiEiEEDaPvRmT3_T4_T5_mT6_P12ihipStream_tbENKUlT_T0_E_clISt17integral_constantIbLb1EESX_EEDaSS_ST_EUlSS_E_NS1_11comp_targetILNS1_3genE10ELNS1_11target_archE1200ELNS1_3gpuE4ELNS1_3repE0EEENS1_30default_config_static_selectorELNS0_4arch9wavefront6targetE1EEEvT1_.kd
    .uniform_work_group_size: 1
    .uses_dynamic_stack: false
    .vgpr_count:     0
    .vgpr_spill_count: 0
    .wavefront_size: 64
  - .agpr_count:     0
    .args:
      - .offset:         0
        .size:           104
        .value_kind:     by_value
    .group_segment_fixed_size: 0
    .kernarg_segment_align: 8
    .kernarg_segment_size: 104
    .language:       OpenCL C
    .language_version:
      - 2
      - 0
    .max_flat_workgroup_size: 256
    .name:           _ZN7rocprim17ROCPRIM_400000_NS6detail17trampoline_kernelINS0_14default_configENS1_20scan_config_selectorIiEEZZNS1_9scan_implILNS1_25lookback_scan_determinismE0ELb0ELb0ES3_N6thrust23THRUST_200600_302600_NS6detail15normal_iteratorINS9_10device_ptrIiEEEENS9_16discard_iteratorINS9_11use_defaultEEEi11max_functorIiEiEEDaPvRmT3_T4_T5_mT6_P12ihipStream_tbENKUlT_T0_E_clISt17integral_constantIbLb1EESX_EEDaSS_ST_EUlSS_E_NS1_11comp_targetILNS1_3genE9ELNS1_11target_archE1100ELNS1_3gpuE3ELNS1_3repE0EEENS1_30default_config_static_selectorELNS0_4arch9wavefront6targetE1EEEvT1_
    .private_segment_fixed_size: 0
    .sgpr_count:     4
    .sgpr_spill_count: 0
    .symbol:         _ZN7rocprim17ROCPRIM_400000_NS6detail17trampoline_kernelINS0_14default_configENS1_20scan_config_selectorIiEEZZNS1_9scan_implILNS1_25lookback_scan_determinismE0ELb0ELb0ES3_N6thrust23THRUST_200600_302600_NS6detail15normal_iteratorINS9_10device_ptrIiEEEENS9_16discard_iteratorINS9_11use_defaultEEEi11max_functorIiEiEEDaPvRmT3_T4_T5_mT6_P12ihipStream_tbENKUlT_T0_E_clISt17integral_constantIbLb1EESX_EEDaSS_ST_EUlSS_E_NS1_11comp_targetILNS1_3genE9ELNS1_11target_archE1100ELNS1_3gpuE3ELNS1_3repE0EEENS1_30default_config_static_selectorELNS0_4arch9wavefront6targetE1EEEvT1_.kd
    .uniform_work_group_size: 1
    .uses_dynamic_stack: false
    .vgpr_count:     0
    .vgpr_spill_count: 0
    .wavefront_size: 64
  - .agpr_count:     0
    .args:
      - .offset:         0
        .size:           104
        .value_kind:     by_value
    .group_segment_fixed_size: 0
    .kernarg_segment_align: 8
    .kernarg_segment_size: 104
    .language:       OpenCL C
    .language_version:
      - 2
      - 0
    .max_flat_workgroup_size: 64
    .name:           _ZN7rocprim17ROCPRIM_400000_NS6detail17trampoline_kernelINS0_14default_configENS1_20scan_config_selectorIiEEZZNS1_9scan_implILNS1_25lookback_scan_determinismE0ELb0ELb0ES3_N6thrust23THRUST_200600_302600_NS6detail15normal_iteratorINS9_10device_ptrIiEEEENS9_16discard_iteratorINS9_11use_defaultEEEi11max_functorIiEiEEDaPvRmT3_T4_T5_mT6_P12ihipStream_tbENKUlT_T0_E_clISt17integral_constantIbLb1EESX_EEDaSS_ST_EUlSS_E_NS1_11comp_targetILNS1_3genE8ELNS1_11target_archE1030ELNS1_3gpuE2ELNS1_3repE0EEENS1_30default_config_static_selectorELNS0_4arch9wavefront6targetE1EEEvT1_
    .private_segment_fixed_size: 0
    .sgpr_count:     4
    .sgpr_spill_count: 0
    .symbol:         _ZN7rocprim17ROCPRIM_400000_NS6detail17trampoline_kernelINS0_14default_configENS1_20scan_config_selectorIiEEZZNS1_9scan_implILNS1_25lookback_scan_determinismE0ELb0ELb0ES3_N6thrust23THRUST_200600_302600_NS6detail15normal_iteratorINS9_10device_ptrIiEEEENS9_16discard_iteratorINS9_11use_defaultEEEi11max_functorIiEiEEDaPvRmT3_T4_T5_mT6_P12ihipStream_tbENKUlT_T0_E_clISt17integral_constantIbLb1EESX_EEDaSS_ST_EUlSS_E_NS1_11comp_targetILNS1_3genE8ELNS1_11target_archE1030ELNS1_3gpuE2ELNS1_3repE0EEENS1_30default_config_static_selectorELNS0_4arch9wavefront6targetE1EEEvT1_.kd
    .uniform_work_group_size: 1
    .uses_dynamic_stack: false
    .vgpr_count:     0
    .vgpr_spill_count: 0
    .wavefront_size: 64
  - .agpr_count:     0
    .args:
      - .offset:         0
        .size:           40
        .value_kind:     by_value
    .group_segment_fixed_size: 0
    .kernarg_segment_align: 8
    .kernarg_segment_size: 40
    .language:       OpenCL C
    .language_version:
      - 2
      - 0
    .max_flat_workgroup_size: 256
    .name:           _ZN7rocprim17ROCPRIM_400000_NS6detail17trampoline_kernelINS0_14default_configENS1_20scan_config_selectorIiEEZZNS1_9scan_implILNS1_25lookback_scan_determinismE0ELb0ELb0ES3_N6thrust23THRUST_200600_302600_NS6detail15normal_iteratorINS9_10device_ptrIiEEEENS9_16discard_iteratorINS9_11use_defaultEEEi11max_functorIiEiEEDaPvRmT3_T4_T5_mT6_P12ihipStream_tbENKUlT_T0_E_clISt17integral_constantIbLb1EESX_EEDaSS_ST_EUlSS_E0_NS1_11comp_targetILNS1_3genE0ELNS1_11target_archE4294967295ELNS1_3gpuE0ELNS1_3repE0EEENS1_30default_config_static_selectorELNS0_4arch9wavefront6targetE1EEEvT1_
    .private_segment_fixed_size: 0
    .sgpr_count:     4
    .sgpr_spill_count: 0
    .symbol:         _ZN7rocprim17ROCPRIM_400000_NS6detail17trampoline_kernelINS0_14default_configENS1_20scan_config_selectorIiEEZZNS1_9scan_implILNS1_25lookback_scan_determinismE0ELb0ELb0ES3_N6thrust23THRUST_200600_302600_NS6detail15normal_iteratorINS9_10device_ptrIiEEEENS9_16discard_iteratorINS9_11use_defaultEEEi11max_functorIiEiEEDaPvRmT3_T4_T5_mT6_P12ihipStream_tbENKUlT_T0_E_clISt17integral_constantIbLb1EESX_EEDaSS_ST_EUlSS_E0_NS1_11comp_targetILNS1_3genE0ELNS1_11target_archE4294967295ELNS1_3gpuE0ELNS1_3repE0EEENS1_30default_config_static_selectorELNS0_4arch9wavefront6targetE1EEEvT1_.kd
    .uniform_work_group_size: 1
    .uses_dynamic_stack: false
    .vgpr_count:     0
    .vgpr_spill_count: 0
    .wavefront_size: 64
  - .agpr_count:     0
    .args:
      - .offset:         0
        .size:           40
        .value_kind:     by_value
    .group_segment_fixed_size: 0
    .kernarg_segment_align: 8
    .kernarg_segment_size: 40
    .language:       OpenCL C
    .language_version:
      - 2
      - 0
    .max_flat_workgroup_size: 256
    .name:           _ZN7rocprim17ROCPRIM_400000_NS6detail17trampoline_kernelINS0_14default_configENS1_20scan_config_selectorIiEEZZNS1_9scan_implILNS1_25lookback_scan_determinismE0ELb0ELb0ES3_N6thrust23THRUST_200600_302600_NS6detail15normal_iteratorINS9_10device_ptrIiEEEENS9_16discard_iteratorINS9_11use_defaultEEEi11max_functorIiEiEEDaPvRmT3_T4_T5_mT6_P12ihipStream_tbENKUlT_T0_E_clISt17integral_constantIbLb1EESX_EEDaSS_ST_EUlSS_E0_NS1_11comp_targetILNS1_3genE5ELNS1_11target_archE942ELNS1_3gpuE9ELNS1_3repE0EEENS1_30default_config_static_selectorELNS0_4arch9wavefront6targetE1EEEvT1_
    .private_segment_fixed_size: 0
    .sgpr_count:     4
    .sgpr_spill_count: 0
    .symbol:         _ZN7rocprim17ROCPRIM_400000_NS6detail17trampoline_kernelINS0_14default_configENS1_20scan_config_selectorIiEEZZNS1_9scan_implILNS1_25lookback_scan_determinismE0ELb0ELb0ES3_N6thrust23THRUST_200600_302600_NS6detail15normal_iteratorINS9_10device_ptrIiEEEENS9_16discard_iteratorINS9_11use_defaultEEEi11max_functorIiEiEEDaPvRmT3_T4_T5_mT6_P12ihipStream_tbENKUlT_T0_E_clISt17integral_constantIbLb1EESX_EEDaSS_ST_EUlSS_E0_NS1_11comp_targetILNS1_3genE5ELNS1_11target_archE942ELNS1_3gpuE9ELNS1_3repE0EEENS1_30default_config_static_selectorELNS0_4arch9wavefront6targetE1EEEvT1_.kd
    .uniform_work_group_size: 1
    .uses_dynamic_stack: false
    .vgpr_count:     0
    .vgpr_spill_count: 0
    .wavefront_size: 64
  - .agpr_count:     0
    .args:
      - .offset:         0
        .size:           40
        .value_kind:     by_value
    .group_segment_fixed_size: 5120
    .kernarg_segment_align: 8
    .kernarg_segment_size: 40
    .language:       OpenCL C
    .language_version:
      - 2
      - 0
    .max_flat_workgroup_size: 128
    .name:           _ZN7rocprim17ROCPRIM_400000_NS6detail17trampoline_kernelINS0_14default_configENS1_20scan_config_selectorIiEEZZNS1_9scan_implILNS1_25lookback_scan_determinismE0ELb0ELb0ES3_N6thrust23THRUST_200600_302600_NS6detail15normal_iteratorINS9_10device_ptrIiEEEENS9_16discard_iteratorINS9_11use_defaultEEEi11max_functorIiEiEEDaPvRmT3_T4_T5_mT6_P12ihipStream_tbENKUlT_T0_E_clISt17integral_constantIbLb1EESX_EEDaSS_ST_EUlSS_E0_NS1_11comp_targetILNS1_3genE4ELNS1_11target_archE910ELNS1_3gpuE8ELNS1_3repE0EEENS1_30default_config_static_selectorELNS0_4arch9wavefront6targetE1EEEvT1_
    .private_segment_fixed_size: 0
    .sgpr_count:     10
    .sgpr_spill_count: 0
    .symbol:         _ZN7rocprim17ROCPRIM_400000_NS6detail17trampoline_kernelINS0_14default_configENS1_20scan_config_selectorIiEEZZNS1_9scan_implILNS1_25lookback_scan_determinismE0ELb0ELb0ES3_N6thrust23THRUST_200600_302600_NS6detail15normal_iteratorINS9_10device_ptrIiEEEENS9_16discard_iteratorINS9_11use_defaultEEEi11max_functorIiEiEEDaPvRmT3_T4_T5_mT6_P12ihipStream_tbENKUlT_T0_E_clISt17integral_constantIbLb1EESX_EEDaSS_ST_EUlSS_E0_NS1_11comp_targetILNS1_3genE4ELNS1_11target_archE910ELNS1_3gpuE8ELNS1_3repE0EEENS1_30default_config_static_selectorELNS0_4arch9wavefront6targetE1EEEvT1_.kd
    .uniform_work_group_size: 1
    .uses_dynamic_stack: false
    .vgpr_count:     27
    .vgpr_spill_count: 0
    .wavefront_size: 64
  - .agpr_count:     0
    .args:
      - .offset:         0
        .size:           40
        .value_kind:     by_value
    .group_segment_fixed_size: 0
    .kernarg_segment_align: 8
    .kernarg_segment_size: 40
    .language:       OpenCL C
    .language_version:
      - 2
      - 0
    .max_flat_workgroup_size: 256
    .name:           _ZN7rocprim17ROCPRIM_400000_NS6detail17trampoline_kernelINS0_14default_configENS1_20scan_config_selectorIiEEZZNS1_9scan_implILNS1_25lookback_scan_determinismE0ELb0ELb0ES3_N6thrust23THRUST_200600_302600_NS6detail15normal_iteratorINS9_10device_ptrIiEEEENS9_16discard_iteratorINS9_11use_defaultEEEi11max_functorIiEiEEDaPvRmT3_T4_T5_mT6_P12ihipStream_tbENKUlT_T0_E_clISt17integral_constantIbLb1EESX_EEDaSS_ST_EUlSS_E0_NS1_11comp_targetILNS1_3genE3ELNS1_11target_archE908ELNS1_3gpuE7ELNS1_3repE0EEENS1_30default_config_static_selectorELNS0_4arch9wavefront6targetE1EEEvT1_
    .private_segment_fixed_size: 0
    .sgpr_count:     4
    .sgpr_spill_count: 0
    .symbol:         _ZN7rocprim17ROCPRIM_400000_NS6detail17trampoline_kernelINS0_14default_configENS1_20scan_config_selectorIiEEZZNS1_9scan_implILNS1_25lookback_scan_determinismE0ELb0ELb0ES3_N6thrust23THRUST_200600_302600_NS6detail15normal_iteratorINS9_10device_ptrIiEEEENS9_16discard_iteratorINS9_11use_defaultEEEi11max_functorIiEiEEDaPvRmT3_T4_T5_mT6_P12ihipStream_tbENKUlT_T0_E_clISt17integral_constantIbLb1EESX_EEDaSS_ST_EUlSS_E0_NS1_11comp_targetILNS1_3genE3ELNS1_11target_archE908ELNS1_3gpuE7ELNS1_3repE0EEENS1_30default_config_static_selectorELNS0_4arch9wavefront6targetE1EEEvT1_.kd
    .uniform_work_group_size: 1
    .uses_dynamic_stack: false
    .vgpr_count:     0
    .vgpr_spill_count: 0
    .wavefront_size: 64
  - .agpr_count:     0
    .args:
      - .offset:         0
        .size:           40
        .value_kind:     by_value
    .group_segment_fixed_size: 0
    .kernarg_segment_align: 8
    .kernarg_segment_size: 40
    .language:       OpenCL C
    .language_version:
      - 2
      - 0
    .max_flat_workgroup_size: 256
    .name:           _ZN7rocprim17ROCPRIM_400000_NS6detail17trampoline_kernelINS0_14default_configENS1_20scan_config_selectorIiEEZZNS1_9scan_implILNS1_25lookback_scan_determinismE0ELb0ELb0ES3_N6thrust23THRUST_200600_302600_NS6detail15normal_iteratorINS9_10device_ptrIiEEEENS9_16discard_iteratorINS9_11use_defaultEEEi11max_functorIiEiEEDaPvRmT3_T4_T5_mT6_P12ihipStream_tbENKUlT_T0_E_clISt17integral_constantIbLb1EESX_EEDaSS_ST_EUlSS_E0_NS1_11comp_targetILNS1_3genE2ELNS1_11target_archE906ELNS1_3gpuE6ELNS1_3repE0EEENS1_30default_config_static_selectorELNS0_4arch9wavefront6targetE1EEEvT1_
    .private_segment_fixed_size: 0
    .sgpr_count:     4
    .sgpr_spill_count: 0
    .symbol:         _ZN7rocprim17ROCPRIM_400000_NS6detail17trampoline_kernelINS0_14default_configENS1_20scan_config_selectorIiEEZZNS1_9scan_implILNS1_25lookback_scan_determinismE0ELb0ELb0ES3_N6thrust23THRUST_200600_302600_NS6detail15normal_iteratorINS9_10device_ptrIiEEEENS9_16discard_iteratorINS9_11use_defaultEEEi11max_functorIiEiEEDaPvRmT3_T4_T5_mT6_P12ihipStream_tbENKUlT_T0_E_clISt17integral_constantIbLb1EESX_EEDaSS_ST_EUlSS_E0_NS1_11comp_targetILNS1_3genE2ELNS1_11target_archE906ELNS1_3gpuE6ELNS1_3repE0EEENS1_30default_config_static_selectorELNS0_4arch9wavefront6targetE1EEEvT1_.kd
    .uniform_work_group_size: 1
    .uses_dynamic_stack: false
    .vgpr_count:     0
    .vgpr_spill_count: 0
    .wavefront_size: 64
  - .agpr_count:     0
    .args:
      - .offset:         0
        .size:           40
        .value_kind:     by_value
    .group_segment_fixed_size: 0
    .kernarg_segment_align: 8
    .kernarg_segment_size: 40
    .language:       OpenCL C
    .language_version:
      - 2
      - 0
    .max_flat_workgroup_size: 256
    .name:           _ZN7rocprim17ROCPRIM_400000_NS6detail17trampoline_kernelINS0_14default_configENS1_20scan_config_selectorIiEEZZNS1_9scan_implILNS1_25lookback_scan_determinismE0ELb0ELb0ES3_N6thrust23THRUST_200600_302600_NS6detail15normal_iteratorINS9_10device_ptrIiEEEENS9_16discard_iteratorINS9_11use_defaultEEEi11max_functorIiEiEEDaPvRmT3_T4_T5_mT6_P12ihipStream_tbENKUlT_T0_E_clISt17integral_constantIbLb1EESX_EEDaSS_ST_EUlSS_E0_NS1_11comp_targetILNS1_3genE10ELNS1_11target_archE1201ELNS1_3gpuE5ELNS1_3repE0EEENS1_30default_config_static_selectorELNS0_4arch9wavefront6targetE1EEEvT1_
    .private_segment_fixed_size: 0
    .sgpr_count:     4
    .sgpr_spill_count: 0
    .symbol:         _ZN7rocprim17ROCPRIM_400000_NS6detail17trampoline_kernelINS0_14default_configENS1_20scan_config_selectorIiEEZZNS1_9scan_implILNS1_25lookback_scan_determinismE0ELb0ELb0ES3_N6thrust23THRUST_200600_302600_NS6detail15normal_iteratorINS9_10device_ptrIiEEEENS9_16discard_iteratorINS9_11use_defaultEEEi11max_functorIiEiEEDaPvRmT3_T4_T5_mT6_P12ihipStream_tbENKUlT_T0_E_clISt17integral_constantIbLb1EESX_EEDaSS_ST_EUlSS_E0_NS1_11comp_targetILNS1_3genE10ELNS1_11target_archE1201ELNS1_3gpuE5ELNS1_3repE0EEENS1_30default_config_static_selectorELNS0_4arch9wavefront6targetE1EEEvT1_.kd
    .uniform_work_group_size: 1
    .uses_dynamic_stack: false
    .vgpr_count:     0
    .vgpr_spill_count: 0
    .wavefront_size: 64
  - .agpr_count:     0
    .args:
      - .offset:         0
        .size:           40
        .value_kind:     by_value
    .group_segment_fixed_size: 0
    .kernarg_segment_align: 8
    .kernarg_segment_size: 40
    .language:       OpenCL C
    .language_version:
      - 2
      - 0
    .max_flat_workgroup_size: 256
    .name:           _ZN7rocprim17ROCPRIM_400000_NS6detail17trampoline_kernelINS0_14default_configENS1_20scan_config_selectorIiEEZZNS1_9scan_implILNS1_25lookback_scan_determinismE0ELb0ELb0ES3_N6thrust23THRUST_200600_302600_NS6detail15normal_iteratorINS9_10device_ptrIiEEEENS9_16discard_iteratorINS9_11use_defaultEEEi11max_functorIiEiEEDaPvRmT3_T4_T5_mT6_P12ihipStream_tbENKUlT_T0_E_clISt17integral_constantIbLb1EESX_EEDaSS_ST_EUlSS_E0_NS1_11comp_targetILNS1_3genE10ELNS1_11target_archE1200ELNS1_3gpuE4ELNS1_3repE0EEENS1_30default_config_static_selectorELNS0_4arch9wavefront6targetE1EEEvT1_
    .private_segment_fixed_size: 0
    .sgpr_count:     4
    .sgpr_spill_count: 0
    .symbol:         _ZN7rocprim17ROCPRIM_400000_NS6detail17trampoline_kernelINS0_14default_configENS1_20scan_config_selectorIiEEZZNS1_9scan_implILNS1_25lookback_scan_determinismE0ELb0ELb0ES3_N6thrust23THRUST_200600_302600_NS6detail15normal_iteratorINS9_10device_ptrIiEEEENS9_16discard_iteratorINS9_11use_defaultEEEi11max_functorIiEiEEDaPvRmT3_T4_T5_mT6_P12ihipStream_tbENKUlT_T0_E_clISt17integral_constantIbLb1EESX_EEDaSS_ST_EUlSS_E0_NS1_11comp_targetILNS1_3genE10ELNS1_11target_archE1200ELNS1_3gpuE4ELNS1_3repE0EEENS1_30default_config_static_selectorELNS0_4arch9wavefront6targetE1EEEvT1_.kd
    .uniform_work_group_size: 1
    .uses_dynamic_stack: false
    .vgpr_count:     0
    .vgpr_spill_count: 0
    .wavefront_size: 64
  - .agpr_count:     0
    .args:
      - .offset:         0
        .size:           40
        .value_kind:     by_value
    .group_segment_fixed_size: 0
    .kernarg_segment_align: 8
    .kernarg_segment_size: 40
    .language:       OpenCL C
    .language_version:
      - 2
      - 0
    .max_flat_workgroup_size: 256
    .name:           _ZN7rocprim17ROCPRIM_400000_NS6detail17trampoline_kernelINS0_14default_configENS1_20scan_config_selectorIiEEZZNS1_9scan_implILNS1_25lookback_scan_determinismE0ELb0ELb0ES3_N6thrust23THRUST_200600_302600_NS6detail15normal_iteratorINS9_10device_ptrIiEEEENS9_16discard_iteratorINS9_11use_defaultEEEi11max_functorIiEiEEDaPvRmT3_T4_T5_mT6_P12ihipStream_tbENKUlT_T0_E_clISt17integral_constantIbLb1EESX_EEDaSS_ST_EUlSS_E0_NS1_11comp_targetILNS1_3genE9ELNS1_11target_archE1100ELNS1_3gpuE3ELNS1_3repE0EEENS1_30default_config_static_selectorELNS0_4arch9wavefront6targetE1EEEvT1_
    .private_segment_fixed_size: 0
    .sgpr_count:     4
    .sgpr_spill_count: 0
    .symbol:         _ZN7rocprim17ROCPRIM_400000_NS6detail17trampoline_kernelINS0_14default_configENS1_20scan_config_selectorIiEEZZNS1_9scan_implILNS1_25lookback_scan_determinismE0ELb0ELb0ES3_N6thrust23THRUST_200600_302600_NS6detail15normal_iteratorINS9_10device_ptrIiEEEENS9_16discard_iteratorINS9_11use_defaultEEEi11max_functorIiEiEEDaPvRmT3_T4_T5_mT6_P12ihipStream_tbENKUlT_T0_E_clISt17integral_constantIbLb1EESX_EEDaSS_ST_EUlSS_E0_NS1_11comp_targetILNS1_3genE9ELNS1_11target_archE1100ELNS1_3gpuE3ELNS1_3repE0EEENS1_30default_config_static_selectorELNS0_4arch9wavefront6targetE1EEEvT1_.kd
    .uniform_work_group_size: 1
    .uses_dynamic_stack: false
    .vgpr_count:     0
    .vgpr_spill_count: 0
    .wavefront_size: 64
  - .agpr_count:     0
    .args:
      - .offset:         0
        .size:           40
        .value_kind:     by_value
    .group_segment_fixed_size: 0
    .kernarg_segment_align: 8
    .kernarg_segment_size: 40
    .language:       OpenCL C
    .language_version:
      - 2
      - 0
    .max_flat_workgroup_size: 64
    .name:           _ZN7rocprim17ROCPRIM_400000_NS6detail17trampoline_kernelINS0_14default_configENS1_20scan_config_selectorIiEEZZNS1_9scan_implILNS1_25lookback_scan_determinismE0ELb0ELb0ES3_N6thrust23THRUST_200600_302600_NS6detail15normal_iteratorINS9_10device_ptrIiEEEENS9_16discard_iteratorINS9_11use_defaultEEEi11max_functorIiEiEEDaPvRmT3_T4_T5_mT6_P12ihipStream_tbENKUlT_T0_E_clISt17integral_constantIbLb1EESX_EEDaSS_ST_EUlSS_E0_NS1_11comp_targetILNS1_3genE8ELNS1_11target_archE1030ELNS1_3gpuE2ELNS1_3repE0EEENS1_30default_config_static_selectorELNS0_4arch9wavefront6targetE1EEEvT1_
    .private_segment_fixed_size: 0
    .sgpr_count:     4
    .sgpr_spill_count: 0
    .symbol:         _ZN7rocprim17ROCPRIM_400000_NS6detail17trampoline_kernelINS0_14default_configENS1_20scan_config_selectorIiEEZZNS1_9scan_implILNS1_25lookback_scan_determinismE0ELb0ELb0ES3_N6thrust23THRUST_200600_302600_NS6detail15normal_iteratorINS9_10device_ptrIiEEEENS9_16discard_iteratorINS9_11use_defaultEEEi11max_functorIiEiEEDaPvRmT3_T4_T5_mT6_P12ihipStream_tbENKUlT_T0_E_clISt17integral_constantIbLb1EESX_EEDaSS_ST_EUlSS_E0_NS1_11comp_targetILNS1_3genE8ELNS1_11target_archE1030ELNS1_3gpuE2ELNS1_3repE0EEENS1_30default_config_static_selectorELNS0_4arch9wavefront6targetE1EEEvT1_.kd
    .uniform_work_group_size: 1
    .uses_dynamic_stack: false
    .vgpr_count:     0
    .vgpr_spill_count: 0
    .wavefront_size: 64
  - .agpr_count:     0
    .args:
      - .offset:         0
        .size:           104
        .value_kind:     by_value
    .group_segment_fixed_size: 0
    .kernarg_segment_align: 8
    .kernarg_segment_size: 104
    .language:       OpenCL C
    .language_version:
      - 2
      - 0
    .max_flat_workgroup_size: 256
    .name:           _ZN7rocprim17ROCPRIM_400000_NS6detail17trampoline_kernelINS0_14default_configENS1_20scan_config_selectorIiEEZZNS1_9scan_implILNS1_25lookback_scan_determinismE0ELb0ELb0ES3_N6thrust23THRUST_200600_302600_NS6detail15normal_iteratorINS9_10device_ptrIiEEEENS9_16discard_iteratorINS9_11use_defaultEEEi11max_functorIiEiEEDaPvRmT3_T4_T5_mT6_P12ihipStream_tbENKUlT_T0_E_clISt17integral_constantIbLb1EESW_IbLb0EEEEDaSS_ST_EUlSS_E_NS1_11comp_targetILNS1_3genE0ELNS1_11target_archE4294967295ELNS1_3gpuE0ELNS1_3repE0EEENS1_30default_config_static_selectorELNS0_4arch9wavefront6targetE1EEEvT1_
    .private_segment_fixed_size: 0
    .sgpr_count:     4
    .sgpr_spill_count: 0
    .symbol:         _ZN7rocprim17ROCPRIM_400000_NS6detail17trampoline_kernelINS0_14default_configENS1_20scan_config_selectorIiEEZZNS1_9scan_implILNS1_25lookback_scan_determinismE0ELb0ELb0ES3_N6thrust23THRUST_200600_302600_NS6detail15normal_iteratorINS9_10device_ptrIiEEEENS9_16discard_iteratorINS9_11use_defaultEEEi11max_functorIiEiEEDaPvRmT3_T4_T5_mT6_P12ihipStream_tbENKUlT_T0_E_clISt17integral_constantIbLb1EESW_IbLb0EEEEDaSS_ST_EUlSS_E_NS1_11comp_targetILNS1_3genE0ELNS1_11target_archE4294967295ELNS1_3gpuE0ELNS1_3repE0EEENS1_30default_config_static_selectorELNS0_4arch9wavefront6targetE1EEEvT1_.kd
    .uniform_work_group_size: 1
    .uses_dynamic_stack: false
    .vgpr_count:     0
    .vgpr_spill_count: 0
    .wavefront_size: 64
  - .agpr_count:     0
    .args:
      - .offset:         0
        .size:           104
        .value_kind:     by_value
    .group_segment_fixed_size: 0
    .kernarg_segment_align: 8
    .kernarg_segment_size: 104
    .language:       OpenCL C
    .language_version:
      - 2
      - 0
    .max_flat_workgroup_size: 256
    .name:           _ZN7rocprim17ROCPRIM_400000_NS6detail17trampoline_kernelINS0_14default_configENS1_20scan_config_selectorIiEEZZNS1_9scan_implILNS1_25lookback_scan_determinismE0ELb0ELb0ES3_N6thrust23THRUST_200600_302600_NS6detail15normal_iteratorINS9_10device_ptrIiEEEENS9_16discard_iteratorINS9_11use_defaultEEEi11max_functorIiEiEEDaPvRmT3_T4_T5_mT6_P12ihipStream_tbENKUlT_T0_E_clISt17integral_constantIbLb1EESW_IbLb0EEEEDaSS_ST_EUlSS_E_NS1_11comp_targetILNS1_3genE5ELNS1_11target_archE942ELNS1_3gpuE9ELNS1_3repE0EEENS1_30default_config_static_selectorELNS0_4arch9wavefront6targetE1EEEvT1_
    .private_segment_fixed_size: 0
    .sgpr_count:     4
    .sgpr_spill_count: 0
    .symbol:         _ZN7rocprim17ROCPRIM_400000_NS6detail17trampoline_kernelINS0_14default_configENS1_20scan_config_selectorIiEEZZNS1_9scan_implILNS1_25lookback_scan_determinismE0ELb0ELb0ES3_N6thrust23THRUST_200600_302600_NS6detail15normal_iteratorINS9_10device_ptrIiEEEENS9_16discard_iteratorINS9_11use_defaultEEEi11max_functorIiEiEEDaPvRmT3_T4_T5_mT6_P12ihipStream_tbENKUlT_T0_E_clISt17integral_constantIbLb1EESW_IbLb0EEEEDaSS_ST_EUlSS_E_NS1_11comp_targetILNS1_3genE5ELNS1_11target_archE942ELNS1_3gpuE9ELNS1_3repE0EEENS1_30default_config_static_selectorELNS0_4arch9wavefront6targetE1EEEvT1_.kd
    .uniform_work_group_size: 1
    .uses_dynamic_stack: false
    .vgpr_count:     0
    .vgpr_spill_count: 0
    .wavefront_size: 64
  - .agpr_count:     0
    .args:
      - .offset:         0
        .size:           104
        .value_kind:     by_value
    .group_segment_fixed_size: 5120
    .kernarg_segment_align: 8
    .kernarg_segment_size: 104
    .language:       OpenCL C
    .language_version:
      - 2
      - 0
    .max_flat_workgroup_size: 128
    .name:           _ZN7rocprim17ROCPRIM_400000_NS6detail17trampoline_kernelINS0_14default_configENS1_20scan_config_selectorIiEEZZNS1_9scan_implILNS1_25lookback_scan_determinismE0ELb0ELb0ES3_N6thrust23THRUST_200600_302600_NS6detail15normal_iteratorINS9_10device_ptrIiEEEENS9_16discard_iteratorINS9_11use_defaultEEEi11max_functorIiEiEEDaPvRmT3_T4_T5_mT6_P12ihipStream_tbENKUlT_T0_E_clISt17integral_constantIbLb1EESW_IbLb0EEEEDaSS_ST_EUlSS_E_NS1_11comp_targetILNS1_3genE4ELNS1_11target_archE910ELNS1_3gpuE8ELNS1_3repE0EEENS1_30default_config_static_selectorELNS0_4arch9wavefront6targetE1EEEvT1_
    .private_segment_fixed_size: 0
    .sgpr_count:     26
    .sgpr_spill_count: 0
    .symbol:         _ZN7rocprim17ROCPRIM_400000_NS6detail17trampoline_kernelINS0_14default_configENS1_20scan_config_selectorIiEEZZNS1_9scan_implILNS1_25lookback_scan_determinismE0ELb0ELb0ES3_N6thrust23THRUST_200600_302600_NS6detail15normal_iteratorINS9_10device_ptrIiEEEENS9_16discard_iteratorINS9_11use_defaultEEEi11max_functorIiEiEEDaPvRmT3_T4_T5_mT6_P12ihipStream_tbENKUlT_T0_E_clISt17integral_constantIbLb1EESW_IbLb0EEEEDaSS_ST_EUlSS_E_NS1_11comp_targetILNS1_3genE4ELNS1_11target_archE910ELNS1_3gpuE8ELNS1_3repE0EEENS1_30default_config_static_selectorELNS0_4arch9wavefront6targetE1EEEvT1_.kd
    .uniform_work_group_size: 1
    .uses_dynamic_stack: false
    .vgpr_count:     39
    .vgpr_spill_count: 0
    .wavefront_size: 64
  - .agpr_count:     0
    .args:
      - .offset:         0
        .size:           104
        .value_kind:     by_value
    .group_segment_fixed_size: 0
    .kernarg_segment_align: 8
    .kernarg_segment_size: 104
    .language:       OpenCL C
    .language_version:
      - 2
      - 0
    .max_flat_workgroup_size: 256
    .name:           _ZN7rocprim17ROCPRIM_400000_NS6detail17trampoline_kernelINS0_14default_configENS1_20scan_config_selectorIiEEZZNS1_9scan_implILNS1_25lookback_scan_determinismE0ELb0ELb0ES3_N6thrust23THRUST_200600_302600_NS6detail15normal_iteratorINS9_10device_ptrIiEEEENS9_16discard_iteratorINS9_11use_defaultEEEi11max_functorIiEiEEDaPvRmT3_T4_T5_mT6_P12ihipStream_tbENKUlT_T0_E_clISt17integral_constantIbLb1EESW_IbLb0EEEEDaSS_ST_EUlSS_E_NS1_11comp_targetILNS1_3genE3ELNS1_11target_archE908ELNS1_3gpuE7ELNS1_3repE0EEENS1_30default_config_static_selectorELNS0_4arch9wavefront6targetE1EEEvT1_
    .private_segment_fixed_size: 0
    .sgpr_count:     4
    .sgpr_spill_count: 0
    .symbol:         _ZN7rocprim17ROCPRIM_400000_NS6detail17trampoline_kernelINS0_14default_configENS1_20scan_config_selectorIiEEZZNS1_9scan_implILNS1_25lookback_scan_determinismE0ELb0ELb0ES3_N6thrust23THRUST_200600_302600_NS6detail15normal_iteratorINS9_10device_ptrIiEEEENS9_16discard_iteratorINS9_11use_defaultEEEi11max_functorIiEiEEDaPvRmT3_T4_T5_mT6_P12ihipStream_tbENKUlT_T0_E_clISt17integral_constantIbLb1EESW_IbLb0EEEEDaSS_ST_EUlSS_E_NS1_11comp_targetILNS1_3genE3ELNS1_11target_archE908ELNS1_3gpuE7ELNS1_3repE0EEENS1_30default_config_static_selectorELNS0_4arch9wavefront6targetE1EEEvT1_.kd
    .uniform_work_group_size: 1
    .uses_dynamic_stack: false
    .vgpr_count:     0
    .vgpr_spill_count: 0
    .wavefront_size: 64
  - .agpr_count:     0
    .args:
      - .offset:         0
        .size:           104
        .value_kind:     by_value
    .group_segment_fixed_size: 0
    .kernarg_segment_align: 8
    .kernarg_segment_size: 104
    .language:       OpenCL C
    .language_version:
      - 2
      - 0
    .max_flat_workgroup_size: 256
    .name:           _ZN7rocprim17ROCPRIM_400000_NS6detail17trampoline_kernelINS0_14default_configENS1_20scan_config_selectorIiEEZZNS1_9scan_implILNS1_25lookback_scan_determinismE0ELb0ELb0ES3_N6thrust23THRUST_200600_302600_NS6detail15normal_iteratorINS9_10device_ptrIiEEEENS9_16discard_iteratorINS9_11use_defaultEEEi11max_functorIiEiEEDaPvRmT3_T4_T5_mT6_P12ihipStream_tbENKUlT_T0_E_clISt17integral_constantIbLb1EESW_IbLb0EEEEDaSS_ST_EUlSS_E_NS1_11comp_targetILNS1_3genE2ELNS1_11target_archE906ELNS1_3gpuE6ELNS1_3repE0EEENS1_30default_config_static_selectorELNS0_4arch9wavefront6targetE1EEEvT1_
    .private_segment_fixed_size: 0
    .sgpr_count:     4
    .sgpr_spill_count: 0
    .symbol:         _ZN7rocprim17ROCPRIM_400000_NS6detail17trampoline_kernelINS0_14default_configENS1_20scan_config_selectorIiEEZZNS1_9scan_implILNS1_25lookback_scan_determinismE0ELb0ELb0ES3_N6thrust23THRUST_200600_302600_NS6detail15normal_iteratorINS9_10device_ptrIiEEEENS9_16discard_iteratorINS9_11use_defaultEEEi11max_functorIiEiEEDaPvRmT3_T4_T5_mT6_P12ihipStream_tbENKUlT_T0_E_clISt17integral_constantIbLb1EESW_IbLb0EEEEDaSS_ST_EUlSS_E_NS1_11comp_targetILNS1_3genE2ELNS1_11target_archE906ELNS1_3gpuE6ELNS1_3repE0EEENS1_30default_config_static_selectorELNS0_4arch9wavefront6targetE1EEEvT1_.kd
    .uniform_work_group_size: 1
    .uses_dynamic_stack: false
    .vgpr_count:     0
    .vgpr_spill_count: 0
    .wavefront_size: 64
  - .agpr_count:     0
    .args:
      - .offset:         0
        .size:           104
        .value_kind:     by_value
    .group_segment_fixed_size: 0
    .kernarg_segment_align: 8
    .kernarg_segment_size: 104
    .language:       OpenCL C
    .language_version:
      - 2
      - 0
    .max_flat_workgroup_size: 256
    .name:           _ZN7rocprim17ROCPRIM_400000_NS6detail17trampoline_kernelINS0_14default_configENS1_20scan_config_selectorIiEEZZNS1_9scan_implILNS1_25lookback_scan_determinismE0ELb0ELb0ES3_N6thrust23THRUST_200600_302600_NS6detail15normal_iteratorINS9_10device_ptrIiEEEENS9_16discard_iteratorINS9_11use_defaultEEEi11max_functorIiEiEEDaPvRmT3_T4_T5_mT6_P12ihipStream_tbENKUlT_T0_E_clISt17integral_constantIbLb1EESW_IbLb0EEEEDaSS_ST_EUlSS_E_NS1_11comp_targetILNS1_3genE10ELNS1_11target_archE1201ELNS1_3gpuE5ELNS1_3repE0EEENS1_30default_config_static_selectorELNS0_4arch9wavefront6targetE1EEEvT1_
    .private_segment_fixed_size: 0
    .sgpr_count:     4
    .sgpr_spill_count: 0
    .symbol:         _ZN7rocprim17ROCPRIM_400000_NS6detail17trampoline_kernelINS0_14default_configENS1_20scan_config_selectorIiEEZZNS1_9scan_implILNS1_25lookback_scan_determinismE0ELb0ELb0ES3_N6thrust23THRUST_200600_302600_NS6detail15normal_iteratorINS9_10device_ptrIiEEEENS9_16discard_iteratorINS9_11use_defaultEEEi11max_functorIiEiEEDaPvRmT3_T4_T5_mT6_P12ihipStream_tbENKUlT_T0_E_clISt17integral_constantIbLb1EESW_IbLb0EEEEDaSS_ST_EUlSS_E_NS1_11comp_targetILNS1_3genE10ELNS1_11target_archE1201ELNS1_3gpuE5ELNS1_3repE0EEENS1_30default_config_static_selectorELNS0_4arch9wavefront6targetE1EEEvT1_.kd
    .uniform_work_group_size: 1
    .uses_dynamic_stack: false
    .vgpr_count:     0
    .vgpr_spill_count: 0
    .wavefront_size: 64
  - .agpr_count:     0
    .args:
      - .offset:         0
        .size:           104
        .value_kind:     by_value
    .group_segment_fixed_size: 0
    .kernarg_segment_align: 8
    .kernarg_segment_size: 104
    .language:       OpenCL C
    .language_version:
      - 2
      - 0
    .max_flat_workgroup_size: 256
    .name:           _ZN7rocprim17ROCPRIM_400000_NS6detail17trampoline_kernelINS0_14default_configENS1_20scan_config_selectorIiEEZZNS1_9scan_implILNS1_25lookback_scan_determinismE0ELb0ELb0ES3_N6thrust23THRUST_200600_302600_NS6detail15normal_iteratorINS9_10device_ptrIiEEEENS9_16discard_iteratorINS9_11use_defaultEEEi11max_functorIiEiEEDaPvRmT3_T4_T5_mT6_P12ihipStream_tbENKUlT_T0_E_clISt17integral_constantIbLb1EESW_IbLb0EEEEDaSS_ST_EUlSS_E_NS1_11comp_targetILNS1_3genE10ELNS1_11target_archE1200ELNS1_3gpuE4ELNS1_3repE0EEENS1_30default_config_static_selectorELNS0_4arch9wavefront6targetE1EEEvT1_
    .private_segment_fixed_size: 0
    .sgpr_count:     4
    .sgpr_spill_count: 0
    .symbol:         _ZN7rocprim17ROCPRIM_400000_NS6detail17trampoline_kernelINS0_14default_configENS1_20scan_config_selectorIiEEZZNS1_9scan_implILNS1_25lookback_scan_determinismE0ELb0ELb0ES3_N6thrust23THRUST_200600_302600_NS6detail15normal_iteratorINS9_10device_ptrIiEEEENS9_16discard_iteratorINS9_11use_defaultEEEi11max_functorIiEiEEDaPvRmT3_T4_T5_mT6_P12ihipStream_tbENKUlT_T0_E_clISt17integral_constantIbLb1EESW_IbLb0EEEEDaSS_ST_EUlSS_E_NS1_11comp_targetILNS1_3genE10ELNS1_11target_archE1200ELNS1_3gpuE4ELNS1_3repE0EEENS1_30default_config_static_selectorELNS0_4arch9wavefront6targetE1EEEvT1_.kd
    .uniform_work_group_size: 1
    .uses_dynamic_stack: false
    .vgpr_count:     0
    .vgpr_spill_count: 0
    .wavefront_size: 64
  - .agpr_count:     0
    .args:
      - .offset:         0
        .size:           104
        .value_kind:     by_value
    .group_segment_fixed_size: 0
    .kernarg_segment_align: 8
    .kernarg_segment_size: 104
    .language:       OpenCL C
    .language_version:
      - 2
      - 0
    .max_flat_workgroup_size: 256
    .name:           _ZN7rocprim17ROCPRIM_400000_NS6detail17trampoline_kernelINS0_14default_configENS1_20scan_config_selectorIiEEZZNS1_9scan_implILNS1_25lookback_scan_determinismE0ELb0ELb0ES3_N6thrust23THRUST_200600_302600_NS6detail15normal_iteratorINS9_10device_ptrIiEEEENS9_16discard_iteratorINS9_11use_defaultEEEi11max_functorIiEiEEDaPvRmT3_T4_T5_mT6_P12ihipStream_tbENKUlT_T0_E_clISt17integral_constantIbLb1EESW_IbLb0EEEEDaSS_ST_EUlSS_E_NS1_11comp_targetILNS1_3genE9ELNS1_11target_archE1100ELNS1_3gpuE3ELNS1_3repE0EEENS1_30default_config_static_selectorELNS0_4arch9wavefront6targetE1EEEvT1_
    .private_segment_fixed_size: 0
    .sgpr_count:     4
    .sgpr_spill_count: 0
    .symbol:         _ZN7rocprim17ROCPRIM_400000_NS6detail17trampoline_kernelINS0_14default_configENS1_20scan_config_selectorIiEEZZNS1_9scan_implILNS1_25lookback_scan_determinismE0ELb0ELb0ES3_N6thrust23THRUST_200600_302600_NS6detail15normal_iteratorINS9_10device_ptrIiEEEENS9_16discard_iteratorINS9_11use_defaultEEEi11max_functorIiEiEEDaPvRmT3_T4_T5_mT6_P12ihipStream_tbENKUlT_T0_E_clISt17integral_constantIbLb1EESW_IbLb0EEEEDaSS_ST_EUlSS_E_NS1_11comp_targetILNS1_3genE9ELNS1_11target_archE1100ELNS1_3gpuE3ELNS1_3repE0EEENS1_30default_config_static_selectorELNS0_4arch9wavefront6targetE1EEEvT1_.kd
    .uniform_work_group_size: 1
    .uses_dynamic_stack: false
    .vgpr_count:     0
    .vgpr_spill_count: 0
    .wavefront_size: 64
  - .agpr_count:     0
    .args:
      - .offset:         0
        .size:           104
        .value_kind:     by_value
    .group_segment_fixed_size: 0
    .kernarg_segment_align: 8
    .kernarg_segment_size: 104
    .language:       OpenCL C
    .language_version:
      - 2
      - 0
    .max_flat_workgroup_size: 64
    .name:           _ZN7rocprim17ROCPRIM_400000_NS6detail17trampoline_kernelINS0_14default_configENS1_20scan_config_selectorIiEEZZNS1_9scan_implILNS1_25lookback_scan_determinismE0ELb0ELb0ES3_N6thrust23THRUST_200600_302600_NS6detail15normal_iteratorINS9_10device_ptrIiEEEENS9_16discard_iteratorINS9_11use_defaultEEEi11max_functorIiEiEEDaPvRmT3_T4_T5_mT6_P12ihipStream_tbENKUlT_T0_E_clISt17integral_constantIbLb1EESW_IbLb0EEEEDaSS_ST_EUlSS_E_NS1_11comp_targetILNS1_3genE8ELNS1_11target_archE1030ELNS1_3gpuE2ELNS1_3repE0EEENS1_30default_config_static_selectorELNS0_4arch9wavefront6targetE1EEEvT1_
    .private_segment_fixed_size: 0
    .sgpr_count:     4
    .sgpr_spill_count: 0
    .symbol:         _ZN7rocprim17ROCPRIM_400000_NS6detail17trampoline_kernelINS0_14default_configENS1_20scan_config_selectorIiEEZZNS1_9scan_implILNS1_25lookback_scan_determinismE0ELb0ELb0ES3_N6thrust23THRUST_200600_302600_NS6detail15normal_iteratorINS9_10device_ptrIiEEEENS9_16discard_iteratorINS9_11use_defaultEEEi11max_functorIiEiEEDaPvRmT3_T4_T5_mT6_P12ihipStream_tbENKUlT_T0_E_clISt17integral_constantIbLb1EESW_IbLb0EEEEDaSS_ST_EUlSS_E_NS1_11comp_targetILNS1_3genE8ELNS1_11target_archE1030ELNS1_3gpuE2ELNS1_3repE0EEENS1_30default_config_static_selectorELNS0_4arch9wavefront6targetE1EEEvT1_.kd
    .uniform_work_group_size: 1
    .uses_dynamic_stack: false
    .vgpr_count:     0
    .vgpr_spill_count: 0
    .wavefront_size: 64
  - .agpr_count:     0
    .args:
      - .offset:         0
        .size:           40
        .value_kind:     by_value
    .group_segment_fixed_size: 0
    .kernarg_segment_align: 8
    .kernarg_segment_size: 40
    .language:       OpenCL C
    .language_version:
      - 2
      - 0
    .max_flat_workgroup_size: 256
    .name:           _ZN7rocprim17ROCPRIM_400000_NS6detail17trampoline_kernelINS0_14default_configENS1_20scan_config_selectorIiEEZZNS1_9scan_implILNS1_25lookback_scan_determinismE0ELb0ELb0ES3_N6thrust23THRUST_200600_302600_NS6detail15normal_iteratorINS9_10device_ptrIiEEEENS9_16discard_iteratorINS9_11use_defaultEEEi11max_functorIiEiEEDaPvRmT3_T4_T5_mT6_P12ihipStream_tbENKUlT_T0_E_clISt17integral_constantIbLb1EESW_IbLb0EEEEDaSS_ST_EUlSS_E0_NS1_11comp_targetILNS1_3genE0ELNS1_11target_archE4294967295ELNS1_3gpuE0ELNS1_3repE0EEENS1_30default_config_static_selectorELNS0_4arch9wavefront6targetE1EEEvT1_
    .private_segment_fixed_size: 0
    .sgpr_count:     4
    .sgpr_spill_count: 0
    .symbol:         _ZN7rocprim17ROCPRIM_400000_NS6detail17trampoline_kernelINS0_14default_configENS1_20scan_config_selectorIiEEZZNS1_9scan_implILNS1_25lookback_scan_determinismE0ELb0ELb0ES3_N6thrust23THRUST_200600_302600_NS6detail15normal_iteratorINS9_10device_ptrIiEEEENS9_16discard_iteratorINS9_11use_defaultEEEi11max_functorIiEiEEDaPvRmT3_T4_T5_mT6_P12ihipStream_tbENKUlT_T0_E_clISt17integral_constantIbLb1EESW_IbLb0EEEEDaSS_ST_EUlSS_E0_NS1_11comp_targetILNS1_3genE0ELNS1_11target_archE4294967295ELNS1_3gpuE0ELNS1_3repE0EEENS1_30default_config_static_selectorELNS0_4arch9wavefront6targetE1EEEvT1_.kd
    .uniform_work_group_size: 1
    .uses_dynamic_stack: false
    .vgpr_count:     0
    .vgpr_spill_count: 0
    .wavefront_size: 64
  - .agpr_count:     0
    .args:
      - .offset:         0
        .size:           40
        .value_kind:     by_value
    .group_segment_fixed_size: 0
    .kernarg_segment_align: 8
    .kernarg_segment_size: 40
    .language:       OpenCL C
    .language_version:
      - 2
      - 0
    .max_flat_workgroup_size: 256
    .name:           _ZN7rocprim17ROCPRIM_400000_NS6detail17trampoline_kernelINS0_14default_configENS1_20scan_config_selectorIiEEZZNS1_9scan_implILNS1_25lookback_scan_determinismE0ELb0ELb0ES3_N6thrust23THRUST_200600_302600_NS6detail15normal_iteratorINS9_10device_ptrIiEEEENS9_16discard_iteratorINS9_11use_defaultEEEi11max_functorIiEiEEDaPvRmT3_T4_T5_mT6_P12ihipStream_tbENKUlT_T0_E_clISt17integral_constantIbLb1EESW_IbLb0EEEEDaSS_ST_EUlSS_E0_NS1_11comp_targetILNS1_3genE5ELNS1_11target_archE942ELNS1_3gpuE9ELNS1_3repE0EEENS1_30default_config_static_selectorELNS0_4arch9wavefront6targetE1EEEvT1_
    .private_segment_fixed_size: 0
    .sgpr_count:     4
    .sgpr_spill_count: 0
    .symbol:         _ZN7rocprim17ROCPRIM_400000_NS6detail17trampoline_kernelINS0_14default_configENS1_20scan_config_selectorIiEEZZNS1_9scan_implILNS1_25lookback_scan_determinismE0ELb0ELb0ES3_N6thrust23THRUST_200600_302600_NS6detail15normal_iteratorINS9_10device_ptrIiEEEENS9_16discard_iteratorINS9_11use_defaultEEEi11max_functorIiEiEEDaPvRmT3_T4_T5_mT6_P12ihipStream_tbENKUlT_T0_E_clISt17integral_constantIbLb1EESW_IbLb0EEEEDaSS_ST_EUlSS_E0_NS1_11comp_targetILNS1_3genE5ELNS1_11target_archE942ELNS1_3gpuE9ELNS1_3repE0EEENS1_30default_config_static_selectorELNS0_4arch9wavefront6targetE1EEEvT1_.kd
    .uniform_work_group_size: 1
    .uses_dynamic_stack: false
    .vgpr_count:     0
    .vgpr_spill_count: 0
    .wavefront_size: 64
  - .agpr_count:     0
    .args:
      - .offset:         0
        .size:           40
        .value_kind:     by_value
    .group_segment_fixed_size: 5120
    .kernarg_segment_align: 8
    .kernarg_segment_size: 40
    .language:       OpenCL C
    .language_version:
      - 2
      - 0
    .max_flat_workgroup_size: 128
    .name:           _ZN7rocprim17ROCPRIM_400000_NS6detail17trampoline_kernelINS0_14default_configENS1_20scan_config_selectorIiEEZZNS1_9scan_implILNS1_25lookback_scan_determinismE0ELb0ELb0ES3_N6thrust23THRUST_200600_302600_NS6detail15normal_iteratorINS9_10device_ptrIiEEEENS9_16discard_iteratorINS9_11use_defaultEEEi11max_functorIiEiEEDaPvRmT3_T4_T5_mT6_P12ihipStream_tbENKUlT_T0_E_clISt17integral_constantIbLb1EESW_IbLb0EEEEDaSS_ST_EUlSS_E0_NS1_11comp_targetILNS1_3genE4ELNS1_11target_archE910ELNS1_3gpuE8ELNS1_3repE0EEENS1_30default_config_static_selectorELNS0_4arch9wavefront6targetE1EEEvT1_
    .private_segment_fixed_size: 0
    .sgpr_count:     10
    .sgpr_spill_count: 0
    .symbol:         _ZN7rocprim17ROCPRIM_400000_NS6detail17trampoline_kernelINS0_14default_configENS1_20scan_config_selectorIiEEZZNS1_9scan_implILNS1_25lookback_scan_determinismE0ELb0ELb0ES3_N6thrust23THRUST_200600_302600_NS6detail15normal_iteratorINS9_10device_ptrIiEEEENS9_16discard_iteratorINS9_11use_defaultEEEi11max_functorIiEiEEDaPvRmT3_T4_T5_mT6_P12ihipStream_tbENKUlT_T0_E_clISt17integral_constantIbLb1EESW_IbLb0EEEEDaSS_ST_EUlSS_E0_NS1_11comp_targetILNS1_3genE4ELNS1_11target_archE910ELNS1_3gpuE8ELNS1_3repE0EEENS1_30default_config_static_selectorELNS0_4arch9wavefront6targetE1EEEvT1_.kd
    .uniform_work_group_size: 1
    .uses_dynamic_stack: false
    .vgpr_count:     27
    .vgpr_spill_count: 0
    .wavefront_size: 64
  - .agpr_count:     0
    .args:
      - .offset:         0
        .size:           40
        .value_kind:     by_value
    .group_segment_fixed_size: 0
    .kernarg_segment_align: 8
    .kernarg_segment_size: 40
    .language:       OpenCL C
    .language_version:
      - 2
      - 0
    .max_flat_workgroup_size: 256
    .name:           _ZN7rocprim17ROCPRIM_400000_NS6detail17trampoline_kernelINS0_14default_configENS1_20scan_config_selectorIiEEZZNS1_9scan_implILNS1_25lookback_scan_determinismE0ELb0ELb0ES3_N6thrust23THRUST_200600_302600_NS6detail15normal_iteratorINS9_10device_ptrIiEEEENS9_16discard_iteratorINS9_11use_defaultEEEi11max_functorIiEiEEDaPvRmT3_T4_T5_mT6_P12ihipStream_tbENKUlT_T0_E_clISt17integral_constantIbLb1EESW_IbLb0EEEEDaSS_ST_EUlSS_E0_NS1_11comp_targetILNS1_3genE3ELNS1_11target_archE908ELNS1_3gpuE7ELNS1_3repE0EEENS1_30default_config_static_selectorELNS0_4arch9wavefront6targetE1EEEvT1_
    .private_segment_fixed_size: 0
    .sgpr_count:     4
    .sgpr_spill_count: 0
    .symbol:         _ZN7rocprim17ROCPRIM_400000_NS6detail17trampoline_kernelINS0_14default_configENS1_20scan_config_selectorIiEEZZNS1_9scan_implILNS1_25lookback_scan_determinismE0ELb0ELb0ES3_N6thrust23THRUST_200600_302600_NS6detail15normal_iteratorINS9_10device_ptrIiEEEENS9_16discard_iteratorINS9_11use_defaultEEEi11max_functorIiEiEEDaPvRmT3_T4_T5_mT6_P12ihipStream_tbENKUlT_T0_E_clISt17integral_constantIbLb1EESW_IbLb0EEEEDaSS_ST_EUlSS_E0_NS1_11comp_targetILNS1_3genE3ELNS1_11target_archE908ELNS1_3gpuE7ELNS1_3repE0EEENS1_30default_config_static_selectorELNS0_4arch9wavefront6targetE1EEEvT1_.kd
    .uniform_work_group_size: 1
    .uses_dynamic_stack: false
    .vgpr_count:     0
    .vgpr_spill_count: 0
    .wavefront_size: 64
  - .agpr_count:     0
    .args:
      - .offset:         0
        .size:           40
        .value_kind:     by_value
    .group_segment_fixed_size: 0
    .kernarg_segment_align: 8
    .kernarg_segment_size: 40
    .language:       OpenCL C
    .language_version:
      - 2
      - 0
    .max_flat_workgroup_size: 256
    .name:           _ZN7rocprim17ROCPRIM_400000_NS6detail17trampoline_kernelINS0_14default_configENS1_20scan_config_selectorIiEEZZNS1_9scan_implILNS1_25lookback_scan_determinismE0ELb0ELb0ES3_N6thrust23THRUST_200600_302600_NS6detail15normal_iteratorINS9_10device_ptrIiEEEENS9_16discard_iteratorINS9_11use_defaultEEEi11max_functorIiEiEEDaPvRmT3_T4_T5_mT6_P12ihipStream_tbENKUlT_T0_E_clISt17integral_constantIbLb1EESW_IbLb0EEEEDaSS_ST_EUlSS_E0_NS1_11comp_targetILNS1_3genE2ELNS1_11target_archE906ELNS1_3gpuE6ELNS1_3repE0EEENS1_30default_config_static_selectorELNS0_4arch9wavefront6targetE1EEEvT1_
    .private_segment_fixed_size: 0
    .sgpr_count:     4
    .sgpr_spill_count: 0
    .symbol:         _ZN7rocprim17ROCPRIM_400000_NS6detail17trampoline_kernelINS0_14default_configENS1_20scan_config_selectorIiEEZZNS1_9scan_implILNS1_25lookback_scan_determinismE0ELb0ELb0ES3_N6thrust23THRUST_200600_302600_NS6detail15normal_iteratorINS9_10device_ptrIiEEEENS9_16discard_iteratorINS9_11use_defaultEEEi11max_functorIiEiEEDaPvRmT3_T4_T5_mT6_P12ihipStream_tbENKUlT_T0_E_clISt17integral_constantIbLb1EESW_IbLb0EEEEDaSS_ST_EUlSS_E0_NS1_11comp_targetILNS1_3genE2ELNS1_11target_archE906ELNS1_3gpuE6ELNS1_3repE0EEENS1_30default_config_static_selectorELNS0_4arch9wavefront6targetE1EEEvT1_.kd
    .uniform_work_group_size: 1
    .uses_dynamic_stack: false
    .vgpr_count:     0
    .vgpr_spill_count: 0
    .wavefront_size: 64
  - .agpr_count:     0
    .args:
      - .offset:         0
        .size:           40
        .value_kind:     by_value
    .group_segment_fixed_size: 0
    .kernarg_segment_align: 8
    .kernarg_segment_size: 40
    .language:       OpenCL C
    .language_version:
      - 2
      - 0
    .max_flat_workgroup_size: 256
    .name:           _ZN7rocprim17ROCPRIM_400000_NS6detail17trampoline_kernelINS0_14default_configENS1_20scan_config_selectorIiEEZZNS1_9scan_implILNS1_25lookback_scan_determinismE0ELb0ELb0ES3_N6thrust23THRUST_200600_302600_NS6detail15normal_iteratorINS9_10device_ptrIiEEEENS9_16discard_iteratorINS9_11use_defaultEEEi11max_functorIiEiEEDaPvRmT3_T4_T5_mT6_P12ihipStream_tbENKUlT_T0_E_clISt17integral_constantIbLb1EESW_IbLb0EEEEDaSS_ST_EUlSS_E0_NS1_11comp_targetILNS1_3genE10ELNS1_11target_archE1201ELNS1_3gpuE5ELNS1_3repE0EEENS1_30default_config_static_selectorELNS0_4arch9wavefront6targetE1EEEvT1_
    .private_segment_fixed_size: 0
    .sgpr_count:     4
    .sgpr_spill_count: 0
    .symbol:         _ZN7rocprim17ROCPRIM_400000_NS6detail17trampoline_kernelINS0_14default_configENS1_20scan_config_selectorIiEEZZNS1_9scan_implILNS1_25lookback_scan_determinismE0ELb0ELb0ES3_N6thrust23THRUST_200600_302600_NS6detail15normal_iteratorINS9_10device_ptrIiEEEENS9_16discard_iteratorINS9_11use_defaultEEEi11max_functorIiEiEEDaPvRmT3_T4_T5_mT6_P12ihipStream_tbENKUlT_T0_E_clISt17integral_constantIbLb1EESW_IbLb0EEEEDaSS_ST_EUlSS_E0_NS1_11comp_targetILNS1_3genE10ELNS1_11target_archE1201ELNS1_3gpuE5ELNS1_3repE0EEENS1_30default_config_static_selectorELNS0_4arch9wavefront6targetE1EEEvT1_.kd
    .uniform_work_group_size: 1
    .uses_dynamic_stack: false
    .vgpr_count:     0
    .vgpr_spill_count: 0
    .wavefront_size: 64
  - .agpr_count:     0
    .args:
      - .offset:         0
        .size:           40
        .value_kind:     by_value
    .group_segment_fixed_size: 0
    .kernarg_segment_align: 8
    .kernarg_segment_size: 40
    .language:       OpenCL C
    .language_version:
      - 2
      - 0
    .max_flat_workgroup_size: 256
    .name:           _ZN7rocprim17ROCPRIM_400000_NS6detail17trampoline_kernelINS0_14default_configENS1_20scan_config_selectorIiEEZZNS1_9scan_implILNS1_25lookback_scan_determinismE0ELb0ELb0ES3_N6thrust23THRUST_200600_302600_NS6detail15normal_iteratorINS9_10device_ptrIiEEEENS9_16discard_iteratorINS9_11use_defaultEEEi11max_functorIiEiEEDaPvRmT3_T4_T5_mT6_P12ihipStream_tbENKUlT_T0_E_clISt17integral_constantIbLb1EESW_IbLb0EEEEDaSS_ST_EUlSS_E0_NS1_11comp_targetILNS1_3genE10ELNS1_11target_archE1200ELNS1_3gpuE4ELNS1_3repE0EEENS1_30default_config_static_selectorELNS0_4arch9wavefront6targetE1EEEvT1_
    .private_segment_fixed_size: 0
    .sgpr_count:     4
    .sgpr_spill_count: 0
    .symbol:         _ZN7rocprim17ROCPRIM_400000_NS6detail17trampoline_kernelINS0_14default_configENS1_20scan_config_selectorIiEEZZNS1_9scan_implILNS1_25lookback_scan_determinismE0ELb0ELb0ES3_N6thrust23THRUST_200600_302600_NS6detail15normal_iteratorINS9_10device_ptrIiEEEENS9_16discard_iteratorINS9_11use_defaultEEEi11max_functorIiEiEEDaPvRmT3_T4_T5_mT6_P12ihipStream_tbENKUlT_T0_E_clISt17integral_constantIbLb1EESW_IbLb0EEEEDaSS_ST_EUlSS_E0_NS1_11comp_targetILNS1_3genE10ELNS1_11target_archE1200ELNS1_3gpuE4ELNS1_3repE0EEENS1_30default_config_static_selectorELNS0_4arch9wavefront6targetE1EEEvT1_.kd
    .uniform_work_group_size: 1
    .uses_dynamic_stack: false
    .vgpr_count:     0
    .vgpr_spill_count: 0
    .wavefront_size: 64
  - .agpr_count:     0
    .args:
      - .offset:         0
        .size:           40
        .value_kind:     by_value
    .group_segment_fixed_size: 0
    .kernarg_segment_align: 8
    .kernarg_segment_size: 40
    .language:       OpenCL C
    .language_version:
      - 2
      - 0
    .max_flat_workgroup_size: 256
    .name:           _ZN7rocprim17ROCPRIM_400000_NS6detail17trampoline_kernelINS0_14default_configENS1_20scan_config_selectorIiEEZZNS1_9scan_implILNS1_25lookback_scan_determinismE0ELb0ELb0ES3_N6thrust23THRUST_200600_302600_NS6detail15normal_iteratorINS9_10device_ptrIiEEEENS9_16discard_iteratorINS9_11use_defaultEEEi11max_functorIiEiEEDaPvRmT3_T4_T5_mT6_P12ihipStream_tbENKUlT_T0_E_clISt17integral_constantIbLb1EESW_IbLb0EEEEDaSS_ST_EUlSS_E0_NS1_11comp_targetILNS1_3genE9ELNS1_11target_archE1100ELNS1_3gpuE3ELNS1_3repE0EEENS1_30default_config_static_selectorELNS0_4arch9wavefront6targetE1EEEvT1_
    .private_segment_fixed_size: 0
    .sgpr_count:     4
    .sgpr_spill_count: 0
    .symbol:         _ZN7rocprim17ROCPRIM_400000_NS6detail17trampoline_kernelINS0_14default_configENS1_20scan_config_selectorIiEEZZNS1_9scan_implILNS1_25lookback_scan_determinismE0ELb0ELb0ES3_N6thrust23THRUST_200600_302600_NS6detail15normal_iteratorINS9_10device_ptrIiEEEENS9_16discard_iteratorINS9_11use_defaultEEEi11max_functorIiEiEEDaPvRmT3_T4_T5_mT6_P12ihipStream_tbENKUlT_T0_E_clISt17integral_constantIbLb1EESW_IbLb0EEEEDaSS_ST_EUlSS_E0_NS1_11comp_targetILNS1_3genE9ELNS1_11target_archE1100ELNS1_3gpuE3ELNS1_3repE0EEENS1_30default_config_static_selectorELNS0_4arch9wavefront6targetE1EEEvT1_.kd
    .uniform_work_group_size: 1
    .uses_dynamic_stack: false
    .vgpr_count:     0
    .vgpr_spill_count: 0
    .wavefront_size: 64
  - .agpr_count:     0
    .args:
      - .offset:         0
        .size:           40
        .value_kind:     by_value
    .group_segment_fixed_size: 0
    .kernarg_segment_align: 8
    .kernarg_segment_size: 40
    .language:       OpenCL C
    .language_version:
      - 2
      - 0
    .max_flat_workgroup_size: 64
    .name:           _ZN7rocprim17ROCPRIM_400000_NS6detail17trampoline_kernelINS0_14default_configENS1_20scan_config_selectorIiEEZZNS1_9scan_implILNS1_25lookback_scan_determinismE0ELb0ELb0ES3_N6thrust23THRUST_200600_302600_NS6detail15normal_iteratorINS9_10device_ptrIiEEEENS9_16discard_iteratorINS9_11use_defaultEEEi11max_functorIiEiEEDaPvRmT3_T4_T5_mT6_P12ihipStream_tbENKUlT_T0_E_clISt17integral_constantIbLb1EESW_IbLb0EEEEDaSS_ST_EUlSS_E0_NS1_11comp_targetILNS1_3genE8ELNS1_11target_archE1030ELNS1_3gpuE2ELNS1_3repE0EEENS1_30default_config_static_selectorELNS0_4arch9wavefront6targetE1EEEvT1_
    .private_segment_fixed_size: 0
    .sgpr_count:     4
    .sgpr_spill_count: 0
    .symbol:         _ZN7rocprim17ROCPRIM_400000_NS6detail17trampoline_kernelINS0_14default_configENS1_20scan_config_selectorIiEEZZNS1_9scan_implILNS1_25lookback_scan_determinismE0ELb0ELb0ES3_N6thrust23THRUST_200600_302600_NS6detail15normal_iteratorINS9_10device_ptrIiEEEENS9_16discard_iteratorINS9_11use_defaultEEEi11max_functorIiEiEEDaPvRmT3_T4_T5_mT6_P12ihipStream_tbENKUlT_T0_E_clISt17integral_constantIbLb1EESW_IbLb0EEEEDaSS_ST_EUlSS_E0_NS1_11comp_targetILNS1_3genE8ELNS1_11target_archE1030ELNS1_3gpuE2ELNS1_3repE0EEENS1_30default_config_static_selectorELNS0_4arch9wavefront6targetE1EEEvT1_.kd
    .uniform_work_group_size: 1
    .uses_dynamic_stack: false
    .vgpr_count:     0
    .vgpr_spill_count: 0
    .wavefront_size: 64
  - .agpr_count:     0
    .args:
      - .offset:         0
        .size:           104
        .value_kind:     by_value
    .group_segment_fixed_size: 0
    .kernarg_segment_align: 8
    .kernarg_segment_size: 104
    .language:       OpenCL C
    .language_version:
      - 2
      - 0
    .max_flat_workgroup_size: 256
    .name:           _ZN7rocprim17ROCPRIM_400000_NS6detail17trampoline_kernelINS0_14default_configENS1_20scan_config_selectorIiEEZZNS1_9scan_implILNS1_25lookback_scan_determinismE0ELb0ELb0ES3_N6thrust23THRUST_200600_302600_NS6detail15normal_iteratorINS9_10device_ptrIiEEEENS9_16discard_iteratorINS9_11use_defaultEEEi11max_functorIiEiEEDaPvRmT3_T4_T5_mT6_P12ihipStream_tbENKUlT_T0_E_clISt17integral_constantIbLb0EESW_IbLb1EEEEDaSS_ST_EUlSS_E_NS1_11comp_targetILNS1_3genE0ELNS1_11target_archE4294967295ELNS1_3gpuE0ELNS1_3repE0EEENS1_30default_config_static_selectorELNS0_4arch9wavefront6targetE1EEEvT1_
    .private_segment_fixed_size: 0
    .sgpr_count:     4
    .sgpr_spill_count: 0
    .symbol:         _ZN7rocprim17ROCPRIM_400000_NS6detail17trampoline_kernelINS0_14default_configENS1_20scan_config_selectorIiEEZZNS1_9scan_implILNS1_25lookback_scan_determinismE0ELb0ELb0ES3_N6thrust23THRUST_200600_302600_NS6detail15normal_iteratorINS9_10device_ptrIiEEEENS9_16discard_iteratorINS9_11use_defaultEEEi11max_functorIiEiEEDaPvRmT3_T4_T5_mT6_P12ihipStream_tbENKUlT_T0_E_clISt17integral_constantIbLb0EESW_IbLb1EEEEDaSS_ST_EUlSS_E_NS1_11comp_targetILNS1_3genE0ELNS1_11target_archE4294967295ELNS1_3gpuE0ELNS1_3repE0EEENS1_30default_config_static_selectorELNS0_4arch9wavefront6targetE1EEEvT1_.kd
    .uniform_work_group_size: 1
    .uses_dynamic_stack: false
    .vgpr_count:     0
    .vgpr_spill_count: 0
    .wavefront_size: 64
  - .agpr_count:     0
    .args:
      - .offset:         0
        .size:           104
        .value_kind:     by_value
    .group_segment_fixed_size: 0
    .kernarg_segment_align: 8
    .kernarg_segment_size: 104
    .language:       OpenCL C
    .language_version:
      - 2
      - 0
    .max_flat_workgroup_size: 256
    .name:           _ZN7rocprim17ROCPRIM_400000_NS6detail17trampoline_kernelINS0_14default_configENS1_20scan_config_selectorIiEEZZNS1_9scan_implILNS1_25lookback_scan_determinismE0ELb0ELb0ES3_N6thrust23THRUST_200600_302600_NS6detail15normal_iteratorINS9_10device_ptrIiEEEENS9_16discard_iteratorINS9_11use_defaultEEEi11max_functorIiEiEEDaPvRmT3_T4_T5_mT6_P12ihipStream_tbENKUlT_T0_E_clISt17integral_constantIbLb0EESW_IbLb1EEEEDaSS_ST_EUlSS_E_NS1_11comp_targetILNS1_3genE5ELNS1_11target_archE942ELNS1_3gpuE9ELNS1_3repE0EEENS1_30default_config_static_selectorELNS0_4arch9wavefront6targetE1EEEvT1_
    .private_segment_fixed_size: 0
    .sgpr_count:     4
    .sgpr_spill_count: 0
    .symbol:         _ZN7rocprim17ROCPRIM_400000_NS6detail17trampoline_kernelINS0_14default_configENS1_20scan_config_selectorIiEEZZNS1_9scan_implILNS1_25lookback_scan_determinismE0ELb0ELb0ES3_N6thrust23THRUST_200600_302600_NS6detail15normal_iteratorINS9_10device_ptrIiEEEENS9_16discard_iteratorINS9_11use_defaultEEEi11max_functorIiEiEEDaPvRmT3_T4_T5_mT6_P12ihipStream_tbENKUlT_T0_E_clISt17integral_constantIbLb0EESW_IbLb1EEEEDaSS_ST_EUlSS_E_NS1_11comp_targetILNS1_3genE5ELNS1_11target_archE942ELNS1_3gpuE9ELNS1_3repE0EEENS1_30default_config_static_selectorELNS0_4arch9wavefront6targetE1EEEvT1_.kd
    .uniform_work_group_size: 1
    .uses_dynamic_stack: false
    .vgpr_count:     0
    .vgpr_spill_count: 0
    .wavefront_size: 64
  - .agpr_count:     0
    .args:
      - .offset:         0
        .size:           104
        .value_kind:     by_value
    .group_segment_fixed_size: 5120
    .kernarg_segment_align: 8
    .kernarg_segment_size: 104
    .language:       OpenCL C
    .language_version:
      - 2
      - 0
    .max_flat_workgroup_size: 128
    .name:           _ZN7rocprim17ROCPRIM_400000_NS6detail17trampoline_kernelINS0_14default_configENS1_20scan_config_selectorIiEEZZNS1_9scan_implILNS1_25lookback_scan_determinismE0ELb0ELb0ES3_N6thrust23THRUST_200600_302600_NS6detail15normal_iteratorINS9_10device_ptrIiEEEENS9_16discard_iteratorINS9_11use_defaultEEEi11max_functorIiEiEEDaPvRmT3_T4_T5_mT6_P12ihipStream_tbENKUlT_T0_E_clISt17integral_constantIbLb0EESW_IbLb1EEEEDaSS_ST_EUlSS_E_NS1_11comp_targetILNS1_3genE4ELNS1_11target_archE910ELNS1_3gpuE8ELNS1_3repE0EEENS1_30default_config_static_selectorELNS0_4arch9wavefront6targetE1EEEvT1_
    .private_segment_fixed_size: 0
    .sgpr_count:     34
    .sgpr_spill_count: 0
    .symbol:         _ZN7rocprim17ROCPRIM_400000_NS6detail17trampoline_kernelINS0_14default_configENS1_20scan_config_selectorIiEEZZNS1_9scan_implILNS1_25lookback_scan_determinismE0ELb0ELb0ES3_N6thrust23THRUST_200600_302600_NS6detail15normal_iteratorINS9_10device_ptrIiEEEENS9_16discard_iteratorINS9_11use_defaultEEEi11max_functorIiEiEEDaPvRmT3_T4_T5_mT6_P12ihipStream_tbENKUlT_T0_E_clISt17integral_constantIbLb0EESW_IbLb1EEEEDaSS_ST_EUlSS_E_NS1_11comp_targetILNS1_3genE4ELNS1_11target_archE910ELNS1_3gpuE8ELNS1_3repE0EEENS1_30default_config_static_selectorELNS0_4arch9wavefront6targetE1EEEvT1_.kd
    .uniform_work_group_size: 1
    .uses_dynamic_stack: false
    .vgpr_count:     39
    .vgpr_spill_count: 0
    .wavefront_size: 64
  - .agpr_count:     0
    .args:
      - .offset:         0
        .size:           104
        .value_kind:     by_value
    .group_segment_fixed_size: 0
    .kernarg_segment_align: 8
    .kernarg_segment_size: 104
    .language:       OpenCL C
    .language_version:
      - 2
      - 0
    .max_flat_workgroup_size: 256
    .name:           _ZN7rocprim17ROCPRIM_400000_NS6detail17trampoline_kernelINS0_14default_configENS1_20scan_config_selectorIiEEZZNS1_9scan_implILNS1_25lookback_scan_determinismE0ELb0ELb0ES3_N6thrust23THRUST_200600_302600_NS6detail15normal_iteratorINS9_10device_ptrIiEEEENS9_16discard_iteratorINS9_11use_defaultEEEi11max_functorIiEiEEDaPvRmT3_T4_T5_mT6_P12ihipStream_tbENKUlT_T0_E_clISt17integral_constantIbLb0EESW_IbLb1EEEEDaSS_ST_EUlSS_E_NS1_11comp_targetILNS1_3genE3ELNS1_11target_archE908ELNS1_3gpuE7ELNS1_3repE0EEENS1_30default_config_static_selectorELNS0_4arch9wavefront6targetE1EEEvT1_
    .private_segment_fixed_size: 0
    .sgpr_count:     4
    .sgpr_spill_count: 0
    .symbol:         _ZN7rocprim17ROCPRIM_400000_NS6detail17trampoline_kernelINS0_14default_configENS1_20scan_config_selectorIiEEZZNS1_9scan_implILNS1_25lookback_scan_determinismE0ELb0ELb0ES3_N6thrust23THRUST_200600_302600_NS6detail15normal_iteratorINS9_10device_ptrIiEEEENS9_16discard_iteratorINS9_11use_defaultEEEi11max_functorIiEiEEDaPvRmT3_T4_T5_mT6_P12ihipStream_tbENKUlT_T0_E_clISt17integral_constantIbLb0EESW_IbLb1EEEEDaSS_ST_EUlSS_E_NS1_11comp_targetILNS1_3genE3ELNS1_11target_archE908ELNS1_3gpuE7ELNS1_3repE0EEENS1_30default_config_static_selectorELNS0_4arch9wavefront6targetE1EEEvT1_.kd
    .uniform_work_group_size: 1
    .uses_dynamic_stack: false
    .vgpr_count:     0
    .vgpr_spill_count: 0
    .wavefront_size: 64
  - .agpr_count:     0
    .args:
      - .offset:         0
        .size:           104
        .value_kind:     by_value
    .group_segment_fixed_size: 0
    .kernarg_segment_align: 8
    .kernarg_segment_size: 104
    .language:       OpenCL C
    .language_version:
      - 2
      - 0
    .max_flat_workgroup_size: 256
    .name:           _ZN7rocprim17ROCPRIM_400000_NS6detail17trampoline_kernelINS0_14default_configENS1_20scan_config_selectorIiEEZZNS1_9scan_implILNS1_25lookback_scan_determinismE0ELb0ELb0ES3_N6thrust23THRUST_200600_302600_NS6detail15normal_iteratorINS9_10device_ptrIiEEEENS9_16discard_iteratorINS9_11use_defaultEEEi11max_functorIiEiEEDaPvRmT3_T4_T5_mT6_P12ihipStream_tbENKUlT_T0_E_clISt17integral_constantIbLb0EESW_IbLb1EEEEDaSS_ST_EUlSS_E_NS1_11comp_targetILNS1_3genE2ELNS1_11target_archE906ELNS1_3gpuE6ELNS1_3repE0EEENS1_30default_config_static_selectorELNS0_4arch9wavefront6targetE1EEEvT1_
    .private_segment_fixed_size: 0
    .sgpr_count:     4
    .sgpr_spill_count: 0
    .symbol:         _ZN7rocprim17ROCPRIM_400000_NS6detail17trampoline_kernelINS0_14default_configENS1_20scan_config_selectorIiEEZZNS1_9scan_implILNS1_25lookback_scan_determinismE0ELb0ELb0ES3_N6thrust23THRUST_200600_302600_NS6detail15normal_iteratorINS9_10device_ptrIiEEEENS9_16discard_iteratorINS9_11use_defaultEEEi11max_functorIiEiEEDaPvRmT3_T4_T5_mT6_P12ihipStream_tbENKUlT_T0_E_clISt17integral_constantIbLb0EESW_IbLb1EEEEDaSS_ST_EUlSS_E_NS1_11comp_targetILNS1_3genE2ELNS1_11target_archE906ELNS1_3gpuE6ELNS1_3repE0EEENS1_30default_config_static_selectorELNS0_4arch9wavefront6targetE1EEEvT1_.kd
    .uniform_work_group_size: 1
    .uses_dynamic_stack: false
    .vgpr_count:     0
    .vgpr_spill_count: 0
    .wavefront_size: 64
  - .agpr_count:     0
    .args:
      - .offset:         0
        .size:           104
        .value_kind:     by_value
    .group_segment_fixed_size: 0
    .kernarg_segment_align: 8
    .kernarg_segment_size: 104
    .language:       OpenCL C
    .language_version:
      - 2
      - 0
    .max_flat_workgroup_size: 256
    .name:           _ZN7rocprim17ROCPRIM_400000_NS6detail17trampoline_kernelINS0_14default_configENS1_20scan_config_selectorIiEEZZNS1_9scan_implILNS1_25lookback_scan_determinismE0ELb0ELb0ES3_N6thrust23THRUST_200600_302600_NS6detail15normal_iteratorINS9_10device_ptrIiEEEENS9_16discard_iteratorINS9_11use_defaultEEEi11max_functorIiEiEEDaPvRmT3_T4_T5_mT6_P12ihipStream_tbENKUlT_T0_E_clISt17integral_constantIbLb0EESW_IbLb1EEEEDaSS_ST_EUlSS_E_NS1_11comp_targetILNS1_3genE10ELNS1_11target_archE1201ELNS1_3gpuE5ELNS1_3repE0EEENS1_30default_config_static_selectorELNS0_4arch9wavefront6targetE1EEEvT1_
    .private_segment_fixed_size: 0
    .sgpr_count:     4
    .sgpr_spill_count: 0
    .symbol:         _ZN7rocprim17ROCPRIM_400000_NS6detail17trampoline_kernelINS0_14default_configENS1_20scan_config_selectorIiEEZZNS1_9scan_implILNS1_25lookback_scan_determinismE0ELb0ELb0ES3_N6thrust23THRUST_200600_302600_NS6detail15normal_iteratorINS9_10device_ptrIiEEEENS9_16discard_iteratorINS9_11use_defaultEEEi11max_functorIiEiEEDaPvRmT3_T4_T5_mT6_P12ihipStream_tbENKUlT_T0_E_clISt17integral_constantIbLb0EESW_IbLb1EEEEDaSS_ST_EUlSS_E_NS1_11comp_targetILNS1_3genE10ELNS1_11target_archE1201ELNS1_3gpuE5ELNS1_3repE0EEENS1_30default_config_static_selectorELNS0_4arch9wavefront6targetE1EEEvT1_.kd
    .uniform_work_group_size: 1
    .uses_dynamic_stack: false
    .vgpr_count:     0
    .vgpr_spill_count: 0
    .wavefront_size: 64
  - .agpr_count:     0
    .args:
      - .offset:         0
        .size:           104
        .value_kind:     by_value
    .group_segment_fixed_size: 0
    .kernarg_segment_align: 8
    .kernarg_segment_size: 104
    .language:       OpenCL C
    .language_version:
      - 2
      - 0
    .max_flat_workgroup_size: 256
    .name:           _ZN7rocprim17ROCPRIM_400000_NS6detail17trampoline_kernelINS0_14default_configENS1_20scan_config_selectorIiEEZZNS1_9scan_implILNS1_25lookback_scan_determinismE0ELb0ELb0ES3_N6thrust23THRUST_200600_302600_NS6detail15normal_iteratorINS9_10device_ptrIiEEEENS9_16discard_iteratorINS9_11use_defaultEEEi11max_functorIiEiEEDaPvRmT3_T4_T5_mT6_P12ihipStream_tbENKUlT_T0_E_clISt17integral_constantIbLb0EESW_IbLb1EEEEDaSS_ST_EUlSS_E_NS1_11comp_targetILNS1_3genE10ELNS1_11target_archE1200ELNS1_3gpuE4ELNS1_3repE0EEENS1_30default_config_static_selectorELNS0_4arch9wavefront6targetE1EEEvT1_
    .private_segment_fixed_size: 0
    .sgpr_count:     4
    .sgpr_spill_count: 0
    .symbol:         _ZN7rocprim17ROCPRIM_400000_NS6detail17trampoline_kernelINS0_14default_configENS1_20scan_config_selectorIiEEZZNS1_9scan_implILNS1_25lookback_scan_determinismE0ELb0ELb0ES3_N6thrust23THRUST_200600_302600_NS6detail15normal_iteratorINS9_10device_ptrIiEEEENS9_16discard_iteratorINS9_11use_defaultEEEi11max_functorIiEiEEDaPvRmT3_T4_T5_mT6_P12ihipStream_tbENKUlT_T0_E_clISt17integral_constantIbLb0EESW_IbLb1EEEEDaSS_ST_EUlSS_E_NS1_11comp_targetILNS1_3genE10ELNS1_11target_archE1200ELNS1_3gpuE4ELNS1_3repE0EEENS1_30default_config_static_selectorELNS0_4arch9wavefront6targetE1EEEvT1_.kd
    .uniform_work_group_size: 1
    .uses_dynamic_stack: false
    .vgpr_count:     0
    .vgpr_spill_count: 0
    .wavefront_size: 64
  - .agpr_count:     0
    .args:
      - .offset:         0
        .size:           104
        .value_kind:     by_value
    .group_segment_fixed_size: 0
    .kernarg_segment_align: 8
    .kernarg_segment_size: 104
    .language:       OpenCL C
    .language_version:
      - 2
      - 0
    .max_flat_workgroup_size: 256
    .name:           _ZN7rocprim17ROCPRIM_400000_NS6detail17trampoline_kernelINS0_14default_configENS1_20scan_config_selectorIiEEZZNS1_9scan_implILNS1_25lookback_scan_determinismE0ELb0ELb0ES3_N6thrust23THRUST_200600_302600_NS6detail15normal_iteratorINS9_10device_ptrIiEEEENS9_16discard_iteratorINS9_11use_defaultEEEi11max_functorIiEiEEDaPvRmT3_T4_T5_mT6_P12ihipStream_tbENKUlT_T0_E_clISt17integral_constantIbLb0EESW_IbLb1EEEEDaSS_ST_EUlSS_E_NS1_11comp_targetILNS1_3genE9ELNS1_11target_archE1100ELNS1_3gpuE3ELNS1_3repE0EEENS1_30default_config_static_selectorELNS0_4arch9wavefront6targetE1EEEvT1_
    .private_segment_fixed_size: 0
    .sgpr_count:     4
    .sgpr_spill_count: 0
    .symbol:         _ZN7rocprim17ROCPRIM_400000_NS6detail17trampoline_kernelINS0_14default_configENS1_20scan_config_selectorIiEEZZNS1_9scan_implILNS1_25lookback_scan_determinismE0ELb0ELb0ES3_N6thrust23THRUST_200600_302600_NS6detail15normal_iteratorINS9_10device_ptrIiEEEENS9_16discard_iteratorINS9_11use_defaultEEEi11max_functorIiEiEEDaPvRmT3_T4_T5_mT6_P12ihipStream_tbENKUlT_T0_E_clISt17integral_constantIbLb0EESW_IbLb1EEEEDaSS_ST_EUlSS_E_NS1_11comp_targetILNS1_3genE9ELNS1_11target_archE1100ELNS1_3gpuE3ELNS1_3repE0EEENS1_30default_config_static_selectorELNS0_4arch9wavefront6targetE1EEEvT1_.kd
    .uniform_work_group_size: 1
    .uses_dynamic_stack: false
    .vgpr_count:     0
    .vgpr_spill_count: 0
    .wavefront_size: 64
  - .agpr_count:     0
    .args:
      - .offset:         0
        .size:           104
        .value_kind:     by_value
    .group_segment_fixed_size: 0
    .kernarg_segment_align: 8
    .kernarg_segment_size: 104
    .language:       OpenCL C
    .language_version:
      - 2
      - 0
    .max_flat_workgroup_size: 64
    .name:           _ZN7rocprim17ROCPRIM_400000_NS6detail17trampoline_kernelINS0_14default_configENS1_20scan_config_selectorIiEEZZNS1_9scan_implILNS1_25lookback_scan_determinismE0ELb0ELb0ES3_N6thrust23THRUST_200600_302600_NS6detail15normal_iteratorINS9_10device_ptrIiEEEENS9_16discard_iteratorINS9_11use_defaultEEEi11max_functorIiEiEEDaPvRmT3_T4_T5_mT6_P12ihipStream_tbENKUlT_T0_E_clISt17integral_constantIbLb0EESW_IbLb1EEEEDaSS_ST_EUlSS_E_NS1_11comp_targetILNS1_3genE8ELNS1_11target_archE1030ELNS1_3gpuE2ELNS1_3repE0EEENS1_30default_config_static_selectorELNS0_4arch9wavefront6targetE1EEEvT1_
    .private_segment_fixed_size: 0
    .sgpr_count:     4
    .sgpr_spill_count: 0
    .symbol:         _ZN7rocprim17ROCPRIM_400000_NS6detail17trampoline_kernelINS0_14default_configENS1_20scan_config_selectorIiEEZZNS1_9scan_implILNS1_25lookback_scan_determinismE0ELb0ELb0ES3_N6thrust23THRUST_200600_302600_NS6detail15normal_iteratorINS9_10device_ptrIiEEEENS9_16discard_iteratorINS9_11use_defaultEEEi11max_functorIiEiEEDaPvRmT3_T4_T5_mT6_P12ihipStream_tbENKUlT_T0_E_clISt17integral_constantIbLb0EESW_IbLb1EEEEDaSS_ST_EUlSS_E_NS1_11comp_targetILNS1_3genE8ELNS1_11target_archE1030ELNS1_3gpuE2ELNS1_3repE0EEENS1_30default_config_static_selectorELNS0_4arch9wavefront6targetE1EEEvT1_.kd
    .uniform_work_group_size: 1
    .uses_dynamic_stack: false
    .vgpr_count:     0
    .vgpr_spill_count: 0
    .wavefront_size: 64
  - .agpr_count:     0
    .args:
      - .offset:         0
        .size:           40
        .value_kind:     by_value
    .group_segment_fixed_size: 0
    .kernarg_segment_align: 8
    .kernarg_segment_size: 40
    .language:       OpenCL C
    .language_version:
      - 2
      - 0
    .max_flat_workgroup_size: 256
    .name:           _ZN7rocprim17ROCPRIM_400000_NS6detail17trampoline_kernelINS0_14default_configENS1_20scan_config_selectorIiEEZZNS1_9scan_implILNS1_25lookback_scan_determinismE0ELb0ELb0ES3_N6thrust23THRUST_200600_302600_NS6detail15normal_iteratorINS9_10device_ptrIiEEEENS9_16discard_iteratorINS9_11use_defaultEEEi11max_functorIiEiEEDaPvRmT3_T4_T5_mT6_P12ihipStream_tbENKUlT_T0_E_clISt17integral_constantIbLb0EESW_IbLb1EEEEDaSS_ST_EUlSS_E0_NS1_11comp_targetILNS1_3genE0ELNS1_11target_archE4294967295ELNS1_3gpuE0ELNS1_3repE0EEENS1_30default_config_static_selectorELNS0_4arch9wavefront6targetE1EEEvT1_
    .private_segment_fixed_size: 0
    .sgpr_count:     4
    .sgpr_spill_count: 0
    .symbol:         _ZN7rocprim17ROCPRIM_400000_NS6detail17trampoline_kernelINS0_14default_configENS1_20scan_config_selectorIiEEZZNS1_9scan_implILNS1_25lookback_scan_determinismE0ELb0ELb0ES3_N6thrust23THRUST_200600_302600_NS6detail15normal_iteratorINS9_10device_ptrIiEEEENS9_16discard_iteratorINS9_11use_defaultEEEi11max_functorIiEiEEDaPvRmT3_T4_T5_mT6_P12ihipStream_tbENKUlT_T0_E_clISt17integral_constantIbLb0EESW_IbLb1EEEEDaSS_ST_EUlSS_E0_NS1_11comp_targetILNS1_3genE0ELNS1_11target_archE4294967295ELNS1_3gpuE0ELNS1_3repE0EEENS1_30default_config_static_selectorELNS0_4arch9wavefront6targetE1EEEvT1_.kd
    .uniform_work_group_size: 1
    .uses_dynamic_stack: false
    .vgpr_count:     0
    .vgpr_spill_count: 0
    .wavefront_size: 64
  - .agpr_count:     0
    .args:
      - .offset:         0
        .size:           40
        .value_kind:     by_value
    .group_segment_fixed_size: 0
    .kernarg_segment_align: 8
    .kernarg_segment_size: 40
    .language:       OpenCL C
    .language_version:
      - 2
      - 0
    .max_flat_workgroup_size: 256
    .name:           _ZN7rocprim17ROCPRIM_400000_NS6detail17trampoline_kernelINS0_14default_configENS1_20scan_config_selectorIiEEZZNS1_9scan_implILNS1_25lookback_scan_determinismE0ELb0ELb0ES3_N6thrust23THRUST_200600_302600_NS6detail15normal_iteratorINS9_10device_ptrIiEEEENS9_16discard_iteratorINS9_11use_defaultEEEi11max_functorIiEiEEDaPvRmT3_T4_T5_mT6_P12ihipStream_tbENKUlT_T0_E_clISt17integral_constantIbLb0EESW_IbLb1EEEEDaSS_ST_EUlSS_E0_NS1_11comp_targetILNS1_3genE5ELNS1_11target_archE942ELNS1_3gpuE9ELNS1_3repE0EEENS1_30default_config_static_selectorELNS0_4arch9wavefront6targetE1EEEvT1_
    .private_segment_fixed_size: 0
    .sgpr_count:     4
    .sgpr_spill_count: 0
    .symbol:         _ZN7rocprim17ROCPRIM_400000_NS6detail17trampoline_kernelINS0_14default_configENS1_20scan_config_selectorIiEEZZNS1_9scan_implILNS1_25lookback_scan_determinismE0ELb0ELb0ES3_N6thrust23THRUST_200600_302600_NS6detail15normal_iteratorINS9_10device_ptrIiEEEENS9_16discard_iteratorINS9_11use_defaultEEEi11max_functorIiEiEEDaPvRmT3_T4_T5_mT6_P12ihipStream_tbENKUlT_T0_E_clISt17integral_constantIbLb0EESW_IbLb1EEEEDaSS_ST_EUlSS_E0_NS1_11comp_targetILNS1_3genE5ELNS1_11target_archE942ELNS1_3gpuE9ELNS1_3repE0EEENS1_30default_config_static_selectorELNS0_4arch9wavefront6targetE1EEEvT1_.kd
    .uniform_work_group_size: 1
    .uses_dynamic_stack: false
    .vgpr_count:     0
    .vgpr_spill_count: 0
    .wavefront_size: 64
  - .agpr_count:     0
    .args:
      - .offset:         0
        .size:           40
        .value_kind:     by_value
    .group_segment_fixed_size: 5120
    .kernarg_segment_align: 8
    .kernarg_segment_size: 40
    .language:       OpenCL C
    .language_version:
      - 2
      - 0
    .max_flat_workgroup_size: 128
    .name:           _ZN7rocprim17ROCPRIM_400000_NS6detail17trampoline_kernelINS0_14default_configENS1_20scan_config_selectorIiEEZZNS1_9scan_implILNS1_25lookback_scan_determinismE0ELb0ELb0ES3_N6thrust23THRUST_200600_302600_NS6detail15normal_iteratorINS9_10device_ptrIiEEEENS9_16discard_iteratorINS9_11use_defaultEEEi11max_functorIiEiEEDaPvRmT3_T4_T5_mT6_P12ihipStream_tbENKUlT_T0_E_clISt17integral_constantIbLb0EESW_IbLb1EEEEDaSS_ST_EUlSS_E0_NS1_11comp_targetILNS1_3genE4ELNS1_11target_archE910ELNS1_3gpuE8ELNS1_3repE0EEENS1_30default_config_static_selectorELNS0_4arch9wavefront6targetE1EEEvT1_
    .private_segment_fixed_size: 0
    .sgpr_count:     10
    .sgpr_spill_count: 0
    .symbol:         _ZN7rocprim17ROCPRIM_400000_NS6detail17trampoline_kernelINS0_14default_configENS1_20scan_config_selectorIiEEZZNS1_9scan_implILNS1_25lookback_scan_determinismE0ELb0ELb0ES3_N6thrust23THRUST_200600_302600_NS6detail15normal_iteratorINS9_10device_ptrIiEEEENS9_16discard_iteratorINS9_11use_defaultEEEi11max_functorIiEiEEDaPvRmT3_T4_T5_mT6_P12ihipStream_tbENKUlT_T0_E_clISt17integral_constantIbLb0EESW_IbLb1EEEEDaSS_ST_EUlSS_E0_NS1_11comp_targetILNS1_3genE4ELNS1_11target_archE910ELNS1_3gpuE8ELNS1_3repE0EEENS1_30default_config_static_selectorELNS0_4arch9wavefront6targetE1EEEvT1_.kd
    .uniform_work_group_size: 1
    .uses_dynamic_stack: false
    .vgpr_count:     27
    .vgpr_spill_count: 0
    .wavefront_size: 64
  - .agpr_count:     0
    .args:
      - .offset:         0
        .size:           40
        .value_kind:     by_value
    .group_segment_fixed_size: 0
    .kernarg_segment_align: 8
    .kernarg_segment_size: 40
    .language:       OpenCL C
    .language_version:
      - 2
      - 0
    .max_flat_workgroup_size: 256
    .name:           _ZN7rocprim17ROCPRIM_400000_NS6detail17trampoline_kernelINS0_14default_configENS1_20scan_config_selectorIiEEZZNS1_9scan_implILNS1_25lookback_scan_determinismE0ELb0ELb0ES3_N6thrust23THRUST_200600_302600_NS6detail15normal_iteratorINS9_10device_ptrIiEEEENS9_16discard_iteratorINS9_11use_defaultEEEi11max_functorIiEiEEDaPvRmT3_T4_T5_mT6_P12ihipStream_tbENKUlT_T0_E_clISt17integral_constantIbLb0EESW_IbLb1EEEEDaSS_ST_EUlSS_E0_NS1_11comp_targetILNS1_3genE3ELNS1_11target_archE908ELNS1_3gpuE7ELNS1_3repE0EEENS1_30default_config_static_selectorELNS0_4arch9wavefront6targetE1EEEvT1_
    .private_segment_fixed_size: 0
    .sgpr_count:     4
    .sgpr_spill_count: 0
    .symbol:         _ZN7rocprim17ROCPRIM_400000_NS6detail17trampoline_kernelINS0_14default_configENS1_20scan_config_selectorIiEEZZNS1_9scan_implILNS1_25lookback_scan_determinismE0ELb0ELb0ES3_N6thrust23THRUST_200600_302600_NS6detail15normal_iteratorINS9_10device_ptrIiEEEENS9_16discard_iteratorINS9_11use_defaultEEEi11max_functorIiEiEEDaPvRmT3_T4_T5_mT6_P12ihipStream_tbENKUlT_T0_E_clISt17integral_constantIbLb0EESW_IbLb1EEEEDaSS_ST_EUlSS_E0_NS1_11comp_targetILNS1_3genE3ELNS1_11target_archE908ELNS1_3gpuE7ELNS1_3repE0EEENS1_30default_config_static_selectorELNS0_4arch9wavefront6targetE1EEEvT1_.kd
    .uniform_work_group_size: 1
    .uses_dynamic_stack: false
    .vgpr_count:     0
    .vgpr_spill_count: 0
    .wavefront_size: 64
  - .agpr_count:     0
    .args:
      - .offset:         0
        .size:           40
        .value_kind:     by_value
    .group_segment_fixed_size: 0
    .kernarg_segment_align: 8
    .kernarg_segment_size: 40
    .language:       OpenCL C
    .language_version:
      - 2
      - 0
    .max_flat_workgroup_size: 256
    .name:           _ZN7rocprim17ROCPRIM_400000_NS6detail17trampoline_kernelINS0_14default_configENS1_20scan_config_selectorIiEEZZNS1_9scan_implILNS1_25lookback_scan_determinismE0ELb0ELb0ES3_N6thrust23THRUST_200600_302600_NS6detail15normal_iteratorINS9_10device_ptrIiEEEENS9_16discard_iteratorINS9_11use_defaultEEEi11max_functorIiEiEEDaPvRmT3_T4_T5_mT6_P12ihipStream_tbENKUlT_T0_E_clISt17integral_constantIbLb0EESW_IbLb1EEEEDaSS_ST_EUlSS_E0_NS1_11comp_targetILNS1_3genE2ELNS1_11target_archE906ELNS1_3gpuE6ELNS1_3repE0EEENS1_30default_config_static_selectorELNS0_4arch9wavefront6targetE1EEEvT1_
    .private_segment_fixed_size: 0
    .sgpr_count:     4
    .sgpr_spill_count: 0
    .symbol:         _ZN7rocprim17ROCPRIM_400000_NS6detail17trampoline_kernelINS0_14default_configENS1_20scan_config_selectorIiEEZZNS1_9scan_implILNS1_25lookback_scan_determinismE0ELb0ELb0ES3_N6thrust23THRUST_200600_302600_NS6detail15normal_iteratorINS9_10device_ptrIiEEEENS9_16discard_iteratorINS9_11use_defaultEEEi11max_functorIiEiEEDaPvRmT3_T4_T5_mT6_P12ihipStream_tbENKUlT_T0_E_clISt17integral_constantIbLb0EESW_IbLb1EEEEDaSS_ST_EUlSS_E0_NS1_11comp_targetILNS1_3genE2ELNS1_11target_archE906ELNS1_3gpuE6ELNS1_3repE0EEENS1_30default_config_static_selectorELNS0_4arch9wavefront6targetE1EEEvT1_.kd
    .uniform_work_group_size: 1
    .uses_dynamic_stack: false
    .vgpr_count:     0
    .vgpr_spill_count: 0
    .wavefront_size: 64
  - .agpr_count:     0
    .args:
      - .offset:         0
        .size:           40
        .value_kind:     by_value
    .group_segment_fixed_size: 0
    .kernarg_segment_align: 8
    .kernarg_segment_size: 40
    .language:       OpenCL C
    .language_version:
      - 2
      - 0
    .max_flat_workgroup_size: 256
    .name:           _ZN7rocprim17ROCPRIM_400000_NS6detail17trampoline_kernelINS0_14default_configENS1_20scan_config_selectorIiEEZZNS1_9scan_implILNS1_25lookback_scan_determinismE0ELb0ELb0ES3_N6thrust23THRUST_200600_302600_NS6detail15normal_iteratorINS9_10device_ptrIiEEEENS9_16discard_iteratorINS9_11use_defaultEEEi11max_functorIiEiEEDaPvRmT3_T4_T5_mT6_P12ihipStream_tbENKUlT_T0_E_clISt17integral_constantIbLb0EESW_IbLb1EEEEDaSS_ST_EUlSS_E0_NS1_11comp_targetILNS1_3genE10ELNS1_11target_archE1201ELNS1_3gpuE5ELNS1_3repE0EEENS1_30default_config_static_selectorELNS0_4arch9wavefront6targetE1EEEvT1_
    .private_segment_fixed_size: 0
    .sgpr_count:     4
    .sgpr_spill_count: 0
    .symbol:         _ZN7rocprim17ROCPRIM_400000_NS6detail17trampoline_kernelINS0_14default_configENS1_20scan_config_selectorIiEEZZNS1_9scan_implILNS1_25lookback_scan_determinismE0ELb0ELb0ES3_N6thrust23THRUST_200600_302600_NS6detail15normal_iteratorINS9_10device_ptrIiEEEENS9_16discard_iteratorINS9_11use_defaultEEEi11max_functorIiEiEEDaPvRmT3_T4_T5_mT6_P12ihipStream_tbENKUlT_T0_E_clISt17integral_constantIbLb0EESW_IbLb1EEEEDaSS_ST_EUlSS_E0_NS1_11comp_targetILNS1_3genE10ELNS1_11target_archE1201ELNS1_3gpuE5ELNS1_3repE0EEENS1_30default_config_static_selectorELNS0_4arch9wavefront6targetE1EEEvT1_.kd
    .uniform_work_group_size: 1
    .uses_dynamic_stack: false
    .vgpr_count:     0
    .vgpr_spill_count: 0
    .wavefront_size: 64
  - .agpr_count:     0
    .args:
      - .offset:         0
        .size:           40
        .value_kind:     by_value
    .group_segment_fixed_size: 0
    .kernarg_segment_align: 8
    .kernarg_segment_size: 40
    .language:       OpenCL C
    .language_version:
      - 2
      - 0
    .max_flat_workgroup_size: 256
    .name:           _ZN7rocprim17ROCPRIM_400000_NS6detail17trampoline_kernelINS0_14default_configENS1_20scan_config_selectorIiEEZZNS1_9scan_implILNS1_25lookback_scan_determinismE0ELb0ELb0ES3_N6thrust23THRUST_200600_302600_NS6detail15normal_iteratorINS9_10device_ptrIiEEEENS9_16discard_iteratorINS9_11use_defaultEEEi11max_functorIiEiEEDaPvRmT3_T4_T5_mT6_P12ihipStream_tbENKUlT_T0_E_clISt17integral_constantIbLb0EESW_IbLb1EEEEDaSS_ST_EUlSS_E0_NS1_11comp_targetILNS1_3genE10ELNS1_11target_archE1200ELNS1_3gpuE4ELNS1_3repE0EEENS1_30default_config_static_selectorELNS0_4arch9wavefront6targetE1EEEvT1_
    .private_segment_fixed_size: 0
    .sgpr_count:     4
    .sgpr_spill_count: 0
    .symbol:         _ZN7rocprim17ROCPRIM_400000_NS6detail17trampoline_kernelINS0_14default_configENS1_20scan_config_selectorIiEEZZNS1_9scan_implILNS1_25lookback_scan_determinismE0ELb0ELb0ES3_N6thrust23THRUST_200600_302600_NS6detail15normal_iteratorINS9_10device_ptrIiEEEENS9_16discard_iteratorINS9_11use_defaultEEEi11max_functorIiEiEEDaPvRmT3_T4_T5_mT6_P12ihipStream_tbENKUlT_T0_E_clISt17integral_constantIbLb0EESW_IbLb1EEEEDaSS_ST_EUlSS_E0_NS1_11comp_targetILNS1_3genE10ELNS1_11target_archE1200ELNS1_3gpuE4ELNS1_3repE0EEENS1_30default_config_static_selectorELNS0_4arch9wavefront6targetE1EEEvT1_.kd
    .uniform_work_group_size: 1
    .uses_dynamic_stack: false
    .vgpr_count:     0
    .vgpr_spill_count: 0
    .wavefront_size: 64
  - .agpr_count:     0
    .args:
      - .offset:         0
        .size:           40
        .value_kind:     by_value
    .group_segment_fixed_size: 0
    .kernarg_segment_align: 8
    .kernarg_segment_size: 40
    .language:       OpenCL C
    .language_version:
      - 2
      - 0
    .max_flat_workgroup_size: 256
    .name:           _ZN7rocprim17ROCPRIM_400000_NS6detail17trampoline_kernelINS0_14default_configENS1_20scan_config_selectorIiEEZZNS1_9scan_implILNS1_25lookback_scan_determinismE0ELb0ELb0ES3_N6thrust23THRUST_200600_302600_NS6detail15normal_iteratorINS9_10device_ptrIiEEEENS9_16discard_iteratorINS9_11use_defaultEEEi11max_functorIiEiEEDaPvRmT3_T4_T5_mT6_P12ihipStream_tbENKUlT_T0_E_clISt17integral_constantIbLb0EESW_IbLb1EEEEDaSS_ST_EUlSS_E0_NS1_11comp_targetILNS1_3genE9ELNS1_11target_archE1100ELNS1_3gpuE3ELNS1_3repE0EEENS1_30default_config_static_selectorELNS0_4arch9wavefront6targetE1EEEvT1_
    .private_segment_fixed_size: 0
    .sgpr_count:     4
    .sgpr_spill_count: 0
    .symbol:         _ZN7rocprim17ROCPRIM_400000_NS6detail17trampoline_kernelINS0_14default_configENS1_20scan_config_selectorIiEEZZNS1_9scan_implILNS1_25lookback_scan_determinismE0ELb0ELb0ES3_N6thrust23THRUST_200600_302600_NS6detail15normal_iteratorINS9_10device_ptrIiEEEENS9_16discard_iteratorINS9_11use_defaultEEEi11max_functorIiEiEEDaPvRmT3_T4_T5_mT6_P12ihipStream_tbENKUlT_T0_E_clISt17integral_constantIbLb0EESW_IbLb1EEEEDaSS_ST_EUlSS_E0_NS1_11comp_targetILNS1_3genE9ELNS1_11target_archE1100ELNS1_3gpuE3ELNS1_3repE0EEENS1_30default_config_static_selectorELNS0_4arch9wavefront6targetE1EEEvT1_.kd
    .uniform_work_group_size: 1
    .uses_dynamic_stack: false
    .vgpr_count:     0
    .vgpr_spill_count: 0
    .wavefront_size: 64
  - .agpr_count:     0
    .args:
      - .offset:         0
        .size:           40
        .value_kind:     by_value
    .group_segment_fixed_size: 0
    .kernarg_segment_align: 8
    .kernarg_segment_size: 40
    .language:       OpenCL C
    .language_version:
      - 2
      - 0
    .max_flat_workgroup_size: 64
    .name:           _ZN7rocprim17ROCPRIM_400000_NS6detail17trampoline_kernelINS0_14default_configENS1_20scan_config_selectorIiEEZZNS1_9scan_implILNS1_25lookback_scan_determinismE0ELb0ELb0ES3_N6thrust23THRUST_200600_302600_NS6detail15normal_iteratorINS9_10device_ptrIiEEEENS9_16discard_iteratorINS9_11use_defaultEEEi11max_functorIiEiEEDaPvRmT3_T4_T5_mT6_P12ihipStream_tbENKUlT_T0_E_clISt17integral_constantIbLb0EESW_IbLb1EEEEDaSS_ST_EUlSS_E0_NS1_11comp_targetILNS1_3genE8ELNS1_11target_archE1030ELNS1_3gpuE2ELNS1_3repE0EEENS1_30default_config_static_selectorELNS0_4arch9wavefront6targetE1EEEvT1_
    .private_segment_fixed_size: 0
    .sgpr_count:     4
    .sgpr_spill_count: 0
    .symbol:         _ZN7rocprim17ROCPRIM_400000_NS6detail17trampoline_kernelINS0_14default_configENS1_20scan_config_selectorIiEEZZNS1_9scan_implILNS1_25lookback_scan_determinismE0ELb0ELb0ES3_N6thrust23THRUST_200600_302600_NS6detail15normal_iteratorINS9_10device_ptrIiEEEENS9_16discard_iteratorINS9_11use_defaultEEEi11max_functorIiEiEEDaPvRmT3_T4_T5_mT6_P12ihipStream_tbENKUlT_T0_E_clISt17integral_constantIbLb0EESW_IbLb1EEEEDaSS_ST_EUlSS_E0_NS1_11comp_targetILNS1_3genE8ELNS1_11target_archE1030ELNS1_3gpuE2ELNS1_3repE0EEENS1_30default_config_static_selectorELNS0_4arch9wavefront6targetE1EEEvT1_.kd
    .uniform_work_group_size: 1
    .uses_dynamic_stack: false
    .vgpr_count:     0
    .vgpr_spill_count: 0
    .wavefront_size: 64
  - .agpr_count:     0
    .args:
      - .offset:         0
        .size:           104
        .value_kind:     by_value
    .group_segment_fixed_size: 0
    .kernarg_segment_align: 8
    .kernarg_segment_size: 104
    .language:       OpenCL C
    .language_version:
      - 2
      - 0
    .max_flat_workgroup_size: 256
    .name:           _ZN7rocprim17ROCPRIM_400000_NS6detail17trampoline_kernelINS0_14default_configENS1_20scan_config_selectorIiEEZZNS1_9scan_implILNS1_25lookback_scan_determinismE0ELb1ELb1ES3_N6thrust23THRUST_200600_302600_NS6detail15normal_iteratorINS9_10device_ptrIiEEEENS9_16discard_iteratorINS9_11use_defaultEEEi11max_functorIiEiEEDaPvRmT3_T4_T5_mT6_P12ihipStream_tbENKUlT_T0_E_clISt17integral_constantIbLb0EESX_EEDaSS_ST_EUlSS_E_NS1_11comp_targetILNS1_3genE0ELNS1_11target_archE4294967295ELNS1_3gpuE0ELNS1_3repE0EEENS1_30default_config_static_selectorELNS0_4arch9wavefront6targetE1EEEvT1_
    .private_segment_fixed_size: 0
    .sgpr_count:     4
    .sgpr_spill_count: 0
    .symbol:         _ZN7rocprim17ROCPRIM_400000_NS6detail17trampoline_kernelINS0_14default_configENS1_20scan_config_selectorIiEEZZNS1_9scan_implILNS1_25lookback_scan_determinismE0ELb1ELb1ES3_N6thrust23THRUST_200600_302600_NS6detail15normal_iteratorINS9_10device_ptrIiEEEENS9_16discard_iteratorINS9_11use_defaultEEEi11max_functorIiEiEEDaPvRmT3_T4_T5_mT6_P12ihipStream_tbENKUlT_T0_E_clISt17integral_constantIbLb0EESX_EEDaSS_ST_EUlSS_E_NS1_11comp_targetILNS1_3genE0ELNS1_11target_archE4294967295ELNS1_3gpuE0ELNS1_3repE0EEENS1_30default_config_static_selectorELNS0_4arch9wavefront6targetE1EEEvT1_.kd
    .uniform_work_group_size: 1
    .uses_dynamic_stack: false
    .vgpr_count:     0
    .vgpr_spill_count: 0
    .wavefront_size: 64
  - .agpr_count:     0
    .args:
      - .offset:         0
        .size:           104
        .value_kind:     by_value
    .group_segment_fixed_size: 0
    .kernarg_segment_align: 8
    .kernarg_segment_size: 104
    .language:       OpenCL C
    .language_version:
      - 2
      - 0
    .max_flat_workgroup_size: 256
    .name:           _ZN7rocprim17ROCPRIM_400000_NS6detail17trampoline_kernelINS0_14default_configENS1_20scan_config_selectorIiEEZZNS1_9scan_implILNS1_25lookback_scan_determinismE0ELb1ELb1ES3_N6thrust23THRUST_200600_302600_NS6detail15normal_iteratorINS9_10device_ptrIiEEEENS9_16discard_iteratorINS9_11use_defaultEEEi11max_functorIiEiEEDaPvRmT3_T4_T5_mT6_P12ihipStream_tbENKUlT_T0_E_clISt17integral_constantIbLb0EESX_EEDaSS_ST_EUlSS_E_NS1_11comp_targetILNS1_3genE5ELNS1_11target_archE942ELNS1_3gpuE9ELNS1_3repE0EEENS1_30default_config_static_selectorELNS0_4arch9wavefront6targetE1EEEvT1_
    .private_segment_fixed_size: 0
    .sgpr_count:     4
    .sgpr_spill_count: 0
    .symbol:         _ZN7rocprim17ROCPRIM_400000_NS6detail17trampoline_kernelINS0_14default_configENS1_20scan_config_selectorIiEEZZNS1_9scan_implILNS1_25lookback_scan_determinismE0ELb1ELb1ES3_N6thrust23THRUST_200600_302600_NS6detail15normal_iteratorINS9_10device_ptrIiEEEENS9_16discard_iteratorINS9_11use_defaultEEEi11max_functorIiEiEEDaPvRmT3_T4_T5_mT6_P12ihipStream_tbENKUlT_T0_E_clISt17integral_constantIbLb0EESX_EEDaSS_ST_EUlSS_E_NS1_11comp_targetILNS1_3genE5ELNS1_11target_archE942ELNS1_3gpuE9ELNS1_3repE0EEENS1_30default_config_static_selectorELNS0_4arch9wavefront6targetE1EEEvT1_.kd
    .uniform_work_group_size: 1
    .uses_dynamic_stack: false
    .vgpr_count:     0
    .vgpr_spill_count: 0
    .wavefront_size: 64
  - .agpr_count:     0
    .args:
      - .offset:         0
        .size:           104
        .value_kind:     by_value
    .group_segment_fixed_size: 5120
    .kernarg_segment_align: 8
    .kernarg_segment_size: 104
    .language:       OpenCL C
    .language_version:
      - 2
      - 0
    .max_flat_workgroup_size: 128
    .name:           _ZN7rocprim17ROCPRIM_400000_NS6detail17trampoline_kernelINS0_14default_configENS1_20scan_config_selectorIiEEZZNS1_9scan_implILNS1_25lookback_scan_determinismE0ELb1ELb1ES3_N6thrust23THRUST_200600_302600_NS6detail15normal_iteratorINS9_10device_ptrIiEEEENS9_16discard_iteratorINS9_11use_defaultEEEi11max_functorIiEiEEDaPvRmT3_T4_T5_mT6_P12ihipStream_tbENKUlT_T0_E_clISt17integral_constantIbLb0EESX_EEDaSS_ST_EUlSS_E_NS1_11comp_targetILNS1_3genE4ELNS1_11target_archE910ELNS1_3gpuE8ELNS1_3repE0EEENS1_30default_config_static_selectorELNS0_4arch9wavefront6targetE1EEEvT1_
    .private_segment_fixed_size: 0
    .sgpr_count:     27
    .sgpr_spill_count: 0
    .symbol:         _ZN7rocprim17ROCPRIM_400000_NS6detail17trampoline_kernelINS0_14default_configENS1_20scan_config_selectorIiEEZZNS1_9scan_implILNS1_25lookback_scan_determinismE0ELb1ELb1ES3_N6thrust23THRUST_200600_302600_NS6detail15normal_iteratorINS9_10device_ptrIiEEEENS9_16discard_iteratorINS9_11use_defaultEEEi11max_functorIiEiEEDaPvRmT3_T4_T5_mT6_P12ihipStream_tbENKUlT_T0_E_clISt17integral_constantIbLb0EESX_EEDaSS_ST_EUlSS_E_NS1_11comp_targetILNS1_3genE4ELNS1_11target_archE910ELNS1_3gpuE8ELNS1_3repE0EEENS1_30default_config_static_selectorELNS0_4arch9wavefront6targetE1EEEvT1_.kd
    .uniform_work_group_size: 1
    .uses_dynamic_stack: false
    .vgpr_count:     40
    .vgpr_spill_count: 0
    .wavefront_size: 64
  - .agpr_count:     0
    .args:
      - .offset:         0
        .size:           104
        .value_kind:     by_value
    .group_segment_fixed_size: 0
    .kernarg_segment_align: 8
    .kernarg_segment_size: 104
    .language:       OpenCL C
    .language_version:
      - 2
      - 0
    .max_flat_workgroup_size: 256
    .name:           _ZN7rocprim17ROCPRIM_400000_NS6detail17trampoline_kernelINS0_14default_configENS1_20scan_config_selectorIiEEZZNS1_9scan_implILNS1_25lookback_scan_determinismE0ELb1ELb1ES3_N6thrust23THRUST_200600_302600_NS6detail15normal_iteratorINS9_10device_ptrIiEEEENS9_16discard_iteratorINS9_11use_defaultEEEi11max_functorIiEiEEDaPvRmT3_T4_T5_mT6_P12ihipStream_tbENKUlT_T0_E_clISt17integral_constantIbLb0EESX_EEDaSS_ST_EUlSS_E_NS1_11comp_targetILNS1_3genE3ELNS1_11target_archE908ELNS1_3gpuE7ELNS1_3repE0EEENS1_30default_config_static_selectorELNS0_4arch9wavefront6targetE1EEEvT1_
    .private_segment_fixed_size: 0
    .sgpr_count:     4
    .sgpr_spill_count: 0
    .symbol:         _ZN7rocprim17ROCPRIM_400000_NS6detail17trampoline_kernelINS0_14default_configENS1_20scan_config_selectorIiEEZZNS1_9scan_implILNS1_25lookback_scan_determinismE0ELb1ELb1ES3_N6thrust23THRUST_200600_302600_NS6detail15normal_iteratorINS9_10device_ptrIiEEEENS9_16discard_iteratorINS9_11use_defaultEEEi11max_functorIiEiEEDaPvRmT3_T4_T5_mT6_P12ihipStream_tbENKUlT_T0_E_clISt17integral_constantIbLb0EESX_EEDaSS_ST_EUlSS_E_NS1_11comp_targetILNS1_3genE3ELNS1_11target_archE908ELNS1_3gpuE7ELNS1_3repE0EEENS1_30default_config_static_selectorELNS0_4arch9wavefront6targetE1EEEvT1_.kd
    .uniform_work_group_size: 1
    .uses_dynamic_stack: false
    .vgpr_count:     0
    .vgpr_spill_count: 0
    .wavefront_size: 64
  - .agpr_count:     0
    .args:
      - .offset:         0
        .size:           104
        .value_kind:     by_value
    .group_segment_fixed_size: 0
    .kernarg_segment_align: 8
    .kernarg_segment_size: 104
    .language:       OpenCL C
    .language_version:
      - 2
      - 0
    .max_flat_workgroup_size: 256
    .name:           _ZN7rocprim17ROCPRIM_400000_NS6detail17trampoline_kernelINS0_14default_configENS1_20scan_config_selectorIiEEZZNS1_9scan_implILNS1_25lookback_scan_determinismE0ELb1ELb1ES3_N6thrust23THRUST_200600_302600_NS6detail15normal_iteratorINS9_10device_ptrIiEEEENS9_16discard_iteratorINS9_11use_defaultEEEi11max_functorIiEiEEDaPvRmT3_T4_T5_mT6_P12ihipStream_tbENKUlT_T0_E_clISt17integral_constantIbLb0EESX_EEDaSS_ST_EUlSS_E_NS1_11comp_targetILNS1_3genE2ELNS1_11target_archE906ELNS1_3gpuE6ELNS1_3repE0EEENS1_30default_config_static_selectorELNS0_4arch9wavefront6targetE1EEEvT1_
    .private_segment_fixed_size: 0
    .sgpr_count:     4
    .sgpr_spill_count: 0
    .symbol:         _ZN7rocprim17ROCPRIM_400000_NS6detail17trampoline_kernelINS0_14default_configENS1_20scan_config_selectorIiEEZZNS1_9scan_implILNS1_25lookback_scan_determinismE0ELb1ELb1ES3_N6thrust23THRUST_200600_302600_NS6detail15normal_iteratorINS9_10device_ptrIiEEEENS9_16discard_iteratorINS9_11use_defaultEEEi11max_functorIiEiEEDaPvRmT3_T4_T5_mT6_P12ihipStream_tbENKUlT_T0_E_clISt17integral_constantIbLb0EESX_EEDaSS_ST_EUlSS_E_NS1_11comp_targetILNS1_3genE2ELNS1_11target_archE906ELNS1_3gpuE6ELNS1_3repE0EEENS1_30default_config_static_selectorELNS0_4arch9wavefront6targetE1EEEvT1_.kd
    .uniform_work_group_size: 1
    .uses_dynamic_stack: false
    .vgpr_count:     0
    .vgpr_spill_count: 0
    .wavefront_size: 64
  - .agpr_count:     0
    .args:
      - .offset:         0
        .size:           104
        .value_kind:     by_value
    .group_segment_fixed_size: 0
    .kernarg_segment_align: 8
    .kernarg_segment_size: 104
    .language:       OpenCL C
    .language_version:
      - 2
      - 0
    .max_flat_workgroup_size: 256
    .name:           _ZN7rocprim17ROCPRIM_400000_NS6detail17trampoline_kernelINS0_14default_configENS1_20scan_config_selectorIiEEZZNS1_9scan_implILNS1_25lookback_scan_determinismE0ELb1ELb1ES3_N6thrust23THRUST_200600_302600_NS6detail15normal_iteratorINS9_10device_ptrIiEEEENS9_16discard_iteratorINS9_11use_defaultEEEi11max_functorIiEiEEDaPvRmT3_T4_T5_mT6_P12ihipStream_tbENKUlT_T0_E_clISt17integral_constantIbLb0EESX_EEDaSS_ST_EUlSS_E_NS1_11comp_targetILNS1_3genE10ELNS1_11target_archE1201ELNS1_3gpuE5ELNS1_3repE0EEENS1_30default_config_static_selectorELNS0_4arch9wavefront6targetE1EEEvT1_
    .private_segment_fixed_size: 0
    .sgpr_count:     4
    .sgpr_spill_count: 0
    .symbol:         _ZN7rocprim17ROCPRIM_400000_NS6detail17trampoline_kernelINS0_14default_configENS1_20scan_config_selectorIiEEZZNS1_9scan_implILNS1_25lookback_scan_determinismE0ELb1ELb1ES3_N6thrust23THRUST_200600_302600_NS6detail15normal_iteratorINS9_10device_ptrIiEEEENS9_16discard_iteratorINS9_11use_defaultEEEi11max_functorIiEiEEDaPvRmT3_T4_T5_mT6_P12ihipStream_tbENKUlT_T0_E_clISt17integral_constantIbLb0EESX_EEDaSS_ST_EUlSS_E_NS1_11comp_targetILNS1_3genE10ELNS1_11target_archE1201ELNS1_3gpuE5ELNS1_3repE0EEENS1_30default_config_static_selectorELNS0_4arch9wavefront6targetE1EEEvT1_.kd
    .uniform_work_group_size: 1
    .uses_dynamic_stack: false
    .vgpr_count:     0
    .vgpr_spill_count: 0
    .wavefront_size: 64
  - .agpr_count:     0
    .args:
      - .offset:         0
        .size:           104
        .value_kind:     by_value
    .group_segment_fixed_size: 0
    .kernarg_segment_align: 8
    .kernarg_segment_size: 104
    .language:       OpenCL C
    .language_version:
      - 2
      - 0
    .max_flat_workgroup_size: 256
    .name:           _ZN7rocprim17ROCPRIM_400000_NS6detail17trampoline_kernelINS0_14default_configENS1_20scan_config_selectorIiEEZZNS1_9scan_implILNS1_25lookback_scan_determinismE0ELb1ELb1ES3_N6thrust23THRUST_200600_302600_NS6detail15normal_iteratorINS9_10device_ptrIiEEEENS9_16discard_iteratorINS9_11use_defaultEEEi11max_functorIiEiEEDaPvRmT3_T4_T5_mT6_P12ihipStream_tbENKUlT_T0_E_clISt17integral_constantIbLb0EESX_EEDaSS_ST_EUlSS_E_NS1_11comp_targetILNS1_3genE10ELNS1_11target_archE1200ELNS1_3gpuE4ELNS1_3repE0EEENS1_30default_config_static_selectorELNS0_4arch9wavefront6targetE1EEEvT1_
    .private_segment_fixed_size: 0
    .sgpr_count:     4
    .sgpr_spill_count: 0
    .symbol:         _ZN7rocprim17ROCPRIM_400000_NS6detail17trampoline_kernelINS0_14default_configENS1_20scan_config_selectorIiEEZZNS1_9scan_implILNS1_25lookback_scan_determinismE0ELb1ELb1ES3_N6thrust23THRUST_200600_302600_NS6detail15normal_iteratorINS9_10device_ptrIiEEEENS9_16discard_iteratorINS9_11use_defaultEEEi11max_functorIiEiEEDaPvRmT3_T4_T5_mT6_P12ihipStream_tbENKUlT_T0_E_clISt17integral_constantIbLb0EESX_EEDaSS_ST_EUlSS_E_NS1_11comp_targetILNS1_3genE10ELNS1_11target_archE1200ELNS1_3gpuE4ELNS1_3repE0EEENS1_30default_config_static_selectorELNS0_4arch9wavefront6targetE1EEEvT1_.kd
    .uniform_work_group_size: 1
    .uses_dynamic_stack: false
    .vgpr_count:     0
    .vgpr_spill_count: 0
    .wavefront_size: 64
  - .agpr_count:     0
    .args:
      - .offset:         0
        .size:           104
        .value_kind:     by_value
    .group_segment_fixed_size: 0
    .kernarg_segment_align: 8
    .kernarg_segment_size: 104
    .language:       OpenCL C
    .language_version:
      - 2
      - 0
    .max_flat_workgroup_size: 256
    .name:           _ZN7rocprim17ROCPRIM_400000_NS6detail17trampoline_kernelINS0_14default_configENS1_20scan_config_selectorIiEEZZNS1_9scan_implILNS1_25lookback_scan_determinismE0ELb1ELb1ES3_N6thrust23THRUST_200600_302600_NS6detail15normal_iteratorINS9_10device_ptrIiEEEENS9_16discard_iteratorINS9_11use_defaultEEEi11max_functorIiEiEEDaPvRmT3_T4_T5_mT6_P12ihipStream_tbENKUlT_T0_E_clISt17integral_constantIbLb0EESX_EEDaSS_ST_EUlSS_E_NS1_11comp_targetILNS1_3genE9ELNS1_11target_archE1100ELNS1_3gpuE3ELNS1_3repE0EEENS1_30default_config_static_selectorELNS0_4arch9wavefront6targetE1EEEvT1_
    .private_segment_fixed_size: 0
    .sgpr_count:     4
    .sgpr_spill_count: 0
    .symbol:         _ZN7rocprim17ROCPRIM_400000_NS6detail17trampoline_kernelINS0_14default_configENS1_20scan_config_selectorIiEEZZNS1_9scan_implILNS1_25lookback_scan_determinismE0ELb1ELb1ES3_N6thrust23THRUST_200600_302600_NS6detail15normal_iteratorINS9_10device_ptrIiEEEENS9_16discard_iteratorINS9_11use_defaultEEEi11max_functorIiEiEEDaPvRmT3_T4_T5_mT6_P12ihipStream_tbENKUlT_T0_E_clISt17integral_constantIbLb0EESX_EEDaSS_ST_EUlSS_E_NS1_11comp_targetILNS1_3genE9ELNS1_11target_archE1100ELNS1_3gpuE3ELNS1_3repE0EEENS1_30default_config_static_selectorELNS0_4arch9wavefront6targetE1EEEvT1_.kd
    .uniform_work_group_size: 1
    .uses_dynamic_stack: false
    .vgpr_count:     0
    .vgpr_spill_count: 0
    .wavefront_size: 64
  - .agpr_count:     0
    .args:
      - .offset:         0
        .size:           104
        .value_kind:     by_value
    .group_segment_fixed_size: 0
    .kernarg_segment_align: 8
    .kernarg_segment_size: 104
    .language:       OpenCL C
    .language_version:
      - 2
      - 0
    .max_flat_workgroup_size: 64
    .name:           _ZN7rocprim17ROCPRIM_400000_NS6detail17trampoline_kernelINS0_14default_configENS1_20scan_config_selectorIiEEZZNS1_9scan_implILNS1_25lookback_scan_determinismE0ELb1ELb1ES3_N6thrust23THRUST_200600_302600_NS6detail15normal_iteratorINS9_10device_ptrIiEEEENS9_16discard_iteratorINS9_11use_defaultEEEi11max_functorIiEiEEDaPvRmT3_T4_T5_mT6_P12ihipStream_tbENKUlT_T0_E_clISt17integral_constantIbLb0EESX_EEDaSS_ST_EUlSS_E_NS1_11comp_targetILNS1_3genE8ELNS1_11target_archE1030ELNS1_3gpuE2ELNS1_3repE0EEENS1_30default_config_static_selectorELNS0_4arch9wavefront6targetE1EEEvT1_
    .private_segment_fixed_size: 0
    .sgpr_count:     4
    .sgpr_spill_count: 0
    .symbol:         _ZN7rocprim17ROCPRIM_400000_NS6detail17trampoline_kernelINS0_14default_configENS1_20scan_config_selectorIiEEZZNS1_9scan_implILNS1_25lookback_scan_determinismE0ELb1ELb1ES3_N6thrust23THRUST_200600_302600_NS6detail15normal_iteratorINS9_10device_ptrIiEEEENS9_16discard_iteratorINS9_11use_defaultEEEi11max_functorIiEiEEDaPvRmT3_T4_T5_mT6_P12ihipStream_tbENKUlT_T0_E_clISt17integral_constantIbLb0EESX_EEDaSS_ST_EUlSS_E_NS1_11comp_targetILNS1_3genE8ELNS1_11target_archE1030ELNS1_3gpuE2ELNS1_3repE0EEENS1_30default_config_static_selectorELNS0_4arch9wavefront6targetE1EEEvT1_.kd
    .uniform_work_group_size: 1
    .uses_dynamic_stack: false
    .vgpr_count:     0
    .vgpr_spill_count: 0
    .wavefront_size: 64
  - .agpr_count:     0
    .args:
      - .offset:         0
        .size:           40
        .value_kind:     by_value
    .group_segment_fixed_size: 0
    .kernarg_segment_align: 8
    .kernarg_segment_size: 40
    .language:       OpenCL C
    .language_version:
      - 2
      - 0
    .max_flat_workgroup_size: 256
    .name:           _ZN7rocprim17ROCPRIM_400000_NS6detail17trampoline_kernelINS0_14default_configENS1_20scan_config_selectorIiEEZZNS1_9scan_implILNS1_25lookback_scan_determinismE0ELb1ELb1ES3_N6thrust23THRUST_200600_302600_NS6detail15normal_iteratorINS9_10device_ptrIiEEEENS9_16discard_iteratorINS9_11use_defaultEEEi11max_functorIiEiEEDaPvRmT3_T4_T5_mT6_P12ihipStream_tbENKUlT_T0_E_clISt17integral_constantIbLb0EESX_EEDaSS_ST_EUlSS_E0_NS1_11comp_targetILNS1_3genE0ELNS1_11target_archE4294967295ELNS1_3gpuE0ELNS1_3repE0EEENS1_30default_config_static_selectorELNS0_4arch9wavefront6targetE1EEEvT1_
    .private_segment_fixed_size: 0
    .sgpr_count:     4
    .sgpr_spill_count: 0
    .symbol:         _ZN7rocprim17ROCPRIM_400000_NS6detail17trampoline_kernelINS0_14default_configENS1_20scan_config_selectorIiEEZZNS1_9scan_implILNS1_25lookback_scan_determinismE0ELb1ELb1ES3_N6thrust23THRUST_200600_302600_NS6detail15normal_iteratorINS9_10device_ptrIiEEEENS9_16discard_iteratorINS9_11use_defaultEEEi11max_functorIiEiEEDaPvRmT3_T4_T5_mT6_P12ihipStream_tbENKUlT_T0_E_clISt17integral_constantIbLb0EESX_EEDaSS_ST_EUlSS_E0_NS1_11comp_targetILNS1_3genE0ELNS1_11target_archE4294967295ELNS1_3gpuE0ELNS1_3repE0EEENS1_30default_config_static_selectorELNS0_4arch9wavefront6targetE1EEEvT1_.kd
    .uniform_work_group_size: 1
    .uses_dynamic_stack: false
    .vgpr_count:     0
    .vgpr_spill_count: 0
    .wavefront_size: 64
  - .agpr_count:     0
    .args:
      - .offset:         0
        .size:           40
        .value_kind:     by_value
    .group_segment_fixed_size: 0
    .kernarg_segment_align: 8
    .kernarg_segment_size: 40
    .language:       OpenCL C
    .language_version:
      - 2
      - 0
    .max_flat_workgroup_size: 256
    .name:           _ZN7rocprim17ROCPRIM_400000_NS6detail17trampoline_kernelINS0_14default_configENS1_20scan_config_selectorIiEEZZNS1_9scan_implILNS1_25lookback_scan_determinismE0ELb1ELb1ES3_N6thrust23THRUST_200600_302600_NS6detail15normal_iteratorINS9_10device_ptrIiEEEENS9_16discard_iteratorINS9_11use_defaultEEEi11max_functorIiEiEEDaPvRmT3_T4_T5_mT6_P12ihipStream_tbENKUlT_T0_E_clISt17integral_constantIbLb0EESX_EEDaSS_ST_EUlSS_E0_NS1_11comp_targetILNS1_3genE5ELNS1_11target_archE942ELNS1_3gpuE9ELNS1_3repE0EEENS1_30default_config_static_selectorELNS0_4arch9wavefront6targetE1EEEvT1_
    .private_segment_fixed_size: 0
    .sgpr_count:     4
    .sgpr_spill_count: 0
    .symbol:         _ZN7rocprim17ROCPRIM_400000_NS6detail17trampoline_kernelINS0_14default_configENS1_20scan_config_selectorIiEEZZNS1_9scan_implILNS1_25lookback_scan_determinismE0ELb1ELb1ES3_N6thrust23THRUST_200600_302600_NS6detail15normal_iteratorINS9_10device_ptrIiEEEENS9_16discard_iteratorINS9_11use_defaultEEEi11max_functorIiEiEEDaPvRmT3_T4_T5_mT6_P12ihipStream_tbENKUlT_T0_E_clISt17integral_constantIbLb0EESX_EEDaSS_ST_EUlSS_E0_NS1_11comp_targetILNS1_3genE5ELNS1_11target_archE942ELNS1_3gpuE9ELNS1_3repE0EEENS1_30default_config_static_selectorELNS0_4arch9wavefront6targetE1EEEvT1_.kd
    .uniform_work_group_size: 1
    .uses_dynamic_stack: false
    .vgpr_count:     0
    .vgpr_spill_count: 0
    .wavefront_size: 64
  - .agpr_count:     0
    .args:
      - .offset:         0
        .size:           40
        .value_kind:     by_value
    .group_segment_fixed_size: 5120
    .kernarg_segment_align: 8
    .kernarg_segment_size: 40
    .language:       OpenCL C
    .language_version:
      - 2
      - 0
    .max_flat_workgroup_size: 128
    .name:           _ZN7rocprim17ROCPRIM_400000_NS6detail17trampoline_kernelINS0_14default_configENS1_20scan_config_selectorIiEEZZNS1_9scan_implILNS1_25lookback_scan_determinismE0ELb1ELb1ES3_N6thrust23THRUST_200600_302600_NS6detail15normal_iteratorINS9_10device_ptrIiEEEENS9_16discard_iteratorINS9_11use_defaultEEEi11max_functorIiEiEEDaPvRmT3_T4_T5_mT6_P12ihipStream_tbENKUlT_T0_E_clISt17integral_constantIbLb0EESX_EEDaSS_ST_EUlSS_E0_NS1_11comp_targetILNS1_3genE4ELNS1_11target_archE910ELNS1_3gpuE8ELNS1_3repE0EEENS1_30default_config_static_selectorELNS0_4arch9wavefront6targetE1EEEvT1_
    .private_segment_fixed_size: 0
    .sgpr_count:     12
    .sgpr_spill_count: 0
    .symbol:         _ZN7rocprim17ROCPRIM_400000_NS6detail17trampoline_kernelINS0_14default_configENS1_20scan_config_selectorIiEEZZNS1_9scan_implILNS1_25lookback_scan_determinismE0ELb1ELb1ES3_N6thrust23THRUST_200600_302600_NS6detail15normal_iteratorINS9_10device_ptrIiEEEENS9_16discard_iteratorINS9_11use_defaultEEEi11max_functorIiEiEEDaPvRmT3_T4_T5_mT6_P12ihipStream_tbENKUlT_T0_E_clISt17integral_constantIbLb0EESX_EEDaSS_ST_EUlSS_E0_NS1_11comp_targetILNS1_3genE4ELNS1_11target_archE910ELNS1_3gpuE8ELNS1_3repE0EEENS1_30default_config_static_selectorELNS0_4arch9wavefront6targetE1EEEvT1_.kd
    .uniform_work_group_size: 1
    .uses_dynamic_stack: false
    .vgpr_count:     18
    .vgpr_spill_count: 0
    .wavefront_size: 64
  - .agpr_count:     0
    .args:
      - .offset:         0
        .size:           40
        .value_kind:     by_value
    .group_segment_fixed_size: 0
    .kernarg_segment_align: 8
    .kernarg_segment_size: 40
    .language:       OpenCL C
    .language_version:
      - 2
      - 0
    .max_flat_workgroup_size: 256
    .name:           _ZN7rocprim17ROCPRIM_400000_NS6detail17trampoline_kernelINS0_14default_configENS1_20scan_config_selectorIiEEZZNS1_9scan_implILNS1_25lookback_scan_determinismE0ELb1ELb1ES3_N6thrust23THRUST_200600_302600_NS6detail15normal_iteratorINS9_10device_ptrIiEEEENS9_16discard_iteratorINS9_11use_defaultEEEi11max_functorIiEiEEDaPvRmT3_T4_T5_mT6_P12ihipStream_tbENKUlT_T0_E_clISt17integral_constantIbLb0EESX_EEDaSS_ST_EUlSS_E0_NS1_11comp_targetILNS1_3genE3ELNS1_11target_archE908ELNS1_3gpuE7ELNS1_3repE0EEENS1_30default_config_static_selectorELNS0_4arch9wavefront6targetE1EEEvT1_
    .private_segment_fixed_size: 0
    .sgpr_count:     4
    .sgpr_spill_count: 0
    .symbol:         _ZN7rocprim17ROCPRIM_400000_NS6detail17trampoline_kernelINS0_14default_configENS1_20scan_config_selectorIiEEZZNS1_9scan_implILNS1_25lookback_scan_determinismE0ELb1ELb1ES3_N6thrust23THRUST_200600_302600_NS6detail15normal_iteratorINS9_10device_ptrIiEEEENS9_16discard_iteratorINS9_11use_defaultEEEi11max_functorIiEiEEDaPvRmT3_T4_T5_mT6_P12ihipStream_tbENKUlT_T0_E_clISt17integral_constantIbLb0EESX_EEDaSS_ST_EUlSS_E0_NS1_11comp_targetILNS1_3genE3ELNS1_11target_archE908ELNS1_3gpuE7ELNS1_3repE0EEENS1_30default_config_static_selectorELNS0_4arch9wavefront6targetE1EEEvT1_.kd
    .uniform_work_group_size: 1
    .uses_dynamic_stack: false
    .vgpr_count:     0
    .vgpr_spill_count: 0
    .wavefront_size: 64
  - .agpr_count:     0
    .args:
      - .offset:         0
        .size:           40
        .value_kind:     by_value
    .group_segment_fixed_size: 0
    .kernarg_segment_align: 8
    .kernarg_segment_size: 40
    .language:       OpenCL C
    .language_version:
      - 2
      - 0
    .max_flat_workgroup_size: 256
    .name:           _ZN7rocprim17ROCPRIM_400000_NS6detail17trampoline_kernelINS0_14default_configENS1_20scan_config_selectorIiEEZZNS1_9scan_implILNS1_25lookback_scan_determinismE0ELb1ELb1ES3_N6thrust23THRUST_200600_302600_NS6detail15normal_iteratorINS9_10device_ptrIiEEEENS9_16discard_iteratorINS9_11use_defaultEEEi11max_functorIiEiEEDaPvRmT3_T4_T5_mT6_P12ihipStream_tbENKUlT_T0_E_clISt17integral_constantIbLb0EESX_EEDaSS_ST_EUlSS_E0_NS1_11comp_targetILNS1_3genE2ELNS1_11target_archE906ELNS1_3gpuE6ELNS1_3repE0EEENS1_30default_config_static_selectorELNS0_4arch9wavefront6targetE1EEEvT1_
    .private_segment_fixed_size: 0
    .sgpr_count:     4
    .sgpr_spill_count: 0
    .symbol:         _ZN7rocprim17ROCPRIM_400000_NS6detail17trampoline_kernelINS0_14default_configENS1_20scan_config_selectorIiEEZZNS1_9scan_implILNS1_25lookback_scan_determinismE0ELb1ELb1ES3_N6thrust23THRUST_200600_302600_NS6detail15normal_iteratorINS9_10device_ptrIiEEEENS9_16discard_iteratorINS9_11use_defaultEEEi11max_functorIiEiEEDaPvRmT3_T4_T5_mT6_P12ihipStream_tbENKUlT_T0_E_clISt17integral_constantIbLb0EESX_EEDaSS_ST_EUlSS_E0_NS1_11comp_targetILNS1_3genE2ELNS1_11target_archE906ELNS1_3gpuE6ELNS1_3repE0EEENS1_30default_config_static_selectorELNS0_4arch9wavefront6targetE1EEEvT1_.kd
    .uniform_work_group_size: 1
    .uses_dynamic_stack: false
    .vgpr_count:     0
    .vgpr_spill_count: 0
    .wavefront_size: 64
  - .agpr_count:     0
    .args:
      - .offset:         0
        .size:           40
        .value_kind:     by_value
    .group_segment_fixed_size: 0
    .kernarg_segment_align: 8
    .kernarg_segment_size: 40
    .language:       OpenCL C
    .language_version:
      - 2
      - 0
    .max_flat_workgroup_size: 256
    .name:           _ZN7rocprim17ROCPRIM_400000_NS6detail17trampoline_kernelINS0_14default_configENS1_20scan_config_selectorIiEEZZNS1_9scan_implILNS1_25lookback_scan_determinismE0ELb1ELb1ES3_N6thrust23THRUST_200600_302600_NS6detail15normal_iteratorINS9_10device_ptrIiEEEENS9_16discard_iteratorINS9_11use_defaultEEEi11max_functorIiEiEEDaPvRmT3_T4_T5_mT6_P12ihipStream_tbENKUlT_T0_E_clISt17integral_constantIbLb0EESX_EEDaSS_ST_EUlSS_E0_NS1_11comp_targetILNS1_3genE10ELNS1_11target_archE1201ELNS1_3gpuE5ELNS1_3repE0EEENS1_30default_config_static_selectorELNS0_4arch9wavefront6targetE1EEEvT1_
    .private_segment_fixed_size: 0
    .sgpr_count:     4
    .sgpr_spill_count: 0
    .symbol:         _ZN7rocprim17ROCPRIM_400000_NS6detail17trampoline_kernelINS0_14default_configENS1_20scan_config_selectorIiEEZZNS1_9scan_implILNS1_25lookback_scan_determinismE0ELb1ELb1ES3_N6thrust23THRUST_200600_302600_NS6detail15normal_iteratorINS9_10device_ptrIiEEEENS9_16discard_iteratorINS9_11use_defaultEEEi11max_functorIiEiEEDaPvRmT3_T4_T5_mT6_P12ihipStream_tbENKUlT_T0_E_clISt17integral_constantIbLb0EESX_EEDaSS_ST_EUlSS_E0_NS1_11comp_targetILNS1_3genE10ELNS1_11target_archE1201ELNS1_3gpuE5ELNS1_3repE0EEENS1_30default_config_static_selectorELNS0_4arch9wavefront6targetE1EEEvT1_.kd
    .uniform_work_group_size: 1
    .uses_dynamic_stack: false
    .vgpr_count:     0
    .vgpr_spill_count: 0
    .wavefront_size: 64
  - .agpr_count:     0
    .args:
      - .offset:         0
        .size:           40
        .value_kind:     by_value
    .group_segment_fixed_size: 0
    .kernarg_segment_align: 8
    .kernarg_segment_size: 40
    .language:       OpenCL C
    .language_version:
      - 2
      - 0
    .max_flat_workgroup_size: 256
    .name:           _ZN7rocprim17ROCPRIM_400000_NS6detail17trampoline_kernelINS0_14default_configENS1_20scan_config_selectorIiEEZZNS1_9scan_implILNS1_25lookback_scan_determinismE0ELb1ELb1ES3_N6thrust23THRUST_200600_302600_NS6detail15normal_iteratorINS9_10device_ptrIiEEEENS9_16discard_iteratorINS9_11use_defaultEEEi11max_functorIiEiEEDaPvRmT3_T4_T5_mT6_P12ihipStream_tbENKUlT_T0_E_clISt17integral_constantIbLb0EESX_EEDaSS_ST_EUlSS_E0_NS1_11comp_targetILNS1_3genE10ELNS1_11target_archE1200ELNS1_3gpuE4ELNS1_3repE0EEENS1_30default_config_static_selectorELNS0_4arch9wavefront6targetE1EEEvT1_
    .private_segment_fixed_size: 0
    .sgpr_count:     4
    .sgpr_spill_count: 0
    .symbol:         _ZN7rocprim17ROCPRIM_400000_NS6detail17trampoline_kernelINS0_14default_configENS1_20scan_config_selectorIiEEZZNS1_9scan_implILNS1_25lookback_scan_determinismE0ELb1ELb1ES3_N6thrust23THRUST_200600_302600_NS6detail15normal_iteratorINS9_10device_ptrIiEEEENS9_16discard_iteratorINS9_11use_defaultEEEi11max_functorIiEiEEDaPvRmT3_T4_T5_mT6_P12ihipStream_tbENKUlT_T0_E_clISt17integral_constantIbLb0EESX_EEDaSS_ST_EUlSS_E0_NS1_11comp_targetILNS1_3genE10ELNS1_11target_archE1200ELNS1_3gpuE4ELNS1_3repE0EEENS1_30default_config_static_selectorELNS0_4arch9wavefront6targetE1EEEvT1_.kd
    .uniform_work_group_size: 1
    .uses_dynamic_stack: false
    .vgpr_count:     0
    .vgpr_spill_count: 0
    .wavefront_size: 64
  - .agpr_count:     0
    .args:
      - .offset:         0
        .size:           40
        .value_kind:     by_value
    .group_segment_fixed_size: 0
    .kernarg_segment_align: 8
    .kernarg_segment_size: 40
    .language:       OpenCL C
    .language_version:
      - 2
      - 0
    .max_flat_workgroup_size: 256
    .name:           _ZN7rocprim17ROCPRIM_400000_NS6detail17trampoline_kernelINS0_14default_configENS1_20scan_config_selectorIiEEZZNS1_9scan_implILNS1_25lookback_scan_determinismE0ELb1ELb1ES3_N6thrust23THRUST_200600_302600_NS6detail15normal_iteratorINS9_10device_ptrIiEEEENS9_16discard_iteratorINS9_11use_defaultEEEi11max_functorIiEiEEDaPvRmT3_T4_T5_mT6_P12ihipStream_tbENKUlT_T0_E_clISt17integral_constantIbLb0EESX_EEDaSS_ST_EUlSS_E0_NS1_11comp_targetILNS1_3genE9ELNS1_11target_archE1100ELNS1_3gpuE3ELNS1_3repE0EEENS1_30default_config_static_selectorELNS0_4arch9wavefront6targetE1EEEvT1_
    .private_segment_fixed_size: 0
    .sgpr_count:     4
    .sgpr_spill_count: 0
    .symbol:         _ZN7rocprim17ROCPRIM_400000_NS6detail17trampoline_kernelINS0_14default_configENS1_20scan_config_selectorIiEEZZNS1_9scan_implILNS1_25lookback_scan_determinismE0ELb1ELb1ES3_N6thrust23THRUST_200600_302600_NS6detail15normal_iteratorINS9_10device_ptrIiEEEENS9_16discard_iteratorINS9_11use_defaultEEEi11max_functorIiEiEEDaPvRmT3_T4_T5_mT6_P12ihipStream_tbENKUlT_T0_E_clISt17integral_constantIbLb0EESX_EEDaSS_ST_EUlSS_E0_NS1_11comp_targetILNS1_3genE9ELNS1_11target_archE1100ELNS1_3gpuE3ELNS1_3repE0EEENS1_30default_config_static_selectorELNS0_4arch9wavefront6targetE1EEEvT1_.kd
    .uniform_work_group_size: 1
    .uses_dynamic_stack: false
    .vgpr_count:     0
    .vgpr_spill_count: 0
    .wavefront_size: 64
  - .agpr_count:     0
    .args:
      - .offset:         0
        .size:           40
        .value_kind:     by_value
    .group_segment_fixed_size: 0
    .kernarg_segment_align: 8
    .kernarg_segment_size: 40
    .language:       OpenCL C
    .language_version:
      - 2
      - 0
    .max_flat_workgroup_size: 64
    .name:           _ZN7rocprim17ROCPRIM_400000_NS6detail17trampoline_kernelINS0_14default_configENS1_20scan_config_selectorIiEEZZNS1_9scan_implILNS1_25lookback_scan_determinismE0ELb1ELb1ES3_N6thrust23THRUST_200600_302600_NS6detail15normal_iteratorINS9_10device_ptrIiEEEENS9_16discard_iteratorINS9_11use_defaultEEEi11max_functorIiEiEEDaPvRmT3_T4_T5_mT6_P12ihipStream_tbENKUlT_T0_E_clISt17integral_constantIbLb0EESX_EEDaSS_ST_EUlSS_E0_NS1_11comp_targetILNS1_3genE8ELNS1_11target_archE1030ELNS1_3gpuE2ELNS1_3repE0EEENS1_30default_config_static_selectorELNS0_4arch9wavefront6targetE1EEEvT1_
    .private_segment_fixed_size: 0
    .sgpr_count:     4
    .sgpr_spill_count: 0
    .symbol:         _ZN7rocprim17ROCPRIM_400000_NS6detail17trampoline_kernelINS0_14default_configENS1_20scan_config_selectorIiEEZZNS1_9scan_implILNS1_25lookback_scan_determinismE0ELb1ELb1ES3_N6thrust23THRUST_200600_302600_NS6detail15normal_iteratorINS9_10device_ptrIiEEEENS9_16discard_iteratorINS9_11use_defaultEEEi11max_functorIiEiEEDaPvRmT3_T4_T5_mT6_P12ihipStream_tbENKUlT_T0_E_clISt17integral_constantIbLb0EESX_EEDaSS_ST_EUlSS_E0_NS1_11comp_targetILNS1_3genE8ELNS1_11target_archE1030ELNS1_3gpuE2ELNS1_3repE0EEENS1_30default_config_static_selectorELNS0_4arch9wavefront6targetE1EEEvT1_.kd
    .uniform_work_group_size: 1
    .uses_dynamic_stack: false
    .vgpr_count:     0
    .vgpr_spill_count: 0
    .wavefront_size: 64
  - .agpr_count:     0
    .args:
      - .offset:         0
        .size:           104
        .value_kind:     by_value
    .group_segment_fixed_size: 0
    .kernarg_segment_align: 8
    .kernarg_segment_size: 104
    .language:       OpenCL C
    .language_version:
      - 2
      - 0
    .max_flat_workgroup_size: 256
    .name:           _ZN7rocprim17ROCPRIM_400000_NS6detail17trampoline_kernelINS0_14default_configENS1_20scan_config_selectorIiEEZZNS1_9scan_implILNS1_25lookback_scan_determinismE0ELb1ELb1ES3_N6thrust23THRUST_200600_302600_NS6detail15normal_iteratorINS9_10device_ptrIiEEEENS9_16discard_iteratorINS9_11use_defaultEEEi11max_functorIiEiEEDaPvRmT3_T4_T5_mT6_P12ihipStream_tbENKUlT_T0_E_clISt17integral_constantIbLb1EESX_EEDaSS_ST_EUlSS_E_NS1_11comp_targetILNS1_3genE0ELNS1_11target_archE4294967295ELNS1_3gpuE0ELNS1_3repE0EEENS1_30default_config_static_selectorELNS0_4arch9wavefront6targetE1EEEvT1_
    .private_segment_fixed_size: 0
    .sgpr_count:     4
    .sgpr_spill_count: 0
    .symbol:         _ZN7rocprim17ROCPRIM_400000_NS6detail17trampoline_kernelINS0_14default_configENS1_20scan_config_selectorIiEEZZNS1_9scan_implILNS1_25lookback_scan_determinismE0ELb1ELb1ES3_N6thrust23THRUST_200600_302600_NS6detail15normal_iteratorINS9_10device_ptrIiEEEENS9_16discard_iteratorINS9_11use_defaultEEEi11max_functorIiEiEEDaPvRmT3_T4_T5_mT6_P12ihipStream_tbENKUlT_T0_E_clISt17integral_constantIbLb1EESX_EEDaSS_ST_EUlSS_E_NS1_11comp_targetILNS1_3genE0ELNS1_11target_archE4294967295ELNS1_3gpuE0ELNS1_3repE0EEENS1_30default_config_static_selectorELNS0_4arch9wavefront6targetE1EEEvT1_.kd
    .uniform_work_group_size: 1
    .uses_dynamic_stack: false
    .vgpr_count:     0
    .vgpr_spill_count: 0
    .wavefront_size: 64
  - .agpr_count:     0
    .args:
      - .offset:         0
        .size:           104
        .value_kind:     by_value
    .group_segment_fixed_size: 0
    .kernarg_segment_align: 8
    .kernarg_segment_size: 104
    .language:       OpenCL C
    .language_version:
      - 2
      - 0
    .max_flat_workgroup_size: 256
    .name:           _ZN7rocprim17ROCPRIM_400000_NS6detail17trampoline_kernelINS0_14default_configENS1_20scan_config_selectorIiEEZZNS1_9scan_implILNS1_25lookback_scan_determinismE0ELb1ELb1ES3_N6thrust23THRUST_200600_302600_NS6detail15normal_iteratorINS9_10device_ptrIiEEEENS9_16discard_iteratorINS9_11use_defaultEEEi11max_functorIiEiEEDaPvRmT3_T4_T5_mT6_P12ihipStream_tbENKUlT_T0_E_clISt17integral_constantIbLb1EESX_EEDaSS_ST_EUlSS_E_NS1_11comp_targetILNS1_3genE5ELNS1_11target_archE942ELNS1_3gpuE9ELNS1_3repE0EEENS1_30default_config_static_selectorELNS0_4arch9wavefront6targetE1EEEvT1_
    .private_segment_fixed_size: 0
    .sgpr_count:     4
    .sgpr_spill_count: 0
    .symbol:         _ZN7rocprim17ROCPRIM_400000_NS6detail17trampoline_kernelINS0_14default_configENS1_20scan_config_selectorIiEEZZNS1_9scan_implILNS1_25lookback_scan_determinismE0ELb1ELb1ES3_N6thrust23THRUST_200600_302600_NS6detail15normal_iteratorINS9_10device_ptrIiEEEENS9_16discard_iteratorINS9_11use_defaultEEEi11max_functorIiEiEEDaPvRmT3_T4_T5_mT6_P12ihipStream_tbENKUlT_T0_E_clISt17integral_constantIbLb1EESX_EEDaSS_ST_EUlSS_E_NS1_11comp_targetILNS1_3genE5ELNS1_11target_archE942ELNS1_3gpuE9ELNS1_3repE0EEENS1_30default_config_static_selectorELNS0_4arch9wavefront6targetE1EEEvT1_.kd
    .uniform_work_group_size: 1
    .uses_dynamic_stack: false
    .vgpr_count:     0
    .vgpr_spill_count: 0
    .wavefront_size: 64
  - .agpr_count:     0
    .args:
      - .offset:         0
        .size:           104
        .value_kind:     by_value
    .group_segment_fixed_size: 5120
    .kernarg_segment_align: 8
    .kernarg_segment_size: 104
    .language:       OpenCL C
    .language_version:
      - 2
      - 0
    .max_flat_workgroup_size: 128
    .name:           _ZN7rocprim17ROCPRIM_400000_NS6detail17trampoline_kernelINS0_14default_configENS1_20scan_config_selectorIiEEZZNS1_9scan_implILNS1_25lookback_scan_determinismE0ELb1ELb1ES3_N6thrust23THRUST_200600_302600_NS6detail15normal_iteratorINS9_10device_ptrIiEEEENS9_16discard_iteratorINS9_11use_defaultEEEi11max_functorIiEiEEDaPvRmT3_T4_T5_mT6_P12ihipStream_tbENKUlT_T0_E_clISt17integral_constantIbLb1EESX_EEDaSS_ST_EUlSS_E_NS1_11comp_targetILNS1_3genE4ELNS1_11target_archE910ELNS1_3gpuE8ELNS1_3repE0EEENS1_30default_config_static_selectorELNS0_4arch9wavefront6targetE1EEEvT1_
    .private_segment_fixed_size: 0
    .sgpr_count:     40
    .sgpr_spill_count: 0
    .symbol:         _ZN7rocprim17ROCPRIM_400000_NS6detail17trampoline_kernelINS0_14default_configENS1_20scan_config_selectorIiEEZZNS1_9scan_implILNS1_25lookback_scan_determinismE0ELb1ELb1ES3_N6thrust23THRUST_200600_302600_NS6detail15normal_iteratorINS9_10device_ptrIiEEEENS9_16discard_iteratorINS9_11use_defaultEEEi11max_functorIiEiEEDaPvRmT3_T4_T5_mT6_P12ihipStream_tbENKUlT_T0_E_clISt17integral_constantIbLb1EESX_EEDaSS_ST_EUlSS_E_NS1_11comp_targetILNS1_3genE4ELNS1_11target_archE910ELNS1_3gpuE8ELNS1_3repE0EEENS1_30default_config_static_selectorELNS0_4arch9wavefront6targetE1EEEvT1_.kd
    .uniform_work_group_size: 1
    .uses_dynamic_stack: false
    .vgpr_count:     40
    .vgpr_spill_count: 0
    .wavefront_size: 64
  - .agpr_count:     0
    .args:
      - .offset:         0
        .size:           104
        .value_kind:     by_value
    .group_segment_fixed_size: 0
    .kernarg_segment_align: 8
    .kernarg_segment_size: 104
    .language:       OpenCL C
    .language_version:
      - 2
      - 0
    .max_flat_workgroup_size: 256
    .name:           _ZN7rocprim17ROCPRIM_400000_NS6detail17trampoline_kernelINS0_14default_configENS1_20scan_config_selectorIiEEZZNS1_9scan_implILNS1_25lookback_scan_determinismE0ELb1ELb1ES3_N6thrust23THRUST_200600_302600_NS6detail15normal_iteratorINS9_10device_ptrIiEEEENS9_16discard_iteratorINS9_11use_defaultEEEi11max_functorIiEiEEDaPvRmT3_T4_T5_mT6_P12ihipStream_tbENKUlT_T0_E_clISt17integral_constantIbLb1EESX_EEDaSS_ST_EUlSS_E_NS1_11comp_targetILNS1_3genE3ELNS1_11target_archE908ELNS1_3gpuE7ELNS1_3repE0EEENS1_30default_config_static_selectorELNS0_4arch9wavefront6targetE1EEEvT1_
    .private_segment_fixed_size: 0
    .sgpr_count:     4
    .sgpr_spill_count: 0
    .symbol:         _ZN7rocprim17ROCPRIM_400000_NS6detail17trampoline_kernelINS0_14default_configENS1_20scan_config_selectorIiEEZZNS1_9scan_implILNS1_25lookback_scan_determinismE0ELb1ELb1ES3_N6thrust23THRUST_200600_302600_NS6detail15normal_iteratorINS9_10device_ptrIiEEEENS9_16discard_iteratorINS9_11use_defaultEEEi11max_functorIiEiEEDaPvRmT3_T4_T5_mT6_P12ihipStream_tbENKUlT_T0_E_clISt17integral_constantIbLb1EESX_EEDaSS_ST_EUlSS_E_NS1_11comp_targetILNS1_3genE3ELNS1_11target_archE908ELNS1_3gpuE7ELNS1_3repE0EEENS1_30default_config_static_selectorELNS0_4arch9wavefront6targetE1EEEvT1_.kd
    .uniform_work_group_size: 1
    .uses_dynamic_stack: false
    .vgpr_count:     0
    .vgpr_spill_count: 0
    .wavefront_size: 64
  - .agpr_count:     0
    .args:
      - .offset:         0
        .size:           104
        .value_kind:     by_value
    .group_segment_fixed_size: 0
    .kernarg_segment_align: 8
    .kernarg_segment_size: 104
    .language:       OpenCL C
    .language_version:
      - 2
      - 0
    .max_flat_workgroup_size: 256
    .name:           _ZN7rocprim17ROCPRIM_400000_NS6detail17trampoline_kernelINS0_14default_configENS1_20scan_config_selectorIiEEZZNS1_9scan_implILNS1_25lookback_scan_determinismE0ELb1ELb1ES3_N6thrust23THRUST_200600_302600_NS6detail15normal_iteratorINS9_10device_ptrIiEEEENS9_16discard_iteratorINS9_11use_defaultEEEi11max_functorIiEiEEDaPvRmT3_T4_T5_mT6_P12ihipStream_tbENKUlT_T0_E_clISt17integral_constantIbLb1EESX_EEDaSS_ST_EUlSS_E_NS1_11comp_targetILNS1_3genE2ELNS1_11target_archE906ELNS1_3gpuE6ELNS1_3repE0EEENS1_30default_config_static_selectorELNS0_4arch9wavefront6targetE1EEEvT1_
    .private_segment_fixed_size: 0
    .sgpr_count:     4
    .sgpr_spill_count: 0
    .symbol:         _ZN7rocprim17ROCPRIM_400000_NS6detail17trampoline_kernelINS0_14default_configENS1_20scan_config_selectorIiEEZZNS1_9scan_implILNS1_25lookback_scan_determinismE0ELb1ELb1ES3_N6thrust23THRUST_200600_302600_NS6detail15normal_iteratorINS9_10device_ptrIiEEEENS9_16discard_iteratorINS9_11use_defaultEEEi11max_functorIiEiEEDaPvRmT3_T4_T5_mT6_P12ihipStream_tbENKUlT_T0_E_clISt17integral_constantIbLb1EESX_EEDaSS_ST_EUlSS_E_NS1_11comp_targetILNS1_3genE2ELNS1_11target_archE906ELNS1_3gpuE6ELNS1_3repE0EEENS1_30default_config_static_selectorELNS0_4arch9wavefront6targetE1EEEvT1_.kd
    .uniform_work_group_size: 1
    .uses_dynamic_stack: false
    .vgpr_count:     0
    .vgpr_spill_count: 0
    .wavefront_size: 64
  - .agpr_count:     0
    .args:
      - .offset:         0
        .size:           104
        .value_kind:     by_value
    .group_segment_fixed_size: 0
    .kernarg_segment_align: 8
    .kernarg_segment_size: 104
    .language:       OpenCL C
    .language_version:
      - 2
      - 0
    .max_flat_workgroup_size: 256
    .name:           _ZN7rocprim17ROCPRIM_400000_NS6detail17trampoline_kernelINS0_14default_configENS1_20scan_config_selectorIiEEZZNS1_9scan_implILNS1_25lookback_scan_determinismE0ELb1ELb1ES3_N6thrust23THRUST_200600_302600_NS6detail15normal_iteratorINS9_10device_ptrIiEEEENS9_16discard_iteratorINS9_11use_defaultEEEi11max_functorIiEiEEDaPvRmT3_T4_T5_mT6_P12ihipStream_tbENKUlT_T0_E_clISt17integral_constantIbLb1EESX_EEDaSS_ST_EUlSS_E_NS1_11comp_targetILNS1_3genE10ELNS1_11target_archE1201ELNS1_3gpuE5ELNS1_3repE0EEENS1_30default_config_static_selectorELNS0_4arch9wavefront6targetE1EEEvT1_
    .private_segment_fixed_size: 0
    .sgpr_count:     4
    .sgpr_spill_count: 0
    .symbol:         _ZN7rocprim17ROCPRIM_400000_NS6detail17trampoline_kernelINS0_14default_configENS1_20scan_config_selectorIiEEZZNS1_9scan_implILNS1_25lookback_scan_determinismE0ELb1ELb1ES3_N6thrust23THRUST_200600_302600_NS6detail15normal_iteratorINS9_10device_ptrIiEEEENS9_16discard_iteratorINS9_11use_defaultEEEi11max_functorIiEiEEDaPvRmT3_T4_T5_mT6_P12ihipStream_tbENKUlT_T0_E_clISt17integral_constantIbLb1EESX_EEDaSS_ST_EUlSS_E_NS1_11comp_targetILNS1_3genE10ELNS1_11target_archE1201ELNS1_3gpuE5ELNS1_3repE0EEENS1_30default_config_static_selectorELNS0_4arch9wavefront6targetE1EEEvT1_.kd
    .uniform_work_group_size: 1
    .uses_dynamic_stack: false
    .vgpr_count:     0
    .vgpr_spill_count: 0
    .wavefront_size: 64
  - .agpr_count:     0
    .args:
      - .offset:         0
        .size:           104
        .value_kind:     by_value
    .group_segment_fixed_size: 0
    .kernarg_segment_align: 8
    .kernarg_segment_size: 104
    .language:       OpenCL C
    .language_version:
      - 2
      - 0
    .max_flat_workgroup_size: 256
    .name:           _ZN7rocprim17ROCPRIM_400000_NS6detail17trampoline_kernelINS0_14default_configENS1_20scan_config_selectorIiEEZZNS1_9scan_implILNS1_25lookback_scan_determinismE0ELb1ELb1ES3_N6thrust23THRUST_200600_302600_NS6detail15normal_iteratorINS9_10device_ptrIiEEEENS9_16discard_iteratorINS9_11use_defaultEEEi11max_functorIiEiEEDaPvRmT3_T4_T5_mT6_P12ihipStream_tbENKUlT_T0_E_clISt17integral_constantIbLb1EESX_EEDaSS_ST_EUlSS_E_NS1_11comp_targetILNS1_3genE10ELNS1_11target_archE1200ELNS1_3gpuE4ELNS1_3repE0EEENS1_30default_config_static_selectorELNS0_4arch9wavefront6targetE1EEEvT1_
    .private_segment_fixed_size: 0
    .sgpr_count:     4
    .sgpr_spill_count: 0
    .symbol:         _ZN7rocprim17ROCPRIM_400000_NS6detail17trampoline_kernelINS0_14default_configENS1_20scan_config_selectorIiEEZZNS1_9scan_implILNS1_25lookback_scan_determinismE0ELb1ELb1ES3_N6thrust23THRUST_200600_302600_NS6detail15normal_iteratorINS9_10device_ptrIiEEEENS9_16discard_iteratorINS9_11use_defaultEEEi11max_functorIiEiEEDaPvRmT3_T4_T5_mT6_P12ihipStream_tbENKUlT_T0_E_clISt17integral_constantIbLb1EESX_EEDaSS_ST_EUlSS_E_NS1_11comp_targetILNS1_3genE10ELNS1_11target_archE1200ELNS1_3gpuE4ELNS1_3repE0EEENS1_30default_config_static_selectorELNS0_4arch9wavefront6targetE1EEEvT1_.kd
    .uniform_work_group_size: 1
    .uses_dynamic_stack: false
    .vgpr_count:     0
    .vgpr_spill_count: 0
    .wavefront_size: 64
  - .agpr_count:     0
    .args:
      - .offset:         0
        .size:           104
        .value_kind:     by_value
    .group_segment_fixed_size: 0
    .kernarg_segment_align: 8
    .kernarg_segment_size: 104
    .language:       OpenCL C
    .language_version:
      - 2
      - 0
    .max_flat_workgroup_size: 256
    .name:           _ZN7rocprim17ROCPRIM_400000_NS6detail17trampoline_kernelINS0_14default_configENS1_20scan_config_selectorIiEEZZNS1_9scan_implILNS1_25lookback_scan_determinismE0ELb1ELb1ES3_N6thrust23THRUST_200600_302600_NS6detail15normal_iteratorINS9_10device_ptrIiEEEENS9_16discard_iteratorINS9_11use_defaultEEEi11max_functorIiEiEEDaPvRmT3_T4_T5_mT6_P12ihipStream_tbENKUlT_T0_E_clISt17integral_constantIbLb1EESX_EEDaSS_ST_EUlSS_E_NS1_11comp_targetILNS1_3genE9ELNS1_11target_archE1100ELNS1_3gpuE3ELNS1_3repE0EEENS1_30default_config_static_selectorELNS0_4arch9wavefront6targetE1EEEvT1_
    .private_segment_fixed_size: 0
    .sgpr_count:     4
    .sgpr_spill_count: 0
    .symbol:         _ZN7rocprim17ROCPRIM_400000_NS6detail17trampoline_kernelINS0_14default_configENS1_20scan_config_selectorIiEEZZNS1_9scan_implILNS1_25lookback_scan_determinismE0ELb1ELb1ES3_N6thrust23THRUST_200600_302600_NS6detail15normal_iteratorINS9_10device_ptrIiEEEENS9_16discard_iteratorINS9_11use_defaultEEEi11max_functorIiEiEEDaPvRmT3_T4_T5_mT6_P12ihipStream_tbENKUlT_T0_E_clISt17integral_constantIbLb1EESX_EEDaSS_ST_EUlSS_E_NS1_11comp_targetILNS1_3genE9ELNS1_11target_archE1100ELNS1_3gpuE3ELNS1_3repE0EEENS1_30default_config_static_selectorELNS0_4arch9wavefront6targetE1EEEvT1_.kd
    .uniform_work_group_size: 1
    .uses_dynamic_stack: false
    .vgpr_count:     0
    .vgpr_spill_count: 0
    .wavefront_size: 64
  - .agpr_count:     0
    .args:
      - .offset:         0
        .size:           104
        .value_kind:     by_value
    .group_segment_fixed_size: 0
    .kernarg_segment_align: 8
    .kernarg_segment_size: 104
    .language:       OpenCL C
    .language_version:
      - 2
      - 0
    .max_flat_workgroup_size: 64
    .name:           _ZN7rocprim17ROCPRIM_400000_NS6detail17trampoline_kernelINS0_14default_configENS1_20scan_config_selectorIiEEZZNS1_9scan_implILNS1_25lookback_scan_determinismE0ELb1ELb1ES3_N6thrust23THRUST_200600_302600_NS6detail15normal_iteratorINS9_10device_ptrIiEEEENS9_16discard_iteratorINS9_11use_defaultEEEi11max_functorIiEiEEDaPvRmT3_T4_T5_mT6_P12ihipStream_tbENKUlT_T0_E_clISt17integral_constantIbLb1EESX_EEDaSS_ST_EUlSS_E_NS1_11comp_targetILNS1_3genE8ELNS1_11target_archE1030ELNS1_3gpuE2ELNS1_3repE0EEENS1_30default_config_static_selectorELNS0_4arch9wavefront6targetE1EEEvT1_
    .private_segment_fixed_size: 0
    .sgpr_count:     4
    .sgpr_spill_count: 0
    .symbol:         _ZN7rocprim17ROCPRIM_400000_NS6detail17trampoline_kernelINS0_14default_configENS1_20scan_config_selectorIiEEZZNS1_9scan_implILNS1_25lookback_scan_determinismE0ELb1ELb1ES3_N6thrust23THRUST_200600_302600_NS6detail15normal_iteratorINS9_10device_ptrIiEEEENS9_16discard_iteratorINS9_11use_defaultEEEi11max_functorIiEiEEDaPvRmT3_T4_T5_mT6_P12ihipStream_tbENKUlT_T0_E_clISt17integral_constantIbLb1EESX_EEDaSS_ST_EUlSS_E_NS1_11comp_targetILNS1_3genE8ELNS1_11target_archE1030ELNS1_3gpuE2ELNS1_3repE0EEENS1_30default_config_static_selectorELNS0_4arch9wavefront6targetE1EEEvT1_.kd
    .uniform_work_group_size: 1
    .uses_dynamic_stack: false
    .vgpr_count:     0
    .vgpr_spill_count: 0
    .wavefront_size: 64
  - .agpr_count:     0
    .args:
      - .offset:         0
        .size:           40
        .value_kind:     by_value
    .group_segment_fixed_size: 0
    .kernarg_segment_align: 8
    .kernarg_segment_size: 40
    .language:       OpenCL C
    .language_version:
      - 2
      - 0
    .max_flat_workgroup_size: 256
    .name:           _ZN7rocprim17ROCPRIM_400000_NS6detail17trampoline_kernelINS0_14default_configENS1_20scan_config_selectorIiEEZZNS1_9scan_implILNS1_25lookback_scan_determinismE0ELb1ELb1ES3_N6thrust23THRUST_200600_302600_NS6detail15normal_iteratorINS9_10device_ptrIiEEEENS9_16discard_iteratorINS9_11use_defaultEEEi11max_functorIiEiEEDaPvRmT3_T4_T5_mT6_P12ihipStream_tbENKUlT_T0_E_clISt17integral_constantIbLb1EESX_EEDaSS_ST_EUlSS_E0_NS1_11comp_targetILNS1_3genE0ELNS1_11target_archE4294967295ELNS1_3gpuE0ELNS1_3repE0EEENS1_30default_config_static_selectorELNS0_4arch9wavefront6targetE1EEEvT1_
    .private_segment_fixed_size: 0
    .sgpr_count:     4
    .sgpr_spill_count: 0
    .symbol:         _ZN7rocprim17ROCPRIM_400000_NS6detail17trampoline_kernelINS0_14default_configENS1_20scan_config_selectorIiEEZZNS1_9scan_implILNS1_25lookback_scan_determinismE0ELb1ELb1ES3_N6thrust23THRUST_200600_302600_NS6detail15normal_iteratorINS9_10device_ptrIiEEEENS9_16discard_iteratorINS9_11use_defaultEEEi11max_functorIiEiEEDaPvRmT3_T4_T5_mT6_P12ihipStream_tbENKUlT_T0_E_clISt17integral_constantIbLb1EESX_EEDaSS_ST_EUlSS_E0_NS1_11comp_targetILNS1_3genE0ELNS1_11target_archE4294967295ELNS1_3gpuE0ELNS1_3repE0EEENS1_30default_config_static_selectorELNS0_4arch9wavefront6targetE1EEEvT1_.kd
    .uniform_work_group_size: 1
    .uses_dynamic_stack: false
    .vgpr_count:     0
    .vgpr_spill_count: 0
    .wavefront_size: 64
  - .agpr_count:     0
    .args:
      - .offset:         0
        .size:           40
        .value_kind:     by_value
    .group_segment_fixed_size: 0
    .kernarg_segment_align: 8
    .kernarg_segment_size: 40
    .language:       OpenCL C
    .language_version:
      - 2
      - 0
    .max_flat_workgroup_size: 256
    .name:           _ZN7rocprim17ROCPRIM_400000_NS6detail17trampoline_kernelINS0_14default_configENS1_20scan_config_selectorIiEEZZNS1_9scan_implILNS1_25lookback_scan_determinismE0ELb1ELb1ES3_N6thrust23THRUST_200600_302600_NS6detail15normal_iteratorINS9_10device_ptrIiEEEENS9_16discard_iteratorINS9_11use_defaultEEEi11max_functorIiEiEEDaPvRmT3_T4_T5_mT6_P12ihipStream_tbENKUlT_T0_E_clISt17integral_constantIbLb1EESX_EEDaSS_ST_EUlSS_E0_NS1_11comp_targetILNS1_3genE5ELNS1_11target_archE942ELNS1_3gpuE9ELNS1_3repE0EEENS1_30default_config_static_selectorELNS0_4arch9wavefront6targetE1EEEvT1_
    .private_segment_fixed_size: 0
    .sgpr_count:     4
    .sgpr_spill_count: 0
    .symbol:         _ZN7rocprim17ROCPRIM_400000_NS6detail17trampoline_kernelINS0_14default_configENS1_20scan_config_selectorIiEEZZNS1_9scan_implILNS1_25lookback_scan_determinismE0ELb1ELb1ES3_N6thrust23THRUST_200600_302600_NS6detail15normal_iteratorINS9_10device_ptrIiEEEENS9_16discard_iteratorINS9_11use_defaultEEEi11max_functorIiEiEEDaPvRmT3_T4_T5_mT6_P12ihipStream_tbENKUlT_T0_E_clISt17integral_constantIbLb1EESX_EEDaSS_ST_EUlSS_E0_NS1_11comp_targetILNS1_3genE5ELNS1_11target_archE942ELNS1_3gpuE9ELNS1_3repE0EEENS1_30default_config_static_selectorELNS0_4arch9wavefront6targetE1EEEvT1_.kd
    .uniform_work_group_size: 1
    .uses_dynamic_stack: false
    .vgpr_count:     0
    .vgpr_spill_count: 0
    .wavefront_size: 64
  - .agpr_count:     0
    .args:
      - .offset:         0
        .size:           40
        .value_kind:     by_value
    .group_segment_fixed_size: 5120
    .kernarg_segment_align: 8
    .kernarg_segment_size: 40
    .language:       OpenCL C
    .language_version:
      - 2
      - 0
    .max_flat_workgroup_size: 128
    .name:           _ZN7rocprim17ROCPRIM_400000_NS6detail17trampoline_kernelINS0_14default_configENS1_20scan_config_selectorIiEEZZNS1_9scan_implILNS1_25lookback_scan_determinismE0ELb1ELb1ES3_N6thrust23THRUST_200600_302600_NS6detail15normal_iteratorINS9_10device_ptrIiEEEENS9_16discard_iteratorINS9_11use_defaultEEEi11max_functorIiEiEEDaPvRmT3_T4_T5_mT6_P12ihipStream_tbENKUlT_T0_E_clISt17integral_constantIbLb1EESX_EEDaSS_ST_EUlSS_E0_NS1_11comp_targetILNS1_3genE4ELNS1_11target_archE910ELNS1_3gpuE8ELNS1_3repE0EEENS1_30default_config_static_selectorELNS0_4arch9wavefront6targetE1EEEvT1_
    .private_segment_fixed_size: 0
    .sgpr_count:     12
    .sgpr_spill_count: 0
    .symbol:         _ZN7rocprim17ROCPRIM_400000_NS6detail17trampoline_kernelINS0_14default_configENS1_20scan_config_selectorIiEEZZNS1_9scan_implILNS1_25lookback_scan_determinismE0ELb1ELb1ES3_N6thrust23THRUST_200600_302600_NS6detail15normal_iteratorINS9_10device_ptrIiEEEENS9_16discard_iteratorINS9_11use_defaultEEEi11max_functorIiEiEEDaPvRmT3_T4_T5_mT6_P12ihipStream_tbENKUlT_T0_E_clISt17integral_constantIbLb1EESX_EEDaSS_ST_EUlSS_E0_NS1_11comp_targetILNS1_3genE4ELNS1_11target_archE910ELNS1_3gpuE8ELNS1_3repE0EEENS1_30default_config_static_selectorELNS0_4arch9wavefront6targetE1EEEvT1_.kd
    .uniform_work_group_size: 1
    .uses_dynamic_stack: false
    .vgpr_count:     18
    .vgpr_spill_count: 0
    .wavefront_size: 64
  - .agpr_count:     0
    .args:
      - .offset:         0
        .size:           40
        .value_kind:     by_value
    .group_segment_fixed_size: 0
    .kernarg_segment_align: 8
    .kernarg_segment_size: 40
    .language:       OpenCL C
    .language_version:
      - 2
      - 0
    .max_flat_workgroup_size: 256
    .name:           _ZN7rocprim17ROCPRIM_400000_NS6detail17trampoline_kernelINS0_14default_configENS1_20scan_config_selectorIiEEZZNS1_9scan_implILNS1_25lookback_scan_determinismE0ELb1ELb1ES3_N6thrust23THRUST_200600_302600_NS6detail15normal_iteratorINS9_10device_ptrIiEEEENS9_16discard_iteratorINS9_11use_defaultEEEi11max_functorIiEiEEDaPvRmT3_T4_T5_mT6_P12ihipStream_tbENKUlT_T0_E_clISt17integral_constantIbLb1EESX_EEDaSS_ST_EUlSS_E0_NS1_11comp_targetILNS1_3genE3ELNS1_11target_archE908ELNS1_3gpuE7ELNS1_3repE0EEENS1_30default_config_static_selectorELNS0_4arch9wavefront6targetE1EEEvT1_
    .private_segment_fixed_size: 0
    .sgpr_count:     4
    .sgpr_spill_count: 0
    .symbol:         _ZN7rocprim17ROCPRIM_400000_NS6detail17trampoline_kernelINS0_14default_configENS1_20scan_config_selectorIiEEZZNS1_9scan_implILNS1_25lookback_scan_determinismE0ELb1ELb1ES3_N6thrust23THRUST_200600_302600_NS6detail15normal_iteratorINS9_10device_ptrIiEEEENS9_16discard_iteratorINS9_11use_defaultEEEi11max_functorIiEiEEDaPvRmT3_T4_T5_mT6_P12ihipStream_tbENKUlT_T0_E_clISt17integral_constantIbLb1EESX_EEDaSS_ST_EUlSS_E0_NS1_11comp_targetILNS1_3genE3ELNS1_11target_archE908ELNS1_3gpuE7ELNS1_3repE0EEENS1_30default_config_static_selectorELNS0_4arch9wavefront6targetE1EEEvT1_.kd
    .uniform_work_group_size: 1
    .uses_dynamic_stack: false
    .vgpr_count:     0
    .vgpr_spill_count: 0
    .wavefront_size: 64
  - .agpr_count:     0
    .args:
      - .offset:         0
        .size:           40
        .value_kind:     by_value
    .group_segment_fixed_size: 0
    .kernarg_segment_align: 8
    .kernarg_segment_size: 40
    .language:       OpenCL C
    .language_version:
      - 2
      - 0
    .max_flat_workgroup_size: 256
    .name:           _ZN7rocprim17ROCPRIM_400000_NS6detail17trampoline_kernelINS0_14default_configENS1_20scan_config_selectorIiEEZZNS1_9scan_implILNS1_25lookback_scan_determinismE0ELb1ELb1ES3_N6thrust23THRUST_200600_302600_NS6detail15normal_iteratorINS9_10device_ptrIiEEEENS9_16discard_iteratorINS9_11use_defaultEEEi11max_functorIiEiEEDaPvRmT3_T4_T5_mT6_P12ihipStream_tbENKUlT_T0_E_clISt17integral_constantIbLb1EESX_EEDaSS_ST_EUlSS_E0_NS1_11comp_targetILNS1_3genE2ELNS1_11target_archE906ELNS1_3gpuE6ELNS1_3repE0EEENS1_30default_config_static_selectorELNS0_4arch9wavefront6targetE1EEEvT1_
    .private_segment_fixed_size: 0
    .sgpr_count:     4
    .sgpr_spill_count: 0
    .symbol:         _ZN7rocprim17ROCPRIM_400000_NS6detail17trampoline_kernelINS0_14default_configENS1_20scan_config_selectorIiEEZZNS1_9scan_implILNS1_25lookback_scan_determinismE0ELb1ELb1ES3_N6thrust23THRUST_200600_302600_NS6detail15normal_iteratorINS9_10device_ptrIiEEEENS9_16discard_iteratorINS9_11use_defaultEEEi11max_functorIiEiEEDaPvRmT3_T4_T5_mT6_P12ihipStream_tbENKUlT_T0_E_clISt17integral_constantIbLb1EESX_EEDaSS_ST_EUlSS_E0_NS1_11comp_targetILNS1_3genE2ELNS1_11target_archE906ELNS1_3gpuE6ELNS1_3repE0EEENS1_30default_config_static_selectorELNS0_4arch9wavefront6targetE1EEEvT1_.kd
    .uniform_work_group_size: 1
    .uses_dynamic_stack: false
    .vgpr_count:     0
    .vgpr_spill_count: 0
    .wavefront_size: 64
  - .agpr_count:     0
    .args:
      - .offset:         0
        .size:           40
        .value_kind:     by_value
    .group_segment_fixed_size: 0
    .kernarg_segment_align: 8
    .kernarg_segment_size: 40
    .language:       OpenCL C
    .language_version:
      - 2
      - 0
    .max_flat_workgroup_size: 256
    .name:           _ZN7rocprim17ROCPRIM_400000_NS6detail17trampoline_kernelINS0_14default_configENS1_20scan_config_selectorIiEEZZNS1_9scan_implILNS1_25lookback_scan_determinismE0ELb1ELb1ES3_N6thrust23THRUST_200600_302600_NS6detail15normal_iteratorINS9_10device_ptrIiEEEENS9_16discard_iteratorINS9_11use_defaultEEEi11max_functorIiEiEEDaPvRmT3_T4_T5_mT6_P12ihipStream_tbENKUlT_T0_E_clISt17integral_constantIbLb1EESX_EEDaSS_ST_EUlSS_E0_NS1_11comp_targetILNS1_3genE10ELNS1_11target_archE1201ELNS1_3gpuE5ELNS1_3repE0EEENS1_30default_config_static_selectorELNS0_4arch9wavefront6targetE1EEEvT1_
    .private_segment_fixed_size: 0
    .sgpr_count:     4
    .sgpr_spill_count: 0
    .symbol:         _ZN7rocprim17ROCPRIM_400000_NS6detail17trampoline_kernelINS0_14default_configENS1_20scan_config_selectorIiEEZZNS1_9scan_implILNS1_25lookback_scan_determinismE0ELb1ELb1ES3_N6thrust23THRUST_200600_302600_NS6detail15normal_iteratorINS9_10device_ptrIiEEEENS9_16discard_iteratorINS9_11use_defaultEEEi11max_functorIiEiEEDaPvRmT3_T4_T5_mT6_P12ihipStream_tbENKUlT_T0_E_clISt17integral_constantIbLb1EESX_EEDaSS_ST_EUlSS_E0_NS1_11comp_targetILNS1_3genE10ELNS1_11target_archE1201ELNS1_3gpuE5ELNS1_3repE0EEENS1_30default_config_static_selectorELNS0_4arch9wavefront6targetE1EEEvT1_.kd
    .uniform_work_group_size: 1
    .uses_dynamic_stack: false
    .vgpr_count:     0
    .vgpr_spill_count: 0
    .wavefront_size: 64
  - .agpr_count:     0
    .args:
      - .offset:         0
        .size:           40
        .value_kind:     by_value
    .group_segment_fixed_size: 0
    .kernarg_segment_align: 8
    .kernarg_segment_size: 40
    .language:       OpenCL C
    .language_version:
      - 2
      - 0
    .max_flat_workgroup_size: 256
    .name:           _ZN7rocprim17ROCPRIM_400000_NS6detail17trampoline_kernelINS0_14default_configENS1_20scan_config_selectorIiEEZZNS1_9scan_implILNS1_25lookback_scan_determinismE0ELb1ELb1ES3_N6thrust23THRUST_200600_302600_NS6detail15normal_iteratorINS9_10device_ptrIiEEEENS9_16discard_iteratorINS9_11use_defaultEEEi11max_functorIiEiEEDaPvRmT3_T4_T5_mT6_P12ihipStream_tbENKUlT_T0_E_clISt17integral_constantIbLb1EESX_EEDaSS_ST_EUlSS_E0_NS1_11comp_targetILNS1_3genE10ELNS1_11target_archE1200ELNS1_3gpuE4ELNS1_3repE0EEENS1_30default_config_static_selectorELNS0_4arch9wavefront6targetE1EEEvT1_
    .private_segment_fixed_size: 0
    .sgpr_count:     4
    .sgpr_spill_count: 0
    .symbol:         _ZN7rocprim17ROCPRIM_400000_NS6detail17trampoline_kernelINS0_14default_configENS1_20scan_config_selectorIiEEZZNS1_9scan_implILNS1_25lookback_scan_determinismE0ELb1ELb1ES3_N6thrust23THRUST_200600_302600_NS6detail15normal_iteratorINS9_10device_ptrIiEEEENS9_16discard_iteratorINS9_11use_defaultEEEi11max_functorIiEiEEDaPvRmT3_T4_T5_mT6_P12ihipStream_tbENKUlT_T0_E_clISt17integral_constantIbLb1EESX_EEDaSS_ST_EUlSS_E0_NS1_11comp_targetILNS1_3genE10ELNS1_11target_archE1200ELNS1_3gpuE4ELNS1_3repE0EEENS1_30default_config_static_selectorELNS0_4arch9wavefront6targetE1EEEvT1_.kd
    .uniform_work_group_size: 1
    .uses_dynamic_stack: false
    .vgpr_count:     0
    .vgpr_spill_count: 0
    .wavefront_size: 64
  - .agpr_count:     0
    .args:
      - .offset:         0
        .size:           40
        .value_kind:     by_value
    .group_segment_fixed_size: 0
    .kernarg_segment_align: 8
    .kernarg_segment_size: 40
    .language:       OpenCL C
    .language_version:
      - 2
      - 0
    .max_flat_workgroup_size: 256
    .name:           _ZN7rocprim17ROCPRIM_400000_NS6detail17trampoline_kernelINS0_14default_configENS1_20scan_config_selectorIiEEZZNS1_9scan_implILNS1_25lookback_scan_determinismE0ELb1ELb1ES3_N6thrust23THRUST_200600_302600_NS6detail15normal_iteratorINS9_10device_ptrIiEEEENS9_16discard_iteratorINS9_11use_defaultEEEi11max_functorIiEiEEDaPvRmT3_T4_T5_mT6_P12ihipStream_tbENKUlT_T0_E_clISt17integral_constantIbLb1EESX_EEDaSS_ST_EUlSS_E0_NS1_11comp_targetILNS1_3genE9ELNS1_11target_archE1100ELNS1_3gpuE3ELNS1_3repE0EEENS1_30default_config_static_selectorELNS0_4arch9wavefront6targetE1EEEvT1_
    .private_segment_fixed_size: 0
    .sgpr_count:     4
    .sgpr_spill_count: 0
    .symbol:         _ZN7rocprim17ROCPRIM_400000_NS6detail17trampoline_kernelINS0_14default_configENS1_20scan_config_selectorIiEEZZNS1_9scan_implILNS1_25lookback_scan_determinismE0ELb1ELb1ES3_N6thrust23THRUST_200600_302600_NS6detail15normal_iteratorINS9_10device_ptrIiEEEENS9_16discard_iteratorINS9_11use_defaultEEEi11max_functorIiEiEEDaPvRmT3_T4_T5_mT6_P12ihipStream_tbENKUlT_T0_E_clISt17integral_constantIbLb1EESX_EEDaSS_ST_EUlSS_E0_NS1_11comp_targetILNS1_3genE9ELNS1_11target_archE1100ELNS1_3gpuE3ELNS1_3repE0EEENS1_30default_config_static_selectorELNS0_4arch9wavefront6targetE1EEEvT1_.kd
    .uniform_work_group_size: 1
    .uses_dynamic_stack: false
    .vgpr_count:     0
    .vgpr_spill_count: 0
    .wavefront_size: 64
  - .agpr_count:     0
    .args:
      - .offset:         0
        .size:           40
        .value_kind:     by_value
    .group_segment_fixed_size: 0
    .kernarg_segment_align: 8
    .kernarg_segment_size: 40
    .language:       OpenCL C
    .language_version:
      - 2
      - 0
    .max_flat_workgroup_size: 64
    .name:           _ZN7rocprim17ROCPRIM_400000_NS6detail17trampoline_kernelINS0_14default_configENS1_20scan_config_selectorIiEEZZNS1_9scan_implILNS1_25lookback_scan_determinismE0ELb1ELb1ES3_N6thrust23THRUST_200600_302600_NS6detail15normal_iteratorINS9_10device_ptrIiEEEENS9_16discard_iteratorINS9_11use_defaultEEEi11max_functorIiEiEEDaPvRmT3_T4_T5_mT6_P12ihipStream_tbENKUlT_T0_E_clISt17integral_constantIbLb1EESX_EEDaSS_ST_EUlSS_E0_NS1_11comp_targetILNS1_3genE8ELNS1_11target_archE1030ELNS1_3gpuE2ELNS1_3repE0EEENS1_30default_config_static_selectorELNS0_4arch9wavefront6targetE1EEEvT1_
    .private_segment_fixed_size: 0
    .sgpr_count:     4
    .sgpr_spill_count: 0
    .symbol:         _ZN7rocprim17ROCPRIM_400000_NS6detail17trampoline_kernelINS0_14default_configENS1_20scan_config_selectorIiEEZZNS1_9scan_implILNS1_25lookback_scan_determinismE0ELb1ELb1ES3_N6thrust23THRUST_200600_302600_NS6detail15normal_iteratorINS9_10device_ptrIiEEEENS9_16discard_iteratorINS9_11use_defaultEEEi11max_functorIiEiEEDaPvRmT3_T4_T5_mT6_P12ihipStream_tbENKUlT_T0_E_clISt17integral_constantIbLb1EESX_EEDaSS_ST_EUlSS_E0_NS1_11comp_targetILNS1_3genE8ELNS1_11target_archE1030ELNS1_3gpuE2ELNS1_3repE0EEENS1_30default_config_static_selectorELNS0_4arch9wavefront6targetE1EEEvT1_.kd
    .uniform_work_group_size: 1
    .uses_dynamic_stack: false
    .vgpr_count:     0
    .vgpr_spill_count: 0
    .wavefront_size: 64
  - .agpr_count:     0
    .args:
      - .offset:         0
        .size:           104
        .value_kind:     by_value
    .group_segment_fixed_size: 0
    .kernarg_segment_align: 8
    .kernarg_segment_size: 104
    .language:       OpenCL C
    .language_version:
      - 2
      - 0
    .max_flat_workgroup_size: 256
    .name:           _ZN7rocprim17ROCPRIM_400000_NS6detail17trampoline_kernelINS0_14default_configENS1_20scan_config_selectorIiEEZZNS1_9scan_implILNS1_25lookback_scan_determinismE0ELb1ELb1ES3_N6thrust23THRUST_200600_302600_NS6detail15normal_iteratorINS9_10device_ptrIiEEEENS9_16discard_iteratorINS9_11use_defaultEEEi11max_functorIiEiEEDaPvRmT3_T4_T5_mT6_P12ihipStream_tbENKUlT_T0_E_clISt17integral_constantIbLb1EESW_IbLb0EEEEDaSS_ST_EUlSS_E_NS1_11comp_targetILNS1_3genE0ELNS1_11target_archE4294967295ELNS1_3gpuE0ELNS1_3repE0EEENS1_30default_config_static_selectorELNS0_4arch9wavefront6targetE1EEEvT1_
    .private_segment_fixed_size: 0
    .sgpr_count:     4
    .sgpr_spill_count: 0
    .symbol:         _ZN7rocprim17ROCPRIM_400000_NS6detail17trampoline_kernelINS0_14default_configENS1_20scan_config_selectorIiEEZZNS1_9scan_implILNS1_25lookback_scan_determinismE0ELb1ELb1ES3_N6thrust23THRUST_200600_302600_NS6detail15normal_iteratorINS9_10device_ptrIiEEEENS9_16discard_iteratorINS9_11use_defaultEEEi11max_functorIiEiEEDaPvRmT3_T4_T5_mT6_P12ihipStream_tbENKUlT_T0_E_clISt17integral_constantIbLb1EESW_IbLb0EEEEDaSS_ST_EUlSS_E_NS1_11comp_targetILNS1_3genE0ELNS1_11target_archE4294967295ELNS1_3gpuE0ELNS1_3repE0EEENS1_30default_config_static_selectorELNS0_4arch9wavefront6targetE1EEEvT1_.kd
    .uniform_work_group_size: 1
    .uses_dynamic_stack: false
    .vgpr_count:     0
    .vgpr_spill_count: 0
    .wavefront_size: 64
  - .agpr_count:     0
    .args:
      - .offset:         0
        .size:           104
        .value_kind:     by_value
    .group_segment_fixed_size: 0
    .kernarg_segment_align: 8
    .kernarg_segment_size: 104
    .language:       OpenCL C
    .language_version:
      - 2
      - 0
    .max_flat_workgroup_size: 256
    .name:           _ZN7rocprim17ROCPRIM_400000_NS6detail17trampoline_kernelINS0_14default_configENS1_20scan_config_selectorIiEEZZNS1_9scan_implILNS1_25lookback_scan_determinismE0ELb1ELb1ES3_N6thrust23THRUST_200600_302600_NS6detail15normal_iteratorINS9_10device_ptrIiEEEENS9_16discard_iteratorINS9_11use_defaultEEEi11max_functorIiEiEEDaPvRmT3_T4_T5_mT6_P12ihipStream_tbENKUlT_T0_E_clISt17integral_constantIbLb1EESW_IbLb0EEEEDaSS_ST_EUlSS_E_NS1_11comp_targetILNS1_3genE5ELNS1_11target_archE942ELNS1_3gpuE9ELNS1_3repE0EEENS1_30default_config_static_selectorELNS0_4arch9wavefront6targetE1EEEvT1_
    .private_segment_fixed_size: 0
    .sgpr_count:     4
    .sgpr_spill_count: 0
    .symbol:         _ZN7rocprim17ROCPRIM_400000_NS6detail17trampoline_kernelINS0_14default_configENS1_20scan_config_selectorIiEEZZNS1_9scan_implILNS1_25lookback_scan_determinismE0ELb1ELb1ES3_N6thrust23THRUST_200600_302600_NS6detail15normal_iteratorINS9_10device_ptrIiEEEENS9_16discard_iteratorINS9_11use_defaultEEEi11max_functorIiEiEEDaPvRmT3_T4_T5_mT6_P12ihipStream_tbENKUlT_T0_E_clISt17integral_constantIbLb1EESW_IbLb0EEEEDaSS_ST_EUlSS_E_NS1_11comp_targetILNS1_3genE5ELNS1_11target_archE942ELNS1_3gpuE9ELNS1_3repE0EEENS1_30default_config_static_selectorELNS0_4arch9wavefront6targetE1EEEvT1_.kd
    .uniform_work_group_size: 1
    .uses_dynamic_stack: false
    .vgpr_count:     0
    .vgpr_spill_count: 0
    .wavefront_size: 64
  - .agpr_count:     0
    .args:
      - .offset:         0
        .size:           104
        .value_kind:     by_value
    .group_segment_fixed_size: 5120
    .kernarg_segment_align: 8
    .kernarg_segment_size: 104
    .language:       OpenCL C
    .language_version:
      - 2
      - 0
    .max_flat_workgroup_size: 128
    .name:           _ZN7rocprim17ROCPRIM_400000_NS6detail17trampoline_kernelINS0_14default_configENS1_20scan_config_selectorIiEEZZNS1_9scan_implILNS1_25lookback_scan_determinismE0ELb1ELb1ES3_N6thrust23THRUST_200600_302600_NS6detail15normal_iteratorINS9_10device_ptrIiEEEENS9_16discard_iteratorINS9_11use_defaultEEEi11max_functorIiEiEEDaPvRmT3_T4_T5_mT6_P12ihipStream_tbENKUlT_T0_E_clISt17integral_constantIbLb1EESW_IbLb0EEEEDaSS_ST_EUlSS_E_NS1_11comp_targetILNS1_3genE4ELNS1_11target_archE910ELNS1_3gpuE8ELNS1_3repE0EEENS1_30default_config_static_selectorELNS0_4arch9wavefront6targetE1EEEvT1_
    .private_segment_fixed_size: 0
    .sgpr_count:     30
    .sgpr_spill_count: 0
    .symbol:         _ZN7rocprim17ROCPRIM_400000_NS6detail17trampoline_kernelINS0_14default_configENS1_20scan_config_selectorIiEEZZNS1_9scan_implILNS1_25lookback_scan_determinismE0ELb1ELb1ES3_N6thrust23THRUST_200600_302600_NS6detail15normal_iteratorINS9_10device_ptrIiEEEENS9_16discard_iteratorINS9_11use_defaultEEEi11max_functorIiEiEEDaPvRmT3_T4_T5_mT6_P12ihipStream_tbENKUlT_T0_E_clISt17integral_constantIbLb1EESW_IbLb0EEEEDaSS_ST_EUlSS_E_NS1_11comp_targetILNS1_3genE4ELNS1_11target_archE910ELNS1_3gpuE8ELNS1_3repE0EEENS1_30default_config_static_selectorELNS0_4arch9wavefront6targetE1EEEvT1_.kd
    .uniform_work_group_size: 1
    .uses_dynamic_stack: false
    .vgpr_count:     40
    .vgpr_spill_count: 0
    .wavefront_size: 64
  - .agpr_count:     0
    .args:
      - .offset:         0
        .size:           104
        .value_kind:     by_value
    .group_segment_fixed_size: 0
    .kernarg_segment_align: 8
    .kernarg_segment_size: 104
    .language:       OpenCL C
    .language_version:
      - 2
      - 0
    .max_flat_workgroup_size: 256
    .name:           _ZN7rocprim17ROCPRIM_400000_NS6detail17trampoline_kernelINS0_14default_configENS1_20scan_config_selectorIiEEZZNS1_9scan_implILNS1_25lookback_scan_determinismE0ELb1ELb1ES3_N6thrust23THRUST_200600_302600_NS6detail15normal_iteratorINS9_10device_ptrIiEEEENS9_16discard_iteratorINS9_11use_defaultEEEi11max_functorIiEiEEDaPvRmT3_T4_T5_mT6_P12ihipStream_tbENKUlT_T0_E_clISt17integral_constantIbLb1EESW_IbLb0EEEEDaSS_ST_EUlSS_E_NS1_11comp_targetILNS1_3genE3ELNS1_11target_archE908ELNS1_3gpuE7ELNS1_3repE0EEENS1_30default_config_static_selectorELNS0_4arch9wavefront6targetE1EEEvT1_
    .private_segment_fixed_size: 0
    .sgpr_count:     4
    .sgpr_spill_count: 0
    .symbol:         _ZN7rocprim17ROCPRIM_400000_NS6detail17trampoline_kernelINS0_14default_configENS1_20scan_config_selectorIiEEZZNS1_9scan_implILNS1_25lookback_scan_determinismE0ELb1ELb1ES3_N6thrust23THRUST_200600_302600_NS6detail15normal_iteratorINS9_10device_ptrIiEEEENS9_16discard_iteratorINS9_11use_defaultEEEi11max_functorIiEiEEDaPvRmT3_T4_T5_mT6_P12ihipStream_tbENKUlT_T0_E_clISt17integral_constantIbLb1EESW_IbLb0EEEEDaSS_ST_EUlSS_E_NS1_11comp_targetILNS1_3genE3ELNS1_11target_archE908ELNS1_3gpuE7ELNS1_3repE0EEENS1_30default_config_static_selectorELNS0_4arch9wavefront6targetE1EEEvT1_.kd
    .uniform_work_group_size: 1
    .uses_dynamic_stack: false
    .vgpr_count:     0
    .vgpr_spill_count: 0
    .wavefront_size: 64
  - .agpr_count:     0
    .args:
      - .offset:         0
        .size:           104
        .value_kind:     by_value
    .group_segment_fixed_size: 0
    .kernarg_segment_align: 8
    .kernarg_segment_size: 104
    .language:       OpenCL C
    .language_version:
      - 2
      - 0
    .max_flat_workgroup_size: 256
    .name:           _ZN7rocprim17ROCPRIM_400000_NS6detail17trampoline_kernelINS0_14default_configENS1_20scan_config_selectorIiEEZZNS1_9scan_implILNS1_25lookback_scan_determinismE0ELb1ELb1ES3_N6thrust23THRUST_200600_302600_NS6detail15normal_iteratorINS9_10device_ptrIiEEEENS9_16discard_iteratorINS9_11use_defaultEEEi11max_functorIiEiEEDaPvRmT3_T4_T5_mT6_P12ihipStream_tbENKUlT_T0_E_clISt17integral_constantIbLb1EESW_IbLb0EEEEDaSS_ST_EUlSS_E_NS1_11comp_targetILNS1_3genE2ELNS1_11target_archE906ELNS1_3gpuE6ELNS1_3repE0EEENS1_30default_config_static_selectorELNS0_4arch9wavefront6targetE1EEEvT1_
    .private_segment_fixed_size: 0
    .sgpr_count:     4
    .sgpr_spill_count: 0
    .symbol:         _ZN7rocprim17ROCPRIM_400000_NS6detail17trampoline_kernelINS0_14default_configENS1_20scan_config_selectorIiEEZZNS1_9scan_implILNS1_25lookback_scan_determinismE0ELb1ELb1ES3_N6thrust23THRUST_200600_302600_NS6detail15normal_iteratorINS9_10device_ptrIiEEEENS9_16discard_iteratorINS9_11use_defaultEEEi11max_functorIiEiEEDaPvRmT3_T4_T5_mT6_P12ihipStream_tbENKUlT_T0_E_clISt17integral_constantIbLb1EESW_IbLb0EEEEDaSS_ST_EUlSS_E_NS1_11comp_targetILNS1_3genE2ELNS1_11target_archE906ELNS1_3gpuE6ELNS1_3repE0EEENS1_30default_config_static_selectorELNS0_4arch9wavefront6targetE1EEEvT1_.kd
    .uniform_work_group_size: 1
    .uses_dynamic_stack: false
    .vgpr_count:     0
    .vgpr_spill_count: 0
    .wavefront_size: 64
  - .agpr_count:     0
    .args:
      - .offset:         0
        .size:           104
        .value_kind:     by_value
    .group_segment_fixed_size: 0
    .kernarg_segment_align: 8
    .kernarg_segment_size: 104
    .language:       OpenCL C
    .language_version:
      - 2
      - 0
    .max_flat_workgroup_size: 256
    .name:           _ZN7rocprim17ROCPRIM_400000_NS6detail17trampoline_kernelINS0_14default_configENS1_20scan_config_selectorIiEEZZNS1_9scan_implILNS1_25lookback_scan_determinismE0ELb1ELb1ES3_N6thrust23THRUST_200600_302600_NS6detail15normal_iteratorINS9_10device_ptrIiEEEENS9_16discard_iteratorINS9_11use_defaultEEEi11max_functorIiEiEEDaPvRmT3_T4_T5_mT6_P12ihipStream_tbENKUlT_T0_E_clISt17integral_constantIbLb1EESW_IbLb0EEEEDaSS_ST_EUlSS_E_NS1_11comp_targetILNS1_3genE10ELNS1_11target_archE1201ELNS1_3gpuE5ELNS1_3repE0EEENS1_30default_config_static_selectorELNS0_4arch9wavefront6targetE1EEEvT1_
    .private_segment_fixed_size: 0
    .sgpr_count:     4
    .sgpr_spill_count: 0
    .symbol:         _ZN7rocprim17ROCPRIM_400000_NS6detail17trampoline_kernelINS0_14default_configENS1_20scan_config_selectorIiEEZZNS1_9scan_implILNS1_25lookback_scan_determinismE0ELb1ELb1ES3_N6thrust23THRUST_200600_302600_NS6detail15normal_iteratorINS9_10device_ptrIiEEEENS9_16discard_iteratorINS9_11use_defaultEEEi11max_functorIiEiEEDaPvRmT3_T4_T5_mT6_P12ihipStream_tbENKUlT_T0_E_clISt17integral_constantIbLb1EESW_IbLb0EEEEDaSS_ST_EUlSS_E_NS1_11comp_targetILNS1_3genE10ELNS1_11target_archE1201ELNS1_3gpuE5ELNS1_3repE0EEENS1_30default_config_static_selectorELNS0_4arch9wavefront6targetE1EEEvT1_.kd
    .uniform_work_group_size: 1
    .uses_dynamic_stack: false
    .vgpr_count:     0
    .vgpr_spill_count: 0
    .wavefront_size: 64
  - .agpr_count:     0
    .args:
      - .offset:         0
        .size:           104
        .value_kind:     by_value
    .group_segment_fixed_size: 0
    .kernarg_segment_align: 8
    .kernarg_segment_size: 104
    .language:       OpenCL C
    .language_version:
      - 2
      - 0
    .max_flat_workgroup_size: 256
    .name:           _ZN7rocprim17ROCPRIM_400000_NS6detail17trampoline_kernelINS0_14default_configENS1_20scan_config_selectorIiEEZZNS1_9scan_implILNS1_25lookback_scan_determinismE0ELb1ELb1ES3_N6thrust23THRUST_200600_302600_NS6detail15normal_iteratorINS9_10device_ptrIiEEEENS9_16discard_iteratorINS9_11use_defaultEEEi11max_functorIiEiEEDaPvRmT3_T4_T5_mT6_P12ihipStream_tbENKUlT_T0_E_clISt17integral_constantIbLb1EESW_IbLb0EEEEDaSS_ST_EUlSS_E_NS1_11comp_targetILNS1_3genE10ELNS1_11target_archE1200ELNS1_3gpuE4ELNS1_3repE0EEENS1_30default_config_static_selectorELNS0_4arch9wavefront6targetE1EEEvT1_
    .private_segment_fixed_size: 0
    .sgpr_count:     4
    .sgpr_spill_count: 0
    .symbol:         _ZN7rocprim17ROCPRIM_400000_NS6detail17trampoline_kernelINS0_14default_configENS1_20scan_config_selectorIiEEZZNS1_9scan_implILNS1_25lookback_scan_determinismE0ELb1ELb1ES3_N6thrust23THRUST_200600_302600_NS6detail15normal_iteratorINS9_10device_ptrIiEEEENS9_16discard_iteratorINS9_11use_defaultEEEi11max_functorIiEiEEDaPvRmT3_T4_T5_mT6_P12ihipStream_tbENKUlT_T0_E_clISt17integral_constantIbLb1EESW_IbLb0EEEEDaSS_ST_EUlSS_E_NS1_11comp_targetILNS1_3genE10ELNS1_11target_archE1200ELNS1_3gpuE4ELNS1_3repE0EEENS1_30default_config_static_selectorELNS0_4arch9wavefront6targetE1EEEvT1_.kd
    .uniform_work_group_size: 1
    .uses_dynamic_stack: false
    .vgpr_count:     0
    .vgpr_spill_count: 0
    .wavefront_size: 64
  - .agpr_count:     0
    .args:
      - .offset:         0
        .size:           104
        .value_kind:     by_value
    .group_segment_fixed_size: 0
    .kernarg_segment_align: 8
    .kernarg_segment_size: 104
    .language:       OpenCL C
    .language_version:
      - 2
      - 0
    .max_flat_workgroup_size: 256
    .name:           _ZN7rocprim17ROCPRIM_400000_NS6detail17trampoline_kernelINS0_14default_configENS1_20scan_config_selectorIiEEZZNS1_9scan_implILNS1_25lookback_scan_determinismE0ELb1ELb1ES3_N6thrust23THRUST_200600_302600_NS6detail15normal_iteratorINS9_10device_ptrIiEEEENS9_16discard_iteratorINS9_11use_defaultEEEi11max_functorIiEiEEDaPvRmT3_T4_T5_mT6_P12ihipStream_tbENKUlT_T0_E_clISt17integral_constantIbLb1EESW_IbLb0EEEEDaSS_ST_EUlSS_E_NS1_11comp_targetILNS1_3genE9ELNS1_11target_archE1100ELNS1_3gpuE3ELNS1_3repE0EEENS1_30default_config_static_selectorELNS0_4arch9wavefront6targetE1EEEvT1_
    .private_segment_fixed_size: 0
    .sgpr_count:     4
    .sgpr_spill_count: 0
    .symbol:         _ZN7rocprim17ROCPRIM_400000_NS6detail17trampoline_kernelINS0_14default_configENS1_20scan_config_selectorIiEEZZNS1_9scan_implILNS1_25lookback_scan_determinismE0ELb1ELb1ES3_N6thrust23THRUST_200600_302600_NS6detail15normal_iteratorINS9_10device_ptrIiEEEENS9_16discard_iteratorINS9_11use_defaultEEEi11max_functorIiEiEEDaPvRmT3_T4_T5_mT6_P12ihipStream_tbENKUlT_T0_E_clISt17integral_constantIbLb1EESW_IbLb0EEEEDaSS_ST_EUlSS_E_NS1_11comp_targetILNS1_3genE9ELNS1_11target_archE1100ELNS1_3gpuE3ELNS1_3repE0EEENS1_30default_config_static_selectorELNS0_4arch9wavefront6targetE1EEEvT1_.kd
    .uniform_work_group_size: 1
    .uses_dynamic_stack: false
    .vgpr_count:     0
    .vgpr_spill_count: 0
    .wavefront_size: 64
  - .agpr_count:     0
    .args:
      - .offset:         0
        .size:           104
        .value_kind:     by_value
    .group_segment_fixed_size: 0
    .kernarg_segment_align: 8
    .kernarg_segment_size: 104
    .language:       OpenCL C
    .language_version:
      - 2
      - 0
    .max_flat_workgroup_size: 64
    .name:           _ZN7rocprim17ROCPRIM_400000_NS6detail17trampoline_kernelINS0_14default_configENS1_20scan_config_selectorIiEEZZNS1_9scan_implILNS1_25lookback_scan_determinismE0ELb1ELb1ES3_N6thrust23THRUST_200600_302600_NS6detail15normal_iteratorINS9_10device_ptrIiEEEENS9_16discard_iteratorINS9_11use_defaultEEEi11max_functorIiEiEEDaPvRmT3_T4_T5_mT6_P12ihipStream_tbENKUlT_T0_E_clISt17integral_constantIbLb1EESW_IbLb0EEEEDaSS_ST_EUlSS_E_NS1_11comp_targetILNS1_3genE8ELNS1_11target_archE1030ELNS1_3gpuE2ELNS1_3repE0EEENS1_30default_config_static_selectorELNS0_4arch9wavefront6targetE1EEEvT1_
    .private_segment_fixed_size: 0
    .sgpr_count:     4
    .sgpr_spill_count: 0
    .symbol:         _ZN7rocprim17ROCPRIM_400000_NS6detail17trampoline_kernelINS0_14default_configENS1_20scan_config_selectorIiEEZZNS1_9scan_implILNS1_25lookback_scan_determinismE0ELb1ELb1ES3_N6thrust23THRUST_200600_302600_NS6detail15normal_iteratorINS9_10device_ptrIiEEEENS9_16discard_iteratorINS9_11use_defaultEEEi11max_functorIiEiEEDaPvRmT3_T4_T5_mT6_P12ihipStream_tbENKUlT_T0_E_clISt17integral_constantIbLb1EESW_IbLb0EEEEDaSS_ST_EUlSS_E_NS1_11comp_targetILNS1_3genE8ELNS1_11target_archE1030ELNS1_3gpuE2ELNS1_3repE0EEENS1_30default_config_static_selectorELNS0_4arch9wavefront6targetE1EEEvT1_.kd
    .uniform_work_group_size: 1
    .uses_dynamic_stack: false
    .vgpr_count:     0
    .vgpr_spill_count: 0
    .wavefront_size: 64
  - .agpr_count:     0
    .args:
      - .offset:         0
        .size:           40
        .value_kind:     by_value
    .group_segment_fixed_size: 0
    .kernarg_segment_align: 8
    .kernarg_segment_size: 40
    .language:       OpenCL C
    .language_version:
      - 2
      - 0
    .max_flat_workgroup_size: 256
    .name:           _ZN7rocprim17ROCPRIM_400000_NS6detail17trampoline_kernelINS0_14default_configENS1_20scan_config_selectorIiEEZZNS1_9scan_implILNS1_25lookback_scan_determinismE0ELb1ELb1ES3_N6thrust23THRUST_200600_302600_NS6detail15normal_iteratorINS9_10device_ptrIiEEEENS9_16discard_iteratorINS9_11use_defaultEEEi11max_functorIiEiEEDaPvRmT3_T4_T5_mT6_P12ihipStream_tbENKUlT_T0_E_clISt17integral_constantIbLb1EESW_IbLb0EEEEDaSS_ST_EUlSS_E0_NS1_11comp_targetILNS1_3genE0ELNS1_11target_archE4294967295ELNS1_3gpuE0ELNS1_3repE0EEENS1_30default_config_static_selectorELNS0_4arch9wavefront6targetE1EEEvT1_
    .private_segment_fixed_size: 0
    .sgpr_count:     4
    .sgpr_spill_count: 0
    .symbol:         _ZN7rocprim17ROCPRIM_400000_NS6detail17trampoline_kernelINS0_14default_configENS1_20scan_config_selectorIiEEZZNS1_9scan_implILNS1_25lookback_scan_determinismE0ELb1ELb1ES3_N6thrust23THRUST_200600_302600_NS6detail15normal_iteratorINS9_10device_ptrIiEEEENS9_16discard_iteratorINS9_11use_defaultEEEi11max_functorIiEiEEDaPvRmT3_T4_T5_mT6_P12ihipStream_tbENKUlT_T0_E_clISt17integral_constantIbLb1EESW_IbLb0EEEEDaSS_ST_EUlSS_E0_NS1_11comp_targetILNS1_3genE0ELNS1_11target_archE4294967295ELNS1_3gpuE0ELNS1_3repE0EEENS1_30default_config_static_selectorELNS0_4arch9wavefront6targetE1EEEvT1_.kd
    .uniform_work_group_size: 1
    .uses_dynamic_stack: false
    .vgpr_count:     0
    .vgpr_spill_count: 0
    .wavefront_size: 64
  - .agpr_count:     0
    .args:
      - .offset:         0
        .size:           40
        .value_kind:     by_value
    .group_segment_fixed_size: 0
    .kernarg_segment_align: 8
    .kernarg_segment_size: 40
    .language:       OpenCL C
    .language_version:
      - 2
      - 0
    .max_flat_workgroup_size: 256
    .name:           _ZN7rocprim17ROCPRIM_400000_NS6detail17trampoline_kernelINS0_14default_configENS1_20scan_config_selectorIiEEZZNS1_9scan_implILNS1_25lookback_scan_determinismE0ELb1ELb1ES3_N6thrust23THRUST_200600_302600_NS6detail15normal_iteratorINS9_10device_ptrIiEEEENS9_16discard_iteratorINS9_11use_defaultEEEi11max_functorIiEiEEDaPvRmT3_T4_T5_mT6_P12ihipStream_tbENKUlT_T0_E_clISt17integral_constantIbLb1EESW_IbLb0EEEEDaSS_ST_EUlSS_E0_NS1_11comp_targetILNS1_3genE5ELNS1_11target_archE942ELNS1_3gpuE9ELNS1_3repE0EEENS1_30default_config_static_selectorELNS0_4arch9wavefront6targetE1EEEvT1_
    .private_segment_fixed_size: 0
    .sgpr_count:     4
    .sgpr_spill_count: 0
    .symbol:         _ZN7rocprim17ROCPRIM_400000_NS6detail17trampoline_kernelINS0_14default_configENS1_20scan_config_selectorIiEEZZNS1_9scan_implILNS1_25lookback_scan_determinismE0ELb1ELb1ES3_N6thrust23THRUST_200600_302600_NS6detail15normal_iteratorINS9_10device_ptrIiEEEENS9_16discard_iteratorINS9_11use_defaultEEEi11max_functorIiEiEEDaPvRmT3_T4_T5_mT6_P12ihipStream_tbENKUlT_T0_E_clISt17integral_constantIbLb1EESW_IbLb0EEEEDaSS_ST_EUlSS_E0_NS1_11comp_targetILNS1_3genE5ELNS1_11target_archE942ELNS1_3gpuE9ELNS1_3repE0EEENS1_30default_config_static_selectorELNS0_4arch9wavefront6targetE1EEEvT1_.kd
    .uniform_work_group_size: 1
    .uses_dynamic_stack: false
    .vgpr_count:     0
    .vgpr_spill_count: 0
    .wavefront_size: 64
  - .agpr_count:     0
    .args:
      - .offset:         0
        .size:           40
        .value_kind:     by_value
    .group_segment_fixed_size: 5120
    .kernarg_segment_align: 8
    .kernarg_segment_size: 40
    .language:       OpenCL C
    .language_version:
      - 2
      - 0
    .max_flat_workgroup_size: 128
    .name:           _ZN7rocprim17ROCPRIM_400000_NS6detail17trampoline_kernelINS0_14default_configENS1_20scan_config_selectorIiEEZZNS1_9scan_implILNS1_25lookback_scan_determinismE0ELb1ELb1ES3_N6thrust23THRUST_200600_302600_NS6detail15normal_iteratorINS9_10device_ptrIiEEEENS9_16discard_iteratorINS9_11use_defaultEEEi11max_functorIiEiEEDaPvRmT3_T4_T5_mT6_P12ihipStream_tbENKUlT_T0_E_clISt17integral_constantIbLb1EESW_IbLb0EEEEDaSS_ST_EUlSS_E0_NS1_11comp_targetILNS1_3genE4ELNS1_11target_archE910ELNS1_3gpuE8ELNS1_3repE0EEENS1_30default_config_static_selectorELNS0_4arch9wavefront6targetE1EEEvT1_
    .private_segment_fixed_size: 0
    .sgpr_count:     12
    .sgpr_spill_count: 0
    .symbol:         _ZN7rocprim17ROCPRIM_400000_NS6detail17trampoline_kernelINS0_14default_configENS1_20scan_config_selectorIiEEZZNS1_9scan_implILNS1_25lookback_scan_determinismE0ELb1ELb1ES3_N6thrust23THRUST_200600_302600_NS6detail15normal_iteratorINS9_10device_ptrIiEEEENS9_16discard_iteratorINS9_11use_defaultEEEi11max_functorIiEiEEDaPvRmT3_T4_T5_mT6_P12ihipStream_tbENKUlT_T0_E_clISt17integral_constantIbLb1EESW_IbLb0EEEEDaSS_ST_EUlSS_E0_NS1_11comp_targetILNS1_3genE4ELNS1_11target_archE910ELNS1_3gpuE8ELNS1_3repE0EEENS1_30default_config_static_selectorELNS0_4arch9wavefront6targetE1EEEvT1_.kd
    .uniform_work_group_size: 1
    .uses_dynamic_stack: false
    .vgpr_count:     18
    .vgpr_spill_count: 0
    .wavefront_size: 64
  - .agpr_count:     0
    .args:
      - .offset:         0
        .size:           40
        .value_kind:     by_value
    .group_segment_fixed_size: 0
    .kernarg_segment_align: 8
    .kernarg_segment_size: 40
    .language:       OpenCL C
    .language_version:
      - 2
      - 0
    .max_flat_workgroup_size: 256
    .name:           _ZN7rocprim17ROCPRIM_400000_NS6detail17trampoline_kernelINS0_14default_configENS1_20scan_config_selectorIiEEZZNS1_9scan_implILNS1_25lookback_scan_determinismE0ELb1ELb1ES3_N6thrust23THRUST_200600_302600_NS6detail15normal_iteratorINS9_10device_ptrIiEEEENS9_16discard_iteratorINS9_11use_defaultEEEi11max_functorIiEiEEDaPvRmT3_T4_T5_mT6_P12ihipStream_tbENKUlT_T0_E_clISt17integral_constantIbLb1EESW_IbLb0EEEEDaSS_ST_EUlSS_E0_NS1_11comp_targetILNS1_3genE3ELNS1_11target_archE908ELNS1_3gpuE7ELNS1_3repE0EEENS1_30default_config_static_selectorELNS0_4arch9wavefront6targetE1EEEvT1_
    .private_segment_fixed_size: 0
    .sgpr_count:     4
    .sgpr_spill_count: 0
    .symbol:         _ZN7rocprim17ROCPRIM_400000_NS6detail17trampoline_kernelINS0_14default_configENS1_20scan_config_selectorIiEEZZNS1_9scan_implILNS1_25lookback_scan_determinismE0ELb1ELb1ES3_N6thrust23THRUST_200600_302600_NS6detail15normal_iteratorINS9_10device_ptrIiEEEENS9_16discard_iteratorINS9_11use_defaultEEEi11max_functorIiEiEEDaPvRmT3_T4_T5_mT6_P12ihipStream_tbENKUlT_T0_E_clISt17integral_constantIbLb1EESW_IbLb0EEEEDaSS_ST_EUlSS_E0_NS1_11comp_targetILNS1_3genE3ELNS1_11target_archE908ELNS1_3gpuE7ELNS1_3repE0EEENS1_30default_config_static_selectorELNS0_4arch9wavefront6targetE1EEEvT1_.kd
    .uniform_work_group_size: 1
    .uses_dynamic_stack: false
    .vgpr_count:     0
    .vgpr_spill_count: 0
    .wavefront_size: 64
  - .agpr_count:     0
    .args:
      - .offset:         0
        .size:           40
        .value_kind:     by_value
    .group_segment_fixed_size: 0
    .kernarg_segment_align: 8
    .kernarg_segment_size: 40
    .language:       OpenCL C
    .language_version:
      - 2
      - 0
    .max_flat_workgroup_size: 256
    .name:           _ZN7rocprim17ROCPRIM_400000_NS6detail17trampoline_kernelINS0_14default_configENS1_20scan_config_selectorIiEEZZNS1_9scan_implILNS1_25lookback_scan_determinismE0ELb1ELb1ES3_N6thrust23THRUST_200600_302600_NS6detail15normal_iteratorINS9_10device_ptrIiEEEENS9_16discard_iteratorINS9_11use_defaultEEEi11max_functorIiEiEEDaPvRmT3_T4_T5_mT6_P12ihipStream_tbENKUlT_T0_E_clISt17integral_constantIbLb1EESW_IbLb0EEEEDaSS_ST_EUlSS_E0_NS1_11comp_targetILNS1_3genE2ELNS1_11target_archE906ELNS1_3gpuE6ELNS1_3repE0EEENS1_30default_config_static_selectorELNS0_4arch9wavefront6targetE1EEEvT1_
    .private_segment_fixed_size: 0
    .sgpr_count:     4
    .sgpr_spill_count: 0
    .symbol:         _ZN7rocprim17ROCPRIM_400000_NS6detail17trampoline_kernelINS0_14default_configENS1_20scan_config_selectorIiEEZZNS1_9scan_implILNS1_25lookback_scan_determinismE0ELb1ELb1ES3_N6thrust23THRUST_200600_302600_NS6detail15normal_iteratorINS9_10device_ptrIiEEEENS9_16discard_iteratorINS9_11use_defaultEEEi11max_functorIiEiEEDaPvRmT3_T4_T5_mT6_P12ihipStream_tbENKUlT_T0_E_clISt17integral_constantIbLb1EESW_IbLb0EEEEDaSS_ST_EUlSS_E0_NS1_11comp_targetILNS1_3genE2ELNS1_11target_archE906ELNS1_3gpuE6ELNS1_3repE0EEENS1_30default_config_static_selectorELNS0_4arch9wavefront6targetE1EEEvT1_.kd
    .uniform_work_group_size: 1
    .uses_dynamic_stack: false
    .vgpr_count:     0
    .vgpr_spill_count: 0
    .wavefront_size: 64
  - .agpr_count:     0
    .args:
      - .offset:         0
        .size:           40
        .value_kind:     by_value
    .group_segment_fixed_size: 0
    .kernarg_segment_align: 8
    .kernarg_segment_size: 40
    .language:       OpenCL C
    .language_version:
      - 2
      - 0
    .max_flat_workgroup_size: 256
    .name:           _ZN7rocprim17ROCPRIM_400000_NS6detail17trampoline_kernelINS0_14default_configENS1_20scan_config_selectorIiEEZZNS1_9scan_implILNS1_25lookback_scan_determinismE0ELb1ELb1ES3_N6thrust23THRUST_200600_302600_NS6detail15normal_iteratorINS9_10device_ptrIiEEEENS9_16discard_iteratorINS9_11use_defaultEEEi11max_functorIiEiEEDaPvRmT3_T4_T5_mT6_P12ihipStream_tbENKUlT_T0_E_clISt17integral_constantIbLb1EESW_IbLb0EEEEDaSS_ST_EUlSS_E0_NS1_11comp_targetILNS1_3genE10ELNS1_11target_archE1201ELNS1_3gpuE5ELNS1_3repE0EEENS1_30default_config_static_selectorELNS0_4arch9wavefront6targetE1EEEvT1_
    .private_segment_fixed_size: 0
    .sgpr_count:     4
    .sgpr_spill_count: 0
    .symbol:         _ZN7rocprim17ROCPRIM_400000_NS6detail17trampoline_kernelINS0_14default_configENS1_20scan_config_selectorIiEEZZNS1_9scan_implILNS1_25lookback_scan_determinismE0ELb1ELb1ES3_N6thrust23THRUST_200600_302600_NS6detail15normal_iteratorINS9_10device_ptrIiEEEENS9_16discard_iteratorINS9_11use_defaultEEEi11max_functorIiEiEEDaPvRmT3_T4_T5_mT6_P12ihipStream_tbENKUlT_T0_E_clISt17integral_constantIbLb1EESW_IbLb0EEEEDaSS_ST_EUlSS_E0_NS1_11comp_targetILNS1_3genE10ELNS1_11target_archE1201ELNS1_3gpuE5ELNS1_3repE0EEENS1_30default_config_static_selectorELNS0_4arch9wavefront6targetE1EEEvT1_.kd
    .uniform_work_group_size: 1
    .uses_dynamic_stack: false
    .vgpr_count:     0
    .vgpr_spill_count: 0
    .wavefront_size: 64
  - .agpr_count:     0
    .args:
      - .offset:         0
        .size:           40
        .value_kind:     by_value
    .group_segment_fixed_size: 0
    .kernarg_segment_align: 8
    .kernarg_segment_size: 40
    .language:       OpenCL C
    .language_version:
      - 2
      - 0
    .max_flat_workgroup_size: 256
    .name:           _ZN7rocprim17ROCPRIM_400000_NS6detail17trampoline_kernelINS0_14default_configENS1_20scan_config_selectorIiEEZZNS1_9scan_implILNS1_25lookback_scan_determinismE0ELb1ELb1ES3_N6thrust23THRUST_200600_302600_NS6detail15normal_iteratorINS9_10device_ptrIiEEEENS9_16discard_iteratorINS9_11use_defaultEEEi11max_functorIiEiEEDaPvRmT3_T4_T5_mT6_P12ihipStream_tbENKUlT_T0_E_clISt17integral_constantIbLb1EESW_IbLb0EEEEDaSS_ST_EUlSS_E0_NS1_11comp_targetILNS1_3genE10ELNS1_11target_archE1200ELNS1_3gpuE4ELNS1_3repE0EEENS1_30default_config_static_selectorELNS0_4arch9wavefront6targetE1EEEvT1_
    .private_segment_fixed_size: 0
    .sgpr_count:     4
    .sgpr_spill_count: 0
    .symbol:         _ZN7rocprim17ROCPRIM_400000_NS6detail17trampoline_kernelINS0_14default_configENS1_20scan_config_selectorIiEEZZNS1_9scan_implILNS1_25lookback_scan_determinismE0ELb1ELb1ES3_N6thrust23THRUST_200600_302600_NS6detail15normal_iteratorINS9_10device_ptrIiEEEENS9_16discard_iteratorINS9_11use_defaultEEEi11max_functorIiEiEEDaPvRmT3_T4_T5_mT6_P12ihipStream_tbENKUlT_T0_E_clISt17integral_constantIbLb1EESW_IbLb0EEEEDaSS_ST_EUlSS_E0_NS1_11comp_targetILNS1_3genE10ELNS1_11target_archE1200ELNS1_3gpuE4ELNS1_3repE0EEENS1_30default_config_static_selectorELNS0_4arch9wavefront6targetE1EEEvT1_.kd
    .uniform_work_group_size: 1
    .uses_dynamic_stack: false
    .vgpr_count:     0
    .vgpr_spill_count: 0
    .wavefront_size: 64
  - .agpr_count:     0
    .args:
      - .offset:         0
        .size:           40
        .value_kind:     by_value
    .group_segment_fixed_size: 0
    .kernarg_segment_align: 8
    .kernarg_segment_size: 40
    .language:       OpenCL C
    .language_version:
      - 2
      - 0
    .max_flat_workgroup_size: 256
    .name:           _ZN7rocprim17ROCPRIM_400000_NS6detail17trampoline_kernelINS0_14default_configENS1_20scan_config_selectorIiEEZZNS1_9scan_implILNS1_25lookback_scan_determinismE0ELb1ELb1ES3_N6thrust23THRUST_200600_302600_NS6detail15normal_iteratorINS9_10device_ptrIiEEEENS9_16discard_iteratorINS9_11use_defaultEEEi11max_functorIiEiEEDaPvRmT3_T4_T5_mT6_P12ihipStream_tbENKUlT_T0_E_clISt17integral_constantIbLb1EESW_IbLb0EEEEDaSS_ST_EUlSS_E0_NS1_11comp_targetILNS1_3genE9ELNS1_11target_archE1100ELNS1_3gpuE3ELNS1_3repE0EEENS1_30default_config_static_selectorELNS0_4arch9wavefront6targetE1EEEvT1_
    .private_segment_fixed_size: 0
    .sgpr_count:     4
    .sgpr_spill_count: 0
    .symbol:         _ZN7rocprim17ROCPRIM_400000_NS6detail17trampoline_kernelINS0_14default_configENS1_20scan_config_selectorIiEEZZNS1_9scan_implILNS1_25lookback_scan_determinismE0ELb1ELb1ES3_N6thrust23THRUST_200600_302600_NS6detail15normal_iteratorINS9_10device_ptrIiEEEENS9_16discard_iteratorINS9_11use_defaultEEEi11max_functorIiEiEEDaPvRmT3_T4_T5_mT6_P12ihipStream_tbENKUlT_T0_E_clISt17integral_constantIbLb1EESW_IbLb0EEEEDaSS_ST_EUlSS_E0_NS1_11comp_targetILNS1_3genE9ELNS1_11target_archE1100ELNS1_3gpuE3ELNS1_3repE0EEENS1_30default_config_static_selectorELNS0_4arch9wavefront6targetE1EEEvT1_.kd
    .uniform_work_group_size: 1
    .uses_dynamic_stack: false
    .vgpr_count:     0
    .vgpr_spill_count: 0
    .wavefront_size: 64
  - .agpr_count:     0
    .args:
      - .offset:         0
        .size:           40
        .value_kind:     by_value
    .group_segment_fixed_size: 0
    .kernarg_segment_align: 8
    .kernarg_segment_size: 40
    .language:       OpenCL C
    .language_version:
      - 2
      - 0
    .max_flat_workgroup_size: 64
    .name:           _ZN7rocprim17ROCPRIM_400000_NS6detail17trampoline_kernelINS0_14default_configENS1_20scan_config_selectorIiEEZZNS1_9scan_implILNS1_25lookback_scan_determinismE0ELb1ELb1ES3_N6thrust23THRUST_200600_302600_NS6detail15normal_iteratorINS9_10device_ptrIiEEEENS9_16discard_iteratorINS9_11use_defaultEEEi11max_functorIiEiEEDaPvRmT3_T4_T5_mT6_P12ihipStream_tbENKUlT_T0_E_clISt17integral_constantIbLb1EESW_IbLb0EEEEDaSS_ST_EUlSS_E0_NS1_11comp_targetILNS1_3genE8ELNS1_11target_archE1030ELNS1_3gpuE2ELNS1_3repE0EEENS1_30default_config_static_selectorELNS0_4arch9wavefront6targetE1EEEvT1_
    .private_segment_fixed_size: 0
    .sgpr_count:     4
    .sgpr_spill_count: 0
    .symbol:         _ZN7rocprim17ROCPRIM_400000_NS6detail17trampoline_kernelINS0_14default_configENS1_20scan_config_selectorIiEEZZNS1_9scan_implILNS1_25lookback_scan_determinismE0ELb1ELb1ES3_N6thrust23THRUST_200600_302600_NS6detail15normal_iteratorINS9_10device_ptrIiEEEENS9_16discard_iteratorINS9_11use_defaultEEEi11max_functorIiEiEEDaPvRmT3_T4_T5_mT6_P12ihipStream_tbENKUlT_T0_E_clISt17integral_constantIbLb1EESW_IbLb0EEEEDaSS_ST_EUlSS_E0_NS1_11comp_targetILNS1_3genE8ELNS1_11target_archE1030ELNS1_3gpuE2ELNS1_3repE0EEENS1_30default_config_static_selectorELNS0_4arch9wavefront6targetE1EEEvT1_.kd
    .uniform_work_group_size: 1
    .uses_dynamic_stack: false
    .vgpr_count:     0
    .vgpr_spill_count: 0
    .wavefront_size: 64
  - .agpr_count:     0
    .args:
      - .offset:         0
        .size:           104
        .value_kind:     by_value
    .group_segment_fixed_size: 0
    .kernarg_segment_align: 8
    .kernarg_segment_size: 104
    .language:       OpenCL C
    .language_version:
      - 2
      - 0
    .max_flat_workgroup_size: 256
    .name:           _ZN7rocprim17ROCPRIM_400000_NS6detail17trampoline_kernelINS0_14default_configENS1_20scan_config_selectorIiEEZZNS1_9scan_implILNS1_25lookback_scan_determinismE0ELb1ELb1ES3_N6thrust23THRUST_200600_302600_NS6detail15normal_iteratorINS9_10device_ptrIiEEEENS9_16discard_iteratorINS9_11use_defaultEEEi11max_functorIiEiEEDaPvRmT3_T4_T5_mT6_P12ihipStream_tbENKUlT_T0_E_clISt17integral_constantIbLb0EESW_IbLb1EEEEDaSS_ST_EUlSS_E_NS1_11comp_targetILNS1_3genE0ELNS1_11target_archE4294967295ELNS1_3gpuE0ELNS1_3repE0EEENS1_30default_config_static_selectorELNS0_4arch9wavefront6targetE1EEEvT1_
    .private_segment_fixed_size: 0
    .sgpr_count:     4
    .sgpr_spill_count: 0
    .symbol:         _ZN7rocprim17ROCPRIM_400000_NS6detail17trampoline_kernelINS0_14default_configENS1_20scan_config_selectorIiEEZZNS1_9scan_implILNS1_25lookback_scan_determinismE0ELb1ELb1ES3_N6thrust23THRUST_200600_302600_NS6detail15normal_iteratorINS9_10device_ptrIiEEEENS9_16discard_iteratorINS9_11use_defaultEEEi11max_functorIiEiEEDaPvRmT3_T4_T5_mT6_P12ihipStream_tbENKUlT_T0_E_clISt17integral_constantIbLb0EESW_IbLb1EEEEDaSS_ST_EUlSS_E_NS1_11comp_targetILNS1_3genE0ELNS1_11target_archE4294967295ELNS1_3gpuE0ELNS1_3repE0EEENS1_30default_config_static_selectorELNS0_4arch9wavefront6targetE1EEEvT1_.kd
    .uniform_work_group_size: 1
    .uses_dynamic_stack: false
    .vgpr_count:     0
    .vgpr_spill_count: 0
    .wavefront_size: 64
  - .agpr_count:     0
    .args:
      - .offset:         0
        .size:           104
        .value_kind:     by_value
    .group_segment_fixed_size: 0
    .kernarg_segment_align: 8
    .kernarg_segment_size: 104
    .language:       OpenCL C
    .language_version:
      - 2
      - 0
    .max_flat_workgroup_size: 256
    .name:           _ZN7rocprim17ROCPRIM_400000_NS6detail17trampoline_kernelINS0_14default_configENS1_20scan_config_selectorIiEEZZNS1_9scan_implILNS1_25lookback_scan_determinismE0ELb1ELb1ES3_N6thrust23THRUST_200600_302600_NS6detail15normal_iteratorINS9_10device_ptrIiEEEENS9_16discard_iteratorINS9_11use_defaultEEEi11max_functorIiEiEEDaPvRmT3_T4_T5_mT6_P12ihipStream_tbENKUlT_T0_E_clISt17integral_constantIbLb0EESW_IbLb1EEEEDaSS_ST_EUlSS_E_NS1_11comp_targetILNS1_3genE5ELNS1_11target_archE942ELNS1_3gpuE9ELNS1_3repE0EEENS1_30default_config_static_selectorELNS0_4arch9wavefront6targetE1EEEvT1_
    .private_segment_fixed_size: 0
    .sgpr_count:     4
    .sgpr_spill_count: 0
    .symbol:         _ZN7rocprim17ROCPRIM_400000_NS6detail17trampoline_kernelINS0_14default_configENS1_20scan_config_selectorIiEEZZNS1_9scan_implILNS1_25lookback_scan_determinismE0ELb1ELb1ES3_N6thrust23THRUST_200600_302600_NS6detail15normal_iteratorINS9_10device_ptrIiEEEENS9_16discard_iteratorINS9_11use_defaultEEEi11max_functorIiEiEEDaPvRmT3_T4_T5_mT6_P12ihipStream_tbENKUlT_T0_E_clISt17integral_constantIbLb0EESW_IbLb1EEEEDaSS_ST_EUlSS_E_NS1_11comp_targetILNS1_3genE5ELNS1_11target_archE942ELNS1_3gpuE9ELNS1_3repE0EEENS1_30default_config_static_selectorELNS0_4arch9wavefront6targetE1EEEvT1_.kd
    .uniform_work_group_size: 1
    .uses_dynamic_stack: false
    .vgpr_count:     0
    .vgpr_spill_count: 0
    .wavefront_size: 64
  - .agpr_count:     0
    .args:
      - .offset:         0
        .size:           104
        .value_kind:     by_value
    .group_segment_fixed_size: 5120
    .kernarg_segment_align: 8
    .kernarg_segment_size: 104
    .language:       OpenCL C
    .language_version:
      - 2
      - 0
    .max_flat_workgroup_size: 128
    .name:           _ZN7rocprim17ROCPRIM_400000_NS6detail17trampoline_kernelINS0_14default_configENS1_20scan_config_selectorIiEEZZNS1_9scan_implILNS1_25lookback_scan_determinismE0ELb1ELb1ES3_N6thrust23THRUST_200600_302600_NS6detail15normal_iteratorINS9_10device_ptrIiEEEENS9_16discard_iteratorINS9_11use_defaultEEEi11max_functorIiEiEEDaPvRmT3_T4_T5_mT6_P12ihipStream_tbENKUlT_T0_E_clISt17integral_constantIbLb0EESW_IbLb1EEEEDaSS_ST_EUlSS_E_NS1_11comp_targetILNS1_3genE4ELNS1_11target_archE910ELNS1_3gpuE8ELNS1_3repE0EEENS1_30default_config_static_selectorELNS0_4arch9wavefront6targetE1EEEvT1_
    .private_segment_fixed_size: 0
    .sgpr_count:     36
    .sgpr_spill_count: 0
    .symbol:         _ZN7rocprim17ROCPRIM_400000_NS6detail17trampoline_kernelINS0_14default_configENS1_20scan_config_selectorIiEEZZNS1_9scan_implILNS1_25lookback_scan_determinismE0ELb1ELb1ES3_N6thrust23THRUST_200600_302600_NS6detail15normal_iteratorINS9_10device_ptrIiEEEENS9_16discard_iteratorINS9_11use_defaultEEEi11max_functorIiEiEEDaPvRmT3_T4_T5_mT6_P12ihipStream_tbENKUlT_T0_E_clISt17integral_constantIbLb0EESW_IbLb1EEEEDaSS_ST_EUlSS_E_NS1_11comp_targetILNS1_3genE4ELNS1_11target_archE910ELNS1_3gpuE8ELNS1_3repE0EEENS1_30default_config_static_selectorELNS0_4arch9wavefront6targetE1EEEvT1_.kd
    .uniform_work_group_size: 1
    .uses_dynamic_stack: false
    .vgpr_count:     40
    .vgpr_spill_count: 0
    .wavefront_size: 64
  - .agpr_count:     0
    .args:
      - .offset:         0
        .size:           104
        .value_kind:     by_value
    .group_segment_fixed_size: 0
    .kernarg_segment_align: 8
    .kernarg_segment_size: 104
    .language:       OpenCL C
    .language_version:
      - 2
      - 0
    .max_flat_workgroup_size: 256
    .name:           _ZN7rocprim17ROCPRIM_400000_NS6detail17trampoline_kernelINS0_14default_configENS1_20scan_config_selectorIiEEZZNS1_9scan_implILNS1_25lookback_scan_determinismE0ELb1ELb1ES3_N6thrust23THRUST_200600_302600_NS6detail15normal_iteratorINS9_10device_ptrIiEEEENS9_16discard_iteratorINS9_11use_defaultEEEi11max_functorIiEiEEDaPvRmT3_T4_T5_mT6_P12ihipStream_tbENKUlT_T0_E_clISt17integral_constantIbLb0EESW_IbLb1EEEEDaSS_ST_EUlSS_E_NS1_11comp_targetILNS1_3genE3ELNS1_11target_archE908ELNS1_3gpuE7ELNS1_3repE0EEENS1_30default_config_static_selectorELNS0_4arch9wavefront6targetE1EEEvT1_
    .private_segment_fixed_size: 0
    .sgpr_count:     4
    .sgpr_spill_count: 0
    .symbol:         _ZN7rocprim17ROCPRIM_400000_NS6detail17trampoline_kernelINS0_14default_configENS1_20scan_config_selectorIiEEZZNS1_9scan_implILNS1_25lookback_scan_determinismE0ELb1ELb1ES3_N6thrust23THRUST_200600_302600_NS6detail15normal_iteratorINS9_10device_ptrIiEEEENS9_16discard_iteratorINS9_11use_defaultEEEi11max_functorIiEiEEDaPvRmT3_T4_T5_mT6_P12ihipStream_tbENKUlT_T0_E_clISt17integral_constantIbLb0EESW_IbLb1EEEEDaSS_ST_EUlSS_E_NS1_11comp_targetILNS1_3genE3ELNS1_11target_archE908ELNS1_3gpuE7ELNS1_3repE0EEENS1_30default_config_static_selectorELNS0_4arch9wavefront6targetE1EEEvT1_.kd
    .uniform_work_group_size: 1
    .uses_dynamic_stack: false
    .vgpr_count:     0
    .vgpr_spill_count: 0
    .wavefront_size: 64
  - .agpr_count:     0
    .args:
      - .offset:         0
        .size:           104
        .value_kind:     by_value
    .group_segment_fixed_size: 0
    .kernarg_segment_align: 8
    .kernarg_segment_size: 104
    .language:       OpenCL C
    .language_version:
      - 2
      - 0
    .max_flat_workgroup_size: 256
    .name:           _ZN7rocprim17ROCPRIM_400000_NS6detail17trampoline_kernelINS0_14default_configENS1_20scan_config_selectorIiEEZZNS1_9scan_implILNS1_25lookback_scan_determinismE0ELb1ELb1ES3_N6thrust23THRUST_200600_302600_NS6detail15normal_iteratorINS9_10device_ptrIiEEEENS9_16discard_iteratorINS9_11use_defaultEEEi11max_functorIiEiEEDaPvRmT3_T4_T5_mT6_P12ihipStream_tbENKUlT_T0_E_clISt17integral_constantIbLb0EESW_IbLb1EEEEDaSS_ST_EUlSS_E_NS1_11comp_targetILNS1_3genE2ELNS1_11target_archE906ELNS1_3gpuE6ELNS1_3repE0EEENS1_30default_config_static_selectorELNS0_4arch9wavefront6targetE1EEEvT1_
    .private_segment_fixed_size: 0
    .sgpr_count:     4
    .sgpr_spill_count: 0
    .symbol:         _ZN7rocprim17ROCPRIM_400000_NS6detail17trampoline_kernelINS0_14default_configENS1_20scan_config_selectorIiEEZZNS1_9scan_implILNS1_25lookback_scan_determinismE0ELb1ELb1ES3_N6thrust23THRUST_200600_302600_NS6detail15normal_iteratorINS9_10device_ptrIiEEEENS9_16discard_iteratorINS9_11use_defaultEEEi11max_functorIiEiEEDaPvRmT3_T4_T5_mT6_P12ihipStream_tbENKUlT_T0_E_clISt17integral_constantIbLb0EESW_IbLb1EEEEDaSS_ST_EUlSS_E_NS1_11comp_targetILNS1_3genE2ELNS1_11target_archE906ELNS1_3gpuE6ELNS1_3repE0EEENS1_30default_config_static_selectorELNS0_4arch9wavefront6targetE1EEEvT1_.kd
    .uniform_work_group_size: 1
    .uses_dynamic_stack: false
    .vgpr_count:     0
    .vgpr_spill_count: 0
    .wavefront_size: 64
  - .agpr_count:     0
    .args:
      - .offset:         0
        .size:           104
        .value_kind:     by_value
    .group_segment_fixed_size: 0
    .kernarg_segment_align: 8
    .kernarg_segment_size: 104
    .language:       OpenCL C
    .language_version:
      - 2
      - 0
    .max_flat_workgroup_size: 256
    .name:           _ZN7rocprim17ROCPRIM_400000_NS6detail17trampoline_kernelINS0_14default_configENS1_20scan_config_selectorIiEEZZNS1_9scan_implILNS1_25lookback_scan_determinismE0ELb1ELb1ES3_N6thrust23THRUST_200600_302600_NS6detail15normal_iteratorINS9_10device_ptrIiEEEENS9_16discard_iteratorINS9_11use_defaultEEEi11max_functorIiEiEEDaPvRmT3_T4_T5_mT6_P12ihipStream_tbENKUlT_T0_E_clISt17integral_constantIbLb0EESW_IbLb1EEEEDaSS_ST_EUlSS_E_NS1_11comp_targetILNS1_3genE10ELNS1_11target_archE1201ELNS1_3gpuE5ELNS1_3repE0EEENS1_30default_config_static_selectorELNS0_4arch9wavefront6targetE1EEEvT1_
    .private_segment_fixed_size: 0
    .sgpr_count:     4
    .sgpr_spill_count: 0
    .symbol:         _ZN7rocprim17ROCPRIM_400000_NS6detail17trampoline_kernelINS0_14default_configENS1_20scan_config_selectorIiEEZZNS1_9scan_implILNS1_25lookback_scan_determinismE0ELb1ELb1ES3_N6thrust23THRUST_200600_302600_NS6detail15normal_iteratorINS9_10device_ptrIiEEEENS9_16discard_iteratorINS9_11use_defaultEEEi11max_functorIiEiEEDaPvRmT3_T4_T5_mT6_P12ihipStream_tbENKUlT_T0_E_clISt17integral_constantIbLb0EESW_IbLb1EEEEDaSS_ST_EUlSS_E_NS1_11comp_targetILNS1_3genE10ELNS1_11target_archE1201ELNS1_3gpuE5ELNS1_3repE0EEENS1_30default_config_static_selectorELNS0_4arch9wavefront6targetE1EEEvT1_.kd
    .uniform_work_group_size: 1
    .uses_dynamic_stack: false
    .vgpr_count:     0
    .vgpr_spill_count: 0
    .wavefront_size: 64
  - .agpr_count:     0
    .args:
      - .offset:         0
        .size:           104
        .value_kind:     by_value
    .group_segment_fixed_size: 0
    .kernarg_segment_align: 8
    .kernarg_segment_size: 104
    .language:       OpenCL C
    .language_version:
      - 2
      - 0
    .max_flat_workgroup_size: 256
    .name:           _ZN7rocprim17ROCPRIM_400000_NS6detail17trampoline_kernelINS0_14default_configENS1_20scan_config_selectorIiEEZZNS1_9scan_implILNS1_25lookback_scan_determinismE0ELb1ELb1ES3_N6thrust23THRUST_200600_302600_NS6detail15normal_iteratorINS9_10device_ptrIiEEEENS9_16discard_iteratorINS9_11use_defaultEEEi11max_functorIiEiEEDaPvRmT3_T4_T5_mT6_P12ihipStream_tbENKUlT_T0_E_clISt17integral_constantIbLb0EESW_IbLb1EEEEDaSS_ST_EUlSS_E_NS1_11comp_targetILNS1_3genE10ELNS1_11target_archE1200ELNS1_3gpuE4ELNS1_3repE0EEENS1_30default_config_static_selectorELNS0_4arch9wavefront6targetE1EEEvT1_
    .private_segment_fixed_size: 0
    .sgpr_count:     4
    .sgpr_spill_count: 0
    .symbol:         _ZN7rocprim17ROCPRIM_400000_NS6detail17trampoline_kernelINS0_14default_configENS1_20scan_config_selectorIiEEZZNS1_9scan_implILNS1_25lookback_scan_determinismE0ELb1ELb1ES3_N6thrust23THRUST_200600_302600_NS6detail15normal_iteratorINS9_10device_ptrIiEEEENS9_16discard_iteratorINS9_11use_defaultEEEi11max_functorIiEiEEDaPvRmT3_T4_T5_mT6_P12ihipStream_tbENKUlT_T0_E_clISt17integral_constantIbLb0EESW_IbLb1EEEEDaSS_ST_EUlSS_E_NS1_11comp_targetILNS1_3genE10ELNS1_11target_archE1200ELNS1_3gpuE4ELNS1_3repE0EEENS1_30default_config_static_selectorELNS0_4arch9wavefront6targetE1EEEvT1_.kd
    .uniform_work_group_size: 1
    .uses_dynamic_stack: false
    .vgpr_count:     0
    .vgpr_spill_count: 0
    .wavefront_size: 64
  - .agpr_count:     0
    .args:
      - .offset:         0
        .size:           104
        .value_kind:     by_value
    .group_segment_fixed_size: 0
    .kernarg_segment_align: 8
    .kernarg_segment_size: 104
    .language:       OpenCL C
    .language_version:
      - 2
      - 0
    .max_flat_workgroup_size: 256
    .name:           _ZN7rocprim17ROCPRIM_400000_NS6detail17trampoline_kernelINS0_14default_configENS1_20scan_config_selectorIiEEZZNS1_9scan_implILNS1_25lookback_scan_determinismE0ELb1ELb1ES3_N6thrust23THRUST_200600_302600_NS6detail15normal_iteratorINS9_10device_ptrIiEEEENS9_16discard_iteratorINS9_11use_defaultEEEi11max_functorIiEiEEDaPvRmT3_T4_T5_mT6_P12ihipStream_tbENKUlT_T0_E_clISt17integral_constantIbLb0EESW_IbLb1EEEEDaSS_ST_EUlSS_E_NS1_11comp_targetILNS1_3genE9ELNS1_11target_archE1100ELNS1_3gpuE3ELNS1_3repE0EEENS1_30default_config_static_selectorELNS0_4arch9wavefront6targetE1EEEvT1_
    .private_segment_fixed_size: 0
    .sgpr_count:     4
    .sgpr_spill_count: 0
    .symbol:         _ZN7rocprim17ROCPRIM_400000_NS6detail17trampoline_kernelINS0_14default_configENS1_20scan_config_selectorIiEEZZNS1_9scan_implILNS1_25lookback_scan_determinismE0ELb1ELb1ES3_N6thrust23THRUST_200600_302600_NS6detail15normal_iteratorINS9_10device_ptrIiEEEENS9_16discard_iteratorINS9_11use_defaultEEEi11max_functorIiEiEEDaPvRmT3_T4_T5_mT6_P12ihipStream_tbENKUlT_T0_E_clISt17integral_constantIbLb0EESW_IbLb1EEEEDaSS_ST_EUlSS_E_NS1_11comp_targetILNS1_3genE9ELNS1_11target_archE1100ELNS1_3gpuE3ELNS1_3repE0EEENS1_30default_config_static_selectorELNS0_4arch9wavefront6targetE1EEEvT1_.kd
    .uniform_work_group_size: 1
    .uses_dynamic_stack: false
    .vgpr_count:     0
    .vgpr_spill_count: 0
    .wavefront_size: 64
  - .agpr_count:     0
    .args:
      - .offset:         0
        .size:           104
        .value_kind:     by_value
    .group_segment_fixed_size: 0
    .kernarg_segment_align: 8
    .kernarg_segment_size: 104
    .language:       OpenCL C
    .language_version:
      - 2
      - 0
    .max_flat_workgroup_size: 64
    .name:           _ZN7rocprim17ROCPRIM_400000_NS6detail17trampoline_kernelINS0_14default_configENS1_20scan_config_selectorIiEEZZNS1_9scan_implILNS1_25lookback_scan_determinismE0ELb1ELb1ES3_N6thrust23THRUST_200600_302600_NS6detail15normal_iteratorINS9_10device_ptrIiEEEENS9_16discard_iteratorINS9_11use_defaultEEEi11max_functorIiEiEEDaPvRmT3_T4_T5_mT6_P12ihipStream_tbENKUlT_T0_E_clISt17integral_constantIbLb0EESW_IbLb1EEEEDaSS_ST_EUlSS_E_NS1_11comp_targetILNS1_3genE8ELNS1_11target_archE1030ELNS1_3gpuE2ELNS1_3repE0EEENS1_30default_config_static_selectorELNS0_4arch9wavefront6targetE1EEEvT1_
    .private_segment_fixed_size: 0
    .sgpr_count:     4
    .sgpr_spill_count: 0
    .symbol:         _ZN7rocprim17ROCPRIM_400000_NS6detail17trampoline_kernelINS0_14default_configENS1_20scan_config_selectorIiEEZZNS1_9scan_implILNS1_25lookback_scan_determinismE0ELb1ELb1ES3_N6thrust23THRUST_200600_302600_NS6detail15normal_iteratorINS9_10device_ptrIiEEEENS9_16discard_iteratorINS9_11use_defaultEEEi11max_functorIiEiEEDaPvRmT3_T4_T5_mT6_P12ihipStream_tbENKUlT_T0_E_clISt17integral_constantIbLb0EESW_IbLb1EEEEDaSS_ST_EUlSS_E_NS1_11comp_targetILNS1_3genE8ELNS1_11target_archE1030ELNS1_3gpuE2ELNS1_3repE0EEENS1_30default_config_static_selectorELNS0_4arch9wavefront6targetE1EEEvT1_.kd
    .uniform_work_group_size: 1
    .uses_dynamic_stack: false
    .vgpr_count:     0
    .vgpr_spill_count: 0
    .wavefront_size: 64
  - .agpr_count:     0
    .args:
      - .offset:         0
        .size:           40
        .value_kind:     by_value
    .group_segment_fixed_size: 0
    .kernarg_segment_align: 8
    .kernarg_segment_size: 40
    .language:       OpenCL C
    .language_version:
      - 2
      - 0
    .max_flat_workgroup_size: 256
    .name:           _ZN7rocprim17ROCPRIM_400000_NS6detail17trampoline_kernelINS0_14default_configENS1_20scan_config_selectorIiEEZZNS1_9scan_implILNS1_25lookback_scan_determinismE0ELb1ELb1ES3_N6thrust23THRUST_200600_302600_NS6detail15normal_iteratorINS9_10device_ptrIiEEEENS9_16discard_iteratorINS9_11use_defaultEEEi11max_functorIiEiEEDaPvRmT3_T4_T5_mT6_P12ihipStream_tbENKUlT_T0_E_clISt17integral_constantIbLb0EESW_IbLb1EEEEDaSS_ST_EUlSS_E0_NS1_11comp_targetILNS1_3genE0ELNS1_11target_archE4294967295ELNS1_3gpuE0ELNS1_3repE0EEENS1_30default_config_static_selectorELNS0_4arch9wavefront6targetE1EEEvT1_
    .private_segment_fixed_size: 0
    .sgpr_count:     4
    .sgpr_spill_count: 0
    .symbol:         _ZN7rocprim17ROCPRIM_400000_NS6detail17trampoline_kernelINS0_14default_configENS1_20scan_config_selectorIiEEZZNS1_9scan_implILNS1_25lookback_scan_determinismE0ELb1ELb1ES3_N6thrust23THRUST_200600_302600_NS6detail15normal_iteratorINS9_10device_ptrIiEEEENS9_16discard_iteratorINS9_11use_defaultEEEi11max_functorIiEiEEDaPvRmT3_T4_T5_mT6_P12ihipStream_tbENKUlT_T0_E_clISt17integral_constantIbLb0EESW_IbLb1EEEEDaSS_ST_EUlSS_E0_NS1_11comp_targetILNS1_3genE0ELNS1_11target_archE4294967295ELNS1_3gpuE0ELNS1_3repE0EEENS1_30default_config_static_selectorELNS0_4arch9wavefront6targetE1EEEvT1_.kd
    .uniform_work_group_size: 1
    .uses_dynamic_stack: false
    .vgpr_count:     0
    .vgpr_spill_count: 0
    .wavefront_size: 64
  - .agpr_count:     0
    .args:
      - .offset:         0
        .size:           40
        .value_kind:     by_value
    .group_segment_fixed_size: 0
    .kernarg_segment_align: 8
    .kernarg_segment_size: 40
    .language:       OpenCL C
    .language_version:
      - 2
      - 0
    .max_flat_workgroup_size: 256
    .name:           _ZN7rocprim17ROCPRIM_400000_NS6detail17trampoline_kernelINS0_14default_configENS1_20scan_config_selectorIiEEZZNS1_9scan_implILNS1_25lookback_scan_determinismE0ELb1ELb1ES3_N6thrust23THRUST_200600_302600_NS6detail15normal_iteratorINS9_10device_ptrIiEEEENS9_16discard_iteratorINS9_11use_defaultEEEi11max_functorIiEiEEDaPvRmT3_T4_T5_mT6_P12ihipStream_tbENKUlT_T0_E_clISt17integral_constantIbLb0EESW_IbLb1EEEEDaSS_ST_EUlSS_E0_NS1_11comp_targetILNS1_3genE5ELNS1_11target_archE942ELNS1_3gpuE9ELNS1_3repE0EEENS1_30default_config_static_selectorELNS0_4arch9wavefront6targetE1EEEvT1_
    .private_segment_fixed_size: 0
    .sgpr_count:     4
    .sgpr_spill_count: 0
    .symbol:         _ZN7rocprim17ROCPRIM_400000_NS6detail17trampoline_kernelINS0_14default_configENS1_20scan_config_selectorIiEEZZNS1_9scan_implILNS1_25lookback_scan_determinismE0ELb1ELb1ES3_N6thrust23THRUST_200600_302600_NS6detail15normal_iteratorINS9_10device_ptrIiEEEENS9_16discard_iteratorINS9_11use_defaultEEEi11max_functorIiEiEEDaPvRmT3_T4_T5_mT6_P12ihipStream_tbENKUlT_T0_E_clISt17integral_constantIbLb0EESW_IbLb1EEEEDaSS_ST_EUlSS_E0_NS1_11comp_targetILNS1_3genE5ELNS1_11target_archE942ELNS1_3gpuE9ELNS1_3repE0EEENS1_30default_config_static_selectorELNS0_4arch9wavefront6targetE1EEEvT1_.kd
    .uniform_work_group_size: 1
    .uses_dynamic_stack: false
    .vgpr_count:     0
    .vgpr_spill_count: 0
    .wavefront_size: 64
  - .agpr_count:     0
    .args:
      - .offset:         0
        .size:           40
        .value_kind:     by_value
    .group_segment_fixed_size: 5120
    .kernarg_segment_align: 8
    .kernarg_segment_size: 40
    .language:       OpenCL C
    .language_version:
      - 2
      - 0
    .max_flat_workgroup_size: 128
    .name:           _ZN7rocprim17ROCPRIM_400000_NS6detail17trampoline_kernelINS0_14default_configENS1_20scan_config_selectorIiEEZZNS1_9scan_implILNS1_25lookback_scan_determinismE0ELb1ELb1ES3_N6thrust23THRUST_200600_302600_NS6detail15normal_iteratorINS9_10device_ptrIiEEEENS9_16discard_iteratorINS9_11use_defaultEEEi11max_functorIiEiEEDaPvRmT3_T4_T5_mT6_P12ihipStream_tbENKUlT_T0_E_clISt17integral_constantIbLb0EESW_IbLb1EEEEDaSS_ST_EUlSS_E0_NS1_11comp_targetILNS1_3genE4ELNS1_11target_archE910ELNS1_3gpuE8ELNS1_3repE0EEENS1_30default_config_static_selectorELNS0_4arch9wavefront6targetE1EEEvT1_
    .private_segment_fixed_size: 0
    .sgpr_count:     12
    .sgpr_spill_count: 0
    .symbol:         _ZN7rocprim17ROCPRIM_400000_NS6detail17trampoline_kernelINS0_14default_configENS1_20scan_config_selectorIiEEZZNS1_9scan_implILNS1_25lookback_scan_determinismE0ELb1ELb1ES3_N6thrust23THRUST_200600_302600_NS6detail15normal_iteratorINS9_10device_ptrIiEEEENS9_16discard_iteratorINS9_11use_defaultEEEi11max_functorIiEiEEDaPvRmT3_T4_T5_mT6_P12ihipStream_tbENKUlT_T0_E_clISt17integral_constantIbLb0EESW_IbLb1EEEEDaSS_ST_EUlSS_E0_NS1_11comp_targetILNS1_3genE4ELNS1_11target_archE910ELNS1_3gpuE8ELNS1_3repE0EEENS1_30default_config_static_selectorELNS0_4arch9wavefront6targetE1EEEvT1_.kd
    .uniform_work_group_size: 1
    .uses_dynamic_stack: false
    .vgpr_count:     18
    .vgpr_spill_count: 0
    .wavefront_size: 64
  - .agpr_count:     0
    .args:
      - .offset:         0
        .size:           40
        .value_kind:     by_value
    .group_segment_fixed_size: 0
    .kernarg_segment_align: 8
    .kernarg_segment_size: 40
    .language:       OpenCL C
    .language_version:
      - 2
      - 0
    .max_flat_workgroup_size: 256
    .name:           _ZN7rocprim17ROCPRIM_400000_NS6detail17trampoline_kernelINS0_14default_configENS1_20scan_config_selectorIiEEZZNS1_9scan_implILNS1_25lookback_scan_determinismE0ELb1ELb1ES3_N6thrust23THRUST_200600_302600_NS6detail15normal_iteratorINS9_10device_ptrIiEEEENS9_16discard_iteratorINS9_11use_defaultEEEi11max_functorIiEiEEDaPvRmT3_T4_T5_mT6_P12ihipStream_tbENKUlT_T0_E_clISt17integral_constantIbLb0EESW_IbLb1EEEEDaSS_ST_EUlSS_E0_NS1_11comp_targetILNS1_3genE3ELNS1_11target_archE908ELNS1_3gpuE7ELNS1_3repE0EEENS1_30default_config_static_selectorELNS0_4arch9wavefront6targetE1EEEvT1_
    .private_segment_fixed_size: 0
    .sgpr_count:     4
    .sgpr_spill_count: 0
    .symbol:         _ZN7rocprim17ROCPRIM_400000_NS6detail17trampoline_kernelINS0_14default_configENS1_20scan_config_selectorIiEEZZNS1_9scan_implILNS1_25lookback_scan_determinismE0ELb1ELb1ES3_N6thrust23THRUST_200600_302600_NS6detail15normal_iteratorINS9_10device_ptrIiEEEENS9_16discard_iteratorINS9_11use_defaultEEEi11max_functorIiEiEEDaPvRmT3_T4_T5_mT6_P12ihipStream_tbENKUlT_T0_E_clISt17integral_constantIbLb0EESW_IbLb1EEEEDaSS_ST_EUlSS_E0_NS1_11comp_targetILNS1_3genE3ELNS1_11target_archE908ELNS1_3gpuE7ELNS1_3repE0EEENS1_30default_config_static_selectorELNS0_4arch9wavefront6targetE1EEEvT1_.kd
    .uniform_work_group_size: 1
    .uses_dynamic_stack: false
    .vgpr_count:     0
    .vgpr_spill_count: 0
    .wavefront_size: 64
  - .agpr_count:     0
    .args:
      - .offset:         0
        .size:           40
        .value_kind:     by_value
    .group_segment_fixed_size: 0
    .kernarg_segment_align: 8
    .kernarg_segment_size: 40
    .language:       OpenCL C
    .language_version:
      - 2
      - 0
    .max_flat_workgroup_size: 256
    .name:           _ZN7rocprim17ROCPRIM_400000_NS6detail17trampoline_kernelINS0_14default_configENS1_20scan_config_selectorIiEEZZNS1_9scan_implILNS1_25lookback_scan_determinismE0ELb1ELb1ES3_N6thrust23THRUST_200600_302600_NS6detail15normal_iteratorINS9_10device_ptrIiEEEENS9_16discard_iteratorINS9_11use_defaultEEEi11max_functorIiEiEEDaPvRmT3_T4_T5_mT6_P12ihipStream_tbENKUlT_T0_E_clISt17integral_constantIbLb0EESW_IbLb1EEEEDaSS_ST_EUlSS_E0_NS1_11comp_targetILNS1_3genE2ELNS1_11target_archE906ELNS1_3gpuE6ELNS1_3repE0EEENS1_30default_config_static_selectorELNS0_4arch9wavefront6targetE1EEEvT1_
    .private_segment_fixed_size: 0
    .sgpr_count:     4
    .sgpr_spill_count: 0
    .symbol:         _ZN7rocprim17ROCPRIM_400000_NS6detail17trampoline_kernelINS0_14default_configENS1_20scan_config_selectorIiEEZZNS1_9scan_implILNS1_25lookback_scan_determinismE0ELb1ELb1ES3_N6thrust23THRUST_200600_302600_NS6detail15normal_iteratorINS9_10device_ptrIiEEEENS9_16discard_iteratorINS9_11use_defaultEEEi11max_functorIiEiEEDaPvRmT3_T4_T5_mT6_P12ihipStream_tbENKUlT_T0_E_clISt17integral_constantIbLb0EESW_IbLb1EEEEDaSS_ST_EUlSS_E0_NS1_11comp_targetILNS1_3genE2ELNS1_11target_archE906ELNS1_3gpuE6ELNS1_3repE0EEENS1_30default_config_static_selectorELNS0_4arch9wavefront6targetE1EEEvT1_.kd
    .uniform_work_group_size: 1
    .uses_dynamic_stack: false
    .vgpr_count:     0
    .vgpr_spill_count: 0
    .wavefront_size: 64
  - .agpr_count:     0
    .args:
      - .offset:         0
        .size:           40
        .value_kind:     by_value
    .group_segment_fixed_size: 0
    .kernarg_segment_align: 8
    .kernarg_segment_size: 40
    .language:       OpenCL C
    .language_version:
      - 2
      - 0
    .max_flat_workgroup_size: 256
    .name:           _ZN7rocprim17ROCPRIM_400000_NS6detail17trampoline_kernelINS0_14default_configENS1_20scan_config_selectorIiEEZZNS1_9scan_implILNS1_25lookback_scan_determinismE0ELb1ELb1ES3_N6thrust23THRUST_200600_302600_NS6detail15normal_iteratorINS9_10device_ptrIiEEEENS9_16discard_iteratorINS9_11use_defaultEEEi11max_functorIiEiEEDaPvRmT3_T4_T5_mT6_P12ihipStream_tbENKUlT_T0_E_clISt17integral_constantIbLb0EESW_IbLb1EEEEDaSS_ST_EUlSS_E0_NS1_11comp_targetILNS1_3genE10ELNS1_11target_archE1201ELNS1_3gpuE5ELNS1_3repE0EEENS1_30default_config_static_selectorELNS0_4arch9wavefront6targetE1EEEvT1_
    .private_segment_fixed_size: 0
    .sgpr_count:     4
    .sgpr_spill_count: 0
    .symbol:         _ZN7rocprim17ROCPRIM_400000_NS6detail17trampoline_kernelINS0_14default_configENS1_20scan_config_selectorIiEEZZNS1_9scan_implILNS1_25lookback_scan_determinismE0ELb1ELb1ES3_N6thrust23THRUST_200600_302600_NS6detail15normal_iteratorINS9_10device_ptrIiEEEENS9_16discard_iteratorINS9_11use_defaultEEEi11max_functorIiEiEEDaPvRmT3_T4_T5_mT6_P12ihipStream_tbENKUlT_T0_E_clISt17integral_constantIbLb0EESW_IbLb1EEEEDaSS_ST_EUlSS_E0_NS1_11comp_targetILNS1_3genE10ELNS1_11target_archE1201ELNS1_3gpuE5ELNS1_3repE0EEENS1_30default_config_static_selectorELNS0_4arch9wavefront6targetE1EEEvT1_.kd
    .uniform_work_group_size: 1
    .uses_dynamic_stack: false
    .vgpr_count:     0
    .vgpr_spill_count: 0
    .wavefront_size: 64
  - .agpr_count:     0
    .args:
      - .offset:         0
        .size:           40
        .value_kind:     by_value
    .group_segment_fixed_size: 0
    .kernarg_segment_align: 8
    .kernarg_segment_size: 40
    .language:       OpenCL C
    .language_version:
      - 2
      - 0
    .max_flat_workgroup_size: 256
    .name:           _ZN7rocprim17ROCPRIM_400000_NS6detail17trampoline_kernelINS0_14default_configENS1_20scan_config_selectorIiEEZZNS1_9scan_implILNS1_25lookback_scan_determinismE0ELb1ELb1ES3_N6thrust23THRUST_200600_302600_NS6detail15normal_iteratorINS9_10device_ptrIiEEEENS9_16discard_iteratorINS9_11use_defaultEEEi11max_functorIiEiEEDaPvRmT3_T4_T5_mT6_P12ihipStream_tbENKUlT_T0_E_clISt17integral_constantIbLb0EESW_IbLb1EEEEDaSS_ST_EUlSS_E0_NS1_11comp_targetILNS1_3genE10ELNS1_11target_archE1200ELNS1_3gpuE4ELNS1_3repE0EEENS1_30default_config_static_selectorELNS0_4arch9wavefront6targetE1EEEvT1_
    .private_segment_fixed_size: 0
    .sgpr_count:     4
    .sgpr_spill_count: 0
    .symbol:         _ZN7rocprim17ROCPRIM_400000_NS6detail17trampoline_kernelINS0_14default_configENS1_20scan_config_selectorIiEEZZNS1_9scan_implILNS1_25lookback_scan_determinismE0ELb1ELb1ES3_N6thrust23THRUST_200600_302600_NS6detail15normal_iteratorINS9_10device_ptrIiEEEENS9_16discard_iteratorINS9_11use_defaultEEEi11max_functorIiEiEEDaPvRmT3_T4_T5_mT6_P12ihipStream_tbENKUlT_T0_E_clISt17integral_constantIbLb0EESW_IbLb1EEEEDaSS_ST_EUlSS_E0_NS1_11comp_targetILNS1_3genE10ELNS1_11target_archE1200ELNS1_3gpuE4ELNS1_3repE0EEENS1_30default_config_static_selectorELNS0_4arch9wavefront6targetE1EEEvT1_.kd
    .uniform_work_group_size: 1
    .uses_dynamic_stack: false
    .vgpr_count:     0
    .vgpr_spill_count: 0
    .wavefront_size: 64
  - .agpr_count:     0
    .args:
      - .offset:         0
        .size:           40
        .value_kind:     by_value
    .group_segment_fixed_size: 0
    .kernarg_segment_align: 8
    .kernarg_segment_size: 40
    .language:       OpenCL C
    .language_version:
      - 2
      - 0
    .max_flat_workgroup_size: 256
    .name:           _ZN7rocprim17ROCPRIM_400000_NS6detail17trampoline_kernelINS0_14default_configENS1_20scan_config_selectorIiEEZZNS1_9scan_implILNS1_25lookback_scan_determinismE0ELb1ELb1ES3_N6thrust23THRUST_200600_302600_NS6detail15normal_iteratorINS9_10device_ptrIiEEEENS9_16discard_iteratorINS9_11use_defaultEEEi11max_functorIiEiEEDaPvRmT3_T4_T5_mT6_P12ihipStream_tbENKUlT_T0_E_clISt17integral_constantIbLb0EESW_IbLb1EEEEDaSS_ST_EUlSS_E0_NS1_11comp_targetILNS1_3genE9ELNS1_11target_archE1100ELNS1_3gpuE3ELNS1_3repE0EEENS1_30default_config_static_selectorELNS0_4arch9wavefront6targetE1EEEvT1_
    .private_segment_fixed_size: 0
    .sgpr_count:     4
    .sgpr_spill_count: 0
    .symbol:         _ZN7rocprim17ROCPRIM_400000_NS6detail17trampoline_kernelINS0_14default_configENS1_20scan_config_selectorIiEEZZNS1_9scan_implILNS1_25lookback_scan_determinismE0ELb1ELb1ES3_N6thrust23THRUST_200600_302600_NS6detail15normal_iteratorINS9_10device_ptrIiEEEENS9_16discard_iteratorINS9_11use_defaultEEEi11max_functorIiEiEEDaPvRmT3_T4_T5_mT6_P12ihipStream_tbENKUlT_T0_E_clISt17integral_constantIbLb0EESW_IbLb1EEEEDaSS_ST_EUlSS_E0_NS1_11comp_targetILNS1_3genE9ELNS1_11target_archE1100ELNS1_3gpuE3ELNS1_3repE0EEENS1_30default_config_static_selectorELNS0_4arch9wavefront6targetE1EEEvT1_.kd
    .uniform_work_group_size: 1
    .uses_dynamic_stack: false
    .vgpr_count:     0
    .vgpr_spill_count: 0
    .wavefront_size: 64
  - .agpr_count:     0
    .args:
      - .offset:         0
        .size:           40
        .value_kind:     by_value
    .group_segment_fixed_size: 0
    .kernarg_segment_align: 8
    .kernarg_segment_size: 40
    .language:       OpenCL C
    .language_version:
      - 2
      - 0
    .max_flat_workgroup_size: 64
    .name:           _ZN7rocprim17ROCPRIM_400000_NS6detail17trampoline_kernelINS0_14default_configENS1_20scan_config_selectorIiEEZZNS1_9scan_implILNS1_25lookback_scan_determinismE0ELb1ELb1ES3_N6thrust23THRUST_200600_302600_NS6detail15normal_iteratorINS9_10device_ptrIiEEEENS9_16discard_iteratorINS9_11use_defaultEEEi11max_functorIiEiEEDaPvRmT3_T4_T5_mT6_P12ihipStream_tbENKUlT_T0_E_clISt17integral_constantIbLb0EESW_IbLb1EEEEDaSS_ST_EUlSS_E0_NS1_11comp_targetILNS1_3genE8ELNS1_11target_archE1030ELNS1_3gpuE2ELNS1_3repE0EEENS1_30default_config_static_selectorELNS0_4arch9wavefront6targetE1EEEvT1_
    .private_segment_fixed_size: 0
    .sgpr_count:     4
    .sgpr_spill_count: 0
    .symbol:         _ZN7rocprim17ROCPRIM_400000_NS6detail17trampoline_kernelINS0_14default_configENS1_20scan_config_selectorIiEEZZNS1_9scan_implILNS1_25lookback_scan_determinismE0ELb1ELb1ES3_N6thrust23THRUST_200600_302600_NS6detail15normal_iteratorINS9_10device_ptrIiEEEENS9_16discard_iteratorINS9_11use_defaultEEEi11max_functorIiEiEEDaPvRmT3_T4_T5_mT6_P12ihipStream_tbENKUlT_T0_E_clISt17integral_constantIbLb0EESW_IbLb1EEEEDaSS_ST_EUlSS_E0_NS1_11comp_targetILNS1_3genE8ELNS1_11target_archE1030ELNS1_3gpuE2ELNS1_3repE0EEENS1_30default_config_static_selectorELNS0_4arch9wavefront6targetE1EEEvT1_.kd
    .uniform_work_group_size: 1
    .uses_dynamic_stack: false
    .vgpr_count:     0
    .vgpr_spill_count: 0
    .wavefront_size: 64
  - .agpr_count:     0
    .args:
      - .offset:         0
        .size:           104
        .value_kind:     by_value
    .group_segment_fixed_size: 0
    .kernarg_segment_align: 8
    .kernarg_segment_size: 104
    .language:       OpenCL C
    .language_version:
      - 2
      - 0
    .max_flat_workgroup_size: 128
    .name:           _ZN7rocprim17ROCPRIM_400000_NS6detail17trampoline_kernelINS0_14default_configENS1_20scan_config_selectorIsEEZZNS1_9scan_implILNS1_25lookback_scan_determinismE0ELb0ELb0ES3_N6thrust23THRUST_200600_302600_NS6detail15normal_iteratorINS9_10device_ptrIsEEEENS9_16discard_iteratorINS9_11use_defaultEEEs11max_functorIsEsEEDaPvRmT3_T4_T5_mT6_P12ihipStream_tbENKUlT_T0_E_clISt17integral_constantIbLb0EESX_EEDaSS_ST_EUlSS_E_NS1_11comp_targetILNS1_3genE0ELNS1_11target_archE4294967295ELNS1_3gpuE0ELNS1_3repE0EEENS1_30default_config_static_selectorELNS0_4arch9wavefront6targetE1EEEvT1_
    .private_segment_fixed_size: 0
    .sgpr_count:     4
    .sgpr_spill_count: 0
    .symbol:         _ZN7rocprim17ROCPRIM_400000_NS6detail17trampoline_kernelINS0_14default_configENS1_20scan_config_selectorIsEEZZNS1_9scan_implILNS1_25lookback_scan_determinismE0ELb0ELb0ES3_N6thrust23THRUST_200600_302600_NS6detail15normal_iteratorINS9_10device_ptrIsEEEENS9_16discard_iteratorINS9_11use_defaultEEEs11max_functorIsEsEEDaPvRmT3_T4_T5_mT6_P12ihipStream_tbENKUlT_T0_E_clISt17integral_constantIbLb0EESX_EEDaSS_ST_EUlSS_E_NS1_11comp_targetILNS1_3genE0ELNS1_11target_archE4294967295ELNS1_3gpuE0ELNS1_3repE0EEENS1_30default_config_static_selectorELNS0_4arch9wavefront6targetE1EEEvT1_.kd
    .uniform_work_group_size: 1
    .uses_dynamic_stack: false
    .vgpr_count:     0
    .vgpr_spill_count: 0
    .wavefront_size: 64
  - .agpr_count:     0
    .args:
      - .offset:         0
        .size:           104
        .value_kind:     by_value
    .group_segment_fixed_size: 0
    .kernarg_segment_align: 8
    .kernarg_segment_size: 104
    .language:       OpenCL C
    .language_version:
      - 2
      - 0
    .max_flat_workgroup_size: 256
    .name:           _ZN7rocprim17ROCPRIM_400000_NS6detail17trampoline_kernelINS0_14default_configENS1_20scan_config_selectorIsEEZZNS1_9scan_implILNS1_25lookback_scan_determinismE0ELb0ELb0ES3_N6thrust23THRUST_200600_302600_NS6detail15normal_iteratorINS9_10device_ptrIsEEEENS9_16discard_iteratorINS9_11use_defaultEEEs11max_functorIsEsEEDaPvRmT3_T4_T5_mT6_P12ihipStream_tbENKUlT_T0_E_clISt17integral_constantIbLb0EESX_EEDaSS_ST_EUlSS_E_NS1_11comp_targetILNS1_3genE5ELNS1_11target_archE942ELNS1_3gpuE9ELNS1_3repE0EEENS1_30default_config_static_selectorELNS0_4arch9wavefront6targetE1EEEvT1_
    .private_segment_fixed_size: 0
    .sgpr_count:     4
    .sgpr_spill_count: 0
    .symbol:         _ZN7rocprim17ROCPRIM_400000_NS6detail17trampoline_kernelINS0_14default_configENS1_20scan_config_selectorIsEEZZNS1_9scan_implILNS1_25lookback_scan_determinismE0ELb0ELb0ES3_N6thrust23THRUST_200600_302600_NS6detail15normal_iteratorINS9_10device_ptrIsEEEENS9_16discard_iteratorINS9_11use_defaultEEEs11max_functorIsEsEEDaPvRmT3_T4_T5_mT6_P12ihipStream_tbENKUlT_T0_E_clISt17integral_constantIbLb0EESX_EEDaSS_ST_EUlSS_E_NS1_11comp_targetILNS1_3genE5ELNS1_11target_archE942ELNS1_3gpuE9ELNS1_3repE0EEENS1_30default_config_static_selectorELNS0_4arch9wavefront6targetE1EEEvT1_.kd
    .uniform_work_group_size: 1
    .uses_dynamic_stack: false
    .vgpr_count:     0
    .vgpr_spill_count: 0
    .wavefront_size: 64
  - .agpr_count:     0
    .args:
      - .offset:         0
        .size:           104
        .value_kind:     by_value
    .group_segment_fixed_size: 3072
    .kernarg_segment_align: 8
    .kernarg_segment_size: 104
    .language:       OpenCL C
    .language_version:
      - 2
      - 0
    .max_flat_workgroup_size: 64
    .name:           _ZN7rocprim17ROCPRIM_400000_NS6detail17trampoline_kernelINS0_14default_configENS1_20scan_config_selectorIsEEZZNS1_9scan_implILNS1_25lookback_scan_determinismE0ELb0ELb0ES3_N6thrust23THRUST_200600_302600_NS6detail15normal_iteratorINS9_10device_ptrIsEEEENS9_16discard_iteratorINS9_11use_defaultEEEs11max_functorIsEsEEDaPvRmT3_T4_T5_mT6_P12ihipStream_tbENKUlT_T0_E_clISt17integral_constantIbLb0EESX_EEDaSS_ST_EUlSS_E_NS1_11comp_targetILNS1_3genE4ELNS1_11target_archE910ELNS1_3gpuE8ELNS1_3repE0EEENS1_30default_config_static_selectorELNS0_4arch9wavefront6targetE1EEEvT1_
    .private_segment_fixed_size: 0
    .sgpr_count:     30
    .sgpr_spill_count: 0
    .symbol:         _ZN7rocprim17ROCPRIM_400000_NS6detail17trampoline_kernelINS0_14default_configENS1_20scan_config_selectorIsEEZZNS1_9scan_implILNS1_25lookback_scan_determinismE0ELb0ELb0ES3_N6thrust23THRUST_200600_302600_NS6detail15normal_iteratorINS9_10device_ptrIsEEEENS9_16discard_iteratorINS9_11use_defaultEEEs11max_functorIsEsEEDaPvRmT3_T4_T5_mT6_P12ihipStream_tbENKUlT_T0_E_clISt17integral_constantIbLb0EESX_EEDaSS_ST_EUlSS_E_NS1_11comp_targetILNS1_3genE4ELNS1_11target_archE910ELNS1_3gpuE8ELNS1_3repE0EEENS1_30default_config_static_selectorELNS0_4arch9wavefront6targetE1EEEvT1_.kd
    .uniform_work_group_size: 1
    .uses_dynamic_stack: false
    .vgpr_count:     56
    .vgpr_spill_count: 0
    .wavefront_size: 64
  - .agpr_count:     0
    .args:
      - .offset:         0
        .size:           104
        .value_kind:     by_value
    .group_segment_fixed_size: 0
    .kernarg_segment_align: 8
    .kernarg_segment_size: 104
    .language:       OpenCL C
    .language_version:
      - 2
      - 0
    .max_flat_workgroup_size: 128
    .name:           _ZN7rocprim17ROCPRIM_400000_NS6detail17trampoline_kernelINS0_14default_configENS1_20scan_config_selectorIsEEZZNS1_9scan_implILNS1_25lookback_scan_determinismE0ELb0ELb0ES3_N6thrust23THRUST_200600_302600_NS6detail15normal_iteratorINS9_10device_ptrIsEEEENS9_16discard_iteratorINS9_11use_defaultEEEs11max_functorIsEsEEDaPvRmT3_T4_T5_mT6_P12ihipStream_tbENKUlT_T0_E_clISt17integral_constantIbLb0EESX_EEDaSS_ST_EUlSS_E_NS1_11comp_targetILNS1_3genE3ELNS1_11target_archE908ELNS1_3gpuE7ELNS1_3repE0EEENS1_30default_config_static_selectorELNS0_4arch9wavefront6targetE1EEEvT1_
    .private_segment_fixed_size: 0
    .sgpr_count:     4
    .sgpr_spill_count: 0
    .symbol:         _ZN7rocprim17ROCPRIM_400000_NS6detail17trampoline_kernelINS0_14default_configENS1_20scan_config_selectorIsEEZZNS1_9scan_implILNS1_25lookback_scan_determinismE0ELb0ELb0ES3_N6thrust23THRUST_200600_302600_NS6detail15normal_iteratorINS9_10device_ptrIsEEEENS9_16discard_iteratorINS9_11use_defaultEEEs11max_functorIsEsEEDaPvRmT3_T4_T5_mT6_P12ihipStream_tbENKUlT_T0_E_clISt17integral_constantIbLb0EESX_EEDaSS_ST_EUlSS_E_NS1_11comp_targetILNS1_3genE3ELNS1_11target_archE908ELNS1_3gpuE7ELNS1_3repE0EEENS1_30default_config_static_selectorELNS0_4arch9wavefront6targetE1EEEvT1_.kd
    .uniform_work_group_size: 1
    .uses_dynamic_stack: false
    .vgpr_count:     0
    .vgpr_spill_count: 0
    .wavefront_size: 64
  - .agpr_count:     0
    .args:
      - .offset:         0
        .size:           104
        .value_kind:     by_value
    .group_segment_fixed_size: 0
    .kernarg_segment_align: 8
    .kernarg_segment_size: 104
    .language:       OpenCL C
    .language_version:
      - 2
      - 0
    .max_flat_workgroup_size: 256
    .name:           _ZN7rocprim17ROCPRIM_400000_NS6detail17trampoline_kernelINS0_14default_configENS1_20scan_config_selectorIsEEZZNS1_9scan_implILNS1_25lookback_scan_determinismE0ELb0ELb0ES3_N6thrust23THRUST_200600_302600_NS6detail15normal_iteratorINS9_10device_ptrIsEEEENS9_16discard_iteratorINS9_11use_defaultEEEs11max_functorIsEsEEDaPvRmT3_T4_T5_mT6_P12ihipStream_tbENKUlT_T0_E_clISt17integral_constantIbLb0EESX_EEDaSS_ST_EUlSS_E_NS1_11comp_targetILNS1_3genE2ELNS1_11target_archE906ELNS1_3gpuE6ELNS1_3repE0EEENS1_30default_config_static_selectorELNS0_4arch9wavefront6targetE1EEEvT1_
    .private_segment_fixed_size: 0
    .sgpr_count:     4
    .sgpr_spill_count: 0
    .symbol:         _ZN7rocprim17ROCPRIM_400000_NS6detail17trampoline_kernelINS0_14default_configENS1_20scan_config_selectorIsEEZZNS1_9scan_implILNS1_25lookback_scan_determinismE0ELb0ELb0ES3_N6thrust23THRUST_200600_302600_NS6detail15normal_iteratorINS9_10device_ptrIsEEEENS9_16discard_iteratorINS9_11use_defaultEEEs11max_functorIsEsEEDaPvRmT3_T4_T5_mT6_P12ihipStream_tbENKUlT_T0_E_clISt17integral_constantIbLb0EESX_EEDaSS_ST_EUlSS_E_NS1_11comp_targetILNS1_3genE2ELNS1_11target_archE906ELNS1_3gpuE6ELNS1_3repE0EEENS1_30default_config_static_selectorELNS0_4arch9wavefront6targetE1EEEvT1_.kd
    .uniform_work_group_size: 1
    .uses_dynamic_stack: false
    .vgpr_count:     0
    .vgpr_spill_count: 0
    .wavefront_size: 64
  - .agpr_count:     0
    .args:
      - .offset:         0
        .size:           104
        .value_kind:     by_value
    .group_segment_fixed_size: 0
    .kernarg_segment_align: 8
    .kernarg_segment_size: 104
    .language:       OpenCL C
    .language_version:
      - 2
      - 0
    .max_flat_workgroup_size: 256
    .name:           _ZN7rocprim17ROCPRIM_400000_NS6detail17trampoline_kernelINS0_14default_configENS1_20scan_config_selectorIsEEZZNS1_9scan_implILNS1_25lookback_scan_determinismE0ELb0ELb0ES3_N6thrust23THRUST_200600_302600_NS6detail15normal_iteratorINS9_10device_ptrIsEEEENS9_16discard_iteratorINS9_11use_defaultEEEs11max_functorIsEsEEDaPvRmT3_T4_T5_mT6_P12ihipStream_tbENKUlT_T0_E_clISt17integral_constantIbLb0EESX_EEDaSS_ST_EUlSS_E_NS1_11comp_targetILNS1_3genE10ELNS1_11target_archE1201ELNS1_3gpuE5ELNS1_3repE0EEENS1_30default_config_static_selectorELNS0_4arch9wavefront6targetE1EEEvT1_
    .private_segment_fixed_size: 0
    .sgpr_count:     4
    .sgpr_spill_count: 0
    .symbol:         _ZN7rocprim17ROCPRIM_400000_NS6detail17trampoline_kernelINS0_14default_configENS1_20scan_config_selectorIsEEZZNS1_9scan_implILNS1_25lookback_scan_determinismE0ELb0ELb0ES3_N6thrust23THRUST_200600_302600_NS6detail15normal_iteratorINS9_10device_ptrIsEEEENS9_16discard_iteratorINS9_11use_defaultEEEs11max_functorIsEsEEDaPvRmT3_T4_T5_mT6_P12ihipStream_tbENKUlT_T0_E_clISt17integral_constantIbLb0EESX_EEDaSS_ST_EUlSS_E_NS1_11comp_targetILNS1_3genE10ELNS1_11target_archE1201ELNS1_3gpuE5ELNS1_3repE0EEENS1_30default_config_static_selectorELNS0_4arch9wavefront6targetE1EEEvT1_.kd
    .uniform_work_group_size: 1
    .uses_dynamic_stack: false
    .vgpr_count:     0
    .vgpr_spill_count: 0
    .wavefront_size: 64
  - .agpr_count:     0
    .args:
      - .offset:         0
        .size:           104
        .value_kind:     by_value
    .group_segment_fixed_size: 0
    .kernarg_segment_align: 8
    .kernarg_segment_size: 104
    .language:       OpenCL C
    .language_version:
      - 2
      - 0
    .max_flat_workgroup_size: 256
    .name:           _ZN7rocprim17ROCPRIM_400000_NS6detail17trampoline_kernelINS0_14default_configENS1_20scan_config_selectorIsEEZZNS1_9scan_implILNS1_25lookback_scan_determinismE0ELb0ELb0ES3_N6thrust23THRUST_200600_302600_NS6detail15normal_iteratorINS9_10device_ptrIsEEEENS9_16discard_iteratorINS9_11use_defaultEEEs11max_functorIsEsEEDaPvRmT3_T4_T5_mT6_P12ihipStream_tbENKUlT_T0_E_clISt17integral_constantIbLb0EESX_EEDaSS_ST_EUlSS_E_NS1_11comp_targetILNS1_3genE10ELNS1_11target_archE1200ELNS1_3gpuE4ELNS1_3repE0EEENS1_30default_config_static_selectorELNS0_4arch9wavefront6targetE1EEEvT1_
    .private_segment_fixed_size: 0
    .sgpr_count:     4
    .sgpr_spill_count: 0
    .symbol:         _ZN7rocprim17ROCPRIM_400000_NS6detail17trampoline_kernelINS0_14default_configENS1_20scan_config_selectorIsEEZZNS1_9scan_implILNS1_25lookback_scan_determinismE0ELb0ELb0ES3_N6thrust23THRUST_200600_302600_NS6detail15normal_iteratorINS9_10device_ptrIsEEEENS9_16discard_iteratorINS9_11use_defaultEEEs11max_functorIsEsEEDaPvRmT3_T4_T5_mT6_P12ihipStream_tbENKUlT_T0_E_clISt17integral_constantIbLb0EESX_EEDaSS_ST_EUlSS_E_NS1_11comp_targetILNS1_3genE10ELNS1_11target_archE1200ELNS1_3gpuE4ELNS1_3repE0EEENS1_30default_config_static_selectorELNS0_4arch9wavefront6targetE1EEEvT1_.kd
    .uniform_work_group_size: 1
    .uses_dynamic_stack: false
    .vgpr_count:     0
    .vgpr_spill_count: 0
    .wavefront_size: 64
  - .agpr_count:     0
    .args:
      - .offset:         0
        .size:           104
        .value_kind:     by_value
    .group_segment_fixed_size: 0
    .kernarg_segment_align: 8
    .kernarg_segment_size: 104
    .language:       OpenCL C
    .language_version:
      - 2
      - 0
    .max_flat_workgroup_size: 64
    .name:           _ZN7rocprim17ROCPRIM_400000_NS6detail17trampoline_kernelINS0_14default_configENS1_20scan_config_selectorIsEEZZNS1_9scan_implILNS1_25lookback_scan_determinismE0ELb0ELb0ES3_N6thrust23THRUST_200600_302600_NS6detail15normal_iteratorINS9_10device_ptrIsEEEENS9_16discard_iteratorINS9_11use_defaultEEEs11max_functorIsEsEEDaPvRmT3_T4_T5_mT6_P12ihipStream_tbENKUlT_T0_E_clISt17integral_constantIbLb0EESX_EEDaSS_ST_EUlSS_E_NS1_11comp_targetILNS1_3genE9ELNS1_11target_archE1100ELNS1_3gpuE3ELNS1_3repE0EEENS1_30default_config_static_selectorELNS0_4arch9wavefront6targetE1EEEvT1_
    .private_segment_fixed_size: 0
    .sgpr_count:     4
    .sgpr_spill_count: 0
    .symbol:         _ZN7rocprim17ROCPRIM_400000_NS6detail17trampoline_kernelINS0_14default_configENS1_20scan_config_selectorIsEEZZNS1_9scan_implILNS1_25lookback_scan_determinismE0ELb0ELb0ES3_N6thrust23THRUST_200600_302600_NS6detail15normal_iteratorINS9_10device_ptrIsEEEENS9_16discard_iteratorINS9_11use_defaultEEEs11max_functorIsEsEEDaPvRmT3_T4_T5_mT6_P12ihipStream_tbENKUlT_T0_E_clISt17integral_constantIbLb0EESX_EEDaSS_ST_EUlSS_E_NS1_11comp_targetILNS1_3genE9ELNS1_11target_archE1100ELNS1_3gpuE3ELNS1_3repE0EEENS1_30default_config_static_selectorELNS0_4arch9wavefront6targetE1EEEvT1_.kd
    .uniform_work_group_size: 1
    .uses_dynamic_stack: false
    .vgpr_count:     0
    .vgpr_spill_count: 0
    .wavefront_size: 64
  - .agpr_count:     0
    .args:
      - .offset:         0
        .size:           104
        .value_kind:     by_value
    .group_segment_fixed_size: 0
    .kernarg_segment_align: 8
    .kernarg_segment_size: 104
    .language:       OpenCL C
    .language_version:
      - 2
      - 0
    .max_flat_workgroup_size: 64
    .name:           _ZN7rocprim17ROCPRIM_400000_NS6detail17trampoline_kernelINS0_14default_configENS1_20scan_config_selectorIsEEZZNS1_9scan_implILNS1_25lookback_scan_determinismE0ELb0ELb0ES3_N6thrust23THRUST_200600_302600_NS6detail15normal_iteratorINS9_10device_ptrIsEEEENS9_16discard_iteratorINS9_11use_defaultEEEs11max_functorIsEsEEDaPvRmT3_T4_T5_mT6_P12ihipStream_tbENKUlT_T0_E_clISt17integral_constantIbLb0EESX_EEDaSS_ST_EUlSS_E_NS1_11comp_targetILNS1_3genE8ELNS1_11target_archE1030ELNS1_3gpuE2ELNS1_3repE0EEENS1_30default_config_static_selectorELNS0_4arch9wavefront6targetE1EEEvT1_
    .private_segment_fixed_size: 0
    .sgpr_count:     4
    .sgpr_spill_count: 0
    .symbol:         _ZN7rocprim17ROCPRIM_400000_NS6detail17trampoline_kernelINS0_14default_configENS1_20scan_config_selectorIsEEZZNS1_9scan_implILNS1_25lookback_scan_determinismE0ELb0ELb0ES3_N6thrust23THRUST_200600_302600_NS6detail15normal_iteratorINS9_10device_ptrIsEEEENS9_16discard_iteratorINS9_11use_defaultEEEs11max_functorIsEsEEDaPvRmT3_T4_T5_mT6_P12ihipStream_tbENKUlT_T0_E_clISt17integral_constantIbLb0EESX_EEDaSS_ST_EUlSS_E_NS1_11comp_targetILNS1_3genE8ELNS1_11target_archE1030ELNS1_3gpuE2ELNS1_3repE0EEENS1_30default_config_static_selectorELNS0_4arch9wavefront6targetE1EEEvT1_.kd
    .uniform_work_group_size: 1
    .uses_dynamic_stack: false
    .vgpr_count:     0
    .vgpr_spill_count: 0
    .wavefront_size: 64
  - .agpr_count:     0
    .args:
      - .offset:         0
        .size:           40
        .value_kind:     by_value
    .group_segment_fixed_size: 0
    .kernarg_segment_align: 8
    .kernarg_segment_size: 40
    .language:       OpenCL C
    .language_version:
      - 2
      - 0
    .max_flat_workgroup_size: 128
    .name:           _ZN7rocprim17ROCPRIM_400000_NS6detail17trampoline_kernelINS0_14default_configENS1_20scan_config_selectorIsEEZZNS1_9scan_implILNS1_25lookback_scan_determinismE0ELb0ELb0ES3_N6thrust23THRUST_200600_302600_NS6detail15normal_iteratorINS9_10device_ptrIsEEEENS9_16discard_iteratorINS9_11use_defaultEEEs11max_functorIsEsEEDaPvRmT3_T4_T5_mT6_P12ihipStream_tbENKUlT_T0_E_clISt17integral_constantIbLb0EESX_EEDaSS_ST_EUlSS_E0_NS1_11comp_targetILNS1_3genE0ELNS1_11target_archE4294967295ELNS1_3gpuE0ELNS1_3repE0EEENS1_30default_config_static_selectorELNS0_4arch9wavefront6targetE1EEEvT1_
    .private_segment_fixed_size: 0
    .sgpr_count:     4
    .sgpr_spill_count: 0
    .symbol:         _ZN7rocprim17ROCPRIM_400000_NS6detail17trampoline_kernelINS0_14default_configENS1_20scan_config_selectorIsEEZZNS1_9scan_implILNS1_25lookback_scan_determinismE0ELb0ELb0ES3_N6thrust23THRUST_200600_302600_NS6detail15normal_iteratorINS9_10device_ptrIsEEEENS9_16discard_iteratorINS9_11use_defaultEEEs11max_functorIsEsEEDaPvRmT3_T4_T5_mT6_P12ihipStream_tbENKUlT_T0_E_clISt17integral_constantIbLb0EESX_EEDaSS_ST_EUlSS_E0_NS1_11comp_targetILNS1_3genE0ELNS1_11target_archE4294967295ELNS1_3gpuE0ELNS1_3repE0EEENS1_30default_config_static_selectorELNS0_4arch9wavefront6targetE1EEEvT1_.kd
    .uniform_work_group_size: 1
    .uses_dynamic_stack: false
    .vgpr_count:     0
    .vgpr_spill_count: 0
    .wavefront_size: 64
  - .agpr_count:     0
    .args:
      - .offset:         0
        .size:           40
        .value_kind:     by_value
    .group_segment_fixed_size: 0
    .kernarg_segment_align: 8
    .kernarg_segment_size: 40
    .language:       OpenCL C
    .language_version:
      - 2
      - 0
    .max_flat_workgroup_size: 256
    .name:           _ZN7rocprim17ROCPRIM_400000_NS6detail17trampoline_kernelINS0_14default_configENS1_20scan_config_selectorIsEEZZNS1_9scan_implILNS1_25lookback_scan_determinismE0ELb0ELb0ES3_N6thrust23THRUST_200600_302600_NS6detail15normal_iteratorINS9_10device_ptrIsEEEENS9_16discard_iteratorINS9_11use_defaultEEEs11max_functorIsEsEEDaPvRmT3_T4_T5_mT6_P12ihipStream_tbENKUlT_T0_E_clISt17integral_constantIbLb0EESX_EEDaSS_ST_EUlSS_E0_NS1_11comp_targetILNS1_3genE5ELNS1_11target_archE942ELNS1_3gpuE9ELNS1_3repE0EEENS1_30default_config_static_selectorELNS0_4arch9wavefront6targetE1EEEvT1_
    .private_segment_fixed_size: 0
    .sgpr_count:     4
    .sgpr_spill_count: 0
    .symbol:         _ZN7rocprim17ROCPRIM_400000_NS6detail17trampoline_kernelINS0_14default_configENS1_20scan_config_selectorIsEEZZNS1_9scan_implILNS1_25lookback_scan_determinismE0ELb0ELb0ES3_N6thrust23THRUST_200600_302600_NS6detail15normal_iteratorINS9_10device_ptrIsEEEENS9_16discard_iteratorINS9_11use_defaultEEEs11max_functorIsEsEEDaPvRmT3_T4_T5_mT6_P12ihipStream_tbENKUlT_T0_E_clISt17integral_constantIbLb0EESX_EEDaSS_ST_EUlSS_E0_NS1_11comp_targetILNS1_3genE5ELNS1_11target_archE942ELNS1_3gpuE9ELNS1_3repE0EEENS1_30default_config_static_selectorELNS0_4arch9wavefront6targetE1EEEvT1_.kd
    .uniform_work_group_size: 1
    .uses_dynamic_stack: false
    .vgpr_count:     0
    .vgpr_spill_count: 0
    .wavefront_size: 64
  - .agpr_count:     0
    .args:
      - .offset:         0
        .size:           40
        .value_kind:     by_value
    .group_segment_fixed_size: 3072
    .kernarg_segment_align: 8
    .kernarg_segment_size: 40
    .language:       OpenCL C
    .language_version:
      - 2
      - 0
    .max_flat_workgroup_size: 64
    .name:           _ZN7rocprim17ROCPRIM_400000_NS6detail17trampoline_kernelINS0_14default_configENS1_20scan_config_selectorIsEEZZNS1_9scan_implILNS1_25lookback_scan_determinismE0ELb0ELb0ES3_N6thrust23THRUST_200600_302600_NS6detail15normal_iteratorINS9_10device_ptrIsEEEENS9_16discard_iteratorINS9_11use_defaultEEEs11max_functorIsEsEEDaPvRmT3_T4_T5_mT6_P12ihipStream_tbENKUlT_T0_E_clISt17integral_constantIbLb0EESX_EEDaSS_ST_EUlSS_E0_NS1_11comp_targetILNS1_3genE4ELNS1_11target_archE910ELNS1_3gpuE8ELNS1_3repE0EEENS1_30default_config_static_selectorELNS0_4arch9wavefront6targetE1EEEvT1_
    .private_segment_fixed_size: 0
    .sgpr_count:     10
    .sgpr_spill_count: 0
    .symbol:         _ZN7rocprim17ROCPRIM_400000_NS6detail17trampoline_kernelINS0_14default_configENS1_20scan_config_selectorIsEEZZNS1_9scan_implILNS1_25lookback_scan_determinismE0ELb0ELb0ES3_N6thrust23THRUST_200600_302600_NS6detail15normal_iteratorINS9_10device_ptrIsEEEENS9_16discard_iteratorINS9_11use_defaultEEEs11max_functorIsEsEEDaPvRmT3_T4_T5_mT6_P12ihipStream_tbENKUlT_T0_E_clISt17integral_constantIbLb0EESX_EEDaSS_ST_EUlSS_E0_NS1_11comp_targetILNS1_3genE4ELNS1_11target_archE910ELNS1_3gpuE8ELNS1_3repE0EEENS1_30default_config_static_selectorELNS0_4arch9wavefront6targetE1EEEvT1_.kd
    .uniform_work_group_size: 1
    .uses_dynamic_stack: false
    .vgpr_count:     41
    .vgpr_spill_count: 0
    .wavefront_size: 64
  - .agpr_count:     0
    .args:
      - .offset:         0
        .size:           40
        .value_kind:     by_value
    .group_segment_fixed_size: 0
    .kernarg_segment_align: 8
    .kernarg_segment_size: 40
    .language:       OpenCL C
    .language_version:
      - 2
      - 0
    .max_flat_workgroup_size: 128
    .name:           _ZN7rocprim17ROCPRIM_400000_NS6detail17trampoline_kernelINS0_14default_configENS1_20scan_config_selectorIsEEZZNS1_9scan_implILNS1_25lookback_scan_determinismE0ELb0ELb0ES3_N6thrust23THRUST_200600_302600_NS6detail15normal_iteratorINS9_10device_ptrIsEEEENS9_16discard_iteratorINS9_11use_defaultEEEs11max_functorIsEsEEDaPvRmT3_T4_T5_mT6_P12ihipStream_tbENKUlT_T0_E_clISt17integral_constantIbLb0EESX_EEDaSS_ST_EUlSS_E0_NS1_11comp_targetILNS1_3genE3ELNS1_11target_archE908ELNS1_3gpuE7ELNS1_3repE0EEENS1_30default_config_static_selectorELNS0_4arch9wavefront6targetE1EEEvT1_
    .private_segment_fixed_size: 0
    .sgpr_count:     4
    .sgpr_spill_count: 0
    .symbol:         _ZN7rocprim17ROCPRIM_400000_NS6detail17trampoline_kernelINS0_14default_configENS1_20scan_config_selectorIsEEZZNS1_9scan_implILNS1_25lookback_scan_determinismE0ELb0ELb0ES3_N6thrust23THRUST_200600_302600_NS6detail15normal_iteratorINS9_10device_ptrIsEEEENS9_16discard_iteratorINS9_11use_defaultEEEs11max_functorIsEsEEDaPvRmT3_T4_T5_mT6_P12ihipStream_tbENKUlT_T0_E_clISt17integral_constantIbLb0EESX_EEDaSS_ST_EUlSS_E0_NS1_11comp_targetILNS1_3genE3ELNS1_11target_archE908ELNS1_3gpuE7ELNS1_3repE0EEENS1_30default_config_static_selectorELNS0_4arch9wavefront6targetE1EEEvT1_.kd
    .uniform_work_group_size: 1
    .uses_dynamic_stack: false
    .vgpr_count:     0
    .vgpr_spill_count: 0
    .wavefront_size: 64
  - .agpr_count:     0
    .args:
      - .offset:         0
        .size:           40
        .value_kind:     by_value
    .group_segment_fixed_size: 0
    .kernarg_segment_align: 8
    .kernarg_segment_size: 40
    .language:       OpenCL C
    .language_version:
      - 2
      - 0
    .max_flat_workgroup_size: 256
    .name:           _ZN7rocprim17ROCPRIM_400000_NS6detail17trampoline_kernelINS0_14default_configENS1_20scan_config_selectorIsEEZZNS1_9scan_implILNS1_25lookback_scan_determinismE0ELb0ELb0ES3_N6thrust23THRUST_200600_302600_NS6detail15normal_iteratorINS9_10device_ptrIsEEEENS9_16discard_iteratorINS9_11use_defaultEEEs11max_functorIsEsEEDaPvRmT3_T4_T5_mT6_P12ihipStream_tbENKUlT_T0_E_clISt17integral_constantIbLb0EESX_EEDaSS_ST_EUlSS_E0_NS1_11comp_targetILNS1_3genE2ELNS1_11target_archE906ELNS1_3gpuE6ELNS1_3repE0EEENS1_30default_config_static_selectorELNS0_4arch9wavefront6targetE1EEEvT1_
    .private_segment_fixed_size: 0
    .sgpr_count:     4
    .sgpr_spill_count: 0
    .symbol:         _ZN7rocprim17ROCPRIM_400000_NS6detail17trampoline_kernelINS0_14default_configENS1_20scan_config_selectorIsEEZZNS1_9scan_implILNS1_25lookback_scan_determinismE0ELb0ELb0ES3_N6thrust23THRUST_200600_302600_NS6detail15normal_iteratorINS9_10device_ptrIsEEEENS9_16discard_iteratorINS9_11use_defaultEEEs11max_functorIsEsEEDaPvRmT3_T4_T5_mT6_P12ihipStream_tbENKUlT_T0_E_clISt17integral_constantIbLb0EESX_EEDaSS_ST_EUlSS_E0_NS1_11comp_targetILNS1_3genE2ELNS1_11target_archE906ELNS1_3gpuE6ELNS1_3repE0EEENS1_30default_config_static_selectorELNS0_4arch9wavefront6targetE1EEEvT1_.kd
    .uniform_work_group_size: 1
    .uses_dynamic_stack: false
    .vgpr_count:     0
    .vgpr_spill_count: 0
    .wavefront_size: 64
  - .agpr_count:     0
    .args:
      - .offset:         0
        .size:           40
        .value_kind:     by_value
    .group_segment_fixed_size: 0
    .kernarg_segment_align: 8
    .kernarg_segment_size: 40
    .language:       OpenCL C
    .language_version:
      - 2
      - 0
    .max_flat_workgroup_size: 256
    .name:           _ZN7rocprim17ROCPRIM_400000_NS6detail17trampoline_kernelINS0_14default_configENS1_20scan_config_selectorIsEEZZNS1_9scan_implILNS1_25lookback_scan_determinismE0ELb0ELb0ES3_N6thrust23THRUST_200600_302600_NS6detail15normal_iteratorINS9_10device_ptrIsEEEENS9_16discard_iteratorINS9_11use_defaultEEEs11max_functorIsEsEEDaPvRmT3_T4_T5_mT6_P12ihipStream_tbENKUlT_T0_E_clISt17integral_constantIbLb0EESX_EEDaSS_ST_EUlSS_E0_NS1_11comp_targetILNS1_3genE10ELNS1_11target_archE1201ELNS1_3gpuE5ELNS1_3repE0EEENS1_30default_config_static_selectorELNS0_4arch9wavefront6targetE1EEEvT1_
    .private_segment_fixed_size: 0
    .sgpr_count:     4
    .sgpr_spill_count: 0
    .symbol:         _ZN7rocprim17ROCPRIM_400000_NS6detail17trampoline_kernelINS0_14default_configENS1_20scan_config_selectorIsEEZZNS1_9scan_implILNS1_25lookback_scan_determinismE0ELb0ELb0ES3_N6thrust23THRUST_200600_302600_NS6detail15normal_iteratorINS9_10device_ptrIsEEEENS9_16discard_iteratorINS9_11use_defaultEEEs11max_functorIsEsEEDaPvRmT3_T4_T5_mT6_P12ihipStream_tbENKUlT_T0_E_clISt17integral_constantIbLb0EESX_EEDaSS_ST_EUlSS_E0_NS1_11comp_targetILNS1_3genE10ELNS1_11target_archE1201ELNS1_3gpuE5ELNS1_3repE0EEENS1_30default_config_static_selectorELNS0_4arch9wavefront6targetE1EEEvT1_.kd
    .uniform_work_group_size: 1
    .uses_dynamic_stack: false
    .vgpr_count:     0
    .vgpr_spill_count: 0
    .wavefront_size: 64
  - .agpr_count:     0
    .args:
      - .offset:         0
        .size:           40
        .value_kind:     by_value
    .group_segment_fixed_size: 0
    .kernarg_segment_align: 8
    .kernarg_segment_size: 40
    .language:       OpenCL C
    .language_version:
      - 2
      - 0
    .max_flat_workgroup_size: 256
    .name:           _ZN7rocprim17ROCPRIM_400000_NS6detail17trampoline_kernelINS0_14default_configENS1_20scan_config_selectorIsEEZZNS1_9scan_implILNS1_25lookback_scan_determinismE0ELb0ELb0ES3_N6thrust23THRUST_200600_302600_NS6detail15normal_iteratorINS9_10device_ptrIsEEEENS9_16discard_iteratorINS9_11use_defaultEEEs11max_functorIsEsEEDaPvRmT3_T4_T5_mT6_P12ihipStream_tbENKUlT_T0_E_clISt17integral_constantIbLb0EESX_EEDaSS_ST_EUlSS_E0_NS1_11comp_targetILNS1_3genE10ELNS1_11target_archE1200ELNS1_3gpuE4ELNS1_3repE0EEENS1_30default_config_static_selectorELNS0_4arch9wavefront6targetE1EEEvT1_
    .private_segment_fixed_size: 0
    .sgpr_count:     4
    .sgpr_spill_count: 0
    .symbol:         _ZN7rocprim17ROCPRIM_400000_NS6detail17trampoline_kernelINS0_14default_configENS1_20scan_config_selectorIsEEZZNS1_9scan_implILNS1_25lookback_scan_determinismE0ELb0ELb0ES3_N6thrust23THRUST_200600_302600_NS6detail15normal_iteratorINS9_10device_ptrIsEEEENS9_16discard_iteratorINS9_11use_defaultEEEs11max_functorIsEsEEDaPvRmT3_T4_T5_mT6_P12ihipStream_tbENKUlT_T0_E_clISt17integral_constantIbLb0EESX_EEDaSS_ST_EUlSS_E0_NS1_11comp_targetILNS1_3genE10ELNS1_11target_archE1200ELNS1_3gpuE4ELNS1_3repE0EEENS1_30default_config_static_selectorELNS0_4arch9wavefront6targetE1EEEvT1_.kd
    .uniform_work_group_size: 1
    .uses_dynamic_stack: false
    .vgpr_count:     0
    .vgpr_spill_count: 0
    .wavefront_size: 64
  - .agpr_count:     0
    .args:
      - .offset:         0
        .size:           40
        .value_kind:     by_value
    .group_segment_fixed_size: 0
    .kernarg_segment_align: 8
    .kernarg_segment_size: 40
    .language:       OpenCL C
    .language_version:
      - 2
      - 0
    .max_flat_workgroup_size: 64
    .name:           _ZN7rocprim17ROCPRIM_400000_NS6detail17trampoline_kernelINS0_14default_configENS1_20scan_config_selectorIsEEZZNS1_9scan_implILNS1_25lookback_scan_determinismE0ELb0ELb0ES3_N6thrust23THRUST_200600_302600_NS6detail15normal_iteratorINS9_10device_ptrIsEEEENS9_16discard_iteratorINS9_11use_defaultEEEs11max_functorIsEsEEDaPvRmT3_T4_T5_mT6_P12ihipStream_tbENKUlT_T0_E_clISt17integral_constantIbLb0EESX_EEDaSS_ST_EUlSS_E0_NS1_11comp_targetILNS1_3genE9ELNS1_11target_archE1100ELNS1_3gpuE3ELNS1_3repE0EEENS1_30default_config_static_selectorELNS0_4arch9wavefront6targetE1EEEvT1_
    .private_segment_fixed_size: 0
    .sgpr_count:     4
    .sgpr_spill_count: 0
    .symbol:         _ZN7rocprim17ROCPRIM_400000_NS6detail17trampoline_kernelINS0_14default_configENS1_20scan_config_selectorIsEEZZNS1_9scan_implILNS1_25lookback_scan_determinismE0ELb0ELb0ES3_N6thrust23THRUST_200600_302600_NS6detail15normal_iteratorINS9_10device_ptrIsEEEENS9_16discard_iteratorINS9_11use_defaultEEEs11max_functorIsEsEEDaPvRmT3_T4_T5_mT6_P12ihipStream_tbENKUlT_T0_E_clISt17integral_constantIbLb0EESX_EEDaSS_ST_EUlSS_E0_NS1_11comp_targetILNS1_3genE9ELNS1_11target_archE1100ELNS1_3gpuE3ELNS1_3repE0EEENS1_30default_config_static_selectorELNS0_4arch9wavefront6targetE1EEEvT1_.kd
    .uniform_work_group_size: 1
    .uses_dynamic_stack: false
    .vgpr_count:     0
    .vgpr_spill_count: 0
    .wavefront_size: 64
  - .agpr_count:     0
    .args:
      - .offset:         0
        .size:           40
        .value_kind:     by_value
    .group_segment_fixed_size: 0
    .kernarg_segment_align: 8
    .kernarg_segment_size: 40
    .language:       OpenCL C
    .language_version:
      - 2
      - 0
    .max_flat_workgroup_size: 64
    .name:           _ZN7rocprim17ROCPRIM_400000_NS6detail17trampoline_kernelINS0_14default_configENS1_20scan_config_selectorIsEEZZNS1_9scan_implILNS1_25lookback_scan_determinismE0ELb0ELb0ES3_N6thrust23THRUST_200600_302600_NS6detail15normal_iteratorINS9_10device_ptrIsEEEENS9_16discard_iteratorINS9_11use_defaultEEEs11max_functorIsEsEEDaPvRmT3_T4_T5_mT6_P12ihipStream_tbENKUlT_T0_E_clISt17integral_constantIbLb0EESX_EEDaSS_ST_EUlSS_E0_NS1_11comp_targetILNS1_3genE8ELNS1_11target_archE1030ELNS1_3gpuE2ELNS1_3repE0EEENS1_30default_config_static_selectorELNS0_4arch9wavefront6targetE1EEEvT1_
    .private_segment_fixed_size: 0
    .sgpr_count:     4
    .sgpr_spill_count: 0
    .symbol:         _ZN7rocprim17ROCPRIM_400000_NS6detail17trampoline_kernelINS0_14default_configENS1_20scan_config_selectorIsEEZZNS1_9scan_implILNS1_25lookback_scan_determinismE0ELb0ELb0ES3_N6thrust23THRUST_200600_302600_NS6detail15normal_iteratorINS9_10device_ptrIsEEEENS9_16discard_iteratorINS9_11use_defaultEEEs11max_functorIsEsEEDaPvRmT3_T4_T5_mT6_P12ihipStream_tbENKUlT_T0_E_clISt17integral_constantIbLb0EESX_EEDaSS_ST_EUlSS_E0_NS1_11comp_targetILNS1_3genE8ELNS1_11target_archE1030ELNS1_3gpuE2ELNS1_3repE0EEENS1_30default_config_static_selectorELNS0_4arch9wavefront6targetE1EEEvT1_.kd
    .uniform_work_group_size: 1
    .uses_dynamic_stack: false
    .vgpr_count:     0
    .vgpr_spill_count: 0
    .wavefront_size: 64
  - .agpr_count:     0
    .args:
      - .offset:         0
        .size:           104
        .value_kind:     by_value
    .group_segment_fixed_size: 0
    .kernarg_segment_align: 8
    .kernarg_segment_size: 104
    .language:       OpenCL C
    .language_version:
      - 2
      - 0
    .max_flat_workgroup_size: 128
    .name:           _ZN7rocprim17ROCPRIM_400000_NS6detail17trampoline_kernelINS0_14default_configENS1_20scan_config_selectorIsEEZZNS1_9scan_implILNS1_25lookback_scan_determinismE0ELb0ELb0ES3_N6thrust23THRUST_200600_302600_NS6detail15normal_iteratorINS9_10device_ptrIsEEEENS9_16discard_iteratorINS9_11use_defaultEEEs11max_functorIsEsEEDaPvRmT3_T4_T5_mT6_P12ihipStream_tbENKUlT_T0_E_clISt17integral_constantIbLb1EESX_EEDaSS_ST_EUlSS_E_NS1_11comp_targetILNS1_3genE0ELNS1_11target_archE4294967295ELNS1_3gpuE0ELNS1_3repE0EEENS1_30default_config_static_selectorELNS0_4arch9wavefront6targetE1EEEvT1_
    .private_segment_fixed_size: 0
    .sgpr_count:     4
    .sgpr_spill_count: 0
    .symbol:         _ZN7rocprim17ROCPRIM_400000_NS6detail17trampoline_kernelINS0_14default_configENS1_20scan_config_selectorIsEEZZNS1_9scan_implILNS1_25lookback_scan_determinismE0ELb0ELb0ES3_N6thrust23THRUST_200600_302600_NS6detail15normal_iteratorINS9_10device_ptrIsEEEENS9_16discard_iteratorINS9_11use_defaultEEEs11max_functorIsEsEEDaPvRmT3_T4_T5_mT6_P12ihipStream_tbENKUlT_T0_E_clISt17integral_constantIbLb1EESX_EEDaSS_ST_EUlSS_E_NS1_11comp_targetILNS1_3genE0ELNS1_11target_archE4294967295ELNS1_3gpuE0ELNS1_3repE0EEENS1_30default_config_static_selectorELNS0_4arch9wavefront6targetE1EEEvT1_.kd
    .uniform_work_group_size: 1
    .uses_dynamic_stack: false
    .vgpr_count:     0
    .vgpr_spill_count: 0
    .wavefront_size: 64
  - .agpr_count:     0
    .args:
      - .offset:         0
        .size:           104
        .value_kind:     by_value
    .group_segment_fixed_size: 0
    .kernarg_segment_align: 8
    .kernarg_segment_size: 104
    .language:       OpenCL C
    .language_version:
      - 2
      - 0
    .max_flat_workgroup_size: 256
    .name:           _ZN7rocprim17ROCPRIM_400000_NS6detail17trampoline_kernelINS0_14default_configENS1_20scan_config_selectorIsEEZZNS1_9scan_implILNS1_25lookback_scan_determinismE0ELb0ELb0ES3_N6thrust23THRUST_200600_302600_NS6detail15normal_iteratorINS9_10device_ptrIsEEEENS9_16discard_iteratorINS9_11use_defaultEEEs11max_functorIsEsEEDaPvRmT3_T4_T5_mT6_P12ihipStream_tbENKUlT_T0_E_clISt17integral_constantIbLb1EESX_EEDaSS_ST_EUlSS_E_NS1_11comp_targetILNS1_3genE5ELNS1_11target_archE942ELNS1_3gpuE9ELNS1_3repE0EEENS1_30default_config_static_selectorELNS0_4arch9wavefront6targetE1EEEvT1_
    .private_segment_fixed_size: 0
    .sgpr_count:     4
    .sgpr_spill_count: 0
    .symbol:         _ZN7rocprim17ROCPRIM_400000_NS6detail17trampoline_kernelINS0_14default_configENS1_20scan_config_selectorIsEEZZNS1_9scan_implILNS1_25lookback_scan_determinismE0ELb0ELb0ES3_N6thrust23THRUST_200600_302600_NS6detail15normal_iteratorINS9_10device_ptrIsEEEENS9_16discard_iteratorINS9_11use_defaultEEEs11max_functorIsEsEEDaPvRmT3_T4_T5_mT6_P12ihipStream_tbENKUlT_T0_E_clISt17integral_constantIbLb1EESX_EEDaSS_ST_EUlSS_E_NS1_11comp_targetILNS1_3genE5ELNS1_11target_archE942ELNS1_3gpuE9ELNS1_3repE0EEENS1_30default_config_static_selectorELNS0_4arch9wavefront6targetE1EEEvT1_.kd
    .uniform_work_group_size: 1
    .uses_dynamic_stack: false
    .vgpr_count:     0
    .vgpr_spill_count: 0
    .wavefront_size: 64
  - .agpr_count:     0
    .args:
      - .offset:         0
        .size:           104
        .value_kind:     by_value
    .group_segment_fixed_size: 3072
    .kernarg_segment_align: 8
    .kernarg_segment_size: 104
    .language:       OpenCL C
    .language_version:
      - 2
      - 0
    .max_flat_workgroup_size: 64
    .name:           _ZN7rocprim17ROCPRIM_400000_NS6detail17trampoline_kernelINS0_14default_configENS1_20scan_config_selectorIsEEZZNS1_9scan_implILNS1_25lookback_scan_determinismE0ELb0ELb0ES3_N6thrust23THRUST_200600_302600_NS6detail15normal_iteratorINS9_10device_ptrIsEEEENS9_16discard_iteratorINS9_11use_defaultEEEs11max_functorIsEsEEDaPvRmT3_T4_T5_mT6_P12ihipStream_tbENKUlT_T0_E_clISt17integral_constantIbLb1EESX_EEDaSS_ST_EUlSS_E_NS1_11comp_targetILNS1_3genE4ELNS1_11target_archE910ELNS1_3gpuE8ELNS1_3repE0EEENS1_30default_config_static_selectorELNS0_4arch9wavefront6targetE1EEEvT1_
    .private_segment_fixed_size: 0
    .sgpr_count:     35
    .sgpr_spill_count: 0
    .symbol:         _ZN7rocprim17ROCPRIM_400000_NS6detail17trampoline_kernelINS0_14default_configENS1_20scan_config_selectorIsEEZZNS1_9scan_implILNS1_25lookback_scan_determinismE0ELb0ELb0ES3_N6thrust23THRUST_200600_302600_NS6detail15normal_iteratorINS9_10device_ptrIsEEEENS9_16discard_iteratorINS9_11use_defaultEEEs11max_functorIsEsEEDaPvRmT3_T4_T5_mT6_P12ihipStream_tbENKUlT_T0_E_clISt17integral_constantIbLb1EESX_EEDaSS_ST_EUlSS_E_NS1_11comp_targetILNS1_3genE4ELNS1_11target_archE910ELNS1_3gpuE8ELNS1_3repE0EEENS1_30default_config_static_selectorELNS0_4arch9wavefront6targetE1EEEvT1_.kd
    .uniform_work_group_size: 1
    .uses_dynamic_stack: false
    .vgpr_count:     56
    .vgpr_spill_count: 0
    .wavefront_size: 64
  - .agpr_count:     0
    .args:
      - .offset:         0
        .size:           104
        .value_kind:     by_value
    .group_segment_fixed_size: 0
    .kernarg_segment_align: 8
    .kernarg_segment_size: 104
    .language:       OpenCL C
    .language_version:
      - 2
      - 0
    .max_flat_workgroup_size: 128
    .name:           _ZN7rocprim17ROCPRIM_400000_NS6detail17trampoline_kernelINS0_14default_configENS1_20scan_config_selectorIsEEZZNS1_9scan_implILNS1_25lookback_scan_determinismE0ELb0ELb0ES3_N6thrust23THRUST_200600_302600_NS6detail15normal_iteratorINS9_10device_ptrIsEEEENS9_16discard_iteratorINS9_11use_defaultEEEs11max_functorIsEsEEDaPvRmT3_T4_T5_mT6_P12ihipStream_tbENKUlT_T0_E_clISt17integral_constantIbLb1EESX_EEDaSS_ST_EUlSS_E_NS1_11comp_targetILNS1_3genE3ELNS1_11target_archE908ELNS1_3gpuE7ELNS1_3repE0EEENS1_30default_config_static_selectorELNS0_4arch9wavefront6targetE1EEEvT1_
    .private_segment_fixed_size: 0
    .sgpr_count:     4
    .sgpr_spill_count: 0
    .symbol:         _ZN7rocprim17ROCPRIM_400000_NS6detail17trampoline_kernelINS0_14default_configENS1_20scan_config_selectorIsEEZZNS1_9scan_implILNS1_25lookback_scan_determinismE0ELb0ELb0ES3_N6thrust23THRUST_200600_302600_NS6detail15normal_iteratorINS9_10device_ptrIsEEEENS9_16discard_iteratorINS9_11use_defaultEEEs11max_functorIsEsEEDaPvRmT3_T4_T5_mT6_P12ihipStream_tbENKUlT_T0_E_clISt17integral_constantIbLb1EESX_EEDaSS_ST_EUlSS_E_NS1_11comp_targetILNS1_3genE3ELNS1_11target_archE908ELNS1_3gpuE7ELNS1_3repE0EEENS1_30default_config_static_selectorELNS0_4arch9wavefront6targetE1EEEvT1_.kd
    .uniform_work_group_size: 1
    .uses_dynamic_stack: false
    .vgpr_count:     0
    .vgpr_spill_count: 0
    .wavefront_size: 64
  - .agpr_count:     0
    .args:
      - .offset:         0
        .size:           104
        .value_kind:     by_value
    .group_segment_fixed_size: 0
    .kernarg_segment_align: 8
    .kernarg_segment_size: 104
    .language:       OpenCL C
    .language_version:
      - 2
      - 0
    .max_flat_workgroup_size: 256
    .name:           _ZN7rocprim17ROCPRIM_400000_NS6detail17trampoline_kernelINS0_14default_configENS1_20scan_config_selectorIsEEZZNS1_9scan_implILNS1_25lookback_scan_determinismE0ELb0ELb0ES3_N6thrust23THRUST_200600_302600_NS6detail15normal_iteratorINS9_10device_ptrIsEEEENS9_16discard_iteratorINS9_11use_defaultEEEs11max_functorIsEsEEDaPvRmT3_T4_T5_mT6_P12ihipStream_tbENKUlT_T0_E_clISt17integral_constantIbLb1EESX_EEDaSS_ST_EUlSS_E_NS1_11comp_targetILNS1_3genE2ELNS1_11target_archE906ELNS1_3gpuE6ELNS1_3repE0EEENS1_30default_config_static_selectorELNS0_4arch9wavefront6targetE1EEEvT1_
    .private_segment_fixed_size: 0
    .sgpr_count:     4
    .sgpr_spill_count: 0
    .symbol:         _ZN7rocprim17ROCPRIM_400000_NS6detail17trampoline_kernelINS0_14default_configENS1_20scan_config_selectorIsEEZZNS1_9scan_implILNS1_25lookback_scan_determinismE0ELb0ELb0ES3_N6thrust23THRUST_200600_302600_NS6detail15normal_iteratorINS9_10device_ptrIsEEEENS9_16discard_iteratorINS9_11use_defaultEEEs11max_functorIsEsEEDaPvRmT3_T4_T5_mT6_P12ihipStream_tbENKUlT_T0_E_clISt17integral_constantIbLb1EESX_EEDaSS_ST_EUlSS_E_NS1_11comp_targetILNS1_3genE2ELNS1_11target_archE906ELNS1_3gpuE6ELNS1_3repE0EEENS1_30default_config_static_selectorELNS0_4arch9wavefront6targetE1EEEvT1_.kd
    .uniform_work_group_size: 1
    .uses_dynamic_stack: false
    .vgpr_count:     0
    .vgpr_spill_count: 0
    .wavefront_size: 64
  - .agpr_count:     0
    .args:
      - .offset:         0
        .size:           104
        .value_kind:     by_value
    .group_segment_fixed_size: 0
    .kernarg_segment_align: 8
    .kernarg_segment_size: 104
    .language:       OpenCL C
    .language_version:
      - 2
      - 0
    .max_flat_workgroup_size: 256
    .name:           _ZN7rocprim17ROCPRIM_400000_NS6detail17trampoline_kernelINS0_14default_configENS1_20scan_config_selectorIsEEZZNS1_9scan_implILNS1_25lookback_scan_determinismE0ELb0ELb0ES3_N6thrust23THRUST_200600_302600_NS6detail15normal_iteratorINS9_10device_ptrIsEEEENS9_16discard_iteratorINS9_11use_defaultEEEs11max_functorIsEsEEDaPvRmT3_T4_T5_mT6_P12ihipStream_tbENKUlT_T0_E_clISt17integral_constantIbLb1EESX_EEDaSS_ST_EUlSS_E_NS1_11comp_targetILNS1_3genE10ELNS1_11target_archE1201ELNS1_3gpuE5ELNS1_3repE0EEENS1_30default_config_static_selectorELNS0_4arch9wavefront6targetE1EEEvT1_
    .private_segment_fixed_size: 0
    .sgpr_count:     4
    .sgpr_spill_count: 0
    .symbol:         _ZN7rocprim17ROCPRIM_400000_NS6detail17trampoline_kernelINS0_14default_configENS1_20scan_config_selectorIsEEZZNS1_9scan_implILNS1_25lookback_scan_determinismE0ELb0ELb0ES3_N6thrust23THRUST_200600_302600_NS6detail15normal_iteratorINS9_10device_ptrIsEEEENS9_16discard_iteratorINS9_11use_defaultEEEs11max_functorIsEsEEDaPvRmT3_T4_T5_mT6_P12ihipStream_tbENKUlT_T0_E_clISt17integral_constantIbLb1EESX_EEDaSS_ST_EUlSS_E_NS1_11comp_targetILNS1_3genE10ELNS1_11target_archE1201ELNS1_3gpuE5ELNS1_3repE0EEENS1_30default_config_static_selectorELNS0_4arch9wavefront6targetE1EEEvT1_.kd
    .uniform_work_group_size: 1
    .uses_dynamic_stack: false
    .vgpr_count:     0
    .vgpr_spill_count: 0
    .wavefront_size: 64
  - .agpr_count:     0
    .args:
      - .offset:         0
        .size:           104
        .value_kind:     by_value
    .group_segment_fixed_size: 0
    .kernarg_segment_align: 8
    .kernarg_segment_size: 104
    .language:       OpenCL C
    .language_version:
      - 2
      - 0
    .max_flat_workgroup_size: 256
    .name:           _ZN7rocprim17ROCPRIM_400000_NS6detail17trampoline_kernelINS0_14default_configENS1_20scan_config_selectorIsEEZZNS1_9scan_implILNS1_25lookback_scan_determinismE0ELb0ELb0ES3_N6thrust23THRUST_200600_302600_NS6detail15normal_iteratorINS9_10device_ptrIsEEEENS9_16discard_iteratorINS9_11use_defaultEEEs11max_functorIsEsEEDaPvRmT3_T4_T5_mT6_P12ihipStream_tbENKUlT_T0_E_clISt17integral_constantIbLb1EESX_EEDaSS_ST_EUlSS_E_NS1_11comp_targetILNS1_3genE10ELNS1_11target_archE1200ELNS1_3gpuE4ELNS1_3repE0EEENS1_30default_config_static_selectorELNS0_4arch9wavefront6targetE1EEEvT1_
    .private_segment_fixed_size: 0
    .sgpr_count:     4
    .sgpr_spill_count: 0
    .symbol:         _ZN7rocprim17ROCPRIM_400000_NS6detail17trampoline_kernelINS0_14default_configENS1_20scan_config_selectorIsEEZZNS1_9scan_implILNS1_25lookback_scan_determinismE0ELb0ELb0ES3_N6thrust23THRUST_200600_302600_NS6detail15normal_iteratorINS9_10device_ptrIsEEEENS9_16discard_iteratorINS9_11use_defaultEEEs11max_functorIsEsEEDaPvRmT3_T4_T5_mT6_P12ihipStream_tbENKUlT_T0_E_clISt17integral_constantIbLb1EESX_EEDaSS_ST_EUlSS_E_NS1_11comp_targetILNS1_3genE10ELNS1_11target_archE1200ELNS1_3gpuE4ELNS1_3repE0EEENS1_30default_config_static_selectorELNS0_4arch9wavefront6targetE1EEEvT1_.kd
    .uniform_work_group_size: 1
    .uses_dynamic_stack: false
    .vgpr_count:     0
    .vgpr_spill_count: 0
    .wavefront_size: 64
  - .agpr_count:     0
    .args:
      - .offset:         0
        .size:           104
        .value_kind:     by_value
    .group_segment_fixed_size: 0
    .kernarg_segment_align: 8
    .kernarg_segment_size: 104
    .language:       OpenCL C
    .language_version:
      - 2
      - 0
    .max_flat_workgroup_size: 64
    .name:           _ZN7rocprim17ROCPRIM_400000_NS6detail17trampoline_kernelINS0_14default_configENS1_20scan_config_selectorIsEEZZNS1_9scan_implILNS1_25lookback_scan_determinismE0ELb0ELb0ES3_N6thrust23THRUST_200600_302600_NS6detail15normal_iteratorINS9_10device_ptrIsEEEENS9_16discard_iteratorINS9_11use_defaultEEEs11max_functorIsEsEEDaPvRmT3_T4_T5_mT6_P12ihipStream_tbENKUlT_T0_E_clISt17integral_constantIbLb1EESX_EEDaSS_ST_EUlSS_E_NS1_11comp_targetILNS1_3genE9ELNS1_11target_archE1100ELNS1_3gpuE3ELNS1_3repE0EEENS1_30default_config_static_selectorELNS0_4arch9wavefront6targetE1EEEvT1_
    .private_segment_fixed_size: 0
    .sgpr_count:     4
    .sgpr_spill_count: 0
    .symbol:         _ZN7rocprim17ROCPRIM_400000_NS6detail17trampoline_kernelINS0_14default_configENS1_20scan_config_selectorIsEEZZNS1_9scan_implILNS1_25lookback_scan_determinismE0ELb0ELb0ES3_N6thrust23THRUST_200600_302600_NS6detail15normal_iteratorINS9_10device_ptrIsEEEENS9_16discard_iteratorINS9_11use_defaultEEEs11max_functorIsEsEEDaPvRmT3_T4_T5_mT6_P12ihipStream_tbENKUlT_T0_E_clISt17integral_constantIbLb1EESX_EEDaSS_ST_EUlSS_E_NS1_11comp_targetILNS1_3genE9ELNS1_11target_archE1100ELNS1_3gpuE3ELNS1_3repE0EEENS1_30default_config_static_selectorELNS0_4arch9wavefront6targetE1EEEvT1_.kd
    .uniform_work_group_size: 1
    .uses_dynamic_stack: false
    .vgpr_count:     0
    .vgpr_spill_count: 0
    .wavefront_size: 64
  - .agpr_count:     0
    .args:
      - .offset:         0
        .size:           104
        .value_kind:     by_value
    .group_segment_fixed_size: 0
    .kernarg_segment_align: 8
    .kernarg_segment_size: 104
    .language:       OpenCL C
    .language_version:
      - 2
      - 0
    .max_flat_workgroup_size: 64
    .name:           _ZN7rocprim17ROCPRIM_400000_NS6detail17trampoline_kernelINS0_14default_configENS1_20scan_config_selectorIsEEZZNS1_9scan_implILNS1_25lookback_scan_determinismE0ELb0ELb0ES3_N6thrust23THRUST_200600_302600_NS6detail15normal_iteratorINS9_10device_ptrIsEEEENS9_16discard_iteratorINS9_11use_defaultEEEs11max_functorIsEsEEDaPvRmT3_T4_T5_mT6_P12ihipStream_tbENKUlT_T0_E_clISt17integral_constantIbLb1EESX_EEDaSS_ST_EUlSS_E_NS1_11comp_targetILNS1_3genE8ELNS1_11target_archE1030ELNS1_3gpuE2ELNS1_3repE0EEENS1_30default_config_static_selectorELNS0_4arch9wavefront6targetE1EEEvT1_
    .private_segment_fixed_size: 0
    .sgpr_count:     4
    .sgpr_spill_count: 0
    .symbol:         _ZN7rocprim17ROCPRIM_400000_NS6detail17trampoline_kernelINS0_14default_configENS1_20scan_config_selectorIsEEZZNS1_9scan_implILNS1_25lookback_scan_determinismE0ELb0ELb0ES3_N6thrust23THRUST_200600_302600_NS6detail15normal_iteratorINS9_10device_ptrIsEEEENS9_16discard_iteratorINS9_11use_defaultEEEs11max_functorIsEsEEDaPvRmT3_T4_T5_mT6_P12ihipStream_tbENKUlT_T0_E_clISt17integral_constantIbLb1EESX_EEDaSS_ST_EUlSS_E_NS1_11comp_targetILNS1_3genE8ELNS1_11target_archE1030ELNS1_3gpuE2ELNS1_3repE0EEENS1_30default_config_static_selectorELNS0_4arch9wavefront6targetE1EEEvT1_.kd
    .uniform_work_group_size: 1
    .uses_dynamic_stack: false
    .vgpr_count:     0
    .vgpr_spill_count: 0
    .wavefront_size: 64
  - .agpr_count:     0
    .args:
      - .offset:         0
        .size:           40
        .value_kind:     by_value
    .group_segment_fixed_size: 0
    .kernarg_segment_align: 8
    .kernarg_segment_size: 40
    .language:       OpenCL C
    .language_version:
      - 2
      - 0
    .max_flat_workgroup_size: 128
    .name:           _ZN7rocprim17ROCPRIM_400000_NS6detail17trampoline_kernelINS0_14default_configENS1_20scan_config_selectorIsEEZZNS1_9scan_implILNS1_25lookback_scan_determinismE0ELb0ELb0ES3_N6thrust23THRUST_200600_302600_NS6detail15normal_iteratorINS9_10device_ptrIsEEEENS9_16discard_iteratorINS9_11use_defaultEEEs11max_functorIsEsEEDaPvRmT3_T4_T5_mT6_P12ihipStream_tbENKUlT_T0_E_clISt17integral_constantIbLb1EESX_EEDaSS_ST_EUlSS_E0_NS1_11comp_targetILNS1_3genE0ELNS1_11target_archE4294967295ELNS1_3gpuE0ELNS1_3repE0EEENS1_30default_config_static_selectorELNS0_4arch9wavefront6targetE1EEEvT1_
    .private_segment_fixed_size: 0
    .sgpr_count:     4
    .sgpr_spill_count: 0
    .symbol:         _ZN7rocprim17ROCPRIM_400000_NS6detail17trampoline_kernelINS0_14default_configENS1_20scan_config_selectorIsEEZZNS1_9scan_implILNS1_25lookback_scan_determinismE0ELb0ELb0ES3_N6thrust23THRUST_200600_302600_NS6detail15normal_iteratorINS9_10device_ptrIsEEEENS9_16discard_iteratorINS9_11use_defaultEEEs11max_functorIsEsEEDaPvRmT3_T4_T5_mT6_P12ihipStream_tbENKUlT_T0_E_clISt17integral_constantIbLb1EESX_EEDaSS_ST_EUlSS_E0_NS1_11comp_targetILNS1_3genE0ELNS1_11target_archE4294967295ELNS1_3gpuE0ELNS1_3repE0EEENS1_30default_config_static_selectorELNS0_4arch9wavefront6targetE1EEEvT1_.kd
    .uniform_work_group_size: 1
    .uses_dynamic_stack: false
    .vgpr_count:     0
    .vgpr_spill_count: 0
    .wavefront_size: 64
  - .agpr_count:     0
    .args:
      - .offset:         0
        .size:           40
        .value_kind:     by_value
    .group_segment_fixed_size: 0
    .kernarg_segment_align: 8
    .kernarg_segment_size: 40
    .language:       OpenCL C
    .language_version:
      - 2
      - 0
    .max_flat_workgroup_size: 256
    .name:           _ZN7rocprim17ROCPRIM_400000_NS6detail17trampoline_kernelINS0_14default_configENS1_20scan_config_selectorIsEEZZNS1_9scan_implILNS1_25lookback_scan_determinismE0ELb0ELb0ES3_N6thrust23THRUST_200600_302600_NS6detail15normal_iteratorINS9_10device_ptrIsEEEENS9_16discard_iteratorINS9_11use_defaultEEEs11max_functorIsEsEEDaPvRmT3_T4_T5_mT6_P12ihipStream_tbENKUlT_T0_E_clISt17integral_constantIbLb1EESX_EEDaSS_ST_EUlSS_E0_NS1_11comp_targetILNS1_3genE5ELNS1_11target_archE942ELNS1_3gpuE9ELNS1_3repE0EEENS1_30default_config_static_selectorELNS0_4arch9wavefront6targetE1EEEvT1_
    .private_segment_fixed_size: 0
    .sgpr_count:     4
    .sgpr_spill_count: 0
    .symbol:         _ZN7rocprim17ROCPRIM_400000_NS6detail17trampoline_kernelINS0_14default_configENS1_20scan_config_selectorIsEEZZNS1_9scan_implILNS1_25lookback_scan_determinismE0ELb0ELb0ES3_N6thrust23THRUST_200600_302600_NS6detail15normal_iteratorINS9_10device_ptrIsEEEENS9_16discard_iteratorINS9_11use_defaultEEEs11max_functorIsEsEEDaPvRmT3_T4_T5_mT6_P12ihipStream_tbENKUlT_T0_E_clISt17integral_constantIbLb1EESX_EEDaSS_ST_EUlSS_E0_NS1_11comp_targetILNS1_3genE5ELNS1_11target_archE942ELNS1_3gpuE9ELNS1_3repE0EEENS1_30default_config_static_selectorELNS0_4arch9wavefront6targetE1EEEvT1_.kd
    .uniform_work_group_size: 1
    .uses_dynamic_stack: false
    .vgpr_count:     0
    .vgpr_spill_count: 0
    .wavefront_size: 64
  - .agpr_count:     0
    .args:
      - .offset:         0
        .size:           40
        .value_kind:     by_value
    .group_segment_fixed_size: 3072
    .kernarg_segment_align: 8
    .kernarg_segment_size: 40
    .language:       OpenCL C
    .language_version:
      - 2
      - 0
    .max_flat_workgroup_size: 64
    .name:           _ZN7rocprim17ROCPRIM_400000_NS6detail17trampoline_kernelINS0_14default_configENS1_20scan_config_selectorIsEEZZNS1_9scan_implILNS1_25lookback_scan_determinismE0ELb0ELb0ES3_N6thrust23THRUST_200600_302600_NS6detail15normal_iteratorINS9_10device_ptrIsEEEENS9_16discard_iteratorINS9_11use_defaultEEEs11max_functorIsEsEEDaPvRmT3_T4_T5_mT6_P12ihipStream_tbENKUlT_T0_E_clISt17integral_constantIbLb1EESX_EEDaSS_ST_EUlSS_E0_NS1_11comp_targetILNS1_3genE4ELNS1_11target_archE910ELNS1_3gpuE8ELNS1_3repE0EEENS1_30default_config_static_selectorELNS0_4arch9wavefront6targetE1EEEvT1_
    .private_segment_fixed_size: 0
    .sgpr_count:     10
    .sgpr_spill_count: 0
    .symbol:         _ZN7rocprim17ROCPRIM_400000_NS6detail17trampoline_kernelINS0_14default_configENS1_20scan_config_selectorIsEEZZNS1_9scan_implILNS1_25lookback_scan_determinismE0ELb0ELb0ES3_N6thrust23THRUST_200600_302600_NS6detail15normal_iteratorINS9_10device_ptrIsEEEENS9_16discard_iteratorINS9_11use_defaultEEEs11max_functorIsEsEEDaPvRmT3_T4_T5_mT6_P12ihipStream_tbENKUlT_T0_E_clISt17integral_constantIbLb1EESX_EEDaSS_ST_EUlSS_E0_NS1_11comp_targetILNS1_3genE4ELNS1_11target_archE910ELNS1_3gpuE8ELNS1_3repE0EEENS1_30default_config_static_selectorELNS0_4arch9wavefront6targetE1EEEvT1_.kd
    .uniform_work_group_size: 1
    .uses_dynamic_stack: false
    .vgpr_count:     41
    .vgpr_spill_count: 0
    .wavefront_size: 64
  - .agpr_count:     0
    .args:
      - .offset:         0
        .size:           40
        .value_kind:     by_value
    .group_segment_fixed_size: 0
    .kernarg_segment_align: 8
    .kernarg_segment_size: 40
    .language:       OpenCL C
    .language_version:
      - 2
      - 0
    .max_flat_workgroup_size: 128
    .name:           _ZN7rocprim17ROCPRIM_400000_NS6detail17trampoline_kernelINS0_14default_configENS1_20scan_config_selectorIsEEZZNS1_9scan_implILNS1_25lookback_scan_determinismE0ELb0ELb0ES3_N6thrust23THRUST_200600_302600_NS6detail15normal_iteratorINS9_10device_ptrIsEEEENS9_16discard_iteratorINS9_11use_defaultEEEs11max_functorIsEsEEDaPvRmT3_T4_T5_mT6_P12ihipStream_tbENKUlT_T0_E_clISt17integral_constantIbLb1EESX_EEDaSS_ST_EUlSS_E0_NS1_11comp_targetILNS1_3genE3ELNS1_11target_archE908ELNS1_3gpuE7ELNS1_3repE0EEENS1_30default_config_static_selectorELNS0_4arch9wavefront6targetE1EEEvT1_
    .private_segment_fixed_size: 0
    .sgpr_count:     4
    .sgpr_spill_count: 0
    .symbol:         _ZN7rocprim17ROCPRIM_400000_NS6detail17trampoline_kernelINS0_14default_configENS1_20scan_config_selectorIsEEZZNS1_9scan_implILNS1_25lookback_scan_determinismE0ELb0ELb0ES3_N6thrust23THRUST_200600_302600_NS6detail15normal_iteratorINS9_10device_ptrIsEEEENS9_16discard_iteratorINS9_11use_defaultEEEs11max_functorIsEsEEDaPvRmT3_T4_T5_mT6_P12ihipStream_tbENKUlT_T0_E_clISt17integral_constantIbLb1EESX_EEDaSS_ST_EUlSS_E0_NS1_11comp_targetILNS1_3genE3ELNS1_11target_archE908ELNS1_3gpuE7ELNS1_3repE0EEENS1_30default_config_static_selectorELNS0_4arch9wavefront6targetE1EEEvT1_.kd
    .uniform_work_group_size: 1
    .uses_dynamic_stack: false
    .vgpr_count:     0
    .vgpr_spill_count: 0
    .wavefront_size: 64
  - .agpr_count:     0
    .args:
      - .offset:         0
        .size:           40
        .value_kind:     by_value
    .group_segment_fixed_size: 0
    .kernarg_segment_align: 8
    .kernarg_segment_size: 40
    .language:       OpenCL C
    .language_version:
      - 2
      - 0
    .max_flat_workgroup_size: 256
    .name:           _ZN7rocprim17ROCPRIM_400000_NS6detail17trampoline_kernelINS0_14default_configENS1_20scan_config_selectorIsEEZZNS1_9scan_implILNS1_25lookback_scan_determinismE0ELb0ELb0ES3_N6thrust23THRUST_200600_302600_NS6detail15normal_iteratorINS9_10device_ptrIsEEEENS9_16discard_iteratorINS9_11use_defaultEEEs11max_functorIsEsEEDaPvRmT3_T4_T5_mT6_P12ihipStream_tbENKUlT_T0_E_clISt17integral_constantIbLb1EESX_EEDaSS_ST_EUlSS_E0_NS1_11comp_targetILNS1_3genE2ELNS1_11target_archE906ELNS1_3gpuE6ELNS1_3repE0EEENS1_30default_config_static_selectorELNS0_4arch9wavefront6targetE1EEEvT1_
    .private_segment_fixed_size: 0
    .sgpr_count:     4
    .sgpr_spill_count: 0
    .symbol:         _ZN7rocprim17ROCPRIM_400000_NS6detail17trampoline_kernelINS0_14default_configENS1_20scan_config_selectorIsEEZZNS1_9scan_implILNS1_25lookback_scan_determinismE0ELb0ELb0ES3_N6thrust23THRUST_200600_302600_NS6detail15normal_iteratorINS9_10device_ptrIsEEEENS9_16discard_iteratorINS9_11use_defaultEEEs11max_functorIsEsEEDaPvRmT3_T4_T5_mT6_P12ihipStream_tbENKUlT_T0_E_clISt17integral_constantIbLb1EESX_EEDaSS_ST_EUlSS_E0_NS1_11comp_targetILNS1_3genE2ELNS1_11target_archE906ELNS1_3gpuE6ELNS1_3repE0EEENS1_30default_config_static_selectorELNS0_4arch9wavefront6targetE1EEEvT1_.kd
    .uniform_work_group_size: 1
    .uses_dynamic_stack: false
    .vgpr_count:     0
    .vgpr_spill_count: 0
    .wavefront_size: 64
  - .agpr_count:     0
    .args:
      - .offset:         0
        .size:           40
        .value_kind:     by_value
    .group_segment_fixed_size: 0
    .kernarg_segment_align: 8
    .kernarg_segment_size: 40
    .language:       OpenCL C
    .language_version:
      - 2
      - 0
    .max_flat_workgroup_size: 256
    .name:           _ZN7rocprim17ROCPRIM_400000_NS6detail17trampoline_kernelINS0_14default_configENS1_20scan_config_selectorIsEEZZNS1_9scan_implILNS1_25lookback_scan_determinismE0ELb0ELb0ES3_N6thrust23THRUST_200600_302600_NS6detail15normal_iteratorINS9_10device_ptrIsEEEENS9_16discard_iteratorINS9_11use_defaultEEEs11max_functorIsEsEEDaPvRmT3_T4_T5_mT6_P12ihipStream_tbENKUlT_T0_E_clISt17integral_constantIbLb1EESX_EEDaSS_ST_EUlSS_E0_NS1_11comp_targetILNS1_3genE10ELNS1_11target_archE1201ELNS1_3gpuE5ELNS1_3repE0EEENS1_30default_config_static_selectorELNS0_4arch9wavefront6targetE1EEEvT1_
    .private_segment_fixed_size: 0
    .sgpr_count:     4
    .sgpr_spill_count: 0
    .symbol:         _ZN7rocprim17ROCPRIM_400000_NS6detail17trampoline_kernelINS0_14default_configENS1_20scan_config_selectorIsEEZZNS1_9scan_implILNS1_25lookback_scan_determinismE0ELb0ELb0ES3_N6thrust23THRUST_200600_302600_NS6detail15normal_iteratorINS9_10device_ptrIsEEEENS9_16discard_iteratorINS9_11use_defaultEEEs11max_functorIsEsEEDaPvRmT3_T4_T5_mT6_P12ihipStream_tbENKUlT_T0_E_clISt17integral_constantIbLb1EESX_EEDaSS_ST_EUlSS_E0_NS1_11comp_targetILNS1_3genE10ELNS1_11target_archE1201ELNS1_3gpuE5ELNS1_3repE0EEENS1_30default_config_static_selectorELNS0_4arch9wavefront6targetE1EEEvT1_.kd
    .uniform_work_group_size: 1
    .uses_dynamic_stack: false
    .vgpr_count:     0
    .vgpr_spill_count: 0
    .wavefront_size: 64
  - .agpr_count:     0
    .args:
      - .offset:         0
        .size:           40
        .value_kind:     by_value
    .group_segment_fixed_size: 0
    .kernarg_segment_align: 8
    .kernarg_segment_size: 40
    .language:       OpenCL C
    .language_version:
      - 2
      - 0
    .max_flat_workgroup_size: 256
    .name:           _ZN7rocprim17ROCPRIM_400000_NS6detail17trampoline_kernelINS0_14default_configENS1_20scan_config_selectorIsEEZZNS1_9scan_implILNS1_25lookback_scan_determinismE0ELb0ELb0ES3_N6thrust23THRUST_200600_302600_NS6detail15normal_iteratorINS9_10device_ptrIsEEEENS9_16discard_iteratorINS9_11use_defaultEEEs11max_functorIsEsEEDaPvRmT3_T4_T5_mT6_P12ihipStream_tbENKUlT_T0_E_clISt17integral_constantIbLb1EESX_EEDaSS_ST_EUlSS_E0_NS1_11comp_targetILNS1_3genE10ELNS1_11target_archE1200ELNS1_3gpuE4ELNS1_3repE0EEENS1_30default_config_static_selectorELNS0_4arch9wavefront6targetE1EEEvT1_
    .private_segment_fixed_size: 0
    .sgpr_count:     4
    .sgpr_spill_count: 0
    .symbol:         _ZN7rocprim17ROCPRIM_400000_NS6detail17trampoline_kernelINS0_14default_configENS1_20scan_config_selectorIsEEZZNS1_9scan_implILNS1_25lookback_scan_determinismE0ELb0ELb0ES3_N6thrust23THRUST_200600_302600_NS6detail15normal_iteratorINS9_10device_ptrIsEEEENS9_16discard_iteratorINS9_11use_defaultEEEs11max_functorIsEsEEDaPvRmT3_T4_T5_mT6_P12ihipStream_tbENKUlT_T0_E_clISt17integral_constantIbLb1EESX_EEDaSS_ST_EUlSS_E0_NS1_11comp_targetILNS1_3genE10ELNS1_11target_archE1200ELNS1_3gpuE4ELNS1_3repE0EEENS1_30default_config_static_selectorELNS0_4arch9wavefront6targetE1EEEvT1_.kd
    .uniform_work_group_size: 1
    .uses_dynamic_stack: false
    .vgpr_count:     0
    .vgpr_spill_count: 0
    .wavefront_size: 64
  - .agpr_count:     0
    .args:
      - .offset:         0
        .size:           40
        .value_kind:     by_value
    .group_segment_fixed_size: 0
    .kernarg_segment_align: 8
    .kernarg_segment_size: 40
    .language:       OpenCL C
    .language_version:
      - 2
      - 0
    .max_flat_workgroup_size: 64
    .name:           _ZN7rocprim17ROCPRIM_400000_NS6detail17trampoline_kernelINS0_14default_configENS1_20scan_config_selectorIsEEZZNS1_9scan_implILNS1_25lookback_scan_determinismE0ELb0ELb0ES3_N6thrust23THRUST_200600_302600_NS6detail15normal_iteratorINS9_10device_ptrIsEEEENS9_16discard_iteratorINS9_11use_defaultEEEs11max_functorIsEsEEDaPvRmT3_T4_T5_mT6_P12ihipStream_tbENKUlT_T0_E_clISt17integral_constantIbLb1EESX_EEDaSS_ST_EUlSS_E0_NS1_11comp_targetILNS1_3genE9ELNS1_11target_archE1100ELNS1_3gpuE3ELNS1_3repE0EEENS1_30default_config_static_selectorELNS0_4arch9wavefront6targetE1EEEvT1_
    .private_segment_fixed_size: 0
    .sgpr_count:     4
    .sgpr_spill_count: 0
    .symbol:         _ZN7rocprim17ROCPRIM_400000_NS6detail17trampoline_kernelINS0_14default_configENS1_20scan_config_selectorIsEEZZNS1_9scan_implILNS1_25lookback_scan_determinismE0ELb0ELb0ES3_N6thrust23THRUST_200600_302600_NS6detail15normal_iteratorINS9_10device_ptrIsEEEENS9_16discard_iteratorINS9_11use_defaultEEEs11max_functorIsEsEEDaPvRmT3_T4_T5_mT6_P12ihipStream_tbENKUlT_T0_E_clISt17integral_constantIbLb1EESX_EEDaSS_ST_EUlSS_E0_NS1_11comp_targetILNS1_3genE9ELNS1_11target_archE1100ELNS1_3gpuE3ELNS1_3repE0EEENS1_30default_config_static_selectorELNS0_4arch9wavefront6targetE1EEEvT1_.kd
    .uniform_work_group_size: 1
    .uses_dynamic_stack: false
    .vgpr_count:     0
    .vgpr_spill_count: 0
    .wavefront_size: 64
  - .agpr_count:     0
    .args:
      - .offset:         0
        .size:           40
        .value_kind:     by_value
    .group_segment_fixed_size: 0
    .kernarg_segment_align: 8
    .kernarg_segment_size: 40
    .language:       OpenCL C
    .language_version:
      - 2
      - 0
    .max_flat_workgroup_size: 64
    .name:           _ZN7rocprim17ROCPRIM_400000_NS6detail17trampoline_kernelINS0_14default_configENS1_20scan_config_selectorIsEEZZNS1_9scan_implILNS1_25lookback_scan_determinismE0ELb0ELb0ES3_N6thrust23THRUST_200600_302600_NS6detail15normal_iteratorINS9_10device_ptrIsEEEENS9_16discard_iteratorINS9_11use_defaultEEEs11max_functorIsEsEEDaPvRmT3_T4_T5_mT6_P12ihipStream_tbENKUlT_T0_E_clISt17integral_constantIbLb1EESX_EEDaSS_ST_EUlSS_E0_NS1_11comp_targetILNS1_3genE8ELNS1_11target_archE1030ELNS1_3gpuE2ELNS1_3repE0EEENS1_30default_config_static_selectorELNS0_4arch9wavefront6targetE1EEEvT1_
    .private_segment_fixed_size: 0
    .sgpr_count:     4
    .sgpr_spill_count: 0
    .symbol:         _ZN7rocprim17ROCPRIM_400000_NS6detail17trampoline_kernelINS0_14default_configENS1_20scan_config_selectorIsEEZZNS1_9scan_implILNS1_25lookback_scan_determinismE0ELb0ELb0ES3_N6thrust23THRUST_200600_302600_NS6detail15normal_iteratorINS9_10device_ptrIsEEEENS9_16discard_iteratorINS9_11use_defaultEEEs11max_functorIsEsEEDaPvRmT3_T4_T5_mT6_P12ihipStream_tbENKUlT_T0_E_clISt17integral_constantIbLb1EESX_EEDaSS_ST_EUlSS_E0_NS1_11comp_targetILNS1_3genE8ELNS1_11target_archE1030ELNS1_3gpuE2ELNS1_3repE0EEENS1_30default_config_static_selectorELNS0_4arch9wavefront6targetE1EEEvT1_.kd
    .uniform_work_group_size: 1
    .uses_dynamic_stack: false
    .vgpr_count:     0
    .vgpr_spill_count: 0
    .wavefront_size: 64
  - .agpr_count:     0
    .args:
      - .offset:         0
        .size:           104
        .value_kind:     by_value
    .group_segment_fixed_size: 0
    .kernarg_segment_align: 8
    .kernarg_segment_size: 104
    .language:       OpenCL C
    .language_version:
      - 2
      - 0
    .max_flat_workgroup_size: 128
    .name:           _ZN7rocprim17ROCPRIM_400000_NS6detail17trampoline_kernelINS0_14default_configENS1_20scan_config_selectorIsEEZZNS1_9scan_implILNS1_25lookback_scan_determinismE0ELb0ELb0ES3_N6thrust23THRUST_200600_302600_NS6detail15normal_iteratorINS9_10device_ptrIsEEEENS9_16discard_iteratorINS9_11use_defaultEEEs11max_functorIsEsEEDaPvRmT3_T4_T5_mT6_P12ihipStream_tbENKUlT_T0_E_clISt17integral_constantIbLb1EESW_IbLb0EEEEDaSS_ST_EUlSS_E_NS1_11comp_targetILNS1_3genE0ELNS1_11target_archE4294967295ELNS1_3gpuE0ELNS1_3repE0EEENS1_30default_config_static_selectorELNS0_4arch9wavefront6targetE1EEEvT1_
    .private_segment_fixed_size: 0
    .sgpr_count:     4
    .sgpr_spill_count: 0
    .symbol:         _ZN7rocprim17ROCPRIM_400000_NS6detail17trampoline_kernelINS0_14default_configENS1_20scan_config_selectorIsEEZZNS1_9scan_implILNS1_25lookback_scan_determinismE0ELb0ELb0ES3_N6thrust23THRUST_200600_302600_NS6detail15normal_iteratorINS9_10device_ptrIsEEEENS9_16discard_iteratorINS9_11use_defaultEEEs11max_functorIsEsEEDaPvRmT3_T4_T5_mT6_P12ihipStream_tbENKUlT_T0_E_clISt17integral_constantIbLb1EESW_IbLb0EEEEDaSS_ST_EUlSS_E_NS1_11comp_targetILNS1_3genE0ELNS1_11target_archE4294967295ELNS1_3gpuE0ELNS1_3repE0EEENS1_30default_config_static_selectorELNS0_4arch9wavefront6targetE1EEEvT1_.kd
    .uniform_work_group_size: 1
    .uses_dynamic_stack: false
    .vgpr_count:     0
    .vgpr_spill_count: 0
    .wavefront_size: 64
  - .agpr_count:     0
    .args:
      - .offset:         0
        .size:           104
        .value_kind:     by_value
    .group_segment_fixed_size: 0
    .kernarg_segment_align: 8
    .kernarg_segment_size: 104
    .language:       OpenCL C
    .language_version:
      - 2
      - 0
    .max_flat_workgroup_size: 256
    .name:           _ZN7rocprim17ROCPRIM_400000_NS6detail17trampoline_kernelINS0_14default_configENS1_20scan_config_selectorIsEEZZNS1_9scan_implILNS1_25lookback_scan_determinismE0ELb0ELb0ES3_N6thrust23THRUST_200600_302600_NS6detail15normal_iteratorINS9_10device_ptrIsEEEENS9_16discard_iteratorINS9_11use_defaultEEEs11max_functorIsEsEEDaPvRmT3_T4_T5_mT6_P12ihipStream_tbENKUlT_T0_E_clISt17integral_constantIbLb1EESW_IbLb0EEEEDaSS_ST_EUlSS_E_NS1_11comp_targetILNS1_3genE5ELNS1_11target_archE942ELNS1_3gpuE9ELNS1_3repE0EEENS1_30default_config_static_selectorELNS0_4arch9wavefront6targetE1EEEvT1_
    .private_segment_fixed_size: 0
    .sgpr_count:     4
    .sgpr_spill_count: 0
    .symbol:         _ZN7rocprim17ROCPRIM_400000_NS6detail17trampoline_kernelINS0_14default_configENS1_20scan_config_selectorIsEEZZNS1_9scan_implILNS1_25lookback_scan_determinismE0ELb0ELb0ES3_N6thrust23THRUST_200600_302600_NS6detail15normal_iteratorINS9_10device_ptrIsEEEENS9_16discard_iteratorINS9_11use_defaultEEEs11max_functorIsEsEEDaPvRmT3_T4_T5_mT6_P12ihipStream_tbENKUlT_T0_E_clISt17integral_constantIbLb1EESW_IbLb0EEEEDaSS_ST_EUlSS_E_NS1_11comp_targetILNS1_3genE5ELNS1_11target_archE942ELNS1_3gpuE9ELNS1_3repE0EEENS1_30default_config_static_selectorELNS0_4arch9wavefront6targetE1EEEvT1_.kd
    .uniform_work_group_size: 1
    .uses_dynamic_stack: false
    .vgpr_count:     0
    .vgpr_spill_count: 0
    .wavefront_size: 64
  - .agpr_count:     0
    .args:
      - .offset:         0
        .size:           104
        .value_kind:     by_value
    .group_segment_fixed_size: 3072
    .kernarg_segment_align: 8
    .kernarg_segment_size: 104
    .language:       OpenCL C
    .language_version:
      - 2
      - 0
    .max_flat_workgroup_size: 64
    .name:           _ZN7rocprim17ROCPRIM_400000_NS6detail17trampoline_kernelINS0_14default_configENS1_20scan_config_selectorIsEEZZNS1_9scan_implILNS1_25lookback_scan_determinismE0ELb0ELb0ES3_N6thrust23THRUST_200600_302600_NS6detail15normal_iteratorINS9_10device_ptrIsEEEENS9_16discard_iteratorINS9_11use_defaultEEEs11max_functorIsEsEEDaPvRmT3_T4_T5_mT6_P12ihipStream_tbENKUlT_T0_E_clISt17integral_constantIbLb1EESW_IbLb0EEEEDaSS_ST_EUlSS_E_NS1_11comp_targetILNS1_3genE4ELNS1_11target_archE910ELNS1_3gpuE8ELNS1_3repE0EEENS1_30default_config_static_selectorELNS0_4arch9wavefront6targetE1EEEvT1_
    .private_segment_fixed_size: 0
    .sgpr_count:     30
    .sgpr_spill_count: 0
    .symbol:         _ZN7rocprim17ROCPRIM_400000_NS6detail17trampoline_kernelINS0_14default_configENS1_20scan_config_selectorIsEEZZNS1_9scan_implILNS1_25lookback_scan_determinismE0ELb0ELb0ES3_N6thrust23THRUST_200600_302600_NS6detail15normal_iteratorINS9_10device_ptrIsEEEENS9_16discard_iteratorINS9_11use_defaultEEEs11max_functorIsEsEEDaPvRmT3_T4_T5_mT6_P12ihipStream_tbENKUlT_T0_E_clISt17integral_constantIbLb1EESW_IbLb0EEEEDaSS_ST_EUlSS_E_NS1_11comp_targetILNS1_3genE4ELNS1_11target_archE910ELNS1_3gpuE8ELNS1_3repE0EEENS1_30default_config_static_selectorELNS0_4arch9wavefront6targetE1EEEvT1_.kd
    .uniform_work_group_size: 1
    .uses_dynamic_stack: false
    .vgpr_count:     56
    .vgpr_spill_count: 0
    .wavefront_size: 64
  - .agpr_count:     0
    .args:
      - .offset:         0
        .size:           104
        .value_kind:     by_value
    .group_segment_fixed_size: 0
    .kernarg_segment_align: 8
    .kernarg_segment_size: 104
    .language:       OpenCL C
    .language_version:
      - 2
      - 0
    .max_flat_workgroup_size: 128
    .name:           _ZN7rocprim17ROCPRIM_400000_NS6detail17trampoline_kernelINS0_14default_configENS1_20scan_config_selectorIsEEZZNS1_9scan_implILNS1_25lookback_scan_determinismE0ELb0ELb0ES3_N6thrust23THRUST_200600_302600_NS6detail15normal_iteratorINS9_10device_ptrIsEEEENS9_16discard_iteratorINS9_11use_defaultEEEs11max_functorIsEsEEDaPvRmT3_T4_T5_mT6_P12ihipStream_tbENKUlT_T0_E_clISt17integral_constantIbLb1EESW_IbLb0EEEEDaSS_ST_EUlSS_E_NS1_11comp_targetILNS1_3genE3ELNS1_11target_archE908ELNS1_3gpuE7ELNS1_3repE0EEENS1_30default_config_static_selectorELNS0_4arch9wavefront6targetE1EEEvT1_
    .private_segment_fixed_size: 0
    .sgpr_count:     4
    .sgpr_spill_count: 0
    .symbol:         _ZN7rocprim17ROCPRIM_400000_NS6detail17trampoline_kernelINS0_14default_configENS1_20scan_config_selectorIsEEZZNS1_9scan_implILNS1_25lookback_scan_determinismE0ELb0ELb0ES3_N6thrust23THRUST_200600_302600_NS6detail15normal_iteratorINS9_10device_ptrIsEEEENS9_16discard_iteratorINS9_11use_defaultEEEs11max_functorIsEsEEDaPvRmT3_T4_T5_mT6_P12ihipStream_tbENKUlT_T0_E_clISt17integral_constantIbLb1EESW_IbLb0EEEEDaSS_ST_EUlSS_E_NS1_11comp_targetILNS1_3genE3ELNS1_11target_archE908ELNS1_3gpuE7ELNS1_3repE0EEENS1_30default_config_static_selectorELNS0_4arch9wavefront6targetE1EEEvT1_.kd
    .uniform_work_group_size: 1
    .uses_dynamic_stack: false
    .vgpr_count:     0
    .vgpr_spill_count: 0
    .wavefront_size: 64
  - .agpr_count:     0
    .args:
      - .offset:         0
        .size:           104
        .value_kind:     by_value
    .group_segment_fixed_size: 0
    .kernarg_segment_align: 8
    .kernarg_segment_size: 104
    .language:       OpenCL C
    .language_version:
      - 2
      - 0
    .max_flat_workgroup_size: 256
    .name:           _ZN7rocprim17ROCPRIM_400000_NS6detail17trampoline_kernelINS0_14default_configENS1_20scan_config_selectorIsEEZZNS1_9scan_implILNS1_25lookback_scan_determinismE0ELb0ELb0ES3_N6thrust23THRUST_200600_302600_NS6detail15normal_iteratorINS9_10device_ptrIsEEEENS9_16discard_iteratorINS9_11use_defaultEEEs11max_functorIsEsEEDaPvRmT3_T4_T5_mT6_P12ihipStream_tbENKUlT_T0_E_clISt17integral_constantIbLb1EESW_IbLb0EEEEDaSS_ST_EUlSS_E_NS1_11comp_targetILNS1_3genE2ELNS1_11target_archE906ELNS1_3gpuE6ELNS1_3repE0EEENS1_30default_config_static_selectorELNS0_4arch9wavefront6targetE1EEEvT1_
    .private_segment_fixed_size: 0
    .sgpr_count:     4
    .sgpr_spill_count: 0
    .symbol:         _ZN7rocprim17ROCPRIM_400000_NS6detail17trampoline_kernelINS0_14default_configENS1_20scan_config_selectorIsEEZZNS1_9scan_implILNS1_25lookback_scan_determinismE0ELb0ELb0ES3_N6thrust23THRUST_200600_302600_NS6detail15normal_iteratorINS9_10device_ptrIsEEEENS9_16discard_iteratorINS9_11use_defaultEEEs11max_functorIsEsEEDaPvRmT3_T4_T5_mT6_P12ihipStream_tbENKUlT_T0_E_clISt17integral_constantIbLb1EESW_IbLb0EEEEDaSS_ST_EUlSS_E_NS1_11comp_targetILNS1_3genE2ELNS1_11target_archE906ELNS1_3gpuE6ELNS1_3repE0EEENS1_30default_config_static_selectorELNS0_4arch9wavefront6targetE1EEEvT1_.kd
    .uniform_work_group_size: 1
    .uses_dynamic_stack: false
    .vgpr_count:     0
    .vgpr_spill_count: 0
    .wavefront_size: 64
  - .agpr_count:     0
    .args:
      - .offset:         0
        .size:           104
        .value_kind:     by_value
    .group_segment_fixed_size: 0
    .kernarg_segment_align: 8
    .kernarg_segment_size: 104
    .language:       OpenCL C
    .language_version:
      - 2
      - 0
    .max_flat_workgroup_size: 256
    .name:           _ZN7rocprim17ROCPRIM_400000_NS6detail17trampoline_kernelINS0_14default_configENS1_20scan_config_selectorIsEEZZNS1_9scan_implILNS1_25lookback_scan_determinismE0ELb0ELb0ES3_N6thrust23THRUST_200600_302600_NS6detail15normal_iteratorINS9_10device_ptrIsEEEENS9_16discard_iteratorINS9_11use_defaultEEEs11max_functorIsEsEEDaPvRmT3_T4_T5_mT6_P12ihipStream_tbENKUlT_T0_E_clISt17integral_constantIbLb1EESW_IbLb0EEEEDaSS_ST_EUlSS_E_NS1_11comp_targetILNS1_3genE10ELNS1_11target_archE1201ELNS1_3gpuE5ELNS1_3repE0EEENS1_30default_config_static_selectorELNS0_4arch9wavefront6targetE1EEEvT1_
    .private_segment_fixed_size: 0
    .sgpr_count:     4
    .sgpr_spill_count: 0
    .symbol:         _ZN7rocprim17ROCPRIM_400000_NS6detail17trampoline_kernelINS0_14default_configENS1_20scan_config_selectorIsEEZZNS1_9scan_implILNS1_25lookback_scan_determinismE0ELb0ELb0ES3_N6thrust23THRUST_200600_302600_NS6detail15normal_iteratorINS9_10device_ptrIsEEEENS9_16discard_iteratorINS9_11use_defaultEEEs11max_functorIsEsEEDaPvRmT3_T4_T5_mT6_P12ihipStream_tbENKUlT_T0_E_clISt17integral_constantIbLb1EESW_IbLb0EEEEDaSS_ST_EUlSS_E_NS1_11comp_targetILNS1_3genE10ELNS1_11target_archE1201ELNS1_3gpuE5ELNS1_3repE0EEENS1_30default_config_static_selectorELNS0_4arch9wavefront6targetE1EEEvT1_.kd
    .uniform_work_group_size: 1
    .uses_dynamic_stack: false
    .vgpr_count:     0
    .vgpr_spill_count: 0
    .wavefront_size: 64
  - .agpr_count:     0
    .args:
      - .offset:         0
        .size:           104
        .value_kind:     by_value
    .group_segment_fixed_size: 0
    .kernarg_segment_align: 8
    .kernarg_segment_size: 104
    .language:       OpenCL C
    .language_version:
      - 2
      - 0
    .max_flat_workgroup_size: 256
    .name:           _ZN7rocprim17ROCPRIM_400000_NS6detail17trampoline_kernelINS0_14default_configENS1_20scan_config_selectorIsEEZZNS1_9scan_implILNS1_25lookback_scan_determinismE0ELb0ELb0ES3_N6thrust23THRUST_200600_302600_NS6detail15normal_iteratorINS9_10device_ptrIsEEEENS9_16discard_iteratorINS9_11use_defaultEEEs11max_functorIsEsEEDaPvRmT3_T4_T5_mT6_P12ihipStream_tbENKUlT_T0_E_clISt17integral_constantIbLb1EESW_IbLb0EEEEDaSS_ST_EUlSS_E_NS1_11comp_targetILNS1_3genE10ELNS1_11target_archE1200ELNS1_3gpuE4ELNS1_3repE0EEENS1_30default_config_static_selectorELNS0_4arch9wavefront6targetE1EEEvT1_
    .private_segment_fixed_size: 0
    .sgpr_count:     4
    .sgpr_spill_count: 0
    .symbol:         _ZN7rocprim17ROCPRIM_400000_NS6detail17trampoline_kernelINS0_14default_configENS1_20scan_config_selectorIsEEZZNS1_9scan_implILNS1_25lookback_scan_determinismE0ELb0ELb0ES3_N6thrust23THRUST_200600_302600_NS6detail15normal_iteratorINS9_10device_ptrIsEEEENS9_16discard_iteratorINS9_11use_defaultEEEs11max_functorIsEsEEDaPvRmT3_T4_T5_mT6_P12ihipStream_tbENKUlT_T0_E_clISt17integral_constantIbLb1EESW_IbLb0EEEEDaSS_ST_EUlSS_E_NS1_11comp_targetILNS1_3genE10ELNS1_11target_archE1200ELNS1_3gpuE4ELNS1_3repE0EEENS1_30default_config_static_selectorELNS0_4arch9wavefront6targetE1EEEvT1_.kd
    .uniform_work_group_size: 1
    .uses_dynamic_stack: false
    .vgpr_count:     0
    .vgpr_spill_count: 0
    .wavefront_size: 64
  - .agpr_count:     0
    .args:
      - .offset:         0
        .size:           104
        .value_kind:     by_value
    .group_segment_fixed_size: 0
    .kernarg_segment_align: 8
    .kernarg_segment_size: 104
    .language:       OpenCL C
    .language_version:
      - 2
      - 0
    .max_flat_workgroup_size: 64
    .name:           _ZN7rocprim17ROCPRIM_400000_NS6detail17trampoline_kernelINS0_14default_configENS1_20scan_config_selectorIsEEZZNS1_9scan_implILNS1_25lookback_scan_determinismE0ELb0ELb0ES3_N6thrust23THRUST_200600_302600_NS6detail15normal_iteratorINS9_10device_ptrIsEEEENS9_16discard_iteratorINS9_11use_defaultEEEs11max_functorIsEsEEDaPvRmT3_T4_T5_mT6_P12ihipStream_tbENKUlT_T0_E_clISt17integral_constantIbLb1EESW_IbLb0EEEEDaSS_ST_EUlSS_E_NS1_11comp_targetILNS1_3genE9ELNS1_11target_archE1100ELNS1_3gpuE3ELNS1_3repE0EEENS1_30default_config_static_selectorELNS0_4arch9wavefront6targetE1EEEvT1_
    .private_segment_fixed_size: 0
    .sgpr_count:     4
    .sgpr_spill_count: 0
    .symbol:         _ZN7rocprim17ROCPRIM_400000_NS6detail17trampoline_kernelINS0_14default_configENS1_20scan_config_selectorIsEEZZNS1_9scan_implILNS1_25lookback_scan_determinismE0ELb0ELb0ES3_N6thrust23THRUST_200600_302600_NS6detail15normal_iteratorINS9_10device_ptrIsEEEENS9_16discard_iteratorINS9_11use_defaultEEEs11max_functorIsEsEEDaPvRmT3_T4_T5_mT6_P12ihipStream_tbENKUlT_T0_E_clISt17integral_constantIbLb1EESW_IbLb0EEEEDaSS_ST_EUlSS_E_NS1_11comp_targetILNS1_3genE9ELNS1_11target_archE1100ELNS1_3gpuE3ELNS1_3repE0EEENS1_30default_config_static_selectorELNS0_4arch9wavefront6targetE1EEEvT1_.kd
    .uniform_work_group_size: 1
    .uses_dynamic_stack: false
    .vgpr_count:     0
    .vgpr_spill_count: 0
    .wavefront_size: 64
  - .agpr_count:     0
    .args:
      - .offset:         0
        .size:           104
        .value_kind:     by_value
    .group_segment_fixed_size: 0
    .kernarg_segment_align: 8
    .kernarg_segment_size: 104
    .language:       OpenCL C
    .language_version:
      - 2
      - 0
    .max_flat_workgroup_size: 64
    .name:           _ZN7rocprim17ROCPRIM_400000_NS6detail17trampoline_kernelINS0_14default_configENS1_20scan_config_selectorIsEEZZNS1_9scan_implILNS1_25lookback_scan_determinismE0ELb0ELb0ES3_N6thrust23THRUST_200600_302600_NS6detail15normal_iteratorINS9_10device_ptrIsEEEENS9_16discard_iteratorINS9_11use_defaultEEEs11max_functorIsEsEEDaPvRmT3_T4_T5_mT6_P12ihipStream_tbENKUlT_T0_E_clISt17integral_constantIbLb1EESW_IbLb0EEEEDaSS_ST_EUlSS_E_NS1_11comp_targetILNS1_3genE8ELNS1_11target_archE1030ELNS1_3gpuE2ELNS1_3repE0EEENS1_30default_config_static_selectorELNS0_4arch9wavefront6targetE1EEEvT1_
    .private_segment_fixed_size: 0
    .sgpr_count:     4
    .sgpr_spill_count: 0
    .symbol:         _ZN7rocprim17ROCPRIM_400000_NS6detail17trampoline_kernelINS0_14default_configENS1_20scan_config_selectorIsEEZZNS1_9scan_implILNS1_25lookback_scan_determinismE0ELb0ELb0ES3_N6thrust23THRUST_200600_302600_NS6detail15normal_iteratorINS9_10device_ptrIsEEEENS9_16discard_iteratorINS9_11use_defaultEEEs11max_functorIsEsEEDaPvRmT3_T4_T5_mT6_P12ihipStream_tbENKUlT_T0_E_clISt17integral_constantIbLb1EESW_IbLb0EEEEDaSS_ST_EUlSS_E_NS1_11comp_targetILNS1_3genE8ELNS1_11target_archE1030ELNS1_3gpuE2ELNS1_3repE0EEENS1_30default_config_static_selectorELNS0_4arch9wavefront6targetE1EEEvT1_.kd
    .uniform_work_group_size: 1
    .uses_dynamic_stack: false
    .vgpr_count:     0
    .vgpr_spill_count: 0
    .wavefront_size: 64
  - .agpr_count:     0
    .args:
      - .offset:         0
        .size:           40
        .value_kind:     by_value
    .group_segment_fixed_size: 0
    .kernarg_segment_align: 8
    .kernarg_segment_size: 40
    .language:       OpenCL C
    .language_version:
      - 2
      - 0
    .max_flat_workgroup_size: 128
    .name:           _ZN7rocprim17ROCPRIM_400000_NS6detail17trampoline_kernelINS0_14default_configENS1_20scan_config_selectorIsEEZZNS1_9scan_implILNS1_25lookback_scan_determinismE0ELb0ELb0ES3_N6thrust23THRUST_200600_302600_NS6detail15normal_iteratorINS9_10device_ptrIsEEEENS9_16discard_iteratorINS9_11use_defaultEEEs11max_functorIsEsEEDaPvRmT3_T4_T5_mT6_P12ihipStream_tbENKUlT_T0_E_clISt17integral_constantIbLb1EESW_IbLb0EEEEDaSS_ST_EUlSS_E0_NS1_11comp_targetILNS1_3genE0ELNS1_11target_archE4294967295ELNS1_3gpuE0ELNS1_3repE0EEENS1_30default_config_static_selectorELNS0_4arch9wavefront6targetE1EEEvT1_
    .private_segment_fixed_size: 0
    .sgpr_count:     4
    .sgpr_spill_count: 0
    .symbol:         _ZN7rocprim17ROCPRIM_400000_NS6detail17trampoline_kernelINS0_14default_configENS1_20scan_config_selectorIsEEZZNS1_9scan_implILNS1_25lookback_scan_determinismE0ELb0ELb0ES3_N6thrust23THRUST_200600_302600_NS6detail15normal_iteratorINS9_10device_ptrIsEEEENS9_16discard_iteratorINS9_11use_defaultEEEs11max_functorIsEsEEDaPvRmT3_T4_T5_mT6_P12ihipStream_tbENKUlT_T0_E_clISt17integral_constantIbLb1EESW_IbLb0EEEEDaSS_ST_EUlSS_E0_NS1_11comp_targetILNS1_3genE0ELNS1_11target_archE4294967295ELNS1_3gpuE0ELNS1_3repE0EEENS1_30default_config_static_selectorELNS0_4arch9wavefront6targetE1EEEvT1_.kd
    .uniform_work_group_size: 1
    .uses_dynamic_stack: false
    .vgpr_count:     0
    .vgpr_spill_count: 0
    .wavefront_size: 64
  - .agpr_count:     0
    .args:
      - .offset:         0
        .size:           40
        .value_kind:     by_value
    .group_segment_fixed_size: 0
    .kernarg_segment_align: 8
    .kernarg_segment_size: 40
    .language:       OpenCL C
    .language_version:
      - 2
      - 0
    .max_flat_workgroup_size: 256
    .name:           _ZN7rocprim17ROCPRIM_400000_NS6detail17trampoline_kernelINS0_14default_configENS1_20scan_config_selectorIsEEZZNS1_9scan_implILNS1_25lookback_scan_determinismE0ELb0ELb0ES3_N6thrust23THRUST_200600_302600_NS6detail15normal_iteratorINS9_10device_ptrIsEEEENS9_16discard_iteratorINS9_11use_defaultEEEs11max_functorIsEsEEDaPvRmT3_T4_T5_mT6_P12ihipStream_tbENKUlT_T0_E_clISt17integral_constantIbLb1EESW_IbLb0EEEEDaSS_ST_EUlSS_E0_NS1_11comp_targetILNS1_3genE5ELNS1_11target_archE942ELNS1_3gpuE9ELNS1_3repE0EEENS1_30default_config_static_selectorELNS0_4arch9wavefront6targetE1EEEvT1_
    .private_segment_fixed_size: 0
    .sgpr_count:     4
    .sgpr_spill_count: 0
    .symbol:         _ZN7rocprim17ROCPRIM_400000_NS6detail17trampoline_kernelINS0_14default_configENS1_20scan_config_selectorIsEEZZNS1_9scan_implILNS1_25lookback_scan_determinismE0ELb0ELb0ES3_N6thrust23THRUST_200600_302600_NS6detail15normal_iteratorINS9_10device_ptrIsEEEENS9_16discard_iteratorINS9_11use_defaultEEEs11max_functorIsEsEEDaPvRmT3_T4_T5_mT6_P12ihipStream_tbENKUlT_T0_E_clISt17integral_constantIbLb1EESW_IbLb0EEEEDaSS_ST_EUlSS_E0_NS1_11comp_targetILNS1_3genE5ELNS1_11target_archE942ELNS1_3gpuE9ELNS1_3repE0EEENS1_30default_config_static_selectorELNS0_4arch9wavefront6targetE1EEEvT1_.kd
    .uniform_work_group_size: 1
    .uses_dynamic_stack: false
    .vgpr_count:     0
    .vgpr_spill_count: 0
    .wavefront_size: 64
  - .agpr_count:     0
    .args:
      - .offset:         0
        .size:           40
        .value_kind:     by_value
    .group_segment_fixed_size: 3072
    .kernarg_segment_align: 8
    .kernarg_segment_size: 40
    .language:       OpenCL C
    .language_version:
      - 2
      - 0
    .max_flat_workgroup_size: 64
    .name:           _ZN7rocprim17ROCPRIM_400000_NS6detail17trampoline_kernelINS0_14default_configENS1_20scan_config_selectorIsEEZZNS1_9scan_implILNS1_25lookback_scan_determinismE0ELb0ELb0ES3_N6thrust23THRUST_200600_302600_NS6detail15normal_iteratorINS9_10device_ptrIsEEEENS9_16discard_iteratorINS9_11use_defaultEEEs11max_functorIsEsEEDaPvRmT3_T4_T5_mT6_P12ihipStream_tbENKUlT_T0_E_clISt17integral_constantIbLb1EESW_IbLb0EEEEDaSS_ST_EUlSS_E0_NS1_11comp_targetILNS1_3genE4ELNS1_11target_archE910ELNS1_3gpuE8ELNS1_3repE0EEENS1_30default_config_static_selectorELNS0_4arch9wavefront6targetE1EEEvT1_
    .private_segment_fixed_size: 0
    .sgpr_count:     10
    .sgpr_spill_count: 0
    .symbol:         _ZN7rocprim17ROCPRIM_400000_NS6detail17trampoline_kernelINS0_14default_configENS1_20scan_config_selectorIsEEZZNS1_9scan_implILNS1_25lookback_scan_determinismE0ELb0ELb0ES3_N6thrust23THRUST_200600_302600_NS6detail15normal_iteratorINS9_10device_ptrIsEEEENS9_16discard_iteratorINS9_11use_defaultEEEs11max_functorIsEsEEDaPvRmT3_T4_T5_mT6_P12ihipStream_tbENKUlT_T0_E_clISt17integral_constantIbLb1EESW_IbLb0EEEEDaSS_ST_EUlSS_E0_NS1_11comp_targetILNS1_3genE4ELNS1_11target_archE910ELNS1_3gpuE8ELNS1_3repE0EEENS1_30default_config_static_selectorELNS0_4arch9wavefront6targetE1EEEvT1_.kd
    .uniform_work_group_size: 1
    .uses_dynamic_stack: false
    .vgpr_count:     41
    .vgpr_spill_count: 0
    .wavefront_size: 64
  - .agpr_count:     0
    .args:
      - .offset:         0
        .size:           40
        .value_kind:     by_value
    .group_segment_fixed_size: 0
    .kernarg_segment_align: 8
    .kernarg_segment_size: 40
    .language:       OpenCL C
    .language_version:
      - 2
      - 0
    .max_flat_workgroup_size: 128
    .name:           _ZN7rocprim17ROCPRIM_400000_NS6detail17trampoline_kernelINS0_14default_configENS1_20scan_config_selectorIsEEZZNS1_9scan_implILNS1_25lookback_scan_determinismE0ELb0ELb0ES3_N6thrust23THRUST_200600_302600_NS6detail15normal_iteratorINS9_10device_ptrIsEEEENS9_16discard_iteratorINS9_11use_defaultEEEs11max_functorIsEsEEDaPvRmT3_T4_T5_mT6_P12ihipStream_tbENKUlT_T0_E_clISt17integral_constantIbLb1EESW_IbLb0EEEEDaSS_ST_EUlSS_E0_NS1_11comp_targetILNS1_3genE3ELNS1_11target_archE908ELNS1_3gpuE7ELNS1_3repE0EEENS1_30default_config_static_selectorELNS0_4arch9wavefront6targetE1EEEvT1_
    .private_segment_fixed_size: 0
    .sgpr_count:     4
    .sgpr_spill_count: 0
    .symbol:         _ZN7rocprim17ROCPRIM_400000_NS6detail17trampoline_kernelINS0_14default_configENS1_20scan_config_selectorIsEEZZNS1_9scan_implILNS1_25lookback_scan_determinismE0ELb0ELb0ES3_N6thrust23THRUST_200600_302600_NS6detail15normal_iteratorINS9_10device_ptrIsEEEENS9_16discard_iteratorINS9_11use_defaultEEEs11max_functorIsEsEEDaPvRmT3_T4_T5_mT6_P12ihipStream_tbENKUlT_T0_E_clISt17integral_constantIbLb1EESW_IbLb0EEEEDaSS_ST_EUlSS_E0_NS1_11comp_targetILNS1_3genE3ELNS1_11target_archE908ELNS1_3gpuE7ELNS1_3repE0EEENS1_30default_config_static_selectorELNS0_4arch9wavefront6targetE1EEEvT1_.kd
    .uniform_work_group_size: 1
    .uses_dynamic_stack: false
    .vgpr_count:     0
    .vgpr_spill_count: 0
    .wavefront_size: 64
  - .agpr_count:     0
    .args:
      - .offset:         0
        .size:           40
        .value_kind:     by_value
    .group_segment_fixed_size: 0
    .kernarg_segment_align: 8
    .kernarg_segment_size: 40
    .language:       OpenCL C
    .language_version:
      - 2
      - 0
    .max_flat_workgroup_size: 256
    .name:           _ZN7rocprim17ROCPRIM_400000_NS6detail17trampoline_kernelINS0_14default_configENS1_20scan_config_selectorIsEEZZNS1_9scan_implILNS1_25lookback_scan_determinismE0ELb0ELb0ES3_N6thrust23THRUST_200600_302600_NS6detail15normal_iteratorINS9_10device_ptrIsEEEENS9_16discard_iteratorINS9_11use_defaultEEEs11max_functorIsEsEEDaPvRmT3_T4_T5_mT6_P12ihipStream_tbENKUlT_T0_E_clISt17integral_constantIbLb1EESW_IbLb0EEEEDaSS_ST_EUlSS_E0_NS1_11comp_targetILNS1_3genE2ELNS1_11target_archE906ELNS1_3gpuE6ELNS1_3repE0EEENS1_30default_config_static_selectorELNS0_4arch9wavefront6targetE1EEEvT1_
    .private_segment_fixed_size: 0
    .sgpr_count:     4
    .sgpr_spill_count: 0
    .symbol:         _ZN7rocprim17ROCPRIM_400000_NS6detail17trampoline_kernelINS0_14default_configENS1_20scan_config_selectorIsEEZZNS1_9scan_implILNS1_25lookback_scan_determinismE0ELb0ELb0ES3_N6thrust23THRUST_200600_302600_NS6detail15normal_iteratorINS9_10device_ptrIsEEEENS9_16discard_iteratorINS9_11use_defaultEEEs11max_functorIsEsEEDaPvRmT3_T4_T5_mT6_P12ihipStream_tbENKUlT_T0_E_clISt17integral_constantIbLb1EESW_IbLb0EEEEDaSS_ST_EUlSS_E0_NS1_11comp_targetILNS1_3genE2ELNS1_11target_archE906ELNS1_3gpuE6ELNS1_3repE0EEENS1_30default_config_static_selectorELNS0_4arch9wavefront6targetE1EEEvT1_.kd
    .uniform_work_group_size: 1
    .uses_dynamic_stack: false
    .vgpr_count:     0
    .vgpr_spill_count: 0
    .wavefront_size: 64
  - .agpr_count:     0
    .args:
      - .offset:         0
        .size:           40
        .value_kind:     by_value
    .group_segment_fixed_size: 0
    .kernarg_segment_align: 8
    .kernarg_segment_size: 40
    .language:       OpenCL C
    .language_version:
      - 2
      - 0
    .max_flat_workgroup_size: 256
    .name:           _ZN7rocprim17ROCPRIM_400000_NS6detail17trampoline_kernelINS0_14default_configENS1_20scan_config_selectorIsEEZZNS1_9scan_implILNS1_25lookback_scan_determinismE0ELb0ELb0ES3_N6thrust23THRUST_200600_302600_NS6detail15normal_iteratorINS9_10device_ptrIsEEEENS9_16discard_iteratorINS9_11use_defaultEEEs11max_functorIsEsEEDaPvRmT3_T4_T5_mT6_P12ihipStream_tbENKUlT_T0_E_clISt17integral_constantIbLb1EESW_IbLb0EEEEDaSS_ST_EUlSS_E0_NS1_11comp_targetILNS1_3genE10ELNS1_11target_archE1201ELNS1_3gpuE5ELNS1_3repE0EEENS1_30default_config_static_selectorELNS0_4arch9wavefront6targetE1EEEvT1_
    .private_segment_fixed_size: 0
    .sgpr_count:     4
    .sgpr_spill_count: 0
    .symbol:         _ZN7rocprim17ROCPRIM_400000_NS6detail17trampoline_kernelINS0_14default_configENS1_20scan_config_selectorIsEEZZNS1_9scan_implILNS1_25lookback_scan_determinismE0ELb0ELb0ES3_N6thrust23THRUST_200600_302600_NS6detail15normal_iteratorINS9_10device_ptrIsEEEENS9_16discard_iteratorINS9_11use_defaultEEEs11max_functorIsEsEEDaPvRmT3_T4_T5_mT6_P12ihipStream_tbENKUlT_T0_E_clISt17integral_constantIbLb1EESW_IbLb0EEEEDaSS_ST_EUlSS_E0_NS1_11comp_targetILNS1_3genE10ELNS1_11target_archE1201ELNS1_3gpuE5ELNS1_3repE0EEENS1_30default_config_static_selectorELNS0_4arch9wavefront6targetE1EEEvT1_.kd
    .uniform_work_group_size: 1
    .uses_dynamic_stack: false
    .vgpr_count:     0
    .vgpr_spill_count: 0
    .wavefront_size: 64
  - .agpr_count:     0
    .args:
      - .offset:         0
        .size:           40
        .value_kind:     by_value
    .group_segment_fixed_size: 0
    .kernarg_segment_align: 8
    .kernarg_segment_size: 40
    .language:       OpenCL C
    .language_version:
      - 2
      - 0
    .max_flat_workgroup_size: 256
    .name:           _ZN7rocprim17ROCPRIM_400000_NS6detail17trampoline_kernelINS0_14default_configENS1_20scan_config_selectorIsEEZZNS1_9scan_implILNS1_25lookback_scan_determinismE0ELb0ELb0ES3_N6thrust23THRUST_200600_302600_NS6detail15normal_iteratorINS9_10device_ptrIsEEEENS9_16discard_iteratorINS9_11use_defaultEEEs11max_functorIsEsEEDaPvRmT3_T4_T5_mT6_P12ihipStream_tbENKUlT_T0_E_clISt17integral_constantIbLb1EESW_IbLb0EEEEDaSS_ST_EUlSS_E0_NS1_11comp_targetILNS1_3genE10ELNS1_11target_archE1200ELNS1_3gpuE4ELNS1_3repE0EEENS1_30default_config_static_selectorELNS0_4arch9wavefront6targetE1EEEvT1_
    .private_segment_fixed_size: 0
    .sgpr_count:     4
    .sgpr_spill_count: 0
    .symbol:         _ZN7rocprim17ROCPRIM_400000_NS6detail17trampoline_kernelINS0_14default_configENS1_20scan_config_selectorIsEEZZNS1_9scan_implILNS1_25lookback_scan_determinismE0ELb0ELb0ES3_N6thrust23THRUST_200600_302600_NS6detail15normal_iteratorINS9_10device_ptrIsEEEENS9_16discard_iteratorINS9_11use_defaultEEEs11max_functorIsEsEEDaPvRmT3_T4_T5_mT6_P12ihipStream_tbENKUlT_T0_E_clISt17integral_constantIbLb1EESW_IbLb0EEEEDaSS_ST_EUlSS_E0_NS1_11comp_targetILNS1_3genE10ELNS1_11target_archE1200ELNS1_3gpuE4ELNS1_3repE0EEENS1_30default_config_static_selectorELNS0_4arch9wavefront6targetE1EEEvT1_.kd
    .uniform_work_group_size: 1
    .uses_dynamic_stack: false
    .vgpr_count:     0
    .vgpr_spill_count: 0
    .wavefront_size: 64
  - .agpr_count:     0
    .args:
      - .offset:         0
        .size:           40
        .value_kind:     by_value
    .group_segment_fixed_size: 0
    .kernarg_segment_align: 8
    .kernarg_segment_size: 40
    .language:       OpenCL C
    .language_version:
      - 2
      - 0
    .max_flat_workgroup_size: 64
    .name:           _ZN7rocprim17ROCPRIM_400000_NS6detail17trampoline_kernelINS0_14default_configENS1_20scan_config_selectorIsEEZZNS1_9scan_implILNS1_25lookback_scan_determinismE0ELb0ELb0ES3_N6thrust23THRUST_200600_302600_NS6detail15normal_iteratorINS9_10device_ptrIsEEEENS9_16discard_iteratorINS9_11use_defaultEEEs11max_functorIsEsEEDaPvRmT3_T4_T5_mT6_P12ihipStream_tbENKUlT_T0_E_clISt17integral_constantIbLb1EESW_IbLb0EEEEDaSS_ST_EUlSS_E0_NS1_11comp_targetILNS1_3genE9ELNS1_11target_archE1100ELNS1_3gpuE3ELNS1_3repE0EEENS1_30default_config_static_selectorELNS0_4arch9wavefront6targetE1EEEvT1_
    .private_segment_fixed_size: 0
    .sgpr_count:     4
    .sgpr_spill_count: 0
    .symbol:         _ZN7rocprim17ROCPRIM_400000_NS6detail17trampoline_kernelINS0_14default_configENS1_20scan_config_selectorIsEEZZNS1_9scan_implILNS1_25lookback_scan_determinismE0ELb0ELb0ES3_N6thrust23THRUST_200600_302600_NS6detail15normal_iteratorINS9_10device_ptrIsEEEENS9_16discard_iteratorINS9_11use_defaultEEEs11max_functorIsEsEEDaPvRmT3_T4_T5_mT6_P12ihipStream_tbENKUlT_T0_E_clISt17integral_constantIbLb1EESW_IbLb0EEEEDaSS_ST_EUlSS_E0_NS1_11comp_targetILNS1_3genE9ELNS1_11target_archE1100ELNS1_3gpuE3ELNS1_3repE0EEENS1_30default_config_static_selectorELNS0_4arch9wavefront6targetE1EEEvT1_.kd
    .uniform_work_group_size: 1
    .uses_dynamic_stack: false
    .vgpr_count:     0
    .vgpr_spill_count: 0
    .wavefront_size: 64
  - .agpr_count:     0
    .args:
      - .offset:         0
        .size:           40
        .value_kind:     by_value
    .group_segment_fixed_size: 0
    .kernarg_segment_align: 8
    .kernarg_segment_size: 40
    .language:       OpenCL C
    .language_version:
      - 2
      - 0
    .max_flat_workgroup_size: 64
    .name:           _ZN7rocprim17ROCPRIM_400000_NS6detail17trampoline_kernelINS0_14default_configENS1_20scan_config_selectorIsEEZZNS1_9scan_implILNS1_25lookback_scan_determinismE0ELb0ELb0ES3_N6thrust23THRUST_200600_302600_NS6detail15normal_iteratorINS9_10device_ptrIsEEEENS9_16discard_iteratorINS9_11use_defaultEEEs11max_functorIsEsEEDaPvRmT3_T4_T5_mT6_P12ihipStream_tbENKUlT_T0_E_clISt17integral_constantIbLb1EESW_IbLb0EEEEDaSS_ST_EUlSS_E0_NS1_11comp_targetILNS1_3genE8ELNS1_11target_archE1030ELNS1_3gpuE2ELNS1_3repE0EEENS1_30default_config_static_selectorELNS0_4arch9wavefront6targetE1EEEvT1_
    .private_segment_fixed_size: 0
    .sgpr_count:     4
    .sgpr_spill_count: 0
    .symbol:         _ZN7rocprim17ROCPRIM_400000_NS6detail17trampoline_kernelINS0_14default_configENS1_20scan_config_selectorIsEEZZNS1_9scan_implILNS1_25lookback_scan_determinismE0ELb0ELb0ES3_N6thrust23THRUST_200600_302600_NS6detail15normal_iteratorINS9_10device_ptrIsEEEENS9_16discard_iteratorINS9_11use_defaultEEEs11max_functorIsEsEEDaPvRmT3_T4_T5_mT6_P12ihipStream_tbENKUlT_T0_E_clISt17integral_constantIbLb1EESW_IbLb0EEEEDaSS_ST_EUlSS_E0_NS1_11comp_targetILNS1_3genE8ELNS1_11target_archE1030ELNS1_3gpuE2ELNS1_3repE0EEENS1_30default_config_static_selectorELNS0_4arch9wavefront6targetE1EEEvT1_.kd
    .uniform_work_group_size: 1
    .uses_dynamic_stack: false
    .vgpr_count:     0
    .vgpr_spill_count: 0
    .wavefront_size: 64
  - .agpr_count:     0
    .args:
      - .offset:         0
        .size:           104
        .value_kind:     by_value
    .group_segment_fixed_size: 0
    .kernarg_segment_align: 8
    .kernarg_segment_size: 104
    .language:       OpenCL C
    .language_version:
      - 2
      - 0
    .max_flat_workgroup_size: 128
    .name:           _ZN7rocprim17ROCPRIM_400000_NS6detail17trampoline_kernelINS0_14default_configENS1_20scan_config_selectorIsEEZZNS1_9scan_implILNS1_25lookback_scan_determinismE0ELb0ELb0ES3_N6thrust23THRUST_200600_302600_NS6detail15normal_iteratorINS9_10device_ptrIsEEEENS9_16discard_iteratorINS9_11use_defaultEEEs11max_functorIsEsEEDaPvRmT3_T4_T5_mT6_P12ihipStream_tbENKUlT_T0_E_clISt17integral_constantIbLb0EESW_IbLb1EEEEDaSS_ST_EUlSS_E_NS1_11comp_targetILNS1_3genE0ELNS1_11target_archE4294967295ELNS1_3gpuE0ELNS1_3repE0EEENS1_30default_config_static_selectorELNS0_4arch9wavefront6targetE1EEEvT1_
    .private_segment_fixed_size: 0
    .sgpr_count:     4
    .sgpr_spill_count: 0
    .symbol:         _ZN7rocprim17ROCPRIM_400000_NS6detail17trampoline_kernelINS0_14default_configENS1_20scan_config_selectorIsEEZZNS1_9scan_implILNS1_25lookback_scan_determinismE0ELb0ELb0ES3_N6thrust23THRUST_200600_302600_NS6detail15normal_iteratorINS9_10device_ptrIsEEEENS9_16discard_iteratorINS9_11use_defaultEEEs11max_functorIsEsEEDaPvRmT3_T4_T5_mT6_P12ihipStream_tbENKUlT_T0_E_clISt17integral_constantIbLb0EESW_IbLb1EEEEDaSS_ST_EUlSS_E_NS1_11comp_targetILNS1_3genE0ELNS1_11target_archE4294967295ELNS1_3gpuE0ELNS1_3repE0EEENS1_30default_config_static_selectorELNS0_4arch9wavefront6targetE1EEEvT1_.kd
    .uniform_work_group_size: 1
    .uses_dynamic_stack: false
    .vgpr_count:     0
    .vgpr_spill_count: 0
    .wavefront_size: 64
  - .agpr_count:     0
    .args:
      - .offset:         0
        .size:           104
        .value_kind:     by_value
    .group_segment_fixed_size: 0
    .kernarg_segment_align: 8
    .kernarg_segment_size: 104
    .language:       OpenCL C
    .language_version:
      - 2
      - 0
    .max_flat_workgroup_size: 256
    .name:           _ZN7rocprim17ROCPRIM_400000_NS6detail17trampoline_kernelINS0_14default_configENS1_20scan_config_selectorIsEEZZNS1_9scan_implILNS1_25lookback_scan_determinismE0ELb0ELb0ES3_N6thrust23THRUST_200600_302600_NS6detail15normal_iteratorINS9_10device_ptrIsEEEENS9_16discard_iteratorINS9_11use_defaultEEEs11max_functorIsEsEEDaPvRmT3_T4_T5_mT6_P12ihipStream_tbENKUlT_T0_E_clISt17integral_constantIbLb0EESW_IbLb1EEEEDaSS_ST_EUlSS_E_NS1_11comp_targetILNS1_3genE5ELNS1_11target_archE942ELNS1_3gpuE9ELNS1_3repE0EEENS1_30default_config_static_selectorELNS0_4arch9wavefront6targetE1EEEvT1_
    .private_segment_fixed_size: 0
    .sgpr_count:     4
    .sgpr_spill_count: 0
    .symbol:         _ZN7rocprim17ROCPRIM_400000_NS6detail17trampoline_kernelINS0_14default_configENS1_20scan_config_selectorIsEEZZNS1_9scan_implILNS1_25lookback_scan_determinismE0ELb0ELb0ES3_N6thrust23THRUST_200600_302600_NS6detail15normal_iteratorINS9_10device_ptrIsEEEENS9_16discard_iteratorINS9_11use_defaultEEEs11max_functorIsEsEEDaPvRmT3_T4_T5_mT6_P12ihipStream_tbENKUlT_T0_E_clISt17integral_constantIbLb0EESW_IbLb1EEEEDaSS_ST_EUlSS_E_NS1_11comp_targetILNS1_3genE5ELNS1_11target_archE942ELNS1_3gpuE9ELNS1_3repE0EEENS1_30default_config_static_selectorELNS0_4arch9wavefront6targetE1EEEvT1_.kd
    .uniform_work_group_size: 1
    .uses_dynamic_stack: false
    .vgpr_count:     0
    .vgpr_spill_count: 0
    .wavefront_size: 64
  - .agpr_count:     0
    .args:
      - .offset:         0
        .size:           104
        .value_kind:     by_value
    .group_segment_fixed_size: 3072
    .kernarg_segment_align: 8
    .kernarg_segment_size: 104
    .language:       OpenCL C
    .language_version:
      - 2
      - 0
    .max_flat_workgroup_size: 64
    .name:           _ZN7rocprim17ROCPRIM_400000_NS6detail17trampoline_kernelINS0_14default_configENS1_20scan_config_selectorIsEEZZNS1_9scan_implILNS1_25lookback_scan_determinismE0ELb0ELb0ES3_N6thrust23THRUST_200600_302600_NS6detail15normal_iteratorINS9_10device_ptrIsEEEENS9_16discard_iteratorINS9_11use_defaultEEEs11max_functorIsEsEEDaPvRmT3_T4_T5_mT6_P12ihipStream_tbENKUlT_T0_E_clISt17integral_constantIbLb0EESW_IbLb1EEEEDaSS_ST_EUlSS_E_NS1_11comp_targetILNS1_3genE4ELNS1_11target_archE910ELNS1_3gpuE8ELNS1_3repE0EEENS1_30default_config_static_selectorELNS0_4arch9wavefront6targetE1EEEvT1_
    .private_segment_fixed_size: 0
    .sgpr_count:     35
    .sgpr_spill_count: 0
    .symbol:         _ZN7rocprim17ROCPRIM_400000_NS6detail17trampoline_kernelINS0_14default_configENS1_20scan_config_selectorIsEEZZNS1_9scan_implILNS1_25lookback_scan_determinismE0ELb0ELb0ES3_N6thrust23THRUST_200600_302600_NS6detail15normal_iteratorINS9_10device_ptrIsEEEENS9_16discard_iteratorINS9_11use_defaultEEEs11max_functorIsEsEEDaPvRmT3_T4_T5_mT6_P12ihipStream_tbENKUlT_T0_E_clISt17integral_constantIbLb0EESW_IbLb1EEEEDaSS_ST_EUlSS_E_NS1_11comp_targetILNS1_3genE4ELNS1_11target_archE910ELNS1_3gpuE8ELNS1_3repE0EEENS1_30default_config_static_selectorELNS0_4arch9wavefront6targetE1EEEvT1_.kd
    .uniform_work_group_size: 1
    .uses_dynamic_stack: false
    .vgpr_count:     56
    .vgpr_spill_count: 0
    .wavefront_size: 64
  - .agpr_count:     0
    .args:
      - .offset:         0
        .size:           104
        .value_kind:     by_value
    .group_segment_fixed_size: 0
    .kernarg_segment_align: 8
    .kernarg_segment_size: 104
    .language:       OpenCL C
    .language_version:
      - 2
      - 0
    .max_flat_workgroup_size: 128
    .name:           _ZN7rocprim17ROCPRIM_400000_NS6detail17trampoline_kernelINS0_14default_configENS1_20scan_config_selectorIsEEZZNS1_9scan_implILNS1_25lookback_scan_determinismE0ELb0ELb0ES3_N6thrust23THRUST_200600_302600_NS6detail15normal_iteratorINS9_10device_ptrIsEEEENS9_16discard_iteratorINS9_11use_defaultEEEs11max_functorIsEsEEDaPvRmT3_T4_T5_mT6_P12ihipStream_tbENKUlT_T0_E_clISt17integral_constantIbLb0EESW_IbLb1EEEEDaSS_ST_EUlSS_E_NS1_11comp_targetILNS1_3genE3ELNS1_11target_archE908ELNS1_3gpuE7ELNS1_3repE0EEENS1_30default_config_static_selectorELNS0_4arch9wavefront6targetE1EEEvT1_
    .private_segment_fixed_size: 0
    .sgpr_count:     4
    .sgpr_spill_count: 0
    .symbol:         _ZN7rocprim17ROCPRIM_400000_NS6detail17trampoline_kernelINS0_14default_configENS1_20scan_config_selectorIsEEZZNS1_9scan_implILNS1_25lookback_scan_determinismE0ELb0ELb0ES3_N6thrust23THRUST_200600_302600_NS6detail15normal_iteratorINS9_10device_ptrIsEEEENS9_16discard_iteratorINS9_11use_defaultEEEs11max_functorIsEsEEDaPvRmT3_T4_T5_mT6_P12ihipStream_tbENKUlT_T0_E_clISt17integral_constantIbLb0EESW_IbLb1EEEEDaSS_ST_EUlSS_E_NS1_11comp_targetILNS1_3genE3ELNS1_11target_archE908ELNS1_3gpuE7ELNS1_3repE0EEENS1_30default_config_static_selectorELNS0_4arch9wavefront6targetE1EEEvT1_.kd
    .uniform_work_group_size: 1
    .uses_dynamic_stack: false
    .vgpr_count:     0
    .vgpr_spill_count: 0
    .wavefront_size: 64
  - .agpr_count:     0
    .args:
      - .offset:         0
        .size:           104
        .value_kind:     by_value
    .group_segment_fixed_size: 0
    .kernarg_segment_align: 8
    .kernarg_segment_size: 104
    .language:       OpenCL C
    .language_version:
      - 2
      - 0
    .max_flat_workgroup_size: 256
    .name:           _ZN7rocprim17ROCPRIM_400000_NS6detail17trampoline_kernelINS0_14default_configENS1_20scan_config_selectorIsEEZZNS1_9scan_implILNS1_25lookback_scan_determinismE0ELb0ELb0ES3_N6thrust23THRUST_200600_302600_NS6detail15normal_iteratorINS9_10device_ptrIsEEEENS9_16discard_iteratorINS9_11use_defaultEEEs11max_functorIsEsEEDaPvRmT3_T4_T5_mT6_P12ihipStream_tbENKUlT_T0_E_clISt17integral_constantIbLb0EESW_IbLb1EEEEDaSS_ST_EUlSS_E_NS1_11comp_targetILNS1_3genE2ELNS1_11target_archE906ELNS1_3gpuE6ELNS1_3repE0EEENS1_30default_config_static_selectorELNS0_4arch9wavefront6targetE1EEEvT1_
    .private_segment_fixed_size: 0
    .sgpr_count:     4
    .sgpr_spill_count: 0
    .symbol:         _ZN7rocprim17ROCPRIM_400000_NS6detail17trampoline_kernelINS0_14default_configENS1_20scan_config_selectorIsEEZZNS1_9scan_implILNS1_25lookback_scan_determinismE0ELb0ELb0ES3_N6thrust23THRUST_200600_302600_NS6detail15normal_iteratorINS9_10device_ptrIsEEEENS9_16discard_iteratorINS9_11use_defaultEEEs11max_functorIsEsEEDaPvRmT3_T4_T5_mT6_P12ihipStream_tbENKUlT_T0_E_clISt17integral_constantIbLb0EESW_IbLb1EEEEDaSS_ST_EUlSS_E_NS1_11comp_targetILNS1_3genE2ELNS1_11target_archE906ELNS1_3gpuE6ELNS1_3repE0EEENS1_30default_config_static_selectorELNS0_4arch9wavefront6targetE1EEEvT1_.kd
    .uniform_work_group_size: 1
    .uses_dynamic_stack: false
    .vgpr_count:     0
    .vgpr_spill_count: 0
    .wavefront_size: 64
  - .agpr_count:     0
    .args:
      - .offset:         0
        .size:           104
        .value_kind:     by_value
    .group_segment_fixed_size: 0
    .kernarg_segment_align: 8
    .kernarg_segment_size: 104
    .language:       OpenCL C
    .language_version:
      - 2
      - 0
    .max_flat_workgroup_size: 256
    .name:           _ZN7rocprim17ROCPRIM_400000_NS6detail17trampoline_kernelINS0_14default_configENS1_20scan_config_selectorIsEEZZNS1_9scan_implILNS1_25lookback_scan_determinismE0ELb0ELb0ES3_N6thrust23THRUST_200600_302600_NS6detail15normal_iteratorINS9_10device_ptrIsEEEENS9_16discard_iteratorINS9_11use_defaultEEEs11max_functorIsEsEEDaPvRmT3_T4_T5_mT6_P12ihipStream_tbENKUlT_T0_E_clISt17integral_constantIbLb0EESW_IbLb1EEEEDaSS_ST_EUlSS_E_NS1_11comp_targetILNS1_3genE10ELNS1_11target_archE1201ELNS1_3gpuE5ELNS1_3repE0EEENS1_30default_config_static_selectorELNS0_4arch9wavefront6targetE1EEEvT1_
    .private_segment_fixed_size: 0
    .sgpr_count:     4
    .sgpr_spill_count: 0
    .symbol:         _ZN7rocprim17ROCPRIM_400000_NS6detail17trampoline_kernelINS0_14default_configENS1_20scan_config_selectorIsEEZZNS1_9scan_implILNS1_25lookback_scan_determinismE0ELb0ELb0ES3_N6thrust23THRUST_200600_302600_NS6detail15normal_iteratorINS9_10device_ptrIsEEEENS9_16discard_iteratorINS9_11use_defaultEEEs11max_functorIsEsEEDaPvRmT3_T4_T5_mT6_P12ihipStream_tbENKUlT_T0_E_clISt17integral_constantIbLb0EESW_IbLb1EEEEDaSS_ST_EUlSS_E_NS1_11comp_targetILNS1_3genE10ELNS1_11target_archE1201ELNS1_3gpuE5ELNS1_3repE0EEENS1_30default_config_static_selectorELNS0_4arch9wavefront6targetE1EEEvT1_.kd
    .uniform_work_group_size: 1
    .uses_dynamic_stack: false
    .vgpr_count:     0
    .vgpr_spill_count: 0
    .wavefront_size: 64
  - .agpr_count:     0
    .args:
      - .offset:         0
        .size:           104
        .value_kind:     by_value
    .group_segment_fixed_size: 0
    .kernarg_segment_align: 8
    .kernarg_segment_size: 104
    .language:       OpenCL C
    .language_version:
      - 2
      - 0
    .max_flat_workgroup_size: 256
    .name:           _ZN7rocprim17ROCPRIM_400000_NS6detail17trampoline_kernelINS0_14default_configENS1_20scan_config_selectorIsEEZZNS1_9scan_implILNS1_25lookback_scan_determinismE0ELb0ELb0ES3_N6thrust23THRUST_200600_302600_NS6detail15normal_iteratorINS9_10device_ptrIsEEEENS9_16discard_iteratorINS9_11use_defaultEEEs11max_functorIsEsEEDaPvRmT3_T4_T5_mT6_P12ihipStream_tbENKUlT_T0_E_clISt17integral_constantIbLb0EESW_IbLb1EEEEDaSS_ST_EUlSS_E_NS1_11comp_targetILNS1_3genE10ELNS1_11target_archE1200ELNS1_3gpuE4ELNS1_3repE0EEENS1_30default_config_static_selectorELNS0_4arch9wavefront6targetE1EEEvT1_
    .private_segment_fixed_size: 0
    .sgpr_count:     4
    .sgpr_spill_count: 0
    .symbol:         _ZN7rocprim17ROCPRIM_400000_NS6detail17trampoline_kernelINS0_14default_configENS1_20scan_config_selectorIsEEZZNS1_9scan_implILNS1_25lookback_scan_determinismE0ELb0ELb0ES3_N6thrust23THRUST_200600_302600_NS6detail15normal_iteratorINS9_10device_ptrIsEEEENS9_16discard_iteratorINS9_11use_defaultEEEs11max_functorIsEsEEDaPvRmT3_T4_T5_mT6_P12ihipStream_tbENKUlT_T0_E_clISt17integral_constantIbLb0EESW_IbLb1EEEEDaSS_ST_EUlSS_E_NS1_11comp_targetILNS1_3genE10ELNS1_11target_archE1200ELNS1_3gpuE4ELNS1_3repE0EEENS1_30default_config_static_selectorELNS0_4arch9wavefront6targetE1EEEvT1_.kd
    .uniform_work_group_size: 1
    .uses_dynamic_stack: false
    .vgpr_count:     0
    .vgpr_spill_count: 0
    .wavefront_size: 64
  - .agpr_count:     0
    .args:
      - .offset:         0
        .size:           104
        .value_kind:     by_value
    .group_segment_fixed_size: 0
    .kernarg_segment_align: 8
    .kernarg_segment_size: 104
    .language:       OpenCL C
    .language_version:
      - 2
      - 0
    .max_flat_workgroup_size: 64
    .name:           _ZN7rocprim17ROCPRIM_400000_NS6detail17trampoline_kernelINS0_14default_configENS1_20scan_config_selectorIsEEZZNS1_9scan_implILNS1_25lookback_scan_determinismE0ELb0ELb0ES3_N6thrust23THRUST_200600_302600_NS6detail15normal_iteratorINS9_10device_ptrIsEEEENS9_16discard_iteratorINS9_11use_defaultEEEs11max_functorIsEsEEDaPvRmT3_T4_T5_mT6_P12ihipStream_tbENKUlT_T0_E_clISt17integral_constantIbLb0EESW_IbLb1EEEEDaSS_ST_EUlSS_E_NS1_11comp_targetILNS1_3genE9ELNS1_11target_archE1100ELNS1_3gpuE3ELNS1_3repE0EEENS1_30default_config_static_selectorELNS0_4arch9wavefront6targetE1EEEvT1_
    .private_segment_fixed_size: 0
    .sgpr_count:     4
    .sgpr_spill_count: 0
    .symbol:         _ZN7rocprim17ROCPRIM_400000_NS6detail17trampoline_kernelINS0_14default_configENS1_20scan_config_selectorIsEEZZNS1_9scan_implILNS1_25lookback_scan_determinismE0ELb0ELb0ES3_N6thrust23THRUST_200600_302600_NS6detail15normal_iteratorINS9_10device_ptrIsEEEENS9_16discard_iteratorINS9_11use_defaultEEEs11max_functorIsEsEEDaPvRmT3_T4_T5_mT6_P12ihipStream_tbENKUlT_T0_E_clISt17integral_constantIbLb0EESW_IbLb1EEEEDaSS_ST_EUlSS_E_NS1_11comp_targetILNS1_3genE9ELNS1_11target_archE1100ELNS1_3gpuE3ELNS1_3repE0EEENS1_30default_config_static_selectorELNS0_4arch9wavefront6targetE1EEEvT1_.kd
    .uniform_work_group_size: 1
    .uses_dynamic_stack: false
    .vgpr_count:     0
    .vgpr_spill_count: 0
    .wavefront_size: 64
  - .agpr_count:     0
    .args:
      - .offset:         0
        .size:           104
        .value_kind:     by_value
    .group_segment_fixed_size: 0
    .kernarg_segment_align: 8
    .kernarg_segment_size: 104
    .language:       OpenCL C
    .language_version:
      - 2
      - 0
    .max_flat_workgroup_size: 64
    .name:           _ZN7rocprim17ROCPRIM_400000_NS6detail17trampoline_kernelINS0_14default_configENS1_20scan_config_selectorIsEEZZNS1_9scan_implILNS1_25lookback_scan_determinismE0ELb0ELb0ES3_N6thrust23THRUST_200600_302600_NS6detail15normal_iteratorINS9_10device_ptrIsEEEENS9_16discard_iteratorINS9_11use_defaultEEEs11max_functorIsEsEEDaPvRmT3_T4_T5_mT6_P12ihipStream_tbENKUlT_T0_E_clISt17integral_constantIbLb0EESW_IbLb1EEEEDaSS_ST_EUlSS_E_NS1_11comp_targetILNS1_3genE8ELNS1_11target_archE1030ELNS1_3gpuE2ELNS1_3repE0EEENS1_30default_config_static_selectorELNS0_4arch9wavefront6targetE1EEEvT1_
    .private_segment_fixed_size: 0
    .sgpr_count:     4
    .sgpr_spill_count: 0
    .symbol:         _ZN7rocprim17ROCPRIM_400000_NS6detail17trampoline_kernelINS0_14default_configENS1_20scan_config_selectorIsEEZZNS1_9scan_implILNS1_25lookback_scan_determinismE0ELb0ELb0ES3_N6thrust23THRUST_200600_302600_NS6detail15normal_iteratorINS9_10device_ptrIsEEEENS9_16discard_iteratorINS9_11use_defaultEEEs11max_functorIsEsEEDaPvRmT3_T4_T5_mT6_P12ihipStream_tbENKUlT_T0_E_clISt17integral_constantIbLb0EESW_IbLb1EEEEDaSS_ST_EUlSS_E_NS1_11comp_targetILNS1_3genE8ELNS1_11target_archE1030ELNS1_3gpuE2ELNS1_3repE0EEENS1_30default_config_static_selectorELNS0_4arch9wavefront6targetE1EEEvT1_.kd
    .uniform_work_group_size: 1
    .uses_dynamic_stack: false
    .vgpr_count:     0
    .vgpr_spill_count: 0
    .wavefront_size: 64
  - .agpr_count:     0
    .args:
      - .offset:         0
        .size:           40
        .value_kind:     by_value
    .group_segment_fixed_size: 0
    .kernarg_segment_align: 8
    .kernarg_segment_size: 40
    .language:       OpenCL C
    .language_version:
      - 2
      - 0
    .max_flat_workgroup_size: 128
    .name:           _ZN7rocprim17ROCPRIM_400000_NS6detail17trampoline_kernelINS0_14default_configENS1_20scan_config_selectorIsEEZZNS1_9scan_implILNS1_25lookback_scan_determinismE0ELb0ELb0ES3_N6thrust23THRUST_200600_302600_NS6detail15normal_iteratorINS9_10device_ptrIsEEEENS9_16discard_iteratorINS9_11use_defaultEEEs11max_functorIsEsEEDaPvRmT3_T4_T5_mT6_P12ihipStream_tbENKUlT_T0_E_clISt17integral_constantIbLb0EESW_IbLb1EEEEDaSS_ST_EUlSS_E0_NS1_11comp_targetILNS1_3genE0ELNS1_11target_archE4294967295ELNS1_3gpuE0ELNS1_3repE0EEENS1_30default_config_static_selectorELNS0_4arch9wavefront6targetE1EEEvT1_
    .private_segment_fixed_size: 0
    .sgpr_count:     4
    .sgpr_spill_count: 0
    .symbol:         _ZN7rocprim17ROCPRIM_400000_NS6detail17trampoline_kernelINS0_14default_configENS1_20scan_config_selectorIsEEZZNS1_9scan_implILNS1_25lookback_scan_determinismE0ELb0ELb0ES3_N6thrust23THRUST_200600_302600_NS6detail15normal_iteratorINS9_10device_ptrIsEEEENS9_16discard_iteratorINS9_11use_defaultEEEs11max_functorIsEsEEDaPvRmT3_T4_T5_mT6_P12ihipStream_tbENKUlT_T0_E_clISt17integral_constantIbLb0EESW_IbLb1EEEEDaSS_ST_EUlSS_E0_NS1_11comp_targetILNS1_3genE0ELNS1_11target_archE4294967295ELNS1_3gpuE0ELNS1_3repE0EEENS1_30default_config_static_selectorELNS0_4arch9wavefront6targetE1EEEvT1_.kd
    .uniform_work_group_size: 1
    .uses_dynamic_stack: false
    .vgpr_count:     0
    .vgpr_spill_count: 0
    .wavefront_size: 64
  - .agpr_count:     0
    .args:
      - .offset:         0
        .size:           40
        .value_kind:     by_value
    .group_segment_fixed_size: 0
    .kernarg_segment_align: 8
    .kernarg_segment_size: 40
    .language:       OpenCL C
    .language_version:
      - 2
      - 0
    .max_flat_workgroup_size: 256
    .name:           _ZN7rocprim17ROCPRIM_400000_NS6detail17trampoline_kernelINS0_14default_configENS1_20scan_config_selectorIsEEZZNS1_9scan_implILNS1_25lookback_scan_determinismE0ELb0ELb0ES3_N6thrust23THRUST_200600_302600_NS6detail15normal_iteratorINS9_10device_ptrIsEEEENS9_16discard_iteratorINS9_11use_defaultEEEs11max_functorIsEsEEDaPvRmT3_T4_T5_mT6_P12ihipStream_tbENKUlT_T0_E_clISt17integral_constantIbLb0EESW_IbLb1EEEEDaSS_ST_EUlSS_E0_NS1_11comp_targetILNS1_3genE5ELNS1_11target_archE942ELNS1_3gpuE9ELNS1_3repE0EEENS1_30default_config_static_selectorELNS0_4arch9wavefront6targetE1EEEvT1_
    .private_segment_fixed_size: 0
    .sgpr_count:     4
    .sgpr_spill_count: 0
    .symbol:         _ZN7rocprim17ROCPRIM_400000_NS6detail17trampoline_kernelINS0_14default_configENS1_20scan_config_selectorIsEEZZNS1_9scan_implILNS1_25lookback_scan_determinismE0ELb0ELb0ES3_N6thrust23THRUST_200600_302600_NS6detail15normal_iteratorINS9_10device_ptrIsEEEENS9_16discard_iteratorINS9_11use_defaultEEEs11max_functorIsEsEEDaPvRmT3_T4_T5_mT6_P12ihipStream_tbENKUlT_T0_E_clISt17integral_constantIbLb0EESW_IbLb1EEEEDaSS_ST_EUlSS_E0_NS1_11comp_targetILNS1_3genE5ELNS1_11target_archE942ELNS1_3gpuE9ELNS1_3repE0EEENS1_30default_config_static_selectorELNS0_4arch9wavefront6targetE1EEEvT1_.kd
    .uniform_work_group_size: 1
    .uses_dynamic_stack: false
    .vgpr_count:     0
    .vgpr_spill_count: 0
    .wavefront_size: 64
  - .agpr_count:     0
    .args:
      - .offset:         0
        .size:           40
        .value_kind:     by_value
    .group_segment_fixed_size: 3072
    .kernarg_segment_align: 8
    .kernarg_segment_size: 40
    .language:       OpenCL C
    .language_version:
      - 2
      - 0
    .max_flat_workgroup_size: 64
    .name:           _ZN7rocprim17ROCPRIM_400000_NS6detail17trampoline_kernelINS0_14default_configENS1_20scan_config_selectorIsEEZZNS1_9scan_implILNS1_25lookback_scan_determinismE0ELb0ELb0ES3_N6thrust23THRUST_200600_302600_NS6detail15normal_iteratorINS9_10device_ptrIsEEEENS9_16discard_iteratorINS9_11use_defaultEEEs11max_functorIsEsEEDaPvRmT3_T4_T5_mT6_P12ihipStream_tbENKUlT_T0_E_clISt17integral_constantIbLb0EESW_IbLb1EEEEDaSS_ST_EUlSS_E0_NS1_11comp_targetILNS1_3genE4ELNS1_11target_archE910ELNS1_3gpuE8ELNS1_3repE0EEENS1_30default_config_static_selectorELNS0_4arch9wavefront6targetE1EEEvT1_
    .private_segment_fixed_size: 0
    .sgpr_count:     10
    .sgpr_spill_count: 0
    .symbol:         _ZN7rocprim17ROCPRIM_400000_NS6detail17trampoline_kernelINS0_14default_configENS1_20scan_config_selectorIsEEZZNS1_9scan_implILNS1_25lookback_scan_determinismE0ELb0ELb0ES3_N6thrust23THRUST_200600_302600_NS6detail15normal_iteratorINS9_10device_ptrIsEEEENS9_16discard_iteratorINS9_11use_defaultEEEs11max_functorIsEsEEDaPvRmT3_T4_T5_mT6_P12ihipStream_tbENKUlT_T0_E_clISt17integral_constantIbLb0EESW_IbLb1EEEEDaSS_ST_EUlSS_E0_NS1_11comp_targetILNS1_3genE4ELNS1_11target_archE910ELNS1_3gpuE8ELNS1_3repE0EEENS1_30default_config_static_selectorELNS0_4arch9wavefront6targetE1EEEvT1_.kd
    .uniform_work_group_size: 1
    .uses_dynamic_stack: false
    .vgpr_count:     41
    .vgpr_spill_count: 0
    .wavefront_size: 64
  - .agpr_count:     0
    .args:
      - .offset:         0
        .size:           40
        .value_kind:     by_value
    .group_segment_fixed_size: 0
    .kernarg_segment_align: 8
    .kernarg_segment_size: 40
    .language:       OpenCL C
    .language_version:
      - 2
      - 0
    .max_flat_workgroup_size: 128
    .name:           _ZN7rocprim17ROCPRIM_400000_NS6detail17trampoline_kernelINS0_14default_configENS1_20scan_config_selectorIsEEZZNS1_9scan_implILNS1_25lookback_scan_determinismE0ELb0ELb0ES3_N6thrust23THRUST_200600_302600_NS6detail15normal_iteratorINS9_10device_ptrIsEEEENS9_16discard_iteratorINS9_11use_defaultEEEs11max_functorIsEsEEDaPvRmT3_T4_T5_mT6_P12ihipStream_tbENKUlT_T0_E_clISt17integral_constantIbLb0EESW_IbLb1EEEEDaSS_ST_EUlSS_E0_NS1_11comp_targetILNS1_3genE3ELNS1_11target_archE908ELNS1_3gpuE7ELNS1_3repE0EEENS1_30default_config_static_selectorELNS0_4arch9wavefront6targetE1EEEvT1_
    .private_segment_fixed_size: 0
    .sgpr_count:     4
    .sgpr_spill_count: 0
    .symbol:         _ZN7rocprim17ROCPRIM_400000_NS6detail17trampoline_kernelINS0_14default_configENS1_20scan_config_selectorIsEEZZNS1_9scan_implILNS1_25lookback_scan_determinismE0ELb0ELb0ES3_N6thrust23THRUST_200600_302600_NS6detail15normal_iteratorINS9_10device_ptrIsEEEENS9_16discard_iteratorINS9_11use_defaultEEEs11max_functorIsEsEEDaPvRmT3_T4_T5_mT6_P12ihipStream_tbENKUlT_T0_E_clISt17integral_constantIbLb0EESW_IbLb1EEEEDaSS_ST_EUlSS_E0_NS1_11comp_targetILNS1_3genE3ELNS1_11target_archE908ELNS1_3gpuE7ELNS1_3repE0EEENS1_30default_config_static_selectorELNS0_4arch9wavefront6targetE1EEEvT1_.kd
    .uniform_work_group_size: 1
    .uses_dynamic_stack: false
    .vgpr_count:     0
    .vgpr_spill_count: 0
    .wavefront_size: 64
  - .agpr_count:     0
    .args:
      - .offset:         0
        .size:           40
        .value_kind:     by_value
    .group_segment_fixed_size: 0
    .kernarg_segment_align: 8
    .kernarg_segment_size: 40
    .language:       OpenCL C
    .language_version:
      - 2
      - 0
    .max_flat_workgroup_size: 256
    .name:           _ZN7rocprim17ROCPRIM_400000_NS6detail17trampoline_kernelINS0_14default_configENS1_20scan_config_selectorIsEEZZNS1_9scan_implILNS1_25lookback_scan_determinismE0ELb0ELb0ES3_N6thrust23THRUST_200600_302600_NS6detail15normal_iteratorINS9_10device_ptrIsEEEENS9_16discard_iteratorINS9_11use_defaultEEEs11max_functorIsEsEEDaPvRmT3_T4_T5_mT6_P12ihipStream_tbENKUlT_T0_E_clISt17integral_constantIbLb0EESW_IbLb1EEEEDaSS_ST_EUlSS_E0_NS1_11comp_targetILNS1_3genE2ELNS1_11target_archE906ELNS1_3gpuE6ELNS1_3repE0EEENS1_30default_config_static_selectorELNS0_4arch9wavefront6targetE1EEEvT1_
    .private_segment_fixed_size: 0
    .sgpr_count:     4
    .sgpr_spill_count: 0
    .symbol:         _ZN7rocprim17ROCPRIM_400000_NS6detail17trampoline_kernelINS0_14default_configENS1_20scan_config_selectorIsEEZZNS1_9scan_implILNS1_25lookback_scan_determinismE0ELb0ELb0ES3_N6thrust23THRUST_200600_302600_NS6detail15normal_iteratorINS9_10device_ptrIsEEEENS9_16discard_iteratorINS9_11use_defaultEEEs11max_functorIsEsEEDaPvRmT3_T4_T5_mT6_P12ihipStream_tbENKUlT_T0_E_clISt17integral_constantIbLb0EESW_IbLb1EEEEDaSS_ST_EUlSS_E0_NS1_11comp_targetILNS1_3genE2ELNS1_11target_archE906ELNS1_3gpuE6ELNS1_3repE0EEENS1_30default_config_static_selectorELNS0_4arch9wavefront6targetE1EEEvT1_.kd
    .uniform_work_group_size: 1
    .uses_dynamic_stack: false
    .vgpr_count:     0
    .vgpr_spill_count: 0
    .wavefront_size: 64
  - .agpr_count:     0
    .args:
      - .offset:         0
        .size:           40
        .value_kind:     by_value
    .group_segment_fixed_size: 0
    .kernarg_segment_align: 8
    .kernarg_segment_size: 40
    .language:       OpenCL C
    .language_version:
      - 2
      - 0
    .max_flat_workgroup_size: 256
    .name:           _ZN7rocprim17ROCPRIM_400000_NS6detail17trampoline_kernelINS0_14default_configENS1_20scan_config_selectorIsEEZZNS1_9scan_implILNS1_25lookback_scan_determinismE0ELb0ELb0ES3_N6thrust23THRUST_200600_302600_NS6detail15normal_iteratorINS9_10device_ptrIsEEEENS9_16discard_iteratorINS9_11use_defaultEEEs11max_functorIsEsEEDaPvRmT3_T4_T5_mT6_P12ihipStream_tbENKUlT_T0_E_clISt17integral_constantIbLb0EESW_IbLb1EEEEDaSS_ST_EUlSS_E0_NS1_11comp_targetILNS1_3genE10ELNS1_11target_archE1201ELNS1_3gpuE5ELNS1_3repE0EEENS1_30default_config_static_selectorELNS0_4arch9wavefront6targetE1EEEvT1_
    .private_segment_fixed_size: 0
    .sgpr_count:     4
    .sgpr_spill_count: 0
    .symbol:         _ZN7rocprim17ROCPRIM_400000_NS6detail17trampoline_kernelINS0_14default_configENS1_20scan_config_selectorIsEEZZNS1_9scan_implILNS1_25lookback_scan_determinismE0ELb0ELb0ES3_N6thrust23THRUST_200600_302600_NS6detail15normal_iteratorINS9_10device_ptrIsEEEENS9_16discard_iteratorINS9_11use_defaultEEEs11max_functorIsEsEEDaPvRmT3_T4_T5_mT6_P12ihipStream_tbENKUlT_T0_E_clISt17integral_constantIbLb0EESW_IbLb1EEEEDaSS_ST_EUlSS_E0_NS1_11comp_targetILNS1_3genE10ELNS1_11target_archE1201ELNS1_3gpuE5ELNS1_3repE0EEENS1_30default_config_static_selectorELNS0_4arch9wavefront6targetE1EEEvT1_.kd
    .uniform_work_group_size: 1
    .uses_dynamic_stack: false
    .vgpr_count:     0
    .vgpr_spill_count: 0
    .wavefront_size: 64
  - .agpr_count:     0
    .args:
      - .offset:         0
        .size:           40
        .value_kind:     by_value
    .group_segment_fixed_size: 0
    .kernarg_segment_align: 8
    .kernarg_segment_size: 40
    .language:       OpenCL C
    .language_version:
      - 2
      - 0
    .max_flat_workgroup_size: 256
    .name:           _ZN7rocprim17ROCPRIM_400000_NS6detail17trampoline_kernelINS0_14default_configENS1_20scan_config_selectorIsEEZZNS1_9scan_implILNS1_25lookback_scan_determinismE0ELb0ELb0ES3_N6thrust23THRUST_200600_302600_NS6detail15normal_iteratorINS9_10device_ptrIsEEEENS9_16discard_iteratorINS9_11use_defaultEEEs11max_functorIsEsEEDaPvRmT3_T4_T5_mT6_P12ihipStream_tbENKUlT_T0_E_clISt17integral_constantIbLb0EESW_IbLb1EEEEDaSS_ST_EUlSS_E0_NS1_11comp_targetILNS1_3genE10ELNS1_11target_archE1200ELNS1_3gpuE4ELNS1_3repE0EEENS1_30default_config_static_selectorELNS0_4arch9wavefront6targetE1EEEvT1_
    .private_segment_fixed_size: 0
    .sgpr_count:     4
    .sgpr_spill_count: 0
    .symbol:         _ZN7rocprim17ROCPRIM_400000_NS6detail17trampoline_kernelINS0_14default_configENS1_20scan_config_selectorIsEEZZNS1_9scan_implILNS1_25lookback_scan_determinismE0ELb0ELb0ES3_N6thrust23THRUST_200600_302600_NS6detail15normal_iteratorINS9_10device_ptrIsEEEENS9_16discard_iteratorINS9_11use_defaultEEEs11max_functorIsEsEEDaPvRmT3_T4_T5_mT6_P12ihipStream_tbENKUlT_T0_E_clISt17integral_constantIbLb0EESW_IbLb1EEEEDaSS_ST_EUlSS_E0_NS1_11comp_targetILNS1_3genE10ELNS1_11target_archE1200ELNS1_3gpuE4ELNS1_3repE0EEENS1_30default_config_static_selectorELNS0_4arch9wavefront6targetE1EEEvT1_.kd
    .uniform_work_group_size: 1
    .uses_dynamic_stack: false
    .vgpr_count:     0
    .vgpr_spill_count: 0
    .wavefront_size: 64
  - .agpr_count:     0
    .args:
      - .offset:         0
        .size:           40
        .value_kind:     by_value
    .group_segment_fixed_size: 0
    .kernarg_segment_align: 8
    .kernarg_segment_size: 40
    .language:       OpenCL C
    .language_version:
      - 2
      - 0
    .max_flat_workgroup_size: 64
    .name:           _ZN7rocprim17ROCPRIM_400000_NS6detail17trampoline_kernelINS0_14default_configENS1_20scan_config_selectorIsEEZZNS1_9scan_implILNS1_25lookback_scan_determinismE0ELb0ELb0ES3_N6thrust23THRUST_200600_302600_NS6detail15normal_iteratorINS9_10device_ptrIsEEEENS9_16discard_iteratorINS9_11use_defaultEEEs11max_functorIsEsEEDaPvRmT3_T4_T5_mT6_P12ihipStream_tbENKUlT_T0_E_clISt17integral_constantIbLb0EESW_IbLb1EEEEDaSS_ST_EUlSS_E0_NS1_11comp_targetILNS1_3genE9ELNS1_11target_archE1100ELNS1_3gpuE3ELNS1_3repE0EEENS1_30default_config_static_selectorELNS0_4arch9wavefront6targetE1EEEvT1_
    .private_segment_fixed_size: 0
    .sgpr_count:     4
    .sgpr_spill_count: 0
    .symbol:         _ZN7rocprim17ROCPRIM_400000_NS6detail17trampoline_kernelINS0_14default_configENS1_20scan_config_selectorIsEEZZNS1_9scan_implILNS1_25lookback_scan_determinismE0ELb0ELb0ES3_N6thrust23THRUST_200600_302600_NS6detail15normal_iteratorINS9_10device_ptrIsEEEENS9_16discard_iteratorINS9_11use_defaultEEEs11max_functorIsEsEEDaPvRmT3_T4_T5_mT6_P12ihipStream_tbENKUlT_T0_E_clISt17integral_constantIbLb0EESW_IbLb1EEEEDaSS_ST_EUlSS_E0_NS1_11comp_targetILNS1_3genE9ELNS1_11target_archE1100ELNS1_3gpuE3ELNS1_3repE0EEENS1_30default_config_static_selectorELNS0_4arch9wavefront6targetE1EEEvT1_.kd
    .uniform_work_group_size: 1
    .uses_dynamic_stack: false
    .vgpr_count:     0
    .vgpr_spill_count: 0
    .wavefront_size: 64
  - .agpr_count:     0
    .args:
      - .offset:         0
        .size:           40
        .value_kind:     by_value
    .group_segment_fixed_size: 0
    .kernarg_segment_align: 8
    .kernarg_segment_size: 40
    .language:       OpenCL C
    .language_version:
      - 2
      - 0
    .max_flat_workgroup_size: 64
    .name:           _ZN7rocprim17ROCPRIM_400000_NS6detail17trampoline_kernelINS0_14default_configENS1_20scan_config_selectorIsEEZZNS1_9scan_implILNS1_25lookback_scan_determinismE0ELb0ELb0ES3_N6thrust23THRUST_200600_302600_NS6detail15normal_iteratorINS9_10device_ptrIsEEEENS9_16discard_iteratorINS9_11use_defaultEEEs11max_functorIsEsEEDaPvRmT3_T4_T5_mT6_P12ihipStream_tbENKUlT_T0_E_clISt17integral_constantIbLb0EESW_IbLb1EEEEDaSS_ST_EUlSS_E0_NS1_11comp_targetILNS1_3genE8ELNS1_11target_archE1030ELNS1_3gpuE2ELNS1_3repE0EEENS1_30default_config_static_selectorELNS0_4arch9wavefront6targetE1EEEvT1_
    .private_segment_fixed_size: 0
    .sgpr_count:     4
    .sgpr_spill_count: 0
    .symbol:         _ZN7rocprim17ROCPRIM_400000_NS6detail17trampoline_kernelINS0_14default_configENS1_20scan_config_selectorIsEEZZNS1_9scan_implILNS1_25lookback_scan_determinismE0ELb0ELb0ES3_N6thrust23THRUST_200600_302600_NS6detail15normal_iteratorINS9_10device_ptrIsEEEENS9_16discard_iteratorINS9_11use_defaultEEEs11max_functorIsEsEEDaPvRmT3_T4_T5_mT6_P12ihipStream_tbENKUlT_T0_E_clISt17integral_constantIbLb0EESW_IbLb1EEEEDaSS_ST_EUlSS_E0_NS1_11comp_targetILNS1_3genE8ELNS1_11target_archE1030ELNS1_3gpuE2ELNS1_3repE0EEENS1_30default_config_static_selectorELNS0_4arch9wavefront6targetE1EEEvT1_.kd
    .uniform_work_group_size: 1
    .uses_dynamic_stack: false
    .vgpr_count:     0
    .vgpr_spill_count: 0
    .wavefront_size: 64
  - .agpr_count:     0
    .args:
      - .offset:         0
        .size:           104
        .value_kind:     by_value
    .group_segment_fixed_size: 0
    .kernarg_segment_align: 8
    .kernarg_segment_size: 104
    .language:       OpenCL C
    .language_version:
      - 2
      - 0
    .max_flat_workgroup_size: 128
    .name:           _ZN7rocprim17ROCPRIM_400000_NS6detail17trampoline_kernelINS0_14default_configENS1_20scan_config_selectorIsEEZZNS1_9scan_implILNS1_25lookback_scan_determinismE0ELb1ELb1ES3_N6thrust23THRUST_200600_302600_NS6detail15normal_iteratorINS9_10device_ptrIsEEEENS9_16discard_iteratorINS9_11use_defaultEEEs11max_functorIsEsEEDaPvRmT3_T4_T5_mT6_P12ihipStream_tbENKUlT_T0_E_clISt17integral_constantIbLb0EESX_EEDaSS_ST_EUlSS_E_NS1_11comp_targetILNS1_3genE0ELNS1_11target_archE4294967295ELNS1_3gpuE0ELNS1_3repE0EEENS1_30default_config_static_selectorELNS0_4arch9wavefront6targetE1EEEvT1_
    .private_segment_fixed_size: 0
    .sgpr_count:     4
    .sgpr_spill_count: 0
    .symbol:         _ZN7rocprim17ROCPRIM_400000_NS6detail17trampoline_kernelINS0_14default_configENS1_20scan_config_selectorIsEEZZNS1_9scan_implILNS1_25lookback_scan_determinismE0ELb1ELb1ES3_N6thrust23THRUST_200600_302600_NS6detail15normal_iteratorINS9_10device_ptrIsEEEENS9_16discard_iteratorINS9_11use_defaultEEEs11max_functorIsEsEEDaPvRmT3_T4_T5_mT6_P12ihipStream_tbENKUlT_T0_E_clISt17integral_constantIbLb0EESX_EEDaSS_ST_EUlSS_E_NS1_11comp_targetILNS1_3genE0ELNS1_11target_archE4294967295ELNS1_3gpuE0ELNS1_3repE0EEENS1_30default_config_static_selectorELNS0_4arch9wavefront6targetE1EEEvT1_.kd
    .uniform_work_group_size: 1
    .uses_dynamic_stack: false
    .vgpr_count:     0
    .vgpr_spill_count: 0
    .wavefront_size: 64
  - .agpr_count:     0
    .args:
      - .offset:         0
        .size:           104
        .value_kind:     by_value
    .group_segment_fixed_size: 0
    .kernarg_segment_align: 8
    .kernarg_segment_size: 104
    .language:       OpenCL C
    .language_version:
      - 2
      - 0
    .max_flat_workgroup_size: 256
    .name:           _ZN7rocprim17ROCPRIM_400000_NS6detail17trampoline_kernelINS0_14default_configENS1_20scan_config_selectorIsEEZZNS1_9scan_implILNS1_25lookback_scan_determinismE0ELb1ELb1ES3_N6thrust23THRUST_200600_302600_NS6detail15normal_iteratorINS9_10device_ptrIsEEEENS9_16discard_iteratorINS9_11use_defaultEEEs11max_functorIsEsEEDaPvRmT3_T4_T5_mT6_P12ihipStream_tbENKUlT_T0_E_clISt17integral_constantIbLb0EESX_EEDaSS_ST_EUlSS_E_NS1_11comp_targetILNS1_3genE5ELNS1_11target_archE942ELNS1_3gpuE9ELNS1_3repE0EEENS1_30default_config_static_selectorELNS0_4arch9wavefront6targetE1EEEvT1_
    .private_segment_fixed_size: 0
    .sgpr_count:     4
    .sgpr_spill_count: 0
    .symbol:         _ZN7rocprim17ROCPRIM_400000_NS6detail17trampoline_kernelINS0_14default_configENS1_20scan_config_selectorIsEEZZNS1_9scan_implILNS1_25lookback_scan_determinismE0ELb1ELb1ES3_N6thrust23THRUST_200600_302600_NS6detail15normal_iteratorINS9_10device_ptrIsEEEENS9_16discard_iteratorINS9_11use_defaultEEEs11max_functorIsEsEEDaPvRmT3_T4_T5_mT6_P12ihipStream_tbENKUlT_T0_E_clISt17integral_constantIbLb0EESX_EEDaSS_ST_EUlSS_E_NS1_11comp_targetILNS1_3genE5ELNS1_11target_archE942ELNS1_3gpuE9ELNS1_3repE0EEENS1_30default_config_static_selectorELNS0_4arch9wavefront6targetE1EEEvT1_.kd
    .uniform_work_group_size: 1
    .uses_dynamic_stack: false
    .vgpr_count:     0
    .vgpr_spill_count: 0
    .wavefront_size: 64
  - .agpr_count:     0
    .args:
      - .offset:         0
        .size:           104
        .value_kind:     by_value
    .group_segment_fixed_size: 3072
    .kernarg_segment_align: 8
    .kernarg_segment_size: 104
    .language:       OpenCL C
    .language_version:
      - 2
      - 0
    .max_flat_workgroup_size: 64
    .name:           _ZN7rocprim17ROCPRIM_400000_NS6detail17trampoline_kernelINS0_14default_configENS1_20scan_config_selectorIsEEZZNS1_9scan_implILNS1_25lookback_scan_determinismE0ELb1ELb1ES3_N6thrust23THRUST_200600_302600_NS6detail15normal_iteratorINS9_10device_ptrIsEEEENS9_16discard_iteratorINS9_11use_defaultEEEs11max_functorIsEsEEDaPvRmT3_T4_T5_mT6_P12ihipStream_tbENKUlT_T0_E_clISt17integral_constantIbLb0EESX_EEDaSS_ST_EUlSS_E_NS1_11comp_targetILNS1_3genE4ELNS1_11target_archE910ELNS1_3gpuE8ELNS1_3repE0EEENS1_30default_config_static_selectorELNS0_4arch9wavefront6targetE1EEEvT1_
    .private_segment_fixed_size: 0
    .sgpr_count:     30
    .sgpr_spill_count: 0
    .symbol:         _ZN7rocprim17ROCPRIM_400000_NS6detail17trampoline_kernelINS0_14default_configENS1_20scan_config_selectorIsEEZZNS1_9scan_implILNS1_25lookback_scan_determinismE0ELb1ELb1ES3_N6thrust23THRUST_200600_302600_NS6detail15normal_iteratorINS9_10device_ptrIsEEEENS9_16discard_iteratorINS9_11use_defaultEEEs11max_functorIsEsEEDaPvRmT3_T4_T5_mT6_P12ihipStream_tbENKUlT_T0_E_clISt17integral_constantIbLb0EESX_EEDaSS_ST_EUlSS_E_NS1_11comp_targetILNS1_3genE4ELNS1_11target_archE910ELNS1_3gpuE8ELNS1_3repE0EEENS1_30default_config_static_selectorELNS0_4arch9wavefront6targetE1EEEvT1_.kd
    .uniform_work_group_size: 1
    .uses_dynamic_stack: false
    .vgpr_count:     57
    .vgpr_spill_count: 0
    .wavefront_size: 64
  - .agpr_count:     0
    .args:
      - .offset:         0
        .size:           104
        .value_kind:     by_value
    .group_segment_fixed_size: 0
    .kernarg_segment_align: 8
    .kernarg_segment_size: 104
    .language:       OpenCL C
    .language_version:
      - 2
      - 0
    .max_flat_workgroup_size: 128
    .name:           _ZN7rocprim17ROCPRIM_400000_NS6detail17trampoline_kernelINS0_14default_configENS1_20scan_config_selectorIsEEZZNS1_9scan_implILNS1_25lookback_scan_determinismE0ELb1ELb1ES3_N6thrust23THRUST_200600_302600_NS6detail15normal_iteratorINS9_10device_ptrIsEEEENS9_16discard_iteratorINS9_11use_defaultEEEs11max_functorIsEsEEDaPvRmT3_T4_T5_mT6_P12ihipStream_tbENKUlT_T0_E_clISt17integral_constantIbLb0EESX_EEDaSS_ST_EUlSS_E_NS1_11comp_targetILNS1_3genE3ELNS1_11target_archE908ELNS1_3gpuE7ELNS1_3repE0EEENS1_30default_config_static_selectorELNS0_4arch9wavefront6targetE1EEEvT1_
    .private_segment_fixed_size: 0
    .sgpr_count:     4
    .sgpr_spill_count: 0
    .symbol:         _ZN7rocprim17ROCPRIM_400000_NS6detail17trampoline_kernelINS0_14default_configENS1_20scan_config_selectorIsEEZZNS1_9scan_implILNS1_25lookback_scan_determinismE0ELb1ELb1ES3_N6thrust23THRUST_200600_302600_NS6detail15normal_iteratorINS9_10device_ptrIsEEEENS9_16discard_iteratorINS9_11use_defaultEEEs11max_functorIsEsEEDaPvRmT3_T4_T5_mT6_P12ihipStream_tbENKUlT_T0_E_clISt17integral_constantIbLb0EESX_EEDaSS_ST_EUlSS_E_NS1_11comp_targetILNS1_3genE3ELNS1_11target_archE908ELNS1_3gpuE7ELNS1_3repE0EEENS1_30default_config_static_selectorELNS0_4arch9wavefront6targetE1EEEvT1_.kd
    .uniform_work_group_size: 1
    .uses_dynamic_stack: false
    .vgpr_count:     0
    .vgpr_spill_count: 0
    .wavefront_size: 64
  - .agpr_count:     0
    .args:
      - .offset:         0
        .size:           104
        .value_kind:     by_value
    .group_segment_fixed_size: 0
    .kernarg_segment_align: 8
    .kernarg_segment_size: 104
    .language:       OpenCL C
    .language_version:
      - 2
      - 0
    .max_flat_workgroup_size: 256
    .name:           _ZN7rocprim17ROCPRIM_400000_NS6detail17trampoline_kernelINS0_14default_configENS1_20scan_config_selectorIsEEZZNS1_9scan_implILNS1_25lookback_scan_determinismE0ELb1ELb1ES3_N6thrust23THRUST_200600_302600_NS6detail15normal_iteratorINS9_10device_ptrIsEEEENS9_16discard_iteratorINS9_11use_defaultEEEs11max_functorIsEsEEDaPvRmT3_T4_T5_mT6_P12ihipStream_tbENKUlT_T0_E_clISt17integral_constantIbLb0EESX_EEDaSS_ST_EUlSS_E_NS1_11comp_targetILNS1_3genE2ELNS1_11target_archE906ELNS1_3gpuE6ELNS1_3repE0EEENS1_30default_config_static_selectorELNS0_4arch9wavefront6targetE1EEEvT1_
    .private_segment_fixed_size: 0
    .sgpr_count:     4
    .sgpr_spill_count: 0
    .symbol:         _ZN7rocprim17ROCPRIM_400000_NS6detail17trampoline_kernelINS0_14default_configENS1_20scan_config_selectorIsEEZZNS1_9scan_implILNS1_25lookback_scan_determinismE0ELb1ELb1ES3_N6thrust23THRUST_200600_302600_NS6detail15normal_iteratorINS9_10device_ptrIsEEEENS9_16discard_iteratorINS9_11use_defaultEEEs11max_functorIsEsEEDaPvRmT3_T4_T5_mT6_P12ihipStream_tbENKUlT_T0_E_clISt17integral_constantIbLb0EESX_EEDaSS_ST_EUlSS_E_NS1_11comp_targetILNS1_3genE2ELNS1_11target_archE906ELNS1_3gpuE6ELNS1_3repE0EEENS1_30default_config_static_selectorELNS0_4arch9wavefront6targetE1EEEvT1_.kd
    .uniform_work_group_size: 1
    .uses_dynamic_stack: false
    .vgpr_count:     0
    .vgpr_spill_count: 0
    .wavefront_size: 64
  - .agpr_count:     0
    .args:
      - .offset:         0
        .size:           104
        .value_kind:     by_value
    .group_segment_fixed_size: 0
    .kernarg_segment_align: 8
    .kernarg_segment_size: 104
    .language:       OpenCL C
    .language_version:
      - 2
      - 0
    .max_flat_workgroup_size: 256
    .name:           _ZN7rocprim17ROCPRIM_400000_NS6detail17trampoline_kernelINS0_14default_configENS1_20scan_config_selectorIsEEZZNS1_9scan_implILNS1_25lookback_scan_determinismE0ELb1ELb1ES3_N6thrust23THRUST_200600_302600_NS6detail15normal_iteratorINS9_10device_ptrIsEEEENS9_16discard_iteratorINS9_11use_defaultEEEs11max_functorIsEsEEDaPvRmT3_T4_T5_mT6_P12ihipStream_tbENKUlT_T0_E_clISt17integral_constantIbLb0EESX_EEDaSS_ST_EUlSS_E_NS1_11comp_targetILNS1_3genE10ELNS1_11target_archE1201ELNS1_3gpuE5ELNS1_3repE0EEENS1_30default_config_static_selectorELNS0_4arch9wavefront6targetE1EEEvT1_
    .private_segment_fixed_size: 0
    .sgpr_count:     4
    .sgpr_spill_count: 0
    .symbol:         _ZN7rocprim17ROCPRIM_400000_NS6detail17trampoline_kernelINS0_14default_configENS1_20scan_config_selectorIsEEZZNS1_9scan_implILNS1_25lookback_scan_determinismE0ELb1ELb1ES3_N6thrust23THRUST_200600_302600_NS6detail15normal_iteratorINS9_10device_ptrIsEEEENS9_16discard_iteratorINS9_11use_defaultEEEs11max_functorIsEsEEDaPvRmT3_T4_T5_mT6_P12ihipStream_tbENKUlT_T0_E_clISt17integral_constantIbLb0EESX_EEDaSS_ST_EUlSS_E_NS1_11comp_targetILNS1_3genE10ELNS1_11target_archE1201ELNS1_3gpuE5ELNS1_3repE0EEENS1_30default_config_static_selectorELNS0_4arch9wavefront6targetE1EEEvT1_.kd
    .uniform_work_group_size: 1
    .uses_dynamic_stack: false
    .vgpr_count:     0
    .vgpr_spill_count: 0
    .wavefront_size: 64
  - .agpr_count:     0
    .args:
      - .offset:         0
        .size:           104
        .value_kind:     by_value
    .group_segment_fixed_size: 0
    .kernarg_segment_align: 8
    .kernarg_segment_size: 104
    .language:       OpenCL C
    .language_version:
      - 2
      - 0
    .max_flat_workgroup_size: 256
    .name:           _ZN7rocprim17ROCPRIM_400000_NS6detail17trampoline_kernelINS0_14default_configENS1_20scan_config_selectorIsEEZZNS1_9scan_implILNS1_25lookback_scan_determinismE0ELb1ELb1ES3_N6thrust23THRUST_200600_302600_NS6detail15normal_iteratorINS9_10device_ptrIsEEEENS9_16discard_iteratorINS9_11use_defaultEEEs11max_functorIsEsEEDaPvRmT3_T4_T5_mT6_P12ihipStream_tbENKUlT_T0_E_clISt17integral_constantIbLb0EESX_EEDaSS_ST_EUlSS_E_NS1_11comp_targetILNS1_3genE10ELNS1_11target_archE1200ELNS1_3gpuE4ELNS1_3repE0EEENS1_30default_config_static_selectorELNS0_4arch9wavefront6targetE1EEEvT1_
    .private_segment_fixed_size: 0
    .sgpr_count:     4
    .sgpr_spill_count: 0
    .symbol:         _ZN7rocprim17ROCPRIM_400000_NS6detail17trampoline_kernelINS0_14default_configENS1_20scan_config_selectorIsEEZZNS1_9scan_implILNS1_25lookback_scan_determinismE0ELb1ELb1ES3_N6thrust23THRUST_200600_302600_NS6detail15normal_iteratorINS9_10device_ptrIsEEEENS9_16discard_iteratorINS9_11use_defaultEEEs11max_functorIsEsEEDaPvRmT3_T4_T5_mT6_P12ihipStream_tbENKUlT_T0_E_clISt17integral_constantIbLb0EESX_EEDaSS_ST_EUlSS_E_NS1_11comp_targetILNS1_3genE10ELNS1_11target_archE1200ELNS1_3gpuE4ELNS1_3repE0EEENS1_30default_config_static_selectorELNS0_4arch9wavefront6targetE1EEEvT1_.kd
    .uniform_work_group_size: 1
    .uses_dynamic_stack: false
    .vgpr_count:     0
    .vgpr_spill_count: 0
    .wavefront_size: 64
  - .agpr_count:     0
    .args:
      - .offset:         0
        .size:           104
        .value_kind:     by_value
    .group_segment_fixed_size: 0
    .kernarg_segment_align: 8
    .kernarg_segment_size: 104
    .language:       OpenCL C
    .language_version:
      - 2
      - 0
    .max_flat_workgroup_size: 64
    .name:           _ZN7rocprim17ROCPRIM_400000_NS6detail17trampoline_kernelINS0_14default_configENS1_20scan_config_selectorIsEEZZNS1_9scan_implILNS1_25lookback_scan_determinismE0ELb1ELb1ES3_N6thrust23THRUST_200600_302600_NS6detail15normal_iteratorINS9_10device_ptrIsEEEENS9_16discard_iteratorINS9_11use_defaultEEEs11max_functorIsEsEEDaPvRmT3_T4_T5_mT6_P12ihipStream_tbENKUlT_T0_E_clISt17integral_constantIbLb0EESX_EEDaSS_ST_EUlSS_E_NS1_11comp_targetILNS1_3genE9ELNS1_11target_archE1100ELNS1_3gpuE3ELNS1_3repE0EEENS1_30default_config_static_selectorELNS0_4arch9wavefront6targetE1EEEvT1_
    .private_segment_fixed_size: 0
    .sgpr_count:     4
    .sgpr_spill_count: 0
    .symbol:         _ZN7rocprim17ROCPRIM_400000_NS6detail17trampoline_kernelINS0_14default_configENS1_20scan_config_selectorIsEEZZNS1_9scan_implILNS1_25lookback_scan_determinismE0ELb1ELb1ES3_N6thrust23THRUST_200600_302600_NS6detail15normal_iteratorINS9_10device_ptrIsEEEENS9_16discard_iteratorINS9_11use_defaultEEEs11max_functorIsEsEEDaPvRmT3_T4_T5_mT6_P12ihipStream_tbENKUlT_T0_E_clISt17integral_constantIbLb0EESX_EEDaSS_ST_EUlSS_E_NS1_11comp_targetILNS1_3genE9ELNS1_11target_archE1100ELNS1_3gpuE3ELNS1_3repE0EEENS1_30default_config_static_selectorELNS0_4arch9wavefront6targetE1EEEvT1_.kd
    .uniform_work_group_size: 1
    .uses_dynamic_stack: false
    .vgpr_count:     0
    .vgpr_spill_count: 0
    .wavefront_size: 64
  - .agpr_count:     0
    .args:
      - .offset:         0
        .size:           104
        .value_kind:     by_value
    .group_segment_fixed_size: 0
    .kernarg_segment_align: 8
    .kernarg_segment_size: 104
    .language:       OpenCL C
    .language_version:
      - 2
      - 0
    .max_flat_workgroup_size: 64
    .name:           _ZN7rocprim17ROCPRIM_400000_NS6detail17trampoline_kernelINS0_14default_configENS1_20scan_config_selectorIsEEZZNS1_9scan_implILNS1_25lookback_scan_determinismE0ELb1ELb1ES3_N6thrust23THRUST_200600_302600_NS6detail15normal_iteratorINS9_10device_ptrIsEEEENS9_16discard_iteratorINS9_11use_defaultEEEs11max_functorIsEsEEDaPvRmT3_T4_T5_mT6_P12ihipStream_tbENKUlT_T0_E_clISt17integral_constantIbLb0EESX_EEDaSS_ST_EUlSS_E_NS1_11comp_targetILNS1_3genE8ELNS1_11target_archE1030ELNS1_3gpuE2ELNS1_3repE0EEENS1_30default_config_static_selectorELNS0_4arch9wavefront6targetE1EEEvT1_
    .private_segment_fixed_size: 0
    .sgpr_count:     4
    .sgpr_spill_count: 0
    .symbol:         _ZN7rocprim17ROCPRIM_400000_NS6detail17trampoline_kernelINS0_14default_configENS1_20scan_config_selectorIsEEZZNS1_9scan_implILNS1_25lookback_scan_determinismE0ELb1ELb1ES3_N6thrust23THRUST_200600_302600_NS6detail15normal_iteratorINS9_10device_ptrIsEEEENS9_16discard_iteratorINS9_11use_defaultEEEs11max_functorIsEsEEDaPvRmT3_T4_T5_mT6_P12ihipStream_tbENKUlT_T0_E_clISt17integral_constantIbLb0EESX_EEDaSS_ST_EUlSS_E_NS1_11comp_targetILNS1_3genE8ELNS1_11target_archE1030ELNS1_3gpuE2ELNS1_3repE0EEENS1_30default_config_static_selectorELNS0_4arch9wavefront6targetE1EEEvT1_.kd
    .uniform_work_group_size: 1
    .uses_dynamic_stack: false
    .vgpr_count:     0
    .vgpr_spill_count: 0
    .wavefront_size: 64
  - .agpr_count:     0
    .args:
      - .offset:         0
        .size:           40
        .value_kind:     by_value
    .group_segment_fixed_size: 0
    .kernarg_segment_align: 8
    .kernarg_segment_size: 40
    .language:       OpenCL C
    .language_version:
      - 2
      - 0
    .max_flat_workgroup_size: 128
    .name:           _ZN7rocprim17ROCPRIM_400000_NS6detail17trampoline_kernelINS0_14default_configENS1_20scan_config_selectorIsEEZZNS1_9scan_implILNS1_25lookback_scan_determinismE0ELb1ELb1ES3_N6thrust23THRUST_200600_302600_NS6detail15normal_iteratorINS9_10device_ptrIsEEEENS9_16discard_iteratorINS9_11use_defaultEEEs11max_functorIsEsEEDaPvRmT3_T4_T5_mT6_P12ihipStream_tbENKUlT_T0_E_clISt17integral_constantIbLb0EESX_EEDaSS_ST_EUlSS_E0_NS1_11comp_targetILNS1_3genE0ELNS1_11target_archE4294967295ELNS1_3gpuE0ELNS1_3repE0EEENS1_30default_config_static_selectorELNS0_4arch9wavefront6targetE1EEEvT1_
    .private_segment_fixed_size: 0
    .sgpr_count:     4
    .sgpr_spill_count: 0
    .symbol:         _ZN7rocprim17ROCPRIM_400000_NS6detail17trampoline_kernelINS0_14default_configENS1_20scan_config_selectorIsEEZZNS1_9scan_implILNS1_25lookback_scan_determinismE0ELb1ELb1ES3_N6thrust23THRUST_200600_302600_NS6detail15normal_iteratorINS9_10device_ptrIsEEEENS9_16discard_iteratorINS9_11use_defaultEEEs11max_functorIsEsEEDaPvRmT3_T4_T5_mT6_P12ihipStream_tbENKUlT_T0_E_clISt17integral_constantIbLb0EESX_EEDaSS_ST_EUlSS_E0_NS1_11comp_targetILNS1_3genE0ELNS1_11target_archE4294967295ELNS1_3gpuE0ELNS1_3repE0EEENS1_30default_config_static_selectorELNS0_4arch9wavefront6targetE1EEEvT1_.kd
    .uniform_work_group_size: 1
    .uses_dynamic_stack: false
    .vgpr_count:     0
    .vgpr_spill_count: 0
    .wavefront_size: 64
  - .agpr_count:     0
    .args:
      - .offset:         0
        .size:           40
        .value_kind:     by_value
    .group_segment_fixed_size: 0
    .kernarg_segment_align: 8
    .kernarg_segment_size: 40
    .language:       OpenCL C
    .language_version:
      - 2
      - 0
    .max_flat_workgroup_size: 256
    .name:           _ZN7rocprim17ROCPRIM_400000_NS6detail17trampoline_kernelINS0_14default_configENS1_20scan_config_selectorIsEEZZNS1_9scan_implILNS1_25lookback_scan_determinismE0ELb1ELb1ES3_N6thrust23THRUST_200600_302600_NS6detail15normal_iteratorINS9_10device_ptrIsEEEENS9_16discard_iteratorINS9_11use_defaultEEEs11max_functorIsEsEEDaPvRmT3_T4_T5_mT6_P12ihipStream_tbENKUlT_T0_E_clISt17integral_constantIbLb0EESX_EEDaSS_ST_EUlSS_E0_NS1_11comp_targetILNS1_3genE5ELNS1_11target_archE942ELNS1_3gpuE9ELNS1_3repE0EEENS1_30default_config_static_selectorELNS0_4arch9wavefront6targetE1EEEvT1_
    .private_segment_fixed_size: 0
    .sgpr_count:     4
    .sgpr_spill_count: 0
    .symbol:         _ZN7rocprim17ROCPRIM_400000_NS6detail17trampoline_kernelINS0_14default_configENS1_20scan_config_selectorIsEEZZNS1_9scan_implILNS1_25lookback_scan_determinismE0ELb1ELb1ES3_N6thrust23THRUST_200600_302600_NS6detail15normal_iteratorINS9_10device_ptrIsEEEENS9_16discard_iteratorINS9_11use_defaultEEEs11max_functorIsEsEEDaPvRmT3_T4_T5_mT6_P12ihipStream_tbENKUlT_T0_E_clISt17integral_constantIbLb0EESX_EEDaSS_ST_EUlSS_E0_NS1_11comp_targetILNS1_3genE5ELNS1_11target_archE942ELNS1_3gpuE9ELNS1_3repE0EEENS1_30default_config_static_selectorELNS0_4arch9wavefront6targetE1EEEvT1_.kd
    .uniform_work_group_size: 1
    .uses_dynamic_stack: false
    .vgpr_count:     0
    .vgpr_spill_count: 0
    .wavefront_size: 64
  - .agpr_count:     0
    .args:
      - .offset:         0
        .size:           40
        .value_kind:     by_value
    .group_segment_fixed_size: 3072
    .kernarg_segment_align: 8
    .kernarg_segment_size: 40
    .language:       OpenCL C
    .language_version:
      - 2
      - 0
    .max_flat_workgroup_size: 64
    .name:           _ZN7rocprim17ROCPRIM_400000_NS6detail17trampoline_kernelINS0_14default_configENS1_20scan_config_selectorIsEEZZNS1_9scan_implILNS1_25lookback_scan_determinismE0ELb1ELb1ES3_N6thrust23THRUST_200600_302600_NS6detail15normal_iteratorINS9_10device_ptrIsEEEENS9_16discard_iteratorINS9_11use_defaultEEEs11max_functorIsEsEEDaPvRmT3_T4_T5_mT6_P12ihipStream_tbENKUlT_T0_E_clISt17integral_constantIbLb0EESX_EEDaSS_ST_EUlSS_E0_NS1_11comp_targetILNS1_3genE4ELNS1_11target_archE910ELNS1_3gpuE8ELNS1_3repE0EEENS1_30default_config_static_selectorELNS0_4arch9wavefront6targetE1EEEvT1_
    .private_segment_fixed_size: 0
    .sgpr_count:     12
    .sgpr_spill_count: 0
    .symbol:         _ZN7rocprim17ROCPRIM_400000_NS6detail17trampoline_kernelINS0_14default_configENS1_20scan_config_selectorIsEEZZNS1_9scan_implILNS1_25lookback_scan_determinismE0ELb1ELb1ES3_N6thrust23THRUST_200600_302600_NS6detail15normal_iteratorINS9_10device_ptrIsEEEENS9_16discard_iteratorINS9_11use_defaultEEEs11max_functorIsEsEEDaPvRmT3_T4_T5_mT6_P12ihipStream_tbENKUlT_T0_E_clISt17integral_constantIbLb0EESX_EEDaSS_ST_EUlSS_E0_NS1_11comp_targetILNS1_3genE4ELNS1_11target_archE910ELNS1_3gpuE8ELNS1_3repE0EEENS1_30default_config_static_selectorELNS0_4arch9wavefront6targetE1EEEvT1_.kd
    .uniform_work_group_size: 1
    .uses_dynamic_stack: false
    .vgpr_count:     29
    .vgpr_spill_count: 0
    .wavefront_size: 64
  - .agpr_count:     0
    .args:
      - .offset:         0
        .size:           40
        .value_kind:     by_value
    .group_segment_fixed_size: 0
    .kernarg_segment_align: 8
    .kernarg_segment_size: 40
    .language:       OpenCL C
    .language_version:
      - 2
      - 0
    .max_flat_workgroup_size: 128
    .name:           _ZN7rocprim17ROCPRIM_400000_NS6detail17trampoline_kernelINS0_14default_configENS1_20scan_config_selectorIsEEZZNS1_9scan_implILNS1_25lookback_scan_determinismE0ELb1ELb1ES3_N6thrust23THRUST_200600_302600_NS6detail15normal_iteratorINS9_10device_ptrIsEEEENS9_16discard_iteratorINS9_11use_defaultEEEs11max_functorIsEsEEDaPvRmT3_T4_T5_mT6_P12ihipStream_tbENKUlT_T0_E_clISt17integral_constantIbLb0EESX_EEDaSS_ST_EUlSS_E0_NS1_11comp_targetILNS1_3genE3ELNS1_11target_archE908ELNS1_3gpuE7ELNS1_3repE0EEENS1_30default_config_static_selectorELNS0_4arch9wavefront6targetE1EEEvT1_
    .private_segment_fixed_size: 0
    .sgpr_count:     4
    .sgpr_spill_count: 0
    .symbol:         _ZN7rocprim17ROCPRIM_400000_NS6detail17trampoline_kernelINS0_14default_configENS1_20scan_config_selectorIsEEZZNS1_9scan_implILNS1_25lookback_scan_determinismE0ELb1ELb1ES3_N6thrust23THRUST_200600_302600_NS6detail15normal_iteratorINS9_10device_ptrIsEEEENS9_16discard_iteratorINS9_11use_defaultEEEs11max_functorIsEsEEDaPvRmT3_T4_T5_mT6_P12ihipStream_tbENKUlT_T0_E_clISt17integral_constantIbLb0EESX_EEDaSS_ST_EUlSS_E0_NS1_11comp_targetILNS1_3genE3ELNS1_11target_archE908ELNS1_3gpuE7ELNS1_3repE0EEENS1_30default_config_static_selectorELNS0_4arch9wavefront6targetE1EEEvT1_.kd
    .uniform_work_group_size: 1
    .uses_dynamic_stack: false
    .vgpr_count:     0
    .vgpr_spill_count: 0
    .wavefront_size: 64
  - .agpr_count:     0
    .args:
      - .offset:         0
        .size:           40
        .value_kind:     by_value
    .group_segment_fixed_size: 0
    .kernarg_segment_align: 8
    .kernarg_segment_size: 40
    .language:       OpenCL C
    .language_version:
      - 2
      - 0
    .max_flat_workgroup_size: 256
    .name:           _ZN7rocprim17ROCPRIM_400000_NS6detail17trampoline_kernelINS0_14default_configENS1_20scan_config_selectorIsEEZZNS1_9scan_implILNS1_25lookback_scan_determinismE0ELb1ELb1ES3_N6thrust23THRUST_200600_302600_NS6detail15normal_iteratorINS9_10device_ptrIsEEEENS9_16discard_iteratorINS9_11use_defaultEEEs11max_functorIsEsEEDaPvRmT3_T4_T5_mT6_P12ihipStream_tbENKUlT_T0_E_clISt17integral_constantIbLb0EESX_EEDaSS_ST_EUlSS_E0_NS1_11comp_targetILNS1_3genE2ELNS1_11target_archE906ELNS1_3gpuE6ELNS1_3repE0EEENS1_30default_config_static_selectorELNS0_4arch9wavefront6targetE1EEEvT1_
    .private_segment_fixed_size: 0
    .sgpr_count:     4
    .sgpr_spill_count: 0
    .symbol:         _ZN7rocprim17ROCPRIM_400000_NS6detail17trampoline_kernelINS0_14default_configENS1_20scan_config_selectorIsEEZZNS1_9scan_implILNS1_25lookback_scan_determinismE0ELb1ELb1ES3_N6thrust23THRUST_200600_302600_NS6detail15normal_iteratorINS9_10device_ptrIsEEEENS9_16discard_iteratorINS9_11use_defaultEEEs11max_functorIsEsEEDaPvRmT3_T4_T5_mT6_P12ihipStream_tbENKUlT_T0_E_clISt17integral_constantIbLb0EESX_EEDaSS_ST_EUlSS_E0_NS1_11comp_targetILNS1_3genE2ELNS1_11target_archE906ELNS1_3gpuE6ELNS1_3repE0EEENS1_30default_config_static_selectorELNS0_4arch9wavefront6targetE1EEEvT1_.kd
    .uniform_work_group_size: 1
    .uses_dynamic_stack: false
    .vgpr_count:     0
    .vgpr_spill_count: 0
    .wavefront_size: 64
  - .agpr_count:     0
    .args:
      - .offset:         0
        .size:           40
        .value_kind:     by_value
    .group_segment_fixed_size: 0
    .kernarg_segment_align: 8
    .kernarg_segment_size: 40
    .language:       OpenCL C
    .language_version:
      - 2
      - 0
    .max_flat_workgroup_size: 256
    .name:           _ZN7rocprim17ROCPRIM_400000_NS6detail17trampoline_kernelINS0_14default_configENS1_20scan_config_selectorIsEEZZNS1_9scan_implILNS1_25lookback_scan_determinismE0ELb1ELb1ES3_N6thrust23THRUST_200600_302600_NS6detail15normal_iteratorINS9_10device_ptrIsEEEENS9_16discard_iteratorINS9_11use_defaultEEEs11max_functorIsEsEEDaPvRmT3_T4_T5_mT6_P12ihipStream_tbENKUlT_T0_E_clISt17integral_constantIbLb0EESX_EEDaSS_ST_EUlSS_E0_NS1_11comp_targetILNS1_3genE10ELNS1_11target_archE1201ELNS1_3gpuE5ELNS1_3repE0EEENS1_30default_config_static_selectorELNS0_4arch9wavefront6targetE1EEEvT1_
    .private_segment_fixed_size: 0
    .sgpr_count:     4
    .sgpr_spill_count: 0
    .symbol:         _ZN7rocprim17ROCPRIM_400000_NS6detail17trampoline_kernelINS0_14default_configENS1_20scan_config_selectorIsEEZZNS1_9scan_implILNS1_25lookback_scan_determinismE0ELb1ELb1ES3_N6thrust23THRUST_200600_302600_NS6detail15normal_iteratorINS9_10device_ptrIsEEEENS9_16discard_iteratorINS9_11use_defaultEEEs11max_functorIsEsEEDaPvRmT3_T4_T5_mT6_P12ihipStream_tbENKUlT_T0_E_clISt17integral_constantIbLb0EESX_EEDaSS_ST_EUlSS_E0_NS1_11comp_targetILNS1_3genE10ELNS1_11target_archE1201ELNS1_3gpuE5ELNS1_3repE0EEENS1_30default_config_static_selectorELNS0_4arch9wavefront6targetE1EEEvT1_.kd
    .uniform_work_group_size: 1
    .uses_dynamic_stack: false
    .vgpr_count:     0
    .vgpr_spill_count: 0
    .wavefront_size: 64
  - .agpr_count:     0
    .args:
      - .offset:         0
        .size:           40
        .value_kind:     by_value
    .group_segment_fixed_size: 0
    .kernarg_segment_align: 8
    .kernarg_segment_size: 40
    .language:       OpenCL C
    .language_version:
      - 2
      - 0
    .max_flat_workgroup_size: 256
    .name:           _ZN7rocprim17ROCPRIM_400000_NS6detail17trampoline_kernelINS0_14default_configENS1_20scan_config_selectorIsEEZZNS1_9scan_implILNS1_25lookback_scan_determinismE0ELb1ELb1ES3_N6thrust23THRUST_200600_302600_NS6detail15normal_iteratorINS9_10device_ptrIsEEEENS9_16discard_iteratorINS9_11use_defaultEEEs11max_functorIsEsEEDaPvRmT3_T4_T5_mT6_P12ihipStream_tbENKUlT_T0_E_clISt17integral_constantIbLb0EESX_EEDaSS_ST_EUlSS_E0_NS1_11comp_targetILNS1_3genE10ELNS1_11target_archE1200ELNS1_3gpuE4ELNS1_3repE0EEENS1_30default_config_static_selectorELNS0_4arch9wavefront6targetE1EEEvT1_
    .private_segment_fixed_size: 0
    .sgpr_count:     4
    .sgpr_spill_count: 0
    .symbol:         _ZN7rocprim17ROCPRIM_400000_NS6detail17trampoline_kernelINS0_14default_configENS1_20scan_config_selectorIsEEZZNS1_9scan_implILNS1_25lookback_scan_determinismE0ELb1ELb1ES3_N6thrust23THRUST_200600_302600_NS6detail15normal_iteratorINS9_10device_ptrIsEEEENS9_16discard_iteratorINS9_11use_defaultEEEs11max_functorIsEsEEDaPvRmT3_T4_T5_mT6_P12ihipStream_tbENKUlT_T0_E_clISt17integral_constantIbLb0EESX_EEDaSS_ST_EUlSS_E0_NS1_11comp_targetILNS1_3genE10ELNS1_11target_archE1200ELNS1_3gpuE4ELNS1_3repE0EEENS1_30default_config_static_selectorELNS0_4arch9wavefront6targetE1EEEvT1_.kd
    .uniform_work_group_size: 1
    .uses_dynamic_stack: false
    .vgpr_count:     0
    .vgpr_spill_count: 0
    .wavefront_size: 64
  - .agpr_count:     0
    .args:
      - .offset:         0
        .size:           40
        .value_kind:     by_value
    .group_segment_fixed_size: 0
    .kernarg_segment_align: 8
    .kernarg_segment_size: 40
    .language:       OpenCL C
    .language_version:
      - 2
      - 0
    .max_flat_workgroup_size: 64
    .name:           _ZN7rocprim17ROCPRIM_400000_NS6detail17trampoline_kernelINS0_14default_configENS1_20scan_config_selectorIsEEZZNS1_9scan_implILNS1_25lookback_scan_determinismE0ELb1ELb1ES3_N6thrust23THRUST_200600_302600_NS6detail15normal_iteratorINS9_10device_ptrIsEEEENS9_16discard_iteratorINS9_11use_defaultEEEs11max_functorIsEsEEDaPvRmT3_T4_T5_mT6_P12ihipStream_tbENKUlT_T0_E_clISt17integral_constantIbLb0EESX_EEDaSS_ST_EUlSS_E0_NS1_11comp_targetILNS1_3genE9ELNS1_11target_archE1100ELNS1_3gpuE3ELNS1_3repE0EEENS1_30default_config_static_selectorELNS0_4arch9wavefront6targetE1EEEvT1_
    .private_segment_fixed_size: 0
    .sgpr_count:     4
    .sgpr_spill_count: 0
    .symbol:         _ZN7rocprim17ROCPRIM_400000_NS6detail17trampoline_kernelINS0_14default_configENS1_20scan_config_selectorIsEEZZNS1_9scan_implILNS1_25lookback_scan_determinismE0ELb1ELb1ES3_N6thrust23THRUST_200600_302600_NS6detail15normal_iteratorINS9_10device_ptrIsEEEENS9_16discard_iteratorINS9_11use_defaultEEEs11max_functorIsEsEEDaPvRmT3_T4_T5_mT6_P12ihipStream_tbENKUlT_T0_E_clISt17integral_constantIbLb0EESX_EEDaSS_ST_EUlSS_E0_NS1_11comp_targetILNS1_3genE9ELNS1_11target_archE1100ELNS1_3gpuE3ELNS1_3repE0EEENS1_30default_config_static_selectorELNS0_4arch9wavefront6targetE1EEEvT1_.kd
    .uniform_work_group_size: 1
    .uses_dynamic_stack: false
    .vgpr_count:     0
    .vgpr_spill_count: 0
    .wavefront_size: 64
  - .agpr_count:     0
    .args:
      - .offset:         0
        .size:           40
        .value_kind:     by_value
    .group_segment_fixed_size: 0
    .kernarg_segment_align: 8
    .kernarg_segment_size: 40
    .language:       OpenCL C
    .language_version:
      - 2
      - 0
    .max_flat_workgroup_size: 64
    .name:           _ZN7rocprim17ROCPRIM_400000_NS6detail17trampoline_kernelINS0_14default_configENS1_20scan_config_selectorIsEEZZNS1_9scan_implILNS1_25lookback_scan_determinismE0ELb1ELb1ES3_N6thrust23THRUST_200600_302600_NS6detail15normal_iteratorINS9_10device_ptrIsEEEENS9_16discard_iteratorINS9_11use_defaultEEEs11max_functorIsEsEEDaPvRmT3_T4_T5_mT6_P12ihipStream_tbENKUlT_T0_E_clISt17integral_constantIbLb0EESX_EEDaSS_ST_EUlSS_E0_NS1_11comp_targetILNS1_3genE8ELNS1_11target_archE1030ELNS1_3gpuE2ELNS1_3repE0EEENS1_30default_config_static_selectorELNS0_4arch9wavefront6targetE1EEEvT1_
    .private_segment_fixed_size: 0
    .sgpr_count:     4
    .sgpr_spill_count: 0
    .symbol:         _ZN7rocprim17ROCPRIM_400000_NS6detail17trampoline_kernelINS0_14default_configENS1_20scan_config_selectorIsEEZZNS1_9scan_implILNS1_25lookback_scan_determinismE0ELb1ELb1ES3_N6thrust23THRUST_200600_302600_NS6detail15normal_iteratorINS9_10device_ptrIsEEEENS9_16discard_iteratorINS9_11use_defaultEEEs11max_functorIsEsEEDaPvRmT3_T4_T5_mT6_P12ihipStream_tbENKUlT_T0_E_clISt17integral_constantIbLb0EESX_EEDaSS_ST_EUlSS_E0_NS1_11comp_targetILNS1_3genE8ELNS1_11target_archE1030ELNS1_3gpuE2ELNS1_3repE0EEENS1_30default_config_static_selectorELNS0_4arch9wavefront6targetE1EEEvT1_.kd
    .uniform_work_group_size: 1
    .uses_dynamic_stack: false
    .vgpr_count:     0
    .vgpr_spill_count: 0
    .wavefront_size: 64
  - .agpr_count:     0
    .args:
      - .offset:         0
        .size:           104
        .value_kind:     by_value
    .group_segment_fixed_size: 0
    .kernarg_segment_align: 8
    .kernarg_segment_size: 104
    .language:       OpenCL C
    .language_version:
      - 2
      - 0
    .max_flat_workgroup_size: 128
    .name:           _ZN7rocprim17ROCPRIM_400000_NS6detail17trampoline_kernelINS0_14default_configENS1_20scan_config_selectorIsEEZZNS1_9scan_implILNS1_25lookback_scan_determinismE0ELb1ELb1ES3_N6thrust23THRUST_200600_302600_NS6detail15normal_iteratorINS9_10device_ptrIsEEEENS9_16discard_iteratorINS9_11use_defaultEEEs11max_functorIsEsEEDaPvRmT3_T4_T5_mT6_P12ihipStream_tbENKUlT_T0_E_clISt17integral_constantIbLb1EESX_EEDaSS_ST_EUlSS_E_NS1_11comp_targetILNS1_3genE0ELNS1_11target_archE4294967295ELNS1_3gpuE0ELNS1_3repE0EEENS1_30default_config_static_selectorELNS0_4arch9wavefront6targetE1EEEvT1_
    .private_segment_fixed_size: 0
    .sgpr_count:     4
    .sgpr_spill_count: 0
    .symbol:         _ZN7rocprim17ROCPRIM_400000_NS6detail17trampoline_kernelINS0_14default_configENS1_20scan_config_selectorIsEEZZNS1_9scan_implILNS1_25lookback_scan_determinismE0ELb1ELb1ES3_N6thrust23THRUST_200600_302600_NS6detail15normal_iteratorINS9_10device_ptrIsEEEENS9_16discard_iteratorINS9_11use_defaultEEEs11max_functorIsEsEEDaPvRmT3_T4_T5_mT6_P12ihipStream_tbENKUlT_T0_E_clISt17integral_constantIbLb1EESX_EEDaSS_ST_EUlSS_E_NS1_11comp_targetILNS1_3genE0ELNS1_11target_archE4294967295ELNS1_3gpuE0ELNS1_3repE0EEENS1_30default_config_static_selectorELNS0_4arch9wavefront6targetE1EEEvT1_.kd
    .uniform_work_group_size: 1
    .uses_dynamic_stack: false
    .vgpr_count:     0
    .vgpr_spill_count: 0
    .wavefront_size: 64
  - .agpr_count:     0
    .args:
      - .offset:         0
        .size:           104
        .value_kind:     by_value
    .group_segment_fixed_size: 0
    .kernarg_segment_align: 8
    .kernarg_segment_size: 104
    .language:       OpenCL C
    .language_version:
      - 2
      - 0
    .max_flat_workgroup_size: 256
    .name:           _ZN7rocprim17ROCPRIM_400000_NS6detail17trampoline_kernelINS0_14default_configENS1_20scan_config_selectorIsEEZZNS1_9scan_implILNS1_25lookback_scan_determinismE0ELb1ELb1ES3_N6thrust23THRUST_200600_302600_NS6detail15normal_iteratorINS9_10device_ptrIsEEEENS9_16discard_iteratorINS9_11use_defaultEEEs11max_functorIsEsEEDaPvRmT3_T4_T5_mT6_P12ihipStream_tbENKUlT_T0_E_clISt17integral_constantIbLb1EESX_EEDaSS_ST_EUlSS_E_NS1_11comp_targetILNS1_3genE5ELNS1_11target_archE942ELNS1_3gpuE9ELNS1_3repE0EEENS1_30default_config_static_selectorELNS0_4arch9wavefront6targetE1EEEvT1_
    .private_segment_fixed_size: 0
    .sgpr_count:     4
    .sgpr_spill_count: 0
    .symbol:         _ZN7rocprim17ROCPRIM_400000_NS6detail17trampoline_kernelINS0_14default_configENS1_20scan_config_selectorIsEEZZNS1_9scan_implILNS1_25lookback_scan_determinismE0ELb1ELb1ES3_N6thrust23THRUST_200600_302600_NS6detail15normal_iteratorINS9_10device_ptrIsEEEENS9_16discard_iteratorINS9_11use_defaultEEEs11max_functorIsEsEEDaPvRmT3_T4_T5_mT6_P12ihipStream_tbENKUlT_T0_E_clISt17integral_constantIbLb1EESX_EEDaSS_ST_EUlSS_E_NS1_11comp_targetILNS1_3genE5ELNS1_11target_archE942ELNS1_3gpuE9ELNS1_3repE0EEENS1_30default_config_static_selectorELNS0_4arch9wavefront6targetE1EEEvT1_.kd
    .uniform_work_group_size: 1
    .uses_dynamic_stack: false
    .vgpr_count:     0
    .vgpr_spill_count: 0
    .wavefront_size: 64
  - .agpr_count:     0
    .args:
      - .offset:         0
        .size:           104
        .value_kind:     by_value
    .group_segment_fixed_size: 3072
    .kernarg_segment_align: 8
    .kernarg_segment_size: 104
    .language:       OpenCL C
    .language_version:
      - 2
      - 0
    .max_flat_workgroup_size: 64
    .name:           _ZN7rocprim17ROCPRIM_400000_NS6detail17trampoline_kernelINS0_14default_configENS1_20scan_config_selectorIsEEZZNS1_9scan_implILNS1_25lookback_scan_determinismE0ELb1ELb1ES3_N6thrust23THRUST_200600_302600_NS6detail15normal_iteratorINS9_10device_ptrIsEEEENS9_16discard_iteratorINS9_11use_defaultEEEs11max_functorIsEsEEDaPvRmT3_T4_T5_mT6_P12ihipStream_tbENKUlT_T0_E_clISt17integral_constantIbLb1EESX_EEDaSS_ST_EUlSS_E_NS1_11comp_targetILNS1_3genE4ELNS1_11target_archE910ELNS1_3gpuE8ELNS1_3repE0EEENS1_30default_config_static_selectorELNS0_4arch9wavefront6targetE1EEEvT1_
    .private_segment_fixed_size: 0
    .sgpr_count:     36
    .sgpr_spill_count: 0
    .symbol:         _ZN7rocprim17ROCPRIM_400000_NS6detail17trampoline_kernelINS0_14default_configENS1_20scan_config_selectorIsEEZZNS1_9scan_implILNS1_25lookback_scan_determinismE0ELb1ELb1ES3_N6thrust23THRUST_200600_302600_NS6detail15normal_iteratorINS9_10device_ptrIsEEEENS9_16discard_iteratorINS9_11use_defaultEEEs11max_functorIsEsEEDaPvRmT3_T4_T5_mT6_P12ihipStream_tbENKUlT_T0_E_clISt17integral_constantIbLb1EESX_EEDaSS_ST_EUlSS_E_NS1_11comp_targetILNS1_3genE4ELNS1_11target_archE910ELNS1_3gpuE8ELNS1_3repE0EEENS1_30default_config_static_selectorELNS0_4arch9wavefront6targetE1EEEvT1_.kd
    .uniform_work_group_size: 1
    .uses_dynamic_stack: false
    .vgpr_count:     57
    .vgpr_spill_count: 0
    .wavefront_size: 64
  - .agpr_count:     0
    .args:
      - .offset:         0
        .size:           104
        .value_kind:     by_value
    .group_segment_fixed_size: 0
    .kernarg_segment_align: 8
    .kernarg_segment_size: 104
    .language:       OpenCL C
    .language_version:
      - 2
      - 0
    .max_flat_workgroup_size: 128
    .name:           _ZN7rocprim17ROCPRIM_400000_NS6detail17trampoline_kernelINS0_14default_configENS1_20scan_config_selectorIsEEZZNS1_9scan_implILNS1_25lookback_scan_determinismE0ELb1ELb1ES3_N6thrust23THRUST_200600_302600_NS6detail15normal_iteratorINS9_10device_ptrIsEEEENS9_16discard_iteratorINS9_11use_defaultEEEs11max_functorIsEsEEDaPvRmT3_T4_T5_mT6_P12ihipStream_tbENKUlT_T0_E_clISt17integral_constantIbLb1EESX_EEDaSS_ST_EUlSS_E_NS1_11comp_targetILNS1_3genE3ELNS1_11target_archE908ELNS1_3gpuE7ELNS1_3repE0EEENS1_30default_config_static_selectorELNS0_4arch9wavefront6targetE1EEEvT1_
    .private_segment_fixed_size: 0
    .sgpr_count:     4
    .sgpr_spill_count: 0
    .symbol:         _ZN7rocprim17ROCPRIM_400000_NS6detail17trampoline_kernelINS0_14default_configENS1_20scan_config_selectorIsEEZZNS1_9scan_implILNS1_25lookback_scan_determinismE0ELb1ELb1ES3_N6thrust23THRUST_200600_302600_NS6detail15normal_iteratorINS9_10device_ptrIsEEEENS9_16discard_iteratorINS9_11use_defaultEEEs11max_functorIsEsEEDaPvRmT3_T4_T5_mT6_P12ihipStream_tbENKUlT_T0_E_clISt17integral_constantIbLb1EESX_EEDaSS_ST_EUlSS_E_NS1_11comp_targetILNS1_3genE3ELNS1_11target_archE908ELNS1_3gpuE7ELNS1_3repE0EEENS1_30default_config_static_selectorELNS0_4arch9wavefront6targetE1EEEvT1_.kd
    .uniform_work_group_size: 1
    .uses_dynamic_stack: false
    .vgpr_count:     0
    .vgpr_spill_count: 0
    .wavefront_size: 64
  - .agpr_count:     0
    .args:
      - .offset:         0
        .size:           104
        .value_kind:     by_value
    .group_segment_fixed_size: 0
    .kernarg_segment_align: 8
    .kernarg_segment_size: 104
    .language:       OpenCL C
    .language_version:
      - 2
      - 0
    .max_flat_workgroup_size: 256
    .name:           _ZN7rocprim17ROCPRIM_400000_NS6detail17trampoline_kernelINS0_14default_configENS1_20scan_config_selectorIsEEZZNS1_9scan_implILNS1_25lookback_scan_determinismE0ELb1ELb1ES3_N6thrust23THRUST_200600_302600_NS6detail15normal_iteratorINS9_10device_ptrIsEEEENS9_16discard_iteratorINS9_11use_defaultEEEs11max_functorIsEsEEDaPvRmT3_T4_T5_mT6_P12ihipStream_tbENKUlT_T0_E_clISt17integral_constantIbLb1EESX_EEDaSS_ST_EUlSS_E_NS1_11comp_targetILNS1_3genE2ELNS1_11target_archE906ELNS1_3gpuE6ELNS1_3repE0EEENS1_30default_config_static_selectorELNS0_4arch9wavefront6targetE1EEEvT1_
    .private_segment_fixed_size: 0
    .sgpr_count:     4
    .sgpr_spill_count: 0
    .symbol:         _ZN7rocprim17ROCPRIM_400000_NS6detail17trampoline_kernelINS0_14default_configENS1_20scan_config_selectorIsEEZZNS1_9scan_implILNS1_25lookback_scan_determinismE0ELb1ELb1ES3_N6thrust23THRUST_200600_302600_NS6detail15normal_iteratorINS9_10device_ptrIsEEEENS9_16discard_iteratorINS9_11use_defaultEEEs11max_functorIsEsEEDaPvRmT3_T4_T5_mT6_P12ihipStream_tbENKUlT_T0_E_clISt17integral_constantIbLb1EESX_EEDaSS_ST_EUlSS_E_NS1_11comp_targetILNS1_3genE2ELNS1_11target_archE906ELNS1_3gpuE6ELNS1_3repE0EEENS1_30default_config_static_selectorELNS0_4arch9wavefront6targetE1EEEvT1_.kd
    .uniform_work_group_size: 1
    .uses_dynamic_stack: false
    .vgpr_count:     0
    .vgpr_spill_count: 0
    .wavefront_size: 64
  - .agpr_count:     0
    .args:
      - .offset:         0
        .size:           104
        .value_kind:     by_value
    .group_segment_fixed_size: 0
    .kernarg_segment_align: 8
    .kernarg_segment_size: 104
    .language:       OpenCL C
    .language_version:
      - 2
      - 0
    .max_flat_workgroup_size: 256
    .name:           _ZN7rocprim17ROCPRIM_400000_NS6detail17trampoline_kernelINS0_14default_configENS1_20scan_config_selectorIsEEZZNS1_9scan_implILNS1_25lookback_scan_determinismE0ELb1ELb1ES3_N6thrust23THRUST_200600_302600_NS6detail15normal_iteratorINS9_10device_ptrIsEEEENS9_16discard_iteratorINS9_11use_defaultEEEs11max_functorIsEsEEDaPvRmT3_T4_T5_mT6_P12ihipStream_tbENKUlT_T0_E_clISt17integral_constantIbLb1EESX_EEDaSS_ST_EUlSS_E_NS1_11comp_targetILNS1_3genE10ELNS1_11target_archE1201ELNS1_3gpuE5ELNS1_3repE0EEENS1_30default_config_static_selectorELNS0_4arch9wavefront6targetE1EEEvT1_
    .private_segment_fixed_size: 0
    .sgpr_count:     4
    .sgpr_spill_count: 0
    .symbol:         _ZN7rocprim17ROCPRIM_400000_NS6detail17trampoline_kernelINS0_14default_configENS1_20scan_config_selectorIsEEZZNS1_9scan_implILNS1_25lookback_scan_determinismE0ELb1ELb1ES3_N6thrust23THRUST_200600_302600_NS6detail15normal_iteratorINS9_10device_ptrIsEEEENS9_16discard_iteratorINS9_11use_defaultEEEs11max_functorIsEsEEDaPvRmT3_T4_T5_mT6_P12ihipStream_tbENKUlT_T0_E_clISt17integral_constantIbLb1EESX_EEDaSS_ST_EUlSS_E_NS1_11comp_targetILNS1_3genE10ELNS1_11target_archE1201ELNS1_3gpuE5ELNS1_3repE0EEENS1_30default_config_static_selectorELNS0_4arch9wavefront6targetE1EEEvT1_.kd
    .uniform_work_group_size: 1
    .uses_dynamic_stack: false
    .vgpr_count:     0
    .vgpr_spill_count: 0
    .wavefront_size: 64
  - .agpr_count:     0
    .args:
      - .offset:         0
        .size:           104
        .value_kind:     by_value
    .group_segment_fixed_size: 0
    .kernarg_segment_align: 8
    .kernarg_segment_size: 104
    .language:       OpenCL C
    .language_version:
      - 2
      - 0
    .max_flat_workgroup_size: 256
    .name:           _ZN7rocprim17ROCPRIM_400000_NS6detail17trampoline_kernelINS0_14default_configENS1_20scan_config_selectorIsEEZZNS1_9scan_implILNS1_25lookback_scan_determinismE0ELb1ELb1ES3_N6thrust23THRUST_200600_302600_NS6detail15normal_iteratorINS9_10device_ptrIsEEEENS9_16discard_iteratorINS9_11use_defaultEEEs11max_functorIsEsEEDaPvRmT3_T4_T5_mT6_P12ihipStream_tbENKUlT_T0_E_clISt17integral_constantIbLb1EESX_EEDaSS_ST_EUlSS_E_NS1_11comp_targetILNS1_3genE10ELNS1_11target_archE1200ELNS1_3gpuE4ELNS1_3repE0EEENS1_30default_config_static_selectorELNS0_4arch9wavefront6targetE1EEEvT1_
    .private_segment_fixed_size: 0
    .sgpr_count:     4
    .sgpr_spill_count: 0
    .symbol:         _ZN7rocprim17ROCPRIM_400000_NS6detail17trampoline_kernelINS0_14default_configENS1_20scan_config_selectorIsEEZZNS1_9scan_implILNS1_25lookback_scan_determinismE0ELb1ELb1ES3_N6thrust23THRUST_200600_302600_NS6detail15normal_iteratorINS9_10device_ptrIsEEEENS9_16discard_iteratorINS9_11use_defaultEEEs11max_functorIsEsEEDaPvRmT3_T4_T5_mT6_P12ihipStream_tbENKUlT_T0_E_clISt17integral_constantIbLb1EESX_EEDaSS_ST_EUlSS_E_NS1_11comp_targetILNS1_3genE10ELNS1_11target_archE1200ELNS1_3gpuE4ELNS1_3repE0EEENS1_30default_config_static_selectorELNS0_4arch9wavefront6targetE1EEEvT1_.kd
    .uniform_work_group_size: 1
    .uses_dynamic_stack: false
    .vgpr_count:     0
    .vgpr_spill_count: 0
    .wavefront_size: 64
  - .agpr_count:     0
    .args:
      - .offset:         0
        .size:           104
        .value_kind:     by_value
    .group_segment_fixed_size: 0
    .kernarg_segment_align: 8
    .kernarg_segment_size: 104
    .language:       OpenCL C
    .language_version:
      - 2
      - 0
    .max_flat_workgroup_size: 64
    .name:           _ZN7rocprim17ROCPRIM_400000_NS6detail17trampoline_kernelINS0_14default_configENS1_20scan_config_selectorIsEEZZNS1_9scan_implILNS1_25lookback_scan_determinismE0ELb1ELb1ES3_N6thrust23THRUST_200600_302600_NS6detail15normal_iteratorINS9_10device_ptrIsEEEENS9_16discard_iteratorINS9_11use_defaultEEEs11max_functorIsEsEEDaPvRmT3_T4_T5_mT6_P12ihipStream_tbENKUlT_T0_E_clISt17integral_constantIbLb1EESX_EEDaSS_ST_EUlSS_E_NS1_11comp_targetILNS1_3genE9ELNS1_11target_archE1100ELNS1_3gpuE3ELNS1_3repE0EEENS1_30default_config_static_selectorELNS0_4arch9wavefront6targetE1EEEvT1_
    .private_segment_fixed_size: 0
    .sgpr_count:     4
    .sgpr_spill_count: 0
    .symbol:         _ZN7rocprim17ROCPRIM_400000_NS6detail17trampoline_kernelINS0_14default_configENS1_20scan_config_selectorIsEEZZNS1_9scan_implILNS1_25lookback_scan_determinismE0ELb1ELb1ES3_N6thrust23THRUST_200600_302600_NS6detail15normal_iteratorINS9_10device_ptrIsEEEENS9_16discard_iteratorINS9_11use_defaultEEEs11max_functorIsEsEEDaPvRmT3_T4_T5_mT6_P12ihipStream_tbENKUlT_T0_E_clISt17integral_constantIbLb1EESX_EEDaSS_ST_EUlSS_E_NS1_11comp_targetILNS1_3genE9ELNS1_11target_archE1100ELNS1_3gpuE3ELNS1_3repE0EEENS1_30default_config_static_selectorELNS0_4arch9wavefront6targetE1EEEvT1_.kd
    .uniform_work_group_size: 1
    .uses_dynamic_stack: false
    .vgpr_count:     0
    .vgpr_spill_count: 0
    .wavefront_size: 64
  - .agpr_count:     0
    .args:
      - .offset:         0
        .size:           104
        .value_kind:     by_value
    .group_segment_fixed_size: 0
    .kernarg_segment_align: 8
    .kernarg_segment_size: 104
    .language:       OpenCL C
    .language_version:
      - 2
      - 0
    .max_flat_workgroup_size: 64
    .name:           _ZN7rocprim17ROCPRIM_400000_NS6detail17trampoline_kernelINS0_14default_configENS1_20scan_config_selectorIsEEZZNS1_9scan_implILNS1_25lookback_scan_determinismE0ELb1ELb1ES3_N6thrust23THRUST_200600_302600_NS6detail15normal_iteratorINS9_10device_ptrIsEEEENS9_16discard_iteratorINS9_11use_defaultEEEs11max_functorIsEsEEDaPvRmT3_T4_T5_mT6_P12ihipStream_tbENKUlT_T0_E_clISt17integral_constantIbLb1EESX_EEDaSS_ST_EUlSS_E_NS1_11comp_targetILNS1_3genE8ELNS1_11target_archE1030ELNS1_3gpuE2ELNS1_3repE0EEENS1_30default_config_static_selectorELNS0_4arch9wavefront6targetE1EEEvT1_
    .private_segment_fixed_size: 0
    .sgpr_count:     4
    .sgpr_spill_count: 0
    .symbol:         _ZN7rocprim17ROCPRIM_400000_NS6detail17trampoline_kernelINS0_14default_configENS1_20scan_config_selectorIsEEZZNS1_9scan_implILNS1_25lookback_scan_determinismE0ELb1ELb1ES3_N6thrust23THRUST_200600_302600_NS6detail15normal_iteratorINS9_10device_ptrIsEEEENS9_16discard_iteratorINS9_11use_defaultEEEs11max_functorIsEsEEDaPvRmT3_T4_T5_mT6_P12ihipStream_tbENKUlT_T0_E_clISt17integral_constantIbLb1EESX_EEDaSS_ST_EUlSS_E_NS1_11comp_targetILNS1_3genE8ELNS1_11target_archE1030ELNS1_3gpuE2ELNS1_3repE0EEENS1_30default_config_static_selectorELNS0_4arch9wavefront6targetE1EEEvT1_.kd
    .uniform_work_group_size: 1
    .uses_dynamic_stack: false
    .vgpr_count:     0
    .vgpr_spill_count: 0
    .wavefront_size: 64
  - .agpr_count:     0
    .args:
      - .offset:         0
        .size:           40
        .value_kind:     by_value
    .group_segment_fixed_size: 0
    .kernarg_segment_align: 8
    .kernarg_segment_size: 40
    .language:       OpenCL C
    .language_version:
      - 2
      - 0
    .max_flat_workgroup_size: 128
    .name:           _ZN7rocprim17ROCPRIM_400000_NS6detail17trampoline_kernelINS0_14default_configENS1_20scan_config_selectorIsEEZZNS1_9scan_implILNS1_25lookback_scan_determinismE0ELb1ELb1ES3_N6thrust23THRUST_200600_302600_NS6detail15normal_iteratorINS9_10device_ptrIsEEEENS9_16discard_iteratorINS9_11use_defaultEEEs11max_functorIsEsEEDaPvRmT3_T4_T5_mT6_P12ihipStream_tbENKUlT_T0_E_clISt17integral_constantIbLb1EESX_EEDaSS_ST_EUlSS_E0_NS1_11comp_targetILNS1_3genE0ELNS1_11target_archE4294967295ELNS1_3gpuE0ELNS1_3repE0EEENS1_30default_config_static_selectorELNS0_4arch9wavefront6targetE1EEEvT1_
    .private_segment_fixed_size: 0
    .sgpr_count:     4
    .sgpr_spill_count: 0
    .symbol:         _ZN7rocprim17ROCPRIM_400000_NS6detail17trampoline_kernelINS0_14default_configENS1_20scan_config_selectorIsEEZZNS1_9scan_implILNS1_25lookback_scan_determinismE0ELb1ELb1ES3_N6thrust23THRUST_200600_302600_NS6detail15normal_iteratorINS9_10device_ptrIsEEEENS9_16discard_iteratorINS9_11use_defaultEEEs11max_functorIsEsEEDaPvRmT3_T4_T5_mT6_P12ihipStream_tbENKUlT_T0_E_clISt17integral_constantIbLb1EESX_EEDaSS_ST_EUlSS_E0_NS1_11comp_targetILNS1_3genE0ELNS1_11target_archE4294967295ELNS1_3gpuE0ELNS1_3repE0EEENS1_30default_config_static_selectorELNS0_4arch9wavefront6targetE1EEEvT1_.kd
    .uniform_work_group_size: 1
    .uses_dynamic_stack: false
    .vgpr_count:     0
    .vgpr_spill_count: 0
    .wavefront_size: 64
  - .agpr_count:     0
    .args:
      - .offset:         0
        .size:           40
        .value_kind:     by_value
    .group_segment_fixed_size: 0
    .kernarg_segment_align: 8
    .kernarg_segment_size: 40
    .language:       OpenCL C
    .language_version:
      - 2
      - 0
    .max_flat_workgroup_size: 256
    .name:           _ZN7rocprim17ROCPRIM_400000_NS6detail17trampoline_kernelINS0_14default_configENS1_20scan_config_selectorIsEEZZNS1_9scan_implILNS1_25lookback_scan_determinismE0ELb1ELb1ES3_N6thrust23THRUST_200600_302600_NS6detail15normal_iteratorINS9_10device_ptrIsEEEENS9_16discard_iteratorINS9_11use_defaultEEEs11max_functorIsEsEEDaPvRmT3_T4_T5_mT6_P12ihipStream_tbENKUlT_T0_E_clISt17integral_constantIbLb1EESX_EEDaSS_ST_EUlSS_E0_NS1_11comp_targetILNS1_3genE5ELNS1_11target_archE942ELNS1_3gpuE9ELNS1_3repE0EEENS1_30default_config_static_selectorELNS0_4arch9wavefront6targetE1EEEvT1_
    .private_segment_fixed_size: 0
    .sgpr_count:     4
    .sgpr_spill_count: 0
    .symbol:         _ZN7rocprim17ROCPRIM_400000_NS6detail17trampoline_kernelINS0_14default_configENS1_20scan_config_selectorIsEEZZNS1_9scan_implILNS1_25lookback_scan_determinismE0ELb1ELb1ES3_N6thrust23THRUST_200600_302600_NS6detail15normal_iteratorINS9_10device_ptrIsEEEENS9_16discard_iteratorINS9_11use_defaultEEEs11max_functorIsEsEEDaPvRmT3_T4_T5_mT6_P12ihipStream_tbENKUlT_T0_E_clISt17integral_constantIbLb1EESX_EEDaSS_ST_EUlSS_E0_NS1_11comp_targetILNS1_3genE5ELNS1_11target_archE942ELNS1_3gpuE9ELNS1_3repE0EEENS1_30default_config_static_selectorELNS0_4arch9wavefront6targetE1EEEvT1_.kd
    .uniform_work_group_size: 1
    .uses_dynamic_stack: false
    .vgpr_count:     0
    .vgpr_spill_count: 0
    .wavefront_size: 64
  - .agpr_count:     0
    .args:
      - .offset:         0
        .size:           40
        .value_kind:     by_value
    .group_segment_fixed_size: 3072
    .kernarg_segment_align: 8
    .kernarg_segment_size: 40
    .language:       OpenCL C
    .language_version:
      - 2
      - 0
    .max_flat_workgroup_size: 64
    .name:           _ZN7rocprim17ROCPRIM_400000_NS6detail17trampoline_kernelINS0_14default_configENS1_20scan_config_selectorIsEEZZNS1_9scan_implILNS1_25lookback_scan_determinismE0ELb1ELb1ES3_N6thrust23THRUST_200600_302600_NS6detail15normal_iteratorINS9_10device_ptrIsEEEENS9_16discard_iteratorINS9_11use_defaultEEEs11max_functorIsEsEEDaPvRmT3_T4_T5_mT6_P12ihipStream_tbENKUlT_T0_E_clISt17integral_constantIbLb1EESX_EEDaSS_ST_EUlSS_E0_NS1_11comp_targetILNS1_3genE4ELNS1_11target_archE910ELNS1_3gpuE8ELNS1_3repE0EEENS1_30default_config_static_selectorELNS0_4arch9wavefront6targetE1EEEvT1_
    .private_segment_fixed_size: 0
    .sgpr_count:     12
    .sgpr_spill_count: 0
    .symbol:         _ZN7rocprim17ROCPRIM_400000_NS6detail17trampoline_kernelINS0_14default_configENS1_20scan_config_selectorIsEEZZNS1_9scan_implILNS1_25lookback_scan_determinismE0ELb1ELb1ES3_N6thrust23THRUST_200600_302600_NS6detail15normal_iteratorINS9_10device_ptrIsEEEENS9_16discard_iteratorINS9_11use_defaultEEEs11max_functorIsEsEEDaPvRmT3_T4_T5_mT6_P12ihipStream_tbENKUlT_T0_E_clISt17integral_constantIbLb1EESX_EEDaSS_ST_EUlSS_E0_NS1_11comp_targetILNS1_3genE4ELNS1_11target_archE910ELNS1_3gpuE8ELNS1_3repE0EEENS1_30default_config_static_selectorELNS0_4arch9wavefront6targetE1EEEvT1_.kd
    .uniform_work_group_size: 1
    .uses_dynamic_stack: false
    .vgpr_count:     29
    .vgpr_spill_count: 0
    .wavefront_size: 64
  - .agpr_count:     0
    .args:
      - .offset:         0
        .size:           40
        .value_kind:     by_value
    .group_segment_fixed_size: 0
    .kernarg_segment_align: 8
    .kernarg_segment_size: 40
    .language:       OpenCL C
    .language_version:
      - 2
      - 0
    .max_flat_workgroup_size: 128
    .name:           _ZN7rocprim17ROCPRIM_400000_NS6detail17trampoline_kernelINS0_14default_configENS1_20scan_config_selectorIsEEZZNS1_9scan_implILNS1_25lookback_scan_determinismE0ELb1ELb1ES3_N6thrust23THRUST_200600_302600_NS6detail15normal_iteratorINS9_10device_ptrIsEEEENS9_16discard_iteratorINS9_11use_defaultEEEs11max_functorIsEsEEDaPvRmT3_T4_T5_mT6_P12ihipStream_tbENKUlT_T0_E_clISt17integral_constantIbLb1EESX_EEDaSS_ST_EUlSS_E0_NS1_11comp_targetILNS1_3genE3ELNS1_11target_archE908ELNS1_3gpuE7ELNS1_3repE0EEENS1_30default_config_static_selectorELNS0_4arch9wavefront6targetE1EEEvT1_
    .private_segment_fixed_size: 0
    .sgpr_count:     4
    .sgpr_spill_count: 0
    .symbol:         _ZN7rocprim17ROCPRIM_400000_NS6detail17trampoline_kernelINS0_14default_configENS1_20scan_config_selectorIsEEZZNS1_9scan_implILNS1_25lookback_scan_determinismE0ELb1ELb1ES3_N6thrust23THRUST_200600_302600_NS6detail15normal_iteratorINS9_10device_ptrIsEEEENS9_16discard_iteratorINS9_11use_defaultEEEs11max_functorIsEsEEDaPvRmT3_T4_T5_mT6_P12ihipStream_tbENKUlT_T0_E_clISt17integral_constantIbLb1EESX_EEDaSS_ST_EUlSS_E0_NS1_11comp_targetILNS1_3genE3ELNS1_11target_archE908ELNS1_3gpuE7ELNS1_3repE0EEENS1_30default_config_static_selectorELNS0_4arch9wavefront6targetE1EEEvT1_.kd
    .uniform_work_group_size: 1
    .uses_dynamic_stack: false
    .vgpr_count:     0
    .vgpr_spill_count: 0
    .wavefront_size: 64
  - .agpr_count:     0
    .args:
      - .offset:         0
        .size:           40
        .value_kind:     by_value
    .group_segment_fixed_size: 0
    .kernarg_segment_align: 8
    .kernarg_segment_size: 40
    .language:       OpenCL C
    .language_version:
      - 2
      - 0
    .max_flat_workgroup_size: 256
    .name:           _ZN7rocprim17ROCPRIM_400000_NS6detail17trampoline_kernelINS0_14default_configENS1_20scan_config_selectorIsEEZZNS1_9scan_implILNS1_25lookback_scan_determinismE0ELb1ELb1ES3_N6thrust23THRUST_200600_302600_NS6detail15normal_iteratorINS9_10device_ptrIsEEEENS9_16discard_iteratorINS9_11use_defaultEEEs11max_functorIsEsEEDaPvRmT3_T4_T5_mT6_P12ihipStream_tbENKUlT_T0_E_clISt17integral_constantIbLb1EESX_EEDaSS_ST_EUlSS_E0_NS1_11comp_targetILNS1_3genE2ELNS1_11target_archE906ELNS1_3gpuE6ELNS1_3repE0EEENS1_30default_config_static_selectorELNS0_4arch9wavefront6targetE1EEEvT1_
    .private_segment_fixed_size: 0
    .sgpr_count:     4
    .sgpr_spill_count: 0
    .symbol:         _ZN7rocprim17ROCPRIM_400000_NS6detail17trampoline_kernelINS0_14default_configENS1_20scan_config_selectorIsEEZZNS1_9scan_implILNS1_25lookback_scan_determinismE0ELb1ELb1ES3_N6thrust23THRUST_200600_302600_NS6detail15normal_iteratorINS9_10device_ptrIsEEEENS9_16discard_iteratorINS9_11use_defaultEEEs11max_functorIsEsEEDaPvRmT3_T4_T5_mT6_P12ihipStream_tbENKUlT_T0_E_clISt17integral_constantIbLb1EESX_EEDaSS_ST_EUlSS_E0_NS1_11comp_targetILNS1_3genE2ELNS1_11target_archE906ELNS1_3gpuE6ELNS1_3repE0EEENS1_30default_config_static_selectorELNS0_4arch9wavefront6targetE1EEEvT1_.kd
    .uniform_work_group_size: 1
    .uses_dynamic_stack: false
    .vgpr_count:     0
    .vgpr_spill_count: 0
    .wavefront_size: 64
  - .agpr_count:     0
    .args:
      - .offset:         0
        .size:           40
        .value_kind:     by_value
    .group_segment_fixed_size: 0
    .kernarg_segment_align: 8
    .kernarg_segment_size: 40
    .language:       OpenCL C
    .language_version:
      - 2
      - 0
    .max_flat_workgroup_size: 256
    .name:           _ZN7rocprim17ROCPRIM_400000_NS6detail17trampoline_kernelINS0_14default_configENS1_20scan_config_selectorIsEEZZNS1_9scan_implILNS1_25lookback_scan_determinismE0ELb1ELb1ES3_N6thrust23THRUST_200600_302600_NS6detail15normal_iteratorINS9_10device_ptrIsEEEENS9_16discard_iteratorINS9_11use_defaultEEEs11max_functorIsEsEEDaPvRmT3_T4_T5_mT6_P12ihipStream_tbENKUlT_T0_E_clISt17integral_constantIbLb1EESX_EEDaSS_ST_EUlSS_E0_NS1_11comp_targetILNS1_3genE10ELNS1_11target_archE1201ELNS1_3gpuE5ELNS1_3repE0EEENS1_30default_config_static_selectorELNS0_4arch9wavefront6targetE1EEEvT1_
    .private_segment_fixed_size: 0
    .sgpr_count:     4
    .sgpr_spill_count: 0
    .symbol:         _ZN7rocprim17ROCPRIM_400000_NS6detail17trampoline_kernelINS0_14default_configENS1_20scan_config_selectorIsEEZZNS1_9scan_implILNS1_25lookback_scan_determinismE0ELb1ELb1ES3_N6thrust23THRUST_200600_302600_NS6detail15normal_iteratorINS9_10device_ptrIsEEEENS9_16discard_iteratorINS9_11use_defaultEEEs11max_functorIsEsEEDaPvRmT3_T4_T5_mT6_P12ihipStream_tbENKUlT_T0_E_clISt17integral_constantIbLb1EESX_EEDaSS_ST_EUlSS_E0_NS1_11comp_targetILNS1_3genE10ELNS1_11target_archE1201ELNS1_3gpuE5ELNS1_3repE0EEENS1_30default_config_static_selectorELNS0_4arch9wavefront6targetE1EEEvT1_.kd
    .uniform_work_group_size: 1
    .uses_dynamic_stack: false
    .vgpr_count:     0
    .vgpr_spill_count: 0
    .wavefront_size: 64
  - .agpr_count:     0
    .args:
      - .offset:         0
        .size:           40
        .value_kind:     by_value
    .group_segment_fixed_size: 0
    .kernarg_segment_align: 8
    .kernarg_segment_size: 40
    .language:       OpenCL C
    .language_version:
      - 2
      - 0
    .max_flat_workgroup_size: 256
    .name:           _ZN7rocprim17ROCPRIM_400000_NS6detail17trampoline_kernelINS0_14default_configENS1_20scan_config_selectorIsEEZZNS1_9scan_implILNS1_25lookback_scan_determinismE0ELb1ELb1ES3_N6thrust23THRUST_200600_302600_NS6detail15normal_iteratorINS9_10device_ptrIsEEEENS9_16discard_iteratorINS9_11use_defaultEEEs11max_functorIsEsEEDaPvRmT3_T4_T5_mT6_P12ihipStream_tbENKUlT_T0_E_clISt17integral_constantIbLb1EESX_EEDaSS_ST_EUlSS_E0_NS1_11comp_targetILNS1_3genE10ELNS1_11target_archE1200ELNS1_3gpuE4ELNS1_3repE0EEENS1_30default_config_static_selectorELNS0_4arch9wavefront6targetE1EEEvT1_
    .private_segment_fixed_size: 0
    .sgpr_count:     4
    .sgpr_spill_count: 0
    .symbol:         _ZN7rocprim17ROCPRIM_400000_NS6detail17trampoline_kernelINS0_14default_configENS1_20scan_config_selectorIsEEZZNS1_9scan_implILNS1_25lookback_scan_determinismE0ELb1ELb1ES3_N6thrust23THRUST_200600_302600_NS6detail15normal_iteratorINS9_10device_ptrIsEEEENS9_16discard_iteratorINS9_11use_defaultEEEs11max_functorIsEsEEDaPvRmT3_T4_T5_mT6_P12ihipStream_tbENKUlT_T0_E_clISt17integral_constantIbLb1EESX_EEDaSS_ST_EUlSS_E0_NS1_11comp_targetILNS1_3genE10ELNS1_11target_archE1200ELNS1_3gpuE4ELNS1_3repE0EEENS1_30default_config_static_selectorELNS0_4arch9wavefront6targetE1EEEvT1_.kd
    .uniform_work_group_size: 1
    .uses_dynamic_stack: false
    .vgpr_count:     0
    .vgpr_spill_count: 0
    .wavefront_size: 64
  - .agpr_count:     0
    .args:
      - .offset:         0
        .size:           40
        .value_kind:     by_value
    .group_segment_fixed_size: 0
    .kernarg_segment_align: 8
    .kernarg_segment_size: 40
    .language:       OpenCL C
    .language_version:
      - 2
      - 0
    .max_flat_workgroup_size: 64
    .name:           _ZN7rocprim17ROCPRIM_400000_NS6detail17trampoline_kernelINS0_14default_configENS1_20scan_config_selectorIsEEZZNS1_9scan_implILNS1_25lookback_scan_determinismE0ELb1ELb1ES3_N6thrust23THRUST_200600_302600_NS6detail15normal_iteratorINS9_10device_ptrIsEEEENS9_16discard_iteratorINS9_11use_defaultEEEs11max_functorIsEsEEDaPvRmT3_T4_T5_mT6_P12ihipStream_tbENKUlT_T0_E_clISt17integral_constantIbLb1EESX_EEDaSS_ST_EUlSS_E0_NS1_11comp_targetILNS1_3genE9ELNS1_11target_archE1100ELNS1_3gpuE3ELNS1_3repE0EEENS1_30default_config_static_selectorELNS0_4arch9wavefront6targetE1EEEvT1_
    .private_segment_fixed_size: 0
    .sgpr_count:     4
    .sgpr_spill_count: 0
    .symbol:         _ZN7rocprim17ROCPRIM_400000_NS6detail17trampoline_kernelINS0_14default_configENS1_20scan_config_selectorIsEEZZNS1_9scan_implILNS1_25lookback_scan_determinismE0ELb1ELb1ES3_N6thrust23THRUST_200600_302600_NS6detail15normal_iteratorINS9_10device_ptrIsEEEENS9_16discard_iteratorINS9_11use_defaultEEEs11max_functorIsEsEEDaPvRmT3_T4_T5_mT6_P12ihipStream_tbENKUlT_T0_E_clISt17integral_constantIbLb1EESX_EEDaSS_ST_EUlSS_E0_NS1_11comp_targetILNS1_3genE9ELNS1_11target_archE1100ELNS1_3gpuE3ELNS1_3repE0EEENS1_30default_config_static_selectorELNS0_4arch9wavefront6targetE1EEEvT1_.kd
    .uniform_work_group_size: 1
    .uses_dynamic_stack: false
    .vgpr_count:     0
    .vgpr_spill_count: 0
    .wavefront_size: 64
  - .agpr_count:     0
    .args:
      - .offset:         0
        .size:           40
        .value_kind:     by_value
    .group_segment_fixed_size: 0
    .kernarg_segment_align: 8
    .kernarg_segment_size: 40
    .language:       OpenCL C
    .language_version:
      - 2
      - 0
    .max_flat_workgroup_size: 64
    .name:           _ZN7rocprim17ROCPRIM_400000_NS6detail17trampoline_kernelINS0_14default_configENS1_20scan_config_selectorIsEEZZNS1_9scan_implILNS1_25lookback_scan_determinismE0ELb1ELb1ES3_N6thrust23THRUST_200600_302600_NS6detail15normal_iteratorINS9_10device_ptrIsEEEENS9_16discard_iteratorINS9_11use_defaultEEEs11max_functorIsEsEEDaPvRmT3_T4_T5_mT6_P12ihipStream_tbENKUlT_T0_E_clISt17integral_constantIbLb1EESX_EEDaSS_ST_EUlSS_E0_NS1_11comp_targetILNS1_3genE8ELNS1_11target_archE1030ELNS1_3gpuE2ELNS1_3repE0EEENS1_30default_config_static_selectorELNS0_4arch9wavefront6targetE1EEEvT1_
    .private_segment_fixed_size: 0
    .sgpr_count:     4
    .sgpr_spill_count: 0
    .symbol:         _ZN7rocprim17ROCPRIM_400000_NS6detail17trampoline_kernelINS0_14default_configENS1_20scan_config_selectorIsEEZZNS1_9scan_implILNS1_25lookback_scan_determinismE0ELb1ELb1ES3_N6thrust23THRUST_200600_302600_NS6detail15normal_iteratorINS9_10device_ptrIsEEEENS9_16discard_iteratorINS9_11use_defaultEEEs11max_functorIsEsEEDaPvRmT3_T4_T5_mT6_P12ihipStream_tbENKUlT_T0_E_clISt17integral_constantIbLb1EESX_EEDaSS_ST_EUlSS_E0_NS1_11comp_targetILNS1_3genE8ELNS1_11target_archE1030ELNS1_3gpuE2ELNS1_3repE0EEENS1_30default_config_static_selectorELNS0_4arch9wavefront6targetE1EEEvT1_.kd
    .uniform_work_group_size: 1
    .uses_dynamic_stack: false
    .vgpr_count:     0
    .vgpr_spill_count: 0
    .wavefront_size: 64
  - .agpr_count:     0
    .args:
      - .offset:         0
        .size:           104
        .value_kind:     by_value
    .group_segment_fixed_size: 0
    .kernarg_segment_align: 8
    .kernarg_segment_size: 104
    .language:       OpenCL C
    .language_version:
      - 2
      - 0
    .max_flat_workgroup_size: 128
    .name:           _ZN7rocprim17ROCPRIM_400000_NS6detail17trampoline_kernelINS0_14default_configENS1_20scan_config_selectorIsEEZZNS1_9scan_implILNS1_25lookback_scan_determinismE0ELb1ELb1ES3_N6thrust23THRUST_200600_302600_NS6detail15normal_iteratorINS9_10device_ptrIsEEEENS9_16discard_iteratorINS9_11use_defaultEEEs11max_functorIsEsEEDaPvRmT3_T4_T5_mT6_P12ihipStream_tbENKUlT_T0_E_clISt17integral_constantIbLb1EESW_IbLb0EEEEDaSS_ST_EUlSS_E_NS1_11comp_targetILNS1_3genE0ELNS1_11target_archE4294967295ELNS1_3gpuE0ELNS1_3repE0EEENS1_30default_config_static_selectorELNS0_4arch9wavefront6targetE1EEEvT1_
    .private_segment_fixed_size: 0
    .sgpr_count:     4
    .sgpr_spill_count: 0
    .symbol:         _ZN7rocprim17ROCPRIM_400000_NS6detail17trampoline_kernelINS0_14default_configENS1_20scan_config_selectorIsEEZZNS1_9scan_implILNS1_25lookback_scan_determinismE0ELb1ELb1ES3_N6thrust23THRUST_200600_302600_NS6detail15normal_iteratorINS9_10device_ptrIsEEEENS9_16discard_iteratorINS9_11use_defaultEEEs11max_functorIsEsEEDaPvRmT3_T4_T5_mT6_P12ihipStream_tbENKUlT_T0_E_clISt17integral_constantIbLb1EESW_IbLb0EEEEDaSS_ST_EUlSS_E_NS1_11comp_targetILNS1_3genE0ELNS1_11target_archE4294967295ELNS1_3gpuE0ELNS1_3repE0EEENS1_30default_config_static_selectorELNS0_4arch9wavefront6targetE1EEEvT1_.kd
    .uniform_work_group_size: 1
    .uses_dynamic_stack: false
    .vgpr_count:     0
    .vgpr_spill_count: 0
    .wavefront_size: 64
  - .agpr_count:     0
    .args:
      - .offset:         0
        .size:           104
        .value_kind:     by_value
    .group_segment_fixed_size: 0
    .kernarg_segment_align: 8
    .kernarg_segment_size: 104
    .language:       OpenCL C
    .language_version:
      - 2
      - 0
    .max_flat_workgroup_size: 256
    .name:           _ZN7rocprim17ROCPRIM_400000_NS6detail17trampoline_kernelINS0_14default_configENS1_20scan_config_selectorIsEEZZNS1_9scan_implILNS1_25lookback_scan_determinismE0ELb1ELb1ES3_N6thrust23THRUST_200600_302600_NS6detail15normal_iteratorINS9_10device_ptrIsEEEENS9_16discard_iteratorINS9_11use_defaultEEEs11max_functorIsEsEEDaPvRmT3_T4_T5_mT6_P12ihipStream_tbENKUlT_T0_E_clISt17integral_constantIbLb1EESW_IbLb0EEEEDaSS_ST_EUlSS_E_NS1_11comp_targetILNS1_3genE5ELNS1_11target_archE942ELNS1_3gpuE9ELNS1_3repE0EEENS1_30default_config_static_selectorELNS0_4arch9wavefront6targetE1EEEvT1_
    .private_segment_fixed_size: 0
    .sgpr_count:     4
    .sgpr_spill_count: 0
    .symbol:         _ZN7rocprim17ROCPRIM_400000_NS6detail17trampoline_kernelINS0_14default_configENS1_20scan_config_selectorIsEEZZNS1_9scan_implILNS1_25lookback_scan_determinismE0ELb1ELb1ES3_N6thrust23THRUST_200600_302600_NS6detail15normal_iteratorINS9_10device_ptrIsEEEENS9_16discard_iteratorINS9_11use_defaultEEEs11max_functorIsEsEEDaPvRmT3_T4_T5_mT6_P12ihipStream_tbENKUlT_T0_E_clISt17integral_constantIbLb1EESW_IbLb0EEEEDaSS_ST_EUlSS_E_NS1_11comp_targetILNS1_3genE5ELNS1_11target_archE942ELNS1_3gpuE9ELNS1_3repE0EEENS1_30default_config_static_selectorELNS0_4arch9wavefront6targetE1EEEvT1_.kd
    .uniform_work_group_size: 1
    .uses_dynamic_stack: false
    .vgpr_count:     0
    .vgpr_spill_count: 0
    .wavefront_size: 64
  - .agpr_count:     0
    .args:
      - .offset:         0
        .size:           104
        .value_kind:     by_value
    .group_segment_fixed_size: 3072
    .kernarg_segment_align: 8
    .kernarg_segment_size: 104
    .language:       OpenCL C
    .language_version:
      - 2
      - 0
    .max_flat_workgroup_size: 64
    .name:           _ZN7rocprim17ROCPRIM_400000_NS6detail17trampoline_kernelINS0_14default_configENS1_20scan_config_selectorIsEEZZNS1_9scan_implILNS1_25lookback_scan_determinismE0ELb1ELb1ES3_N6thrust23THRUST_200600_302600_NS6detail15normal_iteratorINS9_10device_ptrIsEEEENS9_16discard_iteratorINS9_11use_defaultEEEs11max_functorIsEsEEDaPvRmT3_T4_T5_mT6_P12ihipStream_tbENKUlT_T0_E_clISt17integral_constantIbLb1EESW_IbLb0EEEEDaSS_ST_EUlSS_E_NS1_11comp_targetILNS1_3genE4ELNS1_11target_archE910ELNS1_3gpuE8ELNS1_3repE0EEENS1_30default_config_static_selectorELNS0_4arch9wavefront6targetE1EEEvT1_
    .private_segment_fixed_size: 0
    .sgpr_count:     30
    .sgpr_spill_count: 0
    .symbol:         _ZN7rocprim17ROCPRIM_400000_NS6detail17trampoline_kernelINS0_14default_configENS1_20scan_config_selectorIsEEZZNS1_9scan_implILNS1_25lookback_scan_determinismE0ELb1ELb1ES3_N6thrust23THRUST_200600_302600_NS6detail15normal_iteratorINS9_10device_ptrIsEEEENS9_16discard_iteratorINS9_11use_defaultEEEs11max_functorIsEsEEDaPvRmT3_T4_T5_mT6_P12ihipStream_tbENKUlT_T0_E_clISt17integral_constantIbLb1EESW_IbLb0EEEEDaSS_ST_EUlSS_E_NS1_11comp_targetILNS1_3genE4ELNS1_11target_archE910ELNS1_3gpuE8ELNS1_3repE0EEENS1_30default_config_static_selectorELNS0_4arch9wavefront6targetE1EEEvT1_.kd
    .uniform_work_group_size: 1
    .uses_dynamic_stack: false
    .vgpr_count:     57
    .vgpr_spill_count: 0
    .wavefront_size: 64
  - .agpr_count:     0
    .args:
      - .offset:         0
        .size:           104
        .value_kind:     by_value
    .group_segment_fixed_size: 0
    .kernarg_segment_align: 8
    .kernarg_segment_size: 104
    .language:       OpenCL C
    .language_version:
      - 2
      - 0
    .max_flat_workgroup_size: 128
    .name:           _ZN7rocprim17ROCPRIM_400000_NS6detail17trampoline_kernelINS0_14default_configENS1_20scan_config_selectorIsEEZZNS1_9scan_implILNS1_25lookback_scan_determinismE0ELb1ELb1ES3_N6thrust23THRUST_200600_302600_NS6detail15normal_iteratorINS9_10device_ptrIsEEEENS9_16discard_iteratorINS9_11use_defaultEEEs11max_functorIsEsEEDaPvRmT3_T4_T5_mT6_P12ihipStream_tbENKUlT_T0_E_clISt17integral_constantIbLb1EESW_IbLb0EEEEDaSS_ST_EUlSS_E_NS1_11comp_targetILNS1_3genE3ELNS1_11target_archE908ELNS1_3gpuE7ELNS1_3repE0EEENS1_30default_config_static_selectorELNS0_4arch9wavefront6targetE1EEEvT1_
    .private_segment_fixed_size: 0
    .sgpr_count:     4
    .sgpr_spill_count: 0
    .symbol:         _ZN7rocprim17ROCPRIM_400000_NS6detail17trampoline_kernelINS0_14default_configENS1_20scan_config_selectorIsEEZZNS1_9scan_implILNS1_25lookback_scan_determinismE0ELb1ELb1ES3_N6thrust23THRUST_200600_302600_NS6detail15normal_iteratorINS9_10device_ptrIsEEEENS9_16discard_iteratorINS9_11use_defaultEEEs11max_functorIsEsEEDaPvRmT3_T4_T5_mT6_P12ihipStream_tbENKUlT_T0_E_clISt17integral_constantIbLb1EESW_IbLb0EEEEDaSS_ST_EUlSS_E_NS1_11comp_targetILNS1_3genE3ELNS1_11target_archE908ELNS1_3gpuE7ELNS1_3repE0EEENS1_30default_config_static_selectorELNS0_4arch9wavefront6targetE1EEEvT1_.kd
    .uniform_work_group_size: 1
    .uses_dynamic_stack: false
    .vgpr_count:     0
    .vgpr_spill_count: 0
    .wavefront_size: 64
  - .agpr_count:     0
    .args:
      - .offset:         0
        .size:           104
        .value_kind:     by_value
    .group_segment_fixed_size: 0
    .kernarg_segment_align: 8
    .kernarg_segment_size: 104
    .language:       OpenCL C
    .language_version:
      - 2
      - 0
    .max_flat_workgroup_size: 256
    .name:           _ZN7rocprim17ROCPRIM_400000_NS6detail17trampoline_kernelINS0_14default_configENS1_20scan_config_selectorIsEEZZNS1_9scan_implILNS1_25lookback_scan_determinismE0ELb1ELb1ES3_N6thrust23THRUST_200600_302600_NS6detail15normal_iteratorINS9_10device_ptrIsEEEENS9_16discard_iteratorINS9_11use_defaultEEEs11max_functorIsEsEEDaPvRmT3_T4_T5_mT6_P12ihipStream_tbENKUlT_T0_E_clISt17integral_constantIbLb1EESW_IbLb0EEEEDaSS_ST_EUlSS_E_NS1_11comp_targetILNS1_3genE2ELNS1_11target_archE906ELNS1_3gpuE6ELNS1_3repE0EEENS1_30default_config_static_selectorELNS0_4arch9wavefront6targetE1EEEvT1_
    .private_segment_fixed_size: 0
    .sgpr_count:     4
    .sgpr_spill_count: 0
    .symbol:         _ZN7rocprim17ROCPRIM_400000_NS6detail17trampoline_kernelINS0_14default_configENS1_20scan_config_selectorIsEEZZNS1_9scan_implILNS1_25lookback_scan_determinismE0ELb1ELb1ES3_N6thrust23THRUST_200600_302600_NS6detail15normal_iteratorINS9_10device_ptrIsEEEENS9_16discard_iteratorINS9_11use_defaultEEEs11max_functorIsEsEEDaPvRmT3_T4_T5_mT6_P12ihipStream_tbENKUlT_T0_E_clISt17integral_constantIbLb1EESW_IbLb0EEEEDaSS_ST_EUlSS_E_NS1_11comp_targetILNS1_3genE2ELNS1_11target_archE906ELNS1_3gpuE6ELNS1_3repE0EEENS1_30default_config_static_selectorELNS0_4arch9wavefront6targetE1EEEvT1_.kd
    .uniform_work_group_size: 1
    .uses_dynamic_stack: false
    .vgpr_count:     0
    .vgpr_spill_count: 0
    .wavefront_size: 64
  - .agpr_count:     0
    .args:
      - .offset:         0
        .size:           104
        .value_kind:     by_value
    .group_segment_fixed_size: 0
    .kernarg_segment_align: 8
    .kernarg_segment_size: 104
    .language:       OpenCL C
    .language_version:
      - 2
      - 0
    .max_flat_workgroup_size: 256
    .name:           _ZN7rocprim17ROCPRIM_400000_NS6detail17trampoline_kernelINS0_14default_configENS1_20scan_config_selectorIsEEZZNS1_9scan_implILNS1_25lookback_scan_determinismE0ELb1ELb1ES3_N6thrust23THRUST_200600_302600_NS6detail15normal_iteratorINS9_10device_ptrIsEEEENS9_16discard_iteratorINS9_11use_defaultEEEs11max_functorIsEsEEDaPvRmT3_T4_T5_mT6_P12ihipStream_tbENKUlT_T0_E_clISt17integral_constantIbLb1EESW_IbLb0EEEEDaSS_ST_EUlSS_E_NS1_11comp_targetILNS1_3genE10ELNS1_11target_archE1201ELNS1_3gpuE5ELNS1_3repE0EEENS1_30default_config_static_selectorELNS0_4arch9wavefront6targetE1EEEvT1_
    .private_segment_fixed_size: 0
    .sgpr_count:     4
    .sgpr_spill_count: 0
    .symbol:         _ZN7rocprim17ROCPRIM_400000_NS6detail17trampoline_kernelINS0_14default_configENS1_20scan_config_selectorIsEEZZNS1_9scan_implILNS1_25lookback_scan_determinismE0ELb1ELb1ES3_N6thrust23THRUST_200600_302600_NS6detail15normal_iteratorINS9_10device_ptrIsEEEENS9_16discard_iteratorINS9_11use_defaultEEEs11max_functorIsEsEEDaPvRmT3_T4_T5_mT6_P12ihipStream_tbENKUlT_T0_E_clISt17integral_constantIbLb1EESW_IbLb0EEEEDaSS_ST_EUlSS_E_NS1_11comp_targetILNS1_3genE10ELNS1_11target_archE1201ELNS1_3gpuE5ELNS1_3repE0EEENS1_30default_config_static_selectorELNS0_4arch9wavefront6targetE1EEEvT1_.kd
    .uniform_work_group_size: 1
    .uses_dynamic_stack: false
    .vgpr_count:     0
    .vgpr_spill_count: 0
    .wavefront_size: 64
  - .agpr_count:     0
    .args:
      - .offset:         0
        .size:           104
        .value_kind:     by_value
    .group_segment_fixed_size: 0
    .kernarg_segment_align: 8
    .kernarg_segment_size: 104
    .language:       OpenCL C
    .language_version:
      - 2
      - 0
    .max_flat_workgroup_size: 256
    .name:           _ZN7rocprim17ROCPRIM_400000_NS6detail17trampoline_kernelINS0_14default_configENS1_20scan_config_selectorIsEEZZNS1_9scan_implILNS1_25lookback_scan_determinismE0ELb1ELb1ES3_N6thrust23THRUST_200600_302600_NS6detail15normal_iteratorINS9_10device_ptrIsEEEENS9_16discard_iteratorINS9_11use_defaultEEEs11max_functorIsEsEEDaPvRmT3_T4_T5_mT6_P12ihipStream_tbENKUlT_T0_E_clISt17integral_constantIbLb1EESW_IbLb0EEEEDaSS_ST_EUlSS_E_NS1_11comp_targetILNS1_3genE10ELNS1_11target_archE1200ELNS1_3gpuE4ELNS1_3repE0EEENS1_30default_config_static_selectorELNS0_4arch9wavefront6targetE1EEEvT1_
    .private_segment_fixed_size: 0
    .sgpr_count:     4
    .sgpr_spill_count: 0
    .symbol:         _ZN7rocprim17ROCPRIM_400000_NS6detail17trampoline_kernelINS0_14default_configENS1_20scan_config_selectorIsEEZZNS1_9scan_implILNS1_25lookback_scan_determinismE0ELb1ELb1ES3_N6thrust23THRUST_200600_302600_NS6detail15normal_iteratorINS9_10device_ptrIsEEEENS9_16discard_iteratorINS9_11use_defaultEEEs11max_functorIsEsEEDaPvRmT3_T4_T5_mT6_P12ihipStream_tbENKUlT_T0_E_clISt17integral_constantIbLb1EESW_IbLb0EEEEDaSS_ST_EUlSS_E_NS1_11comp_targetILNS1_3genE10ELNS1_11target_archE1200ELNS1_3gpuE4ELNS1_3repE0EEENS1_30default_config_static_selectorELNS0_4arch9wavefront6targetE1EEEvT1_.kd
    .uniform_work_group_size: 1
    .uses_dynamic_stack: false
    .vgpr_count:     0
    .vgpr_spill_count: 0
    .wavefront_size: 64
  - .agpr_count:     0
    .args:
      - .offset:         0
        .size:           104
        .value_kind:     by_value
    .group_segment_fixed_size: 0
    .kernarg_segment_align: 8
    .kernarg_segment_size: 104
    .language:       OpenCL C
    .language_version:
      - 2
      - 0
    .max_flat_workgroup_size: 64
    .name:           _ZN7rocprim17ROCPRIM_400000_NS6detail17trampoline_kernelINS0_14default_configENS1_20scan_config_selectorIsEEZZNS1_9scan_implILNS1_25lookback_scan_determinismE0ELb1ELb1ES3_N6thrust23THRUST_200600_302600_NS6detail15normal_iteratorINS9_10device_ptrIsEEEENS9_16discard_iteratorINS9_11use_defaultEEEs11max_functorIsEsEEDaPvRmT3_T4_T5_mT6_P12ihipStream_tbENKUlT_T0_E_clISt17integral_constantIbLb1EESW_IbLb0EEEEDaSS_ST_EUlSS_E_NS1_11comp_targetILNS1_3genE9ELNS1_11target_archE1100ELNS1_3gpuE3ELNS1_3repE0EEENS1_30default_config_static_selectorELNS0_4arch9wavefront6targetE1EEEvT1_
    .private_segment_fixed_size: 0
    .sgpr_count:     4
    .sgpr_spill_count: 0
    .symbol:         _ZN7rocprim17ROCPRIM_400000_NS6detail17trampoline_kernelINS0_14default_configENS1_20scan_config_selectorIsEEZZNS1_9scan_implILNS1_25lookback_scan_determinismE0ELb1ELb1ES3_N6thrust23THRUST_200600_302600_NS6detail15normal_iteratorINS9_10device_ptrIsEEEENS9_16discard_iteratorINS9_11use_defaultEEEs11max_functorIsEsEEDaPvRmT3_T4_T5_mT6_P12ihipStream_tbENKUlT_T0_E_clISt17integral_constantIbLb1EESW_IbLb0EEEEDaSS_ST_EUlSS_E_NS1_11comp_targetILNS1_3genE9ELNS1_11target_archE1100ELNS1_3gpuE3ELNS1_3repE0EEENS1_30default_config_static_selectorELNS0_4arch9wavefront6targetE1EEEvT1_.kd
    .uniform_work_group_size: 1
    .uses_dynamic_stack: false
    .vgpr_count:     0
    .vgpr_spill_count: 0
    .wavefront_size: 64
  - .agpr_count:     0
    .args:
      - .offset:         0
        .size:           104
        .value_kind:     by_value
    .group_segment_fixed_size: 0
    .kernarg_segment_align: 8
    .kernarg_segment_size: 104
    .language:       OpenCL C
    .language_version:
      - 2
      - 0
    .max_flat_workgroup_size: 64
    .name:           _ZN7rocprim17ROCPRIM_400000_NS6detail17trampoline_kernelINS0_14default_configENS1_20scan_config_selectorIsEEZZNS1_9scan_implILNS1_25lookback_scan_determinismE0ELb1ELb1ES3_N6thrust23THRUST_200600_302600_NS6detail15normal_iteratorINS9_10device_ptrIsEEEENS9_16discard_iteratorINS9_11use_defaultEEEs11max_functorIsEsEEDaPvRmT3_T4_T5_mT6_P12ihipStream_tbENKUlT_T0_E_clISt17integral_constantIbLb1EESW_IbLb0EEEEDaSS_ST_EUlSS_E_NS1_11comp_targetILNS1_3genE8ELNS1_11target_archE1030ELNS1_3gpuE2ELNS1_3repE0EEENS1_30default_config_static_selectorELNS0_4arch9wavefront6targetE1EEEvT1_
    .private_segment_fixed_size: 0
    .sgpr_count:     4
    .sgpr_spill_count: 0
    .symbol:         _ZN7rocprim17ROCPRIM_400000_NS6detail17trampoline_kernelINS0_14default_configENS1_20scan_config_selectorIsEEZZNS1_9scan_implILNS1_25lookback_scan_determinismE0ELb1ELb1ES3_N6thrust23THRUST_200600_302600_NS6detail15normal_iteratorINS9_10device_ptrIsEEEENS9_16discard_iteratorINS9_11use_defaultEEEs11max_functorIsEsEEDaPvRmT3_T4_T5_mT6_P12ihipStream_tbENKUlT_T0_E_clISt17integral_constantIbLb1EESW_IbLb0EEEEDaSS_ST_EUlSS_E_NS1_11comp_targetILNS1_3genE8ELNS1_11target_archE1030ELNS1_3gpuE2ELNS1_3repE0EEENS1_30default_config_static_selectorELNS0_4arch9wavefront6targetE1EEEvT1_.kd
    .uniform_work_group_size: 1
    .uses_dynamic_stack: false
    .vgpr_count:     0
    .vgpr_spill_count: 0
    .wavefront_size: 64
  - .agpr_count:     0
    .args:
      - .offset:         0
        .size:           40
        .value_kind:     by_value
    .group_segment_fixed_size: 0
    .kernarg_segment_align: 8
    .kernarg_segment_size: 40
    .language:       OpenCL C
    .language_version:
      - 2
      - 0
    .max_flat_workgroup_size: 128
    .name:           _ZN7rocprim17ROCPRIM_400000_NS6detail17trampoline_kernelINS0_14default_configENS1_20scan_config_selectorIsEEZZNS1_9scan_implILNS1_25lookback_scan_determinismE0ELb1ELb1ES3_N6thrust23THRUST_200600_302600_NS6detail15normal_iteratorINS9_10device_ptrIsEEEENS9_16discard_iteratorINS9_11use_defaultEEEs11max_functorIsEsEEDaPvRmT3_T4_T5_mT6_P12ihipStream_tbENKUlT_T0_E_clISt17integral_constantIbLb1EESW_IbLb0EEEEDaSS_ST_EUlSS_E0_NS1_11comp_targetILNS1_3genE0ELNS1_11target_archE4294967295ELNS1_3gpuE0ELNS1_3repE0EEENS1_30default_config_static_selectorELNS0_4arch9wavefront6targetE1EEEvT1_
    .private_segment_fixed_size: 0
    .sgpr_count:     4
    .sgpr_spill_count: 0
    .symbol:         _ZN7rocprim17ROCPRIM_400000_NS6detail17trampoline_kernelINS0_14default_configENS1_20scan_config_selectorIsEEZZNS1_9scan_implILNS1_25lookback_scan_determinismE0ELb1ELb1ES3_N6thrust23THRUST_200600_302600_NS6detail15normal_iteratorINS9_10device_ptrIsEEEENS9_16discard_iteratorINS9_11use_defaultEEEs11max_functorIsEsEEDaPvRmT3_T4_T5_mT6_P12ihipStream_tbENKUlT_T0_E_clISt17integral_constantIbLb1EESW_IbLb0EEEEDaSS_ST_EUlSS_E0_NS1_11comp_targetILNS1_3genE0ELNS1_11target_archE4294967295ELNS1_3gpuE0ELNS1_3repE0EEENS1_30default_config_static_selectorELNS0_4arch9wavefront6targetE1EEEvT1_.kd
    .uniform_work_group_size: 1
    .uses_dynamic_stack: false
    .vgpr_count:     0
    .vgpr_spill_count: 0
    .wavefront_size: 64
  - .agpr_count:     0
    .args:
      - .offset:         0
        .size:           40
        .value_kind:     by_value
    .group_segment_fixed_size: 0
    .kernarg_segment_align: 8
    .kernarg_segment_size: 40
    .language:       OpenCL C
    .language_version:
      - 2
      - 0
    .max_flat_workgroup_size: 256
    .name:           _ZN7rocprim17ROCPRIM_400000_NS6detail17trampoline_kernelINS0_14default_configENS1_20scan_config_selectorIsEEZZNS1_9scan_implILNS1_25lookback_scan_determinismE0ELb1ELb1ES3_N6thrust23THRUST_200600_302600_NS6detail15normal_iteratorINS9_10device_ptrIsEEEENS9_16discard_iteratorINS9_11use_defaultEEEs11max_functorIsEsEEDaPvRmT3_T4_T5_mT6_P12ihipStream_tbENKUlT_T0_E_clISt17integral_constantIbLb1EESW_IbLb0EEEEDaSS_ST_EUlSS_E0_NS1_11comp_targetILNS1_3genE5ELNS1_11target_archE942ELNS1_3gpuE9ELNS1_3repE0EEENS1_30default_config_static_selectorELNS0_4arch9wavefront6targetE1EEEvT1_
    .private_segment_fixed_size: 0
    .sgpr_count:     4
    .sgpr_spill_count: 0
    .symbol:         _ZN7rocprim17ROCPRIM_400000_NS6detail17trampoline_kernelINS0_14default_configENS1_20scan_config_selectorIsEEZZNS1_9scan_implILNS1_25lookback_scan_determinismE0ELb1ELb1ES3_N6thrust23THRUST_200600_302600_NS6detail15normal_iteratorINS9_10device_ptrIsEEEENS9_16discard_iteratorINS9_11use_defaultEEEs11max_functorIsEsEEDaPvRmT3_T4_T5_mT6_P12ihipStream_tbENKUlT_T0_E_clISt17integral_constantIbLb1EESW_IbLb0EEEEDaSS_ST_EUlSS_E0_NS1_11comp_targetILNS1_3genE5ELNS1_11target_archE942ELNS1_3gpuE9ELNS1_3repE0EEENS1_30default_config_static_selectorELNS0_4arch9wavefront6targetE1EEEvT1_.kd
    .uniform_work_group_size: 1
    .uses_dynamic_stack: false
    .vgpr_count:     0
    .vgpr_spill_count: 0
    .wavefront_size: 64
  - .agpr_count:     0
    .args:
      - .offset:         0
        .size:           40
        .value_kind:     by_value
    .group_segment_fixed_size: 3072
    .kernarg_segment_align: 8
    .kernarg_segment_size: 40
    .language:       OpenCL C
    .language_version:
      - 2
      - 0
    .max_flat_workgroup_size: 64
    .name:           _ZN7rocprim17ROCPRIM_400000_NS6detail17trampoline_kernelINS0_14default_configENS1_20scan_config_selectorIsEEZZNS1_9scan_implILNS1_25lookback_scan_determinismE0ELb1ELb1ES3_N6thrust23THRUST_200600_302600_NS6detail15normal_iteratorINS9_10device_ptrIsEEEENS9_16discard_iteratorINS9_11use_defaultEEEs11max_functorIsEsEEDaPvRmT3_T4_T5_mT6_P12ihipStream_tbENKUlT_T0_E_clISt17integral_constantIbLb1EESW_IbLb0EEEEDaSS_ST_EUlSS_E0_NS1_11comp_targetILNS1_3genE4ELNS1_11target_archE910ELNS1_3gpuE8ELNS1_3repE0EEENS1_30default_config_static_selectorELNS0_4arch9wavefront6targetE1EEEvT1_
    .private_segment_fixed_size: 0
    .sgpr_count:     12
    .sgpr_spill_count: 0
    .symbol:         _ZN7rocprim17ROCPRIM_400000_NS6detail17trampoline_kernelINS0_14default_configENS1_20scan_config_selectorIsEEZZNS1_9scan_implILNS1_25lookback_scan_determinismE0ELb1ELb1ES3_N6thrust23THRUST_200600_302600_NS6detail15normal_iteratorINS9_10device_ptrIsEEEENS9_16discard_iteratorINS9_11use_defaultEEEs11max_functorIsEsEEDaPvRmT3_T4_T5_mT6_P12ihipStream_tbENKUlT_T0_E_clISt17integral_constantIbLb1EESW_IbLb0EEEEDaSS_ST_EUlSS_E0_NS1_11comp_targetILNS1_3genE4ELNS1_11target_archE910ELNS1_3gpuE8ELNS1_3repE0EEENS1_30default_config_static_selectorELNS0_4arch9wavefront6targetE1EEEvT1_.kd
    .uniform_work_group_size: 1
    .uses_dynamic_stack: false
    .vgpr_count:     29
    .vgpr_spill_count: 0
    .wavefront_size: 64
  - .agpr_count:     0
    .args:
      - .offset:         0
        .size:           40
        .value_kind:     by_value
    .group_segment_fixed_size: 0
    .kernarg_segment_align: 8
    .kernarg_segment_size: 40
    .language:       OpenCL C
    .language_version:
      - 2
      - 0
    .max_flat_workgroup_size: 128
    .name:           _ZN7rocprim17ROCPRIM_400000_NS6detail17trampoline_kernelINS0_14default_configENS1_20scan_config_selectorIsEEZZNS1_9scan_implILNS1_25lookback_scan_determinismE0ELb1ELb1ES3_N6thrust23THRUST_200600_302600_NS6detail15normal_iteratorINS9_10device_ptrIsEEEENS9_16discard_iteratorINS9_11use_defaultEEEs11max_functorIsEsEEDaPvRmT3_T4_T5_mT6_P12ihipStream_tbENKUlT_T0_E_clISt17integral_constantIbLb1EESW_IbLb0EEEEDaSS_ST_EUlSS_E0_NS1_11comp_targetILNS1_3genE3ELNS1_11target_archE908ELNS1_3gpuE7ELNS1_3repE0EEENS1_30default_config_static_selectorELNS0_4arch9wavefront6targetE1EEEvT1_
    .private_segment_fixed_size: 0
    .sgpr_count:     4
    .sgpr_spill_count: 0
    .symbol:         _ZN7rocprim17ROCPRIM_400000_NS6detail17trampoline_kernelINS0_14default_configENS1_20scan_config_selectorIsEEZZNS1_9scan_implILNS1_25lookback_scan_determinismE0ELb1ELb1ES3_N6thrust23THRUST_200600_302600_NS6detail15normal_iteratorINS9_10device_ptrIsEEEENS9_16discard_iteratorINS9_11use_defaultEEEs11max_functorIsEsEEDaPvRmT3_T4_T5_mT6_P12ihipStream_tbENKUlT_T0_E_clISt17integral_constantIbLb1EESW_IbLb0EEEEDaSS_ST_EUlSS_E0_NS1_11comp_targetILNS1_3genE3ELNS1_11target_archE908ELNS1_3gpuE7ELNS1_3repE0EEENS1_30default_config_static_selectorELNS0_4arch9wavefront6targetE1EEEvT1_.kd
    .uniform_work_group_size: 1
    .uses_dynamic_stack: false
    .vgpr_count:     0
    .vgpr_spill_count: 0
    .wavefront_size: 64
  - .agpr_count:     0
    .args:
      - .offset:         0
        .size:           40
        .value_kind:     by_value
    .group_segment_fixed_size: 0
    .kernarg_segment_align: 8
    .kernarg_segment_size: 40
    .language:       OpenCL C
    .language_version:
      - 2
      - 0
    .max_flat_workgroup_size: 256
    .name:           _ZN7rocprim17ROCPRIM_400000_NS6detail17trampoline_kernelINS0_14default_configENS1_20scan_config_selectorIsEEZZNS1_9scan_implILNS1_25lookback_scan_determinismE0ELb1ELb1ES3_N6thrust23THRUST_200600_302600_NS6detail15normal_iteratorINS9_10device_ptrIsEEEENS9_16discard_iteratorINS9_11use_defaultEEEs11max_functorIsEsEEDaPvRmT3_T4_T5_mT6_P12ihipStream_tbENKUlT_T0_E_clISt17integral_constantIbLb1EESW_IbLb0EEEEDaSS_ST_EUlSS_E0_NS1_11comp_targetILNS1_3genE2ELNS1_11target_archE906ELNS1_3gpuE6ELNS1_3repE0EEENS1_30default_config_static_selectorELNS0_4arch9wavefront6targetE1EEEvT1_
    .private_segment_fixed_size: 0
    .sgpr_count:     4
    .sgpr_spill_count: 0
    .symbol:         _ZN7rocprim17ROCPRIM_400000_NS6detail17trampoline_kernelINS0_14default_configENS1_20scan_config_selectorIsEEZZNS1_9scan_implILNS1_25lookback_scan_determinismE0ELb1ELb1ES3_N6thrust23THRUST_200600_302600_NS6detail15normal_iteratorINS9_10device_ptrIsEEEENS9_16discard_iteratorINS9_11use_defaultEEEs11max_functorIsEsEEDaPvRmT3_T4_T5_mT6_P12ihipStream_tbENKUlT_T0_E_clISt17integral_constantIbLb1EESW_IbLb0EEEEDaSS_ST_EUlSS_E0_NS1_11comp_targetILNS1_3genE2ELNS1_11target_archE906ELNS1_3gpuE6ELNS1_3repE0EEENS1_30default_config_static_selectorELNS0_4arch9wavefront6targetE1EEEvT1_.kd
    .uniform_work_group_size: 1
    .uses_dynamic_stack: false
    .vgpr_count:     0
    .vgpr_spill_count: 0
    .wavefront_size: 64
  - .agpr_count:     0
    .args:
      - .offset:         0
        .size:           40
        .value_kind:     by_value
    .group_segment_fixed_size: 0
    .kernarg_segment_align: 8
    .kernarg_segment_size: 40
    .language:       OpenCL C
    .language_version:
      - 2
      - 0
    .max_flat_workgroup_size: 256
    .name:           _ZN7rocprim17ROCPRIM_400000_NS6detail17trampoline_kernelINS0_14default_configENS1_20scan_config_selectorIsEEZZNS1_9scan_implILNS1_25lookback_scan_determinismE0ELb1ELb1ES3_N6thrust23THRUST_200600_302600_NS6detail15normal_iteratorINS9_10device_ptrIsEEEENS9_16discard_iteratorINS9_11use_defaultEEEs11max_functorIsEsEEDaPvRmT3_T4_T5_mT6_P12ihipStream_tbENKUlT_T0_E_clISt17integral_constantIbLb1EESW_IbLb0EEEEDaSS_ST_EUlSS_E0_NS1_11comp_targetILNS1_3genE10ELNS1_11target_archE1201ELNS1_3gpuE5ELNS1_3repE0EEENS1_30default_config_static_selectorELNS0_4arch9wavefront6targetE1EEEvT1_
    .private_segment_fixed_size: 0
    .sgpr_count:     4
    .sgpr_spill_count: 0
    .symbol:         _ZN7rocprim17ROCPRIM_400000_NS6detail17trampoline_kernelINS0_14default_configENS1_20scan_config_selectorIsEEZZNS1_9scan_implILNS1_25lookback_scan_determinismE0ELb1ELb1ES3_N6thrust23THRUST_200600_302600_NS6detail15normal_iteratorINS9_10device_ptrIsEEEENS9_16discard_iteratorINS9_11use_defaultEEEs11max_functorIsEsEEDaPvRmT3_T4_T5_mT6_P12ihipStream_tbENKUlT_T0_E_clISt17integral_constantIbLb1EESW_IbLb0EEEEDaSS_ST_EUlSS_E0_NS1_11comp_targetILNS1_3genE10ELNS1_11target_archE1201ELNS1_3gpuE5ELNS1_3repE0EEENS1_30default_config_static_selectorELNS0_4arch9wavefront6targetE1EEEvT1_.kd
    .uniform_work_group_size: 1
    .uses_dynamic_stack: false
    .vgpr_count:     0
    .vgpr_spill_count: 0
    .wavefront_size: 64
  - .agpr_count:     0
    .args:
      - .offset:         0
        .size:           40
        .value_kind:     by_value
    .group_segment_fixed_size: 0
    .kernarg_segment_align: 8
    .kernarg_segment_size: 40
    .language:       OpenCL C
    .language_version:
      - 2
      - 0
    .max_flat_workgroup_size: 256
    .name:           _ZN7rocprim17ROCPRIM_400000_NS6detail17trampoline_kernelINS0_14default_configENS1_20scan_config_selectorIsEEZZNS1_9scan_implILNS1_25lookback_scan_determinismE0ELb1ELb1ES3_N6thrust23THRUST_200600_302600_NS6detail15normal_iteratorINS9_10device_ptrIsEEEENS9_16discard_iteratorINS9_11use_defaultEEEs11max_functorIsEsEEDaPvRmT3_T4_T5_mT6_P12ihipStream_tbENKUlT_T0_E_clISt17integral_constantIbLb1EESW_IbLb0EEEEDaSS_ST_EUlSS_E0_NS1_11comp_targetILNS1_3genE10ELNS1_11target_archE1200ELNS1_3gpuE4ELNS1_3repE0EEENS1_30default_config_static_selectorELNS0_4arch9wavefront6targetE1EEEvT1_
    .private_segment_fixed_size: 0
    .sgpr_count:     4
    .sgpr_spill_count: 0
    .symbol:         _ZN7rocprim17ROCPRIM_400000_NS6detail17trampoline_kernelINS0_14default_configENS1_20scan_config_selectorIsEEZZNS1_9scan_implILNS1_25lookback_scan_determinismE0ELb1ELb1ES3_N6thrust23THRUST_200600_302600_NS6detail15normal_iteratorINS9_10device_ptrIsEEEENS9_16discard_iteratorINS9_11use_defaultEEEs11max_functorIsEsEEDaPvRmT3_T4_T5_mT6_P12ihipStream_tbENKUlT_T0_E_clISt17integral_constantIbLb1EESW_IbLb0EEEEDaSS_ST_EUlSS_E0_NS1_11comp_targetILNS1_3genE10ELNS1_11target_archE1200ELNS1_3gpuE4ELNS1_3repE0EEENS1_30default_config_static_selectorELNS0_4arch9wavefront6targetE1EEEvT1_.kd
    .uniform_work_group_size: 1
    .uses_dynamic_stack: false
    .vgpr_count:     0
    .vgpr_spill_count: 0
    .wavefront_size: 64
  - .agpr_count:     0
    .args:
      - .offset:         0
        .size:           40
        .value_kind:     by_value
    .group_segment_fixed_size: 0
    .kernarg_segment_align: 8
    .kernarg_segment_size: 40
    .language:       OpenCL C
    .language_version:
      - 2
      - 0
    .max_flat_workgroup_size: 64
    .name:           _ZN7rocprim17ROCPRIM_400000_NS6detail17trampoline_kernelINS0_14default_configENS1_20scan_config_selectorIsEEZZNS1_9scan_implILNS1_25lookback_scan_determinismE0ELb1ELb1ES3_N6thrust23THRUST_200600_302600_NS6detail15normal_iteratorINS9_10device_ptrIsEEEENS9_16discard_iteratorINS9_11use_defaultEEEs11max_functorIsEsEEDaPvRmT3_T4_T5_mT6_P12ihipStream_tbENKUlT_T0_E_clISt17integral_constantIbLb1EESW_IbLb0EEEEDaSS_ST_EUlSS_E0_NS1_11comp_targetILNS1_3genE9ELNS1_11target_archE1100ELNS1_3gpuE3ELNS1_3repE0EEENS1_30default_config_static_selectorELNS0_4arch9wavefront6targetE1EEEvT1_
    .private_segment_fixed_size: 0
    .sgpr_count:     4
    .sgpr_spill_count: 0
    .symbol:         _ZN7rocprim17ROCPRIM_400000_NS6detail17trampoline_kernelINS0_14default_configENS1_20scan_config_selectorIsEEZZNS1_9scan_implILNS1_25lookback_scan_determinismE0ELb1ELb1ES3_N6thrust23THRUST_200600_302600_NS6detail15normal_iteratorINS9_10device_ptrIsEEEENS9_16discard_iteratorINS9_11use_defaultEEEs11max_functorIsEsEEDaPvRmT3_T4_T5_mT6_P12ihipStream_tbENKUlT_T0_E_clISt17integral_constantIbLb1EESW_IbLb0EEEEDaSS_ST_EUlSS_E0_NS1_11comp_targetILNS1_3genE9ELNS1_11target_archE1100ELNS1_3gpuE3ELNS1_3repE0EEENS1_30default_config_static_selectorELNS0_4arch9wavefront6targetE1EEEvT1_.kd
    .uniform_work_group_size: 1
    .uses_dynamic_stack: false
    .vgpr_count:     0
    .vgpr_spill_count: 0
    .wavefront_size: 64
  - .agpr_count:     0
    .args:
      - .offset:         0
        .size:           40
        .value_kind:     by_value
    .group_segment_fixed_size: 0
    .kernarg_segment_align: 8
    .kernarg_segment_size: 40
    .language:       OpenCL C
    .language_version:
      - 2
      - 0
    .max_flat_workgroup_size: 64
    .name:           _ZN7rocprim17ROCPRIM_400000_NS6detail17trampoline_kernelINS0_14default_configENS1_20scan_config_selectorIsEEZZNS1_9scan_implILNS1_25lookback_scan_determinismE0ELb1ELb1ES3_N6thrust23THRUST_200600_302600_NS6detail15normal_iteratorINS9_10device_ptrIsEEEENS9_16discard_iteratorINS9_11use_defaultEEEs11max_functorIsEsEEDaPvRmT3_T4_T5_mT6_P12ihipStream_tbENKUlT_T0_E_clISt17integral_constantIbLb1EESW_IbLb0EEEEDaSS_ST_EUlSS_E0_NS1_11comp_targetILNS1_3genE8ELNS1_11target_archE1030ELNS1_3gpuE2ELNS1_3repE0EEENS1_30default_config_static_selectorELNS0_4arch9wavefront6targetE1EEEvT1_
    .private_segment_fixed_size: 0
    .sgpr_count:     4
    .sgpr_spill_count: 0
    .symbol:         _ZN7rocprim17ROCPRIM_400000_NS6detail17trampoline_kernelINS0_14default_configENS1_20scan_config_selectorIsEEZZNS1_9scan_implILNS1_25lookback_scan_determinismE0ELb1ELb1ES3_N6thrust23THRUST_200600_302600_NS6detail15normal_iteratorINS9_10device_ptrIsEEEENS9_16discard_iteratorINS9_11use_defaultEEEs11max_functorIsEsEEDaPvRmT3_T4_T5_mT6_P12ihipStream_tbENKUlT_T0_E_clISt17integral_constantIbLb1EESW_IbLb0EEEEDaSS_ST_EUlSS_E0_NS1_11comp_targetILNS1_3genE8ELNS1_11target_archE1030ELNS1_3gpuE2ELNS1_3repE0EEENS1_30default_config_static_selectorELNS0_4arch9wavefront6targetE1EEEvT1_.kd
    .uniform_work_group_size: 1
    .uses_dynamic_stack: false
    .vgpr_count:     0
    .vgpr_spill_count: 0
    .wavefront_size: 64
  - .agpr_count:     0
    .args:
      - .offset:         0
        .size:           104
        .value_kind:     by_value
    .group_segment_fixed_size: 0
    .kernarg_segment_align: 8
    .kernarg_segment_size: 104
    .language:       OpenCL C
    .language_version:
      - 2
      - 0
    .max_flat_workgroup_size: 128
    .name:           _ZN7rocprim17ROCPRIM_400000_NS6detail17trampoline_kernelINS0_14default_configENS1_20scan_config_selectorIsEEZZNS1_9scan_implILNS1_25lookback_scan_determinismE0ELb1ELb1ES3_N6thrust23THRUST_200600_302600_NS6detail15normal_iteratorINS9_10device_ptrIsEEEENS9_16discard_iteratorINS9_11use_defaultEEEs11max_functorIsEsEEDaPvRmT3_T4_T5_mT6_P12ihipStream_tbENKUlT_T0_E_clISt17integral_constantIbLb0EESW_IbLb1EEEEDaSS_ST_EUlSS_E_NS1_11comp_targetILNS1_3genE0ELNS1_11target_archE4294967295ELNS1_3gpuE0ELNS1_3repE0EEENS1_30default_config_static_selectorELNS0_4arch9wavefront6targetE1EEEvT1_
    .private_segment_fixed_size: 0
    .sgpr_count:     4
    .sgpr_spill_count: 0
    .symbol:         _ZN7rocprim17ROCPRIM_400000_NS6detail17trampoline_kernelINS0_14default_configENS1_20scan_config_selectorIsEEZZNS1_9scan_implILNS1_25lookback_scan_determinismE0ELb1ELb1ES3_N6thrust23THRUST_200600_302600_NS6detail15normal_iteratorINS9_10device_ptrIsEEEENS9_16discard_iteratorINS9_11use_defaultEEEs11max_functorIsEsEEDaPvRmT3_T4_T5_mT6_P12ihipStream_tbENKUlT_T0_E_clISt17integral_constantIbLb0EESW_IbLb1EEEEDaSS_ST_EUlSS_E_NS1_11comp_targetILNS1_3genE0ELNS1_11target_archE4294967295ELNS1_3gpuE0ELNS1_3repE0EEENS1_30default_config_static_selectorELNS0_4arch9wavefront6targetE1EEEvT1_.kd
    .uniform_work_group_size: 1
    .uses_dynamic_stack: false
    .vgpr_count:     0
    .vgpr_spill_count: 0
    .wavefront_size: 64
  - .agpr_count:     0
    .args:
      - .offset:         0
        .size:           104
        .value_kind:     by_value
    .group_segment_fixed_size: 0
    .kernarg_segment_align: 8
    .kernarg_segment_size: 104
    .language:       OpenCL C
    .language_version:
      - 2
      - 0
    .max_flat_workgroup_size: 256
    .name:           _ZN7rocprim17ROCPRIM_400000_NS6detail17trampoline_kernelINS0_14default_configENS1_20scan_config_selectorIsEEZZNS1_9scan_implILNS1_25lookback_scan_determinismE0ELb1ELb1ES3_N6thrust23THRUST_200600_302600_NS6detail15normal_iteratorINS9_10device_ptrIsEEEENS9_16discard_iteratorINS9_11use_defaultEEEs11max_functorIsEsEEDaPvRmT3_T4_T5_mT6_P12ihipStream_tbENKUlT_T0_E_clISt17integral_constantIbLb0EESW_IbLb1EEEEDaSS_ST_EUlSS_E_NS1_11comp_targetILNS1_3genE5ELNS1_11target_archE942ELNS1_3gpuE9ELNS1_3repE0EEENS1_30default_config_static_selectorELNS0_4arch9wavefront6targetE1EEEvT1_
    .private_segment_fixed_size: 0
    .sgpr_count:     4
    .sgpr_spill_count: 0
    .symbol:         _ZN7rocprim17ROCPRIM_400000_NS6detail17trampoline_kernelINS0_14default_configENS1_20scan_config_selectorIsEEZZNS1_9scan_implILNS1_25lookback_scan_determinismE0ELb1ELb1ES3_N6thrust23THRUST_200600_302600_NS6detail15normal_iteratorINS9_10device_ptrIsEEEENS9_16discard_iteratorINS9_11use_defaultEEEs11max_functorIsEsEEDaPvRmT3_T4_T5_mT6_P12ihipStream_tbENKUlT_T0_E_clISt17integral_constantIbLb0EESW_IbLb1EEEEDaSS_ST_EUlSS_E_NS1_11comp_targetILNS1_3genE5ELNS1_11target_archE942ELNS1_3gpuE9ELNS1_3repE0EEENS1_30default_config_static_selectorELNS0_4arch9wavefront6targetE1EEEvT1_.kd
    .uniform_work_group_size: 1
    .uses_dynamic_stack: false
    .vgpr_count:     0
    .vgpr_spill_count: 0
    .wavefront_size: 64
  - .agpr_count:     0
    .args:
      - .offset:         0
        .size:           104
        .value_kind:     by_value
    .group_segment_fixed_size: 3072
    .kernarg_segment_align: 8
    .kernarg_segment_size: 104
    .language:       OpenCL C
    .language_version:
      - 2
      - 0
    .max_flat_workgroup_size: 64
    .name:           _ZN7rocprim17ROCPRIM_400000_NS6detail17trampoline_kernelINS0_14default_configENS1_20scan_config_selectorIsEEZZNS1_9scan_implILNS1_25lookback_scan_determinismE0ELb1ELb1ES3_N6thrust23THRUST_200600_302600_NS6detail15normal_iteratorINS9_10device_ptrIsEEEENS9_16discard_iteratorINS9_11use_defaultEEEs11max_functorIsEsEEDaPvRmT3_T4_T5_mT6_P12ihipStream_tbENKUlT_T0_E_clISt17integral_constantIbLb0EESW_IbLb1EEEEDaSS_ST_EUlSS_E_NS1_11comp_targetILNS1_3genE4ELNS1_11target_archE910ELNS1_3gpuE8ELNS1_3repE0EEENS1_30default_config_static_selectorELNS0_4arch9wavefront6targetE1EEEvT1_
    .private_segment_fixed_size: 0
    .sgpr_count:     36
    .sgpr_spill_count: 0
    .symbol:         _ZN7rocprim17ROCPRIM_400000_NS6detail17trampoline_kernelINS0_14default_configENS1_20scan_config_selectorIsEEZZNS1_9scan_implILNS1_25lookback_scan_determinismE0ELb1ELb1ES3_N6thrust23THRUST_200600_302600_NS6detail15normal_iteratorINS9_10device_ptrIsEEEENS9_16discard_iteratorINS9_11use_defaultEEEs11max_functorIsEsEEDaPvRmT3_T4_T5_mT6_P12ihipStream_tbENKUlT_T0_E_clISt17integral_constantIbLb0EESW_IbLb1EEEEDaSS_ST_EUlSS_E_NS1_11comp_targetILNS1_3genE4ELNS1_11target_archE910ELNS1_3gpuE8ELNS1_3repE0EEENS1_30default_config_static_selectorELNS0_4arch9wavefront6targetE1EEEvT1_.kd
    .uniform_work_group_size: 1
    .uses_dynamic_stack: false
    .vgpr_count:     57
    .vgpr_spill_count: 0
    .wavefront_size: 64
  - .agpr_count:     0
    .args:
      - .offset:         0
        .size:           104
        .value_kind:     by_value
    .group_segment_fixed_size: 0
    .kernarg_segment_align: 8
    .kernarg_segment_size: 104
    .language:       OpenCL C
    .language_version:
      - 2
      - 0
    .max_flat_workgroup_size: 128
    .name:           _ZN7rocprim17ROCPRIM_400000_NS6detail17trampoline_kernelINS0_14default_configENS1_20scan_config_selectorIsEEZZNS1_9scan_implILNS1_25lookback_scan_determinismE0ELb1ELb1ES3_N6thrust23THRUST_200600_302600_NS6detail15normal_iteratorINS9_10device_ptrIsEEEENS9_16discard_iteratorINS9_11use_defaultEEEs11max_functorIsEsEEDaPvRmT3_T4_T5_mT6_P12ihipStream_tbENKUlT_T0_E_clISt17integral_constantIbLb0EESW_IbLb1EEEEDaSS_ST_EUlSS_E_NS1_11comp_targetILNS1_3genE3ELNS1_11target_archE908ELNS1_3gpuE7ELNS1_3repE0EEENS1_30default_config_static_selectorELNS0_4arch9wavefront6targetE1EEEvT1_
    .private_segment_fixed_size: 0
    .sgpr_count:     4
    .sgpr_spill_count: 0
    .symbol:         _ZN7rocprim17ROCPRIM_400000_NS6detail17trampoline_kernelINS0_14default_configENS1_20scan_config_selectorIsEEZZNS1_9scan_implILNS1_25lookback_scan_determinismE0ELb1ELb1ES3_N6thrust23THRUST_200600_302600_NS6detail15normal_iteratorINS9_10device_ptrIsEEEENS9_16discard_iteratorINS9_11use_defaultEEEs11max_functorIsEsEEDaPvRmT3_T4_T5_mT6_P12ihipStream_tbENKUlT_T0_E_clISt17integral_constantIbLb0EESW_IbLb1EEEEDaSS_ST_EUlSS_E_NS1_11comp_targetILNS1_3genE3ELNS1_11target_archE908ELNS1_3gpuE7ELNS1_3repE0EEENS1_30default_config_static_selectorELNS0_4arch9wavefront6targetE1EEEvT1_.kd
    .uniform_work_group_size: 1
    .uses_dynamic_stack: false
    .vgpr_count:     0
    .vgpr_spill_count: 0
    .wavefront_size: 64
  - .agpr_count:     0
    .args:
      - .offset:         0
        .size:           104
        .value_kind:     by_value
    .group_segment_fixed_size: 0
    .kernarg_segment_align: 8
    .kernarg_segment_size: 104
    .language:       OpenCL C
    .language_version:
      - 2
      - 0
    .max_flat_workgroup_size: 256
    .name:           _ZN7rocprim17ROCPRIM_400000_NS6detail17trampoline_kernelINS0_14default_configENS1_20scan_config_selectorIsEEZZNS1_9scan_implILNS1_25lookback_scan_determinismE0ELb1ELb1ES3_N6thrust23THRUST_200600_302600_NS6detail15normal_iteratorINS9_10device_ptrIsEEEENS9_16discard_iteratorINS9_11use_defaultEEEs11max_functorIsEsEEDaPvRmT3_T4_T5_mT6_P12ihipStream_tbENKUlT_T0_E_clISt17integral_constantIbLb0EESW_IbLb1EEEEDaSS_ST_EUlSS_E_NS1_11comp_targetILNS1_3genE2ELNS1_11target_archE906ELNS1_3gpuE6ELNS1_3repE0EEENS1_30default_config_static_selectorELNS0_4arch9wavefront6targetE1EEEvT1_
    .private_segment_fixed_size: 0
    .sgpr_count:     4
    .sgpr_spill_count: 0
    .symbol:         _ZN7rocprim17ROCPRIM_400000_NS6detail17trampoline_kernelINS0_14default_configENS1_20scan_config_selectorIsEEZZNS1_9scan_implILNS1_25lookback_scan_determinismE0ELb1ELb1ES3_N6thrust23THRUST_200600_302600_NS6detail15normal_iteratorINS9_10device_ptrIsEEEENS9_16discard_iteratorINS9_11use_defaultEEEs11max_functorIsEsEEDaPvRmT3_T4_T5_mT6_P12ihipStream_tbENKUlT_T0_E_clISt17integral_constantIbLb0EESW_IbLb1EEEEDaSS_ST_EUlSS_E_NS1_11comp_targetILNS1_3genE2ELNS1_11target_archE906ELNS1_3gpuE6ELNS1_3repE0EEENS1_30default_config_static_selectorELNS0_4arch9wavefront6targetE1EEEvT1_.kd
    .uniform_work_group_size: 1
    .uses_dynamic_stack: false
    .vgpr_count:     0
    .vgpr_spill_count: 0
    .wavefront_size: 64
  - .agpr_count:     0
    .args:
      - .offset:         0
        .size:           104
        .value_kind:     by_value
    .group_segment_fixed_size: 0
    .kernarg_segment_align: 8
    .kernarg_segment_size: 104
    .language:       OpenCL C
    .language_version:
      - 2
      - 0
    .max_flat_workgroup_size: 256
    .name:           _ZN7rocprim17ROCPRIM_400000_NS6detail17trampoline_kernelINS0_14default_configENS1_20scan_config_selectorIsEEZZNS1_9scan_implILNS1_25lookback_scan_determinismE0ELb1ELb1ES3_N6thrust23THRUST_200600_302600_NS6detail15normal_iteratorINS9_10device_ptrIsEEEENS9_16discard_iteratorINS9_11use_defaultEEEs11max_functorIsEsEEDaPvRmT3_T4_T5_mT6_P12ihipStream_tbENKUlT_T0_E_clISt17integral_constantIbLb0EESW_IbLb1EEEEDaSS_ST_EUlSS_E_NS1_11comp_targetILNS1_3genE10ELNS1_11target_archE1201ELNS1_3gpuE5ELNS1_3repE0EEENS1_30default_config_static_selectorELNS0_4arch9wavefront6targetE1EEEvT1_
    .private_segment_fixed_size: 0
    .sgpr_count:     4
    .sgpr_spill_count: 0
    .symbol:         _ZN7rocprim17ROCPRIM_400000_NS6detail17trampoline_kernelINS0_14default_configENS1_20scan_config_selectorIsEEZZNS1_9scan_implILNS1_25lookback_scan_determinismE0ELb1ELb1ES3_N6thrust23THRUST_200600_302600_NS6detail15normal_iteratorINS9_10device_ptrIsEEEENS9_16discard_iteratorINS9_11use_defaultEEEs11max_functorIsEsEEDaPvRmT3_T4_T5_mT6_P12ihipStream_tbENKUlT_T0_E_clISt17integral_constantIbLb0EESW_IbLb1EEEEDaSS_ST_EUlSS_E_NS1_11comp_targetILNS1_3genE10ELNS1_11target_archE1201ELNS1_3gpuE5ELNS1_3repE0EEENS1_30default_config_static_selectorELNS0_4arch9wavefront6targetE1EEEvT1_.kd
    .uniform_work_group_size: 1
    .uses_dynamic_stack: false
    .vgpr_count:     0
    .vgpr_spill_count: 0
    .wavefront_size: 64
  - .agpr_count:     0
    .args:
      - .offset:         0
        .size:           104
        .value_kind:     by_value
    .group_segment_fixed_size: 0
    .kernarg_segment_align: 8
    .kernarg_segment_size: 104
    .language:       OpenCL C
    .language_version:
      - 2
      - 0
    .max_flat_workgroup_size: 256
    .name:           _ZN7rocprim17ROCPRIM_400000_NS6detail17trampoline_kernelINS0_14default_configENS1_20scan_config_selectorIsEEZZNS1_9scan_implILNS1_25lookback_scan_determinismE0ELb1ELb1ES3_N6thrust23THRUST_200600_302600_NS6detail15normal_iteratorINS9_10device_ptrIsEEEENS9_16discard_iteratorINS9_11use_defaultEEEs11max_functorIsEsEEDaPvRmT3_T4_T5_mT6_P12ihipStream_tbENKUlT_T0_E_clISt17integral_constantIbLb0EESW_IbLb1EEEEDaSS_ST_EUlSS_E_NS1_11comp_targetILNS1_3genE10ELNS1_11target_archE1200ELNS1_3gpuE4ELNS1_3repE0EEENS1_30default_config_static_selectorELNS0_4arch9wavefront6targetE1EEEvT1_
    .private_segment_fixed_size: 0
    .sgpr_count:     4
    .sgpr_spill_count: 0
    .symbol:         _ZN7rocprim17ROCPRIM_400000_NS6detail17trampoline_kernelINS0_14default_configENS1_20scan_config_selectorIsEEZZNS1_9scan_implILNS1_25lookback_scan_determinismE0ELb1ELb1ES3_N6thrust23THRUST_200600_302600_NS6detail15normal_iteratorINS9_10device_ptrIsEEEENS9_16discard_iteratorINS9_11use_defaultEEEs11max_functorIsEsEEDaPvRmT3_T4_T5_mT6_P12ihipStream_tbENKUlT_T0_E_clISt17integral_constantIbLb0EESW_IbLb1EEEEDaSS_ST_EUlSS_E_NS1_11comp_targetILNS1_3genE10ELNS1_11target_archE1200ELNS1_3gpuE4ELNS1_3repE0EEENS1_30default_config_static_selectorELNS0_4arch9wavefront6targetE1EEEvT1_.kd
    .uniform_work_group_size: 1
    .uses_dynamic_stack: false
    .vgpr_count:     0
    .vgpr_spill_count: 0
    .wavefront_size: 64
  - .agpr_count:     0
    .args:
      - .offset:         0
        .size:           104
        .value_kind:     by_value
    .group_segment_fixed_size: 0
    .kernarg_segment_align: 8
    .kernarg_segment_size: 104
    .language:       OpenCL C
    .language_version:
      - 2
      - 0
    .max_flat_workgroup_size: 64
    .name:           _ZN7rocprim17ROCPRIM_400000_NS6detail17trampoline_kernelINS0_14default_configENS1_20scan_config_selectorIsEEZZNS1_9scan_implILNS1_25lookback_scan_determinismE0ELb1ELb1ES3_N6thrust23THRUST_200600_302600_NS6detail15normal_iteratorINS9_10device_ptrIsEEEENS9_16discard_iteratorINS9_11use_defaultEEEs11max_functorIsEsEEDaPvRmT3_T4_T5_mT6_P12ihipStream_tbENKUlT_T0_E_clISt17integral_constantIbLb0EESW_IbLb1EEEEDaSS_ST_EUlSS_E_NS1_11comp_targetILNS1_3genE9ELNS1_11target_archE1100ELNS1_3gpuE3ELNS1_3repE0EEENS1_30default_config_static_selectorELNS0_4arch9wavefront6targetE1EEEvT1_
    .private_segment_fixed_size: 0
    .sgpr_count:     4
    .sgpr_spill_count: 0
    .symbol:         _ZN7rocprim17ROCPRIM_400000_NS6detail17trampoline_kernelINS0_14default_configENS1_20scan_config_selectorIsEEZZNS1_9scan_implILNS1_25lookback_scan_determinismE0ELb1ELb1ES3_N6thrust23THRUST_200600_302600_NS6detail15normal_iteratorINS9_10device_ptrIsEEEENS9_16discard_iteratorINS9_11use_defaultEEEs11max_functorIsEsEEDaPvRmT3_T4_T5_mT6_P12ihipStream_tbENKUlT_T0_E_clISt17integral_constantIbLb0EESW_IbLb1EEEEDaSS_ST_EUlSS_E_NS1_11comp_targetILNS1_3genE9ELNS1_11target_archE1100ELNS1_3gpuE3ELNS1_3repE0EEENS1_30default_config_static_selectorELNS0_4arch9wavefront6targetE1EEEvT1_.kd
    .uniform_work_group_size: 1
    .uses_dynamic_stack: false
    .vgpr_count:     0
    .vgpr_spill_count: 0
    .wavefront_size: 64
  - .agpr_count:     0
    .args:
      - .offset:         0
        .size:           104
        .value_kind:     by_value
    .group_segment_fixed_size: 0
    .kernarg_segment_align: 8
    .kernarg_segment_size: 104
    .language:       OpenCL C
    .language_version:
      - 2
      - 0
    .max_flat_workgroup_size: 64
    .name:           _ZN7rocprim17ROCPRIM_400000_NS6detail17trampoline_kernelINS0_14default_configENS1_20scan_config_selectorIsEEZZNS1_9scan_implILNS1_25lookback_scan_determinismE0ELb1ELb1ES3_N6thrust23THRUST_200600_302600_NS6detail15normal_iteratorINS9_10device_ptrIsEEEENS9_16discard_iteratorINS9_11use_defaultEEEs11max_functorIsEsEEDaPvRmT3_T4_T5_mT6_P12ihipStream_tbENKUlT_T0_E_clISt17integral_constantIbLb0EESW_IbLb1EEEEDaSS_ST_EUlSS_E_NS1_11comp_targetILNS1_3genE8ELNS1_11target_archE1030ELNS1_3gpuE2ELNS1_3repE0EEENS1_30default_config_static_selectorELNS0_4arch9wavefront6targetE1EEEvT1_
    .private_segment_fixed_size: 0
    .sgpr_count:     4
    .sgpr_spill_count: 0
    .symbol:         _ZN7rocprim17ROCPRIM_400000_NS6detail17trampoline_kernelINS0_14default_configENS1_20scan_config_selectorIsEEZZNS1_9scan_implILNS1_25lookback_scan_determinismE0ELb1ELb1ES3_N6thrust23THRUST_200600_302600_NS6detail15normal_iteratorINS9_10device_ptrIsEEEENS9_16discard_iteratorINS9_11use_defaultEEEs11max_functorIsEsEEDaPvRmT3_T4_T5_mT6_P12ihipStream_tbENKUlT_T0_E_clISt17integral_constantIbLb0EESW_IbLb1EEEEDaSS_ST_EUlSS_E_NS1_11comp_targetILNS1_3genE8ELNS1_11target_archE1030ELNS1_3gpuE2ELNS1_3repE0EEENS1_30default_config_static_selectorELNS0_4arch9wavefront6targetE1EEEvT1_.kd
    .uniform_work_group_size: 1
    .uses_dynamic_stack: false
    .vgpr_count:     0
    .vgpr_spill_count: 0
    .wavefront_size: 64
  - .agpr_count:     0
    .args:
      - .offset:         0
        .size:           40
        .value_kind:     by_value
    .group_segment_fixed_size: 0
    .kernarg_segment_align: 8
    .kernarg_segment_size: 40
    .language:       OpenCL C
    .language_version:
      - 2
      - 0
    .max_flat_workgroup_size: 128
    .name:           _ZN7rocprim17ROCPRIM_400000_NS6detail17trampoline_kernelINS0_14default_configENS1_20scan_config_selectorIsEEZZNS1_9scan_implILNS1_25lookback_scan_determinismE0ELb1ELb1ES3_N6thrust23THRUST_200600_302600_NS6detail15normal_iteratorINS9_10device_ptrIsEEEENS9_16discard_iteratorINS9_11use_defaultEEEs11max_functorIsEsEEDaPvRmT3_T4_T5_mT6_P12ihipStream_tbENKUlT_T0_E_clISt17integral_constantIbLb0EESW_IbLb1EEEEDaSS_ST_EUlSS_E0_NS1_11comp_targetILNS1_3genE0ELNS1_11target_archE4294967295ELNS1_3gpuE0ELNS1_3repE0EEENS1_30default_config_static_selectorELNS0_4arch9wavefront6targetE1EEEvT1_
    .private_segment_fixed_size: 0
    .sgpr_count:     4
    .sgpr_spill_count: 0
    .symbol:         _ZN7rocprim17ROCPRIM_400000_NS6detail17trampoline_kernelINS0_14default_configENS1_20scan_config_selectorIsEEZZNS1_9scan_implILNS1_25lookback_scan_determinismE0ELb1ELb1ES3_N6thrust23THRUST_200600_302600_NS6detail15normal_iteratorINS9_10device_ptrIsEEEENS9_16discard_iteratorINS9_11use_defaultEEEs11max_functorIsEsEEDaPvRmT3_T4_T5_mT6_P12ihipStream_tbENKUlT_T0_E_clISt17integral_constantIbLb0EESW_IbLb1EEEEDaSS_ST_EUlSS_E0_NS1_11comp_targetILNS1_3genE0ELNS1_11target_archE4294967295ELNS1_3gpuE0ELNS1_3repE0EEENS1_30default_config_static_selectorELNS0_4arch9wavefront6targetE1EEEvT1_.kd
    .uniform_work_group_size: 1
    .uses_dynamic_stack: false
    .vgpr_count:     0
    .vgpr_spill_count: 0
    .wavefront_size: 64
  - .agpr_count:     0
    .args:
      - .offset:         0
        .size:           40
        .value_kind:     by_value
    .group_segment_fixed_size: 0
    .kernarg_segment_align: 8
    .kernarg_segment_size: 40
    .language:       OpenCL C
    .language_version:
      - 2
      - 0
    .max_flat_workgroup_size: 256
    .name:           _ZN7rocprim17ROCPRIM_400000_NS6detail17trampoline_kernelINS0_14default_configENS1_20scan_config_selectorIsEEZZNS1_9scan_implILNS1_25lookback_scan_determinismE0ELb1ELb1ES3_N6thrust23THRUST_200600_302600_NS6detail15normal_iteratorINS9_10device_ptrIsEEEENS9_16discard_iteratorINS9_11use_defaultEEEs11max_functorIsEsEEDaPvRmT3_T4_T5_mT6_P12ihipStream_tbENKUlT_T0_E_clISt17integral_constantIbLb0EESW_IbLb1EEEEDaSS_ST_EUlSS_E0_NS1_11comp_targetILNS1_3genE5ELNS1_11target_archE942ELNS1_3gpuE9ELNS1_3repE0EEENS1_30default_config_static_selectorELNS0_4arch9wavefront6targetE1EEEvT1_
    .private_segment_fixed_size: 0
    .sgpr_count:     4
    .sgpr_spill_count: 0
    .symbol:         _ZN7rocprim17ROCPRIM_400000_NS6detail17trampoline_kernelINS0_14default_configENS1_20scan_config_selectorIsEEZZNS1_9scan_implILNS1_25lookback_scan_determinismE0ELb1ELb1ES3_N6thrust23THRUST_200600_302600_NS6detail15normal_iteratorINS9_10device_ptrIsEEEENS9_16discard_iteratorINS9_11use_defaultEEEs11max_functorIsEsEEDaPvRmT3_T4_T5_mT6_P12ihipStream_tbENKUlT_T0_E_clISt17integral_constantIbLb0EESW_IbLb1EEEEDaSS_ST_EUlSS_E0_NS1_11comp_targetILNS1_3genE5ELNS1_11target_archE942ELNS1_3gpuE9ELNS1_3repE0EEENS1_30default_config_static_selectorELNS0_4arch9wavefront6targetE1EEEvT1_.kd
    .uniform_work_group_size: 1
    .uses_dynamic_stack: false
    .vgpr_count:     0
    .vgpr_spill_count: 0
    .wavefront_size: 64
  - .agpr_count:     0
    .args:
      - .offset:         0
        .size:           40
        .value_kind:     by_value
    .group_segment_fixed_size: 3072
    .kernarg_segment_align: 8
    .kernarg_segment_size: 40
    .language:       OpenCL C
    .language_version:
      - 2
      - 0
    .max_flat_workgroup_size: 64
    .name:           _ZN7rocprim17ROCPRIM_400000_NS6detail17trampoline_kernelINS0_14default_configENS1_20scan_config_selectorIsEEZZNS1_9scan_implILNS1_25lookback_scan_determinismE0ELb1ELb1ES3_N6thrust23THRUST_200600_302600_NS6detail15normal_iteratorINS9_10device_ptrIsEEEENS9_16discard_iteratorINS9_11use_defaultEEEs11max_functorIsEsEEDaPvRmT3_T4_T5_mT6_P12ihipStream_tbENKUlT_T0_E_clISt17integral_constantIbLb0EESW_IbLb1EEEEDaSS_ST_EUlSS_E0_NS1_11comp_targetILNS1_3genE4ELNS1_11target_archE910ELNS1_3gpuE8ELNS1_3repE0EEENS1_30default_config_static_selectorELNS0_4arch9wavefront6targetE1EEEvT1_
    .private_segment_fixed_size: 0
    .sgpr_count:     12
    .sgpr_spill_count: 0
    .symbol:         _ZN7rocprim17ROCPRIM_400000_NS6detail17trampoline_kernelINS0_14default_configENS1_20scan_config_selectorIsEEZZNS1_9scan_implILNS1_25lookback_scan_determinismE0ELb1ELb1ES3_N6thrust23THRUST_200600_302600_NS6detail15normal_iteratorINS9_10device_ptrIsEEEENS9_16discard_iteratorINS9_11use_defaultEEEs11max_functorIsEsEEDaPvRmT3_T4_T5_mT6_P12ihipStream_tbENKUlT_T0_E_clISt17integral_constantIbLb0EESW_IbLb1EEEEDaSS_ST_EUlSS_E0_NS1_11comp_targetILNS1_3genE4ELNS1_11target_archE910ELNS1_3gpuE8ELNS1_3repE0EEENS1_30default_config_static_selectorELNS0_4arch9wavefront6targetE1EEEvT1_.kd
    .uniform_work_group_size: 1
    .uses_dynamic_stack: false
    .vgpr_count:     29
    .vgpr_spill_count: 0
    .wavefront_size: 64
  - .agpr_count:     0
    .args:
      - .offset:         0
        .size:           40
        .value_kind:     by_value
    .group_segment_fixed_size: 0
    .kernarg_segment_align: 8
    .kernarg_segment_size: 40
    .language:       OpenCL C
    .language_version:
      - 2
      - 0
    .max_flat_workgroup_size: 128
    .name:           _ZN7rocprim17ROCPRIM_400000_NS6detail17trampoline_kernelINS0_14default_configENS1_20scan_config_selectorIsEEZZNS1_9scan_implILNS1_25lookback_scan_determinismE0ELb1ELb1ES3_N6thrust23THRUST_200600_302600_NS6detail15normal_iteratorINS9_10device_ptrIsEEEENS9_16discard_iteratorINS9_11use_defaultEEEs11max_functorIsEsEEDaPvRmT3_T4_T5_mT6_P12ihipStream_tbENKUlT_T0_E_clISt17integral_constantIbLb0EESW_IbLb1EEEEDaSS_ST_EUlSS_E0_NS1_11comp_targetILNS1_3genE3ELNS1_11target_archE908ELNS1_3gpuE7ELNS1_3repE0EEENS1_30default_config_static_selectorELNS0_4arch9wavefront6targetE1EEEvT1_
    .private_segment_fixed_size: 0
    .sgpr_count:     4
    .sgpr_spill_count: 0
    .symbol:         _ZN7rocprim17ROCPRIM_400000_NS6detail17trampoline_kernelINS0_14default_configENS1_20scan_config_selectorIsEEZZNS1_9scan_implILNS1_25lookback_scan_determinismE0ELb1ELb1ES3_N6thrust23THRUST_200600_302600_NS6detail15normal_iteratorINS9_10device_ptrIsEEEENS9_16discard_iteratorINS9_11use_defaultEEEs11max_functorIsEsEEDaPvRmT3_T4_T5_mT6_P12ihipStream_tbENKUlT_T0_E_clISt17integral_constantIbLb0EESW_IbLb1EEEEDaSS_ST_EUlSS_E0_NS1_11comp_targetILNS1_3genE3ELNS1_11target_archE908ELNS1_3gpuE7ELNS1_3repE0EEENS1_30default_config_static_selectorELNS0_4arch9wavefront6targetE1EEEvT1_.kd
    .uniform_work_group_size: 1
    .uses_dynamic_stack: false
    .vgpr_count:     0
    .vgpr_spill_count: 0
    .wavefront_size: 64
  - .agpr_count:     0
    .args:
      - .offset:         0
        .size:           40
        .value_kind:     by_value
    .group_segment_fixed_size: 0
    .kernarg_segment_align: 8
    .kernarg_segment_size: 40
    .language:       OpenCL C
    .language_version:
      - 2
      - 0
    .max_flat_workgroup_size: 256
    .name:           _ZN7rocprim17ROCPRIM_400000_NS6detail17trampoline_kernelINS0_14default_configENS1_20scan_config_selectorIsEEZZNS1_9scan_implILNS1_25lookback_scan_determinismE0ELb1ELb1ES3_N6thrust23THRUST_200600_302600_NS6detail15normal_iteratorINS9_10device_ptrIsEEEENS9_16discard_iteratorINS9_11use_defaultEEEs11max_functorIsEsEEDaPvRmT3_T4_T5_mT6_P12ihipStream_tbENKUlT_T0_E_clISt17integral_constantIbLb0EESW_IbLb1EEEEDaSS_ST_EUlSS_E0_NS1_11comp_targetILNS1_3genE2ELNS1_11target_archE906ELNS1_3gpuE6ELNS1_3repE0EEENS1_30default_config_static_selectorELNS0_4arch9wavefront6targetE1EEEvT1_
    .private_segment_fixed_size: 0
    .sgpr_count:     4
    .sgpr_spill_count: 0
    .symbol:         _ZN7rocprim17ROCPRIM_400000_NS6detail17trampoline_kernelINS0_14default_configENS1_20scan_config_selectorIsEEZZNS1_9scan_implILNS1_25lookback_scan_determinismE0ELb1ELb1ES3_N6thrust23THRUST_200600_302600_NS6detail15normal_iteratorINS9_10device_ptrIsEEEENS9_16discard_iteratorINS9_11use_defaultEEEs11max_functorIsEsEEDaPvRmT3_T4_T5_mT6_P12ihipStream_tbENKUlT_T0_E_clISt17integral_constantIbLb0EESW_IbLb1EEEEDaSS_ST_EUlSS_E0_NS1_11comp_targetILNS1_3genE2ELNS1_11target_archE906ELNS1_3gpuE6ELNS1_3repE0EEENS1_30default_config_static_selectorELNS0_4arch9wavefront6targetE1EEEvT1_.kd
    .uniform_work_group_size: 1
    .uses_dynamic_stack: false
    .vgpr_count:     0
    .vgpr_spill_count: 0
    .wavefront_size: 64
  - .agpr_count:     0
    .args:
      - .offset:         0
        .size:           40
        .value_kind:     by_value
    .group_segment_fixed_size: 0
    .kernarg_segment_align: 8
    .kernarg_segment_size: 40
    .language:       OpenCL C
    .language_version:
      - 2
      - 0
    .max_flat_workgroup_size: 256
    .name:           _ZN7rocprim17ROCPRIM_400000_NS6detail17trampoline_kernelINS0_14default_configENS1_20scan_config_selectorIsEEZZNS1_9scan_implILNS1_25lookback_scan_determinismE0ELb1ELb1ES3_N6thrust23THRUST_200600_302600_NS6detail15normal_iteratorINS9_10device_ptrIsEEEENS9_16discard_iteratorINS9_11use_defaultEEEs11max_functorIsEsEEDaPvRmT3_T4_T5_mT6_P12ihipStream_tbENKUlT_T0_E_clISt17integral_constantIbLb0EESW_IbLb1EEEEDaSS_ST_EUlSS_E0_NS1_11comp_targetILNS1_3genE10ELNS1_11target_archE1201ELNS1_3gpuE5ELNS1_3repE0EEENS1_30default_config_static_selectorELNS0_4arch9wavefront6targetE1EEEvT1_
    .private_segment_fixed_size: 0
    .sgpr_count:     4
    .sgpr_spill_count: 0
    .symbol:         _ZN7rocprim17ROCPRIM_400000_NS6detail17trampoline_kernelINS0_14default_configENS1_20scan_config_selectorIsEEZZNS1_9scan_implILNS1_25lookback_scan_determinismE0ELb1ELb1ES3_N6thrust23THRUST_200600_302600_NS6detail15normal_iteratorINS9_10device_ptrIsEEEENS9_16discard_iteratorINS9_11use_defaultEEEs11max_functorIsEsEEDaPvRmT3_T4_T5_mT6_P12ihipStream_tbENKUlT_T0_E_clISt17integral_constantIbLb0EESW_IbLb1EEEEDaSS_ST_EUlSS_E0_NS1_11comp_targetILNS1_3genE10ELNS1_11target_archE1201ELNS1_3gpuE5ELNS1_3repE0EEENS1_30default_config_static_selectorELNS0_4arch9wavefront6targetE1EEEvT1_.kd
    .uniform_work_group_size: 1
    .uses_dynamic_stack: false
    .vgpr_count:     0
    .vgpr_spill_count: 0
    .wavefront_size: 64
  - .agpr_count:     0
    .args:
      - .offset:         0
        .size:           40
        .value_kind:     by_value
    .group_segment_fixed_size: 0
    .kernarg_segment_align: 8
    .kernarg_segment_size: 40
    .language:       OpenCL C
    .language_version:
      - 2
      - 0
    .max_flat_workgroup_size: 256
    .name:           _ZN7rocprim17ROCPRIM_400000_NS6detail17trampoline_kernelINS0_14default_configENS1_20scan_config_selectorIsEEZZNS1_9scan_implILNS1_25lookback_scan_determinismE0ELb1ELb1ES3_N6thrust23THRUST_200600_302600_NS6detail15normal_iteratorINS9_10device_ptrIsEEEENS9_16discard_iteratorINS9_11use_defaultEEEs11max_functorIsEsEEDaPvRmT3_T4_T5_mT6_P12ihipStream_tbENKUlT_T0_E_clISt17integral_constantIbLb0EESW_IbLb1EEEEDaSS_ST_EUlSS_E0_NS1_11comp_targetILNS1_3genE10ELNS1_11target_archE1200ELNS1_3gpuE4ELNS1_3repE0EEENS1_30default_config_static_selectorELNS0_4arch9wavefront6targetE1EEEvT1_
    .private_segment_fixed_size: 0
    .sgpr_count:     4
    .sgpr_spill_count: 0
    .symbol:         _ZN7rocprim17ROCPRIM_400000_NS6detail17trampoline_kernelINS0_14default_configENS1_20scan_config_selectorIsEEZZNS1_9scan_implILNS1_25lookback_scan_determinismE0ELb1ELb1ES3_N6thrust23THRUST_200600_302600_NS6detail15normal_iteratorINS9_10device_ptrIsEEEENS9_16discard_iteratorINS9_11use_defaultEEEs11max_functorIsEsEEDaPvRmT3_T4_T5_mT6_P12ihipStream_tbENKUlT_T0_E_clISt17integral_constantIbLb0EESW_IbLb1EEEEDaSS_ST_EUlSS_E0_NS1_11comp_targetILNS1_3genE10ELNS1_11target_archE1200ELNS1_3gpuE4ELNS1_3repE0EEENS1_30default_config_static_selectorELNS0_4arch9wavefront6targetE1EEEvT1_.kd
    .uniform_work_group_size: 1
    .uses_dynamic_stack: false
    .vgpr_count:     0
    .vgpr_spill_count: 0
    .wavefront_size: 64
  - .agpr_count:     0
    .args:
      - .offset:         0
        .size:           40
        .value_kind:     by_value
    .group_segment_fixed_size: 0
    .kernarg_segment_align: 8
    .kernarg_segment_size: 40
    .language:       OpenCL C
    .language_version:
      - 2
      - 0
    .max_flat_workgroup_size: 64
    .name:           _ZN7rocprim17ROCPRIM_400000_NS6detail17trampoline_kernelINS0_14default_configENS1_20scan_config_selectorIsEEZZNS1_9scan_implILNS1_25lookback_scan_determinismE0ELb1ELb1ES3_N6thrust23THRUST_200600_302600_NS6detail15normal_iteratorINS9_10device_ptrIsEEEENS9_16discard_iteratorINS9_11use_defaultEEEs11max_functorIsEsEEDaPvRmT3_T4_T5_mT6_P12ihipStream_tbENKUlT_T0_E_clISt17integral_constantIbLb0EESW_IbLb1EEEEDaSS_ST_EUlSS_E0_NS1_11comp_targetILNS1_3genE9ELNS1_11target_archE1100ELNS1_3gpuE3ELNS1_3repE0EEENS1_30default_config_static_selectorELNS0_4arch9wavefront6targetE1EEEvT1_
    .private_segment_fixed_size: 0
    .sgpr_count:     4
    .sgpr_spill_count: 0
    .symbol:         _ZN7rocprim17ROCPRIM_400000_NS6detail17trampoline_kernelINS0_14default_configENS1_20scan_config_selectorIsEEZZNS1_9scan_implILNS1_25lookback_scan_determinismE0ELb1ELb1ES3_N6thrust23THRUST_200600_302600_NS6detail15normal_iteratorINS9_10device_ptrIsEEEENS9_16discard_iteratorINS9_11use_defaultEEEs11max_functorIsEsEEDaPvRmT3_T4_T5_mT6_P12ihipStream_tbENKUlT_T0_E_clISt17integral_constantIbLb0EESW_IbLb1EEEEDaSS_ST_EUlSS_E0_NS1_11comp_targetILNS1_3genE9ELNS1_11target_archE1100ELNS1_3gpuE3ELNS1_3repE0EEENS1_30default_config_static_selectorELNS0_4arch9wavefront6targetE1EEEvT1_.kd
    .uniform_work_group_size: 1
    .uses_dynamic_stack: false
    .vgpr_count:     0
    .vgpr_spill_count: 0
    .wavefront_size: 64
  - .agpr_count:     0
    .args:
      - .offset:         0
        .size:           40
        .value_kind:     by_value
    .group_segment_fixed_size: 0
    .kernarg_segment_align: 8
    .kernarg_segment_size: 40
    .language:       OpenCL C
    .language_version:
      - 2
      - 0
    .max_flat_workgroup_size: 64
    .name:           _ZN7rocprim17ROCPRIM_400000_NS6detail17trampoline_kernelINS0_14default_configENS1_20scan_config_selectorIsEEZZNS1_9scan_implILNS1_25lookback_scan_determinismE0ELb1ELb1ES3_N6thrust23THRUST_200600_302600_NS6detail15normal_iteratorINS9_10device_ptrIsEEEENS9_16discard_iteratorINS9_11use_defaultEEEs11max_functorIsEsEEDaPvRmT3_T4_T5_mT6_P12ihipStream_tbENKUlT_T0_E_clISt17integral_constantIbLb0EESW_IbLb1EEEEDaSS_ST_EUlSS_E0_NS1_11comp_targetILNS1_3genE8ELNS1_11target_archE1030ELNS1_3gpuE2ELNS1_3repE0EEENS1_30default_config_static_selectorELNS0_4arch9wavefront6targetE1EEEvT1_
    .private_segment_fixed_size: 0
    .sgpr_count:     4
    .sgpr_spill_count: 0
    .symbol:         _ZN7rocprim17ROCPRIM_400000_NS6detail17trampoline_kernelINS0_14default_configENS1_20scan_config_selectorIsEEZZNS1_9scan_implILNS1_25lookback_scan_determinismE0ELb1ELb1ES3_N6thrust23THRUST_200600_302600_NS6detail15normal_iteratorINS9_10device_ptrIsEEEENS9_16discard_iteratorINS9_11use_defaultEEEs11max_functorIsEsEEDaPvRmT3_T4_T5_mT6_P12ihipStream_tbENKUlT_T0_E_clISt17integral_constantIbLb0EESW_IbLb1EEEEDaSS_ST_EUlSS_E0_NS1_11comp_targetILNS1_3genE8ELNS1_11target_archE1030ELNS1_3gpuE2ELNS1_3repE0EEENS1_30default_config_static_selectorELNS0_4arch9wavefront6targetE1EEEvT1_.kd
    .uniform_work_group_size: 1
    .uses_dynamic_stack: false
    .vgpr_count:     0
    .vgpr_spill_count: 0
    .wavefront_size: 64
  - .agpr_count:     0
    .args:
      - .offset:         0
        .size:           104
        .value_kind:     by_value
    .group_segment_fixed_size: 0
    .kernarg_segment_align: 8
    .kernarg_segment_size: 104
    .language:       OpenCL C
    .language_version:
      - 2
      - 0
    .max_flat_workgroup_size: 256
    .name:           _ZN7rocprim17ROCPRIM_400000_NS6detail17trampoline_kernelINS0_14default_configENS1_20scan_config_selectorIdEEZZNS1_9scan_implILNS1_25lookback_scan_determinismE0ELb0ELb0ES3_N6thrust23THRUST_200600_302600_NS6detail15normal_iteratorINS9_10device_ptrIdEEEESE_dNS9_4plusIvEEdEEDaPvRmT3_T4_T5_mT6_P12ihipStream_tbENKUlT_T0_E_clISt17integral_constantIbLb0EESU_EEDaSP_SQ_EUlSP_E_NS1_11comp_targetILNS1_3genE0ELNS1_11target_archE4294967295ELNS1_3gpuE0ELNS1_3repE0EEENS1_30default_config_static_selectorELNS0_4arch9wavefront6targetE1EEEvT1_
    .private_segment_fixed_size: 0
    .sgpr_count:     4
    .sgpr_spill_count: 0
    .symbol:         _ZN7rocprim17ROCPRIM_400000_NS6detail17trampoline_kernelINS0_14default_configENS1_20scan_config_selectorIdEEZZNS1_9scan_implILNS1_25lookback_scan_determinismE0ELb0ELb0ES3_N6thrust23THRUST_200600_302600_NS6detail15normal_iteratorINS9_10device_ptrIdEEEESE_dNS9_4plusIvEEdEEDaPvRmT3_T4_T5_mT6_P12ihipStream_tbENKUlT_T0_E_clISt17integral_constantIbLb0EESU_EEDaSP_SQ_EUlSP_E_NS1_11comp_targetILNS1_3genE0ELNS1_11target_archE4294967295ELNS1_3gpuE0ELNS1_3repE0EEENS1_30default_config_static_selectorELNS0_4arch9wavefront6targetE1EEEvT1_.kd
    .uniform_work_group_size: 1
    .uses_dynamic_stack: false
    .vgpr_count:     0
    .vgpr_spill_count: 0
    .wavefront_size: 64
  - .agpr_count:     0
    .args:
      - .offset:         0
        .size:           104
        .value_kind:     by_value
    .group_segment_fixed_size: 0
    .kernarg_segment_align: 8
    .kernarg_segment_size: 104
    .language:       OpenCL C
    .language_version:
      - 2
      - 0
    .max_flat_workgroup_size: 256
    .name:           _ZN7rocprim17ROCPRIM_400000_NS6detail17trampoline_kernelINS0_14default_configENS1_20scan_config_selectorIdEEZZNS1_9scan_implILNS1_25lookback_scan_determinismE0ELb0ELb0ES3_N6thrust23THRUST_200600_302600_NS6detail15normal_iteratorINS9_10device_ptrIdEEEESE_dNS9_4plusIvEEdEEDaPvRmT3_T4_T5_mT6_P12ihipStream_tbENKUlT_T0_E_clISt17integral_constantIbLb0EESU_EEDaSP_SQ_EUlSP_E_NS1_11comp_targetILNS1_3genE5ELNS1_11target_archE942ELNS1_3gpuE9ELNS1_3repE0EEENS1_30default_config_static_selectorELNS0_4arch9wavefront6targetE1EEEvT1_
    .private_segment_fixed_size: 0
    .sgpr_count:     4
    .sgpr_spill_count: 0
    .symbol:         _ZN7rocprim17ROCPRIM_400000_NS6detail17trampoline_kernelINS0_14default_configENS1_20scan_config_selectorIdEEZZNS1_9scan_implILNS1_25lookback_scan_determinismE0ELb0ELb0ES3_N6thrust23THRUST_200600_302600_NS6detail15normal_iteratorINS9_10device_ptrIdEEEESE_dNS9_4plusIvEEdEEDaPvRmT3_T4_T5_mT6_P12ihipStream_tbENKUlT_T0_E_clISt17integral_constantIbLb0EESU_EEDaSP_SQ_EUlSP_E_NS1_11comp_targetILNS1_3genE5ELNS1_11target_archE942ELNS1_3gpuE9ELNS1_3repE0EEENS1_30default_config_static_selectorELNS0_4arch9wavefront6targetE1EEEvT1_.kd
    .uniform_work_group_size: 1
    .uses_dynamic_stack: false
    .vgpr_count:     0
    .vgpr_spill_count: 0
    .wavefront_size: 64
  - .agpr_count:     0
    .args:
      - .offset:         0
        .size:           104
        .value_kind:     by_value
    .group_segment_fixed_size: 10240
    .kernarg_segment_align: 8
    .kernarg_segment_size: 104
    .language:       OpenCL C
    .language_version:
      - 2
      - 0
    .max_flat_workgroup_size: 128
    .name:           _ZN7rocprim17ROCPRIM_400000_NS6detail17trampoline_kernelINS0_14default_configENS1_20scan_config_selectorIdEEZZNS1_9scan_implILNS1_25lookback_scan_determinismE0ELb0ELb0ES3_N6thrust23THRUST_200600_302600_NS6detail15normal_iteratorINS9_10device_ptrIdEEEESE_dNS9_4plusIvEEdEEDaPvRmT3_T4_T5_mT6_P12ihipStream_tbENKUlT_T0_E_clISt17integral_constantIbLb0EESU_EEDaSP_SQ_EUlSP_E_NS1_11comp_targetILNS1_3genE4ELNS1_11target_archE910ELNS1_3gpuE8ELNS1_3repE0EEENS1_30default_config_static_selectorELNS0_4arch9wavefront6targetE1EEEvT1_
    .private_segment_fixed_size: 0
    .sgpr_count:     32
    .sgpr_spill_count: 0
    .symbol:         _ZN7rocprim17ROCPRIM_400000_NS6detail17trampoline_kernelINS0_14default_configENS1_20scan_config_selectorIdEEZZNS1_9scan_implILNS1_25lookback_scan_determinismE0ELb0ELb0ES3_N6thrust23THRUST_200600_302600_NS6detail15normal_iteratorINS9_10device_ptrIdEEEESE_dNS9_4plusIvEEdEEDaPvRmT3_T4_T5_mT6_P12ihipStream_tbENKUlT_T0_E_clISt17integral_constantIbLb0EESU_EEDaSP_SQ_EUlSP_E_NS1_11comp_targetILNS1_3genE4ELNS1_11target_archE910ELNS1_3gpuE8ELNS1_3repE0EEENS1_30default_config_static_selectorELNS0_4arch9wavefront6targetE1EEEvT1_.kd
    .uniform_work_group_size: 1
    .uses_dynamic_stack: false
    .vgpr_count:     66
    .vgpr_spill_count: 0
    .wavefront_size: 64
  - .agpr_count:     0
    .args:
      - .offset:         0
        .size:           104
        .value_kind:     by_value
    .group_segment_fixed_size: 0
    .kernarg_segment_align: 8
    .kernarg_segment_size: 104
    .language:       OpenCL C
    .language_version:
      - 2
      - 0
    .max_flat_workgroup_size: 256
    .name:           _ZN7rocprim17ROCPRIM_400000_NS6detail17trampoline_kernelINS0_14default_configENS1_20scan_config_selectorIdEEZZNS1_9scan_implILNS1_25lookback_scan_determinismE0ELb0ELb0ES3_N6thrust23THRUST_200600_302600_NS6detail15normal_iteratorINS9_10device_ptrIdEEEESE_dNS9_4plusIvEEdEEDaPvRmT3_T4_T5_mT6_P12ihipStream_tbENKUlT_T0_E_clISt17integral_constantIbLb0EESU_EEDaSP_SQ_EUlSP_E_NS1_11comp_targetILNS1_3genE3ELNS1_11target_archE908ELNS1_3gpuE7ELNS1_3repE0EEENS1_30default_config_static_selectorELNS0_4arch9wavefront6targetE1EEEvT1_
    .private_segment_fixed_size: 0
    .sgpr_count:     4
    .sgpr_spill_count: 0
    .symbol:         _ZN7rocprim17ROCPRIM_400000_NS6detail17trampoline_kernelINS0_14default_configENS1_20scan_config_selectorIdEEZZNS1_9scan_implILNS1_25lookback_scan_determinismE0ELb0ELb0ES3_N6thrust23THRUST_200600_302600_NS6detail15normal_iteratorINS9_10device_ptrIdEEEESE_dNS9_4plusIvEEdEEDaPvRmT3_T4_T5_mT6_P12ihipStream_tbENKUlT_T0_E_clISt17integral_constantIbLb0EESU_EEDaSP_SQ_EUlSP_E_NS1_11comp_targetILNS1_3genE3ELNS1_11target_archE908ELNS1_3gpuE7ELNS1_3repE0EEENS1_30default_config_static_selectorELNS0_4arch9wavefront6targetE1EEEvT1_.kd
    .uniform_work_group_size: 1
    .uses_dynamic_stack: false
    .vgpr_count:     0
    .vgpr_spill_count: 0
    .wavefront_size: 64
  - .agpr_count:     0
    .args:
      - .offset:         0
        .size:           104
        .value_kind:     by_value
    .group_segment_fixed_size: 0
    .kernarg_segment_align: 8
    .kernarg_segment_size: 104
    .language:       OpenCL C
    .language_version:
      - 2
      - 0
    .max_flat_workgroup_size: 128
    .name:           _ZN7rocprim17ROCPRIM_400000_NS6detail17trampoline_kernelINS0_14default_configENS1_20scan_config_selectorIdEEZZNS1_9scan_implILNS1_25lookback_scan_determinismE0ELb0ELb0ES3_N6thrust23THRUST_200600_302600_NS6detail15normal_iteratorINS9_10device_ptrIdEEEESE_dNS9_4plusIvEEdEEDaPvRmT3_T4_T5_mT6_P12ihipStream_tbENKUlT_T0_E_clISt17integral_constantIbLb0EESU_EEDaSP_SQ_EUlSP_E_NS1_11comp_targetILNS1_3genE2ELNS1_11target_archE906ELNS1_3gpuE6ELNS1_3repE0EEENS1_30default_config_static_selectorELNS0_4arch9wavefront6targetE1EEEvT1_
    .private_segment_fixed_size: 0
    .sgpr_count:     4
    .sgpr_spill_count: 0
    .symbol:         _ZN7rocprim17ROCPRIM_400000_NS6detail17trampoline_kernelINS0_14default_configENS1_20scan_config_selectorIdEEZZNS1_9scan_implILNS1_25lookback_scan_determinismE0ELb0ELb0ES3_N6thrust23THRUST_200600_302600_NS6detail15normal_iteratorINS9_10device_ptrIdEEEESE_dNS9_4plusIvEEdEEDaPvRmT3_T4_T5_mT6_P12ihipStream_tbENKUlT_T0_E_clISt17integral_constantIbLb0EESU_EEDaSP_SQ_EUlSP_E_NS1_11comp_targetILNS1_3genE2ELNS1_11target_archE906ELNS1_3gpuE6ELNS1_3repE0EEENS1_30default_config_static_selectorELNS0_4arch9wavefront6targetE1EEEvT1_.kd
    .uniform_work_group_size: 1
    .uses_dynamic_stack: false
    .vgpr_count:     0
    .vgpr_spill_count: 0
    .wavefront_size: 64
  - .agpr_count:     0
    .args:
      - .offset:         0
        .size:           104
        .value_kind:     by_value
    .group_segment_fixed_size: 0
    .kernarg_segment_align: 8
    .kernarg_segment_size: 104
    .language:       OpenCL C
    .language_version:
      - 2
      - 0
    .max_flat_workgroup_size: 256
    .name:           _ZN7rocprim17ROCPRIM_400000_NS6detail17trampoline_kernelINS0_14default_configENS1_20scan_config_selectorIdEEZZNS1_9scan_implILNS1_25lookback_scan_determinismE0ELb0ELb0ES3_N6thrust23THRUST_200600_302600_NS6detail15normal_iteratorINS9_10device_ptrIdEEEESE_dNS9_4plusIvEEdEEDaPvRmT3_T4_T5_mT6_P12ihipStream_tbENKUlT_T0_E_clISt17integral_constantIbLb0EESU_EEDaSP_SQ_EUlSP_E_NS1_11comp_targetILNS1_3genE10ELNS1_11target_archE1201ELNS1_3gpuE5ELNS1_3repE0EEENS1_30default_config_static_selectorELNS0_4arch9wavefront6targetE1EEEvT1_
    .private_segment_fixed_size: 0
    .sgpr_count:     4
    .sgpr_spill_count: 0
    .symbol:         _ZN7rocprim17ROCPRIM_400000_NS6detail17trampoline_kernelINS0_14default_configENS1_20scan_config_selectorIdEEZZNS1_9scan_implILNS1_25lookback_scan_determinismE0ELb0ELb0ES3_N6thrust23THRUST_200600_302600_NS6detail15normal_iteratorINS9_10device_ptrIdEEEESE_dNS9_4plusIvEEdEEDaPvRmT3_T4_T5_mT6_P12ihipStream_tbENKUlT_T0_E_clISt17integral_constantIbLb0EESU_EEDaSP_SQ_EUlSP_E_NS1_11comp_targetILNS1_3genE10ELNS1_11target_archE1201ELNS1_3gpuE5ELNS1_3repE0EEENS1_30default_config_static_selectorELNS0_4arch9wavefront6targetE1EEEvT1_.kd
    .uniform_work_group_size: 1
    .uses_dynamic_stack: false
    .vgpr_count:     0
    .vgpr_spill_count: 0
    .wavefront_size: 64
  - .agpr_count:     0
    .args:
      - .offset:         0
        .size:           104
        .value_kind:     by_value
    .group_segment_fixed_size: 0
    .kernarg_segment_align: 8
    .kernarg_segment_size: 104
    .language:       OpenCL C
    .language_version:
      - 2
      - 0
    .max_flat_workgroup_size: 256
    .name:           _ZN7rocprim17ROCPRIM_400000_NS6detail17trampoline_kernelINS0_14default_configENS1_20scan_config_selectorIdEEZZNS1_9scan_implILNS1_25lookback_scan_determinismE0ELb0ELb0ES3_N6thrust23THRUST_200600_302600_NS6detail15normal_iteratorINS9_10device_ptrIdEEEESE_dNS9_4plusIvEEdEEDaPvRmT3_T4_T5_mT6_P12ihipStream_tbENKUlT_T0_E_clISt17integral_constantIbLb0EESU_EEDaSP_SQ_EUlSP_E_NS1_11comp_targetILNS1_3genE10ELNS1_11target_archE1200ELNS1_3gpuE4ELNS1_3repE0EEENS1_30default_config_static_selectorELNS0_4arch9wavefront6targetE1EEEvT1_
    .private_segment_fixed_size: 0
    .sgpr_count:     4
    .sgpr_spill_count: 0
    .symbol:         _ZN7rocprim17ROCPRIM_400000_NS6detail17trampoline_kernelINS0_14default_configENS1_20scan_config_selectorIdEEZZNS1_9scan_implILNS1_25lookback_scan_determinismE0ELb0ELb0ES3_N6thrust23THRUST_200600_302600_NS6detail15normal_iteratorINS9_10device_ptrIdEEEESE_dNS9_4plusIvEEdEEDaPvRmT3_T4_T5_mT6_P12ihipStream_tbENKUlT_T0_E_clISt17integral_constantIbLb0EESU_EEDaSP_SQ_EUlSP_E_NS1_11comp_targetILNS1_3genE10ELNS1_11target_archE1200ELNS1_3gpuE4ELNS1_3repE0EEENS1_30default_config_static_selectorELNS0_4arch9wavefront6targetE1EEEvT1_.kd
    .uniform_work_group_size: 1
    .uses_dynamic_stack: false
    .vgpr_count:     0
    .vgpr_spill_count: 0
    .wavefront_size: 64
  - .agpr_count:     0
    .args:
      - .offset:         0
        .size:           104
        .value_kind:     by_value
    .group_segment_fixed_size: 0
    .kernarg_segment_align: 8
    .kernarg_segment_size: 104
    .language:       OpenCL C
    .language_version:
      - 2
      - 0
    .max_flat_workgroup_size: 256
    .name:           _ZN7rocprim17ROCPRIM_400000_NS6detail17trampoline_kernelINS0_14default_configENS1_20scan_config_selectorIdEEZZNS1_9scan_implILNS1_25lookback_scan_determinismE0ELb0ELb0ES3_N6thrust23THRUST_200600_302600_NS6detail15normal_iteratorINS9_10device_ptrIdEEEESE_dNS9_4plusIvEEdEEDaPvRmT3_T4_T5_mT6_P12ihipStream_tbENKUlT_T0_E_clISt17integral_constantIbLb0EESU_EEDaSP_SQ_EUlSP_E_NS1_11comp_targetILNS1_3genE9ELNS1_11target_archE1100ELNS1_3gpuE3ELNS1_3repE0EEENS1_30default_config_static_selectorELNS0_4arch9wavefront6targetE1EEEvT1_
    .private_segment_fixed_size: 0
    .sgpr_count:     4
    .sgpr_spill_count: 0
    .symbol:         _ZN7rocprim17ROCPRIM_400000_NS6detail17trampoline_kernelINS0_14default_configENS1_20scan_config_selectorIdEEZZNS1_9scan_implILNS1_25lookback_scan_determinismE0ELb0ELb0ES3_N6thrust23THRUST_200600_302600_NS6detail15normal_iteratorINS9_10device_ptrIdEEEESE_dNS9_4plusIvEEdEEDaPvRmT3_T4_T5_mT6_P12ihipStream_tbENKUlT_T0_E_clISt17integral_constantIbLb0EESU_EEDaSP_SQ_EUlSP_E_NS1_11comp_targetILNS1_3genE9ELNS1_11target_archE1100ELNS1_3gpuE3ELNS1_3repE0EEENS1_30default_config_static_selectorELNS0_4arch9wavefront6targetE1EEEvT1_.kd
    .uniform_work_group_size: 1
    .uses_dynamic_stack: false
    .vgpr_count:     0
    .vgpr_spill_count: 0
    .wavefront_size: 64
  - .agpr_count:     0
    .args:
      - .offset:         0
        .size:           104
        .value_kind:     by_value
    .group_segment_fixed_size: 0
    .kernarg_segment_align: 8
    .kernarg_segment_size: 104
    .language:       OpenCL C
    .language_version:
      - 2
      - 0
    .max_flat_workgroup_size: 128
    .name:           _ZN7rocprim17ROCPRIM_400000_NS6detail17trampoline_kernelINS0_14default_configENS1_20scan_config_selectorIdEEZZNS1_9scan_implILNS1_25lookback_scan_determinismE0ELb0ELb0ES3_N6thrust23THRUST_200600_302600_NS6detail15normal_iteratorINS9_10device_ptrIdEEEESE_dNS9_4plusIvEEdEEDaPvRmT3_T4_T5_mT6_P12ihipStream_tbENKUlT_T0_E_clISt17integral_constantIbLb0EESU_EEDaSP_SQ_EUlSP_E_NS1_11comp_targetILNS1_3genE8ELNS1_11target_archE1030ELNS1_3gpuE2ELNS1_3repE0EEENS1_30default_config_static_selectorELNS0_4arch9wavefront6targetE1EEEvT1_
    .private_segment_fixed_size: 0
    .sgpr_count:     4
    .sgpr_spill_count: 0
    .symbol:         _ZN7rocprim17ROCPRIM_400000_NS6detail17trampoline_kernelINS0_14default_configENS1_20scan_config_selectorIdEEZZNS1_9scan_implILNS1_25lookback_scan_determinismE0ELb0ELb0ES3_N6thrust23THRUST_200600_302600_NS6detail15normal_iteratorINS9_10device_ptrIdEEEESE_dNS9_4plusIvEEdEEDaPvRmT3_T4_T5_mT6_P12ihipStream_tbENKUlT_T0_E_clISt17integral_constantIbLb0EESU_EEDaSP_SQ_EUlSP_E_NS1_11comp_targetILNS1_3genE8ELNS1_11target_archE1030ELNS1_3gpuE2ELNS1_3repE0EEENS1_30default_config_static_selectorELNS0_4arch9wavefront6targetE1EEEvT1_.kd
    .uniform_work_group_size: 1
    .uses_dynamic_stack: false
    .vgpr_count:     0
    .vgpr_spill_count: 0
    .wavefront_size: 64
  - .agpr_count:     0
    .args:
      - .offset:         0
        .size:           40
        .value_kind:     by_value
    .group_segment_fixed_size: 0
    .kernarg_segment_align: 8
    .kernarg_segment_size: 40
    .language:       OpenCL C
    .language_version:
      - 2
      - 0
    .max_flat_workgroup_size: 256
    .name:           _ZN7rocprim17ROCPRIM_400000_NS6detail17trampoline_kernelINS0_14default_configENS1_20scan_config_selectorIdEEZZNS1_9scan_implILNS1_25lookback_scan_determinismE0ELb0ELb0ES3_N6thrust23THRUST_200600_302600_NS6detail15normal_iteratorINS9_10device_ptrIdEEEESE_dNS9_4plusIvEEdEEDaPvRmT3_T4_T5_mT6_P12ihipStream_tbENKUlT_T0_E_clISt17integral_constantIbLb0EESU_EEDaSP_SQ_EUlSP_E0_NS1_11comp_targetILNS1_3genE0ELNS1_11target_archE4294967295ELNS1_3gpuE0ELNS1_3repE0EEENS1_30default_config_static_selectorELNS0_4arch9wavefront6targetE1EEEvT1_
    .private_segment_fixed_size: 0
    .sgpr_count:     4
    .sgpr_spill_count: 0
    .symbol:         _ZN7rocprim17ROCPRIM_400000_NS6detail17trampoline_kernelINS0_14default_configENS1_20scan_config_selectorIdEEZZNS1_9scan_implILNS1_25lookback_scan_determinismE0ELb0ELb0ES3_N6thrust23THRUST_200600_302600_NS6detail15normal_iteratorINS9_10device_ptrIdEEEESE_dNS9_4plusIvEEdEEDaPvRmT3_T4_T5_mT6_P12ihipStream_tbENKUlT_T0_E_clISt17integral_constantIbLb0EESU_EEDaSP_SQ_EUlSP_E0_NS1_11comp_targetILNS1_3genE0ELNS1_11target_archE4294967295ELNS1_3gpuE0ELNS1_3repE0EEENS1_30default_config_static_selectorELNS0_4arch9wavefront6targetE1EEEvT1_.kd
    .uniform_work_group_size: 1
    .uses_dynamic_stack: false
    .vgpr_count:     0
    .vgpr_spill_count: 0
    .wavefront_size: 64
  - .agpr_count:     0
    .args:
      - .offset:         0
        .size:           40
        .value_kind:     by_value
    .group_segment_fixed_size: 0
    .kernarg_segment_align: 8
    .kernarg_segment_size: 40
    .language:       OpenCL C
    .language_version:
      - 2
      - 0
    .max_flat_workgroup_size: 256
    .name:           _ZN7rocprim17ROCPRIM_400000_NS6detail17trampoline_kernelINS0_14default_configENS1_20scan_config_selectorIdEEZZNS1_9scan_implILNS1_25lookback_scan_determinismE0ELb0ELb0ES3_N6thrust23THRUST_200600_302600_NS6detail15normal_iteratorINS9_10device_ptrIdEEEESE_dNS9_4plusIvEEdEEDaPvRmT3_T4_T5_mT6_P12ihipStream_tbENKUlT_T0_E_clISt17integral_constantIbLb0EESU_EEDaSP_SQ_EUlSP_E0_NS1_11comp_targetILNS1_3genE5ELNS1_11target_archE942ELNS1_3gpuE9ELNS1_3repE0EEENS1_30default_config_static_selectorELNS0_4arch9wavefront6targetE1EEEvT1_
    .private_segment_fixed_size: 0
    .sgpr_count:     4
    .sgpr_spill_count: 0
    .symbol:         _ZN7rocprim17ROCPRIM_400000_NS6detail17trampoline_kernelINS0_14default_configENS1_20scan_config_selectorIdEEZZNS1_9scan_implILNS1_25lookback_scan_determinismE0ELb0ELb0ES3_N6thrust23THRUST_200600_302600_NS6detail15normal_iteratorINS9_10device_ptrIdEEEESE_dNS9_4plusIvEEdEEDaPvRmT3_T4_T5_mT6_P12ihipStream_tbENKUlT_T0_E_clISt17integral_constantIbLb0EESU_EEDaSP_SQ_EUlSP_E0_NS1_11comp_targetILNS1_3genE5ELNS1_11target_archE942ELNS1_3gpuE9ELNS1_3repE0EEENS1_30default_config_static_selectorELNS0_4arch9wavefront6targetE1EEEvT1_.kd
    .uniform_work_group_size: 1
    .uses_dynamic_stack: false
    .vgpr_count:     0
    .vgpr_spill_count: 0
    .wavefront_size: 64
  - .agpr_count:     0
    .args:
      - .offset:         0
        .size:           40
        .value_kind:     by_value
    .group_segment_fixed_size: 10240
    .kernarg_segment_align: 8
    .kernarg_segment_size: 40
    .language:       OpenCL C
    .language_version:
      - 2
      - 0
    .max_flat_workgroup_size: 128
    .name:           _ZN7rocprim17ROCPRIM_400000_NS6detail17trampoline_kernelINS0_14default_configENS1_20scan_config_selectorIdEEZZNS1_9scan_implILNS1_25lookback_scan_determinismE0ELb0ELb0ES3_N6thrust23THRUST_200600_302600_NS6detail15normal_iteratorINS9_10device_ptrIdEEEESE_dNS9_4plusIvEEdEEDaPvRmT3_T4_T5_mT6_P12ihipStream_tbENKUlT_T0_E_clISt17integral_constantIbLb0EESU_EEDaSP_SQ_EUlSP_E0_NS1_11comp_targetILNS1_3genE4ELNS1_11target_archE910ELNS1_3gpuE8ELNS1_3repE0EEENS1_30default_config_static_selectorELNS0_4arch9wavefront6targetE1EEEvT1_
    .private_segment_fixed_size: 0
    .sgpr_count:     32
    .sgpr_spill_count: 0
    .symbol:         _ZN7rocprim17ROCPRIM_400000_NS6detail17trampoline_kernelINS0_14default_configENS1_20scan_config_selectorIdEEZZNS1_9scan_implILNS1_25lookback_scan_determinismE0ELb0ELb0ES3_N6thrust23THRUST_200600_302600_NS6detail15normal_iteratorINS9_10device_ptrIdEEEESE_dNS9_4plusIvEEdEEDaPvRmT3_T4_T5_mT6_P12ihipStream_tbENKUlT_T0_E_clISt17integral_constantIbLb0EESU_EEDaSP_SQ_EUlSP_E0_NS1_11comp_targetILNS1_3genE4ELNS1_11target_archE910ELNS1_3gpuE8ELNS1_3repE0EEENS1_30default_config_static_selectorELNS0_4arch9wavefront6targetE1EEEvT1_.kd
    .uniform_work_group_size: 1
    .uses_dynamic_stack: false
    .vgpr_count:     50
    .vgpr_spill_count: 0
    .wavefront_size: 64
  - .agpr_count:     0
    .args:
      - .offset:         0
        .size:           40
        .value_kind:     by_value
    .group_segment_fixed_size: 0
    .kernarg_segment_align: 8
    .kernarg_segment_size: 40
    .language:       OpenCL C
    .language_version:
      - 2
      - 0
    .max_flat_workgroup_size: 256
    .name:           _ZN7rocprim17ROCPRIM_400000_NS6detail17trampoline_kernelINS0_14default_configENS1_20scan_config_selectorIdEEZZNS1_9scan_implILNS1_25lookback_scan_determinismE0ELb0ELb0ES3_N6thrust23THRUST_200600_302600_NS6detail15normal_iteratorINS9_10device_ptrIdEEEESE_dNS9_4plusIvEEdEEDaPvRmT3_T4_T5_mT6_P12ihipStream_tbENKUlT_T0_E_clISt17integral_constantIbLb0EESU_EEDaSP_SQ_EUlSP_E0_NS1_11comp_targetILNS1_3genE3ELNS1_11target_archE908ELNS1_3gpuE7ELNS1_3repE0EEENS1_30default_config_static_selectorELNS0_4arch9wavefront6targetE1EEEvT1_
    .private_segment_fixed_size: 0
    .sgpr_count:     4
    .sgpr_spill_count: 0
    .symbol:         _ZN7rocprim17ROCPRIM_400000_NS6detail17trampoline_kernelINS0_14default_configENS1_20scan_config_selectorIdEEZZNS1_9scan_implILNS1_25lookback_scan_determinismE0ELb0ELb0ES3_N6thrust23THRUST_200600_302600_NS6detail15normal_iteratorINS9_10device_ptrIdEEEESE_dNS9_4plusIvEEdEEDaPvRmT3_T4_T5_mT6_P12ihipStream_tbENKUlT_T0_E_clISt17integral_constantIbLb0EESU_EEDaSP_SQ_EUlSP_E0_NS1_11comp_targetILNS1_3genE3ELNS1_11target_archE908ELNS1_3gpuE7ELNS1_3repE0EEENS1_30default_config_static_selectorELNS0_4arch9wavefront6targetE1EEEvT1_.kd
    .uniform_work_group_size: 1
    .uses_dynamic_stack: false
    .vgpr_count:     0
    .vgpr_spill_count: 0
    .wavefront_size: 64
  - .agpr_count:     0
    .args:
      - .offset:         0
        .size:           40
        .value_kind:     by_value
    .group_segment_fixed_size: 0
    .kernarg_segment_align: 8
    .kernarg_segment_size: 40
    .language:       OpenCL C
    .language_version:
      - 2
      - 0
    .max_flat_workgroup_size: 128
    .name:           _ZN7rocprim17ROCPRIM_400000_NS6detail17trampoline_kernelINS0_14default_configENS1_20scan_config_selectorIdEEZZNS1_9scan_implILNS1_25lookback_scan_determinismE0ELb0ELb0ES3_N6thrust23THRUST_200600_302600_NS6detail15normal_iteratorINS9_10device_ptrIdEEEESE_dNS9_4plusIvEEdEEDaPvRmT3_T4_T5_mT6_P12ihipStream_tbENKUlT_T0_E_clISt17integral_constantIbLb0EESU_EEDaSP_SQ_EUlSP_E0_NS1_11comp_targetILNS1_3genE2ELNS1_11target_archE906ELNS1_3gpuE6ELNS1_3repE0EEENS1_30default_config_static_selectorELNS0_4arch9wavefront6targetE1EEEvT1_
    .private_segment_fixed_size: 0
    .sgpr_count:     4
    .sgpr_spill_count: 0
    .symbol:         _ZN7rocprim17ROCPRIM_400000_NS6detail17trampoline_kernelINS0_14default_configENS1_20scan_config_selectorIdEEZZNS1_9scan_implILNS1_25lookback_scan_determinismE0ELb0ELb0ES3_N6thrust23THRUST_200600_302600_NS6detail15normal_iteratorINS9_10device_ptrIdEEEESE_dNS9_4plusIvEEdEEDaPvRmT3_T4_T5_mT6_P12ihipStream_tbENKUlT_T0_E_clISt17integral_constantIbLb0EESU_EEDaSP_SQ_EUlSP_E0_NS1_11comp_targetILNS1_3genE2ELNS1_11target_archE906ELNS1_3gpuE6ELNS1_3repE0EEENS1_30default_config_static_selectorELNS0_4arch9wavefront6targetE1EEEvT1_.kd
    .uniform_work_group_size: 1
    .uses_dynamic_stack: false
    .vgpr_count:     0
    .vgpr_spill_count: 0
    .wavefront_size: 64
  - .agpr_count:     0
    .args:
      - .offset:         0
        .size:           40
        .value_kind:     by_value
    .group_segment_fixed_size: 0
    .kernarg_segment_align: 8
    .kernarg_segment_size: 40
    .language:       OpenCL C
    .language_version:
      - 2
      - 0
    .max_flat_workgroup_size: 256
    .name:           _ZN7rocprim17ROCPRIM_400000_NS6detail17trampoline_kernelINS0_14default_configENS1_20scan_config_selectorIdEEZZNS1_9scan_implILNS1_25lookback_scan_determinismE0ELb0ELb0ES3_N6thrust23THRUST_200600_302600_NS6detail15normal_iteratorINS9_10device_ptrIdEEEESE_dNS9_4plusIvEEdEEDaPvRmT3_T4_T5_mT6_P12ihipStream_tbENKUlT_T0_E_clISt17integral_constantIbLb0EESU_EEDaSP_SQ_EUlSP_E0_NS1_11comp_targetILNS1_3genE10ELNS1_11target_archE1201ELNS1_3gpuE5ELNS1_3repE0EEENS1_30default_config_static_selectorELNS0_4arch9wavefront6targetE1EEEvT1_
    .private_segment_fixed_size: 0
    .sgpr_count:     4
    .sgpr_spill_count: 0
    .symbol:         _ZN7rocprim17ROCPRIM_400000_NS6detail17trampoline_kernelINS0_14default_configENS1_20scan_config_selectorIdEEZZNS1_9scan_implILNS1_25lookback_scan_determinismE0ELb0ELb0ES3_N6thrust23THRUST_200600_302600_NS6detail15normal_iteratorINS9_10device_ptrIdEEEESE_dNS9_4plusIvEEdEEDaPvRmT3_T4_T5_mT6_P12ihipStream_tbENKUlT_T0_E_clISt17integral_constantIbLb0EESU_EEDaSP_SQ_EUlSP_E0_NS1_11comp_targetILNS1_3genE10ELNS1_11target_archE1201ELNS1_3gpuE5ELNS1_3repE0EEENS1_30default_config_static_selectorELNS0_4arch9wavefront6targetE1EEEvT1_.kd
    .uniform_work_group_size: 1
    .uses_dynamic_stack: false
    .vgpr_count:     0
    .vgpr_spill_count: 0
    .wavefront_size: 64
  - .agpr_count:     0
    .args:
      - .offset:         0
        .size:           40
        .value_kind:     by_value
    .group_segment_fixed_size: 0
    .kernarg_segment_align: 8
    .kernarg_segment_size: 40
    .language:       OpenCL C
    .language_version:
      - 2
      - 0
    .max_flat_workgroup_size: 256
    .name:           _ZN7rocprim17ROCPRIM_400000_NS6detail17trampoline_kernelINS0_14default_configENS1_20scan_config_selectorIdEEZZNS1_9scan_implILNS1_25lookback_scan_determinismE0ELb0ELb0ES3_N6thrust23THRUST_200600_302600_NS6detail15normal_iteratorINS9_10device_ptrIdEEEESE_dNS9_4plusIvEEdEEDaPvRmT3_T4_T5_mT6_P12ihipStream_tbENKUlT_T0_E_clISt17integral_constantIbLb0EESU_EEDaSP_SQ_EUlSP_E0_NS1_11comp_targetILNS1_3genE10ELNS1_11target_archE1200ELNS1_3gpuE4ELNS1_3repE0EEENS1_30default_config_static_selectorELNS0_4arch9wavefront6targetE1EEEvT1_
    .private_segment_fixed_size: 0
    .sgpr_count:     4
    .sgpr_spill_count: 0
    .symbol:         _ZN7rocprim17ROCPRIM_400000_NS6detail17trampoline_kernelINS0_14default_configENS1_20scan_config_selectorIdEEZZNS1_9scan_implILNS1_25lookback_scan_determinismE0ELb0ELb0ES3_N6thrust23THRUST_200600_302600_NS6detail15normal_iteratorINS9_10device_ptrIdEEEESE_dNS9_4plusIvEEdEEDaPvRmT3_T4_T5_mT6_P12ihipStream_tbENKUlT_T0_E_clISt17integral_constantIbLb0EESU_EEDaSP_SQ_EUlSP_E0_NS1_11comp_targetILNS1_3genE10ELNS1_11target_archE1200ELNS1_3gpuE4ELNS1_3repE0EEENS1_30default_config_static_selectorELNS0_4arch9wavefront6targetE1EEEvT1_.kd
    .uniform_work_group_size: 1
    .uses_dynamic_stack: false
    .vgpr_count:     0
    .vgpr_spill_count: 0
    .wavefront_size: 64
  - .agpr_count:     0
    .args:
      - .offset:         0
        .size:           40
        .value_kind:     by_value
    .group_segment_fixed_size: 0
    .kernarg_segment_align: 8
    .kernarg_segment_size: 40
    .language:       OpenCL C
    .language_version:
      - 2
      - 0
    .max_flat_workgroup_size: 256
    .name:           _ZN7rocprim17ROCPRIM_400000_NS6detail17trampoline_kernelINS0_14default_configENS1_20scan_config_selectorIdEEZZNS1_9scan_implILNS1_25lookback_scan_determinismE0ELb0ELb0ES3_N6thrust23THRUST_200600_302600_NS6detail15normal_iteratorINS9_10device_ptrIdEEEESE_dNS9_4plusIvEEdEEDaPvRmT3_T4_T5_mT6_P12ihipStream_tbENKUlT_T0_E_clISt17integral_constantIbLb0EESU_EEDaSP_SQ_EUlSP_E0_NS1_11comp_targetILNS1_3genE9ELNS1_11target_archE1100ELNS1_3gpuE3ELNS1_3repE0EEENS1_30default_config_static_selectorELNS0_4arch9wavefront6targetE1EEEvT1_
    .private_segment_fixed_size: 0
    .sgpr_count:     4
    .sgpr_spill_count: 0
    .symbol:         _ZN7rocprim17ROCPRIM_400000_NS6detail17trampoline_kernelINS0_14default_configENS1_20scan_config_selectorIdEEZZNS1_9scan_implILNS1_25lookback_scan_determinismE0ELb0ELb0ES3_N6thrust23THRUST_200600_302600_NS6detail15normal_iteratorINS9_10device_ptrIdEEEESE_dNS9_4plusIvEEdEEDaPvRmT3_T4_T5_mT6_P12ihipStream_tbENKUlT_T0_E_clISt17integral_constantIbLb0EESU_EEDaSP_SQ_EUlSP_E0_NS1_11comp_targetILNS1_3genE9ELNS1_11target_archE1100ELNS1_3gpuE3ELNS1_3repE0EEENS1_30default_config_static_selectorELNS0_4arch9wavefront6targetE1EEEvT1_.kd
    .uniform_work_group_size: 1
    .uses_dynamic_stack: false
    .vgpr_count:     0
    .vgpr_spill_count: 0
    .wavefront_size: 64
  - .agpr_count:     0
    .args:
      - .offset:         0
        .size:           40
        .value_kind:     by_value
    .group_segment_fixed_size: 0
    .kernarg_segment_align: 8
    .kernarg_segment_size: 40
    .language:       OpenCL C
    .language_version:
      - 2
      - 0
    .max_flat_workgroup_size: 128
    .name:           _ZN7rocprim17ROCPRIM_400000_NS6detail17trampoline_kernelINS0_14default_configENS1_20scan_config_selectorIdEEZZNS1_9scan_implILNS1_25lookback_scan_determinismE0ELb0ELb0ES3_N6thrust23THRUST_200600_302600_NS6detail15normal_iteratorINS9_10device_ptrIdEEEESE_dNS9_4plusIvEEdEEDaPvRmT3_T4_T5_mT6_P12ihipStream_tbENKUlT_T0_E_clISt17integral_constantIbLb0EESU_EEDaSP_SQ_EUlSP_E0_NS1_11comp_targetILNS1_3genE8ELNS1_11target_archE1030ELNS1_3gpuE2ELNS1_3repE0EEENS1_30default_config_static_selectorELNS0_4arch9wavefront6targetE1EEEvT1_
    .private_segment_fixed_size: 0
    .sgpr_count:     4
    .sgpr_spill_count: 0
    .symbol:         _ZN7rocprim17ROCPRIM_400000_NS6detail17trampoline_kernelINS0_14default_configENS1_20scan_config_selectorIdEEZZNS1_9scan_implILNS1_25lookback_scan_determinismE0ELb0ELb0ES3_N6thrust23THRUST_200600_302600_NS6detail15normal_iteratorINS9_10device_ptrIdEEEESE_dNS9_4plusIvEEdEEDaPvRmT3_T4_T5_mT6_P12ihipStream_tbENKUlT_T0_E_clISt17integral_constantIbLb0EESU_EEDaSP_SQ_EUlSP_E0_NS1_11comp_targetILNS1_3genE8ELNS1_11target_archE1030ELNS1_3gpuE2ELNS1_3repE0EEENS1_30default_config_static_selectorELNS0_4arch9wavefront6targetE1EEEvT1_.kd
    .uniform_work_group_size: 1
    .uses_dynamic_stack: false
    .vgpr_count:     0
    .vgpr_spill_count: 0
    .wavefront_size: 64
  - .agpr_count:     0
    .args:
      - .offset:         0
        .size:           104
        .value_kind:     by_value
    .group_segment_fixed_size: 0
    .kernarg_segment_align: 8
    .kernarg_segment_size: 104
    .language:       OpenCL C
    .language_version:
      - 2
      - 0
    .max_flat_workgroup_size: 256
    .name:           _ZN7rocprim17ROCPRIM_400000_NS6detail17trampoline_kernelINS0_14default_configENS1_20scan_config_selectorIdEEZZNS1_9scan_implILNS1_25lookback_scan_determinismE0ELb0ELb0ES3_N6thrust23THRUST_200600_302600_NS6detail15normal_iteratorINS9_10device_ptrIdEEEESE_dNS9_4plusIvEEdEEDaPvRmT3_T4_T5_mT6_P12ihipStream_tbENKUlT_T0_E_clISt17integral_constantIbLb1EESU_EEDaSP_SQ_EUlSP_E_NS1_11comp_targetILNS1_3genE0ELNS1_11target_archE4294967295ELNS1_3gpuE0ELNS1_3repE0EEENS1_30default_config_static_selectorELNS0_4arch9wavefront6targetE1EEEvT1_
    .private_segment_fixed_size: 0
    .sgpr_count:     4
    .sgpr_spill_count: 0
    .symbol:         _ZN7rocprim17ROCPRIM_400000_NS6detail17trampoline_kernelINS0_14default_configENS1_20scan_config_selectorIdEEZZNS1_9scan_implILNS1_25lookback_scan_determinismE0ELb0ELb0ES3_N6thrust23THRUST_200600_302600_NS6detail15normal_iteratorINS9_10device_ptrIdEEEESE_dNS9_4plusIvEEdEEDaPvRmT3_T4_T5_mT6_P12ihipStream_tbENKUlT_T0_E_clISt17integral_constantIbLb1EESU_EEDaSP_SQ_EUlSP_E_NS1_11comp_targetILNS1_3genE0ELNS1_11target_archE4294967295ELNS1_3gpuE0ELNS1_3repE0EEENS1_30default_config_static_selectorELNS0_4arch9wavefront6targetE1EEEvT1_.kd
    .uniform_work_group_size: 1
    .uses_dynamic_stack: false
    .vgpr_count:     0
    .vgpr_spill_count: 0
    .wavefront_size: 64
  - .agpr_count:     0
    .args:
      - .offset:         0
        .size:           104
        .value_kind:     by_value
    .group_segment_fixed_size: 0
    .kernarg_segment_align: 8
    .kernarg_segment_size: 104
    .language:       OpenCL C
    .language_version:
      - 2
      - 0
    .max_flat_workgroup_size: 256
    .name:           _ZN7rocprim17ROCPRIM_400000_NS6detail17trampoline_kernelINS0_14default_configENS1_20scan_config_selectorIdEEZZNS1_9scan_implILNS1_25lookback_scan_determinismE0ELb0ELb0ES3_N6thrust23THRUST_200600_302600_NS6detail15normal_iteratorINS9_10device_ptrIdEEEESE_dNS9_4plusIvEEdEEDaPvRmT3_T4_T5_mT6_P12ihipStream_tbENKUlT_T0_E_clISt17integral_constantIbLb1EESU_EEDaSP_SQ_EUlSP_E_NS1_11comp_targetILNS1_3genE5ELNS1_11target_archE942ELNS1_3gpuE9ELNS1_3repE0EEENS1_30default_config_static_selectorELNS0_4arch9wavefront6targetE1EEEvT1_
    .private_segment_fixed_size: 0
    .sgpr_count:     4
    .sgpr_spill_count: 0
    .symbol:         _ZN7rocprim17ROCPRIM_400000_NS6detail17trampoline_kernelINS0_14default_configENS1_20scan_config_selectorIdEEZZNS1_9scan_implILNS1_25lookback_scan_determinismE0ELb0ELb0ES3_N6thrust23THRUST_200600_302600_NS6detail15normal_iteratorINS9_10device_ptrIdEEEESE_dNS9_4plusIvEEdEEDaPvRmT3_T4_T5_mT6_P12ihipStream_tbENKUlT_T0_E_clISt17integral_constantIbLb1EESU_EEDaSP_SQ_EUlSP_E_NS1_11comp_targetILNS1_3genE5ELNS1_11target_archE942ELNS1_3gpuE9ELNS1_3repE0EEENS1_30default_config_static_selectorELNS0_4arch9wavefront6targetE1EEEvT1_.kd
    .uniform_work_group_size: 1
    .uses_dynamic_stack: false
    .vgpr_count:     0
    .vgpr_spill_count: 0
    .wavefront_size: 64
  - .agpr_count:     0
    .args:
      - .offset:         0
        .size:           104
        .value_kind:     by_value
    .group_segment_fixed_size: 10240
    .kernarg_segment_align: 8
    .kernarg_segment_size: 104
    .language:       OpenCL C
    .language_version:
      - 2
      - 0
    .max_flat_workgroup_size: 128
    .name:           _ZN7rocprim17ROCPRIM_400000_NS6detail17trampoline_kernelINS0_14default_configENS1_20scan_config_selectorIdEEZZNS1_9scan_implILNS1_25lookback_scan_determinismE0ELb0ELb0ES3_N6thrust23THRUST_200600_302600_NS6detail15normal_iteratorINS9_10device_ptrIdEEEESE_dNS9_4plusIvEEdEEDaPvRmT3_T4_T5_mT6_P12ihipStream_tbENKUlT_T0_E_clISt17integral_constantIbLb1EESU_EEDaSP_SQ_EUlSP_E_NS1_11comp_targetILNS1_3genE4ELNS1_11target_archE910ELNS1_3gpuE8ELNS1_3repE0EEENS1_30default_config_static_selectorELNS0_4arch9wavefront6targetE1EEEvT1_
    .private_segment_fixed_size: 0
    .sgpr_count:     42
    .sgpr_spill_count: 0
    .symbol:         _ZN7rocprim17ROCPRIM_400000_NS6detail17trampoline_kernelINS0_14default_configENS1_20scan_config_selectorIdEEZZNS1_9scan_implILNS1_25lookback_scan_determinismE0ELb0ELb0ES3_N6thrust23THRUST_200600_302600_NS6detail15normal_iteratorINS9_10device_ptrIdEEEESE_dNS9_4plusIvEEdEEDaPvRmT3_T4_T5_mT6_P12ihipStream_tbENKUlT_T0_E_clISt17integral_constantIbLb1EESU_EEDaSP_SQ_EUlSP_E_NS1_11comp_targetILNS1_3genE4ELNS1_11target_archE910ELNS1_3gpuE8ELNS1_3repE0EEENS1_30default_config_static_selectorELNS0_4arch9wavefront6targetE1EEEvT1_.kd
    .uniform_work_group_size: 1
    .uses_dynamic_stack: false
    .vgpr_count:     66
    .vgpr_spill_count: 0
    .wavefront_size: 64
  - .agpr_count:     0
    .args:
      - .offset:         0
        .size:           104
        .value_kind:     by_value
    .group_segment_fixed_size: 0
    .kernarg_segment_align: 8
    .kernarg_segment_size: 104
    .language:       OpenCL C
    .language_version:
      - 2
      - 0
    .max_flat_workgroup_size: 256
    .name:           _ZN7rocprim17ROCPRIM_400000_NS6detail17trampoline_kernelINS0_14default_configENS1_20scan_config_selectorIdEEZZNS1_9scan_implILNS1_25lookback_scan_determinismE0ELb0ELb0ES3_N6thrust23THRUST_200600_302600_NS6detail15normal_iteratorINS9_10device_ptrIdEEEESE_dNS9_4plusIvEEdEEDaPvRmT3_T4_T5_mT6_P12ihipStream_tbENKUlT_T0_E_clISt17integral_constantIbLb1EESU_EEDaSP_SQ_EUlSP_E_NS1_11comp_targetILNS1_3genE3ELNS1_11target_archE908ELNS1_3gpuE7ELNS1_3repE0EEENS1_30default_config_static_selectorELNS0_4arch9wavefront6targetE1EEEvT1_
    .private_segment_fixed_size: 0
    .sgpr_count:     4
    .sgpr_spill_count: 0
    .symbol:         _ZN7rocprim17ROCPRIM_400000_NS6detail17trampoline_kernelINS0_14default_configENS1_20scan_config_selectorIdEEZZNS1_9scan_implILNS1_25lookback_scan_determinismE0ELb0ELb0ES3_N6thrust23THRUST_200600_302600_NS6detail15normal_iteratorINS9_10device_ptrIdEEEESE_dNS9_4plusIvEEdEEDaPvRmT3_T4_T5_mT6_P12ihipStream_tbENKUlT_T0_E_clISt17integral_constantIbLb1EESU_EEDaSP_SQ_EUlSP_E_NS1_11comp_targetILNS1_3genE3ELNS1_11target_archE908ELNS1_3gpuE7ELNS1_3repE0EEENS1_30default_config_static_selectorELNS0_4arch9wavefront6targetE1EEEvT1_.kd
    .uniform_work_group_size: 1
    .uses_dynamic_stack: false
    .vgpr_count:     0
    .vgpr_spill_count: 0
    .wavefront_size: 64
  - .agpr_count:     0
    .args:
      - .offset:         0
        .size:           104
        .value_kind:     by_value
    .group_segment_fixed_size: 0
    .kernarg_segment_align: 8
    .kernarg_segment_size: 104
    .language:       OpenCL C
    .language_version:
      - 2
      - 0
    .max_flat_workgroup_size: 128
    .name:           _ZN7rocprim17ROCPRIM_400000_NS6detail17trampoline_kernelINS0_14default_configENS1_20scan_config_selectorIdEEZZNS1_9scan_implILNS1_25lookback_scan_determinismE0ELb0ELb0ES3_N6thrust23THRUST_200600_302600_NS6detail15normal_iteratorINS9_10device_ptrIdEEEESE_dNS9_4plusIvEEdEEDaPvRmT3_T4_T5_mT6_P12ihipStream_tbENKUlT_T0_E_clISt17integral_constantIbLb1EESU_EEDaSP_SQ_EUlSP_E_NS1_11comp_targetILNS1_3genE2ELNS1_11target_archE906ELNS1_3gpuE6ELNS1_3repE0EEENS1_30default_config_static_selectorELNS0_4arch9wavefront6targetE1EEEvT1_
    .private_segment_fixed_size: 0
    .sgpr_count:     4
    .sgpr_spill_count: 0
    .symbol:         _ZN7rocprim17ROCPRIM_400000_NS6detail17trampoline_kernelINS0_14default_configENS1_20scan_config_selectorIdEEZZNS1_9scan_implILNS1_25lookback_scan_determinismE0ELb0ELb0ES3_N6thrust23THRUST_200600_302600_NS6detail15normal_iteratorINS9_10device_ptrIdEEEESE_dNS9_4plusIvEEdEEDaPvRmT3_T4_T5_mT6_P12ihipStream_tbENKUlT_T0_E_clISt17integral_constantIbLb1EESU_EEDaSP_SQ_EUlSP_E_NS1_11comp_targetILNS1_3genE2ELNS1_11target_archE906ELNS1_3gpuE6ELNS1_3repE0EEENS1_30default_config_static_selectorELNS0_4arch9wavefront6targetE1EEEvT1_.kd
    .uniform_work_group_size: 1
    .uses_dynamic_stack: false
    .vgpr_count:     0
    .vgpr_spill_count: 0
    .wavefront_size: 64
  - .agpr_count:     0
    .args:
      - .offset:         0
        .size:           104
        .value_kind:     by_value
    .group_segment_fixed_size: 0
    .kernarg_segment_align: 8
    .kernarg_segment_size: 104
    .language:       OpenCL C
    .language_version:
      - 2
      - 0
    .max_flat_workgroup_size: 256
    .name:           _ZN7rocprim17ROCPRIM_400000_NS6detail17trampoline_kernelINS0_14default_configENS1_20scan_config_selectorIdEEZZNS1_9scan_implILNS1_25lookback_scan_determinismE0ELb0ELb0ES3_N6thrust23THRUST_200600_302600_NS6detail15normal_iteratorINS9_10device_ptrIdEEEESE_dNS9_4plusIvEEdEEDaPvRmT3_T4_T5_mT6_P12ihipStream_tbENKUlT_T0_E_clISt17integral_constantIbLb1EESU_EEDaSP_SQ_EUlSP_E_NS1_11comp_targetILNS1_3genE10ELNS1_11target_archE1201ELNS1_3gpuE5ELNS1_3repE0EEENS1_30default_config_static_selectorELNS0_4arch9wavefront6targetE1EEEvT1_
    .private_segment_fixed_size: 0
    .sgpr_count:     4
    .sgpr_spill_count: 0
    .symbol:         _ZN7rocprim17ROCPRIM_400000_NS6detail17trampoline_kernelINS0_14default_configENS1_20scan_config_selectorIdEEZZNS1_9scan_implILNS1_25lookback_scan_determinismE0ELb0ELb0ES3_N6thrust23THRUST_200600_302600_NS6detail15normal_iteratorINS9_10device_ptrIdEEEESE_dNS9_4plusIvEEdEEDaPvRmT3_T4_T5_mT6_P12ihipStream_tbENKUlT_T0_E_clISt17integral_constantIbLb1EESU_EEDaSP_SQ_EUlSP_E_NS1_11comp_targetILNS1_3genE10ELNS1_11target_archE1201ELNS1_3gpuE5ELNS1_3repE0EEENS1_30default_config_static_selectorELNS0_4arch9wavefront6targetE1EEEvT1_.kd
    .uniform_work_group_size: 1
    .uses_dynamic_stack: false
    .vgpr_count:     0
    .vgpr_spill_count: 0
    .wavefront_size: 64
  - .agpr_count:     0
    .args:
      - .offset:         0
        .size:           104
        .value_kind:     by_value
    .group_segment_fixed_size: 0
    .kernarg_segment_align: 8
    .kernarg_segment_size: 104
    .language:       OpenCL C
    .language_version:
      - 2
      - 0
    .max_flat_workgroup_size: 256
    .name:           _ZN7rocprim17ROCPRIM_400000_NS6detail17trampoline_kernelINS0_14default_configENS1_20scan_config_selectorIdEEZZNS1_9scan_implILNS1_25lookback_scan_determinismE0ELb0ELb0ES3_N6thrust23THRUST_200600_302600_NS6detail15normal_iteratorINS9_10device_ptrIdEEEESE_dNS9_4plusIvEEdEEDaPvRmT3_T4_T5_mT6_P12ihipStream_tbENKUlT_T0_E_clISt17integral_constantIbLb1EESU_EEDaSP_SQ_EUlSP_E_NS1_11comp_targetILNS1_3genE10ELNS1_11target_archE1200ELNS1_3gpuE4ELNS1_3repE0EEENS1_30default_config_static_selectorELNS0_4arch9wavefront6targetE1EEEvT1_
    .private_segment_fixed_size: 0
    .sgpr_count:     4
    .sgpr_spill_count: 0
    .symbol:         _ZN7rocprim17ROCPRIM_400000_NS6detail17trampoline_kernelINS0_14default_configENS1_20scan_config_selectorIdEEZZNS1_9scan_implILNS1_25lookback_scan_determinismE0ELb0ELb0ES3_N6thrust23THRUST_200600_302600_NS6detail15normal_iteratorINS9_10device_ptrIdEEEESE_dNS9_4plusIvEEdEEDaPvRmT3_T4_T5_mT6_P12ihipStream_tbENKUlT_T0_E_clISt17integral_constantIbLb1EESU_EEDaSP_SQ_EUlSP_E_NS1_11comp_targetILNS1_3genE10ELNS1_11target_archE1200ELNS1_3gpuE4ELNS1_3repE0EEENS1_30default_config_static_selectorELNS0_4arch9wavefront6targetE1EEEvT1_.kd
    .uniform_work_group_size: 1
    .uses_dynamic_stack: false
    .vgpr_count:     0
    .vgpr_spill_count: 0
    .wavefront_size: 64
  - .agpr_count:     0
    .args:
      - .offset:         0
        .size:           104
        .value_kind:     by_value
    .group_segment_fixed_size: 0
    .kernarg_segment_align: 8
    .kernarg_segment_size: 104
    .language:       OpenCL C
    .language_version:
      - 2
      - 0
    .max_flat_workgroup_size: 256
    .name:           _ZN7rocprim17ROCPRIM_400000_NS6detail17trampoline_kernelINS0_14default_configENS1_20scan_config_selectorIdEEZZNS1_9scan_implILNS1_25lookback_scan_determinismE0ELb0ELb0ES3_N6thrust23THRUST_200600_302600_NS6detail15normal_iteratorINS9_10device_ptrIdEEEESE_dNS9_4plusIvEEdEEDaPvRmT3_T4_T5_mT6_P12ihipStream_tbENKUlT_T0_E_clISt17integral_constantIbLb1EESU_EEDaSP_SQ_EUlSP_E_NS1_11comp_targetILNS1_3genE9ELNS1_11target_archE1100ELNS1_3gpuE3ELNS1_3repE0EEENS1_30default_config_static_selectorELNS0_4arch9wavefront6targetE1EEEvT1_
    .private_segment_fixed_size: 0
    .sgpr_count:     4
    .sgpr_spill_count: 0
    .symbol:         _ZN7rocprim17ROCPRIM_400000_NS6detail17trampoline_kernelINS0_14default_configENS1_20scan_config_selectorIdEEZZNS1_9scan_implILNS1_25lookback_scan_determinismE0ELb0ELb0ES3_N6thrust23THRUST_200600_302600_NS6detail15normal_iteratorINS9_10device_ptrIdEEEESE_dNS9_4plusIvEEdEEDaPvRmT3_T4_T5_mT6_P12ihipStream_tbENKUlT_T0_E_clISt17integral_constantIbLb1EESU_EEDaSP_SQ_EUlSP_E_NS1_11comp_targetILNS1_3genE9ELNS1_11target_archE1100ELNS1_3gpuE3ELNS1_3repE0EEENS1_30default_config_static_selectorELNS0_4arch9wavefront6targetE1EEEvT1_.kd
    .uniform_work_group_size: 1
    .uses_dynamic_stack: false
    .vgpr_count:     0
    .vgpr_spill_count: 0
    .wavefront_size: 64
  - .agpr_count:     0
    .args:
      - .offset:         0
        .size:           104
        .value_kind:     by_value
    .group_segment_fixed_size: 0
    .kernarg_segment_align: 8
    .kernarg_segment_size: 104
    .language:       OpenCL C
    .language_version:
      - 2
      - 0
    .max_flat_workgroup_size: 128
    .name:           _ZN7rocprim17ROCPRIM_400000_NS6detail17trampoline_kernelINS0_14default_configENS1_20scan_config_selectorIdEEZZNS1_9scan_implILNS1_25lookback_scan_determinismE0ELb0ELb0ES3_N6thrust23THRUST_200600_302600_NS6detail15normal_iteratorINS9_10device_ptrIdEEEESE_dNS9_4plusIvEEdEEDaPvRmT3_T4_T5_mT6_P12ihipStream_tbENKUlT_T0_E_clISt17integral_constantIbLb1EESU_EEDaSP_SQ_EUlSP_E_NS1_11comp_targetILNS1_3genE8ELNS1_11target_archE1030ELNS1_3gpuE2ELNS1_3repE0EEENS1_30default_config_static_selectorELNS0_4arch9wavefront6targetE1EEEvT1_
    .private_segment_fixed_size: 0
    .sgpr_count:     4
    .sgpr_spill_count: 0
    .symbol:         _ZN7rocprim17ROCPRIM_400000_NS6detail17trampoline_kernelINS0_14default_configENS1_20scan_config_selectorIdEEZZNS1_9scan_implILNS1_25lookback_scan_determinismE0ELb0ELb0ES3_N6thrust23THRUST_200600_302600_NS6detail15normal_iteratorINS9_10device_ptrIdEEEESE_dNS9_4plusIvEEdEEDaPvRmT3_T4_T5_mT6_P12ihipStream_tbENKUlT_T0_E_clISt17integral_constantIbLb1EESU_EEDaSP_SQ_EUlSP_E_NS1_11comp_targetILNS1_3genE8ELNS1_11target_archE1030ELNS1_3gpuE2ELNS1_3repE0EEENS1_30default_config_static_selectorELNS0_4arch9wavefront6targetE1EEEvT1_.kd
    .uniform_work_group_size: 1
    .uses_dynamic_stack: false
    .vgpr_count:     0
    .vgpr_spill_count: 0
    .wavefront_size: 64
  - .agpr_count:     0
    .args:
      - .offset:         0
        .size:           40
        .value_kind:     by_value
    .group_segment_fixed_size: 0
    .kernarg_segment_align: 8
    .kernarg_segment_size: 40
    .language:       OpenCL C
    .language_version:
      - 2
      - 0
    .max_flat_workgroup_size: 256
    .name:           _ZN7rocprim17ROCPRIM_400000_NS6detail17trampoline_kernelINS0_14default_configENS1_20scan_config_selectorIdEEZZNS1_9scan_implILNS1_25lookback_scan_determinismE0ELb0ELb0ES3_N6thrust23THRUST_200600_302600_NS6detail15normal_iteratorINS9_10device_ptrIdEEEESE_dNS9_4plusIvEEdEEDaPvRmT3_T4_T5_mT6_P12ihipStream_tbENKUlT_T0_E_clISt17integral_constantIbLb1EESU_EEDaSP_SQ_EUlSP_E0_NS1_11comp_targetILNS1_3genE0ELNS1_11target_archE4294967295ELNS1_3gpuE0ELNS1_3repE0EEENS1_30default_config_static_selectorELNS0_4arch9wavefront6targetE1EEEvT1_
    .private_segment_fixed_size: 0
    .sgpr_count:     4
    .sgpr_spill_count: 0
    .symbol:         _ZN7rocprim17ROCPRIM_400000_NS6detail17trampoline_kernelINS0_14default_configENS1_20scan_config_selectorIdEEZZNS1_9scan_implILNS1_25lookback_scan_determinismE0ELb0ELb0ES3_N6thrust23THRUST_200600_302600_NS6detail15normal_iteratorINS9_10device_ptrIdEEEESE_dNS9_4plusIvEEdEEDaPvRmT3_T4_T5_mT6_P12ihipStream_tbENKUlT_T0_E_clISt17integral_constantIbLb1EESU_EEDaSP_SQ_EUlSP_E0_NS1_11comp_targetILNS1_3genE0ELNS1_11target_archE4294967295ELNS1_3gpuE0ELNS1_3repE0EEENS1_30default_config_static_selectorELNS0_4arch9wavefront6targetE1EEEvT1_.kd
    .uniform_work_group_size: 1
    .uses_dynamic_stack: false
    .vgpr_count:     0
    .vgpr_spill_count: 0
    .wavefront_size: 64
  - .agpr_count:     0
    .args:
      - .offset:         0
        .size:           40
        .value_kind:     by_value
    .group_segment_fixed_size: 0
    .kernarg_segment_align: 8
    .kernarg_segment_size: 40
    .language:       OpenCL C
    .language_version:
      - 2
      - 0
    .max_flat_workgroup_size: 256
    .name:           _ZN7rocprim17ROCPRIM_400000_NS6detail17trampoline_kernelINS0_14default_configENS1_20scan_config_selectorIdEEZZNS1_9scan_implILNS1_25lookback_scan_determinismE0ELb0ELb0ES3_N6thrust23THRUST_200600_302600_NS6detail15normal_iteratorINS9_10device_ptrIdEEEESE_dNS9_4plusIvEEdEEDaPvRmT3_T4_T5_mT6_P12ihipStream_tbENKUlT_T0_E_clISt17integral_constantIbLb1EESU_EEDaSP_SQ_EUlSP_E0_NS1_11comp_targetILNS1_3genE5ELNS1_11target_archE942ELNS1_3gpuE9ELNS1_3repE0EEENS1_30default_config_static_selectorELNS0_4arch9wavefront6targetE1EEEvT1_
    .private_segment_fixed_size: 0
    .sgpr_count:     4
    .sgpr_spill_count: 0
    .symbol:         _ZN7rocprim17ROCPRIM_400000_NS6detail17trampoline_kernelINS0_14default_configENS1_20scan_config_selectorIdEEZZNS1_9scan_implILNS1_25lookback_scan_determinismE0ELb0ELb0ES3_N6thrust23THRUST_200600_302600_NS6detail15normal_iteratorINS9_10device_ptrIdEEEESE_dNS9_4plusIvEEdEEDaPvRmT3_T4_T5_mT6_P12ihipStream_tbENKUlT_T0_E_clISt17integral_constantIbLb1EESU_EEDaSP_SQ_EUlSP_E0_NS1_11comp_targetILNS1_3genE5ELNS1_11target_archE942ELNS1_3gpuE9ELNS1_3repE0EEENS1_30default_config_static_selectorELNS0_4arch9wavefront6targetE1EEEvT1_.kd
    .uniform_work_group_size: 1
    .uses_dynamic_stack: false
    .vgpr_count:     0
    .vgpr_spill_count: 0
    .wavefront_size: 64
  - .agpr_count:     0
    .args:
      - .offset:         0
        .size:           40
        .value_kind:     by_value
    .group_segment_fixed_size: 10240
    .kernarg_segment_align: 8
    .kernarg_segment_size: 40
    .language:       OpenCL C
    .language_version:
      - 2
      - 0
    .max_flat_workgroup_size: 128
    .name:           _ZN7rocprim17ROCPRIM_400000_NS6detail17trampoline_kernelINS0_14default_configENS1_20scan_config_selectorIdEEZZNS1_9scan_implILNS1_25lookback_scan_determinismE0ELb0ELb0ES3_N6thrust23THRUST_200600_302600_NS6detail15normal_iteratorINS9_10device_ptrIdEEEESE_dNS9_4plusIvEEdEEDaPvRmT3_T4_T5_mT6_P12ihipStream_tbENKUlT_T0_E_clISt17integral_constantIbLb1EESU_EEDaSP_SQ_EUlSP_E0_NS1_11comp_targetILNS1_3genE4ELNS1_11target_archE910ELNS1_3gpuE8ELNS1_3repE0EEENS1_30default_config_static_selectorELNS0_4arch9wavefront6targetE1EEEvT1_
    .private_segment_fixed_size: 0
    .sgpr_count:     32
    .sgpr_spill_count: 0
    .symbol:         _ZN7rocprim17ROCPRIM_400000_NS6detail17trampoline_kernelINS0_14default_configENS1_20scan_config_selectorIdEEZZNS1_9scan_implILNS1_25lookback_scan_determinismE0ELb0ELb0ES3_N6thrust23THRUST_200600_302600_NS6detail15normal_iteratorINS9_10device_ptrIdEEEESE_dNS9_4plusIvEEdEEDaPvRmT3_T4_T5_mT6_P12ihipStream_tbENKUlT_T0_E_clISt17integral_constantIbLb1EESU_EEDaSP_SQ_EUlSP_E0_NS1_11comp_targetILNS1_3genE4ELNS1_11target_archE910ELNS1_3gpuE8ELNS1_3repE0EEENS1_30default_config_static_selectorELNS0_4arch9wavefront6targetE1EEEvT1_.kd
    .uniform_work_group_size: 1
    .uses_dynamic_stack: false
    .vgpr_count:     50
    .vgpr_spill_count: 0
    .wavefront_size: 64
  - .agpr_count:     0
    .args:
      - .offset:         0
        .size:           40
        .value_kind:     by_value
    .group_segment_fixed_size: 0
    .kernarg_segment_align: 8
    .kernarg_segment_size: 40
    .language:       OpenCL C
    .language_version:
      - 2
      - 0
    .max_flat_workgroup_size: 256
    .name:           _ZN7rocprim17ROCPRIM_400000_NS6detail17trampoline_kernelINS0_14default_configENS1_20scan_config_selectorIdEEZZNS1_9scan_implILNS1_25lookback_scan_determinismE0ELb0ELb0ES3_N6thrust23THRUST_200600_302600_NS6detail15normal_iteratorINS9_10device_ptrIdEEEESE_dNS9_4plusIvEEdEEDaPvRmT3_T4_T5_mT6_P12ihipStream_tbENKUlT_T0_E_clISt17integral_constantIbLb1EESU_EEDaSP_SQ_EUlSP_E0_NS1_11comp_targetILNS1_3genE3ELNS1_11target_archE908ELNS1_3gpuE7ELNS1_3repE0EEENS1_30default_config_static_selectorELNS0_4arch9wavefront6targetE1EEEvT1_
    .private_segment_fixed_size: 0
    .sgpr_count:     4
    .sgpr_spill_count: 0
    .symbol:         _ZN7rocprim17ROCPRIM_400000_NS6detail17trampoline_kernelINS0_14default_configENS1_20scan_config_selectorIdEEZZNS1_9scan_implILNS1_25lookback_scan_determinismE0ELb0ELb0ES3_N6thrust23THRUST_200600_302600_NS6detail15normal_iteratorINS9_10device_ptrIdEEEESE_dNS9_4plusIvEEdEEDaPvRmT3_T4_T5_mT6_P12ihipStream_tbENKUlT_T0_E_clISt17integral_constantIbLb1EESU_EEDaSP_SQ_EUlSP_E0_NS1_11comp_targetILNS1_3genE3ELNS1_11target_archE908ELNS1_3gpuE7ELNS1_3repE0EEENS1_30default_config_static_selectorELNS0_4arch9wavefront6targetE1EEEvT1_.kd
    .uniform_work_group_size: 1
    .uses_dynamic_stack: false
    .vgpr_count:     0
    .vgpr_spill_count: 0
    .wavefront_size: 64
  - .agpr_count:     0
    .args:
      - .offset:         0
        .size:           40
        .value_kind:     by_value
    .group_segment_fixed_size: 0
    .kernarg_segment_align: 8
    .kernarg_segment_size: 40
    .language:       OpenCL C
    .language_version:
      - 2
      - 0
    .max_flat_workgroup_size: 128
    .name:           _ZN7rocprim17ROCPRIM_400000_NS6detail17trampoline_kernelINS0_14default_configENS1_20scan_config_selectorIdEEZZNS1_9scan_implILNS1_25lookback_scan_determinismE0ELb0ELb0ES3_N6thrust23THRUST_200600_302600_NS6detail15normal_iteratorINS9_10device_ptrIdEEEESE_dNS9_4plusIvEEdEEDaPvRmT3_T4_T5_mT6_P12ihipStream_tbENKUlT_T0_E_clISt17integral_constantIbLb1EESU_EEDaSP_SQ_EUlSP_E0_NS1_11comp_targetILNS1_3genE2ELNS1_11target_archE906ELNS1_3gpuE6ELNS1_3repE0EEENS1_30default_config_static_selectorELNS0_4arch9wavefront6targetE1EEEvT1_
    .private_segment_fixed_size: 0
    .sgpr_count:     4
    .sgpr_spill_count: 0
    .symbol:         _ZN7rocprim17ROCPRIM_400000_NS6detail17trampoline_kernelINS0_14default_configENS1_20scan_config_selectorIdEEZZNS1_9scan_implILNS1_25lookback_scan_determinismE0ELb0ELb0ES3_N6thrust23THRUST_200600_302600_NS6detail15normal_iteratorINS9_10device_ptrIdEEEESE_dNS9_4plusIvEEdEEDaPvRmT3_T4_T5_mT6_P12ihipStream_tbENKUlT_T0_E_clISt17integral_constantIbLb1EESU_EEDaSP_SQ_EUlSP_E0_NS1_11comp_targetILNS1_3genE2ELNS1_11target_archE906ELNS1_3gpuE6ELNS1_3repE0EEENS1_30default_config_static_selectorELNS0_4arch9wavefront6targetE1EEEvT1_.kd
    .uniform_work_group_size: 1
    .uses_dynamic_stack: false
    .vgpr_count:     0
    .vgpr_spill_count: 0
    .wavefront_size: 64
  - .agpr_count:     0
    .args:
      - .offset:         0
        .size:           40
        .value_kind:     by_value
    .group_segment_fixed_size: 0
    .kernarg_segment_align: 8
    .kernarg_segment_size: 40
    .language:       OpenCL C
    .language_version:
      - 2
      - 0
    .max_flat_workgroup_size: 256
    .name:           _ZN7rocprim17ROCPRIM_400000_NS6detail17trampoline_kernelINS0_14default_configENS1_20scan_config_selectorIdEEZZNS1_9scan_implILNS1_25lookback_scan_determinismE0ELb0ELb0ES3_N6thrust23THRUST_200600_302600_NS6detail15normal_iteratorINS9_10device_ptrIdEEEESE_dNS9_4plusIvEEdEEDaPvRmT3_T4_T5_mT6_P12ihipStream_tbENKUlT_T0_E_clISt17integral_constantIbLb1EESU_EEDaSP_SQ_EUlSP_E0_NS1_11comp_targetILNS1_3genE10ELNS1_11target_archE1201ELNS1_3gpuE5ELNS1_3repE0EEENS1_30default_config_static_selectorELNS0_4arch9wavefront6targetE1EEEvT1_
    .private_segment_fixed_size: 0
    .sgpr_count:     4
    .sgpr_spill_count: 0
    .symbol:         _ZN7rocprim17ROCPRIM_400000_NS6detail17trampoline_kernelINS0_14default_configENS1_20scan_config_selectorIdEEZZNS1_9scan_implILNS1_25lookback_scan_determinismE0ELb0ELb0ES3_N6thrust23THRUST_200600_302600_NS6detail15normal_iteratorINS9_10device_ptrIdEEEESE_dNS9_4plusIvEEdEEDaPvRmT3_T4_T5_mT6_P12ihipStream_tbENKUlT_T0_E_clISt17integral_constantIbLb1EESU_EEDaSP_SQ_EUlSP_E0_NS1_11comp_targetILNS1_3genE10ELNS1_11target_archE1201ELNS1_3gpuE5ELNS1_3repE0EEENS1_30default_config_static_selectorELNS0_4arch9wavefront6targetE1EEEvT1_.kd
    .uniform_work_group_size: 1
    .uses_dynamic_stack: false
    .vgpr_count:     0
    .vgpr_spill_count: 0
    .wavefront_size: 64
  - .agpr_count:     0
    .args:
      - .offset:         0
        .size:           40
        .value_kind:     by_value
    .group_segment_fixed_size: 0
    .kernarg_segment_align: 8
    .kernarg_segment_size: 40
    .language:       OpenCL C
    .language_version:
      - 2
      - 0
    .max_flat_workgroup_size: 256
    .name:           _ZN7rocprim17ROCPRIM_400000_NS6detail17trampoline_kernelINS0_14default_configENS1_20scan_config_selectorIdEEZZNS1_9scan_implILNS1_25lookback_scan_determinismE0ELb0ELb0ES3_N6thrust23THRUST_200600_302600_NS6detail15normal_iteratorINS9_10device_ptrIdEEEESE_dNS9_4plusIvEEdEEDaPvRmT3_T4_T5_mT6_P12ihipStream_tbENKUlT_T0_E_clISt17integral_constantIbLb1EESU_EEDaSP_SQ_EUlSP_E0_NS1_11comp_targetILNS1_3genE10ELNS1_11target_archE1200ELNS1_3gpuE4ELNS1_3repE0EEENS1_30default_config_static_selectorELNS0_4arch9wavefront6targetE1EEEvT1_
    .private_segment_fixed_size: 0
    .sgpr_count:     4
    .sgpr_spill_count: 0
    .symbol:         _ZN7rocprim17ROCPRIM_400000_NS6detail17trampoline_kernelINS0_14default_configENS1_20scan_config_selectorIdEEZZNS1_9scan_implILNS1_25lookback_scan_determinismE0ELb0ELb0ES3_N6thrust23THRUST_200600_302600_NS6detail15normal_iteratorINS9_10device_ptrIdEEEESE_dNS9_4plusIvEEdEEDaPvRmT3_T4_T5_mT6_P12ihipStream_tbENKUlT_T0_E_clISt17integral_constantIbLb1EESU_EEDaSP_SQ_EUlSP_E0_NS1_11comp_targetILNS1_3genE10ELNS1_11target_archE1200ELNS1_3gpuE4ELNS1_3repE0EEENS1_30default_config_static_selectorELNS0_4arch9wavefront6targetE1EEEvT1_.kd
    .uniform_work_group_size: 1
    .uses_dynamic_stack: false
    .vgpr_count:     0
    .vgpr_spill_count: 0
    .wavefront_size: 64
  - .agpr_count:     0
    .args:
      - .offset:         0
        .size:           40
        .value_kind:     by_value
    .group_segment_fixed_size: 0
    .kernarg_segment_align: 8
    .kernarg_segment_size: 40
    .language:       OpenCL C
    .language_version:
      - 2
      - 0
    .max_flat_workgroup_size: 256
    .name:           _ZN7rocprim17ROCPRIM_400000_NS6detail17trampoline_kernelINS0_14default_configENS1_20scan_config_selectorIdEEZZNS1_9scan_implILNS1_25lookback_scan_determinismE0ELb0ELb0ES3_N6thrust23THRUST_200600_302600_NS6detail15normal_iteratorINS9_10device_ptrIdEEEESE_dNS9_4plusIvEEdEEDaPvRmT3_T4_T5_mT6_P12ihipStream_tbENKUlT_T0_E_clISt17integral_constantIbLb1EESU_EEDaSP_SQ_EUlSP_E0_NS1_11comp_targetILNS1_3genE9ELNS1_11target_archE1100ELNS1_3gpuE3ELNS1_3repE0EEENS1_30default_config_static_selectorELNS0_4arch9wavefront6targetE1EEEvT1_
    .private_segment_fixed_size: 0
    .sgpr_count:     4
    .sgpr_spill_count: 0
    .symbol:         _ZN7rocprim17ROCPRIM_400000_NS6detail17trampoline_kernelINS0_14default_configENS1_20scan_config_selectorIdEEZZNS1_9scan_implILNS1_25lookback_scan_determinismE0ELb0ELb0ES3_N6thrust23THRUST_200600_302600_NS6detail15normal_iteratorINS9_10device_ptrIdEEEESE_dNS9_4plusIvEEdEEDaPvRmT3_T4_T5_mT6_P12ihipStream_tbENKUlT_T0_E_clISt17integral_constantIbLb1EESU_EEDaSP_SQ_EUlSP_E0_NS1_11comp_targetILNS1_3genE9ELNS1_11target_archE1100ELNS1_3gpuE3ELNS1_3repE0EEENS1_30default_config_static_selectorELNS0_4arch9wavefront6targetE1EEEvT1_.kd
    .uniform_work_group_size: 1
    .uses_dynamic_stack: false
    .vgpr_count:     0
    .vgpr_spill_count: 0
    .wavefront_size: 64
  - .agpr_count:     0
    .args:
      - .offset:         0
        .size:           40
        .value_kind:     by_value
    .group_segment_fixed_size: 0
    .kernarg_segment_align: 8
    .kernarg_segment_size: 40
    .language:       OpenCL C
    .language_version:
      - 2
      - 0
    .max_flat_workgroup_size: 128
    .name:           _ZN7rocprim17ROCPRIM_400000_NS6detail17trampoline_kernelINS0_14default_configENS1_20scan_config_selectorIdEEZZNS1_9scan_implILNS1_25lookback_scan_determinismE0ELb0ELb0ES3_N6thrust23THRUST_200600_302600_NS6detail15normal_iteratorINS9_10device_ptrIdEEEESE_dNS9_4plusIvEEdEEDaPvRmT3_T4_T5_mT6_P12ihipStream_tbENKUlT_T0_E_clISt17integral_constantIbLb1EESU_EEDaSP_SQ_EUlSP_E0_NS1_11comp_targetILNS1_3genE8ELNS1_11target_archE1030ELNS1_3gpuE2ELNS1_3repE0EEENS1_30default_config_static_selectorELNS0_4arch9wavefront6targetE1EEEvT1_
    .private_segment_fixed_size: 0
    .sgpr_count:     4
    .sgpr_spill_count: 0
    .symbol:         _ZN7rocprim17ROCPRIM_400000_NS6detail17trampoline_kernelINS0_14default_configENS1_20scan_config_selectorIdEEZZNS1_9scan_implILNS1_25lookback_scan_determinismE0ELb0ELb0ES3_N6thrust23THRUST_200600_302600_NS6detail15normal_iteratorINS9_10device_ptrIdEEEESE_dNS9_4plusIvEEdEEDaPvRmT3_T4_T5_mT6_P12ihipStream_tbENKUlT_T0_E_clISt17integral_constantIbLb1EESU_EEDaSP_SQ_EUlSP_E0_NS1_11comp_targetILNS1_3genE8ELNS1_11target_archE1030ELNS1_3gpuE2ELNS1_3repE0EEENS1_30default_config_static_selectorELNS0_4arch9wavefront6targetE1EEEvT1_.kd
    .uniform_work_group_size: 1
    .uses_dynamic_stack: false
    .vgpr_count:     0
    .vgpr_spill_count: 0
    .wavefront_size: 64
  - .agpr_count:     0
    .args:
      - .offset:         0
        .size:           104
        .value_kind:     by_value
    .group_segment_fixed_size: 0
    .kernarg_segment_align: 8
    .kernarg_segment_size: 104
    .language:       OpenCL C
    .language_version:
      - 2
      - 0
    .max_flat_workgroup_size: 256
    .name:           _ZN7rocprim17ROCPRIM_400000_NS6detail17trampoline_kernelINS0_14default_configENS1_20scan_config_selectorIdEEZZNS1_9scan_implILNS1_25lookback_scan_determinismE0ELb0ELb0ES3_N6thrust23THRUST_200600_302600_NS6detail15normal_iteratorINS9_10device_ptrIdEEEESE_dNS9_4plusIvEEdEEDaPvRmT3_T4_T5_mT6_P12ihipStream_tbENKUlT_T0_E_clISt17integral_constantIbLb1EEST_IbLb0EEEEDaSP_SQ_EUlSP_E_NS1_11comp_targetILNS1_3genE0ELNS1_11target_archE4294967295ELNS1_3gpuE0ELNS1_3repE0EEENS1_30default_config_static_selectorELNS0_4arch9wavefront6targetE1EEEvT1_
    .private_segment_fixed_size: 0
    .sgpr_count:     4
    .sgpr_spill_count: 0
    .symbol:         _ZN7rocprim17ROCPRIM_400000_NS6detail17trampoline_kernelINS0_14default_configENS1_20scan_config_selectorIdEEZZNS1_9scan_implILNS1_25lookback_scan_determinismE0ELb0ELb0ES3_N6thrust23THRUST_200600_302600_NS6detail15normal_iteratorINS9_10device_ptrIdEEEESE_dNS9_4plusIvEEdEEDaPvRmT3_T4_T5_mT6_P12ihipStream_tbENKUlT_T0_E_clISt17integral_constantIbLb1EEST_IbLb0EEEEDaSP_SQ_EUlSP_E_NS1_11comp_targetILNS1_3genE0ELNS1_11target_archE4294967295ELNS1_3gpuE0ELNS1_3repE0EEENS1_30default_config_static_selectorELNS0_4arch9wavefront6targetE1EEEvT1_.kd
    .uniform_work_group_size: 1
    .uses_dynamic_stack: false
    .vgpr_count:     0
    .vgpr_spill_count: 0
    .wavefront_size: 64
  - .agpr_count:     0
    .args:
      - .offset:         0
        .size:           104
        .value_kind:     by_value
    .group_segment_fixed_size: 0
    .kernarg_segment_align: 8
    .kernarg_segment_size: 104
    .language:       OpenCL C
    .language_version:
      - 2
      - 0
    .max_flat_workgroup_size: 256
    .name:           _ZN7rocprim17ROCPRIM_400000_NS6detail17trampoline_kernelINS0_14default_configENS1_20scan_config_selectorIdEEZZNS1_9scan_implILNS1_25lookback_scan_determinismE0ELb0ELb0ES3_N6thrust23THRUST_200600_302600_NS6detail15normal_iteratorINS9_10device_ptrIdEEEESE_dNS9_4plusIvEEdEEDaPvRmT3_T4_T5_mT6_P12ihipStream_tbENKUlT_T0_E_clISt17integral_constantIbLb1EEST_IbLb0EEEEDaSP_SQ_EUlSP_E_NS1_11comp_targetILNS1_3genE5ELNS1_11target_archE942ELNS1_3gpuE9ELNS1_3repE0EEENS1_30default_config_static_selectorELNS0_4arch9wavefront6targetE1EEEvT1_
    .private_segment_fixed_size: 0
    .sgpr_count:     4
    .sgpr_spill_count: 0
    .symbol:         _ZN7rocprim17ROCPRIM_400000_NS6detail17trampoline_kernelINS0_14default_configENS1_20scan_config_selectorIdEEZZNS1_9scan_implILNS1_25lookback_scan_determinismE0ELb0ELb0ES3_N6thrust23THRUST_200600_302600_NS6detail15normal_iteratorINS9_10device_ptrIdEEEESE_dNS9_4plusIvEEdEEDaPvRmT3_T4_T5_mT6_P12ihipStream_tbENKUlT_T0_E_clISt17integral_constantIbLb1EEST_IbLb0EEEEDaSP_SQ_EUlSP_E_NS1_11comp_targetILNS1_3genE5ELNS1_11target_archE942ELNS1_3gpuE9ELNS1_3repE0EEENS1_30default_config_static_selectorELNS0_4arch9wavefront6targetE1EEEvT1_.kd
    .uniform_work_group_size: 1
    .uses_dynamic_stack: false
    .vgpr_count:     0
    .vgpr_spill_count: 0
    .wavefront_size: 64
  - .agpr_count:     0
    .args:
      - .offset:         0
        .size:           104
        .value_kind:     by_value
    .group_segment_fixed_size: 10240
    .kernarg_segment_align: 8
    .kernarg_segment_size: 104
    .language:       OpenCL C
    .language_version:
      - 2
      - 0
    .max_flat_workgroup_size: 128
    .name:           _ZN7rocprim17ROCPRIM_400000_NS6detail17trampoline_kernelINS0_14default_configENS1_20scan_config_selectorIdEEZZNS1_9scan_implILNS1_25lookback_scan_determinismE0ELb0ELb0ES3_N6thrust23THRUST_200600_302600_NS6detail15normal_iteratorINS9_10device_ptrIdEEEESE_dNS9_4plusIvEEdEEDaPvRmT3_T4_T5_mT6_P12ihipStream_tbENKUlT_T0_E_clISt17integral_constantIbLb1EEST_IbLb0EEEEDaSP_SQ_EUlSP_E_NS1_11comp_targetILNS1_3genE4ELNS1_11target_archE910ELNS1_3gpuE8ELNS1_3repE0EEENS1_30default_config_static_selectorELNS0_4arch9wavefront6targetE1EEEvT1_
    .private_segment_fixed_size: 0
    .sgpr_count:     32
    .sgpr_spill_count: 0
    .symbol:         _ZN7rocprim17ROCPRIM_400000_NS6detail17trampoline_kernelINS0_14default_configENS1_20scan_config_selectorIdEEZZNS1_9scan_implILNS1_25lookback_scan_determinismE0ELb0ELb0ES3_N6thrust23THRUST_200600_302600_NS6detail15normal_iteratorINS9_10device_ptrIdEEEESE_dNS9_4plusIvEEdEEDaPvRmT3_T4_T5_mT6_P12ihipStream_tbENKUlT_T0_E_clISt17integral_constantIbLb1EEST_IbLb0EEEEDaSP_SQ_EUlSP_E_NS1_11comp_targetILNS1_3genE4ELNS1_11target_archE910ELNS1_3gpuE8ELNS1_3repE0EEENS1_30default_config_static_selectorELNS0_4arch9wavefront6targetE1EEEvT1_.kd
    .uniform_work_group_size: 1
    .uses_dynamic_stack: false
    .vgpr_count:     66
    .vgpr_spill_count: 0
    .wavefront_size: 64
  - .agpr_count:     0
    .args:
      - .offset:         0
        .size:           104
        .value_kind:     by_value
    .group_segment_fixed_size: 0
    .kernarg_segment_align: 8
    .kernarg_segment_size: 104
    .language:       OpenCL C
    .language_version:
      - 2
      - 0
    .max_flat_workgroup_size: 256
    .name:           _ZN7rocprim17ROCPRIM_400000_NS6detail17trampoline_kernelINS0_14default_configENS1_20scan_config_selectorIdEEZZNS1_9scan_implILNS1_25lookback_scan_determinismE0ELb0ELb0ES3_N6thrust23THRUST_200600_302600_NS6detail15normal_iteratorINS9_10device_ptrIdEEEESE_dNS9_4plusIvEEdEEDaPvRmT3_T4_T5_mT6_P12ihipStream_tbENKUlT_T0_E_clISt17integral_constantIbLb1EEST_IbLb0EEEEDaSP_SQ_EUlSP_E_NS1_11comp_targetILNS1_3genE3ELNS1_11target_archE908ELNS1_3gpuE7ELNS1_3repE0EEENS1_30default_config_static_selectorELNS0_4arch9wavefront6targetE1EEEvT1_
    .private_segment_fixed_size: 0
    .sgpr_count:     4
    .sgpr_spill_count: 0
    .symbol:         _ZN7rocprim17ROCPRIM_400000_NS6detail17trampoline_kernelINS0_14default_configENS1_20scan_config_selectorIdEEZZNS1_9scan_implILNS1_25lookback_scan_determinismE0ELb0ELb0ES3_N6thrust23THRUST_200600_302600_NS6detail15normal_iteratorINS9_10device_ptrIdEEEESE_dNS9_4plusIvEEdEEDaPvRmT3_T4_T5_mT6_P12ihipStream_tbENKUlT_T0_E_clISt17integral_constantIbLb1EEST_IbLb0EEEEDaSP_SQ_EUlSP_E_NS1_11comp_targetILNS1_3genE3ELNS1_11target_archE908ELNS1_3gpuE7ELNS1_3repE0EEENS1_30default_config_static_selectorELNS0_4arch9wavefront6targetE1EEEvT1_.kd
    .uniform_work_group_size: 1
    .uses_dynamic_stack: false
    .vgpr_count:     0
    .vgpr_spill_count: 0
    .wavefront_size: 64
  - .agpr_count:     0
    .args:
      - .offset:         0
        .size:           104
        .value_kind:     by_value
    .group_segment_fixed_size: 0
    .kernarg_segment_align: 8
    .kernarg_segment_size: 104
    .language:       OpenCL C
    .language_version:
      - 2
      - 0
    .max_flat_workgroup_size: 128
    .name:           _ZN7rocprim17ROCPRIM_400000_NS6detail17trampoline_kernelINS0_14default_configENS1_20scan_config_selectorIdEEZZNS1_9scan_implILNS1_25lookback_scan_determinismE0ELb0ELb0ES3_N6thrust23THRUST_200600_302600_NS6detail15normal_iteratorINS9_10device_ptrIdEEEESE_dNS9_4plusIvEEdEEDaPvRmT3_T4_T5_mT6_P12ihipStream_tbENKUlT_T0_E_clISt17integral_constantIbLb1EEST_IbLb0EEEEDaSP_SQ_EUlSP_E_NS1_11comp_targetILNS1_3genE2ELNS1_11target_archE906ELNS1_3gpuE6ELNS1_3repE0EEENS1_30default_config_static_selectorELNS0_4arch9wavefront6targetE1EEEvT1_
    .private_segment_fixed_size: 0
    .sgpr_count:     4
    .sgpr_spill_count: 0
    .symbol:         _ZN7rocprim17ROCPRIM_400000_NS6detail17trampoline_kernelINS0_14default_configENS1_20scan_config_selectorIdEEZZNS1_9scan_implILNS1_25lookback_scan_determinismE0ELb0ELb0ES3_N6thrust23THRUST_200600_302600_NS6detail15normal_iteratorINS9_10device_ptrIdEEEESE_dNS9_4plusIvEEdEEDaPvRmT3_T4_T5_mT6_P12ihipStream_tbENKUlT_T0_E_clISt17integral_constantIbLb1EEST_IbLb0EEEEDaSP_SQ_EUlSP_E_NS1_11comp_targetILNS1_3genE2ELNS1_11target_archE906ELNS1_3gpuE6ELNS1_3repE0EEENS1_30default_config_static_selectorELNS0_4arch9wavefront6targetE1EEEvT1_.kd
    .uniform_work_group_size: 1
    .uses_dynamic_stack: false
    .vgpr_count:     0
    .vgpr_spill_count: 0
    .wavefront_size: 64
  - .agpr_count:     0
    .args:
      - .offset:         0
        .size:           104
        .value_kind:     by_value
    .group_segment_fixed_size: 0
    .kernarg_segment_align: 8
    .kernarg_segment_size: 104
    .language:       OpenCL C
    .language_version:
      - 2
      - 0
    .max_flat_workgroup_size: 256
    .name:           _ZN7rocprim17ROCPRIM_400000_NS6detail17trampoline_kernelINS0_14default_configENS1_20scan_config_selectorIdEEZZNS1_9scan_implILNS1_25lookback_scan_determinismE0ELb0ELb0ES3_N6thrust23THRUST_200600_302600_NS6detail15normal_iteratorINS9_10device_ptrIdEEEESE_dNS9_4plusIvEEdEEDaPvRmT3_T4_T5_mT6_P12ihipStream_tbENKUlT_T0_E_clISt17integral_constantIbLb1EEST_IbLb0EEEEDaSP_SQ_EUlSP_E_NS1_11comp_targetILNS1_3genE10ELNS1_11target_archE1201ELNS1_3gpuE5ELNS1_3repE0EEENS1_30default_config_static_selectorELNS0_4arch9wavefront6targetE1EEEvT1_
    .private_segment_fixed_size: 0
    .sgpr_count:     4
    .sgpr_spill_count: 0
    .symbol:         _ZN7rocprim17ROCPRIM_400000_NS6detail17trampoline_kernelINS0_14default_configENS1_20scan_config_selectorIdEEZZNS1_9scan_implILNS1_25lookback_scan_determinismE0ELb0ELb0ES3_N6thrust23THRUST_200600_302600_NS6detail15normal_iteratorINS9_10device_ptrIdEEEESE_dNS9_4plusIvEEdEEDaPvRmT3_T4_T5_mT6_P12ihipStream_tbENKUlT_T0_E_clISt17integral_constantIbLb1EEST_IbLb0EEEEDaSP_SQ_EUlSP_E_NS1_11comp_targetILNS1_3genE10ELNS1_11target_archE1201ELNS1_3gpuE5ELNS1_3repE0EEENS1_30default_config_static_selectorELNS0_4arch9wavefront6targetE1EEEvT1_.kd
    .uniform_work_group_size: 1
    .uses_dynamic_stack: false
    .vgpr_count:     0
    .vgpr_spill_count: 0
    .wavefront_size: 64
  - .agpr_count:     0
    .args:
      - .offset:         0
        .size:           104
        .value_kind:     by_value
    .group_segment_fixed_size: 0
    .kernarg_segment_align: 8
    .kernarg_segment_size: 104
    .language:       OpenCL C
    .language_version:
      - 2
      - 0
    .max_flat_workgroup_size: 256
    .name:           _ZN7rocprim17ROCPRIM_400000_NS6detail17trampoline_kernelINS0_14default_configENS1_20scan_config_selectorIdEEZZNS1_9scan_implILNS1_25lookback_scan_determinismE0ELb0ELb0ES3_N6thrust23THRUST_200600_302600_NS6detail15normal_iteratorINS9_10device_ptrIdEEEESE_dNS9_4plusIvEEdEEDaPvRmT3_T4_T5_mT6_P12ihipStream_tbENKUlT_T0_E_clISt17integral_constantIbLb1EEST_IbLb0EEEEDaSP_SQ_EUlSP_E_NS1_11comp_targetILNS1_3genE10ELNS1_11target_archE1200ELNS1_3gpuE4ELNS1_3repE0EEENS1_30default_config_static_selectorELNS0_4arch9wavefront6targetE1EEEvT1_
    .private_segment_fixed_size: 0
    .sgpr_count:     4
    .sgpr_spill_count: 0
    .symbol:         _ZN7rocprim17ROCPRIM_400000_NS6detail17trampoline_kernelINS0_14default_configENS1_20scan_config_selectorIdEEZZNS1_9scan_implILNS1_25lookback_scan_determinismE0ELb0ELb0ES3_N6thrust23THRUST_200600_302600_NS6detail15normal_iteratorINS9_10device_ptrIdEEEESE_dNS9_4plusIvEEdEEDaPvRmT3_T4_T5_mT6_P12ihipStream_tbENKUlT_T0_E_clISt17integral_constantIbLb1EEST_IbLb0EEEEDaSP_SQ_EUlSP_E_NS1_11comp_targetILNS1_3genE10ELNS1_11target_archE1200ELNS1_3gpuE4ELNS1_3repE0EEENS1_30default_config_static_selectorELNS0_4arch9wavefront6targetE1EEEvT1_.kd
    .uniform_work_group_size: 1
    .uses_dynamic_stack: false
    .vgpr_count:     0
    .vgpr_spill_count: 0
    .wavefront_size: 64
  - .agpr_count:     0
    .args:
      - .offset:         0
        .size:           104
        .value_kind:     by_value
    .group_segment_fixed_size: 0
    .kernarg_segment_align: 8
    .kernarg_segment_size: 104
    .language:       OpenCL C
    .language_version:
      - 2
      - 0
    .max_flat_workgroup_size: 256
    .name:           _ZN7rocprim17ROCPRIM_400000_NS6detail17trampoline_kernelINS0_14default_configENS1_20scan_config_selectorIdEEZZNS1_9scan_implILNS1_25lookback_scan_determinismE0ELb0ELb0ES3_N6thrust23THRUST_200600_302600_NS6detail15normal_iteratorINS9_10device_ptrIdEEEESE_dNS9_4plusIvEEdEEDaPvRmT3_T4_T5_mT6_P12ihipStream_tbENKUlT_T0_E_clISt17integral_constantIbLb1EEST_IbLb0EEEEDaSP_SQ_EUlSP_E_NS1_11comp_targetILNS1_3genE9ELNS1_11target_archE1100ELNS1_3gpuE3ELNS1_3repE0EEENS1_30default_config_static_selectorELNS0_4arch9wavefront6targetE1EEEvT1_
    .private_segment_fixed_size: 0
    .sgpr_count:     4
    .sgpr_spill_count: 0
    .symbol:         _ZN7rocprim17ROCPRIM_400000_NS6detail17trampoline_kernelINS0_14default_configENS1_20scan_config_selectorIdEEZZNS1_9scan_implILNS1_25lookback_scan_determinismE0ELb0ELb0ES3_N6thrust23THRUST_200600_302600_NS6detail15normal_iteratorINS9_10device_ptrIdEEEESE_dNS9_4plusIvEEdEEDaPvRmT3_T4_T5_mT6_P12ihipStream_tbENKUlT_T0_E_clISt17integral_constantIbLb1EEST_IbLb0EEEEDaSP_SQ_EUlSP_E_NS1_11comp_targetILNS1_3genE9ELNS1_11target_archE1100ELNS1_3gpuE3ELNS1_3repE0EEENS1_30default_config_static_selectorELNS0_4arch9wavefront6targetE1EEEvT1_.kd
    .uniform_work_group_size: 1
    .uses_dynamic_stack: false
    .vgpr_count:     0
    .vgpr_spill_count: 0
    .wavefront_size: 64
  - .agpr_count:     0
    .args:
      - .offset:         0
        .size:           104
        .value_kind:     by_value
    .group_segment_fixed_size: 0
    .kernarg_segment_align: 8
    .kernarg_segment_size: 104
    .language:       OpenCL C
    .language_version:
      - 2
      - 0
    .max_flat_workgroup_size: 128
    .name:           _ZN7rocprim17ROCPRIM_400000_NS6detail17trampoline_kernelINS0_14default_configENS1_20scan_config_selectorIdEEZZNS1_9scan_implILNS1_25lookback_scan_determinismE0ELb0ELb0ES3_N6thrust23THRUST_200600_302600_NS6detail15normal_iteratorINS9_10device_ptrIdEEEESE_dNS9_4plusIvEEdEEDaPvRmT3_T4_T5_mT6_P12ihipStream_tbENKUlT_T0_E_clISt17integral_constantIbLb1EEST_IbLb0EEEEDaSP_SQ_EUlSP_E_NS1_11comp_targetILNS1_3genE8ELNS1_11target_archE1030ELNS1_3gpuE2ELNS1_3repE0EEENS1_30default_config_static_selectorELNS0_4arch9wavefront6targetE1EEEvT1_
    .private_segment_fixed_size: 0
    .sgpr_count:     4
    .sgpr_spill_count: 0
    .symbol:         _ZN7rocprim17ROCPRIM_400000_NS6detail17trampoline_kernelINS0_14default_configENS1_20scan_config_selectorIdEEZZNS1_9scan_implILNS1_25lookback_scan_determinismE0ELb0ELb0ES3_N6thrust23THRUST_200600_302600_NS6detail15normal_iteratorINS9_10device_ptrIdEEEESE_dNS9_4plusIvEEdEEDaPvRmT3_T4_T5_mT6_P12ihipStream_tbENKUlT_T0_E_clISt17integral_constantIbLb1EEST_IbLb0EEEEDaSP_SQ_EUlSP_E_NS1_11comp_targetILNS1_3genE8ELNS1_11target_archE1030ELNS1_3gpuE2ELNS1_3repE0EEENS1_30default_config_static_selectorELNS0_4arch9wavefront6targetE1EEEvT1_.kd
    .uniform_work_group_size: 1
    .uses_dynamic_stack: false
    .vgpr_count:     0
    .vgpr_spill_count: 0
    .wavefront_size: 64
  - .agpr_count:     0
    .args:
      - .offset:         0
        .size:           40
        .value_kind:     by_value
    .group_segment_fixed_size: 0
    .kernarg_segment_align: 8
    .kernarg_segment_size: 40
    .language:       OpenCL C
    .language_version:
      - 2
      - 0
    .max_flat_workgroup_size: 256
    .name:           _ZN7rocprim17ROCPRIM_400000_NS6detail17trampoline_kernelINS0_14default_configENS1_20scan_config_selectorIdEEZZNS1_9scan_implILNS1_25lookback_scan_determinismE0ELb0ELb0ES3_N6thrust23THRUST_200600_302600_NS6detail15normal_iteratorINS9_10device_ptrIdEEEESE_dNS9_4plusIvEEdEEDaPvRmT3_T4_T5_mT6_P12ihipStream_tbENKUlT_T0_E_clISt17integral_constantIbLb1EEST_IbLb0EEEEDaSP_SQ_EUlSP_E0_NS1_11comp_targetILNS1_3genE0ELNS1_11target_archE4294967295ELNS1_3gpuE0ELNS1_3repE0EEENS1_30default_config_static_selectorELNS0_4arch9wavefront6targetE1EEEvT1_
    .private_segment_fixed_size: 0
    .sgpr_count:     4
    .sgpr_spill_count: 0
    .symbol:         _ZN7rocprim17ROCPRIM_400000_NS6detail17trampoline_kernelINS0_14default_configENS1_20scan_config_selectorIdEEZZNS1_9scan_implILNS1_25lookback_scan_determinismE0ELb0ELb0ES3_N6thrust23THRUST_200600_302600_NS6detail15normal_iteratorINS9_10device_ptrIdEEEESE_dNS9_4plusIvEEdEEDaPvRmT3_T4_T5_mT6_P12ihipStream_tbENKUlT_T0_E_clISt17integral_constantIbLb1EEST_IbLb0EEEEDaSP_SQ_EUlSP_E0_NS1_11comp_targetILNS1_3genE0ELNS1_11target_archE4294967295ELNS1_3gpuE0ELNS1_3repE0EEENS1_30default_config_static_selectorELNS0_4arch9wavefront6targetE1EEEvT1_.kd
    .uniform_work_group_size: 1
    .uses_dynamic_stack: false
    .vgpr_count:     0
    .vgpr_spill_count: 0
    .wavefront_size: 64
  - .agpr_count:     0
    .args:
      - .offset:         0
        .size:           40
        .value_kind:     by_value
    .group_segment_fixed_size: 0
    .kernarg_segment_align: 8
    .kernarg_segment_size: 40
    .language:       OpenCL C
    .language_version:
      - 2
      - 0
    .max_flat_workgroup_size: 256
    .name:           _ZN7rocprim17ROCPRIM_400000_NS6detail17trampoline_kernelINS0_14default_configENS1_20scan_config_selectorIdEEZZNS1_9scan_implILNS1_25lookback_scan_determinismE0ELb0ELb0ES3_N6thrust23THRUST_200600_302600_NS6detail15normal_iteratorINS9_10device_ptrIdEEEESE_dNS9_4plusIvEEdEEDaPvRmT3_T4_T5_mT6_P12ihipStream_tbENKUlT_T0_E_clISt17integral_constantIbLb1EEST_IbLb0EEEEDaSP_SQ_EUlSP_E0_NS1_11comp_targetILNS1_3genE5ELNS1_11target_archE942ELNS1_3gpuE9ELNS1_3repE0EEENS1_30default_config_static_selectorELNS0_4arch9wavefront6targetE1EEEvT1_
    .private_segment_fixed_size: 0
    .sgpr_count:     4
    .sgpr_spill_count: 0
    .symbol:         _ZN7rocprim17ROCPRIM_400000_NS6detail17trampoline_kernelINS0_14default_configENS1_20scan_config_selectorIdEEZZNS1_9scan_implILNS1_25lookback_scan_determinismE0ELb0ELb0ES3_N6thrust23THRUST_200600_302600_NS6detail15normal_iteratorINS9_10device_ptrIdEEEESE_dNS9_4plusIvEEdEEDaPvRmT3_T4_T5_mT6_P12ihipStream_tbENKUlT_T0_E_clISt17integral_constantIbLb1EEST_IbLb0EEEEDaSP_SQ_EUlSP_E0_NS1_11comp_targetILNS1_3genE5ELNS1_11target_archE942ELNS1_3gpuE9ELNS1_3repE0EEENS1_30default_config_static_selectorELNS0_4arch9wavefront6targetE1EEEvT1_.kd
    .uniform_work_group_size: 1
    .uses_dynamic_stack: false
    .vgpr_count:     0
    .vgpr_spill_count: 0
    .wavefront_size: 64
  - .agpr_count:     0
    .args:
      - .offset:         0
        .size:           40
        .value_kind:     by_value
    .group_segment_fixed_size: 10240
    .kernarg_segment_align: 8
    .kernarg_segment_size: 40
    .language:       OpenCL C
    .language_version:
      - 2
      - 0
    .max_flat_workgroup_size: 128
    .name:           _ZN7rocprim17ROCPRIM_400000_NS6detail17trampoline_kernelINS0_14default_configENS1_20scan_config_selectorIdEEZZNS1_9scan_implILNS1_25lookback_scan_determinismE0ELb0ELb0ES3_N6thrust23THRUST_200600_302600_NS6detail15normal_iteratorINS9_10device_ptrIdEEEESE_dNS9_4plusIvEEdEEDaPvRmT3_T4_T5_mT6_P12ihipStream_tbENKUlT_T0_E_clISt17integral_constantIbLb1EEST_IbLb0EEEEDaSP_SQ_EUlSP_E0_NS1_11comp_targetILNS1_3genE4ELNS1_11target_archE910ELNS1_3gpuE8ELNS1_3repE0EEENS1_30default_config_static_selectorELNS0_4arch9wavefront6targetE1EEEvT1_
    .private_segment_fixed_size: 0
    .sgpr_count:     32
    .sgpr_spill_count: 0
    .symbol:         _ZN7rocprim17ROCPRIM_400000_NS6detail17trampoline_kernelINS0_14default_configENS1_20scan_config_selectorIdEEZZNS1_9scan_implILNS1_25lookback_scan_determinismE0ELb0ELb0ES3_N6thrust23THRUST_200600_302600_NS6detail15normal_iteratorINS9_10device_ptrIdEEEESE_dNS9_4plusIvEEdEEDaPvRmT3_T4_T5_mT6_P12ihipStream_tbENKUlT_T0_E_clISt17integral_constantIbLb1EEST_IbLb0EEEEDaSP_SQ_EUlSP_E0_NS1_11comp_targetILNS1_3genE4ELNS1_11target_archE910ELNS1_3gpuE8ELNS1_3repE0EEENS1_30default_config_static_selectorELNS0_4arch9wavefront6targetE1EEEvT1_.kd
    .uniform_work_group_size: 1
    .uses_dynamic_stack: false
    .vgpr_count:     50
    .vgpr_spill_count: 0
    .wavefront_size: 64
  - .agpr_count:     0
    .args:
      - .offset:         0
        .size:           40
        .value_kind:     by_value
    .group_segment_fixed_size: 0
    .kernarg_segment_align: 8
    .kernarg_segment_size: 40
    .language:       OpenCL C
    .language_version:
      - 2
      - 0
    .max_flat_workgroup_size: 256
    .name:           _ZN7rocprim17ROCPRIM_400000_NS6detail17trampoline_kernelINS0_14default_configENS1_20scan_config_selectorIdEEZZNS1_9scan_implILNS1_25lookback_scan_determinismE0ELb0ELb0ES3_N6thrust23THRUST_200600_302600_NS6detail15normal_iteratorINS9_10device_ptrIdEEEESE_dNS9_4plusIvEEdEEDaPvRmT3_T4_T5_mT6_P12ihipStream_tbENKUlT_T0_E_clISt17integral_constantIbLb1EEST_IbLb0EEEEDaSP_SQ_EUlSP_E0_NS1_11comp_targetILNS1_3genE3ELNS1_11target_archE908ELNS1_3gpuE7ELNS1_3repE0EEENS1_30default_config_static_selectorELNS0_4arch9wavefront6targetE1EEEvT1_
    .private_segment_fixed_size: 0
    .sgpr_count:     4
    .sgpr_spill_count: 0
    .symbol:         _ZN7rocprim17ROCPRIM_400000_NS6detail17trampoline_kernelINS0_14default_configENS1_20scan_config_selectorIdEEZZNS1_9scan_implILNS1_25lookback_scan_determinismE0ELb0ELb0ES3_N6thrust23THRUST_200600_302600_NS6detail15normal_iteratorINS9_10device_ptrIdEEEESE_dNS9_4plusIvEEdEEDaPvRmT3_T4_T5_mT6_P12ihipStream_tbENKUlT_T0_E_clISt17integral_constantIbLb1EEST_IbLb0EEEEDaSP_SQ_EUlSP_E0_NS1_11comp_targetILNS1_3genE3ELNS1_11target_archE908ELNS1_3gpuE7ELNS1_3repE0EEENS1_30default_config_static_selectorELNS0_4arch9wavefront6targetE1EEEvT1_.kd
    .uniform_work_group_size: 1
    .uses_dynamic_stack: false
    .vgpr_count:     0
    .vgpr_spill_count: 0
    .wavefront_size: 64
  - .agpr_count:     0
    .args:
      - .offset:         0
        .size:           40
        .value_kind:     by_value
    .group_segment_fixed_size: 0
    .kernarg_segment_align: 8
    .kernarg_segment_size: 40
    .language:       OpenCL C
    .language_version:
      - 2
      - 0
    .max_flat_workgroup_size: 128
    .name:           _ZN7rocprim17ROCPRIM_400000_NS6detail17trampoline_kernelINS0_14default_configENS1_20scan_config_selectorIdEEZZNS1_9scan_implILNS1_25lookback_scan_determinismE0ELb0ELb0ES3_N6thrust23THRUST_200600_302600_NS6detail15normal_iteratorINS9_10device_ptrIdEEEESE_dNS9_4plusIvEEdEEDaPvRmT3_T4_T5_mT6_P12ihipStream_tbENKUlT_T0_E_clISt17integral_constantIbLb1EEST_IbLb0EEEEDaSP_SQ_EUlSP_E0_NS1_11comp_targetILNS1_3genE2ELNS1_11target_archE906ELNS1_3gpuE6ELNS1_3repE0EEENS1_30default_config_static_selectorELNS0_4arch9wavefront6targetE1EEEvT1_
    .private_segment_fixed_size: 0
    .sgpr_count:     4
    .sgpr_spill_count: 0
    .symbol:         _ZN7rocprim17ROCPRIM_400000_NS6detail17trampoline_kernelINS0_14default_configENS1_20scan_config_selectorIdEEZZNS1_9scan_implILNS1_25lookback_scan_determinismE0ELb0ELb0ES3_N6thrust23THRUST_200600_302600_NS6detail15normal_iteratorINS9_10device_ptrIdEEEESE_dNS9_4plusIvEEdEEDaPvRmT3_T4_T5_mT6_P12ihipStream_tbENKUlT_T0_E_clISt17integral_constantIbLb1EEST_IbLb0EEEEDaSP_SQ_EUlSP_E0_NS1_11comp_targetILNS1_3genE2ELNS1_11target_archE906ELNS1_3gpuE6ELNS1_3repE0EEENS1_30default_config_static_selectorELNS0_4arch9wavefront6targetE1EEEvT1_.kd
    .uniform_work_group_size: 1
    .uses_dynamic_stack: false
    .vgpr_count:     0
    .vgpr_spill_count: 0
    .wavefront_size: 64
  - .agpr_count:     0
    .args:
      - .offset:         0
        .size:           40
        .value_kind:     by_value
    .group_segment_fixed_size: 0
    .kernarg_segment_align: 8
    .kernarg_segment_size: 40
    .language:       OpenCL C
    .language_version:
      - 2
      - 0
    .max_flat_workgroup_size: 256
    .name:           _ZN7rocprim17ROCPRIM_400000_NS6detail17trampoline_kernelINS0_14default_configENS1_20scan_config_selectorIdEEZZNS1_9scan_implILNS1_25lookback_scan_determinismE0ELb0ELb0ES3_N6thrust23THRUST_200600_302600_NS6detail15normal_iteratorINS9_10device_ptrIdEEEESE_dNS9_4plusIvEEdEEDaPvRmT3_T4_T5_mT6_P12ihipStream_tbENKUlT_T0_E_clISt17integral_constantIbLb1EEST_IbLb0EEEEDaSP_SQ_EUlSP_E0_NS1_11comp_targetILNS1_3genE10ELNS1_11target_archE1201ELNS1_3gpuE5ELNS1_3repE0EEENS1_30default_config_static_selectorELNS0_4arch9wavefront6targetE1EEEvT1_
    .private_segment_fixed_size: 0
    .sgpr_count:     4
    .sgpr_spill_count: 0
    .symbol:         _ZN7rocprim17ROCPRIM_400000_NS6detail17trampoline_kernelINS0_14default_configENS1_20scan_config_selectorIdEEZZNS1_9scan_implILNS1_25lookback_scan_determinismE0ELb0ELb0ES3_N6thrust23THRUST_200600_302600_NS6detail15normal_iteratorINS9_10device_ptrIdEEEESE_dNS9_4plusIvEEdEEDaPvRmT3_T4_T5_mT6_P12ihipStream_tbENKUlT_T0_E_clISt17integral_constantIbLb1EEST_IbLb0EEEEDaSP_SQ_EUlSP_E0_NS1_11comp_targetILNS1_3genE10ELNS1_11target_archE1201ELNS1_3gpuE5ELNS1_3repE0EEENS1_30default_config_static_selectorELNS0_4arch9wavefront6targetE1EEEvT1_.kd
    .uniform_work_group_size: 1
    .uses_dynamic_stack: false
    .vgpr_count:     0
    .vgpr_spill_count: 0
    .wavefront_size: 64
  - .agpr_count:     0
    .args:
      - .offset:         0
        .size:           40
        .value_kind:     by_value
    .group_segment_fixed_size: 0
    .kernarg_segment_align: 8
    .kernarg_segment_size: 40
    .language:       OpenCL C
    .language_version:
      - 2
      - 0
    .max_flat_workgroup_size: 256
    .name:           _ZN7rocprim17ROCPRIM_400000_NS6detail17trampoline_kernelINS0_14default_configENS1_20scan_config_selectorIdEEZZNS1_9scan_implILNS1_25lookback_scan_determinismE0ELb0ELb0ES3_N6thrust23THRUST_200600_302600_NS6detail15normal_iteratorINS9_10device_ptrIdEEEESE_dNS9_4plusIvEEdEEDaPvRmT3_T4_T5_mT6_P12ihipStream_tbENKUlT_T0_E_clISt17integral_constantIbLb1EEST_IbLb0EEEEDaSP_SQ_EUlSP_E0_NS1_11comp_targetILNS1_3genE10ELNS1_11target_archE1200ELNS1_3gpuE4ELNS1_3repE0EEENS1_30default_config_static_selectorELNS0_4arch9wavefront6targetE1EEEvT1_
    .private_segment_fixed_size: 0
    .sgpr_count:     4
    .sgpr_spill_count: 0
    .symbol:         _ZN7rocprim17ROCPRIM_400000_NS6detail17trampoline_kernelINS0_14default_configENS1_20scan_config_selectorIdEEZZNS1_9scan_implILNS1_25lookback_scan_determinismE0ELb0ELb0ES3_N6thrust23THRUST_200600_302600_NS6detail15normal_iteratorINS9_10device_ptrIdEEEESE_dNS9_4plusIvEEdEEDaPvRmT3_T4_T5_mT6_P12ihipStream_tbENKUlT_T0_E_clISt17integral_constantIbLb1EEST_IbLb0EEEEDaSP_SQ_EUlSP_E0_NS1_11comp_targetILNS1_3genE10ELNS1_11target_archE1200ELNS1_3gpuE4ELNS1_3repE0EEENS1_30default_config_static_selectorELNS0_4arch9wavefront6targetE1EEEvT1_.kd
    .uniform_work_group_size: 1
    .uses_dynamic_stack: false
    .vgpr_count:     0
    .vgpr_spill_count: 0
    .wavefront_size: 64
  - .agpr_count:     0
    .args:
      - .offset:         0
        .size:           40
        .value_kind:     by_value
    .group_segment_fixed_size: 0
    .kernarg_segment_align: 8
    .kernarg_segment_size: 40
    .language:       OpenCL C
    .language_version:
      - 2
      - 0
    .max_flat_workgroup_size: 256
    .name:           _ZN7rocprim17ROCPRIM_400000_NS6detail17trampoline_kernelINS0_14default_configENS1_20scan_config_selectorIdEEZZNS1_9scan_implILNS1_25lookback_scan_determinismE0ELb0ELb0ES3_N6thrust23THRUST_200600_302600_NS6detail15normal_iteratorINS9_10device_ptrIdEEEESE_dNS9_4plusIvEEdEEDaPvRmT3_T4_T5_mT6_P12ihipStream_tbENKUlT_T0_E_clISt17integral_constantIbLb1EEST_IbLb0EEEEDaSP_SQ_EUlSP_E0_NS1_11comp_targetILNS1_3genE9ELNS1_11target_archE1100ELNS1_3gpuE3ELNS1_3repE0EEENS1_30default_config_static_selectorELNS0_4arch9wavefront6targetE1EEEvT1_
    .private_segment_fixed_size: 0
    .sgpr_count:     4
    .sgpr_spill_count: 0
    .symbol:         _ZN7rocprim17ROCPRIM_400000_NS6detail17trampoline_kernelINS0_14default_configENS1_20scan_config_selectorIdEEZZNS1_9scan_implILNS1_25lookback_scan_determinismE0ELb0ELb0ES3_N6thrust23THRUST_200600_302600_NS6detail15normal_iteratorINS9_10device_ptrIdEEEESE_dNS9_4plusIvEEdEEDaPvRmT3_T4_T5_mT6_P12ihipStream_tbENKUlT_T0_E_clISt17integral_constantIbLb1EEST_IbLb0EEEEDaSP_SQ_EUlSP_E0_NS1_11comp_targetILNS1_3genE9ELNS1_11target_archE1100ELNS1_3gpuE3ELNS1_3repE0EEENS1_30default_config_static_selectorELNS0_4arch9wavefront6targetE1EEEvT1_.kd
    .uniform_work_group_size: 1
    .uses_dynamic_stack: false
    .vgpr_count:     0
    .vgpr_spill_count: 0
    .wavefront_size: 64
  - .agpr_count:     0
    .args:
      - .offset:         0
        .size:           40
        .value_kind:     by_value
    .group_segment_fixed_size: 0
    .kernarg_segment_align: 8
    .kernarg_segment_size: 40
    .language:       OpenCL C
    .language_version:
      - 2
      - 0
    .max_flat_workgroup_size: 128
    .name:           _ZN7rocprim17ROCPRIM_400000_NS6detail17trampoline_kernelINS0_14default_configENS1_20scan_config_selectorIdEEZZNS1_9scan_implILNS1_25lookback_scan_determinismE0ELb0ELb0ES3_N6thrust23THRUST_200600_302600_NS6detail15normal_iteratorINS9_10device_ptrIdEEEESE_dNS9_4plusIvEEdEEDaPvRmT3_T4_T5_mT6_P12ihipStream_tbENKUlT_T0_E_clISt17integral_constantIbLb1EEST_IbLb0EEEEDaSP_SQ_EUlSP_E0_NS1_11comp_targetILNS1_3genE8ELNS1_11target_archE1030ELNS1_3gpuE2ELNS1_3repE0EEENS1_30default_config_static_selectorELNS0_4arch9wavefront6targetE1EEEvT1_
    .private_segment_fixed_size: 0
    .sgpr_count:     4
    .sgpr_spill_count: 0
    .symbol:         _ZN7rocprim17ROCPRIM_400000_NS6detail17trampoline_kernelINS0_14default_configENS1_20scan_config_selectorIdEEZZNS1_9scan_implILNS1_25lookback_scan_determinismE0ELb0ELb0ES3_N6thrust23THRUST_200600_302600_NS6detail15normal_iteratorINS9_10device_ptrIdEEEESE_dNS9_4plusIvEEdEEDaPvRmT3_T4_T5_mT6_P12ihipStream_tbENKUlT_T0_E_clISt17integral_constantIbLb1EEST_IbLb0EEEEDaSP_SQ_EUlSP_E0_NS1_11comp_targetILNS1_3genE8ELNS1_11target_archE1030ELNS1_3gpuE2ELNS1_3repE0EEENS1_30default_config_static_selectorELNS0_4arch9wavefront6targetE1EEEvT1_.kd
    .uniform_work_group_size: 1
    .uses_dynamic_stack: false
    .vgpr_count:     0
    .vgpr_spill_count: 0
    .wavefront_size: 64
  - .agpr_count:     0
    .args:
      - .offset:         0
        .size:           104
        .value_kind:     by_value
    .group_segment_fixed_size: 0
    .kernarg_segment_align: 8
    .kernarg_segment_size: 104
    .language:       OpenCL C
    .language_version:
      - 2
      - 0
    .max_flat_workgroup_size: 256
    .name:           _ZN7rocprim17ROCPRIM_400000_NS6detail17trampoline_kernelINS0_14default_configENS1_20scan_config_selectorIdEEZZNS1_9scan_implILNS1_25lookback_scan_determinismE0ELb0ELb0ES3_N6thrust23THRUST_200600_302600_NS6detail15normal_iteratorINS9_10device_ptrIdEEEESE_dNS9_4plusIvEEdEEDaPvRmT3_T4_T5_mT6_P12ihipStream_tbENKUlT_T0_E_clISt17integral_constantIbLb0EEST_IbLb1EEEEDaSP_SQ_EUlSP_E_NS1_11comp_targetILNS1_3genE0ELNS1_11target_archE4294967295ELNS1_3gpuE0ELNS1_3repE0EEENS1_30default_config_static_selectorELNS0_4arch9wavefront6targetE1EEEvT1_
    .private_segment_fixed_size: 0
    .sgpr_count:     4
    .sgpr_spill_count: 0
    .symbol:         _ZN7rocprim17ROCPRIM_400000_NS6detail17trampoline_kernelINS0_14default_configENS1_20scan_config_selectorIdEEZZNS1_9scan_implILNS1_25lookback_scan_determinismE0ELb0ELb0ES3_N6thrust23THRUST_200600_302600_NS6detail15normal_iteratorINS9_10device_ptrIdEEEESE_dNS9_4plusIvEEdEEDaPvRmT3_T4_T5_mT6_P12ihipStream_tbENKUlT_T0_E_clISt17integral_constantIbLb0EEST_IbLb1EEEEDaSP_SQ_EUlSP_E_NS1_11comp_targetILNS1_3genE0ELNS1_11target_archE4294967295ELNS1_3gpuE0ELNS1_3repE0EEENS1_30default_config_static_selectorELNS0_4arch9wavefront6targetE1EEEvT1_.kd
    .uniform_work_group_size: 1
    .uses_dynamic_stack: false
    .vgpr_count:     0
    .vgpr_spill_count: 0
    .wavefront_size: 64
  - .agpr_count:     0
    .args:
      - .offset:         0
        .size:           104
        .value_kind:     by_value
    .group_segment_fixed_size: 0
    .kernarg_segment_align: 8
    .kernarg_segment_size: 104
    .language:       OpenCL C
    .language_version:
      - 2
      - 0
    .max_flat_workgroup_size: 256
    .name:           _ZN7rocprim17ROCPRIM_400000_NS6detail17trampoline_kernelINS0_14default_configENS1_20scan_config_selectorIdEEZZNS1_9scan_implILNS1_25lookback_scan_determinismE0ELb0ELb0ES3_N6thrust23THRUST_200600_302600_NS6detail15normal_iteratorINS9_10device_ptrIdEEEESE_dNS9_4plusIvEEdEEDaPvRmT3_T4_T5_mT6_P12ihipStream_tbENKUlT_T0_E_clISt17integral_constantIbLb0EEST_IbLb1EEEEDaSP_SQ_EUlSP_E_NS1_11comp_targetILNS1_3genE5ELNS1_11target_archE942ELNS1_3gpuE9ELNS1_3repE0EEENS1_30default_config_static_selectorELNS0_4arch9wavefront6targetE1EEEvT1_
    .private_segment_fixed_size: 0
    .sgpr_count:     4
    .sgpr_spill_count: 0
    .symbol:         _ZN7rocprim17ROCPRIM_400000_NS6detail17trampoline_kernelINS0_14default_configENS1_20scan_config_selectorIdEEZZNS1_9scan_implILNS1_25lookback_scan_determinismE0ELb0ELb0ES3_N6thrust23THRUST_200600_302600_NS6detail15normal_iteratorINS9_10device_ptrIdEEEESE_dNS9_4plusIvEEdEEDaPvRmT3_T4_T5_mT6_P12ihipStream_tbENKUlT_T0_E_clISt17integral_constantIbLb0EEST_IbLb1EEEEDaSP_SQ_EUlSP_E_NS1_11comp_targetILNS1_3genE5ELNS1_11target_archE942ELNS1_3gpuE9ELNS1_3repE0EEENS1_30default_config_static_selectorELNS0_4arch9wavefront6targetE1EEEvT1_.kd
    .uniform_work_group_size: 1
    .uses_dynamic_stack: false
    .vgpr_count:     0
    .vgpr_spill_count: 0
    .wavefront_size: 64
  - .agpr_count:     0
    .args:
      - .offset:         0
        .size:           104
        .value_kind:     by_value
    .group_segment_fixed_size: 10240
    .kernarg_segment_align: 8
    .kernarg_segment_size: 104
    .language:       OpenCL C
    .language_version:
      - 2
      - 0
    .max_flat_workgroup_size: 128
    .name:           _ZN7rocprim17ROCPRIM_400000_NS6detail17trampoline_kernelINS0_14default_configENS1_20scan_config_selectorIdEEZZNS1_9scan_implILNS1_25lookback_scan_determinismE0ELb0ELb0ES3_N6thrust23THRUST_200600_302600_NS6detail15normal_iteratorINS9_10device_ptrIdEEEESE_dNS9_4plusIvEEdEEDaPvRmT3_T4_T5_mT6_P12ihipStream_tbENKUlT_T0_E_clISt17integral_constantIbLb0EEST_IbLb1EEEEDaSP_SQ_EUlSP_E_NS1_11comp_targetILNS1_3genE4ELNS1_11target_archE910ELNS1_3gpuE8ELNS1_3repE0EEENS1_30default_config_static_selectorELNS0_4arch9wavefront6targetE1EEEvT1_
    .private_segment_fixed_size: 0
    .sgpr_count:     42
    .sgpr_spill_count: 0
    .symbol:         _ZN7rocprim17ROCPRIM_400000_NS6detail17trampoline_kernelINS0_14default_configENS1_20scan_config_selectorIdEEZZNS1_9scan_implILNS1_25lookback_scan_determinismE0ELb0ELb0ES3_N6thrust23THRUST_200600_302600_NS6detail15normal_iteratorINS9_10device_ptrIdEEEESE_dNS9_4plusIvEEdEEDaPvRmT3_T4_T5_mT6_P12ihipStream_tbENKUlT_T0_E_clISt17integral_constantIbLb0EEST_IbLb1EEEEDaSP_SQ_EUlSP_E_NS1_11comp_targetILNS1_3genE4ELNS1_11target_archE910ELNS1_3gpuE8ELNS1_3repE0EEENS1_30default_config_static_selectorELNS0_4arch9wavefront6targetE1EEEvT1_.kd
    .uniform_work_group_size: 1
    .uses_dynamic_stack: false
    .vgpr_count:     66
    .vgpr_spill_count: 0
    .wavefront_size: 64
  - .agpr_count:     0
    .args:
      - .offset:         0
        .size:           104
        .value_kind:     by_value
    .group_segment_fixed_size: 0
    .kernarg_segment_align: 8
    .kernarg_segment_size: 104
    .language:       OpenCL C
    .language_version:
      - 2
      - 0
    .max_flat_workgroup_size: 256
    .name:           _ZN7rocprim17ROCPRIM_400000_NS6detail17trampoline_kernelINS0_14default_configENS1_20scan_config_selectorIdEEZZNS1_9scan_implILNS1_25lookback_scan_determinismE0ELb0ELb0ES3_N6thrust23THRUST_200600_302600_NS6detail15normal_iteratorINS9_10device_ptrIdEEEESE_dNS9_4plusIvEEdEEDaPvRmT3_T4_T5_mT6_P12ihipStream_tbENKUlT_T0_E_clISt17integral_constantIbLb0EEST_IbLb1EEEEDaSP_SQ_EUlSP_E_NS1_11comp_targetILNS1_3genE3ELNS1_11target_archE908ELNS1_3gpuE7ELNS1_3repE0EEENS1_30default_config_static_selectorELNS0_4arch9wavefront6targetE1EEEvT1_
    .private_segment_fixed_size: 0
    .sgpr_count:     4
    .sgpr_spill_count: 0
    .symbol:         _ZN7rocprim17ROCPRIM_400000_NS6detail17trampoline_kernelINS0_14default_configENS1_20scan_config_selectorIdEEZZNS1_9scan_implILNS1_25lookback_scan_determinismE0ELb0ELb0ES3_N6thrust23THRUST_200600_302600_NS6detail15normal_iteratorINS9_10device_ptrIdEEEESE_dNS9_4plusIvEEdEEDaPvRmT3_T4_T5_mT6_P12ihipStream_tbENKUlT_T0_E_clISt17integral_constantIbLb0EEST_IbLb1EEEEDaSP_SQ_EUlSP_E_NS1_11comp_targetILNS1_3genE3ELNS1_11target_archE908ELNS1_3gpuE7ELNS1_3repE0EEENS1_30default_config_static_selectorELNS0_4arch9wavefront6targetE1EEEvT1_.kd
    .uniform_work_group_size: 1
    .uses_dynamic_stack: false
    .vgpr_count:     0
    .vgpr_spill_count: 0
    .wavefront_size: 64
  - .agpr_count:     0
    .args:
      - .offset:         0
        .size:           104
        .value_kind:     by_value
    .group_segment_fixed_size: 0
    .kernarg_segment_align: 8
    .kernarg_segment_size: 104
    .language:       OpenCL C
    .language_version:
      - 2
      - 0
    .max_flat_workgroup_size: 128
    .name:           _ZN7rocprim17ROCPRIM_400000_NS6detail17trampoline_kernelINS0_14default_configENS1_20scan_config_selectorIdEEZZNS1_9scan_implILNS1_25lookback_scan_determinismE0ELb0ELb0ES3_N6thrust23THRUST_200600_302600_NS6detail15normal_iteratorINS9_10device_ptrIdEEEESE_dNS9_4plusIvEEdEEDaPvRmT3_T4_T5_mT6_P12ihipStream_tbENKUlT_T0_E_clISt17integral_constantIbLb0EEST_IbLb1EEEEDaSP_SQ_EUlSP_E_NS1_11comp_targetILNS1_3genE2ELNS1_11target_archE906ELNS1_3gpuE6ELNS1_3repE0EEENS1_30default_config_static_selectorELNS0_4arch9wavefront6targetE1EEEvT1_
    .private_segment_fixed_size: 0
    .sgpr_count:     4
    .sgpr_spill_count: 0
    .symbol:         _ZN7rocprim17ROCPRIM_400000_NS6detail17trampoline_kernelINS0_14default_configENS1_20scan_config_selectorIdEEZZNS1_9scan_implILNS1_25lookback_scan_determinismE0ELb0ELb0ES3_N6thrust23THRUST_200600_302600_NS6detail15normal_iteratorINS9_10device_ptrIdEEEESE_dNS9_4plusIvEEdEEDaPvRmT3_T4_T5_mT6_P12ihipStream_tbENKUlT_T0_E_clISt17integral_constantIbLb0EEST_IbLb1EEEEDaSP_SQ_EUlSP_E_NS1_11comp_targetILNS1_3genE2ELNS1_11target_archE906ELNS1_3gpuE6ELNS1_3repE0EEENS1_30default_config_static_selectorELNS0_4arch9wavefront6targetE1EEEvT1_.kd
    .uniform_work_group_size: 1
    .uses_dynamic_stack: false
    .vgpr_count:     0
    .vgpr_spill_count: 0
    .wavefront_size: 64
  - .agpr_count:     0
    .args:
      - .offset:         0
        .size:           104
        .value_kind:     by_value
    .group_segment_fixed_size: 0
    .kernarg_segment_align: 8
    .kernarg_segment_size: 104
    .language:       OpenCL C
    .language_version:
      - 2
      - 0
    .max_flat_workgroup_size: 256
    .name:           _ZN7rocprim17ROCPRIM_400000_NS6detail17trampoline_kernelINS0_14default_configENS1_20scan_config_selectorIdEEZZNS1_9scan_implILNS1_25lookback_scan_determinismE0ELb0ELb0ES3_N6thrust23THRUST_200600_302600_NS6detail15normal_iteratorINS9_10device_ptrIdEEEESE_dNS9_4plusIvEEdEEDaPvRmT3_T4_T5_mT6_P12ihipStream_tbENKUlT_T0_E_clISt17integral_constantIbLb0EEST_IbLb1EEEEDaSP_SQ_EUlSP_E_NS1_11comp_targetILNS1_3genE10ELNS1_11target_archE1201ELNS1_3gpuE5ELNS1_3repE0EEENS1_30default_config_static_selectorELNS0_4arch9wavefront6targetE1EEEvT1_
    .private_segment_fixed_size: 0
    .sgpr_count:     4
    .sgpr_spill_count: 0
    .symbol:         _ZN7rocprim17ROCPRIM_400000_NS6detail17trampoline_kernelINS0_14default_configENS1_20scan_config_selectorIdEEZZNS1_9scan_implILNS1_25lookback_scan_determinismE0ELb0ELb0ES3_N6thrust23THRUST_200600_302600_NS6detail15normal_iteratorINS9_10device_ptrIdEEEESE_dNS9_4plusIvEEdEEDaPvRmT3_T4_T5_mT6_P12ihipStream_tbENKUlT_T0_E_clISt17integral_constantIbLb0EEST_IbLb1EEEEDaSP_SQ_EUlSP_E_NS1_11comp_targetILNS1_3genE10ELNS1_11target_archE1201ELNS1_3gpuE5ELNS1_3repE0EEENS1_30default_config_static_selectorELNS0_4arch9wavefront6targetE1EEEvT1_.kd
    .uniform_work_group_size: 1
    .uses_dynamic_stack: false
    .vgpr_count:     0
    .vgpr_spill_count: 0
    .wavefront_size: 64
  - .agpr_count:     0
    .args:
      - .offset:         0
        .size:           104
        .value_kind:     by_value
    .group_segment_fixed_size: 0
    .kernarg_segment_align: 8
    .kernarg_segment_size: 104
    .language:       OpenCL C
    .language_version:
      - 2
      - 0
    .max_flat_workgroup_size: 256
    .name:           _ZN7rocprim17ROCPRIM_400000_NS6detail17trampoline_kernelINS0_14default_configENS1_20scan_config_selectorIdEEZZNS1_9scan_implILNS1_25lookback_scan_determinismE0ELb0ELb0ES3_N6thrust23THRUST_200600_302600_NS6detail15normal_iteratorINS9_10device_ptrIdEEEESE_dNS9_4plusIvEEdEEDaPvRmT3_T4_T5_mT6_P12ihipStream_tbENKUlT_T0_E_clISt17integral_constantIbLb0EEST_IbLb1EEEEDaSP_SQ_EUlSP_E_NS1_11comp_targetILNS1_3genE10ELNS1_11target_archE1200ELNS1_3gpuE4ELNS1_3repE0EEENS1_30default_config_static_selectorELNS0_4arch9wavefront6targetE1EEEvT1_
    .private_segment_fixed_size: 0
    .sgpr_count:     4
    .sgpr_spill_count: 0
    .symbol:         _ZN7rocprim17ROCPRIM_400000_NS6detail17trampoline_kernelINS0_14default_configENS1_20scan_config_selectorIdEEZZNS1_9scan_implILNS1_25lookback_scan_determinismE0ELb0ELb0ES3_N6thrust23THRUST_200600_302600_NS6detail15normal_iteratorINS9_10device_ptrIdEEEESE_dNS9_4plusIvEEdEEDaPvRmT3_T4_T5_mT6_P12ihipStream_tbENKUlT_T0_E_clISt17integral_constantIbLb0EEST_IbLb1EEEEDaSP_SQ_EUlSP_E_NS1_11comp_targetILNS1_3genE10ELNS1_11target_archE1200ELNS1_3gpuE4ELNS1_3repE0EEENS1_30default_config_static_selectorELNS0_4arch9wavefront6targetE1EEEvT1_.kd
    .uniform_work_group_size: 1
    .uses_dynamic_stack: false
    .vgpr_count:     0
    .vgpr_spill_count: 0
    .wavefront_size: 64
  - .agpr_count:     0
    .args:
      - .offset:         0
        .size:           104
        .value_kind:     by_value
    .group_segment_fixed_size: 0
    .kernarg_segment_align: 8
    .kernarg_segment_size: 104
    .language:       OpenCL C
    .language_version:
      - 2
      - 0
    .max_flat_workgroup_size: 256
    .name:           _ZN7rocprim17ROCPRIM_400000_NS6detail17trampoline_kernelINS0_14default_configENS1_20scan_config_selectorIdEEZZNS1_9scan_implILNS1_25lookback_scan_determinismE0ELb0ELb0ES3_N6thrust23THRUST_200600_302600_NS6detail15normal_iteratorINS9_10device_ptrIdEEEESE_dNS9_4plusIvEEdEEDaPvRmT3_T4_T5_mT6_P12ihipStream_tbENKUlT_T0_E_clISt17integral_constantIbLb0EEST_IbLb1EEEEDaSP_SQ_EUlSP_E_NS1_11comp_targetILNS1_3genE9ELNS1_11target_archE1100ELNS1_3gpuE3ELNS1_3repE0EEENS1_30default_config_static_selectorELNS0_4arch9wavefront6targetE1EEEvT1_
    .private_segment_fixed_size: 0
    .sgpr_count:     4
    .sgpr_spill_count: 0
    .symbol:         _ZN7rocprim17ROCPRIM_400000_NS6detail17trampoline_kernelINS0_14default_configENS1_20scan_config_selectorIdEEZZNS1_9scan_implILNS1_25lookback_scan_determinismE0ELb0ELb0ES3_N6thrust23THRUST_200600_302600_NS6detail15normal_iteratorINS9_10device_ptrIdEEEESE_dNS9_4plusIvEEdEEDaPvRmT3_T4_T5_mT6_P12ihipStream_tbENKUlT_T0_E_clISt17integral_constantIbLb0EEST_IbLb1EEEEDaSP_SQ_EUlSP_E_NS1_11comp_targetILNS1_3genE9ELNS1_11target_archE1100ELNS1_3gpuE3ELNS1_3repE0EEENS1_30default_config_static_selectorELNS0_4arch9wavefront6targetE1EEEvT1_.kd
    .uniform_work_group_size: 1
    .uses_dynamic_stack: false
    .vgpr_count:     0
    .vgpr_spill_count: 0
    .wavefront_size: 64
  - .agpr_count:     0
    .args:
      - .offset:         0
        .size:           104
        .value_kind:     by_value
    .group_segment_fixed_size: 0
    .kernarg_segment_align: 8
    .kernarg_segment_size: 104
    .language:       OpenCL C
    .language_version:
      - 2
      - 0
    .max_flat_workgroup_size: 128
    .name:           _ZN7rocprim17ROCPRIM_400000_NS6detail17trampoline_kernelINS0_14default_configENS1_20scan_config_selectorIdEEZZNS1_9scan_implILNS1_25lookback_scan_determinismE0ELb0ELb0ES3_N6thrust23THRUST_200600_302600_NS6detail15normal_iteratorINS9_10device_ptrIdEEEESE_dNS9_4plusIvEEdEEDaPvRmT3_T4_T5_mT6_P12ihipStream_tbENKUlT_T0_E_clISt17integral_constantIbLb0EEST_IbLb1EEEEDaSP_SQ_EUlSP_E_NS1_11comp_targetILNS1_3genE8ELNS1_11target_archE1030ELNS1_3gpuE2ELNS1_3repE0EEENS1_30default_config_static_selectorELNS0_4arch9wavefront6targetE1EEEvT1_
    .private_segment_fixed_size: 0
    .sgpr_count:     4
    .sgpr_spill_count: 0
    .symbol:         _ZN7rocprim17ROCPRIM_400000_NS6detail17trampoline_kernelINS0_14default_configENS1_20scan_config_selectorIdEEZZNS1_9scan_implILNS1_25lookback_scan_determinismE0ELb0ELb0ES3_N6thrust23THRUST_200600_302600_NS6detail15normal_iteratorINS9_10device_ptrIdEEEESE_dNS9_4plusIvEEdEEDaPvRmT3_T4_T5_mT6_P12ihipStream_tbENKUlT_T0_E_clISt17integral_constantIbLb0EEST_IbLb1EEEEDaSP_SQ_EUlSP_E_NS1_11comp_targetILNS1_3genE8ELNS1_11target_archE1030ELNS1_3gpuE2ELNS1_3repE0EEENS1_30default_config_static_selectorELNS0_4arch9wavefront6targetE1EEEvT1_.kd
    .uniform_work_group_size: 1
    .uses_dynamic_stack: false
    .vgpr_count:     0
    .vgpr_spill_count: 0
    .wavefront_size: 64
  - .agpr_count:     0
    .args:
      - .offset:         0
        .size:           40
        .value_kind:     by_value
    .group_segment_fixed_size: 0
    .kernarg_segment_align: 8
    .kernarg_segment_size: 40
    .language:       OpenCL C
    .language_version:
      - 2
      - 0
    .max_flat_workgroup_size: 256
    .name:           _ZN7rocprim17ROCPRIM_400000_NS6detail17trampoline_kernelINS0_14default_configENS1_20scan_config_selectorIdEEZZNS1_9scan_implILNS1_25lookback_scan_determinismE0ELb0ELb0ES3_N6thrust23THRUST_200600_302600_NS6detail15normal_iteratorINS9_10device_ptrIdEEEESE_dNS9_4plusIvEEdEEDaPvRmT3_T4_T5_mT6_P12ihipStream_tbENKUlT_T0_E_clISt17integral_constantIbLb0EEST_IbLb1EEEEDaSP_SQ_EUlSP_E0_NS1_11comp_targetILNS1_3genE0ELNS1_11target_archE4294967295ELNS1_3gpuE0ELNS1_3repE0EEENS1_30default_config_static_selectorELNS0_4arch9wavefront6targetE1EEEvT1_
    .private_segment_fixed_size: 0
    .sgpr_count:     4
    .sgpr_spill_count: 0
    .symbol:         _ZN7rocprim17ROCPRIM_400000_NS6detail17trampoline_kernelINS0_14default_configENS1_20scan_config_selectorIdEEZZNS1_9scan_implILNS1_25lookback_scan_determinismE0ELb0ELb0ES3_N6thrust23THRUST_200600_302600_NS6detail15normal_iteratorINS9_10device_ptrIdEEEESE_dNS9_4plusIvEEdEEDaPvRmT3_T4_T5_mT6_P12ihipStream_tbENKUlT_T0_E_clISt17integral_constantIbLb0EEST_IbLb1EEEEDaSP_SQ_EUlSP_E0_NS1_11comp_targetILNS1_3genE0ELNS1_11target_archE4294967295ELNS1_3gpuE0ELNS1_3repE0EEENS1_30default_config_static_selectorELNS0_4arch9wavefront6targetE1EEEvT1_.kd
    .uniform_work_group_size: 1
    .uses_dynamic_stack: false
    .vgpr_count:     0
    .vgpr_spill_count: 0
    .wavefront_size: 64
  - .agpr_count:     0
    .args:
      - .offset:         0
        .size:           40
        .value_kind:     by_value
    .group_segment_fixed_size: 0
    .kernarg_segment_align: 8
    .kernarg_segment_size: 40
    .language:       OpenCL C
    .language_version:
      - 2
      - 0
    .max_flat_workgroup_size: 256
    .name:           _ZN7rocprim17ROCPRIM_400000_NS6detail17trampoline_kernelINS0_14default_configENS1_20scan_config_selectorIdEEZZNS1_9scan_implILNS1_25lookback_scan_determinismE0ELb0ELb0ES3_N6thrust23THRUST_200600_302600_NS6detail15normal_iteratorINS9_10device_ptrIdEEEESE_dNS9_4plusIvEEdEEDaPvRmT3_T4_T5_mT6_P12ihipStream_tbENKUlT_T0_E_clISt17integral_constantIbLb0EEST_IbLb1EEEEDaSP_SQ_EUlSP_E0_NS1_11comp_targetILNS1_3genE5ELNS1_11target_archE942ELNS1_3gpuE9ELNS1_3repE0EEENS1_30default_config_static_selectorELNS0_4arch9wavefront6targetE1EEEvT1_
    .private_segment_fixed_size: 0
    .sgpr_count:     4
    .sgpr_spill_count: 0
    .symbol:         _ZN7rocprim17ROCPRIM_400000_NS6detail17trampoline_kernelINS0_14default_configENS1_20scan_config_selectorIdEEZZNS1_9scan_implILNS1_25lookback_scan_determinismE0ELb0ELb0ES3_N6thrust23THRUST_200600_302600_NS6detail15normal_iteratorINS9_10device_ptrIdEEEESE_dNS9_4plusIvEEdEEDaPvRmT3_T4_T5_mT6_P12ihipStream_tbENKUlT_T0_E_clISt17integral_constantIbLb0EEST_IbLb1EEEEDaSP_SQ_EUlSP_E0_NS1_11comp_targetILNS1_3genE5ELNS1_11target_archE942ELNS1_3gpuE9ELNS1_3repE0EEENS1_30default_config_static_selectorELNS0_4arch9wavefront6targetE1EEEvT1_.kd
    .uniform_work_group_size: 1
    .uses_dynamic_stack: false
    .vgpr_count:     0
    .vgpr_spill_count: 0
    .wavefront_size: 64
  - .agpr_count:     0
    .args:
      - .offset:         0
        .size:           40
        .value_kind:     by_value
    .group_segment_fixed_size: 10240
    .kernarg_segment_align: 8
    .kernarg_segment_size: 40
    .language:       OpenCL C
    .language_version:
      - 2
      - 0
    .max_flat_workgroup_size: 128
    .name:           _ZN7rocprim17ROCPRIM_400000_NS6detail17trampoline_kernelINS0_14default_configENS1_20scan_config_selectorIdEEZZNS1_9scan_implILNS1_25lookback_scan_determinismE0ELb0ELb0ES3_N6thrust23THRUST_200600_302600_NS6detail15normal_iteratorINS9_10device_ptrIdEEEESE_dNS9_4plusIvEEdEEDaPvRmT3_T4_T5_mT6_P12ihipStream_tbENKUlT_T0_E_clISt17integral_constantIbLb0EEST_IbLb1EEEEDaSP_SQ_EUlSP_E0_NS1_11comp_targetILNS1_3genE4ELNS1_11target_archE910ELNS1_3gpuE8ELNS1_3repE0EEENS1_30default_config_static_selectorELNS0_4arch9wavefront6targetE1EEEvT1_
    .private_segment_fixed_size: 0
    .sgpr_count:     32
    .sgpr_spill_count: 0
    .symbol:         _ZN7rocprim17ROCPRIM_400000_NS6detail17trampoline_kernelINS0_14default_configENS1_20scan_config_selectorIdEEZZNS1_9scan_implILNS1_25lookback_scan_determinismE0ELb0ELb0ES3_N6thrust23THRUST_200600_302600_NS6detail15normal_iteratorINS9_10device_ptrIdEEEESE_dNS9_4plusIvEEdEEDaPvRmT3_T4_T5_mT6_P12ihipStream_tbENKUlT_T0_E_clISt17integral_constantIbLb0EEST_IbLb1EEEEDaSP_SQ_EUlSP_E0_NS1_11comp_targetILNS1_3genE4ELNS1_11target_archE910ELNS1_3gpuE8ELNS1_3repE0EEENS1_30default_config_static_selectorELNS0_4arch9wavefront6targetE1EEEvT1_.kd
    .uniform_work_group_size: 1
    .uses_dynamic_stack: false
    .vgpr_count:     50
    .vgpr_spill_count: 0
    .wavefront_size: 64
  - .agpr_count:     0
    .args:
      - .offset:         0
        .size:           40
        .value_kind:     by_value
    .group_segment_fixed_size: 0
    .kernarg_segment_align: 8
    .kernarg_segment_size: 40
    .language:       OpenCL C
    .language_version:
      - 2
      - 0
    .max_flat_workgroup_size: 256
    .name:           _ZN7rocprim17ROCPRIM_400000_NS6detail17trampoline_kernelINS0_14default_configENS1_20scan_config_selectorIdEEZZNS1_9scan_implILNS1_25lookback_scan_determinismE0ELb0ELb0ES3_N6thrust23THRUST_200600_302600_NS6detail15normal_iteratorINS9_10device_ptrIdEEEESE_dNS9_4plusIvEEdEEDaPvRmT3_T4_T5_mT6_P12ihipStream_tbENKUlT_T0_E_clISt17integral_constantIbLb0EEST_IbLb1EEEEDaSP_SQ_EUlSP_E0_NS1_11comp_targetILNS1_3genE3ELNS1_11target_archE908ELNS1_3gpuE7ELNS1_3repE0EEENS1_30default_config_static_selectorELNS0_4arch9wavefront6targetE1EEEvT1_
    .private_segment_fixed_size: 0
    .sgpr_count:     4
    .sgpr_spill_count: 0
    .symbol:         _ZN7rocprim17ROCPRIM_400000_NS6detail17trampoline_kernelINS0_14default_configENS1_20scan_config_selectorIdEEZZNS1_9scan_implILNS1_25lookback_scan_determinismE0ELb0ELb0ES3_N6thrust23THRUST_200600_302600_NS6detail15normal_iteratorINS9_10device_ptrIdEEEESE_dNS9_4plusIvEEdEEDaPvRmT3_T4_T5_mT6_P12ihipStream_tbENKUlT_T0_E_clISt17integral_constantIbLb0EEST_IbLb1EEEEDaSP_SQ_EUlSP_E0_NS1_11comp_targetILNS1_3genE3ELNS1_11target_archE908ELNS1_3gpuE7ELNS1_3repE0EEENS1_30default_config_static_selectorELNS0_4arch9wavefront6targetE1EEEvT1_.kd
    .uniform_work_group_size: 1
    .uses_dynamic_stack: false
    .vgpr_count:     0
    .vgpr_spill_count: 0
    .wavefront_size: 64
  - .agpr_count:     0
    .args:
      - .offset:         0
        .size:           40
        .value_kind:     by_value
    .group_segment_fixed_size: 0
    .kernarg_segment_align: 8
    .kernarg_segment_size: 40
    .language:       OpenCL C
    .language_version:
      - 2
      - 0
    .max_flat_workgroup_size: 128
    .name:           _ZN7rocprim17ROCPRIM_400000_NS6detail17trampoline_kernelINS0_14default_configENS1_20scan_config_selectorIdEEZZNS1_9scan_implILNS1_25lookback_scan_determinismE0ELb0ELb0ES3_N6thrust23THRUST_200600_302600_NS6detail15normal_iteratorINS9_10device_ptrIdEEEESE_dNS9_4plusIvEEdEEDaPvRmT3_T4_T5_mT6_P12ihipStream_tbENKUlT_T0_E_clISt17integral_constantIbLb0EEST_IbLb1EEEEDaSP_SQ_EUlSP_E0_NS1_11comp_targetILNS1_3genE2ELNS1_11target_archE906ELNS1_3gpuE6ELNS1_3repE0EEENS1_30default_config_static_selectorELNS0_4arch9wavefront6targetE1EEEvT1_
    .private_segment_fixed_size: 0
    .sgpr_count:     4
    .sgpr_spill_count: 0
    .symbol:         _ZN7rocprim17ROCPRIM_400000_NS6detail17trampoline_kernelINS0_14default_configENS1_20scan_config_selectorIdEEZZNS1_9scan_implILNS1_25lookback_scan_determinismE0ELb0ELb0ES3_N6thrust23THRUST_200600_302600_NS6detail15normal_iteratorINS9_10device_ptrIdEEEESE_dNS9_4plusIvEEdEEDaPvRmT3_T4_T5_mT6_P12ihipStream_tbENKUlT_T0_E_clISt17integral_constantIbLb0EEST_IbLb1EEEEDaSP_SQ_EUlSP_E0_NS1_11comp_targetILNS1_3genE2ELNS1_11target_archE906ELNS1_3gpuE6ELNS1_3repE0EEENS1_30default_config_static_selectorELNS0_4arch9wavefront6targetE1EEEvT1_.kd
    .uniform_work_group_size: 1
    .uses_dynamic_stack: false
    .vgpr_count:     0
    .vgpr_spill_count: 0
    .wavefront_size: 64
  - .agpr_count:     0
    .args:
      - .offset:         0
        .size:           40
        .value_kind:     by_value
    .group_segment_fixed_size: 0
    .kernarg_segment_align: 8
    .kernarg_segment_size: 40
    .language:       OpenCL C
    .language_version:
      - 2
      - 0
    .max_flat_workgroup_size: 256
    .name:           _ZN7rocprim17ROCPRIM_400000_NS6detail17trampoline_kernelINS0_14default_configENS1_20scan_config_selectorIdEEZZNS1_9scan_implILNS1_25lookback_scan_determinismE0ELb0ELb0ES3_N6thrust23THRUST_200600_302600_NS6detail15normal_iteratorINS9_10device_ptrIdEEEESE_dNS9_4plusIvEEdEEDaPvRmT3_T4_T5_mT6_P12ihipStream_tbENKUlT_T0_E_clISt17integral_constantIbLb0EEST_IbLb1EEEEDaSP_SQ_EUlSP_E0_NS1_11comp_targetILNS1_3genE10ELNS1_11target_archE1201ELNS1_3gpuE5ELNS1_3repE0EEENS1_30default_config_static_selectorELNS0_4arch9wavefront6targetE1EEEvT1_
    .private_segment_fixed_size: 0
    .sgpr_count:     4
    .sgpr_spill_count: 0
    .symbol:         _ZN7rocprim17ROCPRIM_400000_NS6detail17trampoline_kernelINS0_14default_configENS1_20scan_config_selectorIdEEZZNS1_9scan_implILNS1_25lookback_scan_determinismE0ELb0ELb0ES3_N6thrust23THRUST_200600_302600_NS6detail15normal_iteratorINS9_10device_ptrIdEEEESE_dNS9_4plusIvEEdEEDaPvRmT3_T4_T5_mT6_P12ihipStream_tbENKUlT_T0_E_clISt17integral_constantIbLb0EEST_IbLb1EEEEDaSP_SQ_EUlSP_E0_NS1_11comp_targetILNS1_3genE10ELNS1_11target_archE1201ELNS1_3gpuE5ELNS1_3repE0EEENS1_30default_config_static_selectorELNS0_4arch9wavefront6targetE1EEEvT1_.kd
    .uniform_work_group_size: 1
    .uses_dynamic_stack: false
    .vgpr_count:     0
    .vgpr_spill_count: 0
    .wavefront_size: 64
  - .agpr_count:     0
    .args:
      - .offset:         0
        .size:           40
        .value_kind:     by_value
    .group_segment_fixed_size: 0
    .kernarg_segment_align: 8
    .kernarg_segment_size: 40
    .language:       OpenCL C
    .language_version:
      - 2
      - 0
    .max_flat_workgroup_size: 256
    .name:           _ZN7rocprim17ROCPRIM_400000_NS6detail17trampoline_kernelINS0_14default_configENS1_20scan_config_selectorIdEEZZNS1_9scan_implILNS1_25lookback_scan_determinismE0ELb0ELb0ES3_N6thrust23THRUST_200600_302600_NS6detail15normal_iteratorINS9_10device_ptrIdEEEESE_dNS9_4plusIvEEdEEDaPvRmT3_T4_T5_mT6_P12ihipStream_tbENKUlT_T0_E_clISt17integral_constantIbLb0EEST_IbLb1EEEEDaSP_SQ_EUlSP_E0_NS1_11comp_targetILNS1_3genE10ELNS1_11target_archE1200ELNS1_3gpuE4ELNS1_3repE0EEENS1_30default_config_static_selectorELNS0_4arch9wavefront6targetE1EEEvT1_
    .private_segment_fixed_size: 0
    .sgpr_count:     4
    .sgpr_spill_count: 0
    .symbol:         _ZN7rocprim17ROCPRIM_400000_NS6detail17trampoline_kernelINS0_14default_configENS1_20scan_config_selectorIdEEZZNS1_9scan_implILNS1_25lookback_scan_determinismE0ELb0ELb0ES3_N6thrust23THRUST_200600_302600_NS6detail15normal_iteratorINS9_10device_ptrIdEEEESE_dNS9_4plusIvEEdEEDaPvRmT3_T4_T5_mT6_P12ihipStream_tbENKUlT_T0_E_clISt17integral_constantIbLb0EEST_IbLb1EEEEDaSP_SQ_EUlSP_E0_NS1_11comp_targetILNS1_3genE10ELNS1_11target_archE1200ELNS1_3gpuE4ELNS1_3repE0EEENS1_30default_config_static_selectorELNS0_4arch9wavefront6targetE1EEEvT1_.kd
    .uniform_work_group_size: 1
    .uses_dynamic_stack: false
    .vgpr_count:     0
    .vgpr_spill_count: 0
    .wavefront_size: 64
  - .agpr_count:     0
    .args:
      - .offset:         0
        .size:           40
        .value_kind:     by_value
    .group_segment_fixed_size: 0
    .kernarg_segment_align: 8
    .kernarg_segment_size: 40
    .language:       OpenCL C
    .language_version:
      - 2
      - 0
    .max_flat_workgroup_size: 256
    .name:           _ZN7rocprim17ROCPRIM_400000_NS6detail17trampoline_kernelINS0_14default_configENS1_20scan_config_selectorIdEEZZNS1_9scan_implILNS1_25lookback_scan_determinismE0ELb0ELb0ES3_N6thrust23THRUST_200600_302600_NS6detail15normal_iteratorINS9_10device_ptrIdEEEESE_dNS9_4plusIvEEdEEDaPvRmT3_T4_T5_mT6_P12ihipStream_tbENKUlT_T0_E_clISt17integral_constantIbLb0EEST_IbLb1EEEEDaSP_SQ_EUlSP_E0_NS1_11comp_targetILNS1_3genE9ELNS1_11target_archE1100ELNS1_3gpuE3ELNS1_3repE0EEENS1_30default_config_static_selectorELNS0_4arch9wavefront6targetE1EEEvT1_
    .private_segment_fixed_size: 0
    .sgpr_count:     4
    .sgpr_spill_count: 0
    .symbol:         _ZN7rocprim17ROCPRIM_400000_NS6detail17trampoline_kernelINS0_14default_configENS1_20scan_config_selectorIdEEZZNS1_9scan_implILNS1_25lookback_scan_determinismE0ELb0ELb0ES3_N6thrust23THRUST_200600_302600_NS6detail15normal_iteratorINS9_10device_ptrIdEEEESE_dNS9_4plusIvEEdEEDaPvRmT3_T4_T5_mT6_P12ihipStream_tbENKUlT_T0_E_clISt17integral_constantIbLb0EEST_IbLb1EEEEDaSP_SQ_EUlSP_E0_NS1_11comp_targetILNS1_3genE9ELNS1_11target_archE1100ELNS1_3gpuE3ELNS1_3repE0EEENS1_30default_config_static_selectorELNS0_4arch9wavefront6targetE1EEEvT1_.kd
    .uniform_work_group_size: 1
    .uses_dynamic_stack: false
    .vgpr_count:     0
    .vgpr_spill_count: 0
    .wavefront_size: 64
  - .agpr_count:     0
    .args:
      - .offset:         0
        .size:           40
        .value_kind:     by_value
    .group_segment_fixed_size: 0
    .kernarg_segment_align: 8
    .kernarg_segment_size: 40
    .language:       OpenCL C
    .language_version:
      - 2
      - 0
    .max_flat_workgroup_size: 128
    .name:           _ZN7rocprim17ROCPRIM_400000_NS6detail17trampoline_kernelINS0_14default_configENS1_20scan_config_selectorIdEEZZNS1_9scan_implILNS1_25lookback_scan_determinismE0ELb0ELb0ES3_N6thrust23THRUST_200600_302600_NS6detail15normal_iteratorINS9_10device_ptrIdEEEESE_dNS9_4plusIvEEdEEDaPvRmT3_T4_T5_mT6_P12ihipStream_tbENKUlT_T0_E_clISt17integral_constantIbLb0EEST_IbLb1EEEEDaSP_SQ_EUlSP_E0_NS1_11comp_targetILNS1_3genE8ELNS1_11target_archE1030ELNS1_3gpuE2ELNS1_3repE0EEENS1_30default_config_static_selectorELNS0_4arch9wavefront6targetE1EEEvT1_
    .private_segment_fixed_size: 0
    .sgpr_count:     4
    .sgpr_spill_count: 0
    .symbol:         _ZN7rocprim17ROCPRIM_400000_NS6detail17trampoline_kernelINS0_14default_configENS1_20scan_config_selectorIdEEZZNS1_9scan_implILNS1_25lookback_scan_determinismE0ELb0ELb0ES3_N6thrust23THRUST_200600_302600_NS6detail15normal_iteratorINS9_10device_ptrIdEEEESE_dNS9_4plusIvEEdEEDaPvRmT3_T4_T5_mT6_P12ihipStream_tbENKUlT_T0_E_clISt17integral_constantIbLb0EEST_IbLb1EEEEDaSP_SQ_EUlSP_E0_NS1_11comp_targetILNS1_3genE8ELNS1_11target_archE1030ELNS1_3gpuE2ELNS1_3repE0EEENS1_30default_config_static_selectorELNS0_4arch9wavefront6targetE1EEEvT1_.kd
    .uniform_work_group_size: 1
    .uses_dynamic_stack: false
    .vgpr_count:     0
    .vgpr_spill_count: 0
    .wavefront_size: 64
  - .agpr_count:     0
    .args:
      - .offset:         0
        .size:           104
        .value_kind:     by_value
    .group_segment_fixed_size: 0
    .kernarg_segment_align: 8
    .kernarg_segment_size: 104
    .language:       OpenCL C
    .language_version:
      - 2
      - 0
    .max_flat_workgroup_size: 256
    .name:           _ZN7rocprim17ROCPRIM_400000_NS6detail17trampoline_kernelINS0_14default_configENS1_20scan_config_selectorIdEEZZNS1_9scan_implILNS1_25lookback_scan_determinismE0ELb1ELb1ES3_N6thrust23THRUST_200600_302600_NS6detail15normal_iteratorINS9_10device_ptrIdEEEESE_dNS9_4plusIvEEdEEDaPvRmT3_T4_T5_mT6_P12ihipStream_tbENKUlT_T0_E_clISt17integral_constantIbLb0EESU_EEDaSP_SQ_EUlSP_E_NS1_11comp_targetILNS1_3genE0ELNS1_11target_archE4294967295ELNS1_3gpuE0ELNS1_3repE0EEENS1_30default_config_static_selectorELNS0_4arch9wavefront6targetE1EEEvT1_
    .private_segment_fixed_size: 0
    .sgpr_count:     4
    .sgpr_spill_count: 0
    .symbol:         _ZN7rocprim17ROCPRIM_400000_NS6detail17trampoline_kernelINS0_14default_configENS1_20scan_config_selectorIdEEZZNS1_9scan_implILNS1_25lookback_scan_determinismE0ELb1ELb1ES3_N6thrust23THRUST_200600_302600_NS6detail15normal_iteratorINS9_10device_ptrIdEEEESE_dNS9_4plusIvEEdEEDaPvRmT3_T4_T5_mT6_P12ihipStream_tbENKUlT_T0_E_clISt17integral_constantIbLb0EESU_EEDaSP_SQ_EUlSP_E_NS1_11comp_targetILNS1_3genE0ELNS1_11target_archE4294967295ELNS1_3gpuE0ELNS1_3repE0EEENS1_30default_config_static_selectorELNS0_4arch9wavefront6targetE1EEEvT1_.kd
    .uniform_work_group_size: 1
    .uses_dynamic_stack: false
    .vgpr_count:     0
    .vgpr_spill_count: 0
    .wavefront_size: 64
  - .agpr_count:     0
    .args:
      - .offset:         0
        .size:           104
        .value_kind:     by_value
    .group_segment_fixed_size: 0
    .kernarg_segment_align: 8
    .kernarg_segment_size: 104
    .language:       OpenCL C
    .language_version:
      - 2
      - 0
    .max_flat_workgroup_size: 256
    .name:           _ZN7rocprim17ROCPRIM_400000_NS6detail17trampoline_kernelINS0_14default_configENS1_20scan_config_selectorIdEEZZNS1_9scan_implILNS1_25lookback_scan_determinismE0ELb1ELb1ES3_N6thrust23THRUST_200600_302600_NS6detail15normal_iteratorINS9_10device_ptrIdEEEESE_dNS9_4plusIvEEdEEDaPvRmT3_T4_T5_mT6_P12ihipStream_tbENKUlT_T0_E_clISt17integral_constantIbLb0EESU_EEDaSP_SQ_EUlSP_E_NS1_11comp_targetILNS1_3genE5ELNS1_11target_archE942ELNS1_3gpuE9ELNS1_3repE0EEENS1_30default_config_static_selectorELNS0_4arch9wavefront6targetE1EEEvT1_
    .private_segment_fixed_size: 0
    .sgpr_count:     4
    .sgpr_spill_count: 0
    .symbol:         _ZN7rocprim17ROCPRIM_400000_NS6detail17trampoline_kernelINS0_14default_configENS1_20scan_config_selectorIdEEZZNS1_9scan_implILNS1_25lookback_scan_determinismE0ELb1ELb1ES3_N6thrust23THRUST_200600_302600_NS6detail15normal_iteratorINS9_10device_ptrIdEEEESE_dNS9_4plusIvEEdEEDaPvRmT3_T4_T5_mT6_P12ihipStream_tbENKUlT_T0_E_clISt17integral_constantIbLb0EESU_EEDaSP_SQ_EUlSP_E_NS1_11comp_targetILNS1_3genE5ELNS1_11target_archE942ELNS1_3gpuE9ELNS1_3repE0EEENS1_30default_config_static_selectorELNS0_4arch9wavefront6targetE1EEEvT1_.kd
    .uniform_work_group_size: 1
    .uses_dynamic_stack: false
    .vgpr_count:     0
    .vgpr_spill_count: 0
    .wavefront_size: 64
  - .agpr_count:     0
    .args:
      - .offset:         0
        .size:           104
        .value_kind:     by_value
    .group_segment_fixed_size: 10240
    .kernarg_segment_align: 8
    .kernarg_segment_size: 104
    .language:       OpenCL C
    .language_version:
      - 2
      - 0
    .max_flat_workgroup_size: 128
    .name:           _ZN7rocprim17ROCPRIM_400000_NS6detail17trampoline_kernelINS0_14default_configENS1_20scan_config_selectorIdEEZZNS1_9scan_implILNS1_25lookback_scan_determinismE0ELb1ELb1ES3_N6thrust23THRUST_200600_302600_NS6detail15normal_iteratorINS9_10device_ptrIdEEEESE_dNS9_4plusIvEEdEEDaPvRmT3_T4_T5_mT6_P12ihipStream_tbENKUlT_T0_E_clISt17integral_constantIbLb0EESU_EEDaSP_SQ_EUlSP_E_NS1_11comp_targetILNS1_3genE4ELNS1_11target_archE910ELNS1_3gpuE8ELNS1_3repE0EEENS1_30default_config_static_selectorELNS0_4arch9wavefront6targetE1EEEvT1_
    .private_segment_fixed_size: 0
    .sgpr_count:     36
    .sgpr_spill_count: 0
    .symbol:         _ZN7rocprim17ROCPRIM_400000_NS6detail17trampoline_kernelINS0_14default_configENS1_20scan_config_selectorIdEEZZNS1_9scan_implILNS1_25lookback_scan_determinismE0ELb1ELb1ES3_N6thrust23THRUST_200600_302600_NS6detail15normal_iteratorINS9_10device_ptrIdEEEESE_dNS9_4plusIvEEdEEDaPvRmT3_T4_T5_mT6_P12ihipStream_tbENKUlT_T0_E_clISt17integral_constantIbLb0EESU_EEDaSP_SQ_EUlSP_E_NS1_11comp_targetILNS1_3genE4ELNS1_11target_archE910ELNS1_3gpuE8ELNS1_3repE0EEENS1_30default_config_static_selectorELNS0_4arch9wavefront6targetE1EEEvT1_.kd
    .uniform_work_group_size: 1
    .uses_dynamic_stack: false
    .vgpr_count:     68
    .vgpr_spill_count: 0
    .wavefront_size: 64
  - .agpr_count:     0
    .args:
      - .offset:         0
        .size:           104
        .value_kind:     by_value
    .group_segment_fixed_size: 0
    .kernarg_segment_align: 8
    .kernarg_segment_size: 104
    .language:       OpenCL C
    .language_version:
      - 2
      - 0
    .max_flat_workgroup_size: 256
    .name:           _ZN7rocprim17ROCPRIM_400000_NS6detail17trampoline_kernelINS0_14default_configENS1_20scan_config_selectorIdEEZZNS1_9scan_implILNS1_25lookback_scan_determinismE0ELb1ELb1ES3_N6thrust23THRUST_200600_302600_NS6detail15normal_iteratorINS9_10device_ptrIdEEEESE_dNS9_4plusIvEEdEEDaPvRmT3_T4_T5_mT6_P12ihipStream_tbENKUlT_T0_E_clISt17integral_constantIbLb0EESU_EEDaSP_SQ_EUlSP_E_NS1_11comp_targetILNS1_3genE3ELNS1_11target_archE908ELNS1_3gpuE7ELNS1_3repE0EEENS1_30default_config_static_selectorELNS0_4arch9wavefront6targetE1EEEvT1_
    .private_segment_fixed_size: 0
    .sgpr_count:     4
    .sgpr_spill_count: 0
    .symbol:         _ZN7rocprim17ROCPRIM_400000_NS6detail17trampoline_kernelINS0_14default_configENS1_20scan_config_selectorIdEEZZNS1_9scan_implILNS1_25lookback_scan_determinismE0ELb1ELb1ES3_N6thrust23THRUST_200600_302600_NS6detail15normal_iteratorINS9_10device_ptrIdEEEESE_dNS9_4plusIvEEdEEDaPvRmT3_T4_T5_mT6_P12ihipStream_tbENKUlT_T0_E_clISt17integral_constantIbLb0EESU_EEDaSP_SQ_EUlSP_E_NS1_11comp_targetILNS1_3genE3ELNS1_11target_archE908ELNS1_3gpuE7ELNS1_3repE0EEENS1_30default_config_static_selectorELNS0_4arch9wavefront6targetE1EEEvT1_.kd
    .uniform_work_group_size: 1
    .uses_dynamic_stack: false
    .vgpr_count:     0
    .vgpr_spill_count: 0
    .wavefront_size: 64
  - .agpr_count:     0
    .args:
      - .offset:         0
        .size:           104
        .value_kind:     by_value
    .group_segment_fixed_size: 0
    .kernarg_segment_align: 8
    .kernarg_segment_size: 104
    .language:       OpenCL C
    .language_version:
      - 2
      - 0
    .max_flat_workgroup_size: 128
    .name:           _ZN7rocprim17ROCPRIM_400000_NS6detail17trampoline_kernelINS0_14default_configENS1_20scan_config_selectorIdEEZZNS1_9scan_implILNS1_25lookback_scan_determinismE0ELb1ELb1ES3_N6thrust23THRUST_200600_302600_NS6detail15normal_iteratorINS9_10device_ptrIdEEEESE_dNS9_4plusIvEEdEEDaPvRmT3_T4_T5_mT6_P12ihipStream_tbENKUlT_T0_E_clISt17integral_constantIbLb0EESU_EEDaSP_SQ_EUlSP_E_NS1_11comp_targetILNS1_3genE2ELNS1_11target_archE906ELNS1_3gpuE6ELNS1_3repE0EEENS1_30default_config_static_selectorELNS0_4arch9wavefront6targetE1EEEvT1_
    .private_segment_fixed_size: 0
    .sgpr_count:     4
    .sgpr_spill_count: 0
    .symbol:         _ZN7rocprim17ROCPRIM_400000_NS6detail17trampoline_kernelINS0_14default_configENS1_20scan_config_selectorIdEEZZNS1_9scan_implILNS1_25lookback_scan_determinismE0ELb1ELb1ES3_N6thrust23THRUST_200600_302600_NS6detail15normal_iteratorINS9_10device_ptrIdEEEESE_dNS9_4plusIvEEdEEDaPvRmT3_T4_T5_mT6_P12ihipStream_tbENKUlT_T0_E_clISt17integral_constantIbLb0EESU_EEDaSP_SQ_EUlSP_E_NS1_11comp_targetILNS1_3genE2ELNS1_11target_archE906ELNS1_3gpuE6ELNS1_3repE0EEENS1_30default_config_static_selectorELNS0_4arch9wavefront6targetE1EEEvT1_.kd
    .uniform_work_group_size: 1
    .uses_dynamic_stack: false
    .vgpr_count:     0
    .vgpr_spill_count: 0
    .wavefront_size: 64
  - .agpr_count:     0
    .args:
      - .offset:         0
        .size:           104
        .value_kind:     by_value
    .group_segment_fixed_size: 0
    .kernarg_segment_align: 8
    .kernarg_segment_size: 104
    .language:       OpenCL C
    .language_version:
      - 2
      - 0
    .max_flat_workgroup_size: 256
    .name:           _ZN7rocprim17ROCPRIM_400000_NS6detail17trampoline_kernelINS0_14default_configENS1_20scan_config_selectorIdEEZZNS1_9scan_implILNS1_25lookback_scan_determinismE0ELb1ELb1ES3_N6thrust23THRUST_200600_302600_NS6detail15normal_iteratorINS9_10device_ptrIdEEEESE_dNS9_4plusIvEEdEEDaPvRmT3_T4_T5_mT6_P12ihipStream_tbENKUlT_T0_E_clISt17integral_constantIbLb0EESU_EEDaSP_SQ_EUlSP_E_NS1_11comp_targetILNS1_3genE10ELNS1_11target_archE1201ELNS1_3gpuE5ELNS1_3repE0EEENS1_30default_config_static_selectorELNS0_4arch9wavefront6targetE1EEEvT1_
    .private_segment_fixed_size: 0
    .sgpr_count:     4
    .sgpr_spill_count: 0
    .symbol:         _ZN7rocprim17ROCPRIM_400000_NS6detail17trampoline_kernelINS0_14default_configENS1_20scan_config_selectorIdEEZZNS1_9scan_implILNS1_25lookback_scan_determinismE0ELb1ELb1ES3_N6thrust23THRUST_200600_302600_NS6detail15normal_iteratorINS9_10device_ptrIdEEEESE_dNS9_4plusIvEEdEEDaPvRmT3_T4_T5_mT6_P12ihipStream_tbENKUlT_T0_E_clISt17integral_constantIbLb0EESU_EEDaSP_SQ_EUlSP_E_NS1_11comp_targetILNS1_3genE10ELNS1_11target_archE1201ELNS1_3gpuE5ELNS1_3repE0EEENS1_30default_config_static_selectorELNS0_4arch9wavefront6targetE1EEEvT1_.kd
    .uniform_work_group_size: 1
    .uses_dynamic_stack: false
    .vgpr_count:     0
    .vgpr_spill_count: 0
    .wavefront_size: 64
  - .agpr_count:     0
    .args:
      - .offset:         0
        .size:           104
        .value_kind:     by_value
    .group_segment_fixed_size: 0
    .kernarg_segment_align: 8
    .kernarg_segment_size: 104
    .language:       OpenCL C
    .language_version:
      - 2
      - 0
    .max_flat_workgroup_size: 256
    .name:           _ZN7rocprim17ROCPRIM_400000_NS6detail17trampoline_kernelINS0_14default_configENS1_20scan_config_selectorIdEEZZNS1_9scan_implILNS1_25lookback_scan_determinismE0ELb1ELb1ES3_N6thrust23THRUST_200600_302600_NS6detail15normal_iteratorINS9_10device_ptrIdEEEESE_dNS9_4plusIvEEdEEDaPvRmT3_T4_T5_mT6_P12ihipStream_tbENKUlT_T0_E_clISt17integral_constantIbLb0EESU_EEDaSP_SQ_EUlSP_E_NS1_11comp_targetILNS1_3genE10ELNS1_11target_archE1200ELNS1_3gpuE4ELNS1_3repE0EEENS1_30default_config_static_selectorELNS0_4arch9wavefront6targetE1EEEvT1_
    .private_segment_fixed_size: 0
    .sgpr_count:     4
    .sgpr_spill_count: 0
    .symbol:         _ZN7rocprim17ROCPRIM_400000_NS6detail17trampoline_kernelINS0_14default_configENS1_20scan_config_selectorIdEEZZNS1_9scan_implILNS1_25lookback_scan_determinismE0ELb1ELb1ES3_N6thrust23THRUST_200600_302600_NS6detail15normal_iteratorINS9_10device_ptrIdEEEESE_dNS9_4plusIvEEdEEDaPvRmT3_T4_T5_mT6_P12ihipStream_tbENKUlT_T0_E_clISt17integral_constantIbLb0EESU_EEDaSP_SQ_EUlSP_E_NS1_11comp_targetILNS1_3genE10ELNS1_11target_archE1200ELNS1_3gpuE4ELNS1_3repE0EEENS1_30default_config_static_selectorELNS0_4arch9wavefront6targetE1EEEvT1_.kd
    .uniform_work_group_size: 1
    .uses_dynamic_stack: false
    .vgpr_count:     0
    .vgpr_spill_count: 0
    .wavefront_size: 64
  - .agpr_count:     0
    .args:
      - .offset:         0
        .size:           104
        .value_kind:     by_value
    .group_segment_fixed_size: 0
    .kernarg_segment_align: 8
    .kernarg_segment_size: 104
    .language:       OpenCL C
    .language_version:
      - 2
      - 0
    .max_flat_workgroup_size: 256
    .name:           _ZN7rocprim17ROCPRIM_400000_NS6detail17trampoline_kernelINS0_14default_configENS1_20scan_config_selectorIdEEZZNS1_9scan_implILNS1_25lookback_scan_determinismE0ELb1ELb1ES3_N6thrust23THRUST_200600_302600_NS6detail15normal_iteratorINS9_10device_ptrIdEEEESE_dNS9_4plusIvEEdEEDaPvRmT3_T4_T5_mT6_P12ihipStream_tbENKUlT_T0_E_clISt17integral_constantIbLb0EESU_EEDaSP_SQ_EUlSP_E_NS1_11comp_targetILNS1_3genE9ELNS1_11target_archE1100ELNS1_3gpuE3ELNS1_3repE0EEENS1_30default_config_static_selectorELNS0_4arch9wavefront6targetE1EEEvT1_
    .private_segment_fixed_size: 0
    .sgpr_count:     4
    .sgpr_spill_count: 0
    .symbol:         _ZN7rocprim17ROCPRIM_400000_NS6detail17trampoline_kernelINS0_14default_configENS1_20scan_config_selectorIdEEZZNS1_9scan_implILNS1_25lookback_scan_determinismE0ELb1ELb1ES3_N6thrust23THRUST_200600_302600_NS6detail15normal_iteratorINS9_10device_ptrIdEEEESE_dNS9_4plusIvEEdEEDaPvRmT3_T4_T5_mT6_P12ihipStream_tbENKUlT_T0_E_clISt17integral_constantIbLb0EESU_EEDaSP_SQ_EUlSP_E_NS1_11comp_targetILNS1_3genE9ELNS1_11target_archE1100ELNS1_3gpuE3ELNS1_3repE0EEENS1_30default_config_static_selectorELNS0_4arch9wavefront6targetE1EEEvT1_.kd
    .uniform_work_group_size: 1
    .uses_dynamic_stack: false
    .vgpr_count:     0
    .vgpr_spill_count: 0
    .wavefront_size: 64
  - .agpr_count:     0
    .args:
      - .offset:         0
        .size:           104
        .value_kind:     by_value
    .group_segment_fixed_size: 0
    .kernarg_segment_align: 8
    .kernarg_segment_size: 104
    .language:       OpenCL C
    .language_version:
      - 2
      - 0
    .max_flat_workgroup_size: 128
    .name:           _ZN7rocprim17ROCPRIM_400000_NS6detail17trampoline_kernelINS0_14default_configENS1_20scan_config_selectorIdEEZZNS1_9scan_implILNS1_25lookback_scan_determinismE0ELb1ELb1ES3_N6thrust23THRUST_200600_302600_NS6detail15normal_iteratorINS9_10device_ptrIdEEEESE_dNS9_4plusIvEEdEEDaPvRmT3_T4_T5_mT6_P12ihipStream_tbENKUlT_T0_E_clISt17integral_constantIbLb0EESU_EEDaSP_SQ_EUlSP_E_NS1_11comp_targetILNS1_3genE8ELNS1_11target_archE1030ELNS1_3gpuE2ELNS1_3repE0EEENS1_30default_config_static_selectorELNS0_4arch9wavefront6targetE1EEEvT1_
    .private_segment_fixed_size: 0
    .sgpr_count:     4
    .sgpr_spill_count: 0
    .symbol:         _ZN7rocprim17ROCPRIM_400000_NS6detail17trampoline_kernelINS0_14default_configENS1_20scan_config_selectorIdEEZZNS1_9scan_implILNS1_25lookback_scan_determinismE0ELb1ELb1ES3_N6thrust23THRUST_200600_302600_NS6detail15normal_iteratorINS9_10device_ptrIdEEEESE_dNS9_4plusIvEEdEEDaPvRmT3_T4_T5_mT6_P12ihipStream_tbENKUlT_T0_E_clISt17integral_constantIbLb0EESU_EEDaSP_SQ_EUlSP_E_NS1_11comp_targetILNS1_3genE8ELNS1_11target_archE1030ELNS1_3gpuE2ELNS1_3repE0EEENS1_30default_config_static_selectorELNS0_4arch9wavefront6targetE1EEEvT1_.kd
    .uniform_work_group_size: 1
    .uses_dynamic_stack: false
    .vgpr_count:     0
    .vgpr_spill_count: 0
    .wavefront_size: 64
  - .agpr_count:     0
    .args:
      - .offset:         0
        .size:           40
        .value_kind:     by_value
    .group_segment_fixed_size: 0
    .kernarg_segment_align: 8
    .kernarg_segment_size: 40
    .language:       OpenCL C
    .language_version:
      - 2
      - 0
    .max_flat_workgroup_size: 256
    .name:           _ZN7rocprim17ROCPRIM_400000_NS6detail17trampoline_kernelINS0_14default_configENS1_20scan_config_selectorIdEEZZNS1_9scan_implILNS1_25lookback_scan_determinismE0ELb1ELb1ES3_N6thrust23THRUST_200600_302600_NS6detail15normal_iteratorINS9_10device_ptrIdEEEESE_dNS9_4plusIvEEdEEDaPvRmT3_T4_T5_mT6_P12ihipStream_tbENKUlT_T0_E_clISt17integral_constantIbLb0EESU_EEDaSP_SQ_EUlSP_E0_NS1_11comp_targetILNS1_3genE0ELNS1_11target_archE4294967295ELNS1_3gpuE0ELNS1_3repE0EEENS1_30default_config_static_selectorELNS0_4arch9wavefront6targetE1EEEvT1_
    .private_segment_fixed_size: 0
    .sgpr_count:     4
    .sgpr_spill_count: 0
    .symbol:         _ZN7rocprim17ROCPRIM_400000_NS6detail17trampoline_kernelINS0_14default_configENS1_20scan_config_selectorIdEEZZNS1_9scan_implILNS1_25lookback_scan_determinismE0ELb1ELb1ES3_N6thrust23THRUST_200600_302600_NS6detail15normal_iteratorINS9_10device_ptrIdEEEESE_dNS9_4plusIvEEdEEDaPvRmT3_T4_T5_mT6_P12ihipStream_tbENKUlT_T0_E_clISt17integral_constantIbLb0EESU_EEDaSP_SQ_EUlSP_E0_NS1_11comp_targetILNS1_3genE0ELNS1_11target_archE4294967295ELNS1_3gpuE0ELNS1_3repE0EEENS1_30default_config_static_selectorELNS0_4arch9wavefront6targetE1EEEvT1_.kd
    .uniform_work_group_size: 1
    .uses_dynamic_stack: false
    .vgpr_count:     0
    .vgpr_spill_count: 0
    .wavefront_size: 64
  - .agpr_count:     0
    .args:
      - .offset:         0
        .size:           40
        .value_kind:     by_value
    .group_segment_fixed_size: 0
    .kernarg_segment_align: 8
    .kernarg_segment_size: 40
    .language:       OpenCL C
    .language_version:
      - 2
      - 0
    .max_flat_workgroup_size: 256
    .name:           _ZN7rocprim17ROCPRIM_400000_NS6detail17trampoline_kernelINS0_14default_configENS1_20scan_config_selectorIdEEZZNS1_9scan_implILNS1_25lookback_scan_determinismE0ELb1ELb1ES3_N6thrust23THRUST_200600_302600_NS6detail15normal_iteratorINS9_10device_ptrIdEEEESE_dNS9_4plusIvEEdEEDaPvRmT3_T4_T5_mT6_P12ihipStream_tbENKUlT_T0_E_clISt17integral_constantIbLb0EESU_EEDaSP_SQ_EUlSP_E0_NS1_11comp_targetILNS1_3genE5ELNS1_11target_archE942ELNS1_3gpuE9ELNS1_3repE0EEENS1_30default_config_static_selectorELNS0_4arch9wavefront6targetE1EEEvT1_
    .private_segment_fixed_size: 0
    .sgpr_count:     4
    .sgpr_spill_count: 0
    .symbol:         _ZN7rocprim17ROCPRIM_400000_NS6detail17trampoline_kernelINS0_14default_configENS1_20scan_config_selectorIdEEZZNS1_9scan_implILNS1_25lookback_scan_determinismE0ELb1ELb1ES3_N6thrust23THRUST_200600_302600_NS6detail15normal_iteratorINS9_10device_ptrIdEEEESE_dNS9_4plusIvEEdEEDaPvRmT3_T4_T5_mT6_P12ihipStream_tbENKUlT_T0_E_clISt17integral_constantIbLb0EESU_EEDaSP_SQ_EUlSP_E0_NS1_11comp_targetILNS1_3genE5ELNS1_11target_archE942ELNS1_3gpuE9ELNS1_3repE0EEENS1_30default_config_static_selectorELNS0_4arch9wavefront6targetE1EEEvT1_.kd
    .uniform_work_group_size: 1
    .uses_dynamic_stack: false
    .vgpr_count:     0
    .vgpr_spill_count: 0
    .wavefront_size: 64
  - .agpr_count:     0
    .args:
      - .offset:         0
        .size:           40
        .value_kind:     by_value
    .group_segment_fixed_size: 10240
    .kernarg_segment_align: 8
    .kernarg_segment_size: 40
    .language:       OpenCL C
    .language_version:
      - 2
      - 0
    .max_flat_workgroup_size: 128
    .name:           _ZN7rocprim17ROCPRIM_400000_NS6detail17trampoline_kernelINS0_14default_configENS1_20scan_config_selectorIdEEZZNS1_9scan_implILNS1_25lookback_scan_determinismE0ELb1ELb1ES3_N6thrust23THRUST_200600_302600_NS6detail15normal_iteratorINS9_10device_ptrIdEEEESE_dNS9_4plusIvEEdEEDaPvRmT3_T4_T5_mT6_P12ihipStream_tbENKUlT_T0_E_clISt17integral_constantIbLb0EESU_EEDaSP_SQ_EUlSP_E0_NS1_11comp_targetILNS1_3genE4ELNS1_11target_archE910ELNS1_3gpuE8ELNS1_3repE0EEENS1_30default_config_static_selectorELNS0_4arch9wavefront6targetE1EEEvT1_
    .private_segment_fixed_size: 0
    .sgpr_count:     34
    .sgpr_spill_count: 0
    .symbol:         _ZN7rocprim17ROCPRIM_400000_NS6detail17trampoline_kernelINS0_14default_configENS1_20scan_config_selectorIdEEZZNS1_9scan_implILNS1_25lookback_scan_determinismE0ELb1ELb1ES3_N6thrust23THRUST_200600_302600_NS6detail15normal_iteratorINS9_10device_ptrIdEEEESE_dNS9_4plusIvEEdEEDaPvRmT3_T4_T5_mT6_P12ihipStream_tbENKUlT_T0_E_clISt17integral_constantIbLb0EESU_EEDaSP_SQ_EUlSP_E0_NS1_11comp_targetILNS1_3genE4ELNS1_11target_archE910ELNS1_3gpuE8ELNS1_3repE0EEENS1_30default_config_static_selectorELNS0_4arch9wavefront6targetE1EEEvT1_.kd
    .uniform_work_group_size: 1
    .uses_dynamic_stack: false
    .vgpr_count:     31
    .vgpr_spill_count: 0
    .wavefront_size: 64
  - .agpr_count:     0
    .args:
      - .offset:         0
        .size:           40
        .value_kind:     by_value
    .group_segment_fixed_size: 0
    .kernarg_segment_align: 8
    .kernarg_segment_size: 40
    .language:       OpenCL C
    .language_version:
      - 2
      - 0
    .max_flat_workgroup_size: 256
    .name:           _ZN7rocprim17ROCPRIM_400000_NS6detail17trampoline_kernelINS0_14default_configENS1_20scan_config_selectorIdEEZZNS1_9scan_implILNS1_25lookback_scan_determinismE0ELb1ELb1ES3_N6thrust23THRUST_200600_302600_NS6detail15normal_iteratorINS9_10device_ptrIdEEEESE_dNS9_4plusIvEEdEEDaPvRmT3_T4_T5_mT6_P12ihipStream_tbENKUlT_T0_E_clISt17integral_constantIbLb0EESU_EEDaSP_SQ_EUlSP_E0_NS1_11comp_targetILNS1_3genE3ELNS1_11target_archE908ELNS1_3gpuE7ELNS1_3repE0EEENS1_30default_config_static_selectorELNS0_4arch9wavefront6targetE1EEEvT1_
    .private_segment_fixed_size: 0
    .sgpr_count:     4
    .sgpr_spill_count: 0
    .symbol:         _ZN7rocprim17ROCPRIM_400000_NS6detail17trampoline_kernelINS0_14default_configENS1_20scan_config_selectorIdEEZZNS1_9scan_implILNS1_25lookback_scan_determinismE0ELb1ELb1ES3_N6thrust23THRUST_200600_302600_NS6detail15normal_iteratorINS9_10device_ptrIdEEEESE_dNS9_4plusIvEEdEEDaPvRmT3_T4_T5_mT6_P12ihipStream_tbENKUlT_T0_E_clISt17integral_constantIbLb0EESU_EEDaSP_SQ_EUlSP_E0_NS1_11comp_targetILNS1_3genE3ELNS1_11target_archE908ELNS1_3gpuE7ELNS1_3repE0EEENS1_30default_config_static_selectorELNS0_4arch9wavefront6targetE1EEEvT1_.kd
    .uniform_work_group_size: 1
    .uses_dynamic_stack: false
    .vgpr_count:     0
    .vgpr_spill_count: 0
    .wavefront_size: 64
  - .agpr_count:     0
    .args:
      - .offset:         0
        .size:           40
        .value_kind:     by_value
    .group_segment_fixed_size: 0
    .kernarg_segment_align: 8
    .kernarg_segment_size: 40
    .language:       OpenCL C
    .language_version:
      - 2
      - 0
    .max_flat_workgroup_size: 128
    .name:           _ZN7rocprim17ROCPRIM_400000_NS6detail17trampoline_kernelINS0_14default_configENS1_20scan_config_selectorIdEEZZNS1_9scan_implILNS1_25lookback_scan_determinismE0ELb1ELb1ES3_N6thrust23THRUST_200600_302600_NS6detail15normal_iteratorINS9_10device_ptrIdEEEESE_dNS9_4plusIvEEdEEDaPvRmT3_T4_T5_mT6_P12ihipStream_tbENKUlT_T0_E_clISt17integral_constantIbLb0EESU_EEDaSP_SQ_EUlSP_E0_NS1_11comp_targetILNS1_3genE2ELNS1_11target_archE906ELNS1_3gpuE6ELNS1_3repE0EEENS1_30default_config_static_selectorELNS0_4arch9wavefront6targetE1EEEvT1_
    .private_segment_fixed_size: 0
    .sgpr_count:     4
    .sgpr_spill_count: 0
    .symbol:         _ZN7rocprim17ROCPRIM_400000_NS6detail17trampoline_kernelINS0_14default_configENS1_20scan_config_selectorIdEEZZNS1_9scan_implILNS1_25lookback_scan_determinismE0ELb1ELb1ES3_N6thrust23THRUST_200600_302600_NS6detail15normal_iteratorINS9_10device_ptrIdEEEESE_dNS9_4plusIvEEdEEDaPvRmT3_T4_T5_mT6_P12ihipStream_tbENKUlT_T0_E_clISt17integral_constantIbLb0EESU_EEDaSP_SQ_EUlSP_E0_NS1_11comp_targetILNS1_3genE2ELNS1_11target_archE906ELNS1_3gpuE6ELNS1_3repE0EEENS1_30default_config_static_selectorELNS0_4arch9wavefront6targetE1EEEvT1_.kd
    .uniform_work_group_size: 1
    .uses_dynamic_stack: false
    .vgpr_count:     0
    .vgpr_spill_count: 0
    .wavefront_size: 64
  - .agpr_count:     0
    .args:
      - .offset:         0
        .size:           40
        .value_kind:     by_value
    .group_segment_fixed_size: 0
    .kernarg_segment_align: 8
    .kernarg_segment_size: 40
    .language:       OpenCL C
    .language_version:
      - 2
      - 0
    .max_flat_workgroup_size: 256
    .name:           _ZN7rocprim17ROCPRIM_400000_NS6detail17trampoline_kernelINS0_14default_configENS1_20scan_config_selectorIdEEZZNS1_9scan_implILNS1_25lookback_scan_determinismE0ELb1ELb1ES3_N6thrust23THRUST_200600_302600_NS6detail15normal_iteratorINS9_10device_ptrIdEEEESE_dNS9_4plusIvEEdEEDaPvRmT3_T4_T5_mT6_P12ihipStream_tbENKUlT_T0_E_clISt17integral_constantIbLb0EESU_EEDaSP_SQ_EUlSP_E0_NS1_11comp_targetILNS1_3genE10ELNS1_11target_archE1201ELNS1_3gpuE5ELNS1_3repE0EEENS1_30default_config_static_selectorELNS0_4arch9wavefront6targetE1EEEvT1_
    .private_segment_fixed_size: 0
    .sgpr_count:     4
    .sgpr_spill_count: 0
    .symbol:         _ZN7rocprim17ROCPRIM_400000_NS6detail17trampoline_kernelINS0_14default_configENS1_20scan_config_selectorIdEEZZNS1_9scan_implILNS1_25lookback_scan_determinismE0ELb1ELb1ES3_N6thrust23THRUST_200600_302600_NS6detail15normal_iteratorINS9_10device_ptrIdEEEESE_dNS9_4plusIvEEdEEDaPvRmT3_T4_T5_mT6_P12ihipStream_tbENKUlT_T0_E_clISt17integral_constantIbLb0EESU_EEDaSP_SQ_EUlSP_E0_NS1_11comp_targetILNS1_3genE10ELNS1_11target_archE1201ELNS1_3gpuE5ELNS1_3repE0EEENS1_30default_config_static_selectorELNS0_4arch9wavefront6targetE1EEEvT1_.kd
    .uniform_work_group_size: 1
    .uses_dynamic_stack: false
    .vgpr_count:     0
    .vgpr_spill_count: 0
    .wavefront_size: 64
  - .agpr_count:     0
    .args:
      - .offset:         0
        .size:           40
        .value_kind:     by_value
    .group_segment_fixed_size: 0
    .kernarg_segment_align: 8
    .kernarg_segment_size: 40
    .language:       OpenCL C
    .language_version:
      - 2
      - 0
    .max_flat_workgroup_size: 256
    .name:           _ZN7rocprim17ROCPRIM_400000_NS6detail17trampoline_kernelINS0_14default_configENS1_20scan_config_selectorIdEEZZNS1_9scan_implILNS1_25lookback_scan_determinismE0ELb1ELb1ES3_N6thrust23THRUST_200600_302600_NS6detail15normal_iteratorINS9_10device_ptrIdEEEESE_dNS9_4plusIvEEdEEDaPvRmT3_T4_T5_mT6_P12ihipStream_tbENKUlT_T0_E_clISt17integral_constantIbLb0EESU_EEDaSP_SQ_EUlSP_E0_NS1_11comp_targetILNS1_3genE10ELNS1_11target_archE1200ELNS1_3gpuE4ELNS1_3repE0EEENS1_30default_config_static_selectorELNS0_4arch9wavefront6targetE1EEEvT1_
    .private_segment_fixed_size: 0
    .sgpr_count:     4
    .sgpr_spill_count: 0
    .symbol:         _ZN7rocprim17ROCPRIM_400000_NS6detail17trampoline_kernelINS0_14default_configENS1_20scan_config_selectorIdEEZZNS1_9scan_implILNS1_25lookback_scan_determinismE0ELb1ELb1ES3_N6thrust23THRUST_200600_302600_NS6detail15normal_iteratorINS9_10device_ptrIdEEEESE_dNS9_4plusIvEEdEEDaPvRmT3_T4_T5_mT6_P12ihipStream_tbENKUlT_T0_E_clISt17integral_constantIbLb0EESU_EEDaSP_SQ_EUlSP_E0_NS1_11comp_targetILNS1_3genE10ELNS1_11target_archE1200ELNS1_3gpuE4ELNS1_3repE0EEENS1_30default_config_static_selectorELNS0_4arch9wavefront6targetE1EEEvT1_.kd
    .uniform_work_group_size: 1
    .uses_dynamic_stack: false
    .vgpr_count:     0
    .vgpr_spill_count: 0
    .wavefront_size: 64
  - .agpr_count:     0
    .args:
      - .offset:         0
        .size:           40
        .value_kind:     by_value
    .group_segment_fixed_size: 0
    .kernarg_segment_align: 8
    .kernarg_segment_size: 40
    .language:       OpenCL C
    .language_version:
      - 2
      - 0
    .max_flat_workgroup_size: 256
    .name:           _ZN7rocprim17ROCPRIM_400000_NS6detail17trampoline_kernelINS0_14default_configENS1_20scan_config_selectorIdEEZZNS1_9scan_implILNS1_25lookback_scan_determinismE0ELb1ELb1ES3_N6thrust23THRUST_200600_302600_NS6detail15normal_iteratorINS9_10device_ptrIdEEEESE_dNS9_4plusIvEEdEEDaPvRmT3_T4_T5_mT6_P12ihipStream_tbENKUlT_T0_E_clISt17integral_constantIbLb0EESU_EEDaSP_SQ_EUlSP_E0_NS1_11comp_targetILNS1_3genE9ELNS1_11target_archE1100ELNS1_3gpuE3ELNS1_3repE0EEENS1_30default_config_static_selectorELNS0_4arch9wavefront6targetE1EEEvT1_
    .private_segment_fixed_size: 0
    .sgpr_count:     4
    .sgpr_spill_count: 0
    .symbol:         _ZN7rocprim17ROCPRIM_400000_NS6detail17trampoline_kernelINS0_14default_configENS1_20scan_config_selectorIdEEZZNS1_9scan_implILNS1_25lookback_scan_determinismE0ELb1ELb1ES3_N6thrust23THRUST_200600_302600_NS6detail15normal_iteratorINS9_10device_ptrIdEEEESE_dNS9_4plusIvEEdEEDaPvRmT3_T4_T5_mT6_P12ihipStream_tbENKUlT_T0_E_clISt17integral_constantIbLb0EESU_EEDaSP_SQ_EUlSP_E0_NS1_11comp_targetILNS1_3genE9ELNS1_11target_archE1100ELNS1_3gpuE3ELNS1_3repE0EEENS1_30default_config_static_selectorELNS0_4arch9wavefront6targetE1EEEvT1_.kd
    .uniform_work_group_size: 1
    .uses_dynamic_stack: false
    .vgpr_count:     0
    .vgpr_spill_count: 0
    .wavefront_size: 64
  - .agpr_count:     0
    .args:
      - .offset:         0
        .size:           40
        .value_kind:     by_value
    .group_segment_fixed_size: 0
    .kernarg_segment_align: 8
    .kernarg_segment_size: 40
    .language:       OpenCL C
    .language_version:
      - 2
      - 0
    .max_flat_workgroup_size: 128
    .name:           _ZN7rocprim17ROCPRIM_400000_NS6detail17trampoline_kernelINS0_14default_configENS1_20scan_config_selectorIdEEZZNS1_9scan_implILNS1_25lookback_scan_determinismE0ELb1ELb1ES3_N6thrust23THRUST_200600_302600_NS6detail15normal_iteratorINS9_10device_ptrIdEEEESE_dNS9_4plusIvEEdEEDaPvRmT3_T4_T5_mT6_P12ihipStream_tbENKUlT_T0_E_clISt17integral_constantIbLb0EESU_EEDaSP_SQ_EUlSP_E0_NS1_11comp_targetILNS1_3genE8ELNS1_11target_archE1030ELNS1_3gpuE2ELNS1_3repE0EEENS1_30default_config_static_selectorELNS0_4arch9wavefront6targetE1EEEvT1_
    .private_segment_fixed_size: 0
    .sgpr_count:     4
    .sgpr_spill_count: 0
    .symbol:         _ZN7rocprim17ROCPRIM_400000_NS6detail17trampoline_kernelINS0_14default_configENS1_20scan_config_selectorIdEEZZNS1_9scan_implILNS1_25lookback_scan_determinismE0ELb1ELb1ES3_N6thrust23THRUST_200600_302600_NS6detail15normal_iteratorINS9_10device_ptrIdEEEESE_dNS9_4plusIvEEdEEDaPvRmT3_T4_T5_mT6_P12ihipStream_tbENKUlT_T0_E_clISt17integral_constantIbLb0EESU_EEDaSP_SQ_EUlSP_E0_NS1_11comp_targetILNS1_3genE8ELNS1_11target_archE1030ELNS1_3gpuE2ELNS1_3repE0EEENS1_30default_config_static_selectorELNS0_4arch9wavefront6targetE1EEEvT1_.kd
    .uniform_work_group_size: 1
    .uses_dynamic_stack: false
    .vgpr_count:     0
    .vgpr_spill_count: 0
    .wavefront_size: 64
  - .agpr_count:     0
    .args:
      - .offset:         0
        .size:           104
        .value_kind:     by_value
    .group_segment_fixed_size: 0
    .kernarg_segment_align: 8
    .kernarg_segment_size: 104
    .language:       OpenCL C
    .language_version:
      - 2
      - 0
    .max_flat_workgroup_size: 256
    .name:           _ZN7rocprim17ROCPRIM_400000_NS6detail17trampoline_kernelINS0_14default_configENS1_20scan_config_selectorIdEEZZNS1_9scan_implILNS1_25lookback_scan_determinismE0ELb1ELb1ES3_N6thrust23THRUST_200600_302600_NS6detail15normal_iteratorINS9_10device_ptrIdEEEESE_dNS9_4plusIvEEdEEDaPvRmT3_T4_T5_mT6_P12ihipStream_tbENKUlT_T0_E_clISt17integral_constantIbLb1EESU_EEDaSP_SQ_EUlSP_E_NS1_11comp_targetILNS1_3genE0ELNS1_11target_archE4294967295ELNS1_3gpuE0ELNS1_3repE0EEENS1_30default_config_static_selectorELNS0_4arch9wavefront6targetE1EEEvT1_
    .private_segment_fixed_size: 0
    .sgpr_count:     4
    .sgpr_spill_count: 0
    .symbol:         _ZN7rocprim17ROCPRIM_400000_NS6detail17trampoline_kernelINS0_14default_configENS1_20scan_config_selectorIdEEZZNS1_9scan_implILNS1_25lookback_scan_determinismE0ELb1ELb1ES3_N6thrust23THRUST_200600_302600_NS6detail15normal_iteratorINS9_10device_ptrIdEEEESE_dNS9_4plusIvEEdEEDaPvRmT3_T4_T5_mT6_P12ihipStream_tbENKUlT_T0_E_clISt17integral_constantIbLb1EESU_EEDaSP_SQ_EUlSP_E_NS1_11comp_targetILNS1_3genE0ELNS1_11target_archE4294967295ELNS1_3gpuE0ELNS1_3repE0EEENS1_30default_config_static_selectorELNS0_4arch9wavefront6targetE1EEEvT1_.kd
    .uniform_work_group_size: 1
    .uses_dynamic_stack: false
    .vgpr_count:     0
    .vgpr_spill_count: 0
    .wavefront_size: 64
  - .agpr_count:     0
    .args:
      - .offset:         0
        .size:           104
        .value_kind:     by_value
    .group_segment_fixed_size: 0
    .kernarg_segment_align: 8
    .kernarg_segment_size: 104
    .language:       OpenCL C
    .language_version:
      - 2
      - 0
    .max_flat_workgroup_size: 256
    .name:           _ZN7rocprim17ROCPRIM_400000_NS6detail17trampoline_kernelINS0_14default_configENS1_20scan_config_selectorIdEEZZNS1_9scan_implILNS1_25lookback_scan_determinismE0ELb1ELb1ES3_N6thrust23THRUST_200600_302600_NS6detail15normal_iteratorINS9_10device_ptrIdEEEESE_dNS9_4plusIvEEdEEDaPvRmT3_T4_T5_mT6_P12ihipStream_tbENKUlT_T0_E_clISt17integral_constantIbLb1EESU_EEDaSP_SQ_EUlSP_E_NS1_11comp_targetILNS1_3genE5ELNS1_11target_archE942ELNS1_3gpuE9ELNS1_3repE0EEENS1_30default_config_static_selectorELNS0_4arch9wavefront6targetE1EEEvT1_
    .private_segment_fixed_size: 0
    .sgpr_count:     4
    .sgpr_spill_count: 0
    .symbol:         _ZN7rocprim17ROCPRIM_400000_NS6detail17trampoline_kernelINS0_14default_configENS1_20scan_config_selectorIdEEZZNS1_9scan_implILNS1_25lookback_scan_determinismE0ELb1ELb1ES3_N6thrust23THRUST_200600_302600_NS6detail15normal_iteratorINS9_10device_ptrIdEEEESE_dNS9_4plusIvEEdEEDaPvRmT3_T4_T5_mT6_P12ihipStream_tbENKUlT_T0_E_clISt17integral_constantIbLb1EESU_EEDaSP_SQ_EUlSP_E_NS1_11comp_targetILNS1_3genE5ELNS1_11target_archE942ELNS1_3gpuE9ELNS1_3repE0EEENS1_30default_config_static_selectorELNS0_4arch9wavefront6targetE1EEEvT1_.kd
    .uniform_work_group_size: 1
    .uses_dynamic_stack: false
    .vgpr_count:     0
    .vgpr_spill_count: 0
    .wavefront_size: 64
  - .agpr_count:     0
    .args:
      - .offset:         0
        .size:           104
        .value_kind:     by_value
    .group_segment_fixed_size: 10240
    .kernarg_segment_align: 8
    .kernarg_segment_size: 104
    .language:       OpenCL C
    .language_version:
      - 2
      - 0
    .max_flat_workgroup_size: 128
    .name:           _ZN7rocprim17ROCPRIM_400000_NS6detail17trampoline_kernelINS0_14default_configENS1_20scan_config_selectorIdEEZZNS1_9scan_implILNS1_25lookback_scan_determinismE0ELb1ELb1ES3_N6thrust23THRUST_200600_302600_NS6detail15normal_iteratorINS9_10device_ptrIdEEEESE_dNS9_4plusIvEEdEEDaPvRmT3_T4_T5_mT6_P12ihipStream_tbENKUlT_T0_E_clISt17integral_constantIbLb1EESU_EEDaSP_SQ_EUlSP_E_NS1_11comp_targetILNS1_3genE4ELNS1_11target_archE910ELNS1_3gpuE8ELNS1_3repE0EEENS1_30default_config_static_selectorELNS0_4arch9wavefront6targetE1EEEvT1_
    .private_segment_fixed_size: 0
    .sgpr_count:     44
    .sgpr_spill_count: 0
    .symbol:         _ZN7rocprim17ROCPRIM_400000_NS6detail17trampoline_kernelINS0_14default_configENS1_20scan_config_selectorIdEEZZNS1_9scan_implILNS1_25lookback_scan_determinismE0ELb1ELb1ES3_N6thrust23THRUST_200600_302600_NS6detail15normal_iteratorINS9_10device_ptrIdEEEESE_dNS9_4plusIvEEdEEDaPvRmT3_T4_T5_mT6_P12ihipStream_tbENKUlT_T0_E_clISt17integral_constantIbLb1EESU_EEDaSP_SQ_EUlSP_E_NS1_11comp_targetILNS1_3genE4ELNS1_11target_archE910ELNS1_3gpuE8ELNS1_3repE0EEENS1_30default_config_static_selectorELNS0_4arch9wavefront6targetE1EEEvT1_.kd
    .uniform_work_group_size: 1
    .uses_dynamic_stack: false
    .vgpr_count:     68
    .vgpr_spill_count: 0
    .wavefront_size: 64
  - .agpr_count:     0
    .args:
      - .offset:         0
        .size:           104
        .value_kind:     by_value
    .group_segment_fixed_size: 0
    .kernarg_segment_align: 8
    .kernarg_segment_size: 104
    .language:       OpenCL C
    .language_version:
      - 2
      - 0
    .max_flat_workgroup_size: 256
    .name:           _ZN7rocprim17ROCPRIM_400000_NS6detail17trampoline_kernelINS0_14default_configENS1_20scan_config_selectorIdEEZZNS1_9scan_implILNS1_25lookback_scan_determinismE0ELb1ELb1ES3_N6thrust23THRUST_200600_302600_NS6detail15normal_iteratorINS9_10device_ptrIdEEEESE_dNS9_4plusIvEEdEEDaPvRmT3_T4_T5_mT6_P12ihipStream_tbENKUlT_T0_E_clISt17integral_constantIbLb1EESU_EEDaSP_SQ_EUlSP_E_NS1_11comp_targetILNS1_3genE3ELNS1_11target_archE908ELNS1_3gpuE7ELNS1_3repE0EEENS1_30default_config_static_selectorELNS0_4arch9wavefront6targetE1EEEvT1_
    .private_segment_fixed_size: 0
    .sgpr_count:     4
    .sgpr_spill_count: 0
    .symbol:         _ZN7rocprim17ROCPRIM_400000_NS6detail17trampoline_kernelINS0_14default_configENS1_20scan_config_selectorIdEEZZNS1_9scan_implILNS1_25lookback_scan_determinismE0ELb1ELb1ES3_N6thrust23THRUST_200600_302600_NS6detail15normal_iteratorINS9_10device_ptrIdEEEESE_dNS9_4plusIvEEdEEDaPvRmT3_T4_T5_mT6_P12ihipStream_tbENKUlT_T0_E_clISt17integral_constantIbLb1EESU_EEDaSP_SQ_EUlSP_E_NS1_11comp_targetILNS1_3genE3ELNS1_11target_archE908ELNS1_3gpuE7ELNS1_3repE0EEENS1_30default_config_static_selectorELNS0_4arch9wavefront6targetE1EEEvT1_.kd
    .uniform_work_group_size: 1
    .uses_dynamic_stack: false
    .vgpr_count:     0
    .vgpr_spill_count: 0
    .wavefront_size: 64
  - .agpr_count:     0
    .args:
      - .offset:         0
        .size:           104
        .value_kind:     by_value
    .group_segment_fixed_size: 0
    .kernarg_segment_align: 8
    .kernarg_segment_size: 104
    .language:       OpenCL C
    .language_version:
      - 2
      - 0
    .max_flat_workgroup_size: 128
    .name:           _ZN7rocprim17ROCPRIM_400000_NS6detail17trampoline_kernelINS0_14default_configENS1_20scan_config_selectorIdEEZZNS1_9scan_implILNS1_25lookback_scan_determinismE0ELb1ELb1ES3_N6thrust23THRUST_200600_302600_NS6detail15normal_iteratorINS9_10device_ptrIdEEEESE_dNS9_4plusIvEEdEEDaPvRmT3_T4_T5_mT6_P12ihipStream_tbENKUlT_T0_E_clISt17integral_constantIbLb1EESU_EEDaSP_SQ_EUlSP_E_NS1_11comp_targetILNS1_3genE2ELNS1_11target_archE906ELNS1_3gpuE6ELNS1_3repE0EEENS1_30default_config_static_selectorELNS0_4arch9wavefront6targetE1EEEvT1_
    .private_segment_fixed_size: 0
    .sgpr_count:     4
    .sgpr_spill_count: 0
    .symbol:         _ZN7rocprim17ROCPRIM_400000_NS6detail17trampoline_kernelINS0_14default_configENS1_20scan_config_selectorIdEEZZNS1_9scan_implILNS1_25lookback_scan_determinismE0ELb1ELb1ES3_N6thrust23THRUST_200600_302600_NS6detail15normal_iteratorINS9_10device_ptrIdEEEESE_dNS9_4plusIvEEdEEDaPvRmT3_T4_T5_mT6_P12ihipStream_tbENKUlT_T0_E_clISt17integral_constantIbLb1EESU_EEDaSP_SQ_EUlSP_E_NS1_11comp_targetILNS1_3genE2ELNS1_11target_archE906ELNS1_3gpuE6ELNS1_3repE0EEENS1_30default_config_static_selectorELNS0_4arch9wavefront6targetE1EEEvT1_.kd
    .uniform_work_group_size: 1
    .uses_dynamic_stack: false
    .vgpr_count:     0
    .vgpr_spill_count: 0
    .wavefront_size: 64
  - .agpr_count:     0
    .args:
      - .offset:         0
        .size:           104
        .value_kind:     by_value
    .group_segment_fixed_size: 0
    .kernarg_segment_align: 8
    .kernarg_segment_size: 104
    .language:       OpenCL C
    .language_version:
      - 2
      - 0
    .max_flat_workgroup_size: 256
    .name:           _ZN7rocprim17ROCPRIM_400000_NS6detail17trampoline_kernelINS0_14default_configENS1_20scan_config_selectorIdEEZZNS1_9scan_implILNS1_25lookback_scan_determinismE0ELb1ELb1ES3_N6thrust23THRUST_200600_302600_NS6detail15normal_iteratorINS9_10device_ptrIdEEEESE_dNS9_4plusIvEEdEEDaPvRmT3_T4_T5_mT6_P12ihipStream_tbENKUlT_T0_E_clISt17integral_constantIbLb1EESU_EEDaSP_SQ_EUlSP_E_NS1_11comp_targetILNS1_3genE10ELNS1_11target_archE1201ELNS1_3gpuE5ELNS1_3repE0EEENS1_30default_config_static_selectorELNS0_4arch9wavefront6targetE1EEEvT1_
    .private_segment_fixed_size: 0
    .sgpr_count:     4
    .sgpr_spill_count: 0
    .symbol:         _ZN7rocprim17ROCPRIM_400000_NS6detail17trampoline_kernelINS0_14default_configENS1_20scan_config_selectorIdEEZZNS1_9scan_implILNS1_25lookback_scan_determinismE0ELb1ELb1ES3_N6thrust23THRUST_200600_302600_NS6detail15normal_iteratorINS9_10device_ptrIdEEEESE_dNS9_4plusIvEEdEEDaPvRmT3_T4_T5_mT6_P12ihipStream_tbENKUlT_T0_E_clISt17integral_constantIbLb1EESU_EEDaSP_SQ_EUlSP_E_NS1_11comp_targetILNS1_3genE10ELNS1_11target_archE1201ELNS1_3gpuE5ELNS1_3repE0EEENS1_30default_config_static_selectorELNS0_4arch9wavefront6targetE1EEEvT1_.kd
    .uniform_work_group_size: 1
    .uses_dynamic_stack: false
    .vgpr_count:     0
    .vgpr_spill_count: 0
    .wavefront_size: 64
  - .agpr_count:     0
    .args:
      - .offset:         0
        .size:           104
        .value_kind:     by_value
    .group_segment_fixed_size: 0
    .kernarg_segment_align: 8
    .kernarg_segment_size: 104
    .language:       OpenCL C
    .language_version:
      - 2
      - 0
    .max_flat_workgroup_size: 256
    .name:           _ZN7rocprim17ROCPRIM_400000_NS6detail17trampoline_kernelINS0_14default_configENS1_20scan_config_selectorIdEEZZNS1_9scan_implILNS1_25lookback_scan_determinismE0ELb1ELb1ES3_N6thrust23THRUST_200600_302600_NS6detail15normal_iteratorINS9_10device_ptrIdEEEESE_dNS9_4plusIvEEdEEDaPvRmT3_T4_T5_mT6_P12ihipStream_tbENKUlT_T0_E_clISt17integral_constantIbLb1EESU_EEDaSP_SQ_EUlSP_E_NS1_11comp_targetILNS1_3genE10ELNS1_11target_archE1200ELNS1_3gpuE4ELNS1_3repE0EEENS1_30default_config_static_selectorELNS0_4arch9wavefront6targetE1EEEvT1_
    .private_segment_fixed_size: 0
    .sgpr_count:     4
    .sgpr_spill_count: 0
    .symbol:         _ZN7rocprim17ROCPRIM_400000_NS6detail17trampoline_kernelINS0_14default_configENS1_20scan_config_selectorIdEEZZNS1_9scan_implILNS1_25lookback_scan_determinismE0ELb1ELb1ES3_N6thrust23THRUST_200600_302600_NS6detail15normal_iteratorINS9_10device_ptrIdEEEESE_dNS9_4plusIvEEdEEDaPvRmT3_T4_T5_mT6_P12ihipStream_tbENKUlT_T0_E_clISt17integral_constantIbLb1EESU_EEDaSP_SQ_EUlSP_E_NS1_11comp_targetILNS1_3genE10ELNS1_11target_archE1200ELNS1_3gpuE4ELNS1_3repE0EEENS1_30default_config_static_selectorELNS0_4arch9wavefront6targetE1EEEvT1_.kd
    .uniform_work_group_size: 1
    .uses_dynamic_stack: false
    .vgpr_count:     0
    .vgpr_spill_count: 0
    .wavefront_size: 64
  - .agpr_count:     0
    .args:
      - .offset:         0
        .size:           104
        .value_kind:     by_value
    .group_segment_fixed_size: 0
    .kernarg_segment_align: 8
    .kernarg_segment_size: 104
    .language:       OpenCL C
    .language_version:
      - 2
      - 0
    .max_flat_workgroup_size: 256
    .name:           _ZN7rocprim17ROCPRIM_400000_NS6detail17trampoline_kernelINS0_14default_configENS1_20scan_config_selectorIdEEZZNS1_9scan_implILNS1_25lookback_scan_determinismE0ELb1ELb1ES3_N6thrust23THRUST_200600_302600_NS6detail15normal_iteratorINS9_10device_ptrIdEEEESE_dNS9_4plusIvEEdEEDaPvRmT3_T4_T5_mT6_P12ihipStream_tbENKUlT_T0_E_clISt17integral_constantIbLb1EESU_EEDaSP_SQ_EUlSP_E_NS1_11comp_targetILNS1_3genE9ELNS1_11target_archE1100ELNS1_3gpuE3ELNS1_3repE0EEENS1_30default_config_static_selectorELNS0_4arch9wavefront6targetE1EEEvT1_
    .private_segment_fixed_size: 0
    .sgpr_count:     4
    .sgpr_spill_count: 0
    .symbol:         _ZN7rocprim17ROCPRIM_400000_NS6detail17trampoline_kernelINS0_14default_configENS1_20scan_config_selectorIdEEZZNS1_9scan_implILNS1_25lookback_scan_determinismE0ELb1ELb1ES3_N6thrust23THRUST_200600_302600_NS6detail15normal_iteratorINS9_10device_ptrIdEEEESE_dNS9_4plusIvEEdEEDaPvRmT3_T4_T5_mT6_P12ihipStream_tbENKUlT_T0_E_clISt17integral_constantIbLb1EESU_EEDaSP_SQ_EUlSP_E_NS1_11comp_targetILNS1_3genE9ELNS1_11target_archE1100ELNS1_3gpuE3ELNS1_3repE0EEENS1_30default_config_static_selectorELNS0_4arch9wavefront6targetE1EEEvT1_.kd
    .uniform_work_group_size: 1
    .uses_dynamic_stack: false
    .vgpr_count:     0
    .vgpr_spill_count: 0
    .wavefront_size: 64
  - .agpr_count:     0
    .args:
      - .offset:         0
        .size:           104
        .value_kind:     by_value
    .group_segment_fixed_size: 0
    .kernarg_segment_align: 8
    .kernarg_segment_size: 104
    .language:       OpenCL C
    .language_version:
      - 2
      - 0
    .max_flat_workgroup_size: 128
    .name:           _ZN7rocprim17ROCPRIM_400000_NS6detail17trampoline_kernelINS0_14default_configENS1_20scan_config_selectorIdEEZZNS1_9scan_implILNS1_25lookback_scan_determinismE0ELb1ELb1ES3_N6thrust23THRUST_200600_302600_NS6detail15normal_iteratorINS9_10device_ptrIdEEEESE_dNS9_4plusIvEEdEEDaPvRmT3_T4_T5_mT6_P12ihipStream_tbENKUlT_T0_E_clISt17integral_constantIbLb1EESU_EEDaSP_SQ_EUlSP_E_NS1_11comp_targetILNS1_3genE8ELNS1_11target_archE1030ELNS1_3gpuE2ELNS1_3repE0EEENS1_30default_config_static_selectorELNS0_4arch9wavefront6targetE1EEEvT1_
    .private_segment_fixed_size: 0
    .sgpr_count:     4
    .sgpr_spill_count: 0
    .symbol:         _ZN7rocprim17ROCPRIM_400000_NS6detail17trampoline_kernelINS0_14default_configENS1_20scan_config_selectorIdEEZZNS1_9scan_implILNS1_25lookback_scan_determinismE0ELb1ELb1ES3_N6thrust23THRUST_200600_302600_NS6detail15normal_iteratorINS9_10device_ptrIdEEEESE_dNS9_4plusIvEEdEEDaPvRmT3_T4_T5_mT6_P12ihipStream_tbENKUlT_T0_E_clISt17integral_constantIbLb1EESU_EEDaSP_SQ_EUlSP_E_NS1_11comp_targetILNS1_3genE8ELNS1_11target_archE1030ELNS1_3gpuE2ELNS1_3repE0EEENS1_30default_config_static_selectorELNS0_4arch9wavefront6targetE1EEEvT1_.kd
    .uniform_work_group_size: 1
    .uses_dynamic_stack: false
    .vgpr_count:     0
    .vgpr_spill_count: 0
    .wavefront_size: 64
  - .agpr_count:     0
    .args:
      - .offset:         0
        .size:           40
        .value_kind:     by_value
    .group_segment_fixed_size: 0
    .kernarg_segment_align: 8
    .kernarg_segment_size: 40
    .language:       OpenCL C
    .language_version:
      - 2
      - 0
    .max_flat_workgroup_size: 256
    .name:           _ZN7rocprim17ROCPRIM_400000_NS6detail17trampoline_kernelINS0_14default_configENS1_20scan_config_selectorIdEEZZNS1_9scan_implILNS1_25lookback_scan_determinismE0ELb1ELb1ES3_N6thrust23THRUST_200600_302600_NS6detail15normal_iteratorINS9_10device_ptrIdEEEESE_dNS9_4plusIvEEdEEDaPvRmT3_T4_T5_mT6_P12ihipStream_tbENKUlT_T0_E_clISt17integral_constantIbLb1EESU_EEDaSP_SQ_EUlSP_E0_NS1_11comp_targetILNS1_3genE0ELNS1_11target_archE4294967295ELNS1_3gpuE0ELNS1_3repE0EEENS1_30default_config_static_selectorELNS0_4arch9wavefront6targetE1EEEvT1_
    .private_segment_fixed_size: 0
    .sgpr_count:     4
    .sgpr_spill_count: 0
    .symbol:         _ZN7rocprim17ROCPRIM_400000_NS6detail17trampoline_kernelINS0_14default_configENS1_20scan_config_selectorIdEEZZNS1_9scan_implILNS1_25lookback_scan_determinismE0ELb1ELb1ES3_N6thrust23THRUST_200600_302600_NS6detail15normal_iteratorINS9_10device_ptrIdEEEESE_dNS9_4plusIvEEdEEDaPvRmT3_T4_T5_mT6_P12ihipStream_tbENKUlT_T0_E_clISt17integral_constantIbLb1EESU_EEDaSP_SQ_EUlSP_E0_NS1_11comp_targetILNS1_3genE0ELNS1_11target_archE4294967295ELNS1_3gpuE0ELNS1_3repE0EEENS1_30default_config_static_selectorELNS0_4arch9wavefront6targetE1EEEvT1_.kd
    .uniform_work_group_size: 1
    .uses_dynamic_stack: false
    .vgpr_count:     0
    .vgpr_spill_count: 0
    .wavefront_size: 64
  - .agpr_count:     0
    .args:
      - .offset:         0
        .size:           40
        .value_kind:     by_value
    .group_segment_fixed_size: 0
    .kernarg_segment_align: 8
    .kernarg_segment_size: 40
    .language:       OpenCL C
    .language_version:
      - 2
      - 0
    .max_flat_workgroup_size: 256
    .name:           _ZN7rocprim17ROCPRIM_400000_NS6detail17trampoline_kernelINS0_14default_configENS1_20scan_config_selectorIdEEZZNS1_9scan_implILNS1_25lookback_scan_determinismE0ELb1ELb1ES3_N6thrust23THRUST_200600_302600_NS6detail15normal_iteratorINS9_10device_ptrIdEEEESE_dNS9_4plusIvEEdEEDaPvRmT3_T4_T5_mT6_P12ihipStream_tbENKUlT_T0_E_clISt17integral_constantIbLb1EESU_EEDaSP_SQ_EUlSP_E0_NS1_11comp_targetILNS1_3genE5ELNS1_11target_archE942ELNS1_3gpuE9ELNS1_3repE0EEENS1_30default_config_static_selectorELNS0_4arch9wavefront6targetE1EEEvT1_
    .private_segment_fixed_size: 0
    .sgpr_count:     4
    .sgpr_spill_count: 0
    .symbol:         _ZN7rocprim17ROCPRIM_400000_NS6detail17trampoline_kernelINS0_14default_configENS1_20scan_config_selectorIdEEZZNS1_9scan_implILNS1_25lookback_scan_determinismE0ELb1ELb1ES3_N6thrust23THRUST_200600_302600_NS6detail15normal_iteratorINS9_10device_ptrIdEEEESE_dNS9_4plusIvEEdEEDaPvRmT3_T4_T5_mT6_P12ihipStream_tbENKUlT_T0_E_clISt17integral_constantIbLb1EESU_EEDaSP_SQ_EUlSP_E0_NS1_11comp_targetILNS1_3genE5ELNS1_11target_archE942ELNS1_3gpuE9ELNS1_3repE0EEENS1_30default_config_static_selectorELNS0_4arch9wavefront6targetE1EEEvT1_.kd
    .uniform_work_group_size: 1
    .uses_dynamic_stack: false
    .vgpr_count:     0
    .vgpr_spill_count: 0
    .wavefront_size: 64
  - .agpr_count:     0
    .args:
      - .offset:         0
        .size:           40
        .value_kind:     by_value
    .group_segment_fixed_size: 10240
    .kernarg_segment_align: 8
    .kernarg_segment_size: 40
    .language:       OpenCL C
    .language_version:
      - 2
      - 0
    .max_flat_workgroup_size: 128
    .name:           _ZN7rocprim17ROCPRIM_400000_NS6detail17trampoline_kernelINS0_14default_configENS1_20scan_config_selectorIdEEZZNS1_9scan_implILNS1_25lookback_scan_determinismE0ELb1ELb1ES3_N6thrust23THRUST_200600_302600_NS6detail15normal_iteratorINS9_10device_ptrIdEEEESE_dNS9_4plusIvEEdEEDaPvRmT3_T4_T5_mT6_P12ihipStream_tbENKUlT_T0_E_clISt17integral_constantIbLb1EESU_EEDaSP_SQ_EUlSP_E0_NS1_11comp_targetILNS1_3genE4ELNS1_11target_archE910ELNS1_3gpuE8ELNS1_3repE0EEENS1_30default_config_static_selectorELNS0_4arch9wavefront6targetE1EEEvT1_
    .private_segment_fixed_size: 0
    .sgpr_count:     34
    .sgpr_spill_count: 0
    .symbol:         _ZN7rocprim17ROCPRIM_400000_NS6detail17trampoline_kernelINS0_14default_configENS1_20scan_config_selectorIdEEZZNS1_9scan_implILNS1_25lookback_scan_determinismE0ELb1ELb1ES3_N6thrust23THRUST_200600_302600_NS6detail15normal_iteratorINS9_10device_ptrIdEEEESE_dNS9_4plusIvEEdEEDaPvRmT3_T4_T5_mT6_P12ihipStream_tbENKUlT_T0_E_clISt17integral_constantIbLb1EESU_EEDaSP_SQ_EUlSP_E0_NS1_11comp_targetILNS1_3genE4ELNS1_11target_archE910ELNS1_3gpuE8ELNS1_3repE0EEENS1_30default_config_static_selectorELNS0_4arch9wavefront6targetE1EEEvT1_.kd
    .uniform_work_group_size: 1
    .uses_dynamic_stack: false
    .vgpr_count:     31
    .vgpr_spill_count: 0
    .wavefront_size: 64
  - .agpr_count:     0
    .args:
      - .offset:         0
        .size:           40
        .value_kind:     by_value
    .group_segment_fixed_size: 0
    .kernarg_segment_align: 8
    .kernarg_segment_size: 40
    .language:       OpenCL C
    .language_version:
      - 2
      - 0
    .max_flat_workgroup_size: 256
    .name:           _ZN7rocprim17ROCPRIM_400000_NS6detail17trampoline_kernelINS0_14default_configENS1_20scan_config_selectorIdEEZZNS1_9scan_implILNS1_25lookback_scan_determinismE0ELb1ELb1ES3_N6thrust23THRUST_200600_302600_NS6detail15normal_iteratorINS9_10device_ptrIdEEEESE_dNS9_4plusIvEEdEEDaPvRmT3_T4_T5_mT6_P12ihipStream_tbENKUlT_T0_E_clISt17integral_constantIbLb1EESU_EEDaSP_SQ_EUlSP_E0_NS1_11comp_targetILNS1_3genE3ELNS1_11target_archE908ELNS1_3gpuE7ELNS1_3repE0EEENS1_30default_config_static_selectorELNS0_4arch9wavefront6targetE1EEEvT1_
    .private_segment_fixed_size: 0
    .sgpr_count:     4
    .sgpr_spill_count: 0
    .symbol:         _ZN7rocprim17ROCPRIM_400000_NS6detail17trampoline_kernelINS0_14default_configENS1_20scan_config_selectorIdEEZZNS1_9scan_implILNS1_25lookback_scan_determinismE0ELb1ELb1ES3_N6thrust23THRUST_200600_302600_NS6detail15normal_iteratorINS9_10device_ptrIdEEEESE_dNS9_4plusIvEEdEEDaPvRmT3_T4_T5_mT6_P12ihipStream_tbENKUlT_T0_E_clISt17integral_constantIbLb1EESU_EEDaSP_SQ_EUlSP_E0_NS1_11comp_targetILNS1_3genE3ELNS1_11target_archE908ELNS1_3gpuE7ELNS1_3repE0EEENS1_30default_config_static_selectorELNS0_4arch9wavefront6targetE1EEEvT1_.kd
    .uniform_work_group_size: 1
    .uses_dynamic_stack: false
    .vgpr_count:     0
    .vgpr_spill_count: 0
    .wavefront_size: 64
  - .agpr_count:     0
    .args:
      - .offset:         0
        .size:           40
        .value_kind:     by_value
    .group_segment_fixed_size: 0
    .kernarg_segment_align: 8
    .kernarg_segment_size: 40
    .language:       OpenCL C
    .language_version:
      - 2
      - 0
    .max_flat_workgroup_size: 128
    .name:           _ZN7rocprim17ROCPRIM_400000_NS6detail17trampoline_kernelINS0_14default_configENS1_20scan_config_selectorIdEEZZNS1_9scan_implILNS1_25lookback_scan_determinismE0ELb1ELb1ES3_N6thrust23THRUST_200600_302600_NS6detail15normal_iteratorINS9_10device_ptrIdEEEESE_dNS9_4plusIvEEdEEDaPvRmT3_T4_T5_mT6_P12ihipStream_tbENKUlT_T0_E_clISt17integral_constantIbLb1EESU_EEDaSP_SQ_EUlSP_E0_NS1_11comp_targetILNS1_3genE2ELNS1_11target_archE906ELNS1_3gpuE6ELNS1_3repE0EEENS1_30default_config_static_selectorELNS0_4arch9wavefront6targetE1EEEvT1_
    .private_segment_fixed_size: 0
    .sgpr_count:     4
    .sgpr_spill_count: 0
    .symbol:         _ZN7rocprim17ROCPRIM_400000_NS6detail17trampoline_kernelINS0_14default_configENS1_20scan_config_selectorIdEEZZNS1_9scan_implILNS1_25lookback_scan_determinismE0ELb1ELb1ES3_N6thrust23THRUST_200600_302600_NS6detail15normal_iteratorINS9_10device_ptrIdEEEESE_dNS9_4plusIvEEdEEDaPvRmT3_T4_T5_mT6_P12ihipStream_tbENKUlT_T0_E_clISt17integral_constantIbLb1EESU_EEDaSP_SQ_EUlSP_E0_NS1_11comp_targetILNS1_3genE2ELNS1_11target_archE906ELNS1_3gpuE6ELNS1_3repE0EEENS1_30default_config_static_selectorELNS0_4arch9wavefront6targetE1EEEvT1_.kd
    .uniform_work_group_size: 1
    .uses_dynamic_stack: false
    .vgpr_count:     0
    .vgpr_spill_count: 0
    .wavefront_size: 64
  - .agpr_count:     0
    .args:
      - .offset:         0
        .size:           40
        .value_kind:     by_value
    .group_segment_fixed_size: 0
    .kernarg_segment_align: 8
    .kernarg_segment_size: 40
    .language:       OpenCL C
    .language_version:
      - 2
      - 0
    .max_flat_workgroup_size: 256
    .name:           _ZN7rocprim17ROCPRIM_400000_NS6detail17trampoline_kernelINS0_14default_configENS1_20scan_config_selectorIdEEZZNS1_9scan_implILNS1_25lookback_scan_determinismE0ELb1ELb1ES3_N6thrust23THRUST_200600_302600_NS6detail15normal_iteratorINS9_10device_ptrIdEEEESE_dNS9_4plusIvEEdEEDaPvRmT3_T4_T5_mT6_P12ihipStream_tbENKUlT_T0_E_clISt17integral_constantIbLb1EESU_EEDaSP_SQ_EUlSP_E0_NS1_11comp_targetILNS1_3genE10ELNS1_11target_archE1201ELNS1_3gpuE5ELNS1_3repE0EEENS1_30default_config_static_selectorELNS0_4arch9wavefront6targetE1EEEvT1_
    .private_segment_fixed_size: 0
    .sgpr_count:     4
    .sgpr_spill_count: 0
    .symbol:         _ZN7rocprim17ROCPRIM_400000_NS6detail17trampoline_kernelINS0_14default_configENS1_20scan_config_selectorIdEEZZNS1_9scan_implILNS1_25lookback_scan_determinismE0ELb1ELb1ES3_N6thrust23THRUST_200600_302600_NS6detail15normal_iteratorINS9_10device_ptrIdEEEESE_dNS9_4plusIvEEdEEDaPvRmT3_T4_T5_mT6_P12ihipStream_tbENKUlT_T0_E_clISt17integral_constantIbLb1EESU_EEDaSP_SQ_EUlSP_E0_NS1_11comp_targetILNS1_3genE10ELNS1_11target_archE1201ELNS1_3gpuE5ELNS1_3repE0EEENS1_30default_config_static_selectorELNS0_4arch9wavefront6targetE1EEEvT1_.kd
    .uniform_work_group_size: 1
    .uses_dynamic_stack: false
    .vgpr_count:     0
    .vgpr_spill_count: 0
    .wavefront_size: 64
  - .agpr_count:     0
    .args:
      - .offset:         0
        .size:           40
        .value_kind:     by_value
    .group_segment_fixed_size: 0
    .kernarg_segment_align: 8
    .kernarg_segment_size: 40
    .language:       OpenCL C
    .language_version:
      - 2
      - 0
    .max_flat_workgroup_size: 256
    .name:           _ZN7rocprim17ROCPRIM_400000_NS6detail17trampoline_kernelINS0_14default_configENS1_20scan_config_selectorIdEEZZNS1_9scan_implILNS1_25lookback_scan_determinismE0ELb1ELb1ES3_N6thrust23THRUST_200600_302600_NS6detail15normal_iteratorINS9_10device_ptrIdEEEESE_dNS9_4plusIvEEdEEDaPvRmT3_T4_T5_mT6_P12ihipStream_tbENKUlT_T0_E_clISt17integral_constantIbLb1EESU_EEDaSP_SQ_EUlSP_E0_NS1_11comp_targetILNS1_3genE10ELNS1_11target_archE1200ELNS1_3gpuE4ELNS1_3repE0EEENS1_30default_config_static_selectorELNS0_4arch9wavefront6targetE1EEEvT1_
    .private_segment_fixed_size: 0
    .sgpr_count:     4
    .sgpr_spill_count: 0
    .symbol:         _ZN7rocprim17ROCPRIM_400000_NS6detail17trampoline_kernelINS0_14default_configENS1_20scan_config_selectorIdEEZZNS1_9scan_implILNS1_25lookback_scan_determinismE0ELb1ELb1ES3_N6thrust23THRUST_200600_302600_NS6detail15normal_iteratorINS9_10device_ptrIdEEEESE_dNS9_4plusIvEEdEEDaPvRmT3_T4_T5_mT6_P12ihipStream_tbENKUlT_T0_E_clISt17integral_constantIbLb1EESU_EEDaSP_SQ_EUlSP_E0_NS1_11comp_targetILNS1_3genE10ELNS1_11target_archE1200ELNS1_3gpuE4ELNS1_3repE0EEENS1_30default_config_static_selectorELNS0_4arch9wavefront6targetE1EEEvT1_.kd
    .uniform_work_group_size: 1
    .uses_dynamic_stack: false
    .vgpr_count:     0
    .vgpr_spill_count: 0
    .wavefront_size: 64
  - .agpr_count:     0
    .args:
      - .offset:         0
        .size:           40
        .value_kind:     by_value
    .group_segment_fixed_size: 0
    .kernarg_segment_align: 8
    .kernarg_segment_size: 40
    .language:       OpenCL C
    .language_version:
      - 2
      - 0
    .max_flat_workgroup_size: 256
    .name:           _ZN7rocprim17ROCPRIM_400000_NS6detail17trampoline_kernelINS0_14default_configENS1_20scan_config_selectorIdEEZZNS1_9scan_implILNS1_25lookback_scan_determinismE0ELb1ELb1ES3_N6thrust23THRUST_200600_302600_NS6detail15normal_iteratorINS9_10device_ptrIdEEEESE_dNS9_4plusIvEEdEEDaPvRmT3_T4_T5_mT6_P12ihipStream_tbENKUlT_T0_E_clISt17integral_constantIbLb1EESU_EEDaSP_SQ_EUlSP_E0_NS1_11comp_targetILNS1_3genE9ELNS1_11target_archE1100ELNS1_3gpuE3ELNS1_3repE0EEENS1_30default_config_static_selectorELNS0_4arch9wavefront6targetE1EEEvT1_
    .private_segment_fixed_size: 0
    .sgpr_count:     4
    .sgpr_spill_count: 0
    .symbol:         _ZN7rocprim17ROCPRIM_400000_NS6detail17trampoline_kernelINS0_14default_configENS1_20scan_config_selectorIdEEZZNS1_9scan_implILNS1_25lookback_scan_determinismE0ELb1ELb1ES3_N6thrust23THRUST_200600_302600_NS6detail15normal_iteratorINS9_10device_ptrIdEEEESE_dNS9_4plusIvEEdEEDaPvRmT3_T4_T5_mT6_P12ihipStream_tbENKUlT_T0_E_clISt17integral_constantIbLb1EESU_EEDaSP_SQ_EUlSP_E0_NS1_11comp_targetILNS1_3genE9ELNS1_11target_archE1100ELNS1_3gpuE3ELNS1_3repE0EEENS1_30default_config_static_selectorELNS0_4arch9wavefront6targetE1EEEvT1_.kd
    .uniform_work_group_size: 1
    .uses_dynamic_stack: false
    .vgpr_count:     0
    .vgpr_spill_count: 0
    .wavefront_size: 64
  - .agpr_count:     0
    .args:
      - .offset:         0
        .size:           40
        .value_kind:     by_value
    .group_segment_fixed_size: 0
    .kernarg_segment_align: 8
    .kernarg_segment_size: 40
    .language:       OpenCL C
    .language_version:
      - 2
      - 0
    .max_flat_workgroup_size: 128
    .name:           _ZN7rocprim17ROCPRIM_400000_NS6detail17trampoline_kernelINS0_14default_configENS1_20scan_config_selectorIdEEZZNS1_9scan_implILNS1_25lookback_scan_determinismE0ELb1ELb1ES3_N6thrust23THRUST_200600_302600_NS6detail15normal_iteratorINS9_10device_ptrIdEEEESE_dNS9_4plusIvEEdEEDaPvRmT3_T4_T5_mT6_P12ihipStream_tbENKUlT_T0_E_clISt17integral_constantIbLb1EESU_EEDaSP_SQ_EUlSP_E0_NS1_11comp_targetILNS1_3genE8ELNS1_11target_archE1030ELNS1_3gpuE2ELNS1_3repE0EEENS1_30default_config_static_selectorELNS0_4arch9wavefront6targetE1EEEvT1_
    .private_segment_fixed_size: 0
    .sgpr_count:     4
    .sgpr_spill_count: 0
    .symbol:         _ZN7rocprim17ROCPRIM_400000_NS6detail17trampoline_kernelINS0_14default_configENS1_20scan_config_selectorIdEEZZNS1_9scan_implILNS1_25lookback_scan_determinismE0ELb1ELb1ES3_N6thrust23THRUST_200600_302600_NS6detail15normal_iteratorINS9_10device_ptrIdEEEESE_dNS9_4plusIvEEdEEDaPvRmT3_T4_T5_mT6_P12ihipStream_tbENKUlT_T0_E_clISt17integral_constantIbLb1EESU_EEDaSP_SQ_EUlSP_E0_NS1_11comp_targetILNS1_3genE8ELNS1_11target_archE1030ELNS1_3gpuE2ELNS1_3repE0EEENS1_30default_config_static_selectorELNS0_4arch9wavefront6targetE1EEEvT1_.kd
    .uniform_work_group_size: 1
    .uses_dynamic_stack: false
    .vgpr_count:     0
    .vgpr_spill_count: 0
    .wavefront_size: 64
  - .agpr_count:     0
    .args:
      - .offset:         0
        .size:           104
        .value_kind:     by_value
    .group_segment_fixed_size: 0
    .kernarg_segment_align: 8
    .kernarg_segment_size: 104
    .language:       OpenCL C
    .language_version:
      - 2
      - 0
    .max_flat_workgroup_size: 256
    .name:           _ZN7rocprim17ROCPRIM_400000_NS6detail17trampoline_kernelINS0_14default_configENS1_20scan_config_selectorIdEEZZNS1_9scan_implILNS1_25lookback_scan_determinismE0ELb1ELb1ES3_N6thrust23THRUST_200600_302600_NS6detail15normal_iteratorINS9_10device_ptrIdEEEESE_dNS9_4plusIvEEdEEDaPvRmT3_T4_T5_mT6_P12ihipStream_tbENKUlT_T0_E_clISt17integral_constantIbLb1EEST_IbLb0EEEEDaSP_SQ_EUlSP_E_NS1_11comp_targetILNS1_3genE0ELNS1_11target_archE4294967295ELNS1_3gpuE0ELNS1_3repE0EEENS1_30default_config_static_selectorELNS0_4arch9wavefront6targetE1EEEvT1_
    .private_segment_fixed_size: 0
    .sgpr_count:     4
    .sgpr_spill_count: 0
    .symbol:         _ZN7rocprim17ROCPRIM_400000_NS6detail17trampoline_kernelINS0_14default_configENS1_20scan_config_selectorIdEEZZNS1_9scan_implILNS1_25lookback_scan_determinismE0ELb1ELb1ES3_N6thrust23THRUST_200600_302600_NS6detail15normal_iteratorINS9_10device_ptrIdEEEESE_dNS9_4plusIvEEdEEDaPvRmT3_T4_T5_mT6_P12ihipStream_tbENKUlT_T0_E_clISt17integral_constantIbLb1EEST_IbLb0EEEEDaSP_SQ_EUlSP_E_NS1_11comp_targetILNS1_3genE0ELNS1_11target_archE4294967295ELNS1_3gpuE0ELNS1_3repE0EEENS1_30default_config_static_selectorELNS0_4arch9wavefront6targetE1EEEvT1_.kd
    .uniform_work_group_size: 1
    .uses_dynamic_stack: false
    .vgpr_count:     0
    .vgpr_spill_count: 0
    .wavefront_size: 64
  - .agpr_count:     0
    .args:
      - .offset:         0
        .size:           104
        .value_kind:     by_value
    .group_segment_fixed_size: 0
    .kernarg_segment_align: 8
    .kernarg_segment_size: 104
    .language:       OpenCL C
    .language_version:
      - 2
      - 0
    .max_flat_workgroup_size: 256
    .name:           _ZN7rocprim17ROCPRIM_400000_NS6detail17trampoline_kernelINS0_14default_configENS1_20scan_config_selectorIdEEZZNS1_9scan_implILNS1_25lookback_scan_determinismE0ELb1ELb1ES3_N6thrust23THRUST_200600_302600_NS6detail15normal_iteratorINS9_10device_ptrIdEEEESE_dNS9_4plusIvEEdEEDaPvRmT3_T4_T5_mT6_P12ihipStream_tbENKUlT_T0_E_clISt17integral_constantIbLb1EEST_IbLb0EEEEDaSP_SQ_EUlSP_E_NS1_11comp_targetILNS1_3genE5ELNS1_11target_archE942ELNS1_3gpuE9ELNS1_3repE0EEENS1_30default_config_static_selectorELNS0_4arch9wavefront6targetE1EEEvT1_
    .private_segment_fixed_size: 0
    .sgpr_count:     4
    .sgpr_spill_count: 0
    .symbol:         _ZN7rocprim17ROCPRIM_400000_NS6detail17trampoline_kernelINS0_14default_configENS1_20scan_config_selectorIdEEZZNS1_9scan_implILNS1_25lookback_scan_determinismE0ELb1ELb1ES3_N6thrust23THRUST_200600_302600_NS6detail15normal_iteratorINS9_10device_ptrIdEEEESE_dNS9_4plusIvEEdEEDaPvRmT3_T4_T5_mT6_P12ihipStream_tbENKUlT_T0_E_clISt17integral_constantIbLb1EEST_IbLb0EEEEDaSP_SQ_EUlSP_E_NS1_11comp_targetILNS1_3genE5ELNS1_11target_archE942ELNS1_3gpuE9ELNS1_3repE0EEENS1_30default_config_static_selectorELNS0_4arch9wavefront6targetE1EEEvT1_.kd
    .uniform_work_group_size: 1
    .uses_dynamic_stack: false
    .vgpr_count:     0
    .vgpr_spill_count: 0
    .wavefront_size: 64
  - .agpr_count:     0
    .args:
      - .offset:         0
        .size:           104
        .value_kind:     by_value
    .group_segment_fixed_size: 10240
    .kernarg_segment_align: 8
    .kernarg_segment_size: 104
    .language:       OpenCL C
    .language_version:
      - 2
      - 0
    .max_flat_workgroup_size: 128
    .name:           _ZN7rocprim17ROCPRIM_400000_NS6detail17trampoline_kernelINS0_14default_configENS1_20scan_config_selectorIdEEZZNS1_9scan_implILNS1_25lookback_scan_determinismE0ELb1ELb1ES3_N6thrust23THRUST_200600_302600_NS6detail15normal_iteratorINS9_10device_ptrIdEEEESE_dNS9_4plusIvEEdEEDaPvRmT3_T4_T5_mT6_P12ihipStream_tbENKUlT_T0_E_clISt17integral_constantIbLb1EEST_IbLb0EEEEDaSP_SQ_EUlSP_E_NS1_11comp_targetILNS1_3genE4ELNS1_11target_archE910ELNS1_3gpuE8ELNS1_3repE0EEENS1_30default_config_static_selectorELNS0_4arch9wavefront6targetE1EEEvT1_
    .private_segment_fixed_size: 0
    .sgpr_count:     36
    .sgpr_spill_count: 0
    .symbol:         _ZN7rocprim17ROCPRIM_400000_NS6detail17trampoline_kernelINS0_14default_configENS1_20scan_config_selectorIdEEZZNS1_9scan_implILNS1_25lookback_scan_determinismE0ELb1ELb1ES3_N6thrust23THRUST_200600_302600_NS6detail15normal_iteratorINS9_10device_ptrIdEEEESE_dNS9_4plusIvEEdEEDaPvRmT3_T4_T5_mT6_P12ihipStream_tbENKUlT_T0_E_clISt17integral_constantIbLb1EEST_IbLb0EEEEDaSP_SQ_EUlSP_E_NS1_11comp_targetILNS1_3genE4ELNS1_11target_archE910ELNS1_3gpuE8ELNS1_3repE0EEENS1_30default_config_static_selectorELNS0_4arch9wavefront6targetE1EEEvT1_.kd
    .uniform_work_group_size: 1
    .uses_dynamic_stack: false
    .vgpr_count:     68
    .vgpr_spill_count: 0
    .wavefront_size: 64
  - .agpr_count:     0
    .args:
      - .offset:         0
        .size:           104
        .value_kind:     by_value
    .group_segment_fixed_size: 0
    .kernarg_segment_align: 8
    .kernarg_segment_size: 104
    .language:       OpenCL C
    .language_version:
      - 2
      - 0
    .max_flat_workgroup_size: 256
    .name:           _ZN7rocprim17ROCPRIM_400000_NS6detail17trampoline_kernelINS0_14default_configENS1_20scan_config_selectorIdEEZZNS1_9scan_implILNS1_25lookback_scan_determinismE0ELb1ELb1ES3_N6thrust23THRUST_200600_302600_NS6detail15normal_iteratorINS9_10device_ptrIdEEEESE_dNS9_4plusIvEEdEEDaPvRmT3_T4_T5_mT6_P12ihipStream_tbENKUlT_T0_E_clISt17integral_constantIbLb1EEST_IbLb0EEEEDaSP_SQ_EUlSP_E_NS1_11comp_targetILNS1_3genE3ELNS1_11target_archE908ELNS1_3gpuE7ELNS1_3repE0EEENS1_30default_config_static_selectorELNS0_4arch9wavefront6targetE1EEEvT1_
    .private_segment_fixed_size: 0
    .sgpr_count:     4
    .sgpr_spill_count: 0
    .symbol:         _ZN7rocprim17ROCPRIM_400000_NS6detail17trampoline_kernelINS0_14default_configENS1_20scan_config_selectorIdEEZZNS1_9scan_implILNS1_25lookback_scan_determinismE0ELb1ELb1ES3_N6thrust23THRUST_200600_302600_NS6detail15normal_iteratorINS9_10device_ptrIdEEEESE_dNS9_4plusIvEEdEEDaPvRmT3_T4_T5_mT6_P12ihipStream_tbENKUlT_T0_E_clISt17integral_constantIbLb1EEST_IbLb0EEEEDaSP_SQ_EUlSP_E_NS1_11comp_targetILNS1_3genE3ELNS1_11target_archE908ELNS1_3gpuE7ELNS1_3repE0EEENS1_30default_config_static_selectorELNS0_4arch9wavefront6targetE1EEEvT1_.kd
    .uniform_work_group_size: 1
    .uses_dynamic_stack: false
    .vgpr_count:     0
    .vgpr_spill_count: 0
    .wavefront_size: 64
  - .agpr_count:     0
    .args:
      - .offset:         0
        .size:           104
        .value_kind:     by_value
    .group_segment_fixed_size: 0
    .kernarg_segment_align: 8
    .kernarg_segment_size: 104
    .language:       OpenCL C
    .language_version:
      - 2
      - 0
    .max_flat_workgroup_size: 128
    .name:           _ZN7rocprim17ROCPRIM_400000_NS6detail17trampoline_kernelINS0_14default_configENS1_20scan_config_selectorIdEEZZNS1_9scan_implILNS1_25lookback_scan_determinismE0ELb1ELb1ES3_N6thrust23THRUST_200600_302600_NS6detail15normal_iteratorINS9_10device_ptrIdEEEESE_dNS9_4plusIvEEdEEDaPvRmT3_T4_T5_mT6_P12ihipStream_tbENKUlT_T0_E_clISt17integral_constantIbLb1EEST_IbLb0EEEEDaSP_SQ_EUlSP_E_NS1_11comp_targetILNS1_3genE2ELNS1_11target_archE906ELNS1_3gpuE6ELNS1_3repE0EEENS1_30default_config_static_selectorELNS0_4arch9wavefront6targetE1EEEvT1_
    .private_segment_fixed_size: 0
    .sgpr_count:     4
    .sgpr_spill_count: 0
    .symbol:         _ZN7rocprim17ROCPRIM_400000_NS6detail17trampoline_kernelINS0_14default_configENS1_20scan_config_selectorIdEEZZNS1_9scan_implILNS1_25lookback_scan_determinismE0ELb1ELb1ES3_N6thrust23THRUST_200600_302600_NS6detail15normal_iteratorINS9_10device_ptrIdEEEESE_dNS9_4plusIvEEdEEDaPvRmT3_T4_T5_mT6_P12ihipStream_tbENKUlT_T0_E_clISt17integral_constantIbLb1EEST_IbLb0EEEEDaSP_SQ_EUlSP_E_NS1_11comp_targetILNS1_3genE2ELNS1_11target_archE906ELNS1_3gpuE6ELNS1_3repE0EEENS1_30default_config_static_selectorELNS0_4arch9wavefront6targetE1EEEvT1_.kd
    .uniform_work_group_size: 1
    .uses_dynamic_stack: false
    .vgpr_count:     0
    .vgpr_spill_count: 0
    .wavefront_size: 64
  - .agpr_count:     0
    .args:
      - .offset:         0
        .size:           104
        .value_kind:     by_value
    .group_segment_fixed_size: 0
    .kernarg_segment_align: 8
    .kernarg_segment_size: 104
    .language:       OpenCL C
    .language_version:
      - 2
      - 0
    .max_flat_workgroup_size: 256
    .name:           _ZN7rocprim17ROCPRIM_400000_NS6detail17trampoline_kernelINS0_14default_configENS1_20scan_config_selectorIdEEZZNS1_9scan_implILNS1_25lookback_scan_determinismE0ELb1ELb1ES3_N6thrust23THRUST_200600_302600_NS6detail15normal_iteratorINS9_10device_ptrIdEEEESE_dNS9_4plusIvEEdEEDaPvRmT3_T4_T5_mT6_P12ihipStream_tbENKUlT_T0_E_clISt17integral_constantIbLb1EEST_IbLb0EEEEDaSP_SQ_EUlSP_E_NS1_11comp_targetILNS1_3genE10ELNS1_11target_archE1201ELNS1_3gpuE5ELNS1_3repE0EEENS1_30default_config_static_selectorELNS0_4arch9wavefront6targetE1EEEvT1_
    .private_segment_fixed_size: 0
    .sgpr_count:     4
    .sgpr_spill_count: 0
    .symbol:         _ZN7rocprim17ROCPRIM_400000_NS6detail17trampoline_kernelINS0_14default_configENS1_20scan_config_selectorIdEEZZNS1_9scan_implILNS1_25lookback_scan_determinismE0ELb1ELb1ES3_N6thrust23THRUST_200600_302600_NS6detail15normal_iteratorINS9_10device_ptrIdEEEESE_dNS9_4plusIvEEdEEDaPvRmT3_T4_T5_mT6_P12ihipStream_tbENKUlT_T0_E_clISt17integral_constantIbLb1EEST_IbLb0EEEEDaSP_SQ_EUlSP_E_NS1_11comp_targetILNS1_3genE10ELNS1_11target_archE1201ELNS1_3gpuE5ELNS1_3repE0EEENS1_30default_config_static_selectorELNS0_4arch9wavefront6targetE1EEEvT1_.kd
    .uniform_work_group_size: 1
    .uses_dynamic_stack: false
    .vgpr_count:     0
    .vgpr_spill_count: 0
    .wavefront_size: 64
  - .agpr_count:     0
    .args:
      - .offset:         0
        .size:           104
        .value_kind:     by_value
    .group_segment_fixed_size: 0
    .kernarg_segment_align: 8
    .kernarg_segment_size: 104
    .language:       OpenCL C
    .language_version:
      - 2
      - 0
    .max_flat_workgroup_size: 256
    .name:           _ZN7rocprim17ROCPRIM_400000_NS6detail17trampoline_kernelINS0_14default_configENS1_20scan_config_selectorIdEEZZNS1_9scan_implILNS1_25lookback_scan_determinismE0ELb1ELb1ES3_N6thrust23THRUST_200600_302600_NS6detail15normal_iteratorINS9_10device_ptrIdEEEESE_dNS9_4plusIvEEdEEDaPvRmT3_T4_T5_mT6_P12ihipStream_tbENKUlT_T0_E_clISt17integral_constantIbLb1EEST_IbLb0EEEEDaSP_SQ_EUlSP_E_NS1_11comp_targetILNS1_3genE10ELNS1_11target_archE1200ELNS1_3gpuE4ELNS1_3repE0EEENS1_30default_config_static_selectorELNS0_4arch9wavefront6targetE1EEEvT1_
    .private_segment_fixed_size: 0
    .sgpr_count:     4
    .sgpr_spill_count: 0
    .symbol:         _ZN7rocprim17ROCPRIM_400000_NS6detail17trampoline_kernelINS0_14default_configENS1_20scan_config_selectorIdEEZZNS1_9scan_implILNS1_25lookback_scan_determinismE0ELb1ELb1ES3_N6thrust23THRUST_200600_302600_NS6detail15normal_iteratorINS9_10device_ptrIdEEEESE_dNS9_4plusIvEEdEEDaPvRmT3_T4_T5_mT6_P12ihipStream_tbENKUlT_T0_E_clISt17integral_constantIbLb1EEST_IbLb0EEEEDaSP_SQ_EUlSP_E_NS1_11comp_targetILNS1_3genE10ELNS1_11target_archE1200ELNS1_3gpuE4ELNS1_3repE0EEENS1_30default_config_static_selectorELNS0_4arch9wavefront6targetE1EEEvT1_.kd
    .uniform_work_group_size: 1
    .uses_dynamic_stack: false
    .vgpr_count:     0
    .vgpr_spill_count: 0
    .wavefront_size: 64
  - .agpr_count:     0
    .args:
      - .offset:         0
        .size:           104
        .value_kind:     by_value
    .group_segment_fixed_size: 0
    .kernarg_segment_align: 8
    .kernarg_segment_size: 104
    .language:       OpenCL C
    .language_version:
      - 2
      - 0
    .max_flat_workgroup_size: 256
    .name:           _ZN7rocprim17ROCPRIM_400000_NS6detail17trampoline_kernelINS0_14default_configENS1_20scan_config_selectorIdEEZZNS1_9scan_implILNS1_25lookback_scan_determinismE0ELb1ELb1ES3_N6thrust23THRUST_200600_302600_NS6detail15normal_iteratorINS9_10device_ptrIdEEEESE_dNS9_4plusIvEEdEEDaPvRmT3_T4_T5_mT6_P12ihipStream_tbENKUlT_T0_E_clISt17integral_constantIbLb1EEST_IbLb0EEEEDaSP_SQ_EUlSP_E_NS1_11comp_targetILNS1_3genE9ELNS1_11target_archE1100ELNS1_3gpuE3ELNS1_3repE0EEENS1_30default_config_static_selectorELNS0_4arch9wavefront6targetE1EEEvT1_
    .private_segment_fixed_size: 0
    .sgpr_count:     4
    .sgpr_spill_count: 0
    .symbol:         _ZN7rocprim17ROCPRIM_400000_NS6detail17trampoline_kernelINS0_14default_configENS1_20scan_config_selectorIdEEZZNS1_9scan_implILNS1_25lookback_scan_determinismE0ELb1ELb1ES3_N6thrust23THRUST_200600_302600_NS6detail15normal_iteratorINS9_10device_ptrIdEEEESE_dNS9_4plusIvEEdEEDaPvRmT3_T4_T5_mT6_P12ihipStream_tbENKUlT_T0_E_clISt17integral_constantIbLb1EEST_IbLb0EEEEDaSP_SQ_EUlSP_E_NS1_11comp_targetILNS1_3genE9ELNS1_11target_archE1100ELNS1_3gpuE3ELNS1_3repE0EEENS1_30default_config_static_selectorELNS0_4arch9wavefront6targetE1EEEvT1_.kd
    .uniform_work_group_size: 1
    .uses_dynamic_stack: false
    .vgpr_count:     0
    .vgpr_spill_count: 0
    .wavefront_size: 64
  - .agpr_count:     0
    .args:
      - .offset:         0
        .size:           104
        .value_kind:     by_value
    .group_segment_fixed_size: 0
    .kernarg_segment_align: 8
    .kernarg_segment_size: 104
    .language:       OpenCL C
    .language_version:
      - 2
      - 0
    .max_flat_workgroup_size: 128
    .name:           _ZN7rocprim17ROCPRIM_400000_NS6detail17trampoline_kernelINS0_14default_configENS1_20scan_config_selectorIdEEZZNS1_9scan_implILNS1_25lookback_scan_determinismE0ELb1ELb1ES3_N6thrust23THRUST_200600_302600_NS6detail15normal_iteratorINS9_10device_ptrIdEEEESE_dNS9_4plusIvEEdEEDaPvRmT3_T4_T5_mT6_P12ihipStream_tbENKUlT_T0_E_clISt17integral_constantIbLb1EEST_IbLb0EEEEDaSP_SQ_EUlSP_E_NS1_11comp_targetILNS1_3genE8ELNS1_11target_archE1030ELNS1_3gpuE2ELNS1_3repE0EEENS1_30default_config_static_selectorELNS0_4arch9wavefront6targetE1EEEvT1_
    .private_segment_fixed_size: 0
    .sgpr_count:     4
    .sgpr_spill_count: 0
    .symbol:         _ZN7rocprim17ROCPRIM_400000_NS6detail17trampoline_kernelINS0_14default_configENS1_20scan_config_selectorIdEEZZNS1_9scan_implILNS1_25lookback_scan_determinismE0ELb1ELb1ES3_N6thrust23THRUST_200600_302600_NS6detail15normal_iteratorINS9_10device_ptrIdEEEESE_dNS9_4plusIvEEdEEDaPvRmT3_T4_T5_mT6_P12ihipStream_tbENKUlT_T0_E_clISt17integral_constantIbLb1EEST_IbLb0EEEEDaSP_SQ_EUlSP_E_NS1_11comp_targetILNS1_3genE8ELNS1_11target_archE1030ELNS1_3gpuE2ELNS1_3repE0EEENS1_30default_config_static_selectorELNS0_4arch9wavefront6targetE1EEEvT1_.kd
    .uniform_work_group_size: 1
    .uses_dynamic_stack: false
    .vgpr_count:     0
    .vgpr_spill_count: 0
    .wavefront_size: 64
  - .agpr_count:     0
    .args:
      - .offset:         0
        .size:           40
        .value_kind:     by_value
    .group_segment_fixed_size: 0
    .kernarg_segment_align: 8
    .kernarg_segment_size: 40
    .language:       OpenCL C
    .language_version:
      - 2
      - 0
    .max_flat_workgroup_size: 256
    .name:           _ZN7rocprim17ROCPRIM_400000_NS6detail17trampoline_kernelINS0_14default_configENS1_20scan_config_selectorIdEEZZNS1_9scan_implILNS1_25lookback_scan_determinismE0ELb1ELb1ES3_N6thrust23THRUST_200600_302600_NS6detail15normal_iteratorINS9_10device_ptrIdEEEESE_dNS9_4plusIvEEdEEDaPvRmT3_T4_T5_mT6_P12ihipStream_tbENKUlT_T0_E_clISt17integral_constantIbLb1EEST_IbLb0EEEEDaSP_SQ_EUlSP_E0_NS1_11comp_targetILNS1_3genE0ELNS1_11target_archE4294967295ELNS1_3gpuE0ELNS1_3repE0EEENS1_30default_config_static_selectorELNS0_4arch9wavefront6targetE1EEEvT1_
    .private_segment_fixed_size: 0
    .sgpr_count:     4
    .sgpr_spill_count: 0
    .symbol:         _ZN7rocprim17ROCPRIM_400000_NS6detail17trampoline_kernelINS0_14default_configENS1_20scan_config_selectorIdEEZZNS1_9scan_implILNS1_25lookback_scan_determinismE0ELb1ELb1ES3_N6thrust23THRUST_200600_302600_NS6detail15normal_iteratorINS9_10device_ptrIdEEEESE_dNS9_4plusIvEEdEEDaPvRmT3_T4_T5_mT6_P12ihipStream_tbENKUlT_T0_E_clISt17integral_constantIbLb1EEST_IbLb0EEEEDaSP_SQ_EUlSP_E0_NS1_11comp_targetILNS1_3genE0ELNS1_11target_archE4294967295ELNS1_3gpuE0ELNS1_3repE0EEENS1_30default_config_static_selectorELNS0_4arch9wavefront6targetE1EEEvT1_.kd
    .uniform_work_group_size: 1
    .uses_dynamic_stack: false
    .vgpr_count:     0
    .vgpr_spill_count: 0
    .wavefront_size: 64
  - .agpr_count:     0
    .args:
      - .offset:         0
        .size:           40
        .value_kind:     by_value
    .group_segment_fixed_size: 0
    .kernarg_segment_align: 8
    .kernarg_segment_size: 40
    .language:       OpenCL C
    .language_version:
      - 2
      - 0
    .max_flat_workgroup_size: 256
    .name:           _ZN7rocprim17ROCPRIM_400000_NS6detail17trampoline_kernelINS0_14default_configENS1_20scan_config_selectorIdEEZZNS1_9scan_implILNS1_25lookback_scan_determinismE0ELb1ELb1ES3_N6thrust23THRUST_200600_302600_NS6detail15normal_iteratorINS9_10device_ptrIdEEEESE_dNS9_4plusIvEEdEEDaPvRmT3_T4_T5_mT6_P12ihipStream_tbENKUlT_T0_E_clISt17integral_constantIbLb1EEST_IbLb0EEEEDaSP_SQ_EUlSP_E0_NS1_11comp_targetILNS1_3genE5ELNS1_11target_archE942ELNS1_3gpuE9ELNS1_3repE0EEENS1_30default_config_static_selectorELNS0_4arch9wavefront6targetE1EEEvT1_
    .private_segment_fixed_size: 0
    .sgpr_count:     4
    .sgpr_spill_count: 0
    .symbol:         _ZN7rocprim17ROCPRIM_400000_NS6detail17trampoline_kernelINS0_14default_configENS1_20scan_config_selectorIdEEZZNS1_9scan_implILNS1_25lookback_scan_determinismE0ELb1ELb1ES3_N6thrust23THRUST_200600_302600_NS6detail15normal_iteratorINS9_10device_ptrIdEEEESE_dNS9_4plusIvEEdEEDaPvRmT3_T4_T5_mT6_P12ihipStream_tbENKUlT_T0_E_clISt17integral_constantIbLb1EEST_IbLb0EEEEDaSP_SQ_EUlSP_E0_NS1_11comp_targetILNS1_3genE5ELNS1_11target_archE942ELNS1_3gpuE9ELNS1_3repE0EEENS1_30default_config_static_selectorELNS0_4arch9wavefront6targetE1EEEvT1_.kd
    .uniform_work_group_size: 1
    .uses_dynamic_stack: false
    .vgpr_count:     0
    .vgpr_spill_count: 0
    .wavefront_size: 64
  - .agpr_count:     0
    .args:
      - .offset:         0
        .size:           40
        .value_kind:     by_value
    .group_segment_fixed_size: 10240
    .kernarg_segment_align: 8
    .kernarg_segment_size: 40
    .language:       OpenCL C
    .language_version:
      - 2
      - 0
    .max_flat_workgroup_size: 128
    .name:           _ZN7rocprim17ROCPRIM_400000_NS6detail17trampoline_kernelINS0_14default_configENS1_20scan_config_selectorIdEEZZNS1_9scan_implILNS1_25lookback_scan_determinismE0ELb1ELb1ES3_N6thrust23THRUST_200600_302600_NS6detail15normal_iteratorINS9_10device_ptrIdEEEESE_dNS9_4plusIvEEdEEDaPvRmT3_T4_T5_mT6_P12ihipStream_tbENKUlT_T0_E_clISt17integral_constantIbLb1EEST_IbLb0EEEEDaSP_SQ_EUlSP_E0_NS1_11comp_targetILNS1_3genE4ELNS1_11target_archE910ELNS1_3gpuE8ELNS1_3repE0EEENS1_30default_config_static_selectorELNS0_4arch9wavefront6targetE1EEEvT1_
    .private_segment_fixed_size: 0
    .sgpr_count:     34
    .sgpr_spill_count: 0
    .symbol:         _ZN7rocprim17ROCPRIM_400000_NS6detail17trampoline_kernelINS0_14default_configENS1_20scan_config_selectorIdEEZZNS1_9scan_implILNS1_25lookback_scan_determinismE0ELb1ELb1ES3_N6thrust23THRUST_200600_302600_NS6detail15normal_iteratorINS9_10device_ptrIdEEEESE_dNS9_4plusIvEEdEEDaPvRmT3_T4_T5_mT6_P12ihipStream_tbENKUlT_T0_E_clISt17integral_constantIbLb1EEST_IbLb0EEEEDaSP_SQ_EUlSP_E0_NS1_11comp_targetILNS1_3genE4ELNS1_11target_archE910ELNS1_3gpuE8ELNS1_3repE0EEENS1_30default_config_static_selectorELNS0_4arch9wavefront6targetE1EEEvT1_.kd
    .uniform_work_group_size: 1
    .uses_dynamic_stack: false
    .vgpr_count:     31
    .vgpr_spill_count: 0
    .wavefront_size: 64
  - .agpr_count:     0
    .args:
      - .offset:         0
        .size:           40
        .value_kind:     by_value
    .group_segment_fixed_size: 0
    .kernarg_segment_align: 8
    .kernarg_segment_size: 40
    .language:       OpenCL C
    .language_version:
      - 2
      - 0
    .max_flat_workgroup_size: 256
    .name:           _ZN7rocprim17ROCPRIM_400000_NS6detail17trampoline_kernelINS0_14default_configENS1_20scan_config_selectorIdEEZZNS1_9scan_implILNS1_25lookback_scan_determinismE0ELb1ELb1ES3_N6thrust23THRUST_200600_302600_NS6detail15normal_iteratorINS9_10device_ptrIdEEEESE_dNS9_4plusIvEEdEEDaPvRmT3_T4_T5_mT6_P12ihipStream_tbENKUlT_T0_E_clISt17integral_constantIbLb1EEST_IbLb0EEEEDaSP_SQ_EUlSP_E0_NS1_11comp_targetILNS1_3genE3ELNS1_11target_archE908ELNS1_3gpuE7ELNS1_3repE0EEENS1_30default_config_static_selectorELNS0_4arch9wavefront6targetE1EEEvT1_
    .private_segment_fixed_size: 0
    .sgpr_count:     4
    .sgpr_spill_count: 0
    .symbol:         _ZN7rocprim17ROCPRIM_400000_NS6detail17trampoline_kernelINS0_14default_configENS1_20scan_config_selectorIdEEZZNS1_9scan_implILNS1_25lookback_scan_determinismE0ELb1ELb1ES3_N6thrust23THRUST_200600_302600_NS6detail15normal_iteratorINS9_10device_ptrIdEEEESE_dNS9_4plusIvEEdEEDaPvRmT3_T4_T5_mT6_P12ihipStream_tbENKUlT_T0_E_clISt17integral_constantIbLb1EEST_IbLb0EEEEDaSP_SQ_EUlSP_E0_NS1_11comp_targetILNS1_3genE3ELNS1_11target_archE908ELNS1_3gpuE7ELNS1_3repE0EEENS1_30default_config_static_selectorELNS0_4arch9wavefront6targetE1EEEvT1_.kd
    .uniform_work_group_size: 1
    .uses_dynamic_stack: false
    .vgpr_count:     0
    .vgpr_spill_count: 0
    .wavefront_size: 64
  - .agpr_count:     0
    .args:
      - .offset:         0
        .size:           40
        .value_kind:     by_value
    .group_segment_fixed_size: 0
    .kernarg_segment_align: 8
    .kernarg_segment_size: 40
    .language:       OpenCL C
    .language_version:
      - 2
      - 0
    .max_flat_workgroup_size: 128
    .name:           _ZN7rocprim17ROCPRIM_400000_NS6detail17trampoline_kernelINS0_14default_configENS1_20scan_config_selectorIdEEZZNS1_9scan_implILNS1_25lookback_scan_determinismE0ELb1ELb1ES3_N6thrust23THRUST_200600_302600_NS6detail15normal_iteratorINS9_10device_ptrIdEEEESE_dNS9_4plusIvEEdEEDaPvRmT3_T4_T5_mT6_P12ihipStream_tbENKUlT_T0_E_clISt17integral_constantIbLb1EEST_IbLb0EEEEDaSP_SQ_EUlSP_E0_NS1_11comp_targetILNS1_3genE2ELNS1_11target_archE906ELNS1_3gpuE6ELNS1_3repE0EEENS1_30default_config_static_selectorELNS0_4arch9wavefront6targetE1EEEvT1_
    .private_segment_fixed_size: 0
    .sgpr_count:     4
    .sgpr_spill_count: 0
    .symbol:         _ZN7rocprim17ROCPRIM_400000_NS6detail17trampoline_kernelINS0_14default_configENS1_20scan_config_selectorIdEEZZNS1_9scan_implILNS1_25lookback_scan_determinismE0ELb1ELb1ES3_N6thrust23THRUST_200600_302600_NS6detail15normal_iteratorINS9_10device_ptrIdEEEESE_dNS9_4plusIvEEdEEDaPvRmT3_T4_T5_mT6_P12ihipStream_tbENKUlT_T0_E_clISt17integral_constantIbLb1EEST_IbLb0EEEEDaSP_SQ_EUlSP_E0_NS1_11comp_targetILNS1_3genE2ELNS1_11target_archE906ELNS1_3gpuE6ELNS1_3repE0EEENS1_30default_config_static_selectorELNS0_4arch9wavefront6targetE1EEEvT1_.kd
    .uniform_work_group_size: 1
    .uses_dynamic_stack: false
    .vgpr_count:     0
    .vgpr_spill_count: 0
    .wavefront_size: 64
  - .agpr_count:     0
    .args:
      - .offset:         0
        .size:           40
        .value_kind:     by_value
    .group_segment_fixed_size: 0
    .kernarg_segment_align: 8
    .kernarg_segment_size: 40
    .language:       OpenCL C
    .language_version:
      - 2
      - 0
    .max_flat_workgroup_size: 256
    .name:           _ZN7rocprim17ROCPRIM_400000_NS6detail17trampoline_kernelINS0_14default_configENS1_20scan_config_selectorIdEEZZNS1_9scan_implILNS1_25lookback_scan_determinismE0ELb1ELb1ES3_N6thrust23THRUST_200600_302600_NS6detail15normal_iteratorINS9_10device_ptrIdEEEESE_dNS9_4plusIvEEdEEDaPvRmT3_T4_T5_mT6_P12ihipStream_tbENKUlT_T0_E_clISt17integral_constantIbLb1EEST_IbLb0EEEEDaSP_SQ_EUlSP_E0_NS1_11comp_targetILNS1_3genE10ELNS1_11target_archE1201ELNS1_3gpuE5ELNS1_3repE0EEENS1_30default_config_static_selectorELNS0_4arch9wavefront6targetE1EEEvT1_
    .private_segment_fixed_size: 0
    .sgpr_count:     4
    .sgpr_spill_count: 0
    .symbol:         _ZN7rocprim17ROCPRIM_400000_NS6detail17trampoline_kernelINS0_14default_configENS1_20scan_config_selectorIdEEZZNS1_9scan_implILNS1_25lookback_scan_determinismE0ELb1ELb1ES3_N6thrust23THRUST_200600_302600_NS6detail15normal_iteratorINS9_10device_ptrIdEEEESE_dNS9_4plusIvEEdEEDaPvRmT3_T4_T5_mT6_P12ihipStream_tbENKUlT_T0_E_clISt17integral_constantIbLb1EEST_IbLb0EEEEDaSP_SQ_EUlSP_E0_NS1_11comp_targetILNS1_3genE10ELNS1_11target_archE1201ELNS1_3gpuE5ELNS1_3repE0EEENS1_30default_config_static_selectorELNS0_4arch9wavefront6targetE1EEEvT1_.kd
    .uniform_work_group_size: 1
    .uses_dynamic_stack: false
    .vgpr_count:     0
    .vgpr_spill_count: 0
    .wavefront_size: 64
  - .agpr_count:     0
    .args:
      - .offset:         0
        .size:           40
        .value_kind:     by_value
    .group_segment_fixed_size: 0
    .kernarg_segment_align: 8
    .kernarg_segment_size: 40
    .language:       OpenCL C
    .language_version:
      - 2
      - 0
    .max_flat_workgroup_size: 256
    .name:           _ZN7rocprim17ROCPRIM_400000_NS6detail17trampoline_kernelINS0_14default_configENS1_20scan_config_selectorIdEEZZNS1_9scan_implILNS1_25lookback_scan_determinismE0ELb1ELb1ES3_N6thrust23THRUST_200600_302600_NS6detail15normal_iteratorINS9_10device_ptrIdEEEESE_dNS9_4plusIvEEdEEDaPvRmT3_T4_T5_mT6_P12ihipStream_tbENKUlT_T0_E_clISt17integral_constantIbLb1EEST_IbLb0EEEEDaSP_SQ_EUlSP_E0_NS1_11comp_targetILNS1_3genE10ELNS1_11target_archE1200ELNS1_3gpuE4ELNS1_3repE0EEENS1_30default_config_static_selectorELNS0_4arch9wavefront6targetE1EEEvT1_
    .private_segment_fixed_size: 0
    .sgpr_count:     4
    .sgpr_spill_count: 0
    .symbol:         _ZN7rocprim17ROCPRIM_400000_NS6detail17trampoline_kernelINS0_14default_configENS1_20scan_config_selectorIdEEZZNS1_9scan_implILNS1_25lookback_scan_determinismE0ELb1ELb1ES3_N6thrust23THRUST_200600_302600_NS6detail15normal_iteratorINS9_10device_ptrIdEEEESE_dNS9_4plusIvEEdEEDaPvRmT3_T4_T5_mT6_P12ihipStream_tbENKUlT_T0_E_clISt17integral_constantIbLb1EEST_IbLb0EEEEDaSP_SQ_EUlSP_E0_NS1_11comp_targetILNS1_3genE10ELNS1_11target_archE1200ELNS1_3gpuE4ELNS1_3repE0EEENS1_30default_config_static_selectorELNS0_4arch9wavefront6targetE1EEEvT1_.kd
    .uniform_work_group_size: 1
    .uses_dynamic_stack: false
    .vgpr_count:     0
    .vgpr_spill_count: 0
    .wavefront_size: 64
  - .agpr_count:     0
    .args:
      - .offset:         0
        .size:           40
        .value_kind:     by_value
    .group_segment_fixed_size: 0
    .kernarg_segment_align: 8
    .kernarg_segment_size: 40
    .language:       OpenCL C
    .language_version:
      - 2
      - 0
    .max_flat_workgroup_size: 256
    .name:           _ZN7rocprim17ROCPRIM_400000_NS6detail17trampoline_kernelINS0_14default_configENS1_20scan_config_selectorIdEEZZNS1_9scan_implILNS1_25lookback_scan_determinismE0ELb1ELb1ES3_N6thrust23THRUST_200600_302600_NS6detail15normal_iteratorINS9_10device_ptrIdEEEESE_dNS9_4plusIvEEdEEDaPvRmT3_T4_T5_mT6_P12ihipStream_tbENKUlT_T0_E_clISt17integral_constantIbLb1EEST_IbLb0EEEEDaSP_SQ_EUlSP_E0_NS1_11comp_targetILNS1_3genE9ELNS1_11target_archE1100ELNS1_3gpuE3ELNS1_3repE0EEENS1_30default_config_static_selectorELNS0_4arch9wavefront6targetE1EEEvT1_
    .private_segment_fixed_size: 0
    .sgpr_count:     4
    .sgpr_spill_count: 0
    .symbol:         _ZN7rocprim17ROCPRIM_400000_NS6detail17trampoline_kernelINS0_14default_configENS1_20scan_config_selectorIdEEZZNS1_9scan_implILNS1_25lookback_scan_determinismE0ELb1ELb1ES3_N6thrust23THRUST_200600_302600_NS6detail15normal_iteratorINS9_10device_ptrIdEEEESE_dNS9_4plusIvEEdEEDaPvRmT3_T4_T5_mT6_P12ihipStream_tbENKUlT_T0_E_clISt17integral_constantIbLb1EEST_IbLb0EEEEDaSP_SQ_EUlSP_E0_NS1_11comp_targetILNS1_3genE9ELNS1_11target_archE1100ELNS1_3gpuE3ELNS1_3repE0EEENS1_30default_config_static_selectorELNS0_4arch9wavefront6targetE1EEEvT1_.kd
    .uniform_work_group_size: 1
    .uses_dynamic_stack: false
    .vgpr_count:     0
    .vgpr_spill_count: 0
    .wavefront_size: 64
  - .agpr_count:     0
    .args:
      - .offset:         0
        .size:           40
        .value_kind:     by_value
    .group_segment_fixed_size: 0
    .kernarg_segment_align: 8
    .kernarg_segment_size: 40
    .language:       OpenCL C
    .language_version:
      - 2
      - 0
    .max_flat_workgroup_size: 128
    .name:           _ZN7rocprim17ROCPRIM_400000_NS6detail17trampoline_kernelINS0_14default_configENS1_20scan_config_selectorIdEEZZNS1_9scan_implILNS1_25lookback_scan_determinismE0ELb1ELb1ES3_N6thrust23THRUST_200600_302600_NS6detail15normal_iteratorINS9_10device_ptrIdEEEESE_dNS9_4plusIvEEdEEDaPvRmT3_T4_T5_mT6_P12ihipStream_tbENKUlT_T0_E_clISt17integral_constantIbLb1EEST_IbLb0EEEEDaSP_SQ_EUlSP_E0_NS1_11comp_targetILNS1_3genE8ELNS1_11target_archE1030ELNS1_3gpuE2ELNS1_3repE0EEENS1_30default_config_static_selectorELNS0_4arch9wavefront6targetE1EEEvT1_
    .private_segment_fixed_size: 0
    .sgpr_count:     4
    .sgpr_spill_count: 0
    .symbol:         _ZN7rocprim17ROCPRIM_400000_NS6detail17trampoline_kernelINS0_14default_configENS1_20scan_config_selectorIdEEZZNS1_9scan_implILNS1_25lookback_scan_determinismE0ELb1ELb1ES3_N6thrust23THRUST_200600_302600_NS6detail15normal_iteratorINS9_10device_ptrIdEEEESE_dNS9_4plusIvEEdEEDaPvRmT3_T4_T5_mT6_P12ihipStream_tbENKUlT_T0_E_clISt17integral_constantIbLb1EEST_IbLb0EEEEDaSP_SQ_EUlSP_E0_NS1_11comp_targetILNS1_3genE8ELNS1_11target_archE1030ELNS1_3gpuE2ELNS1_3repE0EEENS1_30default_config_static_selectorELNS0_4arch9wavefront6targetE1EEEvT1_.kd
    .uniform_work_group_size: 1
    .uses_dynamic_stack: false
    .vgpr_count:     0
    .vgpr_spill_count: 0
    .wavefront_size: 64
  - .agpr_count:     0
    .args:
      - .offset:         0
        .size:           104
        .value_kind:     by_value
    .group_segment_fixed_size: 0
    .kernarg_segment_align: 8
    .kernarg_segment_size: 104
    .language:       OpenCL C
    .language_version:
      - 2
      - 0
    .max_flat_workgroup_size: 256
    .name:           _ZN7rocprim17ROCPRIM_400000_NS6detail17trampoline_kernelINS0_14default_configENS1_20scan_config_selectorIdEEZZNS1_9scan_implILNS1_25lookback_scan_determinismE0ELb1ELb1ES3_N6thrust23THRUST_200600_302600_NS6detail15normal_iteratorINS9_10device_ptrIdEEEESE_dNS9_4plusIvEEdEEDaPvRmT3_T4_T5_mT6_P12ihipStream_tbENKUlT_T0_E_clISt17integral_constantIbLb0EEST_IbLb1EEEEDaSP_SQ_EUlSP_E_NS1_11comp_targetILNS1_3genE0ELNS1_11target_archE4294967295ELNS1_3gpuE0ELNS1_3repE0EEENS1_30default_config_static_selectorELNS0_4arch9wavefront6targetE1EEEvT1_
    .private_segment_fixed_size: 0
    .sgpr_count:     4
    .sgpr_spill_count: 0
    .symbol:         _ZN7rocprim17ROCPRIM_400000_NS6detail17trampoline_kernelINS0_14default_configENS1_20scan_config_selectorIdEEZZNS1_9scan_implILNS1_25lookback_scan_determinismE0ELb1ELb1ES3_N6thrust23THRUST_200600_302600_NS6detail15normal_iteratorINS9_10device_ptrIdEEEESE_dNS9_4plusIvEEdEEDaPvRmT3_T4_T5_mT6_P12ihipStream_tbENKUlT_T0_E_clISt17integral_constantIbLb0EEST_IbLb1EEEEDaSP_SQ_EUlSP_E_NS1_11comp_targetILNS1_3genE0ELNS1_11target_archE4294967295ELNS1_3gpuE0ELNS1_3repE0EEENS1_30default_config_static_selectorELNS0_4arch9wavefront6targetE1EEEvT1_.kd
    .uniform_work_group_size: 1
    .uses_dynamic_stack: false
    .vgpr_count:     0
    .vgpr_spill_count: 0
    .wavefront_size: 64
  - .agpr_count:     0
    .args:
      - .offset:         0
        .size:           104
        .value_kind:     by_value
    .group_segment_fixed_size: 0
    .kernarg_segment_align: 8
    .kernarg_segment_size: 104
    .language:       OpenCL C
    .language_version:
      - 2
      - 0
    .max_flat_workgroup_size: 256
    .name:           _ZN7rocprim17ROCPRIM_400000_NS6detail17trampoline_kernelINS0_14default_configENS1_20scan_config_selectorIdEEZZNS1_9scan_implILNS1_25lookback_scan_determinismE0ELb1ELb1ES3_N6thrust23THRUST_200600_302600_NS6detail15normal_iteratorINS9_10device_ptrIdEEEESE_dNS9_4plusIvEEdEEDaPvRmT3_T4_T5_mT6_P12ihipStream_tbENKUlT_T0_E_clISt17integral_constantIbLb0EEST_IbLb1EEEEDaSP_SQ_EUlSP_E_NS1_11comp_targetILNS1_3genE5ELNS1_11target_archE942ELNS1_3gpuE9ELNS1_3repE0EEENS1_30default_config_static_selectorELNS0_4arch9wavefront6targetE1EEEvT1_
    .private_segment_fixed_size: 0
    .sgpr_count:     4
    .sgpr_spill_count: 0
    .symbol:         _ZN7rocprim17ROCPRIM_400000_NS6detail17trampoline_kernelINS0_14default_configENS1_20scan_config_selectorIdEEZZNS1_9scan_implILNS1_25lookback_scan_determinismE0ELb1ELb1ES3_N6thrust23THRUST_200600_302600_NS6detail15normal_iteratorINS9_10device_ptrIdEEEESE_dNS9_4plusIvEEdEEDaPvRmT3_T4_T5_mT6_P12ihipStream_tbENKUlT_T0_E_clISt17integral_constantIbLb0EEST_IbLb1EEEEDaSP_SQ_EUlSP_E_NS1_11comp_targetILNS1_3genE5ELNS1_11target_archE942ELNS1_3gpuE9ELNS1_3repE0EEENS1_30default_config_static_selectorELNS0_4arch9wavefront6targetE1EEEvT1_.kd
    .uniform_work_group_size: 1
    .uses_dynamic_stack: false
    .vgpr_count:     0
    .vgpr_spill_count: 0
    .wavefront_size: 64
  - .agpr_count:     0
    .args:
      - .offset:         0
        .size:           104
        .value_kind:     by_value
    .group_segment_fixed_size: 10240
    .kernarg_segment_align: 8
    .kernarg_segment_size: 104
    .language:       OpenCL C
    .language_version:
      - 2
      - 0
    .max_flat_workgroup_size: 128
    .name:           _ZN7rocprim17ROCPRIM_400000_NS6detail17trampoline_kernelINS0_14default_configENS1_20scan_config_selectorIdEEZZNS1_9scan_implILNS1_25lookback_scan_determinismE0ELb1ELb1ES3_N6thrust23THRUST_200600_302600_NS6detail15normal_iteratorINS9_10device_ptrIdEEEESE_dNS9_4plusIvEEdEEDaPvRmT3_T4_T5_mT6_P12ihipStream_tbENKUlT_T0_E_clISt17integral_constantIbLb0EEST_IbLb1EEEEDaSP_SQ_EUlSP_E_NS1_11comp_targetILNS1_3genE4ELNS1_11target_archE910ELNS1_3gpuE8ELNS1_3repE0EEENS1_30default_config_static_selectorELNS0_4arch9wavefront6targetE1EEEvT1_
    .private_segment_fixed_size: 0
    .sgpr_count:     44
    .sgpr_spill_count: 0
    .symbol:         _ZN7rocprim17ROCPRIM_400000_NS6detail17trampoline_kernelINS0_14default_configENS1_20scan_config_selectorIdEEZZNS1_9scan_implILNS1_25lookback_scan_determinismE0ELb1ELb1ES3_N6thrust23THRUST_200600_302600_NS6detail15normal_iteratorINS9_10device_ptrIdEEEESE_dNS9_4plusIvEEdEEDaPvRmT3_T4_T5_mT6_P12ihipStream_tbENKUlT_T0_E_clISt17integral_constantIbLb0EEST_IbLb1EEEEDaSP_SQ_EUlSP_E_NS1_11comp_targetILNS1_3genE4ELNS1_11target_archE910ELNS1_3gpuE8ELNS1_3repE0EEENS1_30default_config_static_selectorELNS0_4arch9wavefront6targetE1EEEvT1_.kd
    .uniform_work_group_size: 1
    .uses_dynamic_stack: false
    .vgpr_count:     68
    .vgpr_spill_count: 0
    .wavefront_size: 64
  - .agpr_count:     0
    .args:
      - .offset:         0
        .size:           104
        .value_kind:     by_value
    .group_segment_fixed_size: 0
    .kernarg_segment_align: 8
    .kernarg_segment_size: 104
    .language:       OpenCL C
    .language_version:
      - 2
      - 0
    .max_flat_workgroup_size: 256
    .name:           _ZN7rocprim17ROCPRIM_400000_NS6detail17trampoline_kernelINS0_14default_configENS1_20scan_config_selectorIdEEZZNS1_9scan_implILNS1_25lookback_scan_determinismE0ELb1ELb1ES3_N6thrust23THRUST_200600_302600_NS6detail15normal_iteratorINS9_10device_ptrIdEEEESE_dNS9_4plusIvEEdEEDaPvRmT3_T4_T5_mT6_P12ihipStream_tbENKUlT_T0_E_clISt17integral_constantIbLb0EEST_IbLb1EEEEDaSP_SQ_EUlSP_E_NS1_11comp_targetILNS1_3genE3ELNS1_11target_archE908ELNS1_3gpuE7ELNS1_3repE0EEENS1_30default_config_static_selectorELNS0_4arch9wavefront6targetE1EEEvT1_
    .private_segment_fixed_size: 0
    .sgpr_count:     4
    .sgpr_spill_count: 0
    .symbol:         _ZN7rocprim17ROCPRIM_400000_NS6detail17trampoline_kernelINS0_14default_configENS1_20scan_config_selectorIdEEZZNS1_9scan_implILNS1_25lookback_scan_determinismE0ELb1ELb1ES3_N6thrust23THRUST_200600_302600_NS6detail15normal_iteratorINS9_10device_ptrIdEEEESE_dNS9_4plusIvEEdEEDaPvRmT3_T4_T5_mT6_P12ihipStream_tbENKUlT_T0_E_clISt17integral_constantIbLb0EEST_IbLb1EEEEDaSP_SQ_EUlSP_E_NS1_11comp_targetILNS1_3genE3ELNS1_11target_archE908ELNS1_3gpuE7ELNS1_3repE0EEENS1_30default_config_static_selectorELNS0_4arch9wavefront6targetE1EEEvT1_.kd
    .uniform_work_group_size: 1
    .uses_dynamic_stack: false
    .vgpr_count:     0
    .vgpr_spill_count: 0
    .wavefront_size: 64
  - .agpr_count:     0
    .args:
      - .offset:         0
        .size:           104
        .value_kind:     by_value
    .group_segment_fixed_size: 0
    .kernarg_segment_align: 8
    .kernarg_segment_size: 104
    .language:       OpenCL C
    .language_version:
      - 2
      - 0
    .max_flat_workgroup_size: 128
    .name:           _ZN7rocprim17ROCPRIM_400000_NS6detail17trampoline_kernelINS0_14default_configENS1_20scan_config_selectorIdEEZZNS1_9scan_implILNS1_25lookback_scan_determinismE0ELb1ELb1ES3_N6thrust23THRUST_200600_302600_NS6detail15normal_iteratorINS9_10device_ptrIdEEEESE_dNS9_4plusIvEEdEEDaPvRmT3_T4_T5_mT6_P12ihipStream_tbENKUlT_T0_E_clISt17integral_constantIbLb0EEST_IbLb1EEEEDaSP_SQ_EUlSP_E_NS1_11comp_targetILNS1_3genE2ELNS1_11target_archE906ELNS1_3gpuE6ELNS1_3repE0EEENS1_30default_config_static_selectorELNS0_4arch9wavefront6targetE1EEEvT1_
    .private_segment_fixed_size: 0
    .sgpr_count:     4
    .sgpr_spill_count: 0
    .symbol:         _ZN7rocprim17ROCPRIM_400000_NS6detail17trampoline_kernelINS0_14default_configENS1_20scan_config_selectorIdEEZZNS1_9scan_implILNS1_25lookback_scan_determinismE0ELb1ELb1ES3_N6thrust23THRUST_200600_302600_NS6detail15normal_iteratorINS9_10device_ptrIdEEEESE_dNS9_4plusIvEEdEEDaPvRmT3_T4_T5_mT6_P12ihipStream_tbENKUlT_T0_E_clISt17integral_constantIbLb0EEST_IbLb1EEEEDaSP_SQ_EUlSP_E_NS1_11comp_targetILNS1_3genE2ELNS1_11target_archE906ELNS1_3gpuE6ELNS1_3repE0EEENS1_30default_config_static_selectorELNS0_4arch9wavefront6targetE1EEEvT1_.kd
    .uniform_work_group_size: 1
    .uses_dynamic_stack: false
    .vgpr_count:     0
    .vgpr_spill_count: 0
    .wavefront_size: 64
  - .agpr_count:     0
    .args:
      - .offset:         0
        .size:           104
        .value_kind:     by_value
    .group_segment_fixed_size: 0
    .kernarg_segment_align: 8
    .kernarg_segment_size: 104
    .language:       OpenCL C
    .language_version:
      - 2
      - 0
    .max_flat_workgroup_size: 256
    .name:           _ZN7rocprim17ROCPRIM_400000_NS6detail17trampoline_kernelINS0_14default_configENS1_20scan_config_selectorIdEEZZNS1_9scan_implILNS1_25lookback_scan_determinismE0ELb1ELb1ES3_N6thrust23THRUST_200600_302600_NS6detail15normal_iteratorINS9_10device_ptrIdEEEESE_dNS9_4plusIvEEdEEDaPvRmT3_T4_T5_mT6_P12ihipStream_tbENKUlT_T0_E_clISt17integral_constantIbLb0EEST_IbLb1EEEEDaSP_SQ_EUlSP_E_NS1_11comp_targetILNS1_3genE10ELNS1_11target_archE1201ELNS1_3gpuE5ELNS1_3repE0EEENS1_30default_config_static_selectorELNS0_4arch9wavefront6targetE1EEEvT1_
    .private_segment_fixed_size: 0
    .sgpr_count:     4
    .sgpr_spill_count: 0
    .symbol:         _ZN7rocprim17ROCPRIM_400000_NS6detail17trampoline_kernelINS0_14default_configENS1_20scan_config_selectorIdEEZZNS1_9scan_implILNS1_25lookback_scan_determinismE0ELb1ELb1ES3_N6thrust23THRUST_200600_302600_NS6detail15normal_iteratorINS9_10device_ptrIdEEEESE_dNS9_4plusIvEEdEEDaPvRmT3_T4_T5_mT6_P12ihipStream_tbENKUlT_T0_E_clISt17integral_constantIbLb0EEST_IbLb1EEEEDaSP_SQ_EUlSP_E_NS1_11comp_targetILNS1_3genE10ELNS1_11target_archE1201ELNS1_3gpuE5ELNS1_3repE0EEENS1_30default_config_static_selectorELNS0_4arch9wavefront6targetE1EEEvT1_.kd
    .uniform_work_group_size: 1
    .uses_dynamic_stack: false
    .vgpr_count:     0
    .vgpr_spill_count: 0
    .wavefront_size: 64
  - .agpr_count:     0
    .args:
      - .offset:         0
        .size:           104
        .value_kind:     by_value
    .group_segment_fixed_size: 0
    .kernarg_segment_align: 8
    .kernarg_segment_size: 104
    .language:       OpenCL C
    .language_version:
      - 2
      - 0
    .max_flat_workgroup_size: 256
    .name:           _ZN7rocprim17ROCPRIM_400000_NS6detail17trampoline_kernelINS0_14default_configENS1_20scan_config_selectorIdEEZZNS1_9scan_implILNS1_25lookback_scan_determinismE0ELb1ELb1ES3_N6thrust23THRUST_200600_302600_NS6detail15normal_iteratorINS9_10device_ptrIdEEEESE_dNS9_4plusIvEEdEEDaPvRmT3_T4_T5_mT6_P12ihipStream_tbENKUlT_T0_E_clISt17integral_constantIbLb0EEST_IbLb1EEEEDaSP_SQ_EUlSP_E_NS1_11comp_targetILNS1_3genE10ELNS1_11target_archE1200ELNS1_3gpuE4ELNS1_3repE0EEENS1_30default_config_static_selectorELNS0_4arch9wavefront6targetE1EEEvT1_
    .private_segment_fixed_size: 0
    .sgpr_count:     4
    .sgpr_spill_count: 0
    .symbol:         _ZN7rocprim17ROCPRIM_400000_NS6detail17trampoline_kernelINS0_14default_configENS1_20scan_config_selectorIdEEZZNS1_9scan_implILNS1_25lookback_scan_determinismE0ELb1ELb1ES3_N6thrust23THRUST_200600_302600_NS6detail15normal_iteratorINS9_10device_ptrIdEEEESE_dNS9_4plusIvEEdEEDaPvRmT3_T4_T5_mT6_P12ihipStream_tbENKUlT_T0_E_clISt17integral_constantIbLb0EEST_IbLb1EEEEDaSP_SQ_EUlSP_E_NS1_11comp_targetILNS1_3genE10ELNS1_11target_archE1200ELNS1_3gpuE4ELNS1_3repE0EEENS1_30default_config_static_selectorELNS0_4arch9wavefront6targetE1EEEvT1_.kd
    .uniform_work_group_size: 1
    .uses_dynamic_stack: false
    .vgpr_count:     0
    .vgpr_spill_count: 0
    .wavefront_size: 64
  - .agpr_count:     0
    .args:
      - .offset:         0
        .size:           104
        .value_kind:     by_value
    .group_segment_fixed_size: 0
    .kernarg_segment_align: 8
    .kernarg_segment_size: 104
    .language:       OpenCL C
    .language_version:
      - 2
      - 0
    .max_flat_workgroup_size: 256
    .name:           _ZN7rocprim17ROCPRIM_400000_NS6detail17trampoline_kernelINS0_14default_configENS1_20scan_config_selectorIdEEZZNS1_9scan_implILNS1_25lookback_scan_determinismE0ELb1ELb1ES3_N6thrust23THRUST_200600_302600_NS6detail15normal_iteratorINS9_10device_ptrIdEEEESE_dNS9_4plusIvEEdEEDaPvRmT3_T4_T5_mT6_P12ihipStream_tbENKUlT_T0_E_clISt17integral_constantIbLb0EEST_IbLb1EEEEDaSP_SQ_EUlSP_E_NS1_11comp_targetILNS1_3genE9ELNS1_11target_archE1100ELNS1_3gpuE3ELNS1_3repE0EEENS1_30default_config_static_selectorELNS0_4arch9wavefront6targetE1EEEvT1_
    .private_segment_fixed_size: 0
    .sgpr_count:     4
    .sgpr_spill_count: 0
    .symbol:         _ZN7rocprim17ROCPRIM_400000_NS6detail17trampoline_kernelINS0_14default_configENS1_20scan_config_selectorIdEEZZNS1_9scan_implILNS1_25lookback_scan_determinismE0ELb1ELb1ES3_N6thrust23THRUST_200600_302600_NS6detail15normal_iteratorINS9_10device_ptrIdEEEESE_dNS9_4plusIvEEdEEDaPvRmT3_T4_T5_mT6_P12ihipStream_tbENKUlT_T0_E_clISt17integral_constantIbLb0EEST_IbLb1EEEEDaSP_SQ_EUlSP_E_NS1_11comp_targetILNS1_3genE9ELNS1_11target_archE1100ELNS1_3gpuE3ELNS1_3repE0EEENS1_30default_config_static_selectorELNS0_4arch9wavefront6targetE1EEEvT1_.kd
    .uniform_work_group_size: 1
    .uses_dynamic_stack: false
    .vgpr_count:     0
    .vgpr_spill_count: 0
    .wavefront_size: 64
  - .agpr_count:     0
    .args:
      - .offset:         0
        .size:           104
        .value_kind:     by_value
    .group_segment_fixed_size: 0
    .kernarg_segment_align: 8
    .kernarg_segment_size: 104
    .language:       OpenCL C
    .language_version:
      - 2
      - 0
    .max_flat_workgroup_size: 128
    .name:           _ZN7rocprim17ROCPRIM_400000_NS6detail17trampoline_kernelINS0_14default_configENS1_20scan_config_selectorIdEEZZNS1_9scan_implILNS1_25lookback_scan_determinismE0ELb1ELb1ES3_N6thrust23THRUST_200600_302600_NS6detail15normal_iteratorINS9_10device_ptrIdEEEESE_dNS9_4plusIvEEdEEDaPvRmT3_T4_T5_mT6_P12ihipStream_tbENKUlT_T0_E_clISt17integral_constantIbLb0EEST_IbLb1EEEEDaSP_SQ_EUlSP_E_NS1_11comp_targetILNS1_3genE8ELNS1_11target_archE1030ELNS1_3gpuE2ELNS1_3repE0EEENS1_30default_config_static_selectorELNS0_4arch9wavefront6targetE1EEEvT1_
    .private_segment_fixed_size: 0
    .sgpr_count:     4
    .sgpr_spill_count: 0
    .symbol:         _ZN7rocprim17ROCPRIM_400000_NS6detail17trampoline_kernelINS0_14default_configENS1_20scan_config_selectorIdEEZZNS1_9scan_implILNS1_25lookback_scan_determinismE0ELb1ELb1ES3_N6thrust23THRUST_200600_302600_NS6detail15normal_iteratorINS9_10device_ptrIdEEEESE_dNS9_4plusIvEEdEEDaPvRmT3_T4_T5_mT6_P12ihipStream_tbENKUlT_T0_E_clISt17integral_constantIbLb0EEST_IbLb1EEEEDaSP_SQ_EUlSP_E_NS1_11comp_targetILNS1_3genE8ELNS1_11target_archE1030ELNS1_3gpuE2ELNS1_3repE0EEENS1_30default_config_static_selectorELNS0_4arch9wavefront6targetE1EEEvT1_.kd
    .uniform_work_group_size: 1
    .uses_dynamic_stack: false
    .vgpr_count:     0
    .vgpr_spill_count: 0
    .wavefront_size: 64
  - .agpr_count:     0
    .args:
      - .offset:         0
        .size:           40
        .value_kind:     by_value
    .group_segment_fixed_size: 0
    .kernarg_segment_align: 8
    .kernarg_segment_size: 40
    .language:       OpenCL C
    .language_version:
      - 2
      - 0
    .max_flat_workgroup_size: 256
    .name:           _ZN7rocprim17ROCPRIM_400000_NS6detail17trampoline_kernelINS0_14default_configENS1_20scan_config_selectorIdEEZZNS1_9scan_implILNS1_25lookback_scan_determinismE0ELb1ELb1ES3_N6thrust23THRUST_200600_302600_NS6detail15normal_iteratorINS9_10device_ptrIdEEEESE_dNS9_4plusIvEEdEEDaPvRmT3_T4_T5_mT6_P12ihipStream_tbENKUlT_T0_E_clISt17integral_constantIbLb0EEST_IbLb1EEEEDaSP_SQ_EUlSP_E0_NS1_11comp_targetILNS1_3genE0ELNS1_11target_archE4294967295ELNS1_3gpuE0ELNS1_3repE0EEENS1_30default_config_static_selectorELNS0_4arch9wavefront6targetE1EEEvT1_
    .private_segment_fixed_size: 0
    .sgpr_count:     4
    .sgpr_spill_count: 0
    .symbol:         _ZN7rocprim17ROCPRIM_400000_NS6detail17trampoline_kernelINS0_14default_configENS1_20scan_config_selectorIdEEZZNS1_9scan_implILNS1_25lookback_scan_determinismE0ELb1ELb1ES3_N6thrust23THRUST_200600_302600_NS6detail15normal_iteratorINS9_10device_ptrIdEEEESE_dNS9_4plusIvEEdEEDaPvRmT3_T4_T5_mT6_P12ihipStream_tbENKUlT_T0_E_clISt17integral_constantIbLb0EEST_IbLb1EEEEDaSP_SQ_EUlSP_E0_NS1_11comp_targetILNS1_3genE0ELNS1_11target_archE4294967295ELNS1_3gpuE0ELNS1_3repE0EEENS1_30default_config_static_selectorELNS0_4arch9wavefront6targetE1EEEvT1_.kd
    .uniform_work_group_size: 1
    .uses_dynamic_stack: false
    .vgpr_count:     0
    .vgpr_spill_count: 0
    .wavefront_size: 64
  - .agpr_count:     0
    .args:
      - .offset:         0
        .size:           40
        .value_kind:     by_value
    .group_segment_fixed_size: 0
    .kernarg_segment_align: 8
    .kernarg_segment_size: 40
    .language:       OpenCL C
    .language_version:
      - 2
      - 0
    .max_flat_workgroup_size: 256
    .name:           _ZN7rocprim17ROCPRIM_400000_NS6detail17trampoline_kernelINS0_14default_configENS1_20scan_config_selectorIdEEZZNS1_9scan_implILNS1_25lookback_scan_determinismE0ELb1ELb1ES3_N6thrust23THRUST_200600_302600_NS6detail15normal_iteratorINS9_10device_ptrIdEEEESE_dNS9_4plusIvEEdEEDaPvRmT3_T4_T5_mT6_P12ihipStream_tbENKUlT_T0_E_clISt17integral_constantIbLb0EEST_IbLb1EEEEDaSP_SQ_EUlSP_E0_NS1_11comp_targetILNS1_3genE5ELNS1_11target_archE942ELNS1_3gpuE9ELNS1_3repE0EEENS1_30default_config_static_selectorELNS0_4arch9wavefront6targetE1EEEvT1_
    .private_segment_fixed_size: 0
    .sgpr_count:     4
    .sgpr_spill_count: 0
    .symbol:         _ZN7rocprim17ROCPRIM_400000_NS6detail17trampoline_kernelINS0_14default_configENS1_20scan_config_selectorIdEEZZNS1_9scan_implILNS1_25lookback_scan_determinismE0ELb1ELb1ES3_N6thrust23THRUST_200600_302600_NS6detail15normal_iteratorINS9_10device_ptrIdEEEESE_dNS9_4plusIvEEdEEDaPvRmT3_T4_T5_mT6_P12ihipStream_tbENKUlT_T0_E_clISt17integral_constantIbLb0EEST_IbLb1EEEEDaSP_SQ_EUlSP_E0_NS1_11comp_targetILNS1_3genE5ELNS1_11target_archE942ELNS1_3gpuE9ELNS1_3repE0EEENS1_30default_config_static_selectorELNS0_4arch9wavefront6targetE1EEEvT1_.kd
    .uniform_work_group_size: 1
    .uses_dynamic_stack: false
    .vgpr_count:     0
    .vgpr_spill_count: 0
    .wavefront_size: 64
  - .agpr_count:     0
    .args:
      - .offset:         0
        .size:           40
        .value_kind:     by_value
    .group_segment_fixed_size: 10240
    .kernarg_segment_align: 8
    .kernarg_segment_size: 40
    .language:       OpenCL C
    .language_version:
      - 2
      - 0
    .max_flat_workgroup_size: 128
    .name:           _ZN7rocprim17ROCPRIM_400000_NS6detail17trampoline_kernelINS0_14default_configENS1_20scan_config_selectorIdEEZZNS1_9scan_implILNS1_25lookback_scan_determinismE0ELb1ELb1ES3_N6thrust23THRUST_200600_302600_NS6detail15normal_iteratorINS9_10device_ptrIdEEEESE_dNS9_4plusIvEEdEEDaPvRmT3_T4_T5_mT6_P12ihipStream_tbENKUlT_T0_E_clISt17integral_constantIbLb0EEST_IbLb1EEEEDaSP_SQ_EUlSP_E0_NS1_11comp_targetILNS1_3genE4ELNS1_11target_archE910ELNS1_3gpuE8ELNS1_3repE0EEENS1_30default_config_static_selectorELNS0_4arch9wavefront6targetE1EEEvT1_
    .private_segment_fixed_size: 0
    .sgpr_count:     34
    .sgpr_spill_count: 0
    .symbol:         _ZN7rocprim17ROCPRIM_400000_NS6detail17trampoline_kernelINS0_14default_configENS1_20scan_config_selectorIdEEZZNS1_9scan_implILNS1_25lookback_scan_determinismE0ELb1ELb1ES3_N6thrust23THRUST_200600_302600_NS6detail15normal_iteratorINS9_10device_ptrIdEEEESE_dNS9_4plusIvEEdEEDaPvRmT3_T4_T5_mT6_P12ihipStream_tbENKUlT_T0_E_clISt17integral_constantIbLb0EEST_IbLb1EEEEDaSP_SQ_EUlSP_E0_NS1_11comp_targetILNS1_3genE4ELNS1_11target_archE910ELNS1_3gpuE8ELNS1_3repE0EEENS1_30default_config_static_selectorELNS0_4arch9wavefront6targetE1EEEvT1_.kd
    .uniform_work_group_size: 1
    .uses_dynamic_stack: false
    .vgpr_count:     31
    .vgpr_spill_count: 0
    .wavefront_size: 64
  - .agpr_count:     0
    .args:
      - .offset:         0
        .size:           40
        .value_kind:     by_value
    .group_segment_fixed_size: 0
    .kernarg_segment_align: 8
    .kernarg_segment_size: 40
    .language:       OpenCL C
    .language_version:
      - 2
      - 0
    .max_flat_workgroup_size: 256
    .name:           _ZN7rocprim17ROCPRIM_400000_NS6detail17trampoline_kernelINS0_14default_configENS1_20scan_config_selectorIdEEZZNS1_9scan_implILNS1_25lookback_scan_determinismE0ELb1ELb1ES3_N6thrust23THRUST_200600_302600_NS6detail15normal_iteratorINS9_10device_ptrIdEEEESE_dNS9_4plusIvEEdEEDaPvRmT3_T4_T5_mT6_P12ihipStream_tbENKUlT_T0_E_clISt17integral_constantIbLb0EEST_IbLb1EEEEDaSP_SQ_EUlSP_E0_NS1_11comp_targetILNS1_3genE3ELNS1_11target_archE908ELNS1_3gpuE7ELNS1_3repE0EEENS1_30default_config_static_selectorELNS0_4arch9wavefront6targetE1EEEvT1_
    .private_segment_fixed_size: 0
    .sgpr_count:     4
    .sgpr_spill_count: 0
    .symbol:         _ZN7rocprim17ROCPRIM_400000_NS6detail17trampoline_kernelINS0_14default_configENS1_20scan_config_selectorIdEEZZNS1_9scan_implILNS1_25lookback_scan_determinismE0ELb1ELb1ES3_N6thrust23THRUST_200600_302600_NS6detail15normal_iteratorINS9_10device_ptrIdEEEESE_dNS9_4plusIvEEdEEDaPvRmT3_T4_T5_mT6_P12ihipStream_tbENKUlT_T0_E_clISt17integral_constantIbLb0EEST_IbLb1EEEEDaSP_SQ_EUlSP_E0_NS1_11comp_targetILNS1_3genE3ELNS1_11target_archE908ELNS1_3gpuE7ELNS1_3repE0EEENS1_30default_config_static_selectorELNS0_4arch9wavefront6targetE1EEEvT1_.kd
    .uniform_work_group_size: 1
    .uses_dynamic_stack: false
    .vgpr_count:     0
    .vgpr_spill_count: 0
    .wavefront_size: 64
  - .agpr_count:     0
    .args:
      - .offset:         0
        .size:           40
        .value_kind:     by_value
    .group_segment_fixed_size: 0
    .kernarg_segment_align: 8
    .kernarg_segment_size: 40
    .language:       OpenCL C
    .language_version:
      - 2
      - 0
    .max_flat_workgroup_size: 128
    .name:           _ZN7rocprim17ROCPRIM_400000_NS6detail17trampoline_kernelINS0_14default_configENS1_20scan_config_selectorIdEEZZNS1_9scan_implILNS1_25lookback_scan_determinismE0ELb1ELb1ES3_N6thrust23THRUST_200600_302600_NS6detail15normal_iteratorINS9_10device_ptrIdEEEESE_dNS9_4plusIvEEdEEDaPvRmT3_T4_T5_mT6_P12ihipStream_tbENKUlT_T0_E_clISt17integral_constantIbLb0EEST_IbLb1EEEEDaSP_SQ_EUlSP_E0_NS1_11comp_targetILNS1_3genE2ELNS1_11target_archE906ELNS1_3gpuE6ELNS1_3repE0EEENS1_30default_config_static_selectorELNS0_4arch9wavefront6targetE1EEEvT1_
    .private_segment_fixed_size: 0
    .sgpr_count:     4
    .sgpr_spill_count: 0
    .symbol:         _ZN7rocprim17ROCPRIM_400000_NS6detail17trampoline_kernelINS0_14default_configENS1_20scan_config_selectorIdEEZZNS1_9scan_implILNS1_25lookback_scan_determinismE0ELb1ELb1ES3_N6thrust23THRUST_200600_302600_NS6detail15normal_iteratorINS9_10device_ptrIdEEEESE_dNS9_4plusIvEEdEEDaPvRmT3_T4_T5_mT6_P12ihipStream_tbENKUlT_T0_E_clISt17integral_constantIbLb0EEST_IbLb1EEEEDaSP_SQ_EUlSP_E0_NS1_11comp_targetILNS1_3genE2ELNS1_11target_archE906ELNS1_3gpuE6ELNS1_3repE0EEENS1_30default_config_static_selectorELNS0_4arch9wavefront6targetE1EEEvT1_.kd
    .uniform_work_group_size: 1
    .uses_dynamic_stack: false
    .vgpr_count:     0
    .vgpr_spill_count: 0
    .wavefront_size: 64
  - .agpr_count:     0
    .args:
      - .offset:         0
        .size:           40
        .value_kind:     by_value
    .group_segment_fixed_size: 0
    .kernarg_segment_align: 8
    .kernarg_segment_size: 40
    .language:       OpenCL C
    .language_version:
      - 2
      - 0
    .max_flat_workgroup_size: 256
    .name:           _ZN7rocprim17ROCPRIM_400000_NS6detail17trampoline_kernelINS0_14default_configENS1_20scan_config_selectorIdEEZZNS1_9scan_implILNS1_25lookback_scan_determinismE0ELb1ELb1ES3_N6thrust23THRUST_200600_302600_NS6detail15normal_iteratorINS9_10device_ptrIdEEEESE_dNS9_4plusIvEEdEEDaPvRmT3_T4_T5_mT6_P12ihipStream_tbENKUlT_T0_E_clISt17integral_constantIbLb0EEST_IbLb1EEEEDaSP_SQ_EUlSP_E0_NS1_11comp_targetILNS1_3genE10ELNS1_11target_archE1201ELNS1_3gpuE5ELNS1_3repE0EEENS1_30default_config_static_selectorELNS0_4arch9wavefront6targetE1EEEvT1_
    .private_segment_fixed_size: 0
    .sgpr_count:     4
    .sgpr_spill_count: 0
    .symbol:         _ZN7rocprim17ROCPRIM_400000_NS6detail17trampoline_kernelINS0_14default_configENS1_20scan_config_selectorIdEEZZNS1_9scan_implILNS1_25lookback_scan_determinismE0ELb1ELb1ES3_N6thrust23THRUST_200600_302600_NS6detail15normal_iteratorINS9_10device_ptrIdEEEESE_dNS9_4plusIvEEdEEDaPvRmT3_T4_T5_mT6_P12ihipStream_tbENKUlT_T0_E_clISt17integral_constantIbLb0EEST_IbLb1EEEEDaSP_SQ_EUlSP_E0_NS1_11comp_targetILNS1_3genE10ELNS1_11target_archE1201ELNS1_3gpuE5ELNS1_3repE0EEENS1_30default_config_static_selectorELNS0_4arch9wavefront6targetE1EEEvT1_.kd
    .uniform_work_group_size: 1
    .uses_dynamic_stack: false
    .vgpr_count:     0
    .vgpr_spill_count: 0
    .wavefront_size: 64
  - .agpr_count:     0
    .args:
      - .offset:         0
        .size:           40
        .value_kind:     by_value
    .group_segment_fixed_size: 0
    .kernarg_segment_align: 8
    .kernarg_segment_size: 40
    .language:       OpenCL C
    .language_version:
      - 2
      - 0
    .max_flat_workgroup_size: 256
    .name:           _ZN7rocprim17ROCPRIM_400000_NS6detail17trampoline_kernelINS0_14default_configENS1_20scan_config_selectorIdEEZZNS1_9scan_implILNS1_25lookback_scan_determinismE0ELb1ELb1ES3_N6thrust23THRUST_200600_302600_NS6detail15normal_iteratorINS9_10device_ptrIdEEEESE_dNS9_4plusIvEEdEEDaPvRmT3_T4_T5_mT6_P12ihipStream_tbENKUlT_T0_E_clISt17integral_constantIbLb0EEST_IbLb1EEEEDaSP_SQ_EUlSP_E0_NS1_11comp_targetILNS1_3genE10ELNS1_11target_archE1200ELNS1_3gpuE4ELNS1_3repE0EEENS1_30default_config_static_selectorELNS0_4arch9wavefront6targetE1EEEvT1_
    .private_segment_fixed_size: 0
    .sgpr_count:     4
    .sgpr_spill_count: 0
    .symbol:         _ZN7rocprim17ROCPRIM_400000_NS6detail17trampoline_kernelINS0_14default_configENS1_20scan_config_selectorIdEEZZNS1_9scan_implILNS1_25lookback_scan_determinismE0ELb1ELb1ES3_N6thrust23THRUST_200600_302600_NS6detail15normal_iteratorINS9_10device_ptrIdEEEESE_dNS9_4plusIvEEdEEDaPvRmT3_T4_T5_mT6_P12ihipStream_tbENKUlT_T0_E_clISt17integral_constantIbLb0EEST_IbLb1EEEEDaSP_SQ_EUlSP_E0_NS1_11comp_targetILNS1_3genE10ELNS1_11target_archE1200ELNS1_3gpuE4ELNS1_3repE0EEENS1_30default_config_static_selectorELNS0_4arch9wavefront6targetE1EEEvT1_.kd
    .uniform_work_group_size: 1
    .uses_dynamic_stack: false
    .vgpr_count:     0
    .vgpr_spill_count: 0
    .wavefront_size: 64
  - .agpr_count:     0
    .args:
      - .offset:         0
        .size:           40
        .value_kind:     by_value
    .group_segment_fixed_size: 0
    .kernarg_segment_align: 8
    .kernarg_segment_size: 40
    .language:       OpenCL C
    .language_version:
      - 2
      - 0
    .max_flat_workgroup_size: 256
    .name:           _ZN7rocprim17ROCPRIM_400000_NS6detail17trampoline_kernelINS0_14default_configENS1_20scan_config_selectorIdEEZZNS1_9scan_implILNS1_25lookback_scan_determinismE0ELb1ELb1ES3_N6thrust23THRUST_200600_302600_NS6detail15normal_iteratorINS9_10device_ptrIdEEEESE_dNS9_4plusIvEEdEEDaPvRmT3_T4_T5_mT6_P12ihipStream_tbENKUlT_T0_E_clISt17integral_constantIbLb0EEST_IbLb1EEEEDaSP_SQ_EUlSP_E0_NS1_11comp_targetILNS1_3genE9ELNS1_11target_archE1100ELNS1_3gpuE3ELNS1_3repE0EEENS1_30default_config_static_selectorELNS0_4arch9wavefront6targetE1EEEvT1_
    .private_segment_fixed_size: 0
    .sgpr_count:     4
    .sgpr_spill_count: 0
    .symbol:         _ZN7rocprim17ROCPRIM_400000_NS6detail17trampoline_kernelINS0_14default_configENS1_20scan_config_selectorIdEEZZNS1_9scan_implILNS1_25lookback_scan_determinismE0ELb1ELb1ES3_N6thrust23THRUST_200600_302600_NS6detail15normal_iteratorINS9_10device_ptrIdEEEESE_dNS9_4plusIvEEdEEDaPvRmT3_T4_T5_mT6_P12ihipStream_tbENKUlT_T0_E_clISt17integral_constantIbLb0EEST_IbLb1EEEEDaSP_SQ_EUlSP_E0_NS1_11comp_targetILNS1_3genE9ELNS1_11target_archE1100ELNS1_3gpuE3ELNS1_3repE0EEENS1_30default_config_static_selectorELNS0_4arch9wavefront6targetE1EEEvT1_.kd
    .uniform_work_group_size: 1
    .uses_dynamic_stack: false
    .vgpr_count:     0
    .vgpr_spill_count: 0
    .wavefront_size: 64
  - .agpr_count:     0
    .args:
      - .offset:         0
        .size:           40
        .value_kind:     by_value
    .group_segment_fixed_size: 0
    .kernarg_segment_align: 8
    .kernarg_segment_size: 40
    .language:       OpenCL C
    .language_version:
      - 2
      - 0
    .max_flat_workgroup_size: 128
    .name:           _ZN7rocprim17ROCPRIM_400000_NS6detail17trampoline_kernelINS0_14default_configENS1_20scan_config_selectorIdEEZZNS1_9scan_implILNS1_25lookback_scan_determinismE0ELb1ELb1ES3_N6thrust23THRUST_200600_302600_NS6detail15normal_iteratorINS9_10device_ptrIdEEEESE_dNS9_4plusIvEEdEEDaPvRmT3_T4_T5_mT6_P12ihipStream_tbENKUlT_T0_E_clISt17integral_constantIbLb0EEST_IbLb1EEEEDaSP_SQ_EUlSP_E0_NS1_11comp_targetILNS1_3genE8ELNS1_11target_archE1030ELNS1_3gpuE2ELNS1_3repE0EEENS1_30default_config_static_selectorELNS0_4arch9wavefront6targetE1EEEvT1_
    .private_segment_fixed_size: 0
    .sgpr_count:     4
    .sgpr_spill_count: 0
    .symbol:         _ZN7rocprim17ROCPRIM_400000_NS6detail17trampoline_kernelINS0_14default_configENS1_20scan_config_selectorIdEEZZNS1_9scan_implILNS1_25lookback_scan_determinismE0ELb1ELb1ES3_N6thrust23THRUST_200600_302600_NS6detail15normal_iteratorINS9_10device_ptrIdEEEESE_dNS9_4plusIvEEdEEDaPvRmT3_T4_T5_mT6_P12ihipStream_tbENKUlT_T0_E_clISt17integral_constantIbLb0EEST_IbLb1EEEEDaSP_SQ_EUlSP_E0_NS1_11comp_targetILNS1_3genE8ELNS1_11target_archE1030ELNS1_3gpuE2ELNS1_3repE0EEENS1_30default_config_static_selectorELNS0_4arch9wavefront6targetE1EEEvT1_.kd
    .uniform_work_group_size: 1
    .uses_dynamic_stack: false
    .vgpr_count:     0
    .vgpr_spill_count: 0
    .wavefront_size: 64
  - .agpr_count:     0
    .args:
      - .offset:         0
        .size:           96
        .value_kind:     by_value
    .group_segment_fixed_size: 0
    .kernarg_segment_align: 8
    .kernarg_segment_size: 96
    .language:       OpenCL C
    .language_version:
      - 2
      - 0
    .max_flat_workgroup_size: 256
    .name:           _ZN7rocprim17ROCPRIM_400000_NS6detail17trampoline_kernelINS0_14default_configENS1_20scan_config_selectorIfEEZZNS1_9scan_implILNS1_25lookback_scan_determinismE0ELb0ELb0ES3_N6thrust23THRUST_200600_302600_NS6detail15normal_iteratorINS9_10device_ptrIfEEEESE_fNS9_4plusIvEEfEEDaPvRmT3_T4_T5_mT6_P12ihipStream_tbENKUlT_T0_E_clISt17integral_constantIbLb0EESU_EEDaSP_SQ_EUlSP_E_NS1_11comp_targetILNS1_3genE0ELNS1_11target_archE4294967295ELNS1_3gpuE0ELNS1_3repE0EEENS1_30default_config_static_selectorELNS0_4arch9wavefront6targetE1EEEvT1_
    .private_segment_fixed_size: 0
    .sgpr_count:     4
    .sgpr_spill_count: 0
    .symbol:         _ZN7rocprim17ROCPRIM_400000_NS6detail17trampoline_kernelINS0_14default_configENS1_20scan_config_selectorIfEEZZNS1_9scan_implILNS1_25lookback_scan_determinismE0ELb0ELb0ES3_N6thrust23THRUST_200600_302600_NS6detail15normal_iteratorINS9_10device_ptrIfEEEESE_fNS9_4plusIvEEfEEDaPvRmT3_T4_T5_mT6_P12ihipStream_tbENKUlT_T0_E_clISt17integral_constantIbLb0EESU_EEDaSP_SQ_EUlSP_E_NS1_11comp_targetILNS1_3genE0ELNS1_11target_archE4294967295ELNS1_3gpuE0ELNS1_3repE0EEENS1_30default_config_static_selectorELNS0_4arch9wavefront6targetE1EEEvT1_.kd
    .uniform_work_group_size: 1
    .uses_dynamic_stack: false
    .vgpr_count:     0
    .vgpr_spill_count: 0
    .wavefront_size: 64
  - .agpr_count:     0
    .args:
      - .offset:         0
        .size:           96
        .value_kind:     by_value
    .group_segment_fixed_size: 0
    .kernarg_segment_align: 8
    .kernarg_segment_size: 96
    .language:       OpenCL C
    .language_version:
      - 2
      - 0
    .max_flat_workgroup_size: 256
    .name:           _ZN7rocprim17ROCPRIM_400000_NS6detail17trampoline_kernelINS0_14default_configENS1_20scan_config_selectorIfEEZZNS1_9scan_implILNS1_25lookback_scan_determinismE0ELb0ELb0ES3_N6thrust23THRUST_200600_302600_NS6detail15normal_iteratorINS9_10device_ptrIfEEEESE_fNS9_4plusIvEEfEEDaPvRmT3_T4_T5_mT6_P12ihipStream_tbENKUlT_T0_E_clISt17integral_constantIbLb0EESU_EEDaSP_SQ_EUlSP_E_NS1_11comp_targetILNS1_3genE5ELNS1_11target_archE942ELNS1_3gpuE9ELNS1_3repE0EEENS1_30default_config_static_selectorELNS0_4arch9wavefront6targetE1EEEvT1_
    .private_segment_fixed_size: 0
    .sgpr_count:     4
    .sgpr_spill_count: 0
    .symbol:         _ZN7rocprim17ROCPRIM_400000_NS6detail17trampoline_kernelINS0_14default_configENS1_20scan_config_selectorIfEEZZNS1_9scan_implILNS1_25lookback_scan_determinismE0ELb0ELb0ES3_N6thrust23THRUST_200600_302600_NS6detail15normal_iteratorINS9_10device_ptrIfEEEESE_fNS9_4plusIvEEfEEDaPvRmT3_T4_T5_mT6_P12ihipStream_tbENKUlT_T0_E_clISt17integral_constantIbLb0EESU_EEDaSP_SQ_EUlSP_E_NS1_11comp_targetILNS1_3genE5ELNS1_11target_archE942ELNS1_3gpuE9ELNS1_3repE0EEENS1_30default_config_static_selectorELNS0_4arch9wavefront6targetE1EEEvT1_.kd
    .uniform_work_group_size: 1
    .uses_dynamic_stack: false
    .vgpr_count:     0
    .vgpr_spill_count: 0
    .wavefront_size: 64
  - .agpr_count:     0
    .args:
      - .offset:         0
        .size:           96
        .value_kind:     by_value
    .group_segment_fixed_size: 7168
    .kernarg_segment_align: 8
    .kernarg_segment_size: 96
    .language:       OpenCL C
    .language_version:
      - 2
      - 0
    .max_flat_workgroup_size: 128
    .name:           _ZN7rocprim17ROCPRIM_400000_NS6detail17trampoline_kernelINS0_14default_configENS1_20scan_config_selectorIfEEZZNS1_9scan_implILNS1_25lookback_scan_determinismE0ELb0ELb0ES3_N6thrust23THRUST_200600_302600_NS6detail15normal_iteratorINS9_10device_ptrIfEEEESE_fNS9_4plusIvEEfEEDaPvRmT3_T4_T5_mT6_P12ihipStream_tbENKUlT_T0_E_clISt17integral_constantIbLb0EESU_EEDaSP_SQ_EUlSP_E_NS1_11comp_targetILNS1_3genE4ELNS1_11target_archE910ELNS1_3gpuE8ELNS1_3repE0EEENS1_30default_config_static_selectorELNS0_4arch9wavefront6targetE1EEEvT1_
    .private_segment_fixed_size: 0
    .sgpr_count:     34
    .sgpr_spill_count: 0
    .symbol:         _ZN7rocprim17ROCPRIM_400000_NS6detail17trampoline_kernelINS0_14default_configENS1_20scan_config_selectorIfEEZZNS1_9scan_implILNS1_25lookback_scan_determinismE0ELb0ELb0ES3_N6thrust23THRUST_200600_302600_NS6detail15normal_iteratorINS9_10device_ptrIfEEEESE_fNS9_4plusIvEEfEEDaPvRmT3_T4_T5_mT6_P12ihipStream_tbENKUlT_T0_E_clISt17integral_constantIbLb0EESU_EEDaSP_SQ_EUlSP_E_NS1_11comp_targetILNS1_3genE4ELNS1_11target_archE910ELNS1_3gpuE8ELNS1_3repE0EEENS1_30default_config_static_selectorELNS0_4arch9wavefront6targetE1EEEvT1_.kd
    .uniform_work_group_size: 1
    .uses_dynamic_stack: false
    .vgpr_count:     48
    .vgpr_spill_count: 0
    .wavefront_size: 64
  - .agpr_count:     0
    .args:
      - .offset:         0
        .size:           96
        .value_kind:     by_value
    .group_segment_fixed_size: 0
    .kernarg_segment_align: 8
    .kernarg_segment_size: 96
    .language:       OpenCL C
    .language_version:
      - 2
      - 0
    .max_flat_workgroup_size: 256
    .name:           _ZN7rocprim17ROCPRIM_400000_NS6detail17trampoline_kernelINS0_14default_configENS1_20scan_config_selectorIfEEZZNS1_9scan_implILNS1_25lookback_scan_determinismE0ELb0ELb0ES3_N6thrust23THRUST_200600_302600_NS6detail15normal_iteratorINS9_10device_ptrIfEEEESE_fNS9_4plusIvEEfEEDaPvRmT3_T4_T5_mT6_P12ihipStream_tbENKUlT_T0_E_clISt17integral_constantIbLb0EESU_EEDaSP_SQ_EUlSP_E_NS1_11comp_targetILNS1_3genE3ELNS1_11target_archE908ELNS1_3gpuE7ELNS1_3repE0EEENS1_30default_config_static_selectorELNS0_4arch9wavefront6targetE1EEEvT1_
    .private_segment_fixed_size: 0
    .sgpr_count:     4
    .sgpr_spill_count: 0
    .symbol:         _ZN7rocprim17ROCPRIM_400000_NS6detail17trampoline_kernelINS0_14default_configENS1_20scan_config_selectorIfEEZZNS1_9scan_implILNS1_25lookback_scan_determinismE0ELb0ELb0ES3_N6thrust23THRUST_200600_302600_NS6detail15normal_iteratorINS9_10device_ptrIfEEEESE_fNS9_4plusIvEEfEEDaPvRmT3_T4_T5_mT6_P12ihipStream_tbENKUlT_T0_E_clISt17integral_constantIbLb0EESU_EEDaSP_SQ_EUlSP_E_NS1_11comp_targetILNS1_3genE3ELNS1_11target_archE908ELNS1_3gpuE7ELNS1_3repE0EEENS1_30default_config_static_selectorELNS0_4arch9wavefront6targetE1EEEvT1_.kd
    .uniform_work_group_size: 1
    .uses_dynamic_stack: false
    .vgpr_count:     0
    .vgpr_spill_count: 0
    .wavefront_size: 64
  - .agpr_count:     0
    .args:
      - .offset:         0
        .size:           96
        .value_kind:     by_value
    .group_segment_fixed_size: 0
    .kernarg_segment_align: 8
    .kernarg_segment_size: 96
    .language:       OpenCL C
    .language_version:
      - 2
      - 0
    .max_flat_workgroup_size: 256
    .name:           _ZN7rocprim17ROCPRIM_400000_NS6detail17trampoline_kernelINS0_14default_configENS1_20scan_config_selectorIfEEZZNS1_9scan_implILNS1_25lookback_scan_determinismE0ELb0ELb0ES3_N6thrust23THRUST_200600_302600_NS6detail15normal_iteratorINS9_10device_ptrIfEEEESE_fNS9_4plusIvEEfEEDaPvRmT3_T4_T5_mT6_P12ihipStream_tbENKUlT_T0_E_clISt17integral_constantIbLb0EESU_EEDaSP_SQ_EUlSP_E_NS1_11comp_targetILNS1_3genE2ELNS1_11target_archE906ELNS1_3gpuE6ELNS1_3repE0EEENS1_30default_config_static_selectorELNS0_4arch9wavefront6targetE1EEEvT1_
    .private_segment_fixed_size: 0
    .sgpr_count:     4
    .sgpr_spill_count: 0
    .symbol:         _ZN7rocprim17ROCPRIM_400000_NS6detail17trampoline_kernelINS0_14default_configENS1_20scan_config_selectorIfEEZZNS1_9scan_implILNS1_25lookback_scan_determinismE0ELb0ELb0ES3_N6thrust23THRUST_200600_302600_NS6detail15normal_iteratorINS9_10device_ptrIfEEEESE_fNS9_4plusIvEEfEEDaPvRmT3_T4_T5_mT6_P12ihipStream_tbENKUlT_T0_E_clISt17integral_constantIbLb0EESU_EEDaSP_SQ_EUlSP_E_NS1_11comp_targetILNS1_3genE2ELNS1_11target_archE906ELNS1_3gpuE6ELNS1_3repE0EEENS1_30default_config_static_selectorELNS0_4arch9wavefront6targetE1EEEvT1_.kd
    .uniform_work_group_size: 1
    .uses_dynamic_stack: false
    .vgpr_count:     0
    .vgpr_spill_count: 0
    .wavefront_size: 64
  - .agpr_count:     0
    .args:
      - .offset:         0
        .size:           96
        .value_kind:     by_value
    .group_segment_fixed_size: 0
    .kernarg_segment_align: 8
    .kernarg_segment_size: 96
    .language:       OpenCL C
    .language_version:
      - 2
      - 0
    .max_flat_workgroup_size: 256
    .name:           _ZN7rocprim17ROCPRIM_400000_NS6detail17trampoline_kernelINS0_14default_configENS1_20scan_config_selectorIfEEZZNS1_9scan_implILNS1_25lookback_scan_determinismE0ELb0ELb0ES3_N6thrust23THRUST_200600_302600_NS6detail15normal_iteratorINS9_10device_ptrIfEEEESE_fNS9_4plusIvEEfEEDaPvRmT3_T4_T5_mT6_P12ihipStream_tbENKUlT_T0_E_clISt17integral_constantIbLb0EESU_EEDaSP_SQ_EUlSP_E_NS1_11comp_targetILNS1_3genE10ELNS1_11target_archE1201ELNS1_3gpuE5ELNS1_3repE0EEENS1_30default_config_static_selectorELNS0_4arch9wavefront6targetE1EEEvT1_
    .private_segment_fixed_size: 0
    .sgpr_count:     4
    .sgpr_spill_count: 0
    .symbol:         _ZN7rocprim17ROCPRIM_400000_NS6detail17trampoline_kernelINS0_14default_configENS1_20scan_config_selectorIfEEZZNS1_9scan_implILNS1_25lookback_scan_determinismE0ELb0ELb0ES3_N6thrust23THRUST_200600_302600_NS6detail15normal_iteratorINS9_10device_ptrIfEEEESE_fNS9_4plusIvEEfEEDaPvRmT3_T4_T5_mT6_P12ihipStream_tbENKUlT_T0_E_clISt17integral_constantIbLb0EESU_EEDaSP_SQ_EUlSP_E_NS1_11comp_targetILNS1_3genE10ELNS1_11target_archE1201ELNS1_3gpuE5ELNS1_3repE0EEENS1_30default_config_static_selectorELNS0_4arch9wavefront6targetE1EEEvT1_.kd
    .uniform_work_group_size: 1
    .uses_dynamic_stack: false
    .vgpr_count:     0
    .vgpr_spill_count: 0
    .wavefront_size: 64
  - .agpr_count:     0
    .args:
      - .offset:         0
        .size:           96
        .value_kind:     by_value
    .group_segment_fixed_size: 0
    .kernarg_segment_align: 8
    .kernarg_segment_size: 96
    .language:       OpenCL C
    .language_version:
      - 2
      - 0
    .max_flat_workgroup_size: 256
    .name:           _ZN7rocprim17ROCPRIM_400000_NS6detail17trampoline_kernelINS0_14default_configENS1_20scan_config_selectorIfEEZZNS1_9scan_implILNS1_25lookback_scan_determinismE0ELb0ELb0ES3_N6thrust23THRUST_200600_302600_NS6detail15normal_iteratorINS9_10device_ptrIfEEEESE_fNS9_4plusIvEEfEEDaPvRmT3_T4_T5_mT6_P12ihipStream_tbENKUlT_T0_E_clISt17integral_constantIbLb0EESU_EEDaSP_SQ_EUlSP_E_NS1_11comp_targetILNS1_3genE10ELNS1_11target_archE1200ELNS1_3gpuE4ELNS1_3repE0EEENS1_30default_config_static_selectorELNS0_4arch9wavefront6targetE1EEEvT1_
    .private_segment_fixed_size: 0
    .sgpr_count:     4
    .sgpr_spill_count: 0
    .symbol:         _ZN7rocprim17ROCPRIM_400000_NS6detail17trampoline_kernelINS0_14default_configENS1_20scan_config_selectorIfEEZZNS1_9scan_implILNS1_25lookback_scan_determinismE0ELb0ELb0ES3_N6thrust23THRUST_200600_302600_NS6detail15normal_iteratorINS9_10device_ptrIfEEEESE_fNS9_4plusIvEEfEEDaPvRmT3_T4_T5_mT6_P12ihipStream_tbENKUlT_T0_E_clISt17integral_constantIbLb0EESU_EEDaSP_SQ_EUlSP_E_NS1_11comp_targetILNS1_3genE10ELNS1_11target_archE1200ELNS1_3gpuE4ELNS1_3repE0EEENS1_30default_config_static_selectorELNS0_4arch9wavefront6targetE1EEEvT1_.kd
    .uniform_work_group_size: 1
    .uses_dynamic_stack: false
    .vgpr_count:     0
    .vgpr_spill_count: 0
    .wavefront_size: 64
  - .agpr_count:     0
    .args:
      - .offset:         0
        .size:           96
        .value_kind:     by_value
    .group_segment_fixed_size: 0
    .kernarg_segment_align: 8
    .kernarg_segment_size: 96
    .language:       OpenCL C
    .language_version:
      - 2
      - 0
    .max_flat_workgroup_size: 256
    .name:           _ZN7rocprim17ROCPRIM_400000_NS6detail17trampoline_kernelINS0_14default_configENS1_20scan_config_selectorIfEEZZNS1_9scan_implILNS1_25lookback_scan_determinismE0ELb0ELb0ES3_N6thrust23THRUST_200600_302600_NS6detail15normal_iteratorINS9_10device_ptrIfEEEESE_fNS9_4plusIvEEfEEDaPvRmT3_T4_T5_mT6_P12ihipStream_tbENKUlT_T0_E_clISt17integral_constantIbLb0EESU_EEDaSP_SQ_EUlSP_E_NS1_11comp_targetILNS1_3genE9ELNS1_11target_archE1100ELNS1_3gpuE3ELNS1_3repE0EEENS1_30default_config_static_selectorELNS0_4arch9wavefront6targetE1EEEvT1_
    .private_segment_fixed_size: 0
    .sgpr_count:     4
    .sgpr_spill_count: 0
    .symbol:         _ZN7rocprim17ROCPRIM_400000_NS6detail17trampoline_kernelINS0_14default_configENS1_20scan_config_selectorIfEEZZNS1_9scan_implILNS1_25lookback_scan_determinismE0ELb0ELb0ES3_N6thrust23THRUST_200600_302600_NS6detail15normal_iteratorINS9_10device_ptrIfEEEESE_fNS9_4plusIvEEfEEDaPvRmT3_T4_T5_mT6_P12ihipStream_tbENKUlT_T0_E_clISt17integral_constantIbLb0EESU_EEDaSP_SQ_EUlSP_E_NS1_11comp_targetILNS1_3genE9ELNS1_11target_archE1100ELNS1_3gpuE3ELNS1_3repE0EEENS1_30default_config_static_selectorELNS0_4arch9wavefront6targetE1EEEvT1_.kd
    .uniform_work_group_size: 1
    .uses_dynamic_stack: false
    .vgpr_count:     0
    .vgpr_spill_count: 0
    .wavefront_size: 64
  - .agpr_count:     0
    .args:
      - .offset:         0
        .size:           96
        .value_kind:     by_value
    .group_segment_fixed_size: 0
    .kernarg_segment_align: 8
    .kernarg_segment_size: 96
    .language:       OpenCL C
    .language_version:
      - 2
      - 0
    .max_flat_workgroup_size: 64
    .name:           _ZN7rocprim17ROCPRIM_400000_NS6detail17trampoline_kernelINS0_14default_configENS1_20scan_config_selectorIfEEZZNS1_9scan_implILNS1_25lookback_scan_determinismE0ELb0ELb0ES3_N6thrust23THRUST_200600_302600_NS6detail15normal_iteratorINS9_10device_ptrIfEEEESE_fNS9_4plusIvEEfEEDaPvRmT3_T4_T5_mT6_P12ihipStream_tbENKUlT_T0_E_clISt17integral_constantIbLb0EESU_EEDaSP_SQ_EUlSP_E_NS1_11comp_targetILNS1_3genE8ELNS1_11target_archE1030ELNS1_3gpuE2ELNS1_3repE0EEENS1_30default_config_static_selectorELNS0_4arch9wavefront6targetE1EEEvT1_
    .private_segment_fixed_size: 0
    .sgpr_count:     4
    .sgpr_spill_count: 0
    .symbol:         _ZN7rocprim17ROCPRIM_400000_NS6detail17trampoline_kernelINS0_14default_configENS1_20scan_config_selectorIfEEZZNS1_9scan_implILNS1_25lookback_scan_determinismE0ELb0ELb0ES3_N6thrust23THRUST_200600_302600_NS6detail15normal_iteratorINS9_10device_ptrIfEEEESE_fNS9_4plusIvEEfEEDaPvRmT3_T4_T5_mT6_P12ihipStream_tbENKUlT_T0_E_clISt17integral_constantIbLb0EESU_EEDaSP_SQ_EUlSP_E_NS1_11comp_targetILNS1_3genE8ELNS1_11target_archE1030ELNS1_3gpuE2ELNS1_3repE0EEENS1_30default_config_static_selectorELNS0_4arch9wavefront6targetE1EEEvT1_.kd
    .uniform_work_group_size: 1
    .uses_dynamic_stack: false
    .vgpr_count:     0
    .vgpr_spill_count: 0
    .wavefront_size: 64
  - .agpr_count:     0
    .args:
      - .offset:         0
        .size:           32
        .value_kind:     by_value
    .group_segment_fixed_size: 0
    .kernarg_segment_align: 8
    .kernarg_segment_size: 32
    .language:       OpenCL C
    .language_version:
      - 2
      - 0
    .max_flat_workgroup_size: 256
    .name:           _ZN7rocprim17ROCPRIM_400000_NS6detail17trampoline_kernelINS0_14default_configENS1_20scan_config_selectorIfEEZZNS1_9scan_implILNS1_25lookback_scan_determinismE0ELb0ELb0ES3_N6thrust23THRUST_200600_302600_NS6detail15normal_iteratorINS9_10device_ptrIfEEEESE_fNS9_4plusIvEEfEEDaPvRmT3_T4_T5_mT6_P12ihipStream_tbENKUlT_T0_E_clISt17integral_constantIbLb0EESU_EEDaSP_SQ_EUlSP_E0_NS1_11comp_targetILNS1_3genE0ELNS1_11target_archE4294967295ELNS1_3gpuE0ELNS1_3repE0EEENS1_30default_config_static_selectorELNS0_4arch9wavefront6targetE1EEEvT1_
    .private_segment_fixed_size: 0
    .sgpr_count:     4
    .sgpr_spill_count: 0
    .symbol:         _ZN7rocprim17ROCPRIM_400000_NS6detail17trampoline_kernelINS0_14default_configENS1_20scan_config_selectorIfEEZZNS1_9scan_implILNS1_25lookback_scan_determinismE0ELb0ELb0ES3_N6thrust23THRUST_200600_302600_NS6detail15normal_iteratorINS9_10device_ptrIfEEEESE_fNS9_4plusIvEEfEEDaPvRmT3_T4_T5_mT6_P12ihipStream_tbENKUlT_T0_E_clISt17integral_constantIbLb0EESU_EEDaSP_SQ_EUlSP_E0_NS1_11comp_targetILNS1_3genE0ELNS1_11target_archE4294967295ELNS1_3gpuE0ELNS1_3repE0EEENS1_30default_config_static_selectorELNS0_4arch9wavefront6targetE1EEEvT1_.kd
    .uniform_work_group_size: 1
    .uses_dynamic_stack: false
    .vgpr_count:     0
    .vgpr_spill_count: 0
    .wavefront_size: 64
  - .agpr_count:     0
    .args:
      - .offset:         0
        .size:           32
        .value_kind:     by_value
    .group_segment_fixed_size: 0
    .kernarg_segment_align: 8
    .kernarg_segment_size: 32
    .language:       OpenCL C
    .language_version:
      - 2
      - 0
    .max_flat_workgroup_size: 256
    .name:           _ZN7rocprim17ROCPRIM_400000_NS6detail17trampoline_kernelINS0_14default_configENS1_20scan_config_selectorIfEEZZNS1_9scan_implILNS1_25lookback_scan_determinismE0ELb0ELb0ES3_N6thrust23THRUST_200600_302600_NS6detail15normal_iteratorINS9_10device_ptrIfEEEESE_fNS9_4plusIvEEfEEDaPvRmT3_T4_T5_mT6_P12ihipStream_tbENKUlT_T0_E_clISt17integral_constantIbLb0EESU_EEDaSP_SQ_EUlSP_E0_NS1_11comp_targetILNS1_3genE5ELNS1_11target_archE942ELNS1_3gpuE9ELNS1_3repE0EEENS1_30default_config_static_selectorELNS0_4arch9wavefront6targetE1EEEvT1_
    .private_segment_fixed_size: 0
    .sgpr_count:     4
    .sgpr_spill_count: 0
    .symbol:         _ZN7rocprim17ROCPRIM_400000_NS6detail17trampoline_kernelINS0_14default_configENS1_20scan_config_selectorIfEEZZNS1_9scan_implILNS1_25lookback_scan_determinismE0ELb0ELb0ES3_N6thrust23THRUST_200600_302600_NS6detail15normal_iteratorINS9_10device_ptrIfEEEESE_fNS9_4plusIvEEfEEDaPvRmT3_T4_T5_mT6_P12ihipStream_tbENKUlT_T0_E_clISt17integral_constantIbLb0EESU_EEDaSP_SQ_EUlSP_E0_NS1_11comp_targetILNS1_3genE5ELNS1_11target_archE942ELNS1_3gpuE9ELNS1_3repE0EEENS1_30default_config_static_selectorELNS0_4arch9wavefront6targetE1EEEvT1_.kd
    .uniform_work_group_size: 1
    .uses_dynamic_stack: false
    .vgpr_count:     0
    .vgpr_spill_count: 0
    .wavefront_size: 64
  - .agpr_count:     0
    .args:
      - .offset:         0
        .size:           32
        .value_kind:     by_value
    .group_segment_fixed_size: 7168
    .kernarg_segment_align: 8
    .kernarg_segment_size: 32
    .language:       OpenCL C
    .language_version:
      - 2
      - 0
    .max_flat_workgroup_size: 128
    .name:           _ZN7rocprim17ROCPRIM_400000_NS6detail17trampoline_kernelINS0_14default_configENS1_20scan_config_selectorIfEEZZNS1_9scan_implILNS1_25lookback_scan_determinismE0ELb0ELb0ES3_N6thrust23THRUST_200600_302600_NS6detail15normal_iteratorINS9_10device_ptrIfEEEESE_fNS9_4plusIvEEfEEDaPvRmT3_T4_T5_mT6_P12ihipStream_tbENKUlT_T0_E_clISt17integral_constantIbLb0EESU_EEDaSP_SQ_EUlSP_E0_NS1_11comp_targetILNS1_3genE4ELNS1_11target_archE910ELNS1_3gpuE8ELNS1_3repE0EEENS1_30default_config_static_selectorELNS0_4arch9wavefront6targetE1EEEvT1_
    .private_segment_fixed_size: 0
    .sgpr_count:     42
    .sgpr_spill_count: 0
    .symbol:         _ZN7rocprim17ROCPRIM_400000_NS6detail17trampoline_kernelINS0_14default_configENS1_20scan_config_selectorIfEEZZNS1_9scan_implILNS1_25lookback_scan_determinismE0ELb0ELb0ES3_N6thrust23THRUST_200600_302600_NS6detail15normal_iteratorINS9_10device_ptrIfEEEESE_fNS9_4plusIvEEfEEDaPvRmT3_T4_T5_mT6_P12ihipStream_tbENKUlT_T0_E_clISt17integral_constantIbLb0EESU_EEDaSP_SQ_EUlSP_E0_NS1_11comp_targetILNS1_3genE4ELNS1_11target_archE910ELNS1_3gpuE8ELNS1_3repE0EEENS1_30default_config_static_selectorELNS0_4arch9wavefront6targetE1EEEvT1_.kd
    .uniform_work_group_size: 1
    .uses_dynamic_stack: false
    .vgpr_count:     37
    .vgpr_spill_count: 0
    .wavefront_size: 64
  - .agpr_count:     0
    .args:
      - .offset:         0
        .size:           32
        .value_kind:     by_value
    .group_segment_fixed_size: 0
    .kernarg_segment_align: 8
    .kernarg_segment_size: 32
    .language:       OpenCL C
    .language_version:
      - 2
      - 0
    .max_flat_workgroup_size: 256
    .name:           _ZN7rocprim17ROCPRIM_400000_NS6detail17trampoline_kernelINS0_14default_configENS1_20scan_config_selectorIfEEZZNS1_9scan_implILNS1_25lookback_scan_determinismE0ELb0ELb0ES3_N6thrust23THRUST_200600_302600_NS6detail15normal_iteratorINS9_10device_ptrIfEEEESE_fNS9_4plusIvEEfEEDaPvRmT3_T4_T5_mT6_P12ihipStream_tbENKUlT_T0_E_clISt17integral_constantIbLb0EESU_EEDaSP_SQ_EUlSP_E0_NS1_11comp_targetILNS1_3genE3ELNS1_11target_archE908ELNS1_3gpuE7ELNS1_3repE0EEENS1_30default_config_static_selectorELNS0_4arch9wavefront6targetE1EEEvT1_
    .private_segment_fixed_size: 0
    .sgpr_count:     4
    .sgpr_spill_count: 0
    .symbol:         _ZN7rocprim17ROCPRIM_400000_NS6detail17trampoline_kernelINS0_14default_configENS1_20scan_config_selectorIfEEZZNS1_9scan_implILNS1_25lookback_scan_determinismE0ELb0ELb0ES3_N6thrust23THRUST_200600_302600_NS6detail15normal_iteratorINS9_10device_ptrIfEEEESE_fNS9_4plusIvEEfEEDaPvRmT3_T4_T5_mT6_P12ihipStream_tbENKUlT_T0_E_clISt17integral_constantIbLb0EESU_EEDaSP_SQ_EUlSP_E0_NS1_11comp_targetILNS1_3genE3ELNS1_11target_archE908ELNS1_3gpuE7ELNS1_3repE0EEENS1_30default_config_static_selectorELNS0_4arch9wavefront6targetE1EEEvT1_.kd
    .uniform_work_group_size: 1
    .uses_dynamic_stack: false
    .vgpr_count:     0
    .vgpr_spill_count: 0
    .wavefront_size: 64
  - .agpr_count:     0
    .args:
      - .offset:         0
        .size:           32
        .value_kind:     by_value
    .group_segment_fixed_size: 0
    .kernarg_segment_align: 8
    .kernarg_segment_size: 32
    .language:       OpenCL C
    .language_version:
      - 2
      - 0
    .max_flat_workgroup_size: 256
    .name:           _ZN7rocprim17ROCPRIM_400000_NS6detail17trampoline_kernelINS0_14default_configENS1_20scan_config_selectorIfEEZZNS1_9scan_implILNS1_25lookback_scan_determinismE0ELb0ELb0ES3_N6thrust23THRUST_200600_302600_NS6detail15normal_iteratorINS9_10device_ptrIfEEEESE_fNS9_4plusIvEEfEEDaPvRmT3_T4_T5_mT6_P12ihipStream_tbENKUlT_T0_E_clISt17integral_constantIbLb0EESU_EEDaSP_SQ_EUlSP_E0_NS1_11comp_targetILNS1_3genE2ELNS1_11target_archE906ELNS1_3gpuE6ELNS1_3repE0EEENS1_30default_config_static_selectorELNS0_4arch9wavefront6targetE1EEEvT1_
    .private_segment_fixed_size: 0
    .sgpr_count:     4
    .sgpr_spill_count: 0
    .symbol:         _ZN7rocprim17ROCPRIM_400000_NS6detail17trampoline_kernelINS0_14default_configENS1_20scan_config_selectorIfEEZZNS1_9scan_implILNS1_25lookback_scan_determinismE0ELb0ELb0ES3_N6thrust23THRUST_200600_302600_NS6detail15normal_iteratorINS9_10device_ptrIfEEEESE_fNS9_4plusIvEEfEEDaPvRmT3_T4_T5_mT6_P12ihipStream_tbENKUlT_T0_E_clISt17integral_constantIbLb0EESU_EEDaSP_SQ_EUlSP_E0_NS1_11comp_targetILNS1_3genE2ELNS1_11target_archE906ELNS1_3gpuE6ELNS1_3repE0EEENS1_30default_config_static_selectorELNS0_4arch9wavefront6targetE1EEEvT1_.kd
    .uniform_work_group_size: 1
    .uses_dynamic_stack: false
    .vgpr_count:     0
    .vgpr_spill_count: 0
    .wavefront_size: 64
  - .agpr_count:     0
    .args:
      - .offset:         0
        .size:           32
        .value_kind:     by_value
    .group_segment_fixed_size: 0
    .kernarg_segment_align: 8
    .kernarg_segment_size: 32
    .language:       OpenCL C
    .language_version:
      - 2
      - 0
    .max_flat_workgroup_size: 256
    .name:           _ZN7rocprim17ROCPRIM_400000_NS6detail17trampoline_kernelINS0_14default_configENS1_20scan_config_selectorIfEEZZNS1_9scan_implILNS1_25lookback_scan_determinismE0ELb0ELb0ES3_N6thrust23THRUST_200600_302600_NS6detail15normal_iteratorINS9_10device_ptrIfEEEESE_fNS9_4plusIvEEfEEDaPvRmT3_T4_T5_mT6_P12ihipStream_tbENKUlT_T0_E_clISt17integral_constantIbLb0EESU_EEDaSP_SQ_EUlSP_E0_NS1_11comp_targetILNS1_3genE10ELNS1_11target_archE1201ELNS1_3gpuE5ELNS1_3repE0EEENS1_30default_config_static_selectorELNS0_4arch9wavefront6targetE1EEEvT1_
    .private_segment_fixed_size: 0
    .sgpr_count:     4
    .sgpr_spill_count: 0
    .symbol:         _ZN7rocprim17ROCPRIM_400000_NS6detail17trampoline_kernelINS0_14default_configENS1_20scan_config_selectorIfEEZZNS1_9scan_implILNS1_25lookback_scan_determinismE0ELb0ELb0ES3_N6thrust23THRUST_200600_302600_NS6detail15normal_iteratorINS9_10device_ptrIfEEEESE_fNS9_4plusIvEEfEEDaPvRmT3_T4_T5_mT6_P12ihipStream_tbENKUlT_T0_E_clISt17integral_constantIbLb0EESU_EEDaSP_SQ_EUlSP_E0_NS1_11comp_targetILNS1_3genE10ELNS1_11target_archE1201ELNS1_3gpuE5ELNS1_3repE0EEENS1_30default_config_static_selectorELNS0_4arch9wavefront6targetE1EEEvT1_.kd
    .uniform_work_group_size: 1
    .uses_dynamic_stack: false
    .vgpr_count:     0
    .vgpr_spill_count: 0
    .wavefront_size: 64
  - .agpr_count:     0
    .args:
      - .offset:         0
        .size:           32
        .value_kind:     by_value
    .group_segment_fixed_size: 0
    .kernarg_segment_align: 8
    .kernarg_segment_size: 32
    .language:       OpenCL C
    .language_version:
      - 2
      - 0
    .max_flat_workgroup_size: 256
    .name:           _ZN7rocprim17ROCPRIM_400000_NS6detail17trampoline_kernelINS0_14default_configENS1_20scan_config_selectorIfEEZZNS1_9scan_implILNS1_25lookback_scan_determinismE0ELb0ELb0ES3_N6thrust23THRUST_200600_302600_NS6detail15normal_iteratorINS9_10device_ptrIfEEEESE_fNS9_4plusIvEEfEEDaPvRmT3_T4_T5_mT6_P12ihipStream_tbENKUlT_T0_E_clISt17integral_constantIbLb0EESU_EEDaSP_SQ_EUlSP_E0_NS1_11comp_targetILNS1_3genE10ELNS1_11target_archE1200ELNS1_3gpuE4ELNS1_3repE0EEENS1_30default_config_static_selectorELNS0_4arch9wavefront6targetE1EEEvT1_
    .private_segment_fixed_size: 0
    .sgpr_count:     4
    .sgpr_spill_count: 0
    .symbol:         _ZN7rocprim17ROCPRIM_400000_NS6detail17trampoline_kernelINS0_14default_configENS1_20scan_config_selectorIfEEZZNS1_9scan_implILNS1_25lookback_scan_determinismE0ELb0ELb0ES3_N6thrust23THRUST_200600_302600_NS6detail15normal_iteratorINS9_10device_ptrIfEEEESE_fNS9_4plusIvEEfEEDaPvRmT3_T4_T5_mT6_P12ihipStream_tbENKUlT_T0_E_clISt17integral_constantIbLb0EESU_EEDaSP_SQ_EUlSP_E0_NS1_11comp_targetILNS1_3genE10ELNS1_11target_archE1200ELNS1_3gpuE4ELNS1_3repE0EEENS1_30default_config_static_selectorELNS0_4arch9wavefront6targetE1EEEvT1_.kd
    .uniform_work_group_size: 1
    .uses_dynamic_stack: false
    .vgpr_count:     0
    .vgpr_spill_count: 0
    .wavefront_size: 64
  - .agpr_count:     0
    .args:
      - .offset:         0
        .size:           32
        .value_kind:     by_value
    .group_segment_fixed_size: 0
    .kernarg_segment_align: 8
    .kernarg_segment_size: 32
    .language:       OpenCL C
    .language_version:
      - 2
      - 0
    .max_flat_workgroup_size: 256
    .name:           _ZN7rocprim17ROCPRIM_400000_NS6detail17trampoline_kernelINS0_14default_configENS1_20scan_config_selectorIfEEZZNS1_9scan_implILNS1_25lookback_scan_determinismE0ELb0ELb0ES3_N6thrust23THRUST_200600_302600_NS6detail15normal_iteratorINS9_10device_ptrIfEEEESE_fNS9_4plusIvEEfEEDaPvRmT3_T4_T5_mT6_P12ihipStream_tbENKUlT_T0_E_clISt17integral_constantIbLb0EESU_EEDaSP_SQ_EUlSP_E0_NS1_11comp_targetILNS1_3genE9ELNS1_11target_archE1100ELNS1_3gpuE3ELNS1_3repE0EEENS1_30default_config_static_selectorELNS0_4arch9wavefront6targetE1EEEvT1_
    .private_segment_fixed_size: 0
    .sgpr_count:     4
    .sgpr_spill_count: 0
    .symbol:         _ZN7rocprim17ROCPRIM_400000_NS6detail17trampoline_kernelINS0_14default_configENS1_20scan_config_selectorIfEEZZNS1_9scan_implILNS1_25lookback_scan_determinismE0ELb0ELb0ES3_N6thrust23THRUST_200600_302600_NS6detail15normal_iteratorINS9_10device_ptrIfEEEESE_fNS9_4plusIvEEfEEDaPvRmT3_T4_T5_mT6_P12ihipStream_tbENKUlT_T0_E_clISt17integral_constantIbLb0EESU_EEDaSP_SQ_EUlSP_E0_NS1_11comp_targetILNS1_3genE9ELNS1_11target_archE1100ELNS1_3gpuE3ELNS1_3repE0EEENS1_30default_config_static_selectorELNS0_4arch9wavefront6targetE1EEEvT1_.kd
    .uniform_work_group_size: 1
    .uses_dynamic_stack: false
    .vgpr_count:     0
    .vgpr_spill_count: 0
    .wavefront_size: 64
  - .agpr_count:     0
    .args:
      - .offset:         0
        .size:           32
        .value_kind:     by_value
    .group_segment_fixed_size: 0
    .kernarg_segment_align: 8
    .kernarg_segment_size: 32
    .language:       OpenCL C
    .language_version:
      - 2
      - 0
    .max_flat_workgroup_size: 64
    .name:           _ZN7rocprim17ROCPRIM_400000_NS6detail17trampoline_kernelINS0_14default_configENS1_20scan_config_selectorIfEEZZNS1_9scan_implILNS1_25lookback_scan_determinismE0ELb0ELb0ES3_N6thrust23THRUST_200600_302600_NS6detail15normal_iteratorINS9_10device_ptrIfEEEESE_fNS9_4plusIvEEfEEDaPvRmT3_T4_T5_mT6_P12ihipStream_tbENKUlT_T0_E_clISt17integral_constantIbLb0EESU_EEDaSP_SQ_EUlSP_E0_NS1_11comp_targetILNS1_3genE8ELNS1_11target_archE1030ELNS1_3gpuE2ELNS1_3repE0EEENS1_30default_config_static_selectorELNS0_4arch9wavefront6targetE1EEEvT1_
    .private_segment_fixed_size: 0
    .sgpr_count:     4
    .sgpr_spill_count: 0
    .symbol:         _ZN7rocprim17ROCPRIM_400000_NS6detail17trampoline_kernelINS0_14default_configENS1_20scan_config_selectorIfEEZZNS1_9scan_implILNS1_25lookback_scan_determinismE0ELb0ELb0ES3_N6thrust23THRUST_200600_302600_NS6detail15normal_iteratorINS9_10device_ptrIfEEEESE_fNS9_4plusIvEEfEEDaPvRmT3_T4_T5_mT6_P12ihipStream_tbENKUlT_T0_E_clISt17integral_constantIbLb0EESU_EEDaSP_SQ_EUlSP_E0_NS1_11comp_targetILNS1_3genE8ELNS1_11target_archE1030ELNS1_3gpuE2ELNS1_3repE0EEENS1_30default_config_static_selectorELNS0_4arch9wavefront6targetE1EEEvT1_.kd
    .uniform_work_group_size: 1
    .uses_dynamic_stack: false
    .vgpr_count:     0
    .vgpr_spill_count: 0
    .wavefront_size: 64
  - .agpr_count:     0
    .args:
      - .offset:         0
        .size:           96
        .value_kind:     by_value
    .group_segment_fixed_size: 0
    .kernarg_segment_align: 8
    .kernarg_segment_size: 96
    .language:       OpenCL C
    .language_version:
      - 2
      - 0
    .max_flat_workgroup_size: 256
    .name:           _ZN7rocprim17ROCPRIM_400000_NS6detail17trampoline_kernelINS0_14default_configENS1_20scan_config_selectorIfEEZZNS1_9scan_implILNS1_25lookback_scan_determinismE0ELb0ELb0ES3_N6thrust23THRUST_200600_302600_NS6detail15normal_iteratorINS9_10device_ptrIfEEEESE_fNS9_4plusIvEEfEEDaPvRmT3_T4_T5_mT6_P12ihipStream_tbENKUlT_T0_E_clISt17integral_constantIbLb1EESU_EEDaSP_SQ_EUlSP_E_NS1_11comp_targetILNS1_3genE0ELNS1_11target_archE4294967295ELNS1_3gpuE0ELNS1_3repE0EEENS1_30default_config_static_selectorELNS0_4arch9wavefront6targetE1EEEvT1_
    .private_segment_fixed_size: 0
    .sgpr_count:     4
    .sgpr_spill_count: 0
    .symbol:         _ZN7rocprim17ROCPRIM_400000_NS6detail17trampoline_kernelINS0_14default_configENS1_20scan_config_selectorIfEEZZNS1_9scan_implILNS1_25lookback_scan_determinismE0ELb0ELb0ES3_N6thrust23THRUST_200600_302600_NS6detail15normal_iteratorINS9_10device_ptrIfEEEESE_fNS9_4plusIvEEfEEDaPvRmT3_T4_T5_mT6_P12ihipStream_tbENKUlT_T0_E_clISt17integral_constantIbLb1EESU_EEDaSP_SQ_EUlSP_E_NS1_11comp_targetILNS1_3genE0ELNS1_11target_archE4294967295ELNS1_3gpuE0ELNS1_3repE0EEENS1_30default_config_static_selectorELNS0_4arch9wavefront6targetE1EEEvT1_.kd
    .uniform_work_group_size: 1
    .uses_dynamic_stack: false
    .vgpr_count:     0
    .vgpr_spill_count: 0
    .wavefront_size: 64
  - .agpr_count:     0
    .args:
      - .offset:         0
        .size:           96
        .value_kind:     by_value
    .group_segment_fixed_size: 0
    .kernarg_segment_align: 8
    .kernarg_segment_size: 96
    .language:       OpenCL C
    .language_version:
      - 2
      - 0
    .max_flat_workgroup_size: 256
    .name:           _ZN7rocprim17ROCPRIM_400000_NS6detail17trampoline_kernelINS0_14default_configENS1_20scan_config_selectorIfEEZZNS1_9scan_implILNS1_25lookback_scan_determinismE0ELb0ELb0ES3_N6thrust23THRUST_200600_302600_NS6detail15normal_iteratorINS9_10device_ptrIfEEEESE_fNS9_4plusIvEEfEEDaPvRmT3_T4_T5_mT6_P12ihipStream_tbENKUlT_T0_E_clISt17integral_constantIbLb1EESU_EEDaSP_SQ_EUlSP_E_NS1_11comp_targetILNS1_3genE5ELNS1_11target_archE942ELNS1_3gpuE9ELNS1_3repE0EEENS1_30default_config_static_selectorELNS0_4arch9wavefront6targetE1EEEvT1_
    .private_segment_fixed_size: 0
    .sgpr_count:     4
    .sgpr_spill_count: 0
    .symbol:         _ZN7rocprim17ROCPRIM_400000_NS6detail17trampoline_kernelINS0_14default_configENS1_20scan_config_selectorIfEEZZNS1_9scan_implILNS1_25lookback_scan_determinismE0ELb0ELb0ES3_N6thrust23THRUST_200600_302600_NS6detail15normal_iteratorINS9_10device_ptrIfEEEESE_fNS9_4plusIvEEfEEDaPvRmT3_T4_T5_mT6_P12ihipStream_tbENKUlT_T0_E_clISt17integral_constantIbLb1EESU_EEDaSP_SQ_EUlSP_E_NS1_11comp_targetILNS1_3genE5ELNS1_11target_archE942ELNS1_3gpuE9ELNS1_3repE0EEENS1_30default_config_static_selectorELNS0_4arch9wavefront6targetE1EEEvT1_.kd
    .uniform_work_group_size: 1
    .uses_dynamic_stack: false
    .vgpr_count:     0
    .vgpr_spill_count: 0
    .wavefront_size: 64
  - .agpr_count:     0
    .args:
      - .offset:         0
        .size:           96
        .value_kind:     by_value
    .group_segment_fixed_size: 7168
    .kernarg_segment_align: 8
    .kernarg_segment_size: 96
    .language:       OpenCL C
    .language_version:
      - 2
      - 0
    .max_flat_workgroup_size: 128
    .name:           _ZN7rocprim17ROCPRIM_400000_NS6detail17trampoline_kernelINS0_14default_configENS1_20scan_config_selectorIfEEZZNS1_9scan_implILNS1_25lookback_scan_determinismE0ELb0ELb0ES3_N6thrust23THRUST_200600_302600_NS6detail15normal_iteratorINS9_10device_ptrIfEEEESE_fNS9_4plusIvEEfEEDaPvRmT3_T4_T5_mT6_P12ihipStream_tbENKUlT_T0_E_clISt17integral_constantIbLb1EESU_EEDaSP_SQ_EUlSP_E_NS1_11comp_targetILNS1_3genE4ELNS1_11target_archE910ELNS1_3gpuE8ELNS1_3repE0EEENS1_30default_config_static_selectorELNS0_4arch9wavefront6targetE1EEEvT1_
    .private_segment_fixed_size: 0
    .sgpr_count:     42
    .sgpr_spill_count: 0
    .symbol:         _ZN7rocprim17ROCPRIM_400000_NS6detail17trampoline_kernelINS0_14default_configENS1_20scan_config_selectorIfEEZZNS1_9scan_implILNS1_25lookback_scan_determinismE0ELb0ELb0ES3_N6thrust23THRUST_200600_302600_NS6detail15normal_iteratorINS9_10device_ptrIfEEEESE_fNS9_4plusIvEEfEEDaPvRmT3_T4_T5_mT6_P12ihipStream_tbENKUlT_T0_E_clISt17integral_constantIbLb1EESU_EEDaSP_SQ_EUlSP_E_NS1_11comp_targetILNS1_3genE4ELNS1_11target_archE910ELNS1_3gpuE8ELNS1_3repE0EEENS1_30default_config_static_selectorELNS0_4arch9wavefront6targetE1EEEvT1_.kd
    .uniform_work_group_size: 1
    .uses_dynamic_stack: false
    .vgpr_count:     48
    .vgpr_spill_count: 0
    .wavefront_size: 64
  - .agpr_count:     0
    .args:
      - .offset:         0
        .size:           96
        .value_kind:     by_value
    .group_segment_fixed_size: 0
    .kernarg_segment_align: 8
    .kernarg_segment_size: 96
    .language:       OpenCL C
    .language_version:
      - 2
      - 0
    .max_flat_workgroup_size: 256
    .name:           _ZN7rocprim17ROCPRIM_400000_NS6detail17trampoline_kernelINS0_14default_configENS1_20scan_config_selectorIfEEZZNS1_9scan_implILNS1_25lookback_scan_determinismE0ELb0ELb0ES3_N6thrust23THRUST_200600_302600_NS6detail15normal_iteratorINS9_10device_ptrIfEEEESE_fNS9_4plusIvEEfEEDaPvRmT3_T4_T5_mT6_P12ihipStream_tbENKUlT_T0_E_clISt17integral_constantIbLb1EESU_EEDaSP_SQ_EUlSP_E_NS1_11comp_targetILNS1_3genE3ELNS1_11target_archE908ELNS1_3gpuE7ELNS1_3repE0EEENS1_30default_config_static_selectorELNS0_4arch9wavefront6targetE1EEEvT1_
    .private_segment_fixed_size: 0
    .sgpr_count:     4
    .sgpr_spill_count: 0
    .symbol:         _ZN7rocprim17ROCPRIM_400000_NS6detail17trampoline_kernelINS0_14default_configENS1_20scan_config_selectorIfEEZZNS1_9scan_implILNS1_25lookback_scan_determinismE0ELb0ELb0ES3_N6thrust23THRUST_200600_302600_NS6detail15normal_iteratorINS9_10device_ptrIfEEEESE_fNS9_4plusIvEEfEEDaPvRmT3_T4_T5_mT6_P12ihipStream_tbENKUlT_T0_E_clISt17integral_constantIbLb1EESU_EEDaSP_SQ_EUlSP_E_NS1_11comp_targetILNS1_3genE3ELNS1_11target_archE908ELNS1_3gpuE7ELNS1_3repE0EEENS1_30default_config_static_selectorELNS0_4arch9wavefront6targetE1EEEvT1_.kd
    .uniform_work_group_size: 1
    .uses_dynamic_stack: false
    .vgpr_count:     0
    .vgpr_spill_count: 0
    .wavefront_size: 64
  - .agpr_count:     0
    .args:
      - .offset:         0
        .size:           96
        .value_kind:     by_value
    .group_segment_fixed_size: 0
    .kernarg_segment_align: 8
    .kernarg_segment_size: 96
    .language:       OpenCL C
    .language_version:
      - 2
      - 0
    .max_flat_workgroup_size: 256
    .name:           _ZN7rocprim17ROCPRIM_400000_NS6detail17trampoline_kernelINS0_14default_configENS1_20scan_config_selectorIfEEZZNS1_9scan_implILNS1_25lookback_scan_determinismE0ELb0ELb0ES3_N6thrust23THRUST_200600_302600_NS6detail15normal_iteratorINS9_10device_ptrIfEEEESE_fNS9_4plusIvEEfEEDaPvRmT3_T4_T5_mT6_P12ihipStream_tbENKUlT_T0_E_clISt17integral_constantIbLb1EESU_EEDaSP_SQ_EUlSP_E_NS1_11comp_targetILNS1_3genE2ELNS1_11target_archE906ELNS1_3gpuE6ELNS1_3repE0EEENS1_30default_config_static_selectorELNS0_4arch9wavefront6targetE1EEEvT1_
    .private_segment_fixed_size: 0
    .sgpr_count:     4
    .sgpr_spill_count: 0
    .symbol:         _ZN7rocprim17ROCPRIM_400000_NS6detail17trampoline_kernelINS0_14default_configENS1_20scan_config_selectorIfEEZZNS1_9scan_implILNS1_25lookback_scan_determinismE0ELb0ELb0ES3_N6thrust23THRUST_200600_302600_NS6detail15normal_iteratorINS9_10device_ptrIfEEEESE_fNS9_4plusIvEEfEEDaPvRmT3_T4_T5_mT6_P12ihipStream_tbENKUlT_T0_E_clISt17integral_constantIbLb1EESU_EEDaSP_SQ_EUlSP_E_NS1_11comp_targetILNS1_3genE2ELNS1_11target_archE906ELNS1_3gpuE6ELNS1_3repE0EEENS1_30default_config_static_selectorELNS0_4arch9wavefront6targetE1EEEvT1_.kd
    .uniform_work_group_size: 1
    .uses_dynamic_stack: false
    .vgpr_count:     0
    .vgpr_spill_count: 0
    .wavefront_size: 64
  - .agpr_count:     0
    .args:
      - .offset:         0
        .size:           96
        .value_kind:     by_value
    .group_segment_fixed_size: 0
    .kernarg_segment_align: 8
    .kernarg_segment_size: 96
    .language:       OpenCL C
    .language_version:
      - 2
      - 0
    .max_flat_workgroup_size: 256
    .name:           _ZN7rocprim17ROCPRIM_400000_NS6detail17trampoline_kernelINS0_14default_configENS1_20scan_config_selectorIfEEZZNS1_9scan_implILNS1_25lookback_scan_determinismE0ELb0ELb0ES3_N6thrust23THRUST_200600_302600_NS6detail15normal_iteratorINS9_10device_ptrIfEEEESE_fNS9_4plusIvEEfEEDaPvRmT3_T4_T5_mT6_P12ihipStream_tbENKUlT_T0_E_clISt17integral_constantIbLb1EESU_EEDaSP_SQ_EUlSP_E_NS1_11comp_targetILNS1_3genE10ELNS1_11target_archE1201ELNS1_3gpuE5ELNS1_3repE0EEENS1_30default_config_static_selectorELNS0_4arch9wavefront6targetE1EEEvT1_
    .private_segment_fixed_size: 0
    .sgpr_count:     4
    .sgpr_spill_count: 0
    .symbol:         _ZN7rocprim17ROCPRIM_400000_NS6detail17trampoline_kernelINS0_14default_configENS1_20scan_config_selectorIfEEZZNS1_9scan_implILNS1_25lookback_scan_determinismE0ELb0ELb0ES3_N6thrust23THRUST_200600_302600_NS6detail15normal_iteratorINS9_10device_ptrIfEEEESE_fNS9_4plusIvEEfEEDaPvRmT3_T4_T5_mT6_P12ihipStream_tbENKUlT_T0_E_clISt17integral_constantIbLb1EESU_EEDaSP_SQ_EUlSP_E_NS1_11comp_targetILNS1_3genE10ELNS1_11target_archE1201ELNS1_3gpuE5ELNS1_3repE0EEENS1_30default_config_static_selectorELNS0_4arch9wavefront6targetE1EEEvT1_.kd
    .uniform_work_group_size: 1
    .uses_dynamic_stack: false
    .vgpr_count:     0
    .vgpr_spill_count: 0
    .wavefront_size: 64
  - .agpr_count:     0
    .args:
      - .offset:         0
        .size:           96
        .value_kind:     by_value
    .group_segment_fixed_size: 0
    .kernarg_segment_align: 8
    .kernarg_segment_size: 96
    .language:       OpenCL C
    .language_version:
      - 2
      - 0
    .max_flat_workgroup_size: 256
    .name:           _ZN7rocprim17ROCPRIM_400000_NS6detail17trampoline_kernelINS0_14default_configENS1_20scan_config_selectorIfEEZZNS1_9scan_implILNS1_25lookback_scan_determinismE0ELb0ELb0ES3_N6thrust23THRUST_200600_302600_NS6detail15normal_iteratorINS9_10device_ptrIfEEEESE_fNS9_4plusIvEEfEEDaPvRmT3_T4_T5_mT6_P12ihipStream_tbENKUlT_T0_E_clISt17integral_constantIbLb1EESU_EEDaSP_SQ_EUlSP_E_NS1_11comp_targetILNS1_3genE10ELNS1_11target_archE1200ELNS1_3gpuE4ELNS1_3repE0EEENS1_30default_config_static_selectorELNS0_4arch9wavefront6targetE1EEEvT1_
    .private_segment_fixed_size: 0
    .sgpr_count:     4
    .sgpr_spill_count: 0
    .symbol:         _ZN7rocprim17ROCPRIM_400000_NS6detail17trampoline_kernelINS0_14default_configENS1_20scan_config_selectorIfEEZZNS1_9scan_implILNS1_25lookback_scan_determinismE0ELb0ELb0ES3_N6thrust23THRUST_200600_302600_NS6detail15normal_iteratorINS9_10device_ptrIfEEEESE_fNS9_4plusIvEEfEEDaPvRmT3_T4_T5_mT6_P12ihipStream_tbENKUlT_T0_E_clISt17integral_constantIbLb1EESU_EEDaSP_SQ_EUlSP_E_NS1_11comp_targetILNS1_3genE10ELNS1_11target_archE1200ELNS1_3gpuE4ELNS1_3repE0EEENS1_30default_config_static_selectorELNS0_4arch9wavefront6targetE1EEEvT1_.kd
    .uniform_work_group_size: 1
    .uses_dynamic_stack: false
    .vgpr_count:     0
    .vgpr_spill_count: 0
    .wavefront_size: 64
  - .agpr_count:     0
    .args:
      - .offset:         0
        .size:           96
        .value_kind:     by_value
    .group_segment_fixed_size: 0
    .kernarg_segment_align: 8
    .kernarg_segment_size: 96
    .language:       OpenCL C
    .language_version:
      - 2
      - 0
    .max_flat_workgroup_size: 256
    .name:           _ZN7rocprim17ROCPRIM_400000_NS6detail17trampoline_kernelINS0_14default_configENS1_20scan_config_selectorIfEEZZNS1_9scan_implILNS1_25lookback_scan_determinismE0ELb0ELb0ES3_N6thrust23THRUST_200600_302600_NS6detail15normal_iteratorINS9_10device_ptrIfEEEESE_fNS9_4plusIvEEfEEDaPvRmT3_T4_T5_mT6_P12ihipStream_tbENKUlT_T0_E_clISt17integral_constantIbLb1EESU_EEDaSP_SQ_EUlSP_E_NS1_11comp_targetILNS1_3genE9ELNS1_11target_archE1100ELNS1_3gpuE3ELNS1_3repE0EEENS1_30default_config_static_selectorELNS0_4arch9wavefront6targetE1EEEvT1_
    .private_segment_fixed_size: 0
    .sgpr_count:     4
    .sgpr_spill_count: 0
    .symbol:         _ZN7rocprim17ROCPRIM_400000_NS6detail17trampoline_kernelINS0_14default_configENS1_20scan_config_selectorIfEEZZNS1_9scan_implILNS1_25lookback_scan_determinismE0ELb0ELb0ES3_N6thrust23THRUST_200600_302600_NS6detail15normal_iteratorINS9_10device_ptrIfEEEESE_fNS9_4plusIvEEfEEDaPvRmT3_T4_T5_mT6_P12ihipStream_tbENKUlT_T0_E_clISt17integral_constantIbLb1EESU_EEDaSP_SQ_EUlSP_E_NS1_11comp_targetILNS1_3genE9ELNS1_11target_archE1100ELNS1_3gpuE3ELNS1_3repE0EEENS1_30default_config_static_selectorELNS0_4arch9wavefront6targetE1EEEvT1_.kd
    .uniform_work_group_size: 1
    .uses_dynamic_stack: false
    .vgpr_count:     0
    .vgpr_spill_count: 0
    .wavefront_size: 64
  - .agpr_count:     0
    .args:
      - .offset:         0
        .size:           96
        .value_kind:     by_value
    .group_segment_fixed_size: 0
    .kernarg_segment_align: 8
    .kernarg_segment_size: 96
    .language:       OpenCL C
    .language_version:
      - 2
      - 0
    .max_flat_workgroup_size: 64
    .name:           _ZN7rocprim17ROCPRIM_400000_NS6detail17trampoline_kernelINS0_14default_configENS1_20scan_config_selectorIfEEZZNS1_9scan_implILNS1_25lookback_scan_determinismE0ELb0ELb0ES3_N6thrust23THRUST_200600_302600_NS6detail15normal_iteratorINS9_10device_ptrIfEEEESE_fNS9_4plusIvEEfEEDaPvRmT3_T4_T5_mT6_P12ihipStream_tbENKUlT_T0_E_clISt17integral_constantIbLb1EESU_EEDaSP_SQ_EUlSP_E_NS1_11comp_targetILNS1_3genE8ELNS1_11target_archE1030ELNS1_3gpuE2ELNS1_3repE0EEENS1_30default_config_static_selectorELNS0_4arch9wavefront6targetE1EEEvT1_
    .private_segment_fixed_size: 0
    .sgpr_count:     4
    .sgpr_spill_count: 0
    .symbol:         _ZN7rocprim17ROCPRIM_400000_NS6detail17trampoline_kernelINS0_14default_configENS1_20scan_config_selectorIfEEZZNS1_9scan_implILNS1_25lookback_scan_determinismE0ELb0ELb0ES3_N6thrust23THRUST_200600_302600_NS6detail15normal_iteratorINS9_10device_ptrIfEEEESE_fNS9_4plusIvEEfEEDaPvRmT3_T4_T5_mT6_P12ihipStream_tbENKUlT_T0_E_clISt17integral_constantIbLb1EESU_EEDaSP_SQ_EUlSP_E_NS1_11comp_targetILNS1_3genE8ELNS1_11target_archE1030ELNS1_3gpuE2ELNS1_3repE0EEENS1_30default_config_static_selectorELNS0_4arch9wavefront6targetE1EEEvT1_.kd
    .uniform_work_group_size: 1
    .uses_dynamic_stack: false
    .vgpr_count:     0
    .vgpr_spill_count: 0
    .wavefront_size: 64
  - .agpr_count:     0
    .args:
      - .offset:         0
        .size:           32
        .value_kind:     by_value
    .group_segment_fixed_size: 0
    .kernarg_segment_align: 8
    .kernarg_segment_size: 32
    .language:       OpenCL C
    .language_version:
      - 2
      - 0
    .max_flat_workgroup_size: 256
    .name:           _ZN7rocprim17ROCPRIM_400000_NS6detail17trampoline_kernelINS0_14default_configENS1_20scan_config_selectorIfEEZZNS1_9scan_implILNS1_25lookback_scan_determinismE0ELb0ELb0ES3_N6thrust23THRUST_200600_302600_NS6detail15normal_iteratorINS9_10device_ptrIfEEEESE_fNS9_4plusIvEEfEEDaPvRmT3_T4_T5_mT6_P12ihipStream_tbENKUlT_T0_E_clISt17integral_constantIbLb1EESU_EEDaSP_SQ_EUlSP_E0_NS1_11comp_targetILNS1_3genE0ELNS1_11target_archE4294967295ELNS1_3gpuE0ELNS1_3repE0EEENS1_30default_config_static_selectorELNS0_4arch9wavefront6targetE1EEEvT1_
    .private_segment_fixed_size: 0
    .sgpr_count:     4
    .sgpr_spill_count: 0
    .symbol:         _ZN7rocprim17ROCPRIM_400000_NS6detail17trampoline_kernelINS0_14default_configENS1_20scan_config_selectorIfEEZZNS1_9scan_implILNS1_25lookback_scan_determinismE0ELb0ELb0ES3_N6thrust23THRUST_200600_302600_NS6detail15normal_iteratorINS9_10device_ptrIfEEEESE_fNS9_4plusIvEEfEEDaPvRmT3_T4_T5_mT6_P12ihipStream_tbENKUlT_T0_E_clISt17integral_constantIbLb1EESU_EEDaSP_SQ_EUlSP_E0_NS1_11comp_targetILNS1_3genE0ELNS1_11target_archE4294967295ELNS1_3gpuE0ELNS1_3repE0EEENS1_30default_config_static_selectorELNS0_4arch9wavefront6targetE1EEEvT1_.kd
    .uniform_work_group_size: 1
    .uses_dynamic_stack: false
    .vgpr_count:     0
    .vgpr_spill_count: 0
    .wavefront_size: 64
  - .agpr_count:     0
    .args:
      - .offset:         0
        .size:           32
        .value_kind:     by_value
    .group_segment_fixed_size: 0
    .kernarg_segment_align: 8
    .kernarg_segment_size: 32
    .language:       OpenCL C
    .language_version:
      - 2
      - 0
    .max_flat_workgroup_size: 256
    .name:           _ZN7rocprim17ROCPRIM_400000_NS6detail17trampoline_kernelINS0_14default_configENS1_20scan_config_selectorIfEEZZNS1_9scan_implILNS1_25lookback_scan_determinismE0ELb0ELb0ES3_N6thrust23THRUST_200600_302600_NS6detail15normal_iteratorINS9_10device_ptrIfEEEESE_fNS9_4plusIvEEfEEDaPvRmT3_T4_T5_mT6_P12ihipStream_tbENKUlT_T0_E_clISt17integral_constantIbLb1EESU_EEDaSP_SQ_EUlSP_E0_NS1_11comp_targetILNS1_3genE5ELNS1_11target_archE942ELNS1_3gpuE9ELNS1_3repE0EEENS1_30default_config_static_selectorELNS0_4arch9wavefront6targetE1EEEvT1_
    .private_segment_fixed_size: 0
    .sgpr_count:     4
    .sgpr_spill_count: 0
    .symbol:         _ZN7rocprim17ROCPRIM_400000_NS6detail17trampoline_kernelINS0_14default_configENS1_20scan_config_selectorIfEEZZNS1_9scan_implILNS1_25lookback_scan_determinismE0ELb0ELb0ES3_N6thrust23THRUST_200600_302600_NS6detail15normal_iteratorINS9_10device_ptrIfEEEESE_fNS9_4plusIvEEfEEDaPvRmT3_T4_T5_mT6_P12ihipStream_tbENKUlT_T0_E_clISt17integral_constantIbLb1EESU_EEDaSP_SQ_EUlSP_E0_NS1_11comp_targetILNS1_3genE5ELNS1_11target_archE942ELNS1_3gpuE9ELNS1_3repE0EEENS1_30default_config_static_selectorELNS0_4arch9wavefront6targetE1EEEvT1_.kd
    .uniform_work_group_size: 1
    .uses_dynamic_stack: false
    .vgpr_count:     0
    .vgpr_spill_count: 0
    .wavefront_size: 64
  - .agpr_count:     0
    .args:
      - .offset:         0
        .size:           32
        .value_kind:     by_value
    .group_segment_fixed_size: 7168
    .kernarg_segment_align: 8
    .kernarg_segment_size: 32
    .language:       OpenCL C
    .language_version:
      - 2
      - 0
    .max_flat_workgroup_size: 128
    .name:           _ZN7rocprim17ROCPRIM_400000_NS6detail17trampoline_kernelINS0_14default_configENS1_20scan_config_selectorIfEEZZNS1_9scan_implILNS1_25lookback_scan_determinismE0ELb0ELb0ES3_N6thrust23THRUST_200600_302600_NS6detail15normal_iteratorINS9_10device_ptrIfEEEESE_fNS9_4plusIvEEfEEDaPvRmT3_T4_T5_mT6_P12ihipStream_tbENKUlT_T0_E_clISt17integral_constantIbLb1EESU_EEDaSP_SQ_EUlSP_E0_NS1_11comp_targetILNS1_3genE4ELNS1_11target_archE910ELNS1_3gpuE8ELNS1_3repE0EEENS1_30default_config_static_selectorELNS0_4arch9wavefront6targetE1EEEvT1_
    .private_segment_fixed_size: 0
    .sgpr_count:     42
    .sgpr_spill_count: 0
    .symbol:         _ZN7rocprim17ROCPRIM_400000_NS6detail17trampoline_kernelINS0_14default_configENS1_20scan_config_selectorIfEEZZNS1_9scan_implILNS1_25lookback_scan_determinismE0ELb0ELb0ES3_N6thrust23THRUST_200600_302600_NS6detail15normal_iteratorINS9_10device_ptrIfEEEESE_fNS9_4plusIvEEfEEDaPvRmT3_T4_T5_mT6_P12ihipStream_tbENKUlT_T0_E_clISt17integral_constantIbLb1EESU_EEDaSP_SQ_EUlSP_E0_NS1_11comp_targetILNS1_3genE4ELNS1_11target_archE910ELNS1_3gpuE8ELNS1_3repE0EEENS1_30default_config_static_selectorELNS0_4arch9wavefront6targetE1EEEvT1_.kd
    .uniform_work_group_size: 1
    .uses_dynamic_stack: false
    .vgpr_count:     37
    .vgpr_spill_count: 0
    .wavefront_size: 64
  - .agpr_count:     0
    .args:
      - .offset:         0
        .size:           32
        .value_kind:     by_value
    .group_segment_fixed_size: 0
    .kernarg_segment_align: 8
    .kernarg_segment_size: 32
    .language:       OpenCL C
    .language_version:
      - 2
      - 0
    .max_flat_workgroup_size: 256
    .name:           _ZN7rocprim17ROCPRIM_400000_NS6detail17trampoline_kernelINS0_14default_configENS1_20scan_config_selectorIfEEZZNS1_9scan_implILNS1_25lookback_scan_determinismE0ELb0ELb0ES3_N6thrust23THRUST_200600_302600_NS6detail15normal_iteratorINS9_10device_ptrIfEEEESE_fNS9_4plusIvEEfEEDaPvRmT3_T4_T5_mT6_P12ihipStream_tbENKUlT_T0_E_clISt17integral_constantIbLb1EESU_EEDaSP_SQ_EUlSP_E0_NS1_11comp_targetILNS1_3genE3ELNS1_11target_archE908ELNS1_3gpuE7ELNS1_3repE0EEENS1_30default_config_static_selectorELNS0_4arch9wavefront6targetE1EEEvT1_
    .private_segment_fixed_size: 0
    .sgpr_count:     4
    .sgpr_spill_count: 0
    .symbol:         _ZN7rocprim17ROCPRIM_400000_NS6detail17trampoline_kernelINS0_14default_configENS1_20scan_config_selectorIfEEZZNS1_9scan_implILNS1_25lookback_scan_determinismE0ELb0ELb0ES3_N6thrust23THRUST_200600_302600_NS6detail15normal_iteratorINS9_10device_ptrIfEEEESE_fNS9_4plusIvEEfEEDaPvRmT3_T4_T5_mT6_P12ihipStream_tbENKUlT_T0_E_clISt17integral_constantIbLb1EESU_EEDaSP_SQ_EUlSP_E0_NS1_11comp_targetILNS1_3genE3ELNS1_11target_archE908ELNS1_3gpuE7ELNS1_3repE0EEENS1_30default_config_static_selectorELNS0_4arch9wavefront6targetE1EEEvT1_.kd
    .uniform_work_group_size: 1
    .uses_dynamic_stack: false
    .vgpr_count:     0
    .vgpr_spill_count: 0
    .wavefront_size: 64
  - .agpr_count:     0
    .args:
      - .offset:         0
        .size:           32
        .value_kind:     by_value
    .group_segment_fixed_size: 0
    .kernarg_segment_align: 8
    .kernarg_segment_size: 32
    .language:       OpenCL C
    .language_version:
      - 2
      - 0
    .max_flat_workgroup_size: 256
    .name:           _ZN7rocprim17ROCPRIM_400000_NS6detail17trampoline_kernelINS0_14default_configENS1_20scan_config_selectorIfEEZZNS1_9scan_implILNS1_25lookback_scan_determinismE0ELb0ELb0ES3_N6thrust23THRUST_200600_302600_NS6detail15normal_iteratorINS9_10device_ptrIfEEEESE_fNS9_4plusIvEEfEEDaPvRmT3_T4_T5_mT6_P12ihipStream_tbENKUlT_T0_E_clISt17integral_constantIbLb1EESU_EEDaSP_SQ_EUlSP_E0_NS1_11comp_targetILNS1_3genE2ELNS1_11target_archE906ELNS1_3gpuE6ELNS1_3repE0EEENS1_30default_config_static_selectorELNS0_4arch9wavefront6targetE1EEEvT1_
    .private_segment_fixed_size: 0
    .sgpr_count:     4
    .sgpr_spill_count: 0
    .symbol:         _ZN7rocprim17ROCPRIM_400000_NS6detail17trampoline_kernelINS0_14default_configENS1_20scan_config_selectorIfEEZZNS1_9scan_implILNS1_25lookback_scan_determinismE0ELb0ELb0ES3_N6thrust23THRUST_200600_302600_NS6detail15normal_iteratorINS9_10device_ptrIfEEEESE_fNS9_4plusIvEEfEEDaPvRmT3_T4_T5_mT6_P12ihipStream_tbENKUlT_T0_E_clISt17integral_constantIbLb1EESU_EEDaSP_SQ_EUlSP_E0_NS1_11comp_targetILNS1_3genE2ELNS1_11target_archE906ELNS1_3gpuE6ELNS1_3repE0EEENS1_30default_config_static_selectorELNS0_4arch9wavefront6targetE1EEEvT1_.kd
    .uniform_work_group_size: 1
    .uses_dynamic_stack: false
    .vgpr_count:     0
    .vgpr_spill_count: 0
    .wavefront_size: 64
  - .agpr_count:     0
    .args:
      - .offset:         0
        .size:           32
        .value_kind:     by_value
    .group_segment_fixed_size: 0
    .kernarg_segment_align: 8
    .kernarg_segment_size: 32
    .language:       OpenCL C
    .language_version:
      - 2
      - 0
    .max_flat_workgroup_size: 256
    .name:           _ZN7rocprim17ROCPRIM_400000_NS6detail17trampoline_kernelINS0_14default_configENS1_20scan_config_selectorIfEEZZNS1_9scan_implILNS1_25lookback_scan_determinismE0ELb0ELb0ES3_N6thrust23THRUST_200600_302600_NS6detail15normal_iteratorINS9_10device_ptrIfEEEESE_fNS9_4plusIvEEfEEDaPvRmT3_T4_T5_mT6_P12ihipStream_tbENKUlT_T0_E_clISt17integral_constantIbLb1EESU_EEDaSP_SQ_EUlSP_E0_NS1_11comp_targetILNS1_3genE10ELNS1_11target_archE1201ELNS1_3gpuE5ELNS1_3repE0EEENS1_30default_config_static_selectorELNS0_4arch9wavefront6targetE1EEEvT1_
    .private_segment_fixed_size: 0
    .sgpr_count:     4
    .sgpr_spill_count: 0
    .symbol:         _ZN7rocprim17ROCPRIM_400000_NS6detail17trampoline_kernelINS0_14default_configENS1_20scan_config_selectorIfEEZZNS1_9scan_implILNS1_25lookback_scan_determinismE0ELb0ELb0ES3_N6thrust23THRUST_200600_302600_NS6detail15normal_iteratorINS9_10device_ptrIfEEEESE_fNS9_4plusIvEEfEEDaPvRmT3_T4_T5_mT6_P12ihipStream_tbENKUlT_T0_E_clISt17integral_constantIbLb1EESU_EEDaSP_SQ_EUlSP_E0_NS1_11comp_targetILNS1_3genE10ELNS1_11target_archE1201ELNS1_3gpuE5ELNS1_3repE0EEENS1_30default_config_static_selectorELNS0_4arch9wavefront6targetE1EEEvT1_.kd
    .uniform_work_group_size: 1
    .uses_dynamic_stack: false
    .vgpr_count:     0
    .vgpr_spill_count: 0
    .wavefront_size: 64
  - .agpr_count:     0
    .args:
      - .offset:         0
        .size:           32
        .value_kind:     by_value
    .group_segment_fixed_size: 0
    .kernarg_segment_align: 8
    .kernarg_segment_size: 32
    .language:       OpenCL C
    .language_version:
      - 2
      - 0
    .max_flat_workgroup_size: 256
    .name:           _ZN7rocprim17ROCPRIM_400000_NS6detail17trampoline_kernelINS0_14default_configENS1_20scan_config_selectorIfEEZZNS1_9scan_implILNS1_25lookback_scan_determinismE0ELb0ELb0ES3_N6thrust23THRUST_200600_302600_NS6detail15normal_iteratorINS9_10device_ptrIfEEEESE_fNS9_4plusIvEEfEEDaPvRmT3_T4_T5_mT6_P12ihipStream_tbENKUlT_T0_E_clISt17integral_constantIbLb1EESU_EEDaSP_SQ_EUlSP_E0_NS1_11comp_targetILNS1_3genE10ELNS1_11target_archE1200ELNS1_3gpuE4ELNS1_3repE0EEENS1_30default_config_static_selectorELNS0_4arch9wavefront6targetE1EEEvT1_
    .private_segment_fixed_size: 0
    .sgpr_count:     4
    .sgpr_spill_count: 0
    .symbol:         _ZN7rocprim17ROCPRIM_400000_NS6detail17trampoline_kernelINS0_14default_configENS1_20scan_config_selectorIfEEZZNS1_9scan_implILNS1_25lookback_scan_determinismE0ELb0ELb0ES3_N6thrust23THRUST_200600_302600_NS6detail15normal_iteratorINS9_10device_ptrIfEEEESE_fNS9_4plusIvEEfEEDaPvRmT3_T4_T5_mT6_P12ihipStream_tbENKUlT_T0_E_clISt17integral_constantIbLb1EESU_EEDaSP_SQ_EUlSP_E0_NS1_11comp_targetILNS1_3genE10ELNS1_11target_archE1200ELNS1_3gpuE4ELNS1_3repE0EEENS1_30default_config_static_selectorELNS0_4arch9wavefront6targetE1EEEvT1_.kd
    .uniform_work_group_size: 1
    .uses_dynamic_stack: false
    .vgpr_count:     0
    .vgpr_spill_count: 0
    .wavefront_size: 64
  - .agpr_count:     0
    .args:
      - .offset:         0
        .size:           32
        .value_kind:     by_value
    .group_segment_fixed_size: 0
    .kernarg_segment_align: 8
    .kernarg_segment_size: 32
    .language:       OpenCL C
    .language_version:
      - 2
      - 0
    .max_flat_workgroup_size: 256
    .name:           _ZN7rocprim17ROCPRIM_400000_NS6detail17trampoline_kernelINS0_14default_configENS1_20scan_config_selectorIfEEZZNS1_9scan_implILNS1_25lookback_scan_determinismE0ELb0ELb0ES3_N6thrust23THRUST_200600_302600_NS6detail15normal_iteratorINS9_10device_ptrIfEEEESE_fNS9_4plusIvEEfEEDaPvRmT3_T4_T5_mT6_P12ihipStream_tbENKUlT_T0_E_clISt17integral_constantIbLb1EESU_EEDaSP_SQ_EUlSP_E0_NS1_11comp_targetILNS1_3genE9ELNS1_11target_archE1100ELNS1_3gpuE3ELNS1_3repE0EEENS1_30default_config_static_selectorELNS0_4arch9wavefront6targetE1EEEvT1_
    .private_segment_fixed_size: 0
    .sgpr_count:     4
    .sgpr_spill_count: 0
    .symbol:         _ZN7rocprim17ROCPRIM_400000_NS6detail17trampoline_kernelINS0_14default_configENS1_20scan_config_selectorIfEEZZNS1_9scan_implILNS1_25lookback_scan_determinismE0ELb0ELb0ES3_N6thrust23THRUST_200600_302600_NS6detail15normal_iteratorINS9_10device_ptrIfEEEESE_fNS9_4plusIvEEfEEDaPvRmT3_T4_T5_mT6_P12ihipStream_tbENKUlT_T0_E_clISt17integral_constantIbLb1EESU_EEDaSP_SQ_EUlSP_E0_NS1_11comp_targetILNS1_3genE9ELNS1_11target_archE1100ELNS1_3gpuE3ELNS1_3repE0EEENS1_30default_config_static_selectorELNS0_4arch9wavefront6targetE1EEEvT1_.kd
    .uniform_work_group_size: 1
    .uses_dynamic_stack: false
    .vgpr_count:     0
    .vgpr_spill_count: 0
    .wavefront_size: 64
  - .agpr_count:     0
    .args:
      - .offset:         0
        .size:           32
        .value_kind:     by_value
    .group_segment_fixed_size: 0
    .kernarg_segment_align: 8
    .kernarg_segment_size: 32
    .language:       OpenCL C
    .language_version:
      - 2
      - 0
    .max_flat_workgroup_size: 64
    .name:           _ZN7rocprim17ROCPRIM_400000_NS6detail17trampoline_kernelINS0_14default_configENS1_20scan_config_selectorIfEEZZNS1_9scan_implILNS1_25lookback_scan_determinismE0ELb0ELb0ES3_N6thrust23THRUST_200600_302600_NS6detail15normal_iteratorINS9_10device_ptrIfEEEESE_fNS9_4plusIvEEfEEDaPvRmT3_T4_T5_mT6_P12ihipStream_tbENKUlT_T0_E_clISt17integral_constantIbLb1EESU_EEDaSP_SQ_EUlSP_E0_NS1_11comp_targetILNS1_3genE8ELNS1_11target_archE1030ELNS1_3gpuE2ELNS1_3repE0EEENS1_30default_config_static_selectorELNS0_4arch9wavefront6targetE1EEEvT1_
    .private_segment_fixed_size: 0
    .sgpr_count:     4
    .sgpr_spill_count: 0
    .symbol:         _ZN7rocprim17ROCPRIM_400000_NS6detail17trampoline_kernelINS0_14default_configENS1_20scan_config_selectorIfEEZZNS1_9scan_implILNS1_25lookback_scan_determinismE0ELb0ELb0ES3_N6thrust23THRUST_200600_302600_NS6detail15normal_iteratorINS9_10device_ptrIfEEEESE_fNS9_4plusIvEEfEEDaPvRmT3_T4_T5_mT6_P12ihipStream_tbENKUlT_T0_E_clISt17integral_constantIbLb1EESU_EEDaSP_SQ_EUlSP_E0_NS1_11comp_targetILNS1_3genE8ELNS1_11target_archE1030ELNS1_3gpuE2ELNS1_3repE0EEENS1_30default_config_static_selectorELNS0_4arch9wavefront6targetE1EEEvT1_.kd
    .uniform_work_group_size: 1
    .uses_dynamic_stack: false
    .vgpr_count:     0
    .vgpr_spill_count: 0
    .wavefront_size: 64
  - .agpr_count:     0
    .args:
      - .offset:         0
        .size:           96
        .value_kind:     by_value
    .group_segment_fixed_size: 0
    .kernarg_segment_align: 8
    .kernarg_segment_size: 96
    .language:       OpenCL C
    .language_version:
      - 2
      - 0
    .max_flat_workgroup_size: 256
    .name:           _ZN7rocprim17ROCPRIM_400000_NS6detail17trampoline_kernelINS0_14default_configENS1_20scan_config_selectorIfEEZZNS1_9scan_implILNS1_25lookback_scan_determinismE0ELb0ELb0ES3_N6thrust23THRUST_200600_302600_NS6detail15normal_iteratorINS9_10device_ptrIfEEEESE_fNS9_4plusIvEEfEEDaPvRmT3_T4_T5_mT6_P12ihipStream_tbENKUlT_T0_E_clISt17integral_constantIbLb1EEST_IbLb0EEEEDaSP_SQ_EUlSP_E_NS1_11comp_targetILNS1_3genE0ELNS1_11target_archE4294967295ELNS1_3gpuE0ELNS1_3repE0EEENS1_30default_config_static_selectorELNS0_4arch9wavefront6targetE1EEEvT1_
    .private_segment_fixed_size: 0
    .sgpr_count:     4
    .sgpr_spill_count: 0
    .symbol:         _ZN7rocprim17ROCPRIM_400000_NS6detail17trampoline_kernelINS0_14default_configENS1_20scan_config_selectorIfEEZZNS1_9scan_implILNS1_25lookback_scan_determinismE0ELb0ELb0ES3_N6thrust23THRUST_200600_302600_NS6detail15normal_iteratorINS9_10device_ptrIfEEEESE_fNS9_4plusIvEEfEEDaPvRmT3_T4_T5_mT6_P12ihipStream_tbENKUlT_T0_E_clISt17integral_constantIbLb1EEST_IbLb0EEEEDaSP_SQ_EUlSP_E_NS1_11comp_targetILNS1_3genE0ELNS1_11target_archE4294967295ELNS1_3gpuE0ELNS1_3repE0EEENS1_30default_config_static_selectorELNS0_4arch9wavefront6targetE1EEEvT1_.kd
    .uniform_work_group_size: 1
    .uses_dynamic_stack: false
    .vgpr_count:     0
    .vgpr_spill_count: 0
    .wavefront_size: 64
  - .agpr_count:     0
    .args:
      - .offset:         0
        .size:           96
        .value_kind:     by_value
    .group_segment_fixed_size: 0
    .kernarg_segment_align: 8
    .kernarg_segment_size: 96
    .language:       OpenCL C
    .language_version:
      - 2
      - 0
    .max_flat_workgroup_size: 256
    .name:           _ZN7rocprim17ROCPRIM_400000_NS6detail17trampoline_kernelINS0_14default_configENS1_20scan_config_selectorIfEEZZNS1_9scan_implILNS1_25lookback_scan_determinismE0ELb0ELb0ES3_N6thrust23THRUST_200600_302600_NS6detail15normal_iteratorINS9_10device_ptrIfEEEESE_fNS9_4plusIvEEfEEDaPvRmT3_T4_T5_mT6_P12ihipStream_tbENKUlT_T0_E_clISt17integral_constantIbLb1EEST_IbLb0EEEEDaSP_SQ_EUlSP_E_NS1_11comp_targetILNS1_3genE5ELNS1_11target_archE942ELNS1_3gpuE9ELNS1_3repE0EEENS1_30default_config_static_selectorELNS0_4arch9wavefront6targetE1EEEvT1_
    .private_segment_fixed_size: 0
    .sgpr_count:     4
    .sgpr_spill_count: 0
    .symbol:         _ZN7rocprim17ROCPRIM_400000_NS6detail17trampoline_kernelINS0_14default_configENS1_20scan_config_selectorIfEEZZNS1_9scan_implILNS1_25lookback_scan_determinismE0ELb0ELb0ES3_N6thrust23THRUST_200600_302600_NS6detail15normal_iteratorINS9_10device_ptrIfEEEESE_fNS9_4plusIvEEfEEDaPvRmT3_T4_T5_mT6_P12ihipStream_tbENKUlT_T0_E_clISt17integral_constantIbLb1EEST_IbLb0EEEEDaSP_SQ_EUlSP_E_NS1_11comp_targetILNS1_3genE5ELNS1_11target_archE942ELNS1_3gpuE9ELNS1_3repE0EEENS1_30default_config_static_selectorELNS0_4arch9wavefront6targetE1EEEvT1_.kd
    .uniform_work_group_size: 1
    .uses_dynamic_stack: false
    .vgpr_count:     0
    .vgpr_spill_count: 0
    .wavefront_size: 64
  - .agpr_count:     0
    .args:
      - .offset:         0
        .size:           96
        .value_kind:     by_value
    .group_segment_fixed_size: 7168
    .kernarg_segment_align: 8
    .kernarg_segment_size: 96
    .language:       OpenCL C
    .language_version:
      - 2
      - 0
    .max_flat_workgroup_size: 128
    .name:           _ZN7rocprim17ROCPRIM_400000_NS6detail17trampoline_kernelINS0_14default_configENS1_20scan_config_selectorIfEEZZNS1_9scan_implILNS1_25lookback_scan_determinismE0ELb0ELb0ES3_N6thrust23THRUST_200600_302600_NS6detail15normal_iteratorINS9_10device_ptrIfEEEESE_fNS9_4plusIvEEfEEDaPvRmT3_T4_T5_mT6_P12ihipStream_tbENKUlT_T0_E_clISt17integral_constantIbLb1EEST_IbLb0EEEEDaSP_SQ_EUlSP_E_NS1_11comp_targetILNS1_3genE4ELNS1_11target_archE910ELNS1_3gpuE8ELNS1_3repE0EEENS1_30default_config_static_selectorELNS0_4arch9wavefront6targetE1EEEvT1_
    .private_segment_fixed_size: 0
    .sgpr_count:     34
    .sgpr_spill_count: 0
    .symbol:         _ZN7rocprim17ROCPRIM_400000_NS6detail17trampoline_kernelINS0_14default_configENS1_20scan_config_selectorIfEEZZNS1_9scan_implILNS1_25lookback_scan_determinismE0ELb0ELb0ES3_N6thrust23THRUST_200600_302600_NS6detail15normal_iteratorINS9_10device_ptrIfEEEESE_fNS9_4plusIvEEfEEDaPvRmT3_T4_T5_mT6_P12ihipStream_tbENKUlT_T0_E_clISt17integral_constantIbLb1EEST_IbLb0EEEEDaSP_SQ_EUlSP_E_NS1_11comp_targetILNS1_3genE4ELNS1_11target_archE910ELNS1_3gpuE8ELNS1_3repE0EEENS1_30default_config_static_selectorELNS0_4arch9wavefront6targetE1EEEvT1_.kd
    .uniform_work_group_size: 1
    .uses_dynamic_stack: false
    .vgpr_count:     48
    .vgpr_spill_count: 0
    .wavefront_size: 64
  - .agpr_count:     0
    .args:
      - .offset:         0
        .size:           96
        .value_kind:     by_value
    .group_segment_fixed_size: 0
    .kernarg_segment_align: 8
    .kernarg_segment_size: 96
    .language:       OpenCL C
    .language_version:
      - 2
      - 0
    .max_flat_workgroup_size: 256
    .name:           _ZN7rocprim17ROCPRIM_400000_NS6detail17trampoline_kernelINS0_14default_configENS1_20scan_config_selectorIfEEZZNS1_9scan_implILNS1_25lookback_scan_determinismE0ELb0ELb0ES3_N6thrust23THRUST_200600_302600_NS6detail15normal_iteratorINS9_10device_ptrIfEEEESE_fNS9_4plusIvEEfEEDaPvRmT3_T4_T5_mT6_P12ihipStream_tbENKUlT_T0_E_clISt17integral_constantIbLb1EEST_IbLb0EEEEDaSP_SQ_EUlSP_E_NS1_11comp_targetILNS1_3genE3ELNS1_11target_archE908ELNS1_3gpuE7ELNS1_3repE0EEENS1_30default_config_static_selectorELNS0_4arch9wavefront6targetE1EEEvT1_
    .private_segment_fixed_size: 0
    .sgpr_count:     4
    .sgpr_spill_count: 0
    .symbol:         _ZN7rocprim17ROCPRIM_400000_NS6detail17trampoline_kernelINS0_14default_configENS1_20scan_config_selectorIfEEZZNS1_9scan_implILNS1_25lookback_scan_determinismE0ELb0ELb0ES3_N6thrust23THRUST_200600_302600_NS6detail15normal_iteratorINS9_10device_ptrIfEEEESE_fNS9_4plusIvEEfEEDaPvRmT3_T4_T5_mT6_P12ihipStream_tbENKUlT_T0_E_clISt17integral_constantIbLb1EEST_IbLb0EEEEDaSP_SQ_EUlSP_E_NS1_11comp_targetILNS1_3genE3ELNS1_11target_archE908ELNS1_3gpuE7ELNS1_3repE0EEENS1_30default_config_static_selectorELNS0_4arch9wavefront6targetE1EEEvT1_.kd
    .uniform_work_group_size: 1
    .uses_dynamic_stack: false
    .vgpr_count:     0
    .vgpr_spill_count: 0
    .wavefront_size: 64
  - .agpr_count:     0
    .args:
      - .offset:         0
        .size:           96
        .value_kind:     by_value
    .group_segment_fixed_size: 0
    .kernarg_segment_align: 8
    .kernarg_segment_size: 96
    .language:       OpenCL C
    .language_version:
      - 2
      - 0
    .max_flat_workgroup_size: 256
    .name:           _ZN7rocprim17ROCPRIM_400000_NS6detail17trampoline_kernelINS0_14default_configENS1_20scan_config_selectorIfEEZZNS1_9scan_implILNS1_25lookback_scan_determinismE0ELb0ELb0ES3_N6thrust23THRUST_200600_302600_NS6detail15normal_iteratorINS9_10device_ptrIfEEEESE_fNS9_4plusIvEEfEEDaPvRmT3_T4_T5_mT6_P12ihipStream_tbENKUlT_T0_E_clISt17integral_constantIbLb1EEST_IbLb0EEEEDaSP_SQ_EUlSP_E_NS1_11comp_targetILNS1_3genE2ELNS1_11target_archE906ELNS1_3gpuE6ELNS1_3repE0EEENS1_30default_config_static_selectorELNS0_4arch9wavefront6targetE1EEEvT1_
    .private_segment_fixed_size: 0
    .sgpr_count:     4
    .sgpr_spill_count: 0
    .symbol:         _ZN7rocprim17ROCPRIM_400000_NS6detail17trampoline_kernelINS0_14default_configENS1_20scan_config_selectorIfEEZZNS1_9scan_implILNS1_25lookback_scan_determinismE0ELb0ELb0ES3_N6thrust23THRUST_200600_302600_NS6detail15normal_iteratorINS9_10device_ptrIfEEEESE_fNS9_4plusIvEEfEEDaPvRmT3_T4_T5_mT6_P12ihipStream_tbENKUlT_T0_E_clISt17integral_constantIbLb1EEST_IbLb0EEEEDaSP_SQ_EUlSP_E_NS1_11comp_targetILNS1_3genE2ELNS1_11target_archE906ELNS1_3gpuE6ELNS1_3repE0EEENS1_30default_config_static_selectorELNS0_4arch9wavefront6targetE1EEEvT1_.kd
    .uniform_work_group_size: 1
    .uses_dynamic_stack: false
    .vgpr_count:     0
    .vgpr_spill_count: 0
    .wavefront_size: 64
  - .agpr_count:     0
    .args:
      - .offset:         0
        .size:           96
        .value_kind:     by_value
    .group_segment_fixed_size: 0
    .kernarg_segment_align: 8
    .kernarg_segment_size: 96
    .language:       OpenCL C
    .language_version:
      - 2
      - 0
    .max_flat_workgroup_size: 256
    .name:           _ZN7rocprim17ROCPRIM_400000_NS6detail17trampoline_kernelINS0_14default_configENS1_20scan_config_selectorIfEEZZNS1_9scan_implILNS1_25lookback_scan_determinismE0ELb0ELb0ES3_N6thrust23THRUST_200600_302600_NS6detail15normal_iteratorINS9_10device_ptrIfEEEESE_fNS9_4plusIvEEfEEDaPvRmT3_T4_T5_mT6_P12ihipStream_tbENKUlT_T0_E_clISt17integral_constantIbLb1EEST_IbLb0EEEEDaSP_SQ_EUlSP_E_NS1_11comp_targetILNS1_3genE10ELNS1_11target_archE1201ELNS1_3gpuE5ELNS1_3repE0EEENS1_30default_config_static_selectorELNS0_4arch9wavefront6targetE1EEEvT1_
    .private_segment_fixed_size: 0
    .sgpr_count:     4
    .sgpr_spill_count: 0
    .symbol:         _ZN7rocprim17ROCPRIM_400000_NS6detail17trampoline_kernelINS0_14default_configENS1_20scan_config_selectorIfEEZZNS1_9scan_implILNS1_25lookback_scan_determinismE0ELb0ELb0ES3_N6thrust23THRUST_200600_302600_NS6detail15normal_iteratorINS9_10device_ptrIfEEEESE_fNS9_4plusIvEEfEEDaPvRmT3_T4_T5_mT6_P12ihipStream_tbENKUlT_T0_E_clISt17integral_constantIbLb1EEST_IbLb0EEEEDaSP_SQ_EUlSP_E_NS1_11comp_targetILNS1_3genE10ELNS1_11target_archE1201ELNS1_3gpuE5ELNS1_3repE0EEENS1_30default_config_static_selectorELNS0_4arch9wavefront6targetE1EEEvT1_.kd
    .uniform_work_group_size: 1
    .uses_dynamic_stack: false
    .vgpr_count:     0
    .vgpr_spill_count: 0
    .wavefront_size: 64
  - .agpr_count:     0
    .args:
      - .offset:         0
        .size:           96
        .value_kind:     by_value
    .group_segment_fixed_size: 0
    .kernarg_segment_align: 8
    .kernarg_segment_size: 96
    .language:       OpenCL C
    .language_version:
      - 2
      - 0
    .max_flat_workgroup_size: 256
    .name:           _ZN7rocprim17ROCPRIM_400000_NS6detail17trampoline_kernelINS0_14default_configENS1_20scan_config_selectorIfEEZZNS1_9scan_implILNS1_25lookback_scan_determinismE0ELb0ELb0ES3_N6thrust23THRUST_200600_302600_NS6detail15normal_iteratorINS9_10device_ptrIfEEEESE_fNS9_4plusIvEEfEEDaPvRmT3_T4_T5_mT6_P12ihipStream_tbENKUlT_T0_E_clISt17integral_constantIbLb1EEST_IbLb0EEEEDaSP_SQ_EUlSP_E_NS1_11comp_targetILNS1_3genE10ELNS1_11target_archE1200ELNS1_3gpuE4ELNS1_3repE0EEENS1_30default_config_static_selectorELNS0_4arch9wavefront6targetE1EEEvT1_
    .private_segment_fixed_size: 0
    .sgpr_count:     4
    .sgpr_spill_count: 0
    .symbol:         _ZN7rocprim17ROCPRIM_400000_NS6detail17trampoline_kernelINS0_14default_configENS1_20scan_config_selectorIfEEZZNS1_9scan_implILNS1_25lookback_scan_determinismE0ELb0ELb0ES3_N6thrust23THRUST_200600_302600_NS6detail15normal_iteratorINS9_10device_ptrIfEEEESE_fNS9_4plusIvEEfEEDaPvRmT3_T4_T5_mT6_P12ihipStream_tbENKUlT_T0_E_clISt17integral_constantIbLb1EEST_IbLb0EEEEDaSP_SQ_EUlSP_E_NS1_11comp_targetILNS1_3genE10ELNS1_11target_archE1200ELNS1_3gpuE4ELNS1_3repE0EEENS1_30default_config_static_selectorELNS0_4arch9wavefront6targetE1EEEvT1_.kd
    .uniform_work_group_size: 1
    .uses_dynamic_stack: false
    .vgpr_count:     0
    .vgpr_spill_count: 0
    .wavefront_size: 64
  - .agpr_count:     0
    .args:
      - .offset:         0
        .size:           96
        .value_kind:     by_value
    .group_segment_fixed_size: 0
    .kernarg_segment_align: 8
    .kernarg_segment_size: 96
    .language:       OpenCL C
    .language_version:
      - 2
      - 0
    .max_flat_workgroup_size: 256
    .name:           _ZN7rocprim17ROCPRIM_400000_NS6detail17trampoline_kernelINS0_14default_configENS1_20scan_config_selectorIfEEZZNS1_9scan_implILNS1_25lookback_scan_determinismE0ELb0ELb0ES3_N6thrust23THRUST_200600_302600_NS6detail15normal_iteratorINS9_10device_ptrIfEEEESE_fNS9_4plusIvEEfEEDaPvRmT3_T4_T5_mT6_P12ihipStream_tbENKUlT_T0_E_clISt17integral_constantIbLb1EEST_IbLb0EEEEDaSP_SQ_EUlSP_E_NS1_11comp_targetILNS1_3genE9ELNS1_11target_archE1100ELNS1_3gpuE3ELNS1_3repE0EEENS1_30default_config_static_selectorELNS0_4arch9wavefront6targetE1EEEvT1_
    .private_segment_fixed_size: 0
    .sgpr_count:     4
    .sgpr_spill_count: 0
    .symbol:         _ZN7rocprim17ROCPRIM_400000_NS6detail17trampoline_kernelINS0_14default_configENS1_20scan_config_selectorIfEEZZNS1_9scan_implILNS1_25lookback_scan_determinismE0ELb0ELb0ES3_N6thrust23THRUST_200600_302600_NS6detail15normal_iteratorINS9_10device_ptrIfEEEESE_fNS9_4plusIvEEfEEDaPvRmT3_T4_T5_mT6_P12ihipStream_tbENKUlT_T0_E_clISt17integral_constantIbLb1EEST_IbLb0EEEEDaSP_SQ_EUlSP_E_NS1_11comp_targetILNS1_3genE9ELNS1_11target_archE1100ELNS1_3gpuE3ELNS1_3repE0EEENS1_30default_config_static_selectorELNS0_4arch9wavefront6targetE1EEEvT1_.kd
    .uniform_work_group_size: 1
    .uses_dynamic_stack: false
    .vgpr_count:     0
    .vgpr_spill_count: 0
    .wavefront_size: 64
  - .agpr_count:     0
    .args:
      - .offset:         0
        .size:           96
        .value_kind:     by_value
    .group_segment_fixed_size: 0
    .kernarg_segment_align: 8
    .kernarg_segment_size: 96
    .language:       OpenCL C
    .language_version:
      - 2
      - 0
    .max_flat_workgroup_size: 64
    .name:           _ZN7rocprim17ROCPRIM_400000_NS6detail17trampoline_kernelINS0_14default_configENS1_20scan_config_selectorIfEEZZNS1_9scan_implILNS1_25lookback_scan_determinismE0ELb0ELb0ES3_N6thrust23THRUST_200600_302600_NS6detail15normal_iteratorINS9_10device_ptrIfEEEESE_fNS9_4plusIvEEfEEDaPvRmT3_T4_T5_mT6_P12ihipStream_tbENKUlT_T0_E_clISt17integral_constantIbLb1EEST_IbLb0EEEEDaSP_SQ_EUlSP_E_NS1_11comp_targetILNS1_3genE8ELNS1_11target_archE1030ELNS1_3gpuE2ELNS1_3repE0EEENS1_30default_config_static_selectorELNS0_4arch9wavefront6targetE1EEEvT1_
    .private_segment_fixed_size: 0
    .sgpr_count:     4
    .sgpr_spill_count: 0
    .symbol:         _ZN7rocprim17ROCPRIM_400000_NS6detail17trampoline_kernelINS0_14default_configENS1_20scan_config_selectorIfEEZZNS1_9scan_implILNS1_25lookback_scan_determinismE0ELb0ELb0ES3_N6thrust23THRUST_200600_302600_NS6detail15normal_iteratorINS9_10device_ptrIfEEEESE_fNS9_4plusIvEEfEEDaPvRmT3_T4_T5_mT6_P12ihipStream_tbENKUlT_T0_E_clISt17integral_constantIbLb1EEST_IbLb0EEEEDaSP_SQ_EUlSP_E_NS1_11comp_targetILNS1_3genE8ELNS1_11target_archE1030ELNS1_3gpuE2ELNS1_3repE0EEENS1_30default_config_static_selectorELNS0_4arch9wavefront6targetE1EEEvT1_.kd
    .uniform_work_group_size: 1
    .uses_dynamic_stack: false
    .vgpr_count:     0
    .vgpr_spill_count: 0
    .wavefront_size: 64
  - .agpr_count:     0
    .args:
      - .offset:         0
        .size:           32
        .value_kind:     by_value
    .group_segment_fixed_size: 0
    .kernarg_segment_align: 8
    .kernarg_segment_size: 32
    .language:       OpenCL C
    .language_version:
      - 2
      - 0
    .max_flat_workgroup_size: 256
    .name:           _ZN7rocprim17ROCPRIM_400000_NS6detail17trampoline_kernelINS0_14default_configENS1_20scan_config_selectorIfEEZZNS1_9scan_implILNS1_25lookback_scan_determinismE0ELb0ELb0ES3_N6thrust23THRUST_200600_302600_NS6detail15normal_iteratorINS9_10device_ptrIfEEEESE_fNS9_4plusIvEEfEEDaPvRmT3_T4_T5_mT6_P12ihipStream_tbENKUlT_T0_E_clISt17integral_constantIbLb1EEST_IbLb0EEEEDaSP_SQ_EUlSP_E0_NS1_11comp_targetILNS1_3genE0ELNS1_11target_archE4294967295ELNS1_3gpuE0ELNS1_3repE0EEENS1_30default_config_static_selectorELNS0_4arch9wavefront6targetE1EEEvT1_
    .private_segment_fixed_size: 0
    .sgpr_count:     4
    .sgpr_spill_count: 0
    .symbol:         _ZN7rocprim17ROCPRIM_400000_NS6detail17trampoline_kernelINS0_14default_configENS1_20scan_config_selectorIfEEZZNS1_9scan_implILNS1_25lookback_scan_determinismE0ELb0ELb0ES3_N6thrust23THRUST_200600_302600_NS6detail15normal_iteratorINS9_10device_ptrIfEEEESE_fNS9_4plusIvEEfEEDaPvRmT3_T4_T5_mT6_P12ihipStream_tbENKUlT_T0_E_clISt17integral_constantIbLb1EEST_IbLb0EEEEDaSP_SQ_EUlSP_E0_NS1_11comp_targetILNS1_3genE0ELNS1_11target_archE4294967295ELNS1_3gpuE0ELNS1_3repE0EEENS1_30default_config_static_selectorELNS0_4arch9wavefront6targetE1EEEvT1_.kd
    .uniform_work_group_size: 1
    .uses_dynamic_stack: false
    .vgpr_count:     0
    .vgpr_spill_count: 0
    .wavefront_size: 64
  - .agpr_count:     0
    .args:
      - .offset:         0
        .size:           32
        .value_kind:     by_value
    .group_segment_fixed_size: 0
    .kernarg_segment_align: 8
    .kernarg_segment_size: 32
    .language:       OpenCL C
    .language_version:
      - 2
      - 0
    .max_flat_workgroup_size: 256
    .name:           _ZN7rocprim17ROCPRIM_400000_NS6detail17trampoline_kernelINS0_14default_configENS1_20scan_config_selectorIfEEZZNS1_9scan_implILNS1_25lookback_scan_determinismE0ELb0ELb0ES3_N6thrust23THRUST_200600_302600_NS6detail15normal_iteratorINS9_10device_ptrIfEEEESE_fNS9_4plusIvEEfEEDaPvRmT3_T4_T5_mT6_P12ihipStream_tbENKUlT_T0_E_clISt17integral_constantIbLb1EEST_IbLb0EEEEDaSP_SQ_EUlSP_E0_NS1_11comp_targetILNS1_3genE5ELNS1_11target_archE942ELNS1_3gpuE9ELNS1_3repE0EEENS1_30default_config_static_selectorELNS0_4arch9wavefront6targetE1EEEvT1_
    .private_segment_fixed_size: 0
    .sgpr_count:     4
    .sgpr_spill_count: 0
    .symbol:         _ZN7rocprim17ROCPRIM_400000_NS6detail17trampoline_kernelINS0_14default_configENS1_20scan_config_selectorIfEEZZNS1_9scan_implILNS1_25lookback_scan_determinismE0ELb0ELb0ES3_N6thrust23THRUST_200600_302600_NS6detail15normal_iteratorINS9_10device_ptrIfEEEESE_fNS9_4plusIvEEfEEDaPvRmT3_T4_T5_mT6_P12ihipStream_tbENKUlT_T0_E_clISt17integral_constantIbLb1EEST_IbLb0EEEEDaSP_SQ_EUlSP_E0_NS1_11comp_targetILNS1_3genE5ELNS1_11target_archE942ELNS1_3gpuE9ELNS1_3repE0EEENS1_30default_config_static_selectorELNS0_4arch9wavefront6targetE1EEEvT1_.kd
    .uniform_work_group_size: 1
    .uses_dynamic_stack: false
    .vgpr_count:     0
    .vgpr_spill_count: 0
    .wavefront_size: 64
  - .agpr_count:     0
    .args:
      - .offset:         0
        .size:           32
        .value_kind:     by_value
    .group_segment_fixed_size: 7168
    .kernarg_segment_align: 8
    .kernarg_segment_size: 32
    .language:       OpenCL C
    .language_version:
      - 2
      - 0
    .max_flat_workgroup_size: 128
    .name:           _ZN7rocprim17ROCPRIM_400000_NS6detail17trampoline_kernelINS0_14default_configENS1_20scan_config_selectorIfEEZZNS1_9scan_implILNS1_25lookback_scan_determinismE0ELb0ELb0ES3_N6thrust23THRUST_200600_302600_NS6detail15normal_iteratorINS9_10device_ptrIfEEEESE_fNS9_4plusIvEEfEEDaPvRmT3_T4_T5_mT6_P12ihipStream_tbENKUlT_T0_E_clISt17integral_constantIbLb1EEST_IbLb0EEEEDaSP_SQ_EUlSP_E0_NS1_11comp_targetILNS1_3genE4ELNS1_11target_archE910ELNS1_3gpuE8ELNS1_3repE0EEENS1_30default_config_static_selectorELNS0_4arch9wavefront6targetE1EEEvT1_
    .private_segment_fixed_size: 0
    .sgpr_count:     42
    .sgpr_spill_count: 0
    .symbol:         _ZN7rocprim17ROCPRIM_400000_NS6detail17trampoline_kernelINS0_14default_configENS1_20scan_config_selectorIfEEZZNS1_9scan_implILNS1_25lookback_scan_determinismE0ELb0ELb0ES3_N6thrust23THRUST_200600_302600_NS6detail15normal_iteratorINS9_10device_ptrIfEEEESE_fNS9_4plusIvEEfEEDaPvRmT3_T4_T5_mT6_P12ihipStream_tbENKUlT_T0_E_clISt17integral_constantIbLb1EEST_IbLb0EEEEDaSP_SQ_EUlSP_E0_NS1_11comp_targetILNS1_3genE4ELNS1_11target_archE910ELNS1_3gpuE8ELNS1_3repE0EEENS1_30default_config_static_selectorELNS0_4arch9wavefront6targetE1EEEvT1_.kd
    .uniform_work_group_size: 1
    .uses_dynamic_stack: false
    .vgpr_count:     37
    .vgpr_spill_count: 0
    .wavefront_size: 64
  - .agpr_count:     0
    .args:
      - .offset:         0
        .size:           32
        .value_kind:     by_value
    .group_segment_fixed_size: 0
    .kernarg_segment_align: 8
    .kernarg_segment_size: 32
    .language:       OpenCL C
    .language_version:
      - 2
      - 0
    .max_flat_workgroup_size: 256
    .name:           _ZN7rocprim17ROCPRIM_400000_NS6detail17trampoline_kernelINS0_14default_configENS1_20scan_config_selectorIfEEZZNS1_9scan_implILNS1_25lookback_scan_determinismE0ELb0ELb0ES3_N6thrust23THRUST_200600_302600_NS6detail15normal_iteratorINS9_10device_ptrIfEEEESE_fNS9_4plusIvEEfEEDaPvRmT3_T4_T5_mT6_P12ihipStream_tbENKUlT_T0_E_clISt17integral_constantIbLb1EEST_IbLb0EEEEDaSP_SQ_EUlSP_E0_NS1_11comp_targetILNS1_3genE3ELNS1_11target_archE908ELNS1_3gpuE7ELNS1_3repE0EEENS1_30default_config_static_selectorELNS0_4arch9wavefront6targetE1EEEvT1_
    .private_segment_fixed_size: 0
    .sgpr_count:     4
    .sgpr_spill_count: 0
    .symbol:         _ZN7rocprim17ROCPRIM_400000_NS6detail17trampoline_kernelINS0_14default_configENS1_20scan_config_selectorIfEEZZNS1_9scan_implILNS1_25lookback_scan_determinismE0ELb0ELb0ES3_N6thrust23THRUST_200600_302600_NS6detail15normal_iteratorINS9_10device_ptrIfEEEESE_fNS9_4plusIvEEfEEDaPvRmT3_T4_T5_mT6_P12ihipStream_tbENKUlT_T0_E_clISt17integral_constantIbLb1EEST_IbLb0EEEEDaSP_SQ_EUlSP_E0_NS1_11comp_targetILNS1_3genE3ELNS1_11target_archE908ELNS1_3gpuE7ELNS1_3repE0EEENS1_30default_config_static_selectorELNS0_4arch9wavefront6targetE1EEEvT1_.kd
    .uniform_work_group_size: 1
    .uses_dynamic_stack: false
    .vgpr_count:     0
    .vgpr_spill_count: 0
    .wavefront_size: 64
  - .agpr_count:     0
    .args:
      - .offset:         0
        .size:           32
        .value_kind:     by_value
    .group_segment_fixed_size: 0
    .kernarg_segment_align: 8
    .kernarg_segment_size: 32
    .language:       OpenCL C
    .language_version:
      - 2
      - 0
    .max_flat_workgroup_size: 256
    .name:           _ZN7rocprim17ROCPRIM_400000_NS6detail17trampoline_kernelINS0_14default_configENS1_20scan_config_selectorIfEEZZNS1_9scan_implILNS1_25lookback_scan_determinismE0ELb0ELb0ES3_N6thrust23THRUST_200600_302600_NS6detail15normal_iteratorINS9_10device_ptrIfEEEESE_fNS9_4plusIvEEfEEDaPvRmT3_T4_T5_mT6_P12ihipStream_tbENKUlT_T0_E_clISt17integral_constantIbLb1EEST_IbLb0EEEEDaSP_SQ_EUlSP_E0_NS1_11comp_targetILNS1_3genE2ELNS1_11target_archE906ELNS1_3gpuE6ELNS1_3repE0EEENS1_30default_config_static_selectorELNS0_4arch9wavefront6targetE1EEEvT1_
    .private_segment_fixed_size: 0
    .sgpr_count:     4
    .sgpr_spill_count: 0
    .symbol:         _ZN7rocprim17ROCPRIM_400000_NS6detail17trampoline_kernelINS0_14default_configENS1_20scan_config_selectorIfEEZZNS1_9scan_implILNS1_25lookback_scan_determinismE0ELb0ELb0ES3_N6thrust23THRUST_200600_302600_NS6detail15normal_iteratorINS9_10device_ptrIfEEEESE_fNS9_4plusIvEEfEEDaPvRmT3_T4_T5_mT6_P12ihipStream_tbENKUlT_T0_E_clISt17integral_constantIbLb1EEST_IbLb0EEEEDaSP_SQ_EUlSP_E0_NS1_11comp_targetILNS1_3genE2ELNS1_11target_archE906ELNS1_3gpuE6ELNS1_3repE0EEENS1_30default_config_static_selectorELNS0_4arch9wavefront6targetE1EEEvT1_.kd
    .uniform_work_group_size: 1
    .uses_dynamic_stack: false
    .vgpr_count:     0
    .vgpr_spill_count: 0
    .wavefront_size: 64
  - .agpr_count:     0
    .args:
      - .offset:         0
        .size:           32
        .value_kind:     by_value
    .group_segment_fixed_size: 0
    .kernarg_segment_align: 8
    .kernarg_segment_size: 32
    .language:       OpenCL C
    .language_version:
      - 2
      - 0
    .max_flat_workgroup_size: 256
    .name:           _ZN7rocprim17ROCPRIM_400000_NS6detail17trampoline_kernelINS0_14default_configENS1_20scan_config_selectorIfEEZZNS1_9scan_implILNS1_25lookback_scan_determinismE0ELb0ELb0ES3_N6thrust23THRUST_200600_302600_NS6detail15normal_iteratorINS9_10device_ptrIfEEEESE_fNS9_4plusIvEEfEEDaPvRmT3_T4_T5_mT6_P12ihipStream_tbENKUlT_T0_E_clISt17integral_constantIbLb1EEST_IbLb0EEEEDaSP_SQ_EUlSP_E0_NS1_11comp_targetILNS1_3genE10ELNS1_11target_archE1201ELNS1_3gpuE5ELNS1_3repE0EEENS1_30default_config_static_selectorELNS0_4arch9wavefront6targetE1EEEvT1_
    .private_segment_fixed_size: 0
    .sgpr_count:     4
    .sgpr_spill_count: 0
    .symbol:         _ZN7rocprim17ROCPRIM_400000_NS6detail17trampoline_kernelINS0_14default_configENS1_20scan_config_selectorIfEEZZNS1_9scan_implILNS1_25lookback_scan_determinismE0ELb0ELb0ES3_N6thrust23THRUST_200600_302600_NS6detail15normal_iteratorINS9_10device_ptrIfEEEESE_fNS9_4plusIvEEfEEDaPvRmT3_T4_T5_mT6_P12ihipStream_tbENKUlT_T0_E_clISt17integral_constantIbLb1EEST_IbLb0EEEEDaSP_SQ_EUlSP_E0_NS1_11comp_targetILNS1_3genE10ELNS1_11target_archE1201ELNS1_3gpuE5ELNS1_3repE0EEENS1_30default_config_static_selectorELNS0_4arch9wavefront6targetE1EEEvT1_.kd
    .uniform_work_group_size: 1
    .uses_dynamic_stack: false
    .vgpr_count:     0
    .vgpr_spill_count: 0
    .wavefront_size: 64
  - .agpr_count:     0
    .args:
      - .offset:         0
        .size:           32
        .value_kind:     by_value
    .group_segment_fixed_size: 0
    .kernarg_segment_align: 8
    .kernarg_segment_size: 32
    .language:       OpenCL C
    .language_version:
      - 2
      - 0
    .max_flat_workgroup_size: 256
    .name:           _ZN7rocprim17ROCPRIM_400000_NS6detail17trampoline_kernelINS0_14default_configENS1_20scan_config_selectorIfEEZZNS1_9scan_implILNS1_25lookback_scan_determinismE0ELb0ELb0ES3_N6thrust23THRUST_200600_302600_NS6detail15normal_iteratorINS9_10device_ptrIfEEEESE_fNS9_4plusIvEEfEEDaPvRmT3_T4_T5_mT6_P12ihipStream_tbENKUlT_T0_E_clISt17integral_constantIbLb1EEST_IbLb0EEEEDaSP_SQ_EUlSP_E0_NS1_11comp_targetILNS1_3genE10ELNS1_11target_archE1200ELNS1_3gpuE4ELNS1_3repE0EEENS1_30default_config_static_selectorELNS0_4arch9wavefront6targetE1EEEvT1_
    .private_segment_fixed_size: 0
    .sgpr_count:     4
    .sgpr_spill_count: 0
    .symbol:         _ZN7rocprim17ROCPRIM_400000_NS6detail17trampoline_kernelINS0_14default_configENS1_20scan_config_selectorIfEEZZNS1_9scan_implILNS1_25lookback_scan_determinismE0ELb0ELb0ES3_N6thrust23THRUST_200600_302600_NS6detail15normal_iteratorINS9_10device_ptrIfEEEESE_fNS9_4plusIvEEfEEDaPvRmT3_T4_T5_mT6_P12ihipStream_tbENKUlT_T0_E_clISt17integral_constantIbLb1EEST_IbLb0EEEEDaSP_SQ_EUlSP_E0_NS1_11comp_targetILNS1_3genE10ELNS1_11target_archE1200ELNS1_3gpuE4ELNS1_3repE0EEENS1_30default_config_static_selectorELNS0_4arch9wavefront6targetE1EEEvT1_.kd
    .uniform_work_group_size: 1
    .uses_dynamic_stack: false
    .vgpr_count:     0
    .vgpr_spill_count: 0
    .wavefront_size: 64
  - .agpr_count:     0
    .args:
      - .offset:         0
        .size:           32
        .value_kind:     by_value
    .group_segment_fixed_size: 0
    .kernarg_segment_align: 8
    .kernarg_segment_size: 32
    .language:       OpenCL C
    .language_version:
      - 2
      - 0
    .max_flat_workgroup_size: 256
    .name:           _ZN7rocprim17ROCPRIM_400000_NS6detail17trampoline_kernelINS0_14default_configENS1_20scan_config_selectorIfEEZZNS1_9scan_implILNS1_25lookback_scan_determinismE0ELb0ELb0ES3_N6thrust23THRUST_200600_302600_NS6detail15normal_iteratorINS9_10device_ptrIfEEEESE_fNS9_4plusIvEEfEEDaPvRmT3_T4_T5_mT6_P12ihipStream_tbENKUlT_T0_E_clISt17integral_constantIbLb1EEST_IbLb0EEEEDaSP_SQ_EUlSP_E0_NS1_11comp_targetILNS1_3genE9ELNS1_11target_archE1100ELNS1_3gpuE3ELNS1_3repE0EEENS1_30default_config_static_selectorELNS0_4arch9wavefront6targetE1EEEvT1_
    .private_segment_fixed_size: 0
    .sgpr_count:     4
    .sgpr_spill_count: 0
    .symbol:         _ZN7rocprim17ROCPRIM_400000_NS6detail17trampoline_kernelINS0_14default_configENS1_20scan_config_selectorIfEEZZNS1_9scan_implILNS1_25lookback_scan_determinismE0ELb0ELb0ES3_N6thrust23THRUST_200600_302600_NS6detail15normal_iteratorINS9_10device_ptrIfEEEESE_fNS9_4plusIvEEfEEDaPvRmT3_T4_T5_mT6_P12ihipStream_tbENKUlT_T0_E_clISt17integral_constantIbLb1EEST_IbLb0EEEEDaSP_SQ_EUlSP_E0_NS1_11comp_targetILNS1_3genE9ELNS1_11target_archE1100ELNS1_3gpuE3ELNS1_3repE0EEENS1_30default_config_static_selectorELNS0_4arch9wavefront6targetE1EEEvT1_.kd
    .uniform_work_group_size: 1
    .uses_dynamic_stack: false
    .vgpr_count:     0
    .vgpr_spill_count: 0
    .wavefront_size: 64
  - .agpr_count:     0
    .args:
      - .offset:         0
        .size:           32
        .value_kind:     by_value
    .group_segment_fixed_size: 0
    .kernarg_segment_align: 8
    .kernarg_segment_size: 32
    .language:       OpenCL C
    .language_version:
      - 2
      - 0
    .max_flat_workgroup_size: 64
    .name:           _ZN7rocprim17ROCPRIM_400000_NS6detail17trampoline_kernelINS0_14default_configENS1_20scan_config_selectorIfEEZZNS1_9scan_implILNS1_25lookback_scan_determinismE0ELb0ELb0ES3_N6thrust23THRUST_200600_302600_NS6detail15normal_iteratorINS9_10device_ptrIfEEEESE_fNS9_4plusIvEEfEEDaPvRmT3_T4_T5_mT6_P12ihipStream_tbENKUlT_T0_E_clISt17integral_constantIbLb1EEST_IbLb0EEEEDaSP_SQ_EUlSP_E0_NS1_11comp_targetILNS1_3genE8ELNS1_11target_archE1030ELNS1_3gpuE2ELNS1_3repE0EEENS1_30default_config_static_selectorELNS0_4arch9wavefront6targetE1EEEvT1_
    .private_segment_fixed_size: 0
    .sgpr_count:     4
    .sgpr_spill_count: 0
    .symbol:         _ZN7rocprim17ROCPRIM_400000_NS6detail17trampoline_kernelINS0_14default_configENS1_20scan_config_selectorIfEEZZNS1_9scan_implILNS1_25lookback_scan_determinismE0ELb0ELb0ES3_N6thrust23THRUST_200600_302600_NS6detail15normal_iteratorINS9_10device_ptrIfEEEESE_fNS9_4plusIvEEfEEDaPvRmT3_T4_T5_mT6_P12ihipStream_tbENKUlT_T0_E_clISt17integral_constantIbLb1EEST_IbLb0EEEEDaSP_SQ_EUlSP_E0_NS1_11comp_targetILNS1_3genE8ELNS1_11target_archE1030ELNS1_3gpuE2ELNS1_3repE0EEENS1_30default_config_static_selectorELNS0_4arch9wavefront6targetE1EEEvT1_.kd
    .uniform_work_group_size: 1
    .uses_dynamic_stack: false
    .vgpr_count:     0
    .vgpr_spill_count: 0
    .wavefront_size: 64
  - .agpr_count:     0
    .args:
      - .offset:         0
        .size:           96
        .value_kind:     by_value
    .group_segment_fixed_size: 0
    .kernarg_segment_align: 8
    .kernarg_segment_size: 96
    .language:       OpenCL C
    .language_version:
      - 2
      - 0
    .max_flat_workgroup_size: 256
    .name:           _ZN7rocprim17ROCPRIM_400000_NS6detail17trampoline_kernelINS0_14default_configENS1_20scan_config_selectorIfEEZZNS1_9scan_implILNS1_25lookback_scan_determinismE0ELb0ELb0ES3_N6thrust23THRUST_200600_302600_NS6detail15normal_iteratorINS9_10device_ptrIfEEEESE_fNS9_4plusIvEEfEEDaPvRmT3_T4_T5_mT6_P12ihipStream_tbENKUlT_T0_E_clISt17integral_constantIbLb0EEST_IbLb1EEEEDaSP_SQ_EUlSP_E_NS1_11comp_targetILNS1_3genE0ELNS1_11target_archE4294967295ELNS1_3gpuE0ELNS1_3repE0EEENS1_30default_config_static_selectorELNS0_4arch9wavefront6targetE1EEEvT1_
    .private_segment_fixed_size: 0
    .sgpr_count:     4
    .sgpr_spill_count: 0
    .symbol:         _ZN7rocprim17ROCPRIM_400000_NS6detail17trampoline_kernelINS0_14default_configENS1_20scan_config_selectorIfEEZZNS1_9scan_implILNS1_25lookback_scan_determinismE0ELb0ELb0ES3_N6thrust23THRUST_200600_302600_NS6detail15normal_iteratorINS9_10device_ptrIfEEEESE_fNS9_4plusIvEEfEEDaPvRmT3_T4_T5_mT6_P12ihipStream_tbENKUlT_T0_E_clISt17integral_constantIbLb0EEST_IbLb1EEEEDaSP_SQ_EUlSP_E_NS1_11comp_targetILNS1_3genE0ELNS1_11target_archE4294967295ELNS1_3gpuE0ELNS1_3repE0EEENS1_30default_config_static_selectorELNS0_4arch9wavefront6targetE1EEEvT1_.kd
    .uniform_work_group_size: 1
    .uses_dynamic_stack: false
    .vgpr_count:     0
    .vgpr_spill_count: 0
    .wavefront_size: 64
  - .agpr_count:     0
    .args:
      - .offset:         0
        .size:           96
        .value_kind:     by_value
    .group_segment_fixed_size: 0
    .kernarg_segment_align: 8
    .kernarg_segment_size: 96
    .language:       OpenCL C
    .language_version:
      - 2
      - 0
    .max_flat_workgroup_size: 256
    .name:           _ZN7rocprim17ROCPRIM_400000_NS6detail17trampoline_kernelINS0_14default_configENS1_20scan_config_selectorIfEEZZNS1_9scan_implILNS1_25lookback_scan_determinismE0ELb0ELb0ES3_N6thrust23THRUST_200600_302600_NS6detail15normal_iteratorINS9_10device_ptrIfEEEESE_fNS9_4plusIvEEfEEDaPvRmT3_T4_T5_mT6_P12ihipStream_tbENKUlT_T0_E_clISt17integral_constantIbLb0EEST_IbLb1EEEEDaSP_SQ_EUlSP_E_NS1_11comp_targetILNS1_3genE5ELNS1_11target_archE942ELNS1_3gpuE9ELNS1_3repE0EEENS1_30default_config_static_selectorELNS0_4arch9wavefront6targetE1EEEvT1_
    .private_segment_fixed_size: 0
    .sgpr_count:     4
    .sgpr_spill_count: 0
    .symbol:         _ZN7rocprim17ROCPRIM_400000_NS6detail17trampoline_kernelINS0_14default_configENS1_20scan_config_selectorIfEEZZNS1_9scan_implILNS1_25lookback_scan_determinismE0ELb0ELb0ES3_N6thrust23THRUST_200600_302600_NS6detail15normal_iteratorINS9_10device_ptrIfEEEESE_fNS9_4plusIvEEfEEDaPvRmT3_T4_T5_mT6_P12ihipStream_tbENKUlT_T0_E_clISt17integral_constantIbLb0EEST_IbLb1EEEEDaSP_SQ_EUlSP_E_NS1_11comp_targetILNS1_3genE5ELNS1_11target_archE942ELNS1_3gpuE9ELNS1_3repE0EEENS1_30default_config_static_selectorELNS0_4arch9wavefront6targetE1EEEvT1_.kd
    .uniform_work_group_size: 1
    .uses_dynamic_stack: false
    .vgpr_count:     0
    .vgpr_spill_count: 0
    .wavefront_size: 64
  - .agpr_count:     0
    .args:
      - .offset:         0
        .size:           96
        .value_kind:     by_value
    .group_segment_fixed_size: 7168
    .kernarg_segment_align: 8
    .kernarg_segment_size: 96
    .language:       OpenCL C
    .language_version:
      - 2
      - 0
    .max_flat_workgroup_size: 128
    .name:           _ZN7rocprim17ROCPRIM_400000_NS6detail17trampoline_kernelINS0_14default_configENS1_20scan_config_selectorIfEEZZNS1_9scan_implILNS1_25lookback_scan_determinismE0ELb0ELb0ES3_N6thrust23THRUST_200600_302600_NS6detail15normal_iteratorINS9_10device_ptrIfEEEESE_fNS9_4plusIvEEfEEDaPvRmT3_T4_T5_mT6_P12ihipStream_tbENKUlT_T0_E_clISt17integral_constantIbLb0EEST_IbLb1EEEEDaSP_SQ_EUlSP_E_NS1_11comp_targetILNS1_3genE4ELNS1_11target_archE910ELNS1_3gpuE8ELNS1_3repE0EEENS1_30default_config_static_selectorELNS0_4arch9wavefront6targetE1EEEvT1_
    .private_segment_fixed_size: 0
    .sgpr_count:     42
    .sgpr_spill_count: 0
    .symbol:         _ZN7rocprim17ROCPRIM_400000_NS6detail17trampoline_kernelINS0_14default_configENS1_20scan_config_selectorIfEEZZNS1_9scan_implILNS1_25lookback_scan_determinismE0ELb0ELb0ES3_N6thrust23THRUST_200600_302600_NS6detail15normal_iteratorINS9_10device_ptrIfEEEESE_fNS9_4plusIvEEfEEDaPvRmT3_T4_T5_mT6_P12ihipStream_tbENKUlT_T0_E_clISt17integral_constantIbLb0EEST_IbLb1EEEEDaSP_SQ_EUlSP_E_NS1_11comp_targetILNS1_3genE4ELNS1_11target_archE910ELNS1_3gpuE8ELNS1_3repE0EEENS1_30default_config_static_selectorELNS0_4arch9wavefront6targetE1EEEvT1_.kd
    .uniform_work_group_size: 1
    .uses_dynamic_stack: false
    .vgpr_count:     48
    .vgpr_spill_count: 0
    .wavefront_size: 64
  - .agpr_count:     0
    .args:
      - .offset:         0
        .size:           96
        .value_kind:     by_value
    .group_segment_fixed_size: 0
    .kernarg_segment_align: 8
    .kernarg_segment_size: 96
    .language:       OpenCL C
    .language_version:
      - 2
      - 0
    .max_flat_workgroup_size: 256
    .name:           _ZN7rocprim17ROCPRIM_400000_NS6detail17trampoline_kernelINS0_14default_configENS1_20scan_config_selectorIfEEZZNS1_9scan_implILNS1_25lookback_scan_determinismE0ELb0ELb0ES3_N6thrust23THRUST_200600_302600_NS6detail15normal_iteratorINS9_10device_ptrIfEEEESE_fNS9_4plusIvEEfEEDaPvRmT3_T4_T5_mT6_P12ihipStream_tbENKUlT_T0_E_clISt17integral_constantIbLb0EEST_IbLb1EEEEDaSP_SQ_EUlSP_E_NS1_11comp_targetILNS1_3genE3ELNS1_11target_archE908ELNS1_3gpuE7ELNS1_3repE0EEENS1_30default_config_static_selectorELNS0_4arch9wavefront6targetE1EEEvT1_
    .private_segment_fixed_size: 0
    .sgpr_count:     4
    .sgpr_spill_count: 0
    .symbol:         _ZN7rocprim17ROCPRIM_400000_NS6detail17trampoline_kernelINS0_14default_configENS1_20scan_config_selectorIfEEZZNS1_9scan_implILNS1_25lookback_scan_determinismE0ELb0ELb0ES3_N6thrust23THRUST_200600_302600_NS6detail15normal_iteratorINS9_10device_ptrIfEEEESE_fNS9_4plusIvEEfEEDaPvRmT3_T4_T5_mT6_P12ihipStream_tbENKUlT_T0_E_clISt17integral_constantIbLb0EEST_IbLb1EEEEDaSP_SQ_EUlSP_E_NS1_11comp_targetILNS1_3genE3ELNS1_11target_archE908ELNS1_3gpuE7ELNS1_3repE0EEENS1_30default_config_static_selectorELNS0_4arch9wavefront6targetE1EEEvT1_.kd
    .uniform_work_group_size: 1
    .uses_dynamic_stack: false
    .vgpr_count:     0
    .vgpr_spill_count: 0
    .wavefront_size: 64
  - .agpr_count:     0
    .args:
      - .offset:         0
        .size:           96
        .value_kind:     by_value
    .group_segment_fixed_size: 0
    .kernarg_segment_align: 8
    .kernarg_segment_size: 96
    .language:       OpenCL C
    .language_version:
      - 2
      - 0
    .max_flat_workgroup_size: 256
    .name:           _ZN7rocprim17ROCPRIM_400000_NS6detail17trampoline_kernelINS0_14default_configENS1_20scan_config_selectorIfEEZZNS1_9scan_implILNS1_25lookback_scan_determinismE0ELb0ELb0ES3_N6thrust23THRUST_200600_302600_NS6detail15normal_iteratorINS9_10device_ptrIfEEEESE_fNS9_4plusIvEEfEEDaPvRmT3_T4_T5_mT6_P12ihipStream_tbENKUlT_T0_E_clISt17integral_constantIbLb0EEST_IbLb1EEEEDaSP_SQ_EUlSP_E_NS1_11comp_targetILNS1_3genE2ELNS1_11target_archE906ELNS1_3gpuE6ELNS1_3repE0EEENS1_30default_config_static_selectorELNS0_4arch9wavefront6targetE1EEEvT1_
    .private_segment_fixed_size: 0
    .sgpr_count:     4
    .sgpr_spill_count: 0
    .symbol:         _ZN7rocprim17ROCPRIM_400000_NS6detail17trampoline_kernelINS0_14default_configENS1_20scan_config_selectorIfEEZZNS1_9scan_implILNS1_25lookback_scan_determinismE0ELb0ELb0ES3_N6thrust23THRUST_200600_302600_NS6detail15normal_iteratorINS9_10device_ptrIfEEEESE_fNS9_4plusIvEEfEEDaPvRmT3_T4_T5_mT6_P12ihipStream_tbENKUlT_T0_E_clISt17integral_constantIbLb0EEST_IbLb1EEEEDaSP_SQ_EUlSP_E_NS1_11comp_targetILNS1_3genE2ELNS1_11target_archE906ELNS1_3gpuE6ELNS1_3repE0EEENS1_30default_config_static_selectorELNS0_4arch9wavefront6targetE1EEEvT1_.kd
    .uniform_work_group_size: 1
    .uses_dynamic_stack: false
    .vgpr_count:     0
    .vgpr_spill_count: 0
    .wavefront_size: 64
  - .agpr_count:     0
    .args:
      - .offset:         0
        .size:           96
        .value_kind:     by_value
    .group_segment_fixed_size: 0
    .kernarg_segment_align: 8
    .kernarg_segment_size: 96
    .language:       OpenCL C
    .language_version:
      - 2
      - 0
    .max_flat_workgroup_size: 256
    .name:           _ZN7rocprim17ROCPRIM_400000_NS6detail17trampoline_kernelINS0_14default_configENS1_20scan_config_selectorIfEEZZNS1_9scan_implILNS1_25lookback_scan_determinismE0ELb0ELb0ES3_N6thrust23THRUST_200600_302600_NS6detail15normal_iteratorINS9_10device_ptrIfEEEESE_fNS9_4plusIvEEfEEDaPvRmT3_T4_T5_mT6_P12ihipStream_tbENKUlT_T0_E_clISt17integral_constantIbLb0EEST_IbLb1EEEEDaSP_SQ_EUlSP_E_NS1_11comp_targetILNS1_3genE10ELNS1_11target_archE1201ELNS1_3gpuE5ELNS1_3repE0EEENS1_30default_config_static_selectorELNS0_4arch9wavefront6targetE1EEEvT1_
    .private_segment_fixed_size: 0
    .sgpr_count:     4
    .sgpr_spill_count: 0
    .symbol:         _ZN7rocprim17ROCPRIM_400000_NS6detail17trampoline_kernelINS0_14default_configENS1_20scan_config_selectorIfEEZZNS1_9scan_implILNS1_25lookback_scan_determinismE0ELb0ELb0ES3_N6thrust23THRUST_200600_302600_NS6detail15normal_iteratorINS9_10device_ptrIfEEEESE_fNS9_4plusIvEEfEEDaPvRmT3_T4_T5_mT6_P12ihipStream_tbENKUlT_T0_E_clISt17integral_constantIbLb0EEST_IbLb1EEEEDaSP_SQ_EUlSP_E_NS1_11comp_targetILNS1_3genE10ELNS1_11target_archE1201ELNS1_3gpuE5ELNS1_3repE0EEENS1_30default_config_static_selectorELNS0_4arch9wavefront6targetE1EEEvT1_.kd
    .uniform_work_group_size: 1
    .uses_dynamic_stack: false
    .vgpr_count:     0
    .vgpr_spill_count: 0
    .wavefront_size: 64
  - .agpr_count:     0
    .args:
      - .offset:         0
        .size:           96
        .value_kind:     by_value
    .group_segment_fixed_size: 0
    .kernarg_segment_align: 8
    .kernarg_segment_size: 96
    .language:       OpenCL C
    .language_version:
      - 2
      - 0
    .max_flat_workgroup_size: 256
    .name:           _ZN7rocprim17ROCPRIM_400000_NS6detail17trampoline_kernelINS0_14default_configENS1_20scan_config_selectorIfEEZZNS1_9scan_implILNS1_25lookback_scan_determinismE0ELb0ELb0ES3_N6thrust23THRUST_200600_302600_NS6detail15normal_iteratorINS9_10device_ptrIfEEEESE_fNS9_4plusIvEEfEEDaPvRmT3_T4_T5_mT6_P12ihipStream_tbENKUlT_T0_E_clISt17integral_constantIbLb0EEST_IbLb1EEEEDaSP_SQ_EUlSP_E_NS1_11comp_targetILNS1_3genE10ELNS1_11target_archE1200ELNS1_3gpuE4ELNS1_3repE0EEENS1_30default_config_static_selectorELNS0_4arch9wavefront6targetE1EEEvT1_
    .private_segment_fixed_size: 0
    .sgpr_count:     4
    .sgpr_spill_count: 0
    .symbol:         _ZN7rocprim17ROCPRIM_400000_NS6detail17trampoline_kernelINS0_14default_configENS1_20scan_config_selectorIfEEZZNS1_9scan_implILNS1_25lookback_scan_determinismE0ELb0ELb0ES3_N6thrust23THRUST_200600_302600_NS6detail15normal_iteratorINS9_10device_ptrIfEEEESE_fNS9_4plusIvEEfEEDaPvRmT3_T4_T5_mT6_P12ihipStream_tbENKUlT_T0_E_clISt17integral_constantIbLb0EEST_IbLb1EEEEDaSP_SQ_EUlSP_E_NS1_11comp_targetILNS1_3genE10ELNS1_11target_archE1200ELNS1_3gpuE4ELNS1_3repE0EEENS1_30default_config_static_selectorELNS0_4arch9wavefront6targetE1EEEvT1_.kd
    .uniform_work_group_size: 1
    .uses_dynamic_stack: false
    .vgpr_count:     0
    .vgpr_spill_count: 0
    .wavefront_size: 64
  - .agpr_count:     0
    .args:
      - .offset:         0
        .size:           96
        .value_kind:     by_value
    .group_segment_fixed_size: 0
    .kernarg_segment_align: 8
    .kernarg_segment_size: 96
    .language:       OpenCL C
    .language_version:
      - 2
      - 0
    .max_flat_workgroup_size: 256
    .name:           _ZN7rocprim17ROCPRIM_400000_NS6detail17trampoline_kernelINS0_14default_configENS1_20scan_config_selectorIfEEZZNS1_9scan_implILNS1_25lookback_scan_determinismE0ELb0ELb0ES3_N6thrust23THRUST_200600_302600_NS6detail15normal_iteratorINS9_10device_ptrIfEEEESE_fNS9_4plusIvEEfEEDaPvRmT3_T4_T5_mT6_P12ihipStream_tbENKUlT_T0_E_clISt17integral_constantIbLb0EEST_IbLb1EEEEDaSP_SQ_EUlSP_E_NS1_11comp_targetILNS1_3genE9ELNS1_11target_archE1100ELNS1_3gpuE3ELNS1_3repE0EEENS1_30default_config_static_selectorELNS0_4arch9wavefront6targetE1EEEvT1_
    .private_segment_fixed_size: 0
    .sgpr_count:     4
    .sgpr_spill_count: 0
    .symbol:         _ZN7rocprim17ROCPRIM_400000_NS6detail17trampoline_kernelINS0_14default_configENS1_20scan_config_selectorIfEEZZNS1_9scan_implILNS1_25lookback_scan_determinismE0ELb0ELb0ES3_N6thrust23THRUST_200600_302600_NS6detail15normal_iteratorINS9_10device_ptrIfEEEESE_fNS9_4plusIvEEfEEDaPvRmT3_T4_T5_mT6_P12ihipStream_tbENKUlT_T0_E_clISt17integral_constantIbLb0EEST_IbLb1EEEEDaSP_SQ_EUlSP_E_NS1_11comp_targetILNS1_3genE9ELNS1_11target_archE1100ELNS1_3gpuE3ELNS1_3repE0EEENS1_30default_config_static_selectorELNS0_4arch9wavefront6targetE1EEEvT1_.kd
    .uniform_work_group_size: 1
    .uses_dynamic_stack: false
    .vgpr_count:     0
    .vgpr_spill_count: 0
    .wavefront_size: 64
  - .agpr_count:     0
    .args:
      - .offset:         0
        .size:           96
        .value_kind:     by_value
    .group_segment_fixed_size: 0
    .kernarg_segment_align: 8
    .kernarg_segment_size: 96
    .language:       OpenCL C
    .language_version:
      - 2
      - 0
    .max_flat_workgroup_size: 64
    .name:           _ZN7rocprim17ROCPRIM_400000_NS6detail17trampoline_kernelINS0_14default_configENS1_20scan_config_selectorIfEEZZNS1_9scan_implILNS1_25lookback_scan_determinismE0ELb0ELb0ES3_N6thrust23THRUST_200600_302600_NS6detail15normal_iteratorINS9_10device_ptrIfEEEESE_fNS9_4plusIvEEfEEDaPvRmT3_T4_T5_mT6_P12ihipStream_tbENKUlT_T0_E_clISt17integral_constantIbLb0EEST_IbLb1EEEEDaSP_SQ_EUlSP_E_NS1_11comp_targetILNS1_3genE8ELNS1_11target_archE1030ELNS1_3gpuE2ELNS1_3repE0EEENS1_30default_config_static_selectorELNS0_4arch9wavefront6targetE1EEEvT1_
    .private_segment_fixed_size: 0
    .sgpr_count:     4
    .sgpr_spill_count: 0
    .symbol:         _ZN7rocprim17ROCPRIM_400000_NS6detail17trampoline_kernelINS0_14default_configENS1_20scan_config_selectorIfEEZZNS1_9scan_implILNS1_25lookback_scan_determinismE0ELb0ELb0ES3_N6thrust23THRUST_200600_302600_NS6detail15normal_iteratorINS9_10device_ptrIfEEEESE_fNS9_4plusIvEEfEEDaPvRmT3_T4_T5_mT6_P12ihipStream_tbENKUlT_T0_E_clISt17integral_constantIbLb0EEST_IbLb1EEEEDaSP_SQ_EUlSP_E_NS1_11comp_targetILNS1_3genE8ELNS1_11target_archE1030ELNS1_3gpuE2ELNS1_3repE0EEENS1_30default_config_static_selectorELNS0_4arch9wavefront6targetE1EEEvT1_.kd
    .uniform_work_group_size: 1
    .uses_dynamic_stack: false
    .vgpr_count:     0
    .vgpr_spill_count: 0
    .wavefront_size: 64
  - .agpr_count:     0
    .args:
      - .offset:         0
        .size:           32
        .value_kind:     by_value
    .group_segment_fixed_size: 0
    .kernarg_segment_align: 8
    .kernarg_segment_size: 32
    .language:       OpenCL C
    .language_version:
      - 2
      - 0
    .max_flat_workgroup_size: 256
    .name:           _ZN7rocprim17ROCPRIM_400000_NS6detail17trampoline_kernelINS0_14default_configENS1_20scan_config_selectorIfEEZZNS1_9scan_implILNS1_25lookback_scan_determinismE0ELb0ELb0ES3_N6thrust23THRUST_200600_302600_NS6detail15normal_iteratorINS9_10device_ptrIfEEEESE_fNS9_4plusIvEEfEEDaPvRmT3_T4_T5_mT6_P12ihipStream_tbENKUlT_T0_E_clISt17integral_constantIbLb0EEST_IbLb1EEEEDaSP_SQ_EUlSP_E0_NS1_11comp_targetILNS1_3genE0ELNS1_11target_archE4294967295ELNS1_3gpuE0ELNS1_3repE0EEENS1_30default_config_static_selectorELNS0_4arch9wavefront6targetE1EEEvT1_
    .private_segment_fixed_size: 0
    .sgpr_count:     4
    .sgpr_spill_count: 0
    .symbol:         _ZN7rocprim17ROCPRIM_400000_NS6detail17trampoline_kernelINS0_14default_configENS1_20scan_config_selectorIfEEZZNS1_9scan_implILNS1_25lookback_scan_determinismE0ELb0ELb0ES3_N6thrust23THRUST_200600_302600_NS6detail15normal_iteratorINS9_10device_ptrIfEEEESE_fNS9_4plusIvEEfEEDaPvRmT3_T4_T5_mT6_P12ihipStream_tbENKUlT_T0_E_clISt17integral_constantIbLb0EEST_IbLb1EEEEDaSP_SQ_EUlSP_E0_NS1_11comp_targetILNS1_3genE0ELNS1_11target_archE4294967295ELNS1_3gpuE0ELNS1_3repE0EEENS1_30default_config_static_selectorELNS0_4arch9wavefront6targetE1EEEvT1_.kd
    .uniform_work_group_size: 1
    .uses_dynamic_stack: false
    .vgpr_count:     0
    .vgpr_spill_count: 0
    .wavefront_size: 64
  - .agpr_count:     0
    .args:
      - .offset:         0
        .size:           32
        .value_kind:     by_value
    .group_segment_fixed_size: 0
    .kernarg_segment_align: 8
    .kernarg_segment_size: 32
    .language:       OpenCL C
    .language_version:
      - 2
      - 0
    .max_flat_workgroup_size: 256
    .name:           _ZN7rocprim17ROCPRIM_400000_NS6detail17trampoline_kernelINS0_14default_configENS1_20scan_config_selectorIfEEZZNS1_9scan_implILNS1_25lookback_scan_determinismE0ELb0ELb0ES3_N6thrust23THRUST_200600_302600_NS6detail15normal_iteratorINS9_10device_ptrIfEEEESE_fNS9_4plusIvEEfEEDaPvRmT3_T4_T5_mT6_P12ihipStream_tbENKUlT_T0_E_clISt17integral_constantIbLb0EEST_IbLb1EEEEDaSP_SQ_EUlSP_E0_NS1_11comp_targetILNS1_3genE5ELNS1_11target_archE942ELNS1_3gpuE9ELNS1_3repE0EEENS1_30default_config_static_selectorELNS0_4arch9wavefront6targetE1EEEvT1_
    .private_segment_fixed_size: 0
    .sgpr_count:     4
    .sgpr_spill_count: 0
    .symbol:         _ZN7rocprim17ROCPRIM_400000_NS6detail17trampoline_kernelINS0_14default_configENS1_20scan_config_selectorIfEEZZNS1_9scan_implILNS1_25lookback_scan_determinismE0ELb0ELb0ES3_N6thrust23THRUST_200600_302600_NS6detail15normal_iteratorINS9_10device_ptrIfEEEESE_fNS9_4plusIvEEfEEDaPvRmT3_T4_T5_mT6_P12ihipStream_tbENKUlT_T0_E_clISt17integral_constantIbLb0EEST_IbLb1EEEEDaSP_SQ_EUlSP_E0_NS1_11comp_targetILNS1_3genE5ELNS1_11target_archE942ELNS1_3gpuE9ELNS1_3repE0EEENS1_30default_config_static_selectorELNS0_4arch9wavefront6targetE1EEEvT1_.kd
    .uniform_work_group_size: 1
    .uses_dynamic_stack: false
    .vgpr_count:     0
    .vgpr_spill_count: 0
    .wavefront_size: 64
  - .agpr_count:     0
    .args:
      - .offset:         0
        .size:           32
        .value_kind:     by_value
    .group_segment_fixed_size: 7168
    .kernarg_segment_align: 8
    .kernarg_segment_size: 32
    .language:       OpenCL C
    .language_version:
      - 2
      - 0
    .max_flat_workgroup_size: 128
    .name:           _ZN7rocprim17ROCPRIM_400000_NS6detail17trampoline_kernelINS0_14default_configENS1_20scan_config_selectorIfEEZZNS1_9scan_implILNS1_25lookback_scan_determinismE0ELb0ELb0ES3_N6thrust23THRUST_200600_302600_NS6detail15normal_iteratorINS9_10device_ptrIfEEEESE_fNS9_4plusIvEEfEEDaPvRmT3_T4_T5_mT6_P12ihipStream_tbENKUlT_T0_E_clISt17integral_constantIbLb0EEST_IbLb1EEEEDaSP_SQ_EUlSP_E0_NS1_11comp_targetILNS1_3genE4ELNS1_11target_archE910ELNS1_3gpuE8ELNS1_3repE0EEENS1_30default_config_static_selectorELNS0_4arch9wavefront6targetE1EEEvT1_
    .private_segment_fixed_size: 0
    .sgpr_count:     42
    .sgpr_spill_count: 0
    .symbol:         _ZN7rocprim17ROCPRIM_400000_NS6detail17trampoline_kernelINS0_14default_configENS1_20scan_config_selectorIfEEZZNS1_9scan_implILNS1_25lookback_scan_determinismE0ELb0ELb0ES3_N6thrust23THRUST_200600_302600_NS6detail15normal_iteratorINS9_10device_ptrIfEEEESE_fNS9_4plusIvEEfEEDaPvRmT3_T4_T5_mT6_P12ihipStream_tbENKUlT_T0_E_clISt17integral_constantIbLb0EEST_IbLb1EEEEDaSP_SQ_EUlSP_E0_NS1_11comp_targetILNS1_3genE4ELNS1_11target_archE910ELNS1_3gpuE8ELNS1_3repE0EEENS1_30default_config_static_selectorELNS0_4arch9wavefront6targetE1EEEvT1_.kd
    .uniform_work_group_size: 1
    .uses_dynamic_stack: false
    .vgpr_count:     37
    .vgpr_spill_count: 0
    .wavefront_size: 64
  - .agpr_count:     0
    .args:
      - .offset:         0
        .size:           32
        .value_kind:     by_value
    .group_segment_fixed_size: 0
    .kernarg_segment_align: 8
    .kernarg_segment_size: 32
    .language:       OpenCL C
    .language_version:
      - 2
      - 0
    .max_flat_workgroup_size: 256
    .name:           _ZN7rocprim17ROCPRIM_400000_NS6detail17trampoline_kernelINS0_14default_configENS1_20scan_config_selectorIfEEZZNS1_9scan_implILNS1_25lookback_scan_determinismE0ELb0ELb0ES3_N6thrust23THRUST_200600_302600_NS6detail15normal_iteratorINS9_10device_ptrIfEEEESE_fNS9_4plusIvEEfEEDaPvRmT3_T4_T5_mT6_P12ihipStream_tbENKUlT_T0_E_clISt17integral_constantIbLb0EEST_IbLb1EEEEDaSP_SQ_EUlSP_E0_NS1_11comp_targetILNS1_3genE3ELNS1_11target_archE908ELNS1_3gpuE7ELNS1_3repE0EEENS1_30default_config_static_selectorELNS0_4arch9wavefront6targetE1EEEvT1_
    .private_segment_fixed_size: 0
    .sgpr_count:     4
    .sgpr_spill_count: 0
    .symbol:         _ZN7rocprim17ROCPRIM_400000_NS6detail17trampoline_kernelINS0_14default_configENS1_20scan_config_selectorIfEEZZNS1_9scan_implILNS1_25lookback_scan_determinismE0ELb0ELb0ES3_N6thrust23THRUST_200600_302600_NS6detail15normal_iteratorINS9_10device_ptrIfEEEESE_fNS9_4plusIvEEfEEDaPvRmT3_T4_T5_mT6_P12ihipStream_tbENKUlT_T0_E_clISt17integral_constantIbLb0EEST_IbLb1EEEEDaSP_SQ_EUlSP_E0_NS1_11comp_targetILNS1_3genE3ELNS1_11target_archE908ELNS1_3gpuE7ELNS1_3repE0EEENS1_30default_config_static_selectorELNS0_4arch9wavefront6targetE1EEEvT1_.kd
    .uniform_work_group_size: 1
    .uses_dynamic_stack: false
    .vgpr_count:     0
    .vgpr_spill_count: 0
    .wavefront_size: 64
  - .agpr_count:     0
    .args:
      - .offset:         0
        .size:           32
        .value_kind:     by_value
    .group_segment_fixed_size: 0
    .kernarg_segment_align: 8
    .kernarg_segment_size: 32
    .language:       OpenCL C
    .language_version:
      - 2
      - 0
    .max_flat_workgroup_size: 256
    .name:           _ZN7rocprim17ROCPRIM_400000_NS6detail17trampoline_kernelINS0_14default_configENS1_20scan_config_selectorIfEEZZNS1_9scan_implILNS1_25lookback_scan_determinismE0ELb0ELb0ES3_N6thrust23THRUST_200600_302600_NS6detail15normal_iteratorINS9_10device_ptrIfEEEESE_fNS9_4plusIvEEfEEDaPvRmT3_T4_T5_mT6_P12ihipStream_tbENKUlT_T0_E_clISt17integral_constantIbLb0EEST_IbLb1EEEEDaSP_SQ_EUlSP_E0_NS1_11comp_targetILNS1_3genE2ELNS1_11target_archE906ELNS1_3gpuE6ELNS1_3repE0EEENS1_30default_config_static_selectorELNS0_4arch9wavefront6targetE1EEEvT1_
    .private_segment_fixed_size: 0
    .sgpr_count:     4
    .sgpr_spill_count: 0
    .symbol:         _ZN7rocprim17ROCPRIM_400000_NS6detail17trampoline_kernelINS0_14default_configENS1_20scan_config_selectorIfEEZZNS1_9scan_implILNS1_25lookback_scan_determinismE0ELb0ELb0ES3_N6thrust23THRUST_200600_302600_NS6detail15normal_iteratorINS9_10device_ptrIfEEEESE_fNS9_4plusIvEEfEEDaPvRmT3_T4_T5_mT6_P12ihipStream_tbENKUlT_T0_E_clISt17integral_constantIbLb0EEST_IbLb1EEEEDaSP_SQ_EUlSP_E0_NS1_11comp_targetILNS1_3genE2ELNS1_11target_archE906ELNS1_3gpuE6ELNS1_3repE0EEENS1_30default_config_static_selectorELNS0_4arch9wavefront6targetE1EEEvT1_.kd
    .uniform_work_group_size: 1
    .uses_dynamic_stack: false
    .vgpr_count:     0
    .vgpr_spill_count: 0
    .wavefront_size: 64
  - .agpr_count:     0
    .args:
      - .offset:         0
        .size:           32
        .value_kind:     by_value
    .group_segment_fixed_size: 0
    .kernarg_segment_align: 8
    .kernarg_segment_size: 32
    .language:       OpenCL C
    .language_version:
      - 2
      - 0
    .max_flat_workgroup_size: 256
    .name:           _ZN7rocprim17ROCPRIM_400000_NS6detail17trampoline_kernelINS0_14default_configENS1_20scan_config_selectorIfEEZZNS1_9scan_implILNS1_25lookback_scan_determinismE0ELb0ELb0ES3_N6thrust23THRUST_200600_302600_NS6detail15normal_iteratorINS9_10device_ptrIfEEEESE_fNS9_4plusIvEEfEEDaPvRmT3_T4_T5_mT6_P12ihipStream_tbENKUlT_T0_E_clISt17integral_constantIbLb0EEST_IbLb1EEEEDaSP_SQ_EUlSP_E0_NS1_11comp_targetILNS1_3genE10ELNS1_11target_archE1201ELNS1_3gpuE5ELNS1_3repE0EEENS1_30default_config_static_selectorELNS0_4arch9wavefront6targetE1EEEvT1_
    .private_segment_fixed_size: 0
    .sgpr_count:     4
    .sgpr_spill_count: 0
    .symbol:         _ZN7rocprim17ROCPRIM_400000_NS6detail17trampoline_kernelINS0_14default_configENS1_20scan_config_selectorIfEEZZNS1_9scan_implILNS1_25lookback_scan_determinismE0ELb0ELb0ES3_N6thrust23THRUST_200600_302600_NS6detail15normal_iteratorINS9_10device_ptrIfEEEESE_fNS9_4plusIvEEfEEDaPvRmT3_T4_T5_mT6_P12ihipStream_tbENKUlT_T0_E_clISt17integral_constantIbLb0EEST_IbLb1EEEEDaSP_SQ_EUlSP_E0_NS1_11comp_targetILNS1_3genE10ELNS1_11target_archE1201ELNS1_3gpuE5ELNS1_3repE0EEENS1_30default_config_static_selectorELNS0_4arch9wavefront6targetE1EEEvT1_.kd
    .uniform_work_group_size: 1
    .uses_dynamic_stack: false
    .vgpr_count:     0
    .vgpr_spill_count: 0
    .wavefront_size: 64
  - .agpr_count:     0
    .args:
      - .offset:         0
        .size:           32
        .value_kind:     by_value
    .group_segment_fixed_size: 0
    .kernarg_segment_align: 8
    .kernarg_segment_size: 32
    .language:       OpenCL C
    .language_version:
      - 2
      - 0
    .max_flat_workgroup_size: 256
    .name:           _ZN7rocprim17ROCPRIM_400000_NS6detail17trampoline_kernelINS0_14default_configENS1_20scan_config_selectorIfEEZZNS1_9scan_implILNS1_25lookback_scan_determinismE0ELb0ELb0ES3_N6thrust23THRUST_200600_302600_NS6detail15normal_iteratorINS9_10device_ptrIfEEEESE_fNS9_4plusIvEEfEEDaPvRmT3_T4_T5_mT6_P12ihipStream_tbENKUlT_T0_E_clISt17integral_constantIbLb0EEST_IbLb1EEEEDaSP_SQ_EUlSP_E0_NS1_11comp_targetILNS1_3genE10ELNS1_11target_archE1200ELNS1_3gpuE4ELNS1_3repE0EEENS1_30default_config_static_selectorELNS0_4arch9wavefront6targetE1EEEvT1_
    .private_segment_fixed_size: 0
    .sgpr_count:     4
    .sgpr_spill_count: 0
    .symbol:         _ZN7rocprim17ROCPRIM_400000_NS6detail17trampoline_kernelINS0_14default_configENS1_20scan_config_selectorIfEEZZNS1_9scan_implILNS1_25lookback_scan_determinismE0ELb0ELb0ES3_N6thrust23THRUST_200600_302600_NS6detail15normal_iteratorINS9_10device_ptrIfEEEESE_fNS9_4plusIvEEfEEDaPvRmT3_T4_T5_mT6_P12ihipStream_tbENKUlT_T0_E_clISt17integral_constantIbLb0EEST_IbLb1EEEEDaSP_SQ_EUlSP_E0_NS1_11comp_targetILNS1_3genE10ELNS1_11target_archE1200ELNS1_3gpuE4ELNS1_3repE0EEENS1_30default_config_static_selectorELNS0_4arch9wavefront6targetE1EEEvT1_.kd
    .uniform_work_group_size: 1
    .uses_dynamic_stack: false
    .vgpr_count:     0
    .vgpr_spill_count: 0
    .wavefront_size: 64
  - .agpr_count:     0
    .args:
      - .offset:         0
        .size:           32
        .value_kind:     by_value
    .group_segment_fixed_size: 0
    .kernarg_segment_align: 8
    .kernarg_segment_size: 32
    .language:       OpenCL C
    .language_version:
      - 2
      - 0
    .max_flat_workgroup_size: 256
    .name:           _ZN7rocprim17ROCPRIM_400000_NS6detail17trampoline_kernelINS0_14default_configENS1_20scan_config_selectorIfEEZZNS1_9scan_implILNS1_25lookback_scan_determinismE0ELb0ELb0ES3_N6thrust23THRUST_200600_302600_NS6detail15normal_iteratorINS9_10device_ptrIfEEEESE_fNS9_4plusIvEEfEEDaPvRmT3_T4_T5_mT6_P12ihipStream_tbENKUlT_T0_E_clISt17integral_constantIbLb0EEST_IbLb1EEEEDaSP_SQ_EUlSP_E0_NS1_11comp_targetILNS1_3genE9ELNS1_11target_archE1100ELNS1_3gpuE3ELNS1_3repE0EEENS1_30default_config_static_selectorELNS0_4arch9wavefront6targetE1EEEvT1_
    .private_segment_fixed_size: 0
    .sgpr_count:     4
    .sgpr_spill_count: 0
    .symbol:         _ZN7rocprim17ROCPRIM_400000_NS6detail17trampoline_kernelINS0_14default_configENS1_20scan_config_selectorIfEEZZNS1_9scan_implILNS1_25lookback_scan_determinismE0ELb0ELb0ES3_N6thrust23THRUST_200600_302600_NS6detail15normal_iteratorINS9_10device_ptrIfEEEESE_fNS9_4plusIvEEfEEDaPvRmT3_T4_T5_mT6_P12ihipStream_tbENKUlT_T0_E_clISt17integral_constantIbLb0EEST_IbLb1EEEEDaSP_SQ_EUlSP_E0_NS1_11comp_targetILNS1_3genE9ELNS1_11target_archE1100ELNS1_3gpuE3ELNS1_3repE0EEENS1_30default_config_static_selectorELNS0_4arch9wavefront6targetE1EEEvT1_.kd
    .uniform_work_group_size: 1
    .uses_dynamic_stack: false
    .vgpr_count:     0
    .vgpr_spill_count: 0
    .wavefront_size: 64
  - .agpr_count:     0
    .args:
      - .offset:         0
        .size:           32
        .value_kind:     by_value
    .group_segment_fixed_size: 0
    .kernarg_segment_align: 8
    .kernarg_segment_size: 32
    .language:       OpenCL C
    .language_version:
      - 2
      - 0
    .max_flat_workgroup_size: 64
    .name:           _ZN7rocprim17ROCPRIM_400000_NS6detail17trampoline_kernelINS0_14default_configENS1_20scan_config_selectorIfEEZZNS1_9scan_implILNS1_25lookback_scan_determinismE0ELb0ELb0ES3_N6thrust23THRUST_200600_302600_NS6detail15normal_iteratorINS9_10device_ptrIfEEEESE_fNS9_4plusIvEEfEEDaPvRmT3_T4_T5_mT6_P12ihipStream_tbENKUlT_T0_E_clISt17integral_constantIbLb0EEST_IbLb1EEEEDaSP_SQ_EUlSP_E0_NS1_11comp_targetILNS1_3genE8ELNS1_11target_archE1030ELNS1_3gpuE2ELNS1_3repE0EEENS1_30default_config_static_selectorELNS0_4arch9wavefront6targetE1EEEvT1_
    .private_segment_fixed_size: 0
    .sgpr_count:     4
    .sgpr_spill_count: 0
    .symbol:         _ZN7rocprim17ROCPRIM_400000_NS6detail17trampoline_kernelINS0_14default_configENS1_20scan_config_selectorIfEEZZNS1_9scan_implILNS1_25lookback_scan_determinismE0ELb0ELb0ES3_N6thrust23THRUST_200600_302600_NS6detail15normal_iteratorINS9_10device_ptrIfEEEESE_fNS9_4plusIvEEfEEDaPvRmT3_T4_T5_mT6_P12ihipStream_tbENKUlT_T0_E_clISt17integral_constantIbLb0EEST_IbLb1EEEEDaSP_SQ_EUlSP_E0_NS1_11comp_targetILNS1_3genE8ELNS1_11target_archE1030ELNS1_3gpuE2ELNS1_3repE0EEENS1_30default_config_static_selectorELNS0_4arch9wavefront6targetE1EEEvT1_.kd
    .uniform_work_group_size: 1
    .uses_dynamic_stack: false
    .vgpr_count:     0
    .vgpr_spill_count: 0
    .wavefront_size: 64
  - .agpr_count:     0
    .args:
      - .offset:         0
        .size:           96
        .value_kind:     by_value
    .group_segment_fixed_size: 0
    .kernarg_segment_align: 8
    .kernarg_segment_size: 96
    .language:       OpenCL C
    .language_version:
      - 2
      - 0
    .max_flat_workgroup_size: 256
    .name:           _ZN7rocprim17ROCPRIM_400000_NS6detail17trampoline_kernelINS0_14default_configENS1_20scan_config_selectorIfEEZZNS1_9scan_implILNS1_25lookback_scan_determinismE0ELb1ELb1ES3_N6thrust23THRUST_200600_302600_NS6detail15normal_iteratorINS9_10device_ptrIfEEEESE_fNS9_4plusIvEEfEEDaPvRmT3_T4_T5_mT6_P12ihipStream_tbENKUlT_T0_E_clISt17integral_constantIbLb0EESU_EEDaSP_SQ_EUlSP_E_NS1_11comp_targetILNS1_3genE0ELNS1_11target_archE4294967295ELNS1_3gpuE0ELNS1_3repE0EEENS1_30default_config_static_selectorELNS0_4arch9wavefront6targetE1EEEvT1_
    .private_segment_fixed_size: 0
    .sgpr_count:     4
    .sgpr_spill_count: 0
    .symbol:         _ZN7rocprim17ROCPRIM_400000_NS6detail17trampoline_kernelINS0_14default_configENS1_20scan_config_selectorIfEEZZNS1_9scan_implILNS1_25lookback_scan_determinismE0ELb1ELb1ES3_N6thrust23THRUST_200600_302600_NS6detail15normal_iteratorINS9_10device_ptrIfEEEESE_fNS9_4plusIvEEfEEDaPvRmT3_T4_T5_mT6_P12ihipStream_tbENKUlT_T0_E_clISt17integral_constantIbLb0EESU_EEDaSP_SQ_EUlSP_E_NS1_11comp_targetILNS1_3genE0ELNS1_11target_archE4294967295ELNS1_3gpuE0ELNS1_3repE0EEENS1_30default_config_static_selectorELNS0_4arch9wavefront6targetE1EEEvT1_.kd
    .uniform_work_group_size: 1
    .uses_dynamic_stack: false
    .vgpr_count:     0
    .vgpr_spill_count: 0
    .wavefront_size: 64
  - .agpr_count:     0
    .args:
      - .offset:         0
        .size:           96
        .value_kind:     by_value
    .group_segment_fixed_size: 0
    .kernarg_segment_align: 8
    .kernarg_segment_size: 96
    .language:       OpenCL C
    .language_version:
      - 2
      - 0
    .max_flat_workgroup_size: 256
    .name:           _ZN7rocprim17ROCPRIM_400000_NS6detail17trampoline_kernelINS0_14default_configENS1_20scan_config_selectorIfEEZZNS1_9scan_implILNS1_25lookback_scan_determinismE0ELb1ELb1ES3_N6thrust23THRUST_200600_302600_NS6detail15normal_iteratorINS9_10device_ptrIfEEEESE_fNS9_4plusIvEEfEEDaPvRmT3_T4_T5_mT6_P12ihipStream_tbENKUlT_T0_E_clISt17integral_constantIbLb0EESU_EEDaSP_SQ_EUlSP_E_NS1_11comp_targetILNS1_3genE5ELNS1_11target_archE942ELNS1_3gpuE9ELNS1_3repE0EEENS1_30default_config_static_selectorELNS0_4arch9wavefront6targetE1EEEvT1_
    .private_segment_fixed_size: 0
    .sgpr_count:     4
    .sgpr_spill_count: 0
    .symbol:         _ZN7rocprim17ROCPRIM_400000_NS6detail17trampoline_kernelINS0_14default_configENS1_20scan_config_selectorIfEEZZNS1_9scan_implILNS1_25lookback_scan_determinismE0ELb1ELb1ES3_N6thrust23THRUST_200600_302600_NS6detail15normal_iteratorINS9_10device_ptrIfEEEESE_fNS9_4plusIvEEfEEDaPvRmT3_T4_T5_mT6_P12ihipStream_tbENKUlT_T0_E_clISt17integral_constantIbLb0EESU_EEDaSP_SQ_EUlSP_E_NS1_11comp_targetILNS1_3genE5ELNS1_11target_archE942ELNS1_3gpuE9ELNS1_3repE0EEENS1_30default_config_static_selectorELNS0_4arch9wavefront6targetE1EEEvT1_.kd
    .uniform_work_group_size: 1
    .uses_dynamic_stack: false
    .vgpr_count:     0
    .vgpr_spill_count: 0
    .wavefront_size: 64
  - .agpr_count:     0
    .args:
      - .offset:         0
        .size:           96
        .value_kind:     by_value
    .group_segment_fixed_size: 7168
    .kernarg_segment_align: 8
    .kernarg_segment_size: 96
    .language:       OpenCL C
    .language_version:
      - 2
      - 0
    .max_flat_workgroup_size: 128
    .name:           _ZN7rocprim17ROCPRIM_400000_NS6detail17trampoline_kernelINS0_14default_configENS1_20scan_config_selectorIfEEZZNS1_9scan_implILNS1_25lookback_scan_determinismE0ELb1ELb1ES3_N6thrust23THRUST_200600_302600_NS6detail15normal_iteratorINS9_10device_ptrIfEEEESE_fNS9_4plusIvEEfEEDaPvRmT3_T4_T5_mT6_P12ihipStream_tbENKUlT_T0_E_clISt17integral_constantIbLb0EESU_EEDaSP_SQ_EUlSP_E_NS1_11comp_targetILNS1_3genE4ELNS1_11target_archE910ELNS1_3gpuE8ELNS1_3repE0EEENS1_30default_config_static_selectorELNS0_4arch9wavefront6targetE1EEEvT1_
    .private_segment_fixed_size: 0
    .sgpr_count:     35
    .sgpr_spill_count: 0
    .symbol:         _ZN7rocprim17ROCPRIM_400000_NS6detail17trampoline_kernelINS0_14default_configENS1_20scan_config_selectorIfEEZZNS1_9scan_implILNS1_25lookback_scan_determinismE0ELb1ELb1ES3_N6thrust23THRUST_200600_302600_NS6detail15normal_iteratorINS9_10device_ptrIfEEEESE_fNS9_4plusIvEEfEEDaPvRmT3_T4_T5_mT6_P12ihipStream_tbENKUlT_T0_E_clISt17integral_constantIbLb0EESU_EEDaSP_SQ_EUlSP_E_NS1_11comp_targetILNS1_3genE4ELNS1_11target_archE910ELNS1_3gpuE8ELNS1_3repE0EEENS1_30default_config_static_selectorELNS0_4arch9wavefront6targetE1EEEvT1_.kd
    .uniform_work_group_size: 1
    .uses_dynamic_stack: false
    .vgpr_count:     49
    .vgpr_spill_count: 0
    .wavefront_size: 64
  - .agpr_count:     0
    .args:
      - .offset:         0
        .size:           96
        .value_kind:     by_value
    .group_segment_fixed_size: 0
    .kernarg_segment_align: 8
    .kernarg_segment_size: 96
    .language:       OpenCL C
    .language_version:
      - 2
      - 0
    .max_flat_workgroup_size: 256
    .name:           _ZN7rocprim17ROCPRIM_400000_NS6detail17trampoline_kernelINS0_14default_configENS1_20scan_config_selectorIfEEZZNS1_9scan_implILNS1_25lookback_scan_determinismE0ELb1ELb1ES3_N6thrust23THRUST_200600_302600_NS6detail15normal_iteratorINS9_10device_ptrIfEEEESE_fNS9_4plusIvEEfEEDaPvRmT3_T4_T5_mT6_P12ihipStream_tbENKUlT_T0_E_clISt17integral_constantIbLb0EESU_EEDaSP_SQ_EUlSP_E_NS1_11comp_targetILNS1_3genE3ELNS1_11target_archE908ELNS1_3gpuE7ELNS1_3repE0EEENS1_30default_config_static_selectorELNS0_4arch9wavefront6targetE1EEEvT1_
    .private_segment_fixed_size: 0
    .sgpr_count:     4
    .sgpr_spill_count: 0
    .symbol:         _ZN7rocprim17ROCPRIM_400000_NS6detail17trampoline_kernelINS0_14default_configENS1_20scan_config_selectorIfEEZZNS1_9scan_implILNS1_25lookback_scan_determinismE0ELb1ELb1ES3_N6thrust23THRUST_200600_302600_NS6detail15normal_iteratorINS9_10device_ptrIfEEEESE_fNS9_4plusIvEEfEEDaPvRmT3_T4_T5_mT6_P12ihipStream_tbENKUlT_T0_E_clISt17integral_constantIbLb0EESU_EEDaSP_SQ_EUlSP_E_NS1_11comp_targetILNS1_3genE3ELNS1_11target_archE908ELNS1_3gpuE7ELNS1_3repE0EEENS1_30default_config_static_selectorELNS0_4arch9wavefront6targetE1EEEvT1_.kd
    .uniform_work_group_size: 1
    .uses_dynamic_stack: false
    .vgpr_count:     0
    .vgpr_spill_count: 0
    .wavefront_size: 64
  - .agpr_count:     0
    .args:
      - .offset:         0
        .size:           96
        .value_kind:     by_value
    .group_segment_fixed_size: 0
    .kernarg_segment_align: 8
    .kernarg_segment_size: 96
    .language:       OpenCL C
    .language_version:
      - 2
      - 0
    .max_flat_workgroup_size: 256
    .name:           _ZN7rocprim17ROCPRIM_400000_NS6detail17trampoline_kernelINS0_14default_configENS1_20scan_config_selectorIfEEZZNS1_9scan_implILNS1_25lookback_scan_determinismE0ELb1ELb1ES3_N6thrust23THRUST_200600_302600_NS6detail15normal_iteratorINS9_10device_ptrIfEEEESE_fNS9_4plusIvEEfEEDaPvRmT3_T4_T5_mT6_P12ihipStream_tbENKUlT_T0_E_clISt17integral_constantIbLb0EESU_EEDaSP_SQ_EUlSP_E_NS1_11comp_targetILNS1_3genE2ELNS1_11target_archE906ELNS1_3gpuE6ELNS1_3repE0EEENS1_30default_config_static_selectorELNS0_4arch9wavefront6targetE1EEEvT1_
    .private_segment_fixed_size: 0
    .sgpr_count:     4
    .sgpr_spill_count: 0
    .symbol:         _ZN7rocprim17ROCPRIM_400000_NS6detail17trampoline_kernelINS0_14default_configENS1_20scan_config_selectorIfEEZZNS1_9scan_implILNS1_25lookback_scan_determinismE0ELb1ELb1ES3_N6thrust23THRUST_200600_302600_NS6detail15normal_iteratorINS9_10device_ptrIfEEEESE_fNS9_4plusIvEEfEEDaPvRmT3_T4_T5_mT6_P12ihipStream_tbENKUlT_T0_E_clISt17integral_constantIbLb0EESU_EEDaSP_SQ_EUlSP_E_NS1_11comp_targetILNS1_3genE2ELNS1_11target_archE906ELNS1_3gpuE6ELNS1_3repE0EEENS1_30default_config_static_selectorELNS0_4arch9wavefront6targetE1EEEvT1_.kd
    .uniform_work_group_size: 1
    .uses_dynamic_stack: false
    .vgpr_count:     0
    .vgpr_spill_count: 0
    .wavefront_size: 64
  - .agpr_count:     0
    .args:
      - .offset:         0
        .size:           96
        .value_kind:     by_value
    .group_segment_fixed_size: 0
    .kernarg_segment_align: 8
    .kernarg_segment_size: 96
    .language:       OpenCL C
    .language_version:
      - 2
      - 0
    .max_flat_workgroup_size: 256
    .name:           _ZN7rocprim17ROCPRIM_400000_NS6detail17trampoline_kernelINS0_14default_configENS1_20scan_config_selectorIfEEZZNS1_9scan_implILNS1_25lookback_scan_determinismE0ELb1ELb1ES3_N6thrust23THRUST_200600_302600_NS6detail15normal_iteratorINS9_10device_ptrIfEEEESE_fNS9_4plusIvEEfEEDaPvRmT3_T4_T5_mT6_P12ihipStream_tbENKUlT_T0_E_clISt17integral_constantIbLb0EESU_EEDaSP_SQ_EUlSP_E_NS1_11comp_targetILNS1_3genE10ELNS1_11target_archE1201ELNS1_3gpuE5ELNS1_3repE0EEENS1_30default_config_static_selectorELNS0_4arch9wavefront6targetE1EEEvT1_
    .private_segment_fixed_size: 0
    .sgpr_count:     4
    .sgpr_spill_count: 0
    .symbol:         _ZN7rocprim17ROCPRIM_400000_NS6detail17trampoline_kernelINS0_14default_configENS1_20scan_config_selectorIfEEZZNS1_9scan_implILNS1_25lookback_scan_determinismE0ELb1ELb1ES3_N6thrust23THRUST_200600_302600_NS6detail15normal_iteratorINS9_10device_ptrIfEEEESE_fNS9_4plusIvEEfEEDaPvRmT3_T4_T5_mT6_P12ihipStream_tbENKUlT_T0_E_clISt17integral_constantIbLb0EESU_EEDaSP_SQ_EUlSP_E_NS1_11comp_targetILNS1_3genE10ELNS1_11target_archE1201ELNS1_3gpuE5ELNS1_3repE0EEENS1_30default_config_static_selectorELNS0_4arch9wavefront6targetE1EEEvT1_.kd
    .uniform_work_group_size: 1
    .uses_dynamic_stack: false
    .vgpr_count:     0
    .vgpr_spill_count: 0
    .wavefront_size: 64
  - .agpr_count:     0
    .args:
      - .offset:         0
        .size:           96
        .value_kind:     by_value
    .group_segment_fixed_size: 0
    .kernarg_segment_align: 8
    .kernarg_segment_size: 96
    .language:       OpenCL C
    .language_version:
      - 2
      - 0
    .max_flat_workgroup_size: 256
    .name:           _ZN7rocprim17ROCPRIM_400000_NS6detail17trampoline_kernelINS0_14default_configENS1_20scan_config_selectorIfEEZZNS1_9scan_implILNS1_25lookback_scan_determinismE0ELb1ELb1ES3_N6thrust23THRUST_200600_302600_NS6detail15normal_iteratorINS9_10device_ptrIfEEEESE_fNS9_4plusIvEEfEEDaPvRmT3_T4_T5_mT6_P12ihipStream_tbENKUlT_T0_E_clISt17integral_constantIbLb0EESU_EEDaSP_SQ_EUlSP_E_NS1_11comp_targetILNS1_3genE10ELNS1_11target_archE1200ELNS1_3gpuE4ELNS1_3repE0EEENS1_30default_config_static_selectorELNS0_4arch9wavefront6targetE1EEEvT1_
    .private_segment_fixed_size: 0
    .sgpr_count:     4
    .sgpr_spill_count: 0
    .symbol:         _ZN7rocprim17ROCPRIM_400000_NS6detail17trampoline_kernelINS0_14default_configENS1_20scan_config_selectorIfEEZZNS1_9scan_implILNS1_25lookback_scan_determinismE0ELb1ELb1ES3_N6thrust23THRUST_200600_302600_NS6detail15normal_iteratorINS9_10device_ptrIfEEEESE_fNS9_4plusIvEEfEEDaPvRmT3_T4_T5_mT6_P12ihipStream_tbENKUlT_T0_E_clISt17integral_constantIbLb0EESU_EEDaSP_SQ_EUlSP_E_NS1_11comp_targetILNS1_3genE10ELNS1_11target_archE1200ELNS1_3gpuE4ELNS1_3repE0EEENS1_30default_config_static_selectorELNS0_4arch9wavefront6targetE1EEEvT1_.kd
    .uniform_work_group_size: 1
    .uses_dynamic_stack: false
    .vgpr_count:     0
    .vgpr_spill_count: 0
    .wavefront_size: 64
  - .agpr_count:     0
    .args:
      - .offset:         0
        .size:           96
        .value_kind:     by_value
    .group_segment_fixed_size: 0
    .kernarg_segment_align: 8
    .kernarg_segment_size: 96
    .language:       OpenCL C
    .language_version:
      - 2
      - 0
    .max_flat_workgroup_size: 256
    .name:           _ZN7rocprim17ROCPRIM_400000_NS6detail17trampoline_kernelINS0_14default_configENS1_20scan_config_selectorIfEEZZNS1_9scan_implILNS1_25lookback_scan_determinismE0ELb1ELb1ES3_N6thrust23THRUST_200600_302600_NS6detail15normal_iteratorINS9_10device_ptrIfEEEESE_fNS9_4plusIvEEfEEDaPvRmT3_T4_T5_mT6_P12ihipStream_tbENKUlT_T0_E_clISt17integral_constantIbLb0EESU_EEDaSP_SQ_EUlSP_E_NS1_11comp_targetILNS1_3genE9ELNS1_11target_archE1100ELNS1_3gpuE3ELNS1_3repE0EEENS1_30default_config_static_selectorELNS0_4arch9wavefront6targetE1EEEvT1_
    .private_segment_fixed_size: 0
    .sgpr_count:     4
    .sgpr_spill_count: 0
    .symbol:         _ZN7rocprim17ROCPRIM_400000_NS6detail17trampoline_kernelINS0_14default_configENS1_20scan_config_selectorIfEEZZNS1_9scan_implILNS1_25lookback_scan_determinismE0ELb1ELb1ES3_N6thrust23THRUST_200600_302600_NS6detail15normal_iteratorINS9_10device_ptrIfEEEESE_fNS9_4plusIvEEfEEDaPvRmT3_T4_T5_mT6_P12ihipStream_tbENKUlT_T0_E_clISt17integral_constantIbLb0EESU_EEDaSP_SQ_EUlSP_E_NS1_11comp_targetILNS1_3genE9ELNS1_11target_archE1100ELNS1_3gpuE3ELNS1_3repE0EEENS1_30default_config_static_selectorELNS0_4arch9wavefront6targetE1EEEvT1_.kd
    .uniform_work_group_size: 1
    .uses_dynamic_stack: false
    .vgpr_count:     0
    .vgpr_spill_count: 0
    .wavefront_size: 64
  - .agpr_count:     0
    .args:
      - .offset:         0
        .size:           96
        .value_kind:     by_value
    .group_segment_fixed_size: 0
    .kernarg_segment_align: 8
    .kernarg_segment_size: 96
    .language:       OpenCL C
    .language_version:
      - 2
      - 0
    .max_flat_workgroup_size: 64
    .name:           _ZN7rocprim17ROCPRIM_400000_NS6detail17trampoline_kernelINS0_14default_configENS1_20scan_config_selectorIfEEZZNS1_9scan_implILNS1_25lookback_scan_determinismE0ELb1ELb1ES3_N6thrust23THRUST_200600_302600_NS6detail15normal_iteratorINS9_10device_ptrIfEEEESE_fNS9_4plusIvEEfEEDaPvRmT3_T4_T5_mT6_P12ihipStream_tbENKUlT_T0_E_clISt17integral_constantIbLb0EESU_EEDaSP_SQ_EUlSP_E_NS1_11comp_targetILNS1_3genE8ELNS1_11target_archE1030ELNS1_3gpuE2ELNS1_3repE0EEENS1_30default_config_static_selectorELNS0_4arch9wavefront6targetE1EEEvT1_
    .private_segment_fixed_size: 0
    .sgpr_count:     4
    .sgpr_spill_count: 0
    .symbol:         _ZN7rocprim17ROCPRIM_400000_NS6detail17trampoline_kernelINS0_14default_configENS1_20scan_config_selectorIfEEZZNS1_9scan_implILNS1_25lookback_scan_determinismE0ELb1ELb1ES3_N6thrust23THRUST_200600_302600_NS6detail15normal_iteratorINS9_10device_ptrIfEEEESE_fNS9_4plusIvEEfEEDaPvRmT3_T4_T5_mT6_P12ihipStream_tbENKUlT_T0_E_clISt17integral_constantIbLb0EESU_EEDaSP_SQ_EUlSP_E_NS1_11comp_targetILNS1_3genE8ELNS1_11target_archE1030ELNS1_3gpuE2ELNS1_3repE0EEENS1_30default_config_static_selectorELNS0_4arch9wavefront6targetE1EEEvT1_.kd
    .uniform_work_group_size: 1
    .uses_dynamic_stack: false
    .vgpr_count:     0
    .vgpr_spill_count: 0
    .wavefront_size: 64
  - .agpr_count:     0
    .args:
      - .offset:         0
        .size:           32
        .value_kind:     by_value
    .group_segment_fixed_size: 0
    .kernarg_segment_align: 8
    .kernarg_segment_size: 32
    .language:       OpenCL C
    .language_version:
      - 2
      - 0
    .max_flat_workgroup_size: 256
    .name:           _ZN7rocprim17ROCPRIM_400000_NS6detail17trampoline_kernelINS0_14default_configENS1_20scan_config_selectorIfEEZZNS1_9scan_implILNS1_25lookback_scan_determinismE0ELb1ELb1ES3_N6thrust23THRUST_200600_302600_NS6detail15normal_iteratorINS9_10device_ptrIfEEEESE_fNS9_4plusIvEEfEEDaPvRmT3_T4_T5_mT6_P12ihipStream_tbENKUlT_T0_E_clISt17integral_constantIbLb0EESU_EEDaSP_SQ_EUlSP_E0_NS1_11comp_targetILNS1_3genE0ELNS1_11target_archE4294967295ELNS1_3gpuE0ELNS1_3repE0EEENS1_30default_config_static_selectorELNS0_4arch9wavefront6targetE1EEEvT1_
    .private_segment_fixed_size: 0
    .sgpr_count:     4
    .sgpr_spill_count: 0
    .symbol:         _ZN7rocprim17ROCPRIM_400000_NS6detail17trampoline_kernelINS0_14default_configENS1_20scan_config_selectorIfEEZZNS1_9scan_implILNS1_25lookback_scan_determinismE0ELb1ELb1ES3_N6thrust23THRUST_200600_302600_NS6detail15normal_iteratorINS9_10device_ptrIfEEEESE_fNS9_4plusIvEEfEEDaPvRmT3_T4_T5_mT6_P12ihipStream_tbENKUlT_T0_E_clISt17integral_constantIbLb0EESU_EEDaSP_SQ_EUlSP_E0_NS1_11comp_targetILNS1_3genE0ELNS1_11target_archE4294967295ELNS1_3gpuE0ELNS1_3repE0EEENS1_30default_config_static_selectorELNS0_4arch9wavefront6targetE1EEEvT1_.kd
    .uniform_work_group_size: 1
    .uses_dynamic_stack: false
    .vgpr_count:     0
    .vgpr_spill_count: 0
    .wavefront_size: 64
  - .agpr_count:     0
    .args:
      - .offset:         0
        .size:           32
        .value_kind:     by_value
    .group_segment_fixed_size: 0
    .kernarg_segment_align: 8
    .kernarg_segment_size: 32
    .language:       OpenCL C
    .language_version:
      - 2
      - 0
    .max_flat_workgroup_size: 256
    .name:           _ZN7rocprim17ROCPRIM_400000_NS6detail17trampoline_kernelINS0_14default_configENS1_20scan_config_selectorIfEEZZNS1_9scan_implILNS1_25lookback_scan_determinismE0ELb1ELb1ES3_N6thrust23THRUST_200600_302600_NS6detail15normal_iteratorINS9_10device_ptrIfEEEESE_fNS9_4plusIvEEfEEDaPvRmT3_T4_T5_mT6_P12ihipStream_tbENKUlT_T0_E_clISt17integral_constantIbLb0EESU_EEDaSP_SQ_EUlSP_E0_NS1_11comp_targetILNS1_3genE5ELNS1_11target_archE942ELNS1_3gpuE9ELNS1_3repE0EEENS1_30default_config_static_selectorELNS0_4arch9wavefront6targetE1EEEvT1_
    .private_segment_fixed_size: 0
    .sgpr_count:     4
    .sgpr_spill_count: 0
    .symbol:         _ZN7rocprim17ROCPRIM_400000_NS6detail17trampoline_kernelINS0_14default_configENS1_20scan_config_selectorIfEEZZNS1_9scan_implILNS1_25lookback_scan_determinismE0ELb1ELb1ES3_N6thrust23THRUST_200600_302600_NS6detail15normal_iteratorINS9_10device_ptrIfEEEESE_fNS9_4plusIvEEfEEDaPvRmT3_T4_T5_mT6_P12ihipStream_tbENKUlT_T0_E_clISt17integral_constantIbLb0EESU_EEDaSP_SQ_EUlSP_E0_NS1_11comp_targetILNS1_3genE5ELNS1_11target_archE942ELNS1_3gpuE9ELNS1_3repE0EEENS1_30default_config_static_selectorELNS0_4arch9wavefront6targetE1EEEvT1_.kd
    .uniform_work_group_size: 1
    .uses_dynamic_stack: false
    .vgpr_count:     0
    .vgpr_spill_count: 0
    .wavefront_size: 64
  - .agpr_count:     0
    .args:
      - .offset:         0
        .size:           32
        .value_kind:     by_value
    .group_segment_fixed_size: 7168
    .kernarg_segment_align: 8
    .kernarg_segment_size: 32
    .language:       OpenCL C
    .language_version:
      - 2
      - 0
    .max_flat_workgroup_size: 128
    .name:           _ZN7rocprim17ROCPRIM_400000_NS6detail17trampoline_kernelINS0_14default_configENS1_20scan_config_selectorIfEEZZNS1_9scan_implILNS1_25lookback_scan_determinismE0ELb1ELb1ES3_N6thrust23THRUST_200600_302600_NS6detail15normal_iteratorINS9_10device_ptrIfEEEESE_fNS9_4plusIvEEfEEDaPvRmT3_T4_T5_mT6_P12ihipStream_tbENKUlT_T0_E_clISt17integral_constantIbLb0EESU_EEDaSP_SQ_EUlSP_E0_NS1_11comp_targetILNS1_3genE4ELNS1_11target_archE910ELNS1_3gpuE8ELNS1_3repE0EEENS1_30default_config_static_selectorELNS0_4arch9wavefront6targetE1EEEvT1_
    .private_segment_fixed_size: 0
    .sgpr_count:     42
    .sgpr_spill_count: 0
    .symbol:         _ZN7rocprim17ROCPRIM_400000_NS6detail17trampoline_kernelINS0_14default_configENS1_20scan_config_selectorIfEEZZNS1_9scan_implILNS1_25lookback_scan_determinismE0ELb1ELb1ES3_N6thrust23THRUST_200600_302600_NS6detail15normal_iteratorINS9_10device_ptrIfEEEESE_fNS9_4plusIvEEfEEDaPvRmT3_T4_T5_mT6_P12ihipStream_tbENKUlT_T0_E_clISt17integral_constantIbLb0EESU_EEDaSP_SQ_EUlSP_E0_NS1_11comp_targetILNS1_3genE4ELNS1_11target_archE910ELNS1_3gpuE8ELNS1_3repE0EEENS1_30default_config_static_selectorELNS0_4arch9wavefront6targetE1EEEvT1_.kd
    .uniform_work_group_size: 1
    .uses_dynamic_stack: false
    .vgpr_count:     24
    .vgpr_spill_count: 0
    .wavefront_size: 64
  - .agpr_count:     0
    .args:
      - .offset:         0
        .size:           32
        .value_kind:     by_value
    .group_segment_fixed_size: 0
    .kernarg_segment_align: 8
    .kernarg_segment_size: 32
    .language:       OpenCL C
    .language_version:
      - 2
      - 0
    .max_flat_workgroup_size: 256
    .name:           _ZN7rocprim17ROCPRIM_400000_NS6detail17trampoline_kernelINS0_14default_configENS1_20scan_config_selectorIfEEZZNS1_9scan_implILNS1_25lookback_scan_determinismE0ELb1ELb1ES3_N6thrust23THRUST_200600_302600_NS6detail15normal_iteratorINS9_10device_ptrIfEEEESE_fNS9_4plusIvEEfEEDaPvRmT3_T4_T5_mT6_P12ihipStream_tbENKUlT_T0_E_clISt17integral_constantIbLb0EESU_EEDaSP_SQ_EUlSP_E0_NS1_11comp_targetILNS1_3genE3ELNS1_11target_archE908ELNS1_3gpuE7ELNS1_3repE0EEENS1_30default_config_static_selectorELNS0_4arch9wavefront6targetE1EEEvT1_
    .private_segment_fixed_size: 0
    .sgpr_count:     4
    .sgpr_spill_count: 0
    .symbol:         _ZN7rocprim17ROCPRIM_400000_NS6detail17trampoline_kernelINS0_14default_configENS1_20scan_config_selectorIfEEZZNS1_9scan_implILNS1_25lookback_scan_determinismE0ELb1ELb1ES3_N6thrust23THRUST_200600_302600_NS6detail15normal_iteratorINS9_10device_ptrIfEEEESE_fNS9_4plusIvEEfEEDaPvRmT3_T4_T5_mT6_P12ihipStream_tbENKUlT_T0_E_clISt17integral_constantIbLb0EESU_EEDaSP_SQ_EUlSP_E0_NS1_11comp_targetILNS1_3genE3ELNS1_11target_archE908ELNS1_3gpuE7ELNS1_3repE0EEENS1_30default_config_static_selectorELNS0_4arch9wavefront6targetE1EEEvT1_.kd
    .uniform_work_group_size: 1
    .uses_dynamic_stack: false
    .vgpr_count:     0
    .vgpr_spill_count: 0
    .wavefront_size: 64
  - .agpr_count:     0
    .args:
      - .offset:         0
        .size:           32
        .value_kind:     by_value
    .group_segment_fixed_size: 0
    .kernarg_segment_align: 8
    .kernarg_segment_size: 32
    .language:       OpenCL C
    .language_version:
      - 2
      - 0
    .max_flat_workgroup_size: 256
    .name:           _ZN7rocprim17ROCPRIM_400000_NS6detail17trampoline_kernelINS0_14default_configENS1_20scan_config_selectorIfEEZZNS1_9scan_implILNS1_25lookback_scan_determinismE0ELb1ELb1ES3_N6thrust23THRUST_200600_302600_NS6detail15normal_iteratorINS9_10device_ptrIfEEEESE_fNS9_4plusIvEEfEEDaPvRmT3_T4_T5_mT6_P12ihipStream_tbENKUlT_T0_E_clISt17integral_constantIbLb0EESU_EEDaSP_SQ_EUlSP_E0_NS1_11comp_targetILNS1_3genE2ELNS1_11target_archE906ELNS1_3gpuE6ELNS1_3repE0EEENS1_30default_config_static_selectorELNS0_4arch9wavefront6targetE1EEEvT1_
    .private_segment_fixed_size: 0
    .sgpr_count:     4
    .sgpr_spill_count: 0
    .symbol:         _ZN7rocprim17ROCPRIM_400000_NS6detail17trampoline_kernelINS0_14default_configENS1_20scan_config_selectorIfEEZZNS1_9scan_implILNS1_25lookback_scan_determinismE0ELb1ELb1ES3_N6thrust23THRUST_200600_302600_NS6detail15normal_iteratorINS9_10device_ptrIfEEEESE_fNS9_4plusIvEEfEEDaPvRmT3_T4_T5_mT6_P12ihipStream_tbENKUlT_T0_E_clISt17integral_constantIbLb0EESU_EEDaSP_SQ_EUlSP_E0_NS1_11comp_targetILNS1_3genE2ELNS1_11target_archE906ELNS1_3gpuE6ELNS1_3repE0EEENS1_30default_config_static_selectorELNS0_4arch9wavefront6targetE1EEEvT1_.kd
    .uniform_work_group_size: 1
    .uses_dynamic_stack: false
    .vgpr_count:     0
    .vgpr_spill_count: 0
    .wavefront_size: 64
  - .agpr_count:     0
    .args:
      - .offset:         0
        .size:           32
        .value_kind:     by_value
    .group_segment_fixed_size: 0
    .kernarg_segment_align: 8
    .kernarg_segment_size: 32
    .language:       OpenCL C
    .language_version:
      - 2
      - 0
    .max_flat_workgroup_size: 256
    .name:           _ZN7rocprim17ROCPRIM_400000_NS6detail17trampoline_kernelINS0_14default_configENS1_20scan_config_selectorIfEEZZNS1_9scan_implILNS1_25lookback_scan_determinismE0ELb1ELb1ES3_N6thrust23THRUST_200600_302600_NS6detail15normal_iteratorINS9_10device_ptrIfEEEESE_fNS9_4plusIvEEfEEDaPvRmT3_T4_T5_mT6_P12ihipStream_tbENKUlT_T0_E_clISt17integral_constantIbLb0EESU_EEDaSP_SQ_EUlSP_E0_NS1_11comp_targetILNS1_3genE10ELNS1_11target_archE1201ELNS1_3gpuE5ELNS1_3repE0EEENS1_30default_config_static_selectorELNS0_4arch9wavefront6targetE1EEEvT1_
    .private_segment_fixed_size: 0
    .sgpr_count:     4
    .sgpr_spill_count: 0
    .symbol:         _ZN7rocprim17ROCPRIM_400000_NS6detail17trampoline_kernelINS0_14default_configENS1_20scan_config_selectorIfEEZZNS1_9scan_implILNS1_25lookback_scan_determinismE0ELb1ELb1ES3_N6thrust23THRUST_200600_302600_NS6detail15normal_iteratorINS9_10device_ptrIfEEEESE_fNS9_4plusIvEEfEEDaPvRmT3_T4_T5_mT6_P12ihipStream_tbENKUlT_T0_E_clISt17integral_constantIbLb0EESU_EEDaSP_SQ_EUlSP_E0_NS1_11comp_targetILNS1_3genE10ELNS1_11target_archE1201ELNS1_3gpuE5ELNS1_3repE0EEENS1_30default_config_static_selectorELNS0_4arch9wavefront6targetE1EEEvT1_.kd
    .uniform_work_group_size: 1
    .uses_dynamic_stack: false
    .vgpr_count:     0
    .vgpr_spill_count: 0
    .wavefront_size: 64
  - .agpr_count:     0
    .args:
      - .offset:         0
        .size:           32
        .value_kind:     by_value
    .group_segment_fixed_size: 0
    .kernarg_segment_align: 8
    .kernarg_segment_size: 32
    .language:       OpenCL C
    .language_version:
      - 2
      - 0
    .max_flat_workgroup_size: 256
    .name:           _ZN7rocprim17ROCPRIM_400000_NS6detail17trampoline_kernelINS0_14default_configENS1_20scan_config_selectorIfEEZZNS1_9scan_implILNS1_25lookback_scan_determinismE0ELb1ELb1ES3_N6thrust23THRUST_200600_302600_NS6detail15normal_iteratorINS9_10device_ptrIfEEEESE_fNS9_4plusIvEEfEEDaPvRmT3_T4_T5_mT6_P12ihipStream_tbENKUlT_T0_E_clISt17integral_constantIbLb0EESU_EEDaSP_SQ_EUlSP_E0_NS1_11comp_targetILNS1_3genE10ELNS1_11target_archE1200ELNS1_3gpuE4ELNS1_3repE0EEENS1_30default_config_static_selectorELNS0_4arch9wavefront6targetE1EEEvT1_
    .private_segment_fixed_size: 0
    .sgpr_count:     4
    .sgpr_spill_count: 0
    .symbol:         _ZN7rocprim17ROCPRIM_400000_NS6detail17trampoline_kernelINS0_14default_configENS1_20scan_config_selectorIfEEZZNS1_9scan_implILNS1_25lookback_scan_determinismE0ELb1ELb1ES3_N6thrust23THRUST_200600_302600_NS6detail15normal_iteratorINS9_10device_ptrIfEEEESE_fNS9_4plusIvEEfEEDaPvRmT3_T4_T5_mT6_P12ihipStream_tbENKUlT_T0_E_clISt17integral_constantIbLb0EESU_EEDaSP_SQ_EUlSP_E0_NS1_11comp_targetILNS1_3genE10ELNS1_11target_archE1200ELNS1_3gpuE4ELNS1_3repE0EEENS1_30default_config_static_selectorELNS0_4arch9wavefront6targetE1EEEvT1_.kd
    .uniform_work_group_size: 1
    .uses_dynamic_stack: false
    .vgpr_count:     0
    .vgpr_spill_count: 0
    .wavefront_size: 64
  - .agpr_count:     0
    .args:
      - .offset:         0
        .size:           32
        .value_kind:     by_value
    .group_segment_fixed_size: 0
    .kernarg_segment_align: 8
    .kernarg_segment_size: 32
    .language:       OpenCL C
    .language_version:
      - 2
      - 0
    .max_flat_workgroup_size: 256
    .name:           _ZN7rocprim17ROCPRIM_400000_NS6detail17trampoline_kernelINS0_14default_configENS1_20scan_config_selectorIfEEZZNS1_9scan_implILNS1_25lookback_scan_determinismE0ELb1ELb1ES3_N6thrust23THRUST_200600_302600_NS6detail15normal_iteratorINS9_10device_ptrIfEEEESE_fNS9_4plusIvEEfEEDaPvRmT3_T4_T5_mT6_P12ihipStream_tbENKUlT_T0_E_clISt17integral_constantIbLb0EESU_EEDaSP_SQ_EUlSP_E0_NS1_11comp_targetILNS1_3genE9ELNS1_11target_archE1100ELNS1_3gpuE3ELNS1_3repE0EEENS1_30default_config_static_selectorELNS0_4arch9wavefront6targetE1EEEvT1_
    .private_segment_fixed_size: 0
    .sgpr_count:     4
    .sgpr_spill_count: 0
    .symbol:         _ZN7rocprim17ROCPRIM_400000_NS6detail17trampoline_kernelINS0_14default_configENS1_20scan_config_selectorIfEEZZNS1_9scan_implILNS1_25lookback_scan_determinismE0ELb1ELb1ES3_N6thrust23THRUST_200600_302600_NS6detail15normal_iteratorINS9_10device_ptrIfEEEESE_fNS9_4plusIvEEfEEDaPvRmT3_T4_T5_mT6_P12ihipStream_tbENKUlT_T0_E_clISt17integral_constantIbLb0EESU_EEDaSP_SQ_EUlSP_E0_NS1_11comp_targetILNS1_3genE9ELNS1_11target_archE1100ELNS1_3gpuE3ELNS1_3repE0EEENS1_30default_config_static_selectorELNS0_4arch9wavefront6targetE1EEEvT1_.kd
    .uniform_work_group_size: 1
    .uses_dynamic_stack: false
    .vgpr_count:     0
    .vgpr_spill_count: 0
    .wavefront_size: 64
  - .agpr_count:     0
    .args:
      - .offset:         0
        .size:           32
        .value_kind:     by_value
    .group_segment_fixed_size: 0
    .kernarg_segment_align: 8
    .kernarg_segment_size: 32
    .language:       OpenCL C
    .language_version:
      - 2
      - 0
    .max_flat_workgroup_size: 64
    .name:           _ZN7rocprim17ROCPRIM_400000_NS6detail17trampoline_kernelINS0_14default_configENS1_20scan_config_selectorIfEEZZNS1_9scan_implILNS1_25lookback_scan_determinismE0ELb1ELb1ES3_N6thrust23THRUST_200600_302600_NS6detail15normal_iteratorINS9_10device_ptrIfEEEESE_fNS9_4plusIvEEfEEDaPvRmT3_T4_T5_mT6_P12ihipStream_tbENKUlT_T0_E_clISt17integral_constantIbLb0EESU_EEDaSP_SQ_EUlSP_E0_NS1_11comp_targetILNS1_3genE8ELNS1_11target_archE1030ELNS1_3gpuE2ELNS1_3repE0EEENS1_30default_config_static_selectorELNS0_4arch9wavefront6targetE1EEEvT1_
    .private_segment_fixed_size: 0
    .sgpr_count:     4
    .sgpr_spill_count: 0
    .symbol:         _ZN7rocprim17ROCPRIM_400000_NS6detail17trampoline_kernelINS0_14default_configENS1_20scan_config_selectorIfEEZZNS1_9scan_implILNS1_25lookback_scan_determinismE0ELb1ELb1ES3_N6thrust23THRUST_200600_302600_NS6detail15normal_iteratorINS9_10device_ptrIfEEEESE_fNS9_4plusIvEEfEEDaPvRmT3_T4_T5_mT6_P12ihipStream_tbENKUlT_T0_E_clISt17integral_constantIbLb0EESU_EEDaSP_SQ_EUlSP_E0_NS1_11comp_targetILNS1_3genE8ELNS1_11target_archE1030ELNS1_3gpuE2ELNS1_3repE0EEENS1_30default_config_static_selectorELNS0_4arch9wavefront6targetE1EEEvT1_.kd
    .uniform_work_group_size: 1
    .uses_dynamic_stack: false
    .vgpr_count:     0
    .vgpr_spill_count: 0
    .wavefront_size: 64
  - .agpr_count:     0
    .args:
      - .offset:         0
        .size:           96
        .value_kind:     by_value
    .group_segment_fixed_size: 0
    .kernarg_segment_align: 8
    .kernarg_segment_size: 96
    .language:       OpenCL C
    .language_version:
      - 2
      - 0
    .max_flat_workgroup_size: 256
    .name:           _ZN7rocprim17ROCPRIM_400000_NS6detail17trampoline_kernelINS0_14default_configENS1_20scan_config_selectorIfEEZZNS1_9scan_implILNS1_25lookback_scan_determinismE0ELb1ELb1ES3_N6thrust23THRUST_200600_302600_NS6detail15normal_iteratorINS9_10device_ptrIfEEEESE_fNS9_4plusIvEEfEEDaPvRmT3_T4_T5_mT6_P12ihipStream_tbENKUlT_T0_E_clISt17integral_constantIbLb1EESU_EEDaSP_SQ_EUlSP_E_NS1_11comp_targetILNS1_3genE0ELNS1_11target_archE4294967295ELNS1_3gpuE0ELNS1_3repE0EEENS1_30default_config_static_selectorELNS0_4arch9wavefront6targetE1EEEvT1_
    .private_segment_fixed_size: 0
    .sgpr_count:     4
    .sgpr_spill_count: 0
    .symbol:         _ZN7rocprim17ROCPRIM_400000_NS6detail17trampoline_kernelINS0_14default_configENS1_20scan_config_selectorIfEEZZNS1_9scan_implILNS1_25lookback_scan_determinismE0ELb1ELb1ES3_N6thrust23THRUST_200600_302600_NS6detail15normal_iteratorINS9_10device_ptrIfEEEESE_fNS9_4plusIvEEfEEDaPvRmT3_T4_T5_mT6_P12ihipStream_tbENKUlT_T0_E_clISt17integral_constantIbLb1EESU_EEDaSP_SQ_EUlSP_E_NS1_11comp_targetILNS1_3genE0ELNS1_11target_archE4294967295ELNS1_3gpuE0ELNS1_3repE0EEENS1_30default_config_static_selectorELNS0_4arch9wavefront6targetE1EEEvT1_.kd
    .uniform_work_group_size: 1
    .uses_dynamic_stack: false
    .vgpr_count:     0
    .vgpr_spill_count: 0
    .wavefront_size: 64
  - .agpr_count:     0
    .args:
      - .offset:         0
        .size:           96
        .value_kind:     by_value
    .group_segment_fixed_size: 0
    .kernarg_segment_align: 8
    .kernarg_segment_size: 96
    .language:       OpenCL C
    .language_version:
      - 2
      - 0
    .max_flat_workgroup_size: 256
    .name:           _ZN7rocprim17ROCPRIM_400000_NS6detail17trampoline_kernelINS0_14default_configENS1_20scan_config_selectorIfEEZZNS1_9scan_implILNS1_25lookback_scan_determinismE0ELb1ELb1ES3_N6thrust23THRUST_200600_302600_NS6detail15normal_iteratorINS9_10device_ptrIfEEEESE_fNS9_4plusIvEEfEEDaPvRmT3_T4_T5_mT6_P12ihipStream_tbENKUlT_T0_E_clISt17integral_constantIbLb1EESU_EEDaSP_SQ_EUlSP_E_NS1_11comp_targetILNS1_3genE5ELNS1_11target_archE942ELNS1_3gpuE9ELNS1_3repE0EEENS1_30default_config_static_selectorELNS0_4arch9wavefront6targetE1EEEvT1_
    .private_segment_fixed_size: 0
    .sgpr_count:     4
    .sgpr_spill_count: 0
    .symbol:         _ZN7rocprim17ROCPRIM_400000_NS6detail17trampoline_kernelINS0_14default_configENS1_20scan_config_selectorIfEEZZNS1_9scan_implILNS1_25lookback_scan_determinismE0ELb1ELb1ES3_N6thrust23THRUST_200600_302600_NS6detail15normal_iteratorINS9_10device_ptrIfEEEESE_fNS9_4plusIvEEfEEDaPvRmT3_T4_T5_mT6_P12ihipStream_tbENKUlT_T0_E_clISt17integral_constantIbLb1EESU_EEDaSP_SQ_EUlSP_E_NS1_11comp_targetILNS1_3genE5ELNS1_11target_archE942ELNS1_3gpuE9ELNS1_3repE0EEENS1_30default_config_static_selectorELNS0_4arch9wavefront6targetE1EEEvT1_.kd
    .uniform_work_group_size: 1
    .uses_dynamic_stack: false
    .vgpr_count:     0
    .vgpr_spill_count: 0
    .wavefront_size: 64
  - .agpr_count:     0
    .args:
      - .offset:         0
        .size:           96
        .value_kind:     by_value
    .group_segment_fixed_size: 7168
    .kernarg_segment_align: 8
    .kernarg_segment_size: 96
    .language:       OpenCL C
    .language_version:
      - 2
      - 0
    .max_flat_workgroup_size: 128
    .name:           _ZN7rocprim17ROCPRIM_400000_NS6detail17trampoline_kernelINS0_14default_configENS1_20scan_config_selectorIfEEZZNS1_9scan_implILNS1_25lookback_scan_determinismE0ELb1ELb1ES3_N6thrust23THRUST_200600_302600_NS6detail15normal_iteratorINS9_10device_ptrIfEEEESE_fNS9_4plusIvEEfEEDaPvRmT3_T4_T5_mT6_P12ihipStream_tbENKUlT_T0_E_clISt17integral_constantIbLb1EESU_EEDaSP_SQ_EUlSP_E_NS1_11comp_targetILNS1_3genE4ELNS1_11target_archE910ELNS1_3gpuE8ELNS1_3repE0EEENS1_30default_config_static_selectorELNS0_4arch9wavefront6targetE1EEEvT1_
    .private_segment_fixed_size: 0
    .sgpr_count:     45
    .sgpr_spill_count: 0
    .symbol:         _ZN7rocprim17ROCPRIM_400000_NS6detail17trampoline_kernelINS0_14default_configENS1_20scan_config_selectorIfEEZZNS1_9scan_implILNS1_25lookback_scan_determinismE0ELb1ELb1ES3_N6thrust23THRUST_200600_302600_NS6detail15normal_iteratorINS9_10device_ptrIfEEEESE_fNS9_4plusIvEEfEEDaPvRmT3_T4_T5_mT6_P12ihipStream_tbENKUlT_T0_E_clISt17integral_constantIbLb1EESU_EEDaSP_SQ_EUlSP_E_NS1_11comp_targetILNS1_3genE4ELNS1_11target_archE910ELNS1_3gpuE8ELNS1_3repE0EEENS1_30default_config_static_selectorELNS0_4arch9wavefront6targetE1EEEvT1_.kd
    .uniform_work_group_size: 1
    .uses_dynamic_stack: false
    .vgpr_count:     49
    .vgpr_spill_count: 0
    .wavefront_size: 64
  - .agpr_count:     0
    .args:
      - .offset:         0
        .size:           96
        .value_kind:     by_value
    .group_segment_fixed_size: 0
    .kernarg_segment_align: 8
    .kernarg_segment_size: 96
    .language:       OpenCL C
    .language_version:
      - 2
      - 0
    .max_flat_workgroup_size: 256
    .name:           _ZN7rocprim17ROCPRIM_400000_NS6detail17trampoline_kernelINS0_14default_configENS1_20scan_config_selectorIfEEZZNS1_9scan_implILNS1_25lookback_scan_determinismE0ELb1ELb1ES3_N6thrust23THRUST_200600_302600_NS6detail15normal_iteratorINS9_10device_ptrIfEEEESE_fNS9_4plusIvEEfEEDaPvRmT3_T4_T5_mT6_P12ihipStream_tbENKUlT_T0_E_clISt17integral_constantIbLb1EESU_EEDaSP_SQ_EUlSP_E_NS1_11comp_targetILNS1_3genE3ELNS1_11target_archE908ELNS1_3gpuE7ELNS1_3repE0EEENS1_30default_config_static_selectorELNS0_4arch9wavefront6targetE1EEEvT1_
    .private_segment_fixed_size: 0
    .sgpr_count:     4
    .sgpr_spill_count: 0
    .symbol:         _ZN7rocprim17ROCPRIM_400000_NS6detail17trampoline_kernelINS0_14default_configENS1_20scan_config_selectorIfEEZZNS1_9scan_implILNS1_25lookback_scan_determinismE0ELb1ELb1ES3_N6thrust23THRUST_200600_302600_NS6detail15normal_iteratorINS9_10device_ptrIfEEEESE_fNS9_4plusIvEEfEEDaPvRmT3_T4_T5_mT6_P12ihipStream_tbENKUlT_T0_E_clISt17integral_constantIbLb1EESU_EEDaSP_SQ_EUlSP_E_NS1_11comp_targetILNS1_3genE3ELNS1_11target_archE908ELNS1_3gpuE7ELNS1_3repE0EEENS1_30default_config_static_selectorELNS0_4arch9wavefront6targetE1EEEvT1_.kd
    .uniform_work_group_size: 1
    .uses_dynamic_stack: false
    .vgpr_count:     0
    .vgpr_spill_count: 0
    .wavefront_size: 64
  - .agpr_count:     0
    .args:
      - .offset:         0
        .size:           96
        .value_kind:     by_value
    .group_segment_fixed_size: 0
    .kernarg_segment_align: 8
    .kernarg_segment_size: 96
    .language:       OpenCL C
    .language_version:
      - 2
      - 0
    .max_flat_workgroup_size: 256
    .name:           _ZN7rocprim17ROCPRIM_400000_NS6detail17trampoline_kernelINS0_14default_configENS1_20scan_config_selectorIfEEZZNS1_9scan_implILNS1_25lookback_scan_determinismE0ELb1ELb1ES3_N6thrust23THRUST_200600_302600_NS6detail15normal_iteratorINS9_10device_ptrIfEEEESE_fNS9_4plusIvEEfEEDaPvRmT3_T4_T5_mT6_P12ihipStream_tbENKUlT_T0_E_clISt17integral_constantIbLb1EESU_EEDaSP_SQ_EUlSP_E_NS1_11comp_targetILNS1_3genE2ELNS1_11target_archE906ELNS1_3gpuE6ELNS1_3repE0EEENS1_30default_config_static_selectorELNS0_4arch9wavefront6targetE1EEEvT1_
    .private_segment_fixed_size: 0
    .sgpr_count:     4
    .sgpr_spill_count: 0
    .symbol:         _ZN7rocprim17ROCPRIM_400000_NS6detail17trampoline_kernelINS0_14default_configENS1_20scan_config_selectorIfEEZZNS1_9scan_implILNS1_25lookback_scan_determinismE0ELb1ELb1ES3_N6thrust23THRUST_200600_302600_NS6detail15normal_iteratorINS9_10device_ptrIfEEEESE_fNS9_4plusIvEEfEEDaPvRmT3_T4_T5_mT6_P12ihipStream_tbENKUlT_T0_E_clISt17integral_constantIbLb1EESU_EEDaSP_SQ_EUlSP_E_NS1_11comp_targetILNS1_3genE2ELNS1_11target_archE906ELNS1_3gpuE6ELNS1_3repE0EEENS1_30default_config_static_selectorELNS0_4arch9wavefront6targetE1EEEvT1_.kd
    .uniform_work_group_size: 1
    .uses_dynamic_stack: false
    .vgpr_count:     0
    .vgpr_spill_count: 0
    .wavefront_size: 64
  - .agpr_count:     0
    .args:
      - .offset:         0
        .size:           96
        .value_kind:     by_value
    .group_segment_fixed_size: 0
    .kernarg_segment_align: 8
    .kernarg_segment_size: 96
    .language:       OpenCL C
    .language_version:
      - 2
      - 0
    .max_flat_workgroup_size: 256
    .name:           _ZN7rocprim17ROCPRIM_400000_NS6detail17trampoline_kernelINS0_14default_configENS1_20scan_config_selectorIfEEZZNS1_9scan_implILNS1_25lookback_scan_determinismE0ELb1ELb1ES3_N6thrust23THRUST_200600_302600_NS6detail15normal_iteratorINS9_10device_ptrIfEEEESE_fNS9_4plusIvEEfEEDaPvRmT3_T4_T5_mT6_P12ihipStream_tbENKUlT_T0_E_clISt17integral_constantIbLb1EESU_EEDaSP_SQ_EUlSP_E_NS1_11comp_targetILNS1_3genE10ELNS1_11target_archE1201ELNS1_3gpuE5ELNS1_3repE0EEENS1_30default_config_static_selectorELNS0_4arch9wavefront6targetE1EEEvT1_
    .private_segment_fixed_size: 0
    .sgpr_count:     4
    .sgpr_spill_count: 0
    .symbol:         _ZN7rocprim17ROCPRIM_400000_NS6detail17trampoline_kernelINS0_14default_configENS1_20scan_config_selectorIfEEZZNS1_9scan_implILNS1_25lookback_scan_determinismE0ELb1ELb1ES3_N6thrust23THRUST_200600_302600_NS6detail15normal_iteratorINS9_10device_ptrIfEEEESE_fNS9_4plusIvEEfEEDaPvRmT3_T4_T5_mT6_P12ihipStream_tbENKUlT_T0_E_clISt17integral_constantIbLb1EESU_EEDaSP_SQ_EUlSP_E_NS1_11comp_targetILNS1_3genE10ELNS1_11target_archE1201ELNS1_3gpuE5ELNS1_3repE0EEENS1_30default_config_static_selectorELNS0_4arch9wavefront6targetE1EEEvT1_.kd
    .uniform_work_group_size: 1
    .uses_dynamic_stack: false
    .vgpr_count:     0
    .vgpr_spill_count: 0
    .wavefront_size: 64
  - .agpr_count:     0
    .args:
      - .offset:         0
        .size:           96
        .value_kind:     by_value
    .group_segment_fixed_size: 0
    .kernarg_segment_align: 8
    .kernarg_segment_size: 96
    .language:       OpenCL C
    .language_version:
      - 2
      - 0
    .max_flat_workgroup_size: 256
    .name:           _ZN7rocprim17ROCPRIM_400000_NS6detail17trampoline_kernelINS0_14default_configENS1_20scan_config_selectorIfEEZZNS1_9scan_implILNS1_25lookback_scan_determinismE0ELb1ELb1ES3_N6thrust23THRUST_200600_302600_NS6detail15normal_iteratorINS9_10device_ptrIfEEEESE_fNS9_4plusIvEEfEEDaPvRmT3_T4_T5_mT6_P12ihipStream_tbENKUlT_T0_E_clISt17integral_constantIbLb1EESU_EEDaSP_SQ_EUlSP_E_NS1_11comp_targetILNS1_3genE10ELNS1_11target_archE1200ELNS1_3gpuE4ELNS1_3repE0EEENS1_30default_config_static_selectorELNS0_4arch9wavefront6targetE1EEEvT1_
    .private_segment_fixed_size: 0
    .sgpr_count:     4
    .sgpr_spill_count: 0
    .symbol:         _ZN7rocprim17ROCPRIM_400000_NS6detail17trampoline_kernelINS0_14default_configENS1_20scan_config_selectorIfEEZZNS1_9scan_implILNS1_25lookback_scan_determinismE0ELb1ELb1ES3_N6thrust23THRUST_200600_302600_NS6detail15normal_iteratorINS9_10device_ptrIfEEEESE_fNS9_4plusIvEEfEEDaPvRmT3_T4_T5_mT6_P12ihipStream_tbENKUlT_T0_E_clISt17integral_constantIbLb1EESU_EEDaSP_SQ_EUlSP_E_NS1_11comp_targetILNS1_3genE10ELNS1_11target_archE1200ELNS1_3gpuE4ELNS1_3repE0EEENS1_30default_config_static_selectorELNS0_4arch9wavefront6targetE1EEEvT1_.kd
    .uniform_work_group_size: 1
    .uses_dynamic_stack: false
    .vgpr_count:     0
    .vgpr_spill_count: 0
    .wavefront_size: 64
  - .agpr_count:     0
    .args:
      - .offset:         0
        .size:           96
        .value_kind:     by_value
    .group_segment_fixed_size: 0
    .kernarg_segment_align: 8
    .kernarg_segment_size: 96
    .language:       OpenCL C
    .language_version:
      - 2
      - 0
    .max_flat_workgroup_size: 256
    .name:           _ZN7rocprim17ROCPRIM_400000_NS6detail17trampoline_kernelINS0_14default_configENS1_20scan_config_selectorIfEEZZNS1_9scan_implILNS1_25lookback_scan_determinismE0ELb1ELb1ES3_N6thrust23THRUST_200600_302600_NS6detail15normal_iteratorINS9_10device_ptrIfEEEESE_fNS9_4plusIvEEfEEDaPvRmT3_T4_T5_mT6_P12ihipStream_tbENKUlT_T0_E_clISt17integral_constantIbLb1EESU_EEDaSP_SQ_EUlSP_E_NS1_11comp_targetILNS1_3genE9ELNS1_11target_archE1100ELNS1_3gpuE3ELNS1_3repE0EEENS1_30default_config_static_selectorELNS0_4arch9wavefront6targetE1EEEvT1_
    .private_segment_fixed_size: 0
    .sgpr_count:     4
    .sgpr_spill_count: 0
    .symbol:         _ZN7rocprim17ROCPRIM_400000_NS6detail17trampoline_kernelINS0_14default_configENS1_20scan_config_selectorIfEEZZNS1_9scan_implILNS1_25lookback_scan_determinismE0ELb1ELb1ES3_N6thrust23THRUST_200600_302600_NS6detail15normal_iteratorINS9_10device_ptrIfEEEESE_fNS9_4plusIvEEfEEDaPvRmT3_T4_T5_mT6_P12ihipStream_tbENKUlT_T0_E_clISt17integral_constantIbLb1EESU_EEDaSP_SQ_EUlSP_E_NS1_11comp_targetILNS1_3genE9ELNS1_11target_archE1100ELNS1_3gpuE3ELNS1_3repE0EEENS1_30default_config_static_selectorELNS0_4arch9wavefront6targetE1EEEvT1_.kd
    .uniform_work_group_size: 1
    .uses_dynamic_stack: false
    .vgpr_count:     0
    .vgpr_spill_count: 0
    .wavefront_size: 64
  - .agpr_count:     0
    .args:
      - .offset:         0
        .size:           96
        .value_kind:     by_value
    .group_segment_fixed_size: 0
    .kernarg_segment_align: 8
    .kernarg_segment_size: 96
    .language:       OpenCL C
    .language_version:
      - 2
      - 0
    .max_flat_workgroup_size: 64
    .name:           _ZN7rocprim17ROCPRIM_400000_NS6detail17trampoline_kernelINS0_14default_configENS1_20scan_config_selectorIfEEZZNS1_9scan_implILNS1_25lookback_scan_determinismE0ELb1ELb1ES3_N6thrust23THRUST_200600_302600_NS6detail15normal_iteratorINS9_10device_ptrIfEEEESE_fNS9_4plusIvEEfEEDaPvRmT3_T4_T5_mT6_P12ihipStream_tbENKUlT_T0_E_clISt17integral_constantIbLb1EESU_EEDaSP_SQ_EUlSP_E_NS1_11comp_targetILNS1_3genE8ELNS1_11target_archE1030ELNS1_3gpuE2ELNS1_3repE0EEENS1_30default_config_static_selectorELNS0_4arch9wavefront6targetE1EEEvT1_
    .private_segment_fixed_size: 0
    .sgpr_count:     4
    .sgpr_spill_count: 0
    .symbol:         _ZN7rocprim17ROCPRIM_400000_NS6detail17trampoline_kernelINS0_14default_configENS1_20scan_config_selectorIfEEZZNS1_9scan_implILNS1_25lookback_scan_determinismE0ELb1ELb1ES3_N6thrust23THRUST_200600_302600_NS6detail15normal_iteratorINS9_10device_ptrIfEEEESE_fNS9_4plusIvEEfEEDaPvRmT3_T4_T5_mT6_P12ihipStream_tbENKUlT_T0_E_clISt17integral_constantIbLb1EESU_EEDaSP_SQ_EUlSP_E_NS1_11comp_targetILNS1_3genE8ELNS1_11target_archE1030ELNS1_3gpuE2ELNS1_3repE0EEENS1_30default_config_static_selectorELNS0_4arch9wavefront6targetE1EEEvT1_.kd
    .uniform_work_group_size: 1
    .uses_dynamic_stack: false
    .vgpr_count:     0
    .vgpr_spill_count: 0
    .wavefront_size: 64
  - .agpr_count:     0
    .args:
      - .offset:         0
        .size:           32
        .value_kind:     by_value
    .group_segment_fixed_size: 0
    .kernarg_segment_align: 8
    .kernarg_segment_size: 32
    .language:       OpenCL C
    .language_version:
      - 2
      - 0
    .max_flat_workgroup_size: 256
    .name:           _ZN7rocprim17ROCPRIM_400000_NS6detail17trampoline_kernelINS0_14default_configENS1_20scan_config_selectorIfEEZZNS1_9scan_implILNS1_25lookback_scan_determinismE0ELb1ELb1ES3_N6thrust23THRUST_200600_302600_NS6detail15normal_iteratorINS9_10device_ptrIfEEEESE_fNS9_4plusIvEEfEEDaPvRmT3_T4_T5_mT6_P12ihipStream_tbENKUlT_T0_E_clISt17integral_constantIbLb1EESU_EEDaSP_SQ_EUlSP_E0_NS1_11comp_targetILNS1_3genE0ELNS1_11target_archE4294967295ELNS1_3gpuE0ELNS1_3repE0EEENS1_30default_config_static_selectorELNS0_4arch9wavefront6targetE1EEEvT1_
    .private_segment_fixed_size: 0
    .sgpr_count:     4
    .sgpr_spill_count: 0
    .symbol:         _ZN7rocprim17ROCPRIM_400000_NS6detail17trampoline_kernelINS0_14default_configENS1_20scan_config_selectorIfEEZZNS1_9scan_implILNS1_25lookback_scan_determinismE0ELb1ELb1ES3_N6thrust23THRUST_200600_302600_NS6detail15normal_iteratorINS9_10device_ptrIfEEEESE_fNS9_4plusIvEEfEEDaPvRmT3_T4_T5_mT6_P12ihipStream_tbENKUlT_T0_E_clISt17integral_constantIbLb1EESU_EEDaSP_SQ_EUlSP_E0_NS1_11comp_targetILNS1_3genE0ELNS1_11target_archE4294967295ELNS1_3gpuE0ELNS1_3repE0EEENS1_30default_config_static_selectorELNS0_4arch9wavefront6targetE1EEEvT1_.kd
    .uniform_work_group_size: 1
    .uses_dynamic_stack: false
    .vgpr_count:     0
    .vgpr_spill_count: 0
    .wavefront_size: 64
  - .agpr_count:     0
    .args:
      - .offset:         0
        .size:           32
        .value_kind:     by_value
    .group_segment_fixed_size: 0
    .kernarg_segment_align: 8
    .kernarg_segment_size: 32
    .language:       OpenCL C
    .language_version:
      - 2
      - 0
    .max_flat_workgroup_size: 256
    .name:           _ZN7rocprim17ROCPRIM_400000_NS6detail17trampoline_kernelINS0_14default_configENS1_20scan_config_selectorIfEEZZNS1_9scan_implILNS1_25lookback_scan_determinismE0ELb1ELb1ES3_N6thrust23THRUST_200600_302600_NS6detail15normal_iteratorINS9_10device_ptrIfEEEESE_fNS9_4plusIvEEfEEDaPvRmT3_T4_T5_mT6_P12ihipStream_tbENKUlT_T0_E_clISt17integral_constantIbLb1EESU_EEDaSP_SQ_EUlSP_E0_NS1_11comp_targetILNS1_3genE5ELNS1_11target_archE942ELNS1_3gpuE9ELNS1_3repE0EEENS1_30default_config_static_selectorELNS0_4arch9wavefront6targetE1EEEvT1_
    .private_segment_fixed_size: 0
    .sgpr_count:     4
    .sgpr_spill_count: 0
    .symbol:         _ZN7rocprim17ROCPRIM_400000_NS6detail17trampoline_kernelINS0_14default_configENS1_20scan_config_selectorIfEEZZNS1_9scan_implILNS1_25lookback_scan_determinismE0ELb1ELb1ES3_N6thrust23THRUST_200600_302600_NS6detail15normal_iteratorINS9_10device_ptrIfEEEESE_fNS9_4plusIvEEfEEDaPvRmT3_T4_T5_mT6_P12ihipStream_tbENKUlT_T0_E_clISt17integral_constantIbLb1EESU_EEDaSP_SQ_EUlSP_E0_NS1_11comp_targetILNS1_3genE5ELNS1_11target_archE942ELNS1_3gpuE9ELNS1_3repE0EEENS1_30default_config_static_selectorELNS0_4arch9wavefront6targetE1EEEvT1_.kd
    .uniform_work_group_size: 1
    .uses_dynamic_stack: false
    .vgpr_count:     0
    .vgpr_spill_count: 0
    .wavefront_size: 64
  - .agpr_count:     0
    .args:
      - .offset:         0
        .size:           32
        .value_kind:     by_value
    .group_segment_fixed_size: 7168
    .kernarg_segment_align: 8
    .kernarg_segment_size: 32
    .language:       OpenCL C
    .language_version:
      - 2
      - 0
    .max_flat_workgroup_size: 128
    .name:           _ZN7rocprim17ROCPRIM_400000_NS6detail17trampoline_kernelINS0_14default_configENS1_20scan_config_selectorIfEEZZNS1_9scan_implILNS1_25lookback_scan_determinismE0ELb1ELb1ES3_N6thrust23THRUST_200600_302600_NS6detail15normal_iteratorINS9_10device_ptrIfEEEESE_fNS9_4plusIvEEfEEDaPvRmT3_T4_T5_mT6_P12ihipStream_tbENKUlT_T0_E_clISt17integral_constantIbLb1EESU_EEDaSP_SQ_EUlSP_E0_NS1_11comp_targetILNS1_3genE4ELNS1_11target_archE910ELNS1_3gpuE8ELNS1_3repE0EEENS1_30default_config_static_selectorELNS0_4arch9wavefront6targetE1EEEvT1_
    .private_segment_fixed_size: 0
    .sgpr_count:     42
    .sgpr_spill_count: 0
    .symbol:         _ZN7rocprim17ROCPRIM_400000_NS6detail17trampoline_kernelINS0_14default_configENS1_20scan_config_selectorIfEEZZNS1_9scan_implILNS1_25lookback_scan_determinismE0ELb1ELb1ES3_N6thrust23THRUST_200600_302600_NS6detail15normal_iteratorINS9_10device_ptrIfEEEESE_fNS9_4plusIvEEfEEDaPvRmT3_T4_T5_mT6_P12ihipStream_tbENKUlT_T0_E_clISt17integral_constantIbLb1EESU_EEDaSP_SQ_EUlSP_E0_NS1_11comp_targetILNS1_3genE4ELNS1_11target_archE910ELNS1_3gpuE8ELNS1_3repE0EEENS1_30default_config_static_selectorELNS0_4arch9wavefront6targetE1EEEvT1_.kd
    .uniform_work_group_size: 1
    .uses_dynamic_stack: false
    .vgpr_count:     24
    .vgpr_spill_count: 0
    .wavefront_size: 64
  - .agpr_count:     0
    .args:
      - .offset:         0
        .size:           32
        .value_kind:     by_value
    .group_segment_fixed_size: 0
    .kernarg_segment_align: 8
    .kernarg_segment_size: 32
    .language:       OpenCL C
    .language_version:
      - 2
      - 0
    .max_flat_workgroup_size: 256
    .name:           _ZN7rocprim17ROCPRIM_400000_NS6detail17trampoline_kernelINS0_14default_configENS1_20scan_config_selectorIfEEZZNS1_9scan_implILNS1_25lookback_scan_determinismE0ELb1ELb1ES3_N6thrust23THRUST_200600_302600_NS6detail15normal_iteratorINS9_10device_ptrIfEEEESE_fNS9_4plusIvEEfEEDaPvRmT3_T4_T5_mT6_P12ihipStream_tbENKUlT_T0_E_clISt17integral_constantIbLb1EESU_EEDaSP_SQ_EUlSP_E0_NS1_11comp_targetILNS1_3genE3ELNS1_11target_archE908ELNS1_3gpuE7ELNS1_3repE0EEENS1_30default_config_static_selectorELNS0_4arch9wavefront6targetE1EEEvT1_
    .private_segment_fixed_size: 0
    .sgpr_count:     4
    .sgpr_spill_count: 0
    .symbol:         _ZN7rocprim17ROCPRIM_400000_NS6detail17trampoline_kernelINS0_14default_configENS1_20scan_config_selectorIfEEZZNS1_9scan_implILNS1_25lookback_scan_determinismE0ELb1ELb1ES3_N6thrust23THRUST_200600_302600_NS6detail15normal_iteratorINS9_10device_ptrIfEEEESE_fNS9_4plusIvEEfEEDaPvRmT3_T4_T5_mT6_P12ihipStream_tbENKUlT_T0_E_clISt17integral_constantIbLb1EESU_EEDaSP_SQ_EUlSP_E0_NS1_11comp_targetILNS1_3genE3ELNS1_11target_archE908ELNS1_3gpuE7ELNS1_3repE0EEENS1_30default_config_static_selectorELNS0_4arch9wavefront6targetE1EEEvT1_.kd
    .uniform_work_group_size: 1
    .uses_dynamic_stack: false
    .vgpr_count:     0
    .vgpr_spill_count: 0
    .wavefront_size: 64
  - .agpr_count:     0
    .args:
      - .offset:         0
        .size:           32
        .value_kind:     by_value
    .group_segment_fixed_size: 0
    .kernarg_segment_align: 8
    .kernarg_segment_size: 32
    .language:       OpenCL C
    .language_version:
      - 2
      - 0
    .max_flat_workgroup_size: 256
    .name:           _ZN7rocprim17ROCPRIM_400000_NS6detail17trampoline_kernelINS0_14default_configENS1_20scan_config_selectorIfEEZZNS1_9scan_implILNS1_25lookback_scan_determinismE0ELb1ELb1ES3_N6thrust23THRUST_200600_302600_NS6detail15normal_iteratorINS9_10device_ptrIfEEEESE_fNS9_4plusIvEEfEEDaPvRmT3_T4_T5_mT6_P12ihipStream_tbENKUlT_T0_E_clISt17integral_constantIbLb1EESU_EEDaSP_SQ_EUlSP_E0_NS1_11comp_targetILNS1_3genE2ELNS1_11target_archE906ELNS1_3gpuE6ELNS1_3repE0EEENS1_30default_config_static_selectorELNS0_4arch9wavefront6targetE1EEEvT1_
    .private_segment_fixed_size: 0
    .sgpr_count:     4
    .sgpr_spill_count: 0
    .symbol:         _ZN7rocprim17ROCPRIM_400000_NS6detail17trampoline_kernelINS0_14default_configENS1_20scan_config_selectorIfEEZZNS1_9scan_implILNS1_25lookback_scan_determinismE0ELb1ELb1ES3_N6thrust23THRUST_200600_302600_NS6detail15normal_iteratorINS9_10device_ptrIfEEEESE_fNS9_4plusIvEEfEEDaPvRmT3_T4_T5_mT6_P12ihipStream_tbENKUlT_T0_E_clISt17integral_constantIbLb1EESU_EEDaSP_SQ_EUlSP_E0_NS1_11comp_targetILNS1_3genE2ELNS1_11target_archE906ELNS1_3gpuE6ELNS1_3repE0EEENS1_30default_config_static_selectorELNS0_4arch9wavefront6targetE1EEEvT1_.kd
    .uniform_work_group_size: 1
    .uses_dynamic_stack: false
    .vgpr_count:     0
    .vgpr_spill_count: 0
    .wavefront_size: 64
  - .agpr_count:     0
    .args:
      - .offset:         0
        .size:           32
        .value_kind:     by_value
    .group_segment_fixed_size: 0
    .kernarg_segment_align: 8
    .kernarg_segment_size: 32
    .language:       OpenCL C
    .language_version:
      - 2
      - 0
    .max_flat_workgroup_size: 256
    .name:           _ZN7rocprim17ROCPRIM_400000_NS6detail17trampoline_kernelINS0_14default_configENS1_20scan_config_selectorIfEEZZNS1_9scan_implILNS1_25lookback_scan_determinismE0ELb1ELb1ES3_N6thrust23THRUST_200600_302600_NS6detail15normal_iteratorINS9_10device_ptrIfEEEESE_fNS9_4plusIvEEfEEDaPvRmT3_T4_T5_mT6_P12ihipStream_tbENKUlT_T0_E_clISt17integral_constantIbLb1EESU_EEDaSP_SQ_EUlSP_E0_NS1_11comp_targetILNS1_3genE10ELNS1_11target_archE1201ELNS1_3gpuE5ELNS1_3repE0EEENS1_30default_config_static_selectorELNS0_4arch9wavefront6targetE1EEEvT1_
    .private_segment_fixed_size: 0
    .sgpr_count:     4
    .sgpr_spill_count: 0
    .symbol:         _ZN7rocprim17ROCPRIM_400000_NS6detail17trampoline_kernelINS0_14default_configENS1_20scan_config_selectorIfEEZZNS1_9scan_implILNS1_25lookback_scan_determinismE0ELb1ELb1ES3_N6thrust23THRUST_200600_302600_NS6detail15normal_iteratorINS9_10device_ptrIfEEEESE_fNS9_4plusIvEEfEEDaPvRmT3_T4_T5_mT6_P12ihipStream_tbENKUlT_T0_E_clISt17integral_constantIbLb1EESU_EEDaSP_SQ_EUlSP_E0_NS1_11comp_targetILNS1_3genE10ELNS1_11target_archE1201ELNS1_3gpuE5ELNS1_3repE0EEENS1_30default_config_static_selectorELNS0_4arch9wavefront6targetE1EEEvT1_.kd
    .uniform_work_group_size: 1
    .uses_dynamic_stack: false
    .vgpr_count:     0
    .vgpr_spill_count: 0
    .wavefront_size: 64
  - .agpr_count:     0
    .args:
      - .offset:         0
        .size:           32
        .value_kind:     by_value
    .group_segment_fixed_size: 0
    .kernarg_segment_align: 8
    .kernarg_segment_size: 32
    .language:       OpenCL C
    .language_version:
      - 2
      - 0
    .max_flat_workgroup_size: 256
    .name:           _ZN7rocprim17ROCPRIM_400000_NS6detail17trampoline_kernelINS0_14default_configENS1_20scan_config_selectorIfEEZZNS1_9scan_implILNS1_25lookback_scan_determinismE0ELb1ELb1ES3_N6thrust23THRUST_200600_302600_NS6detail15normal_iteratorINS9_10device_ptrIfEEEESE_fNS9_4plusIvEEfEEDaPvRmT3_T4_T5_mT6_P12ihipStream_tbENKUlT_T0_E_clISt17integral_constantIbLb1EESU_EEDaSP_SQ_EUlSP_E0_NS1_11comp_targetILNS1_3genE10ELNS1_11target_archE1200ELNS1_3gpuE4ELNS1_3repE0EEENS1_30default_config_static_selectorELNS0_4arch9wavefront6targetE1EEEvT1_
    .private_segment_fixed_size: 0
    .sgpr_count:     4
    .sgpr_spill_count: 0
    .symbol:         _ZN7rocprim17ROCPRIM_400000_NS6detail17trampoline_kernelINS0_14default_configENS1_20scan_config_selectorIfEEZZNS1_9scan_implILNS1_25lookback_scan_determinismE0ELb1ELb1ES3_N6thrust23THRUST_200600_302600_NS6detail15normal_iteratorINS9_10device_ptrIfEEEESE_fNS9_4plusIvEEfEEDaPvRmT3_T4_T5_mT6_P12ihipStream_tbENKUlT_T0_E_clISt17integral_constantIbLb1EESU_EEDaSP_SQ_EUlSP_E0_NS1_11comp_targetILNS1_3genE10ELNS1_11target_archE1200ELNS1_3gpuE4ELNS1_3repE0EEENS1_30default_config_static_selectorELNS0_4arch9wavefront6targetE1EEEvT1_.kd
    .uniform_work_group_size: 1
    .uses_dynamic_stack: false
    .vgpr_count:     0
    .vgpr_spill_count: 0
    .wavefront_size: 64
  - .agpr_count:     0
    .args:
      - .offset:         0
        .size:           32
        .value_kind:     by_value
    .group_segment_fixed_size: 0
    .kernarg_segment_align: 8
    .kernarg_segment_size: 32
    .language:       OpenCL C
    .language_version:
      - 2
      - 0
    .max_flat_workgroup_size: 256
    .name:           _ZN7rocprim17ROCPRIM_400000_NS6detail17trampoline_kernelINS0_14default_configENS1_20scan_config_selectorIfEEZZNS1_9scan_implILNS1_25lookback_scan_determinismE0ELb1ELb1ES3_N6thrust23THRUST_200600_302600_NS6detail15normal_iteratorINS9_10device_ptrIfEEEESE_fNS9_4plusIvEEfEEDaPvRmT3_T4_T5_mT6_P12ihipStream_tbENKUlT_T0_E_clISt17integral_constantIbLb1EESU_EEDaSP_SQ_EUlSP_E0_NS1_11comp_targetILNS1_3genE9ELNS1_11target_archE1100ELNS1_3gpuE3ELNS1_3repE0EEENS1_30default_config_static_selectorELNS0_4arch9wavefront6targetE1EEEvT1_
    .private_segment_fixed_size: 0
    .sgpr_count:     4
    .sgpr_spill_count: 0
    .symbol:         _ZN7rocprim17ROCPRIM_400000_NS6detail17trampoline_kernelINS0_14default_configENS1_20scan_config_selectorIfEEZZNS1_9scan_implILNS1_25lookback_scan_determinismE0ELb1ELb1ES3_N6thrust23THRUST_200600_302600_NS6detail15normal_iteratorINS9_10device_ptrIfEEEESE_fNS9_4plusIvEEfEEDaPvRmT3_T4_T5_mT6_P12ihipStream_tbENKUlT_T0_E_clISt17integral_constantIbLb1EESU_EEDaSP_SQ_EUlSP_E0_NS1_11comp_targetILNS1_3genE9ELNS1_11target_archE1100ELNS1_3gpuE3ELNS1_3repE0EEENS1_30default_config_static_selectorELNS0_4arch9wavefront6targetE1EEEvT1_.kd
    .uniform_work_group_size: 1
    .uses_dynamic_stack: false
    .vgpr_count:     0
    .vgpr_spill_count: 0
    .wavefront_size: 64
  - .agpr_count:     0
    .args:
      - .offset:         0
        .size:           32
        .value_kind:     by_value
    .group_segment_fixed_size: 0
    .kernarg_segment_align: 8
    .kernarg_segment_size: 32
    .language:       OpenCL C
    .language_version:
      - 2
      - 0
    .max_flat_workgroup_size: 64
    .name:           _ZN7rocprim17ROCPRIM_400000_NS6detail17trampoline_kernelINS0_14default_configENS1_20scan_config_selectorIfEEZZNS1_9scan_implILNS1_25lookback_scan_determinismE0ELb1ELb1ES3_N6thrust23THRUST_200600_302600_NS6detail15normal_iteratorINS9_10device_ptrIfEEEESE_fNS9_4plusIvEEfEEDaPvRmT3_T4_T5_mT6_P12ihipStream_tbENKUlT_T0_E_clISt17integral_constantIbLb1EESU_EEDaSP_SQ_EUlSP_E0_NS1_11comp_targetILNS1_3genE8ELNS1_11target_archE1030ELNS1_3gpuE2ELNS1_3repE0EEENS1_30default_config_static_selectorELNS0_4arch9wavefront6targetE1EEEvT1_
    .private_segment_fixed_size: 0
    .sgpr_count:     4
    .sgpr_spill_count: 0
    .symbol:         _ZN7rocprim17ROCPRIM_400000_NS6detail17trampoline_kernelINS0_14default_configENS1_20scan_config_selectorIfEEZZNS1_9scan_implILNS1_25lookback_scan_determinismE0ELb1ELb1ES3_N6thrust23THRUST_200600_302600_NS6detail15normal_iteratorINS9_10device_ptrIfEEEESE_fNS9_4plusIvEEfEEDaPvRmT3_T4_T5_mT6_P12ihipStream_tbENKUlT_T0_E_clISt17integral_constantIbLb1EESU_EEDaSP_SQ_EUlSP_E0_NS1_11comp_targetILNS1_3genE8ELNS1_11target_archE1030ELNS1_3gpuE2ELNS1_3repE0EEENS1_30default_config_static_selectorELNS0_4arch9wavefront6targetE1EEEvT1_.kd
    .uniform_work_group_size: 1
    .uses_dynamic_stack: false
    .vgpr_count:     0
    .vgpr_spill_count: 0
    .wavefront_size: 64
  - .agpr_count:     0
    .args:
      - .offset:         0
        .size:           96
        .value_kind:     by_value
    .group_segment_fixed_size: 0
    .kernarg_segment_align: 8
    .kernarg_segment_size: 96
    .language:       OpenCL C
    .language_version:
      - 2
      - 0
    .max_flat_workgroup_size: 256
    .name:           _ZN7rocprim17ROCPRIM_400000_NS6detail17trampoline_kernelINS0_14default_configENS1_20scan_config_selectorIfEEZZNS1_9scan_implILNS1_25lookback_scan_determinismE0ELb1ELb1ES3_N6thrust23THRUST_200600_302600_NS6detail15normal_iteratorINS9_10device_ptrIfEEEESE_fNS9_4plusIvEEfEEDaPvRmT3_T4_T5_mT6_P12ihipStream_tbENKUlT_T0_E_clISt17integral_constantIbLb1EEST_IbLb0EEEEDaSP_SQ_EUlSP_E_NS1_11comp_targetILNS1_3genE0ELNS1_11target_archE4294967295ELNS1_3gpuE0ELNS1_3repE0EEENS1_30default_config_static_selectorELNS0_4arch9wavefront6targetE1EEEvT1_
    .private_segment_fixed_size: 0
    .sgpr_count:     4
    .sgpr_spill_count: 0
    .symbol:         _ZN7rocprim17ROCPRIM_400000_NS6detail17trampoline_kernelINS0_14default_configENS1_20scan_config_selectorIfEEZZNS1_9scan_implILNS1_25lookback_scan_determinismE0ELb1ELb1ES3_N6thrust23THRUST_200600_302600_NS6detail15normal_iteratorINS9_10device_ptrIfEEEESE_fNS9_4plusIvEEfEEDaPvRmT3_T4_T5_mT6_P12ihipStream_tbENKUlT_T0_E_clISt17integral_constantIbLb1EEST_IbLb0EEEEDaSP_SQ_EUlSP_E_NS1_11comp_targetILNS1_3genE0ELNS1_11target_archE4294967295ELNS1_3gpuE0ELNS1_3repE0EEENS1_30default_config_static_selectorELNS0_4arch9wavefront6targetE1EEEvT1_.kd
    .uniform_work_group_size: 1
    .uses_dynamic_stack: false
    .vgpr_count:     0
    .vgpr_spill_count: 0
    .wavefront_size: 64
  - .agpr_count:     0
    .args:
      - .offset:         0
        .size:           96
        .value_kind:     by_value
    .group_segment_fixed_size: 0
    .kernarg_segment_align: 8
    .kernarg_segment_size: 96
    .language:       OpenCL C
    .language_version:
      - 2
      - 0
    .max_flat_workgroup_size: 256
    .name:           _ZN7rocprim17ROCPRIM_400000_NS6detail17trampoline_kernelINS0_14default_configENS1_20scan_config_selectorIfEEZZNS1_9scan_implILNS1_25lookback_scan_determinismE0ELb1ELb1ES3_N6thrust23THRUST_200600_302600_NS6detail15normal_iteratorINS9_10device_ptrIfEEEESE_fNS9_4plusIvEEfEEDaPvRmT3_T4_T5_mT6_P12ihipStream_tbENKUlT_T0_E_clISt17integral_constantIbLb1EEST_IbLb0EEEEDaSP_SQ_EUlSP_E_NS1_11comp_targetILNS1_3genE5ELNS1_11target_archE942ELNS1_3gpuE9ELNS1_3repE0EEENS1_30default_config_static_selectorELNS0_4arch9wavefront6targetE1EEEvT1_
    .private_segment_fixed_size: 0
    .sgpr_count:     4
    .sgpr_spill_count: 0
    .symbol:         _ZN7rocprim17ROCPRIM_400000_NS6detail17trampoline_kernelINS0_14default_configENS1_20scan_config_selectorIfEEZZNS1_9scan_implILNS1_25lookback_scan_determinismE0ELb1ELb1ES3_N6thrust23THRUST_200600_302600_NS6detail15normal_iteratorINS9_10device_ptrIfEEEESE_fNS9_4plusIvEEfEEDaPvRmT3_T4_T5_mT6_P12ihipStream_tbENKUlT_T0_E_clISt17integral_constantIbLb1EEST_IbLb0EEEEDaSP_SQ_EUlSP_E_NS1_11comp_targetILNS1_3genE5ELNS1_11target_archE942ELNS1_3gpuE9ELNS1_3repE0EEENS1_30default_config_static_selectorELNS0_4arch9wavefront6targetE1EEEvT1_.kd
    .uniform_work_group_size: 1
    .uses_dynamic_stack: false
    .vgpr_count:     0
    .vgpr_spill_count: 0
    .wavefront_size: 64
  - .agpr_count:     0
    .args:
      - .offset:         0
        .size:           96
        .value_kind:     by_value
    .group_segment_fixed_size: 7168
    .kernarg_segment_align: 8
    .kernarg_segment_size: 96
    .language:       OpenCL C
    .language_version:
      - 2
      - 0
    .max_flat_workgroup_size: 128
    .name:           _ZN7rocprim17ROCPRIM_400000_NS6detail17trampoline_kernelINS0_14default_configENS1_20scan_config_selectorIfEEZZNS1_9scan_implILNS1_25lookback_scan_determinismE0ELb1ELb1ES3_N6thrust23THRUST_200600_302600_NS6detail15normal_iteratorINS9_10device_ptrIfEEEESE_fNS9_4plusIvEEfEEDaPvRmT3_T4_T5_mT6_P12ihipStream_tbENKUlT_T0_E_clISt17integral_constantIbLb1EEST_IbLb0EEEEDaSP_SQ_EUlSP_E_NS1_11comp_targetILNS1_3genE4ELNS1_11target_archE910ELNS1_3gpuE8ELNS1_3repE0EEENS1_30default_config_static_selectorELNS0_4arch9wavefront6targetE1EEEvT1_
    .private_segment_fixed_size: 0
    .sgpr_count:     35
    .sgpr_spill_count: 0
    .symbol:         _ZN7rocprim17ROCPRIM_400000_NS6detail17trampoline_kernelINS0_14default_configENS1_20scan_config_selectorIfEEZZNS1_9scan_implILNS1_25lookback_scan_determinismE0ELb1ELb1ES3_N6thrust23THRUST_200600_302600_NS6detail15normal_iteratorINS9_10device_ptrIfEEEESE_fNS9_4plusIvEEfEEDaPvRmT3_T4_T5_mT6_P12ihipStream_tbENKUlT_T0_E_clISt17integral_constantIbLb1EEST_IbLb0EEEEDaSP_SQ_EUlSP_E_NS1_11comp_targetILNS1_3genE4ELNS1_11target_archE910ELNS1_3gpuE8ELNS1_3repE0EEENS1_30default_config_static_selectorELNS0_4arch9wavefront6targetE1EEEvT1_.kd
    .uniform_work_group_size: 1
    .uses_dynamic_stack: false
    .vgpr_count:     49
    .vgpr_spill_count: 0
    .wavefront_size: 64
  - .agpr_count:     0
    .args:
      - .offset:         0
        .size:           96
        .value_kind:     by_value
    .group_segment_fixed_size: 0
    .kernarg_segment_align: 8
    .kernarg_segment_size: 96
    .language:       OpenCL C
    .language_version:
      - 2
      - 0
    .max_flat_workgroup_size: 256
    .name:           _ZN7rocprim17ROCPRIM_400000_NS6detail17trampoline_kernelINS0_14default_configENS1_20scan_config_selectorIfEEZZNS1_9scan_implILNS1_25lookback_scan_determinismE0ELb1ELb1ES3_N6thrust23THRUST_200600_302600_NS6detail15normal_iteratorINS9_10device_ptrIfEEEESE_fNS9_4plusIvEEfEEDaPvRmT3_T4_T5_mT6_P12ihipStream_tbENKUlT_T0_E_clISt17integral_constantIbLb1EEST_IbLb0EEEEDaSP_SQ_EUlSP_E_NS1_11comp_targetILNS1_3genE3ELNS1_11target_archE908ELNS1_3gpuE7ELNS1_3repE0EEENS1_30default_config_static_selectorELNS0_4arch9wavefront6targetE1EEEvT1_
    .private_segment_fixed_size: 0
    .sgpr_count:     4
    .sgpr_spill_count: 0
    .symbol:         _ZN7rocprim17ROCPRIM_400000_NS6detail17trampoline_kernelINS0_14default_configENS1_20scan_config_selectorIfEEZZNS1_9scan_implILNS1_25lookback_scan_determinismE0ELb1ELb1ES3_N6thrust23THRUST_200600_302600_NS6detail15normal_iteratorINS9_10device_ptrIfEEEESE_fNS9_4plusIvEEfEEDaPvRmT3_T4_T5_mT6_P12ihipStream_tbENKUlT_T0_E_clISt17integral_constantIbLb1EEST_IbLb0EEEEDaSP_SQ_EUlSP_E_NS1_11comp_targetILNS1_3genE3ELNS1_11target_archE908ELNS1_3gpuE7ELNS1_3repE0EEENS1_30default_config_static_selectorELNS0_4arch9wavefront6targetE1EEEvT1_.kd
    .uniform_work_group_size: 1
    .uses_dynamic_stack: false
    .vgpr_count:     0
    .vgpr_spill_count: 0
    .wavefront_size: 64
  - .agpr_count:     0
    .args:
      - .offset:         0
        .size:           96
        .value_kind:     by_value
    .group_segment_fixed_size: 0
    .kernarg_segment_align: 8
    .kernarg_segment_size: 96
    .language:       OpenCL C
    .language_version:
      - 2
      - 0
    .max_flat_workgroup_size: 256
    .name:           _ZN7rocprim17ROCPRIM_400000_NS6detail17trampoline_kernelINS0_14default_configENS1_20scan_config_selectorIfEEZZNS1_9scan_implILNS1_25lookback_scan_determinismE0ELb1ELb1ES3_N6thrust23THRUST_200600_302600_NS6detail15normal_iteratorINS9_10device_ptrIfEEEESE_fNS9_4plusIvEEfEEDaPvRmT3_T4_T5_mT6_P12ihipStream_tbENKUlT_T0_E_clISt17integral_constantIbLb1EEST_IbLb0EEEEDaSP_SQ_EUlSP_E_NS1_11comp_targetILNS1_3genE2ELNS1_11target_archE906ELNS1_3gpuE6ELNS1_3repE0EEENS1_30default_config_static_selectorELNS0_4arch9wavefront6targetE1EEEvT1_
    .private_segment_fixed_size: 0
    .sgpr_count:     4
    .sgpr_spill_count: 0
    .symbol:         _ZN7rocprim17ROCPRIM_400000_NS6detail17trampoline_kernelINS0_14default_configENS1_20scan_config_selectorIfEEZZNS1_9scan_implILNS1_25lookback_scan_determinismE0ELb1ELb1ES3_N6thrust23THRUST_200600_302600_NS6detail15normal_iteratorINS9_10device_ptrIfEEEESE_fNS9_4plusIvEEfEEDaPvRmT3_T4_T5_mT6_P12ihipStream_tbENKUlT_T0_E_clISt17integral_constantIbLb1EEST_IbLb0EEEEDaSP_SQ_EUlSP_E_NS1_11comp_targetILNS1_3genE2ELNS1_11target_archE906ELNS1_3gpuE6ELNS1_3repE0EEENS1_30default_config_static_selectorELNS0_4arch9wavefront6targetE1EEEvT1_.kd
    .uniform_work_group_size: 1
    .uses_dynamic_stack: false
    .vgpr_count:     0
    .vgpr_spill_count: 0
    .wavefront_size: 64
  - .agpr_count:     0
    .args:
      - .offset:         0
        .size:           96
        .value_kind:     by_value
    .group_segment_fixed_size: 0
    .kernarg_segment_align: 8
    .kernarg_segment_size: 96
    .language:       OpenCL C
    .language_version:
      - 2
      - 0
    .max_flat_workgroup_size: 256
    .name:           _ZN7rocprim17ROCPRIM_400000_NS6detail17trampoline_kernelINS0_14default_configENS1_20scan_config_selectorIfEEZZNS1_9scan_implILNS1_25lookback_scan_determinismE0ELb1ELb1ES3_N6thrust23THRUST_200600_302600_NS6detail15normal_iteratorINS9_10device_ptrIfEEEESE_fNS9_4plusIvEEfEEDaPvRmT3_T4_T5_mT6_P12ihipStream_tbENKUlT_T0_E_clISt17integral_constantIbLb1EEST_IbLb0EEEEDaSP_SQ_EUlSP_E_NS1_11comp_targetILNS1_3genE10ELNS1_11target_archE1201ELNS1_3gpuE5ELNS1_3repE0EEENS1_30default_config_static_selectorELNS0_4arch9wavefront6targetE1EEEvT1_
    .private_segment_fixed_size: 0
    .sgpr_count:     4
    .sgpr_spill_count: 0
    .symbol:         _ZN7rocprim17ROCPRIM_400000_NS6detail17trampoline_kernelINS0_14default_configENS1_20scan_config_selectorIfEEZZNS1_9scan_implILNS1_25lookback_scan_determinismE0ELb1ELb1ES3_N6thrust23THRUST_200600_302600_NS6detail15normal_iteratorINS9_10device_ptrIfEEEESE_fNS9_4plusIvEEfEEDaPvRmT3_T4_T5_mT6_P12ihipStream_tbENKUlT_T0_E_clISt17integral_constantIbLb1EEST_IbLb0EEEEDaSP_SQ_EUlSP_E_NS1_11comp_targetILNS1_3genE10ELNS1_11target_archE1201ELNS1_3gpuE5ELNS1_3repE0EEENS1_30default_config_static_selectorELNS0_4arch9wavefront6targetE1EEEvT1_.kd
    .uniform_work_group_size: 1
    .uses_dynamic_stack: false
    .vgpr_count:     0
    .vgpr_spill_count: 0
    .wavefront_size: 64
  - .agpr_count:     0
    .args:
      - .offset:         0
        .size:           96
        .value_kind:     by_value
    .group_segment_fixed_size: 0
    .kernarg_segment_align: 8
    .kernarg_segment_size: 96
    .language:       OpenCL C
    .language_version:
      - 2
      - 0
    .max_flat_workgroup_size: 256
    .name:           _ZN7rocprim17ROCPRIM_400000_NS6detail17trampoline_kernelINS0_14default_configENS1_20scan_config_selectorIfEEZZNS1_9scan_implILNS1_25lookback_scan_determinismE0ELb1ELb1ES3_N6thrust23THRUST_200600_302600_NS6detail15normal_iteratorINS9_10device_ptrIfEEEESE_fNS9_4plusIvEEfEEDaPvRmT3_T4_T5_mT6_P12ihipStream_tbENKUlT_T0_E_clISt17integral_constantIbLb1EEST_IbLb0EEEEDaSP_SQ_EUlSP_E_NS1_11comp_targetILNS1_3genE10ELNS1_11target_archE1200ELNS1_3gpuE4ELNS1_3repE0EEENS1_30default_config_static_selectorELNS0_4arch9wavefront6targetE1EEEvT1_
    .private_segment_fixed_size: 0
    .sgpr_count:     4
    .sgpr_spill_count: 0
    .symbol:         _ZN7rocprim17ROCPRIM_400000_NS6detail17trampoline_kernelINS0_14default_configENS1_20scan_config_selectorIfEEZZNS1_9scan_implILNS1_25lookback_scan_determinismE0ELb1ELb1ES3_N6thrust23THRUST_200600_302600_NS6detail15normal_iteratorINS9_10device_ptrIfEEEESE_fNS9_4plusIvEEfEEDaPvRmT3_T4_T5_mT6_P12ihipStream_tbENKUlT_T0_E_clISt17integral_constantIbLb1EEST_IbLb0EEEEDaSP_SQ_EUlSP_E_NS1_11comp_targetILNS1_3genE10ELNS1_11target_archE1200ELNS1_3gpuE4ELNS1_3repE0EEENS1_30default_config_static_selectorELNS0_4arch9wavefront6targetE1EEEvT1_.kd
    .uniform_work_group_size: 1
    .uses_dynamic_stack: false
    .vgpr_count:     0
    .vgpr_spill_count: 0
    .wavefront_size: 64
  - .agpr_count:     0
    .args:
      - .offset:         0
        .size:           96
        .value_kind:     by_value
    .group_segment_fixed_size: 0
    .kernarg_segment_align: 8
    .kernarg_segment_size: 96
    .language:       OpenCL C
    .language_version:
      - 2
      - 0
    .max_flat_workgroup_size: 256
    .name:           _ZN7rocprim17ROCPRIM_400000_NS6detail17trampoline_kernelINS0_14default_configENS1_20scan_config_selectorIfEEZZNS1_9scan_implILNS1_25lookback_scan_determinismE0ELb1ELb1ES3_N6thrust23THRUST_200600_302600_NS6detail15normal_iteratorINS9_10device_ptrIfEEEESE_fNS9_4plusIvEEfEEDaPvRmT3_T4_T5_mT6_P12ihipStream_tbENKUlT_T0_E_clISt17integral_constantIbLb1EEST_IbLb0EEEEDaSP_SQ_EUlSP_E_NS1_11comp_targetILNS1_3genE9ELNS1_11target_archE1100ELNS1_3gpuE3ELNS1_3repE0EEENS1_30default_config_static_selectorELNS0_4arch9wavefront6targetE1EEEvT1_
    .private_segment_fixed_size: 0
    .sgpr_count:     4
    .sgpr_spill_count: 0
    .symbol:         _ZN7rocprim17ROCPRIM_400000_NS6detail17trampoline_kernelINS0_14default_configENS1_20scan_config_selectorIfEEZZNS1_9scan_implILNS1_25lookback_scan_determinismE0ELb1ELb1ES3_N6thrust23THRUST_200600_302600_NS6detail15normal_iteratorINS9_10device_ptrIfEEEESE_fNS9_4plusIvEEfEEDaPvRmT3_T4_T5_mT6_P12ihipStream_tbENKUlT_T0_E_clISt17integral_constantIbLb1EEST_IbLb0EEEEDaSP_SQ_EUlSP_E_NS1_11comp_targetILNS1_3genE9ELNS1_11target_archE1100ELNS1_3gpuE3ELNS1_3repE0EEENS1_30default_config_static_selectorELNS0_4arch9wavefront6targetE1EEEvT1_.kd
    .uniform_work_group_size: 1
    .uses_dynamic_stack: false
    .vgpr_count:     0
    .vgpr_spill_count: 0
    .wavefront_size: 64
  - .agpr_count:     0
    .args:
      - .offset:         0
        .size:           96
        .value_kind:     by_value
    .group_segment_fixed_size: 0
    .kernarg_segment_align: 8
    .kernarg_segment_size: 96
    .language:       OpenCL C
    .language_version:
      - 2
      - 0
    .max_flat_workgroup_size: 64
    .name:           _ZN7rocprim17ROCPRIM_400000_NS6detail17trampoline_kernelINS0_14default_configENS1_20scan_config_selectorIfEEZZNS1_9scan_implILNS1_25lookback_scan_determinismE0ELb1ELb1ES3_N6thrust23THRUST_200600_302600_NS6detail15normal_iteratorINS9_10device_ptrIfEEEESE_fNS9_4plusIvEEfEEDaPvRmT3_T4_T5_mT6_P12ihipStream_tbENKUlT_T0_E_clISt17integral_constantIbLb1EEST_IbLb0EEEEDaSP_SQ_EUlSP_E_NS1_11comp_targetILNS1_3genE8ELNS1_11target_archE1030ELNS1_3gpuE2ELNS1_3repE0EEENS1_30default_config_static_selectorELNS0_4arch9wavefront6targetE1EEEvT1_
    .private_segment_fixed_size: 0
    .sgpr_count:     4
    .sgpr_spill_count: 0
    .symbol:         _ZN7rocprim17ROCPRIM_400000_NS6detail17trampoline_kernelINS0_14default_configENS1_20scan_config_selectorIfEEZZNS1_9scan_implILNS1_25lookback_scan_determinismE0ELb1ELb1ES3_N6thrust23THRUST_200600_302600_NS6detail15normal_iteratorINS9_10device_ptrIfEEEESE_fNS9_4plusIvEEfEEDaPvRmT3_T4_T5_mT6_P12ihipStream_tbENKUlT_T0_E_clISt17integral_constantIbLb1EEST_IbLb0EEEEDaSP_SQ_EUlSP_E_NS1_11comp_targetILNS1_3genE8ELNS1_11target_archE1030ELNS1_3gpuE2ELNS1_3repE0EEENS1_30default_config_static_selectorELNS0_4arch9wavefront6targetE1EEEvT1_.kd
    .uniform_work_group_size: 1
    .uses_dynamic_stack: false
    .vgpr_count:     0
    .vgpr_spill_count: 0
    .wavefront_size: 64
  - .agpr_count:     0
    .args:
      - .offset:         0
        .size:           32
        .value_kind:     by_value
    .group_segment_fixed_size: 0
    .kernarg_segment_align: 8
    .kernarg_segment_size: 32
    .language:       OpenCL C
    .language_version:
      - 2
      - 0
    .max_flat_workgroup_size: 256
    .name:           _ZN7rocprim17ROCPRIM_400000_NS6detail17trampoline_kernelINS0_14default_configENS1_20scan_config_selectorIfEEZZNS1_9scan_implILNS1_25lookback_scan_determinismE0ELb1ELb1ES3_N6thrust23THRUST_200600_302600_NS6detail15normal_iteratorINS9_10device_ptrIfEEEESE_fNS9_4plusIvEEfEEDaPvRmT3_T4_T5_mT6_P12ihipStream_tbENKUlT_T0_E_clISt17integral_constantIbLb1EEST_IbLb0EEEEDaSP_SQ_EUlSP_E0_NS1_11comp_targetILNS1_3genE0ELNS1_11target_archE4294967295ELNS1_3gpuE0ELNS1_3repE0EEENS1_30default_config_static_selectorELNS0_4arch9wavefront6targetE1EEEvT1_
    .private_segment_fixed_size: 0
    .sgpr_count:     4
    .sgpr_spill_count: 0
    .symbol:         _ZN7rocprim17ROCPRIM_400000_NS6detail17trampoline_kernelINS0_14default_configENS1_20scan_config_selectorIfEEZZNS1_9scan_implILNS1_25lookback_scan_determinismE0ELb1ELb1ES3_N6thrust23THRUST_200600_302600_NS6detail15normal_iteratorINS9_10device_ptrIfEEEESE_fNS9_4plusIvEEfEEDaPvRmT3_T4_T5_mT6_P12ihipStream_tbENKUlT_T0_E_clISt17integral_constantIbLb1EEST_IbLb0EEEEDaSP_SQ_EUlSP_E0_NS1_11comp_targetILNS1_3genE0ELNS1_11target_archE4294967295ELNS1_3gpuE0ELNS1_3repE0EEENS1_30default_config_static_selectorELNS0_4arch9wavefront6targetE1EEEvT1_.kd
    .uniform_work_group_size: 1
    .uses_dynamic_stack: false
    .vgpr_count:     0
    .vgpr_spill_count: 0
    .wavefront_size: 64
  - .agpr_count:     0
    .args:
      - .offset:         0
        .size:           32
        .value_kind:     by_value
    .group_segment_fixed_size: 0
    .kernarg_segment_align: 8
    .kernarg_segment_size: 32
    .language:       OpenCL C
    .language_version:
      - 2
      - 0
    .max_flat_workgroup_size: 256
    .name:           _ZN7rocprim17ROCPRIM_400000_NS6detail17trampoline_kernelINS0_14default_configENS1_20scan_config_selectorIfEEZZNS1_9scan_implILNS1_25lookback_scan_determinismE0ELb1ELb1ES3_N6thrust23THRUST_200600_302600_NS6detail15normal_iteratorINS9_10device_ptrIfEEEESE_fNS9_4plusIvEEfEEDaPvRmT3_T4_T5_mT6_P12ihipStream_tbENKUlT_T0_E_clISt17integral_constantIbLb1EEST_IbLb0EEEEDaSP_SQ_EUlSP_E0_NS1_11comp_targetILNS1_3genE5ELNS1_11target_archE942ELNS1_3gpuE9ELNS1_3repE0EEENS1_30default_config_static_selectorELNS0_4arch9wavefront6targetE1EEEvT1_
    .private_segment_fixed_size: 0
    .sgpr_count:     4
    .sgpr_spill_count: 0
    .symbol:         _ZN7rocprim17ROCPRIM_400000_NS6detail17trampoline_kernelINS0_14default_configENS1_20scan_config_selectorIfEEZZNS1_9scan_implILNS1_25lookback_scan_determinismE0ELb1ELb1ES3_N6thrust23THRUST_200600_302600_NS6detail15normal_iteratorINS9_10device_ptrIfEEEESE_fNS9_4plusIvEEfEEDaPvRmT3_T4_T5_mT6_P12ihipStream_tbENKUlT_T0_E_clISt17integral_constantIbLb1EEST_IbLb0EEEEDaSP_SQ_EUlSP_E0_NS1_11comp_targetILNS1_3genE5ELNS1_11target_archE942ELNS1_3gpuE9ELNS1_3repE0EEENS1_30default_config_static_selectorELNS0_4arch9wavefront6targetE1EEEvT1_.kd
    .uniform_work_group_size: 1
    .uses_dynamic_stack: false
    .vgpr_count:     0
    .vgpr_spill_count: 0
    .wavefront_size: 64
  - .agpr_count:     0
    .args:
      - .offset:         0
        .size:           32
        .value_kind:     by_value
    .group_segment_fixed_size: 7168
    .kernarg_segment_align: 8
    .kernarg_segment_size: 32
    .language:       OpenCL C
    .language_version:
      - 2
      - 0
    .max_flat_workgroup_size: 128
    .name:           _ZN7rocprim17ROCPRIM_400000_NS6detail17trampoline_kernelINS0_14default_configENS1_20scan_config_selectorIfEEZZNS1_9scan_implILNS1_25lookback_scan_determinismE0ELb1ELb1ES3_N6thrust23THRUST_200600_302600_NS6detail15normal_iteratorINS9_10device_ptrIfEEEESE_fNS9_4plusIvEEfEEDaPvRmT3_T4_T5_mT6_P12ihipStream_tbENKUlT_T0_E_clISt17integral_constantIbLb1EEST_IbLb0EEEEDaSP_SQ_EUlSP_E0_NS1_11comp_targetILNS1_3genE4ELNS1_11target_archE910ELNS1_3gpuE8ELNS1_3repE0EEENS1_30default_config_static_selectorELNS0_4arch9wavefront6targetE1EEEvT1_
    .private_segment_fixed_size: 0
    .sgpr_count:     42
    .sgpr_spill_count: 0
    .symbol:         _ZN7rocprim17ROCPRIM_400000_NS6detail17trampoline_kernelINS0_14default_configENS1_20scan_config_selectorIfEEZZNS1_9scan_implILNS1_25lookback_scan_determinismE0ELb1ELb1ES3_N6thrust23THRUST_200600_302600_NS6detail15normal_iteratorINS9_10device_ptrIfEEEESE_fNS9_4plusIvEEfEEDaPvRmT3_T4_T5_mT6_P12ihipStream_tbENKUlT_T0_E_clISt17integral_constantIbLb1EEST_IbLb0EEEEDaSP_SQ_EUlSP_E0_NS1_11comp_targetILNS1_3genE4ELNS1_11target_archE910ELNS1_3gpuE8ELNS1_3repE0EEENS1_30default_config_static_selectorELNS0_4arch9wavefront6targetE1EEEvT1_.kd
    .uniform_work_group_size: 1
    .uses_dynamic_stack: false
    .vgpr_count:     24
    .vgpr_spill_count: 0
    .wavefront_size: 64
  - .agpr_count:     0
    .args:
      - .offset:         0
        .size:           32
        .value_kind:     by_value
    .group_segment_fixed_size: 0
    .kernarg_segment_align: 8
    .kernarg_segment_size: 32
    .language:       OpenCL C
    .language_version:
      - 2
      - 0
    .max_flat_workgroup_size: 256
    .name:           _ZN7rocprim17ROCPRIM_400000_NS6detail17trampoline_kernelINS0_14default_configENS1_20scan_config_selectorIfEEZZNS1_9scan_implILNS1_25lookback_scan_determinismE0ELb1ELb1ES3_N6thrust23THRUST_200600_302600_NS6detail15normal_iteratorINS9_10device_ptrIfEEEESE_fNS9_4plusIvEEfEEDaPvRmT3_T4_T5_mT6_P12ihipStream_tbENKUlT_T0_E_clISt17integral_constantIbLb1EEST_IbLb0EEEEDaSP_SQ_EUlSP_E0_NS1_11comp_targetILNS1_3genE3ELNS1_11target_archE908ELNS1_3gpuE7ELNS1_3repE0EEENS1_30default_config_static_selectorELNS0_4arch9wavefront6targetE1EEEvT1_
    .private_segment_fixed_size: 0
    .sgpr_count:     4
    .sgpr_spill_count: 0
    .symbol:         _ZN7rocprim17ROCPRIM_400000_NS6detail17trampoline_kernelINS0_14default_configENS1_20scan_config_selectorIfEEZZNS1_9scan_implILNS1_25lookback_scan_determinismE0ELb1ELb1ES3_N6thrust23THRUST_200600_302600_NS6detail15normal_iteratorINS9_10device_ptrIfEEEESE_fNS9_4plusIvEEfEEDaPvRmT3_T4_T5_mT6_P12ihipStream_tbENKUlT_T0_E_clISt17integral_constantIbLb1EEST_IbLb0EEEEDaSP_SQ_EUlSP_E0_NS1_11comp_targetILNS1_3genE3ELNS1_11target_archE908ELNS1_3gpuE7ELNS1_3repE0EEENS1_30default_config_static_selectorELNS0_4arch9wavefront6targetE1EEEvT1_.kd
    .uniform_work_group_size: 1
    .uses_dynamic_stack: false
    .vgpr_count:     0
    .vgpr_spill_count: 0
    .wavefront_size: 64
  - .agpr_count:     0
    .args:
      - .offset:         0
        .size:           32
        .value_kind:     by_value
    .group_segment_fixed_size: 0
    .kernarg_segment_align: 8
    .kernarg_segment_size: 32
    .language:       OpenCL C
    .language_version:
      - 2
      - 0
    .max_flat_workgroup_size: 256
    .name:           _ZN7rocprim17ROCPRIM_400000_NS6detail17trampoline_kernelINS0_14default_configENS1_20scan_config_selectorIfEEZZNS1_9scan_implILNS1_25lookback_scan_determinismE0ELb1ELb1ES3_N6thrust23THRUST_200600_302600_NS6detail15normal_iteratorINS9_10device_ptrIfEEEESE_fNS9_4plusIvEEfEEDaPvRmT3_T4_T5_mT6_P12ihipStream_tbENKUlT_T0_E_clISt17integral_constantIbLb1EEST_IbLb0EEEEDaSP_SQ_EUlSP_E0_NS1_11comp_targetILNS1_3genE2ELNS1_11target_archE906ELNS1_3gpuE6ELNS1_3repE0EEENS1_30default_config_static_selectorELNS0_4arch9wavefront6targetE1EEEvT1_
    .private_segment_fixed_size: 0
    .sgpr_count:     4
    .sgpr_spill_count: 0
    .symbol:         _ZN7rocprim17ROCPRIM_400000_NS6detail17trampoline_kernelINS0_14default_configENS1_20scan_config_selectorIfEEZZNS1_9scan_implILNS1_25lookback_scan_determinismE0ELb1ELb1ES3_N6thrust23THRUST_200600_302600_NS6detail15normal_iteratorINS9_10device_ptrIfEEEESE_fNS9_4plusIvEEfEEDaPvRmT3_T4_T5_mT6_P12ihipStream_tbENKUlT_T0_E_clISt17integral_constantIbLb1EEST_IbLb0EEEEDaSP_SQ_EUlSP_E0_NS1_11comp_targetILNS1_3genE2ELNS1_11target_archE906ELNS1_3gpuE6ELNS1_3repE0EEENS1_30default_config_static_selectorELNS0_4arch9wavefront6targetE1EEEvT1_.kd
    .uniform_work_group_size: 1
    .uses_dynamic_stack: false
    .vgpr_count:     0
    .vgpr_spill_count: 0
    .wavefront_size: 64
  - .agpr_count:     0
    .args:
      - .offset:         0
        .size:           32
        .value_kind:     by_value
    .group_segment_fixed_size: 0
    .kernarg_segment_align: 8
    .kernarg_segment_size: 32
    .language:       OpenCL C
    .language_version:
      - 2
      - 0
    .max_flat_workgroup_size: 256
    .name:           _ZN7rocprim17ROCPRIM_400000_NS6detail17trampoline_kernelINS0_14default_configENS1_20scan_config_selectorIfEEZZNS1_9scan_implILNS1_25lookback_scan_determinismE0ELb1ELb1ES3_N6thrust23THRUST_200600_302600_NS6detail15normal_iteratorINS9_10device_ptrIfEEEESE_fNS9_4plusIvEEfEEDaPvRmT3_T4_T5_mT6_P12ihipStream_tbENKUlT_T0_E_clISt17integral_constantIbLb1EEST_IbLb0EEEEDaSP_SQ_EUlSP_E0_NS1_11comp_targetILNS1_3genE10ELNS1_11target_archE1201ELNS1_3gpuE5ELNS1_3repE0EEENS1_30default_config_static_selectorELNS0_4arch9wavefront6targetE1EEEvT1_
    .private_segment_fixed_size: 0
    .sgpr_count:     4
    .sgpr_spill_count: 0
    .symbol:         _ZN7rocprim17ROCPRIM_400000_NS6detail17trampoline_kernelINS0_14default_configENS1_20scan_config_selectorIfEEZZNS1_9scan_implILNS1_25lookback_scan_determinismE0ELb1ELb1ES3_N6thrust23THRUST_200600_302600_NS6detail15normal_iteratorINS9_10device_ptrIfEEEESE_fNS9_4plusIvEEfEEDaPvRmT3_T4_T5_mT6_P12ihipStream_tbENKUlT_T0_E_clISt17integral_constantIbLb1EEST_IbLb0EEEEDaSP_SQ_EUlSP_E0_NS1_11comp_targetILNS1_3genE10ELNS1_11target_archE1201ELNS1_3gpuE5ELNS1_3repE0EEENS1_30default_config_static_selectorELNS0_4arch9wavefront6targetE1EEEvT1_.kd
    .uniform_work_group_size: 1
    .uses_dynamic_stack: false
    .vgpr_count:     0
    .vgpr_spill_count: 0
    .wavefront_size: 64
  - .agpr_count:     0
    .args:
      - .offset:         0
        .size:           32
        .value_kind:     by_value
    .group_segment_fixed_size: 0
    .kernarg_segment_align: 8
    .kernarg_segment_size: 32
    .language:       OpenCL C
    .language_version:
      - 2
      - 0
    .max_flat_workgroup_size: 256
    .name:           _ZN7rocprim17ROCPRIM_400000_NS6detail17trampoline_kernelINS0_14default_configENS1_20scan_config_selectorIfEEZZNS1_9scan_implILNS1_25lookback_scan_determinismE0ELb1ELb1ES3_N6thrust23THRUST_200600_302600_NS6detail15normal_iteratorINS9_10device_ptrIfEEEESE_fNS9_4plusIvEEfEEDaPvRmT3_T4_T5_mT6_P12ihipStream_tbENKUlT_T0_E_clISt17integral_constantIbLb1EEST_IbLb0EEEEDaSP_SQ_EUlSP_E0_NS1_11comp_targetILNS1_3genE10ELNS1_11target_archE1200ELNS1_3gpuE4ELNS1_3repE0EEENS1_30default_config_static_selectorELNS0_4arch9wavefront6targetE1EEEvT1_
    .private_segment_fixed_size: 0
    .sgpr_count:     4
    .sgpr_spill_count: 0
    .symbol:         _ZN7rocprim17ROCPRIM_400000_NS6detail17trampoline_kernelINS0_14default_configENS1_20scan_config_selectorIfEEZZNS1_9scan_implILNS1_25lookback_scan_determinismE0ELb1ELb1ES3_N6thrust23THRUST_200600_302600_NS6detail15normal_iteratorINS9_10device_ptrIfEEEESE_fNS9_4plusIvEEfEEDaPvRmT3_T4_T5_mT6_P12ihipStream_tbENKUlT_T0_E_clISt17integral_constantIbLb1EEST_IbLb0EEEEDaSP_SQ_EUlSP_E0_NS1_11comp_targetILNS1_3genE10ELNS1_11target_archE1200ELNS1_3gpuE4ELNS1_3repE0EEENS1_30default_config_static_selectorELNS0_4arch9wavefront6targetE1EEEvT1_.kd
    .uniform_work_group_size: 1
    .uses_dynamic_stack: false
    .vgpr_count:     0
    .vgpr_spill_count: 0
    .wavefront_size: 64
  - .agpr_count:     0
    .args:
      - .offset:         0
        .size:           32
        .value_kind:     by_value
    .group_segment_fixed_size: 0
    .kernarg_segment_align: 8
    .kernarg_segment_size: 32
    .language:       OpenCL C
    .language_version:
      - 2
      - 0
    .max_flat_workgroup_size: 256
    .name:           _ZN7rocprim17ROCPRIM_400000_NS6detail17trampoline_kernelINS0_14default_configENS1_20scan_config_selectorIfEEZZNS1_9scan_implILNS1_25lookback_scan_determinismE0ELb1ELb1ES3_N6thrust23THRUST_200600_302600_NS6detail15normal_iteratorINS9_10device_ptrIfEEEESE_fNS9_4plusIvEEfEEDaPvRmT3_T4_T5_mT6_P12ihipStream_tbENKUlT_T0_E_clISt17integral_constantIbLb1EEST_IbLb0EEEEDaSP_SQ_EUlSP_E0_NS1_11comp_targetILNS1_3genE9ELNS1_11target_archE1100ELNS1_3gpuE3ELNS1_3repE0EEENS1_30default_config_static_selectorELNS0_4arch9wavefront6targetE1EEEvT1_
    .private_segment_fixed_size: 0
    .sgpr_count:     4
    .sgpr_spill_count: 0
    .symbol:         _ZN7rocprim17ROCPRIM_400000_NS6detail17trampoline_kernelINS0_14default_configENS1_20scan_config_selectorIfEEZZNS1_9scan_implILNS1_25lookback_scan_determinismE0ELb1ELb1ES3_N6thrust23THRUST_200600_302600_NS6detail15normal_iteratorINS9_10device_ptrIfEEEESE_fNS9_4plusIvEEfEEDaPvRmT3_T4_T5_mT6_P12ihipStream_tbENKUlT_T0_E_clISt17integral_constantIbLb1EEST_IbLb0EEEEDaSP_SQ_EUlSP_E0_NS1_11comp_targetILNS1_3genE9ELNS1_11target_archE1100ELNS1_3gpuE3ELNS1_3repE0EEENS1_30default_config_static_selectorELNS0_4arch9wavefront6targetE1EEEvT1_.kd
    .uniform_work_group_size: 1
    .uses_dynamic_stack: false
    .vgpr_count:     0
    .vgpr_spill_count: 0
    .wavefront_size: 64
  - .agpr_count:     0
    .args:
      - .offset:         0
        .size:           32
        .value_kind:     by_value
    .group_segment_fixed_size: 0
    .kernarg_segment_align: 8
    .kernarg_segment_size: 32
    .language:       OpenCL C
    .language_version:
      - 2
      - 0
    .max_flat_workgroup_size: 64
    .name:           _ZN7rocprim17ROCPRIM_400000_NS6detail17trampoline_kernelINS0_14default_configENS1_20scan_config_selectorIfEEZZNS1_9scan_implILNS1_25lookback_scan_determinismE0ELb1ELb1ES3_N6thrust23THRUST_200600_302600_NS6detail15normal_iteratorINS9_10device_ptrIfEEEESE_fNS9_4plusIvEEfEEDaPvRmT3_T4_T5_mT6_P12ihipStream_tbENKUlT_T0_E_clISt17integral_constantIbLb1EEST_IbLb0EEEEDaSP_SQ_EUlSP_E0_NS1_11comp_targetILNS1_3genE8ELNS1_11target_archE1030ELNS1_3gpuE2ELNS1_3repE0EEENS1_30default_config_static_selectorELNS0_4arch9wavefront6targetE1EEEvT1_
    .private_segment_fixed_size: 0
    .sgpr_count:     4
    .sgpr_spill_count: 0
    .symbol:         _ZN7rocprim17ROCPRIM_400000_NS6detail17trampoline_kernelINS0_14default_configENS1_20scan_config_selectorIfEEZZNS1_9scan_implILNS1_25lookback_scan_determinismE0ELb1ELb1ES3_N6thrust23THRUST_200600_302600_NS6detail15normal_iteratorINS9_10device_ptrIfEEEESE_fNS9_4plusIvEEfEEDaPvRmT3_T4_T5_mT6_P12ihipStream_tbENKUlT_T0_E_clISt17integral_constantIbLb1EEST_IbLb0EEEEDaSP_SQ_EUlSP_E0_NS1_11comp_targetILNS1_3genE8ELNS1_11target_archE1030ELNS1_3gpuE2ELNS1_3repE0EEENS1_30default_config_static_selectorELNS0_4arch9wavefront6targetE1EEEvT1_.kd
    .uniform_work_group_size: 1
    .uses_dynamic_stack: false
    .vgpr_count:     0
    .vgpr_spill_count: 0
    .wavefront_size: 64
  - .agpr_count:     0
    .args:
      - .offset:         0
        .size:           96
        .value_kind:     by_value
    .group_segment_fixed_size: 0
    .kernarg_segment_align: 8
    .kernarg_segment_size: 96
    .language:       OpenCL C
    .language_version:
      - 2
      - 0
    .max_flat_workgroup_size: 256
    .name:           _ZN7rocprim17ROCPRIM_400000_NS6detail17trampoline_kernelINS0_14default_configENS1_20scan_config_selectorIfEEZZNS1_9scan_implILNS1_25lookback_scan_determinismE0ELb1ELb1ES3_N6thrust23THRUST_200600_302600_NS6detail15normal_iteratorINS9_10device_ptrIfEEEESE_fNS9_4plusIvEEfEEDaPvRmT3_T4_T5_mT6_P12ihipStream_tbENKUlT_T0_E_clISt17integral_constantIbLb0EEST_IbLb1EEEEDaSP_SQ_EUlSP_E_NS1_11comp_targetILNS1_3genE0ELNS1_11target_archE4294967295ELNS1_3gpuE0ELNS1_3repE0EEENS1_30default_config_static_selectorELNS0_4arch9wavefront6targetE1EEEvT1_
    .private_segment_fixed_size: 0
    .sgpr_count:     4
    .sgpr_spill_count: 0
    .symbol:         _ZN7rocprim17ROCPRIM_400000_NS6detail17trampoline_kernelINS0_14default_configENS1_20scan_config_selectorIfEEZZNS1_9scan_implILNS1_25lookback_scan_determinismE0ELb1ELb1ES3_N6thrust23THRUST_200600_302600_NS6detail15normal_iteratorINS9_10device_ptrIfEEEESE_fNS9_4plusIvEEfEEDaPvRmT3_T4_T5_mT6_P12ihipStream_tbENKUlT_T0_E_clISt17integral_constantIbLb0EEST_IbLb1EEEEDaSP_SQ_EUlSP_E_NS1_11comp_targetILNS1_3genE0ELNS1_11target_archE4294967295ELNS1_3gpuE0ELNS1_3repE0EEENS1_30default_config_static_selectorELNS0_4arch9wavefront6targetE1EEEvT1_.kd
    .uniform_work_group_size: 1
    .uses_dynamic_stack: false
    .vgpr_count:     0
    .vgpr_spill_count: 0
    .wavefront_size: 64
  - .agpr_count:     0
    .args:
      - .offset:         0
        .size:           96
        .value_kind:     by_value
    .group_segment_fixed_size: 0
    .kernarg_segment_align: 8
    .kernarg_segment_size: 96
    .language:       OpenCL C
    .language_version:
      - 2
      - 0
    .max_flat_workgroup_size: 256
    .name:           _ZN7rocprim17ROCPRIM_400000_NS6detail17trampoline_kernelINS0_14default_configENS1_20scan_config_selectorIfEEZZNS1_9scan_implILNS1_25lookback_scan_determinismE0ELb1ELb1ES3_N6thrust23THRUST_200600_302600_NS6detail15normal_iteratorINS9_10device_ptrIfEEEESE_fNS9_4plusIvEEfEEDaPvRmT3_T4_T5_mT6_P12ihipStream_tbENKUlT_T0_E_clISt17integral_constantIbLb0EEST_IbLb1EEEEDaSP_SQ_EUlSP_E_NS1_11comp_targetILNS1_3genE5ELNS1_11target_archE942ELNS1_3gpuE9ELNS1_3repE0EEENS1_30default_config_static_selectorELNS0_4arch9wavefront6targetE1EEEvT1_
    .private_segment_fixed_size: 0
    .sgpr_count:     4
    .sgpr_spill_count: 0
    .symbol:         _ZN7rocprim17ROCPRIM_400000_NS6detail17trampoline_kernelINS0_14default_configENS1_20scan_config_selectorIfEEZZNS1_9scan_implILNS1_25lookback_scan_determinismE0ELb1ELb1ES3_N6thrust23THRUST_200600_302600_NS6detail15normal_iteratorINS9_10device_ptrIfEEEESE_fNS9_4plusIvEEfEEDaPvRmT3_T4_T5_mT6_P12ihipStream_tbENKUlT_T0_E_clISt17integral_constantIbLb0EEST_IbLb1EEEEDaSP_SQ_EUlSP_E_NS1_11comp_targetILNS1_3genE5ELNS1_11target_archE942ELNS1_3gpuE9ELNS1_3repE0EEENS1_30default_config_static_selectorELNS0_4arch9wavefront6targetE1EEEvT1_.kd
    .uniform_work_group_size: 1
    .uses_dynamic_stack: false
    .vgpr_count:     0
    .vgpr_spill_count: 0
    .wavefront_size: 64
  - .agpr_count:     0
    .args:
      - .offset:         0
        .size:           96
        .value_kind:     by_value
    .group_segment_fixed_size: 7168
    .kernarg_segment_align: 8
    .kernarg_segment_size: 96
    .language:       OpenCL C
    .language_version:
      - 2
      - 0
    .max_flat_workgroup_size: 128
    .name:           _ZN7rocprim17ROCPRIM_400000_NS6detail17trampoline_kernelINS0_14default_configENS1_20scan_config_selectorIfEEZZNS1_9scan_implILNS1_25lookback_scan_determinismE0ELb1ELb1ES3_N6thrust23THRUST_200600_302600_NS6detail15normal_iteratorINS9_10device_ptrIfEEEESE_fNS9_4plusIvEEfEEDaPvRmT3_T4_T5_mT6_P12ihipStream_tbENKUlT_T0_E_clISt17integral_constantIbLb0EEST_IbLb1EEEEDaSP_SQ_EUlSP_E_NS1_11comp_targetILNS1_3genE4ELNS1_11target_archE910ELNS1_3gpuE8ELNS1_3repE0EEENS1_30default_config_static_selectorELNS0_4arch9wavefront6targetE1EEEvT1_
    .private_segment_fixed_size: 0
    .sgpr_count:     45
    .sgpr_spill_count: 0
    .symbol:         _ZN7rocprim17ROCPRIM_400000_NS6detail17trampoline_kernelINS0_14default_configENS1_20scan_config_selectorIfEEZZNS1_9scan_implILNS1_25lookback_scan_determinismE0ELb1ELb1ES3_N6thrust23THRUST_200600_302600_NS6detail15normal_iteratorINS9_10device_ptrIfEEEESE_fNS9_4plusIvEEfEEDaPvRmT3_T4_T5_mT6_P12ihipStream_tbENKUlT_T0_E_clISt17integral_constantIbLb0EEST_IbLb1EEEEDaSP_SQ_EUlSP_E_NS1_11comp_targetILNS1_3genE4ELNS1_11target_archE910ELNS1_3gpuE8ELNS1_3repE0EEENS1_30default_config_static_selectorELNS0_4arch9wavefront6targetE1EEEvT1_.kd
    .uniform_work_group_size: 1
    .uses_dynamic_stack: false
    .vgpr_count:     49
    .vgpr_spill_count: 0
    .wavefront_size: 64
  - .agpr_count:     0
    .args:
      - .offset:         0
        .size:           96
        .value_kind:     by_value
    .group_segment_fixed_size: 0
    .kernarg_segment_align: 8
    .kernarg_segment_size: 96
    .language:       OpenCL C
    .language_version:
      - 2
      - 0
    .max_flat_workgroup_size: 256
    .name:           _ZN7rocprim17ROCPRIM_400000_NS6detail17trampoline_kernelINS0_14default_configENS1_20scan_config_selectorIfEEZZNS1_9scan_implILNS1_25lookback_scan_determinismE0ELb1ELb1ES3_N6thrust23THRUST_200600_302600_NS6detail15normal_iteratorINS9_10device_ptrIfEEEESE_fNS9_4plusIvEEfEEDaPvRmT3_T4_T5_mT6_P12ihipStream_tbENKUlT_T0_E_clISt17integral_constantIbLb0EEST_IbLb1EEEEDaSP_SQ_EUlSP_E_NS1_11comp_targetILNS1_3genE3ELNS1_11target_archE908ELNS1_3gpuE7ELNS1_3repE0EEENS1_30default_config_static_selectorELNS0_4arch9wavefront6targetE1EEEvT1_
    .private_segment_fixed_size: 0
    .sgpr_count:     4
    .sgpr_spill_count: 0
    .symbol:         _ZN7rocprim17ROCPRIM_400000_NS6detail17trampoline_kernelINS0_14default_configENS1_20scan_config_selectorIfEEZZNS1_9scan_implILNS1_25lookback_scan_determinismE0ELb1ELb1ES3_N6thrust23THRUST_200600_302600_NS6detail15normal_iteratorINS9_10device_ptrIfEEEESE_fNS9_4plusIvEEfEEDaPvRmT3_T4_T5_mT6_P12ihipStream_tbENKUlT_T0_E_clISt17integral_constantIbLb0EEST_IbLb1EEEEDaSP_SQ_EUlSP_E_NS1_11comp_targetILNS1_3genE3ELNS1_11target_archE908ELNS1_3gpuE7ELNS1_3repE0EEENS1_30default_config_static_selectorELNS0_4arch9wavefront6targetE1EEEvT1_.kd
    .uniform_work_group_size: 1
    .uses_dynamic_stack: false
    .vgpr_count:     0
    .vgpr_spill_count: 0
    .wavefront_size: 64
  - .agpr_count:     0
    .args:
      - .offset:         0
        .size:           96
        .value_kind:     by_value
    .group_segment_fixed_size: 0
    .kernarg_segment_align: 8
    .kernarg_segment_size: 96
    .language:       OpenCL C
    .language_version:
      - 2
      - 0
    .max_flat_workgroup_size: 256
    .name:           _ZN7rocprim17ROCPRIM_400000_NS6detail17trampoline_kernelINS0_14default_configENS1_20scan_config_selectorIfEEZZNS1_9scan_implILNS1_25lookback_scan_determinismE0ELb1ELb1ES3_N6thrust23THRUST_200600_302600_NS6detail15normal_iteratorINS9_10device_ptrIfEEEESE_fNS9_4plusIvEEfEEDaPvRmT3_T4_T5_mT6_P12ihipStream_tbENKUlT_T0_E_clISt17integral_constantIbLb0EEST_IbLb1EEEEDaSP_SQ_EUlSP_E_NS1_11comp_targetILNS1_3genE2ELNS1_11target_archE906ELNS1_3gpuE6ELNS1_3repE0EEENS1_30default_config_static_selectorELNS0_4arch9wavefront6targetE1EEEvT1_
    .private_segment_fixed_size: 0
    .sgpr_count:     4
    .sgpr_spill_count: 0
    .symbol:         _ZN7rocprim17ROCPRIM_400000_NS6detail17trampoline_kernelINS0_14default_configENS1_20scan_config_selectorIfEEZZNS1_9scan_implILNS1_25lookback_scan_determinismE0ELb1ELb1ES3_N6thrust23THRUST_200600_302600_NS6detail15normal_iteratorINS9_10device_ptrIfEEEESE_fNS9_4plusIvEEfEEDaPvRmT3_T4_T5_mT6_P12ihipStream_tbENKUlT_T0_E_clISt17integral_constantIbLb0EEST_IbLb1EEEEDaSP_SQ_EUlSP_E_NS1_11comp_targetILNS1_3genE2ELNS1_11target_archE906ELNS1_3gpuE6ELNS1_3repE0EEENS1_30default_config_static_selectorELNS0_4arch9wavefront6targetE1EEEvT1_.kd
    .uniform_work_group_size: 1
    .uses_dynamic_stack: false
    .vgpr_count:     0
    .vgpr_spill_count: 0
    .wavefront_size: 64
  - .agpr_count:     0
    .args:
      - .offset:         0
        .size:           96
        .value_kind:     by_value
    .group_segment_fixed_size: 0
    .kernarg_segment_align: 8
    .kernarg_segment_size: 96
    .language:       OpenCL C
    .language_version:
      - 2
      - 0
    .max_flat_workgroup_size: 256
    .name:           _ZN7rocprim17ROCPRIM_400000_NS6detail17trampoline_kernelINS0_14default_configENS1_20scan_config_selectorIfEEZZNS1_9scan_implILNS1_25lookback_scan_determinismE0ELb1ELb1ES3_N6thrust23THRUST_200600_302600_NS6detail15normal_iteratorINS9_10device_ptrIfEEEESE_fNS9_4plusIvEEfEEDaPvRmT3_T4_T5_mT6_P12ihipStream_tbENKUlT_T0_E_clISt17integral_constantIbLb0EEST_IbLb1EEEEDaSP_SQ_EUlSP_E_NS1_11comp_targetILNS1_3genE10ELNS1_11target_archE1201ELNS1_3gpuE5ELNS1_3repE0EEENS1_30default_config_static_selectorELNS0_4arch9wavefront6targetE1EEEvT1_
    .private_segment_fixed_size: 0
    .sgpr_count:     4
    .sgpr_spill_count: 0
    .symbol:         _ZN7rocprim17ROCPRIM_400000_NS6detail17trampoline_kernelINS0_14default_configENS1_20scan_config_selectorIfEEZZNS1_9scan_implILNS1_25lookback_scan_determinismE0ELb1ELb1ES3_N6thrust23THRUST_200600_302600_NS6detail15normal_iteratorINS9_10device_ptrIfEEEESE_fNS9_4plusIvEEfEEDaPvRmT3_T4_T5_mT6_P12ihipStream_tbENKUlT_T0_E_clISt17integral_constantIbLb0EEST_IbLb1EEEEDaSP_SQ_EUlSP_E_NS1_11comp_targetILNS1_3genE10ELNS1_11target_archE1201ELNS1_3gpuE5ELNS1_3repE0EEENS1_30default_config_static_selectorELNS0_4arch9wavefront6targetE1EEEvT1_.kd
    .uniform_work_group_size: 1
    .uses_dynamic_stack: false
    .vgpr_count:     0
    .vgpr_spill_count: 0
    .wavefront_size: 64
  - .agpr_count:     0
    .args:
      - .offset:         0
        .size:           96
        .value_kind:     by_value
    .group_segment_fixed_size: 0
    .kernarg_segment_align: 8
    .kernarg_segment_size: 96
    .language:       OpenCL C
    .language_version:
      - 2
      - 0
    .max_flat_workgroup_size: 256
    .name:           _ZN7rocprim17ROCPRIM_400000_NS6detail17trampoline_kernelINS0_14default_configENS1_20scan_config_selectorIfEEZZNS1_9scan_implILNS1_25lookback_scan_determinismE0ELb1ELb1ES3_N6thrust23THRUST_200600_302600_NS6detail15normal_iteratorINS9_10device_ptrIfEEEESE_fNS9_4plusIvEEfEEDaPvRmT3_T4_T5_mT6_P12ihipStream_tbENKUlT_T0_E_clISt17integral_constantIbLb0EEST_IbLb1EEEEDaSP_SQ_EUlSP_E_NS1_11comp_targetILNS1_3genE10ELNS1_11target_archE1200ELNS1_3gpuE4ELNS1_3repE0EEENS1_30default_config_static_selectorELNS0_4arch9wavefront6targetE1EEEvT1_
    .private_segment_fixed_size: 0
    .sgpr_count:     4
    .sgpr_spill_count: 0
    .symbol:         _ZN7rocprim17ROCPRIM_400000_NS6detail17trampoline_kernelINS0_14default_configENS1_20scan_config_selectorIfEEZZNS1_9scan_implILNS1_25lookback_scan_determinismE0ELb1ELb1ES3_N6thrust23THRUST_200600_302600_NS6detail15normal_iteratorINS9_10device_ptrIfEEEESE_fNS9_4plusIvEEfEEDaPvRmT3_T4_T5_mT6_P12ihipStream_tbENKUlT_T0_E_clISt17integral_constantIbLb0EEST_IbLb1EEEEDaSP_SQ_EUlSP_E_NS1_11comp_targetILNS1_3genE10ELNS1_11target_archE1200ELNS1_3gpuE4ELNS1_3repE0EEENS1_30default_config_static_selectorELNS0_4arch9wavefront6targetE1EEEvT1_.kd
    .uniform_work_group_size: 1
    .uses_dynamic_stack: false
    .vgpr_count:     0
    .vgpr_spill_count: 0
    .wavefront_size: 64
  - .agpr_count:     0
    .args:
      - .offset:         0
        .size:           96
        .value_kind:     by_value
    .group_segment_fixed_size: 0
    .kernarg_segment_align: 8
    .kernarg_segment_size: 96
    .language:       OpenCL C
    .language_version:
      - 2
      - 0
    .max_flat_workgroup_size: 256
    .name:           _ZN7rocprim17ROCPRIM_400000_NS6detail17trampoline_kernelINS0_14default_configENS1_20scan_config_selectorIfEEZZNS1_9scan_implILNS1_25lookback_scan_determinismE0ELb1ELb1ES3_N6thrust23THRUST_200600_302600_NS6detail15normal_iteratorINS9_10device_ptrIfEEEESE_fNS9_4plusIvEEfEEDaPvRmT3_T4_T5_mT6_P12ihipStream_tbENKUlT_T0_E_clISt17integral_constantIbLb0EEST_IbLb1EEEEDaSP_SQ_EUlSP_E_NS1_11comp_targetILNS1_3genE9ELNS1_11target_archE1100ELNS1_3gpuE3ELNS1_3repE0EEENS1_30default_config_static_selectorELNS0_4arch9wavefront6targetE1EEEvT1_
    .private_segment_fixed_size: 0
    .sgpr_count:     4
    .sgpr_spill_count: 0
    .symbol:         _ZN7rocprim17ROCPRIM_400000_NS6detail17trampoline_kernelINS0_14default_configENS1_20scan_config_selectorIfEEZZNS1_9scan_implILNS1_25lookback_scan_determinismE0ELb1ELb1ES3_N6thrust23THRUST_200600_302600_NS6detail15normal_iteratorINS9_10device_ptrIfEEEESE_fNS9_4plusIvEEfEEDaPvRmT3_T4_T5_mT6_P12ihipStream_tbENKUlT_T0_E_clISt17integral_constantIbLb0EEST_IbLb1EEEEDaSP_SQ_EUlSP_E_NS1_11comp_targetILNS1_3genE9ELNS1_11target_archE1100ELNS1_3gpuE3ELNS1_3repE0EEENS1_30default_config_static_selectorELNS0_4arch9wavefront6targetE1EEEvT1_.kd
    .uniform_work_group_size: 1
    .uses_dynamic_stack: false
    .vgpr_count:     0
    .vgpr_spill_count: 0
    .wavefront_size: 64
  - .agpr_count:     0
    .args:
      - .offset:         0
        .size:           96
        .value_kind:     by_value
    .group_segment_fixed_size: 0
    .kernarg_segment_align: 8
    .kernarg_segment_size: 96
    .language:       OpenCL C
    .language_version:
      - 2
      - 0
    .max_flat_workgroup_size: 64
    .name:           _ZN7rocprim17ROCPRIM_400000_NS6detail17trampoline_kernelINS0_14default_configENS1_20scan_config_selectorIfEEZZNS1_9scan_implILNS1_25lookback_scan_determinismE0ELb1ELb1ES3_N6thrust23THRUST_200600_302600_NS6detail15normal_iteratorINS9_10device_ptrIfEEEESE_fNS9_4plusIvEEfEEDaPvRmT3_T4_T5_mT6_P12ihipStream_tbENKUlT_T0_E_clISt17integral_constantIbLb0EEST_IbLb1EEEEDaSP_SQ_EUlSP_E_NS1_11comp_targetILNS1_3genE8ELNS1_11target_archE1030ELNS1_3gpuE2ELNS1_3repE0EEENS1_30default_config_static_selectorELNS0_4arch9wavefront6targetE1EEEvT1_
    .private_segment_fixed_size: 0
    .sgpr_count:     4
    .sgpr_spill_count: 0
    .symbol:         _ZN7rocprim17ROCPRIM_400000_NS6detail17trampoline_kernelINS0_14default_configENS1_20scan_config_selectorIfEEZZNS1_9scan_implILNS1_25lookback_scan_determinismE0ELb1ELb1ES3_N6thrust23THRUST_200600_302600_NS6detail15normal_iteratorINS9_10device_ptrIfEEEESE_fNS9_4plusIvEEfEEDaPvRmT3_T4_T5_mT6_P12ihipStream_tbENKUlT_T0_E_clISt17integral_constantIbLb0EEST_IbLb1EEEEDaSP_SQ_EUlSP_E_NS1_11comp_targetILNS1_3genE8ELNS1_11target_archE1030ELNS1_3gpuE2ELNS1_3repE0EEENS1_30default_config_static_selectorELNS0_4arch9wavefront6targetE1EEEvT1_.kd
    .uniform_work_group_size: 1
    .uses_dynamic_stack: false
    .vgpr_count:     0
    .vgpr_spill_count: 0
    .wavefront_size: 64
  - .agpr_count:     0
    .args:
      - .offset:         0
        .size:           32
        .value_kind:     by_value
    .group_segment_fixed_size: 0
    .kernarg_segment_align: 8
    .kernarg_segment_size: 32
    .language:       OpenCL C
    .language_version:
      - 2
      - 0
    .max_flat_workgroup_size: 256
    .name:           _ZN7rocprim17ROCPRIM_400000_NS6detail17trampoline_kernelINS0_14default_configENS1_20scan_config_selectorIfEEZZNS1_9scan_implILNS1_25lookback_scan_determinismE0ELb1ELb1ES3_N6thrust23THRUST_200600_302600_NS6detail15normal_iteratorINS9_10device_ptrIfEEEESE_fNS9_4plusIvEEfEEDaPvRmT3_T4_T5_mT6_P12ihipStream_tbENKUlT_T0_E_clISt17integral_constantIbLb0EEST_IbLb1EEEEDaSP_SQ_EUlSP_E0_NS1_11comp_targetILNS1_3genE0ELNS1_11target_archE4294967295ELNS1_3gpuE0ELNS1_3repE0EEENS1_30default_config_static_selectorELNS0_4arch9wavefront6targetE1EEEvT1_
    .private_segment_fixed_size: 0
    .sgpr_count:     4
    .sgpr_spill_count: 0
    .symbol:         _ZN7rocprim17ROCPRIM_400000_NS6detail17trampoline_kernelINS0_14default_configENS1_20scan_config_selectorIfEEZZNS1_9scan_implILNS1_25lookback_scan_determinismE0ELb1ELb1ES3_N6thrust23THRUST_200600_302600_NS6detail15normal_iteratorINS9_10device_ptrIfEEEESE_fNS9_4plusIvEEfEEDaPvRmT3_T4_T5_mT6_P12ihipStream_tbENKUlT_T0_E_clISt17integral_constantIbLb0EEST_IbLb1EEEEDaSP_SQ_EUlSP_E0_NS1_11comp_targetILNS1_3genE0ELNS1_11target_archE4294967295ELNS1_3gpuE0ELNS1_3repE0EEENS1_30default_config_static_selectorELNS0_4arch9wavefront6targetE1EEEvT1_.kd
    .uniform_work_group_size: 1
    .uses_dynamic_stack: false
    .vgpr_count:     0
    .vgpr_spill_count: 0
    .wavefront_size: 64
  - .agpr_count:     0
    .args:
      - .offset:         0
        .size:           32
        .value_kind:     by_value
    .group_segment_fixed_size: 0
    .kernarg_segment_align: 8
    .kernarg_segment_size: 32
    .language:       OpenCL C
    .language_version:
      - 2
      - 0
    .max_flat_workgroup_size: 256
    .name:           _ZN7rocprim17ROCPRIM_400000_NS6detail17trampoline_kernelINS0_14default_configENS1_20scan_config_selectorIfEEZZNS1_9scan_implILNS1_25lookback_scan_determinismE0ELb1ELb1ES3_N6thrust23THRUST_200600_302600_NS6detail15normal_iteratorINS9_10device_ptrIfEEEESE_fNS9_4plusIvEEfEEDaPvRmT3_T4_T5_mT6_P12ihipStream_tbENKUlT_T0_E_clISt17integral_constantIbLb0EEST_IbLb1EEEEDaSP_SQ_EUlSP_E0_NS1_11comp_targetILNS1_3genE5ELNS1_11target_archE942ELNS1_3gpuE9ELNS1_3repE0EEENS1_30default_config_static_selectorELNS0_4arch9wavefront6targetE1EEEvT1_
    .private_segment_fixed_size: 0
    .sgpr_count:     4
    .sgpr_spill_count: 0
    .symbol:         _ZN7rocprim17ROCPRIM_400000_NS6detail17trampoline_kernelINS0_14default_configENS1_20scan_config_selectorIfEEZZNS1_9scan_implILNS1_25lookback_scan_determinismE0ELb1ELb1ES3_N6thrust23THRUST_200600_302600_NS6detail15normal_iteratorINS9_10device_ptrIfEEEESE_fNS9_4plusIvEEfEEDaPvRmT3_T4_T5_mT6_P12ihipStream_tbENKUlT_T0_E_clISt17integral_constantIbLb0EEST_IbLb1EEEEDaSP_SQ_EUlSP_E0_NS1_11comp_targetILNS1_3genE5ELNS1_11target_archE942ELNS1_3gpuE9ELNS1_3repE0EEENS1_30default_config_static_selectorELNS0_4arch9wavefront6targetE1EEEvT1_.kd
    .uniform_work_group_size: 1
    .uses_dynamic_stack: false
    .vgpr_count:     0
    .vgpr_spill_count: 0
    .wavefront_size: 64
  - .agpr_count:     0
    .args:
      - .offset:         0
        .size:           32
        .value_kind:     by_value
    .group_segment_fixed_size: 7168
    .kernarg_segment_align: 8
    .kernarg_segment_size: 32
    .language:       OpenCL C
    .language_version:
      - 2
      - 0
    .max_flat_workgroup_size: 128
    .name:           _ZN7rocprim17ROCPRIM_400000_NS6detail17trampoline_kernelINS0_14default_configENS1_20scan_config_selectorIfEEZZNS1_9scan_implILNS1_25lookback_scan_determinismE0ELb1ELb1ES3_N6thrust23THRUST_200600_302600_NS6detail15normal_iteratorINS9_10device_ptrIfEEEESE_fNS9_4plusIvEEfEEDaPvRmT3_T4_T5_mT6_P12ihipStream_tbENKUlT_T0_E_clISt17integral_constantIbLb0EEST_IbLb1EEEEDaSP_SQ_EUlSP_E0_NS1_11comp_targetILNS1_3genE4ELNS1_11target_archE910ELNS1_3gpuE8ELNS1_3repE0EEENS1_30default_config_static_selectorELNS0_4arch9wavefront6targetE1EEEvT1_
    .private_segment_fixed_size: 0
    .sgpr_count:     42
    .sgpr_spill_count: 0
    .symbol:         _ZN7rocprim17ROCPRIM_400000_NS6detail17trampoline_kernelINS0_14default_configENS1_20scan_config_selectorIfEEZZNS1_9scan_implILNS1_25lookback_scan_determinismE0ELb1ELb1ES3_N6thrust23THRUST_200600_302600_NS6detail15normal_iteratorINS9_10device_ptrIfEEEESE_fNS9_4plusIvEEfEEDaPvRmT3_T4_T5_mT6_P12ihipStream_tbENKUlT_T0_E_clISt17integral_constantIbLb0EEST_IbLb1EEEEDaSP_SQ_EUlSP_E0_NS1_11comp_targetILNS1_3genE4ELNS1_11target_archE910ELNS1_3gpuE8ELNS1_3repE0EEENS1_30default_config_static_selectorELNS0_4arch9wavefront6targetE1EEEvT1_.kd
    .uniform_work_group_size: 1
    .uses_dynamic_stack: false
    .vgpr_count:     24
    .vgpr_spill_count: 0
    .wavefront_size: 64
  - .agpr_count:     0
    .args:
      - .offset:         0
        .size:           32
        .value_kind:     by_value
    .group_segment_fixed_size: 0
    .kernarg_segment_align: 8
    .kernarg_segment_size: 32
    .language:       OpenCL C
    .language_version:
      - 2
      - 0
    .max_flat_workgroup_size: 256
    .name:           _ZN7rocprim17ROCPRIM_400000_NS6detail17trampoline_kernelINS0_14default_configENS1_20scan_config_selectorIfEEZZNS1_9scan_implILNS1_25lookback_scan_determinismE0ELb1ELb1ES3_N6thrust23THRUST_200600_302600_NS6detail15normal_iteratorINS9_10device_ptrIfEEEESE_fNS9_4plusIvEEfEEDaPvRmT3_T4_T5_mT6_P12ihipStream_tbENKUlT_T0_E_clISt17integral_constantIbLb0EEST_IbLb1EEEEDaSP_SQ_EUlSP_E0_NS1_11comp_targetILNS1_3genE3ELNS1_11target_archE908ELNS1_3gpuE7ELNS1_3repE0EEENS1_30default_config_static_selectorELNS0_4arch9wavefront6targetE1EEEvT1_
    .private_segment_fixed_size: 0
    .sgpr_count:     4
    .sgpr_spill_count: 0
    .symbol:         _ZN7rocprim17ROCPRIM_400000_NS6detail17trampoline_kernelINS0_14default_configENS1_20scan_config_selectorIfEEZZNS1_9scan_implILNS1_25lookback_scan_determinismE0ELb1ELb1ES3_N6thrust23THRUST_200600_302600_NS6detail15normal_iteratorINS9_10device_ptrIfEEEESE_fNS9_4plusIvEEfEEDaPvRmT3_T4_T5_mT6_P12ihipStream_tbENKUlT_T0_E_clISt17integral_constantIbLb0EEST_IbLb1EEEEDaSP_SQ_EUlSP_E0_NS1_11comp_targetILNS1_3genE3ELNS1_11target_archE908ELNS1_3gpuE7ELNS1_3repE0EEENS1_30default_config_static_selectorELNS0_4arch9wavefront6targetE1EEEvT1_.kd
    .uniform_work_group_size: 1
    .uses_dynamic_stack: false
    .vgpr_count:     0
    .vgpr_spill_count: 0
    .wavefront_size: 64
  - .agpr_count:     0
    .args:
      - .offset:         0
        .size:           32
        .value_kind:     by_value
    .group_segment_fixed_size: 0
    .kernarg_segment_align: 8
    .kernarg_segment_size: 32
    .language:       OpenCL C
    .language_version:
      - 2
      - 0
    .max_flat_workgroup_size: 256
    .name:           _ZN7rocprim17ROCPRIM_400000_NS6detail17trampoline_kernelINS0_14default_configENS1_20scan_config_selectorIfEEZZNS1_9scan_implILNS1_25lookback_scan_determinismE0ELb1ELb1ES3_N6thrust23THRUST_200600_302600_NS6detail15normal_iteratorINS9_10device_ptrIfEEEESE_fNS9_4plusIvEEfEEDaPvRmT3_T4_T5_mT6_P12ihipStream_tbENKUlT_T0_E_clISt17integral_constantIbLb0EEST_IbLb1EEEEDaSP_SQ_EUlSP_E0_NS1_11comp_targetILNS1_3genE2ELNS1_11target_archE906ELNS1_3gpuE6ELNS1_3repE0EEENS1_30default_config_static_selectorELNS0_4arch9wavefront6targetE1EEEvT1_
    .private_segment_fixed_size: 0
    .sgpr_count:     4
    .sgpr_spill_count: 0
    .symbol:         _ZN7rocprim17ROCPRIM_400000_NS6detail17trampoline_kernelINS0_14default_configENS1_20scan_config_selectorIfEEZZNS1_9scan_implILNS1_25lookback_scan_determinismE0ELb1ELb1ES3_N6thrust23THRUST_200600_302600_NS6detail15normal_iteratorINS9_10device_ptrIfEEEESE_fNS9_4plusIvEEfEEDaPvRmT3_T4_T5_mT6_P12ihipStream_tbENKUlT_T0_E_clISt17integral_constantIbLb0EEST_IbLb1EEEEDaSP_SQ_EUlSP_E0_NS1_11comp_targetILNS1_3genE2ELNS1_11target_archE906ELNS1_3gpuE6ELNS1_3repE0EEENS1_30default_config_static_selectorELNS0_4arch9wavefront6targetE1EEEvT1_.kd
    .uniform_work_group_size: 1
    .uses_dynamic_stack: false
    .vgpr_count:     0
    .vgpr_spill_count: 0
    .wavefront_size: 64
  - .agpr_count:     0
    .args:
      - .offset:         0
        .size:           32
        .value_kind:     by_value
    .group_segment_fixed_size: 0
    .kernarg_segment_align: 8
    .kernarg_segment_size: 32
    .language:       OpenCL C
    .language_version:
      - 2
      - 0
    .max_flat_workgroup_size: 256
    .name:           _ZN7rocprim17ROCPRIM_400000_NS6detail17trampoline_kernelINS0_14default_configENS1_20scan_config_selectorIfEEZZNS1_9scan_implILNS1_25lookback_scan_determinismE0ELb1ELb1ES3_N6thrust23THRUST_200600_302600_NS6detail15normal_iteratorINS9_10device_ptrIfEEEESE_fNS9_4plusIvEEfEEDaPvRmT3_T4_T5_mT6_P12ihipStream_tbENKUlT_T0_E_clISt17integral_constantIbLb0EEST_IbLb1EEEEDaSP_SQ_EUlSP_E0_NS1_11comp_targetILNS1_3genE10ELNS1_11target_archE1201ELNS1_3gpuE5ELNS1_3repE0EEENS1_30default_config_static_selectorELNS0_4arch9wavefront6targetE1EEEvT1_
    .private_segment_fixed_size: 0
    .sgpr_count:     4
    .sgpr_spill_count: 0
    .symbol:         _ZN7rocprim17ROCPRIM_400000_NS6detail17trampoline_kernelINS0_14default_configENS1_20scan_config_selectorIfEEZZNS1_9scan_implILNS1_25lookback_scan_determinismE0ELb1ELb1ES3_N6thrust23THRUST_200600_302600_NS6detail15normal_iteratorINS9_10device_ptrIfEEEESE_fNS9_4plusIvEEfEEDaPvRmT3_T4_T5_mT6_P12ihipStream_tbENKUlT_T0_E_clISt17integral_constantIbLb0EEST_IbLb1EEEEDaSP_SQ_EUlSP_E0_NS1_11comp_targetILNS1_3genE10ELNS1_11target_archE1201ELNS1_3gpuE5ELNS1_3repE0EEENS1_30default_config_static_selectorELNS0_4arch9wavefront6targetE1EEEvT1_.kd
    .uniform_work_group_size: 1
    .uses_dynamic_stack: false
    .vgpr_count:     0
    .vgpr_spill_count: 0
    .wavefront_size: 64
  - .agpr_count:     0
    .args:
      - .offset:         0
        .size:           32
        .value_kind:     by_value
    .group_segment_fixed_size: 0
    .kernarg_segment_align: 8
    .kernarg_segment_size: 32
    .language:       OpenCL C
    .language_version:
      - 2
      - 0
    .max_flat_workgroup_size: 256
    .name:           _ZN7rocprim17ROCPRIM_400000_NS6detail17trampoline_kernelINS0_14default_configENS1_20scan_config_selectorIfEEZZNS1_9scan_implILNS1_25lookback_scan_determinismE0ELb1ELb1ES3_N6thrust23THRUST_200600_302600_NS6detail15normal_iteratorINS9_10device_ptrIfEEEESE_fNS9_4plusIvEEfEEDaPvRmT3_T4_T5_mT6_P12ihipStream_tbENKUlT_T0_E_clISt17integral_constantIbLb0EEST_IbLb1EEEEDaSP_SQ_EUlSP_E0_NS1_11comp_targetILNS1_3genE10ELNS1_11target_archE1200ELNS1_3gpuE4ELNS1_3repE0EEENS1_30default_config_static_selectorELNS0_4arch9wavefront6targetE1EEEvT1_
    .private_segment_fixed_size: 0
    .sgpr_count:     4
    .sgpr_spill_count: 0
    .symbol:         _ZN7rocprim17ROCPRIM_400000_NS6detail17trampoline_kernelINS0_14default_configENS1_20scan_config_selectorIfEEZZNS1_9scan_implILNS1_25lookback_scan_determinismE0ELb1ELb1ES3_N6thrust23THRUST_200600_302600_NS6detail15normal_iteratorINS9_10device_ptrIfEEEESE_fNS9_4plusIvEEfEEDaPvRmT3_T4_T5_mT6_P12ihipStream_tbENKUlT_T0_E_clISt17integral_constantIbLb0EEST_IbLb1EEEEDaSP_SQ_EUlSP_E0_NS1_11comp_targetILNS1_3genE10ELNS1_11target_archE1200ELNS1_3gpuE4ELNS1_3repE0EEENS1_30default_config_static_selectorELNS0_4arch9wavefront6targetE1EEEvT1_.kd
    .uniform_work_group_size: 1
    .uses_dynamic_stack: false
    .vgpr_count:     0
    .vgpr_spill_count: 0
    .wavefront_size: 64
  - .agpr_count:     0
    .args:
      - .offset:         0
        .size:           32
        .value_kind:     by_value
    .group_segment_fixed_size: 0
    .kernarg_segment_align: 8
    .kernarg_segment_size: 32
    .language:       OpenCL C
    .language_version:
      - 2
      - 0
    .max_flat_workgroup_size: 256
    .name:           _ZN7rocprim17ROCPRIM_400000_NS6detail17trampoline_kernelINS0_14default_configENS1_20scan_config_selectorIfEEZZNS1_9scan_implILNS1_25lookback_scan_determinismE0ELb1ELb1ES3_N6thrust23THRUST_200600_302600_NS6detail15normal_iteratorINS9_10device_ptrIfEEEESE_fNS9_4plusIvEEfEEDaPvRmT3_T4_T5_mT6_P12ihipStream_tbENKUlT_T0_E_clISt17integral_constantIbLb0EEST_IbLb1EEEEDaSP_SQ_EUlSP_E0_NS1_11comp_targetILNS1_3genE9ELNS1_11target_archE1100ELNS1_3gpuE3ELNS1_3repE0EEENS1_30default_config_static_selectorELNS0_4arch9wavefront6targetE1EEEvT1_
    .private_segment_fixed_size: 0
    .sgpr_count:     4
    .sgpr_spill_count: 0
    .symbol:         _ZN7rocprim17ROCPRIM_400000_NS6detail17trampoline_kernelINS0_14default_configENS1_20scan_config_selectorIfEEZZNS1_9scan_implILNS1_25lookback_scan_determinismE0ELb1ELb1ES3_N6thrust23THRUST_200600_302600_NS6detail15normal_iteratorINS9_10device_ptrIfEEEESE_fNS9_4plusIvEEfEEDaPvRmT3_T4_T5_mT6_P12ihipStream_tbENKUlT_T0_E_clISt17integral_constantIbLb0EEST_IbLb1EEEEDaSP_SQ_EUlSP_E0_NS1_11comp_targetILNS1_3genE9ELNS1_11target_archE1100ELNS1_3gpuE3ELNS1_3repE0EEENS1_30default_config_static_selectorELNS0_4arch9wavefront6targetE1EEEvT1_.kd
    .uniform_work_group_size: 1
    .uses_dynamic_stack: false
    .vgpr_count:     0
    .vgpr_spill_count: 0
    .wavefront_size: 64
  - .agpr_count:     0
    .args:
      - .offset:         0
        .size:           32
        .value_kind:     by_value
    .group_segment_fixed_size: 0
    .kernarg_segment_align: 8
    .kernarg_segment_size: 32
    .language:       OpenCL C
    .language_version:
      - 2
      - 0
    .max_flat_workgroup_size: 64
    .name:           _ZN7rocprim17ROCPRIM_400000_NS6detail17trampoline_kernelINS0_14default_configENS1_20scan_config_selectorIfEEZZNS1_9scan_implILNS1_25lookback_scan_determinismE0ELb1ELb1ES3_N6thrust23THRUST_200600_302600_NS6detail15normal_iteratorINS9_10device_ptrIfEEEESE_fNS9_4plusIvEEfEEDaPvRmT3_T4_T5_mT6_P12ihipStream_tbENKUlT_T0_E_clISt17integral_constantIbLb0EEST_IbLb1EEEEDaSP_SQ_EUlSP_E0_NS1_11comp_targetILNS1_3genE8ELNS1_11target_archE1030ELNS1_3gpuE2ELNS1_3repE0EEENS1_30default_config_static_selectorELNS0_4arch9wavefront6targetE1EEEvT1_
    .private_segment_fixed_size: 0
    .sgpr_count:     4
    .sgpr_spill_count: 0
    .symbol:         _ZN7rocprim17ROCPRIM_400000_NS6detail17trampoline_kernelINS0_14default_configENS1_20scan_config_selectorIfEEZZNS1_9scan_implILNS1_25lookback_scan_determinismE0ELb1ELb1ES3_N6thrust23THRUST_200600_302600_NS6detail15normal_iteratorINS9_10device_ptrIfEEEESE_fNS9_4plusIvEEfEEDaPvRmT3_T4_T5_mT6_P12ihipStream_tbENKUlT_T0_E_clISt17integral_constantIbLb0EEST_IbLb1EEEEDaSP_SQ_EUlSP_E0_NS1_11comp_targetILNS1_3genE8ELNS1_11target_archE1030ELNS1_3gpuE2ELNS1_3repE0EEENS1_30default_config_static_selectorELNS0_4arch9wavefront6targetE1EEEvT1_.kd
    .uniform_work_group_size: 1
    .uses_dynamic_stack: false
    .vgpr_count:     0
    .vgpr_spill_count: 0
    .wavefront_size: 64
  - .agpr_count:     0
    .args:
      - .offset:         0
        .size:           104
        .value_kind:     by_value
    .group_segment_fixed_size: 0
    .kernarg_segment_align: 8
    .kernarg_segment_size: 104
    .language:       OpenCL C
    .language_version:
      - 2
      - 0
    .max_flat_workgroup_size: 256
    .name:           _ZN7rocprim17ROCPRIM_400000_NS6detail17trampoline_kernelINS0_14default_configENS1_20scan_config_selectorIyEEZZNS1_9scan_implILNS1_25lookback_scan_determinismE0ELb0ELb0ES3_N6thrust23THRUST_200600_302600_NS6detail15normal_iteratorINS9_10device_ptrIyEEEESE_yNS9_4plusIvEEyEEDaPvRmT3_T4_T5_mT6_P12ihipStream_tbENKUlT_T0_E_clISt17integral_constantIbLb0EESU_EEDaSP_SQ_EUlSP_E_NS1_11comp_targetILNS1_3genE0ELNS1_11target_archE4294967295ELNS1_3gpuE0ELNS1_3repE0EEENS1_30default_config_static_selectorELNS0_4arch9wavefront6targetE1EEEvT1_
    .private_segment_fixed_size: 0
    .sgpr_count:     4
    .sgpr_spill_count: 0
    .symbol:         _ZN7rocprim17ROCPRIM_400000_NS6detail17trampoline_kernelINS0_14default_configENS1_20scan_config_selectorIyEEZZNS1_9scan_implILNS1_25lookback_scan_determinismE0ELb0ELb0ES3_N6thrust23THRUST_200600_302600_NS6detail15normal_iteratorINS9_10device_ptrIyEEEESE_yNS9_4plusIvEEyEEDaPvRmT3_T4_T5_mT6_P12ihipStream_tbENKUlT_T0_E_clISt17integral_constantIbLb0EESU_EEDaSP_SQ_EUlSP_E_NS1_11comp_targetILNS1_3genE0ELNS1_11target_archE4294967295ELNS1_3gpuE0ELNS1_3repE0EEENS1_30default_config_static_selectorELNS0_4arch9wavefront6targetE1EEEvT1_.kd
    .uniform_work_group_size: 1
    .uses_dynamic_stack: false
    .vgpr_count:     0
    .vgpr_spill_count: 0
    .wavefront_size: 64
  - .agpr_count:     0
    .args:
      - .offset:         0
        .size:           104
        .value_kind:     by_value
    .group_segment_fixed_size: 0
    .kernarg_segment_align: 8
    .kernarg_segment_size: 104
    .language:       OpenCL C
    .language_version:
      - 2
      - 0
    .max_flat_workgroup_size: 256
    .name:           _ZN7rocprim17ROCPRIM_400000_NS6detail17trampoline_kernelINS0_14default_configENS1_20scan_config_selectorIyEEZZNS1_9scan_implILNS1_25lookback_scan_determinismE0ELb0ELb0ES3_N6thrust23THRUST_200600_302600_NS6detail15normal_iteratorINS9_10device_ptrIyEEEESE_yNS9_4plusIvEEyEEDaPvRmT3_T4_T5_mT6_P12ihipStream_tbENKUlT_T0_E_clISt17integral_constantIbLb0EESU_EEDaSP_SQ_EUlSP_E_NS1_11comp_targetILNS1_3genE5ELNS1_11target_archE942ELNS1_3gpuE9ELNS1_3repE0EEENS1_30default_config_static_selectorELNS0_4arch9wavefront6targetE1EEEvT1_
    .private_segment_fixed_size: 0
    .sgpr_count:     4
    .sgpr_spill_count: 0
    .symbol:         _ZN7rocprim17ROCPRIM_400000_NS6detail17trampoline_kernelINS0_14default_configENS1_20scan_config_selectorIyEEZZNS1_9scan_implILNS1_25lookback_scan_determinismE0ELb0ELb0ES3_N6thrust23THRUST_200600_302600_NS6detail15normal_iteratorINS9_10device_ptrIyEEEESE_yNS9_4plusIvEEyEEDaPvRmT3_T4_T5_mT6_P12ihipStream_tbENKUlT_T0_E_clISt17integral_constantIbLb0EESU_EEDaSP_SQ_EUlSP_E_NS1_11comp_targetILNS1_3genE5ELNS1_11target_archE942ELNS1_3gpuE9ELNS1_3repE0EEENS1_30default_config_static_selectorELNS0_4arch9wavefront6targetE1EEEvT1_.kd
    .uniform_work_group_size: 1
    .uses_dynamic_stack: false
    .vgpr_count:     0
    .vgpr_spill_count: 0
    .wavefront_size: 64
  - .agpr_count:     0
    .args:
      - .offset:         0
        .size:           104
        .value_kind:     by_value
    .group_segment_fixed_size: 7168
    .kernarg_segment_align: 8
    .kernarg_segment_size: 104
    .language:       OpenCL C
    .language_version:
      - 2
      - 0
    .max_flat_workgroup_size: 128
    .name:           _ZN7rocprim17ROCPRIM_400000_NS6detail17trampoline_kernelINS0_14default_configENS1_20scan_config_selectorIyEEZZNS1_9scan_implILNS1_25lookback_scan_determinismE0ELb0ELb0ES3_N6thrust23THRUST_200600_302600_NS6detail15normal_iteratorINS9_10device_ptrIyEEEESE_yNS9_4plusIvEEyEEDaPvRmT3_T4_T5_mT6_P12ihipStream_tbENKUlT_T0_E_clISt17integral_constantIbLb0EESU_EEDaSP_SQ_EUlSP_E_NS1_11comp_targetILNS1_3genE4ELNS1_11target_archE910ELNS1_3gpuE8ELNS1_3repE0EEENS1_30default_config_static_selectorELNS0_4arch9wavefront6targetE1EEEvT1_
    .private_segment_fixed_size: 0
    .sgpr_count:     32
    .sgpr_spill_count: 0
    .symbol:         _ZN7rocprim17ROCPRIM_400000_NS6detail17trampoline_kernelINS0_14default_configENS1_20scan_config_selectorIyEEZZNS1_9scan_implILNS1_25lookback_scan_determinismE0ELb0ELb0ES3_N6thrust23THRUST_200600_302600_NS6detail15normal_iteratorINS9_10device_ptrIyEEEESE_yNS9_4plusIvEEyEEDaPvRmT3_T4_T5_mT6_P12ihipStream_tbENKUlT_T0_E_clISt17integral_constantIbLb0EESU_EEDaSP_SQ_EUlSP_E_NS1_11comp_targetILNS1_3genE4ELNS1_11target_archE910ELNS1_3gpuE8ELNS1_3repE0EEENS1_30default_config_static_selectorELNS0_4arch9wavefront6targetE1EEEvT1_.kd
    .uniform_work_group_size: 1
    .uses_dynamic_stack: false
    .vgpr_count:     51
    .vgpr_spill_count: 0
    .wavefront_size: 64
  - .agpr_count:     0
    .args:
      - .offset:         0
        .size:           104
        .value_kind:     by_value
    .group_segment_fixed_size: 0
    .kernarg_segment_align: 8
    .kernarg_segment_size: 104
    .language:       OpenCL C
    .language_version:
      - 2
      - 0
    .max_flat_workgroup_size: 256
    .name:           _ZN7rocprim17ROCPRIM_400000_NS6detail17trampoline_kernelINS0_14default_configENS1_20scan_config_selectorIyEEZZNS1_9scan_implILNS1_25lookback_scan_determinismE0ELb0ELb0ES3_N6thrust23THRUST_200600_302600_NS6detail15normal_iteratorINS9_10device_ptrIyEEEESE_yNS9_4plusIvEEyEEDaPvRmT3_T4_T5_mT6_P12ihipStream_tbENKUlT_T0_E_clISt17integral_constantIbLb0EESU_EEDaSP_SQ_EUlSP_E_NS1_11comp_targetILNS1_3genE3ELNS1_11target_archE908ELNS1_3gpuE7ELNS1_3repE0EEENS1_30default_config_static_selectorELNS0_4arch9wavefront6targetE1EEEvT1_
    .private_segment_fixed_size: 0
    .sgpr_count:     4
    .sgpr_spill_count: 0
    .symbol:         _ZN7rocprim17ROCPRIM_400000_NS6detail17trampoline_kernelINS0_14default_configENS1_20scan_config_selectorIyEEZZNS1_9scan_implILNS1_25lookback_scan_determinismE0ELb0ELb0ES3_N6thrust23THRUST_200600_302600_NS6detail15normal_iteratorINS9_10device_ptrIyEEEESE_yNS9_4plusIvEEyEEDaPvRmT3_T4_T5_mT6_P12ihipStream_tbENKUlT_T0_E_clISt17integral_constantIbLb0EESU_EEDaSP_SQ_EUlSP_E_NS1_11comp_targetILNS1_3genE3ELNS1_11target_archE908ELNS1_3gpuE7ELNS1_3repE0EEENS1_30default_config_static_selectorELNS0_4arch9wavefront6targetE1EEEvT1_.kd
    .uniform_work_group_size: 1
    .uses_dynamic_stack: false
    .vgpr_count:     0
    .vgpr_spill_count: 0
    .wavefront_size: 64
  - .agpr_count:     0
    .args:
      - .offset:         0
        .size:           104
        .value_kind:     by_value
    .group_segment_fixed_size: 0
    .kernarg_segment_align: 8
    .kernarg_segment_size: 104
    .language:       OpenCL C
    .language_version:
      - 2
      - 0
    .max_flat_workgroup_size: 64
    .name:           _ZN7rocprim17ROCPRIM_400000_NS6detail17trampoline_kernelINS0_14default_configENS1_20scan_config_selectorIyEEZZNS1_9scan_implILNS1_25lookback_scan_determinismE0ELb0ELb0ES3_N6thrust23THRUST_200600_302600_NS6detail15normal_iteratorINS9_10device_ptrIyEEEESE_yNS9_4plusIvEEyEEDaPvRmT3_T4_T5_mT6_P12ihipStream_tbENKUlT_T0_E_clISt17integral_constantIbLb0EESU_EEDaSP_SQ_EUlSP_E_NS1_11comp_targetILNS1_3genE2ELNS1_11target_archE906ELNS1_3gpuE6ELNS1_3repE0EEENS1_30default_config_static_selectorELNS0_4arch9wavefront6targetE1EEEvT1_
    .private_segment_fixed_size: 0
    .sgpr_count:     4
    .sgpr_spill_count: 0
    .symbol:         _ZN7rocprim17ROCPRIM_400000_NS6detail17trampoline_kernelINS0_14default_configENS1_20scan_config_selectorIyEEZZNS1_9scan_implILNS1_25lookback_scan_determinismE0ELb0ELb0ES3_N6thrust23THRUST_200600_302600_NS6detail15normal_iteratorINS9_10device_ptrIyEEEESE_yNS9_4plusIvEEyEEDaPvRmT3_T4_T5_mT6_P12ihipStream_tbENKUlT_T0_E_clISt17integral_constantIbLb0EESU_EEDaSP_SQ_EUlSP_E_NS1_11comp_targetILNS1_3genE2ELNS1_11target_archE906ELNS1_3gpuE6ELNS1_3repE0EEENS1_30default_config_static_selectorELNS0_4arch9wavefront6targetE1EEEvT1_.kd
    .uniform_work_group_size: 1
    .uses_dynamic_stack: false
    .vgpr_count:     0
    .vgpr_spill_count: 0
    .wavefront_size: 64
  - .agpr_count:     0
    .args:
      - .offset:         0
        .size:           104
        .value_kind:     by_value
    .group_segment_fixed_size: 0
    .kernarg_segment_align: 8
    .kernarg_segment_size: 104
    .language:       OpenCL C
    .language_version:
      - 2
      - 0
    .max_flat_workgroup_size: 256
    .name:           _ZN7rocprim17ROCPRIM_400000_NS6detail17trampoline_kernelINS0_14default_configENS1_20scan_config_selectorIyEEZZNS1_9scan_implILNS1_25lookback_scan_determinismE0ELb0ELb0ES3_N6thrust23THRUST_200600_302600_NS6detail15normal_iteratorINS9_10device_ptrIyEEEESE_yNS9_4plusIvEEyEEDaPvRmT3_T4_T5_mT6_P12ihipStream_tbENKUlT_T0_E_clISt17integral_constantIbLb0EESU_EEDaSP_SQ_EUlSP_E_NS1_11comp_targetILNS1_3genE10ELNS1_11target_archE1201ELNS1_3gpuE5ELNS1_3repE0EEENS1_30default_config_static_selectorELNS0_4arch9wavefront6targetE1EEEvT1_
    .private_segment_fixed_size: 0
    .sgpr_count:     4
    .sgpr_spill_count: 0
    .symbol:         _ZN7rocprim17ROCPRIM_400000_NS6detail17trampoline_kernelINS0_14default_configENS1_20scan_config_selectorIyEEZZNS1_9scan_implILNS1_25lookback_scan_determinismE0ELb0ELb0ES3_N6thrust23THRUST_200600_302600_NS6detail15normal_iteratorINS9_10device_ptrIyEEEESE_yNS9_4plusIvEEyEEDaPvRmT3_T4_T5_mT6_P12ihipStream_tbENKUlT_T0_E_clISt17integral_constantIbLb0EESU_EEDaSP_SQ_EUlSP_E_NS1_11comp_targetILNS1_3genE10ELNS1_11target_archE1201ELNS1_3gpuE5ELNS1_3repE0EEENS1_30default_config_static_selectorELNS0_4arch9wavefront6targetE1EEEvT1_.kd
    .uniform_work_group_size: 1
    .uses_dynamic_stack: false
    .vgpr_count:     0
    .vgpr_spill_count: 0
    .wavefront_size: 64
  - .agpr_count:     0
    .args:
      - .offset:         0
        .size:           104
        .value_kind:     by_value
    .group_segment_fixed_size: 0
    .kernarg_segment_align: 8
    .kernarg_segment_size: 104
    .language:       OpenCL C
    .language_version:
      - 2
      - 0
    .max_flat_workgroup_size: 256
    .name:           _ZN7rocprim17ROCPRIM_400000_NS6detail17trampoline_kernelINS0_14default_configENS1_20scan_config_selectorIyEEZZNS1_9scan_implILNS1_25lookback_scan_determinismE0ELb0ELb0ES3_N6thrust23THRUST_200600_302600_NS6detail15normal_iteratorINS9_10device_ptrIyEEEESE_yNS9_4plusIvEEyEEDaPvRmT3_T4_T5_mT6_P12ihipStream_tbENKUlT_T0_E_clISt17integral_constantIbLb0EESU_EEDaSP_SQ_EUlSP_E_NS1_11comp_targetILNS1_3genE10ELNS1_11target_archE1200ELNS1_3gpuE4ELNS1_3repE0EEENS1_30default_config_static_selectorELNS0_4arch9wavefront6targetE1EEEvT1_
    .private_segment_fixed_size: 0
    .sgpr_count:     4
    .sgpr_spill_count: 0
    .symbol:         _ZN7rocprim17ROCPRIM_400000_NS6detail17trampoline_kernelINS0_14default_configENS1_20scan_config_selectorIyEEZZNS1_9scan_implILNS1_25lookback_scan_determinismE0ELb0ELb0ES3_N6thrust23THRUST_200600_302600_NS6detail15normal_iteratorINS9_10device_ptrIyEEEESE_yNS9_4plusIvEEyEEDaPvRmT3_T4_T5_mT6_P12ihipStream_tbENKUlT_T0_E_clISt17integral_constantIbLb0EESU_EEDaSP_SQ_EUlSP_E_NS1_11comp_targetILNS1_3genE10ELNS1_11target_archE1200ELNS1_3gpuE4ELNS1_3repE0EEENS1_30default_config_static_selectorELNS0_4arch9wavefront6targetE1EEEvT1_.kd
    .uniform_work_group_size: 1
    .uses_dynamic_stack: false
    .vgpr_count:     0
    .vgpr_spill_count: 0
    .wavefront_size: 64
  - .agpr_count:     0
    .args:
      - .offset:         0
        .size:           104
        .value_kind:     by_value
    .group_segment_fixed_size: 0
    .kernarg_segment_align: 8
    .kernarg_segment_size: 104
    .language:       OpenCL C
    .language_version:
      - 2
      - 0
    .max_flat_workgroup_size: 256
    .name:           _ZN7rocprim17ROCPRIM_400000_NS6detail17trampoline_kernelINS0_14default_configENS1_20scan_config_selectorIyEEZZNS1_9scan_implILNS1_25lookback_scan_determinismE0ELb0ELb0ES3_N6thrust23THRUST_200600_302600_NS6detail15normal_iteratorINS9_10device_ptrIyEEEESE_yNS9_4plusIvEEyEEDaPvRmT3_T4_T5_mT6_P12ihipStream_tbENKUlT_T0_E_clISt17integral_constantIbLb0EESU_EEDaSP_SQ_EUlSP_E_NS1_11comp_targetILNS1_3genE9ELNS1_11target_archE1100ELNS1_3gpuE3ELNS1_3repE0EEENS1_30default_config_static_selectorELNS0_4arch9wavefront6targetE1EEEvT1_
    .private_segment_fixed_size: 0
    .sgpr_count:     4
    .sgpr_spill_count: 0
    .symbol:         _ZN7rocprim17ROCPRIM_400000_NS6detail17trampoline_kernelINS0_14default_configENS1_20scan_config_selectorIyEEZZNS1_9scan_implILNS1_25lookback_scan_determinismE0ELb0ELb0ES3_N6thrust23THRUST_200600_302600_NS6detail15normal_iteratorINS9_10device_ptrIyEEEESE_yNS9_4plusIvEEyEEDaPvRmT3_T4_T5_mT6_P12ihipStream_tbENKUlT_T0_E_clISt17integral_constantIbLb0EESU_EEDaSP_SQ_EUlSP_E_NS1_11comp_targetILNS1_3genE9ELNS1_11target_archE1100ELNS1_3gpuE3ELNS1_3repE0EEENS1_30default_config_static_selectorELNS0_4arch9wavefront6targetE1EEEvT1_.kd
    .uniform_work_group_size: 1
    .uses_dynamic_stack: false
    .vgpr_count:     0
    .vgpr_spill_count: 0
    .wavefront_size: 64
  - .agpr_count:     0
    .args:
      - .offset:         0
        .size:           104
        .value_kind:     by_value
    .group_segment_fixed_size: 0
    .kernarg_segment_align: 8
    .kernarg_segment_size: 104
    .language:       OpenCL C
    .language_version:
      - 2
      - 0
    .max_flat_workgroup_size: 256
    .name:           _ZN7rocprim17ROCPRIM_400000_NS6detail17trampoline_kernelINS0_14default_configENS1_20scan_config_selectorIyEEZZNS1_9scan_implILNS1_25lookback_scan_determinismE0ELb0ELb0ES3_N6thrust23THRUST_200600_302600_NS6detail15normal_iteratorINS9_10device_ptrIyEEEESE_yNS9_4plusIvEEyEEDaPvRmT3_T4_T5_mT6_P12ihipStream_tbENKUlT_T0_E_clISt17integral_constantIbLb0EESU_EEDaSP_SQ_EUlSP_E_NS1_11comp_targetILNS1_3genE8ELNS1_11target_archE1030ELNS1_3gpuE2ELNS1_3repE0EEENS1_30default_config_static_selectorELNS0_4arch9wavefront6targetE1EEEvT1_
    .private_segment_fixed_size: 0
    .sgpr_count:     4
    .sgpr_spill_count: 0
    .symbol:         _ZN7rocprim17ROCPRIM_400000_NS6detail17trampoline_kernelINS0_14default_configENS1_20scan_config_selectorIyEEZZNS1_9scan_implILNS1_25lookback_scan_determinismE0ELb0ELb0ES3_N6thrust23THRUST_200600_302600_NS6detail15normal_iteratorINS9_10device_ptrIyEEEESE_yNS9_4plusIvEEyEEDaPvRmT3_T4_T5_mT6_P12ihipStream_tbENKUlT_T0_E_clISt17integral_constantIbLb0EESU_EEDaSP_SQ_EUlSP_E_NS1_11comp_targetILNS1_3genE8ELNS1_11target_archE1030ELNS1_3gpuE2ELNS1_3repE0EEENS1_30default_config_static_selectorELNS0_4arch9wavefront6targetE1EEEvT1_.kd
    .uniform_work_group_size: 1
    .uses_dynamic_stack: false
    .vgpr_count:     0
    .vgpr_spill_count: 0
    .wavefront_size: 64
  - .agpr_count:     0
    .args:
      - .offset:         0
        .size:           40
        .value_kind:     by_value
    .group_segment_fixed_size: 0
    .kernarg_segment_align: 8
    .kernarg_segment_size: 40
    .language:       OpenCL C
    .language_version:
      - 2
      - 0
    .max_flat_workgroup_size: 256
    .name:           _ZN7rocprim17ROCPRIM_400000_NS6detail17trampoline_kernelINS0_14default_configENS1_20scan_config_selectorIyEEZZNS1_9scan_implILNS1_25lookback_scan_determinismE0ELb0ELb0ES3_N6thrust23THRUST_200600_302600_NS6detail15normal_iteratorINS9_10device_ptrIyEEEESE_yNS9_4plusIvEEyEEDaPvRmT3_T4_T5_mT6_P12ihipStream_tbENKUlT_T0_E_clISt17integral_constantIbLb0EESU_EEDaSP_SQ_EUlSP_E0_NS1_11comp_targetILNS1_3genE0ELNS1_11target_archE4294967295ELNS1_3gpuE0ELNS1_3repE0EEENS1_30default_config_static_selectorELNS0_4arch9wavefront6targetE1EEEvT1_
    .private_segment_fixed_size: 0
    .sgpr_count:     4
    .sgpr_spill_count: 0
    .symbol:         _ZN7rocprim17ROCPRIM_400000_NS6detail17trampoline_kernelINS0_14default_configENS1_20scan_config_selectorIyEEZZNS1_9scan_implILNS1_25lookback_scan_determinismE0ELb0ELb0ES3_N6thrust23THRUST_200600_302600_NS6detail15normal_iteratorINS9_10device_ptrIyEEEESE_yNS9_4plusIvEEyEEDaPvRmT3_T4_T5_mT6_P12ihipStream_tbENKUlT_T0_E_clISt17integral_constantIbLb0EESU_EEDaSP_SQ_EUlSP_E0_NS1_11comp_targetILNS1_3genE0ELNS1_11target_archE4294967295ELNS1_3gpuE0ELNS1_3repE0EEENS1_30default_config_static_selectorELNS0_4arch9wavefront6targetE1EEEvT1_.kd
    .uniform_work_group_size: 1
    .uses_dynamic_stack: false
    .vgpr_count:     0
    .vgpr_spill_count: 0
    .wavefront_size: 64
  - .agpr_count:     0
    .args:
      - .offset:         0
        .size:           40
        .value_kind:     by_value
    .group_segment_fixed_size: 0
    .kernarg_segment_align: 8
    .kernarg_segment_size: 40
    .language:       OpenCL C
    .language_version:
      - 2
      - 0
    .max_flat_workgroup_size: 256
    .name:           _ZN7rocprim17ROCPRIM_400000_NS6detail17trampoline_kernelINS0_14default_configENS1_20scan_config_selectorIyEEZZNS1_9scan_implILNS1_25lookback_scan_determinismE0ELb0ELb0ES3_N6thrust23THRUST_200600_302600_NS6detail15normal_iteratorINS9_10device_ptrIyEEEESE_yNS9_4plusIvEEyEEDaPvRmT3_T4_T5_mT6_P12ihipStream_tbENKUlT_T0_E_clISt17integral_constantIbLb0EESU_EEDaSP_SQ_EUlSP_E0_NS1_11comp_targetILNS1_3genE5ELNS1_11target_archE942ELNS1_3gpuE9ELNS1_3repE0EEENS1_30default_config_static_selectorELNS0_4arch9wavefront6targetE1EEEvT1_
    .private_segment_fixed_size: 0
    .sgpr_count:     4
    .sgpr_spill_count: 0
    .symbol:         _ZN7rocprim17ROCPRIM_400000_NS6detail17trampoline_kernelINS0_14default_configENS1_20scan_config_selectorIyEEZZNS1_9scan_implILNS1_25lookback_scan_determinismE0ELb0ELb0ES3_N6thrust23THRUST_200600_302600_NS6detail15normal_iteratorINS9_10device_ptrIyEEEESE_yNS9_4plusIvEEyEEDaPvRmT3_T4_T5_mT6_P12ihipStream_tbENKUlT_T0_E_clISt17integral_constantIbLb0EESU_EEDaSP_SQ_EUlSP_E0_NS1_11comp_targetILNS1_3genE5ELNS1_11target_archE942ELNS1_3gpuE9ELNS1_3repE0EEENS1_30default_config_static_selectorELNS0_4arch9wavefront6targetE1EEEvT1_.kd
    .uniform_work_group_size: 1
    .uses_dynamic_stack: false
    .vgpr_count:     0
    .vgpr_spill_count: 0
    .wavefront_size: 64
  - .agpr_count:     0
    .args:
      - .offset:         0
        .size:           40
        .value_kind:     by_value
    .group_segment_fixed_size: 7168
    .kernarg_segment_align: 8
    .kernarg_segment_size: 40
    .language:       OpenCL C
    .language_version:
      - 2
      - 0
    .max_flat_workgroup_size: 128
    .name:           _ZN7rocprim17ROCPRIM_400000_NS6detail17trampoline_kernelINS0_14default_configENS1_20scan_config_selectorIyEEZZNS1_9scan_implILNS1_25lookback_scan_determinismE0ELb0ELb0ES3_N6thrust23THRUST_200600_302600_NS6detail15normal_iteratorINS9_10device_ptrIyEEEESE_yNS9_4plusIvEEyEEDaPvRmT3_T4_T5_mT6_P12ihipStream_tbENKUlT_T0_E_clISt17integral_constantIbLb0EESU_EEDaSP_SQ_EUlSP_E0_NS1_11comp_targetILNS1_3genE4ELNS1_11target_archE910ELNS1_3gpuE8ELNS1_3repE0EEENS1_30default_config_static_selectorELNS0_4arch9wavefront6targetE1EEEvT1_
    .private_segment_fixed_size: 0
    .sgpr_count:     26
    .sgpr_spill_count: 0
    .symbol:         _ZN7rocprim17ROCPRIM_400000_NS6detail17trampoline_kernelINS0_14default_configENS1_20scan_config_selectorIyEEZZNS1_9scan_implILNS1_25lookback_scan_determinismE0ELb0ELb0ES3_N6thrust23THRUST_200600_302600_NS6detail15normal_iteratorINS9_10device_ptrIyEEEESE_yNS9_4plusIvEEyEEDaPvRmT3_T4_T5_mT6_P12ihipStream_tbENKUlT_T0_E_clISt17integral_constantIbLb0EESU_EEDaSP_SQ_EUlSP_E0_NS1_11comp_targetILNS1_3genE4ELNS1_11target_archE910ELNS1_3gpuE8ELNS1_3repE0EEENS1_30default_config_static_selectorELNS0_4arch9wavefront6targetE1EEEvT1_.kd
    .uniform_work_group_size: 1
    .uses_dynamic_stack: false
    .vgpr_count:     41
    .vgpr_spill_count: 0
    .wavefront_size: 64
  - .agpr_count:     0
    .args:
      - .offset:         0
        .size:           40
        .value_kind:     by_value
    .group_segment_fixed_size: 0
    .kernarg_segment_align: 8
    .kernarg_segment_size: 40
    .language:       OpenCL C
    .language_version:
      - 2
      - 0
    .max_flat_workgroup_size: 256
    .name:           _ZN7rocprim17ROCPRIM_400000_NS6detail17trampoline_kernelINS0_14default_configENS1_20scan_config_selectorIyEEZZNS1_9scan_implILNS1_25lookback_scan_determinismE0ELb0ELb0ES3_N6thrust23THRUST_200600_302600_NS6detail15normal_iteratorINS9_10device_ptrIyEEEESE_yNS9_4plusIvEEyEEDaPvRmT3_T4_T5_mT6_P12ihipStream_tbENKUlT_T0_E_clISt17integral_constantIbLb0EESU_EEDaSP_SQ_EUlSP_E0_NS1_11comp_targetILNS1_3genE3ELNS1_11target_archE908ELNS1_3gpuE7ELNS1_3repE0EEENS1_30default_config_static_selectorELNS0_4arch9wavefront6targetE1EEEvT1_
    .private_segment_fixed_size: 0
    .sgpr_count:     4
    .sgpr_spill_count: 0
    .symbol:         _ZN7rocprim17ROCPRIM_400000_NS6detail17trampoline_kernelINS0_14default_configENS1_20scan_config_selectorIyEEZZNS1_9scan_implILNS1_25lookback_scan_determinismE0ELb0ELb0ES3_N6thrust23THRUST_200600_302600_NS6detail15normal_iteratorINS9_10device_ptrIyEEEESE_yNS9_4plusIvEEyEEDaPvRmT3_T4_T5_mT6_P12ihipStream_tbENKUlT_T0_E_clISt17integral_constantIbLb0EESU_EEDaSP_SQ_EUlSP_E0_NS1_11comp_targetILNS1_3genE3ELNS1_11target_archE908ELNS1_3gpuE7ELNS1_3repE0EEENS1_30default_config_static_selectorELNS0_4arch9wavefront6targetE1EEEvT1_.kd
    .uniform_work_group_size: 1
    .uses_dynamic_stack: false
    .vgpr_count:     0
    .vgpr_spill_count: 0
    .wavefront_size: 64
  - .agpr_count:     0
    .args:
      - .offset:         0
        .size:           40
        .value_kind:     by_value
    .group_segment_fixed_size: 0
    .kernarg_segment_align: 8
    .kernarg_segment_size: 40
    .language:       OpenCL C
    .language_version:
      - 2
      - 0
    .max_flat_workgroup_size: 64
    .name:           _ZN7rocprim17ROCPRIM_400000_NS6detail17trampoline_kernelINS0_14default_configENS1_20scan_config_selectorIyEEZZNS1_9scan_implILNS1_25lookback_scan_determinismE0ELb0ELb0ES3_N6thrust23THRUST_200600_302600_NS6detail15normal_iteratorINS9_10device_ptrIyEEEESE_yNS9_4plusIvEEyEEDaPvRmT3_T4_T5_mT6_P12ihipStream_tbENKUlT_T0_E_clISt17integral_constantIbLb0EESU_EEDaSP_SQ_EUlSP_E0_NS1_11comp_targetILNS1_3genE2ELNS1_11target_archE906ELNS1_3gpuE6ELNS1_3repE0EEENS1_30default_config_static_selectorELNS0_4arch9wavefront6targetE1EEEvT1_
    .private_segment_fixed_size: 0
    .sgpr_count:     4
    .sgpr_spill_count: 0
    .symbol:         _ZN7rocprim17ROCPRIM_400000_NS6detail17trampoline_kernelINS0_14default_configENS1_20scan_config_selectorIyEEZZNS1_9scan_implILNS1_25lookback_scan_determinismE0ELb0ELb0ES3_N6thrust23THRUST_200600_302600_NS6detail15normal_iteratorINS9_10device_ptrIyEEEESE_yNS9_4plusIvEEyEEDaPvRmT3_T4_T5_mT6_P12ihipStream_tbENKUlT_T0_E_clISt17integral_constantIbLb0EESU_EEDaSP_SQ_EUlSP_E0_NS1_11comp_targetILNS1_3genE2ELNS1_11target_archE906ELNS1_3gpuE6ELNS1_3repE0EEENS1_30default_config_static_selectorELNS0_4arch9wavefront6targetE1EEEvT1_.kd
    .uniform_work_group_size: 1
    .uses_dynamic_stack: false
    .vgpr_count:     0
    .vgpr_spill_count: 0
    .wavefront_size: 64
  - .agpr_count:     0
    .args:
      - .offset:         0
        .size:           40
        .value_kind:     by_value
    .group_segment_fixed_size: 0
    .kernarg_segment_align: 8
    .kernarg_segment_size: 40
    .language:       OpenCL C
    .language_version:
      - 2
      - 0
    .max_flat_workgroup_size: 256
    .name:           _ZN7rocprim17ROCPRIM_400000_NS6detail17trampoline_kernelINS0_14default_configENS1_20scan_config_selectorIyEEZZNS1_9scan_implILNS1_25lookback_scan_determinismE0ELb0ELb0ES3_N6thrust23THRUST_200600_302600_NS6detail15normal_iteratorINS9_10device_ptrIyEEEESE_yNS9_4plusIvEEyEEDaPvRmT3_T4_T5_mT6_P12ihipStream_tbENKUlT_T0_E_clISt17integral_constantIbLb0EESU_EEDaSP_SQ_EUlSP_E0_NS1_11comp_targetILNS1_3genE10ELNS1_11target_archE1201ELNS1_3gpuE5ELNS1_3repE0EEENS1_30default_config_static_selectorELNS0_4arch9wavefront6targetE1EEEvT1_
    .private_segment_fixed_size: 0
    .sgpr_count:     4
    .sgpr_spill_count: 0
    .symbol:         _ZN7rocprim17ROCPRIM_400000_NS6detail17trampoline_kernelINS0_14default_configENS1_20scan_config_selectorIyEEZZNS1_9scan_implILNS1_25lookback_scan_determinismE0ELb0ELb0ES3_N6thrust23THRUST_200600_302600_NS6detail15normal_iteratorINS9_10device_ptrIyEEEESE_yNS9_4plusIvEEyEEDaPvRmT3_T4_T5_mT6_P12ihipStream_tbENKUlT_T0_E_clISt17integral_constantIbLb0EESU_EEDaSP_SQ_EUlSP_E0_NS1_11comp_targetILNS1_3genE10ELNS1_11target_archE1201ELNS1_3gpuE5ELNS1_3repE0EEENS1_30default_config_static_selectorELNS0_4arch9wavefront6targetE1EEEvT1_.kd
    .uniform_work_group_size: 1
    .uses_dynamic_stack: false
    .vgpr_count:     0
    .vgpr_spill_count: 0
    .wavefront_size: 64
  - .agpr_count:     0
    .args:
      - .offset:         0
        .size:           40
        .value_kind:     by_value
    .group_segment_fixed_size: 0
    .kernarg_segment_align: 8
    .kernarg_segment_size: 40
    .language:       OpenCL C
    .language_version:
      - 2
      - 0
    .max_flat_workgroup_size: 256
    .name:           _ZN7rocprim17ROCPRIM_400000_NS6detail17trampoline_kernelINS0_14default_configENS1_20scan_config_selectorIyEEZZNS1_9scan_implILNS1_25lookback_scan_determinismE0ELb0ELb0ES3_N6thrust23THRUST_200600_302600_NS6detail15normal_iteratorINS9_10device_ptrIyEEEESE_yNS9_4plusIvEEyEEDaPvRmT3_T4_T5_mT6_P12ihipStream_tbENKUlT_T0_E_clISt17integral_constantIbLb0EESU_EEDaSP_SQ_EUlSP_E0_NS1_11comp_targetILNS1_3genE10ELNS1_11target_archE1200ELNS1_3gpuE4ELNS1_3repE0EEENS1_30default_config_static_selectorELNS0_4arch9wavefront6targetE1EEEvT1_
    .private_segment_fixed_size: 0
    .sgpr_count:     4
    .sgpr_spill_count: 0
    .symbol:         _ZN7rocprim17ROCPRIM_400000_NS6detail17trampoline_kernelINS0_14default_configENS1_20scan_config_selectorIyEEZZNS1_9scan_implILNS1_25lookback_scan_determinismE0ELb0ELb0ES3_N6thrust23THRUST_200600_302600_NS6detail15normal_iteratorINS9_10device_ptrIyEEEESE_yNS9_4plusIvEEyEEDaPvRmT3_T4_T5_mT6_P12ihipStream_tbENKUlT_T0_E_clISt17integral_constantIbLb0EESU_EEDaSP_SQ_EUlSP_E0_NS1_11comp_targetILNS1_3genE10ELNS1_11target_archE1200ELNS1_3gpuE4ELNS1_3repE0EEENS1_30default_config_static_selectorELNS0_4arch9wavefront6targetE1EEEvT1_.kd
    .uniform_work_group_size: 1
    .uses_dynamic_stack: false
    .vgpr_count:     0
    .vgpr_spill_count: 0
    .wavefront_size: 64
  - .agpr_count:     0
    .args:
      - .offset:         0
        .size:           40
        .value_kind:     by_value
    .group_segment_fixed_size: 0
    .kernarg_segment_align: 8
    .kernarg_segment_size: 40
    .language:       OpenCL C
    .language_version:
      - 2
      - 0
    .max_flat_workgroup_size: 256
    .name:           _ZN7rocprim17ROCPRIM_400000_NS6detail17trampoline_kernelINS0_14default_configENS1_20scan_config_selectorIyEEZZNS1_9scan_implILNS1_25lookback_scan_determinismE0ELb0ELb0ES3_N6thrust23THRUST_200600_302600_NS6detail15normal_iteratorINS9_10device_ptrIyEEEESE_yNS9_4plusIvEEyEEDaPvRmT3_T4_T5_mT6_P12ihipStream_tbENKUlT_T0_E_clISt17integral_constantIbLb0EESU_EEDaSP_SQ_EUlSP_E0_NS1_11comp_targetILNS1_3genE9ELNS1_11target_archE1100ELNS1_3gpuE3ELNS1_3repE0EEENS1_30default_config_static_selectorELNS0_4arch9wavefront6targetE1EEEvT1_
    .private_segment_fixed_size: 0
    .sgpr_count:     4
    .sgpr_spill_count: 0
    .symbol:         _ZN7rocprim17ROCPRIM_400000_NS6detail17trampoline_kernelINS0_14default_configENS1_20scan_config_selectorIyEEZZNS1_9scan_implILNS1_25lookback_scan_determinismE0ELb0ELb0ES3_N6thrust23THRUST_200600_302600_NS6detail15normal_iteratorINS9_10device_ptrIyEEEESE_yNS9_4plusIvEEyEEDaPvRmT3_T4_T5_mT6_P12ihipStream_tbENKUlT_T0_E_clISt17integral_constantIbLb0EESU_EEDaSP_SQ_EUlSP_E0_NS1_11comp_targetILNS1_3genE9ELNS1_11target_archE1100ELNS1_3gpuE3ELNS1_3repE0EEENS1_30default_config_static_selectorELNS0_4arch9wavefront6targetE1EEEvT1_.kd
    .uniform_work_group_size: 1
    .uses_dynamic_stack: false
    .vgpr_count:     0
    .vgpr_spill_count: 0
    .wavefront_size: 64
  - .agpr_count:     0
    .args:
      - .offset:         0
        .size:           40
        .value_kind:     by_value
    .group_segment_fixed_size: 0
    .kernarg_segment_align: 8
    .kernarg_segment_size: 40
    .language:       OpenCL C
    .language_version:
      - 2
      - 0
    .max_flat_workgroup_size: 256
    .name:           _ZN7rocprim17ROCPRIM_400000_NS6detail17trampoline_kernelINS0_14default_configENS1_20scan_config_selectorIyEEZZNS1_9scan_implILNS1_25lookback_scan_determinismE0ELb0ELb0ES3_N6thrust23THRUST_200600_302600_NS6detail15normal_iteratorINS9_10device_ptrIyEEEESE_yNS9_4plusIvEEyEEDaPvRmT3_T4_T5_mT6_P12ihipStream_tbENKUlT_T0_E_clISt17integral_constantIbLb0EESU_EEDaSP_SQ_EUlSP_E0_NS1_11comp_targetILNS1_3genE8ELNS1_11target_archE1030ELNS1_3gpuE2ELNS1_3repE0EEENS1_30default_config_static_selectorELNS0_4arch9wavefront6targetE1EEEvT1_
    .private_segment_fixed_size: 0
    .sgpr_count:     4
    .sgpr_spill_count: 0
    .symbol:         _ZN7rocprim17ROCPRIM_400000_NS6detail17trampoline_kernelINS0_14default_configENS1_20scan_config_selectorIyEEZZNS1_9scan_implILNS1_25lookback_scan_determinismE0ELb0ELb0ES3_N6thrust23THRUST_200600_302600_NS6detail15normal_iteratorINS9_10device_ptrIyEEEESE_yNS9_4plusIvEEyEEDaPvRmT3_T4_T5_mT6_P12ihipStream_tbENKUlT_T0_E_clISt17integral_constantIbLb0EESU_EEDaSP_SQ_EUlSP_E0_NS1_11comp_targetILNS1_3genE8ELNS1_11target_archE1030ELNS1_3gpuE2ELNS1_3repE0EEENS1_30default_config_static_selectorELNS0_4arch9wavefront6targetE1EEEvT1_.kd
    .uniform_work_group_size: 1
    .uses_dynamic_stack: false
    .vgpr_count:     0
    .vgpr_spill_count: 0
    .wavefront_size: 64
  - .agpr_count:     0
    .args:
      - .offset:         0
        .size:           104
        .value_kind:     by_value
    .group_segment_fixed_size: 0
    .kernarg_segment_align: 8
    .kernarg_segment_size: 104
    .language:       OpenCL C
    .language_version:
      - 2
      - 0
    .max_flat_workgroup_size: 256
    .name:           _ZN7rocprim17ROCPRIM_400000_NS6detail17trampoline_kernelINS0_14default_configENS1_20scan_config_selectorIyEEZZNS1_9scan_implILNS1_25lookback_scan_determinismE0ELb0ELb0ES3_N6thrust23THRUST_200600_302600_NS6detail15normal_iteratorINS9_10device_ptrIyEEEESE_yNS9_4plusIvEEyEEDaPvRmT3_T4_T5_mT6_P12ihipStream_tbENKUlT_T0_E_clISt17integral_constantIbLb1EESU_EEDaSP_SQ_EUlSP_E_NS1_11comp_targetILNS1_3genE0ELNS1_11target_archE4294967295ELNS1_3gpuE0ELNS1_3repE0EEENS1_30default_config_static_selectorELNS0_4arch9wavefront6targetE1EEEvT1_
    .private_segment_fixed_size: 0
    .sgpr_count:     4
    .sgpr_spill_count: 0
    .symbol:         _ZN7rocprim17ROCPRIM_400000_NS6detail17trampoline_kernelINS0_14default_configENS1_20scan_config_selectorIyEEZZNS1_9scan_implILNS1_25lookback_scan_determinismE0ELb0ELb0ES3_N6thrust23THRUST_200600_302600_NS6detail15normal_iteratorINS9_10device_ptrIyEEEESE_yNS9_4plusIvEEyEEDaPvRmT3_T4_T5_mT6_P12ihipStream_tbENKUlT_T0_E_clISt17integral_constantIbLb1EESU_EEDaSP_SQ_EUlSP_E_NS1_11comp_targetILNS1_3genE0ELNS1_11target_archE4294967295ELNS1_3gpuE0ELNS1_3repE0EEENS1_30default_config_static_selectorELNS0_4arch9wavefront6targetE1EEEvT1_.kd
    .uniform_work_group_size: 1
    .uses_dynamic_stack: false
    .vgpr_count:     0
    .vgpr_spill_count: 0
    .wavefront_size: 64
  - .agpr_count:     0
    .args:
      - .offset:         0
        .size:           104
        .value_kind:     by_value
    .group_segment_fixed_size: 0
    .kernarg_segment_align: 8
    .kernarg_segment_size: 104
    .language:       OpenCL C
    .language_version:
      - 2
      - 0
    .max_flat_workgroup_size: 256
    .name:           _ZN7rocprim17ROCPRIM_400000_NS6detail17trampoline_kernelINS0_14default_configENS1_20scan_config_selectorIyEEZZNS1_9scan_implILNS1_25lookback_scan_determinismE0ELb0ELb0ES3_N6thrust23THRUST_200600_302600_NS6detail15normal_iteratorINS9_10device_ptrIyEEEESE_yNS9_4plusIvEEyEEDaPvRmT3_T4_T5_mT6_P12ihipStream_tbENKUlT_T0_E_clISt17integral_constantIbLb1EESU_EEDaSP_SQ_EUlSP_E_NS1_11comp_targetILNS1_3genE5ELNS1_11target_archE942ELNS1_3gpuE9ELNS1_3repE0EEENS1_30default_config_static_selectorELNS0_4arch9wavefront6targetE1EEEvT1_
    .private_segment_fixed_size: 0
    .sgpr_count:     4
    .sgpr_spill_count: 0
    .symbol:         _ZN7rocprim17ROCPRIM_400000_NS6detail17trampoline_kernelINS0_14default_configENS1_20scan_config_selectorIyEEZZNS1_9scan_implILNS1_25lookback_scan_determinismE0ELb0ELb0ES3_N6thrust23THRUST_200600_302600_NS6detail15normal_iteratorINS9_10device_ptrIyEEEESE_yNS9_4plusIvEEyEEDaPvRmT3_T4_T5_mT6_P12ihipStream_tbENKUlT_T0_E_clISt17integral_constantIbLb1EESU_EEDaSP_SQ_EUlSP_E_NS1_11comp_targetILNS1_3genE5ELNS1_11target_archE942ELNS1_3gpuE9ELNS1_3repE0EEENS1_30default_config_static_selectorELNS0_4arch9wavefront6targetE1EEEvT1_.kd
    .uniform_work_group_size: 1
    .uses_dynamic_stack: false
    .vgpr_count:     0
    .vgpr_spill_count: 0
    .wavefront_size: 64
  - .agpr_count:     0
    .args:
      - .offset:         0
        .size:           104
        .value_kind:     by_value
    .group_segment_fixed_size: 7168
    .kernarg_segment_align: 8
    .kernarg_segment_size: 104
    .language:       OpenCL C
    .language_version:
      - 2
      - 0
    .max_flat_workgroup_size: 128
    .name:           _ZN7rocprim17ROCPRIM_400000_NS6detail17trampoline_kernelINS0_14default_configENS1_20scan_config_selectorIyEEZZNS1_9scan_implILNS1_25lookback_scan_determinismE0ELb0ELb0ES3_N6thrust23THRUST_200600_302600_NS6detail15normal_iteratorINS9_10device_ptrIyEEEESE_yNS9_4plusIvEEyEEDaPvRmT3_T4_T5_mT6_P12ihipStream_tbENKUlT_T0_E_clISt17integral_constantIbLb1EESU_EEDaSP_SQ_EUlSP_E_NS1_11comp_targetILNS1_3genE4ELNS1_11target_archE910ELNS1_3gpuE8ELNS1_3repE0EEENS1_30default_config_static_selectorELNS0_4arch9wavefront6targetE1EEEvT1_
    .private_segment_fixed_size: 0
    .sgpr_count:     42
    .sgpr_spill_count: 0
    .symbol:         _ZN7rocprim17ROCPRIM_400000_NS6detail17trampoline_kernelINS0_14default_configENS1_20scan_config_selectorIyEEZZNS1_9scan_implILNS1_25lookback_scan_determinismE0ELb0ELb0ES3_N6thrust23THRUST_200600_302600_NS6detail15normal_iteratorINS9_10device_ptrIyEEEESE_yNS9_4plusIvEEyEEDaPvRmT3_T4_T5_mT6_P12ihipStream_tbENKUlT_T0_E_clISt17integral_constantIbLb1EESU_EEDaSP_SQ_EUlSP_E_NS1_11comp_targetILNS1_3genE4ELNS1_11target_archE910ELNS1_3gpuE8ELNS1_3repE0EEENS1_30default_config_static_selectorELNS0_4arch9wavefront6targetE1EEEvT1_.kd
    .uniform_work_group_size: 1
    .uses_dynamic_stack: false
    .vgpr_count:     51
    .vgpr_spill_count: 0
    .wavefront_size: 64
  - .agpr_count:     0
    .args:
      - .offset:         0
        .size:           104
        .value_kind:     by_value
    .group_segment_fixed_size: 0
    .kernarg_segment_align: 8
    .kernarg_segment_size: 104
    .language:       OpenCL C
    .language_version:
      - 2
      - 0
    .max_flat_workgroup_size: 256
    .name:           _ZN7rocprim17ROCPRIM_400000_NS6detail17trampoline_kernelINS0_14default_configENS1_20scan_config_selectorIyEEZZNS1_9scan_implILNS1_25lookback_scan_determinismE0ELb0ELb0ES3_N6thrust23THRUST_200600_302600_NS6detail15normal_iteratorINS9_10device_ptrIyEEEESE_yNS9_4plusIvEEyEEDaPvRmT3_T4_T5_mT6_P12ihipStream_tbENKUlT_T0_E_clISt17integral_constantIbLb1EESU_EEDaSP_SQ_EUlSP_E_NS1_11comp_targetILNS1_3genE3ELNS1_11target_archE908ELNS1_3gpuE7ELNS1_3repE0EEENS1_30default_config_static_selectorELNS0_4arch9wavefront6targetE1EEEvT1_
    .private_segment_fixed_size: 0
    .sgpr_count:     4
    .sgpr_spill_count: 0
    .symbol:         _ZN7rocprim17ROCPRIM_400000_NS6detail17trampoline_kernelINS0_14default_configENS1_20scan_config_selectorIyEEZZNS1_9scan_implILNS1_25lookback_scan_determinismE0ELb0ELb0ES3_N6thrust23THRUST_200600_302600_NS6detail15normal_iteratorINS9_10device_ptrIyEEEESE_yNS9_4plusIvEEyEEDaPvRmT3_T4_T5_mT6_P12ihipStream_tbENKUlT_T0_E_clISt17integral_constantIbLb1EESU_EEDaSP_SQ_EUlSP_E_NS1_11comp_targetILNS1_3genE3ELNS1_11target_archE908ELNS1_3gpuE7ELNS1_3repE0EEENS1_30default_config_static_selectorELNS0_4arch9wavefront6targetE1EEEvT1_.kd
    .uniform_work_group_size: 1
    .uses_dynamic_stack: false
    .vgpr_count:     0
    .vgpr_spill_count: 0
    .wavefront_size: 64
  - .agpr_count:     0
    .args:
      - .offset:         0
        .size:           104
        .value_kind:     by_value
    .group_segment_fixed_size: 0
    .kernarg_segment_align: 8
    .kernarg_segment_size: 104
    .language:       OpenCL C
    .language_version:
      - 2
      - 0
    .max_flat_workgroup_size: 64
    .name:           _ZN7rocprim17ROCPRIM_400000_NS6detail17trampoline_kernelINS0_14default_configENS1_20scan_config_selectorIyEEZZNS1_9scan_implILNS1_25lookback_scan_determinismE0ELb0ELb0ES3_N6thrust23THRUST_200600_302600_NS6detail15normal_iteratorINS9_10device_ptrIyEEEESE_yNS9_4plusIvEEyEEDaPvRmT3_T4_T5_mT6_P12ihipStream_tbENKUlT_T0_E_clISt17integral_constantIbLb1EESU_EEDaSP_SQ_EUlSP_E_NS1_11comp_targetILNS1_3genE2ELNS1_11target_archE906ELNS1_3gpuE6ELNS1_3repE0EEENS1_30default_config_static_selectorELNS0_4arch9wavefront6targetE1EEEvT1_
    .private_segment_fixed_size: 0
    .sgpr_count:     4
    .sgpr_spill_count: 0
    .symbol:         _ZN7rocprim17ROCPRIM_400000_NS6detail17trampoline_kernelINS0_14default_configENS1_20scan_config_selectorIyEEZZNS1_9scan_implILNS1_25lookback_scan_determinismE0ELb0ELb0ES3_N6thrust23THRUST_200600_302600_NS6detail15normal_iteratorINS9_10device_ptrIyEEEESE_yNS9_4plusIvEEyEEDaPvRmT3_T4_T5_mT6_P12ihipStream_tbENKUlT_T0_E_clISt17integral_constantIbLb1EESU_EEDaSP_SQ_EUlSP_E_NS1_11comp_targetILNS1_3genE2ELNS1_11target_archE906ELNS1_3gpuE6ELNS1_3repE0EEENS1_30default_config_static_selectorELNS0_4arch9wavefront6targetE1EEEvT1_.kd
    .uniform_work_group_size: 1
    .uses_dynamic_stack: false
    .vgpr_count:     0
    .vgpr_spill_count: 0
    .wavefront_size: 64
  - .agpr_count:     0
    .args:
      - .offset:         0
        .size:           104
        .value_kind:     by_value
    .group_segment_fixed_size: 0
    .kernarg_segment_align: 8
    .kernarg_segment_size: 104
    .language:       OpenCL C
    .language_version:
      - 2
      - 0
    .max_flat_workgroup_size: 256
    .name:           _ZN7rocprim17ROCPRIM_400000_NS6detail17trampoline_kernelINS0_14default_configENS1_20scan_config_selectorIyEEZZNS1_9scan_implILNS1_25lookback_scan_determinismE0ELb0ELb0ES3_N6thrust23THRUST_200600_302600_NS6detail15normal_iteratorINS9_10device_ptrIyEEEESE_yNS9_4plusIvEEyEEDaPvRmT3_T4_T5_mT6_P12ihipStream_tbENKUlT_T0_E_clISt17integral_constantIbLb1EESU_EEDaSP_SQ_EUlSP_E_NS1_11comp_targetILNS1_3genE10ELNS1_11target_archE1201ELNS1_3gpuE5ELNS1_3repE0EEENS1_30default_config_static_selectorELNS0_4arch9wavefront6targetE1EEEvT1_
    .private_segment_fixed_size: 0
    .sgpr_count:     4
    .sgpr_spill_count: 0
    .symbol:         _ZN7rocprim17ROCPRIM_400000_NS6detail17trampoline_kernelINS0_14default_configENS1_20scan_config_selectorIyEEZZNS1_9scan_implILNS1_25lookback_scan_determinismE0ELb0ELb0ES3_N6thrust23THRUST_200600_302600_NS6detail15normal_iteratorINS9_10device_ptrIyEEEESE_yNS9_4plusIvEEyEEDaPvRmT3_T4_T5_mT6_P12ihipStream_tbENKUlT_T0_E_clISt17integral_constantIbLb1EESU_EEDaSP_SQ_EUlSP_E_NS1_11comp_targetILNS1_3genE10ELNS1_11target_archE1201ELNS1_3gpuE5ELNS1_3repE0EEENS1_30default_config_static_selectorELNS0_4arch9wavefront6targetE1EEEvT1_.kd
    .uniform_work_group_size: 1
    .uses_dynamic_stack: false
    .vgpr_count:     0
    .vgpr_spill_count: 0
    .wavefront_size: 64
  - .agpr_count:     0
    .args:
      - .offset:         0
        .size:           104
        .value_kind:     by_value
    .group_segment_fixed_size: 0
    .kernarg_segment_align: 8
    .kernarg_segment_size: 104
    .language:       OpenCL C
    .language_version:
      - 2
      - 0
    .max_flat_workgroup_size: 256
    .name:           _ZN7rocprim17ROCPRIM_400000_NS6detail17trampoline_kernelINS0_14default_configENS1_20scan_config_selectorIyEEZZNS1_9scan_implILNS1_25lookback_scan_determinismE0ELb0ELb0ES3_N6thrust23THRUST_200600_302600_NS6detail15normal_iteratorINS9_10device_ptrIyEEEESE_yNS9_4plusIvEEyEEDaPvRmT3_T4_T5_mT6_P12ihipStream_tbENKUlT_T0_E_clISt17integral_constantIbLb1EESU_EEDaSP_SQ_EUlSP_E_NS1_11comp_targetILNS1_3genE10ELNS1_11target_archE1200ELNS1_3gpuE4ELNS1_3repE0EEENS1_30default_config_static_selectorELNS0_4arch9wavefront6targetE1EEEvT1_
    .private_segment_fixed_size: 0
    .sgpr_count:     4
    .sgpr_spill_count: 0
    .symbol:         _ZN7rocprim17ROCPRIM_400000_NS6detail17trampoline_kernelINS0_14default_configENS1_20scan_config_selectorIyEEZZNS1_9scan_implILNS1_25lookback_scan_determinismE0ELb0ELb0ES3_N6thrust23THRUST_200600_302600_NS6detail15normal_iteratorINS9_10device_ptrIyEEEESE_yNS9_4plusIvEEyEEDaPvRmT3_T4_T5_mT6_P12ihipStream_tbENKUlT_T0_E_clISt17integral_constantIbLb1EESU_EEDaSP_SQ_EUlSP_E_NS1_11comp_targetILNS1_3genE10ELNS1_11target_archE1200ELNS1_3gpuE4ELNS1_3repE0EEENS1_30default_config_static_selectorELNS0_4arch9wavefront6targetE1EEEvT1_.kd
    .uniform_work_group_size: 1
    .uses_dynamic_stack: false
    .vgpr_count:     0
    .vgpr_spill_count: 0
    .wavefront_size: 64
  - .agpr_count:     0
    .args:
      - .offset:         0
        .size:           104
        .value_kind:     by_value
    .group_segment_fixed_size: 0
    .kernarg_segment_align: 8
    .kernarg_segment_size: 104
    .language:       OpenCL C
    .language_version:
      - 2
      - 0
    .max_flat_workgroup_size: 256
    .name:           _ZN7rocprim17ROCPRIM_400000_NS6detail17trampoline_kernelINS0_14default_configENS1_20scan_config_selectorIyEEZZNS1_9scan_implILNS1_25lookback_scan_determinismE0ELb0ELb0ES3_N6thrust23THRUST_200600_302600_NS6detail15normal_iteratorINS9_10device_ptrIyEEEESE_yNS9_4plusIvEEyEEDaPvRmT3_T4_T5_mT6_P12ihipStream_tbENKUlT_T0_E_clISt17integral_constantIbLb1EESU_EEDaSP_SQ_EUlSP_E_NS1_11comp_targetILNS1_3genE9ELNS1_11target_archE1100ELNS1_3gpuE3ELNS1_3repE0EEENS1_30default_config_static_selectorELNS0_4arch9wavefront6targetE1EEEvT1_
    .private_segment_fixed_size: 0
    .sgpr_count:     4
    .sgpr_spill_count: 0
    .symbol:         _ZN7rocprim17ROCPRIM_400000_NS6detail17trampoline_kernelINS0_14default_configENS1_20scan_config_selectorIyEEZZNS1_9scan_implILNS1_25lookback_scan_determinismE0ELb0ELb0ES3_N6thrust23THRUST_200600_302600_NS6detail15normal_iteratorINS9_10device_ptrIyEEEESE_yNS9_4plusIvEEyEEDaPvRmT3_T4_T5_mT6_P12ihipStream_tbENKUlT_T0_E_clISt17integral_constantIbLb1EESU_EEDaSP_SQ_EUlSP_E_NS1_11comp_targetILNS1_3genE9ELNS1_11target_archE1100ELNS1_3gpuE3ELNS1_3repE0EEENS1_30default_config_static_selectorELNS0_4arch9wavefront6targetE1EEEvT1_.kd
    .uniform_work_group_size: 1
    .uses_dynamic_stack: false
    .vgpr_count:     0
    .vgpr_spill_count: 0
    .wavefront_size: 64
  - .agpr_count:     0
    .args:
      - .offset:         0
        .size:           104
        .value_kind:     by_value
    .group_segment_fixed_size: 0
    .kernarg_segment_align: 8
    .kernarg_segment_size: 104
    .language:       OpenCL C
    .language_version:
      - 2
      - 0
    .max_flat_workgroup_size: 256
    .name:           _ZN7rocprim17ROCPRIM_400000_NS6detail17trampoline_kernelINS0_14default_configENS1_20scan_config_selectorIyEEZZNS1_9scan_implILNS1_25lookback_scan_determinismE0ELb0ELb0ES3_N6thrust23THRUST_200600_302600_NS6detail15normal_iteratorINS9_10device_ptrIyEEEESE_yNS9_4plusIvEEyEEDaPvRmT3_T4_T5_mT6_P12ihipStream_tbENKUlT_T0_E_clISt17integral_constantIbLb1EESU_EEDaSP_SQ_EUlSP_E_NS1_11comp_targetILNS1_3genE8ELNS1_11target_archE1030ELNS1_3gpuE2ELNS1_3repE0EEENS1_30default_config_static_selectorELNS0_4arch9wavefront6targetE1EEEvT1_
    .private_segment_fixed_size: 0
    .sgpr_count:     4
    .sgpr_spill_count: 0
    .symbol:         _ZN7rocprim17ROCPRIM_400000_NS6detail17trampoline_kernelINS0_14default_configENS1_20scan_config_selectorIyEEZZNS1_9scan_implILNS1_25lookback_scan_determinismE0ELb0ELb0ES3_N6thrust23THRUST_200600_302600_NS6detail15normal_iteratorINS9_10device_ptrIyEEEESE_yNS9_4plusIvEEyEEDaPvRmT3_T4_T5_mT6_P12ihipStream_tbENKUlT_T0_E_clISt17integral_constantIbLb1EESU_EEDaSP_SQ_EUlSP_E_NS1_11comp_targetILNS1_3genE8ELNS1_11target_archE1030ELNS1_3gpuE2ELNS1_3repE0EEENS1_30default_config_static_selectorELNS0_4arch9wavefront6targetE1EEEvT1_.kd
    .uniform_work_group_size: 1
    .uses_dynamic_stack: false
    .vgpr_count:     0
    .vgpr_spill_count: 0
    .wavefront_size: 64
  - .agpr_count:     0
    .args:
      - .offset:         0
        .size:           40
        .value_kind:     by_value
    .group_segment_fixed_size: 0
    .kernarg_segment_align: 8
    .kernarg_segment_size: 40
    .language:       OpenCL C
    .language_version:
      - 2
      - 0
    .max_flat_workgroup_size: 256
    .name:           _ZN7rocprim17ROCPRIM_400000_NS6detail17trampoline_kernelINS0_14default_configENS1_20scan_config_selectorIyEEZZNS1_9scan_implILNS1_25lookback_scan_determinismE0ELb0ELb0ES3_N6thrust23THRUST_200600_302600_NS6detail15normal_iteratorINS9_10device_ptrIyEEEESE_yNS9_4plusIvEEyEEDaPvRmT3_T4_T5_mT6_P12ihipStream_tbENKUlT_T0_E_clISt17integral_constantIbLb1EESU_EEDaSP_SQ_EUlSP_E0_NS1_11comp_targetILNS1_3genE0ELNS1_11target_archE4294967295ELNS1_3gpuE0ELNS1_3repE0EEENS1_30default_config_static_selectorELNS0_4arch9wavefront6targetE1EEEvT1_
    .private_segment_fixed_size: 0
    .sgpr_count:     4
    .sgpr_spill_count: 0
    .symbol:         _ZN7rocprim17ROCPRIM_400000_NS6detail17trampoline_kernelINS0_14default_configENS1_20scan_config_selectorIyEEZZNS1_9scan_implILNS1_25lookback_scan_determinismE0ELb0ELb0ES3_N6thrust23THRUST_200600_302600_NS6detail15normal_iteratorINS9_10device_ptrIyEEEESE_yNS9_4plusIvEEyEEDaPvRmT3_T4_T5_mT6_P12ihipStream_tbENKUlT_T0_E_clISt17integral_constantIbLb1EESU_EEDaSP_SQ_EUlSP_E0_NS1_11comp_targetILNS1_3genE0ELNS1_11target_archE4294967295ELNS1_3gpuE0ELNS1_3repE0EEENS1_30default_config_static_selectorELNS0_4arch9wavefront6targetE1EEEvT1_.kd
    .uniform_work_group_size: 1
    .uses_dynamic_stack: false
    .vgpr_count:     0
    .vgpr_spill_count: 0
    .wavefront_size: 64
  - .agpr_count:     0
    .args:
      - .offset:         0
        .size:           40
        .value_kind:     by_value
    .group_segment_fixed_size: 0
    .kernarg_segment_align: 8
    .kernarg_segment_size: 40
    .language:       OpenCL C
    .language_version:
      - 2
      - 0
    .max_flat_workgroup_size: 256
    .name:           _ZN7rocprim17ROCPRIM_400000_NS6detail17trampoline_kernelINS0_14default_configENS1_20scan_config_selectorIyEEZZNS1_9scan_implILNS1_25lookback_scan_determinismE0ELb0ELb0ES3_N6thrust23THRUST_200600_302600_NS6detail15normal_iteratorINS9_10device_ptrIyEEEESE_yNS9_4plusIvEEyEEDaPvRmT3_T4_T5_mT6_P12ihipStream_tbENKUlT_T0_E_clISt17integral_constantIbLb1EESU_EEDaSP_SQ_EUlSP_E0_NS1_11comp_targetILNS1_3genE5ELNS1_11target_archE942ELNS1_3gpuE9ELNS1_3repE0EEENS1_30default_config_static_selectorELNS0_4arch9wavefront6targetE1EEEvT1_
    .private_segment_fixed_size: 0
    .sgpr_count:     4
    .sgpr_spill_count: 0
    .symbol:         _ZN7rocprim17ROCPRIM_400000_NS6detail17trampoline_kernelINS0_14default_configENS1_20scan_config_selectorIyEEZZNS1_9scan_implILNS1_25lookback_scan_determinismE0ELb0ELb0ES3_N6thrust23THRUST_200600_302600_NS6detail15normal_iteratorINS9_10device_ptrIyEEEESE_yNS9_4plusIvEEyEEDaPvRmT3_T4_T5_mT6_P12ihipStream_tbENKUlT_T0_E_clISt17integral_constantIbLb1EESU_EEDaSP_SQ_EUlSP_E0_NS1_11comp_targetILNS1_3genE5ELNS1_11target_archE942ELNS1_3gpuE9ELNS1_3repE0EEENS1_30default_config_static_selectorELNS0_4arch9wavefront6targetE1EEEvT1_.kd
    .uniform_work_group_size: 1
    .uses_dynamic_stack: false
    .vgpr_count:     0
    .vgpr_spill_count: 0
    .wavefront_size: 64
  - .agpr_count:     0
    .args:
      - .offset:         0
        .size:           40
        .value_kind:     by_value
    .group_segment_fixed_size: 7168
    .kernarg_segment_align: 8
    .kernarg_segment_size: 40
    .language:       OpenCL C
    .language_version:
      - 2
      - 0
    .max_flat_workgroup_size: 128
    .name:           _ZN7rocprim17ROCPRIM_400000_NS6detail17trampoline_kernelINS0_14default_configENS1_20scan_config_selectorIyEEZZNS1_9scan_implILNS1_25lookback_scan_determinismE0ELb0ELb0ES3_N6thrust23THRUST_200600_302600_NS6detail15normal_iteratorINS9_10device_ptrIyEEEESE_yNS9_4plusIvEEyEEDaPvRmT3_T4_T5_mT6_P12ihipStream_tbENKUlT_T0_E_clISt17integral_constantIbLb1EESU_EEDaSP_SQ_EUlSP_E0_NS1_11comp_targetILNS1_3genE4ELNS1_11target_archE910ELNS1_3gpuE8ELNS1_3repE0EEENS1_30default_config_static_selectorELNS0_4arch9wavefront6targetE1EEEvT1_
    .private_segment_fixed_size: 0
    .sgpr_count:     26
    .sgpr_spill_count: 0
    .symbol:         _ZN7rocprim17ROCPRIM_400000_NS6detail17trampoline_kernelINS0_14default_configENS1_20scan_config_selectorIyEEZZNS1_9scan_implILNS1_25lookback_scan_determinismE0ELb0ELb0ES3_N6thrust23THRUST_200600_302600_NS6detail15normal_iteratorINS9_10device_ptrIyEEEESE_yNS9_4plusIvEEyEEDaPvRmT3_T4_T5_mT6_P12ihipStream_tbENKUlT_T0_E_clISt17integral_constantIbLb1EESU_EEDaSP_SQ_EUlSP_E0_NS1_11comp_targetILNS1_3genE4ELNS1_11target_archE910ELNS1_3gpuE8ELNS1_3repE0EEENS1_30default_config_static_selectorELNS0_4arch9wavefront6targetE1EEEvT1_.kd
    .uniform_work_group_size: 1
    .uses_dynamic_stack: false
    .vgpr_count:     41
    .vgpr_spill_count: 0
    .wavefront_size: 64
  - .agpr_count:     0
    .args:
      - .offset:         0
        .size:           40
        .value_kind:     by_value
    .group_segment_fixed_size: 0
    .kernarg_segment_align: 8
    .kernarg_segment_size: 40
    .language:       OpenCL C
    .language_version:
      - 2
      - 0
    .max_flat_workgroup_size: 256
    .name:           _ZN7rocprim17ROCPRIM_400000_NS6detail17trampoline_kernelINS0_14default_configENS1_20scan_config_selectorIyEEZZNS1_9scan_implILNS1_25lookback_scan_determinismE0ELb0ELb0ES3_N6thrust23THRUST_200600_302600_NS6detail15normal_iteratorINS9_10device_ptrIyEEEESE_yNS9_4plusIvEEyEEDaPvRmT3_T4_T5_mT6_P12ihipStream_tbENKUlT_T0_E_clISt17integral_constantIbLb1EESU_EEDaSP_SQ_EUlSP_E0_NS1_11comp_targetILNS1_3genE3ELNS1_11target_archE908ELNS1_3gpuE7ELNS1_3repE0EEENS1_30default_config_static_selectorELNS0_4arch9wavefront6targetE1EEEvT1_
    .private_segment_fixed_size: 0
    .sgpr_count:     4
    .sgpr_spill_count: 0
    .symbol:         _ZN7rocprim17ROCPRIM_400000_NS6detail17trampoline_kernelINS0_14default_configENS1_20scan_config_selectorIyEEZZNS1_9scan_implILNS1_25lookback_scan_determinismE0ELb0ELb0ES3_N6thrust23THRUST_200600_302600_NS6detail15normal_iteratorINS9_10device_ptrIyEEEESE_yNS9_4plusIvEEyEEDaPvRmT3_T4_T5_mT6_P12ihipStream_tbENKUlT_T0_E_clISt17integral_constantIbLb1EESU_EEDaSP_SQ_EUlSP_E0_NS1_11comp_targetILNS1_3genE3ELNS1_11target_archE908ELNS1_3gpuE7ELNS1_3repE0EEENS1_30default_config_static_selectorELNS0_4arch9wavefront6targetE1EEEvT1_.kd
    .uniform_work_group_size: 1
    .uses_dynamic_stack: false
    .vgpr_count:     0
    .vgpr_spill_count: 0
    .wavefront_size: 64
  - .agpr_count:     0
    .args:
      - .offset:         0
        .size:           40
        .value_kind:     by_value
    .group_segment_fixed_size: 0
    .kernarg_segment_align: 8
    .kernarg_segment_size: 40
    .language:       OpenCL C
    .language_version:
      - 2
      - 0
    .max_flat_workgroup_size: 64
    .name:           _ZN7rocprim17ROCPRIM_400000_NS6detail17trampoline_kernelINS0_14default_configENS1_20scan_config_selectorIyEEZZNS1_9scan_implILNS1_25lookback_scan_determinismE0ELb0ELb0ES3_N6thrust23THRUST_200600_302600_NS6detail15normal_iteratorINS9_10device_ptrIyEEEESE_yNS9_4plusIvEEyEEDaPvRmT3_T4_T5_mT6_P12ihipStream_tbENKUlT_T0_E_clISt17integral_constantIbLb1EESU_EEDaSP_SQ_EUlSP_E0_NS1_11comp_targetILNS1_3genE2ELNS1_11target_archE906ELNS1_3gpuE6ELNS1_3repE0EEENS1_30default_config_static_selectorELNS0_4arch9wavefront6targetE1EEEvT1_
    .private_segment_fixed_size: 0
    .sgpr_count:     4
    .sgpr_spill_count: 0
    .symbol:         _ZN7rocprim17ROCPRIM_400000_NS6detail17trampoline_kernelINS0_14default_configENS1_20scan_config_selectorIyEEZZNS1_9scan_implILNS1_25lookback_scan_determinismE0ELb0ELb0ES3_N6thrust23THRUST_200600_302600_NS6detail15normal_iteratorINS9_10device_ptrIyEEEESE_yNS9_4plusIvEEyEEDaPvRmT3_T4_T5_mT6_P12ihipStream_tbENKUlT_T0_E_clISt17integral_constantIbLb1EESU_EEDaSP_SQ_EUlSP_E0_NS1_11comp_targetILNS1_3genE2ELNS1_11target_archE906ELNS1_3gpuE6ELNS1_3repE0EEENS1_30default_config_static_selectorELNS0_4arch9wavefront6targetE1EEEvT1_.kd
    .uniform_work_group_size: 1
    .uses_dynamic_stack: false
    .vgpr_count:     0
    .vgpr_spill_count: 0
    .wavefront_size: 64
  - .agpr_count:     0
    .args:
      - .offset:         0
        .size:           40
        .value_kind:     by_value
    .group_segment_fixed_size: 0
    .kernarg_segment_align: 8
    .kernarg_segment_size: 40
    .language:       OpenCL C
    .language_version:
      - 2
      - 0
    .max_flat_workgroup_size: 256
    .name:           _ZN7rocprim17ROCPRIM_400000_NS6detail17trampoline_kernelINS0_14default_configENS1_20scan_config_selectorIyEEZZNS1_9scan_implILNS1_25lookback_scan_determinismE0ELb0ELb0ES3_N6thrust23THRUST_200600_302600_NS6detail15normal_iteratorINS9_10device_ptrIyEEEESE_yNS9_4plusIvEEyEEDaPvRmT3_T4_T5_mT6_P12ihipStream_tbENKUlT_T0_E_clISt17integral_constantIbLb1EESU_EEDaSP_SQ_EUlSP_E0_NS1_11comp_targetILNS1_3genE10ELNS1_11target_archE1201ELNS1_3gpuE5ELNS1_3repE0EEENS1_30default_config_static_selectorELNS0_4arch9wavefront6targetE1EEEvT1_
    .private_segment_fixed_size: 0
    .sgpr_count:     4
    .sgpr_spill_count: 0
    .symbol:         _ZN7rocprim17ROCPRIM_400000_NS6detail17trampoline_kernelINS0_14default_configENS1_20scan_config_selectorIyEEZZNS1_9scan_implILNS1_25lookback_scan_determinismE0ELb0ELb0ES3_N6thrust23THRUST_200600_302600_NS6detail15normal_iteratorINS9_10device_ptrIyEEEESE_yNS9_4plusIvEEyEEDaPvRmT3_T4_T5_mT6_P12ihipStream_tbENKUlT_T0_E_clISt17integral_constantIbLb1EESU_EEDaSP_SQ_EUlSP_E0_NS1_11comp_targetILNS1_3genE10ELNS1_11target_archE1201ELNS1_3gpuE5ELNS1_3repE0EEENS1_30default_config_static_selectorELNS0_4arch9wavefront6targetE1EEEvT1_.kd
    .uniform_work_group_size: 1
    .uses_dynamic_stack: false
    .vgpr_count:     0
    .vgpr_spill_count: 0
    .wavefront_size: 64
  - .agpr_count:     0
    .args:
      - .offset:         0
        .size:           40
        .value_kind:     by_value
    .group_segment_fixed_size: 0
    .kernarg_segment_align: 8
    .kernarg_segment_size: 40
    .language:       OpenCL C
    .language_version:
      - 2
      - 0
    .max_flat_workgroup_size: 256
    .name:           _ZN7rocprim17ROCPRIM_400000_NS6detail17trampoline_kernelINS0_14default_configENS1_20scan_config_selectorIyEEZZNS1_9scan_implILNS1_25lookback_scan_determinismE0ELb0ELb0ES3_N6thrust23THRUST_200600_302600_NS6detail15normal_iteratorINS9_10device_ptrIyEEEESE_yNS9_4plusIvEEyEEDaPvRmT3_T4_T5_mT6_P12ihipStream_tbENKUlT_T0_E_clISt17integral_constantIbLb1EESU_EEDaSP_SQ_EUlSP_E0_NS1_11comp_targetILNS1_3genE10ELNS1_11target_archE1200ELNS1_3gpuE4ELNS1_3repE0EEENS1_30default_config_static_selectorELNS0_4arch9wavefront6targetE1EEEvT1_
    .private_segment_fixed_size: 0
    .sgpr_count:     4
    .sgpr_spill_count: 0
    .symbol:         _ZN7rocprim17ROCPRIM_400000_NS6detail17trampoline_kernelINS0_14default_configENS1_20scan_config_selectorIyEEZZNS1_9scan_implILNS1_25lookback_scan_determinismE0ELb0ELb0ES3_N6thrust23THRUST_200600_302600_NS6detail15normal_iteratorINS9_10device_ptrIyEEEESE_yNS9_4plusIvEEyEEDaPvRmT3_T4_T5_mT6_P12ihipStream_tbENKUlT_T0_E_clISt17integral_constantIbLb1EESU_EEDaSP_SQ_EUlSP_E0_NS1_11comp_targetILNS1_3genE10ELNS1_11target_archE1200ELNS1_3gpuE4ELNS1_3repE0EEENS1_30default_config_static_selectorELNS0_4arch9wavefront6targetE1EEEvT1_.kd
    .uniform_work_group_size: 1
    .uses_dynamic_stack: false
    .vgpr_count:     0
    .vgpr_spill_count: 0
    .wavefront_size: 64
  - .agpr_count:     0
    .args:
      - .offset:         0
        .size:           40
        .value_kind:     by_value
    .group_segment_fixed_size: 0
    .kernarg_segment_align: 8
    .kernarg_segment_size: 40
    .language:       OpenCL C
    .language_version:
      - 2
      - 0
    .max_flat_workgroup_size: 256
    .name:           _ZN7rocprim17ROCPRIM_400000_NS6detail17trampoline_kernelINS0_14default_configENS1_20scan_config_selectorIyEEZZNS1_9scan_implILNS1_25lookback_scan_determinismE0ELb0ELb0ES3_N6thrust23THRUST_200600_302600_NS6detail15normal_iteratorINS9_10device_ptrIyEEEESE_yNS9_4plusIvEEyEEDaPvRmT3_T4_T5_mT6_P12ihipStream_tbENKUlT_T0_E_clISt17integral_constantIbLb1EESU_EEDaSP_SQ_EUlSP_E0_NS1_11comp_targetILNS1_3genE9ELNS1_11target_archE1100ELNS1_3gpuE3ELNS1_3repE0EEENS1_30default_config_static_selectorELNS0_4arch9wavefront6targetE1EEEvT1_
    .private_segment_fixed_size: 0
    .sgpr_count:     4
    .sgpr_spill_count: 0
    .symbol:         _ZN7rocprim17ROCPRIM_400000_NS6detail17trampoline_kernelINS0_14default_configENS1_20scan_config_selectorIyEEZZNS1_9scan_implILNS1_25lookback_scan_determinismE0ELb0ELb0ES3_N6thrust23THRUST_200600_302600_NS6detail15normal_iteratorINS9_10device_ptrIyEEEESE_yNS9_4plusIvEEyEEDaPvRmT3_T4_T5_mT6_P12ihipStream_tbENKUlT_T0_E_clISt17integral_constantIbLb1EESU_EEDaSP_SQ_EUlSP_E0_NS1_11comp_targetILNS1_3genE9ELNS1_11target_archE1100ELNS1_3gpuE3ELNS1_3repE0EEENS1_30default_config_static_selectorELNS0_4arch9wavefront6targetE1EEEvT1_.kd
    .uniform_work_group_size: 1
    .uses_dynamic_stack: false
    .vgpr_count:     0
    .vgpr_spill_count: 0
    .wavefront_size: 64
  - .agpr_count:     0
    .args:
      - .offset:         0
        .size:           40
        .value_kind:     by_value
    .group_segment_fixed_size: 0
    .kernarg_segment_align: 8
    .kernarg_segment_size: 40
    .language:       OpenCL C
    .language_version:
      - 2
      - 0
    .max_flat_workgroup_size: 256
    .name:           _ZN7rocprim17ROCPRIM_400000_NS6detail17trampoline_kernelINS0_14default_configENS1_20scan_config_selectorIyEEZZNS1_9scan_implILNS1_25lookback_scan_determinismE0ELb0ELb0ES3_N6thrust23THRUST_200600_302600_NS6detail15normal_iteratorINS9_10device_ptrIyEEEESE_yNS9_4plusIvEEyEEDaPvRmT3_T4_T5_mT6_P12ihipStream_tbENKUlT_T0_E_clISt17integral_constantIbLb1EESU_EEDaSP_SQ_EUlSP_E0_NS1_11comp_targetILNS1_3genE8ELNS1_11target_archE1030ELNS1_3gpuE2ELNS1_3repE0EEENS1_30default_config_static_selectorELNS0_4arch9wavefront6targetE1EEEvT1_
    .private_segment_fixed_size: 0
    .sgpr_count:     4
    .sgpr_spill_count: 0
    .symbol:         _ZN7rocprim17ROCPRIM_400000_NS6detail17trampoline_kernelINS0_14default_configENS1_20scan_config_selectorIyEEZZNS1_9scan_implILNS1_25lookback_scan_determinismE0ELb0ELb0ES3_N6thrust23THRUST_200600_302600_NS6detail15normal_iteratorINS9_10device_ptrIyEEEESE_yNS9_4plusIvEEyEEDaPvRmT3_T4_T5_mT6_P12ihipStream_tbENKUlT_T0_E_clISt17integral_constantIbLb1EESU_EEDaSP_SQ_EUlSP_E0_NS1_11comp_targetILNS1_3genE8ELNS1_11target_archE1030ELNS1_3gpuE2ELNS1_3repE0EEENS1_30default_config_static_selectorELNS0_4arch9wavefront6targetE1EEEvT1_.kd
    .uniform_work_group_size: 1
    .uses_dynamic_stack: false
    .vgpr_count:     0
    .vgpr_spill_count: 0
    .wavefront_size: 64
  - .agpr_count:     0
    .args:
      - .offset:         0
        .size:           104
        .value_kind:     by_value
    .group_segment_fixed_size: 0
    .kernarg_segment_align: 8
    .kernarg_segment_size: 104
    .language:       OpenCL C
    .language_version:
      - 2
      - 0
    .max_flat_workgroup_size: 256
    .name:           _ZN7rocprim17ROCPRIM_400000_NS6detail17trampoline_kernelINS0_14default_configENS1_20scan_config_selectorIyEEZZNS1_9scan_implILNS1_25lookback_scan_determinismE0ELb0ELb0ES3_N6thrust23THRUST_200600_302600_NS6detail15normal_iteratorINS9_10device_ptrIyEEEESE_yNS9_4plusIvEEyEEDaPvRmT3_T4_T5_mT6_P12ihipStream_tbENKUlT_T0_E_clISt17integral_constantIbLb1EEST_IbLb0EEEEDaSP_SQ_EUlSP_E_NS1_11comp_targetILNS1_3genE0ELNS1_11target_archE4294967295ELNS1_3gpuE0ELNS1_3repE0EEENS1_30default_config_static_selectorELNS0_4arch9wavefront6targetE1EEEvT1_
    .private_segment_fixed_size: 0
    .sgpr_count:     4
    .sgpr_spill_count: 0
    .symbol:         _ZN7rocprim17ROCPRIM_400000_NS6detail17trampoline_kernelINS0_14default_configENS1_20scan_config_selectorIyEEZZNS1_9scan_implILNS1_25lookback_scan_determinismE0ELb0ELb0ES3_N6thrust23THRUST_200600_302600_NS6detail15normal_iteratorINS9_10device_ptrIyEEEESE_yNS9_4plusIvEEyEEDaPvRmT3_T4_T5_mT6_P12ihipStream_tbENKUlT_T0_E_clISt17integral_constantIbLb1EEST_IbLb0EEEEDaSP_SQ_EUlSP_E_NS1_11comp_targetILNS1_3genE0ELNS1_11target_archE4294967295ELNS1_3gpuE0ELNS1_3repE0EEENS1_30default_config_static_selectorELNS0_4arch9wavefront6targetE1EEEvT1_.kd
    .uniform_work_group_size: 1
    .uses_dynamic_stack: false
    .vgpr_count:     0
    .vgpr_spill_count: 0
    .wavefront_size: 64
  - .agpr_count:     0
    .args:
      - .offset:         0
        .size:           104
        .value_kind:     by_value
    .group_segment_fixed_size: 0
    .kernarg_segment_align: 8
    .kernarg_segment_size: 104
    .language:       OpenCL C
    .language_version:
      - 2
      - 0
    .max_flat_workgroup_size: 256
    .name:           _ZN7rocprim17ROCPRIM_400000_NS6detail17trampoline_kernelINS0_14default_configENS1_20scan_config_selectorIyEEZZNS1_9scan_implILNS1_25lookback_scan_determinismE0ELb0ELb0ES3_N6thrust23THRUST_200600_302600_NS6detail15normal_iteratorINS9_10device_ptrIyEEEESE_yNS9_4plusIvEEyEEDaPvRmT3_T4_T5_mT6_P12ihipStream_tbENKUlT_T0_E_clISt17integral_constantIbLb1EEST_IbLb0EEEEDaSP_SQ_EUlSP_E_NS1_11comp_targetILNS1_3genE5ELNS1_11target_archE942ELNS1_3gpuE9ELNS1_3repE0EEENS1_30default_config_static_selectorELNS0_4arch9wavefront6targetE1EEEvT1_
    .private_segment_fixed_size: 0
    .sgpr_count:     4
    .sgpr_spill_count: 0
    .symbol:         _ZN7rocprim17ROCPRIM_400000_NS6detail17trampoline_kernelINS0_14default_configENS1_20scan_config_selectorIyEEZZNS1_9scan_implILNS1_25lookback_scan_determinismE0ELb0ELb0ES3_N6thrust23THRUST_200600_302600_NS6detail15normal_iteratorINS9_10device_ptrIyEEEESE_yNS9_4plusIvEEyEEDaPvRmT3_T4_T5_mT6_P12ihipStream_tbENKUlT_T0_E_clISt17integral_constantIbLb1EEST_IbLb0EEEEDaSP_SQ_EUlSP_E_NS1_11comp_targetILNS1_3genE5ELNS1_11target_archE942ELNS1_3gpuE9ELNS1_3repE0EEENS1_30default_config_static_selectorELNS0_4arch9wavefront6targetE1EEEvT1_.kd
    .uniform_work_group_size: 1
    .uses_dynamic_stack: false
    .vgpr_count:     0
    .vgpr_spill_count: 0
    .wavefront_size: 64
  - .agpr_count:     0
    .args:
      - .offset:         0
        .size:           104
        .value_kind:     by_value
    .group_segment_fixed_size: 7168
    .kernarg_segment_align: 8
    .kernarg_segment_size: 104
    .language:       OpenCL C
    .language_version:
      - 2
      - 0
    .max_flat_workgroup_size: 128
    .name:           _ZN7rocprim17ROCPRIM_400000_NS6detail17trampoline_kernelINS0_14default_configENS1_20scan_config_selectorIyEEZZNS1_9scan_implILNS1_25lookback_scan_determinismE0ELb0ELb0ES3_N6thrust23THRUST_200600_302600_NS6detail15normal_iteratorINS9_10device_ptrIyEEEESE_yNS9_4plusIvEEyEEDaPvRmT3_T4_T5_mT6_P12ihipStream_tbENKUlT_T0_E_clISt17integral_constantIbLb1EEST_IbLb0EEEEDaSP_SQ_EUlSP_E_NS1_11comp_targetILNS1_3genE4ELNS1_11target_archE910ELNS1_3gpuE8ELNS1_3repE0EEENS1_30default_config_static_selectorELNS0_4arch9wavefront6targetE1EEEvT1_
    .private_segment_fixed_size: 0
    .sgpr_count:     32
    .sgpr_spill_count: 0
    .symbol:         _ZN7rocprim17ROCPRIM_400000_NS6detail17trampoline_kernelINS0_14default_configENS1_20scan_config_selectorIyEEZZNS1_9scan_implILNS1_25lookback_scan_determinismE0ELb0ELb0ES3_N6thrust23THRUST_200600_302600_NS6detail15normal_iteratorINS9_10device_ptrIyEEEESE_yNS9_4plusIvEEyEEDaPvRmT3_T4_T5_mT6_P12ihipStream_tbENKUlT_T0_E_clISt17integral_constantIbLb1EEST_IbLb0EEEEDaSP_SQ_EUlSP_E_NS1_11comp_targetILNS1_3genE4ELNS1_11target_archE910ELNS1_3gpuE8ELNS1_3repE0EEENS1_30default_config_static_selectorELNS0_4arch9wavefront6targetE1EEEvT1_.kd
    .uniform_work_group_size: 1
    .uses_dynamic_stack: false
    .vgpr_count:     51
    .vgpr_spill_count: 0
    .wavefront_size: 64
  - .agpr_count:     0
    .args:
      - .offset:         0
        .size:           104
        .value_kind:     by_value
    .group_segment_fixed_size: 0
    .kernarg_segment_align: 8
    .kernarg_segment_size: 104
    .language:       OpenCL C
    .language_version:
      - 2
      - 0
    .max_flat_workgroup_size: 256
    .name:           _ZN7rocprim17ROCPRIM_400000_NS6detail17trampoline_kernelINS0_14default_configENS1_20scan_config_selectorIyEEZZNS1_9scan_implILNS1_25lookback_scan_determinismE0ELb0ELb0ES3_N6thrust23THRUST_200600_302600_NS6detail15normal_iteratorINS9_10device_ptrIyEEEESE_yNS9_4plusIvEEyEEDaPvRmT3_T4_T5_mT6_P12ihipStream_tbENKUlT_T0_E_clISt17integral_constantIbLb1EEST_IbLb0EEEEDaSP_SQ_EUlSP_E_NS1_11comp_targetILNS1_3genE3ELNS1_11target_archE908ELNS1_3gpuE7ELNS1_3repE0EEENS1_30default_config_static_selectorELNS0_4arch9wavefront6targetE1EEEvT1_
    .private_segment_fixed_size: 0
    .sgpr_count:     4
    .sgpr_spill_count: 0
    .symbol:         _ZN7rocprim17ROCPRIM_400000_NS6detail17trampoline_kernelINS0_14default_configENS1_20scan_config_selectorIyEEZZNS1_9scan_implILNS1_25lookback_scan_determinismE0ELb0ELb0ES3_N6thrust23THRUST_200600_302600_NS6detail15normal_iteratorINS9_10device_ptrIyEEEESE_yNS9_4plusIvEEyEEDaPvRmT3_T4_T5_mT6_P12ihipStream_tbENKUlT_T0_E_clISt17integral_constantIbLb1EEST_IbLb0EEEEDaSP_SQ_EUlSP_E_NS1_11comp_targetILNS1_3genE3ELNS1_11target_archE908ELNS1_3gpuE7ELNS1_3repE0EEENS1_30default_config_static_selectorELNS0_4arch9wavefront6targetE1EEEvT1_.kd
    .uniform_work_group_size: 1
    .uses_dynamic_stack: false
    .vgpr_count:     0
    .vgpr_spill_count: 0
    .wavefront_size: 64
  - .agpr_count:     0
    .args:
      - .offset:         0
        .size:           104
        .value_kind:     by_value
    .group_segment_fixed_size: 0
    .kernarg_segment_align: 8
    .kernarg_segment_size: 104
    .language:       OpenCL C
    .language_version:
      - 2
      - 0
    .max_flat_workgroup_size: 64
    .name:           _ZN7rocprim17ROCPRIM_400000_NS6detail17trampoline_kernelINS0_14default_configENS1_20scan_config_selectorIyEEZZNS1_9scan_implILNS1_25lookback_scan_determinismE0ELb0ELb0ES3_N6thrust23THRUST_200600_302600_NS6detail15normal_iteratorINS9_10device_ptrIyEEEESE_yNS9_4plusIvEEyEEDaPvRmT3_T4_T5_mT6_P12ihipStream_tbENKUlT_T0_E_clISt17integral_constantIbLb1EEST_IbLb0EEEEDaSP_SQ_EUlSP_E_NS1_11comp_targetILNS1_3genE2ELNS1_11target_archE906ELNS1_3gpuE6ELNS1_3repE0EEENS1_30default_config_static_selectorELNS0_4arch9wavefront6targetE1EEEvT1_
    .private_segment_fixed_size: 0
    .sgpr_count:     4
    .sgpr_spill_count: 0
    .symbol:         _ZN7rocprim17ROCPRIM_400000_NS6detail17trampoline_kernelINS0_14default_configENS1_20scan_config_selectorIyEEZZNS1_9scan_implILNS1_25lookback_scan_determinismE0ELb0ELb0ES3_N6thrust23THRUST_200600_302600_NS6detail15normal_iteratorINS9_10device_ptrIyEEEESE_yNS9_4plusIvEEyEEDaPvRmT3_T4_T5_mT6_P12ihipStream_tbENKUlT_T0_E_clISt17integral_constantIbLb1EEST_IbLb0EEEEDaSP_SQ_EUlSP_E_NS1_11comp_targetILNS1_3genE2ELNS1_11target_archE906ELNS1_3gpuE6ELNS1_3repE0EEENS1_30default_config_static_selectorELNS0_4arch9wavefront6targetE1EEEvT1_.kd
    .uniform_work_group_size: 1
    .uses_dynamic_stack: false
    .vgpr_count:     0
    .vgpr_spill_count: 0
    .wavefront_size: 64
  - .agpr_count:     0
    .args:
      - .offset:         0
        .size:           104
        .value_kind:     by_value
    .group_segment_fixed_size: 0
    .kernarg_segment_align: 8
    .kernarg_segment_size: 104
    .language:       OpenCL C
    .language_version:
      - 2
      - 0
    .max_flat_workgroup_size: 256
    .name:           _ZN7rocprim17ROCPRIM_400000_NS6detail17trampoline_kernelINS0_14default_configENS1_20scan_config_selectorIyEEZZNS1_9scan_implILNS1_25lookback_scan_determinismE0ELb0ELb0ES3_N6thrust23THRUST_200600_302600_NS6detail15normal_iteratorINS9_10device_ptrIyEEEESE_yNS9_4plusIvEEyEEDaPvRmT3_T4_T5_mT6_P12ihipStream_tbENKUlT_T0_E_clISt17integral_constantIbLb1EEST_IbLb0EEEEDaSP_SQ_EUlSP_E_NS1_11comp_targetILNS1_3genE10ELNS1_11target_archE1201ELNS1_3gpuE5ELNS1_3repE0EEENS1_30default_config_static_selectorELNS0_4arch9wavefront6targetE1EEEvT1_
    .private_segment_fixed_size: 0
    .sgpr_count:     4
    .sgpr_spill_count: 0
    .symbol:         _ZN7rocprim17ROCPRIM_400000_NS6detail17trampoline_kernelINS0_14default_configENS1_20scan_config_selectorIyEEZZNS1_9scan_implILNS1_25lookback_scan_determinismE0ELb0ELb0ES3_N6thrust23THRUST_200600_302600_NS6detail15normal_iteratorINS9_10device_ptrIyEEEESE_yNS9_4plusIvEEyEEDaPvRmT3_T4_T5_mT6_P12ihipStream_tbENKUlT_T0_E_clISt17integral_constantIbLb1EEST_IbLb0EEEEDaSP_SQ_EUlSP_E_NS1_11comp_targetILNS1_3genE10ELNS1_11target_archE1201ELNS1_3gpuE5ELNS1_3repE0EEENS1_30default_config_static_selectorELNS0_4arch9wavefront6targetE1EEEvT1_.kd
    .uniform_work_group_size: 1
    .uses_dynamic_stack: false
    .vgpr_count:     0
    .vgpr_spill_count: 0
    .wavefront_size: 64
  - .agpr_count:     0
    .args:
      - .offset:         0
        .size:           104
        .value_kind:     by_value
    .group_segment_fixed_size: 0
    .kernarg_segment_align: 8
    .kernarg_segment_size: 104
    .language:       OpenCL C
    .language_version:
      - 2
      - 0
    .max_flat_workgroup_size: 256
    .name:           _ZN7rocprim17ROCPRIM_400000_NS6detail17trampoline_kernelINS0_14default_configENS1_20scan_config_selectorIyEEZZNS1_9scan_implILNS1_25lookback_scan_determinismE0ELb0ELb0ES3_N6thrust23THRUST_200600_302600_NS6detail15normal_iteratorINS9_10device_ptrIyEEEESE_yNS9_4plusIvEEyEEDaPvRmT3_T4_T5_mT6_P12ihipStream_tbENKUlT_T0_E_clISt17integral_constantIbLb1EEST_IbLb0EEEEDaSP_SQ_EUlSP_E_NS1_11comp_targetILNS1_3genE10ELNS1_11target_archE1200ELNS1_3gpuE4ELNS1_3repE0EEENS1_30default_config_static_selectorELNS0_4arch9wavefront6targetE1EEEvT1_
    .private_segment_fixed_size: 0
    .sgpr_count:     4
    .sgpr_spill_count: 0
    .symbol:         _ZN7rocprim17ROCPRIM_400000_NS6detail17trampoline_kernelINS0_14default_configENS1_20scan_config_selectorIyEEZZNS1_9scan_implILNS1_25lookback_scan_determinismE0ELb0ELb0ES3_N6thrust23THRUST_200600_302600_NS6detail15normal_iteratorINS9_10device_ptrIyEEEESE_yNS9_4plusIvEEyEEDaPvRmT3_T4_T5_mT6_P12ihipStream_tbENKUlT_T0_E_clISt17integral_constantIbLb1EEST_IbLb0EEEEDaSP_SQ_EUlSP_E_NS1_11comp_targetILNS1_3genE10ELNS1_11target_archE1200ELNS1_3gpuE4ELNS1_3repE0EEENS1_30default_config_static_selectorELNS0_4arch9wavefront6targetE1EEEvT1_.kd
    .uniform_work_group_size: 1
    .uses_dynamic_stack: false
    .vgpr_count:     0
    .vgpr_spill_count: 0
    .wavefront_size: 64
  - .agpr_count:     0
    .args:
      - .offset:         0
        .size:           104
        .value_kind:     by_value
    .group_segment_fixed_size: 0
    .kernarg_segment_align: 8
    .kernarg_segment_size: 104
    .language:       OpenCL C
    .language_version:
      - 2
      - 0
    .max_flat_workgroup_size: 256
    .name:           _ZN7rocprim17ROCPRIM_400000_NS6detail17trampoline_kernelINS0_14default_configENS1_20scan_config_selectorIyEEZZNS1_9scan_implILNS1_25lookback_scan_determinismE0ELb0ELb0ES3_N6thrust23THRUST_200600_302600_NS6detail15normal_iteratorINS9_10device_ptrIyEEEESE_yNS9_4plusIvEEyEEDaPvRmT3_T4_T5_mT6_P12ihipStream_tbENKUlT_T0_E_clISt17integral_constantIbLb1EEST_IbLb0EEEEDaSP_SQ_EUlSP_E_NS1_11comp_targetILNS1_3genE9ELNS1_11target_archE1100ELNS1_3gpuE3ELNS1_3repE0EEENS1_30default_config_static_selectorELNS0_4arch9wavefront6targetE1EEEvT1_
    .private_segment_fixed_size: 0
    .sgpr_count:     4
    .sgpr_spill_count: 0
    .symbol:         _ZN7rocprim17ROCPRIM_400000_NS6detail17trampoline_kernelINS0_14default_configENS1_20scan_config_selectorIyEEZZNS1_9scan_implILNS1_25lookback_scan_determinismE0ELb0ELb0ES3_N6thrust23THRUST_200600_302600_NS6detail15normal_iteratorINS9_10device_ptrIyEEEESE_yNS9_4plusIvEEyEEDaPvRmT3_T4_T5_mT6_P12ihipStream_tbENKUlT_T0_E_clISt17integral_constantIbLb1EEST_IbLb0EEEEDaSP_SQ_EUlSP_E_NS1_11comp_targetILNS1_3genE9ELNS1_11target_archE1100ELNS1_3gpuE3ELNS1_3repE0EEENS1_30default_config_static_selectorELNS0_4arch9wavefront6targetE1EEEvT1_.kd
    .uniform_work_group_size: 1
    .uses_dynamic_stack: false
    .vgpr_count:     0
    .vgpr_spill_count: 0
    .wavefront_size: 64
  - .agpr_count:     0
    .args:
      - .offset:         0
        .size:           104
        .value_kind:     by_value
    .group_segment_fixed_size: 0
    .kernarg_segment_align: 8
    .kernarg_segment_size: 104
    .language:       OpenCL C
    .language_version:
      - 2
      - 0
    .max_flat_workgroup_size: 256
    .name:           _ZN7rocprim17ROCPRIM_400000_NS6detail17trampoline_kernelINS0_14default_configENS1_20scan_config_selectorIyEEZZNS1_9scan_implILNS1_25lookback_scan_determinismE0ELb0ELb0ES3_N6thrust23THRUST_200600_302600_NS6detail15normal_iteratorINS9_10device_ptrIyEEEESE_yNS9_4plusIvEEyEEDaPvRmT3_T4_T5_mT6_P12ihipStream_tbENKUlT_T0_E_clISt17integral_constantIbLb1EEST_IbLb0EEEEDaSP_SQ_EUlSP_E_NS1_11comp_targetILNS1_3genE8ELNS1_11target_archE1030ELNS1_3gpuE2ELNS1_3repE0EEENS1_30default_config_static_selectorELNS0_4arch9wavefront6targetE1EEEvT1_
    .private_segment_fixed_size: 0
    .sgpr_count:     4
    .sgpr_spill_count: 0
    .symbol:         _ZN7rocprim17ROCPRIM_400000_NS6detail17trampoline_kernelINS0_14default_configENS1_20scan_config_selectorIyEEZZNS1_9scan_implILNS1_25lookback_scan_determinismE0ELb0ELb0ES3_N6thrust23THRUST_200600_302600_NS6detail15normal_iteratorINS9_10device_ptrIyEEEESE_yNS9_4plusIvEEyEEDaPvRmT3_T4_T5_mT6_P12ihipStream_tbENKUlT_T0_E_clISt17integral_constantIbLb1EEST_IbLb0EEEEDaSP_SQ_EUlSP_E_NS1_11comp_targetILNS1_3genE8ELNS1_11target_archE1030ELNS1_3gpuE2ELNS1_3repE0EEENS1_30default_config_static_selectorELNS0_4arch9wavefront6targetE1EEEvT1_.kd
    .uniform_work_group_size: 1
    .uses_dynamic_stack: false
    .vgpr_count:     0
    .vgpr_spill_count: 0
    .wavefront_size: 64
  - .agpr_count:     0
    .args:
      - .offset:         0
        .size:           40
        .value_kind:     by_value
    .group_segment_fixed_size: 0
    .kernarg_segment_align: 8
    .kernarg_segment_size: 40
    .language:       OpenCL C
    .language_version:
      - 2
      - 0
    .max_flat_workgroup_size: 256
    .name:           _ZN7rocprim17ROCPRIM_400000_NS6detail17trampoline_kernelINS0_14default_configENS1_20scan_config_selectorIyEEZZNS1_9scan_implILNS1_25lookback_scan_determinismE0ELb0ELb0ES3_N6thrust23THRUST_200600_302600_NS6detail15normal_iteratorINS9_10device_ptrIyEEEESE_yNS9_4plusIvEEyEEDaPvRmT3_T4_T5_mT6_P12ihipStream_tbENKUlT_T0_E_clISt17integral_constantIbLb1EEST_IbLb0EEEEDaSP_SQ_EUlSP_E0_NS1_11comp_targetILNS1_3genE0ELNS1_11target_archE4294967295ELNS1_3gpuE0ELNS1_3repE0EEENS1_30default_config_static_selectorELNS0_4arch9wavefront6targetE1EEEvT1_
    .private_segment_fixed_size: 0
    .sgpr_count:     4
    .sgpr_spill_count: 0
    .symbol:         _ZN7rocprim17ROCPRIM_400000_NS6detail17trampoline_kernelINS0_14default_configENS1_20scan_config_selectorIyEEZZNS1_9scan_implILNS1_25lookback_scan_determinismE0ELb0ELb0ES3_N6thrust23THRUST_200600_302600_NS6detail15normal_iteratorINS9_10device_ptrIyEEEESE_yNS9_4plusIvEEyEEDaPvRmT3_T4_T5_mT6_P12ihipStream_tbENKUlT_T0_E_clISt17integral_constantIbLb1EEST_IbLb0EEEEDaSP_SQ_EUlSP_E0_NS1_11comp_targetILNS1_3genE0ELNS1_11target_archE4294967295ELNS1_3gpuE0ELNS1_3repE0EEENS1_30default_config_static_selectorELNS0_4arch9wavefront6targetE1EEEvT1_.kd
    .uniform_work_group_size: 1
    .uses_dynamic_stack: false
    .vgpr_count:     0
    .vgpr_spill_count: 0
    .wavefront_size: 64
  - .agpr_count:     0
    .args:
      - .offset:         0
        .size:           40
        .value_kind:     by_value
    .group_segment_fixed_size: 0
    .kernarg_segment_align: 8
    .kernarg_segment_size: 40
    .language:       OpenCL C
    .language_version:
      - 2
      - 0
    .max_flat_workgroup_size: 256
    .name:           _ZN7rocprim17ROCPRIM_400000_NS6detail17trampoline_kernelINS0_14default_configENS1_20scan_config_selectorIyEEZZNS1_9scan_implILNS1_25lookback_scan_determinismE0ELb0ELb0ES3_N6thrust23THRUST_200600_302600_NS6detail15normal_iteratorINS9_10device_ptrIyEEEESE_yNS9_4plusIvEEyEEDaPvRmT3_T4_T5_mT6_P12ihipStream_tbENKUlT_T0_E_clISt17integral_constantIbLb1EEST_IbLb0EEEEDaSP_SQ_EUlSP_E0_NS1_11comp_targetILNS1_3genE5ELNS1_11target_archE942ELNS1_3gpuE9ELNS1_3repE0EEENS1_30default_config_static_selectorELNS0_4arch9wavefront6targetE1EEEvT1_
    .private_segment_fixed_size: 0
    .sgpr_count:     4
    .sgpr_spill_count: 0
    .symbol:         _ZN7rocprim17ROCPRIM_400000_NS6detail17trampoline_kernelINS0_14default_configENS1_20scan_config_selectorIyEEZZNS1_9scan_implILNS1_25lookback_scan_determinismE0ELb0ELb0ES3_N6thrust23THRUST_200600_302600_NS6detail15normal_iteratorINS9_10device_ptrIyEEEESE_yNS9_4plusIvEEyEEDaPvRmT3_T4_T5_mT6_P12ihipStream_tbENKUlT_T0_E_clISt17integral_constantIbLb1EEST_IbLb0EEEEDaSP_SQ_EUlSP_E0_NS1_11comp_targetILNS1_3genE5ELNS1_11target_archE942ELNS1_3gpuE9ELNS1_3repE0EEENS1_30default_config_static_selectorELNS0_4arch9wavefront6targetE1EEEvT1_.kd
    .uniform_work_group_size: 1
    .uses_dynamic_stack: false
    .vgpr_count:     0
    .vgpr_spill_count: 0
    .wavefront_size: 64
  - .agpr_count:     0
    .args:
      - .offset:         0
        .size:           40
        .value_kind:     by_value
    .group_segment_fixed_size: 7168
    .kernarg_segment_align: 8
    .kernarg_segment_size: 40
    .language:       OpenCL C
    .language_version:
      - 2
      - 0
    .max_flat_workgroup_size: 128
    .name:           _ZN7rocprim17ROCPRIM_400000_NS6detail17trampoline_kernelINS0_14default_configENS1_20scan_config_selectorIyEEZZNS1_9scan_implILNS1_25lookback_scan_determinismE0ELb0ELb0ES3_N6thrust23THRUST_200600_302600_NS6detail15normal_iteratorINS9_10device_ptrIyEEEESE_yNS9_4plusIvEEyEEDaPvRmT3_T4_T5_mT6_P12ihipStream_tbENKUlT_T0_E_clISt17integral_constantIbLb1EEST_IbLb0EEEEDaSP_SQ_EUlSP_E0_NS1_11comp_targetILNS1_3genE4ELNS1_11target_archE910ELNS1_3gpuE8ELNS1_3repE0EEENS1_30default_config_static_selectorELNS0_4arch9wavefront6targetE1EEEvT1_
    .private_segment_fixed_size: 0
    .sgpr_count:     26
    .sgpr_spill_count: 0
    .symbol:         _ZN7rocprim17ROCPRIM_400000_NS6detail17trampoline_kernelINS0_14default_configENS1_20scan_config_selectorIyEEZZNS1_9scan_implILNS1_25lookback_scan_determinismE0ELb0ELb0ES3_N6thrust23THRUST_200600_302600_NS6detail15normal_iteratorINS9_10device_ptrIyEEEESE_yNS9_4plusIvEEyEEDaPvRmT3_T4_T5_mT6_P12ihipStream_tbENKUlT_T0_E_clISt17integral_constantIbLb1EEST_IbLb0EEEEDaSP_SQ_EUlSP_E0_NS1_11comp_targetILNS1_3genE4ELNS1_11target_archE910ELNS1_3gpuE8ELNS1_3repE0EEENS1_30default_config_static_selectorELNS0_4arch9wavefront6targetE1EEEvT1_.kd
    .uniform_work_group_size: 1
    .uses_dynamic_stack: false
    .vgpr_count:     41
    .vgpr_spill_count: 0
    .wavefront_size: 64
  - .agpr_count:     0
    .args:
      - .offset:         0
        .size:           40
        .value_kind:     by_value
    .group_segment_fixed_size: 0
    .kernarg_segment_align: 8
    .kernarg_segment_size: 40
    .language:       OpenCL C
    .language_version:
      - 2
      - 0
    .max_flat_workgroup_size: 256
    .name:           _ZN7rocprim17ROCPRIM_400000_NS6detail17trampoline_kernelINS0_14default_configENS1_20scan_config_selectorIyEEZZNS1_9scan_implILNS1_25lookback_scan_determinismE0ELb0ELb0ES3_N6thrust23THRUST_200600_302600_NS6detail15normal_iteratorINS9_10device_ptrIyEEEESE_yNS9_4plusIvEEyEEDaPvRmT3_T4_T5_mT6_P12ihipStream_tbENKUlT_T0_E_clISt17integral_constantIbLb1EEST_IbLb0EEEEDaSP_SQ_EUlSP_E0_NS1_11comp_targetILNS1_3genE3ELNS1_11target_archE908ELNS1_3gpuE7ELNS1_3repE0EEENS1_30default_config_static_selectorELNS0_4arch9wavefront6targetE1EEEvT1_
    .private_segment_fixed_size: 0
    .sgpr_count:     4
    .sgpr_spill_count: 0
    .symbol:         _ZN7rocprim17ROCPRIM_400000_NS6detail17trampoline_kernelINS0_14default_configENS1_20scan_config_selectorIyEEZZNS1_9scan_implILNS1_25lookback_scan_determinismE0ELb0ELb0ES3_N6thrust23THRUST_200600_302600_NS6detail15normal_iteratorINS9_10device_ptrIyEEEESE_yNS9_4plusIvEEyEEDaPvRmT3_T4_T5_mT6_P12ihipStream_tbENKUlT_T0_E_clISt17integral_constantIbLb1EEST_IbLb0EEEEDaSP_SQ_EUlSP_E0_NS1_11comp_targetILNS1_3genE3ELNS1_11target_archE908ELNS1_3gpuE7ELNS1_3repE0EEENS1_30default_config_static_selectorELNS0_4arch9wavefront6targetE1EEEvT1_.kd
    .uniform_work_group_size: 1
    .uses_dynamic_stack: false
    .vgpr_count:     0
    .vgpr_spill_count: 0
    .wavefront_size: 64
  - .agpr_count:     0
    .args:
      - .offset:         0
        .size:           40
        .value_kind:     by_value
    .group_segment_fixed_size: 0
    .kernarg_segment_align: 8
    .kernarg_segment_size: 40
    .language:       OpenCL C
    .language_version:
      - 2
      - 0
    .max_flat_workgroup_size: 64
    .name:           _ZN7rocprim17ROCPRIM_400000_NS6detail17trampoline_kernelINS0_14default_configENS1_20scan_config_selectorIyEEZZNS1_9scan_implILNS1_25lookback_scan_determinismE0ELb0ELb0ES3_N6thrust23THRUST_200600_302600_NS6detail15normal_iteratorINS9_10device_ptrIyEEEESE_yNS9_4plusIvEEyEEDaPvRmT3_T4_T5_mT6_P12ihipStream_tbENKUlT_T0_E_clISt17integral_constantIbLb1EEST_IbLb0EEEEDaSP_SQ_EUlSP_E0_NS1_11comp_targetILNS1_3genE2ELNS1_11target_archE906ELNS1_3gpuE6ELNS1_3repE0EEENS1_30default_config_static_selectorELNS0_4arch9wavefront6targetE1EEEvT1_
    .private_segment_fixed_size: 0
    .sgpr_count:     4
    .sgpr_spill_count: 0
    .symbol:         _ZN7rocprim17ROCPRIM_400000_NS6detail17trampoline_kernelINS0_14default_configENS1_20scan_config_selectorIyEEZZNS1_9scan_implILNS1_25lookback_scan_determinismE0ELb0ELb0ES3_N6thrust23THRUST_200600_302600_NS6detail15normal_iteratorINS9_10device_ptrIyEEEESE_yNS9_4plusIvEEyEEDaPvRmT3_T4_T5_mT6_P12ihipStream_tbENKUlT_T0_E_clISt17integral_constantIbLb1EEST_IbLb0EEEEDaSP_SQ_EUlSP_E0_NS1_11comp_targetILNS1_3genE2ELNS1_11target_archE906ELNS1_3gpuE6ELNS1_3repE0EEENS1_30default_config_static_selectorELNS0_4arch9wavefront6targetE1EEEvT1_.kd
    .uniform_work_group_size: 1
    .uses_dynamic_stack: false
    .vgpr_count:     0
    .vgpr_spill_count: 0
    .wavefront_size: 64
  - .agpr_count:     0
    .args:
      - .offset:         0
        .size:           40
        .value_kind:     by_value
    .group_segment_fixed_size: 0
    .kernarg_segment_align: 8
    .kernarg_segment_size: 40
    .language:       OpenCL C
    .language_version:
      - 2
      - 0
    .max_flat_workgroup_size: 256
    .name:           _ZN7rocprim17ROCPRIM_400000_NS6detail17trampoline_kernelINS0_14default_configENS1_20scan_config_selectorIyEEZZNS1_9scan_implILNS1_25lookback_scan_determinismE0ELb0ELb0ES3_N6thrust23THRUST_200600_302600_NS6detail15normal_iteratorINS9_10device_ptrIyEEEESE_yNS9_4plusIvEEyEEDaPvRmT3_T4_T5_mT6_P12ihipStream_tbENKUlT_T0_E_clISt17integral_constantIbLb1EEST_IbLb0EEEEDaSP_SQ_EUlSP_E0_NS1_11comp_targetILNS1_3genE10ELNS1_11target_archE1201ELNS1_3gpuE5ELNS1_3repE0EEENS1_30default_config_static_selectorELNS0_4arch9wavefront6targetE1EEEvT1_
    .private_segment_fixed_size: 0
    .sgpr_count:     4
    .sgpr_spill_count: 0
    .symbol:         _ZN7rocprim17ROCPRIM_400000_NS6detail17trampoline_kernelINS0_14default_configENS1_20scan_config_selectorIyEEZZNS1_9scan_implILNS1_25lookback_scan_determinismE0ELb0ELb0ES3_N6thrust23THRUST_200600_302600_NS6detail15normal_iteratorINS9_10device_ptrIyEEEESE_yNS9_4plusIvEEyEEDaPvRmT3_T4_T5_mT6_P12ihipStream_tbENKUlT_T0_E_clISt17integral_constantIbLb1EEST_IbLb0EEEEDaSP_SQ_EUlSP_E0_NS1_11comp_targetILNS1_3genE10ELNS1_11target_archE1201ELNS1_3gpuE5ELNS1_3repE0EEENS1_30default_config_static_selectorELNS0_4arch9wavefront6targetE1EEEvT1_.kd
    .uniform_work_group_size: 1
    .uses_dynamic_stack: false
    .vgpr_count:     0
    .vgpr_spill_count: 0
    .wavefront_size: 64
  - .agpr_count:     0
    .args:
      - .offset:         0
        .size:           40
        .value_kind:     by_value
    .group_segment_fixed_size: 0
    .kernarg_segment_align: 8
    .kernarg_segment_size: 40
    .language:       OpenCL C
    .language_version:
      - 2
      - 0
    .max_flat_workgroup_size: 256
    .name:           _ZN7rocprim17ROCPRIM_400000_NS6detail17trampoline_kernelINS0_14default_configENS1_20scan_config_selectorIyEEZZNS1_9scan_implILNS1_25lookback_scan_determinismE0ELb0ELb0ES3_N6thrust23THRUST_200600_302600_NS6detail15normal_iteratorINS9_10device_ptrIyEEEESE_yNS9_4plusIvEEyEEDaPvRmT3_T4_T5_mT6_P12ihipStream_tbENKUlT_T0_E_clISt17integral_constantIbLb1EEST_IbLb0EEEEDaSP_SQ_EUlSP_E0_NS1_11comp_targetILNS1_3genE10ELNS1_11target_archE1200ELNS1_3gpuE4ELNS1_3repE0EEENS1_30default_config_static_selectorELNS0_4arch9wavefront6targetE1EEEvT1_
    .private_segment_fixed_size: 0
    .sgpr_count:     4
    .sgpr_spill_count: 0
    .symbol:         _ZN7rocprim17ROCPRIM_400000_NS6detail17trampoline_kernelINS0_14default_configENS1_20scan_config_selectorIyEEZZNS1_9scan_implILNS1_25lookback_scan_determinismE0ELb0ELb0ES3_N6thrust23THRUST_200600_302600_NS6detail15normal_iteratorINS9_10device_ptrIyEEEESE_yNS9_4plusIvEEyEEDaPvRmT3_T4_T5_mT6_P12ihipStream_tbENKUlT_T0_E_clISt17integral_constantIbLb1EEST_IbLb0EEEEDaSP_SQ_EUlSP_E0_NS1_11comp_targetILNS1_3genE10ELNS1_11target_archE1200ELNS1_3gpuE4ELNS1_3repE0EEENS1_30default_config_static_selectorELNS0_4arch9wavefront6targetE1EEEvT1_.kd
    .uniform_work_group_size: 1
    .uses_dynamic_stack: false
    .vgpr_count:     0
    .vgpr_spill_count: 0
    .wavefront_size: 64
  - .agpr_count:     0
    .args:
      - .offset:         0
        .size:           40
        .value_kind:     by_value
    .group_segment_fixed_size: 0
    .kernarg_segment_align: 8
    .kernarg_segment_size: 40
    .language:       OpenCL C
    .language_version:
      - 2
      - 0
    .max_flat_workgroup_size: 256
    .name:           _ZN7rocprim17ROCPRIM_400000_NS6detail17trampoline_kernelINS0_14default_configENS1_20scan_config_selectorIyEEZZNS1_9scan_implILNS1_25lookback_scan_determinismE0ELb0ELb0ES3_N6thrust23THRUST_200600_302600_NS6detail15normal_iteratorINS9_10device_ptrIyEEEESE_yNS9_4plusIvEEyEEDaPvRmT3_T4_T5_mT6_P12ihipStream_tbENKUlT_T0_E_clISt17integral_constantIbLb1EEST_IbLb0EEEEDaSP_SQ_EUlSP_E0_NS1_11comp_targetILNS1_3genE9ELNS1_11target_archE1100ELNS1_3gpuE3ELNS1_3repE0EEENS1_30default_config_static_selectorELNS0_4arch9wavefront6targetE1EEEvT1_
    .private_segment_fixed_size: 0
    .sgpr_count:     4
    .sgpr_spill_count: 0
    .symbol:         _ZN7rocprim17ROCPRIM_400000_NS6detail17trampoline_kernelINS0_14default_configENS1_20scan_config_selectorIyEEZZNS1_9scan_implILNS1_25lookback_scan_determinismE0ELb0ELb0ES3_N6thrust23THRUST_200600_302600_NS6detail15normal_iteratorINS9_10device_ptrIyEEEESE_yNS9_4plusIvEEyEEDaPvRmT3_T4_T5_mT6_P12ihipStream_tbENKUlT_T0_E_clISt17integral_constantIbLb1EEST_IbLb0EEEEDaSP_SQ_EUlSP_E0_NS1_11comp_targetILNS1_3genE9ELNS1_11target_archE1100ELNS1_3gpuE3ELNS1_3repE0EEENS1_30default_config_static_selectorELNS0_4arch9wavefront6targetE1EEEvT1_.kd
    .uniform_work_group_size: 1
    .uses_dynamic_stack: false
    .vgpr_count:     0
    .vgpr_spill_count: 0
    .wavefront_size: 64
  - .agpr_count:     0
    .args:
      - .offset:         0
        .size:           40
        .value_kind:     by_value
    .group_segment_fixed_size: 0
    .kernarg_segment_align: 8
    .kernarg_segment_size: 40
    .language:       OpenCL C
    .language_version:
      - 2
      - 0
    .max_flat_workgroup_size: 256
    .name:           _ZN7rocprim17ROCPRIM_400000_NS6detail17trampoline_kernelINS0_14default_configENS1_20scan_config_selectorIyEEZZNS1_9scan_implILNS1_25lookback_scan_determinismE0ELb0ELb0ES3_N6thrust23THRUST_200600_302600_NS6detail15normal_iteratorINS9_10device_ptrIyEEEESE_yNS9_4plusIvEEyEEDaPvRmT3_T4_T5_mT6_P12ihipStream_tbENKUlT_T0_E_clISt17integral_constantIbLb1EEST_IbLb0EEEEDaSP_SQ_EUlSP_E0_NS1_11comp_targetILNS1_3genE8ELNS1_11target_archE1030ELNS1_3gpuE2ELNS1_3repE0EEENS1_30default_config_static_selectorELNS0_4arch9wavefront6targetE1EEEvT1_
    .private_segment_fixed_size: 0
    .sgpr_count:     4
    .sgpr_spill_count: 0
    .symbol:         _ZN7rocprim17ROCPRIM_400000_NS6detail17trampoline_kernelINS0_14default_configENS1_20scan_config_selectorIyEEZZNS1_9scan_implILNS1_25lookback_scan_determinismE0ELb0ELb0ES3_N6thrust23THRUST_200600_302600_NS6detail15normal_iteratorINS9_10device_ptrIyEEEESE_yNS9_4plusIvEEyEEDaPvRmT3_T4_T5_mT6_P12ihipStream_tbENKUlT_T0_E_clISt17integral_constantIbLb1EEST_IbLb0EEEEDaSP_SQ_EUlSP_E0_NS1_11comp_targetILNS1_3genE8ELNS1_11target_archE1030ELNS1_3gpuE2ELNS1_3repE0EEENS1_30default_config_static_selectorELNS0_4arch9wavefront6targetE1EEEvT1_.kd
    .uniform_work_group_size: 1
    .uses_dynamic_stack: false
    .vgpr_count:     0
    .vgpr_spill_count: 0
    .wavefront_size: 64
  - .agpr_count:     0
    .args:
      - .offset:         0
        .size:           104
        .value_kind:     by_value
    .group_segment_fixed_size: 0
    .kernarg_segment_align: 8
    .kernarg_segment_size: 104
    .language:       OpenCL C
    .language_version:
      - 2
      - 0
    .max_flat_workgroup_size: 256
    .name:           _ZN7rocprim17ROCPRIM_400000_NS6detail17trampoline_kernelINS0_14default_configENS1_20scan_config_selectorIyEEZZNS1_9scan_implILNS1_25lookback_scan_determinismE0ELb0ELb0ES3_N6thrust23THRUST_200600_302600_NS6detail15normal_iteratorINS9_10device_ptrIyEEEESE_yNS9_4plusIvEEyEEDaPvRmT3_T4_T5_mT6_P12ihipStream_tbENKUlT_T0_E_clISt17integral_constantIbLb0EEST_IbLb1EEEEDaSP_SQ_EUlSP_E_NS1_11comp_targetILNS1_3genE0ELNS1_11target_archE4294967295ELNS1_3gpuE0ELNS1_3repE0EEENS1_30default_config_static_selectorELNS0_4arch9wavefront6targetE1EEEvT1_
    .private_segment_fixed_size: 0
    .sgpr_count:     4
    .sgpr_spill_count: 0
    .symbol:         _ZN7rocprim17ROCPRIM_400000_NS6detail17trampoline_kernelINS0_14default_configENS1_20scan_config_selectorIyEEZZNS1_9scan_implILNS1_25lookback_scan_determinismE0ELb0ELb0ES3_N6thrust23THRUST_200600_302600_NS6detail15normal_iteratorINS9_10device_ptrIyEEEESE_yNS9_4plusIvEEyEEDaPvRmT3_T4_T5_mT6_P12ihipStream_tbENKUlT_T0_E_clISt17integral_constantIbLb0EEST_IbLb1EEEEDaSP_SQ_EUlSP_E_NS1_11comp_targetILNS1_3genE0ELNS1_11target_archE4294967295ELNS1_3gpuE0ELNS1_3repE0EEENS1_30default_config_static_selectorELNS0_4arch9wavefront6targetE1EEEvT1_.kd
    .uniform_work_group_size: 1
    .uses_dynamic_stack: false
    .vgpr_count:     0
    .vgpr_spill_count: 0
    .wavefront_size: 64
  - .agpr_count:     0
    .args:
      - .offset:         0
        .size:           104
        .value_kind:     by_value
    .group_segment_fixed_size: 0
    .kernarg_segment_align: 8
    .kernarg_segment_size: 104
    .language:       OpenCL C
    .language_version:
      - 2
      - 0
    .max_flat_workgroup_size: 256
    .name:           _ZN7rocprim17ROCPRIM_400000_NS6detail17trampoline_kernelINS0_14default_configENS1_20scan_config_selectorIyEEZZNS1_9scan_implILNS1_25lookback_scan_determinismE0ELb0ELb0ES3_N6thrust23THRUST_200600_302600_NS6detail15normal_iteratorINS9_10device_ptrIyEEEESE_yNS9_4plusIvEEyEEDaPvRmT3_T4_T5_mT6_P12ihipStream_tbENKUlT_T0_E_clISt17integral_constantIbLb0EEST_IbLb1EEEEDaSP_SQ_EUlSP_E_NS1_11comp_targetILNS1_3genE5ELNS1_11target_archE942ELNS1_3gpuE9ELNS1_3repE0EEENS1_30default_config_static_selectorELNS0_4arch9wavefront6targetE1EEEvT1_
    .private_segment_fixed_size: 0
    .sgpr_count:     4
    .sgpr_spill_count: 0
    .symbol:         _ZN7rocprim17ROCPRIM_400000_NS6detail17trampoline_kernelINS0_14default_configENS1_20scan_config_selectorIyEEZZNS1_9scan_implILNS1_25lookback_scan_determinismE0ELb0ELb0ES3_N6thrust23THRUST_200600_302600_NS6detail15normal_iteratorINS9_10device_ptrIyEEEESE_yNS9_4plusIvEEyEEDaPvRmT3_T4_T5_mT6_P12ihipStream_tbENKUlT_T0_E_clISt17integral_constantIbLb0EEST_IbLb1EEEEDaSP_SQ_EUlSP_E_NS1_11comp_targetILNS1_3genE5ELNS1_11target_archE942ELNS1_3gpuE9ELNS1_3repE0EEENS1_30default_config_static_selectorELNS0_4arch9wavefront6targetE1EEEvT1_.kd
    .uniform_work_group_size: 1
    .uses_dynamic_stack: false
    .vgpr_count:     0
    .vgpr_spill_count: 0
    .wavefront_size: 64
  - .agpr_count:     0
    .args:
      - .offset:         0
        .size:           104
        .value_kind:     by_value
    .group_segment_fixed_size: 7168
    .kernarg_segment_align: 8
    .kernarg_segment_size: 104
    .language:       OpenCL C
    .language_version:
      - 2
      - 0
    .max_flat_workgroup_size: 128
    .name:           _ZN7rocprim17ROCPRIM_400000_NS6detail17trampoline_kernelINS0_14default_configENS1_20scan_config_selectorIyEEZZNS1_9scan_implILNS1_25lookback_scan_determinismE0ELb0ELb0ES3_N6thrust23THRUST_200600_302600_NS6detail15normal_iteratorINS9_10device_ptrIyEEEESE_yNS9_4plusIvEEyEEDaPvRmT3_T4_T5_mT6_P12ihipStream_tbENKUlT_T0_E_clISt17integral_constantIbLb0EEST_IbLb1EEEEDaSP_SQ_EUlSP_E_NS1_11comp_targetILNS1_3genE4ELNS1_11target_archE910ELNS1_3gpuE8ELNS1_3repE0EEENS1_30default_config_static_selectorELNS0_4arch9wavefront6targetE1EEEvT1_
    .private_segment_fixed_size: 0
    .sgpr_count:     40
    .sgpr_spill_count: 0
    .symbol:         _ZN7rocprim17ROCPRIM_400000_NS6detail17trampoline_kernelINS0_14default_configENS1_20scan_config_selectorIyEEZZNS1_9scan_implILNS1_25lookback_scan_determinismE0ELb0ELb0ES3_N6thrust23THRUST_200600_302600_NS6detail15normal_iteratorINS9_10device_ptrIyEEEESE_yNS9_4plusIvEEyEEDaPvRmT3_T4_T5_mT6_P12ihipStream_tbENKUlT_T0_E_clISt17integral_constantIbLb0EEST_IbLb1EEEEDaSP_SQ_EUlSP_E_NS1_11comp_targetILNS1_3genE4ELNS1_11target_archE910ELNS1_3gpuE8ELNS1_3repE0EEENS1_30default_config_static_selectorELNS0_4arch9wavefront6targetE1EEEvT1_.kd
    .uniform_work_group_size: 1
    .uses_dynamic_stack: false
    .vgpr_count:     51
    .vgpr_spill_count: 0
    .wavefront_size: 64
  - .agpr_count:     0
    .args:
      - .offset:         0
        .size:           104
        .value_kind:     by_value
    .group_segment_fixed_size: 0
    .kernarg_segment_align: 8
    .kernarg_segment_size: 104
    .language:       OpenCL C
    .language_version:
      - 2
      - 0
    .max_flat_workgroup_size: 256
    .name:           _ZN7rocprim17ROCPRIM_400000_NS6detail17trampoline_kernelINS0_14default_configENS1_20scan_config_selectorIyEEZZNS1_9scan_implILNS1_25lookback_scan_determinismE0ELb0ELb0ES3_N6thrust23THRUST_200600_302600_NS6detail15normal_iteratorINS9_10device_ptrIyEEEESE_yNS9_4plusIvEEyEEDaPvRmT3_T4_T5_mT6_P12ihipStream_tbENKUlT_T0_E_clISt17integral_constantIbLb0EEST_IbLb1EEEEDaSP_SQ_EUlSP_E_NS1_11comp_targetILNS1_3genE3ELNS1_11target_archE908ELNS1_3gpuE7ELNS1_3repE0EEENS1_30default_config_static_selectorELNS0_4arch9wavefront6targetE1EEEvT1_
    .private_segment_fixed_size: 0
    .sgpr_count:     4
    .sgpr_spill_count: 0
    .symbol:         _ZN7rocprim17ROCPRIM_400000_NS6detail17trampoline_kernelINS0_14default_configENS1_20scan_config_selectorIyEEZZNS1_9scan_implILNS1_25lookback_scan_determinismE0ELb0ELb0ES3_N6thrust23THRUST_200600_302600_NS6detail15normal_iteratorINS9_10device_ptrIyEEEESE_yNS9_4plusIvEEyEEDaPvRmT3_T4_T5_mT6_P12ihipStream_tbENKUlT_T0_E_clISt17integral_constantIbLb0EEST_IbLb1EEEEDaSP_SQ_EUlSP_E_NS1_11comp_targetILNS1_3genE3ELNS1_11target_archE908ELNS1_3gpuE7ELNS1_3repE0EEENS1_30default_config_static_selectorELNS0_4arch9wavefront6targetE1EEEvT1_.kd
    .uniform_work_group_size: 1
    .uses_dynamic_stack: false
    .vgpr_count:     0
    .vgpr_spill_count: 0
    .wavefront_size: 64
  - .agpr_count:     0
    .args:
      - .offset:         0
        .size:           104
        .value_kind:     by_value
    .group_segment_fixed_size: 0
    .kernarg_segment_align: 8
    .kernarg_segment_size: 104
    .language:       OpenCL C
    .language_version:
      - 2
      - 0
    .max_flat_workgroup_size: 64
    .name:           _ZN7rocprim17ROCPRIM_400000_NS6detail17trampoline_kernelINS0_14default_configENS1_20scan_config_selectorIyEEZZNS1_9scan_implILNS1_25lookback_scan_determinismE0ELb0ELb0ES3_N6thrust23THRUST_200600_302600_NS6detail15normal_iteratorINS9_10device_ptrIyEEEESE_yNS9_4plusIvEEyEEDaPvRmT3_T4_T5_mT6_P12ihipStream_tbENKUlT_T0_E_clISt17integral_constantIbLb0EEST_IbLb1EEEEDaSP_SQ_EUlSP_E_NS1_11comp_targetILNS1_3genE2ELNS1_11target_archE906ELNS1_3gpuE6ELNS1_3repE0EEENS1_30default_config_static_selectorELNS0_4arch9wavefront6targetE1EEEvT1_
    .private_segment_fixed_size: 0
    .sgpr_count:     4
    .sgpr_spill_count: 0
    .symbol:         _ZN7rocprim17ROCPRIM_400000_NS6detail17trampoline_kernelINS0_14default_configENS1_20scan_config_selectorIyEEZZNS1_9scan_implILNS1_25lookback_scan_determinismE0ELb0ELb0ES3_N6thrust23THRUST_200600_302600_NS6detail15normal_iteratorINS9_10device_ptrIyEEEESE_yNS9_4plusIvEEyEEDaPvRmT3_T4_T5_mT6_P12ihipStream_tbENKUlT_T0_E_clISt17integral_constantIbLb0EEST_IbLb1EEEEDaSP_SQ_EUlSP_E_NS1_11comp_targetILNS1_3genE2ELNS1_11target_archE906ELNS1_3gpuE6ELNS1_3repE0EEENS1_30default_config_static_selectorELNS0_4arch9wavefront6targetE1EEEvT1_.kd
    .uniform_work_group_size: 1
    .uses_dynamic_stack: false
    .vgpr_count:     0
    .vgpr_spill_count: 0
    .wavefront_size: 64
  - .agpr_count:     0
    .args:
      - .offset:         0
        .size:           104
        .value_kind:     by_value
    .group_segment_fixed_size: 0
    .kernarg_segment_align: 8
    .kernarg_segment_size: 104
    .language:       OpenCL C
    .language_version:
      - 2
      - 0
    .max_flat_workgroup_size: 256
    .name:           _ZN7rocprim17ROCPRIM_400000_NS6detail17trampoline_kernelINS0_14default_configENS1_20scan_config_selectorIyEEZZNS1_9scan_implILNS1_25lookback_scan_determinismE0ELb0ELb0ES3_N6thrust23THRUST_200600_302600_NS6detail15normal_iteratorINS9_10device_ptrIyEEEESE_yNS9_4plusIvEEyEEDaPvRmT3_T4_T5_mT6_P12ihipStream_tbENKUlT_T0_E_clISt17integral_constantIbLb0EEST_IbLb1EEEEDaSP_SQ_EUlSP_E_NS1_11comp_targetILNS1_3genE10ELNS1_11target_archE1201ELNS1_3gpuE5ELNS1_3repE0EEENS1_30default_config_static_selectorELNS0_4arch9wavefront6targetE1EEEvT1_
    .private_segment_fixed_size: 0
    .sgpr_count:     4
    .sgpr_spill_count: 0
    .symbol:         _ZN7rocprim17ROCPRIM_400000_NS6detail17trampoline_kernelINS0_14default_configENS1_20scan_config_selectorIyEEZZNS1_9scan_implILNS1_25lookback_scan_determinismE0ELb0ELb0ES3_N6thrust23THRUST_200600_302600_NS6detail15normal_iteratorINS9_10device_ptrIyEEEESE_yNS9_4plusIvEEyEEDaPvRmT3_T4_T5_mT6_P12ihipStream_tbENKUlT_T0_E_clISt17integral_constantIbLb0EEST_IbLb1EEEEDaSP_SQ_EUlSP_E_NS1_11comp_targetILNS1_3genE10ELNS1_11target_archE1201ELNS1_3gpuE5ELNS1_3repE0EEENS1_30default_config_static_selectorELNS0_4arch9wavefront6targetE1EEEvT1_.kd
    .uniform_work_group_size: 1
    .uses_dynamic_stack: false
    .vgpr_count:     0
    .vgpr_spill_count: 0
    .wavefront_size: 64
  - .agpr_count:     0
    .args:
      - .offset:         0
        .size:           104
        .value_kind:     by_value
    .group_segment_fixed_size: 0
    .kernarg_segment_align: 8
    .kernarg_segment_size: 104
    .language:       OpenCL C
    .language_version:
      - 2
      - 0
    .max_flat_workgroup_size: 256
    .name:           _ZN7rocprim17ROCPRIM_400000_NS6detail17trampoline_kernelINS0_14default_configENS1_20scan_config_selectorIyEEZZNS1_9scan_implILNS1_25lookback_scan_determinismE0ELb0ELb0ES3_N6thrust23THRUST_200600_302600_NS6detail15normal_iteratorINS9_10device_ptrIyEEEESE_yNS9_4plusIvEEyEEDaPvRmT3_T4_T5_mT6_P12ihipStream_tbENKUlT_T0_E_clISt17integral_constantIbLb0EEST_IbLb1EEEEDaSP_SQ_EUlSP_E_NS1_11comp_targetILNS1_3genE10ELNS1_11target_archE1200ELNS1_3gpuE4ELNS1_3repE0EEENS1_30default_config_static_selectorELNS0_4arch9wavefront6targetE1EEEvT1_
    .private_segment_fixed_size: 0
    .sgpr_count:     4
    .sgpr_spill_count: 0
    .symbol:         _ZN7rocprim17ROCPRIM_400000_NS6detail17trampoline_kernelINS0_14default_configENS1_20scan_config_selectorIyEEZZNS1_9scan_implILNS1_25lookback_scan_determinismE0ELb0ELb0ES3_N6thrust23THRUST_200600_302600_NS6detail15normal_iteratorINS9_10device_ptrIyEEEESE_yNS9_4plusIvEEyEEDaPvRmT3_T4_T5_mT6_P12ihipStream_tbENKUlT_T0_E_clISt17integral_constantIbLb0EEST_IbLb1EEEEDaSP_SQ_EUlSP_E_NS1_11comp_targetILNS1_3genE10ELNS1_11target_archE1200ELNS1_3gpuE4ELNS1_3repE0EEENS1_30default_config_static_selectorELNS0_4arch9wavefront6targetE1EEEvT1_.kd
    .uniform_work_group_size: 1
    .uses_dynamic_stack: false
    .vgpr_count:     0
    .vgpr_spill_count: 0
    .wavefront_size: 64
  - .agpr_count:     0
    .args:
      - .offset:         0
        .size:           104
        .value_kind:     by_value
    .group_segment_fixed_size: 0
    .kernarg_segment_align: 8
    .kernarg_segment_size: 104
    .language:       OpenCL C
    .language_version:
      - 2
      - 0
    .max_flat_workgroup_size: 256
    .name:           _ZN7rocprim17ROCPRIM_400000_NS6detail17trampoline_kernelINS0_14default_configENS1_20scan_config_selectorIyEEZZNS1_9scan_implILNS1_25lookback_scan_determinismE0ELb0ELb0ES3_N6thrust23THRUST_200600_302600_NS6detail15normal_iteratorINS9_10device_ptrIyEEEESE_yNS9_4plusIvEEyEEDaPvRmT3_T4_T5_mT6_P12ihipStream_tbENKUlT_T0_E_clISt17integral_constantIbLb0EEST_IbLb1EEEEDaSP_SQ_EUlSP_E_NS1_11comp_targetILNS1_3genE9ELNS1_11target_archE1100ELNS1_3gpuE3ELNS1_3repE0EEENS1_30default_config_static_selectorELNS0_4arch9wavefront6targetE1EEEvT1_
    .private_segment_fixed_size: 0
    .sgpr_count:     4
    .sgpr_spill_count: 0
    .symbol:         _ZN7rocprim17ROCPRIM_400000_NS6detail17trampoline_kernelINS0_14default_configENS1_20scan_config_selectorIyEEZZNS1_9scan_implILNS1_25lookback_scan_determinismE0ELb0ELb0ES3_N6thrust23THRUST_200600_302600_NS6detail15normal_iteratorINS9_10device_ptrIyEEEESE_yNS9_4plusIvEEyEEDaPvRmT3_T4_T5_mT6_P12ihipStream_tbENKUlT_T0_E_clISt17integral_constantIbLb0EEST_IbLb1EEEEDaSP_SQ_EUlSP_E_NS1_11comp_targetILNS1_3genE9ELNS1_11target_archE1100ELNS1_3gpuE3ELNS1_3repE0EEENS1_30default_config_static_selectorELNS0_4arch9wavefront6targetE1EEEvT1_.kd
    .uniform_work_group_size: 1
    .uses_dynamic_stack: false
    .vgpr_count:     0
    .vgpr_spill_count: 0
    .wavefront_size: 64
  - .agpr_count:     0
    .args:
      - .offset:         0
        .size:           104
        .value_kind:     by_value
    .group_segment_fixed_size: 0
    .kernarg_segment_align: 8
    .kernarg_segment_size: 104
    .language:       OpenCL C
    .language_version:
      - 2
      - 0
    .max_flat_workgroup_size: 256
    .name:           _ZN7rocprim17ROCPRIM_400000_NS6detail17trampoline_kernelINS0_14default_configENS1_20scan_config_selectorIyEEZZNS1_9scan_implILNS1_25lookback_scan_determinismE0ELb0ELb0ES3_N6thrust23THRUST_200600_302600_NS6detail15normal_iteratorINS9_10device_ptrIyEEEESE_yNS9_4plusIvEEyEEDaPvRmT3_T4_T5_mT6_P12ihipStream_tbENKUlT_T0_E_clISt17integral_constantIbLb0EEST_IbLb1EEEEDaSP_SQ_EUlSP_E_NS1_11comp_targetILNS1_3genE8ELNS1_11target_archE1030ELNS1_3gpuE2ELNS1_3repE0EEENS1_30default_config_static_selectorELNS0_4arch9wavefront6targetE1EEEvT1_
    .private_segment_fixed_size: 0
    .sgpr_count:     4
    .sgpr_spill_count: 0
    .symbol:         _ZN7rocprim17ROCPRIM_400000_NS6detail17trampoline_kernelINS0_14default_configENS1_20scan_config_selectorIyEEZZNS1_9scan_implILNS1_25lookback_scan_determinismE0ELb0ELb0ES3_N6thrust23THRUST_200600_302600_NS6detail15normal_iteratorINS9_10device_ptrIyEEEESE_yNS9_4plusIvEEyEEDaPvRmT3_T4_T5_mT6_P12ihipStream_tbENKUlT_T0_E_clISt17integral_constantIbLb0EEST_IbLb1EEEEDaSP_SQ_EUlSP_E_NS1_11comp_targetILNS1_3genE8ELNS1_11target_archE1030ELNS1_3gpuE2ELNS1_3repE0EEENS1_30default_config_static_selectorELNS0_4arch9wavefront6targetE1EEEvT1_.kd
    .uniform_work_group_size: 1
    .uses_dynamic_stack: false
    .vgpr_count:     0
    .vgpr_spill_count: 0
    .wavefront_size: 64
  - .agpr_count:     0
    .args:
      - .offset:         0
        .size:           40
        .value_kind:     by_value
    .group_segment_fixed_size: 0
    .kernarg_segment_align: 8
    .kernarg_segment_size: 40
    .language:       OpenCL C
    .language_version:
      - 2
      - 0
    .max_flat_workgroup_size: 256
    .name:           _ZN7rocprim17ROCPRIM_400000_NS6detail17trampoline_kernelINS0_14default_configENS1_20scan_config_selectorIyEEZZNS1_9scan_implILNS1_25lookback_scan_determinismE0ELb0ELb0ES3_N6thrust23THRUST_200600_302600_NS6detail15normal_iteratorINS9_10device_ptrIyEEEESE_yNS9_4plusIvEEyEEDaPvRmT3_T4_T5_mT6_P12ihipStream_tbENKUlT_T0_E_clISt17integral_constantIbLb0EEST_IbLb1EEEEDaSP_SQ_EUlSP_E0_NS1_11comp_targetILNS1_3genE0ELNS1_11target_archE4294967295ELNS1_3gpuE0ELNS1_3repE0EEENS1_30default_config_static_selectorELNS0_4arch9wavefront6targetE1EEEvT1_
    .private_segment_fixed_size: 0
    .sgpr_count:     4
    .sgpr_spill_count: 0
    .symbol:         _ZN7rocprim17ROCPRIM_400000_NS6detail17trampoline_kernelINS0_14default_configENS1_20scan_config_selectorIyEEZZNS1_9scan_implILNS1_25lookback_scan_determinismE0ELb0ELb0ES3_N6thrust23THRUST_200600_302600_NS6detail15normal_iteratorINS9_10device_ptrIyEEEESE_yNS9_4plusIvEEyEEDaPvRmT3_T4_T5_mT6_P12ihipStream_tbENKUlT_T0_E_clISt17integral_constantIbLb0EEST_IbLb1EEEEDaSP_SQ_EUlSP_E0_NS1_11comp_targetILNS1_3genE0ELNS1_11target_archE4294967295ELNS1_3gpuE0ELNS1_3repE0EEENS1_30default_config_static_selectorELNS0_4arch9wavefront6targetE1EEEvT1_.kd
    .uniform_work_group_size: 1
    .uses_dynamic_stack: false
    .vgpr_count:     0
    .vgpr_spill_count: 0
    .wavefront_size: 64
  - .agpr_count:     0
    .args:
      - .offset:         0
        .size:           40
        .value_kind:     by_value
    .group_segment_fixed_size: 0
    .kernarg_segment_align: 8
    .kernarg_segment_size: 40
    .language:       OpenCL C
    .language_version:
      - 2
      - 0
    .max_flat_workgroup_size: 256
    .name:           _ZN7rocprim17ROCPRIM_400000_NS6detail17trampoline_kernelINS0_14default_configENS1_20scan_config_selectorIyEEZZNS1_9scan_implILNS1_25lookback_scan_determinismE0ELb0ELb0ES3_N6thrust23THRUST_200600_302600_NS6detail15normal_iteratorINS9_10device_ptrIyEEEESE_yNS9_4plusIvEEyEEDaPvRmT3_T4_T5_mT6_P12ihipStream_tbENKUlT_T0_E_clISt17integral_constantIbLb0EEST_IbLb1EEEEDaSP_SQ_EUlSP_E0_NS1_11comp_targetILNS1_3genE5ELNS1_11target_archE942ELNS1_3gpuE9ELNS1_3repE0EEENS1_30default_config_static_selectorELNS0_4arch9wavefront6targetE1EEEvT1_
    .private_segment_fixed_size: 0
    .sgpr_count:     4
    .sgpr_spill_count: 0
    .symbol:         _ZN7rocprim17ROCPRIM_400000_NS6detail17trampoline_kernelINS0_14default_configENS1_20scan_config_selectorIyEEZZNS1_9scan_implILNS1_25lookback_scan_determinismE0ELb0ELb0ES3_N6thrust23THRUST_200600_302600_NS6detail15normal_iteratorINS9_10device_ptrIyEEEESE_yNS9_4plusIvEEyEEDaPvRmT3_T4_T5_mT6_P12ihipStream_tbENKUlT_T0_E_clISt17integral_constantIbLb0EEST_IbLb1EEEEDaSP_SQ_EUlSP_E0_NS1_11comp_targetILNS1_3genE5ELNS1_11target_archE942ELNS1_3gpuE9ELNS1_3repE0EEENS1_30default_config_static_selectorELNS0_4arch9wavefront6targetE1EEEvT1_.kd
    .uniform_work_group_size: 1
    .uses_dynamic_stack: false
    .vgpr_count:     0
    .vgpr_spill_count: 0
    .wavefront_size: 64
  - .agpr_count:     0
    .args:
      - .offset:         0
        .size:           40
        .value_kind:     by_value
    .group_segment_fixed_size: 7168
    .kernarg_segment_align: 8
    .kernarg_segment_size: 40
    .language:       OpenCL C
    .language_version:
      - 2
      - 0
    .max_flat_workgroup_size: 128
    .name:           _ZN7rocprim17ROCPRIM_400000_NS6detail17trampoline_kernelINS0_14default_configENS1_20scan_config_selectorIyEEZZNS1_9scan_implILNS1_25lookback_scan_determinismE0ELb0ELb0ES3_N6thrust23THRUST_200600_302600_NS6detail15normal_iteratorINS9_10device_ptrIyEEEESE_yNS9_4plusIvEEyEEDaPvRmT3_T4_T5_mT6_P12ihipStream_tbENKUlT_T0_E_clISt17integral_constantIbLb0EEST_IbLb1EEEEDaSP_SQ_EUlSP_E0_NS1_11comp_targetILNS1_3genE4ELNS1_11target_archE910ELNS1_3gpuE8ELNS1_3repE0EEENS1_30default_config_static_selectorELNS0_4arch9wavefront6targetE1EEEvT1_
    .private_segment_fixed_size: 0
    .sgpr_count:     26
    .sgpr_spill_count: 0
    .symbol:         _ZN7rocprim17ROCPRIM_400000_NS6detail17trampoline_kernelINS0_14default_configENS1_20scan_config_selectorIyEEZZNS1_9scan_implILNS1_25lookback_scan_determinismE0ELb0ELb0ES3_N6thrust23THRUST_200600_302600_NS6detail15normal_iteratorINS9_10device_ptrIyEEEESE_yNS9_4plusIvEEyEEDaPvRmT3_T4_T5_mT6_P12ihipStream_tbENKUlT_T0_E_clISt17integral_constantIbLb0EEST_IbLb1EEEEDaSP_SQ_EUlSP_E0_NS1_11comp_targetILNS1_3genE4ELNS1_11target_archE910ELNS1_3gpuE8ELNS1_3repE0EEENS1_30default_config_static_selectorELNS0_4arch9wavefront6targetE1EEEvT1_.kd
    .uniform_work_group_size: 1
    .uses_dynamic_stack: false
    .vgpr_count:     41
    .vgpr_spill_count: 0
    .wavefront_size: 64
  - .agpr_count:     0
    .args:
      - .offset:         0
        .size:           40
        .value_kind:     by_value
    .group_segment_fixed_size: 0
    .kernarg_segment_align: 8
    .kernarg_segment_size: 40
    .language:       OpenCL C
    .language_version:
      - 2
      - 0
    .max_flat_workgroup_size: 256
    .name:           _ZN7rocprim17ROCPRIM_400000_NS6detail17trampoline_kernelINS0_14default_configENS1_20scan_config_selectorIyEEZZNS1_9scan_implILNS1_25lookback_scan_determinismE0ELb0ELb0ES3_N6thrust23THRUST_200600_302600_NS6detail15normal_iteratorINS9_10device_ptrIyEEEESE_yNS9_4plusIvEEyEEDaPvRmT3_T4_T5_mT6_P12ihipStream_tbENKUlT_T0_E_clISt17integral_constantIbLb0EEST_IbLb1EEEEDaSP_SQ_EUlSP_E0_NS1_11comp_targetILNS1_3genE3ELNS1_11target_archE908ELNS1_3gpuE7ELNS1_3repE0EEENS1_30default_config_static_selectorELNS0_4arch9wavefront6targetE1EEEvT1_
    .private_segment_fixed_size: 0
    .sgpr_count:     4
    .sgpr_spill_count: 0
    .symbol:         _ZN7rocprim17ROCPRIM_400000_NS6detail17trampoline_kernelINS0_14default_configENS1_20scan_config_selectorIyEEZZNS1_9scan_implILNS1_25lookback_scan_determinismE0ELb0ELb0ES3_N6thrust23THRUST_200600_302600_NS6detail15normal_iteratorINS9_10device_ptrIyEEEESE_yNS9_4plusIvEEyEEDaPvRmT3_T4_T5_mT6_P12ihipStream_tbENKUlT_T0_E_clISt17integral_constantIbLb0EEST_IbLb1EEEEDaSP_SQ_EUlSP_E0_NS1_11comp_targetILNS1_3genE3ELNS1_11target_archE908ELNS1_3gpuE7ELNS1_3repE0EEENS1_30default_config_static_selectorELNS0_4arch9wavefront6targetE1EEEvT1_.kd
    .uniform_work_group_size: 1
    .uses_dynamic_stack: false
    .vgpr_count:     0
    .vgpr_spill_count: 0
    .wavefront_size: 64
  - .agpr_count:     0
    .args:
      - .offset:         0
        .size:           40
        .value_kind:     by_value
    .group_segment_fixed_size: 0
    .kernarg_segment_align: 8
    .kernarg_segment_size: 40
    .language:       OpenCL C
    .language_version:
      - 2
      - 0
    .max_flat_workgroup_size: 64
    .name:           _ZN7rocprim17ROCPRIM_400000_NS6detail17trampoline_kernelINS0_14default_configENS1_20scan_config_selectorIyEEZZNS1_9scan_implILNS1_25lookback_scan_determinismE0ELb0ELb0ES3_N6thrust23THRUST_200600_302600_NS6detail15normal_iteratorINS9_10device_ptrIyEEEESE_yNS9_4plusIvEEyEEDaPvRmT3_T4_T5_mT6_P12ihipStream_tbENKUlT_T0_E_clISt17integral_constantIbLb0EEST_IbLb1EEEEDaSP_SQ_EUlSP_E0_NS1_11comp_targetILNS1_3genE2ELNS1_11target_archE906ELNS1_3gpuE6ELNS1_3repE0EEENS1_30default_config_static_selectorELNS0_4arch9wavefront6targetE1EEEvT1_
    .private_segment_fixed_size: 0
    .sgpr_count:     4
    .sgpr_spill_count: 0
    .symbol:         _ZN7rocprim17ROCPRIM_400000_NS6detail17trampoline_kernelINS0_14default_configENS1_20scan_config_selectorIyEEZZNS1_9scan_implILNS1_25lookback_scan_determinismE0ELb0ELb0ES3_N6thrust23THRUST_200600_302600_NS6detail15normal_iteratorINS9_10device_ptrIyEEEESE_yNS9_4plusIvEEyEEDaPvRmT3_T4_T5_mT6_P12ihipStream_tbENKUlT_T0_E_clISt17integral_constantIbLb0EEST_IbLb1EEEEDaSP_SQ_EUlSP_E0_NS1_11comp_targetILNS1_3genE2ELNS1_11target_archE906ELNS1_3gpuE6ELNS1_3repE0EEENS1_30default_config_static_selectorELNS0_4arch9wavefront6targetE1EEEvT1_.kd
    .uniform_work_group_size: 1
    .uses_dynamic_stack: false
    .vgpr_count:     0
    .vgpr_spill_count: 0
    .wavefront_size: 64
  - .agpr_count:     0
    .args:
      - .offset:         0
        .size:           40
        .value_kind:     by_value
    .group_segment_fixed_size: 0
    .kernarg_segment_align: 8
    .kernarg_segment_size: 40
    .language:       OpenCL C
    .language_version:
      - 2
      - 0
    .max_flat_workgroup_size: 256
    .name:           _ZN7rocprim17ROCPRIM_400000_NS6detail17trampoline_kernelINS0_14default_configENS1_20scan_config_selectorIyEEZZNS1_9scan_implILNS1_25lookback_scan_determinismE0ELb0ELb0ES3_N6thrust23THRUST_200600_302600_NS6detail15normal_iteratorINS9_10device_ptrIyEEEESE_yNS9_4plusIvEEyEEDaPvRmT3_T4_T5_mT6_P12ihipStream_tbENKUlT_T0_E_clISt17integral_constantIbLb0EEST_IbLb1EEEEDaSP_SQ_EUlSP_E0_NS1_11comp_targetILNS1_3genE10ELNS1_11target_archE1201ELNS1_3gpuE5ELNS1_3repE0EEENS1_30default_config_static_selectorELNS0_4arch9wavefront6targetE1EEEvT1_
    .private_segment_fixed_size: 0
    .sgpr_count:     4
    .sgpr_spill_count: 0
    .symbol:         _ZN7rocprim17ROCPRIM_400000_NS6detail17trampoline_kernelINS0_14default_configENS1_20scan_config_selectorIyEEZZNS1_9scan_implILNS1_25lookback_scan_determinismE0ELb0ELb0ES3_N6thrust23THRUST_200600_302600_NS6detail15normal_iteratorINS9_10device_ptrIyEEEESE_yNS9_4plusIvEEyEEDaPvRmT3_T4_T5_mT6_P12ihipStream_tbENKUlT_T0_E_clISt17integral_constantIbLb0EEST_IbLb1EEEEDaSP_SQ_EUlSP_E0_NS1_11comp_targetILNS1_3genE10ELNS1_11target_archE1201ELNS1_3gpuE5ELNS1_3repE0EEENS1_30default_config_static_selectorELNS0_4arch9wavefront6targetE1EEEvT1_.kd
    .uniform_work_group_size: 1
    .uses_dynamic_stack: false
    .vgpr_count:     0
    .vgpr_spill_count: 0
    .wavefront_size: 64
  - .agpr_count:     0
    .args:
      - .offset:         0
        .size:           40
        .value_kind:     by_value
    .group_segment_fixed_size: 0
    .kernarg_segment_align: 8
    .kernarg_segment_size: 40
    .language:       OpenCL C
    .language_version:
      - 2
      - 0
    .max_flat_workgroup_size: 256
    .name:           _ZN7rocprim17ROCPRIM_400000_NS6detail17trampoline_kernelINS0_14default_configENS1_20scan_config_selectorIyEEZZNS1_9scan_implILNS1_25lookback_scan_determinismE0ELb0ELb0ES3_N6thrust23THRUST_200600_302600_NS6detail15normal_iteratorINS9_10device_ptrIyEEEESE_yNS9_4plusIvEEyEEDaPvRmT3_T4_T5_mT6_P12ihipStream_tbENKUlT_T0_E_clISt17integral_constantIbLb0EEST_IbLb1EEEEDaSP_SQ_EUlSP_E0_NS1_11comp_targetILNS1_3genE10ELNS1_11target_archE1200ELNS1_3gpuE4ELNS1_3repE0EEENS1_30default_config_static_selectorELNS0_4arch9wavefront6targetE1EEEvT1_
    .private_segment_fixed_size: 0
    .sgpr_count:     4
    .sgpr_spill_count: 0
    .symbol:         _ZN7rocprim17ROCPRIM_400000_NS6detail17trampoline_kernelINS0_14default_configENS1_20scan_config_selectorIyEEZZNS1_9scan_implILNS1_25lookback_scan_determinismE0ELb0ELb0ES3_N6thrust23THRUST_200600_302600_NS6detail15normal_iteratorINS9_10device_ptrIyEEEESE_yNS9_4plusIvEEyEEDaPvRmT3_T4_T5_mT6_P12ihipStream_tbENKUlT_T0_E_clISt17integral_constantIbLb0EEST_IbLb1EEEEDaSP_SQ_EUlSP_E0_NS1_11comp_targetILNS1_3genE10ELNS1_11target_archE1200ELNS1_3gpuE4ELNS1_3repE0EEENS1_30default_config_static_selectorELNS0_4arch9wavefront6targetE1EEEvT1_.kd
    .uniform_work_group_size: 1
    .uses_dynamic_stack: false
    .vgpr_count:     0
    .vgpr_spill_count: 0
    .wavefront_size: 64
  - .agpr_count:     0
    .args:
      - .offset:         0
        .size:           40
        .value_kind:     by_value
    .group_segment_fixed_size: 0
    .kernarg_segment_align: 8
    .kernarg_segment_size: 40
    .language:       OpenCL C
    .language_version:
      - 2
      - 0
    .max_flat_workgroup_size: 256
    .name:           _ZN7rocprim17ROCPRIM_400000_NS6detail17trampoline_kernelINS0_14default_configENS1_20scan_config_selectorIyEEZZNS1_9scan_implILNS1_25lookback_scan_determinismE0ELb0ELb0ES3_N6thrust23THRUST_200600_302600_NS6detail15normal_iteratorINS9_10device_ptrIyEEEESE_yNS9_4plusIvEEyEEDaPvRmT3_T4_T5_mT6_P12ihipStream_tbENKUlT_T0_E_clISt17integral_constantIbLb0EEST_IbLb1EEEEDaSP_SQ_EUlSP_E0_NS1_11comp_targetILNS1_3genE9ELNS1_11target_archE1100ELNS1_3gpuE3ELNS1_3repE0EEENS1_30default_config_static_selectorELNS0_4arch9wavefront6targetE1EEEvT1_
    .private_segment_fixed_size: 0
    .sgpr_count:     4
    .sgpr_spill_count: 0
    .symbol:         _ZN7rocprim17ROCPRIM_400000_NS6detail17trampoline_kernelINS0_14default_configENS1_20scan_config_selectorIyEEZZNS1_9scan_implILNS1_25lookback_scan_determinismE0ELb0ELb0ES3_N6thrust23THRUST_200600_302600_NS6detail15normal_iteratorINS9_10device_ptrIyEEEESE_yNS9_4plusIvEEyEEDaPvRmT3_T4_T5_mT6_P12ihipStream_tbENKUlT_T0_E_clISt17integral_constantIbLb0EEST_IbLb1EEEEDaSP_SQ_EUlSP_E0_NS1_11comp_targetILNS1_3genE9ELNS1_11target_archE1100ELNS1_3gpuE3ELNS1_3repE0EEENS1_30default_config_static_selectorELNS0_4arch9wavefront6targetE1EEEvT1_.kd
    .uniform_work_group_size: 1
    .uses_dynamic_stack: false
    .vgpr_count:     0
    .vgpr_spill_count: 0
    .wavefront_size: 64
  - .agpr_count:     0
    .args:
      - .offset:         0
        .size:           40
        .value_kind:     by_value
    .group_segment_fixed_size: 0
    .kernarg_segment_align: 8
    .kernarg_segment_size: 40
    .language:       OpenCL C
    .language_version:
      - 2
      - 0
    .max_flat_workgroup_size: 256
    .name:           _ZN7rocprim17ROCPRIM_400000_NS6detail17trampoline_kernelINS0_14default_configENS1_20scan_config_selectorIyEEZZNS1_9scan_implILNS1_25lookback_scan_determinismE0ELb0ELb0ES3_N6thrust23THRUST_200600_302600_NS6detail15normal_iteratorINS9_10device_ptrIyEEEESE_yNS9_4plusIvEEyEEDaPvRmT3_T4_T5_mT6_P12ihipStream_tbENKUlT_T0_E_clISt17integral_constantIbLb0EEST_IbLb1EEEEDaSP_SQ_EUlSP_E0_NS1_11comp_targetILNS1_3genE8ELNS1_11target_archE1030ELNS1_3gpuE2ELNS1_3repE0EEENS1_30default_config_static_selectorELNS0_4arch9wavefront6targetE1EEEvT1_
    .private_segment_fixed_size: 0
    .sgpr_count:     4
    .sgpr_spill_count: 0
    .symbol:         _ZN7rocprim17ROCPRIM_400000_NS6detail17trampoline_kernelINS0_14default_configENS1_20scan_config_selectorIyEEZZNS1_9scan_implILNS1_25lookback_scan_determinismE0ELb0ELb0ES3_N6thrust23THRUST_200600_302600_NS6detail15normal_iteratorINS9_10device_ptrIyEEEESE_yNS9_4plusIvEEyEEDaPvRmT3_T4_T5_mT6_P12ihipStream_tbENKUlT_T0_E_clISt17integral_constantIbLb0EEST_IbLb1EEEEDaSP_SQ_EUlSP_E0_NS1_11comp_targetILNS1_3genE8ELNS1_11target_archE1030ELNS1_3gpuE2ELNS1_3repE0EEENS1_30default_config_static_selectorELNS0_4arch9wavefront6targetE1EEEvT1_.kd
    .uniform_work_group_size: 1
    .uses_dynamic_stack: false
    .vgpr_count:     0
    .vgpr_spill_count: 0
    .wavefront_size: 64
  - .agpr_count:     0
    .args:
      - .offset:         0
        .size:           104
        .value_kind:     by_value
    .group_segment_fixed_size: 0
    .kernarg_segment_align: 8
    .kernarg_segment_size: 104
    .language:       OpenCL C
    .language_version:
      - 2
      - 0
    .max_flat_workgroup_size: 256
    .name:           _ZN7rocprim17ROCPRIM_400000_NS6detail17trampoline_kernelINS0_14default_configENS1_20scan_config_selectorIyEEZZNS1_9scan_implILNS1_25lookback_scan_determinismE0ELb1ELb1ES3_N6thrust23THRUST_200600_302600_NS6detail15normal_iteratorINS9_10device_ptrIyEEEESE_yNS9_4plusIvEEyEEDaPvRmT3_T4_T5_mT6_P12ihipStream_tbENKUlT_T0_E_clISt17integral_constantIbLb0EESU_EEDaSP_SQ_EUlSP_E_NS1_11comp_targetILNS1_3genE0ELNS1_11target_archE4294967295ELNS1_3gpuE0ELNS1_3repE0EEENS1_30default_config_static_selectorELNS0_4arch9wavefront6targetE1EEEvT1_
    .private_segment_fixed_size: 0
    .sgpr_count:     4
    .sgpr_spill_count: 0
    .symbol:         _ZN7rocprim17ROCPRIM_400000_NS6detail17trampoline_kernelINS0_14default_configENS1_20scan_config_selectorIyEEZZNS1_9scan_implILNS1_25lookback_scan_determinismE0ELb1ELb1ES3_N6thrust23THRUST_200600_302600_NS6detail15normal_iteratorINS9_10device_ptrIyEEEESE_yNS9_4plusIvEEyEEDaPvRmT3_T4_T5_mT6_P12ihipStream_tbENKUlT_T0_E_clISt17integral_constantIbLb0EESU_EEDaSP_SQ_EUlSP_E_NS1_11comp_targetILNS1_3genE0ELNS1_11target_archE4294967295ELNS1_3gpuE0ELNS1_3repE0EEENS1_30default_config_static_selectorELNS0_4arch9wavefront6targetE1EEEvT1_.kd
    .uniform_work_group_size: 1
    .uses_dynamic_stack: false
    .vgpr_count:     0
    .vgpr_spill_count: 0
    .wavefront_size: 64
  - .agpr_count:     0
    .args:
      - .offset:         0
        .size:           104
        .value_kind:     by_value
    .group_segment_fixed_size: 0
    .kernarg_segment_align: 8
    .kernarg_segment_size: 104
    .language:       OpenCL C
    .language_version:
      - 2
      - 0
    .max_flat_workgroup_size: 256
    .name:           _ZN7rocprim17ROCPRIM_400000_NS6detail17trampoline_kernelINS0_14default_configENS1_20scan_config_selectorIyEEZZNS1_9scan_implILNS1_25lookback_scan_determinismE0ELb1ELb1ES3_N6thrust23THRUST_200600_302600_NS6detail15normal_iteratorINS9_10device_ptrIyEEEESE_yNS9_4plusIvEEyEEDaPvRmT3_T4_T5_mT6_P12ihipStream_tbENKUlT_T0_E_clISt17integral_constantIbLb0EESU_EEDaSP_SQ_EUlSP_E_NS1_11comp_targetILNS1_3genE5ELNS1_11target_archE942ELNS1_3gpuE9ELNS1_3repE0EEENS1_30default_config_static_selectorELNS0_4arch9wavefront6targetE1EEEvT1_
    .private_segment_fixed_size: 0
    .sgpr_count:     4
    .sgpr_spill_count: 0
    .symbol:         _ZN7rocprim17ROCPRIM_400000_NS6detail17trampoline_kernelINS0_14default_configENS1_20scan_config_selectorIyEEZZNS1_9scan_implILNS1_25lookback_scan_determinismE0ELb1ELb1ES3_N6thrust23THRUST_200600_302600_NS6detail15normal_iteratorINS9_10device_ptrIyEEEESE_yNS9_4plusIvEEyEEDaPvRmT3_T4_T5_mT6_P12ihipStream_tbENKUlT_T0_E_clISt17integral_constantIbLb0EESU_EEDaSP_SQ_EUlSP_E_NS1_11comp_targetILNS1_3genE5ELNS1_11target_archE942ELNS1_3gpuE9ELNS1_3repE0EEENS1_30default_config_static_selectorELNS0_4arch9wavefront6targetE1EEEvT1_.kd
    .uniform_work_group_size: 1
    .uses_dynamic_stack: false
    .vgpr_count:     0
    .vgpr_spill_count: 0
    .wavefront_size: 64
  - .agpr_count:     0
    .args:
      - .offset:         0
        .size:           104
        .value_kind:     by_value
    .group_segment_fixed_size: 7168
    .kernarg_segment_align: 8
    .kernarg_segment_size: 104
    .language:       OpenCL C
    .language_version:
      - 2
      - 0
    .max_flat_workgroup_size: 128
    .name:           _ZN7rocprim17ROCPRIM_400000_NS6detail17trampoline_kernelINS0_14default_configENS1_20scan_config_selectorIyEEZZNS1_9scan_implILNS1_25lookback_scan_determinismE0ELb1ELb1ES3_N6thrust23THRUST_200600_302600_NS6detail15normal_iteratorINS9_10device_ptrIyEEEESE_yNS9_4plusIvEEyEEDaPvRmT3_T4_T5_mT6_P12ihipStream_tbENKUlT_T0_E_clISt17integral_constantIbLb0EESU_EEDaSP_SQ_EUlSP_E_NS1_11comp_targetILNS1_3genE4ELNS1_11target_archE910ELNS1_3gpuE8ELNS1_3repE0EEENS1_30default_config_static_selectorELNS0_4arch9wavefront6targetE1EEEvT1_
    .private_segment_fixed_size: 0
    .sgpr_count:     36
    .sgpr_spill_count: 0
    .symbol:         _ZN7rocprim17ROCPRIM_400000_NS6detail17trampoline_kernelINS0_14default_configENS1_20scan_config_selectorIyEEZZNS1_9scan_implILNS1_25lookback_scan_determinismE0ELb1ELb1ES3_N6thrust23THRUST_200600_302600_NS6detail15normal_iteratorINS9_10device_ptrIyEEEESE_yNS9_4plusIvEEyEEDaPvRmT3_T4_T5_mT6_P12ihipStream_tbENKUlT_T0_E_clISt17integral_constantIbLb0EESU_EEDaSP_SQ_EUlSP_E_NS1_11comp_targetILNS1_3genE4ELNS1_11target_archE910ELNS1_3gpuE8ELNS1_3repE0EEENS1_30default_config_static_selectorELNS0_4arch9wavefront6targetE1EEEvT1_.kd
    .uniform_work_group_size: 1
    .uses_dynamic_stack: false
    .vgpr_count:     51
    .vgpr_spill_count: 0
    .wavefront_size: 64
  - .agpr_count:     0
    .args:
      - .offset:         0
        .size:           104
        .value_kind:     by_value
    .group_segment_fixed_size: 0
    .kernarg_segment_align: 8
    .kernarg_segment_size: 104
    .language:       OpenCL C
    .language_version:
      - 2
      - 0
    .max_flat_workgroup_size: 256
    .name:           _ZN7rocprim17ROCPRIM_400000_NS6detail17trampoline_kernelINS0_14default_configENS1_20scan_config_selectorIyEEZZNS1_9scan_implILNS1_25lookback_scan_determinismE0ELb1ELb1ES3_N6thrust23THRUST_200600_302600_NS6detail15normal_iteratorINS9_10device_ptrIyEEEESE_yNS9_4plusIvEEyEEDaPvRmT3_T4_T5_mT6_P12ihipStream_tbENKUlT_T0_E_clISt17integral_constantIbLb0EESU_EEDaSP_SQ_EUlSP_E_NS1_11comp_targetILNS1_3genE3ELNS1_11target_archE908ELNS1_3gpuE7ELNS1_3repE0EEENS1_30default_config_static_selectorELNS0_4arch9wavefront6targetE1EEEvT1_
    .private_segment_fixed_size: 0
    .sgpr_count:     4
    .sgpr_spill_count: 0
    .symbol:         _ZN7rocprim17ROCPRIM_400000_NS6detail17trampoline_kernelINS0_14default_configENS1_20scan_config_selectorIyEEZZNS1_9scan_implILNS1_25lookback_scan_determinismE0ELb1ELb1ES3_N6thrust23THRUST_200600_302600_NS6detail15normal_iteratorINS9_10device_ptrIyEEEESE_yNS9_4plusIvEEyEEDaPvRmT3_T4_T5_mT6_P12ihipStream_tbENKUlT_T0_E_clISt17integral_constantIbLb0EESU_EEDaSP_SQ_EUlSP_E_NS1_11comp_targetILNS1_3genE3ELNS1_11target_archE908ELNS1_3gpuE7ELNS1_3repE0EEENS1_30default_config_static_selectorELNS0_4arch9wavefront6targetE1EEEvT1_.kd
    .uniform_work_group_size: 1
    .uses_dynamic_stack: false
    .vgpr_count:     0
    .vgpr_spill_count: 0
    .wavefront_size: 64
  - .agpr_count:     0
    .args:
      - .offset:         0
        .size:           104
        .value_kind:     by_value
    .group_segment_fixed_size: 0
    .kernarg_segment_align: 8
    .kernarg_segment_size: 104
    .language:       OpenCL C
    .language_version:
      - 2
      - 0
    .max_flat_workgroup_size: 64
    .name:           _ZN7rocprim17ROCPRIM_400000_NS6detail17trampoline_kernelINS0_14default_configENS1_20scan_config_selectorIyEEZZNS1_9scan_implILNS1_25lookback_scan_determinismE0ELb1ELb1ES3_N6thrust23THRUST_200600_302600_NS6detail15normal_iteratorINS9_10device_ptrIyEEEESE_yNS9_4plusIvEEyEEDaPvRmT3_T4_T5_mT6_P12ihipStream_tbENKUlT_T0_E_clISt17integral_constantIbLb0EESU_EEDaSP_SQ_EUlSP_E_NS1_11comp_targetILNS1_3genE2ELNS1_11target_archE906ELNS1_3gpuE6ELNS1_3repE0EEENS1_30default_config_static_selectorELNS0_4arch9wavefront6targetE1EEEvT1_
    .private_segment_fixed_size: 0
    .sgpr_count:     4
    .sgpr_spill_count: 0
    .symbol:         _ZN7rocprim17ROCPRIM_400000_NS6detail17trampoline_kernelINS0_14default_configENS1_20scan_config_selectorIyEEZZNS1_9scan_implILNS1_25lookback_scan_determinismE0ELb1ELb1ES3_N6thrust23THRUST_200600_302600_NS6detail15normal_iteratorINS9_10device_ptrIyEEEESE_yNS9_4plusIvEEyEEDaPvRmT3_T4_T5_mT6_P12ihipStream_tbENKUlT_T0_E_clISt17integral_constantIbLb0EESU_EEDaSP_SQ_EUlSP_E_NS1_11comp_targetILNS1_3genE2ELNS1_11target_archE906ELNS1_3gpuE6ELNS1_3repE0EEENS1_30default_config_static_selectorELNS0_4arch9wavefront6targetE1EEEvT1_.kd
    .uniform_work_group_size: 1
    .uses_dynamic_stack: false
    .vgpr_count:     0
    .vgpr_spill_count: 0
    .wavefront_size: 64
  - .agpr_count:     0
    .args:
      - .offset:         0
        .size:           104
        .value_kind:     by_value
    .group_segment_fixed_size: 0
    .kernarg_segment_align: 8
    .kernarg_segment_size: 104
    .language:       OpenCL C
    .language_version:
      - 2
      - 0
    .max_flat_workgroup_size: 256
    .name:           _ZN7rocprim17ROCPRIM_400000_NS6detail17trampoline_kernelINS0_14default_configENS1_20scan_config_selectorIyEEZZNS1_9scan_implILNS1_25lookback_scan_determinismE0ELb1ELb1ES3_N6thrust23THRUST_200600_302600_NS6detail15normal_iteratorINS9_10device_ptrIyEEEESE_yNS9_4plusIvEEyEEDaPvRmT3_T4_T5_mT6_P12ihipStream_tbENKUlT_T0_E_clISt17integral_constantIbLb0EESU_EEDaSP_SQ_EUlSP_E_NS1_11comp_targetILNS1_3genE10ELNS1_11target_archE1201ELNS1_3gpuE5ELNS1_3repE0EEENS1_30default_config_static_selectorELNS0_4arch9wavefront6targetE1EEEvT1_
    .private_segment_fixed_size: 0
    .sgpr_count:     4
    .sgpr_spill_count: 0
    .symbol:         _ZN7rocprim17ROCPRIM_400000_NS6detail17trampoline_kernelINS0_14default_configENS1_20scan_config_selectorIyEEZZNS1_9scan_implILNS1_25lookback_scan_determinismE0ELb1ELb1ES3_N6thrust23THRUST_200600_302600_NS6detail15normal_iteratorINS9_10device_ptrIyEEEESE_yNS9_4plusIvEEyEEDaPvRmT3_T4_T5_mT6_P12ihipStream_tbENKUlT_T0_E_clISt17integral_constantIbLb0EESU_EEDaSP_SQ_EUlSP_E_NS1_11comp_targetILNS1_3genE10ELNS1_11target_archE1201ELNS1_3gpuE5ELNS1_3repE0EEENS1_30default_config_static_selectorELNS0_4arch9wavefront6targetE1EEEvT1_.kd
    .uniform_work_group_size: 1
    .uses_dynamic_stack: false
    .vgpr_count:     0
    .vgpr_spill_count: 0
    .wavefront_size: 64
  - .agpr_count:     0
    .args:
      - .offset:         0
        .size:           104
        .value_kind:     by_value
    .group_segment_fixed_size: 0
    .kernarg_segment_align: 8
    .kernarg_segment_size: 104
    .language:       OpenCL C
    .language_version:
      - 2
      - 0
    .max_flat_workgroup_size: 256
    .name:           _ZN7rocprim17ROCPRIM_400000_NS6detail17trampoline_kernelINS0_14default_configENS1_20scan_config_selectorIyEEZZNS1_9scan_implILNS1_25lookback_scan_determinismE0ELb1ELb1ES3_N6thrust23THRUST_200600_302600_NS6detail15normal_iteratorINS9_10device_ptrIyEEEESE_yNS9_4plusIvEEyEEDaPvRmT3_T4_T5_mT6_P12ihipStream_tbENKUlT_T0_E_clISt17integral_constantIbLb0EESU_EEDaSP_SQ_EUlSP_E_NS1_11comp_targetILNS1_3genE10ELNS1_11target_archE1200ELNS1_3gpuE4ELNS1_3repE0EEENS1_30default_config_static_selectorELNS0_4arch9wavefront6targetE1EEEvT1_
    .private_segment_fixed_size: 0
    .sgpr_count:     4
    .sgpr_spill_count: 0
    .symbol:         _ZN7rocprim17ROCPRIM_400000_NS6detail17trampoline_kernelINS0_14default_configENS1_20scan_config_selectorIyEEZZNS1_9scan_implILNS1_25lookback_scan_determinismE0ELb1ELb1ES3_N6thrust23THRUST_200600_302600_NS6detail15normal_iteratorINS9_10device_ptrIyEEEESE_yNS9_4plusIvEEyEEDaPvRmT3_T4_T5_mT6_P12ihipStream_tbENKUlT_T0_E_clISt17integral_constantIbLb0EESU_EEDaSP_SQ_EUlSP_E_NS1_11comp_targetILNS1_3genE10ELNS1_11target_archE1200ELNS1_3gpuE4ELNS1_3repE0EEENS1_30default_config_static_selectorELNS0_4arch9wavefront6targetE1EEEvT1_.kd
    .uniform_work_group_size: 1
    .uses_dynamic_stack: false
    .vgpr_count:     0
    .vgpr_spill_count: 0
    .wavefront_size: 64
  - .agpr_count:     0
    .args:
      - .offset:         0
        .size:           104
        .value_kind:     by_value
    .group_segment_fixed_size: 0
    .kernarg_segment_align: 8
    .kernarg_segment_size: 104
    .language:       OpenCL C
    .language_version:
      - 2
      - 0
    .max_flat_workgroup_size: 256
    .name:           _ZN7rocprim17ROCPRIM_400000_NS6detail17trampoline_kernelINS0_14default_configENS1_20scan_config_selectorIyEEZZNS1_9scan_implILNS1_25lookback_scan_determinismE0ELb1ELb1ES3_N6thrust23THRUST_200600_302600_NS6detail15normal_iteratorINS9_10device_ptrIyEEEESE_yNS9_4plusIvEEyEEDaPvRmT3_T4_T5_mT6_P12ihipStream_tbENKUlT_T0_E_clISt17integral_constantIbLb0EESU_EEDaSP_SQ_EUlSP_E_NS1_11comp_targetILNS1_3genE9ELNS1_11target_archE1100ELNS1_3gpuE3ELNS1_3repE0EEENS1_30default_config_static_selectorELNS0_4arch9wavefront6targetE1EEEvT1_
    .private_segment_fixed_size: 0
    .sgpr_count:     4
    .sgpr_spill_count: 0
    .symbol:         _ZN7rocprim17ROCPRIM_400000_NS6detail17trampoline_kernelINS0_14default_configENS1_20scan_config_selectorIyEEZZNS1_9scan_implILNS1_25lookback_scan_determinismE0ELb1ELb1ES3_N6thrust23THRUST_200600_302600_NS6detail15normal_iteratorINS9_10device_ptrIyEEEESE_yNS9_4plusIvEEyEEDaPvRmT3_T4_T5_mT6_P12ihipStream_tbENKUlT_T0_E_clISt17integral_constantIbLb0EESU_EEDaSP_SQ_EUlSP_E_NS1_11comp_targetILNS1_3genE9ELNS1_11target_archE1100ELNS1_3gpuE3ELNS1_3repE0EEENS1_30default_config_static_selectorELNS0_4arch9wavefront6targetE1EEEvT1_.kd
    .uniform_work_group_size: 1
    .uses_dynamic_stack: false
    .vgpr_count:     0
    .vgpr_spill_count: 0
    .wavefront_size: 64
  - .agpr_count:     0
    .args:
      - .offset:         0
        .size:           104
        .value_kind:     by_value
    .group_segment_fixed_size: 0
    .kernarg_segment_align: 8
    .kernarg_segment_size: 104
    .language:       OpenCL C
    .language_version:
      - 2
      - 0
    .max_flat_workgroup_size: 256
    .name:           _ZN7rocprim17ROCPRIM_400000_NS6detail17trampoline_kernelINS0_14default_configENS1_20scan_config_selectorIyEEZZNS1_9scan_implILNS1_25lookback_scan_determinismE0ELb1ELb1ES3_N6thrust23THRUST_200600_302600_NS6detail15normal_iteratorINS9_10device_ptrIyEEEESE_yNS9_4plusIvEEyEEDaPvRmT3_T4_T5_mT6_P12ihipStream_tbENKUlT_T0_E_clISt17integral_constantIbLb0EESU_EEDaSP_SQ_EUlSP_E_NS1_11comp_targetILNS1_3genE8ELNS1_11target_archE1030ELNS1_3gpuE2ELNS1_3repE0EEENS1_30default_config_static_selectorELNS0_4arch9wavefront6targetE1EEEvT1_
    .private_segment_fixed_size: 0
    .sgpr_count:     4
    .sgpr_spill_count: 0
    .symbol:         _ZN7rocprim17ROCPRIM_400000_NS6detail17trampoline_kernelINS0_14default_configENS1_20scan_config_selectorIyEEZZNS1_9scan_implILNS1_25lookback_scan_determinismE0ELb1ELb1ES3_N6thrust23THRUST_200600_302600_NS6detail15normal_iteratorINS9_10device_ptrIyEEEESE_yNS9_4plusIvEEyEEDaPvRmT3_T4_T5_mT6_P12ihipStream_tbENKUlT_T0_E_clISt17integral_constantIbLb0EESU_EEDaSP_SQ_EUlSP_E_NS1_11comp_targetILNS1_3genE8ELNS1_11target_archE1030ELNS1_3gpuE2ELNS1_3repE0EEENS1_30default_config_static_selectorELNS0_4arch9wavefront6targetE1EEEvT1_.kd
    .uniform_work_group_size: 1
    .uses_dynamic_stack: false
    .vgpr_count:     0
    .vgpr_spill_count: 0
    .wavefront_size: 64
  - .agpr_count:     0
    .args:
      - .offset:         0
        .size:           40
        .value_kind:     by_value
    .group_segment_fixed_size: 0
    .kernarg_segment_align: 8
    .kernarg_segment_size: 40
    .language:       OpenCL C
    .language_version:
      - 2
      - 0
    .max_flat_workgroup_size: 256
    .name:           _ZN7rocprim17ROCPRIM_400000_NS6detail17trampoline_kernelINS0_14default_configENS1_20scan_config_selectorIyEEZZNS1_9scan_implILNS1_25lookback_scan_determinismE0ELb1ELb1ES3_N6thrust23THRUST_200600_302600_NS6detail15normal_iteratorINS9_10device_ptrIyEEEESE_yNS9_4plusIvEEyEEDaPvRmT3_T4_T5_mT6_P12ihipStream_tbENKUlT_T0_E_clISt17integral_constantIbLb0EESU_EEDaSP_SQ_EUlSP_E0_NS1_11comp_targetILNS1_3genE0ELNS1_11target_archE4294967295ELNS1_3gpuE0ELNS1_3repE0EEENS1_30default_config_static_selectorELNS0_4arch9wavefront6targetE1EEEvT1_
    .private_segment_fixed_size: 0
    .sgpr_count:     4
    .sgpr_spill_count: 0
    .symbol:         _ZN7rocprim17ROCPRIM_400000_NS6detail17trampoline_kernelINS0_14default_configENS1_20scan_config_selectorIyEEZZNS1_9scan_implILNS1_25lookback_scan_determinismE0ELb1ELb1ES3_N6thrust23THRUST_200600_302600_NS6detail15normal_iteratorINS9_10device_ptrIyEEEESE_yNS9_4plusIvEEyEEDaPvRmT3_T4_T5_mT6_P12ihipStream_tbENKUlT_T0_E_clISt17integral_constantIbLb0EESU_EEDaSP_SQ_EUlSP_E0_NS1_11comp_targetILNS1_3genE0ELNS1_11target_archE4294967295ELNS1_3gpuE0ELNS1_3repE0EEENS1_30default_config_static_selectorELNS0_4arch9wavefront6targetE1EEEvT1_.kd
    .uniform_work_group_size: 1
    .uses_dynamic_stack: false
    .vgpr_count:     0
    .vgpr_spill_count: 0
    .wavefront_size: 64
  - .agpr_count:     0
    .args:
      - .offset:         0
        .size:           40
        .value_kind:     by_value
    .group_segment_fixed_size: 0
    .kernarg_segment_align: 8
    .kernarg_segment_size: 40
    .language:       OpenCL C
    .language_version:
      - 2
      - 0
    .max_flat_workgroup_size: 256
    .name:           _ZN7rocprim17ROCPRIM_400000_NS6detail17trampoline_kernelINS0_14default_configENS1_20scan_config_selectorIyEEZZNS1_9scan_implILNS1_25lookback_scan_determinismE0ELb1ELb1ES3_N6thrust23THRUST_200600_302600_NS6detail15normal_iteratorINS9_10device_ptrIyEEEESE_yNS9_4plusIvEEyEEDaPvRmT3_T4_T5_mT6_P12ihipStream_tbENKUlT_T0_E_clISt17integral_constantIbLb0EESU_EEDaSP_SQ_EUlSP_E0_NS1_11comp_targetILNS1_3genE5ELNS1_11target_archE942ELNS1_3gpuE9ELNS1_3repE0EEENS1_30default_config_static_selectorELNS0_4arch9wavefront6targetE1EEEvT1_
    .private_segment_fixed_size: 0
    .sgpr_count:     4
    .sgpr_spill_count: 0
    .symbol:         _ZN7rocprim17ROCPRIM_400000_NS6detail17trampoline_kernelINS0_14default_configENS1_20scan_config_selectorIyEEZZNS1_9scan_implILNS1_25lookback_scan_determinismE0ELb1ELb1ES3_N6thrust23THRUST_200600_302600_NS6detail15normal_iteratorINS9_10device_ptrIyEEEESE_yNS9_4plusIvEEyEEDaPvRmT3_T4_T5_mT6_P12ihipStream_tbENKUlT_T0_E_clISt17integral_constantIbLb0EESU_EEDaSP_SQ_EUlSP_E0_NS1_11comp_targetILNS1_3genE5ELNS1_11target_archE942ELNS1_3gpuE9ELNS1_3repE0EEENS1_30default_config_static_selectorELNS0_4arch9wavefront6targetE1EEEvT1_.kd
    .uniform_work_group_size: 1
    .uses_dynamic_stack: false
    .vgpr_count:     0
    .vgpr_spill_count: 0
    .wavefront_size: 64
  - .agpr_count:     0
    .args:
      - .offset:         0
        .size:           40
        .value_kind:     by_value
    .group_segment_fixed_size: 7168
    .kernarg_segment_align: 8
    .kernarg_segment_size: 40
    .language:       OpenCL C
    .language_version:
      - 2
      - 0
    .max_flat_workgroup_size: 128
    .name:           _ZN7rocprim17ROCPRIM_400000_NS6detail17trampoline_kernelINS0_14default_configENS1_20scan_config_selectorIyEEZZNS1_9scan_implILNS1_25lookback_scan_determinismE0ELb1ELb1ES3_N6thrust23THRUST_200600_302600_NS6detail15normal_iteratorINS9_10device_ptrIyEEEESE_yNS9_4plusIvEEyEEDaPvRmT3_T4_T5_mT6_P12ihipStream_tbENKUlT_T0_E_clISt17integral_constantIbLb0EESU_EEDaSP_SQ_EUlSP_E0_NS1_11comp_targetILNS1_3genE4ELNS1_11target_archE910ELNS1_3gpuE8ELNS1_3repE0EEENS1_30default_config_static_selectorELNS0_4arch9wavefront6targetE1EEEvT1_
    .private_segment_fixed_size: 0
    .sgpr_count:     28
    .sgpr_spill_count: 0
    .symbol:         _ZN7rocprim17ROCPRIM_400000_NS6detail17trampoline_kernelINS0_14default_configENS1_20scan_config_selectorIyEEZZNS1_9scan_implILNS1_25lookback_scan_determinismE0ELb1ELb1ES3_N6thrust23THRUST_200600_302600_NS6detail15normal_iteratorINS9_10device_ptrIyEEEESE_yNS9_4plusIvEEyEEDaPvRmT3_T4_T5_mT6_P12ihipStream_tbENKUlT_T0_E_clISt17integral_constantIbLb0EESU_EEDaSP_SQ_EUlSP_E0_NS1_11comp_targetILNS1_3genE4ELNS1_11target_archE910ELNS1_3gpuE8ELNS1_3repE0EEENS1_30default_config_static_selectorELNS0_4arch9wavefront6targetE1EEEvT1_.kd
    .uniform_work_group_size: 1
    .uses_dynamic_stack: false
    .vgpr_count:     29
    .vgpr_spill_count: 0
    .wavefront_size: 64
  - .agpr_count:     0
    .args:
      - .offset:         0
        .size:           40
        .value_kind:     by_value
    .group_segment_fixed_size: 0
    .kernarg_segment_align: 8
    .kernarg_segment_size: 40
    .language:       OpenCL C
    .language_version:
      - 2
      - 0
    .max_flat_workgroup_size: 256
    .name:           _ZN7rocprim17ROCPRIM_400000_NS6detail17trampoline_kernelINS0_14default_configENS1_20scan_config_selectorIyEEZZNS1_9scan_implILNS1_25lookback_scan_determinismE0ELb1ELb1ES3_N6thrust23THRUST_200600_302600_NS6detail15normal_iteratorINS9_10device_ptrIyEEEESE_yNS9_4plusIvEEyEEDaPvRmT3_T4_T5_mT6_P12ihipStream_tbENKUlT_T0_E_clISt17integral_constantIbLb0EESU_EEDaSP_SQ_EUlSP_E0_NS1_11comp_targetILNS1_3genE3ELNS1_11target_archE908ELNS1_3gpuE7ELNS1_3repE0EEENS1_30default_config_static_selectorELNS0_4arch9wavefront6targetE1EEEvT1_
    .private_segment_fixed_size: 0
    .sgpr_count:     4
    .sgpr_spill_count: 0
    .symbol:         _ZN7rocprim17ROCPRIM_400000_NS6detail17trampoline_kernelINS0_14default_configENS1_20scan_config_selectorIyEEZZNS1_9scan_implILNS1_25lookback_scan_determinismE0ELb1ELb1ES3_N6thrust23THRUST_200600_302600_NS6detail15normal_iteratorINS9_10device_ptrIyEEEESE_yNS9_4plusIvEEyEEDaPvRmT3_T4_T5_mT6_P12ihipStream_tbENKUlT_T0_E_clISt17integral_constantIbLb0EESU_EEDaSP_SQ_EUlSP_E0_NS1_11comp_targetILNS1_3genE3ELNS1_11target_archE908ELNS1_3gpuE7ELNS1_3repE0EEENS1_30default_config_static_selectorELNS0_4arch9wavefront6targetE1EEEvT1_.kd
    .uniform_work_group_size: 1
    .uses_dynamic_stack: false
    .vgpr_count:     0
    .vgpr_spill_count: 0
    .wavefront_size: 64
  - .agpr_count:     0
    .args:
      - .offset:         0
        .size:           40
        .value_kind:     by_value
    .group_segment_fixed_size: 0
    .kernarg_segment_align: 8
    .kernarg_segment_size: 40
    .language:       OpenCL C
    .language_version:
      - 2
      - 0
    .max_flat_workgroup_size: 64
    .name:           _ZN7rocprim17ROCPRIM_400000_NS6detail17trampoline_kernelINS0_14default_configENS1_20scan_config_selectorIyEEZZNS1_9scan_implILNS1_25lookback_scan_determinismE0ELb1ELb1ES3_N6thrust23THRUST_200600_302600_NS6detail15normal_iteratorINS9_10device_ptrIyEEEESE_yNS9_4plusIvEEyEEDaPvRmT3_T4_T5_mT6_P12ihipStream_tbENKUlT_T0_E_clISt17integral_constantIbLb0EESU_EEDaSP_SQ_EUlSP_E0_NS1_11comp_targetILNS1_3genE2ELNS1_11target_archE906ELNS1_3gpuE6ELNS1_3repE0EEENS1_30default_config_static_selectorELNS0_4arch9wavefront6targetE1EEEvT1_
    .private_segment_fixed_size: 0
    .sgpr_count:     4
    .sgpr_spill_count: 0
    .symbol:         _ZN7rocprim17ROCPRIM_400000_NS6detail17trampoline_kernelINS0_14default_configENS1_20scan_config_selectorIyEEZZNS1_9scan_implILNS1_25lookback_scan_determinismE0ELb1ELb1ES3_N6thrust23THRUST_200600_302600_NS6detail15normal_iteratorINS9_10device_ptrIyEEEESE_yNS9_4plusIvEEyEEDaPvRmT3_T4_T5_mT6_P12ihipStream_tbENKUlT_T0_E_clISt17integral_constantIbLb0EESU_EEDaSP_SQ_EUlSP_E0_NS1_11comp_targetILNS1_3genE2ELNS1_11target_archE906ELNS1_3gpuE6ELNS1_3repE0EEENS1_30default_config_static_selectorELNS0_4arch9wavefront6targetE1EEEvT1_.kd
    .uniform_work_group_size: 1
    .uses_dynamic_stack: false
    .vgpr_count:     0
    .vgpr_spill_count: 0
    .wavefront_size: 64
  - .agpr_count:     0
    .args:
      - .offset:         0
        .size:           40
        .value_kind:     by_value
    .group_segment_fixed_size: 0
    .kernarg_segment_align: 8
    .kernarg_segment_size: 40
    .language:       OpenCL C
    .language_version:
      - 2
      - 0
    .max_flat_workgroup_size: 256
    .name:           _ZN7rocprim17ROCPRIM_400000_NS6detail17trampoline_kernelINS0_14default_configENS1_20scan_config_selectorIyEEZZNS1_9scan_implILNS1_25lookback_scan_determinismE0ELb1ELb1ES3_N6thrust23THRUST_200600_302600_NS6detail15normal_iteratorINS9_10device_ptrIyEEEESE_yNS9_4plusIvEEyEEDaPvRmT3_T4_T5_mT6_P12ihipStream_tbENKUlT_T0_E_clISt17integral_constantIbLb0EESU_EEDaSP_SQ_EUlSP_E0_NS1_11comp_targetILNS1_3genE10ELNS1_11target_archE1201ELNS1_3gpuE5ELNS1_3repE0EEENS1_30default_config_static_selectorELNS0_4arch9wavefront6targetE1EEEvT1_
    .private_segment_fixed_size: 0
    .sgpr_count:     4
    .sgpr_spill_count: 0
    .symbol:         _ZN7rocprim17ROCPRIM_400000_NS6detail17trampoline_kernelINS0_14default_configENS1_20scan_config_selectorIyEEZZNS1_9scan_implILNS1_25lookback_scan_determinismE0ELb1ELb1ES3_N6thrust23THRUST_200600_302600_NS6detail15normal_iteratorINS9_10device_ptrIyEEEESE_yNS9_4plusIvEEyEEDaPvRmT3_T4_T5_mT6_P12ihipStream_tbENKUlT_T0_E_clISt17integral_constantIbLb0EESU_EEDaSP_SQ_EUlSP_E0_NS1_11comp_targetILNS1_3genE10ELNS1_11target_archE1201ELNS1_3gpuE5ELNS1_3repE0EEENS1_30default_config_static_selectorELNS0_4arch9wavefront6targetE1EEEvT1_.kd
    .uniform_work_group_size: 1
    .uses_dynamic_stack: false
    .vgpr_count:     0
    .vgpr_spill_count: 0
    .wavefront_size: 64
  - .agpr_count:     0
    .args:
      - .offset:         0
        .size:           40
        .value_kind:     by_value
    .group_segment_fixed_size: 0
    .kernarg_segment_align: 8
    .kernarg_segment_size: 40
    .language:       OpenCL C
    .language_version:
      - 2
      - 0
    .max_flat_workgroup_size: 256
    .name:           _ZN7rocprim17ROCPRIM_400000_NS6detail17trampoline_kernelINS0_14default_configENS1_20scan_config_selectorIyEEZZNS1_9scan_implILNS1_25lookback_scan_determinismE0ELb1ELb1ES3_N6thrust23THRUST_200600_302600_NS6detail15normal_iteratorINS9_10device_ptrIyEEEESE_yNS9_4plusIvEEyEEDaPvRmT3_T4_T5_mT6_P12ihipStream_tbENKUlT_T0_E_clISt17integral_constantIbLb0EESU_EEDaSP_SQ_EUlSP_E0_NS1_11comp_targetILNS1_3genE10ELNS1_11target_archE1200ELNS1_3gpuE4ELNS1_3repE0EEENS1_30default_config_static_selectorELNS0_4arch9wavefront6targetE1EEEvT1_
    .private_segment_fixed_size: 0
    .sgpr_count:     4
    .sgpr_spill_count: 0
    .symbol:         _ZN7rocprim17ROCPRIM_400000_NS6detail17trampoline_kernelINS0_14default_configENS1_20scan_config_selectorIyEEZZNS1_9scan_implILNS1_25lookback_scan_determinismE0ELb1ELb1ES3_N6thrust23THRUST_200600_302600_NS6detail15normal_iteratorINS9_10device_ptrIyEEEESE_yNS9_4plusIvEEyEEDaPvRmT3_T4_T5_mT6_P12ihipStream_tbENKUlT_T0_E_clISt17integral_constantIbLb0EESU_EEDaSP_SQ_EUlSP_E0_NS1_11comp_targetILNS1_3genE10ELNS1_11target_archE1200ELNS1_3gpuE4ELNS1_3repE0EEENS1_30default_config_static_selectorELNS0_4arch9wavefront6targetE1EEEvT1_.kd
    .uniform_work_group_size: 1
    .uses_dynamic_stack: false
    .vgpr_count:     0
    .vgpr_spill_count: 0
    .wavefront_size: 64
  - .agpr_count:     0
    .args:
      - .offset:         0
        .size:           40
        .value_kind:     by_value
    .group_segment_fixed_size: 0
    .kernarg_segment_align: 8
    .kernarg_segment_size: 40
    .language:       OpenCL C
    .language_version:
      - 2
      - 0
    .max_flat_workgroup_size: 256
    .name:           _ZN7rocprim17ROCPRIM_400000_NS6detail17trampoline_kernelINS0_14default_configENS1_20scan_config_selectorIyEEZZNS1_9scan_implILNS1_25lookback_scan_determinismE0ELb1ELb1ES3_N6thrust23THRUST_200600_302600_NS6detail15normal_iteratorINS9_10device_ptrIyEEEESE_yNS9_4plusIvEEyEEDaPvRmT3_T4_T5_mT6_P12ihipStream_tbENKUlT_T0_E_clISt17integral_constantIbLb0EESU_EEDaSP_SQ_EUlSP_E0_NS1_11comp_targetILNS1_3genE9ELNS1_11target_archE1100ELNS1_3gpuE3ELNS1_3repE0EEENS1_30default_config_static_selectorELNS0_4arch9wavefront6targetE1EEEvT1_
    .private_segment_fixed_size: 0
    .sgpr_count:     4
    .sgpr_spill_count: 0
    .symbol:         _ZN7rocprim17ROCPRIM_400000_NS6detail17trampoline_kernelINS0_14default_configENS1_20scan_config_selectorIyEEZZNS1_9scan_implILNS1_25lookback_scan_determinismE0ELb1ELb1ES3_N6thrust23THRUST_200600_302600_NS6detail15normal_iteratorINS9_10device_ptrIyEEEESE_yNS9_4plusIvEEyEEDaPvRmT3_T4_T5_mT6_P12ihipStream_tbENKUlT_T0_E_clISt17integral_constantIbLb0EESU_EEDaSP_SQ_EUlSP_E0_NS1_11comp_targetILNS1_3genE9ELNS1_11target_archE1100ELNS1_3gpuE3ELNS1_3repE0EEENS1_30default_config_static_selectorELNS0_4arch9wavefront6targetE1EEEvT1_.kd
    .uniform_work_group_size: 1
    .uses_dynamic_stack: false
    .vgpr_count:     0
    .vgpr_spill_count: 0
    .wavefront_size: 64
  - .agpr_count:     0
    .args:
      - .offset:         0
        .size:           40
        .value_kind:     by_value
    .group_segment_fixed_size: 0
    .kernarg_segment_align: 8
    .kernarg_segment_size: 40
    .language:       OpenCL C
    .language_version:
      - 2
      - 0
    .max_flat_workgroup_size: 256
    .name:           _ZN7rocprim17ROCPRIM_400000_NS6detail17trampoline_kernelINS0_14default_configENS1_20scan_config_selectorIyEEZZNS1_9scan_implILNS1_25lookback_scan_determinismE0ELb1ELb1ES3_N6thrust23THRUST_200600_302600_NS6detail15normal_iteratorINS9_10device_ptrIyEEEESE_yNS9_4plusIvEEyEEDaPvRmT3_T4_T5_mT6_P12ihipStream_tbENKUlT_T0_E_clISt17integral_constantIbLb0EESU_EEDaSP_SQ_EUlSP_E0_NS1_11comp_targetILNS1_3genE8ELNS1_11target_archE1030ELNS1_3gpuE2ELNS1_3repE0EEENS1_30default_config_static_selectorELNS0_4arch9wavefront6targetE1EEEvT1_
    .private_segment_fixed_size: 0
    .sgpr_count:     4
    .sgpr_spill_count: 0
    .symbol:         _ZN7rocprim17ROCPRIM_400000_NS6detail17trampoline_kernelINS0_14default_configENS1_20scan_config_selectorIyEEZZNS1_9scan_implILNS1_25lookback_scan_determinismE0ELb1ELb1ES3_N6thrust23THRUST_200600_302600_NS6detail15normal_iteratorINS9_10device_ptrIyEEEESE_yNS9_4plusIvEEyEEDaPvRmT3_T4_T5_mT6_P12ihipStream_tbENKUlT_T0_E_clISt17integral_constantIbLb0EESU_EEDaSP_SQ_EUlSP_E0_NS1_11comp_targetILNS1_3genE8ELNS1_11target_archE1030ELNS1_3gpuE2ELNS1_3repE0EEENS1_30default_config_static_selectorELNS0_4arch9wavefront6targetE1EEEvT1_.kd
    .uniform_work_group_size: 1
    .uses_dynamic_stack: false
    .vgpr_count:     0
    .vgpr_spill_count: 0
    .wavefront_size: 64
  - .agpr_count:     0
    .args:
      - .offset:         0
        .size:           104
        .value_kind:     by_value
    .group_segment_fixed_size: 0
    .kernarg_segment_align: 8
    .kernarg_segment_size: 104
    .language:       OpenCL C
    .language_version:
      - 2
      - 0
    .max_flat_workgroup_size: 256
    .name:           _ZN7rocprim17ROCPRIM_400000_NS6detail17trampoline_kernelINS0_14default_configENS1_20scan_config_selectorIyEEZZNS1_9scan_implILNS1_25lookback_scan_determinismE0ELb1ELb1ES3_N6thrust23THRUST_200600_302600_NS6detail15normal_iteratorINS9_10device_ptrIyEEEESE_yNS9_4plusIvEEyEEDaPvRmT3_T4_T5_mT6_P12ihipStream_tbENKUlT_T0_E_clISt17integral_constantIbLb1EESU_EEDaSP_SQ_EUlSP_E_NS1_11comp_targetILNS1_3genE0ELNS1_11target_archE4294967295ELNS1_3gpuE0ELNS1_3repE0EEENS1_30default_config_static_selectorELNS0_4arch9wavefront6targetE1EEEvT1_
    .private_segment_fixed_size: 0
    .sgpr_count:     4
    .sgpr_spill_count: 0
    .symbol:         _ZN7rocprim17ROCPRIM_400000_NS6detail17trampoline_kernelINS0_14default_configENS1_20scan_config_selectorIyEEZZNS1_9scan_implILNS1_25lookback_scan_determinismE0ELb1ELb1ES3_N6thrust23THRUST_200600_302600_NS6detail15normal_iteratorINS9_10device_ptrIyEEEESE_yNS9_4plusIvEEyEEDaPvRmT3_T4_T5_mT6_P12ihipStream_tbENKUlT_T0_E_clISt17integral_constantIbLb1EESU_EEDaSP_SQ_EUlSP_E_NS1_11comp_targetILNS1_3genE0ELNS1_11target_archE4294967295ELNS1_3gpuE0ELNS1_3repE0EEENS1_30default_config_static_selectorELNS0_4arch9wavefront6targetE1EEEvT1_.kd
    .uniform_work_group_size: 1
    .uses_dynamic_stack: false
    .vgpr_count:     0
    .vgpr_spill_count: 0
    .wavefront_size: 64
  - .agpr_count:     0
    .args:
      - .offset:         0
        .size:           104
        .value_kind:     by_value
    .group_segment_fixed_size: 0
    .kernarg_segment_align: 8
    .kernarg_segment_size: 104
    .language:       OpenCL C
    .language_version:
      - 2
      - 0
    .max_flat_workgroup_size: 256
    .name:           _ZN7rocprim17ROCPRIM_400000_NS6detail17trampoline_kernelINS0_14default_configENS1_20scan_config_selectorIyEEZZNS1_9scan_implILNS1_25lookback_scan_determinismE0ELb1ELb1ES3_N6thrust23THRUST_200600_302600_NS6detail15normal_iteratorINS9_10device_ptrIyEEEESE_yNS9_4plusIvEEyEEDaPvRmT3_T4_T5_mT6_P12ihipStream_tbENKUlT_T0_E_clISt17integral_constantIbLb1EESU_EEDaSP_SQ_EUlSP_E_NS1_11comp_targetILNS1_3genE5ELNS1_11target_archE942ELNS1_3gpuE9ELNS1_3repE0EEENS1_30default_config_static_selectorELNS0_4arch9wavefront6targetE1EEEvT1_
    .private_segment_fixed_size: 0
    .sgpr_count:     4
    .sgpr_spill_count: 0
    .symbol:         _ZN7rocprim17ROCPRIM_400000_NS6detail17trampoline_kernelINS0_14default_configENS1_20scan_config_selectorIyEEZZNS1_9scan_implILNS1_25lookback_scan_determinismE0ELb1ELb1ES3_N6thrust23THRUST_200600_302600_NS6detail15normal_iteratorINS9_10device_ptrIyEEEESE_yNS9_4plusIvEEyEEDaPvRmT3_T4_T5_mT6_P12ihipStream_tbENKUlT_T0_E_clISt17integral_constantIbLb1EESU_EEDaSP_SQ_EUlSP_E_NS1_11comp_targetILNS1_3genE5ELNS1_11target_archE942ELNS1_3gpuE9ELNS1_3repE0EEENS1_30default_config_static_selectorELNS0_4arch9wavefront6targetE1EEEvT1_.kd
    .uniform_work_group_size: 1
    .uses_dynamic_stack: false
    .vgpr_count:     0
    .vgpr_spill_count: 0
    .wavefront_size: 64
  - .agpr_count:     0
    .args:
      - .offset:         0
        .size:           104
        .value_kind:     by_value
    .group_segment_fixed_size: 7168
    .kernarg_segment_align: 8
    .kernarg_segment_size: 104
    .language:       OpenCL C
    .language_version:
      - 2
      - 0
    .max_flat_workgroup_size: 128
    .name:           _ZN7rocprim17ROCPRIM_400000_NS6detail17trampoline_kernelINS0_14default_configENS1_20scan_config_selectorIyEEZZNS1_9scan_implILNS1_25lookback_scan_determinismE0ELb1ELb1ES3_N6thrust23THRUST_200600_302600_NS6detail15normal_iteratorINS9_10device_ptrIyEEEESE_yNS9_4plusIvEEyEEDaPvRmT3_T4_T5_mT6_P12ihipStream_tbENKUlT_T0_E_clISt17integral_constantIbLb1EESU_EEDaSP_SQ_EUlSP_E_NS1_11comp_targetILNS1_3genE4ELNS1_11target_archE910ELNS1_3gpuE8ELNS1_3repE0EEENS1_30default_config_static_selectorELNS0_4arch9wavefront6targetE1EEEvT1_
    .private_segment_fixed_size: 0
    .sgpr_count:     46
    .sgpr_spill_count: 0
    .symbol:         _ZN7rocprim17ROCPRIM_400000_NS6detail17trampoline_kernelINS0_14default_configENS1_20scan_config_selectorIyEEZZNS1_9scan_implILNS1_25lookback_scan_determinismE0ELb1ELb1ES3_N6thrust23THRUST_200600_302600_NS6detail15normal_iteratorINS9_10device_ptrIyEEEESE_yNS9_4plusIvEEyEEDaPvRmT3_T4_T5_mT6_P12ihipStream_tbENKUlT_T0_E_clISt17integral_constantIbLb1EESU_EEDaSP_SQ_EUlSP_E_NS1_11comp_targetILNS1_3genE4ELNS1_11target_archE910ELNS1_3gpuE8ELNS1_3repE0EEENS1_30default_config_static_selectorELNS0_4arch9wavefront6targetE1EEEvT1_.kd
    .uniform_work_group_size: 1
    .uses_dynamic_stack: false
    .vgpr_count:     51
    .vgpr_spill_count: 0
    .wavefront_size: 64
  - .agpr_count:     0
    .args:
      - .offset:         0
        .size:           104
        .value_kind:     by_value
    .group_segment_fixed_size: 0
    .kernarg_segment_align: 8
    .kernarg_segment_size: 104
    .language:       OpenCL C
    .language_version:
      - 2
      - 0
    .max_flat_workgroup_size: 256
    .name:           _ZN7rocprim17ROCPRIM_400000_NS6detail17trampoline_kernelINS0_14default_configENS1_20scan_config_selectorIyEEZZNS1_9scan_implILNS1_25lookback_scan_determinismE0ELb1ELb1ES3_N6thrust23THRUST_200600_302600_NS6detail15normal_iteratorINS9_10device_ptrIyEEEESE_yNS9_4plusIvEEyEEDaPvRmT3_T4_T5_mT6_P12ihipStream_tbENKUlT_T0_E_clISt17integral_constantIbLb1EESU_EEDaSP_SQ_EUlSP_E_NS1_11comp_targetILNS1_3genE3ELNS1_11target_archE908ELNS1_3gpuE7ELNS1_3repE0EEENS1_30default_config_static_selectorELNS0_4arch9wavefront6targetE1EEEvT1_
    .private_segment_fixed_size: 0
    .sgpr_count:     4
    .sgpr_spill_count: 0
    .symbol:         _ZN7rocprim17ROCPRIM_400000_NS6detail17trampoline_kernelINS0_14default_configENS1_20scan_config_selectorIyEEZZNS1_9scan_implILNS1_25lookback_scan_determinismE0ELb1ELb1ES3_N6thrust23THRUST_200600_302600_NS6detail15normal_iteratorINS9_10device_ptrIyEEEESE_yNS9_4plusIvEEyEEDaPvRmT3_T4_T5_mT6_P12ihipStream_tbENKUlT_T0_E_clISt17integral_constantIbLb1EESU_EEDaSP_SQ_EUlSP_E_NS1_11comp_targetILNS1_3genE3ELNS1_11target_archE908ELNS1_3gpuE7ELNS1_3repE0EEENS1_30default_config_static_selectorELNS0_4arch9wavefront6targetE1EEEvT1_.kd
    .uniform_work_group_size: 1
    .uses_dynamic_stack: false
    .vgpr_count:     0
    .vgpr_spill_count: 0
    .wavefront_size: 64
  - .agpr_count:     0
    .args:
      - .offset:         0
        .size:           104
        .value_kind:     by_value
    .group_segment_fixed_size: 0
    .kernarg_segment_align: 8
    .kernarg_segment_size: 104
    .language:       OpenCL C
    .language_version:
      - 2
      - 0
    .max_flat_workgroup_size: 64
    .name:           _ZN7rocprim17ROCPRIM_400000_NS6detail17trampoline_kernelINS0_14default_configENS1_20scan_config_selectorIyEEZZNS1_9scan_implILNS1_25lookback_scan_determinismE0ELb1ELb1ES3_N6thrust23THRUST_200600_302600_NS6detail15normal_iteratorINS9_10device_ptrIyEEEESE_yNS9_4plusIvEEyEEDaPvRmT3_T4_T5_mT6_P12ihipStream_tbENKUlT_T0_E_clISt17integral_constantIbLb1EESU_EEDaSP_SQ_EUlSP_E_NS1_11comp_targetILNS1_3genE2ELNS1_11target_archE906ELNS1_3gpuE6ELNS1_3repE0EEENS1_30default_config_static_selectorELNS0_4arch9wavefront6targetE1EEEvT1_
    .private_segment_fixed_size: 0
    .sgpr_count:     4
    .sgpr_spill_count: 0
    .symbol:         _ZN7rocprim17ROCPRIM_400000_NS6detail17trampoline_kernelINS0_14default_configENS1_20scan_config_selectorIyEEZZNS1_9scan_implILNS1_25lookback_scan_determinismE0ELb1ELb1ES3_N6thrust23THRUST_200600_302600_NS6detail15normal_iteratorINS9_10device_ptrIyEEEESE_yNS9_4plusIvEEyEEDaPvRmT3_T4_T5_mT6_P12ihipStream_tbENKUlT_T0_E_clISt17integral_constantIbLb1EESU_EEDaSP_SQ_EUlSP_E_NS1_11comp_targetILNS1_3genE2ELNS1_11target_archE906ELNS1_3gpuE6ELNS1_3repE0EEENS1_30default_config_static_selectorELNS0_4arch9wavefront6targetE1EEEvT1_.kd
    .uniform_work_group_size: 1
    .uses_dynamic_stack: false
    .vgpr_count:     0
    .vgpr_spill_count: 0
    .wavefront_size: 64
  - .agpr_count:     0
    .args:
      - .offset:         0
        .size:           104
        .value_kind:     by_value
    .group_segment_fixed_size: 0
    .kernarg_segment_align: 8
    .kernarg_segment_size: 104
    .language:       OpenCL C
    .language_version:
      - 2
      - 0
    .max_flat_workgroup_size: 256
    .name:           _ZN7rocprim17ROCPRIM_400000_NS6detail17trampoline_kernelINS0_14default_configENS1_20scan_config_selectorIyEEZZNS1_9scan_implILNS1_25lookback_scan_determinismE0ELb1ELb1ES3_N6thrust23THRUST_200600_302600_NS6detail15normal_iteratorINS9_10device_ptrIyEEEESE_yNS9_4plusIvEEyEEDaPvRmT3_T4_T5_mT6_P12ihipStream_tbENKUlT_T0_E_clISt17integral_constantIbLb1EESU_EEDaSP_SQ_EUlSP_E_NS1_11comp_targetILNS1_3genE10ELNS1_11target_archE1201ELNS1_3gpuE5ELNS1_3repE0EEENS1_30default_config_static_selectorELNS0_4arch9wavefront6targetE1EEEvT1_
    .private_segment_fixed_size: 0
    .sgpr_count:     4
    .sgpr_spill_count: 0
    .symbol:         _ZN7rocprim17ROCPRIM_400000_NS6detail17trampoline_kernelINS0_14default_configENS1_20scan_config_selectorIyEEZZNS1_9scan_implILNS1_25lookback_scan_determinismE0ELb1ELb1ES3_N6thrust23THRUST_200600_302600_NS6detail15normal_iteratorINS9_10device_ptrIyEEEESE_yNS9_4plusIvEEyEEDaPvRmT3_T4_T5_mT6_P12ihipStream_tbENKUlT_T0_E_clISt17integral_constantIbLb1EESU_EEDaSP_SQ_EUlSP_E_NS1_11comp_targetILNS1_3genE10ELNS1_11target_archE1201ELNS1_3gpuE5ELNS1_3repE0EEENS1_30default_config_static_selectorELNS0_4arch9wavefront6targetE1EEEvT1_.kd
    .uniform_work_group_size: 1
    .uses_dynamic_stack: false
    .vgpr_count:     0
    .vgpr_spill_count: 0
    .wavefront_size: 64
  - .agpr_count:     0
    .args:
      - .offset:         0
        .size:           104
        .value_kind:     by_value
    .group_segment_fixed_size: 0
    .kernarg_segment_align: 8
    .kernarg_segment_size: 104
    .language:       OpenCL C
    .language_version:
      - 2
      - 0
    .max_flat_workgroup_size: 256
    .name:           _ZN7rocprim17ROCPRIM_400000_NS6detail17trampoline_kernelINS0_14default_configENS1_20scan_config_selectorIyEEZZNS1_9scan_implILNS1_25lookback_scan_determinismE0ELb1ELb1ES3_N6thrust23THRUST_200600_302600_NS6detail15normal_iteratorINS9_10device_ptrIyEEEESE_yNS9_4plusIvEEyEEDaPvRmT3_T4_T5_mT6_P12ihipStream_tbENKUlT_T0_E_clISt17integral_constantIbLb1EESU_EEDaSP_SQ_EUlSP_E_NS1_11comp_targetILNS1_3genE10ELNS1_11target_archE1200ELNS1_3gpuE4ELNS1_3repE0EEENS1_30default_config_static_selectorELNS0_4arch9wavefront6targetE1EEEvT1_
    .private_segment_fixed_size: 0
    .sgpr_count:     4
    .sgpr_spill_count: 0
    .symbol:         _ZN7rocprim17ROCPRIM_400000_NS6detail17trampoline_kernelINS0_14default_configENS1_20scan_config_selectorIyEEZZNS1_9scan_implILNS1_25lookback_scan_determinismE0ELb1ELb1ES3_N6thrust23THRUST_200600_302600_NS6detail15normal_iteratorINS9_10device_ptrIyEEEESE_yNS9_4plusIvEEyEEDaPvRmT3_T4_T5_mT6_P12ihipStream_tbENKUlT_T0_E_clISt17integral_constantIbLb1EESU_EEDaSP_SQ_EUlSP_E_NS1_11comp_targetILNS1_3genE10ELNS1_11target_archE1200ELNS1_3gpuE4ELNS1_3repE0EEENS1_30default_config_static_selectorELNS0_4arch9wavefront6targetE1EEEvT1_.kd
    .uniform_work_group_size: 1
    .uses_dynamic_stack: false
    .vgpr_count:     0
    .vgpr_spill_count: 0
    .wavefront_size: 64
  - .agpr_count:     0
    .args:
      - .offset:         0
        .size:           104
        .value_kind:     by_value
    .group_segment_fixed_size: 0
    .kernarg_segment_align: 8
    .kernarg_segment_size: 104
    .language:       OpenCL C
    .language_version:
      - 2
      - 0
    .max_flat_workgroup_size: 256
    .name:           _ZN7rocprim17ROCPRIM_400000_NS6detail17trampoline_kernelINS0_14default_configENS1_20scan_config_selectorIyEEZZNS1_9scan_implILNS1_25lookback_scan_determinismE0ELb1ELb1ES3_N6thrust23THRUST_200600_302600_NS6detail15normal_iteratorINS9_10device_ptrIyEEEESE_yNS9_4plusIvEEyEEDaPvRmT3_T4_T5_mT6_P12ihipStream_tbENKUlT_T0_E_clISt17integral_constantIbLb1EESU_EEDaSP_SQ_EUlSP_E_NS1_11comp_targetILNS1_3genE9ELNS1_11target_archE1100ELNS1_3gpuE3ELNS1_3repE0EEENS1_30default_config_static_selectorELNS0_4arch9wavefront6targetE1EEEvT1_
    .private_segment_fixed_size: 0
    .sgpr_count:     4
    .sgpr_spill_count: 0
    .symbol:         _ZN7rocprim17ROCPRIM_400000_NS6detail17trampoline_kernelINS0_14default_configENS1_20scan_config_selectorIyEEZZNS1_9scan_implILNS1_25lookback_scan_determinismE0ELb1ELb1ES3_N6thrust23THRUST_200600_302600_NS6detail15normal_iteratorINS9_10device_ptrIyEEEESE_yNS9_4plusIvEEyEEDaPvRmT3_T4_T5_mT6_P12ihipStream_tbENKUlT_T0_E_clISt17integral_constantIbLb1EESU_EEDaSP_SQ_EUlSP_E_NS1_11comp_targetILNS1_3genE9ELNS1_11target_archE1100ELNS1_3gpuE3ELNS1_3repE0EEENS1_30default_config_static_selectorELNS0_4arch9wavefront6targetE1EEEvT1_.kd
    .uniform_work_group_size: 1
    .uses_dynamic_stack: false
    .vgpr_count:     0
    .vgpr_spill_count: 0
    .wavefront_size: 64
  - .agpr_count:     0
    .args:
      - .offset:         0
        .size:           104
        .value_kind:     by_value
    .group_segment_fixed_size: 0
    .kernarg_segment_align: 8
    .kernarg_segment_size: 104
    .language:       OpenCL C
    .language_version:
      - 2
      - 0
    .max_flat_workgroup_size: 256
    .name:           _ZN7rocprim17ROCPRIM_400000_NS6detail17trampoline_kernelINS0_14default_configENS1_20scan_config_selectorIyEEZZNS1_9scan_implILNS1_25lookback_scan_determinismE0ELb1ELb1ES3_N6thrust23THRUST_200600_302600_NS6detail15normal_iteratorINS9_10device_ptrIyEEEESE_yNS9_4plusIvEEyEEDaPvRmT3_T4_T5_mT6_P12ihipStream_tbENKUlT_T0_E_clISt17integral_constantIbLb1EESU_EEDaSP_SQ_EUlSP_E_NS1_11comp_targetILNS1_3genE8ELNS1_11target_archE1030ELNS1_3gpuE2ELNS1_3repE0EEENS1_30default_config_static_selectorELNS0_4arch9wavefront6targetE1EEEvT1_
    .private_segment_fixed_size: 0
    .sgpr_count:     4
    .sgpr_spill_count: 0
    .symbol:         _ZN7rocprim17ROCPRIM_400000_NS6detail17trampoline_kernelINS0_14default_configENS1_20scan_config_selectorIyEEZZNS1_9scan_implILNS1_25lookback_scan_determinismE0ELb1ELb1ES3_N6thrust23THRUST_200600_302600_NS6detail15normal_iteratorINS9_10device_ptrIyEEEESE_yNS9_4plusIvEEyEEDaPvRmT3_T4_T5_mT6_P12ihipStream_tbENKUlT_T0_E_clISt17integral_constantIbLb1EESU_EEDaSP_SQ_EUlSP_E_NS1_11comp_targetILNS1_3genE8ELNS1_11target_archE1030ELNS1_3gpuE2ELNS1_3repE0EEENS1_30default_config_static_selectorELNS0_4arch9wavefront6targetE1EEEvT1_.kd
    .uniform_work_group_size: 1
    .uses_dynamic_stack: false
    .vgpr_count:     0
    .vgpr_spill_count: 0
    .wavefront_size: 64
  - .agpr_count:     0
    .args:
      - .offset:         0
        .size:           40
        .value_kind:     by_value
    .group_segment_fixed_size: 0
    .kernarg_segment_align: 8
    .kernarg_segment_size: 40
    .language:       OpenCL C
    .language_version:
      - 2
      - 0
    .max_flat_workgroup_size: 256
    .name:           _ZN7rocprim17ROCPRIM_400000_NS6detail17trampoline_kernelINS0_14default_configENS1_20scan_config_selectorIyEEZZNS1_9scan_implILNS1_25lookback_scan_determinismE0ELb1ELb1ES3_N6thrust23THRUST_200600_302600_NS6detail15normal_iteratorINS9_10device_ptrIyEEEESE_yNS9_4plusIvEEyEEDaPvRmT3_T4_T5_mT6_P12ihipStream_tbENKUlT_T0_E_clISt17integral_constantIbLb1EESU_EEDaSP_SQ_EUlSP_E0_NS1_11comp_targetILNS1_3genE0ELNS1_11target_archE4294967295ELNS1_3gpuE0ELNS1_3repE0EEENS1_30default_config_static_selectorELNS0_4arch9wavefront6targetE1EEEvT1_
    .private_segment_fixed_size: 0
    .sgpr_count:     4
    .sgpr_spill_count: 0
    .symbol:         _ZN7rocprim17ROCPRIM_400000_NS6detail17trampoline_kernelINS0_14default_configENS1_20scan_config_selectorIyEEZZNS1_9scan_implILNS1_25lookback_scan_determinismE0ELb1ELb1ES3_N6thrust23THRUST_200600_302600_NS6detail15normal_iteratorINS9_10device_ptrIyEEEESE_yNS9_4plusIvEEyEEDaPvRmT3_T4_T5_mT6_P12ihipStream_tbENKUlT_T0_E_clISt17integral_constantIbLb1EESU_EEDaSP_SQ_EUlSP_E0_NS1_11comp_targetILNS1_3genE0ELNS1_11target_archE4294967295ELNS1_3gpuE0ELNS1_3repE0EEENS1_30default_config_static_selectorELNS0_4arch9wavefront6targetE1EEEvT1_.kd
    .uniform_work_group_size: 1
    .uses_dynamic_stack: false
    .vgpr_count:     0
    .vgpr_spill_count: 0
    .wavefront_size: 64
  - .agpr_count:     0
    .args:
      - .offset:         0
        .size:           40
        .value_kind:     by_value
    .group_segment_fixed_size: 0
    .kernarg_segment_align: 8
    .kernarg_segment_size: 40
    .language:       OpenCL C
    .language_version:
      - 2
      - 0
    .max_flat_workgroup_size: 256
    .name:           _ZN7rocprim17ROCPRIM_400000_NS6detail17trampoline_kernelINS0_14default_configENS1_20scan_config_selectorIyEEZZNS1_9scan_implILNS1_25lookback_scan_determinismE0ELb1ELb1ES3_N6thrust23THRUST_200600_302600_NS6detail15normal_iteratorINS9_10device_ptrIyEEEESE_yNS9_4plusIvEEyEEDaPvRmT3_T4_T5_mT6_P12ihipStream_tbENKUlT_T0_E_clISt17integral_constantIbLb1EESU_EEDaSP_SQ_EUlSP_E0_NS1_11comp_targetILNS1_3genE5ELNS1_11target_archE942ELNS1_3gpuE9ELNS1_3repE0EEENS1_30default_config_static_selectorELNS0_4arch9wavefront6targetE1EEEvT1_
    .private_segment_fixed_size: 0
    .sgpr_count:     4
    .sgpr_spill_count: 0
    .symbol:         _ZN7rocprim17ROCPRIM_400000_NS6detail17trampoline_kernelINS0_14default_configENS1_20scan_config_selectorIyEEZZNS1_9scan_implILNS1_25lookback_scan_determinismE0ELb1ELb1ES3_N6thrust23THRUST_200600_302600_NS6detail15normal_iteratorINS9_10device_ptrIyEEEESE_yNS9_4plusIvEEyEEDaPvRmT3_T4_T5_mT6_P12ihipStream_tbENKUlT_T0_E_clISt17integral_constantIbLb1EESU_EEDaSP_SQ_EUlSP_E0_NS1_11comp_targetILNS1_3genE5ELNS1_11target_archE942ELNS1_3gpuE9ELNS1_3repE0EEENS1_30default_config_static_selectorELNS0_4arch9wavefront6targetE1EEEvT1_.kd
    .uniform_work_group_size: 1
    .uses_dynamic_stack: false
    .vgpr_count:     0
    .vgpr_spill_count: 0
    .wavefront_size: 64
  - .agpr_count:     0
    .args:
      - .offset:         0
        .size:           40
        .value_kind:     by_value
    .group_segment_fixed_size: 7168
    .kernarg_segment_align: 8
    .kernarg_segment_size: 40
    .language:       OpenCL C
    .language_version:
      - 2
      - 0
    .max_flat_workgroup_size: 128
    .name:           _ZN7rocprim17ROCPRIM_400000_NS6detail17trampoline_kernelINS0_14default_configENS1_20scan_config_selectorIyEEZZNS1_9scan_implILNS1_25lookback_scan_determinismE0ELb1ELb1ES3_N6thrust23THRUST_200600_302600_NS6detail15normal_iteratorINS9_10device_ptrIyEEEESE_yNS9_4plusIvEEyEEDaPvRmT3_T4_T5_mT6_P12ihipStream_tbENKUlT_T0_E_clISt17integral_constantIbLb1EESU_EEDaSP_SQ_EUlSP_E0_NS1_11comp_targetILNS1_3genE4ELNS1_11target_archE910ELNS1_3gpuE8ELNS1_3repE0EEENS1_30default_config_static_selectorELNS0_4arch9wavefront6targetE1EEEvT1_
    .private_segment_fixed_size: 0
    .sgpr_count:     28
    .sgpr_spill_count: 0
    .symbol:         _ZN7rocprim17ROCPRIM_400000_NS6detail17trampoline_kernelINS0_14default_configENS1_20scan_config_selectorIyEEZZNS1_9scan_implILNS1_25lookback_scan_determinismE0ELb1ELb1ES3_N6thrust23THRUST_200600_302600_NS6detail15normal_iteratorINS9_10device_ptrIyEEEESE_yNS9_4plusIvEEyEEDaPvRmT3_T4_T5_mT6_P12ihipStream_tbENKUlT_T0_E_clISt17integral_constantIbLb1EESU_EEDaSP_SQ_EUlSP_E0_NS1_11comp_targetILNS1_3genE4ELNS1_11target_archE910ELNS1_3gpuE8ELNS1_3repE0EEENS1_30default_config_static_selectorELNS0_4arch9wavefront6targetE1EEEvT1_.kd
    .uniform_work_group_size: 1
    .uses_dynamic_stack: false
    .vgpr_count:     29
    .vgpr_spill_count: 0
    .wavefront_size: 64
  - .agpr_count:     0
    .args:
      - .offset:         0
        .size:           40
        .value_kind:     by_value
    .group_segment_fixed_size: 0
    .kernarg_segment_align: 8
    .kernarg_segment_size: 40
    .language:       OpenCL C
    .language_version:
      - 2
      - 0
    .max_flat_workgroup_size: 256
    .name:           _ZN7rocprim17ROCPRIM_400000_NS6detail17trampoline_kernelINS0_14default_configENS1_20scan_config_selectorIyEEZZNS1_9scan_implILNS1_25lookback_scan_determinismE0ELb1ELb1ES3_N6thrust23THRUST_200600_302600_NS6detail15normal_iteratorINS9_10device_ptrIyEEEESE_yNS9_4plusIvEEyEEDaPvRmT3_T4_T5_mT6_P12ihipStream_tbENKUlT_T0_E_clISt17integral_constantIbLb1EESU_EEDaSP_SQ_EUlSP_E0_NS1_11comp_targetILNS1_3genE3ELNS1_11target_archE908ELNS1_3gpuE7ELNS1_3repE0EEENS1_30default_config_static_selectorELNS0_4arch9wavefront6targetE1EEEvT1_
    .private_segment_fixed_size: 0
    .sgpr_count:     4
    .sgpr_spill_count: 0
    .symbol:         _ZN7rocprim17ROCPRIM_400000_NS6detail17trampoline_kernelINS0_14default_configENS1_20scan_config_selectorIyEEZZNS1_9scan_implILNS1_25lookback_scan_determinismE0ELb1ELb1ES3_N6thrust23THRUST_200600_302600_NS6detail15normal_iteratorINS9_10device_ptrIyEEEESE_yNS9_4plusIvEEyEEDaPvRmT3_T4_T5_mT6_P12ihipStream_tbENKUlT_T0_E_clISt17integral_constantIbLb1EESU_EEDaSP_SQ_EUlSP_E0_NS1_11comp_targetILNS1_3genE3ELNS1_11target_archE908ELNS1_3gpuE7ELNS1_3repE0EEENS1_30default_config_static_selectorELNS0_4arch9wavefront6targetE1EEEvT1_.kd
    .uniform_work_group_size: 1
    .uses_dynamic_stack: false
    .vgpr_count:     0
    .vgpr_spill_count: 0
    .wavefront_size: 64
  - .agpr_count:     0
    .args:
      - .offset:         0
        .size:           40
        .value_kind:     by_value
    .group_segment_fixed_size: 0
    .kernarg_segment_align: 8
    .kernarg_segment_size: 40
    .language:       OpenCL C
    .language_version:
      - 2
      - 0
    .max_flat_workgroup_size: 64
    .name:           _ZN7rocprim17ROCPRIM_400000_NS6detail17trampoline_kernelINS0_14default_configENS1_20scan_config_selectorIyEEZZNS1_9scan_implILNS1_25lookback_scan_determinismE0ELb1ELb1ES3_N6thrust23THRUST_200600_302600_NS6detail15normal_iteratorINS9_10device_ptrIyEEEESE_yNS9_4plusIvEEyEEDaPvRmT3_T4_T5_mT6_P12ihipStream_tbENKUlT_T0_E_clISt17integral_constantIbLb1EESU_EEDaSP_SQ_EUlSP_E0_NS1_11comp_targetILNS1_3genE2ELNS1_11target_archE906ELNS1_3gpuE6ELNS1_3repE0EEENS1_30default_config_static_selectorELNS0_4arch9wavefront6targetE1EEEvT1_
    .private_segment_fixed_size: 0
    .sgpr_count:     4
    .sgpr_spill_count: 0
    .symbol:         _ZN7rocprim17ROCPRIM_400000_NS6detail17trampoline_kernelINS0_14default_configENS1_20scan_config_selectorIyEEZZNS1_9scan_implILNS1_25lookback_scan_determinismE0ELb1ELb1ES3_N6thrust23THRUST_200600_302600_NS6detail15normal_iteratorINS9_10device_ptrIyEEEESE_yNS9_4plusIvEEyEEDaPvRmT3_T4_T5_mT6_P12ihipStream_tbENKUlT_T0_E_clISt17integral_constantIbLb1EESU_EEDaSP_SQ_EUlSP_E0_NS1_11comp_targetILNS1_3genE2ELNS1_11target_archE906ELNS1_3gpuE6ELNS1_3repE0EEENS1_30default_config_static_selectorELNS0_4arch9wavefront6targetE1EEEvT1_.kd
    .uniform_work_group_size: 1
    .uses_dynamic_stack: false
    .vgpr_count:     0
    .vgpr_spill_count: 0
    .wavefront_size: 64
  - .agpr_count:     0
    .args:
      - .offset:         0
        .size:           40
        .value_kind:     by_value
    .group_segment_fixed_size: 0
    .kernarg_segment_align: 8
    .kernarg_segment_size: 40
    .language:       OpenCL C
    .language_version:
      - 2
      - 0
    .max_flat_workgroup_size: 256
    .name:           _ZN7rocprim17ROCPRIM_400000_NS6detail17trampoline_kernelINS0_14default_configENS1_20scan_config_selectorIyEEZZNS1_9scan_implILNS1_25lookback_scan_determinismE0ELb1ELb1ES3_N6thrust23THRUST_200600_302600_NS6detail15normal_iteratorINS9_10device_ptrIyEEEESE_yNS9_4plusIvEEyEEDaPvRmT3_T4_T5_mT6_P12ihipStream_tbENKUlT_T0_E_clISt17integral_constantIbLb1EESU_EEDaSP_SQ_EUlSP_E0_NS1_11comp_targetILNS1_3genE10ELNS1_11target_archE1201ELNS1_3gpuE5ELNS1_3repE0EEENS1_30default_config_static_selectorELNS0_4arch9wavefront6targetE1EEEvT1_
    .private_segment_fixed_size: 0
    .sgpr_count:     4
    .sgpr_spill_count: 0
    .symbol:         _ZN7rocprim17ROCPRIM_400000_NS6detail17trampoline_kernelINS0_14default_configENS1_20scan_config_selectorIyEEZZNS1_9scan_implILNS1_25lookback_scan_determinismE0ELb1ELb1ES3_N6thrust23THRUST_200600_302600_NS6detail15normal_iteratorINS9_10device_ptrIyEEEESE_yNS9_4plusIvEEyEEDaPvRmT3_T4_T5_mT6_P12ihipStream_tbENKUlT_T0_E_clISt17integral_constantIbLb1EESU_EEDaSP_SQ_EUlSP_E0_NS1_11comp_targetILNS1_3genE10ELNS1_11target_archE1201ELNS1_3gpuE5ELNS1_3repE0EEENS1_30default_config_static_selectorELNS0_4arch9wavefront6targetE1EEEvT1_.kd
    .uniform_work_group_size: 1
    .uses_dynamic_stack: false
    .vgpr_count:     0
    .vgpr_spill_count: 0
    .wavefront_size: 64
  - .agpr_count:     0
    .args:
      - .offset:         0
        .size:           40
        .value_kind:     by_value
    .group_segment_fixed_size: 0
    .kernarg_segment_align: 8
    .kernarg_segment_size: 40
    .language:       OpenCL C
    .language_version:
      - 2
      - 0
    .max_flat_workgroup_size: 256
    .name:           _ZN7rocprim17ROCPRIM_400000_NS6detail17trampoline_kernelINS0_14default_configENS1_20scan_config_selectorIyEEZZNS1_9scan_implILNS1_25lookback_scan_determinismE0ELb1ELb1ES3_N6thrust23THRUST_200600_302600_NS6detail15normal_iteratorINS9_10device_ptrIyEEEESE_yNS9_4plusIvEEyEEDaPvRmT3_T4_T5_mT6_P12ihipStream_tbENKUlT_T0_E_clISt17integral_constantIbLb1EESU_EEDaSP_SQ_EUlSP_E0_NS1_11comp_targetILNS1_3genE10ELNS1_11target_archE1200ELNS1_3gpuE4ELNS1_3repE0EEENS1_30default_config_static_selectorELNS0_4arch9wavefront6targetE1EEEvT1_
    .private_segment_fixed_size: 0
    .sgpr_count:     4
    .sgpr_spill_count: 0
    .symbol:         _ZN7rocprim17ROCPRIM_400000_NS6detail17trampoline_kernelINS0_14default_configENS1_20scan_config_selectorIyEEZZNS1_9scan_implILNS1_25lookback_scan_determinismE0ELb1ELb1ES3_N6thrust23THRUST_200600_302600_NS6detail15normal_iteratorINS9_10device_ptrIyEEEESE_yNS9_4plusIvEEyEEDaPvRmT3_T4_T5_mT6_P12ihipStream_tbENKUlT_T0_E_clISt17integral_constantIbLb1EESU_EEDaSP_SQ_EUlSP_E0_NS1_11comp_targetILNS1_3genE10ELNS1_11target_archE1200ELNS1_3gpuE4ELNS1_3repE0EEENS1_30default_config_static_selectorELNS0_4arch9wavefront6targetE1EEEvT1_.kd
    .uniform_work_group_size: 1
    .uses_dynamic_stack: false
    .vgpr_count:     0
    .vgpr_spill_count: 0
    .wavefront_size: 64
  - .agpr_count:     0
    .args:
      - .offset:         0
        .size:           40
        .value_kind:     by_value
    .group_segment_fixed_size: 0
    .kernarg_segment_align: 8
    .kernarg_segment_size: 40
    .language:       OpenCL C
    .language_version:
      - 2
      - 0
    .max_flat_workgroup_size: 256
    .name:           _ZN7rocprim17ROCPRIM_400000_NS6detail17trampoline_kernelINS0_14default_configENS1_20scan_config_selectorIyEEZZNS1_9scan_implILNS1_25lookback_scan_determinismE0ELb1ELb1ES3_N6thrust23THRUST_200600_302600_NS6detail15normal_iteratorINS9_10device_ptrIyEEEESE_yNS9_4plusIvEEyEEDaPvRmT3_T4_T5_mT6_P12ihipStream_tbENKUlT_T0_E_clISt17integral_constantIbLb1EESU_EEDaSP_SQ_EUlSP_E0_NS1_11comp_targetILNS1_3genE9ELNS1_11target_archE1100ELNS1_3gpuE3ELNS1_3repE0EEENS1_30default_config_static_selectorELNS0_4arch9wavefront6targetE1EEEvT1_
    .private_segment_fixed_size: 0
    .sgpr_count:     4
    .sgpr_spill_count: 0
    .symbol:         _ZN7rocprim17ROCPRIM_400000_NS6detail17trampoline_kernelINS0_14default_configENS1_20scan_config_selectorIyEEZZNS1_9scan_implILNS1_25lookback_scan_determinismE0ELb1ELb1ES3_N6thrust23THRUST_200600_302600_NS6detail15normal_iteratorINS9_10device_ptrIyEEEESE_yNS9_4plusIvEEyEEDaPvRmT3_T4_T5_mT6_P12ihipStream_tbENKUlT_T0_E_clISt17integral_constantIbLb1EESU_EEDaSP_SQ_EUlSP_E0_NS1_11comp_targetILNS1_3genE9ELNS1_11target_archE1100ELNS1_3gpuE3ELNS1_3repE0EEENS1_30default_config_static_selectorELNS0_4arch9wavefront6targetE1EEEvT1_.kd
    .uniform_work_group_size: 1
    .uses_dynamic_stack: false
    .vgpr_count:     0
    .vgpr_spill_count: 0
    .wavefront_size: 64
  - .agpr_count:     0
    .args:
      - .offset:         0
        .size:           40
        .value_kind:     by_value
    .group_segment_fixed_size: 0
    .kernarg_segment_align: 8
    .kernarg_segment_size: 40
    .language:       OpenCL C
    .language_version:
      - 2
      - 0
    .max_flat_workgroup_size: 256
    .name:           _ZN7rocprim17ROCPRIM_400000_NS6detail17trampoline_kernelINS0_14default_configENS1_20scan_config_selectorIyEEZZNS1_9scan_implILNS1_25lookback_scan_determinismE0ELb1ELb1ES3_N6thrust23THRUST_200600_302600_NS6detail15normal_iteratorINS9_10device_ptrIyEEEESE_yNS9_4plusIvEEyEEDaPvRmT3_T4_T5_mT6_P12ihipStream_tbENKUlT_T0_E_clISt17integral_constantIbLb1EESU_EEDaSP_SQ_EUlSP_E0_NS1_11comp_targetILNS1_3genE8ELNS1_11target_archE1030ELNS1_3gpuE2ELNS1_3repE0EEENS1_30default_config_static_selectorELNS0_4arch9wavefront6targetE1EEEvT1_
    .private_segment_fixed_size: 0
    .sgpr_count:     4
    .sgpr_spill_count: 0
    .symbol:         _ZN7rocprim17ROCPRIM_400000_NS6detail17trampoline_kernelINS0_14default_configENS1_20scan_config_selectorIyEEZZNS1_9scan_implILNS1_25lookback_scan_determinismE0ELb1ELb1ES3_N6thrust23THRUST_200600_302600_NS6detail15normal_iteratorINS9_10device_ptrIyEEEESE_yNS9_4plusIvEEyEEDaPvRmT3_T4_T5_mT6_P12ihipStream_tbENKUlT_T0_E_clISt17integral_constantIbLb1EESU_EEDaSP_SQ_EUlSP_E0_NS1_11comp_targetILNS1_3genE8ELNS1_11target_archE1030ELNS1_3gpuE2ELNS1_3repE0EEENS1_30default_config_static_selectorELNS0_4arch9wavefront6targetE1EEEvT1_.kd
    .uniform_work_group_size: 1
    .uses_dynamic_stack: false
    .vgpr_count:     0
    .vgpr_spill_count: 0
    .wavefront_size: 64
  - .agpr_count:     0
    .args:
      - .offset:         0
        .size:           104
        .value_kind:     by_value
    .group_segment_fixed_size: 0
    .kernarg_segment_align: 8
    .kernarg_segment_size: 104
    .language:       OpenCL C
    .language_version:
      - 2
      - 0
    .max_flat_workgroup_size: 256
    .name:           _ZN7rocprim17ROCPRIM_400000_NS6detail17trampoline_kernelINS0_14default_configENS1_20scan_config_selectorIyEEZZNS1_9scan_implILNS1_25lookback_scan_determinismE0ELb1ELb1ES3_N6thrust23THRUST_200600_302600_NS6detail15normal_iteratorINS9_10device_ptrIyEEEESE_yNS9_4plusIvEEyEEDaPvRmT3_T4_T5_mT6_P12ihipStream_tbENKUlT_T0_E_clISt17integral_constantIbLb1EEST_IbLb0EEEEDaSP_SQ_EUlSP_E_NS1_11comp_targetILNS1_3genE0ELNS1_11target_archE4294967295ELNS1_3gpuE0ELNS1_3repE0EEENS1_30default_config_static_selectorELNS0_4arch9wavefront6targetE1EEEvT1_
    .private_segment_fixed_size: 0
    .sgpr_count:     4
    .sgpr_spill_count: 0
    .symbol:         _ZN7rocprim17ROCPRIM_400000_NS6detail17trampoline_kernelINS0_14default_configENS1_20scan_config_selectorIyEEZZNS1_9scan_implILNS1_25lookback_scan_determinismE0ELb1ELb1ES3_N6thrust23THRUST_200600_302600_NS6detail15normal_iteratorINS9_10device_ptrIyEEEESE_yNS9_4plusIvEEyEEDaPvRmT3_T4_T5_mT6_P12ihipStream_tbENKUlT_T0_E_clISt17integral_constantIbLb1EEST_IbLb0EEEEDaSP_SQ_EUlSP_E_NS1_11comp_targetILNS1_3genE0ELNS1_11target_archE4294967295ELNS1_3gpuE0ELNS1_3repE0EEENS1_30default_config_static_selectorELNS0_4arch9wavefront6targetE1EEEvT1_.kd
    .uniform_work_group_size: 1
    .uses_dynamic_stack: false
    .vgpr_count:     0
    .vgpr_spill_count: 0
    .wavefront_size: 64
  - .agpr_count:     0
    .args:
      - .offset:         0
        .size:           104
        .value_kind:     by_value
    .group_segment_fixed_size: 0
    .kernarg_segment_align: 8
    .kernarg_segment_size: 104
    .language:       OpenCL C
    .language_version:
      - 2
      - 0
    .max_flat_workgroup_size: 256
    .name:           _ZN7rocprim17ROCPRIM_400000_NS6detail17trampoline_kernelINS0_14default_configENS1_20scan_config_selectorIyEEZZNS1_9scan_implILNS1_25lookback_scan_determinismE0ELb1ELb1ES3_N6thrust23THRUST_200600_302600_NS6detail15normal_iteratorINS9_10device_ptrIyEEEESE_yNS9_4plusIvEEyEEDaPvRmT3_T4_T5_mT6_P12ihipStream_tbENKUlT_T0_E_clISt17integral_constantIbLb1EEST_IbLb0EEEEDaSP_SQ_EUlSP_E_NS1_11comp_targetILNS1_3genE5ELNS1_11target_archE942ELNS1_3gpuE9ELNS1_3repE0EEENS1_30default_config_static_selectorELNS0_4arch9wavefront6targetE1EEEvT1_
    .private_segment_fixed_size: 0
    .sgpr_count:     4
    .sgpr_spill_count: 0
    .symbol:         _ZN7rocprim17ROCPRIM_400000_NS6detail17trampoline_kernelINS0_14default_configENS1_20scan_config_selectorIyEEZZNS1_9scan_implILNS1_25lookback_scan_determinismE0ELb1ELb1ES3_N6thrust23THRUST_200600_302600_NS6detail15normal_iteratorINS9_10device_ptrIyEEEESE_yNS9_4plusIvEEyEEDaPvRmT3_T4_T5_mT6_P12ihipStream_tbENKUlT_T0_E_clISt17integral_constantIbLb1EEST_IbLb0EEEEDaSP_SQ_EUlSP_E_NS1_11comp_targetILNS1_3genE5ELNS1_11target_archE942ELNS1_3gpuE9ELNS1_3repE0EEENS1_30default_config_static_selectorELNS0_4arch9wavefront6targetE1EEEvT1_.kd
    .uniform_work_group_size: 1
    .uses_dynamic_stack: false
    .vgpr_count:     0
    .vgpr_spill_count: 0
    .wavefront_size: 64
  - .agpr_count:     0
    .args:
      - .offset:         0
        .size:           104
        .value_kind:     by_value
    .group_segment_fixed_size: 7168
    .kernarg_segment_align: 8
    .kernarg_segment_size: 104
    .language:       OpenCL C
    .language_version:
      - 2
      - 0
    .max_flat_workgroup_size: 128
    .name:           _ZN7rocprim17ROCPRIM_400000_NS6detail17trampoline_kernelINS0_14default_configENS1_20scan_config_selectorIyEEZZNS1_9scan_implILNS1_25lookback_scan_determinismE0ELb1ELb1ES3_N6thrust23THRUST_200600_302600_NS6detail15normal_iteratorINS9_10device_ptrIyEEEESE_yNS9_4plusIvEEyEEDaPvRmT3_T4_T5_mT6_P12ihipStream_tbENKUlT_T0_E_clISt17integral_constantIbLb1EEST_IbLb0EEEEDaSP_SQ_EUlSP_E_NS1_11comp_targetILNS1_3genE4ELNS1_11target_archE910ELNS1_3gpuE8ELNS1_3repE0EEENS1_30default_config_static_selectorELNS0_4arch9wavefront6targetE1EEEvT1_
    .private_segment_fixed_size: 0
    .sgpr_count:     36
    .sgpr_spill_count: 0
    .symbol:         _ZN7rocprim17ROCPRIM_400000_NS6detail17trampoline_kernelINS0_14default_configENS1_20scan_config_selectorIyEEZZNS1_9scan_implILNS1_25lookback_scan_determinismE0ELb1ELb1ES3_N6thrust23THRUST_200600_302600_NS6detail15normal_iteratorINS9_10device_ptrIyEEEESE_yNS9_4plusIvEEyEEDaPvRmT3_T4_T5_mT6_P12ihipStream_tbENKUlT_T0_E_clISt17integral_constantIbLb1EEST_IbLb0EEEEDaSP_SQ_EUlSP_E_NS1_11comp_targetILNS1_3genE4ELNS1_11target_archE910ELNS1_3gpuE8ELNS1_3repE0EEENS1_30default_config_static_selectorELNS0_4arch9wavefront6targetE1EEEvT1_.kd
    .uniform_work_group_size: 1
    .uses_dynamic_stack: false
    .vgpr_count:     51
    .vgpr_spill_count: 0
    .wavefront_size: 64
  - .agpr_count:     0
    .args:
      - .offset:         0
        .size:           104
        .value_kind:     by_value
    .group_segment_fixed_size: 0
    .kernarg_segment_align: 8
    .kernarg_segment_size: 104
    .language:       OpenCL C
    .language_version:
      - 2
      - 0
    .max_flat_workgroup_size: 256
    .name:           _ZN7rocprim17ROCPRIM_400000_NS6detail17trampoline_kernelINS0_14default_configENS1_20scan_config_selectorIyEEZZNS1_9scan_implILNS1_25lookback_scan_determinismE0ELb1ELb1ES3_N6thrust23THRUST_200600_302600_NS6detail15normal_iteratorINS9_10device_ptrIyEEEESE_yNS9_4plusIvEEyEEDaPvRmT3_T4_T5_mT6_P12ihipStream_tbENKUlT_T0_E_clISt17integral_constantIbLb1EEST_IbLb0EEEEDaSP_SQ_EUlSP_E_NS1_11comp_targetILNS1_3genE3ELNS1_11target_archE908ELNS1_3gpuE7ELNS1_3repE0EEENS1_30default_config_static_selectorELNS0_4arch9wavefront6targetE1EEEvT1_
    .private_segment_fixed_size: 0
    .sgpr_count:     4
    .sgpr_spill_count: 0
    .symbol:         _ZN7rocprim17ROCPRIM_400000_NS6detail17trampoline_kernelINS0_14default_configENS1_20scan_config_selectorIyEEZZNS1_9scan_implILNS1_25lookback_scan_determinismE0ELb1ELb1ES3_N6thrust23THRUST_200600_302600_NS6detail15normal_iteratorINS9_10device_ptrIyEEEESE_yNS9_4plusIvEEyEEDaPvRmT3_T4_T5_mT6_P12ihipStream_tbENKUlT_T0_E_clISt17integral_constantIbLb1EEST_IbLb0EEEEDaSP_SQ_EUlSP_E_NS1_11comp_targetILNS1_3genE3ELNS1_11target_archE908ELNS1_3gpuE7ELNS1_3repE0EEENS1_30default_config_static_selectorELNS0_4arch9wavefront6targetE1EEEvT1_.kd
    .uniform_work_group_size: 1
    .uses_dynamic_stack: false
    .vgpr_count:     0
    .vgpr_spill_count: 0
    .wavefront_size: 64
  - .agpr_count:     0
    .args:
      - .offset:         0
        .size:           104
        .value_kind:     by_value
    .group_segment_fixed_size: 0
    .kernarg_segment_align: 8
    .kernarg_segment_size: 104
    .language:       OpenCL C
    .language_version:
      - 2
      - 0
    .max_flat_workgroup_size: 64
    .name:           _ZN7rocprim17ROCPRIM_400000_NS6detail17trampoline_kernelINS0_14default_configENS1_20scan_config_selectorIyEEZZNS1_9scan_implILNS1_25lookback_scan_determinismE0ELb1ELb1ES3_N6thrust23THRUST_200600_302600_NS6detail15normal_iteratorINS9_10device_ptrIyEEEESE_yNS9_4plusIvEEyEEDaPvRmT3_T4_T5_mT6_P12ihipStream_tbENKUlT_T0_E_clISt17integral_constantIbLb1EEST_IbLb0EEEEDaSP_SQ_EUlSP_E_NS1_11comp_targetILNS1_3genE2ELNS1_11target_archE906ELNS1_3gpuE6ELNS1_3repE0EEENS1_30default_config_static_selectorELNS0_4arch9wavefront6targetE1EEEvT1_
    .private_segment_fixed_size: 0
    .sgpr_count:     4
    .sgpr_spill_count: 0
    .symbol:         _ZN7rocprim17ROCPRIM_400000_NS6detail17trampoline_kernelINS0_14default_configENS1_20scan_config_selectorIyEEZZNS1_9scan_implILNS1_25lookback_scan_determinismE0ELb1ELb1ES3_N6thrust23THRUST_200600_302600_NS6detail15normal_iteratorINS9_10device_ptrIyEEEESE_yNS9_4plusIvEEyEEDaPvRmT3_T4_T5_mT6_P12ihipStream_tbENKUlT_T0_E_clISt17integral_constantIbLb1EEST_IbLb0EEEEDaSP_SQ_EUlSP_E_NS1_11comp_targetILNS1_3genE2ELNS1_11target_archE906ELNS1_3gpuE6ELNS1_3repE0EEENS1_30default_config_static_selectorELNS0_4arch9wavefront6targetE1EEEvT1_.kd
    .uniform_work_group_size: 1
    .uses_dynamic_stack: false
    .vgpr_count:     0
    .vgpr_spill_count: 0
    .wavefront_size: 64
  - .agpr_count:     0
    .args:
      - .offset:         0
        .size:           104
        .value_kind:     by_value
    .group_segment_fixed_size: 0
    .kernarg_segment_align: 8
    .kernarg_segment_size: 104
    .language:       OpenCL C
    .language_version:
      - 2
      - 0
    .max_flat_workgroup_size: 256
    .name:           _ZN7rocprim17ROCPRIM_400000_NS6detail17trampoline_kernelINS0_14default_configENS1_20scan_config_selectorIyEEZZNS1_9scan_implILNS1_25lookback_scan_determinismE0ELb1ELb1ES3_N6thrust23THRUST_200600_302600_NS6detail15normal_iteratorINS9_10device_ptrIyEEEESE_yNS9_4plusIvEEyEEDaPvRmT3_T4_T5_mT6_P12ihipStream_tbENKUlT_T0_E_clISt17integral_constantIbLb1EEST_IbLb0EEEEDaSP_SQ_EUlSP_E_NS1_11comp_targetILNS1_3genE10ELNS1_11target_archE1201ELNS1_3gpuE5ELNS1_3repE0EEENS1_30default_config_static_selectorELNS0_4arch9wavefront6targetE1EEEvT1_
    .private_segment_fixed_size: 0
    .sgpr_count:     4
    .sgpr_spill_count: 0
    .symbol:         _ZN7rocprim17ROCPRIM_400000_NS6detail17trampoline_kernelINS0_14default_configENS1_20scan_config_selectorIyEEZZNS1_9scan_implILNS1_25lookback_scan_determinismE0ELb1ELb1ES3_N6thrust23THRUST_200600_302600_NS6detail15normal_iteratorINS9_10device_ptrIyEEEESE_yNS9_4plusIvEEyEEDaPvRmT3_T4_T5_mT6_P12ihipStream_tbENKUlT_T0_E_clISt17integral_constantIbLb1EEST_IbLb0EEEEDaSP_SQ_EUlSP_E_NS1_11comp_targetILNS1_3genE10ELNS1_11target_archE1201ELNS1_3gpuE5ELNS1_3repE0EEENS1_30default_config_static_selectorELNS0_4arch9wavefront6targetE1EEEvT1_.kd
    .uniform_work_group_size: 1
    .uses_dynamic_stack: false
    .vgpr_count:     0
    .vgpr_spill_count: 0
    .wavefront_size: 64
  - .agpr_count:     0
    .args:
      - .offset:         0
        .size:           104
        .value_kind:     by_value
    .group_segment_fixed_size: 0
    .kernarg_segment_align: 8
    .kernarg_segment_size: 104
    .language:       OpenCL C
    .language_version:
      - 2
      - 0
    .max_flat_workgroup_size: 256
    .name:           _ZN7rocprim17ROCPRIM_400000_NS6detail17trampoline_kernelINS0_14default_configENS1_20scan_config_selectorIyEEZZNS1_9scan_implILNS1_25lookback_scan_determinismE0ELb1ELb1ES3_N6thrust23THRUST_200600_302600_NS6detail15normal_iteratorINS9_10device_ptrIyEEEESE_yNS9_4plusIvEEyEEDaPvRmT3_T4_T5_mT6_P12ihipStream_tbENKUlT_T0_E_clISt17integral_constantIbLb1EEST_IbLb0EEEEDaSP_SQ_EUlSP_E_NS1_11comp_targetILNS1_3genE10ELNS1_11target_archE1200ELNS1_3gpuE4ELNS1_3repE0EEENS1_30default_config_static_selectorELNS0_4arch9wavefront6targetE1EEEvT1_
    .private_segment_fixed_size: 0
    .sgpr_count:     4
    .sgpr_spill_count: 0
    .symbol:         _ZN7rocprim17ROCPRIM_400000_NS6detail17trampoline_kernelINS0_14default_configENS1_20scan_config_selectorIyEEZZNS1_9scan_implILNS1_25lookback_scan_determinismE0ELb1ELb1ES3_N6thrust23THRUST_200600_302600_NS6detail15normal_iteratorINS9_10device_ptrIyEEEESE_yNS9_4plusIvEEyEEDaPvRmT3_T4_T5_mT6_P12ihipStream_tbENKUlT_T0_E_clISt17integral_constantIbLb1EEST_IbLb0EEEEDaSP_SQ_EUlSP_E_NS1_11comp_targetILNS1_3genE10ELNS1_11target_archE1200ELNS1_3gpuE4ELNS1_3repE0EEENS1_30default_config_static_selectorELNS0_4arch9wavefront6targetE1EEEvT1_.kd
    .uniform_work_group_size: 1
    .uses_dynamic_stack: false
    .vgpr_count:     0
    .vgpr_spill_count: 0
    .wavefront_size: 64
  - .agpr_count:     0
    .args:
      - .offset:         0
        .size:           104
        .value_kind:     by_value
    .group_segment_fixed_size: 0
    .kernarg_segment_align: 8
    .kernarg_segment_size: 104
    .language:       OpenCL C
    .language_version:
      - 2
      - 0
    .max_flat_workgroup_size: 256
    .name:           _ZN7rocprim17ROCPRIM_400000_NS6detail17trampoline_kernelINS0_14default_configENS1_20scan_config_selectorIyEEZZNS1_9scan_implILNS1_25lookback_scan_determinismE0ELb1ELb1ES3_N6thrust23THRUST_200600_302600_NS6detail15normal_iteratorINS9_10device_ptrIyEEEESE_yNS9_4plusIvEEyEEDaPvRmT3_T4_T5_mT6_P12ihipStream_tbENKUlT_T0_E_clISt17integral_constantIbLb1EEST_IbLb0EEEEDaSP_SQ_EUlSP_E_NS1_11comp_targetILNS1_3genE9ELNS1_11target_archE1100ELNS1_3gpuE3ELNS1_3repE0EEENS1_30default_config_static_selectorELNS0_4arch9wavefront6targetE1EEEvT1_
    .private_segment_fixed_size: 0
    .sgpr_count:     4
    .sgpr_spill_count: 0
    .symbol:         _ZN7rocprim17ROCPRIM_400000_NS6detail17trampoline_kernelINS0_14default_configENS1_20scan_config_selectorIyEEZZNS1_9scan_implILNS1_25lookback_scan_determinismE0ELb1ELb1ES3_N6thrust23THRUST_200600_302600_NS6detail15normal_iteratorINS9_10device_ptrIyEEEESE_yNS9_4plusIvEEyEEDaPvRmT3_T4_T5_mT6_P12ihipStream_tbENKUlT_T0_E_clISt17integral_constantIbLb1EEST_IbLb0EEEEDaSP_SQ_EUlSP_E_NS1_11comp_targetILNS1_3genE9ELNS1_11target_archE1100ELNS1_3gpuE3ELNS1_3repE0EEENS1_30default_config_static_selectorELNS0_4arch9wavefront6targetE1EEEvT1_.kd
    .uniform_work_group_size: 1
    .uses_dynamic_stack: false
    .vgpr_count:     0
    .vgpr_spill_count: 0
    .wavefront_size: 64
  - .agpr_count:     0
    .args:
      - .offset:         0
        .size:           104
        .value_kind:     by_value
    .group_segment_fixed_size: 0
    .kernarg_segment_align: 8
    .kernarg_segment_size: 104
    .language:       OpenCL C
    .language_version:
      - 2
      - 0
    .max_flat_workgroup_size: 256
    .name:           _ZN7rocprim17ROCPRIM_400000_NS6detail17trampoline_kernelINS0_14default_configENS1_20scan_config_selectorIyEEZZNS1_9scan_implILNS1_25lookback_scan_determinismE0ELb1ELb1ES3_N6thrust23THRUST_200600_302600_NS6detail15normal_iteratorINS9_10device_ptrIyEEEESE_yNS9_4plusIvEEyEEDaPvRmT3_T4_T5_mT6_P12ihipStream_tbENKUlT_T0_E_clISt17integral_constantIbLb1EEST_IbLb0EEEEDaSP_SQ_EUlSP_E_NS1_11comp_targetILNS1_3genE8ELNS1_11target_archE1030ELNS1_3gpuE2ELNS1_3repE0EEENS1_30default_config_static_selectorELNS0_4arch9wavefront6targetE1EEEvT1_
    .private_segment_fixed_size: 0
    .sgpr_count:     4
    .sgpr_spill_count: 0
    .symbol:         _ZN7rocprim17ROCPRIM_400000_NS6detail17trampoline_kernelINS0_14default_configENS1_20scan_config_selectorIyEEZZNS1_9scan_implILNS1_25lookback_scan_determinismE0ELb1ELb1ES3_N6thrust23THRUST_200600_302600_NS6detail15normal_iteratorINS9_10device_ptrIyEEEESE_yNS9_4plusIvEEyEEDaPvRmT3_T4_T5_mT6_P12ihipStream_tbENKUlT_T0_E_clISt17integral_constantIbLb1EEST_IbLb0EEEEDaSP_SQ_EUlSP_E_NS1_11comp_targetILNS1_3genE8ELNS1_11target_archE1030ELNS1_3gpuE2ELNS1_3repE0EEENS1_30default_config_static_selectorELNS0_4arch9wavefront6targetE1EEEvT1_.kd
    .uniform_work_group_size: 1
    .uses_dynamic_stack: false
    .vgpr_count:     0
    .vgpr_spill_count: 0
    .wavefront_size: 64
  - .agpr_count:     0
    .args:
      - .offset:         0
        .size:           40
        .value_kind:     by_value
    .group_segment_fixed_size: 0
    .kernarg_segment_align: 8
    .kernarg_segment_size: 40
    .language:       OpenCL C
    .language_version:
      - 2
      - 0
    .max_flat_workgroup_size: 256
    .name:           _ZN7rocprim17ROCPRIM_400000_NS6detail17trampoline_kernelINS0_14default_configENS1_20scan_config_selectorIyEEZZNS1_9scan_implILNS1_25lookback_scan_determinismE0ELb1ELb1ES3_N6thrust23THRUST_200600_302600_NS6detail15normal_iteratorINS9_10device_ptrIyEEEESE_yNS9_4plusIvEEyEEDaPvRmT3_T4_T5_mT6_P12ihipStream_tbENKUlT_T0_E_clISt17integral_constantIbLb1EEST_IbLb0EEEEDaSP_SQ_EUlSP_E0_NS1_11comp_targetILNS1_3genE0ELNS1_11target_archE4294967295ELNS1_3gpuE0ELNS1_3repE0EEENS1_30default_config_static_selectorELNS0_4arch9wavefront6targetE1EEEvT1_
    .private_segment_fixed_size: 0
    .sgpr_count:     4
    .sgpr_spill_count: 0
    .symbol:         _ZN7rocprim17ROCPRIM_400000_NS6detail17trampoline_kernelINS0_14default_configENS1_20scan_config_selectorIyEEZZNS1_9scan_implILNS1_25lookback_scan_determinismE0ELb1ELb1ES3_N6thrust23THRUST_200600_302600_NS6detail15normal_iteratorINS9_10device_ptrIyEEEESE_yNS9_4plusIvEEyEEDaPvRmT3_T4_T5_mT6_P12ihipStream_tbENKUlT_T0_E_clISt17integral_constantIbLb1EEST_IbLb0EEEEDaSP_SQ_EUlSP_E0_NS1_11comp_targetILNS1_3genE0ELNS1_11target_archE4294967295ELNS1_3gpuE0ELNS1_3repE0EEENS1_30default_config_static_selectorELNS0_4arch9wavefront6targetE1EEEvT1_.kd
    .uniform_work_group_size: 1
    .uses_dynamic_stack: false
    .vgpr_count:     0
    .vgpr_spill_count: 0
    .wavefront_size: 64
  - .agpr_count:     0
    .args:
      - .offset:         0
        .size:           40
        .value_kind:     by_value
    .group_segment_fixed_size: 0
    .kernarg_segment_align: 8
    .kernarg_segment_size: 40
    .language:       OpenCL C
    .language_version:
      - 2
      - 0
    .max_flat_workgroup_size: 256
    .name:           _ZN7rocprim17ROCPRIM_400000_NS6detail17trampoline_kernelINS0_14default_configENS1_20scan_config_selectorIyEEZZNS1_9scan_implILNS1_25lookback_scan_determinismE0ELb1ELb1ES3_N6thrust23THRUST_200600_302600_NS6detail15normal_iteratorINS9_10device_ptrIyEEEESE_yNS9_4plusIvEEyEEDaPvRmT3_T4_T5_mT6_P12ihipStream_tbENKUlT_T0_E_clISt17integral_constantIbLb1EEST_IbLb0EEEEDaSP_SQ_EUlSP_E0_NS1_11comp_targetILNS1_3genE5ELNS1_11target_archE942ELNS1_3gpuE9ELNS1_3repE0EEENS1_30default_config_static_selectorELNS0_4arch9wavefront6targetE1EEEvT1_
    .private_segment_fixed_size: 0
    .sgpr_count:     4
    .sgpr_spill_count: 0
    .symbol:         _ZN7rocprim17ROCPRIM_400000_NS6detail17trampoline_kernelINS0_14default_configENS1_20scan_config_selectorIyEEZZNS1_9scan_implILNS1_25lookback_scan_determinismE0ELb1ELb1ES3_N6thrust23THRUST_200600_302600_NS6detail15normal_iteratorINS9_10device_ptrIyEEEESE_yNS9_4plusIvEEyEEDaPvRmT3_T4_T5_mT6_P12ihipStream_tbENKUlT_T0_E_clISt17integral_constantIbLb1EEST_IbLb0EEEEDaSP_SQ_EUlSP_E0_NS1_11comp_targetILNS1_3genE5ELNS1_11target_archE942ELNS1_3gpuE9ELNS1_3repE0EEENS1_30default_config_static_selectorELNS0_4arch9wavefront6targetE1EEEvT1_.kd
    .uniform_work_group_size: 1
    .uses_dynamic_stack: false
    .vgpr_count:     0
    .vgpr_spill_count: 0
    .wavefront_size: 64
  - .agpr_count:     0
    .args:
      - .offset:         0
        .size:           40
        .value_kind:     by_value
    .group_segment_fixed_size: 7168
    .kernarg_segment_align: 8
    .kernarg_segment_size: 40
    .language:       OpenCL C
    .language_version:
      - 2
      - 0
    .max_flat_workgroup_size: 128
    .name:           _ZN7rocprim17ROCPRIM_400000_NS6detail17trampoline_kernelINS0_14default_configENS1_20scan_config_selectorIyEEZZNS1_9scan_implILNS1_25lookback_scan_determinismE0ELb1ELb1ES3_N6thrust23THRUST_200600_302600_NS6detail15normal_iteratorINS9_10device_ptrIyEEEESE_yNS9_4plusIvEEyEEDaPvRmT3_T4_T5_mT6_P12ihipStream_tbENKUlT_T0_E_clISt17integral_constantIbLb1EEST_IbLb0EEEEDaSP_SQ_EUlSP_E0_NS1_11comp_targetILNS1_3genE4ELNS1_11target_archE910ELNS1_3gpuE8ELNS1_3repE0EEENS1_30default_config_static_selectorELNS0_4arch9wavefront6targetE1EEEvT1_
    .private_segment_fixed_size: 0
    .sgpr_count:     28
    .sgpr_spill_count: 0
    .symbol:         _ZN7rocprim17ROCPRIM_400000_NS6detail17trampoline_kernelINS0_14default_configENS1_20scan_config_selectorIyEEZZNS1_9scan_implILNS1_25lookback_scan_determinismE0ELb1ELb1ES3_N6thrust23THRUST_200600_302600_NS6detail15normal_iteratorINS9_10device_ptrIyEEEESE_yNS9_4plusIvEEyEEDaPvRmT3_T4_T5_mT6_P12ihipStream_tbENKUlT_T0_E_clISt17integral_constantIbLb1EEST_IbLb0EEEEDaSP_SQ_EUlSP_E0_NS1_11comp_targetILNS1_3genE4ELNS1_11target_archE910ELNS1_3gpuE8ELNS1_3repE0EEENS1_30default_config_static_selectorELNS0_4arch9wavefront6targetE1EEEvT1_.kd
    .uniform_work_group_size: 1
    .uses_dynamic_stack: false
    .vgpr_count:     29
    .vgpr_spill_count: 0
    .wavefront_size: 64
  - .agpr_count:     0
    .args:
      - .offset:         0
        .size:           40
        .value_kind:     by_value
    .group_segment_fixed_size: 0
    .kernarg_segment_align: 8
    .kernarg_segment_size: 40
    .language:       OpenCL C
    .language_version:
      - 2
      - 0
    .max_flat_workgroup_size: 256
    .name:           _ZN7rocprim17ROCPRIM_400000_NS6detail17trampoline_kernelINS0_14default_configENS1_20scan_config_selectorIyEEZZNS1_9scan_implILNS1_25lookback_scan_determinismE0ELb1ELb1ES3_N6thrust23THRUST_200600_302600_NS6detail15normal_iteratorINS9_10device_ptrIyEEEESE_yNS9_4plusIvEEyEEDaPvRmT3_T4_T5_mT6_P12ihipStream_tbENKUlT_T0_E_clISt17integral_constantIbLb1EEST_IbLb0EEEEDaSP_SQ_EUlSP_E0_NS1_11comp_targetILNS1_3genE3ELNS1_11target_archE908ELNS1_3gpuE7ELNS1_3repE0EEENS1_30default_config_static_selectorELNS0_4arch9wavefront6targetE1EEEvT1_
    .private_segment_fixed_size: 0
    .sgpr_count:     4
    .sgpr_spill_count: 0
    .symbol:         _ZN7rocprim17ROCPRIM_400000_NS6detail17trampoline_kernelINS0_14default_configENS1_20scan_config_selectorIyEEZZNS1_9scan_implILNS1_25lookback_scan_determinismE0ELb1ELb1ES3_N6thrust23THRUST_200600_302600_NS6detail15normal_iteratorINS9_10device_ptrIyEEEESE_yNS9_4plusIvEEyEEDaPvRmT3_T4_T5_mT6_P12ihipStream_tbENKUlT_T0_E_clISt17integral_constantIbLb1EEST_IbLb0EEEEDaSP_SQ_EUlSP_E0_NS1_11comp_targetILNS1_3genE3ELNS1_11target_archE908ELNS1_3gpuE7ELNS1_3repE0EEENS1_30default_config_static_selectorELNS0_4arch9wavefront6targetE1EEEvT1_.kd
    .uniform_work_group_size: 1
    .uses_dynamic_stack: false
    .vgpr_count:     0
    .vgpr_spill_count: 0
    .wavefront_size: 64
  - .agpr_count:     0
    .args:
      - .offset:         0
        .size:           40
        .value_kind:     by_value
    .group_segment_fixed_size: 0
    .kernarg_segment_align: 8
    .kernarg_segment_size: 40
    .language:       OpenCL C
    .language_version:
      - 2
      - 0
    .max_flat_workgroup_size: 64
    .name:           _ZN7rocprim17ROCPRIM_400000_NS6detail17trampoline_kernelINS0_14default_configENS1_20scan_config_selectorIyEEZZNS1_9scan_implILNS1_25lookback_scan_determinismE0ELb1ELb1ES3_N6thrust23THRUST_200600_302600_NS6detail15normal_iteratorINS9_10device_ptrIyEEEESE_yNS9_4plusIvEEyEEDaPvRmT3_T4_T5_mT6_P12ihipStream_tbENKUlT_T0_E_clISt17integral_constantIbLb1EEST_IbLb0EEEEDaSP_SQ_EUlSP_E0_NS1_11comp_targetILNS1_3genE2ELNS1_11target_archE906ELNS1_3gpuE6ELNS1_3repE0EEENS1_30default_config_static_selectorELNS0_4arch9wavefront6targetE1EEEvT1_
    .private_segment_fixed_size: 0
    .sgpr_count:     4
    .sgpr_spill_count: 0
    .symbol:         _ZN7rocprim17ROCPRIM_400000_NS6detail17trampoline_kernelINS0_14default_configENS1_20scan_config_selectorIyEEZZNS1_9scan_implILNS1_25lookback_scan_determinismE0ELb1ELb1ES3_N6thrust23THRUST_200600_302600_NS6detail15normal_iteratorINS9_10device_ptrIyEEEESE_yNS9_4plusIvEEyEEDaPvRmT3_T4_T5_mT6_P12ihipStream_tbENKUlT_T0_E_clISt17integral_constantIbLb1EEST_IbLb0EEEEDaSP_SQ_EUlSP_E0_NS1_11comp_targetILNS1_3genE2ELNS1_11target_archE906ELNS1_3gpuE6ELNS1_3repE0EEENS1_30default_config_static_selectorELNS0_4arch9wavefront6targetE1EEEvT1_.kd
    .uniform_work_group_size: 1
    .uses_dynamic_stack: false
    .vgpr_count:     0
    .vgpr_spill_count: 0
    .wavefront_size: 64
  - .agpr_count:     0
    .args:
      - .offset:         0
        .size:           40
        .value_kind:     by_value
    .group_segment_fixed_size: 0
    .kernarg_segment_align: 8
    .kernarg_segment_size: 40
    .language:       OpenCL C
    .language_version:
      - 2
      - 0
    .max_flat_workgroup_size: 256
    .name:           _ZN7rocprim17ROCPRIM_400000_NS6detail17trampoline_kernelINS0_14default_configENS1_20scan_config_selectorIyEEZZNS1_9scan_implILNS1_25lookback_scan_determinismE0ELb1ELb1ES3_N6thrust23THRUST_200600_302600_NS6detail15normal_iteratorINS9_10device_ptrIyEEEESE_yNS9_4plusIvEEyEEDaPvRmT3_T4_T5_mT6_P12ihipStream_tbENKUlT_T0_E_clISt17integral_constantIbLb1EEST_IbLb0EEEEDaSP_SQ_EUlSP_E0_NS1_11comp_targetILNS1_3genE10ELNS1_11target_archE1201ELNS1_3gpuE5ELNS1_3repE0EEENS1_30default_config_static_selectorELNS0_4arch9wavefront6targetE1EEEvT1_
    .private_segment_fixed_size: 0
    .sgpr_count:     4
    .sgpr_spill_count: 0
    .symbol:         _ZN7rocprim17ROCPRIM_400000_NS6detail17trampoline_kernelINS0_14default_configENS1_20scan_config_selectorIyEEZZNS1_9scan_implILNS1_25lookback_scan_determinismE0ELb1ELb1ES3_N6thrust23THRUST_200600_302600_NS6detail15normal_iteratorINS9_10device_ptrIyEEEESE_yNS9_4plusIvEEyEEDaPvRmT3_T4_T5_mT6_P12ihipStream_tbENKUlT_T0_E_clISt17integral_constantIbLb1EEST_IbLb0EEEEDaSP_SQ_EUlSP_E0_NS1_11comp_targetILNS1_3genE10ELNS1_11target_archE1201ELNS1_3gpuE5ELNS1_3repE0EEENS1_30default_config_static_selectorELNS0_4arch9wavefront6targetE1EEEvT1_.kd
    .uniform_work_group_size: 1
    .uses_dynamic_stack: false
    .vgpr_count:     0
    .vgpr_spill_count: 0
    .wavefront_size: 64
  - .agpr_count:     0
    .args:
      - .offset:         0
        .size:           40
        .value_kind:     by_value
    .group_segment_fixed_size: 0
    .kernarg_segment_align: 8
    .kernarg_segment_size: 40
    .language:       OpenCL C
    .language_version:
      - 2
      - 0
    .max_flat_workgroup_size: 256
    .name:           _ZN7rocprim17ROCPRIM_400000_NS6detail17trampoline_kernelINS0_14default_configENS1_20scan_config_selectorIyEEZZNS1_9scan_implILNS1_25lookback_scan_determinismE0ELb1ELb1ES3_N6thrust23THRUST_200600_302600_NS6detail15normal_iteratorINS9_10device_ptrIyEEEESE_yNS9_4plusIvEEyEEDaPvRmT3_T4_T5_mT6_P12ihipStream_tbENKUlT_T0_E_clISt17integral_constantIbLb1EEST_IbLb0EEEEDaSP_SQ_EUlSP_E0_NS1_11comp_targetILNS1_3genE10ELNS1_11target_archE1200ELNS1_3gpuE4ELNS1_3repE0EEENS1_30default_config_static_selectorELNS0_4arch9wavefront6targetE1EEEvT1_
    .private_segment_fixed_size: 0
    .sgpr_count:     4
    .sgpr_spill_count: 0
    .symbol:         _ZN7rocprim17ROCPRIM_400000_NS6detail17trampoline_kernelINS0_14default_configENS1_20scan_config_selectorIyEEZZNS1_9scan_implILNS1_25lookback_scan_determinismE0ELb1ELb1ES3_N6thrust23THRUST_200600_302600_NS6detail15normal_iteratorINS9_10device_ptrIyEEEESE_yNS9_4plusIvEEyEEDaPvRmT3_T4_T5_mT6_P12ihipStream_tbENKUlT_T0_E_clISt17integral_constantIbLb1EEST_IbLb0EEEEDaSP_SQ_EUlSP_E0_NS1_11comp_targetILNS1_3genE10ELNS1_11target_archE1200ELNS1_3gpuE4ELNS1_3repE0EEENS1_30default_config_static_selectorELNS0_4arch9wavefront6targetE1EEEvT1_.kd
    .uniform_work_group_size: 1
    .uses_dynamic_stack: false
    .vgpr_count:     0
    .vgpr_spill_count: 0
    .wavefront_size: 64
  - .agpr_count:     0
    .args:
      - .offset:         0
        .size:           40
        .value_kind:     by_value
    .group_segment_fixed_size: 0
    .kernarg_segment_align: 8
    .kernarg_segment_size: 40
    .language:       OpenCL C
    .language_version:
      - 2
      - 0
    .max_flat_workgroup_size: 256
    .name:           _ZN7rocprim17ROCPRIM_400000_NS6detail17trampoline_kernelINS0_14default_configENS1_20scan_config_selectorIyEEZZNS1_9scan_implILNS1_25lookback_scan_determinismE0ELb1ELb1ES3_N6thrust23THRUST_200600_302600_NS6detail15normal_iteratorINS9_10device_ptrIyEEEESE_yNS9_4plusIvEEyEEDaPvRmT3_T4_T5_mT6_P12ihipStream_tbENKUlT_T0_E_clISt17integral_constantIbLb1EEST_IbLb0EEEEDaSP_SQ_EUlSP_E0_NS1_11comp_targetILNS1_3genE9ELNS1_11target_archE1100ELNS1_3gpuE3ELNS1_3repE0EEENS1_30default_config_static_selectorELNS0_4arch9wavefront6targetE1EEEvT1_
    .private_segment_fixed_size: 0
    .sgpr_count:     4
    .sgpr_spill_count: 0
    .symbol:         _ZN7rocprim17ROCPRIM_400000_NS6detail17trampoline_kernelINS0_14default_configENS1_20scan_config_selectorIyEEZZNS1_9scan_implILNS1_25lookback_scan_determinismE0ELb1ELb1ES3_N6thrust23THRUST_200600_302600_NS6detail15normal_iteratorINS9_10device_ptrIyEEEESE_yNS9_4plusIvEEyEEDaPvRmT3_T4_T5_mT6_P12ihipStream_tbENKUlT_T0_E_clISt17integral_constantIbLb1EEST_IbLb0EEEEDaSP_SQ_EUlSP_E0_NS1_11comp_targetILNS1_3genE9ELNS1_11target_archE1100ELNS1_3gpuE3ELNS1_3repE0EEENS1_30default_config_static_selectorELNS0_4arch9wavefront6targetE1EEEvT1_.kd
    .uniform_work_group_size: 1
    .uses_dynamic_stack: false
    .vgpr_count:     0
    .vgpr_spill_count: 0
    .wavefront_size: 64
  - .agpr_count:     0
    .args:
      - .offset:         0
        .size:           40
        .value_kind:     by_value
    .group_segment_fixed_size: 0
    .kernarg_segment_align: 8
    .kernarg_segment_size: 40
    .language:       OpenCL C
    .language_version:
      - 2
      - 0
    .max_flat_workgroup_size: 256
    .name:           _ZN7rocprim17ROCPRIM_400000_NS6detail17trampoline_kernelINS0_14default_configENS1_20scan_config_selectorIyEEZZNS1_9scan_implILNS1_25lookback_scan_determinismE0ELb1ELb1ES3_N6thrust23THRUST_200600_302600_NS6detail15normal_iteratorINS9_10device_ptrIyEEEESE_yNS9_4plusIvEEyEEDaPvRmT3_T4_T5_mT6_P12ihipStream_tbENKUlT_T0_E_clISt17integral_constantIbLb1EEST_IbLb0EEEEDaSP_SQ_EUlSP_E0_NS1_11comp_targetILNS1_3genE8ELNS1_11target_archE1030ELNS1_3gpuE2ELNS1_3repE0EEENS1_30default_config_static_selectorELNS0_4arch9wavefront6targetE1EEEvT1_
    .private_segment_fixed_size: 0
    .sgpr_count:     4
    .sgpr_spill_count: 0
    .symbol:         _ZN7rocprim17ROCPRIM_400000_NS6detail17trampoline_kernelINS0_14default_configENS1_20scan_config_selectorIyEEZZNS1_9scan_implILNS1_25lookback_scan_determinismE0ELb1ELb1ES3_N6thrust23THRUST_200600_302600_NS6detail15normal_iteratorINS9_10device_ptrIyEEEESE_yNS9_4plusIvEEyEEDaPvRmT3_T4_T5_mT6_P12ihipStream_tbENKUlT_T0_E_clISt17integral_constantIbLb1EEST_IbLb0EEEEDaSP_SQ_EUlSP_E0_NS1_11comp_targetILNS1_3genE8ELNS1_11target_archE1030ELNS1_3gpuE2ELNS1_3repE0EEENS1_30default_config_static_selectorELNS0_4arch9wavefront6targetE1EEEvT1_.kd
    .uniform_work_group_size: 1
    .uses_dynamic_stack: false
    .vgpr_count:     0
    .vgpr_spill_count: 0
    .wavefront_size: 64
  - .agpr_count:     0
    .args:
      - .offset:         0
        .size:           104
        .value_kind:     by_value
    .group_segment_fixed_size: 0
    .kernarg_segment_align: 8
    .kernarg_segment_size: 104
    .language:       OpenCL C
    .language_version:
      - 2
      - 0
    .max_flat_workgroup_size: 256
    .name:           _ZN7rocprim17ROCPRIM_400000_NS6detail17trampoline_kernelINS0_14default_configENS1_20scan_config_selectorIyEEZZNS1_9scan_implILNS1_25lookback_scan_determinismE0ELb1ELb1ES3_N6thrust23THRUST_200600_302600_NS6detail15normal_iteratorINS9_10device_ptrIyEEEESE_yNS9_4plusIvEEyEEDaPvRmT3_T4_T5_mT6_P12ihipStream_tbENKUlT_T0_E_clISt17integral_constantIbLb0EEST_IbLb1EEEEDaSP_SQ_EUlSP_E_NS1_11comp_targetILNS1_3genE0ELNS1_11target_archE4294967295ELNS1_3gpuE0ELNS1_3repE0EEENS1_30default_config_static_selectorELNS0_4arch9wavefront6targetE1EEEvT1_
    .private_segment_fixed_size: 0
    .sgpr_count:     4
    .sgpr_spill_count: 0
    .symbol:         _ZN7rocprim17ROCPRIM_400000_NS6detail17trampoline_kernelINS0_14default_configENS1_20scan_config_selectorIyEEZZNS1_9scan_implILNS1_25lookback_scan_determinismE0ELb1ELb1ES3_N6thrust23THRUST_200600_302600_NS6detail15normal_iteratorINS9_10device_ptrIyEEEESE_yNS9_4plusIvEEyEEDaPvRmT3_T4_T5_mT6_P12ihipStream_tbENKUlT_T0_E_clISt17integral_constantIbLb0EEST_IbLb1EEEEDaSP_SQ_EUlSP_E_NS1_11comp_targetILNS1_3genE0ELNS1_11target_archE4294967295ELNS1_3gpuE0ELNS1_3repE0EEENS1_30default_config_static_selectorELNS0_4arch9wavefront6targetE1EEEvT1_.kd
    .uniform_work_group_size: 1
    .uses_dynamic_stack: false
    .vgpr_count:     0
    .vgpr_spill_count: 0
    .wavefront_size: 64
  - .agpr_count:     0
    .args:
      - .offset:         0
        .size:           104
        .value_kind:     by_value
    .group_segment_fixed_size: 0
    .kernarg_segment_align: 8
    .kernarg_segment_size: 104
    .language:       OpenCL C
    .language_version:
      - 2
      - 0
    .max_flat_workgroup_size: 256
    .name:           _ZN7rocprim17ROCPRIM_400000_NS6detail17trampoline_kernelINS0_14default_configENS1_20scan_config_selectorIyEEZZNS1_9scan_implILNS1_25lookback_scan_determinismE0ELb1ELb1ES3_N6thrust23THRUST_200600_302600_NS6detail15normal_iteratorINS9_10device_ptrIyEEEESE_yNS9_4plusIvEEyEEDaPvRmT3_T4_T5_mT6_P12ihipStream_tbENKUlT_T0_E_clISt17integral_constantIbLb0EEST_IbLb1EEEEDaSP_SQ_EUlSP_E_NS1_11comp_targetILNS1_3genE5ELNS1_11target_archE942ELNS1_3gpuE9ELNS1_3repE0EEENS1_30default_config_static_selectorELNS0_4arch9wavefront6targetE1EEEvT1_
    .private_segment_fixed_size: 0
    .sgpr_count:     4
    .sgpr_spill_count: 0
    .symbol:         _ZN7rocprim17ROCPRIM_400000_NS6detail17trampoline_kernelINS0_14default_configENS1_20scan_config_selectorIyEEZZNS1_9scan_implILNS1_25lookback_scan_determinismE0ELb1ELb1ES3_N6thrust23THRUST_200600_302600_NS6detail15normal_iteratorINS9_10device_ptrIyEEEESE_yNS9_4plusIvEEyEEDaPvRmT3_T4_T5_mT6_P12ihipStream_tbENKUlT_T0_E_clISt17integral_constantIbLb0EEST_IbLb1EEEEDaSP_SQ_EUlSP_E_NS1_11comp_targetILNS1_3genE5ELNS1_11target_archE942ELNS1_3gpuE9ELNS1_3repE0EEENS1_30default_config_static_selectorELNS0_4arch9wavefront6targetE1EEEvT1_.kd
    .uniform_work_group_size: 1
    .uses_dynamic_stack: false
    .vgpr_count:     0
    .vgpr_spill_count: 0
    .wavefront_size: 64
  - .agpr_count:     0
    .args:
      - .offset:         0
        .size:           104
        .value_kind:     by_value
    .group_segment_fixed_size: 7168
    .kernarg_segment_align: 8
    .kernarg_segment_size: 104
    .language:       OpenCL C
    .language_version:
      - 2
      - 0
    .max_flat_workgroup_size: 128
    .name:           _ZN7rocprim17ROCPRIM_400000_NS6detail17trampoline_kernelINS0_14default_configENS1_20scan_config_selectorIyEEZZNS1_9scan_implILNS1_25lookback_scan_determinismE0ELb1ELb1ES3_N6thrust23THRUST_200600_302600_NS6detail15normal_iteratorINS9_10device_ptrIyEEEESE_yNS9_4plusIvEEyEEDaPvRmT3_T4_T5_mT6_P12ihipStream_tbENKUlT_T0_E_clISt17integral_constantIbLb0EEST_IbLb1EEEEDaSP_SQ_EUlSP_E_NS1_11comp_targetILNS1_3genE4ELNS1_11target_archE910ELNS1_3gpuE8ELNS1_3repE0EEENS1_30default_config_static_selectorELNS0_4arch9wavefront6targetE1EEEvT1_
    .private_segment_fixed_size: 0
    .sgpr_count:     44
    .sgpr_spill_count: 0
    .symbol:         _ZN7rocprim17ROCPRIM_400000_NS6detail17trampoline_kernelINS0_14default_configENS1_20scan_config_selectorIyEEZZNS1_9scan_implILNS1_25lookback_scan_determinismE0ELb1ELb1ES3_N6thrust23THRUST_200600_302600_NS6detail15normal_iteratorINS9_10device_ptrIyEEEESE_yNS9_4plusIvEEyEEDaPvRmT3_T4_T5_mT6_P12ihipStream_tbENKUlT_T0_E_clISt17integral_constantIbLb0EEST_IbLb1EEEEDaSP_SQ_EUlSP_E_NS1_11comp_targetILNS1_3genE4ELNS1_11target_archE910ELNS1_3gpuE8ELNS1_3repE0EEENS1_30default_config_static_selectorELNS0_4arch9wavefront6targetE1EEEvT1_.kd
    .uniform_work_group_size: 1
    .uses_dynamic_stack: false
    .vgpr_count:     51
    .vgpr_spill_count: 0
    .wavefront_size: 64
  - .agpr_count:     0
    .args:
      - .offset:         0
        .size:           104
        .value_kind:     by_value
    .group_segment_fixed_size: 0
    .kernarg_segment_align: 8
    .kernarg_segment_size: 104
    .language:       OpenCL C
    .language_version:
      - 2
      - 0
    .max_flat_workgroup_size: 256
    .name:           _ZN7rocprim17ROCPRIM_400000_NS6detail17trampoline_kernelINS0_14default_configENS1_20scan_config_selectorIyEEZZNS1_9scan_implILNS1_25lookback_scan_determinismE0ELb1ELb1ES3_N6thrust23THRUST_200600_302600_NS6detail15normal_iteratorINS9_10device_ptrIyEEEESE_yNS9_4plusIvEEyEEDaPvRmT3_T4_T5_mT6_P12ihipStream_tbENKUlT_T0_E_clISt17integral_constantIbLb0EEST_IbLb1EEEEDaSP_SQ_EUlSP_E_NS1_11comp_targetILNS1_3genE3ELNS1_11target_archE908ELNS1_3gpuE7ELNS1_3repE0EEENS1_30default_config_static_selectorELNS0_4arch9wavefront6targetE1EEEvT1_
    .private_segment_fixed_size: 0
    .sgpr_count:     4
    .sgpr_spill_count: 0
    .symbol:         _ZN7rocprim17ROCPRIM_400000_NS6detail17trampoline_kernelINS0_14default_configENS1_20scan_config_selectorIyEEZZNS1_9scan_implILNS1_25lookback_scan_determinismE0ELb1ELb1ES3_N6thrust23THRUST_200600_302600_NS6detail15normal_iteratorINS9_10device_ptrIyEEEESE_yNS9_4plusIvEEyEEDaPvRmT3_T4_T5_mT6_P12ihipStream_tbENKUlT_T0_E_clISt17integral_constantIbLb0EEST_IbLb1EEEEDaSP_SQ_EUlSP_E_NS1_11comp_targetILNS1_3genE3ELNS1_11target_archE908ELNS1_3gpuE7ELNS1_3repE0EEENS1_30default_config_static_selectorELNS0_4arch9wavefront6targetE1EEEvT1_.kd
    .uniform_work_group_size: 1
    .uses_dynamic_stack: false
    .vgpr_count:     0
    .vgpr_spill_count: 0
    .wavefront_size: 64
  - .agpr_count:     0
    .args:
      - .offset:         0
        .size:           104
        .value_kind:     by_value
    .group_segment_fixed_size: 0
    .kernarg_segment_align: 8
    .kernarg_segment_size: 104
    .language:       OpenCL C
    .language_version:
      - 2
      - 0
    .max_flat_workgroup_size: 64
    .name:           _ZN7rocprim17ROCPRIM_400000_NS6detail17trampoline_kernelINS0_14default_configENS1_20scan_config_selectorIyEEZZNS1_9scan_implILNS1_25lookback_scan_determinismE0ELb1ELb1ES3_N6thrust23THRUST_200600_302600_NS6detail15normal_iteratorINS9_10device_ptrIyEEEESE_yNS9_4plusIvEEyEEDaPvRmT3_T4_T5_mT6_P12ihipStream_tbENKUlT_T0_E_clISt17integral_constantIbLb0EEST_IbLb1EEEEDaSP_SQ_EUlSP_E_NS1_11comp_targetILNS1_3genE2ELNS1_11target_archE906ELNS1_3gpuE6ELNS1_3repE0EEENS1_30default_config_static_selectorELNS0_4arch9wavefront6targetE1EEEvT1_
    .private_segment_fixed_size: 0
    .sgpr_count:     4
    .sgpr_spill_count: 0
    .symbol:         _ZN7rocprim17ROCPRIM_400000_NS6detail17trampoline_kernelINS0_14default_configENS1_20scan_config_selectorIyEEZZNS1_9scan_implILNS1_25lookback_scan_determinismE0ELb1ELb1ES3_N6thrust23THRUST_200600_302600_NS6detail15normal_iteratorINS9_10device_ptrIyEEEESE_yNS9_4plusIvEEyEEDaPvRmT3_T4_T5_mT6_P12ihipStream_tbENKUlT_T0_E_clISt17integral_constantIbLb0EEST_IbLb1EEEEDaSP_SQ_EUlSP_E_NS1_11comp_targetILNS1_3genE2ELNS1_11target_archE906ELNS1_3gpuE6ELNS1_3repE0EEENS1_30default_config_static_selectorELNS0_4arch9wavefront6targetE1EEEvT1_.kd
    .uniform_work_group_size: 1
    .uses_dynamic_stack: false
    .vgpr_count:     0
    .vgpr_spill_count: 0
    .wavefront_size: 64
  - .agpr_count:     0
    .args:
      - .offset:         0
        .size:           104
        .value_kind:     by_value
    .group_segment_fixed_size: 0
    .kernarg_segment_align: 8
    .kernarg_segment_size: 104
    .language:       OpenCL C
    .language_version:
      - 2
      - 0
    .max_flat_workgroup_size: 256
    .name:           _ZN7rocprim17ROCPRIM_400000_NS6detail17trampoline_kernelINS0_14default_configENS1_20scan_config_selectorIyEEZZNS1_9scan_implILNS1_25lookback_scan_determinismE0ELb1ELb1ES3_N6thrust23THRUST_200600_302600_NS6detail15normal_iteratorINS9_10device_ptrIyEEEESE_yNS9_4plusIvEEyEEDaPvRmT3_T4_T5_mT6_P12ihipStream_tbENKUlT_T0_E_clISt17integral_constantIbLb0EEST_IbLb1EEEEDaSP_SQ_EUlSP_E_NS1_11comp_targetILNS1_3genE10ELNS1_11target_archE1201ELNS1_3gpuE5ELNS1_3repE0EEENS1_30default_config_static_selectorELNS0_4arch9wavefront6targetE1EEEvT1_
    .private_segment_fixed_size: 0
    .sgpr_count:     4
    .sgpr_spill_count: 0
    .symbol:         _ZN7rocprim17ROCPRIM_400000_NS6detail17trampoline_kernelINS0_14default_configENS1_20scan_config_selectorIyEEZZNS1_9scan_implILNS1_25lookback_scan_determinismE0ELb1ELb1ES3_N6thrust23THRUST_200600_302600_NS6detail15normal_iteratorINS9_10device_ptrIyEEEESE_yNS9_4plusIvEEyEEDaPvRmT3_T4_T5_mT6_P12ihipStream_tbENKUlT_T0_E_clISt17integral_constantIbLb0EEST_IbLb1EEEEDaSP_SQ_EUlSP_E_NS1_11comp_targetILNS1_3genE10ELNS1_11target_archE1201ELNS1_3gpuE5ELNS1_3repE0EEENS1_30default_config_static_selectorELNS0_4arch9wavefront6targetE1EEEvT1_.kd
    .uniform_work_group_size: 1
    .uses_dynamic_stack: false
    .vgpr_count:     0
    .vgpr_spill_count: 0
    .wavefront_size: 64
  - .agpr_count:     0
    .args:
      - .offset:         0
        .size:           104
        .value_kind:     by_value
    .group_segment_fixed_size: 0
    .kernarg_segment_align: 8
    .kernarg_segment_size: 104
    .language:       OpenCL C
    .language_version:
      - 2
      - 0
    .max_flat_workgroup_size: 256
    .name:           _ZN7rocprim17ROCPRIM_400000_NS6detail17trampoline_kernelINS0_14default_configENS1_20scan_config_selectorIyEEZZNS1_9scan_implILNS1_25lookback_scan_determinismE0ELb1ELb1ES3_N6thrust23THRUST_200600_302600_NS6detail15normal_iteratorINS9_10device_ptrIyEEEESE_yNS9_4plusIvEEyEEDaPvRmT3_T4_T5_mT6_P12ihipStream_tbENKUlT_T0_E_clISt17integral_constantIbLb0EEST_IbLb1EEEEDaSP_SQ_EUlSP_E_NS1_11comp_targetILNS1_3genE10ELNS1_11target_archE1200ELNS1_3gpuE4ELNS1_3repE0EEENS1_30default_config_static_selectorELNS0_4arch9wavefront6targetE1EEEvT1_
    .private_segment_fixed_size: 0
    .sgpr_count:     4
    .sgpr_spill_count: 0
    .symbol:         _ZN7rocprim17ROCPRIM_400000_NS6detail17trampoline_kernelINS0_14default_configENS1_20scan_config_selectorIyEEZZNS1_9scan_implILNS1_25lookback_scan_determinismE0ELb1ELb1ES3_N6thrust23THRUST_200600_302600_NS6detail15normal_iteratorINS9_10device_ptrIyEEEESE_yNS9_4plusIvEEyEEDaPvRmT3_T4_T5_mT6_P12ihipStream_tbENKUlT_T0_E_clISt17integral_constantIbLb0EEST_IbLb1EEEEDaSP_SQ_EUlSP_E_NS1_11comp_targetILNS1_3genE10ELNS1_11target_archE1200ELNS1_3gpuE4ELNS1_3repE0EEENS1_30default_config_static_selectorELNS0_4arch9wavefront6targetE1EEEvT1_.kd
    .uniform_work_group_size: 1
    .uses_dynamic_stack: false
    .vgpr_count:     0
    .vgpr_spill_count: 0
    .wavefront_size: 64
  - .agpr_count:     0
    .args:
      - .offset:         0
        .size:           104
        .value_kind:     by_value
    .group_segment_fixed_size: 0
    .kernarg_segment_align: 8
    .kernarg_segment_size: 104
    .language:       OpenCL C
    .language_version:
      - 2
      - 0
    .max_flat_workgroup_size: 256
    .name:           _ZN7rocprim17ROCPRIM_400000_NS6detail17trampoline_kernelINS0_14default_configENS1_20scan_config_selectorIyEEZZNS1_9scan_implILNS1_25lookback_scan_determinismE0ELb1ELb1ES3_N6thrust23THRUST_200600_302600_NS6detail15normal_iteratorINS9_10device_ptrIyEEEESE_yNS9_4plusIvEEyEEDaPvRmT3_T4_T5_mT6_P12ihipStream_tbENKUlT_T0_E_clISt17integral_constantIbLb0EEST_IbLb1EEEEDaSP_SQ_EUlSP_E_NS1_11comp_targetILNS1_3genE9ELNS1_11target_archE1100ELNS1_3gpuE3ELNS1_3repE0EEENS1_30default_config_static_selectorELNS0_4arch9wavefront6targetE1EEEvT1_
    .private_segment_fixed_size: 0
    .sgpr_count:     4
    .sgpr_spill_count: 0
    .symbol:         _ZN7rocprim17ROCPRIM_400000_NS6detail17trampoline_kernelINS0_14default_configENS1_20scan_config_selectorIyEEZZNS1_9scan_implILNS1_25lookback_scan_determinismE0ELb1ELb1ES3_N6thrust23THRUST_200600_302600_NS6detail15normal_iteratorINS9_10device_ptrIyEEEESE_yNS9_4plusIvEEyEEDaPvRmT3_T4_T5_mT6_P12ihipStream_tbENKUlT_T0_E_clISt17integral_constantIbLb0EEST_IbLb1EEEEDaSP_SQ_EUlSP_E_NS1_11comp_targetILNS1_3genE9ELNS1_11target_archE1100ELNS1_3gpuE3ELNS1_3repE0EEENS1_30default_config_static_selectorELNS0_4arch9wavefront6targetE1EEEvT1_.kd
    .uniform_work_group_size: 1
    .uses_dynamic_stack: false
    .vgpr_count:     0
    .vgpr_spill_count: 0
    .wavefront_size: 64
  - .agpr_count:     0
    .args:
      - .offset:         0
        .size:           104
        .value_kind:     by_value
    .group_segment_fixed_size: 0
    .kernarg_segment_align: 8
    .kernarg_segment_size: 104
    .language:       OpenCL C
    .language_version:
      - 2
      - 0
    .max_flat_workgroup_size: 256
    .name:           _ZN7rocprim17ROCPRIM_400000_NS6detail17trampoline_kernelINS0_14default_configENS1_20scan_config_selectorIyEEZZNS1_9scan_implILNS1_25lookback_scan_determinismE0ELb1ELb1ES3_N6thrust23THRUST_200600_302600_NS6detail15normal_iteratorINS9_10device_ptrIyEEEESE_yNS9_4plusIvEEyEEDaPvRmT3_T4_T5_mT6_P12ihipStream_tbENKUlT_T0_E_clISt17integral_constantIbLb0EEST_IbLb1EEEEDaSP_SQ_EUlSP_E_NS1_11comp_targetILNS1_3genE8ELNS1_11target_archE1030ELNS1_3gpuE2ELNS1_3repE0EEENS1_30default_config_static_selectorELNS0_4arch9wavefront6targetE1EEEvT1_
    .private_segment_fixed_size: 0
    .sgpr_count:     4
    .sgpr_spill_count: 0
    .symbol:         _ZN7rocprim17ROCPRIM_400000_NS6detail17trampoline_kernelINS0_14default_configENS1_20scan_config_selectorIyEEZZNS1_9scan_implILNS1_25lookback_scan_determinismE0ELb1ELb1ES3_N6thrust23THRUST_200600_302600_NS6detail15normal_iteratorINS9_10device_ptrIyEEEESE_yNS9_4plusIvEEyEEDaPvRmT3_T4_T5_mT6_P12ihipStream_tbENKUlT_T0_E_clISt17integral_constantIbLb0EEST_IbLb1EEEEDaSP_SQ_EUlSP_E_NS1_11comp_targetILNS1_3genE8ELNS1_11target_archE1030ELNS1_3gpuE2ELNS1_3repE0EEENS1_30default_config_static_selectorELNS0_4arch9wavefront6targetE1EEEvT1_.kd
    .uniform_work_group_size: 1
    .uses_dynamic_stack: false
    .vgpr_count:     0
    .vgpr_spill_count: 0
    .wavefront_size: 64
  - .agpr_count:     0
    .args:
      - .offset:         0
        .size:           40
        .value_kind:     by_value
    .group_segment_fixed_size: 0
    .kernarg_segment_align: 8
    .kernarg_segment_size: 40
    .language:       OpenCL C
    .language_version:
      - 2
      - 0
    .max_flat_workgroup_size: 256
    .name:           _ZN7rocprim17ROCPRIM_400000_NS6detail17trampoline_kernelINS0_14default_configENS1_20scan_config_selectorIyEEZZNS1_9scan_implILNS1_25lookback_scan_determinismE0ELb1ELb1ES3_N6thrust23THRUST_200600_302600_NS6detail15normal_iteratorINS9_10device_ptrIyEEEESE_yNS9_4plusIvEEyEEDaPvRmT3_T4_T5_mT6_P12ihipStream_tbENKUlT_T0_E_clISt17integral_constantIbLb0EEST_IbLb1EEEEDaSP_SQ_EUlSP_E0_NS1_11comp_targetILNS1_3genE0ELNS1_11target_archE4294967295ELNS1_3gpuE0ELNS1_3repE0EEENS1_30default_config_static_selectorELNS0_4arch9wavefront6targetE1EEEvT1_
    .private_segment_fixed_size: 0
    .sgpr_count:     4
    .sgpr_spill_count: 0
    .symbol:         _ZN7rocprim17ROCPRIM_400000_NS6detail17trampoline_kernelINS0_14default_configENS1_20scan_config_selectorIyEEZZNS1_9scan_implILNS1_25lookback_scan_determinismE0ELb1ELb1ES3_N6thrust23THRUST_200600_302600_NS6detail15normal_iteratorINS9_10device_ptrIyEEEESE_yNS9_4plusIvEEyEEDaPvRmT3_T4_T5_mT6_P12ihipStream_tbENKUlT_T0_E_clISt17integral_constantIbLb0EEST_IbLb1EEEEDaSP_SQ_EUlSP_E0_NS1_11comp_targetILNS1_3genE0ELNS1_11target_archE4294967295ELNS1_3gpuE0ELNS1_3repE0EEENS1_30default_config_static_selectorELNS0_4arch9wavefront6targetE1EEEvT1_.kd
    .uniform_work_group_size: 1
    .uses_dynamic_stack: false
    .vgpr_count:     0
    .vgpr_spill_count: 0
    .wavefront_size: 64
  - .agpr_count:     0
    .args:
      - .offset:         0
        .size:           40
        .value_kind:     by_value
    .group_segment_fixed_size: 0
    .kernarg_segment_align: 8
    .kernarg_segment_size: 40
    .language:       OpenCL C
    .language_version:
      - 2
      - 0
    .max_flat_workgroup_size: 256
    .name:           _ZN7rocprim17ROCPRIM_400000_NS6detail17trampoline_kernelINS0_14default_configENS1_20scan_config_selectorIyEEZZNS1_9scan_implILNS1_25lookback_scan_determinismE0ELb1ELb1ES3_N6thrust23THRUST_200600_302600_NS6detail15normal_iteratorINS9_10device_ptrIyEEEESE_yNS9_4plusIvEEyEEDaPvRmT3_T4_T5_mT6_P12ihipStream_tbENKUlT_T0_E_clISt17integral_constantIbLb0EEST_IbLb1EEEEDaSP_SQ_EUlSP_E0_NS1_11comp_targetILNS1_3genE5ELNS1_11target_archE942ELNS1_3gpuE9ELNS1_3repE0EEENS1_30default_config_static_selectorELNS0_4arch9wavefront6targetE1EEEvT1_
    .private_segment_fixed_size: 0
    .sgpr_count:     4
    .sgpr_spill_count: 0
    .symbol:         _ZN7rocprim17ROCPRIM_400000_NS6detail17trampoline_kernelINS0_14default_configENS1_20scan_config_selectorIyEEZZNS1_9scan_implILNS1_25lookback_scan_determinismE0ELb1ELb1ES3_N6thrust23THRUST_200600_302600_NS6detail15normal_iteratorINS9_10device_ptrIyEEEESE_yNS9_4plusIvEEyEEDaPvRmT3_T4_T5_mT6_P12ihipStream_tbENKUlT_T0_E_clISt17integral_constantIbLb0EEST_IbLb1EEEEDaSP_SQ_EUlSP_E0_NS1_11comp_targetILNS1_3genE5ELNS1_11target_archE942ELNS1_3gpuE9ELNS1_3repE0EEENS1_30default_config_static_selectorELNS0_4arch9wavefront6targetE1EEEvT1_.kd
    .uniform_work_group_size: 1
    .uses_dynamic_stack: false
    .vgpr_count:     0
    .vgpr_spill_count: 0
    .wavefront_size: 64
  - .agpr_count:     0
    .args:
      - .offset:         0
        .size:           40
        .value_kind:     by_value
    .group_segment_fixed_size: 7168
    .kernarg_segment_align: 8
    .kernarg_segment_size: 40
    .language:       OpenCL C
    .language_version:
      - 2
      - 0
    .max_flat_workgroup_size: 128
    .name:           _ZN7rocprim17ROCPRIM_400000_NS6detail17trampoline_kernelINS0_14default_configENS1_20scan_config_selectorIyEEZZNS1_9scan_implILNS1_25lookback_scan_determinismE0ELb1ELb1ES3_N6thrust23THRUST_200600_302600_NS6detail15normal_iteratorINS9_10device_ptrIyEEEESE_yNS9_4plusIvEEyEEDaPvRmT3_T4_T5_mT6_P12ihipStream_tbENKUlT_T0_E_clISt17integral_constantIbLb0EEST_IbLb1EEEEDaSP_SQ_EUlSP_E0_NS1_11comp_targetILNS1_3genE4ELNS1_11target_archE910ELNS1_3gpuE8ELNS1_3repE0EEENS1_30default_config_static_selectorELNS0_4arch9wavefront6targetE1EEEvT1_
    .private_segment_fixed_size: 0
    .sgpr_count:     28
    .sgpr_spill_count: 0
    .symbol:         _ZN7rocprim17ROCPRIM_400000_NS6detail17trampoline_kernelINS0_14default_configENS1_20scan_config_selectorIyEEZZNS1_9scan_implILNS1_25lookback_scan_determinismE0ELb1ELb1ES3_N6thrust23THRUST_200600_302600_NS6detail15normal_iteratorINS9_10device_ptrIyEEEESE_yNS9_4plusIvEEyEEDaPvRmT3_T4_T5_mT6_P12ihipStream_tbENKUlT_T0_E_clISt17integral_constantIbLb0EEST_IbLb1EEEEDaSP_SQ_EUlSP_E0_NS1_11comp_targetILNS1_3genE4ELNS1_11target_archE910ELNS1_3gpuE8ELNS1_3repE0EEENS1_30default_config_static_selectorELNS0_4arch9wavefront6targetE1EEEvT1_.kd
    .uniform_work_group_size: 1
    .uses_dynamic_stack: false
    .vgpr_count:     29
    .vgpr_spill_count: 0
    .wavefront_size: 64
  - .agpr_count:     0
    .args:
      - .offset:         0
        .size:           40
        .value_kind:     by_value
    .group_segment_fixed_size: 0
    .kernarg_segment_align: 8
    .kernarg_segment_size: 40
    .language:       OpenCL C
    .language_version:
      - 2
      - 0
    .max_flat_workgroup_size: 256
    .name:           _ZN7rocprim17ROCPRIM_400000_NS6detail17trampoline_kernelINS0_14default_configENS1_20scan_config_selectorIyEEZZNS1_9scan_implILNS1_25lookback_scan_determinismE0ELb1ELb1ES3_N6thrust23THRUST_200600_302600_NS6detail15normal_iteratorINS9_10device_ptrIyEEEESE_yNS9_4plusIvEEyEEDaPvRmT3_T4_T5_mT6_P12ihipStream_tbENKUlT_T0_E_clISt17integral_constantIbLb0EEST_IbLb1EEEEDaSP_SQ_EUlSP_E0_NS1_11comp_targetILNS1_3genE3ELNS1_11target_archE908ELNS1_3gpuE7ELNS1_3repE0EEENS1_30default_config_static_selectorELNS0_4arch9wavefront6targetE1EEEvT1_
    .private_segment_fixed_size: 0
    .sgpr_count:     4
    .sgpr_spill_count: 0
    .symbol:         _ZN7rocprim17ROCPRIM_400000_NS6detail17trampoline_kernelINS0_14default_configENS1_20scan_config_selectorIyEEZZNS1_9scan_implILNS1_25lookback_scan_determinismE0ELb1ELb1ES3_N6thrust23THRUST_200600_302600_NS6detail15normal_iteratorINS9_10device_ptrIyEEEESE_yNS9_4plusIvEEyEEDaPvRmT3_T4_T5_mT6_P12ihipStream_tbENKUlT_T0_E_clISt17integral_constantIbLb0EEST_IbLb1EEEEDaSP_SQ_EUlSP_E0_NS1_11comp_targetILNS1_3genE3ELNS1_11target_archE908ELNS1_3gpuE7ELNS1_3repE0EEENS1_30default_config_static_selectorELNS0_4arch9wavefront6targetE1EEEvT1_.kd
    .uniform_work_group_size: 1
    .uses_dynamic_stack: false
    .vgpr_count:     0
    .vgpr_spill_count: 0
    .wavefront_size: 64
  - .agpr_count:     0
    .args:
      - .offset:         0
        .size:           40
        .value_kind:     by_value
    .group_segment_fixed_size: 0
    .kernarg_segment_align: 8
    .kernarg_segment_size: 40
    .language:       OpenCL C
    .language_version:
      - 2
      - 0
    .max_flat_workgroup_size: 64
    .name:           _ZN7rocprim17ROCPRIM_400000_NS6detail17trampoline_kernelINS0_14default_configENS1_20scan_config_selectorIyEEZZNS1_9scan_implILNS1_25lookback_scan_determinismE0ELb1ELb1ES3_N6thrust23THRUST_200600_302600_NS6detail15normal_iteratorINS9_10device_ptrIyEEEESE_yNS9_4plusIvEEyEEDaPvRmT3_T4_T5_mT6_P12ihipStream_tbENKUlT_T0_E_clISt17integral_constantIbLb0EEST_IbLb1EEEEDaSP_SQ_EUlSP_E0_NS1_11comp_targetILNS1_3genE2ELNS1_11target_archE906ELNS1_3gpuE6ELNS1_3repE0EEENS1_30default_config_static_selectorELNS0_4arch9wavefront6targetE1EEEvT1_
    .private_segment_fixed_size: 0
    .sgpr_count:     4
    .sgpr_spill_count: 0
    .symbol:         _ZN7rocprim17ROCPRIM_400000_NS6detail17trampoline_kernelINS0_14default_configENS1_20scan_config_selectorIyEEZZNS1_9scan_implILNS1_25lookback_scan_determinismE0ELb1ELb1ES3_N6thrust23THRUST_200600_302600_NS6detail15normal_iteratorINS9_10device_ptrIyEEEESE_yNS9_4plusIvEEyEEDaPvRmT3_T4_T5_mT6_P12ihipStream_tbENKUlT_T0_E_clISt17integral_constantIbLb0EEST_IbLb1EEEEDaSP_SQ_EUlSP_E0_NS1_11comp_targetILNS1_3genE2ELNS1_11target_archE906ELNS1_3gpuE6ELNS1_3repE0EEENS1_30default_config_static_selectorELNS0_4arch9wavefront6targetE1EEEvT1_.kd
    .uniform_work_group_size: 1
    .uses_dynamic_stack: false
    .vgpr_count:     0
    .vgpr_spill_count: 0
    .wavefront_size: 64
  - .agpr_count:     0
    .args:
      - .offset:         0
        .size:           40
        .value_kind:     by_value
    .group_segment_fixed_size: 0
    .kernarg_segment_align: 8
    .kernarg_segment_size: 40
    .language:       OpenCL C
    .language_version:
      - 2
      - 0
    .max_flat_workgroup_size: 256
    .name:           _ZN7rocprim17ROCPRIM_400000_NS6detail17trampoline_kernelINS0_14default_configENS1_20scan_config_selectorIyEEZZNS1_9scan_implILNS1_25lookback_scan_determinismE0ELb1ELb1ES3_N6thrust23THRUST_200600_302600_NS6detail15normal_iteratorINS9_10device_ptrIyEEEESE_yNS9_4plusIvEEyEEDaPvRmT3_T4_T5_mT6_P12ihipStream_tbENKUlT_T0_E_clISt17integral_constantIbLb0EEST_IbLb1EEEEDaSP_SQ_EUlSP_E0_NS1_11comp_targetILNS1_3genE10ELNS1_11target_archE1201ELNS1_3gpuE5ELNS1_3repE0EEENS1_30default_config_static_selectorELNS0_4arch9wavefront6targetE1EEEvT1_
    .private_segment_fixed_size: 0
    .sgpr_count:     4
    .sgpr_spill_count: 0
    .symbol:         _ZN7rocprim17ROCPRIM_400000_NS6detail17trampoline_kernelINS0_14default_configENS1_20scan_config_selectorIyEEZZNS1_9scan_implILNS1_25lookback_scan_determinismE0ELb1ELb1ES3_N6thrust23THRUST_200600_302600_NS6detail15normal_iteratorINS9_10device_ptrIyEEEESE_yNS9_4plusIvEEyEEDaPvRmT3_T4_T5_mT6_P12ihipStream_tbENKUlT_T0_E_clISt17integral_constantIbLb0EEST_IbLb1EEEEDaSP_SQ_EUlSP_E0_NS1_11comp_targetILNS1_3genE10ELNS1_11target_archE1201ELNS1_3gpuE5ELNS1_3repE0EEENS1_30default_config_static_selectorELNS0_4arch9wavefront6targetE1EEEvT1_.kd
    .uniform_work_group_size: 1
    .uses_dynamic_stack: false
    .vgpr_count:     0
    .vgpr_spill_count: 0
    .wavefront_size: 64
  - .agpr_count:     0
    .args:
      - .offset:         0
        .size:           40
        .value_kind:     by_value
    .group_segment_fixed_size: 0
    .kernarg_segment_align: 8
    .kernarg_segment_size: 40
    .language:       OpenCL C
    .language_version:
      - 2
      - 0
    .max_flat_workgroup_size: 256
    .name:           _ZN7rocprim17ROCPRIM_400000_NS6detail17trampoline_kernelINS0_14default_configENS1_20scan_config_selectorIyEEZZNS1_9scan_implILNS1_25lookback_scan_determinismE0ELb1ELb1ES3_N6thrust23THRUST_200600_302600_NS6detail15normal_iteratorINS9_10device_ptrIyEEEESE_yNS9_4plusIvEEyEEDaPvRmT3_T4_T5_mT6_P12ihipStream_tbENKUlT_T0_E_clISt17integral_constantIbLb0EEST_IbLb1EEEEDaSP_SQ_EUlSP_E0_NS1_11comp_targetILNS1_3genE10ELNS1_11target_archE1200ELNS1_3gpuE4ELNS1_3repE0EEENS1_30default_config_static_selectorELNS0_4arch9wavefront6targetE1EEEvT1_
    .private_segment_fixed_size: 0
    .sgpr_count:     4
    .sgpr_spill_count: 0
    .symbol:         _ZN7rocprim17ROCPRIM_400000_NS6detail17trampoline_kernelINS0_14default_configENS1_20scan_config_selectorIyEEZZNS1_9scan_implILNS1_25lookback_scan_determinismE0ELb1ELb1ES3_N6thrust23THRUST_200600_302600_NS6detail15normal_iteratorINS9_10device_ptrIyEEEESE_yNS9_4plusIvEEyEEDaPvRmT3_T4_T5_mT6_P12ihipStream_tbENKUlT_T0_E_clISt17integral_constantIbLb0EEST_IbLb1EEEEDaSP_SQ_EUlSP_E0_NS1_11comp_targetILNS1_3genE10ELNS1_11target_archE1200ELNS1_3gpuE4ELNS1_3repE0EEENS1_30default_config_static_selectorELNS0_4arch9wavefront6targetE1EEEvT1_.kd
    .uniform_work_group_size: 1
    .uses_dynamic_stack: false
    .vgpr_count:     0
    .vgpr_spill_count: 0
    .wavefront_size: 64
  - .agpr_count:     0
    .args:
      - .offset:         0
        .size:           40
        .value_kind:     by_value
    .group_segment_fixed_size: 0
    .kernarg_segment_align: 8
    .kernarg_segment_size: 40
    .language:       OpenCL C
    .language_version:
      - 2
      - 0
    .max_flat_workgroup_size: 256
    .name:           _ZN7rocprim17ROCPRIM_400000_NS6detail17trampoline_kernelINS0_14default_configENS1_20scan_config_selectorIyEEZZNS1_9scan_implILNS1_25lookback_scan_determinismE0ELb1ELb1ES3_N6thrust23THRUST_200600_302600_NS6detail15normal_iteratorINS9_10device_ptrIyEEEESE_yNS9_4plusIvEEyEEDaPvRmT3_T4_T5_mT6_P12ihipStream_tbENKUlT_T0_E_clISt17integral_constantIbLb0EEST_IbLb1EEEEDaSP_SQ_EUlSP_E0_NS1_11comp_targetILNS1_3genE9ELNS1_11target_archE1100ELNS1_3gpuE3ELNS1_3repE0EEENS1_30default_config_static_selectorELNS0_4arch9wavefront6targetE1EEEvT1_
    .private_segment_fixed_size: 0
    .sgpr_count:     4
    .sgpr_spill_count: 0
    .symbol:         _ZN7rocprim17ROCPRIM_400000_NS6detail17trampoline_kernelINS0_14default_configENS1_20scan_config_selectorIyEEZZNS1_9scan_implILNS1_25lookback_scan_determinismE0ELb1ELb1ES3_N6thrust23THRUST_200600_302600_NS6detail15normal_iteratorINS9_10device_ptrIyEEEESE_yNS9_4plusIvEEyEEDaPvRmT3_T4_T5_mT6_P12ihipStream_tbENKUlT_T0_E_clISt17integral_constantIbLb0EEST_IbLb1EEEEDaSP_SQ_EUlSP_E0_NS1_11comp_targetILNS1_3genE9ELNS1_11target_archE1100ELNS1_3gpuE3ELNS1_3repE0EEENS1_30default_config_static_selectorELNS0_4arch9wavefront6targetE1EEEvT1_.kd
    .uniform_work_group_size: 1
    .uses_dynamic_stack: false
    .vgpr_count:     0
    .vgpr_spill_count: 0
    .wavefront_size: 64
  - .agpr_count:     0
    .args:
      - .offset:         0
        .size:           40
        .value_kind:     by_value
    .group_segment_fixed_size: 0
    .kernarg_segment_align: 8
    .kernarg_segment_size: 40
    .language:       OpenCL C
    .language_version:
      - 2
      - 0
    .max_flat_workgroup_size: 256
    .name:           _ZN7rocprim17ROCPRIM_400000_NS6detail17trampoline_kernelINS0_14default_configENS1_20scan_config_selectorIyEEZZNS1_9scan_implILNS1_25lookback_scan_determinismE0ELb1ELb1ES3_N6thrust23THRUST_200600_302600_NS6detail15normal_iteratorINS9_10device_ptrIyEEEESE_yNS9_4plusIvEEyEEDaPvRmT3_T4_T5_mT6_P12ihipStream_tbENKUlT_T0_E_clISt17integral_constantIbLb0EEST_IbLb1EEEEDaSP_SQ_EUlSP_E0_NS1_11comp_targetILNS1_3genE8ELNS1_11target_archE1030ELNS1_3gpuE2ELNS1_3repE0EEENS1_30default_config_static_selectorELNS0_4arch9wavefront6targetE1EEEvT1_
    .private_segment_fixed_size: 0
    .sgpr_count:     4
    .sgpr_spill_count: 0
    .symbol:         _ZN7rocprim17ROCPRIM_400000_NS6detail17trampoline_kernelINS0_14default_configENS1_20scan_config_selectorIyEEZZNS1_9scan_implILNS1_25lookback_scan_determinismE0ELb1ELb1ES3_N6thrust23THRUST_200600_302600_NS6detail15normal_iteratorINS9_10device_ptrIyEEEESE_yNS9_4plusIvEEyEEDaPvRmT3_T4_T5_mT6_P12ihipStream_tbENKUlT_T0_E_clISt17integral_constantIbLb0EEST_IbLb1EEEEDaSP_SQ_EUlSP_E0_NS1_11comp_targetILNS1_3genE8ELNS1_11target_archE1030ELNS1_3gpuE2ELNS1_3repE0EEENS1_30default_config_static_selectorELNS0_4arch9wavefront6targetE1EEEvT1_.kd
    .uniform_work_group_size: 1
    .uses_dynamic_stack: false
    .vgpr_count:     0
    .vgpr_spill_count: 0
    .wavefront_size: 64
  - .agpr_count:     0
    .args:
      - .offset:         0
        .size:           96
        .value_kind:     by_value
    .group_segment_fixed_size: 0
    .kernarg_segment_align: 8
    .kernarg_segment_size: 96
    .language:       OpenCL C
    .language_version:
      - 2
      - 0
    .max_flat_workgroup_size: 256
    .name:           _ZN7rocprim17ROCPRIM_400000_NS6detail17trampoline_kernelINS0_14default_configENS1_20scan_config_selectorIjEEZZNS1_9scan_implILNS1_25lookback_scan_determinismE0ELb0ELb0ES3_N6thrust23THRUST_200600_302600_NS6detail15normal_iteratorINS9_10device_ptrIjEEEESE_jNS9_4plusIvEEjEEDaPvRmT3_T4_T5_mT6_P12ihipStream_tbENKUlT_T0_E_clISt17integral_constantIbLb0EESU_EEDaSP_SQ_EUlSP_E_NS1_11comp_targetILNS1_3genE0ELNS1_11target_archE4294967295ELNS1_3gpuE0ELNS1_3repE0EEENS1_30default_config_static_selectorELNS0_4arch9wavefront6targetE1EEEvT1_
    .private_segment_fixed_size: 0
    .sgpr_count:     4
    .sgpr_spill_count: 0
    .symbol:         _ZN7rocprim17ROCPRIM_400000_NS6detail17trampoline_kernelINS0_14default_configENS1_20scan_config_selectorIjEEZZNS1_9scan_implILNS1_25lookback_scan_determinismE0ELb0ELb0ES3_N6thrust23THRUST_200600_302600_NS6detail15normal_iteratorINS9_10device_ptrIjEEEESE_jNS9_4plusIvEEjEEDaPvRmT3_T4_T5_mT6_P12ihipStream_tbENKUlT_T0_E_clISt17integral_constantIbLb0EESU_EEDaSP_SQ_EUlSP_E_NS1_11comp_targetILNS1_3genE0ELNS1_11target_archE4294967295ELNS1_3gpuE0ELNS1_3repE0EEENS1_30default_config_static_selectorELNS0_4arch9wavefront6targetE1EEEvT1_.kd
    .uniform_work_group_size: 1
    .uses_dynamic_stack: false
    .vgpr_count:     0
    .vgpr_spill_count: 0
    .wavefront_size: 64
  - .agpr_count:     0
    .args:
      - .offset:         0
        .size:           96
        .value_kind:     by_value
    .group_segment_fixed_size: 0
    .kernarg_segment_align: 8
    .kernarg_segment_size: 96
    .language:       OpenCL C
    .language_version:
      - 2
      - 0
    .max_flat_workgroup_size: 256
    .name:           _ZN7rocprim17ROCPRIM_400000_NS6detail17trampoline_kernelINS0_14default_configENS1_20scan_config_selectorIjEEZZNS1_9scan_implILNS1_25lookback_scan_determinismE0ELb0ELb0ES3_N6thrust23THRUST_200600_302600_NS6detail15normal_iteratorINS9_10device_ptrIjEEEESE_jNS9_4plusIvEEjEEDaPvRmT3_T4_T5_mT6_P12ihipStream_tbENKUlT_T0_E_clISt17integral_constantIbLb0EESU_EEDaSP_SQ_EUlSP_E_NS1_11comp_targetILNS1_3genE5ELNS1_11target_archE942ELNS1_3gpuE9ELNS1_3repE0EEENS1_30default_config_static_selectorELNS0_4arch9wavefront6targetE1EEEvT1_
    .private_segment_fixed_size: 0
    .sgpr_count:     4
    .sgpr_spill_count: 0
    .symbol:         _ZN7rocprim17ROCPRIM_400000_NS6detail17trampoline_kernelINS0_14default_configENS1_20scan_config_selectorIjEEZZNS1_9scan_implILNS1_25lookback_scan_determinismE0ELb0ELb0ES3_N6thrust23THRUST_200600_302600_NS6detail15normal_iteratorINS9_10device_ptrIjEEEESE_jNS9_4plusIvEEjEEDaPvRmT3_T4_T5_mT6_P12ihipStream_tbENKUlT_T0_E_clISt17integral_constantIbLb0EESU_EEDaSP_SQ_EUlSP_E_NS1_11comp_targetILNS1_3genE5ELNS1_11target_archE942ELNS1_3gpuE9ELNS1_3repE0EEENS1_30default_config_static_selectorELNS0_4arch9wavefront6targetE1EEEvT1_.kd
    .uniform_work_group_size: 1
    .uses_dynamic_stack: false
    .vgpr_count:     0
    .vgpr_spill_count: 0
    .wavefront_size: 64
  - .agpr_count:     0
    .args:
      - .offset:         0
        .size:           96
        .value_kind:     by_value
    .group_segment_fixed_size: 5120
    .kernarg_segment_align: 8
    .kernarg_segment_size: 96
    .language:       OpenCL C
    .language_version:
      - 2
      - 0
    .max_flat_workgroup_size: 128
    .name:           _ZN7rocprim17ROCPRIM_400000_NS6detail17trampoline_kernelINS0_14default_configENS1_20scan_config_selectorIjEEZZNS1_9scan_implILNS1_25lookback_scan_determinismE0ELb0ELb0ES3_N6thrust23THRUST_200600_302600_NS6detail15normal_iteratorINS9_10device_ptrIjEEEESE_jNS9_4plusIvEEjEEDaPvRmT3_T4_T5_mT6_P12ihipStream_tbENKUlT_T0_E_clISt17integral_constantIbLb0EESU_EEDaSP_SQ_EUlSP_E_NS1_11comp_targetILNS1_3genE4ELNS1_11target_archE910ELNS1_3gpuE8ELNS1_3repE0EEENS1_30default_config_static_selectorELNS0_4arch9wavefront6targetE1EEEvT1_
    .private_segment_fixed_size: 0
    .sgpr_count:     32
    .sgpr_spill_count: 0
    .symbol:         _ZN7rocprim17ROCPRIM_400000_NS6detail17trampoline_kernelINS0_14default_configENS1_20scan_config_selectorIjEEZZNS1_9scan_implILNS1_25lookback_scan_determinismE0ELb0ELb0ES3_N6thrust23THRUST_200600_302600_NS6detail15normal_iteratorINS9_10device_ptrIjEEEESE_jNS9_4plusIvEEjEEDaPvRmT3_T4_T5_mT6_P12ihipStream_tbENKUlT_T0_E_clISt17integral_constantIbLb0EESU_EEDaSP_SQ_EUlSP_E_NS1_11comp_targetILNS1_3genE4ELNS1_11target_archE910ELNS1_3gpuE8ELNS1_3repE0EEENS1_30default_config_static_selectorELNS0_4arch9wavefront6targetE1EEEvT1_.kd
    .uniform_work_group_size: 1
    .uses_dynamic_stack: false
    .vgpr_count:     40
    .vgpr_spill_count: 0
    .wavefront_size: 64
  - .agpr_count:     0
    .args:
      - .offset:         0
        .size:           96
        .value_kind:     by_value
    .group_segment_fixed_size: 0
    .kernarg_segment_align: 8
    .kernarg_segment_size: 96
    .language:       OpenCL C
    .language_version:
      - 2
      - 0
    .max_flat_workgroup_size: 256
    .name:           _ZN7rocprim17ROCPRIM_400000_NS6detail17trampoline_kernelINS0_14default_configENS1_20scan_config_selectorIjEEZZNS1_9scan_implILNS1_25lookback_scan_determinismE0ELb0ELb0ES3_N6thrust23THRUST_200600_302600_NS6detail15normal_iteratorINS9_10device_ptrIjEEEESE_jNS9_4plusIvEEjEEDaPvRmT3_T4_T5_mT6_P12ihipStream_tbENKUlT_T0_E_clISt17integral_constantIbLb0EESU_EEDaSP_SQ_EUlSP_E_NS1_11comp_targetILNS1_3genE3ELNS1_11target_archE908ELNS1_3gpuE7ELNS1_3repE0EEENS1_30default_config_static_selectorELNS0_4arch9wavefront6targetE1EEEvT1_
    .private_segment_fixed_size: 0
    .sgpr_count:     4
    .sgpr_spill_count: 0
    .symbol:         _ZN7rocprim17ROCPRIM_400000_NS6detail17trampoline_kernelINS0_14default_configENS1_20scan_config_selectorIjEEZZNS1_9scan_implILNS1_25lookback_scan_determinismE0ELb0ELb0ES3_N6thrust23THRUST_200600_302600_NS6detail15normal_iteratorINS9_10device_ptrIjEEEESE_jNS9_4plusIvEEjEEDaPvRmT3_T4_T5_mT6_P12ihipStream_tbENKUlT_T0_E_clISt17integral_constantIbLb0EESU_EEDaSP_SQ_EUlSP_E_NS1_11comp_targetILNS1_3genE3ELNS1_11target_archE908ELNS1_3gpuE7ELNS1_3repE0EEENS1_30default_config_static_selectorELNS0_4arch9wavefront6targetE1EEEvT1_.kd
    .uniform_work_group_size: 1
    .uses_dynamic_stack: false
    .vgpr_count:     0
    .vgpr_spill_count: 0
    .wavefront_size: 64
  - .agpr_count:     0
    .args:
      - .offset:         0
        .size:           96
        .value_kind:     by_value
    .group_segment_fixed_size: 0
    .kernarg_segment_align: 8
    .kernarg_segment_size: 96
    .language:       OpenCL C
    .language_version:
      - 2
      - 0
    .max_flat_workgroup_size: 256
    .name:           _ZN7rocprim17ROCPRIM_400000_NS6detail17trampoline_kernelINS0_14default_configENS1_20scan_config_selectorIjEEZZNS1_9scan_implILNS1_25lookback_scan_determinismE0ELb0ELb0ES3_N6thrust23THRUST_200600_302600_NS6detail15normal_iteratorINS9_10device_ptrIjEEEESE_jNS9_4plusIvEEjEEDaPvRmT3_T4_T5_mT6_P12ihipStream_tbENKUlT_T0_E_clISt17integral_constantIbLb0EESU_EEDaSP_SQ_EUlSP_E_NS1_11comp_targetILNS1_3genE2ELNS1_11target_archE906ELNS1_3gpuE6ELNS1_3repE0EEENS1_30default_config_static_selectorELNS0_4arch9wavefront6targetE1EEEvT1_
    .private_segment_fixed_size: 0
    .sgpr_count:     4
    .sgpr_spill_count: 0
    .symbol:         _ZN7rocprim17ROCPRIM_400000_NS6detail17trampoline_kernelINS0_14default_configENS1_20scan_config_selectorIjEEZZNS1_9scan_implILNS1_25lookback_scan_determinismE0ELb0ELb0ES3_N6thrust23THRUST_200600_302600_NS6detail15normal_iteratorINS9_10device_ptrIjEEEESE_jNS9_4plusIvEEjEEDaPvRmT3_T4_T5_mT6_P12ihipStream_tbENKUlT_T0_E_clISt17integral_constantIbLb0EESU_EEDaSP_SQ_EUlSP_E_NS1_11comp_targetILNS1_3genE2ELNS1_11target_archE906ELNS1_3gpuE6ELNS1_3repE0EEENS1_30default_config_static_selectorELNS0_4arch9wavefront6targetE1EEEvT1_.kd
    .uniform_work_group_size: 1
    .uses_dynamic_stack: false
    .vgpr_count:     0
    .vgpr_spill_count: 0
    .wavefront_size: 64
  - .agpr_count:     0
    .args:
      - .offset:         0
        .size:           96
        .value_kind:     by_value
    .group_segment_fixed_size: 0
    .kernarg_segment_align: 8
    .kernarg_segment_size: 96
    .language:       OpenCL C
    .language_version:
      - 2
      - 0
    .max_flat_workgroup_size: 256
    .name:           _ZN7rocprim17ROCPRIM_400000_NS6detail17trampoline_kernelINS0_14default_configENS1_20scan_config_selectorIjEEZZNS1_9scan_implILNS1_25lookback_scan_determinismE0ELb0ELb0ES3_N6thrust23THRUST_200600_302600_NS6detail15normal_iteratorINS9_10device_ptrIjEEEESE_jNS9_4plusIvEEjEEDaPvRmT3_T4_T5_mT6_P12ihipStream_tbENKUlT_T0_E_clISt17integral_constantIbLb0EESU_EEDaSP_SQ_EUlSP_E_NS1_11comp_targetILNS1_3genE10ELNS1_11target_archE1201ELNS1_3gpuE5ELNS1_3repE0EEENS1_30default_config_static_selectorELNS0_4arch9wavefront6targetE1EEEvT1_
    .private_segment_fixed_size: 0
    .sgpr_count:     4
    .sgpr_spill_count: 0
    .symbol:         _ZN7rocprim17ROCPRIM_400000_NS6detail17trampoline_kernelINS0_14default_configENS1_20scan_config_selectorIjEEZZNS1_9scan_implILNS1_25lookback_scan_determinismE0ELb0ELb0ES3_N6thrust23THRUST_200600_302600_NS6detail15normal_iteratorINS9_10device_ptrIjEEEESE_jNS9_4plusIvEEjEEDaPvRmT3_T4_T5_mT6_P12ihipStream_tbENKUlT_T0_E_clISt17integral_constantIbLb0EESU_EEDaSP_SQ_EUlSP_E_NS1_11comp_targetILNS1_3genE10ELNS1_11target_archE1201ELNS1_3gpuE5ELNS1_3repE0EEENS1_30default_config_static_selectorELNS0_4arch9wavefront6targetE1EEEvT1_.kd
    .uniform_work_group_size: 1
    .uses_dynamic_stack: false
    .vgpr_count:     0
    .vgpr_spill_count: 0
    .wavefront_size: 64
  - .agpr_count:     0
    .args:
      - .offset:         0
        .size:           96
        .value_kind:     by_value
    .group_segment_fixed_size: 0
    .kernarg_segment_align: 8
    .kernarg_segment_size: 96
    .language:       OpenCL C
    .language_version:
      - 2
      - 0
    .max_flat_workgroup_size: 256
    .name:           _ZN7rocprim17ROCPRIM_400000_NS6detail17trampoline_kernelINS0_14default_configENS1_20scan_config_selectorIjEEZZNS1_9scan_implILNS1_25lookback_scan_determinismE0ELb0ELb0ES3_N6thrust23THRUST_200600_302600_NS6detail15normal_iteratorINS9_10device_ptrIjEEEESE_jNS9_4plusIvEEjEEDaPvRmT3_T4_T5_mT6_P12ihipStream_tbENKUlT_T0_E_clISt17integral_constantIbLb0EESU_EEDaSP_SQ_EUlSP_E_NS1_11comp_targetILNS1_3genE10ELNS1_11target_archE1200ELNS1_3gpuE4ELNS1_3repE0EEENS1_30default_config_static_selectorELNS0_4arch9wavefront6targetE1EEEvT1_
    .private_segment_fixed_size: 0
    .sgpr_count:     4
    .sgpr_spill_count: 0
    .symbol:         _ZN7rocprim17ROCPRIM_400000_NS6detail17trampoline_kernelINS0_14default_configENS1_20scan_config_selectorIjEEZZNS1_9scan_implILNS1_25lookback_scan_determinismE0ELb0ELb0ES3_N6thrust23THRUST_200600_302600_NS6detail15normal_iteratorINS9_10device_ptrIjEEEESE_jNS9_4plusIvEEjEEDaPvRmT3_T4_T5_mT6_P12ihipStream_tbENKUlT_T0_E_clISt17integral_constantIbLb0EESU_EEDaSP_SQ_EUlSP_E_NS1_11comp_targetILNS1_3genE10ELNS1_11target_archE1200ELNS1_3gpuE4ELNS1_3repE0EEENS1_30default_config_static_selectorELNS0_4arch9wavefront6targetE1EEEvT1_.kd
    .uniform_work_group_size: 1
    .uses_dynamic_stack: false
    .vgpr_count:     0
    .vgpr_spill_count: 0
    .wavefront_size: 64
  - .agpr_count:     0
    .args:
      - .offset:         0
        .size:           96
        .value_kind:     by_value
    .group_segment_fixed_size: 0
    .kernarg_segment_align: 8
    .kernarg_segment_size: 96
    .language:       OpenCL C
    .language_version:
      - 2
      - 0
    .max_flat_workgroup_size: 256
    .name:           _ZN7rocprim17ROCPRIM_400000_NS6detail17trampoline_kernelINS0_14default_configENS1_20scan_config_selectorIjEEZZNS1_9scan_implILNS1_25lookback_scan_determinismE0ELb0ELb0ES3_N6thrust23THRUST_200600_302600_NS6detail15normal_iteratorINS9_10device_ptrIjEEEESE_jNS9_4plusIvEEjEEDaPvRmT3_T4_T5_mT6_P12ihipStream_tbENKUlT_T0_E_clISt17integral_constantIbLb0EESU_EEDaSP_SQ_EUlSP_E_NS1_11comp_targetILNS1_3genE9ELNS1_11target_archE1100ELNS1_3gpuE3ELNS1_3repE0EEENS1_30default_config_static_selectorELNS0_4arch9wavefront6targetE1EEEvT1_
    .private_segment_fixed_size: 0
    .sgpr_count:     4
    .sgpr_spill_count: 0
    .symbol:         _ZN7rocprim17ROCPRIM_400000_NS6detail17trampoline_kernelINS0_14default_configENS1_20scan_config_selectorIjEEZZNS1_9scan_implILNS1_25lookback_scan_determinismE0ELb0ELb0ES3_N6thrust23THRUST_200600_302600_NS6detail15normal_iteratorINS9_10device_ptrIjEEEESE_jNS9_4plusIvEEjEEDaPvRmT3_T4_T5_mT6_P12ihipStream_tbENKUlT_T0_E_clISt17integral_constantIbLb0EESU_EEDaSP_SQ_EUlSP_E_NS1_11comp_targetILNS1_3genE9ELNS1_11target_archE1100ELNS1_3gpuE3ELNS1_3repE0EEENS1_30default_config_static_selectorELNS0_4arch9wavefront6targetE1EEEvT1_.kd
    .uniform_work_group_size: 1
    .uses_dynamic_stack: false
    .vgpr_count:     0
    .vgpr_spill_count: 0
    .wavefront_size: 64
  - .agpr_count:     0
    .args:
      - .offset:         0
        .size:           96
        .value_kind:     by_value
    .group_segment_fixed_size: 0
    .kernarg_segment_align: 8
    .kernarg_segment_size: 96
    .language:       OpenCL C
    .language_version:
      - 2
      - 0
    .max_flat_workgroup_size: 64
    .name:           _ZN7rocprim17ROCPRIM_400000_NS6detail17trampoline_kernelINS0_14default_configENS1_20scan_config_selectorIjEEZZNS1_9scan_implILNS1_25lookback_scan_determinismE0ELb0ELb0ES3_N6thrust23THRUST_200600_302600_NS6detail15normal_iteratorINS9_10device_ptrIjEEEESE_jNS9_4plusIvEEjEEDaPvRmT3_T4_T5_mT6_P12ihipStream_tbENKUlT_T0_E_clISt17integral_constantIbLb0EESU_EEDaSP_SQ_EUlSP_E_NS1_11comp_targetILNS1_3genE8ELNS1_11target_archE1030ELNS1_3gpuE2ELNS1_3repE0EEENS1_30default_config_static_selectorELNS0_4arch9wavefront6targetE1EEEvT1_
    .private_segment_fixed_size: 0
    .sgpr_count:     4
    .sgpr_spill_count: 0
    .symbol:         _ZN7rocprim17ROCPRIM_400000_NS6detail17trampoline_kernelINS0_14default_configENS1_20scan_config_selectorIjEEZZNS1_9scan_implILNS1_25lookback_scan_determinismE0ELb0ELb0ES3_N6thrust23THRUST_200600_302600_NS6detail15normal_iteratorINS9_10device_ptrIjEEEESE_jNS9_4plusIvEEjEEDaPvRmT3_T4_T5_mT6_P12ihipStream_tbENKUlT_T0_E_clISt17integral_constantIbLb0EESU_EEDaSP_SQ_EUlSP_E_NS1_11comp_targetILNS1_3genE8ELNS1_11target_archE1030ELNS1_3gpuE2ELNS1_3repE0EEENS1_30default_config_static_selectorELNS0_4arch9wavefront6targetE1EEEvT1_.kd
    .uniform_work_group_size: 1
    .uses_dynamic_stack: false
    .vgpr_count:     0
    .vgpr_spill_count: 0
    .wavefront_size: 64
  - .agpr_count:     0
    .args:
      - .offset:         0
        .size:           32
        .value_kind:     by_value
    .group_segment_fixed_size: 0
    .kernarg_segment_align: 8
    .kernarg_segment_size: 32
    .language:       OpenCL C
    .language_version:
      - 2
      - 0
    .max_flat_workgroup_size: 256
    .name:           _ZN7rocprim17ROCPRIM_400000_NS6detail17trampoline_kernelINS0_14default_configENS1_20scan_config_selectorIjEEZZNS1_9scan_implILNS1_25lookback_scan_determinismE0ELb0ELb0ES3_N6thrust23THRUST_200600_302600_NS6detail15normal_iteratorINS9_10device_ptrIjEEEESE_jNS9_4plusIvEEjEEDaPvRmT3_T4_T5_mT6_P12ihipStream_tbENKUlT_T0_E_clISt17integral_constantIbLb0EESU_EEDaSP_SQ_EUlSP_E0_NS1_11comp_targetILNS1_3genE0ELNS1_11target_archE4294967295ELNS1_3gpuE0ELNS1_3repE0EEENS1_30default_config_static_selectorELNS0_4arch9wavefront6targetE1EEEvT1_
    .private_segment_fixed_size: 0
    .sgpr_count:     4
    .sgpr_spill_count: 0
    .symbol:         _ZN7rocprim17ROCPRIM_400000_NS6detail17trampoline_kernelINS0_14default_configENS1_20scan_config_selectorIjEEZZNS1_9scan_implILNS1_25lookback_scan_determinismE0ELb0ELb0ES3_N6thrust23THRUST_200600_302600_NS6detail15normal_iteratorINS9_10device_ptrIjEEEESE_jNS9_4plusIvEEjEEDaPvRmT3_T4_T5_mT6_P12ihipStream_tbENKUlT_T0_E_clISt17integral_constantIbLb0EESU_EEDaSP_SQ_EUlSP_E0_NS1_11comp_targetILNS1_3genE0ELNS1_11target_archE4294967295ELNS1_3gpuE0ELNS1_3repE0EEENS1_30default_config_static_selectorELNS0_4arch9wavefront6targetE1EEEvT1_.kd
    .uniform_work_group_size: 1
    .uses_dynamic_stack: false
    .vgpr_count:     0
    .vgpr_spill_count: 0
    .wavefront_size: 64
  - .agpr_count:     0
    .args:
      - .offset:         0
        .size:           32
        .value_kind:     by_value
    .group_segment_fixed_size: 0
    .kernarg_segment_align: 8
    .kernarg_segment_size: 32
    .language:       OpenCL C
    .language_version:
      - 2
      - 0
    .max_flat_workgroup_size: 256
    .name:           _ZN7rocprim17ROCPRIM_400000_NS6detail17trampoline_kernelINS0_14default_configENS1_20scan_config_selectorIjEEZZNS1_9scan_implILNS1_25lookback_scan_determinismE0ELb0ELb0ES3_N6thrust23THRUST_200600_302600_NS6detail15normal_iteratorINS9_10device_ptrIjEEEESE_jNS9_4plusIvEEjEEDaPvRmT3_T4_T5_mT6_P12ihipStream_tbENKUlT_T0_E_clISt17integral_constantIbLb0EESU_EEDaSP_SQ_EUlSP_E0_NS1_11comp_targetILNS1_3genE5ELNS1_11target_archE942ELNS1_3gpuE9ELNS1_3repE0EEENS1_30default_config_static_selectorELNS0_4arch9wavefront6targetE1EEEvT1_
    .private_segment_fixed_size: 0
    .sgpr_count:     4
    .sgpr_spill_count: 0
    .symbol:         _ZN7rocprim17ROCPRIM_400000_NS6detail17trampoline_kernelINS0_14default_configENS1_20scan_config_selectorIjEEZZNS1_9scan_implILNS1_25lookback_scan_determinismE0ELb0ELb0ES3_N6thrust23THRUST_200600_302600_NS6detail15normal_iteratorINS9_10device_ptrIjEEEESE_jNS9_4plusIvEEjEEDaPvRmT3_T4_T5_mT6_P12ihipStream_tbENKUlT_T0_E_clISt17integral_constantIbLb0EESU_EEDaSP_SQ_EUlSP_E0_NS1_11comp_targetILNS1_3genE5ELNS1_11target_archE942ELNS1_3gpuE9ELNS1_3repE0EEENS1_30default_config_static_selectorELNS0_4arch9wavefront6targetE1EEEvT1_.kd
    .uniform_work_group_size: 1
    .uses_dynamic_stack: false
    .vgpr_count:     0
    .vgpr_spill_count: 0
    .wavefront_size: 64
  - .agpr_count:     0
    .args:
      - .offset:         0
        .size:           32
        .value_kind:     by_value
    .group_segment_fixed_size: 5120
    .kernarg_segment_align: 8
    .kernarg_segment_size: 32
    .language:       OpenCL C
    .language_version:
      - 2
      - 0
    .max_flat_workgroup_size: 128
    .name:           _ZN7rocprim17ROCPRIM_400000_NS6detail17trampoline_kernelINS0_14default_configENS1_20scan_config_selectorIjEEZZNS1_9scan_implILNS1_25lookback_scan_determinismE0ELb0ELb0ES3_N6thrust23THRUST_200600_302600_NS6detail15normal_iteratorINS9_10device_ptrIjEEEESE_jNS9_4plusIvEEjEEDaPvRmT3_T4_T5_mT6_P12ihipStream_tbENKUlT_T0_E_clISt17integral_constantIbLb0EESU_EEDaSP_SQ_EUlSP_E0_NS1_11comp_targetILNS1_3genE4ELNS1_11target_archE910ELNS1_3gpuE8ELNS1_3repE0EEENS1_30default_config_static_selectorELNS0_4arch9wavefront6targetE1EEEvT1_
    .private_segment_fixed_size: 0
    .sgpr_count:     28
    .sgpr_spill_count: 0
    .symbol:         _ZN7rocprim17ROCPRIM_400000_NS6detail17trampoline_kernelINS0_14default_configENS1_20scan_config_selectorIjEEZZNS1_9scan_implILNS1_25lookback_scan_determinismE0ELb0ELb0ES3_N6thrust23THRUST_200600_302600_NS6detail15normal_iteratorINS9_10device_ptrIjEEEESE_jNS9_4plusIvEEjEEDaPvRmT3_T4_T5_mT6_P12ihipStream_tbENKUlT_T0_E_clISt17integral_constantIbLb0EESU_EEDaSP_SQ_EUlSP_E0_NS1_11comp_targetILNS1_3genE4ELNS1_11target_archE910ELNS1_3gpuE8ELNS1_3repE0EEENS1_30default_config_static_selectorELNS0_4arch9wavefront6targetE1EEEvT1_.kd
    .uniform_work_group_size: 1
    .uses_dynamic_stack: false
    .vgpr_count:     27
    .vgpr_spill_count: 0
    .wavefront_size: 64
  - .agpr_count:     0
    .args:
      - .offset:         0
        .size:           32
        .value_kind:     by_value
    .group_segment_fixed_size: 0
    .kernarg_segment_align: 8
    .kernarg_segment_size: 32
    .language:       OpenCL C
    .language_version:
      - 2
      - 0
    .max_flat_workgroup_size: 256
    .name:           _ZN7rocprim17ROCPRIM_400000_NS6detail17trampoline_kernelINS0_14default_configENS1_20scan_config_selectorIjEEZZNS1_9scan_implILNS1_25lookback_scan_determinismE0ELb0ELb0ES3_N6thrust23THRUST_200600_302600_NS6detail15normal_iteratorINS9_10device_ptrIjEEEESE_jNS9_4plusIvEEjEEDaPvRmT3_T4_T5_mT6_P12ihipStream_tbENKUlT_T0_E_clISt17integral_constantIbLb0EESU_EEDaSP_SQ_EUlSP_E0_NS1_11comp_targetILNS1_3genE3ELNS1_11target_archE908ELNS1_3gpuE7ELNS1_3repE0EEENS1_30default_config_static_selectorELNS0_4arch9wavefront6targetE1EEEvT1_
    .private_segment_fixed_size: 0
    .sgpr_count:     4
    .sgpr_spill_count: 0
    .symbol:         _ZN7rocprim17ROCPRIM_400000_NS6detail17trampoline_kernelINS0_14default_configENS1_20scan_config_selectorIjEEZZNS1_9scan_implILNS1_25lookback_scan_determinismE0ELb0ELb0ES3_N6thrust23THRUST_200600_302600_NS6detail15normal_iteratorINS9_10device_ptrIjEEEESE_jNS9_4plusIvEEjEEDaPvRmT3_T4_T5_mT6_P12ihipStream_tbENKUlT_T0_E_clISt17integral_constantIbLb0EESU_EEDaSP_SQ_EUlSP_E0_NS1_11comp_targetILNS1_3genE3ELNS1_11target_archE908ELNS1_3gpuE7ELNS1_3repE0EEENS1_30default_config_static_selectorELNS0_4arch9wavefront6targetE1EEEvT1_.kd
    .uniform_work_group_size: 1
    .uses_dynamic_stack: false
    .vgpr_count:     0
    .vgpr_spill_count: 0
    .wavefront_size: 64
  - .agpr_count:     0
    .args:
      - .offset:         0
        .size:           32
        .value_kind:     by_value
    .group_segment_fixed_size: 0
    .kernarg_segment_align: 8
    .kernarg_segment_size: 32
    .language:       OpenCL C
    .language_version:
      - 2
      - 0
    .max_flat_workgroup_size: 256
    .name:           _ZN7rocprim17ROCPRIM_400000_NS6detail17trampoline_kernelINS0_14default_configENS1_20scan_config_selectorIjEEZZNS1_9scan_implILNS1_25lookback_scan_determinismE0ELb0ELb0ES3_N6thrust23THRUST_200600_302600_NS6detail15normal_iteratorINS9_10device_ptrIjEEEESE_jNS9_4plusIvEEjEEDaPvRmT3_T4_T5_mT6_P12ihipStream_tbENKUlT_T0_E_clISt17integral_constantIbLb0EESU_EEDaSP_SQ_EUlSP_E0_NS1_11comp_targetILNS1_3genE2ELNS1_11target_archE906ELNS1_3gpuE6ELNS1_3repE0EEENS1_30default_config_static_selectorELNS0_4arch9wavefront6targetE1EEEvT1_
    .private_segment_fixed_size: 0
    .sgpr_count:     4
    .sgpr_spill_count: 0
    .symbol:         _ZN7rocprim17ROCPRIM_400000_NS6detail17trampoline_kernelINS0_14default_configENS1_20scan_config_selectorIjEEZZNS1_9scan_implILNS1_25lookback_scan_determinismE0ELb0ELb0ES3_N6thrust23THRUST_200600_302600_NS6detail15normal_iteratorINS9_10device_ptrIjEEEESE_jNS9_4plusIvEEjEEDaPvRmT3_T4_T5_mT6_P12ihipStream_tbENKUlT_T0_E_clISt17integral_constantIbLb0EESU_EEDaSP_SQ_EUlSP_E0_NS1_11comp_targetILNS1_3genE2ELNS1_11target_archE906ELNS1_3gpuE6ELNS1_3repE0EEENS1_30default_config_static_selectorELNS0_4arch9wavefront6targetE1EEEvT1_.kd
    .uniform_work_group_size: 1
    .uses_dynamic_stack: false
    .vgpr_count:     0
    .vgpr_spill_count: 0
    .wavefront_size: 64
  - .agpr_count:     0
    .args:
      - .offset:         0
        .size:           32
        .value_kind:     by_value
    .group_segment_fixed_size: 0
    .kernarg_segment_align: 8
    .kernarg_segment_size: 32
    .language:       OpenCL C
    .language_version:
      - 2
      - 0
    .max_flat_workgroup_size: 256
    .name:           _ZN7rocprim17ROCPRIM_400000_NS6detail17trampoline_kernelINS0_14default_configENS1_20scan_config_selectorIjEEZZNS1_9scan_implILNS1_25lookback_scan_determinismE0ELb0ELb0ES3_N6thrust23THRUST_200600_302600_NS6detail15normal_iteratorINS9_10device_ptrIjEEEESE_jNS9_4plusIvEEjEEDaPvRmT3_T4_T5_mT6_P12ihipStream_tbENKUlT_T0_E_clISt17integral_constantIbLb0EESU_EEDaSP_SQ_EUlSP_E0_NS1_11comp_targetILNS1_3genE10ELNS1_11target_archE1201ELNS1_3gpuE5ELNS1_3repE0EEENS1_30default_config_static_selectorELNS0_4arch9wavefront6targetE1EEEvT1_
    .private_segment_fixed_size: 0
    .sgpr_count:     4
    .sgpr_spill_count: 0
    .symbol:         _ZN7rocprim17ROCPRIM_400000_NS6detail17trampoline_kernelINS0_14default_configENS1_20scan_config_selectorIjEEZZNS1_9scan_implILNS1_25lookback_scan_determinismE0ELb0ELb0ES3_N6thrust23THRUST_200600_302600_NS6detail15normal_iteratorINS9_10device_ptrIjEEEESE_jNS9_4plusIvEEjEEDaPvRmT3_T4_T5_mT6_P12ihipStream_tbENKUlT_T0_E_clISt17integral_constantIbLb0EESU_EEDaSP_SQ_EUlSP_E0_NS1_11comp_targetILNS1_3genE10ELNS1_11target_archE1201ELNS1_3gpuE5ELNS1_3repE0EEENS1_30default_config_static_selectorELNS0_4arch9wavefront6targetE1EEEvT1_.kd
    .uniform_work_group_size: 1
    .uses_dynamic_stack: false
    .vgpr_count:     0
    .vgpr_spill_count: 0
    .wavefront_size: 64
  - .agpr_count:     0
    .args:
      - .offset:         0
        .size:           32
        .value_kind:     by_value
    .group_segment_fixed_size: 0
    .kernarg_segment_align: 8
    .kernarg_segment_size: 32
    .language:       OpenCL C
    .language_version:
      - 2
      - 0
    .max_flat_workgroup_size: 256
    .name:           _ZN7rocprim17ROCPRIM_400000_NS6detail17trampoline_kernelINS0_14default_configENS1_20scan_config_selectorIjEEZZNS1_9scan_implILNS1_25lookback_scan_determinismE0ELb0ELb0ES3_N6thrust23THRUST_200600_302600_NS6detail15normal_iteratorINS9_10device_ptrIjEEEESE_jNS9_4plusIvEEjEEDaPvRmT3_T4_T5_mT6_P12ihipStream_tbENKUlT_T0_E_clISt17integral_constantIbLb0EESU_EEDaSP_SQ_EUlSP_E0_NS1_11comp_targetILNS1_3genE10ELNS1_11target_archE1200ELNS1_3gpuE4ELNS1_3repE0EEENS1_30default_config_static_selectorELNS0_4arch9wavefront6targetE1EEEvT1_
    .private_segment_fixed_size: 0
    .sgpr_count:     4
    .sgpr_spill_count: 0
    .symbol:         _ZN7rocprim17ROCPRIM_400000_NS6detail17trampoline_kernelINS0_14default_configENS1_20scan_config_selectorIjEEZZNS1_9scan_implILNS1_25lookback_scan_determinismE0ELb0ELb0ES3_N6thrust23THRUST_200600_302600_NS6detail15normal_iteratorINS9_10device_ptrIjEEEESE_jNS9_4plusIvEEjEEDaPvRmT3_T4_T5_mT6_P12ihipStream_tbENKUlT_T0_E_clISt17integral_constantIbLb0EESU_EEDaSP_SQ_EUlSP_E0_NS1_11comp_targetILNS1_3genE10ELNS1_11target_archE1200ELNS1_3gpuE4ELNS1_3repE0EEENS1_30default_config_static_selectorELNS0_4arch9wavefront6targetE1EEEvT1_.kd
    .uniform_work_group_size: 1
    .uses_dynamic_stack: false
    .vgpr_count:     0
    .vgpr_spill_count: 0
    .wavefront_size: 64
  - .agpr_count:     0
    .args:
      - .offset:         0
        .size:           32
        .value_kind:     by_value
    .group_segment_fixed_size: 0
    .kernarg_segment_align: 8
    .kernarg_segment_size: 32
    .language:       OpenCL C
    .language_version:
      - 2
      - 0
    .max_flat_workgroup_size: 256
    .name:           _ZN7rocprim17ROCPRIM_400000_NS6detail17trampoline_kernelINS0_14default_configENS1_20scan_config_selectorIjEEZZNS1_9scan_implILNS1_25lookback_scan_determinismE0ELb0ELb0ES3_N6thrust23THRUST_200600_302600_NS6detail15normal_iteratorINS9_10device_ptrIjEEEESE_jNS9_4plusIvEEjEEDaPvRmT3_T4_T5_mT6_P12ihipStream_tbENKUlT_T0_E_clISt17integral_constantIbLb0EESU_EEDaSP_SQ_EUlSP_E0_NS1_11comp_targetILNS1_3genE9ELNS1_11target_archE1100ELNS1_3gpuE3ELNS1_3repE0EEENS1_30default_config_static_selectorELNS0_4arch9wavefront6targetE1EEEvT1_
    .private_segment_fixed_size: 0
    .sgpr_count:     4
    .sgpr_spill_count: 0
    .symbol:         _ZN7rocprim17ROCPRIM_400000_NS6detail17trampoline_kernelINS0_14default_configENS1_20scan_config_selectorIjEEZZNS1_9scan_implILNS1_25lookback_scan_determinismE0ELb0ELb0ES3_N6thrust23THRUST_200600_302600_NS6detail15normal_iteratorINS9_10device_ptrIjEEEESE_jNS9_4plusIvEEjEEDaPvRmT3_T4_T5_mT6_P12ihipStream_tbENKUlT_T0_E_clISt17integral_constantIbLb0EESU_EEDaSP_SQ_EUlSP_E0_NS1_11comp_targetILNS1_3genE9ELNS1_11target_archE1100ELNS1_3gpuE3ELNS1_3repE0EEENS1_30default_config_static_selectorELNS0_4arch9wavefront6targetE1EEEvT1_.kd
    .uniform_work_group_size: 1
    .uses_dynamic_stack: false
    .vgpr_count:     0
    .vgpr_spill_count: 0
    .wavefront_size: 64
  - .agpr_count:     0
    .args:
      - .offset:         0
        .size:           32
        .value_kind:     by_value
    .group_segment_fixed_size: 0
    .kernarg_segment_align: 8
    .kernarg_segment_size: 32
    .language:       OpenCL C
    .language_version:
      - 2
      - 0
    .max_flat_workgroup_size: 64
    .name:           _ZN7rocprim17ROCPRIM_400000_NS6detail17trampoline_kernelINS0_14default_configENS1_20scan_config_selectorIjEEZZNS1_9scan_implILNS1_25lookback_scan_determinismE0ELb0ELb0ES3_N6thrust23THRUST_200600_302600_NS6detail15normal_iteratorINS9_10device_ptrIjEEEESE_jNS9_4plusIvEEjEEDaPvRmT3_T4_T5_mT6_P12ihipStream_tbENKUlT_T0_E_clISt17integral_constantIbLb0EESU_EEDaSP_SQ_EUlSP_E0_NS1_11comp_targetILNS1_3genE8ELNS1_11target_archE1030ELNS1_3gpuE2ELNS1_3repE0EEENS1_30default_config_static_selectorELNS0_4arch9wavefront6targetE1EEEvT1_
    .private_segment_fixed_size: 0
    .sgpr_count:     4
    .sgpr_spill_count: 0
    .symbol:         _ZN7rocprim17ROCPRIM_400000_NS6detail17trampoline_kernelINS0_14default_configENS1_20scan_config_selectorIjEEZZNS1_9scan_implILNS1_25lookback_scan_determinismE0ELb0ELb0ES3_N6thrust23THRUST_200600_302600_NS6detail15normal_iteratorINS9_10device_ptrIjEEEESE_jNS9_4plusIvEEjEEDaPvRmT3_T4_T5_mT6_P12ihipStream_tbENKUlT_T0_E_clISt17integral_constantIbLb0EESU_EEDaSP_SQ_EUlSP_E0_NS1_11comp_targetILNS1_3genE8ELNS1_11target_archE1030ELNS1_3gpuE2ELNS1_3repE0EEENS1_30default_config_static_selectorELNS0_4arch9wavefront6targetE1EEEvT1_.kd
    .uniform_work_group_size: 1
    .uses_dynamic_stack: false
    .vgpr_count:     0
    .vgpr_spill_count: 0
    .wavefront_size: 64
  - .agpr_count:     0
    .args:
      - .offset:         0
        .size:           96
        .value_kind:     by_value
    .group_segment_fixed_size: 0
    .kernarg_segment_align: 8
    .kernarg_segment_size: 96
    .language:       OpenCL C
    .language_version:
      - 2
      - 0
    .max_flat_workgroup_size: 256
    .name:           _ZN7rocprim17ROCPRIM_400000_NS6detail17trampoline_kernelINS0_14default_configENS1_20scan_config_selectorIjEEZZNS1_9scan_implILNS1_25lookback_scan_determinismE0ELb0ELb0ES3_N6thrust23THRUST_200600_302600_NS6detail15normal_iteratorINS9_10device_ptrIjEEEESE_jNS9_4plusIvEEjEEDaPvRmT3_T4_T5_mT6_P12ihipStream_tbENKUlT_T0_E_clISt17integral_constantIbLb1EESU_EEDaSP_SQ_EUlSP_E_NS1_11comp_targetILNS1_3genE0ELNS1_11target_archE4294967295ELNS1_3gpuE0ELNS1_3repE0EEENS1_30default_config_static_selectorELNS0_4arch9wavefront6targetE1EEEvT1_
    .private_segment_fixed_size: 0
    .sgpr_count:     4
    .sgpr_spill_count: 0
    .symbol:         _ZN7rocprim17ROCPRIM_400000_NS6detail17trampoline_kernelINS0_14default_configENS1_20scan_config_selectorIjEEZZNS1_9scan_implILNS1_25lookback_scan_determinismE0ELb0ELb0ES3_N6thrust23THRUST_200600_302600_NS6detail15normal_iteratorINS9_10device_ptrIjEEEESE_jNS9_4plusIvEEjEEDaPvRmT3_T4_T5_mT6_P12ihipStream_tbENKUlT_T0_E_clISt17integral_constantIbLb1EESU_EEDaSP_SQ_EUlSP_E_NS1_11comp_targetILNS1_3genE0ELNS1_11target_archE4294967295ELNS1_3gpuE0ELNS1_3repE0EEENS1_30default_config_static_selectorELNS0_4arch9wavefront6targetE1EEEvT1_.kd
    .uniform_work_group_size: 1
    .uses_dynamic_stack: false
    .vgpr_count:     0
    .vgpr_spill_count: 0
    .wavefront_size: 64
  - .agpr_count:     0
    .args:
      - .offset:         0
        .size:           96
        .value_kind:     by_value
    .group_segment_fixed_size: 0
    .kernarg_segment_align: 8
    .kernarg_segment_size: 96
    .language:       OpenCL C
    .language_version:
      - 2
      - 0
    .max_flat_workgroup_size: 256
    .name:           _ZN7rocprim17ROCPRIM_400000_NS6detail17trampoline_kernelINS0_14default_configENS1_20scan_config_selectorIjEEZZNS1_9scan_implILNS1_25lookback_scan_determinismE0ELb0ELb0ES3_N6thrust23THRUST_200600_302600_NS6detail15normal_iteratorINS9_10device_ptrIjEEEESE_jNS9_4plusIvEEjEEDaPvRmT3_T4_T5_mT6_P12ihipStream_tbENKUlT_T0_E_clISt17integral_constantIbLb1EESU_EEDaSP_SQ_EUlSP_E_NS1_11comp_targetILNS1_3genE5ELNS1_11target_archE942ELNS1_3gpuE9ELNS1_3repE0EEENS1_30default_config_static_selectorELNS0_4arch9wavefront6targetE1EEEvT1_
    .private_segment_fixed_size: 0
    .sgpr_count:     4
    .sgpr_spill_count: 0
    .symbol:         _ZN7rocprim17ROCPRIM_400000_NS6detail17trampoline_kernelINS0_14default_configENS1_20scan_config_selectorIjEEZZNS1_9scan_implILNS1_25lookback_scan_determinismE0ELb0ELb0ES3_N6thrust23THRUST_200600_302600_NS6detail15normal_iteratorINS9_10device_ptrIjEEEESE_jNS9_4plusIvEEjEEDaPvRmT3_T4_T5_mT6_P12ihipStream_tbENKUlT_T0_E_clISt17integral_constantIbLb1EESU_EEDaSP_SQ_EUlSP_E_NS1_11comp_targetILNS1_3genE5ELNS1_11target_archE942ELNS1_3gpuE9ELNS1_3repE0EEENS1_30default_config_static_selectorELNS0_4arch9wavefront6targetE1EEEvT1_.kd
    .uniform_work_group_size: 1
    .uses_dynamic_stack: false
    .vgpr_count:     0
    .vgpr_spill_count: 0
    .wavefront_size: 64
  - .agpr_count:     0
    .args:
      - .offset:         0
        .size:           96
        .value_kind:     by_value
    .group_segment_fixed_size: 5120
    .kernarg_segment_align: 8
    .kernarg_segment_size: 96
    .language:       OpenCL C
    .language_version:
      - 2
      - 0
    .max_flat_workgroup_size: 128
    .name:           _ZN7rocprim17ROCPRIM_400000_NS6detail17trampoline_kernelINS0_14default_configENS1_20scan_config_selectorIjEEZZNS1_9scan_implILNS1_25lookback_scan_determinismE0ELb0ELb0ES3_N6thrust23THRUST_200600_302600_NS6detail15normal_iteratorINS9_10device_ptrIjEEEESE_jNS9_4plusIvEEjEEDaPvRmT3_T4_T5_mT6_P12ihipStream_tbENKUlT_T0_E_clISt17integral_constantIbLb1EESU_EEDaSP_SQ_EUlSP_E_NS1_11comp_targetILNS1_3genE4ELNS1_11target_archE910ELNS1_3gpuE8ELNS1_3repE0EEENS1_30default_config_static_selectorELNS0_4arch9wavefront6targetE1EEEvT1_
    .private_segment_fixed_size: 0
    .sgpr_count:     42
    .sgpr_spill_count: 0
    .symbol:         _ZN7rocprim17ROCPRIM_400000_NS6detail17trampoline_kernelINS0_14default_configENS1_20scan_config_selectorIjEEZZNS1_9scan_implILNS1_25lookback_scan_determinismE0ELb0ELb0ES3_N6thrust23THRUST_200600_302600_NS6detail15normal_iteratorINS9_10device_ptrIjEEEESE_jNS9_4plusIvEEjEEDaPvRmT3_T4_T5_mT6_P12ihipStream_tbENKUlT_T0_E_clISt17integral_constantIbLb1EESU_EEDaSP_SQ_EUlSP_E_NS1_11comp_targetILNS1_3genE4ELNS1_11target_archE910ELNS1_3gpuE8ELNS1_3repE0EEENS1_30default_config_static_selectorELNS0_4arch9wavefront6targetE1EEEvT1_.kd
    .uniform_work_group_size: 1
    .uses_dynamic_stack: false
    .vgpr_count:     40
    .vgpr_spill_count: 0
    .wavefront_size: 64
  - .agpr_count:     0
    .args:
      - .offset:         0
        .size:           96
        .value_kind:     by_value
    .group_segment_fixed_size: 0
    .kernarg_segment_align: 8
    .kernarg_segment_size: 96
    .language:       OpenCL C
    .language_version:
      - 2
      - 0
    .max_flat_workgroup_size: 256
    .name:           _ZN7rocprim17ROCPRIM_400000_NS6detail17trampoline_kernelINS0_14default_configENS1_20scan_config_selectorIjEEZZNS1_9scan_implILNS1_25lookback_scan_determinismE0ELb0ELb0ES3_N6thrust23THRUST_200600_302600_NS6detail15normal_iteratorINS9_10device_ptrIjEEEESE_jNS9_4plusIvEEjEEDaPvRmT3_T4_T5_mT6_P12ihipStream_tbENKUlT_T0_E_clISt17integral_constantIbLb1EESU_EEDaSP_SQ_EUlSP_E_NS1_11comp_targetILNS1_3genE3ELNS1_11target_archE908ELNS1_3gpuE7ELNS1_3repE0EEENS1_30default_config_static_selectorELNS0_4arch9wavefront6targetE1EEEvT1_
    .private_segment_fixed_size: 0
    .sgpr_count:     4
    .sgpr_spill_count: 0
    .symbol:         _ZN7rocprim17ROCPRIM_400000_NS6detail17trampoline_kernelINS0_14default_configENS1_20scan_config_selectorIjEEZZNS1_9scan_implILNS1_25lookback_scan_determinismE0ELb0ELb0ES3_N6thrust23THRUST_200600_302600_NS6detail15normal_iteratorINS9_10device_ptrIjEEEESE_jNS9_4plusIvEEjEEDaPvRmT3_T4_T5_mT6_P12ihipStream_tbENKUlT_T0_E_clISt17integral_constantIbLb1EESU_EEDaSP_SQ_EUlSP_E_NS1_11comp_targetILNS1_3genE3ELNS1_11target_archE908ELNS1_3gpuE7ELNS1_3repE0EEENS1_30default_config_static_selectorELNS0_4arch9wavefront6targetE1EEEvT1_.kd
    .uniform_work_group_size: 1
    .uses_dynamic_stack: false
    .vgpr_count:     0
    .vgpr_spill_count: 0
    .wavefront_size: 64
  - .agpr_count:     0
    .args:
      - .offset:         0
        .size:           96
        .value_kind:     by_value
    .group_segment_fixed_size: 0
    .kernarg_segment_align: 8
    .kernarg_segment_size: 96
    .language:       OpenCL C
    .language_version:
      - 2
      - 0
    .max_flat_workgroup_size: 256
    .name:           _ZN7rocprim17ROCPRIM_400000_NS6detail17trampoline_kernelINS0_14default_configENS1_20scan_config_selectorIjEEZZNS1_9scan_implILNS1_25lookback_scan_determinismE0ELb0ELb0ES3_N6thrust23THRUST_200600_302600_NS6detail15normal_iteratorINS9_10device_ptrIjEEEESE_jNS9_4plusIvEEjEEDaPvRmT3_T4_T5_mT6_P12ihipStream_tbENKUlT_T0_E_clISt17integral_constantIbLb1EESU_EEDaSP_SQ_EUlSP_E_NS1_11comp_targetILNS1_3genE2ELNS1_11target_archE906ELNS1_3gpuE6ELNS1_3repE0EEENS1_30default_config_static_selectorELNS0_4arch9wavefront6targetE1EEEvT1_
    .private_segment_fixed_size: 0
    .sgpr_count:     4
    .sgpr_spill_count: 0
    .symbol:         _ZN7rocprim17ROCPRIM_400000_NS6detail17trampoline_kernelINS0_14default_configENS1_20scan_config_selectorIjEEZZNS1_9scan_implILNS1_25lookback_scan_determinismE0ELb0ELb0ES3_N6thrust23THRUST_200600_302600_NS6detail15normal_iteratorINS9_10device_ptrIjEEEESE_jNS9_4plusIvEEjEEDaPvRmT3_T4_T5_mT6_P12ihipStream_tbENKUlT_T0_E_clISt17integral_constantIbLb1EESU_EEDaSP_SQ_EUlSP_E_NS1_11comp_targetILNS1_3genE2ELNS1_11target_archE906ELNS1_3gpuE6ELNS1_3repE0EEENS1_30default_config_static_selectorELNS0_4arch9wavefront6targetE1EEEvT1_.kd
    .uniform_work_group_size: 1
    .uses_dynamic_stack: false
    .vgpr_count:     0
    .vgpr_spill_count: 0
    .wavefront_size: 64
  - .agpr_count:     0
    .args:
      - .offset:         0
        .size:           96
        .value_kind:     by_value
    .group_segment_fixed_size: 0
    .kernarg_segment_align: 8
    .kernarg_segment_size: 96
    .language:       OpenCL C
    .language_version:
      - 2
      - 0
    .max_flat_workgroup_size: 256
    .name:           _ZN7rocprim17ROCPRIM_400000_NS6detail17trampoline_kernelINS0_14default_configENS1_20scan_config_selectorIjEEZZNS1_9scan_implILNS1_25lookback_scan_determinismE0ELb0ELb0ES3_N6thrust23THRUST_200600_302600_NS6detail15normal_iteratorINS9_10device_ptrIjEEEESE_jNS9_4plusIvEEjEEDaPvRmT3_T4_T5_mT6_P12ihipStream_tbENKUlT_T0_E_clISt17integral_constantIbLb1EESU_EEDaSP_SQ_EUlSP_E_NS1_11comp_targetILNS1_3genE10ELNS1_11target_archE1201ELNS1_3gpuE5ELNS1_3repE0EEENS1_30default_config_static_selectorELNS0_4arch9wavefront6targetE1EEEvT1_
    .private_segment_fixed_size: 0
    .sgpr_count:     4
    .sgpr_spill_count: 0
    .symbol:         _ZN7rocprim17ROCPRIM_400000_NS6detail17trampoline_kernelINS0_14default_configENS1_20scan_config_selectorIjEEZZNS1_9scan_implILNS1_25lookback_scan_determinismE0ELb0ELb0ES3_N6thrust23THRUST_200600_302600_NS6detail15normal_iteratorINS9_10device_ptrIjEEEESE_jNS9_4plusIvEEjEEDaPvRmT3_T4_T5_mT6_P12ihipStream_tbENKUlT_T0_E_clISt17integral_constantIbLb1EESU_EEDaSP_SQ_EUlSP_E_NS1_11comp_targetILNS1_3genE10ELNS1_11target_archE1201ELNS1_3gpuE5ELNS1_3repE0EEENS1_30default_config_static_selectorELNS0_4arch9wavefront6targetE1EEEvT1_.kd
    .uniform_work_group_size: 1
    .uses_dynamic_stack: false
    .vgpr_count:     0
    .vgpr_spill_count: 0
    .wavefront_size: 64
  - .agpr_count:     0
    .args:
      - .offset:         0
        .size:           96
        .value_kind:     by_value
    .group_segment_fixed_size: 0
    .kernarg_segment_align: 8
    .kernarg_segment_size: 96
    .language:       OpenCL C
    .language_version:
      - 2
      - 0
    .max_flat_workgroup_size: 256
    .name:           _ZN7rocprim17ROCPRIM_400000_NS6detail17trampoline_kernelINS0_14default_configENS1_20scan_config_selectorIjEEZZNS1_9scan_implILNS1_25lookback_scan_determinismE0ELb0ELb0ES3_N6thrust23THRUST_200600_302600_NS6detail15normal_iteratorINS9_10device_ptrIjEEEESE_jNS9_4plusIvEEjEEDaPvRmT3_T4_T5_mT6_P12ihipStream_tbENKUlT_T0_E_clISt17integral_constantIbLb1EESU_EEDaSP_SQ_EUlSP_E_NS1_11comp_targetILNS1_3genE10ELNS1_11target_archE1200ELNS1_3gpuE4ELNS1_3repE0EEENS1_30default_config_static_selectorELNS0_4arch9wavefront6targetE1EEEvT1_
    .private_segment_fixed_size: 0
    .sgpr_count:     4
    .sgpr_spill_count: 0
    .symbol:         _ZN7rocprim17ROCPRIM_400000_NS6detail17trampoline_kernelINS0_14default_configENS1_20scan_config_selectorIjEEZZNS1_9scan_implILNS1_25lookback_scan_determinismE0ELb0ELb0ES3_N6thrust23THRUST_200600_302600_NS6detail15normal_iteratorINS9_10device_ptrIjEEEESE_jNS9_4plusIvEEjEEDaPvRmT3_T4_T5_mT6_P12ihipStream_tbENKUlT_T0_E_clISt17integral_constantIbLb1EESU_EEDaSP_SQ_EUlSP_E_NS1_11comp_targetILNS1_3genE10ELNS1_11target_archE1200ELNS1_3gpuE4ELNS1_3repE0EEENS1_30default_config_static_selectorELNS0_4arch9wavefront6targetE1EEEvT1_.kd
    .uniform_work_group_size: 1
    .uses_dynamic_stack: false
    .vgpr_count:     0
    .vgpr_spill_count: 0
    .wavefront_size: 64
  - .agpr_count:     0
    .args:
      - .offset:         0
        .size:           96
        .value_kind:     by_value
    .group_segment_fixed_size: 0
    .kernarg_segment_align: 8
    .kernarg_segment_size: 96
    .language:       OpenCL C
    .language_version:
      - 2
      - 0
    .max_flat_workgroup_size: 256
    .name:           _ZN7rocprim17ROCPRIM_400000_NS6detail17trampoline_kernelINS0_14default_configENS1_20scan_config_selectorIjEEZZNS1_9scan_implILNS1_25lookback_scan_determinismE0ELb0ELb0ES3_N6thrust23THRUST_200600_302600_NS6detail15normal_iteratorINS9_10device_ptrIjEEEESE_jNS9_4plusIvEEjEEDaPvRmT3_T4_T5_mT6_P12ihipStream_tbENKUlT_T0_E_clISt17integral_constantIbLb1EESU_EEDaSP_SQ_EUlSP_E_NS1_11comp_targetILNS1_3genE9ELNS1_11target_archE1100ELNS1_3gpuE3ELNS1_3repE0EEENS1_30default_config_static_selectorELNS0_4arch9wavefront6targetE1EEEvT1_
    .private_segment_fixed_size: 0
    .sgpr_count:     4
    .sgpr_spill_count: 0
    .symbol:         _ZN7rocprim17ROCPRIM_400000_NS6detail17trampoline_kernelINS0_14default_configENS1_20scan_config_selectorIjEEZZNS1_9scan_implILNS1_25lookback_scan_determinismE0ELb0ELb0ES3_N6thrust23THRUST_200600_302600_NS6detail15normal_iteratorINS9_10device_ptrIjEEEESE_jNS9_4plusIvEEjEEDaPvRmT3_T4_T5_mT6_P12ihipStream_tbENKUlT_T0_E_clISt17integral_constantIbLb1EESU_EEDaSP_SQ_EUlSP_E_NS1_11comp_targetILNS1_3genE9ELNS1_11target_archE1100ELNS1_3gpuE3ELNS1_3repE0EEENS1_30default_config_static_selectorELNS0_4arch9wavefront6targetE1EEEvT1_.kd
    .uniform_work_group_size: 1
    .uses_dynamic_stack: false
    .vgpr_count:     0
    .vgpr_spill_count: 0
    .wavefront_size: 64
  - .agpr_count:     0
    .args:
      - .offset:         0
        .size:           96
        .value_kind:     by_value
    .group_segment_fixed_size: 0
    .kernarg_segment_align: 8
    .kernarg_segment_size: 96
    .language:       OpenCL C
    .language_version:
      - 2
      - 0
    .max_flat_workgroup_size: 64
    .name:           _ZN7rocprim17ROCPRIM_400000_NS6detail17trampoline_kernelINS0_14default_configENS1_20scan_config_selectorIjEEZZNS1_9scan_implILNS1_25lookback_scan_determinismE0ELb0ELb0ES3_N6thrust23THRUST_200600_302600_NS6detail15normal_iteratorINS9_10device_ptrIjEEEESE_jNS9_4plusIvEEjEEDaPvRmT3_T4_T5_mT6_P12ihipStream_tbENKUlT_T0_E_clISt17integral_constantIbLb1EESU_EEDaSP_SQ_EUlSP_E_NS1_11comp_targetILNS1_3genE8ELNS1_11target_archE1030ELNS1_3gpuE2ELNS1_3repE0EEENS1_30default_config_static_selectorELNS0_4arch9wavefront6targetE1EEEvT1_
    .private_segment_fixed_size: 0
    .sgpr_count:     4
    .sgpr_spill_count: 0
    .symbol:         _ZN7rocprim17ROCPRIM_400000_NS6detail17trampoline_kernelINS0_14default_configENS1_20scan_config_selectorIjEEZZNS1_9scan_implILNS1_25lookback_scan_determinismE0ELb0ELb0ES3_N6thrust23THRUST_200600_302600_NS6detail15normal_iteratorINS9_10device_ptrIjEEEESE_jNS9_4plusIvEEjEEDaPvRmT3_T4_T5_mT6_P12ihipStream_tbENKUlT_T0_E_clISt17integral_constantIbLb1EESU_EEDaSP_SQ_EUlSP_E_NS1_11comp_targetILNS1_3genE8ELNS1_11target_archE1030ELNS1_3gpuE2ELNS1_3repE0EEENS1_30default_config_static_selectorELNS0_4arch9wavefront6targetE1EEEvT1_.kd
    .uniform_work_group_size: 1
    .uses_dynamic_stack: false
    .vgpr_count:     0
    .vgpr_spill_count: 0
    .wavefront_size: 64
  - .agpr_count:     0
    .args:
      - .offset:         0
        .size:           32
        .value_kind:     by_value
    .group_segment_fixed_size: 0
    .kernarg_segment_align: 8
    .kernarg_segment_size: 32
    .language:       OpenCL C
    .language_version:
      - 2
      - 0
    .max_flat_workgroup_size: 256
    .name:           _ZN7rocprim17ROCPRIM_400000_NS6detail17trampoline_kernelINS0_14default_configENS1_20scan_config_selectorIjEEZZNS1_9scan_implILNS1_25lookback_scan_determinismE0ELb0ELb0ES3_N6thrust23THRUST_200600_302600_NS6detail15normal_iteratorINS9_10device_ptrIjEEEESE_jNS9_4plusIvEEjEEDaPvRmT3_T4_T5_mT6_P12ihipStream_tbENKUlT_T0_E_clISt17integral_constantIbLb1EESU_EEDaSP_SQ_EUlSP_E0_NS1_11comp_targetILNS1_3genE0ELNS1_11target_archE4294967295ELNS1_3gpuE0ELNS1_3repE0EEENS1_30default_config_static_selectorELNS0_4arch9wavefront6targetE1EEEvT1_
    .private_segment_fixed_size: 0
    .sgpr_count:     4
    .sgpr_spill_count: 0
    .symbol:         _ZN7rocprim17ROCPRIM_400000_NS6detail17trampoline_kernelINS0_14default_configENS1_20scan_config_selectorIjEEZZNS1_9scan_implILNS1_25lookback_scan_determinismE0ELb0ELb0ES3_N6thrust23THRUST_200600_302600_NS6detail15normal_iteratorINS9_10device_ptrIjEEEESE_jNS9_4plusIvEEjEEDaPvRmT3_T4_T5_mT6_P12ihipStream_tbENKUlT_T0_E_clISt17integral_constantIbLb1EESU_EEDaSP_SQ_EUlSP_E0_NS1_11comp_targetILNS1_3genE0ELNS1_11target_archE4294967295ELNS1_3gpuE0ELNS1_3repE0EEENS1_30default_config_static_selectorELNS0_4arch9wavefront6targetE1EEEvT1_.kd
    .uniform_work_group_size: 1
    .uses_dynamic_stack: false
    .vgpr_count:     0
    .vgpr_spill_count: 0
    .wavefront_size: 64
  - .agpr_count:     0
    .args:
      - .offset:         0
        .size:           32
        .value_kind:     by_value
    .group_segment_fixed_size: 0
    .kernarg_segment_align: 8
    .kernarg_segment_size: 32
    .language:       OpenCL C
    .language_version:
      - 2
      - 0
    .max_flat_workgroup_size: 256
    .name:           _ZN7rocprim17ROCPRIM_400000_NS6detail17trampoline_kernelINS0_14default_configENS1_20scan_config_selectorIjEEZZNS1_9scan_implILNS1_25lookback_scan_determinismE0ELb0ELb0ES3_N6thrust23THRUST_200600_302600_NS6detail15normal_iteratorINS9_10device_ptrIjEEEESE_jNS9_4plusIvEEjEEDaPvRmT3_T4_T5_mT6_P12ihipStream_tbENKUlT_T0_E_clISt17integral_constantIbLb1EESU_EEDaSP_SQ_EUlSP_E0_NS1_11comp_targetILNS1_3genE5ELNS1_11target_archE942ELNS1_3gpuE9ELNS1_3repE0EEENS1_30default_config_static_selectorELNS0_4arch9wavefront6targetE1EEEvT1_
    .private_segment_fixed_size: 0
    .sgpr_count:     4
    .sgpr_spill_count: 0
    .symbol:         _ZN7rocprim17ROCPRIM_400000_NS6detail17trampoline_kernelINS0_14default_configENS1_20scan_config_selectorIjEEZZNS1_9scan_implILNS1_25lookback_scan_determinismE0ELb0ELb0ES3_N6thrust23THRUST_200600_302600_NS6detail15normal_iteratorINS9_10device_ptrIjEEEESE_jNS9_4plusIvEEjEEDaPvRmT3_T4_T5_mT6_P12ihipStream_tbENKUlT_T0_E_clISt17integral_constantIbLb1EESU_EEDaSP_SQ_EUlSP_E0_NS1_11comp_targetILNS1_3genE5ELNS1_11target_archE942ELNS1_3gpuE9ELNS1_3repE0EEENS1_30default_config_static_selectorELNS0_4arch9wavefront6targetE1EEEvT1_.kd
    .uniform_work_group_size: 1
    .uses_dynamic_stack: false
    .vgpr_count:     0
    .vgpr_spill_count: 0
    .wavefront_size: 64
  - .agpr_count:     0
    .args:
      - .offset:         0
        .size:           32
        .value_kind:     by_value
    .group_segment_fixed_size: 5120
    .kernarg_segment_align: 8
    .kernarg_segment_size: 32
    .language:       OpenCL C
    .language_version:
      - 2
      - 0
    .max_flat_workgroup_size: 128
    .name:           _ZN7rocprim17ROCPRIM_400000_NS6detail17trampoline_kernelINS0_14default_configENS1_20scan_config_selectorIjEEZZNS1_9scan_implILNS1_25lookback_scan_determinismE0ELb0ELb0ES3_N6thrust23THRUST_200600_302600_NS6detail15normal_iteratorINS9_10device_ptrIjEEEESE_jNS9_4plusIvEEjEEDaPvRmT3_T4_T5_mT6_P12ihipStream_tbENKUlT_T0_E_clISt17integral_constantIbLb1EESU_EEDaSP_SQ_EUlSP_E0_NS1_11comp_targetILNS1_3genE4ELNS1_11target_archE910ELNS1_3gpuE8ELNS1_3repE0EEENS1_30default_config_static_selectorELNS0_4arch9wavefront6targetE1EEEvT1_
    .private_segment_fixed_size: 0
    .sgpr_count:     28
    .sgpr_spill_count: 0
    .symbol:         _ZN7rocprim17ROCPRIM_400000_NS6detail17trampoline_kernelINS0_14default_configENS1_20scan_config_selectorIjEEZZNS1_9scan_implILNS1_25lookback_scan_determinismE0ELb0ELb0ES3_N6thrust23THRUST_200600_302600_NS6detail15normal_iteratorINS9_10device_ptrIjEEEESE_jNS9_4plusIvEEjEEDaPvRmT3_T4_T5_mT6_P12ihipStream_tbENKUlT_T0_E_clISt17integral_constantIbLb1EESU_EEDaSP_SQ_EUlSP_E0_NS1_11comp_targetILNS1_3genE4ELNS1_11target_archE910ELNS1_3gpuE8ELNS1_3repE0EEENS1_30default_config_static_selectorELNS0_4arch9wavefront6targetE1EEEvT1_.kd
    .uniform_work_group_size: 1
    .uses_dynamic_stack: false
    .vgpr_count:     27
    .vgpr_spill_count: 0
    .wavefront_size: 64
  - .agpr_count:     0
    .args:
      - .offset:         0
        .size:           32
        .value_kind:     by_value
    .group_segment_fixed_size: 0
    .kernarg_segment_align: 8
    .kernarg_segment_size: 32
    .language:       OpenCL C
    .language_version:
      - 2
      - 0
    .max_flat_workgroup_size: 256
    .name:           _ZN7rocprim17ROCPRIM_400000_NS6detail17trampoline_kernelINS0_14default_configENS1_20scan_config_selectorIjEEZZNS1_9scan_implILNS1_25lookback_scan_determinismE0ELb0ELb0ES3_N6thrust23THRUST_200600_302600_NS6detail15normal_iteratorINS9_10device_ptrIjEEEESE_jNS9_4plusIvEEjEEDaPvRmT3_T4_T5_mT6_P12ihipStream_tbENKUlT_T0_E_clISt17integral_constantIbLb1EESU_EEDaSP_SQ_EUlSP_E0_NS1_11comp_targetILNS1_3genE3ELNS1_11target_archE908ELNS1_3gpuE7ELNS1_3repE0EEENS1_30default_config_static_selectorELNS0_4arch9wavefront6targetE1EEEvT1_
    .private_segment_fixed_size: 0
    .sgpr_count:     4
    .sgpr_spill_count: 0
    .symbol:         _ZN7rocprim17ROCPRIM_400000_NS6detail17trampoline_kernelINS0_14default_configENS1_20scan_config_selectorIjEEZZNS1_9scan_implILNS1_25lookback_scan_determinismE0ELb0ELb0ES3_N6thrust23THRUST_200600_302600_NS6detail15normal_iteratorINS9_10device_ptrIjEEEESE_jNS9_4plusIvEEjEEDaPvRmT3_T4_T5_mT6_P12ihipStream_tbENKUlT_T0_E_clISt17integral_constantIbLb1EESU_EEDaSP_SQ_EUlSP_E0_NS1_11comp_targetILNS1_3genE3ELNS1_11target_archE908ELNS1_3gpuE7ELNS1_3repE0EEENS1_30default_config_static_selectorELNS0_4arch9wavefront6targetE1EEEvT1_.kd
    .uniform_work_group_size: 1
    .uses_dynamic_stack: false
    .vgpr_count:     0
    .vgpr_spill_count: 0
    .wavefront_size: 64
  - .agpr_count:     0
    .args:
      - .offset:         0
        .size:           32
        .value_kind:     by_value
    .group_segment_fixed_size: 0
    .kernarg_segment_align: 8
    .kernarg_segment_size: 32
    .language:       OpenCL C
    .language_version:
      - 2
      - 0
    .max_flat_workgroup_size: 256
    .name:           _ZN7rocprim17ROCPRIM_400000_NS6detail17trampoline_kernelINS0_14default_configENS1_20scan_config_selectorIjEEZZNS1_9scan_implILNS1_25lookback_scan_determinismE0ELb0ELb0ES3_N6thrust23THRUST_200600_302600_NS6detail15normal_iteratorINS9_10device_ptrIjEEEESE_jNS9_4plusIvEEjEEDaPvRmT3_T4_T5_mT6_P12ihipStream_tbENKUlT_T0_E_clISt17integral_constantIbLb1EESU_EEDaSP_SQ_EUlSP_E0_NS1_11comp_targetILNS1_3genE2ELNS1_11target_archE906ELNS1_3gpuE6ELNS1_3repE0EEENS1_30default_config_static_selectorELNS0_4arch9wavefront6targetE1EEEvT1_
    .private_segment_fixed_size: 0
    .sgpr_count:     4
    .sgpr_spill_count: 0
    .symbol:         _ZN7rocprim17ROCPRIM_400000_NS6detail17trampoline_kernelINS0_14default_configENS1_20scan_config_selectorIjEEZZNS1_9scan_implILNS1_25lookback_scan_determinismE0ELb0ELb0ES3_N6thrust23THRUST_200600_302600_NS6detail15normal_iteratorINS9_10device_ptrIjEEEESE_jNS9_4plusIvEEjEEDaPvRmT3_T4_T5_mT6_P12ihipStream_tbENKUlT_T0_E_clISt17integral_constantIbLb1EESU_EEDaSP_SQ_EUlSP_E0_NS1_11comp_targetILNS1_3genE2ELNS1_11target_archE906ELNS1_3gpuE6ELNS1_3repE0EEENS1_30default_config_static_selectorELNS0_4arch9wavefront6targetE1EEEvT1_.kd
    .uniform_work_group_size: 1
    .uses_dynamic_stack: false
    .vgpr_count:     0
    .vgpr_spill_count: 0
    .wavefront_size: 64
  - .agpr_count:     0
    .args:
      - .offset:         0
        .size:           32
        .value_kind:     by_value
    .group_segment_fixed_size: 0
    .kernarg_segment_align: 8
    .kernarg_segment_size: 32
    .language:       OpenCL C
    .language_version:
      - 2
      - 0
    .max_flat_workgroup_size: 256
    .name:           _ZN7rocprim17ROCPRIM_400000_NS6detail17trampoline_kernelINS0_14default_configENS1_20scan_config_selectorIjEEZZNS1_9scan_implILNS1_25lookback_scan_determinismE0ELb0ELb0ES3_N6thrust23THRUST_200600_302600_NS6detail15normal_iteratorINS9_10device_ptrIjEEEESE_jNS9_4plusIvEEjEEDaPvRmT3_T4_T5_mT6_P12ihipStream_tbENKUlT_T0_E_clISt17integral_constantIbLb1EESU_EEDaSP_SQ_EUlSP_E0_NS1_11comp_targetILNS1_3genE10ELNS1_11target_archE1201ELNS1_3gpuE5ELNS1_3repE0EEENS1_30default_config_static_selectorELNS0_4arch9wavefront6targetE1EEEvT1_
    .private_segment_fixed_size: 0
    .sgpr_count:     4
    .sgpr_spill_count: 0
    .symbol:         _ZN7rocprim17ROCPRIM_400000_NS6detail17trampoline_kernelINS0_14default_configENS1_20scan_config_selectorIjEEZZNS1_9scan_implILNS1_25lookback_scan_determinismE0ELb0ELb0ES3_N6thrust23THRUST_200600_302600_NS6detail15normal_iteratorINS9_10device_ptrIjEEEESE_jNS9_4plusIvEEjEEDaPvRmT3_T4_T5_mT6_P12ihipStream_tbENKUlT_T0_E_clISt17integral_constantIbLb1EESU_EEDaSP_SQ_EUlSP_E0_NS1_11comp_targetILNS1_3genE10ELNS1_11target_archE1201ELNS1_3gpuE5ELNS1_3repE0EEENS1_30default_config_static_selectorELNS0_4arch9wavefront6targetE1EEEvT1_.kd
    .uniform_work_group_size: 1
    .uses_dynamic_stack: false
    .vgpr_count:     0
    .vgpr_spill_count: 0
    .wavefront_size: 64
  - .agpr_count:     0
    .args:
      - .offset:         0
        .size:           32
        .value_kind:     by_value
    .group_segment_fixed_size: 0
    .kernarg_segment_align: 8
    .kernarg_segment_size: 32
    .language:       OpenCL C
    .language_version:
      - 2
      - 0
    .max_flat_workgroup_size: 256
    .name:           _ZN7rocprim17ROCPRIM_400000_NS6detail17trampoline_kernelINS0_14default_configENS1_20scan_config_selectorIjEEZZNS1_9scan_implILNS1_25lookback_scan_determinismE0ELb0ELb0ES3_N6thrust23THRUST_200600_302600_NS6detail15normal_iteratorINS9_10device_ptrIjEEEESE_jNS9_4plusIvEEjEEDaPvRmT3_T4_T5_mT6_P12ihipStream_tbENKUlT_T0_E_clISt17integral_constantIbLb1EESU_EEDaSP_SQ_EUlSP_E0_NS1_11comp_targetILNS1_3genE10ELNS1_11target_archE1200ELNS1_3gpuE4ELNS1_3repE0EEENS1_30default_config_static_selectorELNS0_4arch9wavefront6targetE1EEEvT1_
    .private_segment_fixed_size: 0
    .sgpr_count:     4
    .sgpr_spill_count: 0
    .symbol:         _ZN7rocprim17ROCPRIM_400000_NS6detail17trampoline_kernelINS0_14default_configENS1_20scan_config_selectorIjEEZZNS1_9scan_implILNS1_25lookback_scan_determinismE0ELb0ELb0ES3_N6thrust23THRUST_200600_302600_NS6detail15normal_iteratorINS9_10device_ptrIjEEEESE_jNS9_4plusIvEEjEEDaPvRmT3_T4_T5_mT6_P12ihipStream_tbENKUlT_T0_E_clISt17integral_constantIbLb1EESU_EEDaSP_SQ_EUlSP_E0_NS1_11comp_targetILNS1_3genE10ELNS1_11target_archE1200ELNS1_3gpuE4ELNS1_3repE0EEENS1_30default_config_static_selectorELNS0_4arch9wavefront6targetE1EEEvT1_.kd
    .uniform_work_group_size: 1
    .uses_dynamic_stack: false
    .vgpr_count:     0
    .vgpr_spill_count: 0
    .wavefront_size: 64
  - .agpr_count:     0
    .args:
      - .offset:         0
        .size:           32
        .value_kind:     by_value
    .group_segment_fixed_size: 0
    .kernarg_segment_align: 8
    .kernarg_segment_size: 32
    .language:       OpenCL C
    .language_version:
      - 2
      - 0
    .max_flat_workgroup_size: 256
    .name:           _ZN7rocprim17ROCPRIM_400000_NS6detail17trampoline_kernelINS0_14default_configENS1_20scan_config_selectorIjEEZZNS1_9scan_implILNS1_25lookback_scan_determinismE0ELb0ELb0ES3_N6thrust23THRUST_200600_302600_NS6detail15normal_iteratorINS9_10device_ptrIjEEEESE_jNS9_4plusIvEEjEEDaPvRmT3_T4_T5_mT6_P12ihipStream_tbENKUlT_T0_E_clISt17integral_constantIbLb1EESU_EEDaSP_SQ_EUlSP_E0_NS1_11comp_targetILNS1_3genE9ELNS1_11target_archE1100ELNS1_3gpuE3ELNS1_3repE0EEENS1_30default_config_static_selectorELNS0_4arch9wavefront6targetE1EEEvT1_
    .private_segment_fixed_size: 0
    .sgpr_count:     4
    .sgpr_spill_count: 0
    .symbol:         _ZN7rocprim17ROCPRIM_400000_NS6detail17trampoline_kernelINS0_14default_configENS1_20scan_config_selectorIjEEZZNS1_9scan_implILNS1_25lookback_scan_determinismE0ELb0ELb0ES3_N6thrust23THRUST_200600_302600_NS6detail15normal_iteratorINS9_10device_ptrIjEEEESE_jNS9_4plusIvEEjEEDaPvRmT3_T4_T5_mT6_P12ihipStream_tbENKUlT_T0_E_clISt17integral_constantIbLb1EESU_EEDaSP_SQ_EUlSP_E0_NS1_11comp_targetILNS1_3genE9ELNS1_11target_archE1100ELNS1_3gpuE3ELNS1_3repE0EEENS1_30default_config_static_selectorELNS0_4arch9wavefront6targetE1EEEvT1_.kd
    .uniform_work_group_size: 1
    .uses_dynamic_stack: false
    .vgpr_count:     0
    .vgpr_spill_count: 0
    .wavefront_size: 64
  - .agpr_count:     0
    .args:
      - .offset:         0
        .size:           32
        .value_kind:     by_value
    .group_segment_fixed_size: 0
    .kernarg_segment_align: 8
    .kernarg_segment_size: 32
    .language:       OpenCL C
    .language_version:
      - 2
      - 0
    .max_flat_workgroup_size: 64
    .name:           _ZN7rocprim17ROCPRIM_400000_NS6detail17trampoline_kernelINS0_14default_configENS1_20scan_config_selectorIjEEZZNS1_9scan_implILNS1_25lookback_scan_determinismE0ELb0ELb0ES3_N6thrust23THRUST_200600_302600_NS6detail15normal_iteratorINS9_10device_ptrIjEEEESE_jNS9_4plusIvEEjEEDaPvRmT3_T4_T5_mT6_P12ihipStream_tbENKUlT_T0_E_clISt17integral_constantIbLb1EESU_EEDaSP_SQ_EUlSP_E0_NS1_11comp_targetILNS1_3genE8ELNS1_11target_archE1030ELNS1_3gpuE2ELNS1_3repE0EEENS1_30default_config_static_selectorELNS0_4arch9wavefront6targetE1EEEvT1_
    .private_segment_fixed_size: 0
    .sgpr_count:     4
    .sgpr_spill_count: 0
    .symbol:         _ZN7rocprim17ROCPRIM_400000_NS6detail17trampoline_kernelINS0_14default_configENS1_20scan_config_selectorIjEEZZNS1_9scan_implILNS1_25lookback_scan_determinismE0ELb0ELb0ES3_N6thrust23THRUST_200600_302600_NS6detail15normal_iteratorINS9_10device_ptrIjEEEESE_jNS9_4plusIvEEjEEDaPvRmT3_T4_T5_mT6_P12ihipStream_tbENKUlT_T0_E_clISt17integral_constantIbLb1EESU_EEDaSP_SQ_EUlSP_E0_NS1_11comp_targetILNS1_3genE8ELNS1_11target_archE1030ELNS1_3gpuE2ELNS1_3repE0EEENS1_30default_config_static_selectorELNS0_4arch9wavefront6targetE1EEEvT1_.kd
    .uniform_work_group_size: 1
    .uses_dynamic_stack: false
    .vgpr_count:     0
    .vgpr_spill_count: 0
    .wavefront_size: 64
  - .agpr_count:     0
    .args:
      - .offset:         0
        .size:           96
        .value_kind:     by_value
    .group_segment_fixed_size: 0
    .kernarg_segment_align: 8
    .kernarg_segment_size: 96
    .language:       OpenCL C
    .language_version:
      - 2
      - 0
    .max_flat_workgroup_size: 256
    .name:           _ZN7rocprim17ROCPRIM_400000_NS6detail17trampoline_kernelINS0_14default_configENS1_20scan_config_selectorIjEEZZNS1_9scan_implILNS1_25lookback_scan_determinismE0ELb0ELb0ES3_N6thrust23THRUST_200600_302600_NS6detail15normal_iteratorINS9_10device_ptrIjEEEESE_jNS9_4plusIvEEjEEDaPvRmT3_T4_T5_mT6_P12ihipStream_tbENKUlT_T0_E_clISt17integral_constantIbLb1EEST_IbLb0EEEEDaSP_SQ_EUlSP_E_NS1_11comp_targetILNS1_3genE0ELNS1_11target_archE4294967295ELNS1_3gpuE0ELNS1_3repE0EEENS1_30default_config_static_selectorELNS0_4arch9wavefront6targetE1EEEvT1_
    .private_segment_fixed_size: 0
    .sgpr_count:     4
    .sgpr_spill_count: 0
    .symbol:         _ZN7rocprim17ROCPRIM_400000_NS6detail17trampoline_kernelINS0_14default_configENS1_20scan_config_selectorIjEEZZNS1_9scan_implILNS1_25lookback_scan_determinismE0ELb0ELb0ES3_N6thrust23THRUST_200600_302600_NS6detail15normal_iteratorINS9_10device_ptrIjEEEESE_jNS9_4plusIvEEjEEDaPvRmT3_T4_T5_mT6_P12ihipStream_tbENKUlT_T0_E_clISt17integral_constantIbLb1EEST_IbLb0EEEEDaSP_SQ_EUlSP_E_NS1_11comp_targetILNS1_3genE0ELNS1_11target_archE4294967295ELNS1_3gpuE0ELNS1_3repE0EEENS1_30default_config_static_selectorELNS0_4arch9wavefront6targetE1EEEvT1_.kd
    .uniform_work_group_size: 1
    .uses_dynamic_stack: false
    .vgpr_count:     0
    .vgpr_spill_count: 0
    .wavefront_size: 64
  - .agpr_count:     0
    .args:
      - .offset:         0
        .size:           96
        .value_kind:     by_value
    .group_segment_fixed_size: 0
    .kernarg_segment_align: 8
    .kernarg_segment_size: 96
    .language:       OpenCL C
    .language_version:
      - 2
      - 0
    .max_flat_workgroup_size: 256
    .name:           _ZN7rocprim17ROCPRIM_400000_NS6detail17trampoline_kernelINS0_14default_configENS1_20scan_config_selectorIjEEZZNS1_9scan_implILNS1_25lookback_scan_determinismE0ELb0ELb0ES3_N6thrust23THRUST_200600_302600_NS6detail15normal_iteratorINS9_10device_ptrIjEEEESE_jNS9_4plusIvEEjEEDaPvRmT3_T4_T5_mT6_P12ihipStream_tbENKUlT_T0_E_clISt17integral_constantIbLb1EEST_IbLb0EEEEDaSP_SQ_EUlSP_E_NS1_11comp_targetILNS1_3genE5ELNS1_11target_archE942ELNS1_3gpuE9ELNS1_3repE0EEENS1_30default_config_static_selectorELNS0_4arch9wavefront6targetE1EEEvT1_
    .private_segment_fixed_size: 0
    .sgpr_count:     4
    .sgpr_spill_count: 0
    .symbol:         _ZN7rocprim17ROCPRIM_400000_NS6detail17trampoline_kernelINS0_14default_configENS1_20scan_config_selectorIjEEZZNS1_9scan_implILNS1_25lookback_scan_determinismE0ELb0ELb0ES3_N6thrust23THRUST_200600_302600_NS6detail15normal_iteratorINS9_10device_ptrIjEEEESE_jNS9_4plusIvEEjEEDaPvRmT3_T4_T5_mT6_P12ihipStream_tbENKUlT_T0_E_clISt17integral_constantIbLb1EEST_IbLb0EEEEDaSP_SQ_EUlSP_E_NS1_11comp_targetILNS1_3genE5ELNS1_11target_archE942ELNS1_3gpuE9ELNS1_3repE0EEENS1_30default_config_static_selectorELNS0_4arch9wavefront6targetE1EEEvT1_.kd
    .uniform_work_group_size: 1
    .uses_dynamic_stack: false
    .vgpr_count:     0
    .vgpr_spill_count: 0
    .wavefront_size: 64
  - .agpr_count:     0
    .args:
      - .offset:         0
        .size:           96
        .value_kind:     by_value
    .group_segment_fixed_size: 5120
    .kernarg_segment_align: 8
    .kernarg_segment_size: 96
    .language:       OpenCL C
    .language_version:
      - 2
      - 0
    .max_flat_workgroup_size: 128
    .name:           _ZN7rocprim17ROCPRIM_400000_NS6detail17trampoline_kernelINS0_14default_configENS1_20scan_config_selectorIjEEZZNS1_9scan_implILNS1_25lookback_scan_determinismE0ELb0ELb0ES3_N6thrust23THRUST_200600_302600_NS6detail15normal_iteratorINS9_10device_ptrIjEEEESE_jNS9_4plusIvEEjEEDaPvRmT3_T4_T5_mT6_P12ihipStream_tbENKUlT_T0_E_clISt17integral_constantIbLb1EEST_IbLb0EEEEDaSP_SQ_EUlSP_E_NS1_11comp_targetILNS1_3genE4ELNS1_11target_archE910ELNS1_3gpuE8ELNS1_3repE0EEENS1_30default_config_static_selectorELNS0_4arch9wavefront6targetE1EEEvT1_
    .private_segment_fixed_size: 0
    .sgpr_count:     32
    .sgpr_spill_count: 0
    .symbol:         _ZN7rocprim17ROCPRIM_400000_NS6detail17trampoline_kernelINS0_14default_configENS1_20scan_config_selectorIjEEZZNS1_9scan_implILNS1_25lookback_scan_determinismE0ELb0ELb0ES3_N6thrust23THRUST_200600_302600_NS6detail15normal_iteratorINS9_10device_ptrIjEEEESE_jNS9_4plusIvEEjEEDaPvRmT3_T4_T5_mT6_P12ihipStream_tbENKUlT_T0_E_clISt17integral_constantIbLb1EEST_IbLb0EEEEDaSP_SQ_EUlSP_E_NS1_11comp_targetILNS1_3genE4ELNS1_11target_archE910ELNS1_3gpuE8ELNS1_3repE0EEENS1_30default_config_static_selectorELNS0_4arch9wavefront6targetE1EEEvT1_.kd
    .uniform_work_group_size: 1
    .uses_dynamic_stack: false
    .vgpr_count:     40
    .vgpr_spill_count: 0
    .wavefront_size: 64
  - .agpr_count:     0
    .args:
      - .offset:         0
        .size:           96
        .value_kind:     by_value
    .group_segment_fixed_size: 0
    .kernarg_segment_align: 8
    .kernarg_segment_size: 96
    .language:       OpenCL C
    .language_version:
      - 2
      - 0
    .max_flat_workgroup_size: 256
    .name:           _ZN7rocprim17ROCPRIM_400000_NS6detail17trampoline_kernelINS0_14default_configENS1_20scan_config_selectorIjEEZZNS1_9scan_implILNS1_25lookback_scan_determinismE0ELb0ELb0ES3_N6thrust23THRUST_200600_302600_NS6detail15normal_iteratorINS9_10device_ptrIjEEEESE_jNS9_4plusIvEEjEEDaPvRmT3_T4_T5_mT6_P12ihipStream_tbENKUlT_T0_E_clISt17integral_constantIbLb1EEST_IbLb0EEEEDaSP_SQ_EUlSP_E_NS1_11comp_targetILNS1_3genE3ELNS1_11target_archE908ELNS1_3gpuE7ELNS1_3repE0EEENS1_30default_config_static_selectorELNS0_4arch9wavefront6targetE1EEEvT1_
    .private_segment_fixed_size: 0
    .sgpr_count:     4
    .sgpr_spill_count: 0
    .symbol:         _ZN7rocprim17ROCPRIM_400000_NS6detail17trampoline_kernelINS0_14default_configENS1_20scan_config_selectorIjEEZZNS1_9scan_implILNS1_25lookback_scan_determinismE0ELb0ELb0ES3_N6thrust23THRUST_200600_302600_NS6detail15normal_iteratorINS9_10device_ptrIjEEEESE_jNS9_4plusIvEEjEEDaPvRmT3_T4_T5_mT6_P12ihipStream_tbENKUlT_T0_E_clISt17integral_constantIbLb1EEST_IbLb0EEEEDaSP_SQ_EUlSP_E_NS1_11comp_targetILNS1_3genE3ELNS1_11target_archE908ELNS1_3gpuE7ELNS1_3repE0EEENS1_30default_config_static_selectorELNS0_4arch9wavefront6targetE1EEEvT1_.kd
    .uniform_work_group_size: 1
    .uses_dynamic_stack: false
    .vgpr_count:     0
    .vgpr_spill_count: 0
    .wavefront_size: 64
  - .agpr_count:     0
    .args:
      - .offset:         0
        .size:           96
        .value_kind:     by_value
    .group_segment_fixed_size: 0
    .kernarg_segment_align: 8
    .kernarg_segment_size: 96
    .language:       OpenCL C
    .language_version:
      - 2
      - 0
    .max_flat_workgroup_size: 256
    .name:           _ZN7rocprim17ROCPRIM_400000_NS6detail17trampoline_kernelINS0_14default_configENS1_20scan_config_selectorIjEEZZNS1_9scan_implILNS1_25lookback_scan_determinismE0ELb0ELb0ES3_N6thrust23THRUST_200600_302600_NS6detail15normal_iteratorINS9_10device_ptrIjEEEESE_jNS9_4plusIvEEjEEDaPvRmT3_T4_T5_mT6_P12ihipStream_tbENKUlT_T0_E_clISt17integral_constantIbLb1EEST_IbLb0EEEEDaSP_SQ_EUlSP_E_NS1_11comp_targetILNS1_3genE2ELNS1_11target_archE906ELNS1_3gpuE6ELNS1_3repE0EEENS1_30default_config_static_selectorELNS0_4arch9wavefront6targetE1EEEvT1_
    .private_segment_fixed_size: 0
    .sgpr_count:     4
    .sgpr_spill_count: 0
    .symbol:         _ZN7rocprim17ROCPRIM_400000_NS6detail17trampoline_kernelINS0_14default_configENS1_20scan_config_selectorIjEEZZNS1_9scan_implILNS1_25lookback_scan_determinismE0ELb0ELb0ES3_N6thrust23THRUST_200600_302600_NS6detail15normal_iteratorINS9_10device_ptrIjEEEESE_jNS9_4plusIvEEjEEDaPvRmT3_T4_T5_mT6_P12ihipStream_tbENKUlT_T0_E_clISt17integral_constantIbLb1EEST_IbLb0EEEEDaSP_SQ_EUlSP_E_NS1_11comp_targetILNS1_3genE2ELNS1_11target_archE906ELNS1_3gpuE6ELNS1_3repE0EEENS1_30default_config_static_selectorELNS0_4arch9wavefront6targetE1EEEvT1_.kd
    .uniform_work_group_size: 1
    .uses_dynamic_stack: false
    .vgpr_count:     0
    .vgpr_spill_count: 0
    .wavefront_size: 64
  - .agpr_count:     0
    .args:
      - .offset:         0
        .size:           96
        .value_kind:     by_value
    .group_segment_fixed_size: 0
    .kernarg_segment_align: 8
    .kernarg_segment_size: 96
    .language:       OpenCL C
    .language_version:
      - 2
      - 0
    .max_flat_workgroup_size: 256
    .name:           _ZN7rocprim17ROCPRIM_400000_NS6detail17trampoline_kernelINS0_14default_configENS1_20scan_config_selectorIjEEZZNS1_9scan_implILNS1_25lookback_scan_determinismE0ELb0ELb0ES3_N6thrust23THRUST_200600_302600_NS6detail15normal_iteratorINS9_10device_ptrIjEEEESE_jNS9_4plusIvEEjEEDaPvRmT3_T4_T5_mT6_P12ihipStream_tbENKUlT_T0_E_clISt17integral_constantIbLb1EEST_IbLb0EEEEDaSP_SQ_EUlSP_E_NS1_11comp_targetILNS1_3genE10ELNS1_11target_archE1201ELNS1_3gpuE5ELNS1_3repE0EEENS1_30default_config_static_selectorELNS0_4arch9wavefront6targetE1EEEvT1_
    .private_segment_fixed_size: 0
    .sgpr_count:     4
    .sgpr_spill_count: 0
    .symbol:         _ZN7rocprim17ROCPRIM_400000_NS6detail17trampoline_kernelINS0_14default_configENS1_20scan_config_selectorIjEEZZNS1_9scan_implILNS1_25lookback_scan_determinismE0ELb0ELb0ES3_N6thrust23THRUST_200600_302600_NS6detail15normal_iteratorINS9_10device_ptrIjEEEESE_jNS9_4plusIvEEjEEDaPvRmT3_T4_T5_mT6_P12ihipStream_tbENKUlT_T0_E_clISt17integral_constantIbLb1EEST_IbLb0EEEEDaSP_SQ_EUlSP_E_NS1_11comp_targetILNS1_3genE10ELNS1_11target_archE1201ELNS1_3gpuE5ELNS1_3repE0EEENS1_30default_config_static_selectorELNS0_4arch9wavefront6targetE1EEEvT1_.kd
    .uniform_work_group_size: 1
    .uses_dynamic_stack: false
    .vgpr_count:     0
    .vgpr_spill_count: 0
    .wavefront_size: 64
  - .agpr_count:     0
    .args:
      - .offset:         0
        .size:           96
        .value_kind:     by_value
    .group_segment_fixed_size: 0
    .kernarg_segment_align: 8
    .kernarg_segment_size: 96
    .language:       OpenCL C
    .language_version:
      - 2
      - 0
    .max_flat_workgroup_size: 256
    .name:           _ZN7rocprim17ROCPRIM_400000_NS6detail17trampoline_kernelINS0_14default_configENS1_20scan_config_selectorIjEEZZNS1_9scan_implILNS1_25lookback_scan_determinismE0ELb0ELb0ES3_N6thrust23THRUST_200600_302600_NS6detail15normal_iteratorINS9_10device_ptrIjEEEESE_jNS9_4plusIvEEjEEDaPvRmT3_T4_T5_mT6_P12ihipStream_tbENKUlT_T0_E_clISt17integral_constantIbLb1EEST_IbLb0EEEEDaSP_SQ_EUlSP_E_NS1_11comp_targetILNS1_3genE10ELNS1_11target_archE1200ELNS1_3gpuE4ELNS1_3repE0EEENS1_30default_config_static_selectorELNS0_4arch9wavefront6targetE1EEEvT1_
    .private_segment_fixed_size: 0
    .sgpr_count:     4
    .sgpr_spill_count: 0
    .symbol:         _ZN7rocprim17ROCPRIM_400000_NS6detail17trampoline_kernelINS0_14default_configENS1_20scan_config_selectorIjEEZZNS1_9scan_implILNS1_25lookback_scan_determinismE0ELb0ELb0ES3_N6thrust23THRUST_200600_302600_NS6detail15normal_iteratorINS9_10device_ptrIjEEEESE_jNS9_4plusIvEEjEEDaPvRmT3_T4_T5_mT6_P12ihipStream_tbENKUlT_T0_E_clISt17integral_constantIbLb1EEST_IbLb0EEEEDaSP_SQ_EUlSP_E_NS1_11comp_targetILNS1_3genE10ELNS1_11target_archE1200ELNS1_3gpuE4ELNS1_3repE0EEENS1_30default_config_static_selectorELNS0_4arch9wavefront6targetE1EEEvT1_.kd
    .uniform_work_group_size: 1
    .uses_dynamic_stack: false
    .vgpr_count:     0
    .vgpr_spill_count: 0
    .wavefront_size: 64
  - .agpr_count:     0
    .args:
      - .offset:         0
        .size:           96
        .value_kind:     by_value
    .group_segment_fixed_size: 0
    .kernarg_segment_align: 8
    .kernarg_segment_size: 96
    .language:       OpenCL C
    .language_version:
      - 2
      - 0
    .max_flat_workgroup_size: 256
    .name:           _ZN7rocprim17ROCPRIM_400000_NS6detail17trampoline_kernelINS0_14default_configENS1_20scan_config_selectorIjEEZZNS1_9scan_implILNS1_25lookback_scan_determinismE0ELb0ELb0ES3_N6thrust23THRUST_200600_302600_NS6detail15normal_iteratorINS9_10device_ptrIjEEEESE_jNS9_4plusIvEEjEEDaPvRmT3_T4_T5_mT6_P12ihipStream_tbENKUlT_T0_E_clISt17integral_constantIbLb1EEST_IbLb0EEEEDaSP_SQ_EUlSP_E_NS1_11comp_targetILNS1_3genE9ELNS1_11target_archE1100ELNS1_3gpuE3ELNS1_3repE0EEENS1_30default_config_static_selectorELNS0_4arch9wavefront6targetE1EEEvT1_
    .private_segment_fixed_size: 0
    .sgpr_count:     4
    .sgpr_spill_count: 0
    .symbol:         _ZN7rocprim17ROCPRIM_400000_NS6detail17trampoline_kernelINS0_14default_configENS1_20scan_config_selectorIjEEZZNS1_9scan_implILNS1_25lookback_scan_determinismE0ELb0ELb0ES3_N6thrust23THRUST_200600_302600_NS6detail15normal_iteratorINS9_10device_ptrIjEEEESE_jNS9_4plusIvEEjEEDaPvRmT3_T4_T5_mT6_P12ihipStream_tbENKUlT_T0_E_clISt17integral_constantIbLb1EEST_IbLb0EEEEDaSP_SQ_EUlSP_E_NS1_11comp_targetILNS1_3genE9ELNS1_11target_archE1100ELNS1_3gpuE3ELNS1_3repE0EEENS1_30default_config_static_selectorELNS0_4arch9wavefront6targetE1EEEvT1_.kd
    .uniform_work_group_size: 1
    .uses_dynamic_stack: false
    .vgpr_count:     0
    .vgpr_spill_count: 0
    .wavefront_size: 64
  - .agpr_count:     0
    .args:
      - .offset:         0
        .size:           96
        .value_kind:     by_value
    .group_segment_fixed_size: 0
    .kernarg_segment_align: 8
    .kernarg_segment_size: 96
    .language:       OpenCL C
    .language_version:
      - 2
      - 0
    .max_flat_workgroup_size: 64
    .name:           _ZN7rocprim17ROCPRIM_400000_NS6detail17trampoline_kernelINS0_14default_configENS1_20scan_config_selectorIjEEZZNS1_9scan_implILNS1_25lookback_scan_determinismE0ELb0ELb0ES3_N6thrust23THRUST_200600_302600_NS6detail15normal_iteratorINS9_10device_ptrIjEEEESE_jNS9_4plusIvEEjEEDaPvRmT3_T4_T5_mT6_P12ihipStream_tbENKUlT_T0_E_clISt17integral_constantIbLb1EEST_IbLb0EEEEDaSP_SQ_EUlSP_E_NS1_11comp_targetILNS1_3genE8ELNS1_11target_archE1030ELNS1_3gpuE2ELNS1_3repE0EEENS1_30default_config_static_selectorELNS0_4arch9wavefront6targetE1EEEvT1_
    .private_segment_fixed_size: 0
    .sgpr_count:     4
    .sgpr_spill_count: 0
    .symbol:         _ZN7rocprim17ROCPRIM_400000_NS6detail17trampoline_kernelINS0_14default_configENS1_20scan_config_selectorIjEEZZNS1_9scan_implILNS1_25lookback_scan_determinismE0ELb0ELb0ES3_N6thrust23THRUST_200600_302600_NS6detail15normal_iteratorINS9_10device_ptrIjEEEESE_jNS9_4plusIvEEjEEDaPvRmT3_T4_T5_mT6_P12ihipStream_tbENKUlT_T0_E_clISt17integral_constantIbLb1EEST_IbLb0EEEEDaSP_SQ_EUlSP_E_NS1_11comp_targetILNS1_3genE8ELNS1_11target_archE1030ELNS1_3gpuE2ELNS1_3repE0EEENS1_30default_config_static_selectorELNS0_4arch9wavefront6targetE1EEEvT1_.kd
    .uniform_work_group_size: 1
    .uses_dynamic_stack: false
    .vgpr_count:     0
    .vgpr_spill_count: 0
    .wavefront_size: 64
  - .agpr_count:     0
    .args:
      - .offset:         0
        .size:           32
        .value_kind:     by_value
    .group_segment_fixed_size: 0
    .kernarg_segment_align: 8
    .kernarg_segment_size: 32
    .language:       OpenCL C
    .language_version:
      - 2
      - 0
    .max_flat_workgroup_size: 256
    .name:           _ZN7rocprim17ROCPRIM_400000_NS6detail17trampoline_kernelINS0_14default_configENS1_20scan_config_selectorIjEEZZNS1_9scan_implILNS1_25lookback_scan_determinismE0ELb0ELb0ES3_N6thrust23THRUST_200600_302600_NS6detail15normal_iteratorINS9_10device_ptrIjEEEESE_jNS9_4plusIvEEjEEDaPvRmT3_T4_T5_mT6_P12ihipStream_tbENKUlT_T0_E_clISt17integral_constantIbLb1EEST_IbLb0EEEEDaSP_SQ_EUlSP_E0_NS1_11comp_targetILNS1_3genE0ELNS1_11target_archE4294967295ELNS1_3gpuE0ELNS1_3repE0EEENS1_30default_config_static_selectorELNS0_4arch9wavefront6targetE1EEEvT1_
    .private_segment_fixed_size: 0
    .sgpr_count:     4
    .sgpr_spill_count: 0
    .symbol:         _ZN7rocprim17ROCPRIM_400000_NS6detail17trampoline_kernelINS0_14default_configENS1_20scan_config_selectorIjEEZZNS1_9scan_implILNS1_25lookback_scan_determinismE0ELb0ELb0ES3_N6thrust23THRUST_200600_302600_NS6detail15normal_iteratorINS9_10device_ptrIjEEEESE_jNS9_4plusIvEEjEEDaPvRmT3_T4_T5_mT6_P12ihipStream_tbENKUlT_T0_E_clISt17integral_constantIbLb1EEST_IbLb0EEEEDaSP_SQ_EUlSP_E0_NS1_11comp_targetILNS1_3genE0ELNS1_11target_archE4294967295ELNS1_3gpuE0ELNS1_3repE0EEENS1_30default_config_static_selectorELNS0_4arch9wavefront6targetE1EEEvT1_.kd
    .uniform_work_group_size: 1
    .uses_dynamic_stack: false
    .vgpr_count:     0
    .vgpr_spill_count: 0
    .wavefront_size: 64
  - .agpr_count:     0
    .args:
      - .offset:         0
        .size:           32
        .value_kind:     by_value
    .group_segment_fixed_size: 0
    .kernarg_segment_align: 8
    .kernarg_segment_size: 32
    .language:       OpenCL C
    .language_version:
      - 2
      - 0
    .max_flat_workgroup_size: 256
    .name:           _ZN7rocprim17ROCPRIM_400000_NS6detail17trampoline_kernelINS0_14default_configENS1_20scan_config_selectorIjEEZZNS1_9scan_implILNS1_25lookback_scan_determinismE0ELb0ELb0ES3_N6thrust23THRUST_200600_302600_NS6detail15normal_iteratorINS9_10device_ptrIjEEEESE_jNS9_4plusIvEEjEEDaPvRmT3_T4_T5_mT6_P12ihipStream_tbENKUlT_T0_E_clISt17integral_constantIbLb1EEST_IbLb0EEEEDaSP_SQ_EUlSP_E0_NS1_11comp_targetILNS1_3genE5ELNS1_11target_archE942ELNS1_3gpuE9ELNS1_3repE0EEENS1_30default_config_static_selectorELNS0_4arch9wavefront6targetE1EEEvT1_
    .private_segment_fixed_size: 0
    .sgpr_count:     4
    .sgpr_spill_count: 0
    .symbol:         _ZN7rocprim17ROCPRIM_400000_NS6detail17trampoline_kernelINS0_14default_configENS1_20scan_config_selectorIjEEZZNS1_9scan_implILNS1_25lookback_scan_determinismE0ELb0ELb0ES3_N6thrust23THRUST_200600_302600_NS6detail15normal_iteratorINS9_10device_ptrIjEEEESE_jNS9_4plusIvEEjEEDaPvRmT3_T4_T5_mT6_P12ihipStream_tbENKUlT_T0_E_clISt17integral_constantIbLb1EEST_IbLb0EEEEDaSP_SQ_EUlSP_E0_NS1_11comp_targetILNS1_3genE5ELNS1_11target_archE942ELNS1_3gpuE9ELNS1_3repE0EEENS1_30default_config_static_selectorELNS0_4arch9wavefront6targetE1EEEvT1_.kd
    .uniform_work_group_size: 1
    .uses_dynamic_stack: false
    .vgpr_count:     0
    .vgpr_spill_count: 0
    .wavefront_size: 64
  - .agpr_count:     0
    .args:
      - .offset:         0
        .size:           32
        .value_kind:     by_value
    .group_segment_fixed_size: 5120
    .kernarg_segment_align: 8
    .kernarg_segment_size: 32
    .language:       OpenCL C
    .language_version:
      - 2
      - 0
    .max_flat_workgroup_size: 128
    .name:           _ZN7rocprim17ROCPRIM_400000_NS6detail17trampoline_kernelINS0_14default_configENS1_20scan_config_selectorIjEEZZNS1_9scan_implILNS1_25lookback_scan_determinismE0ELb0ELb0ES3_N6thrust23THRUST_200600_302600_NS6detail15normal_iteratorINS9_10device_ptrIjEEEESE_jNS9_4plusIvEEjEEDaPvRmT3_T4_T5_mT6_P12ihipStream_tbENKUlT_T0_E_clISt17integral_constantIbLb1EEST_IbLb0EEEEDaSP_SQ_EUlSP_E0_NS1_11comp_targetILNS1_3genE4ELNS1_11target_archE910ELNS1_3gpuE8ELNS1_3repE0EEENS1_30default_config_static_selectorELNS0_4arch9wavefront6targetE1EEEvT1_
    .private_segment_fixed_size: 0
    .sgpr_count:     28
    .sgpr_spill_count: 0
    .symbol:         _ZN7rocprim17ROCPRIM_400000_NS6detail17trampoline_kernelINS0_14default_configENS1_20scan_config_selectorIjEEZZNS1_9scan_implILNS1_25lookback_scan_determinismE0ELb0ELb0ES3_N6thrust23THRUST_200600_302600_NS6detail15normal_iteratorINS9_10device_ptrIjEEEESE_jNS9_4plusIvEEjEEDaPvRmT3_T4_T5_mT6_P12ihipStream_tbENKUlT_T0_E_clISt17integral_constantIbLb1EEST_IbLb0EEEEDaSP_SQ_EUlSP_E0_NS1_11comp_targetILNS1_3genE4ELNS1_11target_archE910ELNS1_3gpuE8ELNS1_3repE0EEENS1_30default_config_static_selectorELNS0_4arch9wavefront6targetE1EEEvT1_.kd
    .uniform_work_group_size: 1
    .uses_dynamic_stack: false
    .vgpr_count:     27
    .vgpr_spill_count: 0
    .wavefront_size: 64
  - .agpr_count:     0
    .args:
      - .offset:         0
        .size:           32
        .value_kind:     by_value
    .group_segment_fixed_size: 0
    .kernarg_segment_align: 8
    .kernarg_segment_size: 32
    .language:       OpenCL C
    .language_version:
      - 2
      - 0
    .max_flat_workgroup_size: 256
    .name:           _ZN7rocprim17ROCPRIM_400000_NS6detail17trampoline_kernelINS0_14default_configENS1_20scan_config_selectorIjEEZZNS1_9scan_implILNS1_25lookback_scan_determinismE0ELb0ELb0ES3_N6thrust23THRUST_200600_302600_NS6detail15normal_iteratorINS9_10device_ptrIjEEEESE_jNS9_4plusIvEEjEEDaPvRmT3_T4_T5_mT6_P12ihipStream_tbENKUlT_T0_E_clISt17integral_constantIbLb1EEST_IbLb0EEEEDaSP_SQ_EUlSP_E0_NS1_11comp_targetILNS1_3genE3ELNS1_11target_archE908ELNS1_3gpuE7ELNS1_3repE0EEENS1_30default_config_static_selectorELNS0_4arch9wavefront6targetE1EEEvT1_
    .private_segment_fixed_size: 0
    .sgpr_count:     4
    .sgpr_spill_count: 0
    .symbol:         _ZN7rocprim17ROCPRIM_400000_NS6detail17trampoline_kernelINS0_14default_configENS1_20scan_config_selectorIjEEZZNS1_9scan_implILNS1_25lookback_scan_determinismE0ELb0ELb0ES3_N6thrust23THRUST_200600_302600_NS6detail15normal_iteratorINS9_10device_ptrIjEEEESE_jNS9_4plusIvEEjEEDaPvRmT3_T4_T5_mT6_P12ihipStream_tbENKUlT_T0_E_clISt17integral_constantIbLb1EEST_IbLb0EEEEDaSP_SQ_EUlSP_E0_NS1_11comp_targetILNS1_3genE3ELNS1_11target_archE908ELNS1_3gpuE7ELNS1_3repE0EEENS1_30default_config_static_selectorELNS0_4arch9wavefront6targetE1EEEvT1_.kd
    .uniform_work_group_size: 1
    .uses_dynamic_stack: false
    .vgpr_count:     0
    .vgpr_spill_count: 0
    .wavefront_size: 64
  - .agpr_count:     0
    .args:
      - .offset:         0
        .size:           32
        .value_kind:     by_value
    .group_segment_fixed_size: 0
    .kernarg_segment_align: 8
    .kernarg_segment_size: 32
    .language:       OpenCL C
    .language_version:
      - 2
      - 0
    .max_flat_workgroup_size: 256
    .name:           _ZN7rocprim17ROCPRIM_400000_NS6detail17trampoline_kernelINS0_14default_configENS1_20scan_config_selectorIjEEZZNS1_9scan_implILNS1_25lookback_scan_determinismE0ELb0ELb0ES3_N6thrust23THRUST_200600_302600_NS6detail15normal_iteratorINS9_10device_ptrIjEEEESE_jNS9_4plusIvEEjEEDaPvRmT3_T4_T5_mT6_P12ihipStream_tbENKUlT_T0_E_clISt17integral_constantIbLb1EEST_IbLb0EEEEDaSP_SQ_EUlSP_E0_NS1_11comp_targetILNS1_3genE2ELNS1_11target_archE906ELNS1_3gpuE6ELNS1_3repE0EEENS1_30default_config_static_selectorELNS0_4arch9wavefront6targetE1EEEvT1_
    .private_segment_fixed_size: 0
    .sgpr_count:     4
    .sgpr_spill_count: 0
    .symbol:         _ZN7rocprim17ROCPRIM_400000_NS6detail17trampoline_kernelINS0_14default_configENS1_20scan_config_selectorIjEEZZNS1_9scan_implILNS1_25lookback_scan_determinismE0ELb0ELb0ES3_N6thrust23THRUST_200600_302600_NS6detail15normal_iteratorINS9_10device_ptrIjEEEESE_jNS9_4plusIvEEjEEDaPvRmT3_T4_T5_mT6_P12ihipStream_tbENKUlT_T0_E_clISt17integral_constantIbLb1EEST_IbLb0EEEEDaSP_SQ_EUlSP_E0_NS1_11comp_targetILNS1_3genE2ELNS1_11target_archE906ELNS1_3gpuE6ELNS1_3repE0EEENS1_30default_config_static_selectorELNS0_4arch9wavefront6targetE1EEEvT1_.kd
    .uniform_work_group_size: 1
    .uses_dynamic_stack: false
    .vgpr_count:     0
    .vgpr_spill_count: 0
    .wavefront_size: 64
  - .agpr_count:     0
    .args:
      - .offset:         0
        .size:           32
        .value_kind:     by_value
    .group_segment_fixed_size: 0
    .kernarg_segment_align: 8
    .kernarg_segment_size: 32
    .language:       OpenCL C
    .language_version:
      - 2
      - 0
    .max_flat_workgroup_size: 256
    .name:           _ZN7rocprim17ROCPRIM_400000_NS6detail17trampoline_kernelINS0_14default_configENS1_20scan_config_selectorIjEEZZNS1_9scan_implILNS1_25lookback_scan_determinismE0ELb0ELb0ES3_N6thrust23THRUST_200600_302600_NS6detail15normal_iteratorINS9_10device_ptrIjEEEESE_jNS9_4plusIvEEjEEDaPvRmT3_T4_T5_mT6_P12ihipStream_tbENKUlT_T0_E_clISt17integral_constantIbLb1EEST_IbLb0EEEEDaSP_SQ_EUlSP_E0_NS1_11comp_targetILNS1_3genE10ELNS1_11target_archE1201ELNS1_3gpuE5ELNS1_3repE0EEENS1_30default_config_static_selectorELNS0_4arch9wavefront6targetE1EEEvT1_
    .private_segment_fixed_size: 0
    .sgpr_count:     4
    .sgpr_spill_count: 0
    .symbol:         _ZN7rocprim17ROCPRIM_400000_NS6detail17trampoline_kernelINS0_14default_configENS1_20scan_config_selectorIjEEZZNS1_9scan_implILNS1_25lookback_scan_determinismE0ELb0ELb0ES3_N6thrust23THRUST_200600_302600_NS6detail15normal_iteratorINS9_10device_ptrIjEEEESE_jNS9_4plusIvEEjEEDaPvRmT3_T4_T5_mT6_P12ihipStream_tbENKUlT_T0_E_clISt17integral_constantIbLb1EEST_IbLb0EEEEDaSP_SQ_EUlSP_E0_NS1_11comp_targetILNS1_3genE10ELNS1_11target_archE1201ELNS1_3gpuE5ELNS1_3repE0EEENS1_30default_config_static_selectorELNS0_4arch9wavefront6targetE1EEEvT1_.kd
    .uniform_work_group_size: 1
    .uses_dynamic_stack: false
    .vgpr_count:     0
    .vgpr_spill_count: 0
    .wavefront_size: 64
  - .agpr_count:     0
    .args:
      - .offset:         0
        .size:           32
        .value_kind:     by_value
    .group_segment_fixed_size: 0
    .kernarg_segment_align: 8
    .kernarg_segment_size: 32
    .language:       OpenCL C
    .language_version:
      - 2
      - 0
    .max_flat_workgroup_size: 256
    .name:           _ZN7rocprim17ROCPRIM_400000_NS6detail17trampoline_kernelINS0_14default_configENS1_20scan_config_selectorIjEEZZNS1_9scan_implILNS1_25lookback_scan_determinismE0ELb0ELb0ES3_N6thrust23THRUST_200600_302600_NS6detail15normal_iteratorINS9_10device_ptrIjEEEESE_jNS9_4plusIvEEjEEDaPvRmT3_T4_T5_mT6_P12ihipStream_tbENKUlT_T0_E_clISt17integral_constantIbLb1EEST_IbLb0EEEEDaSP_SQ_EUlSP_E0_NS1_11comp_targetILNS1_3genE10ELNS1_11target_archE1200ELNS1_3gpuE4ELNS1_3repE0EEENS1_30default_config_static_selectorELNS0_4arch9wavefront6targetE1EEEvT1_
    .private_segment_fixed_size: 0
    .sgpr_count:     4
    .sgpr_spill_count: 0
    .symbol:         _ZN7rocprim17ROCPRIM_400000_NS6detail17trampoline_kernelINS0_14default_configENS1_20scan_config_selectorIjEEZZNS1_9scan_implILNS1_25lookback_scan_determinismE0ELb0ELb0ES3_N6thrust23THRUST_200600_302600_NS6detail15normal_iteratorINS9_10device_ptrIjEEEESE_jNS9_4plusIvEEjEEDaPvRmT3_T4_T5_mT6_P12ihipStream_tbENKUlT_T0_E_clISt17integral_constantIbLb1EEST_IbLb0EEEEDaSP_SQ_EUlSP_E0_NS1_11comp_targetILNS1_3genE10ELNS1_11target_archE1200ELNS1_3gpuE4ELNS1_3repE0EEENS1_30default_config_static_selectorELNS0_4arch9wavefront6targetE1EEEvT1_.kd
    .uniform_work_group_size: 1
    .uses_dynamic_stack: false
    .vgpr_count:     0
    .vgpr_spill_count: 0
    .wavefront_size: 64
  - .agpr_count:     0
    .args:
      - .offset:         0
        .size:           32
        .value_kind:     by_value
    .group_segment_fixed_size: 0
    .kernarg_segment_align: 8
    .kernarg_segment_size: 32
    .language:       OpenCL C
    .language_version:
      - 2
      - 0
    .max_flat_workgroup_size: 256
    .name:           _ZN7rocprim17ROCPRIM_400000_NS6detail17trampoline_kernelINS0_14default_configENS1_20scan_config_selectorIjEEZZNS1_9scan_implILNS1_25lookback_scan_determinismE0ELb0ELb0ES3_N6thrust23THRUST_200600_302600_NS6detail15normal_iteratorINS9_10device_ptrIjEEEESE_jNS9_4plusIvEEjEEDaPvRmT3_T4_T5_mT6_P12ihipStream_tbENKUlT_T0_E_clISt17integral_constantIbLb1EEST_IbLb0EEEEDaSP_SQ_EUlSP_E0_NS1_11comp_targetILNS1_3genE9ELNS1_11target_archE1100ELNS1_3gpuE3ELNS1_3repE0EEENS1_30default_config_static_selectorELNS0_4arch9wavefront6targetE1EEEvT1_
    .private_segment_fixed_size: 0
    .sgpr_count:     4
    .sgpr_spill_count: 0
    .symbol:         _ZN7rocprim17ROCPRIM_400000_NS6detail17trampoline_kernelINS0_14default_configENS1_20scan_config_selectorIjEEZZNS1_9scan_implILNS1_25lookback_scan_determinismE0ELb0ELb0ES3_N6thrust23THRUST_200600_302600_NS6detail15normal_iteratorINS9_10device_ptrIjEEEESE_jNS9_4plusIvEEjEEDaPvRmT3_T4_T5_mT6_P12ihipStream_tbENKUlT_T0_E_clISt17integral_constantIbLb1EEST_IbLb0EEEEDaSP_SQ_EUlSP_E0_NS1_11comp_targetILNS1_3genE9ELNS1_11target_archE1100ELNS1_3gpuE3ELNS1_3repE0EEENS1_30default_config_static_selectorELNS0_4arch9wavefront6targetE1EEEvT1_.kd
    .uniform_work_group_size: 1
    .uses_dynamic_stack: false
    .vgpr_count:     0
    .vgpr_spill_count: 0
    .wavefront_size: 64
  - .agpr_count:     0
    .args:
      - .offset:         0
        .size:           32
        .value_kind:     by_value
    .group_segment_fixed_size: 0
    .kernarg_segment_align: 8
    .kernarg_segment_size: 32
    .language:       OpenCL C
    .language_version:
      - 2
      - 0
    .max_flat_workgroup_size: 64
    .name:           _ZN7rocprim17ROCPRIM_400000_NS6detail17trampoline_kernelINS0_14default_configENS1_20scan_config_selectorIjEEZZNS1_9scan_implILNS1_25lookback_scan_determinismE0ELb0ELb0ES3_N6thrust23THRUST_200600_302600_NS6detail15normal_iteratorINS9_10device_ptrIjEEEESE_jNS9_4plusIvEEjEEDaPvRmT3_T4_T5_mT6_P12ihipStream_tbENKUlT_T0_E_clISt17integral_constantIbLb1EEST_IbLb0EEEEDaSP_SQ_EUlSP_E0_NS1_11comp_targetILNS1_3genE8ELNS1_11target_archE1030ELNS1_3gpuE2ELNS1_3repE0EEENS1_30default_config_static_selectorELNS0_4arch9wavefront6targetE1EEEvT1_
    .private_segment_fixed_size: 0
    .sgpr_count:     4
    .sgpr_spill_count: 0
    .symbol:         _ZN7rocprim17ROCPRIM_400000_NS6detail17trampoline_kernelINS0_14default_configENS1_20scan_config_selectorIjEEZZNS1_9scan_implILNS1_25lookback_scan_determinismE0ELb0ELb0ES3_N6thrust23THRUST_200600_302600_NS6detail15normal_iteratorINS9_10device_ptrIjEEEESE_jNS9_4plusIvEEjEEDaPvRmT3_T4_T5_mT6_P12ihipStream_tbENKUlT_T0_E_clISt17integral_constantIbLb1EEST_IbLb0EEEEDaSP_SQ_EUlSP_E0_NS1_11comp_targetILNS1_3genE8ELNS1_11target_archE1030ELNS1_3gpuE2ELNS1_3repE0EEENS1_30default_config_static_selectorELNS0_4arch9wavefront6targetE1EEEvT1_.kd
    .uniform_work_group_size: 1
    .uses_dynamic_stack: false
    .vgpr_count:     0
    .vgpr_spill_count: 0
    .wavefront_size: 64
  - .agpr_count:     0
    .args:
      - .offset:         0
        .size:           96
        .value_kind:     by_value
    .group_segment_fixed_size: 0
    .kernarg_segment_align: 8
    .kernarg_segment_size: 96
    .language:       OpenCL C
    .language_version:
      - 2
      - 0
    .max_flat_workgroup_size: 256
    .name:           _ZN7rocprim17ROCPRIM_400000_NS6detail17trampoline_kernelINS0_14default_configENS1_20scan_config_selectorIjEEZZNS1_9scan_implILNS1_25lookback_scan_determinismE0ELb0ELb0ES3_N6thrust23THRUST_200600_302600_NS6detail15normal_iteratorINS9_10device_ptrIjEEEESE_jNS9_4plusIvEEjEEDaPvRmT3_T4_T5_mT6_P12ihipStream_tbENKUlT_T0_E_clISt17integral_constantIbLb0EEST_IbLb1EEEEDaSP_SQ_EUlSP_E_NS1_11comp_targetILNS1_3genE0ELNS1_11target_archE4294967295ELNS1_3gpuE0ELNS1_3repE0EEENS1_30default_config_static_selectorELNS0_4arch9wavefront6targetE1EEEvT1_
    .private_segment_fixed_size: 0
    .sgpr_count:     4
    .sgpr_spill_count: 0
    .symbol:         _ZN7rocprim17ROCPRIM_400000_NS6detail17trampoline_kernelINS0_14default_configENS1_20scan_config_selectorIjEEZZNS1_9scan_implILNS1_25lookback_scan_determinismE0ELb0ELb0ES3_N6thrust23THRUST_200600_302600_NS6detail15normal_iteratorINS9_10device_ptrIjEEEESE_jNS9_4plusIvEEjEEDaPvRmT3_T4_T5_mT6_P12ihipStream_tbENKUlT_T0_E_clISt17integral_constantIbLb0EEST_IbLb1EEEEDaSP_SQ_EUlSP_E_NS1_11comp_targetILNS1_3genE0ELNS1_11target_archE4294967295ELNS1_3gpuE0ELNS1_3repE0EEENS1_30default_config_static_selectorELNS0_4arch9wavefront6targetE1EEEvT1_.kd
    .uniform_work_group_size: 1
    .uses_dynamic_stack: false
    .vgpr_count:     0
    .vgpr_spill_count: 0
    .wavefront_size: 64
  - .agpr_count:     0
    .args:
      - .offset:         0
        .size:           96
        .value_kind:     by_value
    .group_segment_fixed_size: 0
    .kernarg_segment_align: 8
    .kernarg_segment_size: 96
    .language:       OpenCL C
    .language_version:
      - 2
      - 0
    .max_flat_workgroup_size: 256
    .name:           _ZN7rocprim17ROCPRIM_400000_NS6detail17trampoline_kernelINS0_14default_configENS1_20scan_config_selectorIjEEZZNS1_9scan_implILNS1_25lookback_scan_determinismE0ELb0ELb0ES3_N6thrust23THRUST_200600_302600_NS6detail15normal_iteratorINS9_10device_ptrIjEEEESE_jNS9_4plusIvEEjEEDaPvRmT3_T4_T5_mT6_P12ihipStream_tbENKUlT_T0_E_clISt17integral_constantIbLb0EEST_IbLb1EEEEDaSP_SQ_EUlSP_E_NS1_11comp_targetILNS1_3genE5ELNS1_11target_archE942ELNS1_3gpuE9ELNS1_3repE0EEENS1_30default_config_static_selectorELNS0_4arch9wavefront6targetE1EEEvT1_
    .private_segment_fixed_size: 0
    .sgpr_count:     4
    .sgpr_spill_count: 0
    .symbol:         _ZN7rocprim17ROCPRIM_400000_NS6detail17trampoline_kernelINS0_14default_configENS1_20scan_config_selectorIjEEZZNS1_9scan_implILNS1_25lookback_scan_determinismE0ELb0ELb0ES3_N6thrust23THRUST_200600_302600_NS6detail15normal_iteratorINS9_10device_ptrIjEEEESE_jNS9_4plusIvEEjEEDaPvRmT3_T4_T5_mT6_P12ihipStream_tbENKUlT_T0_E_clISt17integral_constantIbLb0EEST_IbLb1EEEEDaSP_SQ_EUlSP_E_NS1_11comp_targetILNS1_3genE5ELNS1_11target_archE942ELNS1_3gpuE9ELNS1_3repE0EEENS1_30default_config_static_selectorELNS0_4arch9wavefront6targetE1EEEvT1_.kd
    .uniform_work_group_size: 1
    .uses_dynamic_stack: false
    .vgpr_count:     0
    .vgpr_spill_count: 0
    .wavefront_size: 64
  - .agpr_count:     0
    .args:
      - .offset:         0
        .size:           96
        .value_kind:     by_value
    .group_segment_fixed_size: 5120
    .kernarg_segment_align: 8
    .kernarg_segment_size: 96
    .language:       OpenCL C
    .language_version:
      - 2
      - 0
    .max_flat_workgroup_size: 128
    .name:           _ZN7rocprim17ROCPRIM_400000_NS6detail17trampoline_kernelINS0_14default_configENS1_20scan_config_selectorIjEEZZNS1_9scan_implILNS1_25lookback_scan_determinismE0ELb0ELb0ES3_N6thrust23THRUST_200600_302600_NS6detail15normal_iteratorINS9_10device_ptrIjEEEESE_jNS9_4plusIvEEjEEDaPvRmT3_T4_T5_mT6_P12ihipStream_tbENKUlT_T0_E_clISt17integral_constantIbLb0EEST_IbLb1EEEEDaSP_SQ_EUlSP_E_NS1_11comp_targetILNS1_3genE4ELNS1_11target_archE910ELNS1_3gpuE8ELNS1_3repE0EEENS1_30default_config_static_selectorELNS0_4arch9wavefront6targetE1EEEvT1_
    .private_segment_fixed_size: 0
    .sgpr_count:     40
    .sgpr_spill_count: 0
    .symbol:         _ZN7rocprim17ROCPRIM_400000_NS6detail17trampoline_kernelINS0_14default_configENS1_20scan_config_selectorIjEEZZNS1_9scan_implILNS1_25lookback_scan_determinismE0ELb0ELb0ES3_N6thrust23THRUST_200600_302600_NS6detail15normal_iteratorINS9_10device_ptrIjEEEESE_jNS9_4plusIvEEjEEDaPvRmT3_T4_T5_mT6_P12ihipStream_tbENKUlT_T0_E_clISt17integral_constantIbLb0EEST_IbLb1EEEEDaSP_SQ_EUlSP_E_NS1_11comp_targetILNS1_3genE4ELNS1_11target_archE910ELNS1_3gpuE8ELNS1_3repE0EEENS1_30default_config_static_selectorELNS0_4arch9wavefront6targetE1EEEvT1_.kd
    .uniform_work_group_size: 1
    .uses_dynamic_stack: false
    .vgpr_count:     40
    .vgpr_spill_count: 0
    .wavefront_size: 64
  - .agpr_count:     0
    .args:
      - .offset:         0
        .size:           96
        .value_kind:     by_value
    .group_segment_fixed_size: 0
    .kernarg_segment_align: 8
    .kernarg_segment_size: 96
    .language:       OpenCL C
    .language_version:
      - 2
      - 0
    .max_flat_workgroup_size: 256
    .name:           _ZN7rocprim17ROCPRIM_400000_NS6detail17trampoline_kernelINS0_14default_configENS1_20scan_config_selectorIjEEZZNS1_9scan_implILNS1_25lookback_scan_determinismE0ELb0ELb0ES3_N6thrust23THRUST_200600_302600_NS6detail15normal_iteratorINS9_10device_ptrIjEEEESE_jNS9_4plusIvEEjEEDaPvRmT3_T4_T5_mT6_P12ihipStream_tbENKUlT_T0_E_clISt17integral_constantIbLb0EEST_IbLb1EEEEDaSP_SQ_EUlSP_E_NS1_11comp_targetILNS1_3genE3ELNS1_11target_archE908ELNS1_3gpuE7ELNS1_3repE0EEENS1_30default_config_static_selectorELNS0_4arch9wavefront6targetE1EEEvT1_
    .private_segment_fixed_size: 0
    .sgpr_count:     4
    .sgpr_spill_count: 0
    .symbol:         _ZN7rocprim17ROCPRIM_400000_NS6detail17trampoline_kernelINS0_14default_configENS1_20scan_config_selectorIjEEZZNS1_9scan_implILNS1_25lookback_scan_determinismE0ELb0ELb0ES3_N6thrust23THRUST_200600_302600_NS6detail15normal_iteratorINS9_10device_ptrIjEEEESE_jNS9_4plusIvEEjEEDaPvRmT3_T4_T5_mT6_P12ihipStream_tbENKUlT_T0_E_clISt17integral_constantIbLb0EEST_IbLb1EEEEDaSP_SQ_EUlSP_E_NS1_11comp_targetILNS1_3genE3ELNS1_11target_archE908ELNS1_3gpuE7ELNS1_3repE0EEENS1_30default_config_static_selectorELNS0_4arch9wavefront6targetE1EEEvT1_.kd
    .uniform_work_group_size: 1
    .uses_dynamic_stack: false
    .vgpr_count:     0
    .vgpr_spill_count: 0
    .wavefront_size: 64
  - .agpr_count:     0
    .args:
      - .offset:         0
        .size:           96
        .value_kind:     by_value
    .group_segment_fixed_size: 0
    .kernarg_segment_align: 8
    .kernarg_segment_size: 96
    .language:       OpenCL C
    .language_version:
      - 2
      - 0
    .max_flat_workgroup_size: 256
    .name:           _ZN7rocprim17ROCPRIM_400000_NS6detail17trampoline_kernelINS0_14default_configENS1_20scan_config_selectorIjEEZZNS1_9scan_implILNS1_25lookback_scan_determinismE0ELb0ELb0ES3_N6thrust23THRUST_200600_302600_NS6detail15normal_iteratorINS9_10device_ptrIjEEEESE_jNS9_4plusIvEEjEEDaPvRmT3_T4_T5_mT6_P12ihipStream_tbENKUlT_T0_E_clISt17integral_constantIbLb0EEST_IbLb1EEEEDaSP_SQ_EUlSP_E_NS1_11comp_targetILNS1_3genE2ELNS1_11target_archE906ELNS1_3gpuE6ELNS1_3repE0EEENS1_30default_config_static_selectorELNS0_4arch9wavefront6targetE1EEEvT1_
    .private_segment_fixed_size: 0
    .sgpr_count:     4
    .sgpr_spill_count: 0
    .symbol:         _ZN7rocprim17ROCPRIM_400000_NS6detail17trampoline_kernelINS0_14default_configENS1_20scan_config_selectorIjEEZZNS1_9scan_implILNS1_25lookback_scan_determinismE0ELb0ELb0ES3_N6thrust23THRUST_200600_302600_NS6detail15normal_iteratorINS9_10device_ptrIjEEEESE_jNS9_4plusIvEEjEEDaPvRmT3_T4_T5_mT6_P12ihipStream_tbENKUlT_T0_E_clISt17integral_constantIbLb0EEST_IbLb1EEEEDaSP_SQ_EUlSP_E_NS1_11comp_targetILNS1_3genE2ELNS1_11target_archE906ELNS1_3gpuE6ELNS1_3repE0EEENS1_30default_config_static_selectorELNS0_4arch9wavefront6targetE1EEEvT1_.kd
    .uniform_work_group_size: 1
    .uses_dynamic_stack: false
    .vgpr_count:     0
    .vgpr_spill_count: 0
    .wavefront_size: 64
  - .agpr_count:     0
    .args:
      - .offset:         0
        .size:           96
        .value_kind:     by_value
    .group_segment_fixed_size: 0
    .kernarg_segment_align: 8
    .kernarg_segment_size: 96
    .language:       OpenCL C
    .language_version:
      - 2
      - 0
    .max_flat_workgroup_size: 256
    .name:           _ZN7rocprim17ROCPRIM_400000_NS6detail17trampoline_kernelINS0_14default_configENS1_20scan_config_selectorIjEEZZNS1_9scan_implILNS1_25lookback_scan_determinismE0ELb0ELb0ES3_N6thrust23THRUST_200600_302600_NS6detail15normal_iteratorINS9_10device_ptrIjEEEESE_jNS9_4plusIvEEjEEDaPvRmT3_T4_T5_mT6_P12ihipStream_tbENKUlT_T0_E_clISt17integral_constantIbLb0EEST_IbLb1EEEEDaSP_SQ_EUlSP_E_NS1_11comp_targetILNS1_3genE10ELNS1_11target_archE1201ELNS1_3gpuE5ELNS1_3repE0EEENS1_30default_config_static_selectorELNS0_4arch9wavefront6targetE1EEEvT1_
    .private_segment_fixed_size: 0
    .sgpr_count:     4
    .sgpr_spill_count: 0
    .symbol:         _ZN7rocprim17ROCPRIM_400000_NS6detail17trampoline_kernelINS0_14default_configENS1_20scan_config_selectorIjEEZZNS1_9scan_implILNS1_25lookback_scan_determinismE0ELb0ELb0ES3_N6thrust23THRUST_200600_302600_NS6detail15normal_iteratorINS9_10device_ptrIjEEEESE_jNS9_4plusIvEEjEEDaPvRmT3_T4_T5_mT6_P12ihipStream_tbENKUlT_T0_E_clISt17integral_constantIbLb0EEST_IbLb1EEEEDaSP_SQ_EUlSP_E_NS1_11comp_targetILNS1_3genE10ELNS1_11target_archE1201ELNS1_3gpuE5ELNS1_3repE0EEENS1_30default_config_static_selectorELNS0_4arch9wavefront6targetE1EEEvT1_.kd
    .uniform_work_group_size: 1
    .uses_dynamic_stack: false
    .vgpr_count:     0
    .vgpr_spill_count: 0
    .wavefront_size: 64
  - .agpr_count:     0
    .args:
      - .offset:         0
        .size:           96
        .value_kind:     by_value
    .group_segment_fixed_size: 0
    .kernarg_segment_align: 8
    .kernarg_segment_size: 96
    .language:       OpenCL C
    .language_version:
      - 2
      - 0
    .max_flat_workgroup_size: 256
    .name:           _ZN7rocprim17ROCPRIM_400000_NS6detail17trampoline_kernelINS0_14default_configENS1_20scan_config_selectorIjEEZZNS1_9scan_implILNS1_25lookback_scan_determinismE0ELb0ELb0ES3_N6thrust23THRUST_200600_302600_NS6detail15normal_iteratorINS9_10device_ptrIjEEEESE_jNS9_4plusIvEEjEEDaPvRmT3_T4_T5_mT6_P12ihipStream_tbENKUlT_T0_E_clISt17integral_constantIbLb0EEST_IbLb1EEEEDaSP_SQ_EUlSP_E_NS1_11comp_targetILNS1_3genE10ELNS1_11target_archE1200ELNS1_3gpuE4ELNS1_3repE0EEENS1_30default_config_static_selectorELNS0_4arch9wavefront6targetE1EEEvT1_
    .private_segment_fixed_size: 0
    .sgpr_count:     4
    .sgpr_spill_count: 0
    .symbol:         _ZN7rocprim17ROCPRIM_400000_NS6detail17trampoline_kernelINS0_14default_configENS1_20scan_config_selectorIjEEZZNS1_9scan_implILNS1_25lookback_scan_determinismE0ELb0ELb0ES3_N6thrust23THRUST_200600_302600_NS6detail15normal_iteratorINS9_10device_ptrIjEEEESE_jNS9_4plusIvEEjEEDaPvRmT3_T4_T5_mT6_P12ihipStream_tbENKUlT_T0_E_clISt17integral_constantIbLb0EEST_IbLb1EEEEDaSP_SQ_EUlSP_E_NS1_11comp_targetILNS1_3genE10ELNS1_11target_archE1200ELNS1_3gpuE4ELNS1_3repE0EEENS1_30default_config_static_selectorELNS0_4arch9wavefront6targetE1EEEvT1_.kd
    .uniform_work_group_size: 1
    .uses_dynamic_stack: false
    .vgpr_count:     0
    .vgpr_spill_count: 0
    .wavefront_size: 64
  - .agpr_count:     0
    .args:
      - .offset:         0
        .size:           96
        .value_kind:     by_value
    .group_segment_fixed_size: 0
    .kernarg_segment_align: 8
    .kernarg_segment_size: 96
    .language:       OpenCL C
    .language_version:
      - 2
      - 0
    .max_flat_workgroup_size: 256
    .name:           _ZN7rocprim17ROCPRIM_400000_NS6detail17trampoline_kernelINS0_14default_configENS1_20scan_config_selectorIjEEZZNS1_9scan_implILNS1_25lookback_scan_determinismE0ELb0ELb0ES3_N6thrust23THRUST_200600_302600_NS6detail15normal_iteratorINS9_10device_ptrIjEEEESE_jNS9_4plusIvEEjEEDaPvRmT3_T4_T5_mT6_P12ihipStream_tbENKUlT_T0_E_clISt17integral_constantIbLb0EEST_IbLb1EEEEDaSP_SQ_EUlSP_E_NS1_11comp_targetILNS1_3genE9ELNS1_11target_archE1100ELNS1_3gpuE3ELNS1_3repE0EEENS1_30default_config_static_selectorELNS0_4arch9wavefront6targetE1EEEvT1_
    .private_segment_fixed_size: 0
    .sgpr_count:     4
    .sgpr_spill_count: 0
    .symbol:         _ZN7rocprim17ROCPRIM_400000_NS6detail17trampoline_kernelINS0_14default_configENS1_20scan_config_selectorIjEEZZNS1_9scan_implILNS1_25lookback_scan_determinismE0ELb0ELb0ES3_N6thrust23THRUST_200600_302600_NS6detail15normal_iteratorINS9_10device_ptrIjEEEESE_jNS9_4plusIvEEjEEDaPvRmT3_T4_T5_mT6_P12ihipStream_tbENKUlT_T0_E_clISt17integral_constantIbLb0EEST_IbLb1EEEEDaSP_SQ_EUlSP_E_NS1_11comp_targetILNS1_3genE9ELNS1_11target_archE1100ELNS1_3gpuE3ELNS1_3repE0EEENS1_30default_config_static_selectorELNS0_4arch9wavefront6targetE1EEEvT1_.kd
    .uniform_work_group_size: 1
    .uses_dynamic_stack: false
    .vgpr_count:     0
    .vgpr_spill_count: 0
    .wavefront_size: 64
  - .agpr_count:     0
    .args:
      - .offset:         0
        .size:           96
        .value_kind:     by_value
    .group_segment_fixed_size: 0
    .kernarg_segment_align: 8
    .kernarg_segment_size: 96
    .language:       OpenCL C
    .language_version:
      - 2
      - 0
    .max_flat_workgroup_size: 64
    .name:           _ZN7rocprim17ROCPRIM_400000_NS6detail17trampoline_kernelINS0_14default_configENS1_20scan_config_selectorIjEEZZNS1_9scan_implILNS1_25lookback_scan_determinismE0ELb0ELb0ES3_N6thrust23THRUST_200600_302600_NS6detail15normal_iteratorINS9_10device_ptrIjEEEESE_jNS9_4plusIvEEjEEDaPvRmT3_T4_T5_mT6_P12ihipStream_tbENKUlT_T0_E_clISt17integral_constantIbLb0EEST_IbLb1EEEEDaSP_SQ_EUlSP_E_NS1_11comp_targetILNS1_3genE8ELNS1_11target_archE1030ELNS1_3gpuE2ELNS1_3repE0EEENS1_30default_config_static_selectorELNS0_4arch9wavefront6targetE1EEEvT1_
    .private_segment_fixed_size: 0
    .sgpr_count:     4
    .sgpr_spill_count: 0
    .symbol:         _ZN7rocprim17ROCPRIM_400000_NS6detail17trampoline_kernelINS0_14default_configENS1_20scan_config_selectorIjEEZZNS1_9scan_implILNS1_25lookback_scan_determinismE0ELb0ELb0ES3_N6thrust23THRUST_200600_302600_NS6detail15normal_iteratorINS9_10device_ptrIjEEEESE_jNS9_4plusIvEEjEEDaPvRmT3_T4_T5_mT6_P12ihipStream_tbENKUlT_T0_E_clISt17integral_constantIbLb0EEST_IbLb1EEEEDaSP_SQ_EUlSP_E_NS1_11comp_targetILNS1_3genE8ELNS1_11target_archE1030ELNS1_3gpuE2ELNS1_3repE0EEENS1_30default_config_static_selectorELNS0_4arch9wavefront6targetE1EEEvT1_.kd
    .uniform_work_group_size: 1
    .uses_dynamic_stack: false
    .vgpr_count:     0
    .vgpr_spill_count: 0
    .wavefront_size: 64
  - .agpr_count:     0
    .args:
      - .offset:         0
        .size:           32
        .value_kind:     by_value
    .group_segment_fixed_size: 0
    .kernarg_segment_align: 8
    .kernarg_segment_size: 32
    .language:       OpenCL C
    .language_version:
      - 2
      - 0
    .max_flat_workgroup_size: 256
    .name:           _ZN7rocprim17ROCPRIM_400000_NS6detail17trampoline_kernelINS0_14default_configENS1_20scan_config_selectorIjEEZZNS1_9scan_implILNS1_25lookback_scan_determinismE0ELb0ELb0ES3_N6thrust23THRUST_200600_302600_NS6detail15normal_iteratorINS9_10device_ptrIjEEEESE_jNS9_4plusIvEEjEEDaPvRmT3_T4_T5_mT6_P12ihipStream_tbENKUlT_T0_E_clISt17integral_constantIbLb0EEST_IbLb1EEEEDaSP_SQ_EUlSP_E0_NS1_11comp_targetILNS1_3genE0ELNS1_11target_archE4294967295ELNS1_3gpuE0ELNS1_3repE0EEENS1_30default_config_static_selectorELNS0_4arch9wavefront6targetE1EEEvT1_
    .private_segment_fixed_size: 0
    .sgpr_count:     4
    .sgpr_spill_count: 0
    .symbol:         _ZN7rocprim17ROCPRIM_400000_NS6detail17trampoline_kernelINS0_14default_configENS1_20scan_config_selectorIjEEZZNS1_9scan_implILNS1_25lookback_scan_determinismE0ELb0ELb0ES3_N6thrust23THRUST_200600_302600_NS6detail15normal_iteratorINS9_10device_ptrIjEEEESE_jNS9_4plusIvEEjEEDaPvRmT3_T4_T5_mT6_P12ihipStream_tbENKUlT_T0_E_clISt17integral_constantIbLb0EEST_IbLb1EEEEDaSP_SQ_EUlSP_E0_NS1_11comp_targetILNS1_3genE0ELNS1_11target_archE4294967295ELNS1_3gpuE0ELNS1_3repE0EEENS1_30default_config_static_selectorELNS0_4arch9wavefront6targetE1EEEvT1_.kd
    .uniform_work_group_size: 1
    .uses_dynamic_stack: false
    .vgpr_count:     0
    .vgpr_spill_count: 0
    .wavefront_size: 64
  - .agpr_count:     0
    .args:
      - .offset:         0
        .size:           32
        .value_kind:     by_value
    .group_segment_fixed_size: 0
    .kernarg_segment_align: 8
    .kernarg_segment_size: 32
    .language:       OpenCL C
    .language_version:
      - 2
      - 0
    .max_flat_workgroup_size: 256
    .name:           _ZN7rocprim17ROCPRIM_400000_NS6detail17trampoline_kernelINS0_14default_configENS1_20scan_config_selectorIjEEZZNS1_9scan_implILNS1_25lookback_scan_determinismE0ELb0ELb0ES3_N6thrust23THRUST_200600_302600_NS6detail15normal_iteratorINS9_10device_ptrIjEEEESE_jNS9_4plusIvEEjEEDaPvRmT3_T4_T5_mT6_P12ihipStream_tbENKUlT_T0_E_clISt17integral_constantIbLb0EEST_IbLb1EEEEDaSP_SQ_EUlSP_E0_NS1_11comp_targetILNS1_3genE5ELNS1_11target_archE942ELNS1_3gpuE9ELNS1_3repE0EEENS1_30default_config_static_selectorELNS0_4arch9wavefront6targetE1EEEvT1_
    .private_segment_fixed_size: 0
    .sgpr_count:     4
    .sgpr_spill_count: 0
    .symbol:         _ZN7rocprim17ROCPRIM_400000_NS6detail17trampoline_kernelINS0_14default_configENS1_20scan_config_selectorIjEEZZNS1_9scan_implILNS1_25lookback_scan_determinismE0ELb0ELb0ES3_N6thrust23THRUST_200600_302600_NS6detail15normal_iteratorINS9_10device_ptrIjEEEESE_jNS9_4plusIvEEjEEDaPvRmT3_T4_T5_mT6_P12ihipStream_tbENKUlT_T0_E_clISt17integral_constantIbLb0EEST_IbLb1EEEEDaSP_SQ_EUlSP_E0_NS1_11comp_targetILNS1_3genE5ELNS1_11target_archE942ELNS1_3gpuE9ELNS1_3repE0EEENS1_30default_config_static_selectorELNS0_4arch9wavefront6targetE1EEEvT1_.kd
    .uniform_work_group_size: 1
    .uses_dynamic_stack: false
    .vgpr_count:     0
    .vgpr_spill_count: 0
    .wavefront_size: 64
  - .agpr_count:     0
    .args:
      - .offset:         0
        .size:           32
        .value_kind:     by_value
    .group_segment_fixed_size: 5120
    .kernarg_segment_align: 8
    .kernarg_segment_size: 32
    .language:       OpenCL C
    .language_version:
      - 2
      - 0
    .max_flat_workgroup_size: 128
    .name:           _ZN7rocprim17ROCPRIM_400000_NS6detail17trampoline_kernelINS0_14default_configENS1_20scan_config_selectorIjEEZZNS1_9scan_implILNS1_25lookback_scan_determinismE0ELb0ELb0ES3_N6thrust23THRUST_200600_302600_NS6detail15normal_iteratorINS9_10device_ptrIjEEEESE_jNS9_4plusIvEEjEEDaPvRmT3_T4_T5_mT6_P12ihipStream_tbENKUlT_T0_E_clISt17integral_constantIbLb0EEST_IbLb1EEEEDaSP_SQ_EUlSP_E0_NS1_11comp_targetILNS1_3genE4ELNS1_11target_archE910ELNS1_3gpuE8ELNS1_3repE0EEENS1_30default_config_static_selectorELNS0_4arch9wavefront6targetE1EEEvT1_
    .private_segment_fixed_size: 0
    .sgpr_count:     28
    .sgpr_spill_count: 0
    .symbol:         _ZN7rocprim17ROCPRIM_400000_NS6detail17trampoline_kernelINS0_14default_configENS1_20scan_config_selectorIjEEZZNS1_9scan_implILNS1_25lookback_scan_determinismE0ELb0ELb0ES3_N6thrust23THRUST_200600_302600_NS6detail15normal_iteratorINS9_10device_ptrIjEEEESE_jNS9_4plusIvEEjEEDaPvRmT3_T4_T5_mT6_P12ihipStream_tbENKUlT_T0_E_clISt17integral_constantIbLb0EEST_IbLb1EEEEDaSP_SQ_EUlSP_E0_NS1_11comp_targetILNS1_3genE4ELNS1_11target_archE910ELNS1_3gpuE8ELNS1_3repE0EEENS1_30default_config_static_selectorELNS0_4arch9wavefront6targetE1EEEvT1_.kd
    .uniform_work_group_size: 1
    .uses_dynamic_stack: false
    .vgpr_count:     27
    .vgpr_spill_count: 0
    .wavefront_size: 64
  - .agpr_count:     0
    .args:
      - .offset:         0
        .size:           32
        .value_kind:     by_value
    .group_segment_fixed_size: 0
    .kernarg_segment_align: 8
    .kernarg_segment_size: 32
    .language:       OpenCL C
    .language_version:
      - 2
      - 0
    .max_flat_workgroup_size: 256
    .name:           _ZN7rocprim17ROCPRIM_400000_NS6detail17trampoline_kernelINS0_14default_configENS1_20scan_config_selectorIjEEZZNS1_9scan_implILNS1_25lookback_scan_determinismE0ELb0ELb0ES3_N6thrust23THRUST_200600_302600_NS6detail15normal_iteratorINS9_10device_ptrIjEEEESE_jNS9_4plusIvEEjEEDaPvRmT3_T4_T5_mT6_P12ihipStream_tbENKUlT_T0_E_clISt17integral_constantIbLb0EEST_IbLb1EEEEDaSP_SQ_EUlSP_E0_NS1_11comp_targetILNS1_3genE3ELNS1_11target_archE908ELNS1_3gpuE7ELNS1_3repE0EEENS1_30default_config_static_selectorELNS0_4arch9wavefront6targetE1EEEvT1_
    .private_segment_fixed_size: 0
    .sgpr_count:     4
    .sgpr_spill_count: 0
    .symbol:         _ZN7rocprim17ROCPRIM_400000_NS6detail17trampoline_kernelINS0_14default_configENS1_20scan_config_selectorIjEEZZNS1_9scan_implILNS1_25lookback_scan_determinismE0ELb0ELb0ES3_N6thrust23THRUST_200600_302600_NS6detail15normal_iteratorINS9_10device_ptrIjEEEESE_jNS9_4plusIvEEjEEDaPvRmT3_T4_T5_mT6_P12ihipStream_tbENKUlT_T0_E_clISt17integral_constantIbLb0EEST_IbLb1EEEEDaSP_SQ_EUlSP_E0_NS1_11comp_targetILNS1_3genE3ELNS1_11target_archE908ELNS1_3gpuE7ELNS1_3repE0EEENS1_30default_config_static_selectorELNS0_4arch9wavefront6targetE1EEEvT1_.kd
    .uniform_work_group_size: 1
    .uses_dynamic_stack: false
    .vgpr_count:     0
    .vgpr_spill_count: 0
    .wavefront_size: 64
  - .agpr_count:     0
    .args:
      - .offset:         0
        .size:           32
        .value_kind:     by_value
    .group_segment_fixed_size: 0
    .kernarg_segment_align: 8
    .kernarg_segment_size: 32
    .language:       OpenCL C
    .language_version:
      - 2
      - 0
    .max_flat_workgroup_size: 256
    .name:           _ZN7rocprim17ROCPRIM_400000_NS6detail17trampoline_kernelINS0_14default_configENS1_20scan_config_selectorIjEEZZNS1_9scan_implILNS1_25lookback_scan_determinismE0ELb0ELb0ES3_N6thrust23THRUST_200600_302600_NS6detail15normal_iteratorINS9_10device_ptrIjEEEESE_jNS9_4plusIvEEjEEDaPvRmT3_T4_T5_mT6_P12ihipStream_tbENKUlT_T0_E_clISt17integral_constantIbLb0EEST_IbLb1EEEEDaSP_SQ_EUlSP_E0_NS1_11comp_targetILNS1_3genE2ELNS1_11target_archE906ELNS1_3gpuE6ELNS1_3repE0EEENS1_30default_config_static_selectorELNS0_4arch9wavefront6targetE1EEEvT1_
    .private_segment_fixed_size: 0
    .sgpr_count:     4
    .sgpr_spill_count: 0
    .symbol:         _ZN7rocprim17ROCPRIM_400000_NS6detail17trampoline_kernelINS0_14default_configENS1_20scan_config_selectorIjEEZZNS1_9scan_implILNS1_25lookback_scan_determinismE0ELb0ELb0ES3_N6thrust23THRUST_200600_302600_NS6detail15normal_iteratorINS9_10device_ptrIjEEEESE_jNS9_4plusIvEEjEEDaPvRmT3_T4_T5_mT6_P12ihipStream_tbENKUlT_T0_E_clISt17integral_constantIbLb0EEST_IbLb1EEEEDaSP_SQ_EUlSP_E0_NS1_11comp_targetILNS1_3genE2ELNS1_11target_archE906ELNS1_3gpuE6ELNS1_3repE0EEENS1_30default_config_static_selectorELNS0_4arch9wavefront6targetE1EEEvT1_.kd
    .uniform_work_group_size: 1
    .uses_dynamic_stack: false
    .vgpr_count:     0
    .vgpr_spill_count: 0
    .wavefront_size: 64
  - .agpr_count:     0
    .args:
      - .offset:         0
        .size:           32
        .value_kind:     by_value
    .group_segment_fixed_size: 0
    .kernarg_segment_align: 8
    .kernarg_segment_size: 32
    .language:       OpenCL C
    .language_version:
      - 2
      - 0
    .max_flat_workgroup_size: 256
    .name:           _ZN7rocprim17ROCPRIM_400000_NS6detail17trampoline_kernelINS0_14default_configENS1_20scan_config_selectorIjEEZZNS1_9scan_implILNS1_25lookback_scan_determinismE0ELb0ELb0ES3_N6thrust23THRUST_200600_302600_NS6detail15normal_iteratorINS9_10device_ptrIjEEEESE_jNS9_4plusIvEEjEEDaPvRmT3_T4_T5_mT6_P12ihipStream_tbENKUlT_T0_E_clISt17integral_constantIbLb0EEST_IbLb1EEEEDaSP_SQ_EUlSP_E0_NS1_11comp_targetILNS1_3genE10ELNS1_11target_archE1201ELNS1_3gpuE5ELNS1_3repE0EEENS1_30default_config_static_selectorELNS0_4arch9wavefront6targetE1EEEvT1_
    .private_segment_fixed_size: 0
    .sgpr_count:     4
    .sgpr_spill_count: 0
    .symbol:         _ZN7rocprim17ROCPRIM_400000_NS6detail17trampoline_kernelINS0_14default_configENS1_20scan_config_selectorIjEEZZNS1_9scan_implILNS1_25lookback_scan_determinismE0ELb0ELb0ES3_N6thrust23THRUST_200600_302600_NS6detail15normal_iteratorINS9_10device_ptrIjEEEESE_jNS9_4plusIvEEjEEDaPvRmT3_T4_T5_mT6_P12ihipStream_tbENKUlT_T0_E_clISt17integral_constantIbLb0EEST_IbLb1EEEEDaSP_SQ_EUlSP_E0_NS1_11comp_targetILNS1_3genE10ELNS1_11target_archE1201ELNS1_3gpuE5ELNS1_3repE0EEENS1_30default_config_static_selectorELNS0_4arch9wavefront6targetE1EEEvT1_.kd
    .uniform_work_group_size: 1
    .uses_dynamic_stack: false
    .vgpr_count:     0
    .vgpr_spill_count: 0
    .wavefront_size: 64
  - .agpr_count:     0
    .args:
      - .offset:         0
        .size:           32
        .value_kind:     by_value
    .group_segment_fixed_size: 0
    .kernarg_segment_align: 8
    .kernarg_segment_size: 32
    .language:       OpenCL C
    .language_version:
      - 2
      - 0
    .max_flat_workgroup_size: 256
    .name:           _ZN7rocprim17ROCPRIM_400000_NS6detail17trampoline_kernelINS0_14default_configENS1_20scan_config_selectorIjEEZZNS1_9scan_implILNS1_25lookback_scan_determinismE0ELb0ELb0ES3_N6thrust23THRUST_200600_302600_NS6detail15normal_iteratorINS9_10device_ptrIjEEEESE_jNS9_4plusIvEEjEEDaPvRmT3_T4_T5_mT6_P12ihipStream_tbENKUlT_T0_E_clISt17integral_constantIbLb0EEST_IbLb1EEEEDaSP_SQ_EUlSP_E0_NS1_11comp_targetILNS1_3genE10ELNS1_11target_archE1200ELNS1_3gpuE4ELNS1_3repE0EEENS1_30default_config_static_selectorELNS0_4arch9wavefront6targetE1EEEvT1_
    .private_segment_fixed_size: 0
    .sgpr_count:     4
    .sgpr_spill_count: 0
    .symbol:         _ZN7rocprim17ROCPRIM_400000_NS6detail17trampoline_kernelINS0_14default_configENS1_20scan_config_selectorIjEEZZNS1_9scan_implILNS1_25lookback_scan_determinismE0ELb0ELb0ES3_N6thrust23THRUST_200600_302600_NS6detail15normal_iteratorINS9_10device_ptrIjEEEESE_jNS9_4plusIvEEjEEDaPvRmT3_T4_T5_mT6_P12ihipStream_tbENKUlT_T0_E_clISt17integral_constantIbLb0EEST_IbLb1EEEEDaSP_SQ_EUlSP_E0_NS1_11comp_targetILNS1_3genE10ELNS1_11target_archE1200ELNS1_3gpuE4ELNS1_3repE0EEENS1_30default_config_static_selectorELNS0_4arch9wavefront6targetE1EEEvT1_.kd
    .uniform_work_group_size: 1
    .uses_dynamic_stack: false
    .vgpr_count:     0
    .vgpr_spill_count: 0
    .wavefront_size: 64
  - .agpr_count:     0
    .args:
      - .offset:         0
        .size:           32
        .value_kind:     by_value
    .group_segment_fixed_size: 0
    .kernarg_segment_align: 8
    .kernarg_segment_size: 32
    .language:       OpenCL C
    .language_version:
      - 2
      - 0
    .max_flat_workgroup_size: 256
    .name:           _ZN7rocprim17ROCPRIM_400000_NS6detail17trampoline_kernelINS0_14default_configENS1_20scan_config_selectorIjEEZZNS1_9scan_implILNS1_25lookback_scan_determinismE0ELb0ELb0ES3_N6thrust23THRUST_200600_302600_NS6detail15normal_iteratorINS9_10device_ptrIjEEEESE_jNS9_4plusIvEEjEEDaPvRmT3_T4_T5_mT6_P12ihipStream_tbENKUlT_T0_E_clISt17integral_constantIbLb0EEST_IbLb1EEEEDaSP_SQ_EUlSP_E0_NS1_11comp_targetILNS1_3genE9ELNS1_11target_archE1100ELNS1_3gpuE3ELNS1_3repE0EEENS1_30default_config_static_selectorELNS0_4arch9wavefront6targetE1EEEvT1_
    .private_segment_fixed_size: 0
    .sgpr_count:     4
    .sgpr_spill_count: 0
    .symbol:         _ZN7rocprim17ROCPRIM_400000_NS6detail17trampoline_kernelINS0_14default_configENS1_20scan_config_selectorIjEEZZNS1_9scan_implILNS1_25lookback_scan_determinismE0ELb0ELb0ES3_N6thrust23THRUST_200600_302600_NS6detail15normal_iteratorINS9_10device_ptrIjEEEESE_jNS9_4plusIvEEjEEDaPvRmT3_T4_T5_mT6_P12ihipStream_tbENKUlT_T0_E_clISt17integral_constantIbLb0EEST_IbLb1EEEEDaSP_SQ_EUlSP_E0_NS1_11comp_targetILNS1_3genE9ELNS1_11target_archE1100ELNS1_3gpuE3ELNS1_3repE0EEENS1_30default_config_static_selectorELNS0_4arch9wavefront6targetE1EEEvT1_.kd
    .uniform_work_group_size: 1
    .uses_dynamic_stack: false
    .vgpr_count:     0
    .vgpr_spill_count: 0
    .wavefront_size: 64
  - .agpr_count:     0
    .args:
      - .offset:         0
        .size:           32
        .value_kind:     by_value
    .group_segment_fixed_size: 0
    .kernarg_segment_align: 8
    .kernarg_segment_size: 32
    .language:       OpenCL C
    .language_version:
      - 2
      - 0
    .max_flat_workgroup_size: 64
    .name:           _ZN7rocprim17ROCPRIM_400000_NS6detail17trampoline_kernelINS0_14default_configENS1_20scan_config_selectorIjEEZZNS1_9scan_implILNS1_25lookback_scan_determinismE0ELb0ELb0ES3_N6thrust23THRUST_200600_302600_NS6detail15normal_iteratorINS9_10device_ptrIjEEEESE_jNS9_4plusIvEEjEEDaPvRmT3_T4_T5_mT6_P12ihipStream_tbENKUlT_T0_E_clISt17integral_constantIbLb0EEST_IbLb1EEEEDaSP_SQ_EUlSP_E0_NS1_11comp_targetILNS1_3genE8ELNS1_11target_archE1030ELNS1_3gpuE2ELNS1_3repE0EEENS1_30default_config_static_selectorELNS0_4arch9wavefront6targetE1EEEvT1_
    .private_segment_fixed_size: 0
    .sgpr_count:     4
    .sgpr_spill_count: 0
    .symbol:         _ZN7rocprim17ROCPRIM_400000_NS6detail17trampoline_kernelINS0_14default_configENS1_20scan_config_selectorIjEEZZNS1_9scan_implILNS1_25lookback_scan_determinismE0ELb0ELb0ES3_N6thrust23THRUST_200600_302600_NS6detail15normal_iteratorINS9_10device_ptrIjEEEESE_jNS9_4plusIvEEjEEDaPvRmT3_T4_T5_mT6_P12ihipStream_tbENKUlT_T0_E_clISt17integral_constantIbLb0EEST_IbLb1EEEEDaSP_SQ_EUlSP_E0_NS1_11comp_targetILNS1_3genE8ELNS1_11target_archE1030ELNS1_3gpuE2ELNS1_3repE0EEENS1_30default_config_static_selectorELNS0_4arch9wavefront6targetE1EEEvT1_.kd
    .uniform_work_group_size: 1
    .uses_dynamic_stack: false
    .vgpr_count:     0
    .vgpr_spill_count: 0
    .wavefront_size: 64
  - .agpr_count:     0
    .args:
      - .offset:         0
        .size:           96
        .value_kind:     by_value
    .group_segment_fixed_size: 0
    .kernarg_segment_align: 8
    .kernarg_segment_size: 96
    .language:       OpenCL C
    .language_version:
      - 2
      - 0
    .max_flat_workgroup_size: 256
    .name:           _ZN7rocprim17ROCPRIM_400000_NS6detail17trampoline_kernelINS0_14default_configENS1_20scan_config_selectorIjEEZZNS1_9scan_implILNS1_25lookback_scan_determinismE0ELb1ELb1ES3_N6thrust23THRUST_200600_302600_NS6detail15normal_iteratorINS9_10device_ptrIjEEEESE_jNS9_4plusIvEEjEEDaPvRmT3_T4_T5_mT6_P12ihipStream_tbENKUlT_T0_E_clISt17integral_constantIbLb0EESU_EEDaSP_SQ_EUlSP_E_NS1_11comp_targetILNS1_3genE0ELNS1_11target_archE4294967295ELNS1_3gpuE0ELNS1_3repE0EEENS1_30default_config_static_selectorELNS0_4arch9wavefront6targetE1EEEvT1_
    .private_segment_fixed_size: 0
    .sgpr_count:     4
    .sgpr_spill_count: 0
    .symbol:         _ZN7rocprim17ROCPRIM_400000_NS6detail17trampoline_kernelINS0_14default_configENS1_20scan_config_selectorIjEEZZNS1_9scan_implILNS1_25lookback_scan_determinismE0ELb1ELb1ES3_N6thrust23THRUST_200600_302600_NS6detail15normal_iteratorINS9_10device_ptrIjEEEESE_jNS9_4plusIvEEjEEDaPvRmT3_T4_T5_mT6_P12ihipStream_tbENKUlT_T0_E_clISt17integral_constantIbLb0EESU_EEDaSP_SQ_EUlSP_E_NS1_11comp_targetILNS1_3genE0ELNS1_11target_archE4294967295ELNS1_3gpuE0ELNS1_3repE0EEENS1_30default_config_static_selectorELNS0_4arch9wavefront6targetE1EEEvT1_.kd
    .uniform_work_group_size: 1
    .uses_dynamic_stack: false
    .vgpr_count:     0
    .vgpr_spill_count: 0
    .wavefront_size: 64
  - .agpr_count:     0
    .args:
      - .offset:         0
        .size:           96
        .value_kind:     by_value
    .group_segment_fixed_size: 0
    .kernarg_segment_align: 8
    .kernarg_segment_size: 96
    .language:       OpenCL C
    .language_version:
      - 2
      - 0
    .max_flat_workgroup_size: 256
    .name:           _ZN7rocprim17ROCPRIM_400000_NS6detail17trampoline_kernelINS0_14default_configENS1_20scan_config_selectorIjEEZZNS1_9scan_implILNS1_25lookback_scan_determinismE0ELb1ELb1ES3_N6thrust23THRUST_200600_302600_NS6detail15normal_iteratorINS9_10device_ptrIjEEEESE_jNS9_4plusIvEEjEEDaPvRmT3_T4_T5_mT6_P12ihipStream_tbENKUlT_T0_E_clISt17integral_constantIbLb0EESU_EEDaSP_SQ_EUlSP_E_NS1_11comp_targetILNS1_3genE5ELNS1_11target_archE942ELNS1_3gpuE9ELNS1_3repE0EEENS1_30default_config_static_selectorELNS0_4arch9wavefront6targetE1EEEvT1_
    .private_segment_fixed_size: 0
    .sgpr_count:     4
    .sgpr_spill_count: 0
    .symbol:         _ZN7rocprim17ROCPRIM_400000_NS6detail17trampoline_kernelINS0_14default_configENS1_20scan_config_selectorIjEEZZNS1_9scan_implILNS1_25lookback_scan_determinismE0ELb1ELb1ES3_N6thrust23THRUST_200600_302600_NS6detail15normal_iteratorINS9_10device_ptrIjEEEESE_jNS9_4plusIvEEjEEDaPvRmT3_T4_T5_mT6_P12ihipStream_tbENKUlT_T0_E_clISt17integral_constantIbLb0EESU_EEDaSP_SQ_EUlSP_E_NS1_11comp_targetILNS1_3genE5ELNS1_11target_archE942ELNS1_3gpuE9ELNS1_3repE0EEENS1_30default_config_static_selectorELNS0_4arch9wavefront6targetE1EEEvT1_.kd
    .uniform_work_group_size: 1
    .uses_dynamic_stack: false
    .vgpr_count:     0
    .vgpr_spill_count: 0
    .wavefront_size: 64
  - .agpr_count:     0
    .args:
      - .offset:         0
        .size:           96
        .value_kind:     by_value
    .group_segment_fixed_size: 5120
    .kernarg_segment_align: 8
    .kernarg_segment_size: 96
    .language:       OpenCL C
    .language_version:
      - 2
      - 0
    .max_flat_workgroup_size: 128
    .name:           _ZN7rocprim17ROCPRIM_400000_NS6detail17trampoline_kernelINS0_14default_configENS1_20scan_config_selectorIjEEZZNS1_9scan_implILNS1_25lookback_scan_determinismE0ELb1ELb1ES3_N6thrust23THRUST_200600_302600_NS6detail15normal_iteratorINS9_10device_ptrIjEEEESE_jNS9_4plusIvEEjEEDaPvRmT3_T4_T5_mT6_P12ihipStream_tbENKUlT_T0_E_clISt17integral_constantIbLb0EESU_EEDaSP_SQ_EUlSP_E_NS1_11comp_targetILNS1_3genE4ELNS1_11target_archE910ELNS1_3gpuE8ELNS1_3repE0EEENS1_30default_config_static_selectorELNS0_4arch9wavefront6targetE1EEEvT1_
    .private_segment_fixed_size: 0
    .sgpr_count:     33
    .sgpr_spill_count: 0
    .symbol:         _ZN7rocprim17ROCPRIM_400000_NS6detail17trampoline_kernelINS0_14default_configENS1_20scan_config_selectorIjEEZZNS1_9scan_implILNS1_25lookback_scan_determinismE0ELb1ELb1ES3_N6thrust23THRUST_200600_302600_NS6detail15normal_iteratorINS9_10device_ptrIjEEEESE_jNS9_4plusIvEEjEEDaPvRmT3_T4_T5_mT6_P12ihipStream_tbENKUlT_T0_E_clISt17integral_constantIbLb0EESU_EEDaSP_SQ_EUlSP_E_NS1_11comp_targetILNS1_3genE4ELNS1_11target_archE910ELNS1_3gpuE8ELNS1_3repE0EEENS1_30default_config_static_selectorELNS0_4arch9wavefront6targetE1EEEvT1_.kd
    .uniform_work_group_size: 1
    .uses_dynamic_stack: false
    .vgpr_count:     41
    .vgpr_spill_count: 0
    .wavefront_size: 64
  - .agpr_count:     0
    .args:
      - .offset:         0
        .size:           96
        .value_kind:     by_value
    .group_segment_fixed_size: 0
    .kernarg_segment_align: 8
    .kernarg_segment_size: 96
    .language:       OpenCL C
    .language_version:
      - 2
      - 0
    .max_flat_workgroup_size: 256
    .name:           _ZN7rocprim17ROCPRIM_400000_NS6detail17trampoline_kernelINS0_14default_configENS1_20scan_config_selectorIjEEZZNS1_9scan_implILNS1_25lookback_scan_determinismE0ELb1ELb1ES3_N6thrust23THRUST_200600_302600_NS6detail15normal_iteratorINS9_10device_ptrIjEEEESE_jNS9_4plusIvEEjEEDaPvRmT3_T4_T5_mT6_P12ihipStream_tbENKUlT_T0_E_clISt17integral_constantIbLb0EESU_EEDaSP_SQ_EUlSP_E_NS1_11comp_targetILNS1_3genE3ELNS1_11target_archE908ELNS1_3gpuE7ELNS1_3repE0EEENS1_30default_config_static_selectorELNS0_4arch9wavefront6targetE1EEEvT1_
    .private_segment_fixed_size: 0
    .sgpr_count:     4
    .sgpr_spill_count: 0
    .symbol:         _ZN7rocprim17ROCPRIM_400000_NS6detail17trampoline_kernelINS0_14default_configENS1_20scan_config_selectorIjEEZZNS1_9scan_implILNS1_25lookback_scan_determinismE0ELb1ELb1ES3_N6thrust23THRUST_200600_302600_NS6detail15normal_iteratorINS9_10device_ptrIjEEEESE_jNS9_4plusIvEEjEEDaPvRmT3_T4_T5_mT6_P12ihipStream_tbENKUlT_T0_E_clISt17integral_constantIbLb0EESU_EEDaSP_SQ_EUlSP_E_NS1_11comp_targetILNS1_3genE3ELNS1_11target_archE908ELNS1_3gpuE7ELNS1_3repE0EEENS1_30default_config_static_selectorELNS0_4arch9wavefront6targetE1EEEvT1_.kd
    .uniform_work_group_size: 1
    .uses_dynamic_stack: false
    .vgpr_count:     0
    .vgpr_spill_count: 0
    .wavefront_size: 64
  - .agpr_count:     0
    .args:
      - .offset:         0
        .size:           96
        .value_kind:     by_value
    .group_segment_fixed_size: 0
    .kernarg_segment_align: 8
    .kernarg_segment_size: 96
    .language:       OpenCL C
    .language_version:
      - 2
      - 0
    .max_flat_workgroup_size: 256
    .name:           _ZN7rocprim17ROCPRIM_400000_NS6detail17trampoline_kernelINS0_14default_configENS1_20scan_config_selectorIjEEZZNS1_9scan_implILNS1_25lookback_scan_determinismE0ELb1ELb1ES3_N6thrust23THRUST_200600_302600_NS6detail15normal_iteratorINS9_10device_ptrIjEEEESE_jNS9_4plusIvEEjEEDaPvRmT3_T4_T5_mT6_P12ihipStream_tbENKUlT_T0_E_clISt17integral_constantIbLb0EESU_EEDaSP_SQ_EUlSP_E_NS1_11comp_targetILNS1_3genE2ELNS1_11target_archE906ELNS1_3gpuE6ELNS1_3repE0EEENS1_30default_config_static_selectorELNS0_4arch9wavefront6targetE1EEEvT1_
    .private_segment_fixed_size: 0
    .sgpr_count:     4
    .sgpr_spill_count: 0
    .symbol:         _ZN7rocprim17ROCPRIM_400000_NS6detail17trampoline_kernelINS0_14default_configENS1_20scan_config_selectorIjEEZZNS1_9scan_implILNS1_25lookback_scan_determinismE0ELb1ELb1ES3_N6thrust23THRUST_200600_302600_NS6detail15normal_iteratorINS9_10device_ptrIjEEEESE_jNS9_4plusIvEEjEEDaPvRmT3_T4_T5_mT6_P12ihipStream_tbENKUlT_T0_E_clISt17integral_constantIbLb0EESU_EEDaSP_SQ_EUlSP_E_NS1_11comp_targetILNS1_3genE2ELNS1_11target_archE906ELNS1_3gpuE6ELNS1_3repE0EEENS1_30default_config_static_selectorELNS0_4arch9wavefront6targetE1EEEvT1_.kd
    .uniform_work_group_size: 1
    .uses_dynamic_stack: false
    .vgpr_count:     0
    .vgpr_spill_count: 0
    .wavefront_size: 64
  - .agpr_count:     0
    .args:
      - .offset:         0
        .size:           96
        .value_kind:     by_value
    .group_segment_fixed_size: 0
    .kernarg_segment_align: 8
    .kernarg_segment_size: 96
    .language:       OpenCL C
    .language_version:
      - 2
      - 0
    .max_flat_workgroup_size: 256
    .name:           _ZN7rocprim17ROCPRIM_400000_NS6detail17trampoline_kernelINS0_14default_configENS1_20scan_config_selectorIjEEZZNS1_9scan_implILNS1_25lookback_scan_determinismE0ELb1ELb1ES3_N6thrust23THRUST_200600_302600_NS6detail15normal_iteratorINS9_10device_ptrIjEEEESE_jNS9_4plusIvEEjEEDaPvRmT3_T4_T5_mT6_P12ihipStream_tbENKUlT_T0_E_clISt17integral_constantIbLb0EESU_EEDaSP_SQ_EUlSP_E_NS1_11comp_targetILNS1_3genE10ELNS1_11target_archE1201ELNS1_3gpuE5ELNS1_3repE0EEENS1_30default_config_static_selectorELNS0_4arch9wavefront6targetE1EEEvT1_
    .private_segment_fixed_size: 0
    .sgpr_count:     4
    .sgpr_spill_count: 0
    .symbol:         _ZN7rocprim17ROCPRIM_400000_NS6detail17trampoline_kernelINS0_14default_configENS1_20scan_config_selectorIjEEZZNS1_9scan_implILNS1_25lookback_scan_determinismE0ELb1ELb1ES3_N6thrust23THRUST_200600_302600_NS6detail15normal_iteratorINS9_10device_ptrIjEEEESE_jNS9_4plusIvEEjEEDaPvRmT3_T4_T5_mT6_P12ihipStream_tbENKUlT_T0_E_clISt17integral_constantIbLb0EESU_EEDaSP_SQ_EUlSP_E_NS1_11comp_targetILNS1_3genE10ELNS1_11target_archE1201ELNS1_3gpuE5ELNS1_3repE0EEENS1_30default_config_static_selectorELNS0_4arch9wavefront6targetE1EEEvT1_.kd
    .uniform_work_group_size: 1
    .uses_dynamic_stack: false
    .vgpr_count:     0
    .vgpr_spill_count: 0
    .wavefront_size: 64
  - .agpr_count:     0
    .args:
      - .offset:         0
        .size:           96
        .value_kind:     by_value
    .group_segment_fixed_size: 0
    .kernarg_segment_align: 8
    .kernarg_segment_size: 96
    .language:       OpenCL C
    .language_version:
      - 2
      - 0
    .max_flat_workgroup_size: 256
    .name:           _ZN7rocprim17ROCPRIM_400000_NS6detail17trampoline_kernelINS0_14default_configENS1_20scan_config_selectorIjEEZZNS1_9scan_implILNS1_25lookback_scan_determinismE0ELb1ELb1ES3_N6thrust23THRUST_200600_302600_NS6detail15normal_iteratorINS9_10device_ptrIjEEEESE_jNS9_4plusIvEEjEEDaPvRmT3_T4_T5_mT6_P12ihipStream_tbENKUlT_T0_E_clISt17integral_constantIbLb0EESU_EEDaSP_SQ_EUlSP_E_NS1_11comp_targetILNS1_3genE10ELNS1_11target_archE1200ELNS1_3gpuE4ELNS1_3repE0EEENS1_30default_config_static_selectorELNS0_4arch9wavefront6targetE1EEEvT1_
    .private_segment_fixed_size: 0
    .sgpr_count:     4
    .sgpr_spill_count: 0
    .symbol:         _ZN7rocprim17ROCPRIM_400000_NS6detail17trampoline_kernelINS0_14default_configENS1_20scan_config_selectorIjEEZZNS1_9scan_implILNS1_25lookback_scan_determinismE0ELb1ELb1ES3_N6thrust23THRUST_200600_302600_NS6detail15normal_iteratorINS9_10device_ptrIjEEEESE_jNS9_4plusIvEEjEEDaPvRmT3_T4_T5_mT6_P12ihipStream_tbENKUlT_T0_E_clISt17integral_constantIbLb0EESU_EEDaSP_SQ_EUlSP_E_NS1_11comp_targetILNS1_3genE10ELNS1_11target_archE1200ELNS1_3gpuE4ELNS1_3repE0EEENS1_30default_config_static_selectorELNS0_4arch9wavefront6targetE1EEEvT1_.kd
    .uniform_work_group_size: 1
    .uses_dynamic_stack: false
    .vgpr_count:     0
    .vgpr_spill_count: 0
    .wavefront_size: 64
  - .agpr_count:     0
    .args:
      - .offset:         0
        .size:           96
        .value_kind:     by_value
    .group_segment_fixed_size: 0
    .kernarg_segment_align: 8
    .kernarg_segment_size: 96
    .language:       OpenCL C
    .language_version:
      - 2
      - 0
    .max_flat_workgroup_size: 256
    .name:           _ZN7rocprim17ROCPRIM_400000_NS6detail17trampoline_kernelINS0_14default_configENS1_20scan_config_selectorIjEEZZNS1_9scan_implILNS1_25lookback_scan_determinismE0ELb1ELb1ES3_N6thrust23THRUST_200600_302600_NS6detail15normal_iteratorINS9_10device_ptrIjEEEESE_jNS9_4plusIvEEjEEDaPvRmT3_T4_T5_mT6_P12ihipStream_tbENKUlT_T0_E_clISt17integral_constantIbLb0EESU_EEDaSP_SQ_EUlSP_E_NS1_11comp_targetILNS1_3genE9ELNS1_11target_archE1100ELNS1_3gpuE3ELNS1_3repE0EEENS1_30default_config_static_selectorELNS0_4arch9wavefront6targetE1EEEvT1_
    .private_segment_fixed_size: 0
    .sgpr_count:     4
    .sgpr_spill_count: 0
    .symbol:         _ZN7rocprim17ROCPRIM_400000_NS6detail17trampoline_kernelINS0_14default_configENS1_20scan_config_selectorIjEEZZNS1_9scan_implILNS1_25lookback_scan_determinismE0ELb1ELb1ES3_N6thrust23THRUST_200600_302600_NS6detail15normal_iteratorINS9_10device_ptrIjEEEESE_jNS9_4plusIvEEjEEDaPvRmT3_T4_T5_mT6_P12ihipStream_tbENKUlT_T0_E_clISt17integral_constantIbLb0EESU_EEDaSP_SQ_EUlSP_E_NS1_11comp_targetILNS1_3genE9ELNS1_11target_archE1100ELNS1_3gpuE3ELNS1_3repE0EEENS1_30default_config_static_selectorELNS0_4arch9wavefront6targetE1EEEvT1_.kd
    .uniform_work_group_size: 1
    .uses_dynamic_stack: false
    .vgpr_count:     0
    .vgpr_spill_count: 0
    .wavefront_size: 64
  - .agpr_count:     0
    .args:
      - .offset:         0
        .size:           96
        .value_kind:     by_value
    .group_segment_fixed_size: 0
    .kernarg_segment_align: 8
    .kernarg_segment_size: 96
    .language:       OpenCL C
    .language_version:
      - 2
      - 0
    .max_flat_workgroup_size: 64
    .name:           _ZN7rocprim17ROCPRIM_400000_NS6detail17trampoline_kernelINS0_14default_configENS1_20scan_config_selectorIjEEZZNS1_9scan_implILNS1_25lookback_scan_determinismE0ELb1ELb1ES3_N6thrust23THRUST_200600_302600_NS6detail15normal_iteratorINS9_10device_ptrIjEEEESE_jNS9_4plusIvEEjEEDaPvRmT3_T4_T5_mT6_P12ihipStream_tbENKUlT_T0_E_clISt17integral_constantIbLb0EESU_EEDaSP_SQ_EUlSP_E_NS1_11comp_targetILNS1_3genE8ELNS1_11target_archE1030ELNS1_3gpuE2ELNS1_3repE0EEENS1_30default_config_static_selectorELNS0_4arch9wavefront6targetE1EEEvT1_
    .private_segment_fixed_size: 0
    .sgpr_count:     4
    .sgpr_spill_count: 0
    .symbol:         _ZN7rocprim17ROCPRIM_400000_NS6detail17trampoline_kernelINS0_14default_configENS1_20scan_config_selectorIjEEZZNS1_9scan_implILNS1_25lookback_scan_determinismE0ELb1ELb1ES3_N6thrust23THRUST_200600_302600_NS6detail15normal_iteratorINS9_10device_ptrIjEEEESE_jNS9_4plusIvEEjEEDaPvRmT3_T4_T5_mT6_P12ihipStream_tbENKUlT_T0_E_clISt17integral_constantIbLb0EESU_EEDaSP_SQ_EUlSP_E_NS1_11comp_targetILNS1_3genE8ELNS1_11target_archE1030ELNS1_3gpuE2ELNS1_3repE0EEENS1_30default_config_static_selectorELNS0_4arch9wavefront6targetE1EEEvT1_.kd
    .uniform_work_group_size: 1
    .uses_dynamic_stack: false
    .vgpr_count:     0
    .vgpr_spill_count: 0
    .wavefront_size: 64
  - .agpr_count:     0
    .args:
      - .offset:         0
        .size:           32
        .value_kind:     by_value
    .group_segment_fixed_size: 0
    .kernarg_segment_align: 8
    .kernarg_segment_size: 32
    .language:       OpenCL C
    .language_version:
      - 2
      - 0
    .max_flat_workgroup_size: 256
    .name:           _ZN7rocprim17ROCPRIM_400000_NS6detail17trampoline_kernelINS0_14default_configENS1_20scan_config_selectorIjEEZZNS1_9scan_implILNS1_25lookback_scan_determinismE0ELb1ELb1ES3_N6thrust23THRUST_200600_302600_NS6detail15normal_iteratorINS9_10device_ptrIjEEEESE_jNS9_4plusIvEEjEEDaPvRmT3_T4_T5_mT6_P12ihipStream_tbENKUlT_T0_E_clISt17integral_constantIbLb0EESU_EEDaSP_SQ_EUlSP_E0_NS1_11comp_targetILNS1_3genE0ELNS1_11target_archE4294967295ELNS1_3gpuE0ELNS1_3repE0EEENS1_30default_config_static_selectorELNS0_4arch9wavefront6targetE1EEEvT1_
    .private_segment_fixed_size: 0
    .sgpr_count:     4
    .sgpr_spill_count: 0
    .symbol:         _ZN7rocprim17ROCPRIM_400000_NS6detail17trampoline_kernelINS0_14default_configENS1_20scan_config_selectorIjEEZZNS1_9scan_implILNS1_25lookback_scan_determinismE0ELb1ELb1ES3_N6thrust23THRUST_200600_302600_NS6detail15normal_iteratorINS9_10device_ptrIjEEEESE_jNS9_4plusIvEEjEEDaPvRmT3_T4_T5_mT6_P12ihipStream_tbENKUlT_T0_E_clISt17integral_constantIbLb0EESU_EEDaSP_SQ_EUlSP_E0_NS1_11comp_targetILNS1_3genE0ELNS1_11target_archE4294967295ELNS1_3gpuE0ELNS1_3repE0EEENS1_30default_config_static_selectorELNS0_4arch9wavefront6targetE1EEEvT1_.kd
    .uniform_work_group_size: 1
    .uses_dynamic_stack: false
    .vgpr_count:     0
    .vgpr_spill_count: 0
    .wavefront_size: 64
  - .agpr_count:     0
    .args:
      - .offset:         0
        .size:           32
        .value_kind:     by_value
    .group_segment_fixed_size: 0
    .kernarg_segment_align: 8
    .kernarg_segment_size: 32
    .language:       OpenCL C
    .language_version:
      - 2
      - 0
    .max_flat_workgroup_size: 256
    .name:           _ZN7rocprim17ROCPRIM_400000_NS6detail17trampoline_kernelINS0_14default_configENS1_20scan_config_selectorIjEEZZNS1_9scan_implILNS1_25lookback_scan_determinismE0ELb1ELb1ES3_N6thrust23THRUST_200600_302600_NS6detail15normal_iteratorINS9_10device_ptrIjEEEESE_jNS9_4plusIvEEjEEDaPvRmT3_T4_T5_mT6_P12ihipStream_tbENKUlT_T0_E_clISt17integral_constantIbLb0EESU_EEDaSP_SQ_EUlSP_E0_NS1_11comp_targetILNS1_3genE5ELNS1_11target_archE942ELNS1_3gpuE9ELNS1_3repE0EEENS1_30default_config_static_selectorELNS0_4arch9wavefront6targetE1EEEvT1_
    .private_segment_fixed_size: 0
    .sgpr_count:     4
    .sgpr_spill_count: 0
    .symbol:         _ZN7rocprim17ROCPRIM_400000_NS6detail17trampoline_kernelINS0_14default_configENS1_20scan_config_selectorIjEEZZNS1_9scan_implILNS1_25lookback_scan_determinismE0ELb1ELb1ES3_N6thrust23THRUST_200600_302600_NS6detail15normal_iteratorINS9_10device_ptrIjEEEESE_jNS9_4plusIvEEjEEDaPvRmT3_T4_T5_mT6_P12ihipStream_tbENKUlT_T0_E_clISt17integral_constantIbLb0EESU_EEDaSP_SQ_EUlSP_E0_NS1_11comp_targetILNS1_3genE5ELNS1_11target_archE942ELNS1_3gpuE9ELNS1_3repE0EEENS1_30default_config_static_selectorELNS0_4arch9wavefront6targetE1EEEvT1_.kd
    .uniform_work_group_size: 1
    .uses_dynamic_stack: false
    .vgpr_count:     0
    .vgpr_spill_count: 0
    .wavefront_size: 64
  - .agpr_count:     0
    .args:
      - .offset:         0
        .size:           32
        .value_kind:     by_value
    .group_segment_fixed_size: 5120
    .kernarg_segment_align: 8
    .kernarg_segment_size: 32
    .language:       OpenCL C
    .language_version:
      - 2
      - 0
    .max_flat_workgroup_size: 128
    .name:           _ZN7rocprim17ROCPRIM_400000_NS6detail17trampoline_kernelINS0_14default_configENS1_20scan_config_selectorIjEEZZNS1_9scan_implILNS1_25lookback_scan_determinismE0ELb1ELb1ES3_N6thrust23THRUST_200600_302600_NS6detail15normal_iteratorINS9_10device_ptrIjEEEESE_jNS9_4plusIvEEjEEDaPvRmT3_T4_T5_mT6_P12ihipStream_tbENKUlT_T0_E_clISt17integral_constantIbLb0EESU_EEDaSP_SQ_EUlSP_E0_NS1_11comp_targetILNS1_3genE4ELNS1_11target_archE910ELNS1_3gpuE8ELNS1_3repE0EEENS1_30default_config_static_selectorELNS0_4arch9wavefront6targetE1EEEvT1_
    .private_segment_fixed_size: 0
    .sgpr_count:     29
    .sgpr_spill_count: 0
    .symbol:         _ZN7rocprim17ROCPRIM_400000_NS6detail17trampoline_kernelINS0_14default_configENS1_20scan_config_selectorIjEEZZNS1_9scan_implILNS1_25lookback_scan_determinismE0ELb1ELb1ES3_N6thrust23THRUST_200600_302600_NS6detail15normal_iteratorINS9_10device_ptrIjEEEESE_jNS9_4plusIvEEjEEDaPvRmT3_T4_T5_mT6_P12ihipStream_tbENKUlT_T0_E_clISt17integral_constantIbLb0EESU_EEDaSP_SQ_EUlSP_E0_NS1_11comp_targetILNS1_3genE4ELNS1_11target_archE910ELNS1_3gpuE8ELNS1_3repE0EEENS1_30default_config_static_selectorELNS0_4arch9wavefront6targetE1EEEvT1_.kd
    .uniform_work_group_size: 1
    .uses_dynamic_stack: false
    .vgpr_count:     18
    .vgpr_spill_count: 0
    .wavefront_size: 64
  - .agpr_count:     0
    .args:
      - .offset:         0
        .size:           32
        .value_kind:     by_value
    .group_segment_fixed_size: 0
    .kernarg_segment_align: 8
    .kernarg_segment_size: 32
    .language:       OpenCL C
    .language_version:
      - 2
      - 0
    .max_flat_workgroup_size: 256
    .name:           _ZN7rocprim17ROCPRIM_400000_NS6detail17trampoline_kernelINS0_14default_configENS1_20scan_config_selectorIjEEZZNS1_9scan_implILNS1_25lookback_scan_determinismE0ELb1ELb1ES3_N6thrust23THRUST_200600_302600_NS6detail15normal_iteratorINS9_10device_ptrIjEEEESE_jNS9_4plusIvEEjEEDaPvRmT3_T4_T5_mT6_P12ihipStream_tbENKUlT_T0_E_clISt17integral_constantIbLb0EESU_EEDaSP_SQ_EUlSP_E0_NS1_11comp_targetILNS1_3genE3ELNS1_11target_archE908ELNS1_3gpuE7ELNS1_3repE0EEENS1_30default_config_static_selectorELNS0_4arch9wavefront6targetE1EEEvT1_
    .private_segment_fixed_size: 0
    .sgpr_count:     4
    .sgpr_spill_count: 0
    .symbol:         _ZN7rocprim17ROCPRIM_400000_NS6detail17trampoline_kernelINS0_14default_configENS1_20scan_config_selectorIjEEZZNS1_9scan_implILNS1_25lookback_scan_determinismE0ELb1ELb1ES3_N6thrust23THRUST_200600_302600_NS6detail15normal_iteratorINS9_10device_ptrIjEEEESE_jNS9_4plusIvEEjEEDaPvRmT3_T4_T5_mT6_P12ihipStream_tbENKUlT_T0_E_clISt17integral_constantIbLb0EESU_EEDaSP_SQ_EUlSP_E0_NS1_11comp_targetILNS1_3genE3ELNS1_11target_archE908ELNS1_3gpuE7ELNS1_3repE0EEENS1_30default_config_static_selectorELNS0_4arch9wavefront6targetE1EEEvT1_.kd
    .uniform_work_group_size: 1
    .uses_dynamic_stack: false
    .vgpr_count:     0
    .vgpr_spill_count: 0
    .wavefront_size: 64
  - .agpr_count:     0
    .args:
      - .offset:         0
        .size:           32
        .value_kind:     by_value
    .group_segment_fixed_size: 0
    .kernarg_segment_align: 8
    .kernarg_segment_size: 32
    .language:       OpenCL C
    .language_version:
      - 2
      - 0
    .max_flat_workgroup_size: 256
    .name:           _ZN7rocprim17ROCPRIM_400000_NS6detail17trampoline_kernelINS0_14default_configENS1_20scan_config_selectorIjEEZZNS1_9scan_implILNS1_25lookback_scan_determinismE0ELb1ELb1ES3_N6thrust23THRUST_200600_302600_NS6detail15normal_iteratorINS9_10device_ptrIjEEEESE_jNS9_4plusIvEEjEEDaPvRmT3_T4_T5_mT6_P12ihipStream_tbENKUlT_T0_E_clISt17integral_constantIbLb0EESU_EEDaSP_SQ_EUlSP_E0_NS1_11comp_targetILNS1_3genE2ELNS1_11target_archE906ELNS1_3gpuE6ELNS1_3repE0EEENS1_30default_config_static_selectorELNS0_4arch9wavefront6targetE1EEEvT1_
    .private_segment_fixed_size: 0
    .sgpr_count:     4
    .sgpr_spill_count: 0
    .symbol:         _ZN7rocprim17ROCPRIM_400000_NS6detail17trampoline_kernelINS0_14default_configENS1_20scan_config_selectorIjEEZZNS1_9scan_implILNS1_25lookback_scan_determinismE0ELb1ELb1ES3_N6thrust23THRUST_200600_302600_NS6detail15normal_iteratorINS9_10device_ptrIjEEEESE_jNS9_4plusIvEEjEEDaPvRmT3_T4_T5_mT6_P12ihipStream_tbENKUlT_T0_E_clISt17integral_constantIbLb0EESU_EEDaSP_SQ_EUlSP_E0_NS1_11comp_targetILNS1_3genE2ELNS1_11target_archE906ELNS1_3gpuE6ELNS1_3repE0EEENS1_30default_config_static_selectorELNS0_4arch9wavefront6targetE1EEEvT1_.kd
    .uniform_work_group_size: 1
    .uses_dynamic_stack: false
    .vgpr_count:     0
    .vgpr_spill_count: 0
    .wavefront_size: 64
  - .agpr_count:     0
    .args:
      - .offset:         0
        .size:           32
        .value_kind:     by_value
    .group_segment_fixed_size: 0
    .kernarg_segment_align: 8
    .kernarg_segment_size: 32
    .language:       OpenCL C
    .language_version:
      - 2
      - 0
    .max_flat_workgroup_size: 256
    .name:           _ZN7rocprim17ROCPRIM_400000_NS6detail17trampoline_kernelINS0_14default_configENS1_20scan_config_selectorIjEEZZNS1_9scan_implILNS1_25lookback_scan_determinismE0ELb1ELb1ES3_N6thrust23THRUST_200600_302600_NS6detail15normal_iteratorINS9_10device_ptrIjEEEESE_jNS9_4plusIvEEjEEDaPvRmT3_T4_T5_mT6_P12ihipStream_tbENKUlT_T0_E_clISt17integral_constantIbLb0EESU_EEDaSP_SQ_EUlSP_E0_NS1_11comp_targetILNS1_3genE10ELNS1_11target_archE1201ELNS1_3gpuE5ELNS1_3repE0EEENS1_30default_config_static_selectorELNS0_4arch9wavefront6targetE1EEEvT1_
    .private_segment_fixed_size: 0
    .sgpr_count:     4
    .sgpr_spill_count: 0
    .symbol:         _ZN7rocprim17ROCPRIM_400000_NS6detail17trampoline_kernelINS0_14default_configENS1_20scan_config_selectorIjEEZZNS1_9scan_implILNS1_25lookback_scan_determinismE0ELb1ELb1ES3_N6thrust23THRUST_200600_302600_NS6detail15normal_iteratorINS9_10device_ptrIjEEEESE_jNS9_4plusIvEEjEEDaPvRmT3_T4_T5_mT6_P12ihipStream_tbENKUlT_T0_E_clISt17integral_constantIbLb0EESU_EEDaSP_SQ_EUlSP_E0_NS1_11comp_targetILNS1_3genE10ELNS1_11target_archE1201ELNS1_3gpuE5ELNS1_3repE0EEENS1_30default_config_static_selectorELNS0_4arch9wavefront6targetE1EEEvT1_.kd
    .uniform_work_group_size: 1
    .uses_dynamic_stack: false
    .vgpr_count:     0
    .vgpr_spill_count: 0
    .wavefront_size: 64
  - .agpr_count:     0
    .args:
      - .offset:         0
        .size:           32
        .value_kind:     by_value
    .group_segment_fixed_size: 0
    .kernarg_segment_align: 8
    .kernarg_segment_size: 32
    .language:       OpenCL C
    .language_version:
      - 2
      - 0
    .max_flat_workgroup_size: 256
    .name:           _ZN7rocprim17ROCPRIM_400000_NS6detail17trampoline_kernelINS0_14default_configENS1_20scan_config_selectorIjEEZZNS1_9scan_implILNS1_25lookback_scan_determinismE0ELb1ELb1ES3_N6thrust23THRUST_200600_302600_NS6detail15normal_iteratorINS9_10device_ptrIjEEEESE_jNS9_4plusIvEEjEEDaPvRmT3_T4_T5_mT6_P12ihipStream_tbENKUlT_T0_E_clISt17integral_constantIbLb0EESU_EEDaSP_SQ_EUlSP_E0_NS1_11comp_targetILNS1_3genE10ELNS1_11target_archE1200ELNS1_3gpuE4ELNS1_3repE0EEENS1_30default_config_static_selectorELNS0_4arch9wavefront6targetE1EEEvT1_
    .private_segment_fixed_size: 0
    .sgpr_count:     4
    .sgpr_spill_count: 0
    .symbol:         _ZN7rocprim17ROCPRIM_400000_NS6detail17trampoline_kernelINS0_14default_configENS1_20scan_config_selectorIjEEZZNS1_9scan_implILNS1_25lookback_scan_determinismE0ELb1ELb1ES3_N6thrust23THRUST_200600_302600_NS6detail15normal_iteratorINS9_10device_ptrIjEEEESE_jNS9_4plusIvEEjEEDaPvRmT3_T4_T5_mT6_P12ihipStream_tbENKUlT_T0_E_clISt17integral_constantIbLb0EESU_EEDaSP_SQ_EUlSP_E0_NS1_11comp_targetILNS1_3genE10ELNS1_11target_archE1200ELNS1_3gpuE4ELNS1_3repE0EEENS1_30default_config_static_selectorELNS0_4arch9wavefront6targetE1EEEvT1_.kd
    .uniform_work_group_size: 1
    .uses_dynamic_stack: false
    .vgpr_count:     0
    .vgpr_spill_count: 0
    .wavefront_size: 64
  - .agpr_count:     0
    .args:
      - .offset:         0
        .size:           32
        .value_kind:     by_value
    .group_segment_fixed_size: 0
    .kernarg_segment_align: 8
    .kernarg_segment_size: 32
    .language:       OpenCL C
    .language_version:
      - 2
      - 0
    .max_flat_workgroup_size: 256
    .name:           _ZN7rocprim17ROCPRIM_400000_NS6detail17trampoline_kernelINS0_14default_configENS1_20scan_config_selectorIjEEZZNS1_9scan_implILNS1_25lookback_scan_determinismE0ELb1ELb1ES3_N6thrust23THRUST_200600_302600_NS6detail15normal_iteratorINS9_10device_ptrIjEEEESE_jNS9_4plusIvEEjEEDaPvRmT3_T4_T5_mT6_P12ihipStream_tbENKUlT_T0_E_clISt17integral_constantIbLb0EESU_EEDaSP_SQ_EUlSP_E0_NS1_11comp_targetILNS1_3genE9ELNS1_11target_archE1100ELNS1_3gpuE3ELNS1_3repE0EEENS1_30default_config_static_selectorELNS0_4arch9wavefront6targetE1EEEvT1_
    .private_segment_fixed_size: 0
    .sgpr_count:     4
    .sgpr_spill_count: 0
    .symbol:         _ZN7rocprim17ROCPRIM_400000_NS6detail17trampoline_kernelINS0_14default_configENS1_20scan_config_selectorIjEEZZNS1_9scan_implILNS1_25lookback_scan_determinismE0ELb1ELb1ES3_N6thrust23THRUST_200600_302600_NS6detail15normal_iteratorINS9_10device_ptrIjEEEESE_jNS9_4plusIvEEjEEDaPvRmT3_T4_T5_mT6_P12ihipStream_tbENKUlT_T0_E_clISt17integral_constantIbLb0EESU_EEDaSP_SQ_EUlSP_E0_NS1_11comp_targetILNS1_3genE9ELNS1_11target_archE1100ELNS1_3gpuE3ELNS1_3repE0EEENS1_30default_config_static_selectorELNS0_4arch9wavefront6targetE1EEEvT1_.kd
    .uniform_work_group_size: 1
    .uses_dynamic_stack: false
    .vgpr_count:     0
    .vgpr_spill_count: 0
    .wavefront_size: 64
  - .agpr_count:     0
    .args:
      - .offset:         0
        .size:           32
        .value_kind:     by_value
    .group_segment_fixed_size: 0
    .kernarg_segment_align: 8
    .kernarg_segment_size: 32
    .language:       OpenCL C
    .language_version:
      - 2
      - 0
    .max_flat_workgroup_size: 64
    .name:           _ZN7rocprim17ROCPRIM_400000_NS6detail17trampoline_kernelINS0_14default_configENS1_20scan_config_selectorIjEEZZNS1_9scan_implILNS1_25lookback_scan_determinismE0ELb1ELb1ES3_N6thrust23THRUST_200600_302600_NS6detail15normal_iteratorINS9_10device_ptrIjEEEESE_jNS9_4plusIvEEjEEDaPvRmT3_T4_T5_mT6_P12ihipStream_tbENKUlT_T0_E_clISt17integral_constantIbLb0EESU_EEDaSP_SQ_EUlSP_E0_NS1_11comp_targetILNS1_3genE8ELNS1_11target_archE1030ELNS1_3gpuE2ELNS1_3repE0EEENS1_30default_config_static_selectorELNS0_4arch9wavefront6targetE1EEEvT1_
    .private_segment_fixed_size: 0
    .sgpr_count:     4
    .sgpr_spill_count: 0
    .symbol:         _ZN7rocprim17ROCPRIM_400000_NS6detail17trampoline_kernelINS0_14default_configENS1_20scan_config_selectorIjEEZZNS1_9scan_implILNS1_25lookback_scan_determinismE0ELb1ELb1ES3_N6thrust23THRUST_200600_302600_NS6detail15normal_iteratorINS9_10device_ptrIjEEEESE_jNS9_4plusIvEEjEEDaPvRmT3_T4_T5_mT6_P12ihipStream_tbENKUlT_T0_E_clISt17integral_constantIbLb0EESU_EEDaSP_SQ_EUlSP_E0_NS1_11comp_targetILNS1_3genE8ELNS1_11target_archE1030ELNS1_3gpuE2ELNS1_3repE0EEENS1_30default_config_static_selectorELNS0_4arch9wavefront6targetE1EEEvT1_.kd
    .uniform_work_group_size: 1
    .uses_dynamic_stack: false
    .vgpr_count:     0
    .vgpr_spill_count: 0
    .wavefront_size: 64
  - .agpr_count:     0
    .args:
      - .offset:         0
        .size:           96
        .value_kind:     by_value
    .group_segment_fixed_size: 0
    .kernarg_segment_align: 8
    .kernarg_segment_size: 96
    .language:       OpenCL C
    .language_version:
      - 2
      - 0
    .max_flat_workgroup_size: 256
    .name:           _ZN7rocprim17ROCPRIM_400000_NS6detail17trampoline_kernelINS0_14default_configENS1_20scan_config_selectorIjEEZZNS1_9scan_implILNS1_25lookback_scan_determinismE0ELb1ELb1ES3_N6thrust23THRUST_200600_302600_NS6detail15normal_iteratorINS9_10device_ptrIjEEEESE_jNS9_4plusIvEEjEEDaPvRmT3_T4_T5_mT6_P12ihipStream_tbENKUlT_T0_E_clISt17integral_constantIbLb1EESU_EEDaSP_SQ_EUlSP_E_NS1_11comp_targetILNS1_3genE0ELNS1_11target_archE4294967295ELNS1_3gpuE0ELNS1_3repE0EEENS1_30default_config_static_selectorELNS0_4arch9wavefront6targetE1EEEvT1_
    .private_segment_fixed_size: 0
    .sgpr_count:     4
    .sgpr_spill_count: 0
    .symbol:         _ZN7rocprim17ROCPRIM_400000_NS6detail17trampoline_kernelINS0_14default_configENS1_20scan_config_selectorIjEEZZNS1_9scan_implILNS1_25lookback_scan_determinismE0ELb1ELb1ES3_N6thrust23THRUST_200600_302600_NS6detail15normal_iteratorINS9_10device_ptrIjEEEESE_jNS9_4plusIvEEjEEDaPvRmT3_T4_T5_mT6_P12ihipStream_tbENKUlT_T0_E_clISt17integral_constantIbLb1EESU_EEDaSP_SQ_EUlSP_E_NS1_11comp_targetILNS1_3genE0ELNS1_11target_archE4294967295ELNS1_3gpuE0ELNS1_3repE0EEENS1_30default_config_static_selectorELNS0_4arch9wavefront6targetE1EEEvT1_.kd
    .uniform_work_group_size: 1
    .uses_dynamic_stack: false
    .vgpr_count:     0
    .vgpr_spill_count: 0
    .wavefront_size: 64
  - .agpr_count:     0
    .args:
      - .offset:         0
        .size:           96
        .value_kind:     by_value
    .group_segment_fixed_size: 0
    .kernarg_segment_align: 8
    .kernarg_segment_size: 96
    .language:       OpenCL C
    .language_version:
      - 2
      - 0
    .max_flat_workgroup_size: 256
    .name:           _ZN7rocprim17ROCPRIM_400000_NS6detail17trampoline_kernelINS0_14default_configENS1_20scan_config_selectorIjEEZZNS1_9scan_implILNS1_25lookback_scan_determinismE0ELb1ELb1ES3_N6thrust23THRUST_200600_302600_NS6detail15normal_iteratorINS9_10device_ptrIjEEEESE_jNS9_4plusIvEEjEEDaPvRmT3_T4_T5_mT6_P12ihipStream_tbENKUlT_T0_E_clISt17integral_constantIbLb1EESU_EEDaSP_SQ_EUlSP_E_NS1_11comp_targetILNS1_3genE5ELNS1_11target_archE942ELNS1_3gpuE9ELNS1_3repE0EEENS1_30default_config_static_selectorELNS0_4arch9wavefront6targetE1EEEvT1_
    .private_segment_fixed_size: 0
    .sgpr_count:     4
    .sgpr_spill_count: 0
    .symbol:         _ZN7rocprim17ROCPRIM_400000_NS6detail17trampoline_kernelINS0_14default_configENS1_20scan_config_selectorIjEEZZNS1_9scan_implILNS1_25lookback_scan_determinismE0ELb1ELb1ES3_N6thrust23THRUST_200600_302600_NS6detail15normal_iteratorINS9_10device_ptrIjEEEESE_jNS9_4plusIvEEjEEDaPvRmT3_T4_T5_mT6_P12ihipStream_tbENKUlT_T0_E_clISt17integral_constantIbLb1EESU_EEDaSP_SQ_EUlSP_E_NS1_11comp_targetILNS1_3genE5ELNS1_11target_archE942ELNS1_3gpuE9ELNS1_3repE0EEENS1_30default_config_static_selectorELNS0_4arch9wavefront6targetE1EEEvT1_.kd
    .uniform_work_group_size: 1
    .uses_dynamic_stack: false
    .vgpr_count:     0
    .vgpr_spill_count: 0
    .wavefront_size: 64
  - .agpr_count:     0
    .args:
      - .offset:         0
        .size:           96
        .value_kind:     by_value
    .group_segment_fixed_size: 5120
    .kernarg_segment_align: 8
    .kernarg_segment_size: 96
    .language:       OpenCL C
    .language_version:
      - 2
      - 0
    .max_flat_workgroup_size: 128
    .name:           _ZN7rocprim17ROCPRIM_400000_NS6detail17trampoline_kernelINS0_14default_configENS1_20scan_config_selectorIjEEZZNS1_9scan_implILNS1_25lookback_scan_determinismE0ELb1ELb1ES3_N6thrust23THRUST_200600_302600_NS6detail15normal_iteratorINS9_10device_ptrIjEEEESE_jNS9_4plusIvEEjEEDaPvRmT3_T4_T5_mT6_P12ihipStream_tbENKUlT_T0_E_clISt17integral_constantIbLb1EESU_EEDaSP_SQ_EUlSP_E_NS1_11comp_targetILNS1_3genE4ELNS1_11target_archE910ELNS1_3gpuE8ELNS1_3repE0EEENS1_30default_config_static_selectorELNS0_4arch9wavefront6targetE1EEEvT1_
    .private_segment_fixed_size: 0
    .sgpr_count:     44
    .sgpr_spill_count: 0
    .symbol:         _ZN7rocprim17ROCPRIM_400000_NS6detail17trampoline_kernelINS0_14default_configENS1_20scan_config_selectorIjEEZZNS1_9scan_implILNS1_25lookback_scan_determinismE0ELb1ELb1ES3_N6thrust23THRUST_200600_302600_NS6detail15normal_iteratorINS9_10device_ptrIjEEEESE_jNS9_4plusIvEEjEEDaPvRmT3_T4_T5_mT6_P12ihipStream_tbENKUlT_T0_E_clISt17integral_constantIbLb1EESU_EEDaSP_SQ_EUlSP_E_NS1_11comp_targetILNS1_3genE4ELNS1_11target_archE910ELNS1_3gpuE8ELNS1_3repE0EEENS1_30default_config_static_selectorELNS0_4arch9wavefront6targetE1EEEvT1_.kd
    .uniform_work_group_size: 1
    .uses_dynamic_stack: false
    .vgpr_count:     41
    .vgpr_spill_count: 0
    .wavefront_size: 64
  - .agpr_count:     0
    .args:
      - .offset:         0
        .size:           96
        .value_kind:     by_value
    .group_segment_fixed_size: 0
    .kernarg_segment_align: 8
    .kernarg_segment_size: 96
    .language:       OpenCL C
    .language_version:
      - 2
      - 0
    .max_flat_workgroup_size: 256
    .name:           _ZN7rocprim17ROCPRIM_400000_NS6detail17trampoline_kernelINS0_14default_configENS1_20scan_config_selectorIjEEZZNS1_9scan_implILNS1_25lookback_scan_determinismE0ELb1ELb1ES3_N6thrust23THRUST_200600_302600_NS6detail15normal_iteratorINS9_10device_ptrIjEEEESE_jNS9_4plusIvEEjEEDaPvRmT3_T4_T5_mT6_P12ihipStream_tbENKUlT_T0_E_clISt17integral_constantIbLb1EESU_EEDaSP_SQ_EUlSP_E_NS1_11comp_targetILNS1_3genE3ELNS1_11target_archE908ELNS1_3gpuE7ELNS1_3repE0EEENS1_30default_config_static_selectorELNS0_4arch9wavefront6targetE1EEEvT1_
    .private_segment_fixed_size: 0
    .sgpr_count:     4
    .sgpr_spill_count: 0
    .symbol:         _ZN7rocprim17ROCPRIM_400000_NS6detail17trampoline_kernelINS0_14default_configENS1_20scan_config_selectorIjEEZZNS1_9scan_implILNS1_25lookback_scan_determinismE0ELb1ELb1ES3_N6thrust23THRUST_200600_302600_NS6detail15normal_iteratorINS9_10device_ptrIjEEEESE_jNS9_4plusIvEEjEEDaPvRmT3_T4_T5_mT6_P12ihipStream_tbENKUlT_T0_E_clISt17integral_constantIbLb1EESU_EEDaSP_SQ_EUlSP_E_NS1_11comp_targetILNS1_3genE3ELNS1_11target_archE908ELNS1_3gpuE7ELNS1_3repE0EEENS1_30default_config_static_selectorELNS0_4arch9wavefront6targetE1EEEvT1_.kd
    .uniform_work_group_size: 1
    .uses_dynamic_stack: false
    .vgpr_count:     0
    .vgpr_spill_count: 0
    .wavefront_size: 64
  - .agpr_count:     0
    .args:
      - .offset:         0
        .size:           96
        .value_kind:     by_value
    .group_segment_fixed_size: 0
    .kernarg_segment_align: 8
    .kernarg_segment_size: 96
    .language:       OpenCL C
    .language_version:
      - 2
      - 0
    .max_flat_workgroup_size: 256
    .name:           _ZN7rocprim17ROCPRIM_400000_NS6detail17trampoline_kernelINS0_14default_configENS1_20scan_config_selectorIjEEZZNS1_9scan_implILNS1_25lookback_scan_determinismE0ELb1ELb1ES3_N6thrust23THRUST_200600_302600_NS6detail15normal_iteratorINS9_10device_ptrIjEEEESE_jNS9_4plusIvEEjEEDaPvRmT3_T4_T5_mT6_P12ihipStream_tbENKUlT_T0_E_clISt17integral_constantIbLb1EESU_EEDaSP_SQ_EUlSP_E_NS1_11comp_targetILNS1_3genE2ELNS1_11target_archE906ELNS1_3gpuE6ELNS1_3repE0EEENS1_30default_config_static_selectorELNS0_4arch9wavefront6targetE1EEEvT1_
    .private_segment_fixed_size: 0
    .sgpr_count:     4
    .sgpr_spill_count: 0
    .symbol:         _ZN7rocprim17ROCPRIM_400000_NS6detail17trampoline_kernelINS0_14default_configENS1_20scan_config_selectorIjEEZZNS1_9scan_implILNS1_25lookback_scan_determinismE0ELb1ELb1ES3_N6thrust23THRUST_200600_302600_NS6detail15normal_iteratorINS9_10device_ptrIjEEEESE_jNS9_4plusIvEEjEEDaPvRmT3_T4_T5_mT6_P12ihipStream_tbENKUlT_T0_E_clISt17integral_constantIbLb1EESU_EEDaSP_SQ_EUlSP_E_NS1_11comp_targetILNS1_3genE2ELNS1_11target_archE906ELNS1_3gpuE6ELNS1_3repE0EEENS1_30default_config_static_selectorELNS0_4arch9wavefront6targetE1EEEvT1_.kd
    .uniform_work_group_size: 1
    .uses_dynamic_stack: false
    .vgpr_count:     0
    .vgpr_spill_count: 0
    .wavefront_size: 64
  - .agpr_count:     0
    .args:
      - .offset:         0
        .size:           96
        .value_kind:     by_value
    .group_segment_fixed_size: 0
    .kernarg_segment_align: 8
    .kernarg_segment_size: 96
    .language:       OpenCL C
    .language_version:
      - 2
      - 0
    .max_flat_workgroup_size: 256
    .name:           _ZN7rocprim17ROCPRIM_400000_NS6detail17trampoline_kernelINS0_14default_configENS1_20scan_config_selectorIjEEZZNS1_9scan_implILNS1_25lookback_scan_determinismE0ELb1ELb1ES3_N6thrust23THRUST_200600_302600_NS6detail15normal_iteratorINS9_10device_ptrIjEEEESE_jNS9_4plusIvEEjEEDaPvRmT3_T4_T5_mT6_P12ihipStream_tbENKUlT_T0_E_clISt17integral_constantIbLb1EESU_EEDaSP_SQ_EUlSP_E_NS1_11comp_targetILNS1_3genE10ELNS1_11target_archE1201ELNS1_3gpuE5ELNS1_3repE0EEENS1_30default_config_static_selectorELNS0_4arch9wavefront6targetE1EEEvT1_
    .private_segment_fixed_size: 0
    .sgpr_count:     4
    .sgpr_spill_count: 0
    .symbol:         _ZN7rocprim17ROCPRIM_400000_NS6detail17trampoline_kernelINS0_14default_configENS1_20scan_config_selectorIjEEZZNS1_9scan_implILNS1_25lookback_scan_determinismE0ELb1ELb1ES3_N6thrust23THRUST_200600_302600_NS6detail15normal_iteratorINS9_10device_ptrIjEEEESE_jNS9_4plusIvEEjEEDaPvRmT3_T4_T5_mT6_P12ihipStream_tbENKUlT_T0_E_clISt17integral_constantIbLb1EESU_EEDaSP_SQ_EUlSP_E_NS1_11comp_targetILNS1_3genE10ELNS1_11target_archE1201ELNS1_3gpuE5ELNS1_3repE0EEENS1_30default_config_static_selectorELNS0_4arch9wavefront6targetE1EEEvT1_.kd
    .uniform_work_group_size: 1
    .uses_dynamic_stack: false
    .vgpr_count:     0
    .vgpr_spill_count: 0
    .wavefront_size: 64
  - .agpr_count:     0
    .args:
      - .offset:         0
        .size:           96
        .value_kind:     by_value
    .group_segment_fixed_size: 0
    .kernarg_segment_align: 8
    .kernarg_segment_size: 96
    .language:       OpenCL C
    .language_version:
      - 2
      - 0
    .max_flat_workgroup_size: 256
    .name:           _ZN7rocprim17ROCPRIM_400000_NS6detail17trampoline_kernelINS0_14default_configENS1_20scan_config_selectorIjEEZZNS1_9scan_implILNS1_25lookback_scan_determinismE0ELb1ELb1ES3_N6thrust23THRUST_200600_302600_NS6detail15normal_iteratorINS9_10device_ptrIjEEEESE_jNS9_4plusIvEEjEEDaPvRmT3_T4_T5_mT6_P12ihipStream_tbENKUlT_T0_E_clISt17integral_constantIbLb1EESU_EEDaSP_SQ_EUlSP_E_NS1_11comp_targetILNS1_3genE10ELNS1_11target_archE1200ELNS1_3gpuE4ELNS1_3repE0EEENS1_30default_config_static_selectorELNS0_4arch9wavefront6targetE1EEEvT1_
    .private_segment_fixed_size: 0
    .sgpr_count:     4
    .sgpr_spill_count: 0
    .symbol:         _ZN7rocprim17ROCPRIM_400000_NS6detail17trampoline_kernelINS0_14default_configENS1_20scan_config_selectorIjEEZZNS1_9scan_implILNS1_25lookback_scan_determinismE0ELb1ELb1ES3_N6thrust23THRUST_200600_302600_NS6detail15normal_iteratorINS9_10device_ptrIjEEEESE_jNS9_4plusIvEEjEEDaPvRmT3_T4_T5_mT6_P12ihipStream_tbENKUlT_T0_E_clISt17integral_constantIbLb1EESU_EEDaSP_SQ_EUlSP_E_NS1_11comp_targetILNS1_3genE10ELNS1_11target_archE1200ELNS1_3gpuE4ELNS1_3repE0EEENS1_30default_config_static_selectorELNS0_4arch9wavefront6targetE1EEEvT1_.kd
    .uniform_work_group_size: 1
    .uses_dynamic_stack: false
    .vgpr_count:     0
    .vgpr_spill_count: 0
    .wavefront_size: 64
  - .agpr_count:     0
    .args:
      - .offset:         0
        .size:           96
        .value_kind:     by_value
    .group_segment_fixed_size: 0
    .kernarg_segment_align: 8
    .kernarg_segment_size: 96
    .language:       OpenCL C
    .language_version:
      - 2
      - 0
    .max_flat_workgroup_size: 256
    .name:           _ZN7rocprim17ROCPRIM_400000_NS6detail17trampoline_kernelINS0_14default_configENS1_20scan_config_selectorIjEEZZNS1_9scan_implILNS1_25lookback_scan_determinismE0ELb1ELb1ES3_N6thrust23THRUST_200600_302600_NS6detail15normal_iteratorINS9_10device_ptrIjEEEESE_jNS9_4plusIvEEjEEDaPvRmT3_T4_T5_mT6_P12ihipStream_tbENKUlT_T0_E_clISt17integral_constantIbLb1EESU_EEDaSP_SQ_EUlSP_E_NS1_11comp_targetILNS1_3genE9ELNS1_11target_archE1100ELNS1_3gpuE3ELNS1_3repE0EEENS1_30default_config_static_selectorELNS0_4arch9wavefront6targetE1EEEvT1_
    .private_segment_fixed_size: 0
    .sgpr_count:     4
    .sgpr_spill_count: 0
    .symbol:         _ZN7rocprim17ROCPRIM_400000_NS6detail17trampoline_kernelINS0_14default_configENS1_20scan_config_selectorIjEEZZNS1_9scan_implILNS1_25lookback_scan_determinismE0ELb1ELb1ES3_N6thrust23THRUST_200600_302600_NS6detail15normal_iteratorINS9_10device_ptrIjEEEESE_jNS9_4plusIvEEjEEDaPvRmT3_T4_T5_mT6_P12ihipStream_tbENKUlT_T0_E_clISt17integral_constantIbLb1EESU_EEDaSP_SQ_EUlSP_E_NS1_11comp_targetILNS1_3genE9ELNS1_11target_archE1100ELNS1_3gpuE3ELNS1_3repE0EEENS1_30default_config_static_selectorELNS0_4arch9wavefront6targetE1EEEvT1_.kd
    .uniform_work_group_size: 1
    .uses_dynamic_stack: false
    .vgpr_count:     0
    .vgpr_spill_count: 0
    .wavefront_size: 64
  - .agpr_count:     0
    .args:
      - .offset:         0
        .size:           96
        .value_kind:     by_value
    .group_segment_fixed_size: 0
    .kernarg_segment_align: 8
    .kernarg_segment_size: 96
    .language:       OpenCL C
    .language_version:
      - 2
      - 0
    .max_flat_workgroup_size: 64
    .name:           _ZN7rocprim17ROCPRIM_400000_NS6detail17trampoline_kernelINS0_14default_configENS1_20scan_config_selectorIjEEZZNS1_9scan_implILNS1_25lookback_scan_determinismE0ELb1ELb1ES3_N6thrust23THRUST_200600_302600_NS6detail15normal_iteratorINS9_10device_ptrIjEEEESE_jNS9_4plusIvEEjEEDaPvRmT3_T4_T5_mT6_P12ihipStream_tbENKUlT_T0_E_clISt17integral_constantIbLb1EESU_EEDaSP_SQ_EUlSP_E_NS1_11comp_targetILNS1_3genE8ELNS1_11target_archE1030ELNS1_3gpuE2ELNS1_3repE0EEENS1_30default_config_static_selectorELNS0_4arch9wavefront6targetE1EEEvT1_
    .private_segment_fixed_size: 0
    .sgpr_count:     4
    .sgpr_spill_count: 0
    .symbol:         _ZN7rocprim17ROCPRIM_400000_NS6detail17trampoline_kernelINS0_14default_configENS1_20scan_config_selectorIjEEZZNS1_9scan_implILNS1_25lookback_scan_determinismE0ELb1ELb1ES3_N6thrust23THRUST_200600_302600_NS6detail15normal_iteratorINS9_10device_ptrIjEEEESE_jNS9_4plusIvEEjEEDaPvRmT3_T4_T5_mT6_P12ihipStream_tbENKUlT_T0_E_clISt17integral_constantIbLb1EESU_EEDaSP_SQ_EUlSP_E_NS1_11comp_targetILNS1_3genE8ELNS1_11target_archE1030ELNS1_3gpuE2ELNS1_3repE0EEENS1_30default_config_static_selectorELNS0_4arch9wavefront6targetE1EEEvT1_.kd
    .uniform_work_group_size: 1
    .uses_dynamic_stack: false
    .vgpr_count:     0
    .vgpr_spill_count: 0
    .wavefront_size: 64
  - .agpr_count:     0
    .args:
      - .offset:         0
        .size:           32
        .value_kind:     by_value
    .group_segment_fixed_size: 0
    .kernarg_segment_align: 8
    .kernarg_segment_size: 32
    .language:       OpenCL C
    .language_version:
      - 2
      - 0
    .max_flat_workgroup_size: 256
    .name:           _ZN7rocprim17ROCPRIM_400000_NS6detail17trampoline_kernelINS0_14default_configENS1_20scan_config_selectorIjEEZZNS1_9scan_implILNS1_25lookback_scan_determinismE0ELb1ELb1ES3_N6thrust23THRUST_200600_302600_NS6detail15normal_iteratorINS9_10device_ptrIjEEEESE_jNS9_4plusIvEEjEEDaPvRmT3_T4_T5_mT6_P12ihipStream_tbENKUlT_T0_E_clISt17integral_constantIbLb1EESU_EEDaSP_SQ_EUlSP_E0_NS1_11comp_targetILNS1_3genE0ELNS1_11target_archE4294967295ELNS1_3gpuE0ELNS1_3repE0EEENS1_30default_config_static_selectorELNS0_4arch9wavefront6targetE1EEEvT1_
    .private_segment_fixed_size: 0
    .sgpr_count:     4
    .sgpr_spill_count: 0
    .symbol:         _ZN7rocprim17ROCPRIM_400000_NS6detail17trampoline_kernelINS0_14default_configENS1_20scan_config_selectorIjEEZZNS1_9scan_implILNS1_25lookback_scan_determinismE0ELb1ELb1ES3_N6thrust23THRUST_200600_302600_NS6detail15normal_iteratorINS9_10device_ptrIjEEEESE_jNS9_4plusIvEEjEEDaPvRmT3_T4_T5_mT6_P12ihipStream_tbENKUlT_T0_E_clISt17integral_constantIbLb1EESU_EEDaSP_SQ_EUlSP_E0_NS1_11comp_targetILNS1_3genE0ELNS1_11target_archE4294967295ELNS1_3gpuE0ELNS1_3repE0EEENS1_30default_config_static_selectorELNS0_4arch9wavefront6targetE1EEEvT1_.kd
    .uniform_work_group_size: 1
    .uses_dynamic_stack: false
    .vgpr_count:     0
    .vgpr_spill_count: 0
    .wavefront_size: 64
  - .agpr_count:     0
    .args:
      - .offset:         0
        .size:           32
        .value_kind:     by_value
    .group_segment_fixed_size: 0
    .kernarg_segment_align: 8
    .kernarg_segment_size: 32
    .language:       OpenCL C
    .language_version:
      - 2
      - 0
    .max_flat_workgroup_size: 256
    .name:           _ZN7rocprim17ROCPRIM_400000_NS6detail17trampoline_kernelINS0_14default_configENS1_20scan_config_selectorIjEEZZNS1_9scan_implILNS1_25lookback_scan_determinismE0ELb1ELb1ES3_N6thrust23THRUST_200600_302600_NS6detail15normal_iteratorINS9_10device_ptrIjEEEESE_jNS9_4plusIvEEjEEDaPvRmT3_T4_T5_mT6_P12ihipStream_tbENKUlT_T0_E_clISt17integral_constantIbLb1EESU_EEDaSP_SQ_EUlSP_E0_NS1_11comp_targetILNS1_3genE5ELNS1_11target_archE942ELNS1_3gpuE9ELNS1_3repE0EEENS1_30default_config_static_selectorELNS0_4arch9wavefront6targetE1EEEvT1_
    .private_segment_fixed_size: 0
    .sgpr_count:     4
    .sgpr_spill_count: 0
    .symbol:         _ZN7rocprim17ROCPRIM_400000_NS6detail17trampoline_kernelINS0_14default_configENS1_20scan_config_selectorIjEEZZNS1_9scan_implILNS1_25lookback_scan_determinismE0ELb1ELb1ES3_N6thrust23THRUST_200600_302600_NS6detail15normal_iteratorINS9_10device_ptrIjEEEESE_jNS9_4plusIvEEjEEDaPvRmT3_T4_T5_mT6_P12ihipStream_tbENKUlT_T0_E_clISt17integral_constantIbLb1EESU_EEDaSP_SQ_EUlSP_E0_NS1_11comp_targetILNS1_3genE5ELNS1_11target_archE942ELNS1_3gpuE9ELNS1_3repE0EEENS1_30default_config_static_selectorELNS0_4arch9wavefront6targetE1EEEvT1_.kd
    .uniform_work_group_size: 1
    .uses_dynamic_stack: false
    .vgpr_count:     0
    .vgpr_spill_count: 0
    .wavefront_size: 64
  - .agpr_count:     0
    .args:
      - .offset:         0
        .size:           32
        .value_kind:     by_value
    .group_segment_fixed_size: 5120
    .kernarg_segment_align: 8
    .kernarg_segment_size: 32
    .language:       OpenCL C
    .language_version:
      - 2
      - 0
    .max_flat_workgroup_size: 128
    .name:           _ZN7rocprim17ROCPRIM_400000_NS6detail17trampoline_kernelINS0_14default_configENS1_20scan_config_selectorIjEEZZNS1_9scan_implILNS1_25lookback_scan_determinismE0ELb1ELb1ES3_N6thrust23THRUST_200600_302600_NS6detail15normal_iteratorINS9_10device_ptrIjEEEESE_jNS9_4plusIvEEjEEDaPvRmT3_T4_T5_mT6_P12ihipStream_tbENKUlT_T0_E_clISt17integral_constantIbLb1EESU_EEDaSP_SQ_EUlSP_E0_NS1_11comp_targetILNS1_3genE4ELNS1_11target_archE910ELNS1_3gpuE8ELNS1_3repE0EEENS1_30default_config_static_selectorELNS0_4arch9wavefront6targetE1EEEvT1_
    .private_segment_fixed_size: 0
    .sgpr_count:     29
    .sgpr_spill_count: 0
    .symbol:         _ZN7rocprim17ROCPRIM_400000_NS6detail17trampoline_kernelINS0_14default_configENS1_20scan_config_selectorIjEEZZNS1_9scan_implILNS1_25lookback_scan_determinismE0ELb1ELb1ES3_N6thrust23THRUST_200600_302600_NS6detail15normal_iteratorINS9_10device_ptrIjEEEESE_jNS9_4plusIvEEjEEDaPvRmT3_T4_T5_mT6_P12ihipStream_tbENKUlT_T0_E_clISt17integral_constantIbLb1EESU_EEDaSP_SQ_EUlSP_E0_NS1_11comp_targetILNS1_3genE4ELNS1_11target_archE910ELNS1_3gpuE8ELNS1_3repE0EEENS1_30default_config_static_selectorELNS0_4arch9wavefront6targetE1EEEvT1_.kd
    .uniform_work_group_size: 1
    .uses_dynamic_stack: false
    .vgpr_count:     18
    .vgpr_spill_count: 0
    .wavefront_size: 64
  - .agpr_count:     0
    .args:
      - .offset:         0
        .size:           32
        .value_kind:     by_value
    .group_segment_fixed_size: 0
    .kernarg_segment_align: 8
    .kernarg_segment_size: 32
    .language:       OpenCL C
    .language_version:
      - 2
      - 0
    .max_flat_workgroup_size: 256
    .name:           _ZN7rocprim17ROCPRIM_400000_NS6detail17trampoline_kernelINS0_14default_configENS1_20scan_config_selectorIjEEZZNS1_9scan_implILNS1_25lookback_scan_determinismE0ELb1ELb1ES3_N6thrust23THRUST_200600_302600_NS6detail15normal_iteratorINS9_10device_ptrIjEEEESE_jNS9_4plusIvEEjEEDaPvRmT3_T4_T5_mT6_P12ihipStream_tbENKUlT_T0_E_clISt17integral_constantIbLb1EESU_EEDaSP_SQ_EUlSP_E0_NS1_11comp_targetILNS1_3genE3ELNS1_11target_archE908ELNS1_3gpuE7ELNS1_3repE0EEENS1_30default_config_static_selectorELNS0_4arch9wavefront6targetE1EEEvT1_
    .private_segment_fixed_size: 0
    .sgpr_count:     4
    .sgpr_spill_count: 0
    .symbol:         _ZN7rocprim17ROCPRIM_400000_NS6detail17trampoline_kernelINS0_14default_configENS1_20scan_config_selectorIjEEZZNS1_9scan_implILNS1_25lookback_scan_determinismE0ELb1ELb1ES3_N6thrust23THRUST_200600_302600_NS6detail15normal_iteratorINS9_10device_ptrIjEEEESE_jNS9_4plusIvEEjEEDaPvRmT3_T4_T5_mT6_P12ihipStream_tbENKUlT_T0_E_clISt17integral_constantIbLb1EESU_EEDaSP_SQ_EUlSP_E0_NS1_11comp_targetILNS1_3genE3ELNS1_11target_archE908ELNS1_3gpuE7ELNS1_3repE0EEENS1_30default_config_static_selectorELNS0_4arch9wavefront6targetE1EEEvT1_.kd
    .uniform_work_group_size: 1
    .uses_dynamic_stack: false
    .vgpr_count:     0
    .vgpr_spill_count: 0
    .wavefront_size: 64
  - .agpr_count:     0
    .args:
      - .offset:         0
        .size:           32
        .value_kind:     by_value
    .group_segment_fixed_size: 0
    .kernarg_segment_align: 8
    .kernarg_segment_size: 32
    .language:       OpenCL C
    .language_version:
      - 2
      - 0
    .max_flat_workgroup_size: 256
    .name:           _ZN7rocprim17ROCPRIM_400000_NS6detail17trampoline_kernelINS0_14default_configENS1_20scan_config_selectorIjEEZZNS1_9scan_implILNS1_25lookback_scan_determinismE0ELb1ELb1ES3_N6thrust23THRUST_200600_302600_NS6detail15normal_iteratorINS9_10device_ptrIjEEEESE_jNS9_4plusIvEEjEEDaPvRmT3_T4_T5_mT6_P12ihipStream_tbENKUlT_T0_E_clISt17integral_constantIbLb1EESU_EEDaSP_SQ_EUlSP_E0_NS1_11comp_targetILNS1_3genE2ELNS1_11target_archE906ELNS1_3gpuE6ELNS1_3repE0EEENS1_30default_config_static_selectorELNS0_4arch9wavefront6targetE1EEEvT1_
    .private_segment_fixed_size: 0
    .sgpr_count:     4
    .sgpr_spill_count: 0
    .symbol:         _ZN7rocprim17ROCPRIM_400000_NS6detail17trampoline_kernelINS0_14default_configENS1_20scan_config_selectorIjEEZZNS1_9scan_implILNS1_25lookback_scan_determinismE0ELb1ELb1ES3_N6thrust23THRUST_200600_302600_NS6detail15normal_iteratorINS9_10device_ptrIjEEEESE_jNS9_4plusIvEEjEEDaPvRmT3_T4_T5_mT6_P12ihipStream_tbENKUlT_T0_E_clISt17integral_constantIbLb1EESU_EEDaSP_SQ_EUlSP_E0_NS1_11comp_targetILNS1_3genE2ELNS1_11target_archE906ELNS1_3gpuE6ELNS1_3repE0EEENS1_30default_config_static_selectorELNS0_4arch9wavefront6targetE1EEEvT1_.kd
    .uniform_work_group_size: 1
    .uses_dynamic_stack: false
    .vgpr_count:     0
    .vgpr_spill_count: 0
    .wavefront_size: 64
  - .agpr_count:     0
    .args:
      - .offset:         0
        .size:           32
        .value_kind:     by_value
    .group_segment_fixed_size: 0
    .kernarg_segment_align: 8
    .kernarg_segment_size: 32
    .language:       OpenCL C
    .language_version:
      - 2
      - 0
    .max_flat_workgroup_size: 256
    .name:           _ZN7rocprim17ROCPRIM_400000_NS6detail17trampoline_kernelINS0_14default_configENS1_20scan_config_selectorIjEEZZNS1_9scan_implILNS1_25lookback_scan_determinismE0ELb1ELb1ES3_N6thrust23THRUST_200600_302600_NS6detail15normal_iteratorINS9_10device_ptrIjEEEESE_jNS9_4plusIvEEjEEDaPvRmT3_T4_T5_mT6_P12ihipStream_tbENKUlT_T0_E_clISt17integral_constantIbLb1EESU_EEDaSP_SQ_EUlSP_E0_NS1_11comp_targetILNS1_3genE10ELNS1_11target_archE1201ELNS1_3gpuE5ELNS1_3repE0EEENS1_30default_config_static_selectorELNS0_4arch9wavefront6targetE1EEEvT1_
    .private_segment_fixed_size: 0
    .sgpr_count:     4
    .sgpr_spill_count: 0
    .symbol:         _ZN7rocprim17ROCPRIM_400000_NS6detail17trampoline_kernelINS0_14default_configENS1_20scan_config_selectorIjEEZZNS1_9scan_implILNS1_25lookback_scan_determinismE0ELb1ELb1ES3_N6thrust23THRUST_200600_302600_NS6detail15normal_iteratorINS9_10device_ptrIjEEEESE_jNS9_4plusIvEEjEEDaPvRmT3_T4_T5_mT6_P12ihipStream_tbENKUlT_T0_E_clISt17integral_constantIbLb1EESU_EEDaSP_SQ_EUlSP_E0_NS1_11comp_targetILNS1_3genE10ELNS1_11target_archE1201ELNS1_3gpuE5ELNS1_3repE0EEENS1_30default_config_static_selectorELNS0_4arch9wavefront6targetE1EEEvT1_.kd
    .uniform_work_group_size: 1
    .uses_dynamic_stack: false
    .vgpr_count:     0
    .vgpr_spill_count: 0
    .wavefront_size: 64
  - .agpr_count:     0
    .args:
      - .offset:         0
        .size:           32
        .value_kind:     by_value
    .group_segment_fixed_size: 0
    .kernarg_segment_align: 8
    .kernarg_segment_size: 32
    .language:       OpenCL C
    .language_version:
      - 2
      - 0
    .max_flat_workgroup_size: 256
    .name:           _ZN7rocprim17ROCPRIM_400000_NS6detail17trampoline_kernelINS0_14default_configENS1_20scan_config_selectorIjEEZZNS1_9scan_implILNS1_25lookback_scan_determinismE0ELb1ELb1ES3_N6thrust23THRUST_200600_302600_NS6detail15normal_iteratorINS9_10device_ptrIjEEEESE_jNS9_4plusIvEEjEEDaPvRmT3_T4_T5_mT6_P12ihipStream_tbENKUlT_T0_E_clISt17integral_constantIbLb1EESU_EEDaSP_SQ_EUlSP_E0_NS1_11comp_targetILNS1_3genE10ELNS1_11target_archE1200ELNS1_3gpuE4ELNS1_3repE0EEENS1_30default_config_static_selectorELNS0_4arch9wavefront6targetE1EEEvT1_
    .private_segment_fixed_size: 0
    .sgpr_count:     4
    .sgpr_spill_count: 0
    .symbol:         _ZN7rocprim17ROCPRIM_400000_NS6detail17trampoline_kernelINS0_14default_configENS1_20scan_config_selectorIjEEZZNS1_9scan_implILNS1_25lookback_scan_determinismE0ELb1ELb1ES3_N6thrust23THRUST_200600_302600_NS6detail15normal_iteratorINS9_10device_ptrIjEEEESE_jNS9_4plusIvEEjEEDaPvRmT3_T4_T5_mT6_P12ihipStream_tbENKUlT_T0_E_clISt17integral_constantIbLb1EESU_EEDaSP_SQ_EUlSP_E0_NS1_11comp_targetILNS1_3genE10ELNS1_11target_archE1200ELNS1_3gpuE4ELNS1_3repE0EEENS1_30default_config_static_selectorELNS0_4arch9wavefront6targetE1EEEvT1_.kd
    .uniform_work_group_size: 1
    .uses_dynamic_stack: false
    .vgpr_count:     0
    .vgpr_spill_count: 0
    .wavefront_size: 64
  - .agpr_count:     0
    .args:
      - .offset:         0
        .size:           32
        .value_kind:     by_value
    .group_segment_fixed_size: 0
    .kernarg_segment_align: 8
    .kernarg_segment_size: 32
    .language:       OpenCL C
    .language_version:
      - 2
      - 0
    .max_flat_workgroup_size: 256
    .name:           _ZN7rocprim17ROCPRIM_400000_NS6detail17trampoline_kernelINS0_14default_configENS1_20scan_config_selectorIjEEZZNS1_9scan_implILNS1_25lookback_scan_determinismE0ELb1ELb1ES3_N6thrust23THRUST_200600_302600_NS6detail15normal_iteratorINS9_10device_ptrIjEEEESE_jNS9_4plusIvEEjEEDaPvRmT3_T4_T5_mT6_P12ihipStream_tbENKUlT_T0_E_clISt17integral_constantIbLb1EESU_EEDaSP_SQ_EUlSP_E0_NS1_11comp_targetILNS1_3genE9ELNS1_11target_archE1100ELNS1_3gpuE3ELNS1_3repE0EEENS1_30default_config_static_selectorELNS0_4arch9wavefront6targetE1EEEvT1_
    .private_segment_fixed_size: 0
    .sgpr_count:     4
    .sgpr_spill_count: 0
    .symbol:         _ZN7rocprim17ROCPRIM_400000_NS6detail17trampoline_kernelINS0_14default_configENS1_20scan_config_selectorIjEEZZNS1_9scan_implILNS1_25lookback_scan_determinismE0ELb1ELb1ES3_N6thrust23THRUST_200600_302600_NS6detail15normal_iteratorINS9_10device_ptrIjEEEESE_jNS9_4plusIvEEjEEDaPvRmT3_T4_T5_mT6_P12ihipStream_tbENKUlT_T0_E_clISt17integral_constantIbLb1EESU_EEDaSP_SQ_EUlSP_E0_NS1_11comp_targetILNS1_3genE9ELNS1_11target_archE1100ELNS1_3gpuE3ELNS1_3repE0EEENS1_30default_config_static_selectorELNS0_4arch9wavefront6targetE1EEEvT1_.kd
    .uniform_work_group_size: 1
    .uses_dynamic_stack: false
    .vgpr_count:     0
    .vgpr_spill_count: 0
    .wavefront_size: 64
  - .agpr_count:     0
    .args:
      - .offset:         0
        .size:           32
        .value_kind:     by_value
    .group_segment_fixed_size: 0
    .kernarg_segment_align: 8
    .kernarg_segment_size: 32
    .language:       OpenCL C
    .language_version:
      - 2
      - 0
    .max_flat_workgroup_size: 64
    .name:           _ZN7rocprim17ROCPRIM_400000_NS6detail17trampoline_kernelINS0_14default_configENS1_20scan_config_selectorIjEEZZNS1_9scan_implILNS1_25lookback_scan_determinismE0ELb1ELb1ES3_N6thrust23THRUST_200600_302600_NS6detail15normal_iteratorINS9_10device_ptrIjEEEESE_jNS9_4plusIvEEjEEDaPvRmT3_T4_T5_mT6_P12ihipStream_tbENKUlT_T0_E_clISt17integral_constantIbLb1EESU_EEDaSP_SQ_EUlSP_E0_NS1_11comp_targetILNS1_3genE8ELNS1_11target_archE1030ELNS1_3gpuE2ELNS1_3repE0EEENS1_30default_config_static_selectorELNS0_4arch9wavefront6targetE1EEEvT1_
    .private_segment_fixed_size: 0
    .sgpr_count:     4
    .sgpr_spill_count: 0
    .symbol:         _ZN7rocprim17ROCPRIM_400000_NS6detail17trampoline_kernelINS0_14default_configENS1_20scan_config_selectorIjEEZZNS1_9scan_implILNS1_25lookback_scan_determinismE0ELb1ELb1ES3_N6thrust23THRUST_200600_302600_NS6detail15normal_iteratorINS9_10device_ptrIjEEEESE_jNS9_4plusIvEEjEEDaPvRmT3_T4_T5_mT6_P12ihipStream_tbENKUlT_T0_E_clISt17integral_constantIbLb1EESU_EEDaSP_SQ_EUlSP_E0_NS1_11comp_targetILNS1_3genE8ELNS1_11target_archE1030ELNS1_3gpuE2ELNS1_3repE0EEENS1_30default_config_static_selectorELNS0_4arch9wavefront6targetE1EEEvT1_.kd
    .uniform_work_group_size: 1
    .uses_dynamic_stack: false
    .vgpr_count:     0
    .vgpr_spill_count: 0
    .wavefront_size: 64
  - .agpr_count:     0
    .args:
      - .offset:         0
        .size:           96
        .value_kind:     by_value
    .group_segment_fixed_size: 0
    .kernarg_segment_align: 8
    .kernarg_segment_size: 96
    .language:       OpenCL C
    .language_version:
      - 2
      - 0
    .max_flat_workgroup_size: 256
    .name:           _ZN7rocprim17ROCPRIM_400000_NS6detail17trampoline_kernelINS0_14default_configENS1_20scan_config_selectorIjEEZZNS1_9scan_implILNS1_25lookback_scan_determinismE0ELb1ELb1ES3_N6thrust23THRUST_200600_302600_NS6detail15normal_iteratorINS9_10device_ptrIjEEEESE_jNS9_4plusIvEEjEEDaPvRmT3_T4_T5_mT6_P12ihipStream_tbENKUlT_T0_E_clISt17integral_constantIbLb1EEST_IbLb0EEEEDaSP_SQ_EUlSP_E_NS1_11comp_targetILNS1_3genE0ELNS1_11target_archE4294967295ELNS1_3gpuE0ELNS1_3repE0EEENS1_30default_config_static_selectorELNS0_4arch9wavefront6targetE1EEEvT1_
    .private_segment_fixed_size: 0
    .sgpr_count:     4
    .sgpr_spill_count: 0
    .symbol:         _ZN7rocprim17ROCPRIM_400000_NS6detail17trampoline_kernelINS0_14default_configENS1_20scan_config_selectorIjEEZZNS1_9scan_implILNS1_25lookback_scan_determinismE0ELb1ELb1ES3_N6thrust23THRUST_200600_302600_NS6detail15normal_iteratorINS9_10device_ptrIjEEEESE_jNS9_4plusIvEEjEEDaPvRmT3_T4_T5_mT6_P12ihipStream_tbENKUlT_T0_E_clISt17integral_constantIbLb1EEST_IbLb0EEEEDaSP_SQ_EUlSP_E_NS1_11comp_targetILNS1_3genE0ELNS1_11target_archE4294967295ELNS1_3gpuE0ELNS1_3repE0EEENS1_30default_config_static_selectorELNS0_4arch9wavefront6targetE1EEEvT1_.kd
    .uniform_work_group_size: 1
    .uses_dynamic_stack: false
    .vgpr_count:     0
    .vgpr_spill_count: 0
    .wavefront_size: 64
  - .agpr_count:     0
    .args:
      - .offset:         0
        .size:           96
        .value_kind:     by_value
    .group_segment_fixed_size: 0
    .kernarg_segment_align: 8
    .kernarg_segment_size: 96
    .language:       OpenCL C
    .language_version:
      - 2
      - 0
    .max_flat_workgroup_size: 256
    .name:           _ZN7rocprim17ROCPRIM_400000_NS6detail17trampoline_kernelINS0_14default_configENS1_20scan_config_selectorIjEEZZNS1_9scan_implILNS1_25lookback_scan_determinismE0ELb1ELb1ES3_N6thrust23THRUST_200600_302600_NS6detail15normal_iteratorINS9_10device_ptrIjEEEESE_jNS9_4plusIvEEjEEDaPvRmT3_T4_T5_mT6_P12ihipStream_tbENKUlT_T0_E_clISt17integral_constantIbLb1EEST_IbLb0EEEEDaSP_SQ_EUlSP_E_NS1_11comp_targetILNS1_3genE5ELNS1_11target_archE942ELNS1_3gpuE9ELNS1_3repE0EEENS1_30default_config_static_selectorELNS0_4arch9wavefront6targetE1EEEvT1_
    .private_segment_fixed_size: 0
    .sgpr_count:     4
    .sgpr_spill_count: 0
    .symbol:         _ZN7rocprim17ROCPRIM_400000_NS6detail17trampoline_kernelINS0_14default_configENS1_20scan_config_selectorIjEEZZNS1_9scan_implILNS1_25lookback_scan_determinismE0ELb1ELb1ES3_N6thrust23THRUST_200600_302600_NS6detail15normal_iteratorINS9_10device_ptrIjEEEESE_jNS9_4plusIvEEjEEDaPvRmT3_T4_T5_mT6_P12ihipStream_tbENKUlT_T0_E_clISt17integral_constantIbLb1EEST_IbLb0EEEEDaSP_SQ_EUlSP_E_NS1_11comp_targetILNS1_3genE5ELNS1_11target_archE942ELNS1_3gpuE9ELNS1_3repE0EEENS1_30default_config_static_selectorELNS0_4arch9wavefront6targetE1EEEvT1_.kd
    .uniform_work_group_size: 1
    .uses_dynamic_stack: false
    .vgpr_count:     0
    .vgpr_spill_count: 0
    .wavefront_size: 64
  - .agpr_count:     0
    .args:
      - .offset:         0
        .size:           96
        .value_kind:     by_value
    .group_segment_fixed_size: 5120
    .kernarg_segment_align: 8
    .kernarg_segment_size: 96
    .language:       OpenCL C
    .language_version:
      - 2
      - 0
    .max_flat_workgroup_size: 128
    .name:           _ZN7rocprim17ROCPRIM_400000_NS6detail17trampoline_kernelINS0_14default_configENS1_20scan_config_selectorIjEEZZNS1_9scan_implILNS1_25lookback_scan_determinismE0ELb1ELb1ES3_N6thrust23THRUST_200600_302600_NS6detail15normal_iteratorINS9_10device_ptrIjEEEESE_jNS9_4plusIvEEjEEDaPvRmT3_T4_T5_mT6_P12ihipStream_tbENKUlT_T0_E_clISt17integral_constantIbLb1EEST_IbLb0EEEEDaSP_SQ_EUlSP_E_NS1_11comp_targetILNS1_3genE4ELNS1_11target_archE910ELNS1_3gpuE8ELNS1_3repE0EEENS1_30default_config_static_selectorELNS0_4arch9wavefront6targetE1EEEvT1_
    .private_segment_fixed_size: 0
    .sgpr_count:     36
    .sgpr_spill_count: 0
    .symbol:         _ZN7rocprim17ROCPRIM_400000_NS6detail17trampoline_kernelINS0_14default_configENS1_20scan_config_selectorIjEEZZNS1_9scan_implILNS1_25lookback_scan_determinismE0ELb1ELb1ES3_N6thrust23THRUST_200600_302600_NS6detail15normal_iteratorINS9_10device_ptrIjEEEESE_jNS9_4plusIvEEjEEDaPvRmT3_T4_T5_mT6_P12ihipStream_tbENKUlT_T0_E_clISt17integral_constantIbLb1EEST_IbLb0EEEEDaSP_SQ_EUlSP_E_NS1_11comp_targetILNS1_3genE4ELNS1_11target_archE910ELNS1_3gpuE8ELNS1_3repE0EEENS1_30default_config_static_selectorELNS0_4arch9wavefront6targetE1EEEvT1_.kd
    .uniform_work_group_size: 1
    .uses_dynamic_stack: false
    .vgpr_count:     41
    .vgpr_spill_count: 0
    .wavefront_size: 64
  - .agpr_count:     0
    .args:
      - .offset:         0
        .size:           96
        .value_kind:     by_value
    .group_segment_fixed_size: 0
    .kernarg_segment_align: 8
    .kernarg_segment_size: 96
    .language:       OpenCL C
    .language_version:
      - 2
      - 0
    .max_flat_workgroup_size: 256
    .name:           _ZN7rocprim17ROCPRIM_400000_NS6detail17trampoline_kernelINS0_14default_configENS1_20scan_config_selectorIjEEZZNS1_9scan_implILNS1_25lookback_scan_determinismE0ELb1ELb1ES3_N6thrust23THRUST_200600_302600_NS6detail15normal_iteratorINS9_10device_ptrIjEEEESE_jNS9_4plusIvEEjEEDaPvRmT3_T4_T5_mT6_P12ihipStream_tbENKUlT_T0_E_clISt17integral_constantIbLb1EEST_IbLb0EEEEDaSP_SQ_EUlSP_E_NS1_11comp_targetILNS1_3genE3ELNS1_11target_archE908ELNS1_3gpuE7ELNS1_3repE0EEENS1_30default_config_static_selectorELNS0_4arch9wavefront6targetE1EEEvT1_
    .private_segment_fixed_size: 0
    .sgpr_count:     4
    .sgpr_spill_count: 0
    .symbol:         _ZN7rocprim17ROCPRIM_400000_NS6detail17trampoline_kernelINS0_14default_configENS1_20scan_config_selectorIjEEZZNS1_9scan_implILNS1_25lookback_scan_determinismE0ELb1ELb1ES3_N6thrust23THRUST_200600_302600_NS6detail15normal_iteratorINS9_10device_ptrIjEEEESE_jNS9_4plusIvEEjEEDaPvRmT3_T4_T5_mT6_P12ihipStream_tbENKUlT_T0_E_clISt17integral_constantIbLb1EEST_IbLb0EEEEDaSP_SQ_EUlSP_E_NS1_11comp_targetILNS1_3genE3ELNS1_11target_archE908ELNS1_3gpuE7ELNS1_3repE0EEENS1_30default_config_static_selectorELNS0_4arch9wavefront6targetE1EEEvT1_.kd
    .uniform_work_group_size: 1
    .uses_dynamic_stack: false
    .vgpr_count:     0
    .vgpr_spill_count: 0
    .wavefront_size: 64
  - .agpr_count:     0
    .args:
      - .offset:         0
        .size:           96
        .value_kind:     by_value
    .group_segment_fixed_size: 0
    .kernarg_segment_align: 8
    .kernarg_segment_size: 96
    .language:       OpenCL C
    .language_version:
      - 2
      - 0
    .max_flat_workgroup_size: 256
    .name:           _ZN7rocprim17ROCPRIM_400000_NS6detail17trampoline_kernelINS0_14default_configENS1_20scan_config_selectorIjEEZZNS1_9scan_implILNS1_25lookback_scan_determinismE0ELb1ELb1ES3_N6thrust23THRUST_200600_302600_NS6detail15normal_iteratorINS9_10device_ptrIjEEEESE_jNS9_4plusIvEEjEEDaPvRmT3_T4_T5_mT6_P12ihipStream_tbENKUlT_T0_E_clISt17integral_constantIbLb1EEST_IbLb0EEEEDaSP_SQ_EUlSP_E_NS1_11comp_targetILNS1_3genE2ELNS1_11target_archE906ELNS1_3gpuE6ELNS1_3repE0EEENS1_30default_config_static_selectorELNS0_4arch9wavefront6targetE1EEEvT1_
    .private_segment_fixed_size: 0
    .sgpr_count:     4
    .sgpr_spill_count: 0
    .symbol:         _ZN7rocprim17ROCPRIM_400000_NS6detail17trampoline_kernelINS0_14default_configENS1_20scan_config_selectorIjEEZZNS1_9scan_implILNS1_25lookback_scan_determinismE0ELb1ELb1ES3_N6thrust23THRUST_200600_302600_NS6detail15normal_iteratorINS9_10device_ptrIjEEEESE_jNS9_4plusIvEEjEEDaPvRmT3_T4_T5_mT6_P12ihipStream_tbENKUlT_T0_E_clISt17integral_constantIbLb1EEST_IbLb0EEEEDaSP_SQ_EUlSP_E_NS1_11comp_targetILNS1_3genE2ELNS1_11target_archE906ELNS1_3gpuE6ELNS1_3repE0EEENS1_30default_config_static_selectorELNS0_4arch9wavefront6targetE1EEEvT1_.kd
    .uniform_work_group_size: 1
    .uses_dynamic_stack: false
    .vgpr_count:     0
    .vgpr_spill_count: 0
    .wavefront_size: 64
  - .agpr_count:     0
    .args:
      - .offset:         0
        .size:           96
        .value_kind:     by_value
    .group_segment_fixed_size: 0
    .kernarg_segment_align: 8
    .kernarg_segment_size: 96
    .language:       OpenCL C
    .language_version:
      - 2
      - 0
    .max_flat_workgroup_size: 256
    .name:           _ZN7rocprim17ROCPRIM_400000_NS6detail17trampoline_kernelINS0_14default_configENS1_20scan_config_selectorIjEEZZNS1_9scan_implILNS1_25lookback_scan_determinismE0ELb1ELb1ES3_N6thrust23THRUST_200600_302600_NS6detail15normal_iteratorINS9_10device_ptrIjEEEESE_jNS9_4plusIvEEjEEDaPvRmT3_T4_T5_mT6_P12ihipStream_tbENKUlT_T0_E_clISt17integral_constantIbLb1EEST_IbLb0EEEEDaSP_SQ_EUlSP_E_NS1_11comp_targetILNS1_3genE10ELNS1_11target_archE1201ELNS1_3gpuE5ELNS1_3repE0EEENS1_30default_config_static_selectorELNS0_4arch9wavefront6targetE1EEEvT1_
    .private_segment_fixed_size: 0
    .sgpr_count:     4
    .sgpr_spill_count: 0
    .symbol:         _ZN7rocprim17ROCPRIM_400000_NS6detail17trampoline_kernelINS0_14default_configENS1_20scan_config_selectorIjEEZZNS1_9scan_implILNS1_25lookback_scan_determinismE0ELb1ELb1ES3_N6thrust23THRUST_200600_302600_NS6detail15normal_iteratorINS9_10device_ptrIjEEEESE_jNS9_4plusIvEEjEEDaPvRmT3_T4_T5_mT6_P12ihipStream_tbENKUlT_T0_E_clISt17integral_constantIbLb1EEST_IbLb0EEEEDaSP_SQ_EUlSP_E_NS1_11comp_targetILNS1_3genE10ELNS1_11target_archE1201ELNS1_3gpuE5ELNS1_3repE0EEENS1_30default_config_static_selectorELNS0_4arch9wavefront6targetE1EEEvT1_.kd
    .uniform_work_group_size: 1
    .uses_dynamic_stack: false
    .vgpr_count:     0
    .vgpr_spill_count: 0
    .wavefront_size: 64
  - .agpr_count:     0
    .args:
      - .offset:         0
        .size:           96
        .value_kind:     by_value
    .group_segment_fixed_size: 0
    .kernarg_segment_align: 8
    .kernarg_segment_size: 96
    .language:       OpenCL C
    .language_version:
      - 2
      - 0
    .max_flat_workgroup_size: 256
    .name:           _ZN7rocprim17ROCPRIM_400000_NS6detail17trampoline_kernelINS0_14default_configENS1_20scan_config_selectorIjEEZZNS1_9scan_implILNS1_25lookback_scan_determinismE0ELb1ELb1ES3_N6thrust23THRUST_200600_302600_NS6detail15normal_iteratorINS9_10device_ptrIjEEEESE_jNS9_4plusIvEEjEEDaPvRmT3_T4_T5_mT6_P12ihipStream_tbENKUlT_T0_E_clISt17integral_constantIbLb1EEST_IbLb0EEEEDaSP_SQ_EUlSP_E_NS1_11comp_targetILNS1_3genE10ELNS1_11target_archE1200ELNS1_3gpuE4ELNS1_3repE0EEENS1_30default_config_static_selectorELNS0_4arch9wavefront6targetE1EEEvT1_
    .private_segment_fixed_size: 0
    .sgpr_count:     4
    .sgpr_spill_count: 0
    .symbol:         _ZN7rocprim17ROCPRIM_400000_NS6detail17trampoline_kernelINS0_14default_configENS1_20scan_config_selectorIjEEZZNS1_9scan_implILNS1_25lookback_scan_determinismE0ELb1ELb1ES3_N6thrust23THRUST_200600_302600_NS6detail15normal_iteratorINS9_10device_ptrIjEEEESE_jNS9_4plusIvEEjEEDaPvRmT3_T4_T5_mT6_P12ihipStream_tbENKUlT_T0_E_clISt17integral_constantIbLb1EEST_IbLb0EEEEDaSP_SQ_EUlSP_E_NS1_11comp_targetILNS1_3genE10ELNS1_11target_archE1200ELNS1_3gpuE4ELNS1_3repE0EEENS1_30default_config_static_selectorELNS0_4arch9wavefront6targetE1EEEvT1_.kd
    .uniform_work_group_size: 1
    .uses_dynamic_stack: false
    .vgpr_count:     0
    .vgpr_spill_count: 0
    .wavefront_size: 64
  - .agpr_count:     0
    .args:
      - .offset:         0
        .size:           96
        .value_kind:     by_value
    .group_segment_fixed_size: 0
    .kernarg_segment_align: 8
    .kernarg_segment_size: 96
    .language:       OpenCL C
    .language_version:
      - 2
      - 0
    .max_flat_workgroup_size: 256
    .name:           _ZN7rocprim17ROCPRIM_400000_NS6detail17trampoline_kernelINS0_14default_configENS1_20scan_config_selectorIjEEZZNS1_9scan_implILNS1_25lookback_scan_determinismE0ELb1ELb1ES3_N6thrust23THRUST_200600_302600_NS6detail15normal_iteratorINS9_10device_ptrIjEEEESE_jNS9_4plusIvEEjEEDaPvRmT3_T4_T5_mT6_P12ihipStream_tbENKUlT_T0_E_clISt17integral_constantIbLb1EEST_IbLb0EEEEDaSP_SQ_EUlSP_E_NS1_11comp_targetILNS1_3genE9ELNS1_11target_archE1100ELNS1_3gpuE3ELNS1_3repE0EEENS1_30default_config_static_selectorELNS0_4arch9wavefront6targetE1EEEvT1_
    .private_segment_fixed_size: 0
    .sgpr_count:     4
    .sgpr_spill_count: 0
    .symbol:         _ZN7rocprim17ROCPRIM_400000_NS6detail17trampoline_kernelINS0_14default_configENS1_20scan_config_selectorIjEEZZNS1_9scan_implILNS1_25lookback_scan_determinismE0ELb1ELb1ES3_N6thrust23THRUST_200600_302600_NS6detail15normal_iteratorINS9_10device_ptrIjEEEESE_jNS9_4plusIvEEjEEDaPvRmT3_T4_T5_mT6_P12ihipStream_tbENKUlT_T0_E_clISt17integral_constantIbLb1EEST_IbLb0EEEEDaSP_SQ_EUlSP_E_NS1_11comp_targetILNS1_3genE9ELNS1_11target_archE1100ELNS1_3gpuE3ELNS1_3repE0EEENS1_30default_config_static_selectorELNS0_4arch9wavefront6targetE1EEEvT1_.kd
    .uniform_work_group_size: 1
    .uses_dynamic_stack: false
    .vgpr_count:     0
    .vgpr_spill_count: 0
    .wavefront_size: 64
  - .agpr_count:     0
    .args:
      - .offset:         0
        .size:           96
        .value_kind:     by_value
    .group_segment_fixed_size: 0
    .kernarg_segment_align: 8
    .kernarg_segment_size: 96
    .language:       OpenCL C
    .language_version:
      - 2
      - 0
    .max_flat_workgroup_size: 64
    .name:           _ZN7rocprim17ROCPRIM_400000_NS6detail17trampoline_kernelINS0_14default_configENS1_20scan_config_selectorIjEEZZNS1_9scan_implILNS1_25lookback_scan_determinismE0ELb1ELb1ES3_N6thrust23THRUST_200600_302600_NS6detail15normal_iteratorINS9_10device_ptrIjEEEESE_jNS9_4plusIvEEjEEDaPvRmT3_T4_T5_mT6_P12ihipStream_tbENKUlT_T0_E_clISt17integral_constantIbLb1EEST_IbLb0EEEEDaSP_SQ_EUlSP_E_NS1_11comp_targetILNS1_3genE8ELNS1_11target_archE1030ELNS1_3gpuE2ELNS1_3repE0EEENS1_30default_config_static_selectorELNS0_4arch9wavefront6targetE1EEEvT1_
    .private_segment_fixed_size: 0
    .sgpr_count:     4
    .sgpr_spill_count: 0
    .symbol:         _ZN7rocprim17ROCPRIM_400000_NS6detail17trampoline_kernelINS0_14default_configENS1_20scan_config_selectorIjEEZZNS1_9scan_implILNS1_25lookback_scan_determinismE0ELb1ELb1ES3_N6thrust23THRUST_200600_302600_NS6detail15normal_iteratorINS9_10device_ptrIjEEEESE_jNS9_4plusIvEEjEEDaPvRmT3_T4_T5_mT6_P12ihipStream_tbENKUlT_T0_E_clISt17integral_constantIbLb1EEST_IbLb0EEEEDaSP_SQ_EUlSP_E_NS1_11comp_targetILNS1_3genE8ELNS1_11target_archE1030ELNS1_3gpuE2ELNS1_3repE0EEENS1_30default_config_static_selectorELNS0_4arch9wavefront6targetE1EEEvT1_.kd
    .uniform_work_group_size: 1
    .uses_dynamic_stack: false
    .vgpr_count:     0
    .vgpr_spill_count: 0
    .wavefront_size: 64
  - .agpr_count:     0
    .args:
      - .offset:         0
        .size:           32
        .value_kind:     by_value
    .group_segment_fixed_size: 0
    .kernarg_segment_align: 8
    .kernarg_segment_size: 32
    .language:       OpenCL C
    .language_version:
      - 2
      - 0
    .max_flat_workgroup_size: 256
    .name:           _ZN7rocprim17ROCPRIM_400000_NS6detail17trampoline_kernelINS0_14default_configENS1_20scan_config_selectorIjEEZZNS1_9scan_implILNS1_25lookback_scan_determinismE0ELb1ELb1ES3_N6thrust23THRUST_200600_302600_NS6detail15normal_iteratorINS9_10device_ptrIjEEEESE_jNS9_4plusIvEEjEEDaPvRmT3_T4_T5_mT6_P12ihipStream_tbENKUlT_T0_E_clISt17integral_constantIbLb1EEST_IbLb0EEEEDaSP_SQ_EUlSP_E0_NS1_11comp_targetILNS1_3genE0ELNS1_11target_archE4294967295ELNS1_3gpuE0ELNS1_3repE0EEENS1_30default_config_static_selectorELNS0_4arch9wavefront6targetE1EEEvT1_
    .private_segment_fixed_size: 0
    .sgpr_count:     4
    .sgpr_spill_count: 0
    .symbol:         _ZN7rocprim17ROCPRIM_400000_NS6detail17trampoline_kernelINS0_14default_configENS1_20scan_config_selectorIjEEZZNS1_9scan_implILNS1_25lookback_scan_determinismE0ELb1ELb1ES3_N6thrust23THRUST_200600_302600_NS6detail15normal_iteratorINS9_10device_ptrIjEEEESE_jNS9_4plusIvEEjEEDaPvRmT3_T4_T5_mT6_P12ihipStream_tbENKUlT_T0_E_clISt17integral_constantIbLb1EEST_IbLb0EEEEDaSP_SQ_EUlSP_E0_NS1_11comp_targetILNS1_3genE0ELNS1_11target_archE4294967295ELNS1_3gpuE0ELNS1_3repE0EEENS1_30default_config_static_selectorELNS0_4arch9wavefront6targetE1EEEvT1_.kd
    .uniform_work_group_size: 1
    .uses_dynamic_stack: false
    .vgpr_count:     0
    .vgpr_spill_count: 0
    .wavefront_size: 64
  - .agpr_count:     0
    .args:
      - .offset:         0
        .size:           32
        .value_kind:     by_value
    .group_segment_fixed_size: 0
    .kernarg_segment_align: 8
    .kernarg_segment_size: 32
    .language:       OpenCL C
    .language_version:
      - 2
      - 0
    .max_flat_workgroup_size: 256
    .name:           _ZN7rocprim17ROCPRIM_400000_NS6detail17trampoline_kernelINS0_14default_configENS1_20scan_config_selectorIjEEZZNS1_9scan_implILNS1_25lookback_scan_determinismE0ELb1ELb1ES3_N6thrust23THRUST_200600_302600_NS6detail15normal_iteratorINS9_10device_ptrIjEEEESE_jNS9_4plusIvEEjEEDaPvRmT3_T4_T5_mT6_P12ihipStream_tbENKUlT_T0_E_clISt17integral_constantIbLb1EEST_IbLb0EEEEDaSP_SQ_EUlSP_E0_NS1_11comp_targetILNS1_3genE5ELNS1_11target_archE942ELNS1_3gpuE9ELNS1_3repE0EEENS1_30default_config_static_selectorELNS0_4arch9wavefront6targetE1EEEvT1_
    .private_segment_fixed_size: 0
    .sgpr_count:     4
    .sgpr_spill_count: 0
    .symbol:         _ZN7rocprim17ROCPRIM_400000_NS6detail17trampoline_kernelINS0_14default_configENS1_20scan_config_selectorIjEEZZNS1_9scan_implILNS1_25lookback_scan_determinismE0ELb1ELb1ES3_N6thrust23THRUST_200600_302600_NS6detail15normal_iteratorINS9_10device_ptrIjEEEESE_jNS9_4plusIvEEjEEDaPvRmT3_T4_T5_mT6_P12ihipStream_tbENKUlT_T0_E_clISt17integral_constantIbLb1EEST_IbLb0EEEEDaSP_SQ_EUlSP_E0_NS1_11comp_targetILNS1_3genE5ELNS1_11target_archE942ELNS1_3gpuE9ELNS1_3repE0EEENS1_30default_config_static_selectorELNS0_4arch9wavefront6targetE1EEEvT1_.kd
    .uniform_work_group_size: 1
    .uses_dynamic_stack: false
    .vgpr_count:     0
    .vgpr_spill_count: 0
    .wavefront_size: 64
  - .agpr_count:     0
    .args:
      - .offset:         0
        .size:           32
        .value_kind:     by_value
    .group_segment_fixed_size: 5120
    .kernarg_segment_align: 8
    .kernarg_segment_size: 32
    .language:       OpenCL C
    .language_version:
      - 2
      - 0
    .max_flat_workgroup_size: 128
    .name:           _ZN7rocprim17ROCPRIM_400000_NS6detail17trampoline_kernelINS0_14default_configENS1_20scan_config_selectorIjEEZZNS1_9scan_implILNS1_25lookback_scan_determinismE0ELb1ELb1ES3_N6thrust23THRUST_200600_302600_NS6detail15normal_iteratorINS9_10device_ptrIjEEEESE_jNS9_4plusIvEEjEEDaPvRmT3_T4_T5_mT6_P12ihipStream_tbENKUlT_T0_E_clISt17integral_constantIbLb1EEST_IbLb0EEEEDaSP_SQ_EUlSP_E0_NS1_11comp_targetILNS1_3genE4ELNS1_11target_archE910ELNS1_3gpuE8ELNS1_3repE0EEENS1_30default_config_static_selectorELNS0_4arch9wavefront6targetE1EEEvT1_
    .private_segment_fixed_size: 0
    .sgpr_count:     29
    .sgpr_spill_count: 0
    .symbol:         _ZN7rocprim17ROCPRIM_400000_NS6detail17trampoline_kernelINS0_14default_configENS1_20scan_config_selectorIjEEZZNS1_9scan_implILNS1_25lookback_scan_determinismE0ELb1ELb1ES3_N6thrust23THRUST_200600_302600_NS6detail15normal_iteratorINS9_10device_ptrIjEEEESE_jNS9_4plusIvEEjEEDaPvRmT3_T4_T5_mT6_P12ihipStream_tbENKUlT_T0_E_clISt17integral_constantIbLb1EEST_IbLb0EEEEDaSP_SQ_EUlSP_E0_NS1_11comp_targetILNS1_3genE4ELNS1_11target_archE910ELNS1_3gpuE8ELNS1_3repE0EEENS1_30default_config_static_selectorELNS0_4arch9wavefront6targetE1EEEvT1_.kd
    .uniform_work_group_size: 1
    .uses_dynamic_stack: false
    .vgpr_count:     18
    .vgpr_spill_count: 0
    .wavefront_size: 64
  - .agpr_count:     0
    .args:
      - .offset:         0
        .size:           32
        .value_kind:     by_value
    .group_segment_fixed_size: 0
    .kernarg_segment_align: 8
    .kernarg_segment_size: 32
    .language:       OpenCL C
    .language_version:
      - 2
      - 0
    .max_flat_workgroup_size: 256
    .name:           _ZN7rocprim17ROCPRIM_400000_NS6detail17trampoline_kernelINS0_14default_configENS1_20scan_config_selectorIjEEZZNS1_9scan_implILNS1_25lookback_scan_determinismE0ELb1ELb1ES3_N6thrust23THRUST_200600_302600_NS6detail15normal_iteratorINS9_10device_ptrIjEEEESE_jNS9_4plusIvEEjEEDaPvRmT3_T4_T5_mT6_P12ihipStream_tbENKUlT_T0_E_clISt17integral_constantIbLb1EEST_IbLb0EEEEDaSP_SQ_EUlSP_E0_NS1_11comp_targetILNS1_3genE3ELNS1_11target_archE908ELNS1_3gpuE7ELNS1_3repE0EEENS1_30default_config_static_selectorELNS0_4arch9wavefront6targetE1EEEvT1_
    .private_segment_fixed_size: 0
    .sgpr_count:     4
    .sgpr_spill_count: 0
    .symbol:         _ZN7rocprim17ROCPRIM_400000_NS6detail17trampoline_kernelINS0_14default_configENS1_20scan_config_selectorIjEEZZNS1_9scan_implILNS1_25lookback_scan_determinismE0ELb1ELb1ES3_N6thrust23THRUST_200600_302600_NS6detail15normal_iteratorINS9_10device_ptrIjEEEESE_jNS9_4plusIvEEjEEDaPvRmT3_T4_T5_mT6_P12ihipStream_tbENKUlT_T0_E_clISt17integral_constantIbLb1EEST_IbLb0EEEEDaSP_SQ_EUlSP_E0_NS1_11comp_targetILNS1_3genE3ELNS1_11target_archE908ELNS1_3gpuE7ELNS1_3repE0EEENS1_30default_config_static_selectorELNS0_4arch9wavefront6targetE1EEEvT1_.kd
    .uniform_work_group_size: 1
    .uses_dynamic_stack: false
    .vgpr_count:     0
    .vgpr_spill_count: 0
    .wavefront_size: 64
  - .agpr_count:     0
    .args:
      - .offset:         0
        .size:           32
        .value_kind:     by_value
    .group_segment_fixed_size: 0
    .kernarg_segment_align: 8
    .kernarg_segment_size: 32
    .language:       OpenCL C
    .language_version:
      - 2
      - 0
    .max_flat_workgroup_size: 256
    .name:           _ZN7rocprim17ROCPRIM_400000_NS6detail17trampoline_kernelINS0_14default_configENS1_20scan_config_selectorIjEEZZNS1_9scan_implILNS1_25lookback_scan_determinismE0ELb1ELb1ES3_N6thrust23THRUST_200600_302600_NS6detail15normal_iteratorINS9_10device_ptrIjEEEESE_jNS9_4plusIvEEjEEDaPvRmT3_T4_T5_mT6_P12ihipStream_tbENKUlT_T0_E_clISt17integral_constantIbLb1EEST_IbLb0EEEEDaSP_SQ_EUlSP_E0_NS1_11comp_targetILNS1_3genE2ELNS1_11target_archE906ELNS1_3gpuE6ELNS1_3repE0EEENS1_30default_config_static_selectorELNS0_4arch9wavefront6targetE1EEEvT1_
    .private_segment_fixed_size: 0
    .sgpr_count:     4
    .sgpr_spill_count: 0
    .symbol:         _ZN7rocprim17ROCPRIM_400000_NS6detail17trampoline_kernelINS0_14default_configENS1_20scan_config_selectorIjEEZZNS1_9scan_implILNS1_25lookback_scan_determinismE0ELb1ELb1ES3_N6thrust23THRUST_200600_302600_NS6detail15normal_iteratorINS9_10device_ptrIjEEEESE_jNS9_4plusIvEEjEEDaPvRmT3_T4_T5_mT6_P12ihipStream_tbENKUlT_T0_E_clISt17integral_constantIbLb1EEST_IbLb0EEEEDaSP_SQ_EUlSP_E0_NS1_11comp_targetILNS1_3genE2ELNS1_11target_archE906ELNS1_3gpuE6ELNS1_3repE0EEENS1_30default_config_static_selectorELNS0_4arch9wavefront6targetE1EEEvT1_.kd
    .uniform_work_group_size: 1
    .uses_dynamic_stack: false
    .vgpr_count:     0
    .vgpr_spill_count: 0
    .wavefront_size: 64
  - .agpr_count:     0
    .args:
      - .offset:         0
        .size:           32
        .value_kind:     by_value
    .group_segment_fixed_size: 0
    .kernarg_segment_align: 8
    .kernarg_segment_size: 32
    .language:       OpenCL C
    .language_version:
      - 2
      - 0
    .max_flat_workgroup_size: 256
    .name:           _ZN7rocprim17ROCPRIM_400000_NS6detail17trampoline_kernelINS0_14default_configENS1_20scan_config_selectorIjEEZZNS1_9scan_implILNS1_25lookback_scan_determinismE0ELb1ELb1ES3_N6thrust23THRUST_200600_302600_NS6detail15normal_iteratorINS9_10device_ptrIjEEEESE_jNS9_4plusIvEEjEEDaPvRmT3_T4_T5_mT6_P12ihipStream_tbENKUlT_T0_E_clISt17integral_constantIbLb1EEST_IbLb0EEEEDaSP_SQ_EUlSP_E0_NS1_11comp_targetILNS1_3genE10ELNS1_11target_archE1201ELNS1_3gpuE5ELNS1_3repE0EEENS1_30default_config_static_selectorELNS0_4arch9wavefront6targetE1EEEvT1_
    .private_segment_fixed_size: 0
    .sgpr_count:     4
    .sgpr_spill_count: 0
    .symbol:         _ZN7rocprim17ROCPRIM_400000_NS6detail17trampoline_kernelINS0_14default_configENS1_20scan_config_selectorIjEEZZNS1_9scan_implILNS1_25lookback_scan_determinismE0ELb1ELb1ES3_N6thrust23THRUST_200600_302600_NS6detail15normal_iteratorINS9_10device_ptrIjEEEESE_jNS9_4plusIvEEjEEDaPvRmT3_T4_T5_mT6_P12ihipStream_tbENKUlT_T0_E_clISt17integral_constantIbLb1EEST_IbLb0EEEEDaSP_SQ_EUlSP_E0_NS1_11comp_targetILNS1_3genE10ELNS1_11target_archE1201ELNS1_3gpuE5ELNS1_3repE0EEENS1_30default_config_static_selectorELNS0_4arch9wavefront6targetE1EEEvT1_.kd
    .uniform_work_group_size: 1
    .uses_dynamic_stack: false
    .vgpr_count:     0
    .vgpr_spill_count: 0
    .wavefront_size: 64
  - .agpr_count:     0
    .args:
      - .offset:         0
        .size:           32
        .value_kind:     by_value
    .group_segment_fixed_size: 0
    .kernarg_segment_align: 8
    .kernarg_segment_size: 32
    .language:       OpenCL C
    .language_version:
      - 2
      - 0
    .max_flat_workgroup_size: 256
    .name:           _ZN7rocprim17ROCPRIM_400000_NS6detail17trampoline_kernelINS0_14default_configENS1_20scan_config_selectorIjEEZZNS1_9scan_implILNS1_25lookback_scan_determinismE0ELb1ELb1ES3_N6thrust23THRUST_200600_302600_NS6detail15normal_iteratorINS9_10device_ptrIjEEEESE_jNS9_4plusIvEEjEEDaPvRmT3_T4_T5_mT6_P12ihipStream_tbENKUlT_T0_E_clISt17integral_constantIbLb1EEST_IbLb0EEEEDaSP_SQ_EUlSP_E0_NS1_11comp_targetILNS1_3genE10ELNS1_11target_archE1200ELNS1_3gpuE4ELNS1_3repE0EEENS1_30default_config_static_selectorELNS0_4arch9wavefront6targetE1EEEvT1_
    .private_segment_fixed_size: 0
    .sgpr_count:     4
    .sgpr_spill_count: 0
    .symbol:         _ZN7rocprim17ROCPRIM_400000_NS6detail17trampoline_kernelINS0_14default_configENS1_20scan_config_selectorIjEEZZNS1_9scan_implILNS1_25lookback_scan_determinismE0ELb1ELb1ES3_N6thrust23THRUST_200600_302600_NS6detail15normal_iteratorINS9_10device_ptrIjEEEESE_jNS9_4plusIvEEjEEDaPvRmT3_T4_T5_mT6_P12ihipStream_tbENKUlT_T0_E_clISt17integral_constantIbLb1EEST_IbLb0EEEEDaSP_SQ_EUlSP_E0_NS1_11comp_targetILNS1_3genE10ELNS1_11target_archE1200ELNS1_3gpuE4ELNS1_3repE0EEENS1_30default_config_static_selectorELNS0_4arch9wavefront6targetE1EEEvT1_.kd
    .uniform_work_group_size: 1
    .uses_dynamic_stack: false
    .vgpr_count:     0
    .vgpr_spill_count: 0
    .wavefront_size: 64
  - .agpr_count:     0
    .args:
      - .offset:         0
        .size:           32
        .value_kind:     by_value
    .group_segment_fixed_size: 0
    .kernarg_segment_align: 8
    .kernarg_segment_size: 32
    .language:       OpenCL C
    .language_version:
      - 2
      - 0
    .max_flat_workgroup_size: 256
    .name:           _ZN7rocprim17ROCPRIM_400000_NS6detail17trampoline_kernelINS0_14default_configENS1_20scan_config_selectorIjEEZZNS1_9scan_implILNS1_25lookback_scan_determinismE0ELb1ELb1ES3_N6thrust23THRUST_200600_302600_NS6detail15normal_iteratorINS9_10device_ptrIjEEEESE_jNS9_4plusIvEEjEEDaPvRmT3_T4_T5_mT6_P12ihipStream_tbENKUlT_T0_E_clISt17integral_constantIbLb1EEST_IbLb0EEEEDaSP_SQ_EUlSP_E0_NS1_11comp_targetILNS1_3genE9ELNS1_11target_archE1100ELNS1_3gpuE3ELNS1_3repE0EEENS1_30default_config_static_selectorELNS0_4arch9wavefront6targetE1EEEvT1_
    .private_segment_fixed_size: 0
    .sgpr_count:     4
    .sgpr_spill_count: 0
    .symbol:         _ZN7rocprim17ROCPRIM_400000_NS6detail17trampoline_kernelINS0_14default_configENS1_20scan_config_selectorIjEEZZNS1_9scan_implILNS1_25lookback_scan_determinismE0ELb1ELb1ES3_N6thrust23THRUST_200600_302600_NS6detail15normal_iteratorINS9_10device_ptrIjEEEESE_jNS9_4plusIvEEjEEDaPvRmT3_T4_T5_mT6_P12ihipStream_tbENKUlT_T0_E_clISt17integral_constantIbLb1EEST_IbLb0EEEEDaSP_SQ_EUlSP_E0_NS1_11comp_targetILNS1_3genE9ELNS1_11target_archE1100ELNS1_3gpuE3ELNS1_3repE0EEENS1_30default_config_static_selectorELNS0_4arch9wavefront6targetE1EEEvT1_.kd
    .uniform_work_group_size: 1
    .uses_dynamic_stack: false
    .vgpr_count:     0
    .vgpr_spill_count: 0
    .wavefront_size: 64
  - .agpr_count:     0
    .args:
      - .offset:         0
        .size:           32
        .value_kind:     by_value
    .group_segment_fixed_size: 0
    .kernarg_segment_align: 8
    .kernarg_segment_size: 32
    .language:       OpenCL C
    .language_version:
      - 2
      - 0
    .max_flat_workgroup_size: 64
    .name:           _ZN7rocprim17ROCPRIM_400000_NS6detail17trampoline_kernelINS0_14default_configENS1_20scan_config_selectorIjEEZZNS1_9scan_implILNS1_25lookback_scan_determinismE0ELb1ELb1ES3_N6thrust23THRUST_200600_302600_NS6detail15normal_iteratorINS9_10device_ptrIjEEEESE_jNS9_4plusIvEEjEEDaPvRmT3_T4_T5_mT6_P12ihipStream_tbENKUlT_T0_E_clISt17integral_constantIbLb1EEST_IbLb0EEEEDaSP_SQ_EUlSP_E0_NS1_11comp_targetILNS1_3genE8ELNS1_11target_archE1030ELNS1_3gpuE2ELNS1_3repE0EEENS1_30default_config_static_selectorELNS0_4arch9wavefront6targetE1EEEvT1_
    .private_segment_fixed_size: 0
    .sgpr_count:     4
    .sgpr_spill_count: 0
    .symbol:         _ZN7rocprim17ROCPRIM_400000_NS6detail17trampoline_kernelINS0_14default_configENS1_20scan_config_selectorIjEEZZNS1_9scan_implILNS1_25lookback_scan_determinismE0ELb1ELb1ES3_N6thrust23THRUST_200600_302600_NS6detail15normal_iteratorINS9_10device_ptrIjEEEESE_jNS9_4plusIvEEjEEDaPvRmT3_T4_T5_mT6_P12ihipStream_tbENKUlT_T0_E_clISt17integral_constantIbLb1EEST_IbLb0EEEEDaSP_SQ_EUlSP_E0_NS1_11comp_targetILNS1_3genE8ELNS1_11target_archE1030ELNS1_3gpuE2ELNS1_3repE0EEENS1_30default_config_static_selectorELNS0_4arch9wavefront6targetE1EEEvT1_.kd
    .uniform_work_group_size: 1
    .uses_dynamic_stack: false
    .vgpr_count:     0
    .vgpr_spill_count: 0
    .wavefront_size: 64
  - .agpr_count:     0
    .args:
      - .offset:         0
        .size:           96
        .value_kind:     by_value
    .group_segment_fixed_size: 0
    .kernarg_segment_align: 8
    .kernarg_segment_size: 96
    .language:       OpenCL C
    .language_version:
      - 2
      - 0
    .max_flat_workgroup_size: 256
    .name:           _ZN7rocprim17ROCPRIM_400000_NS6detail17trampoline_kernelINS0_14default_configENS1_20scan_config_selectorIjEEZZNS1_9scan_implILNS1_25lookback_scan_determinismE0ELb1ELb1ES3_N6thrust23THRUST_200600_302600_NS6detail15normal_iteratorINS9_10device_ptrIjEEEESE_jNS9_4plusIvEEjEEDaPvRmT3_T4_T5_mT6_P12ihipStream_tbENKUlT_T0_E_clISt17integral_constantIbLb0EEST_IbLb1EEEEDaSP_SQ_EUlSP_E_NS1_11comp_targetILNS1_3genE0ELNS1_11target_archE4294967295ELNS1_3gpuE0ELNS1_3repE0EEENS1_30default_config_static_selectorELNS0_4arch9wavefront6targetE1EEEvT1_
    .private_segment_fixed_size: 0
    .sgpr_count:     4
    .sgpr_spill_count: 0
    .symbol:         _ZN7rocprim17ROCPRIM_400000_NS6detail17trampoline_kernelINS0_14default_configENS1_20scan_config_selectorIjEEZZNS1_9scan_implILNS1_25lookback_scan_determinismE0ELb1ELb1ES3_N6thrust23THRUST_200600_302600_NS6detail15normal_iteratorINS9_10device_ptrIjEEEESE_jNS9_4plusIvEEjEEDaPvRmT3_T4_T5_mT6_P12ihipStream_tbENKUlT_T0_E_clISt17integral_constantIbLb0EEST_IbLb1EEEEDaSP_SQ_EUlSP_E_NS1_11comp_targetILNS1_3genE0ELNS1_11target_archE4294967295ELNS1_3gpuE0ELNS1_3repE0EEENS1_30default_config_static_selectorELNS0_4arch9wavefront6targetE1EEEvT1_.kd
    .uniform_work_group_size: 1
    .uses_dynamic_stack: false
    .vgpr_count:     0
    .vgpr_spill_count: 0
    .wavefront_size: 64
  - .agpr_count:     0
    .args:
      - .offset:         0
        .size:           96
        .value_kind:     by_value
    .group_segment_fixed_size: 0
    .kernarg_segment_align: 8
    .kernarg_segment_size: 96
    .language:       OpenCL C
    .language_version:
      - 2
      - 0
    .max_flat_workgroup_size: 256
    .name:           _ZN7rocprim17ROCPRIM_400000_NS6detail17trampoline_kernelINS0_14default_configENS1_20scan_config_selectorIjEEZZNS1_9scan_implILNS1_25lookback_scan_determinismE0ELb1ELb1ES3_N6thrust23THRUST_200600_302600_NS6detail15normal_iteratorINS9_10device_ptrIjEEEESE_jNS9_4plusIvEEjEEDaPvRmT3_T4_T5_mT6_P12ihipStream_tbENKUlT_T0_E_clISt17integral_constantIbLb0EEST_IbLb1EEEEDaSP_SQ_EUlSP_E_NS1_11comp_targetILNS1_3genE5ELNS1_11target_archE942ELNS1_3gpuE9ELNS1_3repE0EEENS1_30default_config_static_selectorELNS0_4arch9wavefront6targetE1EEEvT1_
    .private_segment_fixed_size: 0
    .sgpr_count:     4
    .sgpr_spill_count: 0
    .symbol:         _ZN7rocprim17ROCPRIM_400000_NS6detail17trampoline_kernelINS0_14default_configENS1_20scan_config_selectorIjEEZZNS1_9scan_implILNS1_25lookback_scan_determinismE0ELb1ELb1ES3_N6thrust23THRUST_200600_302600_NS6detail15normal_iteratorINS9_10device_ptrIjEEEESE_jNS9_4plusIvEEjEEDaPvRmT3_T4_T5_mT6_P12ihipStream_tbENKUlT_T0_E_clISt17integral_constantIbLb0EEST_IbLb1EEEEDaSP_SQ_EUlSP_E_NS1_11comp_targetILNS1_3genE5ELNS1_11target_archE942ELNS1_3gpuE9ELNS1_3repE0EEENS1_30default_config_static_selectorELNS0_4arch9wavefront6targetE1EEEvT1_.kd
    .uniform_work_group_size: 1
    .uses_dynamic_stack: false
    .vgpr_count:     0
    .vgpr_spill_count: 0
    .wavefront_size: 64
  - .agpr_count:     0
    .args:
      - .offset:         0
        .size:           96
        .value_kind:     by_value
    .group_segment_fixed_size: 5120
    .kernarg_segment_align: 8
    .kernarg_segment_size: 96
    .language:       OpenCL C
    .language_version:
      - 2
      - 0
    .max_flat_workgroup_size: 128
    .name:           _ZN7rocprim17ROCPRIM_400000_NS6detail17trampoline_kernelINS0_14default_configENS1_20scan_config_selectorIjEEZZNS1_9scan_implILNS1_25lookback_scan_determinismE0ELb1ELb1ES3_N6thrust23THRUST_200600_302600_NS6detail15normal_iteratorINS9_10device_ptrIjEEEESE_jNS9_4plusIvEEjEEDaPvRmT3_T4_T5_mT6_P12ihipStream_tbENKUlT_T0_E_clISt17integral_constantIbLb0EEST_IbLb1EEEEDaSP_SQ_EUlSP_E_NS1_11comp_targetILNS1_3genE4ELNS1_11target_archE910ELNS1_3gpuE8ELNS1_3repE0EEENS1_30default_config_static_selectorELNS0_4arch9wavefront6targetE1EEEvT1_
    .private_segment_fixed_size: 0
    .sgpr_count:     44
    .sgpr_spill_count: 0
    .symbol:         _ZN7rocprim17ROCPRIM_400000_NS6detail17trampoline_kernelINS0_14default_configENS1_20scan_config_selectorIjEEZZNS1_9scan_implILNS1_25lookback_scan_determinismE0ELb1ELb1ES3_N6thrust23THRUST_200600_302600_NS6detail15normal_iteratorINS9_10device_ptrIjEEEESE_jNS9_4plusIvEEjEEDaPvRmT3_T4_T5_mT6_P12ihipStream_tbENKUlT_T0_E_clISt17integral_constantIbLb0EEST_IbLb1EEEEDaSP_SQ_EUlSP_E_NS1_11comp_targetILNS1_3genE4ELNS1_11target_archE910ELNS1_3gpuE8ELNS1_3repE0EEENS1_30default_config_static_selectorELNS0_4arch9wavefront6targetE1EEEvT1_.kd
    .uniform_work_group_size: 1
    .uses_dynamic_stack: false
    .vgpr_count:     41
    .vgpr_spill_count: 0
    .wavefront_size: 64
  - .agpr_count:     0
    .args:
      - .offset:         0
        .size:           96
        .value_kind:     by_value
    .group_segment_fixed_size: 0
    .kernarg_segment_align: 8
    .kernarg_segment_size: 96
    .language:       OpenCL C
    .language_version:
      - 2
      - 0
    .max_flat_workgroup_size: 256
    .name:           _ZN7rocprim17ROCPRIM_400000_NS6detail17trampoline_kernelINS0_14default_configENS1_20scan_config_selectorIjEEZZNS1_9scan_implILNS1_25lookback_scan_determinismE0ELb1ELb1ES3_N6thrust23THRUST_200600_302600_NS6detail15normal_iteratorINS9_10device_ptrIjEEEESE_jNS9_4plusIvEEjEEDaPvRmT3_T4_T5_mT6_P12ihipStream_tbENKUlT_T0_E_clISt17integral_constantIbLb0EEST_IbLb1EEEEDaSP_SQ_EUlSP_E_NS1_11comp_targetILNS1_3genE3ELNS1_11target_archE908ELNS1_3gpuE7ELNS1_3repE0EEENS1_30default_config_static_selectorELNS0_4arch9wavefront6targetE1EEEvT1_
    .private_segment_fixed_size: 0
    .sgpr_count:     4
    .sgpr_spill_count: 0
    .symbol:         _ZN7rocprim17ROCPRIM_400000_NS6detail17trampoline_kernelINS0_14default_configENS1_20scan_config_selectorIjEEZZNS1_9scan_implILNS1_25lookback_scan_determinismE0ELb1ELb1ES3_N6thrust23THRUST_200600_302600_NS6detail15normal_iteratorINS9_10device_ptrIjEEEESE_jNS9_4plusIvEEjEEDaPvRmT3_T4_T5_mT6_P12ihipStream_tbENKUlT_T0_E_clISt17integral_constantIbLb0EEST_IbLb1EEEEDaSP_SQ_EUlSP_E_NS1_11comp_targetILNS1_3genE3ELNS1_11target_archE908ELNS1_3gpuE7ELNS1_3repE0EEENS1_30default_config_static_selectorELNS0_4arch9wavefront6targetE1EEEvT1_.kd
    .uniform_work_group_size: 1
    .uses_dynamic_stack: false
    .vgpr_count:     0
    .vgpr_spill_count: 0
    .wavefront_size: 64
  - .agpr_count:     0
    .args:
      - .offset:         0
        .size:           96
        .value_kind:     by_value
    .group_segment_fixed_size: 0
    .kernarg_segment_align: 8
    .kernarg_segment_size: 96
    .language:       OpenCL C
    .language_version:
      - 2
      - 0
    .max_flat_workgroup_size: 256
    .name:           _ZN7rocprim17ROCPRIM_400000_NS6detail17trampoline_kernelINS0_14default_configENS1_20scan_config_selectorIjEEZZNS1_9scan_implILNS1_25lookback_scan_determinismE0ELb1ELb1ES3_N6thrust23THRUST_200600_302600_NS6detail15normal_iteratorINS9_10device_ptrIjEEEESE_jNS9_4plusIvEEjEEDaPvRmT3_T4_T5_mT6_P12ihipStream_tbENKUlT_T0_E_clISt17integral_constantIbLb0EEST_IbLb1EEEEDaSP_SQ_EUlSP_E_NS1_11comp_targetILNS1_3genE2ELNS1_11target_archE906ELNS1_3gpuE6ELNS1_3repE0EEENS1_30default_config_static_selectorELNS0_4arch9wavefront6targetE1EEEvT1_
    .private_segment_fixed_size: 0
    .sgpr_count:     4
    .sgpr_spill_count: 0
    .symbol:         _ZN7rocprim17ROCPRIM_400000_NS6detail17trampoline_kernelINS0_14default_configENS1_20scan_config_selectorIjEEZZNS1_9scan_implILNS1_25lookback_scan_determinismE0ELb1ELb1ES3_N6thrust23THRUST_200600_302600_NS6detail15normal_iteratorINS9_10device_ptrIjEEEESE_jNS9_4plusIvEEjEEDaPvRmT3_T4_T5_mT6_P12ihipStream_tbENKUlT_T0_E_clISt17integral_constantIbLb0EEST_IbLb1EEEEDaSP_SQ_EUlSP_E_NS1_11comp_targetILNS1_3genE2ELNS1_11target_archE906ELNS1_3gpuE6ELNS1_3repE0EEENS1_30default_config_static_selectorELNS0_4arch9wavefront6targetE1EEEvT1_.kd
    .uniform_work_group_size: 1
    .uses_dynamic_stack: false
    .vgpr_count:     0
    .vgpr_spill_count: 0
    .wavefront_size: 64
  - .agpr_count:     0
    .args:
      - .offset:         0
        .size:           96
        .value_kind:     by_value
    .group_segment_fixed_size: 0
    .kernarg_segment_align: 8
    .kernarg_segment_size: 96
    .language:       OpenCL C
    .language_version:
      - 2
      - 0
    .max_flat_workgroup_size: 256
    .name:           _ZN7rocprim17ROCPRIM_400000_NS6detail17trampoline_kernelINS0_14default_configENS1_20scan_config_selectorIjEEZZNS1_9scan_implILNS1_25lookback_scan_determinismE0ELb1ELb1ES3_N6thrust23THRUST_200600_302600_NS6detail15normal_iteratorINS9_10device_ptrIjEEEESE_jNS9_4plusIvEEjEEDaPvRmT3_T4_T5_mT6_P12ihipStream_tbENKUlT_T0_E_clISt17integral_constantIbLb0EEST_IbLb1EEEEDaSP_SQ_EUlSP_E_NS1_11comp_targetILNS1_3genE10ELNS1_11target_archE1201ELNS1_3gpuE5ELNS1_3repE0EEENS1_30default_config_static_selectorELNS0_4arch9wavefront6targetE1EEEvT1_
    .private_segment_fixed_size: 0
    .sgpr_count:     4
    .sgpr_spill_count: 0
    .symbol:         _ZN7rocprim17ROCPRIM_400000_NS6detail17trampoline_kernelINS0_14default_configENS1_20scan_config_selectorIjEEZZNS1_9scan_implILNS1_25lookback_scan_determinismE0ELb1ELb1ES3_N6thrust23THRUST_200600_302600_NS6detail15normal_iteratorINS9_10device_ptrIjEEEESE_jNS9_4plusIvEEjEEDaPvRmT3_T4_T5_mT6_P12ihipStream_tbENKUlT_T0_E_clISt17integral_constantIbLb0EEST_IbLb1EEEEDaSP_SQ_EUlSP_E_NS1_11comp_targetILNS1_3genE10ELNS1_11target_archE1201ELNS1_3gpuE5ELNS1_3repE0EEENS1_30default_config_static_selectorELNS0_4arch9wavefront6targetE1EEEvT1_.kd
    .uniform_work_group_size: 1
    .uses_dynamic_stack: false
    .vgpr_count:     0
    .vgpr_spill_count: 0
    .wavefront_size: 64
  - .agpr_count:     0
    .args:
      - .offset:         0
        .size:           96
        .value_kind:     by_value
    .group_segment_fixed_size: 0
    .kernarg_segment_align: 8
    .kernarg_segment_size: 96
    .language:       OpenCL C
    .language_version:
      - 2
      - 0
    .max_flat_workgroup_size: 256
    .name:           _ZN7rocprim17ROCPRIM_400000_NS6detail17trampoline_kernelINS0_14default_configENS1_20scan_config_selectorIjEEZZNS1_9scan_implILNS1_25lookback_scan_determinismE0ELb1ELb1ES3_N6thrust23THRUST_200600_302600_NS6detail15normal_iteratorINS9_10device_ptrIjEEEESE_jNS9_4plusIvEEjEEDaPvRmT3_T4_T5_mT6_P12ihipStream_tbENKUlT_T0_E_clISt17integral_constantIbLb0EEST_IbLb1EEEEDaSP_SQ_EUlSP_E_NS1_11comp_targetILNS1_3genE10ELNS1_11target_archE1200ELNS1_3gpuE4ELNS1_3repE0EEENS1_30default_config_static_selectorELNS0_4arch9wavefront6targetE1EEEvT1_
    .private_segment_fixed_size: 0
    .sgpr_count:     4
    .sgpr_spill_count: 0
    .symbol:         _ZN7rocprim17ROCPRIM_400000_NS6detail17trampoline_kernelINS0_14default_configENS1_20scan_config_selectorIjEEZZNS1_9scan_implILNS1_25lookback_scan_determinismE0ELb1ELb1ES3_N6thrust23THRUST_200600_302600_NS6detail15normal_iteratorINS9_10device_ptrIjEEEESE_jNS9_4plusIvEEjEEDaPvRmT3_T4_T5_mT6_P12ihipStream_tbENKUlT_T0_E_clISt17integral_constantIbLb0EEST_IbLb1EEEEDaSP_SQ_EUlSP_E_NS1_11comp_targetILNS1_3genE10ELNS1_11target_archE1200ELNS1_3gpuE4ELNS1_3repE0EEENS1_30default_config_static_selectorELNS0_4arch9wavefront6targetE1EEEvT1_.kd
    .uniform_work_group_size: 1
    .uses_dynamic_stack: false
    .vgpr_count:     0
    .vgpr_spill_count: 0
    .wavefront_size: 64
  - .agpr_count:     0
    .args:
      - .offset:         0
        .size:           96
        .value_kind:     by_value
    .group_segment_fixed_size: 0
    .kernarg_segment_align: 8
    .kernarg_segment_size: 96
    .language:       OpenCL C
    .language_version:
      - 2
      - 0
    .max_flat_workgroup_size: 256
    .name:           _ZN7rocprim17ROCPRIM_400000_NS6detail17trampoline_kernelINS0_14default_configENS1_20scan_config_selectorIjEEZZNS1_9scan_implILNS1_25lookback_scan_determinismE0ELb1ELb1ES3_N6thrust23THRUST_200600_302600_NS6detail15normal_iteratorINS9_10device_ptrIjEEEESE_jNS9_4plusIvEEjEEDaPvRmT3_T4_T5_mT6_P12ihipStream_tbENKUlT_T0_E_clISt17integral_constantIbLb0EEST_IbLb1EEEEDaSP_SQ_EUlSP_E_NS1_11comp_targetILNS1_3genE9ELNS1_11target_archE1100ELNS1_3gpuE3ELNS1_3repE0EEENS1_30default_config_static_selectorELNS0_4arch9wavefront6targetE1EEEvT1_
    .private_segment_fixed_size: 0
    .sgpr_count:     4
    .sgpr_spill_count: 0
    .symbol:         _ZN7rocprim17ROCPRIM_400000_NS6detail17trampoline_kernelINS0_14default_configENS1_20scan_config_selectorIjEEZZNS1_9scan_implILNS1_25lookback_scan_determinismE0ELb1ELb1ES3_N6thrust23THRUST_200600_302600_NS6detail15normal_iteratorINS9_10device_ptrIjEEEESE_jNS9_4plusIvEEjEEDaPvRmT3_T4_T5_mT6_P12ihipStream_tbENKUlT_T0_E_clISt17integral_constantIbLb0EEST_IbLb1EEEEDaSP_SQ_EUlSP_E_NS1_11comp_targetILNS1_3genE9ELNS1_11target_archE1100ELNS1_3gpuE3ELNS1_3repE0EEENS1_30default_config_static_selectorELNS0_4arch9wavefront6targetE1EEEvT1_.kd
    .uniform_work_group_size: 1
    .uses_dynamic_stack: false
    .vgpr_count:     0
    .vgpr_spill_count: 0
    .wavefront_size: 64
  - .agpr_count:     0
    .args:
      - .offset:         0
        .size:           96
        .value_kind:     by_value
    .group_segment_fixed_size: 0
    .kernarg_segment_align: 8
    .kernarg_segment_size: 96
    .language:       OpenCL C
    .language_version:
      - 2
      - 0
    .max_flat_workgroup_size: 64
    .name:           _ZN7rocprim17ROCPRIM_400000_NS6detail17trampoline_kernelINS0_14default_configENS1_20scan_config_selectorIjEEZZNS1_9scan_implILNS1_25lookback_scan_determinismE0ELb1ELb1ES3_N6thrust23THRUST_200600_302600_NS6detail15normal_iteratorINS9_10device_ptrIjEEEESE_jNS9_4plusIvEEjEEDaPvRmT3_T4_T5_mT6_P12ihipStream_tbENKUlT_T0_E_clISt17integral_constantIbLb0EEST_IbLb1EEEEDaSP_SQ_EUlSP_E_NS1_11comp_targetILNS1_3genE8ELNS1_11target_archE1030ELNS1_3gpuE2ELNS1_3repE0EEENS1_30default_config_static_selectorELNS0_4arch9wavefront6targetE1EEEvT1_
    .private_segment_fixed_size: 0
    .sgpr_count:     4
    .sgpr_spill_count: 0
    .symbol:         _ZN7rocprim17ROCPRIM_400000_NS6detail17trampoline_kernelINS0_14default_configENS1_20scan_config_selectorIjEEZZNS1_9scan_implILNS1_25lookback_scan_determinismE0ELb1ELb1ES3_N6thrust23THRUST_200600_302600_NS6detail15normal_iteratorINS9_10device_ptrIjEEEESE_jNS9_4plusIvEEjEEDaPvRmT3_T4_T5_mT6_P12ihipStream_tbENKUlT_T0_E_clISt17integral_constantIbLb0EEST_IbLb1EEEEDaSP_SQ_EUlSP_E_NS1_11comp_targetILNS1_3genE8ELNS1_11target_archE1030ELNS1_3gpuE2ELNS1_3repE0EEENS1_30default_config_static_selectorELNS0_4arch9wavefront6targetE1EEEvT1_.kd
    .uniform_work_group_size: 1
    .uses_dynamic_stack: false
    .vgpr_count:     0
    .vgpr_spill_count: 0
    .wavefront_size: 64
  - .agpr_count:     0
    .args:
      - .offset:         0
        .size:           32
        .value_kind:     by_value
    .group_segment_fixed_size: 0
    .kernarg_segment_align: 8
    .kernarg_segment_size: 32
    .language:       OpenCL C
    .language_version:
      - 2
      - 0
    .max_flat_workgroup_size: 256
    .name:           _ZN7rocprim17ROCPRIM_400000_NS6detail17trampoline_kernelINS0_14default_configENS1_20scan_config_selectorIjEEZZNS1_9scan_implILNS1_25lookback_scan_determinismE0ELb1ELb1ES3_N6thrust23THRUST_200600_302600_NS6detail15normal_iteratorINS9_10device_ptrIjEEEESE_jNS9_4plusIvEEjEEDaPvRmT3_T4_T5_mT6_P12ihipStream_tbENKUlT_T0_E_clISt17integral_constantIbLb0EEST_IbLb1EEEEDaSP_SQ_EUlSP_E0_NS1_11comp_targetILNS1_3genE0ELNS1_11target_archE4294967295ELNS1_3gpuE0ELNS1_3repE0EEENS1_30default_config_static_selectorELNS0_4arch9wavefront6targetE1EEEvT1_
    .private_segment_fixed_size: 0
    .sgpr_count:     4
    .sgpr_spill_count: 0
    .symbol:         _ZN7rocprim17ROCPRIM_400000_NS6detail17trampoline_kernelINS0_14default_configENS1_20scan_config_selectorIjEEZZNS1_9scan_implILNS1_25lookback_scan_determinismE0ELb1ELb1ES3_N6thrust23THRUST_200600_302600_NS6detail15normal_iteratorINS9_10device_ptrIjEEEESE_jNS9_4plusIvEEjEEDaPvRmT3_T4_T5_mT6_P12ihipStream_tbENKUlT_T0_E_clISt17integral_constantIbLb0EEST_IbLb1EEEEDaSP_SQ_EUlSP_E0_NS1_11comp_targetILNS1_3genE0ELNS1_11target_archE4294967295ELNS1_3gpuE0ELNS1_3repE0EEENS1_30default_config_static_selectorELNS0_4arch9wavefront6targetE1EEEvT1_.kd
    .uniform_work_group_size: 1
    .uses_dynamic_stack: false
    .vgpr_count:     0
    .vgpr_spill_count: 0
    .wavefront_size: 64
  - .agpr_count:     0
    .args:
      - .offset:         0
        .size:           32
        .value_kind:     by_value
    .group_segment_fixed_size: 0
    .kernarg_segment_align: 8
    .kernarg_segment_size: 32
    .language:       OpenCL C
    .language_version:
      - 2
      - 0
    .max_flat_workgroup_size: 256
    .name:           _ZN7rocprim17ROCPRIM_400000_NS6detail17trampoline_kernelINS0_14default_configENS1_20scan_config_selectorIjEEZZNS1_9scan_implILNS1_25lookback_scan_determinismE0ELb1ELb1ES3_N6thrust23THRUST_200600_302600_NS6detail15normal_iteratorINS9_10device_ptrIjEEEESE_jNS9_4plusIvEEjEEDaPvRmT3_T4_T5_mT6_P12ihipStream_tbENKUlT_T0_E_clISt17integral_constantIbLb0EEST_IbLb1EEEEDaSP_SQ_EUlSP_E0_NS1_11comp_targetILNS1_3genE5ELNS1_11target_archE942ELNS1_3gpuE9ELNS1_3repE0EEENS1_30default_config_static_selectorELNS0_4arch9wavefront6targetE1EEEvT1_
    .private_segment_fixed_size: 0
    .sgpr_count:     4
    .sgpr_spill_count: 0
    .symbol:         _ZN7rocprim17ROCPRIM_400000_NS6detail17trampoline_kernelINS0_14default_configENS1_20scan_config_selectorIjEEZZNS1_9scan_implILNS1_25lookback_scan_determinismE0ELb1ELb1ES3_N6thrust23THRUST_200600_302600_NS6detail15normal_iteratorINS9_10device_ptrIjEEEESE_jNS9_4plusIvEEjEEDaPvRmT3_T4_T5_mT6_P12ihipStream_tbENKUlT_T0_E_clISt17integral_constantIbLb0EEST_IbLb1EEEEDaSP_SQ_EUlSP_E0_NS1_11comp_targetILNS1_3genE5ELNS1_11target_archE942ELNS1_3gpuE9ELNS1_3repE0EEENS1_30default_config_static_selectorELNS0_4arch9wavefront6targetE1EEEvT1_.kd
    .uniform_work_group_size: 1
    .uses_dynamic_stack: false
    .vgpr_count:     0
    .vgpr_spill_count: 0
    .wavefront_size: 64
  - .agpr_count:     0
    .args:
      - .offset:         0
        .size:           32
        .value_kind:     by_value
    .group_segment_fixed_size: 5120
    .kernarg_segment_align: 8
    .kernarg_segment_size: 32
    .language:       OpenCL C
    .language_version:
      - 2
      - 0
    .max_flat_workgroup_size: 128
    .name:           _ZN7rocprim17ROCPRIM_400000_NS6detail17trampoline_kernelINS0_14default_configENS1_20scan_config_selectorIjEEZZNS1_9scan_implILNS1_25lookback_scan_determinismE0ELb1ELb1ES3_N6thrust23THRUST_200600_302600_NS6detail15normal_iteratorINS9_10device_ptrIjEEEESE_jNS9_4plusIvEEjEEDaPvRmT3_T4_T5_mT6_P12ihipStream_tbENKUlT_T0_E_clISt17integral_constantIbLb0EEST_IbLb1EEEEDaSP_SQ_EUlSP_E0_NS1_11comp_targetILNS1_3genE4ELNS1_11target_archE910ELNS1_3gpuE8ELNS1_3repE0EEENS1_30default_config_static_selectorELNS0_4arch9wavefront6targetE1EEEvT1_
    .private_segment_fixed_size: 0
    .sgpr_count:     29
    .sgpr_spill_count: 0
    .symbol:         _ZN7rocprim17ROCPRIM_400000_NS6detail17trampoline_kernelINS0_14default_configENS1_20scan_config_selectorIjEEZZNS1_9scan_implILNS1_25lookback_scan_determinismE0ELb1ELb1ES3_N6thrust23THRUST_200600_302600_NS6detail15normal_iteratorINS9_10device_ptrIjEEEESE_jNS9_4plusIvEEjEEDaPvRmT3_T4_T5_mT6_P12ihipStream_tbENKUlT_T0_E_clISt17integral_constantIbLb0EEST_IbLb1EEEEDaSP_SQ_EUlSP_E0_NS1_11comp_targetILNS1_3genE4ELNS1_11target_archE910ELNS1_3gpuE8ELNS1_3repE0EEENS1_30default_config_static_selectorELNS0_4arch9wavefront6targetE1EEEvT1_.kd
    .uniform_work_group_size: 1
    .uses_dynamic_stack: false
    .vgpr_count:     18
    .vgpr_spill_count: 0
    .wavefront_size: 64
  - .agpr_count:     0
    .args:
      - .offset:         0
        .size:           32
        .value_kind:     by_value
    .group_segment_fixed_size: 0
    .kernarg_segment_align: 8
    .kernarg_segment_size: 32
    .language:       OpenCL C
    .language_version:
      - 2
      - 0
    .max_flat_workgroup_size: 256
    .name:           _ZN7rocprim17ROCPRIM_400000_NS6detail17trampoline_kernelINS0_14default_configENS1_20scan_config_selectorIjEEZZNS1_9scan_implILNS1_25lookback_scan_determinismE0ELb1ELb1ES3_N6thrust23THRUST_200600_302600_NS6detail15normal_iteratorINS9_10device_ptrIjEEEESE_jNS9_4plusIvEEjEEDaPvRmT3_T4_T5_mT6_P12ihipStream_tbENKUlT_T0_E_clISt17integral_constantIbLb0EEST_IbLb1EEEEDaSP_SQ_EUlSP_E0_NS1_11comp_targetILNS1_3genE3ELNS1_11target_archE908ELNS1_3gpuE7ELNS1_3repE0EEENS1_30default_config_static_selectorELNS0_4arch9wavefront6targetE1EEEvT1_
    .private_segment_fixed_size: 0
    .sgpr_count:     4
    .sgpr_spill_count: 0
    .symbol:         _ZN7rocprim17ROCPRIM_400000_NS6detail17trampoline_kernelINS0_14default_configENS1_20scan_config_selectorIjEEZZNS1_9scan_implILNS1_25lookback_scan_determinismE0ELb1ELb1ES3_N6thrust23THRUST_200600_302600_NS6detail15normal_iteratorINS9_10device_ptrIjEEEESE_jNS9_4plusIvEEjEEDaPvRmT3_T4_T5_mT6_P12ihipStream_tbENKUlT_T0_E_clISt17integral_constantIbLb0EEST_IbLb1EEEEDaSP_SQ_EUlSP_E0_NS1_11comp_targetILNS1_3genE3ELNS1_11target_archE908ELNS1_3gpuE7ELNS1_3repE0EEENS1_30default_config_static_selectorELNS0_4arch9wavefront6targetE1EEEvT1_.kd
    .uniform_work_group_size: 1
    .uses_dynamic_stack: false
    .vgpr_count:     0
    .vgpr_spill_count: 0
    .wavefront_size: 64
  - .agpr_count:     0
    .args:
      - .offset:         0
        .size:           32
        .value_kind:     by_value
    .group_segment_fixed_size: 0
    .kernarg_segment_align: 8
    .kernarg_segment_size: 32
    .language:       OpenCL C
    .language_version:
      - 2
      - 0
    .max_flat_workgroup_size: 256
    .name:           _ZN7rocprim17ROCPRIM_400000_NS6detail17trampoline_kernelINS0_14default_configENS1_20scan_config_selectorIjEEZZNS1_9scan_implILNS1_25lookback_scan_determinismE0ELb1ELb1ES3_N6thrust23THRUST_200600_302600_NS6detail15normal_iteratorINS9_10device_ptrIjEEEESE_jNS9_4plusIvEEjEEDaPvRmT3_T4_T5_mT6_P12ihipStream_tbENKUlT_T0_E_clISt17integral_constantIbLb0EEST_IbLb1EEEEDaSP_SQ_EUlSP_E0_NS1_11comp_targetILNS1_3genE2ELNS1_11target_archE906ELNS1_3gpuE6ELNS1_3repE0EEENS1_30default_config_static_selectorELNS0_4arch9wavefront6targetE1EEEvT1_
    .private_segment_fixed_size: 0
    .sgpr_count:     4
    .sgpr_spill_count: 0
    .symbol:         _ZN7rocprim17ROCPRIM_400000_NS6detail17trampoline_kernelINS0_14default_configENS1_20scan_config_selectorIjEEZZNS1_9scan_implILNS1_25lookback_scan_determinismE0ELb1ELb1ES3_N6thrust23THRUST_200600_302600_NS6detail15normal_iteratorINS9_10device_ptrIjEEEESE_jNS9_4plusIvEEjEEDaPvRmT3_T4_T5_mT6_P12ihipStream_tbENKUlT_T0_E_clISt17integral_constantIbLb0EEST_IbLb1EEEEDaSP_SQ_EUlSP_E0_NS1_11comp_targetILNS1_3genE2ELNS1_11target_archE906ELNS1_3gpuE6ELNS1_3repE0EEENS1_30default_config_static_selectorELNS0_4arch9wavefront6targetE1EEEvT1_.kd
    .uniform_work_group_size: 1
    .uses_dynamic_stack: false
    .vgpr_count:     0
    .vgpr_spill_count: 0
    .wavefront_size: 64
  - .agpr_count:     0
    .args:
      - .offset:         0
        .size:           32
        .value_kind:     by_value
    .group_segment_fixed_size: 0
    .kernarg_segment_align: 8
    .kernarg_segment_size: 32
    .language:       OpenCL C
    .language_version:
      - 2
      - 0
    .max_flat_workgroup_size: 256
    .name:           _ZN7rocprim17ROCPRIM_400000_NS6detail17trampoline_kernelINS0_14default_configENS1_20scan_config_selectorIjEEZZNS1_9scan_implILNS1_25lookback_scan_determinismE0ELb1ELb1ES3_N6thrust23THRUST_200600_302600_NS6detail15normal_iteratorINS9_10device_ptrIjEEEESE_jNS9_4plusIvEEjEEDaPvRmT3_T4_T5_mT6_P12ihipStream_tbENKUlT_T0_E_clISt17integral_constantIbLb0EEST_IbLb1EEEEDaSP_SQ_EUlSP_E0_NS1_11comp_targetILNS1_3genE10ELNS1_11target_archE1201ELNS1_3gpuE5ELNS1_3repE0EEENS1_30default_config_static_selectorELNS0_4arch9wavefront6targetE1EEEvT1_
    .private_segment_fixed_size: 0
    .sgpr_count:     4
    .sgpr_spill_count: 0
    .symbol:         _ZN7rocprim17ROCPRIM_400000_NS6detail17trampoline_kernelINS0_14default_configENS1_20scan_config_selectorIjEEZZNS1_9scan_implILNS1_25lookback_scan_determinismE0ELb1ELb1ES3_N6thrust23THRUST_200600_302600_NS6detail15normal_iteratorINS9_10device_ptrIjEEEESE_jNS9_4plusIvEEjEEDaPvRmT3_T4_T5_mT6_P12ihipStream_tbENKUlT_T0_E_clISt17integral_constantIbLb0EEST_IbLb1EEEEDaSP_SQ_EUlSP_E0_NS1_11comp_targetILNS1_3genE10ELNS1_11target_archE1201ELNS1_3gpuE5ELNS1_3repE0EEENS1_30default_config_static_selectorELNS0_4arch9wavefront6targetE1EEEvT1_.kd
    .uniform_work_group_size: 1
    .uses_dynamic_stack: false
    .vgpr_count:     0
    .vgpr_spill_count: 0
    .wavefront_size: 64
  - .agpr_count:     0
    .args:
      - .offset:         0
        .size:           32
        .value_kind:     by_value
    .group_segment_fixed_size: 0
    .kernarg_segment_align: 8
    .kernarg_segment_size: 32
    .language:       OpenCL C
    .language_version:
      - 2
      - 0
    .max_flat_workgroup_size: 256
    .name:           _ZN7rocprim17ROCPRIM_400000_NS6detail17trampoline_kernelINS0_14default_configENS1_20scan_config_selectorIjEEZZNS1_9scan_implILNS1_25lookback_scan_determinismE0ELb1ELb1ES3_N6thrust23THRUST_200600_302600_NS6detail15normal_iteratorINS9_10device_ptrIjEEEESE_jNS9_4plusIvEEjEEDaPvRmT3_T4_T5_mT6_P12ihipStream_tbENKUlT_T0_E_clISt17integral_constantIbLb0EEST_IbLb1EEEEDaSP_SQ_EUlSP_E0_NS1_11comp_targetILNS1_3genE10ELNS1_11target_archE1200ELNS1_3gpuE4ELNS1_3repE0EEENS1_30default_config_static_selectorELNS0_4arch9wavefront6targetE1EEEvT1_
    .private_segment_fixed_size: 0
    .sgpr_count:     4
    .sgpr_spill_count: 0
    .symbol:         _ZN7rocprim17ROCPRIM_400000_NS6detail17trampoline_kernelINS0_14default_configENS1_20scan_config_selectorIjEEZZNS1_9scan_implILNS1_25lookback_scan_determinismE0ELb1ELb1ES3_N6thrust23THRUST_200600_302600_NS6detail15normal_iteratorINS9_10device_ptrIjEEEESE_jNS9_4plusIvEEjEEDaPvRmT3_T4_T5_mT6_P12ihipStream_tbENKUlT_T0_E_clISt17integral_constantIbLb0EEST_IbLb1EEEEDaSP_SQ_EUlSP_E0_NS1_11comp_targetILNS1_3genE10ELNS1_11target_archE1200ELNS1_3gpuE4ELNS1_3repE0EEENS1_30default_config_static_selectorELNS0_4arch9wavefront6targetE1EEEvT1_.kd
    .uniform_work_group_size: 1
    .uses_dynamic_stack: false
    .vgpr_count:     0
    .vgpr_spill_count: 0
    .wavefront_size: 64
  - .agpr_count:     0
    .args:
      - .offset:         0
        .size:           32
        .value_kind:     by_value
    .group_segment_fixed_size: 0
    .kernarg_segment_align: 8
    .kernarg_segment_size: 32
    .language:       OpenCL C
    .language_version:
      - 2
      - 0
    .max_flat_workgroup_size: 256
    .name:           _ZN7rocprim17ROCPRIM_400000_NS6detail17trampoline_kernelINS0_14default_configENS1_20scan_config_selectorIjEEZZNS1_9scan_implILNS1_25lookback_scan_determinismE0ELb1ELb1ES3_N6thrust23THRUST_200600_302600_NS6detail15normal_iteratorINS9_10device_ptrIjEEEESE_jNS9_4plusIvEEjEEDaPvRmT3_T4_T5_mT6_P12ihipStream_tbENKUlT_T0_E_clISt17integral_constantIbLb0EEST_IbLb1EEEEDaSP_SQ_EUlSP_E0_NS1_11comp_targetILNS1_3genE9ELNS1_11target_archE1100ELNS1_3gpuE3ELNS1_3repE0EEENS1_30default_config_static_selectorELNS0_4arch9wavefront6targetE1EEEvT1_
    .private_segment_fixed_size: 0
    .sgpr_count:     4
    .sgpr_spill_count: 0
    .symbol:         _ZN7rocprim17ROCPRIM_400000_NS6detail17trampoline_kernelINS0_14default_configENS1_20scan_config_selectorIjEEZZNS1_9scan_implILNS1_25lookback_scan_determinismE0ELb1ELb1ES3_N6thrust23THRUST_200600_302600_NS6detail15normal_iteratorINS9_10device_ptrIjEEEESE_jNS9_4plusIvEEjEEDaPvRmT3_T4_T5_mT6_P12ihipStream_tbENKUlT_T0_E_clISt17integral_constantIbLb0EEST_IbLb1EEEEDaSP_SQ_EUlSP_E0_NS1_11comp_targetILNS1_3genE9ELNS1_11target_archE1100ELNS1_3gpuE3ELNS1_3repE0EEENS1_30default_config_static_selectorELNS0_4arch9wavefront6targetE1EEEvT1_.kd
    .uniform_work_group_size: 1
    .uses_dynamic_stack: false
    .vgpr_count:     0
    .vgpr_spill_count: 0
    .wavefront_size: 64
  - .agpr_count:     0
    .args:
      - .offset:         0
        .size:           32
        .value_kind:     by_value
    .group_segment_fixed_size: 0
    .kernarg_segment_align: 8
    .kernarg_segment_size: 32
    .language:       OpenCL C
    .language_version:
      - 2
      - 0
    .max_flat_workgroup_size: 64
    .name:           _ZN7rocprim17ROCPRIM_400000_NS6detail17trampoline_kernelINS0_14default_configENS1_20scan_config_selectorIjEEZZNS1_9scan_implILNS1_25lookback_scan_determinismE0ELb1ELb1ES3_N6thrust23THRUST_200600_302600_NS6detail15normal_iteratorINS9_10device_ptrIjEEEESE_jNS9_4plusIvEEjEEDaPvRmT3_T4_T5_mT6_P12ihipStream_tbENKUlT_T0_E_clISt17integral_constantIbLb0EEST_IbLb1EEEEDaSP_SQ_EUlSP_E0_NS1_11comp_targetILNS1_3genE8ELNS1_11target_archE1030ELNS1_3gpuE2ELNS1_3repE0EEENS1_30default_config_static_selectorELNS0_4arch9wavefront6targetE1EEEvT1_
    .private_segment_fixed_size: 0
    .sgpr_count:     4
    .sgpr_spill_count: 0
    .symbol:         _ZN7rocprim17ROCPRIM_400000_NS6detail17trampoline_kernelINS0_14default_configENS1_20scan_config_selectorIjEEZZNS1_9scan_implILNS1_25lookback_scan_determinismE0ELb1ELb1ES3_N6thrust23THRUST_200600_302600_NS6detail15normal_iteratorINS9_10device_ptrIjEEEESE_jNS9_4plusIvEEjEEDaPvRmT3_T4_T5_mT6_P12ihipStream_tbENKUlT_T0_E_clISt17integral_constantIbLb0EEST_IbLb1EEEEDaSP_SQ_EUlSP_E0_NS1_11comp_targetILNS1_3genE8ELNS1_11target_archE1030ELNS1_3gpuE2ELNS1_3repE0EEENS1_30default_config_static_selectorELNS0_4arch9wavefront6targetE1EEEvT1_.kd
    .uniform_work_group_size: 1
    .uses_dynamic_stack: false
    .vgpr_count:     0
    .vgpr_spill_count: 0
    .wavefront_size: 64
  - .agpr_count:     0
    .args:
      - .offset:         0
        .size:           96
        .value_kind:     by_value
    .group_segment_fixed_size: 0
    .kernarg_segment_align: 8
    .kernarg_segment_size: 96
    .language:       OpenCL C
    .language_version:
      - 2
      - 0
    .max_flat_workgroup_size: 128
    .name:           _ZN7rocprim17ROCPRIM_400000_NS6detail17trampoline_kernelINS0_14default_configENS1_20scan_config_selectorItEEZZNS1_9scan_implILNS1_25lookback_scan_determinismE0ELb0ELb0ES3_N6thrust23THRUST_200600_302600_NS6detail15normal_iteratorINS9_10device_ptrItEEEESE_tNS9_4plusIvEEtEEDaPvRmT3_T4_T5_mT6_P12ihipStream_tbENKUlT_T0_E_clISt17integral_constantIbLb0EESU_EEDaSP_SQ_EUlSP_E_NS1_11comp_targetILNS1_3genE0ELNS1_11target_archE4294967295ELNS1_3gpuE0ELNS1_3repE0EEENS1_30default_config_static_selectorELNS0_4arch9wavefront6targetE1EEEvT1_
    .private_segment_fixed_size: 0
    .sgpr_count:     4
    .sgpr_spill_count: 0
    .symbol:         _ZN7rocprim17ROCPRIM_400000_NS6detail17trampoline_kernelINS0_14default_configENS1_20scan_config_selectorItEEZZNS1_9scan_implILNS1_25lookback_scan_determinismE0ELb0ELb0ES3_N6thrust23THRUST_200600_302600_NS6detail15normal_iteratorINS9_10device_ptrItEEEESE_tNS9_4plusIvEEtEEDaPvRmT3_T4_T5_mT6_P12ihipStream_tbENKUlT_T0_E_clISt17integral_constantIbLb0EESU_EEDaSP_SQ_EUlSP_E_NS1_11comp_targetILNS1_3genE0ELNS1_11target_archE4294967295ELNS1_3gpuE0ELNS1_3repE0EEENS1_30default_config_static_selectorELNS0_4arch9wavefront6targetE1EEEvT1_.kd
    .uniform_work_group_size: 1
    .uses_dynamic_stack: false
    .vgpr_count:     0
    .vgpr_spill_count: 0
    .wavefront_size: 64
  - .agpr_count:     0
    .args:
      - .offset:         0
        .size:           96
        .value_kind:     by_value
    .group_segment_fixed_size: 0
    .kernarg_segment_align: 8
    .kernarg_segment_size: 96
    .language:       OpenCL C
    .language_version:
      - 2
      - 0
    .max_flat_workgroup_size: 256
    .name:           _ZN7rocprim17ROCPRIM_400000_NS6detail17trampoline_kernelINS0_14default_configENS1_20scan_config_selectorItEEZZNS1_9scan_implILNS1_25lookback_scan_determinismE0ELb0ELb0ES3_N6thrust23THRUST_200600_302600_NS6detail15normal_iteratorINS9_10device_ptrItEEEESE_tNS9_4plusIvEEtEEDaPvRmT3_T4_T5_mT6_P12ihipStream_tbENKUlT_T0_E_clISt17integral_constantIbLb0EESU_EEDaSP_SQ_EUlSP_E_NS1_11comp_targetILNS1_3genE5ELNS1_11target_archE942ELNS1_3gpuE9ELNS1_3repE0EEENS1_30default_config_static_selectorELNS0_4arch9wavefront6targetE1EEEvT1_
    .private_segment_fixed_size: 0
    .sgpr_count:     4
    .sgpr_spill_count: 0
    .symbol:         _ZN7rocprim17ROCPRIM_400000_NS6detail17trampoline_kernelINS0_14default_configENS1_20scan_config_selectorItEEZZNS1_9scan_implILNS1_25lookback_scan_determinismE0ELb0ELb0ES3_N6thrust23THRUST_200600_302600_NS6detail15normal_iteratorINS9_10device_ptrItEEEESE_tNS9_4plusIvEEtEEDaPvRmT3_T4_T5_mT6_P12ihipStream_tbENKUlT_T0_E_clISt17integral_constantIbLb0EESU_EEDaSP_SQ_EUlSP_E_NS1_11comp_targetILNS1_3genE5ELNS1_11target_archE942ELNS1_3gpuE9ELNS1_3repE0EEENS1_30default_config_static_selectorELNS0_4arch9wavefront6targetE1EEEvT1_.kd
    .uniform_work_group_size: 1
    .uses_dynamic_stack: false
    .vgpr_count:     0
    .vgpr_spill_count: 0
    .wavefront_size: 64
  - .agpr_count:     0
    .args:
      - .offset:         0
        .size:           96
        .value_kind:     by_value
    .group_segment_fixed_size: 3072
    .kernarg_segment_align: 8
    .kernarg_segment_size: 96
    .language:       OpenCL C
    .language_version:
      - 2
      - 0
    .max_flat_workgroup_size: 64
    .name:           _ZN7rocprim17ROCPRIM_400000_NS6detail17trampoline_kernelINS0_14default_configENS1_20scan_config_selectorItEEZZNS1_9scan_implILNS1_25lookback_scan_determinismE0ELb0ELb0ES3_N6thrust23THRUST_200600_302600_NS6detail15normal_iteratorINS9_10device_ptrItEEEESE_tNS9_4plusIvEEtEEDaPvRmT3_T4_T5_mT6_P12ihipStream_tbENKUlT_T0_E_clISt17integral_constantIbLb0EESU_EEDaSP_SQ_EUlSP_E_NS1_11comp_targetILNS1_3genE4ELNS1_11target_archE910ELNS1_3gpuE8ELNS1_3repE0EEENS1_30default_config_static_selectorELNS0_4arch9wavefront6targetE1EEEvT1_
    .private_segment_fixed_size: 0
    .sgpr_count:     30
    .sgpr_spill_count: 0
    .symbol:         _ZN7rocprim17ROCPRIM_400000_NS6detail17trampoline_kernelINS0_14default_configENS1_20scan_config_selectorItEEZZNS1_9scan_implILNS1_25lookback_scan_determinismE0ELb0ELb0ES3_N6thrust23THRUST_200600_302600_NS6detail15normal_iteratorINS9_10device_ptrItEEEESE_tNS9_4plusIvEEtEEDaPvRmT3_T4_T5_mT6_P12ihipStream_tbENKUlT_T0_E_clISt17integral_constantIbLb0EESU_EEDaSP_SQ_EUlSP_E_NS1_11comp_targetILNS1_3genE4ELNS1_11target_archE910ELNS1_3gpuE8ELNS1_3repE0EEENS1_30default_config_static_selectorELNS0_4arch9wavefront6targetE1EEEvT1_.kd
    .uniform_work_group_size: 1
    .uses_dynamic_stack: false
    .vgpr_count:     54
    .vgpr_spill_count: 0
    .wavefront_size: 64
  - .agpr_count:     0
    .args:
      - .offset:         0
        .size:           96
        .value_kind:     by_value
    .group_segment_fixed_size: 0
    .kernarg_segment_align: 8
    .kernarg_segment_size: 96
    .language:       OpenCL C
    .language_version:
      - 2
      - 0
    .max_flat_workgroup_size: 128
    .name:           _ZN7rocprim17ROCPRIM_400000_NS6detail17trampoline_kernelINS0_14default_configENS1_20scan_config_selectorItEEZZNS1_9scan_implILNS1_25lookback_scan_determinismE0ELb0ELb0ES3_N6thrust23THRUST_200600_302600_NS6detail15normal_iteratorINS9_10device_ptrItEEEESE_tNS9_4plusIvEEtEEDaPvRmT3_T4_T5_mT6_P12ihipStream_tbENKUlT_T0_E_clISt17integral_constantIbLb0EESU_EEDaSP_SQ_EUlSP_E_NS1_11comp_targetILNS1_3genE3ELNS1_11target_archE908ELNS1_3gpuE7ELNS1_3repE0EEENS1_30default_config_static_selectorELNS0_4arch9wavefront6targetE1EEEvT1_
    .private_segment_fixed_size: 0
    .sgpr_count:     4
    .sgpr_spill_count: 0
    .symbol:         _ZN7rocprim17ROCPRIM_400000_NS6detail17trampoline_kernelINS0_14default_configENS1_20scan_config_selectorItEEZZNS1_9scan_implILNS1_25lookback_scan_determinismE0ELb0ELb0ES3_N6thrust23THRUST_200600_302600_NS6detail15normal_iteratorINS9_10device_ptrItEEEESE_tNS9_4plusIvEEtEEDaPvRmT3_T4_T5_mT6_P12ihipStream_tbENKUlT_T0_E_clISt17integral_constantIbLb0EESU_EEDaSP_SQ_EUlSP_E_NS1_11comp_targetILNS1_3genE3ELNS1_11target_archE908ELNS1_3gpuE7ELNS1_3repE0EEENS1_30default_config_static_selectorELNS0_4arch9wavefront6targetE1EEEvT1_.kd
    .uniform_work_group_size: 1
    .uses_dynamic_stack: false
    .vgpr_count:     0
    .vgpr_spill_count: 0
    .wavefront_size: 64
  - .agpr_count:     0
    .args:
      - .offset:         0
        .size:           96
        .value_kind:     by_value
    .group_segment_fixed_size: 0
    .kernarg_segment_align: 8
    .kernarg_segment_size: 96
    .language:       OpenCL C
    .language_version:
      - 2
      - 0
    .max_flat_workgroup_size: 256
    .name:           _ZN7rocprim17ROCPRIM_400000_NS6detail17trampoline_kernelINS0_14default_configENS1_20scan_config_selectorItEEZZNS1_9scan_implILNS1_25lookback_scan_determinismE0ELb0ELb0ES3_N6thrust23THRUST_200600_302600_NS6detail15normal_iteratorINS9_10device_ptrItEEEESE_tNS9_4plusIvEEtEEDaPvRmT3_T4_T5_mT6_P12ihipStream_tbENKUlT_T0_E_clISt17integral_constantIbLb0EESU_EEDaSP_SQ_EUlSP_E_NS1_11comp_targetILNS1_3genE2ELNS1_11target_archE906ELNS1_3gpuE6ELNS1_3repE0EEENS1_30default_config_static_selectorELNS0_4arch9wavefront6targetE1EEEvT1_
    .private_segment_fixed_size: 0
    .sgpr_count:     4
    .sgpr_spill_count: 0
    .symbol:         _ZN7rocprim17ROCPRIM_400000_NS6detail17trampoline_kernelINS0_14default_configENS1_20scan_config_selectorItEEZZNS1_9scan_implILNS1_25lookback_scan_determinismE0ELb0ELb0ES3_N6thrust23THRUST_200600_302600_NS6detail15normal_iteratorINS9_10device_ptrItEEEESE_tNS9_4plusIvEEtEEDaPvRmT3_T4_T5_mT6_P12ihipStream_tbENKUlT_T0_E_clISt17integral_constantIbLb0EESU_EEDaSP_SQ_EUlSP_E_NS1_11comp_targetILNS1_3genE2ELNS1_11target_archE906ELNS1_3gpuE6ELNS1_3repE0EEENS1_30default_config_static_selectorELNS0_4arch9wavefront6targetE1EEEvT1_.kd
    .uniform_work_group_size: 1
    .uses_dynamic_stack: false
    .vgpr_count:     0
    .vgpr_spill_count: 0
    .wavefront_size: 64
  - .agpr_count:     0
    .args:
      - .offset:         0
        .size:           96
        .value_kind:     by_value
    .group_segment_fixed_size: 0
    .kernarg_segment_align: 8
    .kernarg_segment_size: 96
    .language:       OpenCL C
    .language_version:
      - 2
      - 0
    .max_flat_workgroup_size: 256
    .name:           _ZN7rocprim17ROCPRIM_400000_NS6detail17trampoline_kernelINS0_14default_configENS1_20scan_config_selectorItEEZZNS1_9scan_implILNS1_25lookback_scan_determinismE0ELb0ELb0ES3_N6thrust23THRUST_200600_302600_NS6detail15normal_iteratorINS9_10device_ptrItEEEESE_tNS9_4plusIvEEtEEDaPvRmT3_T4_T5_mT6_P12ihipStream_tbENKUlT_T0_E_clISt17integral_constantIbLb0EESU_EEDaSP_SQ_EUlSP_E_NS1_11comp_targetILNS1_3genE10ELNS1_11target_archE1201ELNS1_3gpuE5ELNS1_3repE0EEENS1_30default_config_static_selectorELNS0_4arch9wavefront6targetE1EEEvT1_
    .private_segment_fixed_size: 0
    .sgpr_count:     4
    .sgpr_spill_count: 0
    .symbol:         _ZN7rocprim17ROCPRIM_400000_NS6detail17trampoline_kernelINS0_14default_configENS1_20scan_config_selectorItEEZZNS1_9scan_implILNS1_25lookback_scan_determinismE0ELb0ELb0ES3_N6thrust23THRUST_200600_302600_NS6detail15normal_iteratorINS9_10device_ptrItEEEESE_tNS9_4plusIvEEtEEDaPvRmT3_T4_T5_mT6_P12ihipStream_tbENKUlT_T0_E_clISt17integral_constantIbLb0EESU_EEDaSP_SQ_EUlSP_E_NS1_11comp_targetILNS1_3genE10ELNS1_11target_archE1201ELNS1_3gpuE5ELNS1_3repE0EEENS1_30default_config_static_selectorELNS0_4arch9wavefront6targetE1EEEvT1_.kd
    .uniform_work_group_size: 1
    .uses_dynamic_stack: false
    .vgpr_count:     0
    .vgpr_spill_count: 0
    .wavefront_size: 64
  - .agpr_count:     0
    .args:
      - .offset:         0
        .size:           96
        .value_kind:     by_value
    .group_segment_fixed_size: 0
    .kernarg_segment_align: 8
    .kernarg_segment_size: 96
    .language:       OpenCL C
    .language_version:
      - 2
      - 0
    .max_flat_workgroup_size: 256
    .name:           _ZN7rocprim17ROCPRIM_400000_NS6detail17trampoline_kernelINS0_14default_configENS1_20scan_config_selectorItEEZZNS1_9scan_implILNS1_25lookback_scan_determinismE0ELb0ELb0ES3_N6thrust23THRUST_200600_302600_NS6detail15normal_iteratorINS9_10device_ptrItEEEESE_tNS9_4plusIvEEtEEDaPvRmT3_T4_T5_mT6_P12ihipStream_tbENKUlT_T0_E_clISt17integral_constantIbLb0EESU_EEDaSP_SQ_EUlSP_E_NS1_11comp_targetILNS1_3genE10ELNS1_11target_archE1200ELNS1_3gpuE4ELNS1_3repE0EEENS1_30default_config_static_selectorELNS0_4arch9wavefront6targetE1EEEvT1_
    .private_segment_fixed_size: 0
    .sgpr_count:     4
    .sgpr_spill_count: 0
    .symbol:         _ZN7rocprim17ROCPRIM_400000_NS6detail17trampoline_kernelINS0_14default_configENS1_20scan_config_selectorItEEZZNS1_9scan_implILNS1_25lookback_scan_determinismE0ELb0ELb0ES3_N6thrust23THRUST_200600_302600_NS6detail15normal_iteratorINS9_10device_ptrItEEEESE_tNS9_4plusIvEEtEEDaPvRmT3_T4_T5_mT6_P12ihipStream_tbENKUlT_T0_E_clISt17integral_constantIbLb0EESU_EEDaSP_SQ_EUlSP_E_NS1_11comp_targetILNS1_3genE10ELNS1_11target_archE1200ELNS1_3gpuE4ELNS1_3repE0EEENS1_30default_config_static_selectorELNS0_4arch9wavefront6targetE1EEEvT1_.kd
    .uniform_work_group_size: 1
    .uses_dynamic_stack: false
    .vgpr_count:     0
    .vgpr_spill_count: 0
    .wavefront_size: 64
  - .agpr_count:     0
    .args:
      - .offset:         0
        .size:           96
        .value_kind:     by_value
    .group_segment_fixed_size: 0
    .kernarg_segment_align: 8
    .kernarg_segment_size: 96
    .language:       OpenCL C
    .language_version:
      - 2
      - 0
    .max_flat_workgroup_size: 64
    .name:           _ZN7rocprim17ROCPRIM_400000_NS6detail17trampoline_kernelINS0_14default_configENS1_20scan_config_selectorItEEZZNS1_9scan_implILNS1_25lookback_scan_determinismE0ELb0ELb0ES3_N6thrust23THRUST_200600_302600_NS6detail15normal_iteratorINS9_10device_ptrItEEEESE_tNS9_4plusIvEEtEEDaPvRmT3_T4_T5_mT6_P12ihipStream_tbENKUlT_T0_E_clISt17integral_constantIbLb0EESU_EEDaSP_SQ_EUlSP_E_NS1_11comp_targetILNS1_3genE9ELNS1_11target_archE1100ELNS1_3gpuE3ELNS1_3repE0EEENS1_30default_config_static_selectorELNS0_4arch9wavefront6targetE1EEEvT1_
    .private_segment_fixed_size: 0
    .sgpr_count:     4
    .sgpr_spill_count: 0
    .symbol:         _ZN7rocprim17ROCPRIM_400000_NS6detail17trampoline_kernelINS0_14default_configENS1_20scan_config_selectorItEEZZNS1_9scan_implILNS1_25lookback_scan_determinismE0ELb0ELb0ES3_N6thrust23THRUST_200600_302600_NS6detail15normal_iteratorINS9_10device_ptrItEEEESE_tNS9_4plusIvEEtEEDaPvRmT3_T4_T5_mT6_P12ihipStream_tbENKUlT_T0_E_clISt17integral_constantIbLb0EESU_EEDaSP_SQ_EUlSP_E_NS1_11comp_targetILNS1_3genE9ELNS1_11target_archE1100ELNS1_3gpuE3ELNS1_3repE0EEENS1_30default_config_static_selectorELNS0_4arch9wavefront6targetE1EEEvT1_.kd
    .uniform_work_group_size: 1
    .uses_dynamic_stack: false
    .vgpr_count:     0
    .vgpr_spill_count: 0
    .wavefront_size: 64
  - .agpr_count:     0
    .args:
      - .offset:         0
        .size:           96
        .value_kind:     by_value
    .group_segment_fixed_size: 0
    .kernarg_segment_align: 8
    .kernarg_segment_size: 96
    .language:       OpenCL C
    .language_version:
      - 2
      - 0
    .max_flat_workgroup_size: 64
    .name:           _ZN7rocprim17ROCPRIM_400000_NS6detail17trampoline_kernelINS0_14default_configENS1_20scan_config_selectorItEEZZNS1_9scan_implILNS1_25lookback_scan_determinismE0ELb0ELb0ES3_N6thrust23THRUST_200600_302600_NS6detail15normal_iteratorINS9_10device_ptrItEEEESE_tNS9_4plusIvEEtEEDaPvRmT3_T4_T5_mT6_P12ihipStream_tbENKUlT_T0_E_clISt17integral_constantIbLb0EESU_EEDaSP_SQ_EUlSP_E_NS1_11comp_targetILNS1_3genE8ELNS1_11target_archE1030ELNS1_3gpuE2ELNS1_3repE0EEENS1_30default_config_static_selectorELNS0_4arch9wavefront6targetE1EEEvT1_
    .private_segment_fixed_size: 0
    .sgpr_count:     4
    .sgpr_spill_count: 0
    .symbol:         _ZN7rocprim17ROCPRIM_400000_NS6detail17trampoline_kernelINS0_14default_configENS1_20scan_config_selectorItEEZZNS1_9scan_implILNS1_25lookback_scan_determinismE0ELb0ELb0ES3_N6thrust23THRUST_200600_302600_NS6detail15normal_iteratorINS9_10device_ptrItEEEESE_tNS9_4plusIvEEtEEDaPvRmT3_T4_T5_mT6_P12ihipStream_tbENKUlT_T0_E_clISt17integral_constantIbLb0EESU_EEDaSP_SQ_EUlSP_E_NS1_11comp_targetILNS1_3genE8ELNS1_11target_archE1030ELNS1_3gpuE2ELNS1_3repE0EEENS1_30default_config_static_selectorELNS0_4arch9wavefront6targetE1EEEvT1_.kd
    .uniform_work_group_size: 1
    .uses_dynamic_stack: false
    .vgpr_count:     0
    .vgpr_spill_count: 0
    .wavefront_size: 64
  - .agpr_count:     0
    .args:
      - .offset:         0
        .size:           32
        .value_kind:     by_value
    .group_segment_fixed_size: 0
    .kernarg_segment_align: 8
    .kernarg_segment_size: 32
    .language:       OpenCL C
    .language_version:
      - 2
      - 0
    .max_flat_workgroup_size: 128
    .name:           _ZN7rocprim17ROCPRIM_400000_NS6detail17trampoline_kernelINS0_14default_configENS1_20scan_config_selectorItEEZZNS1_9scan_implILNS1_25lookback_scan_determinismE0ELb0ELb0ES3_N6thrust23THRUST_200600_302600_NS6detail15normal_iteratorINS9_10device_ptrItEEEESE_tNS9_4plusIvEEtEEDaPvRmT3_T4_T5_mT6_P12ihipStream_tbENKUlT_T0_E_clISt17integral_constantIbLb0EESU_EEDaSP_SQ_EUlSP_E0_NS1_11comp_targetILNS1_3genE0ELNS1_11target_archE4294967295ELNS1_3gpuE0ELNS1_3repE0EEENS1_30default_config_static_selectorELNS0_4arch9wavefront6targetE1EEEvT1_
    .private_segment_fixed_size: 0
    .sgpr_count:     4
    .sgpr_spill_count: 0
    .symbol:         _ZN7rocprim17ROCPRIM_400000_NS6detail17trampoline_kernelINS0_14default_configENS1_20scan_config_selectorItEEZZNS1_9scan_implILNS1_25lookback_scan_determinismE0ELb0ELb0ES3_N6thrust23THRUST_200600_302600_NS6detail15normal_iteratorINS9_10device_ptrItEEEESE_tNS9_4plusIvEEtEEDaPvRmT3_T4_T5_mT6_P12ihipStream_tbENKUlT_T0_E_clISt17integral_constantIbLb0EESU_EEDaSP_SQ_EUlSP_E0_NS1_11comp_targetILNS1_3genE0ELNS1_11target_archE4294967295ELNS1_3gpuE0ELNS1_3repE0EEENS1_30default_config_static_selectorELNS0_4arch9wavefront6targetE1EEEvT1_.kd
    .uniform_work_group_size: 1
    .uses_dynamic_stack: false
    .vgpr_count:     0
    .vgpr_spill_count: 0
    .wavefront_size: 64
  - .agpr_count:     0
    .args:
      - .offset:         0
        .size:           32
        .value_kind:     by_value
    .group_segment_fixed_size: 0
    .kernarg_segment_align: 8
    .kernarg_segment_size: 32
    .language:       OpenCL C
    .language_version:
      - 2
      - 0
    .max_flat_workgroup_size: 256
    .name:           _ZN7rocprim17ROCPRIM_400000_NS6detail17trampoline_kernelINS0_14default_configENS1_20scan_config_selectorItEEZZNS1_9scan_implILNS1_25lookback_scan_determinismE0ELb0ELb0ES3_N6thrust23THRUST_200600_302600_NS6detail15normal_iteratorINS9_10device_ptrItEEEESE_tNS9_4plusIvEEtEEDaPvRmT3_T4_T5_mT6_P12ihipStream_tbENKUlT_T0_E_clISt17integral_constantIbLb0EESU_EEDaSP_SQ_EUlSP_E0_NS1_11comp_targetILNS1_3genE5ELNS1_11target_archE942ELNS1_3gpuE9ELNS1_3repE0EEENS1_30default_config_static_selectorELNS0_4arch9wavefront6targetE1EEEvT1_
    .private_segment_fixed_size: 0
    .sgpr_count:     4
    .sgpr_spill_count: 0
    .symbol:         _ZN7rocprim17ROCPRIM_400000_NS6detail17trampoline_kernelINS0_14default_configENS1_20scan_config_selectorItEEZZNS1_9scan_implILNS1_25lookback_scan_determinismE0ELb0ELb0ES3_N6thrust23THRUST_200600_302600_NS6detail15normal_iteratorINS9_10device_ptrItEEEESE_tNS9_4plusIvEEtEEDaPvRmT3_T4_T5_mT6_P12ihipStream_tbENKUlT_T0_E_clISt17integral_constantIbLb0EESU_EEDaSP_SQ_EUlSP_E0_NS1_11comp_targetILNS1_3genE5ELNS1_11target_archE942ELNS1_3gpuE9ELNS1_3repE0EEENS1_30default_config_static_selectorELNS0_4arch9wavefront6targetE1EEEvT1_.kd
    .uniform_work_group_size: 1
    .uses_dynamic_stack: false
    .vgpr_count:     0
    .vgpr_spill_count: 0
    .wavefront_size: 64
  - .agpr_count:     0
    .args:
      - .offset:         0
        .size:           32
        .value_kind:     by_value
    .group_segment_fixed_size: 3072
    .kernarg_segment_align: 8
    .kernarg_segment_size: 32
    .language:       OpenCL C
    .language_version:
      - 2
      - 0
    .max_flat_workgroup_size: 64
    .name:           _ZN7rocprim17ROCPRIM_400000_NS6detail17trampoline_kernelINS0_14default_configENS1_20scan_config_selectorItEEZZNS1_9scan_implILNS1_25lookback_scan_determinismE0ELb0ELb0ES3_N6thrust23THRUST_200600_302600_NS6detail15normal_iteratorINS9_10device_ptrItEEEESE_tNS9_4plusIvEEtEEDaPvRmT3_T4_T5_mT6_P12ihipStream_tbENKUlT_T0_E_clISt17integral_constantIbLb0EESU_EEDaSP_SQ_EUlSP_E0_NS1_11comp_targetILNS1_3genE4ELNS1_11target_archE910ELNS1_3gpuE8ELNS1_3repE0EEENS1_30default_config_static_selectorELNS0_4arch9wavefront6targetE1EEEvT1_
    .private_segment_fixed_size: 0
    .sgpr_count:     60
    .sgpr_spill_count: 0
    .symbol:         _ZN7rocprim17ROCPRIM_400000_NS6detail17trampoline_kernelINS0_14default_configENS1_20scan_config_selectorItEEZZNS1_9scan_implILNS1_25lookback_scan_determinismE0ELb0ELb0ES3_N6thrust23THRUST_200600_302600_NS6detail15normal_iteratorINS9_10device_ptrItEEEESE_tNS9_4plusIvEEtEEDaPvRmT3_T4_T5_mT6_P12ihipStream_tbENKUlT_T0_E_clISt17integral_constantIbLb0EESU_EEDaSP_SQ_EUlSP_E0_NS1_11comp_targetILNS1_3genE4ELNS1_11target_archE910ELNS1_3gpuE8ELNS1_3repE0EEENS1_30default_config_static_selectorELNS0_4arch9wavefront6targetE1EEEvT1_.kd
    .uniform_work_group_size: 1
    .uses_dynamic_stack: false
    .vgpr_count:     42
    .vgpr_spill_count: 0
    .wavefront_size: 64
  - .agpr_count:     0
    .args:
      - .offset:         0
        .size:           32
        .value_kind:     by_value
    .group_segment_fixed_size: 0
    .kernarg_segment_align: 8
    .kernarg_segment_size: 32
    .language:       OpenCL C
    .language_version:
      - 2
      - 0
    .max_flat_workgroup_size: 128
    .name:           _ZN7rocprim17ROCPRIM_400000_NS6detail17trampoline_kernelINS0_14default_configENS1_20scan_config_selectorItEEZZNS1_9scan_implILNS1_25lookback_scan_determinismE0ELb0ELb0ES3_N6thrust23THRUST_200600_302600_NS6detail15normal_iteratorINS9_10device_ptrItEEEESE_tNS9_4plusIvEEtEEDaPvRmT3_T4_T5_mT6_P12ihipStream_tbENKUlT_T0_E_clISt17integral_constantIbLb0EESU_EEDaSP_SQ_EUlSP_E0_NS1_11comp_targetILNS1_3genE3ELNS1_11target_archE908ELNS1_3gpuE7ELNS1_3repE0EEENS1_30default_config_static_selectorELNS0_4arch9wavefront6targetE1EEEvT1_
    .private_segment_fixed_size: 0
    .sgpr_count:     4
    .sgpr_spill_count: 0
    .symbol:         _ZN7rocprim17ROCPRIM_400000_NS6detail17trampoline_kernelINS0_14default_configENS1_20scan_config_selectorItEEZZNS1_9scan_implILNS1_25lookback_scan_determinismE0ELb0ELb0ES3_N6thrust23THRUST_200600_302600_NS6detail15normal_iteratorINS9_10device_ptrItEEEESE_tNS9_4plusIvEEtEEDaPvRmT3_T4_T5_mT6_P12ihipStream_tbENKUlT_T0_E_clISt17integral_constantIbLb0EESU_EEDaSP_SQ_EUlSP_E0_NS1_11comp_targetILNS1_3genE3ELNS1_11target_archE908ELNS1_3gpuE7ELNS1_3repE0EEENS1_30default_config_static_selectorELNS0_4arch9wavefront6targetE1EEEvT1_.kd
    .uniform_work_group_size: 1
    .uses_dynamic_stack: false
    .vgpr_count:     0
    .vgpr_spill_count: 0
    .wavefront_size: 64
  - .agpr_count:     0
    .args:
      - .offset:         0
        .size:           32
        .value_kind:     by_value
    .group_segment_fixed_size: 0
    .kernarg_segment_align: 8
    .kernarg_segment_size: 32
    .language:       OpenCL C
    .language_version:
      - 2
      - 0
    .max_flat_workgroup_size: 256
    .name:           _ZN7rocprim17ROCPRIM_400000_NS6detail17trampoline_kernelINS0_14default_configENS1_20scan_config_selectorItEEZZNS1_9scan_implILNS1_25lookback_scan_determinismE0ELb0ELb0ES3_N6thrust23THRUST_200600_302600_NS6detail15normal_iteratorINS9_10device_ptrItEEEESE_tNS9_4plusIvEEtEEDaPvRmT3_T4_T5_mT6_P12ihipStream_tbENKUlT_T0_E_clISt17integral_constantIbLb0EESU_EEDaSP_SQ_EUlSP_E0_NS1_11comp_targetILNS1_3genE2ELNS1_11target_archE906ELNS1_3gpuE6ELNS1_3repE0EEENS1_30default_config_static_selectorELNS0_4arch9wavefront6targetE1EEEvT1_
    .private_segment_fixed_size: 0
    .sgpr_count:     4
    .sgpr_spill_count: 0
    .symbol:         _ZN7rocprim17ROCPRIM_400000_NS6detail17trampoline_kernelINS0_14default_configENS1_20scan_config_selectorItEEZZNS1_9scan_implILNS1_25lookback_scan_determinismE0ELb0ELb0ES3_N6thrust23THRUST_200600_302600_NS6detail15normal_iteratorINS9_10device_ptrItEEEESE_tNS9_4plusIvEEtEEDaPvRmT3_T4_T5_mT6_P12ihipStream_tbENKUlT_T0_E_clISt17integral_constantIbLb0EESU_EEDaSP_SQ_EUlSP_E0_NS1_11comp_targetILNS1_3genE2ELNS1_11target_archE906ELNS1_3gpuE6ELNS1_3repE0EEENS1_30default_config_static_selectorELNS0_4arch9wavefront6targetE1EEEvT1_.kd
    .uniform_work_group_size: 1
    .uses_dynamic_stack: false
    .vgpr_count:     0
    .vgpr_spill_count: 0
    .wavefront_size: 64
  - .agpr_count:     0
    .args:
      - .offset:         0
        .size:           32
        .value_kind:     by_value
    .group_segment_fixed_size: 0
    .kernarg_segment_align: 8
    .kernarg_segment_size: 32
    .language:       OpenCL C
    .language_version:
      - 2
      - 0
    .max_flat_workgroup_size: 256
    .name:           _ZN7rocprim17ROCPRIM_400000_NS6detail17trampoline_kernelINS0_14default_configENS1_20scan_config_selectorItEEZZNS1_9scan_implILNS1_25lookback_scan_determinismE0ELb0ELb0ES3_N6thrust23THRUST_200600_302600_NS6detail15normal_iteratorINS9_10device_ptrItEEEESE_tNS9_4plusIvEEtEEDaPvRmT3_T4_T5_mT6_P12ihipStream_tbENKUlT_T0_E_clISt17integral_constantIbLb0EESU_EEDaSP_SQ_EUlSP_E0_NS1_11comp_targetILNS1_3genE10ELNS1_11target_archE1201ELNS1_3gpuE5ELNS1_3repE0EEENS1_30default_config_static_selectorELNS0_4arch9wavefront6targetE1EEEvT1_
    .private_segment_fixed_size: 0
    .sgpr_count:     4
    .sgpr_spill_count: 0
    .symbol:         _ZN7rocprim17ROCPRIM_400000_NS6detail17trampoline_kernelINS0_14default_configENS1_20scan_config_selectorItEEZZNS1_9scan_implILNS1_25lookback_scan_determinismE0ELb0ELb0ES3_N6thrust23THRUST_200600_302600_NS6detail15normal_iteratorINS9_10device_ptrItEEEESE_tNS9_4plusIvEEtEEDaPvRmT3_T4_T5_mT6_P12ihipStream_tbENKUlT_T0_E_clISt17integral_constantIbLb0EESU_EEDaSP_SQ_EUlSP_E0_NS1_11comp_targetILNS1_3genE10ELNS1_11target_archE1201ELNS1_3gpuE5ELNS1_3repE0EEENS1_30default_config_static_selectorELNS0_4arch9wavefront6targetE1EEEvT1_.kd
    .uniform_work_group_size: 1
    .uses_dynamic_stack: false
    .vgpr_count:     0
    .vgpr_spill_count: 0
    .wavefront_size: 64
  - .agpr_count:     0
    .args:
      - .offset:         0
        .size:           32
        .value_kind:     by_value
    .group_segment_fixed_size: 0
    .kernarg_segment_align: 8
    .kernarg_segment_size: 32
    .language:       OpenCL C
    .language_version:
      - 2
      - 0
    .max_flat_workgroup_size: 256
    .name:           _ZN7rocprim17ROCPRIM_400000_NS6detail17trampoline_kernelINS0_14default_configENS1_20scan_config_selectorItEEZZNS1_9scan_implILNS1_25lookback_scan_determinismE0ELb0ELb0ES3_N6thrust23THRUST_200600_302600_NS6detail15normal_iteratorINS9_10device_ptrItEEEESE_tNS9_4plusIvEEtEEDaPvRmT3_T4_T5_mT6_P12ihipStream_tbENKUlT_T0_E_clISt17integral_constantIbLb0EESU_EEDaSP_SQ_EUlSP_E0_NS1_11comp_targetILNS1_3genE10ELNS1_11target_archE1200ELNS1_3gpuE4ELNS1_3repE0EEENS1_30default_config_static_selectorELNS0_4arch9wavefront6targetE1EEEvT1_
    .private_segment_fixed_size: 0
    .sgpr_count:     4
    .sgpr_spill_count: 0
    .symbol:         _ZN7rocprim17ROCPRIM_400000_NS6detail17trampoline_kernelINS0_14default_configENS1_20scan_config_selectorItEEZZNS1_9scan_implILNS1_25lookback_scan_determinismE0ELb0ELb0ES3_N6thrust23THRUST_200600_302600_NS6detail15normal_iteratorINS9_10device_ptrItEEEESE_tNS9_4plusIvEEtEEDaPvRmT3_T4_T5_mT6_P12ihipStream_tbENKUlT_T0_E_clISt17integral_constantIbLb0EESU_EEDaSP_SQ_EUlSP_E0_NS1_11comp_targetILNS1_3genE10ELNS1_11target_archE1200ELNS1_3gpuE4ELNS1_3repE0EEENS1_30default_config_static_selectorELNS0_4arch9wavefront6targetE1EEEvT1_.kd
    .uniform_work_group_size: 1
    .uses_dynamic_stack: false
    .vgpr_count:     0
    .vgpr_spill_count: 0
    .wavefront_size: 64
  - .agpr_count:     0
    .args:
      - .offset:         0
        .size:           32
        .value_kind:     by_value
    .group_segment_fixed_size: 0
    .kernarg_segment_align: 8
    .kernarg_segment_size: 32
    .language:       OpenCL C
    .language_version:
      - 2
      - 0
    .max_flat_workgroup_size: 64
    .name:           _ZN7rocprim17ROCPRIM_400000_NS6detail17trampoline_kernelINS0_14default_configENS1_20scan_config_selectorItEEZZNS1_9scan_implILNS1_25lookback_scan_determinismE0ELb0ELb0ES3_N6thrust23THRUST_200600_302600_NS6detail15normal_iteratorINS9_10device_ptrItEEEESE_tNS9_4plusIvEEtEEDaPvRmT3_T4_T5_mT6_P12ihipStream_tbENKUlT_T0_E_clISt17integral_constantIbLb0EESU_EEDaSP_SQ_EUlSP_E0_NS1_11comp_targetILNS1_3genE9ELNS1_11target_archE1100ELNS1_3gpuE3ELNS1_3repE0EEENS1_30default_config_static_selectorELNS0_4arch9wavefront6targetE1EEEvT1_
    .private_segment_fixed_size: 0
    .sgpr_count:     4
    .sgpr_spill_count: 0
    .symbol:         _ZN7rocprim17ROCPRIM_400000_NS6detail17trampoline_kernelINS0_14default_configENS1_20scan_config_selectorItEEZZNS1_9scan_implILNS1_25lookback_scan_determinismE0ELb0ELb0ES3_N6thrust23THRUST_200600_302600_NS6detail15normal_iteratorINS9_10device_ptrItEEEESE_tNS9_4plusIvEEtEEDaPvRmT3_T4_T5_mT6_P12ihipStream_tbENKUlT_T0_E_clISt17integral_constantIbLb0EESU_EEDaSP_SQ_EUlSP_E0_NS1_11comp_targetILNS1_3genE9ELNS1_11target_archE1100ELNS1_3gpuE3ELNS1_3repE0EEENS1_30default_config_static_selectorELNS0_4arch9wavefront6targetE1EEEvT1_.kd
    .uniform_work_group_size: 1
    .uses_dynamic_stack: false
    .vgpr_count:     0
    .vgpr_spill_count: 0
    .wavefront_size: 64
  - .agpr_count:     0
    .args:
      - .offset:         0
        .size:           32
        .value_kind:     by_value
    .group_segment_fixed_size: 0
    .kernarg_segment_align: 8
    .kernarg_segment_size: 32
    .language:       OpenCL C
    .language_version:
      - 2
      - 0
    .max_flat_workgroup_size: 64
    .name:           _ZN7rocprim17ROCPRIM_400000_NS6detail17trampoline_kernelINS0_14default_configENS1_20scan_config_selectorItEEZZNS1_9scan_implILNS1_25lookback_scan_determinismE0ELb0ELb0ES3_N6thrust23THRUST_200600_302600_NS6detail15normal_iteratorINS9_10device_ptrItEEEESE_tNS9_4plusIvEEtEEDaPvRmT3_T4_T5_mT6_P12ihipStream_tbENKUlT_T0_E_clISt17integral_constantIbLb0EESU_EEDaSP_SQ_EUlSP_E0_NS1_11comp_targetILNS1_3genE8ELNS1_11target_archE1030ELNS1_3gpuE2ELNS1_3repE0EEENS1_30default_config_static_selectorELNS0_4arch9wavefront6targetE1EEEvT1_
    .private_segment_fixed_size: 0
    .sgpr_count:     4
    .sgpr_spill_count: 0
    .symbol:         _ZN7rocprim17ROCPRIM_400000_NS6detail17trampoline_kernelINS0_14default_configENS1_20scan_config_selectorItEEZZNS1_9scan_implILNS1_25lookback_scan_determinismE0ELb0ELb0ES3_N6thrust23THRUST_200600_302600_NS6detail15normal_iteratorINS9_10device_ptrItEEEESE_tNS9_4plusIvEEtEEDaPvRmT3_T4_T5_mT6_P12ihipStream_tbENKUlT_T0_E_clISt17integral_constantIbLb0EESU_EEDaSP_SQ_EUlSP_E0_NS1_11comp_targetILNS1_3genE8ELNS1_11target_archE1030ELNS1_3gpuE2ELNS1_3repE0EEENS1_30default_config_static_selectorELNS0_4arch9wavefront6targetE1EEEvT1_.kd
    .uniform_work_group_size: 1
    .uses_dynamic_stack: false
    .vgpr_count:     0
    .vgpr_spill_count: 0
    .wavefront_size: 64
  - .agpr_count:     0
    .args:
      - .offset:         0
        .size:           96
        .value_kind:     by_value
    .group_segment_fixed_size: 0
    .kernarg_segment_align: 8
    .kernarg_segment_size: 96
    .language:       OpenCL C
    .language_version:
      - 2
      - 0
    .max_flat_workgroup_size: 128
    .name:           _ZN7rocprim17ROCPRIM_400000_NS6detail17trampoline_kernelINS0_14default_configENS1_20scan_config_selectorItEEZZNS1_9scan_implILNS1_25lookback_scan_determinismE0ELb0ELb0ES3_N6thrust23THRUST_200600_302600_NS6detail15normal_iteratorINS9_10device_ptrItEEEESE_tNS9_4plusIvEEtEEDaPvRmT3_T4_T5_mT6_P12ihipStream_tbENKUlT_T0_E_clISt17integral_constantIbLb1EESU_EEDaSP_SQ_EUlSP_E_NS1_11comp_targetILNS1_3genE0ELNS1_11target_archE4294967295ELNS1_3gpuE0ELNS1_3repE0EEENS1_30default_config_static_selectorELNS0_4arch9wavefront6targetE1EEEvT1_
    .private_segment_fixed_size: 0
    .sgpr_count:     4
    .sgpr_spill_count: 0
    .symbol:         _ZN7rocprim17ROCPRIM_400000_NS6detail17trampoline_kernelINS0_14default_configENS1_20scan_config_selectorItEEZZNS1_9scan_implILNS1_25lookback_scan_determinismE0ELb0ELb0ES3_N6thrust23THRUST_200600_302600_NS6detail15normal_iteratorINS9_10device_ptrItEEEESE_tNS9_4plusIvEEtEEDaPvRmT3_T4_T5_mT6_P12ihipStream_tbENKUlT_T0_E_clISt17integral_constantIbLb1EESU_EEDaSP_SQ_EUlSP_E_NS1_11comp_targetILNS1_3genE0ELNS1_11target_archE4294967295ELNS1_3gpuE0ELNS1_3repE0EEENS1_30default_config_static_selectorELNS0_4arch9wavefront6targetE1EEEvT1_.kd
    .uniform_work_group_size: 1
    .uses_dynamic_stack: false
    .vgpr_count:     0
    .vgpr_spill_count: 0
    .wavefront_size: 64
  - .agpr_count:     0
    .args:
      - .offset:         0
        .size:           96
        .value_kind:     by_value
    .group_segment_fixed_size: 0
    .kernarg_segment_align: 8
    .kernarg_segment_size: 96
    .language:       OpenCL C
    .language_version:
      - 2
      - 0
    .max_flat_workgroup_size: 256
    .name:           _ZN7rocprim17ROCPRIM_400000_NS6detail17trampoline_kernelINS0_14default_configENS1_20scan_config_selectorItEEZZNS1_9scan_implILNS1_25lookback_scan_determinismE0ELb0ELb0ES3_N6thrust23THRUST_200600_302600_NS6detail15normal_iteratorINS9_10device_ptrItEEEESE_tNS9_4plusIvEEtEEDaPvRmT3_T4_T5_mT6_P12ihipStream_tbENKUlT_T0_E_clISt17integral_constantIbLb1EESU_EEDaSP_SQ_EUlSP_E_NS1_11comp_targetILNS1_3genE5ELNS1_11target_archE942ELNS1_3gpuE9ELNS1_3repE0EEENS1_30default_config_static_selectorELNS0_4arch9wavefront6targetE1EEEvT1_
    .private_segment_fixed_size: 0
    .sgpr_count:     4
    .sgpr_spill_count: 0
    .symbol:         _ZN7rocprim17ROCPRIM_400000_NS6detail17trampoline_kernelINS0_14default_configENS1_20scan_config_selectorItEEZZNS1_9scan_implILNS1_25lookback_scan_determinismE0ELb0ELb0ES3_N6thrust23THRUST_200600_302600_NS6detail15normal_iteratorINS9_10device_ptrItEEEESE_tNS9_4plusIvEEtEEDaPvRmT3_T4_T5_mT6_P12ihipStream_tbENKUlT_T0_E_clISt17integral_constantIbLb1EESU_EEDaSP_SQ_EUlSP_E_NS1_11comp_targetILNS1_3genE5ELNS1_11target_archE942ELNS1_3gpuE9ELNS1_3repE0EEENS1_30default_config_static_selectorELNS0_4arch9wavefront6targetE1EEEvT1_.kd
    .uniform_work_group_size: 1
    .uses_dynamic_stack: false
    .vgpr_count:     0
    .vgpr_spill_count: 0
    .wavefront_size: 64
  - .agpr_count:     0
    .args:
      - .offset:         0
        .size:           96
        .value_kind:     by_value
    .group_segment_fixed_size: 3072
    .kernarg_segment_align: 8
    .kernarg_segment_size: 96
    .language:       OpenCL C
    .language_version:
      - 2
      - 0
    .max_flat_workgroup_size: 64
    .name:           _ZN7rocprim17ROCPRIM_400000_NS6detail17trampoline_kernelINS0_14default_configENS1_20scan_config_selectorItEEZZNS1_9scan_implILNS1_25lookback_scan_determinismE0ELb0ELb0ES3_N6thrust23THRUST_200600_302600_NS6detail15normal_iteratorINS9_10device_ptrItEEEESE_tNS9_4plusIvEEtEEDaPvRmT3_T4_T5_mT6_P12ihipStream_tbENKUlT_T0_E_clISt17integral_constantIbLb1EESU_EEDaSP_SQ_EUlSP_E_NS1_11comp_targetILNS1_3genE4ELNS1_11target_archE910ELNS1_3gpuE8ELNS1_3repE0EEENS1_30default_config_static_selectorELNS0_4arch9wavefront6targetE1EEEvT1_
    .private_segment_fixed_size: 0
    .sgpr_count:     42
    .sgpr_spill_count: 0
    .symbol:         _ZN7rocprim17ROCPRIM_400000_NS6detail17trampoline_kernelINS0_14default_configENS1_20scan_config_selectorItEEZZNS1_9scan_implILNS1_25lookback_scan_determinismE0ELb0ELb0ES3_N6thrust23THRUST_200600_302600_NS6detail15normal_iteratorINS9_10device_ptrItEEEESE_tNS9_4plusIvEEtEEDaPvRmT3_T4_T5_mT6_P12ihipStream_tbENKUlT_T0_E_clISt17integral_constantIbLb1EESU_EEDaSP_SQ_EUlSP_E_NS1_11comp_targetILNS1_3genE4ELNS1_11target_archE910ELNS1_3gpuE8ELNS1_3repE0EEENS1_30default_config_static_selectorELNS0_4arch9wavefront6targetE1EEEvT1_.kd
    .uniform_work_group_size: 1
    .uses_dynamic_stack: false
    .vgpr_count:     54
    .vgpr_spill_count: 0
    .wavefront_size: 64
  - .agpr_count:     0
    .args:
      - .offset:         0
        .size:           96
        .value_kind:     by_value
    .group_segment_fixed_size: 0
    .kernarg_segment_align: 8
    .kernarg_segment_size: 96
    .language:       OpenCL C
    .language_version:
      - 2
      - 0
    .max_flat_workgroup_size: 128
    .name:           _ZN7rocprim17ROCPRIM_400000_NS6detail17trampoline_kernelINS0_14default_configENS1_20scan_config_selectorItEEZZNS1_9scan_implILNS1_25lookback_scan_determinismE0ELb0ELb0ES3_N6thrust23THRUST_200600_302600_NS6detail15normal_iteratorINS9_10device_ptrItEEEESE_tNS9_4plusIvEEtEEDaPvRmT3_T4_T5_mT6_P12ihipStream_tbENKUlT_T0_E_clISt17integral_constantIbLb1EESU_EEDaSP_SQ_EUlSP_E_NS1_11comp_targetILNS1_3genE3ELNS1_11target_archE908ELNS1_3gpuE7ELNS1_3repE0EEENS1_30default_config_static_selectorELNS0_4arch9wavefront6targetE1EEEvT1_
    .private_segment_fixed_size: 0
    .sgpr_count:     4
    .sgpr_spill_count: 0
    .symbol:         _ZN7rocprim17ROCPRIM_400000_NS6detail17trampoline_kernelINS0_14default_configENS1_20scan_config_selectorItEEZZNS1_9scan_implILNS1_25lookback_scan_determinismE0ELb0ELb0ES3_N6thrust23THRUST_200600_302600_NS6detail15normal_iteratorINS9_10device_ptrItEEEESE_tNS9_4plusIvEEtEEDaPvRmT3_T4_T5_mT6_P12ihipStream_tbENKUlT_T0_E_clISt17integral_constantIbLb1EESU_EEDaSP_SQ_EUlSP_E_NS1_11comp_targetILNS1_3genE3ELNS1_11target_archE908ELNS1_3gpuE7ELNS1_3repE0EEENS1_30default_config_static_selectorELNS0_4arch9wavefront6targetE1EEEvT1_.kd
    .uniform_work_group_size: 1
    .uses_dynamic_stack: false
    .vgpr_count:     0
    .vgpr_spill_count: 0
    .wavefront_size: 64
  - .agpr_count:     0
    .args:
      - .offset:         0
        .size:           96
        .value_kind:     by_value
    .group_segment_fixed_size: 0
    .kernarg_segment_align: 8
    .kernarg_segment_size: 96
    .language:       OpenCL C
    .language_version:
      - 2
      - 0
    .max_flat_workgroup_size: 256
    .name:           _ZN7rocprim17ROCPRIM_400000_NS6detail17trampoline_kernelINS0_14default_configENS1_20scan_config_selectorItEEZZNS1_9scan_implILNS1_25lookback_scan_determinismE0ELb0ELb0ES3_N6thrust23THRUST_200600_302600_NS6detail15normal_iteratorINS9_10device_ptrItEEEESE_tNS9_4plusIvEEtEEDaPvRmT3_T4_T5_mT6_P12ihipStream_tbENKUlT_T0_E_clISt17integral_constantIbLb1EESU_EEDaSP_SQ_EUlSP_E_NS1_11comp_targetILNS1_3genE2ELNS1_11target_archE906ELNS1_3gpuE6ELNS1_3repE0EEENS1_30default_config_static_selectorELNS0_4arch9wavefront6targetE1EEEvT1_
    .private_segment_fixed_size: 0
    .sgpr_count:     4
    .sgpr_spill_count: 0
    .symbol:         _ZN7rocprim17ROCPRIM_400000_NS6detail17trampoline_kernelINS0_14default_configENS1_20scan_config_selectorItEEZZNS1_9scan_implILNS1_25lookback_scan_determinismE0ELb0ELb0ES3_N6thrust23THRUST_200600_302600_NS6detail15normal_iteratorINS9_10device_ptrItEEEESE_tNS9_4plusIvEEtEEDaPvRmT3_T4_T5_mT6_P12ihipStream_tbENKUlT_T0_E_clISt17integral_constantIbLb1EESU_EEDaSP_SQ_EUlSP_E_NS1_11comp_targetILNS1_3genE2ELNS1_11target_archE906ELNS1_3gpuE6ELNS1_3repE0EEENS1_30default_config_static_selectorELNS0_4arch9wavefront6targetE1EEEvT1_.kd
    .uniform_work_group_size: 1
    .uses_dynamic_stack: false
    .vgpr_count:     0
    .vgpr_spill_count: 0
    .wavefront_size: 64
  - .agpr_count:     0
    .args:
      - .offset:         0
        .size:           96
        .value_kind:     by_value
    .group_segment_fixed_size: 0
    .kernarg_segment_align: 8
    .kernarg_segment_size: 96
    .language:       OpenCL C
    .language_version:
      - 2
      - 0
    .max_flat_workgroup_size: 256
    .name:           _ZN7rocprim17ROCPRIM_400000_NS6detail17trampoline_kernelINS0_14default_configENS1_20scan_config_selectorItEEZZNS1_9scan_implILNS1_25lookback_scan_determinismE0ELb0ELb0ES3_N6thrust23THRUST_200600_302600_NS6detail15normal_iteratorINS9_10device_ptrItEEEESE_tNS9_4plusIvEEtEEDaPvRmT3_T4_T5_mT6_P12ihipStream_tbENKUlT_T0_E_clISt17integral_constantIbLb1EESU_EEDaSP_SQ_EUlSP_E_NS1_11comp_targetILNS1_3genE10ELNS1_11target_archE1201ELNS1_3gpuE5ELNS1_3repE0EEENS1_30default_config_static_selectorELNS0_4arch9wavefront6targetE1EEEvT1_
    .private_segment_fixed_size: 0
    .sgpr_count:     4
    .sgpr_spill_count: 0
    .symbol:         _ZN7rocprim17ROCPRIM_400000_NS6detail17trampoline_kernelINS0_14default_configENS1_20scan_config_selectorItEEZZNS1_9scan_implILNS1_25lookback_scan_determinismE0ELb0ELb0ES3_N6thrust23THRUST_200600_302600_NS6detail15normal_iteratorINS9_10device_ptrItEEEESE_tNS9_4plusIvEEtEEDaPvRmT3_T4_T5_mT6_P12ihipStream_tbENKUlT_T0_E_clISt17integral_constantIbLb1EESU_EEDaSP_SQ_EUlSP_E_NS1_11comp_targetILNS1_3genE10ELNS1_11target_archE1201ELNS1_3gpuE5ELNS1_3repE0EEENS1_30default_config_static_selectorELNS0_4arch9wavefront6targetE1EEEvT1_.kd
    .uniform_work_group_size: 1
    .uses_dynamic_stack: false
    .vgpr_count:     0
    .vgpr_spill_count: 0
    .wavefront_size: 64
  - .agpr_count:     0
    .args:
      - .offset:         0
        .size:           96
        .value_kind:     by_value
    .group_segment_fixed_size: 0
    .kernarg_segment_align: 8
    .kernarg_segment_size: 96
    .language:       OpenCL C
    .language_version:
      - 2
      - 0
    .max_flat_workgroup_size: 256
    .name:           _ZN7rocprim17ROCPRIM_400000_NS6detail17trampoline_kernelINS0_14default_configENS1_20scan_config_selectorItEEZZNS1_9scan_implILNS1_25lookback_scan_determinismE0ELb0ELb0ES3_N6thrust23THRUST_200600_302600_NS6detail15normal_iteratorINS9_10device_ptrItEEEESE_tNS9_4plusIvEEtEEDaPvRmT3_T4_T5_mT6_P12ihipStream_tbENKUlT_T0_E_clISt17integral_constantIbLb1EESU_EEDaSP_SQ_EUlSP_E_NS1_11comp_targetILNS1_3genE10ELNS1_11target_archE1200ELNS1_3gpuE4ELNS1_3repE0EEENS1_30default_config_static_selectorELNS0_4arch9wavefront6targetE1EEEvT1_
    .private_segment_fixed_size: 0
    .sgpr_count:     4
    .sgpr_spill_count: 0
    .symbol:         _ZN7rocprim17ROCPRIM_400000_NS6detail17trampoline_kernelINS0_14default_configENS1_20scan_config_selectorItEEZZNS1_9scan_implILNS1_25lookback_scan_determinismE0ELb0ELb0ES3_N6thrust23THRUST_200600_302600_NS6detail15normal_iteratorINS9_10device_ptrItEEEESE_tNS9_4plusIvEEtEEDaPvRmT3_T4_T5_mT6_P12ihipStream_tbENKUlT_T0_E_clISt17integral_constantIbLb1EESU_EEDaSP_SQ_EUlSP_E_NS1_11comp_targetILNS1_3genE10ELNS1_11target_archE1200ELNS1_3gpuE4ELNS1_3repE0EEENS1_30default_config_static_selectorELNS0_4arch9wavefront6targetE1EEEvT1_.kd
    .uniform_work_group_size: 1
    .uses_dynamic_stack: false
    .vgpr_count:     0
    .vgpr_spill_count: 0
    .wavefront_size: 64
  - .agpr_count:     0
    .args:
      - .offset:         0
        .size:           96
        .value_kind:     by_value
    .group_segment_fixed_size: 0
    .kernarg_segment_align: 8
    .kernarg_segment_size: 96
    .language:       OpenCL C
    .language_version:
      - 2
      - 0
    .max_flat_workgroup_size: 64
    .name:           _ZN7rocprim17ROCPRIM_400000_NS6detail17trampoline_kernelINS0_14default_configENS1_20scan_config_selectorItEEZZNS1_9scan_implILNS1_25lookback_scan_determinismE0ELb0ELb0ES3_N6thrust23THRUST_200600_302600_NS6detail15normal_iteratorINS9_10device_ptrItEEEESE_tNS9_4plusIvEEtEEDaPvRmT3_T4_T5_mT6_P12ihipStream_tbENKUlT_T0_E_clISt17integral_constantIbLb1EESU_EEDaSP_SQ_EUlSP_E_NS1_11comp_targetILNS1_3genE9ELNS1_11target_archE1100ELNS1_3gpuE3ELNS1_3repE0EEENS1_30default_config_static_selectorELNS0_4arch9wavefront6targetE1EEEvT1_
    .private_segment_fixed_size: 0
    .sgpr_count:     4
    .sgpr_spill_count: 0
    .symbol:         _ZN7rocprim17ROCPRIM_400000_NS6detail17trampoline_kernelINS0_14default_configENS1_20scan_config_selectorItEEZZNS1_9scan_implILNS1_25lookback_scan_determinismE0ELb0ELb0ES3_N6thrust23THRUST_200600_302600_NS6detail15normal_iteratorINS9_10device_ptrItEEEESE_tNS9_4plusIvEEtEEDaPvRmT3_T4_T5_mT6_P12ihipStream_tbENKUlT_T0_E_clISt17integral_constantIbLb1EESU_EEDaSP_SQ_EUlSP_E_NS1_11comp_targetILNS1_3genE9ELNS1_11target_archE1100ELNS1_3gpuE3ELNS1_3repE0EEENS1_30default_config_static_selectorELNS0_4arch9wavefront6targetE1EEEvT1_.kd
    .uniform_work_group_size: 1
    .uses_dynamic_stack: false
    .vgpr_count:     0
    .vgpr_spill_count: 0
    .wavefront_size: 64
  - .agpr_count:     0
    .args:
      - .offset:         0
        .size:           96
        .value_kind:     by_value
    .group_segment_fixed_size: 0
    .kernarg_segment_align: 8
    .kernarg_segment_size: 96
    .language:       OpenCL C
    .language_version:
      - 2
      - 0
    .max_flat_workgroup_size: 64
    .name:           _ZN7rocprim17ROCPRIM_400000_NS6detail17trampoline_kernelINS0_14default_configENS1_20scan_config_selectorItEEZZNS1_9scan_implILNS1_25lookback_scan_determinismE0ELb0ELb0ES3_N6thrust23THRUST_200600_302600_NS6detail15normal_iteratorINS9_10device_ptrItEEEESE_tNS9_4plusIvEEtEEDaPvRmT3_T4_T5_mT6_P12ihipStream_tbENKUlT_T0_E_clISt17integral_constantIbLb1EESU_EEDaSP_SQ_EUlSP_E_NS1_11comp_targetILNS1_3genE8ELNS1_11target_archE1030ELNS1_3gpuE2ELNS1_3repE0EEENS1_30default_config_static_selectorELNS0_4arch9wavefront6targetE1EEEvT1_
    .private_segment_fixed_size: 0
    .sgpr_count:     4
    .sgpr_spill_count: 0
    .symbol:         _ZN7rocprim17ROCPRIM_400000_NS6detail17trampoline_kernelINS0_14default_configENS1_20scan_config_selectorItEEZZNS1_9scan_implILNS1_25lookback_scan_determinismE0ELb0ELb0ES3_N6thrust23THRUST_200600_302600_NS6detail15normal_iteratorINS9_10device_ptrItEEEESE_tNS9_4plusIvEEtEEDaPvRmT3_T4_T5_mT6_P12ihipStream_tbENKUlT_T0_E_clISt17integral_constantIbLb1EESU_EEDaSP_SQ_EUlSP_E_NS1_11comp_targetILNS1_3genE8ELNS1_11target_archE1030ELNS1_3gpuE2ELNS1_3repE0EEENS1_30default_config_static_selectorELNS0_4arch9wavefront6targetE1EEEvT1_.kd
    .uniform_work_group_size: 1
    .uses_dynamic_stack: false
    .vgpr_count:     0
    .vgpr_spill_count: 0
    .wavefront_size: 64
  - .agpr_count:     0
    .args:
      - .offset:         0
        .size:           32
        .value_kind:     by_value
    .group_segment_fixed_size: 0
    .kernarg_segment_align: 8
    .kernarg_segment_size: 32
    .language:       OpenCL C
    .language_version:
      - 2
      - 0
    .max_flat_workgroup_size: 128
    .name:           _ZN7rocprim17ROCPRIM_400000_NS6detail17trampoline_kernelINS0_14default_configENS1_20scan_config_selectorItEEZZNS1_9scan_implILNS1_25lookback_scan_determinismE0ELb0ELb0ES3_N6thrust23THRUST_200600_302600_NS6detail15normal_iteratorINS9_10device_ptrItEEEESE_tNS9_4plusIvEEtEEDaPvRmT3_T4_T5_mT6_P12ihipStream_tbENKUlT_T0_E_clISt17integral_constantIbLb1EESU_EEDaSP_SQ_EUlSP_E0_NS1_11comp_targetILNS1_3genE0ELNS1_11target_archE4294967295ELNS1_3gpuE0ELNS1_3repE0EEENS1_30default_config_static_selectorELNS0_4arch9wavefront6targetE1EEEvT1_
    .private_segment_fixed_size: 0
    .sgpr_count:     4
    .sgpr_spill_count: 0
    .symbol:         _ZN7rocprim17ROCPRIM_400000_NS6detail17trampoline_kernelINS0_14default_configENS1_20scan_config_selectorItEEZZNS1_9scan_implILNS1_25lookback_scan_determinismE0ELb0ELb0ES3_N6thrust23THRUST_200600_302600_NS6detail15normal_iteratorINS9_10device_ptrItEEEESE_tNS9_4plusIvEEtEEDaPvRmT3_T4_T5_mT6_P12ihipStream_tbENKUlT_T0_E_clISt17integral_constantIbLb1EESU_EEDaSP_SQ_EUlSP_E0_NS1_11comp_targetILNS1_3genE0ELNS1_11target_archE4294967295ELNS1_3gpuE0ELNS1_3repE0EEENS1_30default_config_static_selectorELNS0_4arch9wavefront6targetE1EEEvT1_.kd
    .uniform_work_group_size: 1
    .uses_dynamic_stack: false
    .vgpr_count:     0
    .vgpr_spill_count: 0
    .wavefront_size: 64
  - .agpr_count:     0
    .args:
      - .offset:         0
        .size:           32
        .value_kind:     by_value
    .group_segment_fixed_size: 0
    .kernarg_segment_align: 8
    .kernarg_segment_size: 32
    .language:       OpenCL C
    .language_version:
      - 2
      - 0
    .max_flat_workgroup_size: 256
    .name:           _ZN7rocprim17ROCPRIM_400000_NS6detail17trampoline_kernelINS0_14default_configENS1_20scan_config_selectorItEEZZNS1_9scan_implILNS1_25lookback_scan_determinismE0ELb0ELb0ES3_N6thrust23THRUST_200600_302600_NS6detail15normal_iteratorINS9_10device_ptrItEEEESE_tNS9_4plusIvEEtEEDaPvRmT3_T4_T5_mT6_P12ihipStream_tbENKUlT_T0_E_clISt17integral_constantIbLb1EESU_EEDaSP_SQ_EUlSP_E0_NS1_11comp_targetILNS1_3genE5ELNS1_11target_archE942ELNS1_3gpuE9ELNS1_3repE0EEENS1_30default_config_static_selectorELNS0_4arch9wavefront6targetE1EEEvT1_
    .private_segment_fixed_size: 0
    .sgpr_count:     4
    .sgpr_spill_count: 0
    .symbol:         _ZN7rocprim17ROCPRIM_400000_NS6detail17trampoline_kernelINS0_14default_configENS1_20scan_config_selectorItEEZZNS1_9scan_implILNS1_25lookback_scan_determinismE0ELb0ELb0ES3_N6thrust23THRUST_200600_302600_NS6detail15normal_iteratorINS9_10device_ptrItEEEESE_tNS9_4plusIvEEtEEDaPvRmT3_T4_T5_mT6_P12ihipStream_tbENKUlT_T0_E_clISt17integral_constantIbLb1EESU_EEDaSP_SQ_EUlSP_E0_NS1_11comp_targetILNS1_3genE5ELNS1_11target_archE942ELNS1_3gpuE9ELNS1_3repE0EEENS1_30default_config_static_selectorELNS0_4arch9wavefront6targetE1EEEvT1_.kd
    .uniform_work_group_size: 1
    .uses_dynamic_stack: false
    .vgpr_count:     0
    .vgpr_spill_count: 0
    .wavefront_size: 64
  - .agpr_count:     0
    .args:
      - .offset:         0
        .size:           32
        .value_kind:     by_value
    .group_segment_fixed_size: 3072
    .kernarg_segment_align: 8
    .kernarg_segment_size: 32
    .language:       OpenCL C
    .language_version:
      - 2
      - 0
    .max_flat_workgroup_size: 64
    .name:           _ZN7rocprim17ROCPRIM_400000_NS6detail17trampoline_kernelINS0_14default_configENS1_20scan_config_selectorItEEZZNS1_9scan_implILNS1_25lookback_scan_determinismE0ELb0ELb0ES3_N6thrust23THRUST_200600_302600_NS6detail15normal_iteratorINS9_10device_ptrItEEEESE_tNS9_4plusIvEEtEEDaPvRmT3_T4_T5_mT6_P12ihipStream_tbENKUlT_T0_E_clISt17integral_constantIbLb1EESU_EEDaSP_SQ_EUlSP_E0_NS1_11comp_targetILNS1_3genE4ELNS1_11target_archE910ELNS1_3gpuE8ELNS1_3repE0EEENS1_30default_config_static_selectorELNS0_4arch9wavefront6targetE1EEEvT1_
    .private_segment_fixed_size: 0
    .sgpr_count:     60
    .sgpr_spill_count: 0
    .symbol:         _ZN7rocprim17ROCPRIM_400000_NS6detail17trampoline_kernelINS0_14default_configENS1_20scan_config_selectorItEEZZNS1_9scan_implILNS1_25lookback_scan_determinismE0ELb0ELb0ES3_N6thrust23THRUST_200600_302600_NS6detail15normal_iteratorINS9_10device_ptrItEEEESE_tNS9_4plusIvEEtEEDaPvRmT3_T4_T5_mT6_P12ihipStream_tbENKUlT_T0_E_clISt17integral_constantIbLb1EESU_EEDaSP_SQ_EUlSP_E0_NS1_11comp_targetILNS1_3genE4ELNS1_11target_archE910ELNS1_3gpuE8ELNS1_3repE0EEENS1_30default_config_static_selectorELNS0_4arch9wavefront6targetE1EEEvT1_.kd
    .uniform_work_group_size: 1
    .uses_dynamic_stack: false
    .vgpr_count:     42
    .vgpr_spill_count: 0
    .wavefront_size: 64
  - .agpr_count:     0
    .args:
      - .offset:         0
        .size:           32
        .value_kind:     by_value
    .group_segment_fixed_size: 0
    .kernarg_segment_align: 8
    .kernarg_segment_size: 32
    .language:       OpenCL C
    .language_version:
      - 2
      - 0
    .max_flat_workgroup_size: 128
    .name:           _ZN7rocprim17ROCPRIM_400000_NS6detail17trampoline_kernelINS0_14default_configENS1_20scan_config_selectorItEEZZNS1_9scan_implILNS1_25lookback_scan_determinismE0ELb0ELb0ES3_N6thrust23THRUST_200600_302600_NS6detail15normal_iteratorINS9_10device_ptrItEEEESE_tNS9_4plusIvEEtEEDaPvRmT3_T4_T5_mT6_P12ihipStream_tbENKUlT_T0_E_clISt17integral_constantIbLb1EESU_EEDaSP_SQ_EUlSP_E0_NS1_11comp_targetILNS1_3genE3ELNS1_11target_archE908ELNS1_3gpuE7ELNS1_3repE0EEENS1_30default_config_static_selectorELNS0_4arch9wavefront6targetE1EEEvT1_
    .private_segment_fixed_size: 0
    .sgpr_count:     4
    .sgpr_spill_count: 0
    .symbol:         _ZN7rocprim17ROCPRIM_400000_NS6detail17trampoline_kernelINS0_14default_configENS1_20scan_config_selectorItEEZZNS1_9scan_implILNS1_25lookback_scan_determinismE0ELb0ELb0ES3_N6thrust23THRUST_200600_302600_NS6detail15normal_iteratorINS9_10device_ptrItEEEESE_tNS9_4plusIvEEtEEDaPvRmT3_T4_T5_mT6_P12ihipStream_tbENKUlT_T0_E_clISt17integral_constantIbLb1EESU_EEDaSP_SQ_EUlSP_E0_NS1_11comp_targetILNS1_3genE3ELNS1_11target_archE908ELNS1_3gpuE7ELNS1_3repE0EEENS1_30default_config_static_selectorELNS0_4arch9wavefront6targetE1EEEvT1_.kd
    .uniform_work_group_size: 1
    .uses_dynamic_stack: false
    .vgpr_count:     0
    .vgpr_spill_count: 0
    .wavefront_size: 64
  - .agpr_count:     0
    .args:
      - .offset:         0
        .size:           32
        .value_kind:     by_value
    .group_segment_fixed_size: 0
    .kernarg_segment_align: 8
    .kernarg_segment_size: 32
    .language:       OpenCL C
    .language_version:
      - 2
      - 0
    .max_flat_workgroup_size: 256
    .name:           _ZN7rocprim17ROCPRIM_400000_NS6detail17trampoline_kernelINS0_14default_configENS1_20scan_config_selectorItEEZZNS1_9scan_implILNS1_25lookback_scan_determinismE0ELb0ELb0ES3_N6thrust23THRUST_200600_302600_NS6detail15normal_iteratorINS9_10device_ptrItEEEESE_tNS9_4plusIvEEtEEDaPvRmT3_T4_T5_mT6_P12ihipStream_tbENKUlT_T0_E_clISt17integral_constantIbLb1EESU_EEDaSP_SQ_EUlSP_E0_NS1_11comp_targetILNS1_3genE2ELNS1_11target_archE906ELNS1_3gpuE6ELNS1_3repE0EEENS1_30default_config_static_selectorELNS0_4arch9wavefront6targetE1EEEvT1_
    .private_segment_fixed_size: 0
    .sgpr_count:     4
    .sgpr_spill_count: 0
    .symbol:         _ZN7rocprim17ROCPRIM_400000_NS6detail17trampoline_kernelINS0_14default_configENS1_20scan_config_selectorItEEZZNS1_9scan_implILNS1_25lookback_scan_determinismE0ELb0ELb0ES3_N6thrust23THRUST_200600_302600_NS6detail15normal_iteratorINS9_10device_ptrItEEEESE_tNS9_4plusIvEEtEEDaPvRmT3_T4_T5_mT6_P12ihipStream_tbENKUlT_T0_E_clISt17integral_constantIbLb1EESU_EEDaSP_SQ_EUlSP_E0_NS1_11comp_targetILNS1_3genE2ELNS1_11target_archE906ELNS1_3gpuE6ELNS1_3repE0EEENS1_30default_config_static_selectorELNS0_4arch9wavefront6targetE1EEEvT1_.kd
    .uniform_work_group_size: 1
    .uses_dynamic_stack: false
    .vgpr_count:     0
    .vgpr_spill_count: 0
    .wavefront_size: 64
  - .agpr_count:     0
    .args:
      - .offset:         0
        .size:           32
        .value_kind:     by_value
    .group_segment_fixed_size: 0
    .kernarg_segment_align: 8
    .kernarg_segment_size: 32
    .language:       OpenCL C
    .language_version:
      - 2
      - 0
    .max_flat_workgroup_size: 256
    .name:           _ZN7rocprim17ROCPRIM_400000_NS6detail17trampoline_kernelINS0_14default_configENS1_20scan_config_selectorItEEZZNS1_9scan_implILNS1_25lookback_scan_determinismE0ELb0ELb0ES3_N6thrust23THRUST_200600_302600_NS6detail15normal_iteratorINS9_10device_ptrItEEEESE_tNS9_4plusIvEEtEEDaPvRmT3_T4_T5_mT6_P12ihipStream_tbENKUlT_T0_E_clISt17integral_constantIbLb1EESU_EEDaSP_SQ_EUlSP_E0_NS1_11comp_targetILNS1_3genE10ELNS1_11target_archE1201ELNS1_3gpuE5ELNS1_3repE0EEENS1_30default_config_static_selectorELNS0_4arch9wavefront6targetE1EEEvT1_
    .private_segment_fixed_size: 0
    .sgpr_count:     4
    .sgpr_spill_count: 0
    .symbol:         _ZN7rocprim17ROCPRIM_400000_NS6detail17trampoline_kernelINS0_14default_configENS1_20scan_config_selectorItEEZZNS1_9scan_implILNS1_25lookback_scan_determinismE0ELb0ELb0ES3_N6thrust23THRUST_200600_302600_NS6detail15normal_iteratorINS9_10device_ptrItEEEESE_tNS9_4plusIvEEtEEDaPvRmT3_T4_T5_mT6_P12ihipStream_tbENKUlT_T0_E_clISt17integral_constantIbLb1EESU_EEDaSP_SQ_EUlSP_E0_NS1_11comp_targetILNS1_3genE10ELNS1_11target_archE1201ELNS1_3gpuE5ELNS1_3repE0EEENS1_30default_config_static_selectorELNS0_4arch9wavefront6targetE1EEEvT1_.kd
    .uniform_work_group_size: 1
    .uses_dynamic_stack: false
    .vgpr_count:     0
    .vgpr_spill_count: 0
    .wavefront_size: 64
  - .agpr_count:     0
    .args:
      - .offset:         0
        .size:           32
        .value_kind:     by_value
    .group_segment_fixed_size: 0
    .kernarg_segment_align: 8
    .kernarg_segment_size: 32
    .language:       OpenCL C
    .language_version:
      - 2
      - 0
    .max_flat_workgroup_size: 256
    .name:           _ZN7rocprim17ROCPRIM_400000_NS6detail17trampoline_kernelINS0_14default_configENS1_20scan_config_selectorItEEZZNS1_9scan_implILNS1_25lookback_scan_determinismE0ELb0ELb0ES3_N6thrust23THRUST_200600_302600_NS6detail15normal_iteratorINS9_10device_ptrItEEEESE_tNS9_4plusIvEEtEEDaPvRmT3_T4_T5_mT6_P12ihipStream_tbENKUlT_T0_E_clISt17integral_constantIbLb1EESU_EEDaSP_SQ_EUlSP_E0_NS1_11comp_targetILNS1_3genE10ELNS1_11target_archE1200ELNS1_3gpuE4ELNS1_3repE0EEENS1_30default_config_static_selectorELNS0_4arch9wavefront6targetE1EEEvT1_
    .private_segment_fixed_size: 0
    .sgpr_count:     4
    .sgpr_spill_count: 0
    .symbol:         _ZN7rocprim17ROCPRIM_400000_NS6detail17trampoline_kernelINS0_14default_configENS1_20scan_config_selectorItEEZZNS1_9scan_implILNS1_25lookback_scan_determinismE0ELb0ELb0ES3_N6thrust23THRUST_200600_302600_NS6detail15normal_iteratorINS9_10device_ptrItEEEESE_tNS9_4plusIvEEtEEDaPvRmT3_T4_T5_mT6_P12ihipStream_tbENKUlT_T0_E_clISt17integral_constantIbLb1EESU_EEDaSP_SQ_EUlSP_E0_NS1_11comp_targetILNS1_3genE10ELNS1_11target_archE1200ELNS1_3gpuE4ELNS1_3repE0EEENS1_30default_config_static_selectorELNS0_4arch9wavefront6targetE1EEEvT1_.kd
    .uniform_work_group_size: 1
    .uses_dynamic_stack: false
    .vgpr_count:     0
    .vgpr_spill_count: 0
    .wavefront_size: 64
  - .agpr_count:     0
    .args:
      - .offset:         0
        .size:           32
        .value_kind:     by_value
    .group_segment_fixed_size: 0
    .kernarg_segment_align: 8
    .kernarg_segment_size: 32
    .language:       OpenCL C
    .language_version:
      - 2
      - 0
    .max_flat_workgroup_size: 64
    .name:           _ZN7rocprim17ROCPRIM_400000_NS6detail17trampoline_kernelINS0_14default_configENS1_20scan_config_selectorItEEZZNS1_9scan_implILNS1_25lookback_scan_determinismE0ELb0ELb0ES3_N6thrust23THRUST_200600_302600_NS6detail15normal_iteratorINS9_10device_ptrItEEEESE_tNS9_4plusIvEEtEEDaPvRmT3_T4_T5_mT6_P12ihipStream_tbENKUlT_T0_E_clISt17integral_constantIbLb1EESU_EEDaSP_SQ_EUlSP_E0_NS1_11comp_targetILNS1_3genE9ELNS1_11target_archE1100ELNS1_3gpuE3ELNS1_3repE0EEENS1_30default_config_static_selectorELNS0_4arch9wavefront6targetE1EEEvT1_
    .private_segment_fixed_size: 0
    .sgpr_count:     4
    .sgpr_spill_count: 0
    .symbol:         _ZN7rocprim17ROCPRIM_400000_NS6detail17trampoline_kernelINS0_14default_configENS1_20scan_config_selectorItEEZZNS1_9scan_implILNS1_25lookback_scan_determinismE0ELb0ELb0ES3_N6thrust23THRUST_200600_302600_NS6detail15normal_iteratorINS9_10device_ptrItEEEESE_tNS9_4plusIvEEtEEDaPvRmT3_T4_T5_mT6_P12ihipStream_tbENKUlT_T0_E_clISt17integral_constantIbLb1EESU_EEDaSP_SQ_EUlSP_E0_NS1_11comp_targetILNS1_3genE9ELNS1_11target_archE1100ELNS1_3gpuE3ELNS1_3repE0EEENS1_30default_config_static_selectorELNS0_4arch9wavefront6targetE1EEEvT1_.kd
    .uniform_work_group_size: 1
    .uses_dynamic_stack: false
    .vgpr_count:     0
    .vgpr_spill_count: 0
    .wavefront_size: 64
  - .agpr_count:     0
    .args:
      - .offset:         0
        .size:           32
        .value_kind:     by_value
    .group_segment_fixed_size: 0
    .kernarg_segment_align: 8
    .kernarg_segment_size: 32
    .language:       OpenCL C
    .language_version:
      - 2
      - 0
    .max_flat_workgroup_size: 64
    .name:           _ZN7rocprim17ROCPRIM_400000_NS6detail17trampoline_kernelINS0_14default_configENS1_20scan_config_selectorItEEZZNS1_9scan_implILNS1_25lookback_scan_determinismE0ELb0ELb0ES3_N6thrust23THRUST_200600_302600_NS6detail15normal_iteratorINS9_10device_ptrItEEEESE_tNS9_4plusIvEEtEEDaPvRmT3_T4_T5_mT6_P12ihipStream_tbENKUlT_T0_E_clISt17integral_constantIbLb1EESU_EEDaSP_SQ_EUlSP_E0_NS1_11comp_targetILNS1_3genE8ELNS1_11target_archE1030ELNS1_3gpuE2ELNS1_3repE0EEENS1_30default_config_static_selectorELNS0_4arch9wavefront6targetE1EEEvT1_
    .private_segment_fixed_size: 0
    .sgpr_count:     4
    .sgpr_spill_count: 0
    .symbol:         _ZN7rocprim17ROCPRIM_400000_NS6detail17trampoline_kernelINS0_14default_configENS1_20scan_config_selectorItEEZZNS1_9scan_implILNS1_25lookback_scan_determinismE0ELb0ELb0ES3_N6thrust23THRUST_200600_302600_NS6detail15normal_iteratorINS9_10device_ptrItEEEESE_tNS9_4plusIvEEtEEDaPvRmT3_T4_T5_mT6_P12ihipStream_tbENKUlT_T0_E_clISt17integral_constantIbLb1EESU_EEDaSP_SQ_EUlSP_E0_NS1_11comp_targetILNS1_3genE8ELNS1_11target_archE1030ELNS1_3gpuE2ELNS1_3repE0EEENS1_30default_config_static_selectorELNS0_4arch9wavefront6targetE1EEEvT1_.kd
    .uniform_work_group_size: 1
    .uses_dynamic_stack: false
    .vgpr_count:     0
    .vgpr_spill_count: 0
    .wavefront_size: 64
  - .agpr_count:     0
    .args:
      - .offset:         0
        .size:           96
        .value_kind:     by_value
    .group_segment_fixed_size: 0
    .kernarg_segment_align: 8
    .kernarg_segment_size: 96
    .language:       OpenCL C
    .language_version:
      - 2
      - 0
    .max_flat_workgroup_size: 128
    .name:           _ZN7rocprim17ROCPRIM_400000_NS6detail17trampoline_kernelINS0_14default_configENS1_20scan_config_selectorItEEZZNS1_9scan_implILNS1_25lookback_scan_determinismE0ELb0ELb0ES3_N6thrust23THRUST_200600_302600_NS6detail15normal_iteratorINS9_10device_ptrItEEEESE_tNS9_4plusIvEEtEEDaPvRmT3_T4_T5_mT6_P12ihipStream_tbENKUlT_T0_E_clISt17integral_constantIbLb1EEST_IbLb0EEEEDaSP_SQ_EUlSP_E_NS1_11comp_targetILNS1_3genE0ELNS1_11target_archE4294967295ELNS1_3gpuE0ELNS1_3repE0EEENS1_30default_config_static_selectorELNS0_4arch9wavefront6targetE1EEEvT1_
    .private_segment_fixed_size: 0
    .sgpr_count:     4
    .sgpr_spill_count: 0
    .symbol:         _ZN7rocprim17ROCPRIM_400000_NS6detail17trampoline_kernelINS0_14default_configENS1_20scan_config_selectorItEEZZNS1_9scan_implILNS1_25lookback_scan_determinismE0ELb0ELb0ES3_N6thrust23THRUST_200600_302600_NS6detail15normal_iteratorINS9_10device_ptrItEEEESE_tNS9_4plusIvEEtEEDaPvRmT3_T4_T5_mT6_P12ihipStream_tbENKUlT_T0_E_clISt17integral_constantIbLb1EEST_IbLb0EEEEDaSP_SQ_EUlSP_E_NS1_11comp_targetILNS1_3genE0ELNS1_11target_archE4294967295ELNS1_3gpuE0ELNS1_3repE0EEENS1_30default_config_static_selectorELNS0_4arch9wavefront6targetE1EEEvT1_.kd
    .uniform_work_group_size: 1
    .uses_dynamic_stack: false
    .vgpr_count:     0
    .vgpr_spill_count: 0
    .wavefront_size: 64
  - .agpr_count:     0
    .args:
      - .offset:         0
        .size:           96
        .value_kind:     by_value
    .group_segment_fixed_size: 0
    .kernarg_segment_align: 8
    .kernarg_segment_size: 96
    .language:       OpenCL C
    .language_version:
      - 2
      - 0
    .max_flat_workgroup_size: 256
    .name:           _ZN7rocprim17ROCPRIM_400000_NS6detail17trampoline_kernelINS0_14default_configENS1_20scan_config_selectorItEEZZNS1_9scan_implILNS1_25lookback_scan_determinismE0ELb0ELb0ES3_N6thrust23THRUST_200600_302600_NS6detail15normal_iteratorINS9_10device_ptrItEEEESE_tNS9_4plusIvEEtEEDaPvRmT3_T4_T5_mT6_P12ihipStream_tbENKUlT_T0_E_clISt17integral_constantIbLb1EEST_IbLb0EEEEDaSP_SQ_EUlSP_E_NS1_11comp_targetILNS1_3genE5ELNS1_11target_archE942ELNS1_3gpuE9ELNS1_3repE0EEENS1_30default_config_static_selectorELNS0_4arch9wavefront6targetE1EEEvT1_
    .private_segment_fixed_size: 0
    .sgpr_count:     4
    .sgpr_spill_count: 0
    .symbol:         _ZN7rocprim17ROCPRIM_400000_NS6detail17trampoline_kernelINS0_14default_configENS1_20scan_config_selectorItEEZZNS1_9scan_implILNS1_25lookback_scan_determinismE0ELb0ELb0ES3_N6thrust23THRUST_200600_302600_NS6detail15normal_iteratorINS9_10device_ptrItEEEESE_tNS9_4plusIvEEtEEDaPvRmT3_T4_T5_mT6_P12ihipStream_tbENKUlT_T0_E_clISt17integral_constantIbLb1EEST_IbLb0EEEEDaSP_SQ_EUlSP_E_NS1_11comp_targetILNS1_3genE5ELNS1_11target_archE942ELNS1_3gpuE9ELNS1_3repE0EEENS1_30default_config_static_selectorELNS0_4arch9wavefront6targetE1EEEvT1_.kd
    .uniform_work_group_size: 1
    .uses_dynamic_stack: false
    .vgpr_count:     0
    .vgpr_spill_count: 0
    .wavefront_size: 64
  - .agpr_count:     0
    .args:
      - .offset:         0
        .size:           96
        .value_kind:     by_value
    .group_segment_fixed_size: 3072
    .kernarg_segment_align: 8
    .kernarg_segment_size: 96
    .language:       OpenCL C
    .language_version:
      - 2
      - 0
    .max_flat_workgroup_size: 64
    .name:           _ZN7rocprim17ROCPRIM_400000_NS6detail17trampoline_kernelINS0_14default_configENS1_20scan_config_selectorItEEZZNS1_9scan_implILNS1_25lookback_scan_determinismE0ELb0ELb0ES3_N6thrust23THRUST_200600_302600_NS6detail15normal_iteratorINS9_10device_ptrItEEEESE_tNS9_4plusIvEEtEEDaPvRmT3_T4_T5_mT6_P12ihipStream_tbENKUlT_T0_E_clISt17integral_constantIbLb1EEST_IbLb0EEEEDaSP_SQ_EUlSP_E_NS1_11comp_targetILNS1_3genE4ELNS1_11target_archE910ELNS1_3gpuE8ELNS1_3repE0EEENS1_30default_config_static_selectorELNS0_4arch9wavefront6targetE1EEEvT1_
    .private_segment_fixed_size: 0
    .sgpr_count:     30
    .sgpr_spill_count: 0
    .symbol:         _ZN7rocprim17ROCPRIM_400000_NS6detail17trampoline_kernelINS0_14default_configENS1_20scan_config_selectorItEEZZNS1_9scan_implILNS1_25lookback_scan_determinismE0ELb0ELb0ES3_N6thrust23THRUST_200600_302600_NS6detail15normal_iteratorINS9_10device_ptrItEEEESE_tNS9_4plusIvEEtEEDaPvRmT3_T4_T5_mT6_P12ihipStream_tbENKUlT_T0_E_clISt17integral_constantIbLb1EEST_IbLb0EEEEDaSP_SQ_EUlSP_E_NS1_11comp_targetILNS1_3genE4ELNS1_11target_archE910ELNS1_3gpuE8ELNS1_3repE0EEENS1_30default_config_static_selectorELNS0_4arch9wavefront6targetE1EEEvT1_.kd
    .uniform_work_group_size: 1
    .uses_dynamic_stack: false
    .vgpr_count:     54
    .vgpr_spill_count: 0
    .wavefront_size: 64
  - .agpr_count:     0
    .args:
      - .offset:         0
        .size:           96
        .value_kind:     by_value
    .group_segment_fixed_size: 0
    .kernarg_segment_align: 8
    .kernarg_segment_size: 96
    .language:       OpenCL C
    .language_version:
      - 2
      - 0
    .max_flat_workgroup_size: 128
    .name:           _ZN7rocprim17ROCPRIM_400000_NS6detail17trampoline_kernelINS0_14default_configENS1_20scan_config_selectorItEEZZNS1_9scan_implILNS1_25lookback_scan_determinismE0ELb0ELb0ES3_N6thrust23THRUST_200600_302600_NS6detail15normal_iteratorINS9_10device_ptrItEEEESE_tNS9_4plusIvEEtEEDaPvRmT3_T4_T5_mT6_P12ihipStream_tbENKUlT_T0_E_clISt17integral_constantIbLb1EEST_IbLb0EEEEDaSP_SQ_EUlSP_E_NS1_11comp_targetILNS1_3genE3ELNS1_11target_archE908ELNS1_3gpuE7ELNS1_3repE0EEENS1_30default_config_static_selectorELNS0_4arch9wavefront6targetE1EEEvT1_
    .private_segment_fixed_size: 0
    .sgpr_count:     4
    .sgpr_spill_count: 0
    .symbol:         _ZN7rocprim17ROCPRIM_400000_NS6detail17trampoline_kernelINS0_14default_configENS1_20scan_config_selectorItEEZZNS1_9scan_implILNS1_25lookback_scan_determinismE0ELb0ELb0ES3_N6thrust23THRUST_200600_302600_NS6detail15normal_iteratorINS9_10device_ptrItEEEESE_tNS9_4plusIvEEtEEDaPvRmT3_T4_T5_mT6_P12ihipStream_tbENKUlT_T0_E_clISt17integral_constantIbLb1EEST_IbLb0EEEEDaSP_SQ_EUlSP_E_NS1_11comp_targetILNS1_3genE3ELNS1_11target_archE908ELNS1_3gpuE7ELNS1_3repE0EEENS1_30default_config_static_selectorELNS0_4arch9wavefront6targetE1EEEvT1_.kd
    .uniform_work_group_size: 1
    .uses_dynamic_stack: false
    .vgpr_count:     0
    .vgpr_spill_count: 0
    .wavefront_size: 64
  - .agpr_count:     0
    .args:
      - .offset:         0
        .size:           96
        .value_kind:     by_value
    .group_segment_fixed_size: 0
    .kernarg_segment_align: 8
    .kernarg_segment_size: 96
    .language:       OpenCL C
    .language_version:
      - 2
      - 0
    .max_flat_workgroup_size: 256
    .name:           _ZN7rocprim17ROCPRIM_400000_NS6detail17trampoline_kernelINS0_14default_configENS1_20scan_config_selectorItEEZZNS1_9scan_implILNS1_25lookback_scan_determinismE0ELb0ELb0ES3_N6thrust23THRUST_200600_302600_NS6detail15normal_iteratorINS9_10device_ptrItEEEESE_tNS9_4plusIvEEtEEDaPvRmT3_T4_T5_mT6_P12ihipStream_tbENKUlT_T0_E_clISt17integral_constantIbLb1EEST_IbLb0EEEEDaSP_SQ_EUlSP_E_NS1_11comp_targetILNS1_3genE2ELNS1_11target_archE906ELNS1_3gpuE6ELNS1_3repE0EEENS1_30default_config_static_selectorELNS0_4arch9wavefront6targetE1EEEvT1_
    .private_segment_fixed_size: 0
    .sgpr_count:     4
    .sgpr_spill_count: 0
    .symbol:         _ZN7rocprim17ROCPRIM_400000_NS6detail17trampoline_kernelINS0_14default_configENS1_20scan_config_selectorItEEZZNS1_9scan_implILNS1_25lookback_scan_determinismE0ELb0ELb0ES3_N6thrust23THRUST_200600_302600_NS6detail15normal_iteratorINS9_10device_ptrItEEEESE_tNS9_4plusIvEEtEEDaPvRmT3_T4_T5_mT6_P12ihipStream_tbENKUlT_T0_E_clISt17integral_constantIbLb1EEST_IbLb0EEEEDaSP_SQ_EUlSP_E_NS1_11comp_targetILNS1_3genE2ELNS1_11target_archE906ELNS1_3gpuE6ELNS1_3repE0EEENS1_30default_config_static_selectorELNS0_4arch9wavefront6targetE1EEEvT1_.kd
    .uniform_work_group_size: 1
    .uses_dynamic_stack: false
    .vgpr_count:     0
    .vgpr_spill_count: 0
    .wavefront_size: 64
  - .agpr_count:     0
    .args:
      - .offset:         0
        .size:           96
        .value_kind:     by_value
    .group_segment_fixed_size: 0
    .kernarg_segment_align: 8
    .kernarg_segment_size: 96
    .language:       OpenCL C
    .language_version:
      - 2
      - 0
    .max_flat_workgroup_size: 256
    .name:           _ZN7rocprim17ROCPRIM_400000_NS6detail17trampoline_kernelINS0_14default_configENS1_20scan_config_selectorItEEZZNS1_9scan_implILNS1_25lookback_scan_determinismE0ELb0ELb0ES3_N6thrust23THRUST_200600_302600_NS6detail15normal_iteratorINS9_10device_ptrItEEEESE_tNS9_4plusIvEEtEEDaPvRmT3_T4_T5_mT6_P12ihipStream_tbENKUlT_T0_E_clISt17integral_constantIbLb1EEST_IbLb0EEEEDaSP_SQ_EUlSP_E_NS1_11comp_targetILNS1_3genE10ELNS1_11target_archE1201ELNS1_3gpuE5ELNS1_3repE0EEENS1_30default_config_static_selectorELNS0_4arch9wavefront6targetE1EEEvT1_
    .private_segment_fixed_size: 0
    .sgpr_count:     4
    .sgpr_spill_count: 0
    .symbol:         _ZN7rocprim17ROCPRIM_400000_NS6detail17trampoline_kernelINS0_14default_configENS1_20scan_config_selectorItEEZZNS1_9scan_implILNS1_25lookback_scan_determinismE0ELb0ELb0ES3_N6thrust23THRUST_200600_302600_NS6detail15normal_iteratorINS9_10device_ptrItEEEESE_tNS9_4plusIvEEtEEDaPvRmT3_T4_T5_mT6_P12ihipStream_tbENKUlT_T0_E_clISt17integral_constantIbLb1EEST_IbLb0EEEEDaSP_SQ_EUlSP_E_NS1_11comp_targetILNS1_3genE10ELNS1_11target_archE1201ELNS1_3gpuE5ELNS1_3repE0EEENS1_30default_config_static_selectorELNS0_4arch9wavefront6targetE1EEEvT1_.kd
    .uniform_work_group_size: 1
    .uses_dynamic_stack: false
    .vgpr_count:     0
    .vgpr_spill_count: 0
    .wavefront_size: 64
  - .agpr_count:     0
    .args:
      - .offset:         0
        .size:           96
        .value_kind:     by_value
    .group_segment_fixed_size: 0
    .kernarg_segment_align: 8
    .kernarg_segment_size: 96
    .language:       OpenCL C
    .language_version:
      - 2
      - 0
    .max_flat_workgroup_size: 256
    .name:           _ZN7rocprim17ROCPRIM_400000_NS6detail17trampoline_kernelINS0_14default_configENS1_20scan_config_selectorItEEZZNS1_9scan_implILNS1_25lookback_scan_determinismE0ELb0ELb0ES3_N6thrust23THRUST_200600_302600_NS6detail15normal_iteratorINS9_10device_ptrItEEEESE_tNS9_4plusIvEEtEEDaPvRmT3_T4_T5_mT6_P12ihipStream_tbENKUlT_T0_E_clISt17integral_constantIbLb1EEST_IbLb0EEEEDaSP_SQ_EUlSP_E_NS1_11comp_targetILNS1_3genE10ELNS1_11target_archE1200ELNS1_3gpuE4ELNS1_3repE0EEENS1_30default_config_static_selectorELNS0_4arch9wavefront6targetE1EEEvT1_
    .private_segment_fixed_size: 0
    .sgpr_count:     4
    .sgpr_spill_count: 0
    .symbol:         _ZN7rocprim17ROCPRIM_400000_NS6detail17trampoline_kernelINS0_14default_configENS1_20scan_config_selectorItEEZZNS1_9scan_implILNS1_25lookback_scan_determinismE0ELb0ELb0ES3_N6thrust23THRUST_200600_302600_NS6detail15normal_iteratorINS9_10device_ptrItEEEESE_tNS9_4plusIvEEtEEDaPvRmT3_T4_T5_mT6_P12ihipStream_tbENKUlT_T0_E_clISt17integral_constantIbLb1EEST_IbLb0EEEEDaSP_SQ_EUlSP_E_NS1_11comp_targetILNS1_3genE10ELNS1_11target_archE1200ELNS1_3gpuE4ELNS1_3repE0EEENS1_30default_config_static_selectorELNS0_4arch9wavefront6targetE1EEEvT1_.kd
    .uniform_work_group_size: 1
    .uses_dynamic_stack: false
    .vgpr_count:     0
    .vgpr_spill_count: 0
    .wavefront_size: 64
  - .agpr_count:     0
    .args:
      - .offset:         0
        .size:           96
        .value_kind:     by_value
    .group_segment_fixed_size: 0
    .kernarg_segment_align: 8
    .kernarg_segment_size: 96
    .language:       OpenCL C
    .language_version:
      - 2
      - 0
    .max_flat_workgroup_size: 64
    .name:           _ZN7rocprim17ROCPRIM_400000_NS6detail17trampoline_kernelINS0_14default_configENS1_20scan_config_selectorItEEZZNS1_9scan_implILNS1_25lookback_scan_determinismE0ELb0ELb0ES3_N6thrust23THRUST_200600_302600_NS6detail15normal_iteratorINS9_10device_ptrItEEEESE_tNS9_4plusIvEEtEEDaPvRmT3_T4_T5_mT6_P12ihipStream_tbENKUlT_T0_E_clISt17integral_constantIbLb1EEST_IbLb0EEEEDaSP_SQ_EUlSP_E_NS1_11comp_targetILNS1_3genE9ELNS1_11target_archE1100ELNS1_3gpuE3ELNS1_3repE0EEENS1_30default_config_static_selectorELNS0_4arch9wavefront6targetE1EEEvT1_
    .private_segment_fixed_size: 0
    .sgpr_count:     4
    .sgpr_spill_count: 0
    .symbol:         _ZN7rocprim17ROCPRIM_400000_NS6detail17trampoline_kernelINS0_14default_configENS1_20scan_config_selectorItEEZZNS1_9scan_implILNS1_25lookback_scan_determinismE0ELb0ELb0ES3_N6thrust23THRUST_200600_302600_NS6detail15normal_iteratorINS9_10device_ptrItEEEESE_tNS9_4plusIvEEtEEDaPvRmT3_T4_T5_mT6_P12ihipStream_tbENKUlT_T0_E_clISt17integral_constantIbLb1EEST_IbLb0EEEEDaSP_SQ_EUlSP_E_NS1_11comp_targetILNS1_3genE9ELNS1_11target_archE1100ELNS1_3gpuE3ELNS1_3repE0EEENS1_30default_config_static_selectorELNS0_4arch9wavefront6targetE1EEEvT1_.kd
    .uniform_work_group_size: 1
    .uses_dynamic_stack: false
    .vgpr_count:     0
    .vgpr_spill_count: 0
    .wavefront_size: 64
  - .agpr_count:     0
    .args:
      - .offset:         0
        .size:           96
        .value_kind:     by_value
    .group_segment_fixed_size: 0
    .kernarg_segment_align: 8
    .kernarg_segment_size: 96
    .language:       OpenCL C
    .language_version:
      - 2
      - 0
    .max_flat_workgroup_size: 64
    .name:           _ZN7rocprim17ROCPRIM_400000_NS6detail17trampoline_kernelINS0_14default_configENS1_20scan_config_selectorItEEZZNS1_9scan_implILNS1_25lookback_scan_determinismE0ELb0ELb0ES3_N6thrust23THRUST_200600_302600_NS6detail15normal_iteratorINS9_10device_ptrItEEEESE_tNS9_4plusIvEEtEEDaPvRmT3_T4_T5_mT6_P12ihipStream_tbENKUlT_T0_E_clISt17integral_constantIbLb1EEST_IbLb0EEEEDaSP_SQ_EUlSP_E_NS1_11comp_targetILNS1_3genE8ELNS1_11target_archE1030ELNS1_3gpuE2ELNS1_3repE0EEENS1_30default_config_static_selectorELNS0_4arch9wavefront6targetE1EEEvT1_
    .private_segment_fixed_size: 0
    .sgpr_count:     4
    .sgpr_spill_count: 0
    .symbol:         _ZN7rocprim17ROCPRIM_400000_NS6detail17trampoline_kernelINS0_14default_configENS1_20scan_config_selectorItEEZZNS1_9scan_implILNS1_25lookback_scan_determinismE0ELb0ELb0ES3_N6thrust23THRUST_200600_302600_NS6detail15normal_iteratorINS9_10device_ptrItEEEESE_tNS9_4plusIvEEtEEDaPvRmT3_T4_T5_mT6_P12ihipStream_tbENKUlT_T0_E_clISt17integral_constantIbLb1EEST_IbLb0EEEEDaSP_SQ_EUlSP_E_NS1_11comp_targetILNS1_3genE8ELNS1_11target_archE1030ELNS1_3gpuE2ELNS1_3repE0EEENS1_30default_config_static_selectorELNS0_4arch9wavefront6targetE1EEEvT1_.kd
    .uniform_work_group_size: 1
    .uses_dynamic_stack: false
    .vgpr_count:     0
    .vgpr_spill_count: 0
    .wavefront_size: 64
  - .agpr_count:     0
    .args:
      - .offset:         0
        .size:           32
        .value_kind:     by_value
    .group_segment_fixed_size: 0
    .kernarg_segment_align: 8
    .kernarg_segment_size: 32
    .language:       OpenCL C
    .language_version:
      - 2
      - 0
    .max_flat_workgroup_size: 128
    .name:           _ZN7rocprim17ROCPRIM_400000_NS6detail17trampoline_kernelINS0_14default_configENS1_20scan_config_selectorItEEZZNS1_9scan_implILNS1_25lookback_scan_determinismE0ELb0ELb0ES3_N6thrust23THRUST_200600_302600_NS6detail15normal_iteratorINS9_10device_ptrItEEEESE_tNS9_4plusIvEEtEEDaPvRmT3_T4_T5_mT6_P12ihipStream_tbENKUlT_T0_E_clISt17integral_constantIbLb1EEST_IbLb0EEEEDaSP_SQ_EUlSP_E0_NS1_11comp_targetILNS1_3genE0ELNS1_11target_archE4294967295ELNS1_3gpuE0ELNS1_3repE0EEENS1_30default_config_static_selectorELNS0_4arch9wavefront6targetE1EEEvT1_
    .private_segment_fixed_size: 0
    .sgpr_count:     4
    .sgpr_spill_count: 0
    .symbol:         _ZN7rocprim17ROCPRIM_400000_NS6detail17trampoline_kernelINS0_14default_configENS1_20scan_config_selectorItEEZZNS1_9scan_implILNS1_25lookback_scan_determinismE0ELb0ELb0ES3_N6thrust23THRUST_200600_302600_NS6detail15normal_iteratorINS9_10device_ptrItEEEESE_tNS9_4plusIvEEtEEDaPvRmT3_T4_T5_mT6_P12ihipStream_tbENKUlT_T0_E_clISt17integral_constantIbLb1EEST_IbLb0EEEEDaSP_SQ_EUlSP_E0_NS1_11comp_targetILNS1_3genE0ELNS1_11target_archE4294967295ELNS1_3gpuE0ELNS1_3repE0EEENS1_30default_config_static_selectorELNS0_4arch9wavefront6targetE1EEEvT1_.kd
    .uniform_work_group_size: 1
    .uses_dynamic_stack: false
    .vgpr_count:     0
    .vgpr_spill_count: 0
    .wavefront_size: 64
  - .agpr_count:     0
    .args:
      - .offset:         0
        .size:           32
        .value_kind:     by_value
    .group_segment_fixed_size: 0
    .kernarg_segment_align: 8
    .kernarg_segment_size: 32
    .language:       OpenCL C
    .language_version:
      - 2
      - 0
    .max_flat_workgroup_size: 256
    .name:           _ZN7rocprim17ROCPRIM_400000_NS6detail17trampoline_kernelINS0_14default_configENS1_20scan_config_selectorItEEZZNS1_9scan_implILNS1_25lookback_scan_determinismE0ELb0ELb0ES3_N6thrust23THRUST_200600_302600_NS6detail15normal_iteratorINS9_10device_ptrItEEEESE_tNS9_4plusIvEEtEEDaPvRmT3_T4_T5_mT6_P12ihipStream_tbENKUlT_T0_E_clISt17integral_constantIbLb1EEST_IbLb0EEEEDaSP_SQ_EUlSP_E0_NS1_11comp_targetILNS1_3genE5ELNS1_11target_archE942ELNS1_3gpuE9ELNS1_3repE0EEENS1_30default_config_static_selectorELNS0_4arch9wavefront6targetE1EEEvT1_
    .private_segment_fixed_size: 0
    .sgpr_count:     4
    .sgpr_spill_count: 0
    .symbol:         _ZN7rocprim17ROCPRIM_400000_NS6detail17trampoline_kernelINS0_14default_configENS1_20scan_config_selectorItEEZZNS1_9scan_implILNS1_25lookback_scan_determinismE0ELb0ELb0ES3_N6thrust23THRUST_200600_302600_NS6detail15normal_iteratorINS9_10device_ptrItEEEESE_tNS9_4plusIvEEtEEDaPvRmT3_T4_T5_mT6_P12ihipStream_tbENKUlT_T0_E_clISt17integral_constantIbLb1EEST_IbLb0EEEEDaSP_SQ_EUlSP_E0_NS1_11comp_targetILNS1_3genE5ELNS1_11target_archE942ELNS1_3gpuE9ELNS1_3repE0EEENS1_30default_config_static_selectorELNS0_4arch9wavefront6targetE1EEEvT1_.kd
    .uniform_work_group_size: 1
    .uses_dynamic_stack: false
    .vgpr_count:     0
    .vgpr_spill_count: 0
    .wavefront_size: 64
  - .agpr_count:     0
    .args:
      - .offset:         0
        .size:           32
        .value_kind:     by_value
    .group_segment_fixed_size: 3072
    .kernarg_segment_align: 8
    .kernarg_segment_size: 32
    .language:       OpenCL C
    .language_version:
      - 2
      - 0
    .max_flat_workgroup_size: 64
    .name:           _ZN7rocprim17ROCPRIM_400000_NS6detail17trampoline_kernelINS0_14default_configENS1_20scan_config_selectorItEEZZNS1_9scan_implILNS1_25lookback_scan_determinismE0ELb0ELb0ES3_N6thrust23THRUST_200600_302600_NS6detail15normal_iteratorINS9_10device_ptrItEEEESE_tNS9_4plusIvEEtEEDaPvRmT3_T4_T5_mT6_P12ihipStream_tbENKUlT_T0_E_clISt17integral_constantIbLb1EEST_IbLb0EEEEDaSP_SQ_EUlSP_E0_NS1_11comp_targetILNS1_3genE4ELNS1_11target_archE910ELNS1_3gpuE8ELNS1_3repE0EEENS1_30default_config_static_selectorELNS0_4arch9wavefront6targetE1EEEvT1_
    .private_segment_fixed_size: 0
    .sgpr_count:     60
    .sgpr_spill_count: 0
    .symbol:         _ZN7rocprim17ROCPRIM_400000_NS6detail17trampoline_kernelINS0_14default_configENS1_20scan_config_selectorItEEZZNS1_9scan_implILNS1_25lookback_scan_determinismE0ELb0ELb0ES3_N6thrust23THRUST_200600_302600_NS6detail15normal_iteratorINS9_10device_ptrItEEEESE_tNS9_4plusIvEEtEEDaPvRmT3_T4_T5_mT6_P12ihipStream_tbENKUlT_T0_E_clISt17integral_constantIbLb1EEST_IbLb0EEEEDaSP_SQ_EUlSP_E0_NS1_11comp_targetILNS1_3genE4ELNS1_11target_archE910ELNS1_3gpuE8ELNS1_3repE0EEENS1_30default_config_static_selectorELNS0_4arch9wavefront6targetE1EEEvT1_.kd
    .uniform_work_group_size: 1
    .uses_dynamic_stack: false
    .vgpr_count:     42
    .vgpr_spill_count: 0
    .wavefront_size: 64
  - .agpr_count:     0
    .args:
      - .offset:         0
        .size:           32
        .value_kind:     by_value
    .group_segment_fixed_size: 0
    .kernarg_segment_align: 8
    .kernarg_segment_size: 32
    .language:       OpenCL C
    .language_version:
      - 2
      - 0
    .max_flat_workgroup_size: 128
    .name:           _ZN7rocprim17ROCPRIM_400000_NS6detail17trampoline_kernelINS0_14default_configENS1_20scan_config_selectorItEEZZNS1_9scan_implILNS1_25lookback_scan_determinismE0ELb0ELb0ES3_N6thrust23THRUST_200600_302600_NS6detail15normal_iteratorINS9_10device_ptrItEEEESE_tNS9_4plusIvEEtEEDaPvRmT3_T4_T5_mT6_P12ihipStream_tbENKUlT_T0_E_clISt17integral_constantIbLb1EEST_IbLb0EEEEDaSP_SQ_EUlSP_E0_NS1_11comp_targetILNS1_3genE3ELNS1_11target_archE908ELNS1_3gpuE7ELNS1_3repE0EEENS1_30default_config_static_selectorELNS0_4arch9wavefront6targetE1EEEvT1_
    .private_segment_fixed_size: 0
    .sgpr_count:     4
    .sgpr_spill_count: 0
    .symbol:         _ZN7rocprim17ROCPRIM_400000_NS6detail17trampoline_kernelINS0_14default_configENS1_20scan_config_selectorItEEZZNS1_9scan_implILNS1_25lookback_scan_determinismE0ELb0ELb0ES3_N6thrust23THRUST_200600_302600_NS6detail15normal_iteratorINS9_10device_ptrItEEEESE_tNS9_4plusIvEEtEEDaPvRmT3_T4_T5_mT6_P12ihipStream_tbENKUlT_T0_E_clISt17integral_constantIbLb1EEST_IbLb0EEEEDaSP_SQ_EUlSP_E0_NS1_11comp_targetILNS1_3genE3ELNS1_11target_archE908ELNS1_3gpuE7ELNS1_3repE0EEENS1_30default_config_static_selectorELNS0_4arch9wavefront6targetE1EEEvT1_.kd
    .uniform_work_group_size: 1
    .uses_dynamic_stack: false
    .vgpr_count:     0
    .vgpr_spill_count: 0
    .wavefront_size: 64
  - .agpr_count:     0
    .args:
      - .offset:         0
        .size:           32
        .value_kind:     by_value
    .group_segment_fixed_size: 0
    .kernarg_segment_align: 8
    .kernarg_segment_size: 32
    .language:       OpenCL C
    .language_version:
      - 2
      - 0
    .max_flat_workgroup_size: 256
    .name:           _ZN7rocprim17ROCPRIM_400000_NS6detail17trampoline_kernelINS0_14default_configENS1_20scan_config_selectorItEEZZNS1_9scan_implILNS1_25lookback_scan_determinismE0ELb0ELb0ES3_N6thrust23THRUST_200600_302600_NS6detail15normal_iteratorINS9_10device_ptrItEEEESE_tNS9_4plusIvEEtEEDaPvRmT3_T4_T5_mT6_P12ihipStream_tbENKUlT_T0_E_clISt17integral_constantIbLb1EEST_IbLb0EEEEDaSP_SQ_EUlSP_E0_NS1_11comp_targetILNS1_3genE2ELNS1_11target_archE906ELNS1_3gpuE6ELNS1_3repE0EEENS1_30default_config_static_selectorELNS0_4arch9wavefront6targetE1EEEvT1_
    .private_segment_fixed_size: 0
    .sgpr_count:     4
    .sgpr_spill_count: 0
    .symbol:         _ZN7rocprim17ROCPRIM_400000_NS6detail17trampoline_kernelINS0_14default_configENS1_20scan_config_selectorItEEZZNS1_9scan_implILNS1_25lookback_scan_determinismE0ELb0ELb0ES3_N6thrust23THRUST_200600_302600_NS6detail15normal_iteratorINS9_10device_ptrItEEEESE_tNS9_4plusIvEEtEEDaPvRmT3_T4_T5_mT6_P12ihipStream_tbENKUlT_T0_E_clISt17integral_constantIbLb1EEST_IbLb0EEEEDaSP_SQ_EUlSP_E0_NS1_11comp_targetILNS1_3genE2ELNS1_11target_archE906ELNS1_3gpuE6ELNS1_3repE0EEENS1_30default_config_static_selectorELNS0_4arch9wavefront6targetE1EEEvT1_.kd
    .uniform_work_group_size: 1
    .uses_dynamic_stack: false
    .vgpr_count:     0
    .vgpr_spill_count: 0
    .wavefront_size: 64
  - .agpr_count:     0
    .args:
      - .offset:         0
        .size:           32
        .value_kind:     by_value
    .group_segment_fixed_size: 0
    .kernarg_segment_align: 8
    .kernarg_segment_size: 32
    .language:       OpenCL C
    .language_version:
      - 2
      - 0
    .max_flat_workgroup_size: 256
    .name:           _ZN7rocprim17ROCPRIM_400000_NS6detail17trampoline_kernelINS0_14default_configENS1_20scan_config_selectorItEEZZNS1_9scan_implILNS1_25lookback_scan_determinismE0ELb0ELb0ES3_N6thrust23THRUST_200600_302600_NS6detail15normal_iteratorINS9_10device_ptrItEEEESE_tNS9_4plusIvEEtEEDaPvRmT3_T4_T5_mT6_P12ihipStream_tbENKUlT_T0_E_clISt17integral_constantIbLb1EEST_IbLb0EEEEDaSP_SQ_EUlSP_E0_NS1_11comp_targetILNS1_3genE10ELNS1_11target_archE1201ELNS1_3gpuE5ELNS1_3repE0EEENS1_30default_config_static_selectorELNS0_4arch9wavefront6targetE1EEEvT1_
    .private_segment_fixed_size: 0
    .sgpr_count:     4
    .sgpr_spill_count: 0
    .symbol:         _ZN7rocprim17ROCPRIM_400000_NS6detail17trampoline_kernelINS0_14default_configENS1_20scan_config_selectorItEEZZNS1_9scan_implILNS1_25lookback_scan_determinismE0ELb0ELb0ES3_N6thrust23THRUST_200600_302600_NS6detail15normal_iteratorINS9_10device_ptrItEEEESE_tNS9_4plusIvEEtEEDaPvRmT3_T4_T5_mT6_P12ihipStream_tbENKUlT_T0_E_clISt17integral_constantIbLb1EEST_IbLb0EEEEDaSP_SQ_EUlSP_E0_NS1_11comp_targetILNS1_3genE10ELNS1_11target_archE1201ELNS1_3gpuE5ELNS1_3repE0EEENS1_30default_config_static_selectorELNS0_4arch9wavefront6targetE1EEEvT1_.kd
    .uniform_work_group_size: 1
    .uses_dynamic_stack: false
    .vgpr_count:     0
    .vgpr_spill_count: 0
    .wavefront_size: 64
  - .agpr_count:     0
    .args:
      - .offset:         0
        .size:           32
        .value_kind:     by_value
    .group_segment_fixed_size: 0
    .kernarg_segment_align: 8
    .kernarg_segment_size: 32
    .language:       OpenCL C
    .language_version:
      - 2
      - 0
    .max_flat_workgroup_size: 256
    .name:           _ZN7rocprim17ROCPRIM_400000_NS6detail17trampoline_kernelINS0_14default_configENS1_20scan_config_selectorItEEZZNS1_9scan_implILNS1_25lookback_scan_determinismE0ELb0ELb0ES3_N6thrust23THRUST_200600_302600_NS6detail15normal_iteratorINS9_10device_ptrItEEEESE_tNS9_4plusIvEEtEEDaPvRmT3_T4_T5_mT6_P12ihipStream_tbENKUlT_T0_E_clISt17integral_constantIbLb1EEST_IbLb0EEEEDaSP_SQ_EUlSP_E0_NS1_11comp_targetILNS1_3genE10ELNS1_11target_archE1200ELNS1_3gpuE4ELNS1_3repE0EEENS1_30default_config_static_selectorELNS0_4arch9wavefront6targetE1EEEvT1_
    .private_segment_fixed_size: 0
    .sgpr_count:     4
    .sgpr_spill_count: 0
    .symbol:         _ZN7rocprim17ROCPRIM_400000_NS6detail17trampoline_kernelINS0_14default_configENS1_20scan_config_selectorItEEZZNS1_9scan_implILNS1_25lookback_scan_determinismE0ELb0ELb0ES3_N6thrust23THRUST_200600_302600_NS6detail15normal_iteratorINS9_10device_ptrItEEEESE_tNS9_4plusIvEEtEEDaPvRmT3_T4_T5_mT6_P12ihipStream_tbENKUlT_T0_E_clISt17integral_constantIbLb1EEST_IbLb0EEEEDaSP_SQ_EUlSP_E0_NS1_11comp_targetILNS1_3genE10ELNS1_11target_archE1200ELNS1_3gpuE4ELNS1_3repE0EEENS1_30default_config_static_selectorELNS0_4arch9wavefront6targetE1EEEvT1_.kd
    .uniform_work_group_size: 1
    .uses_dynamic_stack: false
    .vgpr_count:     0
    .vgpr_spill_count: 0
    .wavefront_size: 64
  - .agpr_count:     0
    .args:
      - .offset:         0
        .size:           32
        .value_kind:     by_value
    .group_segment_fixed_size: 0
    .kernarg_segment_align: 8
    .kernarg_segment_size: 32
    .language:       OpenCL C
    .language_version:
      - 2
      - 0
    .max_flat_workgroup_size: 64
    .name:           _ZN7rocprim17ROCPRIM_400000_NS6detail17trampoline_kernelINS0_14default_configENS1_20scan_config_selectorItEEZZNS1_9scan_implILNS1_25lookback_scan_determinismE0ELb0ELb0ES3_N6thrust23THRUST_200600_302600_NS6detail15normal_iteratorINS9_10device_ptrItEEEESE_tNS9_4plusIvEEtEEDaPvRmT3_T4_T5_mT6_P12ihipStream_tbENKUlT_T0_E_clISt17integral_constantIbLb1EEST_IbLb0EEEEDaSP_SQ_EUlSP_E0_NS1_11comp_targetILNS1_3genE9ELNS1_11target_archE1100ELNS1_3gpuE3ELNS1_3repE0EEENS1_30default_config_static_selectorELNS0_4arch9wavefront6targetE1EEEvT1_
    .private_segment_fixed_size: 0
    .sgpr_count:     4
    .sgpr_spill_count: 0
    .symbol:         _ZN7rocprim17ROCPRIM_400000_NS6detail17trampoline_kernelINS0_14default_configENS1_20scan_config_selectorItEEZZNS1_9scan_implILNS1_25lookback_scan_determinismE0ELb0ELb0ES3_N6thrust23THRUST_200600_302600_NS6detail15normal_iteratorINS9_10device_ptrItEEEESE_tNS9_4plusIvEEtEEDaPvRmT3_T4_T5_mT6_P12ihipStream_tbENKUlT_T0_E_clISt17integral_constantIbLb1EEST_IbLb0EEEEDaSP_SQ_EUlSP_E0_NS1_11comp_targetILNS1_3genE9ELNS1_11target_archE1100ELNS1_3gpuE3ELNS1_3repE0EEENS1_30default_config_static_selectorELNS0_4arch9wavefront6targetE1EEEvT1_.kd
    .uniform_work_group_size: 1
    .uses_dynamic_stack: false
    .vgpr_count:     0
    .vgpr_spill_count: 0
    .wavefront_size: 64
  - .agpr_count:     0
    .args:
      - .offset:         0
        .size:           32
        .value_kind:     by_value
    .group_segment_fixed_size: 0
    .kernarg_segment_align: 8
    .kernarg_segment_size: 32
    .language:       OpenCL C
    .language_version:
      - 2
      - 0
    .max_flat_workgroup_size: 64
    .name:           _ZN7rocprim17ROCPRIM_400000_NS6detail17trampoline_kernelINS0_14default_configENS1_20scan_config_selectorItEEZZNS1_9scan_implILNS1_25lookback_scan_determinismE0ELb0ELb0ES3_N6thrust23THRUST_200600_302600_NS6detail15normal_iteratorINS9_10device_ptrItEEEESE_tNS9_4plusIvEEtEEDaPvRmT3_T4_T5_mT6_P12ihipStream_tbENKUlT_T0_E_clISt17integral_constantIbLb1EEST_IbLb0EEEEDaSP_SQ_EUlSP_E0_NS1_11comp_targetILNS1_3genE8ELNS1_11target_archE1030ELNS1_3gpuE2ELNS1_3repE0EEENS1_30default_config_static_selectorELNS0_4arch9wavefront6targetE1EEEvT1_
    .private_segment_fixed_size: 0
    .sgpr_count:     4
    .sgpr_spill_count: 0
    .symbol:         _ZN7rocprim17ROCPRIM_400000_NS6detail17trampoline_kernelINS0_14default_configENS1_20scan_config_selectorItEEZZNS1_9scan_implILNS1_25lookback_scan_determinismE0ELb0ELb0ES3_N6thrust23THRUST_200600_302600_NS6detail15normal_iteratorINS9_10device_ptrItEEEESE_tNS9_4plusIvEEtEEDaPvRmT3_T4_T5_mT6_P12ihipStream_tbENKUlT_T0_E_clISt17integral_constantIbLb1EEST_IbLb0EEEEDaSP_SQ_EUlSP_E0_NS1_11comp_targetILNS1_3genE8ELNS1_11target_archE1030ELNS1_3gpuE2ELNS1_3repE0EEENS1_30default_config_static_selectorELNS0_4arch9wavefront6targetE1EEEvT1_.kd
    .uniform_work_group_size: 1
    .uses_dynamic_stack: false
    .vgpr_count:     0
    .vgpr_spill_count: 0
    .wavefront_size: 64
  - .agpr_count:     0
    .args:
      - .offset:         0
        .size:           96
        .value_kind:     by_value
    .group_segment_fixed_size: 0
    .kernarg_segment_align: 8
    .kernarg_segment_size: 96
    .language:       OpenCL C
    .language_version:
      - 2
      - 0
    .max_flat_workgroup_size: 128
    .name:           _ZN7rocprim17ROCPRIM_400000_NS6detail17trampoline_kernelINS0_14default_configENS1_20scan_config_selectorItEEZZNS1_9scan_implILNS1_25lookback_scan_determinismE0ELb0ELb0ES3_N6thrust23THRUST_200600_302600_NS6detail15normal_iteratorINS9_10device_ptrItEEEESE_tNS9_4plusIvEEtEEDaPvRmT3_T4_T5_mT6_P12ihipStream_tbENKUlT_T0_E_clISt17integral_constantIbLb0EEST_IbLb1EEEEDaSP_SQ_EUlSP_E_NS1_11comp_targetILNS1_3genE0ELNS1_11target_archE4294967295ELNS1_3gpuE0ELNS1_3repE0EEENS1_30default_config_static_selectorELNS0_4arch9wavefront6targetE1EEEvT1_
    .private_segment_fixed_size: 0
    .sgpr_count:     4
    .sgpr_spill_count: 0
    .symbol:         _ZN7rocprim17ROCPRIM_400000_NS6detail17trampoline_kernelINS0_14default_configENS1_20scan_config_selectorItEEZZNS1_9scan_implILNS1_25lookback_scan_determinismE0ELb0ELb0ES3_N6thrust23THRUST_200600_302600_NS6detail15normal_iteratorINS9_10device_ptrItEEEESE_tNS9_4plusIvEEtEEDaPvRmT3_T4_T5_mT6_P12ihipStream_tbENKUlT_T0_E_clISt17integral_constantIbLb0EEST_IbLb1EEEEDaSP_SQ_EUlSP_E_NS1_11comp_targetILNS1_3genE0ELNS1_11target_archE4294967295ELNS1_3gpuE0ELNS1_3repE0EEENS1_30default_config_static_selectorELNS0_4arch9wavefront6targetE1EEEvT1_.kd
    .uniform_work_group_size: 1
    .uses_dynamic_stack: false
    .vgpr_count:     0
    .vgpr_spill_count: 0
    .wavefront_size: 64
  - .agpr_count:     0
    .args:
      - .offset:         0
        .size:           96
        .value_kind:     by_value
    .group_segment_fixed_size: 0
    .kernarg_segment_align: 8
    .kernarg_segment_size: 96
    .language:       OpenCL C
    .language_version:
      - 2
      - 0
    .max_flat_workgroup_size: 256
    .name:           _ZN7rocprim17ROCPRIM_400000_NS6detail17trampoline_kernelINS0_14default_configENS1_20scan_config_selectorItEEZZNS1_9scan_implILNS1_25lookback_scan_determinismE0ELb0ELb0ES3_N6thrust23THRUST_200600_302600_NS6detail15normal_iteratorINS9_10device_ptrItEEEESE_tNS9_4plusIvEEtEEDaPvRmT3_T4_T5_mT6_P12ihipStream_tbENKUlT_T0_E_clISt17integral_constantIbLb0EEST_IbLb1EEEEDaSP_SQ_EUlSP_E_NS1_11comp_targetILNS1_3genE5ELNS1_11target_archE942ELNS1_3gpuE9ELNS1_3repE0EEENS1_30default_config_static_selectorELNS0_4arch9wavefront6targetE1EEEvT1_
    .private_segment_fixed_size: 0
    .sgpr_count:     4
    .sgpr_spill_count: 0
    .symbol:         _ZN7rocprim17ROCPRIM_400000_NS6detail17trampoline_kernelINS0_14default_configENS1_20scan_config_selectorItEEZZNS1_9scan_implILNS1_25lookback_scan_determinismE0ELb0ELb0ES3_N6thrust23THRUST_200600_302600_NS6detail15normal_iteratorINS9_10device_ptrItEEEESE_tNS9_4plusIvEEtEEDaPvRmT3_T4_T5_mT6_P12ihipStream_tbENKUlT_T0_E_clISt17integral_constantIbLb0EEST_IbLb1EEEEDaSP_SQ_EUlSP_E_NS1_11comp_targetILNS1_3genE5ELNS1_11target_archE942ELNS1_3gpuE9ELNS1_3repE0EEENS1_30default_config_static_selectorELNS0_4arch9wavefront6targetE1EEEvT1_.kd
    .uniform_work_group_size: 1
    .uses_dynamic_stack: false
    .vgpr_count:     0
    .vgpr_spill_count: 0
    .wavefront_size: 64
  - .agpr_count:     0
    .args:
      - .offset:         0
        .size:           96
        .value_kind:     by_value
    .group_segment_fixed_size: 3072
    .kernarg_segment_align: 8
    .kernarg_segment_size: 96
    .language:       OpenCL C
    .language_version:
      - 2
      - 0
    .max_flat_workgroup_size: 64
    .name:           _ZN7rocprim17ROCPRIM_400000_NS6detail17trampoline_kernelINS0_14default_configENS1_20scan_config_selectorItEEZZNS1_9scan_implILNS1_25lookback_scan_determinismE0ELb0ELb0ES3_N6thrust23THRUST_200600_302600_NS6detail15normal_iteratorINS9_10device_ptrItEEEESE_tNS9_4plusIvEEtEEDaPvRmT3_T4_T5_mT6_P12ihipStream_tbENKUlT_T0_E_clISt17integral_constantIbLb0EEST_IbLb1EEEEDaSP_SQ_EUlSP_E_NS1_11comp_targetILNS1_3genE4ELNS1_11target_archE910ELNS1_3gpuE8ELNS1_3repE0EEENS1_30default_config_static_selectorELNS0_4arch9wavefront6targetE1EEEvT1_
    .private_segment_fixed_size: 0
    .sgpr_count:     40
    .sgpr_spill_count: 0
    .symbol:         _ZN7rocprim17ROCPRIM_400000_NS6detail17trampoline_kernelINS0_14default_configENS1_20scan_config_selectorItEEZZNS1_9scan_implILNS1_25lookback_scan_determinismE0ELb0ELb0ES3_N6thrust23THRUST_200600_302600_NS6detail15normal_iteratorINS9_10device_ptrItEEEESE_tNS9_4plusIvEEtEEDaPvRmT3_T4_T5_mT6_P12ihipStream_tbENKUlT_T0_E_clISt17integral_constantIbLb0EEST_IbLb1EEEEDaSP_SQ_EUlSP_E_NS1_11comp_targetILNS1_3genE4ELNS1_11target_archE910ELNS1_3gpuE8ELNS1_3repE0EEENS1_30default_config_static_selectorELNS0_4arch9wavefront6targetE1EEEvT1_.kd
    .uniform_work_group_size: 1
    .uses_dynamic_stack: false
    .vgpr_count:     54
    .vgpr_spill_count: 0
    .wavefront_size: 64
  - .agpr_count:     0
    .args:
      - .offset:         0
        .size:           96
        .value_kind:     by_value
    .group_segment_fixed_size: 0
    .kernarg_segment_align: 8
    .kernarg_segment_size: 96
    .language:       OpenCL C
    .language_version:
      - 2
      - 0
    .max_flat_workgroup_size: 128
    .name:           _ZN7rocprim17ROCPRIM_400000_NS6detail17trampoline_kernelINS0_14default_configENS1_20scan_config_selectorItEEZZNS1_9scan_implILNS1_25lookback_scan_determinismE0ELb0ELb0ES3_N6thrust23THRUST_200600_302600_NS6detail15normal_iteratorINS9_10device_ptrItEEEESE_tNS9_4plusIvEEtEEDaPvRmT3_T4_T5_mT6_P12ihipStream_tbENKUlT_T0_E_clISt17integral_constantIbLb0EEST_IbLb1EEEEDaSP_SQ_EUlSP_E_NS1_11comp_targetILNS1_3genE3ELNS1_11target_archE908ELNS1_3gpuE7ELNS1_3repE0EEENS1_30default_config_static_selectorELNS0_4arch9wavefront6targetE1EEEvT1_
    .private_segment_fixed_size: 0
    .sgpr_count:     4
    .sgpr_spill_count: 0
    .symbol:         _ZN7rocprim17ROCPRIM_400000_NS6detail17trampoline_kernelINS0_14default_configENS1_20scan_config_selectorItEEZZNS1_9scan_implILNS1_25lookback_scan_determinismE0ELb0ELb0ES3_N6thrust23THRUST_200600_302600_NS6detail15normal_iteratorINS9_10device_ptrItEEEESE_tNS9_4plusIvEEtEEDaPvRmT3_T4_T5_mT6_P12ihipStream_tbENKUlT_T0_E_clISt17integral_constantIbLb0EEST_IbLb1EEEEDaSP_SQ_EUlSP_E_NS1_11comp_targetILNS1_3genE3ELNS1_11target_archE908ELNS1_3gpuE7ELNS1_3repE0EEENS1_30default_config_static_selectorELNS0_4arch9wavefront6targetE1EEEvT1_.kd
    .uniform_work_group_size: 1
    .uses_dynamic_stack: false
    .vgpr_count:     0
    .vgpr_spill_count: 0
    .wavefront_size: 64
  - .agpr_count:     0
    .args:
      - .offset:         0
        .size:           96
        .value_kind:     by_value
    .group_segment_fixed_size: 0
    .kernarg_segment_align: 8
    .kernarg_segment_size: 96
    .language:       OpenCL C
    .language_version:
      - 2
      - 0
    .max_flat_workgroup_size: 256
    .name:           _ZN7rocprim17ROCPRIM_400000_NS6detail17trampoline_kernelINS0_14default_configENS1_20scan_config_selectorItEEZZNS1_9scan_implILNS1_25lookback_scan_determinismE0ELb0ELb0ES3_N6thrust23THRUST_200600_302600_NS6detail15normal_iteratorINS9_10device_ptrItEEEESE_tNS9_4plusIvEEtEEDaPvRmT3_T4_T5_mT6_P12ihipStream_tbENKUlT_T0_E_clISt17integral_constantIbLb0EEST_IbLb1EEEEDaSP_SQ_EUlSP_E_NS1_11comp_targetILNS1_3genE2ELNS1_11target_archE906ELNS1_3gpuE6ELNS1_3repE0EEENS1_30default_config_static_selectorELNS0_4arch9wavefront6targetE1EEEvT1_
    .private_segment_fixed_size: 0
    .sgpr_count:     4
    .sgpr_spill_count: 0
    .symbol:         _ZN7rocprim17ROCPRIM_400000_NS6detail17trampoline_kernelINS0_14default_configENS1_20scan_config_selectorItEEZZNS1_9scan_implILNS1_25lookback_scan_determinismE0ELb0ELb0ES3_N6thrust23THRUST_200600_302600_NS6detail15normal_iteratorINS9_10device_ptrItEEEESE_tNS9_4plusIvEEtEEDaPvRmT3_T4_T5_mT6_P12ihipStream_tbENKUlT_T0_E_clISt17integral_constantIbLb0EEST_IbLb1EEEEDaSP_SQ_EUlSP_E_NS1_11comp_targetILNS1_3genE2ELNS1_11target_archE906ELNS1_3gpuE6ELNS1_3repE0EEENS1_30default_config_static_selectorELNS0_4arch9wavefront6targetE1EEEvT1_.kd
    .uniform_work_group_size: 1
    .uses_dynamic_stack: false
    .vgpr_count:     0
    .vgpr_spill_count: 0
    .wavefront_size: 64
  - .agpr_count:     0
    .args:
      - .offset:         0
        .size:           96
        .value_kind:     by_value
    .group_segment_fixed_size: 0
    .kernarg_segment_align: 8
    .kernarg_segment_size: 96
    .language:       OpenCL C
    .language_version:
      - 2
      - 0
    .max_flat_workgroup_size: 256
    .name:           _ZN7rocprim17ROCPRIM_400000_NS6detail17trampoline_kernelINS0_14default_configENS1_20scan_config_selectorItEEZZNS1_9scan_implILNS1_25lookback_scan_determinismE0ELb0ELb0ES3_N6thrust23THRUST_200600_302600_NS6detail15normal_iteratorINS9_10device_ptrItEEEESE_tNS9_4plusIvEEtEEDaPvRmT3_T4_T5_mT6_P12ihipStream_tbENKUlT_T0_E_clISt17integral_constantIbLb0EEST_IbLb1EEEEDaSP_SQ_EUlSP_E_NS1_11comp_targetILNS1_3genE10ELNS1_11target_archE1201ELNS1_3gpuE5ELNS1_3repE0EEENS1_30default_config_static_selectorELNS0_4arch9wavefront6targetE1EEEvT1_
    .private_segment_fixed_size: 0
    .sgpr_count:     4
    .sgpr_spill_count: 0
    .symbol:         _ZN7rocprim17ROCPRIM_400000_NS6detail17trampoline_kernelINS0_14default_configENS1_20scan_config_selectorItEEZZNS1_9scan_implILNS1_25lookback_scan_determinismE0ELb0ELb0ES3_N6thrust23THRUST_200600_302600_NS6detail15normal_iteratorINS9_10device_ptrItEEEESE_tNS9_4plusIvEEtEEDaPvRmT3_T4_T5_mT6_P12ihipStream_tbENKUlT_T0_E_clISt17integral_constantIbLb0EEST_IbLb1EEEEDaSP_SQ_EUlSP_E_NS1_11comp_targetILNS1_3genE10ELNS1_11target_archE1201ELNS1_3gpuE5ELNS1_3repE0EEENS1_30default_config_static_selectorELNS0_4arch9wavefront6targetE1EEEvT1_.kd
    .uniform_work_group_size: 1
    .uses_dynamic_stack: false
    .vgpr_count:     0
    .vgpr_spill_count: 0
    .wavefront_size: 64
  - .agpr_count:     0
    .args:
      - .offset:         0
        .size:           96
        .value_kind:     by_value
    .group_segment_fixed_size: 0
    .kernarg_segment_align: 8
    .kernarg_segment_size: 96
    .language:       OpenCL C
    .language_version:
      - 2
      - 0
    .max_flat_workgroup_size: 256
    .name:           _ZN7rocprim17ROCPRIM_400000_NS6detail17trampoline_kernelINS0_14default_configENS1_20scan_config_selectorItEEZZNS1_9scan_implILNS1_25lookback_scan_determinismE0ELb0ELb0ES3_N6thrust23THRUST_200600_302600_NS6detail15normal_iteratorINS9_10device_ptrItEEEESE_tNS9_4plusIvEEtEEDaPvRmT3_T4_T5_mT6_P12ihipStream_tbENKUlT_T0_E_clISt17integral_constantIbLb0EEST_IbLb1EEEEDaSP_SQ_EUlSP_E_NS1_11comp_targetILNS1_3genE10ELNS1_11target_archE1200ELNS1_3gpuE4ELNS1_3repE0EEENS1_30default_config_static_selectorELNS0_4arch9wavefront6targetE1EEEvT1_
    .private_segment_fixed_size: 0
    .sgpr_count:     4
    .sgpr_spill_count: 0
    .symbol:         _ZN7rocprim17ROCPRIM_400000_NS6detail17trampoline_kernelINS0_14default_configENS1_20scan_config_selectorItEEZZNS1_9scan_implILNS1_25lookback_scan_determinismE0ELb0ELb0ES3_N6thrust23THRUST_200600_302600_NS6detail15normal_iteratorINS9_10device_ptrItEEEESE_tNS9_4plusIvEEtEEDaPvRmT3_T4_T5_mT6_P12ihipStream_tbENKUlT_T0_E_clISt17integral_constantIbLb0EEST_IbLb1EEEEDaSP_SQ_EUlSP_E_NS1_11comp_targetILNS1_3genE10ELNS1_11target_archE1200ELNS1_3gpuE4ELNS1_3repE0EEENS1_30default_config_static_selectorELNS0_4arch9wavefront6targetE1EEEvT1_.kd
    .uniform_work_group_size: 1
    .uses_dynamic_stack: false
    .vgpr_count:     0
    .vgpr_spill_count: 0
    .wavefront_size: 64
  - .agpr_count:     0
    .args:
      - .offset:         0
        .size:           96
        .value_kind:     by_value
    .group_segment_fixed_size: 0
    .kernarg_segment_align: 8
    .kernarg_segment_size: 96
    .language:       OpenCL C
    .language_version:
      - 2
      - 0
    .max_flat_workgroup_size: 64
    .name:           _ZN7rocprim17ROCPRIM_400000_NS6detail17trampoline_kernelINS0_14default_configENS1_20scan_config_selectorItEEZZNS1_9scan_implILNS1_25lookback_scan_determinismE0ELb0ELb0ES3_N6thrust23THRUST_200600_302600_NS6detail15normal_iteratorINS9_10device_ptrItEEEESE_tNS9_4plusIvEEtEEDaPvRmT3_T4_T5_mT6_P12ihipStream_tbENKUlT_T0_E_clISt17integral_constantIbLb0EEST_IbLb1EEEEDaSP_SQ_EUlSP_E_NS1_11comp_targetILNS1_3genE9ELNS1_11target_archE1100ELNS1_3gpuE3ELNS1_3repE0EEENS1_30default_config_static_selectorELNS0_4arch9wavefront6targetE1EEEvT1_
    .private_segment_fixed_size: 0
    .sgpr_count:     4
    .sgpr_spill_count: 0
    .symbol:         _ZN7rocprim17ROCPRIM_400000_NS6detail17trampoline_kernelINS0_14default_configENS1_20scan_config_selectorItEEZZNS1_9scan_implILNS1_25lookback_scan_determinismE0ELb0ELb0ES3_N6thrust23THRUST_200600_302600_NS6detail15normal_iteratorINS9_10device_ptrItEEEESE_tNS9_4plusIvEEtEEDaPvRmT3_T4_T5_mT6_P12ihipStream_tbENKUlT_T0_E_clISt17integral_constantIbLb0EEST_IbLb1EEEEDaSP_SQ_EUlSP_E_NS1_11comp_targetILNS1_3genE9ELNS1_11target_archE1100ELNS1_3gpuE3ELNS1_3repE0EEENS1_30default_config_static_selectorELNS0_4arch9wavefront6targetE1EEEvT1_.kd
    .uniform_work_group_size: 1
    .uses_dynamic_stack: false
    .vgpr_count:     0
    .vgpr_spill_count: 0
    .wavefront_size: 64
  - .agpr_count:     0
    .args:
      - .offset:         0
        .size:           96
        .value_kind:     by_value
    .group_segment_fixed_size: 0
    .kernarg_segment_align: 8
    .kernarg_segment_size: 96
    .language:       OpenCL C
    .language_version:
      - 2
      - 0
    .max_flat_workgroup_size: 64
    .name:           _ZN7rocprim17ROCPRIM_400000_NS6detail17trampoline_kernelINS0_14default_configENS1_20scan_config_selectorItEEZZNS1_9scan_implILNS1_25lookback_scan_determinismE0ELb0ELb0ES3_N6thrust23THRUST_200600_302600_NS6detail15normal_iteratorINS9_10device_ptrItEEEESE_tNS9_4plusIvEEtEEDaPvRmT3_T4_T5_mT6_P12ihipStream_tbENKUlT_T0_E_clISt17integral_constantIbLb0EEST_IbLb1EEEEDaSP_SQ_EUlSP_E_NS1_11comp_targetILNS1_3genE8ELNS1_11target_archE1030ELNS1_3gpuE2ELNS1_3repE0EEENS1_30default_config_static_selectorELNS0_4arch9wavefront6targetE1EEEvT1_
    .private_segment_fixed_size: 0
    .sgpr_count:     4
    .sgpr_spill_count: 0
    .symbol:         _ZN7rocprim17ROCPRIM_400000_NS6detail17trampoline_kernelINS0_14default_configENS1_20scan_config_selectorItEEZZNS1_9scan_implILNS1_25lookback_scan_determinismE0ELb0ELb0ES3_N6thrust23THRUST_200600_302600_NS6detail15normal_iteratorINS9_10device_ptrItEEEESE_tNS9_4plusIvEEtEEDaPvRmT3_T4_T5_mT6_P12ihipStream_tbENKUlT_T0_E_clISt17integral_constantIbLb0EEST_IbLb1EEEEDaSP_SQ_EUlSP_E_NS1_11comp_targetILNS1_3genE8ELNS1_11target_archE1030ELNS1_3gpuE2ELNS1_3repE0EEENS1_30default_config_static_selectorELNS0_4arch9wavefront6targetE1EEEvT1_.kd
    .uniform_work_group_size: 1
    .uses_dynamic_stack: false
    .vgpr_count:     0
    .vgpr_spill_count: 0
    .wavefront_size: 64
  - .agpr_count:     0
    .args:
      - .offset:         0
        .size:           32
        .value_kind:     by_value
    .group_segment_fixed_size: 0
    .kernarg_segment_align: 8
    .kernarg_segment_size: 32
    .language:       OpenCL C
    .language_version:
      - 2
      - 0
    .max_flat_workgroup_size: 128
    .name:           _ZN7rocprim17ROCPRIM_400000_NS6detail17trampoline_kernelINS0_14default_configENS1_20scan_config_selectorItEEZZNS1_9scan_implILNS1_25lookback_scan_determinismE0ELb0ELb0ES3_N6thrust23THRUST_200600_302600_NS6detail15normal_iteratorINS9_10device_ptrItEEEESE_tNS9_4plusIvEEtEEDaPvRmT3_T4_T5_mT6_P12ihipStream_tbENKUlT_T0_E_clISt17integral_constantIbLb0EEST_IbLb1EEEEDaSP_SQ_EUlSP_E0_NS1_11comp_targetILNS1_3genE0ELNS1_11target_archE4294967295ELNS1_3gpuE0ELNS1_3repE0EEENS1_30default_config_static_selectorELNS0_4arch9wavefront6targetE1EEEvT1_
    .private_segment_fixed_size: 0
    .sgpr_count:     4
    .sgpr_spill_count: 0
    .symbol:         _ZN7rocprim17ROCPRIM_400000_NS6detail17trampoline_kernelINS0_14default_configENS1_20scan_config_selectorItEEZZNS1_9scan_implILNS1_25lookback_scan_determinismE0ELb0ELb0ES3_N6thrust23THRUST_200600_302600_NS6detail15normal_iteratorINS9_10device_ptrItEEEESE_tNS9_4plusIvEEtEEDaPvRmT3_T4_T5_mT6_P12ihipStream_tbENKUlT_T0_E_clISt17integral_constantIbLb0EEST_IbLb1EEEEDaSP_SQ_EUlSP_E0_NS1_11comp_targetILNS1_3genE0ELNS1_11target_archE4294967295ELNS1_3gpuE0ELNS1_3repE0EEENS1_30default_config_static_selectorELNS0_4arch9wavefront6targetE1EEEvT1_.kd
    .uniform_work_group_size: 1
    .uses_dynamic_stack: false
    .vgpr_count:     0
    .vgpr_spill_count: 0
    .wavefront_size: 64
  - .agpr_count:     0
    .args:
      - .offset:         0
        .size:           32
        .value_kind:     by_value
    .group_segment_fixed_size: 0
    .kernarg_segment_align: 8
    .kernarg_segment_size: 32
    .language:       OpenCL C
    .language_version:
      - 2
      - 0
    .max_flat_workgroup_size: 256
    .name:           _ZN7rocprim17ROCPRIM_400000_NS6detail17trampoline_kernelINS0_14default_configENS1_20scan_config_selectorItEEZZNS1_9scan_implILNS1_25lookback_scan_determinismE0ELb0ELb0ES3_N6thrust23THRUST_200600_302600_NS6detail15normal_iteratorINS9_10device_ptrItEEEESE_tNS9_4plusIvEEtEEDaPvRmT3_T4_T5_mT6_P12ihipStream_tbENKUlT_T0_E_clISt17integral_constantIbLb0EEST_IbLb1EEEEDaSP_SQ_EUlSP_E0_NS1_11comp_targetILNS1_3genE5ELNS1_11target_archE942ELNS1_3gpuE9ELNS1_3repE0EEENS1_30default_config_static_selectorELNS0_4arch9wavefront6targetE1EEEvT1_
    .private_segment_fixed_size: 0
    .sgpr_count:     4
    .sgpr_spill_count: 0
    .symbol:         _ZN7rocprim17ROCPRIM_400000_NS6detail17trampoline_kernelINS0_14default_configENS1_20scan_config_selectorItEEZZNS1_9scan_implILNS1_25lookback_scan_determinismE0ELb0ELb0ES3_N6thrust23THRUST_200600_302600_NS6detail15normal_iteratorINS9_10device_ptrItEEEESE_tNS9_4plusIvEEtEEDaPvRmT3_T4_T5_mT6_P12ihipStream_tbENKUlT_T0_E_clISt17integral_constantIbLb0EEST_IbLb1EEEEDaSP_SQ_EUlSP_E0_NS1_11comp_targetILNS1_3genE5ELNS1_11target_archE942ELNS1_3gpuE9ELNS1_3repE0EEENS1_30default_config_static_selectorELNS0_4arch9wavefront6targetE1EEEvT1_.kd
    .uniform_work_group_size: 1
    .uses_dynamic_stack: false
    .vgpr_count:     0
    .vgpr_spill_count: 0
    .wavefront_size: 64
  - .agpr_count:     0
    .args:
      - .offset:         0
        .size:           32
        .value_kind:     by_value
    .group_segment_fixed_size: 3072
    .kernarg_segment_align: 8
    .kernarg_segment_size: 32
    .language:       OpenCL C
    .language_version:
      - 2
      - 0
    .max_flat_workgroup_size: 64
    .name:           _ZN7rocprim17ROCPRIM_400000_NS6detail17trampoline_kernelINS0_14default_configENS1_20scan_config_selectorItEEZZNS1_9scan_implILNS1_25lookback_scan_determinismE0ELb0ELb0ES3_N6thrust23THRUST_200600_302600_NS6detail15normal_iteratorINS9_10device_ptrItEEEESE_tNS9_4plusIvEEtEEDaPvRmT3_T4_T5_mT6_P12ihipStream_tbENKUlT_T0_E_clISt17integral_constantIbLb0EEST_IbLb1EEEEDaSP_SQ_EUlSP_E0_NS1_11comp_targetILNS1_3genE4ELNS1_11target_archE910ELNS1_3gpuE8ELNS1_3repE0EEENS1_30default_config_static_selectorELNS0_4arch9wavefront6targetE1EEEvT1_
    .private_segment_fixed_size: 0
    .sgpr_count:     60
    .sgpr_spill_count: 0
    .symbol:         _ZN7rocprim17ROCPRIM_400000_NS6detail17trampoline_kernelINS0_14default_configENS1_20scan_config_selectorItEEZZNS1_9scan_implILNS1_25lookback_scan_determinismE0ELb0ELb0ES3_N6thrust23THRUST_200600_302600_NS6detail15normal_iteratorINS9_10device_ptrItEEEESE_tNS9_4plusIvEEtEEDaPvRmT3_T4_T5_mT6_P12ihipStream_tbENKUlT_T0_E_clISt17integral_constantIbLb0EEST_IbLb1EEEEDaSP_SQ_EUlSP_E0_NS1_11comp_targetILNS1_3genE4ELNS1_11target_archE910ELNS1_3gpuE8ELNS1_3repE0EEENS1_30default_config_static_selectorELNS0_4arch9wavefront6targetE1EEEvT1_.kd
    .uniform_work_group_size: 1
    .uses_dynamic_stack: false
    .vgpr_count:     42
    .vgpr_spill_count: 0
    .wavefront_size: 64
  - .agpr_count:     0
    .args:
      - .offset:         0
        .size:           32
        .value_kind:     by_value
    .group_segment_fixed_size: 0
    .kernarg_segment_align: 8
    .kernarg_segment_size: 32
    .language:       OpenCL C
    .language_version:
      - 2
      - 0
    .max_flat_workgroup_size: 128
    .name:           _ZN7rocprim17ROCPRIM_400000_NS6detail17trampoline_kernelINS0_14default_configENS1_20scan_config_selectorItEEZZNS1_9scan_implILNS1_25lookback_scan_determinismE0ELb0ELb0ES3_N6thrust23THRUST_200600_302600_NS6detail15normal_iteratorINS9_10device_ptrItEEEESE_tNS9_4plusIvEEtEEDaPvRmT3_T4_T5_mT6_P12ihipStream_tbENKUlT_T0_E_clISt17integral_constantIbLb0EEST_IbLb1EEEEDaSP_SQ_EUlSP_E0_NS1_11comp_targetILNS1_3genE3ELNS1_11target_archE908ELNS1_3gpuE7ELNS1_3repE0EEENS1_30default_config_static_selectorELNS0_4arch9wavefront6targetE1EEEvT1_
    .private_segment_fixed_size: 0
    .sgpr_count:     4
    .sgpr_spill_count: 0
    .symbol:         _ZN7rocprim17ROCPRIM_400000_NS6detail17trampoline_kernelINS0_14default_configENS1_20scan_config_selectorItEEZZNS1_9scan_implILNS1_25lookback_scan_determinismE0ELb0ELb0ES3_N6thrust23THRUST_200600_302600_NS6detail15normal_iteratorINS9_10device_ptrItEEEESE_tNS9_4plusIvEEtEEDaPvRmT3_T4_T5_mT6_P12ihipStream_tbENKUlT_T0_E_clISt17integral_constantIbLb0EEST_IbLb1EEEEDaSP_SQ_EUlSP_E0_NS1_11comp_targetILNS1_3genE3ELNS1_11target_archE908ELNS1_3gpuE7ELNS1_3repE0EEENS1_30default_config_static_selectorELNS0_4arch9wavefront6targetE1EEEvT1_.kd
    .uniform_work_group_size: 1
    .uses_dynamic_stack: false
    .vgpr_count:     0
    .vgpr_spill_count: 0
    .wavefront_size: 64
  - .agpr_count:     0
    .args:
      - .offset:         0
        .size:           32
        .value_kind:     by_value
    .group_segment_fixed_size: 0
    .kernarg_segment_align: 8
    .kernarg_segment_size: 32
    .language:       OpenCL C
    .language_version:
      - 2
      - 0
    .max_flat_workgroup_size: 256
    .name:           _ZN7rocprim17ROCPRIM_400000_NS6detail17trampoline_kernelINS0_14default_configENS1_20scan_config_selectorItEEZZNS1_9scan_implILNS1_25lookback_scan_determinismE0ELb0ELb0ES3_N6thrust23THRUST_200600_302600_NS6detail15normal_iteratorINS9_10device_ptrItEEEESE_tNS9_4plusIvEEtEEDaPvRmT3_T4_T5_mT6_P12ihipStream_tbENKUlT_T0_E_clISt17integral_constantIbLb0EEST_IbLb1EEEEDaSP_SQ_EUlSP_E0_NS1_11comp_targetILNS1_3genE2ELNS1_11target_archE906ELNS1_3gpuE6ELNS1_3repE0EEENS1_30default_config_static_selectorELNS0_4arch9wavefront6targetE1EEEvT1_
    .private_segment_fixed_size: 0
    .sgpr_count:     4
    .sgpr_spill_count: 0
    .symbol:         _ZN7rocprim17ROCPRIM_400000_NS6detail17trampoline_kernelINS0_14default_configENS1_20scan_config_selectorItEEZZNS1_9scan_implILNS1_25lookback_scan_determinismE0ELb0ELb0ES3_N6thrust23THRUST_200600_302600_NS6detail15normal_iteratorINS9_10device_ptrItEEEESE_tNS9_4plusIvEEtEEDaPvRmT3_T4_T5_mT6_P12ihipStream_tbENKUlT_T0_E_clISt17integral_constantIbLb0EEST_IbLb1EEEEDaSP_SQ_EUlSP_E0_NS1_11comp_targetILNS1_3genE2ELNS1_11target_archE906ELNS1_3gpuE6ELNS1_3repE0EEENS1_30default_config_static_selectorELNS0_4arch9wavefront6targetE1EEEvT1_.kd
    .uniform_work_group_size: 1
    .uses_dynamic_stack: false
    .vgpr_count:     0
    .vgpr_spill_count: 0
    .wavefront_size: 64
  - .agpr_count:     0
    .args:
      - .offset:         0
        .size:           32
        .value_kind:     by_value
    .group_segment_fixed_size: 0
    .kernarg_segment_align: 8
    .kernarg_segment_size: 32
    .language:       OpenCL C
    .language_version:
      - 2
      - 0
    .max_flat_workgroup_size: 256
    .name:           _ZN7rocprim17ROCPRIM_400000_NS6detail17trampoline_kernelINS0_14default_configENS1_20scan_config_selectorItEEZZNS1_9scan_implILNS1_25lookback_scan_determinismE0ELb0ELb0ES3_N6thrust23THRUST_200600_302600_NS6detail15normal_iteratorINS9_10device_ptrItEEEESE_tNS9_4plusIvEEtEEDaPvRmT3_T4_T5_mT6_P12ihipStream_tbENKUlT_T0_E_clISt17integral_constantIbLb0EEST_IbLb1EEEEDaSP_SQ_EUlSP_E0_NS1_11comp_targetILNS1_3genE10ELNS1_11target_archE1201ELNS1_3gpuE5ELNS1_3repE0EEENS1_30default_config_static_selectorELNS0_4arch9wavefront6targetE1EEEvT1_
    .private_segment_fixed_size: 0
    .sgpr_count:     4
    .sgpr_spill_count: 0
    .symbol:         _ZN7rocprim17ROCPRIM_400000_NS6detail17trampoline_kernelINS0_14default_configENS1_20scan_config_selectorItEEZZNS1_9scan_implILNS1_25lookback_scan_determinismE0ELb0ELb0ES3_N6thrust23THRUST_200600_302600_NS6detail15normal_iteratorINS9_10device_ptrItEEEESE_tNS9_4plusIvEEtEEDaPvRmT3_T4_T5_mT6_P12ihipStream_tbENKUlT_T0_E_clISt17integral_constantIbLb0EEST_IbLb1EEEEDaSP_SQ_EUlSP_E0_NS1_11comp_targetILNS1_3genE10ELNS1_11target_archE1201ELNS1_3gpuE5ELNS1_3repE0EEENS1_30default_config_static_selectorELNS0_4arch9wavefront6targetE1EEEvT1_.kd
    .uniform_work_group_size: 1
    .uses_dynamic_stack: false
    .vgpr_count:     0
    .vgpr_spill_count: 0
    .wavefront_size: 64
  - .agpr_count:     0
    .args:
      - .offset:         0
        .size:           32
        .value_kind:     by_value
    .group_segment_fixed_size: 0
    .kernarg_segment_align: 8
    .kernarg_segment_size: 32
    .language:       OpenCL C
    .language_version:
      - 2
      - 0
    .max_flat_workgroup_size: 256
    .name:           _ZN7rocprim17ROCPRIM_400000_NS6detail17trampoline_kernelINS0_14default_configENS1_20scan_config_selectorItEEZZNS1_9scan_implILNS1_25lookback_scan_determinismE0ELb0ELb0ES3_N6thrust23THRUST_200600_302600_NS6detail15normal_iteratorINS9_10device_ptrItEEEESE_tNS9_4plusIvEEtEEDaPvRmT3_T4_T5_mT6_P12ihipStream_tbENKUlT_T0_E_clISt17integral_constantIbLb0EEST_IbLb1EEEEDaSP_SQ_EUlSP_E0_NS1_11comp_targetILNS1_3genE10ELNS1_11target_archE1200ELNS1_3gpuE4ELNS1_3repE0EEENS1_30default_config_static_selectorELNS0_4arch9wavefront6targetE1EEEvT1_
    .private_segment_fixed_size: 0
    .sgpr_count:     4
    .sgpr_spill_count: 0
    .symbol:         _ZN7rocprim17ROCPRIM_400000_NS6detail17trampoline_kernelINS0_14default_configENS1_20scan_config_selectorItEEZZNS1_9scan_implILNS1_25lookback_scan_determinismE0ELb0ELb0ES3_N6thrust23THRUST_200600_302600_NS6detail15normal_iteratorINS9_10device_ptrItEEEESE_tNS9_4plusIvEEtEEDaPvRmT3_T4_T5_mT6_P12ihipStream_tbENKUlT_T0_E_clISt17integral_constantIbLb0EEST_IbLb1EEEEDaSP_SQ_EUlSP_E0_NS1_11comp_targetILNS1_3genE10ELNS1_11target_archE1200ELNS1_3gpuE4ELNS1_3repE0EEENS1_30default_config_static_selectorELNS0_4arch9wavefront6targetE1EEEvT1_.kd
    .uniform_work_group_size: 1
    .uses_dynamic_stack: false
    .vgpr_count:     0
    .vgpr_spill_count: 0
    .wavefront_size: 64
  - .agpr_count:     0
    .args:
      - .offset:         0
        .size:           32
        .value_kind:     by_value
    .group_segment_fixed_size: 0
    .kernarg_segment_align: 8
    .kernarg_segment_size: 32
    .language:       OpenCL C
    .language_version:
      - 2
      - 0
    .max_flat_workgroup_size: 64
    .name:           _ZN7rocprim17ROCPRIM_400000_NS6detail17trampoline_kernelINS0_14default_configENS1_20scan_config_selectorItEEZZNS1_9scan_implILNS1_25lookback_scan_determinismE0ELb0ELb0ES3_N6thrust23THRUST_200600_302600_NS6detail15normal_iteratorINS9_10device_ptrItEEEESE_tNS9_4plusIvEEtEEDaPvRmT3_T4_T5_mT6_P12ihipStream_tbENKUlT_T0_E_clISt17integral_constantIbLb0EEST_IbLb1EEEEDaSP_SQ_EUlSP_E0_NS1_11comp_targetILNS1_3genE9ELNS1_11target_archE1100ELNS1_3gpuE3ELNS1_3repE0EEENS1_30default_config_static_selectorELNS0_4arch9wavefront6targetE1EEEvT1_
    .private_segment_fixed_size: 0
    .sgpr_count:     4
    .sgpr_spill_count: 0
    .symbol:         _ZN7rocprim17ROCPRIM_400000_NS6detail17trampoline_kernelINS0_14default_configENS1_20scan_config_selectorItEEZZNS1_9scan_implILNS1_25lookback_scan_determinismE0ELb0ELb0ES3_N6thrust23THRUST_200600_302600_NS6detail15normal_iteratorINS9_10device_ptrItEEEESE_tNS9_4plusIvEEtEEDaPvRmT3_T4_T5_mT6_P12ihipStream_tbENKUlT_T0_E_clISt17integral_constantIbLb0EEST_IbLb1EEEEDaSP_SQ_EUlSP_E0_NS1_11comp_targetILNS1_3genE9ELNS1_11target_archE1100ELNS1_3gpuE3ELNS1_3repE0EEENS1_30default_config_static_selectorELNS0_4arch9wavefront6targetE1EEEvT1_.kd
    .uniform_work_group_size: 1
    .uses_dynamic_stack: false
    .vgpr_count:     0
    .vgpr_spill_count: 0
    .wavefront_size: 64
  - .agpr_count:     0
    .args:
      - .offset:         0
        .size:           32
        .value_kind:     by_value
    .group_segment_fixed_size: 0
    .kernarg_segment_align: 8
    .kernarg_segment_size: 32
    .language:       OpenCL C
    .language_version:
      - 2
      - 0
    .max_flat_workgroup_size: 64
    .name:           _ZN7rocprim17ROCPRIM_400000_NS6detail17trampoline_kernelINS0_14default_configENS1_20scan_config_selectorItEEZZNS1_9scan_implILNS1_25lookback_scan_determinismE0ELb0ELb0ES3_N6thrust23THRUST_200600_302600_NS6detail15normal_iteratorINS9_10device_ptrItEEEESE_tNS9_4plusIvEEtEEDaPvRmT3_T4_T5_mT6_P12ihipStream_tbENKUlT_T0_E_clISt17integral_constantIbLb0EEST_IbLb1EEEEDaSP_SQ_EUlSP_E0_NS1_11comp_targetILNS1_3genE8ELNS1_11target_archE1030ELNS1_3gpuE2ELNS1_3repE0EEENS1_30default_config_static_selectorELNS0_4arch9wavefront6targetE1EEEvT1_
    .private_segment_fixed_size: 0
    .sgpr_count:     4
    .sgpr_spill_count: 0
    .symbol:         _ZN7rocprim17ROCPRIM_400000_NS6detail17trampoline_kernelINS0_14default_configENS1_20scan_config_selectorItEEZZNS1_9scan_implILNS1_25lookback_scan_determinismE0ELb0ELb0ES3_N6thrust23THRUST_200600_302600_NS6detail15normal_iteratorINS9_10device_ptrItEEEESE_tNS9_4plusIvEEtEEDaPvRmT3_T4_T5_mT6_P12ihipStream_tbENKUlT_T0_E_clISt17integral_constantIbLb0EEST_IbLb1EEEEDaSP_SQ_EUlSP_E0_NS1_11comp_targetILNS1_3genE8ELNS1_11target_archE1030ELNS1_3gpuE2ELNS1_3repE0EEENS1_30default_config_static_selectorELNS0_4arch9wavefront6targetE1EEEvT1_.kd
    .uniform_work_group_size: 1
    .uses_dynamic_stack: false
    .vgpr_count:     0
    .vgpr_spill_count: 0
    .wavefront_size: 64
  - .agpr_count:     0
    .args:
      - .offset:         0
        .size:           96
        .value_kind:     by_value
    .group_segment_fixed_size: 0
    .kernarg_segment_align: 8
    .kernarg_segment_size: 96
    .language:       OpenCL C
    .language_version:
      - 2
      - 0
    .max_flat_workgroup_size: 128
    .name:           _ZN7rocprim17ROCPRIM_400000_NS6detail17trampoline_kernelINS0_14default_configENS1_20scan_config_selectorItEEZZNS1_9scan_implILNS1_25lookback_scan_determinismE0ELb1ELb1ES3_N6thrust23THRUST_200600_302600_NS6detail15normal_iteratorINS9_10device_ptrItEEEESE_tNS9_4plusIvEEtEEDaPvRmT3_T4_T5_mT6_P12ihipStream_tbENKUlT_T0_E_clISt17integral_constantIbLb0EESU_EEDaSP_SQ_EUlSP_E_NS1_11comp_targetILNS1_3genE0ELNS1_11target_archE4294967295ELNS1_3gpuE0ELNS1_3repE0EEENS1_30default_config_static_selectorELNS0_4arch9wavefront6targetE1EEEvT1_
    .private_segment_fixed_size: 0
    .sgpr_count:     4
    .sgpr_spill_count: 0
    .symbol:         _ZN7rocprim17ROCPRIM_400000_NS6detail17trampoline_kernelINS0_14default_configENS1_20scan_config_selectorItEEZZNS1_9scan_implILNS1_25lookback_scan_determinismE0ELb1ELb1ES3_N6thrust23THRUST_200600_302600_NS6detail15normal_iteratorINS9_10device_ptrItEEEESE_tNS9_4plusIvEEtEEDaPvRmT3_T4_T5_mT6_P12ihipStream_tbENKUlT_T0_E_clISt17integral_constantIbLb0EESU_EEDaSP_SQ_EUlSP_E_NS1_11comp_targetILNS1_3genE0ELNS1_11target_archE4294967295ELNS1_3gpuE0ELNS1_3repE0EEENS1_30default_config_static_selectorELNS0_4arch9wavefront6targetE1EEEvT1_.kd
    .uniform_work_group_size: 1
    .uses_dynamic_stack: false
    .vgpr_count:     0
    .vgpr_spill_count: 0
    .wavefront_size: 64
  - .agpr_count:     0
    .args:
      - .offset:         0
        .size:           96
        .value_kind:     by_value
    .group_segment_fixed_size: 0
    .kernarg_segment_align: 8
    .kernarg_segment_size: 96
    .language:       OpenCL C
    .language_version:
      - 2
      - 0
    .max_flat_workgroup_size: 256
    .name:           _ZN7rocprim17ROCPRIM_400000_NS6detail17trampoline_kernelINS0_14default_configENS1_20scan_config_selectorItEEZZNS1_9scan_implILNS1_25lookback_scan_determinismE0ELb1ELb1ES3_N6thrust23THRUST_200600_302600_NS6detail15normal_iteratorINS9_10device_ptrItEEEESE_tNS9_4plusIvEEtEEDaPvRmT3_T4_T5_mT6_P12ihipStream_tbENKUlT_T0_E_clISt17integral_constantIbLb0EESU_EEDaSP_SQ_EUlSP_E_NS1_11comp_targetILNS1_3genE5ELNS1_11target_archE942ELNS1_3gpuE9ELNS1_3repE0EEENS1_30default_config_static_selectorELNS0_4arch9wavefront6targetE1EEEvT1_
    .private_segment_fixed_size: 0
    .sgpr_count:     4
    .sgpr_spill_count: 0
    .symbol:         _ZN7rocprim17ROCPRIM_400000_NS6detail17trampoline_kernelINS0_14default_configENS1_20scan_config_selectorItEEZZNS1_9scan_implILNS1_25lookback_scan_determinismE0ELb1ELb1ES3_N6thrust23THRUST_200600_302600_NS6detail15normal_iteratorINS9_10device_ptrItEEEESE_tNS9_4plusIvEEtEEDaPvRmT3_T4_T5_mT6_P12ihipStream_tbENKUlT_T0_E_clISt17integral_constantIbLb0EESU_EEDaSP_SQ_EUlSP_E_NS1_11comp_targetILNS1_3genE5ELNS1_11target_archE942ELNS1_3gpuE9ELNS1_3repE0EEENS1_30default_config_static_selectorELNS0_4arch9wavefront6targetE1EEEvT1_.kd
    .uniform_work_group_size: 1
    .uses_dynamic_stack: false
    .vgpr_count:     0
    .vgpr_spill_count: 0
    .wavefront_size: 64
  - .agpr_count:     0
    .args:
      - .offset:         0
        .size:           96
        .value_kind:     by_value
    .group_segment_fixed_size: 3072
    .kernarg_segment_align: 8
    .kernarg_segment_size: 96
    .language:       OpenCL C
    .language_version:
      - 2
      - 0
    .max_flat_workgroup_size: 64
    .name:           _ZN7rocprim17ROCPRIM_400000_NS6detail17trampoline_kernelINS0_14default_configENS1_20scan_config_selectorItEEZZNS1_9scan_implILNS1_25lookback_scan_determinismE0ELb1ELb1ES3_N6thrust23THRUST_200600_302600_NS6detail15normal_iteratorINS9_10device_ptrItEEEESE_tNS9_4plusIvEEtEEDaPvRmT3_T4_T5_mT6_P12ihipStream_tbENKUlT_T0_E_clISt17integral_constantIbLb0EESU_EEDaSP_SQ_EUlSP_E_NS1_11comp_targetILNS1_3genE4ELNS1_11target_archE910ELNS1_3gpuE8ELNS1_3repE0EEENS1_30default_config_static_selectorELNS0_4arch9wavefront6targetE1EEEvT1_
    .private_segment_fixed_size: 0
    .sgpr_count:     33
    .sgpr_spill_count: 0
    .symbol:         _ZN7rocprim17ROCPRIM_400000_NS6detail17trampoline_kernelINS0_14default_configENS1_20scan_config_selectorItEEZZNS1_9scan_implILNS1_25lookback_scan_determinismE0ELb1ELb1ES3_N6thrust23THRUST_200600_302600_NS6detail15normal_iteratorINS9_10device_ptrItEEEESE_tNS9_4plusIvEEtEEDaPvRmT3_T4_T5_mT6_P12ihipStream_tbENKUlT_T0_E_clISt17integral_constantIbLb0EESU_EEDaSP_SQ_EUlSP_E_NS1_11comp_targetILNS1_3genE4ELNS1_11target_archE910ELNS1_3gpuE8ELNS1_3repE0EEENS1_30default_config_static_selectorELNS0_4arch9wavefront6targetE1EEEvT1_.kd
    .uniform_work_group_size: 1
    .uses_dynamic_stack: false
    .vgpr_count:     54
    .vgpr_spill_count: 0
    .wavefront_size: 64
  - .agpr_count:     0
    .args:
      - .offset:         0
        .size:           96
        .value_kind:     by_value
    .group_segment_fixed_size: 0
    .kernarg_segment_align: 8
    .kernarg_segment_size: 96
    .language:       OpenCL C
    .language_version:
      - 2
      - 0
    .max_flat_workgroup_size: 128
    .name:           _ZN7rocprim17ROCPRIM_400000_NS6detail17trampoline_kernelINS0_14default_configENS1_20scan_config_selectorItEEZZNS1_9scan_implILNS1_25lookback_scan_determinismE0ELb1ELb1ES3_N6thrust23THRUST_200600_302600_NS6detail15normal_iteratorINS9_10device_ptrItEEEESE_tNS9_4plusIvEEtEEDaPvRmT3_T4_T5_mT6_P12ihipStream_tbENKUlT_T0_E_clISt17integral_constantIbLb0EESU_EEDaSP_SQ_EUlSP_E_NS1_11comp_targetILNS1_3genE3ELNS1_11target_archE908ELNS1_3gpuE7ELNS1_3repE0EEENS1_30default_config_static_selectorELNS0_4arch9wavefront6targetE1EEEvT1_
    .private_segment_fixed_size: 0
    .sgpr_count:     4
    .sgpr_spill_count: 0
    .symbol:         _ZN7rocprim17ROCPRIM_400000_NS6detail17trampoline_kernelINS0_14default_configENS1_20scan_config_selectorItEEZZNS1_9scan_implILNS1_25lookback_scan_determinismE0ELb1ELb1ES3_N6thrust23THRUST_200600_302600_NS6detail15normal_iteratorINS9_10device_ptrItEEEESE_tNS9_4plusIvEEtEEDaPvRmT3_T4_T5_mT6_P12ihipStream_tbENKUlT_T0_E_clISt17integral_constantIbLb0EESU_EEDaSP_SQ_EUlSP_E_NS1_11comp_targetILNS1_3genE3ELNS1_11target_archE908ELNS1_3gpuE7ELNS1_3repE0EEENS1_30default_config_static_selectorELNS0_4arch9wavefront6targetE1EEEvT1_.kd
    .uniform_work_group_size: 1
    .uses_dynamic_stack: false
    .vgpr_count:     0
    .vgpr_spill_count: 0
    .wavefront_size: 64
  - .agpr_count:     0
    .args:
      - .offset:         0
        .size:           96
        .value_kind:     by_value
    .group_segment_fixed_size: 0
    .kernarg_segment_align: 8
    .kernarg_segment_size: 96
    .language:       OpenCL C
    .language_version:
      - 2
      - 0
    .max_flat_workgroup_size: 256
    .name:           _ZN7rocprim17ROCPRIM_400000_NS6detail17trampoline_kernelINS0_14default_configENS1_20scan_config_selectorItEEZZNS1_9scan_implILNS1_25lookback_scan_determinismE0ELb1ELb1ES3_N6thrust23THRUST_200600_302600_NS6detail15normal_iteratorINS9_10device_ptrItEEEESE_tNS9_4plusIvEEtEEDaPvRmT3_T4_T5_mT6_P12ihipStream_tbENKUlT_T0_E_clISt17integral_constantIbLb0EESU_EEDaSP_SQ_EUlSP_E_NS1_11comp_targetILNS1_3genE2ELNS1_11target_archE906ELNS1_3gpuE6ELNS1_3repE0EEENS1_30default_config_static_selectorELNS0_4arch9wavefront6targetE1EEEvT1_
    .private_segment_fixed_size: 0
    .sgpr_count:     4
    .sgpr_spill_count: 0
    .symbol:         _ZN7rocprim17ROCPRIM_400000_NS6detail17trampoline_kernelINS0_14default_configENS1_20scan_config_selectorItEEZZNS1_9scan_implILNS1_25lookback_scan_determinismE0ELb1ELb1ES3_N6thrust23THRUST_200600_302600_NS6detail15normal_iteratorINS9_10device_ptrItEEEESE_tNS9_4plusIvEEtEEDaPvRmT3_T4_T5_mT6_P12ihipStream_tbENKUlT_T0_E_clISt17integral_constantIbLb0EESU_EEDaSP_SQ_EUlSP_E_NS1_11comp_targetILNS1_3genE2ELNS1_11target_archE906ELNS1_3gpuE6ELNS1_3repE0EEENS1_30default_config_static_selectorELNS0_4arch9wavefront6targetE1EEEvT1_.kd
    .uniform_work_group_size: 1
    .uses_dynamic_stack: false
    .vgpr_count:     0
    .vgpr_spill_count: 0
    .wavefront_size: 64
  - .agpr_count:     0
    .args:
      - .offset:         0
        .size:           96
        .value_kind:     by_value
    .group_segment_fixed_size: 0
    .kernarg_segment_align: 8
    .kernarg_segment_size: 96
    .language:       OpenCL C
    .language_version:
      - 2
      - 0
    .max_flat_workgroup_size: 256
    .name:           _ZN7rocprim17ROCPRIM_400000_NS6detail17trampoline_kernelINS0_14default_configENS1_20scan_config_selectorItEEZZNS1_9scan_implILNS1_25lookback_scan_determinismE0ELb1ELb1ES3_N6thrust23THRUST_200600_302600_NS6detail15normal_iteratorINS9_10device_ptrItEEEESE_tNS9_4plusIvEEtEEDaPvRmT3_T4_T5_mT6_P12ihipStream_tbENKUlT_T0_E_clISt17integral_constantIbLb0EESU_EEDaSP_SQ_EUlSP_E_NS1_11comp_targetILNS1_3genE10ELNS1_11target_archE1201ELNS1_3gpuE5ELNS1_3repE0EEENS1_30default_config_static_selectorELNS0_4arch9wavefront6targetE1EEEvT1_
    .private_segment_fixed_size: 0
    .sgpr_count:     4
    .sgpr_spill_count: 0
    .symbol:         _ZN7rocprim17ROCPRIM_400000_NS6detail17trampoline_kernelINS0_14default_configENS1_20scan_config_selectorItEEZZNS1_9scan_implILNS1_25lookback_scan_determinismE0ELb1ELb1ES3_N6thrust23THRUST_200600_302600_NS6detail15normal_iteratorINS9_10device_ptrItEEEESE_tNS9_4plusIvEEtEEDaPvRmT3_T4_T5_mT6_P12ihipStream_tbENKUlT_T0_E_clISt17integral_constantIbLb0EESU_EEDaSP_SQ_EUlSP_E_NS1_11comp_targetILNS1_3genE10ELNS1_11target_archE1201ELNS1_3gpuE5ELNS1_3repE0EEENS1_30default_config_static_selectorELNS0_4arch9wavefront6targetE1EEEvT1_.kd
    .uniform_work_group_size: 1
    .uses_dynamic_stack: false
    .vgpr_count:     0
    .vgpr_spill_count: 0
    .wavefront_size: 64
  - .agpr_count:     0
    .args:
      - .offset:         0
        .size:           96
        .value_kind:     by_value
    .group_segment_fixed_size: 0
    .kernarg_segment_align: 8
    .kernarg_segment_size: 96
    .language:       OpenCL C
    .language_version:
      - 2
      - 0
    .max_flat_workgroup_size: 256
    .name:           _ZN7rocprim17ROCPRIM_400000_NS6detail17trampoline_kernelINS0_14default_configENS1_20scan_config_selectorItEEZZNS1_9scan_implILNS1_25lookback_scan_determinismE0ELb1ELb1ES3_N6thrust23THRUST_200600_302600_NS6detail15normal_iteratorINS9_10device_ptrItEEEESE_tNS9_4plusIvEEtEEDaPvRmT3_T4_T5_mT6_P12ihipStream_tbENKUlT_T0_E_clISt17integral_constantIbLb0EESU_EEDaSP_SQ_EUlSP_E_NS1_11comp_targetILNS1_3genE10ELNS1_11target_archE1200ELNS1_3gpuE4ELNS1_3repE0EEENS1_30default_config_static_selectorELNS0_4arch9wavefront6targetE1EEEvT1_
    .private_segment_fixed_size: 0
    .sgpr_count:     4
    .sgpr_spill_count: 0
    .symbol:         _ZN7rocprim17ROCPRIM_400000_NS6detail17trampoline_kernelINS0_14default_configENS1_20scan_config_selectorItEEZZNS1_9scan_implILNS1_25lookback_scan_determinismE0ELb1ELb1ES3_N6thrust23THRUST_200600_302600_NS6detail15normal_iteratorINS9_10device_ptrItEEEESE_tNS9_4plusIvEEtEEDaPvRmT3_T4_T5_mT6_P12ihipStream_tbENKUlT_T0_E_clISt17integral_constantIbLb0EESU_EEDaSP_SQ_EUlSP_E_NS1_11comp_targetILNS1_3genE10ELNS1_11target_archE1200ELNS1_3gpuE4ELNS1_3repE0EEENS1_30default_config_static_selectorELNS0_4arch9wavefront6targetE1EEEvT1_.kd
    .uniform_work_group_size: 1
    .uses_dynamic_stack: false
    .vgpr_count:     0
    .vgpr_spill_count: 0
    .wavefront_size: 64
  - .agpr_count:     0
    .args:
      - .offset:         0
        .size:           96
        .value_kind:     by_value
    .group_segment_fixed_size: 0
    .kernarg_segment_align: 8
    .kernarg_segment_size: 96
    .language:       OpenCL C
    .language_version:
      - 2
      - 0
    .max_flat_workgroup_size: 64
    .name:           _ZN7rocprim17ROCPRIM_400000_NS6detail17trampoline_kernelINS0_14default_configENS1_20scan_config_selectorItEEZZNS1_9scan_implILNS1_25lookback_scan_determinismE0ELb1ELb1ES3_N6thrust23THRUST_200600_302600_NS6detail15normal_iteratorINS9_10device_ptrItEEEESE_tNS9_4plusIvEEtEEDaPvRmT3_T4_T5_mT6_P12ihipStream_tbENKUlT_T0_E_clISt17integral_constantIbLb0EESU_EEDaSP_SQ_EUlSP_E_NS1_11comp_targetILNS1_3genE9ELNS1_11target_archE1100ELNS1_3gpuE3ELNS1_3repE0EEENS1_30default_config_static_selectorELNS0_4arch9wavefront6targetE1EEEvT1_
    .private_segment_fixed_size: 0
    .sgpr_count:     4
    .sgpr_spill_count: 0
    .symbol:         _ZN7rocprim17ROCPRIM_400000_NS6detail17trampoline_kernelINS0_14default_configENS1_20scan_config_selectorItEEZZNS1_9scan_implILNS1_25lookback_scan_determinismE0ELb1ELb1ES3_N6thrust23THRUST_200600_302600_NS6detail15normal_iteratorINS9_10device_ptrItEEEESE_tNS9_4plusIvEEtEEDaPvRmT3_T4_T5_mT6_P12ihipStream_tbENKUlT_T0_E_clISt17integral_constantIbLb0EESU_EEDaSP_SQ_EUlSP_E_NS1_11comp_targetILNS1_3genE9ELNS1_11target_archE1100ELNS1_3gpuE3ELNS1_3repE0EEENS1_30default_config_static_selectorELNS0_4arch9wavefront6targetE1EEEvT1_.kd
    .uniform_work_group_size: 1
    .uses_dynamic_stack: false
    .vgpr_count:     0
    .vgpr_spill_count: 0
    .wavefront_size: 64
  - .agpr_count:     0
    .args:
      - .offset:         0
        .size:           96
        .value_kind:     by_value
    .group_segment_fixed_size: 0
    .kernarg_segment_align: 8
    .kernarg_segment_size: 96
    .language:       OpenCL C
    .language_version:
      - 2
      - 0
    .max_flat_workgroup_size: 64
    .name:           _ZN7rocprim17ROCPRIM_400000_NS6detail17trampoline_kernelINS0_14default_configENS1_20scan_config_selectorItEEZZNS1_9scan_implILNS1_25lookback_scan_determinismE0ELb1ELb1ES3_N6thrust23THRUST_200600_302600_NS6detail15normal_iteratorINS9_10device_ptrItEEEESE_tNS9_4plusIvEEtEEDaPvRmT3_T4_T5_mT6_P12ihipStream_tbENKUlT_T0_E_clISt17integral_constantIbLb0EESU_EEDaSP_SQ_EUlSP_E_NS1_11comp_targetILNS1_3genE8ELNS1_11target_archE1030ELNS1_3gpuE2ELNS1_3repE0EEENS1_30default_config_static_selectorELNS0_4arch9wavefront6targetE1EEEvT1_
    .private_segment_fixed_size: 0
    .sgpr_count:     4
    .sgpr_spill_count: 0
    .symbol:         _ZN7rocprim17ROCPRIM_400000_NS6detail17trampoline_kernelINS0_14default_configENS1_20scan_config_selectorItEEZZNS1_9scan_implILNS1_25lookback_scan_determinismE0ELb1ELb1ES3_N6thrust23THRUST_200600_302600_NS6detail15normal_iteratorINS9_10device_ptrItEEEESE_tNS9_4plusIvEEtEEDaPvRmT3_T4_T5_mT6_P12ihipStream_tbENKUlT_T0_E_clISt17integral_constantIbLb0EESU_EEDaSP_SQ_EUlSP_E_NS1_11comp_targetILNS1_3genE8ELNS1_11target_archE1030ELNS1_3gpuE2ELNS1_3repE0EEENS1_30default_config_static_selectorELNS0_4arch9wavefront6targetE1EEEvT1_.kd
    .uniform_work_group_size: 1
    .uses_dynamic_stack: false
    .vgpr_count:     0
    .vgpr_spill_count: 0
    .wavefront_size: 64
  - .agpr_count:     0
    .args:
      - .offset:         0
        .size:           32
        .value_kind:     by_value
    .group_segment_fixed_size: 0
    .kernarg_segment_align: 8
    .kernarg_segment_size: 32
    .language:       OpenCL C
    .language_version:
      - 2
      - 0
    .max_flat_workgroup_size: 128
    .name:           _ZN7rocprim17ROCPRIM_400000_NS6detail17trampoline_kernelINS0_14default_configENS1_20scan_config_selectorItEEZZNS1_9scan_implILNS1_25lookback_scan_determinismE0ELb1ELb1ES3_N6thrust23THRUST_200600_302600_NS6detail15normal_iteratorINS9_10device_ptrItEEEESE_tNS9_4plusIvEEtEEDaPvRmT3_T4_T5_mT6_P12ihipStream_tbENKUlT_T0_E_clISt17integral_constantIbLb0EESU_EEDaSP_SQ_EUlSP_E0_NS1_11comp_targetILNS1_3genE0ELNS1_11target_archE4294967295ELNS1_3gpuE0ELNS1_3repE0EEENS1_30default_config_static_selectorELNS0_4arch9wavefront6targetE1EEEvT1_
    .private_segment_fixed_size: 0
    .sgpr_count:     4
    .sgpr_spill_count: 0
    .symbol:         _ZN7rocprim17ROCPRIM_400000_NS6detail17trampoline_kernelINS0_14default_configENS1_20scan_config_selectorItEEZZNS1_9scan_implILNS1_25lookback_scan_determinismE0ELb1ELb1ES3_N6thrust23THRUST_200600_302600_NS6detail15normal_iteratorINS9_10device_ptrItEEEESE_tNS9_4plusIvEEtEEDaPvRmT3_T4_T5_mT6_P12ihipStream_tbENKUlT_T0_E_clISt17integral_constantIbLb0EESU_EEDaSP_SQ_EUlSP_E0_NS1_11comp_targetILNS1_3genE0ELNS1_11target_archE4294967295ELNS1_3gpuE0ELNS1_3repE0EEENS1_30default_config_static_selectorELNS0_4arch9wavefront6targetE1EEEvT1_.kd
    .uniform_work_group_size: 1
    .uses_dynamic_stack: false
    .vgpr_count:     0
    .vgpr_spill_count: 0
    .wavefront_size: 64
  - .agpr_count:     0
    .args:
      - .offset:         0
        .size:           32
        .value_kind:     by_value
    .group_segment_fixed_size: 0
    .kernarg_segment_align: 8
    .kernarg_segment_size: 32
    .language:       OpenCL C
    .language_version:
      - 2
      - 0
    .max_flat_workgroup_size: 256
    .name:           _ZN7rocprim17ROCPRIM_400000_NS6detail17trampoline_kernelINS0_14default_configENS1_20scan_config_selectorItEEZZNS1_9scan_implILNS1_25lookback_scan_determinismE0ELb1ELb1ES3_N6thrust23THRUST_200600_302600_NS6detail15normal_iteratorINS9_10device_ptrItEEEESE_tNS9_4plusIvEEtEEDaPvRmT3_T4_T5_mT6_P12ihipStream_tbENKUlT_T0_E_clISt17integral_constantIbLb0EESU_EEDaSP_SQ_EUlSP_E0_NS1_11comp_targetILNS1_3genE5ELNS1_11target_archE942ELNS1_3gpuE9ELNS1_3repE0EEENS1_30default_config_static_selectorELNS0_4arch9wavefront6targetE1EEEvT1_
    .private_segment_fixed_size: 0
    .sgpr_count:     4
    .sgpr_spill_count: 0
    .symbol:         _ZN7rocprim17ROCPRIM_400000_NS6detail17trampoline_kernelINS0_14default_configENS1_20scan_config_selectorItEEZZNS1_9scan_implILNS1_25lookback_scan_determinismE0ELb1ELb1ES3_N6thrust23THRUST_200600_302600_NS6detail15normal_iteratorINS9_10device_ptrItEEEESE_tNS9_4plusIvEEtEEDaPvRmT3_T4_T5_mT6_P12ihipStream_tbENKUlT_T0_E_clISt17integral_constantIbLb0EESU_EEDaSP_SQ_EUlSP_E0_NS1_11comp_targetILNS1_3genE5ELNS1_11target_archE942ELNS1_3gpuE9ELNS1_3repE0EEENS1_30default_config_static_selectorELNS0_4arch9wavefront6targetE1EEEvT1_.kd
    .uniform_work_group_size: 1
    .uses_dynamic_stack: false
    .vgpr_count:     0
    .vgpr_spill_count: 0
    .wavefront_size: 64
  - .agpr_count:     0
    .args:
      - .offset:         0
        .size:           32
        .value_kind:     by_value
    .group_segment_fixed_size: 3072
    .kernarg_segment_align: 8
    .kernarg_segment_size: 32
    .language:       OpenCL C
    .language_version:
      - 2
      - 0
    .max_flat_workgroup_size: 64
    .name:           _ZN7rocprim17ROCPRIM_400000_NS6detail17trampoline_kernelINS0_14default_configENS1_20scan_config_selectorItEEZZNS1_9scan_implILNS1_25lookback_scan_determinismE0ELb1ELb1ES3_N6thrust23THRUST_200600_302600_NS6detail15normal_iteratorINS9_10device_ptrItEEEESE_tNS9_4plusIvEEtEEDaPvRmT3_T4_T5_mT6_P12ihipStream_tbENKUlT_T0_E_clISt17integral_constantIbLb0EESU_EEDaSP_SQ_EUlSP_E0_NS1_11comp_targetILNS1_3genE4ELNS1_11target_archE910ELNS1_3gpuE8ELNS1_3repE0EEENS1_30default_config_static_selectorELNS0_4arch9wavefront6targetE1EEEvT1_
    .private_segment_fixed_size: 0
    .sgpr_count:     60
    .sgpr_spill_count: 0
    .symbol:         _ZN7rocprim17ROCPRIM_400000_NS6detail17trampoline_kernelINS0_14default_configENS1_20scan_config_selectorItEEZZNS1_9scan_implILNS1_25lookback_scan_determinismE0ELb1ELb1ES3_N6thrust23THRUST_200600_302600_NS6detail15normal_iteratorINS9_10device_ptrItEEEESE_tNS9_4plusIvEEtEEDaPvRmT3_T4_T5_mT6_P12ihipStream_tbENKUlT_T0_E_clISt17integral_constantIbLb0EESU_EEDaSP_SQ_EUlSP_E0_NS1_11comp_targetILNS1_3genE4ELNS1_11target_archE910ELNS1_3gpuE8ELNS1_3repE0EEENS1_30default_config_static_selectorELNS0_4arch9wavefront6targetE1EEEvT1_.kd
    .uniform_work_group_size: 1
    .uses_dynamic_stack: false
    .vgpr_count:     32
    .vgpr_spill_count: 0
    .wavefront_size: 64
  - .agpr_count:     0
    .args:
      - .offset:         0
        .size:           32
        .value_kind:     by_value
    .group_segment_fixed_size: 0
    .kernarg_segment_align: 8
    .kernarg_segment_size: 32
    .language:       OpenCL C
    .language_version:
      - 2
      - 0
    .max_flat_workgroup_size: 128
    .name:           _ZN7rocprim17ROCPRIM_400000_NS6detail17trampoline_kernelINS0_14default_configENS1_20scan_config_selectorItEEZZNS1_9scan_implILNS1_25lookback_scan_determinismE0ELb1ELb1ES3_N6thrust23THRUST_200600_302600_NS6detail15normal_iteratorINS9_10device_ptrItEEEESE_tNS9_4plusIvEEtEEDaPvRmT3_T4_T5_mT6_P12ihipStream_tbENKUlT_T0_E_clISt17integral_constantIbLb0EESU_EEDaSP_SQ_EUlSP_E0_NS1_11comp_targetILNS1_3genE3ELNS1_11target_archE908ELNS1_3gpuE7ELNS1_3repE0EEENS1_30default_config_static_selectorELNS0_4arch9wavefront6targetE1EEEvT1_
    .private_segment_fixed_size: 0
    .sgpr_count:     4
    .sgpr_spill_count: 0
    .symbol:         _ZN7rocprim17ROCPRIM_400000_NS6detail17trampoline_kernelINS0_14default_configENS1_20scan_config_selectorItEEZZNS1_9scan_implILNS1_25lookback_scan_determinismE0ELb1ELb1ES3_N6thrust23THRUST_200600_302600_NS6detail15normal_iteratorINS9_10device_ptrItEEEESE_tNS9_4plusIvEEtEEDaPvRmT3_T4_T5_mT6_P12ihipStream_tbENKUlT_T0_E_clISt17integral_constantIbLb0EESU_EEDaSP_SQ_EUlSP_E0_NS1_11comp_targetILNS1_3genE3ELNS1_11target_archE908ELNS1_3gpuE7ELNS1_3repE0EEENS1_30default_config_static_selectorELNS0_4arch9wavefront6targetE1EEEvT1_.kd
    .uniform_work_group_size: 1
    .uses_dynamic_stack: false
    .vgpr_count:     0
    .vgpr_spill_count: 0
    .wavefront_size: 64
  - .agpr_count:     0
    .args:
      - .offset:         0
        .size:           32
        .value_kind:     by_value
    .group_segment_fixed_size: 0
    .kernarg_segment_align: 8
    .kernarg_segment_size: 32
    .language:       OpenCL C
    .language_version:
      - 2
      - 0
    .max_flat_workgroup_size: 256
    .name:           _ZN7rocprim17ROCPRIM_400000_NS6detail17trampoline_kernelINS0_14default_configENS1_20scan_config_selectorItEEZZNS1_9scan_implILNS1_25lookback_scan_determinismE0ELb1ELb1ES3_N6thrust23THRUST_200600_302600_NS6detail15normal_iteratorINS9_10device_ptrItEEEESE_tNS9_4plusIvEEtEEDaPvRmT3_T4_T5_mT6_P12ihipStream_tbENKUlT_T0_E_clISt17integral_constantIbLb0EESU_EEDaSP_SQ_EUlSP_E0_NS1_11comp_targetILNS1_3genE2ELNS1_11target_archE906ELNS1_3gpuE6ELNS1_3repE0EEENS1_30default_config_static_selectorELNS0_4arch9wavefront6targetE1EEEvT1_
    .private_segment_fixed_size: 0
    .sgpr_count:     4
    .sgpr_spill_count: 0
    .symbol:         _ZN7rocprim17ROCPRIM_400000_NS6detail17trampoline_kernelINS0_14default_configENS1_20scan_config_selectorItEEZZNS1_9scan_implILNS1_25lookback_scan_determinismE0ELb1ELb1ES3_N6thrust23THRUST_200600_302600_NS6detail15normal_iteratorINS9_10device_ptrItEEEESE_tNS9_4plusIvEEtEEDaPvRmT3_T4_T5_mT6_P12ihipStream_tbENKUlT_T0_E_clISt17integral_constantIbLb0EESU_EEDaSP_SQ_EUlSP_E0_NS1_11comp_targetILNS1_3genE2ELNS1_11target_archE906ELNS1_3gpuE6ELNS1_3repE0EEENS1_30default_config_static_selectorELNS0_4arch9wavefront6targetE1EEEvT1_.kd
    .uniform_work_group_size: 1
    .uses_dynamic_stack: false
    .vgpr_count:     0
    .vgpr_spill_count: 0
    .wavefront_size: 64
  - .agpr_count:     0
    .args:
      - .offset:         0
        .size:           32
        .value_kind:     by_value
    .group_segment_fixed_size: 0
    .kernarg_segment_align: 8
    .kernarg_segment_size: 32
    .language:       OpenCL C
    .language_version:
      - 2
      - 0
    .max_flat_workgroup_size: 256
    .name:           _ZN7rocprim17ROCPRIM_400000_NS6detail17trampoline_kernelINS0_14default_configENS1_20scan_config_selectorItEEZZNS1_9scan_implILNS1_25lookback_scan_determinismE0ELb1ELb1ES3_N6thrust23THRUST_200600_302600_NS6detail15normal_iteratorINS9_10device_ptrItEEEESE_tNS9_4plusIvEEtEEDaPvRmT3_T4_T5_mT6_P12ihipStream_tbENKUlT_T0_E_clISt17integral_constantIbLb0EESU_EEDaSP_SQ_EUlSP_E0_NS1_11comp_targetILNS1_3genE10ELNS1_11target_archE1201ELNS1_3gpuE5ELNS1_3repE0EEENS1_30default_config_static_selectorELNS0_4arch9wavefront6targetE1EEEvT1_
    .private_segment_fixed_size: 0
    .sgpr_count:     4
    .sgpr_spill_count: 0
    .symbol:         _ZN7rocprim17ROCPRIM_400000_NS6detail17trampoline_kernelINS0_14default_configENS1_20scan_config_selectorItEEZZNS1_9scan_implILNS1_25lookback_scan_determinismE0ELb1ELb1ES3_N6thrust23THRUST_200600_302600_NS6detail15normal_iteratorINS9_10device_ptrItEEEESE_tNS9_4plusIvEEtEEDaPvRmT3_T4_T5_mT6_P12ihipStream_tbENKUlT_T0_E_clISt17integral_constantIbLb0EESU_EEDaSP_SQ_EUlSP_E0_NS1_11comp_targetILNS1_3genE10ELNS1_11target_archE1201ELNS1_3gpuE5ELNS1_3repE0EEENS1_30default_config_static_selectorELNS0_4arch9wavefront6targetE1EEEvT1_.kd
    .uniform_work_group_size: 1
    .uses_dynamic_stack: false
    .vgpr_count:     0
    .vgpr_spill_count: 0
    .wavefront_size: 64
  - .agpr_count:     0
    .args:
      - .offset:         0
        .size:           32
        .value_kind:     by_value
    .group_segment_fixed_size: 0
    .kernarg_segment_align: 8
    .kernarg_segment_size: 32
    .language:       OpenCL C
    .language_version:
      - 2
      - 0
    .max_flat_workgroup_size: 256
    .name:           _ZN7rocprim17ROCPRIM_400000_NS6detail17trampoline_kernelINS0_14default_configENS1_20scan_config_selectorItEEZZNS1_9scan_implILNS1_25lookback_scan_determinismE0ELb1ELb1ES3_N6thrust23THRUST_200600_302600_NS6detail15normal_iteratorINS9_10device_ptrItEEEESE_tNS9_4plusIvEEtEEDaPvRmT3_T4_T5_mT6_P12ihipStream_tbENKUlT_T0_E_clISt17integral_constantIbLb0EESU_EEDaSP_SQ_EUlSP_E0_NS1_11comp_targetILNS1_3genE10ELNS1_11target_archE1200ELNS1_3gpuE4ELNS1_3repE0EEENS1_30default_config_static_selectorELNS0_4arch9wavefront6targetE1EEEvT1_
    .private_segment_fixed_size: 0
    .sgpr_count:     4
    .sgpr_spill_count: 0
    .symbol:         _ZN7rocprim17ROCPRIM_400000_NS6detail17trampoline_kernelINS0_14default_configENS1_20scan_config_selectorItEEZZNS1_9scan_implILNS1_25lookback_scan_determinismE0ELb1ELb1ES3_N6thrust23THRUST_200600_302600_NS6detail15normal_iteratorINS9_10device_ptrItEEEESE_tNS9_4plusIvEEtEEDaPvRmT3_T4_T5_mT6_P12ihipStream_tbENKUlT_T0_E_clISt17integral_constantIbLb0EESU_EEDaSP_SQ_EUlSP_E0_NS1_11comp_targetILNS1_3genE10ELNS1_11target_archE1200ELNS1_3gpuE4ELNS1_3repE0EEENS1_30default_config_static_selectorELNS0_4arch9wavefront6targetE1EEEvT1_.kd
    .uniform_work_group_size: 1
    .uses_dynamic_stack: false
    .vgpr_count:     0
    .vgpr_spill_count: 0
    .wavefront_size: 64
  - .agpr_count:     0
    .args:
      - .offset:         0
        .size:           32
        .value_kind:     by_value
    .group_segment_fixed_size: 0
    .kernarg_segment_align: 8
    .kernarg_segment_size: 32
    .language:       OpenCL C
    .language_version:
      - 2
      - 0
    .max_flat_workgroup_size: 64
    .name:           _ZN7rocprim17ROCPRIM_400000_NS6detail17trampoline_kernelINS0_14default_configENS1_20scan_config_selectorItEEZZNS1_9scan_implILNS1_25lookback_scan_determinismE0ELb1ELb1ES3_N6thrust23THRUST_200600_302600_NS6detail15normal_iteratorINS9_10device_ptrItEEEESE_tNS9_4plusIvEEtEEDaPvRmT3_T4_T5_mT6_P12ihipStream_tbENKUlT_T0_E_clISt17integral_constantIbLb0EESU_EEDaSP_SQ_EUlSP_E0_NS1_11comp_targetILNS1_3genE9ELNS1_11target_archE1100ELNS1_3gpuE3ELNS1_3repE0EEENS1_30default_config_static_selectorELNS0_4arch9wavefront6targetE1EEEvT1_
    .private_segment_fixed_size: 0
    .sgpr_count:     4
    .sgpr_spill_count: 0
    .symbol:         _ZN7rocprim17ROCPRIM_400000_NS6detail17trampoline_kernelINS0_14default_configENS1_20scan_config_selectorItEEZZNS1_9scan_implILNS1_25lookback_scan_determinismE0ELb1ELb1ES3_N6thrust23THRUST_200600_302600_NS6detail15normal_iteratorINS9_10device_ptrItEEEESE_tNS9_4plusIvEEtEEDaPvRmT3_T4_T5_mT6_P12ihipStream_tbENKUlT_T0_E_clISt17integral_constantIbLb0EESU_EEDaSP_SQ_EUlSP_E0_NS1_11comp_targetILNS1_3genE9ELNS1_11target_archE1100ELNS1_3gpuE3ELNS1_3repE0EEENS1_30default_config_static_selectorELNS0_4arch9wavefront6targetE1EEEvT1_.kd
    .uniform_work_group_size: 1
    .uses_dynamic_stack: false
    .vgpr_count:     0
    .vgpr_spill_count: 0
    .wavefront_size: 64
  - .agpr_count:     0
    .args:
      - .offset:         0
        .size:           32
        .value_kind:     by_value
    .group_segment_fixed_size: 0
    .kernarg_segment_align: 8
    .kernarg_segment_size: 32
    .language:       OpenCL C
    .language_version:
      - 2
      - 0
    .max_flat_workgroup_size: 64
    .name:           _ZN7rocprim17ROCPRIM_400000_NS6detail17trampoline_kernelINS0_14default_configENS1_20scan_config_selectorItEEZZNS1_9scan_implILNS1_25lookback_scan_determinismE0ELb1ELb1ES3_N6thrust23THRUST_200600_302600_NS6detail15normal_iteratorINS9_10device_ptrItEEEESE_tNS9_4plusIvEEtEEDaPvRmT3_T4_T5_mT6_P12ihipStream_tbENKUlT_T0_E_clISt17integral_constantIbLb0EESU_EEDaSP_SQ_EUlSP_E0_NS1_11comp_targetILNS1_3genE8ELNS1_11target_archE1030ELNS1_3gpuE2ELNS1_3repE0EEENS1_30default_config_static_selectorELNS0_4arch9wavefront6targetE1EEEvT1_
    .private_segment_fixed_size: 0
    .sgpr_count:     4
    .sgpr_spill_count: 0
    .symbol:         _ZN7rocprim17ROCPRIM_400000_NS6detail17trampoline_kernelINS0_14default_configENS1_20scan_config_selectorItEEZZNS1_9scan_implILNS1_25lookback_scan_determinismE0ELb1ELb1ES3_N6thrust23THRUST_200600_302600_NS6detail15normal_iteratorINS9_10device_ptrItEEEESE_tNS9_4plusIvEEtEEDaPvRmT3_T4_T5_mT6_P12ihipStream_tbENKUlT_T0_E_clISt17integral_constantIbLb0EESU_EEDaSP_SQ_EUlSP_E0_NS1_11comp_targetILNS1_3genE8ELNS1_11target_archE1030ELNS1_3gpuE2ELNS1_3repE0EEENS1_30default_config_static_selectorELNS0_4arch9wavefront6targetE1EEEvT1_.kd
    .uniform_work_group_size: 1
    .uses_dynamic_stack: false
    .vgpr_count:     0
    .vgpr_spill_count: 0
    .wavefront_size: 64
  - .agpr_count:     0
    .args:
      - .offset:         0
        .size:           96
        .value_kind:     by_value
    .group_segment_fixed_size: 0
    .kernarg_segment_align: 8
    .kernarg_segment_size: 96
    .language:       OpenCL C
    .language_version:
      - 2
      - 0
    .max_flat_workgroup_size: 128
    .name:           _ZN7rocprim17ROCPRIM_400000_NS6detail17trampoline_kernelINS0_14default_configENS1_20scan_config_selectorItEEZZNS1_9scan_implILNS1_25lookback_scan_determinismE0ELb1ELb1ES3_N6thrust23THRUST_200600_302600_NS6detail15normal_iteratorINS9_10device_ptrItEEEESE_tNS9_4plusIvEEtEEDaPvRmT3_T4_T5_mT6_P12ihipStream_tbENKUlT_T0_E_clISt17integral_constantIbLb1EESU_EEDaSP_SQ_EUlSP_E_NS1_11comp_targetILNS1_3genE0ELNS1_11target_archE4294967295ELNS1_3gpuE0ELNS1_3repE0EEENS1_30default_config_static_selectorELNS0_4arch9wavefront6targetE1EEEvT1_
    .private_segment_fixed_size: 0
    .sgpr_count:     4
    .sgpr_spill_count: 0
    .symbol:         _ZN7rocprim17ROCPRIM_400000_NS6detail17trampoline_kernelINS0_14default_configENS1_20scan_config_selectorItEEZZNS1_9scan_implILNS1_25lookback_scan_determinismE0ELb1ELb1ES3_N6thrust23THRUST_200600_302600_NS6detail15normal_iteratorINS9_10device_ptrItEEEESE_tNS9_4plusIvEEtEEDaPvRmT3_T4_T5_mT6_P12ihipStream_tbENKUlT_T0_E_clISt17integral_constantIbLb1EESU_EEDaSP_SQ_EUlSP_E_NS1_11comp_targetILNS1_3genE0ELNS1_11target_archE4294967295ELNS1_3gpuE0ELNS1_3repE0EEENS1_30default_config_static_selectorELNS0_4arch9wavefront6targetE1EEEvT1_.kd
    .uniform_work_group_size: 1
    .uses_dynamic_stack: false
    .vgpr_count:     0
    .vgpr_spill_count: 0
    .wavefront_size: 64
  - .agpr_count:     0
    .args:
      - .offset:         0
        .size:           96
        .value_kind:     by_value
    .group_segment_fixed_size: 0
    .kernarg_segment_align: 8
    .kernarg_segment_size: 96
    .language:       OpenCL C
    .language_version:
      - 2
      - 0
    .max_flat_workgroup_size: 256
    .name:           _ZN7rocprim17ROCPRIM_400000_NS6detail17trampoline_kernelINS0_14default_configENS1_20scan_config_selectorItEEZZNS1_9scan_implILNS1_25lookback_scan_determinismE0ELb1ELb1ES3_N6thrust23THRUST_200600_302600_NS6detail15normal_iteratorINS9_10device_ptrItEEEESE_tNS9_4plusIvEEtEEDaPvRmT3_T4_T5_mT6_P12ihipStream_tbENKUlT_T0_E_clISt17integral_constantIbLb1EESU_EEDaSP_SQ_EUlSP_E_NS1_11comp_targetILNS1_3genE5ELNS1_11target_archE942ELNS1_3gpuE9ELNS1_3repE0EEENS1_30default_config_static_selectorELNS0_4arch9wavefront6targetE1EEEvT1_
    .private_segment_fixed_size: 0
    .sgpr_count:     4
    .sgpr_spill_count: 0
    .symbol:         _ZN7rocprim17ROCPRIM_400000_NS6detail17trampoline_kernelINS0_14default_configENS1_20scan_config_selectorItEEZZNS1_9scan_implILNS1_25lookback_scan_determinismE0ELb1ELb1ES3_N6thrust23THRUST_200600_302600_NS6detail15normal_iteratorINS9_10device_ptrItEEEESE_tNS9_4plusIvEEtEEDaPvRmT3_T4_T5_mT6_P12ihipStream_tbENKUlT_T0_E_clISt17integral_constantIbLb1EESU_EEDaSP_SQ_EUlSP_E_NS1_11comp_targetILNS1_3genE5ELNS1_11target_archE942ELNS1_3gpuE9ELNS1_3repE0EEENS1_30default_config_static_selectorELNS0_4arch9wavefront6targetE1EEEvT1_.kd
    .uniform_work_group_size: 1
    .uses_dynamic_stack: false
    .vgpr_count:     0
    .vgpr_spill_count: 0
    .wavefront_size: 64
  - .agpr_count:     0
    .args:
      - .offset:         0
        .size:           96
        .value_kind:     by_value
    .group_segment_fixed_size: 3072
    .kernarg_segment_align: 8
    .kernarg_segment_size: 96
    .language:       OpenCL C
    .language_version:
      - 2
      - 0
    .max_flat_workgroup_size: 64
    .name:           _ZN7rocprim17ROCPRIM_400000_NS6detail17trampoline_kernelINS0_14default_configENS1_20scan_config_selectorItEEZZNS1_9scan_implILNS1_25lookback_scan_determinismE0ELb1ELb1ES3_N6thrust23THRUST_200600_302600_NS6detail15normal_iteratorINS9_10device_ptrItEEEESE_tNS9_4plusIvEEtEEDaPvRmT3_T4_T5_mT6_P12ihipStream_tbENKUlT_T0_E_clISt17integral_constantIbLb1EESU_EEDaSP_SQ_EUlSP_E_NS1_11comp_targetILNS1_3genE4ELNS1_11target_archE910ELNS1_3gpuE8ELNS1_3repE0EEENS1_30default_config_static_selectorELNS0_4arch9wavefront6targetE1EEEvT1_
    .private_segment_fixed_size: 0
    .sgpr_count:     42
    .sgpr_spill_count: 0
    .symbol:         _ZN7rocprim17ROCPRIM_400000_NS6detail17trampoline_kernelINS0_14default_configENS1_20scan_config_selectorItEEZZNS1_9scan_implILNS1_25lookback_scan_determinismE0ELb1ELb1ES3_N6thrust23THRUST_200600_302600_NS6detail15normal_iteratorINS9_10device_ptrItEEEESE_tNS9_4plusIvEEtEEDaPvRmT3_T4_T5_mT6_P12ihipStream_tbENKUlT_T0_E_clISt17integral_constantIbLb1EESU_EEDaSP_SQ_EUlSP_E_NS1_11comp_targetILNS1_3genE4ELNS1_11target_archE910ELNS1_3gpuE8ELNS1_3repE0EEENS1_30default_config_static_selectorELNS0_4arch9wavefront6targetE1EEEvT1_.kd
    .uniform_work_group_size: 1
    .uses_dynamic_stack: false
    .vgpr_count:     54
    .vgpr_spill_count: 0
    .wavefront_size: 64
  - .agpr_count:     0
    .args:
      - .offset:         0
        .size:           96
        .value_kind:     by_value
    .group_segment_fixed_size: 0
    .kernarg_segment_align: 8
    .kernarg_segment_size: 96
    .language:       OpenCL C
    .language_version:
      - 2
      - 0
    .max_flat_workgroup_size: 128
    .name:           _ZN7rocprim17ROCPRIM_400000_NS6detail17trampoline_kernelINS0_14default_configENS1_20scan_config_selectorItEEZZNS1_9scan_implILNS1_25lookback_scan_determinismE0ELb1ELb1ES3_N6thrust23THRUST_200600_302600_NS6detail15normal_iteratorINS9_10device_ptrItEEEESE_tNS9_4plusIvEEtEEDaPvRmT3_T4_T5_mT6_P12ihipStream_tbENKUlT_T0_E_clISt17integral_constantIbLb1EESU_EEDaSP_SQ_EUlSP_E_NS1_11comp_targetILNS1_3genE3ELNS1_11target_archE908ELNS1_3gpuE7ELNS1_3repE0EEENS1_30default_config_static_selectorELNS0_4arch9wavefront6targetE1EEEvT1_
    .private_segment_fixed_size: 0
    .sgpr_count:     4
    .sgpr_spill_count: 0
    .symbol:         _ZN7rocprim17ROCPRIM_400000_NS6detail17trampoline_kernelINS0_14default_configENS1_20scan_config_selectorItEEZZNS1_9scan_implILNS1_25lookback_scan_determinismE0ELb1ELb1ES3_N6thrust23THRUST_200600_302600_NS6detail15normal_iteratorINS9_10device_ptrItEEEESE_tNS9_4plusIvEEtEEDaPvRmT3_T4_T5_mT6_P12ihipStream_tbENKUlT_T0_E_clISt17integral_constantIbLb1EESU_EEDaSP_SQ_EUlSP_E_NS1_11comp_targetILNS1_3genE3ELNS1_11target_archE908ELNS1_3gpuE7ELNS1_3repE0EEENS1_30default_config_static_selectorELNS0_4arch9wavefront6targetE1EEEvT1_.kd
    .uniform_work_group_size: 1
    .uses_dynamic_stack: false
    .vgpr_count:     0
    .vgpr_spill_count: 0
    .wavefront_size: 64
  - .agpr_count:     0
    .args:
      - .offset:         0
        .size:           96
        .value_kind:     by_value
    .group_segment_fixed_size: 0
    .kernarg_segment_align: 8
    .kernarg_segment_size: 96
    .language:       OpenCL C
    .language_version:
      - 2
      - 0
    .max_flat_workgroup_size: 256
    .name:           _ZN7rocprim17ROCPRIM_400000_NS6detail17trampoline_kernelINS0_14default_configENS1_20scan_config_selectorItEEZZNS1_9scan_implILNS1_25lookback_scan_determinismE0ELb1ELb1ES3_N6thrust23THRUST_200600_302600_NS6detail15normal_iteratorINS9_10device_ptrItEEEESE_tNS9_4plusIvEEtEEDaPvRmT3_T4_T5_mT6_P12ihipStream_tbENKUlT_T0_E_clISt17integral_constantIbLb1EESU_EEDaSP_SQ_EUlSP_E_NS1_11comp_targetILNS1_3genE2ELNS1_11target_archE906ELNS1_3gpuE6ELNS1_3repE0EEENS1_30default_config_static_selectorELNS0_4arch9wavefront6targetE1EEEvT1_
    .private_segment_fixed_size: 0
    .sgpr_count:     4
    .sgpr_spill_count: 0
    .symbol:         _ZN7rocprim17ROCPRIM_400000_NS6detail17trampoline_kernelINS0_14default_configENS1_20scan_config_selectorItEEZZNS1_9scan_implILNS1_25lookback_scan_determinismE0ELb1ELb1ES3_N6thrust23THRUST_200600_302600_NS6detail15normal_iteratorINS9_10device_ptrItEEEESE_tNS9_4plusIvEEtEEDaPvRmT3_T4_T5_mT6_P12ihipStream_tbENKUlT_T0_E_clISt17integral_constantIbLb1EESU_EEDaSP_SQ_EUlSP_E_NS1_11comp_targetILNS1_3genE2ELNS1_11target_archE906ELNS1_3gpuE6ELNS1_3repE0EEENS1_30default_config_static_selectorELNS0_4arch9wavefront6targetE1EEEvT1_.kd
    .uniform_work_group_size: 1
    .uses_dynamic_stack: false
    .vgpr_count:     0
    .vgpr_spill_count: 0
    .wavefront_size: 64
  - .agpr_count:     0
    .args:
      - .offset:         0
        .size:           96
        .value_kind:     by_value
    .group_segment_fixed_size: 0
    .kernarg_segment_align: 8
    .kernarg_segment_size: 96
    .language:       OpenCL C
    .language_version:
      - 2
      - 0
    .max_flat_workgroup_size: 256
    .name:           _ZN7rocprim17ROCPRIM_400000_NS6detail17trampoline_kernelINS0_14default_configENS1_20scan_config_selectorItEEZZNS1_9scan_implILNS1_25lookback_scan_determinismE0ELb1ELb1ES3_N6thrust23THRUST_200600_302600_NS6detail15normal_iteratorINS9_10device_ptrItEEEESE_tNS9_4plusIvEEtEEDaPvRmT3_T4_T5_mT6_P12ihipStream_tbENKUlT_T0_E_clISt17integral_constantIbLb1EESU_EEDaSP_SQ_EUlSP_E_NS1_11comp_targetILNS1_3genE10ELNS1_11target_archE1201ELNS1_3gpuE5ELNS1_3repE0EEENS1_30default_config_static_selectorELNS0_4arch9wavefront6targetE1EEEvT1_
    .private_segment_fixed_size: 0
    .sgpr_count:     4
    .sgpr_spill_count: 0
    .symbol:         _ZN7rocprim17ROCPRIM_400000_NS6detail17trampoline_kernelINS0_14default_configENS1_20scan_config_selectorItEEZZNS1_9scan_implILNS1_25lookback_scan_determinismE0ELb1ELb1ES3_N6thrust23THRUST_200600_302600_NS6detail15normal_iteratorINS9_10device_ptrItEEEESE_tNS9_4plusIvEEtEEDaPvRmT3_T4_T5_mT6_P12ihipStream_tbENKUlT_T0_E_clISt17integral_constantIbLb1EESU_EEDaSP_SQ_EUlSP_E_NS1_11comp_targetILNS1_3genE10ELNS1_11target_archE1201ELNS1_3gpuE5ELNS1_3repE0EEENS1_30default_config_static_selectorELNS0_4arch9wavefront6targetE1EEEvT1_.kd
    .uniform_work_group_size: 1
    .uses_dynamic_stack: false
    .vgpr_count:     0
    .vgpr_spill_count: 0
    .wavefront_size: 64
  - .agpr_count:     0
    .args:
      - .offset:         0
        .size:           96
        .value_kind:     by_value
    .group_segment_fixed_size: 0
    .kernarg_segment_align: 8
    .kernarg_segment_size: 96
    .language:       OpenCL C
    .language_version:
      - 2
      - 0
    .max_flat_workgroup_size: 256
    .name:           _ZN7rocprim17ROCPRIM_400000_NS6detail17trampoline_kernelINS0_14default_configENS1_20scan_config_selectorItEEZZNS1_9scan_implILNS1_25lookback_scan_determinismE0ELb1ELb1ES3_N6thrust23THRUST_200600_302600_NS6detail15normal_iteratorINS9_10device_ptrItEEEESE_tNS9_4plusIvEEtEEDaPvRmT3_T4_T5_mT6_P12ihipStream_tbENKUlT_T0_E_clISt17integral_constantIbLb1EESU_EEDaSP_SQ_EUlSP_E_NS1_11comp_targetILNS1_3genE10ELNS1_11target_archE1200ELNS1_3gpuE4ELNS1_3repE0EEENS1_30default_config_static_selectorELNS0_4arch9wavefront6targetE1EEEvT1_
    .private_segment_fixed_size: 0
    .sgpr_count:     4
    .sgpr_spill_count: 0
    .symbol:         _ZN7rocprim17ROCPRIM_400000_NS6detail17trampoline_kernelINS0_14default_configENS1_20scan_config_selectorItEEZZNS1_9scan_implILNS1_25lookback_scan_determinismE0ELb1ELb1ES3_N6thrust23THRUST_200600_302600_NS6detail15normal_iteratorINS9_10device_ptrItEEEESE_tNS9_4plusIvEEtEEDaPvRmT3_T4_T5_mT6_P12ihipStream_tbENKUlT_T0_E_clISt17integral_constantIbLb1EESU_EEDaSP_SQ_EUlSP_E_NS1_11comp_targetILNS1_3genE10ELNS1_11target_archE1200ELNS1_3gpuE4ELNS1_3repE0EEENS1_30default_config_static_selectorELNS0_4arch9wavefront6targetE1EEEvT1_.kd
    .uniform_work_group_size: 1
    .uses_dynamic_stack: false
    .vgpr_count:     0
    .vgpr_spill_count: 0
    .wavefront_size: 64
  - .agpr_count:     0
    .args:
      - .offset:         0
        .size:           96
        .value_kind:     by_value
    .group_segment_fixed_size: 0
    .kernarg_segment_align: 8
    .kernarg_segment_size: 96
    .language:       OpenCL C
    .language_version:
      - 2
      - 0
    .max_flat_workgroup_size: 64
    .name:           _ZN7rocprim17ROCPRIM_400000_NS6detail17trampoline_kernelINS0_14default_configENS1_20scan_config_selectorItEEZZNS1_9scan_implILNS1_25lookback_scan_determinismE0ELb1ELb1ES3_N6thrust23THRUST_200600_302600_NS6detail15normal_iteratorINS9_10device_ptrItEEEESE_tNS9_4plusIvEEtEEDaPvRmT3_T4_T5_mT6_P12ihipStream_tbENKUlT_T0_E_clISt17integral_constantIbLb1EESU_EEDaSP_SQ_EUlSP_E_NS1_11comp_targetILNS1_3genE9ELNS1_11target_archE1100ELNS1_3gpuE3ELNS1_3repE0EEENS1_30default_config_static_selectorELNS0_4arch9wavefront6targetE1EEEvT1_
    .private_segment_fixed_size: 0
    .sgpr_count:     4
    .sgpr_spill_count: 0
    .symbol:         _ZN7rocprim17ROCPRIM_400000_NS6detail17trampoline_kernelINS0_14default_configENS1_20scan_config_selectorItEEZZNS1_9scan_implILNS1_25lookback_scan_determinismE0ELb1ELb1ES3_N6thrust23THRUST_200600_302600_NS6detail15normal_iteratorINS9_10device_ptrItEEEESE_tNS9_4plusIvEEtEEDaPvRmT3_T4_T5_mT6_P12ihipStream_tbENKUlT_T0_E_clISt17integral_constantIbLb1EESU_EEDaSP_SQ_EUlSP_E_NS1_11comp_targetILNS1_3genE9ELNS1_11target_archE1100ELNS1_3gpuE3ELNS1_3repE0EEENS1_30default_config_static_selectorELNS0_4arch9wavefront6targetE1EEEvT1_.kd
    .uniform_work_group_size: 1
    .uses_dynamic_stack: false
    .vgpr_count:     0
    .vgpr_spill_count: 0
    .wavefront_size: 64
  - .agpr_count:     0
    .args:
      - .offset:         0
        .size:           96
        .value_kind:     by_value
    .group_segment_fixed_size: 0
    .kernarg_segment_align: 8
    .kernarg_segment_size: 96
    .language:       OpenCL C
    .language_version:
      - 2
      - 0
    .max_flat_workgroup_size: 64
    .name:           _ZN7rocprim17ROCPRIM_400000_NS6detail17trampoline_kernelINS0_14default_configENS1_20scan_config_selectorItEEZZNS1_9scan_implILNS1_25lookback_scan_determinismE0ELb1ELb1ES3_N6thrust23THRUST_200600_302600_NS6detail15normal_iteratorINS9_10device_ptrItEEEESE_tNS9_4plusIvEEtEEDaPvRmT3_T4_T5_mT6_P12ihipStream_tbENKUlT_T0_E_clISt17integral_constantIbLb1EESU_EEDaSP_SQ_EUlSP_E_NS1_11comp_targetILNS1_3genE8ELNS1_11target_archE1030ELNS1_3gpuE2ELNS1_3repE0EEENS1_30default_config_static_selectorELNS0_4arch9wavefront6targetE1EEEvT1_
    .private_segment_fixed_size: 0
    .sgpr_count:     4
    .sgpr_spill_count: 0
    .symbol:         _ZN7rocprim17ROCPRIM_400000_NS6detail17trampoline_kernelINS0_14default_configENS1_20scan_config_selectorItEEZZNS1_9scan_implILNS1_25lookback_scan_determinismE0ELb1ELb1ES3_N6thrust23THRUST_200600_302600_NS6detail15normal_iteratorINS9_10device_ptrItEEEESE_tNS9_4plusIvEEtEEDaPvRmT3_T4_T5_mT6_P12ihipStream_tbENKUlT_T0_E_clISt17integral_constantIbLb1EESU_EEDaSP_SQ_EUlSP_E_NS1_11comp_targetILNS1_3genE8ELNS1_11target_archE1030ELNS1_3gpuE2ELNS1_3repE0EEENS1_30default_config_static_selectorELNS0_4arch9wavefront6targetE1EEEvT1_.kd
    .uniform_work_group_size: 1
    .uses_dynamic_stack: false
    .vgpr_count:     0
    .vgpr_spill_count: 0
    .wavefront_size: 64
  - .agpr_count:     0
    .args:
      - .offset:         0
        .size:           32
        .value_kind:     by_value
    .group_segment_fixed_size: 0
    .kernarg_segment_align: 8
    .kernarg_segment_size: 32
    .language:       OpenCL C
    .language_version:
      - 2
      - 0
    .max_flat_workgroup_size: 128
    .name:           _ZN7rocprim17ROCPRIM_400000_NS6detail17trampoline_kernelINS0_14default_configENS1_20scan_config_selectorItEEZZNS1_9scan_implILNS1_25lookback_scan_determinismE0ELb1ELb1ES3_N6thrust23THRUST_200600_302600_NS6detail15normal_iteratorINS9_10device_ptrItEEEESE_tNS9_4plusIvEEtEEDaPvRmT3_T4_T5_mT6_P12ihipStream_tbENKUlT_T0_E_clISt17integral_constantIbLb1EESU_EEDaSP_SQ_EUlSP_E0_NS1_11comp_targetILNS1_3genE0ELNS1_11target_archE4294967295ELNS1_3gpuE0ELNS1_3repE0EEENS1_30default_config_static_selectorELNS0_4arch9wavefront6targetE1EEEvT1_
    .private_segment_fixed_size: 0
    .sgpr_count:     4
    .sgpr_spill_count: 0
    .symbol:         _ZN7rocprim17ROCPRIM_400000_NS6detail17trampoline_kernelINS0_14default_configENS1_20scan_config_selectorItEEZZNS1_9scan_implILNS1_25lookback_scan_determinismE0ELb1ELb1ES3_N6thrust23THRUST_200600_302600_NS6detail15normal_iteratorINS9_10device_ptrItEEEESE_tNS9_4plusIvEEtEEDaPvRmT3_T4_T5_mT6_P12ihipStream_tbENKUlT_T0_E_clISt17integral_constantIbLb1EESU_EEDaSP_SQ_EUlSP_E0_NS1_11comp_targetILNS1_3genE0ELNS1_11target_archE4294967295ELNS1_3gpuE0ELNS1_3repE0EEENS1_30default_config_static_selectorELNS0_4arch9wavefront6targetE1EEEvT1_.kd
    .uniform_work_group_size: 1
    .uses_dynamic_stack: false
    .vgpr_count:     0
    .vgpr_spill_count: 0
    .wavefront_size: 64
  - .agpr_count:     0
    .args:
      - .offset:         0
        .size:           32
        .value_kind:     by_value
    .group_segment_fixed_size: 0
    .kernarg_segment_align: 8
    .kernarg_segment_size: 32
    .language:       OpenCL C
    .language_version:
      - 2
      - 0
    .max_flat_workgroup_size: 256
    .name:           _ZN7rocprim17ROCPRIM_400000_NS6detail17trampoline_kernelINS0_14default_configENS1_20scan_config_selectorItEEZZNS1_9scan_implILNS1_25lookback_scan_determinismE0ELb1ELb1ES3_N6thrust23THRUST_200600_302600_NS6detail15normal_iteratorINS9_10device_ptrItEEEESE_tNS9_4plusIvEEtEEDaPvRmT3_T4_T5_mT6_P12ihipStream_tbENKUlT_T0_E_clISt17integral_constantIbLb1EESU_EEDaSP_SQ_EUlSP_E0_NS1_11comp_targetILNS1_3genE5ELNS1_11target_archE942ELNS1_3gpuE9ELNS1_3repE0EEENS1_30default_config_static_selectorELNS0_4arch9wavefront6targetE1EEEvT1_
    .private_segment_fixed_size: 0
    .sgpr_count:     4
    .sgpr_spill_count: 0
    .symbol:         _ZN7rocprim17ROCPRIM_400000_NS6detail17trampoline_kernelINS0_14default_configENS1_20scan_config_selectorItEEZZNS1_9scan_implILNS1_25lookback_scan_determinismE0ELb1ELb1ES3_N6thrust23THRUST_200600_302600_NS6detail15normal_iteratorINS9_10device_ptrItEEEESE_tNS9_4plusIvEEtEEDaPvRmT3_T4_T5_mT6_P12ihipStream_tbENKUlT_T0_E_clISt17integral_constantIbLb1EESU_EEDaSP_SQ_EUlSP_E0_NS1_11comp_targetILNS1_3genE5ELNS1_11target_archE942ELNS1_3gpuE9ELNS1_3repE0EEENS1_30default_config_static_selectorELNS0_4arch9wavefront6targetE1EEEvT1_.kd
    .uniform_work_group_size: 1
    .uses_dynamic_stack: false
    .vgpr_count:     0
    .vgpr_spill_count: 0
    .wavefront_size: 64
  - .agpr_count:     0
    .args:
      - .offset:         0
        .size:           32
        .value_kind:     by_value
    .group_segment_fixed_size: 3072
    .kernarg_segment_align: 8
    .kernarg_segment_size: 32
    .language:       OpenCL C
    .language_version:
      - 2
      - 0
    .max_flat_workgroup_size: 64
    .name:           _ZN7rocprim17ROCPRIM_400000_NS6detail17trampoline_kernelINS0_14default_configENS1_20scan_config_selectorItEEZZNS1_9scan_implILNS1_25lookback_scan_determinismE0ELb1ELb1ES3_N6thrust23THRUST_200600_302600_NS6detail15normal_iteratorINS9_10device_ptrItEEEESE_tNS9_4plusIvEEtEEDaPvRmT3_T4_T5_mT6_P12ihipStream_tbENKUlT_T0_E_clISt17integral_constantIbLb1EESU_EEDaSP_SQ_EUlSP_E0_NS1_11comp_targetILNS1_3genE4ELNS1_11target_archE910ELNS1_3gpuE8ELNS1_3repE0EEENS1_30default_config_static_selectorELNS0_4arch9wavefront6targetE1EEEvT1_
    .private_segment_fixed_size: 0
    .sgpr_count:     60
    .sgpr_spill_count: 0
    .symbol:         _ZN7rocprim17ROCPRIM_400000_NS6detail17trampoline_kernelINS0_14default_configENS1_20scan_config_selectorItEEZZNS1_9scan_implILNS1_25lookback_scan_determinismE0ELb1ELb1ES3_N6thrust23THRUST_200600_302600_NS6detail15normal_iteratorINS9_10device_ptrItEEEESE_tNS9_4plusIvEEtEEDaPvRmT3_T4_T5_mT6_P12ihipStream_tbENKUlT_T0_E_clISt17integral_constantIbLb1EESU_EEDaSP_SQ_EUlSP_E0_NS1_11comp_targetILNS1_3genE4ELNS1_11target_archE910ELNS1_3gpuE8ELNS1_3repE0EEENS1_30default_config_static_selectorELNS0_4arch9wavefront6targetE1EEEvT1_.kd
    .uniform_work_group_size: 1
    .uses_dynamic_stack: false
    .vgpr_count:     32
    .vgpr_spill_count: 0
    .wavefront_size: 64
  - .agpr_count:     0
    .args:
      - .offset:         0
        .size:           32
        .value_kind:     by_value
    .group_segment_fixed_size: 0
    .kernarg_segment_align: 8
    .kernarg_segment_size: 32
    .language:       OpenCL C
    .language_version:
      - 2
      - 0
    .max_flat_workgroup_size: 128
    .name:           _ZN7rocprim17ROCPRIM_400000_NS6detail17trampoline_kernelINS0_14default_configENS1_20scan_config_selectorItEEZZNS1_9scan_implILNS1_25lookback_scan_determinismE0ELb1ELb1ES3_N6thrust23THRUST_200600_302600_NS6detail15normal_iteratorINS9_10device_ptrItEEEESE_tNS9_4plusIvEEtEEDaPvRmT3_T4_T5_mT6_P12ihipStream_tbENKUlT_T0_E_clISt17integral_constantIbLb1EESU_EEDaSP_SQ_EUlSP_E0_NS1_11comp_targetILNS1_3genE3ELNS1_11target_archE908ELNS1_3gpuE7ELNS1_3repE0EEENS1_30default_config_static_selectorELNS0_4arch9wavefront6targetE1EEEvT1_
    .private_segment_fixed_size: 0
    .sgpr_count:     4
    .sgpr_spill_count: 0
    .symbol:         _ZN7rocprim17ROCPRIM_400000_NS6detail17trampoline_kernelINS0_14default_configENS1_20scan_config_selectorItEEZZNS1_9scan_implILNS1_25lookback_scan_determinismE0ELb1ELb1ES3_N6thrust23THRUST_200600_302600_NS6detail15normal_iteratorINS9_10device_ptrItEEEESE_tNS9_4plusIvEEtEEDaPvRmT3_T4_T5_mT6_P12ihipStream_tbENKUlT_T0_E_clISt17integral_constantIbLb1EESU_EEDaSP_SQ_EUlSP_E0_NS1_11comp_targetILNS1_3genE3ELNS1_11target_archE908ELNS1_3gpuE7ELNS1_3repE0EEENS1_30default_config_static_selectorELNS0_4arch9wavefront6targetE1EEEvT1_.kd
    .uniform_work_group_size: 1
    .uses_dynamic_stack: false
    .vgpr_count:     0
    .vgpr_spill_count: 0
    .wavefront_size: 64
  - .agpr_count:     0
    .args:
      - .offset:         0
        .size:           32
        .value_kind:     by_value
    .group_segment_fixed_size: 0
    .kernarg_segment_align: 8
    .kernarg_segment_size: 32
    .language:       OpenCL C
    .language_version:
      - 2
      - 0
    .max_flat_workgroup_size: 256
    .name:           _ZN7rocprim17ROCPRIM_400000_NS6detail17trampoline_kernelINS0_14default_configENS1_20scan_config_selectorItEEZZNS1_9scan_implILNS1_25lookback_scan_determinismE0ELb1ELb1ES3_N6thrust23THRUST_200600_302600_NS6detail15normal_iteratorINS9_10device_ptrItEEEESE_tNS9_4plusIvEEtEEDaPvRmT3_T4_T5_mT6_P12ihipStream_tbENKUlT_T0_E_clISt17integral_constantIbLb1EESU_EEDaSP_SQ_EUlSP_E0_NS1_11comp_targetILNS1_3genE2ELNS1_11target_archE906ELNS1_3gpuE6ELNS1_3repE0EEENS1_30default_config_static_selectorELNS0_4arch9wavefront6targetE1EEEvT1_
    .private_segment_fixed_size: 0
    .sgpr_count:     4
    .sgpr_spill_count: 0
    .symbol:         _ZN7rocprim17ROCPRIM_400000_NS6detail17trampoline_kernelINS0_14default_configENS1_20scan_config_selectorItEEZZNS1_9scan_implILNS1_25lookback_scan_determinismE0ELb1ELb1ES3_N6thrust23THRUST_200600_302600_NS6detail15normal_iteratorINS9_10device_ptrItEEEESE_tNS9_4plusIvEEtEEDaPvRmT3_T4_T5_mT6_P12ihipStream_tbENKUlT_T0_E_clISt17integral_constantIbLb1EESU_EEDaSP_SQ_EUlSP_E0_NS1_11comp_targetILNS1_3genE2ELNS1_11target_archE906ELNS1_3gpuE6ELNS1_3repE0EEENS1_30default_config_static_selectorELNS0_4arch9wavefront6targetE1EEEvT1_.kd
    .uniform_work_group_size: 1
    .uses_dynamic_stack: false
    .vgpr_count:     0
    .vgpr_spill_count: 0
    .wavefront_size: 64
  - .agpr_count:     0
    .args:
      - .offset:         0
        .size:           32
        .value_kind:     by_value
    .group_segment_fixed_size: 0
    .kernarg_segment_align: 8
    .kernarg_segment_size: 32
    .language:       OpenCL C
    .language_version:
      - 2
      - 0
    .max_flat_workgroup_size: 256
    .name:           _ZN7rocprim17ROCPRIM_400000_NS6detail17trampoline_kernelINS0_14default_configENS1_20scan_config_selectorItEEZZNS1_9scan_implILNS1_25lookback_scan_determinismE0ELb1ELb1ES3_N6thrust23THRUST_200600_302600_NS6detail15normal_iteratorINS9_10device_ptrItEEEESE_tNS9_4plusIvEEtEEDaPvRmT3_T4_T5_mT6_P12ihipStream_tbENKUlT_T0_E_clISt17integral_constantIbLb1EESU_EEDaSP_SQ_EUlSP_E0_NS1_11comp_targetILNS1_3genE10ELNS1_11target_archE1201ELNS1_3gpuE5ELNS1_3repE0EEENS1_30default_config_static_selectorELNS0_4arch9wavefront6targetE1EEEvT1_
    .private_segment_fixed_size: 0
    .sgpr_count:     4
    .sgpr_spill_count: 0
    .symbol:         _ZN7rocprim17ROCPRIM_400000_NS6detail17trampoline_kernelINS0_14default_configENS1_20scan_config_selectorItEEZZNS1_9scan_implILNS1_25lookback_scan_determinismE0ELb1ELb1ES3_N6thrust23THRUST_200600_302600_NS6detail15normal_iteratorINS9_10device_ptrItEEEESE_tNS9_4plusIvEEtEEDaPvRmT3_T4_T5_mT6_P12ihipStream_tbENKUlT_T0_E_clISt17integral_constantIbLb1EESU_EEDaSP_SQ_EUlSP_E0_NS1_11comp_targetILNS1_3genE10ELNS1_11target_archE1201ELNS1_3gpuE5ELNS1_3repE0EEENS1_30default_config_static_selectorELNS0_4arch9wavefront6targetE1EEEvT1_.kd
    .uniform_work_group_size: 1
    .uses_dynamic_stack: false
    .vgpr_count:     0
    .vgpr_spill_count: 0
    .wavefront_size: 64
  - .agpr_count:     0
    .args:
      - .offset:         0
        .size:           32
        .value_kind:     by_value
    .group_segment_fixed_size: 0
    .kernarg_segment_align: 8
    .kernarg_segment_size: 32
    .language:       OpenCL C
    .language_version:
      - 2
      - 0
    .max_flat_workgroup_size: 256
    .name:           _ZN7rocprim17ROCPRIM_400000_NS6detail17trampoline_kernelINS0_14default_configENS1_20scan_config_selectorItEEZZNS1_9scan_implILNS1_25lookback_scan_determinismE0ELb1ELb1ES3_N6thrust23THRUST_200600_302600_NS6detail15normal_iteratorINS9_10device_ptrItEEEESE_tNS9_4plusIvEEtEEDaPvRmT3_T4_T5_mT6_P12ihipStream_tbENKUlT_T0_E_clISt17integral_constantIbLb1EESU_EEDaSP_SQ_EUlSP_E0_NS1_11comp_targetILNS1_3genE10ELNS1_11target_archE1200ELNS1_3gpuE4ELNS1_3repE0EEENS1_30default_config_static_selectorELNS0_4arch9wavefront6targetE1EEEvT1_
    .private_segment_fixed_size: 0
    .sgpr_count:     4
    .sgpr_spill_count: 0
    .symbol:         _ZN7rocprim17ROCPRIM_400000_NS6detail17trampoline_kernelINS0_14default_configENS1_20scan_config_selectorItEEZZNS1_9scan_implILNS1_25lookback_scan_determinismE0ELb1ELb1ES3_N6thrust23THRUST_200600_302600_NS6detail15normal_iteratorINS9_10device_ptrItEEEESE_tNS9_4plusIvEEtEEDaPvRmT3_T4_T5_mT6_P12ihipStream_tbENKUlT_T0_E_clISt17integral_constantIbLb1EESU_EEDaSP_SQ_EUlSP_E0_NS1_11comp_targetILNS1_3genE10ELNS1_11target_archE1200ELNS1_3gpuE4ELNS1_3repE0EEENS1_30default_config_static_selectorELNS0_4arch9wavefront6targetE1EEEvT1_.kd
    .uniform_work_group_size: 1
    .uses_dynamic_stack: false
    .vgpr_count:     0
    .vgpr_spill_count: 0
    .wavefront_size: 64
  - .agpr_count:     0
    .args:
      - .offset:         0
        .size:           32
        .value_kind:     by_value
    .group_segment_fixed_size: 0
    .kernarg_segment_align: 8
    .kernarg_segment_size: 32
    .language:       OpenCL C
    .language_version:
      - 2
      - 0
    .max_flat_workgroup_size: 64
    .name:           _ZN7rocprim17ROCPRIM_400000_NS6detail17trampoline_kernelINS0_14default_configENS1_20scan_config_selectorItEEZZNS1_9scan_implILNS1_25lookback_scan_determinismE0ELb1ELb1ES3_N6thrust23THRUST_200600_302600_NS6detail15normal_iteratorINS9_10device_ptrItEEEESE_tNS9_4plusIvEEtEEDaPvRmT3_T4_T5_mT6_P12ihipStream_tbENKUlT_T0_E_clISt17integral_constantIbLb1EESU_EEDaSP_SQ_EUlSP_E0_NS1_11comp_targetILNS1_3genE9ELNS1_11target_archE1100ELNS1_3gpuE3ELNS1_3repE0EEENS1_30default_config_static_selectorELNS0_4arch9wavefront6targetE1EEEvT1_
    .private_segment_fixed_size: 0
    .sgpr_count:     4
    .sgpr_spill_count: 0
    .symbol:         _ZN7rocprim17ROCPRIM_400000_NS6detail17trampoline_kernelINS0_14default_configENS1_20scan_config_selectorItEEZZNS1_9scan_implILNS1_25lookback_scan_determinismE0ELb1ELb1ES3_N6thrust23THRUST_200600_302600_NS6detail15normal_iteratorINS9_10device_ptrItEEEESE_tNS9_4plusIvEEtEEDaPvRmT3_T4_T5_mT6_P12ihipStream_tbENKUlT_T0_E_clISt17integral_constantIbLb1EESU_EEDaSP_SQ_EUlSP_E0_NS1_11comp_targetILNS1_3genE9ELNS1_11target_archE1100ELNS1_3gpuE3ELNS1_3repE0EEENS1_30default_config_static_selectorELNS0_4arch9wavefront6targetE1EEEvT1_.kd
    .uniform_work_group_size: 1
    .uses_dynamic_stack: false
    .vgpr_count:     0
    .vgpr_spill_count: 0
    .wavefront_size: 64
  - .agpr_count:     0
    .args:
      - .offset:         0
        .size:           32
        .value_kind:     by_value
    .group_segment_fixed_size: 0
    .kernarg_segment_align: 8
    .kernarg_segment_size: 32
    .language:       OpenCL C
    .language_version:
      - 2
      - 0
    .max_flat_workgroup_size: 64
    .name:           _ZN7rocprim17ROCPRIM_400000_NS6detail17trampoline_kernelINS0_14default_configENS1_20scan_config_selectorItEEZZNS1_9scan_implILNS1_25lookback_scan_determinismE0ELb1ELb1ES3_N6thrust23THRUST_200600_302600_NS6detail15normal_iteratorINS9_10device_ptrItEEEESE_tNS9_4plusIvEEtEEDaPvRmT3_T4_T5_mT6_P12ihipStream_tbENKUlT_T0_E_clISt17integral_constantIbLb1EESU_EEDaSP_SQ_EUlSP_E0_NS1_11comp_targetILNS1_3genE8ELNS1_11target_archE1030ELNS1_3gpuE2ELNS1_3repE0EEENS1_30default_config_static_selectorELNS0_4arch9wavefront6targetE1EEEvT1_
    .private_segment_fixed_size: 0
    .sgpr_count:     4
    .sgpr_spill_count: 0
    .symbol:         _ZN7rocprim17ROCPRIM_400000_NS6detail17trampoline_kernelINS0_14default_configENS1_20scan_config_selectorItEEZZNS1_9scan_implILNS1_25lookback_scan_determinismE0ELb1ELb1ES3_N6thrust23THRUST_200600_302600_NS6detail15normal_iteratorINS9_10device_ptrItEEEESE_tNS9_4plusIvEEtEEDaPvRmT3_T4_T5_mT6_P12ihipStream_tbENKUlT_T0_E_clISt17integral_constantIbLb1EESU_EEDaSP_SQ_EUlSP_E0_NS1_11comp_targetILNS1_3genE8ELNS1_11target_archE1030ELNS1_3gpuE2ELNS1_3repE0EEENS1_30default_config_static_selectorELNS0_4arch9wavefront6targetE1EEEvT1_.kd
    .uniform_work_group_size: 1
    .uses_dynamic_stack: false
    .vgpr_count:     0
    .vgpr_spill_count: 0
    .wavefront_size: 64
  - .agpr_count:     0
    .args:
      - .offset:         0
        .size:           96
        .value_kind:     by_value
    .group_segment_fixed_size: 0
    .kernarg_segment_align: 8
    .kernarg_segment_size: 96
    .language:       OpenCL C
    .language_version:
      - 2
      - 0
    .max_flat_workgroup_size: 128
    .name:           _ZN7rocprim17ROCPRIM_400000_NS6detail17trampoline_kernelINS0_14default_configENS1_20scan_config_selectorItEEZZNS1_9scan_implILNS1_25lookback_scan_determinismE0ELb1ELb1ES3_N6thrust23THRUST_200600_302600_NS6detail15normal_iteratorINS9_10device_ptrItEEEESE_tNS9_4plusIvEEtEEDaPvRmT3_T4_T5_mT6_P12ihipStream_tbENKUlT_T0_E_clISt17integral_constantIbLb1EEST_IbLb0EEEEDaSP_SQ_EUlSP_E_NS1_11comp_targetILNS1_3genE0ELNS1_11target_archE4294967295ELNS1_3gpuE0ELNS1_3repE0EEENS1_30default_config_static_selectorELNS0_4arch9wavefront6targetE1EEEvT1_
    .private_segment_fixed_size: 0
    .sgpr_count:     4
    .sgpr_spill_count: 0
    .symbol:         _ZN7rocprim17ROCPRIM_400000_NS6detail17trampoline_kernelINS0_14default_configENS1_20scan_config_selectorItEEZZNS1_9scan_implILNS1_25lookback_scan_determinismE0ELb1ELb1ES3_N6thrust23THRUST_200600_302600_NS6detail15normal_iteratorINS9_10device_ptrItEEEESE_tNS9_4plusIvEEtEEDaPvRmT3_T4_T5_mT6_P12ihipStream_tbENKUlT_T0_E_clISt17integral_constantIbLb1EEST_IbLb0EEEEDaSP_SQ_EUlSP_E_NS1_11comp_targetILNS1_3genE0ELNS1_11target_archE4294967295ELNS1_3gpuE0ELNS1_3repE0EEENS1_30default_config_static_selectorELNS0_4arch9wavefront6targetE1EEEvT1_.kd
    .uniform_work_group_size: 1
    .uses_dynamic_stack: false
    .vgpr_count:     0
    .vgpr_spill_count: 0
    .wavefront_size: 64
  - .agpr_count:     0
    .args:
      - .offset:         0
        .size:           96
        .value_kind:     by_value
    .group_segment_fixed_size: 0
    .kernarg_segment_align: 8
    .kernarg_segment_size: 96
    .language:       OpenCL C
    .language_version:
      - 2
      - 0
    .max_flat_workgroup_size: 256
    .name:           _ZN7rocprim17ROCPRIM_400000_NS6detail17trampoline_kernelINS0_14default_configENS1_20scan_config_selectorItEEZZNS1_9scan_implILNS1_25lookback_scan_determinismE0ELb1ELb1ES3_N6thrust23THRUST_200600_302600_NS6detail15normal_iteratorINS9_10device_ptrItEEEESE_tNS9_4plusIvEEtEEDaPvRmT3_T4_T5_mT6_P12ihipStream_tbENKUlT_T0_E_clISt17integral_constantIbLb1EEST_IbLb0EEEEDaSP_SQ_EUlSP_E_NS1_11comp_targetILNS1_3genE5ELNS1_11target_archE942ELNS1_3gpuE9ELNS1_3repE0EEENS1_30default_config_static_selectorELNS0_4arch9wavefront6targetE1EEEvT1_
    .private_segment_fixed_size: 0
    .sgpr_count:     4
    .sgpr_spill_count: 0
    .symbol:         _ZN7rocprim17ROCPRIM_400000_NS6detail17trampoline_kernelINS0_14default_configENS1_20scan_config_selectorItEEZZNS1_9scan_implILNS1_25lookback_scan_determinismE0ELb1ELb1ES3_N6thrust23THRUST_200600_302600_NS6detail15normal_iteratorINS9_10device_ptrItEEEESE_tNS9_4plusIvEEtEEDaPvRmT3_T4_T5_mT6_P12ihipStream_tbENKUlT_T0_E_clISt17integral_constantIbLb1EEST_IbLb0EEEEDaSP_SQ_EUlSP_E_NS1_11comp_targetILNS1_3genE5ELNS1_11target_archE942ELNS1_3gpuE9ELNS1_3repE0EEENS1_30default_config_static_selectorELNS0_4arch9wavefront6targetE1EEEvT1_.kd
    .uniform_work_group_size: 1
    .uses_dynamic_stack: false
    .vgpr_count:     0
    .vgpr_spill_count: 0
    .wavefront_size: 64
  - .agpr_count:     0
    .args:
      - .offset:         0
        .size:           96
        .value_kind:     by_value
    .group_segment_fixed_size: 3072
    .kernarg_segment_align: 8
    .kernarg_segment_size: 96
    .language:       OpenCL C
    .language_version:
      - 2
      - 0
    .max_flat_workgroup_size: 64
    .name:           _ZN7rocprim17ROCPRIM_400000_NS6detail17trampoline_kernelINS0_14default_configENS1_20scan_config_selectorItEEZZNS1_9scan_implILNS1_25lookback_scan_determinismE0ELb1ELb1ES3_N6thrust23THRUST_200600_302600_NS6detail15normal_iteratorINS9_10device_ptrItEEEESE_tNS9_4plusIvEEtEEDaPvRmT3_T4_T5_mT6_P12ihipStream_tbENKUlT_T0_E_clISt17integral_constantIbLb1EEST_IbLb0EEEEDaSP_SQ_EUlSP_E_NS1_11comp_targetILNS1_3genE4ELNS1_11target_archE910ELNS1_3gpuE8ELNS1_3repE0EEENS1_30default_config_static_selectorELNS0_4arch9wavefront6targetE1EEEvT1_
    .private_segment_fixed_size: 0
    .sgpr_count:     33
    .sgpr_spill_count: 0
    .symbol:         _ZN7rocprim17ROCPRIM_400000_NS6detail17trampoline_kernelINS0_14default_configENS1_20scan_config_selectorItEEZZNS1_9scan_implILNS1_25lookback_scan_determinismE0ELb1ELb1ES3_N6thrust23THRUST_200600_302600_NS6detail15normal_iteratorINS9_10device_ptrItEEEESE_tNS9_4plusIvEEtEEDaPvRmT3_T4_T5_mT6_P12ihipStream_tbENKUlT_T0_E_clISt17integral_constantIbLb1EEST_IbLb0EEEEDaSP_SQ_EUlSP_E_NS1_11comp_targetILNS1_3genE4ELNS1_11target_archE910ELNS1_3gpuE8ELNS1_3repE0EEENS1_30default_config_static_selectorELNS0_4arch9wavefront6targetE1EEEvT1_.kd
    .uniform_work_group_size: 1
    .uses_dynamic_stack: false
    .vgpr_count:     54
    .vgpr_spill_count: 0
    .wavefront_size: 64
  - .agpr_count:     0
    .args:
      - .offset:         0
        .size:           96
        .value_kind:     by_value
    .group_segment_fixed_size: 0
    .kernarg_segment_align: 8
    .kernarg_segment_size: 96
    .language:       OpenCL C
    .language_version:
      - 2
      - 0
    .max_flat_workgroup_size: 128
    .name:           _ZN7rocprim17ROCPRIM_400000_NS6detail17trampoline_kernelINS0_14default_configENS1_20scan_config_selectorItEEZZNS1_9scan_implILNS1_25lookback_scan_determinismE0ELb1ELb1ES3_N6thrust23THRUST_200600_302600_NS6detail15normal_iteratorINS9_10device_ptrItEEEESE_tNS9_4plusIvEEtEEDaPvRmT3_T4_T5_mT6_P12ihipStream_tbENKUlT_T0_E_clISt17integral_constantIbLb1EEST_IbLb0EEEEDaSP_SQ_EUlSP_E_NS1_11comp_targetILNS1_3genE3ELNS1_11target_archE908ELNS1_3gpuE7ELNS1_3repE0EEENS1_30default_config_static_selectorELNS0_4arch9wavefront6targetE1EEEvT1_
    .private_segment_fixed_size: 0
    .sgpr_count:     4
    .sgpr_spill_count: 0
    .symbol:         _ZN7rocprim17ROCPRIM_400000_NS6detail17trampoline_kernelINS0_14default_configENS1_20scan_config_selectorItEEZZNS1_9scan_implILNS1_25lookback_scan_determinismE0ELb1ELb1ES3_N6thrust23THRUST_200600_302600_NS6detail15normal_iteratorINS9_10device_ptrItEEEESE_tNS9_4plusIvEEtEEDaPvRmT3_T4_T5_mT6_P12ihipStream_tbENKUlT_T0_E_clISt17integral_constantIbLb1EEST_IbLb0EEEEDaSP_SQ_EUlSP_E_NS1_11comp_targetILNS1_3genE3ELNS1_11target_archE908ELNS1_3gpuE7ELNS1_3repE0EEENS1_30default_config_static_selectorELNS0_4arch9wavefront6targetE1EEEvT1_.kd
    .uniform_work_group_size: 1
    .uses_dynamic_stack: false
    .vgpr_count:     0
    .vgpr_spill_count: 0
    .wavefront_size: 64
  - .agpr_count:     0
    .args:
      - .offset:         0
        .size:           96
        .value_kind:     by_value
    .group_segment_fixed_size: 0
    .kernarg_segment_align: 8
    .kernarg_segment_size: 96
    .language:       OpenCL C
    .language_version:
      - 2
      - 0
    .max_flat_workgroup_size: 256
    .name:           _ZN7rocprim17ROCPRIM_400000_NS6detail17trampoline_kernelINS0_14default_configENS1_20scan_config_selectorItEEZZNS1_9scan_implILNS1_25lookback_scan_determinismE0ELb1ELb1ES3_N6thrust23THRUST_200600_302600_NS6detail15normal_iteratorINS9_10device_ptrItEEEESE_tNS9_4plusIvEEtEEDaPvRmT3_T4_T5_mT6_P12ihipStream_tbENKUlT_T0_E_clISt17integral_constantIbLb1EEST_IbLb0EEEEDaSP_SQ_EUlSP_E_NS1_11comp_targetILNS1_3genE2ELNS1_11target_archE906ELNS1_3gpuE6ELNS1_3repE0EEENS1_30default_config_static_selectorELNS0_4arch9wavefront6targetE1EEEvT1_
    .private_segment_fixed_size: 0
    .sgpr_count:     4
    .sgpr_spill_count: 0
    .symbol:         _ZN7rocprim17ROCPRIM_400000_NS6detail17trampoline_kernelINS0_14default_configENS1_20scan_config_selectorItEEZZNS1_9scan_implILNS1_25lookback_scan_determinismE0ELb1ELb1ES3_N6thrust23THRUST_200600_302600_NS6detail15normal_iteratorINS9_10device_ptrItEEEESE_tNS9_4plusIvEEtEEDaPvRmT3_T4_T5_mT6_P12ihipStream_tbENKUlT_T0_E_clISt17integral_constantIbLb1EEST_IbLb0EEEEDaSP_SQ_EUlSP_E_NS1_11comp_targetILNS1_3genE2ELNS1_11target_archE906ELNS1_3gpuE6ELNS1_3repE0EEENS1_30default_config_static_selectorELNS0_4arch9wavefront6targetE1EEEvT1_.kd
    .uniform_work_group_size: 1
    .uses_dynamic_stack: false
    .vgpr_count:     0
    .vgpr_spill_count: 0
    .wavefront_size: 64
  - .agpr_count:     0
    .args:
      - .offset:         0
        .size:           96
        .value_kind:     by_value
    .group_segment_fixed_size: 0
    .kernarg_segment_align: 8
    .kernarg_segment_size: 96
    .language:       OpenCL C
    .language_version:
      - 2
      - 0
    .max_flat_workgroup_size: 256
    .name:           _ZN7rocprim17ROCPRIM_400000_NS6detail17trampoline_kernelINS0_14default_configENS1_20scan_config_selectorItEEZZNS1_9scan_implILNS1_25lookback_scan_determinismE0ELb1ELb1ES3_N6thrust23THRUST_200600_302600_NS6detail15normal_iteratorINS9_10device_ptrItEEEESE_tNS9_4plusIvEEtEEDaPvRmT3_T4_T5_mT6_P12ihipStream_tbENKUlT_T0_E_clISt17integral_constantIbLb1EEST_IbLb0EEEEDaSP_SQ_EUlSP_E_NS1_11comp_targetILNS1_3genE10ELNS1_11target_archE1201ELNS1_3gpuE5ELNS1_3repE0EEENS1_30default_config_static_selectorELNS0_4arch9wavefront6targetE1EEEvT1_
    .private_segment_fixed_size: 0
    .sgpr_count:     4
    .sgpr_spill_count: 0
    .symbol:         _ZN7rocprim17ROCPRIM_400000_NS6detail17trampoline_kernelINS0_14default_configENS1_20scan_config_selectorItEEZZNS1_9scan_implILNS1_25lookback_scan_determinismE0ELb1ELb1ES3_N6thrust23THRUST_200600_302600_NS6detail15normal_iteratorINS9_10device_ptrItEEEESE_tNS9_4plusIvEEtEEDaPvRmT3_T4_T5_mT6_P12ihipStream_tbENKUlT_T0_E_clISt17integral_constantIbLb1EEST_IbLb0EEEEDaSP_SQ_EUlSP_E_NS1_11comp_targetILNS1_3genE10ELNS1_11target_archE1201ELNS1_3gpuE5ELNS1_3repE0EEENS1_30default_config_static_selectorELNS0_4arch9wavefront6targetE1EEEvT1_.kd
    .uniform_work_group_size: 1
    .uses_dynamic_stack: false
    .vgpr_count:     0
    .vgpr_spill_count: 0
    .wavefront_size: 64
  - .agpr_count:     0
    .args:
      - .offset:         0
        .size:           96
        .value_kind:     by_value
    .group_segment_fixed_size: 0
    .kernarg_segment_align: 8
    .kernarg_segment_size: 96
    .language:       OpenCL C
    .language_version:
      - 2
      - 0
    .max_flat_workgroup_size: 256
    .name:           _ZN7rocprim17ROCPRIM_400000_NS6detail17trampoline_kernelINS0_14default_configENS1_20scan_config_selectorItEEZZNS1_9scan_implILNS1_25lookback_scan_determinismE0ELb1ELb1ES3_N6thrust23THRUST_200600_302600_NS6detail15normal_iteratorINS9_10device_ptrItEEEESE_tNS9_4plusIvEEtEEDaPvRmT3_T4_T5_mT6_P12ihipStream_tbENKUlT_T0_E_clISt17integral_constantIbLb1EEST_IbLb0EEEEDaSP_SQ_EUlSP_E_NS1_11comp_targetILNS1_3genE10ELNS1_11target_archE1200ELNS1_3gpuE4ELNS1_3repE0EEENS1_30default_config_static_selectorELNS0_4arch9wavefront6targetE1EEEvT1_
    .private_segment_fixed_size: 0
    .sgpr_count:     4
    .sgpr_spill_count: 0
    .symbol:         _ZN7rocprim17ROCPRIM_400000_NS6detail17trampoline_kernelINS0_14default_configENS1_20scan_config_selectorItEEZZNS1_9scan_implILNS1_25lookback_scan_determinismE0ELb1ELb1ES3_N6thrust23THRUST_200600_302600_NS6detail15normal_iteratorINS9_10device_ptrItEEEESE_tNS9_4plusIvEEtEEDaPvRmT3_T4_T5_mT6_P12ihipStream_tbENKUlT_T0_E_clISt17integral_constantIbLb1EEST_IbLb0EEEEDaSP_SQ_EUlSP_E_NS1_11comp_targetILNS1_3genE10ELNS1_11target_archE1200ELNS1_3gpuE4ELNS1_3repE0EEENS1_30default_config_static_selectorELNS0_4arch9wavefront6targetE1EEEvT1_.kd
    .uniform_work_group_size: 1
    .uses_dynamic_stack: false
    .vgpr_count:     0
    .vgpr_spill_count: 0
    .wavefront_size: 64
  - .agpr_count:     0
    .args:
      - .offset:         0
        .size:           96
        .value_kind:     by_value
    .group_segment_fixed_size: 0
    .kernarg_segment_align: 8
    .kernarg_segment_size: 96
    .language:       OpenCL C
    .language_version:
      - 2
      - 0
    .max_flat_workgroup_size: 64
    .name:           _ZN7rocprim17ROCPRIM_400000_NS6detail17trampoline_kernelINS0_14default_configENS1_20scan_config_selectorItEEZZNS1_9scan_implILNS1_25lookback_scan_determinismE0ELb1ELb1ES3_N6thrust23THRUST_200600_302600_NS6detail15normal_iteratorINS9_10device_ptrItEEEESE_tNS9_4plusIvEEtEEDaPvRmT3_T4_T5_mT6_P12ihipStream_tbENKUlT_T0_E_clISt17integral_constantIbLb1EEST_IbLb0EEEEDaSP_SQ_EUlSP_E_NS1_11comp_targetILNS1_3genE9ELNS1_11target_archE1100ELNS1_3gpuE3ELNS1_3repE0EEENS1_30default_config_static_selectorELNS0_4arch9wavefront6targetE1EEEvT1_
    .private_segment_fixed_size: 0
    .sgpr_count:     4
    .sgpr_spill_count: 0
    .symbol:         _ZN7rocprim17ROCPRIM_400000_NS6detail17trampoline_kernelINS0_14default_configENS1_20scan_config_selectorItEEZZNS1_9scan_implILNS1_25lookback_scan_determinismE0ELb1ELb1ES3_N6thrust23THRUST_200600_302600_NS6detail15normal_iteratorINS9_10device_ptrItEEEESE_tNS9_4plusIvEEtEEDaPvRmT3_T4_T5_mT6_P12ihipStream_tbENKUlT_T0_E_clISt17integral_constantIbLb1EEST_IbLb0EEEEDaSP_SQ_EUlSP_E_NS1_11comp_targetILNS1_3genE9ELNS1_11target_archE1100ELNS1_3gpuE3ELNS1_3repE0EEENS1_30default_config_static_selectorELNS0_4arch9wavefront6targetE1EEEvT1_.kd
    .uniform_work_group_size: 1
    .uses_dynamic_stack: false
    .vgpr_count:     0
    .vgpr_spill_count: 0
    .wavefront_size: 64
  - .agpr_count:     0
    .args:
      - .offset:         0
        .size:           96
        .value_kind:     by_value
    .group_segment_fixed_size: 0
    .kernarg_segment_align: 8
    .kernarg_segment_size: 96
    .language:       OpenCL C
    .language_version:
      - 2
      - 0
    .max_flat_workgroup_size: 64
    .name:           _ZN7rocprim17ROCPRIM_400000_NS6detail17trampoline_kernelINS0_14default_configENS1_20scan_config_selectorItEEZZNS1_9scan_implILNS1_25lookback_scan_determinismE0ELb1ELb1ES3_N6thrust23THRUST_200600_302600_NS6detail15normal_iteratorINS9_10device_ptrItEEEESE_tNS9_4plusIvEEtEEDaPvRmT3_T4_T5_mT6_P12ihipStream_tbENKUlT_T0_E_clISt17integral_constantIbLb1EEST_IbLb0EEEEDaSP_SQ_EUlSP_E_NS1_11comp_targetILNS1_3genE8ELNS1_11target_archE1030ELNS1_3gpuE2ELNS1_3repE0EEENS1_30default_config_static_selectorELNS0_4arch9wavefront6targetE1EEEvT1_
    .private_segment_fixed_size: 0
    .sgpr_count:     4
    .sgpr_spill_count: 0
    .symbol:         _ZN7rocprim17ROCPRIM_400000_NS6detail17trampoline_kernelINS0_14default_configENS1_20scan_config_selectorItEEZZNS1_9scan_implILNS1_25lookback_scan_determinismE0ELb1ELb1ES3_N6thrust23THRUST_200600_302600_NS6detail15normal_iteratorINS9_10device_ptrItEEEESE_tNS9_4plusIvEEtEEDaPvRmT3_T4_T5_mT6_P12ihipStream_tbENKUlT_T0_E_clISt17integral_constantIbLb1EEST_IbLb0EEEEDaSP_SQ_EUlSP_E_NS1_11comp_targetILNS1_3genE8ELNS1_11target_archE1030ELNS1_3gpuE2ELNS1_3repE0EEENS1_30default_config_static_selectorELNS0_4arch9wavefront6targetE1EEEvT1_.kd
    .uniform_work_group_size: 1
    .uses_dynamic_stack: false
    .vgpr_count:     0
    .vgpr_spill_count: 0
    .wavefront_size: 64
  - .agpr_count:     0
    .args:
      - .offset:         0
        .size:           32
        .value_kind:     by_value
    .group_segment_fixed_size: 0
    .kernarg_segment_align: 8
    .kernarg_segment_size: 32
    .language:       OpenCL C
    .language_version:
      - 2
      - 0
    .max_flat_workgroup_size: 128
    .name:           _ZN7rocprim17ROCPRIM_400000_NS6detail17trampoline_kernelINS0_14default_configENS1_20scan_config_selectorItEEZZNS1_9scan_implILNS1_25lookback_scan_determinismE0ELb1ELb1ES3_N6thrust23THRUST_200600_302600_NS6detail15normal_iteratorINS9_10device_ptrItEEEESE_tNS9_4plusIvEEtEEDaPvRmT3_T4_T5_mT6_P12ihipStream_tbENKUlT_T0_E_clISt17integral_constantIbLb1EEST_IbLb0EEEEDaSP_SQ_EUlSP_E0_NS1_11comp_targetILNS1_3genE0ELNS1_11target_archE4294967295ELNS1_3gpuE0ELNS1_3repE0EEENS1_30default_config_static_selectorELNS0_4arch9wavefront6targetE1EEEvT1_
    .private_segment_fixed_size: 0
    .sgpr_count:     4
    .sgpr_spill_count: 0
    .symbol:         _ZN7rocprim17ROCPRIM_400000_NS6detail17trampoline_kernelINS0_14default_configENS1_20scan_config_selectorItEEZZNS1_9scan_implILNS1_25lookback_scan_determinismE0ELb1ELb1ES3_N6thrust23THRUST_200600_302600_NS6detail15normal_iteratorINS9_10device_ptrItEEEESE_tNS9_4plusIvEEtEEDaPvRmT3_T4_T5_mT6_P12ihipStream_tbENKUlT_T0_E_clISt17integral_constantIbLb1EEST_IbLb0EEEEDaSP_SQ_EUlSP_E0_NS1_11comp_targetILNS1_3genE0ELNS1_11target_archE4294967295ELNS1_3gpuE0ELNS1_3repE0EEENS1_30default_config_static_selectorELNS0_4arch9wavefront6targetE1EEEvT1_.kd
    .uniform_work_group_size: 1
    .uses_dynamic_stack: false
    .vgpr_count:     0
    .vgpr_spill_count: 0
    .wavefront_size: 64
  - .agpr_count:     0
    .args:
      - .offset:         0
        .size:           32
        .value_kind:     by_value
    .group_segment_fixed_size: 0
    .kernarg_segment_align: 8
    .kernarg_segment_size: 32
    .language:       OpenCL C
    .language_version:
      - 2
      - 0
    .max_flat_workgroup_size: 256
    .name:           _ZN7rocprim17ROCPRIM_400000_NS6detail17trampoline_kernelINS0_14default_configENS1_20scan_config_selectorItEEZZNS1_9scan_implILNS1_25lookback_scan_determinismE0ELb1ELb1ES3_N6thrust23THRUST_200600_302600_NS6detail15normal_iteratorINS9_10device_ptrItEEEESE_tNS9_4plusIvEEtEEDaPvRmT3_T4_T5_mT6_P12ihipStream_tbENKUlT_T0_E_clISt17integral_constantIbLb1EEST_IbLb0EEEEDaSP_SQ_EUlSP_E0_NS1_11comp_targetILNS1_3genE5ELNS1_11target_archE942ELNS1_3gpuE9ELNS1_3repE0EEENS1_30default_config_static_selectorELNS0_4arch9wavefront6targetE1EEEvT1_
    .private_segment_fixed_size: 0
    .sgpr_count:     4
    .sgpr_spill_count: 0
    .symbol:         _ZN7rocprim17ROCPRIM_400000_NS6detail17trampoline_kernelINS0_14default_configENS1_20scan_config_selectorItEEZZNS1_9scan_implILNS1_25lookback_scan_determinismE0ELb1ELb1ES3_N6thrust23THRUST_200600_302600_NS6detail15normal_iteratorINS9_10device_ptrItEEEESE_tNS9_4plusIvEEtEEDaPvRmT3_T4_T5_mT6_P12ihipStream_tbENKUlT_T0_E_clISt17integral_constantIbLb1EEST_IbLb0EEEEDaSP_SQ_EUlSP_E0_NS1_11comp_targetILNS1_3genE5ELNS1_11target_archE942ELNS1_3gpuE9ELNS1_3repE0EEENS1_30default_config_static_selectorELNS0_4arch9wavefront6targetE1EEEvT1_.kd
    .uniform_work_group_size: 1
    .uses_dynamic_stack: false
    .vgpr_count:     0
    .vgpr_spill_count: 0
    .wavefront_size: 64
  - .agpr_count:     0
    .args:
      - .offset:         0
        .size:           32
        .value_kind:     by_value
    .group_segment_fixed_size: 3072
    .kernarg_segment_align: 8
    .kernarg_segment_size: 32
    .language:       OpenCL C
    .language_version:
      - 2
      - 0
    .max_flat_workgroup_size: 64
    .name:           _ZN7rocprim17ROCPRIM_400000_NS6detail17trampoline_kernelINS0_14default_configENS1_20scan_config_selectorItEEZZNS1_9scan_implILNS1_25lookback_scan_determinismE0ELb1ELb1ES3_N6thrust23THRUST_200600_302600_NS6detail15normal_iteratorINS9_10device_ptrItEEEESE_tNS9_4plusIvEEtEEDaPvRmT3_T4_T5_mT6_P12ihipStream_tbENKUlT_T0_E_clISt17integral_constantIbLb1EEST_IbLb0EEEEDaSP_SQ_EUlSP_E0_NS1_11comp_targetILNS1_3genE4ELNS1_11target_archE910ELNS1_3gpuE8ELNS1_3repE0EEENS1_30default_config_static_selectorELNS0_4arch9wavefront6targetE1EEEvT1_
    .private_segment_fixed_size: 0
    .sgpr_count:     60
    .sgpr_spill_count: 0
    .symbol:         _ZN7rocprim17ROCPRIM_400000_NS6detail17trampoline_kernelINS0_14default_configENS1_20scan_config_selectorItEEZZNS1_9scan_implILNS1_25lookback_scan_determinismE0ELb1ELb1ES3_N6thrust23THRUST_200600_302600_NS6detail15normal_iteratorINS9_10device_ptrItEEEESE_tNS9_4plusIvEEtEEDaPvRmT3_T4_T5_mT6_P12ihipStream_tbENKUlT_T0_E_clISt17integral_constantIbLb1EEST_IbLb0EEEEDaSP_SQ_EUlSP_E0_NS1_11comp_targetILNS1_3genE4ELNS1_11target_archE910ELNS1_3gpuE8ELNS1_3repE0EEENS1_30default_config_static_selectorELNS0_4arch9wavefront6targetE1EEEvT1_.kd
    .uniform_work_group_size: 1
    .uses_dynamic_stack: false
    .vgpr_count:     32
    .vgpr_spill_count: 0
    .wavefront_size: 64
  - .agpr_count:     0
    .args:
      - .offset:         0
        .size:           32
        .value_kind:     by_value
    .group_segment_fixed_size: 0
    .kernarg_segment_align: 8
    .kernarg_segment_size: 32
    .language:       OpenCL C
    .language_version:
      - 2
      - 0
    .max_flat_workgroup_size: 128
    .name:           _ZN7rocprim17ROCPRIM_400000_NS6detail17trampoline_kernelINS0_14default_configENS1_20scan_config_selectorItEEZZNS1_9scan_implILNS1_25lookback_scan_determinismE0ELb1ELb1ES3_N6thrust23THRUST_200600_302600_NS6detail15normal_iteratorINS9_10device_ptrItEEEESE_tNS9_4plusIvEEtEEDaPvRmT3_T4_T5_mT6_P12ihipStream_tbENKUlT_T0_E_clISt17integral_constantIbLb1EEST_IbLb0EEEEDaSP_SQ_EUlSP_E0_NS1_11comp_targetILNS1_3genE3ELNS1_11target_archE908ELNS1_3gpuE7ELNS1_3repE0EEENS1_30default_config_static_selectorELNS0_4arch9wavefront6targetE1EEEvT1_
    .private_segment_fixed_size: 0
    .sgpr_count:     4
    .sgpr_spill_count: 0
    .symbol:         _ZN7rocprim17ROCPRIM_400000_NS6detail17trampoline_kernelINS0_14default_configENS1_20scan_config_selectorItEEZZNS1_9scan_implILNS1_25lookback_scan_determinismE0ELb1ELb1ES3_N6thrust23THRUST_200600_302600_NS6detail15normal_iteratorINS9_10device_ptrItEEEESE_tNS9_4plusIvEEtEEDaPvRmT3_T4_T5_mT6_P12ihipStream_tbENKUlT_T0_E_clISt17integral_constantIbLb1EEST_IbLb0EEEEDaSP_SQ_EUlSP_E0_NS1_11comp_targetILNS1_3genE3ELNS1_11target_archE908ELNS1_3gpuE7ELNS1_3repE0EEENS1_30default_config_static_selectorELNS0_4arch9wavefront6targetE1EEEvT1_.kd
    .uniform_work_group_size: 1
    .uses_dynamic_stack: false
    .vgpr_count:     0
    .vgpr_spill_count: 0
    .wavefront_size: 64
  - .agpr_count:     0
    .args:
      - .offset:         0
        .size:           32
        .value_kind:     by_value
    .group_segment_fixed_size: 0
    .kernarg_segment_align: 8
    .kernarg_segment_size: 32
    .language:       OpenCL C
    .language_version:
      - 2
      - 0
    .max_flat_workgroup_size: 256
    .name:           _ZN7rocprim17ROCPRIM_400000_NS6detail17trampoline_kernelINS0_14default_configENS1_20scan_config_selectorItEEZZNS1_9scan_implILNS1_25lookback_scan_determinismE0ELb1ELb1ES3_N6thrust23THRUST_200600_302600_NS6detail15normal_iteratorINS9_10device_ptrItEEEESE_tNS9_4plusIvEEtEEDaPvRmT3_T4_T5_mT6_P12ihipStream_tbENKUlT_T0_E_clISt17integral_constantIbLb1EEST_IbLb0EEEEDaSP_SQ_EUlSP_E0_NS1_11comp_targetILNS1_3genE2ELNS1_11target_archE906ELNS1_3gpuE6ELNS1_3repE0EEENS1_30default_config_static_selectorELNS0_4arch9wavefront6targetE1EEEvT1_
    .private_segment_fixed_size: 0
    .sgpr_count:     4
    .sgpr_spill_count: 0
    .symbol:         _ZN7rocprim17ROCPRIM_400000_NS6detail17trampoline_kernelINS0_14default_configENS1_20scan_config_selectorItEEZZNS1_9scan_implILNS1_25lookback_scan_determinismE0ELb1ELb1ES3_N6thrust23THRUST_200600_302600_NS6detail15normal_iteratorINS9_10device_ptrItEEEESE_tNS9_4plusIvEEtEEDaPvRmT3_T4_T5_mT6_P12ihipStream_tbENKUlT_T0_E_clISt17integral_constantIbLb1EEST_IbLb0EEEEDaSP_SQ_EUlSP_E0_NS1_11comp_targetILNS1_3genE2ELNS1_11target_archE906ELNS1_3gpuE6ELNS1_3repE0EEENS1_30default_config_static_selectorELNS0_4arch9wavefront6targetE1EEEvT1_.kd
    .uniform_work_group_size: 1
    .uses_dynamic_stack: false
    .vgpr_count:     0
    .vgpr_spill_count: 0
    .wavefront_size: 64
  - .agpr_count:     0
    .args:
      - .offset:         0
        .size:           32
        .value_kind:     by_value
    .group_segment_fixed_size: 0
    .kernarg_segment_align: 8
    .kernarg_segment_size: 32
    .language:       OpenCL C
    .language_version:
      - 2
      - 0
    .max_flat_workgroup_size: 256
    .name:           _ZN7rocprim17ROCPRIM_400000_NS6detail17trampoline_kernelINS0_14default_configENS1_20scan_config_selectorItEEZZNS1_9scan_implILNS1_25lookback_scan_determinismE0ELb1ELb1ES3_N6thrust23THRUST_200600_302600_NS6detail15normal_iteratorINS9_10device_ptrItEEEESE_tNS9_4plusIvEEtEEDaPvRmT3_T4_T5_mT6_P12ihipStream_tbENKUlT_T0_E_clISt17integral_constantIbLb1EEST_IbLb0EEEEDaSP_SQ_EUlSP_E0_NS1_11comp_targetILNS1_3genE10ELNS1_11target_archE1201ELNS1_3gpuE5ELNS1_3repE0EEENS1_30default_config_static_selectorELNS0_4arch9wavefront6targetE1EEEvT1_
    .private_segment_fixed_size: 0
    .sgpr_count:     4
    .sgpr_spill_count: 0
    .symbol:         _ZN7rocprim17ROCPRIM_400000_NS6detail17trampoline_kernelINS0_14default_configENS1_20scan_config_selectorItEEZZNS1_9scan_implILNS1_25lookback_scan_determinismE0ELb1ELb1ES3_N6thrust23THRUST_200600_302600_NS6detail15normal_iteratorINS9_10device_ptrItEEEESE_tNS9_4plusIvEEtEEDaPvRmT3_T4_T5_mT6_P12ihipStream_tbENKUlT_T0_E_clISt17integral_constantIbLb1EEST_IbLb0EEEEDaSP_SQ_EUlSP_E0_NS1_11comp_targetILNS1_3genE10ELNS1_11target_archE1201ELNS1_3gpuE5ELNS1_3repE0EEENS1_30default_config_static_selectorELNS0_4arch9wavefront6targetE1EEEvT1_.kd
    .uniform_work_group_size: 1
    .uses_dynamic_stack: false
    .vgpr_count:     0
    .vgpr_spill_count: 0
    .wavefront_size: 64
  - .agpr_count:     0
    .args:
      - .offset:         0
        .size:           32
        .value_kind:     by_value
    .group_segment_fixed_size: 0
    .kernarg_segment_align: 8
    .kernarg_segment_size: 32
    .language:       OpenCL C
    .language_version:
      - 2
      - 0
    .max_flat_workgroup_size: 256
    .name:           _ZN7rocprim17ROCPRIM_400000_NS6detail17trampoline_kernelINS0_14default_configENS1_20scan_config_selectorItEEZZNS1_9scan_implILNS1_25lookback_scan_determinismE0ELb1ELb1ES3_N6thrust23THRUST_200600_302600_NS6detail15normal_iteratorINS9_10device_ptrItEEEESE_tNS9_4plusIvEEtEEDaPvRmT3_T4_T5_mT6_P12ihipStream_tbENKUlT_T0_E_clISt17integral_constantIbLb1EEST_IbLb0EEEEDaSP_SQ_EUlSP_E0_NS1_11comp_targetILNS1_3genE10ELNS1_11target_archE1200ELNS1_3gpuE4ELNS1_3repE0EEENS1_30default_config_static_selectorELNS0_4arch9wavefront6targetE1EEEvT1_
    .private_segment_fixed_size: 0
    .sgpr_count:     4
    .sgpr_spill_count: 0
    .symbol:         _ZN7rocprim17ROCPRIM_400000_NS6detail17trampoline_kernelINS0_14default_configENS1_20scan_config_selectorItEEZZNS1_9scan_implILNS1_25lookback_scan_determinismE0ELb1ELb1ES3_N6thrust23THRUST_200600_302600_NS6detail15normal_iteratorINS9_10device_ptrItEEEESE_tNS9_4plusIvEEtEEDaPvRmT3_T4_T5_mT6_P12ihipStream_tbENKUlT_T0_E_clISt17integral_constantIbLb1EEST_IbLb0EEEEDaSP_SQ_EUlSP_E0_NS1_11comp_targetILNS1_3genE10ELNS1_11target_archE1200ELNS1_3gpuE4ELNS1_3repE0EEENS1_30default_config_static_selectorELNS0_4arch9wavefront6targetE1EEEvT1_.kd
    .uniform_work_group_size: 1
    .uses_dynamic_stack: false
    .vgpr_count:     0
    .vgpr_spill_count: 0
    .wavefront_size: 64
  - .agpr_count:     0
    .args:
      - .offset:         0
        .size:           32
        .value_kind:     by_value
    .group_segment_fixed_size: 0
    .kernarg_segment_align: 8
    .kernarg_segment_size: 32
    .language:       OpenCL C
    .language_version:
      - 2
      - 0
    .max_flat_workgroup_size: 64
    .name:           _ZN7rocprim17ROCPRIM_400000_NS6detail17trampoline_kernelINS0_14default_configENS1_20scan_config_selectorItEEZZNS1_9scan_implILNS1_25lookback_scan_determinismE0ELb1ELb1ES3_N6thrust23THRUST_200600_302600_NS6detail15normal_iteratorINS9_10device_ptrItEEEESE_tNS9_4plusIvEEtEEDaPvRmT3_T4_T5_mT6_P12ihipStream_tbENKUlT_T0_E_clISt17integral_constantIbLb1EEST_IbLb0EEEEDaSP_SQ_EUlSP_E0_NS1_11comp_targetILNS1_3genE9ELNS1_11target_archE1100ELNS1_3gpuE3ELNS1_3repE0EEENS1_30default_config_static_selectorELNS0_4arch9wavefront6targetE1EEEvT1_
    .private_segment_fixed_size: 0
    .sgpr_count:     4
    .sgpr_spill_count: 0
    .symbol:         _ZN7rocprim17ROCPRIM_400000_NS6detail17trampoline_kernelINS0_14default_configENS1_20scan_config_selectorItEEZZNS1_9scan_implILNS1_25lookback_scan_determinismE0ELb1ELb1ES3_N6thrust23THRUST_200600_302600_NS6detail15normal_iteratorINS9_10device_ptrItEEEESE_tNS9_4plusIvEEtEEDaPvRmT3_T4_T5_mT6_P12ihipStream_tbENKUlT_T0_E_clISt17integral_constantIbLb1EEST_IbLb0EEEEDaSP_SQ_EUlSP_E0_NS1_11comp_targetILNS1_3genE9ELNS1_11target_archE1100ELNS1_3gpuE3ELNS1_3repE0EEENS1_30default_config_static_selectorELNS0_4arch9wavefront6targetE1EEEvT1_.kd
    .uniform_work_group_size: 1
    .uses_dynamic_stack: false
    .vgpr_count:     0
    .vgpr_spill_count: 0
    .wavefront_size: 64
  - .agpr_count:     0
    .args:
      - .offset:         0
        .size:           32
        .value_kind:     by_value
    .group_segment_fixed_size: 0
    .kernarg_segment_align: 8
    .kernarg_segment_size: 32
    .language:       OpenCL C
    .language_version:
      - 2
      - 0
    .max_flat_workgroup_size: 64
    .name:           _ZN7rocprim17ROCPRIM_400000_NS6detail17trampoline_kernelINS0_14default_configENS1_20scan_config_selectorItEEZZNS1_9scan_implILNS1_25lookback_scan_determinismE0ELb1ELb1ES3_N6thrust23THRUST_200600_302600_NS6detail15normal_iteratorINS9_10device_ptrItEEEESE_tNS9_4plusIvEEtEEDaPvRmT3_T4_T5_mT6_P12ihipStream_tbENKUlT_T0_E_clISt17integral_constantIbLb1EEST_IbLb0EEEEDaSP_SQ_EUlSP_E0_NS1_11comp_targetILNS1_3genE8ELNS1_11target_archE1030ELNS1_3gpuE2ELNS1_3repE0EEENS1_30default_config_static_selectorELNS0_4arch9wavefront6targetE1EEEvT1_
    .private_segment_fixed_size: 0
    .sgpr_count:     4
    .sgpr_spill_count: 0
    .symbol:         _ZN7rocprim17ROCPRIM_400000_NS6detail17trampoline_kernelINS0_14default_configENS1_20scan_config_selectorItEEZZNS1_9scan_implILNS1_25lookback_scan_determinismE0ELb1ELb1ES3_N6thrust23THRUST_200600_302600_NS6detail15normal_iteratorINS9_10device_ptrItEEEESE_tNS9_4plusIvEEtEEDaPvRmT3_T4_T5_mT6_P12ihipStream_tbENKUlT_T0_E_clISt17integral_constantIbLb1EEST_IbLb0EEEEDaSP_SQ_EUlSP_E0_NS1_11comp_targetILNS1_3genE8ELNS1_11target_archE1030ELNS1_3gpuE2ELNS1_3repE0EEENS1_30default_config_static_selectorELNS0_4arch9wavefront6targetE1EEEvT1_.kd
    .uniform_work_group_size: 1
    .uses_dynamic_stack: false
    .vgpr_count:     0
    .vgpr_spill_count: 0
    .wavefront_size: 64
  - .agpr_count:     0
    .args:
      - .offset:         0
        .size:           96
        .value_kind:     by_value
    .group_segment_fixed_size: 0
    .kernarg_segment_align: 8
    .kernarg_segment_size: 96
    .language:       OpenCL C
    .language_version:
      - 2
      - 0
    .max_flat_workgroup_size: 128
    .name:           _ZN7rocprim17ROCPRIM_400000_NS6detail17trampoline_kernelINS0_14default_configENS1_20scan_config_selectorItEEZZNS1_9scan_implILNS1_25lookback_scan_determinismE0ELb1ELb1ES3_N6thrust23THRUST_200600_302600_NS6detail15normal_iteratorINS9_10device_ptrItEEEESE_tNS9_4plusIvEEtEEDaPvRmT3_T4_T5_mT6_P12ihipStream_tbENKUlT_T0_E_clISt17integral_constantIbLb0EEST_IbLb1EEEEDaSP_SQ_EUlSP_E_NS1_11comp_targetILNS1_3genE0ELNS1_11target_archE4294967295ELNS1_3gpuE0ELNS1_3repE0EEENS1_30default_config_static_selectorELNS0_4arch9wavefront6targetE1EEEvT1_
    .private_segment_fixed_size: 0
    .sgpr_count:     4
    .sgpr_spill_count: 0
    .symbol:         _ZN7rocprim17ROCPRIM_400000_NS6detail17trampoline_kernelINS0_14default_configENS1_20scan_config_selectorItEEZZNS1_9scan_implILNS1_25lookback_scan_determinismE0ELb1ELb1ES3_N6thrust23THRUST_200600_302600_NS6detail15normal_iteratorINS9_10device_ptrItEEEESE_tNS9_4plusIvEEtEEDaPvRmT3_T4_T5_mT6_P12ihipStream_tbENKUlT_T0_E_clISt17integral_constantIbLb0EEST_IbLb1EEEEDaSP_SQ_EUlSP_E_NS1_11comp_targetILNS1_3genE0ELNS1_11target_archE4294967295ELNS1_3gpuE0ELNS1_3repE0EEENS1_30default_config_static_selectorELNS0_4arch9wavefront6targetE1EEEvT1_.kd
    .uniform_work_group_size: 1
    .uses_dynamic_stack: false
    .vgpr_count:     0
    .vgpr_spill_count: 0
    .wavefront_size: 64
  - .agpr_count:     0
    .args:
      - .offset:         0
        .size:           96
        .value_kind:     by_value
    .group_segment_fixed_size: 0
    .kernarg_segment_align: 8
    .kernarg_segment_size: 96
    .language:       OpenCL C
    .language_version:
      - 2
      - 0
    .max_flat_workgroup_size: 256
    .name:           _ZN7rocprim17ROCPRIM_400000_NS6detail17trampoline_kernelINS0_14default_configENS1_20scan_config_selectorItEEZZNS1_9scan_implILNS1_25lookback_scan_determinismE0ELb1ELb1ES3_N6thrust23THRUST_200600_302600_NS6detail15normal_iteratorINS9_10device_ptrItEEEESE_tNS9_4plusIvEEtEEDaPvRmT3_T4_T5_mT6_P12ihipStream_tbENKUlT_T0_E_clISt17integral_constantIbLb0EEST_IbLb1EEEEDaSP_SQ_EUlSP_E_NS1_11comp_targetILNS1_3genE5ELNS1_11target_archE942ELNS1_3gpuE9ELNS1_3repE0EEENS1_30default_config_static_selectorELNS0_4arch9wavefront6targetE1EEEvT1_
    .private_segment_fixed_size: 0
    .sgpr_count:     4
    .sgpr_spill_count: 0
    .symbol:         _ZN7rocprim17ROCPRIM_400000_NS6detail17trampoline_kernelINS0_14default_configENS1_20scan_config_selectorItEEZZNS1_9scan_implILNS1_25lookback_scan_determinismE0ELb1ELb1ES3_N6thrust23THRUST_200600_302600_NS6detail15normal_iteratorINS9_10device_ptrItEEEESE_tNS9_4plusIvEEtEEDaPvRmT3_T4_T5_mT6_P12ihipStream_tbENKUlT_T0_E_clISt17integral_constantIbLb0EEST_IbLb1EEEEDaSP_SQ_EUlSP_E_NS1_11comp_targetILNS1_3genE5ELNS1_11target_archE942ELNS1_3gpuE9ELNS1_3repE0EEENS1_30default_config_static_selectorELNS0_4arch9wavefront6targetE1EEEvT1_.kd
    .uniform_work_group_size: 1
    .uses_dynamic_stack: false
    .vgpr_count:     0
    .vgpr_spill_count: 0
    .wavefront_size: 64
  - .agpr_count:     0
    .args:
      - .offset:         0
        .size:           96
        .value_kind:     by_value
    .group_segment_fixed_size: 3072
    .kernarg_segment_align: 8
    .kernarg_segment_size: 96
    .language:       OpenCL C
    .language_version:
      - 2
      - 0
    .max_flat_workgroup_size: 64
    .name:           _ZN7rocprim17ROCPRIM_400000_NS6detail17trampoline_kernelINS0_14default_configENS1_20scan_config_selectorItEEZZNS1_9scan_implILNS1_25lookback_scan_determinismE0ELb1ELb1ES3_N6thrust23THRUST_200600_302600_NS6detail15normal_iteratorINS9_10device_ptrItEEEESE_tNS9_4plusIvEEtEEDaPvRmT3_T4_T5_mT6_P12ihipStream_tbENKUlT_T0_E_clISt17integral_constantIbLb0EEST_IbLb1EEEEDaSP_SQ_EUlSP_E_NS1_11comp_targetILNS1_3genE4ELNS1_11target_archE910ELNS1_3gpuE8ELNS1_3repE0EEENS1_30default_config_static_selectorELNS0_4arch9wavefront6targetE1EEEvT1_
    .private_segment_fixed_size: 0
    .sgpr_count:     42
    .sgpr_spill_count: 0
    .symbol:         _ZN7rocprim17ROCPRIM_400000_NS6detail17trampoline_kernelINS0_14default_configENS1_20scan_config_selectorItEEZZNS1_9scan_implILNS1_25lookback_scan_determinismE0ELb1ELb1ES3_N6thrust23THRUST_200600_302600_NS6detail15normal_iteratorINS9_10device_ptrItEEEESE_tNS9_4plusIvEEtEEDaPvRmT3_T4_T5_mT6_P12ihipStream_tbENKUlT_T0_E_clISt17integral_constantIbLb0EEST_IbLb1EEEEDaSP_SQ_EUlSP_E_NS1_11comp_targetILNS1_3genE4ELNS1_11target_archE910ELNS1_3gpuE8ELNS1_3repE0EEENS1_30default_config_static_selectorELNS0_4arch9wavefront6targetE1EEEvT1_.kd
    .uniform_work_group_size: 1
    .uses_dynamic_stack: false
    .vgpr_count:     54
    .vgpr_spill_count: 0
    .wavefront_size: 64
  - .agpr_count:     0
    .args:
      - .offset:         0
        .size:           96
        .value_kind:     by_value
    .group_segment_fixed_size: 0
    .kernarg_segment_align: 8
    .kernarg_segment_size: 96
    .language:       OpenCL C
    .language_version:
      - 2
      - 0
    .max_flat_workgroup_size: 128
    .name:           _ZN7rocprim17ROCPRIM_400000_NS6detail17trampoline_kernelINS0_14default_configENS1_20scan_config_selectorItEEZZNS1_9scan_implILNS1_25lookback_scan_determinismE0ELb1ELb1ES3_N6thrust23THRUST_200600_302600_NS6detail15normal_iteratorINS9_10device_ptrItEEEESE_tNS9_4plusIvEEtEEDaPvRmT3_T4_T5_mT6_P12ihipStream_tbENKUlT_T0_E_clISt17integral_constantIbLb0EEST_IbLb1EEEEDaSP_SQ_EUlSP_E_NS1_11comp_targetILNS1_3genE3ELNS1_11target_archE908ELNS1_3gpuE7ELNS1_3repE0EEENS1_30default_config_static_selectorELNS0_4arch9wavefront6targetE1EEEvT1_
    .private_segment_fixed_size: 0
    .sgpr_count:     4
    .sgpr_spill_count: 0
    .symbol:         _ZN7rocprim17ROCPRIM_400000_NS6detail17trampoline_kernelINS0_14default_configENS1_20scan_config_selectorItEEZZNS1_9scan_implILNS1_25lookback_scan_determinismE0ELb1ELb1ES3_N6thrust23THRUST_200600_302600_NS6detail15normal_iteratorINS9_10device_ptrItEEEESE_tNS9_4plusIvEEtEEDaPvRmT3_T4_T5_mT6_P12ihipStream_tbENKUlT_T0_E_clISt17integral_constantIbLb0EEST_IbLb1EEEEDaSP_SQ_EUlSP_E_NS1_11comp_targetILNS1_3genE3ELNS1_11target_archE908ELNS1_3gpuE7ELNS1_3repE0EEENS1_30default_config_static_selectorELNS0_4arch9wavefront6targetE1EEEvT1_.kd
    .uniform_work_group_size: 1
    .uses_dynamic_stack: false
    .vgpr_count:     0
    .vgpr_spill_count: 0
    .wavefront_size: 64
  - .agpr_count:     0
    .args:
      - .offset:         0
        .size:           96
        .value_kind:     by_value
    .group_segment_fixed_size: 0
    .kernarg_segment_align: 8
    .kernarg_segment_size: 96
    .language:       OpenCL C
    .language_version:
      - 2
      - 0
    .max_flat_workgroup_size: 256
    .name:           _ZN7rocprim17ROCPRIM_400000_NS6detail17trampoline_kernelINS0_14default_configENS1_20scan_config_selectorItEEZZNS1_9scan_implILNS1_25lookback_scan_determinismE0ELb1ELb1ES3_N6thrust23THRUST_200600_302600_NS6detail15normal_iteratorINS9_10device_ptrItEEEESE_tNS9_4plusIvEEtEEDaPvRmT3_T4_T5_mT6_P12ihipStream_tbENKUlT_T0_E_clISt17integral_constantIbLb0EEST_IbLb1EEEEDaSP_SQ_EUlSP_E_NS1_11comp_targetILNS1_3genE2ELNS1_11target_archE906ELNS1_3gpuE6ELNS1_3repE0EEENS1_30default_config_static_selectorELNS0_4arch9wavefront6targetE1EEEvT1_
    .private_segment_fixed_size: 0
    .sgpr_count:     4
    .sgpr_spill_count: 0
    .symbol:         _ZN7rocprim17ROCPRIM_400000_NS6detail17trampoline_kernelINS0_14default_configENS1_20scan_config_selectorItEEZZNS1_9scan_implILNS1_25lookback_scan_determinismE0ELb1ELb1ES3_N6thrust23THRUST_200600_302600_NS6detail15normal_iteratorINS9_10device_ptrItEEEESE_tNS9_4plusIvEEtEEDaPvRmT3_T4_T5_mT6_P12ihipStream_tbENKUlT_T0_E_clISt17integral_constantIbLb0EEST_IbLb1EEEEDaSP_SQ_EUlSP_E_NS1_11comp_targetILNS1_3genE2ELNS1_11target_archE906ELNS1_3gpuE6ELNS1_3repE0EEENS1_30default_config_static_selectorELNS0_4arch9wavefront6targetE1EEEvT1_.kd
    .uniform_work_group_size: 1
    .uses_dynamic_stack: false
    .vgpr_count:     0
    .vgpr_spill_count: 0
    .wavefront_size: 64
  - .agpr_count:     0
    .args:
      - .offset:         0
        .size:           96
        .value_kind:     by_value
    .group_segment_fixed_size: 0
    .kernarg_segment_align: 8
    .kernarg_segment_size: 96
    .language:       OpenCL C
    .language_version:
      - 2
      - 0
    .max_flat_workgroup_size: 256
    .name:           _ZN7rocprim17ROCPRIM_400000_NS6detail17trampoline_kernelINS0_14default_configENS1_20scan_config_selectorItEEZZNS1_9scan_implILNS1_25lookback_scan_determinismE0ELb1ELb1ES3_N6thrust23THRUST_200600_302600_NS6detail15normal_iteratorINS9_10device_ptrItEEEESE_tNS9_4plusIvEEtEEDaPvRmT3_T4_T5_mT6_P12ihipStream_tbENKUlT_T0_E_clISt17integral_constantIbLb0EEST_IbLb1EEEEDaSP_SQ_EUlSP_E_NS1_11comp_targetILNS1_3genE10ELNS1_11target_archE1201ELNS1_3gpuE5ELNS1_3repE0EEENS1_30default_config_static_selectorELNS0_4arch9wavefront6targetE1EEEvT1_
    .private_segment_fixed_size: 0
    .sgpr_count:     4
    .sgpr_spill_count: 0
    .symbol:         _ZN7rocprim17ROCPRIM_400000_NS6detail17trampoline_kernelINS0_14default_configENS1_20scan_config_selectorItEEZZNS1_9scan_implILNS1_25lookback_scan_determinismE0ELb1ELb1ES3_N6thrust23THRUST_200600_302600_NS6detail15normal_iteratorINS9_10device_ptrItEEEESE_tNS9_4plusIvEEtEEDaPvRmT3_T4_T5_mT6_P12ihipStream_tbENKUlT_T0_E_clISt17integral_constantIbLb0EEST_IbLb1EEEEDaSP_SQ_EUlSP_E_NS1_11comp_targetILNS1_3genE10ELNS1_11target_archE1201ELNS1_3gpuE5ELNS1_3repE0EEENS1_30default_config_static_selectorELNS0_4arch9wavefront6targetE1EEEvT1_.kd
    .uniform_work_group_size: 1
    .uses_dynamic_stack: false
    .vgpr_count:     0
    .vgpr_spill_count: 0
    .wavefront_size: 64
  - .agpr_count:     0
    .args:
      - .offset:         0
        .size:           96
        .value_kind:     by_value
    .group_segment_fixed_size: 0
    .kernarg_segment_align: 8
    .kernarg_segment_size: 96
    .language:       OpenCL C
    .language_version:
      - 2
      - 0
    .max_flat_workgroup_size: 256
    .name:           _ZN7rocprim17ROCPRIM_400000_NS6detail17trampoline_kernelINS0_14default_configENS1_20scan_config_selectorItEEZZNS1_9scan_implILNS1_25lookback_scan_determinismE0ELb1ELb1ES3_N6thrust23THRUST_200600_302600_NS6detail15normal_iteratorINS9_10device_ptrItEEEESE_tNS9_4plusIvEEtEEDaPvRmT3_T4_T5_mT6_P12ihipStream_tbENKUlT_T0_E_clISt17integral_constantIbLb0EEST_IbLb1EEEEDaSP_SQ_EUlSP_E_NS1_11comp_targetILNS1_3genE10ELNS1_11target_archE1200ELNS1_3gpuE4ELNS1_3repE0EEENS1_30default_config_static_selectorELNS0_4arch9wavefront6targetE1EEEvT1_
    .private_segment_fixed_size: 0
    .sgpr_count:     4
    .sgpr_spill_count: 0
    .symbol:         _ZN7rocprim17ROCPRIM_400000_NS6detail17trampoline_kernelINS0_14default_configENS1_20scan_config_selectorItEEZZNS1_9scan_implILNS1_25lookback_scan_determinismE0ELb1ELb1ES3_N6thrust23THRUST_200600_302600_NS6detail15normal_iteratorINS9_10device_ptrItEEEESE_tNS9_4plusIvEEtEEDaPvRmT3_T4_T5_mT6_P12ihipStream_tbENKUlT_T0_E_clISt17integral_constantIbLb0EEST_IbLb1EEEEDaSP_SQ_EUlSP_E_NS1_11comp_targetILNS1_3genE10ELNS1_11target_archE1200ELNS1_3gpuE4ELNS1_3repE0EEENS1_30default_config_static_selectorELNS0_4arch9wavefront6targetE1EEEvT1_.kd
    .uniform_work_group_size: 1
    .uses_dynamic_stack: false
    .vgpr_count:     0
    .vgpr_spill_count: 0
    .wavefront_size: 64
  - .agpr_count:     0
    .args:
      - .offset:         0
        .size:           96
        .value_kind:     by_value
    .group_segment_fixed_size: 0
    .kernarg_segment_align: 8
    .kernarg_segment_size: 96
    .language:       OpenCL C
    .language_version:
      - 2
      - 0
    .max_flat_workgroup_size: 64
    .name:           _ZN7rocprim17ROCPRIM_400000_NS6detail17trampoline_kernelINS0_14default_configENS1_20scan_config_selectorItEEZZNS1_9scan_implILNS1_25lookback_scan_determinismE0ELb1ELb1ES3_N6thrust23THRUST_200600_302600_NS6detail15normal_iteratorINS9_10device_ptrItEEEESE_tNS9_4plusIvEEtEEDaPvRmT3_T4_T5_mT6_P12ihipStream_tbENKUlT_T0_E_clISt17integral_constantIbLb0EEST_IbLb1EEEEDaSP_SQ_EUlSP_E_NS1_11comp_targetILNS1_3genE9ELNS1_11target_archE1100ELNS1_3gpuE3ELNS1_3repE0EEENS1_30default_config_static_selectorELNS0_4arch9wavefront6targetE1EEEvT1_
    .private_segment_fixed_size: 0
    .sgpr_count:     4
    .sgpr_spill_count: 0
    .symbol:         _ZN7rocprim17ROCPRIM_400000_NS6detail17trampoline_kernelINS0_14default_configENS1_20scan_config_selectorItEEZZNS1_9scan_implILNS1_25lookback_scan_determinismE0ELb1ELb1ES3_N6thrust23THRUST_200600_302600_NS6detail15normal_iteratorINS9_10device_ptrItEEEESE_tNS9_4plusIvEEtEEDaPvRmT3_T4_T5_mT6_P12ihipStream_tbENKUlT_T0_E_clISt17integral_constantIbLb0EEST_IbLb1EEEEDaSP_SQ_EUlSP_E_NS1_11comp_targetILNS1_3genE9ELNS1_11target_archE1100ELNS1_3gpuE3ELNS1_3repE0EEENS1_30default_config_static_selectorELNS0_4arch9wavefront6targetE1EEEvT1_.kd
    .uniform_work_group_size: 1
    .uses_dynamic_stack: false
    .vgpr_count:     0
    .vgpr_spill_count: 0
    .wavefront_size: 64
  - .agpr_count:     0
    .args:
      - .offset:         0
        .size:           96
        .value_kind:     by_value
    .group_segment_fixed_size: 0
    .kernarg_segment_align: 8
    .kernarg_segment_size: 96
    .language:       OpenCL C
    .language_version:
      - 2
      - 0
    .max_flat_workgroup_size: 64
    .name:           _ZN7rocprim17ROCPRIM_400000_NS6detail17trampoline_kernelINS0_14default_configENS1_20scan_config_selectorItEEZZNS1_9scan_implILNS1_25lookback_scan_determinismE0ELb1ELb1ES3_N6thrust23THRUST_200600_302600_NS6detail15normal_iteratorINS9_10device_ptrItEEEESE_tNS9_4plusIvEEtEEDaPvRmT3_T4_T5_mT6_P12ihipStream_tbENKUlT_T0_E_clISt17integral_constantIbLb0EEST_IbLb1EEEEDaSP_SQ_EUlSP_E_NS1_11comp_targetILNS1_3genE8ELNS1_11target_archE1030ELNS1_3gpuE2ELNS1_3repE0EEENS1_30default_config_static_selectorELNS0_4arch9wavefront6targetE1EEEvT1_
    .private_segment_fixed_size: 0
    .sgpr_count:     4
    .sgpr_spill_count: 0
    .symbol:         _ZN7rocprim17ROCPRIM_400000_NS6detail17trampoline_kernelINS0_14default_configENS1_20scan_config_selectorItEEZZNS1_9scan_implILNS1_25lookback_scan_determinismE0ELb1ELb1ES3_N6thrust23THRUST_200600_302600_NS6detail15normal_iteratorINS9_10device_ptrItEEEESE_tNS9_4plusIvEEtEEDaPvRmT3_T4_T5_mT6_P12ihipStream_tbENKUlT_T0_E_clISt17integral_constantIbLb0EEST_IbLb1EEEEDaSP_SQ_EUlSP_E_NS1_11comp_targetILNS1_3genE8ELNS1_11target_archE1030ELNS1_3gpuE2ELNS1_3repE0EEENS1_30default_config_static_selectorELNS0_4arch9wavefront6targetE1EEEvT1_.kd
    .uniform_work_group_size: 1
    .uses_dynamic_stack: false
    .vgpr_count:     0
    .vgpr_spill_count: 0
    .wavefront_size: 64
  - .agpr_count:     0
    .args:
      - .offset:         0
        .size:           32
        .value_kind:     by_value
    .group_segment_fixed_size: 0
    .kernarg_segment_align: 8
    .kernarg_segment_size: 32
    .language:       OpenCL C
    .language_version:
      - 2
      - 0
    .max_flat_workgroup_size: 128
    .name:           _ZN7rocprim17ROCPRIM_400000_NS6detail17trampoline_kernelINS0_14default_configENS1_20scan_config_selectorItEEZZNS1_9scan_implILNS1_25lookback_scan_determinismE0ELb1ELb1ES3_N6thrust23THRUST_200600_302600_NS6detail15normal_iteratorINS9_10device_ptrItEEEESE_tNS9_4plusIvEEtEEDaPvRmT3_T4_T5_mT6_P12ihipStream_tbENKUlT_T0_E_clISt17integral_constantIbLb0EEST_IbLb1EEEEDaSP_SQ_EUlSP_E0_NS1_11comp_targetILNS1_3genE0ELNS1_11target_archE4294967295ELNS1_3gpuE0ELNS1_3repE0EEENS1_30default_config_static_selectorELNS0_4arch9wavefront6targetE1EEEvT1_
    .private_segment_fixed_size: 0
    .sgpr_count:     4
    .sgpr_spill_count: 0
    .symbol:         _ZN7rocprim17ROCPRIM_400000_NS6detail17trampoline_kernelINS0_14default_configENS1_20scan_config_selectorItEEZZNS1_9scan_implILNS1_25lookback_scan_determinismE0ELb1ELb1ES3_N6thrust23THRUST_200600_302600_NS6detail15normal_iteratorINS9_10device_ptrItEEEESE_tNS9_4plusIvEEtEEDaPvRmT3_T4_T5_mT6_P12ihipStream_tbENKUlT_T0_E_clISt17integral_constantIbLb0EEST_IbLb1EEEEDaSP_SQ_EUlSP_E0_NS1_11comp_targetILNS1_3genE0ELNS1_11target_archE4294967295ELNS1_3gpuE0ELNS1_3repE0EEENS1_30default_config_static_selectorELNS0_4arch9wavefront6targetE1EEEvT1_.kd
    .uniform_work_group_size: 1
    .uses_dynamic_stack: false
    .vgpr_count:     0
    .vgpr_spill_count: 0
    .wavefront_size: 64
  - .agpr_count:     0
    .args:
      - .offset:         0
        .size:           32
        .value_kind:     by_value
    .group_segment_fixed_size: 0
    .kernarg_segment_align: 8
    .kernarg_segment_size: 32
    .language:       OpenCL C
    .language_version:
      - 2
      - 0
    .max_flat_workgroup_size: 256
    .name:           _ZN7rocprim17ROCPRIM_400000_NS6detail17trampoline_kernelINS0_14default_configENS1_20scan_config_selectorItEEZZNS1_9scan_implILNS1_25lookback_scan_determinismE0ELb1ELb1ES3_N6thrust23THRUST_200600_302600_NS6detail15normal_iteratorINS9_10device_ptrItEEEESE_tNS9_4plusIvEEtEEDaPvRmT3_T4_T5_mT6_P12ihipStream_tbENKUlT_T0_E_clISt17integral_constantIbLb0EEST_IbLb1EEEEDaSP_SQ_EUlSP_E0_NS1_11comp_targetILNS1_3genE5ELNS1_11target_archE942ELNS1_3gpuE9ELNS1_3repE0EEENS1_30default_config_static_selectorELNS0_4arch9wavefront6targetE1EEEvT1_
    .private_segment_fixed_size: 0
    .sgpr_count:     4
    .sgpr_spill_count: 0
    .symbol:         _ZN7rocprim17ROCPRIM_400000_NS6detail17trampoline_kernelINS0_14default_configENS1_20scan_config_selectorItEEZZNS1_9scan_implILNS1_25lookback_scan_determinismE0ELb1ELb1ES3_N6thrust23THRUST_200600_302600_NS6detail15normal_iteratorINS9_10device_ptrItEEEESE_tNS9_4plusIvEEtEEDaPvRmT3_T4_T5_mT6_P12ihipStream_tbENKUlT_T0_E_clISt17integral_constantIbLb0EEST_IbLb1EEEEDaSP_SQ_EUlSP_E0_NS1_11comp_targetILNS1_3genE5ELNS1_11target_archE942ELNS1_3gpuE9ELNS1_3repE0EEENS1_30default_config_static_selectorELNS0_4arch9wavefront6targetE1EEEvT1_.kd
    .uniform_work_group_size: 1
    .uses_dynamic_stack: false
    .vgpr_count:     0
    .vgpr_spill_count: 0
    .wavefront_size: 64
  - .agpr_count:     0
    .args:
      - .offset:         0
        .size:           32
        .value_kind:     by_value
    .group_segment_fixed_size: 3072
    .kernarg_segment_align: 8
    .kernarg_segment_size: 32
    .language:       OpenCL C
    .language_version:
      - 2
      - 0
    .max_flat_workgroup_size: 64
    .name:           _ZN7rocprim17ROCPRIM_400000_NS6detail17trampoline_kernelINS0_14default_configENS1_20scan_config_selectorItEEZZNS1_9scan_implILNS1_25lookback_scan_determinismE0ELb1ELb1ES3_N6thrust23THRUST_200600_302600_NS6detail15normal_iteratorINS9_10device_ptrItEEEESE_tNS9_4plusIvEEtEEDaPvRmT3_T4_T5_mT6_P12ihipStream_tbENKUlT_T0_E_clISt17integral_constantIbLb0EEST_IbLb1EEEEDaSP_SQ_EUlSP_E0_NS1_11comp_targetILNS1_3genE4ELNS1_11target_archE910ELNS1_3gpuE8ELNS1_3repE0EEENS1_30default_config_static_selectorELNS0_4arch9wavefront6targetE1EEEvT1_
    .private_segment_fixed_size: 0
    .sgpr_count:     60
    .sgpr_spill_count: 0
    .symbol:         _ZN7rocprim17ROCPRIM_400000_NS6detail17trampoline_kernelINS0_14default_configENS1_20scan_config_selectorItEEZZNS1_9scan_implILNS1_25lookback_scan_determinismE0ELb1ELb1ES3_N6thrust23THRUST_200600_302600_NS6detail15normal_iteratorINS9_10device_ptrItEEEESE_tNS9_4plusIvEEtEEDaPvRmT3_T4_T5_mT6_P12ihipStream_tbENKUlT_T0_E_clISt17integral_constantIbLb0EEST_IbLb1EEEEDaSP_SQ_EUlSP_E0_NS1_11comp_targetILNS1_3genE4ELNS1_11target_archE910ELNS1_3gpuE8ELNS1_3repE0EEENS1_30default_config_static_selectorELNS0_4arch9wavefront6targetE1EEEvT1_.kd
    .uniform_work_group_size: 1
    .uses_dynamic_stack: false
    .vgpr_count:     32
    .vgpr_spill_count: 0
    .wavefront_size: 64
  - .agpr_count:     0
    .args:
      - .offset:         0
        .size:           32
        .value_kind:     by_value
    .group_segment_fixed_size: 0
    .kernarg_segment_align: 8
    .kernarg_segment_size: 32
    .language:       OpenCL C
    .language_version:
      - 2
      - 0
    .max_flat_workgroup_size: 128
    .name:           _ZN7rocprim17ROCPRIM_400000_NS6detail17trampoline_kernelINS0_14default_configENS1_20scan_config_selectorItEEZZNS1_9scan_implILNS1_25lookback_scan_determinismE0ELb1ELb1ES3_N6thrust23THRUST_200600_302600_NS6detail15normal_iteratorINS9_10device_ptrItEEEESE_tNS9_4plusIvEEtEEDaPvRmT3_T4_T5_mT6_P12ihipStream_tbENKUlT_T0_E_clISt17integral_constantIbLb0EEST_IbLb1EEEEDaSP_SQ_EUlSP_E0_NS1_11comp_targetILNS1_3genE3ELNS1_11target_archE908ELNS1_3gpuE7ELNS1_3repE0EEENS1_30default_config_static_selectorELNS0_4arch9wavefront6targetE1EEEvT1_
    .private_segment_fixed_size: 0
    .sgpr_count:     4
    .sgpr_spill_count: 0
    .symbol:         _ZN7rocprim17ROCPRIM_400000_NS6detail17trampoline_kernelINS0_14default_configENS1_20scan_config_selectorItEEZZNS1_9scan_implILNS1_25lookback_scan_determinismE0ELb1ELb1ES3_N6thrust23THRUST_200600_302600_NS6detail15normal_iteratorINS9_10device_ptrItEEEESE_tNS9_4plusIvEEtEEDaPvRmT3_T4_T5_mT6_P12ihipStream_tbENKUlT_T0_E_clISt17integral_constantIbLb0EEST_IbLb1EEEEDaSP_SQ_EUlSP_E0_NS1_11comp_targetILNS1_3genE3ELNS1_11target_archE908ELNS1_3gpuE7ELNS1_3repE0EEENS1_30default_config_static_selectorELNS0_4arch9wavefront6targetE1EEEvT1_.kd
    .uniform_work_group_size: 1
    .uses_dynamic_stack: false
    .vgpr_count:     0
    .vgpr_spill_count: 0
    .wavefront_size: 64
  - .agpr_count:     0
    .args:
      - .offset:         0
        .size:           32
        .value_kind:     by_value
    .group_segment_fixed_size: 0
    .kernarg_segment_align: 8
    .kernarg_segment_size: 32
    .language:       OpenCL C
    .language_version:
      - 2
      - 0
    .max_flat_workgroup_size: 256
    .name:           _ZN7rocprim17ROCPRIM_400000_NS6detail17trampoline_kernelINS0_14default_configENS1_20scan_config_selectorItEEZZNS1_9scan_implILNS1_25lookback_scan_determinismE0ELb1ELb1ES3_N6thrust23THRUST_200600_302600_NS6detail15normal_iteratorINS9_10device_ptrItEEEESE_tNS9_4plusIvEEtEEDaPvRmT3_T4_T5_mT6_P12ihipStream_tbENKUlT_T0_E_clISt17integral_constantIbLb0EEST_IbLb1EEEEDaSP_SQ_EUlSP_E0_NS1_11comp_targetILNS1_3genE2ELNS1_11target_archE906ELNS1_3gpuE6ELNS1_3repE0EEENS1_30default_config_static_selectorELNS0_4arch9wavefront6targetE1EEEvT1_
    .private_segment_fixed_size: 0
    .sgpr_count:     4
    .sgpr_spill_count: 0
    .symbol:         _ZN7rocprim17ROCPRIM_400000_NS6detail17trampoline_kernelINS0_14default_configENS1_20scan_config_selectorItEEZZNS1_9scan_implILNS1_25lookback_scan_determinismE0ELb1ELb1ES3_N6thrust23THRUST_200600_302600_NS6detail15normal_iteratorINS9_10device_ptrItEEEESE_tNS9_4plusIvEEtEEDaPvRmT3_T4_T5_mT6_P12ihipStream_tbENKUlT_T0_E_clISt17integral_constantIbLb0EEST_IbLb1EEEEDaSP_SQ_EUlSP_E0_NS1_11comp_targetILNS1_3genE2ELNS1_11target_archE906ELNS1_3gpuE6ELNS1_3repE0EEENS1_30default_config_static_selectorELNS0_4arch9wavefront6targetE1EEEvT1_.kd
    .uniform_work_group_size: 1
    .uses_dynamic_stack: false
    .vgpr_count:     0
    .vgpr_spill_count: 0
    .wavefront_size: 64
  - .agpr_count:     0
    .args:
      - .offset:         0
        .size:           32
        .value_kind:     by_value
    .group_segment_fixed_size: 0
    .kernarg_segment_align: 8
    .kernarg_segment_size: 32
    .language:       OpenCL C
    .language_version:
      - 2
      - 0
    .max_flat_workgroup_size: 256
    .name:           _ZN7rocprim17ROCPRIM_400000_NS6detail17trampoline_kernelINS0_14default_configENS1_20scan_config_selectorItEEZZNS1_9scan_implILNS1_25lookback_scan_determinismE0ELb1ELb1ES3_N6thrust23THRUST_200600_302600_NS6detail15normal_iteratorINS9_10device_ptrItEEEESE_tNS9_4plusIvEEtEEDaPvRmT3_T4_T5_mT6_P12ihipStream_tbENKUlT_T0_E_clISt17integral_constantIbLb0EEST_IbLb1EEEEDaSP_SQ_EUlSP_E0_NS1_11comp_targetILNS1_3genE10ELNS1_11target_archE1201ELNS1_3gpuE5ELNS1_3repE0EEENS1_30default_config_static_selectorELNS0_4arch9wavefront6targetE1EEEvT1_
    .private_segment_fixed_size: 0
    .sgpr_count:     4
    .sgpr_spill_count: 0
    .symbol:         _ZN7rocprim17ROCPRIM_400000_NS6detail17trampoline_kernelINS0_14default_configENS1_20scan_config_selectorItEEZZNS1_9scan_implILNS1_25lookback_scan_determinismE0ELb1ELb1ES3_N6thrust23THRUST_200600_302600_NS6detail15normal_iteratorINS9_10device_ptrItEEEESE_tNS9_4plusIvEEtEEDaPvRmT3_T4_T5_mT6_P12ihipStream_tbENKUlT_T0_E_clISt17integral_constantIbLb0EEST_IbLb1EEEEDaSP_SQ_EUlSP_E0_NS1_11comp_targetILNS1_3genE10ELNS1_11target_archE1201ELNS1_3gpuE5ELNS1_3repE0EEENS1_30default_config_static_selectorELNS0_4arch9wavefront6targetE1EEEvT1_.kd
    .uniform_work_group_size: 1
    .uses_dynamic_stack: false
    .vgpr_count:     0
    .vgpr_spill_count: 0
    .wavefront_size: 64
  - .agpr_count:     0
    .args:
      - .offset:         0
        .size:           32
        .value_kind:     by_value
    .group_segment_fixed_size: 0
    .kernarg_segment_align: 8
    .kernarg_segment_size: 32
    .language:       OpenCL C
    .language_version:
      - 2
      - 0
    .max_flat_workgroup_size: 256
    .name:           _ZN7rocprim17ROCPRIM_400000_NS6detail17trampoline_kernelINS0_14default_configENS1_20scan_config_selectorItEEZZNS1_9scan_implILNS1_25lookback_scan_determinismE0ELb1ELb1ES3_N6thrust23THRUST_200600_302600_NS6detail15normal_iteratorINS9_10device_ptrItEEEESE_tNS9_4plusIvEEtEEDaPvRmT3_T4_T5_mT6_P12ihipStream_tbENKUlT_T0_E_clISt17integral_constantIbLb0EEST_IbLb1EEEEDaSP_SQ_EUlSP_E0_NS1_11comp_targetILNS1_3genE10ELNS1_11target_archE1200ELNS1_3gpuE4ELNS1_3repE0EEENS1_30default_config_static_selectorELNS0_4arch9wavefront6targetE1EEEvT1_
    .private_segment_fixed_size: 0
    .sgpr_count:     4
    .sgpr_spill_count: 0
    .symbol:         _ZN7rocprim17ROCPRIM_400000_NS6detail17trampoline_kernelINS0_14default_configENS1_20scan_config_selectorItEEZZNS1_9scan_implILNS1_25lookback_scan_determinismE0ELb1ELb1ES3_N6thrust23THRUST_200600_302600_NS6detail15normal_iteratorINS9_10device_ptrItEEEESE_tNS9_4plusIvEEtEEDaPvRmT3_T4_T5_mT6_P12ihipStream_tbENKUlT_T0_E_clISt17integral_constantIbLb0EEST_IbLb1EEEEDaSP_SQ_EUlSP_E0_NS1_11comp_targetILNS1_3genE10ELNS1_11target_archE1200ELNS1_3gpuE4ELNS1_3repE0EEENS1_30default_config_static_selectorELNS0_4arch9wavefront6targetE1EEEvT1_.kd
    .uniform_work_group_size: 1
    .uses_dynamic_stack: false
    .vgpr_count:     0
    .vgpr_spill_count: 0
    .wavefront_size: 64
  - .agpr_count:     0
    .args:
      - .offset:         0
        .size:           32
        .value_kind:     by_value
    .group_segment_fixed_size: 0
    .kernarg_segment_align: 8
    .kernarg_segment_size: 32
    .language:       OpenCL C
    .language_version:
      - 2
      - 0
    .max_flat_workgroup_size: 64
    .name:           _ZN7rocprim17ROCPRIM_400000_NS6detail17trampoline_kernelINS0_14default_configENS1_20scan_config_selectorItEEZZNS1_9scan_implILNS1_25lookback_scan_determinismE0ELb1ELb1ES3_N6thrust23THRUST_200600_302600_NS6detail15normal_iteratorINS9_10device_ptrItEEEESE_tNS9_4plusIvEEtEEDaPvRmT3_T4_T5_mT6_P12ihipStream_tbENKUlT_T0_E_clISt17integral_constantIbLb0EEST_IbLb1EEEEDaSP_SQ_EUlSP_E0_NS1_11comp_targetILNS1_3genE9ELNS1_11target_archE1100ELNS1_3gpuE3ELNS1_3repE0EEENS1_30default_config_static_selectorELNS0_4arch9wavefront6targetE1EEEvT1_
    .private_segment_fixed_size: 0
    .sgpr_count:     4
    .sgpr_spill_count: 0
    .symbol:         _ZN7rocprim17ROCPRIM_400000_NS6detail17trampoline_kernelINS0_14default_configENS1_20scan_config_selectorItEEZZNS1_9scan_implILNS1_25lookback_scan_determinismE0ELb1ELb1ES3_N6thrust23THRUST_200600_302600_NS6detail15normal_iteratorINS9_10device_ptrItEEEESE_tNS9_4plusIvEEtEEDaPvRmT3_T4_T5_mT6_P12ihipStream_tbENKUlT_T0_E_clISt17integral_constantIbLb0EEST_IbLb1EEEEDaSP_SQ_EUlSP_E0_NS1_11comp_targetILNS1_3genE9ELNS1_11target_archE1100ELNS1_3gpuE3ELNS1_3repE0EEENS1_30default_config_static_selectorELNS0_4arch9wavefront6targetE1EEEvT1_.kd
    .uniform_work_group_size: 1
    .uses_dynamic_stack: false
    .vgpr_count:     0
    .vgpr_spill_count: 0
    .wavefront_size: 64
  - .agpr_count:     0
    .args:
      - .offset:         0
        .size:           32
        .value_kind:     by_value
    .group_segment_fixed_size: 0
    .kernarg_segment_align: 8
    .kernarg_segment_size: 32
    .language:       OpenCL C
    .language_version:
      - 2
      - 0
    .max_flat_workgroup_size: 64
    .name:           _ZN7rocprim17ROCPRIM_400000_NS6detail17trampoline_kernelINS0_14default_configENS1_20scan_config_selectorItEEZZNS1_9scan_implILNS1_25lookback_scan_determinismE0ELb1ELb1ES3_N6thrust23THRUST_200600_302600_NS6detail15normal_iteratorINS9_10device_ptrItEEEESE_tNS9_4plusIvEEtEEDaPvRmT3_T4_T5_mT6_P12ihipStream_tbENKUlT_T0_E_clISt17integral_constantIbLb0EEST_IbLb1EEEEDaSP_SQ_EUlSP_E0_NS1_11comp_targetILNS1_3genE8ELNS1_11target_archE1030ELNS1_3gpuE2ELNS1_3repE0EEENS1_30default_config_static_selectorELNS0_4arch9wavefront6targetE1EEEvT1_
    .private_segment_fixed_size: 0
    .sgpr_count:     4
    .sgpr_spill_count: 0
    .symbol:         _ZN7rocprim17ROCPRIM_400000_NS6detail17trampoline_kernelINS0_14default_configENS1_20scan_config_selectorItEEZZNS1_9scan_implILNS1_25lookback_scan_determinismE0ELb1ELb1ES3_N6thrust23THRUST_200600_302600_NS6detail15normal_iteratorINS9_10device_ptrItEEEESE_tNS9_4plusIvEEtEEDaPvRmT3_T4_T5_mT6_P12ihipStream_tbENKUlT_T0_E_clISt17integral_constantIbLb0EEST_IbLb1EEEEDaSP_SQ_EUlSP_E0_NS1_11comp_targetILNS1_3genE8ELNS1_11target_archE1030ELNS1_3gpuE2ELNS1_3repE0EEENS1_30default_config_static_selectorELNS0_4arch9wavefront6targetE1EEEvT1_.kd
    .uniform_work_group_size: 1
    .uses_dynamic_stack: false
    .vgpr_count:     0
    .vgpr_spill_count: 0
    .wavefront_size: 64
  - .agpr_count:     0
    .args:
      - .offset:         0
        .size:           112
        .value_kind:     by_value
    .group_segment_fixed_size: 0
    .kernarg_segment_align: 8
    .kernarg_segment_size: 112
    .language:       OpenCL C
    .language_version:
      - 2
      - 0
    .max_flat_workgroup_size: 256
    .name:           _ZN7rocprim17ROCPRIM_400000_NS6detail17trampoline_kernelINS0_14default_configENS1_20scan_config_selectorIdEEZZNS1_9scan_implILNS1_25lookback_scan_determinismE0ELb0ELb0ES3_N6thrust23THRUST_200600_302600_NS6detail15normal_iteratorINS9_10device_ptrIdEEEENS9_16discard_iteratorINS9_11use_defaultEEEdNS9_4plusIvEEdEEDaPvRmT3_T4_T5_mT6_P12ihipStream_tbENKUlT_T0_E_clISt17integral_constantIbLb0EESX_EEDaSS_ST_EUlSS_E_NS1_11comp_targetILNS1_3genE0ELNS1_11target_archE4294967295ELNS1_3gpuE0ELNS1_3repE0EEENS1_30default_config_static_selectorELNS0_4arch9wavefront6targetE1EEEvT1_
    .private_segment_fixed_size: 0
    .sgpr_count:     4
    .sgpr_spill_count: 0
    .symbol:         _ZN7rocprim17ROCPRIM_400000_NS6detail17trampoline_kernelINS0_14default_configENS1_20scan_config_selectorIdEEZZNS1_9scan_implILNS1_25lookback_scan_determinismE0ELb0ELb0ES3_N6thrust23THRUST_200600_302600_NS6detail15normal_iteratorINS9_10device_ptrIdEEEENS9_16discard_iteratorINS9_11use_defaultEEEdNS9_4plusIvEEdEEDaPvRmT3_T4_T5_mT6_P12ihipStream_tbENKUlT_T0_E_clISt17integral_constantIbLb0EESX_EEDaSS_ST_EUlSS_E_NS1_11comp_targetILNS1_3genE0ELNS1_11target_archE4294967295ELNS1_3gpuE0ELNS1_3repE0EEENS1_30default_config_static_selectorELNS0_4arch9wavefront6targetE1EEEvT1_.kd
    .uniform_work_group_size: 1
    .uses_dynamic_stack: false
    .vgpr_count:     0
    .vgpr_spill_count: 0
    .wavefront_size: 64
  - .agpr_count:     0
    .args:
      - .offset:         0
        .size:           112
        .value_kind:     by_value
    .group_segment_fixed_size: 0
    .kernarg_segment_align: 8
    .kernarg_segment_size: 112
    .language:       OpenCL C
    .language_version:
      - 2
      - 0
    .max_flat_workgroup_size: 256
    .name:           _ZN7rocprim17ROCPRIM_400000_NS6detail17trampoline_kernelINS0_14default_configENS1_20scan_config_selectorIdEEZZNS1_9scan_implILNS1_25lookback_scan_determinismE0ELb0ELb0ES3_N6thrust23THRUST_200600_302600_NS6detail15normal_iteratorINS9_10device_ptrIdEEEENS9_16discard_iteratorINS9_11use_defaultEEEdNS9_4plusIvEEdEEDaPvRmT3_T4_T5_mT6_P12ihipStream_tbENKUlT_T0_E_clISt17integral_constantIbLb0EESX_EEDaSS_ST_EUlSS_E_NS1_11comp_targetILNS1_3genE5ELNS1_11target_archE942ELNS1_3gpuE9ELNS1_3repE0EEENS1_30default_config_static_selectorELNS0_4arch9wavefront6targetE1EEEvT1_
    .private_segment_fixed_size: 0
    .sgpr_count:     4
    .sgpr_spill_count: 0
    .symbol:         _ZN7rocprim17ROCPRIM_400000_NS6detail17trampoline_kernelINS0_14default_configENS1_20scan_config_selectorIdEEZZNS1_9scan_implILNS1_25lookback_scan_determinismE0ELb0ELb0ES3_N6thrust23THRUST_200600_302600_NS6detail15normal_iteratorINS9_10device_ptrIdEEEENS9_16discard_iteratorINS9_11use_defaultEEEdNS9_4plusIvEEdEEDaPvRmT3_T4_T5_mT6_P12ihipStream_tbENKUlT_T0_E_clISt17integral_constantIbLb0EESX_EEDaSS_ST_EUlSS_E_NS1_11comp_targetILNS1_3genE5ELNS1_11target_archE942ELNS1_3gpuE9ELNS1_3repE0EEENS1_30default_config_static_selectorELNS0_4arch9wavefront6targetE1EEEvT1_.kd
    .uniform_work_group_size: 1
    .uses_dynamic_stack: false
    .vgpr_count:     0
    .vgpr_spill_count: 0
    .wavefront_size: 64
  - .agpr_count:     0
    .args:
      - .offset:         0
        .size:           112
        .value_kind:     by_value
    .group_segment_fixed_size: 10240
    .kernarg_segment_align: 8
    .kernarg_segment_size: 112
    .language:       OpenCL C
    .language_version:
      - 2
      - 0
    .max_flat_workgroup_size: 128
    .name:           _ZN7rocprim17ROCPRIM_400000_NS6detail17trampoline_kernelINS0_14default_configENS1_20scan_config_selectorIdEEZZNS1_9scan_implILNS1_25lookback_scan_determinismE0ELb0ELb0ES3_N6thrust23THRUST_200600_302600_NS6detail15normal_iteratorINS9_10device_ptrIdEEEENS9_16discard_iteratorINS9_11use_defaultEEEdNS9_4plusIvEEdEEDaPvRmT3_T4_T5_mT6_P12ihipStream_tbENKUlT_T0_E_clISt17integral_constantIbLb0EESX_EEDaSS_ST_EUlSS_E_NS1_11comp_targetILNS1_3genE4ELNS1_11target_archE910ELNS1_3gpuE8ELNS1_3repE0EEENS1_30default_config_static_selectorELNS0_4arch9wavefront6targetE1EEEvT1_
    .private_segment_fixed_size: 0
    .sgpr_count:     26
    .sgpr_spill_count: 0
    .symbol:         _ZN7rocprim17ROCPRIM_400000_NS6detail17trampoline_kernelINS0_14default_configENS1_20scan_config_selectorIdEEZZNS1_9scan_implILNS1_25lookback_scan_determinismE0ELb0ELb0ES3_N6thrust23THRUST_200600_302600_NS6detail15normal_iteratorINS9_10device_ptrIdEEEENS9_16discard_iteratorINS9_11use_defaultEEEdNS9_4plusIvEEdEEDaPvRmT3_T4_T5_mT6_P12ihipStream_tbENKUlT_T0_E_clISt17integral_constantIbLb0EESX_EEDaSS_ST_EUlSS_E_NS1_11comp_targetILNS1_3genE4ELNS1_11target_archE910ELNS1_3gpuE8ELNS1_3repE0EEENS1_30default_config_static_selectorELNS0_4arch9wavefront6targetE1EEEvT1_.kd
    .uniform_work_group_size: 1
    .uses_dynamic_stack: false
    .vgpr_count:     66
    .vgpr_spill_count: 0
    .wavefront_size: 64
  - .agpr_count:     0
    .args:
      - .offset:         0
        .size:           112
        .value_kind:     by_value
    .group_segment_fixed_size: 0
    .kernarg_segment_align: 8
    .kernarg_segment_size: 112
    .language:       OpenCL C
    .language_version:
      - 2
      - 0
    .max_flat_workgroup_size: 256
    .name:           _ZN7rocprim17ROCPRIM_400000_NS6detail17trampoline_kernelINS0_14default_configENS1_20scan_config_selectorIdEEZZNS1_9scan_implILNS1_25lookback_scan_determinismE0ELb0ELb0ES3_N6thrust23THRUST_200600_302600_NS6detail15normal_iteratorINS9_10device_ptrIdEEEENS9_16discard_iteratorINS9_11use_defaultEEEdNS9_4plusIvEEdEEDaPvRmT3_T4_T5_mT6_P12ihipStream_tbENKUlT_T0_E_clISt17integral_constantIbLb0EESX_EEDaSS_ST_EUlSS_E_NS1_11comp_targetILNS1_3genE3ELNS1_11target_archE908ELNS1_3gpuE7ELNS1_3repE0EEENS1_30default_config_static_selectorELNS0_4arch9wavefront6targetE1EEEvT1_
    .private_segment_fixed_size: 0
    .sgpr_count:     4
    .sgpr_spill_count: 0
    .symbol:         _ZN7rocprim17ROCPRIM_400000_NS6detail17trampoline_kernelINS0_14default_configENS1_20scan_config_selectorIdEEZZNS1_9scan_implILNS1_25lookback_scan_determinismE0ELb0ELb0ES3_N6thrust23THRUST_200600_302600_NS6detail15normal_iteratorINS9_10device_ptrIdEEEENS9_16discard_iteratorINS9_11use_defaultEEEdNS9_4plusIvEEdEEDaPvRmT3_T4_T5_mT6_P12ihipStream_tbENKUlT_T0_E_clISt17integral_constantIbLb0EESX_EEDaSS_ST_EUlSS_E_NS1_11comp_targetILNS1_3genE3ELNS1_11target_archE908ELNS1_3gpuE7ELNS1_3repE0EEENS1_30default_config_static_selectorELNS0_4arch9wavefront6targetE1EEEvT1_.kd
    .uniform_work_group_size: 1
    .uses_dynamic_stack: false
    .vgpr_count:     0
    .vgpr_spill_count: 0
    .wavefront_size: 64
  - .agpr_count:     0
    .args:
      - .offset:         0
        .size:           112
        .value_kind:     by_value
    .group_segment_fixed_size: 0
    .kernarg_segment_align: 8
    .kernarg_segment_size: 112
    .language:       OpenCL C
    .language_version:
      - 2
      - 0
    .max_flat_workgroup_size: 128
    .name:           _ZN7rocprim17ROCPRIM_400000_NS6detail17trampoline_kernelINS0_14default_configENS1_20scan_config_selectorIdEEZZNS1_9scan_implILNS1_25lookback_scan_determinismE0ELb0ELb0ES3_N6thrust23THRUST_200600_302600_NS6detail15normal_iteratorINS9_10device_ptrIdEEEENS9_16discard_iteratorINS9_11use_defaultEEEdNS9_4plusIvEEdEEDaPvRmT3_T4_T5_mT6_P12ihipStream_tbENKUlT_T0_E_clISt17integral_constantIbLb0EESX_EEDaSS_ST_EUlSS_E_NS1_11comp_targetILNS1_3genE2ELNS1_11target_archE906ELNS1_3gpuE6ELNS1_3repE0EEENS1_30default_config_static_selectorELNS0_4arch9wavefront6targetE1EEEvT1_
    .private_segment_fixed_size: 0
    .sgpr_count:     4
    .sgpr_spill_count: 0
    .symbol:         _ZN7rocprim17ROCPRIM_400000_NS6detail17trampoline_kernelINS0_14default_configENS1_20scan_config_selectorIdEEZZNS1_9scan_implILNS1_25lookback_scan_determinismE0ELb0ELb0ES3_N6thrust23THRUST_200600_302600_NS6detail15normal_iteratorINS9_10device_ptrIdEEEENS9_16discard_iteratorINS9_11use_defaultEEEdNS9_4plusIvEEdEEDaPvRmT3_T4_T5_mT6_P12ihipStream_tbENKUlT_T0_E_clISt17integral_constantIbLb0EESX_EEDaSS_ST_EUlSS_E_NS1_11comp_targetILNS1_3genE2ELNS1_11target_archE906ELNS1_3gpuE6ELNS1_3repE0EEENS1_30default_config_static_selectorELNS0_4arch9wavefront6targetE1EEEvT1_.kd
    .uniform_work_group_size: 1
    .uses_dynamic_stack: false
    .vgpr_count:     0
    .vgpr_spill_count: 0
    .wavefront_size: 64
  - .agpr_count:     0
    .args:
      - .offset:         0
        .size:           112
        .value_kind:     by_value
    .group_segment_fixed_size: 0
    .kernarg_segment_align: 8
    .kernarg_segment_size: 112
    .language:       OpenCL C
    .language_version:
      - 2
      - 0
    .max_flat_workgroup_size: 256
    .name:           _ZN7rocprim17ROCPRIM_400000_NS6detail17trampoline_kernelINS0_14default_configENS1_20scan_config_selectorIdEEZZNS1_9scan_implILNS1_25lookback_scan_determinismE0ELb0ELb0ES3_N6thrust23THRUST_200600_302600_NS6detail15normal_iteratorINS9_10device_ptrIdEEEENS9_16discard_iteratorINS9_11use_defaultEEEdNS9_4plusIvEEdEEDaPvRmT3_T4_T5_mT6_P12ihipStream_tbENKUlT_T0_E_clISt17integral_constantIbLb0EESX_EEDaSS_ST_EUlSS_E_NS1_11comp_targetILNS1_3genE10ELNS1_11target_archE1201ELNS1_3gpuE5ELNS1_3repE0EEENS1_30default_config_static_selectorELNS0_4arch9wavefront6targetE1EEEvT1_
    .private_segment_fixed_size: 0
    .sgpr_count:     4
    .sgpr_spill_count: 0
    .symbol:         _ZN7rocprim17ROCPRIM_400000_NS6detail17trampoline_kernelINS0_14default_configENS1_20scan_config_selectorIdEEZZNS1_9scan_implILNS1_25lookback_scan_determinismE0ELb0ELb0ES3_N6thrust23THRUST_200600_302600_NS6detail15normal_iteratorINS9_10device_ptrIdEEEENS9_16discard_iteratorINS9_11use_defaultEEEdNS9_4plusIvEEdEEDaPvRmT3_T4_T5_mT6_P12ihipStream_tbENKUlT_T0_E_clISt17integral_constantIbLb0EESX_EEDaSS_ST_EUlSS_E_NS1_11comp_targetILNS1_3genE10ELNS1_11target_archE1201ELNS1_3gpuE5ELNS1_3repE0EEENS1_30default_config_static_selectorELNS0_4arch9wavefront6targetE1EEEvT1_.kd
    .uniform_work_group_size: 1
    .uses_dynamic_stack: false
    .vgpr_count:     0
    .vgpr_spill_count: 0
    .wavefront_size: 64
  - .agpr_count:     0
    .args:
      - .offset:         0
        .size:           112
        .value_kind:     by_value
    .group_segment_fixed_size: 0
    .kernarg_segment_align: 8
    .kernarg_segment_size: 112
    .language:       OpenCL C
    .language_version:
      - 2
      - 0
    .max_flat_workgroup_size: 256
    .name:           _ZN7rocprim17ROCPRIM_400000_NS6detail17trampoline_kernelINS0_14default_configENS1_20scan_config_selectorIdEEZZNS1_9scan_implILNS1_25lookback_scan_determinismE0ELb0ELb0ES3_N6thrust23THRUST_200600_302600_NS6detail15normal_iteratorINS9_10device_ptrIdEEEENS9_16discard_iteratorINS9_11use_defaultEEEdNS9_4plusIvEEdEEDaPvRmT3_T4_T5_mT6_P12ihipStream_tbENKUlT_T0_E_clISt17integral_constantIbLb0EESX_EEDaSS_ST_EUlSS_E_NS1_11comp_targetILNS1_3genE10ELNS1_11target_archE1200ELNS1_3gpuE4ELNS1_3repE0EEENS1_30default_config_static_selectorELNS0_4arch9wavefront6targetE1EEEvT1_
    .private_segment_fixed_size: 0
    .sgpr_count:     4
    .sgpr_spill_count: 0
    .symbol:         _ZN7rocprim17ROCPRIM_400000_NS6detail17trampoline_kernelINS0_14default_configENS1_20scan_config_selectorIdEEZZNS1_9scan_implILNS1_25lookback_scan_determinismE0ELb0ELb0ES3_N6thrust23THRUST_200600_302600_NS6detail15normal_iteratorINS9_10device_ptrIdEEEENS9_16discard_iteratorINS9_11use_defaultEEEdNS9_4plusIvEEdEEDaPvRmT3_T4_T5_mT6_P12ihipStream_tbENKUlT_T0_E_clISt17integral_constantIbLb0EESX_EEDaSS_ST_EUlSS_E_NS1_11comp_targetILNS1_3genE10ELNS1_11target_archE1200ELNS1_3gpuE4ELNS1_3repE0EEENS1_30default_config_static_selectorELNS0_4arch9wavefront6targetE1EEEvT1_.kd
    .uniform_work_group_size: 1
    .uses_dynamic_stack: false
    .vgpr_count:     0
    .vgpr_spill_count: 0
    .wavefront_size: 64
  - .agpr_count:     0
    .args:
      - .offset:         0
        .size:           112
        .value_kind:     by_value
    .group_segment_fixed_size: 0
    .kernarg_segment_align: 8
    .kernarg_segment_size: 112
    .language:       OpenCL C
    .language_version:
      - 2
      - 0
    .max_flat_workgroup_size: 256
    .name:           _ZN7rocprim17ROCPRIM_400000_NS6detail17trampoline_kernelINS0_14default_configENS1_20scan_config_selectorIdEEZZNS1_9scan_implILNS1_25lookback_scan_determinismE0ELb0ELb0ES3_N6thrust23THRUST_200600_302600_NS6detail15normal_iteratorINS9_10device_ptrIdEEEENS9_16discard_iteratorINS9_11use_defaultEEEdNS9_4plusIvEEdEEDaPvRmT3_T4_T5_mT6_P12ihipStream_tbENKUlT_T0_E_clISt17integral_constantIbLb0EESX_EEDaSS_ST_EUlSS_E_NS1_11comp_targetILNS1_3genE9ELNS1_11target_archE1100ELNS1_3gpuE3ELNS1_3repE0EEENS1_30default_config_static_selectorELNS0_4arch9wavefront6targetE1EEEvT1_
    .private_segment_fixed_size: 0
    .sgpr_count:     4
    .sgpr_spill_count: 0
    .symbol:         _ZN7rocprim17ROCPRIM_400000_NS6detail17trampoline_kernelINS0_14default_configENS1_20scan_config_selectorIdEEZZNS1_9scan_implILNS1_25lookback_scan_determinismE0ELb0ELb0ES3_N6thrust23THRUST_200600_302600_NS6detail15normal_iteratorINS9_10device_ptrIdEEEENS9_16discard_iteratorINS9_11use_defaultEEEdNS9_4plusIvEEdEEDaPvRmT3_T4_T5_mT6_P12ihipStream_tbENKUlT_T0_E_clISt17integral_constantIbLb0EESX_EEDaSS_ST_EUlSS_E_NS1_11comp_targetILNS1_3genE9ELNS1_11target_archE1100ELNS1_3gpuE3ELNS1_3repE0EEENS1_30default_config_static_selectorELNS0_4arch9wavefront6targetE1EEEvT1_.kd
    .uniform_work_group_size: 1
    .uses_dynamic_stack: false
    .vgpr_count:     0
    .vgpr_spill_count: 0
    .wavefront_size: 64
  - .agpr_count:     0
    .args:
      - .offset:         0
        .size:           112
        .value_kind:     by_value
    .group_segment_fixed_size: 0
    .kernarg_segment_align: 8
    .kernarg_segment_size: 112
    .language:       OpenCL C
    .language_version:
      - 2
      - 0
    .max_flat_workgroup_size: 128
    .name:           _ZN7rocprim17ROCPRIM_400000_NS6detail17trampoline_kernelINS0_14default_configENS1_20scan_config_selectorIdEEZZNS1_9scan_implILNS1_25lookback_scan_determinismE0ELb0ELb0ES3_N6thrust23THRUST_200600_302600_NS6detail15normal_iteratorINS9_10device_ptrIdEEEENS9_16discard_iteratorINS9_11use_defaultEEEdNS9_4plusIvEEdEEDaPvRmT3_T4_T5_mT6_P12ihipStream_tbENKUlT_T0_E_clISt17integral_constantIbLb0EESX_EEDaSS_ST_EUlSS_E_NS1_11comp_targetILNS1_3genE8ELNS1_11target_archE1030ELNS1_3gpuE2ELNS1_3repE0EEENS1_30default_config_static_selectorELNS0_4arch9wavefront6targetE1EEEvT1_
    .private_segment_fixed_size: 0
    .sgpr_count:     4
    .sgpr_spill_count: 0
    .symbol:         _ZN7rocprim17ROCPRIM_400000_NS6detail17trampoline_kernelINS0_14default_configENS1_20scan_config_selectorIdEEZZNS1_9scan_implILNS1_25lookback_scan_determinismE0ELb0ELb0ES3_N6thrust23THRUST_200600_302600_NS6detail15normal_iteratorINS9_10device_ptrIdEEEENS9_16discard_iteratorINS9_11use_defaultEEEdNS9_4plusIvEEdEEDaPvRmT3_T4_T5_mT6_P12ihipStream_tbENKUlT_T0_E_clISt17integral_constantIbLb0EESX_EEDaSS_ST_EUlSS_E_NS1_11comp_targetILNS1_3genE8ELNS1_11target_archE1030ELNS1_3gpuE2ELNS1_3repE0EEENS1_30default_config_static_selectorELNS0_4arch9wavefront6targetE1EEEvT1_.kd
    .uniform_work_group_size: 1
    .uses_dynamic_stack: false
    .vgpr_count:     0
    .vgpr_spill_count: 0
    .wavefront_size: 64
  - .agpr_count:     0
    .args:
      - .offset:         0
        .size:           48
        .value_kind:     by_value
    .group_segment_fixed_size: 0
    .kernarg_segment_align: 8
    .kernarg_segment_size: 48
    .language:       OpenCL C
    .language_version:
      - 2
      - 0
    .max_flat_workgroup_size: 256
    .name:           _ZN7rocprim17ROCPRIM_400000_NS6detail17trampoline_kernelINS0_14default_configENS1_20scan_config_selectorIdEEZZNS1_9scan_implILNS1_25lookback_scan_determinismE0ELb0ELb0ES3_N6thrust23THRUST_200600_302600_NS6detail15normal_iteratorINS9_10device_ptrIdEEEENS9_16discard_iteratorINS9_11use_defaultEEEdNS9_4plusIvEEdEEDaPvRmT3_T4_T5_mT6_P12ihipStream_tbENKUlT_T0_E_clISt17integral_constantIbLb0EESX_EEDaSS_ST_EUlSS_E0_NS1_11comp_targetILNS1_3genE0ELNS1_11target_archE4294967295ELNS1_3gpuE0ELNS1_3repE0EEENS1_30default_config_static_selectorELNS0_4arch9wavefront6targetE1EEEvT1_
    .private_segment_fixed_size: 0
    .sgpr_count:     4
    .sgpr_spill_count: 0
    .symbol:         _ZN7rocprim17ROCPRIM_400000_NS6detail17trampoline_kernelINS0_14default_configENS1_20scan_config_selectorIdEEZZNS1_9scan_implILNS1_25lookback_scan_determinismE0ELb0ELb0ES3_N6thrust23THRUST_200600_302600_NS6detail15normal_iteratorINS9_10device_ptrIdEEEENS9_16discard_iteratorINS9_11use_defaultEEEdNS9_4plusIvEEdEEDaPvRmT3_T4_T5_mT6_P12ihipStream_tbENKUlT_T0_E_clISt17integral_constantIbLb0EESX_EEDaSS_ST_EUlSS_E0_NS1_11comp_targetILNS1_3genE0ELNS1_11target_archE4294967295ELNS1_3gpuE0ELNS1_3repE0EEENS1_30default_config_static_selectorELNS0_4arch9wavefront6targetE1EEEvT1_.kd
    .uniform_work_group_size: 1
    .uses_dynamic_stack: false
    .vgpr_count:     0
    .vgpr_spill_count: 0
    .wavefront_size: 64
  - .agpr_count:     0
    .args:
      - .offset:         0
        .size:           48
        .value_kind:     by_value
    .group_segment_fixed_size: 0
    .kernarg_segment_align: 8
    .kernarg_segment_size: 48
    .language:       OpenCL C
    .language_version:
      - 2
      - 0
    .max_flat_workgroup_size: 256
    .name:           _ZN7rocprim17ROCPRIM_400000_NS6detail17trampoline_kernelINS0_14default_configENS1_20scan_config_selectorIdEEZZNS1_9scan_implILNS1_25lookback_scan_determinismE0ELb0ELb0ES3_N6thrust23THRUST_200600_302600_NS6detail15normal_iteratorINS9_10device_ptrIdEEEENS9_16discard_iteratorINS9_11use_defaultEEEdNS9_4plusIvEEdEEDaPvRmT3_T4_T5_mT6_P12ihipStream_tbENKUlT_T0_E_clISt17integral_constantIbLb0EESX_EEDaSS_ST_EUlSS_E0_NS1_11comp_targetILNS1_3genE5ELNS1_11target_archE942ELNS1_3gpuE9ELNS1_3repE0EEENS1_30default_config_static_selectorELNS0_4arch9wavefront6targetE1EEEvT1_
    .private_segment_fixed_size: 0
    .sgpr_count:     4
    .sgpr_spill_count: 0
    .symbol:         _ZN7rocprim17ROCPRIM_400000_NS6detail17trampoline_kernelINS0_14default_configENS1_20scan_config_selectorIdEEZZNS1_9scan_implILNS1_25lookback_scan_determinismE0ELb0ELb0ES3_N6thrust23THRUST_200600_302600_NS6detail15normal_iteratorINS9_10device_ptrIdEEEENS9_16discard_iteratorINS9_11use_defaultEEEdNS9_4plusIvEEdEEDaPvRmT3_T4_T5_mT6_P12ihipStream_tbENKUlT_T0_E_clISt17integral_constantIbLb0EESX_EEDaSS_ST_EUlSS_E0_NS1_11comp_targetILNS1_3genE5ELNS1_11target_archE942ELNS1_3gpuE9ELNS1_3repE0EEENS1_30default_config_static_selectorELNS0_4arch9wavefront6targetE1EEEvT1_.kd
    .uniform_work_group_size: 1
    .uses_dynamic_stack: false
    .vgpr_count:     0
    .vgpr_spill_count: 0
    .wavefront_size: 64
  - .agpr_count:     0
    .args:
      - .offset:         0
        .size:           48
        .value_kind:     by_value
    .group_segment_fixed_size: 10240
    .kernarg_segment_align: 8
    .kernarg_segment_size: 48
    .language:       OpenCL C
    .language_version:
      - 2
      - 0
    .max_flat_workgroup_size: 128
    .name:           _ZN7rocprim17ROCPRIM_400000_NS6detail17trampoline_kernelINS0_14default_configENS1_20scan_config_selectorIdEEZZNS1_9scan_implILNS1_25lookback_scan_determinismE0ELb0ELb0ES3_N6thrust23THRUST_200600_302600_NS6detail15normal_iteratorINS9_10device_ptrIdEEEENS9_16discard_iteratorINS9_11use_defaultEEEdNS9_4plusIvEEdEEDaPvRmT3_T4_T5_mT6_P12ihipStream_tbENKUlT_T0_E_clISt17integral_constantIbLb0EESX_EEDaSS_ST_EUlSS_E0_NS1_11comp_targetILNS1_3genE4ELNS1_11target_archE910ELNS1_3gpuE8ELNS1_3repE0EEENS1_30default_config_static_selectorELNS0_4arch9wavefront6targetE1EEEvT1_
    .private_segment_fixed_size: 0
    .sgpr_count:     12
    .sgpr_spill_count: 0
    .symbol:         _ZN7rocprim17ROCPRIM_400000_NS6detail17trampoline_kernelINS0_14default_configENS1_20scan_config_selectorIdEEZZNS1_9scan_implILNS1_25lookback_scan_determinismE0ELb0ELb0ES3_N6thrust23THRUST_200600_302600_NS6detail15normal_iteratorINS9_10device_ptrIdEEEENS9_16discard_iteratorINS9_11use_defaultEEEdNS9_4plusIvEEdEEDaPvRmT3_T4_T5_mT6_P12ihipStream_tbENKUlT_T0_E_clISt17integral_constantIbLb0EESX_EEDaSS_ST_EUlSS_E0_NS1_11comp_targetILNS1_3genE4ELNS1_11target_archE910ELNS1_3gpuE8ELNS1_3repE0EEENS1_30default_config_static_selectorELNS0_4arch9wavefront6targetE1EEEvT1_.kd
    .uniform_work_group_size: 1
    .uses_dynamic_stack: false
    .vgpr_count:     49
    .vgpr_spill_count: 0
    .wavefront_size: 64
  - .agpr_count:     0
    .args:
      - .offset:         0
        .size:           48
        .value_kind:     by_value
    .group_segment_fixed_size: 0
    .kernarg_segment_align: 8
    .kernarg_segment_size: 48
    .language:       OpenCL C
    .language_version:
      - 2
      - 0
    .max_flat_workgroup_size: 256
    .name:           _ZN7rocprim17ROCPRIM_400000_NS6detail17trampoline_kernelINS0_14default_configENS1_20scan_config_selectorIdEEZZNS1_9scan_implILNS1_25lookback_scan_determinismE0ELb0ELb0ES3_N6thrust23THRUST_200600_302600_NS6detail15normal_iteratorINS9_10device_ptrIdEEEENS9_16discard_iteratorINS9_11use_defaultEEEdNS9_4plusIvEEdEEDaPvRmT3_T4_T5_mT6_P12ihipStream_tbENKUlT_T0_E_clISt17integral_constantIbLb0EESX_EEDaSS_ST_EUlSS_E0_NS1_11comp_targetILNS1_3genE3ELNS1_11target_archE908ELNS1_3gpuE7ELNS1_3repE0EEENS1_30default_config_static_selectorELNS0_4arch9wavefront6targetE1EEEvT1_
    .private_segment_fixed_size: 0
    .sgpr_count:     4
    .sgpr_spill_count: 0
    .symbol:         _ZN7rocprim17ROCPRIM_400000_NS6detail17trampoline_kernelINS0_14default_configENS1_20scan_config_selectorIdEEZZNS1_9scan_implILNS1_25lookback_scan_determinismE0ELb0ELb0ES3_N6thrust23THRUST_200600_302600_NS6detail15normal_iteratorINS9_10device_ptrIdEEEENS9_16discard_iteratorINS9_11use_defaultEEEdNS9_4plusIvEEdEEDaPvRmT3_T4_T5_mT6_P12ihipStream_tbENKUlT_T0_E_clISt17integral_constantIbLb0EESX_EEDaSS_ST_EUlSS_E0_NS1_11comp_targetILNS1_3genE3ELNS1_11target_archE908ELNS1_3gpuE7ELNS1_3repE0EEENS1_30default_config_static_selectorELNS0_4arch9wavefront6targetE1EEEvT1_.kd
    .uniform_work_group_size: 1
    .uses_dynamic_stack: false
    .vgpr_count:     0
    .vgpr_spill_count: 0
    .wavefront_size: 64
  - .agpr_count:     0
    .args:
      - .offset:         0
        .size:           48
        .value_kind:     by_value
    .group_segment_fixed_size: 0
    .kernarg_segment_align: 8
    .kernarg_segment_size: 48
    .language:       OpenCL C
    .language_version:
      - 2
      - 0
    .max_flat_workgroup_size: 128
    .name:           _ZN7rocprim17ROCPRIM_400000_NS6detail17trampoline_kernelINS0_14default_configENS1_20scan_config_selectorIdEEZZNS1_9scan_implILNS1_25lookback_scan_determinismE0ELb0ELb0ES3_N6thrust23THRUST_200600_302600_NS6detail15normal_iteratorINS9_10device_ptrIdEEEENS9_16discard_iteratorINS9_11use_defaultEEEdNS9_4plusIvEEdEEDaPvRmT3_T4_T5_mT6_P12ihipStream_tbENKUlT_T0_E_clISt17integral_constantIbLb0EESX_EEDaSS_ST_EUlSS_E0_NS1_11comp_targetILNS1_3genE2ELNS1_11target_archE906ELNS1_3gpuE6ELNS1_3repE0EEENS1_30default_config_static_selectorELNS0_4arch9wavefront6targetE1EEEvT1_
    .private_segment_fixed_size: 0
    .sgpr_count:     4
    .sgpr_spill_count: 0
    .symbol:         _ZN7rocprim17ROCPRIM_400000_NS6detail17trampoline_kernelINS0_14default_configENS1_20scan_config_selectorIdEEZZNS1_9scan_implILNS1_25lookback_scan_determinismE0ELb0ELb0ES3_N6thrust23THRUST_200600_302600_NS6detail15normal_iteratorINS9_10device_ptrIdEEEENS9_16discard_iteratorINS9_11use_defaultEEEdNS9_4plusIvEEdEEDaPvRmT3_T4_T5_mT6_P12ihipStream_tbENKUlT_T0_E_clISt17integral_constantIbLb0EESX_EEDaSS_ST_EUlSS_E0_NS1_11comp_targetILNS1_3genE2ELNS1_11target_archE906ELNS1_3gpuE6ELNS1_3repE0EEENS1_30default_config_static_selectorELNS0_4arch9wavefront6targetE1EEEvT1_.kd
    .uniform_work_group_size: 1
    .uses_dynamic_stack: false
    .vgpr_count:     0
    .vgpr_spill_count: 0
    .wavefront_size: 64
  - .agpr_count:     0
    .args:
      - .offset:         0
        .size:           48
        .value_kind:     by_value
    .group_segment_fixed_size: 0
    .kernarg_segment_align: 8
    .kernarg_segment_size: 48
    .language:       OpenCL C
    .language_version:
      - 2
      - 0
    .max_flat_workgroup_size: 256
    .name:           _ZN7rocprim17ROCPRIM_400000_NS6detail17trampoline_kernelINS0_14default_configENS1_20scan_config_selectorIdEEZZNS1_9scan_implILNS1_25lookback_scan_determinismE0ELb0ELb0ES3_N6thrust23THRUST_200600_302600_NS6detail15normal_iteratorINS9_10device_ptrIdEEEENS9_16discard_iteratorINS9_11use_defaultEEEdNS9_4plusIvEEdEEDaPvRmT3_T4_T5_mT6_P12ihipStream_tbENKUlT_T0_E_clISt17integral_constantIbLb0EESX_EEDaSS_ST_EUlSS_E0_NS1_11comp_targetILNS1_3genE10ELNS1_11target_archE1201ELNS1_3gpuE5ELNS1_3repE0EEENS1_30default_config_static_selectorELNS0_4arch9wavefront6targetE1EEEvT1_
    .private_segment_fixed_size: 0
    .sgpr_count:     4
    .sgpr_spill_count: 0
    .symbol:         _ZN7rocprim17ROCPRIM_400000_NS6detail17trampoline_kernelINS0_14default_configENS1_20scan_config_selectorIdEEZZNS1_9scan_implILNS1_25lookback_scan_determinismE0ELb0ELb0ES3_N6thrust23THRUST_200600_302600_NS6detail15normal_iteratorINS9_10device_ptrIdEEEENS9_16discard_iteratorINS9_11use_defaultEEEdNS9_4plusIvEEdEEDaPvRmT3_T4_T5_mT6_P12ihipStream_tbENKUlT_T0_E_clISt17integral_constantIbLb0EESX_EEDaSS_ST_EUlSS_E0_NS1_11comp_targetILNS1_3genE10ELNS1_11target_archE1201ELNS1_3gpuE5ELNS1_3repE0EEENS1_30default_config_static_selectorELNS0_4arch9wavefront6targetE1EEEvT1_.kd
    .uniform_work_group_size: 1
    .uses_dynamic_stack: false
    .vgpr_count:     0
    .vgpr_spill_count: 0
    .wavefront_size: 64
  - .agpr_count:     0
    .args:
      - .offset:         0
        .size:           48
        .value_kind:     by_value
    .group_segment_fixed_size: 0
    .kernarg_segment_align: 8
    .kernarg_segment_size: 48
    .language:       OpenCL C
    .language_version:
      - 2
      - 0
    .max_flat_workgroup_size: 256
    .name:           _ZN7rocprim17ROCPRIM_400000_NS6detail17trampoline_kernelINS0_14default_configENS1_20scan_config_selectorIdEEZZNS1_9scan_implILNS1_25lookback_scan_determinismE0ELb0ELb0ES3_N6thrust23THRUST_200600_302600_NS6detail15normal_iteratorINS9_10device_ptrIdEEEENS9_16discard_iteratorINS9_11use_defaultEEEdNS9_4plusIvEEdEEDaPvRmT3_T4_T5_mT6_P12ihipStream_tbENKUlT_T0_E_clISt17integral_constantIbLb0EESX_EEDaSS_ST_EUlSS_E0_NS1_11comp_targetILNS1_3genE10ELNS1_11target_archE1200ELNS1_3gpuE4ELNS1_3repE0EEENS1_30default_config_static_selectorELNS0_4arch9wavefront6targetE1EEEvT1_
    .private_segment_fixed_size: 0
    .sgpr_count:     4
    .sgpr_spill_count: 0
    .symbol:         _ZN7rocprim17ROCPRIM_400000_NS6detail17trampoline_kernelINS0_14default_configENS1_20scan_config_selectorIdEEZZNS1_9scan_implILNS1_25lookback_scan_determinismE0ELb0ELb0ES3_N6thrust23THRUST_200600_302600_NS6detail15normal_iteratorINS9_10device_ptrIdEEEENS9_16discard_iteratorINS9_11use_defaultEEEdNS9_4plusIvEEdEEDaPvRmT3_T4_T5_mT6_P12ihipStream_tbENKUlT_T0_E_clISt17integral_constantIbLb0EESX_EEDaSS_ST_EUlSS_E0_NS1_11comp_targetILNS1_3genE10ELNS1_11target_archE1200ELNS1_3gpuE4ELNS1_3repE0EEENS1_30default_config_static_selectorELNS0_4arch9wavefront6targetE1EEEvT1_.kd
    .uniform_work_group_size: 1
    .uses_dynamic_stack: false
    .vgpr_count:     0
    .vgpr_spill_count: 0
    .wavefront_size: 64
  - .agpr_count:     0
    .args:
      - .offset:         0
        .size:           48
        .value_kind:     by_value
    .group_segment_fixed_size: 0
    .kernarg_segment_align: 8
    .kernarg_segment_size: 48
    .language:       OpenCL C
    .language_version:
      - 2
      - 0
    .max_flat_workgroup_size: 256
    .name:           _ZN7rocprim17ROCPRIM_400000_NS6detail17trampoline_kernelINS0_14default_configENS1_20scan_config_selectorIdEEZZNS1_9scan_implILNS1_25lookback_scan_determinismE0ELb0ELb0ES3_N6thrust23THRUST_200600_302600_NS6detail15normal_iteratorINS9_10device_ptrIdEEEENS9_16discard_iteratorINS9_11use_defaultEEEdNS9_4plusIvEEdEEDaPvRmT3_T4_T5_mT6_P12ihipStream_tbENKUlT_T0_E_clISt17integral_constantIbLb0EESX_EEDaSS_ST_EUlSS_E0_NS1_11comp_targetILNS1_3genE9ELNS1_11target_archE1100ELNS1_3gpuE3ELNS1_3repE0EEENS1_30default_config_static_selectorELNS0_4arch9wavefront6targetE1EEEvT1_
    .private_segment_fixed_size: 0
    .sgpr_count:     4
    .sgpr_spill_count: 0
    .symbol:         _ZN7rocprim17ROCPRIM_400000_NS6detail17trampoline_kernelINS0_14default_configENS1_20scan_config_selectorIdEEZZNS1_9scan_implILNS1_25lookback_scan_determinismE0ELb0ELb0ES3_N6thrust23THRUST_200600_302600_NS6detail15normal_iteratorINS9_10device_ptrIdEEEENS9_16discard_iteratorINS9_11use_defaultEEEdNS9_4plusIvEEdEEDaPvRmT3_T4_T5_mT6_P12ihipStream_tbENKUlT_T0_E_clISt17integral_constantIbLb0EESX_EEDaSS_ST_EUlSS_E0_NS1_11comp_targetILNS1_3genE9ELNS1_11target_archE1100ELNS1_3gpuE3ELNS1_3repE0EEENS1_30default_config_static_selectorELNS0_4arch9wavefront6targetE1EEEvT1_.kd
    .uniform_work_group_size: 1
    .uses_dynamic_stack: false
    .vgpr_count:     0
    .vgpr_spill_count: 0
    .wavefront_size: 64
  - .agpr_count:     0
    .args:
      - .offset:         0
        .size:           48
        .value_kind:     by_value
    .group_segment_fixed_size: 0
    .kernarg_segment_align: 8
    .kernarg_segment_size: 48
    .language:       OpenCL C
    .language_version:
      - 2
      - 0
    .max_flat_workgroup_size: 128
    .name:           _ZN7rocprim17ROCPRIM_400000_NS6detail17trampoline_kernelINS0_14default_configENS1_20scan_config_selectorIdEEZZNS1_9scan_implILNS1_25lookback_scan_determinismE0ELb0ELb0ES3_N6thrust23THRUST_200600_302600_NS6detail15normal_iteratorINS9_10device_ptrIdEEEENS9_16discard_iteratorINS9_11use_defaultEEEdNS9_4plusIvEEdEEDaPvRmT3_T4_T5_mT6_P12ihipStream_tbENKUlT_T0_E_clISt17integral_constantIbLb0EESX_EEDaSS_ST_EUlSS_E0_NS1_11comp_targetILNS1_3genE8ELNS1_11target_archE1030ELNS1_3gpuE2ELNS1_3repE0EEENS1_30default_config_static_selectorELNS0_4arch9wavefront6targetE1EEEvT1_
    .private_segment_fixed_size: 0
    .sgpr_count:     4
    .sgpr_spill_count: 0
    .symbol:         _ZN7rocprim17ROCPRIM_400000_NS6detail17trampoline_kernelINS0_14default_configENS1_20scan_config_selectorIdEEZZNS1_9scan_implILNS1_25lookback_scan_determinismE0ELb0ELb0ES3_N6thrust23THRUST_200600_302600_NS6detail15normal_iteratorINS9_10device_ptrIdEEEENS9_16discard_iteratorINS9_11use_defaultEEEdNS9_4plusIvEEdEEDaPvRmT3_T4_T5_mT6_P12ihipStream_tbENKUlT_T0_E_clISt17integral_constantIbLb0EESX_EEDaSS_ST_EUlSS_E0_NS1_11comp_targetILNS1_3genE8ELNS1_11target_archE1030ELNS1_3gpuE2ELNS1_3repE0EEENS1_30default_config_static_selectorELNS0_4arch9wavefront6targetE1EEEvT1_.kd
    .uniform_work_group_size: 1
    .uses_dynamic_stack: false
    .vgpr_count:     0
    .vgpr_spill_count: 0
    .wavefront_size: 64
  - .agpr_count:     0
    .args:
      - .offset:         0
        .size:           112
        .value_kind:     by_value
    .group_segment_fixed_size: 0
    .kernarg_segment_align: 8
    .kernarg_segment_size: 112
    .language:       OpenCL C
    .language_version:
      - 2
      - 0
    .max_flat_workgroup_size: 256
    .name:           _ZN7rocprim17ROCPRIM_400000_NS6detail17trampoline_kernelINS0_14default_configENS1_20scan_config_selectorIdEEZZNS1_9scan_implILNS1_25lookback_scan_determinismE0ELb0ELb0ES3_N6thrust23THRUST_200600_302600_NS6detail15normal_iteratorINS9_10device_ptrIdEEEENS9_16discard_iteratorINS9_11use_defaultEEEdNS9_4plusIvEEdEEDaPvRmT3_T4_T5_mT6_P12ihipStream_tbENKUlT_T0_E_clISt17integral_constantIbLb1EESX_EEDaSS_ST_EUlSS_E_NS1_11comp_targetILNS1_3genE0ELNS1_11target_archE4294967295ELNS1_3gpuE0ELNS1_3repE0EEENS1_30default_config_static_selectorELNS0_4arch9wavefront6targetE1EEEvT1_
    .private_segment_fixed_size: 0
    .sgpr_count:     4
    .sgpr_spill_count: 0
    .symbol:         _ZN7rocprim17ROCPRIM_400000_NS6detail17trampoline_kernelINS0_14default_configENS1_20scan_config_selectorIdEEZZNS1_9scan_implILNS1_25lookback_scan_determinismE0ELb0ELb0ES3_N6thrust23THRUST_200600_302600_NS6detail15normal_iteratorINS9_10device_ptrIdEEEENS9_16discard_iteratorINS9_11use_defaultEEEdNS9_4plusIvEEdEEDaPvRmT3_T4_T5_mT6_P12ihipStream_tbENKUlT_T0_E_clISt17integral_constantIbLb1EESX_EEDaSS_ST_EUlSS_E_NS1_11comp_targetILNS1_3genE0ELNS1_11target_archE4294967295ELNS1_3gpuE0ELNS1_3repE0EEENS1_30default_config_static_selectorELNS0_4arch9wavefront6targetE1EEEvT1_.kd
    .uniform_work_group_size: 1
    .uses_dynamic_stack: false
    .vgpr_count:     0
    .vgpr_spill_count: 0
    .wavefront_size: 64
  - .agpr_count:     0
    .args:
      - .offset:         0
        .size:           112
        .value_kind:     by_value
    .group_segment_fixed_size: 0
    .kernarg_segment_align: 8
    .kernarg_segment_size: 112
    .language:       OpenCL C
    .language_version:
      - 2
      - 0
    .max_flat_workgroup_size: 256
    .name:           _ZN7rocprim17ROCPRIM_400000_NS6detail17trampoline_kernelINS0_14default_configENS1_20scan_config_selectorIdEEZZNS1_9scan_implILNS1_25lookback_scan_determinismE0ELb0ELb0ES3_N6thrust23THRUST_200600_302600_NS6detail15normal_iteratorINS9_10device_ptrIdEEEENS9_16discard_iteratorINS9_11use_defaultEEEdNS9_4plusIvEEdEEDaPvRmT3_T4_T5_mT6_P12ihipStream_tbENKUlT_T0_E_clISt17integral_constantIbLb1EESX_EEDaSS_ST_EUlSS_E_NS1_11comp_targetILNS1_3genE5ELNS1_11target_archE942ELNS1_3gpuE9ELNS1_3repE0EEENS1_30default_config_static_selectorELNS0_4arch9wavefront6targetE1EEEvT1_
    .private_segment_fixed_size: 0
    .sgpr_count:     4
    .sgpr_spill_count: 0
    .symbol:         _ZN7rocprim17ROCPRIM_400000_NS6detail17trampoline_kernelINS0_14default_configENS1_20scan_config_selectorIdEEZZNS1_9scan_implILNS1_25lookback_scan_determinismE0ELb0ELb0ES3_N6thrust23THRUST_200600_302600_NS6detail15normal_iteratorINS9_10device_ptrIdEEEENS9_16discard_iteratorINS9_11use_defaultEEEdNS9_4plusIvEEdEEDaPvRmT3_T4_T5_mT6_P12ihipStream_tbENKUlT_T0_E_clISt17integral_constantIbLb1EESX_EEDaSS_ST_EUlSS_E_NS1_11comp_targetILNS1_3genE5ELNS1_11target_archE942ELNS1_3gpuE9ELNS1_3repE0EEENS1_30default_config_static_selectorELNS0_4arch9wavefront6targetE1EEEvT1_.kd
    .uniform_work_group_size: 1
    .uses_dynamic_stack: false
    .vgpr_count:     0
    .vgpr_spill_count: 0
    .wavefront_size: 64
  - .agpr_count:     0
    .args:
      - .offset:         0
        .size:           112
        .value_kind:     by_value
    .group_segment_fixed_size: 10240
    .kernarg_segment_align: 8
    .kernarg_segment_size: 112
    .language:       OpenCL C
    .language_version:
      - 2
      - 0
    .max_flat_workgroup_size: 128
    .name:           _ZN7rocprim17ROCPRIM_400000_NS6detail17trampoline_kernelINS0_14default_configENS1_20scan_config_selectorIdEEZZNS1_9scan_implILNS1_25lookback_scan_determinismE0ELb0ELb0ES3_N6thrust23THRUST_200600_302600_NS6detail15normal_iteratorINS9_10device_ptrIdEEEENS9_16discard_iteratorINS9_11use_defaultEEEdNS9_4plusIvEEdEEDaPvRmT3_T4_T5_mT6_P12ihipStream_tbENKUlT_T0_E_clISt17integral_constantIbLb1EESX_EEDaSS_ST_EUlSS_E_NS1_11comp_targetILNS1_3genE4ELNS1_11target_archE910ELNS1_3gpuE8ELNS1_3repE0EEENS1_30default_config_static_selectorELNS0_4arch9wavefront6targetE1EEEvT1_
    .private_segment_fixed_size: 0
    .sgpr_count:     35
    .sgpr_spill_count: 0
    .symbol:         _ZN7rocprim17ROCPRIM_400000_NS6detail17trampoline_kernelINS0_14default_configENS1_20scan_config_selectorIdEEZZNS1_9scan_implILNS1_25lookback_scan_determinismE0ELb0ELb0ES3_N6thrust23THRUST_200600_302600_NS6detail15normal_iteratorINS9_10device_ptrIdEEEENS9_16discard_iteratorINS9_11use_defaultEEEdNS9_4plusIvEEdEEDaPvRmT3_T4_T5_mT6_P12ihipStream_tbENKUlT_T0_E_clISt17integral_constantIbLb1EESX_EEDaSS_ST_EUlSS_E_NS1_11comp_targetILNS1_3genE4ELNS1_11target_archE910ELNS1_3gpuE8ELNS1_3repE0EEENS1_30default_config_static_selectorELNS0_4arch9wavefront6targetE1EEEvT1_.kd
    .uniform_work_group_size: 1
    .uses_dynamic_stack: false
    .vgpr_count:     66
    .vgpr_spill_count: 0
    .wavefront_size: 64
  - .agpr_count:     0
    .args:
      - .offset:         0
        .size:           112
        .value_kind:     by_value
    .group_segment_fixed_size: 0
    .kernarg_segment_align: 8
    .kernarg_segment_size: 112
    .language:       OpenCL C
    .language_version:
      - 2
      - 0
    .max_flat_workgroup_size: 256
    .name:           _ZN7rocprim17ROCPRIM_400000_NS6detail17trampoline_kernelINS0_14default_configENS1_20scan_config_selectorIdEEZZNS1_9scan_implILNS1_25lookback_scan_determinismE0ELb0ELb0ES3_N6thrust23THRUST_200600_302600_NS6detail15normal_iteratorINS9_10device_ptrIdEEEENS9_16discard_iteratorINS9_11use_defaultEEEdNS9_4plusIvEEdEEDaPvRmT3_T4_T5_mT6_P12ihipStream_tbENKUlT_T0_E_clISt17integral_constantIbLb1EESX_EEDaSS_ST_EUlSS_E_NS1_11comp_targetILNS1_3genE3ELNS1_11target_archE908ELNS1_3gpuE7ELNS1_3repE0EEENS1_30default_config_static_selectorELNS0_4arch9wavefront6targetE1EEEvT1_
    .private_segment_fixed_size: 0
    .sgpr_count:     4
    .sgpr_spill_count: 0
    .symbol:         _ZN7rocprim17ROCPRIM_400000_NS6detail17trampoline_kernelINS0_14default_configENS1_20scan_config_selectorIdEEZZNS1_9scan_implILNS1_25lookback_scan_determinismE0ELb0ELb0ES3_N6thrust23THRUST_200600_302600_NS6detail15normal_iteratorINS9_10device_ptrIdEEEENS9_16discard_iteratorINS9_11use_defaultEEEdNS9_4plusIvEEdEEDaPvRmT3_T4_T5_mT6_P12ihipStream_tbENKUlT_T0_E_clISt17integral_constantIbLb1EESX_EEDaSS_ST_EUlSS_E_NS1_11comp_targetILNS1_3genE3ELNS1_11target_archE908ELNS1_3gpuE7ELNS1_3repE0EEENS1_30default_config_static_selectorELNS0_4arch9wavefront6targetE1EEEvT1_.kd
    .uniform_work_group_size: 1
    .uses_dynamic_stack: false
    .vgpr_count:     0
    .vgpr_spill_count: 0
    .wavefront_size: 64
  - .agpr_count:     0
    .args:
      - .offset:         0
        .size:           112
        .value_kind:     by_value
    .group_segment_fixed_size: 0
    .kernarg_segment_align: 8
    .kernarg_segment_size: 112
    .language:       OpenCL C
    .language_version:
      - 2
      - 0
    .max_flat_workgroup_size: 128
    .name:           _ZN7rocprim17ROCPRIM_400000_NS6detail17trampoline_kernelINS0_14default_configENS1_20scan_config_selectorIdEEZZNS1_9scan_implILNS1_25lookback_scan_determinismE0ELb0ELb0ES3_N6thrust23THRUST_200600_302600_NS6detail15normal_iteratorINS9_10device_ptrIdEEEENS9_16discard_iteratorINS9_11use_defaultEEEdNS9_4plusIvEEdEEDaPvRmT3_T4_T5_mT6_P12ihipStream_tbENKUlT_T0_E_clISt17integral_constantIbLb1EESX_EEDaSS_ST_EUlSS_E_NS1_11comp_targetILNS1_3genE2ELNS1_11target_archE906ELNS1_3gpuE6ELNS1_3repE0EEENS1_30default_config_static_selectorELNS0_4arch9wavefront6targetE1EEEvT1_
    .private_segment_fixed_size: 0
    .sgpr_count:     4
    .sgpr_spill_count: 0
    .symbol:         _ZN7rocprim17ROCPRIM_400000_NS6detail17trampoline_kernelINS0_14default_configENS1_20scan_config_selectorIdEEZZNS1_9scan_implILNS1_25lookback_scan_determinismE0ELb0ELb0ES3_N6thrust23THRUST_200600_302600_NS6detail15normal_iteratorINS9_10device_ptrIdEEEENS9_16discard_iteratorINS9_11use_defaultEEEdNS9_4plusIvEEdEEDaPvRmT3_T4_T5_mT6_P12ihipStream_tbENKUlT_T0_E_clISt17integral_constantIbLb1EESX_EEDaSS_ST_EUlSS_E_NS1_11comp_targetILNS1_3genE2ELNS1_11target_archE906ELNS1_3gpuE6ELNS1_3repE0EEENS1_30default_config_static_selectorELNS0_4arch9wavefront6targetE1EEEvT1_.kd
    .uniform_work_group_size: 1
    .uses_dynamic_stack: false
    .vgpr_count:     0
    .vgpr_spill_count: 0
    .wavefront_size: 64
  - .agpr_count:     0
    .args:
      - .offset:         0
        .size:           112
        .value_kind:     by_value
    .group_segment_fixed_size: 0
    .kernarg_segment_align: 8
    .kernarg_segment_size: 112
    .language:       OpenCL C
    .language_version:
      - 2
      - 0
    .max_flat_workgroup_size: 256
    .name:           _ZN7rocprim17ROCPRIM_400000_NS6detail17trampoline_kernelINS0_14default_configENS1_20scan_config_selectorIdEEZZNS1_9scan_implILNS1_25lookback_scan_determinismE0ELb0ELb0ES3_N6thrust23THRUST_200600_302600_NS6detail15normal_iteratorINS9_10device_ptrIdEEEENS9_16discard_iteratorINS9_11use_defaultEEEdNS9_4plusIvEEdEEDaPvRmT3_T4_T5_mT6_P12ihipStream_tbENKUlT_T0_E_clISt17integral_constantIbLb1EESX_EEDaSS_ST_EUlSS_E_NS1_11comp_targetILNS1_3genE10ELNS1_11target_archE1201ELNS1_3gpuE5ELNS1_3repE0EEENS1_30default_config_static_selectorELNS0_4arch9wavefront6targetE1EEEvT1_
    .private_segment_fixed_size: 0
    .sgpr_count:     4
    .sgpr_spill_count: 0
    .symbol:         _ZN7rocprim17ROCPRIM_400000_NS6detail17trampoline_kernelINS0_14default_configENS1_20scan_config_selectorIdEEZZNS1_9scan_implILNS1_25lookback_scan_determinismE0ELb0ELb0ES3_N6thrust23THRUST_200600_302600_NS6detail15normal_iteratorINS9_10device_ptrIdEEEENS9_16discard_iteratorINS9_11use_defaultEEEdNS9_4plusIvEEdEEDaPvRmT3_T4_T5_mT6_P12ihipStream_tbENKUlT_T0_E_clISt17integral_constantIbLb1EESX_EEDaSS_ST_EUlSS_E_NS1_11comp_targetILNS1_3genE10ELNS1_11target_archE1201ELNS1_3gpuE5ELNS1_3repE0EEENS1_30default_config_static_selectorELNS0_4arch9wavefront6targetE1EEEvT1_.kd
    .uniform_work_group_size: 1
    .uses_dynamic_stack: false
    .vgpr_count:     0
    .vgpr_spill_count: 0
    .wavefront_size: 64
  - .agpr_count:     0
    .args:
      - .offset:         0
        .size:           112
        .value_kind:     by_value
    .group_segment_fixed_size: 0
    .kernarg_segment_align: 8
    .kernarg_segment_size: 112
    .language:       OpenCL C
    .language_version:
      - 2
      - 0
    .max_flat_workgroup_size: 256
    .name:           _ZN7rocprim17ROCPRIM_400000_NS6detail17trampoline_kernelINS0_14default_configENS1_20scan_config_selectorIdEEZZNS1_9scan_implILNS1_25lookback_scan_determinismE0ELb0ELb0ES3_N6thrust23THRUST_200600_302600_NS6detail15normal_iteratorINS9_10device_ptrIdEEEENS9_16discard_iteratorINS9_11use_defaultEEEdNS9_4plusIvEEdEEDaPvRmT3_T4_T5_mT6_P12ihipStream_tbENKUlT_T0_E_clISt17integral_constantIbLb1EESX_EEDaSS_ST_EUlSS_E_NS1_11comp_targetILNS1_3genE10ELNS1_11target_archE1200ELNS1_3gpuE4ELNS1_3repE0EEENS1_30default_config_static_selectorELNS0_4arch9wavefront6targetE1EEEvT1_
    .private_segment_fixed_size: 0
    .sgpr_count:     4
    .sgpr_spill_count: 0
    .symbol:         _ZN7rocprim17ROCPRIM_400000_NS6detail17trampoline_kernelINS0_14default_configENS1_20scan_config_selectorIdEEZZNS1_9scan_implILNS1_25lookback_scan_determinismE0ELb0ELb0ES3_N6thrust23THRUST_200600_302600_NS6detail15normal_iteratorINS9_10device_ptrIdEEEENS9_16discard_iteratorINS9_11use_defaultEEEdNS9_4plusIvEEdEEDaPvRmT3_T4_T5_mT6_P12ihipStream_tbENKUlT_T0_E_clISt17integral_constantIbLb1EESX_EEDaSS_ST_EUlSS_E_NS1_11comp_targetILNS1_3genE10ELNS1_11target_archE1200ELNS1_3gpuE4ELNS1_3repE0EEENS1_30default_config_static_selectorELNS0_4arch9wavefront6targetE1EEEvT1_.kd
    .uniform_work_group_size: 1
    .uses_dynamic_stack: false
    .vgpr_count:     0
    .vgpr_spill_count: 0
    .wavefront_size: 64
  - .agpr_count:     0
    .args:
      - .offset:         0
        .size:           112
        .value_kind:     by_value
    .group_segment_fixed_size: 0
    .kernarg_segment_align: 8
    .kernarg_segment_size: 112
    .language:       OpenCL C
    .language_version:
      - 2
      - 0
    .max_flat_workgroup_size: 256
    .name:           _ZN7rocprim17ROCPRIM_400000_NS6detail17trampoline_kernelINS0_14default_configENS1_20scan_config_selectorIdEEZZNS1_9scan_implILNS1_25lookback_scan_determinismE0ELb0ELb0ES3_N6thrust23THRUST_200600_302600_NS6detail15normal_iteratorINS9_10device_ptrIdEEEENS9_16discard_iteratorINS9_11use_defaultEEEdNS9_4plusIvEEdEEDaPvRmT3_T4_T5_mT6_P12ihipStream_tbENKUlT_T0_E_clISt17integral_constantIbLb1EESX_EEDaSS_ST_EUlSS_E_NS1_11comp_targetILNS1_3genE9ELNS1_11target_archE1100ELNS1_3gpuE3ELNS1_3repE0EEENS1_30default_config_static_selectorELNS0_4arch9wavefront6targetE1EEEvT1_
    .private_segment_fixed_size: 0
    .sgpr_count:     4
    .sgpr_spill_count: 0
    .symbol:         _ZN7rocprim17ROCPRIM_400000_NS6detail17trampoline_kernelINS0_14default_configENS1_20scan_config_selectorIdEEZZNS1_9scan_implILNS1_25lookback_scan_determinismE0ELb0ELb0ES3_N6thrust23THRUST_200600_302600_NS6detail15normal_iteratorINS9_10device_ptrIdEEEENS9_16discard_iteratorINS9_11use_defaultEEEdNS9_4plusIvEEdEEDaPvRmT3_T4_T5_mT6_P12ihipStream_tbENKUlT_T0_E_clISt17integral_constantIbLb1EESX_EEDaSS_ST_EUlSS_E_NS1_11comp_targetILNS1_3genE9ELNS1_11target_archE1100ELNS1_3gpuE3ELNS1_3repE0EEENS1_30default_config_static_selectorELNS0_4arch9wavefront6targetE1EEEvT1_.kd
    .uniform_work_group_size: 1
    .uses_dynamic_stack: false
    .vgpr_count:     0
    .vgpr_spill_count: 0
    .wavefront_size: 64
  - .agpr_count:     0
    .args:
      - .offset:         0
        .size:           112
        .value_kind:     by_value
    .group_segment_fixed_size: 0
    .kernarg_segment_align: 8
    .kernarg_segment_size: 112
    .language:       OpenCL C
    .language_version:
      - 2
      - 0
    .max_flat_workgroup_size: 128
    .name:           _ZN7rocprim17ROCPRIM_400000_NS6detail17trampoline_kernelINS0_14default_configENS1_20scan_config_selectorIdEEZZNS1_9scan_implILNS1_25lookback_scan_determinismE0ELb0ELb0ES3_N6thrust23THRUST_200600_302600_NS6detail15normal_iteratorINS9_10device_ptrIdEEEENS9_16discard_iteratorINS9_11use_defaultEEEdNS9_4plusIvEEdEEDaPvRmT3_T4_T5_mT6_P12ihipStream_tbENKUlT_T0_E_clISt17integral_constantIbLb1EESX_EEDaSS_ST_EUlSS_E_NS1_11comp_targetILNS1_3genE8ELNS1_11target_archE1030ELNS1_3gpuE2ELNS1_3repE0EEENS1_30default_config_static_selectorELNS0_4arch9wavefront6targetE1EEEvT1_
    .private_segment_fixed_size: 0
    .sgpr_count:     4
    .sgpr_spill_count: 0
    .symbol:         _ZN7rocprim17ROCPRIM_400000_NS6detail17trampoline_kernelINS0_14default_configENS1_20scan_config_selectorIdEEZZNS1_9scan_implILNS1_25lookback_scan_determinismE0ELb0ELb0ES3_N6thrust23THRUST_200600_302600_NS6detail15normal_iteratorINS9_10device_ptrIdEEEENS9_16discard_iteratorINS9_11use_defaultEEEdNS9_4plusIvEEdEEDaPvRmT3_T4_T5_mT6_P12ihipStream_tbENKUlT_T0_E_clISt17integral_constantIbLb1EESX_EEDaSS_ST_EUlSS_E_NS1_11comp_targetILNS1_3genE8ELNS1_11target_archE1030ELNS1_3gpuE2ELNS1_3repE0EEENS1_30default_config_static_selectorELNS0_4arch9wavefront6targetE1EEEvT1_.kd
    .uniform_work_group_size: 1
    .uses_dynamic_stack: false
    .vgpr_count:     0
    .vgpr_spill_count: 0
    .wavefront_size: 64
  - .agpr_count:     0
    .args:
      - .offset:         0
        .size:           48
        .value_kind:     by_value
    .group_segment_fixed_size: 0
    .kernarg_segment_align: 8
    .kernarg_segment_size: 48
    .language:       OpenCL C
    .language_version:
      - 2
      - 0
    .max_flat_workgroup_size: 256
    .name:           _ZN7rocprim17ROCPRIM_400000_NS6detail17trampoline_kernelINS0_14default_configENS1_20scan_config_selectorIdEEZZNS1_9scan_implILNS1_25lookback_scan_determinismE0ELb0ELb0ES3_N6thrust23THRUST_200600_302600_NS6detail15normal_iteratorINS9_10device_ptrIdEEEENS9_16discard_iteratorINS9_11use_defaultEEEdNS9_4plusIvEEdEEDaPvRmT3_T4_T5_mT6_P12ihipStream_tbENKUlT_T0_E_clISt17integral_constantIbLb1EESX_EEDaSS_ST_EUlSS_E0_NS1_11comp_targetILNS1_3genE0ELNS1_11target_archE4294967295ELNS1_3gpuE0ELNS1_3repE0EEENS1_30default_config_static_selectorELNS0_4arch9wavefront6targetE1EEEvT1_
    .private_segment_fixed_size: 0
    .sgpr_count:     4
    .sgpr_spill_count: 0
    .symbol:         _ZN7rocprim17ROCPRIM_400000_NS6detail17trampoline_kernelINS0_14default_configENS1_20scan_config_selectorIdEEZZNS1_9scan_implILNS1_25lookback_scan_determinismE0ELb0ELb0ES3_N6thrust23THRUST_200600_302600_NS6detail15normal_iteratorINS9_10device_ptrIdEEEENS9_16discard_iteratorINS9_11use_defaultEEEdNS9_4plusIvEEdEEDaPvRmT3_T4_T5_mT6_P12ihipStream_tbENKUlT_T0_E_clISt17integral_constantIbLb1EESX_EEDaSS_ST_EUlSS_E0_NS1_11comp_targetILNS1_3genE0ELNS1_11target_archE4294967295ELNS1_3gpuE0ELNS1_3repE0EEENS1_30default_config_static_selectorELNS0_4arch9wavefront6targetE1EEEvT1_.kd
    .uniform_work_group_size: 1
    .uses_dynamic_stack: false
    .vgpr_count:     0
    .vgpr_spill_count: 0
    .wavefront_size: 64
  - .agpr_count:     0
    .args:
      - .offset:         0
        .size:           48
        .value_kind:     by_value
    .group_segment_fixed_size: 0
    .kernarg_segment_align: 8
    .kernarg_segment_size: 48
    .language:       OpenCL C
    .language_version:
      - 2
      - 0
    .max_flat_workgroup_size: 256
    .name:           _ZN7rocprim17ROCPRIM_400000_NS6detail17trampoline_kernelINS0_14default_configENS1_20scan_config_selectorIdEEZZNS1_9scan_implILNS1_25lookback_scan_determinismE0ELb0ELb0ES3_N6thrust23THRUST_200600_302600_NS6detail15normal_iteratorINS9_10device_ptrIdEEEENS9_16discard_iteratorINS9_11use_defaultEEEdNS9_4plusIvEEdEEDaPvRmT3_T4_T5_mT6_P12ihipStream_tbENKUlT_T0_E_clISt17integral_constantIbLb1EESX_EEDaSS_ST_EUlSS_E0_NS1_11comp_targetILNS1_3genE5ELNS1_11target_archE942ELNS1_3gpuE9ELNS1_3repE0EEENS1_30default_config_static_selectorELNS0_4arch9wavefront6targetE1EEEvT1_
    .private_segment_fixed_size: 0
    .sgpr_count:     4
    .sgpr_spill_count: 0
    .symbol:         _ZN7rocprim17ROCPRIM_400000_NS6detail17trampoline_kernelINS0_14default_configENS1_20scan_config_selectorIdEEZZNS1_9scan_implILNS1_25lookback_scan_determinismE0ELb0ELb0ES3_N6thrust23THRUST_200600_302600_NS6detail15normal_iteratorINS9_10device_ptrIdEEEENS9_16discard_iteratorINS9_11use_defaultEEEdNS9_4plusIvEEdEEDaPvRmT3_T4_T5_mT6_P12ihipStream_tbENKUlT_T0_E_clISt17integral_constantIbLb1EESX_EEDaSS_ST_EUlSS_E0_NS1_11comp_targetILNS1_3genE5ELNS1_11target_archE942ELNS1_3gpuE9ELNS1_3repE0EEENS1_30default_config_static_selectorELNS0_4arch9wavefront6targetE1EEEvT1_.kd
    .uniform_work_group_size: 1
    .uses_dynamic_stack: false
    .vgpr_count:     0
    .vgpr_spill_count: 0
    .wavefront_size: 64
  - .agpr_count:     0
    .args:
      - .offset:         0
        .size:           48
        .value_kind:     by_value
    .group_segment_fixed_size: 10240
    .kernarg_segment_align: 8
    .kernarg_segment_size: 48
    .language:       OpenCL C
    .language_version:
      - 2
      - 0
    .max_flat_workgroup_size: 128
    .name:           _ZN7rocprim17ROCPRIM_400000_NS6detail17trampoline_kernelINS0_14default_configENS1_20scan_config_selectorIdEEZZNS1_9scan_implILNS1_25lookback_scan_determinismE0ELb0ELb0ES3_N6thrust23THRUST_200600_302600_NS6detail15normal_iteratorINS9_10device_ptrIdEEEENS9_16discard_iteratorINS9_11use_defaultEEEdNS9_4plusIvEEdEEDaPvRmT3_T4_T5_mT6_P12ihipStream_tbENKUlT_T0_E_clISt17integral_constantIbLb1EESX_EEDaSS_ST_EUlSS_E0_NS1_11comp_targetILNS1_3genE4ELNS1_11target_archE910ELNS1_3gpuE8ELNS1_3repE0EEENS1_30default_config_static_selectorELNS0_4arch9wavefront6targetE1EEEvT1_
    .private_segment_fixed_size: 0
    .sgpr_count:     12
    .sgpr_spill_count: 0
    .symbol:         _ZN7rocprim17ROCPRIM_400000_NS6detail17trampoline_kernelINS0_14default_configENS1_20scan_config_selectorIdEEZZNS1_9scan_implILNS1_25lookback_scan_determinismE0ELb0ELb0ES3_N6thrust23THRUST_200600_302600_NS6detail15normal_iteratorINS9_10device_ptrIdEEEENS9_16discard_iteratorINS9_11use_defaultEEEdNS9_4plusIvEEdEEDaPvRmT3_T4_T5_mT6_P12ihipStream_tbENKUlT_T0_E_clISt17integral_constantIbLb1EESX_EEDaSS_ST_EUlSS_E0_NS1_11comp_targetILNS1_3genE4ELNS1_11target_archE910ELNS1_3gpuE8ELNS1_3repE0EEENS1_30default_config_static_selectorELNS0_4arch9wavefront6targetE1EEEvT1_.kd
    .uniform_work_group_size: 1
    .uses_dynamic_stack: false
    .vgpr_count:     49
    .vgpr_spill_count: 0
    .wavefront_size: 64
  - .agpr_count:     0
    .args:
      - .offset:         0
        .size:           48
        .value_kind:     by_value
    .group_segment_fixed_size: 0
    .kernarg_segment_align: 8
    .kernarg_segment_size: 48
    .language:       OpenCL C
    .language_version:
      - 2
      - 0
    .max_flat_workgroup_size: 256
    .name:           _ZN7rocprim17ROCPRIM_400000_NS6detail17trampoline_kernelINS0_14default_configENS1_20scan_config_selectorIdEEZZNS1_9scan_implILNS1_25lookback_scan_determinismE0ELb0ELb0ES3_N6thrust23THRUST_200600_302600_NS6detail15normal_iteratorINS9_10device_ptrIdEEEENS9_16discard_iteratorINS9_11use_defaultEEEdNS9_4plusIvEEdEEDaPvRmT3_T4_T5_mT6_P12ihipStream_tbENKUlT_T0_E_clISt17integral_constantIbLb1EESX_EEDaSS_ST_EUlSS_E0_NS1_11comp_targetILNS1_3genE3ELNS1_11target_archE908ELNS1_3gpuE7ELNS1_3repE0EEENS1_30default_config_static_selectorELNS0_4arch9wavefront6targetE1EEEvT1_
    .private_segment_fixed_size: 0
    .sgpr_count:     4
    .sgpr_spill_count: 0
    .symbol:         _ZN7rocprim17ROCPRIM_400000_NS6detail17trampoline_kernelINS0_14default_configENS1_20scan_config_selectorIdEEZZNS1_9scan_implILNS1_25lookback_scan_determinismE0ELb0ELb0ES3_N6thrust23THRUST_200600_302600_NS6detail15normal_iteratorINS9_10device_ptrIdEEEENS9_16discard_iteratorINS9_11use_defaultEEEdNS9_4plusIvEEdEEDaPvRmT3_T4_T5_mT6_P12ihipStream_tbENKUlT_T0_E_clISt17integral_constantIbLb1EESX_EEDaSS_ST_EUlSS_E0_NS1_11comp_targetILNS1_3genE3ELNS1_11target_archE908ELNS1_3gpuE7ELNS1_3repE0EEENS1_30default_config_static_selectorELNS0_4arch9wavefront6targetE1EEEvT1_.kd
    .uniform_work_group_size: 1
    .uses_dynamic_stack: false
    .vgpr_count:     0
    .vgpr_spill_count: 0
    .wavefront_size: 64
  - .agpr_count:     0
    .args:
      - .offset:         0
        .size:           48
        .value_kind:     by_value
    .group_segment_fixed_size: 0
    .kernarg_segment_align: 8
    .kernarg_segment_size: 48
    .language:       OpenCL C
    .language_version:
      - 2
      - 0
    .max_flat_workgroup_size: 128
    .name:           _ZN7rocprim17ROCPRIM_400000_NS6detail17trampoline_kernelINS0_14default_configENS1_20scan_config_selectorIdEEZZNS1_9scan_implILNS1_25lookback_scan_determinismE0ELb0ELb0ES3_N6thrust23THRUST_200600_302600_NS6detail15normal_iteratorINS9_10device_ptrIdEEEENS9_16discard_iteratorINS9_11use_defaultEEEdNS9_4plusIvEEdEEDaPvRmT3_T4_T5_mT6_P12ihipStream_tbENKUlT_T0_E_clISt17integral_constantIbLb1EESX_EEDaSS_ST_EUlSS_E0_NS1_11comp_targetILNS1_3genE2ELNS1_11target_archE906ELNS1_3gpuE6ELNS1_3repE0EEENS1_30default_config_static_selectorELNS0_4arch9wavefront6targetE1EEEvT1_
    .private_segment_fixed_size: 0
    .sgpr_count:     4
    .sgpr_spill_count: 0
    .symbol:         _ZN7rocprim17ROCPRIM_400000_NS6detail17trampoline_kernelINS0_14default_configENS1_20scan_config_selectorIdEEZZNS1_9scan_implILNS1_25lookback_scan_determinismE0ELb0ELb0ES3_N6thrust23THRUST_200600_302600_NS6detail15normal_iteratorINS9_10device_ptrIdEEEENS9_16discard_iteratorINS9_11use_defaultEEEdNS9_4plusIvEEdEEDaPvRmT3_T4_T5_mT6_P12ihipStream_tbENKUlT_T0_E_clISt17integral_constantIbLb1EESX_EEDaSS_ST_EUlSS_E0_NS1_11comp_targetILNS1_3genE2ELNS1_11target_archE906ELNS1_3gpuE6ELNS1_3repE0EEENS1_30default_config_static_selectorELNS0_4arch9wavefront6targetE1EEEvT1_.kd
    .uniform_work_group_size: 1
    .uses_dynamic_stack: false
    .vgpr_count:     0
    .vgpr_spill_count: 0
    .wavefront_size: 64
  - .agpr_count:     0
    .args:
      - .offset:         0
        .size:           48
        .value_kind:     by_value
    .group_segment_fixed_size: 0
    .kernarg_segment_align: 8
    .kernarg_segment_size: 48
    .language:       OpenCL C
    .language_version:
      - 2
      - 0
    .max_flat_workgroup_size: 256
    .name:           _ZN7rocprim17ROCPRIM_400000_NS6detail17trampoline_kernelINS0_14default_configENS1_20scan_config_selectorIdEEZZNS1_9scan_implILNS1_25lookback_scan_determinismE0ELb0ELb0ES3_N6thrust23THRUST_200600_302600_NS6detail15normal_iteratorINS9_10device_ptrIdEEEENS9_16discard_iteratorINS9_11use_defaultEEEdNS9_4plusIvEEdEEDaPvRmT3_T4_T5_mT6_P12ihipStream_tbENKUlT_T0_E_clISt17integral_constantIbLb1EESX_EEDaSS_ST_EUlSS_E0_NS1_11comp_targetILNS1_3genE10ELNS1_11target_archE1201ELNS1_3gpuE5ELNS1_3repE0EEENS1_30default_config_static_selectorELNS0_4arch9wavefront6targetE1EEEvT1_
    .private_segment_fixed_size: 0
    .sgpr_count:     4
    .sgpr_spill_count: 0
    .symbol:         _ZN7rocprim17ROCPRIM_400000_NS6detail17trampoline_kernelINS0_14default_configENS1_20scan_config_selectorIdEEZZNS1_9scan_implILNS1_25lookback_scan_determinismE0ELb0ELb0ES3_N6thrust23THRUST_200600_302600_NS6detail15normal_iteratorINS9_10device_ptrIdEEEENS9_16discard_iteratorINS9_11use_defaultEEEdNS9_4plusIvEEdEEDaPvRmT3_T4_T5_mT6_P12ihipStream_tbENKUlT_T0_E_clISt17integral_constantIbLb1EESX_EEDaSS_ST_EUlSS_E0_NS1_11comp_targetILNS1_3genE10ELNS1_11target_archE1201ELNS1_3gpuE5ELNS1_3repE0EEENS1_30default_config_static_selectorELNS0_4arch9wavefront6targetE1EEEvT1_.kd
    .uniform_work_group_size: 1
    .uses_dynamic_stack: false
    .vgpr_count:     0
    .vgpr_spill_count: 0
    .wavefront_size: 64
  - .agpr_count:     0
    .args:
      - .offset:         0
        .size:           48
        .value_kind:     by_value
    .group_segment_fixed_size: 0
    .kernarg_segment_align: 8
    .kernarg_segment_size: 48
    .language:       OpenCL C
    .language_version:
      - 2
      - 0
    .max_flat_workgroup_size: 256
    .name:           _ZN7rocprim17ROCPRIM_400000_NS6detail17trampoline_kernelINS0_14default_configENS1_20scan_config_selectorIdEEZZNS1_9scan_implILNS1_25lookback_scan_determinismE0ELb0ELb0ES3_N6thrust23THRUST_200600_302600_NS6detail15normal_iteratorINS9_10device_ptrIdEEEENS9_16discard_iteratorINS9_11use_defaultEEEdNS9_4plusIvEEdEEDaPvRmT3_T4_T5_mT6_P12ihipStream_tbENKUlT_T0_E_clISt17integral_constantIbLb1EESX_EEDaSS_ST_EUlSS_E0_NS1_11comp_targetILNS1_3genE10ELNS1_11target_archE1200ELNS1_3gpuE4ELNS1_3repE0EEENS1_30default_config_static_selectorELNS0_4arch9wavefront6targetE1EEEvT1_
    .private_segment_fixed_size: 0
    .sgpr_count:     4
    .sgpr_spill_count: 0
    .symbol:         _ZN7rocprim17ROCPRIM_400000_NS6detail17trampoline_kernelINS0_14default_configENS1_20scan_config_selectorIdEEZZNS1_9scan_implILNS1_25lookback_scan_determinismE0ELb0ELb0ES3_N6thrust23THRUST_200600_302600_NS6detail15normal_iteratorINS9_10device_ptrIdEEEENS9_16discard_iteratorINS9_11use_defaultEEEdNS9_4plusIvEEdEEDaPvRmT3_T4_T5_mT6_P12ihipStream_tbENKUlT_T0_E_clISt17integral_constantIbLb1EESX_EEDaSS_ST_EUlSS_E0_NS1_11comp_targetILNS1_3genE10ELNS1_11target_archE1200ELNS1_3gpuE4ELNS1_3repE0EEENS1_30default_config_static_selectorELNS0_4arch9wavefront6targetE1EEEvT1_.kd
    .uniform_work_group_size: 1
    .uses_dynamic_stack: false
    .vgpr_count:     0
    .vgpr_spill_count: 0
    .wavefront_size: 64
  - .agpr_count:     0
    .args:
      - .offset:         0
        .size:           48
        .value_kind:     by_value
    .group_segment_fixed_size: 0
    .kernarg_segment_align: 8
    .kernarg_segment_size: 48
    .language:       OpenCL C
    .language_version:
      - 2
      - 0
    .max_flat_workgroup_size: 256
    .name:           _ZN7rocprim17ROCPRIM_400000_NS6detail17trampoline_kernelINS0_14default_configENS1_20scan_config_selectorIdEEZZNS1_9scan_implILNS1_25lookback_scan_determinismE0ELb0ELb0ES3_N6thrust23THRUST_200600_302600_NS6detail15normal_iteratorINS9_10device_ptrIdEEEENS9_16discard_iteratorINS9_11use_defaultEEEdNS9_4plusIvEEdEEDaPvRmT3_T4_T5_mT6_P12ihipStream_tbENKUlT_T0_E_clISt17integral_constantIbLb1EESX_EEDaSS_ST_EUlSS_E0_NS1_11comp_targetILNS1_3genE9ELNS1_11target_archE1100ELNS1_3gpuE3ELNS1_3repE0EEENS1_30default_config_static_selectorELNS0_4arch9wavefront6targetE1EEEvT1_
    .private_segment_fixed_size: 0
    .sgpr_count:     4
    .sgpr_spill_count: 0
    .symbol:         _ZN7rocprim17ROCPRIM_400000_NS6detail17trampoline_kernelINS0_14default_configENS1_20scan_config_selectorIdEEZZNS1_9scan_implILNS1_25lookback_scan_determinismE0ELb0ELb0ES3_N6thrust23THRUST_200600_302600_NS6detail15normal_iteratorINS9_10device_ptrIdEEEENS9_16discard_iteratorINS9_11use_defaultEEEdNS9_4plusIvEEdEEDaPvRmT3_T4_T5_mT6_P12ihipStream_tbENKUlT_T0_E_clISt17integral_constantIbLb1EESX_EEDaSS_ST_EUlSS_E0_NS1_11comp_targetILNS1_3genE9ELNS1_11target_archE1100ELNS1_3gpuE3ELNS1_3repE0EEENS1_30default_config_static_selectorELNS0_4arch9wavefront6targetE1EEEvT1_.kd
    .uniform_work_group_size: 1
    .uses_dynamic_stack: false
    .vgpr_count:     0
    .vgpr_spill_count: 0
    .wavefront_size: 64
  - .agpr_count:     0
    .args:
      - .offset:         0
        .size:           48
        .value_kind:     by_value
    .group_segment_fixed_size: 0
    .kernarg_segment_align: 8
    .kernarg_segment_size: 48
    .language:       OpenCL C
    .language_version:
      - 2
      - 0
    .max_flat_workgroup_size: 128
    .name:           _ZN7rocprim17ROCPRIM_400000_NS6detail17trampoline_kernelINS0_14default_configENS1_20scan_config_selectorIdEEZZNS1_9scan_implILNS1_25lookback_scan_determinismE0ELb0ELb0ES3_N6thrust23THRUST_200600_302600_NS6detail15normal_iteratorINS9_10device_ptrIdEEEENS9_16discard_iteratorINS9_11use_defaultEEEdNS9_4plusIvEEdEEDaPvRmT3_T4_T5_mT6_P12ihipStream_tbENKUlT_T0_E_clISt17integral_constantIbLb1EESX_EEDaSS_ST_EUlSS_E0_NS1_11comp_targetILNS1_3genE8ELNS1_11target_archE1030ELNS1_3gpuE2ELNS1_3repE0EEENS1_30default_config_static_selectorELNS0_4arch9wavefront6targetE1EEEvT1_
    .private_segment_fixed_size: 0
    .sgpr_count:     4
    .sgpr_spill_count: 0
    .symbol:         _ZN7rocprim17ROCPRIM_400000_NS6detail17trampoline_kernelINS0_14default_configENS1_20scan_config_selectorIdEEZZNS1_9scan_implILNS1_25lookback_scan_determinismE0ELb0ELb0ES3_N6thrust23THRUST_200600_302600_NS6detail15normal_iteratorINS9_10device_ptrIdEEEENS9_16discard_iteratorINS9_11use_defaultEEEdNS9_4plusIvEEdEEDaPvRmT3_T4_T5_mT6_P12ihipStream_tbENKUlT_T0_E_clISt17integral_constantIbLb1EESX_EEDaSS_ST_EUlSS_E0_NS1_11comp_targetILNS1_3genE8ELNS1_11target_archE1030ELNS1_3gpuE2ELNS1_3repE0EEENS1_30default_config_static_selectorELNS0_4arch9wavefront6targetE1EEEvT1_.kd
    .uniform_work_group_size: 1
    .uses_dynamic_stack: false
    .vgpr_count:     0
    .vgpr_spill_count: 0
    .wavefront_size: 64
  - .agpr_count:     0
    .args:
      - .offset:         0
        .size:           112
        .value_kind:     by_value
    .group_segment_fixed_size: 0
    .kernarg_segment_align: 8
    .kernarg_segment_size: 112
    .language:       OpenCL C
    .language_version:
      - 2
      - 0
    .max_flat_workgroup_size: 256
    .name:           _ZN7rocprim17ROCPRIM_400000_NS6detail17trampoline_kernelINS0_14default_configENS1_20scan_config_selectorIdEEZZNS1_9scan_implILNS1_25lookback_scan_determinismE0ELb0ELb0ES3_N6thrust23THRUST_200600_302600_NS6detail15normal_iteratorINS9_10device_ptrIdEEEENS9_16discard_iteratorINS9_11use_defaultEEEdNS9_4plusIvEEdEEDaPvRmT3_T4_T5_mT6_P12ihipStream_tbENKUlT_T0_E_clISt17integral_constantIbLb1EESW_IbLb0EEEEDaSS_ST_EUlSS_E_NS1_11comp_targetILNS1_3genE0ELNS1_11target_archE4294967295ELNS1_3gpuE0ELNS1_3repE0EEENS1_30default_config_static_selectorELNS0_4arch9wavefront6targetE1EEEvT1_
    .private_segment_fixed_size: 0
    .sgpr_count:     4
    .sgpr_spill_count: 0
    .symbol:         _ZN7rocprim17ROCPRIM_400000_NS6detail17trampoline_kernelINS0_14default_configENS1_20scan_config_selectorIdEEZZNS1_9scan_implILNS1_25lookback_scan_determinismE0ELb0ELb0ES3_N6thrust23THRUST_200600_302600_NS6detail15normal_iteratorINS9_10device_ptrIdEEEENS9_16discard_iteratorINS9_11use_defaultEEEdNS9_4plusIvEEdEEDaPvRmT3_T4_T5_mT6_P12ihipStream_tbENKUlT_T0_E_clISt17integral_constantIbLb1EESW_IbLb0EEEEDaSS_ST_EUlSS_E_NS1_11comp_targetILNS1_3genE0ELNS1_11target_archE4294967295ELNS1_3gpuE0ELNS1_3repE0EEENS1_30default_config_static_selectorELNS0_4arch9wavefront6targetE1EEEvT1_.kd
    .uniform_work_group_size: 1
    .uses_dynamic_stack: false
    .vgpr_count:     0
    .vgpr_spill_count: 0
    .wavefront_size: 64
  - .agpr_count:     0
    .args:
      - .offset:         0
        .size:           112
        .value_kind:     by_value
    .group_segment_fixed_size: 0
    .kernarg_segment_align: 8
    .kernarg_segment_size: 112
    .language:       OpenCL C
    .language_version:
      - 2
      - 0
    .max_flat_workgroup_size: 256
    .name:           _ZN7rocprim17ROCPRIM_400000_NS6detail17trampoline_kernelINS0_14default_configENS1_20scan_config_selectorIdEEZZNS1_9scan_implILNS1_25lookback_scan_determinismE0ELb0ELb0ES3_N6thrust23THRUST_200600_302600_NS6detail15normal_iteratorINS9_10device_ptrIdEEEENS9_16discard_iteratorINS9_11use_defaultEEEdNS9_4plusIvEEdEEDaPvRmT3_T4_T5_mT6_P12ihipStream_tbENKUlT_T0_E_clISt17integral_constantIbLb1EESW_IbLb0EEEEDaSS_ST_EUlSS_E_NS1_11comp_targetILNS1_3genE5ELNS1_11target_archE942ELNS1_3gpuE9ELNS1_3repE0EEENS1_30default_config_static_selectorELNS0_4arch9wavefront6targetE1EEEvT1_
    .private_segment_fixed_size: 0
    .sgpr_count:     4
    .sgpr_spill_count: 0
    .symbol:         _ZN7rocprim17ROCPRIM_400000_NS6detail17trampoline_kernelINS0_14default_configENS1_20scan_config_selectorIdEEZZNS1_9scan_implILNS1_25lookback_scan_determinismE0ELb0ELb0ES3_N6thrust23THRUST_200600_302600_NS6detail15normal_iteratorINS9_10device_ptrIdEEEENS9_16discard_iteratorINS9_11use_defaultEEEdNS9_4plusIvEEdEEDaPvRmT3_T4_T5_mT6_P12ihipStream_tbENKUlT_T0_E_clISt17integral_constantIbLb1EESW_IbLb0EEEEDaSS_ST_EUlSS_E_NS1_11comp_targetILNS1_3genE5ELNS1_11target_archE942ELNS1_3gpuE9ELNS1_3repE0EEENS1_30default_config_static_selectorELNS0_4arch9wavefront6targetE1EEEvT1_.kd
    .uniform_work_group_size: 1
    .uses_dynamic_stack: false
    .vgpr_count:     0
    .vgpr_spill_count: 0
    .wavefront_size: 64
  - .agpr_count:     0
    .args:
      - .offset:         0
        .size:           112
        .value_kind:     by_value
    .group_segment_fixed_size: 10240
    .kernarg_segment_align: 8
    .kernarg_segment_size: 112
    .language:       OpenCL C
    .language_version:
      - 2
      - 0
    .max_flat_workgroup_size: 128
    .name:           _ZN7rocprim17ROCPRIM_400000_NS6detail17trampoline_kernelINS0_14default_configENS1_20scan_config_selectorIdEEZZNS1_9scan_implILNS1_25lookback_scan_determinismE0ELb0ELb0ES3_N6thrust23THRUST_200600_302600_NS6detail15normal_iteratorINS9_10device_ptrIdEEEENS9_16discard_iteratorINS9_11use_defaultEEEdNS9_4plusIvEEdEEDaPvRmT3_T4_T5_mT6_P12ihipStream_tbENKUlT_T0_E_clISt17integral_constantIbLb1EESW_IbLb0EEEEDaSS_ST_EUlSS_E_NS1_11comp_targetILNS1_3genE4ELNS1_11target_archE910ELNS1_3gpuE8ELNS1_3repE0EEENS1_30default_config_static_selectorELNS0_4arch9wavefront6targetE1EEEvT1_
    .private_segment_fixed_size: 0
    .sgpr_count:     26
    .sgpr_spill_count: 0
    .symbol:         _ZN7rocprim17ROCPRIM_400000_NS6detail17trampoline_kernelINS0_14default_configENS1_20scan_config_selectorIdEEZZNS1_9scan_implILNS1_25lookback_scan_determinismE0ELb0ELb0ES3_N6thrust23THRUST_200600_302600_NS6detail15normal_iteratorINS9_10device_ptrIdEEEENS9_16discard_iteratorINS9_11use_defaultEEEdNS9_4plusIvEEdEEDaPvRmT3_T4_T5_mT6_P12ihipStream_tbENKUlT_T0_E_clISt17integral_constantIbLb1EESW_IbLb0EEEEDaSS_ST_EUlSS_E_NS1_11comp_targetILNS1_3genE4ELNS1_11target_archE910ELNS1_3gpuE8ELNS1_3repE0EEENS1_30default_config_static_selectorELNS0_4arch9wavefront6targetE1EEEvT1_.kd
    .uniform_work_group_size: 1
    .uses_dynamic_stack: false
    .vgpr_count:     66
    .vgpr_spill_count: 0
    .wavefront_size: 64
  - .agpr_count:     0
    .args:
      - .offset:         0
        .size:           112
        .value_kind:     by_value
    .group_segment_fixed_size: 0
    .kernarg_segment_align: 8
    .kernarg_segment_size: 112
    .language:       OpenCL C
    .language_version:
      - 2
      - 0
    .max_flat_workgroup_size: 256
    .name:           _ZN7rocprim17ROCPRIM_400000_NS6detail17trampoline_kernelINS0_14default_configENS1_20scan_config_selectorIdEEZZNS1_9scan_implILNS1_25lookback_scan_determinismE0ELb0ELb0ES3_N6thrust23THRUST_200600_302600_NS6detail15normal_iteratorINS9_10device_ptrIdEEEENS9_16discard_iteratorINS9_11use_defaultEEEdNS9_4plusIvEEdEEDaPvRmT3_T4_T5_mT6_P12ihipStream_tbENKUlT_T0_E_clISt17integral_constantIbLb1EESW_IbLb0EEEEDaSS_ST_EUlSS_E_NS1_11comp_targetILNS1_3genE3ELNS1_11target_archE908ELNS1_3gpuE7ELNS1_3repE0EEENS1_30default_config_static_selectorELNS0_4arch9wavefront6targetE1EEEvT1_
    .private_segment_fixed_size: 0
    .sgpr_count:     4
    .sgpr_spill_count: 0
    .symbol:         _ZN7rocprim17ROCPRIM_400000_NS6detail17trampoline_kernelINS0_14default_configENS1_20scan_config_selectorIdEEZZNS1_9scan_implILNS1_25lookback_scan_determinismE0ELb0ELb0ES3_N6thrust23THRUST_200600_302600_NS6detail15normal_iteratorINS9_10device_ptrIdEEEENS9_16discard_iteratorINS9_11use_defaultEEEdNS9_4plusIvEEdEEDaPvRmT3_T4_T5_mT6_P12ihipStream_tbENKUlT_T0_E_clISt17integral_constantIbLb1EESW_IbLb0EEEEDaSS_ST_EUlSS_E_NS1_11comp_targetILNS1_3genE3ELNS1_11target_archE908ELNS1_3gpuE7ELNS1_3repE0EEENS1_30default_config_static_selectorELNS0_4arch9wavefront6targetE1EEEvT1_.kd
    .uniform_work_group_size: 1
    .uses_dynamic_stack: false
    .vgpr_count:     0
    .vgpr_spill_count: 0
    .wavefront_size: 64
  - .agpr_count:     0
    .args:
      - .offset:         0
        .size:           112
        .value_kind:     by_value
    .group_segment_fixed_size: 0
    .kernarg_segment_align: 8
    .kernarg_segment_size: 112
    .language:       OpenCL C
    .language_version:
      - 2
      - 0
    .max_flat_workgroup_size: 128
    .name:           _ZN7rocprim17ROCPRIM_400000_NS6detail17trampoline_kernelINS0_14default_configENS1_20scan_config_selectorIdEEZZNS1_9scan_implILNS1_25lookback_scan_determinismE0ELb0ELb0ES3_N6thrust23THRUST_200600_302600_NS6detail15normal_iteratorINS9_10device_ptrIdEEEENS9_16discard_iteratorINS9_11use_defaultEEEdNS9_4plusIvEEdEEDaPvRmT3_T4_T5_mT6_P12ihipStream_tbENKUlT_T0_E_clISt17integral_constantIbLb1EESW_IbLb0EEEEDaSS_ST_EUlSS_E_NS1_11comp_targetILNS1_3genE2ELNS1_11target_archE906ELNS1_3gpuE6ELNS1_3repE0EEENS1_30default_config_static_selectorELNS0_4arch9wavefront6targetE1EEEvT1_
    .private_segment_fixed_size: 0
    .sgpr_count:     4
    .sgpr_spill_count: 0
    .symbol:         _ZN7rocprim17ROCPRIM_400000_NS6detail17trampoline_kernelINS0_14default_configENS1_20scan_config_selectorIdEEZZNS1_9scan_implILNS1_25lookback_scan_determinismE0ELb0ELb0ES3_N6thrust23THRUST_200600_302600_NS6detail15normal_iteratorINS9_10device_ptrIdEEEENS9_16discard_iteratorINS9_11use_defaultEEEdNS9_4plusIvEEdEEDaPvRmT3_T4_T5_mT6_P12ihipStream_tbENKUlT_T0_E_clISt17integral_constantIbLb1EESW_IbLb0EEEEDaSS_ST_EUlSS_E_NS1_11comp_targetILNS1_3genE2ELNS1_11target_archE906ELNS1_3gpuE6ELNS1_3repE0EEENS1_30default_config_static_selectorELNS0_4arch9wavefront6targetE1EEEvT1_.kd
    .uniform_work_group_size: 1
    .uses_dynamic_stack: false
    .vgpr_count:     0
    .vgpr_spill_count: 0
    .wavefront_size: 64
  - .agpr_count:     0
    .args:
      - .offset:         0
        .size:           112
        .value_kind:     by_value
    .group_segment_fixed_size: 0
    .kernarg_segment_align: 8
    .kernarg_segment_size: 112
    .language:       OpenCL C
    .language_version:
      - 2
      - 0
    .max_flat_workgroup_size: 256
    .name:           _ZN7rocprim17ROCPRIM_400000_NS6detail17trampoline_kernelINS0_14default_configENS1_20scan_config_selectorIdEEZZNS1_9scan_implILNS1_25lookback_scan_determinismE0ELb0ELb0ES3_N6thrust23THRUST_200600_302600_NS6detail15normal_iteratorINS9_10device_ptrIdEEEENS9_16discard_iteratorINS9_11use_defaultEEEdNS9_4plusIvEEdEEDaPvRmT3_T4_T5_mT6_P12ihipStream_tbENKUlT_T0_E_clISt17integral_constantIbLb1EESW_IbLb0EEEEDaSS_ST_EUlSS_E_NS1_11comp_targetILNS1_3genE10ELNS1_11target_archE1201ELNS1_3gpuE5ELNS1_3repE0EEENS1_30default_config_static_selectorELNS0_4arch9wavefront6targetE1EEEvT1_
    .private_segment_fixed_size: 0
    .sgpr_count:     4
    .sgpr_spill_count: 0
    .symbol:         _ZN7rocprim17ROCPRIM_400000_NS6detail17trampoline_kernelINS0_14default_configENS1_20scan_config_selectorIdEEZZNS1_9scan_implILNS1_25lookback_scan_determinismE0ELb0ELb0ES3_N6thrust23THRUST_200600_302600_NS6detail15normal_iteratorINS9_10device_ptrIdEEEENS9_16discard_iteratorINS9_11use_defaultEEEdNS9_4plusIvEEdEEDaPvRmT3_T4_T5_mT6_P12ihipStream_tbENKUlT_T0_E_clISt17integral_constantIbLb1EESW_IbLb0EEEEDaSS_ST_EUlSS_E_NS1_11comp_targetILNS1_3genE10ELNS1_11target_archE1201ELNS1_3gpuE5ELNS1_3repE0EEENS1_30default_config_static_selectorELNS0_4arch9wavefront6targetE1EEEvT1_.kd
    .uniform_work_group_size: 1
    .uses_dynamic_stack: false
    .vgpr_count:     0
    .vgpr_spill_count: 0
    .wavefront_size: 64
  - .agpr_count:     0
    .args:
      - .offset:         0
        .size:           112
        .value_kind:     by_value
    .group_segment_fixed_size: 0
    .kernarg_segment_align: 8
    .kernarg_segment_size: 112
    .language:       OpenCL C
    .language_version:
      - 2
      - 0
    .max_flat_workgroup_size: 256
    .name:           _ZN7rocprim17ROCPRIM_400000_NS6detail17trampoline_kernelINS0_14default_configENS1_20scan_config_selectorIdEEZZNS1_9scan_implILNS1_25lookback_scan_determinismE0ELb0ELb0ES3_N6thrust23THRUST_200600_302600_NS6detail15normal_iteratorINS9_10device_ptrIdEEEENS9_16discard_iteratorINS9_11use_defaultEEEdNS9_4plusIvEEdEEDaPvRmT3_T4_T5_mT6_P12ihipStream_tbENKUlT_T0_E_clISt17integral_constantIbLb1EESW_IbLb0EEEEDaSS_ST_EUlSS_E_NS1_11comp_targetILNS1_3genE10ELNS1_11target_archE1200ELNS1_3gpuE4ELNS1_3repE0EEENS1_30default_config_static_selectorELNS0_4arch9wavefront6targetE1EEEvT1_
    .private_segment_fixed_size: 0
    .sgpr_count:     4
    .sgpr_spill_count: 0
    .symbol:         _ZN7rocprim17ROCPRIM_400000_NS6detail17trampoline_kernelINS0_14default_configENS1_20scan_config_selectorIdEEZZNS1_9scan_implILNS1_25lookback_scan_determinismE0ELb0ELb0ES3_N6thrust23THRUST_200600_302600_NS6detail15normal_iteratorINS9_10device_ptrIdEEEENS9_16discard_iteratorINS9_11use_defaultEEEdNS9_4plusIvEEdEEDaPvRmT3_T4_T5_mT6_P12ihipStream_tbENKUlT_T0_E_clISt17integral_constantIbLb1EESW_IbLb0EEEEDaSS_ST_EUlSS_E_NS1_11comp_targetILNS1_3genE10ELNS1_11target_archE1200ELNS1_3gpuE4ELNS1_3repE0EEENS1_30default_config_static_selectorELNS0_4arch9wavefront6targetE1EEEvT1_.kd
    .uniform_work_group_size: 1
    .uses_dynamic_stack: false
    .vgpr_count:     0
    .vgpr_spill_count: 0
    .wavefront_size: 64
  - .agpr_count:     0
    .args:
      - .offset:         0
        .size:           112
        .value_kind:     by_value
    .group_segment_fixed_size: 0
    .kernarg_segment_align: 8
    .kernarg_segment_size: 112
    .language:       OpenCL C
    .language_version:
      - 2
      - 0
    .max_flat_workgroup_size: 256
    .name:           _ZN7rocprim17ROCPRIM_400000_NS6detail17trampoline_kernelINS0_14default_configENS1_20scan_config_selectorIdEEZZNS1_9scan_implILNS1_25lookback_scan_determinismE0ELb0ELb0ES3_N6thrust23THRUST_200600_302600_NS6detail15normal_iteratorINS9_10device_ptrIdEEEENS9_16discard_iteratorINS9_11use_defaultEEEdNS9_4plusIvEEdEEDaPvRmT3_T4_T5_mT6_P12ihipStream_tbENKUlT_T0_E_clISt17integral_constantIbLb1EESW_IbLb0EEEEDaSS_ST_EUlSS_E_NS1_11comp_targetILNS1_3genE9ELNS1_11target_archE1100ELNS1_3gpuE3ELNS1_3repE0EEENS1_30default_config_static_selectorELNS0_4arch9wavefront6targetE1EEEvT1_
    .private_segment_fixed_size: 0
    .sgpr_count:     4
    .sgpr_spill_count: 0
    .symbol:         _ZN7rocprim17ROCPRIM_400000_NS6detail17trampoline_kernelINS0_14default_configENS1_20scan_config_selectorIdEEZZNS1_9scan_implILNS1_25lookback_scan_determinismE0ELb0ELb0ES3_N6thrust23THRUST_200600_302600_NS6detail15normal_iteratorINS9_10device_ptrIdEEEENS9_16discard_iteratorINS9_11use_defaultEEEdNS9_4plusIvEEdEEDaPvRmT3_T4_T5_mT6_P12ihipStream_tbENKUlT_T0_E_clISt17integral_constantIbLb1EESW_IbLb0EEEEDaSS_ST_EUlSS_E_NS1_11comp_targetILNS1_3genE9ELNS1_11target_archE1100ELNS1_3gpuE3ELNS1_3repE0EEENS1_30default_config_static_selectorELNS0_4arch9wavefront6targetE1EEEvT1_.kd
    .uniform_work_group_size: 1
    .uses_dynamic_stack: false
    .vgpr_count:     0
    .vgpr_spill_count: 0
    .wavefront_size: 64
  - .agpr_count:     0
    .args:
      - .offset:         0
        .size:           112
        .value_kind:     by_value
    .group_segment_fixed_size: 0
    .kernarg_segment_align: 8
    .kernarg_segment_size: 112
    .language:       OpenCL C
    .language_version:
      - 2
      - 0
    .max_flat_workgroup_size: 128
    .name:           _ZN7rocprim17ROCPRIM_400000_NS6detail17trampoline_kernelINS0_14default_configENS1_20scan_config_selectorIdEEZZNS1_9scan_implILNS1_25lookback_scan_determinismE0ELb0ELb0ES3_N6thrust23THRUST_200600_302600_NS6detail15normal_iteratorINS9_10device_ptrIdEEEENS9_16discard_iteratorINS9_11use_defaultEEEdNS9_4plusIvEEdEEDaPvRmT3_T4_T5_mT6_P12ihipStream_tbENKUlT_T0_E_clISt17integral_constantIbLb1EESW_IbLb0EEEEDaSS_ST_EUlSS_E_NS1_11comp_targetILNS1_3genE8ELNS1_11target_archE1030ELNS1_3gpuE2ELNS1_3repE0EEENS1_30default_config_static_selectorELNS0_4arch9wavefront6targetE1EEEvT1_
    .private_segment_fixed_size: 0
    .sgpr_count:     4
    .sgpr_spill_count: 0
    .symbol:         _ZN7rocprim17ROCPRIM_400000_NS6detail17trampoline_kernelINS0_14default_configENS1_20scan_config_selectorIdEEZZNS1_9scan_implILNS1_25lookback_scan_determinismE0ELb0ELb0ES3_N6thrust23THRUST_200600_302600_NS6detail15normal_iteratorINS9_10device_ptrIdEEEENS9_16discard_iteratorINS9_11use_defaultEEEdNS9_4plusIvEEdEEDaPvRmT3_T4_T5_mT6_P12ihipStream_tbENKUlT_T0_E_clISt17integral_constantIbLb1EESW_IbLb0EEEEDaSS_ST_EUlSS_E_NS1_11comp_targetILNS1_3genE8ELNS1_11target_archE1030ELNS1_3gpuE2ELNS1_3repE0EEENS1_30default_config_static_selectorELNS0_4arch9wavefront6targetE1EEEvT1_.kd
    .uniform_work_group_size: 1
    .uses_dynamic_stack: false
    .vgpr_count:     0
    .vgpr_spill_count: 0
    .wavefront_size: 64
  - .agpr_count:     0
    .args:
      - .offset:         0
        .size:           48
        .value_kind:     by_value
    .group_segment_fixed_size: 0
    .kernarg_segment_align: 8
    .kernarg_segment_size: 48
    .language:       OpenCL C
    .language_version:
      - 2
      - 0
    .max_flat_workgroup_size: 256
    .name:           _ZN7rocprim17ROCPRIM_400000_NS6detail17trampoline_kernelINS0_14default_configENS1_20scan_config_selectorIdEEZZNS1_9scan_implILNS1_25lookback_scan_determinismE0ELb0ELb0ES3_N6thrust23THRUST_200600_302600_NS6detail15normal_iteratorINS9_10device_ptrIdEEEENS9_16discard_iteratorINS9_11use_defaultEEEdNS9_4plusIvEEdEEDaPvRmT3_T4_T5_mT6_P12ihipStream_tbENKUlT_T0_E_clISt17integral_constantIbLb1EESW_IbLb0EEEEDaSS_ST_EUlSS_E0_NS1_11comp_targetILNS1_3genE0ELNS1_11target_archE4294967295ELNS1_3gpuE0ELNS1_3repE0EEENS1_30default_config_static_selectorELNS0_4arch9wavefront6targetE1EEEvT1_
    .private_segment_fixed_size: 0
    .sgpr_count:     4
    .sgpr_spill_count: 0
    .symbol:         _ZN7rocprim17ROCPRIM_400000_NS6detail17trampoline_kernelINS0_14default_configENS1_20scan_config_selectorIdEEZZNS1_9scan_implILNS1_25lookback_scan_determinismE0ELb0ELb0ES3_N6thrust23THRUST_200600_302600_NS6detail15normal_iteratorINS9_10device_ptrIdEEEENS9_16discard_iteratorINS9_11use_defaultEEEdNS9_4plusIvEEdEEDaPvRmT3_T4_T5_mT6_P12ihipStream_tbENKUlT_T0_E_clISt17integral_constantIbLb1EESW_IbLb0EEEEDaSS_ST_EUlSS_E0_NS1_11comp_targetILNS1_3genE0ELNS1_11target_archE4294967295ELNS1_3gpuE0ELNS1_3repE0EEENS1_30default_config_static_selectorELNS0_4arch9wavefront6targetE1EEEvT1_.kd
    .uniform_work_group_size: 1
    .uses_dynamic_stack: false
    .vgpr_count:     0
    .vgpr_spill_count: 0
    .wavefront_size: 64
  - .agpr_count:     0
    .args:
      - .offset:         0
        .size:           48
        .value_kind:     by_value
    .group_segment_fixed_size: 0
    .kernarg_segment_align: 8
    .kernarg_segment_size: 48
    .language:       OpenCL C
    .language_version:
      - 2
      - 0
    .max_flat_workgroup_size: 256
    .name:           _ZN7rocprim17ROCPRIM_400000_NS6detail17trampoline_kernelINS0_14default_configENS1_20scan_config_selectorIdEEZZNS1_9scan_implILNS1_25lookback_scan_determinismE0ELb0ELb0ES3_N6thrust23THRUST_200600_302600_NS6detail15normal_iteratorINS9_10device_ptrIdEEEENS9_16discard_iteratorINS9_11use_defaultEEEdNS9_4plusIvEEdEEDaPvRmT3_T4_T5_mT6_P12ihipStream_tbENKUlT_T0_E_clISt17integral_constantIbLb1EESW_IbLb0EEEEDaSS_ST_EUlSS_E0_NS1_11comp_targetILNS1_3genE5ELNS1_11target_archE942ELNS1_3gpuE9ELNS1_3repE0EEENS1_30default_config_static_selectorELNS0_4arch9wavefront6targetE1EEEvT1_
    .private_segment_fixed_size: 0
    .sgpr_count:     4
    .sgpr_spill_count: 0
    .symbol:         _ZN7rocprim17ROCPRIM_400000_NS6detail17trampoline_kernelINS0_14default_configENS1_20scan_config_selectorIdEEZZNS1_9scan_implILNS1_25lookback_scan_determinismE0ELb0ELb0ES3_N6thrust23THRUST_200600_302600_NS6detail15normal_iteratorINS9_10device_ptrIdEEEENS9_16discard_iteratorINS9_11use_defaultEEEdNS9_4plusIvEEdEEDaPvRmT3_T4_T5_mT6_P12ihipStream_tbENKUlT_T0_E_clISt17integral_constantIbLb1EESW_IbLb0EEEEDaSS_ST_EUlSS_E0_NS1_11comp_targetILNS1_3genE5ELNS1_11target_archE942ELNS1_3gpuE9ELNS1_3repE0EEENS1_30default_config_static_selectorELNS0_4arch9wavefront6targetE1EEEvT1_.kd
    .uniform_work_group_size: 1
    .uses_dynamic_stack: false
    .vgpr_count:     0
    .vgpr_spill_count: 0
    .wavefront_size: 64
  - .agpr_count:     0
    .args:
      - .offset:         0
        .size:           48
        .value_kind:     by_value
    .group_segment_fixed_size: 10240
    .kernarg_segment_align: 8
    .kernarg_segment_size: 48
    .language:       OpenCL C
    .language_version:
      - 2
      - 0
    .max_flat_workgroup_size: 128
    .name:           _ZN7rocprim17ROCPRIM_400000_NS6detail17trampoline_kernelINS0_14default_configENS1_20scan_config_selectorIdEEZZNS1_9scan_implILNS1_25lookback_scan_determinismE0ELb0ELb0ES3_N6thrust23THRUST_200600_302600_NS6detail15normal_iteratorINS9_10device_ptrIdEEEENS9_16discard_iteratorINS9_11use_defaultEEEdNS9_4plusIvEEdEEDaPvRmT3_T4_T5_mT6_P12ihipStream_tbENKUlT_T0_E_clISt17integral_constantIbLb1EESW_IbLb0EEEEDaSS_ST_EUlSS_E0_NS1_11comp_targetILNS1_3genE4ELNS1_11target_archE910ELNS1_3gpuE8ELNS1_3repE0EEENS1_30default_config_static_selectorELNS0_4arch9wavefront6targetE1EEEvT1_
    .private_segment_fixed_size: 0
    .sgpr_count:     12
    .sgpr_spill_count: 0
    .symbol:         _ZN7rocprim17ROCPRIM_400000_NS6detail17trampoline_kernelINS0_14default_configENS1_20scan_config_selectorIdEEZZNS1_9scan_implILNS1_25lookback_scan_determinismE0ELb0ELb0ES3_N6thrust23THRUST_200600_302600_NS6detail15normal_iteratorINS9_10device_ptrIdEEEENS9_16discard_iteratorINS9_11use_defaultEEEdNS9_4plusIvEEdEEDaPvRmT3_T4_T5_mT6_P12ihipStream_tbENKUlT_T0_E_clISt17integral_constantIbLb1EESW_IbLb0EEEEDaSS_ST_EUlSS_E0_NS1_11comp_targetILNS1_3genE4ELNS1_11target_archE910ELNS1_3gpuE8ELNS1_3repE0EEENS1_30default_config_static_selectorELNS0_4arch9wavefront6targetE1EEEvT1_.kd
    .uniform_work_group_size: 1
    .uses_dynamic_stack: false
    .vgpr_count:     49
    .vgpr_spill_count: 0
    .wavefront_size: 64
  - .agpr_count:     0
    .args:
      - .offset:         0
        .size:           48
        .value_kind:     by_value
    .group_segment_fixed_size: 0
    .kernarg_segment_align: 8
    .kernarg_segment_size: 48
    .language:       OpenCL C
    .language_version:
      - 2
      - 0
    .max_flat_workgroup_size: 256
    .name:           _ZN7rocprim17ROCPRIM_400000_NS6detail17trampoline_kernelINS0_14default_configENS1_20scan_config_selectorIdEEZZNS1_9scan_implILNS1_25lookback_scan_determinismE0ELb0ELb0ES3_N6thrust23THRUST_200600_302600_NS6detail15normal_iteratorINS9_10device_ptrIdEEEENS9_16discard_iteratorINS9_11use_defaultEEEdNS9_4plusIvEEdEEDaPvRmT3_T4_T5_mT6_P12ihipStream_tbENKUlT_T0_E_clISt17integral_constantIbLb1EESW_IbLb0EEEEDaSS_ST_EUlSS_E0_NS1_11comp_targetILNS1_3genE3ELNS1_11target_archE908ELNS1_3gpuE7ELNS1_3repE0EEENS1_30default_config_static_selectorELNS0_4arch9wavefront6targetE1EEEvT1_
    .private_segment_fixed_size: 0
    .sgpr_count:     4
    .sgpr_spill_count: 0
    .symbol:         _ZN7rocprim17ROCPRIM_400000_NS6detail17trampoline_kernelINS0_14default_configENS1_20scan_config_selectorIdEEZZNS1_9scan_implILNS1_25lookback_scan_determinismE0ELb0ELb0ES3_N6thrust23THRUST_200600_302600_NS6detail15normal_iteratorINS9_10device_ptrIdEEEENS9_16discard_iteratorINS9_11use_defaultEEEdNS9_4plusIvEEdEEDaPvRmT3_T4_T5_mT6_P12ihipStream_tbENKUlT_T0_E_clISt17integral_constantIbLb1EESW_IbLb0EEEEDaSS_ST_EUlSS_E0_NS1_11comp_targetILNS1_3genE3ELNS1_11target_archE908ELNS1_3gpuE7ELNS1_3repE0EEENS1_30default_config_static_selectorELNS0_4arch9wavefront6targetE1EEEvT1_.kd
    .uniform_work_group_size: 1
    .uses_dynamic_stack: false
    .vgpr_count:     0
    .vgpr_spill_count: 0
    .wavefront_size: 64
  - .agpr_count:     0
    .args:
      - .offset:         0
        .size:           48
        .value_kind:     by_value
    .group_segment_fixed_size: 0
    .kernarg_segment_align: 8
    .kernarg_segment_size: 48
    .language:       OpenCL C
    .language_version:
      - 2
      - 0
    .max_flat_workgroup_size: 128
    .name:           _ZN7rocprim17ROCPRIM_400000_NS6detail17trampoline_kernelINS0_14default_configENS1_20scan_config_selectorIdEEZZNS1_9scan_implILNS1_25lookback_scan_determinismE0ELb0ELb0ES3_N6thrust23THRUST_200600_302600_NS6detail15normal_iteratorINS9_10device_ptrIdEEEENS9_16discard_iteratorINS9_11use_defaultEEEdNS9_4plusIvEEdEEDaPvRmT3_T4_T5_mT6_P12ihipStream_tbENKUlT_T0_E_clISt17integral_constantIbLb1EESW_IbLb0EEEEDaSS_ST_EUlSS_E0_NS1_11comp_targetILNS1_3genE2ELNS1_11target_archE906ELNS1_3gpuE6ELNS1_3repE0EEENS1_30default_config_static_selectorELNS0_4arch9wavefront6targetE1EEEvT1_
    .private_segment_fixed_size: 0
    .sgpr_count:     4
    .sgpr_spill_count: 0
    .symbol:         _ZN7rocprim17ROCPRIM_400000_NS6detail17trampoline_kernelINS0_14default_configENS1_20scan_config_selectorIdEEZZNS1_9scan_implILNS1_25lookback_scan_determinismE0ELb0ELb0ES3_N6thrust23THRUST_200600_302600_NS6detail15normal_iteratorINS9_10device_ptrIdEEEENS9_16discard_iteratorINS9_11use_defaultEEEdNS9_4plusIvEEdEEDaPvRmT3_T4_T5_mT6_P12ihipStream_tbENKUlT_T0_E_clISt17integral_constantIbLb1EESW_IbLb0EEEEDaSS_ST_EUlSS_E0_NS1_11comp_targetILNS1_3genE2ELNS1_11target_archE906ELNS1_3gpuE6ELNS1_3repE0EEENS1_30default_config_static_selectorELNS0_4arch9wavefront6targetE1EEEvT1_.kd
    .uniform_work_group_size: 1
    .uses_dynamic_stack: false
    .vgpr_count:     0
    .vgpr_spill_count: 0
    .wavefront_size: 64
  - .agpr_count:     0
    .args:
      - .offset:         0
        .size:           48
        .value_kind:     by_value
    .group_segment_fixed_size: 0
    .kernarg_segment_align: 8
    .kernarg_segment_size: 48
    .language:       OpenCL C
    .language_version:
      - 2
      - 0
    .max_flat_workgroup_size: 256
    .name:           _ZN7rocprim17ROCPRIM_400000_NS6detail17trampoline_kernelINS0_14default_configENS1_20scan_config_selectorIdEEZZNS1_9scan_implILNS1_25lookback_scan_determinismE0ELb0ELb0ES3_N6thrust23THRUST_200600_302600_NS6detail15normal_iteratorINS9_10device_ptrIdEEEENS9_16discard_iteratorINS9_11use_defaultEEEdNS9_4plusIvEEdEEDaPvRmT3_T4_T5_mT6_P12ihipStream_tbENKUlT_T0_E_clISt17integral_constantIbLb1EESW_IbLb0EEEEDaSS_ST_EUlSS_E0_NS1_11comp_targetILNS1_3genE10ELNS1_11target_archE1201ELNS1_3gpuE5ELNS1_3repE0EEENS1_30default_config_static_selectorELNS0_4arch9wavefront6targetE1EEEvT1_
    .private_segment_fixed_size: 0
    .sgpr_count:     4
    .sgpr_spill_count: 0
    .symbol:         _ZN7rocprim17ROCPRIM_400000_NS6detail17trampoline_kernelINS0_14default_configENS1_20scan_config_selectorIdEEZZNS1_9scan_implILNS1_25lookback_scan_determinismE0ELb0ELb0ES3_N6thrust23THRUST_200600_302600_NS6detail15normal_iteratorINS9_10device_ptrIdEEEENS9_16discard_iteratorINS9_11use_defaultEEEdNS9_4plusIvEEdEEDaPvRmT3_T4_T5_mT6_P12ihipStream_tbENKUlT_T0_E_clISt17integral_constantIbLb1EESW_IbLb0EEEEDaSS_ST_EUlSS_E0_NS1_11comp_targetILNS1_3genE10ELNS1_11target_archE1201ELNS1_3gpuE5ELNS1_3repE0EEENS1_30default_config_static_selectorELNS0_4arch9wavefront6targetE1EEEvT1_.kd
    .uniform_work_group_size: 1
    .uses_dynamic_stack: false
    .vgpr_count:     0
    .vgpr_spill_count: 0
    .wavefront_size: 64
  - .agpr_count:     0
    .args:
      - .offset:         0
        .size:           48
        .value_kind:     by_value
    .group_segment_fixed_size: 0
    .kernarg_segment_align: 8
    .kernarg_segment_size: 48
    .language:       OpenCL C
    .language_version:
      - 2
      - 0
    .max_flat_workgroup_size: 256
    .name:           _ZN7rocprim17ROCPRIM_400000_NS6detail17trampoline_kernelINS0_14default_configENS1_20scan_config_selectorIdEEZZNS1_9scan_implILNS1_25lookback_scan_determinismE0ELb0ELb0ES3_N6thrust23THRUST_200600_302600_NS6detail15normal_iteratorINS9_10device_ptrIdEEEENS9_16discard_iteratorINS9_11use_defaultEEEdNS9_4plusIvEEdEEDaPvRmT3_T4_T5_mT6_P12ihipStream_tbENKUlT_T0_E_clISt17integral_constantIbLb1EESW_IbLb0EEEEDaSS_ST_EUlSS_E0_NS1_11comp_targetILNS1_3genE10ELNS1_11target_archE1200ELNS1_3gpuE4ELNS1_3repE0EEENS1_30default_config_static_selectorELNS0_4arch9wavefront6targetE1EEEvT1_
    .private_segment_fixed_size: 0
    .sgpr_count:     4
    .sgpr_spill_count: 0
    .symbol:         _ZN7rocprim17ROCPRIM_400000_NS6detail17trampoline_kernelINS0_14default_configENS1_20scan_config_selectorIdEEZZNS1_9scan_implILNS1_25lookback_scan_determinismE0ELb0ELb0ES3_N6thrust23THRUST_200600_302600_NS6detail15normal_iteratorINS9_10device_ptrIdEEEENS9_16discard_iteratorINS9_11use_defaultEEEdNS9_4plusIvEEdEEDaPvRmT3_T4_T5_mT6_P12ihipStream_tbENKUlT_T0_E_clISt17integral_constantIbLb1EESW_IbLb0EEEEDaSS_ST_EUlSS_E0_NS1_11comp_targetILNS1_3genE10ELNS1_11target_archE1200ELNS1_3gpuE4ELNS1_3repE0EEENS1_30default_config_static_selectorELNS0_4arch9wavefront6targetE1EEEvT1_.kd
    .uniform_work_group_size: 1
    .uses_dynamic_stack: false
    .vgpr_count:     0
    .vgpr_spill_count: 0
    .wavefront_size: 64
  - .agpr_count:     0
    .args:
      - .offset:         0
        .size:           48
        .value_kind:     by_value
    .group_segment_fixed_size: 0
    .kernarg_segment_align: 8
    .kernarg_segment_size: 48
    .language:       OpenCL C
    .language_version:
      - 2
      - 0
    .max_flat_workgroup_size: 256
    .name:           _ZN7rocprim17ROCPRIM_400000_NS6detail17trampoline_kernelINS0_14default_configENS1_20scan_config_selectorIdEEZZNS1_9scan_implILNS1_25lookback_scan_determinismE0ELb0ELb0ES3_N6thrust23THRUST_200600_302600_NS6detail15normal_iteratorINS9_10device_ptrIdEEEENS9_16discard_iteratorINS9_11use_defaultEEEdNS9_4plusIvEEdEEDaPvRmT3_T4_T5_mT6_P12ihipStream_tbENKUlT_T0_E_clISt17integral_constantIbLb1EESW_IbLb0EEEEDaSS_ST_EUlSS_E0_NS1_11comp_targetILNS1_3genE9ELNS1_11target_archE1100ELNS1_3gpuE3ELNS1_3repE0EEENS1_30default_config_static_selectorELNS0_4arch9wavefront6targetE1EEEvT1_
    .private_segment_fixed_size: 0
    .sgpr_count:     4
    .sgpr_spill_count: 0
    .symbol:         _ZN7rocprim17ROCPRIM_400000_NS6detail17trampoline_kernelINS0_14default_configENS1_20scan_config_selectorIdEEZZNS1_9scan_implILNS1_25lookback_scan_determinismE0ELb0ELb0ES3_N6thrust23THRUST_200600_302600_NS6detail15normal_iteratorINS9_10device_ptrIdEEEENS9_16discard_iteratorINS9_11use_defaultEEEdNS9_4plusIvEEdEEDaPvRmT3_T4_T5_mT6_P12ihipStream_tbENKUlT_T0_E_clISt17integral_constantIbLb1EESW_IbLb0EEEEDaSS_ST_EUlSS_E0_NS1_11comp_targetILNS1_3genE9ELNS1_11target_archE1100ELNS1_3gpuE3ELNS1_3repE0EEENS1_30default_config_static_selectorELNS0_4arch9wavefront6targetE1EEEvT1_.kd
    .uniform_work_group_size: 1
    .uses_dynamic_stack: false
    .vgpr_count:     0
    .vgpr_spill_count: 0
    .wavefront_size: 64
  - .agpr_count:     0
    .args:
      - .offset:         0
        .size:           48
        .value_kind:     by_value
    .group_segment_fixed_size: 0
    .kernarg_segment_align: 8
    .kernarg_segment_size: 48
    .language:       OpenCL C
    .language_version:
      - 2
      - 0
    .max_flat_workgroup_size: 128
    .name:           _ZN7rocprim17ROCPRIM_400000_NS6detail17trampoline_kernelINS0_14default_configENS1_20scan_config_selectorIdEEZZNS1_9scan_implILNS1_25lookback_scan_determinismE0ELb0ELb0ES3_N6thrust23THRUST_200600_302600_NS6detail15normal_iteratorINS9_10device_ptrIdEEEENS9_16discard_iteratorINS9_11use_defaultEEEdNS9_4plusIvEEdEEDaPvRmT3_T4_T5_mT6_P12ihipStream_tbENKUlT_T0_E_clISt17integral_constantIbLb1EESW_IbLb0EEEEDaSS_ST_EUlSS_E0_NS1_11comp_targetILNS1_3genE8ELNS1_11target_archE1030ELNS1_3gpuE2ELNS1_3repE0EEENS1_30default_config_static_selectorELNS0_4arch9wavefront6targetE1EEEvT1_
    .private_segment_fixed_size: 0
    .sgpr_count:     4
    .sgpr_spill_count: 0
    .symbol:         _ZN7rocprim17ROCPRIM_400000_NS6detail17trampoline_kernelINS0_14default_configENS1_20scan_config_selectorIdEEZZNS1_9scan_implILNS1_25lookback_scan_determinismE0ELb0ELb0ES3_N6thrust23THRUST_200600_302600_NS6detail15normal_iteratorINS9_10device_ptrIdEEEENS9_16discard_iteratorINS9_11use_defaultEEEdNS9_4plusIvEEdEEDaPvRmT3_T4_T5_mT6_P12ihipStream_tbENKUlT_T0_E_clISt17integral_constantIbLb1EESW_IbLb0EEEEDaSS_ST_EUlSS_E0_NS1_11comp_targetILNS1_3genE8ELNS1_11target_archE1030ELNS1_3gpuE2ELNS1_3repE0EEENS1_30default_config_static_selectorELNS0_4arch9wavefront6targetE1EEEvT1_.kd
    .uniform_work_group_size: 1
    .uses_dynamic_stack: false
    .vgpr_count:     0
    .vgpr_spill_count: 0
    .wavefront_size: 64
  - .agpr_count:     0
    .args:
      - .offset:         0
        .size:           112
        .value_kind:     by_value
    .group_segment_fixed_size: 0
    .kernarg_segment_align: 8
    .kernarg_segment_size: 112
    .language:       OpenCL C
    .language_version:
      - 2
      - 0
    .max_flat_workgroup_size: 256
    .name:           _ZN7rocprim17ROCPRIM_400000_NS6detail17trampoline_kernelINS0_14default_configENS1_20scan_config_selectorIdEEZZNS1_9scan_implILNS1_25lookback_scan_determinismE0ELb0ELb0ES3_N6thrust23THRUST_200600_302600_NS6detail15normal_iteratorINS9_10device_ptrIdEEEENS9_16discard_iteratorINS9_11use_defaultEEEdNS9_4plusIvEEdEEDaPvRmT3_T4_T5_mT6_P12ihipStream_tbENKUlT_T0_E_clISt17integral_constantIbLb0EESW_IbLb1EEEEDaSS_ST_EUlSS_E_NS1_11comp_targetILNS1_3genE0ELNS1_11target_archE4294967295ELNS1_3gpuE0ELNS1_3repE0EEENS1_30default_config_static_selectorELNS0_4arch9wavefront6targetE1EEEvT1_
    .private_segment_fixed_size: 0
    .sgpr_count:     4
    .sgpr_spill_count: 0
    .symbol:         _ZN7rocprim17ROCPRIM_400000_NS6detail17trampoline_kernelINS0_14default_configENS1_20scan_config_selectorIdEEZZNS1_9scan_implILNS1_25lookback_scan_determinismE0ELb0ELb0ES3_N6thrust23THRUST_200600_302600_NS6detail15normal_iteratorINS9_10device_ptrIdEEEENS9_16discard_iteratorINS9_11use_defaultEEEdNS9_4plusIvEEdEEDaPvRmT3_T4_T5_mT6_P12ihipStream_tbENKUlT_T0_E_clISt17integral_constantIbLb0EESW_IbLb1EEEEDaSS_ST_EUlSS_E_NS1_11comp_targetILNS1_3genE0ELNS1_11target_archE4294967295ELNS1_3gpuE0ELNS1_3repE0EEENS1_30default_config_static_selectorELNS0_4arch9wavefront6targetE1EEEvT1_.kd
    .uniform_work_group_size: 1
    .uses_dynamic_stack: false
    .vgpr_count:     0
    .vgpr_spill_count: 0
    .wavefront_size: 64
  - .agpr_count:     0
    .args:
      - .offset:         0
        .size:           112
        .value_kind:     by_value
    .group_segment_fixed_size: 0
    .kernarg_segment_align: 8
    .kernarg_segment_size: 112
    .language:       OpenCL C
    .language_version:
      - 2
      - 0
    .max_flat_workgroup_size: 256
    .name:           _ZN7rocprim17ROCPRIM_400000_NS6detail17trampoline_kernelINS0_14default_configENS1_20scan_config_selectorIdEEZZNS1_9scan_implILNS1_25lookback_scan_determinismE0ELb0ELb0ES3_N6thrust23THRUST_200600_302600_NS6detail15normal_iteratorINS9_10device_ptrIdEEEENS9_16discard_iteratorINS9_11use_defaultEEEdNS9_4plusIvEEdEEDaPvRmT3_T4_T5_mT6_P12ihipStream_tbENKUlT_T0_E_clISt17integral_constantIbLb0EESW_IbLb1EEEEDaSS_ST_EUlSS_E_NS1_11comp_targetILNS1_3genE5ELNS1_11target_archE942ELNS1_3gpuE9ELNS1_3repE0EEENS1_30default_config_static_selectorELNS0_4arch9wavefront6targetE1EEEvT1_
    .private_segment_fixed_size: 0
    .sgpr_count:     4
    .sgpr_spill_count: 0
    .symbol:         _ZN7rocprim17ROCPRIM_400000_NS6detail17trampoline_kernelINS0_14default_configENS1_20scan_config_selectorIdEEZZNS1_9scan_implILNS1_25lookback_scan_determinismE0ELb0ELb0ES3_N6thrust23THRUST_200600_302600_NS6detail15normal_iteratorINS9_10device_ptrIdEEEENS9_16discard_iteratorINS9_11use_defaultEEEdNS9_4plusIvEEdEEDaPvRmT3_T4_T5_mT6_P12ihipStream_tbENKUlT_T0_E_clISt17integral_constantIbLb0EESW_IbLb1EEEEDaSS_ST_EUlSS_E_NS1_11comp_targetILNS1_3genE5ELNS1_11target_archE942ELNS1_3gpuE9ELNS1_3repE0EEENS1_30default_config_static_selectorELNS0_4arch9wavefront6targetE1EEEvT1_.kd
    .uniform_work_group_size: 1
    .uses_dynamic_stack: false
    .vgpr_count:     0
    .vgpr_spill_count: 0
    .wavefront_size: 64
  - .agpr_count:     0
    .args:
      - .offset:         0
        .size:           112
        .value_kind:     by_value
    .group_segment_fixed_size: 10240
    .kernarg_segment_align: 8
    .kernarg_segment_size: 112
    .language:       OpenCL C
    .language_version:
      - 2
      - 0
    .max_flat_workgroup_size: 128
    .name:           _ZN7rocprim17ROCPRIM_400000_NS6detail17trampoline_kernelINS0_14default_configENS1_20scan_config_selectorIdEEZZNS1_9scan_implILNS1_25lookback_scan_determinismE0ELb0ELb0ES3_N6thrust23THRUST_200600_302600_NS6detail15normal_iteratorINS9_10device_ptrIdEEEENS9_16discard_iteratorINS9_11use_defaultEEEdNS9_4plusIvEEdEEDaPvRmT3_T4_T5_mT6_P12ihipStream_tbENKUlT_T0_E_clISt17integral_constantIbLb0EESW_IbLb1EEEEDaSS_ST_EUlSS_E_NS1_11comp_targetILNS1_3genE4ELNS1_11target_archE910ELNS1_3gpuE8ELNS1_3repE0EEENS1_30default_config_static_selectorELNS0_4arch9wavefront6targetE1EEEvT1_
    .private_segment_fixed_size: 0
    .sgpr_count:     35
    .sgpr_spill_count: 0
    .symbol:         _ZN7rocprim17ROCPRIM_400000_NS6detail17trampoline_kernelINS0_14default_configENS1_20scan_config_selectorIdEEZZNS1_9scan_implILNS1_25lookback_scan_determinismE0ELb0ELb0ES3_N6thrust23THRUST_200600_302600_NS6detail15normal_iteratorINS9_10device_ptrIdEEEENS9_16discard_iteratorINS9_11use_defaultEEEdNS9_4plusIvEEdEEDaPvRmT3_T4_T5_mT6_P12ihipStream_tbENKUlT_T0_E_clISt17integral_constantIbLb0EESW_IbLb1EEEEDaSS_ST_EUlSS_E_NS1_11comp_targetILNS1_3genE4ELNS1_11target_archE910ELNS1_3gpuE8ELNS1_3repE0EEENS1_30default_config_static_selectorELNS0_4arch9wavefront6targetE1EEEvT1_.kd
    .uniform_work_group_size: 1
    .uses_dynamic_stack: false
    .vgpr_count:     66
    .vgpr_spill_count: 0
    .wavefront_size: 64
  - .agpr_count:     0
    .args:
      - .offset:         0
        .size:           112
        .value_kind:     by_value
    .group_segment_fixed_size: 0
    .kernarg_segment_align: 8
    .kernarg_segment_size: 112
    .language:       OpenCL C
    .language_version:
      - 2
      - 0
    .max_flat_workgroup_size: 256
    .name:           _ZN7rocprim17ROCPRIM_400000_NS6detail17trampoline_kernelINS0_14default_configENS1_20scan_config_selectorIdEEZZNS1_9scan_implILNS1_25lookback_scan_determinismE0ELb0ELb0ES3_N6thrust23THRUST_200600_302600_NS6detail15normal_iteratorINS9_10device_ptrIdEEEENS9_16discard_iteratorINS9_11use_defaultEEEdNS9_4plusIvEEdEEDaPvRmT3_T4_T5_mT6_P12ihipStream_tbENKUlT_T0_E_clISt17integral_constantIbLb0EESW_IbLb1EEEEDaSS_ST_EUlSS_E_NS1_11comp_targetILNS1_3genE3ELNS1_11target_archE908ELNS1_3gpuE7ELNS1_3repE0EEENS1_30default_config_static_selectorELNS0_4arch9wavefront6targetE1EEEvT1_
    .private_segment_fixed_size: 0
    .sgpr_count:     4
    .sgpr_spill_count: 0
    .symbol:         _ZN7rocprim17ROCPRIM_400000_NS6detail17trampoline_kernelINS0_14default_configENS1_20scan_config_selectorIdEEZZNS1_9scan_implILNS1_25lookback_scan_determinismE0ELb0ELb0ES3_N6thrust23THRUST_200600_302600_NS6detail15normal_iteratorINS9_10device_ptrIdEEEENS9_16discard_iteratorINS9_11use_defaultEEEdNS9_4plusIvEEdEEDaPvRmT3_T4_T5_mT6_P12ihipStream_tbENKUlT_T0_E_clISt17integral_constantIbLb0EESW_IbLb1EEEEDaSS_ST_EUlSS_E_NS1_11comp_targetILNS1_3genE3ELNS1_11target_archE908ELNS1_3gpuE7ELNS1_3repE0EEENS1_30default_config_static_selectorELNS0_4arch9wavefront6targetE1EEEvT1_.kd
    .uniform_work_group_size: 1
    .uses_dynamic_stack: false
    .vgpr_count:     0
    .vgpr_spill_count: 0
    .wavefront_size: 64
  - .agpr_count:     0
    .args:
      - .offset:         0
        .size:           112
        .value_kind:     by_value
    .group_segment_fixed_size: 0
    .kernarg_segment_align: 8
    .kernarg_segment_size: 112
    .language:       OpenCL C
    .language_version:
      - 2
      - 0
    .max_flat_workgroup_size: 128
    .name:           _ZN7rocprim17ROCPRIM_400000_NS6detail17trampoline_kernelINS0_14default_configENS1_20scan_config_selectorIdEEZZNS1_9scan_implILNS1_25lookback_scan_determinismE0ELb0ELb0ES3_N6thrust23THRUST_200600_302600_NS6detail15normal_iteratorINS9_10device_ptrIdEEEENS9_16discard_iteratorINS9_11use_defaultEEEdNS9_4plusIvEEdEEDaPvRmT3_T4_T5_mT6_P12ihipStream_tbENKUlT_T0_E_clISt17integral_constantIbLb0EESW_IbLb1EEEEDaSS_ST_EUlSS_E_NS1_11comp_targetILNS1_3genE2ELNS1_11target_archE906ELNS1_3gpuE6ELNS1_3repE0EEENS1_30default_config_static_selectorELNS0_4arch9wavefront6targetE1EEEvT1_
    .private_segment_fixed_size: 0
    .sgpr_count:     4
    .sgpr_spill_count: 0
    .symbol:         _ZN7rocprim17ROCPRIM_400000_NS6detail17trampoline_kernelINS0_14default_configENS1_20scan_config_selectorIdEEZZNS1_9scan_implILNS1_25lookback_scan_determinismE0ELb0ELb0ES3_N6thrust23THRUST_200600_302600_NS6detail15normal_iteratorINS9_10device_ptrIdEEEENS9_16discard_iteratorINS9_11use_defaultEEEdNS9_4plusIvEEdEEDaPvRmT3_T4_T5_mT6_P12ihipStream_tbENKUlT_T0_E_clISt17integral_constantIbLb0EESW_IbLb1EEEEDaSS_ST_EUlSS_E_NS1_11comp_targetILNS1_3genE2ELNS1_11target_archE906ELNS1_3gpuE6ELNS1_3repE0EEENS1_30default_config_static_selectorELNS0_4arch9wavefront6targetE1EEEvT1_.kd
    .uniform_work_group_size: 1
    .uses_dynamic_stack: false
    .vgpr_count:     0
    .vgpr_spill_count: 0
    .wavefront_size: 64
  - .agpr_count:     0
    .args:
      - .offset:         0
        .size:           112
        .value_kind:     by_value
    .group_segment_fixed_size: 0
    .kernarg_segment_align: 8
    .kernarg_segment_size: 112
    .language:       OpenCL C
    .language_version:
      - 2
      - 0
    .max_flat_workgroup_size: 256
    .name:           _ZN7rocprim17ROCPRIM_400000_NS6detail17trampoline_kernelINS0_14default_configENS1_20scan_config_selectorIdEEZZNS1_9scan_implILNS1_25lookback_scan_determinismE0ELb0ELb0ES3_N6thrust23THRUST_200600_302600_NS6detail15normal_iteratorINS9_10device_ptrIdEEEENS9_16discard_iteratorINS9_11use_defaultEEEdNS9_4plusIvEEdEEDaPvRmT3_T4_T5_mT6_P12ihipStream_tbENKUlT_T0_E_clISt17integral_constantIbLb0EESW_IbLb1EEEEDaSS_ST_EUlSS_E_NS1_11comp_targetILNS1_3genE10ELNS1_11target_archE1201ELNS1_3gpuE5ELNS1_3repE0EEENS1_30default_config_static_selectorELNS0_4arch9wavefront6targetE1EEEvT1_
    .private_segment_fixed_size: 0
    .sgpr_count:     4
    .sgpr_spill_count: 0
    .symbol:         _ZN7rocprim17ROCPRIM_400000_NS6detail17trampoline_kernelINS0_14default_configENS1_20scan_config_selectorIdEEZZNS1_9scan_implILNS1_25lookback_scan_determinismE0ELb0ELb0ES3_N6thrust23THRUST_200600_302600_NS6detail15normal_iteratorINS9_10device_ptrIdEEEENS9_16discard_iteratorINS9_11use_defaultEEEdNS9_4plusIvEEdEEDaPvRmT3_T4_T5_mT6_P12ihipStream_tbENKUlT_T0_E_clISt17integral_constantIbLb0EESW_IbLb1EEEEDaSS_ST_EUlSS_E_NS1_11comp_targetILNS1_3genE10ELNS1_11target_archE1201ELNS1_3gpuE5ELNS1_3repE0EEENS1_30default_config_static_selectorELNS0_4arch9wavefront6targetE1EEEvT1_.kd
    .uniform_work_group_size: 1
    .uses_dynamic_stack: false
    .vgpr_count:     0
    .vgpr_spill_count: 0
    .wavefront_size: 64
  - .agpr_count:     0
    .args:
      - .offset:         0
        .size:           112
        .value_kind:     by_value
    .group_segment_fixed_size: 0
    .kernarg_segment_align: 8
    .kernarg_segment_size: 112
    .language:       OpenCL C
    .language_version:
      - 2
      - 0
    .max_flat_workgroup_size: 256
    .name:           _ZN7rocprim17ROCPRIM_400000_NS6detail17trampoline_kernelINS0_14default_configENS1_20scan_config_selectorIdEEZZNS1_9scan_implILNS1_25lookback_scan_determinismE0ELb0ELb0ES3_N6thrust23THRUST_200600_302600_NS6detail15normal_iteratorINS9_10device_ptrIdEEEENS9_16discard_iteratorINS9_11use_defaultEEEdNS9_4plusIvEEdEEDaPvRmT3_T4_T5_mT6_P12ihipStream_tbENKUlT_T0_E_clISt17integral_constantIbLb0EESW_IbLb1EEEEDaSS_ST_EUlSS_E_NS1_11comp_targetILNS1_3genE10ELNS1_11target_archE1200ELNS1_3gpuE4ELNS1_3repE0EEENS1_30default_config_static_selectorELNS0_4arch9wavefront6targetE1EEEvT1_
    .private_segment_fixed_size: 0
    .sgpr_count:     4
    .sgpr_spill_count: 0
    .symbol:         _ZN7rocprim17ROCPRIM_400000_NS6detail17trampoline_kernelINS0_14default_configENS1_20scan_config_selectorIdEEZZNS1_9scan_implILNS1_25lookback_scan_determinismE0ELb0ELb0ES3_N6thrust23THRUST_200600_302600_NS6detail15normal_iteratorINS9_10device_ptrIdEEEENS9_16discard_iteratorINS9_11use_defaultEEEdNS9_4plusIvEEdEEDaPvRmT3_T4_T5_mT6_P12ihipStream_tbENKUlT_T0_E_clISt17integral_constantIbLb0EESW_IbLb1EEEEDaSS_ST_EUlSS_E_NS1_11comp_targetILNS1_3genE10ELNS1_11target_archE1200ELNS1_3gpuE4ELNS1_3repE0EEENS1_30default_config_static_selectorELNS0_4arch9wavefront6targetE1EEEvT1_.kd
    .uniform_work_group_size: 1
    .uses_dynamic_stack: false
    .vgpr_count:     0
    .vgpr_spill_count: 0
    .wavefront_size: 64
  - .agpr_count:     0
    .args:
      - .offset:         0
        .size:           112
        .value_kind:     by_value
    .group_segment_fixed_size: 0
    .kernarg_segment_align: 8
    .kernarg_segment_size: 112
    .language:       OpenCL C
    .language_version:
      - 2
      - 0
    .max_flat_workgroup_size: 256
    .name:           _ZN7rocprim17ROCPRIM_400000_NS6detail17trampoline_kernelINS0_14default_configENS1_20scan_config_selectorIdEEZZNS1_9scan_implILNS1_25lookback_scan_determinismE0ELb0ELb0ES3_N6thrust23THRUST_200600_302600_NS6detail15normal_iteratorINS9_10device_ptrIdEEEENS9_16discard_iteratorINS9_11use_defaultEEEdNS9_4plusIvEEdEEDaPvRmT3_T4_T5_mT6_P12ihipStream_tbENKUlT_T0_E_clISt17integral_constantIbLb0EESW_IbLb1EEEEDaSS_ST_EUlSS_E_NS1_11comp_targetILNS1_3genE9ELNS1_11target_archE1100ELNS1_3gpuE3ELNS1_3repE0EEENS1_30default_config_static_selectorELNS0_4arch9wavefront6targetE1EEEvT1_
    .private_segment_fixed_size: 0
    .sgpr_count:     4
    .sgpr_spill_count: 0
    .symbol:         _ZN7rocprim17ROCPRIM_400000_NS6detail17trampoline_kernelINS0_14default_configENS1_20scan_config_selectorIdEEZZNS1_9scan_implILNS1_25lookback_scan_determinismE0ELb0ELb0ES3_N6thrust23THRUST_200600_302600_NS6detail15normal_iteratorINS9_10device_ptrIdEEEENS9_16discard_iteratorINS9_11use_defaultEEEdNS9_4plusIvEEdEEDaPvRmT3_T4_T5_mT6_P12ihipStream_tbENKUlT_T0_E_clISt17integral_constantIbLb0EESW_IbLb1EEEEDaSS_ST_EUlSS_E_NS1_11comp_targetILNS1_3genE9ELNS1_11target_archE1100ELNS1_3gpuE3ELNS1_3repE0EEENS1_30default_config_static_selectorELNS0_4arch9wavefront6targetE1EEEvT1_.kd
    .uniform_work_group_size: 1
    .uses_dynamic_stack: false
    .vgpr_count:     0
    .vgpr_spill_count: 0
    .wavefront_size: 64
  - .agpr_count:     0
    .args:
      - .offset:         0
        .size:           112
        .value_kind:     by_value
    .group_segment_fixed_size: 0
    .kernarg_segment_align: 8
    .kernarg_segment_size: 112
    .language:       OpenCL C
    .language_version:
      - 2
      - 0
    .max_flat_workgroup_size: 128
    .name:           _ZN7rocprim17ROCPRIM_400000_NS6detail17trampoline_kernelINS0_14default_configENS1_20scan_config_selectorIdEEZZNS1_9scan_implILNS1_25lookback_scan_determinismE0ELb0ELb0ES3_N6thrust23THRUST_200600_302600_NS6detail15normal_iteratorINS9_10device_ptrIdEEEENS9_16discard_iteratorINS9_11use_defaultEEEdNS9_4plusIvEEdEEDaPvRmT3_T4_T5_mT6_P12ihipStream_tbENKUlT_T0_E_clISt17integral_constantIbLb0EESW_IbLb1EEEEDaSS_ST_EUlSS_E_NS1_11comp_targetILNS1_3genE8ELNS1_11target_archE1030ELNS1_3gpuE2ELNS1_3repE0EEENS1_30default_config_static_selectorELNS0_4arch9wavefront6targetE1EEEvT1_
    .private_segment_fixed_size: 0
    .sgpr_count:     4
    .sgpr_spill_count: 0
    .symbol:         _ZN7rocprim17ROCPRIM_400000_NS6detail17trampoline_kernelINS0_14default_configENS1_20scan_config_selectorIdEEZZNS1_9scan_implILNS1_25lookback_scan_determinismE0ELb0ELb0ES3_N6thrust23THRUST_200600_302600_NS6detail15normal_iteratorINS9_10device_ptrIdEEEENS9_16discard_iteratorINS9_11use_defaultEEEdNS9_4plusIvEEdEEDaPvRmT3_T4_T5_mT6_P12ihipStream_tbENKUlT_T0_E_clISt17integral_constantIbLb0EESW_IbLb1EEEEDaSS_ST_EUlSS_E_NS1_11comp_targetILNS1_3genE8ELNS1_11target_archE1030ELNS1_3gpuE2ELNS1_3repE0EEENS1_30default_config_static_selectorELNS0_4arch9wavefront6targetE1EEEvT1_.kd
    .uniform_work_group_size: 1
    .uses_dynamic_stack: false
    .vgpr_count:     0
    .vgpr_spill_count: 0
    .wavefront_size: 64
  - .agpr_count:     0
    .args:
      - .offset:         0
        .size:           48
        .value_kind:     by_value
    .group_segment_fixed_size: 0
    .kernarg_segment_align: 8
    .kernarg_segment_size: 48
    .language:       OpenCL C
    .language_version:
      - 2
      - 0
    .max_flat_workgroup_size: 256
    .name:           _ZN7rocprim17ROCPRIM_400000_NS6detail17trampoline_kernelINS0_14default_configENS1_20scan_config_selectorIdEEZZNS1_9scan_implILNS1_25lookback_scan_determinismE0ELb0ELb0ES3_N6thrust23THRUST_200600_302600_NS6detail15normal_iteratorINS9_10device_ptrIdEEEENS9_16discard_iteratorINS9_11use_defaultEEEdNS9_4plusIvEEdEEDaPvRmT3_T4_T5_mT6_P12ihipStream_tbENKUlT_T0_E_clISt17integral_constantIbLb0EESW_IbLb1EEEEDaSS_ST_EUlSS_E0_NS1_11comp_targetILNS1_3genE0ELNS1_11target_archE4294967295ELNS1_3gpuE0ELNS1_3repE0EEENS1_30default_config_static_selectorELNS0_4arch9wavefront6targetE1EEEvT1_
    .private_segment_fixed_size: 0
    .sgpr_count:     4
    .sgpr_spill_count: 0
    .symbol:         _ZN7rocprim17ROCPRIM_400000_NS6detail17trampoline_kernelINS0_14default_configENS1_20scan_config_selectorIdEEZZNS1_9scan_implILNS1_25lookback_scan_determinismE0ELb0ELb0ES3_N6thrust23THRUST_200600_302600_NS6detail15normal_iteratorINS9_10device_ptrIdEEEENS9_16discard_iteratorINS9_11use_defaultEEEdNS9_4plusIvEEdEEDaPvRmT3_T4_T5_mT6_P12ihipStream_tbENKUlT_T0_E_clISt17integral_constantIbLb0EESW_IbLb1EEEEDaSS_ST_EUlSS_E0_NS1_11comp_targetILNS1_3genE0ELNS1_11target_archE4294967295ELNS1_3gpuE0ELNS1_3repE0EEENS1_30default_config_static_selectorELNS0_4arch9wavefront6targetE1EEEvT1_.kd
    .uniform_work_group_size: 1
    .uses_dynamic_stack: false
    .vgpr_count:     0
    .vgpr_spill_count: 0
    .wavefront_size: 64
  - .agpr_count:     0
    .args:
      - .offset:         0
        .size:           48
        .value_kind:     by_value
    .group_segment_fixed_size: 0
    .kernarg_segment_align: 8
    .kernarg_segment_size: 48
    .language:       OpenCL C
    .language_version:
      - 2
      - 0
    .max_flat_workgroup_size: 256
    .name:           _ZN7rocprim17ROCPRIM_400000_NS6detail17trampoline_kernelINS0_14default_configENS1_20scan_config_selectorIdEEZZNS1_9scan_implILNS1_25lookback_scan_determinismE0ELb0ELb0ES3_N6thrust23THRUST_200600_302600_NS6detail15normal_iteratorINS9_10device_ptrIdEEEENS9_16discard_iteratorINS9_11use_defaultEEEdNS9_4plusIvEEdEEDaPvRmT3_T4_T5_mT6_P12ihipStream_tbENKUlT_T0_E_clISt17integral_constantIbLb0EESW_IbLb1EEEEDaSS_ST_EUlSS_E0_NS1_11comp_targetILNS1_3genE5ELNS1_11target_archE942ELNS1_3gpuE9ELNS1_3repE0EEENS1_30default_config_static_selectorELNS0_4arch9wavefront6targetE1EEEvT1_
    .private_segment_fixed_size: 0
    .sgpr_count:     4
    .sgpr_spill_count: 0
    .symbol:         _ZN7rocprim17ROCPRIM_400000_NS6detail17trampoline_kernelINS0_14default_configENS1_20scan_config_selectorIdEEZZNS1_9scan_implILNS1_25lookback_scan_determinismE0ELb0ELb0ES3_N6thrust23THRUST_200600_302600_NS6detail15normal_iteratorINS9_10device_ptrIdEEEENS9_16discard_iteratorINS9_11use_defaultEEEdNS9_4plusIvEEdEEDaPvRmT3_T4_T5_mT6_P12ihipStream_tbENKUlT_T0_E_clISt17integral_constantIbLb0EESW_IbLb1EEEEDaSS_ST_EUlSS_E0_NS1_11comp_targetILNS1_3genE5ELNS1_11target_archE942ELNS1_3gpuE9ELNS1_3repE0EEENS1_30default_config_static_selectorELNS0_4arch9wavefront6targetE1EEEvT1_.kd
    .uniform_work_group_size: 1
    .uses_dynamic_stack: false
    .vgpr_count:     0
    .vgpr_spill_count: 0
    .wavefront_size: 64
  - .agpr_count:     0
    .args:
      - .offset:         0
        .size:           48
        .value_kind:     by_value
    .group_segment_fixed_size: 10240
    .kernarg_segment_align: 8
    .kernarg_segment_size: 48
    .language:       OpenCL C
    .language_version:
      - 2
      - 0
    .max_flat_workgroup_size: 128
    .name:           _ZN7rocprim17ROCPRIM_400000_NS6detail17trampoline_kernelINS0_14default_configENS1_20scan_config_selectorIdEEZZNS1_9scan_implILNS1_25lookback_scan_determinismE0ELb0ELb0ES3_N6thrust23THRUST_200600_302600_NS6detail15normal_iteratorINS9_10device_ptrIdEEEENS9_16discard_iteratorINS9_11use_defaultEEEdNS9_4plusIvEEdEEDaPvRmT3_T4_T5_mT6_P12ihipStream_tbENKUlT_T0_E_clISt17integral_constantIbLb0EESW_IbLb1EEEEDaSS_ST_EUlSS_E0_NS1_11comp_targetILNS1_3genE4ELNS1_11target_archE910ELNS1_3gpuE8ELNS1_3repE0EEENS1_30default_config_static_selectorELNS0_4arch9wavefront6targetE1EEEvT1_
    .private_segment_fixed_size: 0
    .sgpr_count:     12
    .sgpr_spill_count: 0
    .symbol:         _ZN7rocprim17ROCPRIM_400000_NS6detail17trampoline_kernelINS0_14default_configENS1_20scan_config_selectorIdEEZZNS1_9scan_implILNS1_25lookback_scan_determinismE0ELb0ELb0ES3_N6thrust23THRUST_200600_302600_NS6detail15normal_iteratorINS9_10device_ptrIdEEEENS9_16discard_iteratorINS9_11use_defaultEEEdNS9_4plusIvEEdEEDaPvRmT3_T4_T5_mT6_P12ihipStream_tbENKUlT_T0_E_clISt17integral_constantIbLb0EESW_IbLb1EEEEDaSS_ST_EUlSS_E0_NS1_11comp_targetILNS1_3genE4ELNS1_11target_archE910ELNS1_3gpuE8ELNS1_3repE0EEENS1_30default_config_static_selectorELNS0_4arch9wavefront6targetE1EEEvT1_.kd
    .uniform_work_group_size: 1
    .uses_dynamic_stack: false
    .vgpr_count:     49
    .vgpr_spill_count: 0
    .wavefront_size: 64
  - .agpr_count:     0
    .args:
      - .offset:         0
        .size:           48
        .value_kind:     by_value
    .group_segment_fixed_size: 0
    .kernarg_segment_align: 8
    .kernarg_segment_size: 48
    .language:       OpenCL C
    .language_version:
      - 2
      - 0
    .max_flat_workgroup_size: 256
    .name:           _ZN7rocprim17ROCPRIM_400000_NS6detail17trampoline_kernelINS0_14default_configENS1_20scan_config_selectorIdEEZZNS1_9scan_implILNS1_25lookback_scan_determinismE0ELb0ELb0ES3_N6thrust23THRUST_200600_302600_NS6detail15normal_iteratorINS9_10device_ptrIdEEEENS9_16discard_iteratorINS9_11use_defaultEEEdNS9_4plusIvEEdEEDaPvRmT3_T4_T5_mT6_P12ihipStream_tbENKUlT_T0_E_clISt17integral_constantIbLb0EESW_IbLb1EEEEDaSS_ST_EUlSS_E0_NS1_11comp_targetILNS1_3genE3ELNS1_11target_archE908ELNS1_3gpuE7ELNS1_3repE0EEENS1_30default_config_static_selectorELNS0_4arch9wavefront6targetE1EEEvT1_
    .private_segment_fixed_size: 0
    .sgpr_count:     4
    .sgpr_spill_count: 0
    .symbol:         _ZN7rocprim17ROCPRIM_400000_NS6detail17trampoline_kernelINS0_14default_configENS1_20scan_config_selectorIdEEZZNS1_9scan_implILNS1_25lookback_scan_determinismE0ELb0ELb0ES3_N6thrust23THRUST_200600_302600_NS6detail15normal_iteratorINS9_10device_ptrIdEEEENS9_16discard_iteratorINS9_11use_defaultEEEdNS9_4plusIvEEdEEDaPvRmT3_T4_T5_mT6_P12ihipStream_tbENKUlT_T0_E_clISt17integral_constantIbLb0EESW_IbLb1EEEEDaSS_ST_EUlSS_E0_NS1_11comp_targetILNS1_3genE3ELNS1_11target_archE908ELNS1_3gpuE7ELNS1_3repE0EEENS1_30default_config_static_selectorELNS0_4arch9wavefront6targetE1EEEvT1_.kd
    .uniform_work_group_size: 1
    .uses_dynamic_stack: false
    .vgpr_count:     0
    .vgpr_spill_count: 0
    .wavefront_size: 64
  - .agpr_count:     0
    .args:
      - .offset:         0
        .size:           48
        .value_kind:     by_value
    .group_segment_fixed_size: 0
    .kernarg_segment_align: 8
    .kernarg_segment_size: 48
    .language:       OpenCL C
    .language_version:
      - 2
      - 0
    .max_flat_workgroup_size: 128
    .name:           _ZN7rocprim17ROCPRIM_400000_NS6detail17trampoline_kernelINS0_14default_configENS1_20scan_config_selectorIdEEZZNS1_9scan_implILNS1_25lookback_scan_determinismE0ELb0ELb0ES3_N6thrust23THRUST_200600_302600_NS6detail15normal_iteratorINS9_10device_ptrIdEEEENS9_16discard_iteratorINS9_11use_defaultEEEdNS9_4plusIvEEdEEDaPvRmT3_T4_T5_mT6_P12ihipStream_tbENKUlT_T0_E_clISt17integral_constantIbLb0EESW_IbLb1EEEEDaSS_ST_EUlSS_E0_NS1_11comp_targetILNS1_3genE2ELNS1_11target_archE906ELNS1_3gpuE6ELNS1_3repE0EEENS1_30default_config_static_selectorELNS0_4arch9wavefront6targetE1EEEvT1_
    .private_segment_fixed_size: 0
    .sgpr_count:     4
    .sgpr_spill_count: 0
    .symbol:         _ZN7rocprim17ROCPRIM_400000_NS6detail17trampoline_kernelINS0_14default_configENS1_20scan_config_selectorIdEEZZNS1_9scan_implILNS1_25lookback_scan_determinismE0ELb0ELb0ES3_N6thrust23THRUST_200600_302600_NS6detail15normal_iteratorINS9_10device_ptrIdEEEENS9_16discard_iteratorINS9_11use_defaultEEEdNS9_4plusIvEEdEEDaPvRmT3_T4_T5_mT6_P12ihipStream_tbENKUlT_T0_E_clISt17integral_constantIbLb0EESW_IbLb1EEEEDaSS_ST_EUlSS_E0_NS1_11comp_targetILNS1_3genE2ELNS1_11target_archE906ELNS1_3gpuE6ELNS1_3repE0EEENS1_30default_config_static_selectorELNS0_4arch9wavefront6targetE1EEEvT1_.kd
    .uniform_work_group_size: 1
    .uses_dynamic_stack: false
    .vgpr_count:     0
    .vgpr_spill_count: 0
    .wavefront_size: 64
  - .agpr_count:     0
    .args:
      - .offset:         0
        .size:           48
        .value_kind:     by_value
    .group_segment_fixed_size: 0
    .kernarg_segment_align: 8
    .kernarg_segment_size: 48
    .language:       OpenCL C
    .language_version:
      - 2
      - 0
    .max_flat_workgroup_size: 256
    .name:           _ZN7rocprim17ROCPRIM_400000_NS6detail17trampoline_kernelINS0_14default_configENS1_20scan_config_selectorIdEEZZNS1_9scan_implILNS1_25lookback_scan_determinismE0ELb0ELb0ES3_N6thrust23THRUST_200600_302600_NS6detail15normal_iteratorINS9_10device_ptrIdEEEENS9_16discard_iteratorINS9_11use_defaultEEEdNS9_4plusIvEEdEEDaPvRmT3_T4_T5_mT6_P12ihipStream_tbENKUlT_T0_E_clISt17integral_constantIbLb0EESW_IbLb1EEEEDaSS_ST_EUlSS_E0_NS1_11comp_targetILNS1_3genE10ELNS1_11target_archE1201ELNS1_3gpuE5ELNS1_3repE0EEENS1_30default_config_static_selectorELNS0_4arch9wavefront6targetE1EEEvT1_
    .private_segment_fixed_size: 0
    .sgpr_count:     4
    .sgpr_spill_count: 0
    .symbol:         _ZN7rocprim17ROCPRIM_400000_NS6detail17trampoline_kernelINS0_14default_configENS1_20scan_config_selectorIdEEZZNS1_9scan_implILNS1_25lookback_scan_determinismE0ELb0ELb0ES3_N6thrust23THRUST_200600_302600_NS6detail15normal_iteratorINS9_10device_ptrIdEEEENS9_16discard_iteratorINS9_11use_defaultEEEdNS9_4plusIvEEdEEDaPvRmT3_T4_T5_mT6_P12ihipStream_tbENKUlT_T0_E_clISt17integral_constantIbLb0EESW_IbLb1EEEEDaSS_ST_EUlSS_E0_NS1_11comp_targetILNS1_3genE10ELNS1_11target_archE1201ELNS1_3gpuE5ELNS1_3repE0EEENS1_30default_config_static_selectorELNS0_4arch9wavefront6targetE1EEEvT1_.kd
    .uniform_work_group_size: 1
    .uses_dynamic_stack: false
    .vgpr_count:     0
    .vgpr_spill_count: 0
    .wavefront_size: 64
  - .agpr_count:     0
    .args:
      - .offset:         0
        .size:           48
        .value_kind:     by_value
    .group_segment_fixed_size: 0
    .kernarg_segment_align: 8
    .kernarg_segment_size: 48
    .language:       OpenCL C
    .language_version:
      - 2
      - 0
    .max_flat_workgroup_size: 256
    .name:           _ZN7rocprim17ROCPRIM_400000_NS6detail17trampoline_kernelINS0_14default_configENS1_20scan_config_selectorIdEEZZNS1_9scan_implILNS1_25lookback_scan_determinismE0ELb0ELb0ES3_N6thrust23THRUST_200600_302600_NS6detail15normal_iteratorINS9_10device_ptrIdEEEENS9_16discard_iteratorINS9_11use_defaultEEEdNS9_4plusIvEEdEEDaPvRmT3_T4_T5_mT6_P12ihipStream_tbENKUlT_T0_E_clISt17integral_constantIbLb0EESW_IbLb1EEEEDaSS_ST_EUlSS_E0_NS1_11comp_targetILNS1_3genE10ELNS1_11target_archE1200ELNS1_3gpuE4ELNS1_3repE0EEENS1_30default_config_static_selectorELNS0_4arch9wavefront6targetE1EEEvT1_
    .private_segment_fixed_size: 0
    .sgpr_count:     4
    .sgpr_spill_count: 0
    .symbol:         _ZN7rocprim17ROCPRIM_400000_NS6detail17trampoline_kernelINS0_14default_configENS1_20scan_config_selectorIdEEZZNS1_9scan_implILNS1_25lookback_scan_determinismE0ELb0ELb0ES3_N6thrust23THRUST_200600_302600_NS6detail15normal_iteratorINS9_10device_ptrIdEEEENS9_16discard_iteratorINS9_11use_defaultEEEdNS9_4plusIvEEdEEDaPvRmT3_T4_T5_mT6_P12ihipStream_tbENKUlT_T0_E_clISt17integral_constantIbLb0EESW_IbLb1EEEEDaSS_ST_EUlSS_E0_NS1_11comp_targetILNS1_3genE10ELNS1_11target_archE1200ELNS1_3gpuE4ELNS1_3repE0EEENS1_30default_config_static_selectorELNS0_4arch9wavefront6targetE1EEEvT1_.kd
    .uniform_work_group_size: 1
    .uses_dynamic_stack: false
    .vgpr_count:     0
    .vgpr_spill_count: 0
    .wavefront_size: 64
  - .agpr_count:     0
    .args:
      - .offset:         0
        .size:           48
        .value_kind:     by_value
    .group_segment_fixed_size: 0
    .kernarg_segment_align: 8
    .kernarg_segment_size: 48
    .language:       OpenCL C
    .language_version:
      - 2
      - 0
    .max_flat_workgroup_size: 256
    .name:           _ZN7rocprim17ROCPRIM_400000_NS6detail17trampoline_kernelINS0_14default_configENS1_20scan_config_selectorIdEEZZNS1_9scan_implILNS1_25lookback_scan_determinismE0ELb0ELb0ES3_N6thrust23THRUST_200600_302600_NS6detail15normal_iteratorINS9_10device_ptrIdEEEENS9_16discard_iteratorINS9_11use_defaultEEEdNS9_4plusIvEEdEEDaPvRmT3_T4_T5_mT6_P12ihipStream_tbENKUlT_T0_E_clISt17integral_constantIbLb0EESW_IbLb1EEEEDaSS_ST_EUlSS_E0_NS1_11comp_targetILNS1_3genE9ELNS1_11target_archE1100ELNS1_3gpuE3ELNS1_3repE0EEENS1_30default_config_static_selectorELNS0_4arch9wavefront6targetE1EEEvT1_
    .private_segment_fixed_size: 0
    .sgpr_count:     4
    .sgpr_spill_count: 0
    .symbol:         _ZN7rocprim17ROCPRIM_400000_NS6detail17trampoline_kernelINS0_14default_configENS1_20scan_config_selectorIdEEZZNS1_9scan_implILNS1_25lookback_scan_determinismE0ELb0ELb0ES3_N6thrust23THRUST_200600_302600_NS6detail15normal_iteratorINS9_10device_ptrIdEEEENS9_16discard_iteratorINS9_11use_defaultEEEdNS9_4plusIvEEdEEDaPvRmT3_T4_T5_mT6_P12ihipStream_tbENKUlT_T0_E_clISt17integral_constantIbLb0EESW_IbLb1EEEEDaSS_ST_EUlSS_E0_NS1_11comp_targetILNS1_3genE9ELNS1_11target_archE1100ELNS1_3gpuE3ELNS1_3repE0EEENS1_30default_config_static_selectorELNS0_4arch9wavefront6targetE1EEEvT1_.kd
    .uniform_work_group_size: 1
    .uses_dynamic_stack: false
    .vgpr_count:     0
    .vgpr_spill_count: 0
    .wavefront_size: 64
  - .agpr_count:     0
    .args:
      - .offset:         0
        .size:           48
        .value_kind:     by_value
    .group_segment_fixed_size: 0
    .kernarg_segment_align: 8
    .kernarg_segment_size: 48
    .language:       OpenCL C
    .language_version:
      - 2
      - 0
    .max_flat_workgroup_size: 128
    .name:           _ZN7rocprim17ROCPRIM_400000_NS6detail17trampoline_kernelINS0_14default_configENS1_20scan_config_selectorIdEEZZNS1_9scan_implILNS1_25lookback_scan_determinismE0ELb0ELb0ES3_N6thrust23THRUST_200600_302600_NS6detail15normal_iteratorINS9_10device_ptrIdEEEENS9_16discard_iteratorINS9_11use_defaultEEEdNS9_4plusIvEEdEEDaPvRmT3_T4_T5_mT6_P12ihipStream_tbENKUlT_T0_E_clISt17integral_constantIbLb0EESW_IbLb1EEEEDaSS_ST_EUlSS_E0_NS1_11comp_targetILNS1_3genE8ELNS1_11target_archE1030ELNS1_3gpuE2ELNS1_3repE0EEENS1_30default_config_static_selectorELNS0_4arch9wavefront6targetE1EEEvT1_
    .private_segment_fixed_size: 0
    .sgpr_count:     4
    .sgpr_spill_count: 0
    .symbol:         _ZN7rocprim17ROCPRIM_400000_NS6detail17trampoline_kernelINS0_14default_configENS1_20scan_config_selectorIdEEZZNS1_9scan_implILNS1_25lookback_scan_determinismE0ELb0ELb0ES3_N6thrust23THRUST_200600_302600_NS6detail15normal_iteratorINS9_10device_ptrIdEEEENS9_16discard_iteratorINS9_11use_defaultEEEdNS9_4plusIvEEdEEDaPvRmT3_T4_T5_mT6_P12ihipStream_tbENKUlT_T0_E_clISt17integral_constantIbLb0EESW_IbLb1EEEEDaSS_ST_EUlSS_E0_NS1_11comp_targetILNS1_3genE8ELNS1_11target_archE1030ELNS1_3gpuE2ELNS1_3repE0EEENS1_30default_config_static_selectorELNS0_4arch9wavefront6targetE1EEEvT1_.kd
    .uniform_work_group_size: 1
    .uses_dynamic_stack: false
    .vgpr_count:     0
    .vgpr_spill_count: 0
    .wavefront_size: 64
  - .agpr_count:     0
    .args:
      - .offset:         0
        .size:           112
        .value_kind:     by_value
    .group_segment_fixed_size: 0
    .kernarg_segment_align: 8
    .kernarg_segment_size: 112
    .language:       OpenCL C
    .language_version:
      - 2
      - 0
    .max_flat_workgroup_size: 256
    .name:           _ZN7rocprim17ROCPRIM_400000_NS6detail17trampoline_kernelINS0_14default_configENS1_20scan_config_selectorIdEEZZNS1_9scan_implILNS1_25lookback_scan_determinismE0ELb1ELb1ES3_N6thrust23THRUST_200600_302600_NS6detail15normal_iteratorINS9_10device_ptrIdEEEENS9_16discard_iteratorINS9_11use_defaultEEEdNS9_4plusIvEEdEEDaPvRmT3_T4_T5_mT6_P12ihipStream_tbENKUlT_T0_E_clISt17integral_constantIbLb0EESX_EEDaSS_ST_EUlSS_E_NS1_11comp_targetILNS1_3genE0ELNS1_11target_archE4294967295ELNS1_3gpuE0ELNS1_3repE0EEENS1_30default_config_static_selectorELNS0_4arch9wavefront6targetE1EEEvT1_
    .private_segment_fixed_size: 0
    .sgpr_count:     4
    .sgpr_spill_count: 0
    .symbol:         _ZN7rocprim17ROCPRIM_400000_NS6detail17trampoline_kernelINS0_14default_configENS1_20scan_config_selectorIdEEZZNS1_9scan_implILNS1_25lookback_scan_determinismE0ELb1ELb1ES3_N6thrust23THRUST_200600_302600_NS6detail15normal_iteratorINS9_10device_ptrIdEEEENS9_16discard_iteratorINS9_11use_defaultEEEdNS9_4plusIvEEdEEDaPvRmT3_T4_T5_mT6_P12ihipStream_tbENKUlT_T0_E_clISt17integral_constantIbLb0EESX_EEDaSS_ST_EUlSS_E_NS1_11comp_targetILNS1_3genE0ELNS1_11target_archE4294967295ELNS1_3gpuE0ELNS1_3repE0EEENS1_30default_config_static_selectorELNS0_4arch9wavefront6targetE1EEEvT1_.kd
    .uniform_work_group_size: 1
    .uses_dynamic_stack: false
    .vgpr_count:     0
    .vgpr_spill_count: 0
    .wavefront_size: 64
  - .agpr_count:     0
    .args:
      - .offset:         0
        .size:           112
        .value_kind:     by_value
    .group_segment_fixed_size: 0
    .kernarg_segment_align: 8
    .kernarg_segment_size: 112
    .language:       OpenCL C
    .language_version:
      - 2
      - 0
    .max_flat_workgroup_size: 256
    .name:           _ZN7rocprim17ROCPRIM_400000_NS6detail17trampoline_kernelINS0_14default_configENS1_20scan_config_selectorIdEEZZNS1_9scan_implILNS1_25lookback_scan_determinismE0ELb1ELb1ES3_N6thrust23THRUST_200600_302600_NS6detail15normal_iteratorINS9_10device_ptrIdEEEENS9_16discard_iteratorINS9_11use_defaultEEEdNS9_4plusIvEEdEEDaPvRmT3_T4_T5_mT6_P12ihipStream_tbENKUlT_T0_E_clISt17integral_constantIbLb0EESX_EEDaSS_ST_EUlSS_E_NS1_11comp_targetILNS1_3genE5ELNS1_11target_archE942ELNS1_3gpuE9ELNS1_3repE0EEENS1_30default_config_static_selectorELNS0_4arch9wavefront6targetE1EEEvT1_
    .private_segment_fixed_size: 0
    .sgpr_count:     4
    .sgpr_spill_count: 0
    .symbol:         _ZN7rocprim17ROCPRIM_400000_NS6detail17trampoline_kernelINS0_14default_configENS1_20scan_config_selectorIdEEZZNS1_9scan_implILNS1_25lookback_scan_determinismE0ELb1ELb1ES3_N6thrust23THRUST_200600_302600_NS6detail15normal_iteratorINS9_10device_ptrIdEEEENS9_16discard_iteratorINS9_11use_defaultEEEdNS9_4plusIvEEdEEDaPvRmT3_T4_T5_mT6_P12ihipStream_tbENKUlT_T0_E_clISt17integral_constantIbLb0EESX_EEDaSS_ST_EUlSS_E_NS1_11comp_targetILNS1_3genE5ELNS1_11target_archE942ELNS1_3gpuE9ELNS1_3repE0EEENS1_30default_config_static_selectorELNS0_4arch9wavefront6targetE1EEEvT1_.kd
    .uniform_work_group_size: 1
    .uses_dynamic_stack: false
    .vgpr_count:     0
    .vgpr_spill_count: 0
    .wavefront_size: 64
  - .agpr_count:     0
    .args:
      - .offset:         0
        .size:           112
        .value_kind:     by_value
    .group_segment_fixed_size: 10240
    .kernarg_segment_align: 8
    .kernarg_segment_size: 112
    .language:       OpenCL C
    .language_version:
      - 2
      - 0
    .max_flat_workgroup_size: 128
    .name:           _ZN7rocprim17ROCPRIM_400000_NS6detail17trampoline_kernelINS0_14default_configENS1_20scan_config_selectorIdEEZZNS1_9scan_implILNS1_25lookback_scan_determinismE0ELb1ELb1ES3_N6thrust23THRUST_200600_302600_NS6detail15normal_iteratorINS9_10device_ptrIdEEEENS9_16discard_iteratorINS9_11use_defaultEEEdNS9_4plusIvEEdEEDaPvRmT3_T4_T5_mT6_P12ihipStream_tbENKUlT_T0_E_clISt17integral_constantIbLb0EESX_EEDaSS_ST_EUlSS_E_NS1_11comp_targetILNS1_3genE4ELNS1_11target_archE910ELNS1_3gpuE8ELNS1_3repE0EEENS1_30default_config_static_selectorELNS0_4arch9wavefront6targetE1EEEvT1_
    .private_segment_fixed_size: 0
    .sgpr_count:     30
    .sgpr_spill_count: 0
    .symbol:         _ZN7rocprim17ROCPRIM_400000_NS6detail17trampoline_kernelINS0_14default_configENS1_20scan_config_selectorIdEEZZNS1_9scan_implILNS1_25lookback_scan_determinismE0ELb1ELb1ES3_N6thrust23THRUST_200600_302600_NS6detail15normal_iteratorINS9_10device_ptrIdEEEENS9_16discard_iteratorINS9_11use_defaultEEEdNS9_4plusIvEEdEEDaPvRmT3_T4_T5_mT6_P12ihipStream_tbENKUlT_T0_E_clISt17integral_constantIbLb0EESX_EEDaSS_ST_EUlSS_E_NS1_11comp_targetILNS1_3genE4ELNS1_11target_archE910ELNS1_3gpuE8ELNS1_3repE0EEENS1_30default_config_static_selectorELNS0_4arch9wavefront6targetE1EEEvT1_.kd
    .uniform_work_group_size: 1
    .uses_dynamic_stack: false
    .vgpr_count:     68
    .vgpr_spill_count: 0
    .wavefront_size: 64
  - .agpr_count:     0
    .args:
      - .offset:         0
        .size:           112
        .value_kind:     by_value
    .group_segment_fixed_size: 0
    .kernarg_segment_align: 8
    .kernarg_segment_size: 112
    .language:       OpenCL C
    .language_version:
      - 2
      - 0
    .max_flat_workgroup_size: 256
    .name:           _ZN7rocprim17ROCPRIM_400000_NS6detail17trampoline_kernelINS0_14default_configENS1_20scan_config_selectorIdEEZZNS1_9scan_implILNS1_25lookback_scan_determinismE0ELb1ELb1ES3_N6thrust23THRUST_200600_302600_NS6detail15normal_iteratorINS9_10device_ptrIdEEEENS9_16discard_iteratorINS9_11use_defaultEEEdNS9_4plusIvEEdEEDaPvRmT3_T4_T5_mT6_P12ihipStream_tbENKUlT_T0_E_clISt17integral_constantIbLb0EESX_EEDaSS_ST_EUlSS_E_NS1_11comp_targetILNS1_3genE3ELNS1_11target_archE908ELNS1_3gpuE7ELNS1_3repE0EEENS1_30default_config_static_selectorELNS0_4arch9wavefront6targetE1EEEvT1_
    .private_segment_fixed_size: 0
    .sgpr_count:     4
    .sgpr_spill_count: 0
    .symbol:         _ZN7rocprim17ROCPRIM_400000_NS6detail17trampoline_kernelINS0_14default_configENS1_20scan_config_selectorIdEEZZNS1_9scan_implILNS1_25lookback_scan_determinismE0ELb1ELb1ES3_N6thrust23THRUST_200600_302600_NS6detail15normal_iteratorINS9_10device_ptrIdEEEENS9_16discard_iteratorINS9_11use_defaultEEEdNS9_4plusIvEEdEEDaPvRmT3_T4_T5_mT6_P12ihipStream_tbENKUlT_T0_E_clISt17integral_constantIbLb0EESX_EEDaSS_ST_EUlSS_E_NS1_11comp_targetILNS1_3genE3ELNS1_11target_archE908ELNS1_3gpuE7ELNS1_3repE0EEENS1_30default_config_static_selectorELNS0_4arch9wavefront6targetE1EEEvT1_.kd
    .uniform_work_group_size: 1
    .uses_dynamic_stack: false
    .vgpr_count:     0
    .vgpr_spill_count: 0
    .wavefront_size: 64
  - .agpr_count:     0
    .args:
      - .offset:         0
        .size:           112
        .value_kind:     by_value
    .group_segment_fixed_size: 0
    .kernarg_segment_align: 8
    .kernarg_segment_size: 112
    .language:       OpenCL C
    .language_version:
      - 2
      - 0
    .max_flat_workgroup_size: 128
    .name:           _ZN7rocprim17ROCPRIM_400000_NS6detail17trampoline_kernelINS0_14default_configENS1_20scan_config_selectorIdEEZZNS1_9scan_implILNS1_25lookback_scan_determinismE0ELb1ELb1ES3_N6thrust23THRUST_200600_302600_NS6detail15normal_iteratorINS9_10device_ptrIdEEEENS9_16discard_iteratorINS9_11use_defaultEEEdNS9_4plusIvEEdEEDaPvRmT3_T4_T5_mT6_P12ihipStream_tbENKUlT_T0_E_clISt17integral_constantIbLb0EESX_EEDaSS_ST_EUlSS_E_NS1_11comp_targetILNS1_3genE2ELNS1_11target_archE906ELNS1_3gpuE6ELNS1_3repE0EEENS1_30default_config_static_selectorELNS0_4arch9wavefront6targetE1EEEvT1_
    .private_segment_fixed_size: 0
    .sgpr_count:     4
    .sgpr_spill_count: 0
    .symbol:         _ZN7rocprim17ROCPRIM_400000_NS6detail17trampoline_kernelINS0_14default_configENS1_20scan_config_selectorIdEEZZNS1_9scan_implILNS1_25lookback_scan_determinismE0ELb1ELb1ES3_N6thrust23THRUST_200600_302600_NS6detail15normal_iteratorINS9_10device_ptrIdEEEENS9_16discard_iteratorINS9_11use_defaultEEEdNS9_4plusIvEEdEEDaPvRmT3_T4_T5_mT6_P12ihipStream_tbENKUlT_T0_E_clISt17integral_constantIbLb0EESX_EEDaSS_ST_EUlSS_E_NS1_11comp_targetILNS1_3genE2ELNS1_11target_archE906ELNS1_3gpuE6ELNS1_3repE0EEENS1_30default_config_static_selectorELNS0_4arch9wavefront6targetE1EEEvT1_.kd
    .uniform_work_group_size: 1
    .uses_dynamic_stack: false
    .vgpr_count:     0
    .vgpr_spill_count: 0
    .wavefront_size: 64
  - .agpr_count:     0
    .args:
      - .offset:         0
        .size:           112
        .value_kind:     by_value
    .group_segment_fixed_size: 0
    .kernarg_segment_align: 8
    .kernarg_segment_size: 112
    .language:       OpenCL C
    .language_version:
      - 2
      - 0
    .max_flat_workgroup_size: 256
    .name:           _ZN7rocprim17ROCPRIM_400000_NS6detail17trampoline_kernelINS0_14default_configENS1_20scan_config_selectorIdEEZZNS1_9scan_implILNS1_25lookback_scan_determinismE0ELb1ELb1ES3_N6thrust23THRUST_200600_302600_NS6detail15normal_iteratorINS9_10device_ptrIdEEEENS9_16discard_iteratorINS9_11use_defaultEEEdNS9_4plusIvEEdEEDaPvRmT3_T4_T5_mT6_P12ihipStream_tbENKUlT_T0_E_clISt17integral_constantIbLb0EESX_EEDaSS_ST_EUlSS_E_NS1_11comp_targetILNS1_3genE10ELNS1_11target_archE1201ELNS1_3gpuE5ELNS1_3repE0EEENS1_30default_config_static_selectorELNS0_4arch9wavefront6targetE1EEEvT1_
    .private_segment_fixed_size: 0
    .sgpr_count:     4
    .sgpr_spill_count: 0
    .symbol:         _ZN7rocprim17ROCPRIM_400000_NS6detail17trampoline_kernelINS0_14default_configENS1_20scan_config_selectorIdEEZZNS1_9scan_implILNS1_25lookback_scan_determinismE0ELb1ELb1ES3_N6thrust23THRUST_200600_302600_NS6detail15normal_iteratorINS9_10device_ptrIdEEEENS9_16discard_iteratorINS9_11use_defaultEEEdNS9_4plusIvEEdEEDaPvRmT3_T4_T5_mT6_P12ihipStream_tbENKUlT_T0_E_clISt17integral_constantIbLb0EESX_EEDaSS_ST_EUlSS_E_NS1_11comp_targetILNS1_3genE10ELNS1_11target_archE1201ELNS1_3gpuE5ELNS1_3repE0EEENS1_30default_config_static_selectorELNS0_4arch9wavefront6targetE1EEEvT1_.kd
    .uniform_work_group_size: 1
    .uses_dynamic_stack: false
    .vgpr_count:     0
    .vgpr_spill_count: 0
    .wavefront_size: 64
  - .agpr_count:     0
    .args:
      - .offset:         0
        .size:           112
        .value_kind:     by_value
    .group_segment_fixed_size: 0
    .kernarg_segment_align: 8
    .kernarg_segment_size: 112
    .language:       OpenCL C
    .language_version:
      - 2
      - 0
    .max_flat_workgroup_size: 256
    .name:           _ZN7rocprim17ROCPRIM_400000_NS6detail17trampoline_kernelINS0_14default_configENS1_20scan_config_selectorIdEEZZNS1_9scan_implILNS1_25lookback_scan_determinismE0ELb1ELb1ES3_N6thrust23THRUST_200600_302600_NS6detail15normal_iteratorINS9_10device_ptrIdEEEENS9_16discard_iteratorINS9_11use_defaultEEEdNS9_4plusIvEEdEEDaPvRmT3_T4_T5_mT6_P12ihipStream_tbENKUlT_T0_E_clISt17integral_constantIbLb0EESX_EEDaSS_ST_EUlSS_E_NS1_11comp_targetILNS1_3genE10ELNS1_11target_archE1200ELNS1_3gpuE4ELNS1_3repE0EEENS1_30default_config_static_selectorELNS0_4arch9wavefront6targetE1EEEvT1_
    .private_segment_fixed_size: 0
    .sgpr_count:     4
    .sgpr_spill_count: 0
    .symbol:         _ZN7rocprim17ROCPRIM_400000_NS6detail17trampoline_kernelINS0_14default_configENS1_20scan_config_selectorIdEEZZNS1_9scan_implILNS1_25lookback_scan_determinismE0ELb1ELb1ES3_N6thrust23THRUST_200600_302600_NS6detail15normal_iteratorINS9_10device_ptrIdEEEENS9_16discard_iteratorINS9_11use_defaultEEEdNS9_4plusIvEEdEEDaPvRmT3_T4_T5_mT6_P12ihipStream_tbENKUlT_T0_E_clISt17integral_constantIbLb0EESX_EEDaSS_ST_EUlSS_E_NS1_11comp_targetILNS1_3genE10ELNS1_11target_archE1200ELNS1_3gpuE4ELNS1_3repE0EEENS1_30default_config_static_selectorELNS0_4arch9wavefront6targetE1EEEvT1_.kd
    .uniform_work_group_size: 1
    .uses_dynamic_stack: false
    .vgpr_count:     0
    .vgpr_spill_count: 0
    .wavefront_size: 64
  - .agpr_count:     0
    .args:
      - .offset:         0
        .size:           112
        .value_kind:     by_value
    .group_segment_fixed_size: 0
    .kernarg_segment_align: 8
    .kernarg_segment_size: 112
    .language:       OpenCL C
    .language_version:
      - 2
      - 0
    .max_flat_workgroup_size: 256
    .name:           _ZN7rocprim17ROCPRIM_400000_NS6detail17trampoline_kernelINS0_14default_configENS1_20scan_config_selectorIdEEZZNS1_9scan_implILNS1_25lookback_scan_determinismE0ELb1ELb1ES3_N6thrust23THRUST_200600_302600_NS6detail15normal_iteratorINS9_10device_ptrIdEEEENS9_16discard_iteratorINS9_11use_defaultEEEdNS9_4plusIvEEdEEDaPvRmT3_T4_T5_mT6_P12ihipStream_tbENKUlT_T0_E_clISt17integral_constantIbLb0EESX_EEDaSS_ST_EUlSS_E_NS1_11comp_targetILNS1_3genE9ELNS1_11target_archE1100ELNS1_3gpuE3ELNS1_3repE0EEENS1_30default_config_static_selectorELNS0_4arch9wavefront6targetE1EEEvT1_
    .private_segment_fixed_size: 0
    .sgpr_count:     4
    .sgpr_spill_count: 0
    .symbol:         _ZN7rocprim17ROCPRIM_400000_NS6detail17trampoline_kernelINS0_14default_configENS1_20scan_config_selectorIdEEZZNS1_9scan_implILNS1_25lookback_scan_determinismE0ELb1ELb1ES3_N6thrust23THRUST_200600_302600_NS6detail15normal_iteratorINS9_10device_ptrIdEEEENS9_16discard_iteratorINS9_11use_defaultEEEdNS9_4plusIvEEdEEDaPvRmT3_T4_T5_mT6_P12ihipStream_tbENKUlT_T0_E_clISt17integral_constantIbLb0EESX_EEDaSS_ST_EUlSS_E_NS1_11comp_targetILNS1_3genE9ELNS1_11target_archE1100ELNS1_3gpuE3ELNS1_3repE0EEENS1_30default_config_static_selectorELNS0_4arch9wavefront6targetE1EEEvT1_.kd
    .uniform_work_group_size: 1
    .uses_dynamic_stack: false
    .vgpr_count:     0
    .vgpr_spill_count: 0
    .wavefront_size: 64
  - .agpr_count:     0
    .args:
      - .offset:         0
        .size:           112
        .value_kind:     by_value
    .group_segment_fixed_size: 0
    .kernarg_segment_align: 8
    .kernarg_segment_size: 112
    .language:       OpenCL C
    .language_version:
      - 2
      - 0
    .max_flat_workgroup_size: 128
    .name:           _ZN7rocprim17ROCPRIM_400000_NS6detail17trampoline_kernelINS0_14default_configENS1_20scan_config_selectorIdEEZZNS1_9scan_implILNS1_25lookback_scan_determinismE0ELb1ELb1ES3_N6thrust23THRUST_200600_302600_NS6detail15normal_iteratorINS9_10device_ptrIdEEEENS9_16discard_iteratorINS9_11use_defaultEEEdNS9_4plusIvEEdEEDaPvRmT3_T4_T5_mT6_P12ihipStream_tbENKUlT_T0_E_clISt17integral_constantIbLb0EESX_EEDaSS_ST_EUlSS_E_NS1_11comp_targetILNS1_3genE8ELNS1_11target_archE1030ELNS1_3gpuE2ELNS1_3repE0EEENS1_30default_config_static_selectorELNS0_4arch9wavefront6targetE1EEEvT1_
    .private_segment_fixed_size: 0
    .sgpr_count:     4
    .sgpr_spill_count: 0
    .symbol:         _ZN7rocprim17ROCPRIM_400000_NS6detail17trampoline_kernelINS0_14default_configENS1_20scan_config_selectorIdEEZZNS1_9scan_implILNS1_25lookback_scan_determinismE0ELb1ELb1ES3_N6thrust23THRUST_200600_302600_NS6detail15normal_iteratorINS9_10device_ptrIdEEEENS9_16discard_iteratorINS9_11use_defaultEEEdNS9_4plusIvEEdEEDaPvRmT3_T4_T5_mT6_P12ihipStream_tbENKUlT_T0_E_clISt17integral_constantIbLb0EESX_EEDaSS_ST_EUlSS_E_NS1_11comp_targetILNS1_3genE8ELNS1_11target_archE1030ELNS1_3gpuE2ELNS1_3repE0EEENS1_30default_config_static_selectorELNS0_4arch9wavefront6targetE1EEEvT1_.kd
    .uniform_work_group_size: 1
    .uses_dynamic_stack: false
    .vgpr_count:     0
    .vgpr_spill_count: 0
    .wavefront_size: 64
  - .agpr_count:     0
    .args:
      - .offset:         0
        .size:           48
        .value_kind:     by_value
    .group_segment_fixed_size: 0
    .kernarg_segment_align: 8
    .kernarg_segment_size: 48
    .language:       OpenCL C
    .language_version:
      - 2
      - 0
    .max_flat_workgroup_size: 256
    .name:           _ZN7rocprim17ROCPRIM_400000_NS6detail17trampoline_kernelINS0_14default_configENS1_20scan_config_selectorIdEEZZNS1_9scan_implILNS1_25lookback_scan_determinismE0ELb1ELb1ES3_N6thrust23THRUST_200600_302600_NS6detail15normal_iteratorINS9_10device_ptrIdEEEENS9_16discard_iteratorINS9_11use_defaultEEEdNS9_4plusIvEEdEEDaPvRmT3_T4_T5_mT6_P12ihipStream_tbENKUlT_T0_E_clISt17integral_constantIbLb0EESX_EEDaSS_ST_EUlSS_E0_NS1_11comp_targetILNS1_3genE0ELNS1_11target_archE4294967295ELNS1_3gpuE0ELNS1_3repE0EEENS1_30default_config_static_selectorELNS0_4arch9wavefront6targetE1EEEvT1_
    .private_segment_fixed_size: 0
    .sgpr_count:     4
    .sgpr_spill_count: 0
    .symbol:         _ZN7rocprim17ROCPRIM_400000_NS6detail17trampoline_kernelINS0_14default_configENS1_20scan_config_selectorIdEEZZNS1_9scan_implILNS1_25lookback_scan_determinismE0ELb1ELb1ES3_N6thrust23THRUST_200600_302600_NS6detail15normal_iteratorINS9_10device_ptrIdEEEENS9_16discard_iteratorINS9_11use_defaultEEEdNS9_4plusIvEEdEEDaPvRmT3_T4_T5_mT6_P12ihipStream_tbENKUlT_T0_E_clISt17integral_constantIbLb0EESX_EEDaSS_ST_EUlSS_E0_NS1_11comp_targetILNS1_3genE0ELNS1_11target_archE4294967295ELNS1_3gpuE0ELNS1_3repE0EEENS1_30default_config_static_selectorELNS0_4arch9wavefront6targetE1EEEvT1_.kd
    .uniform_work_group_size: 1
    .uses_dynamic_stack: false
    .vgpr_count:     0
    .vgpr_spill_count: 0
    .wavefront_size: 64
  - .agpr_count:     0
    .args:
      - .offset:         0
        .size:           48
        .value_kind:     by_value
    .group_segment_fixed_size: 0
    .kernarg_segment_align: 8
    .kernarg_segment_size: 48
    .language:       OpenCL C
    .language_version:
      - 2
      - 0
    .max_flat_workgroup_size: 256
    .name:           _ZN7rocprim17ROCPRIM_400000_NS6detail17trampoline_kernelINS0_14default_configENS1_20scan_config_selectorIdEEZZNS1_9scan_implILNS1_25lookback_scan_determinismE0ELb1ELb1ES3_N6thrust23THRUST_200600_302600_NS6detail15normal_iteratorINS9_10device_ptrIdEEEENS9_16discard_iteratorINS9_11use_defaultEEEdNS9_4plusIvEEdEEDaPvRmT3_T4_T5_mT6_P12ihipStream_tbENKUlT_T0_E_clISt17integral_constantIbLb0EESX_EEDaSS_ST_EUlSS_E0_NS1_11comp_targetILNS1_3genE5ELNS1_11target_archE942ELNS1_3gpuE9ELNS1_3repE0EEENS1_30default_config_static_selectorELNS0_4arch9wavefront6targetE1EEEvT1_
    .private_segment_fixed_size: 0
    .sgpr_count:     4
    .sgpr_spill_count: 0
    .symbol:         _ZN7rocprim17ROCPRIM_400000_NS6detail17trampoline_kernelINS0_14default_configENS1_20scan_config_selectorIdEEZZNS1_9scan_implILNS1_25lookback_scan_determinismE0ELb1ELb1ES3_N6thrust23THRUST_200600_302600_NS6detail15normal_iteratorINS9_10device_ptrIdEEEENS9_16discard_iteratorINS9_11use_defaultEEEdNS9_4plusIvEEdEEDaPvRmT3_T4_T5_mT6_P12ihipStream_tbENKUlT_T0_E_clISt17integral_constantIbLb0EESX_EEDaSS_ST_EUlSS_E0_NS1_11comp_targetILNS1_3genE5ELNS1_11target_archE942ELNS1_3gpuE9ELNS1_3repE0EEENS1_30default_config_static_selectorELNS0_4arch9wavefront6targetE1EEEvT1_.kd
    .uniform_work_group_size: 1
    .uses_dynamic_stack: false
    .vgpr_count:     0
    .vgpr_spill_count: 0
    .wavefront_size: 64
  - .agpr_count:     0
    .args:
      - .offset:         0
        .size:           48
        .value_kind:     by_value
    .group_segment_fixed_size: 10240
    .kernarg_segment_align: 8
    .kernarg_segment_size: 48
    .language:       OpenCL C
    .language_version:
      - 2
      - 0
    .max_flat_workgroup_size: 128
    .name:           _ZN7rocprim17ROCPRIM_400000_NS6detail17trampoline_kernelINS0_14default_configENS1_20scan_config_selectorIdEEZZNS1_9scan_implILNS1_25lookback_scan_determinismE0ELb1ELb1ES3_N6thrust23THRUST_200600_302600_NS6detail15normal_iteratorINS9_10device_ptrIdEEEENS9_16discard_iteratorINS9_11use_defaultEEEdNS9_4plusIvEEdEEDaPvRmT3_T4_T5_mT6_P12ihipStream_tbENKUlT_T0_E_clISt17integral_constantIbLb0EESX_EEDaSS_ST_EUlSS_E0_NS1_11comp_targetILNS1_3genE4ELNS1_11target_archE910ELNS1_3gpuE8ELNS1_3repE0EEENS1_30default_config_static_selectorELNS0_4arch9wavefront6targetE1EEEvT1_
    .private_segment_fixed_size: 0
    .sgpr_count:     14
    .sgpr_spill_count: 0
    .symbol:         _ZN7rocprim17ROCPRIM_400000_NS6detail17trampoline_kernelINS0_14default_configENS1_20scan_config_selectorIdEEZZNS1_9scan_implILNS1_25lookback_scan_determinismE0ELb1ELb1ES3_N6thrust23THRUST_200600_302600_NS6detail15normal_iteratorINS9_10device_ptrIdEEEENS9_16discard_iteratorINS9_11use_defaultEEEdNS9_4plusIvEEdEEDaPvRmT3_T4_T5_mT6_P12ihipStream_tbENKUlT_T0_E_clISt17integral_constantIbLb0EESX_EEDaSS_ST_EUlSS_E0_NS1_11comp_targetILNS1_3genE4ELNS1_11target_archE910ELNS1_3gpuE8ELNS1_3repE0EEENS1_30default_config_static_selectorELNS0_4arch9wavefront6targetE1EEEvT1_.kd
    .uniform_work_group_size: 1
    .uses_dynamic_stack: false
    .vgpr_count:     30
    .vgpr_spill_count: 0
    .wavefront_size: 64
  - .agpr_count:     0
    .args:
      - .offset:         0
        .size:           48
        .value_kind:     by_value
    .group_segment_fixed_size: 0
    .kernarg_segment_align: 8
    .kernarg_segment_size: 48
    .language:       OpenCL C
    .language_version:
      - 2
      - 0
    .max_flat_workgroup_size: 256
    .name:           _ZN7rocprim17ROCPRIM_400000_NS6detail17trampoline_kernelINS0_14default_configENS1_20scan_config_selectorIdEEZZNS1_9scan_implILNS1_25lookback_scan_determinismE0ELb1ELb1ES3_N6thrust23THRUST_200600_302600_NS6detail15normal_iteratorINS9_10device_ptrIdEEEENS9_16discard_iteratorINS9_11use_defaultEEEdNS9_4plusIvEEdEEDaPvRmT3_T4_T5_mT6_P12ihipStream_tbENKUlT_T0_E_clISt17integral_constantIbLb0EESX_EEDaSS_ST_EUlSS_E0_NS1_11comp_targetILNS1_3genE3ELNS1_11target_archE908ELNS1_3gpuE7ELNS1_3repE0EEENS1_30default_config_static_selectorELNS0_4arch9wavefront6targetE1EEEvT1_
    .private_segment_fixed_size: 0
    .sgpr_count:     4
    .sgpr_spill_count: 0
    .symbol:         _ZN7rocprim17ROCPRIM_400000_NS6detail17trampoline_kernelINS0_14default_configENS1_20scan_config_selectorIdEEZZNS1_9scan_implILNS1_25lookback_scan_determinismE0ELb1ELb1ES3_N6thrust23THRUST_200600_302600_NS6detail15normal_iteratorINS9_10device_ptrIdEEEENS9_16discard_iteratorINS9_11use_defaultEEEdNS9_4plusIvEEdEEDaPvRmT3_T4_T5_mT6_P12ihipStream_tbENKUlT_T0_E_clISt17integral_constantIbLb0EESX_EEDaSS_ST_EUlSS_E0_NS1_11comp_targetILNS1_3genE3ELNS1_11target_archE908ELNS1_3gpuE7ELNS1_3repE0EEENS1_30default_config_static_selectorELNS0_4arch9wavefront6targetE1EEEvT1_.kd
    .uniform_work_group_size: 1
    .uses_dynamic_stack: false
    .vgpr_count:     0
    .vgpr_spill_count: 0
    .wavefront_size: 64
  - .agpr_count:     0
    .args:
      - .offset:         0
        .size:           48
        .value_kind:     by_value
    .group_segment_fixed_size: 0
    .kernarg_segment_align: 8
    .kernarg_segment_size: 48
    .language:       OpenCL C
    .language_version:
      - 2
      - 0
    .max_flat_workgroup_size: 128
    .name:           _ZN7rocprim17ROCPRIM_400000_NS6detail17trampoline_kernelINS0_14default_configENS1_20scan_config_selectorIdEEZZNS1_9scan_implILNS1_25lookback_scan_determinismE0ELb1ELb1ES3_N6thrust23THRUST_200600_302600_NS6detail15normal_iteratorINS9_10device_ptrIdEEEENS9_16discard_iteratorINS9_11use_defaultEEEdNS9_4plusIvEEdEEDaPvRmT3_T4_T5_mT6_P12ihipStream_tbENKUlT_T0_E_clISt17integral_constantIbLb0EESX_EEDaSS_ST_EUlSS_E0_NS1_11comp_targetILNS1_3genE2ELNS1_11target_archE906ELNS1_3gpuE6ELNS1_3repE0EEENS1_30default_config_static_selectorELNS0_4arch9wavefront6targetE1EEEvT1_
    .private_segment_fixed_size: 0
    .sgpr_count:     4
    .sgpr_spill_count: 0
    .symbol:         _ZN7rocprim17ROCPRIM_400000_NS6detail17trampoline_kernelINS0_14default_configENS1_20scan_config_selectorIdEEZZNS1_9scan_implILNS1_25lookback_scan_determinismE0ELb1ELb1ES3_N6thrust23THRUST_200600_302600_NS6detail15normal_iteratorINS9_10device_ptrIdEEEENS9_16discard_iteratorINS9_11use_defaultEEEdNS9_4plusIvEEdEEDaPvRmT3_T4_T5_mT6_P12ihipStream_tbENKUlT_T0_E_clISt17integral_constantIbLb0EESX_EEDaSS_ST_EUlSS_E0_NS1_11comp_targetILNS1_3genE2ELNS1_11target_archE906ELNS1_3gpuE6ELNS1_3repE0EEENS1_30default_config_static_selectorELNS0_4arch9wavefront6targetE1EEEvT1_.kd
    .uniform_work_group_size: 1
    .uses_dynamic_stack: false
    .vgpr_count:     0
    .vgpr_spill_count: 0
    .wavefront_size: 64
  - .agpr_count:     0
    .args:
      - .offset:         0
        .size:           48
        .value_kind:     by_value
    .group_segment_fixed_size: 0
    .kernarg_segment_align: 8
    .kernarg_segment_size: 48
    .language:       OpenCL C
    .language_version:
      - 2
      - 0
    .max_flat_workgroup_size: 256
    .name:           _ZN7rocprim17ROCPRIM_400000_NS6detail17trampoline_kernelINS0_14default_configENS1_20scan_config_selectorIdEEZZNS1_9scan_implILNS1_25lookback_scan_determinismE0ELb1ELb1ES3_N6thrust23THRUST_200600_302600_NS6detail15normal_iteratorINS9_10device_ptrIdEEEENS9_16discard_iteratorINS9_11use_defaultEEEdNS9_4plusIvEEdEEDaPvRmT3_T4_T5_mT6_P12ihipStream_tbENKUlT_T0_E_clISt17integral_constantIbLb0EESX_EEDaSS_ST_EUlSS_E0_NS1_11comp_targetILNS1_3genE10ELNS1_11target_archE1201ELNS1_3gpuE5ELNS1_3repE0EEENS1_30default_config_static_selectorELNS0_4arch9wavefront6targetE1EEEvT1_
    .private_segment_fixed_size: 0
    .sgpr_count:     4
    .sgpr_spill_count: 0
    .symbol:         _ZN7rocprim17ROCPRIM_400000_NS6detail17trampoline_kernelINS0_14default_configENS1_20scan_config_selectorIdEEZZNS1_9scan_implILNS1_25lookback_scan_determinismE0ELb1ELb1ES3_N6thrust23THRUST_200600_302600_NS6detail15normal_iteratorINS9_10device_ptrIdEEEENS9_16discard_iteratorINS9_11use_defaultEEEdNS9_4plusIvEEdEEDaPvRmT3_T4_T5_mT6_P12ihipStream_tbENKUlT_T0_E_clISt17integral_constantIbLb0EESX_EEDaSS_ST_EUlSS_E0_NS1_11comp_targetILNS1_3genE10ELNS1_11target_archE1201ELNS1_3gpuE5ELNS1_3repE0EEENS1_30default_config_static_selectorELNS0_4arch9wavefront6targetE1EEEvT1_.kd
    .uniform_work_group_size: 1
    .uses_dynamic_stack: false
    .vgpr_count:     0
    .vgpr_spill_count: 0
    .wavefront_size: 64
  - .agpr_count:     0
    .args:
      - .offset:         0
        .size:           48
        .value_kind:     by_value
    .group_segment_fixed_size: 0
    .kernarg_segment_align: 8
    .kernarg_segment_size: 48
    .language:       OpenCL C
    .language_version:
      - 2
      - 0
    .max_flat_workgroup_size: 256
    .name:           _ZN7rocprim17ROCPRIM_400000_NS6detail17trampoline_kernelINS0_14default_configENS1_20scan_config_selectorIdEEZZNS1_9scan_implILNS1_25lookback_scan_determinismE0ELb1ELb1ES3_N6thrust23THRUST_200600_302600_NS6detail15normal_iteratorINS9_10device_ptrIdEEEENS9_16discard_iteratorINS9_11use_defaultEEEdNS9_4plusIvEEdEEDaPvRmT3_T4_T5_mT6_P12ihipStream_tbENKUlT_T0_E_clISt17integral_constantIbLb0EESX_EEDaSS_ST_EUlSS_E0_NS1_11comp_targetILNS1_3genE10ELNS1_11target_archE1200ELNS1_3gpuE4ELNS1_3repE0EEENS1_30default_config_static_selectorELNS0_4arch9wavefront6targetE1EEEvT1_
    .private_segment_fixed_size: 0
    .sgpr_count:     4
    .sgpr_spill_count: 0
    .symbol:         _ZN7rocprim17ROCPRIM_400000_NS6detail17trampoline_kernelINS0_14default_configENS1_20scan_config_selectorIdEEZZNS1_9scan_implILNS1_25lookback_scan_determinismE0ELb1ELb1ES3_N6thrust23THRUST_200600_302600_NS6detail15normal_iteratorINS9_10device_ptrIdEEEENS9_16discard_iteratorINS9_11use_defaultEEEdNS9_4plusIvEEdEEDaPvRmT3_T4_T5_mT6_P12ihipStream_tbENKUlT_T0_E_clISt17integral_constantIbLb0EESX_EEDaSS_ST_EUlSS_E0_NS1_11comp_targetILNS1_3genE10ELNS1_11target_archE1200ELNS1_3gpuE4ELNS1_3repE0EEENS1_30default_config_static_selectorELNS0_4arch9wavefront6targetE1EEEvT1_.kd
    .uniform_work_group_size: 1
    .uses_dynamic_stack: false
    .vgpr_count:     0
    .vgpr_spill_count: 0
    .wavefront_size: 64
  - .agpr_count:     0
    .args:
      - .offset:         0
        .size:           48
        .value_kind:     by_value
    .group_segment_fixed_size: 0
    .kernarg_segment_align: 8
    .kernarg_segment_size: 48
    .language:       OpenCL C
    .language_version:
      - 2
      - 0
    .max_flat_workgroup_size: 256
    .name:           _ZN7rocprim17ROCPRIM_400000_NS6detail17trampoline_kernelINS0_14default_configENS1_20scan_config_selectorIdEEZZNS1_9scan_implILNS1_25lookback_scan_determinismE0ELb1ELb1ES3_N6thrust23THRUST_200600_302600_NS6detail15normal_iteratorINS9_10device_ptrIdEEEENS9_16discard_iteratorINS9_11use_defaultEEEdNS9_4plusIvEEdEEDaPvRmT3_T4_T5_mT6_P12ihipStream_tbENKUlT_T0_E_clISt17integral_constantIbLb0EESX_EEDaSS_ST_EUlSS_E0_NS1_11comp_targetILNS1_3genE9ELNS1_11target_archE1100ELNS1_3gpuE3ELNS1_3repE0EEENS1_30default_config_static_selectorELNS0_4arch9wavefront6targetE1EEEvT1_
    .private_segment_fixed_size: 0
    .sgpr_count:     4
    .sgpr_spill_count: 0
    .symbol:         _ZN7rocprim17ROCPRIM_400000_NS6detail17trampoline_kernelINS0_14default_configENS1_20scan_config_selectorIdEEZZNS1_9scan_implILNS1_25lookback_scan_determinismE0ELb1ELb1ES3_N6thrust23THRUST_200600_302600_NS6detail15normal_iteratorINS9_10device_ptrIdEEEENS9_16discard_iteratorINS9_11use_defaultEEEdNS9_4plusIvEEdEEDaPvRmT3_T4_T5_mT6_P12ihipStream_tbENKUlT_T0_E_clISt17integral_constantIbLb0EESX_EEDaSS_ST_EUlSS_E0_NS1_11comp_targetILNS1_3genE9ELNS1_11target_archE1100ELNS1_3gpuE3ELNS1_3repE0EEENS1_30default_config_static_selectorELNS0_4arch9wavefront6targetE1EEEvT1_.kd
    .uniform_work_group_size: 1
    .uses_dynamic_stack: false
    .vgpr_count:     0
    .vgpr_spill_count: 0
    .wavefront_size: 64
  - .agpr_count:     0
    .args:
      - .offset:         0
        .size:           48
        .value_kind:     by_value
    .group_segment_fixed_size: 0
    .kernarg_segment_align: 8
    .kernarg_segment_size: 48
    .language:       OpenCL C
    .language_version:
      - 2
      - 0
    .max_flat_workgroup_size: 128
    .name:           _ZN7rocprim17ROCPRIM_400000_NS6detail17trampoline_kernelINS0_14default_configENS1_20scan_config_selectorIdEEZZNS1_9scan_implILNS1_25lookback_scan_determinismE0ELb1ELb1ES3_N6thrust23THRUST_200600_302600_NS6detail15normal_iteratorINS9_10device_ptrIdEEEENS9_16discard_iteratorINS9_11use_defaultEEEdNS9_4plusIvEEdEEDaPvRmT3_T4_T5_mT6_P12ihipStream_tbENKUlT_T0_E_clISt17integral_constantIbLb0EESX_EEDaSS_ST_EUlSS_E0_NS1_11comp_targetILNS1_3genE8ELNS1_11target_archE1030ELNS1_3gpuE2ELNS1_3repE0EEENS1_30default_config_static_selectorELNS0_4arch9wavefront6targetE1EEEvT1_
    .private_segment_fixed_size: 0
    .sgpr_count:     4
    .sgpr_spill_count: 0
    .symbol:         _ZN7rocprim17ROCPRIM_400000_NS6detail17trampoline_kernelINS0_14default_configENS1_20scan_config_selectorIdEEZZNS1_9scan_implILNS1_25lookback_scan_determinismE0ELb1ELb1ES3_N6thrust23THRUST_200600_302600_NS6detail15normal_iteratorINS9_10device_ptrIdEEEENS9_16discard_iteratorINS9_11use_defaultEEEdNS9_4plusIvEEdEEDaPvRmT3_T4_T5_mT6_P12ihipStream_tbENKUlT_T0_E_clISt17integral_constantIbLb0EESX_EEDaSS_ST_EUlSS_E0_NS1_11comp_targetILNS1_3genE8ELNS1_11target_archE1030ELNS1_3gpuE2ELNS1_3repE0EEENS1_30default_config_static_selectorELNS0_4arch9wavefront6targetE1EEEvT1_.kd
    .uniform_work_group_size: 1
    .uses_dynamic_stack: false
    .vgpr_count:     0
    .vgpr_spill_count: 0
    .wavefront_size: 64
  - .agpr_count:     0
    .args:
      - .offset:         0
        .size:           112
        .value_kind:     by_value
    .group_segment_fixed_size: 0
    .kernarg_segment_align: 8
    .kernarg_segment_size: 112
    .language:       OpenCL C
    .language_version:
      - 2
      - 0
    .max_flat_workgroup_size: 256
    .name:           _ZN7rocprim17ROCPRIM_400000_NS6detail17trampoline_kernelINS0_14default_configENS1_20scan_config_selectorIdEEZZNS1_9scan_implILNS1_25lookback_scan_determinismE0ELb1ELb1ES3_N6thrust23THRUST_200600_302600_NS6detail15normal_iteratorINS9_10device_ptrIdEEEENS9_16discard_iteratorINS9_11use_defaultEEEdNS9_4plusIvEEdEEDaPvRmT3_T4_T5_mT6_P12ihipStream_tbENKUlT_T0_E_clISt17integral_constantIbLb1EESX_EEDaSS_ST_EUlSS_E_NS1_11comp_targetILNS1_3genE0ELNS1_11target_archE4294967295ELNS1_3gpuE0ELNS1_3repE0EEENS1_30default_config_static_selectorELNS0_4arch9wavefront6targetE1EEEvT1_
    .private_segment_fixed_size: 0
    .sgpr_count:     4
    .sgpr_spill_count: 0
    .symbol:         _ZN7rocprim17ROCPRIM_400000_NS6detail17trampoline_kernelINS0_14default_configENS1_20scan_config_selectorIdEEZZNS1_9scan_implILNS1_25lookback_scan_determinismE0ELb1ELb1ES3_N6thrust23THRUST_200600_302600_NS6detail15normal_iteratorINS9_10device_ptrIdEEEENS9_16discard_iteratorINS9_11use_defaultEEEdNS9_4plusIvEEdEEDaPvRmT3_T4_T5_mT6_P12ihipStream_tbENKUlT_T0_E_clISt17integral_constantIbLb1EESX_EEDaSS_ST_EUlSS_E_NS1_11comp_targetILNS1_3genE0ELNS1_11target_archE4294967295ELNS1_3gpuE0ELNS1_3repE0EEENS1_30default_config_static_selectorELNS0_4arch9wavefront6targetE1EEEvT1_.kd
    .uniform_work_group_size: 1
    .uses_dynamic_stack: false
    .vgpr_count:     0
    .vgpr_spill_count: 0
    .wavefront_size: 64
  - .agpr_count:     0
    .args:
      - .offset:         0
        .size:           112
        .value_kind:     by_value
    .group_segment_fixed_size: 0
    .kernarg_segment_align: 8
    .kernarg_segment_size: 112
    .language:       OpenCL C
    .language_version:
      - 2
      - 0
    .max_flat_workgroup_size: 256
    .name:           _ZN7rocprim17ROCPRIM_400000_NS6detail17trampoline_kernelINS0_14default_configENS1_20scan_config_selectorIdEEZZNS1_9scan_implILNS1_25lookback_scan_determinismE0ELb1ELb1ES3_N6thrust23THRUST_200600_302600_NS6detail15normal_iteratorINS9_10device_ptrIdEEEENS9_16discard_iteratorINS9_11use_defaultEEEdNS9_4plusIvEEdEEDaPvRmT3_T4_T5_mT6_P12ihipStream_tbENKUlT_T0_E_clISt17integral_constantIbLb1EESX_EEDaSS_ST_EUlSS_E_NS1_11comp_targetILNS1_3genE5ELNS1_11target_archE942ELNS1_3gpuE9ELNS1_3repE0EEENS1_30default_config_static_selectorELNS0_4arch9wavefront6targetE1EEEvT1_
    .private_segment_fixed_size: 0
    .sgpr_count:     4
    .sgpr_spill_count: 0
    .symbol:         _ZN7rocprim17ROCPRIM_400000_NS6detail17trampoline_kernelINS0_14default_configENS1_20scan_config_selectorIdEEZZNS1_9scan_implILNS1_25lookback_scan_determinismE0ELb1ELb1ES3_N6thrust23THRUST_200600_302600_NS6detail15normal_iteratorINS9_10device_ptrIdEEEENS9_16discard_iteratorINS9_11use_defaultEEEdNS9_4plusIvEEdEEDaPvRmT3_T4_T5_mT6_P12ihipStream_tbENKUlT_T0_E_clISt17integral_constantIbLb1EESX_EEDaSS_ST_EUlSS_E_NS1_11comp_targetILNS1_3genE5ELNS1_11target_archE942ELNS1_3gpuE9ELNS1_3repE0EEENS1_30default_config_static_selectorELNS0_4arch9wavefront6targetE1EEEvT1_.kd
    .uniform_work_group_size: 1
    .uses_dynamic_stack: false
    .vgpr_count:     0
    .vgpr_spill_count: 0
    .wavefront_size: 64
  - .agpr_count:     0
    .args:
      - .offset:         0
        .size:           112
        .value_kind:     by_value
    .group_segment_fixed_size: 10240
    .kernarg_segment_align: 8
    .kernarg_segment_size: 112
    .language:       OpenCL C
    .language_version:
      - 2
      - 0
    .max_flat_workgroup_size: 128
    .name:           _ZN7rocprim17ROCPRIM_400000_NS6detail17trampoline_kernelINS0_14default_configENS1_20scan_config_selectorIdEEZZNS1_9scan_implILNS1_25lookback_scan_determinismE0ELb1ELb1ES3_N6thrust23THRUST_200600_302600_NS6detail15normal_iteratorINS9_10device_ptrIdEEEENS9_16discard_iteratorINS9_11use_defaultEEEdNS9_4plusIvEEdEEDaPvRmT3_T4_T5_mT6_P12ihipStream_tbENKUlT_T0_E_clISt17integral_constantIbLb1EESX_EEDaSS_ST_EUlSS_E_NS1_11comp_targetILNS1_3genE4ELNS1_11target_archE910ELNS1_3gpuE8ELNS1_3repE0EEENS1_30default_config_static_selectorELNS0_4arch9wavefront6targetE1EEEvT1_
    .private_segment_fixed_size: 0
    .sgpr_count:     38
    .sgpr_spill_count: 0
    .symbol:         _ZN7rocprim17ROCPRIM_400000_NS6detail17trampoline_kernelINS0_14default_configENS1_20scan_config_selectorIdEEZZNS1_9scan_implILNS1_25lookback_scan_determinismE0ELb1ELb1ES3_N6thrust23THRUST_200600_302600_NS6detail15normal_iteratorINS9_10device_ptrIdEEEENS9_16discard_iteratorINS9_11use_defaultEEEdNS9_4plusIvEEdEEDaPvRmT3_T4_T5_mT6_P12ihipStream_tbENKUlT_T0_E_clISt17integral_constantIbLb1EESX_EEDaSS_ST_EUlSS_E_NS1_11comp_targetILNS1_3genE4ELNS1_11target_archE910ELNS1_3gpuE8ELNS1_3repE0EEENS1_30default_config_static_selectorELNS0_4arch9wavefront6targetE1EEEvT1_.kd
    .uniform_work_group_size: 1
    .uses_dynamic_stack: false
    .vgpr_count:     68
    .vgpr_spill_count: 0
    .wavefront_size: 64
  - .agpr_count:     0
    .args:
      - .offset:         0
        .size:           112
        .value_kind:     by_value
    .group_segment_fixed_size: 0
    .kernarg_segment_align: 8
    .kernarg_segment_size: 112
    .language:       OpenCL C
    .language_version:
      - 2
      - 0
    .max_flat_workgroup_size: 256
    .name:           _ZN7rocprim17ROCPRIM_400000_NS6detail17trampoline_kernelINS0_14default_configENS1_20scan_config_selectorIdEEZZNS1_9scan_implILNS1_25lookback_scan_determinismE0ELb1ELb1ES3_N6thrust23THRUST_200600_302600_NS6detail15normal_iteratorINS9_10device_ptrIdEEEENS9_16discard_iteratorINS9_11use_defaultEEEdNS9_4plusIvEEdEEDaPvRmT3_T4_T5_mT6_P12ihipStream_tbENKUlT_T0_E_clISt17integral_constantIbLb1EESX_EEDaSS_ST_EUlSS_E_NS1_11comp_targetILNS1_3genE3ELNS1_11target_archE908ELNS1_3gpuE7ELNS1_3repE0EEENS1_30default_config_static_selectorELNS0_4arch9wavefront6targetE1EEEvT1_
    .private_segment_fixed_size: 0
    .sgpr_count:     4
    .sgpr_spill_count: 0
    .symbol:         _ZN7rocprim17ROCPRIM_400000_NS6detail17trampoline_kernelINS0_14default_configENS1_20scan_config_selectorIdEEZZNS1_9scan_implILNS1_25lookback_scan_determinismE0ELb1ELb1ES3_N6thrust23THRUST_200600_302600_NS6detail15normal_iteratorINS9_10device_ptrIdEEEENS9_16discard_iteratorINS9_11use_defaultEEEdNS9_4plusIvEEdEEDaPvRmT3_T4_T5_mT6_P12ihipStream_tbENKUlT_T0_E_clISt17integral_constantIbLb1EESX_EEDaSS_ST_EUlSS_E_NS1_11comp_targetILNS1_3genE3ELNS1_11target_archE908ELNS1_3gpuE7ELNS1_3repE0EEENS1_30default_config_static_selectorELNS0_4arch9wavefront6targetE1EEEvT1_.kd
    .uniform_work_group_size: 1
    .uses_dynamic_stack: false
    .vgpr_count:     0
    .vgpr_spill_count: 0
    .wavefront_size: 64
  - .agpr_count:     0
    .args:
      - .offset:         0
        .size:           112
        .value_kind:     by_value
    .group_segment_fixed_size: 0
    .kernarg_segment_align: 8
    .kernarg_segment_size: 112
    .language:       OpenCL C
    .language_version:
      - 2
      - 0
    .max_flat_workgroup_size: 128
    .name:           _ZN7rocprim17ROCPRIM_400000_NS6detail17trampoline_kernelINS0_14default_configENS1_20scan_config_selectorIdEEZZNS1_9scan_implILNS1_25lookback_scan_determinismE0ELb1ELb1ES3_N6thrust23THRUST_200600_302600_NS6detail15normal_iteratorINS9_10device_ptrIdEEEENS9_16discard_iteratorINS9_11use_defaultEEEdNS9_4plusIvEEdEEDaPvRmT3_T4_T5_mT6_P12ihipStream_tbENKUlT_T0_E_clISt17integral_constantIbLb1EESX_EEDaSS_ST_EUlSS_E_NS1_11comp_targetILNS1_3genE2ELNS1_11target_archE906ELNS1_3gpuE6ELNS1_3repE0EEENS1_30default_config_static_selectorELNS0_4arch9wavefront6targetE1EEEvT1_
    .private_segment_fixed_size: 0
    .sgpr_count:     4
    .sgpr_spill_count: 0
    .symbol:         _ZN7rocprim17ROCPRIM_400000_NS6detail17trampoline_kernelINS0_14default_configENS1_20scan_config_selectorIdEEZZNS1_9scan_implILNS1_25lookback_scan_determinismE0ELb1ELb1ES3_N6thrust23THRUST_200600_302600_NS6detail15normal_iteratorINS9_10device_ptrIdEEEENS9_16discard_iteratorINS9_11use_defaultEEEdNS9_4plusIvEEdEEDaPvRmT3_T4_T5_mT6_P12ihipStream_tbENKUlT_T0_E_clISt17integral_constantIbLb1EESX_EEDaSS_ST_EUlSS_E_NS1_11comp_targetILNS1_3genE2ELNS1_11target_archE906ELNS1_3gpuE6ELNS1_3repE0EEENS1_30default_config_static_selectorELNS0_4arch9wavefront6targetE1EEEvT1_.kd
    .uniform_work_group_size: 1
    .uses_dynamic_stack: false
    .vgpr_count:     0
    .vgpr_spill_count: 0
    .wavefront_size: 64
  - .agpr_count:     0
    .args:
      - .offset:         0
        .size:           112
        .value_kind:     by_value
    .group_segment_fixed_size: 0
    .kernarg_segment_align: 8
    .kernarg_segment_size: 112
    .language:       OpenCL C
    .language_version:
      - 2
      - 0
    .max_flat_workgroup_size: 256
    .name:           _ZN7rocprim17ROCPRIM_400000_NS6detail17trampoline_kernelINS0_14default_configENS1_20scan_config_selectorIdEEZZNS1_9scan_implILNS1_25lookback_scan_determinismE0ELb1ELb1ES3_N6thrust23THRUST_200600_302600_NS6detail15normal_iteratorINS9_10device_ptrIdEEEENS9_16discard_iteratorINS9_11use_defaultEEEdNS9_4plusIvEEdEEDaPvRmT3_T4_T5_mT6_P12ihipStream_tbENKUlT_T0_E_clISt17integral_constantIbLb1EESX_EEDaSS_ST_EUlSS_E_NS1_11comp_targetILNS1_3genE10ELNS1_11target_archE1201ELNS1_3gpuE5ELNS1_3repE0EEENS1_30default_config_static_selectorELNS0_4arch9wavefront6targetE1EEEvT1_
    .private_segment_fixed_size: 0
    .sgpr_count:     4
    .sgpr_spill_count: 0
    .symbol:         _ZN7rocprim17ROCPRIM_400000_NS6detail17trampoline_kernelINS0_14default_configENS1_20scan_config_selectorIdEEZZNS1_9scan_implILNS1_25lookback_scan_determinismE0ELb1ELb1ES3_N6thrust23THRUST_200600_302600_NS6detail15normal_iteratorINS9_10device_ptrIdEEEENS9_16discard_iteratorINS9_11use_defaultEEEdNS9_4plusIvEEdEEDaPvRmT3_T4_T5_mT6_P12ihipStream_tbENKUlT_T0_E_clISt17integral_constantIbLb1EESX_EEDaSS_ST_EUlSS_E_NS1_11comp_targetILNS1_3genE10ELNS1_11target_archE1201ELNS1_3gpuE5ELNS1_3repE0EEENS1_30default_config_static_selectorELNS0_4arch9wavefront6targetE1EEEvT1_.kd
    .uniform_work_group_size: 1
    .uses_dynamic_stack: false
    .vgpr_count:     0
    .vgpr_spill_count: 0
    .wavefront_size: 64
  - .agpr_count:     0
    .args:
      - .offset:         0
        .size:           112
        .value_kind:     by_value
    .group_segment_fixed_size: 0
    .kernarg_segment_align: 8
    .kernarg_segment_size: 112
    .language:       OpenCL C
    .language_version:
      - 2
      - 0
    .max_flat_workgroup_size: 256
    .name:           _ZN7rocprim17ROCPRIM_400000_NS6detail17trampoline_kernelINS0_14default_configENS1_20scan_config_selectorIdEEZZNS1_9scan_implILNS1_25lookback_scan_determinismE0ELb1ELb1ES3_N6thrust23THRUST_200600_302600_NS6detail15normal_iteratorINS9_10device_ptrIdEEEENS9_16discard_iteratorINS9_11use_defaultEEEdNS9_4plusIvEEdEEDaPvRmT3_T4_T5_mT6_P12ihipStream_tbENKUlT_T0_E_clISt17integral_constantIbLb1EESX_EEDaSS_ST_EUlSS_E_NS1_11comp_targetILNS1_3genE10ELNS1_11target_archE1200ELNS1_3gpuE4ELNS1_3repE0EEENS1_30default_config_static_selectorELNS0_4arch9wavefront6targetE1EEEvT1_
    .private_segment_fixed_size: 0
    .sgpr_count:     4
    .sgpr_spill_count: 0
    .symbol:         _ZN7rocprim17ROCPRIM_400000_NS6detail17trampoline_kernelINS0_14default_configENS1_20scan_config_selectorIdEEZZNS1_9scan_implILNS1_25lookback_scan_determinismE0ELb1ELb1ES3_N6thrust23THRUST_200600_302600_NS6detail15normal_iteratorINS9_10device_ptrIdEEEENS9_16discard_iteratorINS9_11use_defaultEEEdNS9_4plusIvEEdEEDaPvRmT3_T4_T5_mT6_P12ihipStream_tbENKUlT_T0_E_clISt17integral_constantIbLb1EESX_EEDaSS_ST_EUlSS_E_NS1_11comp_targetILNS1_3genE10ELNS1_11target_archE1200ELNS1_3gpuE4ELNS1_3repE0EEENS1_30default_config_static_selectorELNS0_4arch9wavefront6targetE1EEEvT1_.kd
    .uniform_work_group_size: 1
    .uses_dynamic_stack: false
    .vgpr_count:     0
    .vgpr_spill_count: 0
    .wavefront_size: 64
  - .agpr_count:     0
    .args:
      - .offset:         0
        .size:           112
        .value_kind:     by_value
    .group_segment_fixed_size: 0
    .kernarg_segment_align: 8
    .kernarg_segment_size: 112
    .language:       OpenCL C
    .language_version:
      - 2
      - 0
    .max_flat_workgroup_size: 256
    .name:           _ZN7rocprim17ROCPRIM_400000_NS6detail17trampoline_kernelINS0_14default_configENS1_20scan_config_selectorIdEEZZNS1_9scan_implILNS1_25lookback_scan_determinismE0ELb1ELb1ES3_N6thrust23THRUST_200600_302600_NS6detail15normal_iteratorINS9_10device_ptrIdEEEENS9_16discard_iteratorINS9_11use_defaultEEEdNS9_4plusIvEEdEEDaPvRmT3_T4_T5_mT6_P12ihipStream_tbENKUlT_T0_E_clISt17integral_constantIbLb1EESX_EEDaSS_ST_EUlSS_E_NS1_11comp_targetILNS1_3genE9ELNS1_11target_archE1100ELNS1_3gpuE3ELNS1_3repE0EEENS1_30default_config_static_selectorELNS0_4arch9wavefront6targetE1EEEvT1_
    .private_segment_fixed_size: 0
    .sgpr_count:     4
    .sgpr_spill_count: 0
    .symbol:         _ZN7rocprim17ROCPRIM_400000_NS6detail17trampoline_kernelINS0_14default_configENS1_20scan_config_selectorIdEEZZNS1_9scan_implILNS1_25lookback_scan_determinismE0ELb1ELb1ES3_N6thrust23THRUST_200600_302600_NS6detail15normal_iteratorINS9_10device_ptrIdEEEENS9_16discard_iteratorINS9_11use_defaultEEEdNS9_4plusIvEEdEEDaPvRmT3_T4_T5_mT6_P12ihipStream_tbENKUlT_T0_E_clISt17integral_constantIbLb1EESX_EEDaSS_ST_EUlSS_E_NS1_11comp_targetILNS1_3genE9ELNS1_11target_archE1100ELNS1_3gpuE3ELNS1_3repE0EEENS1_30default_config_static_selectorELNS0_4arch9wavefront6targetE1EEEvT1_.kd
    .uniform_work_group_size: 1
    .uses_dynamic_stack: false
    .vgpr_count:     0
    .vgpr_spill_count: 0
    .wavefront_size: 64
  - .agpr_count:     0
    .args:
      - .offset:         0
        .size:           112
        .value_kind:     by_value
    .group_segment_fixed_size: 0
    .kernarg_segment_align: 8
    .kernarg_segment_size: 112
    .language:       OpenCL C
    .language_version:
      - 2
      - 0
    .max_flat_workgroup_size: 128
    .name:           _ZN7rocprim17ROCPRIM_400000_NS6detail17trampoline_kernelINS0_14default_configENS1_20scan_config_selectorIdEEZZNS1_9scan_implILNS1_25lookback_scan_determinismE0ELb1ELb1ES3_N6thrust23THRUST_200600_302600_NS6detail15normal_iteratorINS9_10device_ptrIdEEEENS9_16discard_iteratorINS9_11use_defaultEEEdNS9_4plusIvEEdEEDaPvRmT3_T4_T5_mT6_P12ihipStream_tbENKUlT_T0_E_clISt17integral_constantIbLb1EESX_EEDaSS_ST_EUlSS_E_NS1_11comp_targetILNS1_3genE8ELNS1_11target_archE1030ELNS1_3gpuE2ELNS1_3repE0EEENS1_30default_config_static_selectorELNS0_4arch9wavefront6targetE1EEEvT1_
    .private_segment_fixed_size: 0
    .sgpr_count:     4
    .sgpr_spill_count: 0
    .symbol:         _ZN7rocprim17ROCPRIM_400000_NS6detail17trampoline_kernelINS0_14default_configENS1_20scan_config_selectorIdEEZZNS1_9scan_implILNS1_25lookback_scan_determinismE0ELb1ELb1ES3_N6thrust23THRUST_200600_302600_NS6detail15normal_iteratorINS9_10device_ptrIdEEEENS9_16discard_iteratorINS9_11use_defaultEEEdNS9_4plusIvEEdEEDaPvRmT3_T4_T5_mT6_P12ihipStream_tbENKUlT_T0_E_clISt17integral_constantIbLb1EESX_EEDaSS_ST_EUlSS_E_NS1_11comp_targetILNS1_3genE8ELNS1_11target_archE1030ELNS1_3gpuE2ELNS1_3repE0EEENS1_30default_config_static_selectorELNS0_4arch9wavefront6targetE1EEEvT1_.kd
    .uniform_work_group_size: 1
    .uses_dynamic_stack: false
    .vgpr_count:     0
    .vgpr_spill_count: 0
    .wavefront_size: 64
  - .agpr_count:     0
    .args:
      - .offset:         0
        .size:           48
        .value_kind:     by_value
    .group_segment_fixed_size: 0
    .kernarg_segment_align: 8
    .kernarg_segment_size: 48
    .language:       OpenCL C
    .language_version:
      - 2
      - 0
    .max_flat_workgroup_size: 256
    .name:           _ZN7rocprim17ROCPRIM_400000_NS6detail17trampoline_kernelINS0_14default_configENS1_20scan_config_selectorIdEEZZNS1_9scan_implILNS1_25lookback_scan_determinismE0ELb1ELb1ES3_N6thrust23THRUST_200600_302600_NS6detail15normal_iteratorINS9_10device_ptrIdEEEENS9_16discard_iteratorINS9_11use_defaultEEEdNS9_4plusIvEEdEEDaPvRmT3_T4_T5_mT6_P12ihipStream_tbENKUlT_T0_E_clISt17integral_constantIbLb1EESX_EEDaSS_ST_EUlSS_E0_NS1_11comp_targetILNS1_3genE0ELNS1_11target_archE4294967295ELNS1_3gpuE0ELNS1_3repE0EEENS1_30default_config_static_selectorELNS0_4arch9wavefront6targetE1EEEvT1_
    .private_segment_fixed_size: 0
    .sgpr_count:     4
    .sgpr_spill_count: 0
    .symbol:         _ZN7rocprim17ROCPRIM_400000_NS6detail17trampoline_kernelINS0_14default_configENS1_20scan_config_selectorIdEEZZNS1_9scan_implILNS1_25lookback_scan_determinismE0ELb1ELb1ES3_N6thrust23THRUST_200600_302600_NS6detail15normal_iteratorINS9_10device_ptrIdEEEENS9_16discard_iteratorINS9_11use_defaultEEEdNS9_4plusIvEEdEEDaPvRmT3_T4_T5_mT6_P12ihipStream_tbENKUlT_T0_E_clISt17integral_constantIbLb1EESX_EEDaSS_ST_EUlSS_E0_NS1_11comp_targetILNS1_3genE0ELNS1_11target_archE4294967295ELNS1_3gpuE0ELNS1_3repE0EEENS1_30default_config_static_selectorELNS0_4arch9wavefront6targetE1EEEvT1_.kd
    .uniform_work_group_size: 1
    .uses_dynamic_stack: false
    .vgpr_count:     0
    .vgpr_spill_count: 0
    .wavefront_size: 64
  - .agpr_count:     0
    .args:
      - .offset:         0
        .size:           48
        .value_kind:     by_value
    .group_segment_fixed_size: 0
    .kernarg_segment_align: 8
    .kernarg_segment_size: 48
    .language:       OpenCL C
    .language_version:
      - 2
      - 0
    .max_flat_workgroup_size: 256
    .name:           _ZN7rocprim17ROCPRIM_400000_NS6detail17trampoline_kernelINS0_14default_configENS1_20scan_config_selectorIdEEZZNS1_9scan_implILNS1_25lookback_scan_determinismE0ELb1ELb1ES3_N6thrust23THRUST_200600_302600_NS6detail15normal_iteratorINS9_10device_ptrIdEEEENS9_16discard_iteratorINS9_11use_defaultEEEdNS9_4plusIvEEdEEDaPvRmT3_T4_T5_mT6_P12ihipStream_tbENKUlT_T0_E_clISt17integral_constantIbLb1EESX_EEDaSS_ST_EUlSS_E0_NS1_11comp_targetILNS1_3genE5ELNS1_11target_archE942ELNS1_3gpuE9ELNS1_3repE0EEENS1_30default_config_static_selectorELNS0_4arch9wavefront6targetE1EEEvT1_
    .private_segment_fixed_size: 0
    .sgpr_count:     4
    .sgpr_spill_count: 0
    .symbol:         _ZN7rocprim17ROCPRIM_400000_NS6detail17trampoline_kernelINS0_14default_configENS1_20scan_config_selectorIdEEZZNS1_9scan_implILNS1_25lookback_scan_determinismE0ELb1ELb1ES3_N6thrust23THRUST_200600_302600_NS6detail15normal_iteratorINS9_10device_ptrIdEEEENS9_16discard_iteratorINS9_11use_defaultEEEdNS9_4plusIvEEdEEDaPvRmT3_T4_T5_mT6_P12ihipStream_tbENKUlT_T0_E_clISt17integral_constantIbLb1EESX_EEDaSS_ST_EUlSS_E0_NS1_11comp_targetILNS1_3genE5ELNS1_11target_archE942ELNS1_3gpuE9ELNS1_3repE0EEENS1_30default_config_static_selectorELNS0_4arch9wavefront6targetE1EEEvT1_.kd
    .uniform_work_group_size: 1
    .uses_dynamic_stack: false
    .vgpr_count:     0
    .vgpr_spill_count: 0
    .wavefront_size: 64
  - .agpr_count:     0
    .args:
      - .offset:         0
        .size:           48
        .value_kind:     by_value
    .group_segment_fixed_size: 10240
    .kernarg_segment_align: 8
    .kernarg_segment_size: 48
    .language:       OpenCL C
    .language_version:
      - 2
      - 0
    .max_flat_workgroup_size: 128
    .name:           _ZN7rocprim17ROCPRIM_400000_NS6detail17trampoline_kernelINS0_14default_configENS1_20scan_config_selectorIdEEZZNS1_9scan_implILNS1_25lookback_scan_determinismE0ELb1ELb1ES3_N6thrust23THRUST_200600_302600_NS6detail15normal_iteratorINS9_10device_ptrIdEEEENS9_16discard_iteratorINS9_11use_defaultEEEdNS9_4plusIvEEdEEDaPvRmT3_T4_T5_mT6_P12ihipStream_tbENKUlT_T0_E_clISt17integral_constantIbLb1EESX_EEDaSS_ST_EUlSS_E0_NS1_11comp_targetILNS1_3genE4ELNS1_11target_archE910ELNS1_3gpuE8ELNS1_3repE0EEENS1_30default_config_static_selectorELNS0_4arch9wavefront6targetE1EEEvT1_
    .private_segment_fixed_size: 0
    .sgpr_count:     14
    .sgpr_spill_count: 0
    .symbol:         _ZN7rocprim17ROCPRIM_400000_NS6detail17trampoline_kernelINS0_14default_configENS1_20scan_config_selectorIdEEZZNS1_9scan_implILNS1_25lookback_scan_determinismE0ELb1ELb1ES3_N6thrust23THRUST_200600_302600_NS6detail15normal_iteratorINS9_10device_ptrIdEEEENS9_16discard_iteratorINS9_11use_defaultEEEdNS9_4plusIvEEdEEDaPvRmT3_T4_T5_mT6_P12ihipStream_tbENKUlT_T0_E_clISt17integral_constantIbLb1EESX_EEDaSS_ST_EUlSS_E0_NS1_11comp_targetILNS1_3genE4ELNS1_11target_archE910ELNS1_3gpuE8ELNS1_3repE0EEENS1_30default_config_static_selectorELNS0_4arch9wavefront6targetE1EEEvT1_.kd
    .uniform_work_group_size: 1
    .uses_dynamic_stack: false
    .vgpr_count:     30
    .vgpr_spill_count: 0
    .wavefront_size: 64
  - .agpr_count:     0
    .args:
      - .offset:         0
        .size:           48
        .value_kind:     by_value
    .group_segment_fixed_size: 0
    .kernarg_segment_align: 8
    .kernarg_segment_size: 48
    .language:       OpenCL C
    .language_version:
      - 2
      - 0
    .max_flat_workgroup_size: 256
    .name:           _ZN7rocprim17ROCPRIM_400000_NS6detail17trampoline_kernelINS0_14default_configENS1_20scan_config_selectorIdEEZZNS1_9scan_implILNS1_25lookback_scan_determinismE0ELb1ELb1ES3_N6thrust23THRUST_200600_302600_NS6detail15normal_iteratorINS9_10device_ptrIdEEEENS9_16discard_iteratorINS9_11use_defaultEEEdNS9_4plusIvEEdEEDaPvRmT3_T4_T5_mT6_P12ihipStream_tbENKUlT_T0_E_clISt17integral_constantIbLb1EESX_EEDaSS_ST_EUlSS_E0_NS1_11comp_targetILNS1_3genE3ELNS1_11target_archE908ELNS1_3gpuE7ELNS1_3repE0EEENS1_30default_config_static_selectorELNS0_4arch9wavefront6targetE1EEEvT1_
    .private_segment_fixed_size: 0
    .sgpr_count:     4
    .sgpr_spill_count: 0
    .symbol:         _ZN7rocprim17ROCPRIM_400000_NS6detail17trampoline_kernelINS0_14default_configENS1_20scan_config_selectorIdEEZZNS1_9scan_implILNS1_25lookback_scan_determinismE0ELb1ELb1ES3_N6thrust23THRUST_200600_302600_NS6detail15normal_iteratorINS9_10device_ptrIdEEEENS9_16discard_iteratorINS9_11use_defaultEEEdNS9_4plusIvEEdEEDaPvRmT3_T4_T5_mT6_P12ihipStream_tbENKUlT_T0_E_clISt17integral_constantIbLb1EESX_EEDaSS_ST_EUlSS_E0_NS1_11comp_targetILNS1_3genE3ELNS1_11target_archE908ELNS1_3gpuE7ELNS1_3repE0EEENS1_30default_config_static_selectorELNS0_4arch9wavefront6targetE1EEEvT1_.kd
    .uniform_work_group_size: 1
    .uses_dynamic_stack: false
    .vgpr_count:     0
    .vgpr_spill_count: 0
    .wavefront_size: 64
  - .agpr_count:     0
    .args:
      - .offset:         0
        .size:           48
        .value_kind:     by_value
    .group_segment_fixed_size: 0
    .kernarg_segment_align: 8
    .kernarg_segment_size: 48
    .language:       OpenCL C
    .language_version:
      - 2
      - 0
    .max_flat_workgroup_size: 128
    .name:           _ZN7rocprim17ROCPRIM_400000_NS6detail17trampoline_kernelINS0_14default_configENS1_20scan_config_selectorIdEEZZNS1_9scan_implILNS1_25lookback_scan_determinismE0ELb1ELb1ES3_N6thrust23THRUST_200600_302600_NS6detail15normal_iteratorINS9_10device_ptrIdEEEENS9_16discard_iteratorINS9_11use_defaultEEEdNS9_4plusIvEEdEEDaPvRmT3_T4_T5_mT6_P12ihipStream_tbENKUlT_T0_E_clISt17integral_constantIbLb1EESX_EEDaSS_ST_EUlSS_E0_NS1_11comp_targetILNS1_3genE2ELNS1_11target_archE906ELNS1_3gpuE6ELNS1_3repE0EEENS1_30default_config_static_selectorELNS0_4arch9wavefront6targetE1EEEvT1_
    .private_segment_fixed_size: 0
    .sgpr_count:     4
    .sgpr_spill_count: 0
    .symbol:         _ZN7rocprim17ROCPRIM_400000_NS6detail17trampoline_kernelINS0_14default_configENS1_20scan_config_selectorIdEEZZNS1_9scan_implILNS1_25lookback_scan_determinismE0ELb1ELb1ES3_N6thrust23THRUST_200600_302600_NS6detail15normal_iteratorINS9_10device_ptrIdEEEENS9_16discard_iteratorINS9_11use_defaultEEEdNS9_4plusIvEEdEEDaPvRmT3_T4_T5_mT6_P12ihipStream_tbENKUlT_T0_E_clISt17integral_constantIbLb1EESX_EEDaSS_ST_EUlSS_E0_NS1_11comp_targetILNS1_3genE2ELNS1_11target_archE906ELNS1_3gpuE6ELNS1_3repE0EEENS1_30default_config_static_selectorELNS0_4arch9wavefront6targetE1EEEvT1_.kd
    .uniform_work_group_size: 1
    .uses_dynamic_stack: false
    .vgpr_count:     0
    .vgpr_spill_count: 0
    .wavefront_size: 64
  - .agpr_count:     0
    .args:
      - .offset:         0
        .size:           48
        .value_kind:     by_value
    .group_segment_fixed_size: 0
    .kernarg_segment_align: 8
    .kernarg_segment_size: 48
    .language:       OpenCL C
    .language_version:
      - 2
      - 0
    .max_flat_workgroup_size: 256
    .name:           _ZN7rocprim17ROCPRIM_400000_NS6detail17trampoline_kernelINS0_14default_configENS1_20scan_config_selectorIdEEZZNS1_9scan_implILNS1_25lookback_scan_determinismE0ELb1ELb1ES3_N6thrust23THRUST_200600_302600_NS6detail15normal_iteratorINS9_10device_ptrIdEEEENS9_16discard_iteratorINS9_11use_defaultEEEdNS9_4plusIvEEdEEDaPvRmT3_T4_T5_mT6_P12ihipStream_tbENKUlT_T0_E_clISt17integral_constantIbLb1EESX_EEDaSS_ST_EUlSS_E0_NS1_11comp_targetILNS1_3genE10ELNS1_11target_archE1201ELNS1_3gpuE5ELNS1_3repE0EEENS1_30default_config_static_selectorELNS0_4arch9wavefront6targetE1EEEvT1_
    .private_segment_fixed_size: 0
    .sgpr_count:     4
    .sgpr_spill_count: 0
    .symbol:         _ZN7rocprim17ROCPRIM_400000_NS6detail17trampoline_kernelINS0_14default_configENS1_20scan_config_selectorIdEEZZNS1_9scan_implILNS1_25lookback_scan_determinismE0ELb1ELb1ES3_N6thrust23THRUST_200600_302600_NS6detail15normal_iteratorINS9_10device_ptrIdEEEENS9_16discard_iteratorINS9_11use_defaultEEEdNS9_4plusIvEEdEEDaPvRmT3_T4_T5_mT6_P12ihipStream_tbENKUlT_T0_E_clISt17integral_constantIbLb1EESX_EEDaSS_ST_EUlSS_E0_NS1_11comp_targetILNS1_3genE10ELNS1_11target_archE1201ELNS1_3gpuE5ELNS1_3repE0EEENS1_30default_config_static_selectorELNS0_4arch9wavefront6targetE1EEEvT1_.kd
    .uniform_work_group_size: 1
    .uses_dynamic_stack: false
    .vgpr_count:     0
    .vgpr_spill_count: 0
    .wavefront_size: 64
  - .agpr_count:     0
    .args:
      - .offset:         0
        .size:           48
        .value_kind:     by_value
    .group_segment_fixed_size: 0
    .kernarg_segment_align: 8
    .kernarg_segment_size: 48
    .language:       OpenCL C
    .language_version:
      - 2
      - 0
    .max_flat_workgroup_size: 256
    .name:           _ZN7rocprim17ROCPRIM_400000_NS6detail17trampoline_kernelINS0_14default_configENS1_20scan_config_selectorIdEEZZNS1_9scan_implILNS1_25lookback_scan_determinismE0ELb1ELb1ES3_N6thrust23THRUST_200600_302600_NS6detail15normal_iteratorINS9_10device_ptrIdEEEENS9_16discard_iteratorINS9_11use_defaultEEEdNS9_4plusIvEEdEEDaPvRmT3_T4_T5_mT6_P12ihipStream_tbENKUlT_T0_E_clISt17integral_constantIbLb1EESX_EEDaSS_ST_EUlSS_E0_NS1_11comp_targetILNS1_3genE10ELNS1_11target_archE1200ELNS1_3gpuE4ELNS1_3repE0EEENS1_30default_config_static_selectorELNS0_4arch9wavefront6targetE1EEEvT1_
    .private_segment_fixed_size: 0
    .sgpr_count:     4
    .sgpr_spill_count: 0
    .symbol:         _ZN7rocprim17ROCPRIM_400000_NS6detail17trampoline_kernelINS0_14default_configENS1_20scan_config_selectorIdEEZZNS1_9scan_implILNS1_25lookback_scan_determinismE0ELb1ELb1ES3_N6thrust23THRUST_200600_302600_NS6detail15normal_iteratorINS9_10device_ptrIdEEEENS9_16discard_iteratorINS9_11use_defaultEEEdNS9_4plusIvEEdEEDaPvRmT3_T4_T5_mT6_P12ihipStream_tbENKUlT_T0_E_clISt17integral_constantIbLb1EESX_EEDaSS_ST_EUlSS_E0_NS1_11comp_targetILNS1_3genE10ELNS1_11target_archE1200ELNS1_3gpuE4ELNS1_3repE0EEENS1_30default_config_static_selectorELNS0_4arch9wavefront6targetE1EEEvT1_.kd
    .uniform_work_group_size: 1
    .uses_dynamic_stack: false
    .vgpr_count:     0
    .vgpr_spill_count: 0
    .wavefront_size: 64
  - .agpr_count:     0
    .args:
      - .offset:         0
        .size:           48
        .value_kind:     by_value
    .group_segment_fixed_size: 0
    .kernarg_segment_align: 8
    .kernarg_segment_size: 48
    .language:       OpenCL C
    .language_version:
      - 2
      - 0
    .max_flat_workgroup_size: 256
    .name:           _ZN7rocprim17ROCPRIM_400000_NS6detail17trampoline_kernelINS0_14default_configENS1_20scan_config_selectorIdEEZZNS1_9scan_implILNS1_25lookback_scan_determinismE0ELb1ELb1ES3_N6thrust23THRUST_200600_302600_NS6detail15normal_iteratorINS9_10device_ptrIdEEEENS9_16discard_iteratorINS9_11use_defaultEEEdNS9_4plusIvEEdEEDaPvRmT3_T4_T5_mT6_P12ihipStream_tbENKUlT_T0_E_clISt17integral_constantIbLb1EESX_EEDaSS_ST_EUlSS_E0_NS1_11comp_targetILNS1_3genE9ELNS1_11target_archE1100ELNS1_3gpuE3ELNS1_3repE0EEENS1_30default_config_static_selectorELNS0_4arch9wavefront6targetE1EEEvT1_
    .private_segment_fixed_size: 0
    .sgpr_count:     4
    .sgpr_spill_count: 0
    .symbol:         _ZN7rocprim17ROCPRIM_400000_NS6detail17trampoline_kernelINS0_14default_configENS1_20scan_config_selectorIdEEZZNS1_9scan_implILNS1_25lookback_scan_determinismE0ELb1ELb1ES3_N6thrust23THRUST_200600_302600_NS6detail15normal_iteratorINS9_10device_ptrIdEEEENS9_16discard_iteratorINS9_11use_defaultEEEdNS9_4plusIvEEdEEDaPvRmT3_T4_T5_mT6_P12ihipStream_tbENKUlT_T0_E_clISt17integral_constantIbLb1EESX_EEDaSS_ST_EUlSS_E0_NS1_11comp_targetILNS1_3genE9ELNS1_11target_archE1100ELNS1_3gpuE3ELNS1_3repE0EEENS1_30default_config_static_selectorELNS0_4arch9wavefront6targetE1EEEvT1_.kd
    .uniform_work_group_size: 1
    .uses_dynamic_stack: false
    .vgpr_count:     0
    .vgpr_spill_count: 0
    .wavefront_size: 64
  - .agpr_count:     0
    .args:
      - .offset:         0
        .size:           48
        .value_kind:     by_value
    .group_segment_fixed_size: 0
    .kernarg_segment_align: 8
    .kernarg_segment_size: 48
    .language:       OpenCL C
    .language_version:
      - 2
      - 0
    .max_flat_workgroup_size: 128
    .name:           _ZN7rocprim17ROCPRIM_400000_NS6detail17trampoline_kernelINS0_14default_configENS1_20scan_config_selectorIdEEZZNS1_9scan_implILNS1_25lookback_scan_determinismE0ELb1ELb1ES3_N6thrust23THRUST_200600_302600_NS6detail15normal_iteratorINS9_10device_ptrIdEEEENS9_16discard_iteratorINS9_11use_defaultEEEdNS9_4plusIvEEdEEDaPvRmT3_T4_T5_mT6_P12ihipStream_tbENKUlT_T0_E_clISt17integral_constantIbLb1EESX_EEDaSS_ST_EUlSS_E0_NS1_11comp_targetILNS1_3genE8ELNS1_11target_archE1030ELNS1_3gpuE2ELNS1_3repE0EEENS1_30default_config_static_selectorELNS0_4arch9wavefront6targetE1EEEvT1_
    .private_segment_fixed_size: 0
    .sgpr_count:     4
    .sgpr_spill_count: 0
    .symbol:         _ZN7rocprim17ROCPRIM_400000_NS6detail17trampoline_kernelINS0_14default_configENS1_20scan_config_selectorIdEEZZNS1_9scan_implILNS1_25lookback_scan_determinismE0ELb1ELb1ES3_N6thrust23THRUST_200600_302600_NS6detail15normal_iteratorINS9_10device_ptrIdEEEENS9_16discard_iteratorINS9_11use_defaultEEEdNS9_4plusIvEEdEEDaPvRmT3_T4_T5_mT6_P12ihipStream_tbENKUlT_T0_E_clISt17integral_constantIbLb1EESX_EEDaSS_ST_EUlSS_E0_NS1_11comp_targetILNS1_3genE8ELNS1_11target_archE1030ELNS1_3gpuE2ELNS1_3repE0EEENS1_30default_config_static_selectorELNS0_4arch9wavefront6targetE1EEEvT1_.kd
    .uniform_work_group_size: 1
    .uses_dynamic_stack: false
    .vgpr_count:     0
    .vgpr_spill_count: 0
    .wavefront_size: 64
  - .agpr_count:     0
    .args:
      - .offset:         0
        .size:           112
        .value_kind:     by_value
    .group_segment_fixed_size: 0
    .kernarg_segment_align: 8
    .kernarg_segment_size: 112
    .language:       OpenCL C
    .language_version:
      - 2
      - 0
    .max_flat_workgroup_size: 256
    .name:           _ZN7rocprim17ROCPRIM_400000_NS6detail17trampoline_kernelINS0_14default_configENS1_20scan_config_selectorIdEEZZNS1_9scan_implILNS1_25lookback_scan_determinismE0ELb1ELb1ES3_N6thrust23THRUST_200600_302600_NS6detail15normal_iteratorINS9_10device_ptrIdEEEENS9_16discard_iteratorINS9_11use_defaultEEEdNS9_4plusIvEEdEEDaPvRmT3_T4_T5_mT6_P12ihipStream_tbENKUlT_T0_E_clISt17integral_constantIbLb1EESW_IbLb0EEEEDaSS_ST_EUlSS_E_NS1_11comp_targetILNS1_3genE0ELNS1_11target_archE4294967295ELNS1_3gpuE0ELNS1_3repE0EEENS1_30default_config_static_selectorELNS0_4arch9wavefront6targetE1EEEvT1_
    .private_segment_fixed_size: 0
    .sgpr_count:     4
    .sgpr_spill_count: 0
    .symbol:         _ZN7rocprim17ROCPRIM_400000_NS6detail17trampoline_kernelINS0_14default_configENS1_20scan_config_selectorIdEEZZNS1_9scan_implILNS1_25lookback_scan_determinismE0ELb1ELb1ES3_N6thrust23THRUST_200600_302600_NS6detail15normal_iteratorINS9_10device_ptrIdEEEENS9_16discard_iteratorINS9_11use_defaultEEEdNS9_4plusIvEEdEEDaPvRmT3_T4_T5_mT6_P12ihipStream_tbENKUlT_T0_E_clISt17integral_constantIbLb1EESW_IbLb0EEEEDaSS_ST_EUlSS_E_NS1_11comp_targetILNS1_3genE0ELNS1_11target_archE4294967295ELNS1_3gpuE0ELNS1_3repE0EEENS1_30default_config_static_selectorELNS0_4arch9wavefront6targetE1EEEvT1_.kd
    .uniform_work_group_size: 1
    .uses_dynamic_stack: false
    .vgpr_count:     0
    .vgpr_spill_count: 0
    .wavefront_size: 64
  - .agpr_count:     0
    .args:
      - .offset:         0
        .size:           112
        .value_kind:     by_value
    .group_segment_fixed_size: 0
    .kernarg_segment_align: 8
    .kernarg_segment_size: 112
    .language:       OpenCL C
    .language_version:
      - 2
      - 0
    .max_flat_workgroup_size: 256
    .name:           _ZN7rocprim17ROCPRIM_400000_NS6detail17trampoline_kernelINS0_14default_configENS1_20scan_config_selectorIdEEZZNS1_9scan_implILNS1_25lookback_scan_determinismE0ELb1ELb1ES3_N6thrust23THRUST_200600_302600_NS6detail15normal_iteratorINS9_10device_ptrIdEEEENS9_16discard_iteratorINS9_11use_defaultEEEdNS9_4plusIvEEdEEDaPvRmT3_T4_T5_mT6_P12ihipStream_tbENKUlT_T0_E_clISt17integral_constantIbLb1EESW_IbLb0EEEEDaSS_ST_EUlSS_E_NS1_11comp_targetILNS1_3genE5ELNS1_11target_archE942ELNS1_3gpuE9ELNS1_3repE0EEENS1_30default_config_static_selectorELNS0_4arch9wavefront6targetE1EEEvT1_
    .private_segment_fixed_size: 0
    .sgpr_count:     4
    .sgpr_spill_count: 0
    .symbol:         _ZN7rocprim17ROCPRIM_400000_NS6detail17trampoline_kernelINS0_14default_configENS1_20scan_config_selectorIdEEZZNS1_9scan_implILNS1_25lookback_scan_determinismE0ELb1ELb1ES3_N6thrust23THRUST_200600_302600_NS6detail15normal_iteratorINS9_10device_ptrIdEEEENS9_16discard_iteratorINS9_11use_defaultEEEdNS9_4plusIvEEdEEDaPvRmT3_T4_T5_mT6_P12ihipStream_tbENKUlT_T0_E_clISt17integral_constantIbLb1EESW_IbLb0EEEEDaSS_ST_EUlSS_E_NS1_11comp_targetILNS1_3genE5ELNS1_11target_archE942ELNS1_3gpuE9ELNS1_3repE0EEENS1_30default_config_static_selectorELNS0_4arch9wavefront6targetE1EEEvT1_.kd
    .uniform_work_group_size: 1
    .uses_dynamic_stack: false
    .vgpr_count:     0
    .vgpr_spill_count: 0
    .wavefront_size: 64
  - .agpr_count:     0
    .args:
      - .offset:         0
        .size:           112
        .value_kind:     by_value
    .group_segment_fixed_size: 10240
    .kernarg_segment_align: 8
    .kernarg_segment_size: 112
    .language:       OpenCL C
    .language_version:
      - 2
      - 0
    .max_flat_workgroup_size: 128
    .name:           _ZN7rocprim17ROCPRIM_400000_NS6detail17trampoline_kernelINS0_14default_configENS1_20scan_config_selectorIdEEZZNS1_9scan_implILNS1_25lookback_scan_determinismE0ELb1ELb1ES3_N6thrust23THRUST_200600_302600_NS6detail15normal_iteratorINS9_10device_ptrIdEEEENS9_16discard_iteratorINS9_11use_defaultEEEdNS9_4plusIvEEdEEDaPvRmT3_T4_T5_mT6_P12ihipStream_tbENKUlT_T0_E_clISt17integral_constantIbLb1EESW_IbLb0EEEEDaSS_ST_EUlSS_E_NS1_11comp_targetILNS1_3genE4ELNS1_11target_archE910ELNS1_3gpuE8ELNS1_3repE0EEENS1_30default_config_static_selectorELNS0_4arch9wavefront6targetE1EEEvT1_
    .private_segment_fixed_size: 0
    .sgpr_count:     30
    .sgpr_spill_count: 0
    .symbol:         _ZN7rocprim17ROCPRIM_400000_NS6detail17trampoline_kernelINS0_14default_configENS1_20scan_config_selectorIdEEZZNS1_9scan_implILNS1_25lookback_scan_determinismE0ELb1ELb1ES3_N6thrust23THRUST_200600_302600_NS6detail15normal_iteratorINS9_10device_ptrIdEEEENS9_16discard_iteratorINS9_11use_defaultEEEdNS9_4plusIvEEdEEDaPvRmT3_T4_T5_mT6_P12ihipStream_tbENKUlT_T0_E_clISt17integral_constantIbLb1EESW_IbLb0EEEEDaSS_ST_EUlSS_E_NS1_11comp_targetILNS1_3genE4ELNS1_11target_archE910ELNS1_3gpuE8ELNS1_3repE0EEENS1_30default_config_static_selectorELNS0_4arch9wavefront6targetE1EEEvT1_.kd
    .uniform_work_group_size: 1
    .uses_dynamic_stack: false
    .vgpr_count:     68
    .vgpr_spill_count: 0
    .wavefront_size: 64
  - .agpr_count:     0
    .args:
      - .offset:         0
        .size:           112
        .value_kind:     by_value
    .group_segment_fixed_size: 0
    .kernarg_segment_align: 8
    .kernarg_segment_size: 112
    .language:       OpenCL C
    .language_version:
      - 2
      - 0
    .max_flat_workgroup_size: 256
    .name:           _ZN7rocprim17ROCPRIM_400000_NS6detail17trampoline_kernelINS0_14default_configENS1_20scan_config_selectorIdEEZZNS1_9scan_implILNS1_25lookback_scan_determinismE0ELb1ELb1ES3_N6thrust23THRUST_200600_302600_NS6detail15normal_iteratorINS9_10device_ptrIdEEEENS9_16discard_iteratorINS9_11use_defaultEEEdNS9_4plusIvEEdEEDaPvRmT3_T4_T5_mT6_P12ihipStream_tbENKUlT_T0_E_clISt17integral_constantIbLb1EESW_IbLb0EEEEDaSS_ST_EUlSS_E_NS1_11comp_targetILNS1_3genE3ELNS1_11target_archE908ELNS1_3gpuE7ELNS1_3repE0EEENS1_30default_config_static_selectorELNS0_4arch9wavefront6targetE1EEEvT1_
    .private_segment_fixed_size: 0
    .sgpr_count:     4
    .sgpr_spill_count: 0
    .symbol:         _ZN7rocprim17ROCPRIM_400000_NS6detail17trampoline_kernelINS0_14default_configENS1_20scan_config_selectorIdEEZZNS1_9scan_implILNS1_25lookback_scan_determinismE0ELb1ELb1ES3_N6thrust23THRUST_200600_302600_NS6detail15normal_iteratorINS9_10device_ptrIdEEEENS9_16discard_iteratorINS9_11use_defaultEEEdNS9_4plusIvEEdEEDaPvRmT3_T4_T5_mT6_P12ihipStream_tbENKUlT_T0_E_clISt17integral_constantIbLb1EESW_IbLb0EEEEDaSS_ST_EUlSS_E_NS1_11comp_targetILNS1_3genE3ELNS1_11target_archE908ELNS1_3gpuE7ELNS1_3repE0EEENS1_30default_config_static_selectorELNS0_4arch9wavefront6targetE1EEEvT1_.kd
    .uniform_work_group_size: 1
    .uses_dynamic_stack: false
    .vgpr_count:     0
    .vgpr_spill_count: 0
    .wavefront_size: 64
  - .agpr_count:     0
    .args:
      - .offset:         0
        .size:           112
        .value_kind:     by_value
    .group_segment_fixed_size: 0
    .kernarg_segment_align: 8
    .kernarg_segment_size: 112
    .language:       OpenCL C
    .language_version:
      - 2
      - 0
    .max_flat_workgroup_size: 128
    .name:           _ZN7rocprim17ROCPRIM_400000_NS6detail17trampoline_kernelINS0_14default_configENS1_20scan_config_selectorIdEEZZNS1_9scan_implILNS1_25lookback_scan_determinismE0ELb1ELb1ES3_N6thrust23THRUST_200600_302600_NS6detail15normal_iteratorINS9_10device_ptrIdEEEENS9_16discard_iteratorINS9_11use_defaultEEEdNS9_4plusIvEEdEEDaPvRmT3_T4_T5_mT6_P12ihipStream_tbENKUlT_T0_E_clISt17integral_constantIbLb1EESW_IbLb0EEEEDaSS_ST_EUlSS_E_NS1_11comp_targetILNS1_3genE2ELNS1_11target_archE906ELNS1_3gpuE6ELNS1_3repE0EEENS1_30default_config_static_selectorELNS0_4arch9wavefront6targetE1EEEvT1_
    .private_segment_fixed_size: 0
    .sgpr_count:     4
    .sgpr_spill_count: 0
    .symbol:         _ZN7rocprim17ROCPRIM_400000_NS6detail17trampoline_kernelINS0_14default_configENS1_20scan_config_selectorIdEEZZNS1_9scan_implILNS1_25lookback_scan_determinismE0ELb1ELb1ES3_N6thrust23THRUST_200600_302600_NS6detail15normal_iteratorINS9_10device_ptrIdEEEENS9_16discard_iteratorINS9_11use_defaultEEEdNS9_4plusIvEEdEEDaPvRmT3_T4_T5_mT6_P12ihipStream_tbENKUlT_T0_E_clISt17integral_constantIbLb1EESW_IbLb0EEEEDaSS_ST_EUlSS_E_NS1_11comp_targetILNS1_3genE2ELNS1_11target_archE906ELNS1_3gpuE6ELNS1_3repE0EEENS1_30default_config_static_selectorELNS0_4arch9wavefront6targetE1EEEvT1_.kd
    .uniform_work_group_size: 1
    .uses_dynamic_stack: false
    .vgpr_count:     0
    .vgpr_spill_count: 0
    .wavefront_size: 64
  - .agpr_count:     0
    .args:
      - .offset:         0
        .size:           112
        .value_kind:     by_value
    .group_segment_fixed_size: 0
    .kernarg_segment_align: 8
    .kernarg_segment_size: 112
    .language:       OpenCL C
    .language_version:
      - 2
      - 0
    .max_flat_workgroup_size: 256
    .name:           _ZN7rocprim17ROCPRIM_400000_NS6detail17trampoline_kernelINS0_14default_configENS1_20scan_config_selectorIdEEZZNS1_9scan_implILNS1_25lookback_scan_determinismE0ELb1ELb1ES3_N6thrust23THRUST_200600_302600_NS6detail15normal_iteratorINS9_10device_ptrIdEEEENS9_16discard_iteratorINS9_11use_defaultEEEdNS9_4plusIvEEdEEDaPvRmT3_T4_T5_mT6_P12ihipStream_tbENKUlT_T0_E_clISt17integral_constantIbLb1EESW_IbLb0EEEEDaSS_ST_EUlSS_E_NS1_11comp_targetILNS1_3genE10ELNS1_11target_archE1201ELNS1_3gpuE5ELNS1_3repE0EEENS1_30default_config_static_selectorELNS0_4arch9wavefront6targetE1EEEvT1_
    .private_segment_fixed_size: 0
    .sgpr_count:     4
    .sgpr_spill_count: 0
    .symbol:         _ZN7rocprim17ROCPRIM_400000_NS6detail17trampoline_kernelINS0_14default_configENS1_20scan_config_selectorIdEEZZNS1_9scan_implILNS1_25lookback_scan_determinismE0ELb1ELb1ES3_N6thrust23THRUST_200600_302600_NS6detail15normal_iteratorINS9_10device_ptrIdEEEENS9_16discard_iteratorINS9_11use_defaultEEEdNS9_4plusIvEEdEEDaPvRmT3_T4_T5_mT6_P12ihipStream_tbENKUlT_T0_E_clISt17integral_constantIbLb1EESW_IbLb0EEEEDaSS_ST_EUlSS_E_NS1_11comp_targetILNS1_3genE10ELNS1_11target_archE1201ELNS1_3gpuE5ELNS1_3repE0EEENS1_30default_config_static_selectorELNS0_4arch9wavefront6targetE1EEEvT1_.kd
    .uniform_work_group_size: 1
    .uses_dynamic_stack: false
    .vgpr_count:     0
    .vgpr_spill_count: 0
    .wavefront_size: 64
  - .agpr_count:     0
    .args:
      - .offset:         0
        .size:           112
        .value_kind:     by_value
    .group_segment_fixed_size: 0
    .kernarg_segment_align: 8
    .kernarg_segment_size: 112
    .language:       OpenCL C
    .language_version:
      - 2
      - 0
    .max_flat_workgroup_size: 256
    .name:           _ZN7rocprim17ROCPRIM_400000_NS6detail17trampoline_kernelINS0_14default_configENS1_20scan_config_selectorIdEEZZNS1_9scan_implILNS1_25lookback_scan_determinismE0ELb1ELb1ES3_N6thrust23THRUST_200600_302600_NS6detail15normal_iteratorINS9_10device_ptrIdEEEENS9_16discard_iteratorINS9_11use_defaultEEEdNS9_4plusIvEEdEEDaPvRmT3_T4_T5_mT6_P12ihipStream_tbENKUlT_T0_E_clISt17integral_constantIbLb1EESW_IbLb0EEEEDaSS_ST_EUlSS_E_NS1_11comp_targetILNS1_3genE10ELNS1_11target_archE1200ELNS1_3gpuE4ELNS1_3repE0EEENS1_30default_config_static_selectorELNS0_4arch9wavefront6targetE1EEEvT1_
    .private_segment_fixed_size: 0
    .sgpr_count:     4
    .sgpr_spill_count: 0
    .symbol:         _ZN7rocprim17ROCPRIM_400000_NS6detail17trampoline_kernelINS0_14default_configENS1_20scan_config_selectorIdEEZZNS1_9scan_implILNS1_25lookback_scan_determinismE0ELb1ELb1ES3_N6thrust23THRUST_200600_302600_NS6detail15normal_iteratorINS9_10device_ptrIdEEEENS9_16discard_iteratorINS9_11use_defaultEEEdNS9_4plusIvEEdEEDaPvRmT3_T4_T5_mT6_P12ihipStream_tbENKUlT_T0_E_clISt17integral_constantIbLb1EESW_IbLb0EEEEDaSS_ST_EUlSS_E_NS1_11comp_targetILNS1_3genE10ELNS1_11target_archE1200ELNS1_3gpuE4ELNS1_3repE0EEENS1_30default_config_static_selectorELNS0_4arch9wavefront6targetE1EEEvT1_.kd
    .uniform_work_group_size: 1
    .uses_dynamic_stack: false
    .vgpr_count:     0
    .vgpr_spill_count: 0
    .wavefront_size: 64
  - .agpr_count:     0
    .args:
      - .offset:         0
        .size:           112
        .value_kind:     by_value
    .group_segment_fixed_size: 0
    .kernarg_segment_align: 8
    .kernarg_segment_size: 112
    .language:       OpenCL C
    .language_version:
      - 2
      - 0
    .max_flat_workgroup_size: 256
    .name:           _ZN7rocprim17ROCPRIM_400000_NS6detail17trampoline_kernelINS0_14default_configENS1_20scan_config_selectorIdEEZZNS1_9scan_implILNS1_25lookback_scan_determinismE0ELb1ELb1ES3_N6thrust23THRUST_200600_302600_NS6detail15normal_iteratorINS9_10device_ptrIdEEEENS9_16discard_iteratorINS9_11use_defaultEEEdNS9_4plusIvEEdEEDaPvRmT3_T4_T5_mT6_P12ihipStream_tbENKUlT_T0_E_clISt17integral_constantIbLb1EESW_IbLb0EEEEDaSS_ST_EUlSS_E_NS1_11comp_targetILNS1_3genE9ELNS1_11target_archE1100ELNS1_3gpuE3ELNS1_3repE0EEENS1_30default_config_static_selectorELNS0_4arch9wavefront6targetE1EEEvT1_
    .private_segment_fixed_size: 0
    .sgpr_count:     4
    .sgpr_spill_count: 0
    .symbol:         _ZN7rocprim17ROCPRIM_400000_NS6detail17trampoline_kernelINS0_14default_configENS1_20scan_config_selectorIdEEZZNS1_9scan_implILNS1_25lookback_scan_determinismE0ELb1ELb1ES3_N6thrust23THRUST_200600_302600_NS6detail15normal_iteratorINS9_10device_ptrIdEEEENS9_16discard_iteratorINS9_11use_defaultEEEdNS9_4plusIvEEdEEDaPvRmT3_T4_T5_mT6_P12ihipStream_tbENKUlT_T0_E_clISt17integral_constantIbLb1EESW_IbLb0EEEEDaSS_ST_EUlSS_E_NS1_11comp_targetILNS1_3genE9ELNS1_11target_archE1100ELNS1_3gpuE3ELNS1_3repE0EEENS1_30default_config_static_selectorELNS0_4arch9wavefront6targetE1EEEvT1_.kd
    .uniform_work_group_size: 1
    .uses_dynamic_stack: false
    .vgpr_count:     0
    .vgpr_spill_count: 0
    .wavefront_size: 64
  - .agpr_count:     0
    .args:
      - .offset:         0
        .size:           112
        .value_kind:     by_value
    .group_segment_fixed_size: 0
    .kernarg_segment_align: 8
    .kernarg_segment_size: 112
    .language:       OpenCL C
    .language_version:
      - 2
      - 0
    .max_flat_workgroup_size: 128
    .name:           _ZN7rocprim17ROCPRIM_400000_NS6detail17trampoline_kernelINS0_14default_configENS1_20scan_config_selectorIdEEZZNS1_9scan_implILNS1_25lookback_scan_determinismE0ELb1ELb1ES3_N6thrust23THRUST_200600_302600_NS6detail15normal_iteratorINS9_10device_ptrIdEEEENS9_16discard_iteratorINS9_11use_defaultEEEdNS9_4plusIvEEdEEDaPvRmT3_T4_T5_mT6_P12ihipStream_tbENKUlT_T0_E_clISt17integral_constantIbLb1EESW_IbLb0EEEEDaSS_ST_EUlSS_E_NS1_11comp_targetILNS1_3genE8ELNS1_11target_archE1030ELNS1_3gpuE2ELNS1_3repE0EEENS1_30default_config_static_selectorELNS0_4arch9wavefront6targetE1EEEvT1_
    .private_segment_fixed_size: 0
    .sgpr_count:     4
    .sgpr_spill_count: 0
    .symbol:         _ZN7rocprim17ROCPRIM_400000_NS6detail17trampoline_kernelINS0_14default_configENS1_20scan_config_selectorIdEEZZNS1_9scan_implILNS1_25lookback_scan_determinismE0ELb1ELb1ES3_N6thrust23THRUST_200600_302600_NS6detail15normal_iteratorINS9_10device_ptrIdEEEENS9_16discard_iteratorINS9_11use_defaultEEEdNS9_4plusIvEEdEEDaPvRmT3_T4_T5_mT6_P12ihipStream_tbENKUlT_T0_E_clISt17integral_constantIbLb1EESW_IbLb0EEEEDaSS_ST_EUlSS_E_NS1_11comp_targetILNS1_3genE8ELNS1_11target_archE1030ELNS1_3gpuE2ELNS1_3repE0EEENS1_30default_config_static_selectorELNS0_4arch9wavefront6targetE1EEEvT1_.kd
    .uniform_work_group_size: 1
    .uses_dynamic_stack: false
    .vgpr_count:     0
    .vgpr_spill_count: 0
    .wavefront_size: 64
  - .agpr_count:     0
    .args:
      - .offset:         0
        .size:           48
        .value_kind:     by_value
    .group_segment_fixed_size: 0
    .kernarg_segment_align: 8
    .kernarg_segment_size: 48
    .language:       OpenCL C
    .language_version:
      - 2
      - 0
    .max_flat_workgroup_size: 256
    .name:           _ZN7rocprim17ROCPRIM_400000_NS6detail17trampoline_kernelINS0_14default_configENS1_20scan_config_selectorIdEEZZNS1_9scan_implILNS1_25lookback_scan_determinismE0ELb1ELb1ES3_N6thrust23THRUST_200600_302600_NS6detail15normal_iteratorINS9_10device_ptrIdEEEENS9_16discard_iteratorINS9_11use_defaultEEEdNS9_4plusIvEEdEEDaPvRmT3_T4_T5_mT6_P12ihipStream_tbENKUlT_T0_E_clISt17integral_constantIbLb1EESW_IbLb0EEEEDaSS_ST_EUlSS_E0_NS1_11comp_targetILNS1_3genE0ELNS1_11target_archE4294967295ELNS1_3gpuE0ELNS1_3repE0EEENS1_30default_config_static_selectorELNS0_4arch9wavefront6targetE1EEEvT1_
    .private_segment_fixed_size: 0
    .sgpr_count:     4
    .sgpr_spill_count: 0
    .symbol:         _ZN7rocprim17ROCPRIM_400000_NS6detail17trampoline_kernelINS0_14default_configENS1_20scan_config_selectorIdEEZZNS1_9scan_implILNS1_25lookback_scan_determinismE0ELb1ELb1ES3_N6thrust23THRUST_200600_302600_NS6detail15normal_iteratorINS9_10device_ptrIdEEEENS9_16discard_iteratorINS9_11use_defaultEEEdNS9_4plusIvEEdEEDaPvRmT3_T4_T5_mT6_P12ihipStream_tbENKUlT_T0_E_clISt17integral_constantIbLb1EESW_IbLb0EEEEDaSS_ST_EUlSS_E0_NS1_11comp_targetILNS1_3genE0ELNS1_11target_archE4294967295ELNS1_3gpuE0ELNS1_3repE0EEENS1_30default_config_static_selectorELNS0_4arch9wavefront6targetE1EEEvT1_.kd
    .uniform_work_group_size: 1
    .uses_dynamic_stack: false
    .vgpr_count:     0
    .vgpr_spill_count: 0
    .wavefront_size: 64
  - .agpr_count:     0
    .args:
      - .offset:         0
        .size:           48
        .value_kind:     by_value
    .group_segment_fixed_size: 0
    .kernarg_segment_align: 8
    .kernarg_segment_size: 48
    .language:       OpenCL C
    .language_version:
      - 2
      - 0
    .max_flat_workgroup_size: 256
    .name:           _ZN7rocprim17ROCPRIM_400000_NS6detail17trampoline_kernelINS0_14default_configENS1_20scan_config_selectorIdEEZZNS1_9scan_implILNS1_25lookback_scan_determinismE0ELb1ELb1ES3_N6thrust23THRUST_200600_302600_NS6detail15normal_iteratorINS9_10device_ptrIdEEEENS9_16discard_iteratorINS9_11use_defaultEEEdNS9_4plusIvEEdEEDaPvRmT3_T4_T5_mT6_P12ihipStream_tbENKUlT_T0_E_clISt17integral_constantIbLb1EESW_IbLb0EEEEDaSS_ST_EUlSS_E0_NS1_11comp_targetILNS1_3genE5ELNS1_11target_archE942ELNS1_3gpuE9ELNS1_3repE0EEENS1_30default_config_static_selectorELNS0_4arch9wavefront6targetE1EEEvT1_
    .private_segment_fixed_size: 0
    .sgpr_count:     4
    .sgpr_spill_count: 0
    .symbol:         _ZN7rocprim17ROCPRIM_400000_NS6detail17trampoline_kernelINS0_14default_configENS1_20scan_config_selectorIdEEZZNS1_9scan_implILNS1_25lookback_scan_determinismE0ELb1ELb1ES3_N6thrust23THRUST_200600_302600_NS6detail15normal_iteratorINS9_10device_ptrIdEEEENS9_16discard_iteratorINS9_11use_defaultEEEdNS9_4plusIvEEdEEDaPvRmT3_T4_T5_mT6_P12ihipStream_tbENKUlT_T0_E_clISt17integral_constantIbLb1EESW_IbLb0EEEEDaSS_ST_EUlSS_E0_NS1_11comp_targetILNS1_3genE5ELNS1_11target_archE942ELNS1_3gpuE9ELNS1_3repE0EEENS1_30default_config_static_selectorELNS0_4arch9wavefront6targetE1EEEvT1_.kd
    .uniform_work_group_size: 1
    .uses_dynamic_stack: false
    .vgpr_count:     0
    .vgpr_spill_count: 0
    .wavefront_size: 64
  - .agpr_count:     0
    .args:
      - .offset:         0
        .size:           48
        .value_kind:     by_value
    .group_segment_fixed_size: 10240
    .kernarg_segment_align: 8
    .kernarg_segment_size: 48
    .language:       OpenCL C
    .language_version:
      - 2
      - 0
    .max_flat_workgroup_size: 128
    .name:           _ZN7rocprim17ROCPRIM_400000_NS6detail17trampoline_kernelINS0_14default_configENS1_20scan_config_selectorIdEEZZNS1_9scan_implILNS1_25lookback_scan_determinismE0ELb1ELb1ES3_N6thrust23THRUST_200600_302600_NS6detail15normal_iteratorINS9_10device_ptrIdEEEENS9_16discard_iteratorINS9_11use_defaultEEEdNS9_4plusIvEEdEEDaPvRmT3_T4_T5_mT6_P12ihipStream_tbENKUlT_T0_E_clISt17integral_constantIbLb1EESW_IbLb0EEEEDaSS_ST_EUlSS_E0_NS1_11comp_targetILNS1_3genE4ELNS1_11target_archE910ELNS1_3gpuE8ELNS1_3repE0EEENS1_30default_config_static_selectorELNS0_4arch9wavefront6targetE1EEEvT1_
    .private_segment_fixed_size: 0
    .sgpr_count:     14
    .sgpr_spill_count: 0
    .symbol:         _ZN7rocprim17ROCPRIM_400000_NS6detail17trampoline_kernelINS0_14default_configENS1_20scan_config_selectorIdEEZZNS1_9scan_implILNS1_25lookback_scan_determinismE0ELb1ELb1ES3_N6thrust23THRUST_200600_302600_NS6detail15normal_iteratorINS9_10device_ptrIdEEEENS9_16discard_iteratorINS9_11use_defaultEEEdNS9_4plusIvEEdEEDaPvRmT3_T4_T5_mT6_P12ihipStream_tbENKUlT_T0_E_clISt17integral_constantIbLb1EESW_IbLb0EEEEDaSS_ST_EUlSS_E0_NS1_11comp_targetILNS1_3genE4ELNS1_11target_archE910ELNS1_3gpuE8ELNS1_3repE0EEENS1_30default_config_static_selectorELNS0_4arch9wavefront6targetE1EEEvT1_.kd
    .uniform_work_group_size: 1
    .uses_dynamic_stack: false
    .vgpr_count:     30
    .vgpr_spill_count: 0
    .wavefront_size: 64
  - .agpr_count:     0
    .args:
      - .offset:         0
        .size:           48
        .value_kind:     by_value
    .group_segment_fixed_size: 0
    .kernarg_segment_align: 8
    .kernarg_segment_size: 48
    .language:       OpenCL C
    .language_version:
      - 2
      - 0
    .max_flat_workgroup_size: 256
    .name:           _ZN7rocprim17ROCPRIM_400000_NS6detail17trampoline_kernelINS0_14default_configENS1_20scan_config_selectorIdEEZZNS1_9scan_implILNS1_25lookback_scan_determinismE0ELb1ELb1ES3_N6thrust23THRUST_200600_302600_NS6detail15normal_iteratorINS9_10device_ptrIdEEEENS9_16discard_iteratorINS9_11use_defaultEEEdNS9_4plusIvEEdEEDaPvRmT3_T4_T5_mT6_P12ihipStream_tbENKUlT_T0_E_clISt17integral_constantIbLb1EESW_IbLb0EEEEDaSS_ST_EUlSS_E0_NS1_11comp_targetILNS1_3genE3ELNS1_11target_archE908ELNS1_3gpuE7ELNS1_3repE0EEENS1_30default_config_static_selectorELNS0_4arch9wavefront6targetE1EEEvT1_
    .private_segment_fixed_size: 0
    .sgpr_count:     4
    .sgpr_spill_count: 0
    .symbol:         _ZN7rocprim17ROCPRIM_400000_NS6detail17trampoline_kernelINS0_14default_configENS1_20scan_config_selectorIdEEZZNS1_9scan_implILNS1_25lookback_scan_determinismE0ELb1ELb1ES3_N6thrust23THRUST_200600_302600_NS6detail15normal_iteratorINS9_10device_ptrIdEEEENS9_16discard_iteratorINS9_11use_defaultEEEdNS9_4plusIvEEdEEDaPvRmT3_T4_T5_mT6_P12ihipStream_tbENKUlT_T0_E_clISt17integral_constantIbLb1EESW_IbLb0EEEEDaSS_ST_EUlSS_E0_NS1_11comp_targetILNS1_3genE3ELNS1_11target_archE908ELNS1_3gpuE7ELNS1_3repE0EEENS1_30default_config_static_selectorELNS0_4arch9wavefront6targetE1EEEvT1_.kd
    .uniform_work_group_size: 1
    .uses_dynamic_stack: false
    .vgpr_count:     0
    .vgpr_spill_count: 0
    .wavefront_size: 64
  - .agpr_count:     0
    .args:
      - .offset:         0
        .size:           48
        .value_kind:     by_value
    .group_segment_fixed_size: 0
    .kernarg_segment_align: 8
    .kernarg_segment_size: 48
    .language:       OpenCL C
    .language_version:
      - 2
      - 0
    .max_flat_workgroup_size: 128
    .name:           _ZN7rocprim17ROCPRIM_400000_NS6detail17trampoline_kernelINS0_14default_configENS1_20scan_config_selectorIdEEZZNS1_9scan_implILNS1_25lookback_scan_determinismE0ELb1ELb1ES3_N6thrust23THRUST_200600_302600_NS6detail15normal_iteratorINS9_10device_ptrIdEEEENS9_16discard_iteratorINS9_11use_defaultEEEdNS9_4plusIvEEdEEDaPvRmT3_T4_T5_mT6_P12ihipStream_tbENKUlT_T0_E_clISt17integral_constantIbLb1EESW_IbLb0EEEEDaSS_ST_EUlSS_E0_NS1_11comp_targetILNS1_3genE2ELNS1_11target_archE906ELNS1_3gpuE6ELNS1_3repE0EEENS1_30default_config_static_selectorELNS0_4arch9wavefront6targetE1EEEvT1_
    .private_segment_fixed_size: 0
    .sgpr_count:     4
    .sgpr_spill_count: 0
    .symbol:         _ZN7rocprim17ROCPRIM_400000_NS6detail17trampoline_kernelINS0_14default_configENS1_20scan_config_selectorIdEEZZNS1_9scan_implILNS1_25lookback_scan_determinismE0ELb1ELb1ES3_N6thrust23THRUST_200600_302600_NS6detail15normal_iteratorINS9_10device_ptrIdEEEENS9_16discard_iteratorINS9_11use_defaultEEEdNS9_4plusIvEEdEEDaPvRmT3_T4_T5_mT6_P12ihipStream_tbENKUlT_T0_E_clISt17integral_constantIbLb1EESW_IbLb0EEEEDaSS_ST_EUlSS_E0_NS1_11comp_targetILNS1_3genE2ELNS1_11target_archE906ELNS1_3gpuE6ELNS1_3repE0EEENS1_30default_config_static_selectorELNS0_4arch9wavefront6targetE1EEEvT1_.kd
    .uniform_work_group_size: 1
    .uses_dynamic_stack: false
    .vgpr_count:     0
    .vgpr_spill_count: 0
    .wavefront_size: 64
  - .agpr_count:     0
    .args:
      - .offset:         0
        .size:           48
        .value_kind:     by_value
    .group_segment_fixed_size: 0
    .kernarg_segment_align: 8
    .kernarg_segment_size: 48
    .language:       OpenCL C
    .language_version:
      - 2
      - 0
    .max_flat_workgroup_size: 256
    .name:           _ZN7rocprim17ROCPRIM_400000_NS6detail17trampoline_kernelINS0_14default_configENS1_20scan_config_selectorIdEEZZNS1_9scan_implILNS1_25lookback_scan_determinismE0ELb1ELb1ES3_N6thrust23THRUST_200600_302600_NS6detail15normal_iteratorINS9_10device_ptrIdEEEENS9_16discard_iteratorINS9_11use_defaultEEEdNS9_4plusIvEEdEEDaPvRmT3_T4_T5_mT6_P12ihipStream_tbENKUlT_T0_E_clISt17integral_constantIbLb1EESW_IbLb0EEEEDaSS_ST_EUlSS_E0_NS1_11comp_targetILNS1_3genE10ELNS1_11target_archE1201ELNS1_3gpuE5ELNS1_3repE0EEENS1_30default_config_static_selectorELNS0_4arch9wavefront6targetE1EEEvT1_
    .private_segment_fixed_size: 0
    .sgpr_count:     4
    .sgpr_spill_count: 0
    .symbol:         _ZN7rocprim17ROCPRIM_400000_NS6detail17trampoline_kernelINS0_14default_configENS1_20scan_config_selectorIdEEZZNS1_9scan_implILNS1_25lookback_scan_determinismE0ELb1ELb1ES3_N6thrust23THRUST_200600_302600_NS6detail15normal_iteratorINS9_10device_ptrIdEEEENS9_16discard_iteratorINS9_11use_defaultEEEdNS9_4plusIvEEdEEDaPvRmT3_T4_T5_mT6_P12ihipStream_tbENKUlT_T0_E_clISt17integral_constantIbLb1EESW_IbLb0EEEEDaSS_ST_EUlSS_E0_NS1_11comp_targetILNS1_3genE10ELNS1_11target_archE1201ELNS1_3gpuE5ELNS1_3repE0EEENS1_30default_config_static_selectorELNS0_4arch9wavefront6targetE1EEEvT1_.kd
    .uniform_work_group_size: 1
    .uses_dynamic_stack: false
    .vgpr_count:     0
    .vgpr_spill_count: 0
    .wavefront_size: 64
  - .agpr_count:     0
    .args:
      - .offset:         0
        .size:           48
        .value_kind:     by_value
    .group_segment_fixed_size: 0
    .kernarg_segment_align: 8
    .kernarg_segment_size: 48
    .language:       OpenCL C
    .language_version:
      - 2
      - 0
    .max_flat_workgroup_size: 256
    .name:           _ZN7rocprim17ROCPRIM_400000_NS6detail17trampoline_kernelINS0_14default_configENS1_20scan_config_selectorIdEEZZNS1_9scan_implILNS1_25lookback_scan_determinismE0ELb1ELb1ES3_N6thrust23THRUST_200600_302600_NS6detail15normal_iteratorINS9_10device_ptrIdEEEENS9_16discard_iteratorINS9_11use_defaultEEEdNS9_4plusIvEEdEEDaPvRmT3_T4_T5_mT6_P12ihipStream_tbENKUlT_T0_E_clISt17integral_constantIbLb1EESW_IbLb0EEEEDaSS_ST_EUlSS_E0_NS1_11comp_targetILNS1_3genE10ELNS1_11target_archE1200ELNS1_3gpuE4ELNS1_3repE0EEENS1_30default_config_static_selectorELNS0_4arch9wavefront6targetE1EEEvT1_
    .private_segment_fixed_size: 0
    .sgpr_count:     4
    .sgpr_spill_count: 0
    .symbol:         _ZN7rocprim17ROCPRIM_400000_NS6detail17trampoline_kernelINS0_14default_configENS1_20scan_config_selectorIdEEZZNS1_9scan_implILNS1_25lookback_scan_determinismE0ELb1ELb1ES3_N6thrust23THRUST_200600_302600_NS6detail15normal_iteratorINS9_10device_ptrIdEEEENS9_16discard_iteratorINS9_11use_defaultEEEdNS9_4plusIvEEdEEDaPvRmT3_T4_T5_mT6_P12ihipStream_tbENKUlT_T0_E_clISt17integral_constantIbLb1EESW_IbLb0EEEEDaSS_ST_EUlSS_E0_NS1_11comp_targetILNS1_3genE10ELNS1_11target_archE1200ELNS1_3gpuE4ELNS1_3repE0EEENS1_30default_config_static_selectorELNS0_4arch9wavefront6targetE1EEEvT1_.kd
    .uniform_work_group_size: 1
    .uses_dynamic_stack: false
    .vgpr_count:     0
    .vgpr_spill_count: 0
    .wavefront_size: 64
  - .agpr_count:     0
    .args:
      - .offset:         0
        .size:           48
        .value_kind:     by_value
    .group_segment_fixed_size: 0
    .kernarg_segment_align: 8
    .kernarg_segment_size: 48
    .language:       OpenCL C
    .language_version:
      - 2
      - 0
    .max_flat_workgroup_size: 256
    .name:           _ZN7rocprim17ROCPRIM_400000_NS6detail17trampoline_kernelINS0_14default_configENS1_20scan_config_selectorIdEEZZNS1_9scan_implILNS1_25lookback_scan_determinismE0ELb1ELb1ES3_N6thrust23THRUST_200600_302600_NS6detail15normal_iteratorINS9_10device_ptrIdEEEENS9_16discard_iteratorINS9_11use_defaultEEEdNS9_4plusIvEEdEEDaPvRmT3_T4_T5_mT6_P12ihipStream_tbENKUlT_T0_E_clISt17integral_constantIbLb1EESW_IbLb0EEEEDaSS_ST_EUlSS_E0_NS1_11comp_targetILNS1_3genE9ELNS1_11target_archE1100ELNS1_3gpuE3ELNS1_3repE0EEENS1_30default_config_static_selectorELNS0_4arch9wavefront6targetE1EEEvT1_
    .private_segment_fixed_size: 0
    .sgpr_count:     4
    .sgpr_spill_count: 0
    .symbol:         _ZN7rocprim17ROCPRIM_400000_NS6detail17trampoline_kernelINS0_14default_configENS1_20scan_config_selectorIdEEZZNS1_9scan_implILNS1_25lookback_scan_determinismE0ELb1ELb1ES3_N6thrust23THRUST_200600_302600_NS6detail15normal_iteratorINS9_10device_ptrIdEEEENS9_16discard_iteratorINS9_11use_defaultEEEdNS9_4plusIvEEdEEDaPvRmT3_T4_T5_mT6_P12ihipStream_tbENKUlT_T0_E_clISt17integral_constantIbLb1EESW_IbLb0EEEEDaSS_ST_EUlSS_E0_NS1_11comp_targetILNS1_3genE9ELNS1_11target_archE1100ELNS1_3gpuE3ELNS1_3repE0EEENS1_30default_config_static_selectorELNS0_4arch9wavefront6targetE1EEEvT1_.kd
    .uniform_work_group_size: 1
    .uses_dynamic_stack: false
    .vgpr_count:     0
    .vgpr_spill_count: 0
    .wavefront_size: 64
  - .agpr_count:     0
    .args:
      - .offset:         0
        .size:           48
        .value_kind:     by_value
    .group_segment_fixed_size: 0
    .kernarg_segment_align: 8
    .kernarg_segment_size: 48
    .language:       OpenCL C
    .language_version:
      - 2
      - 0
    .max_flat_workgroup_size: 128
    .name:           _ZN7rocprim17ROCPRIM_400000_NS6detail17trampoline_kernelINS0_14default_configENS1_20scan_config_selectorIdEEZZNS1_9scan_implILNS1_25lookback_scan_determinismE0ELb1ELb1ES3_N6thrust23THRUST_200600_302600_NS6detail15normal_iteratorINS9_10device_ptrIdEEEENS9_16discard_iteratorINS9_11use_defaultEEEdNS9_4plusIvEEdEEDaPvRmT3_T4_T5_mT6_P12ihipStream_tbENKUlT_T0_E_clISt17integral_constantIbLb1EESW_IbLb0EEEEDaSS_ST_EUlSS_E0_NS1_11comp_targetILNS1_3genE8ELNS1_11target_archE1030ELNS1_3gpuE2ELNS1_3repE0EEENS1_30default_config_static_selectorELNS0_4arch9wavefront6targetE1EEEvT1_
    .private_segment_fixed_size: 0
    .sgpr_count:     4
    .sgpr_spill_count: 0
    .symbol:         _ZN7rocprim17ROCPRIM_400000_NS6detail17trampoline_kernelINS0_14default_configENS1_20scan_config_selectorIdEEZZNS1_9scan_implILNS1_25lookback_scan_determinismE0ELb1ELb1ES3_N6thrust23THRUST_200600_302600_NS6detail15normal_iteratorINS9_10device_ptrIdEEEENS9_16discard_iteratorINS9_11use_defaultEEEdNS9_4plusIvEEdEEDaPvRmT3_T4_T5_mT6_P12ihipStream_tbENKUlT_T0_E_clISt17integral_constantIbLb1EESW_IbLb0EEEEDaSS_ST_EUlSS_E0_NS1_11comp_targetILNS1_3genE8ELNS1_11target_archE1030ELNS1_3gpuE2ELNS1_3repE0EEENS1_30default_config_static_selectorELNS0_4arch9wavefront6targetE1EEEvT1_.kd
    .uniform_work_group_size: 1
    .uses_dynamic_stack: false
    .vgpr_count:     0
    .vgpr_spill_count: 0
    .wavefront_size: 64
  - .agpr_count:     0
    .args:
      - .offset:         0
        .size:           112
        .value_kind:     by_value
    .group_segment_fixed_size: 0
    .kernarg_segment_align: 8
    .kernarg_segment_size: 112
    .language:       OpenCL C
    .language_version:
      - 2
      - 0
    .max_flat_workgroup_size: 256
    .name:           _ZN7rocprim17ROCPRIM_400000_NS6detail17trampoline_kernelINS0_14default_configENS1_20scan_config_selectorIdEEZZNS1_9scan_implILNS1_25lookback_scan_determinismE0ELb1ELb1ES3_N6thrust23THRUST_200600_302600_NS6detail15normal_iteratorINS9_10device_ptrIdEEEENS9_16discard_iteratorINS9_11use_defaultEEEdNS9_4plusIvEEdEEDaPvRmT3_T4_T5_mT6_P12ihipStream_tbENKUlT_T0_E_clISt17integral_constantIbLb0EESW_IbLb1EEEEDaSS_ST_EUlSS_E_NS1_11comp_targetILNS1_3genE0ELNS1_11target_archE4294967295ELNS1_3gpuE0ELNS1_3repE0EEENS1_30default_config_static_selectorELNS0_4arch9wavefront6targetE1EEEvT1_
    .private_segment_fixed_size: 0
    .sgpr_count:     4
    .sgpr_spill_count: 0
    .symbol:         _ZN7rocprim17ROCPRIM_400000_NS6detail17trampoline_kernelINS0_14default_configENS1_20scan_config_selectorIdEEZZNS1_9scan_implILNS1_25lookback_scan_determinismE0ELb1ELb1ES3_N6thrust23THRUST_200600_302600_NS6detail15normal_iteratorINS9_10device_ptrIdEEEENS9_16discard_iteratorINS9_11use_defaultEEEdNS9_4plusIvEEdEEDaPvRmT3_T4_T5_mT6_P12ihipStream_tbENKUlT_T0_E_clISt17integral_constantIbLb0EESW_IbLb1EEEEDaSS_ST_EUlSS_E_NS1_11comp_targetILNS1_3genE0ELNS1_11target_archE4294967295ELNS1_3gpuE0ELNS1_3repE0EEENS1_30default_config_static_selectorELNS0_4arch9wavefront6targetE1EEEvT1_.kd
    .uniform_work_group_size: 1
    .uses_dynamic_stack: false
    .vgpr_count:     0
    .vgpr_spill_count: 0
    .wavefront_size: 64
  - .agpr_count:     0
    .args:
      - .offset:         0
        .size:           112
        .value_kind:     by_value
    .group_segment_fixed_size: 0
    .kernarg_segment_align: 8
    .kernarg_segment_size: 112
    .language:       OpenCL C
    .language_version:
      - 2
      - 0
    .max_flat_workgroup_size: 256
    .name:           _ZN7rocprim17ROCPRIM_400000_NS6detail17trampoline_kernelINS0_14default_configENS1_20scan_config_selectorIdEEZZNS1_9scan_implILNS1_25lookback_scan_determinismE0ELb1ELb1ES3_N6thrust23THRUST_200600_302600_NS6detail15normal_iteratorINS9_10device_ptrIdEEEENS9_16discard_iteratorINS9_11use_defaultEEEdNS9_4plusIvEEdEEDaPvRmT3_T4_T5_mT6_P12ihipStream_tbENKUlT_T0_E_clISt17integral_constantIbLb0EESW_IbLb1EEEEDaSS_ST_EUlSS_E_NS1_11comp_targetILNS1_3genE5ELNS1_11target_archE942ELNS1_3gpuE9ELNS1_3repE0EEENS1_30default_config_static_selectorELNS0_4arch9wavefront6targetE1EEEvT1_
    .private_segment_fixed_size: 0
    .sgpr_count:     4
    .sgpr_spill_count: 0
    .symbol:         _ZN7rocprim17ROCPRIM_400000_NS6detail17trampoline_kernelINS0_14default_configENS1_20scan_config_selectorIdEEZZNS1_9scan_implILNS1_25lookback_scan_determinismE0ELb1ELb1ES3_N6thrust23THRUST_200600_302600_NS6detail15normal_iteratorINS9_10device_ptrIdEEEENS9_16discard_iteratorINS9_11use_defaultEEEdNS9_4plusIvEEdEEDaPvRmT3_T4_T5_mT6_P12ihipStream_tbENKUlT_T0_E_clISt17integral_constantIbLb0EESW_IbLb1EEEEDaSS_ST_EUlSS_E_NS1_11comp_targetILNS1_3genE5ELNS1_11target_archE942ELNS1_3gpuE9ELNS1_3repE0EEENS1_30default_config_static_selectorELNS0_4arch9wavefront6targetE1EEEvT1_.kd
    .uniform_work_group_size: 1
    .uses_dynamic_stack: false
    .vgpr_count:     0
    .vgpr_spill_count: 0
    .wavefront_size: 64
  - .agpr_count:     0
    .args:
      - .offset:         0
        .size:           112
        .value_kind:     by_value
    .group_segment_fixed_size: 10240
    .kernarg_segment_align: 8
    .kernarg_segment_size: 112
    .language:       OpenCL C
    .language_version:
      - 2
      - 0
    .max_flat_workgroup_size: 128
    .name:           _ZN7rocprim17ROCPRIM_400000_NS6detail17trampoline_kernelINS0_14default_configENS1_20scan_config_selectorIdEEZZNS1_9scan_implILNS1_25lookback_scan_determinismE0ELb1ELb1ES3_N6thrust23THRUST_200600_302600_NS6detail15normal_iteratorINS9_10device_ptrIdEEEENS9_16discard_iteratorINS9_11use_defaultEEEdNS9_4plusIvEEdEEDaPvRmT3_T4_T5_mT6_P12ihipStream_tbENKUlT_T0_E_clISt17integral_constantIbLb0EESW_IbLb1EEEEDaSS_ST_EUlSS_E_NS1_11comp_targetILNS1_3genE4ELNS1_11target_archE910ELNS1_3gpuE8ELNS1_3repE0EEENS1_30default_config_static_selectorELNS0_4arch9wavefront6targetE1EEEvT1_
    .private_segment_fixed_size: 0
    .sgpr_count:     38
    .sgpr_spill_count: 0
    .symbol:         _ZN7rocprim17ROCPRIM_400000_NS6detail17trampoline_kernelINS0_14default_configENS1_20scan_config_selectorIdEEZZNS1_9scan_implILNS1_25lookback_scan_determinismE0ELb1ELb1ES3_N6thrust23THRUST_200600_302600_NS6detail15normal_iteratorINS9_10device_ptrIdEEEENS9_16discard_iteratorINS9_11use_defaultEEEdNS9_4plusIvEEdEEDaPvRmT3_T4_T5_mT6_P12ihipStream_tbENKUlT_T0_E_clISt17integral_constantIbLb0EESW_IbLb1EEEEDaSS_ST_EUlSS_E_NS1_11comp_targetILNS1_3genE4ELNS1_11target_archE910ELNS1_3gpuE8ELNS1_3repE0EEENS1_30default_config_static_selectorELNS0_4arch9wavefront6targetE1EEEvT1_.kd
    .uniform_work_group_size: 1
    .uses_dynamic_stack: false
    .vgpr_count:     68
    .vgpr_spill_count: 0
    .wavefront_size: 64
  - .agpr_count:     0
    .args:
      - .offset:         0
        .size:           112
        .value_kind:     by_value
    .group_segment_fixed_size: 0
    .kernarg_segment_align: 8
    .kernarg_segment_size: 112
    .language:       OpenCL C
    .language_version:
      - 2
      - 0
    .max_flat_workgroup_size: 256
    .name:           _ZN7rocprim17ROCPRIM_400000_NS6detail17trampoline_kernelINS0_14default_configENS1_20scan_config_selectorIdEEZZNS1_9scan_implILNS1_25lookback_scan_determinismE0ELb1ELb1ES3_N6thrust23THRUST_200600_302600_NS6detail15normal_iteratorINS9_10device_ptrIdEEEENS9_16discard_iteratorINS9_11use_defaultEEEdNS9_4plusIvEEdEEDaPvRmT3_T4_T5_mT6_P12ihipStream_tbENKUlT_T0_E_clISt17integral_constantIbLb0EESW_IbLb1EEEEDaSS_ST_EUlSS_E_NS1_11comp_targetILNS1_3genE3ELNS1_11target_archE908ELNS1_3gpuE7ELNS1_3repE0EEENS1_30default_config_static_selectorELNS0_4arch9wavefront6targetE1EEEvT1_
    .private_segment_fixed_size: 0
    .sgpr_count:     4
    .sgpr_spill_count: 0
    .symbol:         _ZN7rocprim17ROCPRIM_400000_NS6detail17trampoline_kernelINS0_14default_configENS1_20scan_config_selectorIdEEZZNS1_9scan_implILNS1_25lookback_scan_determinismE0ELb1ELb1ES3_N6thrust23THRUST_200600_302600_NS6detail15normal_iteratorINS9_10device_ptrIdEEEENS9_16discard_iteratorINS9_11use_defaultEEEdNS9_4plusIvEEdEEDaPvRmT3_T4_T5_mT6_P12ihipStream_tbENKUlT_T0_E_clISt17integral_constantIbLb0EESW_IbLb1EEEEDaSS_ST_EUlSS_E_NS1_11comp_targetILNS1_3genE3ELNS1_11target_archE908ELNS1_3gpuE7ELNS1_3repE0EEENS1_30default_config_static_selectorELNS0_4arch9wavefront6targetE1EEEvT1_.kd
    .uniform_work_group_size: 1
    .uses_dynamic_stack: false
    .vgpr_count:     0
    .vgpr_spill_count: 0
    .wavefront_size: 64
  - .agpr_count:     0
    .args:
      - .offset:         0
        .size:           112
        .value_kind:     by_value
    .group_segment_fixed_size: 0
    .kernarg_segment_align: 8
    .kernarg_segment_size: 112
    .language:       OpenCL C
    .language_version:
      - 2
      - 0
    .max_flat_workgroup_size: 128
    .name:           _ZN7rocprim17ROCPRIM_400000_NS6detail17trampoline_kernelINS0_14default_configENS1_20scan_config_selectorIdEEZZNS1_9scan_implILNS1_25lookback_scan_determinismE0ELb1ELb1ES3_N6thrust23THRUST_200600_302600_NS6detail15normal_iteratorINS9_10device_ptrIdEEEENS9_16discard_iteratorINS9_11use_defaultEEEdNS9_4plusIvEEdEEDaPvRmT3_T4_T5_mT6_P12ihipStream_tbENKUlT_T0_E_clISt17integral_constantIbLb0EESW_IbLb1EEEEDaSS_ST_EUlSS_E_NS1_11comp_targetILNS1_3genE2ELNS1_11target_archE906ELNS1_3gpuE6ELNS1_3repE0EEENS1_30default_config_static_selectorELNS0_4arch9wavefront6targetE1EEEvT1_
    .private_segment_fixed_size: 0
    .sgpr_count:     4
    .sgpr_spill_count: 0
    .symbol:         _ZN7rocprim17ROCPRIM_400000_NS6detail17trampoline_kernelINS0_14default_configENS1_20scan_config_selectorIdEEZZNS1_9scan_implILNS1_25lookback_scan_determinismE0ELb1ELb1ES3_N6thrust23THRUST_200600_302600_NS6detail15normal_iteratorINS9_10device_ptrIdEEEENS9_16discard_iteratorINS9_11use_defaultEEEdNS9_4plusIvEEdEEDaPvRmT3_T4_T5_mT6_P12ihipStream_tbENKUlT_T0_E_clISt17integral_constantIbLb0EESW_IbLb1EEEEDaSS_ST_EUlSS_E_NS1_11comp_targetILNS1_3genE2ELNS1_11target_archE906ELNS1_3gpuE6ELNS1_3repE0EEENS1_30default_config_static_selectorELNS0_4arch9wavefront6targetE1EEEvT1_.kd
    .uniform_work_group_size: 1
    .uses_dynamic_stack: false
    .vgpr_count:     0
    .vgpr_spill_count: 0
    .wavefront_size: 64
  - .agpr_count:     0
    .args:
      - .offset:         0
        .size:           112
        .value_kind:     by_value
    .group_segment_fixed_size: 0
    .kernarg_segment_align: 8
    .kernarg_segment_size: 112
    .language:       OpenCL C
    .language_version:
      - 2
      - 0
    .max_flat_workgroup_size: 256
    .name:           _ZN7rocprim17ROCPRIM_400000_NS6detail17trampoline_kernelINS0_14default_configENS1_20scan_config_selectorIdEEZZNS1_9scan_implILNS1_25lookback_scan_determinismE0ELb1ELb1ES3_N6thrust23THRUST_200600_302600_NS6detail15normal_iteratorINS9_10device_ptrIdEEEENS9_16discard_iteratorINS9_11use_defaultEEEdNS9_4plusIvEEdEEDaPvRmT3_T4_T5_mT6_P12ihipStream_tbENKUlT_T0_E_clISt17integral_constantIbLb0EESW_IbLb1EEEEDaSS_ST_EUlSS_E_NS1_11comp_targetILNS1_3genE10ELNS1_11target_archE1201ELNS1_3gpuE5ELNS1_3repE0EEENS1_30default_config_static_selectorELNS0_4arch9wavefront6targetE1EEEvT1_
    .private_segment_fixed_size: 0
    .sgpr_count:     4
    .sgpr_spill_count: 0
    .symbol:         _ZN7rocprim17ROCPRIM_400000_NS6detail17trampoline_kernelINS0_14default_configENS1_20scan_config_selectorIdEEZZNS1_9scan_implILNS1_25lookback_scan_determinismE0ELb1ELb1ES3_N6thrust23THRUST_200600_302600_NS6detail15normal_iteratorINS9_10device_ptrIdEEEENS9_16discard_iteratorINS9_11use_defaultEEEdNS9_4plusIvEEdEEDaPvRmT3_T4_T5_mT6_P12ihipStream_tbENKUlT_T0_E_clISt17integral_constantIbLb0EESW_IbLb1EEEEDaSS_ST_EUlSS_E_NS1_11comp_targetILNS1_3genE10ELNS1_11target_archE1201ELNS1_3gpuE5ELNS1_3repE0EEENS1_30default_config_static_selectorELNS0_4arch9wavefront6targetE1EEEvT1_.kd
    .uniform_work_group_size: 1
    .uses_dynamic_stack: false
    .vgpr_count:     0
    .vgpr_spill_count: 0
    .wavefront_size: 64
  - .agpr_count:     0
    .args:
      - .offset:         0
        .size:           112
        .value_kind:     by_value
    .group_segment_fixed_size: 0
    .kernarg_segment_align: 8
    .kernarg_segment_size: 112
    .language:       OpenCL C
    .language_version:
      - 2
      - 0
    .max_flat_workgroup_size: 256
    .name:           _ZN7rocprim17ROCPRIM_400000_NS6detail17trampoline_kernelINS0_14default_configENS1_20scan_config_selectorIdEEZZNS1_9scan_implILNS1_25lookback_scan_determinismE0ELb1ELb1ES3_N6thrust23THRUST_200600_302600_NS6detail15normal_iteratorINS9_10device_ptrIdEEEENS9_16discard_iteratorINS9_11use_defaultEEEdNS9_4plusIvEEdEEDaPvRmT3_T4_T5_mT6_P12ihipStream_tbENKUlT_T0_E_clISt17integral_constantIbLb0EESW_IbLb1EEEEDaSS_ST_EUlSS_E_NS1_11comp_targetILNS1_3genE10ELNS1_11target_archE1200ELNS1_3gpuE4ELNS1_3repE0EEENS1_30default_config_static_selectorELNS0_4arch9wavefront6targetE1EEEvT1_
    .private_segment_fixed_size: 0
    .sgpr_count:     4
    .sgpr_spill_count: 0
    .symbol:         _ZN7rocprim17ROCPRIM_400000_NS6detail17trampoline_kernelINS0_14default_configENS1_20scan_config_selectorIdEEZZNS1_9scan_implILNS1_25lookback_scan_determinismE0ELb1ELb1ES3_N6thrust23THRUST_200600_302600_NS6detail15normal_iteratorINS9_10device_ptrIdEEEENS9_16discard_iteratorINS9_11use_defaultEEEdNS9_4plusIvEEdEEDaPvRmT3_T4_T5_mT6_P12ihipStream_tbENKUlT_T0_E_clISt17integral_constantIbLb0EESW_IbLb1EEEEDaSS_ST_EUlSS_E_NS1_11comp_targetILNS1_3genE10ELNS1_11target_archE1200ELNS1_3gpuE4ELNS1_3repE0EEENS1_30default_config_static_selectorELNS0_4arch9wavefront6targetE1EEEvT1_.kd
    .uniform_work_group_size: 1
    .uses_dynamic_stack: false
    .vgpr_count:     0
    .vgpr_spill_count: 0
    .wavefront_size: 64
  - .agpr_count:     0
    .args:
      - .offset:         0
        .size:           112
        .value_kind:     by_value
    .group_segment_fixed_size: 0
    .kernarg_segment_align: 8
    .kernarg_segment_size: 112
    .language:       OpenCL C
    .language_version:
      - 2
      - 0
    .max_flat_workgroup_size: 256
    .name:           _ZN7rocprim17ROCPRIM_400000_NS6detail17trampoline_kernelINS0_14default_configENS1_20scan_config_selectorIdEEZZNS1_9scan_implILNS1_25lookback_scan_determinismE0ELb1ELb1ES3_N6thrust23THRUST_200600_302600_NS6detail15normal_iteratorINS9_10device_ptrIdEEEENS9_16discard_iteratorINS9_11use_defaultEEEdNS9_4plusIvEEdEEDaPvRmT3_T4_T5_mT6_P12ihipStream_tbENKUlT_T0_E_clISt17integral_constantIbLb0EESW_IbLb1EEEEDaSS_ST_EUlSS_E_NS1_11comp_targetILNS1_3genE9ELNS1_11target_archE1100ELNS1_3gpuE3ELNS1_3repE0EEENS1_30default_config_static_selectorELNS0_4arch9wavefront6targetE1EEEvT1_
    .private_segment_fixed_size: 0
    .sgpr_count:     4
    .sgpr_spill_count: 0
    .symbol:         _ZN7rocprim17ROCPRIM_400000_NS6detail17trampoline_kernelINS0_14default_configENS1_20scan_config_selectorIdEEZZNS1_9scan_implILNS1_25lookback_scan_determinismE0ELb1ELb1ES3_N6thrust23THRUST_200600_302600_NS6detail15normal_iteratorINS9_10device_ptrIdEEEENS9_16discard_iteratorINS9_11use_defaultEEEdNS9_4plusIvEEdEEDaPvRmT3_T4_T5_mT6_P12ihipStream_tbENKUlT_T0_E_clISt17integral_constantIbLb0EESW_IbLb1EEEEDaSS_ST_EUlSS_E_NS1_11comp_targetILNS1_3genE9ELNS1_11target_archE1100ELNS1_3gpuE3ELNS1_3repE0EEENS1_30default_config_static_selectorELNS0_4arch9wavefront6targetE1EEEvT1_.kd
    .uniform_work_group_size: 1
    .uses_dynamic_stack: false
    .vgpr_count:     0
    .vgpr_spill_count: 0
    .wavefront_size: 64
  - .agpr_count:     0
    .args:
      - .offset:         0
        .size:           112
        .value_kind:     by_value
    .group_segment_fixed_size: 0
    .kernarg_segment_align: 8
    .kernarg_segment_size: 112
    .language:       OpenCL C
    .language_version:
      - 2
      - 0
    .max_flat_workgroup_size: 128
    .name:           _ZN7rocprim17ROCPRIM_400000_NS6detail17trampoline_kernelINS0_14default_configENS1_20scan_config_selectorIdEEZZNS1_9scan_implILNS1_25lookback_scan_determinismE0ELb1ELb1ES3_N6thrust23THRUST_200600_302600_NS6detail15normal_iteratorINS9_10device_ptrIdEEEENS9_16discard_iteratorINS9_11use_defaultEEEdNS9_4plusIvEEdEEDaPvRmT3_T4_T5_mT6_P12ihipStream_tbENKUlT_T0_E_clISt17integral_constantIbLb0EESW_IbLb1EEEEDaSS_ST_EUlSS_E_NS1_11comp_targetILNS1_3genE8ELNS1_11target_archE1030ELNS1_3gpuE2ELNS1_3repE0EEENS1_30default_config_static_selectorELNS0_4arch9wavefront6targetE1EEEvT1_
    .private_segment_fixed_size: 0
    .sgpr_count:     4
    .sgpr_spill_count: 0
    .symbol:         _ZN7rocprim17ROCPRIM_400000_NS6detail17trampoline_kernelINS0_14default_configENS1_20scan_config_selectorIdEEZZNS1_9scan_implILNS1_25lookback_scan_determinismE0ELb1ELb1ES3_N6thrust23THRUST_200600_302600_NS6detail15normal_iteratorINS9_10device_ptrIdEEEENS9_16discard_iteratorINS9_11use_defaultEEEdNS9_4plusIvEEdEEDaPvRmT3_T4_T5_mT6_P12ihipStream_tbENKUlT_T0_E_clISt17integral_constantIbLb0EESW_IbLb1EEEEDaSS_ST_EUlSS_E_NS1_11comp_targetILNS1_3genE8ELNS1_11target_archE1030ELNS1_3gpuE2ELNS1_3repE0EEENS1_30default_config_static_selectorELNS0_4arch9wavefront6targetE1EEEvT1_.kd
    .uniform_work_group_size: 1
    .uses_dynamic_stack: false
    .vgpr_count:     0
    .vgpr_spill_count: 0
    .wavefront_size: 64
  - .agpr_count:     0
    .args:
      - .offset:         0
        .size:           48
        .value_kind:     by_value
    .group_segment_fixed_size: 0
    .kernarg_segment_align: 8
    .kernarg_segment_size: 48
    .language:       OpenCL C
    .language_version:
      - 2
      - 0
    .max_flat_workgroup_size: 256
    .name:           _ZN7rocprim17ROCPRIM_400000_NS6detail17trampoline_kernelINS0_14default_configENS1_20scan_config_selectorIdEEZZNS1_9scan_implILNS1_25lookback_scan_determinismE0ELb1ELb1ES3_N6thrust23THRUST_200600_302600_NS6detail15normal_iteratorINS9_10device_ptrIdEEEENS9_16discard_iteratorINS9_11use_defaultEEEdNS9_4plusIvEEdEEDaPvRmT3_T4_T5_mT6_P12ihipStream_tbENKUlT_T0_E_clISt17integral_constantIbLb0EESW_IbLb1EEEEDaSS_ST_EUlSS_E0_NS1_11comp_targetILNS1_3genE0ELNS1_11target_archE4294967295ELNS1_3gpuE0ELNS1_3repE0EEENS1_30default_config_static_selectorELNS0_4arch9wavefront6targetE1EEEvT1_
    .private_segment_fixed_size: 0
    .sgpr_count:     4
    .sgpr_spill_count: 0
    .symbol:         _ZN7rocprim17ROCPRIM_400000_NS6detail17trampoline_kernelINS0_14default_configENS1_20scan_config_selectorIdEEZZNS1_9scan_implILNS1_25lookback_scan_determinismE0ELb1ELb1ES3_N6thrust23THRUST_200600_302600_NS6detail15normal_iteratorINS9_10device_ptrIdEEEENS9_16discard_iteratorINS9_11use_defaultEEEdNS9_4plusIvEEdEEDaPvRmT3_T4_T5_mT6_P12ihipStream_tbENKUlT_T0_E_clISt17integral_constantIbLb0EESW_IbLb1EEEEDaSS_ST_EUlSS_E0_NS1_11comp_targetILNS1_3genE0ELNS1_11target_archE4294967295ELNS1_3gpuE0ELNS1_3repE0EEENS1_30default_config_static_selectorELNS0_4arch9wavefront6targetE1EEEvT1_.kd
    .uniform_work_group_size: 1
    .uses_dynamic_stack: false
    .vgpr_count:     0
    .vgpr_spill_count: 0
    .wavefront_size: 64
  - .agpr_count:     0
    .args:
      - .offset:         0
        .size:           48
        .value_kind:     by_value
    .group_segment_fixed_size: 0
    .kernarg_segment_align: 8
    .kernarg_segment_size: 48
    .language:       OpenCL C
    .language_version:
      - 2
      - 0
    .max_flat_workgroup_size: 256
    .name:           _ZN7rocprim17ROCPRIM_400000_NS6detail17trampoline_kernelINS0_14default_configENS1_20scan_config_selectorIdEEZZNS1_9scan_implILNS1_25lookback_scan_determinismE0ELb1ELb1ES3_N6thrust23THRUST_200600_302600_NS6detail15normal_iteratorINS9_10device_ptrIdEEEENS9_16discard_iteratorINS9_11use_defaultEEEdNS9_4plusIvEEdEEDaPvRmT3_T4_T5_mT6_P12ihipStream_tbENKUlT_T0_E_clISt17integral_constantIbLb0EESW_IbLb1EEEEDaSS_ST_EUlSS_E0_NS1_11comp_targetILNS1_3genE5ELNS1_11target_archE942ELNS1_3gpuE9ELNS1_3repE0EEENS1_30default_config_static_selectorELNS0_4arch9wavefront6targetE1EEEvT1_
    .private_segment_fixed_size: 0
    .sgpr_count:     4
    .sgpr_spill_count: 0
    .symbol:         _ZN7rocprim17ROCPRIM_400000_NS6detail17trampoline_kernelINS0_14default_configENS1_20scan_config_selectorIdEEZZNS1_9scan_implILNS1_25lookback_scan_determinismE0ELb1ELb1ES3_N6thrust23THRUST_200600_302600_NS6detail15normal_iteratorINS9_10device_ptrIdEEEENS9_16discard_iteratorINS9_11use_defaultEEEdNS9_4plusIvEEdEEDaPvRmT3_T4_T5_mT6_P12ihipStream_tbENKUlT_T0_E_clISt17integral_constantIbLb0EESW_IbLb1EEEEDaSS_ST_EUlSS_E0_NS1_11comp_targetILNS1_3genE5ELNS1_11target_archE942ELNS1_3gpuE9ELNS1_3repE0EEENS1_30default_config_static_selectorELNS0_4arch9wavefront6targetE1EEEvT1_.kd
    .uniform_work_group_size: 1
    .uses_dynamic_stack: false
    .vgpr_count:     0
    .vgpr_spill_count: 0
    .wavefront_size: 64
  - .agpr_count:     0
    .args:
      - .offset:         0
        .size:           48
        .value_kind:     by_value
    .group_segment_fixed_size: 10240
    .kernarg_segment_align: 8
    .kernarg_segment_size: 48
    .language:       OpenCL C
    .language_version:
      - 2
      - 0
    .max_flat_workgroup_size: 128
    .name:           _ZN7rocprim17ROCPRIM_400000_NS6detail17trampoline_kernelINS0_14default_configENS1_20scan_config_selectorIdEEZZNS1_9scan_implILNS1_25lookback_scan_determinismE0ELb1ELb1ES3_N6thrust23THRUST_200600_302600_NS6detail15normal_iteratorINS9_10device_ptrIdEEEENS9_16discard_iteratorINS9_11use_defaultEEEdNS9_4plusIvEEdEEDaPvRmT3_T4_T5_mT6_P12ihipStream_tbENKUlT_T0_E_clISt17integral_constantIbLb0EESW_IbLb1EEEEDaSS_ST_EUlSS_E0_NS1_11comp_targetILNS1_3genE4ELNS1_11target_archE910ELNS1_3gpuE8ELNS1_3repE0EEENS1_30default_config_static_selectorELNS0_4arch9wavefront6targetE1EEEvT1_
    .private_segment_fixed_size: 0
    .sgpr_count:     14
    .sgpr_spill_count: 0
    .symbol:         _ZN7rocprim17ROCPRIM_400000_NS6detail17trampoline_kernelINS0_14default_configENS1_20scan_config_selectorIdEEZZNS1_9scan_implILNS1_25lookback_scan_determinismE0ELb1ELb1ES3_N6thrust23THRUST_200600_302600_NS6detail15normal_iteratorINS9_10device_ptrIdEEEENS9_16discard_iteratorINS9_11use_defaultEEEdNS9_4plusIvEEdEEDaPvRmT3_T4_T5_mT6_P12ihipStream_tbENKUlT_T0_E_clISt17integral_constantIbLb0EESW_IbLb1EEEEDaSS_ST_EUlSS_E0_NS1_11comp_targetILNS1_3genE4ELNS1_11target_archE910ELNS1_3gpuE8ELNS1_3repE0EEENS1_30default_config_static_selectorELNS0_4arch9wavefront6targetE1EEEvT1_.kd
    .uniform_work_group_size: 1
    .uses_dynamic_stack: false
    .vgpr_count:     30
    .vgpr_spill_count: 0
    .wavefront_size: 64
  - .agpr_count:     0
    .args:
      - .offset:         0
        .size:           48
        .value_kind:     by_value
    .group_segment_fixed_size: 0
    .kernarg_segment_align: 8
    .kernarg_segment_size: 48
    .language:       OpenCL C
    .language_version:
      - 2
      - 0
    .max_flat_workgroup_size: 256
    .name:           _ZN7rocprim17ROCPRIM_400000_NS6detail17trampoline_kernelINS0_14default_configENS1_20scan_config_selectorIdEEZZNS1_9scan_implILNS1_25lookback_scan_determinismE0ELb1ELb1ES3_N6thrust23THRUST_200600_302600_NS6detail15normal_iteratorINS9_10device_ptrIdEEEENS9_16discard_iteratorINS9_11use_defaultEEEdNS9_4plusIvEEdEEDaPvRmT3_T4_T5_mT6_P12ihipStream_tbENKUlT_T0_E_clISt17integral_constantIbLb0EESW_IbLb1EEEEDaSS_ST_EUlSS_E0_NS1_11comp_targetILNS1_3genE3ELNS1_11target_archE908ELNS1_3gpuE7ELNS1_3repE0EEENS1_30default_config_static_selectorELNS0_4arch9wavefront6targetE1EEEvT1_
    .private_segment_fixed_size: 0
    .sgpr_count:     4
    .sgpr_spill_count: 0
    .symbol:         _ZN7rocprim17ROCPRIM_400000_NS6detail17trampoline_kernelINS0_14default_configENS1_20scan_config_selectorIdEEZZNS1_9scan_implILNS1_25lookback_scan_determinismE0ELb1ELb1ES3_N6thrust23THRUST_200600_302600_NS6detail15normal_iteratorINS9_10device_ptrIdEEEENS9_16discard_iteratorINS9_11use_defaultEEEdNS9_4plusIvEEdEEDaPvRmT3_T4_T5_mT6_P12ihipStream_tbENKUlT_T0_E_clISt17integral_constantIbLb0EESW_IbLb1EEEEDaSS_ST_EUlSS_E0_NS1_11comp_targetILNS1_3genE3ELNS1_11target_archE908ELNS1_3gpuE7ELNS1_3repE0EEENS1_30default_config_static_selectorELNS0_4arch9wavefront6targetE1EEEvT1_.kd
    .uniform_work_group_size: 1
    .uses_dynamic_stack: false
    .vgpr_count:     0
    .vgpr_spill_count: 0
    .wavefront_size: 64
  - .agpr_count:     0
    .args:
      - .offset:         0
        .size:           48
        .value_kind:     by_value
    .group_segment_fixed_size: 0
    .kernarg_segment_align: 8
    .kernarg_segment_size: 48
    .language:       OpenCL C
    .language_version:
      - 2
      - 0
    .max_flat_workgroup_size: 128
    .name:           _ZN7rocprim17ROCPRIM_400000_NS6detail17trampoline_kernelINS0_14default_configENS1_20scan_config_selectorIdEEZZNS1_9scan_implILNS1_25lookback_scan_determinismE0ELb1ELb1ES3_N6thrust23THRUST_200600_302600_NS6detail15normal_iteratorINS9_10device_ptrIdEEEENS9_16discard_iteratorINS9_11use_defaultEEEdNS9_4plusIvEEdEEDaPvRmT3_T4_T5_mT6_P12ihipStream_tbENKUlT_T0_E_clISt17integral_constantIbLb0EESW_IbLb1EEEEDaSS_ST_EUlSS_E0_NS1_11comp_targetILNS1_3genE2ELNS1_11target_archE906ELNS1_3gpuE6ELNS1_3repE0EEENS1_30default_config_static_selectorELNS0_4arch9wavefront6targetE1EEEvT1_
    .private_segment_fixed_size: 0
    .sgpr_count:     4
    .sgpr_spill_count: 0
    .symbol:         _ZN7rocprim17ROCPRIM_400000_NS6detail17trampoline_kernelINS0_14default_configENS1_20scan_config_selectorIdEEZZNS1_9scan_implILNS1_25lookback_scan_determinismE0ELb1ELb1ES3_N6thrust23THRUST_200600_302600_NS6detail15normal_iteratorINS9_10device_ptrIdEEEENS9_16discard_iteratorINS9_11use_defaultEEEdNS9_4plusIvEEdEEDaPvRmT3_T4_T5_mT6_P12ihipStream_tbENKUlT_T0_E_clISt17integral_constantIbLb0EESW_IbLb1EEEEDaSS_ST_EUlSS_E0_NS1_11comp_targetILNS1_3genE2ELNS1_11target_archE906ELNS1_3gpuE6ELNS1_3repE0EEENS1_30default_config_static_selectorELNS0_4arch9wavefront6targetE1EEEvT1_.kd
    .uniform_work_group_size: 1
    .uses_dynamic_stack: false
    .vgpr_count:     0
    .vgpr_spill_count: 0
    .wavefront_size: 64
  - .agpr_count:     0
    .args:
      - .offset:         0
        .size:           48
        .value_kind:     by_value
    .group_segment_fixed_size: 0
    .kernarg_segment_align: 8
    .kernarg_segment_size: 48
    .language:       OpenCL C
    .language_version:
      - 2
      - 0
    .max_flat_workgroup_size: 256
    .name:           _ZN7rocprim17ROCPRIM_400000_NS6detail17trampoline_kernelINS0_14default_configENS1_20scan_config_selectorIdEEZZNS1_9scan_implILNS1_25lookback_scan_determinismE0ELb1ELb1ES3_N6thrust23THRUST_200600_302600_NS6detail15normal_iteratorINS9_10device_ptrIdEEEENS9_16discard_iteratorINS9_11use_defaultEEEdNS9_4plusIvEEdEEDaPvRmT3_T4_T5_mT6_P12ihipStream_tbENKUlT_T0_E_clISt17integral_constantIbLb0EESW_IbLb1EEEEDaSS_ST_EUlSS_E0_NS1_11comp_targetILNS1_3genE10ELNS1_11target_archE1201ELNS1_3gpuE5ELNS1_3repE0EEENS1_30default_config_static_selectorELNS0_4arch9wavefront6targetE1EEEvT1_
    .private_segment_fixed_size: 0
    .sgpr_count:     4
    .sgpr_spill_count: 0
    .symbol:         _ZN7rocprim17ROCPRIM_400000_NS6detail17trampoline_kernelINS0_14default_configENS1_20scan_config_selectorIdEEZZNS1_9scan_implILNS1_25lookback_scan_determinismE0ELb1ELb1ES3_N6thrust23THRUST_200600_302600_NS6detail15normal_iteratorINS9_10device_ptrIdEEEENS9_16discard_iteratorINS9_11use_defaultEEEdNS9_4plusIvEEdEEDaPvRmT3_T4_T5_mT6_P12ihipStream_tbENKUlT_T0_E_clISt17integral_constantIbLb0EESW_IbLb1EEEEDaSS_ST_EUlSS_E0_NS1_11comp_targetILNS1_3genE10ELNS1_11target_archE1201ELNS1_3gpuE5ELNS1_3repE0EEENS1_30default_config_static_selectorELNS0_4arch9wavefront6targetE1EEEvT1_.kd
    .uniform_work_group_size: 1
    .uses_dynamic_stack: false
    .vgpr_count:     0
    .vgpr_spill_count: 0
    .wavefront_size: 64
  - .agpr_count:     0
    .args:
      - .offset:         0
        .size:           48
        .value_kind:     by_value
    .group_segment_fixed_size: 0
    .kernarg_segment_align: 8
    .kernarg_segment_size: 48
    .language:       OpenCL C
    .language_version:
      - 2
      - 0
    .max_flat_workgroup_size: 256
    .name:           _ZN7rocprim17ROCPRIM_400000_NS6detail17trampoline_kernelINS0_14default_configENS1_20scan_config_selectorIdEEZZNS1_9scan_implILNS1_25lookback_scan_determinismE0ELb1ELb1ES3_N6thrust23THRUST_200600_302600_NS6detail15normal_iteratorINS9_10device_ptrIdEEEENS9_16discard_iteratorINS9_11use_defaultEEEdNS9_4plusIvEEdEEDaPvRmT3_T4_T5_mT6_P12ihipStream_tbENKUlT_T0_E_clISt17integral_constantIbLb0EESW_IbLb1EEEEDaSS_ST_EUlSS_E0_NS1_11comp_targetILNS1_3genE10ELNS1_11target_archE1200ELNS1_3gpuE4ELNS1_3repE0EEENS1_30default_config_static_selectorELNS0_4arch9wavefront6targetE1EEEvT1_
    .private_segment_fixed_size: 0
    .sgpr_count:     4
    .sgpr_spill_count: 0
    .symbol:         _ZN7rocprim17ROCPRIM_400000_NS6detail17trampoline_kernelINS0_14default_configENS1_20scan_config_selectorIdEEZZNS1_9scan_implILNS1_25lookback_scan_determinismE0ELb1ELb1ES3_N6thrust23THRUST_200600_302600_NS6detail15normal_iteratorINS9_10device_ptrIdEEEENS9_16discard_iteratorINS9_11use_defaultEEEdNS9_4plusIvEEdEEDaPvRmT3_T4_T5_mT6_P12ihipStream_tbENKUlT_T0_E_clISt17integral_constantIbLb0EESW_IbLb1EEEEDaSS_ST_EUlSS_E0_NS1_11comp_targetILNS1_3genE10ELNS1_11target_archE1200ELNS1_3gpuE4ELNS1_3repE0EEENS1_30default_config_static_selectorELNS0_4arch9wavefront6targetE1EEEvT1_.kd
    .uniform_work_group_size: 1
    .uses_dynamic_stack: false
    .vgpr_count:     0
    .vgpr_spill_count: 0
    .wavefront_size: 64
  - .agpr_count:     0
    .args:
      - .offset:         0
        .size:           48
        .value_kind:     by_value
    .group_segment_fixed_size: 0
    .kernarg_segment_align: 8
    .kernarg_segment_size: 48
    .language:       OpenCL C
    .language_version:
      - 2
      - 0
    .max_flat_workgroup_size: 256
    .name:           _ZN7rocprim17ROCPRIM_400000_NS6detail17trampoline_kernelINS0_14default_configENS1_20scan_config_selectorIdEEZZNS1_9scan_implILNS1_25lookback_scan_determinismE0ELb1ELb1ES3_N6thrust23THRUST_200600_302600_NS6detail15normal_iteratorINS9_10device_ptrIdEEEENS9_16discard_iteratorINS9_11use_defaultEEEdNS9_4plusIvEEdEEDaPvRmT3_T4_T5_mT6_P12ihipStream_tbENKUlT_T0_E_clISt17integral_constantIbLb0EESW_IbLb1EEEEDaSS_ST_EUlSS_E0_NS1_11comp_targetILNS1_3genE9ELNS1_11target_archE1100ELNS1_3gpuE3ELNS1_3repE0EEENS1_30default_config_static_selectorELNS0_4arch9wavefront6targetE1EEEvT1_
    .private_segment_fixed_size: 0
    .sgpr_count:     4
    .sgpr_spill_count: 0
    .symbol:         _ZN7rocprim17ROCPRIM_400000_NS6detail17trampoline_kernelINS0_14default_configENS1_20scan_config_selectorIdEEZZNS1_9scan_implILNS1_25lookback_scan_determinismE0ELb1ELb1ES3_N6thrust23THRUST_200600_302600_NS6detail15normal_iteratorINS9_10device_ptrIdEEEENS9_16discard_iteratorINS9_11use_defaultEEEdNS9_4plusIvEEdEEDaPvRmT3_T4_T5_mT6_P12ihipStream_tbENKUlT_T0_E_clISt17integral_constantIbLb0EESW_IbLb1EEEEDaSS_ST_EUlSS_E0_NS1_11comp_targetILNS1_3genE9ELNS1_11target_archE1100ELNS1_3gpuE3ELNS1_3repE0EEENS1_30default_config_static_selectorELNS0_4arch9wavefront6targetE1EEEvT1_.kd
    .uniform_work_group_size: 1
    .uses_dynamic_stack: false
    .vgpr_count:     0
    .vgpr_spill_count: 0
    .wavefront_size: 64
  - .agpr_count:     0
    .args:
      - .offset:         0
        .size:           48
        .value_kind:     by_value
    .group_segment_fixed_size: 0
    .kernarg_segment_align: 8
    .kernarg_segment_size: 48
    .language:       OpenCL C
    .language_version:
      - 2
      - 0
    .max_flat_workgroup_size: 128
    .name:           _ZN7rocprim17ROCPRIM_400000_NS6detail17trampoline_kernelINS0_14default_configENS1_20scan_config_selectorIdEEZZNS1_9scan_implILNS1_25lookback_scan_determinismE0ELb1ELb1ES3_N6thrust23THRUST_200600_302600_NS6detail15normal_iteratorINS9_10device_ptrIdEEEENS9_16discard_iteratorINS9_11use_defaultEEEdNS9_4plusIvEEdEEDaPvRmT3_T4_T5_mT6_P12ihipStream_tbENKUlT_T0_E_clISt17integral_constantIbLb0EESW_IbLb1EEEEDaSS_ST_EUlSS_E0_NS1_11comp_targetILNS1_3genE8ELNS1_11target_archE1030ELNS1_3gpuE2ELNS1_3repE0EEENS1_30default_config_static_selectorELNS0_4arch9wavefront6targetE1EEEvT1_
    .private_segment_fixed_size: 0
    .sgpr_count:     4
    .sgpr_spill_count: 0
    .symbol:         _ZN7rocprim17ROCPRIM_400000_NS6detail17trampoline_kernelINS0_14default_configENS1_20scan_config_selectorIdEEZZNS1_9scan_implILNS1_25lookback_scan_determinismE0ELb1ELb1ES3_N6thrust23THRUST_200600_302600_NS6detail15normal_iteratorINS9_10device_ptrIdEEEENS9_16discard_iteratorINS9_11use_defaultEEEdNS9_4plusIvEEdEEDaPvRmT3_T4_T5_mT6_P12ihipStream_tbENKUlT_T0_E_clISt17integral_constantIbLb0EESW_IbLb1EEEEDaSS_ST_EUlSS_E0_NS1_11comp_targetILNS1_3genE8ELNS1_11target_archE1030ELNS1_3gpuE2ELNS1_3repE0EEENS1_30default_config_static_selectorELNS0_4arch9wavefront6targetE1EEEvT1_.kd
    .uniform_work_group_size: 1
    .uses_dynamic_stack: false
    .vgpr_count:     0
    .vgpr_spill_count: 0
    .wavefront_size: 64
  - .agpr_count:     0
    .args:
      - .offset:         0
        .size:           104
        .value_kind:     by_value
    .group_segment_fixed_size: 0
    .kernarg_segment_align: 8
    .kernarg_segment_size: 104
    .language:       OpenCL C
    .language_version:
      - 2
      - 0
    .max_flat_workgroup_size: 256
    .name:           _ZN7rocprim17ROCPRIM_400000_NS6detail17trampoline_kernelINS0_14default_configENS1_20scan_config_selectorIfEEZZNS1_9scan_implILNS1_25lookback_scan_determinismE0ELb0ELb0ES3_N6thrust23THRUST_200600_302600_NS6detail15normal_iteratorINS9_10device_ptrIfEEEENS9_16discard_iteratorINS9_11use_defaultEEEfNS9_4plusIvEEfEEDaPvRmT3_T4_T5_mT6_P12ihipStream_tbENKUlT_T0_E_clISt17integral_constantIbLb0EESX_EEDaSS_ST_EUlSS_E_NS1_11comp_targetILNS1_3genE0ELNS1_11target_archE4294967295ELNS1_3gpuE0ELNS1_3repE0EEENS1_30default_config_static_selectorELNS0_4arch9wavefront6targetE1EEEvT1_
    .private_segment_fixed_size: 0
    .sgpr_count:     4
    .sgpr_spill_count: 0
    .symbol:         _ZN7rocprim17ROCPRIM_400000_NS6detail17trampoline_kernelINS0_14default_configENS1_20scan_config_selectorIfEEZZNS1_9scan_implILNS1_25lookback_scan_determinismE0ELb0ELb0ES3_N6thrust23THRUST_200600_302600_NS6detail15normal_iteratorINS9_10device_ptrIfEEEENS9_16discard_iteratorINS9_11use_defaultEEEfNS9_4plusIvEEfEEDaPvRmT3_T4_T5_mT6_P12ihipStream_tbENKUlT_T0_E_clISt17integral_constantIbLb0EESX_EEDaSS_ST_EUlSS_E_NS1_11comp_targetILNS1_3genE0ELNS1_11target_archE4294967295ELNS1_3gpuE0ELNS1_3repE0EEENS1_30default_config_static_selectorELNS0_4arch9wavefront6targetE1EEEvT1_.kd
    .uniform_work_group_size: 1
    .uses_dynamic_stack: false
    .vgpr_count:     0
    .vgpr_spill_count: 0
    .wavefront_size: 64
  - .agpr_count:     0
    .args:
      - .offset:         0
        .size:           104
        .value_kind:     by_value
    .group_segment_fixed_size: 0
    .kernarg_segment_align: 8
    .kernarg_segment_size: 104
    .language:       OpenCL C
    .language_version:
      - 2
      - 0
    .max_flat_workgroup_size: 256
    .name:           _ZN7rocprim17ROCPRIM_400000_NS6detail17trampoline_kernelINS0_14default_configENS1_20scan_config_selectorIfEEZZNS1_9scan_implILNS1_25lookback_scan_determinismE0ELb0ELb0ES3_N6thrust23THRUST_200600_302600_NS6detail15normal_iteratorINS9_10device_ptrIfEEEENS9_16discard_iteratorINS9_11use_defaultEEEfNS9_4plusIvEEfEEDaPvRmT3_T4_T5_mT6_P12ihipStream_tbENKUlT_T0_E_clISt17integral_constantIbLb0EESX_EEDaSS_ST_EUlSS_E_NS1_11comp_targetILNS1_3genE5ELNS1_11target_archE942ELNS1_3gpuE9ELNS1_3repE0EEENS1_30default_config_static_selectorELNS0_4arch9wavefront6targetE1EEEvT1_
    .private_segment_fixed_size: 0
    .sgpr_count:     4
    .sgpr_spill_count: 0
    .symbol:         _ZN7rocprim17ROCPRIM_400000_NS6detail17trampoline_kernelINS0_14default_configENS1_20scan_config_selectorIfEEZZNS1_9scan_implILNS1_25lookback_scan_determinismE0ELb0ELb0ES3_N6thrust23THRUST_200600_302600_NS6detail15normal_iteratorINS9_10device_ptrIfEEEENS9_16discard_iteratorINS9_11use_defaultEEEfNS9_4plusIvEEfEEDaPvRmT3_T4_T5_mT6_P12ihipStream_tbENKUlT_T0_E_clISt17integral_constantIbLb0EESX_EEDaSS_ST_EUlSS_E_NS1_11comp_targetILNS1_3genE5ELNS1_11target_archE942ELNS1_3gpuE9ELNS1_3repE0EEENS1_30default_config_static_selectorELNS0_4arch9wavefront6targetE1EEEvT1_.kd
    .uniform_work_group_size: 1
    .uses_dynamic_stack: false
    .vgpr_count:     0
    .vgpr_spill_count: 0
    .wavefront_size: 64
  - .agpr_count:     0
    .args:
      - .offset:         0
        .size:           104
        .value_kind:     by_value
    .group_segment_fixed_size: 7168
    .kernarg_segment_align: 8
    .kernarg_segment_size: 104
    .language:       OpenCL C
    .language_version:
      - 2
      - 0
    .max_flat_workgroup_size: 128
    .name:           _ZN7rocprim17ROCPRIM_400000_NS6detail17trampoline_kernelINS0_14default_configENS1_20scan_config_selectorIfEEZZNS1_9scan_implILNS1_25lookback_scan_determinismE0ELb0ELb0ES3_N6thrust23THRUST_200600_302600_NS6detail15normal_iteratorINS9_10device_ptrIfEEEENS9_16discard_iteratorINS9_11use_defaultEEEfNS9_4plusIvEEfEEDaPvRmT3_T4_T5_mT6_P12ihipStream_tbENKUlT_T0_E_clISt17integral_constantIbLb0EESX_EEDaSS_ST_EUlSS_E_NS1_11comp_targetILNS1_3genE4ELNS1_11target_archE910ELNS1_3gpuE8ELNS1_3repE0EEENS1_30default_config_static_selectorELNS0_4arch9wavefront6targetE1EEEvT1_
    .private_segment_fixed_size: 0
    .sgpr_count:     28
    .sgpr_spill_count: 0
    .symbol:         _ZN7rocprim17ROCPRIM_400000_NS6detail17trampoline_kernelINS0_14default_configENS1_20scan_config_selectorIfEEZZNS1_9scan_implILNS1_25lookback_scan_determinismE0ELb0ELb0ES3_N6thrust23THRUST_200600_302600_NS6detail15normal_iteratorINS9_10device_ptrIfEEEENS9_16discard_iteratorINS9_11use_defaultEEEfNS9_4plusIvEEfEEDaPvRmT3_T4_T5_mT6_P12ihipStream_tbENKUlT_T0_E_clISt17integral_constantIbLb0EESX_EEDaSS_ST_EUlSS_E_NS1_11comp_targetILNS1_3genE4ELNS1_11target_archE910ELNS1_3gpuE8ELNS1_3repE0EEENS1_30default_config_static_selectorELNS0_4arch9wavefront6targetE1EEEvT1_.kd
    .uniform_work_group_size: 1
    .uses_dynamic_stack: false
    .vgpr_count:     47
    .vgpr_spill_count: 0
    .wavefront_size: 64
  - .agpr_count:     0
    .args:
      - .offset:         0
        .size:           104
        .value_kind:     by_value
    .group_segment_fixed_size: 0
    .kernarg_segment_align: 8
    .kernarg_segment_size: 104
    .language:       OpenCL C
    .language_version:
      - 2
      - 0
    .max_flat_workgroup_size: 256
    .name:           _ZN7rocprim17ROCPRIM_400000_NS6detail17trampoline_kernelINS0_14default_configENS1_20scan_config_selectorIfEEZZNS1_9scan_implILNS1_25lookback_scan_determinismE0ELb0ELb0ES3_N6thrust23THRUST_200600_302600_NS6detail15normal_iteratorINS9_10device_ptrIfEEEENS9_16discard_iteratorINS9_11use_defaultEEEfNS9_4plusIvEEfEEDaPvRmT3_T4_T5_mT6_P12ihipStream_tbENKUlT_T0_E_clISt17integral_constantIbLb0EESX_EEDaSS_ST_EUlSS_E_NS1_11comp_targetILNS1_3genE3ELNS1_11target_archE908ELNS1_3gpuE7ELNS1_3repE0EEENS1_30default_config_static_selectorELNS0_4arch9wavefront6targetE1EEEvT1_
    .private_segment_fixed_size: 0
    .sgpr_count:     4
    .sgpr_spill_count: 0
    .symbol:         _ZN7rocprim17ROCPRIM_400000_NS6detail17trampoline_kernelINS0_14default_configENS1_20scan_config_selectorIfEEZZNS1_9scan_implILNS1_25lookback_scan_determinismE0ELb0ELb0ES3_N6thrust23THRUST_200600_302600_NS6detail15normal_iteratorINS9_10device_ptrIfEEEENS9_16discard_iteratorINS9_11use_defaultEEEfNS9_4plusIvEEfEEDaPvRmT3_T4_T5_mT6_P12ihipStream_tbENKUlT_T0_E_clISt17integral_constantIbLb0EESX_EEDaSS_ST_EUlSS_E_NS1_11comp_targetILNS1_3genE3ELNS1_11target_archE908ELNS1_3gpuE7ELNS1_3repE0EEENS1_30default_config_static_selectorELNS0_4arch9wavefront6targetE1EEEvT1_.kd
    .uniform_work_group_size: 1
    .uses_dynamic_stack: false
    .vgpr_count:     0
    .vgpr_spill_count: 0
    .wavefront_size: 64
  - .agpr_count:     0
    .args:
      - .offset:         0
        .size:           104
        .value_kind:     by_value
    .group_segment_fixed_size: 0
    .kernarg_segment_align: 8
    .kernarg_segment_size: 104
    .language:       OpenCL C
    .language_version:
      - 2
      - 0
    .max_flat_workgroup_size: 256
    .name:           _ZN7rocprim17ROCPRIM_400000_NS6detail17trampoline_kernelINS0_14default_configENS1_20scan_config_selectorIfEEZZNS1_9scan_implILNS1_25lookback_scan_determinismE0ELb0ELb0ES3_N6thrust23THRUST_200600_302600_NS6detail15normal_iteratorINS9_10device_ptrIfEEEENS9_16discard_iteratorINS9_11use_defaultEEEfNS9_4plusIvEEfEEDaPvRmT3_T4_T5_mT6_P12ihipStream_tbENKUlT_T0_E_clISt17integral_constantIbLb0EESX_EEDaSS_ST_EUlSS_E_NS1_11comp_targetILNS1_3genE2ELNS1_11target_archE906ELNS1_3gpuE6ELNS1_3repE0EEENS1_30default_config_static_selectorELNS0_4arch9wavefront6targetE1EEEvT1_
    .private_segment_fixed_size: 0
    .sgpr_count:     4
    .sgpr_spill_count: 0
    .symbol:         _ZN7rocprim17ROCPRIM_400000_NS6detail17trampoline_kernelINS0_14default_configENS1_20scan_config_selectorIfEEZZNS1_9scan_implILNS1_25lookback_scan_determinismE0ELb0ELb0ES3_N6thrust23THRUST_200600_302600_NS6detail15normal_iteratorINS9_10device_ptrIfEEEENS9_16discard_iteratorINS9_11use_defaultEEEfNS9_4plusIvEEfEEDaPvRmT3_T4_T5_mT6_P12ihipStream_tbENKUlT_T0_E_clISt17integral_constantIbLb0EESX_EEDaSS_ST_EUlSS_E_NS1_11comp_targetILNS1_3genE2ELNS1_11target_archE906ELNS1_3gpuE6ELNS1_3repE0EEENS1_30default_config_static_selectorELNS0_4arch9wavefront6targetE1EEEvT1_.kd
    .uniform_work_group_size: 1
    .uses_dynamic_stack: false
    .vgpr_count:     0
    .vgpr_spill_count: 0
    .wavefront_size: 64
  - .agpr_count:     0
    .args:
      - .offset:         0
        .size:           104
        .value_kind:     by_value
    .group_segment_fixed_size: 0
    .kernarg_segment_align: 8
    .kernarg_segment_size: 104
    .language:       OpenCL C
    .language_version:
      - 2
      - 0
    .max_flat_workgroup_size: 256
    .name:           _ZN7rocprim17ROCPRIM_400000_NS6detail17trampoline_kernelINS0_14default_configENS1_20scan_config_selectorIfEEZZNS1_9scan_implILNS1_25lookback_scan_determinismE0ELb0ELb0ES3_N6thrust23THRUST_200600_302600_NS6detail15normal_iteratorINS9_10device_ptrIfEEEENS9_16discard_iteratorINS9_11use_defaultEEEfNS9_4plusIvEEfEEDaPvRmT3_T4_T5_mT6_P12ihipStream_tbENKUlT_T0_E_clISt17integral_constantIbLb0EESX_EEDaSS_ST_EUlSS_E_NS1_11comp_targetILNS1_3genE10ELNS1_11target_archE1201ELNS1_3gpuE5ELNS1_3repE0EEENS1_30default_config_static_selectorELNS0_4arch9wavefront6targetE1EEEvT1_
    .private_segment_fixed_size: 0
    .sgpr_count:     4
    .sgpr_spill_count: 0
    .symbol:         _ZN7rocprim17ROCPRIM_400000_NS6detail17trampoline_kernelINS0_14default_configENS1_20scan_config_selectorIfEEZZNS1_9scan_implILNS1_25lookback_scan_determinismE0ELb0ELb0ES3_N6thrust23THRUST_200600_302600_NS6detail15normal_iteratorINS9_10device_ptrIfEEEENS9_16discard_iteratorINS9_11use_defaultEEEfNS9_4plusIvEEfEEDaPvRmT3_T4_T5_mT6_P12ihipStream_tbENKUlT_T0_E_clISt17integral_constantIbLb0EESX_EEDaSS_ST_EUlSS_E_NS1_11comp_targetILNS1_3genE10ELNS1_11target_archE1201ELNS1_3gpuE5ELNS1_3repE0EEENS1_30default_config_static_selectorELNS0_4arch9wavefront6targetE1EEEvT1_.kd
    .uniform_work_group_size: 1
    .uses_dynamic_stack: false
    .vgpr_count:     0
    .vgpr_spill_count: 0
    .wavefront_size: 64
  - .agpr_count:     0
    .args:
      - .offset:         0
        .size:           104
        .value_kind:     by_value
    .group_segment_fixed_size: 0
    .kernarg_segment_align: 8
    .kernarg_segment_size: 104
    .language:       OpenCL C
    .language_version:
      - 2
      - 0
    .max_flat_workgroup_size: 256
    .name:           _ZN7rocprim17ROCPRIM_400000_NS6detail17trampoline_kernelINS0_14default_configENS1_20scan_config_selectorIfEEZZNS1_9scan_implILNS1_25lookback_scan_determinismE0ELb0ELb0ES3_N6thrust23THRUST_200600_302600_NS6detail15normal_iteratorINS9_10device_ptrIfEEEENS9_16discard_iteratorINS9_11use_defaultEEEfNS9_4plusIvEEfEEDaPvRmT3_T4_T5_mT6_P12ihipStream_tbENKUlT_T0_E_clISt17integral_constantIbLb0EESX_EEDaSS_ST_EUlSS_E_NS1_11comp_targetILNS1_3genE10ELNS1_11target_archE1200ELNS1_3gpuE4ELNS1_3repE0EEENS1_30default_config_static_selectorELNS0_4arch9wavefront6targetE1EEEvT1_
    .private_segment_fixed_size: 0
    .sgpr_count:     4
    .sgpr_spill_count: 0
    .symbol:         _ZN7rocprim17ROCPRIM_400000_NS6detail17trampoline_kernelINS0_14default_configENS1_20scan_config_selectorIfEEZZNS1_9scan_implILNS1_25lookback_scan_determinismE0ELb0ELb0ES3_N6thrust23THRUST_200600_302600_NS6detail15normal_iteratorINS9_10device_ptrIfEEEENS9_16discard_iteratorINS9_11use_defaultEEEfNS9_4plusIvEEfEEDaPvRmT3_T4_T5_mT6_P12ihipStream_tbENKUlT_T0_E_clISt17integral_constantIbLb0EESX_EEDaSS_ST_EUlSS_E_NS1_11comp_targetILNS1_3genE10ELNS1_11target_archE1200ELNS1_3gpuE4ELNS1_3repE0EEENS1_30default_config_static_selectorELNS0_4arch9wavefront6targetE1EEEvT1_.kd
    .uniform_work_group_size: 1
    .uses_dynamic_stack: false
    .vgpr_count:     0
    .vgpr_spill_count: 0
    .wavefront_size: 64
  - .agpr_count:     0
    .args:
      - .offset:         0
        .size:           104
        .value_kind:     by_value
    .group_segment_fixed_size: 0
    .kernarg_segment_align: 8
    .kernarg_segment_size: 104
    .language:       OpenCL C
    .language_version:
      - 2
      - 0
    .max_flat_workgroup_size: 256
    .name:           _ZN7rocprim17ROCPRIM_400000_NS6detail17trampoline_kernelINS0_14default_configENS1_20scan_config_selectorIfEEZZNS1_9scan_implILNS1_25lookback_scan_determinismE0ELb0ELb0ES3_N6thrust23THRUST_200600_302600_NS6detail15normal_iteratorINS9_10device_ptrIfEEEENS9_16discard_iteratorINS9_11use_defaultEEEfNS9_4plusIvEEfEEDaPvRmT3_T4_T5_mT6_P12ihipStream_tbENKUlT_T0_E_clISt17integral_constantIbLb0EESX_EEDaSS_ST_EUlSS_E_NS1_11comp_targetILNS1_3genE9ELNS1_11target_archE1100ELNS1_3gpuE3ELNS1_3repE0EEENS1_30default_config_static_selectorELNS0_4arch9wavefront6targetE1EEEvT1_
    .private_segment_fixed_size: 0
    .sgpr_count:     4
    .sgpr_spill_count: 0
    .symbol:         _ZN7rocprim17ROCPRIM_400000_NS6detail17trampoline_kernelINS0_14default_configENS1_20scan_config_selectorIfEEZZNS1_9scan_implILNS1_25lookback_scan_determinismE0ELb0ELb0ES3_N6thrust23THRUST_200600_302600_NS6detail15normal_iteratorINS9_10device_ptrIfEEEENS9_16discard_iteratorINS9_11use_defaultEEEfNS9_4plusIvEEfEEDaPvRmT3_T4_T5_mT6_P12ihipStream_tbENKUlT_T0_E_clISt17integral_constantIbLb0EESX_EEDaSS_ST_EUlSS_E_NS1_11comp_targetILNS1_3genE9ELNS1_11target_archE1100ELNS1_3gpuE3ELNS1_3repE0EEENS1_30default_config_static_selectorELNS0_4arch9wavefront6targetE1EEEvT1_.kd
    .uniform_work_group_size: 1
    .uses_dynamic_stack: false
    .vgpr_count:     0
    .vgpr_spill_count: 0
    .wavefront_size: 64
  - .agpr_count:     0
    .args:
      - .offset:         0
        .size:           104
        .value_kind:     by_value
    .group_segment_fixed_size: 0
    .kernarg_segment_align: 8
    .kernarg_segment_size: 104
    .language:       OpenCL C
    .language_version:
      - 2
      - 0
    .max_flat_workgroup_size: 64
    .name:           _ZN7rocprim17ROCPRIM_400000_NS6detail17trampoline_kernelINS0_14default_configENS1_20scan_config_selectorIfEEZZNS1_9scan_implILNS1_25lookback_scan_determinismE0ELb0ELb0ES3_N6thrust23THRUST_200600_302600_NS6detail15normal_iteratorINS9_10device_ptrIfEEEENS9_16discard_iteratorINS9_11use_defaultEEEfNS9_4plusIvEEfEEDaPvRmT3_T4_T5_mT6_P12ihipStream_tbENKUlT_T0_E_clISt17integral_constantIbLb0EESX_EEDaSS_ST_EUlSS_E_NS1_11comp_targetILNS1_3genE8ELNS1_11target_archE1030ELNS1_3gpuE2ELNS1_3repE0EEENS1_30default_config_static_selectorELNS0_4arch9wavefront6targetE1EEEvT1_
    .private_segment_fixed_size: 0
    .sgpr_count:     4
    .sgpr_spill_count: 0
    .symbol:         _ZN7rocprim17ROCPRIM_400000_NS6detail17trampoline_kernelINS0_14default_configENS1_20scan_config_selectorIfEEZZNS1_9scan_implILNS1_25lookback_scan_determinismE0ELb0ELb0ES3_N6thrust23THRUST_200600_302600_NS6detail15normal_iteratorINS9_10device_ptrIfEEEENS9_16discard_iteratorINS9_11use_defaultEEEfNS9_4plusIvEEfEEDaPvRmT3_T4_T5_mT6_P12ihipStream_tbENKUlT_T0_E_clISt17integral_constantIbLb0EESX_EEDaSS_ST_EUlSS_E_NS1_11comp_targetILNS1_3genE8ELNS1_11target_archE1030ELNS1_3gpuE2ELNS1_3repE0EEENS1_30default_config_static_selectorELNS0_4arch9wavefront6targetE1EEEvT1_.kd
    .uniform_work_group_size: 1
    .uses_dynamic_stack: false
    .vgpr_count:     0
    .vgpr_spill_count: 0
    .wavefront_size: 64
  - .agpr_count:     0
    .args:
      - .offset:         0
        .size:           40
        .value_kind:     by_value
    .group_segment_fixed_size: 0
    .kernarg_segment_align: 8
    .kernarg_segment_size: 40
    .language:       OpenCL C
    .language_version:
      - 2
      - 0
    .max_flat_workgroup_size: 256
    .name:           _ZN7rocprim17ROCPRIM_400000_NS6detail17trampoline_kernelINS0_14default_configENS1_20scan_config_selectorIfEEZZNS1_9scan_implILNS1_25lookback_scan_determinismE0ELb0ELb0ES3_N6thrust23THRUST_200600_302600_NS6detail15normal_iteratorINS9_10device_ptrIfEEEENS9_16discard_iteratorINS9_11use_defaultEEEfNS9_4plusIvEEfEEDaPvRmT3_T4_T5_mT6_P12ihipStream_tbENKUlT_T0_E_clISt17integral_constantIbLb0EESX_EEDaSS_ST_EUlSS_E0_NS1_11comp_targetILNS1_3genE0ELNS1_11target_archE4294967295ELNS1_3gpuE0ELNS1_3repE0EEENS1_30default_config_static_selectorELNS0_4arch9wavefront6targetE1EEEvT1_
    .private_segment_fixed_size: 0
    .sgpr_count:     4
    .sgpr_spill_count: 0
    .symbol:         _ZN7rocprim17ROCPRIM_400000_NS6detail17trampoline_kernelINS0_14default_configENS1_20scan_config_selectorIfEEZZNS1_9scan_implILNS1_25lookback_scan_determinismE0ELb0ELb0ES3_N6thrust23THRUST_200600_302600_NS6detail15normal_iteratorINS9_10device_ptrIfEEEENS9_16discard_iteratorINS9_11use_defaultEEEfNS9_4plusIvEEfEEDaPvRmT3_T4_T5_mT6_P12ihipStream_tbENKUlT_T0_E_clISt17integral_constantIbLb0EESX_EEDaSS_ST_EUlSS_E0_NS1_11comp_targetILNS1_3genE0ELNS1_11target_archE4294967295ELNS1_3gpuE0ELNS1_3repE0EEENS1_30default_config_static_selectorELNS0_4arch9wavefront6targetE1EEEvT1_.kd
    .uniform_work_group_size: 1
    .uses_dynamic_stack: false
    .vgpr_count:     0
    .vgpr_spill_count: 0
    .wavefront_size: 64
  - .agpr_count:     0
    .args:
      - .offset:         0
        .size:           40
        .value_kind:     by_value
    .group_segment_fixed_size: 0
    .kernarg_segment_align: 8
    .kernarg_segment_size: 40
    .language:       OpenCL C
    .language_version:
      - 2
      - 0
    .max_flat_workgroup_size: 256
    .name:           _ZN7rocprim17ROCPRIM_400000_NS6detail17trampoline_kernelINS0_14default_configENS1_20scan_config_selectorIfEEZZNS1_9scan_implILNS1_25lookback_scan_determinismE0ELb0ELb0ES3_N6thrust23THRUST_200600_302600_NS6detail15normal_iteratorINS9_10device_ptrIfEEEENS9_16discard_iteratorINS9_11use_defaultEEEfNS9_4plusIvEEfEEDaPvRmT3_T4_T5_mT6_P12ihipStream_tbENKUlT_T0_E_clISt17integral_constantIbLb0EESX_EEDaSS_ST_EUlSS_E0_NS1_11comp_targetILNS1_3genE5ELNS1_11target_archE942ELNS1_3gpuE9ELNS1_3repE0EEENS1_30default_config_static_selectorELNS0_4arch9wavefront6targetE1EEEvT1_
    .private_segment_fixed_size: 0
    .sgpr_count:     4
    .sgpr_spill_count: 0
    .symbol:         _ZN7rocprim17ROCPRIM_400000_NS6detail17trampoline_kernelINS0_14default_configENS1_20scan_config_selectorIfEEZZNS1_9scan_implILNS1_25lookback_scan_determinismE0ELb0ELb0ES3_N6thrust23THRUST_200600_302600_NS6detail15normal_iteratorINS9_10device_ptrIfEEEENS9_16discard_iteratorINS9_11use_defaultEEEfNS9_4plusIvEEfEEDaPvRmT3_T4_T5_mT6_P12ihipStream_tbENKUlT_T0_E_clISt17integral_constantIbLb0EESX_EEDaSS_ST_EUlSS_E0_NS1_11comp_targetILNS1_3genE5ELNS1_11target_archE942ELNS1_3gpuE9ELNS1_3repE0EEENS1_30default_config_static_selectorELNS0_4arch9wavefront6targetE1EEEvT1_.kd
    .uniform_work_group_size: 1
    .uses_dynamic_stack: false
    .vgpr_count:     0
    .vgpr_spill_count: 0
    .wavefront_size: 64
  - .agpr_count:     0
    .args:
      - .offset:         0
        .size:           40
        .value_kind:     by_value
    .group_segment_fixed_size: 7168
    .kernarg_segment_align: 8
    .kernarg_segment_size: 40
    .language:       OpenCL C
    .language_version:
      - 2
      - 0
    .max_flat_workgroup_size: 128
    .name:           _ZN7rocprim17ROCPRIM_400000_NS6detail17trampoline_kernelINS0_14default_configENS1_20scan_config_selectorIfEEZZNS1_9scan_implILNS1_25lookback_scan_determinismE0ELb0ELb0ES3_N6thrust23THRUST_200600_302600_NS6detail15normal_iteratorINS9_10device_ptrIfEEEENS9_16discard_iteratorINS9_11use_defaultEEEfNS9_4plusIvEEfEEDaPvRmT3_T4_T5_mT6_P12ihipStream_tbENKUlT_T0_E_clISt17integral_constantIbLb0EESX_EEDaSS_ST_EUlSS_E0_NS1_11comp_targetILNS1_3genE4ELNS1_11target_archE910ELNS1_3gpuE8ELNS1_3repE0EEENS1_30default_config_static_selectorELNS0_4arch9wavefront6targetE1EEEvT1_
    .private_segment_fixed_size: 0
    .sgpr_count:     10
    .sgpr_spill_count: 0
    .symbol:         _ZN7rocprim17ROCPRIM_400000_NS6detail17trampoline_kernelINS0_14default_configENS1_20scan_config_selectorIfEEZZNS1_9scan_implILNS1_25lookback_scan_determinismE0ELb0ELb0ES3_N6thrust23THRUST_200600_302600_NS6detail15normal_iteratorINS9_10device_ptrIfEEEENS9_16discard_iteratorINS9_11use_defaultEEEfNS9_4plusIvEEfEEDaPvRmT3_T4_T5_mT6_P12ihipStream_tbENKUlT_T0_E_clISt17integral_constantIbLb0EESX_EEDaSS_ST_EUlSS_E0_NS1_11comp_targetILNS1_3genE4ELNS1_11target_archE910ELNS1_3gpuE8ELNS1_3repE0EEENS1_30default_config_static_selectorELNS0_4arch9wavefront6targetE1EEEvT1_.kd
    .uniform_work_group_size: 1
    .uses_dynamic_stack: false
    .vgpr_count:     36
    .vgpr_spill_count: 0
    .wavefront_size: 64
  - .agpr_count:     0
    .args:
      - .offset:         0
        .size:           40
        .value_kind:     by_value
    .group_segment_fixed_size: 0
    .kernarg_segment_align: 8
    .kernarg_segment_size: 40
    .language:       OpenCL C
    .language_version:
      - 2
      - 0
    .max_flat_workgroup_size: 256
    .name:           _ZN7rocprim17ROCPRIM_400000_NS6detail17trampoline_kernelINS0_14default_configENS1_20scan_config_selectorIfEEZZNS1_9scan_implILNS1_25lookback_scan_determinismE0ELb0ELb0ES3_N6thrust23THRUST_200600_302600_NS6detail15normal_iteratorINS9_10device_ptrIfEEEENS9_16discard_iteratorINS9_11use_defaultEEEfNS9_4plusIvEEfEEDaPvRmT3_T4_T5_mT6_P12ihipStream_tbENKUlT_T0_E_clISt17integral_constantIbLb0EESX_EEDaSS_ST_EUlSS_E0_NS1_11comp_targetILNS1_3genE3ELNS1_11target_archE908ELNS1_3gpuE7ELNS1_3repE0EEENS1_30default_config_static_selectorELNS0_4arch9wavefront6targetE1EEEvT1_
    .private_segment_fixed_size: 0
    .sgpr_count:     4
    .sgpr_spill_count: 0
    .symbol:         _ZN7rocprim17ROCPRIM_400000_NS6detail17trampoline_kernelINS0_14default_configENS1_20scan_config_selectorIfEEZZNS1_9scan_implILNS1_25lookback_scan_determinismE0ELb0ELb0ES3_N6thrust23THRUST_200600_302600_NS6detail15normal_iteratorINS9_10device_ptrIfEEEENS9_16discard_iteratorINS9_11use_defaultEEEfNS9_4plusIvEEfEEDaPvRmT3_T4_T5_mT6_P12ihipStream_tbENKUlT_T0_E_clISt17integral_constantIbLb0EESX_EEDaSS_ST_EUlSS_E0_NS1_11comp_targetILNS1_3genE3ELNS1_11target_archE908ELNS1_3gpuE7ELNS1_3repE0EEENS1_30default_config_static_selectorELNS0_4arch9wavefront6targetE1EEEvT1_.kd
    .uniform_work_group_size: 1
    .uses_dynamic_stack: false
    .vgpr_count:     0
    .vgpr_spill_count: 0
    .wavefront_size: 64
  - .agpr_count:     0
    .args:
      - .offset:         0
        .size:           40
        .value_kind:     by_value
    .group_segment_fixed_size: 0
    .kernarg_segment_align: 8
    .kernarg_segment_size: 40
    .language:       OpenCL C
    .language_version:
      - 2
      - 0
    .max_flat_workgroup_size: 256
    .name:           _ZN7rocprim17ROCPRIM_400000_NS6detail17trampoline_kernelINS0_14default_configENS1_20scan_config_selectorIfEEZZNS1_9scan_implILNS1_25lookback_scan_determinismE0ELb0ELb0ES3_N6thrust23THRUST_200600_302600_NS6detail15normal_iteratorINS9_10device_ptrIfEEEENS9_16discard_iteratorINS9_11use_defaultEEEfNS9_4plusIvEEfEEDaPvRmT3_T4_T5_mT6_P12ihipStream_tbENKUlT_T0_E_clISt17integral_constantIbLb0EESX_EEDaSS_ST_EUlSS_E0_NS1_11comp_targetILNS1_3genE2ELNS1_11target_archE906ELNS1_3gpuE6ELNS1_3repE0EEENS1_30default_config_static_selectorELNS0_4arch9wavefront6targetE1EEEvT1_
    .private_segment_fixed_size: 0
    .sgpr_count:     4
    .sgpr_spill_count: 0
    .symbol:         _ZN7rocprim17ROCPRIM_400000_NS6detail17trampoline_kernelINS0_14default_configENS1_20scan_config_selectorIfEEZZNS1_9scan_implILNS1_25lookback_scan_determinismE0ELb0ELb0ES3_N6thrust23THRUST_200600_302600_NS6detail15normal_iteratorINS9_10device_ptrIfEEEENS9_16discard_iteratorINS9_11use_defaultEEEfNS9_4plusIvEEfEEDaPvRmT3_T4_T5_mT6_P12ihipStream_tbENKUlT_T0_E_clISt17integral_constantIbLb0EESX_EEDaSS_ST_EUlSS_E0_NS1_11comp_targetILNS1_3genE2ELNS1_11target_archE906ELNS1_3gpuE6ELNS1_3repE0EEENS1_30default_config_static_selectorELNS0_4arch9wavefront6targetE1EEEvT1_.kd
    .uniform_work_group_size: 1
    .uses_dynamic_stack: false
    .vgpr_count:     0
    .vgpr_spill_count: 0
    .wavefront_size: 64
  - .agpr_count:     0
    .args:
      - .offset:         0
        .size:           40
        .value_kind:     by_value
    .group_segment_fixed_size: 0
    .kernarg_segment_align: 8
    .kernarg_segment_size: 40
    .language:       OpenCL C
    .language_version:
      - 2
      - 0
    .max_flat_workgroup_size: 256
    .name:           _ZN7rocprim17ROCPRIM_400000_NS6detail17trampoline_kernelINS0_14default_configENS1_20scan_config_selectorIfEEZZNS1_9scan_implILNS1_25lookback_scan_determinismE0ELb0ELb0ES3_N6thrust23THRUST_200600_302600_NS6detail15normal_iteratorINS9_10device_ptrIfEEEENS9_16discard_iteratorINS9_11use_defaultEEEfNS9_4plusIvEEfEEDaPvRmT3_T4_T5_mT6_P12ihipStream_tbENKUlT_T0_E_clISt17integral_constantIbLb0EESX_EEDaSS_ST_EUlSS_E0_NS1_11comp_targetILNS1_3genE10ELNS1_11target_archE1201ELNS1_3gpuE5ELNS1_3repE0EEENS1_30default_config_static_selectorELNS0_4arch9wavefront6targetE1EEEvT1_
    .private_segment_fixed_size: 0
    .sgpr_count:     4
    .sgpr_spill_count: 0
    .symbol:         _ZN7rocprim17ROCPRIM_400000_NS6detail17trampoline_kernelINS0_14default_configENS1_20scan_config_selectorIfEEZZNS1_9scan_implILNS1_25lookback_scan_determinismE0ELb0ELb0ES3_N6thrust23THRUST_200600_302600_NS6detail15normal_iteratorINS9_10device_ptrIfEEEENS9_16discard_iteratorINS9_11use_defaultEEEfNS9_4plusIvEEfEEDaPvRmT3_T4_T5_mT6_P12ihipStream_tbENKUlT_T0_E_clISt17integral_constantIbLb0EESX_EEDaSS_ST_EUlSS_E0_NS1_11comp_targetILNS1_3genE10ELNS1_11target_archE1201ELNS1_3gpuE5ELNS1_3repE0EEENS1_30default_config_static_selectorELNS0_4arch9wavefront6targetE1EEEvT1_.kd
    .uniform_work_group_size: 1
    .uses_dynamic_stack: false
    .vgpr_count:     0
    .vgpr_spill_count: 0
    .wavefront_size: 64
  - .agpr_count:     0
    .args:
      - .offset:         0
        .size:           40
        .value_kind:     by_value
    .group_segment_fixed_size: 0
    .kernarg_segment_align: 8
    .kernarg_segment_size: 40
    .language:       OpenCL C
    .language_version:
      - 2
      - 0
    .max_flat_workgroup_size: 256
    .name:           _ZN7rocprim17ROCPRIM_400000_NS6detail17trampoline_kernelINS0_14default_configENS1_20scan_config_selectorIfEEZZNS1_9scan_implILNS1_25lookback_scan_determinismE0ELb0ELb0ES3_N6thrust23THRUST_200600_302600_NS6detail15normal_iteratorINS9_10device_ptrIfEEEENS9_16discard_iteratorINS9_11use_defaultEEEfNS9_4plusIvEEfEEDaPvRmT3_T4_T5_mT6_P12ihipStream_tbENKUlT_T0_E_clISt17integral_constantIbLb0EESX_EEDaSS_ST_EUlSS_E0_NS1_11comp_targetILNS1_3genE10ELNS1_11target_archE1200ELNS1_3gpuE4ELNS1_3repE0EEENS1_30default_config_static_selectorELNS0_4arch9wavefront6targetE1EEEvT1_
    .private_segment_fixed_size: 0
    .sgpr_count:     4
    .sgpr_spill_count: 0
    .symbol:         _ZN7rocprim17ROCPRIM_400000_NS6detail17trampoline_kernelINS0_14default_configENS1_20scan_config_selectorIfEEZZNS1_9scan_implILNS1_25lookback_scan_determinismE0ELb0ELb0ES3_N6thrust23THRUST_200600_302600_NS6detail15normal_iteratorINS9_10device_ptrIfEEEENS9_16discard_iteratorINS9_11use_defaultEEEfNS9_4plusIvEEfEEDaPvRmT3_T4_T5_mT6_P12ihipStream_tbENKUlT_T0_E_clISt17integral_constantIbLb0EESX_EEDaSS_ST_EUlSS_E0_NS1_11comp_targetILNS1_3genE10ELNS1_11target_archE1200ELNS1_3gpuE4ELNS1_3repE0EEENS1_30default_config_static_selectorELNS0_4arch9wavefront6targetE1EEEvT1_.kd
    .uniform_work_group_size: 1
    .uses_dynamic_stack: false
    .vgpr_count:     0
    .vgpr_spill_count: 0
    .wavefront_size: 64
  - .agpr_count:     0
    .args:
      - .offset:         0
        .size:           40
        .value_kind:     by_value
    .group_segment_fixed_size: 0
    .kernarg_segment_align: 8
    .kernarg_segment_size: 40
    .language:       OpenCL C
    .language_version:
      - 2
      - 0
    .max_flat_workgroup_size: 256
    .name:           _ZN7rocprim17ROCPRIM_400000_NS6detail17trampoline_kernelINS0_14default_configENS1_20scan_config_selectorIfEEZZNS1_9scan_implILNS1_25lookback_scan_determinismE0ELb0ELb0ES3_N6thrust23THRUST_200600_302600_NS6detail15normal_iteratorINS9_10device_ptrIfEEEENS9_16discard_iteratorINS9_11use_defaultEEEfNS9_4plusIvEEfEEDaPvRmT3_T4_T5_mT6_P12ihipStream_tbENKUlT_T0_E_clISt17integral_constantIbLb0EESX_EEDaSS_ST_EUlSS_E0_NS1_11comp_targetILNS1_3genE9ELNS1_11target_archE1100ELNS1_3gpuE3ELNS1_3repE0EEENS1_30default_config_static_selectorELNS0_4arch9wavefront6targetE1EEEvT1_
    .private_segment_fixed_size: 0
    .sgpr_count:     4
    .sgpr_spill_count: 0
    .symbol:         _ZN7rocprim17ROCPRIM_400000_NS6detail17trampoline_kernelINS0_14default_configENS1_20scan_config_selectorIfEEZZNS1_9scan_implILNS1_25lookback_scan_determinismE0ELb0ELb0ES3_N6thrust23THRUST_200600_302600_NS6detail15normal_iteratorINS9_10device_ptrIfEEEENS9_16discard_iteratorINS9_11use_defaultEEEfNS9_4plusIvEEfEEDaPvRmT3_T4_T5_mT6_P12ihipStream_tbENKUlT_T0_E_clISt17integral_constantIbLb0EESX_EEDaSS_ST_EUlSS_E0_NS1_11comp_targetILNS1_3genE9ELNS1_11target_archE1100ELNS1_3gpuE3ELNS1_3repE0EEENS1_30default_config_static_selectorELNS0_4arch9wavefront6targetE1EEEvT1_.kd
    .uniform_work_group_size: 1
    .uses_dynamic_stack: false
    .vgpr_count:     0
    .vgpr_spill_count: 0
    .wavefront_size: 64
  - .agpr_count:     0
    .args:
      - .offset:         0
        .size:           40
        .value_kind:     by_value
    .group_segment_fixed_size: 0
    .kernarg_segment_align: 8
    .kernarg_segment_size: 40
    .language:       OpenCL C
    .language_version:
      - 2
      - 0
    .max_flat_workgroup_size: 64
    .name:           _ZN7rocprim17ROCPRIM_400000_NS6detail17trampoline_kernelINS0_14default_configENS1_20scan_config_selectorIfEEZZNS1_9scan_implILNS1_25lookback_scan_determinismE0ELb0ELb0ES3_N6thrust23THRUST_200600_302600_NS6detail15normal_iteratorINS9_10device_ptrIfEEEENS9_16discard_iteratorINS9_11use_defaultEEEfNS9_4plusIvEEfEEDaPvRmT3_T4_T5_mT6_P12ihipStream_tbENKUlT_T0_E_clISt17integral_constantIbLb0EESX_EEDaSS_ST_EUlSS_E0_NS1_11comp_targetILNS1_3genE8ELNS1_11target_archE1030ELNS1_3gpuE2ELNS1_3repE0EEENS1_30default_config_static_selectorELNS0_4arch9wavefront6targetE1EEEvT1_
    .private_segment_fixed_size: 0
    .sgpr_count:     4
    .sgpr_spill_count: 0
    .symbol:         _ZN7rocprim17ROCPRIM_400000_NS6detail17trampoline_kernelINS0_14default_configENS1_20scan_config_selectorIfEEZZNS1_9scan_implILNS1_25lookback_scan_determinismE0ELb0ELb0ES3_N6thrust23THRUST_200600_302600_NS6detail15normal_iteratorINS9_10device_ptrIfEEEENS9_16discard_iteratorINS9_11use_defaultEEEfNS9_4plusIvEEfEEDaPvRmT3_T4_T5_mT6_P12ihipStream_tbENKUlT_T0_E_clISt17integral_constantIbLb0EESX_EEDaSS_ST_EUlSS_E0_NS1_11comp_targetILNS1_3genE8ELNS1_11target_archE1030ELNS1_3gpuE2ELNS1_3repE0EEENS1_30default_config_static_selectorELNS0_4arch9wavefront6targetE1EEEvT1_.kd
    .uniform_work_group_size: 1
    .uses_dynamic_stack: false
    .vgpr_count:     0
    .vgpr_spill_count: 0
    .wavefront_size: 64
  - .agpr_count:     0
    .args:
      - .offset:         0
        .size:           104
        .value_kind:     by_value
    .group_segment_fixed_size: 0
    .kernarg_segment_align: 8
    .kernarg_segment_size: 104
    .language:       OpenCL C
    .language_version:
      - 2
      - 0
    .max_flat_workgroup_size: 256
    .name:           _ZN7rocprim17ROCPRIM_400000_NS6detail17trampoline_kernelINS0_14default_configENS1_20scan_config_selectorIfEEZZNS1_9scan_implILNS1_25lookback_scan_determinismE0ELb0ELb0ES3_N6thrust23THRUST_200600_302600_NS6detail15normal_iteratorINS9_10device_ptrIfEEEENS9_16discard_iteratorINS9_11use_defaultEEEfNS9_4plusIvEEfEEDaPvRmT3_T4_T5_mT6_P12ihipStream_tbENKUlT_T0_E_clISt17integral_constantIbLb1EESX_EEDaSS_ST_EUlSS_E_NS1_11comp_targetILNS1_3genE0ELNS1_11target_archE4294967295ELNS1_3gpuE0ELNS1_3repE0EEENS1_30default_config_static_selectorELNS0_4arch9wavefront6targetE1EEEvT1_
    .private_segment_fixed_size: 0
    .sgpr_count:     4
    .sgpr_spill_count: 0
    .symbol:         _ZN7rocprim17ROCPRIM_400000_NS6detail17trampoline_kernelINS0_14default_configENS1_20scan_config_selectorIfEEZZNS1_9scan_implILNS1_25lookback_scan_determinismE0ELb0ELb0ES3_N6thrust23THRUST_200600_302600_NS6detail15normal_iteratorINS9_10device_ptrIfEEEENS9_16discard_iteratorINS9_11use_defaultEEEfNS9_4plusIvEEfEEDaPvRmT3_T4_T5_mT6_P12ihipStream_tbENKUlT_T0_E_clISt17integral_constantIbLb1EESX_EEDaSS_ST_EUlSS_E_NS1_11comp_targetILNS1_3genE0ELNS1_11target_archE4294967295ELNS1_3gpuE0ELNS1_3repE0EEENS1_30default_config_static_selectorELNS0_4arch9wavefront6targetE1EEEvT1_.kd
    .uniform_work_group_size: 1
    .uses_dynamic_stack: false
    .vgpr_count:     0
    .vgpr_spill_count: 0
    .wavefront_size: 64
  - .agpr_count:     0
    .args:
      - .offset:         0
        .size:           104
        .value_kind:     by_value
    .group_segment_fixed_size: 0
    .kernarg_segment_align: 8
    .kernarg_segment_size: 104
    .language:       OpenCL C
    .language_version:
      - 2
      - 0
    .max_flat_workgroup_size: 256
    .name:           _ZN7rocprim17ROCPRIM_400000_NS6detail17trampoline_kernelINS0_14default_configENS1_20scan_config_selectorIfEEZZNS1_9scan_implILNS1_25lookback_scan_determinismE0ELb0ELb0ES3_N6thrust23THRUST_200600_302600_NS6detail15normal_iteratorINS9_10device_ptrIfEEEENS9_16discard_iteratorINS9_11use_defaultEEEfNS9_4plusIvEEfEEDaPvRmT3_T4_T5_mT6_P12ihipStream_tbENKUlT_T0_E_clISt17integral_constantIbLb1EESX_EEDaSS_ST_EUlSS_E_NS1_11comp_targetILNS1_3genE5ELNS1_11target_archE942ELNS1_3gpuE9ELNS1_3repE0EEENS1_30default_config_static_selectorELNS0_4arch9wavefront6targetE1EEEvT1_
    .private_segment_fixed_size: 0
    .sgpr_count:     4
    .sgpr_spill_count: 0
    .symbol:         _ZN7rocprim17ROCPRIM_400000_NS6detail17trampoline_kernelINS0_14default_configENS1_20scan_config_selectorIfEEZZNS1_9scan_implILNS1_25lookback_scan_determinismE0ELb0ELb0ES3_N6thrust23THRUST_200600_302600_NS6detail15normal_iteratorINS9_10device_ptrIfEEEENS9_16discard_iteratorINS9_11use_defaultEEEfNS9_4plusIvEEfEEDaPvRmT3_T4_T5_mT6_P12ihipStream_tbENKUlT_T0_E_clISt17integral_constantIbLb1EESX_EEDaSS_ST_EUlSS_E_NS1_11comp_targetILNS1_3genE5ELNS1_11target_archE942ELNS1_3gpuE9ELNS1_3repE0EEENS1_30default_config_static_selectorELNS0_4arch9wavefront6targetE1EEEvT1_.kd
    .uniform_work_group_size: 1
    .uses_dynamic_stack: false
    .vgpr_count:     0
    .vgpr_spill_count: 0
    .wavefront_size: 64
  - .agpr_count:     0
    .args:
      - .offset:         0
        .size:           104
        .value_kind:     by_value
    .group_segment_fixed_size: 7168
    .kernarg_segment_align: 8
    .kernarg_segment_size: 104
    .language:       OpenCL C
    .language_version:
      - 2
      - 0
    .max_flat_workgroup_size: 128
    .name:           _ZN7rocprim17ROCPRIM_400000_NS6detail17trampoline_kernelINS0_14default_configENS1_20scan_config_selectorIfEEZZNS1_9scan_implILNS1_25lookback_scan_determinismE0ELb0ELb0ES3_N6thrust23THRUST_200600_302600_NS6detail15normal_iteratorINS9_10device_ptrIfEEEENS9_16discard_iteratorINS9_11use_defaultEEEfNS9_4plusIvEEfEEDaPvRmT3_T4_T5_mT6_P12ihipStream_tbENKUlT_T0_E_clISt17integral_constantIbLb1EESX_EEDaSS_ST_EUlSS_E_NS1_11comp_targetILNS1_3genE4ELNS1_11target_archE910ELNS1_3gpuE8ELNS1_3repE0EEENS1_30default_config_static_selectorELNS0_4arch9wavefront6targetE1EEEvT1_
    .private_segment_fixed_size: 0
    .sgpr_count:     35
    .sgpr_spill_count: 0
    .symbol:         _ZN7rocprim17ROCPRIM_400000_NS6detail17trampoline_kernelINS0_14default_configENS1_20scan_config_selectorIfEEZZNS1_9scan_implILNS1_25lookback_scan_determinismE0ELb0ELb0ES3_N6thrust23THRUST_200600_302600_NS6detail15normal_iteratorINS9_10device_ptrIfEEEENS9_16discard_iteratorINS9_11use_defaultEEEfNS9_4plusIvEEfEEDaPvRmT3_T4_T5_mT6_P12ihipStream_tbENKUlT_T0_E_clISt17integral_constantIbLb1EESX_EEDaSS_ST_EUlSS_E_NS1_11comp_targetILNS1_3genE4ELNS1_11target_archE910ELNS1_3gpuE8ELNS1_3repE0EEENS1_30default_config_static_selectorELNS0_4arch9wavefront6targetE1EEEvT1_.kd
    .uniform_work_group_size: 1
    .uses_dynamic_stack: false
    .vgpr_count:     47
    .vgpr_spill_count: 0
    .wavefront_size: 64
  - .agpr_count:     0
    .args:
      - .offset:         0
        .size:           104
        .value_kind:     by_value
    .group_segment_fixed_size: 0
    .kernarg_segment_align: 8
    .kernarg_segment_size: 104
    .language:       OpenCL C
    .language_version:
      - 2
      - 0
    .max_flat_workgroup_size: 256
    .name:           _ZN7rocprim17ROCPRIM_400000_NS6detail17trampoline_kernelINS0_14default_configENS1_20scan_config_selectorIfEEZZNS1_9scan_implILNS1_25lookback_scan_determinismE0ELb0ELb0ES3_N6thrust23THRUST_200600_302600_NS6detail15normal_iteratorINS9_10device_ptrIfEEEENS9_16discard_iteratorINS9_11use_defaultEEEfNS9_4plusIvEEfEEDaPvRmT3_T4_T5_mT6_P12ihipStream_tbENKUlT_T0_E_clISt17integral_constantIbLb1EESX_EEDaSS_ST_EUlSS_E_NS1_11comp_targetILNS1_3genE3ELNS1_11target_archE908ELNS1_3gpuE7ELNS1_3repE0EEENS1_30default_config_static_selectorELNS0_4arch9wavefront6targetE1EEEvT1_
    .private_segment_fixed_size: 0
    .sgpr_count:     4
    .sgpr_spill_count: 0
    .symbol:         _ZN7rocprim17ROCPRIM_400000_NS6detail17trampoline_kernelINS0_14default_configENS1_20scan_config_selectorIfEEZZNS1_9scan_implILNS1_25lookback_scan_determinismE0ELb0ELb0ES3_N6thrust23THRUST_200600_302600_NS6detail15normal_iteratorINS9_10device_ptrIfEEEENS9_16discard_iteratorINS9_11use_defaultEEEfNS9_4plusIvEEfEEDaPvRmT3_T4_T5_mT6_P12ihipStream_tbENKUlT_T0_E_clISt17integral_constantIbLb1EESX_EEDaSS_ST_EUlSS_E_NS1_11comp_targetILNS1_3genE3ELNS1_11target_archE908ELNS1_3gpuE7ELNS1_3repE0EEENS1_30default_config_static_selectorELNS0_4arch9wavefront6targetE1EEEvT1_.kd
    .uniform_work_group_size: 1
    .uses_dynamic_stack: false
    .vgpr_count:     0
    .vgpr_spill_count: 0
    .wavefront_size: 64
  - .agpr_count:     0
    .args:
      - .offset:         0
        .size:           104
        .value_kind:     by_value
    .group_segment_fixed_size: 0
    .kernarg_segment_align: 8
    .kernarg_segment_size: 104
    .language:       OpenCL C
    .language_version:
      - 2
      - 0
    .max_flat_workgroup_size: 256
    .name:           _ZN7rocprim17ROCPRIM_400000_NS6detail17trampoline_kernelINS0_14default_configENS1_20scan_config_selectorIfEEZZNS1_9scan_implILNS1_25lookback_scan_determinismE0ELb0ELb0ES3_N6thrust23THRUST_200600_302600_NS6detail15normal_iteratorINS9_10device_ptrIfEEEENS9_16discard_iteratorINS9_11use_defaultEEEfNS9_4plusIvEEfEEDaPvRmT3_T4_T5_mT6_P12ihipStream_tbENKUlT_T0_E_clISt17integral_constantIbLb1EESX_EEDaSS_ST_EUlSS_E_NS1_11comp_targetILNS1_3genE2ELNS1_11target_archE906ELNS1_3gpuE6ELNS1_3repE0EEENS1_30default_config_static_selectorELNS0_4arch9wavefront6targetE1EEEvT1_
    .private_segment_fixed_size: 0
    .sgpr_count:     4
    .sgpr_spill_count: 0
    .symbol:         _ZN7rocprim17ROCPRIM_400000_NS6detail17trampoline_kernelINS0_14default_configENS1_20scan_config_selectorIfEEZZNS1_9scan_implILNS1_25lookback_scan_determinismE0ELb0ELb0ES3_N6thrust23THRUST_200600_302600_NS6detail15normal_iteratorINS9_10device_ptrIfEEEENS9_16discard_iteratorINS9_11use_defaultEEEfNS9_4plusIvEEfEEDaPvRmT3_T4_T5_mT6_P12ihipStream_tbENKUlT_T0_E_clISt17integral_constantIbLb1EESX_EEDaSS_ST_EUlSS_E_NS1_11comp_targetILNS1_3genE2ELNS1_11target_archE906ELNS1_3gpuE6ELNS1_3repE0EEENS1_30default_config_static_selectorELNS0_4arch9wavefront6targetE1EEEvT1_.kd
    .uniform_work_group_size: 1
    .uses_dynamic_stack: false
    .vgpr_count:     0
    .vgpr_spill_count: 0
    .wavefront_size: 64
  - .agpr_count:     0
    .args:
      - .offset:         0
        .size:           104
        .value_kind:     by_value
    .group_segment_fixed_size: 0
    .kernarg_segment_align: 8
    .kernarg_segment_size: 104
    .language:       OpenCL C
    .language_version:
      - 2
      - 0
    .max_flat_workgroup_size: 256
    .name:           _ZN7rocprim17ROCPRIM_400000_NS6detail17trampoline_kernelINS0_14default_configENS1_20scan_config_selectorIfEEZZNS1_9scan_implILNS1_25lookback_scan_determinismE0ELb0ELb0ES3_N6thrust23THRUST_200600_302600_NS6detail15normal_iteratorINS9_10device_ptrIfEEEENS9_16discard_iteratorINS9_11use_defaultEEEfNS9_4plusIvEEfEEDaPvRmT3_T4_T5_mT6_P12ihipStream_tbENKUlT_T0_E_clISt17integral_constantIbLb1EESX_EEDaSS_ST_EUlSS_E_NS1_11comp_targetILNS1_3genE10ELNS1_11target_archE1201ELNS1_3gpuE5ELNS1_3repE0EEENS1_30default_config_static_selectorELNS0_4arch9wavefront6targetE1EEEvT1_
    .private_segment_fixed_size: 0
    .sgpr_count:     4
    .sgpr_spill_count: 0
    .symbol:         _ZN7rocprim17ROCPRIM_400000_NS6detail17trampoline_kernelINS0_14default_configENS1_20scan_config_selectorIfEEZZNS1_9scan_implILNS1_25lookback_scan_determinismE0ELb0ELb0ES3_N6thrust23THRUST_200600_302600_NS6detail15normal_iteratorINS9_10device_ptrIfEEEENS9_16discard_iteratorINS9_11use_defaultEEEfNS9_4plusIvEEfEEDaPvRmT3_T4_T5_mT6_P12ihipStream_tbENKUlT_T0_E_clISt17integral_constantIbLb1EESX_EEDaSS_ST_EUlSS_E_NS1_11comp_targetILNS1_3genE10ELNS1_11target_archE1201ELNS1_3gpuE5ELNS1_3repE0EEENS1_30default_config_static_selectorELNS0_4arch9wavefront6targetE1EEEvT1_.kd
    .uniform_work_group_size: 1
    .uses_dynamic_stack: false
    .vgpr_count:     0
    .vgpr_spill_count: 0
    .wavefront_size: 64
  - .agpr_count:     0
    .args:
      - .offset:         0
        .size:           104
        .value_kind:     by_value
    .group_segment_fixed_size: 0
    .kernarg_segment_align: 8
    .kernarg_segment_size: 104
    .language:       OpenCL C
    .language_version:
      - 2
      - 0
    .max_flat_workgroup_size: 256
    .name:           _ZN7rocprim17ROCPRIM_400000_NS6detail17trampoline_kernelINS0_14default_configENS1_20scan_config_selectorIfEEZZNS1_9scan_implILNS1_25lookback_scan_determinismE0ELb0ELb0ES3_N6thrust23THRUST_200600_302600_NS6detail15normal_iteratorINS9_10device_ptrIfEEEENS9_16discard_iteratorINS9_11use_defaultEEEfNS9_4plusIvEEfEEDaPvRmT3_T4_T5_mT6_P12ihipStream_tbENKUlT_T0_E_clISt17integral_constantIbLb1EESX_EEDaSS_ST_EUlSS_E_NS1_11comp_targetILNS1_3genE10ELNS1_11target_archE1200ELNS1_3gpuE4ELNS1_3repE0EEENS1_30default_config_static_selectorELNS0_4arch9wavefront6targetE1EEEvT1_
    .private_segment_fixed_size: 0
    .sgpr_count:     4
    .sgpr_spill_count: 0
    .symbol:         _ZN7rocprim17ROCPRIM_400000_NS6detail17trampoline_kernelINS0_14default_configENS1_20scan_config_selectorIfEEZZNS1_9scan_implILNS1_25lookback_scan_determinismE0ELb0ELb0ES3_N6thrust23THRUST_200600_302600_NS6detail15normal_iteratorINS9_10device_ptrIfEEEENS9_16discard_iteratorINS9_11use_defaultEEEfNS9_4plusIvEEfEEDaPvRmT3_T4_T5_mT6_P12ihipStream_tbENKUlT_T0_E_clISt17integral_constantIbLb1EESX_EEDaSS_ST_EUlSS_E_NS1_11comp_targetILNS1_3genE10ELNS1_11target_archE1200ELNS1_3gpuE4ELNS1_3repE0EEENS1_30default_config_static_selectorELNS0_4arch9wavefront6targetE1EEEvT1_.kd
    .uniform_work_group_size: 1
    .uses_dynamic_stack: false
    .vgpr_count:     0
    .vgpr_spill_count: 0
    .wavefront_size: 64
  - .agpr_count:     0
    .args:
      - .offset:         0
        .size:           104
        .value_kind:     by_value
    .group_segment_fixed_size: 0
    .kernarg_segment_align: 8
    .kernarg_segment_size: 104
    .language:       OpenCL C
    .language_version:
      - 2
      - 0
    .max_flat_workgroup_size: 256
    .name:           _ZN7rocprim17ROCPRIM_400000_NS6detail17trampoline_kernelINS0_14default_configENS1_20scan_config_selectorIfEEZZNS1_9scan_implILNS1_25lookback_scan_determinismE0ELb0ELb0ES3_N6thrust23THRUST_200600_302600_NS6detail15normal_iteratorINS9_10device_ptrIfEEEENS9_16discard_iteratorINS9_11use_defaultEEEfNS9_4plusIvEEfEEDaPvRmT3_T4_T5_mT6_P12ihipStream_tbENKUlT_T0_E_clISt17integral_constantIbLb1EESX_EEDaSS_ST_EUlSS_E_NS1_11comp_targetILNS1_3genE9ELNS1_11target_archE1100ELNS1_3gpuE3ELNS1_3repE0EEENS1_30default_config_static_selectorELNS0_4arch9wavefront6targetE1EEEvT1_
    .private_segment_fixed_size: 0
    .sgpr_count:     4
    .sgpr_spill_count: 0
    .symbol:         _ZN7rocprim17ROCPRIM_400000_NS6detail17trampoline_kernelINS0_14default_configENS1_20scan_config_selectorIfEEZZNS1_9scan_implILNS1_25lookback_scan_determinismE0ELb0ELb0ES3_N6thrust23THRUST_200600_302600_NS6detail15normal_iteratorINS9_10device_ptrIfEEEENS9_16discard_iteratorINS9_11use_defaultEEEfNS9_4plusIvEEfEEDaPvRmT3_T4_T5_mT6_P12ihipStream_tbENKUlT_T0_E_clISt17integral_constantIbLb1EESX_EEDaSS_ST_EUlSS_E_NS1_11comp_targetILNS1_3genE9ELNS1_11target_archE1100ELNS1_3gpuE3ELNS1_3repE0EEENS1_30default_config_static_selectorELNS0_4arch9wavefront6targetE1EEEvT1_.kd
    .uniform_work_group_size: 1
    .uses_dynamic_stack: false
    .vgpr_count:     0
    .vgpr_spill_count: 0
    .wavefront_size: 64
  - .agpr_count:     0
    .args:
      - .offset:         0
        .size:           104
        .value_kind:     by_value
    .group_segment_fixed_size: 0
    .kernarg_segment_align: 8
    .kernarg_segment_size: 104
    .language:       OpenCL C
    .language_version:
      - 2
      - 0
    .max_flat_workgroup_size: 64
    .name:           _ZN7rocprim17ROCPRIM_400000_NS6detail17trampoline_kernelINS0_14default_configENS1_20scan_config_selectorIfEEZZNS1_9scan_implILNS1_25lookback_scan_determinismE0ELb0ELb0ES3_N6thrust23THRUST_200600_302600_NS6detail15normal_iteratorINS9_10device_ptrIfEEEENS9_16discard_iteratorINS9_11use_defaultEEEfNS9_4plusIvEEfEEDaPvRmT3_T4_T5_mT6_P12ihipStream_tbENKUlT_T0_E_clISt17integral_constantIbLb1EESX_EEDaSS_ST_EUlSS_E_NS1_11comp_targetILNS1_3genE8ELNS1_11target_archE1030ELNS1_3gpuE2ELNS1_3repE0EEENS1_30default_config_static_selectorELNS0_4arch9wavefront6targetE1EEEvT1_
    .private_segment_fixed_size: 0
    .sgpr_count:     4
    .sgpr_spill_count: 0
    .symbol:         _ZN7rocprim17ROCPRIM_400000_NS6detail17trampoline_kernelINS0_14default_configENS1_20scan_config_selectorIfEEZZNS1_9scan_implILNS1_25lookback_scan_determinismE0ELb0ELb0ES3_N6thrust23THRUST_200600_302600_NS6detail15normal_iteratorINS9_10device_ptrIfEEEENS9_16discard_iteratorINS9_11use_defaultEEEfNS9_4plusIvEEfEEDaPvRmT3_T4_T5_mT6_P12ihipStream_tbENKUlT_T0_E_clISt17integral_constantIbLb1EESX_EEDaSS_ST_EUlSS_E_NS1_11comp_targetILNS1_3genE8ELNS1_11target_archE1030ELNS1_3gpuE2ELNS1_3repE0EEENS1_30default_config_static_selectorELNS0_4arch9wavefront6targetE1EEEvT1_.kd
    .uniform_work_group_size: 1
    .uses_dynamic_stack: false
    .vgpr_count:     0
    .vgpr_spill_count: 0
    .wavefront_size: 64
  - .agpr_count:     0
    .args:
      - .offset:         0
        .size:           40
        .value_kind:     by_value
    .group_segment_fixed_size: 0
    .kernarg_segment_align: 8
    .kernarg_segment_size: 40
    .language:       OpenCL C
    .language_version:
      - 2
      - 0
    .max_flat_workgroup_size: 256
    .name:           _ZN7rocprim17ROCPRIM_400000_NS6detail17trampoline_kernelINS0_14default_configENS1_20scan_config_selectorIfEEZZNS1_9scan_implILNS1_25lookback_scan_determinismE0ELb0ELb0ES3_N6thrust23THRUST_200600_302600_NS6detail15normal_iteratorINS9_10device_ptrIfEEEENS9_16discard_iteratorINS9_11use_defaultEEEfNS9_4plusIvEEfEEDaPvRmT3_T4_T5_mT6_P12ihipStream_tbENKUlT_T0_E_clISt17integral_constantIbLb1EESX_EEDaSS_ST_EUlSS_E0_NS1_11comp_targetILNS1_3genE0ELNS1_11target_archE4294967295ELNS1_3gpuE0ELNS1_3repE0EEENS1_30default_config_static_selectorELNS0_4arch9wavefront6targetE1EEEvT1_
    .private_segment_fixed_size: 0
    .sgpr_count:     4
    .sgpr_spill_count: 0
    .symbol:         _ZN7rocprim17ROCPRIM_400000_NS6detail17trampoline_kernelINS0_14default_configENS1_20scan_config_selectorIfEEZZNS1_9scan_implILNS1_25lookback_scan_determinismE0ELb0ELb0ES3_N6thrust23THRUST_200600_302600_NS6detail15normal_iteratorINS9_10device_ptrIfEEEENS9_16discard_iteratorINS9_11use_defaultEEEfNS9_4plusIvEEfEEDaPvRmT3_T4_T5_mT6_P12ihipStream_tbENKUlT_T0_E_clISt17integral_constantIbLb1EESX_EEDaSS_ST_EUlSS_E0_NS1_11comp_targetILNS1_3genE0ELNS1_11target_archE4294967295ELNS1_3gpuE0ELNS1_3repE0EEENS1_30default_config_static_selectorELNS0_4arch9wavefront6targetE1EEEvT1_.kd
    .uniform_work_group_size: 1
    .uses_dynamic_stack: false
    .vgpr_count:     0
    .vgpr_spill_count: 0
    .wavefront_size: 64
  - .agpr_count:     0
    .args:
      - .offset:         0
        .size:           40
        .value_kind:     by_value
    .group_segment_fixed_size: 0
    .kernarg_segment_align: 8
    .kernarg_segment_size: 40
    .language:       OpenCL C
    .language_version:
      - 2
      - 0
    .max_flat_workgroup_size: 256
    .name:           _ZN7rocprim17ROCPRIM_400000_NS6detail17trampoline_kernelINS0_14default_configENS1_20scan_config_selectorIfEEZZNS1_9scan_implILNS1_25lookback_scan_determinismE0ELb0ELb0ES3_N6thrust23THRUST_200600_302600_NS6detail15normal_iteratorINS9_10device_ptrIfEEEENS9_16discard_iteratorINS9_11use_defaultEEEfNS9_4plusIvEEfEEDaPvRmT3_T4_T5_mT6_P12ihipStream_tbENKUlT_T0_E_clISt17integral_constantIbLb1EESX_EEDaSS_ST_EUlSS_E0_NS1_11comp_targetILNS1_3genE5ELNS1_11target_archE942ELNS1_3gpuE9ELNS1_3repE0EEENS1_30default_config_static_selectorELNS0_4arch9wavefront6targetE1EEEvT1_
    .private_segment_fixed_size: 0
    .sgpr_count:     4
    .sgpr_spill_count: 0
    .symbol:         _ZN7rocprim17ROCPRIM_400000_NS6detail17trampoline_kernelINS0_14default_configENS1_20scan_config_selectorIfEEZZNS1_9scan_implILNS1_25lookback_scan_determinismE0ELb0ELb0ES3_N6thrust23THRUST_200600_302600_NS6detail15normal_iteratorINS9_10device_ptrIfEEEENS9_16discard_iteratorINS9_11use_defaultEEEfNS9_4plusIvEEfEEDaPvRmT3_T4_T5_mT6_P12ihipStream_tbENKUlT_T0_E_clISt17integral_constantIbLb1EESX_EEDaSS_ST_EUlSS_E0_NS1_11comp_targetILNS1_3genE5ELNS1_11target_archE942ELNS1_3gpuE9ELNS1_3repE0EEENS1_30default_config_static_selectorELNS0_4arch9wavefront6targetE1EEEvT1_.kd
    .uniform_work_group_size: 1
    .uses_dynamic_stack: false
    .vgpr_count:     0
    .vgpr_spill_count: 0
    .wavefront_size: 64
  - .agpr_count:     0
    .args:
      - .offset:         0
        .size:           40
        .value_kind:     by_value
    .group_segment_fixed_size: 7168
    .kernarg_segment_align: 8
    .kernarg_segment_size: 40
    .language:       OpenCL C
    .language_version:
      - 2
      - 0
    .max_flat_workgroup_size: 128
    .name:           _ZN7rocprim17ROCPRIM_400000_NS6detail17trampoline_kernelINS0_14default_configENS1_20scan_config_selectorIfEEZZNS1_9scan_implILNS1_25lookback_scan_determinismE0ELb0ELb0ES3_N6thrust23THRUST_200600_302600_NS6detail15normal_iteratorINS9_10device_ptrIfEEEENS9_16discard_iteratorINS9_11use_defaultEEEfNS9_4plusIvEEfEEDaPvRmT3_T4_T5_mT6_P12ihipStream_tbENKUlT_T0_E_clISt17integral_constantIbLb1EESX_EEDaSS_ST_EUlSS_E0_NS1_11comp_targetILNS1_3genE4ELNS1_11target_archE910ELNS1_3gpuE8ELNS1_3repE0EEENS1_30default_config_static_selectorELNS0_4arch9wavefront6targetE1EEEvT1_
    .private_segment_fixed_size: 0
    .sgpr_count:     10
    .sgpr_spill_count: 0
    .symbol:         _ZN7rocprim17ROCPRIM_400000_NS6detail17trampoline_kernelINS0_14default_configENS1_20scan_config_selectorIfEEZZNS1_9scan_implILNS1_25lookback_scan_determinismE0ELb0ELb0ES3_N6thrust23THRUST_200600_302600_NS6detail15normal_iteratorINS9_10device_ptrIfEEEENS9_16discard_iteratorINS9_11use_defaultEEEfNS9_4plusIvEEfEEDaPvRmT3_T4_T5_mT6_P12ihipStream_tbENKUlT_T0_E_clISt17integral_constantIbLb1EESX_EEDaSS_ST_EUlSS_E0_NS1_11comp_targetILNS1_3genE4ELNS1_11target_archE910ELNS1_3gpuE8ELNS1_3repE0EEENS1_30default_config_static_selectorELNS0_4arch9wavefront6targetE1EEEvT1_.kd
    .uniform_work_group_size: 1
    .uses_dynamic_stack: false
    .vgpr_count:     36
    .vgpr_spill_count: 0
    .wavefront_size: 64
  - .agpr_count:     0
    .args:
      - .offset:         0
        .size:           40
        .value_kind:     by_value
    .group_segment_fixed_size: 0
    .kernarg_segment_align: 8
    .kernarg_segment_size: 40
    .language:       OpenCL C
    .language_version:
      - 2
      - 0
    .max_flat_workgroup_size: 256
    .name:           _ZN7rocprim17ROCPRIM_400000_NS6detail17trampoline_kernelINS0_14default_configENS1_20scan_config_selectorIfEEZZNS1_9scan_implILNS1_25lookback_scan_determinismE0ELb0ELb0ES3_N6thrust23THRUST_200600_302600_NS6detail15normal_iteratorINS9_10device_ptrIfEEEENS9_16discard_iteratorINS9_11use_defaultEEEfNS9_4plusIvEEfEEDaPvRmT3_T4_T5_mT6_P12ihipStream_tbENKUlT_T0_E_clISt17integral_constantIbLb1EESX_EEDaSS_ST_EUlSS_E0_NS1_11comp_targetILNS1_3genE3ELNS1_11target_archE908ELNS1_3gpuE7ELNS1_3repE0EEENS1_30default_config_static_selectorELNS0_4arch9wavefront6targetE1EEEvT1_
    .private_segment_fixed_size: 0
    .sgpr_count:     4
    .sgpr_spill_count: 0
    .symbol:         _ZN7rocprim17ROCPRIM_400000_NS6detail17trampoline_kernelINS0_14default_configENS1_20scan_config_selectorIfEEZZNS1_9scan_implILNS1_25lookback_scan_determinismE0ELb0ELb0ES3_N6thrust23THRUST_200600_302600_NS6detail15normal_iteratorINS9_10device_ptrIfEEEENS9_16discard_iteratorINS9_11use_defaultEEEfNS9_4plusIvEEfEEDaPvRmT3_T4_T5_mT6_P12ihipStream_tbENKUlT_T0_E_clISt17integral_constantIbLb1EESX_EEDaSS_ST_EUlSS_E0_NS1_11comp_targetILNS1_3genE3ELNS1_11target_archE908ELNS1_3gpuE7ELNS1_3repE0EEENS1_30default_config_static_selectorELNS0_4arch9wavefront6targetE1EEEvT1_.kd
    .uniform_work_group_size: 1
    .uses_dynamic_stack: false
    .vgpr_count:     0
    .vgpr_spill_count: 0
    .wavefront_size: 64
  - .agpr_count:     0
    .args:
      - .offset:         0
        .size:           40
        .value_kind:     by_value
    .group_segment_fixed_size: 0
    .kernarg_segment_align: 8
    .kernarg_segment_size: 40
    .language:       OpenCL C
    .language_version:
      - 2
      - 0
    .max_flat_workgroup_size: 256
    .name:           _ZN7rocprim17ROCPRIM_400000_NS6detail17trampoline_kernelINS0_14default_configENS1_20scan_config_selectorIfEEZZNS1_9scan_implILNS1_25lookback_scan_determinismE0ELb0ELb0ES3_N6thrust23THRUST_200600_302600_NS6detail15normal_iteratorINS9_10device_ptrIfEEEENS9_16discard_iteratorINS9_11use_defaultEEEfNS9_4plusIvEEfEEDaPvRmT3_T4_T5_mT6_P12ihipStream_tbENKUlT_T0_E_clISt17integral_constantIbLb1EESX_EEDaSS_ST_EUlSS_E0_NS1_11comp_targetILNS1_3genE2ELNS1_11target_archE906ELNS1_3gpuE6ELNS1_3repE0EEENS1_30default_config_static_selectorELNS0_4arch9wavefront6targetE1EEEvT1_
    .private_segment_fixed_size: 0
    .sgpr_count:     4
    .sgpr_spill_count: 0
    .symbol:         _ZN7rocprim17ROCPRIM_400000_NS6detail17trampoline_kernelINS0_14default_configENS1_20scan_config_selectorIfEEZZNS1_9scan_implILNS1_25lookback_scan_determinismE0ELb0ELb0ES3_N6thrust23THRUST_200600_302600_NS6detail15normal_iteratorINS9_10device_ptrIfEEEENS9_16discard_iteratorINS9_11use_defaultEEEfNS9_4plusIvEEfEEDaPvRmT3_T4_T5_mT6_P12ihipStream_tbENKUlT_T0_E_clISt17integral_constantIbLb1EESX_EEDaSS_ST_EUlSS_E0_NS1_11comp_targetILNS1_3genE2ELNS1_11target_archE906ELNS1_3gpuE6ELNS1_3repE0EEENS1_30default_config_static_selectorELNS0_4arch9wavefront6targetE1EEEvT1_.kd
    .uniform_work_group_size: 1
    .uses_dynamic_stack: false
    .vgpr_count:     0
    .vgpr_spill_count: 0
    .wavefront_size: 64
  - .agpr_count:     0
    .args:
      - .offset:         0
        .size:           40
        .value_kind:     by_value
    .group_segment_fixed_size: 0
    .kernarg_segment_align: 8
    .kernarg_segment_size: 40
    .language:       OpenCL C
    .language_version:
      - 2
      - 0
    .max_flat_workgroup_size: 256
    .name:           _ZN7rocprim17ROCPRIM_400000_NS6detail17trampoline_kernelINS0_14default_configENS1_20scan_config_selectorIfEEZZNS1_9scan_implILNS1_25lookback_scan_determinismE0ELb0ELb0ES3_N6thrust23THRUST_200600_302600_NS6detail15normal_iteratorINS9_10device_ptrIfEEEENS9_16discard_iteratorINS9_11use_defaultEEEfNS9_4plusIvEEfEEDaPvRmT3_T4_T5_mT6_P12ihipStream_tbENKUlT_T0_E_clISt17integral_constantIbLb1EESX_EEDaSS_ST_EUlSS_E0_NS1_11comp_targetILNS1_3genE10ELNS1_11target_archE1201ELNS1_3gpuE5ELNS1_3repE0EEENS1_30default_config_static_selectorELNS0_4arch9wavefront6targetE1EEEvT1_
    .private_segment_fixed_size: 0
    .sgpr_count:     4
    .sgpr_spill_count: 0
    .symbol:         _ZN7rocprim17ROCPRIM_400000_NS6detail17trampoline_kernelINS0_14default_configENS1_20scan_config_selectorIfEEZZNS1_9scan_implILNS1_25lookback_scan_determinismE0ELb0ELb0ES3_N6thrust23THRUST_200600_302600_NS6detail15normal_iteratorINS9_10device_ptrIfEEEENS9_16discard_iteratorINS9_11use_defaultEEEfNS9_4plusIvEEfEEDaPvRmT3_T4_T5_mT6_P12ihipStream_tbENKUlT_T0_E_clISt17integral_constantIbLb1EESX_EEDaSS_ST_EUlSS_E0_NS1_11comp_targetILNS1_3genE10ELNS1_11target_archE1201ELNS1_3gpuE5ELNS1_3repE0EEENS1_30default_config_static_selectorELNS0_4arch9wavefront6targetE1EEEvT1_.kd
    .uniform_work_group_size: 1
    .uses_dynamic_stack: false
    .vgpr_count:     0
    .vgpr_spill_count: 0
    .wavefront_size: 64
  - .agpr_count:     0
    .args:
      - .offset:         0
        .size:           40
        .value_kind:     by_value
    .group_segment_fixed_size: 0
    .kernarg_segment_align: 8
    .kernarg_segment_size: 40
    .language:       OpenCL C
    .language_version:
      - 2
      - 0
    .max_flat_workgroup_size: 256
    .name:           _ZN7rocprim17ROCPRIM_400000_NS6detail17trampoline_kernelINS0_14default_configENS1_20scan_config_selectorIfEEZZNS1_9scan_implILNS1_25lookback_scan_determinismE0ELb0ELb0ES3_N6thrust23THRUST_200600_302600_NS6detail15normal_iteratorINS9_10device_ptrIfEEEENS9_16discard_iteratorINS9_11use_defaultEEEfNS9_4plusIvEEfEEDaPvRmT3_T4_T5_mT6_P12ihipStream_tbENKUlT_T0_E_clISt17integral_constantIbLb1EESX_EEDaSS_ST_EUlSS_E0_NS1_11comp_targetILNS1_3genE10ELNS1_11target_archE1200ELNS1_3gpuE4ELNS1_3repE0EEENS1_30default_config_static_selectorELNS0_4arch9wavefront6targetE1EEEvT1_
    .private_segment_fixed_size: 0
    .sgpr_count:     4
    .sgpr_spill_count: 0
    .symbol:         _ZN7rocprim17ROCPRIM_400000_NS6detail17trampoline_kernelINS0_14default_configENS1_20scan_config_selectorIfEEZZNS1_9scan_implILNS1_25lookback_scan_determinismE0ELb0ELb0ES3_N6thrust23THRUST_200600_302600_NS6detail15normal_iteratorINS9_10device_ptrIfEEEENS9_16discard_iteratorINS9_11use_defaultEEEfNS9_4plusIvEEfEEDaPvRmT3_T4_T5_mT6_P12ihipStream_tbENKUlT_T0_E_clISt17integral_constantIbLb1EESX_EEDaSS_ST_EUlSS_E0_NS1_11comp_targetILNS1_3genE10ELNS1_11target_archE1200ELNS1_3gpuE4ELNS1_3repE0EEENS1_30default_config_static_selectorELNS0_4arch9wavefront6targetE1EEEvT1_.kd
    .uniform_work_group_size: 1
    .uses_dynamic_stack: false
    .vgpr_count:     0
    .vgpr_spill_count: 0
    .wavefront_size: 64
  - .agpr_count:     0
    .args:
      - .offset:         0
        .size:           40
        .value_kind:     by_value
    .group_segment_fixed_size: 0
    .kernarg_segment_align: 8
    .kernarg_segment_size: 40
    .language:       OpenCL C
    .language_version:
      - 2
      - 0
    .max_flat_workgroup_size: 256
    .name:           _ZN7rocprim17ROCPRIM_400000_NS6detail17trampoline_kernelINS0_14default_configENS1_20scan_config_selectorIfEEZZNS1_9scan_implILNS1_25lookback_scan_determinismE0ELb0ELb0ES3_N6thrust23THRUST_200600_302600_NS6detail15normal_iteratorINS9_10device_ptrIfEEEENS9_16discard_iteratorINS9_11use_defaultEEEfNS9_4plusIvEEfEEDaPvRmT3_T4_T5_mT6_P12ihipStream_tbENKUlT_T0_E_clISt17integral_constantIbLb1EESX_EEDaSS_ST_EUlSS_E0_NS1_11comp_targetILNS1_3genE9ELNS1_11target_archE1100ELNS1_3gpuE3ELNS1_3repE0EEENS1_30default_config_static_selectorELNS0_4arch9wavefront6targetE1EEEvT1_
    .private_segment_fixed_size: 0
    .sgpr_count:     4
    .sgpr_spill_count: 0
    .symbol:         _ZN7rocprim17ROCPRIM_400000_NS6detail17trampoline_kernelINS0_14default_configENS1_20scan_config_selectorIfEEZZNS1_9scan_implILNS1_25lookback_scan_determinismE0ELb0ELb0ES3_N6thrust23THRUST_200600_302600_NS6detail15normal_iteratorINS9_10device_ptrIfEEEENS9_16discard_iteratorINS9_11use_defaultEEEfNS9_4plusIvEEfEEDaPvRmT3_T4_T5_mT6_P12ihipStream_tbENKUlT_T0_E_clISt17integral_constantIbLb1EESX_EEDaSS_ST_EUlSS_E0_NS1_11comp_targetILNS1_3genE9ELNS1_11target_archE1100ELNS1_3gpuE3ELNS1_3repE0EEENS1_30default_config_static_selectorELNS0_4arch9wavefront6targetE1EEEvT1_.kd
    .uniform_work_group_size: 1
    .uses_dynamic_stack: false
    .vgpr_count:     0
    .vgpr_spill_count: 0
    .wavefront_size: 64
  - .agpr_count:     0
    .args:
      - .offset:         0
        .size:           40
        .value_kind:     by_value
    .group_segment_fixed_size: 0
    .kernarg_segment_align: 8
    .kernarg_segment_size: 40
    .language:       OpenCL C
    .language_version:
      - 2
      - 0
    .max_flat_workgroup_size: 64
    .name:           _ZN7rocprim17ROCPRIM_400000_NS6detail17trampoline_kernelINS0_14default_configENS1_20scan_config_selectorIfEEZZNS1_9scan_implILNS1_25lookback_scan_determinismE0ELb0ELb0ES3_N6thrust23THRUST_200600_302600_NS6detail15normal_iteratorINS9_10device_ptrIfEEEENS9_16discard_iteratorINS9_11use_defaultEEEfNS9_4plusIvEEfEEDaPvRmT3_T4_T5_mT6_P12ihipStream_tbENKUlT_T0_E_clISt17integral_constantIbLb1EESX_EEDaSS_ST_EUlSS_E0_NS1_11comp_targetILNS1_3genE8ELNS1_11target_archE1030ELNS1_3gpuE2ELNS1_3repE0EEENS1_30default_config_static_selectorELNS0_4arch9wavefront6targetE1EEEvT1_
    .private_segment_fixed_size: 0
    .sgpr_count:     4
    .sgpr_spill_count: 0
    .symbol:         _ZN7rocprim17ROCPRIM_400000_NS6detail17trampoline_kernelINS0_14default_configENS1_20scan_config_selectorIfEEZZNS1_9scan_implILNS1_25lookback_scan_determinismE0ELb0ELb0ES3_N6thrust23THRUST_200600_302600_NS6detail15normal_iteratorINS9_10device_ptrIfEEEENS9_16discard_iteratorINS9_11use_defaultEEEfNS9_4plusIvEEfEEDaPvRmT3_T4_T5_mT6_P12ihipStream_tbENKUlT_T0_E_clISt17integral_constantIbLb1EESX_EEDaSS_ST_EUlSS_E0_NS1_11comp_targetILNS1_3genE8ELNS1_11target_archE1030ELNS1_3gpuE2ELNS1_3repE0EEENS1_30default_config_static_selectorELNS0_4arch9wavefront6targetE1EEEvT1_.kd
    .uniform_work_group_size: 1
    .uses_dynamic_stack: false
    .vgpr_count:     0
    .vgpr_spill_count: 0
    .wavefront_size: 64
  - .agpr_count:     0
    .args:
      - .offset:         0
        .size:           104
        .value_kind:     by_value
    .group_segment_fixed_size: 0
    .kernarg_segment_align: 8
    .kernarg_segment_size: 104
    .language:       OpenCL C
    .language_version:
      - 2
      - 0
    .max_flat_workgroup_size: 256
    .name:           _ZN7rocprim17ROCPRIM_400000_NS6detail17trampoline_kernelINS0_14default_configENS1_20scan_config_selectorIfEEZZNS1_9scan_implILNS1_25lookback_scan_determinismE0ELb0ELb0ES3_N6thrust23THRUST_200600_302600_NS6detail15normal_iteratorINS9_10device_ptrIfEEEENS9_16discard_iteratorINS9_11use_defaultEEEfNS9_4plusIvEEfEEDaPvRmT3_T4_T5_mT6_P12ihipStream_tbENKUlT_T0_E_clISt17integral_constantIbLb1EESW_IbLb0EEEEDaSS_ST_EUlSS_E_NS1_11comp_targetILNS1_3genE0ELNS1_11target_archE4294967295ELNS1_3gpuE0ELNS1_3repE0EEENS1_30default_config_static_selectorELNS0_4arch9wavefront6targetE1EEEvT1_
    .private_segment_fixed_size: 0
    .sgpr_count:     4
    .sgpr_spill_count: 0
    .symbol:         _ZN7rocprim17ROCPRIM_400000_NS6detail17trampoline_kernelINS0_14default_configENS1_20scan_config_selectorIfEEZZNS1_9scan_implILNS1_25lookback_scan_determinismE0ELb0ELb0ES3_N6thrust23THRUST_200600_302600_NS6detail15normal_iteratorINS9_10device_ptrIfEEEENS9_16discard_iteratorINS9_11use_defaultEEEfNS9_4plusIvEEfEEDaPvRmT3_T4_T5_mT6_P12ihipStream_tbENKUlT_T0_E_clISt17integral_constantIbLb1EESW_IbLb0EEEEDaSS_ST_EUlSS_E_NS1_11comp_targetILNS1_3genE0ELNS1_11target_archE4294967295ELNS1_3gpuE0ELNS1_3repE0EEENS1_30default_config_static_selectorELNS0_4arch9wavefront6targetE1EEEvT1_.kd
    .uniform_work_group_size: 1
    .uses_dynamic_stack: false
    .vgpr_count:     0
    .vgpr_spill_count: 0
    .wavefront_size: 64
  - .agpr_count:     0
    .args:
      - .offset:         0
        .size:           104
        .value_kind:     by_value
    .group_segment_fixed_size: 0
    .kernarg_segment_align: 8
    .kernarg_segment_size: 104
    .language:       OpenCL C
    .language_version:
      - 2
      - 0
    .max_flat_workgroup_size: 256
    .name:           _ZN7rocprim17ROCPRIM_400000_NS6detail17trampoline_kernelINS0_14default_configENS1_20scan_config_selectorIfEEZZNS1_9scan_implILNS1_25lookback_scan_determinismE0ELb0ELb0ES3_N6thrust23THRUST_200600_302600_NS6detail15normal_iteratorINS9_10device_ptrIfEEEENS9_16discard_iteratorINS9_11use_defaultEEEfNS9_4plusIvEEfEEDaPvRmT3_T4_T5_mT6_P12ihipStream_tbENKUlT_T0_E_clISt17integral_constantIbLb1EESW_IbLb0EEEEDaSS_ST_EUlSS_E_NS1_11comp_targetILNS1_3genE5ELNS1_11target_archE942ELNS1_3gpuE9ELNS1_3repE0EEENS1_30default_config_static_selectorELNS0_4arch9wavefront6targetE1EEEvT1_
    .private_segment_fixed_size: 0
    .sgpr_count:     4
    .sgpr_spill_count: 0
    .symbol:         _ZN7rocprim17ROCPRIM_400000_NS6detail17trampoline_kernelINS0_14default_configENS1_20scan_config_selectorIfEEZZNS1_9scan_implILNS1_25lookback_scan_determinismE0ELb0ELb0ES3_N6thrust23THRUST_200600_302600_NS6detail15normal_iteratorINS9_10device_ptrIfEEEENS9_16discard_iteratorINS9_11use_defaultEEEfNS9_4plusIvEEfEEDaPvRmT3_T4_T5_mT6_P12ihipStream_tbENKUlT_T0_E_clISt17integral_constantIbLb1EESW_IbLb0EEEEDaSS_ST_EUlSS_E_NS1_11comp_targetILNS1_3genE5ELNS1_11target_archE942ELNS1_3gpuE9ELNS1_3repE0EEENS1_30default_config_static_selectorELNS0_4arch9wavefront6targetE1EEEvT1_.kd
    .uniform_work_group_size: 1
    .uses_dynamic_stack: false
    .vgpr_count:     0
    .vgpr_spill_count: 0
    .wavefront_size: 64
  - .agpr_count:     0
    .args:
      - .offset:         0
        .size:           104
        .value_kind:     by_value
    .group_segment_fixed_size: 7168
    .kernarg_segment_align: 8
    .kernarg_segment_size: 104
    .language:       OpenCL C
    .language_version:
      - 2
      - 0
    .max_flat_workgroup_size: 128
    .name:           _ZN7rocprim17ROCPRIM_400000_NS6detail17trampoline_kernelINS0_14default_configENS1_20scan_config_selectorIfEEZZNS1_9scan_implILNS1_25lookback_scan_determinismE0ELb0ELb0ES3_N6thrust23THRUST_200600_302600_NS6detail15normal_iteratorINS9_10device_ptrIfEEEENS9_16discard_iteratorINS9_11use_defaultEEEfNS9_4plusIvEEfEEDaPvRmT3_T4_T5_mT6_P12ihipStream_tbENKUlT_T0_E_clISt17integral_constantIbLb1EESW_IbLb0EEEEDaSS_ST_EUlSS_E_NS1_11comp_targetILNS1_3genE4ELNS1_11target_archE910ELNS1_3gpuE8ELNS1_3repE0EEENS1_30default_config_static_selectorELNS0_4arch9wavefront6targetE1EEEvT1_
    .private_segment_fixed_size: 0
    .sgpr_count:     28
    .sgpr_spill_count: 0
    .symbol:         _ZN7rocprim17ROCPRIM_400000_NS6detail17trampoline_kernelINS0_14default_configENS1_20scan_config_selectorIfEEZZNS1_9scan_implILNS1_25lookback_scan_determinismE0ELb0ELb0ES3_N6thrust23THRUST_200600_302600_NS6detail15normal_iteratorINS9_10device_ptrIfEEEENS9_16discard_iteratorINS9_11use_defaultEEEfNS9_4plusIvEEfEEDaPvRmT3_T4_T5_mT6_P12ihipStream_tbENKUlT_T0_E_clISt17integral_constantIbLb1EESW_IbLb0EEEEDaSS_ST_EUlSS_E_NS1_11comp_targetILNS1_3genE4ELNS1_11target_archE910ELNS1_3gpuE8ELNS1_3repE0EEENS1_30default_config_static_selectorELNS0_4arch9wavefront6targetE1EEEvT1_.kd
    .uniform_work_group_size: 1
    .uses_dynamic_stack: false
    .vgpr_count:     47
    .vgpr_spill_count: 0
    .wavefront_size: 64
  - .agpr_count:     0
    .args:
      - .offset:         0
        .size:           104
        .value_kind:     by_value
    .group_segment_fixed_size: 0
    .kernarg_segment_align: 8
    .kernarg_segment_size: 104
    .language:       OpenCL C
    .language_version:
      - 2
      - 0
    .max_flat_workgroup_size: 256
    .name:           _ZN7rocprim17ROCPRIM_400000_NS6detail17trampoline_kernelINS0_14default_configENS1_20scan_config_selectorIfEEZZNS1_9scan_implILNS1_25lookback_scan_determinismE0ELb0ELb0ES3_N6thrust23THRUST_200600_302600_NS6detail15normal_iteratorINS9_10device_ptrIfEEEENS9_16discard_iteratorINS9_11use_defaultEEEfNS9_4plusIvEEfEEDaPvRmT3_T4_T5_mT6_P12ihipStream_tbENKUlT_T0_E_clISt17integral_constantIbLb1EESW_IbLb0EEEEDaSS_ST_EUlSS_E_NS1_11comp_targetILNS1_3genE3ELNS1_11target_archE908ELNS1_3gpuE7ELNS1_3repE0EEENS1_30default_config_static_selectorELNS0_4arch9wavefront6targetE1EEEvT1_
    .private_segment_fixed_size: 0
    .sgpr_count:     4
    .sgpr_spill_count: 0
    .symbol:         _ZN7rocprim17ROCPRIM_400000_NS6detail17trampoline_kernelINS0_14default_configENS1_20scan_config_selectorIfEEZZNS1_9scan_implILNS1_25lookback_scan_determinismE0ELb0ELb0ES3_N6thrust23THRUST_200600_302600_NS6detail15normal_iteratorINS9_10device_ptrIfEEEENS9_16discard_iteratorINS9_11use_defaultEEEfNS9_4plusIvEEfEEDaPvRmT3_T4_T5_mT6_P12ihipStream_tbENKUlT_T0_E_clISt17integral_constantIbLb1EESW_IbLb0EEEEDaSS_ST_EUlSS_E_NS1_11comp_targetILNS1_3genE3ELNS1_11target_archE908ELNS1_3gpuE7ELNS1_3repE0EEENS1_30default_config_static_selectorELNS0_4arch9wavefront6targetE1EEEvT1_.kd
    .uniform_work_group_size: 1
    .uses_dynamic_stack: false
    .vgpr_count:     0
    .vgpr_spill_count: 0
    .wavefront_size: 64
  - .agpr_count:     0
    .args:
      - .offset:         0
        .size:           104
        .value_kind:     by_value
    .group_segment_fixed_size: 0
    .kernarg_segment_align: 8
    .kernarg_segment_size: 104
    .language:       OpenCL C
    .language_version:
      - 2
      - 0
    .max_flat_workgroup_size: 256
    .name:           _ZN7rocprim17ROCPRIM_400000_NS6detail17trampoline_kernelINS0_14default_configENS1_20scan_config_selectorIfEEZZNS1_9scan_implILNS1_25lookback_scan_determinismE0ELb0ELb0ES3_N6thrust23THRUST_200600_302600_NS6detail15normal_iteratorINS9_10device_ptrIfEEEENS9_16discard_iteratorINS9_11use_defaultEEEfNS9_4plusIvEEfEEDaPvRmT3_T4_T5_mT6_P12ihipStream_tbENKUlT_T0_E_clISt17integral_constantIbLb1EESW_IbLb0EEEEDaSS_ST_EUlSS_E_NS1_11comp_targetILNS1_3genE2ELNS1_11target_archE906ELNS1_3gpuE6ELNS1_3repE0EEENS1_30default_config_static_selectorELNS0_4arch9wavefront6targetE1EEEvT1_
    .private_segment_fixed_size: 0
    .sgpr_count:     4
    .sgpr_spill_count: 0
    .symbol:         _ZN7rocprim17ROCPRIM_400000_NS6detail17trampoline_kernelINS0_14default_configENS1_20scan_config_selectorIfEEZZNS1_9scan_implILNS1_25lookback_scan_determinismE0ELb0ELb0ES3_N6thrust23THRUST_200600_302600_NS6detail15normal_iteratorINS9_10device_ptrIfEEEENS9_16discard_iteratorINS9_11use_defaultEEEfNS9_4plusIvEEfEEDaPvRmT3_T4_T5_mT6_P12ihipStream_tbENKUlT_T0_E_clISt17integral_constantIbLb1EESW_IbLb0EEEEDaSS_ST_EUlSS_E_NS1_11comp_targetILNS1_3genE2ELNS1_11target_archE906ELNS1_3gpuE6ELNS1_3repE0EEENS1_30default_config_static_selectorELNS0_4arch9wavefront6targetE1EEEvT1_.kd
    .uniform_work_group_size: 1
    .uses_dynamic_stack: false
    .vgpr_count:     0
    .vgpr_spill_count: 0
    .wavefront_size: 64
  - .agpr_count:     0
    .args:
      - .offset:         0
        .size:           104
        .value_kind:     by_value
    .group_segment_fixed_size: 0
    .kernarg_segment_align: 8
    .kernarg_segment_size: 104
    .language:       OpenCL C
    .language_version:
      - 2
      - 0
    .max_flat_workgroup_size: 256
    .name:           _ZN7rocprim17ROCPRIM_400000_NS6detail17trampoline_kernelINS0_14default_configENS1_20scan_config_selectorIfEEZZNS1_9scan_implILNS1_25lookback_scan_determinismE0ELb0ELb0ES3_N6thrust23THRUST_200600_302600_NS6detail15normal_iteratorINS9_10device_ptrIfEEEENS9_16discard_iteratorINS9_11use_defaultEEEfNS9_4plusIvEEfEEDaPvRmT3_T4_T5_mT6_P12ihipStream_tbENKUlT_T0_E_clISt17integral_constantIbLb1EESW_IbLb0EEEEDaSS_ST_EUlSS_E_NS1_11comp_targetILNS1_3genE10ELNS1_11target_archE1201ELNS1_3gpuE5ELNS1_3repE0EEENS1_30default_config_static_selectorELNS0_4arch9wavefront6targetE1EEEvT1_
    .private_segment_fixed_size: 0
    .sgpr_count:     4
    .sgpr_spill_count: 0
    .symbol:         _ZN7rocprim17ROCPRIM_400000_NS6detail17trampoline_kernelINS0_14default_configENS1_20scan_config_selectorIfEEZZNS1_9scan_implILNS1_25lookback_scan_determinismE0ELb0ELb0ES3_N6thrust23THRUST_200600_302600_NS6detail15normal_iteratorINS9_10device_ptrIfEEEENS9_16discard_iteratorINS9_11use_defaultEEEfNS9_4plusIvEEfEEDaPvRmT3_T4_T5_mT6_P12ihipStream_tbENKUlT_T0_E_clISt17integral_constantIbLb1EESW_IbLb0EEEEDaSS_ST_EUlSS_E_NS1_11comp_targetILNS1_3genE10ELNS1_11target_archE1201ELNS1_3gpuE5ELNS1_3repE0EEENS1_30default_config_static_selectorELNS0_4arch9wavefront6targetE1EEEvT1_.kd
    .uniform_work_group_size: 1
    .uses_dynamic_stack: false
    .vgpr_count:     0
    .vgpr_spill_count: 0
    .wavefront_size: 64
  - .agpr_count:     0
    .args:
      - .offset:         0
        .size:           104
        .value_kind:     by_value
    .group_segment_fixed_size: 0
    .kernarg_segment_align: 8
    .kernarg_segment_size: 104
    .language:       OpenCL C
    .language_version:
      - 2
      - 0
    .max_flat_workgroup_size: 256
    .name:           _ZN7rocprim17ROCPRIM_400000_NS6detail17trampoline_kernelINS0_14default_configENS1_20scan_config_selectorIfEEZZNS1_9scan_implILNS1_25lookback_scan_determinismE0ELb0ELb0ES3_N6thrust23THRUST_200600_302600_NS6detail15normal_iteratorINS9_10device_ptrIfEEEENS9_16discard_iteratorINS9_11use_defaultEEEfNS9_4plusIvEEfEEDaPvRmT3_T4_T5_mT6_P12ihipStream_tbENKUlT_T0_E_clISt17integral_constantIbLb1EESW_IbLb0EEEEDaSS_ST_EUlSS_E_NS1_11comp_targetILNS1_3genE10ELNS1_11target_archE1200ELNS1_3gpuE4ELNS1_3repE0EEENS1_30default_config_static_selectorELNS0_4arch9wavefront6targetE1EEEvT1_
    .private_segment_fixed_size: 0
    .sgpr_count:     4
    .sgpr_spill_count: 0
    .symbol:         _ZN7rocprim17ROCPRIM_400000_NS6detail17trampoline_kernelINS0_14default_configENS1_20scan_config_selectorIfEEZZNS1_9scan_implILNS1_25lookback_scan_determinismE0ELb0ELb0ES3_N6thrust23THRUST_200600_302600_NS6detail15normal_iteratorINS9_10device_ptrIfEEEENS9_16discard_iteratorINS9_11use_defaultEEEfNS9_4plusIvEEfEEDaPvRmT3_T4_T5_mT6_P12ihipStream_tbENKUlT_T0_E_clISt17integral_constantIbLb1EESW_IbLb0EEEEDaSS_ST_EUlSS_E_NS1_11comp_targetILNS1_3genE10ELNS1_11target_archE1200ELNS1_3gpuE4ELNS1_3repE0EEENS1_30default_config_static_selectorELNS0_4arch9wavefront6targetE1EEEvT1_.kd
    .uniform_work_group_size: 1
    .uses_dynamic_stack: false
    .vgpr_count:     0
    .vgpr_spill_count: 0
    .wavefront_size: 64
  - .agpr_count:     0
    .args:
      - .offset:         0
        .size:           104
        .value_kind:     by_value
    .group_segment_fixed_size: 0
    .kernarg_segment_align: 8
    .kernarg_segment_size: 104
    .language:       OpenCL C
    .language_version:
      - 2
      - 0
    .max_flat_workgroup_size: 256
    .name:           _ZN7rocprim17ROCPRIM_400000_NS6detail17trampoline_kernelINS0_14default_configENS1_20scan_config_selectorIfEEZZNS1_9scan_implILNS1_25lookback_scan_determinismE0ELb0ELb0ES3_N6thrust23THRUST_200600_302600_NS6detail15normal_iteratorINS9_10device_ptrIfEEEENS9_16discard_iteratorINS9_11use_defaultEEEfNS9_4plusIvEEfEEDaPvRmT3_T4_T5_mT6_P12ihipStream_tbENKUlT_T0_E_clISt17integral_constantIbLb1EESW_IbLb0EEEEDaSS_ST_EUlSS_E_NS1_11comp_targetILNS1_3genE9ELNS1_11target_archE1100ELNS1_3gpuE3ELNS1_3repE0EEENS1_30default_config_static_selectorELNS0_4arch9wavefront6targetE1EEEvT1_
    .private_segment_fixed_size: 0
    .sgpr_count:     4
    .sgpr_spill_count: 0
    .symbol:         _ZN7rocprim17ROCPRIM_400000_NS6detail17trampoline_kernelINS0_14default_configENS1_20scan_config_selectorIfEEZZNS1_9scan_implILNS1_25lookback_scan_determinismE0ELb0ELb0ES3_N6thrust23THRUST_200600_302600_NS6detail15normal_iteratorINS9_10device_ptrIfEEEENS9_16discard_iteratorINS9_11use_defaultEEEfNS9_4plusIvEEfEEDaPvRmT3_T4_T5_mT6_P12ihipStream_tbENKUlT_T0_E_clISt17integral_constantIbLb1EESW_IbLb0EEEEDaSS_ST_EUlSS_E_NS1_11comp_targetILNS1_3genE9ELNS1_11target_archE1100ELNS1_3gpuE3ELNS1_3repE0EEENS1_30default_config_static_selectorELNS0_4arch9wavefront6targetE1EEEvT1_.kd
    .uniform_work_group_size: 1
    .uses_dynamic_stack: false
    .vgpr_count:     0
    .vgpr_spill_count: 0
    .wavefront_size: 64
  - .agpr_count:     0
    .args:
      - .offset:         0
        .size:           104
        .value_kind:     by_value
    .group_segment_fixed_size: 0
    .kernarg_segment_align: 8
    .kernarg_segment_size: 104
    .language:       OpenCL C
    .language_version:
      - 2
      - 0
    .max_flat_workgroup_size: 64
    .name:           _ZN7rocprim17ROCPRIM_400000_NS6detail17trampoline_kernelINS0_14default_configENS1_20scan_config_selectorIfEEZZNS1_9scan_implILNS1_25lookback_scan_determinismE0ELb0ELb0ES3_N6thrust23THRUST_200600_302600_NS6detail15normal_iteratorINS9_10device_ptrIfEEEENS9_16discard_iteratorINS9_11use_defaultEEEfNS9_4plusIvEEfEEDaPvRmT3_T4_T5_mT6_P12ihipStream_tbENKUlT_T0_E_clISt17integral_constantIbLb1EESW_IbLb0EEEEDaSS_ST_EUlSS_E_NS1_11comp_targetILNS1_3genE8ELNS1_11target_archE1030ELNS1_3gpuE2ELNS1_3repE0EEENS1_30default_config_static_selectorELNS0_4arch9wavefront6targetE1EEEvT1_
    .private_segment_fixed_size: 0
    .sgpr_count:     4
    .sgpr_spill_count: 0
    .symbol:         _ZN7rocprim17ROCPRIM_400000_NS6detail17trampoline_kernelINS0_14default_configENS1_20scan_config_selectorIfEEZZNS1_9scan_implILNS1_25lookback_scan_determinismE0ELb0ELb0ES3_N6thrust23THRUST_200600_302600_NS6detail15normal_iteratorINS9_10device_ptrIfEEEENS9_16discard_iteratorINS9_11use_defaultEEEfNS9_4plusIvEEfEEDaPvRmT3_T4_T5_mT6_P12ihipStream_tbENKUlT_T0_E_clISt17integral_constantIbLb1EESW_IbLb0EEEEDaSS_ST_EUlSS_E_NS1_11comp_targetILNS1_3genE8ELNS1_11target_archE1030ELNS1_3gpuE2ELNS1_3repE0EEENS1_30default_config_static_selectorELNS0_4arch9wavefront6targetE1EEEvT1_.kd
    .uniform_work_group_size: 1
    .uses_dynamic_stack: false
    .vgpr_count:     0
    .vgpr_spill_count: 0
    .wavefront_size: 64
  - .agpr_count:     0
    .args:
      - .offset:         0
        .size:           40
        .value_kind:     by_value
    .group_segment_fixed_size: 0
    .kernarg_segment_align: 8
    .kernarg_segment_size: 40
    .language:       OpenCL C
    .language_version:
      - 2
      - 0
    .max_flat_workgroup_size: 256
    .name:           _ZN7rocprim17ROCPRIM_400000_NS6detail17trampoline_kernelINS0_14default_configENS1_20scan_config_selectorIfEEZZNS1_9scan_implILNS1_25lookback_scan_determinismE0ELb0ELb0ES3_N6thrust23THRUST_200600_302600_NS6detail15normal_iteratorINS9_10device_ptrIfEEEENS9_16discard_iteratorINS9_11use_defaultEEEfNS9_4plusIvEEfEEDaPvRmT3_T4_T5_mT6_P12ihipStream_tbENKUlT_T0_E_clISt17integral_constantIbLb1EESW_IbLb0EEEEDaSS_ST_EUlSS_E0_NS1_11comp_targetILNS1_3genE0ELNS1_11target_archE4294967295ELNS1_3gpuE0ELNS1_3repE0EEENS1_30default_config_static_selectorELNS0_4arch9wavefront6targetE1EEEvT1_
    .private_segment_fixed_size: 0
    .sgpr_count:     4
    .sgpr_spill_count: 0
    .symbol:         _ZN7rocprim17ROCPRIM_400000_NS6detail17trampoline_kernelINS0_14default_configENS1_20scan_config_selectorIfEEZZNS1_9scan_implILNS1_25lookback_scan_determinismE0ELb0ELb0ES3_N6thrust23THRUST_200600_302600_NS6detail15normal_iteratorINS9_10device_ptrIfEEEENS9_16discard_iteratorINS9_11use_defaultEEEfNS9_4plusIvEEfEEDaPvRmT3_T4_T5_mT6_P12ihipStream_tbENKUlT_T0_E_clISt17integral_constantIbLb1EESW_IbLb0EEEEDaSS_ST_EUlSS_E0_NS1_11comp_targetILNS1_3genE0ELNS1_11target_archE4294967295ELNS1_3gpuE0ELNS1_3repE0EEENS1_30default_config_static_selectorELNS0_4arch9wavefront6targetE1EEEvT1_.kd
    .uniform_work_group_size: 1
    .uses_dynamic_stack: false
    .vgpr_count:     0
    .vgpr_spill_count: 0
    .wavefront_size: 64
  - .agpr_count:     0
    .args:
      - .offset:         0
        .size:           40
        .value_kind:     by_value
    .group_segment_fixed_size: 0
    .kernarg_segment_align: 8
    .kernarg_segment_size: 40
    .language:       OpenCL C
    .language_version:
      - 2
      - 0
    .max_flat_workgroup_size: 256
    .name:           _ZN7rocprim17ROCPRIM_400000_NS6detail17trampoline_kernelINS0_14default_configENS1_20scan_config_selectorIfEEZZNS1_9scan_implILNS1_25lookback_scan_determinismE0ELb0ELb0ES3_N6thrust23THRUST_200600_302600_NS6detail15normal_iteratorINS9_10device_ptrIfEEEENS9_16discard_iteratorINS9_11use_defaultEEEfNS9_4plusIvEEfEEDaPvRmT3_T4_T5_mT6_P12ihipStream_tbENKUlT_T0_E_clISt17integral_constantIbLb1EESW_IbLb0EEEEDaSS_ST_EUlSS_E0_NS1_11comp_targetILNS1_3genE5ELNS1_11target_archE942ELNS1_3gpuE9ELNS1_3repE0EEENS1_30default_config_static_selectorELNS0_4arch9wavefront6targetE1EEEvT1_
    .private_segment_fixed_size: 0
    .sgpr_count:     4
    .sgpr_spill_count: 0
    .symbol:         _ZN7rocprim17ROCPRIM_400000_NS6detail17trampoline_kernelINS0_14default_configENS1_20scan_config_selectorIfEEZZNS1_9scan_implILNS1_25lookback_scan_determinismE0ELb0ELb0ES3_N6thrust23THRUST_200600_302600_NS6detail15normal_iteratorINS9_10device_ptrIfEEEENS9_16discard_iteratorINS9_11use_defaultEEEfNS9_4plusIvEEfEEDaPvRmT3_T4_T5_mT6_P12ihipStream_tbENKUlT_T0_E_clISt17integral_constantIbLb1EESW_IbLb0EEEEDaSS_ST_EUlSS_E0_NS1_11comp_targetILNS1_3genE5ELNS1_11target_archE942ELNS1_3gpuE9ELNS1_3repE0EEENS1_30default_config_static_selectorELNS0_4arch9wavefront6targetE1EEEvT1_.kd
    .uniform_work_group_size: 1
    .uses_dynamic_stack: false
    .vgpr_count:     0
    .vgpr_spill_count: 0
    .wavefront_size: 64
  - .agpr_count:     0
    .args:
      - .offset:         0
        .size:           40
        .value_kind:     by_value
    .group_segment_fixed_size: 7168
    .kernarg_segment_align: 8
    .kernarg_segment_size: 40
    .language:       OpenCL C
    .language_version:
      - 2
      - 0
    .max_flat_workgroup_size: 128
    .name:           _ZN7rocprim17ROCPRIM_400000_NS6detail17trampoline_kernelINS0_14default_configENS1_20scan_config_selectorIfEEZZNS1_9scan_implILNS1_25lookback_scan_determinismE0ELb0ELb0ES3_N6thrust23THRUST_200600_302600_NS6detail15normal_iteratorINS9_10device_ptrIfEEEENS9_16discard_iteratorINS9_11use_defaultEEEfNS9_4plusIvEEfEEDaPvRmT3_T4_T5_mT6_P12ihipStream_tbENKUlT_T0_E_clISt17integral_constantIbLb1EESW_IbLb0EEEEDaSS_ST_EUlSS_E0_NS1_11comp_targetILNS1_3genE4ELNS1_11target_archE910ELNS1_3gpuE8ELNS1_3repE0EEENS1_30default_config_static_selectorELNS0_4arch9wavefront6targetE1EEEvT1_
    .private_segment_fixed_size: 0
    .sgpr_count:     10
    .sgpr_spill_count: 0
    .symbol:         _ZN7rocprim17ROCPRIM_400000_NS6detail17trampoline_kernelINS0_14default_configENS1_20scan_config_selectorIfEEZZNS1_9scan_implILNS1_25lookback_scan_determinismE0ELb0ELb0ES3_N6thrust23THRUST_200600_302600_NS6detail15normal_iteratorINS9_10device_ptrIfEEEENS9_16discard_iteratorINS9_11use_defaultEEEfNS9_4plusIvEEfEEDaPvRmT3_T4_T5_mT6_P12ihipStream_tbENKUlT_T0_E_clISt17integral_constantIbLb1EESW_IbLb0EEEEDaSS_ST_EUlSS_E0_NS1_11comp_targetILNS1_3genE4ELNS1_11target_archE910ELNS1_3gpuE8ELNS1_3repE0EEENS1_30default_config_static_selectorELNS0_4arch9wavefront6targetE1EEEvT1_.kd
    .uniform_work_group_size: 1
    .uses_dynamic_stack: false
    .vgpr_count:     36
    .vgpr_spill_count: 0
    .wavefront_size: 64
  - .agpr_count:     0
    .args:
      - .offset:         0
        .size:           40
        .value_kind:     by_value
    .group_segment_fixed_size: 0
    .kernarg_segment_align: 8
    .kernarg_segment_size: 40
    .language:       OpenCL C
    .language_version:
      - 2
      - 0
    .max_flat_workgroup_size: 256
    .name:           _ZN7rocprim17ROCPRIM_400000_NS6detail17trampoline_kernelINS0_14default_configENS1_20scan_config_selectorIfEEZZNS1_9scan_implILNS1_25lookback_scan_determinismE0ELb0ELb0ES3_N6thrust23THRUST_200600_302600_NS6detail15normal_iteratorINS9_10device_ptrIfEEEENS9_16discard_iteratorINS9_11use_defaultEEEfNS9_4plusIvEEfEEDaPvRmT3_T4_T5_mT6_P12ihipStream_tbENKUlT_T0_E_clISt17integral_constantIbLb1EESW_IbLb0EEEEDaSS_ST_EUlSS_E0_NS1_11comp_targetILNS1_3genE3ELNS1_11target_archE908ELNS1_3gpuE7ELNS1_3repE0EEENS1_30default_config_static_selectorELNS0_4arch9wavefront6targetE1EEEvT1_
    .private_segment_fixed_size: 0
    .sgpr_count:     4
    .sgpr_spill_count: 0
    .symbol:         _ZN7rocprim17ROCPRIM_400000_NS6detail17trampoline_kernelINS0_14default_configENS1_20scan_config_selectorIfEEZZNS1_9scan_implILNS1_25lookback_scan_determinismE0ELb0ELb0ES3_N6thrust23THRUST_200600_302600_NS6detail15normal_iteratorINS9_10device_ptrIfEEEENS9_16discard_iteratorINS9_11use_defaultEEEfNS9_4plusIvEEfEEDaPvRmT3_T4_T5_mT6_P12ihipStream_tbENKUlT_T0_E_clISt17integral_constantIbLb1EESW_IbLb0EEEEDaSS_ST_EUlSS_E0_NS1_11comp_targetILNS1_3genE3ELNS1_11target_archE908ELNS1_3gpuE7ELNS1_3repE0EEENS1_30default_config_static_selectorELNS0_4arch9wavefront6targetE1EEEvT1_.kd
    .uniform_work_group_size: 1
    .uses_dynamic_stack: false
    .vgpr_count:     0
    .vgpr_spill_count: 0
    .wavefront_size: 64
  - .agpr_count:     0
    .args:
      - .offset:         0
        .size:           40
        .value_kind:     by_value
    .group_segment_fixed_size: 0
    .kernarg_segment_align: 8
    .kernarg_segment_size: 40
    .language:       OpenCL C
    .language_version:
      - 2
      - 0
    .max_flat_workgroup_size: 256
    .name:           _ZN7rocprim17ROCPRIM_400000_NS6detail17trampoline_kernelINS0_14default_configENS1_20scan_config_selectorIfEEZZNS1_9scan_implILNS1_25lookback_scan_determinismE0ELb0ELb0ES3_N6thrust23THRUST_200600_302600_NS6detail15normal_iteratorINS9_10device_ptrIfEEEENS9_16discard_iteratorINS9_11use_defaultEEEfNS9_4plusIvEEfEEDaPvRmT3_T4_T5_mT6_P12ihipStream_tbENKUlT_T0_E_clISt17integral_constantIbLb1EESW_IbLb0EEEEDaSS_ST_EUlSS_E0_NS1_11comp_targetILNS1_3genE2ELNS1_11target_archE906ELNS1_3gpuE6ELNS1_3repE0EEENS1_30default_config_static_selectorELNS0_4arch9wavefront6targetE1EEEvT1_
    .private_segment_fixed_size: 0
    .sgpr_count:     4
    .sgpr_spill_count: 0
    .symbol:         _ZN7rocprim17ROCPRIM_400000_NS6detail17trampoline_kernelINS0_14default_configENS1_20scan_config_selectorIfEEZZNS1_9scan_implILNS1_25lookback_scan_determinismE0ELb0ELb0ES3_N6thrust23THRUST_200600_302600_NS6detail15normal_iteratorINS9_10device_ptrIfEEEENS9_16discard_iteratorINS9_11use_defaultEEEfNS9_4plusIvEEfEEDaPvRmT3_T4_T5_mT6_P12ihipStream_tbENKUlT_T0_E_clISt17integral_constantIbLb1EESW_IbLb0EEEEDaSS_ST_EUlSS_E0_NS1_11comp_targetILNS1_3genE2ELNS1_11target_archE906ELNS1_3gpuE6ELNS1_3repE0EEENS1_30default_config_static_selectorELNS0_4arch9wavefront6targetE1EEEvT1_.kd
    .uniform_work_group_size: 1
    .uses_dynamic_stack: false
    .vgpr_count:     0
    .vgpr_spill_count: 0
    .wavefront_size: 64
  - .agpr_count:     0
    .args:
      - .offset:         0
        .size:           40
        .value_kind:     by_value
    .group_segment_fixed_size: 0
    .kernarg_segment_align: 8
    .kernarg_segment_size: 40
    .language:       OpenCL C
    .language_version:
      - 2
      - 0
    .max_flat_workgroup_size: 256
    .name:           _ZN7rocprim17ROCPRIM_400000_NS6detail17trampoline_kernelINS0_14default_configENS1_20scan_config_selectorIfEEZZNS1_9scan_implILNS1_25lookback_scan_determinismE0ELb0ELb0ES3_N6thrust23THRUST_200600_302600_NS6detail15normal_iteratorINS9_10device_ptrIfEEEENS9_16discard_iteratorINS9_11use_defaultEEEfNS9_4plusIvEEfEEDaPvRmT3_T4_T5_mT6_P12ihipStream_tbENKUlT_T0_E_clISt17integral_constantIbLb1EESW_IbLb0EEEEDaSS_ST_EUlSS_E0_NS1_11comp_targetILNS1_3genE10ELNS1_11target_archE1201ELNS1_3gpuE5ELNS1_3repE0EEENS1_30default_config_static_selectorELNS0_4arch9wavefront6targetE1EEEvT1_
    .private_segment_fixed_size: 0
    .sgpr_count:     4
    .sgpr_spill_count: 0
    .symbol:         _ZN7rocprim17ROCPRIM_400000_NS6detail17trampoline_kernelINS0_14default_configENS1_20scan_config_selectorIfEEZZNS1_9scan_implILNS1_25lookback_scan_determinismE0ELb0ELb0ES3_N6thrust23THRUST_200600_302600_NS6detail15normal_iteratorINS9_10device_ptrIfEEEENS9_16discard_iteratorINS9_11use_defaultEEEfNS9_4plusIvEEfEEDaPvRmT3_T4_T5_mT6_P12ihipStream_tbENKUlT_T0_E_clISt17integral_constantIbLb1EESW_IbLb0EEEEDaSS_ST_EUlSS_E0_NS1_11comp_targetILNS1_3genE10ELNS1_11target_archE1201ELNS1_3gpuE5ELNS1_3repE0EEENS1_30default_config_static_selectorELNS0_4arch9wavefront6targetE1EEEvT1_.kd
    .uniform_work_group_size: 1
    .uses_dynamic_stack: false
    .vgpr_count:     0
    .vgpr_spill_count: 0
    .wavefront_size: 64
  - .agpr_count:     0
    .args:
      - .offset:         0
        .size:           40
        .value_kind:     by_value
    .group_segment_fixed_size: 0
    .kernarg_segment_align: 8
    .kernarg_segment_size: 40
    .language:       OpenCL C
    .language_version:
      - 2
      - 0
    .max_flat_workgroup_size: 256
    .name:           _ZN7rocprim17ROCPRIM_400000_NS6detail17trampoline_kernelINS0_14default_configENS1_20scan_config_selectorIfEEZZNS1_9scan_implILNS1_25lookback_scan_determinismE0ELb0ELb0ES3_N6thrust23THRUST_200600_302600_NS6detail15normal_iteratorINS9_10device_ptrIfEEEENS9_16discard_iteratorINS9_11use_defaultEEEfNS9_4plusIvEEfEEDaPvRmT3_T4_T5_mT6_P12ihipStream_tbENKUlT_T0_E_clISt17integral_constantIbLb1EESW_IbLb0EEEEDaSS_ST_EUlSS_E0_NS1_11comp_targetILNS1_3genE10ELNS1_11target_archE1200ELNS1_3gpuE4ELNS1_3repE0EEENS1_30default_config_static_selectorELNS0_4arch9wavefront6targetE1EEEvT1_
    .private_segment_fixed_size: 0
    .sgpr_count:     4
    .sgpr_spill_count: 0
    .symbol:         _ZN7rocprim17ROCPRIM_400000_NS6detail17trampoline_kernelINS0_14default_configENS1_20scan_config_selectorIfEEZZNS1_9scan_implILNS1_25lookback_scan_determinismE0ELb0ELb0ES3_N6thrust23THRUST_200600_302600_NS6detail15normal_iteratorINS9_10device_ptrIfEEEENS9_16discard_iteratorINS9_11use_defaultEEEfNS9_4plusIvEEfEEDaPvRmT3_T4_T5_mT6_P12ihipStream_tbENKUlT_T0_E_clISt17integral_constantIbLb1EESW_IbLb0EEEEDaSS_ST_EUlSS_E0_NS1_11comp_targetILNS1_3genE10ELNS1_11target_archE1200ELNS1_3gpuE4ELNS1_3repE0EEENS1_30default_config_static_selectorELNS0_4arch9wavefront6targetE1EEEvT1_.kd
    .uniform_work_group_size: 1
    .uses_dynamic_stack: false
    .vgpr_count:     0
    .vgpr_spill_count: 0
    .wavefront_size: 64
  - .agpr_count:     0
    .args:
      - .offset:         0
        .size:           40
        .value_kind:     by_value
    .group_segment_fixed_size: 0
    .kernarg_segment_align: 8
    .kernarg_segment_size: 40
    .language:       OpenCL C
    .language_version:
      - 2
      - 0
    .max_flat_workgroup_size: 256
    .name:           _ZN7rocprim17ROCPRIM_400000_NS6detail17trampoline_kernelINS0_14default_configENS1_20scan_config_selectorIfEEZZNS1_9scan_implILNS1_25lookback_scan_determinismE0ELb0ELb0ES3_N6thrust23THRUST_200600_302600_NS6detail15normal_iteratorINS9_10device_ptrIfEEEENS9_16discard_iteratorINS9_11use_defaultEEEfNS9_4plusIvEEfEEDaPvRmT3_T4_T5_mT6_P12ihipStream_tbENKUlT_T0_E_clISt17integral_constantIbLb1EESW_IbLb0EEEEDaSS_ST_EUlSS_E0_NS1_11comp_targetILNS1_3genE9ELNS1_11target_archE1100ELNS1_3gpuE3ELNS1_3repE0EEENS1_30default_config_static_selectorELNS0_4arch9wavefront6targetE1EEEvT1_
    .private_segment_fixed_size: 0
    .sgpr_count:     4
    .sgpr_spill_count: 0
    .symbol:         _ZN7rocprim17ROCPRIM_400000_NS6detail17trampoline_kernelINS0_14default_configENS1_20scan_config_selectorIfEEZZNS1_9scan_implILNS1_25lookback_scan_determinismE0ELb0ELb0ES3_N6thrust23THRUST_200600_302600_NS6detail15normal_iteratorINS9_10device_ptrIfEEEENS9_16discard_iteratorINS9_11use_defaultEEEfNS9_4plusIvEEfEEDaPvRmT3_T4_T5_mT6_P12ihipStream_tbENKUlT_T0_E_clISt17integral_constantIbLb1EESW_IbLb0EEEEDaSS_ST_EUlSS_E0_NS1_11comp_targetILNS1_3genE9ELNS1_11target_archE1100ELNS1_3gpuE3ELNS1_3repE0EEENS1_30default_config_static_selectorELNS0_4arch9wavefront6targetE1EEEvT1_.kd
    .uniform_work_group_size: 1
    .uses_dynamic_stack: false
    .vgpr_count:     0
    .vgpr_spill_count: 0
    .wavefront_size: 64
  - .agpr_count:     0
    .args:
      - .offset:         0
        .size:           40
        .value_kind:     by_value
    .group_segment_fixed_size: 0
    .kernarg_segment_align: 8
    .kernarg_segment_size: 40
    .language:       OpenCL C
    .language_version:
      - 2
      - 0
    .max_flat_workgroup_size: 64
    .name:           _ZN7rocprim17ROCPRIM_400000_NS6detail17trampoline_kernelINS0_14default_configENS1_20scan_config_selectorIfEEZZNS1_9scan_implILNS1_25lookback_scan_determinismE0ELb0ELb0ES3_N6thrust23THRUST_200600_302600_NS6detail15normal_iteratorINS9_10device_ptrIfEEEENS9_16discard_iteratorINS9_11use_defaultEEEfNS9_4plusIvEEfEEDaPvRmT3_T4_T5_mT6_P12ihipStream_tbENKUlT_T0_E_clISt17integral_constantIbLb1EESW_IbLb0EEEEDaSS_ST_EUlSS_E0_NS1_11comp_targetILNS1_3genE8ELNS1_11target_archE1030ELNS1_3gpuE2ELNS1_3repE0EEENS1_30default_config_static_selectorELNS0_4arch9wavefront6targetE1EEEvT1_
    .private_segment_fixed_size: 0
    .sgpr_count:     4
    .sgpr_spill_count: 0
    .symbol:         _ZN7rocprim17ROCPRIM_400000_NS6detail17trampoline_kernelINS0_14default_configENS1_20scan_config_selectorIfEEZZNS1_9scan_implILNS1_25lookback_scan_determinismE0ELb0ELb0ES3_N6thrust23THRUST_200600_302600_NS6detail15normal_iteratorINS9_10device_ptrIfEEEENS9_16discard_iteratorINS9_11use_defaultEEEfNS9_4plusIvEEfEEDaPvRmT3_T4_T5_mT6_P12ihipStream_tbENKUlT_T0_E_clISt17integral_constantIbLb1EESW_IbLb0EEEEDaSS_ST_EUlSS_E0_NS1_11comp_targetILNS1_3genE8ELNS1_11target_archE1030ELNS1_3gpuE2ELNS1_3repE0EEENS1_30default_config_static_selectorELNS0_4arch9wavefront6targetE1EEEvT1_.kd
    .uniform_work_group_size: 1
    .uses_dynamic_stack: false
    .vgpr_count:     0
    .vgpr_spill_count: 0
    .wavefront_size: 64
  - .agpr_count:     0
    .args:
      - .offset:         0
        .size:           104
        .value_kind:     by_value
    .group_segment_fixed_size: 0
    .kernarg_segment_align: 8
    .kernarg_segment_size: 104
    .language:       OpenCL C
    .language_version:
      - 2
      - 0
    .max_flat_workgroup_size: 256
    .name:           _ZN7rocprim17ROCPRIM_400000_NS6detail17trampoline_kernelINS0_14default_configENS1_20scan_config_selectorIfEEZZNS1_9scan_implILNS1_25lookback_scan_determinismE0ELb0ELb0ES3_N6thrust23THRUST_200600_302600_NS6detail15normal_iteratorINS9_10device_ptrIfEEEENS9_16discard_iteratorINS9_11use_defaultEEEfNS9_4plusIvEEfEEDaPvRmT3_T4_T5_mT6_P12ihipStream_tbENKUlT_T0_E_clISt17integral_constantIbLb0EESW_IbLb1EEEEDaSS_ST_EUlSS_E_NS1_11comp_targetILNS1_3genE0ELNS1_11target_archE4294967295ELNS1_3gpuE0ELNS1_3repE0EEENS1_30default_config_static_selectorELNS0_4arch9wavefront6targetE1EEEvT1_
    .private_segment_fixed_size: 0
    .sgpr_count:     4
    .sgpr_spill_count: 0
    .symbol:         _ZN7rocprim17ROCPRIM_400000_NS6detail17trampoline_kernelINS0_14default_configENS1_20scan_config_selectorIfEEZZNS1_9scan_implILNS1_25lookback_scan_determinismE0ELb0ELb0ES3_N6thrust23THRUST_200600_302600_NS6detail15normal_iteratorINS9_10device_ptrIfEEEENS9_16discard_iteratorINS9_11use_defaultEEEfNS9_4plusIvEEfEEDaPvRmT3_T4_T5_mT6_P12ihipStream_tbENKUlT_T0_E_clISt17integral_constantIbLb0EESW_IbLb1EEEEDaSS_ST_EUlSS_E_NS1_11comp_targetILNS1_3genE0ELNS1_11target_archE4294967295ELNS1_3gpuE0ELNS1_3repE0EEENS1_30default_config_static_selectorELNS0_4arch9wavefront6targetE1EEEvT1_.kd
    .uniform_work_group_size: 1
    .uses_dynamic_stack: false
    .vgpr_count:     0
    .vgpr_spill_count: 0
    .wavefront_size: 64
  - .agpr_count:     0
    .args:
      - .offset:         0
        .size:           104
        .value_kind:     by_value
    .group_segment_fixed_size: 0
    .kernarg_segment_align: 8
    .kernarg_segment_size: 104
    .language:       OpenCL C
    .language_version:
      - 2
      - 0
    .max_flat_workgroup_size: 256
    .name:           _ZN7rocprim17ROCPRIM_400000_NS6detail17trampoline_kernelINS0_14default_configENS1_20scan_config_selectorIfEEZZNS1_9scan_implILNS1_25lookback_scan_determinismE0ELb0ELb0ES3_N6thrust23THRUST_200600_302600_NS6detail15normal_iteratorINS9_10device_ptrIfEEEENS9_16discard_iteratorINS9_11use_defaultEEEfNS9_4plusIvEEfEEDaPvRmT3_T4_T5_mT6_P12ihipStream_tbENKUlT_T0_E_clISt17integral_constantIbLb0EESW_IbLb1EEEEDaSS_ST_EUlSS_E_NS1_11comp_targetILNS1_3genE5ELNS1_11target_archE942ELNS1_3gpuE9ELNS1_3repE0EEENS1_30default_config_static_selectorELNS0_4arch9wavefront6targetE1EEEvT1_
    .private_segment_fixed_size: 0
    .sgpr_count:     4
    .sgpr_spill_count: 0
    .symbol:         _ZN7rocprim17ROCPRIM_400000_NS6detail17trampoline_kernelINS0_14default_configENS1_20scan_config_selectorIfEEZZNS1_9scan_implILNS1_25lookback_scan_determinismE0ELb0ELb0ES3_N6thrust23THRUST_200600_302600_NS6detail15normal_iteratorINS9_10device_ptrIfEEEENS9_16discard_iteratorINS9_11use_defaultEEEfNS9_4plusIvEEfEEDaPvRmT3_T4_T5_mT6_P12ihipStream_tbENKUlT_T0_E_clISt17integral_constantIbLb0EESW_IbLb1EEEEDaSS_ST_EUlSS_E_NS1_11comp_targetILNS1_3genE5ELNS1_11target_archE942ELNS1_3gpuE9ELNS1_3repE0EEENS1_30default_config_static_selectorELNS0_4arch9wavefront6targetE1EEEvT1_.kd
    .uniform_work_group_size: 1
    .uses_dynamic_stack: false
    .vgpr_count:     0
    .vgpr_spill_count: 0
    .wavefront_size: 64
  - .agpr_count:     0
    .args:
      - .offset:         0
        .size:           104
        .value_kind:     by_value
    .group_segment_fixed_size: 7168
    .kernarg_segment_align: 8
    .kernarg_segment_size: 104
    .language:       OpenCL C
    .language_version:
      - 2
      - 0
    .max_flat_workgroup_size: 128
    .name:           _ZN7rocprim17ROCPRIM_400000_NS6detail17trampoline_kernelINS0_14default_configENS1_20scan_config_selectorIfEEZZNS1_9scan_implILNS1_25lookback_scan_determinismE0ELb0ELb0ES3_N6thrust23THRUST_200600_302600_NS6detail15normal_iteratorINS9_10device_ptrIfEEEENS9_16discard_iteratorINS9_11use_defaultEEEfNS9_4plusIvEEfEEDaPvRmT3_T4_T5_mT6_P12ihipStream_tbENKUlT_T0_E_clISt17integral_constantIbLb0EESW_IbLb1EEEEDaSS_ST_EUlSS_E_NS1_11comp_targetILNS1_3genE4ELNS1_11target_archE910ELNS1_3gpuE8ELNS1_3repE0EEENS1_30default_config_static_selectorELNS0_4arch9wavefront6targetE1EEEvT1_
    .private_segment_fixed_size: 0
    .sgpr_count:     35
    .sgpr_spill_count: 0
    .symbol:         _ZN7rocprim17ROCPRIM_400000_NS6detail17trampoline_kernelINS0_14default_configENS1_20scan_config_selectorIfEEZZNS1_9scan_implILNS1_25lookback_scan_determinismE0ELb0ELb0ES3_N6thrust23THRUST_200600_302600_NS6detail15normal_iteratorINS9_10device_ptrIfEEEENS9_16discard_iteratorINS9_11use_defaultEEEfNS9_4plusIvEEfEEDaPvRmT3_T4_T5_mT6_P12ihipStream_tbENKUlT_T0_E_clISt17integral_constantIbLb0EESW_IbLb1EEEEDaSS_ST_EUlSS_E_NS1_11comp_targetILNS1_3genE4ELNS1_11target_archE910ELNS1_3gpuE8ELNS1_3repE0EEENS1_30default_config_static_selectorELNS0_4arch9wavefront6targetE1EEEvT1_.kd
    .uniform_work_group_size: 1
    .uses_dynamic_stack: false
    .vgpr_count:     47
    .vgpr_spill_count: 0
    .wavefront_size: 64
  - .agpr_count:     0
    .args:
      - .offset:         0
        .size:           104
        .value_kind:     by_value
    .group_segment_fixed_size: 0
    .kernarg_segment_align: 8
    .kernarg_segment_size: 104
    .language:       OpenCL C
    .language_version:
      - 2
      - 0
    .max_flat_workgroup_size: 256
    .name:           _ZN7rocprim17ROCPRIM_400000_NS6detail17trampoline_kernelINS0_14default_configENS1_20scan_config_selectorIfEEZZNS1_9scan_implILNS1_25lookback_scan_determinismE0ELb0ELb0ES3_N6thrust23THRUST_200600_302600_NS6detail15normal_iteratorINS9_10device_ptrIfEEEENS9_16discard_iteratorINS9_11use_defaultEEEfNS9_4plusIvEEfEEDaPvRmT3_T4_T5_mT6_P12ihipStream_tbENKUlT_T0_E_clISt17integral_constantIbLb0EESW_IbLb1EEEEDaSS_ST_EUlSS_E_NS1_11comp_targetILNS1_3genE3ELNS1_11target_archE908ELNS1_3gpuE7ELNS1_3repE0EEENS1_30default_config_static_selectorELNS0_4arch9wavefront6targetE1EEEvT1_
    .private_segment_fixed_size: 0
    .sgpr_count:     4
    .sgpr_spill_count: 0
    .symbol:         _ZN7rocprim17ROCPRIM_400000_NS6detail17trampoline_kernelINS0_14default_configENS1_20scan_config_selectorIfEEZZNS1_9scan_implILNS1_25lookback_scan_determinismE0ELb0ELb0ES3_N6thrust23THRUST_200600_302600_NS6detail15normal_iteratorINS9_10device_ptrIfEEEENS9_16discard_iteratorINS9_11use_defaultEEEfNS9_4plusIvEEfEEDaPvRmT3_T4_T5_mT6_P12ihipStream_tbENKUlT_T0_E_clISt17integral_constantIbLb0EESW_IbLb1EEEEDaSS_ST_EUlSS_E_NS1_11comp_targetILNS1_3genE3ELNS1_11target_archE908ELNS1_3gpuE7ELNS1_3repE0EEENS1_30default_config_static_selectorELNS0_4arch9wavefront6targetE1EEEvT1_.kd
    .uniform_work_group_size: 1
    .uses_dynamic_stack: false
    .vgpr_count:     0
    .vgpr_spill_count: 0
    .wavefront_size: 64
  - .agpr_count:     0
    .args:
      - .offset:         0
        .size:           104
        .value_kind:     by_value
    .group_segment_fixed_size: 0
    .kernarg_segment_align: 8
    .kernarg_segment_size: 104
    .language:       OpenCL C
    .language_version:
      - 2
      - 0
    .max_flat_workgroup_size: 256
    .name:           _ZN7rocprim17ROCPRIM_400000_NS6detail17trampoline_kernelINS0_14default_configENS1_20scan_config_selectorIfEEZZNS1_9scan_implILNS1_25lookback_scan_determinismE0ELb0ELb0ES3_N6thrust23THRUST_200600_302600_NS6detail15normal_iteratorINS9_10device_ptrIfEEEENS9_16discard_iteratorINS9_11use_defaultEEEfNS9_4plusIvEEfEEDaPvRmT3_T4_T5_mT6_P12ihipStream_tbENKUlT_T0_E_clISt17integral_constantIbLb0EESW_IbLb1EEEEDaSS_ST_EUlSS_E_NS1_11comp_targetILNS1_3genE2ELNS1_11target_archE906ELNS1_3gpuE6ELNS1_3repE0EEENS1_30default_config_static_selectorELNS0_4arch9wavefront6targetE1EEEvT1_
    .private_segment_fixed_size: 0
    .sgpr_count:     4
    .sgpr_spill_count: 0
    .symbol:         _ZN7rocprim17ROCPRIM_400000_NS6detail17trampoline_kernelINS0_14default_configENS1_20scan_config_selectorIfEEZZNS1_9scan_implILNS1_25lookback_scan_determinismE0ELb0ELb0ES3_N6thrust23THRUST_200600_302600_NS6detail15normal_iteratorINS9_10device_ptrIfEEEENS9_16discard_iteratorINS9_11use_defaultEEEfNS9_4plusIvEEfEEDaPvRmT3_T4_T5_mT6_P12ihipStream_tbENKUlT_T0_E_clISt17integral_constantIbLb0EESW_IbLb1EEEEDaSS_ST_EUlSS_E_NS1_11comp_targetILNS1_3genE2ELNS1_11target_archE906ELNS1_3gpuE6ELNS1_3repE0EEENS1_30default_config_static_selectorELNS0_4arch9wavefront6targetE1EEEvT1_.kd
    .uniform_work_group_size: 1
    .uses_dynamic_stack: false
    .vgpr_count:     0
    .vgpr_spill_count: 0
    .wavefront_size: 64
  - .agpr_count:     0
    .args:
      - .offset:         0
        .size:           104
        .value_kind:     by_value
    .group_segment_fixed_size: 0
    .kernarg_segment_align: 8
    .kernarg_segment_size: 104
    .language:       OpenCL C
    .language_version:
      - 2
      - 0
    .max_flat_workgroup_size: 256
    .name:           _ZN7rocprim17ROCPRIM_400000_NS6detail17trampoline_kernelINS0_14default_configENS1_20scan_config_selectorIfEEZZNS1_9scan_implILNS1_25lookback_scan_determinismE0ELb0ELb0ES3_N6thrust23THRUST_200600_302600_NS6detail15normal_iteratorINS9_10device_ptrIfEEEENS9_16discard_iteratorINS9_11use_defaultEEEfNS9_4plusIvEEfEEDaPvRmT3_T4_T5_mT6_P12ihipStream_tbENKUlT_T0_E_clISt17integral_constantIbLb0EESW_IbLb1EEEEDaSS_ST_EUlSS_E_NS1_11comp_targetILNS1_3genE10ELNS1_11target_archE1201ELNS1_3gpuE5ELNS1_3repE0EEENS1_30default_config_static_selectorELNS0_4arch9wavefront6targetE1EEEvT1_
    .private_segment_fixed_size: 0
    .sgpr_count:     4
    .sgpr_spill_count: 0
    .symbol:         _ZN7rocprim17ROCPRIM_400000_NS6detail17trampoline_kernelINS0_14default_configENS1_20scan_config_selectorIfEEZZNS1_9scan_implILNS1_25lookback_scan_determinismE0ELb0ELb0ES3_N6thrust23THRUST_200600_302600_NS6detail15normal_iteratorINS9_10device_ptrIfEEEENS9_16discard_iteratorINS9_11use_defaultEEEfNS9_4plusIvEEfEEDaPvRmT3_T4_T5_mT6_P12ihipStream_tbENKUlT_T0_E_clISt17integral_constantIbLb0EESW_IbLb1EEEEDaSS_ST_EUlSS_E_NS1_11comp_targetILNS1_3genE10ELNS1_11target_archE1201ELNS1_3gpuE5ELNS1_3repE0EEENS1_30default_config_static_selectorELNS0_4arch9wavefront6targetE1EEEvT1_.kd
    .uniform_work_group_size: 1
    .uses_dynamic_stack: false
    .vgpr_count:     0
    .vgpr_spill_count: 0
    .wavefront_size: 64
  - .agpr_count:     0
    .args:
      - .offset:         0
        .size:           104
        .value_kind:     by_value
    .group_segment_fixed_size: 0
    .kernarg_segment_align: 8
    .kernarg_segment_size: 104
    .language:       OpenCL C
    .language_version:
      - 2
      - 0
    .max_flat_workgroup_size: 256
    .name:           _ZN7rocprim17ROCPRIM_400000_NS6detail17trampoline_kernelINS0_14default_configENS1_20scan_config_selectorIfEEZZNS1_9scan_implILNS1_25lookback_scan_determinismE0ELb0ELb0ES3_N6thrust23THRUST_200600_302600_NS6detail15normal_iteratorINS9_10device_ptrIfEEEENS9_16discard_iteratorINS9_11use_defaultEEEfNS9_4plusIvEEfEEDaPvRmT3_T4_T5_mT6_P12ihipStream_tbENKUlT_T0_E_clISt17integral_constantIbLb0EESW_IbLb1EEEEDaSS_ST_EUlSS_E_NS1_11comp_targetILNS1_3genE10ELNS1_11target_archE1200ELNS1_3gpuE4ELNS1_3repE0EEENS1_30default_config_static_selectorELNS0_4arch9wavefront6targetE1EEEvT1_
    .private_segment_fixed_size: 0
    .sgpr_count:     4
    .sgpr_spill_count: 0
    .symbol:         _ZN7rocprim17ROCPRIM_400000_NS6detail17trampoline_kernelINS0_14default_configENS1_20scan_config_selectorIfEEZZNS1_9scan_implILNS1_25lookback_scan_determinismE0ELb0ELb0ES3_N6thrust23THRUST_200600_302600_NS6detail15normal_iteratorINS9_10device_ptrIfEEEENS9_16discard_iteratorINS9_11use_defaultEEEfNS9_4plusIvEEfEEDaPvRmT3_T4_T5_mT6_P12ihipStream_tbENKUlT_T0_E_clISt17integral_constantIbLb0EESW_IbLb1EEEEDaSS_ST_EUlSS_E_NS1_11comp_targetILNS1_3genE10ELNS1_11target_archE1200ELNS1_3gpuE4ELNS1_3repE0EEENS1_30default_config_static_selectorELNS0_4arch9wavefront6targetE1EEEvT1_.kd
    .uniform_work_group_size: 1
    .uses_dynamic_stack: false
    .vgpr_count:     0
    .vgpr_spill_count: 0
    .wavefront_size: 64
  - .agpr_count:     0
    .args:
      - .offset:         0
        .size:           104
        .value_kind:     by_value
    .group_segment_fixed_size: 0
    .kernarg_segment_align: 8
    .kernarg_segment_size: 104
    .language:       OpenCL C
    .language_version:
      - 2
      - 0
    .max_flat_workgroup_size: 256
    .name:           _ZN7rocprim17ROCPRIM_400000_NS6detail17trampoline_kernelINS0_14default_configENS1_20scan_config_selectorIfEEZZNS1_9scan_implILNS1_25lookback_scan_determinismE0ELb0ELb0ES3_N6thrust23THRUST_200600_302600_NS6detail15normal_iteratorINS9_10device_ptrIfEEEENS9_16discard_iteratorINS9_11use_defaultEEEfNS9_4plusIvEEfEEDaPvRmT3_T4_T5_mT6_P12ihipStream_tbENKUlT_T0_E_clISt17integral_constantIbLb0EESW_IbLb1EEEEDaSS_ST_EUlSS_E_NS1_11comp_targetILNS1_3genE9ELNS1_11target_archE1100ELNS1_3gpuE3ELNS1_3repE0EEENS1_30default_config_static_selectorELNS0_4arch9wavefront6targetE1EEEvT1_
    .private_segment_fixed_size: 0
    .sgpr_count:     4
    .sgpr_spill_count: 0
    .symbol:         _ZN7rocprim17ROCPRIM_400000_NS6detail17trampoline_kernelINS0_14default_configENS1_20scan_config_selectorIfEEZZNS1_9scan_implILNS1_25lookback_scan_determinismE0ELb0ELb0ES3_N6thrust23THRUST_200600_302600_NS6detail15normal_iteratorINS9_10device_ptrIfEEEENS9_16discard_iteratorINS9_11use_defaultEEEfNS9_4plusIvEEfEEDaPvRmT3_T4_T5_mT6_P12ihipStream_tbENKUlT_T0_E_clISt17integral_constantIbLb0EESW_IbLb1EEEEDaSS_ST_EUlSS_E_NS1_11comp_targetILNS1_3genE9ELNS1_11target_archE1100ELNS1_3gpuE3ELNS1_3repE0EEENS1_30default_config_static_selectorELNS0_4arch9wavefront6targetE1EEEvT1_.kd
    .uniform_work_group_size: 1
    .uses_dynamic_stack: false
    .vgpr_count:     0
    .vgpr_spill_count: 0
    .wavefront_size: 64
  - .agpr_count:     0
    .args:
      - .offset:         0
        .size:           104
        .value_kind:     by_value
    .group_segment_fixed_size: 0
    .kernarg_segment_align: 8
    .kernarg_segment_size: 104
    .language:       OpenCL C
    .language_version:
      - 2
      - 0
    .max_flat_workgroup_size: 64
    .name:           _ZN7rocprim17ROCPRIM_400000_NS6detail17trampoline_kernelINS0_14default_configENS1_20scan_config_selectorIfEEZZNS1_9scan_implILNS1_25lookback_scan_determinismE0ELb0ELb0ES3_N6thrust23THRUST_200600_302600_NS6detail15normal_iteratorINS9_10device_ptrIfEEEENS9_16discard_iteratorINS9_11use_defaultEEEfNS9_4plusIvEEfEEDaPvRmT3_T4_T5_mT6_P12ihipStream_tbENKUlT_T0_E_clISt17integral_constantIbLb0EESW_IbLb1EEEEDaSS_ST_EUlSS_E_NS1_11comp_targetILNS1_3genE8ELNS1_11target_archE1030ELNS1_3gpuE2ELNS1_3repE0EEENS1_30default_config_static_selectorELNS0_4arch9wavefront6targetE1EEEvT1_
    .private_segment_fixed_size: 0
    .sgpr_count:     4
    .sgpr_spill_count: 0
    .symbol:         _ZN7rocprim17ROCPRIM_400000_NS6detail17trampoline_kernelINS0_14default_configENS1_20scan_config_selectorIfEEZZNS1_9scan_implILNS1_25lookback_scan_determinismE0ELb0ELb0ES3_N6thrust23THRUST_200600_302600_NS6detail15normal_iteratorINS9_10device_ptrIfEEEENS9_16discard_iteratorINS9_11use_defaultEEEfNS9_4plusIvEEfEEDaPvRmT3_T4_T5_mT6_P12ihipStream_tbENKUlT_T0_E_clISt17integral_constantIbLb0EESW_IbLb1EEEEDaSS_ST_EUlSS_E_NS1_11comp_targetILNS1_3genE8ELNS1_11target_archE1030ELNS1_3gpuE2ELNS1_3repE0EEENS1_30default_config_static_selectorELNS0_4arch9wavefront6targetE1EEEvT1_.kd
    .uniform_work_group_size: 1
    .uses_dynamic_stack: false
    .vgpr_count:     0
    .vgpr_spill_count: 0
    .wavefront_size: 64
  - .agpr_count:     0
    .args:
      - .offset:         0
        .size:           40
        .value_kind:     by_value
    .group_segment_fixed_size: 0
    .kernarg_segment_align: 8
    .kernarg_segment_size: 40
    .language:       OpenCL C
    .language_version:
      - 2
      - 0
    .max_flat_workgroup_size: 256
    .name:           _ZN7rocprim17ROCPRIM_400000_NS6detail17trampoline_kernelINS0_14default_configENS1_20scan_config_selectorIfEEZZNS1_9scan_implILNS1_25lookback_scan_determinismE0ELb0ELb0ES3_N6thrust23THRUST_200600_302600_NS6detail15normal_iteratorINS9_10device_ptrIfEEEENS9_16discard_iteratorINS9_11use_defaultEEEfNS9_4plusIvEEfEEDaPvRmT3_T4_T5_mT6_P12ihipStream_tbENKUlT_T0_E_clISt17integral_constantIbLb0EESW_IbLb1EEEEDaSS_ST_EUlSS_E0_NS1_11comp_targetILNS1_3genE0ELNS1_11target_archE4294967295ELNS1_3gpuE0ELNS1_3repE0EEENS1_30default_config_static_selectorELNS0_4arch9wavefront6targetE1EEEvT1_
    .private_segment_fixed_size: 0
    .sgpr_count:     4
    .sgpr_spill_count: 0
    .symbol:         _ZN7rocprim17ROCPRIM_400000_NS6detail17trampoline_kernelINS0_14default_configENS1_20scan_config_selectorIfEEZZNS1_9scan_implILNS1_25lookback_scan_determinismE0ELb0ELb0ES3_N6thrust23THRUST_200600_302600_NS6detail15normal_iteratorINS9_10device_ptrIfEEEENS9_16discard_iteratorINS9_11use_defaultEEEfNS9_4plusIvEEfEEDaPvRmT3_T4_T5_mT6_P12ihipStream_tbENKUlT_T0_E_clISt17integral_constantIbLb0EESW_IbLb1EEEEDaSS_ST_EUlSS_E0_NS1_11comp_targetILNS1_3genE0ELNS1_11target_archE4294967295ELNS1_3gpuE0ELNS1_3repE0EEENS1_30default_config_static_selectorELNS0_4arch9wavefront6targetE1EEEvT1_.kd
    .uniform_work_group_size: 1
    .uses_dynamic_stack: false
    .vgpr_count:     0
    .vgpr_spill_count: 0
    .wavefront_size: 64
  - .agpr_count:     0
    .args:
      - .offset:         0
        .size:           40
        .value_kind:     by_value
    .group_segment_fixed_size: 0
    .kernarg_segment_align: 8
    .kernarg_segment_size: 40
    .language:       OpenCL C
    .language_version:
      - 2
      - 0
    .max_flat_workgroup_size: 256
    .name:           _ZN7rocprim17ROCPRIM_400000_NS6detail17trampoline_kernelINS0_14default_configENS1_20scan_config_selectorIfEEZZNS1_9scan_implILNS1_25lookback_scan_determinismE0ELb0ELb0ES3_N6thrust23THRUST_200600_302600_NS6detail15normal_iteratorINS9_10device_ptrIfEEEENS9_16discard_iteratorINS9_11use_defaultEEEfNS9_4plusIvEEfEEDaPvRmT3_T4_T5_mT6_P12ihipStream_tbENKUlT_T0_E_clISt17integral_constantIbLb0EESW_IbLb1EEEEDaSS_ST_EUlSS_E0_NS1_11comp_targetILNS1_3genE5ELNS1_11target_archE942ELNS1_3gpuE9ELNS1_3repE0EEENS1_30default_config_static_selectorELNS0_4arch9wavefront6targetE1EEEvT1_
    .private_segment_fixed_size: 0
    .sgpr_count:     4
    .sgpr_spill_count: 0
    .symbol:         _ZN7rocprim17ROCPRIM_400000_NS6detail17trampoline_kernelINS0_14default_configENS1_20scan_config_selectorIfEEZZNS1_9scan_implILNS1_25lookback_scan_determinismE0ELb0ELb0ES3_N6thrust23THRUST_200600_302600_NS6detail15normal_iteratorINS9_10device_ptrIfEEEENS9_16discard_iteratorINS9_11use_defaultEEEfNS9_4plusIvEEfEEDaPvRmT3_T4_T5_mT6_P12ihipStream_tbENKUlT_T0_E_clISt17integral_constantIbLb0EESW_IbLb1EEEEDaSS_ST_EUlSS_E0_NS1_11comp_targetILNS1_3genE5ELNS1_11target_archE942ELNS1_3gpuE9ELNS1_3repE0EEENS1_30default_config_static_selectorELNS0_4arch9wavefront6targetE1EEEvT1_.kd
    .uniform_work_group_size: 1
    .uses_dynamic_stack: false
    .vgpr_count:     0
    .vgpr_spill_count: 0
    .wavefront_size: 64
  - .agpr_count:     0
    .args:
      - .offset:         0
        .size:           40
        .value_kind:     by_value
    .group_segment_fixed_size: 7168
    .kernarg_segment_align: 8
    .kernarg_segment_size: 40
    .language:       OpenCL C
    .language_version:
      - 2
      - 0
    .max_flat_workgroup_size: 128
    .name:           _ZN7rocprim17ROCPRIM_400000_NS6detail17trampoline_kernelINS0_14default_configENS1_20scan_config_selectorIfEEZZNS1_9scan_implILNS1_25lookback_scan_determinismE0ELb0ELb0ES3_N6thrust23THRUST_200600_302600_NS6detail15normal_iteratorINS9_10device_ptrIfEEEENS9_16discard_iteratorINS9_11use_defaultEEEfNS9_4plusIvEEfEEDaPvRmT3_T4_T5_mT6_P12ihipStream_tbENKUlT_T0_E_clISt17integral_constantIbLb0EESW_IbLb1EEEEDaSS_ST_EUlSS_E0_NS1_11comp_targetILNS1_3genE4ELNS1_11target_archE910ELNS1_3gpuE8ELNS1_3repE0EEENS1_30default_config_static_selectorELNS0_4arch9wavefront6targetE1EEEvT1_
    .private_segment_fixed_size: 0
    .sgpr_count:     10
    .sgpr_spill_count: 0
    .symbol:         _ZN7rocprim17ROCPRIM_400000_NS6detail17trampoline_kernelINS0_14default_configENS1_20scan_config_selectorIfEEZZNS1_9scan_implILNS1_25lookback_scan_determinismE0ELb0ELb0ES3_N6thrust23THRUST_200600_302600_NS6detail15normal_iteratorINS9_10device_ptrIfEEEENS9_16discard_iteratorINS9_11use_defaultEEEfNS9_4plusIvEEfEEDaPvRmT3_T4_T5_mT6_P12ihipStream_tbENKUlT_T0_E_clISt17integral_constantIbLb0EESW_IbLb1EEEEDaSS_ST_EUlSS_E0_NS1_11comp_targetILNS1_3genE4ELNS1_11target_archE910ELNS1_3gpuE8ELNS1_3repE0EEENS1_30default_config_static_selectorELNS0_4arch9wavefront6targetE1EEEvT1_.kd
    .uniform_work_group_size: 1
    .uses_dynamic_stack: false
    .vgpr_count:     36
    .vgpr_spill_count: 0
    .wavefront_size: 64
  - .agpr_count:     0
    .args:
      - .offset:         0
        .size:           40
        .value_kind:     by_value
    .group_segment_fixed_size: 0
    .kernarg_segment_align: 8
    .kernarg_segment_size: 40
    .language:       OpenCL C
    .language_version:
      - 2
      - 0
    .max_flat_workgroup_size: 256
    .name:           _ZN7rocprim17ROCPRIM_400000_NS6detail17trampoline_kernelINS0_14default_configENS1_20scan_config_selectorIfEEZZNS1_9scan_implILNS1_25lookback_scan_determinismE0ELb0ELb0ES3_N6thrust23THRUST_200600_302600_NS6detail15normal_iteratorINS9_10device_ptrIfEEEENS9_16discard_iteratorINS9_11use_defaultEEEfNS9_4plusIvEEfEEDaPvRmT3_T4_T5_mT6_P12ihipStream_tbENKUlT_T0_E_clISt17integral_constantIbLb0EESW_IbLb1EEEEDaSS_ST_EUlSS_E0_NS1_11comp_targetILNS1_3genE3ELNS1_11target_archE908ELNS1_3gpuE7ELNS1_3repE0EEENS1_30default_config_static_selectorELNS0_4arch9wavefront6targetE1EEEvT1_
    .private_segment_fixed_size: 0
    .sgpr_count:     4
    .sgpr_spill_count: 0
    .symbol:         _ZN7rocprim17ROCPRIM_400000_NS6detail17trampoline_kernelINS0_14default_configENS1_20scan_config_selectorIfEEZZNS1_9scan_implILNS1_25lookback_scan_determinismE0ELb0ELb0ES3_N6thrust23THRUST_200600_302600_NS6detail15normal_iteratorINS9_10device_ptrIfEEEENS9_16discard_iteratorINS9_11use_defaultEEEfNS9_4plusIvEEfEEDaPvRmT3_T4_T5_mT6_P12ihipStream_tbENKUlT_T0_E_clISt17integral_constantIbLb0EESW_IbLb1EEEEDaSS_ST_EUlSS_E0_NS1_11comp_targetILNS1_3genE3ELNS1_11target_archE908ELNS1_3gpuE7ELNS1_3repE0EEENS1_30default_config_static_selectorELNS0_4arch9wavefront6targetE1EEEvT1_.kd
    .uniform_work_group_size: 1
    .uses_dynamic_stack: false
    .vgpr_count:     0
    .vgpr_spill_count: 0
    .wavefront_size: 64
  - .agpr_count:     0
    .args:
      - .offset:         0
        .size:           40
        .value_kind:     by_value
    .group_segment_fixed_size: 0
    .kernarg_segment_align: 8
    .kernarg_segment_size: 40
    .language:       OpenCL C
    .language_version:
      - 2
      - 0
    .max_flat_workgroup_size: 256
    .name:           _ZN7rocprim17ROCPRIM_400000_NS6detail17trampoline_kernelINS0_14default_configENS1_20scan_config_selectorIfEEZZNS1_9scan_implILNS1_25lookback_scan_determinismE0ELb0ELb0ES3_N6thrust23THRUST_200600_302600_NS6detail15normal_iteratorINS9_10device_ptrIfEEEENS9_16discard_iteratorINS9_11use_defaultEEEfNS9_4plusIvEEfEEDaPvRmT3_T4_T5_mT6_P12ihipStream_tbENKUlT_T0_E_clISt17integral_constantIbLb0EESW_IbLb1EEEEDaSS_ST_EUlSS_E0_NS1_11comp_targetILNS1_3genE2ELNS1_11target_archE906ELNS1_3gpuE6ELNS1_3repE0EEENS1_30default_config_static_selectorELNS0_4arch9wavefront6targetE1EEEvT1_
    .private_segment_fixed_size: 0
    .sgpr_count:     4
    .sgpr_spill_count: 0
    .symbol:         _ZN7rocprim17ROCPRIM_400000_NS6detail17trampoline_kernelINS0_14default_configENS1_20scan_config_selectorIfEEZZNS1_9scan_implILNS1_25lookback_scan_determinismE0ELb0ELb0ES3_N6thrust23THRUST_200600_302600_NS6detail15normal_iteratorINS9_10device_ptrIfEEEENS9_16discard_iteratorINS9_11use_defaultEEEfNS9_4plusIvEEfEEDaPvRmT3_T4_T5_mT6_P12ihipStream_tbENKUlT_T0_E_clISt17integral_constantIbLb0EESW_IbLb1EEEEDaSS_ST_EUlSS_E0_NS1_11comp_targetILNS1_3genE2ELNS1_11target_archE906ELNS1_3gpuE6ELNS1_3repE0EEENS1_30default_config_static_selectorELNS0_4arch9wavefront6targetE1EEEvT1_.kd
    .uniform_work_group_size: 1
    .uses_dynamic_stack: false
    .vgpr_count:     0
    .vgpr_spill_count: 0
    .wavefront_size: 64
  - .agpr_count:     0
    .args:
      - .offset:         0
        .size:           40
        .value_kind:     by_value
    .group_segment_fixed_size: 0
    .kernarg_segment_align: 8
    .kernarg_segment_size: 40
    .language:       OpenCL C
    .language_version:
      - 2
      - 0
    .max_flat_workgroup_size: 256
    .name:           _ZN7rocprim17ROCPRIM_400000_NS6detail17trampoline_kernelINS0_14default_configENS1_20scan_config_selectorIfEEZZNS1_9scan_implILNS1_25lookback_scan_determinismE0ELb0ELb0ES3_N6thrust23THRUST_200600_302600_NS6detail15normal_iteratorINS9_10device_ptrIfEEEENS9_16discard_iteratorINS9_11use_defaultEEEfNS9_4plusIvEEfEEDaPvRmT3_T4_T5_mT6_P12ihipStream_tbENKUlT_T0_E_clISt17integral_constantIbLb0EESW_IbLb1EEEEDaSS_ST_EUlSS_E0_NS1_11comp_targetILNS1_3genE10ELNS1_11target_archE1201ELNS1_3gpuE5ELNS1_3repE0EEENS1_30default_config_static_selectorELNS0_4arch9wavefront6targetE1EEEvT1_
    .private_segment_fixed_size: 0
    .sgpr_count:     4
    .sgpr_spill_count: 0
    .symbol:         _ZN7rocprim17ROCPRIM_400000_NS6detail17trampoline_kernelINS0_14default_configENS1_20scan_config_selectorIfEEZZNS1_9scan_implILNS1_25lookback_scan_determinismE0ELb0ELb0ES3_N6thrust23THRUST_200600_302600_NS6detail15normal_iteratorINS9_10device_ptrIfEEEENS9_16discard_iteratorINS9_11use_defaultEEEfNS9_4plusIvEEfEEDaPvRmT3_T4_T5_mT6_P12ihipStream_tbENKUlT_T0_E_clISt17integral_constantIbLb0EESW_IbLb1EEEEDaSS_ST_EUlSS_E0_NS1_11comp_targetILNS1_3genE10ELNS1_11target_archE1201ELNS1_3gpuE5ELNS1_3repE0EEENS1_30default_config_static_selectorELNS0_4arch9wavefront6targetE1EEEvT1_.kd
    .uniform_work_group_size: 1
    .uses_dynamic_stack: false
    .vgpr_count:     0
    .vgpr_spill_count: 0
    .wavefront_size: 64
  - .agpr_count:     0
    .args:
      - .offset:         0
        .size:           40
        .value_kind:     by_value
    .group_segment_fixed_size: 0
    .kernarg_segment_align: 8
    .kernarg_segment_size: 40
    .language:       OpenCL C
    .language_version:
      - 2
      - 0
    .max_flat_workgroup_size: 256
    .name:           _ZN7rocprim17ROCPRIM_400000_NS6detail17trampoline_kernelINS0_14default_configENS1_20scan_config_selectorIfEEZZNS1_9scan_implILNS1_25lookback_scan_determinismE0ELb0ELb0ES3_N6thrust23THRUST_200600_302600_NS6detail15normal_iteratorINS9_10device_ptrIfEEEENS9_16discard_iteratorINS9_11use_defaultEEEfNS9_4plusIvEEfEEDaPvRmT3_T4_T5_mT6_P12ihipStream_tbENKUlT_T0_E_clISt17integral_constantIbLb0EESW_IbLb1EEEEDaSS_ST_EUlSS_E0_NS1_11comp_targetILNS1_3genE10ELNS1_11target_archE1200ELNS1_3gpuE4ELNS1_3repE0EEENS1_30default_config_static_selectorELNS0_4arch9wavefront6targetE1EEEvT1_
    .private_segment_fixed_size: 0
    .sgpr_count:     4
    .sgpr_spill_count: 0
    .symbol:         _ZN7rocprim17ROCPRIM_400000_NS6detail17trampoline_kernelINS0_14default_configENS1_20scan_config_selectorIfEEZZNS1_9scan_implILNS1_25lookback_scan_determinismE0ELb0ELb0ES3_N6thrust23THRUST_200600_302600_NS6detail15normal_iteratorINS9_10device_ptrIfEEEENS9_16discard_iteratorINS9_11use_defaultEEEfNS9_4plusIvEEfEEDaPvRmT3_T4_T5_mT6_P12ihipStream_tbENKUlT_T0_E_clISt17integral_constantIbLb0EESW_IbLb1EEEEDaSS_ST_EUlSS_E0_NS1_11comp_targetILNS1_3genE10ELNS1_11target_archE1200ELNS1_3gpuE4ELNS1_3repE0EEENS1_30default_config_static_selectorELNS0_4arch9wavefront6targetE1EEEvT1_.kd
    .uniform_work_group_size: 1
    .uses_dynamic_stack: false
    .vgpr_count:     0
    .vgpr_spill_count: 0
    .wavefront_size: 64
  - .agpr_count:     0
    .args:
      - .offset:         0
        .size:           40
        .value_kind:     by_value
    .group_segment_fixed_size: 0
    .kernarg_segment_align: 8
    .kernarg_segment_size: 40
    .language:       OpenCL C
    .language_version:
      - 2
      - 0
    .max_flat_workgroup_size: 256
    .name:           _ZN7rocprim17ROCPRIM_400000_NS6detail17trampoline_kernelINS0_14default_configENS1_20scan_config_selectorIfEEZZNS1_9scan_implILNS1_25lookback_scan_determinismE0ELb0ELb0ES3_N6thrust23THRUST_200600_302600_NS6detail15normal_iteratorINS9_10device_ptrIfEEEENS9_16discard_iteratorINS9_11use_defaultEEEfNS9_4plusIvEEfEEDaPvRmT3_T4_T5_mT6_P12ihipStream_tbENKUlT_T0_E_clISt17integral_constantIbLb0EESW_IbLb1EEEEDaSS_ST_EUlSS_E0_NS1_11comp_targetILNS1_3genE9ELNS1_11target_archE1100ELNS1_3gpuE3ELNS1_3repE0EEENS1_30default_config_static_selectorELNS0_4arch9wavefront6targetE1EEEvT1_
    .private_segment_fixed_size: 0
    .sgpr_count:     4
    .sgpr_spill_count: 0
    .symbol:         _ZN7rocprim17ROCPRIM_400000_NS6detail17trampoline_kernelINS0_14default_configENS1_20scan_config_selectorIfEEZZNS1_9scan_implILNS1_25lookback_scan_determinismE0ELb0ELb0ES3_N6thrust23THRUST_200600_302600_NS6detail15normal_iteratorINS9_10device_ptrIfEEEENS9_16discard_iteratorINS9_11use_defaultEEEfNS9_4plusIvEEfEEDaPvRmT3_T4_T5_mT6_P12ihipStream_tbENKUlT_T0_E_clISt17integral_constantIbLb0EESW_IbLb1EEEEDaSS_ST_EUlSS_E0_NS1_11comp_targetILNS1_3genE9ELNS1_11target_archE1100ELNS1_3gpuE3ELNS1_3repE0EEENS1_30default_config_static_selectorELNS0_4arch9wavefront6targetE1EEEvT1_.kd
    .uniform_work_group_size: 1
    .uses_dynamic_stack: false
    .vgpr_count:     0
    .vgpr_spill_count: 0
    .wavefront_size: 64
  - .agpr_count:     0
    .args:
      - .offset:         0
        .size:           40
        .value_kind:     by_value
    .group_segment_fixed_size: 0
    .kernarg_segment_align: 8
    .kernarg_segment_size: 40
    .language:       OpenCL C
    .language_version:
      - 2
      - 0
    .max_flat_workgroup_size: 64
    .name:           _ZN7rocprim17ROCPRIM_400000_NS6detail17trampoline_kernelINS0_14default_configENS1_20scan_config_selectorIfEEZZNS1_9scan_implILNS1_25lookback_scan_determinismE0ELb0ELb0ES3_N6thrust23THRUST_200600_302600_NS6detail15normal_iteratorINS9_10device_ptrIfEEEENS9_16discard_iteratorINS9_11use_defaultEEEfNS9_4plusIvEEfEEDaPvRmT3_T4_T5_mT6_P12ihipStream_tbENKUlT_T0_E_clISt17integral_constantIbLb0EESW_IbLb1EEEEDaSS_ST_EUlSS_E0_NS1_11comp_targetILNS1_3genE8ELNS1_11target_archE1030ELNS1_3gpuE2ELNS1_3repE0EEENS1_30default_config_static_selectorELNS0_4arch9wavefront6targetE1EEEvT1_
    .private_segment_fixed_size: 0
    .sgpr_count:     4
    .sgpr_spill_count: 0
    .symbol:         _ZN7rocprim17ROCPRIM_400000_NS6detail17trampoline_kernelINS0_14default_configENS1_20scan_config_selectorIfEEZZNS1_9scan_implILNS1_25lookback_scan_determinismE0ELb0ELb0ES3_N6thrust23THRUST_200600_302600_NS6detail15normal_iteratorINS9_10device_ptrIfEEEENS9_16discard_iteratorINS9_11use_defaultEEEfNS9_4plusIvEEfEEDaPvRmT3_T4_T5_mT6_P12ihipStream_tbENKUlT_T0_E_clISt17integral_constantIbLb0EESW_IbLb1EEEEDaSS_ST_EUlSS_E0_NS1_11comp_targetILNS1_3genE8ELNS1_11target_archE1030ELNS1_3gpuE2ELNS1_3repE0EEENS1_30default_config_static_selectorELNS0_4arch9wavefront6targetE1EEEvT1_.kd
    .uniform_work_group_size: 1
    .uses_dynamic_stack: false
    .vgpr_count:     0
    .vgpr_spill_count: 0
    .wavefront_size: 64
  - .agpr_count:     0
    .args:
      - .offset:         0
        .size:           104
        .value_kind:     by_value
    .group_segment_fixed_size: 0
    .kernarg_segment_align: 8
    .kernarg_segment_size: 104
    .language:       OpenCL C
    .language_version:
      - 2
      - 0
    .max_flat_workgroup_size: 256
    .name:           _ZN7rocprim17ROCPRIM_400000_NS6detail17trampoline_kernelINS0_14default_configENS1_20scan_config_selectorIfEEZZNS1_9scan_implILNS1_25lookback_scan_determinismE0ELb1ELb1ES3_N6thrust23THRUST_200600_302600_NS6detail15normal_iteratorINS9_10device_ptrIfEEEENS9_16discard_iteratorINS9_11use_defaultEEEfNS9_4plusIvEEfEEDaPvRmT3_T4_T5_mT6_P12ihipStream_tbENKUlT_T0_E_clISt17integral_constantIbLb0EESX_EEDaSS_ST_EUlSS_E_NS1_11comp_targetILNS1_3genE0ELNS1_11target_archE4294967295ELNS1_3gpuE0ELNS1_3repE0EEENS1_30default_config_static_selectorELNS0_4arch9wavefront6targetE1EEEvT1_
    .private_segment_fixed_size: 0
    .sgpr_count:     4
    .sgpr_spill_count: 0
    .symbol:         _ZN7rocprim17ROCPRIM_400000_NS6detail17trampoline_kernelINS0_14default_configENS1_20scan_config_selectorIfEEZZNS1_9scan_implILNS1_25lookback_scan_determinismE0ELb1ELb1ES3_N6thrust23THRUST_200600_302600_NS6detail15normal_iteratorINS9_10device_ptrIfEEEENS9_16discard_iteratorINS9_11use_defaultEEEfNS9_4plusIvEEfEEDaPvRmT3_T4_T5_mT6_P12ihipStream_tbENKUlT_T0_E_clISt17integral_constantIbLb0EESX_EEDaSS_ST_EUlSS_E_NS1_11comp_targetILNS1_3genE0ELNS1_11target_archE4294967295ELNS1_3gpuE0ELNS1_3repE0EEENS1_30default_config_static_selectorELNS0_4arch9wavefront6targetE1EEEvT1_.kd
    .uniform_work_group_size: 1
    .uses_dynamic_stack: false
    .vgpr_count:     0
    .vgpr_spill_count: 0
    .wavefront_size: 64
  - .agpr_count:     0
    .args:
      - .offset:         0
        .size:           104
        .value_kind:     by_value
    .group_segment_fixed_size: 0
    .kernarg_segment_align: 8
    .kernarg_segment_size: 104
    .language:       OpenCL C
    .language_version:
      - 2
      - 0
    .max_flat_workgroup_size: 256
    .name:           _ZN7rocprim17ROCPRIM_400000_NS6detail17trampoline_kernelINS0_14default_configENS1_20scan_config_selectorIfEEZZNS1_9scan_implILNS1_25lookback_scan_determinismE0ELb1ELb1ES3_N6thrust23THRUST_200600_302600_NS6detail15normal_iteratorINS9_10device_ptrIfEEEENS9_16discard_iteratorINS9_11use_defaultEEEfNS9_4plusIvEEfEEDaPvRmT3_T4_T5_mT6_P12ihipStream_tbENKUlT_T0_E_clISt17integral_constantIbLb0EESX_EEDaSS_ST_EUlSS_E_NS1_11comp_targetILNS1_3genE5ELNS1_11target_archE942ELNS1_3gpuE9ELNS1_3repE0EEENS1_30default_config_static_selectorELNS0_4arch9wavefront6targetE1EEEvT1_
    .private_segment_fixed_size: 0
    .sgpr_count:     4
    .sgpr_spill_count: 0
    .symbol:         _ZN7rocprim17ROCPRIM_400000_NS6detail17trampoline_kernelINS0_14default_configENS1_20scan_config_selectorIfEEZZNS1_9scan_implILNS1_25lookback_scan_determinismE0ELb1ELb1ES3_N6thrust23THRUST_200600_302600_NS6detail15normal_iteratorINS9_10device_ptrIfEEEENS9_16discard_iteratorINS9_11use_defaultEEEfNS9_4plusIvEEfEEDaPvRmT3_T4_T5_mT6_P12ihipStream_tbENKUlT_T0_E_clISt17integral_constantIbLb0EESX_EEDaSS_ST_EUlSS_E_NS1_11comp_targetILNS1_3genE5ELNS1_11target_archE942ELNS1_3gpuE9ELNS1_3repE0EEENS1_30default_config_static_selectorELNS0_4arch9wavefront6targetE1EEEvT1_.kd
    .uniform_work_group_size: 1
    .uses_dynamic_stack: false
    .vgpr_count:     0
    .vgpr_spill_count: 0
    .wavefront_size: 64
  - .agpr_count:     0
    .args:
      - .offset:         0
        .size:           104
        .value_kind:     by_value
    .group_segment_fixed_size: 7168
    .kernarg_segment_align: 8
    .kernarg_segment_size: 104
    .language:       OpenCL C
    .language_version:
      - 2
      - 0
    .max_flat_workgroup_size: 128
    .name:           _ZN7rocprim17ROCPRIM_400000_NS6detail17trampoline_kernelINS0_14default_configENS1_20scan_config_selectorIfEEZZNS1_9scan_implILNS1_25lookback_scan_determinismE0ELb1ELb1ES3_N6thrust23THRUST_200600_302600_NS6detail15normal_iteratorINS9_10device_ptrIfEEEENS9_16discard_iteratorINS9_11use_defaultEEEfNS9_4plusIvEEfEEDaPvRmT3_T4_T5_mT6_P12ihipStream_tbENKUlT_T0_E_clISt17integral_constantIbLb0EESX_EEDaSS_ST_EUlSS_E_NS1_11comp_targetILNS1_3genE4ELNS1_11target_archE910ELNS1_3gpuE8ELNS1_3repE0EEENS1_30default_config_static_selectorELNS0_4arch9wavefront6targetE1EEEvT1_
    .private_segment_fixed_size: 0
    .sgpr_count:     29
    .sgpr_spill_count: 0
    .symbol:         _ZN7rocprim17ROCPRIM_400000_NS6detail17trampoline_kernelINS0_14default_configENS1_20scan_config_selectorIfEEZZNS1_9scan_implILNS1_25lookback_scan_determinismE0ELb1ELb1ES3_N6thrust23THRUST_200600_302600_NS6detail15normal_iteratorINS9_10device_ptrIfEEEENS9_16discard_iteratorINS9_11use_defaultEEEfNS9_4plusIvEEfEEDaPvRmT3_T4_T5_mT6_P12ihipStream_tbENKUlT_T0_E_clISt17integral_constantIbLb0EESX_EEDaSS_ST_EUlSS_E_NS1_11comp_targetILNS1_3genE4ELNS1_11target_archE910ELNS1_3gpuE8ELNS1_3repE0EEENS1_30default_config_static_selectorELNS0_4arch9wavefront6targetE1EEEvT1_.kd
    .uniform_work_group_size: 1
    .uses_dynamic_stack: false
    .vgpr_count:     48
    .vgpr_spill_count: 0
    .wavefront_size: 64
  - .agpr_count:     0
    .args:
      - .offset:         0
        .size:           104
        .value_kind:     by_value
    .group_segment_fixed_size: 0
    .kernarg_segment_align: 8
    .kernarg_segment_size: 104
    .language:       OpenCL C
    .language_version:
      - 2
      - 0
    .max_flat_workgroup_size: 256
    .name:           _ZN7rocprim17ROCPRIM_400000_NS6detail17trampoline_kernelINS0_14default_configENS1_20scan_config_selectorIfEEZZNS1_9scan_implILNS1_25lookback_scan_determinismE0ELb1ELb1ES3_N6thrust23THRUST_200600_302600_NS6detail15normal_iteratorINS9_10device_ptrIfEEEENS9_16discard_iteratorINS9_11use_defaultEEEfNS9_4plusIvEEfEEDaPvRmT3_T4_T5_mT6_P12ihipStream_tbENKUlT_T0_E_clISt17integral_constantIbLb0EESX_EEDaSS_ST_EUlSS_E_NS1_11comp_targetILNS1_3genE3ELNS1_11target_archE908ELNS1_3gpuE7ELNS1_3repE0EEENS1_30default_config_static_selectorELNS0_4arch9wavefront6targetE1EEEvT1_
    .private_segment_fixed_size: 0
    .sgpr_count:     4
    .sgpr_spill_count: 0
    .symbol:         _ZN7rocprim17ROCPRIM_400000_NS6detail17trampoline_kernelINS0_14default_configENS1_20scan_config_selectorIfEEZZNS1_9scan_implILNS1_25lookback_scan_determinismE0ELb1ELb1ES3_N6thrust23THRUST_200600_302600_NS6detail15normal_iteratorINS9_10device_ptrIfEEEENS9_16discard_iteratorINS9_11use_defaultEEEfNS9_4plusIvEEfEEDaPvRmT3_T4_T5_mT6_P12ihipStream_tbENKUlT_T0_E_clISt17integral_constantIbLb0EESX_EEDaSS_ST_EUlSS_E_NS1_11comp_targetILNS1_3genE3ELNS1_11target_archE908ELNS1_3gpuE7ELNS1_3repE0EEENS1_30default_config_static_selectorELNS0_4arch9wavefront6targetE1EEEvT1_.kd
    .uniform_work_group_size: 1
    .uses_dynamic_stack: false
    .vgpr_count:     0
    .vgpr_spill_count: 0
    .wavefront_size: 64
  - .agpr_count:     0
    .args:
      - .offset:         0
        .size:           104
        .value_kind:     by_value
    .group_segment_fixed_size: 0
    .kernarg_segment_align: 8
    .kernarg_segment_size: 104
    .language:       OpenCL C
    .language_version:
      - 2
      - 0
    .max_flat_workgroup_size: 256
    .name:           _ZN7rocprim17ROCPRIM_400000_NS6detail17trampoline_kernelINS0_14default_configENS1_20scan_config_selectorIfEEZZNS1_9scan_implILNS1_25lookback_scan_determinismE0ELb1ELb1ES3_N6thrust23THRUST_200600_302600_NS6detail15normal_iteratorINS9_10device_ptrIfEEEENS9_16discard_iteratorINS9_11use_defaultEEEfNS9_4plusIvEEfEEDaPvRmT3_T4_T5_mT6_P12ihipStream_tbENKUlT_T0_E_clISt17integral_constantIbLb0EESX_EEDaSS_ST_EUlSS_E_NS1_11comp_targetILNS1_3genE2ELNS1_11target_archE906ELNS1_3gpuE6ELNS1_3repE0EEENS1_30default_config_static_selectorELNS0_4arch9wavefront6targetE1EEEvT1_
    .private_segment_fixed_size: 0
    .sgpr_count:     4
    .sgpr_spill_count: 0
    .symbol:         _ZN7rocprim17ROCPRIM_400000_NS6detail17trampoline_kernelINS0_14default_configENS1_20scan_config_selectorIfEEZZNS1_9scan_implILNS1_25lookback_scan_determinismE0ELb1ELb1ES3_N6thrust23THRUST_200600_302600_NS6detail15normal_iteratorINS9_10device_ptrIfEEEENS9_16discard_iteratorINS9_11use_defaultEEEfNS9_4plusIvEEfEEDaPvRmT3_T4_T5_mT6_P12ihipStream_tbENKUlT_T0_E_clISt17integral_constantIbLb0EESX_EEDaSS_ST_EUlSS_E_NS1_11comp_targetILNS1_3genE2ELNS1_11target_archE906ELNS1_3gpuE6ELNS1_3repE0EEENS1_30default_config_static_selectorELNS0_4arch9wavefront6targetE1EEEvT1_.kd
    .uniform_work_group_size: 1
    .uses_dynamic_stack: false
    .vgpr_count:     0
    .vgpr_spill_count: 0
    .wavefront_size: 64
  - .agpr_count:     0
    .args:
      - .offset:         0
        .size:           104
        .value_kind:     by_value
    .group_segment_fixed_size: 0
    .kernarg_segment_align: 8
    .kernarg_segment_size: 104
    .language:       OpenCL C
    .language_version:
      - 2
      - 0
    .max_flat_workgroup_size: 256
    .name:           _ZN7rocprim17ROCPRIM_400000_NS6detail17trampoline_kernelINS0_14default_configENS1_20scan_config_selectorIfEEZZNS1_9scan_implILNS1_25lookback_scan_determinismE0ELb1ELb1ES3_N6thrust23THRUST_200600_302600_NS6detail15normal_iteratorINS9_10device_ptrIfEEEENS9_16discard_iteratorINS9_11use_defaultEEEfNS9_4plusIvEEfEEDaPvRmT3_T4_T5_mT6_P12ihipStream_tbENKUlT_T0_E_clISt17integral_constantIbLb0EESX_EEDaSS_ST_EUlSS_E_NS1_11comp_targetILNS1_3genE10ELNS1_11target_archE1201ELNS1_3gpuE5ELNS1_3repE0EEENS1_30default_config_static_selectorELNS0_4arch9wavefront6targetE1EEEvT1_
    .private_segment_fixed_size: 0
    .sgpr_count:     4
    .sgpr_spill_count: 0
    .symbol:         _ZN7rocprim17ROCPRIM_400000_NS6detail17trampoline_kernelINS0_14default_configENS1_20scan_config_selectorIfEEZZNS1_9scan_implILNS1_25lookback_scan_determinismE0ELb1ELb1ES3_N6thrust23THRUST_200600_302600_NS6detail15normal_iteratorINS9_10device_ptrIfEEEENS9_16discard_iteratorINS9_11use_defaultEEEfNS9_4plusIvEEfEEDaPvRmT3_T4_T5_mT6_P12ihipStream_tbENKUlT_T0_E_clISt17integral_constantIbLb0EESX_EEDaSS_ST_EUlSS_E_NS1_11comp_targetILNS1_3genE10ELNS1_11target_archE1201ELNS1_3gpuE5ELNS1_3repE0EEENS1_30default_config_static_selectorELNS0_4arch9wavefront6targetE1EEEvT1_.kd
    .uniform_work_group_size: 1
    .uses_dynamic_stack: false
    .vgpr_count:     0
    .vgpr_spill_count: 0
    .wavefront_size: 64
  - .agpr_count:     0
    .args:
      - .offset:         0
        .size:           104
        .value_kind:     by_value
    .group_segment_fixed_size: 0
    .kernarg_segment_align: 8
    .kernarg_segment_size: 104
    .language:       OpenCL C
    .language_version:
      - 2
      - 0
    .max_flat_workgroup_size: 256
    .name:           _ZN7rocprim17ROCPRIM_400000_NS6detail17trampoline_kernelINS0_14default_configENS1_20scan_config_selectorIfEEZZNS1_9scan_implILNS1_25lookback_scan_determinismE0ELb1ELb1ES3_N6thrust23THRUST_200600_302600_NS6detail15normal_iteratorINS9_10device_ptrIfEEEENS9_16discard_iteratorINS9_11use_defaultEEEfNS9_4plusIvEEfEEDaPvRmT3_T4_T5_mT6_P12ihipStream_tbENKUlT_T0_E_clISt17integral_constantIbLb0EESX_EEDaSS_ST_EUlSS_E_NS1_11comp_targetILNS1_3genE10ELNS1_11target_archE1200ELNS1_3gpuE4ELNS1_3repE0EEENS1_30default_config_static_selectorELNS0_4arch9wavefront6targetE1EEEvT1_
    .private_segment_fixed_size: 0
    .sgpr_count:     4
    .sgpr_spill_count: 0
    .symbol:         _ZN7rocprim17ROCPRIM_400000_NS6detail17trampoline_kernelINS0_14default_configENS1_20scan_config_selectorIfEEZZNS1_9scan_implILNS1_25lookback_scan_determinismE0ELb1ELb1ES3_N6thrust23THRUST_200600_302600_NS6detail15normal_iteratorINS9_10device_ptrIfEEEENS9_16discard_iteratorINS9_11use_defaultEEEfNS9_4plusIvEEfEEDaPvRmT3_T4_T5_mT6_P12ihipStream_tbENKUlT_T0_E_clISt17integral_constantIbLb0EESX_EEDaSS_ST_EUlSS_E_NS1_11comp_targetILNS1_3genE10ELNS1_11target_archE1200ELNS1_3gpuE4ELNS1_3repE0EEENS1_30default_config_static_selectorELNS0_4arch9wavefront6targetE1EEEvT1_.kd
    .uniform_work_group_size: 1
    .uses_dynamic_stack: false
    .vgpr_count:     0
    .vgpr_spill_count: 0
    .wavefront_size: 64
  - .agpr_count:     0
    .args:
      - .offset:         0
        .size:           104
        .value_kind:     by_value
    .group_segment_fixed_size: 0
    .kernarg_segment_align: 8
    .kernarg_segment_size: 104
    .language:       OpenCL C
    .language_version:
      - 2
      - 0
    .max_flat_workgroup_size: 256
    .name:           _ZN7rocprim17ROCPRIM_400000_NS6detail17trampoline_kernelINS0_14default_configENS1_20scan_config_selectorIfEEZZNS1_9scan_implILNS1_25lookback_scan_determinismE0ELb1ELb1ES3_N6thrust23THRUST_200600_302600_NS6detail15normal_iteratorINS9_10device_ptrIfEEEENS9_16discard_iteratorINS9_11use_defaultEEEfNS9_4plusIvEEfEEDaPvRmT3_T4_T5_mT6_P12ihipStream_tbENKUlT_T0_E_clISt17integral_constantIbLb0EESX_EEDaSS_ST_EUlSS_E_NS1_11comp_targetILNS1_3genE9ELNS1_11target_archE1100ELNS1_3gpuE3ELNS1_3repE0EEENS1_30default_config_static_selectorELNS0_4arch9wavefront6targetE1EEEvT1_
    .private_segment_fixed_size: 0
    .sgpr_count:     4
    .sgpr_spill_count: 0
    .symbol:         _ZN7rocprim17ROCPRIM_400000_NS6detail17trampoline_kernelINS0_14default_configENS1_20scan_config_selectorIfEEZZNS1_9scan_implILNS1_25lookback_scan_determinismE0ELb1ELb1ES3_N6thrust23THRUST_200600_302600_NS6detail15normal_iteratorINS9_10device_ptrIfEEEENS9_16discard_iteratorINS9_11use_defaultEEEfNS9_4plusIvEEfEEDaPvRmT3_T4_T5_mT6_P12ihipStream_tbENKUlT_T0_E_clISt17integral_constantIbLb0EESX_EEDaSS_ST_EUlSS_E_NS1_11comp_targetILNS1_3genE9ELNS1_11target_archE1100ELNS1_3gpuE3ELNS1_3repE0EEENS1_30default_config_static_selectorELNS0_4arch9wavefront6targetE1EEEvT1_.kd
    .uniform_work_group_size: 1
    .uses_dynamic_stack: false
    .vgpr_count:     0
    .vgpr_spill_count: 0
    .wavefront_size: 64
  - .agpr_count:     0
    .args:
      - .offset:         0
        .size:           104
        .value_kind:     by_value
    .group_segment_fixed_size: 0
    .kernarg_segment_align: 8
    .kernarg_segment_size: 104
    .language:       OpenCL C
    .language_version:
      - 2
      - 0
    .max_flat_workgroup_size: 64
    .name:           _ZN7rocprim17ROCPRIM_400000_NS6detail17trampoline_kernelINS0_14default_configENS1_20scan_config_selectorIfEEZZNS1_9scan_implILNS1_25lookback_scan_determinismE0ELb1ELb1ES3_N6thrust23THRUST_200600_302600_NS6detail15normal_iteratorINS9_10device_ptrIfEEEENS9_16discard_iteratorINS9_11use_defaultEEEfNS9_4plusIvEEfEEDaPvRmT3_T4_T5_mT6_P12ihipStream_tbENKUlT_T0_E_clISt17integral_constantIbLb0EESX_EEDaSS_ST_EUlSS_E_NS1_11comp_targetILNS1_3genE8ELNS1_11target_archE1030ELNS1_3gpuE2ELNS1_3repE0EEENS1_30default_config_static_selectorELNS0_4arch9wavefront6targetE1EEEvT1_
    .private_segment_fixed_size: 0
    .sgpr_count:     4
    .sgpr_spill_count: 0
    .symbol:         _ZN7rocprim17ROCPRIM_400000_NS6detail17trampoline_kernelINS0_14default_configENS1_20scan_config_selectorIfEEZZNS1_9scan_implILNS1_25lookback_scan_determinismE0ELb1ELb1ES3_N6thrust23THRUST_200600_302600_NS6detail15normal_iteratorINS9_10device_ptrIfEEEENS9_16discard_iteratorINS9_11use_defaultEEEfNS9_4plusIvEEfEEDaPvRmT3_T4_T5_mT6_P12ihipStream_tbENKUlT_T0_E_clISt17integral_constantIbLb0EESX_EEDaSS_ST_EUlSS_E_NS1_11comp_targetILNS1_3genE8ELNS1_11target_archE1030ELNS1_3gpuE2ELNS1_3repE0EEENS1_30default_config_static_selectorELNS0_4arch9wavefront6targetE1EEEvT1_.kd
    .uniform_work_group_size: 1
    .uses_dynamic_stack: false
    .vgpr_count:     0
    .vgpr_spill_count: 0
    .wavefront_size: 64
  - .agpr_count:     0
    .args:
      - .offset:         0
        .size:           40
        .value_kind:     by_value
    .group_segment_fixed_size: 0
    .kernarg_segment_align: 8
    .kernarg_segment_size: 40
    .language:       OpenCL C
    .language_version:
      - 2
      - 0
    .max_flat_workgroup_size: 256
    .name:           _ZN7rocprim17ROCPRIM_400000_NS6detail17trampoline_kernelINS0_14default_configENS1_20scan_config_selectorIfEEZZNS1_9scan_implILNS1_25lookback_scan_determinismE0ELb1ELb1ES3_N6thrust23THRUST_200600_302600_NS6detail15normal_iteratorINS9_10device_ptrIfEEEENS9_16discard_iteratorINS9_11use_defaultEEEfNS9_4plusIvEEfEEDaPvRmT3_T4_T5_mT6_P12ihipStream_tbENKUlT_T0_E_clISt17integral_constantIbLb0EESX_EEDaSS_ST_EUlSS_E0_NS1_11comp_targetILNS1_3genE0ELNS1_11target_archE4294967295ELNS1_3gpuE0ELNS1_3repE0EEENS1_30default_config_static_selectorELNS0_4arch9wavefront6targetE1EEEvT1_
    .private_segment_fixed_size: 0
    .sgpr_count:     4
    .sgpr_spill_count: 0
    .symbol:         _ZN7rocprim17ROCPRIM_400000_NS6detail17trampoline_kernelINS0_14default_configENS1_20scan_config_selectorIfEEZZNS1_9scan_implILNS1_25lookback_scan_determinismE0ELb1ELb1ES3_N6thrust23THRUST_200600_302600_NS6detail15normal_iteratorINS9_10device_ptrIfEEEENS9_16discard_iteratorINS9_11use_defaultEEEfNS9_4plusIvEEfEEDaPvRmT3_T4_T5_mT6_P12ihipStream_tbENKUlT_T0_E_clISt17integral_constantIbLb0EESX_EEDaSS_ST_EUlSS_E0_NS1_11comp_targetILNS1_3genE0ELNS1_11target_archE4294967295ELNS1_3gpuE0ELNS1_3repE0EEENS1_30default_config_static_selectorELNS0_4arch9wavefront6targetE1EEEvT1_.kd
    .uniform_work_group_size: 1
    .uses_dynamic_stack: false
    .vgpr_count:     0
    .vgpr_spill_count: 0
    .wavefront_size: 64
  - .agpr_count:     0
    .args:
      - .offset:         0
        .size:           40
        .value_kind:     by_value
    .group_segment_fixed_size: 0
    .kernarg_segment_align: 8
    .kernarg_segment_size: 40
    .language:       OpenCL C
    .language_version:
      - 2
      - 0
    .max_flat_workgroup_size: 256
    .name:           _ZN7rocprim17ROCPRIM_400000_NS6detail17trampoline_kernelINS0_14default_configENS1_20scan_config_selectorIfEEZZNS1_9scan_implILNS1_25lookback_scan_determinismE0ELb1ELb1ES3_N6thrust23THRUST_200600_302600_NS6detail15normal_iteratorINS9_10device_ptrIfEEEENS9_16discard_iteratorINS9_11use_defaultEEEfNS9_4plusIvEEfEEDaPvRmT3_T4_T5_mT6_P12ihipStream_tbENKUlT_T0_E_clISt17integral_constantIbLb0EESX_EEDaSS_ST_EUlSS_E0_NS1_11comp_targetILNS1_3genE5ELNS1_11target_archE942ELNS1_3gpuE9ELNS1_3repE0EEENS1_30default_config_static_selectorELNS0_4arch9wavefront6targetE1EEEvT1_
    .private_segment_fixed_size: 0
    .sgpr_count:     4
    .sgpr_spill_count: 0
    .symbol:         _ZN7rocprim17ROCPRIM_400000_NS6detail17trampoline_kernelINS0_14default_configENS1_20scan_config_selectorIfEEZZNS1_9scan_implILNS1_25lookback_scan_determinismE0ELb1ELb1ES3_N6thrust23THRUST_200600_302600_NS6detail15normal_iteratorINS9_10device_ptrIfEEEENS9_16discard_iteratorINS9_11use_defaultEEEfNS9_4plusIvEEfEEDaPvRmT3_T4_T5_mT6_P12ihipStream_tbENKUlT_T0_E_clISt17integral_constantIbLb0EESX_EEDaSS_ST_EUlSS_E0_NS1_11comp_targetILNS1_3genE5ELNS1_11target_archE942ELNS1_3gpuE9ELNS1_3repE0EEENS1_30default_config_static_selectorELNS0_4arch9wavefront6targetE1EEEvT1_.kd
    .uniform_work_group_size: 1
    .uses_dynamic_stack: false
    .vgpr_count:     0
    .vgpr_spill_count: 0
    .wavefront_size: 64
  - .agpr_count:     0
    .args:
      - .offset:         0
        .size:           40
        .value_kind:     by_value
    .group_segment_fixed_size: 7168
    .kernarg_segment_align: 8
    .kernarg_segment_size: 40
    .language:       OpenCL C
    .language_version:
      - 2
      - 0
    .max_flat_workgroup_size: 128
    .name:           _ZN7rocprim17ROCPRIM_400000_NS6detail17trampoline_kernelINS0_14default_configENS1_20scan_config_selectorIfEEZZNS1_9scan_implILNS1_25lookback_scan_determinismE0ELb1ELb1ES3_N6thrust23THRUST_200600_302600_NS6detail15normal_iteratorINS9_10device_ptrIfEEEENS9_16discard_iteratorINS9_11use_defaultEEEfNS9_4plusIvEEfEEDaPvRmT3_T4_T5_mT6_P12ihipStream_tbENKUlT_T0_E_clISt17integral_constantIbLb0EESX_EEDaSS_ST_EUlSS_E0_NS1_11comp_targetILNS1_3genE4ELNS1_11target_archE910ELNS1_3gpuE8ELNS1_3repE0EEENS1_30default_config_static_selectorELNS0_4arch9wavefront6targetE1EEEvT1_
    .private_segment_fixed_size: 0
    .sgpr_count:     12
    .sgpr_spill_count: 0
    .symbol:         _ZN7rocprim17ROCPRIM_400000_NS6detail17trampoline_kernelINS0_14default_configENS1_20scan_config_selectorIfEEZZNS1_9scan_implILNS1_25lookback_scan_determinismE0ELb1ELb1ES3_N6thrust23THRUST_200600_302600_NS6detail15normal_iteratorINS9_10device_ptrIfEEEENS9_16discard_iteratorINS9_11use_defaultEEEfNS9_4plusIvEEfEEDaPvRmT3_T4_T5_mT6_P12ihipStream_tbENKUlT_T0_E_clISt17integral_constantIbLb0EESX_EEDaSS_ST_EUlSS_E0_NS1_11comp_targetILNS1_3genE4ELNS1_11target_archE910ELNS1_3gpuE8ELNS1_3repE0EEENS1_30default_config_static_selectorELNS0_4arch9wavefront6targetE1EEEvT1_.kd
    .uniform_work_group_size: 1
    .uses_dynamic_stack: false
    .vgpr_count:     23
    .vgpr_spill_count: 0
    .wavefront_size: 64
  - .agpr_count:     0
    .args:
      - .offset:         0
        .size:           40
        .value_kind:     by_value
    .group_segment_fixed_size: 0
    .kernarg_segment_align: 8
    .kernarg_segment_size: 40
    .language:       OpenCL C
    .language_version:
      - 2
      - 0
    .max_flat_workgroup_size: 256
    .name:           _ZN7rocprim17ROCPRIM_400000_NS6detail17trampoline_kernelINS0_14default_configENS1_20scan_config_selectorIfEEZZNS1_9scan_implILNS1_25lookback_scan_determinismE0ELb1ELb1ES3_N6thrust23THRUST_200600_302600_NS6detail15normal_iteratorINS9_10device_ptrIfEEEENS9_16discard_iteratorINS9_11use_defaultEEEfNS9_4plusIvEEfEEDaPvRmT3_T4_T5_mT6_P12ihipStream_tbENKUlT_T0_E_clISt17integral_constantIbLb0EESX_EEDaSS_ST_EUlSS_E0_NS1_11comp_targetILNS1_3genE3ELNS1_11target_archE908ELNS1_3gpuE7ELNS1_3repE0EEENS1_30default_config_static_selectorELNS0_4arch9wavefront6targetE1EEEvT1_
    .private_segment_fixed_size: 0
    .sgpr_count:     4
    .sgpr_spill_count: 0
    .symbol:         _ZN7rocprim17ROCPRIM_400000_NS6detail17trampoline_kernelINS0_14default_configENS1_20scan_config_selectorIfEEZZNS1_9scan_implILNS1_25lookback_scan_determinismE0ELb1ELb1ES3_N6thrust23THRUST_200600_302600_NS6detail15normal_iteratorINS9_10device_ptrIfEEEENS9_16discard_iteratorINS9_11use_defaultEEEfNS9_4plusIvEEfEEDaPvRmT3_T4_T5_mT6_P12ihipStream_tbENKUlT_T0_E_clISt17integral_constantIbLb0EESX_EEDaSS_ST_EUlSS_E0_NS1_11comp_targetILNS1_3genE3ELNS1_11target_archE908ELNS1_3gpuE7ELNS1_3repE0EEENS1_30default_config_static_selectorELNS0_4arch9wavefront6targetE1EEEvT1_.kd
    .uniform_work_group_size: 1
    .uses_dynamic_stack: false
    .vgpr_count:     0
    .vgpr_spill_count: 0
    .wavefront_size: 64
  - .agpr_count:     0
    .args:
      - .offset:         0
        .size:           40
        .value_kind:     by_value
    .group_segment_fixed_size: 0
    .kernarg_segment_align: 8
    .kernarg_segment_size: 40
    .language:       OpenCL C
    .language_version:
      - 2
      - 0
    .max_flat_workgroup_size: 256
    .name:           _ZN7rocprim17ROCPRIM_400000_NS6detail17trampoline_kernelINS0_14default_configENS1_20scan_config_selectorIfEEZZNS1_9scan_implILNS1_25lookback_scan_determinismE0ELb1ELb1ES3_N6thrust23THRUST_200600_302600_NS6detail15normal_iteratorINS9_10device_ptrIfEEEENS9_16discard_iteratorINS9_11use_defaultEEEfNS9_4plusIvEEfEEDaPvRmT3_T4_T5_mT6_P12ihipStream_tbENKUlT_T0_E_clISt17integral_constantIbLb0EESX_EEDaSS_ST_EUlSS_E0_NS1_11comp_targetILNS1_3genE2ELNS1_11target_archE906ELNS1_3gpuE6ELNS1_3repE0EEENS1_30default_config_static_selectorELNS0_4arch9wavefront6targetE1EEEvT1_
    .private_segment_fixed_size: 0
    .sgpr_count:     4
    .sgpr_spill_count: 0
    .symbol:         _ZN7rocprim17ROCPRIM_400000_NS6detail17trampoline_kernelINS0_14default_configENS1_20scan_config_selectorIfEEZZNS1_9scan_implILNS1_25lookback_scan_determinismE0ELb1ELb1ES3_N6thrust23THRUST_200600_302600_NS6detail15normal_iteratorINS9_10device_ptrIfEEEENS9_16discard_iteratorINS9_11use_defaultEEEfNS9_4plusIvEEfEEDaPvRmT3_T4_T5_mT6_P12ihipStream_tbENKUlT_T0_E_clISt17integral_constantIbLb0EESX_EEDaSS_ST_EUlSS_E0_NS1_11comp_targetILNS1_3genE2ELNS1_11target_archE906ELNS1_3gpuE6ELNS1_3repE0EEENS1_30default_config_static_selectorELNS0_4arch9wavefront6targetE1EEEvT1_.kd
    .uniform_work_group_size: 1
    .uses_dynamic_stack: false
    .vgpr_count:     0
    .vgpr_spill_count: 0
    .wavefront_size: 64
  - .agpr_count:     0
    .args:
      - .offset:         0
        .size:           40
        .value_kind:     by_value
    .group_segment_fixed_size: 0
    .kernarg_segment_align: 8
    .kernarg_segment_size: 40
    .language:       OpenCL C
    .language_version:
      - 2
      - 0
    .max_flat_workgroup_size: 256
    .name:           _ZN7rocprim17ROCPRIM_400000_NS6detail17trampoline_kernelINS0_14default_configENS1_20scan_config_selectorIfEEZZNS1_9scan_implILNS1_25lookback_scan_determinismE0ELb1ELb1ES3_N6thrust23THRUST_200600_302600_NS6detail15normal_iteratorINS9_10device_ptrIfEEEENS9_16discard_iteratorINS9_11use_defaultEEEfNS9_4plusIvEEfEEDaPvRmT3_T4_T5_mT6_P12ihipStream_tbENKUlT_T0_E_clISt17integral_constantIbLb0EESX_EEDaSS_ST_EUlSS_E0_NS1_11comp_targetILNS1_3genE10ELNS1_11target_archE1201ELNS1_3gpuE5ELNS1_3repE0EEENS1_30default_config_static_selectorELNS0_4arch9wavefront6targetE1EEEvT1_
    .private_segment_fixed_size: 0
    .sgpr_count:     4
    .sgpr_spill_count: 0
    .symbol:         _ZN7rocprim17ROCPRIM_400000_NS6detail17trampoline_kernelINS0_14default_configENS1_20scan_config_selectorIfEEZZNS1_9scan_implILNS1_25lookback_scan_determinismE0ELb1ELb1ES3_N6thrust23THRUST_200600_302600_NS6detail15normal_iteratorINS9_10device_ptrIfEEEENS9_16discard_iteratorINS9_11use_defaultEEEfNS9_4plusIvEEfEEDaPvRmT3_T4_T5_mT6_P12ihipStream_tbENKUlT_T0_E_clISt17integral_constantIbLb0EESX_EEDaSS_ST_EUlSS_E0_NS1_11comp_targetILNS1_3genE10ELNS1_11target_archE1201ELNS1_3gpuE5ELNS1_3repE0EEENS1_30default_config_static_selectorELNS0_4arch9wavefront6targetE1EEEvT1_.kd
    .uniform_work_group_size: 1
    .uses_dynamic_stack: false
    .vgpr_count:     0
    .vgpr_spill_count: 0
    .wavefront_size: 64
  - .agpr_count:     0
    .args:
      - .offset:         0
        .size:           40
        .value_kind:     by_value
    .group_segment_fixed_size: 0
    .kernarg_segment_align: 8
    .kernarg_segment_size: 40
    .language:       OpenCL C
    .language_version:
      - 2
      - 0
    .max_flat_workgroup_size: 256
    .name:           _ZN7rocprim17ROCPRIM_400000_NS6detail17trampoline_kernelINS0_14default_configENS1_20scan_config_selectorIfEEZZNS1_9scan_implILNS1_25lookback_scan_determinismE0ELb1ELb1ES3_N6thrust23THRUST_200600_302600_NS6detail15normal_iteratorINS9_10device_ptrIfEEEENS9_16discard_iteratorINS9_11use_defaultEEEfNS9_4plusIvEEfEEDaPvRmT3_T4_T5_mT6_P12ihipStream_tbENKUlT_T0_E_clISt17integral_constantIbLb0EESX_EEDaSS_ST_EUlSS_E0_NS1_11comp_targetILNS1_3genE10ELNS1_11target_archE1200ELNS1_3gpuE4ELNS1_3repE0EEENS1_30default_config_static_selectorELNS0_4arch9wavefront6targetE1EEEvT1_
    .private_segment_fixed_size: 0
    .sgpr_count:     4
    .sgpr_spill_count: 0
    .symbol:         _ZN7rocprim17ROCPRIM_400000_NS6detail17trampoline_kernelINS0_14default_configENS1_20scan_config_selectorIfEEZZNS1_9scan_implILNS1_25lookback_scan_determinismE0ELb1ELb1ES3_N6thrust23THRUST_200600_302600_NS6detail15normal_iteratorINS9_10device_ptrIfEEEENS9_16discard_iteratorINS9_11use_defaultEEEfNS9_4plusIvEEfEEDaPvRmT3_T4_T5_mT6_P12ihipStream_tbENKUlT_T0_E_clISt17integral_constantIbLb0EESX_EEDaSS_ST_EUlSS_E0_NS1_11comp_targetILNS1_3genE10ELNS1_11target_archE1200ELNS1_3gpuE4ELNS1_3repE0EEENS1_30default_config_static_selectorELNS0_4arch9wavefront6targetE1EEEvT1_.kd
    .uniform_work_group_size: 1
    .uses_dynamic_stack: false
    .vgpr_count:     0
    .vgpr_spill_count: 0
    .wavefront_size: 64
  - .agpr_count:     0
    .args:
      - .offset:         0
        .size:           40
        .value_kind:     by_value
    .group_segment_fixed_size: 0
    .kernarg_segment_align: 8
    .kernarg_segment_size: 40
    .language:       OpenCL C
    .language_version:
      - 2
      - 0
    .max_flat_workgroup_size: 256
    .name:           _ZN7rocprim17ROCPRIM_400000_NS6detail17trampoline_kernelINS0_14default_configENS1_20scan_config_selectorIfEEZZNS1_9scan_implILNS1_25lookback_scan_determinismE0ELb1ELb1ES3_N6thrust23THRUST_200600_302600_NS6detail15normal_iteratorINS9_10device_ptrIfEEEENS9_16discard_iteratorINS9_11use_defaultEEEfNS9_4plusIvEEfEEDaPvRmT3_T4_T5_mT6_P12ihipStream_tbENKUlT_T0_E_clISt17integral_constantIbLb0EESX_EEDaSS_ST_EUlSS_E0_NS1_11comp_targetILNS1_3genE9ELNS1_11target_archE1100ELNS1_3gpuE3ELNS1_3repE0EEENS1_30default_config_static_selectorELNS0_4arch9wavefront6targetE1EEEvT1_
    .private_segment_fixed_size: 0
    .sgpr_count:     4
    .sgpr_spill_count: 0
    .symbol:         _ZN7rocprim17ROCPRIM_400000_NS6detail17trampoline_kernelINS0_14default_configENS1_20scan_config_selectorIfEEZZNS1_9scan_implILNS1_25lookback_scan_determinismE0ELb1ELb1ES3_N6thrust23THRUST_200600_302600_NS6detail15normal_iteratorINS9_10device_ptrIfEEEENS9_16discard_iteratorINS9_11use_defaultEEEfNS9_4plusIvEEfEEDaPvRmT3_T4_T5_mT6_P12ihipStream_tbENKUlT_T0_E_clISt17integral_constantIbLb0EESX_EEDaSS_ST_EUlSS_E0_NS1_11comp_targetILNS1_3genE9ELNS1_11target_archE1100ELNS1_3gpuE3ELNS1_3repE0EEENS1_30default_config_static_selectorELNS0_4arch9wavefront6targetE1EEEvT1_.kd
    .uniform_work_group_size: 1
    .uses_dynamic_stack: false
    .vgpr_count:     0
    .vgpr_spill_count: 0
    .wavefront_size: 64
  - .agpr_count:     0
    .args:
      - .offset:         0
        .size:           40
        .value_kind:     by_value
    .group_segment_fixed_size: 0
    .kernarg_segment_align: 8
    .kernarg_segment_size: 40
    .language:       OpenCL C
    .language_version:
      - 2
      - 0
    .max_flat_workgroup_size: 64
    .name:           _ZN7rocprim17ROCPRIM_400000_NS6detail17trampoline_kernelINS0_14default_configENS1_20scan_config_selectorIfEEZZNS1_9scan_implILNS1_25lookback_scan_determinismE0ELb1ELb1ES3_N6thrust23THRUST_200600_302600_NS6detail15normal_iteratorINS9_10device_ptrIfEEEENS9_16discard_iteratorINS9_11use_defaultEEEfNS9_4plusIvEEfEEDaPvRmT3_T4_T5_mT6_P12ihipStream_tbENKUlT_T0_E_clISt17integral_constantIbLb0EESX_EEDaSS_ST_EUlSS_E0_NS1_11comp_targetILNS1_3genE8ELNS1_11target_archE1030ELNS1_3gpuE2ELNS1_3repE0EEENS1_30default_config_static_selectorELNS0_4arch9wavefront6targetE1EEEvT1_
    .private_segment_fixed_size: 0
    .sgpr_count:     4
    .sgpr_spill_count: 0
    .symbol:         _ZN7rocprim17ROCPRIM_400000_NS6detail17trampoline_kernelINS0_14default_configENS1_20scan_config_selectorIfEEZZNS1_9scan_implILNS1_25lookback_scan_determinismE0ELb1ELb1ES3_N6thrust23THRUST_200600_302600_NS6detail15normal_iteratorINS9_10device_ptrIfEEEENS9_16discard_iteratorINS9_11use_defaultEEEfNS9_4plusIvEEfEEDaPvRmT3_T4_T5_mT6_P12ihipStream_tbENKUlT_T0_E_clISt17integral_constantIbLb0EESX_EEDaSS_ST_EUlSS_E0_NS1_11comp_targetILNS1_3genE8ELNS1_11target_archE1030ELNS1_3gpuE2ELNS1_3repE0EEENS1_30default_config_static_selectorELNS0_4arch9wavefront6targetE1EEEvT1_.kd
    .uniform_work_group_size: 1
    .uses_dynamic_stack: false
    .vgpr_count:     0
    .vgpr_spill_count: 0
    .wavefront_size: 64
  - .agpr_count:     0
    .args:
      - .offset:         0
        .size:           104
        .value_kind:     by_value
    .group_segment_fixed_size: 0
    .kernarg_segment_align: 8
    .kernarg_segment_size: 104
    .language:       OpenCL C
    .language_version:
      - 2
      - 0
    .max_flat_workgroup_size: 256
    .name:           _ZN7rocprim17ROCPRIM_400000_NS6detail17trampoline_kernelINS0_14default_configENS1_20scan_config_selectorIfEEZZNS1_9scan_implILNS1_25lookback_scan_determinismE0ELb1ELb1ES3_N6thrust23THRUST_200600_302600_NS6detail15normal_iteratorINS9_10device_ptrIfEEEENS9_16discard_iteratorINS9_11use_defaultEEEfNS9_4plusIvEEfEEDaPvRmT3_T4_T5_mT6_P12ihipStream_tbENKUlT_T0_E_clISt17integral_constantIbLb1EESX_EEDaSS_ST_EUlSS_E_NS1_11comp_targetILNS1_3genE0ELNS1_11target_archE4294967295ELNS1_3gpuE0ELNS1_3repE0EEENS1_30default_config_static_selectorELNS0_4arch9wavefront6targetE1EEEvT1_
    .private_segment_fixed_size: 0
    .sgpr_count:     4
    .sgpr_spill_count: 0
    .symbol:         _ZN7rocprim17ROCPRIM_400000_NS6detail17trampoline_kernelINS0_14default_configENS1_20scan_config_selectorIfEEZZNS1_9scan_implILNS1_25lookback_scan_determinismE0ELb1ELb1ES3_N6thrust23THRUST_200600_302600_NS6detail15normal_iteratorINS9_10device_ptrIfEEEENS9_16discard_iteratorINS9_11use_defaultEEEfNS9_4plusIvEEfEEDaPvRmT3_T4_T5_mT6_P12ihipStream_tbENKUlT_T0_E_clISt17integral_constantIbLb1EESX_EEDaSS_ST_EUlSS_E_NS1_11comp_targetILNS1_3genE0ELNS1_11target_archE4294967295ELNS1_3gpuE0ELNS1_3repE0EEENS1_30default_config_static_selectorELNS0_4arch9wavefront6targetE1EEEvT1_.kd
    .uniform_work_group_size: 1
    .uses_dynamic_stack: false
    .vgpr_count:     0
    .vgpr_spill_count: 0
    .wavefront_size: 64
  - .agpr_count:     0
    .args:
      - .offset:         0
        .size:           104
        .value_kind:     by_value
    .group_segment_fixed_size: 0
    .kernarg_segment_align: 8
    .kernarg_segment_size: 104
    .language:       OpenCL C
    .language_version:
      - 2
      - 0
    .max_flat_workgroup_size: 256
    .name:           _ZN7rocprim17ROCPRIM_400000_NS6detail17trampoline_kernelINS0_14default_configENS1_20scan_config_selectorIfEEZZNS1_9scan_implILNS1_25lookback_scan_determinismE0ELb1ELb1ES3_N6thrust23THRUST_200600_302600_NS6detail15normal_iteratorINS9_10device_ptrIfEEEENS9_16discard_iteratorINS9_11use_defaultEEEfNS9_4plusIvEEfEEDaPvRmT3_T4_T5_mT6_P12ihipStream_tbENKUlT_T0_E_clISt17integral_constantIbLb1EESX_EEDaSS_ST_EUlSS_E_NS1_11comp_targetILNS1_3genE5ELNS1_11target_archE942ELNS1_3gpuE9ELNS1_3repE0EEENS1_30default_config_static_selectorELNS0_4arch9wavefront6targetE1EEEvT1_
    .private_segment_fixed_size: 0
    .sgpr_count:     4
    .sgpr_spill_count: 0
    .symbol:         _ZN7rocprim17ROCPRIM_400000_NS6detail17trampoline_kernelINS0_14default_configENS1_20scan_config_selectorIfEEZZNS1_9scan_implILNS1_25lookback_scan_determinismE0ELb1ELb1ES3_N6thrust23THRUST_200600_302600_NS6detail15normal_iteratorINS9_10device_ptrIfEEEENS9_16discard_iteratorINS9_11use_defaultEEEfNS9_4plusIvEEfEEDaPvRmT3_T4_T5_mT6_P12ihipStream_tbENKUlT_T0_E_clISt17integral_constantIbLb1EESX_EEDaSS_ST_EUlSS_E_NS1_11comp_targetILNS1_3genE5ELNS1_11target_archE942ELNS1_3gpuE9ELNS1_3repE0EEENS1_30default_config_static_selectorELNS0_4arch9wavefront6targetE1EEEvT1_.kd
    .uniform_work_group_size: 1
    .uses_dynamic_stack: false
    .vgpr_count:     0
    .vgpr_spill_count: 0
    .wavefront_size: 64
  - .agpr_count:     0
    .args:
      - .offset:         0
        .size:           104
        .value_kind:     by_value
    .group_segment_fixed_size: 7168
    .kernarg_segment_align: 8
    .kernarg_segment_size: 104
    .language:       OpenCL C
    .language_version:
      - 2
      - 0
    .max_flat_workgroup_size: 128
    .name:           _ZN7rocprim17ROCPRIM_400000_NS6detail17trampoline_kernelINS0_14default_configENS1_20scan_config_selectorIfEEZZNS1_9scan_implILNS1_25lookback_scan_determinismE0ELb1ELb1ES3_N6thrust23THRUST_200600_302600_NS6detail15normal_iteratorINS9_10device_ptrIfEEEENS9_16discard_iteratorINS9_11use_defaultEEEfNS9_4plusIvEEfEEDaPvRmT3_T4_T5_mT6_P12ihipStream_tbENKUlT_T0_E_clISt17integral_constantIbLb1EESX_EEDaSS_ST_EUlSS_E_NS1_11comp_targetILNS1_3genE4ELNS1_11target_archE910ELNS1_3gpuE8ELNS1_3repE0EEENS1_30default_config_static_selectorELNS0_4arch9wavefront6targetE1EEEvT1_
    .private_segment_fixed_size: 0
    .sgpr_count:     39
    .sgpr_spill_count: 0
    .symbol:         _ZN7rocprim17ROCPRIM_400000_NS6detail17trampoline_kernelINS0_14default_configENS1_20scan_config_selectorIfEEZZNS1_9scan_implILNS1_25lookback_scan_determinismE0ELb1ELb1ES3_N6thrust23THRUST_200600_302600_NS6detail15normal_iteratorINS9_10device_ptrIfEEEENS9_16discard_iteratorINS9_11use_defaultEEEfNS9_4plusIvEEfEEDaPvRmT3_T4_T5_mT6_P12ihipStream_tbENKUlT_T0_E_clISt17integral_constantIbLb1EESX_EEDaSS_ST_EUlSS_E_NS1_11comp_targetILNS1_3genE4ELNS1_11target_archE910ELNS1_3gpuE8ELNS1_3repE0EEENS1_30default_config_static_selectorELNS0_4arch9wavefront6targetE1EEEvT1_.kd
    .uniform_work_group_size: 1
    .uses_dynamic_stack: false
    .vgpr_count:     48
    .vgpr_spill_count: 0
    .wavefront_size: 64
  - .agpr_count:     0
    .args:
      - .offset:         0
        .size:           104
        .value_kind:     by_value
    .group_segment_fixed_size: 0
    .kernarg_segment_align: 8
    .kernarg_segment_size: 104
    .language:       OpenCL C
    .language_version:
      - 2
      - 0
    .max_flat_workgroup_size: 256
    .name:           _ZN7rocprim17ROCPRIM_400000_NS6detail17trampoline_kernelINS0_14default_configENS1_20scan_config_selectorIfEEZZNS1_9scan_implILNS1_25lookback_scan_determinismE0ELb1ELb1ES3_N6thrust23THRUST_200600_302600_NS6detail15normal_iteratorINS9_10device_ptrIfEEEENS9_16discard_iteratorINS9_11use_defaultEEEfNS9_4plusIvEEfEEDaPvRmT3_T4_T5_mT6_P12ihipStream_tbENKUlT_T0_E_clISt17integral_constantIbLb1EESX_EEDaSS_ST_EUlSS_E_NS1_11comp_targetILNS1_3genE3ELNS1_11target_archE908ELNS1_3gpuE7ELNS1_3repE0EEENS1_30default_config_static_selectorELNS0_4arch9wavefront6targetE1EEEvT1_
    .private_segment_fixed_size: 0
    .sgpr_count:     4
    .sgpr_spill_count: 0
    .symbol:         _ZN7rocprim17ROCPRIM_400000_NS6detail17trampoline_kernelINS0_14default_configENS1_20scan_config_selectorIfEEZZNS1_9scan_implILNS1_25lookback_scan_determinismE0ELb1ELb1ES3_N6thrust23THRUST_200600_302600_NS6detail15normal_iteratorINS9_10device_ptrIfEEEENS9_16discard_iteratorINS9_11use_defaultEEEfNS9_4plusIvEEfEEDaPvRmT3_T4_T5_mT6_P12ihipStream_tbENKUlT_T0_E_clISt17integral_constantIbLb1EESX_EEDaSS_ST_EUlSS_E_NS1_11comp_targetILNS1_3genE3ELNS1_11target_archE908ELNS1_3gpuE7ELNS1_3repE0EEENS1_30default_config_static_selectorELNS0_4arch9wavefront6targetE1EEEvT1_.kd
    .uniform_work_group_size: 1
    .uses_dynamic_stack: false
    .vgpr_count:     0
    .vgpr_spill_count: 0
    .wavefront_size: 64
  - .agpr_count:     0
    .args:
      - .offset:         0
        .size:           104
        .value_kind:     by_value
    .group_segment_fixed_size: 0
    .kernarg_segment_align: 8
    .kernarg_segment_size: 104
    .language:       OpenCL C
    .language_version:
      - 2
      - 0
    .max_flat_workgroup_size: 256
    .name:           _ZN7rocprim17ROCPRIM_400000_NS6detail17trampoline_kernelINS0_14default_configENS1_20scan_config_selectorIfEEZZNS1_9scan_implILNS1_25lookback_scan_determinismE0ELb1ELb1ES3_N6thrust23THRUST_200600_302600_NS6detail15normal_iteratorINS9_10device_ptrIfEEEENS9_16discard_iteratorINS9_11use_defaultEEEfNS9_4plusIvEEfEEDaPvRmT3_T4_T5_mT6_P12ihipStream_tbENKUlT_T0_E_clISt17integral_constantIbLb1EESX_EEDaSS_ST_EUlSS_E_NS1_11comp_targetILNS1_3genE2ELNS1_11target_archE906ELNS1_3gpuE6ELNS1_3repE0EEENS1_30default_config_static_selectorELNS0_4arch9wavefront6targetE1EEEvT1_
    .private_segment_fixed_size: 0
    .sgpr_count:     4
    .sgpr_spill_count: 0
    .symbol:         _ZN7rocprim17ROCPRIM_400000_NS6detail17trampoline_kernelINS0_14default_configENS1_20scan_config_selectorIfEEZZNS1_9scan_implILNS1_25lookback_scan_determinismE0ELb1ELb1ES3_N6thrust23THRUST_200600_302600_NS6detail15normal_iteratorINS9_10device_ptrIfEEEENS9_16discard_iteratorINS9_11use_defaultEEEfNS9_4plusIvEEfEEDaPvRmT3_T4_T5_mT6_P12ihipStream_tbENKUlT_T0_E_clISt17integral_constantIbLb1EESX_EEDaSS_ST_EUlSS_E_NS1_11comp_targetILNS1_3genE2ELNS1_11target_archE906ELNS1_3gpuE6ELNS1_3repE0EEENS1_30default_config_static_selectorELNS0_4arch9wavefront6targetE1EEEvT1_.kd
    .uniform_work_group_size: 1
    .uses_dynamic_stack: false
    .vgpr_count:     0
    .vgpr_spill_count: 0
    .wavefront_size: 64
  - .agpr_count:     0
    .args:
      - .offset:         0
        .size:           104
        .value_kind:     by_value
    .group_segment_fixed_size: 0
    .kernarg_segment_align: 8
    .kernarg_segment_size: 104
    .language:       OpenCL C
    .language_version:
      - 2
      - 0
    .max_flat_workgroup_size: 256
    .name:           _ZN7rocprim17ROCPRIM_400000_NS6detail17trampoline_kernelINS0_14default_configENS1_20scan_config_selectorIfEEZZNS1_9scan_implILNS1_25lookback_scan_determinismE0ELb1ELb1ES3_N6thrust23THRUST_200600_302600_NS6detail15normal_iteratorINS9_10device_ptrIfEEEENS9_16discard_iteratorINS9_11use_defaultEEEfNS9_4plusIvEEfEEDaPvRmT3_T4_T5_mT6_P12ihipStream_tbENKUlT_T0_E_clISt17integral_constantIbLb1EESX_EEDaSS_ST_EUlSS_E_NS1_11comp_targetILNS1_3genE10ELNS1_11target_archE1201ELNS1_3gpuE5ELNS1_3repE0EEENS1_30default_config_static_selectorELNS0_4arch9wavefront6targetE1EEEvT1_
    .private_segment_fixed_size: 0
    .sgpr_count:     4
    .sgpr_spill_count: 0
    .symbol:         _ZN7rocprim17ROCPRIM_400000_NS6detail17trampoline_kernelINS0_14default_configENS1_20scan_config_selectorIfEEZZNS1_9scan_implILNS1_25lookback_scan_determinismE0ELb1ELb1ES3_N6thrust23THRUST_200600_302600_NS6detail15normal_iteratorINS9_10device_ptrIfEEEENS9_16discard_iteratorINS9_11use_defaultEEEfNS9_4plusIvEEfEEDaPvRmT3_T4_T5_mT6_P12ihipStream_tbENKUlT_T0_E_clISt17integral_constantIbLb1EESX_EEDaSS_ST_EUlSS_E_NS1_11comp_targetILNS1_3genE10ELNS1_11target_archE1201ELNS1_3gpuE5ELNS1_3repE0EEENS1_30default_config_static_selectorELNS0_4arch9wavefront6targetE1EEEvT1_.kd
    .uniform_work_group_size: 1
    .uses_dynamic_stack: false
    .vgpr_count:     0
    .vgpr_spill_count: 0
    .wavefront_size: 64
  - .agpr_count:     0
    .args:
      - .offset:         0
        .size:           104
        .value_kind:     by_value
    .group_segment_fixed_size: 0
    .kernarg_segment_align: 8
    .kernarg_segment_size: 104
    .language:       OpenCL C
    .language_version:
      - 2
      - 0
    .max_flat_workgroup_size: 256
    .name:           _ZN7rocprim17ROCPRIM_400000_NS6detail17trampoline_kernelINS0_14default_configENS1_20scan_config_selectorIfEEZZNS1_9scan_implILNS1_25lookback_scan_determinismE0ELb1ELb1ES3_N6thrust23THRUST_200600_302600_NS6detail15normal_iteratorINS9_10device_ptrIfEEEENS9_16discard_iteratorINS9_11use_defaultEEEfNS9_4plusIvEEfEEDaPvRmT3_T4_T5_mT6_P12ihipStream_tbENKUlT_T0_E_clISt17integral_constantIbLb1EESX_EEDaSS_ST_EUlSS_E_NS1_11comp_targetILNS1_3genE10ELNS1_11target_archE1200ELNS1_3gpuE4ELNS1_3repE0EEENS1_30default_config_static_selectorELNS0_4arch9wavefront6targetE1EEEvT1_
    .private_segment_fixed_size: 0
    .sgpr_count:     4
    .sgpr_spill_count: 0
    .symbol:         _ZN7rocprim17ROCPRIM_400000_NS6detail17trampoline_kernelINS0_14default_configENS1_20scan_config_selectorIfEEZZNS1_9scan_implILNS1_25lookback_scan_determinismE0ELb1ELb1ES3_N6thrust23THRUST_200600_302600_NS6detail15normal_iteratorINS9_10device_ptrIfEEEENS9_16discard_iteratorINS9_11use_defaultEEEfNS9_4plusIvEEfEEDaPvRmT3_T4_T5_mT6_P12ihipStream_tbENKUlT_T0_E_clISt17integral_constantIbLb1EESX_EEDaSS_ST_EUlSS_E_NS1_11comp_targetILNS1_3genE10ELNS1_11target_archE1200ELNS1_3gpuE4ELNS1_3repE0EEENS1_30default_config_static_selectorELNS0_4arch9wavefront6targetE1EEEvT1_.kd
    .uniform_work_group_size: 1
    .uses_dynamic_stack: false
    .vgpr_count:     0
    .vgpr_spill_count: 0
    .wavefront_size: 64
  - .agpr_count:     0
    .args:
      - .offset:         0
        .size:           104
        .value_kind:     by_value
    .group_segment_fixed_size: 0
    .kernarg_segment_align: 8
    .kernarg_segment_size: 104
    .language:       OpenCL C
    .language_version:
      - 2
      - 0
    .max_flat_workgroup_size: 256
    .name:           _ZN7rocprim17ROCPRIM_400000_NS6detail17trampoline_kernelINS0_14default_configENS1_20scan_config_selectorIfEEZZNS1_9scan_implILNS1_25lookback_scan_determinismE0ELb1ELb1ES3_N6thrust23THRUST_200600_302600_NS6detail15normal_iteratorINS9_10device_ptrIfEEEENS9_16discard_iteratorINS9_11use_defaultEEEfNS9_4plusIvEEfEEDaPvRmT3_T4_T5_mT6_P12ihipStream_tbENKUlT_T0_E_clISt17integral_constantIbLb1EESX_EEDaSS_ST_EUlSS_E_NS1_11comp_targetILNS1_3genE9ELNS1_11target_archE1100ELNS1_3gpuE3ELNS1_3repE0EEENS1_30default_config_static_selectorELNS0_4arch9wavefront6targetE1EEEvT1_
    .private_segment_fixed_size: 0
    .sgpr_count:     4
    .sgpr_spill_count: 0
    .symbol:         _ZN7rocprim17ROCPRIM_400000_NS6detail17trampoline_kernelINS0_14default_configENS1_20scan_config_selectorIfEEZZNS1_9scan_implILNS1_25lookback_scan_determinismE0ELb1ELb1ES3_N6thrust23THRUST_200600_302600_NS6detail15normal_iteratorINS9_10device_ptrIfEEEENS9_16discard_iteratorINS9_11use_defaultEEEfNS9_4plusIvEEfEEDaPvRmT3_T4_T5_mT6_P12ihipStream_tbENKUlT_T0_E_clISt17integral_constantIbLb1EESX_EEDaSS_ST_EUlSS_E_NS1_11comp_targetILNS1_3genE9ELNS1_11target_archE1100ELNS1_3gpuE3ELNS1_3repE0EEENS1_30default_config_static_selectorELNS0_4arch9wavefront6targetE1EEEvT1_.kd
    .uniform_work_group_size: 1
    .uses_dynamic_stack: false
    .vgpr_count:     0
    .vgpr_spill_count: 0
    .wavefront_size: 64
  - .agpr_count:     0
    .args:
      - .offset:         0
        .size:           104
        .value_kind:     by_value
    .group_segment_fixed_size: 0
    .kernarg_segment_align: 8
    .kernarg_segment_size: 104
    .language:       OpenCL C
    .language_version:
      - 2
      - 0
    .max_flat_workgroup_size: 64
    .name:           _ZN7rocprim17ROCPRIM_400000_NS6detail17trampoline_kernelINS0_14default_configENS1_20scan_config_selectorIfEEZZNS1_9scan_implILNS1_25lookback_scan_determinismE0ELb1ELb1ES3_N6thrust23THRUST_200600_302600_NS6detail15normal_iteratorINS9_10device_ptrIfEEEENS9_16discard_iteratorINS9_11use_defaultEEEfNS9_4plusIvEEfEEDaPvRmT3_T4_T5_mT6_P12ihipStream_tbENKUlT_T0_E_clISt17integral_constantIbLb1EESX_EEDaSS_ST_EUlSS_E_NS1_11comp_targetILNS1_3genE8ELNS1_11target_archE1030ELNS1_3gpuE2ELNS1_3repE0EEENS1_30default_config_static_selectorELNS0_4arch9wavefront6targetE1EEEvT1_
    .private_segment_fixed_size: 0
    .sgpr_count:     4
    .sgpr_spill_count: 0
    .symbol:         _ZN7rocprim17ROCPRIM_400000_NS6detail17trampoline_kernelINS0_14default_configENS1_20scan_config_selectorIfEEZZNS1_9scan_implILNS1_25lookback_scan_determinismE0ELb1ELb1ES3_N6thrust23THRUST_200600_302600_NS6detail15normal_iteratorINS9_10device_ptrIfEEEENS9_16discard_iteratorINS9_11use_defaultEEEfNS9_4plusIvEEfEEDaPvRmT3_T4_T5_mT6_P12ihipStream_tbENKUlT_T0_E_clISt17integral_constantIbLb1EESX_EEDaSS_ST_EUlSS_E_NS1_11comp_targetILNS1_3genE8ELNS1_11target_archE1030ELNS1_3gpuE2ELNS1_3repE0EEENS1_30default_config_static_selectorELNS0_4arch9wavefront6targetE1EEEvT1_.kd
    .uniform_work_group_size: 1
    .uses_dynamic_stack: false
    .vgpr_count:     0
    .vgpr_spill_count: 0
    .wavefront_size: 64
  - .agpr_count:     0
    .args:
      - .offset:         0
        .size:           40
        .value_kind:     by_value
    .group_segment_fixed_size: 0
    .kernarg_segment_align: 8
    .kernarg_segment_size: 40
    .language:       OpenCL C
    .language_version:
      - 2
      - 0
    .max_flat_workgroup_size: 256
    .name:           _ZN7rocprim17ROCPRIM_400000_NS6detail17trampoline_kernelINS0_14default_configENS1_20scan_config_selectorIfEEZZNS1_9scan_implILNS1_25lookback_scan_determinismE0ELb1ELb1ES3_N6thrust23THRUST_200600_302600_NS6detail15normal_iteratorINS9_10device_ptrIfEEEENS9_16discard_iteratorINS9_11use_defaultEEEfNS9_4plusIvEEfEEDaPvRmT3_T4_T5_mT6_P12ihipStream_tbENKUlT_T0_E_clISt17integral_constantIbLb1EESX_EEDaSS_ST_EUlSS_E0_NS1_11comp_targetILNS1_3genE0ELNS1_11target_archE4294967295ELNS1_3gpuE0ELNS1_3repE0EEENS1_30default_config_static_selectorELNS0_4arch9wavefront6targetE1EEEvT1_
    .private_segment_fixed_size: 0
    .sgpr_count:     4
    .sgpr_spill_count: 0
    .symbol:         _ZN7rocprim17ROCPRIM_400000_NS6detail17trampoline_kernelINS0_14default_configENS1_20scan_config_selectorIfEEZZNS1_9scan_implILNS1_25lookback_scan_determinismE0ELb1ELb1ES3_N6thrust23THRUST_200600_302600_NS6detail15normal_iteratorINS9_10device_ptrIfEEEENS9_16discard_iteratorINS9_11use_defaultEEEfNS9_4plusIvEEfEEDaPvRmT3_T4_T5_mT6_P12ihipStream_tbENKUlT_T0_E_clISt17integral_constantIbLb1EESX_EEDaSS_ST_EUlSS_E0_NS1_11comp_targetILNS1_3genE0ELNS1_11target_archE4294967295ELNS1_3gpuE0ELNS1_3repE0EEENS1_30default_config_static_selectorELNS0_4arch9wavefront6targetE1EEEvT1_.kd
    .uniform_work_group_size: 1
    .uses_dynamic_stack: false
    .vgpr_count:     0
    .vgpr_spill_count: 0
    .wavefront_size: 64
  - .agpr_count:     0
    .args:
      - .offset:         0
        .size:           40
        .value_kind:     by_value
    .group_segment_fixed_size: 0
    .kernarg_segment_align: 8
    .kernarg_segment_size: 40
    .language:       OpenCL C
    .language_version:
      - 2
      - 0
    .max_flat_workgroup_size: 256
    .name:           _ZN7rocprim17ROCPRIM_400000_NS6detail17trampoline_kernelINS0_14default_configENS1_20scan_config_selectorIfEEZZNS1_9scan_implILNS1_25lookback_scan_determinismE0ELb1ELb1ES3_N6thrust23THRUST_200600_302600_NS6detail15normal_iteratorINS9_10device_ptrIfEEEENS9_16discard_iteratorINS9_11use_defaultEEEfNS9_4plusIvEEfEEDaPvRmT3_T4_T5_mT6_P12ihipStream_tbENKUlT_T0_E_clISt17integral_constantIbLb1EESX_EEDaSS_ST_EUlSS_E0_NS1_11comp_targetILNS1_3genE5ELNS1_11target_archE942ELNS1_3gpuE9ELNS1_3repE0EEENS1_30default_config_static_selectorELNS0_4arch9wavefront6targetE1EEEvT1_
    .private_segment_fixed_size: 0
    .sgpr_count:     4
    .sgpr_spill_count: 0
    .symbol:         _ZN7rocprim17ROCPRIM_400000_NS6detail17trampoline_kernelINS0_14default_configENS1_20scan_config_selectorIfEEZZNS1_9scan_implILNS1_25lookback_scan_determinismE0ELb1ELb1ES3_N6thrust23THRUST_200600_302600_NS6detail15normal_iteratorINS9_10device_ptrIfEEEENS9_16discard_iteratorINS9_11use_defaultEEEfNS9_4plusIvEEfEEDaPvRmT3_T4_T5_mT6_P12ihipStream_tbENKUlT_T0_E_clISt17integral_constantIbLb1EESX_EEDaSS_ST_EUlSS_E0_NS1_11comp_targetILNS1_3genE5ELNS1_11target_archE942ELNS1_3gpuE9ELNS1_3repE0EEENS1_30default_config_static_selectorELNS0_4arch9wavefront6targetE1EEEvT1_.kd
    .uniform_work_group_size: 1
    .uses_dynamic_stack: false
    .vgpr_count:     0
    .vgpr_spill_count: 0
    .wavefront_size: 64
  - .agpr_count:     0
    .args:
      - .offset:         0
        .size:           40
        .value_kind:     by_value
    .group_segment_fixed_size: 7168
    .kernarg_segment_align: 8
    .kernarg_segment_size: 40
    .language:       OpenCL C
    .language_version:
      - 2
      - 0
    .max_flat_workgroup_size: 128
    .name:           _ZN7rocprim17ROCPRIM_400000_NS6detail17trampoline_kernelINS0_14default_configENS1_20scan_config_selectorIfEEZZNS1_9scan_implILNS1_25lookback_scan_determinismE0ELb1ELb1ES3_N6thrust23THRUST_200600_302600_NS6detail15normal_iteratorINS9_10device_ptrIfEEEENS9_16discard_iteratorINS9_11use_defaultEEEfNS9_4plusIvEEfEEDaPvRmT3_T4_T5_mT6_P12ihipStream_tbENKUlT_T0_E_clISt17integral_constantIbLb1EESX_EEDaSS_ST_EUlSS_E0_NS1_11comp_targetILNS1_3genE4ELNS1_11target_archE910ELNS1_3gpuE8ELNS1_3repE0EEENS1_30default_config_static_selectorELNS0_4arch9wavefront6targetE1EEEvT1_
    .private_segment_fixed_size: 0
    .sgpr_count:     12
    .sgpr_spill_count: 0
    .symbol:         _ZN7rocprim17ROCPRIM_400000_NS6detail17trampoline_kernelINS0_14default_configENS1_20scan_config_selectorIfEEZZNS1_9scan_implILNS1_25lookback_scan_determinismE0ELb1ELb1ES3_N6thrust23THRUST_200600_302600_NS6detail15normal_iteratorINS9_10device_ptrIfEEEENS9_16discard_iteratorINS9_11use_defaultEEEfNS9_4plusIvEEfEEDaPvRmT3_T4_T5_mT6_P12ihipStream_tbENKUlT_T0_E_clISt17integral_constantIbLb1EESX_EEDaSS_ST_EUlSS_E0_NS1_11comp_targetILNS1_3genE4ELNS1_11target_archE910ELNS1_3gpuE8ELNS1_3repE0EEENS1_30default_config_static_selectorELNS0_4arch9wavefront6targetE1EEEvT1_.kd
    .uniform_work_group_size: 1
    .uses_dynamic_stack: false
    .vgpr_count:     23
    .vgpr_spill_count: 0
    .wavefront_size: 64
  - .agpr_count:     0
    .args:
      - .offset:         0
        .size:           40
        .value_kind:     by_value
    .group_segment_fixed_size: 0
    .kernarg_segment_align: 8
    .kernarg_segment_size: 40
    .language:       OpenCL C
    .language_version:
      - 2
      - 0
    .max_flat_workgroup_size: 256
    .name:           _ZN7rocprim17ROCPRIM_400000_NS6detail17trampoline_kernelINS0_14default_configENS1_20scan_config_selectorIfEEZZNS1_9scan_implILNS1_25lookback_scan_determinismE0ELb1ELb1ES3_N6thrust23THRUST_200600_302600_NS6detail15normal_iteratorINS9_10device_ptrIfEEEENS9_16discard_iteratorINS9_11use_defaultEEEfNS9_4plusIvEEfEEDaPvRmT3_T4_T5_mT6_P12ihipStream_tbENKUlT_T0_E_clISt17integral_constantIbLb1EESX_EEDaSS_ST_EUlSS_E0_NS1_11comp_targetILNS1_3genE3ELNS1_11target_archE908ELNS1_3gpuE7ELNS1_3repE0EEENS1_30default_config_static_selectorELNS0_4arch9wavefront6targetE1EEEvT1_
    .private_segment_fixed_size: 0
    .sgpr_count:     4
    .sgpr_spill_count: 0
    .symbol:         _ZN7rocprim17ROCPRIM_400000_NS6detail17trampoline_kernelINS0_14default_configENS1_20scan_config_selectorIfEEZZNS1_9scan_implILNS1_25lookback_scan_determinismE0ELb1ELb1ES3_N6thrust23THRUST_200600_302600_NS6detail15normal_iteratorINS9_10device_ptrIfEEEENS9_16discard_iteratorINS9_11use_defaultEEEfNS9_4plusIvEEfEEDaPvRmT3_T4_T5_mT6_P12ihipStream_tbENKUlT_T0_E_clISt17integral_constantIbLb1EESX_EEDaSS_ST_EUlSS_E0_NS1_11comp_targetILNS1_3genE3ELNS1_11target_archE908ELNS1_3gpuE7ELNS1_3repE0EEENS1_30default_config_static_selectorELNS0_4arch9wavefront6targetE1EEEvT1_.kd
    .uniform_work_group_size: 1
    .uses_dynamic_stack: false
    .vgpr_count:     0
    .vgpr_spill_count: 0
    .wavefront_size: 64
  - .agpr_count:     0
    .args:
      - .offset:         0
        .size:           40
        .value_kind:     by_value
    .group_segment_fixed_size: 0
    .kernarg_segment_align: 8
    .kernarg_segment_size: 40
    .language:       OpenCL C
    .language_version:
      - 2
      - 0
    .max_flat_workgroup_size: 256
    .name:           _ZN7rocprim17ROCPRIM_400000_NS6detail17trampoline_kernelINS0_14default_configENS1_20scan_config_selectorIfEEZZNS1_9scan_implILNS1_25lookback_scan_determinismE0ELb1ELb1ES3_N6thrust23THRUST_200600_302600_NS6detail15normal_iteratorINS9_10device_ptrIfEEEENS9_16discard_iteratorINS9_11use_defaultEEEfNS9_4plusIvEEfEEDaPvRmT3_T4_T5_mT6_P12ihipStream_tbENKUlT_T0_E_clISt17integral_constantIbLb1EESX_EEDaSS_ST_EUlSS_E0_NS1_11comp_targetILNS1_3genE2ELNS1_11target_archE906ELNS1_3gpuE6ELNS1_3repE0EEENS1_30default_config_static_selectorELNS0_4arch9wavefront6targetE1EEEvT1_
    .private_segment_fixed_size: 0
    .sgpr_count:     4
    .sgpr_spill_count: 0
    .symbol:         _ZN7rocprim17ROCPRIM_400000_NS6detail17trampoline_kernelINS0_14default_configENS1_20scan_config_selectorIfEEZZNS1_9scan_implILNS1_25lookback_scan_determinismE0ELb1ELb1ES3_N6thrust23THRUST_200600_302600_NS6detail15normal_iteratorINS9_10device_ptrIfEEEENS9_16discard_iteratorINS9_11use_defaultEEEfNS9_4plusIvEEfEEDaPvRmT3_T4_T5_mT6_P12ihipStream_tbENKUlT_T0_E_clISt17integral_constantIbLb1EESX_EEDaSS_ST_EUlSS_E0_NS1_11comp_targetILNS1_3genE2ELNS1_11target_archE906ELNS1_3gpuE6ELNS1_3repE0EEENS1_30default_config_static_selectorELNS0_4arch9wavefront6targetE1EEEvT1_.kd
    .uniform_work_group_size: 1
    .uses_dynamic_stack: false
    .vgpr_count:     0
    .vgpr_spill_count: 0
    .wavefront_size: 64
  - .agpr_count:     0
    .args:
      - .offset:         0
        .size:           40
        .value_kind:     by_value
    .group_segment_fixed_size: 0
    .kernarg_segment_align: 8
    .kernarg_segment_size: 40
    .language:       OpenCL C
    .language_version:
      - 2
      - 0
    .max_flat_workgroup_size: 256
    .name:           _ZN7rocprim17ROCPRIM_400000_NS6detail17trampoline_kernelINS0_14default_configENS1_20scan_config_selectorIfEEZZNS1_9scan_implILNS1_25lookback_scan_determinismE0ELb1ELb1ES3_N6thrust23THRUST_200600_302600_NS6detail15normal_iteratorINS9_10device_ptrIfEEEENS9_16discard_iteratorINS9_11use_defaultEEEfNS9_4plusIvEEfEEDaPvRmT3_T4_T5_mT6_P12ihipStream_tbENKUlT_T0_E_clISt17integral_constantIbLb1EESX_EEDaSS_ST_EUlSS_E0_NS1_11comp_targetILNS1_3genE10ELNS1_11target_archE1201ELNS1_3gpuE5ELNS1_3repE0EEENS1_30default_config_static_selectorELNS0_4arch9wavefront6targetE1EEEvT1_
    .private_segment_fixed_size: 0
    .sgpr_count:     4
    .sgpr_spill_count: 0
    .symbol:         _ZN7rocprim17ROCPRIM_400000_NS6detail17trampoline_kernelINS0_14default_configENS1_20scan_config_selectorIfEEZZNS1_9scan_implILNS1_25lookback_scan_determinismE0ELb1ELb1ES3_N6thrust23THRUST_200600_302600_NS6detail15normal_iteratorINS9_10device_ptrIfEEEENS9_16discard_iteratorINS9_11use_defaultEEEfNS9_4plusIvEEfEEDaPvRmT3_T4_T5_mT6_P12ihipStream_tbENKUlT_T0_E_clISt17integral_constantIbLb1EESX_EEDaSS_ST_EUlSS_E0_NS1_11comp_targetILNS1_3genE10ELNS1_11target_archE1201ELNS1_3gpuE5ELNS1_3repE0EEENS1_30default_config_static_selectorELNS0_4arch9wavefront6targetE1EEEvT1_.kd
    .uniform_work_group_size: 1
    .uses_dynamic_stack: false
    .vgpr_count:     0
    .vgpr_spill_count: 0
    .wavefront_size: 64
  - .agpr_count:     0
    .args:
      - .offset:         0
        .size:           40
        .value_kind:     by_value
    .group_segment_fixed_size: 0
    .kernarg_segment_align: 8
    .kernarg_segment_size: 40
    .language:       OpenCL C
    .language_version:
      - 2
      - 0
    .max_flat_workgroup_size: 256
    .name:           _ZN7rocprim17ROCPRIM_400000_NS6detail17trampoline_kernelINS0_14default_configENS1_20scan_config_selectorIfEEZZNS1_9scan_implILNS1_25lookback_scan_determinismE0ELb1ELb1ES3_N6thrust23THRUST_200600_302600_NS6detail15normal_iteratorINS9_10device_ptrIfEEEENS9_16discard_iteratorINS9_11use_defaultEEEfNS9_4plusIvEEfEEDaPvRmT3_T4_T5_mT6_P12ihipStream_tbENKUlT_T0_E_clISt17integral_constantIbLb1EESX_EEDaSS_ST_EUlSS_E0_NS1_11comp_targetILNS1_3genE10ELNS1_11target_archE1200ELNS1_3gpuE4ELNS1_3repE0EEENS1_30default_config_static_selectorELNS0_4arch9wavefront6targetE1EEEvT1_
    .private_segment_fixed_size: 0
    .sgpr_count:     4
    .sgpr_spill_count: 0
    .symbol:         _ZN7rocprim17ROCPRIM_400000_NS6detail17trampoline_kernelINS0_14default_configENS1_20scan_config_selectorIfEEZZNS1_9scan_implILNS1_25lookback_scan_determinismE0ELb1ELb1ES3_N6thrust23THRUST_200600_302600_NS6detail15normal_iteratorINS9_10device_ptrIfEEEENS9_16discard_iteratorINS9_11use_defaultEEEfNS9_4plusIvEEfEEDaPvRmT3_T4_T5_mT6_P12ihipStream_tbENKUlT_T0_E_clISt17integral_constantIbLb1EESX_EEDaSS_ST_EUlSS_E0_NS1_11comp_targetILNS1_3genE10ELNS1_11target_archE1200ELNS1_3gpuE4ELNS1_3repE0EEENS1_30default_config_static_selectorELNS0_4arch9wavefront6targetE1EEEvT1_.kd
    .uniform_work_group_size: 1
    .uses_dynamic_stack: false
    .vgpr_count:     0
    .vgpr_spill_count: 0
    .wavefront_size: 64
  - .agpr_count:     0
    .args:
      - .offset:         0
        .size:           40
        .value_kind:     by_value
    .group_segment_fixed_size: 0
    .kernarg_segment_align: 8
    .kernarg_segment_size: 40
    .language:       OpenCL C
    .language_version:
      - 2
      - 0
    .max_flat_workgroup_size: 256
    .name:           _ZN7rocprim17ROCPRIM_400000_NS6detail17trampoline_kernelINS0_14default_configENS1_20scan_config_selectorIfEEZZNS1_9scan_implILNS1_25lookback_scan_determinismE0ELb1ELb1ES3_N6thrust23THRUST_200600_302600_NS6detail15normal_iteratorINS9_10device_ptrIfEEEENS9_16discard_iteratorINS9_11use_defaultEEEfNS9_4plusIvEEfEEDaPvRmT3_T4_T5_mT6_P12ihipStream_tbENKUlT_T0_E_clISt17integral_constantIbLb1EESX_EEDaSS_ST_EUlSS_E0_NS1_11comp_targetILNS1_3genE9ELNS1_11target_archE1100ELNS1_3gpuE3ELNS1_3repE0EEENS1_30default_config_static_selectorELNS0_4arch9wavefront6targetE1EEEvT1_
    .private_segment_fixed_size: 0
    .sgpr_count:     4
    .sgpr_spill_count: 0
    .symbol:         _ZN7rocprim17ROCPRIM_400000_NS6detail17trampoline_kernelINS0_14default_configENS1_20scan_config_selectorIfEEZZNS1_9scan_implILNS1_25lookback_scan_determinismE0ELb1ELb1ES3_N6thrust23THRUST_200600_302600_NS6detail15normal_iteratorINS9_10device_ptrIfEEEENS9_16discard_iteratorINS9_11use_defaultEEEfNS9_4plusIvEEfEEDaPvRmT3_T4_T5_mT6_P12ihipStream_tbENKUlT_T0_E_clISt17integral_constantIbLb1EESX_EEDaSS_ST_EUlSS_E0_NS1_11comp_targetILNS1_3genE9ELNS1_11target_archE1100ELNS1_3gpuE3ELNS1_3repE0EEENS1_30default_config_static_selectorELNS0_4arch9wavefront6targetE1EEEvT1_.kd
    .uniform_work_group_size: 1
    .uses_dynamic_stack: false
    .vgpr_count:     0
    .vgpr_spill_count: 0
    .wavefront_size: 64
  - .agpr_count:     0
    .args:
      - .offset:         0
        .size:           40
        .value_kind:     by_value
    .group_segment_fixed_size: 0
    .kernarg_segment_align: 8
    .kernarg_segment_size: 40
    .language:       OpenCL C
    .language_version:
      - 2
      - 0
    .max_flat_workgroup_size: 64
    .name:           _ZN7rocprim17ROCPRIM_400000_NS6detail17trampoline_kernelINS0_14default_configENS1_20scan_config_selectorIfEEZZNS1_9scan_implILNS1_25lookback_scan_determinismE0ELb1ELb1ES3_N6thrust23THRUST_200600_302600_NS6detail15normal_iteratorINS9_10device_ptrIfEEEENS9_16discard_iteratorINS9_11use_defaultEEEfNS9_4plusIvEEfEEDaPvRmT3_T4_T5_mT6_P12ihipStream_tbENKUlT_T0_E_clISt17integral_constantIbLb1EESX_EEDaSS_ST_EUlSS_E0_NS1_11comp_targetILNS1_3genE8ELNS1_11target_archE1030ELNS1_3gpuE2ELNS1_3repE0EEENS1_30default_config_static_selectorELNS0_4arch9wavefront6targetE1EEEvT1_
    .private_segment_fixed_size: 0
    .sgpr_count:     4
    .sgpr_spill_count: 0
    .symbol:         _ZN7rocprim17ROCPRIM_400000_NS6detail17trampoline_kernelINS0_14default_configENS1_20scan_config_selectorIfEEZZNS1_9scan_implILNS1_25lookback_scan_determinismE0ELb1ELb1ES3_N6thrust23THRUST_200600_302600_NS6detail15normal_iteratorINS9_10device_ptrIfEEEENS9_16discard_iteratorINS9_11use_defaultEEEfNS9_4plusIvEEfEEDaPvRmT3_T4_T5_mT6_P12ihipStream_tbENKUlT_T0_E_clISt17integral_constantIbLb1EESX_EEDaSS_ST_EUlSS_E0_NS1_11comp_targetILNS1_3genE8ELNS1_11target_archE1030ELNS1_3gpuE2ELNS1_3repE0EEENS1_30default_config_static_selectorELNS0_4arch9wavefront6targetE1EEEvT1_.kd
    .uniform_work_group_size: 1
    .uses_dynamic_stack: false
    .vgpr_count:     0
    .vgpr_spill_count: 0
    .wavefront_size: 64
  - .agpr_count:     0
    .args:
      - .offset:         0
        .size:           104
        .value_kind:     by_value
    .group_segment_fixed_size: 0
    .kernarg_segment_align: 8
    .kernarg_segment_size: 104
    .language:       OpenCL C
    .language_version:
      - 2
      - 0
    .max_flat_workgroup_size: 256
    .name:           _ZN7rocprim17ROCPRIM_400000_NS6detail17trampoline_kernelINS0_14default_configENS1_20scan_config_selectorIfEEZZNS1_9scan_implILNS1_25lookback_scan_determinismE0ELb1ELb1ES3_N6thrust23THRUST_200600_302600_NS6detail15normal_iteratorINS9_10device_ptrIfEEEENS9_16discard_iteratorINS9_11use_defaultEEEfNS9_4plusIvEEfEEDaPvRmT3_T4_T5_mT6_P12ihipStream_tbENKUlT_T0_E_clISt17integral_constantIbLb1EESW_IbLb0EEEEDaSS_ST_EUlSS_E_NS1_11comp_targetILNS1_3genE0ELNS1_11target_archE4294967295ELNS1_3gpuE0ELNS1_3repE0EEENS1_30default_config_static_selectorELNS0_4arch9wavefront6targetE1EEEvT1_
    .private_segment_fixed_size: 0
    .sgpr_count:     4
    .sgpr_spill_count: 0
    .symbol:         _ZN7rocprim17ROCPRIM_400000_NS6detail17trampoline_kernelINS0_14default_configENS1_20scan_config_selectorIfEEZZNS1_9scan_implILNS1_25lookback_scan_determinismE0ELb1ELb1ES3_N6thrust23THRUST_200600_302600_NS6detail15normal_iteratorINS9_10device_ptrIfEEEENS9_16discard_iteratorINS9_11use_defaultEEEfNS9_4plusIvEEfEEDaPvRmT3_T4_T5_mT6_P12ihipStream_tbENKUlT_T0_E_clISt17integral_constantIbLb1EESW_IbLb0EEEEDaSS_ST_EUlSS_E_NS1_11comp_targetILNS1_3genE0ELNS1_11target_archE4294967295ELNS1_3gpuE0ELNS1_3repE0EEENS1_30default_config_static_selectorELNS0_4arch9wavefront6targetE1EEEvT1_.kd
    .uniform_work_group_size: 1
    .uses_dynamic_stack: false
    .vgpr_count:     0
    .vgpr_spill_count: 0
    .wavefront_size: 64
  - .agpr_count:     0
    .args:
      - .offset:         0
        .size:           104
        .value_kind:     by_value
    .group_segment_fixed_size: 0
    .kernarg_segment_align: 8
    .kernarg_segment_size: 104
    .language:       OpenCL C
    .language_version:
      - 2
      - 0
    .max_flat_workgroup_size: 256
    .name:           _ZN7rocprim17ROCPRIM_400000_NS6detail17trampoline_kernelINS0_14default_configENS1_20scan_config_selectorIfEEZZNS1_9scan_implILNS1_25lookback_scan_determinismE0ELb1ELb1ES3_N6thrust23THRUST_200600_302600_NS6detail15normal_iteratorINS9_10device_ptrIfEEEENS9_16discard_iteratorINS9_11use_defaultEEEfNS9_4plusIvEEfEEDaPvRmT3_T4_T5_mT6_P12ihipStream_tbENKUlT_T0_E_clISt17integral_constantIbLb1EESW_IbLb0EEEEDaSS_ST_EUlSS_E_NS1_11comp_targetILNS1_3genE5ELNS1_11target_archE942ELNS1_3gpuE9ELNS1_3repE0EEENS1_30default_config_static_selectorELNS0_4arch9wavefront6targetE1EEEvT1_
    .private_segment_fixed_size: 0
    .sgpr_count:     4
    .sgpr_spill_count: 0
    .symbol:         _ZN7rocprim17ROCPRIM_400000_NS6detail17trampoline_kernelINS0_14default_configENS1_20scan_config_selectorIfEEZZNS1_9scan_implILNS1_25lookback_scan_determinismE0ELb1ELb1ES3_N6thrust23THRUST_200600_302600_NS6detail15normal_iteratorINS9_10device_ptrIfEEEENS9_16discard_iteratorINS9_11use_defaultEEEfNS9_4plusIvEEfEEDaPvRmT3_T4_T5_mT6_P12ihipStream_tbENKUlT_T0_E_clISt17integral_constantIbLb1EESW_IbLb0EEEEDaSS_ST_EUlSS_E_NS1_11comp_targetILNS1_3genE5ELNS1_11target_archE942ELNS1_3gpuE9ELNS1_3repE0EEENS1_30default_config_static_selectorELNS0_4arch9wavefront6targetE1EEEvT1_.kd
    .uniform_work_group_size: 1
    .uses_dynamic_stack: false
    .vgpr_count:     0
    .vgpr_spill_count: 0
    .wavefront_size: 64
  - .agpr_count:     0
    .args:
      - .offset:         0
        .size:           104
        .value_kind:     by_value
    .group_segment_fixed_size: 7168
    .kernarg_segment_align: 8
    .kernarg_segment_size: 104
    .language:       OpenCL C
    .language_version:
      - 2
      - 0
    .max_flat_workgroup_size: 128
    .name:           _ZN7rocprim17ROCPRIM_400000_NS6detail17trampoline_kernelINS0_14default_configENS1_20scan_config_selectorIfEEZZNS1_9scan_implILNS1_25lookback_scan_determinismE0ELb1ELb1ES3_N6thrust23THRUST_200600_302600_NS6detail15normal_iteratorINS9_10device_ptrIfEEEENS9_16discard_iteratorINS9_11use_defaultEEEfNS9_4plusIvEEfEEDaPvRmT3_T4_T5_mT6_P12ihipStream_tbENKUlT_T0_E_clISt17integral_constantIbLb1EESW_IbLb0EEEEDaSS_ST_EUlSS_E_NS1_11comp_targetILNS1_3genE4ELNS1_11target_archE910ELNS1_3gpuE8ELNS1_3repE0EEENS1_30default_config_static_selectorELNS0_4arch9wavefront6targetE1EEEvT1_
    .private_segment_fixed_size: 0
    .sgpr_count:     29
    .sgpr_spill_count: 0
    .symbol:         _ZN7rocprim17ROCPRIM_400000_NS6detail17trampoline_kernelINS0_14default_configENS1_20scan_config_selectorIfEEZZNS1_9scan_implILNS1_25lookback_scan_determinismE0ELb1ELb1ES3_N6thrust23THRUST_200600_302600_NS6detail15normal_iteratorINS9_10device_ptrIfEEEENS9_16discard_iteratorINS9_11use_defaultEEEfNS9_4plusIvEEfEEDaPvRmT3_T4_T5_mT6_P12ihipStream_tbENKUlT_T0_E_clISt17integral_constantIbLb1EESW_IbLb0EEEEDaSS_ST_EUlSS_E_NS1_11comp_targetILNS1_3genE4ELNS1_11target_archE910ELNS1_3gpuE8ELNS1_3repE0EEENS1_30default_config_static_selectorELNS0_4arch9wavefront6targetE1EEEvT1_.kd
    .uniform_work_group_size: 1
    .uses_dynamic_stack: false
    .vgpr_count:     48
    .vgpr_spill_count: 0
    .wavefront_size: 64
  - .agpr_count:     0
    .args:
      - .offset:         0
        .size:           104
        .value_kind:     by_value
    .group_segment_fixed_size: 0
    .kernarg_segment_align: 8
    .kernarg_segment_size: 104
    .language:       OpenCL C
    .language_version:
      - 2
      - 0
    .max_flat_workgroup_size: 256
    .name:           _ZN7rocprim17ROCPRIM_400000_NS6detail17trampoline_kernelINS0_14default_configENS1_20scan_config_selectorIfEEZZNS1_9scan_implILNS1_25lookback_scan_determinismE0ELb1ELb1ES3_N6thrust23THRUST_200600_302600_NS6detail15normal_iteratorINS9_10device_ptrIfEEEENS9_16discard_iteratorINS9_11use_defaultEEEfNS9_4plusIvEEfEEDaPvRmT3_T4_T5_mT6_P12ihipStream_tbENKUlT_T0_E_clISt17integral_constantIbLb1EESW_IbLb0EEEEDaSS_ST_EUlSS_E_NS1_11comp_targetILNS1_3genE3ELNS1_11target_archE908ELNS1_3gpuE7ELNS1_3repE0EEENS1_30default_config_static_selectorELNS0_4arch9wavefront6targetE1EEEvT1_
    .private_segment_fixed_size: 0
    .sgpr_count:     4
    .sgpr_spill_count: 0
    .symbol:         _ZN7rocprim17ROCPRIM_400000_NS6detail17trampoline_kernelINS0_14default_configENS1_20scan_config_selectorIfEEZZNS1_9scan_implILNS1_25lookback_scan_determinismE0ELb1ELb1ES3_N6thrust23THRUST_200600_302600_NS6detail15normal_iteratorINS9_10device_ptrIfEEEENS9_16discard_iteratorINS9_11use_defaultEEEfNS9_4plusIvEEfEEDaPvRmT3_T4_T5_mT6_P12ihipStream_tbENKUlT_T0_E_clISt17integral_constantIbLb1EESW_IbLb0EEEEDaSS_ST_EUlSS_E_NS1_11comp_targetILNS1_3genE3ELNS1_11target_archE908ELNS1_3gpuE7ELNS1_3repE0EEENS1_30default_config_static_selectorELNS0_4arch9wavefront6targetE1EEEvT1_.kd
    .uniform_work_group_size: 1
    .uses_dynamic_stack: false
    .vgpr_count:     0
    .vgpr_spill_count: 0
    .wavefront_size: 64
  - .agpr_count:     0
    .args:
      - .offset:         0
        .size:           104
        .value_kind:     by_value
    .group_segment_fixed_size: 0
    .kernarg_segment_align: 8
    .kernarg_segment_size: 104
    .language:       OpenCL C
    .language_version:
      - 2
      - 0
    .max_flat_workgroup_size: 256
    .name:           _ZN7rocprim17ROCPRIM_400000_NS6detail17trampoline_kernelINS0_14default_configENS1_20scan_config_selectorIfEEZZNS1_9scan_implILNS1_25lookback_scan_determinismE0ELb1ELb1ES3_N6thrust23THRUST_200600_302600_NS6detail15normal_iteratorINS9_10device_ptrIfEEEENS9_16discard_iteratorINS9_11use_defaultEEEfNS9_4plusIvEEfEEDaPvRmT3_T4_T5_mT6_P12ihipStream_tbENKUlT_T0_E_clISt17integral_constantIbLb1EESW_IbLb0EEEEDaSS_ST_EUlSS_E_NS1_11comp_targetILNS1_3genE2ELNS1_11target_archE906ELNS1_3gpuE6ELNS1_3repE0EEENS1_30default_config_static_selectorELNS0_4arch9wavefront6targetE1EEEvT1_
    .private_segment_fixed_size: 0
    .sgpr_count:     4
    .sgpr_spill_count: 0
    .symbol:         _ZN7rocprim17ROCPRIM_400000_NS6detail17trampoline_kernelINS0_14default_configENS1_20scan_config_selectorIfEEZZNS1_9scan_implILNS1_25lookback_scan_determinismE0ELb1ELb1ES3_N6thrust23THRUST_200600_302600_NS6detail15normal_iteratorINS9_10device_ptrIfEEEENS9_16discard_iteratorINS9_11use_defaultEEEfNS9_4plusIvEEfEEDaPvRmT3_T4_T5_mT6_P12ihipStream_tbENKUlT_T0_E_clISt17integral_constantIbLb1EESW_IbLb0EEEEDaSS_ST_EUlSS_E_NS1_11comp_targetILNS1_3genE2ELNS1_11target_archE906ELNS1_3gpuE6ELNS1_3repE0EEENS1_30default_config_static_selectorELNS0_4arch9wavefront6targetE1EEEvT1_.kd
    .uniform_work_group_size: 1
    .uses_dynamic_stack: false
    .vgpr_count:     0
    .vgpr_spill_count: 0
    .wavefront_size: 64
  - .agpr_count:     0
    .args:
      - .offset:         0
        .size:           104
        .value_kind:     by_value
    .group_segment_fixed_size: 0
    .kernarg_segment_align: 8
    .kernarg_segment_size: 104
    .language:       OpenCL C
    .language_version:
      - 2
      - 0
    .max_flat_workgroup_size: 256
    .name:           _ZN7rocprim17ROCPRIM_400000_NS6detail17trampoline_kernelINS0_14default_configENS1_20scan_config_selectorIfEEZZNS1_9scan_implILNS1_25lookback_scan_determinismE0ELb1ELb1ES3_N6thrust23THRUST_200600_302600_NS6detail15normal_iteratorINS9_10device_ptrIfEEEENS9_16discard_iteratorINS9_11use_defaultEEEfNS9_4plusIvEEfEEDaPvRmT3_T4_T5_mT6_P12ihipStream_tbENKUlT_T0_E_clISt17integral_constantIbLb1EESW_IbLb0EEEEDaSS_ST_EUlSS_E_NS1_11comp_targetILNS1_3genE10ELNS1_11target_archE1201ELNS1_3gpuE5ELNS1_3repE0EEENS1_30default_config_static_selectorELNS0_4arch9wavefront6targetE1EEEvT1_
    .private_segment_fixed_size: 0
    .sgpr_count:     4
    .sgpr_spill_count: 0
    .symbol:         _ZN7rocprim17ROCPRIM_400000_NS6detail17trampoline_kernelINS0_14default_configENS1_20scan_config_selectorIfEEZZNS1_9scan_implILNS1_25lookback_scan_determinismE0ELb1ELb1ES3_N6thrust23THRUST_200600_302600_NS6detail15normal_iteratorINS9_10device_ptrIfEEEENS9_16discard_iteratorINS9_11use_defaultEEEfNS9_4plusIvEEfEEDaPvRmT3_T4_T5_mT6_P12ihipStream_tbENKUlT_T0_E_clISt17integral_constantIbLb1EESW_IbLb0EEEEDaSS_ST_EUlSS_E_NS1_11comp_targetILNS1_3genE10ELNS1_11target_archE1201ELNS1_3gpuE5ELNS1_3repE0EEENS1_30default_config_static_selectorELNS0_4arch9wavefront6targetE1EEEvT1_.kd
    .uniform_work_group_size: 1
    .uses_dynamic_stack: false
    .vgpr_count:     0
    .vgpr_spill_count: 0
    .wavefront_size: 64
  - .agpr_count:     0
    .args:
      - .offset:         0
        .size:           104
        .value_kind:     by_value
    .group_segment_fixed_size: 0
    .kernarg_segment_align: 8
    .kernarg_segment_size: 104
    .language:       OpenCL C
    .language_version:
      - 2
      - 0
    .max_flat_workgroup_size: 256
    .name:           _ZN7rocprim17ROCPRIM_400000_NS6detail17trampoline_kernelINS0_14default_configENS1_20scan_config_selectorIfEEZZNS1_9scan_implILNS1_25lookback_scan_determinismE0ELb1ELb1ES3_N6thrust23THRUST_200600_302600_NS6detail15normal_iteratorINS9_10device_ptrIfEEEENS9_16discard_iteratorINS9_11use_defaultEEEfNS9_4plusIvEEfEEDaPvRmT3_T4_T5_mT6_P12ihipStream_tbENKUlT_T0_E_clISt17integral_constantIbLb1EESW_IbLb0EEEEDaSS_ST_EUlSS_E_NS1_11comp_targetILNS1_3genE10ELNS1_11target_archE1200ELNS1_3gpuE4ELNS1_3repE0EEENS1_30default_config_static_selectorELNS0_4arch9wavefront6targetE1EEEvT1_
    .private_segment_fixed_size: 0
    .sgpr_count:     4
    .sgpr_spill_count: 0
    .symbol:         _ZN7rocprim17ROCPRIM_400000_NS6detail17trampoline_kernelINS0_14default_configENS1_20scan_config_selectorIfEEZZNS1_9scan_implILNS1_25lookback_scan_determinismE0ELb1ELb1ES3_N6thrust23THRUST_200600_302600_NS6detail15normal_iteratorINS9_10device_ptrIfEEEENS9_16discard_iteratorINS9_11use_defaultEEEfNS9_4plusIvEEfEEDaPvRmT3_T4_T5_mT6_P12ihipStream_tbENKUlT_T0_E_clISt17integral_constantIbLb1EESW_IbLb0EEEEDaSS_ST_EUlSS_E_NS1_11comp_targetILNS1_3genE10ELNS1_11target_archE1200ELNS1_3gpuE4ELNS1_3repE0EEENS1_30default_config_static_selectorELNS0_4arch9wavefront6targetE1EEEvT1_.kd
    .uniform_work_group_size: 1
    .uses_dynamic_stack: false
    .vgpr_count:     0
    .vgpr_spill_count: 0
    .wavefront_size: 64
  - .agpr_count:     0
    .args:
      - .offset:         0
        .size:           104
        .value_kind:     by_value
    .group_segment_fixed_size: 0
    .kernarg_segment_align: 8
    .kernarg_segment_size: 104
    .language:       OpenCL C
    .language_version:
      - 2
      - 0
    .max_flat_workgroup_size: 256
    .name:           _ZN7rocprim17ROCPRIM_400000_NS6detail17trampoline_kernelINS0_14default_configENS1_20scan_config_selectorIfEEZZNS1_9scan_implILNS1_25lookback_scan_determinismE0ELb1ELb1ES3_N6thrust23THRUST_200600_302600_NS6detail15normal_iteratorINS9_10device_ptrIfEEEENS9_16discard_iteratorINS9_11use_defaultEEEfNS9_4plusIvEEfEEDaPvRmT3_T4_T5_mT6_P12ihipStream_tbENKUlT_T0_E_clISt17integral_constantIbLb1EESW_IbLb0EEEEDaSS_ST_EUlSS_E_NS1_11comp_targetILNS1_3genE9ELNS1_11target_archE1100ELNS1_3gpuE3ELNS1_3repE0EEENS1_30default_config_static_selectorELNS0_4arch9wavefront6targetE1EEEvT1_
    .private_segment_fixed_size: 0
    .sgpr_count:     4
    .sgpr_spill_count: 0
    .symbol:         _ZN7rocprim17ROCPRIM_400000_NS6detail17trampoline_kernelINS0_14default_configENS1_20scan_config_selectorIfEEZZNS1_9scan_implILNS1_25lookback_scan_determinismE0ELb1ELb1ES3_N6thrust23THRUST_200600_302600_NS6detail15normal_iteratorINS9_10device_ptrIfEEEENS9_16discard_iteratorINS9_11use_defaultEEEfNS9_4plusIvEEfEEDaPvRmT3_T4_T5_mT6_P12ihipStream_tbENKUlT_T0_E_clISt17integral_constantIbLb1EESW_IbLb0EEEEDaSS_ST_EUlSS_E_NS1_11comp_targetILNS1_3genE9ELNS1_11target_archE1100ELNS1_3gpuE3ELNS1_3repE0EEENS1_30default_config_static_selectorELNS0_4arch9wavefront6targetE1EEEvT1_.kd
    .uniform_work_group_size: 1
    .uses_dynamic_stack: false
    .vgpr_count:     0
    .vgpr_spill_count: 0
    .wavefront_size: 64
  - .agpr_count:     0
    .args:
      - .offset:         0
        .size:           104
        .value_kind:     by_value
    .group_segment_fixed_size: 0
    .kernarg_segment_align: 8
    .kernarg_segment_size: 104
    .language:       OpenCL C
    .language_version:
      - 2
      - 0
    .max_flat_workgroup_size: 64
    .name:           _ZN7rocprim17ROCPRIM_400000_NS6detail17trampoline_kernelINS0_14default_configENS1_20scan_config_selectorIfEEZZNS1_9scan_implILNS1_25lookback_scan_determinismE0ELb1ELb1ES3_N6thrust23THRUST_200600_302600_NS6detail15normal_iteratorINS9_10device_ptrIfEEEENS9_16discard_iteratorINS9_11use_defaultEEEfNS9_4plusIvEEfEEDaPvRmT3_T4_T5_mT6_P12ihipStream_tbENKUlT_T0_E_clISt17integral_constantIbLb1EESW_IbLb0EEEEDaSS_ST_EUlSS_E_NS1_11comp_targetILNS1_3genE8ELNS1_11target_archE1030ELNS1_3gpuE2ELNS1_3repE0EEENS1_30default_config_static_selectorELNS0_4arch9wavefront6targetE1EEEvT1_
    .private_segment_fixed_size: 0
    .sgpr_count:     4
    .sgpr_spill_count: 0
    .symbol:         _ZN7rocprim17ROCPRIM_400000_NS6detail17trampoline_kernelINS0_14default_configENS1_20scan_config_selectorIfEEZZNS1_9scan_implILNS1_25lookback_scan_determinismE0ELb1ELb1ES3_N6thrust23THRUST_200600_302600_NS6detail15normal_iteratorINS9_10device_ptrIfEEEENS9_16discard_iteratorINS9_11use_defaultEEEfNS9_4plusIvEEfEEDaPvRmT3_T4_T5_mT6_P12ihipStream_tbENKUlT_T0_E_clISt17integral_constantIbLb1EESW_IbLb0EEEEDaSS_ST_EUlSS_E_NS1_11comp_targetILNS1_3genE8ELNS1_11target_archE1030ELNS1_3gpuE2ELNS1_3repE0EEENS1_30default_config_static_selectorELNS0_4arch9wavefront6targetE1EEEvT1_.kd
    .uniform_work_group_size: 1
    .uses_dynamic_stack: false
    .vgpr_count:     0
    .vgpr_spill_count: 0
    .wavefront_size: 64
  - .agpr_count:     0
    .args:
      - .offset:         0
        .size:           40
        .value_kind:     by_value
    .group_segment_fixed_size: 0
    .kernarg_segment_align: 8
    .kernarg_segment_size: 40
    .language:       OpenCL C
    .language_version:
      - 2
      - 0
    .max_flat_workgroup_size: 256
    .name:           _ZN7rocprim17ROCPRIM_400000_NS6detail17trampoline_kernelINS0_14default_configENS1_20scan_config_selectorIfEEZZNS1_9scan_implILNS1_25lookback_scan_determinismE0ELb1ELb1ES3_N6thrust23THRUST_200600_302600_NS6detail15normal_iteratorINS9_10device_ptrIfEEEENS9_16discard_iteratorINS9_11use_defaultEEEfNS9_4plusIvEEfEEDaPvRmT3_T4_T5_mT6_P12ihipStream_tbENKUlT_T0_E_clISt17integral_constantIbLb1EESW_IbLb0EEEEDaSS_ST_EUlSS_E0_NS1_11comp_targetILNS1_3genE0ELNS1_11target_archE4294967295ELNS1_3gpuE0ELNS1_3repE0EEENS1_30default_config_static_selectorELNS0_4arch9wavefront6targetE1EEEvT1_
    .private_segment_fixed_size: 0
    .sgpr_count:     4
    .sgpr_spill_count: 0
    .symbol:         _ZN7rocprim17ROCPRIM_400000_NS6detail17trampoline_kernelINS0_14default_configENS1_20scan_config_selectorIfEEZZNS1_9scan_implILNS1_25lookback_scan_determinismE0ELb1ELb1ES3_N6thrust23THRUST_200600_302600_NS6detail15normal_iteratorINS9_10device_ptrIfEEEENS9_16discard_iteratorINS9_11use_defaultEEEfNS9_4plusIvEEfEEDaPvRmT3_T4_T5_mT6_P12ihipStream_tbENKUlT_T0_E_clISt17integral_constantIbLb1EESW_IbLb0EEEEDaSS_ST_EUlSS_E0_NS1_11comp_targetILNS1_3genE0ELNS1_11target_archE4294967295ELNS1_3gpuE0ELNS1_3repE0EEENS1_30default_config_static_selectorELNS0_4arch9wavefront6targetE1EEEvT1_.kd
    .uniform_work_group_size: 1
    .uses_dynamic_stack: false
    .vgpr_count:     0
    .vgpr_spill_count: 0
    .wavefront_size: 64
  - .agpr_count:     0
    .args:
      - .offset:         0
        .size:           40
        .value_kind:     by_value
    .group_segment_fixed_size: 0
    .kernarg_segment_align: 8
    .kernarg_segment_size: 40
    .language:       OpenCL C
    .language_version:
      - 2
      - 0
    .max_flat_workgroup_size: 256
    .name:           _ZN7rocprim17ROCPRIM_400000_NS6detail17trampoline_kernelINS0_14default_configENS1_20scan_config_selectorIfEEZZNS1_9scan_implILNS1_25lookback_scan_determinismE0ELb1ELb1ES3_N6thrust23THRUST_200600_302600_NS6detail15normal_iteratorINS9_10device_ptrIfEEEENS9_16discard_iteratorINS9_11use_defaultEEEfNS9_4plusIvEEfEEDaPvRmT3_T4_T5_mT6_P12ihipStream_tbENKUlT_T0_E_clISt17integral_constantIbLb1EESW_IbLb0EEEEDaSS_ST_EUlSS_E0_NS1_11comp_targetILNS1_3genE5ELNS1_11target_archE942ELNS1_3gpuE9ELNS1_3repE0EEENS1_30default_config_static_selectorELNS0_4arch9wavefront6targetE1EEEvT1_
    .private_segment_fixed_size: 0
    .sgpr_count:     4
    .sgpr_spill_count: 0
    .symbol:         _ZN7rocprim17ROCPRIM_400000_NS6detail17trampoline_kernelINS0_14default_configENS1_20scan_config_selectorIfEEZZNS1_9scan_implILNS1_25lookback_scan_determinismE0ELb1ELb1ES3_N6thrust23THRUST_200600_302600_NS6detail15normal_iteratorINS9_10device_ptrIfEEEENS9_16discard_iteratorINS9_11use_defaultEEEfNS9_4plusIvEEfEEDaPvRmT3_T4_T5_mT6_P12ihipStream_tbENKUlT_T0_E_clISt17integral_constantIbLb1EESW_IbLb0EEEEDaSS_ST_EUlSS_E0_NS1_11comp_targetILNS1_3genE5ELNS1_11target_archE942ELNS1_3gpuE9ELNS1_3repE0EEENS1_30default_config_static_selectorELNS0_4arch9wavefront6targetE1EEEvT1_.kd
    .uniform_work_group_size: 1
    .uses_dynamic_stack: false
    .vgpr_count:     0
    .vgpr_spill_count: 0
    .wavefront_size: 64
  - .agpr_count:     0
    .args:
      - .offset:         0
        .size:           40
        .value_kind:     by_value
    .group_segment_fixed_size: 7168
    .kernarg_segment_align: 8
    .kernarg_segment_size: 40
    .language:       OpenCL C
    .language_version:
      - 2
      - 0
    .max_flat_workgroup_size: 128
    .name:           _ZN7rocprim17ROCPRIM_400000_NS6detail17trampoline_kernelINS0_14default_configENS1_20scan_config_selectorIfEEZZNS1_9scan_implILNS1_25lookback_scan_determinismE0ELb1ELb1ES3_N6thrust23THRUST_200600_302600_NS6detail15normal_iteratorINS9_10device_ptrIfEEEENS9_16discard_iteratorINS9_11use_defaultEEEfNS9_4plusIvEEfEEDaPvRmT3_T4_T5_mT6_P12ihipStream_tbENKUlT_T0_E_clISt17integral_constantIbLb1EESW_IbLb0EEEEDaSS_ST_EUlSS_E0_NS1_11comp_targetILNS1_3genE4ELNS1_11target_archE910ELNS1_3gpuE8ELNS1_3repE0EEENS1_30default_config_static_selectorELNS0_4arch9wavefront6targetE1EEEvT1_
    .private_segment_fixed_size: 0
    .sgpr_count:     12
    .sgpr_spill_count: 0
    .symbol:         _ZN7rocprim17ROCPRIM_400000_NS6detail17trampoline_kernelINS0_14default_configENS1_20scan_config_selectorIfEEZZNS1_9scan_implILNS1_25lookback_scan_determinismE0ELb1ELb1ES3_N6thrust23THRUST_200600_302600_NS6detail15normal_iteratorINS9_10device_ptrIfEEEENS9_16discard_iteratorINS9_11use_defaultEEEfNS9_4plusIvEEfEEDaPvRmT3_T4_T5_mT6_P12ihipStream_tbENKUlT_T0_E_clISt17integral_constantIbLb1EESW_IbLb0EEEEDaSS_ST_EUlSS_E0_NS1_11comp_targetILNS1_3genE4ELNS1_11target_archE910ELNS1_3gpuE8ELNS1_3repE0EEENS1_30default_config_static_selectorELNS0_4arch9wavefront6targetE1EEEvT1_.kd
    .uniform_work_group_size: 1
    .uses_dynamic_stack: false
    .vgpr_count:     23
    .vgpr_spill_count: 0
    .wavefront_size: 64
  - .agpr_count:     0
    .args:
      - .offset:         0
        .size:           40
        .value_kind:     by_value
    .group_segment_fixed_size: 0
    .kernarg_segment_align: 8
    .kernarg_segment_size: 40
    .language:       OpenCL C
    .language_version:
      - 2
      - 0
    .max_flat_workgroup_size: 256
    .name:           _ZN7rocprim17ROCPRIM_400000_NS6detail17trampoline_kernelINS0_14default_configENS1_20scan_config_selectorIfEEZZNS1_9scan_implILNS1_25lookback_scan_determinismE0ELb1ELb1ES3_N6thrust23THRUST_200600_302600_NS6detail15normal_iteratorINS9_10device_ptrIfEEEENS9_16discard_iteratorINS9_11use_defaultEEEfNS9_4plusIvEEfEEDaPvRmT3_T4_T5_mT6_P12ihipStream_tbENKUlT_T0_E_clISt17integral_constantIbLb1EESW_IbLb0EEEEDaSS_ST_EUlSS_E0_NS1_11comp_targetILNS1_3genE3ELNS1_11target_archE908ELNS1_3gpuE7ELNS1_3repE0EEENS1_30default_config_static_selectorELNS0_4arch9wavefront6targetE1EEEvT1_
    .private_segment_fixed_size: 0
    .sgpr_count:     4
    .sgpr_spill_count: 0
    .symbol:         _ZN7rocprim17ROCPRIM_400000_NS6detail17trampoline_kernelINS0_14default_configENS1_20scan_config_selectorIfEEZZNS1_9scan_implILNS1_25lookback_scan_determinismE0ELb1ELb1ES3_N6thrust23THRUST_200600_302600_NS6detail15normal_iteratorINS9_10device_ptrIfEEEENS9_16discard_iteratorINS9_11use_defaultEEEfNS9_4plusIvEEfEEDaPvRmT3_T4_T5_mT6_P12ihipStream_tbENKUlT_T0_E_clISt17integral_constantIbLb1EESW_IbLb0EEEEDaSS_ST_EUlSS_E0_NS1_11comp_targetILNS1_3genE3ELNS1_11target_archE908ELNS1_3gpuE7ELNS1_3repE0EEENS1_30default_config_static_selectorELNS0_4arch9wavefront6targetE1EEEvT1_.kd
    .uniform_work_group_size: 1
    .uses_dynamic_stack: false
    .vgpr_count:     0
    .vgpr_spill_count: 0
    .wavefront_size: 64
  - .agpr_count:     0
    .args:
      - .offset:         0
        .size:           40
        .value_kind:     by_value
    .group_segment_fixed_size: 0
    .kernarg_segment_align: 8
    .kernarg_segment_size: 40
    .language:       OpenCL C
    .language_version:
      - 2
      - 0
    .max_flat_workgroup_size: 256
    .name:           _ZN7rocprim17ROCPRIM_400000_NS6detail17trampoline_kernelINS0_14default_configENS1_20scan_config_selectorIfEEZZNS1_9scan_implILNS1_25lookback_scan_determinismE0ELb1ELb1ES3_N6thrust23THRUST_200600_302600_NS6detail15normal_iteratorINS9_10device_ptrIfEEEENS9_16discard_iteratorINS9_11use_defaultEEEfNS9_4plusIvEEfEEDaPvRmT3_T4_T5_mT6_P12ihipStream_tbENKUlT_T0_E_clISt17integral_constantIbLb1EESW_IbLb0EEEEDaSS_ST_EUlSS_E0_NS1_11comp_targetILNS1_3genE2ELNS1_11target_archE906ELNS1_3gpuE6ELNS1_3repE0EEENS1_30default_config_static_selectorELNS0_4arch9wavefront6targetE1EEEvT1_
    .private_segment_fixed_size: 0
    .sgpr_count:     4
    .sgpr_spill_count: 0
    .symbol:         _ZN7rocprim17ROCPRIM_400000_NS6detail17trampoline_kernelINS0_14default_configENS1_20scan_config_selectorIfEEZZNS1_9scan_implILNS1_25lookback_scan_determinismE0ELb1ELb1ES3_N6thrust23THRUST_200600_302600_NS6detail15normal_iteratorINS9_10device_ptrIfEEEENS9_16discard_iteratorINS9_11use_defaultEEEfNS9_4plusIvEEfEEDaPvRmT3_T4_T5_mT6_P12ihipStream_tbENKUlT_T0_E_clISt17integral_constantIbLb1EESW_IbLb0EEEEDaSS_ST_EUlSS_E0_NS1_11comp_targetILNS1_3genE2ELNS1_11target_archE906ELNS1_3gpuE6ELNS1_3repE0EEENS1_30default_config_static_selectorELNS0_4arch9wavefront6targetE1EEEvT1_.kd
    .uniform_work_group_size: 1
    .uses_dynamic_stack: false
    .vgpr_count:     0
    .vgpr_spill_count: 0
    .wavefront_size: 64
  - .agpr_count:     0
    .args:
      - .offset:         0
        .size:           40
        .value_kind:     by_value
    .group_segment_fixed_size: 0
    .kernarg_segment_align: 8
    .kernarg_segment_size: 40
    .language:       OpenCL C
    .language_version:
      - 2
      - 0
    .max_flat_workgroup_size: 256
    .name:           _ZN7rocprim17ROCPRIM_400000_NS6detail17trampoline_kernelINS0_14default_configENS1_20scan_config_selectorIfEEZZNS1_9scan_implILNS1_25lookback_scan_determinismE0ELb1ELb1ES3_N6thrust23THRUST_200600_302600_NS6detail15normal_iteratorINS9_10device_ptrIfEEEENS9_16discard_iteratorINS9_11use_defaultEEEfNS9_4plusIvEEfEEDaPvRmT3_T4_T5_mT6_P12ihipStream_tbENKUlT_T0_E_clISt17integral_constantIbLb1EESW_IbLb0EEEEDaSS_ST_EUlSS_E0_NS1_11comp_targetILNS1_3genE10ELNS1_11target_archE1201ELNS1_3gpuE5ELNS1_3repE0EEENS1_30default_config_static_selectorELNS0_4arch9wavefront6targetE1EEEvT1_
    .private_segment_fixed_size: 0
    .sgpr_count:     4
    .sgpr_spill_count: 0
    .symbol:         _ZN7rocprim17ROCPRIM_400000_NS6detail17trampoline_kernelINS0_14default_configENS1_20scan_config_selectorIfEEZZNS1_9scan_implILNS1_25lookback_scan_determinismE0ELb1ELb1ES3_N6thrust23THRUST_200600_302600_NS6detail15normal_iteratorINS9_10device_ptrIfEEEENS9_16discard_iteratorINS9_11use_defaultEEEfNS9_4plusIvEEfEEDaPvRmT3_T4_T5_mT6_P12ihipStream_tbENKUlT_T0_E_clISt17integral_constantIbLb1EESW_IbLb0EEEEDaSS_ST_EUlSS_E0_NS1_11comp_targetILNS1_3genE10ELNS1_11target_archE1201ELNS1_3gpuE5ELNS1_3repE0EEENS1_30default_config_static_selectorELNS0_4arch9wavefront6targetE1EEEvT1_.kd
    .uniform_work_group_size: 1
    .uses_dynamic_stack: false
    .vgpr_count:     0
    .vgpr_spill_count: 0
    .wavefront_size: 64
  - .agpr_count:     0
    .args:
      - .offset:         0
        .size:           40
        .value_kind:     by_value
    .group_segment_fixed_size: 0
    .kernarg_segment_align: 8
    .kernarg_segment_size: 40
    .language:       OpenCL C
    .language_version:
      - 2
      - 0
    .max_flat_workgroup_size: 256
    .name:           _ZN7rocprim17ROCPRIM_400000_NS6detail17trampoline_kernelINS0_14default_configENS1_20scan_config_selectorIfEEZZNS1_9scan_implILNS1_25lookback_scan_determinismE0ELb1ELb1ES3_N6thrust23THRUST_200600_302600_NS6detail15normal_iteratorINS9_10device_ptrIfEEEENS9_16discard_iteratorINS9_11use_defaultEEEfNS9_4plusIvEEfEEDaPvRmT3_T4_T5_mT6_P12ihipStream_tbENKUlT_T0_E_clISt17integral_constantIbLb1EESW_IbLb0EEEEDaSS_ST_EUlSS_E0_NS1_11comp_targetILNS1_3genE10ELNS1_11target_archE1200ELNS1_3gpuE4ELNS1_3repE0EEENS1_30default_config_static_selectorELNS0_4arch9wavefront6targetE1EEEvT1_
    .private_segment_fixed_size: 0
    .sgpr_count:     4
    .sgpr_spill_count: 0
    .symbol:         _ZN7rocprim17ROCPRIM_400000_NS6detail17trampoline_kernelINS0_14default_configENS1_20scan_config_selectorIfEEZZNS1_9scan_implILNS1_25lookback_scan_determinismE0ELb1ELb1ES3_N6thrust23THRUST_200600_302600_NS6detail15normal_iteratorINS9_10device_ptrIfEEEENS9_16discard_iteratorINS9_11use_defaultEEEfNS9_4plusIvEEfEEDaPvRmT3_T4_T5_mT6_P12ihipStream_tbENKUlT_T0_E_clISt17integral_constantIbLb1EESW_IbLb0EEEEDaSS_ST_EUlSS_E0_NS1_11comp_targetILNS1_3genE10ELNS1_11target_archE1200ELNS1_3gpuE4ELNS1_3repE0EEENS1_30default_config_static_selectorELNS0_4arch9wavefront6targetE1EEEvT1_.kd
    .uniform_work_group_size: 1
    .uses_dynamic_stack: false
    .vgpr_count:     0
    .vgpr_spill_count: 0
    .wavefront_size: 64
  - .agpr_count:     0
    .args:
      - .offset:         0
        .size:           40
        .value_kind:     by_value
    .group_segment_fixed_size: 0
    .kernarg_segment_align: 8
    .kernarg_segment_size: 40
    .language:       OpenCL C
    .language_version:
      - 2
      - 0
    .max_flat_workgroup_size: 256
    .name:           _ZN7rocprim17ROCPRIM_400000_NS6detail17trampoline_kernelINS0_14default_configENS1_20scan_config_selectorIfEEZZNS1_9scan_implILNS1_25lookback_scan_determinismE0ELb1ELb1ES3_N6thrust23THRUST_200600_302600_NS6detail15normal_iteratorINS9_10device_ptrIfEEEENS9_16discard_iteratorINS9_11use_defaultEEEfNS9_4plusIvEEfEEDaPvRmT3_T4_T5_mT6_P12ihipStream_tbENKUlT_T0_E_clISt17integral_constantIbLb1EESW_IbLb0EEEEDaSS_ST_EUlSS_E0_NS1_11comp_targetILNS1_3genE9ELNS1_11target_archE1100ELNS1_3gpuE3ELNS1_3repE0EEENS1_30default_config_static_selectorELNS0_4arch9wavefront6targetE1EEEvT1_
    .private_segment_fixed_size: 0
    .sgpr_count:     4
    .sgpr_spill_count: 0
    .symbol:         _ZN7rocprim17ROCPRIM_400000_NS6detail17trampoline_kernelINS0_14default_configENS1_20scan_config_selectorIfEEZZNS1_9scan_implILNS1_25lookback_scan_determinismE0ELb1ELb1ES3_N6thrust23THRUST_200600_302600_NS6detail15normal_iteratorINS9_10device_ptrIfEEEENS9_16discard_iteratorINS9_11use_defaultEEEfNS9_4plusIvEEfEEDaPvRmT3_T4_T5_mT6_P12ihipStream_tbENKUlT_T0_E_clISt17integral_constantIbLb1EESW_IbLb0EEEEDaSS_ST_EUlSS_E0_NS1_11comp_targetILNS1_3genE9ELNS1_11target_archE1100ELNS1_3gpuE3ELNS1_3repE0EEENS1_30default_config_static_selectorELNS0_4arch9wavefront6targetE1EEEvT1_.kd
    .uniform_work_group_size: 1
    .uses_dynamic_stack: false
    .vgpr_count:     0
    .vgpr_spill_count: 0
    .wavefront_size: 64
  - .agpr_count:     0
    .args:
      - .offset:         0
        .size:           40
        .value_kind:     by_value
    .group_segment_fixed_size: 0
    .kernarg_segment_align: 8
    .kernarg_segment_size: 40
    .language:       OpenCL C
    .language_version:
      - 2
      - 0
    .max_flat_workgroup_size: 64
    .name:           _ZN7rocprim17ROCPRIM_400000_NS6detail17trampoline_kernelINS0_14default_configENS1_20scan_config_selectorIfEEZZNS1_9scan_implILNS1_25lookback_scan_determinismE0ELb1ELb1ES3_N6thrust23THRUST_200600_302600_NS6detail15normal_iteratorINS9_10device_ptrIfEEEENS9_16discard_iteratorINS9_11use_defaultEEEfNS9_4plusIvEEfEEDaPvRmT3_T4_T5_mT6_P12ihipStream_tbENKUlT_T0_E_clISt17integral_constantIbLb1EESW_IbLb0EEEEDaSS_ST_EUlSS_E0_NS1_11comp_targetILNS1_3genE8ELNS1_11target_archE1030ELNS1_3gpuE2ELNS1_3repE0EEENS1_30default_config_static_selectorELNS0_4arch9wavefront6targetE1EEEvT1_
    .private_segment_fixed_size: 0
    .sgpr_count:     4
    .sgpr_spill_count: 0
    .symbol:         _ZN7rocprim17ROCPRIM_400000_NS6detail17trampoline_kernelINS0_14default_configENS1_20scan_config_selectorIfEEZZNS1_9scan_implILNS1_25lookback_scan_determinismE0ELb1ELb1ES3_N6thrust23THRUST_200600_302600_NS6detail15normal_iteratorINS9_10device_ptrIfEEEENS9_16discard_iteratorINS9_11use_defaultEEEfNS9_4plusIvEEfEEDaPvRmT3_T4_T5_mT6_P12ihipStream_tbENKUlT_T0_E_clISt17integral_constantIbLb1EESW_IbLb0EEEEDaSS_ST_EUlSS_E0_NS1_11comp_targetILNS1_3genE8ELNS1_11target_archE1030ELNS1_3gpuE2ELNS1_3repE0EEENS1_30default_config_static_selectorELNS0_4arch9wavefront6targetE1EEEvT1_.kd
    .uniform_work_group_size: 1
    .uses_dynamic_stack: false
    .vgpr_count:     0
    .vgpr_spill_count: 0
    .wavefront_size: 64
  - .agpr_count:     0
    .args:
      - .offset:         0
        .size:           104
        .value_kind:     by_value
    .group_segment_fixed_size: 0
    .kernarg_segment_align: 8
    .kernarg_segment_size: 104
    .language:       OpenCL C
    .language_version:
      - 2
      - 0
    .max_flat_workgroup_size: 256
    .name:           _ZN7rocprim17ROCPRIM_400000_NS6detail17trampoline_kernelINS0_14default_configENS1_20scan_config_selectorIfEEZZNS1_9scan_implILNS1_25lookback_scan_determinismE0ELb1ELb1ES3_N6thrust23THRUST_200600_302600_NS6detail15normal_iteratorINS9_10device_ptrIfEEEENS9_16discard_iteratorINS9_11use_defaultEEEfNS9_4plusIvEEfEEDaPvRmT3_T4_T5_mT6_P12ihipStream_tbENKUlT_T0_E_clISt17integral_constantIbLb0EESW_IbLb1EEEEDaSS_ST_EUlSS_E_NS1_11comp_targetILNS1_3genE0ELNS1_11target_archE4294967295ELNS1_3gpuE0ELNS1_3repE0EEENS1_30default_config_static_selectorELNS0_4arch9wavefront6targetE1EEEvT1_
    .private_segment_fixed_size: 0
    .sgpr_count:     4
    .sgpr_spill_count: 0
    .symbol:         _ZN7rocprim17ROCPRIM_400000_NS6detail17trampoline_kernelINS0_14default_configENS1_20scan_config_selectorIfEEZZNS1_9scan_implILNS1_25lookback_scan_determinismE0ELb1ELb1ES3_N6thrust23THRUST_200600_302600_NS6detail15normal_iteratorINS9_10device_ptrIfEEEENS9_16discard_iteratorINS9_11use_defaultEEEfNS9_4plusIvEEfEEDaPvRmT3_T4_T5_mT6_P12ihipStream_tbENKUlT_T0_E_clISt17integral_constantIbLb0EESW_IbLb1EEEEDaSS_ST_EUlSS_E_NS1_11comp_targetILNS1_3genE0ELNS1_11target_archE4294967295ELNS1_3gpuE0ELNS1_3repE0EEENS1_30default_config_static_selectorELNS0_4arch9wavefront6targetE1EEEvT1_.kd
    .uniform_work_group_size: 1
    .uses_dynamic_stack: false
    .vgpr_count:     0
    .vgpr_spill_count: 0
    .wavefront_size: 64
  - .agpr_count:     0
    .args:
      - .offset:         0
        .size:           104
        .value_kind:     by_value
    .group_segment_fixed_size: 0
    .kernarg_segment_align: 8
    .kernarg_segment_size: 104
    .language:       OpenCL C
    .language_version:
      - 2
      - 0
    .max_flat_workgroup_size: 256
    .name:           _ZN7rocprim17ROCPRIM_400000_NS6detail17trampoline_kernelINS0_14default_configENS1_20scan_config_selectorIfEEZZNS1_9scan_implILNS1_25lookback_scan_determinismE0ELb1ELb1ES3_N6thrust23THRUST_200600_302600_NS6detail15normal_iteratorINS9_10device_ptrIfEEEENS9_16discard_iteratorINS9_11use_defaultEEEfNS9_4plusIvEEfEEDaPvRmT3_T4_T5_mT6_P12ihipStream_tbENKUlT_T0_E_clISt17integral_constantIbLb0EESW_IbLb1EEEEDaSS_ST_EUlSS_E_NS1_11comp_targetILNS1_3genE5ELNS1_11target_archE942ELNS1_3gpuE9ELNS1_3repE0EEENS1_30default_config_static_selectorELNS0_4arch9wavefront6targetE1EEEvT1_
    .private_segment_fixed_size: 0
    .sgpr_count:     4
    .sgpr_spill_count: 0
    .symbol:         _ZN7rocprim17ROCPRIM_400000_NS6detail17trampoline_kernelINS0_14default_configENS1_20scan_config_selectorIfEEZZNS1_9scan_implILNS1_25lookback_scan_determinismE0ELb1ELb1ES3_N6thrust23THRUST_200600_302600_NS6detail15normal_iteratorINS9_10device_ptrIfEEEENS9_16discard_iteratorINS9_11use_defaultEEEfNS9_4plusIvEEfEEDaPvRmT3_T4_T5_mT6_P12ihipStream_tbENKUlT_T0_E_clISt17integral_constantIbLb0EESW_IbLb1EEEEDaSS_ST_EUlSS_E_NS1_11comp_targetILNS1_3genE5ELNS1_11target_archE942ELNS1_3gpuE9ELNS1_3repE0EEENS1_30default_config_static_selectorELNS0_4arch9wavefront6targetE1EEEvT1_.kd
    .uniform_work_group_size: 1
    .uses_dynamic_stack: false
    .vgpr_count:     0
    .vgpr_spill_count: 0
    .wavefront_size: 64
  - .agpr_count:     0
    .args:
      - .offset:         0
        .size:           104
        .value_kind:     by_value
    .group_segment_fixed_size: 7168
    .kernarg_segment_align: 8
    .kernarg_segment_size: 104
    .language:       OpenCL C
    .language_version:
      - 2
      - 0
    .max_flat_workgroup_size: 128
    .name:           _ZN7rocprim17ROCPRIM_400000_NS6detail17trampoline_kernelINS0_14default_configENS1_20scan_config_selectorIfEEZZNS1_9scan_implILNS1_25lookback_scan_determinismE0ELb1ELb1ES3_N6thrust23THRUST_200600_302600_NS6detail15normal_iteratorINS9_10device_ptrIfEEEENS9_16discard_iteratorINS9_11use_defaultEEEfNS9_4plusIvEEfEEDaPvRmT3_T4_T5_mT6_P12ihipStream_tbENKUlT_T0_E_clISt17integral_constantIbLb0EESW_IbLb1EEEEDaSS_ST_EUlSS_E_NS1_11comp_targetILNS1_3genE4ELNS1_11target_archE910ELNS1_3gpuE8ELNS1_3repE0EEENS1_30default_config_static_selectorELNS0_4arch9wavefront6targetE1EEEvT1_
    .private_segment_fixed_size: 0
    .sgpr_count:     39
    .sgpr_spill_count: 0
    .symbol:         _ZN7rocprim17ROCPRIM_400000_NS6detail17trampoline_kernelINS0_14default_configENS1_20scan_config_selectorIfEEZZNS1_9scan_implILNS1_25lookback_scan_determinismE0ELb1ELb1ES3_N6thrust23THRUST_200600_302600_NS6detail15normal_iteratorINS9_10device_ptrIfEEEENS9_16discard_iteratorINS9_11use_defaultEEEfNS9_4plusIvEEfEEDaPvRmT3_T4_T5_mT6_P12ihipStream_tbENKUlT_T0_E_clISt17integral_constantIbLb0EESW_IbLb1EEEEDaSS_ST_EUlSS_E_NS1_11comp_targetILNS1_3genE4ELNS1_11target_archE910ELNS1_3gpuE8ELNS1_3repE0EEENS1_30default_config_static_selectorELNS0_4arch9wavefront6targetE1EEEvT1_.kd
    .uniform_work_group_size: 1
    .uses_dynamic_stack: false
    .vgpr_count:     48
    .vgpr_spill_count: 0
    .wavefront_size: 64
  - .agpr_count:     0
    .args:
      - .offset:         0
        .size:           104
        .value_kind:     by_value
    .group_segment_fixed_size: 0
    .kernarg_segment_align: 8
    .kernarg_segment_size: 104
    .language:       OpenCL C
    .language_version:
      - 2
      - 0
    .max_flat_workgroup_size: 256
    .name:           _ZN7rocprim17ROCPRIM_400000_NS6detail17trampoline_kernelINS0_14default_configENS1_20scan_config_selectorIfEEZZNS1_9scan_implILNS1_25lookback_scan_determinismE0ELb1ELb1ES3_N6thrust23THRUST_200600_302600_NS6detail15normal_iteratorINS9_10device_ptrIfEEEENS9_16discard_iteratorINS9_11use_defaultEEEfNS9_4plusIvEEfEEDaPvRmT3_T4_T5_mT6_P12ihipStream_tbENKUlT_T0_E_clISt17integral_constantIbLb0EESW_IbLb1EEEEDaSS_ST_EUlSS_E_NS1_11comp_targetILNS1_3genE3ELNS1_11target_archE908ELNS1_3gpuE7ELNS1_3repE0EEENS1_30default_config_static_selectorELNS0_4arch9wavefront6targetE1EEEvT1_
    .private_segment_fixed_size: 0
    .sgpr_count:     4
    .sgpr_spill_count: 0
    .symbol:         _ZN7rocprim17ROCPRIM_400000_NS6detail17trampoline_kernelINS0_14default_configENS1_20scan_config_selectorIfEEZZNS1_9scan_implILNS1_25lookback_scan_determinismE0ELb1ELb1ES3_N6thrust23THRUST_200600_302600_NS6detail15normal_iteratorINS9_10device_ptrIfEEEENS9_16discard_iteratorINS9_11use_defaultEEEfNS9_4plusIvEEfEEDaPvRmT3_T4_T5_mT6_P12ihipStream_tbENKUlT_T0_E_clISt17integral_constantIbLb0EESW_IbLb1EEEEDaSS_ST_EUlSS_E_NS1_11comp_targetILNS1_3genE3ELNS1_11target_archE908ELNS1_3gpuE7ELNS1_3repE0EEENS1_30default_config_static_selectorELNS0_4arch9wavefront6targetE1EEEvT1_.kd
    .uniform_work_group_size: 1
    .uses_dynamic_stack: false
    .vgpr_count:     0
    .vgpr_spill_count: 0
    .wavefront_size: 64
  - .agpr_count:     0
    .args:
      - .offset:         0
        .size:           104
        .value_kind:     by_value
    .group_segment_fixed_size: 0
    .kernarg_segment_align: 8
    .kernarg_segment_size: 104
    .language:       OpenCL C
    .language_version:
      - 2
      - 0
    .max_flat_workgroup_size: 256
    .name:           _ZN7rocprim17ROCPRIM_400000_NS6detail17trampoline_kernelINS0_14default_configENS1_20scan_config_selectorIfEEZZNS1_9scan_implILNS1_25lookback_scan_determinismE0ELb1ELb1ES3_N6thrust23THRUST_200600_302600_NS6detail15normal_iteratorINS9_10device_ptrIfEEEENS9_16discard_iteratorINS9_11use_defaultEEEfNS9_4plusIvEEfEEDaPvRmT3_T4_T5_mT6_P12ihipStream_tbENKUlT_T0_E_clISt17integral_constantIbLb0EESW_IbLb1EEEEDaSS_ST_EUlSS_E_NS1_11comp_targetILNS1_3genE2ELNS1_11target_archE906ELNS1_3gpuE6ELNS1_3repE0EEENS1_30default_config_static_selectorELNS0_4arch9wavefront6targetE1EEEvT1_
    .private_segment_fixed_size: 0
    .sgpr_count:     4
    .sgpr_spill_count: 0
    .symbol:         _ZN7rocprim17ROCPRIM_400000_NS6detail17trampoline_kernelINS0_14default_configENS1_20scan_config_selectorIfEEZZNS1_9scan_implILNS1_25lookback_scan_determinismE0ELb1ELb1ES3_N6thrust23THRUST_200600_302600_NS6detail15normal_iteratorINS9_10device_ptrIfEEEENS9_16discard_iteratorINS9_11use_defaultEEEfNS9_4plusIvEEfEEDaPvRmT3_T4_T5_mT6_P12ihipStream_tbENKUlT_T0_E_clISt17integral_constantIbLb0EESW_IbLb1EEEEDaSS_ST_EUlSS_E_NS1_11comp_targetILNS1_3genE2ELNS1_11target_archE906ELNS1_3gpuE6ELNS1_3repE0EEENS1_30default_config_static_selectorELNS0_4arch9wavefront6targetE1EEEvT1_.kd
    .uniform_work_group_size: 1
    .uses_dynamic_stack: false
    .vgpr_count:     0
    .vgpr_spill_count: 0
    .wavefront_size: 64
  - .agpr_count:     0
    .args:
      - .offset:         0
        .size:           104
        .value_kind:     by_value
    .group_segment_fixed_size: 0
    .kernarg_segment_align: 8
    .kernarg_segment_size: 104
    .language:       OpenCL C
    .language_version:
      - 2
      - 0
    .max_flat_workgroup_size: 256
    .name:           _ZN7rocprim17ROCPRIM_400000_NS6detail17trampoline_kernelINS0_14default_configENS1_20scan_config_selectorIfEEZZNS1_9scan_implILNS1_25lookback_scan_determinismE0ELb1ELb1ES3_N6thrust23THRUST_200600_302600_NS6detail15normal_iteratorINS9_10device_ptrIfEEEENS9_16discard_iteratorINS9_11use_defaultEEEfNS9_4plusIvEEfEEDaPvRmT3_T4_T5_mT6_P12ihipStream_tbENKUlT_T0_E_clISt17integral_constantIbLb0EESW_IbLb1EEEEDaSS_ST_EUlSS_E_NS1_11comp_targetILNS1_3genE10ELNS1_11target_archE1201ELNS1_3gpuE5ELNS1_3repE0EEENS1_30default_config_static_selectorELNS0_4arch9wavefront6targetE1EEEvT1_
    .private_segment_fixed_size: 0
    .sgpr_count:     4
    .sgpr_spill_count: 0
    .symbol:         _ZN7rocprim17ROCPRIM_400000_NS6detail17trampoline_kernelINS0_14default_configENS1_20scan_config_selectorIfEEZZNS1_9scan_implILNS1_25lookback_scan_determinismE0ELb1ELb1ES3_N6thrust23THRUST_200600_302600_NS6detail15normal_iteratorINS9_10device_ptrIfEEEENS9_16discard_iteratorINS9_11use_defaultEEEfNS9_4plusIvEEfEEDaPvRmT3_T4_T5_mT6_P12ihipStream_tbENKUlT_T0_E_clISt17integral_constantIbLb0EESW_IbLb1EEEEDaSS_ST_EUlSS_E_NS1_11comp_targetILNS1_3genE10ELNS1_11target_archE1201ELNS1_3gpuE5ELNS1_3repE0EEENS1_30default_config_static_selectorELNS0_4arch9wavefront6targetE1EEEvT1_.kd
    .uniform_work_group_size: 1
    .uses_dynamic_stack: false
    .vgpr_count:     0
    .vgpr_spill_count: 0
    .wavefront_size: 64
  - .agpr_count:     0
    .args:
      - .offset:         0
        .size:           104
        .value_kind:     by_value
    .group_segment_fixed_size: 0
    .kernarg_segment_align: 8
    .kernarg_segment_size: 104
    .language:       OpenCL C
    .language_version:
      - 2
      - 0
    .max_flat_workgroup_size: 256
    .name:           _ZN7rocprim17ROCPRIM_400000_NS6detail17trampoline_kernelINS0_14default_configENS1_20scan_config_selectorIfEEZZNS1_9scan_implILNS1_25lookback_scan_determinismE0ELb1ELb1ES3_N6thrust23THRUST_200600_302600_NS6detail15normal_iteratorINS9_10device_ptrIfEEEENS9_16discard_iteratorINS9_11use_defaultEEEfNS9_4plusIvEEfEEDaPvRmT3_T4_T5_mT6_P12ihipStream_tbENKUlT_T0_E_clISt17integral_constantIbLb0EESW_IbLb1EEEEDaSS_ST_EUlSS_E_NS1_11comp_targetILNS1_3genE10ELNS1_11target_archE1200ELNS1_3gpuE4ELNS1_3repE0EEENS1_30default_config_static_selectorELNS0_4arch9wavefront6targetE1EEEvT1_
    .private_segment_fixed_size: 0
    .sgpr_count:     4
    .sgpr_spill_count: 0
    .symbol:         _ZN7rocprim17ROCPRIM_400000_NS6detail17trampoline_kernelINS0_14default_configENS1_20scan_config_selectorIfEEZZNS1_9scan_implILNS1_25lookback_scan_determinismE0ELb1ELb1ES3_N6thrust23THRUST_200600_302600_NS6detail15normal_iteratorINS9_10device_ptrIfEEEENS9_16discard_iteratorINS9_11use_defaultEEEfNS9_4plusIvEEfEEDaPvRmT3_T4_T5_mT6_P12ihipStream_tbENKUlT_T0_E_clISt17integral_constantIbLb0EESW_IbLb1EEEEDaSS_ST_EUlSS_E_NS1_11comp_targetILNS1_3genE10ELNS1_11target_archE1200ELNS1_3gpuE4ELNS1_3repE0EEENS1_30default_config_static_selectorELNS0_4arch9wavefront6targetE1EEEvT1_.kd
    .uniform_work_group_size: 1
    .uses_dynamic_stack: false
    .vgpr_count:     0
    .vgpr_spill_count: 0
    .wavefront_size: 64
  - .agpr_count:     0
    .args:
      - .offset:         0
        .size:           104
        .value_kind:     by_value
    .group_segment_fixed_size: 0
    .kernarg_segment_align: 8
    .kernarg_segment_size: 104
    .language:       OpenCL C
    .language_version:
      - 2
      - 0
    .max_flat_workgroup_size: 256
    .name:           _ZN7rocprim17ROCPRIM_400000_NS6detail17trampoline_kernelINS0_14default_configENS1_20scan_config_selectorIfEEZZNS1_9scan_implILNS1_25lookback_scan_determinismE0ELb1ELb1ES3_N6thrust23THRUST_200600_302600_NS6detail15normal_iteratorINS9_10device_ptrIfEEEENS9_16discard_iteratorINS9_11use_defaultEEEfNS9_4plusIvEEfEEDaPvRmT3_T4_T5_mT6_P12ihipStream_tbENKUlT_T0_E_clISt17integral_constantIbLb0EESW_IbLb1EEEEDaSS_ST_EUlSS_E_NS1_11comp_targetILNS1_3genE9ELNS1_11target_archE1100ELNS1_3gpuE3ELNS1_3repE0EEENS1_30default_config_static_selectorELNS0_4arch9wavefront6targetE1EEEvT1_
    .private_segment_fixed_size: 0
    .sgpr_count:     4
    .sgpr_spill_count: 0
    .symbol:         _ZN7rocprim17ROCPRIM_400000_NS6detail17trampoline_kernelINS0_14default_configENS1_20scan_config_selectorIfEEZZNS1_9scan_implILNS1_25lookback_scan_determinismE0ELb1ELb1ES3_N6thrust23THRUST_200600_302600_NS6detail15normal_iteratorINS9_10device_ptrIfEEEENS9_16discard_iteratorINS9_11use_defaultEEEfNS9_4plusIvEEfEEDaPvRmT3_T4_T5_mT6_P12ihipStream_tbENKUlT_T0_E_clISt17integral_constantIbLb0EESW_IbLb1EEEEDaSS_ST_EUlSS_E_NS1_11comp_targetILNS1_3genE9ELNS1_11target_archE1100ELNS1_3gpuE3ELNS1_3repE0EEENS1_30default_config_static_selectorELNS0_4arch9wavefront6targetE1EEEvT1_.kd
    .uniform_work_group_size: 1
    .uses_dynamic_stack: false
    .vgpr_count:     0
    .vgpr_spill_count: 0
    .wavefront_size: 64
  - .agpr_count:     0
    .args:
      - .offset:         0
        .size:           104
        .value_kind:     by_value
    .group_segment_fixed_size: 0
    .kernarg_segment_align: 8
    .kernarg_segment_size: 104
    .language:       OpenCL C
    .language_version:
      - 2
      - 0
    .max_flat_workgroup_size: 64
    .name:           _ZN7rocprim17ROCPRIM_400000_NS6detail17trampoline_kernelINS0_14default_configENS1_20scan_config_selectorIfEEZZNS1_9scan_implILNS1_25lookback_scan_determinismE0ELb1ELb1ES3_N6thrust23THRUST_200600_302600_NS6detail15normal_iteratorINS9_10device_ptrIfEEEENS9_16discard_iteratorINS9_11use_defaultEEEfNS9_4plusIvEEfEEDaPvRmT3_T4_T5_mT6_P12ihipStream_tbENKUlT_T0_E_clISt17integral_constantIbLb0EESW_IbLb1EEEEDaSS_ST_EUlSS_E_NS1_11comp_targetILNS1_3genE8ELNS1_11target_archE1030ELNS1_3gpuE2ELNS1_3repE0EEENS1_30default_config_static_selectorELNS0_4arch9wavefront6targetE1EEEvT1_
    .private_segment_fixed_size: 0
    .sgpr_count:     4
    .sgpr_spill_count: 0
    .symbol:         _ZN7rocprim17ROCPRIM_400000_NS6detail17trampoline_kernelINS0_14default_configENS1_20scan_config_selectorIfEEZZNS1_9scan_implILNS1_25lookback_scan_determinismE0ELb1ELb1ES3_N6thrust23THRUST_200600_302600_NS6detail15normal_iteratorINS9_10device_ptrIfEEEENS9_16discard_iteratorINS9_11use_defaultEEEfNS9_4plusIvEEfEEDaPvRmT3_T4_T5_mT6_P12ihipStream_tbENKUlT_T0_E_clISt17integral_constantIbLb0EESW_IbLb1EEEEDaSS_ST_EUlSS_E_NS1_11comp_targetILNS1_3genE8ELNS1_11target_archE1030ELNS1_3gpuE2ELNS1_3repE0EEENS1_30default_config_static_selectorELNS0_4arch9wavefront6targetE1EEEvT1_.kd
    .uniform_work_group_size: 1
    .uses_dynamic_stack: false
    .vgpr_count:     0
    .vgpr_spill_count: 0
    .wavefront_size: 64
  - .agpr_count:     0
    .args:
      - .offset:         0
        .size:           40
        .value_kind:     by_value
    .group_segment_fixed_size: 0
    .kernarg_segment_align: 8
    .kernarg_segment_size: 40
    .language:       OpenCL C
    .language_version:
      - 2
      - 0
    .max_flat_workgroup_size: 256
    .name:           _ZN7rocprim17ROCPRIM_400000_NS6detail17trampoline_kernelINS0_14default_configENS1_20scan_config_selectorIfEEZZNS1_9scan_implILNS1_25lookback_scan_determinismE0ELb1ELb1ES3_N6thrust23THRUST_200600_302600_NS6detail15normal_iteratorINS9_10device_ptrIfEEEENS9_16discard_iteratorINS9_11use_defaultEEEfNS9_4plusIvEEfEEDaPvRmT3_T4_T5_mT6_P12ihipStream_tbENKUlT_T0_E_clISt17integral_constantIbLb0EESW_IbLb1EEEEDaSS_ST_EUlSS_E0_NS1_11comp_targetILNS1_3genE0ELNS1_11target_archE4294967295ELNS1_3gpuE0ELNS1_3repE0EEENS1_30default_config_static_selectorELNS0_4arch9wavefront6targetE1EEEvT1_
    .private_segment_fixed_size: 0
    .sgpr_count:     4
    .sgpr_spill_count: 0
    .symbol:         _ZN7rocprim17ROCPRIM_400000_NS6detail17trampoline_kernelINS0_14default_configENS1_20scan_config_selectorIfEEZZNS1_9scan_implILNS1_25lookback_scan_determinismE0ELb1ELb1ES3_N6thrust23THRUST_200600_302600_NS6detail15normal_iteratorINS9_10device_ptrIfEEEENS9_16discard_iteratorINS9_11use_defaultEEEfNS9_4plusIvEEfEEDaPvRmT3_T4_T5_mT6_P12ihipStream_tbENKUlT_T0_E_clISt17integral_constantIbLb0EESW_IbLb1EEEEDaSS_ST_EUlSS_E0_NS1_11comp_targetILNS1_3genE0ELNS1_11target_archE4294967295ELNS1_3gpuE0ELNS1_3repE0EEENS1_30default_config_static_selectorELNS0_4arch9wavefront6targetE1EEEvT1_.kd
    .uniform_work_group_size: 1
    .uses_dynamic_stack: false
    .vgpr_count:     0
    .vgpr_spill_count: 0
    .wavefront_size: 64
  - .agpr_count:     0
    .args:
      - .offset:         0
        .size:           40
        .value_kind:     by_value
    .group_segment_fixed_size: 0
    .kernarg_segment_align: 8
    .kernarg_segment_size: 40
    .language:       OpenCL C
    .language_version:
      - 2
      - 0
    .max_flat_workgroup_size: 256
    .name:           _ZN7rocprim17ROCPRIM_400000_NS6detail17trampoline_kernelINS0_14default_configENS1_20scan_config_selectorIfEEZZNS1_9scan_implILNS1_25lookback_scan_determinismE0ELb1ELb1ES3_N6thrust23THRUST_200600_302600_NS6detail15normal_iteratorINS9_10device_ptrIfEEEENS9_16discard_iteratorINS9_11use_defaultEEEfNS9_4plusIvEEfEEDaPvRmT3_T4_T5_mT6_P12ihipStream_tbENKUlT_T0_E_clISt17integral_constantIbLb0EESW_IbLb1EEEEDaSS_ST_EUlSS_E0_NS1_11comp_targetILNS1_3genE5ELNS1_11target_archE942ELNS1_3gpuE9ELNS1_3repE0EEENS1_30default_config_static_selectorELNS0_4arch9wavefront6targetE1EEEvT1_
    .private_segment_fixed_size: 0
    .sgpr_count:     4
    .sgpr_spill_count: 0
    .symbol:         _ZN7rocprim17ROCPRIM_400000_NS6detail17trampoline_kernelINS0_14default_configENS1_20scan_config_selectorIfEEZZNS1_9scan_implILNS1_25lookback_scan_determinismE0ELb1ELb1ES3_N6thrust23THRUST_200600_302600_NS6detail15normal_iteratorINS9_10device_ptrIfEEEENS9_16discard_iteratorINS9_11use_defaultEEEfNS9_4plusIvEEfEEDaPvRmT3_T4_T5_mT6_P12ihipStream_tbENKUlT_T0_E_clISt17integral_constantIbLb0EESW_IbLb1EEEEDaSS_ST_EUlSS_E0_NS1_11comp_targetILNS1_3genE5ELNS1_11target_archE942ELNS1_3gpuE9ELNS1_3repE0EEENS1_30default_config_static_selectorELNS0_4arch9wavefront6targetE1EEEvT1_.kd
    .uniform_work_group_size: 1
    .uses_dynamic_stack: false
    .vgpr_count:     0
    .vgpr_spill_count: 0
    .wavefront_size: 64
  - .agpr_count:     0
    .args:
      - .offset:         0
        .size:           40
        .value_kind:     by_value
    .group_segment_fixed_size: 7168
    .kernarg_segment_align: 8
    .kernarg_segment_size: 40
    .language:       OpenCL C
    .language_version:
      - 2
      - 0
    .max_flat_workgroup_size: 128
    .name:           _ZN7rocprim17ROCPRIM_400000_NS6detail17trampoline_kernelINS0_14default_configENS1_20scan_config_selectorIfEEZZNS1_9scan_implILNS1_25lookback_scan_determinismE0ELb1ELb1ES3_N6thrust23THRUST_200600_302600_NS6detail15normal_iteratorINS9_10device_ptrIfEEEENS9_16discard_iteratorINS9_11use_defaultEEEfNS9_4plusIvEEfEEDaPvRmT3_T4_T5_mT6_P12ihipStream_tbENKUlT_T0_E_clISt17integral_constantIbLb0EESW_IbLb1EEEEDaSS_ST_EUlSS_E0_NS1_11comp_targetILNS1_3genE4ELNS1_11target_archE910ELNS1_3gpuE8ELNS1_3repE0EEENS1_30default_config_static_selectorELNS0_4arch9wavefront6targetE1EEEvT1_
    .private_segment_fixed_size: 0
    .sgpr_count:     12
    .sgpr_spill_count: 0
    .symbol:         _ZN7rocprim17ROCPRIM_400000_NS6detail17trampoline_kernelINS0_14default_configENS1_20scan_config_selectorIfEEZZNS1_9scan_implILNS1_25lookback_scan_determinismE0ELb1ELb1ES3_N6thrust23THRUST_200600_302600_NS6detail15normal_iteratorINS9_10device_ptrIfEEEENS9_16discard_iteratorINS9_11use_defaultEEEfNS9_4plusIvEEfEEDaPvRmT3_T4_T5_mT6_P12ihipStream_tbENKUlT_T0_E_clISt17integral_constantIbLb0EESW_IbLb1EEEEDaSS_ST_EUlSS_E0_NS1_11comp_targetILNS1_3genE4ELNS1_11target_archE910ELNS1_3gpuE8ELNS1_3repE0EEENS1_30default_config_static_selectorELNS0_4arch9wavefront6targetE1EEEvT1_.kd
    .uniform_work_group_size: 1
    .uses_dynamic_stack: false
    .vgpr_count:     23
    .vgpr_spill_count: 0
    .wavefront_size: 64
  - .agpr_count:     0
    .args:
      - .offset:         0
        .size:           40
        .value_kind:     by_value
    .group_segment_fixed_size: 0
    .kernarg_segment_align: 8
    .kernarg_segment_size: 40
    .language:       OpenCL C
    .language_version:
      - 2
      - 0
    .max_flat_workgroup_size: 256
    .name:           _ZN7rocprim17ROCPRIM_400000_NS6detail17trampoline_kernelINS0_14default_configENS1_20scan_config_selectorIfEEZZNS1_9scan_implILNS1_25lookback_scan_determinismE0ELb1ELb1ES3_N6thrust23THRUST_200600_302600_NS6detail15normal_iteratorINS9_10device_ptrIfEEEENS9_16discard_iteratorINS9_11use_defaultEEEfNS9_4plusIvEEfEEDaPvRmT3_T4_T5_mT6_P12ihipStream_tbENKUlT_T0_E_clISt17integral_constantIbLb0EESW_IbLb1EEEEDaSS_ST_EUlSS_E0_NS1_11comp_targetILNS1_3genE3ELNS1_11target_archE908ELNS1_3gpuE7ELNS1_3repE0EEENS1_30default_config_static_selectorELNS0_4arch9wavefront6targetE1EEEvT1_
    .private_segment_fixed_size: 0
    .sgpr_count:     4
    .sgpr_spill_count: 0
    .symbol:         _ZN7rocprim17ROCPRIM_400000_NS6detail17trampoline_kernelINS0_14default_configENS1_20scan_config_selectorIfEEZZNS1_9scan_implILNS1_25lookback_scan_determinismE0ELb1ELb1ES3_N6thrust23THRUST_200600_302600_NS6detail15normal_iteratorINS9_10device_ptrIfEEEENS9_16discard_iteratorINS9_11use_defaultEEEfNS9_4plusIvEEfEEDaPvRmT3_T4_T5_mT6_P12ihipStream_tbENKUlT_T0_E_clISt17integral_constantIbLb0EESW_IbLb1EEEEDaSS_ST_EUlSS_E0_NS1_11comp_targetILNS1_3genE3ELNS1_11target_archE908ELNS1_3gpuE7ELNS1_3repE0EEENS1_30default_config_static_selectorELNS0_4arch9wavefront6targetE1EEEvT1_.kd
    .uniform_work_group_size: 1
    .uses_dynamic_stack: false
    .vgpr_count:     0
    .vgpr_spill_count: 0
    .wavefront_size: 64
  - .agpr_count:     0
    .args:
      - .offset:         0
        .size:           40
        .value_kind:     by_value
    .group_segment_fixed_size: 0
    .kernarg_segment_align: 8
    .kernarg_segment_size: 40
    .language:       OpenCL C
    .language_version:
      - 2
      - 0
    .max_flat_workgroup_size: 256
    .name:           _ZN7rocprim17ROCPRIM_400000_NS6detail17trampoline_kernelINS0_14default_configENS1_20scan_config_selectorIfEEZZNS1_9scan_implILNS1_25lookback_scan_determinismE0ELb1ELb1ES3_N6thrust23THRUST_200600_302600_NS6detail15normal_iteratorINS9_10device_ptrIfEEEENS9_16discard_iteratorINS9_11use_defaultEEEfNS9_4plusIvEEfEEDaPvRmT3_T4_T5_mT6_P12ihipStream_tbENKUlT_T0_E_clISt17integral_constantIbLb0EESW_IbLb1EEEEDaSS_ST_EUlSS_E0_NS1_11comp_targetILNS1_3genE2ELNS1_11target_archE906ELNS1_3gpuE6ELNS1_3repE0EEENS1_30default_config_static_selectorELNS0_4arch9wavefront6targetE1EEEvT1_
    .private_segment_fixed_size: 0
    .sgpr_count:     4
    .sgpr_spill_count: 0
    .symbol:         _ZN7rocprim17ROCPRIM_400000_NS6detail17trampoline_kernelINS0_14default_configENS1_20scan_config_selectorIfEEZZNS1_9scan_implILNS1_25lookback_scan_determinismE0ELb1ELb1ES3_N6thrust23THRUST_200600_302600_NS6detail15normal_iteratorINS9_10device_ptrIfEEEENS9_16discard_iteratorINS9_11use_defaultEEEfNS9_4plusIvEEfEEDaPvRmT3_T4_T5_mT6_P12ihipStream_tbENKUlT_T0_E_clISt17integral_constantIbLb0EESW_IbLb1EEEEDaSS_ST_EUlSS_E0_NS1_11comp_targetILNS1_3genE2ELNS1_11target_archE906ELNS1_3gpuE6ELNS1_3repE0EEENS1_30default_config_static_selectorELNS0_4arch9wavefront6targetE1EEEvT1_.kd
    .uniform_work_group_size: 1
    .uses_dynamic_stack: false
    .vgpr_count:     0
    .vgpr_spill_count: 0
    .wavefront_size: 64
  - .agpr_count:     0
    .args:
      - .offset:         0
        .size:           40
        .value_kind:     by_value
    .group_segment_fixed_size: 0
    .kernarg_segment_align: 8
    .kernarg_segment_size: 40
    .language:       OpenCL C
    .language_version:
      - 2
      - 0
    .max_flat_workgroup_size: 256
    .name:           _ZN7rocprim17ROCPRIM_400000_NS6detail17trampoline_kernelINS0_14default_configENS1_20scan_config_selectorIfEEZZNS1_9scan_implILNS1_25lookback_scan_determinismE0ELb1ELb1ES3_N6thrust23THRUST_200600_302600_NS6detail15normal_iteratorINS9_10device_ptrIfEEEENS9_16discard_iteratorINS9_11use_defaultEEEfNS9_4plusIvEEfEEDaPvRmT3_T4_T5_mT6_P12ihipStream_tbENKUlT_T0_E_clISt17integral_constantIbLb0EESW_IbLb1EEEEDaSS_ST_EUlSS_E0_NS1_11comp_targetILNS1_3genE10ELNS1_11target_archE1201ELNS1_3gpuE5ELNS1_3repE0EEENS1_30default_config_static_selectorELNS0_4arch9wavefront6targetE1EEEvT1_
    .private_segment_fixed_size: 0
    .sgpr_count:     4
    .sgpr_spill_count: 0
    .symbol:         _ZN7rocprim17ROCPRIM_400000_NS6detail17trampoline_kernelINS0_14default_configENS1_20scan_config_selectorIfEEZZNS1_9scan_implILNS1_25lookback_scan_determinismE0ELb1ELb1ES3_N6thrust23THRUST_200600_302600_NS6detail15normal_iteratorINS9_10device_ptrIfEEEENS9_16discard_iteratorINS9_11use_defaultEEEfNS9_4plusIvEEfEEDaPvRmT3_T4_T5_mT6_P12ihipStream_tbENKUlT_T0_E_clISt17integral_constantIbLb0EESW_IbLb1EEEEDaSS_ST_EUlSS_E0_NS1_11comp_targetILNS1_3genE10ELNS1_11target_archE1201ELNS1_3gpuE5ELNS1_3repE0EEENS1_30default_config_static_selectorELNS0_4arch9wavefront6targetE1EEEvT1_.kd
    .uniform_work_group_size: 1
    .uses_dynamic_stack: false
    .vgpr_count:     0
    .vgpr_spill_count: 0
    .wavefront_size: 64
  - .agpr_count:     0
    .args:
      - .offset:         0
        .size:           40
        .value_kind:     by_value
    .group_segment_fixed_size: 0
    .kernarg_segment_align: 8
    .kernarg_segment_size: 40
    .language:       OpenCL C
    .language_version:
      - 2
      - 0
    .max_flat_workgroup_size: 256
    .name:           _ZN7rocprim17ROCPRIM_400000_NS6detail17trampoline_kernelINS0_14default_configENS1_20scan_config_selectorIfEEZZNS1_9scan_implILNS1_25lookback_scan_determinismE0ELb1ELb1ES3_N6thrust23THRUST_200600_302600_NS6detail15normal_iteratorINS9_10device_ptrIfEEEENS9_16discard_iteratorINS9_11use_defaultEEEfNS9_4plusIvEEfEEDaPvRmT3_T4_T5_mT6_P12ihipStream_tbENKUlT_T0_E_clISt17integral_constantIbLb0EESW_IbLb1EEEEDaSS_ST_EUlSS_E0_NS1_11comp_targetILNS1_3genE10ELNS1_11target_archE1200ELNS1_3gpuE4ELNS1_3repE0EEENS1_30default_config_static_selectorELNS0_4arch9wavefront6targetE1EEEvT1_
    .private_segment_fixed_size: 0
    .sgpr_count:     4
    .sgpr_spill_count: 0
    .symbol:         _ZN7rocprim17ROCPRIM_400000_NS6detail17trampoline_kernelINS0_14default_configENS1_20scan_config_selectorIfEEZZNS1_9scan_implILNS1_25lookback_scan_determinismE0ELb1ELb1ES3_N6thrust23THRUST_200600_302600_NS6detail15normal_iteratorINS9_10device_ptrIfEEEENS9_16discard_iteratorINS9_11use_defaultEEEfNS9_4plusIvEEfEEDaPvRmT3_T4_T5_mT6_P12ihipStream_tbENKUlT_T0_E_clISt17integral_constantIbLb0EESW_IbLb1EEEEDaSS_ST_EUlSS_E0_NS1_11comp_targetILNS1_3genE10ELNS1_11target_archE1200ELNS1_3gpuE4ELNS1_3repE0EEENS1_30default_config_static_selectorELNS0_4arch9wavefront6targetE1EEEvT1_.kd
    .uniform_work_group_size: 1
    .uses_dynamic_stack: false
    .vgpr_count:     0
    .vgpr_spill_count: 0
    .wavefront_size: 64
  - .agpr_count:     0
    .args:
      - .offset:         0
        .size:           40
        .value_kind:     by_value
    .group_segment_fixed_size: 0
    .kernarg_segment_align: 8
    .kernarg_segment_size: 40
    .language:       OpenCL C
    .language_version:
      - 2
      - 0
    .max_flat_workgroup_size: 256
    .name:           _ZN7rocprim17ROCPRIM_400000_NS6detail17trampoline_kernelINS0_14default_configENS1_20scan_config_selectorIfEEZZNS1_9scan_implILNS1_25lookback_scan_determinismE0ELb1ELb1ES3_N6thrust23THRUST_200600_302600_NS6detail15normal_iteratorINS9_10device_ptrIfEEEENS9_16discard_iteratorINS9_11use_defaultEEEfNS9_4plusIvEEfEEDaPvRmT3_T4_T5_mT6_P12ihipStream_tbENKUlT_T0_E_clISt17integral_constantIbLb0EESW_IbLb1EEEEDaSS_ST_EUlSS_E0_NS1_11comp_targetILNS1_3genE9ELNS1_11target_archE1100ELNS1_3gpuE3ELNS1_3repE0EEENS1_30default_config_static_selectorELNS0_4arch9wavefront6targetE1EEEvT1_
    .private_segment_fixed_size: 0
    .sgpr_count:     4
    .sgpr_spill_count: 0
    .symbol:         _ZN7rocprim17ROCPRIM_400000_NS6detail17trampoline_kernelINS0_14default_configENS1_20scan_config_selectorIfEEZZNS1_9scan_implILNS1_25lookback_scan_determinismE0ELb1ELb1ES3_N6thrust23THRUST_200600_302600_NS6detail15normal_iteratorINS9_10device_ptrIfEEEENS9_16discard_iteratorINS9_11use_defaultEEEfNS9_4plusIvEEfEEDaPvRmT3_T4_T5_mT6_P12ihipStream_tbENKUlT_T0_E_clISt17integral_constantIbLb0EESW_IbLb1EEEEDaSS_ST_EUlSS_E0_NS1_11comp_targetILNS1_3genE9ELNS1_11target_archE1100ELNS1_3gpuE3ELNS1_3repE0EEENS1_30default_config_static_selectorELNS0_4arch9wavefront6targetE1EEEvT1_.kd
    .uniform_work_group_size: 1
    .uses_dynamic_stack: false
    .vgpr_count:     0
    .vgpr_spill_count: 0
    .wavefront_size: 64
  - .agpr_count:     0
    .args:
      - .offset:         0
        .size:           40
        .value_kind:     by_value
    .group_segment_fixed_size: 0
    .kernarg_segment_align: 8
    .kernarg_segment_size: 40
    .language:       OpenCL C
    .language_version:
      - 2
      - 0
    .max_flat_workgroup_size: 64
    .name:           _ZN7rocprim17ROCPRIM_400000_NS6detail17trampoline_kernelINS0_14default_configENS1_20scan_config_selectorIfEEZZNS1_9scan_implILNS1_25lookback_scan_determinismE0ELb1ELb1ES3_N6thrust23THRUST_200600_302600_NS6detail15normal_iteratorINS9_10device_ptrIfEEEENS9_16discard_iteratorINS9_11use_defaultEEEfNS9_4plusIvEEfEEDaPvRmT3_T4_T5_mT6_P12ihipStream_tbENKUlT_T0_E_clISt17integral_constantIbLb0EESW_IbLb1EEEEDaSS_ST_EUlSS_E0_NS1_11comp_targetILNS1_3genE8ELNS1_11target_archE1030ELNS1_3gpuE2ELNS1_3repE0EEENS1_30default_config_static_selectorELNS0_4arch9wavefront6targetE1EEEvT1_
    .private_segment_fixed_size: 0
    .sgpr_count:     4
    .sgpr_spill_count: 0
    .symbol:         _ZN7rocprim17ROCPRIM_400000_NS6detail17trampoline_kernelINS0_14default_configENS1_20scan_config_selectorIfEEZZNS1_9scan_implILNS1_25lookback_scan_determinismE0ELb1ELb1ES3_N6thrust23THRUST_200600_302600_NS6detail15normal_iteratorINS9_10device_ptrIfEEEENS9_16discard_iteratorINS9_11use_defaultEEEfNS9_4plusIvEEfEEDaPvRmT3_T4_T5_mT6_P12ihipStream_tbENKUlT_T0_E_clISt17integral_constantIbLb0EESW_IbLb1EEEEDaSS_ST_EUlSS_E0_NS1_11comp_targetILNS1_3genE8ELNS1_11target_archE1030ELNS1_3gpuE2ELNS1_3repE0EEENS1_30default_config_static_selectorELNS0_4arch9wavefront6targetE1EEEvT1_.kd
    .uniform_work_group_size: 1
    .uses_dynamic_stack: false
    .vgpr_count:     0
    .vgpr_spill_count: 0
    .wavefront_size: 64
  - .agpr_count:     0
    .args:
      - .offset:         0
        .size:           112
        .value_kind:     by_value
    .group_segment_fixed_size: 0
    .kernarg_segment_align: 8
    .kernarg_segment_size: 112
    .language:       OpenCL C
    .language_version:
      - 2
      - 0
    .max_flat_workgroup_size: 256
    .name:           _ZN7rocprim17ROCPRIM_400000_NS6detail17trampoline_kernelINS0_14default_configENS1_20scan_config_selectorIyEEZZNS1_9scan_implILNS1_25lookback_scan_determinismE0ELb0ELb0ES3_N6thrust23THRUST_200600_302600_NS6detail15normal_iteratorINS9_10device_ptrIyEEEENS9_16discard_iteratorINS9_11use_defaultEEEyNS9_4plusIvEEyEEDaPvRmT3_T4_T5_mT6_P12ihipStream_tbENKUlT_T0_E_clISt17integral_constantIbLb0EESX_EEDaSS_ST_EUlSS_E_NS1_11comp_targetILNS1_3genE0ELNS1_11target_archE4294967295ELNS1_3gpuE0ELNS1_3repE0EEENS1_30default_config_static_selectorELNS0_4arch9wavefront6targetE1EEEvT1_
    .private_segment_fixed_size: 0
    .sgpr_count:     4
    .sgpr_spill_count: 0
    .symbol:         _ZN7rocprim17ROCPRIM_400000_NS6detail17trampoline_kernelINS0_14default_configENS1_20scan_config_selectorIyEEZZNS1_9scan_implILNS1_25lookback_scan_determinismE0ELb0ELb0ES3_N6thrust23THRUST_200600_302600_NS6detail15normal_iteratorINS9_10device_ptrIyEEEENS9_16discard_iteratorINS9_11use_defaultEEEyNS9_4plusIvEEyEEDaPvRmT3_T4_T5_mT6_P12ihipStream_tbENKUlT_T0_E_clISt17integral_constantIbLb0EESX_EEDaSS_ST_EUlSS_E_NS1_11comp_targetILNS1_3genE0ELNS1_11target_archE4294967295ELNS1_3gpuE0ELNS1_3repE0EEENS1_30default_config_static_selectorELNS0_4arch9wavefront6targetE1EEEvT1_.kd
    .uniform_work_group_size: 1
    .uses_dynamic_stack: false
    .vgpr_count:     0
    .vgpr_spill_count: 0
    .wavefront_size: 64
  - .agpr_count:     0
    .args:
      - .offset:         0
        .size:           112
        .value_kind:     by_value
    .group_segment_fixed_size: 0
    .kernarg_segment_align: 8
    .kernarg_segment_size: 112
    .language:       OpenCL C
    .language_version:
      - 2
      - 0
    .max_flat_workgroup_size: 256
    .name:           _ZN7rocprim17ROCPRIM_400000_NS6detail17trampoline_kernelINS0_14default_configENS1_20scan_config_selectorIyEEZZNS1_9scan_implILNS1_25lookback_scan_determinismE0ELb0ELb0ES3_N6thrust23THRUST_200600_302600_NS6detail15normal_iteratorINS9_10device_ptrIyEEEENS9_16discard_iteratorINS9_11use_defaultEEEyNS9_4plusIvEEyEEDaPvRmT3_T4_T5_mT6_P12ihipStream_tbENKUlT_T0_E_clISt17integral_constantIbLb0EESX_EEDaSS_ST_EUlSS_E_NS1_11comp_targetILNS1_3genE5ELNS1_11target_archE942ELNS1_3gpuE9ELNS1_3repE0EEENS1_30default_config_static_selectorELNS0_4arch9wavefront6targetE1EEEvT1_
    .private_segment_fixed_size: 0
    .sgpr_count:     4
    .sgpr_spill_count: 0
    .symbol:         _ZN7rocprim17ROCPRIM_400000_NS6detail17trampoline_kernelINS0_14default_configENS1_20scan_config_selectorIyEEZZNS1_9scan_implILNS1_25lookback_scan_determinismE0ELb0ELb0ES3_N6thrust23THRUST_200600_302600_NS6detail15normal_iteratorINS9_10device_ptrIyEEEENS9_16discard_iteratorINS9_11use_defaultEEEyNS9_4plusIvEEyEEDaPvRmT3_T4_T5_mT6_P12ihipStream_tbENKUlT_T0_E_clISt17integral_constantIbLb0EESX_EEDaSS_ST_EUlSS_E_NS1_11comp_targetILNS1_3genE5ELNS1_11target_archE942ELNS1_3gpuE9ELNS1_3repE0EEENS1_30default_config_static_selectorELNS0_4arch9wavefront6targetE1EEEvT1_.kd
    .uniform_work_group_size: 1
    .uses_dynamic_stack: false
    .vgpr_count:     0
    .vgpr_spill_count: 0
    .wavefront_size: 64
  - .agpr_count:     0
    .args:
      - .offset:         0
        .size:           112
        .value_kind:     by_value
    .group_segment_fixed_size: 7168
    .kernarg_segment_align: 8
    .kernarg_segment_size: 112
    .language:       OpenCL C
    .language_version:
      - 2
      - 0
    .max_flat_workgroup_size: 128
    .name:           _ZN7rocprim17ROCPRIM_400000_NS6detail17trampoline_kernelINS0_14default_configENS1_20scan_config_selectorIyEEZZNS1_9scan_implILNS1_25lookback_scan_determinismE0ELb0ELb0ES3_N6thrust23THRUST_200600_302600_NS6detail15normal_iteratorINS9_10device_ptrIyEEEENS9_16discard_iteratorINS9_11use_defaultEEEyNS9_4plusIvEEyEEDaPvRmT3_T4_T5_mT6_P12ihipStream_tbENKUlT_T0_E_clISt17integral_constantIbLb0EESX_EEDaSS_ST_EUlSS_E_NS1_11comp_targetILNS1_3genE4ELNS1_11target_archE910ELNS1_3gpuE8ELNS1_3repE0EEENS1_30default_config_static_selectorELNS0_4arch9wavefront6targetE1EEEvT1_
    .private_segment_fixed_size: 0
    .sgpr_count:     26
    .sgpr_spill_count: 0
    .symbol:         _ZN7rocprim17ROCPRIM_400000_NS6detail17trampoline_kernelINS0_14default_configENS1_20scan_config_selectorIyEEZZNS1_9scan_implILNS1_25lookback_scan_determinismE0ELb0ELb0ES3_N6thrust23THRUST_200600_302600_NS6detail15normal_iteratorINS9_10device_ptrIyEEEENS9_16discard_iteratorINS9_11use_defaultEEEyNS9_4plusIvEEyEEDaPvRmT3_T4_T5_mT6_P12ihipStream_tbENKUlT_T0_E_clISt17integral_constantIbLb0EESX_EEDaSS_ST_EUlSS_E_NS1_11comp_targetILNS1_3genE4ELNS1_11target_archE910ELNS1_3gpuE8ELNS1_3repE0EEENS1_30default_config_static_selectorELNS0_4arch9wavefront6targetE1EEEvT1_.kd
    .uniform_work_group_size: 1
    .uses_dynamic_stack: false
    .vgpr_count:     50
    .vgpr_spill_count: 0
    .wavefront_size: 64
  - .agpr_count:     0
    .args:
      - .offset:         0
        .size:           112
        .value_kind:     by_value
    .group_segment_fixed_size: 0
    .kernarg_segment_align: 8
    .kernarg_segment_size: 112
    .language:       OpenCL C
    .language_version:
      - 2
      - 0
    .max_flat_workgroup_size: 256
    .name:           _ZN7rocprim17ROCPRIM_400000_NS6detail17trampoline_kernelINS0_14default_configENS1_20scan_config_selectorIyEEZZNS1_9scan_implILNS1_25lookback_scan_determinismE0ELb0ELb0ES3_N6thrust23THRUST_200600_302600_NS6detail15normal_iteratorINS9_10device_ptrIyEEEENS9_16discard_iteratorINS9_11use_defaultEEEyNS9_4plusIvEEyEEDaPvRmT3_T4_T5_mT6_P12ihipStream_tbENKUlT_T0_E_clISt17integral_constantIbLb0EESX_EEDaSS_ST_EUlSS_E_NS1_11comp_targetILNS1_3genE3ELNS1_11target_archE908ELNS1_3gpuE7ELNS1_3repE0EEENS1_30default_config_static_selectorELNS0_4arch9wavefront6targetE1EEEvT1_
    .private_segment_fixed_size: 0
    .sgpr_count:     4
    .sgpr_spill_count: 0
    .symbol:         _ZN7rocprim17ROCPRIM_400000_NS6detail17trampoline_kernelINS0_14default_configENS1_20scan_config_selectorIyEEZZNS1_9scan_implILNS1_25lookback_scan_determinismE0ELb0ELb0ES3_N6thrust23THRUST_200600_302600_NS6detail15normal_iteratorINS9_10device_ptrIyEEEENS9_16discard_iteratorINS9_11use_defaultEEEyNS9_4plusIvEEyEEDaPvRmT3_T4_T5_mT6_P12ihipStream_tbENKUlT_T0_E_clISt17integral_constantIbLb0EESX_EEDaSS_ST_EUlSS_E_NS1_11comp_targetILNS1_3genE3ELNS1_11target_archE908ELNS1_3gpuE7ELNS1_3repE0EEENS1_30default_config_static_selectorELNS0_4arch9wavefront6targetE1EEEvT1_.kd
    .uniform_work_group_size: 1
    .uses_dynamic_stack: false
    .vgpr_count:     0
    .vgpr_spill_count: 0
    .wavefront_size: 64
  - .agpr_count:     0
    .args:
      - .offset:         0
        .size:           112
        .value_kind:     by_value
    .group_segment_fixed_size: 0
    .kernarg_segment_align: 8
    .kernarg_segment_size: 112
    .language:       OpenCL C
    .language_version:
      - 2
      - 0
    .max_flat_workgroup_size: 64
    .name:           _ZN7rocprim17ROCPRIM_400000_NS6detail17trampoline_kernelINS0_14default_configENS1_20scan_config_selectorIyEEZZNS1_9scan_implILNS1_25lookback_scan_determinismE0ELb0ELb0ES3_N6thrust23THRUST_200600_302600_NS6detail15normal_iteratorINS9_10device_ptrIyEEEENS9_16discard_iteratorINS9_11use_defaultEEEyNS9_4plusIvEEyEEDaPvRmT3_T4_T5_mT6_P12ihipStream_tbENKUlT_T0_E_clISt17integral_constantIbLb0EESX_EEDaSS_ST_EUlSS_E_NS1_11comp_targetILNS1_3genE2ELNS1_11target_archE906ELNS1_3gpuE6ELNS1_3repE0EEENS1_30default_config_static_selectorELNS0_4arch9wavefront6targetE1EEEvT1_
    .private_segment_fixed_size: 0
    .sgpr_count:     4
    .sgpr_spill_count: 0
    .symbol:         _ZN7rocprim17ROCPRIM_400000_NS6detail17trampoline_kernelINS0_14default_configENS1_20scan_config_selectorIyEEZZNS1_9scan_implILNS1_25lookback_scan_determinismE0ELb0ELb0ES3_N6thrust23THRUST_200600_302600_NS6detail15normal_iteratorINS9_10device_ptrIyEEEENS9_16discard_iteratorINS9_11use_defaultEEEyNS9_4plusIvEEyEEDaPvRmT3_T4_T5_mT6_P12ihipStream_tbENKUlT_T0_E_clISt17integral_constantIbLb0EESX_EEDaSS_ST_EUlSS_E_NS1_11comp_targetILNS1_3genE2ELNS1_11target_archE906ELNS1_3gpuE6ELNS1_3repE0EEENS1_30default_config_static_selectorELNS0_4arch9wavefront6targetE1EEEvT1_.kd
    .uniform_work_group_size: 1
    .uses_dynamic_stack: false
    .vgpr_count:     0
    .vgpr_spill_count: 0
    .wavefront_size: 64
  - .agpr_count:     0
    .args:
      - .offset:         0
        .size:           112
        .value_kind:     by_value
    .group_segment_fixed_size: 0
    .kernarg_segment_align: 8
    .kernarg_segment_size: 112
    .language:       OpenCL C
    .language_version:
      - 2
      - 0
    .max_flat_workgroup_size: 256
    .name:           _ZN7rocprim17ROCPRIM_400000_NS6detail17trampoline_kernelINS0_14default_configENS1_20scan_config_selectorIyEEZZNS1_9scan_implILNS1_25lookback_scan_determinismE0ELb0ELb0ES3_N6thrust23THRUST_200600_302600_NS6detail15normal_iteratorINS9_10device_ptrIyEEEENS9_16discard_iteratorINS9_11use_defaultEEEyNS9_4plusIvEEyEEDaPvRmT3_T4_T5_mT6_P12ihipStream_tbENKUlT_T0_E_clISt17integral_constantIbLb0EESX_EEDaSS_ST_EUlSS_E_NS1_11comp_targetILNS1_3genE10ELNS1_11target_archE1201ELNS1_3gpuE5ELNS1_3repE0EEENS1_30default_config_static_selectorELNS0_4arch9wavefront6targetE1EEEvT1_
    .private_segment_fixed_size: 0
    .sgpr_count:     4
    .sgpr_spill_count: 0
    .symbol:         _ZN7rocprim17ROCPRIM_400000_NS6detail17trampoline_kernelINS0_14default_configENS1_20scan_config_selectorIyEEZZNS1_9scan_implILNS1_25lookback_scan_determinismE0ELb0ELb0ES3_N6thrust23THRUST_200600_302600_NS6detail15normal_iteratorINS9_10device_ptrIyEEEENS9_16discard_iteratorINS9_11use_defaultEEEyNS9_4plusIvEEyEEDaPvRmT3_T4_T5_mT6_P12ihipStream_tbENKUlT_T0_E_clISt17integral_constantIbLb0EESX_EEDaSS_ST_EUlSS_E_NS1_11comp_targetILNS1_3genE10ELNS1_11target_archE1201ELNS1_3gpuE5ELNS1_3repE0EEENS1_30default_config_static_selectorELNS0_4arch9wavefront6targetE1EEEvT1_.kd
    .uniform_work_group_size: 1
    .uses_dynamic_stack: false
    .vgpr_count:     0
    .vgpr_spill_count: 0
    .wavefront_size: 64
  - .agpr_count:     0
    .args:
      - .offset:         0
        .size:           112
        .value_kind:     by_value
    .group_segment_fixed_size: 0
    .kernarg_segment_align: 8
    .kernarg_segment_size: 112
    .language:       OpenCL C
    .language_version:
      - 2
      - 0
    .max_flat_workgroup_size: 256
    .name:           _ZN7rocprim17ROCPRIM_400000_NS6detail17trampoline_kernelINS0_14default_configENS1_20scan_config_selectorIyEEZZNS1_9scan_implILNS1_25lookback_scan_determinismE0ELb0ELb0ES3_N6thrust23THRUST_200600_302600_NS6detail15normal_iteratorINS9_10device_ptrIyEEEENS9_16discard_iteratorINS9_11use_defaultEEEyNS9_4plusIvEEyEEDaPvRmT3_T4_T5_mT6_P12ihipStream_tbENKUlT_T0_E_clISt17integral_constantIbLb0EESX_EEDaSS_ST_EUlSS_E_NS1_11comp_targetILNS1_3genE10ELNS1_11target_archE1200ELNS1_3gpuE4ELNS1_3repE0EEENS1_30default_config_static_selectorELNS0_4arch9wavefront6targetE1EEEvT1_
    .private_segment_fixed_size: 0
    .sgpr_count:     4
    .sgpr_spill_count: 0
    .symbol:         _ZN7rocprim17ROCPRIM_400000_NS6detail17trampoline_kernelINS0_14default_configENS1_20scan_config_selectorIyEEZZNS1_9scan_implILNS1_25lookback_scan_determinismE0ELb0ELb0ES3_N6thrust23THRUST_200600_302600_NS6detail15normal_iteratorINS9_10device_ptrIyEEEENS9_16discard_iteratorINS9_11use_defaultEEEyNS9_4plusIvEEyEEDaPvRmT3_T4_T5_mT6_P12ihipStream_tbENKUlT_T0_E_clISt17integral_constantIbLb0EESX_EEDaSS_ST_EUlSS_E_NS1_11comp_targetILNS1_3genE10ELNS1_11target_archE1200ELNS1_3gpuE4ELNS1_3repE0EEENS1_30default_config_static_selectorELNS0_4arch9wavefront6targetE1EEEvT1_.kd
    .uniform_work_group_size: 1
    .uses_dynamic_stack: false
    .vgpr_count:     0
    .vgpr_spill_count: 0
    .wavefront_size: 64
  - .agpr_count:     0
    .args:
      - .offset:         0
        .size:           112
        .value_kind:     by_value
    .group_segment_fixed_size: 0
    .kernarg_segment_align: 8
    .kernarg_segment_size: 112
    .language:       OpenCL C
    .language_version:
      - 2
      - 0
    .max_flat_workgroup_size: 256
    .name:           _ZN7rocprim17ROCPRIM_400000_NS6detail17trampoline_kernelINS0_14default_configENS1_20scan_config_selectorIyEEZZNS1_9scan_implILNS1_25lookback_scan_determinismE0ELb0ELb0ES3_N6thrust23THRUST_200600_302600_NS6detail15normal_iteratorINS9_10device_ptrIyEEEENS9_16discard_iteratorINS9_11use_defaultEEEyNS9_4plusIvEEyEEDaPvRmT3_T4_T5_mT6_P12ihipStream_tbENKUlT_T0_E_clISt17integral_constantIbLb0EESX_EEDaSS_ST_EUlSS_E_NS1_11comp_targetILNS1_3genE9ELNS1_11target_archE1100ELNS1_3gpuE3ELNS1_3repE0EEENS1_30default_config_static_selectorELNS0_4arch9wavefront6targetE1EEEvT1_
    .private_segment_fixed_size: 0
    .sgpr_count:     4
    .sgpr_spill_count: 0
    .symbol:         _ZN7rocprim17ROCPRIM_400000_NS6detail17trampoline_kernelINS0_14default_configENS1_20scan_config_selectorIyEEZZNS1_9scan_implILNS1_25lookback_scan_determinismE0ELb0ELb0ES3_N6thrust23THRUST_200600_302600_NS6detail15normal_iteratorINS9_10device_ptrIyEEEENS9_16discard_iteratorINS9_11use_defaultEEEyNS9_4plusIvEEyEEDaPvRmT3_T4_T5_mT6_P12ihipStream_tbENKUlT_T0_E_clISt17integral_constantIbLb0EESX_EEDaSS_ST_EUlSS_E_NS1_11comp_targetILNS1_3genE9ELNS1_11target_archE1100ELNS1_3gpuE3ELNS1_3repE0EEENS1_30default_config_static_selectorELNS0_4arch9wavefront6targetE1EEEvT1_.kd
    .uniform_work_group_size: 1
    .uses_dynamic_stack: false
    .vgpr_count:     0
    .vgpr_spill_count: 0
    .wavefront_size: 64
  - .agpr_count:     0
    .args:
      - .offset:         0
        .size:           112
        .value_kind:     by_value
    .group_segment_fixed_size: 0
    .kernarg_segment_align: 8
    .kernarg_segment_size: 112
    .language:       OpenCL C
    .language_version:
      - 2
      - 0
    .max_flat_workgroup_size: 256
    .name:           _ZN7rocprim17ROCPRIM_400000_NS6detail17trampoline_kernelINS0_14default_configENS1_20scan_config_selectorIyEEZZNS1_9scan_implILNS1_25lookback_scan_determinismE0ELb0ELb0ES3_N6thrust23THRUST_200600_302600_NS6detail15normal_iteratorINS9_10device_ptrIyEEEENS9_16discard_iteratorINS9_11use_defaultEEEyNS9_4plusIvEEyEEDaPvRmT3_T4_T5_mT6_P12ihipStream_tbENKUlT_T0_E_clISt17integral_constantIbLb0EESX_EEDaSS_ST_EUlSS_E_NS1_11comp_targetILNS1_3genE8ELNS1_11target_archE1030ELNS1_3gpuE2ELNS1_3repE0EEENS1_30default_config_static_selectorELNS0_4arch9wavefront6targetE1EEEvT1_
    .private_segment_fixed_size: 0
    .sgpr_count:     4
    .sgpr_spill_count: 0
    .symbol:         _ZN7rocprim17ROCPRIM_400000_NS6detail17trampoline_kernelINS0_14default_configENS1_20scan_config_selectorIyEEZZNS1_9scan_implILNS1_25lookback_scan_determinismE0ELb0ELb0ES3_N6thrust23THRUST_200600_302600_NS6detail15normal_iteratorINS9_10device_ptrIyEEEENS9_16discard_iteratorINS9_11use_defaultEEEyNS9_4plusIvEEyEEDaPvRmT3_T4_T5_mT6_P12ihipStream_tbENKUlT_T0_E_clISt17integral_constantIbLb0EESX_EEDaSS_ST_EUlSS_E_NS1_11comp_targetILNS1_3genE8ELNS1_11target_archE1030ELNS1_3gpuE2ELNS1_3repE0EEENS1_30default_config_static_selectorELNS0_4arch9wavefront6targetE1EEEvT1_.kd
    .uniform_work_group_size: 1
    .uses_dynamic_stack: false
    .vgpr_count:     0
    .vgpr_spill_count: 0
    .wavefront_size: 64
  - .agpr_count:     0
    .args:
      - .offset:         0
        .size:           48
        .value_kind:     by_value
    .group_segment_fixed_size: 0
    .kernarg_segment_align: 8
    .kernarg_segment_size: 48
    .language:       OpenCL C
    .language_version:
      - 2
      - 0
    .max_flat_workgroup_size: 256
    .name:           _ZN7rocprim17ROCPRIM_400000_NS6detail17trampoline_kernelINS0_14default_configENS1_20scan_config_selectorIyEEZZNS1_9scan_implILNS1_25lookback_scan_determinismE0ELb0ELb0ES3_N6thrust23THRUST_200600_302600_NS6detail15normal_iteratorINS9_10device_ptrIyEEEENS9_16discard_iteratorINS9_11use_defaultEEEyNS9_4plusIvEEyEEDaPvRmT3_T4_T5_mT6_P12ihipStream_tbENKUlT_T0_E_clISt17integral_constantIbLb0EESX_EEDaSS_ST_EUlSS_E0_NS1_11comp_targetILNS1_3genE0ELNS1_11target_archE4294967295ELNS1_3gpuE0ELNS1_3repE0EEENS1_30default_config_static_selectorELNS0_4arch9wavefront6targetE1EEEvT1_
    .private_segment_fixed_size: 0
    .sgpr_count:     4
    .sgpr_spill_count: 0
    .symbol:         _ZN7rocprim17ROCPRIM_400000_NS6detail17trampoline_kernelINS0_14default_configENS1_20scan_config_selectorIyEEZZNS1_9scan_implILNS1_25lookback_scan_determinismE0ELb0ELb0ES3_N6thrust23THRUST_200600_302600_NS6detail15normal_iteratorINS9_10device_ptrIyEEEENS9_16discard_iteratorINS9_11use_defaultEEEyNS9_4plusIvEEyEEDaPvRmT3_T4_T5_mT6_P12ihipStream_tbENKUlT_T0_E_clISt17integral_constantIbLb0EESX_EEDaSS_ST_EUlSS_E0_NS1_11comp_targetILNS1_3genE0ELNS1_11target_archE4294967295ELNS1_3gpuE0ELNS1_3repE0EEENS1_30default_config_static_selectorELNS0_4arch9wavefront6targetE1EEEvT1_.kd
    .uniform_work_group_size: 1
    .uses_dynamic_stack: false
    .vgpr_count:     0
    .vgpr_spill_count: 0
    .wavefront_size: 64
  - .agpr_count:     0
    .args:
      - .offset:         0
        .size:           48
        .value_kind:     by_value
    .group_segment_fixed_size: 0
    .kernarg_segment_align: 8
    .kernarg_segment_size: 48
    .language:       OpenCL C
    .language_version:
      - 2
      - 0
    .max_flat_workgroup_size: 256
    .name:           _ZN7rocprim17ROCPRIM_400000_NS6detail17trampoline_kernelINS0_14default_configENS1_20scan_config_selectorIyEEZZNS1_9scan_implILNS1_25lookback_scan_determinismE0ELb0ELb0ES3_N6thrust23THRUST_200600_302600_NS6detail15normal_iteratorINS9_10device_ptrIyEEEENS9_16discard_iteratorINS9_11use_defaultEEEyNS9_4plusIvEEyEEDaPvRmT3_T4_T5_mT6_P12ihipStream_tbENKUlT_T0_E_clISt17integral_constantIbLb0EESX_EEDaSS_ST_EUlSS_E0_NS1_11comp_targetILNS1_3genE5ELNS1_11target_archE942ELNS1_3gpuE9ELNS1_3repE0EEENS1_30default_config_static_selectorELNS0_4arch9wavefront6targetE1EEEvT1_
    .private_segment_fixed_size: 0
    .sgpr_count:     4
    .sgpr_spill_count: 0
    .symbol:         _ZN7rocprim17ROCPRIM_400000_NS6detail17trampoline_kernelINS0_14default_configENS1_20scan_config_selectorIyEEZZNS1_9scan_implILNS1_25lookback_scan_determinismE0ELb0ELb0ES3_N6thrust23THRUST_200600_302600_NS6detail15normal_iteratorINS9_10device_ptrIyEEEENS9_16discard_iteratorINS9_11use_defaultEEEyNS9_4plusIvEEyEEDaPvRmT3_T4_T5_mT6_P12ihipStream_tbENKUlT_T0_E_clISt17integral_constantIbLb0EESX_EEDaSS_ST_EUlSS_E0_NS1_11comp_targetILNS1_3genE5ELNS1_11target_archE942ELNS1_3gpuE9ELNS1_3repE0EEENS1_30default_config_static_selectorELNS0_4arch9wavefront6targetE1EEEvT1_.kd
    .uniform_work_group_size: 1
    .uses_dynamic_stack: false
    .vgpr_count:     0
    .vgpr_spill_count: 0
    .wavefront_size: 64
  - .agpr_count:     0
    .args:
      - .offset:         0
        .size:           48
        .value_kind:     by_value
    .group_segment_fixed_size: 7168
    .kernarg_segment_align: 8
    .kernarg_segment_size: 48
    .language:       OpenCL C
    .language_version:
      - 2
      - 0
    .max_flat_workgroup_size: 128
    .name:           _ZN7rocprim17ROCPRIM_400000_NS6detail17trampoline_kernelINS0_14default_configENS1_20scan_config_selectorIyEEZZNS1_9scan_implILNS1_25lookback_scan_determinismE0ELb0ELb0ES3_N6thrust23THRUST_200600_302600_NS6detail15normal_iteratorINS9_10device_ptrIyEEEENS9_16discard_iteratorINS9_11use_defaultEEEyNS9_4plusIvEEyEEDaPvRmT3_T4_T5_mT6_P12ihipStream_tbENKUlT_T0_E_clISt17integral_constantIbLb0EESX_EEDaSS_ST_EUlSS_E0_NS1_11comp_targetILNS1_3genE4ELNS1_11target_archE910ELNS1_3gpuE8ELNS1_3repE0EEENS1_30default_config_static_selectorELNS0_4arch9wavefront6targetE1EEEvT1_
    .private_segment_fixed_size: 0
    .sgpr_count:     12
    .sgpr_spill_count: 0
    .symbol:         _ZN7rocprim17ROCPRIM_400000_NS6detail17trampoline_kernelINS0_14default_configENS1_20scan_config_selectorIyEEZZNS1_9scan_implILNS1_25lookback_scan_determinismE0ELb0ELb0ES3_N6thrust23THRUST_200600_302600_NS6detail15normal_iteratorINS9_10device_ptrIyEEEENS9_16discard_iteratorINS9_11use_defaultEEEyNS9_4plusIvEEyEEDaPvRmT3_T4_T5_mT6_P12ihipStream_tbENKUlT_T0_E_clISt17integral_constantIbLb0EESX_EEDaSS_ST_EUlSS_E0_NS1_11comp_targetILNS1_3genE4ELNS1_11target_archE910ELNS1_3gpuE8ELNS1_3repE0EEENS1_30default_config_static_selectorELNS0_4arch9wavefront6targetE1EEEvT1_.kd
    .uniform_work_group_size: 1
    .uses_dynamic_stack: false
    .vgpr_count:     41
    .vgpr_spill_count: 0
    .wavefront_size: 64
  - .agpr_count:     0
    .args:
      - .offset:         0
        .size:           48
        .value_kind:     by_value
    .group_segment_fixed_size: 0
    .kernarg_segment_align: 8
    .kernarg_segment_size: 48
    .language:       OpenCL C
    .language_version:
      - 2
      - 0
    .max_flat_workgroup_size: 256
    .name:           _ZN7rocprim17ROCPRIM_400000_NS6detail17trampoline_kernelINS0_14default_configENS1_20scan_config_selectorIyEEZZNS1_9scan_implILNS1_25lookback_scan_determinismE0ELb0ELb0ES3_N6thrust23THRUST_200600_302600_NS6detail15normal_iteratorINS9_10device_ptrIyEEEENS9_16discard_iteratorINS9_11use_defaultEEEyNS9_4plusIvEEyEEDaPvRmT3_T4_T5_mT6_P12ihipStream_tbENKUlT_T0_E_clISt17integral_constantIbLb0EESX_EEDaSS_ST_EUlSS_E0_NS1_11comp_targetILNS1_3genE3ELNS1_11target_archE908ELNS1_3gpuE7ELNS1_3repE0EEENS1_30default_config_static_selectorELNS0_4arch9wavefront6targetE1EEEvT1_
    .private_segment_fixed_size: 0
    .sgpr_count:     4
    .sgpr_spill_count: 0
    .symbol:         _ZN7rocprim17ROCPRIM_400000_NS6detail17trampoline_kernelINS0_14default_configENS1_20scan_config_selectorIyEEZZNS1_9scan_implILNS1_25lookback_scan_determinismE0ELb0ELb0ES3_N6thrust23THRUST_200600_302600_NS6detail15normal_iteratorINS9_10device_ptrIyEEEENS9_16discard_iteratorINS9_11use_defaultEEEyNS9_4plusIvEEyEEDaPvRmT3_T4_T5_mT6_P12ihipStream_tbENKUlT_T0_E_clISt17integral_constantIbLb0EESX_EEDaSS_ST_EUlSS_E0_NS1_11comp_targetILNS1_3genE3ELNS1_11target_archE908ELNS1_3gpuE7ELNS1_3repE0EEENS1_30default_config_static_selectorELNS0_4arch9wavefront6targetE1EEEvT1_.kd
    .uniform_work_group_size: 1
    .uses_dynamic_stack: false
    .vgpr_count:     0
    .vgpr_spill_count: 0
    .wavefront_size: 64
  - .agpr_count:     0
    .args:
      - .offset:         0
        .size:           48
        .value_kind:     by_value
    .group_segment_fixed_size: 0
    .kernarg_segment_align: 8
    .kernarg_segment_size: 48
    .language:       OpenCL C
    .language_version:
      - 2
      - 0
    .max_flat_workgroup_size: 64
    .name:           _ZN7rocprim17ROCPRIM_400000_NS6detail17trampoline_kernelINS0_14default_configENS1_20scan_config_selectorIyEEZZNS1_9scan_implILNS1_25lookback_scan_determinismE0ELb0ELb0ES3_N6thrust23THRUST_200600_302600_NS6detail15normal_iteratorINS9_10device_ptrIyEEEENS9_16discard_iteratorINS9_11use_defaultEEEyNS9_4plusIvEEyEEDaPvRmT3_T4_T5_mT6_P12ihipStream_tbENKUlT_T0_E_clISt17integral_constantIbLb0EESX_EEDaSS_ST_EUlSS_E0_NS1_11comp_targetILNS1_3genE2ELNS1_11target_archE906ELNS1_3gpuE6ELNS1_3repE0EEENS1_30default_config_static_selectorELNS0_4arch9wavefront6targetE1EEEvT1_
    .private_segment_fixed_size: 0
    .sgpr_count:     4
    .sgpr_spill_count: 0
    .symbol:         _ZN7rocprim17ROCPRIM_400000_NS6detail17trampoline_kernelINS0_14default_configENS1_20scan_config_selectorIyEEZZNS1_9scan_implILNS1_25lookback_scan_determinismE0ELb0ELb0ES3_N6thrust23THRUST_200600_302600_NS6detail15normal_iteratorINS9_10device_ptrIyEEEENS9_16discard_iteratorINS9_11use_defaultEEEyNS9_4plusIvEEyEEDaPvRmT3_T4_T5_mT6_P12ihipStream_tbENKUlT_T0_E_clISt17integral_constantIbLb0EESX_EEDaSS_ST_EUlSS_E0_NS1_11comp_targetILNS1_3genE2ELNS1_11target_archE906ELNS1_3gpuE6ELNS1_3repE0EEENS1_30default_config_static_selectorELNS0_4arch9wavefront6targetE1EEEvT1_.kd
    .uniform_work_group_size: 1
    .uses_dynamic_stack: false
    .vgpr_count:     0
    .vgpr_spill_count: 0
    .wavefront_size: 64
  - .agpr_count:     0
    .args:
      - .offset:         0
        .size:           48
        .value_kind:     by_value
    .group_segment_fixed_size: 0
    .kernarg_segment_align: 8
    .kernarg_segment_size: 48
    .language:       OpenCL C
    .language_version:
      - 2
      - 0
    .max_flat_workgroup_size: 256
    .name:           _ZN7rocprim17ROCPRIM_400000_NS6detail17trampoline_kernelINS0_14default_configENS1_20scan_config_selectorIyEEZZNS1_9scan_implILNS1_25lookback_scan_determinismE0ELb0ELb0ES3_N6thrust23THRUST_200600_302600_NS6detail15normal_iteratorINS9_10device_ptrIyEEEENS9_16discard_iteratorINS9_11use_defaultEEEyNS9_4plusIvEEyEEDaPvRmT3_T4_T5_mT6_P12ihipStream_tbENKUlT_T0_E_clISt17integral_constantIbLb0EESX_EEDaSS_ST_EUlSS_E0_NS1_11comp_targetILNS1_3genE10ELNS1_11target_archE1201ELNS1_3gpuE5ELNS1_3repE0EEENS1_30default_config_static_selectorELNS0_4arch9wavefront6targetE1EEEvT1_
    .private_segment_fixed_size: 0
    .sgpr_count:     4
    .sgpr_spill_count: 0
    .symbol:         _ZN7rocprim17ROCPRIM_400000_NS6detail17trampoline_kernelINS0_14default_configENS1_20scan_config_selectorIyEEZZNS1_9scan_implILNS1_25lookback_scan_determinismE0ELb0ELb0ES3_N6thrust23THRUST_200600_302600_NS6detail15normal_iteratorINS9_10device_ptrIyEEEENS9_16discard_iteratorINS9_11use_defaultEEEyNS9_4plusIvEEyEEDaPvRmT3_T4_T5_mT6_P12ihipStream_tbENKUlT_T0_E_clISt17integral_constantIbLb0EESX_EEDaSS_ST_EUlSS_E0_NS1_11comp_targetILNS1_3genE10ELNS1_11target_archE1201ELNS1_3gpuE5ELNS1_3repE0EEENS1_30default_config_static_selectorELNS0_4arch9wavefront6targetE1EEEvT1_.kd
    .uniform_work_group_size: 1
    .uses_dynamic_stack: false
    .vgpr_count:     0
    .vgpr_spill_count: 0
    .wavefront_size: 64
  - .agpr_count:     0
    .args:
      - .offset:         0
        .size:           48
        .value_kind:     by_value
    .group_segment_fixed_size: 0
    .kernarg_segment_align: 8
    .kernarg_segment_size: 48
    .language:       OpenCL C
    .language_version:
      - 2
      - 0
    .max_flat_workgroup_size: 256
    .name:           _ZN7rocprim17ROCPRIM_400000_NS6detail17trampoline_kernelINS0_14default_configENS1_20scan_config_selectorIyEEZZNS1_9scan_implILNS1_25lookback_scan_determinismE0ELb0ELb0ES3_N6thrust23THRUST_200600_302600_NS6detail15normal_iteratorINS9_10device_ptrIyEEEENS9_16discard_iteratorINS9_11use_defaultEEEyNS9_4plusIvEEyEEDaPvRmT3_T4_T5_mT6_P12ihipStream_tbENKUlT_T0_E_clISt17integral_constantIbLb0EESX_EEDaSS_ST_EUlSS_E0_NS1_11comp_targetILNS1_3genE10ELNS1_11target_archE1200ELNS1_3gpuE4ELNS1_3repE0EEENS1_30default_config_static_selectorELNS0_4arch9wavefront6targetE1EEEvT1_
    .private_segment_fixed_size: 0
    .sgpr_count:     4
    .sgpr_spill_count: 0
    .symbol:         _ZN7rocprim17ROCPRIM_400000_NS6detail17trampoline_kernelINS0_14default_configENS1_20scan_config_selectorIyEEZZNS1_9scan_implILNS1_25lookback_scan_determinismE0ELb0ELb0ES3_N6thrust23THRUST_200600_302600_NS6detail15normal_iteratorINS9_10device_ptrIyEEEENS9_16discard_iteratorINS9_11use_defaultEEEyNS9_4plusIvEEyEEDaPvRmT3_T4_T5_mT6_P12ihipStream_tbENKUlT_T0_E_clISt17integral_constantIbLb0EESX_EEDaSS_ST_EUlSS_E0_NS1_11comp_targetILNS1_3genE10ELNS1_11target_archE1200ELNS1_3gpuE4ELNS1_3repE0EEENS1_30default_config_static_selectorELNS0_4arch9wavefront6targetE1EEEvT1_.kd
    .uniform_work_group_size: 1
    .uses_dynamic_stack: false
    .vgpr_count:     0
    .vgpr_spill_count: 0
    .wavefront_size: 64
  - .agpr_count:     0
    .args:
      - .offset:         0
        .size:           48
        .value_kind:     by_value
    .group_segment_fixed_size: 0
    .kernarg_segment_align: 8
    .kernarg_segment_size: 48
    .language:       OpenCL C
    .language_version:
      - 2
      - 0
    .max_flat_workgroup_size: 256
    .name:           _ZN7rocprim17ROCPRIM_400000_NS6detail17trampoline_kernelINS0_14default_configENS1_20scan_config_selectorIyEEZZNS1_9scan_implILNS1_25lookback_scan_determinismE0ELb0ELb0ES3_N6thrust23THRUST_200600_302600_NS6detail15normal_iteratorINS9_10device_ptrIyEEEENS9_16discard_iteratorINS9_11use_defaultEEEyNS9_4plusIvEEyEEDaPvRmT3_T4_T5_mT6_P12ihipStream_tbENKUlT_T0_E_clISt17integral_constantIbLb0EESX_EEDaSS_ST_EUlSS_E0_NS1_11comp_targetILNS1_3genE9ELNS1_11target_archE1100ELNS1_3gpuE3ELNS1_3repE0EEENS1_30default_config_static_selectorELNS0_4arch9wavefront6targetE1EEEvT1_
    .private_segment_fixed_size: 0
    .sgpr_count:     4
    .sgpr_spill_count: 0
    .symbol:         _ZN7rocprim17ROCPRIM_400000_NS6detail17trampoline_kernelINS0_14default_configENS1_20scan_config_selectorIyEEZZNS1_9scan_implILNS1_25lookback_scan_determinismE0ELb0ELb0ES3_N6thrust23THRUST_200600_302600_NS6detail15normal_iteratorINS9_10device_ptrIyEEEENS9_16discard_iteratorINS9_11use_defaultEEEyNS9_4plusIvEEyEEDaPvRmT3_T4_T5_mT6_P12ihipStream_tbENKUlT_T0_E_clISt17integral_constantIbLb0EESX_EEDaSS_ST_EUlSS_E0_NS1_11comp_targetILNS1_3genE9ELNS1_11target_archE1100ELNS1_3gpuE3ELNS1_3repE0EEENS1_30default_config_static_selectorELNS0_4arch9wavefront6targetE1EEEvT1_.kd
    .uniform_work_group_size: 1
    .uses_dynamic_stack: false
    .vgpr_count:     0
    .vgpr_spill_count: 0
    .wavefront_size: 64
  - .agpr_count:     0
    .args:
      - .offset:         0
        .size:           48
        .value_kind:     by_value
    .group_segment_fixed_size: 0
    .kernarg_segment_align: 8
    .kernarg_segment_size: 48
    .language:       OpenCL C
    .language_version:
      - 2
      - 0
    .max_flat_workgroup_size: 256
    .name:           _ZN7rocprim17ROCPRIM_400000_NS6detail17trampoline_kernelINS0_14default_configENS1_20scan_config_selectorIyEEZZNS1_9scan_implILNS1_25lookback_scan_determinismE0ELb0ELb0ES3_N6thrust23THRUST_200600_302600_NS6detail15normal_iteratorINS9_10device_ptrIyEEEENS9_16discard_iteratorINS9_11use_defaultEEEyNS9_4plusIvEEyEEDaPvRmT3_T4_T5_mT6_P12ihipStream_tbENKUlT_T0_E_clISt17integral_constantIbLb0EESX_EEDaSS_ST_EUlSS_E0_NS1_11comp_targetILNS1_3genE8ELNS1_11target_archE1030ELNS1_3gpuE2ELNS1_3repE0EEENS1_30default_config_static_selectorELNS0_4arch9wavefront6targetE1EEEvT1_
    .private_segment_fixed_size: 0
    .sgpr_count:     4
    .sgpr_spill_count: 0
    .symbol:         _ZN7rocprim17ROCPRIM_400000_NS6detail17trampoline_kernelINS0_14default_configENS1_20scan_config_selectorIyEEZZNS1_9scan_implILNS1_25lookback_scan_determinismE0ELb0ELb0ES3_N6thrust23THRUST_200600_302600_NS6detail15normal_iteratorINS9_10device_ptrIyEEEENS9_16discard_iteratorINS9_11use_defaultEEEyNS9_4plusIvEEyEEDaPvRmT3_T4_T5_mT6_P12ihipStream_tbENKUlT_T0_E_clISt17integral_constantIbLb0EESX_EEDaSS_ST_EUlSS_E0_NS1_11comp_targetILNS1_3genE8ELNS1_11target_archE1030ELNS1_3gpuE2ELNS1_3repE0EEENS1_30default_config_static_selectorELNS0_4arch9wavefront6targetE1EEEvT1_.kd
    .uniform_work_group_size: 1
    .uses_dynamic_stack: false
    .vgpr_count:     0
    .vgpr_spill_count: 0
    .wavefront_size: 64
  - .agpr_count:     0
    .args:
      - .offset:         0
        .size:           112
        .value_kind:     by_value
    .group_segment_fixed_size: 0
    .kernarg_segment_align: 8
    .kernarg_segment_size: 112
    .language:       OpenCL C
    .language_version:
      - 2
      - 0
    .max_flat_workgroup_size: 256
    .name:           _ZN7rocprim17ROCPRIM_400000_NS6detail17trampoline_kernelINS0_14default_configENS1_20scan_config_selectorIyEEZZNS1_9scan_implILNS1_25lookback_scan_determinismE0ELb0ELb0ES3_N6thrust23THRUST_200600_302600_NS6detail15normal_iteratorINS9_10device_ptrIyEEEENS9_16discard_iteratorINS9_11use_defaultEEEyNS9_4plusIvEEyEEDaPvRmT3_T4_T5_mT6_P12ihipStream_tbENKUlT_T0_E_clISt17integral_constantIbLb1EESX_EEDaSS_ST_EUlSS_E_NS1_11comp_targetILNS1_3genE0ELNS1_11target_archE4294967295ELNS1_3gpuE0ELNS1_3repE0EEENS1_30default_config_static_selectorELNS0_4arch9wavefront6targetE1EEEvT1_
    .private_segment_fixed_size: 0
    .sgpr_count:     4
    .sgpr_spill_count: 0
    .symbol:         _ZN7rocprim17ROCPRIM_400000_NS6detail17trampoline_kernelINS0_14default_configENS1_20scan_config_selectorIyEEZZNS1_9scan_implILNS1_25lookback_scan_determinismE0ELb0ELb0ES3_N6thrust23THRUST_200600_302600_NS6detail15normal_iteratorINS9_10device_ptrIyEEEENS9_16discard_iteratorINS9_11use_defaultEEEyNS9_4plusIvEEyEEDaPvRmT3_T4_T5_mT6_P12ihipStream_tbENKUlT_T0_E_clISt17integral_constantIbLb1EESX_EEDaSS_ST_EUlSS_E_NS1_11comp_targetILNS1_3genE0ELNS1_11target_archE4294967295ELNS1_3gpuE0ELNS1_3repE0EEENS1_30default_config_static_selectorELNS0_4arch9wavefront6targetE1EEEvT1_.kd
    .uniform_work_group_size: 1
    .uses_dynamic_stack: false
    .vgpr_count:     0
    .vgpr_spill_count: 0
    .wavefront_size: 64
  - .agpr_count:     0
    .args:
      - .offset:         0
        .size:           112
        .value_kind:     by_value
    .group_segment_fixed_size: 0
    .kernarg_segment_align: 8
    .kernarg_segment_size: 112
    .language:       OpenCL C
    .language_version:
      - 2
      - 0
    .max_flat_workgroup_size: 256
    .name:           _ZN7rocprim17ROCPRIM_400000_NS6detail17trampoline_kernelINS0_14default_configENS1_20scan_config_selectorIyEEZZNS1_9scan_implILNS1_25lookback_scan_determinismE0ELb0ELb0ES3_N6thrust23THRUST_200600_302600_NS6detail15normal_iteratorINS9_10device_ptrIyEEEENS9_16discard_iteratorINS9_11use_defaultEEEyNS9_4plusIvEEyEEDaPvRmT3_T4_T5_mT6_P12ihipStream_tbENKUlT_T0_E_clISt17integral_constantIbLb1EESX_EEDaSS_ST_EUlSS_E_NS1_11comp_targetILNS1_3genE5ELNS1_11target_archE942ELNS1_3gpuE9ELNS1_3repE0EEENS1_30default_config_static_selectorELNS0_4arch9wavefront6targetE1EEEvT1_
    .private_segment_fixed_size: 0
    .sgpr_count:     4
    .sgpr_spill_count: 0
    .symbol:         _ZN7rocprim17ROCPRIM_400000_NS6detail17trampoline_kernelINS0_14default_configENS1_20scan_config_selectorIyEEZZNS1_9scan_implILNS1_25lookback_scan_determinismE0ELb0ELb0ES3_N6thrust23THRUST_200600_302600_NS6detail15normal_iteratorINS9_10device_ptrIyEEEENS9_16discard_iteratorINS9_11use_defaultEEEyNS9_4plusIvEEyEEDaPvRmT3_T4_T5_mT6_P12ihipStream_tbENKUlT_T0_E_clISt17integral_constantIbLb1EESX_EEDaSS_ST_EUlSS_E_NS1_11comp_targetILNS1_3genE5ELNS1_11target_archE942ELNS1_3gpuE9ELNS1_3repE0EEENS1_30default_config_static_selectorELNS0_4arch9wavefront6targetE1EEEvT1_.kd
    .uniform_work_group_size: 1
    .uses_dynamic_stack: false
    .vgpr_count:     0
    .vgpr_spill_count: 0
    .wavefront_size: 64
  - .agpr_count:     0
    .args:
      - .offset:         0
        .size:           112
        .value_kind:     by_value
    .group_segment_fixed_size: 7168
    .kernarg_segment_align: 8
    .kernarg_segment_size: 112
    .language:       OpenCL C
    .language_version:
      - 2
      - 0
    .max_flat_workgroup_size: 128
    .name:           _ZN7rocprim17ROCPRIM_400000_NS6detail17trampoline_kernelINS0_14default_configENS1_20scan_config_selectorIyEEZZNS1_9scan_implILNS1_25lookback_scan_determinismE0ELb0ELb0ES3_N6thrust23THRUST_200600_302600_NS6detail15normal_iteratorINS9_10device_ptrIyEEEENS9_16discard_iteratorINS9_11use_defaultEEEyNS9_4plusIvEEyEEDaPvRmT3_T4_T5_mT6_P12ihipStream_tbENKUlT_T0_E_clISt17integral_constantIbLb1EESX_EEDaSS_ST_EUlSS_E_NS1_11comp_targetILNS1_3genE4ELNS1_11target_archE910ELNS1_3gpuE8ELNS1_3repE0EEENS1_30default_config_static_selectorELNS0_4arch9wavefront6targetE1EEEvT1_
    .private_segment_fixed_size: 0
    .sgpr_count:     34
    .sgpr_spill_count: 0
    .symbol:         _ZN7rocprim17ROCPRIM_400000_NS6detail17trampoline_kernelINS0_14default_configENS1_20scan_config_selectorIyEEZZNS1_9scan_implILNS1_25lookback_scan_determinismE0ELb0ELb0ES3_N6thrust23THRUST_200600_302600_NS6detail15normal_iteratorINS9_10device_ptrIyEEEENS9_16discard_iteratorINS9_11use_defaultEEEyNS9_4plusIvEEyEEDaPvRmT3_T4_T5_mT6_P12ihipStream_tbENKUlT_T0_E_clISt17integral_constantIbLb1EESX_EEDaSS_ST_EUlSS_E_NS1_11comp_targetILNS1_3genE4ELNS1_11target_archE910ELNS1_3gpuE8ELNS1_3repE0EEENS1_30default_config_static_selectorELNS0_4arch9wavefront6targetE1EEEvT1_.kd
    .uniform_work_group_size: 1
    .uses_dynamic_stack: false
    .vgpr_count:     50
    .vgpr_spill_count: 0
    .wavefront_size: 64
  - .agpr_count:     0
    .args:
      - .offset:         0
        .size:           112
        .value_kind:     by_value
    .group_segment_fixed_size: 0
    .kernarg_segment_align: 8
    .kernarg_segment_size: 112
    .language:       OpenCL C
    .language_version:
      - 2
      - 0
    .max_flat_workgroup_size: 256
    .name:           _ZN7rocprim17ROCPRIM_400000_NS6detail17trampoline_kernelINS0_14default_configENS1_20scan_config_selectorIyEEZZNS1_9scan_implILNS1_25lookback_scan_determinismE0ELb0ELb0ES3_N6thrust23THRUST_200600_302600_NS6detail15normal_iteratorINS9_10device_ptrIyEEEENS9_16discard_iteratorINS9_11use_defaultEEEyNS9_4plusIvEEyEEDaPvRmT3_T4_T5_mT6_P12ihipStream_tbENKUlT_T0_E_clISt17integral_constantIbLb1EESX_EEDaSS_ST_EUlSS_E_NS1_11comp_targetILNS1_3genE3ELNS1_11target_archE908ELNS1_3gpuE7ELNS1_3repE0EEENS1_30default_config_static_selectorELNS0_4arch9wavefront6targetE1EEEvT1_
    .private_segment_fixed_size: 0
    .sgpr_count:     4
    .sgpr_spill_count: 0
    .symbol:         _ZN7rocprim17ROCPRIM_400000_NS6detail17trampoline_kernelINS0_14default_configENS1_20scan_config_selectorIyEEZZNS1_9scan_implILNS1_25lookback_scan_determinismE0ELb0ELb0ES3_N6thrust23THRUST_200600_302600_NS6detail15normal_iteratorINS9_10device_ptrIyEEEENS9_16discard_iteratorINS9_11use_defaultEEEyNS9_4plusIvEEyEEDaPvRmT3_T4_T5_mT6_P12ihipStream_tbENKUlT_T0_E_clISt17integral_constantIbLb1EESX_EEDaSS_ST_EUlSS_E_NS1_11comp_targetILNS1_3genE3ELNS1_11target_archE908ELNS1_3gpuE7ELNS1_3repE0EEENS1_30default_config_static_selectorELNS0_4arch9wavefront6targetE1EEEvT1_.kd
    .uniform_work_group_size: 1
    .uses_dynamic_stack: false
    .vgpr_count:     0
    .vgpr_spill_count: 0
    .wavefront_size: 64
  - .agpr_count:     0
    .args:
      - .offset:         0
        .size:           112
        .value_kind:     by_value
    .group_segment_fixed_size: 0
    .kernarg_segment_align: 8
    .kernarg_segment_size: 112
    .language:       OpenCL C
    .language_version:
      - 2
      - 0
    .max_flat_workgroup_size: 64
    .name:           _ZN7rocprim17ROCPRIM_400000_NS6detail17trampoline_kernelINS0_14default_configENS1_20scan_config_selectorIyEEZZNS1_9scan_implILNS1_25lookback_scan_determinismE0ELb0ELb0ES3_N6thrust23THRUST_200600_302600_NS6detail15normal_iteratorINS9_10device_ptrIyEEEENS9_16discard_iteratorINS9_11use_defaultEEEyNS9_4plusIvEEyEEDaPvRmT3_T4_T5_mT6_P12ihipStream_tbENKUlT_T0_E_clISt17integral_constantIbLb1EESX_EEDaSS_ST_EUlSS_E_NS1_11comp_targetILNS1_3genE2ELNS1_11target_archE906ELNS1_3gpuE6ELNS1_3repE0EEENS1_30default_config_static_selectorELNS0_4arch9wavefront6targetE1EEEvT1_
    .private_segment_fixed_size: 0
    .sgpr_count:     4
    .sgpr_spill_count: 0
    .symbol:         _ZN7rocprim17ROCPRIM_400000_NS6detail17trampoline_kernelINS0_14default_configENS1_20scan_config_selectorIyEEZZNS1_9scan_implILNS1_25lookback_scan_determinismE0ELb0ELb0ES3_N6thrust23THRUST_200600_302600_NS6detail15normal_iteratorINS9_10device_ptrIyEEEENS9_16discard_iteratorINS9_11use_defaultEEEyNS9_4plusIvEEyEEDaPvRmT3_T4_T5_mT6_P12ihipStream_tbENKUlT_T0_E_clISt17integral_constantIbLb1EESX_EEDaSS_ST_EUlSS_E_NS1_11comp_targetILNS1_3genE2ELNS1_11target_archE906ELNS1_3gpuE6ELNS1_3repE0EEENS1_30default_config_static_selectorELNS0_4arch9wavefront6targetE1EEEvT1_.kd
    .uniform_work_group_size: 1
    .uses_dynamic_stack: false
    .vgpr_count:     0
    .vgpr_spill_count: 0
    .wavefront_size: 64
  - .agpr_count:     0
    .args:
      - .offset:         0
        .size:           112
        .value_kind:     by_value
    .group_segment_fixed_size: 0
    .kernarg_segment_align: 8
    .kernarg_segment_size: 112
    .language:       OpenCL C
    .language_version:
      - 2
      - 0
    .max_flat_workgroup_size: 256
    .name:           _ZN7rocprim17ROCPRIM_400000_NS6detail17trampoline_kernelINS0_14default_configENS1_20scan_config_selectorIyEEZZNS1_9scan_implILNS1_25lookback_scan_determinismE0ELb0ELb0ES3_N6thrust23THRUST_200600_302600_NS6detail15normal_iteratorINS9_10device_ptrIyEEEENS9_16discard_iteratorINS9_11use_defaultEEEyNS9_4plusIvEEyEEDaPvRmT3_T4_T5_mT6_P12ihipStream_tbENKUlT_T0_E_clISt17integral_constantIbLb1EESX_EEDaSS_ST_EUlSS_E_NS1_11comp_targetILNS1_3genE10ELNS1_11target_archE1201ELNS1_3gpuE5ELNS1_3repE0EEENS1_30default_config_static_selectorELNS0_4arch9wavefront6targetE1EEEvT1_
    .private_segment_fixed_size: 0
    .sgpr_count:     4
    .sgpr_spill_count: 0
    .symbol:         _ZN7rocprim17ROCPRIM_400000_NS6detail17trampoline_kernelINS0_14default_configENS1_20scan_config_selectorIyEEZZNS1_9scan_implILNS1_25lookback_scan_determinismE0ELb0ELb0ES3_N6thrust23THRUST_200600_302600_NS6detail15normal_iteratorINS9_10device_ptrIyEEEENS9_16discard_iteratorINS9_11use_defaultEEEyNS9_4plusIvEEyEEDaPvRmT3_T4_T5_mT6_P12ihipStream_tbENKUlT_T0_E_clISt17integral_constantIbLb1EESX_EEDaSS_ST_EUlSS_E_NS1_11comp_targetILNS1_3genE10ELNS1_11target_archE1201ELNS1_3gpuE5ELNS1_3repE0EEENS1_30default_config_static_selectorELNS0_4arch9wavefront6targetE1EEEvT1_.kd
    .uniform_work_group_size: 1
    .uses_dynamic_stack: false
    .vgpr_count:     0
    .vgpr_spill_count: 0
    .wavefront_size: 64
  - .agpr_count:     0
    .args:
      - .offset:         0
        .size:           112
        .value_kind:     by_value
    .group_segment_fixed_size: 0
    .kernarg_segment_align: 8
    .kernarg_segment_size: 112
    .language:       OpenCL C
    .language_version:
      - 2
      - 0
    .max_flat_workgroup_size: 256
    .name:           _ZN7rocprim17ROCPRIM_400000_NS6detail17trampoline_kernelINS0_14default_configENS1_20scan_config_selectorIyEEZZNS1_9scan_implILNS1_25lookback_scan_determinismE0ELb0ELb0ES3_N6thrust23THRUST_200600_302600_NS6detail15normal_iteratorINS9_10device_ptrIyEEEENS9_16discard_iteratorINS9_11use_defaultEEEyNS9_4plusIvEEyEEDaPvRmT3_T4_T5_mT6_P12ihipStream_tbENKUlT_T0_E_clISt17integral_constantIbLb1EESX_EEDaSS_ST_EUlSS_E_NS1_11comp_targetILNS1_3genE10ELNS1_11target_archE1200ELNS1_3gpuE4ELNS1_3repE0EEENS1_30default_config_static_selectorELNS0_4arch9wavefront6targetE1EEEvT1_
    .private_segment_fixed_size: 0
    .sgpr_count:     4
    .sgpr_spill_count: 0
    .symbol:         _ZN7rocprim17ROCPRIM_400000_NS6detail17trampoline_kernelINS0_14default_configENS1_20scan_config_selectorIyEEZZNS1_9scan_implILNS1_25lookback_scan_determinismE0ELb0ELb0ES3_N6thrust23THRUST_200600_302600_NS6detail15normal_iteratorINS9_10device_ptrIyEEEENS9_16discard_iteratorINS9_11use_defaultEEEyNS9_4plusIvEEyEEDaPvRmT3_T4_T5_mT6_P12ihipStream_tbENKUlT_T0_E_clISt17integral_constantIbLb1EESX_EEDaSS_ST_EUlSS_E_NS1_11comp_targetILNS1_3genE10ELNS1_11target_archE1200ELNS1_3gpuE4ELNS1_3repE0EEENS1_30default_config_static_selectorELNS0_4arch9wavefront6targetE1EEEvT1_.kd
    .uniform_work_group_size: 1
    .uses_dynamic_stack: false
    .vgpr_count:     0
    .vgpr_spill_count: 0
    .wavefront_size: 64
  - .agpr_count:     0
    .args:
      - .offset:         0
        .size:           112
        .value_kind:     by_value
    .group_segment_fixed_size: 0
    .kernarg_segment_align: 8
    .kernarg_segment_size: 112
    .language:       OpenCL C
    .language_version:
      - 2
      - 0
    .max_flat_workgroup_size: 256
    .name:           _ZN7rocprim17ROCPRIM_400000_NS6detail17trampoline_kernelINS0_14default_configENS1_20scan_config_selectorIyEEZZNS1_9scan_implILNS1_25lookback_scan_determinismE0ELb0ELb0ES3_N6thrust23THRUST_200600_302600_NS6detail15normal_iteratorINS9_10device_ptrIyEEEENS9_16discard_iteratorINS9_11use_defaultEEEyNS9_4plusIvEEyEEDaPvRmT3_T4_T5_mT6_P12ihipStream_tbENKUlT_T0_E_clISt17integral_constantIbLb1EESX_EEDaSS_ST_EUlSS_E_NS1_11comp_targetILNS1_3genE9ELNS1_11target_archE1100ELNS1_3gpuE3ELNS1_3repE0EEENS1_30default_config_static_selectorELNS0_4arch9wavefront6targetE1EEEvT1_
    .private_segment_fixed_size: 0
    .sgpr_count:     4
    .sgpr_spill_count: 0
    .symbol:         _ZN7rocprim17ROCPRIM_400000_NS6detail17trampoline_kernelINS0_14default_configENS1_20scan_config_selectorIyEEZZNS1_9scan_implILNS1_25lookback_scan_determinismE0ELb0ELb0ES3_N6thrust23THRUST_200600_302600_NS6detail15normal_iteratorINS9_10device_ptrIyEEEENS9_16discard_iteratorINS9_11use_defaultEEEyNS9_4plusIvEEyEEDaPvRmT3_T4_T5_mT6_P12ihipStream_tbENKUlT_T0_E_clISt17integral_constantIbLb1EESX_EEDaSS_ST_EUlSS_E_NS1_11comp_targetILNS1_3genE9ELNS1_11target_archE1100ELNS1_3gpuE3ELNS1_3repE0EEENS1_30default_config_static_selectorELNS0_4arch9wavefront6targetE1EEEvT1_.kd
    .uniform_work_group_size: 1
    .uses_dynamic_stack: false
    .vgpr_count:     0
    .vgpr_spill_count: 0
    .wavefront_size: 64
  - .agpr_count:     0
    .args:
      - .offset:         0
        .size:           112
        .value_kind:     by_value
    .group_segment_fixed_size: 0
    .kernarg_segment_align: 8
    .kernarg_segment_size: 112
    .language:       OpenCL C
    .language_version:
      - 2
      - 0
    .max_flat_workgroup_size: 256
    .name:           _ZN7rocprim17ROCPRIM_400000_NS6detail17trampoline_kernelINS0_14default_configENS1_20scan_config_selectorIyEEZZNS1_9scan_implILNS1_25lookback_scan_determinismE0ELb0ELb0ES3_N6thrust23THRUST_200600_302600_NS6detail15normal_iteratorINS9_10device_ptrIyEEEENS9_16discard_iteratorINS9_11use_defaultEEEyNS9_4plusIvEEyEEDaPvRmT3_T4_T5_mT6_P12ihipStream_tbENKUlT_T0_E_clISt17integral_constantIbLb1EESX_EEDaSS_ST_EUlSS_E_NS1_11comp_targetILNS1_3genE8ELNS1_11target_archE1030ELNS1_3gpuE2ELNS1_3repE0EEENS1_30default_config_static_selectorELNS0_4arch9wavefront6targetE1EEEvT1_
    .private_segment_fixed_size: 0
    .sgpr_count:     4
    .sgpr_spill_count: 0
    .symbol:         _ZN7rocprim17ROCPRIM_400000_NS6detail17trampoline_kernelINS0_14default_configENS1_20scan_config_selectorIyEEZZNS1_9scan_implILNS1_25lookback_scan_determinismE0ELb0ELb0ES3_N6thrust23THRUST_200600_302600_NS6detail15normal_iteratorINS9_10device_ptrIyEEEENS9_16discard_iteratorINS9_11use_defaultEEEyNS9_4plusIvEEyEEDaPvRmT3_T4_T5_mT6_P12ihipStream_tbENKUlT_T0_E_clISt17integral_constantIbLb1EESX_EEDaSS_ST_EUlSS_E_NS1_11comp_targetILNS1_3genE8ELNS1_11target_archE1030ELNS1_3gpuE2ELNS1_3repE0EEENS1_30default_config_static_selectorELNS0_4arch9wavefront6targetE1EEEvT1_.kd
    .uniform_work_group_size: 1
    .uses_dynamic_stack: false
    .vgpr_count:     0
    .vgpr_spill_count: 0
    .wavefront_size: 64
  - .agpr_count:     0
    .args:
      - .offset:         0
        .size:           48
        .value_kind:     by_value
    .group_segment_fixed_size: 0
    .kernarg_segment_align: 8
    .kernarg_segment_size: 48
    .language:       OpenCL C
    .language_version:
      - 2
      - 0
    .max_flat_workgroup_size: 256
    .name:           _ZN7rocprim17ROCPRIM_400000_NS6detail17trampoline_kernelINS0_14default_configENS1_20scan_config_selectorIyEEZZNS1_9scan_implILNS1_25lookback_scan_determinismE0ELb0ELb0ES3_N6thrust23THRUST_200600_302600_NS6detail15normal_iteratorINS9_10device_ptrIyEEEENS9_16discard_iteratorINS9_11use_defaultEEEyNS9_4plusIvEEyEEDaPvRmT3_T4_T5_mT6_P12ihipStream_tbENKUlT_T0_E_clISt17integral_constantIbLb1EESX_EEDaSS_ST_EUlSS_E0_NS1_11comp_targetILNS1_3genE0ELNS1_11target_archE4294967295ELNS1_3gpuE0ELNS1_3repE0EEENS1_30default_config_static_selectorELNS0_4arch9wavefront6targetE1EEEvT1_
    .private_segment_fixed_size: 0
    .sgpr_count:     4
    .sgpr_spill_count: 0
    .symbol:         _ZN7rocprim17ROCPRIM_400000_NS6detail17trampoline_kernelINS0_14default_configENS1_20scan_config_selectorIyEEZZNS1_9scan_implILNS1_25lookback_scan_determinismE0ELb0ELb0ES3_N6thrust23THRUST_200600_302600_NS6detail15normal_iteratorINS9_10device_ptrIyEEEENS9_16discard_iteratorINS9_11use_defaultEEEyNS9_4plusIvEEyEEDaPvRmT3_T4_T5_mT6_P12ihipStream_tbENKUlT_T0_E_clISt17integral_constantIbLb1EESX_EEDaSS_ST_EUlSS_E0_NS1_11comp_targetILNS1_3genE0ELNS1_11target_archE4294967295ELNS1_3gpuE0ELNS1_3repE0EEENS1_30default_config_static_selectorELNS0_4arch9wavefront6targetE1EEEvT1_.kd
    .uniform_work_group_size: 1
    .uses_dynamic_stack: false
    .vgpr_count:     0
    .vgpr_spill_count: 0
    .wavefront_size: 64
  - .agpr_count:     0
    .args:
      - .offset:         0
        .size:           48
        .value_kind:     by_value
    .group_segment_fixed_size: 0
    .kernarg_segment_align: 8
    .kernarg_segment_size: 48
    .language:       OpenCL C
    .language_version:
      - 2
      - 0
    .max_flat_workgroup_size: 256
    .name:           _ZN7rocprim17ROCPRIM_400000_NS6detail17trampoline_kernelINS0_14default_configENS1_20scan_config_selectorIyEEZZNS1_9scan_implILNS1_25lookback_scan_determinismE0ELb0ELb0ES3_N6thrust23THRUST_200600_302600_NS6detail15normal_iteratorINS9_10device_ptrIyEEEENS9_16discard_iteratorINS9_11use_defaultEEEyNS9_4plusIvEEyEEDaPvRmT3_T4_T5_mT6_P12ihipStream_tbENKUlT_T0_E_clISt17integral_constantIbLb1EESX_EEDaSS_ST_EUlSS_E0_NS1_11comp_targetILNS1_3genE5ELNS1_11target_archE942ELNS1_3gpuE9ELNS1_3repE0EEENS1_30default_config_static_selectorELNS0_4arch9wavefront6targetE1EEEvT1_
    .private_segment_fixed_size: 0
    .sgpr_count:     4
    .sgpr_spill_count: 0
    .symbol:         _ZN7rocprim17ROCPRIM_400000_NS6detail17trampoline_kernelINS0_14default_configENS1_20scan_config_selectorIyEEZZNS1_9scan_implILNS1_25lookback_scan_determinismE0ELb0ELb0ES3_N6thrust23THRUST_200600_302600_NS6detail15normal_iteratorINS9_10device_ptrIyEEEENS9_16discard_iteratorINS9_11use_defaultEEEyNS9_4plusIvEEyEEDaPvRmT3_T4_T5_mT6_P12ihipStream_tbENKUlT_T0_E_clISt17integral_constantIbLb1EESX_EEDaSS_ST_EUlSS_E0_NS1_11comp_targetILNS1_3genE5ELNS1_11target_archE942ELNS1_3gpuE9ELNS1_3repE0EEENS1_30default_config_static_selectorELNS0_4arch9wavefront6targetE1EEEvT1_.kd
    .uniform_work_group_size: 1
    .uses_dynamic_stack: false
    .vgpr_count:     0
    .vgpr_spill_count: 0
    .wavefront_size: 64
  - .agpr_count:     0
    .args:
      - .offset:         0
        .size:           48
        .value_kind:     by_value
    .group_segment_fixed_size: 7168
    .kernarg_segment_align: 8
    .kernarg_segment_size: 48
    .language:       OpenCL C
    .language_version:
      - 2
      - 0
    .max_flat_workgroup_size: 128
    .name:           _ZN7rocprim17ROCPRIM_400000_NS6detail17trampoline_kernelINS0_14default_configENS1_20scan_config_selectorIyEEZZNS1_9scan_implILNS1_25lookback_scan_determinismE0ELb0ELb0ES3_N6thrust23THRUST_200600_302600_NS6detail15normal_iteratorINS9_10device_ptrIyEEEENS9_16discard_iteratorINS9_11use_defaultEEEyNS9_4plusIvEEyEEDaPvRmT3_T4_T5_mT6_P12ihipStream_tbENKUlT_T0_E_clISt17integral_constantIbLb1EESX_EEDaSS_ST_EUlSS_E0_NS1_11comp_targetILNS1_3genE4ELNS1_11target_archE910ELNS1_3gpuE8ELNS1_3repE0EEENS1_30default_config_static_selectorELNS0_4arch9wavefront6targetE1EEEvT1_
    .private_segment_fixed_size: 0
    .sgpr_count:     12
    .sgpr_spill_count: 0
    .symbol:         _ZN7rocprim17ROCPRIM_400000_NS6detail17trampoline_kernelINS0_14default_configENS1_20scan_config_selectorIyEEZZNS1_9scan_implILNS1_25lookback_scan_determinismE0ELb0ELb0ES3_N6thrust23THRUST_200600_302600_NS6detail15normal_iteratorINS9_10device_ptrIyEEEENS9_16discard_iteratorINS9_11use_defaultEEEyNS9_4plusIvEEyEEDaPvRmT3_T4_T5_mT6_P12ihipStream_tbENKUlT_T0_E_clISt17integral_constantIbLb1EESX_EEDaSS_ST_EUlSS_E0_NS1_11comp_targetILNS1_3genE4ELNS1_11target_archE910ELNS1_3gpuE8ELNS1_3repE0EEENS1_30default_config_static_selectorELNS0_4arch9wavefront6targetE1EEEvT1_.kd
    .uniform_work_group_size: 1
    .uses_dynamic_stack: false
    .vgpr_count:     41
    .vgpr_spill_count: 0
    .wavefront_size: 64
  - .agpr_count:     0
    .args:
      - .offset:         0
        .size:           48
        .value_kind:     by_value
    .group_segment_fixed_size: 0
    .kernarg_segment_align: 8
    .kernarg_segment_size: 48
    .language:       OpenCL C
    .language_version:
      - 2
      - 0
    .max_flat_workgroup_size: 256
    .name:           _ZN7rocprim17ROCPRIM_400000_NS6detail17trampoline_kernelINS0_14default_configENS1_20scan_config_selectorIyEEZZNS1_9scan_implILNS1_25lookback_scan_determinismE0ELb0ELb0ES3_N6thrust23THRUST_200600_302600_NS6detail15normal_iteratorINS9_10device_ptrIyEEEENS9_16discard_iteratorINS9_11use_defaultEEEyNS9_4plusIvEEyEEDaPvRmT3_T4_T5_mT6_P12ihipStream_tbENKUlT_T0_E_clISt17integral_constantIbLb1EESX_EEDaSS_ST_EUlSS_E0_NS1_11comp_targetILNS1_3genE3ELNS1_11target_archE908ELNS1_3gpuE7ELNS1_3repE0EEENS1_30default_config_static_selectorELNS0_4arch9wavefront6targetE1EEEvT1_
    .private_segment_fixed_size: 0
    .sgpr_count:     4
    .sgpr_spill_count: 0
    .symbol:         _ZN7rocprim17ROCPRIM_400000_NS6detail17trampoline_kernelINS0_14default_configENS1_20scan_config_selectorIyEEZZNS1_9scan_implILNS1_25lookback_scan_determinismE0ELb0ELb0ES3_N6thrust23THRUST_200600_302600_NS6detail15normal_iteratorINS9_10device_ptrIyEEEENS9_16discard_iteratorINS9_11use_defaultEEEyNS9_4plusIvEEyEEDaPvRmT3_T4_T5_mT6_P12ihipStream_tbENKUlT_T0_E_clISt17integral_constantIbLb1EESX_EEDaSS_ST_EUlSS_E0_NS1_11comp_targetILNS1_3genE3ELNS1_11target_archE908ELNS1_3gpuE7ELNS1_3repE0EEENS1_30default_config_static_selectorELNS0_4arch9wavefront6targetE1EEEvT1_.kd
    .uniform_work_group_size: 1
    .uses_dynamic_stack: false
    .vgpr_count:     0
    .vgpr_spill_count: 0
    .wavefront_size: 64
  - .agpr_count:     0
    .args:
      - .offset:         0
        .size:           48
        .value_kind:     by_value
    .group_segment_fixed_size: 0
    .kernarg_segment_align: 8
    .kernarg_segment_size: 48
    .language:       OpenCL C
    .language_version:
      - 2
      - 0
    .max_flat_workgroup_size: 64
    .name:           _ZN7rocprim17ROCPRIM_400000_NS6detail17trampoline_kernelINS0_14default_configENS1_20scan_config_selectorIyEEZZNS1_9scan_implILNS1_25lookback_scan_determinismE0ELb0ELb0ES3_N6thrust23THRUST_200600_302600_NS6detail15normal_iteratorINS9_10device_ptrIyEEEENS9_16discard_iteratorINS9_11use_defaultEEEyNS9_4plusIvEEyEEDaPvRmT3_T4_T5_mT6_P12ihipStream_tbENKUlT_T0_E_clISt17integral_constantIbLb1EESX_EEDaSS_ST_EUlSS_E0_NS1_11comp_targetILNS1_3genE2ELNS1_11target_archE906ELNS1_3gpuE6ELNS1_3repE0EEENS1_30default_config_static_selectorELNS0_4arch9wavefront6targetE1EEEvT1_
    .private_segment_fixed_size: 0
    .sgpr_count:     4
    .sgpr_spill_count: 0
    .symbol:         _ZN7rocprim17ROCPRIM_400000_NS6detail17trampoline_kernelINS0_14default_configENS1_20scan_config_selectorIyEEZZNS1_9scan_implILNS1_25lookback_scan_determinismE0ELb0ELb0ES3_N6thrust23THRUST_200600_302600_NS6detail15normal_iteratorINS9_10device_ptrIyEEEENS9_16discard_iteratorINS9_11use_defaultEEEyNS9_4plusIvEEyEEDaPvRmT3_T4_T5_mT6_P12ihipStream_tbENKUlT_T0_E_clISt17integral_constantIbLb1EESX_EEDaSS_ST_EUlSS_E0_NS1_11comp_targetILNS1_3genE2ELNS1_11target_archE906ELNS1_3gpuE6ELNS1_3repE0EEENS1_30default_config_static_selectorELNS0_4arch9wavefront6targetE1EEEvT1_.kd
    .uniform_work_group_size: 1
    .uses_dynamic_stack: false
    .vgpr_count:     0
    .vgpr_spill_count: 0
    .wavefront_size: 64
  - .agpr_count:     0
    .args:
      - .offset:         0
        .size:           48
        .value_kind:     by_value
    .group_segment_fixed_size: 0
    .kernarg_segment_align: 8
    .kernarg_segment_size: 48
    .language:       OpenCL C
    .language_version:
      - 2
      - 0
    .max_flat_workgroup_size: 256
    .name:           _ZN7rocprim17ROCPRIM_400000_NS6detail17trampoline_kernelINS0_14default_configENS1_20scan_config_selectorIyEEZZNS1_9scan_implILNS1_25lookback_scan_determinismE0ELb0ELb0ES3_N6thrust23THRUST_200600_302600_NS6detail15normal_iteratorINS9_10device_ptrIyEEEENS9_16discard_iteratorINS9_11use_defaultEEEyNS9_4plusIvEEyEEDaPvRmT3_T4_T5_mT6_P12ihipStream_tbENKUlT_T0_E_clISt17integral_constantIbLb1EESX_EEDaSS_ST_EUlSS_E0_NS1_11comp_targetILNS1_3genE10ELNS1_11target_archE1201ELNS1_3gpuE5ELNS1_3repE0EEENS1_30default_config_static_selectorELNS0_4arch9wavefront6targetE1EEEvT1_
    .private_segment_fixed_size: 0
    .sgpr_count:     4
    .sgpr_spill_count: 0
    .symbol:         _ZN7rocprim17ROCPRIM_400000_NS6detail17trampoline_kernelINS0_14default_configENS1_20scan_config_selectorIyEEZZNS1_9scan_implILNS1_25lookback_scan_determinismE0ELb0ELb0ES3_N6thrust23THRUST_200600_302600_NS6detail15normal_iteratorINS9_10device_ptrIyEEEENS9_16discard_iteratorINS9_11use_defaultEEEyNS9_4plusIvEEyEEDaPvRmT3_T4_T5_mT6_P12ihipStream_tbENKUlT_T0_E_clISt17integral_constantIbLb1EESX_EEDaSS_ST_EUlSS_E0_NS1_11comp_targetILNS1_3genE10ELNS1_11target_archE1201ELNS1_3gpuE5ELNS1_3repE0EEENS1_30default_config_static_selectorELNS0_4arch9wavefront6targetE1EEEvT1_.kd
    .uniform_work_group_size: 1
    .uses_dynamic_stack: false
    .vgpr_count:     0
    .vgpr_spill_count: 0
    .wavefront_size: 64
  - .agpr_count:     0
    .args:
      - .offset:         0
        .size:           48
        .value_kind:     by_value
    .group_segment_fixed_size: 0
    .kernarg_segment_align: 8
    .kernarg_segment_size: 48
    .language:       OpenCL C
    .language_version:
      - 2
      - 0
    .max_flat_workgroup_size: 256
    .name:           _ZN7rocprim17ROCPRIM_400000_NS6detail17trampoline_kernelINS0_14default_configENS1_20scan_config_selectorIyEEZZNS1_9scan_implILNS1_25lookback_scan_determinismE0ELb0ELb0ES3_N6thrust23THRUST_200600_302600_NS6detail15normal_iteratorINS9_10device_ptrIyEEEENS9_16discard_iteratorINS9_11use_defaultEEEyNS9_4plusIvEEyEEDaPvRmT3_T4_T5_mT6_P12ihipStream_tbENKUlT_T0_E_clISt17integral_constantIbLb1EESX_EEDaSS_ST_EUlSS_E0_NS1_11comp_targetILNS1_3genE10ELNS1_11target_archE1200ELNS1_3gpuE4ELNS1_3repE0EEENS1_30default_config_static_selectorELNS0_4arch9wavefront6targetE1EEEvT1_
    .private_segment_fixed_size: 0
    .sgpr_count:     4
    .sgpr_spill_count: 0
    .symbol:         _ZN7rocprim17ROCPRIM_400000_NS6detail17trampoline_kernelINS0_14default_configENS1_20scan_config_selectorIyEEZZNS1_9scan_implILNS1_25lookback_scan_determinismE0ELb0ELb0ES3_N6thrust23THRUST_200600_302600_NS6detail15normal_iteratorINS9_10device_ptrIyEEEENS9_16discard_iteratorINS9_11use_defaultEEEyNS9_4plusIvEEyEEDaPvRmT3_T4_T5_mT6_P12ihipStream_tbENKUlT_T0_E_clISt17integral_constantIbLb1EESX_EEDaSS_ST_EUlSS_E0_NS1_11comp_targetILNS1_3genE10ELNS1_11target_archE1200ELNS1_3gpuE4ELNS1_3repE0EEENS1_30default_config_static_selectorELNS0_4arch9wavefront6targetE1EEEvT1_.kd
    .uniform_work_group_size: 1
    .uses_dynamic_stack: false
    .vgpr_count:     0
    .vgpr_spill_count: 0
    .wavefront_size: 64
  - .agpr_count:     0
    .args:
      - .offset:         0
        .size:           48
        .value_kind:     by_value
    .group_segment_fixed_size: 0
    .kernarg_segment_align: 8
    .kernarg_segment_size: 48
    .language:       OpenCL C
    .language_version:
      - 2
      - 0
    .max_flat_workgroup_size: 256
    .name:           _ZN7rocprim17ROCPRIM_400000_NS6detail17trampoline_kernelINS0_14default_configENS1_20scan_config_selectorIyEEZZNS1_9scan_implILNS1_25lookback_scan_determinismE0ELb0ELb0ES3_N6thrust23THRUST_200600_302600_NS6detail15normal_iteratorINS9_10device_ptrIyEEEENS9_16discard_iteratorINS9_11use_defaultEEEyNS9_4plusIvEEyEEDaPvRmT3_T4_T5_mT6_P12ihipStream_tbENKUlT_T0_E_clISt17integral_constantIbLb1EESX_EEDaSS_ST_EUlSS_E0_NS1_11comp_targetILNS1_3genE9ELNS1_11target_archE1100ELNS1_3gpuE3ELNS1_3repE0EEENS1_30default_config_static_selectorELNS0_4arch9wavefront6targetE1EEEvT1_
    .private_segment_fixed_size: 0
    .sgpr_count:     4
    .sgpr_spill_count: 0
    .symbol:         _ZN7rocprim17ROCPRIM_400000_NS6detail17trampoline_kernelINS0_14default_configENS1_20scan_config_selectorIyEEZZNS1_9scan_implILNS1_25lookback_scan_determinismE0ELb0ELb0ES3_N6thrust23THRUST_200600_302600_NS6detail15normal_iteratorINS9_10device_ptrIyEEEENS9_16discard_iteratorINS9_11use_defaultEEEyNS9_4plusIvEEyEEDaPvRmT3_T4_T5_mT6_P12ihipStream_tbENKUlT_T0_E_clISt17integral_constantIbLb1EESX_EEDaSS_ST_EUlSS_E0_NS1_11comp_targetILNS1_3genE9ELNS1_11target_archE1100ELNS1_3gpuE3ELNS1_3repE0EEENS1_30default_config_static_selectorELNS0_4arch9wavefront6targetE1EEEvT1_.kd
    .uniform_work_group_size: 1
    .uses_dynamic_stack: false
    .vgpr_count:     0
    .vgpr_spill_count: 0
    .wavefront_size: 64
  - .agpr_count:     0
    .args:
      - .offset:         0
        .size:           48
        .value_kind:     by_value
    .group_segment_fixed_size: 0
    .kernarg_segment_align: 8
    .kernarg_segment_size: 48
    .language:       OpenCL C
    .language_version:
      - 2
      - 0
    .max_flat_workgroup_size: 256
    .name:           _ZN7rocprim17ROCPRIM_400000_NS6detail17trampoline_kernelINS0_14default_configENS1_20scan_config_selectorIyEEZZNS1_9scan_implILNS1_25lookback_scan_determinismE0ELb0ELb0ES3_N6thrust23THRUST_200600_302600_NS6detail15normal_iteratorINS9_10device_ptrIyEEEENS9_16discard_iteratorINS9_11use_defaultEEEyNS9_4plusIvEEyEEDaPvRmT3_T4_T5_mT6_P12ihipStream_tbENKUlT_T0_E_clISt17integral_constantIbLb1EESX_EEDaSS_ST_EUlSS_E0_NS1_11comp_targetILNS1_3genE8ELNS1_11target_archE1030ELNS1_3gpuE2ELNS1_3repE0EEENS1_30default_config_static_selectorELNS0_4arch9wavefront6targetE1EEEvT1_
    .private_segment_fixed_size: 0
    .sgpr_count:     4
    .sgpr_spill_count: 0
    .symbol:         _ZN7rocprim17ROCPRIM_400000_NS6detail17trampoline_kernelINS0_14default_configENS1_20scan_config_selectorIyEEZZNS1_9scan_implILNS1_25lookback_scan_determinismE0ELb0ELb0ES3_N6thrust23THRUST_200600_302600_NS6detail15normal_iteratorINS9_10device_ptrIyEEEENS9_16discard_iteratorINS9_11use_defaultEEEyNS9_4plusIvEEyEEDaPvRmT3_T4_T5_mT6_P12ihipStream_tbENKUlT_T0_E_clISt17integral_constantIbLb1EESX_EEDaSS_ST_EUlSS_E0_NS1_11comp_targetILNS1_3genE8ELNS1_11target_archE1030ELNS1_3gpuE2ELNS1_3repE0EEENS1_30default_config_static_selectorELNS0_4arch9wavefront6targetE1EEEvT1_.kd
    .uniform_work_group_size: 1
    .uses_dynamic_stack: false
    .vgpr_count:     0
    .vgpr_spill_count: 0
    .wavefront_size: 64
  - .agpr_count:     0
    .args:
      - .offset:         0
        .size:           112
        .value_kind:     by_value
    .group_segment_fixed_size: 0
    .kernarg_segment_align: 8
    .kernarg_segment_size: 112
    .language:       OpenCL C
    .language_version:
      - 2
      - 0
    .max_flat_workgroup_size: 256
    .name:           _ZN7rocprim17ROCPRIM_400000_NS6detail17trampoline_kernelINS0_14default_configENS1_20scan_config_selectorIyEEZZNS1_9scan_implILNS1_25lookback_scan_determinismE0ELb0ELb0ES3_N6thrust23THRUST_200600_302600_NS6detail15normal_iteratorINS9_10device_ptrIyEEEENS9_16discard_iteratorINS9_11use_defaultEEEyNS9_4plusIvEEyEEDaPvRmT3_T4_T5_mT6_P12ihipStream_tbENKUlT_T0_E_clISt17integral_constantIbLb1EESW_IbLb0EEEEDaSS_ST_EUlSS_E_NS1_11comp_targetILNS1_3genE0ELNS1_11target_archE4294967295ELNS1_3gpuE0ELNS1_3repE0EEENS1_30default_config_static_selectorELNS0_4arch9wavefront6targetE1EEEvT1_
    .private_segment_fixed_size: 0
    .sgpr_count:     4
    .sgpr_spill_count: 0
    .symbol:         _ZN7rocprim17ROCPRIM_400000_NS6detail17trampoline_kernelINS0_14default_configENS1_20scan_config_selectorIyEEZZNS1_9scan_implILNS1_25lookback_scan_determinismE0ELb0ELb0ES3_N6thrust23THRUST_200600_302600_NS6detail15normal_iteratorINS9_10device_ptrIyEEEENS9_16discard_iteratorINS9_11use_defaultEEEyNS9_4plusIvEEyEEDaPvRmT3_T4_T5_mT6_P12ihipStream_tbENKUlT_T0_E_clISt17integral_constantIbLb1EESW_IbLb0EEEEDaSS_ST_EUlSS_E_NS1_11comp_targetILNS1_3genE0ELNS1_11target_archE4294967295ELNS1_3gpuE0ELNS1_3repE0EEENS1_30default_config_static_selectorELNS0_4arch9wavefront6targetE1EEEvT1_.kd
    .uniform_work_group_size: 1
    .uses_dynamic_stack: false
    .vgpr_count:     0
    .vgpr_spill_count: 0
    .wavefront_size: 64
  - .agpr_count:     0
    .args:
      - .offset:         0
        .size:           112
        .value_kind:     by_value
    .group_segment_fixed_size: 0
    .kernarg_segment_align: 8
    .kernarg_segment_size: 112
    .language:       OpenCL C
    .language_version:
      - 2
      - 0
    .max_flat_workgroup_size: 256
    .name:           _ZN7rocprim17ROCPRIM_400000_NS6detail17trampoline_kernelINS0_14default_configENS1_20scan_config_selectorIyEEZZNS1_9scan_implILNS1_25lookback_scan_determinismE0ELb0ELb0ES3_N6thrust23THRUST_200600_302600_NS6detail15normal_iteratorINS9_10device_ptrIyEEEENS9_16discard_iteratorINS9_11use_defaultEEEyNS9_4plusIvEEyEEDaPvRmT3_T4_T5_mT6_P12ihipStream_tbENKUlT_T0_E_clISt17integral_constantIbLb1EESW_IbLb0EEEEDaSS_ST_EUlSS_E_NS1_11comp_targetILNS1_3genE5ELNS1_11target_archE942ELNS1_3gpuE9ELNS1_3repE0EEENS1_30default_config_static_selectorELNS0_4arch9wavefront6targetE1EEEvT1_
    .private_segment_fixed_size: 0
    .sgpr_count:     4
    .sgpr_spill_count: 0
    .symbol:         _ZN7rocprim17ROCPRIM_400000_NS6detail17trampoline_kernelINS0_14default_configENS1_20scan_config_selectorIyEEZZNS1_9scan_implILNS1_25lookback_scan_determinismE0ELb0ELb0ES3_N6thrust23THRUST_200600_302600_NS6detail15normal_iteratorINS9_10device_ptrIyEEEENS9_16discard_iteratorINS9_11use_defaultEEEyNS9_4plusIvEEyEEDaPvRmT3_T4_T5_mT6_P12ihipStream_tbENKUlT_T0_E_clISt17integral_constantIbLb1EESW_IbLb0EEEEDaSS_ST_EUlSS_E_NS1_11comp_targetILNS1_3genE5ELNS1_11target_archE942ELNS1_3gpuE9ELNS1_3repE0EEENS1_30default_config_static_selectorELNS0_4arch9wavefront6targetE1EEEvT1_.kd
    .uniform_work_group_size: 1
    .uses_dynamic_stack: false
    .vgpr_count:     0
    .vgpr_spill_count: 0
    .wavefront_size: 64
  - .agpr_count:     0
    .args:
      - .offset:         0
        .size:           112
        .value_kind:     by_value
    .group_segment_fixed_size: 7168
    .kernarg_segment_align: 8
    .kernarg_segment_size: 112
    .language:       OpenCL C
    .language_version:
      - 2
      - 0
    .max_flat_workgroup_size: 128
    .name:           _ZN7rocprim17ROCPRIM_400000_NS6detail17trampoline_kernelINS0_14default_configENS1_20scan_config_selectorIyEEZZNS1_9scan_implILNS1_25lookback_scan_determinismE0ELb0ELb0ES3_N6thrust23THRUST_200600_302600_NS6detail15normal_iteratorINS9_10device_ptrIyEEEENS9_16discard_iteratorINS9_11use_defaultEEEyNS9_4plusIvEEyEEDaPvRmT3_T4_T5_mT6_P12ihipStream_tbENKUlT_T0_E_clISt17integral_constantIbLb1EESW_IbLb0EEEEDaSS_ST_EUlSS_E_NS1_11comp_targetILNS1_3genE4ELNS1_11target_archE910ELNS1_3gpuE8ELNS1_3repE0EEENS1_30default_config_static_selectorELNS0_4arch9wavefront6targetE1EEEvT1_
    .private_segment_fixed_size: 0
    .sgpr_count:     26
    .sgpr_spill_count: 0
    .symbol:         _ZN7rocprim17ROCPRIM_400000_NS6detail17trampoline_kernelINS0_14default_configENS1_20scan_config_selectorIyEEZZNS1_9scan_implILNS1_25lookback_scan_determinismE0ELb0ELb0ES3_N6thrust23THRUST_200600_302600_NS6detail15normal_iteratorINS9_10device_ptrIyEEEENS9_16discard_iteratorINS9_11use_defaultEEEyNS9_4plusIvEEyEEDaPvRmT3_T4_T5_mT6_P12ihipStream_tbENKUlT_T0_E_clISt17integral_constantIbLb1EESW_IbLb0EEEEDaSS_ST_EUlSS_E_NS1_11comp_targetILNS1_3genE4ELNS1_11target_archE910ELNS1_3gpuE8ELNS1_3repE0EEENS1_30default_config_static_selectorELNS0_4arch9wavefront6targetE1EEEvT1_.kd
    .uniform_work_group_size: 1
    .uses_dynamic_stack: false
    .vgpr_count:     50
    .vgpr_spill_count: 0
    .wavefront_size: 64
  - .agpr_count:     0
    .args:
      - .offset:         0
        .size:           112
        .value_kind:     by_value
    .group_segment_fixed_size: 0
    .kernarg_segment_align: 8
    .kernarg_segment_size: 112
    .language:       OpenCL C
    .language_version:
      - 2
      - 0
    .max_flat_workgroup_size: 256
    .name:           _ZN7rocprim17ROCPRIM_400000_NS6detail17trampoline_kernelINS0_14default_configENS1_20scan_config_selectorIyEEZZNS1_9scan_implILNS1_25lookback_scan_determinismE0ELb0ELb0ES3_N6thrust23THRUST_200600_302600_NS6detail15normal_iteratorINS9_10device_ptrIyEEEENS9_16discard_iteratorINS9_11use_defaultEEEyNS9_4plusIvEEyEEDaPvRmT3_T4_T5_mT6_P12ihipStream_tbENKUlT_T0_E_clISt17integral_constantIbLb1EESW_IbLb0EEEEDaSS_ST_EUlSS_E_NS1_11comp_targetILNS1_3genE3ELNS1_11target_archE908ELNS1_3gpuE7ELNS1_3repE0EEENS1_30default_config_static_selectorELNS0_4arch9wavefront6targetE1EEEvT1_
    .private_segment_fixed_size: 0
    .sgpr_count:     4
    .sgpr_spill_count: 0
    .symbol:         _ZN7rocprim17ROCPRIM_400000_NS6detail17trampoline_kernelINS0_14default_configENS1_20scan_config_selectorIyEEZZNS1_9scan_implILNS1_25lookback_scan_determinismE0ELb0ELb0ES3_N6thrust23THRUST_200600_302600_NS6detail15normal_iteratorINS9_10device_ptrIyEEEENS9_16discard_iteratorINS9_11use_defaultEEEyNS9_4plusIvEEyEEDaPvRmT3_T4_T5_mT6_P12ihipStream_tbENKUlT_T0_E_clISt17integral_constantIbLb1EESW_IbLb0EEEEDaSS_ST_EUlSS_E_NS1_11comp_targetILNS1_3genE3ELNS1_11target_archE908ELNS1_3gpuE7ELNS1_3repE0EEENS1_30default_config_static_selectorELNS0_4arch9wavefront6targetE1EEEvT1_.kd
    .uniform_work_group_size: 1
    .uses_dynamic_stack: false
    .vgpr_count:     0
    .vgpr_spill_count: 0
    .wavefront_size: 64
  - .agpr_count:     0
    .args:
      - .offset:         0
        .size:           112
        .value_kind:     by_value
    .group_segment_fixed_size: 0
    .kernarg_segment_align: 8
    .kernarg_segment_size: 112
    .language:       OpenCL C
    .language_version:
      - 2
      - 0
    .max_flat_workgroup_size: 64
    .name:           _ZN7rocprim17ROCPRIM_400000_NS6detail17trampoline_kernelINS0_14default_configENS1_20scan_config_selectorIyEEZZNS1_9scan_implILNS1_25lookback_scan_determinismE0ELb0ELb0ES3_N6thrust23THRUST_200600_302600_NS6detail15normal_iteratorINS9_10device_ptrIyEEEENS9_16discard_iteratorINS9_11use_defaultEEEyNS9_4plusIvEEyEEDaPvRmT3_T4_T5_mT6_P12ihipStream_tbENKUlT_T0_E_clISt17integral_constantIbLb1EESW_IbLb0EEEEDaSS_ST_EUlSS_E_NS1_11comp_targetILNS1_3genE2ELNS1_11target_archE906ELNS1_3gpuE6ELNS1_3repE0EEENS1_30default_config_static_selectorELNS0_4arch9wavefront6targetE1EEEvT1_
    .private_segment_fixed_size: 0
    .sgpr_count:     4
    .sgpr_spill_count: 0
    .symbol:         _ZN7rocprim17ROCPRIM_400000_NS6detail17trampoline_kernelINS0_14default_configENS1_20scan_config_selectorIyEEZZNS1_9scan_implILNS1_25lookback_scan_determinismE0ELb0ELb0ES3_N6thrust23THRUST_200600_302600_NS6detail15normal_iteratorINS9_10device_ptrIyEEEENS9_16discard_iteratorINS9_11use_defaultEEEyNS9_4plusIvEEyEEDaPvRmT3_T4_T5_mT6_P12ihipStream_tbENKUlT_T0_E_clISt17integral_constantIbLb1EESW_IbLb0EEEEDaSS_ST_EUlSS_E_NS1_11comp_targetILNS1_3genE2ELNS1_11target_archE906ELNS1_3gpuE6ELNS1_3repE0EEENS1_30default_config_static_selectorELNS0_4arch9wavefront6targetE1EEEvT1_.kd
    .uniform_work_group_size: 1
    .uses_dynamic_stack: false
    .vgpr_count:     0
    .vgpr_spill_count: 0
    .wavefront_size: 64
  - .agpr_count:     0
    .args:
      - .offset:         0
        .size:           112
        .value_kind:     by_value
    .group_segment_fixed_size: 0
    .kernarg_segment_align: 8
    .kernarg_segment_size: 112
    .language:       OpenCL C
    .language_version:
      - 2
      - 0
    .max_flat_workgroup_size: 256
    .name:           _ZN7rocprim17ROCPRIM_400000_NS6detail17trampoline_kernelINS0_14default_configENS1_20scan_config_selectorIyEEZZNS1_9scan_implILNS1_25lookback_scan_determinismE0ELb0ELb0ES3_N6thrust23THRUST_200600_302600_NS6detail15normal_iteratorINS9_10device_ptrIyEEEENS9_16discard_iteratorINS9_11use_defaultEEEyNS9_4plusIvEEyEEDaPvRmT3_T4_T5_mT6_P12ihipStream_tbENKUlT_T0_E_clISt17integral_constantIbLb1EESW_IbLb0EEEEDaSS_ST_EUlSS_E_NS1_11comp_targetILNS1_3genE10ELNS1_11target_archE1201ELNS1_3gpuE5ELNS1_3repE0EEENS1_30default_config_static_selectorELNS0_4arch9wavefront6targetE1EEEvT1_
    .private_segment_fixed_size: 0
    .sgpr_count:     4
    .sgpr_spill_count: 0
    .symbol:         _ZN7rocprim17ROCPRIM_400000_NS6detail17trampoline_kernelINS0_14default_configENS1_20scan_config_selectorIyEEZZNS1_9scan_implILNS1_25lookback_scan_determinismE0ELb0ELb0ES3_N6thrust23THRUST_200600_302600_NS6detail15normal_iteratorINS9_10device_ptrIyEEEENS9_16discard_iteratorINS9_11use_defaultEEEyNS9_4plusIvEEyEEDaPvRmT3_T4_T5_mT6_P12ihipStream_tbENKUlT_T0_E_clISt17integral_constantIbLb1EESW_IbLb0EEEEDaSS_ST_EUlSS_E_NS1_11comp_targetILNS1_3genE10ELNS1_11target_archE1201ELNS1_3gpuE5ELNS1_3repE0EEENS1_30default_config_static_selectorELNS0_4arch9wavefront6targetE1EEEvT1_.kd
    .uniform_work_group_size: 1
    .uses_dynamic_stack: false
    .vgpr_count:     0
    .vgpr_spill_count: 0
    .wavefront_size: 64
  - .agpr_count:     0
    .args:
      - .offset:         0
        .size:           112
        .value_kind:     by_value
    .group_segment_fixed_size: 0
    .kernarg_segment_align: 8
    .kernarg_segment_size: 112
    .language:       OpenCL C
    .language_version:
      - 2
      - 0
    .max_flat_workgroup_size: 256
    .name:           _ZN7rocprim17ROCPRIM_400000_NS6detail17trampoline_kernelINS0_14default_configENS1_20scan_config_selectorIyEEZZNS1_9scan_implILNS1_25lookback_scan_determinismE0ELb0ELb0ES3_N6thrust23THRUST_200600_302600_NS6detail15normal_iteratorINS9_10device_ptrIyEEEENS9_16discard_iteratorINS9_11use_defaultEEEyNS9_4plusIvEEyEEDaPvRmT3_T4_T5_mT6_P12ihipStream_tbENKUlT_T0_E_clISt17integral_constantIbLb1EESW_IbLb0EEEEDaSS_ST_EUlSS_E_NS1_11comp_targetILNS1_3genE10ELNS1_11target_archE1200ELNS1_3gpuE4ELNS1_3repE0EEENS1_30default_config_static_selectorELNS0_4arch9wavefront6targetE1EEEvT1_
    .private_segment_fixed_size: 0
    .sgpr_count:     4
    .sgpr_spill_count: 0
    .symbol:         _ZN7rocprim17ROCPRIM_400000_NS6detail17trampoline_kernelINS0_14default_configENS1_20scan_config_selectorIyEEZZNS1_9scan_implILNS1_25lookback_scan_determinismE0ELb0ELb0ES3_N6thrust23THRUST_200600_302600_NS6detail15normal_iteratorINS9_10device_ptrIyEEEENS9_16discard_iteratorINS9_11use_defaultEEEyNS9_4plusIvEEyEEDaPvRmT3_T4_T5_mT6_P12ihipStream_tbENKUlT_T0_E_clISt17integral_constantIbLb1EESW_IbLb0EEEEDaSS_ST_EUlSS_E_NS1_11comp_targetILNS1_3genE10ELNS1_11target_archE1200ELNS1_3gpuE4ELNS1_3repE0EEENS1_30default_config_static_selectorELNS0_4arch9wavefront6targetE1EEEvT1_.kd
    .uniform_work_group_size: 1
    .uses_dynamic_stack: false
    .vgpr_count:     0
    .vgpr_spill_count: 0
    .wavefront_size: 64
  - .agpr_count:     0
    .args:
      - .offset:         0
        .size:           112
        .value_kind:     by_value
    .group_segment_fixed_size: 0
    .kernarg_segment_align: 8
    .kernarg_segment_size: 112
    .language:       OpenCL C
    .language_version:
      - 2
      - 0
    .max_flat_workgroup_size: 256
    .name:           _ZN7rocprim17ROCPRIM_400000_NS6detail17trampoline_kernelINS0_14default_configENS1_20scan_config_selectorIyEEZZNS1_9scan_implILNS1_25lookback_scan_determinismE0ELb0ELb0ES3_N6thrust23THRUST_200600_302600_NS6detail15normal_iteratorINS9_10device_ptrIyEEEENS9_16discard_iteratorINS9_11use_defaultEEEyNS9_4plusIvEEyEEDaPvRmT3_T4_T5_mT6_P12ihipStream_tbENKUlT_T0_E_clISt17integral_constantIbLb1EESW_IbLb0EEEEDaSS_ST_EUlSS_E_NS1_11comp_targetILNS1_3genE9ELNS1_11target_archE1100ELNS1_3gpuE3ELNS1_3repE0EEENS1_30default_config_static_selectorELNS0_4arch9wavefront6targetE1EEEvT1_
    .private_segment_fixed_size: 0
    .sgpr_count:     4
    .sgpr_spill_count: 0
    .symbol:         _ZN7rocprim17ROCPRIM_400000_NS6detail17trampoline_kernelINS0_14default_configENS1_20scan_config_selectorIyEEZZNS1_9scan_implILNS1_25lookback_scan_determinismE0ELb0ELb0ES3_N6thrust23THRUST_200600_302600_NS6detail15normal_iteratorINS9_10device_ptrIyEEEENS9_16discard_iteratorINS9_11use_defaultEEEyNS9_4plusIvEEyEEDaPvRmT3_T4_T5_mT6_P12ihipStream_tbENKUlT_T0_E_clISt17integral_constantIbLb1EESW_IbLb0EEEEDaSS_ST_EUlSS_E_NS1_11comp_targetILNS1_3genE9ELNS1_11target_archE1100ELNS1_3gpuE3ELNS1_3repE0EEENS1_30default_config_static_selectorELNS0_4arch9wavefront6targetE1EEEvT1_.kd
    .uniform_work_group_size: 1
    .uses_dynamic_stack: false
    .vgpr_count:     0
    .vgpr_spill_count: 0
    .wavefront_size: 64
  - .agpr_count:     0
    .args:
      - .offset:         0
        .size:           112
        .value_kind:     by_value
    .group_segment_fixed_size: 0
    .kernarg_segment_align: 8
    .kernarg_segment_size: 112
    .language:       OpenCL C
    .language_version:
      - 2
      - 0
    .max_flat_workgroup_size: 256
    .name:           _ZN7rocprim17ROCPRIM_400000_NS6detail17trampoline_kernelINS0_14default_configENS1_20scan_config_selectorIyEEZZNS1_9scan_implILNS1_25lookback_scan_determinismE0ELb0ELb0ES3_N6thrust23THRUST_200600_302600_NS6detail15normal_iteratorINS9_10device_ptrIyEEEENS9_16discard_iteratorINS9_11use_defaultEEEyNS9_4plusIvEEyEEDaPvRmT3_T4_T5_mT6_P12ihipStream_tbENKUlT_T0_E_clISt17integral_constantIbLb1EESW_IbLb0EEEEDaSS_ST_EUlSS_E_NS1_11comp_targetILNS1_3genE8ELNS1_11target_archE1030ELNS1_3gpuE2ELNS1_3repE0EEENS1_30default_config_static_selectorELNS0_4arch9wavefront6targetE1EEEvT1_
    .private_segment_fixed_size: 0
    .sgpr_count:     4
    .sgpr_spill_count: 0
    .symbol:         _ZN7rocprim17ROCPRIM_400000_NS6detail17trampoline_kernelINS0_14default_configENS1_20scan_config_selectorIyEEZZNS1_9scan_implILNS1_25lookback_scan_determinismE0ELb0ELb0ES3_N6thrust23THRUST_200600_302600_NS6detail15normal_iteratorINS9_10device_ptrIyEEEENS9_16discard_iteratorINS9_11use_defaultEEEyNS9_4plusIvEEyEEDaPvRmT3_T4_T5_mT6_P12ihipStream_tbENKUlT_T0_E_clISt17integral_constantIbLb1EESW_IbLb0EEEEDaSS_ST_EUlSS_E_NS1_11comp_targetILNS1_3genE8ELNS1_11target_archE1030ELNS1_3gpuE2ELNS1_3repE0EEENS1_30default_config_static_selectorELNS0_4arch9wavefront6targetE1EEEvT1_.kd
    .uniform_work_group_size: 1
    .uses_dynamic_stack: false
    .vgpr_count:     0
    .vgpr_spill_count: 0
    .wavefront_size: 64
  - .agpr_count:     0
    .args:
      - .offset:         0
        .size:           48
        .value_kind:     by_value
    .group_segment_fixed_size: 0
    .kernarg_segment_align: 8
    .kernarg_segment_size: 48
    .language:       OpenCL C
    .language_version:
      - 2
      - 0
    .max_flat_workgroup_size: 256
    .name:           _ZN7rocprim17ROCPRIM_400000_NS6detail17trampoline_kernelINS0_14default_configENS1_20scan_config_selectorIyEEZZNS1_9scan_implILNS1_25lookback_scan_determinismE0ELb0ELb0ES3_N6thrust23THRUST_200600_302600_NS6detail15normal_iteratorINS9_10device_ptrIyEEEENS9_16discard_iteratorINS9_11use_defaultEEEyNS9_4plusIvEEyEEDaPvRmT3_T4_T5_mT6_P12ihipStream_tbENKUlT_T0_E_clISt17integral_constantIbLb1EESW_IbLb0EEEEDaSS_ST_EUlSS_E0_NS1_11comp_targetILNS1_3genE0ELNS1_11target_archE4294967295ELNS1_3gpuE0ELNS1_3repE0EEENS1_30default_config_static_selectorELNS0_4arch9wavefront6targetE1EEEvT1_
    .private_segment_fixed_size: 0
    .sgpr_count:     4
    .sgpr_spill_count: 0
    .symbol:         _ZN7rocprim17ROCPRIM_400000_NS6detail17trampoline_kernelINS0_14default_configENS1_20scan_config_selectorIyEEZZNS1_9scan_implILNS1_25lookback_scan_determinismE0ELb0ELb0ES3_N6thrust23THRUST_200600_302600_NS6detail15normal_iteratorINS9_10device_ptrIyEEEENS9_16discard_iteratorINS9_11use_defaultEEEyNS9_4plusIvEEyEEDaPvRmT3_T4_T5_mT6_P12ihipStream_tbENKUlT_T0_E_clISt17integral_constantIbLb1EESW_IbLb0EEEEDaSS_ST_EUlSS_E0_NS1_11comp_targetILNS1_3genE0ELNS1_11target_archE4294967295ELNS1_3gpuE0ELNS1_3repE0EEENS1_30default_config_static_selectorELNS0_4arch9wavefront6targetE1EEEvT1_.kd
    .uniform_work_group_size: 1
    .uses_dynamic_stack: false
    .vgpr_count:     0
    .vgpr_spill_count: 0
    .wavefront_size: 64
  - .agpr_count:     0
    .args:
      - .offset:         0
        .size:           48
        .value_kind:     by_value
    .group_segment_fixed_size: 0
    .kernarg_segment_align: 8
    .kernarg_segment_size: 48
    .language:       OpenCL C
    .language_version:
      - 2
      - 0
    .max_flat_workgroup_size: 256
    .name:           _ZN7rocprim17ROCPRIM_400000_NS6detail17trampoline_kernelINS0_14default_configENS1_20scan_config_selectorIyEEZZNS1_9scan_implILNS1_25lookback_scan_determinismE0ELb0ELb0ES3_N6thrust23THRUST_200600_302600_NS6detail15normal_iteratorINS9_10device_ptrIyEEEENS9_16discard_iteratorINS9_11use_defaultEEEyNS9_4plusIvEEyEEDaPvRmT3_T4_T5_mT6_P12ihipStream_tbENKUlT_T0_E_clISt17integral_constantIbLb1EESW_IbLb0EEEEDaSS_ST_EUlSS_E0_NS1_11comp_targetILNS1_3genE5ELNS1_11target_archE942ELNS1_3gpuE9ELNS1_3repE0EEENS1_30default_config_static_selectorELNS0_4arch9wavefront6targetE1EEEvT1_
    .private_segment_fixed_size: 0
    .sgpr_count:     4
    .sgpr_spill_count: 0
    .symbol:         _ZN7rocprim17ROCPRIM_400000_NS6detail17trampoline_kernelINS0_14default_configENS1_20scan_config_selectorIyEEZZNS1_9scan_implILNS1_25lookback_scan_determinismE0ELb0ELb0ES3_N6thrust23THRUST_200600_302600_NS6detail15normal_iteratorINS9_10device_ptrIyEEEENS9_16discard_iteratorINS9_11use_defaultEEEyNS9_4plusIvEEyEEDaPvRmT3_T4_T5_mT6_P12ihipStream_tbENKUlT_T0_E_clISt17integral_constantIbLb1EESW_IbLb0EEEEDaSS_ST_EUlSS_E0_NS1_11comp_targetILNS1_3genE5ELNS1_11target_archE942ELNS1_3gpuE9ELNS1_3repE0EEENS1_30default_config_static_selectorELNS0_4arch9wavefront6targetE1EEEvT1_.kd
    .uniform_work_group_size: 1
    .uses_dynamic_stack: false
    .vgpr_count:     0
    .vgpr_spill_count: 0
    .wavefront_size: 64
  - .agpr_count:     0
    .args:
      - .offset:         0
        .size:           48
        .value_kind:     by_value
    .group_segment_fixed_size: 7168
    .kernarg_segment_align: 8
    .kernarg_segment_size: 48
    .language:       OpenCL C
    .language_version:
      - 2
      - 0
    .max_flat_workgroup_size: 128
    .name:           _ZN7rocprim17ROCPRIM_400000_NS6detail17trampoline_kernelINS0_14default_configENS1_20scan_config_selectorIyEEZZNS1_9scan_implILNS1_25lookback_scan_determinismE0ELb0ELb0ES3_N6thrust23THRUST_200600_302600_NS6detail15normal_iteratorINS9_10device_ptrIyEEEENS9_16discard_iteratorINS9_11use_defaultEEEyNS9_4plusIvEEyEEDaPvRmT3_T4_T5_mT6_P12ihipStream_tbENKUlT_T0_E_clISt17integral_constantIbLb1EESW_IbLb0EEEEDaSS_ST_EUlSS_E0_NS1_11comp_targetILNS1_3genE4ELNS1_11target_archE910ELNS1_3gpuE8ELNS1_3repE0EEENS1_30default_config_static_selectorELNS0_4arch9wavefront6targetE1EEEvT1_
    .private_segment_fixed_size: 0
    .sgpr_count:     12
    .sgpr_spill_count: 0
    .symbol:         _ZN7rocprim17ROCPRIM_400000_NS6detail17trampoline_kernelINS0_14default_configENS1_20scan_config_selectorIyEEZZNS1_9scan_implILNS1_25lookback_scan_determinismE0ELb0ELb0ES3_N6thrust23THRUST_200600_302600_NS6detail15normal_iteratorINS9_10device_ptrIyEEEENS9_16discard_iteratorINS9_11use_defaultEEEyNS9_4plusIvEEyEEDaPvRmT3_T4_T5_mT6_P12ihipStream_tbENKUlT_T0_E_clISt17integral_constantIbLb1EESW_IbLb0EEEEDaSS_ST_EUlSS_E0_NS1_11comp_targetILNS1_3genE4ELNS1_11target_archE910ELNS1_3gpuE8ELNS1_3repE0EEENS1_30default_config_static_selectorELNS0_4arch9wavefront6targetE1EEEvT1_.kd
    .uniform_work_group_size: 1
    .uses_dynamic_stack: false
    .vgpr_count:     41
    .vgpr_spill_count: 0
    .wavefront_size: 64
  - .agpr_count:     0
    .args:
      - .offset:         0
        .size:           48
        .value_kind:     by_value
    .group_segment_fixed_size: 0
    .kernarg_segment_align: 8
    .kernarg_segment_size: 48
    .language:       OpenCL C
    .language_version:
      - 2
      - 0
    .max_flat_workgroup_size: 256
    .name:           _ZN7rocprim17ROCPRIM_400000_NS6detail17trampoline_kernelINS0_14default_configENS1_20scan_config_selectorIyEEZZNS1_9scan_implILNS1_25lookback_scan_determinismE0ELb0ELb0ES3_N6thrust23THRUST_200600_302600_NS6detail15normal_iteratorINS9_10device_ptrIyEEEENS9_16discard_iteratorINS9_11use_defaultEEEyNS9_4plusIvEEyEEDaPvRmT3_T4_T5_mT6_P12ihipStream_tbENKUlT_T0_E_clISt17integral_constantIbLb1EESW_IbLb0EEEEDaSS_ST_EUlSS_E0_NS1_11comp_targetILNS1_3genE3ELNS1_11target_archE908ELNS1_3gpuE7ELNS1_3repE0EEENS1_30default_config_static_selectorELNS0_4arch9wavefront6targetE1EEEvT1_
    .private_segment_fixed_size: 0
    .sgpr_count:     4
    .sgpr_spill_count: 0
    .symbol:         _ZN7rocprim17ROCPRIM_400000_NS6detail17trampoline_kernelINS0_14default_configENS1_20scan_config_selectorIyEEZZNS1_9scan_implILNS1_25lookback_scan_determinismE0ELb0ELb0ES3_N6thrust23THRUST_200600_302600_NS6detail15normal_iteratorINS9_10device_ptrIyEEEENS9_16discard_iteratorINS9_11use_defaultEEEyNS9_4plusIvEEyEEDaPvRmT3_T4_T5_mT6_P12ihipStream_tbENKUlT_T0_E_clISt17integral_constantIbLb1EESW_IbLb0EEEEDaSS_ST_EUlSS_E0_NS1_11comp_targetILNS1_3genE3ELNS1_11target_archE908ELNS1_3gpuE7ELNS1_3repE0EEENS1_30default_config_static_selectorELNS0_4arch9wavefront6targetE1EEEvT1_.kd
    .uniform_work_group_size: 1
    .uses_dynamic_stack: false
    .vgpr_count:     0
    .vgpr_spill_count: 0
    .wavefront_size: 64
  - .agpr_count:     0
    .args:
      - .offset:         0
        .size:           48
        .value_kind:     by_value
    .group_segment_fixed_size: 0
    .kernarg_segment_align: 8
    .kernarg_segment_size: 48
    .language:       OpenCL C
    .language_version:
      - 2
      - 0
    .max_flat_workgroup_size: 64
    .name:           _ZN7rocprim17ROCPRIM_400000_NS6detail17trampoline_kernelINS0_14default_configENS1_20scan_config_selectorIyEEZZNS1_9scan_implILNS1_25lookback_scan_determinismE0ELb0ELb0ES3_N6thrust23THRUST_200600_302600_NS6detail15normal_iteratorINS9_10device_ptrIyEEEENS9_16discard_iteratorINS9_11use_defaultEEEyNS9_4plusIvEEyEEDaPvRmT3_T4_T5_mT6_P12ihipStream_tbENKUlT_T0_E_clISt17integral_constantIbLb1EESW_IbLb0EEEEDaSS_ST_EUlSS_E0_NS1_11comp_targetILNS1_3genE2ELNS1_11target_archE906ELNS1_3gpuE6ELNS1_3repE0EEENS1_30default_config_static_selectorELNS0_4arch9wavefront6targetE1EEEvT1_
    .private_segment_fixed_size: 0
    .sgpr_count:     4
    .sgpr_spill_count: 0
    .symbol:         _ZN7rocprim17ROCPRIM_400000_NS6detail17trampoline_kernelINS0_14default_configENS1_20scan_config_selectorIyEEZZNS1_9scan_implILNS1_25lookback_scan_determinismE0ELb0ELb0ES3_N6thrust23THRUST_200600_302600_NS6detail15normal_iteratorINS9_10device_ptrIyEEEENS9_16discard_iteratorINS9_11use_defaultEEEyNS9_4plusIvEEyEEDaPvRmT3_T4_T5_mT6_P12ihipStream_tbENKUlT_T0_E_clISt17integral_constantIbLb1EESW_IbLb0EEEEDaSS_ST_EUlSS_E0_NS1_11comp_targetILNS1_3genE2ELNS1_11target_archE906ELNS1_3gpuE6ELNS1_3repE0EEENS1_30default_config_static_selectorELNS0_4arch9wavefront6targetE1EEEvT1_.kd
    .uniform_work_group_size: 1
    .uses_dynamic_stack: false
    .vgpr_count:     0
    .vgpr_spill_count: 0
    .wavefront_size: 64
  - .agpr_count:     0
    .args:
      - .offset:         0
        .size:           48
        .value_kind:     by_value
    .group_segment_fixed_size: 0
    .kernarg_segment_align: 8
    .kernarg_segment_size: 48
    .language:       OpenCL C
    .language_version:
      - 2
      - 0
    .max_flat_workgroup_size: 256
    .name:           _ZN7rocprim17ROCPRIM_400000_NS6detail17trampoline_kernelINS0_14default_configENS1_20scan_config_selectorIyEEZZNS1_9scan_implILNS1_25lookback_scan_determinismE0ELb0ELb0ES3_N6thrust23THRUST_200600_302600_NS6detail15normal_iteratorINS9_10device_ptrIyEEEENS9_16discard_iteratorINS9_11use_defaultEEEyNS9_4plusIvEEyEEDaPvRmT3_T4_T5_mT6_P12ihipStream_tbENKUlT_T0_E_clISt17integral_constantIbLb1EESW_IbLb0EEEEDaSS_ST_EUlSS_E0_NS1_11comp_targetILNS1_3genE10ELNS1_11target_archE1201ELNS1_3gpuE5ELNS1_3repE0EEENS1_30default_config_static_selectorELNS0_4arch9wavefront6targetE1EEEvT1_
    .private_segment_fixed_size: 0
    .sgpr_count:     4
    .sgpr_spill_count: 0
    .symbol:         _ZN7rocprim17ROCPRIM_400000_NS6detail17trampoline_kernelINS0_14default_configENS1_20scan_config_selectorIyEEZZNS1_9scan_implILNS1_25lookback_scan_determinismE0ELb0ELb0ES3_N6thrust23THRUST_200600_302600_NS6detail15normal_iteratorINS9_10device_ptrIyEEEENS9_16discard_iteratorINS9_11use_defaultEEEyNS9_4plusIvEEyEEDaPvRmT3_T4_T5_mT6_P12ihipStream_tbENKUlT_T0_E_clISt17integral_constantIbLb1EESW_IbLb0EEEEDaSS_ST_EUlSS_E0_NS1_11comp_targetILNS1_3genE10ELNS1_11target_archE1201ELNS1_3gpuE5ELNS1_3repE0EEENS1_30default_config_static_selectorELNS0_4arch9wavefront6targetE1EEEvT1_.kd
    .uniform_work_group_size: 1
    .uses_dynamic_stack: false
    .vgpr_count:     0
    .vgpr_spill_count: 0
    .wavefront_size: 64
  - .agpr_count:     0
    .args:
      - .offset:         0
        .size:           48
        .value_kind:     by_value
    .group_segment_fixed_size: 0
    .kernarg_segment_align: 8
    .kernarg_segment_size: 48
    .language:       OpenCL C
    .language_version:
      - 2
      - 0
    .max_flat_workgroup_size: 256
    .name:           _ZN7rocprim17ROCPRIM_400000_NS6detail17trampoline_kernelINS0_14default_configENS1_20scan_config_selectorIyEEZZNS1_9scan_implILNS1_25lookback_scan_determinismE0ELb0ELb0ES3_N6thrust23THRUST_200600_302600_NS6detail15normal_iteratorINS9_10device_ptrIyEEEENS9_16discard_iteratorINS9_11use_defaultEEEyNS9_4plusIvEEyEEDaPvRmT3_T4_T5_mT6_P12ihipStream_tbENKUlT_T0_E_clISt17integral_constantIbLb1EESW_IbLb0EEEEDaSS_ST_EUlSS_E0_NS1_11comp_targetILNS1_3genE10ELNS1_11target_archE1200ELNS1_3gpuE4ELNS1_3repE0EEENS1_30default_config_static_selectorELNS0_4arch9wavefront6targetE1EEEvT1_
    .private_segment_fixed_size: 0
    .sgpr_count:     4
    .sgpr_spill_count: 0
    .symbol:         _ZN7rocprim17ROCPRIM_400000_NS6detail17trampoline_kernelINS0_14default_configENS1_20scan_config_selectorIyEEZZNS1_9scan_implILNS1_25lookback_scan_determinismE0ELb0ELb0ES3_N6thrust23THRUST_200600_302600_NS6detail15normal_iteratorINS9_10device_ptrIyEEEENS9_16discard_iteratorINS9_11use_defaultEEEyNS9_4plusIvEEyEEDaPvRmT3_T4_T5_mT6_P12ihipStream_tbENKUlT_T0_E_clISt17integral_constantIbLb1EESW_IbLb0EEEEDaSS_ST_EUlSS_E0_NS1_11comp_targetILNS1_3genE10ELNS1_11target_archE1200ELNS1_3gpuE4ELNS1_3repE0EEENS1_30default_config_static_selectorELNS0_4arch9wavefront6targetE1EEEvT1_.kd
    .uniform_work_group_size: 1
    .uses_dynamic_stack: false
    .vgpr_count:     0
    .vgpr_spill_count: 0
    .wavefront_size: 64
  - .agpr_count:     0
    .args:
      - .offset:         0
        .size:           48
        .value_kind:     by_value
    .group_segment_fixed_size: 0
    .kernarg_segment_align: 8
    .kernarg_segment_size: 48
    .language:       OpenCL C
    .language_version:
      - 2
      - 0
    .max_flat_workgroup_size: 256
    .name:           _ZN7rocprim17ROCPRIM_400000_NS6detail17trampoline_kernelINS0_14default_configENS1_20scan_config_selectorIyEEZZNS1_9scan_implILNS1_25lookback_scan_determinismE0ELb0ELb0ES3_N6thrust23THRUST_200600_302600_NS6detail15normal_iteratorINS9_10device_ptrIyEEEENS9_16discard_iteratorINS9_11use_defaultEEEyNS9_4plusIvEEyEEDaPvRmT3_T4_T5_mT6_P12ihipStream_tbENKUlT_T0_E_clISt17integral_constantIbLb1EESW_IbLb0EEEEDaSS_ST_EUlSS_E0_NS1_11comp_targetILNS1_3genE9ELNS1_11target_archE1100ELNS1_3gpuE3ELNS1_3repE0EEENS1_30default_config_static_selectorELNS0_4arch9wavefront6targetE1EEEvT1_
    .private_segment_fixed_size: 0
    .sgpr_count:     4
    .sgpr_spill_count: 0
    .symbol:         _ZN7rocprim17ROCPRIM_400000_NS6detail17trampoline_kernelINS0_14default_configENS1_20scan_config_selectorIyEEZZNS1_9scan_implILNS1_25lookback_scan_determinismE0ELb0ELb0ES3_N6thrust23THRUST_200600_302600_NS6detail15normal_iteratorINS9_10device_ptrIyEEEENS9_16discard_iteratorINS9_11use_defaultEEEyNS9_4plusIvEEyEEDaPvRmT3_T4_T5_mT6_P12ihipStream_tbENKUlT_T0_E_clISt17integral_constantIbLb1EESW_IbLb0EEEEDaSS_ST_EUlSS_E0_NS1_11comp_targetILNS1_3genE9ELNS1_11target_archE1100ELNS1_3gpuE3ELNS1_3repE0EEENS1_30default_config_static_selectorELNS0_4arch9wavefront6targetE1EEEvT1_.kd
    .uniform_work_group_size: 1
    .uses_dynamic_stack: false
    .vgpr_count:     0
    .vgpr_spill_count: 0
    .wavefront_size: 64
  - .agpr_count:     0
    .args:
      - .offset:         0
        .size:           48
        .value_kind:     by_value
    .group_segment_fixed_size: 0
    .kernarg_segment_align: 8
    .kernarg_segment_size: 48
    .language:       OpenCL C
    .language_version:
      - 2
      - 0
    .max_flat_workgroup_size: 256
    .name:           _ZN7rocprim17ROCPRIM_400000_NS6detail17trampoline_kernelINS0_14default_configENS1_20scan_config_selectorIyEEZZNS1_9scan_implILNS1_25lookback_scan_determinismE0ELb0ELb0ES3_N6thrust23THRUST_200600_302600_NS6detail15normal_iteratorINS9_10device_ptrIyEEEENS9_16discard_iteratorINS9_11use_defaultEEEyNS9_4plusIvEEyEEDaPvRmT3_T4_T5_mT6_P12ihipStream_tbENKUlT_T0_E_clISt17integral_constantIbLb1EESW_IbLb0EEEEDaSS_ST_EUlSS_E0_NS1_11comp_targetILNS1_3genE8ELNS1_11target_archE1030ELNS1_3gpuE2ELNS1_3repE0EEENS1_30default_config_static_selectorELNS0_4arch9wavefront6targetE1EEEvT1_
    .private_segment_fixed_size: 0
    .sgpr_count:     4
    .sgpr_spill_count: 0
    .symbol:         _ZN7rocprim17ROCPRIM_400000_NS6detail17trampoline_kernelINS0_14default_configENS1_20scan_config_selectorIyEEZZNS1_9scan_implILNS1_25lookback_scan_determinismE0ELb0ELb0ES3_N6thrust23THRUST_200600_302600_NS6detail15normal_iteratorINS9_10device_ptrIyEEEENS9_16discard_iteratorINS9_11use_defaultEEEyNS9_4plusIvEEyEEDaPvRmT3_T4_T5_mT6_P12ihipStream_tbENKUlT_T0_E_clISt17integral_constantIbLb1EESW_IbLb0EEEEDaSS_ST_EUlSS_E0_NS1_11comp_targetILNS1_3genE8ELNS1_11target_archE1030ELNS1_3gpuE2ELNS1_3repE0EEENS1_30default_config_static_selectorELNS0_4arch9wavefront6targetE1EEEvT1_.kd
    .uniform_work_group_size: 1
    .uses_dynamic_stack: false
    .vgpr_count:     0
    .vgpr_spill_count: 0
    .wavefront_size: 64
  - .agpr_count:     0
    .args:
      - .offset:         0
        .size:           112
        .value_kind:     by_value
    .group_segment_fixed_size: 0
    .kernarg_segment_align: 8
    .kernarg_segment_size: 112
    .language:       OpenCL C
    .language_version:
      - 2
      - 0
    .max_flat_workgroup_size: 256
    .name:           _ZN7rocprim17ROCPRIM_400000_NS6detail17trampoline_kernelINS0_14default_configENS1_20scan_config_selectorIyEEZZNS1_9scan_implILNS1_25lookback_scan_determinismE0ELb0ELb0ES3_N6thrust23THRUST_200600_302600_NS6detail15normal_iteratorINS9_10device_ptrIyEEEENS9_16discard_iteratorINS9_11use_defaultEEEyNS9_4plusIvEEyEEDaPvRmT3_T4_T5_mT6_P12ihipStream_tbENKUlT_T0_E_clISt17integral_constantIbLb0EESW_IbLb1EEEEDaSS_ST_EUlSS_E_NS1_11comp_targetILNS1_3genE0ELNS1_11target_archE4294967295ELNS1_3gpuE0ELNS1_3repE0EEENS1_30default_config_static_selectorELNS0_4arch9wavefront6targetE1EEEvT1_
    .private_segment_fixed_size: 0
    .sgpr_count:     4
    .sgpr_spill_count: 0
    .symbol:         _ZN7rocprim17ROCPRIM_400000_NS6detail17trampoline_kernelINS0_14default_configENS1_20scan_config_selectorIyEEZZNS1_9scan_implILNS1_25lookback_scan_determinismE0ELb0ELb0ES3_N6thrust23THRUST_200600_302600_NS6detail15normal_iteratorINS9_10device_ptrIyEEEENS9_16discard_iteratorINS9_11use_defaultEEEyNS9_4plusIvEEyEEDaPvRmT3_T4_T5_mT6_P12ihipStream_tbENKUlT_T0_E_clISt17integral_constantIbLb0EESW_IbLb1EEEEDaSS_ST_EUlSS_E_NS1_11comp_targetILNS1_3genE0ELNS1_11target_archE4294967295ELNS1_3gpuE0ELNS1_3repE0EEENS1_30default_config_static_selectorELNS0_4arch9wavefront6targetE1EEEvT1_.kd
    .uniform_work_group_size: 1
    .uses_dynamic_stack: false
    .vgpr_count:     0
    .vgpr_spill_count: 0
    .wavefront_size: 64
  - .agpr_count:     0
    .args:
      - .offset:         0
        .size:           112
        .value_kind:     by_value
    .group_segment_fixed_size: 0
    .kernarg_segment_align: 8
    .kernarg_segment_size: 112
    .language:       OpenCL C
    .language_version:
      - 2
      - 0
    .max_flat_workgroup_size: 256
    .name:           _ZN7rocprim17ROCPRIM_400000_NS6detail17trampoline_kernelINS0_14default_configENS1_20scan_config_selectorIyEEZZNS1_9scan_implILNS1_25lookback_scan_determinismE0ELb0ELb0ES3_N6thrust23THRUST_200600_302600_NS6detail15normal_iteratorINS9_10device_ptrIyEEEENS9_16discard_iteratorINS9_11use_defaultEEEyNS9_4plusIvEEyEEDaPvRmT3_T4_T5_mT6_P12ihipStream_tbENKUlT_T0_E_clISt17integral_constantIbLb0EESW_IbLb1EEEEDaSS_ST_EUlSS_E_NS1_11comp_targetILNS1_3genE5ELNS1_11target_archE942ELNS1_3gpuE9ELNS1_3repE0EEENS1_30default_config_static_selectorELNS0_4arch9wavefront6targetE1EEEvT1_
    .private_segment_fixed_size: 0
    .sgpr_count:     4
    .sgpr_spill_count: 0
    .symbol:         _ZN7rocprim17ROCPRIM_400000_NS6detail17trampoline_kernelINS0_14default_configENS1_20scan_config_selectorIyEEZZNS1_9scan_implILNS1_25lookback_scan_determinismE0ELb0ELb0ES3_N6thrust23THRUST_200600_302600_NS6detail15normal_iteratorINS9_10device_ptrIyEEEENS9_16discard_iteratorINS9_11use_defaultEEEyNS9_4plusIvEEyEEDaPvRmT3_T4_T5_mT6_P12ihipStream_tbENKUlT_T0_E_clISt17integral_constantIbLb0EESW_IbLb1EEEEDaSS_ST_EUlSS_E_NS1_11comp_targetILNS1_3genE5ELNS1_11target_archE942ELNS1_3gpuE9ELNS1_3repE0EEENS1_30default_config_static_selectorELNS0_4arch9wavefront6targetE1EEEvT1_.kd
    .uniform_work_group_size: 1
    .uses_dynamic_stack: false
    .vgpr_count:     0
    .vgpr_spill_count: 0
    .wavefront_size: 64
  - .agpr_count:     0
    .args:
      - .offset:         0
        .size:           112
        .value_kind:     by_value
    .group_segment_fixed_size: 7168
    .kernarg_segment_align: 8
    .kernarg_segment_size: 112
    .language:       OpenCL C
    .language_version:
      - 2
      - 0
    .max_flat_workgroup_size: 128
    .name:           _ZN7rocprim17ROCPRIM_400000_NS6detail17trampoline_kernelINS0_14default_configENS1_20scan_config_selectorIyEEZZNS1_9scan_implILNS1_25lookback_scan_determinismE0ELb0ELb0ES3_N6thrust23THRUST_200600_302600_NS6detail15normal_iteratorINS9_10device_ptrIyEEEENS9_16discard_iteratorINS9_11use_defaultEEEyNS9_4plusIvEEyEEDaPvRmT3_T4_T5_mT6_P12ihipStream_tbENKUlT_T0_E_clISt17integral_constantIbLb0EESW_IbLb1EEEEDaSS_ST_EUlSS_E_NS1_11comp_targetILNS1_3genE4ELNS1_11target_archE910ELNS1_3gpuE8ELNS1_3repE0EEENS1_30default_config_static_selectorELNS0_4arch9wavefront6targetE1EEEvT1_
    .private_segment_fixed_size: 0
    .sgpr_count:     34
    .sgpr_spill_count: 0
    .symbol:         _ZN7rocprim17ROCPRIM_400000_NS6detail17trampoline_kernelINS0_14default_configENS1_20scan_config_selectorIyEEZZNS1_9scan_implILNS1_25lookback_scan_determinismE0ELb0ELb0ES3_N6thrust23THRUST_200600_302600_NS6detail15normal_iteratorINS9_10device_ptrIyEEEENS9_16discard_iteratorINS9_11use_defaultEEEyNS9_4plusIvEEyEEDaPvRmT3_T4_T5_mT6_P12ihipStream_tbENKUlT_T0_E_clISt17integral_constantIbLb0EESW_IbLb1EEEEDaSS_ST_EUlSS_E_NS1_11comp_targetILNS1_3genE4ELNS1_11target_archE910ELNS1_3gpuE8ELNS1_3repE0EEENS1_30default_config_static_selectorELNS0_4arch9wavefront6targetE1EEEvT1_.kd
    .uniform_work_group_size: 1
    .uses_dynamic_stack: false
    .vgpr_count:     50
    .vgpr_spill_count: 0
    .wavefront_size: 64
  - .agpr_count:     0
    .args:
      - .offset:         0
        .size:           112
        .value_kind:     by_value
    .group_segment_fixed_size: 0
    .kernarg_segment_align: 8
    .kernarg_segment_size: 112
    .language:       OpenCL C
    .language_version:
      - 2
      - 0
    .max_flat_workgroup_size: 256
    .name:           _ZN7rocprim17ROCPRIM_400000_NS6detail17trampoline_kernelINS0_14default_configENS1_20scan_config_selectorIyEEZZNS1_9scan_implILNS1_25lookback_scan_determinismE0ELb0ELb0ES3_N6thrust23THRUST_200600_302600_NS6detail15normal_iteratorINS9_10device_ptrIyEEEENS9_16discard_iteratorINS9_11use_defaultEEEyNS9_4plusIvEEyEEDaPvRmT3_T4_T5_mT6_P12ihipStream_tbENKUlT_T0_E_clISt17integral_constantIbLb0EESW_IbLb1EEEEDaSS_ST_EUlSS_E_NS1_11comp_targetILNS1_3genE3ELNS1_11target_archE908ELNS1_3gpuE7ELNS1_3repE0EEENS1_30default_config_static_selectorELNS0_4arch9wavefront6targetE1EEEvT1_
    .private_segment_fixed_size: 0
    .sgpr_count:     4
    .sgpr_spill_count: 0
    .symbol:         _ZN7rocprim17ROCPRIM_400000_NS6detail17trampoline_kernelINS0_14default_configENS1_20scan_config_selectorIyEEZZNS1_9scan_implILNS1_25lookback_scan_determinismE0ELb0ELb0ES3_N6thrust23THRUST_200600_302600_NS6detail15normal_iteratorINS9_10device_ptrIyEEEENS9_16discard_iteratorINS9_11use_defaultEEEyNS9_4plusIvEEyEEDaPvRmT3_T4_T5_mT6_P12ihipStream_tbENKUlT_T0_E_clISt17integral_constantIbLb0EESW_IbLb1EEEEDaSS_ST_EUlSS_E_NS1_11comp_targetILNS1_3genE3ELNS1_11target_archE908ELNS1_3gpuE7ELNS1_3repE0EEENS1_30default_config_static_selectorELNS0_4arch9wavefront6targetE1EEEvT1_.kd
    .uniform_work_group_size: 1
    .uses_dynamic_stack: false
    .vgpr_count:     0
    .vgpr_spill_count: 0
    .wavefront_size: 64
  - .agpr_count:     0
    .args:
      - .offset:         0
        .size:           112
        .value_kind:     by_value
    .group_segment_fixed_size: 0
    .kernarg_segment_align: 8
    .kernarg_segment_size: 112
    .language:       OpenCL C
    .language_version:
      - 2
      - 0
    .max_flat_workgroup_size: 64
    .name:           _ZN7rocprim17ROCPRIM_400000_NS6detail17trampoline_kernelINS0_14default_configENS1_20scan_config_selectorIyEEZZNS1_9scan_implILNS1_25lookback_scan_determinismE0ELb0ELb0ES3_N6thrust23THRUST_200600_302600_NS6detail15normal_iteratorINS9_10device_ptrIyEEEENS9_16discard_iteratorINS9_11use_defaultEEEyNS9_4plusIvEEyEEDaPvRmT3_T4_T5_mT6_P12ihipStream_tbENKUlT_T0_E_clISt17integral_constantIbLb0EESW_IbLb1EEEEDaSS_ST_EUlSS_E_NS1_11comp_targetILNS1_3genE2ELNS1_11target_archE906ELNS1_3gpuE6ELNS1_3repE0EEENS1_30default_config_static_selectorELNS0_4arch9wavefront6targetE1EEEvT1_
    .private_segment_fixed_size: 0
    .sgpr_count:     4
    .sgpr_spill_count: 0
    .symbol:         _ZN7rocprim17ROCPRIM_400000_NS6detail17trampoline_kernelINS0_14default_configENS1_20scan_config_selectorIyEEZZNS1_9scan_implILNS1_25lookback_scan_determinismE0ELb0ELb0ES3_N6thrust23THRUST_200600_302600_NS6detail15normal_iteratorINS9_10device_ptrIyEEEENS9_16discard_iteratorINS9_11use_defaultEEEyNS9_4plusIvEEyEEDaPvRmT3_T4_T5_mT6_P12ihipStream_tbENKUlT_T0_E_clISt17integral_constantIbLb0EESW_IbLb1EEEEDaSS_ST_EUlSS_E_NS1_11comp_targetILNS1_3genE2ELNS1_11target_archE906ELNS1_3gpuE6ELNS1_3repE0EEENS1_30default_config_static_selectorELNS0_4arch9wavefront6targetE1EEEvT1_.kd
    .uniform_work_group_size: 1
    .uses_dynamic_stack: false
    .vgpr_count:     0
    .vgpr_spill_count: 0
    .wavefront_size: 64
  - .agpr_count:     0
    .args:
      - .offset:         0
        .size:           112
        .value_kind:     by_value
    .group_segment_fixed_size: 0
    .kernarg_segment_align: 8
    .kernarg_segment_size: 112
    .language:       OpenCL C
    .language_version:
      - 2
      - 0
    .max_flat_workgroup_size: 256
    .name:           _ZN7rocprim17ROCPRIM_400000_NS6detail17trampoline_kernelINS0_14default_configENS1_20scan_config_selectorIyEEZZNS1_9scan_implILNS1_25lookback_scan_determinismE0ELb0ELb0ES3_N6thrust23THRUST_200600_302600_NS6detail15normal_iteratorINS9_10device_ptrIyEEEENS9_16discard_iteratorINS9_11use_defaultEEEyNS9_4plusIvEEyEEDaPvRmT3_T4_T5_mT6_P12ihipStream_tbENKUlT_T0_E_clISt17integral_constantIbLb0EESW_IbLb1EEEEDaSS_ST_EUlSS_E_NS1_11comp_targetILNS1_3genE10ELNS1_11target_archE1201ELNS1_3gpuE5ELNS1_3repE0EEENS1_30default_config_static_selectorELNS0_4arch9wavefront6targetE1EEEvT1_
    .private_segment_fixed_size: 0
    .sgpr_count:     4
    .sgpr_spill_count: 0
    .symbol:         _ZN7rocprim17ROCPRIM_400000_NS6detail17trampoline_kernelINS0_14default_configENS1_20scan_config_selectorIyEEZZNS1_9scan_implILNS1_25lookback_scan_determinismE0ELb0ELb0ES3_N6thrust23THRUST_200600_302600_NS6detail15normal_iteratorINS9_10device_ptrIyEEEENS9_16discard_iteratorINS9_11use_defaultEEEyNS9_4plusIvEEyEEDaPvRmT3_T4_T5_mT6_P12ihipStream_tbENKUlT_T0_E_clISt17integral_constantIbLb0EESW_IbLb1EEEEDaSS_ST_EUlSS_E_NS1_11comp_targetILNS1_3genE10ELNS1_11target_archE1201ELNS1_3gpuE5ELNS1_3repE0EEENS1_30default_config_static_selectorELNS0_4arch9wavefront6targetE1EEEvT1_.kd
    .uniform_work_group_size: 1
    .uses_dynamic_stack: false
    .vgpr_count:     0
    .vgpr_spill_count: 0
    .wavefront_size: 64
  - .agpr_count:     0
    .args:
      - .offset:         0
        .size:           112
        .value_kind:     by_value
    .group_segment_fixed_size: 0
    .kernarg_segment_align: 8
    .kernarg_segment_size: 112
    .language:       OpenCL C
    .language_version:
      - 2
      - 0
    .max_flat_workgroup_size: 256
    .name:           _ZN7rocprim17ROCPRIM_400000_NS6detail17trampoline_kernelINS0_14default_configENS1_20scan_config_selectorIyEEZZNS1_9scan_implILNS1_25lookback_scan_determinismE0ELb0ELb0ES3_N6thrust23THRUST_200600_302600_NS6detail15normal_iteratorINS9_10device_ptrIyEEEENS9_16discard_iteratorINS9_11use_defaultEEEyNS9_4plusIvEEyEEDaPvRmT3_T4_T5_mT6_P12ihipStream_tbENKUlT_T0_E_clISt17integral_constantIbLb0EESW_IbLb1EEEEDaSS_ST_EUlSS_E_NS1_11comp_targetILNS1_3genE10ELNS1_11target_archE1200ELNS1_3gpuE4ELNS1_3repE0EEENS1_30default_config_static_selectorELNS0_4arch9wavefront6targetE1EEEvT1_
    .private_segment_fixed_size: 0
    .sgpr_count:     4
    .sgpr_spill_count: 0
    .symbol:         _ZN7rocprim17ROCPRIM_400000_NS6detail17trampoline_kernelINS0_14default_configENS1_20scan_config_selectorIyEEZZNS1_9scan_implILNS1_25lookback_scan_determinismE0ELb0ELb0ES3_N6thrust23THRUST_200600_302600_NS6detail15normal_iteratorINS9_10device_ptrIyEEEENS9_16discard_iteratorINS9_11use_defaultEEEyNS9_4plusIvEEyEEDaPvRmT3_T4_T5_mT6_P12ihipStream_tbENKUlT_T0_E_clISt17integral_constantIbLb0EESW_IbLb1EEEEDaSS_ST_EUlSS_E_NS1_11comp_targetILNS1_3genE10ELNS1_11target_archE1200ELNS1_3gpuE4ELNS1_3repE0EEENS1_30default_config_static_selectorELNS0_4arch9wavefront6targetE1EEEvT1_.kd
    .uniform_work_group_size: 1
    .uses_dynamic_stack: false
    .vgpr_count:     0
    .vgpr_spill_count: 0
    .wavefront_size: 64
  - .agpr_count:     0
    .args:
      - .offset:         0
        .size:           112
        .value_kind:     by_value
    .group_segment_fixed_size: 0
    .kernarg_segment_align: 8
    .kernarg_segment_size: 112
    .language:       OpenCL C
    .language_version:
      - 2
      - 0
    .max_flat_workgroup_size: 256
    .name:           _ZN7rocprim17ROCPRIM_400000_NS6detail17trampoline_kernelINS0_14default_configENS1_20scan_config_selectorIyEEZZNS1_9scan_implILNS1_25lookback_scan_determinismE0ELb0ELb0ES3_N6thrust23THRUST_200600_302600_NS6detail15normal_iteratorINS9_10device_ptrIyEEEENS9_16discard_iteratorINS9_11use_defaultEEEyNS9_4plusIvEEyEEDaPvRmT3_T4_T5_mT6_P12ihipStream_tbENKUlT_T0_E_clISt17integral_constantIbLb0EESW_IbLb1EEEEDaSS_ST_EUlSS_E_NS1_11comp_targetILNS1_3genE9ELNS1_11target_archE1100ELNS1_3gpuE3ELNS1_3repE0EEENS1_30default_config_static_selectorELNS0_4arch9wavefront6targetE1EEEvT1_
    .private_segment_fixed_size: 0
    .sgpr_count:     4
    .sgpr_spill_count: 0
    .symbol:         _ZN7rocprim17ROCPRIM_400000_NS6detail17trampoline_kernelINS0_14default_configENS1_20scan_config_selectorIyEEZZNS1_9scan_implILNS1_25lookback_scan_determinismE0ELb0ELb0ES3_N6thrust23THRUST_200600_302600_NS6detail15normal_iteratorINS9_10device_ptrIyEEEENS9_16discard_iteratorINS9_11use_defaultEEEyNS9_4plusIvEEyEEDaPvRmT3_T4_T5_mT6_P12ihipStream_tbENKUlT_T0_E_clISt17integral_constantIbLb0EESW_IbLb1EEEEDaSS_ST_EUlSS_E_NS1_11comp_targetILNS1_3genE9ELNS1_11target_archE1100ELNS1_3gpuE3ELNS1_3repE0EEENS1_30default_config_static_selectorELNS0_4arch9wavefront6targetE1EEEvT1_.kd
    .uniform_work_group_size: 1
    .uses_dynamic_stack: false
    .vgpr_count:     0
    .vgpr_spill_count: 0
    .wavefront_size: 64
  - .agpr_count:     0
    .args:
      - .offset:         0
        .size:           112
        .value_kind:     by_value
    .group_segment_fixed_size: 0
    .kernarg_segment_align: 8
    .kernarg_segment_size: 112
    .language:       OpenCL C
    .language_version:
      - 2
      - 0
    .max_flat_workgroup_size: 256
    .name:           _ZN7rocprim17ROCPRIM_400000_NS6detail17trampoline_kernelINS0_14default_configENS1_20scan_config_selectorIyEEZZNS1_9scan_implILNS1_25lookback_scan_determinismE0ELb0ELb0ES3_N6thrust23THRUST_200600_302600_NS6detail15normal_iteratorINS9_10device_ptrIyEEEENS9_16discard_iteratorINS9_11use_defaultEEEyNS9_4plusIvEEyEEDaPvRmT3_T4_T5_mT6_P12ihipStream_tbENKUlT_T0_E_clISt17integral_constantIbLb0EESW_IbLb1EEEEDaSS_ST_EUlSS_E_NS1_11comp_targetILNS1_3genE8ELNS1_11target_archE1030ELNS1_3gpuE2ELNS1_3repE0EEENS1_30default_config_static_selectorELNS0_4arch9wavefront6targetE1EEEvT1_
    .private_segment_fixed_size: 0
    .sgpr_count:     4
    .sgpr_spill_count: 0
    .symbol:         _ZN7rocprim17ROCPRIM_400000_NS6detail17trampoline_kernelINS0_14default_configENS1_20scan_config_selectorIyEEZZNS1_9scan_implILNS1_25lookback_scan_determinismE0ELb0ELb0ES3_N6thrust23THRUST_200600_302600_NS6detail15normal_iteratorINS9_10device_ptrIyEEEENS9_16discard_iteratorINS9_11use_defaultEEEyNS9_4plusIvEEyEEDaPvRmT3_T4_T5_mT6_P12ihipStream_tbENKUlT_T0_E_clISt17integral_constantIbLb0EESW_IbLb1EEEEDaSS_ST_EUlSS_E_NS1_11comp_targetILNS1_3genE8ELNS1_11target_archE1030ELNS1_3gpuE2ELNS1_3repE0EEENS1_30default_config_static_selectorELNS0_4arch9wavefront6targetE1EEEvT1_.kd
    .uniform_work_group_size: 1
    .uses_dynamic_stack: false
    .vgpr_count:     0
    .vgpr_spill_count: 0
    .wavefront_size: 64
  - .agpr_count:     0
    .args:
      - .offset:         0
        .size:           48
        .value_kind:     by_value
    .group_segment_fixed_size: 0
    .kernarg_segment_align: 8
    .kernarg_segment_size: 48
    .language:       OpenCL C
    .language_version:
      - 2
      - 0
    .max_flat_workgroup_size: 256
    .name:           _ZN7rocprim17ROCPRIM_400000_NS6detail17trampoline_kernelINS0_14default_configENS1_20scan_config_selectorIyEEZZNS1_9scan_implILNS1_25lookback_scan_determinismE0ELb0ELb0ES3_N6thrust23THRUST_200600_302600_NS6detail15normal_iteratorINS9_10device_ptrIyEEEENS9_16discard_iteratorINS9_11use_defaultEEEyNS9_4plusIvEEyEEDaPvRmT3_T4_T5_mT6_P12ihipStream_tbENKUlT_T0_E_clISt17integral_constantIbLb0EESW_IbLb1EEEEDaSS_ST_EUlSS_E0_NS1_11comp_targetILNS1_3genE0ELNS1_11target_archE4294967295ELNS1_3gpuE0ELNS1_3repE0EEENS1_30default_config_static_selectorELNS0_4arch9wavefront6targetE1EEEvT1_
    .private_segment_fixed_size: 0
    .sgpr_count:     4
    .sgpr_spill_count: 0
    .symbol:         _ZN7rocprim17ROCPRIM_400000_NS6detail17trampoline_kernelINS0_14default_configENS1_20scan_config_selectorIyEEZZNS1_9scan_implILNS1_25lookback_scan_determinismE0ELb0ELb0ES3_N6thrust23THRUST_200600_302600_NS6detail15normal_iteratorINS9_10device_ptrIyEEEENS9_16discard_iteratorINS9_11use_defaultEEEyNS9_4plusIvEEyEEDaPvRmT3_T4_T5_mT6_P12ihipStream_tbENKUlT_T0_E_clISt17integral_constantIbLb0EESW_IbLb1EEEEDaSS_ST_EUlSS_E0_NS1_11comp_targetILNS1_3genE0ELNS1_11target_archE4294967295ELNS1_3gpuE0ELNS1_3repE0EEENS1_30default_config_static_selectorELNS0_4arch9wavefront6targetE1EEEvT1_.kd
    .uniform_work_group_size: 1
    .uses_dynamic_stack: false
    .vgpr_count:     0
    .vgpr_spill_count: 0
    .wavefront_size: 64
  - .agpr_count:     0
    .args:
      - .offset:         0
        .size:           48
        .value_kind:     by_value
    .group_segment_fixed_size: 0
    .kernarg_segment_align: 8
    .kernarg_segment_size: 48
    .language:       OpenCL C
    .language_version:
      - 2
      - 0
    .max_flat_workgroup_size: 256
    .name:           _ZN7rocprim17ROCPRIM_400000_NS6detail17trampoline_kernelINS0_14default_configENS1_20scan_config_selectorIyEEZZNS1_9scan_implILNS1_25lookback_scan_determinismE0ELb0ELb0ES3_N6thrust23THRUST_200600_302600_NS6detail15normal_iteratorINS9_10device_ptrIyEEEENS9_16discard_iteratorINS9_11use_defaultEEEyNS9_4plusIvEEyEEDaPvRmT3_T4_T5_mT6_P12ihipStream_tbENKUlT_T0_E_clISt17integral_constantIbLb0EESW_IbLb1EEEEDaSS_ST_EUlSS_E0_NS1_11comp_targetILNS1_3genE5ELNS1_11target_archE942ELNS1_3gpuE9ELNS1_3repE0EEENS1_30default_config_static_selectorELNS0_4arch9wavefront6targetE1EEEvT1_
    .private_segment_fixed_size: 0
    .sgpr_count:     4
    .sgpr_spill_count: 0
    .symbol:         _ZN7rocprim17ROCPRIM_400000_NS6detail17trampoline_kernelINS0_14default_configENS1_20scan_config_selectorIyEEZZNS1_9scan_implILNS1_25lookback_scan_determinismE0ELb0ELb0ES3_N6thrust23THRUST_200600_302600_NS6detail15normal_iteratorINS9_10device_ptrIyEEEENS9_16discard_iteratorINS9_11use_defaultEEEyNS9_4plusIvEEyEEDaPvRmT3_T4_T5_mT6_P12ihipStream_tbENKUlT_T0_E_clISt17integral_constantIbLb0EESW_IbLb1EEEEDaSS_ST_EUlSS_E0_NS1_11comp_targetILNS1_3genE5ELNS1_11target_archE942ELNS1_3gpuE9ELNS1_3repE0EEENS1_30default_config_static_selectorELNS0_4arch9wavefront6targetE1EEEvT1_.kd
    .uniform_work_group_size: 1
    .uses_dynamic_stack: false
    .vgpr_count:     0
    .vgpr_spill_count: 0
    .wavefront_size: 64
  - .agpr_count:     0
    .args:
      - .offset:         0
        .size:           48
        .value_kind:     by_value
    .group_segment_fixed_size: 7168
    .kernarg_segment_align: 8
    .kernarg_segment_size: 48
    .language:       OpenCL C
    .language_version:
      - 2
      - 0
    .max_flat_workgroup_size: 128
    .name:           _ZN7rocprim17ROCPRIM_400000_NS6detail17trampoline_kernelINS0_14default_configENS1_20scan_config_selectorIyEEZZNS1_9scan_implILNS1_25lookback_scan_determinismE0ELb0ELb0ES3_N6thrust23THRUST_200600_302600_NS6detail15normal_iteratorINS9_10device_ptrIyEEEENS9_16discard_iteratorINS9_11use_defaultEEEyNS9_4plusIvEEyEEDaPvRmT3_T4_T5_mT6_P12ihipStream_tbENKUlT_T0_E_clISt17integral_constantIbLb0EESW_IbLb1EEEEDaSS_ST_EUlSS_E0_NS1_11comp_targetILNS1_3genE4ELNS1_11target_archE910ELNS1_3gpuE8ELNS1_3repE0EEENS1_30default_config_static_selectorELNS0_4arch9wavefront6targetE1EEEvT1_
    .private_segment_fixed_size: 0
    .sgpr_count:     12
    .sgpr_spill_count: 0
    .symbol:         _ZN7rocprim17ROCPRIM_400000_NS6detail17trampoline_kernelINS0_14default_configENS1_20scan_config_selectorIyEEZZNS1_9scan_implILNS1_25lookback_scan_determinismE0ELb0ELb0ES3_N6thrust23THRUST_200600_302600_NS6detail15normal_iteratorINS9_10device_ptrIyEEEENS9_16discard_iteratorINS9_11use_defaultEEEyNS9_4plusIvEEyEEDaPvRmT3_T4_T5_mT6_P12ihipStream_tbENKUlT_T0_E_clISt17integral_constantIbLb0EESW_IbLb1EEEEDaSS_ST_EUlSS_E0_NS1_11comp_targetILNS1_3genE4ELNS1_11target_archE910ELNS1_3gpuE8ELNS1_3repE0EEENS1_30default_config_static_selectorELNS0_4arch9wavefront6targetE1EEEvT1_.kd
    .uniform_work_group_size: 1
    .uses_dynamic_stack: false
    .vgpr_count:     41
    .vgpr_spill_count: 0
    .wavefront_size: 64
  - .agpr_count:     0
    .args:
      - .offset:         0
        .size:           48
        .value_kind:     by_value
    .group_segment_fixed_size: 0
    .kernarg_segment_align: 8
    .kernarg_segment_size: 48
    .language:       OpenCL C
    .language_version:
      - 2
      - 0
    .max_flat_workgroup_size: 256
    .name:           _ZN7rocprim17ROCPRIM_400000_NS6detail17trampoline_kernelINS0_14default_configENS1_20scan_config_selectorIyEEZZNS1_9scan_implILNS1_25lookback_scan_determinismE0ELb0ELb0ES3_N6thrust23THRUST_200600_302600_NS6detail15normal_iteratorINS9_10device_ptrIyEEEENS9_16discard_iteratorINS9_11use_defaultEEEyNS9_4plusIvEEyEEDaPvRmT3_T4_T5_mT6_P12ihipStream_tbENKUlT_T0_E_clISt17integral_constantIbLb0EESW_IbLb1EEEEDaSS_ST_EUlSS_E0_NS1_11comp_targetILNS1_3genE3ELNS1_11target_archE908ELNS1_3gpuE7ELNS1_3repE0EEENS1_30default_config_static_selectorELNS0_4arch9wavefront6targetE1EEEvT1_
    .private_segment_fixed_size: 0
    .sgpr_count:     4
    .sgpr_spill_count: 0
    .symbol:         _ZN7rocprim17ROCPRIM_400000_NS6detail17trampoline_kernelINS0_14default_configENS1_20scan_config_selectorIyEEZZNS1_9scan_implILNS1_25lookback_scan_determinismE0ELb0ELb0ES3_N6thrust23THRUST_200600_302600_NS6detail15normal_iteratorINS9_10device_ptrIyEEEENS9_16discard_iteratorINS9_11use_defaultEEEyNS9_4plusIvEEyEEDaPvRmT3_T4_T5_mT6_P12ihipStream_tbENKUlT_T0_E_clISt17integral_constantIbLb0EESW_IbLb1EEEEDaSS_ST_EUlSS_E0_NS1_11comp_targetILNS1_3genE3ELNS1_11target_archE908ELNS1_3gpuE7ELNS1_3repE0EEENS1_30default_config_static_selectorELNS0_4arch9wavefront6targetE1EEEvT1_.kd
    .uniform_work_group_size: 1
    .uses_dynamic_stack: false
    .vgpr_count:     0
    .vgpr_spill_count: 0
    .wavefront_size: 64
  - .agpr_count:     0
    .args:
      - .offset:         0
        .size:           48
        .value_kind:     by_value
    .group_segment_fixed_size: 0
    .kernarg_segment_align: 8
    .kernarg_segment_size: 48
    .language:       OpenCL C
    .language_version:
      - 2
      - 0
    .max_flat_workgroup_size: 64
    .name:           _ZN7rocprim17ROCPRIM_400000_NS6detail17trampoline_kernelINS0_14default_configENS1_20scan_config_selectorIyEEZZNS1_9scan_implILNS1_25lookback_scan_determinismE0ELb0ELb0ES3_N6thrust23THRUST_200600_302600_NS6detail15normal_iteratorINS9_10device_ptrIyEEEENS9_16discard_iteratorINS9_11use_defaultEEEyNS9_4plusIvEEyEEDaPvRmT3_T4_T5_mT6_P12ihipStream_tbENKUlT_T0_E_clISt17integral_constantIbLb0EESW_IbLb1EEEEDaSS_ST_EUlSS_E0_NS1_11comp_targetILNS1_3genE2ELNS1_11target_archE906ELNS1_3gpuE6ELNS1_3repE0EEENS1_30default_config_static_selectorELNS0_4arch9wavefront6targetE1EEEvT1_
    .private_segment_fixed_size: 0
    .sgpr_count:     4
    .sgpr_spill_count: 0
    .symbol:         _ZN7rocprim17ROCPRIM_400000_NS6detail17trampoline_kernelINS0_14default_configENS1_20scan_config_selectorIyEEZZNS1_9scan_implILNS1_25lookback_scan_determinismE0ELb0ELb0ES3_N6thrust23THRUST_200600_302600_NS6detail15normal_iteratorINS9_10device_ptrIyEEEENS9_16discard_iteratorINS9_11use_defaultEEEyNS9_4plusIvEEyEEDaPvRmT3_T4_T5_mT6_P12ihipStream_tbENKUlT_T0_E_clISt17integral_constantIbLb0EESW_IbLb1EEEEDaSS_ST_EUlSS_E0_NS1_11comp_targetILNS1_3genE2ELNS1_11target_archE906ELNS1_3gpuE6ELNS1_3repE0EEENS1_30default_config_static_selectorELNS0_4arch9wavefront6targetE1EEEvT1_.kd
    .uniform_work_group_size: 1
    .uses_dynamic_stack: false
    .vgpr_count:     0
    .vgpr_spill_count: 0
    .wavefront_size: 64
  - .agpr_count:     0
    .args:
      - .offset:         0
        .size:           48
        .value_kind:     by_value
    .group_segment_fixed_size: 0
    .kernarg_segment_align: 8
    .kernarg_segment_size: 48
    .language:       OpenCL C
    .language_version:
      - 2
      - 0
    .max_flat_workgroup_size: 256
    .name:           _ZN7rocprim17ROCPRIM_400000_NS6detail17trampoline_kernelINS0_14default_configENS1_20scan_config_selectorIyEEZZNS1_9scan_implILNS1_25lookback_scan_determinismE0ELb0ELb0ES3_N6thrust23THRUST_200600_302600_NS6detail15normal_iteratorINS9_10device_ptrIyEEEENS9_16discard_iteratorINS9_11use_defaultEEEyNS9_4plusIvEEyEEDaPvRmT3_T4_T5_mT6_P12ihipStream_tbENKUlT_T0_E_clISt17integral_constantIbLb0EESW_IbLb1EEEEDaSS_ST_EUlSS_E0_NS1_11comp_targetILNS1_3genE10ELNS1_11target_archE1201ELNS1_3gpuE5ELNS1_3repE0EEENS1_30default_config_static_selectorELNS0_4arch9wavefront6targetE1EEEvT1_
    .private_segment_fixed_size: 0
    .sgpr_count:     4
    .sgpr_spill_count: 0
    .symbol:         _ZN7rocprim17ROCPRIM_400000_NS6detail17trampoline_kernelINS0_14default_configENS1_20scan_config_selectorIyEEZZNS1_9scan_implILNS1_25lookback_scan_determinismE0ELb0ELb0ES3_N6thrust23THRUST_200600_302600_NS6detail15normal_iteratorINS9_10device_ptrIyEEEENS9_16discard_iteratorINS9_11use_defaultEEEyNS9_4plusIvEEyEEDaPvRmT3_T4_T5_mT6_P12ihipStream_tbENKUlT_T0_E_clISt17integral_constantIbLb0EESW_IbLb1EEEEDaSS_ST_EUlSS_E0_NS1_11comp_targetILNS1_3genE10ELNS1_11target_archE1201ELNS1_3gpuE5ELNS1_3repE0EEENS1_30default_config_static_selectorELNS0_4arch9wavefront6targetE1EEEvT1_.kd
    .uniform_work_group_size: 1
    .uses_dynamic_stack: false
    .vgpr_count:     0
    .vgpr_spill_count: 0
    .wavefront_size: 64
  - .agpr_count:     0
    .args:
      - .offset:         0
        .size:           48
        .value_kind:     by_value
    .group_segment_fixed_size: 0
    .kernarg_segment_align: 8
    .kernarg_segment_size: 48
    .language:       OpenCL C
    .language_version:
      - 2
      - 0
    .max_flat_workgroup_size: 256
    .name:           _ZN7rocprim17ROCPRIM_400000_NS6detail17trampoline_kernelINS0_14default_configENS1_20scan_config_selectorIyEEZZNS1_9scan_implILNS1_25lookback_scan_determinismE0ELb0ELb0ES3_N6thrust23THRUST_200600_302600_NS6detail15normal_iteratorINS9_10device_ptrIyEEEENS9_16discard_iteratorINS9_11use_defaultEEEyNS9_4plusIvEEyEEDaPvRmT3_T4_T5_mT6_P12ihipStream_tbENKUlT_T0_E_clISt17integral_constantIbLb0EESW_IbLb1EEEEDaSS_ST_EUlSS_E0_NS1_11comp_targetILNS1_3genE10ELNS1_11target_archE1200ELNS1_3gpuE4ELNS1_3repE0EEENS1_30default_config_static_selectorELNS0_4arch9wavefront6targetE1EEEvT1_
    .private_segment_fixed_size: 0
    .sgpr_count:     4
    .sgpr_spill_count: 0
    .symbol:         _ZN7rocprim17ROCPRIM_400000_NS6detail17trampoline_kernelINS0_14default_configENS1_20scan_config_selectorIyEEZZNS1_9scan_implILNS1_25lookback_scan_determinismE0ELb0ELb0ES3_N6thrust23THRUST_200600_302600_NS6detail15normal_iteratorINS9_10device_ptrIyEEEENS9_16discard_iteratorINS9_11use_defaultEEEyNS9_4plusIvEEyEEDaPvRmT3_T4_T5_mT6_P12ihipStream_tbENKUlT_T0_E_clISt17integral_constantIbLb0EESW_IbLb1EEEEDaSS_ST_EUlSS_E0_NS1_11comp_targetILNS1_3genE10ELNS1_11target_archE1200ELNS1_3gpuE4ELNS1_3repE0EEENS1_30default_config_static_selectorELNS0_4arch9wavefront6targetE1EEEvT1_.kd
    .uniform_work_group_size: 1
    .uses_dynamic_stack: false
    .vgpr_count:     0
    .vgpr_spill_count: 0
    .wavefront_size: 64
  - .agpr_count:     0
    .args:
      - .offset:         0
        .size:           48
        .value_kind:     by_value
    .group_segment_fixed_size: 0
    .kernarg_segment_align: 8
    .kernarg_segment_size: 48
    .language:       OpenCL C
    .language_version:
      - 2
      - 0
    .max_flat_workgroup_size: 256
    .name:           _ZN7rocprim17ROCPRIM_400000_NS6detail17trampoline_kernelINS0_14default_configENS1_20scan_config_selectorIyEEZZNS1_9scan_implILNS1_25lookback_scan_determinismE0ELb0ELb0ES3_N6thrust23THRUST_200600_302600_NS6detail15normal_iteratorINS9_10device_ptrIyEEEENS9_16discard_iteratorINS9_11use_defaultEEEyNS9_4plusIvEEyEEDaPvRmT3_T4_T5_mT6_P12ihipStream_tbENKUlT_T0_E_clISt17integral_constantIbLb0EESW_IbLb1EEEEDaSS_ST_EUlSS_E0_NS1_11comp_targetILNS1_3genE9ELNS1_11target_archE1100ELNS1_3gpuE3ELNS1_3repE0EEENS1_30default_config_static_selectorELNS0_4arch9wavefront6targetE1EEEvT1_
    .private_segment_fixed_size: 0
    .sgpr_count:     4
    .sgpr_spill_count: 0
    .symbol:         _ZN7rocprim17ROCPRIM_400000_NS6detail17trampoline_kernelINS0_14default_configENS1_20scan_config_selectorIyEEZZNS1_9scan_implILNS1_25lookback_scan_determinismE0ELb0ELb0ES3_N6thrust23THRUST_200600_302600_NS6detail15normal_iteratorINS9_10device_ptrIyEEEENS9_16discard_iteratorINS9_11use_defaultEEEyNS9_4plusIvEEyEEDaPvRmT3_T4_T5_mT6_P12ihipStream_tbENKUlT_T0_E_clISt17integral_constantIbLb0EESW_IbLb1EEEEDaSS_ST_EUlSS_E0_NS1_11comp_targetILNS1_3genE9ELNS1_11target_archE1100ELNS1_3gpuE3ELNS1_3repE0EEENS1_30default_config_static_selectorELNS0_4arch9wavefront6targetE1EEEvT1_.kd
    .uniform_work_group_size: 1
    .uses_dynamic_stack: false
    .vgpr_count:     0
    .vgpr_spill_count: 0
    .wavefront_size: 64
  - .agpr_count:     0
    .args:
      - .offset:         0
        .size:           48
        .value_kind:     by_value
    .group_segment_fixed_size: 0
    .kernarg_segment_align: 8
    .kernarg_segment_size: 48
    .language:       OpenCL C
    .language_version:
      - 2
      - 0
    .max_flat_workgroup_size: 256
    .name:           _ZN7rocprim17ROCPRIM_400000_NS6detail17trampoline_kernelINS0_14default_configENS1_20scan_config_selectorIyEEZZNS1_9scan_implILNS1_25lookback_scan_determinismE0ELb0ELb0ES3_N6thrust23THRUST_200600_302600_NS6detail15normal_iteratorINS9_10device_ptrIyEEEENS9_16discard_iteratorINS9_11use_defaultEEEyNS9_4plusIvEEyEEDaPvRmT3_T4_T5_mT6_P12ihipStream_tbENKUlT_T0_E_clISt17integral_constantIbLb0EESW_IbLb1EEEEDaSS_ST_EUlSS_E0_NS1_11comp_targetILNS1_3genE8ELNS1_11target_archE1030ELNS1_3gpuE2ELNS1_3repE0EEENS1_30default_config_static_selectorELNS0_4arch9wavefront6targetE1EEEvT1_
    .private_segment_fixed_size: 0
    .sgpr_count:     4
    .sgpr_spill_count: 0
    .symbol:         _ZN7rocprim17ROCPRIM_400000_NS6detail17trampoline_kernelINS0_14default_configENS1_20scan_config_selectorIyEEZZNS1_9scan_implILNS1_25lookback_scan_determinismE0ELb0ELb0ES3_N6thrust23THRUST_200600_302600_NS6detail15normal_iteratorINS9_10device_ptrIyEEEENS9_16discard_iteratorINS9_11use_defaultEEEyNS9_4plusIvEEyEEDaPvRmT3_T4_T5_mT6_P12ihipStream_tbENKUlT_T0_E_clISt17integral_constantIbLb0EESW_IbLb1EEEEDaSS_ST_EUlSS_E0_NS1_11comp_targetILNS1_3genE8ELNS1_11target_archE1030ELNS1_3gpuE2ELNS1_3repE0EEENS1_30default_config_static_selectorELNS0_4arch9wavefront6targetE1EEEvT1_.kd
    .uniform_work_group_size: 1
    .uses_dynamic_stack: false
    .vgpr_count:     0
    .vgpr_spill_count: 0
    .wavefront_size: 64
  - .agpr_count:     0
    .args:
      - .offset:         0
        .size:           112
        .value_kind:     by_value
    .group_segment_fixed_size: 0
    .kernarg_segment_align: 8
    .kernarg_segment_size: 112
    .language:       OpenCL C
    .language_version:
      - 2
      - 0
    .max_flat_workgroup_size: 256
    .name:           _ZN7rocprim17ROCPRIM_400000_NS6detail17trampoline_kernelINS0_14default_configENS1_20scan_config_selectorIyEEZZNS1_9scan_implILNS1_25lookback_scan_determinismE0ELb1ELb1ES3_N6thrust23THRUST_200600_302600_NS6detail15normal_iteratorINS9_10device_ptrIyEEEENS9_16discard_iteratorINS9_11use_defaultEEEyNS9_4plusIvEEyEEDaPvRmT3_T4_T5_mT6_P12ihipStream_tbENKUlT_T0_E_clISt17integral_constantIbLb0EESX_EEDaSS_ST_EUlSS_E_NS1_11comp_targetILNS1_3genE0ELNS1_11target_archE4294967295ELNS1_3gpuE0ELNS1_3repE0EEENS1_30default_config_static_selectorELNS0_4arch9wavefront6targetE1EEEvT1_
    .private_segment_fixed_size: 0
    .sgpr_count:     4
    .sgpr_spill_count: 0
    .symbol:         _ZN7rocprim17ROCPRIM_400000_NS6detail17trampoline_kernelINS0_14default_configENS1_20scan_config_selectorIyEEZZNS1_9scan_implILNS1_25lookback_scan_determinismE0ELb1ELb1ES3_N6thrust23THRUST_200600_302600_NS6detail15normal_iteratorINS9_10device_ptrIyEEEENS9_16discard_iteratorINS9_11use_defaultEEEyNS9_4plusIvEEyEEDaPvRmT3_T4_T5_mT6_P12ihipStream_tbENKUlT_T0_E_clISt17integral_constantIbLb0EESX_EEDaSS_ST_EUlSS_E_NS1_11comp_targetILNS1_3genE0ELNS1_11target_archE4294967295ELNS1_3gpuE0ELNS1_3repE0EEENS1_30default_config_static_selectorELNS0_4arch9wavefront6targetE1EEEvT1_.kd
    .uniform_work_group_size: 1
    .uses_dynamic_stack: false
    .vgpr_count:     0
    .vgpr_spill_count: 0
    .wavefront_size: 64
  - .agpr_count:     0
    .args:
      - .offset:         0
        .size:           112
        .value_kind:     by_value
    .group_segment_fixed_size: 0
    .kernarg_segment_align: 8
    .kernarg_segment_size: 112
    .language:       OpenCL C
    .language_version:
      - 2
      - 0
    .max_flat_workgroup_size: 256
    .name:           _ZN7rocprim17ROCPRIM_400000_NS6detail17trampoline_kernelINS0_14default_configENS1_20scan_config_selectorIyEEZZNS1_9scan_implILNS1_25lookback_scan_determinismE0ELb1ELb1ES3_N6thrust23THRUST_200600_302600_NS6detail15normal_iteratorINS9_10device_ptrIyEEEENS9_16discard_iteratorINS9_11use_defaultEEEyNS9_4plusIvEEyEEDaPvRmT3_T4_T5_mT6_P12ihipStream_tbENKUlT_T0_E_clISt17integral_constantIbLb0EESX_EEDaSS_ST_EUlSS_E_NS1_11comp_targetILNS1_3genE5ELNS1_11target_archE942ELNS1_3gpuE9ELNS1_3repE0EEENS1_30default_config_static_selectorELNS0_4arch9wavefront6targetE1EEEvT1_
    .private_segment_fixed_size: 0
    .sgpr_count:     4
    .sgpr_spill_count: 0
    .symbol:         _ZN7rocprim17ROCPRIM_400000_NS6detail17trampoline_kernelINS0_14default_configENS1_20scan_config_selectorIyEEZZNS1_9scan_implILNS1_25lookback_scan_determinismE0ELb1ELb1ES3_N6thrust23THRUST_200600_302600_NS6detail15normal_iteratorINS9_10device_ptrIyEEEENS9_16discard_iteratorINS9_11use_defaultEEEyNS9_4plusIvEEyEEDaPvRmT3_T4_T5_mT6_P12ihipStream_tbENKUlT_T0_E_clISt17integral_constantIbLb0EESX_EEDaSS_ST_EUlSS_E_NS1_11comp_targetILNS1_3genE5ELNS1_11target_archE942ELNS1_3gpuE9ELNS1_3repE0EEENS1_30default_config_static_selectorELNS0_4arch9wavefront6targetE1EEEvT1_.kd
    .uniform_work_group_size: 1
    .uses_dynamic_stack: false
    .vgpr_count:     0
    .vgpr_spill_count: 0
    .wavefront_size: 64
  - .agpr_count:     0
    .args:
      - .offset:         0
        .size:           112
        .value_kind:     by_value
    .group_segment_fixed_size: 7168
    .kernarg_segment_align: 8
    .kernarg_segment_size: 112
    .language:       OpenCL C
    .language_version:
      - 2
      - 0
    .max_flat_workgroup_size: 128
    .name:           _ZN7rocprim17ROCPRIM_400000_NS6detail17trampoline_kernelINS0_14default_configENS1_20scan_config_selectorIyEEZZNS1_9scan_implILNS1_25lookback_scan_determinismE0ELb1ELb1ES3_N6thrust23THRUST_200600_302600_NS6detail15normal_iteratorINS9_10device_ptrIyEEEENS9_16discard_iteratorINS9_11use_defaultEEEyNS9_4plusIvEEyEEDaPvRmT3_T4_T5_mT6_P12ihipStream_tbENKUlT_T0_E_clISt17integral_constantIbLb0EESX_EEDaSS_ST_EUlSS_E_NS1_11comp_targetILNS1_3genE4ELNS1_11target_archE910ELNS1_3gpuE8ELNS1_3repE0EEENS1_30default_config_static_selectorELNS0_4arch9wavefront6targetE1EEEvT1_
    .private_segment_fixed_size: 0
    .sgpr_count:     30
    .sgpr_spill_count: 0
    .symbol:         _ZN7rocprim17ROCPRIM_400000_NS6detail17trampoline_kernelINS0_14default_configENS1_20scan_config_selectorIyEEZZNS1_9scan_implILNS1_25lookback_scan_determinismE0ELb1ELb1ES3_N6thrust23THRUST_200600_302600_NS6detail15normal_iteratorINS9_10device_ptrIyEEEENS9_16discard_iteratorINS9_11use_defaultEEEyNS9_4plusIvEEyEEDaPvRmT3_T4_T5_mT6_P12ihipStream_tbENKUlT_T0_E_clISt17integral_constantIbLb0EESX_EEDaSS_ST_EUlSS_E_NS1_11comp_targetILNS1_3genE4ELNS1_11target_archE910ELNS1_3gpuE8ELNS1_3repE0EEENS1_30default_config_static_selectorELNS0_4arch9wavefront6targetE1EEEvT1_.kd
    .uniform_work_group_size: 1
    .uses_dynamic_stack: false
    .vgpr_count:     50
    .vgpr_spill_count: 0
    .wavefront_size: 64
  - .agpr_count:     0
    .args:
      - .offset:         0
        .size:           112
        .value_kind:     by_value
    .group_segment_fixed_size: 0
    .kernarg_segment_align: 8
    .kernarg_segment_size: 112
    .language:       OpenCL C
    .language_version:
      - 2
      - 0
    .max_flat_workgroup_size: 256
    .name:           _ZN7rocprim17ROCPRIM_400000_NS6detail17trampoline_kernelINS0_14default_configENS1_20scan_config_selectorIyEEZZNS1_9scan_implILNS1_25lookback_scan_determinismE0ELb1ELb1ES3_N6thrust23THRUST_200600_302600_NS6detail15normal_iteratorINS9_10device_ptrIyEEEENS9_16discard_iteratorINS9_11use_defaultEEEyNS9_4plusIvEEyEEDaPvRmT3_T4_T5_mT6_P12ihipStream_tbENKUlT_T0_E_clISt17integral_constantIbLb0EESX_EEDaSS_ST_EUlSS_E_NS1_11comp_targetILNS1_3genE3ELNS1_11target_archE908ELNS1_3gpuE7ELNS1_3repE0EEENS1_30default_config_static_selectorELNS0_4arch9wavefront6targetE1EEEvT1_
    .private_segment_fixed_size: 0
    .sgpr_count:     4
    .sgpr_spill_count: 0
    .symbol:         _ZN7rocprim17ROCPRIM_400000_NS6detail17trampoline_kernelINS0_14default_configENS1_20scan_config_selectorIyEEZZNS1_9scan_implILNS1_25lookback_scan_determinismE0ELb1ELb1ES3_N6thrust23THRUST_200600_302600_NS6detail15normal_iteratorINS9_10device_ptrIyEEEENS9_16discard_iteratorINS9_11use_defaultEEEyNS9_4plusIvEEyEEDaPvRmT3_T4_T5_mT6_P12ihipStream_tbENKUlT_T0_E_clISt17integral_constantIbLb0EESX_EEDaSS_ST_EUlSS_E_NS1_11comp_targetILNS1_3genE3ELNS1_11target_archE908ELNS1_3gpuE7ELNS1_3repE0EEENS1_30default_config_static_selectorELNS0_4arch9wavefront6targetE1EEEvT1_.kd
    .uniform_work_group_size: 1
    .uses_dynamic_stack: false
    .vgpr_count:     0
    .vgpr_spill_count: 0
    .wavefront_size: 64
  - .agpr_count:     0
    .args:
      - .offset:         0
        .size:           112
        .value_kind:     by_value
    .group_segment_fixed_size: 0
    .kernarg_segment_align: 8
    .kernarg_segment_size: 112
    .language:       OpenCL C
    .language_version:
      - 2
      - 0
    .max_flat_workgroup_size: 64
    .name:           _ZN7rocprim17ROCPRIM_400000_NS6detail17trampoline_kernelINS0_14default_configENS1_20scan_config_selectorIyEEZZNS1_9scan_implILNS1_25lookback_scan_determinismE0ELb1ELb1ES3_N6thrust23THRUST_200600_302600_NS6detail15normal_iteratorINS9_10device_ptrIyEEEENS9_16discard_iteratorINS9_11use_defaultEEEyNS9_4plusIvEEyEEDaPvRmT3_T4_T5_mT6_P12ihipStream_tbENKUlT_T0_E_clISt17integral_constantIbLb0EESX_EEDaSS_ST_EUlSS_E_NS1_11comp_targetILNS1_3genE2ELNS1_11target_archE906ELNS1_3gpuE6ELNS1_3repE0EEENS1_30default_config_static_selectorELNS0_4arch9wavefront6targetE1EEEvT1_
    .private_segment_fixed_size: 0
    .sgpr_count:     4
    .sgpr_spill_count: 0
    .symbol:         _ZN7rocprim17ROCPRIM_400000_NS6detail17trampoline_kernelINS0_14default_configENS1_20scan_config_selectorIyEEZZNS1_9scan_implILNS1_25lookback_scan_determinismE0ELb1ELb1ES3_N6thrust23THRUST_200600_302600_NS6detail15normal_iteratorINS9_10device_ptrIyEEEENS9_16discard_iteratorINS9_11use_defaultEEEyNS9_4plusIvEEyEEDaPvRmT3_T4_T5_mT6_P12ihipStream_tbENKUlT_T0_E_clISt17integral_constantIbLb0EESX_EEDaSS_ST_EUlSS_E_NS1_11comp_targetILNS1_3genE2ELNS1_11target_archE906ELNS1_3gpuE6ELNS1_3repE0EEENS1_30default_config_static_selectorELNS0_4arch9wavefront6targetE1EEEvT1_.kd
    .uniform_work_group_size: 1
    .uses_dynamic_stack: false
    .vgpr_count:     0
    .vgpr_spill_count: 0
    .wavefront_size: 64
  - .agpr_count:     0
    .args:
      - .offset:         0
        .size:           112
        .value_kind:     by_value
    .group_segment_fixed_size: 0
    .kernarg_segment_align: 8
    .kernarg_segment_size: 112
    .language:       OpenCL C
    .language_version:
      - 2
      - 0
    .max_flat_workgroup_size: 256
    .name:           _ZN7rocprim17ROCPRIM_400000_NS6detail17trampoline_kernelINS0_14default_configENS1_20scan_config_selectorIyEEZZNS1_9scan_implILNS1_25lookback_scan_determinismE0ELb1ELb1ES3_N6thrust23THRUST_200600_302600_NS6detail15normal_iteratorINS9_10device_ptrIyEEEENS9_16discard_iteratorINS9_11use_defaultEEEyNS9_4plusIvEEyEEDaPvRmT3_T4_T5_mT6_P12ihipStream_tbENKUlT_T0_E_clISt17integral_constantIbLb0EESX_EEDaSS_ST_EUlSS_E_NS1_11comp_targetILNS1_3genE10ELNS1_11target_archE1201ELNS1_3gpuE5ELNS1_3repE0EEENS1_30default_config_static_selectorELNS0_4arch9wavefront6targetE1EEEvT1_
    .private_segment_fixed_size: 0
    .sgpr_count:     4
    .sgpr_spill_count: 0
    .symbol:         _ZN7rocprim17ROCPRIM_400000_NS6detail17trampoline_kernelINS0_14default_configENS1_20scan_config_selectorIyEEZZNS1_9scan_implILNS1_25lookback_scan_determinismE0ELb1ELb1ES3_N6thrust23THRUST_200600_302600_NS6detail15normal_iteratorINS9_10device_ptrIyEEEENS9_16discard_iteratorINS9_11use_defaultEEEyNS9_4plusIvEEyEEDaPvRmT3_T4_T5_mT6_P12ihipStream_tbENKUlT_T0_E_clISt17integral_constantIbLb0EESX_EEDaSS_ST_EUlSS_E_NS1_11comp_targetILNS1_3genE10ELNS1_11target_archE1201ELNS1_3gpuE5ELNS1_3repE0EEENS1_30default_config_static_selectorELNS0_4arch9wavefront6targetE1EEEvT1_.kd
    .uniform_work_group_size: 1
    .uses_dynamic_stack: false
    .vgpr_count:     0
    .vgpr_spill_count: 0
    .wavefront_size: 64
  - .agpr_count:     0
    .args:
      - .offset:         0
        .size:           112
        .value_kind:     by_value
    .group_segment_fixed_size: 0
    .kernarg_segment_align: 8
    .kernarg_segment_size: 112
    .language:       OpenCL C
    .language_version:
      - 2
      - 0
    .max_flat_workgroup_size: 256
    .name:           _ZN7rocprim17ROCPRIM_400000_NS6detail17trampoline_kernelINS0_14default_configENS1_20scan_config_selectorIyEEZZNS1_9scan_implILNS1_25lookback_scan_determinismE0ELb1ELb1ES3_N6thrust23THRUST_200600_302600_NS6detail15normal_iteratorINS9_10device_ptrIyEEEENS9_16discard_iteratorINS9_11use_defaultEEEyNS9_4plusIvEEyEEDaPvRmT3_T4_T5_mT6_P12ihipStream_tbENKUlT_T0_E_clISt17integral_constantIbLb0EESX_EEDaSS_ST_EUlSS_E_NS1_11comp_targetILNS1_3genE10ELNS1_11target_archE1200ELNS1_3gpuE4ELNS1_3repE0EEENS1_30default_config_static_selectorELNS0_4arch9wavefront6targetE1EEEvT1_
    .private_segment_fixed_size: 0
    .sgpr_count:     4
    .sgpr_spill_count: 0
    .symbol:         _ZN7rocprim17ROCPRIM_400000_NS6detail17trampoline_kernelINS0_14default_configENS1_20scan_config_selectorIyEEZZNS1_9scan_implILNS1_25lookback_scan_determinismE0ELb1ELb1ES3_N6thrust23THRUST_200600_302600_NS6detail15normal_iteratorINS9_10device_ptrIyEEEENS9_16discard_iteratorINS9_11use_defaultEEEyNS9_4plusIvEEyEEDaPvRmT3_T4_T5_mT6_P12ihipStream_tbENKUlT_T0_E_clISt17integral_constantIbLb0EESX_EEDaSS_ST_EUlSS_E_NS1_11comp_targetILNS1_3genE10ELNS1_11target_archE1200ELNS1_3gpuE4ELNS1_3repE0EEENS1_30default_config_static_selectorELNS0_4arch9wavefront6targetE1EEEvT1_.kd
    .uniform_work_group_size: 1
    .uses_dynamic_stack: false
    .vgpr_count:     0
    .vgpr_spill_count: 0
    .wavefront_size: 64
  - .agpr_count:     0
    .args:
      - .offset:         0
        .size:           112
        .value_kind:     by_value
    .group_segment_fixed_size: 0
    .kernarg_segment_align: 8
    .kernarg_segment_size: 112
    .language:       OpenCL C
    .language_version:
      - 2
      - 0
    .max_flat_workgroup_size: 256
    .name:           _ZN7rocprim17ROCPRIM_400000_NS6detail17trampoline_kernelINS0_14default_configENS1_20scan_config_selectorIyEEZZNS1_9scan_implILNS1_25lookback_scan_determinismE0ELb1ELb1ES3_N6thrust23THRUST_200600_302600_NS6detail15normal_iteratorINS9_10device_ptrIyEEEENS9_16discard_iteratorINS9_11use_defaultEEEyNS9_4plusIvEEyEEDaPvRmT3_T4_T5_mT6_P12ihipStream_tbENKUlT_T0_E_clISt17integral_constantIbLb0EESX_EEDaSS_ST_EUlSS_E_NS1_11comp_targetILNS1_3genE9ELNS1_11target_archE1100ELNS1_3gpuE3ELNS1_3repE0EEENS1_30default_config_static_selectorELNS0_4arch9wavefront6targetE1EEEvT1_
    .private_segment_fixed_size: 0
    .sgpr_count:     4
    .sgpr_spill_count: 0
    .symbol:         _ZN7rocprim17ROCPRIM_400000_NS6detail17trampoline_kernelINS0_14default_configENS1_20scan_config_selectorIyEEZZNS1_9scan_implILNS1_25lookback_scan_determinismE0ELb1ELb1ES3_N6thrust23THRUST_200600_302600_NS6detail15normal_iteratorINS9_10device_ptrIyEEEENS9_16discard_iteratorINS9_11use_defaultEEEyNS9_4plusIvEEyEEDaPvRmT3_T4_T5_mT6_P12ihipStream_tbENKUlT_T0_E_clISt17integral_constantIbLb0EESX_EEDaSS_ST_EUlSS_E_NS1_11comp_targetILNS1_3genE9ELNS1_11target_archE1100ELNS1_3gpuE3ELNS1_3repE0EEENS1_30default_config_static_selectorELNS0_4arch9wavefront6targetE1EEEvT1_.kd
    .uniform_work_group_size: 1
    .uses_dynamic_stack: false
    .vgpr_count:     0
    .vgpr_spill_count: 0
    .wavefront_size: 64
  - .agpr_count:     0
    .args:
      - .offset:         0
        .size:           112
        .value_kind:     by_value
    .group_segment_fixed_size: 0
    .kernarg_segment_align: 8
    .kernarg_segment_size: 112
    .language:       OpenCL C
    .language_version:
      - 2
      - 0
    .max_flat_workgroup_size: 256
    .name:           _ZN7rocprim17ROCPRIM_400000_NS6detail17trampoline_kernelINS0_14default_configENS1_20scan_config_selectorIyEEZZNS1_9scan_implILNS1_25lookback_scan_determinismE0ELb1ELb1ES3_N6thrust23THRUST_200600_302600_NS6detail15normal_iteratorINS9_10device_ptrIyEEEENS9_16discard_iteratorINS9_11use_defaultEEEyNS9_4plusIvEEyEEDaPvRmT3_T4_T5_mT6_P12ihipStream_tbENKUlT_T0_E_clISt17integral_constantIbLb0EESX_EEDaSS_ST_EUlSS_E_NS1_11comp_targetILNS1_3genE8ELNS1_11target_archE1030ELNS1_3gpuE2ELNS1_3repE0EEENS1_30default_config_static_selectorELNS0_4arch9wavefront6targetE1EEEvT1_
    .private_segment_fixed_size: 0
    .sgpr_count:     4
    .sgpr_spill_count: 0
    .symbol:         _ZN7rocprim17ROCPRIM_400000_NS6detail17trampoline_kernelINS0_14default_configENS1_20scan_config_selectorIyEEZZNS1_9scan_implILNS1_25lookback_scan_determinismE0ELb1ELb1ES3_N6thrust23THRUST_200600_302600_NS6detail15normal_iteratorINS9_10device_ptrIyEEEENS9_16discard_iteratorINS9_11use_defaultEEEyNS9_4plusIvEEyEEDaPvRmT3_T4_T5_mT6_P12ihipStream_tbENKUlT_T0_E_clISt17integral_constantIbLb0EESX_EEDaSS_ST_EUlSS_E_NS1_11comp_targetILNS1_3genE8ELNS1_11target_archE1030ELNS1_3gpuE2ELNS1_3repE0EEENS1_30default_config_static_selectorELNS0_4arch9wavefront6targetE1EEEvT1_.kd
    .uniform_work_group_size: 1
    .uses_dynamic_stack: false
    .vgpr_count:     0
    .vgpr_spill_count: 0
    .wavefront_size: 64
  - .agpr_count:     0
    .args:
      - .offset:         0
        .size:           48
        .value_kind:     by_value
    .group_segment_fixed_size: 0
    .kernarg_segment_align: 8
    .kernarg_segment_size: 48
    .language:       OpenCL C
    .language_version:
      - 2
      - 0
    .max_flat_workgroup_size: 256
    .name:           _ZN7rocprim17ROCPRIM_400000_NS6detail17trampoline_kernelINS0_14default_configENS1_20scan_config_selectorIyEEZZNS1_9scan_implILNS1_25lookback_scan_determinismE0ELb1ELb1ES3_N6thrust23THRUST_200600_302600_NS6detail15normal_iteratorINS9_10device_ptrIyEEEENS9_16discard_iteratorINS9_11use_defaultEEEyNS9_4plusIvEEyEEDaPvRmT3_T4_T5_mT6_P12ihipStream_tbENKUlT_T0_E_clISt17integral_constantIbLb0EESX_EEDaSS_ST_EUlSS_E0_NS1_11comp_targetILNS1_3genE0ELNS1_11target_archE4294967295ELNS1_3gpuE0ELNS1_3repE0EEENS1_30default_config_static_selectorELNS0_4arch9wavefront6targetE1EEEvT1_
    .private_segment_fixed_size: 0
    .sgpr_count:     4
    .sgpr_spill_count: 0
    .symbol:         _ZN7rocprim17ROCPRIM_400000_NS6detail17trampoline_kernelINS0_14default_configENS1_20scan_config_selectorIyEEZZNS1_9scan_implILNS1_25lookback_scan_determinismE0ELb1ELb1ES3_N6thrust23THRUST_200600_302600_NS6detail15normal_iteratorINS9_10device_ptrIyEEEENS9_16discard_iteratorINS9_11use_defaultEEEyNS9_4plusIvEEyEEDaPvRmT3_T4_T5_mT6_P12ihipStream_tbENKUlT_T0_E_clISt17integral_constantIbLb0EESX_EEDaSS_ST_EUlSS_E0_NS1_11comp_targetILNS1_3genE0ELNS1_11target_archE4294967295ELNS1_3gpuE0ELNS1_3repE0EEENS1_30default_config_static_selectorELNS0_4arch9wavefront6targetE1EEEvT1_.kd
    .uniform_work_group_size: 1
    .uses_dynamic_stack: false
    .vgpr_count:     0
    .vgpr_spill_count: 0
    .wavefront_size: 64
  - .agpr_count:     0
    .args:
      - .offset:         0
        .size:           48
        .value_kind:     by_value
    .group_segment_fixed_size: 0
    .kernarg_segment_align: 8
    .kernarg_segment_size: 48
    .language:       OpenCL C
    .language_version:
      - 2
      - 0
    .max_flat_workgroup_size: 256
    .name:           _ZN7rocprim17ROCPRIM_400000_NS6detail17trampoline_kernelINS0_14default_configENS1_20scan_config_selectorIyEEZZNS1_9scan_implILNS1_25lookback_scan_determinismE0ELb1ELb1ES3_N6thrust23THRUST_200600_302600_NS6detail15normal_iteratorINS9_10device_ptrIyEEEENS9_16discard_iteratorINS9_11use_defaultEEEyNS9_4plusIvEEyEEDaPvRmT3_T4_T5_mT6_P12ihipStream_tbENKUlT_T0_E_clISt17integral_constantIbLb0EESX_EEDaSS_ST_EUlSS_E0_NS1_11comp_targetILNS1_3genE5ELNS1_11target_archE942ELNS1_3gpuE9ELNS1_3repE0EEENS1_30default_config_static_selectorELNS0_4arch9wavefront6targetE1EEEvT1_
    .private_segment_fixed_size: 0
    .sgpr_count:     4
    .sgpr_spill_count: 0
    .symbol:         _ZN7rocprim17ROCPRIM_400000_NS6detail17trampoline_kernelINS0_14default_configENS1_20scan_config_selectorIyEEZZNS1_9scan_implILNS1_25lookback_scan_determinismE0ELb1ELb1ES3_N6thrust23THRUST_200600_302600_NS6detail15normal_iteratorINS9_10device_ptrIyEEEENS9_16discard_iteratorINS9_11use_defaultEEEyNS9_4plusIvEEyEEDaPvRmT3_T4_T5_mT6_P12ihipStream_tbENKUlT_T0_E_clISt17integral_constantIbLb0EESX_EEDaSS_ST_EUlSS_E0_NS1_11comp_targetILNS1_3genE5ELNS1_11target_archE942ELNS1_3gpuE9ELNS1_3repE0EEENS1_30default_config_static_selectorELNS0_4arch9wavefront6targetE1EEEvT1_.kd
    .uniform_work_group_size: 1
    .uses_dynamic_stack: false
    .vgpr_count:     0
    .vgpr_spill_count: 0
    .wavefront_size: 64
  - .agpr_count:     0
    .args:
      - .offset:         0
        .size:           48
        .value_kind:     by_value
    .group_segment_fixed_size: 7168
    .kernarg_segment_align: 8
    .kernarg_segment_size: 48
    .language:       OpenCL C
    .language_version:
      - 2
      - 0
    .max_flat_workgroup_size: 128
    .name:           _ZN7rocprim17ROCPRIM_400000_NS6detail17trampoline_kernelINS0_14default_configENS1_20scan_config_selectorIyEEZZNS1_9scan_implILNS1_25lookback_scan_determinismE0ELb1ELb1ES3_N6thrust23THRUST_200600_302600_NS6detail15normal_iteratorINS9_10device_ptrIyEEEENS9_16discard_iteratorINS9_11use_defaultEEEyNS9_4plusIvEEyEEDaPvRmT3_T4_T5_mT6_P12ihipStream_tbENKUlT_T0_E_clISt17integral_constantIbLb0EESX_EEDaSS_ST_EUlSS_E0_NS1_11comp_targetILNS1_3genE4ELNS1_11target_archE910ELNS1_3gpuE8ELNS1_3repE0EEENS1_30default_config_static_selectorELNS0_4arch9wavefront6targetE1EEEvT1_
    .private_segment_fixed_size: 0
    .sgpr_count:     14
    .sgpr_spill_count: 0
    .symbol:         _ZN7rocprim17ROCPRIM_400000_NS6detail17trampoline_kernelINS0_14default_configENS1_20scan_config_selectorIyEEZZNS1_9scan_implILNS1_25lookback_scan_determinismE0ELb1ELb1ES3_N6thrust23THRUST_200600_302600_NS6detail15normal_iteratorINS9_10device_ptrIyEEEENS9_16discard_iteratorINS9_11use_defaultEEEyNS9_4plusIvEEyEEDaPvRmT3_T4_T5_mT6_P12ihipStream_tbENKUlT_T0_E_clISt17integral_constantIbLb0EESX_EEDaSS_ST_EUlSS_E0_NS1_11comp_targetILNS1_3genE4ELNS1_11target_archE910ELNS1_3gpuE8ELNS1_3repE0EEENS1_30default_config_static_selectorELNS0_4arch9wavefront6targetE1EEEvT1_.kd
    .uniform_work_group_size: 1
    .uses_dynamic_stack: false
    .vgpr_count:     29
    .vgpr_spill_count: 0
    .wavefront_size: 64
  - .agpr_count:     0
    .args:
      - .offset:         0
        .size:           48
        .value_kind:     by_value
    .group_segment_fixed_size: 0
    .kernarg_segment_align: 8
    .kernarg_segment_size: 48
    .language:       OpenCL C
    .language_version:
      - 2
      - 0
    .max_flat_workgroup_size: 256
    .name:           _ZN7rocprim17ROCPRIM_400000_NS6detail17trampoline_kernelINS0_14default_configENS1_20scan_config_selectorIyEEZZNS1_9scan_implILNS1_25lookback_scan_determinismE0ELb1ELb1ES3_N6thrust23THRUST_200600_302600_NS6detail15normal_iteratorINS9_10device_ptrIyEEEENS9_16discard_iteratorINS9_11use_defaultEEEyNS9_4plusIvEEyEEDaPvRmT3_T4_T5_mT6_P12ihipStream_tbENKUlT_T0_E_clISt17integral_constantIbLb0EESX_EEDaSS_ST_EUlSS_E0_NS1_11comp_targetILNS1_3genE3ELNS1_11target_archE908ELNS1_3gpuE7ELNS1_3repE0EEENS1_30default_config_static_selectorELNS0_4arch9wavefront6targetE1EEEvT1_
    .private_segment_fixed_size: 0
    .sgpr_count:     4
    .sgpr_spill_count: 0
    .symbol:         _ZN7rocprim17ROCPRIM_400000_NS6detail17trampoline_kernelINS0_14default_configENS1_20scan_config_selectorIyEEZZNS1_9scan_implILNS1_25lookback_scan_determinismE0ELb1ELb1ES3_N6thrust23THRUST_200600_302600_NS6detail15normal_iteratorINS9_10device_ptrIyEEEENS9_16discard_iteratorINS9_11use_defaultEEEyNS9_4plusIvEEyEEDaPvRmT3_T4_T5_mT6_P12ihipStream_tbENKUlT_T0_E_clISt17integral_constantIbLb0EESX_EEDaSS_ST_EUlSS_E0_NS1_11comp_targetILNS1_3genE3ELNS1_11target_archE908ELNS1_3gpuE7ELNS1_3repE0EEENS1_30default_config_static_selectorELNS0_4arch9wavefront6targetE1EEEvT1_.kd
    .uniform_work_group_size: 1
    .uses_dynamic_stack: false
    .vgpr_count:     0
    .vgpr_spill_count: 0
    .wavefront_size: 64
  - .agpr_count:     0
    .args:
      - .offset:         0
        .size:           48
        .value_kind:     by_value
    .group_segment_fixed_size: 0
    .kernarg_segment_align: 8
    .kernarg_segment_size: 48
    .language:       OpenCL C
    .language_version:
      - 2
      - 0
    .max_flat_workgroup_size: 64
    .name:           _ZN7rocprim17ROCPRIM_400000_NS6detail17trampoline_kernelINS0_14default_configENS1_20scan_config_selectorIyEEZZNS1_9scan_implILNS1_25lookback_scan_determinismE0ELb1ELb1ES3_N6thrust23THRUST_200600_302600_NS6detail15normal_iteratorINS9_10device_ptrIyEEEENS9_16discard_iteratorINS9_11use_defaultEEEyNS9_4plusIvEEyEEDaPvRmT3_T4_T5_mT6_P12ihipStream_tbENKUlT_T0_E_clISt17integral_constantIbLb0EESX_EEDaSS_ST_EUlSS_E0_NS1_11comp_targetILNS1_3genE2ELNS1_11target_archE906ELNS1_3gpuE6ELNS1_3repE0EEENS1_30default_config_static_selectorELNS0_4arch9wavefront6targetE1EEEvT1_
    .private_segment_fixed_size: 0
    .sgpr_count:     4
    .sgpr_spill_count: 0
    .symbol:         _ZN7rocprim17ROCPRIM_400000_NS6detail17trampoline_kernelINS0_14default_configENS1_20scan_config_selectorIyEEZZNS1_9scan_implILNS1_25lookback_scan_determinismE0ELb1ELb1ES3_N6thrust23THRUST_200600_302600_NS6detail15normal_iteratorINS9_10device_ptrIyEEEENS9_16discard_iteratorINS9_11use_defaultEEEyNS9_4plusIvEEyEEDaPvRmT3_T4_T5_mT6_P12ihipStream_tbENKUlT_T0_E_clISt17integral_constantIbLb0EESX_EEDaSS_ST_EUlSS_E0_NS1_11comp_targetILNS1_3genE2ELNS1_11target_archE906ELNS1_3gpuE6ELNS1_3repE0EEENS1_30default_config_static_selectorELNS0_4arch9wavefront6targetE1EEEvT1_.kd
    .uniform_work_group_size: 1
    .uses_dynamic_stack: false
    .vgpr_count:     0
    .vgpr_spill_count: 0
    .wavefront_size: 64
  - .agpr_count:     0
    .args:
      - .offset:         0
        .size:           48
        .value_kind:     by_value
    .group_segment_fixed_size: 0
    .kernarg_segment_align: 8
    .kernarg_segment_size: 48
    .language:       OpenCL C
    .language_version:
      - 2
      - 0
    .max_flat_workgroup_size: 256
    .name:           _ZN7rocprim17ROCPRIM_400000_NS6detail17trampoline_kernelINS0_14default_configENS1_20scan_config_selectorIyEEZZNS1_9scan_implILNS1_25lookback_scan_determinismE0ELb1ELb1ES3_N6thrust23THRUST_200600_302600_NS6detail15normal_iteratorINS9_10device_ptrIyEEEENS9_16discard_iteratorINS9_11use_defaultEEEyNS9_4plusIvEEyEEDaPvRmT3_T4_T5_mT6_P12ihipStream_tbENKUlT_T0_E_clISt17integral_constantIbLb0EESX_EEDaSS_ST_EUlSS_E0_NS1_11comp_targetILNS1_3genE10ELNS1_11target_archE1201ELNS1_3gpuE5ELNS1_3repE0EEENS1_30default_config_static_selectorELNS0_4arch9wavefront6targetE1EEEvT1_
    .private_segment_fixed_size: 0
    .sgpr_count:     4
    .sgpr_spill_count: 0
    .symbol:         _ZN7rocprim17ROCPRIM_400000_NS6detail17trampoline_kernelINS0_14default_configENS1_20scan_config_selectorIyEEZZNS1_9scan_implILNS1_25lookback_scan_determinismE0ELb1ELb1ES3_N6thrust23THRUST_200600_302600_NS6detail15normal_iteratorINS9_10device_ptrIyEEEENS9_16discard_iteratorINS9_11use_defaultEEEyNS9_4plusIvEEyEEDaPvRmT3_T4_T5_mT6_P12ihipStream_tbENKUlT_T0_E_clISt17integral_constantIbLb0EESX_EEDaSS_ST_EUlSS_E0_NS1_11comp_targetILNS1_3genE10ELNS1_11target_archE1201ELNS1_3gpuE5ELNS1_3repE0EEENS1_30default_config_static_selectorELNS0_4arch9wavefront6targetE1EEEvT1_.kd
    .uniform_work_group_size: 1
    .uses_dynamic_stack: false
    .vgpr_count:     0
    .vgpr_spill_count: 0
    .wavefront_size: 64
  - .agpr_count:     0
    .args:
      - .offset:         0
        .size:           48
        .value_kind:     by_value
    .group_segment_fixed_size: 0
    .kernarg_segment_align: 8
    .kernarg_segment_size: 48
    .language:       OpenCL C
    .language_version:
      - 2
      - 0
    .max_flat_workgroup_size: 256
    .name:           _ZN7rocprim17ROCPRIM_400000_NS6detail17trampoline_kernelINS0_14default_configENS1_20scan_config_selectorIyEEZZNS1_9scan_implILNS1_25lookback_scan_determinismE0ELb1ELb1ES3_N6thrust23THRUST_200600_302600_NS6detail15normal_iteratorINS9_10device_ptrIyEEEENS9_16discard_iteratorINS9_11use_defaultEEEyNS9_4plusIvEEyEEDaPvRmT3_T4_T5_mT6_P12ihipStream_tbENKUlT_T0_E_clISt17integral_constantIbLb0EESX_EEDaSS_ST_EUlSS_E0_NS1_11comp_targetILNS1_3genE10ELNS1_11target_archE1200ELNS1_3gpuE4ELNS1_3repE0EEENS1_30default_config_static_selectorELNS0_4arch9wavefront6targetE1EEEvT1_
    .private_segment_fixed_size: 0
    .sgpr_count:     4
    .sgpr_spill_count: 0
    .symbol:         _ZN7rocprim17ROCPRIM_400000_NS6detail17trampoline_kernelINS0_14default_configENS1_20scan_config_selectorIyEEZZNS1_9scan_implILNS1_25lookback_scan_determinismE0ELb1ELb1ES3_N6thrust23THRUST_200600_302600_NS6detail15normal_iteratorINS9_10device_ptrIyEEEENS9_16discard_iteratorINS9_11use_defaultEEEyNS9_4plusIvEEyEEDaPvRmT3_T4_T5_mT6_P12ihipStream_tbENKUlT_T0_E_clISt17integral_constantIbLb0EESX_EEDaSS_ST_EUlSS_E0_NS1_11comp_targetILNS1_3genE10ELNS1_11target_archE1200ELNS1_3gpuE4ELNS1_3repE0EEENS1_30default_config_static_selectorELNS0_4arch9wavefront6targetE1EEEvT1_.kd
    .uniform_work_group_size: 1
    .uses_dynamic_stack: false
    .vgpr_count:     0
    .vgpr_spill_count: 0
    .wavefront_size: 64
  - .agpr_count:     0
    .args:
      - .offset:         0
        .size:           48
        .value_kind:     by_value
    .group_segment_fixed_size: 0
    .kernarg_segment_align: 8
    .kernarg_segment_size: 48
    .language:       OpenCL C
    .language_version:
      - 2
      - 0
    .max_flat_workgroup_size: 256
    .name:           _ZN7rocprim17ROCPRIM_400000_NS6detail17trampoline_kernelINS0_14default_configENS1_20scan_config_selectorIyEEZZNS1_9scan_implILNS1_25lookback_scan_determinismE0ELb1ELb1ES3_N6thrust23THRUST_200600_302600_NS6detail15normal_iteratorINS9_10device_ptrIyEEEENS9_16discard_iteratorINS9_11use_defaultEEEyNS9_4plusIvEEyEEDaPvRmT3_T4_T5_mT6_P12ihipStream_tbENKUlT_T0_E_clISt17integral_constantIbLb0EESX_EEDaSS_ST_EUlSS_E0_NS1_11comp_targetILNS1_3genE9ELNS1_11target_archE1100ELNS1_3gpuE3ELNS1_3repE0EEENS1_30default_config_static_selectorELNS0_4arch9wavefront6targetE1EEEvT1_
    .private_segment_fixed_size: 0
    .sgpr_count:     4
    .sgpr_spill_count: 0
    .symbol:         _ZN7rocprim17ROCPRIM_400000_NS6detail17trampoline_kernelINS0_14default_configENS1_20scan_config_selectorIyEEZZNS1_9scan_implILNS1_25lookback_scan_determinismE0ELb1ELb1ES3_N6thrust23THRUST_200600_302600_NS6detail15normal_iteratorINS9_10device_ptrIyEEEENS9_16discard_iteratorINS9_11use_defaultEEEyNS9_4plusIvEEyEEDaPvRmT3_T4_T5_mT6_P12ihipStream_tbENKUlT_T0_E_clISt17integral_constantIbLb0EESX_EEDaSS_ST_EUlSS_E0_NS1_11comp_targetILNS1_3genE9ELNS1_11target_archE1100ELNS1_3gpuE3ELNS1_3repE0EEENS1_30default_config_static_selectorELNS0_4arch9wavefront6targetE1EEEvT1_.kd
    .uniform_work_group_size: 1
    .uses_dynamic_stack: false
    .vgpr_count:     0
    .vgpr_spill_count: 0
    .wavefront_size: 64
  - .agpr_count:     0
    .args:
      - .offset:         0
        .size:           48
        .value_kind:     by_value
    .group_segment_fixed_size: 0
    .kernarg_segment_align: 8
    .kernarg_segment_size: 48
    .language:       OpenCL C
    .language_version:
      - 2
      - 0
    .max_flat_workgroup_size: 256
    .name:           _ZN7rocprim17ROCPRIM_400000_NS6detail17trampoline_kernelINS0_14default_configENS1_20scan_config_selectorIyEEZZNS1_9scan_implILNS1_25lookback_scan_determinismE0ELb1ELb1ES3_N6thrust23THRUST_200600_302600_NS6detail15normal_iteratorINS9_10device_ptrIyEEEENS9_16discard_iteratorINS9_11use_defaultEEEyNS9_4plusIvEEyEEDaPvRmT3_T4_T5_mT6_P12ihipStream_tbENKUlT_T0_E_clISt17integral_constantIbLb0EESX_EEDaSS_ST_EUlSS_E0_NS1_11comp_targetILNS1_3genE8ELNS1_11target_archE1030ELNS1_3gpuE2ELNS1_3repE0EEENS1_30default_config_static_selectorELNS0_4arch9wavefront6targetE1EEEvT1_
    .private_segment_fixed_size: 0
    .sgpr_count:     4
    .sgpr_spill_count: 0
    .symbol:         _ZN7rocprim17ROCPRIM_400000_NS6detail17trampoline_kernelINS0_14default_configENS1_20scan_config_selectorIyEEZZNS1_9scan_implILNS1_25lookback_scan_determinismE0ELb1ELb1ES3_N6thrust23THRUST_200600_302600_NS6detail15normal_iteratorINS9_10device_ptrIyEEEENS9_16discard_iteratorINS9_11use_defaultEEEyNS9_4plusIvEEyEEDaPvRmT3_T4_T5_mT6_P12ihipStream_tbENKUlT_T0_E_clISt17integral_constantIbLb0EESX_EEDaSS_ST_EUlSS_E0_NS1_11comp_targetILNS1_3genE8ELNS1_11target_archE1030ELNS1_3gpuE2ELNS1_3repE0EEENS1_30default_config_static_selectorELNS0_4arch9wavefront6targetE1EEEvT1_.kd
    .uniform_work_group_size: 1
    .uses_dynamic_stack: false
    .vgpr_count:     0
    .vgpr_spill_count: 0
    .wavefront_size: 64
  - .agpr_count:     0
    .args:
      - .offset:         0
        .size:           112
        .value_kind:     by_value
    .group_segment_fixed_size: 0
    .kernarg_segment_align: 8
    .kernarg_segment_size: 112
    .language:       OpenCL C
    .language_version:
      - 2
      - 0
    .max_flat_workgroup_size: 256
    .name:           _ZN7rocprim17ROCPRIM_400000_NS6detail17trampoline_kernelINS0_14default_configENS1_20scan_config_selectorIyEEZZNS1_9scan_implILNS1_25lookback_scan_determinismE0ELb1ELb1ES3_N6thrust23THRUST_200600_302600_NS6detail15normal_iteratorINS9_10device_ptrIyEEEENS9_16discard_iteratorINS9_11use_defaultEEEyNS9_4plusIvEEyEEDaPvRmT3_T4_T5_mT6_P12ihipStream_tbENKUlT_T0_E_clISt17integral_constantIbLb1EESX_EEDaSS_ST_EUlSS_E_NS1_11comp_targetILNS1_3genE0ELNS1_11target_archE4294967295ELNS1_3gpuE0ELNS1_3repE0EEENS1_30default_config_static_selectorELNS0_4arch9wavefront6targetE1EEEvT1_
    .private_segment_fixed_size: 0
    .sgpr_count:     4
    .sgpr_spill_count: 0
    .symbol:         _ZN7rocprim17ROCPRIM_400000_NS6detail17trampoline_kernelINS0_14default_configENS1_20scan_config_selectorIyEEZZNS1_9scan_implILNS1_25lookback_scan_determinismE0ELb1ELb1ES3_N6thrust23THRUST_200600_302600_NS6detail15normal_iteratorINS9_10device_ptrIyEEEENS9_16discard_iteratorINS9_11use_defaultEEEyNS9_4plusIvEEyEEDaPvRmT3_T4_T5_mT6_P12ihipStream_tbENKUlT_T0_E_clISt17integral_constantIbLb1EESX_EEDaSS_ST_EUlSS_E_NS1_11comp_targetILNS1_3genE0ELNS1_11target_archE4294967295ELNS1_3gpuE0ELNS1_3repE0EEENS1_30default_config_static_selectorELNS0_4arch9wavefront6targetE1EEEvT1_.kd
    .uniform_work_group_size: 1
    .uses_dynamic_stack: false
    .vgpr_count:     0
    .vgpr_spill_count: 0
    .wavefront_size: 64
  - .agpr_count:     0
    .args:
      - .offset:         0
        .size:           112
        .value_kind:     by_value
    .group_segment_fixed_size: 0
    .kernarg_segment_align: 8
    .kernarg_segment_size: 112
    .language:       OpenCL C
    .language_version:
      - 2
      - 0
    .max_flat_workgroup_size: 256
    .name:           _ZN7rocprim17ROCPRIM_400000_NS6detail17trampoline_kernelINS0_14default_configENS1_20scan_config_selectorIyEEZZNS1_9scan_implILNS1_25lookback_scan_determinismE0ELb1ELb1ES3_N6thrust23THRUST_200600_302600_NS6detail15normal_iteratorINS9_10device_ptrIyEEEENS9_16discard_iteratorINS9_11use_defaultEEEyNS9_4plusIvEEyEEDaPvRmT3_T4_T5_mT6_P12ihipStream_tbENKUlT_T0_E_clISt17integral_constantIbLb1EESX_EEDaSS_ST_EUlSS_E_NS1_11comp_targetILNS1_3genE5ELNS1_11target_archE942ELNS1_3gpuE9ELNS1_3repE0EEENS1_30default_config_static_selectorELNS0_4arch9wavefront6targetE1EEEvT1_
    .private_segment_fixed_size: 0
    .sgpr_count:     4
    .sgpr_spill_count: 0
    .symbol:         _ZN7rocprim17ROCPRIM_400000_NS6detail17trampoline_kernelINS0_14default_configENS1_20scan_config_selectorIyEEZZNS1_9scan_implILNS1_25lookback_scan_determinismE0ELb1ELb1ES3_N6thrust23THRUST_200600_302600_NS6detail15normal_iteratorINS9_10device_ptrIyEEEENS9_16discard_iteratorINS9_11use_defaultEEEyNS9_4plusIvEEyEEDaPvRmT3_T4_T5_mT6_P12ihipStream_tbENKUlT_T0_E_clISt17integral_constantIbLb1EESX_EEDaSS_ST_EUlSS_E_NS1_11comp_targetILNS1_3genE5ELNS1_11target_archE942ELNS1_3gpuE9ELNS1_3repE0EEENS1_30default_config_static_selectorELNS0_4arch9wavefront6targetE1EEEvT1_.kd
    .uniform_work_group_size: 1
    .uses_dynamic_stack: false
    .vgpr_count:     0
    .vgpr_spill_count: 0
    .wavefront_size: 64
  - .agpr_count:     0
    .args:
      - .offset:         0
        .size:           112
        .value_kind:     by_value
    .group_segment_fixed_size: 7168
    .kernarg_segment_align: 8
    .kernarg_segment_size: 112
    .language:       OpenCL C
    .language_version:
      - 2
      - 0
    .max_flat_workgroup_size: 128
    .name:           _ZN7rocprim17ROCPRIM_400000_NS6detail17trampoline_kernelINS0_14default_configENS1_20scan_config_selectorIyEEZZNS1_9scan_implILNS1_25lookback_scan_determinismE0ELb1ELb1ES3_N6thrust23THRUST_200600_302600_NS6detail15normal_iteratorINS9_10device_ptrIyEEEENS9_16discard_iteratorINS9_11use_defaultEEEyNS9_4plusIvEEyEEDaPvRmT3_T4_T5_mT6_P12ihipStream_tbENKUlT_T0_E_clISt17integral_constantIbLb1EESX_EEDaSS_ST_EUlSS_E_NS1_11comp_targetILNS1_3genE4ELNS1_11target_archE910ELNS1_3gpuE8ELNS1_3repE0EEENS1_30default_config_static_selectorELNS0_4arch9wavefront6targetE1EEEvT1_
    .private_segment_fixed_size: 0
    .sgpr_count:     40
    .sgpr_spill_count: 0
    .symbol:         _ZN7rocprim17ROCPRIM_400000_NS6detail17trampoline_kernelINS0_14default_configENS1_20scan_config_selectorIyEEZZNS1_9scan_implILNS1_25lookback_scan_determinismE0ELb1ELb1ES3_N6thrust23THRUST_200600_302600_NS6detail15normal_iteratorINS9_10device_ptrIyEEEENS9_16discard_iteratorINS9_11use_defaultEEEyNS9_4plusIvEEyEEDaPvRmT3_T4_T5_mT6_P12ihipStream_tbENKUlT_T0_E_clISt17integral_constantIbLb1EESX_EEDaSS_ST_EUlSS_E_NS1_11comp_targetILNS1_3genE4ELNS1_11target_archE910ELNS1_3gpuE8ELNS1_3repE0EEENS1_30default_config_static_selectorELNS0_4arch9wavefront6targetE1EEEvT1_.kd
    .uniform_work_group_size: 1
    .uses_dynamic_stack: false
    .vgpr_count:     50
    .vgpr_spill_count: 0
    .wavefront_size: 64
  - .agpr_count:     0
    .args:
      - .offset:         0
        .size:           112
        .value_kind:     by_value
    .group_segment_fixed_size: 0
    .kernarg_segment_align: 8
    .kernarg_segment_size: 112
    .language:       OpenCL C
    .language_version:
      - 2
      - 0
    .max_flat_workgroup_size: 256
    .name:           _ZN7rocprim17ROCPRIM_400000_NS6detail17trampoline_kernelINS0_14default_configENS1_20scan_config_selectorIyEEZZNS1_9scan_implILNS1_25lookback_scan_determinismE0ELb1ELb1ES3_N6thrust23THRUST_200600_302600_NS6detail15normal_iteratorINS9_10device_ptrIyEEEENS9_16discard_iteratorINS9_11use_defaultEEEyNS9_4plusIvEEyEEDaPvRmT3_T4_T5_mT6_P12ihipStream_tbENKUlT_T0_E_clISt17integral_constantIbLb1EESX_EEDaSS_ST_EUlSS_E_NS1_11comp_targetILNS1_3genE3ELNS1_11target_archE908ELNS1_3gpuE7ELNS1_3repE0EEENS1_30default_config_static_selectorELNS0_4arch9wavefront6targetE1EEEvT1_
    .private_segment_fixed_size: 0
    .sgpr_count:     4
    .sgpr_spill_count: 0
    .symbol:         _ZN7rocprim17ROCPRIM_400000_NS6detail17trampoline_kernelINS0_14default_configENS1_20scan_config_selectorIyEEZZNS1_9scan_implILNS1_25lookback_scan_determinismE0ELb1ELb1ES3_N6thrust23THRUST_200600_302600_NS6detail15normal_iteratorINS9_10device_ptrIyEEEENS9_16discard_iteratorINS9_11use_defaultEEEyNS9_4plusIvEEyEEDaPvRmT3_T4_T5_mT6_P12ihipStream_tbENKUlT_T0_E_clISt17integral_constantIbLb1EESX_EEDaSS_ST_EUlSS_E_NS1_11comp_targetILNS1_3genE3ELNS1_11target_archE908ELNS1_3gpuE7ELNS1_3repE0EEENS1_30default_config_static_selectorELNS0_4arch9wavefront6targetE1EEEvT1_.kd
    .uniform_work_group_size: 1
    .uses_dynamic_stack: false
    .vgpr_count:     0
    .vgpr_spill_count: 0
    .wavefront_size: 64
  - .agpr_count:     0
    .args:
      - .offset:         0
        .size:           112
        .value_kind:     by_value
    .group_segment_fixed_size: 0
    .kernarg_segment_align: 8
    .kernarg_segment_size: 112
    .language:       OpenCL C
    .language_version:
      - 2
      - 0
    .max_flat_workgroup_size: 64
    .name:           _ZN7rocprim17ROCPRIM_400000_NS6detail17trampoline_kernelINS0_14default_configENS1_20scan_config_selectorIyEEZZNS1_9scan_implILNS1_25lookback_scan_determinismE0ELb1ELb1ES3_N6thrust23THRUST_200600_302600_NS6detail15normal_iteratorINS9_10device_ptrIyEEEENS9_16discard_iteratorINS9_11use_defaultEEEyNS9_4plusIvEEyEEDaPvRmT3_T4_T5_mT6_P12ihipStream_tbENKUlT_T0_E_clISt17integral_constantIbLb1EESX_EEDaSS_ST_EUlSS_E_NS1_11comp_targetILNS1_3genE2ELNS1_11target_archE906ELNS1_3gpuE6ELNS1_3repE0EEENS1_30default_config_static_selectorELNS0_4arch9wavefront6targetE1EEEvT1_
    .private_segment_fixed_size: 0
    .sgpr_count:     4
    .sgpr_spill_count: 0
    .symbol:         _ZN7rocprim17ROCPRIM_400000_NS6detail17trampoline_kernelINS0_14default_configENS1_20scan_config_selectorIyEEZZNS1_9scan_implILNS1_25lookback_scan_determinismE0ELb1ELb1ES3_N6thrust23THRUST_200600_302600_NS6detail15normal_iteratorINS9_10device_ptrIyEEEENS9_16discard_iteratorINS9_11use_defaultEEEyNS9_4plusIvEEyEEDaPvRmT3_T4_T5_mT6_P12ihipStream_tbENKUlT_T0_E_clISt17integral_constantIbLb1EESX_EEDaSS_ST_EUlSS_E_NS1_11comp_targetILNS1_3genE2ELNS1_11target_archE906ELNS1_3gpuE6ELNS1_3repE0EEENS1_30default_config_static_selectorELNS0_4arch9wavefront6targetE1EEEvT1_.kd
    .uniform_work_group_size: 1
    .uses_dynamic_stack: false
    .vgpr_count:     0
    .vgpr_spill_count: 0
    .wavefront_size: 64
  - .agpr_count:     0
    .args:
      - .offset:         0
        .size:           112
        .value_kind:     by_value
    .group_segment_fixed_size: 0
    .kernarg_segment_align: 8
    .kernarg_segment_size: 112
    .language:       OpenCL C
    .language_version:
      - 2
      - 0
    .max_flat_workgroup_size: 256
    .name:           _ZN7rocprim17ROCPRIM_400000_NS6detail17trampoline_kernelINS0_14default_configENS1_20scan_config_selectorIyEEZZNS1_9scan_implILNS1_25lookback_scan_determinismE0ELb1ELb1ES3_N6thrust23THRUST_200600_302600_NS6detail15normal_iteratorINS9_10device_ptrIyEEEENS9_16discard_iteratorINS9_11use_defaultEEEyNS9_4plusIvEEyEEDaPvRmT3_T4_T5_mT6_P12ihipStream_tbENKUlT_T0_E_clISt17integral_constantIbLb1EESX_EEDaSS_ST_EUlSS_E_NS1_11comp_targetILNS1_3genE10ELNS1_11target_archE1201ELNS1_3gpuE5ELNS1_3repE0EEENS1_30default_config_static_selectorELNS0_4arch9wavefront6targetE1EEEvT1_
    .private_segment_fixed_size: 0
    .sgpr_count:     4
    .sgpr_spill_count: 0
    .symbol:         _ZN7rocprim17ROCPRIM_400000_NS6detail17trampoline_kernelINS0_14default_configENS1_20scan_config_selectorIyEEZZNS1_9scan_implILNS1_25lookback_scan_determinismE0ELb1ELb1ES3_N6thrust23THRUST_200600_302600_NS6detail15normal_iteratorINS9_10device_ptrIyEEEENS9_16discard_iteratorINS9_11use_defaultEEEyNS9_4plusIvEEyEEDaPvRmT3_T4_T5_mT6_P12ihipStream_tbENKUlT_T0_E_clISt17integral_constantIbLb1EESX_EEDaSS_ST_EUlSS_E_NS1_11comp_targetILNS1_3genE10ELNS1_11target_archE1201ELNS1_3gpuE5ELNS1_3repE0EEENS1_30default_config_static_selectorELNS0_4arch9wavefront6targetE1EEEvT1_.kd
    .uniform_work_group_size: 1
    .uses_dynamic_stack: false
    .vgpr_count:     0
    .vgpr_spill_count: 0
    .wavefront_size: 64
  - .agpr_count:     0
    .args:
      - .offset:         0
        .size:           112
        .value_kind:     by_value
    .group_segment_fixed_size: 0
    .kernarg_segment_align: 8
    .kernarg_segment_size: 112
    .language:       OpenCL C
    .language_version:
      - 2
      - 0
    .max_flat_workgroup_size: 256
    .name:           _ZN7rocprim17ROCPRIM_400000_NS6detail17trampoline_kernelINS0_14default_configENS1_20scan_config_selectorIyEEZZNS1_9scan_implILNS1_25lookback_scan_determinismE0ELb1ELb1ES3_N6thrust23THRUST_200600_302600_NS6detail15normal_iteratorINS9_10device_ptrIyEEEENS9_16discard_iteratorINS9_11use_defaultEEEyNS9_4plusIvEEyEEDaPvRmT3_T4_T5_mT6_P12ihipStream_tbENKUlT_T0_E_clISt17integral_constantIbLb1EESX_EEDaSS_ST_EUlSS_E_NS1_11comp_targetILNS1_3genE10ELNS1_11target_archE1200ELNS1_3gpuE4ELNS1_3repE0EEENS1_30default_config_static_selectorELNS0_4arch9wavefront6targetE1EEEvT1_
    .private_segment_fixed_size: 0
    .sgpr_count:     4
    .sgpr_spill_count: 0
    .symbol:         _ZN7rocprim17ROCPRIM_400000_NS6detail17trampoline_kernelINS0_14default_configENS1_20scan_config_selectorIyEEZZNS1_9scan_implILNS1_25lookback_scan_determinismE0ELb1ELb1ES3_N6thrust23THRUST_200600_302600_NS6detail15normal_iteratorINS9_10device_ptrIyEEEENS9_16discard_iteratorINS9_11use_defaultEEEyNS9_4plusIvEEyEEDaPvRmT3_T4_T5_mT6_P12ihipStream_tbENKUlT_T0_E_clISt17integral_constantIbLb1EESX_EEDaSS_ST_EUlSS_E_NS1_11comp_targetILNS1_3genE10ELNS1_11target_archE1200ELNS1_3gpuE4ELNS1_3repE0EEENS1_30default_config_static_selectorELNS0_4arch9wavefront6targetE1EEEvT1_.kd
    .uniform_work_group_size: 1
    .uses_dynamic_stack: false
    .vgpr_count:     0
    .vgpr_spill_count: 0
    .wavefront_size: 64
  - .agpr_count:     0
    .args:
      - .offset:         0
        .size:           112
        .value_kind:     by_value
    .group_segment_fixed_size: 0
    .kernarg_segment_align: 8
    .kernarg_segment_size: 112
    .language:       OpenCL C
    .language_version:
      - 2
      - 0
    .max_flat_workgroup_size: 256
    .name:           _ZN7rocprim17ROCPRIM_400000_NS6detail17trampoline_kernelINS0_14default_configENS1_20scan_config_selectorIyEEZZNS1_9scan_implILNS1_25lookback_scan_determinismE0ELb1ELb1ES3_N6thrust23THRUST_200600_302600_NS6detail15normal_iteratorINS9_10device_ptrIyEEEENS9_16discard_iteratorINS9_11use_defaultEEEyNS9_4plusIvEEyEEDaPvRmT3_T4_T5_mT6_P12ihipStream_tbENKUlT_T0_E_clISt17integral_constantIbLb1EESX_EEDaSS_ST_EUlSS_E_NS1_11comp_targetILNS1_3genE9ELNS1_11target_archE1100ELNS1_3gpuE3ELNS1_3repE0EEENS1_30default_config_static_selectorELNS0_4arch9wavefront6targetE1EEEvT1_
    .private_segment_fixed_size: 0
    .sgpr_count:     4
    .sgpr_spill_count: 0
    .symbol:         _ZN7rocprim17ROCPRIM_400000_NS6detail17trampoline_kernelINS0_14default_configENS1_20scan_config_selectorIyEEZZNS1_9scan_implILNS1_25lookback_scan_determinismE0ELb1ELb1ES3_N6thrust23THRUST_200600_302600_NS6detail15normal_iteratorINS9_10device_ptrIyEEEENS9_16discard_iteratorINS9_11use_defaultEEEyNS9_4plusIvEEyEEDaPvRmT3_T4_T5_mT6_P12ihipStream_tbENKUlT_T0_E_clISt17integral_constantIbLb1EESX_EEDaSS_ST_EUlSS_E_NS1_11comp_targetILNS1_3genE9ELNS1_11target_archE1100ELNS1_3gpuE3ELNS1_3repE0EEENS1_30default_config_static_selectorELNS0_4arch9wavefront6targetE1EEEvT1_.kd
    .uniform_work_group_size: 1
    .uses_dynamic_stack: false
    .vgpr_count:     0
    .vgpr_spill_count: 0
    .wavefront_size: 64
  - .agpr_count:     0
    .args:
      - .offset:         0
        .size:           112
        .value_kind:     by_value
    .group_segment_fixed_size: 0
    .kernarg_segment_align: 8
    .kernarg_segment_size: 112
    .language:       OpenCL C
    .language_version:
      - 2
      - 0
    .max_flat_workgroup_size: 256
    .name:           _ZN7rocprim17ROCPRIM_400000_NS6detail17trampoline_kernelINS0_14default_configENS1_20scan_config_selectorIyEEZZNS1_9scan_implILNS1_25lookback_scan_determinismE0ELb1ELb1ES3_N6thrust23THRUST_200600_302600_NS6detail15normal_iteratorINS9_10device_ptrIyEEEENS9_16discard_iteratorINS9_11use_defaultEEEyNS9_4plusIvEEyEEDaPvRmT3_T4_T5_mT6_P12ihipStream_tbENKUlT_T0_E_clISt17integral_constantIbLb1EESX_EEDaSS_ST_EUlSS_E_NS1_11comp_targetILNS1_3genE8ELNS1_11target_archE1030ELNS1_3gpuE2ELNS1_3repE0EEENS1_30default_config_static_selectorELNS0_4arch9wavefront6targetE1EEEvT1_
    .private_segment_fixed_size: 0
    .sgpr_count:     4
    .sgpr_spill_count: 0
    .symbol:         _ZN7rocprim17ROCPRIM_400000_NS6detail17trampoline_kernelINS0_14default_configENS1_20scan_config_selectorIyEEZZNS1_9scan_implILNS1_25lookback_scan_determinismE0ELb1ELb1ES3_N6thrust23THRUST_200600_302600_NS6detail15normal_iteratorINS9_10device_ptrIyEEEENS9_16discard_iteratorINS9_11use_defaultEEEyNS9_4plusIvEEyEEDaPvRmT3_T4_T5_mT6_P12ihipStream_tbENKUlT_T0_E_clISt17integral_constantIbLb1EESX_EEDaSS_ST_EUlSS_E_NS1_11comp_targetILNS1_3genE8ELNS1_11target_archE1030ELNS1_3gpuE2ELNS1_3repE0EEENS1_30default_config_static_selectorELNS0_4arch9wavefront6targetE1EEEvT1_.kd
    .uniform_work_group_size: 1
    .uses_dynamic_stack: false
    .vgpr_count:     0
    .vgpr_spill_count: 0
    .wavefront_size: 64
  - .agpr_count:     0
    .args:
      - .offset:         0
        .size:           48
        .value_kind:     by_value
    .group_segment_fixed_size: 0
    .kernarg_segment_align: 8
    .kernarg_segment_size: 48
    .language:       OpenCL C
    .language_version:
      - 2
      - 0
    .max_flat_workgroup_size: 256
    .name:           _ZN7rocprim17ROCPRIM_400000_NS6detail17trampoline_kernelINS0_14default_configENS1_20scan_config_selectorIyEEZZNS1_9scan_implILNS1_25lookback_scan_determinismE0ELb1ELb1ES3_N6thrust23THRUST_200600_302600_NS6detail15normal_iteratorINS9_10device_ptrIyEEEENS9_16discard_iteratorINS9_11use_defaultEEEyNS9_4plusIvEEyEEDaPvRmT3_T4_T5_mT6_P12ihipStream_tbENKUlT_T0_E_clISt17integral_constantIbLb1EESX_EEDaSS_ST_EUlSS_E0_NS1_11comp_targetILNS1_3genE0ELNS1_11target_archE4294967295ELNS1_3gpuE0ELNS1_3repE0EEENS1_30default_config_static_selectorELNS0_4arch9wavefront6targetE1EEEvT1_
    .private_segment_fixed_size: 0
    .sgpr_count:     4
    .sgpr_spill_count: 0
    .symbol:         _ZN7rocprim17ROCPRIM_400000_NS6detail17trampoline_kernelINS0_14default_configENS1_20scan_config_selectorIyEEZZNS1_9scan_implILNS1_25lookback_scan_determinismE0ELb1ELb1ES3_N6thrust23THRUST_200600_302600_NS6detail15normal_iteratorINS9_10device_ptrIyEEEENS9_16discard_iteratorINS9_11use_defaultEEEyNS9_4plusIvEEyEEDaPvRmT3_T4_T5_mT6_P12ihipStream_tbENKUlT_T0_E_clISt17integral_constantIbLb1EESX_EEDaSS_ST_EUlSS_E0_NS1_11comp_targetILNS1_3genE0ELNS1_11target_archE4294967295ELNS1_3gpuE0ELNS1_3repE0EEENS1_30default_config_static_selectorELNS0_4arch9wavefront6targetE1EEEvT1_.kd
    .uniform_work_group_size: 1
    .uses_dynamic_stack: false
    .vgpr_count:     0
    .vgpr_spill_count: 0
    .wavefront_size: 64
  - .agpr_count:     0
    .args:
      - .offset:         0
        .size:           48
        .value_kind:     by_value
    .group_segment_fixed_size: 0
    .kernarg_segment_align: 8
    .kernarg_segment_size: 48
    .language:       OpenCL C
    .language_version:
      - 2
      - 0
    .max_flat_workgroup_size: 256
    .name:           _ZN7rocprim17ROCPRIM_400000_NS6detail17trampoline_kernelINS0_14default_configENS1_20scan_config_selectorIyEEZZNS1_9scan_implILNS1_25lookback_scan_determinismE0ELb1ELb1ES3_N6thrust23THRUST_200600_302600_NS6detail15normal_iteratorINS9_10device_ptrIyEEEENS9_16discard_iteratorINS9_11use_defaultEEEyNS9_4plusIvEEyEEDaPvRmT3_T4_T5_mT6_P12ihipStream_tbENKUlT_T0_E_clISt17integral_constantIbLb1EESX_EEDaSS_ST_EUlSS_E0_NS1_11comp_targetILNS1_3genE5ELNS1_11target_archE942ELNS1_3gpuE9ELNS1_3repE0EEENS1_30default_config_static_selectorELNS0_4arch9wavefront6targetE1EEEvT1_
    .private_segment_fixed_size: 0
    .sgpr_count:     4
    .sgpr_spill_count: 0
    .symbol:         _ZN7rocprim17ROCPRIM_400000_NS6detail17trampoline_kernelINS0_14default_configENS1_20scan_config_selectorIyEEZZNS1_9scan_implILNS1_25lookback_scan_determinismE0ELb1ELb1ES3_N6thrust23THRUST_200600_302600_NS6detail15normal_iteratorINS9_10device_ptrIyEEEENS9_16discard_iteratorINS9_11use_defaultEEEyNS9_4plusIvEEyEEDaPvRmT3_T4_T5_mT6_P12ihipStream_tbENKUlT_T0_E_clISt17integral_constantIbLb1EESX_EEDaSS_ST_EUlSS_E0_NS1_11comp_targetILNS1_3genE5ELNS1_11target_archE942ELNS1_3gpuE9ELNS1_3repE0EEENS1_30default_config_static_selectorELNS0_4arch9wavefront6targetE1EEEvT1_.kd
    .uniform_work_group_size: 1
    .uses_dynamic_stack: false
    .vgpr_count:     0
    .vgpr_spill_count: 0
    .wavefront_size: 64
  - .agpr_count:     0
    .args:
      - .offset:         0
        .size:           48
        .value_kind:     by_value
    .group_segment_fixed_size: 7168
    .kernarg_segment_align: 8
    .kernarg_segment_size: 48
    .language:       OpenCL C
    .language_version:
      - 2
      - 0
    .max_flat_workgroup_size: 128
    .name:           _ZN7rocprim17ROCPRIM_400000_NS6detail17trampoline_kernelINS0_14default_configENS1_20scan_config_selectorIyEEZZNS1_9scan_implILNS1_25lookback_scan_determinismE0ELb1ELb1ES3_N6thrust23THRUST_200600_302600_NS6detail15normal_iteratorINS9_10device_ptrIyEEEENS9_16discard_iteratorINS9_11use_defaultEEEyNS9_4plusIvEEyEEDaPvRmT3_T4_T5_mT6_P12ihipStream_tbENKUlT_T0_E_clISt17integral_constantIbLb1EESX_EEDaSS_ST_EUlSS_E0_NS1_11comp_targetILNS1_3genE4ELNS1_11target_archE910ELNS1_3gpuE8ELNS1_3repE0EEENS1_30default_config_static_selectorELNS0_4arch9wavefront6targetE1EEEvT1_
    .private_segment_fixed_size: 0
    .sgpr_count:     14
    .sgpr_spill_count: 0
    .symbol:         _ZN7rocprim17ROCPRIM_400000_NS6detail17trampoline_kernelINS0_14default_configENS1_20scan_config_selectorIyEEZZNS1_9scan_implILNS1_25lookback_scan_determinismE0ELb1ELb1ES3_N6thrust23THRUST_200600_302600_NS6detail15normal_iteratorINS9_10device_ptrIyEEEENS9_16discard_iteratorINS9_11use_defaultEEEyNS9_4plusIvEEyEEDaPvRmT3_T4_T5_mT6_P12ihipStream_tbENKUlT_T0_E_clISt17integral_constantIbLb1EESX_EEDaSS_ST_EUlSS_E0_NS1_11comp_targetILNS1_3genE4ELNS1_11target_archE910ELNS1_3gpuE8ELNS1_3repE0EEENS1_30default_config_static_selectorELNS0_4arch9wavefront6targetE1EEEvT1_.kd
    .uniform_work_group_size: 1
    .uses_dynamic_stack: false
    .vgpr_count:     29
    .vgpr_spill_count: 0
    .wavefront_size: 64
  - .agpr_count:     0
    .args:
      - .offset:         0
        .size:           48
        .value_kind:     by_value
    .group_segment_fixed_size: 0
    .kernarg_segment_align: 8
    .kernarg_segment_size: 48
    .language:       OpenCL C
    .language_version:
      - 2
      - 0
    .max_flat_workgroup_size: 256
    .name:           _ZN7rocprim17ROCPRIM_400000_NS6detail17trampoline_kernelINS0_14default_configENS1_20scan_config_selectorIyEEZZNS1_9scan_implILNS1_25lookback_scan_determinismE0ELb1ELb1ES3_N6thrust23THRUST_200600_302600_NS6detail15normal_iteratorINS9_10device_ptrIyEEEENS9_16discard_iteratorINS9_11use_defaultEEEyNS9_4plusIvEEyEEDaPvRmT3_T4_T5_mT6_P12ihipStream_tbENKUlT_T0_E_clISt17integral_constantIbLb1EESX_EEDaSS_ST_EUlSS_E0_NS1_11comp_targetILNS1_3genE3ELNS1_11target_archE908ELNS1_3gpuE7ELNS1_3repE0EEENS1_30default_config_static_selectorELNS0_4arch9wavefront6targetE1EEEvT1_
    .private_segment_fixed_size: 0
    .sgpr_count:     4
    .sgpr_spill_count: 0
    .symbol:         _ZN7rocprim17ROCPRIM_400000_NS6detail17trampoline_kernelINS0_14default_configENS1_20scan_config_selectorIyEEZZNS1_9scan_implILNS1_25lookback_scan_determinismE0ELb1ELb1ES3_N6thrust23THRUST_200600_302600_NS6detail15normal_iteratorINS9_10device_ptrIyEEEENS9_16discard_iteratorINS9_11use_defaultEEEyNS9_4plusIvEEyEEDaPvRmT3_T4_T5_mT6_P12ihipStream_tbENKUlT_T0_E_clISt17integral_constantIbLb1EESX_EEDaSS_ST_EUlSS_E0_NS1_11comp_targetILNS1_3genE3ELNS1_11target_archE908ELNS1_3gpuE7ELNS1_3repE0EEENS1_30default_config_static_selectorELNS0_4arch9wavefront6targetE1EEEvT1_.kd
    .uniform_work_group_size: 1
    .uses_dynamic_stack: false
    .vgpr_count:     0
    .vgpr_spill_count: 0
    .wavefront_size: 64
  - .agpr_count:     0
    .args:
      - .offset:         0
        .size:           48
        .value_kind:     by_value
    .group_segment_fixed_size: 0
    .kernarg_segment_align: 8
    .kernarg_segment_size: 48
    .language:       OpenCL C
    .language_version:
      - 2
      - 0
    .max_flat_workgroup_size: 64
    .name:           _ZN7rocprim17ROCPRIM_400000_NS6detail17trampoline_kernelINS0_14default_configENS1_20scan_config_selectorIyEEZZNS1_9scan_implILNS1_25lookback_scan_determinismE0ELb1ELb1ES3_N6thrust23THRUST_200600_302600_NS6detail15normal_iteratorINS9_10device_ptrIyEEEENS9_16discard_iteratorINS9_11use_defaultEEEyNS9_4plusIvEEyEEDaPvRmT3_T4_T5_mT6_P12ihipStream_tbENKUlT_T0_E_clISt17integral_constantIbLb1EESX_EEDaSS_ST_EUlSS_E0_NS1_11comp_targetILNS1_3genE2ELNS1_11target_archE906ELNS1_3gpuE6ELNS1_3repE0EEENS1_30default_config_static_selectorELNS0_4arch9wavefront6targetE1EEEvT1_
    .private_segment_fixed_size: 0
    .sgpr_count:     4
    .sgpr_spill_count: 0
    .symbol:         _ZN7rocprim17ROCPRIM_400000_NS6detail17trampoline_kernelINS0_14default_configENS1_20scan_config_selectorIyEEZZNS1_9scan_implILNS1_25lookback_scan_determinismE0ELb1ELb1ES3_N6thrust23THRUST_200600_302600_NS6detail15normal_iteratorINS9_10device_ptrIyEEEENS9_16discard_iteratorINS9_11use_defaultEEEyNS9_4plusIvEEyEEDaPvRmT3_T4_T5_mT6_P12ihipStream_tbENKUlT_T0_E_clISt17integral_constantIbLb1EESX_EEDaSS_ST_EUlSS_E0_NS1_11comp_targetILNS1_3genE2ELNS1_11target_archE906ELNS1_3gpuE6ELNS1_3repE0EEENS1_30default_config_static_selectorELNS0_4arch9wavefront6targetE1EEEvT1_.kd
    .uniform_work_group_size: 1
    .uses_dynamic_stack: false
    .vgpr_count:     0
    .vgpr_spill_count: 0
    .wavefront_size: 64
  - .agpr_count:     0
    .args:
      - .offset:         0
        .size:           48
        .value_kind:     by_value
    .group_segment_fixed_size: 0
    .kernarg_segment_align: 8
    .kernarg_segment_size: 48
    .language:       OpenCL C
    .language_version:
      - 2
      - 0
    .max_flat_workgroup_size: 256
    .name:           _ZN7rocprim17ROCPRIM_400000_NS6detail17trampoline_kernelINS0_14default_configENS1_20scan_config_selectorIyEEZZNS1_9scan_implILNS1_25lookback_scan_determinismE0ELb1ELb1ES3_N6thrust23THRUST_200600_302600_NS6detail15normal_iteratorINS9_10device_ptrIyEEEENS9_16discard_iteratorINS9_11use_defaultEEEyNS9_4plusIvEEyEEDaPvRmT3_T4_T5_mT6_P12ihipStream_tbENKUlT_T0_E_clISt17integral_constantIbLb1EESX_EEDaSS_ST_EUlSS_E0_NS1_11comp_targetILNS1_3genE10ELNS1_11target_archE1201ELNS1_3gpuE5ELNS1_3repE0EEENS1_30default_config_static_selectorELNS0_4arch9wavefront6targetE1EEEvT1_
    .private_segment_fixed_size: 0
    .sgpr_count:     4
    .sgpr_spill_count: 0
    .symbol:         _ZN7rocprim17ROCPRIM_400000_NS6detail17trampoline_kernelINS0_14default_configENS1_20scan_config_selectorIyEEZZNS1_9scan_implILNS1_25lookback_scan_determinismE0ELb1ELb1ES3_N6thrust23THRUST_200600_302600_NS6detail15normal_iteratorINS9_10device_ptrIyEEEENS9_16discard_iteratorINS9_11use_defaultEEEyNS9_4plusIvEEyEEDaPvRmT3_T4_T5_mT6_P12ihipStream_tbENKUlT_T0_E_clISt17integral_constantIbLb1EESX_EEDaSS_ST_EUlSS_E0_NS1_11comp_targetILNS1_3genE10ELNS1_11target_archE1201ELNS1_3gpuE5ELNS1_3repE0EEENS1_30default_config_static_selectorELNS0_4arch9wavefront6targetE1EEEvT1_.kd
    .uniform_work_group_size: 1
    .uses_dynamic_stack: false
    .vgpr_count:     0
    .vgpr_spill_count: 0
    .wavefront_size: 64
  - .agpr_count:     0
    .args:
      - .offset:         0
        .size:           48
        .value_kind:     by_value
    .group_segment_fixed_size: 0
    .kernarg_segment_align: 8
    .kernarg_segment_size: 48
    .language:       OpenCL C
    .language_version:
      - 2
      - 0
    .max_flat_workgroup_size: 256
    .name:           _ZN7rocprim17ROCPRIM_400000_NS6detail17trampoline_kernelINS0_14default_configENS1_20scan_config_selectorIyEEZZNS1_9scan_implILNS1_25lookback_scan_determinismE0ELb1ELb1ES3_N6thrust23THRUST_200600_302600_NS6detail15normal_iteratorINS9_10device_ptrIyEEEENS9_16discard_iteratorINS9_11use_defaultEEEyNS9_4plusIvEEyEEDaPvRmT3_T4_T5_mT6_P12ihipStream_tbENKUlT_T0_E_clISt17integral_constantIbLb1EESX_EEDaSS_ST_EUlSS_E0_NS1_11comp_targetILNS1_3genE10ELNS1_11target_archE1200ELNS1_3gpuE4ELNS1_3repE0EEENS1_30default_config_static_selectorELNS0_4arch9wavefront6targetE1EEEvT1_
    .private_segment_fixed_size: 0
    .sgpr_count:     4
    .sgpr_spill_count: 0
    .symbol:         _ZN7rocprim17ROCPRIM_400000_NS6detail17trampoline_kernelINS0_14default_configENS1_20scan_config_selectorIyEEZZNS1_9scan_implILNS1_25lookback_scan_determinismE0ELb1ELb1ES3_N6thrust23THRUST_200600_302600_NS6detail15normal_iteratorINS9_10device_ptrIyEEEENS9_16discard_iteratorINS9_11use_defaultEEEyNS9_4plusIvEEyEEDaPvRmT3_T4_T5_mT6_P12ihipStream_tbENKUlT_T0_E_clISt17integral_constantIbLb1EESX_EEDaSS_ST_EUlSS_E0_NS1_11comp_targetILNS1_3genE10ELNS1_11target_archE1200ELNS1_3gpuE4ELNS1_3repE0EEENS1_30default_config_static_selectorELNS0_4arch9wavefront6targetE1EEEvT1_.kd
    .uniform_work_group_size: 1
    .uses_dynamic_stack: false
    .vgpr_count:     0
    .vgpr_spill_count: 0
    .wavefront_size: 64
  - .agpr_count:     0
    .args:
      - .offset:         0
        .size:           48
        .value_kind:     by_value
    .group_segment_fixed_size: 0
    .kernarg_segment_align: 8
    .kernarg_segment_size: 48
    .language:       OpenCL C
    .language_version:
      - 2
      - 0
    .max_flat_workgroup_size: 256
    .name:           _ZN7rocprim17ROCPRIM_400000_NS6detail17trampoline_kernelINS0_14default_configENS1_20scan_config_selectorIyEEZZNS1_9scan_implILNS1_25lookback_scan_determinismE0ELb1ELb1ES3_N6thrust23THRUST_200600_302600_NS6detail15normal_iteratorINS9_10device_ptrIyEEEENS9_16discard_iteratorINS9_11use_defaultEEEyNS9_4plusIvEEyEEDaPvRmT3_T4_T5_mT6_P12ihipStream_tbENKUlT_T0_E_clISt17integral_constantIbLb1EESX_EEDaSS_ST_EUlSS_E0_NS1_11comp_targetILNS1_3genE9ELNS1_11target_archE1100ELNS1_3gpuE3ELNS1_3repE0EEENS1_30default_config_static_selectorELNS0_4arch9wavefront6targetE1EEEvT1_
    .private_segment_fixed_size: 0
    .sgpr_count:     4
    .sgpr_spill_count: 0
    .symbol:         _ZN7rocprim17ROCPRIM_400000_NS6detail17trampoline_kernelINS0_14default_configENS1_20scan_config_selectorIyEEZZNS1_9scan_implILNS1_25lookback_scan_determinismE0ELb1ELb1ES3_N6thrust23THRUST_200600_302600_NS6detail15normal_iteratorINS9_10device_ptrIyEEEENS9_16discard_iteratorINS9_11use_defaultEEEyNS9_4plusIvEEyEEDaPvRmT3_T4_T5_mT6_P12ihipStream_tbENKUlT_T0_E_clISt17integral_constantIbLb1EESX_EEDaSS_ST_EUlSS_E0_NS1_11comp_targetILNS1_3genE9ELNS1_11target_archE1100ELNS1_3gpuE3ELNS1_3repE0EEENS1_30default_config_static_selectorELNS0_4arch9wavefront6targetE1EEEvT1_.kd
    .uniform_work_group_size: 1
    .uses_dynamic_stack: false
    .vgpr_count:     0
    .vgpr_spill_count: 0
    .wavefront_size: 64
  - .agpr_count:     0
    .args:
      - .offset:         0
        .size:           48
        .value_kind:     by_value
    .group_segment_fixed_size: 0
    .kernarg_segment_align: 8
    .kernarg_segment_size: 48
    .language:       OpenCL C
    .language_version:
      - 2
      - 0
    .max_flat_workgroup_size: 256
    .name:           _ZN7rocprim17ROCPRIM_400000_NS6detail17trampoline_kernelINS0_14default_configENS1_20scan_config_selectorIyEEZZNS1_9scan_implILNS1_25lookback_scan_determinismE0ELb1ELb1ES3_N6thrust23THRUST_200600_302600_NS6detail15normal_iteratorINS9_10device_ptrIyEEEENS9_16discard_iteratorINS9_11use_defaultEEEyNS9_4plusIvEEyEEDaPvRmT3_T4_T5_mT6_P12ihipStream_tbENKUlT_T0_E_clISt17integral_constantIbLb1EESX_EEDaSS_ST_EUlSS_E0_NS1_11comp_targetILNS1_3genE8ELNS1_11target_archE1030ELNS1_3gpuE2ELNS1_3repE0EEENS1_30default_config_static_selectorELNS0_4arch9wavefront6targetE1EEEvT1_
    .private_segment_fixed_size: 0
    .sgpr_count:     4
    .sgpr_spill_count: 0
    .symbol:         _ZN7rocprim17ROCPRIM_400000_NS6detail17trampoline_kernelINS0_14default_configENS1_20scan_config_selectorIyEEZZNS1_9scan_implILNS1_25lookback_scan_determinismE0ELb1ELb1ES3_N6thrust23THRUST_200600_302600_NS6detail15normal_iteratorINS9_10device_ptrIyEEEENS9_16discard_iteratorINS9_11use_defaultEEEyNS9_4plusIvEEyEEDaPvRmT3_T4_T5_mT6_P12ihipStream_tbENKUlT_T0_E_clISt17integral_constantIbLb1EESX_EEDaSS_ST_EUlSS_E0_NS1_11comp_targetILNS1_3genE8ELNS1_11target_archE1030ELNS1_3gpuE2ELNS1_3repE0EEENS1_30default_config_static_selectorELNS0_4arch9wavefront6targetE1EEEvT1_.kd
    .uniform_work_group_size: 1
    .uses_dynamic_stack: false
    .vgpr_count:     0
    .vgpr_spill_count: 0
    .wavefront_size: 64
  - .agpr_count:     0
    .args:
      - .offset:         0
        .size:           112
        .value_kind:     by_value
    .group_segment_fixed_size: 0
    .kernarg_segment_align: 8
    .kernarg_segment_size: 112
    .language:       OpenCL C
    .language_version:
      - 2
      - 0
    .max_flat_workgroup_size: 256
    .name:           _ZN7rocprim17ROCPRIM_400000_NS6detail17trampoline_kernelINS0_14default_configENS1_20scan_config_selectorIyEEZZNS1_9scan_implILNS1_25lookback_scan_determinismE0ELb1ELb1ES3_N6thrust23THRUST_200600_302600_NS6detail15normal_iteratorINS9_10device_ptrIyEEEENS9_16discard_iteratorINS9_11use_defaultEEEyNS9_4plusIvEEyEEDaPvRmT3_T4_T5_mT6_P12ihipStream_tbENKUlT_T0_E_clISt17integral_constantIbLb1EESW_IbLb0EEEEDaSS_ST_EUlSS_E_NS1_11comp_targetILNS1_3genE0ELNS1_11target_archE4294967295ELNS1_3gpuE0ELNS1_3repE0EEENS1_30default_config_static_selectorELNS0_4arch9wavefront6targetE1EEEvT1_
    .private_segment_fixed_size: 0
    .sgpr_count:     4
    .sgpr_spill_count: 0
    .symbol:         _ZN7rocprim17ROCPRIM_400000_NS6detail17trampoline_kernelINS0_14default_configENS1_20scan_config_selectorIyEEZZNS1_9scan_implILNS1_25lookback_scan_determinismE0ELb1ELb1ES3_N6thrust23THRUST_200600_302600_NS6detail15normal_iteratorINS9_10device_ptrIyEEEENS9_16discard_iteratorINS9_11use_defaultEEEyNS9_4plusIvEEyEEDaPvRmT3_T4_T5_mT6_P12ihipStream_tbENKUlT_T0_E_clISt17integral_constantIbLb1EESW_IbLb0EEEEDaSS_ST_EUlSS_E_NS1_11comp_targetILNS1_3genE0ELNS1_11target_archE4294967295ELNS1_3gpuE0ELNS1_3repE0EEENS1_30default_config_static_selectorELNS0_4arch9wavefront6targetE1EEEvT1_.kd
    .uniform_work_group_size: 1
    .uses_dynamic_stack: false
    .vgpr_count:     0
    .vgpr_spill_count: 0
    .wavefront_size: 64
  - .agpr_count:     0
    .args:
      - .offset:         0
        .size:           112
        .value_kind:     by_value
    .group_segment_fixed_size: 0
    .kernarg_segment_align: 8
    .kernarg_segment_size: 112
    .language:       OpenCL C
    .language_version:
      - 2
      - 0
    .max_flat_workgroup_size: 256
    .name:           _ZN7rocprim17ROCPRIM_400000_NS6detail17trampoline_kernelINS0_14default_configENS1_20scan_config_selectorIyEEZZNS1_9scan_implILNS1_25lookback_scan_determinismE0ELb1ELb1ES3_N6thrust23THRUST_200600_302600_NS6detail15normal_iteratorINS9_10device_ptrIyEEEENS9_16discard_iteratorINS9_11use_defaultEEEyNS9_4plusIvEEyEEDaPvRmT3_T4_T5_mT6_P12ihipStream_tbENKUlT_T0_E_clISt17integral_constantIbLb1EESW_IbLb0EEEEDaSS_ST_EUlSS_E_NS1_11comp_targetILNS1_3genE5ELNS1_11target_archE942ELNS1_3gpuE9ELNS1_3repE0EEENS1_30default_config_static_selectorELNS0_4arch9wavefront6targetE1EEEvT1_
    .private_segment_fixed_size: 0
    .sgpr_count:     4
    .sgpr_spill_count: 0
    .symbol:         _ZN7rocprim17ROCPRIM_400000_NS6detail17trampoline_kernelINS0_14default_configENS1_20scan_config_selectorIyEEZZNS1_9scan_implILNS1_25lookback_scan_determinismE0ELb1ELb1ES3_N6thrust23THRUST_200600_302600_NS6detail15normal_iteratorINS9_10device_ptrIyEEEENS9_16discard_iteratorINS9_11use_defaultEEEyNS9_4plusIvEEyEEDaPvRmT3_T4_T5_mT6_P12ihipStream_tbENKUlT_T0_E_clISt17integral_constantIbLb1EESW_IbLb0EEEEDaSS_ST_EUlSS_E_NS1_11comp_targetILNS1_3genE5ELNS1_11target_archE942ELNS1_3gpuE9ELNS1_3repE0EEENS1_30default_config_static_selectorELNS0_4arch9wavefront6targetE1EEEvT1_.kd
    .uniform_work_group_size: 1
    .uses_dynamic_stack: false
    .vgpr_count:     0
    .vgpr_spill_count: 0
    .wavefront_size: 64
  - .agpr_count:     0
    .args:
      - .offset:         0
        .size:           112
        .value_kind:     by_value
    .group_segment_fixed_size: 7168
    .kernarg_segment_align: 8
    .kernarg_segment_size: 112
    .language:       OpenCL C
    .language_version:
      - 2
      - 0
    .max_flat_workgroup_size: 128
    .name:           _ZN7rocprim17ROCPRIM_400000_NS6detail17trampoline_kernelINS0_14default_configENS1_20scan_config_selectorIyEEZZNS1_9scan_implILNS1_25lookback_scan_determinismE0ELb1ELb1ES3_N6thrust23THRUST_200600_302600_NS6detail15normal_iteratorINS9_10device_ptrIyEEEENS9_16discard_iteratorINS9_11use_defaultEEEyNS9_4plusIvEEyEEDaPvRmT3_T4_T5_mT6_P12ihipStream_tbENKUlT_T0_E_clISt17integral_constantIbLb1EESW_IbLb0EEEEDaSS_ST_EUlSS_E_NS1_11comp_targetILNS1_3genE4ELNS1_11target_archE910ELNS1_3gpuE8ELNS1_3repE0EEENS1_30default_config_static_selectorELNS0_4arch9wavefront6targetE1EEEvT1_
    .private_segment_fixed_size: 0
    .sgpr_count:     30
    .sgpr_spill_count: 0
    .symbol:         _ZN7rocprim17ROCPRIM_400000_NS6detail17trampoline_kernelINS0_14default_configENS1_20scan_config_selectorIyEEZZNS1_9scan_implILNS1_25lookback_scan_determinismE0ELb1ELb1ES3_N6thrust23THRUST_200600_302600_NS6detail15normal_iteratorINS9_10device_ptrIyEEEENS9_16discard_iteratorINS9_11use_defaultEEEyNS9_4plusIvEEyEEDaPvRmT3_T4_T5_mT6_P12ihipStream_tbENKUlT_T0_E_clISt17integral_constantIbLb1EESW_IbLb0EEEEDaSS_ST_EUlSS_E_NS1_11comp_targetILNS1_3genE4ELNS1_11target_archE910ELNS1_3gpuE8ELNS1_3repE0EEENS1_30default_config_static_selectorELNS0_4arch9wavefront6targetE1EEEvT1_.kd
    .uniform_work_group_size: 1
    .uses_dynamic_stack: false
    .vgpr_count:     50
    .vgpr_spill_count: 0
    .wavefront_size: 64
  - .agpr_count:     0
    .args:
      - .offset:         0
        .size:           112
        .value_kind:     by_value
    .group_segment_fixed_size: 0
    .kernarg_segment_align: 8
    .kernarg_segment_size: 112
    .language:       OpenCL C
    .language_version:
      - 2
      - 0
    .max_flat_workgroup_size: 256
    .name:           _ZN7rocprim17ROCPRIM_400000_NS6detail17trampoline_kernelINS0_14default_configENS1_20scan_config_selectorIyEEZZNS1_9scan_implILNS1_25lookback_scan_determinismE0ELb1ELb1ES3_N6thrust23THRUST_200600_302600_NS6detail15normal_iteratorINS9_10device_ptrIyEEEENS9_16discard_iteratorINS9_11use_defaultEEEyNS9_4plusIvEEyEEDaPvRmT3_T4_T5_mT6_P12ihipStream_tbENKUlT_T0_E_clISt17integral_constantIbLb1EESW_IbLb0EEEEDaSS_ST_EUlSS_E_NS1_11comp_targetILNS1_3genE3ELNS1_11target_archE908ELNS1_3gpuE7ELNS1_3repE0EEENS1_30default_config_static_selectorELNS0_4arch9wavefront6targetE1EEEvT1_
    .private_segment_fixed_size: 0
    .sgpr_count:     4
    .sgpr_spill_count: 0
    .symbol:         _ZN7rocprim17ROCPRIM_400000_NS6detail17trampoline_kernelINS0_14default_configENS1_20scan_config_selectorIyEEZZNS1_9scan_implILNS1_25lookback_scan_determinismE0ELb1ELb1ES3_N6thrust23THRUST_200600_302600_NS6detail15normal_iteratorINS9_10device_ptrIyEEEENS9_16discard_iteratorINS9_11use_defaultEEEyNS9_4plusIvEEyEEDaPvRmT3_T4_T5_mT6_P12ihipStream_tbENKUlT_T0_E_clISt17integral_constantIbLb1EESW_IbLb0EEEEDaSS_ST_EUlSS_E_NS1_11comp_targetILNS1_3genE3ELNS1_11target_archE908ELNS1_3gpuE7ELNS1_3repE0EEENS1_30default_config_static_selectorELNS0_4arch9wavefront6targetE1EEEvT1_.kd
    .uniform_work_group_size: 1
    .uses_dynamic_stack: false
    .vgpr_count:     0
    .vgpr_spill_count: 0
    .wavefront_size: 64
  - .agpr_count:     0
    .args:
      - .offset:         0
        .size:           112
        .value_kind:     by_value
    .group_segment_fixed_size: 0
    .kernarg_segment_align: 8
    .kernarg_segment_size: 112
    .language:       OpenCL C
    .language_version:
      - 2
      - 0
    .max_flat_workgroup_size: 64
    .name:           _ZN7rocprim17ROCPRIM_400000_NS6detail17trampoline_kernelINS0_14default_configENS1_20scan_config_selectorIyEEZZNS1_9scan_implILNS1_25lookback_scan_determinismE0ELb1ELb1ES3_N6thrust23THRUST_200600_302600_NS6detail15normal_iteratorINS9_10device_ptrIyEEEENS9_16discard_iteratorINS9_11use_defaultEEEyNS9_4plusIvEEyEEDaPvRmT3_T4_T5_mT6_P12ihipStream_tbENKUlT_T0_E_clISt17integral_constantIbLb1EESW_IbLb0EEEEDaSS_ST_EUlSS_E_NS1_11comp_targetILNS1_3genE2ELNS1_11target_archE906ELNS1_3gpuE6ELNS1_3repE0EEENS1_30default_config_static_selectorELNS0_4arch9wavefront6targetE1EEEvT1_
    .private_segment_fixed_size: 0
    .sgpr_count:     4
    .sgpr_spill_count: 0
    .symbol:         _ZN7rocprim17ROCPRIM_400000_NS6detail17trampoline_kernelINS0_14default_configENS1_20scan_config_selectorIyEEZZNS1_9scan_implILNS1_25lookback_scan_determinismE0ELb1ELb1ES3_N6thrust23THRUST_200600_302600_NS6detail15normal_iteratorINS9_10device_ptrIyEEEENS9_16discard_iteratorINS9_11use_defaultEEEyNS9_4plusIvEEyEEDaPvRmT3_T4_T5_mT6_P12ihipStream_tbENKUlT_T0_E_clISt17integral_constantIbLb1EESW_IbLb0EEEEDaSS_ST_EUlSS_E_NS1_11comp_targetILNS1_3genE2ELNS1_11target_archE906ELNS1_3gpuE6ELNS1_3repE0EEENS1_30default_config_static_selectorELNS0_4arch9wavefront6targetE1EEEvT1_.kd
    .uniform_work_group_size: 1
    .uses_dynamic_stack: false
    .vgpr_count:     0
    .vgpr_spill_count: 0
    .wavefront_size: 64
  - .agpr_count:     0
    .args:
      - .offset:         0
        .size:           112
        .value_kind:     by_value
    .group_segment_fixed_size: 0
    .kernarg_segment_align: 8
    .kernarg_segment_size: 112
    .language:       OpenCL C
    .language_version:
      - 2
      - 0
    .max_flat_workgroup_size: 256
    .name:           _ZN7rocprim17ROCPRIM_400000_NS6detail17trampoline_kernelINS0_14default_configENS1_20scan_config_selectorIyEEZZNS1_9scan_implILNS1_25lookback_scan_determinismE0ELb1ELb1ES3_N6thrust23THRUST_200600_302600_NS6detail15normal_iteratorINS9_10device_ptrIyEEEENS9_16discard_iteratorINS9_11use_defaultEEEyNS9_4plusIvEEyEEDaPvRmT3_T4_T5_mT6_P12ihipStream_tbENKUlT_T0_E_clISt17integral_constantIbLb1EESW_IbLb0EEEEDaSS_ST_EUlSS_E_NS1_11comp_targetILNS1_3genE10ELNS1_11target_archE1201ELNS1_3gpuE5ELNS1_3repE0EEENS1_30default_config_static_selectorELNS0_4arch9wavefront6targetE1EEEvT1_
    .private_segment_fixed_size: 0
    .sgpr_count:     4
    .sgpr_spill_count: 0
    .symbol:         _ZN7rocprim17ROCPRIM_400000_NS6detail17trampoline_kernelINS0_14default_configENS1_20scan_config_selectorIyEEZZNS1_9scan_implILNS1_25lookback_scan_determinismE0ELb1ELb1ES3_N6thrust23THRUST_200600_302600_NS6detail15normal_iteratorINS9_10device_ptrIyEEEENS9_16discard_iteratorINS9_11use_defaultEEEyNS9_4plusIvEEyEEDaPvRmT3_T4_T5_mT6_P12ihipStream_tbENKUlT_T0_E_clISt17integral_constantIbLb1EESW_IbLb0EEEEDaSS_ST_EUlSS_E_NS1_11comp_targetILNS1_3genE10ELNS1_11target_archE1201ELNS1_3gpuE5ELNS1_3repE0EEENS1_30default_config_static_selectorELNS0_4arch9wavefront6targetE1EEEvT1_.kd
    .uniform_work_group_size: 1
    .uses_dynamic_stack: false
    .vgpr_count:     0
    .vgpr_spill_count: 0
    .wavefront_size: 64
  - .agpr_count:     0
    .args:
      - .offset:         0
        .size:           112
        .value_kind:     by_value
    .group_segment_fixed_size: 0
    .kernarg_segment_align: 8
    .kernarg_segment_size: 112
    .language:       OpenCL C
    .language_version:
      - 2
      - 0
    .max_flat_workgroup_size: 256
    .name:           _ZN7rocprim17ROCPRIM_400000_NS6detail17trampoline_kernelINS0_14default_configENS1_20scan_config_selectorIyEEZZNS1_9scan_implILNS1_25lookback_scan_determinismE0ELb1ELb1ES3_N6thrust23THRUST_200600_302600_NS6detail15normal_iteratorINS9_10device_ptrIyEEEENS9_16discard_iteratorINS9_11use_defaultEEEyNS9_4plusIvEEyEEDaPvRmT3_T4_T5_mT6_P12ihipStream_tbENKUlT_T0_E_clISt17integral_constantIbLb1EESW_IbLb0EEEEDaSS_ST_EUlSS_E_NS1_11comp_targetILNS1_3genE10ELNS1_11target_archE1200ELNS1_3gpuE4ELNS1_3repE0EEENS1_30default_config_static_selectorELNS0_4arch9wavefront6targetE1EEEvT1_
    .private_segment_fixed_size: 0
    .sgpr_count:     4
    .sgpr_spill_count: 0
    .symbol:         _ZN7rocprim17ROCPRIM_400000_NS6detail17trampoline_kernelINS0_14default_configENS1_20scan_config_selectorIyEEZZNS1_9scan_implILNS1_25lookback_scan_determinismE0ELb1ELb1ES3_N6thrust23THRUST_200600_302600_NS6detail15normal_iteratorINS9_10device_ptrIyEEEENS9_16discard_iteratorINS9_11use_defaultEEEyNS9_4plusIvEEyEEDaPvRmT3_T4_T5_mT6_P12ihipStream_tbENKUlT_T0_E_clISt17integral_constantIbLb1EESW_IbLb0EEEEDaSS_ST_EUlSS_E_NS1_11comp_targetILNS1_3genE10ELNS1_11target_archE1200ELNS1_3gpuE4ELNS1_3repE0EEENS1_30default_config_static_selectorELNS0_4arch9wavefront6targetE1EEEvT1_.kd
    .uniform_work_group_size: 1
    .uses_dynamic_stack: false
    .vgpr_count:     0
    .vgpr_spill_count: 0
    .wavefront_size: 64
  - .agpr_count:     0
    .args:
      - .offset:         0
        .size:           112
        .value_kind:     by_value
    .group_segment_fixed_size: 0
    .kernarg_segment_align: 8
    .kernarg_segment_size: 112
    .language:       OpenCL C
    .language_version:
      - 2
      - 0
    .max_flat_workgroup_size: 256
    .name:           _ZN7rocprim17ROCPRIM_400000_NS6detail17trampoline_kernelINS0_14default_configENS1_20scan_config_selectorIyEEZZNS1_9scan_implILNS1_25lookback_scan_determinismE0ELb1ELb1ES3_N6thrust23THRUST_200600_302600_NS6detail15normal_iteratorINS9_10device_ptrIyEEEENS9_16discard_iteratorINS9_11use_defaultEEEyNS9_4plusIvEEyEEDaPvRmT3_T4_T5_mT6_P12ihipStream_tbENKUlT_T0_E_clISt17integral_constantIbLb1EESW_IbLb0EEEEDaSS_ST_EUlSS_E_NS1_11comp_targetILNS1_3genE9ELNS1_11target_archE1100ELNS1_3gpuE3ELNS1_3repE0EEENS1_30default_config_static_selectorELNS0_4arch9wavefront6targetE1EEEvT1_
    .private_segment_fixed_size: 0
    .sgpr_count:     4
    .sgpr_spill_count: 0
    .symbol:         _ZN7rocprim17ROCPRIM_400000_NS6detail17trampoline_kernelINS0_14default_configENS1_20scan_config_selectorIyEEZZNS1_9scan_implILNS1_25lookback_scan_determinismE0ELb1ELb1ES3_N6thrust23THRUST_200600_302600_NS6detail15normal_iteratorINS9_10device_ptrIyEEEENS9_16discard_iteratorINS9_11use_defaultEEEyNS9_4plusIvEEyEEDaPvRmT3_T4_T5_mT6_P12ihipStream_tbENKUlT_T0_E_clISt17integral_constantIbLb1EESW_IbLb0EEEEDaSS_ST_EUlSS_E_NS1_11comp_targetILNS1_3genE9ELNS1_11target_archE1100ELNS1_3gpuE3ELNS1_3repE0EEENS1_30default_config_static_selectorELNS0_4arch9wavefront6targetE1EEEvT1_.kd
    .uniform_work_group_size: 1
    .uses_dynamic_stack: false
    .vgpr_count:     0
    .vgpr_spill_count: 0
    .wavefront_size: 64
  - .agpr_count:     0
    .args:
      - .offset:         0
        .size:           112
        .value_kind:     by_value
    .group_segment_fixed_size: 0
    .kernarg_segment_align: 8
    .kernarg_segment_size: 112
    .language:       OpenCL C
    .language_version:
      - 2
      - 0
    .max_flat_workgroup_size: 256
    .name:           _ZN7rocprim17ROCPRIM_400000_NS6detail17trampoline_kernelINS0_14default_configENS1_20scan_config_selectorIyEEZZNS1_9scan_implILNS1_25lookback_scan_determinismE0ELb1ELb1ES3_N6thrust23THRUST_200600_302600_NS6detail15normal_iteratorINS9_10device_ptrIyEEEENS9_16discard_iteratorINS9_11use_defaultEEEyNS9_4plusIvEEyEEDaPvRmT3_T4_T5_mT6_P12ihipStream_tbENKUlT_T0_E_clISt17integral_constantIbLb1EESW_IbLb0EEEEDaSS_ST_EUlSS_E_NS1_11comp_targetILNS1_3genE8ELNS1_11target_archE1030ELNS1_3gpuE2ELNS1_3repE0EEENS1_30default_config_static_selectorELNS0_4arch9wavefront6targetE1EEEvT1_
    .private_segment_fixed_size: 0
    .sgpr_count:     4
    .sgpr_spill_count: 0
    .symbol:         _ZN7rocprim17ROCPRIM_400000_NS6detail17trampoline_kernelINS0_14default_configENS1_20scan_config_selectorIyEEZZNS1_9scan_implILNS1_25lookback_scan_determinismE0ELb1ELb1ES3_N6thrust23THRUST_200600_302600_NS6detail15normal_iteratorINS9_10device_ptrIyEEEENS9_16discard_iteratorINS9_11use_defaultEEEyNS9_4plusIvEEyEEDaPvRmT3_T4_T5_mT6_P12ihipStream_tbENKUlT_T0_E_clISt17integral_constantIbLb1EESW_IbLb0EEEEDaSS_ST_EUlSS_E_NS1_11comp_targetILNS1_3genE8ELNS1_11target_archE1030ELNS1_3gpuE2ELNS1_3repE0EEENS1_30default_config_static_selectorELNS0_4arch9wavefront6targetE1EEEvT1_.kd
    .uniform_work_group_size: 1
    .uses_dynamic_stack: false
    .vgpr_count:     0
    .vgpr_spill_count: 0
    .wavefront_size: 64
  - .agpr_count:     0
    .args:
      - .offset:         0
        .size:           48
        .value_kind:     by_value
    .group_segment_fixed_size: 0
    .kernarg_segment_align: 8
    .kernarg_segment_size: 48
    .language:       OpenCL C
    .language_version:
      - 2
      - 0
    .max_flat_workgroup_size: 256
    .name:           _ZN7rocprim17ROCPRIM_400000_NS6detail17trampoline_kernelINS0_14default_configENS1_20scan_config_selectorIyEEZZNS1_9scan_implILNS1_25lookback_scan_determinismE0ELb1ELb1ES3_N6thrust23THRUST_200600_302600_NS6detail15normal_iteratorINS9_10device_ptrIyEEEENS9_16discard_iteratorINS9_11use_defaultEEEyNS9_4plusIvEEyEEDaPvRmT3_T4_T5_mT6_P12ihipStream_tbENKUlT_T0_E_clISt17integral_constantIbLb1EESW_IbLb0EEEEDaSS_ST_EUlSS_E0_NS1_11comp_targetILNS1_3genE0ELNS1_11target_archE4294967295ELNS1_3gpuE0ELNS1_3repE0EEENS1_30default_config_static_selectorELNS0_4arch9wavefront6targetE1EEEvT1_
    .private_segment_fixed_size: 0
    .sgpr_count:     4
    .sgpr_spill_count: 0
    .symbol:         _ZN7rocprim17ROCPRIM_400000_NS6detail17trampoline_kernelINS0_14default_configENS1_20scan_config_selectorIyEEZZNS1_9scan_implILNS1_25lookback_scan_determinismE0ELb1ELb1ES3_N6thrust23THRUST_200600_302600_NS6detail15normal_iteratorINS9_10device_ptrIyEEEENS9_16discard_iteratorINS9_11use_defaultEEEyNS9_4plusIvEEyEEDaPvRmT3_T4_T5_mT6_P12ihipStream_tbENKUlT_T0_E_clISt17integral_constantIbLb1EESW_IbLb0EEEEDaSS_ST_EUlSS_E0_NS1_11comp_targetILNS1_3genE0ELNS1_11target_archE4294967295ELNS1_3gpuE0ELNS1_3repE0EEENS1_30default_config_static_selectorELNS0_4arch9wavefront6targetE1EEEvT1_.kd
    .uniform_work_group_size: 1
    .uses_dynamic_stack: false
    .vgpr_count:     0
    .vgpr_spill_count: 0
    .wavefront_size: 64
  - .agpr_count:     0
    .args:
      - .offset:         0
        .size:           48
        .value_kind:     by_value
    .group_segment_fixed_size: 0
    .kernarg_segment_align: 8
    .kernarg_segment_size: 48
    .language:       OpenCL C
    .language_version:
      - 2
      - 0
    .max_flat_workgroup_size: 256
    .name:           _ZN7rocprim17ROCPRIM_400000_NS6detail17trampoline_kernelINS0_14default_configENS1_20scan_config_selectorIyEEZZNS1_9scan_implILNS1_25lookback_scan_determinismE0ELb1ELb1ES3_N6thrust23THRUST_200600_302600_NS6detail15normal_iteratorINS9_10device_ptrIyEEEENS9_16discard_iteratorINS9_11use_defaultEEEyNS9_4plusIvEEyEEDaPvRmT3_T4_T5_mT6_P12ihipStream_tbENKUlT_T0_E_clISt17integral_constantIbLb1EESW_IbLb0EEEEDaSS_ST_EUlSS_E0_NS1_11comp_targetILNS1_3genE5ELNS1_11target_archE942ELNS1_3gpuE9ELNS1_3repE0EEENS1_30default_config_static_selectorELNS0_4arch9wavefront6targetE1EEEvT1_
    .private_segment_fixed_size: 0
    .sgpr_count:     4
    .sgpr_spill_count: 0
    .symbol:         _ZN7rocprim17ROCPRIM_400000_NS6detail17trampoline_kernelINS0_14default_configENS1_20scan_config_selectorIyEEZZNS1_9scan_implILNS1_25lookback_scan_determinismE0ELb1ELb1ES3_N6thrust23THRUST_200600_302600_NS6detail15normal_iteratorINS9_10device_ptrIyEEEENS9_16discard_iteratorINS9_11use_defaultEEEyNS9_4plusIvEEyEEDaPvRmT3_T4_T5_mT6_P12ihipStream_tbENKUlT_T0_E_clISt17integral_constantIbLb1EESW_IbLb0EEEEDaSS_ST_EUlSS_E0_NS1_11comp_targetILNS1_3genE5ELNS1_11target_archE942ELNS1_3gpuE9ELNS1_3repE0EEENS1_30default_config_static_selectorELNS0_4arch9wavefront6targetE1EEEvT1_.kd
    .uniform_work_group_size: 1
    .uses_dynamic_stack: false
    .vgpr_count:     0
    .vgpr_spill_count: 0
    .wavefront_size: 64
  - .agpr_count:     0
    .args:
      - .offset:         0
        .size:           48
        .value_kind:     by_value
    .group_segment_fixed_size: 7168
    .kernarg_segment_align: 8
    .kernarg_segment_size: 48
    .language:       OpenCL C
    .language_version:
      - 2
      - 0
    .max_flat_workgroup_size: 128
    .name:           _ZN7rocprim17ROCPRIM_400000_NS6detail17trampoline_kernelINS0_14default_configENS1_20scan_config_selectorIyEEZZNS1_9scan_implILNS1_25lookback_scan_determinismE0ELb1ELb1ES3_N6thrust23THRUST_200600_302600_NS6detail15normal_iteratorINS9_10device_ptrIyEEEENS9_16discard_iteratorINS9_11use_defaultEEEyNS9_4plusIvEEyEEDaPvRmT3_T4_T5_mT6_P12ihipStream_tbENKUlT_T0_E_clISt17integral_constantIbLb1EESW_IbLb0EEEEDaSS_ST_EUlSS_E0_NS1_11comp_targetILNS1_3genE4ELNS1_11target_archE910ELNS1_3gpuE8ELNS1_3repE0EEENS1_30default_config_static_selectorELNS0_4arch9wavefront6targetE1EEEvT1_
    .private_segment_fixed_size: 0
    .sgpr_count:     14
    .sgpr_spill_count: 0
    .symbol:         _ZN7rocprim17ROCPRIM_400000_NS6detail17trampoline_kernelINS0_14default_configENS1_20scan_config_selectorIyEEZZNS1_9scan_implILNS1_25lookback_scan_determinismE0ELb1ELb1ES3_N6thrust23THRUST_200600_302600_NS6detail15normal_iteratorINS9_10device_ptrIyEEEENS9_16discard_iteratorINS9_11use_defaultEEEyNS9_4plusIvEEyEEDaPvRmT3_T4_T5_mT6_P12ihipStream_tbENKUlT_T0_E_clISt17integral_constantIbLb1EESW_IbLb0EEEEDaSS_ST_EUlSS_E0_NS1_11comp_targetILNS1_3genE4ELNS1_11target_archE910ELNS1_3gpuE8ELNS1_3repE0EEENS1_30default_config_static_selectorELNS0_4arch9wavefront6targetE1EEEvT1_.kd
    .uniform_work_group_size: 1
    .uses_dynamic_stack: false
    .vgpr_count:     29
    .vgpr_spill_count: 0
    .wavefront_size: 64
  - .agpr_count:     0
    .args:
      - .offset:         0
        .size:           48
        .value_kind:     by_value
    .group_segment_fixed_size: 0
    .kernarg_segment_align: 8
    .kernarg_segment_size: 48
    .language:       OpenCL C
    .language_version:
      - 2
      - 0
    .max_flat_workgroup_size: 256
    .name:           _ZN7rocprim17ROCPRIM_400000_NS6detail17trampoline_kernelINS0_14default_configENS1_20scan_config_selectorIyEEZZNS1_9scan_implILNS1_25lookback_scan_determinismE0ELb1ELb1ES3_N6thrust23THRUST_200600_302600_NS6detail15normal_iteratorINS9_10device_ptrIyEEEENS9_16discard_iteratorINS9_11use_defaultEEEyNS9_4plusIvEEyEEDaPvRmT3_T4_T5_mT6_P12ihipStream_tbENKUlT_T0_E_clISt17integral_constantIbLb1EESW_IbLb0EEEEDaSS_ST_EUlSS_E0_NS1_11comp_targetILNS1_3genE3ELNS1_11target_archE908ELNS1_3gpuE7ELNS1_3repE0EEENS1_30default_config_static_selectorELNS0_4arch9wavefront6targetE1EEEvT1_
    .private_segment_fixed_size: 0
    .sgpr_count:     4
    .sgpr_spill_count: 0
    .symbol:         _ZN7rocprim17ROCPRIM_400000_NS6detail17trampoline_kernelINS0_14default_configENS1_20scan_config_selectorIyEEZZNS1_9scan_implILNS1_25lookback_scan_determinismE0ELb1ELb1ES3_N6thrust23THRUST_200600_302600_NS6detail15normal_iteratorINS9_10device_ptrIyEEEENS9_16discard_iteratorINS9_11use_defaultEEEyNS9_4plusIvEEyEEDaPvRmT3_T4_T5_mT6_P12ihipStream_tbENKUlT_T0_E_clISt17integral_constantIbLb1EESW_IbLb0EEEEDaSS_ST_EUlSS_E0_NS1_11comp_targetILNS1_3genE3ELNS1_11target_archE908ELNS1_3gpuE7ELNS1_3repE0EEENS1_30default_config_static_selectorELNS0_4arch9wavefront6targetE1EEEvT1_.kd
    .uniform_work_group_size: 1
    .uses_dynamic_stack: false
    .vgpr_count:     0
    .vgpr_spill_count: 0
    .wavefront_size: 64
  - .agpr_count:     0
    .args:
      - .offset:         0
        .size:           48
        .value_kind:     by_value
    .group_segment_fixed_size: 0
    .kernarg_segment_align: 8
    .kernarg_segment_size: 48
    .language:       OpenCL C
    .language_version:
      - 2
      - 0
    .max_flat_workgroup_size: 64
    .name:           _ZN7rocprim17ROCPRIM_400000_NS6detail17trampoline_kernelINS0_14default_configENS1_20scan_config_selectorIyEEZZNS1_9scan_implILNS1_25lookback_scan_determinismE0ELb1ELb1ES3_N6thrust23THRUST_200600_302600_NS6detail15normal_iteratorINS9_10device_ptrIyEEEENS9_16discard_iteratorINS9_11use_defaultEEEyNS9_4plusIvEEyEEDaPvRmT3_T4_T5_mT6_P12ihipStream_tbENKUlT_T0_E_clISt17integral_constantIbLb1EESW_IbLb0EEEEDaSS_ST_EUlSS_E0_NS1_11comp_targetILNS1_3genE2ELNS1_11target_archE906ELNS1_3gpuE6ELNS1_3repE0EEENS1_30default_config_static_selectorELNS0_4arch9wavefront6targetE1EEEvT1_
    .private_segment_fixed_size: 0
    .sgpr_count:     4
    .sgpr_spill_count: 0
    .symbol:         _ZN7rocprim17ROCPRIM_400000_NS6detail17trampoline_kernelINS0_14default_configENS1_20scan_config_selectorIyEEZZNS1_9scan_implILNS1_25lookback_scan_determinismE0ELb1ELb1ES3_N6thrust23THRUST_200600_302600_NS6detail15normal_iteratorINS9_10device_ptrIyEEEENS9_16discard_iteratorINS9_11use_defaultEEEyNS9_4plusIvEEyEEDaPvRmT3_T4_T5_mT6_P12ihipStream_tbENKUlT_T0_E_clISt17integral_constantIbLb1EESW_IbLb0EEEEDaSS_ST_EUlSS_E0_NS1_11comp_targetILNS1_3genE2ELNS1_11target_archE906ELNS1_3gpuE6ELNS1_3repE0EEENS1_30default_config_static_selectorELNS0_4arch9wavefront6targetE1EEEvT1_.kd
    .uniform_work_group_size: 1
    .uses_dynamic_stack: false
    .vgpr_count:     0
    .vgpr_spill_count: 0
    .wavefront_size: 64
  - .agpr_count:     0
    .args:
      - .offset:         0
        .size:           48
        .value_kind:     by_value
    .group_segment_fixed_size: 0
    .kernarg_segment_align: 8
    .kernarg_segment_size: 48
    .language:       OpenCL C
    .language_version:
      - 2
      - 0
    .max_flat_workgroup_size: 256
    .name:           _ZN7rocprim17ROCPRIM_400000_NS6detail17trampoline_kernelINS0_14default_configENS1_20scan_config_selectorIyEEZZNS1_9scan_implILNS1_25lookback_scan_determinismE0ELb1ELb1ES3_N6thrust23THRUST_200600_302600_NS6detail15normal_iteratorINS9_10device_ptrIyEEEENS9_16discard_iteratorINS9_11use_defaultEEEyNS9_4plusIvEEyEEDaPvRmT3_T4_T5_mT6_P12ihipStream_tbENKUlT_T0_E_clISt17integral_constantIbLb1EESW_IbLb0EEEEDaSS_ST_EUlSS_E0_NS1_11comp_targetILNS1_3genE10ELNS1_11target_archE1201ELNS1_3gpuE5ELNS1_3repE0EEENS1_30default_config_static_selectorELNS0_4arch9wavefront6targetE1EEEvT1_
    .private_segment_fixed_size: 0
    .sgpr_count:     4
    .sgpr_spill_count: 0
    .symbol:         _ZN7rocprim17ROCPRIM_400000_NS6detail17trampoline_kernelINS0_14default_configENS1_20scan_config_selectorIyEEZZNS1_9scan_implILNS1_25lookback_scan_determinismE0ELb1ELb1ES3_N6thrust23THRUST_200600_302600_NS6detail15normal_iteratorINS9_10device_ptrIyEEEENS9_16discard_iteratorINS9_11use_defaultEEEyNS9_4plusIvEEyEEDaPvRmT3_T4_T5_mT6_P12ihipStream_tbENKUlT_T0_E_clISt17integral_constantIbLb1EESW_IbLb0EEEEDaSS_ST_EUlSS_E0_NS1_11comp_targetILNS1_3genE10ELNS1_11target_archE1201ELNS1_3gpuE5ELNS1_3repE0EEENS1_30default_config_static_selectorELNS0_4arch9wavefront6targetE1EEEvT1_.kd
    .uniform_work_group_size: 1
    .uses_dynamic_stack: false
    .vgpr_count:     0
    .vgpr_spill_count: 0
    .wavefront_size: 64
  - .agpr_count:     0
    .args:
      - .offset:         0
        .size:           48
        .value_kind:     by_value
    .group_segment_fixed_size: 0
    .kernarg_segment_align: 8
    .kernarg_segment_size: 48
    .language:       OpenCL C
    .language_version:
      - 2
      - 0
    .max_flat_workgroup_size: 256
    .name:           _ZN7rocprim17ROCPRIM_400000_NS6detail17trampoline_kernelINS0_14default_configENS1_20scan_config_selectorIyEEZZNS1_9scan_implILNS1_25lookback_scan_determinismE0ELb1ELb1ES3_N6thrust23THRUST_200600_302600_NS6detail15normal_iteratorINS9_10device_ptrIyEEEENS9_16discard_iteratorINS9_11use_defaultEEEyNS9_4plusIvEEyEEDaPvRmT3_T4_T5_mT6_P12ihipStream_tbENKUlT_T0_E_clISt17integral_constantIbLb1EESW_IbLb0EEEEDaSS_ST_EUlSS_E0_NS1_11comp_targetILNS1_3genE10ELNS1_11target_archE1200ELNS1_3gpuE4ELNS1_3repE0EEENS1_30default_config_static_selectorELNS0_4arch9wavefront6targetE1EEEvT1_
    .private_segment_fixed_size: 0
    .sgpr_count:     4
    .sgpr_spill_count: 0
    .symbol:         _ZN7rocprim17ROCPRIM_400000_NS6detail17trampoline_kernelINS0_14default_configENS1_20scan_config_selectorIyEEZZNS1_9scan_implILNS1_25lookback_scan_determinismE0ELb1ELb1ES3_N6thrust23THRUST_200600_302600_NS6detail15normal_iteratorINS9_10device_ptrIyEEEENS9_16discard_iteratorINS9_11use_defaultEEEyNS9_4plusIvEEyEEDaPvRmT3_T4_T5_mT6_P12ihipStream_tbENKUlT_T0_E_clISt17integral_constantIbLb1EESW_IbLb0EEEEDaSS_ST_EUlSS_E0_NS1_11comp_targetILNS1_3genE10ELNS1_11target_archE1200ELNS1_3gpuE4ELNS1_3repE0EEENS1_30default_config_static_selectorELNS0_4arch9wavefront6targetE1EEEvT1_.kd
    .uniform_work_group_size: 1
    .uses_dynamic_stack: false
    .vgpr_count:     0
    .vgpr_spill_count: 0
    .wavefront_size: 64
  - .agpr_count:     0
    .args:
      - .offset:         0
        .size:           48
        .value_kind:     by_value
    .group_segment_fixed_size: 0
    .kernarg_segment_align: 8
    .kernarg_segment_size: 48
    .language:       OpenCL C
    .language_version:
      - 2
      - 0
    .max_flat_workgroup_size: 256
    .name:           _ZN7rocprim17ROCPRIM_400000_NS6detail17trampoline_kernelINS0_14default_configENS1_20scan_config_selectorIyEEZZNS1_9scan_implILNS1_25lookback_scan_determinismE0ELb1ELb1ES3_N6thrust23THRUST_200600_302600_NS6detail15normal_iteratorINS9_10device_ptrIyEEEENS9_16discard_iteratorINS9_11use_defaultEEEyNS9_4plusIvEEyEEDaPvRmT3_T4_T5_mT6_P12ihipStream_tbENKUlT_T0_E_clISt17integral_constantIbLb1EESW_IbLb0EEEEDaSS_ST_EUlSS_E0_NS1_11comp_targetILNS1_3genE9ELNS1_11target_archE1100ELNS1_3gpuE3ELNS1_3repE0EEENS1_30default_config_static_selectorELNS0_4arch9wavefront6targetE1EEEvT1_
    .private_segment_fixed_size: 0
    .sgpr_count:     4
    .sgpr_spill_count: 0
    .symbol:         _ZN7rocprim17ROCPRIM_400000_NS6detail17trampoline_kernelINS0_14default_configENS1_20scan_config_selectorIyEEZZNS1_9scan_implILNS1_25lookback_scan_determinismE0ELb1ELb1ES3_N6thrust23THRUST_200600_302600_NS6detail15normal_iteratorINS9_10device_ptrIyEEEENS9_16discard_iteratorINS9_11use_defaultEEEyNS9_4plusIvEEyEEDaPvRmT3_T4_T5_mT6_P12ihipStream_tbENKUlT_T0_E_clISt17integral_constantIbLb1EESW_IbLb0EEEEDaSS_ST_EUlSS_E0_NS1_11comp_targetILNS1_3genE9ELNS1_11target_archE1100ELNS1_3gpuE3ELNS1_3repE0EEENS1_30default_config_static_selectorELNS0_4arch9wavefront6targetE1EEEvT1_.kd
    .uniform_work_group_size: 1
    .uses_dynamic_stack: false
    .vgpr_count:     0
    .vgpr_spill_count: 0
    .wavefront_size: 64
  - .agpr_count:     0
    .args:
      - .offset:         0
        .size:           48
        .value_kind:     by_value
    .group_segment_fixed_size: 0
    .kernarg_segment_align: 8
    .kernarg_segment_size: 48
    .language:       OpenCL C
    .language_version:
      - 2
      - 0
    .max_flat_workgroup_size: 256
    .name:           _ZN7rocprim17ROCPRIM_400000_NS6detail17trampoline_kernelINS0_14default_configENS1_20scan_config_selectorIyEEZZNS1_9scan_implILNS1_25lookback_scan_determinismE0ELb1ELb1ES3_N6thrust23THRUST_200600_302600_NS6detail15normal_iteratorINS9_10device_ptrIyEEEENS9_16discard_iteratorINS9_11use_defaultEEEyNS9_4plusIvEEyEEDaPvRmT3_T4_T5_mT6_P12ihipStream_tbENKUlT_T0_E_clISt17integral_constantIbLb1EESW_IbLb0EEEEDaSS_ST_EUlSS_E0_NS1_11comp_targetILNS1_3genE8ELNS1_11target_archE1030ELNS1_3gpuE2ELNS1_3repE0EEENS1_30default_config_static_selectorELNS0_4arch9wavefront6targetE1EEEvT1_
    .private_segment_fixed_size: 0
    .sgpr_count:     4
    .sgpr_spill_count: 0
    .symbol:         _ZN7rocprim17ROCPRIM_400000_NS6detail17trampoline_kernelINS0_14default_configENS1_20scan_config_selectorIyEEZZNS1_9scan_implILNS1_25lookback_scan_determinismE0ELb1ELb1ES3_N6thrust23THRUST_200600_302600_NS6detail15normal_iteratorINS9_10device_ptrIyEEEENS9_16discard_iteratorINS9_11use_defaultEEEyNS9_4plusIvEEyEEDaPvRmT3_T4_T5_mT6_P12ihipStream_tbENKUlT_T0_E_clISt17integral_constantIbLb1EESW_IbLb0EEEEDaSS_ST_EUlSS_E0_NS1_11comp_targetILNS1_3genE8ELNS1_11target_archE1030ELNS1_3gpuE2ELNS1_3repE0EEENS1_30default_config_static_selectorELNS0_4arch9wavefront6targetE1EEEvT1_.kd
    .uniform_work_group_size: 1
    .uses_dynamic_stack: false
    .vgpr_count:     0
    .vgpr_spill_count: 0
    .wavefront_size: 64
  - .agpr_count:     0
    .args:
      - .offset:         0
        .size:           112
        .value_kind:     by_value
    .group_segment_fixed_size: 0
    .kernarg_segment_align: 8
    .kernarg_segment_size: 112
    .language:       OpenCL C
    .language_version:
      - 2
      - 0
    .max_flat_workgroup_size: 256
    .name:           _ZN7rocprim17ROCPRIM_400000_NS6detail17trampoline_kernelINS0_14default_configENS1_20scan_config_selectorIyEEZZNS1_9scan_implILNS1_25lookback_scan_determinismE0ELb1ELb1ES3_N6thrust23THRUST_200600_302600_NS6detail15normal_iteratorINS9_10device_ptrIyEEEENS9_16discard_iteratorINS9_11use_defaultEEEyNS9_4plusIvEEyEEDaPvRmT3_T4_T5_mT6_P12ihipStream_tbENKUlT_T0_E_clISt17integral_constantIbLb0EESW_IbLb1EEEEDaSS_ST_EUlSS_E_NS1_11comp_targetILNS1_3genE0ELNS1_11target_archE4294967295ELNS1_3gpuE0ELNS1_3repE0EEENS1_30default_config_static_selectorELNS0_4arch9wavefront6targetE1EEEvT1_
    .private_segment_fixed_size: 0
    .sgpr_count:     4
    .sgpr_spill_count: 0
    .symbol:         _ZN7rocprim17ROCPRIM_400000_NS6detail17trampoline_kernelINS0_14default_configENS1_20scan_config_selectorIyEEZZNS1_9scan_implILNS1_25lookback_scan_determinismE0ELb1ELb1ES3_N6thrust23THRUST_200600_302600_NS6detail15normal_iteratorINS9_10device_ptrIyEEEENS9_16discard_iteratorINS9_11use_defaultEEEyNS9_4plusIvEEyEEDaPvRmT3_T4_T5_mT6_P12ihipStream_tbENKUlT_T0_E_clISt17integral_constantIbLb0EESW_IbLb1EEEEDaSS_ST_EUlSS_E_NS1_11comp_targetILNS1_3genE0ELNS1_11target_archE4294967295ELNS1_3gpuE0ELNS1_3repE0EEENS1_30default_config_static_selectorELNS0_4arch9wavefront6targetE1EEEvT1_.kd
    .uniform_work_group_size: 1
    .uses_dynamic_stack: false
    .vgpr_count:     0
    .vgpr_spill_count: 0
    .wavefront_size: 64
  - .agpr_count:     0
    .args:
      - .offset:         0
        .size:           112
        .value_kind:     by_value
    .group_segment_fixed_size: 0
    .kernarg_segment_align: 8
    .kernarg_segment_size: 112
    .language:       OpenCL C
    .language_version:
      - 2
      - 0
    .max_flat_workgroup_size: 256
    .name:           _ZN7rocprim17ROCPRIM_400000_NS6detail17trampoline_kernelINS0_14default_configENS1_20scan_config_selectorIyEEZZNS1_9scan_implILNS1_25lookback_scan_determinismE0ELb1ELb1ES3_N6thrust23THRUST_200600_302600_NS6detail15normal_iteratorINS9_10device_ptrIyEEEENS9_16discard_iteratorINS9_11use_defaultEEEyNS9_4plusIvEEyEEDaPvRmT3_T4_T5_mT6_P12ihipStream_tbENKUlT_T0_E_clISt17integral_constantIbLb0EESW_IbLb1EEEEDaSS_ST_EUlSS_E_NS1_11comp_targetILNS1_3genE5ELNS1_11target_archE942ELNS1_3gpuE9ELNS1_3repE0EEENS1_30default_config_static_selectorELNS0_4arch9wavefront6targetE1EEEvT1_
    .private_segment_fixed_size: 0
    .sgpr_count:     4
    .sgpr_spill_count: 0
    .symbol:         _ZN7rocprim17ROCPRIM_400000_NS6detail17trampoline_kernelINS0_14default_configENS1_20scan_config_selectorIyEEZZNS1_9scan_implILNS1_25lookback_scan_determinismE0ELb1ELb1ES3_N6thrust23THRUST_200600_302600_NS6detail15normal_iteratorINS9_10device_ptrIyEEEENS9_16discard_iteratorINS9_11use_defaultEEEyNS9_4plusIvEEyEEDaPvRmT3_T4_T5_mT6_P12ihipStream_tbENKUlT_T0_E_clISt17integral_constantIbLb0EESW_IbLb1EEEEDaSS_ST_EUlSS_E_NS1_11comp_targetILNS1_3genE5ELNS1_11target_archE942ELNS1_3gpuE9ELNS1_3repE0EEENS1_30default_config_static_selectorELNS0_4arch9wavefront6targetE1EEEvT1_.kd
    .uniform_work_group_size: 1
    .uses_dynamic_stack: false
    .vgpr_count:     0
    .vgpr_spill_count: 0
    .wavefront_size: 64
  - .agpr_count:     0
    .args:
      - .offset:         0
        .size:           112
        .value_kind:     by_value
    .group_segment_fixed_size: 7168
    .kernarg_segment_align: 8
    .kernarg_segment_size: 112
    .language:       OpenCL C
    .language_version:
      - 2
      - 0
    .max_flat_workgroup_size: 128
    .name:           _ZN7rocprim17ROCPRIM_400000_NS6detail17trampoline_kernelINS0_14default_configENS1_20scan_config_selectorIyEEZZNS1_9scan_implILNS1_25lookback_scan_determinismE0ELb1ELb1ES3_N6thrust23THRUST_200600_302600_NS6detail15normal_iteratorINS9_10device_ptrIyEEEENS9_16discard_iteratorINS9_11use_defaultEEEyNS9_4plusIvEEyEEDaPvRmT3_T4_T5_mT6_P12ihipStream_tbENKUlT_T0_E_clISt17integral_constantIbLb0EESW_IbLb1EEEEDaSS_ST_EUlSS_E_NS1_11comp_targetILNS1_3genE4ELNS1_11target_archE910ELNS1_3gpuE8ELNS1_3repE0EEENS1_30default_config_static_selectorELNS0_4arch9wavefront6targetE1EEEvT1_
    .private_segment_fixed_size: 0
    .sgpr_count:     40
    .sgpr_spill_count: 0
    .symbol:         _ZN7rocprim17ROCPRIM_400000_NS6detail17trampoline_kernelINS0_14default_configENS1_20scan_config_selectorIyEEZZNS1_9scan_implILNS1_25lookback_scan_determinismE0ELb1ELb1ES3_N6thrust23THRUST_200600_302600_NS6detail15normal_iteratorINS9_10device_ptrIyEEEENS9_16discard_iteratorINS9_11use_defaultEEEyNS9_4plusIvEEyEEDaPvRmT3_T4_T5_mT6_P12ihipStream_tbENKUlT_T0_E_clISt17integral_constantIbLb0EESW_IbLb1EEEEDaSS_ST_EUlSS_E_NS1_11comp_targetILNS1_3genE4ELNS1_11target_archE910ELNS1_3gpuE8ELNS1_3repE0EEENS1_30default_config_static_selectorELNS0_4arch9wavefront6targetE1EEEvT1_.kd
    .uniform_work_group_size: 1
    .uses_dynamic_stack: false
    .vgpr_count:     50
    .vgpr_spill_count: 0
    .wavefront_size: 64
  - .agpr_count:     0
    .args:
      - .offset:         0
        .size:           112
        .value_kind:     by_value
    .group_segment_fixed_size: 0
    .kernarg_segment_align: 8
    .kernarg_segment_size: 112
    .language:       OpenCL C
    .language_version:
      - 2
      - 0
    .max_flat_workgroup_size: 256
    .name:           _ZN7rocprim17ROCPRIM_400000_NS6detail17trampoline_kernelINS0_14default_configENS1_20scan_config_selectorIyEEZZNS1_9scan_implILNS1_25lookback_scan_determinismE0ELb1ELb1ES3_N6thrust23THRUST_200600_302600_NS6detail15normal_iteratorINS9_10device_ptrIyEEEENS9_16discard_iteratorINS9_11use_defaultEEEyNS9_4plusIvEEyEEDaPvRmT3_T4_T5_mT6_P12ihipStream_tbENKUlT_T0_E_clISt17integral_constantIbLb0EESW_IbLb1EEEEDaSS_ST_EUlSS_E_NS1_11comp_targetILNS1_3genE3ELNS1_11target_archE908ELNS1_3gpuE7ELNS1_3repE0EEENS1_30default_config_static_selectorELNS0_4arch9wavefront6targetE1EEEvT1_
    .private_segment_fixed_size: 0
    .sgpr_count:     4
    .sgpr_spill_count: 0
    .symbol:         _ZN7rocprim17ROCPRIM_400000_NS6detail17trampoline_kernelINS0_14default_configENS1_20scan_config_selectorIyEEZZNS1_9scan_implILNS1_25lookback_scan_determinismE0ELb1ELb1ES3_N6thrust23THRUST_200600_302600_NS6detail15normal_iteratorINS9_10device_ptrIyEEEENS9_16discard_iteratorINS9_11use_defaultEEEyNS9_4plusIvEEyEEDaPvRmT3_T4_T5_mT6_P12ihipStream_tbENKUlT_T0_E_clISt17integral_constantIbLb0EESW_IbLb1EEEEDaSS_ST_EUlSS_E_NS1_11comp_targetILNS1_3genE3ELNS1_11target_archE908ELNS1_3gpuE7ELNS1_3repE0EEENS1_30default_config_static_selectorELNS0_4arch9wavefront6targetE1EEEvT1_.kd
    .uniform_work_group_size: 1
    .uses_dynamic_stack: false
    .vgpr_count:     0
    .vgpr_spill_count: 0
    .wavefront_size: 64
  - .agpr_count:     0
    .args:
      - .offset:         0
        .size:           112
        .value_kind:     by_value
    .group_segment_fixed_size: 0
    .kernarg_segment_align: 8
    .kernarg_segment_size: 112
    .language:       OpenCL C
    .language_version:
      - 2
      - 0
    .max_flat_workgroup_size: 64
    .name:           _ZN7rocprim17ROCPRIM_400000_NS6detail17trampoline_kernelINS0_14default_configENS1_20scan_config_selectorIyEEZZNS1_9scan_implILNS1_25lookback_scan_determinismE0ELb1ELb1ES3_N6thrust23THRUST_200600_302600_NS6detail15normal_iteratorINS9_10device_ptrIyEEEENS9_16discard_iteratorINS9_11use_defaultEEEyNS9_4plusIvEEyEEDaPvRmT3_T4_T5_mT6_P12ihipStream_tbENKUlT_T0_E_clISt17integral_constantIbLb0EESW_IbLb1EEEEDaSS_ST_EUlSS_E_NS1_11comp_targetILNS1_3genE2ELNS1_11target_archE906ELNS1_3gpuE6ELNS1_3repE0EEENS1_30default_config_static_selectorELNS0_4arch9wavefront6targetE1EEEvT1_
    .private_segment_fixed_size: 0
    .sgpr_count:     4
    .sgpr_spill_count: 0
    .symbol:         _ZN7rocprim17ROCPRIM_400000_NS6detail17trampoline_kernelINS0_14default_configENS1_20scan_config_selectorIyEEZZNS1_9scan_implILNS1_25lookback_scan_determinismE0ELb1ELb1ES3_N6thrust23THRUST_200600_302600_NS6detail15normal_iteratorINS9_10device_ptrIyEEEENS9_16discard_iteratorINS9_11use_defaultEEEyNS9_4plusIvEEyEEDaPvRmT3_T4_T5_mT6_P12ihipStream_tbENKUlT_T0_E_clISt17integral_constantIbLb0EESW_IbLb1EEEEDaSS_ST_EUlSS_E_NS1_11comp_targetILNS1_3genE2ELNS1_11target_archE906ELNS1_3gpuE6ELNS1_3repE0EEENS1_30default_config_static_selectorELNS0_4arch9wavefront6targetE1EEEvT1_.kd
    .uniform_work_group_size: 1
    .uses_dynamic_stack: false
    .vgpr_count:     0
    .vgpr_spill_count: 0
    .wavefront_size: 64
  - .agpr_count:     0
    .args:
      - .offset:         0
        .size:           112
        .value_kind:     by_value
    .group_segment_fixed_size: 0
    .kernarg_segment_align: 8
    .kernarg_segment_size: 112
    .language:       OpenCL C
    .language_version:
      - 2
      - 0
    .max_flat_workgroup_size: 256
    .name:           _ZN7rocprim17ROCPRIM_400000_NS6detail17trampoline_kernelINS0_14default_configENS1_20scan_config_selectorIyEEZZNS1_9scan_implILNS1_25lookback_scan_determinismE0ELb1ELb1ES3_N6thrust23THRUST_200600_302600_NS6detail15normal_iteratorINS9_10device_ptrIyEEEENS9_16discard_iteratorINS9_11use_defaultEEEyNS9_4plusIvEEyEEDaPvRmT3_T4_T5_mT6_P12ihipStream_tbENKUlT_T0_E_clISt17integral_constantIbLb0EESW_IbLb1EEEEDaSS_ST_EUlSS_E_NS1_11comp_targetILNS1_3genE10ELNS1_11target_archE1201ELNS1_3gpuE5ELNS1_3repE0EEENS1_30default_config_static_selectorELNS0_4arch9wavefront6targetE1EEEvT1_
    .private_segment_fixed_size: 0
    .sgpr_count:     4
    .sgpr_spill_count: 0
    .symbol:         _ZN7rocprim17ROCPRIM_400000_NS6detail17trampoline_kernelINS0_14default_configENS1_20scan_config_selectorIyEEZZNS1_9scan_implILNS1_25lookback_scan_determinismE0ELb1ELb1ES3_N6thrust23THRUST_200600_302600_NS6detail15normal_iteratorINS9_10device_ptrIyEEEENS9_16discard_iteratorINS9_11use_defaultEEEyNS9_4plusIvEEyEEDaPvRmT3_T4_T5_mT6_P12ihipStream_tbENKUlT_T0_E_clISt17integral_constantIbLb0EESW_IbLb1EEEEDaSS_ST_EUlSS_E_NS1_11comp_targetILNS1_3genE10ELNS1_11target_archE1201ELNS1_3gpuE5ELNS1_3repE0EEENS1_30default_config_static_selectorELNS0_4arch9wavefront6targetE1EEEvT1_.kd
    .uniform_work_group_size: 1
    .uses_dynamic_stack: false
    .vgpr_count:     0
    .vgpr_spill_count: 0
    .wavefront_size: 64
  - .agpr_count:     0
    .args:
      - .offset:         0
        .size:           112
        .value_kind:     by_value
    .group_segment_fixed_size: 0
    .kernarg_segment_align: 8
    .kernarg_segment_size: 112
    .language:       OpenCL C
    .language_version:
      - 2
      - 0
    .max_flat_workgroup_size: 256
    .name:           _ZN7rocprim17ROCPRIM_400000_NS6detail17trampoline_kernelINS0_14default_configENS1_20scan_config_selectorIyEEZZNS1_9scan_implILNS1_25lookback_scan_determinismE0ELb1ELb1ES3_N6thrust23THRUST_200600_302600_NS6detail15normal_iteratorINS9_10device_ptrIyEEEENS9_16discard_iteratorINS9_11use_defaultEEEyNS9_4plusIvEEyEEDaPvRmT3_T4_T5_mT6_P12ihipStream_tbENKUlT_T0_E_clISt17integral_constantIbLb0EESW_IbLb1EEEEDaSS_ST_EUlSS_E_NS1_11comp_targetILNS1_3genE10ELNS1_11target_archE1200ELNS1_3gpuE4ELNS1_3repE0EEENS1_30default_config_static_selectorELNS0_4arch9wavefront6targetE1EEEvT1_
    .private_segment_fixed_size: 0
    .sgpr_count:     4
    .sgpr_spill_count: 0
    .symbol:         _ZN7rocprim17ROCPRIM_400000_NS6detail17trampoline_kernelINS0_14default_configENS1_20scan_config_selectorIyEEZZNS1_9scan_implILNS1_25lookback_scan_determinismE0ELb1ELb1ES3_N6thrust23THRUST_200600_302600_NS6detail15normal_iteratorINS9_10device_ptrIyEEEENS9_16discard_iteratorINS9_11use_defaultEEEyNS9_4plusIvEEyEEDaPvRmT3_T4_T5_mT6_P12ihipStream_tbENKUlT_T0_E_clISt17integral_constantIbLb0EESW_IbLb1EEEEDaSS_ST_EUlSS_E_NS1_11comp_targetILNS1_3genE10ELNS1_11target_archE1200ELNS1_3gpuE4ELNS1_3repE0EEENS1_30default_config_static_selectorELNS0_4arch9wavefront6targetE1EEEvT1_.kd
    .uniform_work_group_size: 1
    .uses_dynamic_stack: false
    .vgpr_count:     0
    .vgpr_spill_count: 0
    .wavefront_size: 64
  - .agpr_count:     0
    .args:
      - .offset:         0
        .size:           112
        .value_kind:     by_value
    .group_segment_fixed_size: 0
    .kernarg_segment_align: 8
    .kernarg_segment_size: 112
    .language:       OpenCL C
    .language_version:
      - 2
      - 0
    .max_flat_workgroup_size: 256
    .name:           _ZN7rocprim17ROCPRIM_400000_NS6detail17trampoline_kernelINS0_14default_configENS1_20scan_config_selectorIyEEZZNS1_9scan_implILNS1_25lookback_scan_determinismE0ELb1ELb1ES3_N6thrust23THRUST_200600_302600_NS6detail15normal_iteratorINS9_10device_ptrIyEEEENS9_16discard_iteratorINS9_11use_defaultEEEyNS9_4plusIvEEyEEDaPvRmT3_T4_T5_mT6_P12ihipStream_tbENKUlT_T0_E_clISt17integral_constantIbLb0EESW_IbLb1EEEEDaSS_ST_EUlSS_E_NS1_11comp_targetILNS1_3genE9ELNS1_11target_archE1100ELNS1_3gpuE3ELNS1_3repE0EEENS1_30default_config_static_selectorELNS0_4arch9wavefront6targetE1EEEvT1_
    .private_segment_fixed_size: 0
    .sgpr_count:     4
    .sgpr_spill_count: 0
    .symbol:         _ZN7rocprim17ROCPRIM_400000_NS6detail17trampoline_kernelINS0_14default_configENS1_20scan_config_selectorIyEEZZNS1_9scan_implILNS1_25lookback_scan_determinismE0ELb1ELb1ES3_N6thrust23THRUST_200600_302600_NS6detail15normal_iteratorINS9_10device_ptrIyEEEENS9_16discard_iteratorINS9_11use_defaultEEEyNS9_4plusIvEEyEEDaPvRmT3_T4_T5_mT6_P12ihipStream_tbENKUlT_T0_E_clISt17integral_constantIbLb0EESW_IbLb1EEEEDaSS_ST_EUlSS_E_NS1_11comp_targetILNS1_3genE9ELNS1_11target_archE1100ELNS1_3gpuE3ELNS1_3repE0EEENS1_30default_config_static_selectorELNS0_4arch9wavefront6targetE1EEEvT1_.kd
    .uniform_work_group_size: 1
    .uses_dynamic_stack: false
    .vgpr_count:     0
    .vgpr_spill_count: 0
    .wavefront_size: 64
  - .agpr_count:     0
    .args:
      - .offset:         0
        .size:           112
        .value_kind:     by_value
    .group_segment_fixed_size: 0
    .kernarg_segment_align: 8
    .kernarg_segment_size: 112
    .language:       OpenCL C
    .language_version:
      - 2
      - 0
    .max_flat_workgroup_size: 256
    .name:           _ZN7rocprim17ROCPRIM_400000_NS6detail17trampoline_kernelINS0_14default_configENS1_20scan_config_selectorIyEEZZNS1_9scan_implILNS1_25lookback_scan_determinismE0ELb1ELb1ES3_N6thrust23THRUST_200600_302600_NS6detail15normal_iteratorINS9_10device_ptrIyEEEENS9_16discard_iteratorINS9_11use_defaultEEEyNS9_4plusIvEEyEEDaPvRmT3_T4_T5_mT6_P12ihipStream_tbENKUlT_T0_E_clISt17integral_constantIbLb0EESW_IbLb1EEEEDaSS_ST_EUlSS_E_NS1_11comp_targetILNS1_3genE8ELNS1_11target_archE1030ELNS1_3gpuE2ELNS1_3repE0EEENS1_30default_config_static_selectorELNS0_4arch9wavefront6targetE1EEEvT1_
    .private_segment_fixed_size: 0
    .sgpr_count:     4
    .sgpr_spill_count: 0
    .symbol:         _ZN7rocprim17ROCPRIM_400000_NS6detail17trampoline_kernelINS0_14default_configENS1_20scan_config_selectorIyEEZZNS1_9scan_implILNS1_25lookback_scan_determinismE0ELb1ELb1ES3_N6thrust23THRUST_200600_302600_NS6detail15normal_iteratorINS9_10device_ptrIyEEEENS9_16discard_iteratorINS9_11use_defaultEEEyNS9_4plusIvEEyEEDaPvRmT3_T4_T5_mT6_P12ihipStream_tbENKUlT_T0_E_clISt17integral_constantIbLb0EESW_IbLb1EEEEDaSS_ST_EUlSS_E_NS1_11comp_targetILNS1_3genE8ELNS1_11target_archE1030ELNS1_3gpuE2ELNS1_3repE0EEENS1_30default_config_static_selectorELNS0_4arch9wavefront6targetE1EEEvT1_.kd
    .uniform_work_group_size: 1
    .uses_dynamic_stack: false
    .vgpr_count:     0
    .vgpr_spill_count: 0
    .wavefront_size: 64
  - .agpr_count:     0
    .args:
      - .offset:         0
        .size:           48
        .value_kind:     by_value
    .group_segment_fixed_size: 0
    .kernarg_segment_align: 8
    .kernarg_segment_size: 48
    .language:       OpenCL C
    .language_version:
      - 2
      - 0
    .max_flat_workgroup_size: 256
    .name:           _ZN7rocprim17ROCPRIM_400000_NS6detail17trampoline_kernelINS0_14default_configENS1_20scan_config_selectorIyEEZZNS1_9scan_implILNS1_25lookback_scan_determinismE0ELb1ELb1ES3_N6thrust23THRUST_200600_302600_NS6detail15normal_iteratorINS9_10device_ptrIyEEEENS9_16discard_iteratorINS9_11use_defaultEEEyNS9_4plusIvEEyEEDaPvRmT3_T4_T5_mT6_P12ihipStream_tbENKUlT_T0_E_clISt17integral_constantIbLb0EESW_IbLb1EEEEDaSS_ST_EUlSS_E0_NS1_11comp_targetILNS1_3genE0ELNS1_11target_archE4294967295ELNS1_3gpuE0ELNS1_3repE0EEENS1_30default_config_static_selectorELNS0_4arch9wavefront6targetE1EEEvT1_
    .private_segment_fixed_size: 0
    .sgpr_count:     4
    .sgpr_spill_count: 0
    .symbol:         _ZN7rocprim17ROCPRIM_400000_NS6detail17trampoline_kernelINS0_14default_configENS1_20scan_config_selectorIyEEZZNS1_9scan_implILNS1_25lookback_scan_determinismE0ELb1ELb1ES3_N6thrust23THRUST_200600_302600_NS6detail15normal_iteratorINS9_10device_ptrIyEEEENS9_16discard_iteratorINS9_11use_defaultEEEyNS9_4plusIvEEyEEDaPvRmT3_T4_T5_mT6_P12ihipStream_tbENKUlT_T0_E_clISt17integral_constantIbLb0EESW_IbLb1EEEEDaSS_ST_EUlSS_E0_NS1_11comp_targetILNS1_3genE0ELNS1_11target_archE4294967295ELNS1_3gpuE0ELNS1_3repE0EEENS1_30default_config_static_selectorELNS0_4arch9wavefront6targetE1EEEvT1_.kd
    .uniform_work_group_size: 1
    .uses_dynamic_stack: false
    .vgpr_count:     0
    .vgpr_spill_count: 0
    .wavefront_size: 64
  - .agpr_count:     0
    .args:
      - .offset:         0
        .size:           48
        .value_kind:     by_value
    .group_segment_fixed_size: 0
    .kernarg_segment_align: 8
    .kernarg_segment_size: 48
    .language:       OpenCL C
    .language_version:
      - 2
      - 0
    .max_flat_workgroup_size: 256
    .name:           _ZN7rocprim17ROCPRIM_400000_NS6detail17trampoline_kernelINS0_14default_configENS1_20scan_config_selectorIyEEZZNS1_9scan_implILNS1_25lookback_scan_determinismE0ELb1ELb1ES3_N6thrust23THRUST_200600_302600_NS6detail15normal_iteratorINS9_10device_ptrIyEEEENS9_16discard_iteratorINS9_11use_defaultEEEyNS9_4plusIvEEyEEDaPvRmT3_T4_T5_mT6_P12ihipStream_tbENKUlT_T0_E_clISt17integral_constantIbLb0EESW_IbLb1EEEEDaSS_ST_EUlSS_E0_NS1_11comp_targetILNS1_3genE5ELNS1_11target_archE942ELNS1_3gpuE9ELNS1_3repE0EEENS1_30default_config_static_selectorELNS0_4arch9wavefront6targetE1EEEvT1_
    .private_segment_fixed_size: 0
    .sgpr_count:     4
    .sgpr_spill_count: 0
    .symbol:         _ZN7rocprim17ROCPRIM_400000_NS6detail17trampoline_kernelINS0_14default_configENS1_20scan_config_selectorIyEEZZNS1_9scan_implILNS1_25lookback_scan_determinismE0ELb1ELb1ES3_N6thrust23THRUST_200600_302600_NS6detail15normal_iteratorINS9_10device_ptrIyEEEENS9_16discard_iteratorINS9_11use_defaultEEEyNS9_4plusIvEEyEEDaPvRmT3_T4_T5_mT6_P12ihipStream_tbENKUlT_T0_E_clISt17integral_constantIbLb0EESW_IbLb1EEEEDaSS_ST_EUlSS_E0_NS1_11comp_targetILNS1_3genE5ELNS1_11target_archE942ELNS1_3gpuE9ELNS1_3repE0EEENS1_30default_config_static_selectorELNS0_4arch9wavefront6targetE1EEEvT1_.kd
    .uniform_work_group_size: 1
    .uses_dynamic_stack: false
    .vgpr_count:     0
    .vgpr_spill_count: 0
    .wavefront_size: 64
  - .agpr_count:     0
    .args:
      - .offset:         0
        .size:           48
        .value_kind:     by_value
    .group_segment_fixed_size: 7168
    .kernarg_segment_align: 8
    .kernarg_segment_size: 48
    .language:       OpenCL C
    .language_version:
      - 2
      - 0
    .max_flat_workgroup_size: 128
    .name:           _ZN7rocprim17ROCPRIM_400000_NS6detail17trampoline_kernelINS0_14default_configENS1_20scan_config_selectorIyEEZZNS1_9scan_implILNS1_25lookback_scan_determinismE0ELb1ELb1ES3_N6thrust23THRUST_200600_302600_NS6detail15normal_iteratorINS9_10device_ptrIyEEEENS9_16discard_iteratorINS9_11use_defaultEEEyNS9_4plusIvEEyEEDaPvRmT3_T4_T5_mT6_P12ihipStream_tbENKUlT_T0_E_clISt17integral_constantIbLb0EESW_IbLb1EEEEDaSS_ST_EUlSS_E0_NS1_11comp_targetILNS1_3genE4ELNS1_11target_archE910ELNS1_3gpuE8ELNS1_3repE0EEENS1_30default_config_static_selectorELNS0_4arch9wavefront6targetE1EEEvT1_
    .private_segment_fixed_size: 0
    .sgpr_count:     14
    .sgpr_spill_count: 0
    .symbol:         _ZN7rocprim17ROCPRIM_400000_NS6detail17trampoline_kernelINS0_14default_configENS1_20scan_config_selectorIyEEZZNS1_9scan_implILNS1_25lookback_scan_determinismE0ELb1ELb1ES3_N6thrust23THRUST_200600_302600_NS6detail15normal_iteratorINS9_10device_ptrIyEEEENS9_16discard_iteratorINS9_11use_defaultEEEyNS9_4plusIvEEyEEDaPvRmT3_T4_T5_mT6_P12ihipStream_tbENKUlT_T0_E_clISt17integral_constantIbLb0EESW_IbLb1EEEEDaSS_ST_EUlSS_E0_NS1_11comp_targetILNS1_3genE4ELNS1_11target_archE910ELNS1_3gpuE8ELNS1_3repE0EEENS1_30default_config_static_selectorELNS0_4arch9wavefront6targetE1EEEvT1_.kd
    .uniform_work_group_size: 1
    .uses_dynamic_stack: false
    .vgpr_count:     29
    .vgpr_spill_count: 0
    .wavefront_size: 64
  - .agpr_count:     0
    .args:
      - .offset:         0
        .size:           48
        .value_kind:     by_value
    .group_segment_fixed_size: 0
    .kernarg_segment_align: 8
    .kernarg_segment_size: 48
    .language:       OpenCL C
    .language_version:
      - 2
      - 0
    .max_flat_workgroup_size: 256
    .name:           _ZN7rocprim17ROCPRIM_400000_NS6detail17trampoline_kernelINS0_14default_configENS1_20scan_config_selectorIyEEZZNS1_9scan_implILNS1_25lookback_scan_determinismE0ELb1ELb1ES3_N6thrust23THRUST_200600_302600_NS6detail15normal_iteratorINS9_10device_ptrIyEEEENS9_16discard_iteratorINS9_11use_defaultEEEyNS9_4plusIvEEyEEDaPvRmT3_T4_T5_mT6_P12ihipStream_tbENKUlT_T0_E_clISt17integral_constantIbLb0EESW_IbLb1EEEEDaSS_ST_EUlSS_E0_NS1_11comp_targetILNS1_3genE3ELNS1_11target_archE908ELNS1_3gpuE7ELNS1_3repE0EEENS1_30default_config_static_selectorELNS0_4arch9wavefront6targetE1EEEvT1_
    .private_segment_fixed_size: 0
    .sgpr_count:     4
    .sgpr_spill_count: 0
    .symbol:         _ZN7rocprim17ROCPRIM_400000_NS6detail17trampoline_kernelINS0_14default_configENS1_20scan_config_selectorIyEEZZNS1_9scan_implILNS1_25lookback_scan_determinismE0ELb1ELb1ES3_N6thrust23THRUST_200600_302600_NS6detail15normal_iteratorINS9_10device_ptrIyEEEENS9_16discard_iteratorINS9_11use_defaultEEEyNS9_4plusIvEEyEEDaPvRmT3_T4_T5_mT6_P12ihipStream_tbENKUlT_T0_E_clISt17integral_constantIbLb0EESW_IbLb1EEEEDaSS_ST_EUlSS_E0_NS1_11comp_targetILNS1_3genE3ELNS1_11target_archE908ELNS1_3gpuE7ELNS1_3repE0EEENS1_30default_config_static_selectorELNS0_4arch9wavefront6targetE1EEEvT1_.kd
    .uniform_work_group_size: 1
    .uses_dynamic_stack: false
    .vgpr_count:     0
    .vgpr_spill_count: 0
    .wavefront_size: 64
  - .agpr_count:     0
    .args:
      - .offset:         0
        .size:           48
        .value_kind:     by_value
    .group_segment_fixed_size: 0
    .kernarg_segment_align: 8
    .kernarg_segment_size: 48
    .language:       OpenCL C
    .language_version:
      - 2
      - 0
    .max_flat_workgroup_size: 64
    .name:           _ZN7rocprim17ROCPRIM_400000_NS6detail17trampoline_kernelINS0_14default_configENS1_20scan_config_selectorIyEEZZNS1_9scan_implILNS1_25lookback_scan_determinismE0ELb1ELb1ES3_N6thrust23THRUST_200600_302600_NS6detail15normal_iteratorINS9_10device_ptrIyEEEENS9_16discard_iteratorINS9_11use_defaultEEEyNS9_4plusIvEEyEEDaPvRmT3_T4_T5_mT6_P12ihipStream_tbENKUlT_T0_E_clISt17integral_constantIbLb0EESW_IbLb1EEEEDaSS_ST_EUlSS_E0_NS1_11comp_targetILNS1_3genE2ELNS1_11target_archE906ELNS1_3gpuE6ELNS1_3repE0EEENS1_30default_config_static_selectorELNS0_4arch9wavefront6targetE1EEEvT1_
    .private_segment_fixed_size: 0
    .sgpr_count:     4
    .sgpr_spill_count: 0
    .symbol:         _ZN7rocprim17ROCPRIM_400000_NS6detail17trampoline_kernelINS0_14default_configENS1_20scan_config_selectorIyEEZZNS1_9scan_implILNS1_25lookback_scan_determinismE0ELb1ELb1ES3_N6thrust23THRUST_200600_302600_NS6detail15normal_iteratorINS9_10device_ptrIyEEEENS9_16discard_iteratorINS9_11use_defaultEEEyNS9_4plusIvEEyEEDaPvRmT3_T4_T5_mT6_P12ihipStream_tbENKUlT_T0_E_clISt17integral_constantIbLb0EESW_IbLb1EEEEDaSS_ST_EUlSS_E0_NS1_11comp_targetILNS1_3genE2ELNS1_11target_archE906ELNS1_3gpuE6ELNS1_3repE0EEENS1_30default_config_static_selectorELNS0_4arch9wavefront6targetE1EEEvT1_.kd
    .uniform_work_group_size: 1
    .uses_dynamic_stack: false
    .vgpr_count:     0
    .vgpr_spill_count: 0
    .wavefront_size: 64
  - .agpr_count:     0
    .args:
      - .offset:         0
        .size:           48
        .value_kind:     by_value
    .group_segment_fixed_size: 0
    .kernarg_segment_align: 8
    .kernarg_segment_size: 48
    .language:       OpenCL C
    .language_version:
      - 2
      - 0
    .max_flat_workgroup_size: 256
    .name:           _ZN7rocprim17ROCPRIM_400000_NS6detail17trampoline_kernelINS0_14default_configENS1_20scan_config_selectorIyEEZZNS1_9scan_implILNS1_25lookback_scan_determinismE0ELb1ELb1ES3_N6thrust23THRUST_200600_302600_NS6detail15normal_iteratorINS9_10device_ptrIyEEEENS9_16discard_iteratorINS9_11use_defaultEEEyNS9_4plusIvEEyEEDaPvRmT3_T4_T5_mT6_P12ihipStream_tbENKUlT_T0_E_clISt17integral_constantIbLb0EESW_IbLb1EEEEDaSS_ST_EUlSS_E0_NS1_11comp_targetILNS1_3genE10ELNS1_11target_archE1201ELNS1_3gpuE5ELNS1_3repE0EEENS1_30default_config_static_selectorELNS0_4arch9wavefront6targetE1EEEvT1_
    .private_segment_fixed_size: 0
    .sgpr_count:     4
    .sgpr_spill_count: 0
    .symbol:         _ZN7rocprim17ROCPRIM_400000_NS6detail17trampoline_kernelINS0_14default_configENS1_20scan_config_selectorIyEEZZNS1_9scan_implILNS1_25lookback_scan_determinismE0ELb1ELb1ES3_N6thrust23THRUST_200600_302600_NS6detail15normal_iteratorINS9_10device_ptrIyEEEENS9_16discard_iteratorINS9_11use_defaultEEEyNS9_4plusIvEEyEEDaPvRmT3_T4_T5_mT6_P12ihipStream_tbENKUlT_T0_E_clISt17integral_constantIbLb0EESW_IbLb1EEEEDaSS_ST_EUlSS_E0_NS1_11comp_targetILNS1_3genE10ELNS1_11target_archE1201ELNS1_3gpuE5ELNS1_3repE0EEENS1_30default_config_static_selectorELNS0_4arch9wavefront6targetE1EEEvT1_.kd
    .uniform_work_group_size: 1
    .uses_dynamic_stack: false
    .vgpr_count:     0
    .vgpr_spill_count: 0
    .wavefront_size: 64
  - .agpr_count:     0
    .args:
      - .offset:         0
        .size:           48
        .value_kind:     by_value
    .group_segment_fixed_size: 0
    .kernarg_segment_align: 8
    .kernarg_segment_size: 48
    .language:       OpenCL C
    .language_version:
      - 2
      - 0
    .max_flat_workgroup_size: 256
    .name:           _ZN7rocprim17ROCPRIM_400000_NS6detail17trampoline_kernelINS0_14default_configENS1_20scan_config_selectorIyEEZZNS1_9scan_implILNS1_25lookback_scan_determinismE0ELb1ELb1ES3_N6thrust23THRUST_200600_302600_NS6detail15normal_iteratorINS9_10device_ptrIyEEEENS9_16discard_iteratorINS9_11use_defaultEEEyNS9_4plusIvEEyEEDaPvRmT3_T4_T5_mT6_P12ihipStream_tbENKUlT_T0_E_clISt17integral_constantIbLb0EESW_IbLb1EEEEDaSS_ST_EUlSS_E0_NS1_11comp_targetILNS1_3genE10ELNS1_11target_archE1200ELNS1_3gpuE4ELNS1_3repE0EEENS1_30default_config_static_selectorELNS0_4arch9wavefront6targetE1EEEvT1_
    .private_segment_fixed_size: 0
    .sgpr_count:     4
    .sgpr_spill_count: 0
    .symbol:         _ZN7rocprim17ROCPRIM_400000_NS6detail17trampoline_kernelINS0_14default_configENS1_20scan_config_selectorIyEEZZNS1_9scan_implILNS1_25lookback_scan_determinismE0ELb1ELb1ES3_N6thrust23THRUST_200600_302600_NS6detail15normal_iteratorINS9_10device_ptrIyEEEENS9_16discard_iteratorINS9_11use_defaultEEEyNS9_4plusIvEEyEEDaPvRmT3_T4_T5_mT6_P12ihipStream_tbENKUlT_T0_E_clISt17integral_constantIbLb0EESW_IbLb1EEEEDaSS_ST_EUlSS_E0_NS1_11comp_targetILNS1_3genE10ELNS1_11target_archE1200ELNS1_3gpuE4ELNS1_3repE0EEENS1_30default_config_static_selectorELNS0_4arch9wavefront6targetE1EEEvT1_.kd
    .uniform_work_group_size: 1
    .uses_dynamic_stack: false
    .vgpr_count:     0
    .vgpr_spill_count: 0
    .wavefront_size: 64
  - .agpr_count:     0
    .args:
      - .offset:         0
        .size:           48
        .value_kind:     by_value
    .group_segment_fixed_size: 0
    .kernarg_segment_align: 8
    .kernarg_segment_size: 48
    .language:       OpenCL C
    .language_version:
      - 2
      - 0
    .max_flat_workgroup_size: 256
    .name:           _ZN7rocprim17ROCPRIM_400000_NS6detail17trampoline_kernelINS0_14default_configENS1_20scan_config_selectorIyEEZZNS1_9scan_implILNS1_25lookback_scan_determinismE0ELb1ELb1ES3_N6thrust23THRUST_200600_302600_NS6detail15normal_iteratorINS9_10device_ptrIyEEEENS9_16discard_iteratorINS9_11use_defaultEEEyNS9_4plusIvEEyEEDaPvRmT3_T4_T5_mT6_P12ihipStream_tbENKUlT_T0_E_clISt17integral_constantIbLb0EESW_IbLb1EEEEDaSS_ST_EUlSS_E0_NS1_11comp_targetILNS1_3genE9ELNS1_11target_archE1100ELNS1_3gpuE3ELNS1_3repE0EEENS1_30default_config_static_selectorELNS0_4arch9wavefront6targetE1EEEvT1_
    .private_segment_fixed_size: 0
    .sgpr_count:     4
    .sgpr_spill_count: 0
    .symbol:         _ZN7rocprim17ROCPRIM_400000_NS6detail17trampoline_kernelINS0_14default_configENS1_20scan_config_selectorIyEEZZNS1_9scan_implILNS1_25lookback_scan_determinismE0ELb1ELb1ES3_N6thrust23THRUST_200600_302600_NS6detail15normal_iteratorINS9_10device_ptrIyEEEENS9_16discard_iteratorINS9_11use_defaultEEEyNS9_4plusIvEEyEEDaPvRmT3_T4_T5_mT6_P12ihipStream_tbENKUlT_T0_E_clISt17integral_constantIbLb0EESW_IbLb1EEEEDaSS_ST_EUlSS_E0_NS1_11comp_targetILNS1_3genE9ELNS1_11target_archE1100ELNS1_3gpuE3ELNS1_3repE0EEENS1_30default_config_static_selectorELNS0_4arch9wavefront6targetE1EEEvT1_.kd
    .uniform_work_group_size: 1
    .uses_dynamic_stack: false
    .vgpr_count:     0
    .vgpr_spill_count: 0
    .wavefront_size: 64
  - .agpr_count:     0
    .args:
      - .offset:         0
        .size:           48
        .value_kind:     by_value
    .group_segment_fixed_size: 0
    .kernarg_segment_align: 8
    .kernarg_segment_size: 48
    .language:       OpenCL C
    .language_version:
      - 2
      - 0
    .max_flat_workgroup_size: 256
    .name:           _ZN7rocprim17ROCPRIM_400000_NS6detail17trampoline_kernelINS0_14default_configENS1_20scan_config_selectorIyEEZZNS1_9scan_implILNS1_25lookback_scan_determinismE0ELb1ELb1ES3_N6thrust23THRUST_200600_302600_NS6detail15normal_iteratorINS9_10device_ptrIyEEEENS9_16discard_iteratorINS9_11use_defaultEEEyNS9_4plusIvEEyEEDaPvRmT3_T4_T5_mT6_P12ihipStream_tbENKUlT_T0_E_clISt17integral_constantIbLb0EESW_IbLb1EEEEDaSS_ST_EUlSS_E0_NS1_11comp_targetILNS1_3genE8ELNS1_11target_archE1030ELNS1_3gpuE2ELNS1_3repE0EEENS1_30default_config_static_selectorELNS0_4arch9wavefront6targetE1EEEvT1_
    .private_segment_fixed_size: 0
    .sgpr_count:     4
    .sgpr_spill_count: 0
    .symbol:         _ZN7rocprim17ROCPRIM_400000_NS6detail17trampoline_kernelINS0_14default_configENS1_20scan_config_selectorIyEEZZNS1_9scan_implILNS1_25lookback_scan_determinismE0ELb1ELb1ES3_N6thrust23THRUST_200600_302600_NS6detail15normal_iteratorINS9_10device_ptrIyEEEENS9_16discard_iteratorINS9_11use_defaultEEEyNS9_4plusIvEEyEEDaPvRmT3_T4_T5_mT6_P12ihipStream_tbENKUlT_T0_E_clISt17integral_constantIbLb0EESW_IbLb1EEEEDaSS_ST_EUlSS_E0_NS1_11comp_targetILNS1_3genE8ELNS1_11target_archE1030ELNS1_3gpuE2ELNS1_3repE0EEENS1_30default_config_static_selectorELNS0_4arch9wavefront6targetE1EEEvT1_.kd
    .uniform_work_group_size: 1
    .uses_dynamic_stack: false
    .vgpr_count:     0
    .vgpr_spill_count: 0
    .wavefront_size: 64
  - .agpr_count:     0
    .args:
      - .offset:         0
        .size:           104
        .value_kind:     by_value
    .group_segment_fixed_size: 0
    .kernarg_segment_align: 8
    .kernarg_segment_size: 104
    .language:       OpenCL C
    .language_version:
      - 2
      - 0
    .max_flat_workgroup_size: 256
    .name:           _ZN7rocprim17ROCPRIM_400000_NS6detail17trampoline_kernelINS0_14default_configENS1_20scan_config_selectorIjEEZZNS1_9scan_implILNS1_25lookback_scan_determinismE0ELb0ELb0ES3_N6thrust23THRUST_200600_302600_NS6detail15normal_iteratorINS9_10device_ptrIjEEEENS9_16discard_iteratorINS9_11use_defaultEEEjNS9_4plusIvEEjEEDaPvRmT3_T4_T5_mT6_P12ihipStream_tbENKUlT_T0_E_clISt17integral_constantIbLb0EESX_EEDaSS_ST_EUlSS_E_NS1_11comp_targetILNS1_3genE0ELNS1_11target_archE4294967295ELNS1_3gpuE0ELNS1_3repE0EEENS1_30default_config_static_selectorELNS0_4arch9wavefront6targetE1EEEvT1_
    .private_segment_fixed_size: 0
    .sgpr_count:     4
    .sgpr_spill_count: 0
    .symbol:         _ZN7rocprim17ROCPRIM_400000_NS6detail17trampoline_kernelINS0_14default_configENS1_20scan_config_selectorIjEEZZNS1_9scan_implILNS1_25lookback_scan_determinismE0ELb0ELb0ES3_N6thrust23THRUST_200600_302600_NS6detail15normal_iteratorINS9_10device_ptrIjEEEENS9_16discard_iteratorINS9_11use_defaultEEEjNS9_4plusIvEEjEEDaPvRmT3_T4_T5_mT6_P12ihipStream_tbENKUlT_T0_E_clISt17integral_constantIbLb0EESX_EEDaSS_ST_EUlSS_E_NS1_11comp_targetILNS1_3genE0ELNS1_11target_archE4294967295ELNS1_3gpuE0ELNS1_3repE0EEENS1_30default_config_static_selectorELNS0_4arch9wavefront6targetE1EEEvT1_.kd
    .uniform_work_group_size: 1
    .uses_dynamic_stack: false
    .vgpr_count:     0
    .vgpr_spill_count: 0
    .wavefront_size: 64
  - .agpr_count:     0
    .args:
      - .offset:         0
        .size:           104
        .value_kind:     by_value
    .group_segment_fixed_size: 0
    .kernarg_segment_align: 8
    .kernarg_segment_size: 104
    .language:       OpenCL C
    .language_version:
      - 2
      - 0
    .max_flat_workgroup_size: 256
    .name:           _ZN7rocprim17ROCPRIM_400000_NS6detail17trampoline_kernelINS0_14default_configENS1_20scan_config_selectorIjEEZZNS1_9scan_implILNS1_25lookback_scan_determinismE0ELb0ELb0ES3_N6thrust23THRUST_200600_302600_NS6detail15normal_iteratorINS9_10device_ptrIjEEEENS9_16discard_iteratorINS9_11use_defaultEEEjNS9_4plusIvEEjEEDaPvRmT3_T4_T5_mT6_P12ihipStream_tbENKUlT_T0_E_clISt17integral_constantIbLb0EESX_EEDaSS_ST_EUlSS_E_NS1_11comp_targetILNS1_3genE5ELNS1_11target_archE942ELNS1_3gpuE9ELNS1_3repE0EEENS1_30default_config_static_selectorELNS0_4arch9wavefront6targetE1EEEvT1_
    .private_segment_fixed_size: 0
    .sgpr_count:     4
    .sgpr_spill_count: 0
    .symbol:         _ZN7rocprim17ROCPRIM_400000_NS6detail17trampoline_kernelINS0_14default_configENS1_20scan_config_selectorIjEEZZNS1_9scan_implILNS1_25lookback_scan_determinismE0ELb0ELb0ES3_N6thrust23THRUST_200600_302600_NS6detail15normal_iteratorINS9_10device_ptrIjEEEENS9_16discard_iteratorINS9_11use_defaultEEEjNS9_4plusIvEEjEEDaPvRmT3_T4_T5_mT6_P12ihipStream_tbENKUlT_T0_E_clISt17integral_constantIbLb0EESX_EEDaSS_ST_EUlSS_E_NS1_11comp_targetILNS1_3genE5ELNS1_11target_archE942ELNS1_3gpuE9ELNS1_3repE0EEENS1_30default_config_static_selectorELNS0_4arch9wavefront6targetE1EEEvT1_.kd
    .uniform_work_group_size: 1
    .uses_dynamic_stack: false
    .vgpr_count:     0
    .vgpr_spill_count: 0
    .wavefront_size: 64
  - .agpr_count:     0
    .args:
      - .offset:         0
        .size:           104
        .value_kind:     by_value
    .group_segment_fixed_size: 5120
    .kernarg_segment_align: 8
    .kernarg_segment_size: 104
    .language:       OpenCL C
    .language_version:
      - 2
      - 0
    .max_flat_workgroup_size: 128
    .name:           _ZN7rocprim17ROCPRIM_400000_NS6detail17trampoline_kernelINS0_14default_configENS1_20scan_config_selectorIjEEZZNS1_9scan_implILNS1_25lookback_scan_determinismE0ELb0ELb0ES3_N6thrust23THRUST_200600_302600_NS6detail15normal_iteratorINS9_10device_ptrIjEEEENS9_16discard_iteratorINS9_11use_defaultEEEjNS9_4plusIvEEjEEDaPvRmT3_T4_T5_mT6_P12ihipStream_tbENKUlT_T0_E_clISt17integral_constantIbLb0EESX_EEDaSS_ST_EUlSS_E_NS1_11comp_targetILNS1_3genE4ELNS1_11target_archE910ELNS1_3gpuE8ELNS1_3repE0EEENS1_30default_config_static_selectorELNS0_4arch9wavefront6targetE1EEEvT1_
    .private_segment_fixed_size: 0
    .sgpr_count:     26
    .sgpr_spill_count: 0
    .symbol:         _ZN7rocprim17ROCPRIM_400000_NS6detail17trampoline_kernelINS0_14default_configENS1_20scan_config_selectorIjEEZZNS1_9scan_implILNS1_25lookback_scan_determinismE0ELb0ELb0ES3_N6thrust23THRUST_200600_302600_NS6detail15normal_iteratorINS9_10device_ptrIjEEEENS9_16discard_iteratorINS9_11use_defaultEEEjNS9_4plusIvEEjEEDaPvRmT3_T4_T5_mT6_P12ihipStream_tbENKUlT_T0_E_clISt17integral_constantIbLb0EESX_EEDaSS_ST_EUlSS_E_NS1_11comp_targetILNS1_3genE4ELNS1_11target_archE910ELNS1_3gpuE8ELNS1_3repE0EEENS1_30default_config_static_selectorELNS0_4arch9wavefront6targetE1EEEvT1_.kd
    .uniform_work_group_size: 1
    .uses_dynamic_stack: false
    .vgpr_count:     39
    .vgpr_spill_count: 0
    .wavefront_size: 64
  - .agpr_count:     0
    .args:
      - .offset:         0
        .size:           104
        .value_kind:     by_value
    .group_segment_fixed_size: 0
    .kernarg_segment_align: 8
    .kernarg_segment_size: 104
    .language:       OpenCL C
    .language_version:
      - 2
      - 0
    .max_flat_workgroup_size: 256
    .name:           _ZN7rocprim17ROCPRIM_400000_NS6detail17trampoline_kernelINS0_14default_configENS1_20scan_config_selectorIjEEZZNS1_9scan_implILNS1_25lookback_scan_determinismE0ELb0ELb0ES3_N6thrust23THRUST_200600_302600_NS6detail15normal_iteratorINS9_10device_ptrIjEEEENS9_16discard_iteratorINS9_11use_defaultEEEjNS9_4plusIvEEjEEDaPvRmT3_T4_T5_mT6_P12ihipStream_tbENKUlT_T0_E_clISt17integral_constantIbLb0EESX_EEDaSS_ST_EUlSS_E_NS1_11comp_targetILNS1_3genE3ELNS1_11target_archE908ELNS1_3gpuE7ELNS1_3repE0EEENS1_30default_config_static_selectorELNS0_4arch9wavefront6targetE1EEEvT1_
    .private_segment_fixed_size: 0
    .sgpr_count:     4
    .sgpr_spill_count: 0
    .symbol:         _ZN7rocprim17ROCPRIM_400000_NS6detail17trampoline_kernelINS0_14default_configENS1_20scan_config_selectorIjEEZZNS1_9scan_implILNS1_25lookback_scan_determinismE0ELb0ELb0ES3_N6thrust23THRUST_200600_302600_NS6detail15normal_iteratorINS9_10device_ptrIjEEEENS9_16discard_iteratorINS9_11use_defaultEEEjNS9_4plusIvEEjEEDaPvRmT3_T4_T5_mT6_P12ihipStream_tbENKUlT_T0_E_clISt17integral_constantIbLb0EESX_EEDaSS_ST_EUlSS_E_NS1_11comp_targetILNS1_3genE3ELNS1_11target_archE908ELNS1_3gpuE7ELNS1_3repE0EEENS1_30default_config_static_selectorELNS0_4arch9wavefront6targetE1EEEvT1_.kd
    .uniform_work_group_size: 1
    .uses_dynamic_stack: false
    .vgpr_count:     0
    .vgpr_spill_count: 0
    .wavefront_size: 64
  - .agpr_count:     0
    .args:
      - .offset:         0
        .size:           104
        .value_kind:     by_value
    .group_segment_fixed_size: 0
    .kernarg_segment_align: 8
    .kernarg_segment_size: 104
    .language:       OpenCL C
    .language_version:
      - 2
      - 0
    .max_flat_workgroup_size: 256
    .name:           _ZN7rocprim17ROCPRIM_400000_NS6detail17trampoline_kernelINS0_14default_configENS1_20scan_config_selectorIjEEZZNS1_9scan_implILNS1_25lookback_scan_determinismE0ELb0ELb0ES3_N6thrust23THRUST_200600_302600_NS6detail15normal_iteratorINS9_10device_ptrIjEEEENS9_16discard_iteratorINS9_11use_defaultEEEjNS9_4plusIvEEjEEDaPvRmT3_T4_T5_mT6_P12ihipStream_tbENKUlT_T0_E_clISt17integral_constantIbLb0EESX_EEDaSS_ST_EUlSS_E_NS1_11comp_targetILNS1_3genE2ELNS1_11target_archE906ELNS1_3gpuE6ELNS1_3repE0EEENS1_30default_config_static_selectorELNS0_4arch9wavefront6targetE1EEEvT1_
    .private_segment_fixed_size: 0
    .sgpr_count:     4
    .sgpr_spill_count: 0
    .symbol:         _ZN7rocprim17ROCPRIM_400000_NS6detail17trampoline_kernelINS0_14default_configENS1_20scan_config_selectorIjEEZZNS1_9scan_implILNS1_25lookback_scan_determinismE0ELb0ELb0ES3_N6thrust23THRUST_200600_302600_NS6detail15normal_iteratorINS9_10device_ptrIjEEEENS9_16discard_iteratorINS9_11use_defaultEEEjNS9_4plusIvEEjEEDaPvRmT3_T4_T5_mT6_P12ihipStream_tbENKUlT_T0_E_clISt17integral_constantIbLb0EESX_EEDaSS_ST_EUlSS_E_NS1_11comp_targetILNS1_3genE2ELNS1_11target_archE906ELNS1_3gpuE6ELNS1_3repE0EEENS1_30default_config_static_selectorELNS0_4arch9wavefront6targetE1EEEvT1_.kd
    .uniform_work_group_size: 1
    .uses_dynamic_stack: false
    .vgpr_count:     0
    .vgpr_spill_count: 0
    .wavefront_size: 64
  - .agpr_count:     0
    .args:
      - .offset:         0
        .size:           104
        .value_kind:     by_value
    .group_segment_fixed_size: 0
    .kernarg_segment_align: 8
    .kernarg_segment_size: 104
    .language:       OpenCL C
    .language_version:
      - 2
      - 0
    .max_flat_workgroup_size: 256
    .name:           _ZN7rocprim17ROCPRIM_400000_NS6detail17trampoline_kernelINS0_14default_configENS1_20scan_config_selectorIjEEZZNS1_9scan_implILNS1_25lookback_scan_determinismE0ELb0ELb0ES3_N6thrust23THRUST_200600_302600_NS6detail15normal_iteratorINS9_10device_ptrIjEEEENS9_16discard_iteratorINS9_11use_defaultEEEjNS9_4plusIvEEjEEDaPvRmT3_T4_T5_mT6_P12ihipStream_tbENKUlT_T0_E_clISt17integral_constantIbLb0EESX_EEDaSS_ST_EUlSS_E_NS1_11comp_targetILNS1_3genE10ELNS1_11target_archE1201ELNS1_3gpuE5ELNS1_3repE0EEENS1_30default_config_static_selectorELNS0_4arch9wavefront6targetE1EEEvT1_
    .private_segment_fixed_size: 0
    .sgpr_count:     4
    .sgpr_spill_count: 0
    .symbol:         _ZN7rocprim17ROCPRIM_400000_NS6detail17trampoline_kernelINS0_14default_configENS1_20scan_config_selectorIjEEZZNS1_9scan_implILNS1_25lookback_scan_determinismE0ELb0ELb0ES3_N6thrust23THRUST_200600_302600_NS6detail15normal_iteratorINS9_10device_ptrIjEEEENS9_16discard_iteratorINS9_11use_defaultEEEjNS9_4plusIvEEjEEDaPvRmT3_T4_T5_mT6_P12ihipStream_tbENKUlT_T0_E_clISt17integral_constantIbLb0EESX_EEDaSS_ST_EUlSS_E_NS1_11comp_targetILNS1_3genE10ELNS1_11target_archE1201ELNS1_3gpuE5ELNS1_3repE0EEENS1_30default_config_static_selectorELNS0_4arch9wavefront6targetE1EEEvT1_.kd
    .uniform_work_group_size: 1
    .uses_dynamic_stack: false
    .vgpr_count:     0
    .vgpr_spill_count: 0
    .wavefront_size: 64
  - .agpr_count:     0
    .args:
      - .offset:         0
        .size:           104
        .value_kind:     by_value
    .group_segment_fixed_size: 0
    .kernarg_segment_align: 8
    .kernarg_segment_size: 104
    .language:       OpenCL C
    .language_version:
      - 2
      - 0
    .max_flat_workgroup_size: 256
    .name:           _ZN7rocprim17ROCPRIM_400000_NS6detail17trampoline_kernelINS0_14default_configENS1_20scan_config_selectorIjEEZZNS1_9scan_implILNS1_25lookback_scan_determinismE0ELb0ELb0ES3_N6thrust23THRUST_200600_302600_NS6detail15normal_iteratorINS9_10device_ptrIjEEEENS9_16discard_iteratorINS9_11use_defaultEEEjNS9_4plusIvEEjEEDaPvRmT3_T4_T5_mT6_P12ihipStream_tbENKUlT_T0_E_clISt17integral_constantIbLb0EESX_EEDaSS_ST_EUlSS_E_NS1_11comp_targetILNS1_3genE10ELNS1_11target_archE1200ELNS1_3gpuE4ELNS1_3repE0EEENS1_30default_config_static_selectorELNS0_4arch9wavefront6targetE1EEEvT1_
    .private_segment_fixed_size: 0
    .sgpr_count:     4
    .sgpr_spill_count: 0
    .symbol:         _ZN7rocprim17ROCPRIM_400000_NS6detail17trampoline_kernelINS0_14default_configENS1_20scan_config_selectorIjEEZZNS1_9scan_implILNS1_25lookback_scan_determinismE0ELb0ELb0ES3_N6thrust23THRUST_200600_302600_NS6detail15normal_iteratorINS9_10device_ptrIjEEEENS9_16discard_iteratorINS9_11use_defaultEEEjNS9_4plusIvEEjEEDaPvRmT3_T4_T5_mT6_P12ihipStream_tbENKUlT_T0_E_clISt17integral_constantIbLb0EESX_EEDaSS_ST_EUlSS_E_NS1_11comp_targetILNS1_3genE10ELNS1_11target_archE1200ELNS1_3gpuE4ELNS1_3repE0EEENS1_30default_config_static_selectorELNS0_4arch9wavefront6targetE1EEEvT1_.kd
    .uniform_work_group_size: 1
    .uses_dynamic_stack: false
    .vgpr_count:     0
    .vgpr_spill_count: 0
    .wavefront_size: 64
  - .agpr_count:     0
    .args:
      - .offset:         0
        .size:           104
        .value_kind:     by_value
    .group_segment_fixed_size: 0
    .kernarg_segment_align: 8
    .kernarg_segment_size: 104
    .language:       OpenCL C
    .language_version:
      - 2
      - 0
    .max_flat_workgroup_size: 256
    .name:           _ZN7rocprim17ROCPRIM_400000_NS6detail17trampoline_kernelINS0_14default_configENS1_20scan_config_selectorIjEEZZNS1_9scan_implILNS1_25lookback_scan_determinismE0ELb0ELb0ES3_N6thrust23THRUST_200600_302600_NS6detail15normal_iteratorINS9_10device_ptrIjEEEENS9_16discard_iteratorINS9_11use_defaultEEEjNS9_4plusIvEEjEEDaPvRmT3_T4_T5_mT6_P12ihipStream_tbENKUlT_T0_E_clISt17integral_constantIbLb0EESX_EEDaSS_ST_EUlSS_E_NS1_11comp_targetILNS1_3genE9ELNS1_11target_archE1100ELNS1_3gpuE3ELNS1_3repE0EEENS1_30default_config_static_selectorELNS0_4arch9wavefront6targetE1EEEvT1_
    .private_segment_fixed_size: 0
    .sgpr_count:     4
    .sgpr_spill_count: 0
    .symbol:         _ZN7rocprim17ROCPRIM_400000_NS6detail17trampoline_kernelINS0_14default_configENS1_20scan_config_selectorIjEEZZNS1_9scan_implILNS1_25lookback_scan_determinismE0ELb0ELb0ES3_N6thrust23THRUST_200600_302600_NS6detail15normal_iteratorINS9_10device_ptrIjEEEENS9_16discard_iteratorINS9_11use_defaultEEEjNS9_4plusIvEEjEEDaPvRmT3_T4_T5_mT6_P12ihipStream_tbENKUlT_T0_E_clISt17integral_constantIbLb0EESX_EEDaSS_ST_EUlSS_E_NS1_11comp_targetILNS1_3genE9ELNS1_11target_archE1100ELNS1_3gpuE3ELNS1_3repE0EEENS1_30default_config_static_selectorELNS0_4arch9wavefront6targetE1EEEvT1_.kd
    .uniform_work_group_size: 1
    .uses_dynamic_stack: false
    .vgpr_count:     0
    .vgpr_spill_count: 0
    .wavefront_size: 64
  - .agpr_count:     0
    .args:
      - .offset:         0
        .size:           104
        .value_kind:     by_value
    .group_segment_fixed_size: 0
    .kernarg_segment_align: 8
    .kernarg_segment_size: 104
    .language:       OpenCL C
    .language_version:
      - 2
      - 0
    .max_flat_workgroup_size: 64
    .name:           _ZN7rocprim17ROCPRIM_400000_NS6detail17trampoline_kernelINS0_14default_configENS1_20scan_config_selectorIjEEZZNS1_9scan_implILNS1_25lookback_scan_determinismE0ELb0ELb0ES3_N6thrust23THRUST_200600_302600_NS6detail15normal_iteratorINS9_10device_ptrIjEEEENS9_16discard_iteratorINS9_11use_defaultEEEjNS9_4plusIvEEjEEDaPvRmT3_T4_T5_mT6_P12ihipStream_tbENKUlT_T0_E_clISt17integral_constantIbLb0EESX_EEDaSS_ST_EUlSS_E_NS1_11comp_targetILNS1_3genE8ELNS1_11target_archE1030ELNS1_3gpuE2ELNS1_3repE0EEENS1_30default_config_static_selectorELNS0_4arch9wavefront6targetE1EEEvT1_
    .private_segment_fixed_size: 0
    .sgpr_count:     4
    .sgpr_spill_count: 0
    .symbol:         _ZN7rocprim17ROCPRIM_400000_NS6detail17trampoline_kernelINS0_14default_configENS1_20scan_config_selectorIjEEZZNS1_9scan_implILNS1_25lookback_scan_determinismE0ELb0ELb0ES3_N6thrust23THRUST_200600_302600_NS6detail15normal_iteratorINS9_10device_ptrIjEEEENS9_16discard_iteratorINS9_11use_defaultEEEjNS9_4plusIvEEjEEDaPvRmT3_T4_T5_mT6_P12ihipStream_tbENKUlT_T0_E_clISt17integral_constantIbLb0EESX_EEDaSS_ST_EUlSS_E_NS1_11comp_targetILNS1_3genE8ELNS1_11target_archE1030ELNS1_3gpuE2ELNS1_3repE0EEENS1_30default_config_static_selectorELNS0_4arch9wavefront6targetE1EEEvT1_.kd
    .uniform_work_group_size: 1
    .uses_dynamic_stack: false
    .vgpr_count:     0
    .vgpr_spill_count: 0
    .wavefront_size: 64
  - .agpr_count:     0
    .args:
      - .offset:         0
        .size:           40
        .value_kind:     by_value
    .group_segment_fixed_size: 0
    .kernarg_segment_align: 8
    .kernarg_segment_size: 40
    .language:       OpenCL C
    .language_version:
      - 2
      - 0
    .max_flat_workgroup_size: 256
    .name:           _ZN7rocprim17ROCPRIM_400000_NS6detail17trampoline_kernelINS0_14default_configENS1_20scan_config_selectorIjEEZZNS1_9scan_implILNS1_25lookback_scan_determinismE0ELb0ELb0ES3_N6thrust23THRUST_200600_302600_NS6detail15normal_iteratorINS9_10device_ptrIjEEEENS9_16discard_iteratorINS9_11use_defaultEEEjNS9_4plusIvEEjEEDaPvRmT3_T4_T5_mT6_P12ihipStream_tbENKUlT_T0_E_clISt17integral_constantIbLb0EESX_EEDaSS_ST_EUlSS_E0_NS1_11comp_targetILNS1_3genE0ELNS1_11target_archE4294967295ELNS1_3gpuE0ELNS1_3repE0EEENS1_30default_config_static_selectorELNS0_4arch9wavefront6targetE1EEEvT1_
    .private_segment_fixed_size: 0
    .sgpr_count:     4
    .sgpr_spill_count: 0
    .symbol:         _ZN7rocprim17ROCPRIM_400000_NS6detail17trampoline_kernelINS0_14default_configENS1_20scan_config_selectorIjEEZZNS1_9scan_implILNS1_25lookback_scan_determinismE0ELb0ELb0ES3_N6thrust23THRUST_200600_302600_NS6detail15normal_iteratorINS9_10device_ptrIjEEEENS9_16discard_iteratorINS9_11use_defaultEEEjNS9_4plusIvEEjEEDaPvRmT3_T4_T5_mT6_P12ihipStream_tbENKUlT_T0_E_clISt17integral_constantIbLb0EESX_EEDaSS_ST_EUlSS_E0_NS1_11comp_targetILNS1_3genE0ELNS1_11target_archE4294967295ELNS1_3gpuE0ELNS1_3repE0EEENS1_30default_config_static_selectorELNS0_4arch9wavefront6targetE1EEEvT1_.kd
    .uniform_work_group_size: 1
    .uses_dynamic_stack: false
    .vgpr_count:     0
    .vgpr_spill_count: 0
    .wavefront_size: 64
  - .agpr_count:     0
    .args:
      - .offset:         0
        .size:           40
        .value_kind:     by_value
    .group_segment_fixed_size: 0
    .kernarg_segment_align: 8
    .kernarg_segment_size: 40
    .language:       OpenCL C
    .language_version:
      - 2
      - 0
    .max_flat_workgroup_size: 256
    .name:           _ZN7rocprim17ROCPRIM_400000_NS6detail17trampoline_kernelINS0_14default_configENS1_20scan_config_selectorIjEEZZNS1_9scan_implILNS1_25lookback_scan_determinismE0ELb0ELb0ES3_N6thrust23THRUST_200600_302600_NS6detail15normal_iteratorINS9_10device_ptrIjEEEENS9_16discard_iteratorINS9_11use_defaultEEEjNS9_4plusIvEEjEEDaPvRmT3_T4_T5_mT6_P12ihipStream_tbENKUlT_T0_E_clISt17integral_constantIbLb0EESX_EEDaSS_ST_EUlSS_E0_NS1_11comp_targetILNS1_3genE5ELNS1_11target_archE942ELNS1_3gpuE9ELNS1_3repE0EEENS1_30default_config_static_selectorELNS0_4arch9wavefront6targetE1EEEvT1_
    .private_segment_fixed_size: 0
    .sgpr_count:     4
    .sgpr_spill_count: 0
    .symbol:         _ZN7rocprim17ROCPRIM_400000_NS6detail17trampoline_kernelINS0_14default_configENS1_20scan_config_selectorIjEEZZNS1_9scan_implILNS1_25lookback_scan_determinismE0ELb0ELb0ES3_N6thrust23THRUST_200600_302600_NS6detail15normal_iteratorINS9_10device_ptrIjEEEENS9_16discard_iteratorINS9_11use_defaultEEEjNS9_4plusIvEEjEEDaPvRmT3_T4_T5_mT6_P12ihipStream_tbENKUlT_T0_E_clISt17integral_constantIbLb0EESX_EEDaSS_ST_EUlSS_E0_NS1_11comp_targetILNS1_3genE5ELNS1_11target_archE942ELNS1_3gpuE9ELNS1_3repE0EEENS1_30default_config_static_selectorELNS0_4arch9wavefront6targetE1EEEvT1_.kd
    .uniform_work_group_size: 1
    .uses_dynamic_stack: false
    .vgpr_count:     0
    .vgpr_spill_count: 0
    .wavefront_size: 64
  - .agpr_count:     0
    .args:
      - .offset:         0
        .size:           40
        .value_kind:     by_value
    .group_segment_fixed_size: 5120
    .kernarg_segment_align: 8
    .kernarg_segment_size: 40
    .language:       OpenCL C
    .language_version:
      - 2
      - 0
    .max_flat_workgroup_size: 128
    .name:           _ZN7rocprim17ROCPRIM_400000_NS6detail17trampoline_kernelINS0_14default_configENS1_20scan_config_selectorIjEEZZNS1_9scan_implILNS1_25lookback_scan_determinismE0ELb0ELb0ES3_N6thrust23THRUST_200600_302600_NS6detail15normal_iteratorINS9_10device_ptrIjEEEENS9_16discard_iteratorINS9_11use_defaultEEEjNS9_4plusIvEEjEEDaPvRmT3_T4_T5_mT6_P12ihipStream_tbENKUlT_T0_E_clISt17integral_constantIbLb0EESX_EEDaSS_ST_EUlSS_E0_NS1_11comp_targetILNS1_3genE4ELNS1_11target_archE910ELNS1_3gpuE8ELNS1_3repE0EEENS1_30default_config_static_selectorELNS0_4arch9wavefront6targetE1EEEvT1_
    .private_segment_fixed_size: 0
    .sgpr_count:     10
    .sgpr_spill_count: 0
    .symbol:         _ZN7rocprim17ROCPRIM_400000_NS6detail17trampoline_kernelINS0_14default_configENS1_20scan_config_selectorIjEEZZNS1_9scan_implILNS1_25lookback_scan_determinismE0ELb0ELb0ES3_N6thrust23THRUST_200600_302600_NS6detail15normal_iteratorINS9_10device_ptrIjEEEENS9_16discard_iteratorINS9_11use_defaultEEEjNS9_4plusIvEEjEEDaPvRmT3_T4_T5_mT6_P12ihipStream_tbENKUlT_T0_E_clISt17integral_constantIbLb0EESX_EEDaSS_ST_EUlSS_E0_NS1_11comp_targetILNS1_3genE4ELNS1_11target_archE910ELNS1_3gpuE8ELNS1_3repE0EEENS1_30default_config_static_selectorELNS0_4arch9wavefront6targetE1EEEvT1_.kd
    .uniform_work_group_size: 1
    .uses_dynamic_stack: false
    .vgpr_count:     27
    .vgpr_spill_count: 0
    .wavefront_size: 64
  - .agpr_count:     0
    .args:
      - .offset:         0
        .size:           40
        .value_kind:     by_value
    .group_segment_fixed_size: 0
    .kernarg_segment_align: 8
    .kernarg_segment_size: 40
    .language:       OpenCL C
    .language_version:
      - 2
      - 0
    .max_flat_workgroup_size: 256
    .name:           _ZN7rocprim17ROCPRIM_400000_NS6detail17trampoline_kernelINS0_14default_configENS1_20scan_config_selectorIjEEZZNS1_9scan_implILNS1_25lookback_scan_determinismE0ELb0ELb0ES3_N6thrust23THRUST_200600_302600_NS6detail15normal_iteratorINS9_10device_ptrIjEEEENS9_16discard_iteratorINS9_11use_defaultEEEjNS9_4plusIvEEjEEDaPvRmT3_T4_T5_mT6_P12ihipStream_tbENKUlT_T0_E_clISt17integral_constantIbLb0EESX_EEDaSS_ST_EUlSS_E0_NS1_11comp_targetILNS1_3genE3ELNS1_11target_archE908ELNS1_3gpuE7ELNS1_3repE0EEENS1_30default_config_static_selectorELNS0_4arch9wavefront6targetE1EEEvT1_
    .private_segment_fixed_size: 0
    .sgpr_count:     4
    .sgpr_spill_count: 0
    .symbol:         _ZN7rocprim17ROCPRIM_400000_NS6detail17trampoline_kernelINS0_14default_configENS1_20scan_config_selectorIjEEZZNS1_9scan_implILNS1_25lookback_scan_determinismE0ELb0ELb0ES3_N6thrust23THRUST_200600_302600_NS6detail15normal_iteratorINS9_10device_ptrIjEEEENS9_16discard_iteratorINS9_11use_defaultEEEjNS9_4plusIvEEjEEDaPvRmT3_T4_T5_mT6_P12ihipStream_tbENKUlT_T0_E_clISt17integral_constantIbLb0EESX_EEDaSS_ST_EUlSS_E0_NS1_11comp_targetILNS1_3genE3ELNS1_11target_archE908ELNS1_3gpuE7ELNS1_3repE0EEENS1_30default_config_static_selectorELNS0_4arch9wavefront6targetE1EEEvT1_.kd
    .uniform_work_group_size: 1
    .uses_dynamic_stack: false
    .vgpr_count:     0
    .vgpr_spill_count: 0
    .wavefront_size: 64
  - .agpr_count:     0
    .args:
      - .offset:         0
        .size:           40
        .value_kind:     by_value
    .group_segment_fixed_size: 0
    .kernarg_segment_align: 8
    .kernarg_segment_size: 40
    .language:       OpenCL C
    .language_version:
      - 2
      - 0
    .max_flat_workgroup_size: 256
    .name:           _ZN7rocprim17ROCPRIM_400000_NS6detail17trampoline_kernelINS0_14default_configENS1_20scan_config_selectorIjEEZZNS1_9scan_implILNS1_25lookback_scan_determinismE0ELb0ELb0ES3_N6thrust23THRUST_200600_302600_NS6detail15normal_iteratorINS9_10device_ptrIjEEEENS9_16discard_iteratorINS9_11use_defaultEEEjNS9_4plusIvEEjEEDaPvRmT3_T4_T5_mT6_P12ihipStream_tbENKUlT_T0_E_clISt17integral_constantIbLb0EESX_EEDaSS_ST_EUlSS_E0_NS1_11comp_targetILNS1_3genE2ELNS1_11target_archE906ELNS1_3gpuE6ELNS1_3repE0EEENS1_30default_config_static_selectorELNS0_4arch9wavefront6targetE1EEEvT1_
    .private_segment_fixed_size: 0
    .sgpr_count:     4
    .sgpr_spill_count: 0
    .symbol:         _ZN7rocprim17ROCPRIM_400000_NS6detail17trampoline_kernelINS0_14default_configENS1_20scan_config_selectorIjEEZZNS1_9scan_implILNS1_25lookback_scan_determinismE0ELb0ELb0ES3_N6thrust23THRUST_200600_302600_NS6detail15normal_iteratorINS9_10device_ptrIjEEEENS9_16discard_iteratorINS9_11use_defaultEEEjNS9_4plusIvEEjEEDaPvRmT3_T4_T5_mT6_P12ihipStream_tbENKUlT_T0_E_clISt17integral_constantIbLb0EESX_EEDaSS_ST_EUlSS_E0_NS1_11comp_targetILNS1_3genE2ELNS1_11target_archE906ELNS1_3gpuE6ELNS1_3repE0EEENS1_30default_config_static_selectorELNS0_4arch9wavefront6targetE1EEEvT1_.kd
    .uniform_work_group_size: 1
    .uses_dynamic_stack: false
    .vgpr_count:     0
    .vgpr_spill_count: 0
    .wavefront_size: 64
  - .agpr_count:     0
    .args:
      - .offset:         0
        .size:           40
        .value_kind:     by_value
    .group_segment_fixed_size: 0
    .kernarg_segment_align: 8
    .kernarg_segment_size: 40
    .language:       OpenCL C
    .language_version:
      - 2
      - 0
    .max_flat_workgroup_size: 256
    .name:           _ZN7rocprim17ROCPRIM_400000_NS6detail17trampoline_kernelINS0_14default_configENS1_20scan_config_selectorIjEEZZNS1_9scan_implILNS1_25lookback_scan_determinismE0ELb0ELb0ES3_N6thrust23THRUST_200600_302600_NS6detail15normal_iteratorINS9_10device_ptrIjEEEENS9_16discard_iteratorINS9_11use_defaultEEEjNS9_4plusIvEEjEEDaPvRmT3_T4_T5_mT6_P12ihipStream_tbENKUlT_T0_E_clISt17integral_constantIbLb0EESX_EEDaSS_ST_EUlSS_E0_NS1_11comp_targetILNS1_3genE10ELNS1_11target_archE1201ELNS1_3gpuE5ELNS1_3repE0EEENS1_30default_config_static_selectorELNS0_4arch9wavefront6targetE1EEEvT1_
    .private_segment_fixed_size: 0
    .sgpr_count:     4
    .sgpr_spill_count: 0
    .symbol:         _ZN7rocprim17ROCPRIM_400000_NS6detail17trampoline_kernelINS0_14default_configENS1_20scan_config_selectorIjEEZZNS1_9scan_implILNS1_25lookback_scan_determinismE0ELb0ELb0ES3_N6thrust23THRUST_200600_302600_NS6detail15normal_iteratorINS9_10device_ptrIjEEEENS9_16discard_iteratorINS9_11use_defaultEEEjNS9_4plusIvEEjEEDaPvRmT3_T4_T5_mT6_P12ihipStream_tbENKUlT_T0_E_clISt17integral_constantIbLb0EESX_EEDaSS_ST_EUlSS_E0_NS1_11comp_targetILNS1_3genE10ELNS1_11target_archE1201ELNS1_3gpuE5ELNS1_3repE0EEENS1_30default_config_static_selectorELNS0_4arch9wavefront6targetE1EEEvT1_.kd
    .uniform_work_group_size: 1
    .uses_dynamic_stack: false
    .vgpr_count:     0
    .vgpr_spill_count: 0
    .wavefront_size: 64
  - .agpr_count:     0
    .args:
      - .offset:         0
        .size:           40
        .value_kind:     by_value
    .group_segment_fixed_size: 0
    .kernarg_segment_align: 8
    .kernarg_segment_size: 40
    .language:       OpenCL C
    .language_version:
      - 2
      - 0
    .max_flat_workgroup_size: 256
    .name:           _ZN7rocprim17ROCPRIM_400000_NS6detail17trampoline_kernelINS0_14default_configENS1_20scan_config_selectorIjEEZZNS1_9scan_implILNS1_25lookback_scan_determinismE0ELb0ELb0ES3_N6thrust23THRUST_200600_302600_NS6detail15normal_iteratorINS9_10device_ptrIjEEEENS9_16discard_iteratorINS9_11use_defaultEEEjNS9_4plusIvEEjEEDaPvRmT3_T4_T5_mT6_P12ihipStream_tbENKUlT_T0_E_clISt17integral_constantIbLb0EESX_EEDaSS_ST_EUlSS_E0_NS1_11comp_targetILNS1_3genE10ELNS1_11target_archE1200ELNS1_3gpuE4ELNS1_3repE0EEENS1_30default_config_static_selectorELNS0_4arch9wavefront6targetE1EEEvT1_
    .private_segment_fixed_size: 0
    .sgpr_count:     4
    .sgpr_spill_count: 0
    .symbol:         _ZN7rocprim17ROCPRIM_400000_NS6detail17trampoline_kernelINS0_14default_configENS1_20scan_config_selectorIjEEZZNS1_9scan_implILNS1_25lookback_scan_determinismE0ELb0ELb0ES3_N6thrust23THRUST_200600_302600_NS6detail15normal_iteratorINS9_10device_ptrIjEEEENS9_16discard_iteratorINS9_11use_defaultEEEjNS9_4plusIvEEjEEDaPvRmT3_T4_T5_mT6_P12ihipStream_tbENKUlT_T0_E_clISt17integral_constantIbLb0EESX_EEDaSS_ST_EUlSS_E0_NS1_11comp_targetILNS1_3genE10ELNS1_11target_archE1200ELNS1_3gpuE4ELNS1_3repE0EEENS1_30default_config_static_selectorELNS0_4arch9wavefront6targetE1EEEvT1_.kd
    .uniform_work_group_size: 1
    .uses_dynamic_stack: false
    .vgpr_count:     0
    .vgpr_spill_count: 0
    .wavefront_size: 64
  - .agpr_count:     0
    .args:
      - .offset:         0
        .size:           40
        .value_kind:     by_value
    .group_segment_fixed_size: 0
    .kernarg_segment_align: 8
    .kernarg_segment_size: 40
    .language:       OpenCL C
    .language_version:
      - 2
      - 0
    .max_flat_workgroup_size: 256
    .name:           _ZN7rocprim17ROCPRIM_400000_NS6detail17trampoline_kernelINS0_14default_configENS1_20scan_config_selectorIjEEZZNS1_9scan_implILNS1_25lookback_scan_determinismE0ELb0ELb0ES3_N6thrust23THRUST_200600_302600_NS6detail15normal_iteratorINS9_10device_ptrIjEEEENS9_16discard_iteratorINS9_11use_defaultEEEjNS9_4plusIvEEjEEDaPvRmT3_T4_T5_mT6_P12ihipStream_tbENKUlT_T0_E_clISt17integral_constantIbLb0EESX_EEDaSS_ST_EUlSS_E0_NS1_11comp_targetILNS1_3genE9ELNS1_11target_archE1100ELNS1_3gpuE3ELNS1_3repE0EEENS1_30default_config_static_selectorELNS0_4arch9wavefront6targetE1EEEvT1_
    .private_segment_fixed_size: 0
    .sgpr_count:     4
    .sgpr_spill_count: 0
    .symbol:         _ZN7rocprim17ROCPRIM_400000_NS6detail17trampoline_kernelINS0_14default_configENS1_20scan_config_selectorIjEEZZNS1_9scan_implILNS1_25lookback_scan_determinismE0ELb0ELb0ES3_N6thrust23THRUST_200600_302600_NS6detail15normal_iteratorINS9_10device_ptrIjEEEENS9_16discard_iteratorINS9_11use_defaultEEEjNS9_4plusIvEEjEEDaPvRmT3_T4_T5_mT6_P12ihipStream_tbENKUlT_T0_E_clISt17integral_constantIbLb0EESX_EEDaSS_ST_EUlSS_E0_NS1_11comp_targetILNS1_3genE9ELNS1_11target_archE1100ELNS1_3gpuE3ELNS1_3repE0EEENS1_30default_config_static_selectorELNS0_4arch9wavefront6targetE1EEEvT1_.kd
    .uniform_work_group_size: 1
    .uses_dynamic_stack: false
    .vgpr_count:     0
    .vgpr_spill_count: 0
    .wavefront_size: 64
  - .agpr_count:     0
    .args:
      - .offset:         0
        .size:           40
        .value_kind:     by_value
    .group_segment_fixed_size: 0
    .kernarg_segment_align: 8
    .kernarg_segment_size: 40
    .language:       OpenCL C
    .language_version:
      - 2
      - 0
    .max_flat_workgroup_size: 64
    .name:           _ZN7rocprim17ROCPRIM_400000_NS6detail17trampoline_kernelINS0_14default_configENS1_20scan_config_selectorIjEEZZNS1_9scan_implILNS1_25lookback_scan_determinismE0ELb0ELb0ES3_N6thrust23THRUST_200600_302600_NS6detail15normal_iteratorINS9_10device_ptrIjEEEENS9_16discard_iteratorINS9_11use_defaultEEEjNS9_4plusIvEEjEEDaPvRmT3_T4_T5_mT6_P12ihipStream_tbENKUlT_T0_E_clISt17integral_constantIbLb0EESX_EEDaSS_ST_EUlSS_E0_NS1_11comp_targetILNS1_3genE8ELNS1_11target_archE1030ELNS1_3gpuE2ELNS1_3repE0EEENS1_30default_config_static_selectorELNS0_4arch9wavefront6targetE1EEEvT1_
    .private_segment_fixed_size: 0
    .sgpr_count:     4
    .sgpr_spill_count: 0
    .symbol:         _ZN7rocprim17ROCPRIM_400000_NS6detail17trampoline_kernelINS0_14default_configENS1_20scan_config_selectorIjEEZZNS1_9scan_implILNS1_25lookback_scan_determinismE0ELb0ELb0ES3_N6thrust23THRUST_200600_302600_NS6detail15normal_iteratorINS9_10device_ptrIjEEEENS9_16discard_iteratorINS9_11use_defaultEEEjNS9_4plusIvEEjEEDaPvRmT3_T4_T5_mT6_P12ihipStream_tbENKUlT_T0_E_clISt17integral_constantIbLb0EESX_EEDaSS_ST_EUlSS_E0_NS1_11comp_targetILNS1_3genE8ELNS1_11target_archE1030ELNS1_3gpuE2ELNS1_3repE0EEENS1_30default_config_static_selectorELNS0_4arch9wavefront6targetE1EEEvT1_.kd
    .uniform_work_group_size: 1
    .uses_dynamic_stack: false
    .vgpr_count:     0
    .vgpr_spill_count: 0
    .wavefront_size: 64
  - .agpr_count:     0
    .args:
      - .offset:         0
        .size:           104
        .value_kind:     by_value
    .group_segment_fixed_size: 0
    .kernarg_segment_align: 8
    .kernarg_segment_size: 104
    .language:       OpenCL C
    .language_version:
      - 2
      - 0
    .max_flat_workgroup_size: 256
    .name:           _ZN7rocprim17ROCPRIM_400000_NS6detail17trampoline_kernelINS0_14default_configENS1_20scan_config_selectorIjEEZZNS1_9scan_implILNS1_25lookback_scan_determinismE0ELb0ELb0ES3_N6thrust23THRUST_200600_302600_NS6detail15normal_iteratorINS9_10device_ptrIjEEEENS9_16discard_iteratorINS9_11use_defaultEEEjNS9_4plusIvEEjEEDaPvRmT3_T4_T5_mT6_P12ihipStream_tbENKUlT_T0_E_clISt17integral_constantIbLb1EESX_EEDaSS_ST_EUlSS_E_NS1_11comp_targetILNS1_3genE0ELNS1_11target_archE4294967295ELNS1_3gpuE0ELNS1_3repE0EEENS1_30default_config_static_selectorELNS0_4arch9wavefront6targetE1EEEvT1_
    .private_segment_fixed_size: 0
    .sgpr_count:     4
    .sgpr_spill_count: 0
    .symbol:         _ZN7rocprim17ROCPRIM_400000_NS6detail17trampoline_kernelINS0_14default_configENS1_20scan_config_selectorIjEEZZNS1_9scan_implILNS1_25lookback_scan_determinismE0ELb0ELb0ES3_N6thrust23THRUST_200600_302600_NS6detail15normal_iteratorINS9_10device_ptrIjEEEENS9_16discard_iteratorINS9_11use_defaultEEEjNS9_4plusIvEEjEEDaPvRmT3_T4_T5_mT6_P12ihipStream_tbENKUlT_T0_E_clISt17integral_constantIbLb1EESX_EEDaSS_ST_EUlSS_E_NS1_11comp_targetILNS1_3genE0ELNS1_11target_archE4294967295ELNS1_3gpuE0ELNS1_3repE0EEENS1_30default_config_static_selectorELNS0_4arch9wavefront6targetE1EEEvT1_.kd
    .uniform_work_group_size: 1
    .uses_dynamic_stack: false
    .vgpr_count:     0
    .vgpr_spill_count: 0
    .wavefront_size: 64
  - .agpr_count:     0
    .args:
      - .offset:         0
        .size:           104
        .value_kind:     by_value
    .group_segment_fixed_size: 0
    .kernarg_segment_align: 8
    .kernarg_segment_size: 104
    .language:       OpenCL C
    .language_version:
      - 2
      - 0
    .max_flat_workgroup_size: 256
    .name:           _ZN7rocprim17ROCPRIM_400000_NS6detail17trampoline_kernelINS0_14default_configENS1_20scan_config_selectorIjEEZZNS1_9scan_implILNS1_25lookback_scan_determinismE0ELb0ELb0ES3_N6thrust23THRUST_200600_302600_NS6detail15normal_iteratorINS9_10device_ptrIjEEEENS9_16discard_iteratorINS9_11use_defaultEEEjNS9_4plusIvEEjEEDaPvRmT3_T4_T5_mT6_P12ihipStream_tbENKUlT_T0_E_clISt17integral_constantIbLb1EESX_EEDaSS_ST_EUlSS_E_NS1_11comp_targetILNS1_3genE5ELNS1_11target_archE942ELNS1_3gpuE9ELNS1_3repE0EEENS1_30default_config_static_selectorELNS0_4arch9wavefront6targetE1EEEvT1_
    .private_segment_fixed_size: 0
    .sgpr_count:     4
    .sgpr_spill_count: 0
    .symbol:         _ZN7rocprim17ROCPRIM_400000_NS6detail17trampoline_kernelINS0_14default_configENS1_20scan_config_selectorIjEEZZNS1_9scan_implILNS1_25lookback_scan_determinismE0ELb0ELb0ES3_N6thrust23THRUST_200600_302600_NS6detail15normal_iteratorINS9_10device_ptrIjEEEENS9_16discard_iteratorINS9_11use_defaultEEEjNS9_4plusIvEEjEEDaPvRmT3_T4_T5_mT6_P12ihipStream_tbENKUlT_T0_E_clISt17integral_constantIbLb1EESX_EEDaSS_ST_EUlSS_E_NS1_11comp_targetILNS1_3genE5ELNS1_11target_archE942ELNS1_3gpuE9ELNS1_3repE0EEENS1_30default_config_static_selectorELNS0_4arch9wavefront6targetE1EEEvT1_.kd
    .uniform_work_group_size: 1
    .uses_dynamic_stack: false
    .vgpr_count:     0
    .vgpr_spill_count: 0
    .wavefront_size: 64
  - .agpr_count:     0
    .args:
      - .offset:         0
        .size:           104
        .value_kind:     by_value
    .group_segment_fixed_size: 5120
    .kernarg_segment_align: 8
    .kernarg_segment_size: 104
    .language:       OpenCL C
    .language_version:
      - 2
      - 0
    .max_flat_workgroup_size: 128
    .name:           _ZN7rocprim17ROCPRIM_400000_NS6detail17trampoline_kernelINS0_14default_configENS1_20scan_config_selectorIjEEZZNS1_9scan_implILNS1_25lookback_scan_determinismE0ELb0ELb0ES3_N6thrust23THRUST_200600_302600_NS6detail15normal_iteratorINS9_10device_ptrIjEEEENS9_16discard_iteratorINS9_11use_defaultEEEjNS9_4plusIvEEjEEDaPvRmT3_T4_T5_mT6_P12ihipStream_tbENKUlT_T0_E_clISt17integral_constantIbLb1EESX_EEDaSS_ST_EUlSS_E_NS1_11comp_targetILNS1_3genE4ELNS1_11target_archE910ELNS1_3gpuE8ELNS1_3repE0EEENS1_30default_config_static_selectorELNS0_4arch9wavefront6targetE1EEEvT1_
    .private_segment_fixed_size: 0
    .sgpr_count:     34
    .sgpr_spill_count: 0
    .symbol:         _ZN7rocprim17ROCPRIM_400000_NS6detail17trampoline_kernelINS0_14default_configENS1_20scan_config_selectorIjEEZZNS1_9scan_implILNS1_25lookback_scan_determinismE0ELb0ELb0ES3_N6thrust23THRUST_200600_302600_NS6detail15normal_iteratorINS9_10device_ptrIjEEEENS9_16discard_iteratorINS9_11use_defaultEEEjNS9_4plusIvEEjEEDaPvRmT3_T4_T5_mT6_P12ihipStream_tbENKUlT_T0_E_clISt17integral_constantIbLb1EESX_EEDaSS_ST_EUlSS_E_NS1_11comp_targetILNS1_3genE4ELNS1_11target_archE910ELNS1_3gpuE8ELNS1_3repE0EEENS1_30default_config_static_selectorELNS0_4arch9wavefront6targetE1EEEvT1_.kd
    .uniform_work_group_size: 1
    .uses_dynamic_stack: false
    .vgpr_count:     39
    .vgpr_spill_count: 0
    .wavefront_size: 64
  - .agpr_count:     0
    .args:
      - .offset:         0
        .size:           104
        .value_kind:     by_value
    .group_segment_fixed_size: 0
    .kernarg_segment_align: 8
    .kernarg_segment_size: 104
    .language:       OpenCL C
    .language_version:
      - 2
      - 0
    .max_flat_workgroup_size: 256
    .name:           _ZN7rocprim17ROCPRIM_400000_NS6detail17trampoline_kernelINS0_14default_configENS1_20scan_config_selectorIjEEZZNS1_9scan_implILNS1_25lookback_scan_determinismE0ELb0ELb0ES3_N6thrust23THRUST_200600_302600_NS6detail15normal_iteratorINS9_10device_ptrIjEEEENS9_16discard_iteratorINS9_11use_defaultEEEjNS9_4plusIvEEjEEDaPvRmT3_T4_T5_mT6_P12ihipStream_tbENKUlT_T0_E_clISt17integral_constantIbLb1EESX_EEDaSS_ST_EUlSS_E_NS1_11comp_targetILNS1_3genE3ELNS1_11target_archE908ELNS1_3gpuE7ELNS1_3repE0EEENS1_30default_config_static_selectorELNS0_4arch9wavefront6targetE1EEEvT1_
    .private_segment_fixed_size: 0
    .sgpr_count:     4
    .sgpr_spill_count: 0
    .symbol:         _ZN7rocprim17ROCPRIM_400000_NS6detail17trampoline_kernelINS0_14default_configENS1_20scan_config_selectorIjEEZZNS1_9scan_implILNS1_25lookback_scan_determinismE0ELb0ELb0ES3_N6thrust23THRUST_200600_302600_NS6detail15normal_iteratorINS9_10device_ptrIjEEEENS9_16discard_iteratorINS9_11use_defaultEEEjNS9_4plusIvEEjEEDaPvRmT3_T4_T5_mT6_P12ihipStream_tbENKUlT_T0_E_clISt17integral_constantIbLb1EESX_EEDaSS_ST_EUlSS_E_NS1_11comp_targetILNS1_3genE3ELNS1_11target_archE908ELNS1_3gpuE7ELNS1_3repE0EEENS1_30default_config_static_selectorELNS0_4arch9wavefront6targetE1EEEvT1_.kd
    .uniform_work_group_size: 1
    .uses_dynamic_stack: false
    .vgpr_count:     0
    .vgpr_spill_count: 0
    .wavefront_size: 64
  - .agpr_count:     0
    .args:
      - .offset:         0
        .size:           104
        .value_kind:     by_value
    .group_segment_fixed_size: 0
    .kernarg_segment_align: 8
    .kernarg_segment_size: 104
    .language:       OpenCL C
    .language_version:
      - 2
      - 0
    .max_flat_workgroup_size: 256
    .name:           _ZN7rocprim17ROCPRIM_400000_NS6detail17trampoline_kernelINS0_14default_configENS1_20scan_config_selectorIjEEZZNS1_9scan_implILNS1_25lookback_scan_determinismE0ELb0ELb0ES3_N6thrust23THRUST_200600_302600_NS6detail15normal_iteratorINS9_10device_ptrIjEEEENS9_16discard_iteratorINS9_11use_defaultEEEjNS9_4plusIvEEjEEDaPvRmT3_T4_T5_mT6_P12ihipStream_tbENKUlT_T0_E_clISt17integral_constantIbLb1EESX_EEDaSS_ST_EUlSS_E_NS1_11comp_targetILNS1_3genE2ELNS1_11target_archE906ELNS1_3gpuE6ELNS1_3repE0EEENS1_30default_config_static_selectorELNS0_4arch9wavefront6targetE1EEEvT1_
    .private_segment_fixed_size: 0
    .sgpr_count:     4
    .sgpr_spill_count: 0
    .symbol:         _ZN7rocprim17ROCPRIM_400000_NS6detail17trampoline_kernelINS0_14default_configENS1_20scan_config_selectorIjEEZZNS1_9scan_implILNS1_25lookback_scan_determinismE0ELb0ELb0ES3_N6thrust23THRUST_200600_302600_NS6detail15normal_iteratorINS9_10device_ptrIjEEEENS9_16discard_iteratorINS9_11use_defaultEEEjNS9_4plusIvEEjEEDaPvRmT3_T4_T5_mT6_P12ihipStream_tbENKUlT_T0_E_clISt17integral_constantIbLb1EESX_EEDaSS_ST_EUlSS_E_NS1_11comp_targetILNS1_3genE2ELNS1_11target_archE906ELNS1_3gpuE6ELNS1_3repE0EEENS1_30default_config_static_selectorELNS0_4arch9wavefront6targetE1EEEvT1_.kd
    .uniform_work_group_size: 1
    .uses_dynamic_stack: false
    .vgpr_count:     0
    .vgpr_spill_count: 0
    .wavefront_size: 64
  - .agpr_count:     0
    .args:
      - .offset:         0
        .size:           104
        .value_kind:     by_value
    .group_segment_fixed_size: 0
    .kernarg_segment_align: 8
    .kernarg_segment_size: 104
    .language:       OpenCL C
    .language_version:
      - 2
      - 0
    .max_flat_workgroup_size: 256
    .name:           _ZN7rocprim17ROCPRIM_400000_NS6detail17trampoline_kernelINS0_14default_configENS1_20scan_config_selectorIjEEZZNS1_9scan_implILNS1_25lookback_scan_determinismE0ELb0ELb0ES3_N6thrust23THRUST_200600_302600_NS6detail15normal_iteratorINS9_10device_ptrIjEEEENS9_16discard_iteratorINS9_11use_defaultEEEjNS9_4plusIvEEjEEDaPvRmT3_T4_T5_mT6_P12ihipStream_tbENKUlT_T0_E_clISt17integral_constantIbLb1EESX_EEDaSS_ST_EUlSS_E_NS1_11comp_targetILNS1_3genE10ELNS1_11target_archE1201ELNS1_3gpuE5ELNS1_3repE0EEENS1_30default_config_static_selectorELNS0_4arch9wavefront6targetE1EEEvT1_
    .private_segment_fixed_size: 0
    .sgpr_count:     4
    .sgpr_spill_count: 0
    .symbol:         _ZN7rocprim17ROCPRIM_400000_NS6detail17trampoline_kernelINS0_14default_configENS1_20scan_config_selectorIjEEZZNS1_9scan_implILNS1_25lookback_scan_determinismE0ELb0ELb0ES3_N6thrust23THRUST_200600_302600_NS6detail15normal_iteratorINS9_10device_ptrIjEEEENS9_16discard_iteratorINS9_11use_defaultEEEjNS9_4plusIvEEjEEDaPvRmT3_T4_T5_mT6_P12ihipStream_tbENKUlT_T0_E_clISt17integral_constantIbLb1EESX_EEDaSS_ST_EUlSS_E_NS1_11comp_targetILNS1_3genE10ELNS1_11target_archE1201ELNS1_3gpuE5ELNS1_3repE0EEENS1_30default_config_static_selectorELNS0_4arch9wavefront6targetE1EEEvT1_.kd
    .uniform_work_group_size: 1
    .uses_dynamic_stack: false
    .vgpr_count:     0
    .vgpr_spill_count: 0
    .wavefront_size: 64
  - .agpr_count:     0
    .args:
      - .offset:         0
        .size:           104
        .value_kind:     by_value
    .group_segment_fixed_size: 0
    .kernarg_segment_align: 8
    .kernarg_segment_size: 104
    .language:       OpenCL C
    .language_version:
      - 2
      - 0
    .max_flat_workgroup_size: 256
    .name:           _ZN7rocprim17ROCPRIM_400000_NS6detail17trampoline_kernelINS0_14default_configENS1_20scan_config_selectorIjEEZZNS1_9scan_implILNS1_25lookback_scan_determinismE0ELb0ELb0ES3_N6thrust23THRUST_200600_302600_NS6detail15normal_iteratorINS9_10device_ptrIjEEEENS9_16discard_iteratorINS9_11use_defaultEEEjNS9_4plusIvEEjEEDaPvRmT3_T4_T5_mT6_P12ihipStream_tbENKUlT_T0_E_clISt17integral_constantIbLb1EESX_EEDaSS_ST_EUlSS_E_NS1_11comp_targetILNS1_3genE10ELNS1_11target_archE1200ELNS1_3gpuE4ELNS1_3repE0EEENS1_30default_config_static_selectorELNS0_4arch9wavefront6targetE1EEEvT1_
    .private_segment_fixed_size: 0
    .sgpr_count:     4
    .sgpr_spill_count: 0
    .symbol:         _ZN7rocprim17ROCPRIM_400000_NS6detail17trampoline_kernelINS0_14default_configENS1_20scan_config_selectorIjEEZZNS1_9scan_implILNS1_25lookback_scan_determinismE0ELb0ELb0ES3_N6thrust23THRUST_200600_302600_NS6detail15normal_iteratorINS9_10device_ptrIjEEEENS9_16discard_iteratorINS9_11use_defaultEEEjNS9_4plusIvEEjEEDaPvRmT3_T4_T5_mT6_P12ihipStream_tbENKUlT_T0_E_clISt17integral_constantIbLb1EESX_EEDaSS_ST_EUlSS_E_NS1_11comp_targetILNS1_3genE10ELNS1_11target_archE1200ELNS1_3gpuE4ELNS1_3repE0EEENS1_30default_config_static_selectorELNS0_4arch9wavefront6targetE1EEEvT1_.kd
    .uniform_work_group_size: 1
    .uses_dynamic_stack: false
    .vgpr_count:     0
    .vgpr_spill_count: 0
    .wavefront_size: 64
  - .agpr_count:     0
    .args:
      - .offset:         0
        .size:           104
        .value_kind:     by_value
    .group_segment_fixed_size: 0
    .kernarg_segment_align: 8
    .kernarg_segment_size: 104
    .language:       OpenCL C
    .language_version:
      - 2
      - 0
    .max_flat_workgroup_size: 256
    .name:           _ZN7rocprim17ROCPRIM_400000_NS6detail17trampoline_kernelINS0_14default_configENS1_20scan_config_selectorIjEEZZNS1_9scan_implILNS1_25lookback_scan_determinismE0ELb0ELb0ES3_N6thrust23THRUST_200600_302600_NS6detail15normal_iteratorINS9_10device_ptrIjEEEENS9_16discard_iteratorINS9_11use_defaultEEEjNS9_4plusIvEEjEEDaPvRmT3_T4_T5_mT6_P12ihipStream_tbENKUlT_T0_E_clISt17integral_constantIbLb1EESX_EEDaSS_ST_EUlSS_E_NS1_11comp_targetILNS1_3genE9ELNS1_11target_archE1100ELNS1_3gpuE3ELNS1_3repE0EEENS1_30default_config_static_selectorELNS0_4arch9wavefront6targetE1EEEvT1_
    .private_segment_fixed_size: 0
    .sgpr_count:     4
    .sgpr_spill_count: 0
    .symbol:         _ZN7rocprim17ROCPRIM_400000_NS6detail17trampoline_kernelINS0_14default_configENS1_20scan_config_selectorIjEEZZNS1_9scan_implILNS1_25lookback_scan_determinismE0ELb0ELb0ES3_N6thrust23THRUST_200600_302600_NS6detail15normal_iteratorINS9_10device_ptrIjEEEENS9_16discard_iteratorINS9_11use_defaultEEEjNS9_4plusIvEEjEEDaPvRmT3_T4_T5_mT6_P12ihipStream_tbENKUlT_T0_E_clISt17integral_constantIbLb1EESX_EEDaSS_ST_EUlSS_E_NS1_11comp_targetILNS1_3genE9ELNS1_11target_archE1100ELNS1_3gpuE3ELNS1_3repE0EEENS1_30default_config_static_selectorELNS0_4arch9wavefront6targetE1EEEvT1_.kd
    .uniform_work_group_size: 1
    .uses_dynamic_stack: false
    .vgpr_count:     0
    .vgpr_spill_count: 0
    .wavefront_size: 64
  - .agpr_count:     0
    .args:
      - .offset:         0
        .size:           104
        .value_kind:     by_value
    .group_segment_fixed_size: 0
    .kernarg_segment_align: 8
    .kernarg_segment_size: 104
    .language:       OpenCL C
    .language_version:
      - 2
      - 0
    .max_flat_workgroup_size: 64
    .name:           _ZN7rocprim17ROCPRIM_400000_NS6detail17trampoline_kernelINS0_14default_configENS1_20scan_config_selectorIjEEZZNS1_9scan_implILNS1_25lookback_scan_determinismE0ELb0ELb0ES3_N6thrust23THRUST_200600_302600_NS6detail15normal_iteratorINS9_10device_ptrIjEEEENS9_16discard_iteratorINS9_11use_defaultEEEjNS9_4plusIvEEjEEDaPvRmT3_T4_T5_mT6_P12ihipStream_tbENKUlT_T0_E_clISt17integral_constantIbLb1EESX_EEDaSS_ST_EUlSS_E_NS1_11comp_targetILNS1_3genE8ELNS1_11target_archE1030ELNS1_3gpuE2ELNS1_3repE0EEENS1_30default_config_static_selectorELNS0_4arch9wavefront6targetE1EEEvT1_
    .private_segment_fixed_size: 0
    .sgpr_count:     4
    .sgpr_spill_count: 0
    .symbol:         _ZN7rocprim17ROCPRIM_400000_NS6detail17trampoline_kernelINS0_14default_configENS1_20scan_config_selectorIjEEZZNS1_9scan_implILNS1_25lookback_scan_determinismE0ELb0ELb0ES3_N6thrust23THRUST_200600_302600_NS6detail15normal_iteratorINS9_10device_ptrIjEEEENS9_16discard_iteratorINS9_11use_defaultEEEjNS9_4plusIvEEjEEDaPvRmT3_T4_T5_mT6_P12ihipStream_tbENKUlT_T0_E_clISt17integral_constantIbLb1EESX_EEDaSS_ST_EUlSS_E_NS1_11comp_targetILNS1_3genE8ELNS1_11target_archE1030ELNS1_3gpuE2ELNS1_3repE0EEENS1_30default_config_static_selectorELNS0_4arch9wavefront6targetE1EEEvT1_.kd
    .uniform_work_group_size: 1
    .uses_dynamic_stack: false
    .vgpr_count:     0
    .vgpr_spill_count: 0
    .wavefront_size: 64
  - .agpr_count:     0
    .args:
      - .offset:         0
        .size:           40
        .value_kind:     by_value
    .group_segment_fixed_size: 0
    .kernarg_segment_align: 8
    .kernarg_segment_size: 40
    .language:       OpenCL C
    .language_version:
      - 2
      - 0
    .max_flat_workgroup_size: 256
    .name:           _ZN7rocprim17ROCPRIM_400000_NS6detail17trampoline_kernelINS0_14default_configENS1_20scan_config_selectorIjEEZZNS1_9scan_implILNS1_25lookback_scan_determinismE0ELb0ELb0ES3_N6thrust23THRUST_200600_302600_NS6detail15normal_iteratorINS9_10device_ptrIjEEEENS9_16discard_iteratorINS9_11use_defaultEEEjNS9_4plusIvEEjEEDaPvRmT3_T4_T5_mT6_P12ihipStream_tbENKUlT_T0_E_clISt17integral_constantIbLb1EESX_EEDaSS_ST_EUlSS_E0_NS1_11comp_targetILNS1_3genE0ELNS1_11target_archE4294967295ELNS1_3gpuE0ELNS1_3repE0EEENS1_30default_config_static_selectorELNS0_4arch9wavefront6targetE1EEEvT1_
    .private_segment_fixed_size: 0
    .sgpr_count:     4
    .sgpr_spill_count: 0
    .symbol:         _ZN7rocprim17ROCPRIM_400000_NS6detail17trampoline_kernelINS0_14default_configENS1_20scan_config_selectorIjEEZZNS1_9scan_implILNS1_25lookback_scan_determinismE0ELb0ELb0ES3_N6thrust23THRUST_200600_302600_NS6detail15normal_iteratorINS9_10device_ptrIjEEEENS9_16discard_iteratorINS9_11use_defaultEEEjNS9_4plusIvEEjEEDaPvRmT3_T4_T5_mT6_P12ihipStream_tbENKUlT_T0_E_clISt17integral_constantIbLb1EESX_EEDaSS_ST_EUlSS_E0_NS1_11comp_targetILNS1_3genE0ELNS1_11target_archE4294967295ELNS1_3gpuE0ELNS1_3repE0EEENS1_30default_config_static_selectorELNS0_4arch9wavefront6targetE1EEEvT1_.kd
    .uniform_work_group_size: 1
    .uses_dynamic_stack: false
    .vgpr_count:     0
    .vgpr_spill_count: 0
    .wavefront_size: 64
  - .agpr_count:     0
    .args:
      - .offset:         0
        .size:           40
        .value_kind:     by_value
    .group_segment_fixed_size: 0
    .kernarg_segment_align: 8
    .kernarg_segment_size: 40
    .language:       OpenCL C
    .language_version:
      - 2
      - 0
    .max_flat_workgroup_size: 256
    .name:           _ZN7rocprim17ROCPRIM_400000_NS6detail17trampoline_kernelINS0_14default_configENS1_20scan_config_selectorIjEEZZNS1_9scan_implILNS1_25lookback_scan_determinismE0ELb0ELb0ES3_N6thrust23THRUST_200600_302600_NS6detail15normal_iteratorINS9_10device_ptrIjEEEENS9_16discard_iteratorINS9_11use_defaultEEEjNS9_4plusIvEEjEEDaPvRmT3_T4_T5_mT6_P12ihipStream_tbENKUlT_T0_E_clISt17integral_constantIbLb1EESX_EEDaSS_ST_EUlSS_E0_NS1_11comp_targetILNS1_3genE5ELNS1_11target_archE942ELNS1_3gpuE9ELNS1_3repE0EEENS1_30default_config_static_selectorELNS0_4arch9wavefront6targetE1EEEvT1_
    .private_segment_fixed_size: 0
    .sgpr_count:     4
    .sgpr_spill_count: 0
    .symbol:         _ZN7rocprim17ROCPRIM_400000_NS6detail17trampoline_kernelINS0_14default_configENS1_20scan_config_selectorIjEEZZNS1_9scan_implILNS1_25lookback_scan_determinismE0ELb0ELb0ES3_N6thrust23THRUST_200600_302600_NS6detail15normal_iteratorINS9_10device_ptrIjEEEENS9_16discard_iteratorINS9_11use_defaultEEEjNS9_4plusIvEEjEEDaPvRmT3_T4_T5_mT6_P12ihipStream_tbENKUlT_T0_E_clISt17integral_constantIbLb1EESX_EEDaSS_ST_EUlSS_E0_NS1_11comp_targetILNS1_3genE5ELNS1_11target_archE942ELNS1_3gpuE9ELNS1_3repE0EEENS1_30default_config_static_selectorELNS0_4arch9wavefront6targetE1EEEvT1_.kd
    .uniform_work_group_size: 1
    .uses_dynamic_stack: false
    .vgpr_count:     0
    .vgpr_spill_count: 0
    .wavefront_size: 64
  - .agpr_count:     0
    .args:
      - .offset:         0
        .size:           40
        .value_kind:     by_value
    .group_segment_fixed_size: 5120
    .kernarg_segment_align: 8
    .kernarg_segment_size: 40
    .language:       OpenCL C
    .language_version:
      - 2
      - 0
    .max_flat_workgroup_size: 128
    .name:           _ZN7rocprim17ROCPRIM_400000_NS6detail17trampoline_kernelINS0_14default_configENS1_20scan_config_selectorIjEEZZNS1_9scan_implILNS1_25lookback_scan_determinismE0ELb0ELb0ES3_N6thrust23THRUST_200600_302600_NS6detail15normal_iteratorINS9_10device_ptrIjEEEENS9_16discard_iteratorINS9_11use_defaultEEEjNS9_4plusIvEEjEEDaPvRmT3_T4_T5_mT6_P12ihipStream_tbENKUlT_T0_E_clISt17integral_constantIbLb1EESX_EEDaSS_ST_EUlSS_E0_NS1_11comp_targetILNS1_3genE4ELNS1_11target_archE910ELNS1_3gpuE8ELNS1_3repE0EEENS1_30default_config_static_selectorELNS0_4arch9wavefront6targetE1EEEvT1_
    .private_segment_fixed_size: 0
    .sgpr_count:     10
    .sgpr_spill_count: 0
    .symbol:         _ZN7rocprim17ROCPRIM_400000_NS6detail17trampoline_kernelINS0_14default_configENS1_20scan_config_selectorIjEEZZNS1_9scan_implILNS1_25lookback_scan_determinismE0ELb0ELb0ES3_N6thrust23THRUST_200600_302600_NS6detail15normal_iteratorINS9_10device_ptrIjEEEENS9_16discard_iteratorINS9_11use_defaultEEEjNS9_4plusIvEEjEEDaPvRmT3_T4_T5_mT6_P12ihipStream_tbENKUlT_T0_E_clISt17integral_constantIbLb1EESX_EEDaSS_ST_EUlSS_E0_NS1_11comp_targetILNS1_3genE4ELNS1_11target_archE910ELNS1_3gpuE8ELNS1_3repE0EEENS1_30default_config_static_selectorELNS0_4arch9wavefront6targetE1EEEvT1_.kd
    .uniform_work_group_size: 1
    .uses_dynamic_stack: false
    .vgpr_count:     27
    .vgpr_spill_count: 0
    .wavefront_size: 64
  - .agpr_count:     0
    .args:
      - .offset:         0
        .size:           40
        .value_kind:     by_value
    .group_segment_fixed_size: 0
    .kernarg_segment_align: 8
    .kernarg_segment_size: 40
    .language:       OpenCL C
    .language_version:
      - 2
      - 0
    .max_flat_workgroup_size: 256
    .name:           _ZN7rocprim17ROCPRIM_400000_NS6detail17trampoline_kernelINS0_14default_configENS1_20scan_config_selectorIjEEZZNS1_9scan_implILNS1_25lookback_scan_determinismE0ELb0ELb0ES3_N6thrust23THRUST_200600_302600_NS6detail15normal_iteratorINS9_10device_ptrIjEEEENS9_16discard_iteratorINS9_11use_defaultEEEjNS9_4plusIvEEjEEDaPvRmT3_T4_T5_mT6_P12ihipStream_tbENKUlT_T0_E_clISt17integral_constantIbLb1EESX_EEDaSS_ST_EUlSS_E0_NS1_11comp_targetILNS1_3genE3ELNS1_11target_archE908ELNS1_3gpuE7ELNS1_3repE0EEENS1_30default_config_static_selectorELNS0_4arch9wavefront6targetE1EEEvT1_
    .private_segment_fixed_size: 0
    .sgpr_count:     4
    .sgpr_spill_count: 0
    .symbol:         _ZN7rocprim17ROCPRIM_400000_NS6detail17trampoline_kernelINS0_14default_configENS1_20scan_config_selectorIjEEZZNS1_9scan_implILNS1_25lookback_scan_determinismE0ELb0ELb0ES3_N6thrust23THRUST_200600_302600_NS6detail15normal_iteratorINS9_10device_ptrIjEEEENS9_16discard_iteratorINS9_11use_defaultEEEjNS9_4plusIvEEjEEDaPvRmT3_T4_T5_mT6_P12ihipStream_tbENKUlT_T0_E_clISt17integral_constantIbLb1EESX_EEDaSS_ST_EUlSS_E0_NS1_11comp_targetILNS1_3genE3ELNS1_11target_archE908ELNS1_3gpuE7ELNS1_3repE0EEENS1_30default_config_static_selectorELNS0_4arch9wavefront6targetE1EEEvT1_.kd
    .uniform_work_group_size: 1
    .uses_dynamic_stack: false
    .vgpr_count:     0
    .vgpr_spill_count: 0
    .wavefront_size: 64
  - .agpr_count:     0
    .args:
      - .offset:         0
        .size:           40
        .value_kind:     by_value
    .group_segment_fixed_size: 0
    .kernarg_segment_align: 8
    .kernarg_segment_size: 40
    .language:       OpenCL C
    .language_version:
      - 2
      - 0
    .max_flat_workgroup_size: 256
    .name:           _ZN7rocprim17ROCPRIM_400000_NS6detail17trampoline_kernelINS0_14default_configENS1_20scan_config_selectorIjEEZZNS1_9scan_implILNS1_25lookback_scan_determinismE0ELb0ELb0ES3_N6thrust23THRUST_200600_302600_NS6detail15normal_iteratorINS9_10device_ptrIjEEEENS9_16discard_iteratorINS9_11use_defaultEEEjNS9_4plusIvEEjEEDaPvRmT3_T4_T5_mT6_P12ihipStream_tbENKUlT_T0_E_clISt17integral_constantIbLb1EESX_EEDaSS_ST_EUlSS_E0_NS1_11comp_targetILNS1_3genE2ELNS1_11target_archE906ELNS1_3gpuE6ELNS1_3repE0EEENS1_30default_config_static_selectorELNS0_4arch9wavefront6targetE1EEEvT1_
    .private_segment_fixed_size: 0
    .sgpr_count:     4
    .sgpr_spill_count: 0
    .symbol:         _ZN7rocprim17ROCPRIM_400000_NS6detail17trampoline_kernelINS0_14default_configENS1_20scan_config_selectorIjEEZZNS1_9scan_implILNS1_25lookback_scan_determinismE0ELb0ELb0ES3_N6thrust23THRUST_200600_302600_NS6detail15normal_iteratorINS9_10device_ptrIjEEEENS9_16discard_iteratorINS9_11use_defaultEEEjNS9_4plusIvEEjEEDaPvRmT3_T4_T5_mT6_P12ihipStream_tbENKUlT_T0_E_clISt17integral_constantIbLb1EESX_EEDaSS_ST_EUlSS_E0_NS1_11comp_targetILNS1_3genE2ELNS1_11target_archE906ELNS1_3gpuE6ELNS1_3repE0EEENS1_30default_config_static_selectorELNS0_4arch9wavefront6targetE1EEEvT1_.kd
    .uniform_work_group_size: 1
    .uses_dynamic_stack: false
    .vgpr_count:     0
    .vgpr_spill_count: 0
    .wavefront_size: 64
  - .agpr_count:     0
    .args:
      - .offset:         0
        .size:           40
        .value_kind:     by_value
    .group_segment_fixed_size: 0
    .kernarg_segment_align: 8
    .kernarg_segment_size: 40
    .language:       OpenCL C
    .language_version:
      - 2
      - 0
    .max_flat_workgroup_size: 256
    .name:           _ZN7rocprim17ROCPRIM_400000_NS6detail17trampoline_kernelINS0_14default_configENS1_20scan_config_selectorIjEEZZNS1_9scan_implILNS1_25lookback_scan_determinismE0ELb0ELb0ES3_N6thrust23THRUST_200600_302600_NS6detail15normal_iteratorINS9_10device_ptrIjEEEENS9_16discard_iteratorINS9_11use_defaultEEEjNS9_4plusIvEEjEEDaPvRmT3_T4_T5_mT6_P12ihipStream_tbENKUlT_T0_E_clISt17integral_constantIbLb1EESX_EEDaSS_ST_EUlSS_E0_NS1_11comp_targetILNS1_3genE10ELNS1_11target_archE1201ELNS1_3gpuE5ELNS1_3repE0EEENS1_30default_config_static_selectorELNS0_4arch9wavefront6targetE1EEEvT1_
    .private_segment_fixed_size: 0
    .sgpr_count:     4
    .sgpr_spill_count: 0
    .symbol:         _ZN7rocprim17ROCPRIM_400000_NS6detail17trampoline_kernelINS0_14default_configENS1_20scan_config_selectorIjEEZZNS1_9scan_implILNS1_25lookback_scan_determinismE0ELb0ELb0ES3_N6thrust23THRUST_200600_302600_NS6detail15normal_iteratorINS9_10device_ptrIjEEEENS9_16discard_iteratorINS9_11use_defaultEEEjNS9_4plusIvEEjEEDaPvRmT3_T4_T5_mT6_P12ihipStream_tbENKUlT_T0_E_clISt17integral_constantIbLb1EESX_EEDaSS_ST_EUlSS_E0_NS1_11comp_targetILNS1_3genE10ELNS1_11target_archE1201ELNS1_3gpuE5ELNS1_3repE0EEENS1_30default_config_static_selectorELNS0_4arch9wavefront6targetE1EEEvT1_.kd
    .uniform_work_group_size: 1
    .uses_dynamic_stack: false
    .vgpr_count:     0
    .vgpr_spill_count: 0
    .wavefront_size: 64
  - .agpr_count:     0
    .args:
      - .offset:         0
        .size:           40
        .value_kind:     by_value
    .group_segment_fixed_size: 0
    .kernarg_segment_align: 8
    .kernarg_segment_size: 40
    .language:       OpenCL C
    .language_version:
      - 2
      - 0
    .max_flat_workgroup_size: 256
    .name:           _ZN7rocprim17ROCPRIM_400000_NS6detail17trampoline_kernelINS0_14default_configENS1_20scan_config_selectorIjEEZZNS1_9scan_implILNS1_25lookback_scan_determinismE0ELb0ELb0ES3_N6thrust23THRUST_200600_302600_NS6detail15normal_iteratorINS9_10device_ptrIjEEEENS9_16discard_iteratorINS9_11use_defaultEEEjNS9_4plusIvEEjEEDaPvRmT3_T4_T5_mT6_P12ihipStream_tbENKUlT_T0_E_clISt17integral_constantIbLb1EESX_EEDaSS_ST_EUlSS_E0_NS1_11comp_targetILNS1_3genE10ELNS1_11target_archE1200ELNS1_3gpuE4ELNS1_3repE0EEENS1_30default_config_static_selectorELNS0_4arch9wavefront6targetE1EEEvT1_
    .private_segment_fixed_size: 0
    .sgpr_count:     4
    .sgpr_spill_count: 0
    .symbol:         _ZN7rocprim17ROCPRIM_400000_NS6detail17trampoline_kernelINS0_14default_configENS1_20scan_config_selectorIjEEZZNS1_9scan_implILNS1_25lookback_scan_determinismE0ELb0ELb0ES3_N6thrust23THRUST_200600_302600_NS6detail15normal_iteratorINS9_10device_ptrIjEEEENS9_16discard_iteratorINS9_11use_defaultEEEjNS9_4plusIvEEjEEDaPvRmT3_T4_T5_mT6_P12ihipStream_tbENKUlT_T0_E_clISt17integral_constantIbLb1EESX_EEDaSS_ST_EUlSS_E0_NS1_11comp_targetILNS1_3genE10ELNS1_11target_archE1200ELNS1_3gpuE4ELNS1_3repE0EEENS1_30default_config_static_selectorELNS0_4arch9wavefront6targetE1EEEvT1_.kd
    .uniform_work_group_size: 1
    .uses_dynamic_stack: false
    .vgpr_count:     0
    .vgpr_spill_count: 0
    .wavefront_size: 64
  - .agpr_count:     0
    .args:
      - .offset:         0
        .size:           40
        .value_kind:     by_value
    .group_segment_fixed_size: 0
    .kernarg_segment_align: 8
    .kernarg_segment_size: 40
    .language:       OpenCL C
    .language_version:
      - 2
      - 0
    .max_flat_workgroup_size: 256
    .name:           _ZN7rocprim17ROCPRIM_400000_NS6detail17trampoline_kernelINS0_14default_configENS1_20scan_config_selectorIjEEZZNS1_9scan_implILNS1_25lookback_scan_determinismE0ELb0ELb0ES3_N6thrust23THRUST_200600_302600_NS6detail15normal_iteratorINS9_10device_ptrIjEEEENS9_16discard_iteratorINS9_11use_defaultEEEjNS9_4plusIvEEjEEDaPvRmT3_T4_T5_mT6_P12ihipStream_tbENKUlT_T0_E_clISt17integral_constantIbLb1EESX_EEDaSS_ST_EUlSS_E0_NS1_11comp_targetILNS1_3genE9ELNS1_11target_archE1100ELNS1_3gpuE3ELNS1_3repE0EEENS1_30default_config_static_selectorELNS0_4arch9wavefront6targetE1EEEvT1_
    .private_segment_fixed_size: 0
    .sgpr_count:     4
    .sgpr_spill_count: 0
    .symbol:         _ZN7rocprim17ROCPRIM_400000_NS6detail17trampoline_kernelINS0_14default_configENS1_20scan_config_selectorIjEEZZNS1_9scan_implILNS1_25lookback_scan_determinismE0ELb0ELb0ES3_N6thrust23THRUST_200600_302600_NS6detail15normal_iteratorINS9_10device_ptrIjEEEENS9_16discard_iteratorINS9_11use_defaultEEEjNS9_4plusIvEEjEEDaPvRmT3_T4_T5_mT6_P12ihipStream_tbENKUlT_T0_E_clISt17integral_constantIbLb1EESX_EEDaSS_ST_EUlSS_E0_NS1_11comp_targetILNS1_3genE9ELNS1_11target_archE1100ELNS1_3gpuE3ELNS1_3repE0EEENS1_30default_config_static_selectorELNS0_4arch9wavefront6targetE1EEEvT1_.kd
    .uniform_work_group_size: 1
    .uses_dynamic_stack: false
    .vgpr_count:     0
    .vgpr_spill_count: 0
    .wavefront_size: 64
  - .agpr_count:     0
    .args:
      - .offset:         0
        .size:           40
        .value_kind:     by_value
    .group_segment_fixed_size: 0
    .kernarg_segment_align: 8
    .kernarg_segment_size: 40
    .language:       OpenCL C
    .language_version:
      - 2
      - 0
    .max_flat_workgroup_size: 64
    .name:           _ZN7rocprim17ROCPRIM_400000_NS6detail17trampoline_kernelINS0_14default_configENS1_20scan_config_selectorIjEEZZNS1_9scan_implILNS1_25lookback_scan_determinismE0ELb0ELb0ES3_N6thrust23THRUST_200600_302600_NS6detail15normal_iteratorINS9_10device_ptrIjEEEENS9_16discard_iteratorINS9_11use_defaultEEEjNS9_4plusIvEEjEEDaPvRmT3_T4_T5_mT6_P12ihipStream_tbENKUlT_T0_E_clISt17integral_constantIbLb1EESX_EEDaSS_ST_EUlSS_E0_NS1_11comp_targetILNS1_3genE8ELNS1_11target_archE1030ELNS1_3gpuE2ELNS1_3repE0EEENS1_30default_config_static_selectorELNS0_4arch9wavefront6targetE1EEEvT1_
    .private_segment_fixed_size: 0
    .sgpr_count:     4
    .sgpr_spill_count: 0
    .symbol:         _ZN7rocprim17ROCPRIM_400000_NS6detail17trampoline_kernelINS0_14default_configENS1_20scan_config_selectorIjEEZZNS1_9scan_implILNS1_25lookback_scan_determinismE0ELb0ELb0ES3_N6thrust23THRUST_200600_302600_NS6detail15normal_iteratorINS9_10device_ptrIjEEEENS9_16discard_iteratorINS9_11use_defaultEEEjNS9_4plusIvEEjEEDaPvRmT3_T4_T5_mT6_P12ihipStream_tbENKUlT_T0_E_clISt17integral_constantIbLb1EESX_EEDaSS_ST_EUlSS_E0_NS1_11comp_targetILNS1_3genE8ELNS1_11target_archE1030ELNS1_3gpuE2ELNS1_3repE0EEENS1_30default_config_static_selectorELNS0_4arch9wavefront6targetE1EEEvT1_.kd
    .uniform_work_group_size: 1
    .uses_dynamic_stack: false
    .vgpr_count:     0
    .vgpr_spill_count: 0
    .wavefront_size: 64
  - .agpr_count:     0
    .args:
      - .offset:         0
        .size:           104
        .value_kind:     by_value
    .group_segment_fixed_size: 0
    .kernarg_segment_align: 8
    .kernarg_segment_size: 104
    .language:       OpenCL C
    .language_version:
      - 2
      - 0
    .max_flat_workgroup_size: 256
    .name:           _ZN7rocprim17ROCPRIM_400000_NS6detail17trampoline_kernelINS0_14default_configENS1_20scan_config_selectorIjEEZZNS1_9scan_implILNS1_25lookback_scan_determinismE0ELb0ELb0ES3_N6thrust23THRUST_200600_302600_NS6detail15normal_iteratorINS9_10device_ptrIjEEEENS9_16discard_iteratorINS9_11use_defaultEEEjNS9_4plusIvEEjEEDaPvRmT3_T4_T5_mT6_P12ihipStream_tbENKUlT_T0_E_clISt17integral_constantIbLb1EESW_IbLb0EEEEDaSS_ST_EUlSS_E_NS1_11comp_targetILNS1_3genE0ELNS1_11target_archE4294967295ELNS1_3gpuE0ELNS1_3repE0EEENS1_30default_config_static_selectorELNS0_4arch9wavefront6targetE1EEEvT1_
    .private_segment_fixed_size: 0
    .sgpr_count:     4
    .sgpr_spill_count: 0
    .symbol:         _ZN7rocprim17ROCPRIM_400000_NS6detail17trampoline_kernelINS0_14default_configENS1_20scan_config_selectorIjEEZZNS1_9scan_implILNS1_25lookback_scan_determinismE0ELb0ELb0ES3_N6thrust23THRUST_200600_302600_NS6detail15normal_iteratorINS9_10device_ptrIjEEEENS9_16discard_iteratorINS9_11use_defaultEEEjNS9_4plusIvEEjEEDaPvRmT3_T4_T5_mT6_P12ihipStream_tbENKUlT_T0_E_clISt17integral_constantIbLb1EESW_IbLb0EEEEDaSS_ST_EUlSS_E_NS1_11comp_targetILNS1_3genE0ELNS1_11target_archE4294967295ELNS1_3gpuE0ELNS1_3repE0EEENS1_30default_config_static_selectorELNS0_4arch9wavefront6targetE1EEEvT1_.kd
    .uniform_work_group_size: 1
    .uses_dynamic_stack: false
    .vgpr_count:     0
    .vgpr_spill_count: 0
    .wavefront_size: 64
  - .agpr_count:     0
    .args:
      - .offset:         0
        .size:           104
        .value_kind:     by_value
    .group_segment_fixed_size: 0
    .kernarg_segment_align: 8
    .kernarg_segment_size: 104
    .language:       OpenCL C
    .language_version:
      - 2
      - 0
    .max_flat_workgroup_size: 256
    .name:           _ZN7rocprim17ROCPRIM_400000_NS6detail17trampoline_kernelINS0_14default_configENS1_20scan_config_selectorIjEEZZNS1_9scan_implILNS1_25lookback_scan_determinismE0ELb0ELb0ES3_N6thrust23THRUST_200600_302600_NS6detail15normal_iteratorINS9_10device_ptrIjEEEENS9_16discard_iteratorINS9_11use_defaultEEEjNS9_4plusIvEEjEEDaPvRmT3_T4_T5_mT6_P12ihipStream_tbENKUlT_T0_E_clISt17integral_constantIbLb1EESW_IbLb0EEEEDaSS_ST_EUlSS_E_NS1_11comp_targetILNS1_3genE5ELNS1_11target_archE942ELNS1_3gpuE9ELNS1_3repE0EEENS1_30default_config_static_selectorELNS0_4arch9wavefront6targetE1EEEvT1_
    .private_segment_fixed_size: 0
    .sgpr_count:     4
    .sgpr_spill_count: 0
    .symbol:         _ZN7rocprim17ROCPRIM_400000_NS6detail17trampoline_kernelINS0_14default_configENS1_20scan_config_selectorIjEEZZNS1_9scan_implILNS1_25lookback_scan_determinismE0ELb0ELb0ES3_N6thrust23THRUST_200600_302600_NS6detail15normal_iteratorINS9_10device_ptrIjEEEENS9_16discard_iteratorINS9_11use_defaultEEEjNS9_4plusIvEEjEEDaPvRmT3_T4_T5_mT6_P12ihipStream_tbENKUlT_T0_E_clISt17integral_constantIbLb1EESW_IbLb0EEEEDaSS_ST_EUlSS_E_NS1_11comp_targetILNS1_3genE5ELNS1_11target_archE942ELNS1_3gpuE9ELNS1_3repE0EEENS1_30default_config_static_selectorELNS0_4arch9wavefront6targetE1EEEvT1_.kd
    .uniform_work_group_size: 1
    .uses_dynamic_stack: false
    .vgpr_count:     0
    .vgpr_spill_count: 0
    .wavefront_size: 64
  - .agpr_count:     0
    .args:
      - .offset:         0
        .size:           104
        .value_kind:     by_value
    .group_segment_fixed_size: 5120
    .kernarg_segment_align: 8
    .kernarg_segment_size: 104
    .language:       OpenCL C
    .language_version:
      - 2
      - 0
    .max_flat_workgroup_size: 128
    .name:           _ZN7rocprim17ROCPRIM_400000_NS6detail17trampoline_kernelINS0_14default_configENS1_20scan_config_selectorIjEEZZNS1_9scan_implILNS1_25lookback_scan_determinismE0ELb0ELb0ES3_N6thrust23THRUST_200600_302600_NS6detail15normal_iteratorINS9_10device_ptrIjEEEENS9_16discard_iteratorINS9_11use_defaultEEEjNS9_4plusIvEEjEEDaPvRmT3_T4_T5_mT6_P12ihipStream_tbENKUlT_T0_E_clISt17integral_constantIbLb1EESW_IbLb0EEEEDaSS_ST_EUlSS_E_NS1_11comp_targetILNS1_3genE4ELNS1_11target_archE910ELNS1_3gpuE8ELNS1_3repE0EEENS1_30default_config_static_selectorELNS0_4arch9wavefront6targetE1EEEvT1_
    .private_segment_fixed_size: 0
    .sgpr_count:     26
    .sgpr_spill_count: 0
    .symbol:         _ZN7rocprim17ROCPRIM_400000_NS6detail17trampoline_kernelINS0_14default_configENS1_20scan_config_selectorIjEEZZNS1_9scan_implILNS1_25lookback_scan_determinismE0ELb0ELb0ES3_N6thrust23THRUST_200600_302600_NS6detail15normal_iteratorINS9_10device_ptrIjEEEENS9_16discard_iteratorINS9_11use_defaultEEEjNS9_4plusIvEEjEEDaPvRmT3_T4_T5_mT6_P12ihipStream_tbENKUlT_T0_E_clISt17integral_constantIbLb1EESW_IbLb0EEEEDaSS_ST_EUlSS_E_NS1_11comp_targetILNS1_3genE4ELNS1_11target_archE910ELNS1_3gpuE8ELNS1_3repE0EEENS1_30default_config_static_selectorELNS0_4arch9wavefront6targetE1EEEvT1_.kd
    .uniform_work_group_size: 1
    .uses_dynamic_stack: false
    .vgpr_count:     39
    .vgpr_spill_count: 0
    .wavefront_size: 64
  - .agpr_count:     0
    .args:
      - .offset:         0
        .size:           104
        .value_kind:     by_value
    .group_segment_fixed_size: 0
    .kernarg_segment_align: 8
    .kernarg_segment_size: 104
    .language:       OpenCL C
    .language_version:
      - 2
      - 0
    .max_flat_workgroup_size: 256
    .name:           _ZN7rocprim17ROCPRIM_400000_NS6detail17trampoline_kernelINS0_14default_configENS1_20scan_config_selectorIjEEZZNS1_9scan_implILNS1_25lookback_scan_determinismE0ELb0ELb0ES3_N6thrust23THRUST_200600_302600_NS6detail15normal_iteratorINS9_10device_ptrIjEEEENS9_16discard_iteratorINS9_11use_defaultEEEjNS9_4plusIvEEjEEDaPvRmT3_T4_T5_mT6_P12ihipStream_tbENKUlT_T0_E_clISt17integral_constantIbLb1EESW_IbLb0EEEEDaSS_ST_EUlSS_E_NS1_11comp_targetILNS1_3genE3ELNS1_11target_archE908ELNS1_3gpuE7ELNS1_3repE0EEENS1_30default_config_static_selectorELNS0_4arch9wavefront6targetE1EEEvT1_
    .private_segment_fixed_size: 0
    .sgpr_count:     4
    .sgpr_spill_count: 0
    .symbol:         _ZN7rocprim17ROCPRIM_400000_NS6detail17trampoline_kernelINS0_14default_configENS1_20scan_config_selectorIjEEZZNS1_9scan_implILNS1_25lookback_scan_determinismE0ELb0ELb0ES3_N6thrust23THRUST_200600_302600_NS6detail15normal_iteratorINS9_10device_ptrIjEEEENS9_16discard_iteratorINS9_11use_defaultEEEjNS9_4plusIvEEjEEDaPvRmT3_T4_T5_mT6_P12ihipStream_tbENKUlT_T0_E_clISt17integral_constantIbLb1EESW_IbLb0EEEEDaSS_ST_EUlSS_E_NS1_11comp_targetILNS1_3genE3ELNS1_11target_archE908ELNS1_3gpuE7ELNS1_3repE0EEENS1_30default_config_static_selectorELNS0_4arch9wavefront6targetE1EEEvT1_.kd
    .uniform_work_group_size: 1
    .uses_dynamic_stack: false
    .vgpr_count:     0
    .vgpr_spill_count: 0
    .wavefront_size: 64
  - .agpr_count:     0
    .args:
      - .offset:         0
        .size:           104
        .value_kind:     by_value
    .group_segment_fixed_size: 0
    .kernarg_segment_align: 8
    .kernarg_segment_size: 104
    .language:       OpenCL C
    .language_version:
      - 2
      - 0
    .max_flat_workgroup_size: 256
    .name:           _ZN7rocprim17ROCPRIM_400000_NS6detail17trampoline_kernelINS0_14default_configENS1_20scan_config_selectorIjEEZZNS1_9scan_implILNS1_25lookback_scan_determinismE0ELb0ELb0ES3_N6thrust23THRUST_200600_302600_NS6detail15normal_iteratorINS9_10device_ptrIjEEEENS9_16discard_iteratorINS9_11use_defaultEEEjNS9_4plusIvEEjEEDaPvRmT3_T4_T5_mT6_P12ihipStream_tbENKUlT_T0_E_clISt17integral_constantIbLb1EESW_IbLb0EEEEDaSS_ST_EUlSS_E_NS1_11comp_targetILNS1_3genE2ELNS1_11target_archE906ELNS1_3gpuE6ELNS1_3repE0EEENS1_30default_config_static_selectorELNS0_4arch9wavefront6targetE1EEEvT1_
    .private_segment_fixed_size: 0
    .sgpr_count:     4
    .sgpr_spill_count: 0
    .symbol:         _ZN7rocprim17ROCPRIM_400000_NS6detail17trampoline_kernelINS0_14default_configENS1_20scan_config_selectorIjEEZZNS1_9scan_implILNS1_25lookback_scan_determinismE0ELb0ELb0ES3_N6thrust23THRUST_200600_302600_NS6detail15normal_iteratorINS9_10device_ptrIjEEEENS9_16discard_iteratorINS9_11use_defaultEEEjNS9_4plusIvEEjEEDaPvRmT3_T4_T5_mT6_P12ihipStream_tbENKUlT_T0_E_clISt17integral_constantIbLb1EESW_IbLb0EEEEDaSS_ST_EUlSS_E_NS1_11comp_targetILNS1_3genE2ELNS1_11target_archE906ELNS1_3gpuE6ELNS1_3repE0EEENS1_30default_config_static_selectorELNS0_4arch9wavefront6targetE1EEEvT1_.kd
    .uniform_work_group_size: 1
    .uses_dynamic_stack: false
    .vgpr_count:     0
    .vgpr_spill_count: 0
    .wavefront_size: 64
  - .agpr_count:     0
    .args:
      - .offset:         0
        .size:           104
        .value_kind:     by_value
    .group_segment_fixed_size: 0
    .kernarg_segment_align: 8
    .kernarg_segment_size: 104
    .language:       OpenCL C
    .language_version:
      - 2
      - 0
    .max_flat_workgroup_size: 256
    .name:           _ZN7rocprim17ROCPRIM_400000_NS6detail17trampoline_kernelINS0_14default_configENS1_20scan_config_selectorIjEEZZNS1_9scan_implILNS1_25lookback_scan_determinismE0ELb0ELb0ES3_N6thrust23THRUST_200600_302600_NS6detail15normal_iteratorINS9_10device_ptrIjEEEENS9_16discard_iteratorINS9_11use_defaultEEEjNS9_4plusIvEEjEEDaPvRmT3_T4_T5_mT6_P12ihipStream_tbENKUlT_T0_E_clISt17integral_constantIbLb1EESW_IbLb0EEEEDaSS_ST_EUlSS_E_NS1_11comp_targetILNS1_3genE10ELNS1_11target_archE1201ELNS1_3gpuE5ELNS1_3repE0EEENS1_30default_config_static_selectorELNS0_4arch9wavefront6targetE1EEEvT1_
    .private_segment_fixed_size: 0
    .sgpr_count:     4
    .sgpr_spill_count: 0
    .symbol:         _ZN7rocprim17ROCPRIM_400000_NS6detail17trampoline_kernelINS0_14default_configENS1_20scan_config_selectorIjEEZZNS1_9scan_implILNS1_25lookback_scan_determinismE0ELb0ELb0ES3_N6thrust23THRUST_200600_302600_NS6detail15normal_iteratorINS9_10device_ptrIjEEEENS9_16discard_iteratorINS9_11use_defaultEEEjNS9_4plusIvEEjEEDaPvRmT3_T4_T5_mT6_P12ihipStream_tbENKUlT_T0_E_clISt17integral_constantIbLb1EESW_IbLb0EEEEDaSS_ST_EUlSS_E_NS1_11comp_targetILNS1_3genE10ELNS1_11target_archE1201ELNS1_3gpuE5ELNS1_3repE0EEENS1_30default_config_static_selectorELNS0_4arch9wavefront6targetE1EEEvT1_.kd
    .uniform_work_group_size: 1
    .uses_dynamic_stack: false
    .vgpr_count:     0
    .vgpr_spill_count: 0
    .wavefront_size: 64
  - .agpr_count:     0
    .args:
      - .offset:         0
        .size:           104
        .value_kind:     by_value
    .group_segment_fixed_size: 0
    .kernarg_segment_align: 8
    .kernarg_segment_size: 104
    .language:       OpenCL C
    .language_version:
      - 2
      - 0
    .max_flat_workgroup_size: 256
    .name:           _ZN7rocprim17ROCPRIM_400000_NS6detail17trampoline_kernelINS0_14default_configENS1_20scan_config_selectorIjEEZZNS1_9scan_implILNS1_25lookback_scan_determinismE0ELb0ELb0ES3_N6thrust23THRUST_200600_302600_NS6detail15normal_iteratorINS9_10device_ptrIjEEEENS9_16discard_iteratorINS9_11use_defaultEEEjNS9_4plusIvEEjEEDaPvRmT3_T4_T5_mT6_P12ihipStream_tbENKUlT_T0_E_clISt17integral_constantIbLb1EESW_IbLb0EEEEDaSS_ST_EUlSS_E_NS1_11comp_targetILNS1_3genE10ELNS1_11target_archE1200ELNS1_3gpuE4ELNS1_3repE0EEENS1_30default_config_static_selectorELNS0_4arch9wavefront6targetE1EEEvT1_
    .private_segment_fixed_size: 0
    .sgpr_count:     4
    .sgpr_spill_count: 0
    .symbol:         _ZN7rocprim17ROCPRIM_400000_NS6detail17trampoline_kernelINS0_14default_configENS1_20scan_config_selectorIjEEZZNS1_9scan_implILNS1_25lookback_scan_determinismE0ELb0ELb0ES3_N6thrust23THRUST_200600_302600_NS6detail15normal_iteratorINS9_10device_ptrIjEEEENS9_16discard_iteratorINS9_11use_defaultEEEjNS9_4plusIvEEjEEDaPvRmT3_T4_T5_mT6_P12ihipStream_tbENKUlT_T0_E_clISt17integral_constantIbLb1EESW_IbLb0EEEEDaSS_ST_EUlSS_E_NS1_11comp_targetILNS1_3genE10ELNS1_11target_archE1200ELNS1_3gpuE4ELNS1_3repE0EEENS1_30default_config_static_selectorELNS0_4arch9wavefront6targetE1EEEvT1_.kd
    .uniform_work_group_size: 1
    .uses_dynamic_stack: false
    .vgpr_count:     0
    .vgpr_spill_count: 0
    .wavefront_size: 64
  - .agpr_count:     0
    .args:
      - .offset:         0
        .size:           104
        .value_kind:     by_value
    .group_segment_fixed_size: 0
    .kernarg_segment_align: 8
    .kernarg_segment_size: 104
    .language:       OpenCL C
    .language_version:
      - 2
      - 0
    .max_flat_workgroup_size: 256
    .name:           _ZN7rocprim17ROCPRIM_400000_NS6detail17trampoline_kernelINS0_14default_configENS1_20scan_config_selectorIjEEZZNS1_9scan_implILNS1_25lookback_scan_determinismE0ELb0ELb0ES3_N6thrust23THRUST_200600_302600_NS6detail15normal_iteratorINS9_10device_ptrIjEEEENS9_16discard_iteratorINS9_11use_defaultEEEjNS9_4plusIvEEjEEDaPvRmT3_T4_T5_mT6_P12ihipStream_tbENKUlT_T0_E_clISt17integral_constantIbLb1EESW_IbLb0EEEEDaSS_ST_EUlSS_E_NS1_11comp_targetILNS1_3genE9ELNS1_11target_archE1100ELNS1_3gpuE3ELNS1_3repE0EEENS1_30default_config_static_selectorELNS0_4arch9wavefront6targetE1EEEvT1_
    .private_segment_fixed_size: 0
    .sgpr_count:     4
    .sgpr_spill_count: 0
    .symbol:         _ZN7rocprim17ROCPRIM_400000_NS6detail17trampoline_kernelINS0_14default_configENS1_20scan_config_selectorIjEEZZNS1_9scan_implILNS1_25lookback_scan_determinismE0ELb0ELb0ES3_N6thrust23THRUST_200600_302600_NS6detail15normal_iteratorINS9_10device_ptrIjEEEENS9_16discard_iteratorINS9_11use_defaultEEEjNS9_4plusIvEEjEEDaPvRmT3_T4_T5_mT6_P12ihipStream_tbENKUlT_T0_E_clISt17integral_constantIbLb1EESW_IbLb0EEEEDaSS_ST_EUlSS_E_NS1_11comp_targetILNS1_3genE9ELNS1_11target_archE1100ELNS1_3gpuE3ELNS1_3repE0EEENS1_30default_config_static_selectorELNS0_4arch9wavefront6targetE1EEEvT1_.kd
    .uniform_work_group_size: 1
    .uses_dynamic_stack: false
    .vgpr_count:     0
    .vgpr_spill_count: 0
    .wavefront_size: 64
  - .agpr_count:     0
    .args:
      - .offset:         0
        .size:           104
        .value_kind:     by_value
    .group_segment_fixed_size: 0
    .kernarg_segment_align: 8
    .kernarg_segment_size: 104
    .language:       OpenCL C
    .language_version:
      - 2
      - 0
    .max_flat_workgroup_size: 64
    .name:           _ZN7rocprim17ROCPRIM_400000_NS6detail17trampoline_kernelINS0_14default_configENS1_20scan_config_selectorIjEEZZNS1_9scan_implILNS1_25lookback_scan_determinismE0ELb0ELb0ES3_N6thrust23THRUST_200600_302600_NS6detail15normal_iteratorINS9_10device_ptrIjEEEENS9_16discard_iteratorINS9_11use_defaultEEEjNS9_4plusIvEEjEEDaPvRmT3_T4_T5_mT6_P12ihipStream_tbENKUlT_T0_E_clISt17integral_constantIbLb1EESW_IbLb0EEEEDaSS_ST_EUlSS_E_NS1_11comp_targetILNS1_3genE8ELNS1_11target_archE1030ELNS1_3gpuE2ELNS1_3repE0EEENS1_30default_config_static_selectorELNS0_4arch9wavefront6targetE1EEEvT1_
    .private_segment_fixed_size: 0
    .sgpr_count:     4
    .sgpr_spill_count: 0
    .symbol:         _ZN7rocprim17ROCPRIM_400000_NS6detail17trampoline_kernelINS0_14default_configENS1_20scan_config_selectorIjEEZZNS1_9scan_implILNS1_25lookback_scan_determinismE0ELb0ELb0ES3_N6thrust23THRUST_200600_302600_NS6detail15normal_iteratorINS9_10device_ptrIjEEEENS9_16discard_iteratorINS9_11use_defaultEEEjNS9_4plusIvEEjEEDaPvRmT3_T4_T5_mT6_P12ihipStream_tbENKUlT_T0_E_clISt17integral_constantIbLb1EESW_IbLb0EEEEDaSS_ST_EUlSS_E_NS1_11comp_targetILNS1_3genE8ELNS1_11target_archE1030ELNS1_3gpuE2ELNS1_3repE0EEENS1_30default_config_static_selectorELNS0_4arch9wavefront6targetE1EEEvT1_.kd
    .uniform_work_group_size: 1
    .uses_dynamic_stack: false
    .vgpr_count:     0
    .vgpr_spill_count: 0
    .wavefront_size: 64
  - .agpr_count:     0
    .args:
      - .offset:         0
        .size:           40
        .value_kind:     by_value
    .group_segment_fixed_size: 0
    .kernarg_segment_align: 8
    .kernarg_segment_size: 40
    .language:       OpenCL C
    .language_version:
      - 2
      - 0
    .max_flat_workgroup_size: 256
    .name:           _ZN7rocprim17ROCPRIM_400000_NS6detail17trampoline_kernelINS0_14default_configENS1_20scan_config_selectorIjEEZZNS1_9scan_implILNS1_25lookback_scan_determinismE0ELb0ELb0ES3_N6thrust23THRUST_200600_302600_NS6detail15normal_iteratorINS9_10device_ptrIjEEEENS9_16discard_iteratorINS9_11use_defaultEEEjNS9_4plusIvEEjEEDaPvRmT3_T4_T5_mT6_P12ihipStream_tbENKUlT_T0_E_clISt17integral_constantIbLb1EESW_IbLb0EEEEDaSS_ST_EUlSS_E0_NS1_11comp_targetILNS1_3genE0ELNS1_11target_archE4294967295ELNS1_3gpuE0ELNS1_3repE0EEENS1_30default_config_static_selectorELNS0_4arch9wavefront6targetE1EEEvT1_
    .private_segment_fixed_size: 0
    .sgpr_count:     4
    .sgpr_spill_count: 0
    .symbol:         _ZN7rocprim17ROCPRIM_400000_NS6detail17trampoline_kernelINS0_14default_configENS1_20scan_config_selectorIjEEZZNS1_9scan_implILNS1_25lookback_scan_determinismE0ELb0ELb0ES3_N6thrust23THRUST_200600_302600_NS6detail15normal_iteratorINS9_10device_ptrIjEEEENS9_16discard_iteratorINS9_11use_defaultEEEjNS9_4plusIvEEjEEDaPvRmT3_T4_T5_mT6_P12ihipStream_tbENKUlT_T0_E_clISt17integral_constantIbLb1EESW_IbLb0EEEEDaSS_ST_EUlSS_E0_NS1_11comp_targetILNS1_3genE0ELNS1_11target_archE4294967295ELNS1_3gpuE0ELNS1_3repE0EEENS1_30default_config_static_selectorELNS0_4arch9wavefront6targetE1EEEvT1_.kd
    .uniform_work_group_size: 1
    .uses_dynamic_stack: false
    .vgpr_count:     0
    .vgpr_spill_count: 0
    .wavefront_size: 64
  - .agpr_count:     0
    .args:
      - .offset:         0
        .size:           40
        .value_kind:     by_value
    .group_segment_fixed_size: 0
    .kernarg_segment_align: 8
    .kernarg_segment_size: 40
    .language:       OpenCL C
    .language_version:
      - 2
      - 0
    .max_flat_workgroup_size: 256
    .name:           _ZN7rocprim17ROCPRIM_400000_NS6detail17trampoline_kernelINS0_14default_configENS1_20scan_config_selectorIjEEZZNS1_9scan_implILNS1_25lookback_scan_determinismE0ELb0ELb0ES3_N6thrust23THRUST_200600_302600_NS6detail15normal_iteratorINS9_10device_ptrIjEEEENS9_16discard_iteratorINS9_11use_defaultEEEjNS9_4plusIvEEjEEDaPvRmT3_T4_T5_mT6_P12ihipStream_tbENKUlT_T0_E_clISt17integral_constantIbLb1EESW_IbLb0EEEEDaSS_ST_EUlSS_E0_NS1_11comp_targetILNS1_3genE5ELNS1_11target_archE942ELNS1_3gpuE9ELNS1_3repE0EEENS1_30default_config_static_selectorELNS0_4arch9wavefront6targetE1EEEvT1_
    .private_segment_fixed_size: 0
    .sgpr_count:     4
    .sgpr_spill_count: 0
    .symbol:         _ZN7rocprim17ROCPRIM_400000_NS6detail17trampoline_kernelINS0_14default_configENS1_20scan_config_selectorIjEEZZNS1_9scan_implILNS1_25lookback_scan_determinismE0ELb0ELb0ES3_N6thrust23THRUST_200600_302600_NS6detail15normal_iteratorINS9_10device_ptrIjEEEENS9_16discard_iteratorINS9_11use_defaultEEEjNS9_4plusIvEEjEEDaPvRmT3_T4_T5_mT6_P12ihipStream_tbENKUlT_T0_E_clISt17integral_constantIbLb1EESW_IbLb0EEEEDaSS_ST_EUlSS_E0_NS1_11comp_targetILNS1_3genE5ELNS1_11target_archE942ELNS1_3gpuE9ELNS1_3repE0EEENS1_30default_config_static_selectorELNS0_4arch9wavefront6targetE1EEEvT1_.kd
    .uniform_work_group_size: 1
    .uses_dynamic_stack: false
    .vgpr_count:     0
    .vgpr_spill_count: 0
    .wavefront_size: 64
  - .agpr_count:     0
    .args:
      - .offset:         0
        .size:           40
        .value_kind:     by_value
    .group_segment_fixed_size: 5120
    .kernarg_segment_align: 8
    .kernarg_segment_size: 40
    .language:       OpenCL C
    .language_version:
      - 2
      - 0
    .max_flat_workgroup_size: 128
    .name:           _ZN7rocprim17ROCPRIM_400000_NS6detail17trampoline_kernelINS0_14default_configENS1_20scan_config_selectorIjEEZZNS1_9scan_implILNS1_25lookback_scan_determinismE0ELb0ELb0ES3_N6thrust23THRUST_200600_302600_NS6detail15normal_iteratorINS9_10device_ptrIjEEEENS9_16discard_iteratorINS9_11use_defaultEEEjNS9_4plusIvEEjEEDaPvRmT3_T4_T5_mT6_P12ihipStream_tbENKUlT_T0_E_clISt17integral_constantIbLb1EESW_IbLb0EEEEDaSS_ST_EUlSS_E0_NS1_11comp_targetILNS1_3genE4ELNS1_11target_archE910ELNS1_3gpuE8ELNS1_3repE0EEENS1_30default_config_static_selectorELNS0_4arch9wavefront6targetE1EEEvT1_
    .private_segment_fixed_size: 0
    .sgpr_count:     10
    .sgpr_spill_count: 0
    .symbol:         _ZN7rocprim17ROCPRIM_400000_NS6detail17trampoline_kernelINS0_14default_configENS1_20scan_config_selectorIjEEZZNS1_9scan_implILNS1_25lookback_scan_determinismE0ELb0ELb0ES3_N6thrust23THRUST_200600_302600_NS6detail15normal_iteratorINS9_10device_ptrIjEEEENS9_16discard_iteratorINS9_11use_defaultEEEjNS9_4plusIvEEjEEDaPvRmT3_T4_T5_mT6_P12ihipStream_tbENKUlT_T0_E_clISt17integral_constantIbLb1EESW_IbLb0EEEEDaSS_ST_EUlSS_E0_NS1_11comp_targetILNS1_3genE4ELNS1_11target_archE910ELNS1_3gpuE8ELNS1_3repE0EEENS1_30default_config_static_selectorELNS0_4arch9wavefront6targetE1EEEvT1_.kd
    .uniform_work_group_size: 1
    .uses_dynamic_stack: false
    .vgpr_count:     27
    .vgpr_spill_count: 0
    .wavefront_size: 64
  - .agpr_count:     0
    .args:
      - .offset:         0
        .size:           40
        .value_kind:     by_value
    .group_segment_fixed_size: 0
    .kernarg_segment_align: 8
    .kernarg_segment_size: 40
    .language:       OpenCL C
    .language_version:
      - 2
      - 0
    .max_flat_workgroup_size: 256
    .name:           _ZN7rocprim17ROCPRIM_400000_NS6detail17trampoline_kernelINS0_14default_configENS1_20scan_config_selectorIjEEZZNS1_9scan_implILNS1_25lookback_scan_determinismE0ELb0ELb0ES3_N6thrust23THRUST_200600_302600_NS6detail15normal_iteratorINS9_10device_ptrIjEEEENS9_16discard_iteratorINS9_11use_defaultEEEjNS9_4plusIvEEjEEDaPvRmT3_T4_T5_mT6_P12ihipStream_tbENKUlT_T0_E_clISt17integral_constantIbLb1EESW_IbLb0EEEEDaSS_ST_EUlSS_E0_NS1_11comp_targetILNS1_3genE3ELNS1_11target_archE908ELNS1_3gpuE7ELNS1_3repE0EEENS1_30default_config_static_selectorELNS0_4arch9wavefront6targetE1EEEvT1_
    .private_segment_fixed_size: 0
    .sgpr_count:     4
    .sgpr_spill_count: 0
    .symbol:         _ZN7rocprim17ROCPRIM_400000_NS6detail17trampoline_kernelINS0_14default_configENS1_20scan_config_selectorIjEEZZNS1_9scan_implILNS1_25lookback_scan_determinismE0ELb0ELb0ES3_N6thrust23THRUST_200600_302600_NS6detail15normal_iteratorINS9_10device_ptrIjEEEENS9_16discard_iteratorINS9_11use_defaultEEEjNS9_4plusIvEEjEEDaPvRmT3_T4_T5_mT6_P12ihipStream_tbENKUlT_T0_E_clISt17integral_constantIbLb1EESW_IbLb0EEEEDaSS_ST_EUlSS_E0_NS1_11comp_targetILNS1_3genE3ELNS1_11target_archE908ELNS1_3gpuE7ELNS1_3repE0EEENS1_30default_config_static_selectorELNS0_4arch9wavefront6targetE1EEEvT1_.kd
    .uniform_work_group_size: 1
    .uses_dynamic_stack: false
    .vgpr_count:     0
    .vgpr_spill_count: 0
    .wavefront_size: 64
  - .agpr_count:     0
    .args:
      - .offset:         0
        .size:           40
        .value_kind:     by_value
    .group_segment_fixed_size: 0
    .kernarg_segment_align: 8
    .kernarg_segment_size: 40
    .language:       OpenCL C
    .language_version:
      - 2
      - 0
    .max_flat_workgroup_size: 256
    .name:           _ZN7rocprim17ROCPRIM_400000_NS6detail17trampoline_kernelINS0_14default_configENS1_20scan_config_selectorIjEEZZNS1_9scan_implILNS1_25lookback_scan_determinismE0ELb0ELb0ES3_N6thrust23THRUST_200600_302600_NS6detail15normal_iteratorINS9_10device_ptrIjEEEENS9_16discard_iteratorINS9_11use_defaultEEEjNS9_4plusIvEEjEEDaPvRmT3_T4_T5_mT6_P12ihipStream_tbENKUlT_T0_E_clISt17integral_constantIbLb1EESW_IbLb0EEEEDaSS_ST_EUlSS_E0_NS1_11comp_targetILNS1_3genE2ELNS1_11target_archE906ELNS1_3gpuE6ELNS1_3repE0EEENS1_30default_config_static_selectorELNS0_4arch9wavefront6targetE1EEEvT1_
    .private_segment_fixed_size: 0
    .sgpr_count:     4
    .sgpr_spill_count: 0
    .symbol:         _ZN7rocprim17ROCPRIM_400000_NS6detail17trampoline_kernelINS0_14default_configENS1_20scan_config_selectorIjEEZZNS1_9scan_implILNS1_25lookback_scan_determinismE0ELb0ELb0ES3_N6thrust23THRUST_200600_302600_NS6detail15normal_iteratorINS9_10device_ptrIjEEEENS9_16discard_iteratorINS9_11use_defaultEEEjNS9_4plusIvEEjEEDaPvRmT3_T4_T5_mT6_P12ihipStream_tbENKUlT_T0_E_clISt17integral_constantIbLb1EESW_IbLb0EEEEDaSS_ST_EUlSS_E0_NS1_11comp_targetILNS1_3genE2ELNS1_11target_archE906ELNS1_3gpuE6ELNS1_3repE0EEENS1_30default_config_static_selectorELNS0_4arch9wavefront6targetE1EEEvT1_.kd
    .uniform_work_group_size: 1
    .uses_dynamic_stack: false
    .vgpr_count:     0
    .vgpr_spill_count: 0
    .wavefront_size: 64
  - .agpr_count:     0
    .args:
      - .offset:         0
        .size:           40
        .value_kind:     by_value
    .group_segment_fixed_size: 0
    .kernarg_segment_align: 8
    .kernarg_segment_size: 40
    .language:       OpenCL C
    .language_version:
      - 2
      - 0
    .max_flat_workgroup_size: 256
    .name:           _ZN7rocprim17ROCPRIM_400000_NS6detail17trampoline_kernelINS0_14default_configENS1_20scan_config_selectorIjEEZZNS1_9scan_implILNS1_25lookback_scan_determinismE0ELb0ELb0ES3_N6thrust23THRUST_200600_302600_NS6detail15normal_iteratorINS9_10device_ptrIjEEEENS9_16discard_iteratorINS9_11use_defaultEEEjNS9_4plusIvEEjEEDaPvRmT3_T4_T5_mT6_P12ihipStream_tbENKUlT_T0_E_clISt17integral_constantIbLb1EESW_IbLb0EEEEDaSS_ST_EUlSS_E0_NS1_11comp_targetILNS1_3genE10ELNS1_11target_archE1201ELNS1_3gpuE5ELNS1_3repE0EEENS1_30default_config_static_selectorELNS0_4arch9wavefront6targetE1EEEvT1_
    .private_segment_fixed_size: 0
    .sgpr_count:     4
    .sgpr_spill_count: 0
    .symbol:         _ZN7rocprim17ROCPRIM_400000_NS6detail17trampoline_kernelINS0_14default_configENS1_20scan_config_selectorIjEEZZNS1_9scan_implILNS1_25lookback_scan_determinismE0ELb0ELb0ES3_N6thrust23THRUST_200600_302600_NS6detail15normal_iteratorINS9_10device_ptrIjEEEENS9_16discard_iteratorINS9_11use_defaultEEEjNS9_4plusIvEEjEEDaPvRmT3_T4_T5_mT6_P12ihipStream_tbENKUlT_T0_E_clISt17integral_constantIbLb1EESW_IbLb0EEEEDaSS_ST_EUlSS_E0_NS1_11comp_targetILNS1_3genE10ELNS1_11target_archE1201ELNS1_3gpuE5ELNS1_3repE0EEENS1_30default_config_static_selectorELNS0_4arch9wavefront6targetE1EEEvT1_.kd
    .uniform_work_group_size: 1
    .uses_dynamic_stack: false
    .vgpr_count:     0
    .vgpr_spill_count: 0
    .wavefront_size: 64
  - .agpr_count:     0
    .args:
      - .offset:         0
        .size:           40
        .value_kind:     by_value
    .group_segment_fixed_size: 0
    .kernarg_segment_align: 8
    .kernarg_segment_size: 40
    .language:       OpenCL C
    .language_version:
      - 2
      - 0
    .max_flat_workgroup_size: 256
    .name:           _ZN7rocprim17ROCPRIM_400000_NS6detail17trampoline_kernelINS0_14default_configENS1_20scan_config_selectorIjEEZZNS1_9scan_implILNS1_25lookback_scan_determinismE0ELb0ELb0ES3_N6thrust23THRUST_200600_302600_NS6detail15normal_iteratorINS9_10device_ptrIjEEEENS9_16discard_iteratorINS9_11use_defaultEEEjNS9_4plusIvEEjEEDaPvRmT3_T4_T5_mT6_P12ihipStream_tbENKUlT_T0_E_clISt17integral_constantIbLb1EESW_IbLb0EEEEDaSS_ST_EUlSS_E0_NS1_11comp_targetILNS1_3genE10ELNS1_11target_archE1200ELNS1_3gpuE4ELNS1_3repE0EEENS1_30default_config_static_selectorELNS0_4arch9wavefront6targetE1EEEvT1_
    .private_segment_fixed_size: 0
    .sgpr_count:     4
    .sgpr_spill_count: 0
    .symbol:         _ZN7rocprim17ROCPRIM_400000_NS6detail17trampoline_kernelINS0_14default_configENS1_20scan_config_selectorIjEEZZNS1_9scan_implILNS1_25lookback_scan_determinismE0ELb0ELb0ES3_N6thrust23THRUST_200600_302600_NS6detail15normal_iteratorINS9_10device_ptrIjEEEENS9_16discard_iteratorINS9_11use_defaultEEEjNS9_4plusIvEEjEEDaPvRmT3_T4_T5_mT6_P12ihipStream_tbENKUlT_T0_E_clISt17integral_constantIbLb1EESW_IbLb0EEEEDaSS_ST_EUlSS_E0_NS1_11comp_targetILNS1_3genE10ELNS1_11target_archE1200ELNS1_3gpuE4ELNS1_3repE0EEENS1_30default_config_static_selectorELNS0_4arch9wavefront6targetE1EEEvT1_.kd
    .uniform_work_group_size: 1
    .uses_dynamic_stack: false
    .vgpr_count:     0
    .vgpr_spill_count: 0
    .wavefront_size: 64
  - .agpr_count:     0
    .args:
      - .offset:         0
        .size:           40
        .value_kind:     by_value
    .group_segment_fixed_size: 0
    .kernarg_segment_align: 8
    .kernarg_segment_size: 40
    .language:       OpenCL C
    .language_version:
      - 2
      - 0
    .max_flat_workgroup_size: 256
    .name:           _ZN7rocprim17ROCPRIM_400000_NS6detail17trampoline_kernelINS0_14default_configENS1_20scan_config_selectorIjEEZZNS1_9scan_implILNS1_25lookback_scan_determinismE0ELb0ELb0ES3_N6thrust23THRUST_200600_302600_NS6detail15normal_iteratorINS9_10device_ptrIjEEEENS9_16discard_iteratorINS9_11use_defaultEEEjNS9_4plusIvEEjEEDaPvRmT3_T4_T5_mT6_P12ihipStream_tbENKUlT_T0_E_clISt17integral_constantIbLb1EESW_IbLb0EEEEDaSS_ST_EUlSS_E0_NS1_11comp_targetILNS1_3genE9ELNS1_11target_archE1100ELNS1_3gpuE3ELNS1_3repE0EEENS1_30default_config_static_selectorELNS0_4arch9wavefront6targetE1EEEvT1_
    .private_segment_fixed_size: 0
    .sgpr_count:     4
    .sgpr_spill_count: 0
    .symbol:         _ZN7rocprim17ROCPRIM_400000_NS6detail17trampoline_kernelINS0_14default_configENS1_20scan_config_selectorIjEEZZNS1_9scan_implILNS1_25lookback_scan_determinismE0ELb0ELb0ES3_N6thrust23THRUST_200600_302600_NS6detail15normal_iteratorINS9_10device_ptrIjEEEENS9_16discard_iteratorINS9_11use_defaultEEEjNS9_4plusIvEEjEEDaPvRmT3_T4_T5_mT6_P12ihipStream_tbENKUlT_T0_E_clISt17integral_constantIbLb1EESW_IbLb0EEEEDaSS_ST_EUlSS_E0_NS1_11comp_targetILNS1_3genE9ELNS1_11target_archE1100ELNS1_3gpuE3ELNS1_3repE0EEENS1_30default_config_static_selectorELNS0_4arch9wavefront6targetE1EEEvT1_.kd
    .uniform_work_group_size: 1
    .uses_dynamic_stack: false
    .vgpr_count:     0
    .vgpr_spill_count: 0
    .wavefront_size: 64
  - .agpr_count:     0
    .args:
      - .offset:         0
        .size:           40
        .value_kind:     by_value
    .group_segment_fixed_size: 0
    .kernarg_segment_align: 8
    .kernarg_segment_size: 40
    .language:       OpenCL C
    .language_version:
      - 2
      - 0
    .max_flat_workgroup_size: 64
    .name:           _ZN7rocprim17ROCPRIM_400000_NS6detail17trampoline_kernelINS0_14default_configENS1_20scan_config_selectorIjEEZZNS1_9scan_implILNS1_25lookback_scan_determinismE0ELb0ELb0ES3_N6thrust23THRUST_200600_302600_NS6detail15normal_iteratorINS9_10device_ptrIjEEEENS9_16discard_iteratorINS9_11use_defaultEEEjNS9_4plusIvEEjEEDaPvRmT3_T4_T5_mT6_P12ihipStream_tbENKUlT_T0_E_clISt17integral_constantIbLb1EESW_IbLb0EEEEDaSS_ST_EUlSS_E0_NS1_11comp_targetILNS1_3genE8ELNS1_11target_archE1030ELNS1_3gpuE2ELNS1_3repE0EEENS1_30default_config_static_selectorELNS0_4arch9wavefront6targetE1EEEvT1_
    .private_segment_fixed_size: 0
    .sgpr_count:     4
    .sgpr_spill_count: 0
    .symbol:         _ZN7rocprim17ROCPRIM_400000_NS6detail17trampoline_kernelINS0_14default_configENS1_20scan_config_selectorIjEEZZNS1_9scan_implILNS1_25lookback_scan_determinismE0ELb0ELb0ES3_N6thrust23THRUST_200600_302600_NS6detail15normal_iteratorINS9_10device_ptrIjEEEENS9_16discard_iteratorINS9_11use_defaultEEEjNS9_4plusIvEEjEEDaPvRmT3_T4_T5_mT6_P12ihipStream_tbENKUlT_T0_E_clISt17integral_constantIbLb1EESW_IbLb0EEEEDaSS_ST_EUlSS_E0_NS1_11comp_targetILNS1_3genE8ELNS1_11target_archE1030ELNS1_3gpuE2ELNS1_3repE0EEENS1_30default_config_static_selectorELNS0_4arch9wavefront6targetE1EEEvT1_.kd
    .uniform_work_group_size: 1
    .uses_dynamic_stack: false
    .vgpr_count:     0
    .vgpr_spill_count: 0
    .wavefront_size: 64
  - .agpr_count:     0
    .args:
      - .offset:         0
        .size:           104
        .value_kind:     by_value
    .group_segment_fixed_size: 0
    .kernarg_segment_align: 8
    .kernarg_segment_size: 104
    .language:       OpenCL C
    .language_version:
      - 2
      - 0
    .max_flat_workgroup_size: 256
    .name:           _ZN7rocprim17ROCPRIM_400000_NS6detail17trampoline_kernelINS0_14default_configENS1_20scan_config_selectorIjEEZZNS1_9scan_implILNS1_25lookback_scan_determinismE0ELb0ELb0ES3_N6thrust23THRUST_200600_302600_NS6detail15normal_iteratorINS9_10device_ptrIjEEEENS9_16discard_iteratorINS9_11use_defaultEEEjNS9_4plusIvEEjEEDaPvRmT3_T4_T5_mT6_P12ihipStream_tbENKUlT_T0_E_clISt17integral_constantIbLb0EESW_IbLb1EEEEDaSS_ST_EUlSS_E_NS1_11comp_targetILNS1_3genE0ELNS1_11target_archE4294967295ELNS1_3gpuE0ELNS1_3repE0EEENS1_30default_config_static_selectorELNS0_4arch9wavefront6targetE1EEEvT1_
    .private_segment_fixed_size: 0
    .sgpr_count:     4
    .sgpr_spill_count: 0
    .symbol:         _ZN7rocprim17ROCPRIM_400000_NS6detail17trampoline_kernelINS0_14default_configENS1_20scan_config_selectorIjEEZZNS1_9scan_implILNS1_25lookback_scan_determinismE0ELb0ELb0ES3_N6thrust23THRUST_200600_302600_NS6detail15normal_iteratorINS9_10device_ptrIjEEEENS9_16discard_iteratorINS9_11use_defaultEEEjNS9_4plusIvEEjEEDaPvRmT3_T4_T5_mT6_P12ihipStream_tbENKUlT_T0_E_clISt17integral_constantIbLb0EESW_IbLb1EEEEDaSS_ST_EUlSS_E_NS1_11comp_targetILNS1_3genE0ELNS1_11target_archE4294967295ELNS1_3gpuE0ELNS1_3repE0EEENS1_30default_config_static_selectorELNS0_4arch9wavefront6targetE1EEEvT1_.kd
    .uniform_work_group_size: 1
    .uses_dynamic_stack: false
    .vgpr_count:     0
    .vgpr_spill_count: 0
    .wavefront_size: 64
  - .agpr_count:     0
    .args:
      - .offset:         0
        .size:           104
        .value_kind:     by_value
    .group_segment_fixed_size: 0
    .kernarg_segment_align: 8
    .kernarg_segment_size: 104
    .language:       OpenCL C
    .language_version:
      - 2
      - 0
    .max_flat_workgroup_size: 256
    .name:           _ZN7rocprim17ROCPRIM_400000_NS6detail17trampoline_kernelINS0_14default_configENS1_20scan_config_selectorIjEEZZNS1_9scan_implILNS1_25lookback_scan_determinismE0ELb0ELb0ES3_N6thrust23THRUST_200600_302600_NS6detail15normal_iteratorINS9_10device_ptrIjEEEENS9_16discard_iteratorINS9_11use_defaultEEEjNS9_4plusIvEEjEEDaPvRmT3_T4_T5_mT6_P12ihipStream_tbENKUlT_T0_E_clISt17integral_constantIbLb0EESW_IbLb1EEEEDaSS_ST_EUlSS_E_NS1_11comp_targetILNS1_3genE5ELNS1_11target_archE942ELNS1_3gpuE9ELNS1_3repE0EEENS1_30default_config_static_selectorELNS0_4arch9wavefront6targetE1EEEvT1_
    .private_segment_fixed_size: 0
    .sgpr_count:     4
    .sgpr_spill_count: 0
    .symbol:         _ZN7rocprim17ROCPRIM_400000_NS6detail17trampoline_kernelINS0_14default_configENS1_20scan_config_selectorIjEEZZNS1_9scan_implILNS1_25lookback_scan_determinismE0ELb0ELb0ES3_N6thrust23THRUST_200600_302600_NS6detail15normal_iteratorINS9_10device_ptrIjEEEENS9_16discard_iteratorINS9_11use_defaultEEEjNS9_4plusIvEEjEEDaPvRmT3_T4_T5_mT6_P12ihipStream_tbENKUlT_T0_E_clISt17integral_constantIbLb0EESW_IbLb1EEEEDaSS_ST_EUlSS_E_NS1_11comp_targetILNS1_3genE5ELNS1_11target_archE942ELNS1_3gpuE9ELNS1_3repE0EEENS1_30default_config_static_selectorELNS0_4arch9wavefront6targetE1EEEvT1_.kd
    .uniform_work_group_size: 1
    .uses_dynamic_stack: false
    .vgpr_count:     0
    .vgpr_spill_count: 0
    .wavefront_size: 64
  - .agpr_count:     0
    .args:
      - .offset:         0
        .size:           104
        .value_kind:     by_value
    .group_segment_fixed_size: 5120
    .kernarg_segment_align: 8
    .kernarg_segment_size: 104
    .language:       OpenCL C
    .language_version:
      - 2
      - 0
    .max_flat_workgroup_size: 128
    .name:           _ZN7rocprim17ROCPRIM_400000_NS6detail17trampoline_kernelINS0_14default_configENS1_20scan_config_selectorIjEEZZNS1_9scan_implILNS1_25lookback_scan_determinismE0ELb0ELb0ES3_N6thrust23THRUST_200600_302600_NS6detail15normal_iteratorINS9_10device_ptrIjEEEENS9_16discard_iteratorINS9_11use_defaultEEEjNS9_4plusIvEEjEEDaPvRmT3_T4_T5_mT6_P12ihipStream_tbENKUlT_T0_E_clISt17integral_constantIbLb0EESW_IbLb1EEEEDaSS_ST_EUlSS_E_NS1_11comp_targetILNS1_3genE4ELNS1_11target_archE910ELNS1_3gpuE8ELNS1_3repE0EEENS1_30default_config_static_selectorELNS0_4arch9wavefront6targetE1EEEvT1_
    .private_segment_fixed_size: 0
    .sgpr_count:     34
    .sgpr_spill_count: 0
    .symbol:         _ZN7rocprim17ROCPRIM_400000_NS6detail17trampoline_kernelINS0_14default_configENS1_20scan_config_selectorIjEEZZNS1_9scan_implILNS1_25lookback_scan_determinismE0ELb0ELb0ES3_N6thrust23THRUST_200600_302600_NS6detail15normal_iteratorINS9_10device_ptrIjEEEENS9_16discard_iteratorINS9_11use_defaultEEEjNS9_4plusIvEEjEEDaPvRmT3_T4_T5_mT6_P12ihipStream_tbENKUlT_T0_E_clISt17integral_constantIbLb0EESW_IbLb1EEEEDaSS_ST_EUlSS_E_NS1_11comp_targetILNS1_3genE4ELNS1_11target_archE910ELNS1_3gpuE8ELNS1_3repE0EEENS1_30default_config_static_selectorELNS0_4arch9wavefront6targetE1EEEvT1_.kd
    .uniform_work_group_size: 1
    .uses_dynamic_stack: false
    .vgpr_count:     39
    .vgpr_spill_count: 0
    .wavefront_size: 64
  - .agpr_count:     0
    .args:
      - .offset:         0
        .size:           104
        .value_kind:     by_value
    .group_segment_fixed_size: 0
    .kernarg_segment_align: 8
    .kernarg_segment_size: 104
    .language:       OpenCL C
    .language_version:
      - 2
      - 0
    .max_flat_workgroup_size: 256
    .name:           _ZN7rocprim17ROCPRIM_400000_NS6detail17trampoline_kernelINS0_14default_configENS1_20scan_config_selectorIjEEZZNS1_9scan_implILNS1_25lookback_scan_determinismE0ELb0ELb0ES3_N6thrust23THRUST_200600_302600_NS6detail15normal_iteratorINS9_10device_ptrIjEEEENS9_16discard_iteratorINS9_11use_defaultEEEjNS9_4plusIvEEjEEDaPvRmT3_T4_T5_mT6_P12ihipStream_tbENKUlT_T0_E_clISt17integral_constantIbLb0EESW_IbLb1EEEEDaSS_ST_EUlSS_E_NS1_11comp_targetILNS1_3genE3ELNS1_11target_archE908ELNS1_3gpuE7ELNS1_3repE0EEENS1_30default_config_static_selectorELNS0_4arch9wavefront6targetE1EEEvT1_
    .private_segment_fixed_size: 0
    .sgpr_count:     4
    .sgpr_spill_count: 0
    .symbol:         _ZN7rocprim17ROCPRIM_400000_NS6detail17trampoline_kernelINS0_14default_configENS1_20scan_config_selectorIjEEZZNS1_9scan_implILNS1_25lookback_scan_determinismE0ELb0ELb0ES3_N6thrust23THRUST_200600_302600_NS6detail15normal_iteratorINS9_10device_ptrIjEEEENS9_16discard_iteratorINS9_11use_defaultEEEjNS9_4plusIvEEjEEDaPvRmT3_T4_T5_mT6_P12ihipStream_tbENKUlT_T0_E_clISt17integral_constantIbLb0EESW_IbLb1EEEEDaSS_ST_EUlSS_E_NS1_11comp_targetILNS1_3genE3ELNS1_11target_archE908ELNS1_3gpuE7ELNS1_3repE0EEENS1_30default_config_static_selectorELNS0_4arch9wavefront6targetE1EEEvT1_.kd
    .uniform_work_group_size: 1
    .uses_dynamic_stack: false
    .vgpr_count:     0
    .vgpr_spill_count: 0
    .wavefront_size: 64
  - .agpr_count:     0
    .args:
      - .offset:         0
        .size:           104
        .value_kind:     by_value
    .group_segment_fixed_size: 0
    .kernarg_segment_align: 8
    .kernarg_segment_size: 104
    .language:       OpenCL C
    .language_version:
      - 2
      - 0
    .max_flat_workgroup_size: 256
    .name:           _ZN7rocprim17ROCPRIM_400000_NS6detail17trampoline_kernelINS0_14default_configENS1_20scan_config_selectorIjEEZZNS1_9scan_implILNS1_25lookback_scan_determinismE0ELb0ELb0ES3_N6thrust23THRUST_200600_302600_NS6detail15normal_iteratorINS9_10device_ptrIjEEEENS9_16discard_iteratorINS9_11use_defaultEEEjNS9_4plusIvEEjEEDaPvRmT3_T4_T5_mT6_P12ihipStream_tbENKUlT_T0_E_clISt17integral_constantIbLb0EESW_IbLb1EEEEDaSS_ST_EUlSS_E_NS1_11comp_targetILNS1_3genE2ELNS1_11target_archE906ELNS1_3gpuE6ELNS1_3repE0EEENS1_30default_config_static_selectorELNS0_4arch9wavefront6targetE1EEEvT1_
    .private_segment_fixed_size: 0
    .sgpr_count:     4
    .sgpr_spill_count: 0
    .symbol:         _ZN7rocprim17ROCPRIM_400000_NS6detail17trampoline_kernelINS0_14default_configENS1_20scan_config_selectorIjEEZZNS1_9scan_implILNS1_25lookback_scan_determinismE0ELb0ELb0ES3_N6thrust23THRUST_200600_302600_NS6detail15normal_iteratorINS9_10device_ptrIjEEEENS9_16discard_iteratorINS9_11use_defaultEEEjNS9_4plusIvEEjEEDaPvRmT3_T4_T5_mT6_P12ihipStream_tbENKUlT_T0_E_clISt17integral_constantIbLb0EESW_IbLb1EEEEDaSS_ST_EUlSS_E_NS1_11comp_targetILNS1_3genE2ELNS1_11target_archE906ELNS1_3gpuE6ELNS1_3repE0EEENS1_30default_config_static_selectorELNS0_4arch9wavefront6targetE1EEEvT1_.kd
    .uniform_work_group_size: 1
    .uses_dynamic_stack: false
    .vgpr_count:     0
    .vgpr_spill_count: 0
    .wavefront_size: 64
  - .agpr_count:     0
    .args:
      - .offset:         0
        .size:           104
        .value_kind:     by_value
    .group_segment_fixed_size: 0
    .kernarg_segment_align: 8
    .kernarg_segment_size: 104
    .language:       OpenCL C
    .language_version:
      - 2
      - 0
    .max_flat_workgroup_size: 256
    .name:           _ZN7rocprim17ROCPRIM_400000_NS6detail17trampoline_kernelINS0_14default_configENS1_20scan_config_selectorIjEEZZNS1_9scan_implILNS1_25lookback_scan_determinismE0ELb0ELb0ES3_N6thrust23THRUST_200600_302600_NS6detail15normal_iteratorINS9_10device_ptrIjEEEENS9_16discard_iteratorINS9_11use_defaultEEEjNS9_4plusIvEEjEEDaPvRmT3_T4_T5_mT6_P12ihipStream_tbENKUlT_T0_E_clISt17integral_constantIbLb0EESW_IbLb1EEEEDaSS_ST_EUlSS_E_NS1_11comp_targetILNS1_3genE10ELNS1_11target_archE1201ELNS1_3gpuE5ELNS1_3repE0EEENS1_30default_config_static_selectorELNS0_4arch9wavefront6targetE1EEEvT1_
    .private_segment_fixed_size: 0
    .sgpr_count:     4
    .sgpr_spill_count: 0
    .symbol:         _ZN7rocprim17ROCPRIM_400000_NS6detail17trampoline_kernelINS0_14default_configENS1_20scan_config_selectorIjEEZZNS1_9scan_implILNS1_25lookback_scan_determinismE0ELb0ELb0ES3_N6thrust23THRUST_200600_302600_NS6detail15normal_iteratorINS9_10device_ptrIjEEEENS9_16discard_iteratorINS9_11use_defaultEEEjNS9_4plusIvEEjEEDaPvRmT3_T4_T5_mT6_P12ihipStream_tbENKUlT_T0_E_clISt17integral_constantIbLb0EESW_IbLb1EEEEDaSS_ST_EUlSS_E_NS1_11comp_targetILNS1_3genE10ELNS1_11target_archE1201ELNS1_3gpuE5ELNS1_3repE0EEENS1_30default_config_static_selectorELNS0_4arch9wavefront6targetE1EEEvT1_.kd
    .uniform_work_group_size: 1
    .uses_dynamic_stack: false
    .vgpr_count:     0
    .vgpr_spill_count: 0
    .wavefront_size: 64
  - .agpr_count:     0
    .args:
      - .offset:         0
        .size:           104
        .value_kind:     by_value
    .group_segment_fixed_size: 0
    .kernarg_segment_align: 8
    .kernarg_segment_size: 104
    .language:       OpenCL C
    .language_version:
      - 2
      - 0
    .max_flat_workgroup_size: 256
    .name:           _ZN7rocprim17ROCPRIM_400000_NS6detail17trampoline_kernelINS0_14default_configENS1_20scan_config_selectorIjEEZZNS1_9scan_implILNS1_25lookback_scan_determinismE0ELb0ELb0ES3_N6thrust23THRUST_200600_302600_NS6detail15normal_iteratorINS9_10device_ptrIjEEEENS9_16discard_iteratorINS9_11use_defaultEEEjNS9_4plusIvEEjEEDaPvRmT3_T4_T5_mT6_P12ihipStream_tbENKUlT_T0_E_clISt17integral_constantIbLb0EESW_IbLb1EEEEDaSS_ST_EUlSS_E_NS1_11comp_targetILNS1_3genE10ELNS1_11target_archE1200ELNS1_3gpuE4ELNS1_3repE0EEENS1_30default_config_static_selectorELNS0_4arch9wavefront6targetE1EEEvT1_
    .private_segment_fixed_size: 0
    .sgpr_count:     4
    .sgpr_spill_count: 0
    .symbol:         _ZN7rocprim17ROCPRIM_400000_NS6detail17trampoline_kernelINS0_14default_configENS1_20scan_config_selectorIjEEZZNS1_9scan_implILNS1_25lookback_scan_determinismE0ELb0ELb0ES3_N6thrust23THRUST_200600_302600_NS6detail15normal_iteratorINS9_10device_ptrIjEEEENS9_16discard_iteratorINS9_11use_defaultEEEjNS9_4plusIvEEjEEDaPvRmT3_T4_T5_mT6_P12ihipStream_tbENKUlT_T0_E_clISt17integral_constantIbLb0EESW_IbLb1EEEEDaSS_ST_EUlSS_E_NS1_11comp_targetILNS1_3genE10ELNS1_11target_archE1200ELNS1_3gpuE4ELNS1_3repE0EEENS1_30default_config_static_selectorELNS0_4arch9wavefront6targetE1EEEvT1_.kd
    .uniform_work_group_size: 1
    .uses_dynamic_stack: false
    .vgpr_count:     0
    .vgpr_spill_count: 0
    .wavefront_size: 64
  - .agpr_count:     0
    .args:
      - .offset:         0
        .size:           104
        .value_kind:     by_value
    .group_segment_fixed_size: 0
    .kernarg_segment_align: 8
    .kernarg_segment_size: 104
    .language:       OpenCL C
    .language_version:
      - 2
      - 0
    .max_flat_workgroup_size: 256
    .name:           _ZN7rocprim17ROCPRIM_400000_NS6detail17trampoline_kernelINS0_14default_configENS1_20scan_config_selectorIjEEZZNS1_9scan_implILNS1_25lookback_scan_determinismE0ELb0ELb0ES3_N6thrust23THRUST_200600_302600_NS6detail15normal_iteratorINS9_10device_ptrIjEEEENS9_16discard_iteratorINS9_11use_defaultEEEjNS9_4plusIvEEjEEDaPvRmT3_T4_T5_mT6_P12ihipStream_tbENKUlT_T0_E_clISt17integral_constantIbLb0EESW_IbLb1EEEEDaSS_ST_EUlSS_E_NS1_11comp_targetILNS1_3genE9ELNS1_11target_archE1100ELNS1_3gpuE3ELNS1_3repE0EEENS1_30default_config_static_selectorELNS0_4arch9wavefront6targetE1EEEvT1_
    .private_segment_fixed_size: 0
    .sgpr_count:     4
    .sgpr_spill_count: 0
    .symbol:         _ZN7rocprim17ROCPRIM_400000_NS6detail17trampoline_kernelINS0_14default_configENS1_20scan_config_selectorIjEEZZNS1_9scan_implILNS1_25lookback_scan_determinismE0ELb0ELb0ES3_N6thrust23THRUST_200600_302600_NS6detail15normal_iteratorINS9_10device_ptrIjEEEENS9_16discard_iteratorINS9_11use_defaultEEEjNS9_4plusIvEEjEEDaPvRmT3_T4_T5_mT6_P12ihipStream_tbENKUlT_T0_E_clISt17integral_constantIbLb0EESW_IbLb1EEEEDaSS_ST_EUlSS_E_NS1_11comp_targetILNS1_3genE9ELNS1_11target_archE1100ELNS1_3gpuE3ELNS1_3repE0EEENS1_30default_config_static_selectorELNS0_4arch9wavefront6targetE1EEEvT1_.kd
    .uniform_work_group_size: 1
    .uses_dynamic_stack: false
    .vgpr_count:     0
    .vgpr_spill_count: 0
    .wavefront_size: 64
  - .agpr_count:     0
    .args:
      - .offset:         0
        .size:           104
        .value_kind:     by_value
    .group_segment_fixed_size: 0
    .kernarg_segment_align: 8
    .kernarg_segment_size: 104
    .language:       OpenCL C
    .language_version:
      - 2
      - 0
    .max_flat_workgroup_size: 64
    .name:           _ZN7rocprim17ROCPRIM_400000_NS6detail17trampoline_kernelINS0_14default_configENS1_20scan_config_selectorIjEEZZNS1_9scan_implILNS1_25lookback_scan_determinismE0ELb0ELb0ES3_N6thrust23THRUST_200600_302600_NS6detail15normal_iteratorINS9_10device_ptrIjEEEENS9_16discard_iteratorINS9_11use_defaultEEEjNS9_4plusIvEEjEEDaPvRmT3_T4_T5_mT6_P12ihipStream_tbENKUlT_T0_E_clISt17integral_constantIbLb0EESW_IbLb1EEEEDaSS_ST_EUlSS_E_NS1_11comp_targetILNS1_3genE8ELNS1_11target_archE1030ELNS1_3gpuE2ELNS1_3repE0EEENS1_30default_config_static_selectorELNS0_4arch9wavefront6targetE1EEEvT1_
    .private_segment_fixed_size: 0
    .sgpr_count:     4
    .sgpr_spill_count: 0
    .symbol:         _ZN7rocprim17ROCPRIM_400000_NS6detail17trampoline_kernelINS0_14default_configENS1_20scan_config_selectorIjEEZZNS1_9scan_implILNS1_25lookback_scan_determinismE0ELb0ELb0ES3_N6thrust23THRUST_200600_302600_NS6detail15normal_iteratorINS9_10device_ptrIjEEEENS9_16discard_iteratorINS9_11use_defaultEEEjNS9_4plusIvEEjEEDaPvRmT3_T4_T5_mT6_P12ihipStream_tbENKUlT_T0_E_clISt17integral_constantIbLb0EESW_IbLb1EEEEDaSS_ST_EUlSS_E_NS1_11comp_targetILNS1_3genE8ELNS1_11target_archE1030ELNS1_3gpuE2ELNS1_3repE0EEENS1_30default_config_static_selectorELNS0_4arch9wavefront6targetE1EEEvT1_.kd
    .uniform_work_group_size: 1
    .uses_dynamic_stack: false
    .vgpr_count:     0
    .vgpr_spill_count: 0
    .wavefront_size: 64
  - .agpr_count:     0
    .args:
      - .offset:         0
        .size:           40
        .value_kind:     by_value
    .group_segment_fixed_size: 0
    .kernarg_segment_align: 8
    .kernarg_segment_size: 40
    .language:       OpenCL C
    .language_version:
      - 2
      - 0
    .max_flat_workgroup_size: 256
    .name:           _ZN7rocprim17ROCPRIM_400000_NS6detail17trampoline_kernelINS0_14default_configENS1_20scan_config_selectorIjEEZZNS1_9scan_implILNS1_25lookback_scan_determinismE0ELb0ELb0ES3_N6thrust23THRUST_200600_302600_NS6detail15normal_iteratorINS9_10device_ptrIjEEEENS9_16discard_iteratorINS9_11use_defaultEEEjNS9_4plusIvEEjEEDaPvRmT3_T4_T5_mT6_P12ihipStream_tbENKUlT_T0_E_clISt17integral_constantIbLb0EESW_IbLb1EEEEDaSS_ST_EUlSS_E0_NS1_11comp_targetILNS1_3genE0ELNS1_11target_archE4294967295ELNS1_3gpuE0ELNS1_3repE0EEENS1_30default_config_static_selectorELNS0_4arch9wavefront6targetE1EEEvT1_
    .private_segment_fixed_size: 0
    .sgpr_count:     4
    .sgpr_spill_count: 0
    .symbol:         _ZN7rocprim17ROCPRIM_400000_NS6detail17trampoline_kernelINS0_14default_configENS1_20scan_config_selectorIjEEZZNS1_9scan_implILNS1_25lookback_scan_determinismE0ELb0ELb0ES3_N6thrust23THRUST_200600_302600_NS6detail15normal_iteratorINS9_10device_ptrIjEEEENS9_16discard_iteratorINS9_11use_defaultEEEjNS9_4plusIvEEjEEDaPvRmT3_T4_T5_mT6_P12ihipStream_tbENKUlT_T0_E_clISt17integral_constantIbLb0EESW_IbLb1EEEEDaSS_ST_EUlSS_E0_NS1_11comp_targetILNS1_3genE0ELNS1_11target_archE4294967295ELNS1_3gpuE0ELNS1_3repE0EEENS1_30default_config_static_selectorELNS0_4arch9wavefront6targetE1EEEvT1_.kd
    .uniform_work_group_size: 1
    .uses_dynamic_stack: false
    .vgpr_count:     0
    .vgpr_spill_count: 0
    .wavefront_size: 64
  - .agpr_count:     0
    .args:
      - .offset:         0
        .size:           40
        .value_kind:     by_value
    .group_segment_fixed_size: 0
    .kernarg_segment_align: 8
    .kernarg_segment_size: 40
    .language:       OpenCL C
    .language_version:
      - 2
      - 0
    .max_flat_workgroup_size: 256
    .name:           _ZN7rocprim17ROCPRIM_400000_NS6detail17trampoline_kernelINS0_14default_configENS1_20scan_config_selectorIjEEZZNS1_9scan_implILNS1_25lookback_scan_determinismE0ELb0ELb0ES3_N6thrust23THRUST_200600_302600_NS6detail15normal_iteratorINS9_10device_ptrIjEEEENS9_16discard_iteratorINS9_11use_defaultEEEjNS9_4plusIvEEjEEDaPvRmT3_T4_T5_mT6_P12ihipStream_tbENKUlT_T0_E_clISt17integral_constantIbLb0EESW_IbLb1EEEEDaSS_ST_EUlSS_E0_NS1_11comp_targetILNS1_3genE5ELNS1_11target_archE942ELNS1_3gpuE9ELNS1_3repE0EEENS1_30default_config_static_selectorELNS0_4arch9wavefront6targetE1EEEvT1_
    .private_segment_fixed_size: 0
    .sgpr_count:     4
    .sgpr_spill_count: 0
    .symbol:         _ZN7rocprim17ROCPRIM_400000_NS6detail17trampoline_kernelINS0_14default_configENS1_20scan_config_selectorIjEEZZNS1_9scan_implILNS1_25lookback_scan_determinismE0ELb0ELb0ES3_N6thrust23THRUST_200600_302600_NS6detail15normal_iteratorINS9_10device_ptrIjEEEENS9_16discard_iteratorINS9_11use_defaultEEEjNS9_4plusIvEEjEEDaPvRmT3_T4_T5_mT6_P12ihipStream_tbENKUlT_T0_E_clISt17integral_constantIbLb0EESW_IbLb1EEEEDaSS_ST_EUlSS_E0_NS1_11comp_targetILNS1_3genE5ELNS1_11target_archE942ELNS1_3gpuE9ELNS1_3repE0EEENS1_30default_config_static_selectorELNS0_4arch9wavefront6targetE1EEEvT1_.kd
    .uniform_work_group_size: 1
    .uses_dynamic_stack: false
    .vgpr_count:     0
    .vgpr_spill_count: 0
    .wavefront_size: 64
  - .agpr_count:     0
    .args:
      - .offset:         0
        .size:           40
        .value_kind:     by_value
    .group_segment_fixed_size: 5120
    .kernarg_segment_align: 8
    .kernarg_segment_size: 40
    .language:       OpenCL C
    .language_version:
      - 2
      - 0
    .max_flat_workgroup_size: 128
    .name:           _ZN7rocprim17ROCPRIM_400000_NS6detail17trampoline_kernelINS0_14default_configENS1_20scan_config_selectorIjEEZZNS1_9scan_implILNS1_25lookback_scan_determinismE0ELb0ELb0ES3_N6thrust23THRUST_200600_302600_NS6detail15normal_iteratorINS9_10device_ptrIjEEEENS9_16discard_iteratorINS9_11use_defaultEEEjNS9_4plusIvEEjEEDaPvRmT3_T4_T5_mT6_P12ihipStream_tbENKUlT_T0_E_clISt17integral_constantIbLb0EESW_IbLb1EEEEDaSS_ST_EUlSS_E0_NS1_11comp_targetILNS1_3genE4ELNS1_11target_archE910ELNS1_3gpuE8ELNS1_3repE0EEENS1_30default_config_static_selectorELNS0_4arch9wavefront6targetE1EEEvT1_
    .private_segment_fixed_size: 0
    .sgpr_count:     10
    .sgpr_spill_count: 0
    .symbol:         _ZN7rocprim17ROCPRIM_400000_NS6detail17trampoline_kernelINS0_14default_configENS1_20scan_config_selectorIjEEZZNS1_9scan_implILNS1_25lookback_scan_determinismE0ELb0ELb0ES3_N6thrust23THRUST_200600_302600_NS6detail15normal_iteratorINS9_10device_ptrIjEEEENS9_16discard_iteratorINS9_11use_defaultEEEjNS9_4plusIvEEjEEDaPvRmT3_T4_T5_mT6_P12ihipStream_tbENKUlT_T0_E_clISt17integral_constantIbLb0EESW_IbLb1EEEEDaSS_ST_EUlSS_E0_NS1_11comp_targetILNS1_3genE4ELNS1_11target_archE910ELNS1_3gpuE8ELNS1_3repE0EEENS1_30default_config_static_selectorELNS0_4arch9wavefront6targetE1EEEvT1_.kd
    .uniform_work_group_size: 1
    .uses_dynamic_stack: false
    .vgpr_count:     27
    .vgpr_spill_count: 0
    .wavefront_size: 64
  - .agpr_count:     0
    .args:
      - .offset:         0
        .size:           40
        .value_kind:     by_value
    .group_segment_fixed_size: 0
    .kernarg_segment_align: 8
    .kernarg_segment_size: 40
    .language:       OpenCL C
    .language_version:
      - 2
      - 0
    .max_flat_workgroup_size: 256
    .name:           _ZN7rocprim17ROCPRIM_400000_NS6detail17trampoline_kernelINS0_14default_configENS1_20scan_config_selectorIjEEZZNS1_9scan_implILNS1_25lookback_scan_determinismE0ELb0ELb0ES3_N6thrust23THRUST_200600_302600_NS6detail15normal_iteratorINS9_10device_ptrIjEEEENS9_16discard_iteratorINS9_11use_defaultEEEjNS9_4plusIvEEjEEDaPvRmT3_T4_T5_mT6_P12ihipStream_tbENKUlT_T0_E_clISt17integral_constantIbLb0EESW_IbLb1EEEEDaSS_ST_EUlSS_E0_NS1_11comp_targetILNS1_3genE3ELNS1_11target_archE908ELNS1_3gpuE7ELNS1_3repE0EEENS1_30default_config_static_selectorELNS0_4arch9wavefront6targetE1EEEvT1_
    .private_segment_fixed_size: 0
    .sgpr_count:     4
    .sgpr_spill_count: 0
    .symbol:         _ZN7rocprim17ROCPRIM_400000_NS6detail17trampoline_kernelINS0_14default_configENS1_20scan_config_selectorIjEEZZNS1_9scan_implILNS1_25lookback_scan_determinismE0ELb0ELb0ES3_N6thrust23THRUST_200600_302600_NS6detail15normal_iteratorINS9_10device_ptrIjEEEENS9_16discard_iteratorINS9_11use_defaultEEEjNS9_4plusIvEEjEEDaPvRmT3_T4_T5_mT6_P12ihipStream_tbENKUlT_T0_E_clISt17integral_constantIbLb0EESW_IbLb1EEEEDaSS_ST_EUlSS_E0_NS1_11comp_targetILNS1_3genE3ELNS1_11target_archE908ELNS1_3gpuE7ELNS1_3repE0EEENS1_30default_config_static_selectorELNS0_4arch9wavefront6targetE1EEEvT1_.kd
    .uniform_work_group_size: 1
    .uses_dynamic_stack: false
    .vgpr_count:     0
    .vgpr_spill_count: 0
    .wavefront_size: 64
  - .agpr_count:     0
    .args:
      - .offset:         0
        .size:           40
        .value_kind:     by_value
    .group_segment_fixed_size: 0
    .kernarg_segment_align: 8
    .kernarg_segment_size: 40
    .language:       OpenCL C
    .language_version:
      - 2
      - 0
    .max_flat_workgroup_size: 256
    .name:           _ZN7rocprim17ROCPRIM_400000_NS6detail17trampoline_kernelINS0_14default_configENS1_20scan_config_selectorIjEEZZNS1_9scan_implILNS1_25lookback_scan_determinismE0ELb0ELb0ES3_N6thrust23THRUST_200600_302600_NS6detail15normal_iteratorINS9_10device_ptrIjEEEENS9_16discard_iteratorINS9_11use_defaultEEEjNS9_4plusIvEEjEEDaPvRmT3_T4_T5_mT6_P12ihipStream_tbENKUlT_T0_E_clISt17integral_constantIbLb0EESW_IbLb1EEEEDaSS_ST_EUlSS_E0_NS1_11comp_targetILNS1_3genE2ELNS1_11target_archE906ELNS1_3gpuE6ELNS1_3repE0EEENS1_30default_config_static_selectorELNS0_4arch9wavefront6targetE1EEEvT1_
    .private_segment_fixed_size: 0
    .sgpr_count:     4
    .sgpr_spill_count: 0
    .symbol:         _ZN7rocprim17ROCPRIM_400000_NS6detail17trampoline_kernelINS0_14default_configENS1_20scan_config_selectorIjEEZZNS1_9scan_implILNS1_25lookback_scan_determinismE0ELb0ELb0ES3_N6thrust23THRUST_200600_302600_NS6detail15normal_iteratorINS9_10device_ptrIjEEEENS9_16discard_iteratorINS9_11use_defaultEEEjNS9_4plusIvEEjEEDaPvRmT3_T4_T5_mT6_P12ihipStream_tbENKUlT_T0_E_clISt17integral_constantIbLb0EESW_IbLb1EEEEDaSS_ST_EUlSS_E0_NS1_11comp_targetILNS1_3genE2ELNS1_11target_archE906ELNS1_3gpuE6ELNS1_3repE0EEENS1_30default_config_static_selectorELNS0_4arch9wavefront6targetE1EEEvT1_.kd
    .uniform_work_group_size: 1
    .uses_dynamic_stack: false
    .vgpr_count:     0
    .vgpr_spill_count: 0
    .wavefront_size: 64
  - .agpr_count:     0
    .args:
      - .offset:         0
        .size:           40
        .value_kind:     by_value
    .group_segment_fixed_size: 0
    .kernarg_segment_align: 8
    .kernarg_segment_size: 40
    .language:       OpenCL C
    .language_version:
      - 2
      - 0
    .max_flat_workgroup_size: 256
    .name:           _ZN7rocprim17ROCPRIM_400000_NS6detail17trampoline_kernelINS0_14default_configENS1_20scan_config_selectorIjEEZZNS1_9scan_implILNS1_25lookback_scan_determinismE0ELb0ELb0ES3_N6thrust23THRUST_200600_302600_NS6detail15normal_iteratorINS9_10device_ptrIjEEEENS9_16discard_iteratorINS9_11use_defaultEEEjNS9_4plusIvEEjEEDaPvRmT3_T4_T5_mT6_P12ihipStream_tbENKUlT_T0_E_clISt17integral_constantIbLb0EESW_IbLb1EEEEDaSS_ST_EUlSS_E0_NS1_11comp_targetILNS1_3genE10ELNS1_11target_archE1201ELNS1_3gpuE5ELNS1_3repE0EEENS1_30default_config_static_selectorELNS0_4arch9wavefront6targetE1EEEvT1_
    .private_segment_fixed_size: 0
    .sgpr_count:     4
    .sgpr_spill_count: 0
    .symbol:         _ZN7rocprim17ROCPRIM_400000_NS6detail17trampoline_kernelINS0_14default_configENS1_20scan_config_selectorIjEEZZNS1_9scan_implILNS1_25lookback_scan_determinismE0ELb0ELb0ES3_N6thrust23THRUST_200600_302600_NS6detail15normal_iteratorINS9_10device_ptrIjEEEENS9_16discard_iteratorINS9_11use_defaultEEEjNS9_4plusIvEEjEEDaPvRmT3_T4_T5_mT6_P12ihipStream_tbENKUlT_T0_E_clISt17integral_constantIbLb0EESW_IbLb1EEEEDaSS_ST_EUlSS_E0_NS1_11comp_targetILNS1_3genE10ELNS1_11target_archE1201ELNS1_3gpuE5ELNS1_3repE0EEENS1_30default_config_static_selectorELNS0_4arch9wavefront6targetE1EEEvT1_.kd
    .uniform_work_group_size: 1
    .uses_dynamic_stack: false
    .vgpr_count:     0
    .vgpr_spill_count: 0
    .wavefront_size: 64
  - .agpr_count:     0
    .args:
      - .offset:         0
        .size:           40
        .value_kind:     by_value
    .group_segment_fixed_size: 0
    .kernarg_segment_align: 8
    .kernarg_segment_size: 40
    .language:       OpenCL C
    .language_version:
      - 2
      - 0
    .max_flat_workgroup_size: 256
    .name:           _ZN7rocprim17ROCPRIM_400000_NS6detail17trampoline_kernelINS0_14default_configENS1_20scan_config_selectorIjEEZZNS1_9scan_implILNS1_25lookback_scan_determinismE0ELb0ELb0ES3_N6thrust23THRUST_200600_302600_NS6detail15normal_iteratorINS9_10device_ptrIjEEEENS9_16discard_iteratorINS9_11use_defaultEEEjNS9_4plusIvEEjEEDaPvRmT3_T4_T5_mT6_P12ihipStream_tbENKUlT_T0_E_clISt17integral_constantIbLb0EESW_IbLb1EEEEDaSS_ST_EUlSS_E0_NS1_11comp_targetILNS1_3genE10ELNS1_11target_archE1200ELNS1_3gpuE4ELNS1_3repE0EEENS1_30default_config_static_selectorELNS0_4arch9wavefront6targetE1EEEvT1_
    .private_segment_fixed_size: 0
    .sgpr_count:     4
    .sgpr_spill_count: 0
    .symbol:         _ZN7rocprim17ROCPRIM_400000_NS6detail17trampoline_kernelINS0_14default_configENS1_20scan_config_selectorIjEEZZNS1_9scan_implILNS1_25lookback_scan_determinismE0ELb0ELb0ES3_N6thrust23THRUST_200600_302600_NS6detail15normal_iteratorINS9_10device_ptrIjEEEENS9_16discard_iteratorINS9_11use_defaultEEEjNS9_4plusIvEEjEEDaPvRmT3_T4_T5_mT6_P12ihipStream_tbENKUlT_T0_E_clISt17integral_constantIbLb0EESW_IbLb1EEEEDaSS_ST_EUlSS_E0_NS1_11comp_targetILNS1_3genE10ELNS1_11target_archE1200ELNS1_3gpuE4ELNS1_3repE0EEENS1_30default_config_static_selectorELNS0_4arch9wavefront6targetE1EEEvT1_.kd
    .uniform_work_group_size: 1
    .uses_dynamic_stack: false
    .vgpr_count:     0
    .vgpr_spill_count: 0
    .wavefront_size: 64
  - .agpr_count:     0
    .args:
      - .offset:         0
        .size:           40
        .value_kind:     by_value
    .group_segment_fixed_size: 0
    .kernarg_segment_align: 8
    .kernarg_segment_size: 40
    .language:       OpenCL C
    .language_version:
      - 2
      - 0
    .max_flat_workgroup_size: 256
    .name:           _ZN7rocprim17ROCPRIM_400000_NS6detail17trampoline_kernelINS0_14default_configENS1_20scan_config_selectorIjEEZZNS1_9scan_implILNS1_25lookback_scan_determinismE0ELb0ELb0ES3_N6thrust23THRUST_200600_302600_NS6detail15normal_iteratorINS9_10device_ptrIjEEEENS9_16discard_iteratorINS9_11use_defaultEEEjNS9_4plusIvEEjEEDaPvRmT3_T4_T5_mT6_P12ihipStream_tbENKUlT_T0_E_clISt17integral_constantIbLb0EESW_IbLb1EEEEDaSS_ST_EUlSS_E0_NS1_11comp_targetILNS1_3genE9ELNS1_11target_archE1100ELNS1_3gpuE3ELNS1_3repE0EEENS1_30default_config_static_selectorELNS0_4arch9wavefront6targetE1EEEvT1_
    .private_segment_fixed_size: 0
    .sgpr_count:     4
    .sgpr_spill_count: 0
    .symbol:         _ZN7rocprim17ROCPRIM_400000_NS6detail17trampoline_kernelINS0_14default_configENS1_20scan_config_selectorIjEEZZNS1_9scan_implILNS1_25lookback_scan_determinismE0ELb0ELb0ES3_N6thrust23THRUST_200600_302600_NS6detail15normal_iteratorINS9_10device_ptrIjEEEENS9_16discard_iteratorINS9_11use_defaultEEEjNS9_4plusIvEEjEEDaPvRmT3_T4_T5_mT6_P12ihipStream_tbENKUlT_T0_E_clISt17integral_constantIbLb0EESW_IbLb1EEEEDaSS_ST_EUlSS_E0_NS1_11comp_targetILNS1_3genE9ELNS1_11target_archE1100ELNS1_3gpuE3ELNS1_3repE0EEENS1_30default_config_static_selectorELNS0_4arch9wavefront6targetE1EEEvT1_.kd
    .uniform_work_group_size: 1
    .uses_dynamic_stack: false
    .vgpr_count:     0
    .vgpr_spill_count: 0
    .wavefront_size: 64
  - .agpr_count:     0
    .args:
      - .offset:         0
        .size:           40
        .value_kind:     by_value
    .group_segment_fixed_size: 0
    .kernarg_segment_align: 8
    .kernarg_segment_size: 40
    .language:       OpenCL C
    .language_version:
      - 2
      - 0
    .max_flat_workgroup_size: 64
    .name:           _ZN7rocprim17ROCPRIM_400000_NS6detail17trampoline_kernelINS0_14default_configENS1_20scan_config_selectorIjEEZZNS1_9scan_implILNS1_25lookback_scan_determinismE0ELb0ELb0ES3_N6thrust23THRUST_200600_302600_NS6detail15normal_iteratorINS9_10device_ptrIjEEEENS9_16discard_iteratorINS9_11use_defaultEEEjNS9_4plusIvEEjEEDaPvRmT3_T4_T5_mT6_P12ihipStream_tbENKUlT_T0_E_clISt17integral_constantIbLb0EESW_IbLb1EEEEDaSS_ST_EUlSS_E0_NS1_11comp_targetILNS1_3genE8ELNS1_11target_archE1030ELNS1_3gpuE2ELNS1_3repE0EEENS1_30default_config_static_selectorELNS0_4arch9wavefront6targetE1EEEvT1_
    .private_segment_fixed_size: 0
    .sgpr_count:     4
    .sgpr_spill_count: 0
    .symbol:         _ZN7rocprim17ROCPRIM_400000_NS6detail17trampoline_kernelINS0_14default_configENS1_20scan_config_selectorIjEEZZNS1_9scan_implILNS1_25lookback_scan_determinismE0ELb0ELb0ES3_N6thrust23THRUST_200600_302600_NS6detail15normal_iteratorINS9_10device_ptrIjEEEENS9_16discard_iteratorINS9_11use_defaultEEEjNS9_4plusIvEEjEEDaPvRmT3_T4_T5_mT6_P12ihipStream_tbENKUlT_T0_E_clISt17integral_constantIbLb0EESW_IbLb1EEEEDaSS_ST_EUlSS_E0_NS1_11comp_targetILNS1_3genE8ELNS1_11target_archE1030ELNS1_3gpuE2ELNS1_3repE0EEENS1_30default_config_static_selectorELNS0_4arch9wavefront6targetE1EEEvT1_.kd
    .uniform_work_group_size: 1
    .uses_dynamic_stack: false
    .vgpr_count:     0
    .vgpr_spill_count: 0
    .wavefront_size: 64
  - .agpr_count:     0
    .args:
      - .offset:         0
        .size:           104
        .value_kind:     by_value
    .group_segment_fixed_size: 0
    .kernarg_segment_align: 8
    .kernarg_segment_size: 104
    .language:       OpenCL C
    .language_version:
      - 2
      - 0
    .max_flat_workgroup_size: 256
    .name:           _ZN7rocprim17ROCPRIM_400000_NS6detail17trampoline_kernelINS0_14default_configENS1_20scan_config_selectorIjEEZZNS1_9scan_implILNS1_25lookback_scan_determinismE0ELb1ELb1ES3_N6thrust23THRUST_200600_302600_NS6detail15normal_iteratorINS9_10device_ptrIjEEEENS9_16discard_iteratorINS9_11use_defaultEEEjNS9_4plusIvEEjEEDaPvRmT3_T4_T5_mT6_P12ihipStream_tbENKUlT_T0_E_clISt17integral_constantIbLb0EESX_EEDaSS_ST_EUlSS_E_NS1_11comp_targetILNS1_3genE0ELNS1_11target_archE4294967295ELNS1_3gpuE0ELNS1_3repE0EEENS1_30default_config_static_selectorELNS0_4arch9wavefront6targetE1EEEvT1_
    .private_segment_fixed_size: 0
    .sgpr_count:     4
    .sgpr_spill_count: 0
    .symbol:         _ZN7rocprim17ROCPRIM_400000_NS6detail17trampoline_kernelINS0_14default_configENS1_20scan_config_selectorIjEEZZNS1_9scan_implILNS1_25lookback_scan_determinismE0ELb1ELb1ES3_N6thrust23THRUST_200600_302600_NS6detail15normal_iteratorINS9_10device_ptrIjEEEENS9_16discard_iteratorINS9_11use_defaultEEEjNS9_4plusIvEEjEEDaPvRmT3_T4_T5_mT6_P12ihipStream_tbENKUlT_T0_E_clISt17integral_constantIbLb0EESX_EEDaSS_ST_EUlSS_E_NS1_11comp_targetILNS1_3genE0ELNS1_11target_archE4294967295ELNS1_3gpuE0ELNS1_3repE0EEENS1_30default_config_static_selectorELNS0_4arch9wavefront6targetE1EEEvT1_.kd
    .uniform_work_group_size: 1
    .uses_dynamic_stack: false
    .vgpr_count:     0
    .vgpr_spill_count: 0
    .wavefront_size: 64
  - .agpr_count:     0
    .args:
      - .offset:         0
        .size:           104
        .value_kind:     by_value
    .group_segment_fixed_size: 0
    .kernarg_segment_align: 8
    .kernarg_segment_size: 104
    .language:       OpenCL C
    .language_version:
      - 2
      - 0
    .max_flat_workgroup_size: 256
    .name:           _ZN7rocprim17ROCPRIM_400000_NS6detail17trampoline_kernelINS0_14default_configENS1_20scan_config_selectorIjEEZZNS1_9scan_implILNS1_25lookback_scan_determinismE0ELb1ELb1ES3_N6thrust23THRUST_200600_302600_NS6detail15normal_iteratorINS9_10device_ptrIjEEEENS9_16discard_iteratorINS9_11use_defaultEEEjNS9_4plusIvEEjEEDaPvRmT3_T4_T5_mT6_P12ihipStream_tbENKUlT_T0_E_clISt17integral_constantIbLb0EESX_EEDaSS_ST_EUlSS_E_NS1_11comp_targetILNS1_3genE5ELNS1_11target_archE942ELNS1_3gpuE9ELNS1_3repE0EEENS1_30default_config_static_selectorELNS0_4arch9wavefront6targetE1EEEvT1_
    .private_segment_fixed_size: 0
    .sgpr_count:     4
    .sgpr_spill_count: 0
    .symbol:         _ZN7rocprim17ROCPRIM_400000_NS6detail17trampoline_kernelINS0_14default_configENS1_20scan_config_selectorIjEEZZNS1_9scan_implILNS1_25lookback_scan_determinismE0ELb1ELb1ES3_N6thrust23THRUST_200600_302600_NS6detail15normal_iteratorINS9_10device_ptrIjEEEENS9_16discard_iteratorINS9_11use_defaultEEEjNS9_4plusIvEEjEEDaPvRmT3_T4_T5_mT6_P12ihipStream_tbENKUlT_T0_E_clISt17integral_constantIbLb0EESX_EEDaSS_ST_EUlSS_E_NS1_11comp_targetILNS1_3genE5ELNS1_11target_archE942ELNS1_3gpuE9ELNS1_3repE0EEENS1_30default_config_static_selectorELNS0_4arch9wavefront6targetE1EEEvT1_.kd
    .uniform_work_group_size: 1
    .uses_dynamic_stack: false
    .vgpr_count:     0
    .vgpr_spill_count: 0
    .wavefront_size: 64
  - .agpr_count:     0
    .args:
      - .offset:         0
        .size:           104
        .value_kind:     by_value
    .group_segment_fixed_size: 5120
    .kernarg_segment_align: 8
    .kernarg_segment_size: 104
    .language:       OpenCL C
    .language_version:
      - 2
      - 0
    .max_flat_workgroup_size: 128
    .name:           _ZN7rocprim17ROCPRIM_400000_NS6detail17trampoline_kernelINS0_14default_configENS1_20scan_config_selectorIjEEZZNS1_9scan_implILNS1_25lookback_scan_determinismE0ELb1ELb1ES3_N6thrust23THRUST_200600_302600_NS6detail15normal_iteratorINS9_10device_ptrIjEEEENS9_16discard_iteratorINS9_11use_defaultEEEjNS9_4plusIvEEjEEDaPvRmT3_T4_T5_mT6_P12ihipStream_tbENKUlT_T0_E_clISt17integral_constantIbLb0EESX_EEDaSS_ST_EUlSS_E_NS1_11comp_targetILNS1_3genE4ELNS1_11target_archE910ELNS1_3gpuE8ELNS1_3repE0EEENS1_30default_config_static_selectorELNS0_4arch9wavefront6targetE1EEEvT1_
    .private_segment_fixed_size: 0
    .sgpr_count:     27
    .sgpr_spill_count: 0
    .symbol:         _ZN7rocprim17ROCPRIM_400000_NS6detail17trampoline_kernelINS0_14default_configENS1_20scan_config_selectorIjEEZZNS1_9scan_implILNS1_25lookback_scan_determinismE0ELb1ELb1ES3_N6thrust23THRUST_200600_302600_NS6detail15normal_iteratorINS9_10device_ptrIjEEEENS9_16discard_iteratorINS9_11use_defaultEEEjNS9_4plusIvEEjEEDaPvRmT3_T4_T5_mT6_P12ihipStream_tbENKUlT_T0_E_clISt17integral_constantIbLb0EESX_EEDaSS_ST_EUlSS_E_NS1_11comp_targetILNS1_3genE4ELNS1_11target_archE910ELNS1_3gpuE8ELNS1_3repE0EEENS1_30default_config_static_selectorELNS0_4arch9wavefront6targetE1EEEvT1_.kd
    .uniform_work_group_size: 1
    .uses_dynamic_stack: false
    .vgpr_count:     40
    .vgpr_spill_count: 0
    .wavefront_size: 64
  - .agpr_count:     0
    .args:
      - .offset:         0
        .size:           104
        .value_kind:     by_value
    .group_segment_fixed_size: 0
    .kernarg_segment_align: 8
    .kernarg_segment_size: 104
    .language:       OpenCL C
    .language_version:
      - 2
      - 0
    .max_flat_workgroup_size: 256
    .name:           _ZN7rocprim17ROCPRIM_400000_NS6detail17trampoline_kernelINS0_14default_configENS1_20scan_config_selectorIjEEZZNS1_9scan_implILNS1_25lookback_scan_determinismE0ELb1ELb1ES3_N6thrust23THRUST_200600_302600_NS6detail15normal_iteratorINS9_10device_ptrIjEEEENS9_16discard_iteratorINS9_11use_defaultEEEjNS9_4plusIvEEjEEDaPvRmT3_T4_T5_mT6_P12ihipStream_tbENKUlT_T0_E_clISt17integral_constantIbLb0EESX_EEDaSS_ST_EUlSS_E_NS1_11comp_targetILNS1_3genE3ELNS1_11target_archE908ELNS1_3gpuE7ELNS1_3repE0EEENS1_30default_config_static_selectorELNS0_4arch9wavefront6targetE1EEEvT1_
    .private_segment_fixed_size: 0
    .sgpr_count:     4
    .sgpr_spill_count: 0
    .symbol:         _ZN7rocprim17ROCPRIM_400000_NS6detail17trampoline_kernelINS0_14default_configENS1_20scan_config_selectorIjEEZZNS1_9scan_implILNS1_25lookback_scan_determinismE0ELb1ELb1ES3_N6thrust23THRUST_200600_302600_NS6detail15normal_iteratorINS9_10device_ptrIjEEEENS9_16discard_iteratorINS9_11use_defaultEEEjNS9_4plusIvEEjEEDaPvRmT3_T4_T5_mT6_P12ihipStream_tbENKUlT_T0_E_clISt17integral_constantIbLb0EESX_EEDaSS_ST_EUlSS_E_NS1_11comp_targetILNS1_3genE3ELNS1_11target_archE908ELNS1_3gpuE7ELNS1_3repE0EEENS1_30default_config_static_selectorELNS0_4arch9wavefront6targetE1EEEvT1_.kd
    .uniform_work_group_size: 1
    .uses_dynamic_stack: false
    .vgpr_count:     0
    .vgpr_spill_count: 0
    .wavefront_size: 64
  - .agpr_count:     0
    .args:
      - .offset:         0
        .size:           104
        .value_kind:     by_value
    .group_segment_fixed_size: 0
    .kernarg_segment_align: 8
    .kernarg_segment_size: 104
    .language:       OpenCL C
    .language_version:
      - 2
      - 0
    .max_flat_workgroup_size: 256
    .name:           _ZN7rocprim17ROCPRIM_400000_NS6detail17trampoline_kernelINS0_14default_configENS1_20scan_config_selectorIjEEZZNS1_9scan_implILNS1_25lookback_scan_determinismE0ELb1ELb1ES3_N6thrust23THRUST_200600_302600_NS6detail15normal_iteratorINS9_10device_ptrIjEEEENS9_16discard_iteratorINS9_11use_defaultEEEjNS9_4plusIvEEjEEDaPvRmT3_T4_T5_mT6_P12ihipStream_tbENKUlT_T0_E_clISt17integral_constantIbLb0EESX_EEDaSS_ST_EUlSS_E_NS1_11comp_targetILNS1_3genE2ELNS1_11target_archE906ELNS1_3gpuE6ELNS1_3repE0EEENS1_30default_config_static_selectorELNS0_4arch9wavefront6targetE1EEEvT1_
    .private_segment_fixed_size: 0
    .sgpr_count:     4
    .sgpr_spill_count: 0
    .symbol:         _ZN7rocprim17ROCPRIM_400000_NS6detail17trampoline_kernelINS0_14default_configENS1_20scan_config_selectorIjEEZZNS1_9scan_implILNS1_25lookback_scan_determinismE0ELb1ELb1ES3_N6thrust23THRUST_200600_302600_NS6detail15normal_iteratorINS9_10device_ptrIjEEEENS9_16discard_iteratorINS9_11use_defaultEEEjNS9_4plusIvEEjEEDaPvRmT3_T4_T5_mT6_P12ihipStream_tbENKUlT_T0_E_clISt17integral_constantIbLb0EESX_EEDaSS_ST_EUlSS_E_NS1_11comp_targetILNS1_3genE2ELNS1_11target_archE906ELNS1_3gpuE6ELNS1_3repE0EEENS1_30default_config_static_selectorELNS0_4arch9wavefront6targetE1EEEvT1_.kd
    .uniform_work_group_size: 1
    .uses_dynamic_stack: false
    .vgpr_count:     0
    .vgpr_spill_count: 0
    .wavefront_size: 64
  - .agpr_count:     0
    .args:
      - .offset:         0
        .size:           104
        .value_kind:     by_value
    .group_segment_fixed_size: 0
    .kernarg_segment_align: 8
    .kernarg_segment_size: 104
    .language:       OpenCL C
    .language_version:
      - 2
      - 0
    .max_flat_workgroup_size: 256
    .name:           _ZN7rocprim17ROCPRIM_400000_NS6detail17trampoline_kernelINS0_14default_configENS1_20scan_config_selectorIjEEZZNS1_9scan_implILNS1_25lookback_scan_determinismE0ELb1ELb1ES3_N6thrust23THRUST_200600_302600_NS6detail15normal_iteratorINS9_10device_ptrIjEEEENS9_16discard_iteratorINS9_11use_defaultEEEjNS9_4plusIvEEjEEDaPvRmT3_T4_T5_mT6_P12ihipStream_tbENKUlT_T0_E_clISt17integral_constantIbLb0EESX_EEDaSS_ST_EUlSS_E_NS1_11comp_targetILNS1_3genE10ELNS1_11target_archE1201ELNS1_3gpuE5ELNS1_3repE0EEENS1_30default_config_static_selectorELNS0_4arch9wavefront6targetE1EEEvT1_
    .private_segment_fixed_size: 0
    .sgpr_count:     4
    .sgpr_spill_count: 0
    .symbol:         _ZN7rocprim17ROCPRIM_400000_NS6detail17trampoline_kernelINS0_14default_configENS1_20scan_config_selectorIjEEZZNS1_9scan_implILNS1_25lookback_scan_determinismE0ELb1ELb1ES3_N6thrust23THRUST_200600_302600_NS6detail15normal_iteratorINS9_10device_ptrIjEEEENS9_16discard_iteratorINS9_11use_defaultEEEjNS9_4plusIvEEjEEDaPvRmT3_T4_T5_mT6_P12ihipStream_tbENKUlT_T0_E_clISt17integral_constantIbLb0EESX_EEDaSS_ST_EUlSS_E_NS1_11comp_targetILNS1_3genE10ELNS1_11target_archE1201ELNS1_3gpuE5ELNS1_3repE0EEENS1_30default_config_static_selectorELNS0_4arch9wavefront6targetE1EEEvT1_.kd
    .uniform_work_group_size: 1
    .uses_dynamic_stack: false
    .vgpr_count:     0
    .vgpr_spill_count: 0
    .wavefront_size: 64
  - .agpr_count:     0
    .args:
      - .offset:         0
        .size:           104
        .value_kind:     by_value
    .group_segment_fixed_size: 0
    .kernarg_segment_align: 8
    .kernarg_segment_size: 104
    .language:       OpenCL C
    .language_version:
      - 2
      - 0
    .max_flat_workgroup_size: 256
    .name:           _ZN7rocprim17ROCPRIM_400000_NS6detail17trampoline_kernelINS0_14default_configENS1_20scan_config_selectorIjEEZZNS1_9scan_implILNS1_25lookback_scan_determinismE0ELb1ELb1ES3_N6thrust23THRUST_200600_302600_NS6detail15normal_iteratorINS9_10device_ptrIjEEEENS9_16discard_iteratorINS9_11use_defaultEEEjNS9_4plusIvEEjEEDaPvRmT3_T4_T5_mT6_P12ihipStream_tbENKUlT_T0_E_clISt17integral_constantIbLb0EESX_EEDaSS_ST_EUlSS_E_NS1_11comp_targetILNS1_3genE10ELNS1_11target_archE1200ELNS1_3gpuE4ELNS1_3repE0EEENS1_30default_config_static_selectorELNS0_4arch9wavefront6targetE1EEEvT1_
    .private_segment_fixed_size: 0
    .sgpr_count:     4
    .sgpr_spill_count: 0
    .symbol:         _ZN7rocprim17ROCPRIM_400000_NS6detail17trampoline_kernelINS0_14default_configENS1_20scan_config_selectorIjEEZZNS1_9scan_implILNS1_25lookback_scan_determinismE0ELb1ELb1ES3_N6thrust23THRUST_200600_302600_NS6detail15normal_iteratorINS9_10device_ptrIjEEEENS9_16discard_iteratorINS9_11use_defaultEEEjNS9_4plusIvEEjEEDaPvRmT3_T4_T5_mT6_P12ihipStream_tbENKUlT_T0_E_clISt17integral_constantIbLb0EESX_EEDaSS_ST_EUlSS_E_NS1_11comp_targetILNS1_3genE10ELNS1_11target_archE1200ELNS1_3gpuE4ELNS1_3repE0EEENS1_30default_config_static_selectorELNS0_4arch9wavefront6targetE1EEEvT1_.kd
    .uniform_work_group_size: 1
    .uses_dynamic_stack: false
    .vgpr_count:     0
    .vgpr_spill_count: 0
    .wavefront_size: 64
  - .agpr_count:     0
    .args:
      - .offset:         0
        .size:           104
        .value_kind:     by_value
    .group_segment_fixed_size: 0
    .kernarg_segment_align: 8
    .kernarg_segment_size: 104
    .language:       OpenCL C
    .language_version:
      - 2
      - 0
    .max_flat_workgroup_size: 256
    .name:           _ZN7rocprim17ROCPRIM_400000_NS6detail17trampoline_kernelINS0_14default_configENS1_20scan_config_selectorIjEEZZNS1_9scan_implILNS1_25lookback_scan_determinismE0ELb1ELb1ES3_N6thrust23THRUST_200600_302600_NS6detail15normal_iteratorINS9_10device_ptrIjEEEENS9_16discard_iteratorINS9_11use_defaultEEEjNS9_4plusIvEEjEEDaPvRmT3_T4_T5_mT6_P12ihipStream_tbENKUlT_T0_E_clISt17integral_constantIbLb0EESX_EEDaSS_ST_EUlSS_E_NS1_11comp_targetILNS1_3genE9ELNS1_11target_archE1100ELNS1_3gpuE3ELNS1_3repE0EEENS1_30default_config_static_selectorELNS0_4arch9wavefront6targetE1EEEvT1_
    .private_segment_fixed_size: 0
    .sgpr_count:     4
    .sgpr_spill_count: 0
    .symbol:         _ZN7rocprim17ROCPRIM_400000_NS6detail17trampoline_kernelINS0_14default_configENS1_20scan_config_selectorIjEEZZNS1_9scan_implILNS1_25lookback_scan_determinismE0ELb1ELb1ES3_N6thrust23THRUST_200600_302600_NS6detail15normal_iteratorINS9_10device_ptrIjEEEENS9_16discard_iteratorINS9_11use_defaultEEEjNS9_4plusIvEEjEEDaPvRmT3_T4_T5_mT6_P12ihipStream_tbENKUlT_T0_E_clISt17integral_constantIbLb0EESX_EEDaSS_ST_EUlSS_E_NS1_11comp_targetILNS1_3genE9ELNS1_11target_archE1100ELNS1_3gpuE3ELNS1_3repE0EEENS1_30default_config_static_selectorELNS0_4arch9wavefront6targetE1EEEvT1_.kd
    .uniform_work_group_size: 1
    .uses_dynamic_stack: false
    .vgpr_count:     0
    .vgpr_spill_count: 0
    .wavefront_size: 64
  - .agpr_count:     0
    .args:
      - .offset:         0
        .size:           104
        .value_kind:     by_value
    .group_segment_fixed_size: 0
    .kernarg_segment_align: 8
    .kernarg_segment_size: 104
    .language:       OpenCL C
    .language_version:
      - 2
      - 0
    .max_flat_workgroup_size: 64
    .name:           _ZN7rocprim17ROCPRIM_400000_NS6detail17trampoline_kernelINS0_14default_configENS1_20scan_config_selectorIjEEZZNS1_9scan_implILNS1_25lookback_scan_determinismE0ELb1ELb1ES3_N6thrust23THRUST_200600_302600_NS6detail15normal_iteratorINS9_10device_ptrIjEEEENS9_16discard_iteratorINS9_11use_defaultEEEjNS9_4plusIvEEjEEDaPvRmT3_T4_T5_mT6_P12ihipStream_tbENKUlT_T0_E_clISt17integral_constantIbLb0EESX_EEDaSS_ST_EUlSS_E_NS1_11comp_targetILNS1_3genE8ELNS1_11target_archE1030ELNS1_3gpuE2ELNS1_3repE0EEENS1_30default_config_static_selectorELNS0_4arch9wavefront6targetE1EEEvT1_
    .private_segment_fixed_size: 0
    .sgpr_count:     4
    .sgpr_spill_count: 0
    .symbol:         _ZN7rocprim17ROCPRIM_400000_NS6detail17trampoline_kernelINS0_14default_configENS1_20scan_config_selectorIjEEZZNS1_9scan_implILNS1_25lookback_scan_determinismE0ELb1ELb1ES3_N6thrust23THRUST_200600_302600_NS6detail15normal_iteratorINS9_10device_ptrIjEEEENS9_16discard_iteratorINS9_11use_defaultEEEjNS9_4plusIvEEjEEDaPvRmT3_T4_T5_mT6_P12ihipStream_tbENKUlT_T0_E_clISt17integral_constantIbLb0EESX_EEDaSS_ST_EUlSS_E_NS1_11comp_targetILNS1_3genE8ELNS1_11target_archE1030ELNS1_3gpuE2ELNS1_3repE0EEENS1_30default_config_static_selectorELNS0_4arch9wavefront6targetE1EEEvT1_.kd
    .uniform_work_group_size: 1
    .uses_dynamic_stack: false
    .vgpr_count:     0
    .vgpr_spill_count: 0
    .wavefront_size: 64
  - .agpr_count:     0
    .args:
      - .offset:         0
        .size:           40
        .value_kind:     by_value
    .group_segment_fixed_size: 0
    .kernarg_segment_align: 8
    .kernarg_segment_size: 40
    .language:       OpenCL C
    .language_version:
      - 2
      - 0
    .max_flat_workgroup_size: 256
    .name:           _ZN7rocprim17ROCPRIM_400000_NS6detail17trampoline_kernelINS0_14default_configENS1_20scan_config_selectorIjEEZZNS1_9scan_implILNS1_25lookback_scan_determinismE0ELb1ELb1ES3_N6thrust23THRUST_200600_302600_NS6detail15normal_iteratorINS9_10device_ptrIjEEEENS9_16discard_iteratorINS9_11use_defaultEEEjNS9_4plusIvEEjEEDaPvRmT3_T4_T5_mT6_P12ihipStream_tbENKUlT_T0_E_clISt17integral_constantIbLb0EESX_EEDaSS_ST_EUlSS_E0_NS1_11comp_targetILNS1_3genE0ELNS1_11target_archE4294967295ELNS1_3gpuE0ELNS1_3repE0EEENS1_30default_config_static_selectorELNS0_4arch9wavefront6targetE1EEEvT1_
    .private_segment_fixed_size: 0
    .sgpr_count:     4
    .sgpr_spill_count: 0
    .symbol:         _ZN7rocprim17ROCPRIM_400000_NS6detail17trampoline_kernelINS0_14default_configENS1_20scan_config_selectorIjEEZZNS1_9scan_implILNS1_25lookback_scan_determinismE0ELb1ELb1ES3_N6thrust23THRUST_200600_302600_NS6detail15normal_iteratorINS9_10device_ptrIjEEEENS9_16discard_iteratorINS9_11use_defaultEEEjNS9_4plusIvEEjEEDaPvRmT3_T4_T5_mT6_P12ihipStream_tbENKUlT_T0_E_clISt17integral_constantIbLb0EESX_EEDaSS_ST_EUlSS_E0_NS1_11comp_targetILNS1_3genE0ELNS1_11target_archE4294967295ELNS1_3gpuE0ELNS1_3repE0EEENS1_30default_config_static_selectorELNS0_4arch9wavefront6targetE1EEEvT1_.kd
    .uniform_work_group_size: 1
    .uses_dynamic_stack: false
    .vgpr_count:     0
    .vgpr_spill_count: 0
    .wavefront_size: 64
  - .agpr_count:     0
    .args:
      - .offset:         0
        .size:           40
        .value_kind:     by_value
    .group_segment_fixed_size: 0
    .kernarg_segment_align: 8
    .kernarg_segment_size: 40
    .language:       OpenCL C
    .language_version:
      - 2
      - 0
    .max_flat_workgroup_size: 256
    .name:           _ZN7rocprim17ROCPRIM_400000_NS6detail17trampoline_kernelINS0_14default_configENS1_20scan_config_selectorIjEEZZNS1_9scan_implILNS1_25lookback_scan_determinismE0ELb1ELb1ES3_N6thrust23THRUST_200600_302600_NS6detail15normal_iteratorINS9_10device_ptrIjEEEENS9_16discard_iteratorINS9_11use_defaultEEEjNS9_4plusIvEEjEEDaPvRmT3_T4_T5_mT6_P12ihipStream_tbENKUlT_T0_E_clISt17integral_constantIbLb0EESX_EEDaSS_ST_EUlSS_E0_NS1_11comp_targetILNS1_3genE5ELNS1_11target_archE942ELNS1_3gpuE9ELNS1_3repE0EEENS1_30default_config_static_selectorELNS0_4arch9wavefront6targetE1EEEvT1_
    .private_segment_fixed_size: 0
    .sgpr_count:     4
    .sgpr_spill_count: 0
    .symbol:         _ZN7rocprim17ROCPRIM_400000_NS6detail17trampoline_kernelINS0_14default_configENS1_20scan_config_selectorIjEEZZNS1_9scan_implILNS1_25lookback_scan_determinismE0ELb1ELb1ES3_N6thrust23THRUST_200600_302600_NS6detail15normal_iteratorINS9_10device_ptrIjEEEENS9_16discard_iteratorINS9_11use_defaultEEEjNS9_4plusIvEEjEEDaPvRmT3_T4_T5_mT6_P12ihipStream_tbENKUlT_T0_E_clISt17integral_constantIbLb0EESX_EEDaSS_ST_EUlSS_E0_NS1_11comp_targetILNS1_3genE5ELNS1_11target_archE942ELNS1_3gpuE9ELNS1_3repE0EEENS1_30default_config_static_selectorELNS0_4arch9wavefront6targetE1EEEvT1_.kd
    .uniform_work_group_size: 1
    .uses_dynamic_stack: false
    .vgpr_count:     0
    .vgpr_spill_count: 0
    .wavefront_size: 64
  - .agpr_count:     0
    .args:
      - .offset:         0
        .size:           40
        .value_kind:     by_value
    .group_segment_fixed_size: 5120
    .kernarg_segment_align: 8
    .kernarg_segment_size: 40
    .language:       OpenCL C
    .language_version:
      - 2
      - 0
    .max_flat_workgroup_size: 128
    .name:           _ZN7rocprim17ROCPRIM_400000_NS6detail17trampoline_kernelINS0_14default_configENS1_20scan_config_selectorIjEEZZNS1_9scan_implILNS1_25lookback_scan_determinismE0ELb1ELb1ES3_N6thrust23THRUST_200600_302600_NS6detail15normal_iteratorINS9_10device_ptrIjEEEENS9_16discard_iteratorINS9_11use_defaultEEEjNS9_4plusIvEEjEEDaPvRmT3_T4_T5_mT6_P12ihipStream_tbENKUlT_T0_E_clISt17integral_constantIbLb0EESX_EEDaSS_ST_EUlSS_E0_NS1_11comp_targetILNS1_3genE4ELNS1_11target_archE910ELNS1_3gpuE8ELNS1_3repE0EEENS1_30default_config_static_selectorELNS0_4arch9wavefront6targetE1EEEvT1_
    .private_segment_fixed_size: 0
    .sgpr_count:     12
    .sgpr_spill_count: 0
    .symbol:         _ZN7rocprim17ROCPRIM_400000_NS6detail17trampoline_kernelINS0_14default_configENS1_20scan_config_selectorIjEEZZNS1_9scan_implILNS1_25lookback_scan_determinismE0ELb1ELb1ES3_N6thrust23THRUST_200600_302600_NS6detail15normal_iteratorINS9_10device_ptrIjEEEENS9_16discard_iteratorINS9_11use_defaultEEEjNS9_4plusIvEEjEEDaPvRmT3_T4_T5_mT6_P12ihipStream_tbENKUlT_T0_E_clISt17integral_constantIbLb0EESX_EEDaSS_ST_EUlSS_E0_NS1_11comp_targetILNS1_3genE4ELNS1_11target_archE910ELNS1_3gpuE8ELNS1_3repE0EEENS1_30default_config_static_selectorELNS0_4arch9wavefront6targetE1EEEvT1_.kd
    .uniform_work_group_size: 1
    .uses_dynamic_stack: false
    .vgpr_count:     18
    .vgpr_spill_count: 0
    .wavefront_size: 64
  - .agpr_count:     0
    .args:
      - .offset:         0
        .size:           40
        .value_kind:     by_value
    .group_segment_fixed_size: 0
    .kernarg_segment_align: 8
    .kernarg_segment_size: 40
    .language:       OpenCL C
    .language_version:
      - 2
      - 0
    .max_flat_workgroup_size: 256
    .name:           _ZN7rocprim17ROCPRIM_400000_NS6detail17trampoline_kernelINS0_14default_configENS1_20scan_config_selectorIjEEZZNS1_9scan_implILNS1_25lookback_scan_determinismE0ELb1ELb1ES3_N6thrust23THRUST_200600_302600_NS6detail15normal_iteratorINS9_10device_ptrIjEEEENS9_16discard_iteratorINS9_11use_defaultEEEjNS9_4plusIvEEjEEDaPvRmT3_T4_T5_mT6_P12ihipStream_tbENKUlT_T0_E_clISt17integral_constantIbLb0EESX_EEDaSS_ST_EUlSS_E0_NS1_11comp_targetILNS1_3genE3ELNS1_11target_archE908ELNS1_3gpuE7ELNS1_3repE0EEENS1_30default_config_static_selectorELNS0_4arch9wavefront6targetE1EEEvT1_
    .private_segment_fixed_size: 0
    .sgpr_count:     4
    .sgpr_spill_count: 0
    .symbol:         _ZN7rocprim17ROCPRIM_400000_NS6detail17trampoline_kernelINS0_14default_configENS1_20scan_config_selectorIjEEZZNS1_9scan_implILNS1_25lookback_scan_determinismE0ELb1ELb1ES3_N6thrust23THRUST_200600_302600_NS6detail15normal_iteratorINS9_10device_ptrIjEEEENS9_16discard_iteratorINS9_11use_defaultEEEjNS9_4plusIvEEjEEDaPvRmT3_T4_T5_mT6_P12ihipStream_tbENKUlT_T0_E_clISt17integral_constantIbLb0EESX_EEDaSS_ST_EUlSS_E0_NS1_11comp_targetILNS1_3genE3ELNS1_11target_archE908ELNS1_3gpuE7ELNS1_3repE0EEENS1_30default_config_static_selectorELNS0_4arch9wavefront6targetE1EEEvT1_.kd
    .uniform_work_group_size: 1
    .uses_dynamic_stack: false
    .vgpr_count:     0
    .vgpr_spill_count: 0
    .wavefront_size: 64
  - .agpr_count:     0
    .args:
      - .offset:         0
        .size:           40
        .value_kind:     by_value
    .group_segment_fixed_size: 0
    .kernarg_segment_align: 8
    .kernarg_segment_size: 40
    .language:       OpenCL C
    .language_version:
      - 2
      - 0
    .max_flat_workgroup_size: 256
    .name:           _ZN7rocprim17ROCPRIM_400000_NS6detail17trampoline_kernelINS0_14default_configENS1_20scan_config_selectorIjEEZZNS1_9scan_implILNS1_25lookback_scan_determinismE0ELb1ELb1ES3_N6thrust23THRUST_200600_302600_NS6detail15normal_iteratorINS9_10device_ptrIjEEEENS9_16discard_iteratorINS9_11use_defaultEEEjNS9_4plusIvEEjEEDaPvRmT3_T4_T5_mT6_P12ihipStream_tbENKUlT_T0_E_clISt17integral_constantIbLb0EESX_EEDaSS_ST_EUlSS_E0_NS1_11comp_targetILNS1_3genE2ELNS1_11target_archE906ELNS1_3gpuE6ELNS1_3repE0EEENS1_30default_config_static_selectorELNS0_4arch9wavefront6targetE1EEEvT1_
    .private_segment_fixed_size: 0
    .sgpr_count:     4
    .sgpr_spill_count: 0
    .symbol:         _ZN7rocprim17ROCPRIM_400000_NS6detail17trampoline_kernelINS0_14default_configENS1_20scan_config_selectorIjEEZZNS1_9scan_implILNS1_25lookback_scan_determinismE0ELb1ELb1ES3_N6thrust23THRUST_200600_302600_NS6detail15normal_iteratorINS9_10device_ptrIjEEEENS9_16discard_iteratorINS9_11use_defaultEEEjNS9_4plusIvEEjEEDaPvRmT3_T4_T5_mT6_P12ihipStream_tbENKUlT_T0_E_clISt17integral_constantIbLb0EESX_EEDaSS_ST_EUlSS_E0_NS1_11comp_targetILNS1_3genE2ELNS1_11target_archE906ELNS1_3gpuE6ELNS1_3repE0EEENS1_30default_config_static_selectorELNS0_4arch9wavefront6targetE1EEEvT1_.kd
    .uniform_work_group_size: 1
    .uses_dynamic_stack: false
    .vgpr_count:     0
    .vgpr_spill_count: 0
    .wavefront_size: 64
  - .agpr_count:     0
    .args:
      - .offset:         0
        .size:           40
        .value_kind:     by_value
    .group_segment_fixed_size: 0
    .kernarg_segment_align: 8
    .kernarg_segment_size: 40
    .language:       OpenCL C
    .language_version:
      - 2
      - 0
    .max_flat_workgroup_size: 256
    .name:           _ZN7rocprim17ROCPRIM_400000_NS6detail17trampoline_kernelINS0_14default_configENS1_20scan_config_selectorIjEEZZNS1_9scan_implILNS1_25lookback_scan_determinismE0ELb1ELb1ES3_N6thrust23THRUST_200600_302600_NS6detail15normal_iteratorINS9_10device_ptrIjEEEENS9_16discard_iteratorINS9_11use_defaultEEEjNS9_4plusIvEEjEEDaPvRmT3_T4_T5_mT6_P12ihipStream_tbENKUlT_T0_E_clISt17integral_constantIbLb0EESX_EEDaSS_ST_EUlSS_E0_NS1_11comp_targetILNS1_3genE10ELNS1_11target_archE1201ELNS1_3gpuE5ELNS1_3repE0EEENS1_30default_config_static_selectorELNS0_4arch9wavefront6targetE1EEEvT1_
    .private_segment_fixed_size: 0
    .sgpr_count:     4
    .sgpr_spill_count: 0
    .symbol:         _ZN7rocprim17ROCPRIM_400000_NS6detail17trampoline_kernelINS0_14default_configENS1_20scan_config_selectorIjEEZZNS1_9scan_implILNS1_25lookback_scan_determinismE0ELb1ELb1ES3_N6thrust23THRUST_200600_302600_NS6detail15normal_iteratorINS9_10device_ptrIjEEEENS9_16discard_iteratorINS9_11use_defaultEEEjNS9_4plusIvEEjEEDaPvRmT3_T4_T5_mT6_P12ihipStream_tbENKUlT_T0_E_clISt17integral_constantIbLb0EESX_EEDaSS_ST_EUlSS_E0_NS1_11comp_targetILNS1_3genE10ELNS1_11target_archE1201ELNS1_3gpuE5ELNS1_3repE0EEENS1_30default_config_static_selectorELNS0_4arch9wavefront6targetE1EEEvT1_.kd
    .uniform_work_group_size: 1
    .uses_dynamic_stack: false
    .vgpr_count:     0
    .vgpr_spill_count: 0
    .wavefront_size: 64
  - .agpr_count:     0
    .args:
      - .offset:         0
        .size:           40
        .value_kind:     by_value
    .group_segment_fixed_size: 0
    .kernarg_segment_align: 8
    .kernarg_segment_size: 40
    .language:       OpenCL C
    .language_version:
      - 2
      - 0
    .max_flat_workgroup_size: 256
    .name:           _ZN7rocprim17ROCPRIM_400000_NS6detail17trampoline_kernelINS0_14default_configENS1_20scan_config_selectorIjEEZZNS1_9scan_implILNS1_25lookback_scan_determinismE0ELb1ELb1ES3_N6thrust23THRUST_200600_302600_NS6detail15normal_iteratorINS9_10device_ptrIjEEEENS9_16discard_iteratorINS9_11use_defaultEEEjNS9_4plusIvEEjEEDaPvRmT3_T4_T5_mT6_P12ihipStream_tbENKUlT_T0_E_clISt17integral_constantIbLb0EESX_EEDaSS_ST_EUlSS_E0_NS1_11comp_targetILNS1_3genE10ELNS1_11target_archE1200ELNS1_3gpuE4ELNS1_3repE0EEENS1_30default_config_static_selectorELNS0_4arch9wavefront6targetE1EEEvT1_
    .private_segment_fixed_size: 0
    .sgpr_count:     4
    .sgpr_spill_count: 0
    .symbol:         _ZN7rocprim17ROCPRIM_400000_NS6detail17trampoline_kernelINS0_14default_configENS1_20scan_config_selectorIjEEZZNS1_9scan_implILNS1_25lookback_scan_determinismE0ELb1ELb1ES3_N6thrust23THRUST_200600_302600_NS6detail15normal_iteratorINS9_10device_ptrIjEEEENS9_16discard_iteratorINS9_11use_defaultEEEjNS9_4plusIvEEjEEDaPvRmT3_T4_T5_mT6_P12ihipStream_tbENKUlT_T0_E_clISt17integral_constantIbLb0EESX_EEDaSS_ST_EUlSS_E0_NS1_11comp_targetILNS1_3genE10ELNS1_11target_archE1200ELNS1_3gpuE4ELNS1_3repE0EEENS1_30default_config_static_selectorELNS0_4arch9wavefront6targetE1EEEvT1_.kd
    .uniform_work_group_size: 1
    .uses_dynamic_stack: false
    .vgpr_count:     0
    .vgpr_spill_count: 0
    .wavefront_size: 64
  - .agpr_count:     0
    .args:
      - .offset:         0
        .size:           40
        .value_kind:     by_value
    .group_segment_fixed_size: 0
    .kernarg_segment_align: 8
    .kernarg_segment_size: 40
    .language:       OpenCL C
    .language_version:
      - 2
      - 0
    .max_flat_workgroup_size: 256
    .name:           _ZN7rocprim17ROCPRIM_400000_NS6detail17trampoline_kernelINS0_14default_configENS1_20scan_config_selectorIjEEZZNS1_9scan_implILNS1_25lookback_scan_determinismE0ELb1ELb1ES3_N6thrust23THRUST_200600_302600_NS6detail15normal_iteratorINS9_10device_ptrIjEEEENS9_16discard_iteratorINS9_11use_defaultEEEjNS9_4plusIvEEjEEDaPvRmT3_T4_T5_mT6_P12ihipStream_tbENKUlT_T0_E_clISt17integral_constantIbLb0EESX_EEDaSS_ST_EUlSS_E0_NS1_11comp_targetILNS1_3genE9ELNS1_11target_archE1100ELNS1_3gpuE3ELNS1_3repE0EEENS1_30default_config_static_selectorELNS0_4arch9wavefront6targetE1EEEvT1_
    .private_segment_fixed_size: 0
    .sgpr_count:     4
    .sgpr_spill_count: 0
    .symbol:         _ZN7rocprim17ROCPRIM_400000_NS6detail17trampoline_kernelINS0_14default_configENS1_20scan_config_selectorIjEEZZNS1_9scan_implILNS1_25lookback_scan_determinismE0ELb1ELb1ES3_N6thrust23THRUST_200600_302600_NS6detail15normal_iteratorINS9_10device_ptrIjEEEENS9_16discard_iteratorINS9_11use_defaultEEEjNS9_4plusIvEEjEEDaPvRmT3_T4_T5_mT6_P12ihipStream_tbENKUlT_T0_E_clISt17integral_constantIbLb0EESX_EEDaSS_ST_EUlSS_E0_NS1_11comp_targetILNS1_3genE9ELNS1_11target_archE1100ELNS1_3gpuE3ELNS1_3repE0EEENS1_30default_config_static_selectorELNS0_4arch9wavefront6targetE1EEEvT1_.kd
    .uniform_work_group_size: 1
    .uses_dynamic_stack: false
    .vgpr_count:     0
    .vgpr_spill_count: 0
    .wavefront_size: 64
  - .agpr_count:     0
    .args:
      - .offset:         0
        .size:           40
        .value_kind:     by_value
    .group_segment_fixed_size: 0
    .kernarg_segment_align: 8
    .kernarg_segment_size: 40
    .language:       OpenCL C
    .language_version:
      - 2
      - 0
    .max_flat_workgroup_size: 64
    .name:           _ZN7rocprim17ROCPRIM_400000_NS6detail17trampoline_kernelINS0_14default_configENS1_20scan_config_selectorIjEEZZNS1_9scan_implILNS1_25lookback_scan_determinismE0ELb1ELb1ES3_N6thrust23THRUST_200600_302600_NS6detail15normal_iteratorINS9_10device_ptrIjEEEENS9_16discard_iteratorINS9_11use_defaultEEEjNS9_4plusIvEEjEEDaPvRmT3_T4_T5_mT6_P12ihipStream_tbENKUlT_T0_E_clISt17integral_constantIbLb0EESX_EEDaSS_ST_EUlSS_E0_NS1_11comp_targetILNS1_3genE8ELNS1_11target_archE1030ELNS1_3gpuE2ELNS1_3repE0EEENS1_30default_config_static_selectorELNS0_4arch9wavefront6targetE1EEEvT1_
    .private_segment_fixed_size: 0
    .sgpr_count:     4
    .sgpr_spill_count: 0
    .symbol:         _ZN7rocprim17ROCPRIM_400000_NS6detail17trampoline_kernelINS0_14default_configENS1_20scan_config_selectorIjEEZZNS1_9scan_implILNS1_25lookback_scan_determinismE0ELb1ELb1ES3_N6thrust23THRUST_200600_302600_NS6detail15normal_iteratorINS9_10device_ptrIjEEEENS9_16discard_iteratorINS9_11use_defaultEEEjNS9_4plusIvEEjEEDaPvRmT3_T4_T5_mT6_P12ihipStream_tbENKUlT_T0_E_clISt17integral_constantIbLb0EESX_EEDaSS_ST_EUlSS_E0_NS1_11comp_targetILNS1_3genE8ELNS1_11target_archE1030ELNS1_3gpuE2ELNS1_3repE0EEENS1_30default_config_static_selectorELNS0_4arch9wavefront6targetE1EEEvT1_.kd
    .uniform_work_group_size: 1
    .uses_dynamic_stack: false
    .vgpr_count:     0
    .vgpr_spill_count: 0
    .wavefront_size: 64
  - .agpr_count:     0
    .args:
      - .offset:         0
        .size:           104
        .value_kind:     by_value
    .group_segment_fixed_size: 0
    .kernarg_segment_align: 8
    .kernarg_segment_size: 104
    .language:       OpenCL C
    .language_version:
      - 2
      - 0
    .max_flat_workgroup_size: 256
    .name:           _ZN7rocprim17ROCPRIM_400000_NS6detail17trampoline_kernelINS0_14default_configENS1_20scan_config_selectorIjEEZZNS1_9scan_implILNS1_25lookback_scan_determinismE0ELb1ELb1ES3_N6thrust23THRUST_200600_302600_NS6detail15normal_iteratorINS9_10device_ptrIjEEEENS9_16discard_iteratorINS9_11use_defaultEEEjNS9_4plusIvEEjEEDaPvRmT3_T4_T5_mT6_P12ihipStream_tbENKUlT_T0_E_clISt17integral_constantIbLb1EESX_EEDaSS_ST_EUlSS_E_NS1_11comp_targetILNS1_3genE0ELNS1_11target_archE4294967295ELNS1_3gpuE0ELNS1_3repE0EEENS1_30default_config_static_selectorELNS0_4arch9wavefront6targetE1EEEvT1_
    .private_segment_fixed_size: 0
    .sgpr_count:     4
    .sgpr_spill_count: 0
    .symbol:         _ZN7rocprim17ROCPRIM_400000_NS6detail17trampoline_kernelINS0_14default_configENS1_20scan_config_selectorIjEEZZNS1_9scan_implILNS1_25lookback_scan_determinismE0ELb1ELb1ES3_N6thrust23THRUST_200600_302600_NS6detail15normal_iteratorINS9_10device_ptrIjEEEENS9_16discard_iteratorINS9_11use_defaultEEEjNS9_4plusIvEEjEEDaPvRmT3_T4_T5_mT6_P12ihipStream_tbENKUlT_T0_E_clISt17integral_constantIbLb1EESX_EEDaSS_ST_EUlSS_E_NS1_11comp_targetILNS1_3genE0ELNS1_11target_archE4294967295ELNS1_3gpuE0ELNS1_3repE0EEENS1_30default_config_static_selectorELNS0_4arch9wavefront6targetE1EEEvT1_.kd
    .uniform_work_group_size: 1
    .uses_dynamic_stack: false
    .vgpr_count:     0
    .vgpr_spill_count: 0
    .wavefront_size: 64
  - .agpr_count:     0
    .args:
      - .offset:         0
        .size:           104
        .value_kind:     by_value
    .group_segment_fixed_size: 0
    .kernarg_segment_align: 8
    .kernarg_segment_size: 104
    .language:       OpenCL C
    .language_version:
      - 2
      - 0
    .max_flat_workgroup_size: 256
    .name:           _ZN7rocprim17ROCPRIM_400000_NS6detail17trampoline_kernelINS0_14default_configENS1_20scan_config_selectorIjEEZZNS1_9scan_implILNS1_25lookback_scan_determinismE0ELb1ELb1ES3_N6thrust23THRUST_200600_302600_NS6detail15normal_iteratorINS9_10device_ptrIjEEEENS9_16discard_iteratorINS9_11use_defaultEEEjNS9_4plusIvEEjEEDaPvRmT3_T4_T5_mT6_P12ihipStream_tbENKUlT_T0_E_clISt17integral_constantIbLb1EESX_EEDaSS_ST_EUlSS_E_NS1_11comp_targetILNS1_3genE5ELNS1_11target_archE942ELNS1_3gpuE9ELNS1_3repE0EEENS1_30default_config_static_selectorELNS0_4arch9wavefront6targetE1EEEvT1_
    .private_segment_fixed_size: 0
    .sgpr_count:     4
    .sgpr_spill_count: 0
    .symbol:         _ZN7rocprim17ROCPRIM_400000_NS6detail17trampoline_kernelINS0_14default_configENS1_20scan_config_selectorIjEEZZNS1_9scan_implILNS1_25lookback_scan_determinismE0ELb1ELb1ES3_N6thrust23THRUST_200600_302600_NS6detail15normal_iteratorINS9_10device_ptrIjEEEENS9_16discard_iteratorINS9_11use_defaultEEEjNS9_4plusIvEEjEEDaPvRmT3_T4_T5_mT6_P12ihipStream_tbENKUlT_T0_E_clISt17integral_constantIbLb1EESX_EEDaSS_ST_EUlSS_E_NS1_11comp_targetILNS1_3genE5ELNS1_11target_archE942ELNS1_3gpuE9ELNS1_3repE0EEENS1_30default_config_static_selectorELNS0_4arch9wavefront6targetE1EEEvT1_.kd
    .uniform_work_group_size: 1
    .uses_dynamic_stack: false
    .vgpr_count:     0
    .vgpr_spill_count: 0
    .wavefront_size: 64
  - .agpr_count:     0
    .args:
      - .offset:         0
        .size:           104
        .value_kind:     by_value
    .group_segment_fixed_size: 5120
    .kernarg_segment_align: 8
    .kernarg_segment_size: 104
    .language:       OpenCL C
    .language_version:
      - 2
      - 0
    .max_flat_workgroup_size: 128
    .name:           _ZN7rocprim17ROCPRIM_400000_NS6detail17trampoline_kernelINS0_14default_configENS1_20scan_config_selectorIjEEZZNS1_9scan_implILNS1_25lookback_scan_determinismE0ELb1ELb1ES3_N6thrust23THRUST_200600_302600_NS6detail15normal_iteratorINS9_10device_ptrIjEEEENS9_16discard_iteratorINS9_11use_defaultEEEjNS9_4plusIvEEjEEDaPvRmT3_T4_T5_mT6_P12ihipStream_tbENKUlT_T0_E_clISt17integral_constantIbLb1EESX_EEDaSS_ST_EUlSS_E_NS1_11comp_targetILNS1_3genE4ELNS1_11target_archE910ELNS1_3gpuE8ELNS1_3repE0EEENS1_30default_config_static_selectorELNS0_4arch9wavefront6targetE1EEEvT1_
    .private_segment_fixed_size: 0
    .sgpr_count:     40
    .sgpr_spill_count: 0
    .symbol:         _ZN7rocprim17ROCPRIM_400000_NS6detail17trampoline_kernelINS0_14default_configENS1_20scan_config_selectorIjEEZZNS1_9scan_implILNS1_25lookback_scan_determinismE0ELb1ELb1ES3_N6thrust23THRUST_200600_302600_NS6detail15normal_iteratorINS9_10device_ptrIjEEEENS9_16discard_iteratorINS9_11use_defaultEEEjNS9_4plusIvEEjEEDaPvRmT3_T4_T5_mT6_P12ihipStream_tbENKUlT_T0_E_clISt17integral_constantIbLb1EESX_EEDaSS_ST_EUlSS_E_NS1_11comp_targetILNS1_3genE4ELNS1_11target_archE910ELNS1_3gpuE8ELNS1_3repE0EEENS1_30default_config_static_selectorELNS0_4arch9wavefront6targetE1EEEvT1_.kd
    .uniform_work_group_size: 1
    .uses_dynamic_stack: false
    .vgpr_count:     40
    .vgpr_spill_count: 0
    .wavefront_size: 64
  - .agpr_count:     0
    .args:
      - .offset:         0
        .size:           104
        .value_kind:     by_value
    .group_segment_fixed_size: 0
    .kernarg_segment_align: 8
    .kernarg_segment_size: 104
    .language:       OpenCL C
    .language_version:
      - 2
      - 0
    .max_flat_workgroup_size: 256
    .name:           _ZN7rocprim17ROCPRIM_400000_NS6detail17trampoline_kernelINS0_14default_configENS1_20scan_config_selectorIjEEZZNS1_9scan_implILNS1_25lookback_scan_determinismE0ELb1ELb1ES3_N6thrust23THRUST_200600_302600_NS6detail15normal_iteratorINS9_10device_ptrIjEEEENS9_16discard_iteratorINS9_11use_defaultEEEjNS9_4plusIvEEjEEDaPvRmT3_T4_T5_mT6_P12ihipStream_tbENKUlT_T0_E_clISt17integral_constantIbLb1EESX_EEDaSS_ST_EUlSS_E_NS1_11comp_targetILNS1_3genE3ELNS1_11target_archE908ELNS1_3gpuE7ELNS1_3repE0EEENS1_30default_config_static_selectorELNS0_4arch9wavefront6targetE1EEEvT1_
    .private_segment_fixed_size: 0
    .sgpr_count:     4
    .sgpr_spill_count: 0
    .symbol:         _ZN7rocprim17ROCPRIM_400000_NS6detail17trampoline_kernelINS0_14default_configENS1_20scan_config_selectorIjEEZZNS1_9scan_implILNS1_25lookback_scan_determinismE0ELb1ELb1ES3_N6thrust23THRUST_200600_302600_NS6detail15normal_iteratorINS9_10device_ptrIjEEEENS9_16discard_iteratorINS9_11use_defaultEEEjNS9_4plusIvEEjEEDaPvRmT3_T4_T5_mT6_P12ihipStream_tbENKUlT_T0_E_clISt17integral_constantIbLb1EESX_EEDaSS_ST_EUlSS_E_NS1_11comp_targetILNS1_3genE3ELNS1_11target_archE908ELNS1_3gpuE7ELNS1_3repE0EEENS1_30default_config_static_selectorELNS0_4arch9wavefront6targetE1EEEvT1_.kd
    .uniform_work_group_size: 1
    .uses_dynamic_stack: false
    .vgpr_count:     0
    .vgpr_spill_count: 0
    .wavefront_size: 64
  - .agpr_count:     0
    .args:
      - .offset:         0
        .size:           104
        .value_kind:     by_value
    .group_segment_fixed_size: 0
    .kernarg_segment_align: 8
    .kernarg_segment_size: 104
    .language:       OpenCL C
    .language_version:
      - 2
      - 0
    .max_flat_workgroup_size: 256
    .name:           _ZN7rocprim17ROCPRIM_400000_NS6detail17trampoline_kernelINS0_14default_configENS1_20scan_config_selectorIjEEZZNS1_9scan_implILNS1_25lookback_scan_determinismE0ELb1ELb1ES3_N6thrust23THRUST_200600_302600_NS6detail15normal_iteratorINS9_10device_ptrIjEEEENS9_16discard_iteratorINS9_11use_defaultEEEjNS9_4plusIvEEjEEDaPvRmT3_T4_T5_mT6_P12ihipStream_tbENKUlT_T0_E_clISt17integral_constantIbLb1EESX_EEDaSS_ST_EUlSS_E_NS1_11comp_targetILNS1_3genE2ELNS1_11target_archE906ELNS1_3gpuE6ELNS1_3repE0EEENS1_30default_config_static_selectorELNS0_4arch9wavefront6targetE1EEEvT1_
    .private_segment_fixed_size: 0
    .sgpr_count:     4
    .sgpr_spill_count: 0
    .symbol:         _ZN7rocprim17ROCPRIM_400000_NS6detail17trampoline_kernelINS0_14default_configENS1_20scan_config_selectorIjEEZZNS1_9scan_implILNS1_25lookback_scan_determinismE0ELb1ELb1ES3_N6thrust23THRUST_200600_302600_NS6detail15normal_iteratorINS9_10device_ptrIjEEEENS9_16discard_iteratorINS9_11use_defaultEEEjNS9_4plusIvEEjEEDaPvRmT3_T4_T5_mT6_P12ihipStream_tbENKUlT_T0_E_clISt17integral_constantIbLb1EESX_EEDaSS_ST_EUlSS_E_NS1_11comp_targetILNS1_3genE2ELNS1_11target_archE906ELNS1_3gpuE6ELNS1_3repE0EEENS1_30default_config_static_selectorELNS0_4arch9wavefront6targetE1EEEvT1_.kd
    .uniform_work_group_size: 1
    .uses_dynamic_stack: false
    .vgpr_count:     0
    .vgpr_spill_count: 0
    .wavefront_size: 64
  - .agpr_count:     0
    .args:
      - .offset:         0
        .size:           104
        .value_kind:     by_value
    .group_segment_fixed_size: 0
    .kernarg_segment_align: 8
    .kernarg_segment_size: 104
    .language:       OpenCL C
    .language_version:
      - 2
      - 0
    .max_flat_workgroup_size: 256
    .name:           _ZN7rocprim17ROCPRIM_400000_NS6detail17trampoline_kernelINS0_14default_configENS1_20scan_config_selectorIjEEZZNS1_9scan_implILNS1_25lookback_scan_determinismE0ELb1ELb1ES3_N6thrust23THRUST_200600_302600_NS6detail15normal_iteratorINS9_10device_ptrIjEEEENS9_16discard_iteratorINS9_11use_defaultEEEjNS9_4plusIvEEjEEDaPvRmT3_T4_T5_mT6_P12ihipStream_tbENKUlT_T0_E_clISt17integral_constantIbLb1EESX_EEDaSS_ST_EUlSS_E_NS1_11comp_targetILNS1_3genE10ELNS1_11target_archE1201ELNS1_3gpuE5ELNS1_3repE0EEENS1_30default_config_static_selectorELNS0_4arch9wavefront6targetE1EEEvT1_
    .private_segment_fixed_size: 0
    .sgpr_count:     4
    .sgpr_spill_count: 0
    .symbol:         _ZN7rocprim17ROCPRIM_400000_NS6detail17trampoline_kernelINS0_14default_configENS1_20scan_config_selectorIjEEZZNS1_9scan_implILNS1_25lookback_scan_determinismE0ELb1ELb1ES3_N6thrust23THRUST_200600_302600_NS6detail15normal_iteratorINS9_10device_ptrIjEEEENS9_16discard_iteratorINS9_11use_defaultEEEjNS9_4plusIvEEjEEDaPvRmT3_T4_T5_mT6_P12ihipStream_tbENKUlT_T0_E_clISt17integral_constantIbLb1EESX_EEDaSS_ST_EUlSS_E_NS1_11comp_targetILNS1_3genE10ELNS1_11target_archE1201ELNS1_3gpuE5ELNS1_3repE0EEENS1_30default_config_static_selectorELNS0_4arch9wavefront6targetE1EEEvT1_.kd
    .uniform_work_group_size: 1
    .uses_dynamic_stack: false
    .vgpr_count:     0
    .vgpr_spill_count: 0
    .wavefront_size: 64
  - .agpr_count:     0
    .args:
      - .offset:         0
        .size:           104
        .value_kind:     by_value
    .group_segment_fixed_size: 0
    .kernarg_segment_align: 8
    .kernarg_segment_size: 104
    .language:       OpenCL C
    .language_version:
      - 2
      - 0
    .max_flat_workgroup_size: 256
    .name:           _ZN7rocprim17ROCPRIM_400000_NS6detail17trampoline_kernelINS0_14default_configENS1_20scan_config_selectorIjEEZZNS1_9scan_implILNS1_25lookback_scan_determinismE0ELb1ELb1ES3_N6thrust23THRUST_200600_302600_NS6detail15normal_iteratorINS9_10device_ptrIjEEEENS9_16discard_iteratorINS9_11use_defaultEEEjNS9_4plusIvEEjEEDaPvRmT3_T4_T5_mT6_P12ihipStream_tbENKUlT_T0_E_clISt17integral_constantIbLb1EESX_EEDaSS_ST_EUlSS_E_NS1_11comp_targetILNS1_3genE10ELNS1_11target_archE1200ELNS1_3gpuE4ELNS1_3repE0EEENS1_30default_config_static_selectorELNS0_4arch9wavefront6targetE1EEEvT1_
    .private_segment_fixed_size: 0
    .sgpr_count:     4
    .sgpr_spill_count: 0
    .symbol:         _ZN7rocprim17ROCPRIM_400000_NS6detail17trampoline_kernelINS0_14default_configENS1_20scan_config_selectorIjEEZZNS1_9scan_implILNS1_25lookback_scan_determinismE0ELb1ELb1ES3_N6thrust23THRUST_200600_302600_NS6detail15normal_iteratorINS9_10device_ptrIjEEEENS9_16discard_iteratorINS9_11use_defaultEEEjNS9_4plusIvEEjEEDaPvRmT3_T4_T5_mT6_P12ihipStream_tbENKUlT_T0_E_clISt17integral_constantIbLb1EESX_EEDaSS_ST_EUlSS_E_NS1_11comp_targetILNS1_3genE10ELNS1_11target_archE1200ELNS1_3gpuE4ELNS1_3repE0EEENS1_30default_config_static_selectorELNS0_4arch9wavefront6targetE1EEEvT1_.kd
    .uniform_work_group_size: 1
    .uses_dynamic_stack: false
    .vgpr_count:     0
    .vgpr_spill_count: 0
    .wavefront_size: 64
  - .agpr_count:     0
    .args:
      - .offset:         0
        .size:           104
        .value_kind:     by_value
    .group_segment_fixed_size: 0
    .kernarg_segment_align: 8
    .kernarg_segment_size: 104
    .language:       OpenCL C
    .language_version:
      - 2
      - 0
    .max_flat_workgroup_size: 256
    .name:           _ZN7rocprim17ROCPRIM_400000_NS6detail17trampoline_kernelINS0_14default_configENS1_20scan_config_selectorIjEEZZNS1_9scan_implILNS1_25lookback_scan_determinismE0ELb1ELb1ES3_N6thrust23THRUST_200600_302600_NS6detail15normal_iteratorINS9_10device_ptrIjEEEENS9_16discard_iteratorINS9_11use_defaultEEEjNS9_4plusIvEEjEEDaPvRmT3_T4_T5_mT6_P12ihipStream_tbENKUlT_T0_E_clISt17integral_constantIbLb1EESX_EEDaSS_ST_EUlSS_E_NS1_11comp_targetILNS1_3genE9ELNS1_11target_archE1100ELNS1_3gpuE3ELNS1_3repE0EEENS1_30default_config_static_selectorELNS0_4arch9wavefront6targetE1EEEvT1_
    .private_segment_fixed_size: 0
    .sgpr_count:     4
    .sgpr_spill_count: 0
    .symbol:         _ZN7rocprim17ROCPRIM_400000_NS6detail17trampoline_kernelINS0_14default_configENS1_20scan_config_selectorIjEEZZNS1_9scan_implILNS1_25lookback_scan_determinismE0ELb1ELb1ES3_N6thrust23THRUST_200600_302600_NS6detail15normal_iteratorINS9_10device_ptrIjEEEENS9_16discard_iteratorINS9_11use_defaultEEEjNS9_4plusIvEEjEEDaPvRmT3_T4_T5_mT6_P12ihipStream_tbENKUlT_T0_E_clISt17integral_constantIbLb1EESX_EEDaSS_ST_EUlSS_E_NS1_11comp_targetILNS1_3genE9ELNS1_11target_archE1100ELNS1_3gpuE3ELNS1_3repE0EEENS1_30default_config_static_selectorELNS0_4arch9wavefront6targetE1EEEvT1_.kd
    .uniform_work_group_size: 1
    .uses_dynamic_stack: false
    .vgpr_count:     0
    .vgpr_spill_count: 0
    .wavefront_size: 64
  - .agpr_count:     0
    .args:
      - .offset:         0
        .size:           104
        .value_kind:     by_value
    .group_segment_fixed_size: 0
    .kernarg_segment_align: 8
    .kernarg_segment_size: 104
    .language:       OpenCL C
    .language_version:
      - 2
      - 0
    .max_flat_workgroup_size: 64
    .name:           _ZN7rocprim17ROCPRIM_400000_NS6detail17trampoline_kernelINS0_14default_configENS1_20scan_config_selectorIjEEZZNS1_9scan_implILNS1_25lookback_scan_determinismE0ELb1ELb1ES3_N6thrust23THRUST_200600_302600_NS6detail15normal_iteratorINS9_10device_ptrIjEEEENS9_16discard_iteratorINS9_11use_defaultEEEjNS9_4plusIvEEjEEDaPvRmT3_T4_T5_mT6_P12ihipStream_tbENKUlT_T0_E_clISt17integral_constantIbLb1EESX_EEDaSS_ST_EUlSS_E_NS1_11comp_targetILNS1_3genE8ELNS1_11target_archE1030ELNS1_3gpuE2ELNS1_3repE0EEENS1_30default_config_static_selectorELNS0_4arch9wavefront6targetE1EEEvT1_
    .private_segment_fixed_size: 0
    .sgpr_count:     4
    .sgpr_spill_count: 0
    .symbol:         _ZN7rocprim17ROCPRIM_400000_NS6detail17trampoline_kernelINS0_14default_configENS1_20scan_config_selectorIjEEZZNS1_9scan_implILNS1_25lookback_scan_determinismE0ELb1ELb1ES3_N6thrust23THRUST_200600_302600_NS6detail15normal_iteratorINS9_10device_ptrIjEEEENS9_16discard_iteratorINS9_11use_defaultEEEjNS9_4plusIvEEjEEDaPvRmT3_T4_T5_mT6_P12ihipStream_tbENKUlT_T0_E_clISt17integral_constantIbLb1EESX_EEDaSS_ST_EUlSS_E_NS1_11comp_targetILNS1_3genE8ELNS1_11target_archE1030ELNS1_3gpuE2ELNS1_3repE0EEENS1_30default_config_static_selectorELNS0_4arch9wavefront6targetE1EEEvT1_.kd
    .uniform_work_group_size: 1
    .uses_dynamic_stack: false
    .vgpr_count:     0
    .vgpr_spill_count: 0
    .wavefront_size: 64
  - .agpr_count:     0
    .args:
      - .offset:         0
        .size:           40
        .value_kind:     by_value
    .group_segment_fixed_size: 0
    .kernarg_segment_align: 8
    .kernarg_segment_size: 40
    .language:       OpenCL C
    .language_version:
      - 2
      - 0
    .max_flat_workgroup_size: 256
    .name:           _ZN7rocprim17ROCPRIM_400000_NS6detail17trampoline_kernelINS0_14default_configENS1_20scan_config_selectorIjEEZZNS1_9scan_implILNS1_25lookback_scan_determinismE0ELb1ELb1ES3_N6thrust23THRUST_200600_302600_NS6detail15normal_iteratorINS9_10device_ptrIjEEEENS9_16discard_iteratorINS9_11use_defaultEEEjNS9_4plusIvEEjEEDaPvRmT3_T4_T5_mT6_P12ihipStream_tbENKUlT_T0_E_clISt17integral_constantIbLb1EESX_EEDaSS_ST_EUlSS_E0_NS1_11comp_targetILNS1_3genE0ELNS1_11target_archE4294967295ELNS1_3gpuE0ELNS1_3repE0EEENS1_30default_config_static_selectorELNS0_4arch9wavefront6targetE1EEEvT1_
    .private_segment_fixed_size: 0
    .sgpr_count:     4
    .sgpr_spill_count: 0
    .symbol:         _ZN7rocprim17ROCPRIM_400000_NS6detail17trampoline_kernelINS0_14default_configENS1_20scan_config_selectorIjEEZZNS1_9scan_implILNS1_25lookback_scan_determinismE0ELb1ELb1ES3_N6thrust23THRUST_200600_302600_NS6detail15normal_iteratorINS9_10device_ptrIjEEEENS9_16discard_iteratorINS9_11use_defaultEEEjNS9_4plusIvEEjEEDaPvRmT3_T4_T5_mT6_P12ihipStream_tbENKUlT_T0_E_clISt17integral_constantIbLb1EESX_EEDaSS_ST_EUlSS_E0_NS1_11comp_targetILNS1_3genE0ELNS1_11target_archE4294967295ELNS1_3gpuE0ELNS1_3repE0EEENS1_30default_config_static_selectorELNS0_4arch9wavefront6targetE1EEEvT1_.kd
    .uniform_work_group_size: 1
    .uses_dynamic_stack: false
    .vgpr_count:     0
    .vgpr_spill_count: 0
    .wavefront_size: 64
  - .agpr_count:     0
    .args:
      - .offset:         0
        .size:           40
        .value_kind:     by_value
    .group_segment_fixed_size: 0
    .kernarg_segment_align: 8
    .kernarg_segment_size: 40
    .language:       OpenCL C
    .language_version:
      - 2
      - 0
    .max_flat_workgroup_size: 256
    .name:           _ZN7rocprim17ROCPRIM_400000_NS6detail17trampoline_kernelINS0_14default_configENS1_20scan_config_selectorIjEEZZNS1_9scan_implILNS1_25lookback_scan_determinismE0ELb1ELb1ES3_N6thrust23THRUST_200600_302600_NS6detail15normal_iteratorINS9_10device_ptrIjEEEENS9_16discard_iteratorINS9_11use_defaultEEEjNS9_4plusIvEEjEEDaPvRmT3_T4_T5_mT6_P12ihipStream_tbENKUlT_T0_E_clISt17integral_constantIbLb1EESX_EEDaSS_ST_EUlSS_E0_NS1_11comp_targetILNS1_3genE5ELNS1_11target_archE942ELNS1_3gpuE9ELNS1_3repE0EEENS1_30default_config_static_selectorELNS0_4arch9wavefront6targetE1EEEvT1_
    .private_segment_fixed_size: 0
    .sgpr_count:     4
    .sgpr_spill_count: 0
    .symbol:         _ZN7rocprim17ROCPRIM_400000_NS6detail17trampoline_kernelINS0_14default_configENS1_20scan_config_selectorIjEEZZNS1_9scan_implILNS1_25lookback_scan_determinismE0ELb1ELb1ES3_N6thrust23THRUST_200600_302600_NS6detail15normal_iteratorINS9_10device_ptrIjEEEENS9_16discard_iteratorINS9_11use_defaultEEEjNS9_4plusIvEEjEEDaPvRmT3_T4_T5_mT6_P12ihipStream_tbENKUlT_T0_E_clISt17integral_constantIbLb1EESX_EEDaSS_ST_EUlSS_E0_NS1_11comp_targetILNS1_3genE5ELNS1_11target_archE942ELNS1_3gpuE9ELNS1_3repE0EEENS1_30default_config_static_selectorELNS0_4arch9wavefront6targetE1EEEvT1_.kd
    .uniform_work_group_size: 1
    .uses_dynamic_stack: false
    .vgpr_count:     0
    .vgpr_spill_count: 0
    .wavefront_size: 64
  - .agpr_count:     0
    .args:
      - .offset:         0
        .size:           40
        .value_kind:     by_value
    .group_segment_fixed_size: 5120
    .kernarg_segment_align: 8
    .kernarg_segment_size: 40
    .language:       OpenCL C
    .language_version:
      - 2
      - 0
    .max_flat_workgroup_size: 128
    .name:           _ZN7rocprim17ROCPRIM_400000_NS6detail17trampoline_kernelINS0_14default_configENS1_20scan_config_selectorIjEEZZNS1_9scan_implILNS1_25lookback_scan_determinismE0ELb1ELb1ES3_N6thrust23THRUST_200600_302600_NS6detail15normal_iteratorINS9_10device_ptrIjEEEENS9_16discard_iteratorINS9_11use_defaultEEEjNS9_4plusIvEEjEEDaPvRmT3_T4_T5_mT6_P12ihipStream_tbENKUlT_T0_E_clISt17integral_constantIbLb1EESX_EEDaSS_ST_EUlSS_E0_NS1_11comp_targetILNS1_3genE4ELNS1_11target_archE910ELNS1_3gpuE8ELNS1_3repE0EEENS1_30default_config_static_selectorELNS0_4arch9wavefront6targetE1EEEvT1_
    .private_segment_fixed_size: 0
    .sgpr_count:     12
    .sgpr_spill_count: 0
    .symbol:         _ZN7rocprim17ROCPRIM_400000_NS6detail17trampoline_kernelINS0_14default_configENS1_20scan_config_selectorIjEEZZNS1_9scan_implILNS1_25lookback_scan_determinismE0ELb1ELb1ES3_N6thrust23THRUST_200600_302600_NS6detail15normal_iteratorINS9_10device_ptrIjEEEENS9_16discard_iteratorINS9_11use_defaultEEEjNS9_4plusIvEEjEEDaPvRmT3_T4_T5_mT6_P12ihipStream_tbENKUlT_T0_E_clISt17integral_constantIbLb1EESX_EEDaSS_ST_EUlSS_E0_NS1_11comp_targetILNS1_3genE4ELNS1_11target_archE910ELNS1_3gpuE8ELNS1_3repE0EEENS1_30default_config_static_selectorELNS0_4arch9wavefront6targetE1EEEvT1_.kd
    .uniform_work_group_size: 1
    .uses_dynamic_stack: false
    .vgpr_count:     18
    .vgpr_spill_count: 0
    .wavefront_size: 64
  - .agpr_count:     0
    .args:
      - .offset:         0
        .size:           40
        .value_kind:     by_value
    .group_segment_fixed_size: 0
    .kernarg_segment_align: 8
    .kernarg_segment_size: 40
    .language:       OpenCL C
    .language_version:
      - 2
      - 0
    .max_flat_workgroup_size: 256
    .name:           _ZN7rocprim17ROCPRIM_400000_NS6detail17trampoline_kernelINS0_14default_configENS1_20scan_config_selectorIjEEZZNS1_9scan_implILNS1_25lookback_scan_determinismE0ELb1ELb1ES3_N6thrust23THRUST_200600_302600_NS6detail15normal_iteratorINS9_10device_ptrIjEEEENS9_16discard_iteratorINS9_11use_defaultEEEjNS9_4plusIvEEjEEDaPvRmT3_T4_T5_mT6_P12ihipStream_tbENKUlT_T0_E_clISt17integral_constantIbLb1EESX_EEDaSS_ST_EUlSS_E0_NS1_11comp_targetILNS1_3genE3ELNS1_11target_archE908ELNS1_3gpuE7ELNS1_3repE0EEENS1_30default_config_static_selectorELNS0_4arch9wavefront6targetE1EEEvT1_
    .private_segment_fixed_size: 0
    .sgpr_count:     4
    .sgpr_spill_count: 0
    .symbol:         _ZN7rocprim17ROCPRIM_400000_NS6detail17trampoline_kernelINS0_14default_configENS1_20scan_config_selectorIjEEZZNS1_9scan_implILNS1_25lookback_scan_determinismE0ELb1ELb1ES3_N6thrust23THRUST_200600_302600_NS6detail15normal_iteratorINS9_10device_ptrIjEEEENS9_16discard_iteratorINS9_11use_defaultEEEjNS9_4plusIvEEjEEDaPvRmT3_T4_T5_mT6_P12ihipStream_tbENKUlT_T0_E_clISt17integral_constantIbLb1EESX_EEDaSS_ST_EUlSS_E0_NS1_11comp_targetILNS1_3genE3ELNS1_11target_archE908ELNS1_3gpuE7ELNS1_3repE0EEENS1_30default_config_static_selectorELNS0_4arch9wavefront6targetE1EEEvT1_.kd
    .uniform_work_group_size: 1
    .uses_dynamic_stack: false
    .vgpr_count:     0
    .vgpr_spill_count: 0
    .wavefront_size: 64
  - .agpr_count:     0
    .args:
      - .offset:         0
        .size:           40
        .value_kind:     by_value
    .group_segment_fixed_size: 0
    .kernarg_segment_align: 8
    .kernarg_segment_size: 40
    .language:       OpenCL C
    .language_version:
      - 2
      - 0
    .max_flat_workgroup_size: 256
    .name:           _ZN7rocprim17ROCPRIM_400000_NS6detail17trampoline_kernelINS0_14default_configENS1_20scan_config_selectorIjEEZZNS1_9scan_implILNS1_25lookback_scan_determinismE0ELb1ELb1ES3_N6thrust23THRUST_200600_302600_NS6detail15normal_iteratorINS9_10device_ptrIjEEEENS9_16discard_iteratorINS9_11use_defaultEEEjNS9_4plusIvEEjEEDaPvRmT3_T4_T5_mT6_P12ihipStream_tbENKUlT_T0_E_clISt17integral_constantIbLb1EESX_EEDaSS_ST_EUlSS_E0_NS1_11comp_targetILNS1_3genE2ELNS1_11target_archE906ELNS1_3gpuE6ELNS1_3repE0EEENS1_30default_config_static_selectorELNS0_4arch9wavefront6targetE1EEEvT1_
    .private_segment_fixed_size: 0
    .sgpr_count:     4
    .sgpr_spill_count: 0
    .symbol:         _ZN7rocprim17ROCPRIM_400000_NS6detail17trampoline_kernelINS0_14default_configENS1_20scan_config_selectorIjEEZZNS1_9scan_implILNS1_25lookback_scan_determinismE0ELb1ELb1ES3_N6thrust23THRUST_200600_302600_NS6detail15normal_iteratorINS9_10device_ptrIjEEEENS9_16discard_iteratorINS9_11use_defaultEEEjNS9_4plusIvEEjEEDaPvRmT3_T4_T5_mT6_P12ihipStream_tbENKUlT_T0_E_clISt17integral_constantIbLb1EESX_EEDaSS_ST_EUlSS_E0_NS1_11comp_targetILNS1_3genE2ELNS1_11target_archE906ELNS1_3gpuE6ELNS1_3repE0EEENS1_30default_config_static_selectorELNS0_4arch9wavefront6targetE1EEEvT1_.kd
    .uniform_work_group_size: 1
    .uses_dynamic_stack: false
    .vgpr_count:     0
    .vgpr_spill_count: 0
    .wavefront_size: 64
  - .agpr_count:     0
    .args:
      - .offset:         0
        .size:           40
        .value_kind:     by_value
    .group_segment_fixed_size: 0
    .kernarg_segment_align: 8
    .kernarg_segment_size: 40
    .language:       OpenCL C
    .language_version:
      - 2
      - 0
    .max_flat_workgroup_size: 256
    .name:           _ZN7rocprim17ROCPRIM_400000_NS6detail17trampoline_kernelINS0_14default_configENS1_20scan_config_selectorIjEEZZNS1_9scan_implILNS1_25lookback_scan_determinismE0ELb1ELb1ES3_N6thrust23THRUST_200600_302600_NS6detail15normal_iteratorINS9_10device_ptrIjEEEENS9_16discard_iteratorINS9_11use_defaultEEEjNS9_4plusIvEEjEEDaPvRmT3_T4_T5_mT6_P12ihipStream_tbENKUlT_T0_E_clISt17integral_constantIbLb1EESX_EEDaSS_ST_EUlSS_E0_NS1_11comp_targetILNS1_3genE10ELNS1_11target_archE1201ELNS1_3gpuE5ELNS1_3repE0EEENS1_30default_config_static_selectorELNS0_4arch9wavefront6targetE1EEEvT1_
    .private_segment_fixed_size: 0
    .sgpr_count:     4
    .sgpr_spill_count: 0
    .symbol:         _ZN7rocprim17ROCPRIM_400000_NS6detail17trampoline_kernelINS0_14default_configENS1_20scan_config_selectorIjEEZZNS1_9scan_implILNS1_25lookback_scan_determinismE0ELb1ELb1ES3_N6thrust23THRUST_200600_302600_NS6detail15normal_iteratorINS9_10device_ptrIjEEEENS9_16discard_iteratorINS9_11use_defaultEEEjNS9_4plusIvEEjEEDaPvRmT3_T4_T5_mT6_P12ihipStream_tbENKUlT_T0_E_clISt17integral_constantIbLb1EESX_EEDaSS_ST_EUlSS_E0_NS1_11comp_targetILNS1_3genE10ELNS1_11target_archE1201ELNS1_3gpuE5ELNS1_3repE0EEENS1_30default_config_static_selectorELNS0_4arch9wavefront6targetE1EEEvT1_.kd
    .uniform_work_group_size: 1
    .uses_dynamic_stack: false
    .vgpr_count:     0
    .vgpr_spill_count: 0
    .wavefront_size: 64
  - .agpr_count:     0
    .args:
      - .offset:         0
        .size:           40
        .value_kind:     by_value
    .group_segment_fixed_size: 0
    .kernarg_segment_align: 8
    .kernarg_segment_size: 40
    .language:       OpenCL C
    .language_version:
      - 2
      - 0
    .max_flat_workgroup_size: 256
    .name:           _ZN7rocprim17ROCPRIM_400000_NS6detail17trampoline_kernelINS0_14default_configENS1_20scan_config_selectorIjEEZZNS1_9scan_implILNS1_25lookback_scan_determinismE0ELb1ELb1ES3_N6thrust23THRUST_200600_302600_NS6detail15normal_iteratorINS9_10device_ptrIjEEEENS9_16discard_iteratorINS9_11use_defaultEEEjNS9_4plusIvEEjEEDaPvRmT3_T4_T5_mT6_P12ihipStream_tbENKUlT_T0_E_clISt17integral_constantIbLb1EESX_EEDaSS_ST_EUlSS_E0_NS1_11comp_targetILNS1_3genE10ELNS1_11target_archE1200ELNS1_3gpuE4ELNS1_3repE0EEENS1_30default_config_static_selectorELNS0_4arch9wavefront6targetE1EEEvT1_
    .private_segment_fixed_size: 0
    .sgpr_count:     4
    .sgpr_spill_count: 0
    .symbol:         _ZN7rocprim17ROCPRIM_400000_NS6detail17trampoline_kernelINS0_14default_configENS1_20scan_config_selectorIjEEZZNS1_9scan_implILNS1_25lookback_scan_determinismE0ELb1ELb1ES3_N6thrust23THRUST_200600_302600_NS6detail15normal_iteratorINS9_10device_ptrIjEEEENS9_16discard_iteratorINS9_11use_defaultEEEjNS9_4plusIvEEjEEDaPvRmT3_T4_T5_mT6_P12ihipStream_tbENKUlT_T0_E_clISt17integral_constantIbLb1EESX_EEDaSS_ST_EUlSS_E0_NS1_11comp_targetILNS1_3genE10ELNS1_11target_archE1200ELNS1_3gpuE4ELNS1_3repE0EEENS1_30default_config_static_selectorELNS0_4arch9wavefront6targetE1EEEvT1_.kd
    .uniform_work_group_size: 1
    .uses_dynamic_stack: false
    .vgpr_count:     0
    .vgpr_spill_count: 0
    .wavefront_size: 64
  - .agpr_count:     0
    .args:
      - .offset:         0
        .size:           40
        .value_kind:     by_value
    .group_segment_fixed_size: 0
    .kernarg_segment_align: 8
    .kernarg_segment_size: 40
    .language:       OpenCL C
    .language_version:
      - 2
      - 0
    .max_flat_workgroup_size: 256
    .name:           _ZN7rocprim17ROCPRIM_400000_NS6detail17trampoline_kernelINS0_14default_configENS1_20scan_config_selectorIjEEZZNS1_9scan_implILNS1_25lookback_scan_determinismE0ELb1ELb1ES3_N6thrust23THRUST_200600_302600_NS6detail15normal_iteratorINS9_10device_ptrIjEEEENS9_16discard_iteratorINS9_11use_defaultEEEjNS9_4plusIvEEjEEDaPvRmT3_T4_T5_mT6_P12ihipStream_tbENKUlT_T0_E_clISt17integral_constantIbLb1EESX_EEDaSS_ST_EUlSS_E0_NS1_11comp_targetILNS1_3genE9ELNS1_11target_archE1100ELNS1_3gpuE3ELNS1_3repE0EEENS1_30default_config_static_selectorELNS0_4arch9wavefront6targetE1EEEvT1_
    .private_segment_fixed_size: 0
    .sgpr_count:     4
    .sgpr_spill_count: 0
    .symbol:         _ZN7rocprim17ROCPRIM_400000_NS6detail17trampoline_kernelINS0_14default_configENS1_20scan_config_selectorIjEEZZNS1_9scan_implILNS1_25lookback_scan_determinismE0ELb1ELb1ES3_N6thrust23THRUST_200600_302600_NS6detail15normal_iteratorINS9_10device_ptrIjEEEENS9_16discard_iteratorINS9_11use_defaultEEEjNS9_4plusIvEEjEEDaPvRmT3_T4_T5_mT6_P12ihipStream_tbENKUlT_T0_E_clISt17integral_constantIbLb1EESX_EEDaSS_ST_EUlSS_E0_NS1_11comp_targetILNS1_3genE9ELNS1_11target_archE1100ELNS1_3gpuE3ELNS1_3repE0EEENS1_30default_config_static_selectorELNS0_4arch9wavefront6targetE1EEEvT1_.kd
    .uniform_work_group_size: 1
    .uses_dynamic_stack: false
    .vgpr_count:     0
    .vgpr_spill_count: 0
    .wavefront_size: 64
  - .agpr_count:     0
    .args:
      - .offset:         0
        .size:           40
        .value_kind:     by_value
    .group_segment_fixed_size: 0
    .kernarg_segment_align: 8
    .kernarg_segment_size: 40
    .language:       OpenCL C
    .language_version:
      - 2
      - 0
    .max_flat_workgroup_size: 64
    .name:           _ZN7rocprim17ROCPRIM_400000_NS6detail17trampoline_kernelINS0_14default_configENS1_20scan_config_selectorIjEEZZNS1_9scan_implILNS1_25lookback_scan_determinismE0ELb1ELb1ES3_N6thrust23THRUST_200600_302600_NS6detail15normal_iteratorINS9_10device_ptrIjEEEENS9_16discard_iteratorINS9_11use_defaultEEEjNS9_4plusIvEEjEEDaPvRmT3_T4_T5_mT6_P12ihipStream_tbENKUlT_T0_E_clISt17integral_constantIbLb1EESX_EEDaSS_ST_EUlSS_E0_NS1_11comp_targetILNS1_3genE8ELNS1_11target_archE1030ELNS1_3gpuE2ELNS1_3repE0EEENS1_30default_config_static_selectorELNS0_4arch9wavefront6targetE1EEEvT1_
    .private_segment_fixed_size: 0
    .sgpr_count:     4
    .sgpr_spill_count: 0
    .symbol:         _ZN7rocprim17ROCPRIM_400000_NS6detail17trampoline_kernelINS0_14default_configENS1_20scan_config_selectorIjEEZZNS1_9scan_implILNS1_25lookback_scan_determinismE0ELb1ELb1ES3_N6thrust23THRUST_200600_302600_NS6detail15normal_iteratorINS9_10device_ptrIjEEEENS9_16discard_iteratorINS9_11use_defaultEEEjNS9_4plusIvEEjEEDaPvRmT3_T4_T5_mT6_P12ihipStream_tbENKUlT_T0_E_clISt17integral_constantIbLb1EESX_EEDaSS_ST_EUlSS_E0_NS1_11comp_targetILNS1_3genE8ELNS1_11target_archE1030ELNS1_3gpuE2ELNS1_3repE0EEENS1_30default_config_static_selectorELNS0_4arch9wavefront6targetE1EEEvT1_.kd
    .uniform_work_group_size: 1
    .uses_dynamic_stack: false
    .vgpr_count:     0
    .vgpr_spill_count: 0
    .wavefront_size: 64
  - .agpr_count:     0
    .args:
      - .offset:         0
        .size:           104
        .value_kind:     by_value
    .group_segment_fixed_size: 0
    .kernarg_segment_align: 8
    .kernarg_segment_size: 104
    .language:       OpenCL C
    .language_version:
      - 2
      - 0
    .max_flat_workgroup_size: 256
    .name:           _ZN7rocprim17ROCPRIM_400000_NS6detail17trampoline_kernelINS0_14default_configENS1_20scan_config_selectorIjEEZZNS1_9scan_implILNS1_25lookback_scan_determinismE0ELb1ELb1ES3_N6thrust23THRUST_200600_302600_NS6detail15normal_iteratorINS9_10device_ptrIjEEEENS9_16discard_iteratorINS9_11use_defaultEEEjNS9_4plusIvEEjEEDaPvRmT3_T4_T5_mT6_P12ihipStream_tbENKUlT_T0_E_clISt17integral_constantIbLb1EESW_IbLb0EEEEDaSS_ST_EUlSS_E_NS1_11comp_targetILNS1_3genE0ELNS1_11target_archE4294967295ELNS1_3gpuE0ELNS1_3repE0EEENS1_30default_config_static_selectorELNS0_4arch9wavefront6targetE1EEEvT1_
    .private_segment_fixed_size: 0
    .sgpr_count:     4
    .sgpr_spill_count: 0
    .symbol:         _ZN7rocprim17ROCPRIM_400000_NS6detail17trampoline_kernelINS0_14default_configENS1_20scan_config_selectorIjEEZZNS1_9scan_implILNS1_25lookback_scan_determinismE0ELb1ELb1ES3_N6thrust23THRUST_200600_302600_NS6detail15normal_iteratorINS9_10device_ptrIjEEEENS9_16discard_iteratorINS9_11use_defaultEEEjNS9_4plusIvEEjEEDaPvRmT3_T4_T5_mT6_P12ihipStream_tbENKUlT_T0_E_clISt17integral_constantIbLb1EESW_IbLb0EEEEDaSS_ST_EUlSS_E_NS1_11comp_targetILNS1_3genE0ELNS1_11target_archE4294967295ELNS1_3gpuE0ELNS1_3repE0EEENS1_30default_config_static_selectorELNS0_4arch9wavefront6targetE1EEEvT1_.kd
    .uniform_work_group_size: 1
    .uses_dynamic_stack: false
    .vgpr_count:     0
    .vgpr_spill_count: 0
    .wavefront_size: 64
  - .agpr_count:     0
    .args:
      - .offset:         0
        .size:           104
        .value_kind:     by_value
    .group_segment_fixed_size: 0
    .kernarg_segment_align: 8
    .kernarg_segment_size: 104
    .language:       OpenCL C
    .language_version:
      - 2
      - 0
    .max_flat_workgroup_size: 256
    .name:           _ZN7rocprim17ROCPRIM_400000_NS6detail17trampoline_kernelINS0_14default_configENS1_20scan_config_selectorIjEEZZNS1_9scan_implILNS1_25lookback_scan_determinismE0ELb1ELb1ES3_N6thrust23THRUST_200600_302600_NS6detail15normal_iteratorINS9_10device_ptrIjEEEENS9_16discard_iteratorINS9_11use_defaultEEEjNS9_4plusIvEEjEEDaPvRmT3_T4_T5_mT6_P12ihipStream_tbENKUlT_T0_E_clISt17integral_constantIbLb1EESW_IbLb0EEEEDaSS_ST_EUlSS_E_NS1_11comp_targetILNS1_3genE5ELNS1_11target_archE942ELNS1_3gpuE9ELNS1_3repE0EEENS1_30default_config_static_selectorELNS0_4arch9wavefront6targetE1EEEvT1_
    .private_segment_fixed_size: 0
    .sgpr_count:     4
    .sgpr_spill_count: 0
    .symbol:         _ZN7rocprim17ROCPRIM_400000_NS6detail17trampoline_kernelINS0_14default_configENS1_20scan_config_selectorIjEEZZNS1_9scan_implILNS1_25lookback_scan_determinismE0ELb1ELb1ES3_N6thrust23THRUST_200600_302600_NS6detail15normal_iteratorINS9_10device_ptrIjEEEENS9_16discard_iteratorINS9_11use_defaultEEEjNS9_4plusIvEEjEEDaPvRmT3_T4_T5_mT6_P12ihipStream_tbENKUlT_T0_E_clISt17integral_constantIbLb1EESW_IbLb0EEEEDaSS_ST_EUlSS_E_NS1_11comp_targetILNS1_3genE5ELNS1_11target_archE942ELNS1_3gpuE9ELNS1_3repE0EEENS1_30default_config_static_selectorELNS0_4arch9wavefront6targetE1EEEvT1_.kd
    .uniform_work_group_size: 1
    .uses_dynamic_stack: false
    .vgpr_count:     0
    .vgpr_spill_count: 0
    .wavefront_size: 64
  - .agpr_count:     0
    .args:
      - .offset:         0
        .size:           104
        .value_kind:     by_value
    .group_segment_fixed_size: 5120
    .kernarg_segment_align: 8
    .kernarg_segment_size: 104
    .language:       OpenCL C
    .language_version:
      - 2
      - 0
    .max_flat_workgroup_size: 128
    .name:           _ZN7rocprim17ROCPRIM_400000_NS6detail17trampoline_kernelINS0_14default_configENS1_20scan_config_selectorIjEEZZNS1_9scan_implILNS1_25lookback_scan_determinismE0ELb1ELb1ES3_N6thrust23THRUST_200600_302600_NS6detail15normal_iteratorINS9_10device_ptrIjEEEENS9_16discard_iteratorINS9_11use_defaultEEEjNS9_4plusIvEEjEEDaPvRmT3_T4_T5_mT6_P12ihipStream_tbENKUlT_T0_E_clISt17integral_constantIbLb1EESW_IbLb0EEEEDaSS_ST_EUlSS_E_NS1_11comp_targetILNS1_3genE4ELNS1_11target_archE910ELNS1_3gpuE8ELNS1_3repE0EEENS1_30default_config_static_selectorELNS0_4arch9wavefront6targetE1EEEvT1_
    .private_segment_fixed_size: 0
    .sgpr_count:     30
    .sgpr_spill_count: 0
    .symbol:         _ZN7rocprim17ROCPRIM_400000_NS6detail17trampoline_kernelINS0_14default_configENS1_20scan_config_selectorIjEEZZNS1_9scan_implILNS1_25lookback_scan_determinismE0ELb1ELb1ES3_N6thrust23THRUST_200600_302600_NS6detail15normal_iteratorINS9_10device_ptrIjEEEENS9_16discard_iteratorINS9_11use_defaultEEEjNS9_4plusIvEEjEEDaPvRmT3_T4_T5_mT6_P12ihipStream_tbENKUlT_T0_E_clISt17integral_constantIbLb1EESW_IbLb0EEEEDaSS_ST_EUlSS_E_NS1_11comp_targetILNS1_3genE4ELNS1_11target_archE910ELNS1_3gpuE8ELNS1_3repE0EEENS1_30default_config_static_selectorELNS0_4arch9wavefront6targetE1EEEvT1_.kd
    .uniform_work_group_size: 1
    .uses_dynamic_stack: false
    .vgpr_count:     40
    .vgpr_spill_count: 0
    .wavefront_size: 64
  - .agpr_count:     0
    .args:
      - .offset:         0
        .size:           104
        .value_kind:     by_value
    .group_segment_fixed_size: 0
    .kernarg_segment_align: 8
    .kernarg_segment_size: 104
    .language:       OpenCL C
    .language_version:
      - 2
      - 0
    .max_flat_workgroup_size: 256
    .name:           _ZN7rocprim17ROCPRIM_400000_NS6detail17trampoline_kernelINS0_14default_configENS1_20scan_config_selectorIjEEZZNS1_9scan_implILNS1_25lookback_scan_determinismE0ELb1ELb1ES3_N6thrust23THRUST_200600_302600_NS6detail15normal_iteratorINS9_10device_ptrIjEEEENS9_16discard_iteratorINS9_11use_defaultEEEjNS9_4plusIvEEjEEDaPvRmT3_T4_T5_mT6_P12ihipStream_tbENKUlT_T0_E_clISt17integral_constantIbLb1EESW_IbLb0EEEEDaSS_ST_EUlSS_E_NS1_11comp_targetILNS1_3genE3ELNS1_11target_archE908ELNS1_3gpuE7ELNS1_3repE0EEENS1_30default_config_static_selectorELNS0_4arch9wavefront6targetE1EEEvT1_
    .private_segment_fixed_size: 0
    .sgpr_count:     4
    .sgpr_spill_count: 0
    .symbol:         _ZN7rocprim17ROCPRIM_400000_NS6detail17trampoline_kernelINS0_14default_configENS1_20scan_config_selectorIjEEZZNS1_9scan_implILNS1_25lookback_scan_determinismE0ELb1ELb1ES3_N6thrust23THRUST_200600_302600_NS6detail15normal_iteratorINS9_10device_ptrIjEEEENS9_16discard_iteratorINS9_11use_defaultEEEjNS9_4plusIvEEjEEDaPvRmT3_T4_T5_mT6_P12ihipStream_tbENKUlT_T0_E_clISt17integral_constantIbLb1EESW_IbLb0EEEEDaSS_ST_EUlSS_E_NS1_11comp_targetILNS1_3genE3ELNS1_11target_archE908ELNS1_3gpuE7ELNS1_3repE0EEENS1_30default_config_static_selectorELNS0_4arch9wavefront6targetE1EEEvT1_.kd
    .uniform_work_group_size: 1
    .uses_dynamic_stack: false
    .vgpr_count:     0
    .vgpr_spill_count: 0
    .wavefront_size: 64
  - .agpr_count:     0
    .args:
      - .offset:         0
        .size:           104
        .value_kind:     by_value
    .group_segment_fixed_size: 0
    .kernarg_segment_align: 8
    .kernarg_segment_size: 104
    .language:       OpenCL C
    .language_version:
      - 2
      - 0
    .max_flat_workgroup_size: 256
    .name:           _ZN7rocprim17ROCPRIM_400000_NS6detail17trampoline_kernelINS0_14default_configENS1_20scan_config_selectorIjEEZZNS1_9scan_implILNS1_25lookback_scan_determinismE0ELb1ELb1ES3_N6thrust23THRUST_200600_302600_NS6detail15normal_iteratorINS9_10device_ptrIjEEEENS9_16discard_iteratorINS9_11use_defaultEEEjNS9_4plusIvEEjEEDaPvRmT3_T4_T5_mT6_P12ihipStream_tbENKUlT_T0_E_clISt17integral_constantIbLb1EESW_IbLb0EEEEDaSS_ST_EUlSS_E_NS1_11comp_targetILNS1_3genE2ELNS1_11target_archE906ELNS1_3gpuE6ELNS1_3repE0EEENS1_30default_config_static_selectorELNS0_4arch9wavefront6targetE1EEEvT1_
    .private_segment_fixed_size: 0
    .sgpr_count:     4
    .sgpr_spill_count: 0
    .symbol:         _ZN7rocprim17ROCPRIM_400000_NS6detail17trampoline_kernelINS0_14default_configENS1_20scan_config_selectorIjEEZZNS1_9scan_implILNS1_25lookback_scan_determinismE0ELb1ELb1ES3_N6thrust23THRUST_200600_302600_NS6detail15normal_iteratorINS9_10device_ptrIjEEEENS9_16discard_iteratorINS9_11use_defaultEEEjNS9_4plusIvEEjEEDaPvRmT3_T4_T5_mT6_P12ihipStream_tbENKUlT_T0_E_clISt17integral_constantIbLb1EESW_IbLb0EEEEDaSS_ST_EUlSS_E_NS1_11comp_targetILNS1_3genE2ELNS1_11target_archE906ELNS1_3gpuE6ELNS1_3repE0EEENS1_30default_config_static_selectorELNS0_4arch9wavefront6targetE1EEEvT1_.kd
    .uniform_work_group_size: 1
    .uses_dynamic_stack: false
    .vgpr_count:     0
    .vgpr_spill_count: 0
    .wavefront_size: 64
  - .agpr_count:     0
    .args:
      - .offset:         0
        .size:           104
        .value_kind:     by_value
    .group_segment_fixed_size: 0
    .kernarg_segment_align: 8
    .kernarg_segment_size: 104
    .language:       OpenCL C
    .language_version:
      - 2
      - 0
    .max_flat_workgroup_size: 256
    .name:           _ZN7rocprim17ROCPRIM_400000_NS6detail17trampoline_kernelINS0_14default_configENS1_20scan_config_selectorIjEEZZNS1_9scan_implILNS1_25lookback_scan_determinismE0ELb1ELb1ES3_N6thrust23THRUST_200600_302600_NS6detail15normal_iteratorINS9_10device_ptrIjEEEENS9_16discard_iteratorINS9_11use_defaultEEEjNS9_4plusIvEEjEEDaPvRmT3_T4_T5_mT6_P12ihipStream_tbENKUlT_T0_E_clISt17integral_constantIbLb1EESW_IbLb0EEEEDaSS_ST_EUlSS_E_NS1_11comp_targetILNS1_3genE10ELNS1_11target_archE1201ELNS1_3gpuE5ELNS1_3repE0EEENS1_30default_config_static_selectorELNS0_4arch9wavefront6targetE1EEEvT1_
    .private_segment_fixed_size: 0
    .sgpr_count:     4
    .sgpr_spill_count: 0
    .symbol:         _ZN7rocprim17ROCPRIM_400000_NS6detail17trampoline_kernelINS0_14default_configENS1_20scan_config_selectorIjEEZZNS1_9scan_implILNS1_25lookback_scan_determinismE0ELb1ELb1ES3_N6thrust23THRUST_200600_302600_NS6detail15normal_iteratorINS9_10device_ptrIjEEEENS9_16discard_iteratorINS9_11use_defaultEEEjNS9_4plusIvEEjEEDaPvRmT3_T4_T5_mT6_P12ihipStream_tbENKUlT_T0_E_clISt17integral_constantIbLb1EESW_IbLb0EEEEDaSS_ST_EUlSS_E_NS1_11comp_targetILNS1_3genE10ELNS1_11target_archE1201ELNS1_3gpuE5ELNS1_3repE0EEENS1_30default_config_static_selectorELNS0_4arch9wavefront6targetE1EEEvT1_.kd
    .uniform_work_group_size: 1
    .uses_dynamic_stack: false
    .vgpr_count:     0
    .vgpr_spill_count: 0
    .wavefront_size: 64
  - .agpr_count:     0
    .args:
      - .offset:         0
        .size:           104
        .value_kind:     by_value
    .group_segment_fixed_size: 0
    .kernarg_segment_align: 8
    .kernarg_segment_size: 104
    .language:       OpenCL C
    .language_version:
      - 2
      - 0
    .max_flat_workgroup_size: 256
    .name:           _ZN7rocprim17ROCPRIM_400000_NS6detail17trampoline_kernelINS0_14default_configENS1_20scan_config_selectorIjEEZZNS1_9scan_implILNS1_25lookback_scan_determinismE0ELb1ELb1ES3_N6thrust23THRUST_200600_302600_NS6detail15normal_iteratorINS9_10device_ptrIjEEEENS9_16discard_iteratorINS9_11use_defaultEEEjNS9_4plusIvEEjEEDaPvRmT3_T4_T5_mT6_P12ihipStream_tbENKUlT_T0_E_clISt17integral_constantIbLb1EESW_IbLb0EEEEDaSS_ST_EUlSS_E_NS1_11comp_targetILNS1_3genE10ELNS1_11target_archE1200ELNS1_3gpuE4ELNS1_3repE0EEENS1_30default_config_static_selectorELNS0_4arch9wavefront6targetE1EEEvT1_
    .private_segment_fixed_size: 0
    .sgpr_count:     4
    .sgpr_spill_count: 0
    .symbol:         _ZN7rocprim17ROCPRIM_400000_NS6detail17trampoline_kernelINS0_14default_configENS1_20scan_config_selectorIjEEZZNS1_9scan_implILNS1_25lookback_scan_determinismE0ELb1ELb1ES3_N6thrust23THRUST_200600_302600_NS6detail15normal_iteratorINS9_10device_ptrIjEEEENS9_16discard_iteratorINS9_11use_defaultEEEjNS9_4plusIvEEjEEDaPvRmT3_T4_T5_mT6_P12ihipStream_tbENKUlT_T0_E_clISt17integral_constantIbLb1EESW_IbLb0EEEEDaSS_ST_EUlSS_E_NS1_11comp_targetILNS1_3genE10ELNS1_11target_archE1200ELNS1_3gpuE4ELNS1_3repE0EEENS1_30default_config_static_selectorELNS0_4arch9wavefront6targetE1EEEvT1_.kd
    .uniform_work_group_size: 1
    .uses_dynamic_stack: false
    .vgpr_count:     0
    .vgpr_spill_count: 0
    .wavefront_size: 64
  - .agpr_count:     0
    .args:
      - .offset:         0
        .size:           104
        .value_kind:     by_value
    .group_segment_fixed_size: 0
    .kernarg_segment_align: 8
    .kernarg_segment_size: 104
    .language:       OpenCL C
    .language_version:
      - 2
      - 0
    .max_flat_workgroup_size: 256
    .name:           _ZN7rocprim17ROCPRIM_400000_NS6detail17trampoline_kernelINS0_14default_configENS1_20scan_config_selectorIjEEZZNS1_9scan_implILNS1_25lookback_scan_determinismE0ELb1ELb1ES3_N6thrust23THRUST_200600_302600_NS6detail15normal_iteratorINS9_10device_ptrIjEEEENS9_16discard_iteratorINS9_11use_defaultEEEjNS9_4plusIvEEjEEDaPvRmT3_T4_T5_mT6_P12ihipStream_tbENKUlT_T0_E_clISt17integral_constantIbLb1EESW_IbLb0EEEEDaSS_ST_EUlSS_E_NS1_11comp_targetILNS1_3genE9ELNS1_11target_archE1100ELNS1_3gpuE3ELNS1_3repE0EEENS1_30default_config_static_selectorELNS0_4arch9wavefront6targetE1EEEvT1_
    .private_segment_fixed_size: 0
    .sgpr_count:     4
    .sgpr_spill_count: 0
    .symbol:         _ZN7rocprim17ROCPRIM_400000_NS6detail17trampoline_kernelINS0_14default_configENS1_20scan_config_selectorIjEEZZNS1_9scan_implILNS1_25lookback_scan_determinismE0ELb1ELb1ES3_N6thrust23THRUST_200600_302600_NS6detail15normal_iteratorINS9_10device_ptrIjEEEENS9_16discard_iteratorINS9_11use_defaultEEEjNS9_4plusIvEEjEEDaPvRmT3_T4_T5_mT6_P12ihipStream_tbENKUlT_T0_E_clISt17integral_constantIbLb1EESW_IbLb0EEEEDaSS_ST_EUlSS_E_NS1_11comp_targetILNS1_3genE9ELNS1_11target_archE1100ELNS1_3gpuE3ELNS1_3repE0EEENS1_30default_config_static_selectorELNS0_4arch9wavefront6targetE1EEEvT1_.kd
    .uniform_work_group_size: 1
    .uses_dynamic_stack: false
    .vgpr_count:     0
    .vgpr_spill_count: 0
    .wavefront_size: 64
  - .agpr_count:     0
    .args:
      - .offset:         0
        .size:           104
        .value_kind:     by_value
    .group_segment_fixed_size: 0
    .kernarg_segment_align: 8
    .kernarg_segment_size: 104
    .language:       OpenCL C
    .language_version:
      - 2
      - 0
    .max_flat_workgroup_size: 64
    .name:           _ZN7rocprim17ROCPRIM_400000_NS6detail17trampoline_kernelINS0_14default_configENS1_20scan_config_selectorIjEEZZNS1_9scan_implILNS1_25lookback_scan_determinismE0ELb1ELb1ES3_N6thrust23THRUST_200600_302600_NS6detail15normal_iteratorINS9_10device_ptrIjEEEENS9_16discard_iteratorINS9_11use_defaultEEEjNS9_4plusIvEEjEEDaPvRmT3_T4_T5_mT6_P12ihipStream_tbENKUlT_T0_E_clISt17integral_constantIbLb1EESW_IbLb0EEEEDaSS_ST_EUlSS_E_NS1_11comp_targetILNS1_3genE8ELNS1_11target_archE1030ELNS1_3gpuE2ELNS1_3repE0EEENS1_30default_config_static_selectorELNS0_4arch9wavefront6targetE1EEEvT1_
    .private_segment_fixed_size: 0
    .sgpr_count:     4
    .sgpr_spill_count: 0
    .symbol:         _ZN7rocprim17ROCPRIM_400000_NS6detail17trampoline_kernelINS0_14default_configENS1_20scan_config_selectorIjEEZZNS1_9scan_implILNS1_25lookback_scan_determinismE0ELb1ELb1ES3_N6thrust23THRUST_200600_302600_NS6detail15normal_iteratorINS9_10device_ptrIjEEEENS9_16discard_iteratorINS9_11use_defaultEEEjNS9_4plusIvEEjEEDaPvRmT3_T4_T5_mT6_P12ihipStream_tbENKUlT_T0_E_clISt17integral_constantIbLb1EESW_IbLb0EEEEDaSS_ST_EUlSS_E_NS1_11comp_targetILNS1_3genE8ELNS1_11target_archE1030ELNS1_3gpuE2ELNS1_3repE0EEENS1_30default_config_static_selectorELNS0_4arch9wavefront6targetE1EEEvT1_.kd
    .uniform_work_group_size: 1
    .uses_dynamic_stack: false
    .vgpr_count:     0
    .vgpr_spill_count: 0
    .wavefront_size: 64
  - .agpr_count:     0
    .args:
      - .offset:         0
        .size:           40
        .value_kind:     by_value
    .group_segment_fixed_size: 0
    .kernarg_segment_align: 8
    .kernarg_segment_size: 40
    .language:       OpenCL C
    .language_version:
      - 2
      - 0
    .max_flat_workgroup_size: 256
    .name:           _ZN7rocprim17ROCPRIM_400000_NS6detail17trampoline_kernelINS0_14default_configENS1_20scan_config_selectorIjEEZZNS1_9scan_implILNS1_25lookback_scan_determinismE0ELb1ELb1ES3_N6thrust23THRUST_200600_302600_NS6detail15normal_iteratorINS9_10device_ptrIjEEEENS9_16discard_iteratorINS9_11use_defaultEEEjNS9_4plusIvEEjEEDaPvRmT3_T4_T5_mT6_P12ihipStream_tbENKUlT_T0_E_clISt17integral_constantIbLb1EESW_IbLb0EEEEDaSS_ST_EUlSS_E0_NS1_11comp_targetILNS1_3genE0ELNS1_11target_archE4294967295ELNS1_3gpuE0ELNS1_3repE0EEENS1_30default_config_static_selectorELNS0_4arch9wavefront6targetE1EEEvT1_
    .private_segment_fixed_size: 0
    .sgpr_count:     4
    .sgpr_spill_count: 0
    .symbol:         _ZN7rocprim17ROCPRIM_400000_NS6detail17trampoline_kernelINS0_14default_configENS1_20scan_config_selectorIjEEZZNS1_9scan_implILNS1_25lookback_scan_determinismE0ELb1ELb1ES3_N6thrust23THRUST_200600_302600_NS6detail15normal_iteratorINS9_10device_ptrIjEEEENS9_16discard_iteratorINS9_11use_defaultEEEjNS9_4plusIvEEjEEDaPvRmT3_T4_T5_mT6_P12ihipStream_tbENKUlT_T0_E_clISt17integral_constantIbLb1EESW_IbLb0EEEEDaSS_ST_EUlSS_E0_NS1_11comp_targetILNS1_3genE0ELNS1_11target_archE4294967295ELNS1_3gpuE0ELNS1_3repE0EEENS1_30default_config_static_selectorELNS0_4arch9wavefront6targetE1EEEvT1_.kd
    .uniform_work_group_size: 1
    .uses_dynamic_stack: false
    .vgpr_count:     0
    .vgpr_spill_count: 0
    .wavefront_size: 64
  - .agpr_count:     0
    .args:
      - .offset:         0
        .size:           40
        .value_kind:     by_value
    .group_segment_fixed_size: 0
    .kernarg_segment_align: 8
    .kernarg_segment_size: 40
    .language:       OpenCL C
    .language_version:
      - 2
      - 0
    .max_flat_workgroup_size: 256
    .name:           _ZN7rocprim17ROCPRIM_400000_NS6detail17trampoline_kernelINS0_14default_configENS1_20scan_config_selectorIjEEZZNS1_9scan_implILNS1_25lookback_scan_determinismE0ELb1ELb1ES3_N6thrust23THRUST_200600_302600_NS6detail15normal_iteratorINS9_10device_ptrIjEEEENS9_16discard_iteratorINS9_11use_defaultEEEjNS9_4plusIvEEjEEDaPvRmT3_T4_T5_mT6_P12ihipStream_tbENKUlT_T0_E_clISt17integral_constantIbLb1EESW_IbLb0EEEEDaSS_ST_EUlSS_E0_NS1_11comp_targetILNS1_3genE5ELNS1_11target_archE942ELNS1_3gpuE9ELNS1_3repE0EEENS1_30default_config_static_selectorELNS0_4arch9wavefront6targetE1EEEvT1_
    .private_segment_fixed_size: 0
    .sgpr_count:     4
    .sgpr_spill_count: 0
    .symbol:         _ZN7rocprim17ROCPRIM_400000_NS6detail17trampoline_kernelINS0_14default_configENS1_20scan_config_selectorIjEEZZNS1_9scan_implILNS1_25lookback_scan_determinismE0ELb1ELb1ES3_N6thrust23THRUST_200600_302600_NS6detail15normal_iteratorINS9_10device_ptrIjEEEENS9_16discard_iteratorINS9_11use_defaultEEEjNS9_4plusIvEEjEEDaPvRmT3_T4_T5_mT6_P12ihipStream_tbENKUlT_T0_E_clISt17integral_constantIbLb1EESW_IbLb0EEEEDaSS_ST_EUlSS_E0_NS1_11comp_targetILNS1_3genE5ELNS1_11target_archE942ELNS1_3gpuE9ELNS1_3repE0EEENS1_30default_config_static_selectorELNS0_4arch9wavefront6targetE1EEEvT1_.kd
    .uniform_work_group_size: 1
    .uses_dynamic_stack: false
    .vgpr_count:     0
    .vgpr_spill_count: 0
    .wavefront_size: 64
  - .agpr_count:     0
    .args:
      - .offset:         0
        .size:           40
        .value_kind:     by_value
    .group_segment_fixed_size: 5120
    .kernarg_segment_align: 8
    .kernarg_segment_size: 40
    .language:       OpenCL C
    .language_version:
      - 2
      - 0
    .max_flat_workgroup_size: 128
    .name:           _ZN7rocprim17ROCPRIM_400000_NS6detail17trampoline_kernelINS0_14default_configENS1_20scan_config_selectorIjEEZZNS1_9scan_implILNS1_25lookback_scan_determinismE0ELb1ELb1ES3_N6thrust23THRUST_200600_302600_NS6detail15normal_iteratorINS9_10device_ptrIjEEEENS9_16discard_iteratorINS9_11use_defaultEEEjNS9_4plusIvEEjEEDaPvRmT3_T4_T5_mT6_P12ihipStream_tbENKUlT_T0_E_clISt17integral_constantIbLb1EESW_IbLb0EEEEDaSS_ST_EUlSS_E0_NS1_11comp_targetILNS1_3genE4ELNS1_11target_archE910ELNS1_3gpuE8ELNS1_3repE0EEENS1_30default_config_static_selectorELNS0_4arch9wavefront6targetE1EEEvT1_
    .private_segment_fixed_size: 0
    .sgpr_count:     12
    .sgpr_spill_count: 0
    .symbol:         _ZN7rocprim17ROCPRIM_400000_NS6detail17trampoline_kernelINS0_14default_configENS1_20scan_config_selectorIjEEZZNS1_9scan_implILNS1_25lookback_scan_determinismE0ELb1ELb1ES3_N6thrust23THRUST_200600_302600_NS6detail15normal_iteratorINS9_10device_ptrIjEEEENS9_16discard_iteratorINS9_11use_defaultEEEjNS9_4plusIvEEjEEDaPvRmT3_T4_T5_mT6_P12ihipStream_tbENKUlT_T0_E_clISt17integral_constantIbLb1EESW_IbLb0EEEEDaSS_ST_EUlSS_E0_NS1_11comp_targetILNS1_3genE4ELNS1_11target_archE910ELNS1_3gpuE8ELNS1_3repE0EEENS1_30default_config_static_selectorELNS0_4arch9wavefront6targetE1EEEvT1_.kd
    .uniform_work_group_size: 1
    .uses_dynamic_stack: false
    .vgpr_count:     18
    .vgpr_spill_count: 0
    .wavefront_size: 64
  - .agpr_count:     0
    .args:
      - .offset:         0
        .size:           40
        .value_kind:     by_value
    .group_segment_fixed_size: 0
    .kernarg_segment_align: 8
    .kernarg_segment_size: 40
    .language:       OpenCL C
    .language_version:
      - 2
      - 0
    .max_flat_workgroup_size: 256
    .name:           _ZN7rocprim17ROCPRIM_400000_NS6detail17trampoline_kernelINS0_14default_configENS1_20scan_config_selectorIjEEZZNS1_9scan_implILNS1_25lookback_scan_determinismE0ELb1ELb1ES3_N6thrust23THRUST_200600_302600_NS6detail15normal_iteratorINS9_10device_ptrIjEEEENS9_16discard_iteratorINS9_11use_defaultEEEjNS9_4plusIvEEjEEDaPvRmT3_T4_T5_mT6_P12ihipStream_tbENKUlT_T0_E_clISt17integral_constantIbLb1EESW_IbLb0EEEEDaSS_ST_EUlSS_E0_NS1_11comp_targetILNS1_3genE3ELNS1_11target_archE908ELNS1_3gpuE7ELNS1_3repE0EEENS1_30default_config_static_selectorELNS0_4arch9wavefront6targetE1EEEvT1_
    .private_segment_fixed_size: 0
    .sgpr_count:     4
    .sgpr_spill_count: 0
    .symbol:         _ZN7rocprim17ROCPRIM_400000_NS6detail17trampoline_kernelINS0_14default_configENS1_20scan_config_selectorIjEEZZNS1_9scan_implILNS1_25lookback_scan_determinismE0ELb1ELb1ES3_N6thrust23THRUST_200600_302600_NS6detail15normal_iteratorINS9_10device_ptrIjEEEENS9_16discard_iteratorINS9_11use_defaultEEEjNS9_4plusIvEEjEEDaPvRmT3_T4_T5_mT6_P12ihipStream_tbENKUlT_T0_E_clISt17integral_constantIbLb1EESW_IbLb0EEEEDaSS_ST_EUlSS_E0_NS1_11comp_targetILNS1_3genE3ELNS1_11target_archE908ELNS1_3gpuE7ELNS1_3repE0EEENS1_30default_config_static_selectorELNS0_4arch9wavefront6targetE1EEEvT1_.kd
    .uniform_work_group_size: 1
    .uses_dynamic_stack: false
    .vgpr_count:     0
    .vgpr_spill_count: 0
    .wavefront_size: 64
  - .agpr_count:     0
    .args:
      - .offset:         0
        .size:           40
        .value_kind:     by_value
    .group_segment_fixed_size: 0
    .kernarg_segment_align: 8
    .kernarg_segment_size: 40
    .language:       OpenCL C
    .language_version:
      - 2
      - 0
    .max_flat_workgroup_size: 256
    .name:           _ZN7rocprim17ROCPRIM_400000_NS6detail17trampoline_kernelINS0_14default_configENS1_20scan_config_selectorIjEEZZNS1_9scan_implILNS1_25lookback_scan_determinismE0ELb1ELb1ES3_N6thrust23THRUST_200600_302600_NS6detail15normal_iteratorINS9_10device_ptrIjEEEENS9_16discard_iteratorINS9_11use_defaultEEEjNS9_4plusIvEEjEEDaPvRmT3_T4_T5_mT6_P12ihipStream_tbENKUlT_T0_E_clISt17integral_constantIbLb1EESW_IbLb0EEEEDaSS_ST_EUlSS_E0_NS1_11comp_targetILNS1_3genE2ELNS1_11target_archE906ELNS1_3gpuE6ELNS1_3repE0EEENS1_30default_config_static_selectorELNS0_4arch9wavefront6targetE1EEEvT1_
    .private_segment_fixed_size: 0
    .sgpr_count:     4
    .sgpr_spill_count: 0
    .symbol:         _ZN7rocprim17ROCPRIM_400000_NS6detail17trampoline_kernelINS0_14default_configENS1_20scan_config_selectorIjEEZZNS1_9scan_implILNS1_25lookback_scan_determinismE0ELb1ELb1ES3_N6thrust23THRUST_200600_302600_NS6detail15normal_iteratorINS9_10device_ptrIjEEEENS9_16discard_iteratorINS9_11use_defaultEEEjNS9_4plusIvEEjEEDaPvRmT3_T4_T5_mT6_P12ihipStream_tbENKUlT_T0_E_clISt17integral_constantIbLb1EESW_IbLb0EEEEDaSS_ST_EUlSS_E0_NS1_11comp_targetILNS1_3genE2ELNS1_11target_archE906ELNS1_3gpuE6ELNS1_3repE0EEENS1_30default_config_static_selectorELNS0_4arch9wavefront6targetE1EEEvT1_.kd
    .uniform_work_group_size: 1
    .uses_dynamic_stack: false
    .vgpr_count:     0
    .vgpr_spill_count: 0
    .wavefront_size: 64
  - .agpr_count:     0
    .args:
      - .offset:         0
        .size:           40
        .value_kind:     by_value
    .group_segment_fixed_size: 0
    .kernarg_segment_align: 8
    .kernarg_segment_size: 40
    .language:       OpenCL C
    .language_version:
      - 2
      - 0
    .max_flat_workgroup_size: 256
    .name:           _ZN7rocprim17ROCPRIM_400000_NS6detail17trampoline_kernelINS0_14default_configENS1_20scan_config_selectorIjEEZZNS1_9scan_implILNS1_25lookback_scan_determinismE0ELb1ELb1ES3_N6thrust23THRUST_200600_302600_NS6detail15normal_iteratorINS9_10device_ptrIjEEEENS9_16discard_iteratorINS9_11use_defaultEEEjNS9_4plusIvEEjEEDaPvRmT3_T4_T5_mT6_P12ihipStream_tbENKUlT_T0_E_clISt17integral_constantIbLb1EESW_IbLb0EEEEDaSS_ST_EUlSS_E0_NS1_11comp_targetILNS1_3genE10ELNS1_11target_archE1201ELNS1_3gpuE5ELNS1_3repE0EEENS1_30default_config_static_selectorELNS0_4arch9wavefront6targetE1EEEvT1_
    .private_segment_fixed_size: 0
    .sgpr_count:     4
    .sgpr_spill_count: 0
    .symbol:         _ZN7rocprim17ROCPRIM_400000_NS6detail17trampoline_kernelINS0_14default_configENS1_20scan_config_selectorIjEEZZNS1_9scan_implILNS1_25lookback_scan_determinismE0ELb1ELb1ES3_N6thrust23THRUST_200600_302600_NS6detail15normal_iteratorINS9_10device_ptrIjEEEENS9_16discard_iteratorINS9_11use_defaultEEEjNS9_4plusIvEEjEEDaPvRmT3_T4_T5_mT6_P12ihipStream_tbENKUlT_T0_E_clISt17integral_constantIbLb1EESW_IbLb0EEEEDaSS_ST_EUlSS_E0_NS1_11comp_targetILNS1_3genE10ELNS1_11target_archE1201ELNS1_3gpuE5ELNS1_3repE0EEENS1_30default_config_static_selectorELNS0_4arch9wavefront6targetE1EEEvT1_.kd
    .uniform_work_group_size: 1
    .uses_dynamic_stack: false
    .vgpr_count:     0
    .vgpr_spill_count: 0
    .wavefront_size: 64
  - .agpr_count:     0
    .args:
      - .offset:         0
        .size:           40
        .value_kind:     by_value
    .group_segment_fixed_size: 0
    .kernarg_segment_align: 8
    .kernarg_segment_size: 40
    .language:       OpenCL C
    .language_version:
      - 2
      - 0
    .max_flat_workgroup_size: 256
    .name:           _ZN7rocprim17ROCPRIM_400000_NS6detail17trampoline_kernelINS0_14default_configENS1_20scan_config_selectorIjEEZZNS1_9scan_implILNS1_25lookback_scan_determinismE0ELb1ELb1ES3_N6thrust23THRUST_200600_302600_NS6detail15normal_iteratorINS9_10device_ptrIjEEEENS9_16discard_iteratorINS9_11use_defaultEEEjNS9_4plusIvEEjEEDaPvRmT3_T4_T5_mT6_P12ihipStream_tbENKUlT_T0_E_clISt17integral_constantIbLb1EESW_IbLb0EEEEDaSS_ST_EUlSS_E0_NS1_11comp_targetILNS1_3genE10ELNS1_11target_archE1200ELNS1_3gpuE4ELNS1_3repE0EEENS1_30default_config_static_selectorELNS0_4arch9wavefront6targetE1EEEvT1_
    .private_segment_fixed_size: 0
    .sgpr_count:     4
    .sgpr_spill_count: 0
    .symbol:         _ZN7rocprim17ROCPRIM_400000_NS6detail17trampoline_kernelINS0_14default_configENS1_20scan_config_selectorIjEEZZNS1_9scan_implILNS1_25lookback_scan_determinismE0ELb1ELb1ES3_N6thrust23THRUST_200600_302600_NS6detail15normal_iteratorINS9_10device_ptrIjEEEENS9_16discard_iteratorINS9_11use_defaultEEEjNS9_4plusIvEEjEEDaPvRmT3_T4_T5_mT6_P12ihipStream_tbENKUlT_T0_E_clISt17integral_constantIbLb1EESW_IbLb0EEEEDaSS_ST_EUlSS_E0_NS1_11comp_targetILNS1_3genE10ELNS1_11target_archE1200ELNS1_3gpuE4ELNS1_3repE0EEENS1_30default_config_static_selectorELNS0_4arch9wavefront6targetE1EEEvT1_.kd
    .uniform_work_group_size: 1
    .uses_dynamic_stack: false
    .vgpr_count:     0
    .vgpr_spill_count: 0
    .wavefront_size: 64
  - .agpr_count:     0
    .args:
      - .offset:         0
        .size:           40
        .value_kind:     by_value
    .group_segment_fixed_size: 0
    .kernarg_segment_align: 8
    .kernarg_segment_size: 40
    .language:       OpenCL C
    .language_version:
      - 2
      - 0
    .max_flat_workgroup_size: 256
    .name:           _ZN7rocprim17ROCPRIM_400000_NS6detail17trampoline_kernelINS0_14default_configENS1_20scan_config_selectorIjEEZZNS1_9scan_implILNS1_25lookback_scan_determinismE0ELb1ELb1ES3_N6thrust23THRUST_200600_302600_NS6detail15normal_iteratorINS9_10device_ptrIjEEEENS9_16discard_iteratorINS9_11use_defaultEEEjNS9_4plusIvEEjEEDaPvRmT3_T4_T5_mT6_P12ihipStream_tbENKUlT_T0_E_clISt17integral_constantIbLb1EESW_IbLb0EEEEDaSS_ST_EUlSS_E0_NS1_11comp_targetILNS1_3genE9ELNS1_11target_archE1100ELNS1_3gpuE3ELNS1_3repE0EEENS1_30default_config_static_selectorELNS0_4arch9wavefront6targetE1EEEvT1_
    .private_segment_fixed_size: 0
    .sgpr_count:     4
    .sgpr_spill_count: 0
    .symbol:         _ZN7rocprim17ROCPRIM_400000_NS6detail17trampoline_kernelINS0_14default_configENS1_20scan_config_selectorIjEEZZNS1_9scan_implILNS1_25lookback_scan_determinismE0ELb1ELb1ES3_N6thrust23THRUST_200600_302600_NS6detail15normal_iteratorINS9_10device_ptrIjEEEENS9_16discard_iteratorINS9_11use_defaultEEEjNS9_4plusIvEEjEEDaPvRmT3_T4_T5_mT6_P12ihipStream_tbENKUlT_T0_E_clISt17integral_constantIbLb1EESW_IbLb0EEEEDaSS_ST_EUlSS_E0_NS1_11comp_targetILNS1_3genE9ELNS1_11target_archE1100ELNS1_3gpuE3ELNS1_3repE0EEENS1_30default_config_static_selectorELNS0_4arch9wavefront6targetE1EEEvT1_.kd
    .uniform_work_group_size: 1
    .uses_dynamic_stack: false
    .vgpr_count:     0
    .vgpr_spill_count: 0
    .wavefront_size: 64
  - .agpr_count:     0
    .args:
      - .offset:         0
        .size:           40
        .value_kind:     by_value
    .group_segment_fixed_size: 0
    .kernarg_segment_align: 8
    .kernarg_segment_size: 40
    .language:       OpenCL C
    .language_version:
      - 2
      - 0
    .max_flat_workgroup_size: 64
    .name:           _ZN7rocprim17ROCPRIM_400000_NS6detail17trampoline_kernelINS0_14default_configENS1_20scan_config_selectorIjEEZZNS1_9scan_implILNS1_25lookback_scan_determinismE0ELb1ELb1ES3_N6thrust23THRUST_200600_302600_NS6detail15normal_iteratorINS9_10device_ptrIjEEEENS9_16discard_iteratorINS9_11use_defaultEEEjNS9_4plusIvEEjEEDaPvRmT3_T4_T5_mT6_P12ihipStream_tbENKUlT_T0_E_clISt17integral_constantIbLb1EESW_IbLb0EEEEDaSS_ST_EUlSS_E0_NS1_11comp_targetILNS1_3genE8ELNS1_11target_archE1030ELNS1_3gpuE2ELNS1_3repE0EEENS1_30default_config_static_selectorELNS0_4arch9wavefront6targetE1EEEvT1_
    .private_segment_fixed_size: 0
    .sgpr_count:     4
    .sgpr_spill_count: 0
    .symbol:         _ZN7rocprim17ROCPRIM_400000_NS6detail17trampoline_kernelINS0_14default_configENS1_20scan_config_selectorIjEEZZNS1_9scan_implILNS1_25lookback_scan_determinismE0ELb1ELb1ES3_N6thrust23THRUST_200600_302600_NS6detail15normal_iteratorINS9_10device_ptrIjEEEENS9_16discard_iteratorINS9_11use_defaultEEEjNS9_4plusIvEEjEEDaPvRmT3_T4_T5_mT6_P12ihipStream_tbENKUlT_T0_E_clISt17integral_constantIbLb1EESW_IbLb0EEEEDaSS_ST_EUlSS_E0_NS1_11comp_targetILNS1_3genE8ELNS1_11target_archE1030ELNS1_3gpuE2ELNS1_3repE0EEENS1_30default_config_static_selectorELNS0_4arch9wavefront6targetE1EEEvT1_.kd
    .uniform_work_group_size: 1
    .uses_dynamic_stack: false
    .vgpr_count:     0
    .vgpr_spill_count: 0
    .wavefront_size: 64
  - .agpr_count:     0
    .args:
      - .offset:         0
        .size:           104
        .value_kind:     by_value
    .group_segment_fixed_size: 0
    .kernarg_segment_align: 8
    .kernarg_segment_size: 104
    .language:       OpenCL C
    .language_version:
      - 2
      - 0
    .max_flat_workgroup_size: 256
    .name:           _ZN7rocprim17ROCPRIM_400000_NS6detail17trampoline_kernelINS0_14default_configENS1_20scan_config_selectorIjEEZZNS1_9scan_implILNS1_25lookback_scan_determinismE0ELb1ELb1ES3_N6thrust23THRUST_200600_302600_NS6detail15normal_iteratorINS9_10device_ptrIjEEEENS9_16discard_iteratorINS9_11use_defaultEEEjNS9_4plusIvEEjEEDaPvRmT3_T4_T5_mT6_P12ihipStream_tbENKUlT_T0_E_clISt17integral_constantIbLb0EESW_IbLb1EEEEDaSS_ST_EUlSS_E_NS1_11comp_targetILNS1_3genE0ELNS1_11target_archE4294967295ELNS1_3gpuE0ELNS1_3repE0EEENS1_30default_config_static_selectorELNS0_4arch9wavefront6targetE1EEEvT1_
    .private_segment_fixed_size: 0
    .sgpr_count:     4
    .sgpr_spill_count: 0
    .symbol:         _ZN7rocprim17ROCPRIM_400000_NS6detail17trampoline_kernelINS0_14default_configENS1_20scan_config_selectorIjEEZZNS1_9scan_implILNS1_25lookback_scan_determinismE0ELb1ELb1ES3_N6thrust23THRUST_200600_302600_NS6detail15normal_iteratorINS9_10device_ptrIjEEEENS9_16discard_iteratorINS9_11use_defaultEEEjNS9_4plusIvEEjEEDaPvRmT3_T4_T5_mT6_P12ihipStream_tbENKUlT_T0_E_clISt17integral_constantIbLb0EESW_IbLb1EEEEDaSS_ST_EUlSS_E_NS1_11comp_targetILNS1_3genE0ELNS1_11target_archE4294967295ELNS1_3gpuE0ELNS1_3repE0EEENS1_30default_config_static_selectorELNS0_4arch9wavefront6targetE1EEEvT1_.kd
    .uniform_work_group_size: 1
    .uses_dynamic_stack: false
    .vgpr_count:     0
    .vgpr_spill_count: 0
    .wavefront_size: 64
  - .agpr_count:     0
    .args:
      - .offset:         0
        .size:           104
        .value_kind:     by_value
    .group_segment_fixed_size: 0
    .kernarg_segment_align: 8
    .kernarg_segment_size: 104
    .language:       OpenCL C
    .language_version:
      - 2
      - 0
    .max_flat_workgroup_size: 256
    .name:           _ZN7rocprim17ROCPRIM_400000_NS6detail17trampoline_kernelINS0_14default_configENS1_20scan_config_selectorIjEEZZNS1_9scan_implILNS1_25lookback_scan_determinismE0ELb1ELb1ES3_N6thrust23THRUST_200600_302600_NS6detail15normal_iteratorINS9_10device_ptrIjEEEENS9_16discard_iteratorINS9_11use_defaultEEEjNS9_4plusIvEEjEEDaPvRmT3_T4_T5_mT6_P12ihipStream_tbENKUlT_T0_E_clISt17integral_constantIbLb0EESW_IbLb1EEEEDaSS_ST_EUlSS_E_NS1_11comp_targetILNS1_3genE5ELNS1_11target_archE942ELNS1_3gpuE9ELNS1_3repE0EEENS1_30default_config_static_selectorELNS0_4arch9wavefront6targetE1EEEvT1_
    .private_segment_fixed_size: 0
    .sgpr_count:     4
    .sgpr_spill_count: 0
    .symbol:         _ZN7rocprim17ROCPRIM_400000_NS6detail17trampoline_kernelINS0_14default_configENS1_20scan_config_selectorIjEEZZNS1_9scan_implILNS1_25lookback_scan_determinismE0ELb1ELb1ES3_N6thrust23THRUST_200600_302600_NS6detail15normal_iteratorINS9_10device_ptrIjEEEENS9_16discard_iteratorINS9_11use_defaultEEEjNS9_4plusIvEEjEEDaPvRmT3_T4_T5_mT6_P12ihipStream_tbENKUlT_T0_E_clISt17integral_constantIbLb0EESW_IbLb1EEEEDaSS_ST_EUlSS_E_NS1_11comp_targetILNS1_3genE5ELNS1_11target_archE942ELNS1_3gpuE9ELNS1_3repE0EEENS1_30default_config_static_selectorELNS0_4arch9wavefront6targetE1EEEvT1_.kd
    .uniform_work_group_size: 1
    .uses_dynamic_stack: false
    .vgpr_count:     0
    .vgpr_spill_count: 0
    .wavefront_size: 64
  - .agpr_count:     0
    .args:
      - .offset:         0
        .size:           104
        .value_kind:     by_value
    .group_segment_fixed_size: 5120
    .kernarg_segment_align: 8
    .kernarg_segment_size: 104
    .language:       OpenCL C
    .language_version:
      - 2
      - 0
    .max_flat_workgroup_size: 128
    .name:           _ZN7rocprim17ROCPRIM_400000_NS6detail17trampoline_kernelINS0_14default_configENS1_20scan_config_selectorIjEEZZNS1_9scan_implILNS1_25lookback_scan_determinismE0ELb1ELb1ES3_N6thrust23THRUST_200600_302600_NS6detail15normal_iteratorINS9_10device_ptrIjEEEENS9_16discard_iteratorINS9_11use_defaultEEEjNS9_4plusIvEEjEEDaPvRmT3_T4_T5_mT6_P12ihipStream_tbENKUlT_T0_E_clISt17integral_constantIbLb0EESW_IbLb1EEEEDaSS_ST_EUlSS_E_NS1_11comp_targetILNS1_3genE4ELNS1_11target_archE910ELNS1_3gpuE8ELNS1_3repE0EEENS1_30default_config_static_selectorELNS0_4arch9wavefront6targetE1EEEvT1_
    .private_segment_fixed_size: 0
    .sgpr_count:     36
    .sgpr_spill_count: 0
    .symbol:         _ZN7rocprim17ROCPRIM_400000_NS6detail17trampoline_kernelINS0_14default_configENS1_20scan_config_selectorIjEEZZNS1_9scan_implILNS1_25lookback_scan_determinismE0ELb1ELb1ES3_N6thrust23THRUST_200600_302600_NS6detail15normal_iteratorINS9_10device_ptrIjEEEENS9_16discard_iteratorINS9_11use_defaultEEEjNS9_4plusIvEEjEEDaPvRmT3_T4_T5_mT6_P12ihipStream_tbENKUlT_T0_E_clISt17integral_constantIbLb0EESW_IbLb1EEEEDaSS_ST_EUlSS_E_NS1_11comp_targetILNS1_3genE4ELNS1_11target_archE910ELNS1_3gpuE8ELNS1_3repE0EEENS1_30default_config_static_selectorELNS0_4arch9wavefront6targetE1EEEvT1_.kd
    .uniform_work_group_size: 1
    .uses_dynamic_stack: false
    .vgpr_count:     40
    .vgpr_spill_count: 0
    .wavefront_size: 64
  - .agpr_count:     0
    .args:
      - .offset:         0
        .size:           104
        .value_kind:     by_value
    .group_segment_fixed_size: 0
    .kernarg_segment_align: 8
    .kernarg_segment_size: 104
    .language:       OpenCL C
    .language_version:
      - 2
      - 0
    .max_flat_workgroup_size: 256
    .name:           _ZN7rocprim17ROCPRIM_400000_NS6detail17trampoline_kernelINS0_14default_configENS1_20scan_config_selectorIjEEZZNS1_9scan_implILNS1_25lookback_scan_determinismE0ELb1ELb1ES3_N6thrust23THRUST_200600_302600_NS6detail15normal_iteratorINS9_10device_ptrIjEEEENS9_16discard_iteratorINS9_11use_defaultEEEjNS9_4plusIvEEjEEDaPvRmT3_T4_T5_mT6_P12ihipStream_tbENKUlT_T0_E_clISt17integral_constantIbLb0EESW_IbLb1EEEEDaSS_ST_EUlSS_E_NS1_11comp_targetILNS1_3genE3ELNS1_11target_archE908ELNS1_3gpuE7ELNS1_3repE0EEENS1_30default_config_static_selectorELNS0_4arch9wavefront6targetE1EEEvT1_
    .private_segment_fixed_size: 0
    .sgpr_count:     4
    .sgpr_spill_count: 0
    .symbol:         _ZN7rocprim17ROCPRIM_400000_NS6detail17trampoline_kernelINS0_14default_configENS1_20scan_config_selectorIjEEZZNS1_9scan_implILNS1_25lookback_scan_determinismE0ELb1ELb1ES3_N6thrust23THRUST_200600_302600_NS6detail15normal_iteratorINS9_10device_ptrIjEEEENS9_16discard_iteratorINS9_11use_defaultEEEjNS9_4plusIvEEjEEDaPvRmT3_T4_T5_mT6_P12ihipStream_tbENKUlT_T0_E_clISt17integral_constantIbLb0EESW_IbLb1EEEEDaSS_ST_EUlSS_E_NS1_11comp_targetILNS1_3genE3ELNS1_11target_archE908ELNS1_3gpuE7ELNS1_3repE0EEENS1_30default_config_static_selectorELNS0_4arch9wavefront6targetE1EEEvT1_.kd
    .uniform_work_group_size: 1
    .uses_dynamic_stack: false
    .vgpr_count:     0
    .vgpr_spill_count: 0
    .wavefront_size: 64
  - .agpr_count:     0
    .args:
      - .offset:         0
        .size:           104
        .value_kind:     by_value
    .group_segment_fixed_size: 0
    .kernarg_segment_align: 8
    .kernarg_segment_size: 104
    .language:       OpenCL C
    .language_version:
      - 2
      - 0
    .max_flat_workgroup_size: 256
    .name:           _ZN7rocprim17ROCPRIM_400000_NS6detail17trampoline_kernelINS0_14default_configENS1_20scan_config_selectorIjEEZZNS1_9scan_implILNS1_25lookback_scan_determinismE0ELb1ELb1ES3_N6thrust23THRUST_200600_302600_NS6detail15normal_iteratorINS9_10device_ptrIjEEEENS9_16discard_iteratorINS9_11use_defaultEEEjNS9_4plusIvEEjEEDaPvRmT3_T4_T5_mT6_P12ihipStream_tbENKUlT_T0_E_clISt17integral_constantIbLb0EESW_IbLb1EEEEDaSS_ST_EUlSS_E_NS1_11comp_targetILNS1_3genE2ELNS1_11target_archE906ELNS1_3gpuE6ELNS1_3repE0EEENS1_30default_config_static_selectorELNS0_4arch9wavefront6targetE1EEEvT1_
    .private_segment_fixed_size: 0
    .sgpr_count:     4
    .sgpr_spill_count: 0
    .symbol:         _ZN7rocprim17ROCPRIM_400000_NS6detail17trampoline_kernelINS0_14default_configENS1_20scan_config_selectorIjEEZZNS1_9scan_implILNS1_25lookback_scan_determinismE0ELb1ELb1ES3_N6thrust23THRUST_200600_302600_NS6detail15normal_iteratorINS9_10device_ptrIjEEEENS9_16discard_iteratorINS9_11use_defaultEEEjNS9_4plusIvEEjEEDaPvRmT3_T4_T5_mT6_P12ihipStream_tbENKUlT_T0_E_clISt17integral_constantIbLb0EESW_IbLb1EEEEDaSS_ST_EUlSS_E_NS1_11comp_targetILNS1_3genE2ELNS1_11target_archE906ELNS1_3gpuE6ELNS1_3repE0EEENS1_30default_config_static_selectorELNS0_4arch9wavefront6targetE1EEEvT1_.kd
    .uniform_work_group_size: 1
    .uses_dynamic_stack: false
    .vgpr_count:     0
    .vgpr_spill_count: 0
    .wavefront_size: 64
  - .agpr_count:     0
    .args:
      - .offset:         0
        .size:           104
        .value_kind:     by_value
    .group_segment_fixed_size: 0
    .kernarg_segment_align: 8
    .kernarg_segment_size: 104
    .language:       OpenCL C
    .language_version:
      - 2
      - 0
    .max_flat_workgroup_size: 256
    .name:           _ZN7rocprim17ROCPRIM_400000_NS6detail17trampoline_kernelINS0_14default_configENS1_20scan_config_selectorIjEEZZNS1_9scan_implILNS1_25lookback_scan_determinismE0ELb1ELb1ES3_N6thrust23THRUST_200600_302600_NS6detail15normal_iteratorINS9_10device_ptrIjEEEENS9_16discard_iteratorINS9_11use_defaultEEEjNS9_4plusIvEEjEEDaPvRmT3_T4_T5_mT6_P12ihipStream_tbENKUlT_T0_E_clISt17integral_constantIbLb0EESW_IbLb1EEEEDaSS_ST_EUlSS_E_NS1_11comp_targetILNS1_3genE10ELNS1_11target_archE1201ELNS1_3gpuE5ELNS1_3repE0EEENS1_30default_config_static_selectorELNS0_4arch9wavefront6targetE1EEEvT1_
    .private_segment_fixed_size: 0
    .sgpr_count:     4
    .sgpr_spill_count: 0
    .symbol:         _ZN7rocprim17ROCPRIM_400000_NS6detail17trampoline_kernelINS0_14default_configENS1_20scan_config_selectorIjEEZZNS1_9scan_implILNS1_25lookback_scan_determinismE0ELb1ELb1ES3_N6thrust23THRUST_200600_302600_NS6detail15normal_iteratorINS9_10device_ptrIjEEEENS9_16discard_iteratorINS9_11use_defaultEEEjNS9_4plusIvEEjEEDaPvRmT3_T4_T5_mT6_P12ihipStream_tbENKUlT_T0_E_clISt17integral_constantIbLb0EESW_IbLb1EEEEDaSS_ST_EUlSS_E_NS1_11comp_targetILNS1_3genE10ELNS1_11target_archE1201ELNS1_3gpuE5ELNS1_3repE0EEENS1_30default_config_static_selectorELNS0_4arch9wavefront6targetE1EEEvT1_.kd
    .uniform_work_group_size: 1
    .uses_dynamic_stack: false
    .vgpr_count:     0
    .vgpr_spill_count: 0
    .wavefront_size: 64
  - .agpr_count:     0
    .args:
      - .offset:         0
        .size:           104
        .value_kind:     by_value
    .group_segment_fixed_size: 0
    .kernarg_segment_align: 8
    .kernarg_segment_size: 104
    .language:       OpenCL C
    .language_version:
      - 2
      - 0
    .max_flat_workgroup_size: 256
    .name:           _ZN7rocprim17ROCPRIM_400000_NS6detail17trampoline_kernelINS0_14default_configENS1_20scan_config_selectorIjEEZZNS1_9scan_implILNS1_25lookback_scan_determinismE0ELb1ELb1ES3_N6thrust23THRUST_200600_302600_NS6detail15normal_iteratorINS9_10device_ptrIjEEEENS9_16discard_iteratorINS9_11use_defaultEEEjNS9_4plusIvEEjEEDaPvRmT3_T4_T5_mT6_P12ihipStream_tbENKUlT_T0_E_clISt17integral_constantIbLb0EESW_IbLb1EEEEDaSS_ST_EUlSS_E_NS1_11comp_targetILNS1_3genE10ELNS1_11target_archE1200ELNS1_3gpuE4ELNS1_3repE0EEENS1_30default_config_static_selectorELNS0_4arch9wavefront6targetE1EEEvT1_
    .private_segment_fixed_size: 0
    .sgpr_count:     4
    .sgpr_spill_count: 0
    .symbol:         _ZN7rocprim17ROCPRIM_400000_NS6detail17trampoline_kernelINS0_14default_configENS1_20scan_config_selectorIjEEZZNS1_9scan_implILNS1_25lookback_scan_determinismE0ELb1ELb1ES3_N6thrust23THRUST_200600_302600_NS6detail15normal_iteratorINS9_10device_ptrIjEEEENS9_16discard_iteratorINS9_11use_defaultEEEjNS9_4plusIvEEjEEDaPvRmT3_T4_T5_mT6_P12ihipStream_tbENKUlT_T0_E_clISt17integral_constantIbLb0EESW_IbLb1EEEEDaSS_ST_EUlSS_E_NS1_11comp_targetILNS1_3genE10ELNS1_11target_archE1200ELNS1_3gpuE4ELNS1_3repE0EEENS1_30default_config_static_selectorELNS0_4arch9wavefront6targetE1EEEvT1_.kd
    .uniform_work_group_size: 1
    .uses_dynamic_stack: false
    .vgpr_count:     0
    .vgpr_spill_count: 0
    .wavefront_size: 64
  - .agpr_count:     0
    .args:
      - .offset:         0
        .size:           104
        .value_kind:     by_value
    .group_segment_fixed_size: 0
    .kernarg_segment_align: 8
    .kernarg_segment_size: 104
    .language:       OpenCL C
    .language_version:
      - 2
      - 0
    .max_flat_workgroup_size: 256
    .name:           _ZN7rocprim17ROCPRIM_400000_NS6detail17trampoline_kernelINS0_14default_configENS1_20scan_config_selectorIjEEZZNS1_9scan_implILNS1_25lookback_scan_determinismE0ELb1ELb1ES3_N6thrust23THRUST_200600_302600_NS6detail15normal_iteratorINS9_10device_ptrIjEEEENS9_16discard_iteratorINS9_11use_defaultEEEjNS9_4plusIvEEjEEDaPvRmT3_T4_T5_mT6_P12ihipStream_tbENKUlT_T0_E_clISt17integral_constantIbLb0EESW_IbLb1EEEEDaSS_ST_EUlSS_E_NS1_11comp_targetILNS1_3genE9ELNS1_11target_archE1100ELNS1_3gpuE3ELNS1_3repE0EEENS1_30default_config_static_selectorELNS0_4arch9wavefront6targetE1EEEvT1_
    .private_segment_fixed_size: 0
    .sgpr_count:     4
    .sgpr_spill_count: 0
    .symbol:         _ZN7rocprim17ROCPRIM_400000_NS6detail17trampoline_kernelINS0_14default_configENS1_20scan_config_selectorIjEEZZNS1_9scan_implILNS1_25lookback_scan_determinismE0ELb1ELb1ES3_N6thrust23THRUST_200600_302600_NS6detail15normal_iteratorINS9_10device_ptrIjEEEENS9_16discard_iteratorINS9_11use_defaultEEEjNS9_4plusIvEEjEEDaPvRmT3_T4_T5_mT6_P12ihipStream_tbENKUlT_T0_E_clISt17integral_constantIbLb0EESW_IbLb1EEEEDaSS_ST_EUlSS_E_NS1_11comp_targetILNS1_3genE9ELNS1_11target_archE1100ELNS1_3gpuE3ELNS1_3repE0EEENS1_30default_config_static_selectorELNS0_4arch9wavefront6targetE1EEEvT1_.kd
    .uniform_work_group_size: 1
    .uses_dynamic_stack: false
    .vgpr_count:     0
    .vgpr_spill_count: 0
    .wavefront_size: 64
  - .agpr_count:     0
    .args:
      - .offset:         0
        .size:           104
        .value_kind:     by_value
    .group_segment_fixed_size: 0
    .kernarg_segment_align: 8
    .kernarg_segment_size: 104
    .language:       OpenCL C
    .language_version:
      - 2
      - 0
    .max_flat_workgroup_size: 64
    .name:           _ZN7rocprim17ROCPRIM_400000_NS6detail17trampoline_kernelINS0_14default_configENS1_20scan_config_selectorIjEEZZNS1_9scan_implILNS1_25lookback_scan_determinismE0ELb1ELb1ES3_N6thrust23THRUST_200600_302600_NS6detail15normal_iteratorINS9_10device_ptrIjEEEENS9_16discard_iteratorINS9_11use_defaultEEEjNS9_4plusIvEEjEEDaPvRmT3_T4_T5_mT6_P12ihipStream_tbENKUlT_T0_E_clISt17integral_constantIbLb0EESW_IbLb1EEEEDaSS_ST_EUlSS_E_NS1_11comp_targetILNS1_3genE8ELNS1_11target_archE1030ELNS1_3gpuE2ELNS1_3repE0EEENS1_30default_config_static_selectorELNS0_4arch9wavefront6targetE1EEEvT1_
    .private_segment_fixed_size: 0
    .sgpr_count:     4
    .sgpr_spill_count: 0
    .symbol:         _ZN7rocprim17ROCPRIM_400000_NS6detail17trampoline_kernelINS0_14default_configENS1_20scan_config_selectorIjEEZZNS1_9scan_implILNS1_25lookback_scan_determinismE0ELb1ELb1ES3_N6thrust23THRUST_200600_302600_NS6detail15normal_iteratorINS9_10device_ptrIjEEEENS9_16discard_iteratorINS9_11use_defaultEEEjNS9_4plusIvEEjEEDaPvRmT3_T4_T5_mT6_P12ihipStream_tbENKUlT_T0_E_clISt17integral_constantIbLb0EESW_IbLb1EEEEDaSS_ST_EUlSS_E_NS1_11comp_targetILNS1_3genE8ELNS1_11target_archE1030ELNS1_3gpuE2ELNS1_3repE0EEENS1_30default_config_static_selectorELNS0_4arch9wavefront6targetE1EEEvT1_.kd
    .uniform_work_group_size: 1
    .uses_dynamic_stack: false
    .vgpr_count:     0
    .vgpr_spill_count: 0
    .wavefront_size: 64
  - .agpr_count:     0
    .args:
      - .offset:         0
        .size:           40
        .value_kind:     by_value
    .group_segment_fixed_size: 0
    .kernarg_segment_align: 8
    .kernarg_segment_size: 40
    .language:       OpenCL C
    .language_version:
      - 2
      - 0
    .max_flat_workgroup_size: 256
    .name:           _ZN7rocprim17ROCPRIM_400000_NS6detail17trampoline_kernelINS0_14default_configENS1_20scan_config_selectorIjEEZZNS1_9scan_implILNS1_25lookback_scan_determinismE0ELb1ELb1ES3_N6thrust23THRUST_200600_302600_NS6detail15normal_iteratorINS9_10device_ptrIjEEEENS9_16discard_iteratorINS9_11use_defaultEEEjNS9_4plusIvEEjEEDaPvRmT3_T4_T5_mT6_P12ihipStream_tbENKUlT_T0_E_clISt17integral_constantIbLb0EESW_IbLb1EEEEDaSS_ST_EUlSS_E0_NS1_11comp_targetILNS1_3genE0ELNS1_11target_archE4294967295ELNS1_3gpuE0ELNS1_3repE0EEENS1_30default_config_static_selectorELNS0_4arch9wavefront6targetE1EEEvT1_
    .private_segment_fixed_size: 0
    .sgpr_count:     4
    .sgpr_spill_count: 0
    .symbol:         _ZN7rocprim17ROCPRIM_400000_NS6detail17trampoline_kernelINS0_14default_configENS1_20scan_config_selectorIjEEZZNS1_9scan_implILNS1_25lookback_scan_determinismE0ELb1ELb1ES3_N6thrust23THRUST_200600_302600_NS6detail15normal_iteratorINS9_10device_ptrIjEEEENS9_16discard_iteratorINS9_11use_defaultEEEjNS9_4plusIvEEjEEDaPvRmT3_T4_T5_mT6_P12ihipStream_tbENKUlT_T0_E_clISt17integral_constantIbLb0EESW_IbLb1EEEEDaSS_ST_EUlSS_E0_NS1_11comp_targetILNS1_3genE0ELNS1_11target_archE4294967295ELNS1_3gpuE0ELNS1_3repE0EEENS1_30default_config_static_selectorELNS0_4arch9wavefront6targetE1EEEvT1_.kd
    .uniform_work_group_size: 1
    .uses_dynamic_stack: false
    .vgpr_count:     0
    .vgpr_spill_count: 0
    .wavefront_size: 64
  - .agpr_count:     0
    .args:
      - .offset:         0
        .size:           40
        .value_kind:     by_value
    .group_segment_fixed_size: 0
    .kernarg_segment_align: 8
    .kernarg_segment_size: 40
    .language:       OpenCL C
    .language_version:
      - 2
      - 0
    .max_flat_workgroup_size: 256
    .name:           _ZN7rocprim17ROCPRIM_400000_NS6detail17trampoline_kernelINS0_14default_configENS1_20scan_config_selectorIjEEZZNS1_9scan_implILNS1_25lookback_scan_determinismE0ELb1ELb1ES3_N6thrust23THRUST_200600_302600_NS6detail15normal_iteratorINS9_10device_ptrIjEEEENS9_16discard_iteratorINS9_11use_defaultEEEjNS9_4plusIvEEjEEDaPvRmT3_T4_T5_mT6_P12ihipStream_tbENKUlT_T0_E_clISt17integral_constantIbLb0EESW_IbLb1EEEEDaSS_ST_EUlSS_E0_NS1_11comp_targetILNS1_3genE5ELNS1_11target_archE942ELNS1_3gpuE9ELNS1_3repE0EEENS1_30default_config_static_selectorELNS0_4arch9wavefront6targetE1EEEvT1_
    .private_segment_fixed_size: 0
    .sgpr_count:     4
    .sgpr_spill_count: 0
    .symbol:         _ZN7rocprim17ROCPRIM_400000_NS6detail17trampoline_kernelINS0_14default_configENS1_20scan_config_selectorIjEEZZNS1_9scan_implILNS1_25lookback_scan_determinismE0ELb1ELb1ES3_N6thrust23THRUST_200600_302600_NS6detail15normal_iteratorINS9_10device_ptrIjEEEENS9_16discard_iteratorINS9_11use_defaultEEEjNS9_4plusIvEEjEEDaPvRmT3_T4_T5_mT6_P12ihipStream_tbENKUlT_T0_E_clISt17integral_constantIbLb0EESW_IbLb1EEEEDaSS_ST_EUlSS_E0_NS1_11comp_targetILNS1_3genE5ELNS1_11target_archE942ELNS1_3gpuE9ELNS1_3repE0EEENS1_30default_config_static_selectorELNS0_4arch9wavefront6targetE1EEEvT1_.kd
    .uniform_work_group_size: 1
    .uses_dynamic_stack: false
    .vgpr_count:     0
    .vgpr_spill_count: 0
    .wavefront_size: 64
  - .agpr_count:     0
    .args:
      - .offset:         0
        .size:           40
        .value_kind:     by_value
    .group_segment_fixed_size: 5120
    .kernarg_segment_align: 8
    .kernarg_segment_size: 40
    .language:       OpenCL C
    .language_version:
      - 2
      - 0
    .max_flat_workgroup_size: 128
    .name:           _ZN7rocprim17ROCPRIM_400000_NS6detail17trampoline_kernelINS0_14default_configENS1_20scan_config_selectorIjEEZZNS1_9scan_implILNS1_25lookback_scan_determinismE0ELb1ELb1ES3_N6thrust23THRUST_200600_302600_NS6detail15normal_iteratorINS9_10device_ptrIjEEEENS9_16discard_iteratorINS9_11use_defaultEEEjNS9_4plusIvEEjEEDaPvRmT3_T4_T5_mT6_P12ihipStream_tbENKUlT_T0_E_clISt17integral_constantIbLb0EESW_IbLb1EEEEDaSS_ST_EUlSS_E0_NS1_11comp_targetILNS1_3genE4ELNS1_11target_archE910ELNS1_3gpuE8ELNS1_3repE0EEENS1_30default_config_static_selectorELNS0_4arch9wavefront6targetE1EEEvT1_
    .private_segment_fixed_size: 0
    .sgpr_count:     12
    .sgpr_spill_count: 0
    .symbol:         _ZN7rocprim17ROCPRIM_400000_NS6detail17trampoline_kernelINS0_14default_configENS1_20scan_config_selectorIjEEZZNS1_9scan_implILNS1_25lookback_scan_determinismE0ELb1ELb1ES3_N6thrust23THRUST_200600_302600_NS6detail15normal_iteratorINS9_10device_ptrIjEEEENS9_16discard_iteratorINS9_11use_defaultEEEjNS9_4plusIvEEjEEDaPvRmT3_T4_T5_mT6_P12ihipStream_tbENKUlT_T0_E_clISt17integral_constantIbLb0EESW_IbLb1EEEEDaSS_ST_EUlSS_E0_NS1_11comp_targetILNS1_3genE4ELNS1_11target_archE910ELNS1_3gpuE8ELNS1_3repE0EEENS1_30default_config_static_selectorELNS0_4arch9wavefront6targetE1EEEvT1_.kd
    .uniform_work_group_size: 1
    .uses_dynamic_stack: false
    .vgpr_count:     18
    .vgpr_spill_count: 0
    .wavefront_size: 64
  - .agpr_count:     0
    .args:
      - .offset:         0
        .size:           40
        .value_kind:     by_value
    .group_segment_fixed_size: 0
    .kernarg_segment_align: 8
    .kernarg_segment_size: 40
    .language:       OpenCL C
    .language_version:
      - 2
      - 0
    .max_flat_workgroup_size: 256
    .name:           _ZN7rocprim17ROCPRIM_400000_NS6detail17trampoline_kernelINS0_14default_configENS1_20scan_config_selectorIjEEZZNS1_9scan_implILNS1_25lookback_scan_determinismE0ELb1ELb1ES3_N6thrust23THRUST_200600_302600_NS6detail15normal_iteratorINS9_10device_ptrIjEEEENS9_16discard_iteratorINS9_11use_defaultEEEjNS9_4plusIvEEjEEDaPvRmT3_T4_T5_mT6_P12ihipStream_tbENKUlT_T0_E_clISt17integral_constantIbLb0EESW_IbLb1EEEEDaSS_ST_EUlSS_E0_NS1_11comp_targetILNS1_3genE3ELNS1_11target_archE908ELNS1_3gpuE7ELNS1_3repE0EEENS1_30default_config_static_selectorELNS0_4arch9wavefront6targetE1EEEvT1_
    .private_segment_fixed_size: 0
    .sgpr_count:     4
    .sgpr_spill_count: 0
    .symbol:         _ZN7rocprim17ROCPRIM_400000_NS6detail17trampoline_kernelINS0_14default_configENS1_20scan_config_selectorIjEEZZNS1_9scan_implILNS1_25lookback_scan_determinismE0ELb1ELb1ES3_N6thrust23THRUST_200600_302600_NS6detail15normal_iteratorINS9_10device_ptrIjEEEENS9_16discard_iteratorINS9_11use_defaultEEEjNS9_4plusIvEEjEEDaPvRmT3_T4_T5_mT6_P12ihipStream_tbENKUlT_T0_E_clISt17integral_constantIbLb0EESW_IbLb1EEEEDaSS_ST_EUlSS_E0_NS1_11comp_targetILNS1_3genE3ELNS1_11target_archE908ELNS1_3gpuE7ELNS1_3repE0EEENS1_30default_config_static_selectorELNS0_4arch9wavefront6targetE1EEEvT1_.kd
    .uniform_work_group_size: 1
    .uses_dynamic_stack: false
    .vgpr_count:     0
    .vgpr_spill_count: 0
    .wavefront_size: 64
  - .agpr_count:     0
    .args:
      - .offset:         0
        .size:           40
        .value_kind:     by_value
    .group_segment_fixed_size: 0
    .kernarg_segment_align: 8
    .kernarg_segment_size: 40
    .language:       OpenCL C
    .language_version:
      - 2
      - 0
    .max_flat_workgroup_size: 256
    .name:           _ZN7rocprim17ROCPRIM_400000_NS6detail17trampoline_kernelINS0_14default_configENS1_20scan_config_selectorIjEEZZNS1_9scan_implILNS1_25lookback_scan_determinismE0ELb1ELb1ES3_N6thrust23THRUST_200600_302600_NS6detail15normal_iteratorINS9_10device_ptrIjEEEENS9_16discard_iteratorINS9_11use_defaultEEEjNS9_4plusIvEEjEEDaPvRmT3_T4_T5_mT6_P12ihipStream_tbENKUlT_T0_E_clISt17integral_constantIbLb0EESW_IbLb1EEEEDaSS_ST_EUlSS_E0_NS1_11comp_targetILNS1_3genE2ELNS1_11target_archE906ELNS1_3gpuE6ELNS1_3repE0EEENS1_30default_config_static_selectorELNS0_4arch9wavefront6targetE1EEEvT1_
    .private_segment_fixed_size: 0
    .sgpr_count:     4
    .sgpr_spill_count: 0
    .symbol:         _ZN7rocprim17ROCPRIM_400000_NS6detail17trampoline_kernelINS0_14default_configENS1_20scan_config_selectorIjEEZZNS1_9scan_implILNS1_25lookback_scan_determinismE0ELb1ELb1ES3_N6thrust23THRUST_200600_302600_NS6detail15normal_iteratorINS9_10device_ptrIjEEEENS9_16discard_iteratorINS9_11use_defaultEEEjNS9_4plusIvEEjEEDaPvRmT3_T4_T5_mT6_P12ihipStream_tbENKUlT_T0_E_clISt17integral_constantIbLb0EESW_IbLb1EEEEDaSS_ST_EUlSS_E0_NS1_11comp_targetILNS1_3genE2ELNS1_11target_archE906ELNS1_3gpuE6ELNS1_3repE0EEENS1_30default_config_static_selectorELNS0_4arch9wavefront6targetE1EEEvT1_.kd
    .uniform_work_group_size: 1
    .uses_dynamic_stack: false
    .vgpr_count:     0
    .vgpr_spill_count: 0
    .wavefront_size: 64
  - .agpr_count:     0
    .args:
      - .offset:         0
        .size:           40
        .value_kind:     by_value
    .group_segment_fixed_size: 0
    .kernarg_segment_align: 8
    .kernarg_segment_size: 40
    .language:       OpenCL C
    .language_version:
      - 2
      - 0
    .max_flat_workgroup_size: 256
    .name:           _ZN7rocprim17ROCPRIM_400000_NS6detail17trampoline_kernelINS0_14default_configENS1_20scan_config_selectorIjEEZZNS1_9scan_implILNS1_25lookback_scan_determinismE0ELb1ELb1ES3_N6thrust23THRUST_200600_302600_NS6detail15normal_iteratorINS9_10device_ptrIjEEEENS9_16discard_iteratorINS9_11use_defaultEEEjNS9_4plusIvEEjEEDaPvRmT3_T4_T5_mT6_P12ihipStream_tbENKUlT_T0_E_clISt17integral_constantIbLb0EESW_IbLb1EEEEDaSS_ST_EUlSS_E0_NS1_11comp_targetILNS1_3genE10ELNS1_11target_archE1201ELNS1_3gpuE5ELNS1_3repE0EEENS1_30default_config_static_selectorELNS0_4arch9wavefront6targetE1EEEvT1_
    .private_segment_fixed_size: 0
    .sgpr_count:     4
    .sgpr_spill_count: 0
    .symbol:         _ZN7rocprim17ROCPRIM_400000_NS6detail17trampoline_kernelINS0_14default_configENS1_20scan_config_selectorIjEEZZNS1_9scan_implILNS1_25lookback_scan_determinismE0ELb1ELb1ES3_N6thrust23THRUST_200600_302600_NS6detail15normal_iteratorINS9_10device_ptrIjEEEENS9_16discard_iteratorINS9_11use_defaultEEEjNS9_4plusIvEEjEEDaPvRmT3_T4_T5_mT6_P12ihipStream_tbENKUlT_T0_E_clISt17integral_constantIbLb0EESW_IbLb1EEEEDaSS_ST_EUlSS_E0_NS1_11comp_targetILNS1_3genE10ELNS1_11target_archE1201ELNS1_3gpuE5ELNS1_3repE0EEENS1_30default_config_static_selectorELNS0_4arch9wavefront6targetE1EEEvT1_.kd
    .uniform_work_group_size: 1
    .uses_dynamic_stack: false
    .vgpr_count:     0
    .vgpr_spill_count: 0
    .wavefront_size: 64
  - .agpr_count:     0
    .args:
      - .offset:         0
        .size:           40
        .value_kind:     by_value
    .group_segment_fixed_size: 0
    .kernarg_segment_align: 8
    .kernarg_segment_size: 40
    .language:       OpenCL C
    .language_version:
      - 2
      - 0
    .max_flat_workgroup_size: 256
    .name:           _ZN7rocprim17ROCPRIM_400000_NS6detail17trampoline_kernelINS0_14default_configENS1_20scan_config_selectorIjEEZZNS1_9scan_implILNS1_25lookback_scan_determinismE0ELb1ELb1ES3_N6thrust23THRUST_200600_302600_NS6detail15normal_iteratorINS9_10device_ptrIjEEEENS9_16discard_iteratorINS9_11use_defaultEEEjNS9_4plusIvEEjEEDaPvRmT3_T4_T5_mT6_P12ihipStream_tbENKUlT_T0_E_clISt17integral_constantIbLb0EESW_IbLb1EEEEDaSS_ST_EUlSS_E0_NS1_11comp_targetILNS1_3genE10ELNS1_11target_archE1200ELNS1_3gpuE4ELNS1_3repE0EEENS1_30default_config_static_selectorELNS0_4arch9wavefront6targetE1EEEvT1_
    .private_segment_fixed_size: 0
    .sgpr_count:     4
    .sgpr_spill_count: 0
    .symbol:         _ZN7rocprim17ROCPRIM_400000_NS6detail17trampoline_kernelINS0_14default_configENS1_20scan_config_selectorIjEEZZNS1_9scan_implILNS1_25lookback_scan_determinismE0ELb1ELb1ES3_N6thrust23THRUST_200600_302600_NS6detail15normal_iteratorINS9_10device_ptrIjEEEENS9_16discard_iteratorINS9_11use_defaultEEEjNS9_4plusIvEEjEEDaPvRmT3_T4_T5_mT6_P12ihipStream_tbENKUlT_T0_E_clISt17integral_constantIbLb0EESW_IbLb1EEEEDaSS_ST_EUlSS_E0_NS1_11comp_targetILNS1_3genE10ELNS1_11target_archE1200ELNS1_3gpuE4ELNS1_3repE0EEENS1_30default_config_static_selectorELNS0_4arch9wavefront6targetE1EEEvT1_.kd
    .uniform_work_group_size: 1
    .uses_dynamic_stack: false
    .vgpr_count:     0
    .vgpr_spill_count: 0
    .wavefront_size: 64
  - .agpr_count:     0
    .args:
      - .offset:         0
        .size:           40
        .value_kind:     by_value
    .group_segment_fixed_size: 0
    .kernarg_segment_align: 8
    .kernarg_segment_size: 40
    .language:       OpenCL C
    .language_version:
      - 2
      - 0
    .max_flat_workgroup_size: 256
    .name:           _ZN7rocprim17ROCPRIM_400000_NS6detail17trampoline_kernelINS0_14default_configENS1_20scan_config_selectorIjEEZZNS1_9scan_implILNS1_25lookback_scan_determinismE0ELb1ELb1ES3_N6thrust23THRUST_200600_302600_NS6detail15normal_iteratorINS9_10device_ptrIjEEEENS9_16discard_iteratorINS9_11use_defaultEEEjNS9_4plusIvEEjEEDaPvRmT3_T4_T5_mT6_P12ihipStream_tbENKUlT_T0_E_clISt17integral_constantIbLb0EESW_IbLb1EEEEDaSS_ST_EUlSS_E0_NS1_11comp_targetILNS1_3genE9ELNS1_11target_archE1100ELNS1_3gpuE3ELNS1_3repE0EEENS1_30default_config_static_selectorELNS0_4arch9wavefront6targetE1EEEvT1_
    .private_segment_fixed_size: 0
    .sgpr_count:     4
    .sgpr_spill_count: 0
    .symbol:         _ZN7rocprim17ROCPRIM_400000_NS6detail17trampoline_kernelINS0_14default_configENS1_20scan_config_selectorIjEEZZNS1_9scan_implILNS1_25lookback_scan_determinismE0ELb1ELb1ES3_N6thrust23THRUST_200600_302600_NS6detail15normal_iteratorINS9_10device_ptrIjEEEENS9_16discard_iteratorINS9_11use_defaultEEEjNS9_4plusIvEEjEEDaPvRmT3_T4_T5_mT6_P12ihipStream_tbENKUlT_T0_E_clISt17integral_constantIbLb0EESW_IbLb1EEEEDaSS_ST_EUlSS_E0_NS1_11comp_targetILNS1_3genE9ELNS1_11target_archE1100ELNS1_3gpuE3ELNS1_3repE0EEENS1_30default_config_static_selectorELNS0_4arch9wavefront6targetE1EEEvT1_.kd
    .uniform_work_group_size: 1
    .uses_dynamic_stack: false
    .vgpr_count:     0
    .vgpr_spill_count: 0
    .wavefront_size: 64
  - .agpr_count:     0
    .args:
      - .offset:         0
        .size:           40
        .value_kind:     by_value
    .group_segment_fixed_size: 0
    .kernarg_segment_align: 8
    .kernarg_segment_size: 40
    .language:       OpenCL C
    .language_version:
      - 2
      - 0
    .max_flat_workgroup_size: 64
    .name:           _ZN7rocprim17ROCPRIM_400000_NS6detail17trampoline_kernelINS0_14default_configENS1_20scan_config_selectorIjEEZZNS1_9scan_implILNS1_25lookback_scan_determinismE0ELb1ELb1ES3_N6thrust23THRUST_200600_302600_NS6detail15normal_iteratorINS9_10device_ptrIjEEEENS9_16discard_iteratorINS9_11use_defaultEEEjNS9_4plusIvEEjEEDaPvRmT3_T4_T5_mT6_P12ihipStream_tbENKUlT_T0_E_clISt17integral_constantIbLb0EESW_IbLb1EEEEDaSS_ST_EUlSS_E0_NS1_11comp_targetILNS1_3genE8ELNS1_11target_archE1030ELNS1_3gpuE2ELNS1_3repE0EEENS1_30default_config_static_selectorELNS0_4arch9wavefront6targetE1EEEvT1_
    .private_segment_fixed_size: 0
    .sgpr_count:     4
    .sgpr_spill_count: 0
    .symbol:         _ZN7rocprim17ROCPRIM_400000_NS6detail17trampoline_kernelINS0_14default_configENS1_20scan_config_selectorIjEEZZNS1_9scan_implILNS1_25lookback_scan_determinismE0ELb1ELb1ES3_N6thrust23THRUST_200600_302600_NS6detail15normal_iteratorINS9_10device_ptrIjEEEENS9_16discard_iteratorINS9_11use_defaultEEEjNS9_4plusIvEEjEEDaPvRmT3_T4_T5_mT6_P12ihipStream_tbENKUlT_T0_E_clISt17integral_constantIbLb0EESW_IbLb1EEEEDaSS_ST_EUlSS_E0_NS1_11comp_targetILNS1_3genE8ELNS1_11target_archE1030ELNS1_3gpuE2ELNS1_3repE0EEENS1_30default_config_static_selectorELNS0_4arch9wavefront6targetE1EEEvT1_.kd
    .uniform_work_group_size: 1
    .uses_dynamic_stack: false
    .vgpr_count:     0
    .vgpr_spill_count: 0
    .wavefront_size: 64
  - .agpr_count:     0
    .args:
      - .offset:         0
        .size:           104
        .value_kind:     by_value
    .group_segment_fixed_size: 0
    .kernarg_segment_align: 8
    .kernarg_segment_size: 104
    .language:       OpenCL C
    .language_version:
      - 2
      - 0
    .max_flat_workgroup_size: 128
    .name:           _ZN7rocprim17ROCPRIM_400000_NS6detail17trampoline_kernelINS0_14default_configENS1_20scan_config_selectorItEEZZNS1_9scan_implILNS1_25lookback_scan_determinismE0ELb0ELb0ES3_N6thrust23THRUST_200600_302600_NS6detail15normal_iteratorINS9_10device_ptrItEEEENS9_16discard_iteratorINS9_11use_defaultEEEtNS9_4plusIvEEtEEDaPvRmT3_T4_T5_mT6_P12ihipStream_tbENKUlT_T0_E_clISt17integral_constantIbLb0EESX_EEDaSS_ST_EUlSS_E_NS1_11comp_targetILNS1_3genE0ELNS1_11target_archE4294967295ELNS1_3gpuE0ELNS1_3repE0EEENS1_30default_config_static_selectorELNS0_4arch9wavefront6targetE1EEEvT1_
    .private_segment_fixed_size: 0
    .sgpr_count:     4
    .sgpr_spill_count: 0
    .symbol:         _ZN7rocprim17ROCPRIM_400000_NS6detail17trampoline_kernelINS0_14default_configENS1_20scan_config_selectorItEEZZNS1_9scan_implILNS1_25lookback_scan_determinismE0ELb0ELb0ES3_N6thrust23THRUST_200600_302600_NS6detail15normal_iteratorINS9_10device_ptrItEEEENS9_16discard_iteratorINS9_11use_defaultEEEtNS9_4plusIvEEtEEDaPvRmT3_T4_T5_mT6_P12ihipStream_tbENKUlT_T0_E_clISt17integral_constantIbLb0EESX_EEDaSS_ST_EUlSS_E_NS1_11comp_targetILNS1_3genE0ELNS1_11target_archE4294967295ELNS1_3gpuE0ELNS1_3repE0EEENS1_30default_config_static_selectorELNS0_4arch9wavefront6targetE1EEEvT1_.kd
    .uniform_work_group_size: 1
    .uses_dynamic_stack: false
    .vgpr_count:     0
    .vgpr_spill_count: 0
    .wavefront_size: 64
  - .agpr_count:     0
    .args:
      - .offset:         0
        .size:           104
        .value_kind:     by_value
    .group_segment_fixed_size: 0
    .kernarg_segment_align: 8
    .kernarg_segment_size: 104
    .language:       OpenCL C
    .language_version:
      - 2
      - 0
    .max_flat_workgroup_size: 256
    .name:           _ZN7rocprim17ROCPRIM_400000_NS6detail17trampoline_kernelINS0_14default_configENS1_20scan_config_selectorItEEZZNS1_9scan_implILNS1_25lookback_scan_determinismE0ELb0ELb0ES3_N6thrust23THRUST_200600_302600_NS6detail15normal_iteratorINS9_10device_ptrItEEEENS9_16discard_iteratorINS9_11use_defaultEEEtNS9_4plusIvEEtEEDaPvRmT3_T4_T5_mT6_P12ihipStream_tbENKUlT_T0_E_clISt17integral_constantIbLb0EESX_EEDaSS_ST_EUlSS_E_NS1_11comp_targetILNS1_3genE5ELNS1_11target_archE942ELNS1_3gpuE9ELNS1_3repE0EEENS1_30default_config_static_selectorELNS0_4arch9wavefront6targetE1EEEvT1_
    .private_segment_fixed_size: 0
    .sgpr_count:     4
    .sgpr_spill_count: 0
    .symbol:         _ZN7rocprim17ROCPRIM_400000_NS6detail17trampoline_kernelINS0_14default_configENS1_20scan_config_selectorItEEZZNS1_9scan_implILNS1_25lookback_scan_determinismE0ELb0ELb0ES3_N6thrust23THRUST_200600_302600_NS6detail15normal_iteratorINS9_10device_ptrItEEEENS9_16discard_iteratorINS9_11use_defaultEEEtNS9_4plusIvEEtEEDaPvRmT3_T4_T5_mT6_P12ihipStream_tbENKUlT_T0_E_clISt17integral_constantIbLb0EESX_EEDaSS_ST_EUlSS_E_NS1_11comp_targetILNS1_3genE5ELNS1_11target_archE942ELNS1_3gpuE9ELNS1_3repE0EEENS1_30default_config_static_selectorELNS0_4arch9wavefront6targetE1EEEvT1_.kd
    .uniform_work_group_size: 1
    .uses_dynamic_stack: false
    .vgpr_count:     0
    .vgpr_spill_count: 0
    .wavefront_size: 64
  - .agpr_count:     0
    .args:
      - .offset:         0
        .size:           104
        .value_kind:     by_value
    .group_segment_fixed_size: 3072
    .kernarg_segment_align: 8
    .kernarg_segment_size: 104
    .language:       OpenCL C
    .language_version:
      - 2
      - 0
    .max_flat_workgroup_size: 64
    .name:           _ZN7rocprim17ROCPRIM_400000_NS6detail17trampoline_kernelINS0_14default_configENS1_20scan_config_selectorItEEZZNS1_9scan_implILNS1_25lookback_scan_determinismE0ELb0ELb0ES3_N6thrust23THRUST_200600_302600_NS6detail15normal_iteratorINS9_10device_ptrItEEEENS9_16discard_iteratorINS9_11use_defaultEEEtNS9_4plusIvEEtEEDaPvRmT3_T4_T5_mT6_P12ihipStream_tbENKUlT_T0_E_clISt17integral_constantIbLb0EESX_EEDaSS_ST_EUlSS_E_NS1_11comp_targetILNS1_3genE4ELNS1_11target_archE910ELNS1_3gpuE8ELNS1_3repE0EEENS1_30default_config_static_selectorELNS0_4arch9wavefront6targetE1EEEvT1_
    .private_segment_fixed_size: 0
    .sgpr_count:     30
    .sgpr_spill_count: 0
    .symbol:         _ZN7rocprim17ROCPRIM_400000_NS6detail17trampoline_kernelINS0_14default_configENS1_20scan_config_selectorItEEZZNS1_9scan_implILNS1_25lookback_scan_determinismE0ELb0ELb0ES3_N6thrust23THRUST_200600_302600_NS6detail15normal_iteratorINS9_10device_ptrItEEEENS9_16discard_iteratorINS9_11use_defaultEEEtNS9_4plusIvEEtEEDaPvRmT3_T4_T5_mT6_P12ihipStream_tbENKUlT_T0_E_clISt17integral_constantIbLb0EESX_EEDaSS_ST_EUlSS_E_NS1_11comp_targetILNS1_3genE4ELNS1_11target_archE910ELNS1_3gpuE8ELNS1_3repE0EEENS1_30default_config_static_selectorELNS0_4arch9wavefront6targetE1EEEvT1_.kd
    .uniform_work_group_size: 1
    .uses_dynamic_stack: false
    .vgpr_count:     43
    .vgpr_spill_count: 0
    .wavefront_size: 64
  - .agpr_count:     0
    .args:
      - .offset:         0
        .size:           104
        .value_kind:     by_value
    .group_segment_fixed_size: 0
    .kernarg_segment_align: 8
    .kernarg_segment_size: 104
    .language:       OpenCL C
    .language_version:
      - 2
      - 0
    .max_flat_workgroup_size: 128
    .name:           _ZN7rocprim17ROCPRIM_400000_NS6detail17trampoline_kernelINS0_14default_configENS1_20scan_config_selectorItEEZZNS1_9scan_implILNS1_25lookback_scan_determinismE0ELb0ELb0ES3_N6thrust23THRUST_200600_302600_NS6detail15normal_iteratorINS9_10device_ptrItEEEENS9_16discard_iteratorINS9_11use_defaultEEEtNS9_4plusIvEEtEEDaPvRmT3_T4_T5_mT6_P12ihipStream_tbENKUlT_T0_E_clISt17integral_constantIbLb0EESX_EEDaSS_ST_EUlSS_E_NS1_11comp_targetILNS1_3genE3ELNS1_11target_archE908ELNS1_3gpuE7ELNS1_3repE0EEENS1_30default_config_static_selectorELNS0_4arch9wavefront6targetE1EEEvT1_
    .private_segment_fixed_size: 0
    .sgpr_count:     4
    .sgpr_spill_count: 0
    .symbol:         _ZN7rocprim17ROCPRIM_400000_NS6detail17trampoline_kernelINS0_14default_configENS1_20scan_config_selectorItEEZZNS1_9scan_implILNS1_25lookback_scan_determinismE0ELb0ELb0ES3_N6thrust23THRUST_200600_302600_NS6detail15normal_iteratorINS9_10device_ptrItEEEENS9_16discard_iteratorINS9_11use_defaultEEEtNS9_4plusIvEEtEEDaPvRmT3_T4_T5_mT6_P12ihipStream_tbENKUlT_T0_E_clISt17integral_constantIbLb0EESX_EEDaSS_ST_EUlSS_E_NS1_11comp_targetILNS1_3genE3ELNS1_11target_archE908ELNS1_3gpuE7ELNS1_3repE0EEENS1_30default_config_static_selectorELNS0_4arch9wavefront6targetE1EEEvT1_.kd
    .uniform_work_group_size: 1
    .uses_dynamic_stack: false
    .vgpr_count:     0
    .vgpr_spill_count: 0
    .wavefront_size: 64
  - .agpr_count:     0
    .args:
      - .offset:         0
        .size:           104
        .value_kind:     by_value
    .group_segment_fixed_size: 0
    .kernarg_segment_align: 8
    .kernarg_segment_size: 104
    .language:       OpenCL C
    .language_version:
      - 2
      - 0
    .max_flat_workgroup_size: 256
    .name:           _ZN7rocprim17ROCPRIM_400000_NS6detail17trampoline_kernelINS0_14default_configENS1_20scan_config_selectorItEEZZNS1_9scan_implILNS1_25lookback_scan_determinismE0ELb0ELb0ES3_N6thrust23THRUST_200600_302600_NS6detail15normal_iteratorINS9_10device_ptrItEEEENS9_16discard_iteratorINS9_11use_defaultEEEtNS9_4plusIvEEtEEDaPvRmT3_T4_T5_mT6_P12ihipStream_tbENKUlT_T0_E_clISt17integral_constantIbLb0EESX_EEDaSS_ST_EUlSS_E_NS1_11comp_targetILNS1_3genE2ELNS1_11target_archE906ELNS1_3gpuE6ELNS1_3repE0EEENS1_30default_config_static_selectorELNS0_4arch9wavefront6targetE1EEEvT1_
    .private_segment_fixed_size: 0
    .sgpr_count:     4
    .sgpr_spill_count: 0
    .symbol:         _ZN7rocprim17ROCPRIM_400000_NS6detail17trampoline_kernelINS0_14default_configENS1_20scan_config_selectorItEEZZNS1_9scan_implILNS1_25lookback_scan_determinismE0ELb0ELb0ES3_N6thrust23THRUST_200600_302600_NS6detail15normal_iteratorINS9_10device_ptrItEEEENS9_16discard_iteratorINS9_11use_defaultEEEtNS9_4plusIvEEtEEDaPvRmT3_T4_T5_mT6_P12ihipStream_tbENKUlT_T0_E_clISt17integral_constantIbLb0EESX_EEDaSS_ST_EUlSS_E_NS1_11comp_targetILNS1_3genE2ELNS1_11target_archE906ELNS1_3gpuE6ELNS1_3repE0EEENS1_30default_config_static_selectorELNS0_4arch9wavefront6targetE1EEEvT1_.kd
    .uniform_work_group_size: 1
    .uses_dynamic_stack: false
    .vgpr_count:     0
    .vgpr_spill_count: 0
    .wavefront_size: 64
  - .agpr_count:     0
    .args:
      - .offset:         0
        .size:           104
        .value_kind:     by_value
    .group_segment_fixed_size: 0
    .kernarg_segment_align: 8
    .kernarg_segment_size: 104
    .language:       OpenCL C
    .language_version:
      - 2
      - 0
    .max_flat_workgroup_size: 256
    .name:           _ZN7rocprim17ROCPRIM_400000_NS6detail17trampoline_kernelINS0_14default_configENS1_20scan_config_selectorItEEZZNS1_9scan_implILNS1_25lookback_scan_determinismE0ELb0ELb0ES3_N6thrust23THRUST_200600_302600_NS6detail15normal_iteratorINS9_10device_ptrItEEEENS9_16discard_iteratorINS9_11use_defaultEEEtNS9_4plusIvEEtEEDaPvRmT3_T4_T5_mT6_P12ihipStream_tbENKUlT_T0_E_clISt17integral_constantIbLb0EESX_EEDaSS_ST_EUlSS_E_NS1_11comp_targetILNS1_3genE10ELNS1_11target_archE1201ELNS1_3gpuE5ELNS1_3repE0EEENS1_30default_config_static_selectorELNS0_4arch9wavefront6targetE1EEEvT1_
    .private_segment_fixed_size: 0
    .sgpr_count:     4
    .sgpr_spill_count: 0
    .symbol:         _ZN7rocprim17ROCPRIM_400000_NS6detail17trampoline_kernelINS0_14default_configENS1_20scan_config_selectorItEEZZNS1_9scan_implILNS1_25lookback_scan_determinismE0ELb0ELb0ES3_N6thrust23THRUST_200600_302600_NS6detail15normal_iteratorINS9_10device_ptrItEEEENS9_16discard_iteratorINS9_11use_defaultEEEtNS9_4plusIvEEtEEDaPvRmT3_T4_T5_mT6_P12ihipStream_tbENKUlT_T0_E_clISt17integral_constantIbLb0EESX_EEDaSS_ST_EUlSS_E_NS1_11comp_targetILNS1_3genE10ELNS1_11target_archE1201ELNS1_3gpuE5ELNS1_3repE0EEENS1_30default_config_static_selectorELNS0_4arch9wavefront6targetE1EEEvT1_.kd
    .uniform_work_group_size: 1
    .uses_dynamic_stack: false
    .vgpr_count:     0
    .vgpr_spill_count: 0
    .wavefront_size: 64
  - .agpr_count:     0
    .args:
      - .offset:         0
        .size:           104
        .value_kind:     by_value
    .group_segment_fixed_size: 0
    .kernarg_segment_align: 8
    .kernarg_segment_size: 104
    .language:       OpenCL C
    .language_version:
      - 2
      - 0
    .max_flat_workgroup_size: 256
    .name:           _ZN7rocprim17ROCPRIM_400000_NS6detail17trampoline_kernelINS0_14default_configENS1_20scan_config_selectorItEEZZNS1_9scan_implILNS1_25lookback_scan_determinismE0ELb0ELb0ES3_N6thrust23THRUST_200600_302600_NS6detail15normal_iteratorINS9_10device_ptrItEEEENS9_16discard_iteratorINS9_11use_defaultEEEtNS9_4plusIvEEtEEDaPvRmT3_T4_T5_mT6_P12ihipStream_tbENKUlT_T0_E_clISt17integral_constantIbLb0EESX_EEDaSS_ST_EUlSS_E_NS1_11comp_targetILNS1_3genE10ELNS1_11target_archE1200ELNS1_3gpuE4ELNS1_3repE0EEENS1_30default_config_static_selectorELNS0_4arch9wavefront6targetE1EEEvT1_
    .private_segment_fixed_size: 0
    .sgpr_count:     4
    .sgpr_spill_count: 0
    .symbol:         _ZN7rocprim17ROCPRIM_400000_NS6detail17trampoline_kernelINS0_14default_configENS1_20scan_config_selectorItEEZZNS1_9scan_implILNS1_25lookback_scan_determinismE0ELb0ELb0ES3_N6thrust23THRUST_200600_302600_NS6detail15normal_iteratorINS9_10device_ptrItEEEENS9_16discard_iteratorINS9_11use_defaultEEEtNS9_4plusIvEEtEEDaPvRmT3_T4_T5_mT6_P12ihipStream_tbENKUlT_T0_E_clISt17integral_constantIbLb0EESX_EEDaSS_ST_EUlSS_E_NS1_11comp_targetILNS1_3genE10ELNS1_11target_archE1200ELNS1_3gpuE4ELNS1_3repE0EEENS1_30default_config_static_selectorELNS0_4arch9wavefront6targetE1EEEvT1_.kd
    .uniform_work_group_size: 1
    .uses_dynamic_stack: false
    .vgpr_count:     0
    .vgpr_spill_count: 0
    .wavefront_size: 64
  - .agpr_count:     0
    .args:
      - .offset:         0
        .size:           104
        .value_kind:     by_value
    .group_segment_fixed_size: 0
    .kernarg_segment_align: 8
    .kernarg_segment_size: 104
    .language:       OpenCL C
    .language_version:
      - 2
      - 0
    .max_flat_workgroup_size: 64
    .name:           _ZN7rocprim17ROCPRIM_400000_NS6detail17trampoline_kernelINS0_14default_configENS1_20scan_config_selectorItEEZZNS1_9scan_implILNS1_25lookback_scan_determinismE0ELb0ELb0ES3_N6thrust23THRUST_200600_302600_NS6detail15normal_iteratorINS9_10device_ptrItEEEENS9_16discard_iteratorINS9_11use_defaultEEEtNS9_4plusIvEEtEEDaPvRmT3_T4_T5_mT6_P12ihipStream_tbENKUlT_T0_E_clISt17integral_constantIbLb0EESX_EEDaSS_ST_EUlSS_E_NS1_11comp_targetILNS1_3genE9ELNS1_11target_archE1100ELNS1_3gpuE3ELNS1_3repE0EEENS1_30default_config_static_selectorELNS0_4arch9wavefront6targetE1EEEvT1_
    .private_segment_fixed_size: 0
    .sgpr_count:     4
    .sgpr_spill_count: 0
    .symbol:         _ZN7rocprim17ROCPRIM_400000_NS6detail17trampoline_kernelINS0_14default_configENS1_20scan_config_selectorItEEZZNS1_9scan_implILNS1_25lookback_scan_determinismE0ELb0ELb0ES3_N6thrust23THRUST_200600_302600_NS6detail15normal_iteratorINS9_10device_ptrItEEEENS9_16discard_iteratorINS9_11use_defaultEEEtNS9_4plusIvEEtEEDaPvRmT3_T4_T5_mT6_P12ihipStream_tbENKUlT_T0_E_clISt17integral_constantIbLb0EESX_EEDaSS_ST_EUlSS_E_NS1_11comp_targetILNS1_3genE9ELNS1_11target_archE1100ELNS1_3gpuE3ELNS1_3repE0EEENS1_30default_config_static_selectorELNS0_4arch9wavefront6targetE1EEEvT1_.kd
    .uniform_work_group_size: 1
    .uses_dynamic_stack: false
    .vgpr_count:     0
    .vgpr_spill_count: 0
    .wavefront_size: 64
  - .agpr_count:     0
    .args:
      - .offset:         0
        .size:           104
        .value_kind:     by_value
    .group_segment_fixed_size: 0
    .kernarg_segment_align: 8
    .kernarg_segment_size: 104
    .language:       OpenCL C
    .language_version:
      - 2
      - 0
    .max_flat_workgroup_size: 64
    .name:           _ZN7rocprim17ROCPRIM_400000_NS6detail17trampoline_kernelINS0_14default_configENS1_20scan_config_selectorItEEZZNS1_9scan_implILNS1_25lookback_scan_determinismE0ELb0ELb0ES3_N6thrust23THRUST_200600_302600_NS6detail15normal_iteratorINS9_10device_ptrItEEEENS9_16discard_iteratorINS9_11use_defaultEEEtNS9_4plusIvEEtEEDaPvRmT3_T4_T5_mT6_P12ihipStream_tbENKUlT_T0_E_clISt17integral_constantIbLb0EESX_EEDaSS_ST_EUlSS_E_NS1_11comp_targetILNS1_3genE8ELNS1_11target_archE1030ELNS1_3gpuE2ELNS1_3repE0EEENS1_30default_config_static_selectorELNS0_4arch9wavefront6targetE1EEEvT1_
    .private_segment_fixed_size: 0
    .sgpr_count:     4
    .sgpr_spill_count: 0
    .symbol:         _ZN7rocprim17ROCPRIM_400000_NS6detail17trampoline_kernelINS0_14default_configENS1_20scan_config_selectorItEEZZNS1_9scan_implILNS1_25lookback_scan_determinismE0ELb0ELb0ES3_N6thrust23THRUST_200600_302600_NS6detail15normal_iteratorINS9_10device_ptrItEEEENS9_16discard_iteratorINS9_11use_defaultEEEtNS9_4plusIvEEtEEDaPvRmT3_T4_T5_mT6_P12ihipStream_tbENKUlT_T0_E_clISt17integral_constantIbLb0EESX_EEDaSS_ST_EUlSS_E_NS1_11comp_targetILNS1_3genE8ELNS1_11target_archE1030ELNS1_3gpuE2ELNS1_3repE0EEENS1_30default_config_static_selectorELNS0_4arch9wavefront6targetE1EEEvT1_.kd
    .uniform_work_group_size: 1
    .uses_dynamic_stack: false
    .vgpr_count:     0
    .vgpr_spill_count: 0
    .wavefront_size: 64
  - .agpr_count:     0
    .args:
      - .offset:         0
        .size:           40
        .value_kind:     by_value
    .group_segment_fixed_size: 0
    .kernarg_segment_align: 8
    .kernarg_segment_size: 40
    .language:       OpenCL C
    .language_version:
      - 2
      - 0
    .max_flat_workgroup_size: 128
    .name:           _ZN7rocprim17ROCPRIM_400000_NS6detail17trampoline_kernelINS0_14default_configENS1_20scan_config_selectorItEEZZNS1_9scan_implILNS1_25lookback_scan_determinismE0ELb0ELb0ES3_N6thrust23THRUST_200600_302600_NS6detail15normal_iteratorINS9_10device_ptrItEEEENS9_16discard_iteratorINS9_11use_defaultEEEtNS9_4plusIvEEtEEDaPvRmT3_T4_T5_mT6_P12ihipStream_tbENKUlT_T0_E_clISt17integral_constantIbLb0EESX_EEDaSS_ST_EUlSS_E0_NS1_11comp_targetILNS1_3genE0ELNS1_11target_archE4294967295ELNS1_3gpuE0ELNS1_3repE0EEENS1_30default_config_static_selectorELNS0_4arch9wavefront6targetE1EEEvT1_
    .private_segment_fixed_size: 0
    .sgpr_count:     4
    .sgpr_spill_count: 0
    .symbol:         _ZN7rocprim17ROCPRIM_400000_NS6detail17trampoline_kernelINS0_14default_configENS1_20scan_config_selectorItEEZZNS1_9scan_implILNS1_25lookback_scan_determinismE0ELb0ELb0ES3_N6thrust23THRUST_200600_302600_NS6detail15normal_iteratorINS9_10device_ptrItEEEENS9_16discard_iteratorINS9_11use_defaultEEEtNS9_4plusIvEEtEEDaPvRmT3_T4_T5_mT6_P12ihipStream_tbENKUlT_T0_E_clISt17integral_constantIbLb0EESX_EEDaSS_ST_EUlSS_E0_NS1_11comp_targetILNS1_3genE0ELNS1_11target_archE4294967295ELNS1_3gpuE0ELNS1_3repE0EEENS1_30default_config_static_selectorELNS0_4arch9wavefront6targetE1EEEvT1_.kd
    .uniform_work_group_size: 1
    .uses_dynamic_stack: false
    .vgpr_count:     0
    .vgpr_spill_count: 0
    .wavefront_size: 64
  - .agpr_count:     0
    .args:
      - .offset:         0
        .size:           40
        .value_kind:     by_value
    .group_segment_fixed_size: 0
    .kernarg_segment_align: 8
    .kernarg_segment_size: 40
    .language:       OpenCL C
    .language_version:
      - 2
      - 0
    .max_flat_workgroup_size: 256
    .name:           _ZN7rocprim17ROCPRIM_400000_NS6detail17trampoline_kernelINS0_14default_configENS1_20scan_config_selectorItEEZZNS1_9scan_implILNS1_25lookback_scan_determinismE0ELb0ELb0ES3_N6thrust23THRUST_200600_302600_NS6detail15normal_iteratorINS9_10device_ptrItEEEENS9_16discard_iteratorINS9_11use_defaultEEEtNS9_4plusIvEEtEEDaPvRmT3_T4_T5_mT6_P12ihipStream_tbENKUlT_T0_E_clISt17integral_constantIbLb0EESX_EEDaSS_ST_EUlSS_E0_NS1_11comp_targetILNS1_3genE5ELNS1_11target_archE942ELNS1_3gpuE9ELNS1_3repE0EEENS1_30default_config_static_selectorELNS0_4arch9wavefront6targetE1EEEvT1_
    .private_segment_fixed_size: 0
    .sgpr_count:     4
    .sgpr_spill_count: 0
    .symbol:         _ZN7rocprim17ROCPRIM_400000_NS6detail17trampoline_kernelINS0_14default_configENS1_20scan_config_selectorItEEZZNS1_9scan_implILNS1_25lookback_scan_determinismE0ELb0ELb0ES3_N6thrust23THRUST_200600_302600_NS6detail15normal_iteratorINS9_10device_ptrItEEEENS9_16discard_iteratorINS9_11use_defaultEEEtNS9_4plusIvEEtEEDaPvRmT3_T4_T5_mT6_P12ihipStream_tbENKUlT_T0_E_clISt17integral_constantIbLb0EESX_EEDaSS_ST_EUlSS_E0_NS1_11comp_targetILNS1_3genE5ELNS1_11target_archE942ELNS1_3gpuE9ELNS1_3repE0EEENS1_30default_config_static_selectorELNS0_4arch9wavefront6targetE1EEEvT1_.kd
    .uniform_work_group_size: 1
    .uses_dynamic_stack: false
    .vgpr_count:     0
    .vgpr_spill_count: 0
    .wavefront_size: 64
  - .agpr_count:     0
    .args:
      - .offset:         0
        .size:           40
        .value_kind:     by_value
    .group_segment_fixed_size: 3072
    .kernarg_segment_align: 8
    .kernarg_segment_size: 40
    .language:       OpenCL C
    .language_version:
      - 2
      - 0
    .max_flat_workgroup_size: 64
    .name:           _ZN7rocprim17ROCPRIM_400000_NS6detail17trampoline_kernelINS0_14default_configENS1_20scan_config_selectorItEEZZNS1_9scan_implILNS1_25lookback_scan_determinismE0ELb0ELb0ES3_N6thrust23THRUST_200600_302600_NS6detail15normal_iteratorINS9_10device_ptrItEEEENS9_16discard_iteratorINS9_11use_defaultEEEtNS9_4plusIvEEtEEDaPvRmT3_T4_T5_mT6_P12ihipStream_tbENKUlT_T0_E_clISt17integral_constantIbLb0EESX_EEDaSS_ST_EUlSS_E0_NS1_11comp_targetILNS1_3genE4ELNS1_11target_archE910ELNS1_3gpuE8ELNS1_3repE0EEENS1_30default_config_static_selectorELNS0_4arch9wavefront6targetE1EEEvT1_
    .private_segment_fixed_size: 0
    .sgpr_count:     10
    .sgpr_spill_count: 0
    .symbol:         _ZN7rocprim17ROCPRIM_400000_NS6detail17trampoline_kernelINS0_14default_configENS1_20scan_config_selectorItEEZZNS1_9scan_implILNS1_25lookback_scan_determinismE0ELb0ELb0ES3_N6thrust23THRUST_200600_302600_NS6detail15normal_iteratorINS9_10device_ptrItEEEENS9_16discard_iteratorINS9_11use_defaultEEEtNS9_4plusIvEEtEEDaPvRmT3_T4_T5_mT6_P12ihipStream_tbENKUlT_T0_E_clISt17integral_constantIbLb0EESX_EEDaSS_ST_EUlSS_E0_NS1_11comp_targetILNS1_3genE4ELNS1_11target_archE910ELNS1_3gpuE8ELNS1_3repE0EEENS1_30default_config_static_selectorELNS0_4arch9wavefront6targetE1EEEvT1_.kd
    .uniform_work_group_size: 1
    .uses_dynamic_stack: false
    .vgpr_count:     41
    .vgpr_spill_count: 0
    .wavefront_size: 64
  - .agpr_count:     0
    .args:
      - .offset:         0
        .size:           40
        .value_kind:     by_value
    .group_segment_fixed_size: 0
    .kernarg_segment_align: 8
    .kernarg_segment_size: 40
    .language:       OpenCL C
    .language_version:
      - 2
      - 0
    .max_flat_workgroup_size: 128
    .name:           _ZN7rocprim17ROCPRIM_400000_NS6detail17trampoline_kernelINS0_14default_configENS1_20scan_config_selectorItEEZZNS1_9scan_implILNS1_25lookback_scan_determinismE0ELb0ELb0ES3_N6thrust23THRUST_200600_302600_NS6detail15normal_iteratorINS9_10device_ptrItEEEENS9_16discard_iteratorINS9_11use_defaultEEEtNS9_4plusIvEEtEEDaPvRmT3_T4_T5_mT6_P12ihipStream_tbENKUlT_T0_E_clISt17integral_constantIbLb0EESX_EEDaSS_ST_EUlSS_E0_NS1_11comp_targetILNS1_3genE3ELNS1_11target_archE908ELNS1_3gpuE7ELNS1_3repE0EEENS1_30default_config_static_selectorELNS0_4arch9wavefront6targetE1EEEvT1_
    .private_segment_fixed_size: 0
    .sgpr_count:     4
    .sgpr_spill_count: 0
    .symbol:         _ZN7rocprim17ROCPRIM_400000_NS6detail17trampoline_kernelINS0_14default_configENS1_20scan_config_selectorItEEZZNS1_9scan_implILNS1_25lookback_scan_determinismE0ELb0ELb0ES3_N6thrust23THRUST_200600_302600_NS6detail15normal_iteratorINS9_10device_ptrItEEEENS9_16discard_iteratorINS9_11use_defaultEEEtNS9_4plusIvEEtEEDaPvRmT3_T4_T5_mT6_P12ihipStream_tbENKUlT_T0_E_clISt17integral_constantIbLb0EESX_EEDaSS_ST_EUlSS_E0_NS1_11comp_targetILNS1_3genE3ELNS1_11target_archE908ELNS1_3gpuE7ELNS1_3repE0EEENS1_30default_config_static_selectorELNS0_4arch9wavefront6targetE1EEEvT1_.kd
    .uniform_work_group_size: 1
    .uses_dynamic_stack: false
    .vgpr_count:     0
    .vgpr_spill_count: 0
    .wavefront_size: 64
  - .agpr_count:     0
    .args:
      - .offset:         0
        .size:           40
        .value_kind:     by_value
    .group_segment_fixed_size: 0
    .kernarg_segment_align: 8
    .kernarg_segment_size: 40
    .language:       OpenCL C
    .language_version:
      - 2
      - 0
    .max_flat_workgroup_size: 256
    .name:           _ZN7rocprim17ROCPRIM_400000_NS6detail17trampoline_kernelINS0_14default_configENS1_20scan_config_selectorItEEZZNS1_9scan_implILNS1_25lookback_scan_determinismE0ELb0ELb0ES3_N6thrust23THRUST_200600_302600_NS6detail15normal_iteratorINS9_10device_ptrItEEEENS9_16discard_iteratorINS9_11use_defaultEEEtNS9_4plusIvEEtEEDaPvRmT3_T4_T5_mT6_P12ihipStream_tbENKUlT_T0_E_clISt17integral_constantIbLb0EESX_EEDaSS_ST_EUlSS_E0_NS1_11comp_targetILNS1_3genE2ELNS1_11target_archE906ELNS1_3gpuE6ELNS1_3repE0EEENS1_30default_config_static_selectorELNS0_4arch9wavefront6targetE1EEEvT1_
    .private_segment_fixed_size: 0
    .sgpr_count:     4
    .sgpr_spill_count: 0
    .symbol:         _ZN7rocprim17ROCPRIM_400000_NS6detail17trampoline_kernelINS0_14default_configENS1_20scan_config_selectorItEEZZNS1_9scan_implILNS1_25lookback_scan_determinismE0ELb0ELb0ES3_N6thrust23THRUST_200600_302600_NS6detail15normal_iteratorINS9_10device_ptrItEEEENS9_16discard_iteratorINS9_11use_defaultEEEtNS9_4plusIvEEtEEDaPvRmT3_T4_T5_mT6_P12ihipStream_tbENKUlT_T0_E_clISt17integral_constantIbLb0EESX_EEDaSS_ST_EUlSS_E0_NS1_11comp_targetILNS1_3genE2ELNS1_11target_archE906ELNS1_3gpuE6ELNS1_3repE0EEENS1_30default_config_static_selectorELNS0_4arch9wavefront6targetE1EEEvT1_.kd
    .uniform_work_group_size: 1
    .uses_dynamic_stack: false
    .vgpr_count:     0
    .vgpr_spill_count: 0
    .wavefront_size: 64
  - .agpr_count:     0
    .args:
      - .offset:         0
        .size:           40
        .value_kind:     by_value
    .group_segment_fixed_size: 0
    .kernarg_segment_align: 8
    .kernarg_segment_size: 40
    .language:       OpenCL C
    .language_version:
      - 2
      - 0
    .max_flat_workgroup_size: 256
    .name:           _ZN7rocprim17ROCPRIM_400000_NS6detail17trampoline_kernelINS0_14default_configENS1_20scan_config_selectorItEEZZNS1_9scan_implILNS1_25lookback_scan_determinismE0ELb0ELb0ES3_N6thrust23THRUST_200600_302600_NS6detail15normal_iteratorINS9_10device_ptrItEEEENS9_16discard_iteratorINS9_11use_defaultEEEtNS9_4plusIvEEtEEDaPvRmT3_T4_T5_mT6_P12ihipStream_tbENKUlT_T0_E_clISt17integral_constantIbLb0EESX_EEDaSS_ST_EUlSS_E0_NS1_11comp_targetILNS1_3genE10ELNS1_11target_archE1201ELNS1_3gpuE5ELNS1_3repE0EEENS1_30default_config_static_selectorELNS0_4arch9wavefront6targetE1EEEvT1_
    .private_segment_fixed_size: 0
    .sgpr_count:     4
    .sgpr_spill_count: 0
    .symbol:         _ZN7rocprim17ROCPRIM_400000_NS6detail17trampoline_kernelINS0_14default_configENS1_20scan_config_selectorItEEZZNS1_9scan_implILNS1_25lookback_scan_determinismE0ELb0ELb0ES3_N6thrust23THRUST_200600_302600_NS6detail15normal_iteratorINS9_10device_ptrItEEEENS9_16discard_iteratorINS9_11use_defaultEEEtNS9_4plusIvEEtEEDaPvRmT3_T4_T5_mT6_P12ihipStream_tbENKUlT_T0_E_clISt17integral_constantIbLb0EESX_EEDaSS_ST_EUlSS_E0_NS1_11comp_targetILNS1_3genE10ELNS1_11target_archE1201ELNS1_3gpuE5ELNS1_3repE0EEENS1_30default_config_static_selectorELNS0_4arch9wavefront6targetE1EEEvT1_.kd
    .uniform_work_group_size: 1
    .uses_dynamic_stack: false
    .vgpr_count:     0
    .vgpr_spill_count: 0
    .wavefront_size: 64
  - .agpr_count:     0
    .args:
      - .offset:         0
        .size:           40
        .value_kind:     by_value
    .group_segment_fixed_size: 0
    .kernarg_segment_align: 8
    .kernarg_segment_size: 40
    .language:       OpenCL C
    .language_version:
      - 2
      - 0
    .max_flat_workgroup_size: 256
    .name:           _ZN7rocprim17ROCPRIM_400000_NS6detail17trampoline_kernelINS0_14default_configENS1_20scan_config_selectorItEEZZNS1_9scan_implILNS1_25lookback_scan_determinismE0ELb0ELb0ES3_N6thrust23THRUST_200600_302600_NS6detail15normal_iteratorINS9_10device_ptrItEEEENS9_16discard_iteratorINS9_11use_defaultEEEtNS9_4plusIvEEtEEDaPvRmT3_T4_T5_mT6_P12ihipStream_tbENKUlT_T0_E_clISt17integral_constantIbLb0EESX_EEDaSS_ST_EUlSS_E0_NS1_11comp_targetILNS1_3genE10ELNS1_11target_archE1200ELNS1_3gpuE4ELNS1_3repE0EEENS1_30default_config_static_selectorELNS0_4arch9wavefront6targetE1EEEvT1_
    .private_segment_fixed_size: 0
    .sgpr_count:     4
    .sgpr_spill_count: 0
    .symbol:         _ZN7rocprim17ROCPRIM_400000_NS6detail17trampoline_kernelINS0_14default_configENS1_20scan_config_selectorItEEZZNS1_9scan_implILNS1_25lookback_scan_determinismE0ELb0ELb0ES3_N6thrust23THRUST_200600_302600_NS6detail15normal_iteratorINS9_10device_ptrItEEEENS9_16discard_iteratorINS9_11use_defaultEEEtNS9_4plusIvEEtEEDaPvRmT3_T4_T5_mT6_P12ihipStream_tbENKUlT_T0_E_clISt17integral_constantIbLb0EESX_EEDaSS_ST_EUlSS_E0_NS1_11comp_targetILNS1_3genE10ELNS1_11target_archE1200ELNS1_3gpuE4ELNS1_3repE0EEENS1_30default_config_static_selectorELNS0_4arch9wavefront6targetE1EEEvT1_.kd
    .uniform_work_group_size: 1
    .uses_dynamic_stack: false
    .vgpr_count:     0
    .vgpr_spill_count: 0
    .wavefront_size: 64
  - .agpr_count:     0
    .args:
      - .offset:         0
        .size:           40
        .value_kind:     by_value
    .group_segment_fixed_size: 0
    .kernarg_segment_align: 8
    .kernarg_segment_size: 40
    .language:       OpenCL C
    .language_version:
      - 2
      - 0
    .max_flat_workgroup_size: 64
    .name:           _ZN7rocprim17ROCPRIM_400000_NS6detail17trampoline_kernelINS0_14default_configENS1_20scan_config_selectorItEEZZNS1_9scan_implILNS1_25lookback_scan_determinismE0ELb0ELb0ES3_N6thrust23THRUST_200600_302600_NS6detail15normal_iteratorINS9_10device_ptrItEEEENS9_16discard_iteratorINS9_11use_defaultEEEtNS9_4plusIvEEtEEDaPvRmT3_T4_T5_mT6_P12ihipStream_tbENKUlT_T0_E_clISt17integral_constantIbLb0EESX_EEDaSS_ST_EUlSS_E0_NS1_11comp_targetILNS1_3genE9ELNS1_11target_archE1100ELNS1_3gpuE3ELNS1_3repE0EEENS1_30default_config_static_selectorELNS0_4arch9wavefront6targetE1EEEvT1_
    .private_segment_fixed_size: 0
    .sgpr_count:     4
    .sgpr_spill_count: 0
    .symbol:         _ZN7rocprim17ROCPRIM_400000_NS6detail17trampoline_kernelINS0_14default_configENS1_20scan_config_selectorItEEZZNS1_9scan_implILNS1_25lookback_scan_determinismE0ELb0ELb0ES3_N6thrust23THRUST_200600_302600_NS6detail15normal_iteratorINS9_10device_ptrItEEEENS9_16discard_iteratorINS9_11use_defaultEEEtNS9_4plusIvEEtEEDaPvRmT3_T4_T5_mT6_P12ihipStream_tbENKUlT_T0_E_clISt17integral_constantIbLb0EESX_EEDaSS_ST_EUlSS_E0_NS1_11comp_targetILNS1_3genE9ELNS1_11target_archE1100ELNS1_3gpuE3ELNS1_3repE0EEENS1_30default_config_static_selectorELNS0_4arch9wavefront6targetE1EEEvT1_.kd
    .uniform_work_group_size: 1
    .uses_dynamic_stack: false
    .vgpr_count:     0
    .vgpr_spill_count: 0
    .wavefront_size: 64
  - .agpr_count:     0
    .args:
      - .offset:         0
        .size:           40
        .value_kind:     by_value
    .group_segment_fixed_size: 0
    .kernarg_segment_align: 8
    .kernarg_segment_size: 40
    .language:       OpenCL C
    .language_version:
      - 2
      - 0
    .max_flat_workgroup_size: 64
    .name:           _ZN7rocprim17ROCPRIM_400000_NS6detail17trampoline_kernelINS0_14default_configENS1_20scan_config_selectorItEEZZNS1_9scan_implILNS1_25lookback_scan_determinismE0ELb0ELb0ES3_N6thrust23THRUST_200600_302600_NS6detail15normal_iteratorINS9_10device_ptrItEEEENS9_16discard_iteratorINS9_11use_defaultEEEtNS9_4plusIvEEtEEDaPvRmT3_T4_T5_mT6_P12ihipStream_tbENKUlT_T0_E_clISt17integral_constantIbLb0EESX_EEDaSS_ST_EUlSS_E0_NS1_11comp_targetILNS1_3genE8ELNS1_11target_archE1030ELNS1_3gpuE2ELNS1_3repE0EEENS1_30default_config_static_selectorELNS0_4arch9wavefront6targetE1EEEvT1_
    .private_segment_fixed_size: 0
    .sgpr_count:     4
    .sgpr_spill_count: 0
    .symbol:         _ZN7rocprim17ROCPRIM_400000_NS6detail17trampoline_kernelINS0_14default_configENS1_20scan_config_selectorItEEZZNS1_9scan_implILNS1_25lookback_scan_determinismE0ELb0ELb0ES3_N6thrust23THRUST_200600_302600_NS6detail15normal_iteratorINS9_10device_ptrItEEEENS9_16discard_iteratorINS9_11use_defaultEEEtNS9_4plusIvEEtEEDaPvRmT3_T4_T5_mT6_P12ihipStream_tbENKUlT_T0_E_clISt17integral_constantIbLb0EESX_EEDaSS_ST_EUlSS_E0_NS1_11comp_targetILNS1_3genE8ELNS1_11target_archE1030ELNS1_3gpuE2ELNS1_3repE0EEENS1_30default_config_static_selectorELNS0_4arch9wavefront6targetE1EEEvT1_.kd
    .uniform_work_group_size: 1
    .uses_dynamic_stack: false
    .vgpr_count:     0
    .vgpr_spill_count: 0
    .wavefront_size: 64
  - .agpr_count:     0
    .args:
      - .offset:         0
        .size:           104
        .value_kind:     by_value
    .group_segment_fixed_size: 0
    .kernarg_segment_align: 8
    .kernarg_segment_size: 104
    .language:       OpenCL C
    .language_version:
      - 2
      - 0
    .max_flat_workgroup_size: 128
    .name:           _ZN7rocprim17ROCPRIM_400000_NS6detail17trampoline_kernelINS0_14default_configENS1_20scan_config_selectorItEEZZNS1_9scan_implILNS1_25lookback_scan_determinismE0ELb0ELb0ES3_N6thrust23THRUST_200600_302600_NS6detail15normal_iteratorINS9_10device_ptrItEEEENS9_16discard_iteratorINS9_11use_defaultEEEtNS9_4plusIvEEtEEDaPvRmT3_T4_T5_mT6_P12ihipStream_tbENKUlT_T0_E_clISt17integral_constantIbLb1EESX_EEDaSS_ST_EUlSS_E_NS1_11comp_targetILNS1_3genE0ELNS1_11target_archE4294967295ELNS1_3gpuE0ELNS1_3repE0EEENS1_30default_config_static_selectorELNS0_4arch9wavefront6targetE1EEEvT1_
    .private_segment_fixed_size: 0
    .sgpr_count:     4
    .sgpr_spill_count: 0
    .symbol:         _ZN7rocprim17ROCPRIM_400000_NS6detail17trampoline_kernelINS0_14default_configENS1_20scan_config_selectorItEEZZNS1_9scan_implILNS1_25lookback_scan_determinismE0ELb0ELb0ES3_N6thrust23THRUST_200600_302600_NS6detail15normal_iteratorINS9_10device_ptrItEEEENS9_16discard_iteratorINS9_11use_defaultEEEtNS9_4plusIvEEtEEDaPvRmT3_T4_T5_mT6_P12ihipStream_tbENKUlT_T0_E_clISt17integral_constantIbLb1EESX_EEDaSS_ST_EUlSS_E_NS1_11comp_targetILNS1_3genE0ELNS1_11target_archE4294967295ELNS1_3gpuE0ELNS1_3repE0EEENS1_30default_config_static_selectorELNS0_4arch9wavefront6targetE1EEEvT1_.kd
    .uniform_work_group_size: 1
    .uses_dynamic_stack: false
    .vgpr_count:     0
    .vgpr_spill_count: 0
    .wavefront_size: 64
  - .agpr_count:     0
    .args:
      - .offset:         0
        .size:           104
        .value_kind:     by_value
    .group_segment_fixed_size: 0
    .kernarg_segment_align: 8
    .kernarg_segment_size: 104
    .language:       OpenCL C
    .language_version:
      - 2
      - 0
    .max_flat_workgroup_size: 256
    .name:           _ZN7rocprim17ROCPRIM_400000_NS6detail17trampoline_kernelINS0_14default_configENS1_20scan_config_selectorItEEZZNS1_9scan_implILNS1_25lookback_scan_determinismE0ELb0ELb0ES3_N6thrust23THRUST_200600_302600_NS6detail15normal_iteratorINS9_10device_ptrItEEEENS9_16discard_iteratorINS9_11use_defaultEEEtNS9_4plusIvEEtEEDaPvRmT3_T4_T5_mT6_P12ihipStream_tbENKUlT_T0_E_clISt17integral_constantIbLb1EESX_EEDaSS_ST_EUlSS_E_NS1_11comp_targetILNS1_3genE5ELNS1_11target_archE942ELNS1_3gpuE9ELNS1_3repE0EEENS1_30default_config_static_selectorELNS0_4arch9wavefront6targetE1EEEvT1_
    .private_segment_fixed_size: 0
    .sgpr_count:     4
    .sgpr_spill_count: 0
    .symbol:         _ZN7rocprim17ROCPRIM_400000_NS6detail17trampoline_kernelINS0_14default_configENS1_20scan_config_selectorItEEZZNS1_9scan_implILNS1_25lookback_scan_determinismE0ELb0ELb0ES3_N6thrust23THRUST_200600_302600_NS6detail15normal_iteratorINS9_10device_ptrItEEEENS9_16discard_iteratorINS9_11use_defaultEEEtNS9_4plusIvEEtEEDaPvRmT3_T4_T5_mT6_P12ihipStream_tbENKUlT_T0_E_clISt17integral_constantIbLb1EESX_EEDaSS_ST_EUlSS_E_NS1_11comp_targetILNS1_3genE5ELNS1_11target_archE942ELNS1_3gpuE9ELNS1_3repE0EEENS1_30default_config_static_selectorELNS0_4arch9wavefront6targetE1EEEvT1_.kd
    .uniform_work_group_size: 1
    .uses_dynamic_stack: false
    .vgpr_count:     0
    .vgpr_spill_count: 0
    .wavefront_size: 64
  - .agpr_count:     0
    .args:
      - .offset:         0
        .size:           104
        .value_kind:     by_value
    .group_segment_fixed_size: 3072
    .kernarg_segment_align: 8
    .kernarg_segment_size: 104
    .language:       OpenCL C
    .language_version:
      - 2
      - 0
    .max_flat_workgroup_size: 64
    .name:           _ZN7rocprim17ROCPRIM_400000_NS6detail17trampoline_kernelINS0_14default_configENS1_20scan_config_selectorItEEZZNS1_9scan_implILNS1_25lookback_scan_determinismE0ELb0ELb0ES3_N6thrust23THRUST_200600_302600_NS6detail15normal_iteratorINS9_10device_ptrItEEEENS9_16discard_iteratorINS9_11use_defaultEEEtNS9_4plusIvEEtEEDaPvRmT3_T4_T5_mT6_P12ihipStream_tbENKUlT_T0_E_clISt17integral_constantIbLb1EESX_EEDaSS_ST_EUlSS_E_NS1_11comp_targetILNS1_3genE4ELNS1_11target_archE910ELNS1_3gpuE8ELNS1_3repE0EEENS1_30default_config_static_selectorELNS0_4arch9wavefront6targetE1EEEvT1_
    .private_segment_fixed_size: 0
    .sgpr_count:     34
    .sgpr_spill_count: 0
    .symbol:         _ZN7rocprim17ROCPRIM_400000_NS6detail17trampoline_kernelINS0_14default_configENS1_20scan_config_selectorItEEZZNS1_9scan_implILNS1_25lookback_scan_determinismE0ELb0ELb0ES3_N6thrust23THRUST_200600_302600_NS6detail15normal_iteratorINS9_10device_ptrItEEEENS9_16discard_iteratorINS9_11use_defaultEEEtNS9_4plusIvEEtEEDaPvRmT3_T4_T5_mT6_P12ihipStream_tbENKUlT_T0_E_clISt17integral_constantIbLb1EESX_EEDaSS_ST_EUlSS_E_NS1_11comp_targetILNS1_3genE4ELNS1_11target_archE910ELNS1_3gpuE8ELNS1_3repE0EEENS1_30default_config_static_selectorELNS0_4arch9wavefront6targetE1EEEvT1_.kd
    .uniform_work_group_size: 1
    .uses_dynamic_stack: false
    .vgpr_count:     43
    .vgpr_spill_count: 0
    .wavefront_size: 64
  - .agpr_count:     0
    .args:
      - .offset:         0
        .size:           104
        .value_kind:     by_value
    .group_segment_fixed_size: 0
    .kernarg_segment_align: 8
    .kernarg_segment_size: 104
    .language:       OpenCL C
    .language_version:
      - 2
      - 0
    .max_flat_workgroup_size: 128
    .name:           _ZN7rocprim17ROCPRIM_400000_NS6detail17trampoline_kernelINS0_14default_configENS1_20scan_config_selectorItEEZZNS1_9scan_implILNS1_25lookback_scan_determinismE0ELb0ELb0ES3_N6thrust23THRUST_200600_302600_NS6detail15normal_iteratorINS9_10device_ptrItEEEENS9_16discard_iteratorINS9_11use_defaultEEEtNS9_4plusIvEEtEEDaPvRmT3_T4_T5_mT6_P12ihipStream_tbENKUlT_T0_E_clISt17integral_constantIbLb1EESX_EEDaSS_ST_EUlSS_E_NS1_11comp_targetILNS1_3genE3ELNS1_11target_archE908ELNS1_3gpuE7ELNS1_3repE0EEENS1_30default_config_static_selectorELNS0_4arch9wavefront6targetE1EEEvT1_
    .private_segment_fixed_size: 0
    .sgpr_count:     4
    .sgpr_spill_count: 0
    .symbol:         _ZN7rocprim17ROCPRIM_400000_NS6detail17trampoline_kernelINS0_14default_configENS1_20scan_config_selectorItEEZZNS1_9scan_implILNS1_25lookback_scan_determinismE0ELb0ELb0ES3_N6thrust23THRUST_200600_302600_NS6detail15normal_iteratorINS9_10device_ptrItEEEENS9_16discard_iteratorINS9_11use_defaultEEEtNS9_4plusIvEEtEEDaPvRmT3_T4_T5_mT6_P12ihipStream_tbENKUlT_T0_E_clISt17integral_constantIbLb1EESX_EEDaSS_ST_EUlSS_E_NS1_11comp_targetILNS1_3genE3ELNS1_11target_archE908ELNS1_3gpuE7ELNS1_3repE0EEENS1_30default_config_static_selectorELNS0_4arch9wavefront6targetE1EEEvT1_.kd
    .uniform_work_group_size: 1
    .uses_dynamic_stack: false
    .vgpr_count:     0
    .vgpr_spill_count: 0
    .wavefront_size: 64
  - .agpr_count:     0
    .args:
      - .offset:         0
        .size:           104
        .value_kind:     by_value
    .group_segment_fixed_size: 0
    .kernarg_segment_align: 8
    .kernarg_segment_size: 104
    .language:       OpenCL C
    .language_version:
      - 2
      - 0
    .max_flat_workgroup_size: 256
    .name:           _ZN7rocprim17ROCPRIM_400000_NS6detail17trampoline_kernelINS0_14default_configENS1_20scan_config_selectorItEEZZNS1_9scan_implILNS1_25lookback_scan_determinismE0ELb0ELb0ES3_N6thrust23THRUST_200600_302600_NS6detail15normal_iteratorINS9_10device_ptrItEEEENS9_16discard_iteratorINS9_11use_defaultEEEtNS9_4plusIvEEtEEDaPvRmT3_T4_T5_mT6_P12ihipStream_tbENKUlT_T0_E_clISt17integral_constantIbLb1EESX_EEDaSS_ST_EUlSS_E_NS1_11comp_targetILNS1_3genE2ELNS1_11target_archE906ELNS1_3gpuE6ELNS1_3repE0EEENS1_30default_config_static_selectorELNS0_4arch9wavefront6targetE1EEEvT1_
    .private_segment_fixed_size: 0
    .sgpr_count:     4
    .sgpr_spill_count: 0
    .symbol:         _ZN7rocprim17ROCPRIM_400000_NS6detail17trampoline_kernelINS0_14default_configENS1_20scan_config_selectorItEEZZNS1_9scan_implILNS1_25lookback_scan_determinismE0ELb0ELb0ES3_N6thrust23THRUST_200600_302600_NS6detail15normal_iteratorINS9_10device_ptrItEEEENS9_16discard_iteratorINS9_11use_defaultEEEtNS9_4plusIvEEtEEDaPvRmT3_T4_T5_mT6_P12ihipStream_tbENKUlT_T0_E_clISt17integral_constantIbLb1EESX_EEDaSS_ST_EUlSS_E_NS1_11comp_targetILNS1_3genE2ELNS1_11target_archE906ELNS1_3gpuE6ELNS1_3repE0EEENS1_30default_config_static_selectorELNS0_4arch9wavefront6targetE1EEEvT1_.kd
    .uniform_work_group_size: 1
    .uses_dynamic_stack: false
    .vgpr_count:     0
    .vgpr_spill_count: 0
    .wavefront_size: 64
  - .agpr_count:     0
    .args:
      - .offset:         0
        .size:           104
        .value_kind:     by_value
    .group_segment_fixed_size: 0
    .kernarg_segment_align: 8
    .kernarg_segment_size: 104
    .language:       OpenCL C
    .language_version:
      - 2
      - 0
    .max_flat_workgroup_size: 256
    .name:           _ZN7rocprim17ROCPRIM_400000_NS6detail17trampoline_kernelINS0_14default_configENS1_20scan_config_selectorItEEZZNS1_9scan_implILNS1_25lookback_scan_determinismE0ELb0ELb0ES3_N6thrust23THRUST_200600_302600_NS6detail15normal_iteratorINS9_10device_ptrItEEEENS9_16discard_iteratorINS9_11use_defaultEEEtNS9_4plusIvEEtEEDaPvRmT3_T4_T5_mT6_P12ihipStream_tbENKUlT_T0_E_clISt17integral_constantIbLb1EESX_EEDaSS_ST_EUlSS_E_NS1_11comp_targetILNS1_3genE10ELNS1_11target_archE1201ELNS1_3gpuE5ELNS1_3repE0EEENS1_30default_config_static_selectorELNS0_4arch9wavefront6targetE1EEEvT1_
    .private_segment_fixed_size: 0
    .sgpr_count:     4
    .sgpr_spill_count: 0
    .symbol:         _ZN7rocprim17ROCPRIM_400000_NS6detail17trampoline_kernelINS0_14default_configENS1_20scan_config_selectorItEEZZNS1_9scan_implILNS1_25lookback_scan_determinismE0ELb0ELb0ES3_N6thrust23THRUST_200600_302600_NS6detail15normal_iteratorINS9_10device_ptrItEEEENS9_16discard_iteratorINS9_11use_defaultEEEtNS9_4plusIvEEtEEDaPvRmT3_T4_T5_mT6_P12ihipStream_tbENKUlT_T0_E_clISt17integral_constantIbLb1EESX_EEDaSS_ST_EUlSS_E_NS1_11comp_targetILNS1_3genE10ELNS1_11target_archE1201ELNS1_3gpuE5ELNS1_3repE0EEENS1_30default_config_static_selectorELNS0_4arch9wavefront6targetE1EEEvT1_.kd
    .uniform_work_group_size: 1
    .uses_dynamic_stack: false
    .vgpr_count:     0
    .vgpr_spill_count: 0
    .wavefront_size: 64
  - .agpr_count:     0
    .args:
      - .offset:         0
        .size:           104
        .value_kind:     by_value
    .group_segment_fixed_size: 0
    .kernarg_segment_align: 8
    .kernarg_segment_size: 104
    .language:       OpenCL C
    .language_version:
      - 2
      - 0
    .max_flat_workgroup_size: 256
    .name:           _ZN7rocprim17ROCPRIM_400000_NS6detail17trampoline_kernelINS0_14default_configENS1_20scan_config_selectorItEEZZNS1_9scan_implILNS1_25lookback_scan_determinismE0ELb0ELb0ES3_N6thrust23THRUST_200600_302600_NS6detail15normal_iteratorINS9_10device_ptrItEEEENS9_16discard_iteratorINS9_11use_defaultEEEtNS9_4plusIvEEtEEDaPvRmT3_T4_T5_mT6_P12ihipStream_tbENKUlT_T0_E_clISt17integral_constantIbLb1EESX_EEDaSS_ST_EUlSS_E_NS1_11comp_targetILNS1_3genE10ELNS1_11target_archE1200ELNS1_3gpuE4ELNS1_3repE0EEENS1_30default_config_static_selectorELNS0_4arch9wavefront6targetE1EEEvT1_
    .private_segment_fixed_size: 0
    .sgpr_count:     4
    .sgpr_spill_count: 0
    .symbol:         _ZN7rocprim17ROCPRIM_400000_NS6detail17trampoline_kernelINS0_14default_configENS1_20scan_config_selectorItEEZZNS1_9scan_implILNS1_25lookback_scan_determinismE0ELb0ELb0ES3_N6thrust23THRUST_200600_302600_NS6detail15normal_iteratorINS9_10device_ptrItEEEENS9_16discard_iteratorINS9_11use_defaultEEEtNS9_4plusIvEEtEEDaPvRmT3_T4_T5_mT6_P12ihipStream_tbENKUlT_T0_E_clISt17integral_constantIbLb1EESX_EEDaSS_ST_EUlSS_E_NS1_11comp_targetILNS1_3genE10ELNS1_11target_archE1200ELNS1_3gpuE4ELNS1_3repE0EEENS1_30default_config_static_selectorELNS0_4arch9wavefront6targetE1EEEvT1_.kd
    .uniform_work_group_size: 1
    .uses_dynamic_stack: false
    .vgpr_count:     0
    .vgpr_spill_count: 0
    .wavefront_size: 64
  - .agpr_count:     0
    .args:
      - .offset:         0
        .size:           104
        .value_kind:     by_value
    .group_segment_fixed_size: 0
    .kernarg_segment_align: 8
    .kernarg_segment_size: 104
    .language:       OpenCL C
    .language_version:
      - 2
      - 0
    .max_flat_workgroup_size: 64
    .name:           _ZN7rocprim17ROCPRIM_400000_NS6detail17trampoline_kernelINS0_14default_configENS1_20scan_config_selectorItEEZZNS1_9scan_implILNS1_25lookback_scan_determinismE0ELb0ELb0ES3_N6thrust23THRUST_200600_302600_NS6detail15normal_iteratorINS9_10device_ptrItEEEENS9_16discard_iteratorINS9_11use_defaultEEEtNS9_4plusIvEEtEEDaPvRmT3_T4_T5_mT6_P12ihipStream_tbENKUlT_T0_E_clISt17integral_constantIbLb1EESX_EEDaSS_ST_EUlSS_E_NS1_11comp_targetILNS1_3genE9ELNS1_11target_archE1100ELNS1_3gpuE3ELNS1_3repE0EEENS1_30default_config_static_selectorELNS0_4arch9wavefront6targetE1EEEvT1_
    .private_segment_fixed_size: 0
    .sgpr_count:     4
    .sgpr_spill_count: 0
    .symbol:         _ZN7rocprim17ROCPRIM_400000_NS6detail17trampoline_kernelINS0_14default_configENS1_20scan_config_selectorItEEZZNS1_9scan_implILNS1_25lookback_scan_determinismE0ELb0ELb0ES3_N6thrust23THRUST_200600_302600_NS6detail15normal_iteratorINS9_10device_ptrItEEEENS9_16discard_iteratorINS9_11use_defaultEEEtNS9_4plusIvEEtEEDaPvRmT3_T4_T5_mT6_P12ihipStream_tbENKUlT_T0_E_clISt17integral_constantIbLb1EESX_EEDaSS_ST_EUlSS_E_NS1_11comp_targetILNS1_3genE9ELNS1_11target_archE1100ELNS1_3gpuE3ELNS1_3repE0EEENS1_30default_config_static_selectorELNS0_4arch9wavefront6targetE1EEEvT1_.kd
    .uniform_work_group_size: 1
    .uses_dynamic_stack: false
    .vgpr_count:     0
    .vgpr_spill_count: 0
    .wavefront_size: 64
  - .agpr_count:     0
    .args:
      - .offset:         0
        .size:           104
        .value_kind:     by_value
    .group_segment_fixed_size: 0
    .kernarg_segment_align: 8
    .kernarg_segment_size: 104
    .language:       OpenCL C
    .language_version:
      - 2
      - 0
    .max_flat_workgroup_size: 64
    .name:           _ZN7rocprim17ROCPRIM_400000_NS6detail17trampoline_kernelINS0_14default_configENS1_20scan_config_selectorItEEZZNS1_9scan_implILNS1_25lookback_scan_determinismE0ELb0ELb0ES3_N6thrust23THRUST_200600_302600_NS6detail15normal_iteratorINS9_10device_ptrItEEEENS9_16discard_iteratorINS9_11use_defaultEEEtNS9_4plusIvEEtEEDaPvRmT3_T4_T5_mT6_P12ihipStream_tbENKUlT_T0_E_clISt17integral_constantIbLb1EESX_EEDaSS_ST_EUlSS_E_NS1_11comp_targetILNS1_3genE8ELNS1_11target_archE1030ELNS1_3gpuE2ELNS1_3repE0EEENS1_30default_config_static_selectorELNS0_4arch9wavefront6targetE1EEEvT1_
    .private_segment_fixed_size: 0
    .sgpr_count:     4
    .sgpr_spill_count: 0
    .symbol:         _ZN7rocprim17ROCPRIM_400000_NS6detail17trampoline_kernelINS0_14default_configENS1_20scan_config_selectorItEEZZNS1_9scan_implILNS1_25lookback_scan_determinismE0ELb0ELb0ES3_N6thrust23THRUST_200600_302600_NS6detail15normal_iteratorINS9_10device_ptrItEEEENS9_16discard_iteratorINS9_11use_defaultEEEtNS9_4plusIvEEtEEDaPvRmT3_T4_T5_mT6_P12ihipStream_tbENKUlT_T0_E_clISt17integral_constantIbLb1EESX_EEDaSS_ST_EUlSS_E_NS1_11comp_targetILNS1_3genE8ELNS1_11target_archE1030ELNS1_3gpuE2ELNS1_3repE0EEENS1_30default_config_static_selectorELNS0_4arch9wavefront6targetE1EEEvT1_.kd
    .uniform_work_group_size: 1
    .uses_dynamic_stack: false
    .vgpr_count:     0
    .vgpr_spill_count: 0
    .wavefront_size: 64
  - .agpr_count:     0
    .args:
      - .offset:         0
        .size:           40
        .value_kind:     by_value
    .group_segment_fixed_size: 0
    .kernarg_segment_align: 8
    .kernarg_segment_size: 40
    .language:       OpenCL C
    .language_version:
      - 2
      - 0
    .max_flat_workgroup_size: 128
    .name:           _ZN7rocprim17ROCPRIM_400000_NS6detail17trampoline_kernelINS0_14default_configENS1_20scan_config_selectorItEEZZNS1_9scan_implILNS1_25lookback_scan_determinismE0ELb0ELb0ES3_N6thrust23THRUST_200600_302600_NS6detail15normal_iteratorINS9_10device_ptrItEEEENS9_16discard_iteratorINS9_11use_defaultEEEtNS9_4plusIvEEtEEDaPvRmT3_T4_T5_mT6_P12ihipStream_tbENKUlT_T0_E_clISt17integral_constantIbLb1EESX_EEDaSS_ST_EUlSS_E0_NS1_11comp_targetILNS1_3genE0ELNS1_11target_archE4294967295ELNS1_3gpuE0ELNS1_3repE0EEENS1_30default_config_static_selectorELNS0_4arch9wavefront6targetE1EEEvT1_
    .private_segment_fixed_size: 0
    .sgpr_count:     4
    .sgpr_spill_count: 0
    .symbol:         _ZN7rocprim17ROCPRIM_400000_NS6detail17trampoline_kernelINS0_14default_configENS1_20scan_config_selectorItEEZZNS1_9scan_implILNS1_25lookback_scan_determinismE0ELb0ELb0ES3_N6thrust23THRUST_200600_302600_NS6detail15normal_iteratorINS9_10device_ptrItEEEENS9_16discard_iteratorINS9_11use_defaultEEEtNS9_4plusIvEEtEEDaPvRmT3_T4_T5_mT6_P12ihipStream_tbENKUlT_T0_E_clISt17integral_constantIbLb1EESX_EEDaSS_ST_EUlSS_E0_NS1_11comp_targetILNS1_3genE0ELNS1_11target_archE4294967295ELNS1_3gpuE0ELNS1_3repE0EEENS1_30default_config_static_selectorELNS0_4arch9wavefront6targetE1EEEvT1_.kd
    .uniform_work_group_size: 1
    .uses_dynamic_stack: false
    .vgpr_count:     0
    .vgpr_spill_count: 0
    .wavefront_size: 64
  - .agpr_count:     0
    .args:
      - .offset:         0
        .size:           40
        .value_kind:     by_value
    .group_segment_fixed_size: 0
    .kernarg_segment_align: 8
    .kernarg_segment_size: 40
    .language:       OpenCL C
    .language_version:
      - 2
      - 0
    .max_flat_workgroup_size: 256
    .name:           _ZN7rocprim17ROCPRIM_400000_NS6detail17trampoline_kernelINS0_14default_configENS1_20scan_config_selectorItEEZZNS1_9scan_implILNS1_25lookback_scan_determinismE0ELb0ELb0ES3_N6thrust23THRUST_200600_302600_NS6detail15normal_iteratorINS9_10device_ptrItEEEENS9_16discard_iteratorINS9_11use_defaultEEEtNS9_4plusIvEEtEEDaPvRmT3_T4_T5_mT6_P12ihipStream_tbENKUlT_T0_E_clISt17integral_constantIbLb1EESX_EEDaSS_ST_EUlSS_E0_NS1_11comp_targetILNS1_3genE5ELNS1_11target_archE942ELNS1_3gpuE9ELNS1_3repE0EEENS1_30default_config_static_selectorELNS0_4arch9wavefront6targetE1EEEvT1_
    .private_segment_fixed_size: 0
    .sgpr_count:     4
    .sgpr_spill_count: 0
    .symbol:         _ZN7rocprim17ROCPRIM_400000_NS6detail17trampoline_kernelINS0_14default_configENS1_20scan_config_selectorItEEZZNS1_9scan_implILNS1_25lookback_scan_determinismE0ELb0ELb0ES3_N6thrust23THRUST_200600_302600_NS6detail15normal_iteratorINS9_10device_ptrItEEEENS9_16discard_iteratorINS9_11use_defaultEEEtNS9_4plusIvEEtEEDaPvRmT3_T4_T5_mT6_P12ihipStream_tbENKUlT_T0_E_clISt17integral_constantIbLb1EESX_EEDaSS_ST_EUlSS_E0_NS1_11comp_targetILNS1_3genE5ELNS1_11target_archE942ELNS1_3gpuE9ELNS1_3repE0EEENS1_30default_config_static_selectorELNS0_4arch9wavefront6targetE1EEEvT1_.kd
    .uniform_work_group_size: 1
    .uses_dynamic_stack: false
    .vgpr_count:     0
    .vgpr_spill_count: 0
    .wavefront_size: 64
  - .agpr_count:     0
    .args:
      - .offset:         0
        .size:           40
        .value_kind:     by_value
    .group_segment_fixed_size: 3072
    .kernarg_segment_align: 8
    .kernarg_segment_size: 40
    .language:       OpenCL C
    .language_version:
      - 2
      - 0
    .max_flat_workgroup_size: 64
    .name:           _ZN7rocprim17ROCPRIM_400000_NS6detail17trampoline_kernelINS0_14default_configENS1_20scan_config_selectorItEEZZNS1_9scan_implILNS1_25lookback_scan_determinismE0ELb0ELb0ES3_N6thrust23THRUST_200600_302600_NS6detail15normal_iteratorINS9_10device_ptrItEEEENS9_16discard_iteratorINS9_11use_defaultEEEtNS9_4plusIvEEtEEDaPvRmT3_T4_T5_mT6_P12ihipStream_tbENKUlT_T0_E_clISt17integral_constantIbLb1EESX_EEDaSS_ST_EUlSS_E0_NS1_11comp_targetILNS1_3genE4ELNS1_11target_archE910ELNS1_3gpuE8ELNS1_3repE0EEENS1_30default_config_static_selectorELNS0_4arch9wavefront6targetE1EEEvT1_
    .private_segment_fixed_size: 0
    .sgpr_count:     10
    .sgpr_spill_count: 0
    .symbol:         _ZN7rocprim17ROCPRIM_400000_NS6detail17trampoline_kernelINS0_14default_configENS1_20scan_config_selectorItEEZZNS1_9scan_implILNS1_25lookback_scan_determinismE0ELb0ELb0ES3_N6thrust23THRUST_200600_302600_NS6detail15normal_iteratorINS9_10device_ptrItEEEENS9_16discard_iteratorINS9_11use_defaultEEEtNS9_4plusIvEEtEEDaPvRmT3_T4_T5_mT6_P12ihipStream_tbENKUlT_T0_E_clISt17integral_constantIbLb1EESX_EEDaSS_ST_EUlSS_E0_NS1_11comp_targetILNS1_3genE4ELNS1_11target_archE910ELNS1_3gpuE8ELNS1_3repE0EEENS1_30default_config_static_selectorELNS0_4arch9wavefront6targetE1EEEvT1_.kd
    .uniform_work_group_size: 1
    .uses_dynamic_stack: false
    .vgpr_count:     41
    .vgpr_spill_count: 0
    .wavefront_size: 64
  - .agpr_count:     0
    .args:
      - .offset:         0
        .size:           40
        .value_kind:     by_value
    .group_segment_fixed_size: 0
    .kernarg_segment_align: 8
    .kernarg_segment_size: 40
    .language:       OpenCL C
    .language_version:
      - 2
      - 0
    .max_flat_workgroup_size: 128
    .name:           _ZN7rocprim17ROCPRIM_400000_NS6detail17trampoline_kernelINS0_14default_configENS1_20scan_config_selectorItEEZZNS1_9scan_implILNS1_25lookback_scan_determinismE0ELb0ELb0ES3_N6thrust23THRUST_200600_302600_NS6detail15normal_iteratorINS9_10device_ptrItEEEENS9_16discard_iteratorINS9_11use_defaultEEEtNS9_4plusIvEEtEEDaPvRmT3_T4_T5_mT6_P12ihipStream_tbENKUlT_T0_E_clISt17integral_constantIbLb1EESX_EEDaSS_ST_EUlSS_E0_NS1_11comp_targetILNS1_3genE3ELNS1_11target_archE908ELNS1_3gpuE7ELNS1_3repE0EEENS1_30default_config_static_selectorELNS0_4arch9wavefront6targetE1EEEvT1_
    .private_segment_fixed_size: 0
    .sgpr_count:     4
    .sgpr_spill_count: 0
    .symbol:         _ZN7rocprim17ROCPRIM_400000_NS6detail17trampoline_kernelINS0_14default_configENS1_20scan_config_selectorItEEZZNS1_9scan_implILNS1_25lookback_scan_determinismE0ELb0ELb0ES3_N6thrust23THRUST_200600_302600_NS6detail15normal_iteratorINS9_10device_ptrItEEEENS9_16discard_iteratorINS9_11use_defaultEEEtNS9_4plusIvEEtEEDaPvRmT3_T4_T5_mT6_P12ihipStream_tbENKUlT_T0_E_clISt17integral_constantIbLb1EESX_EEDaSS_ST_EUlSS_E0_NS1_11comp_targetILNS1_3genE3ELNS1_11target_archE908ELNS1_3gpuE7ELNS1_3repE0EEENS1_30default_config_static_selectorELNS0_4arch9wavefront6targetE1EEEvT1_.kd
    .uniform_work_group_size: 1
    .uses_dynamic_stack: false
    .vgpr_count:     0
    .vgpr_spill_count: 0
    .wavefront_size: 64
  - .agpr_count:     0
    .args:
      - .offset:         0
        .size:           40
        .value_kind:     by_value
    .group_segment_fixed_size: 0
    .kernarg_segment_align: 8
    .kernarg_segment_size: 40
    .language:       OpenCL C
    .language_version:
      - 2
      - 0
    .max_flat_workgroup_size: 256
    .name:           _ZN7rocprim17ROCPRIM_400000_NS6detail17trampoline_kernelINS0_14default_configENS1_20scan_config_selectorItEEZZNS1_9scan_implILNS1_25lookback_scan_determinismE0ELb0ELb0ES3_N6thrust23THRUST_200600_302600_NS6detail15normal_iteratorINS9_10device_ptrItEEEENS9_16discard_iteratorINS9_11use_defaultEEEtNS9_4plusIvEEtEEDaPvRmT3_T4_T5_mT6_P12ihipStream_tbENKUlT_T0_E_clISt17integral_constantIbLb1EESX_EEDaSS_ST_EUlSS_E0_NS1_11comp_targetILNS1_3genE2ELNS1_11target_archE906ELNS1_3gpuE6ELNS1_3repE0EEENS1_30default_config_static_selectorELNS0_4arch9wavefront6targetE1EEEvT1_
    .private_segment_fixed_size: 0
    .sgpr_count:     4
    .sgpr_spill_count: 0
    .symbol:         _ZN7rocprim17ROCPRIM_400000_NS6detail17trampoline_kernelINS0_14default_configENS1_20scan_config_selectorItEEZZNS1_9scan_implILNS1_25lookback_scan_determinismE0ELb0ELb0ES3_N6thrust23THRUST_200600_302600_NS6detail15normal_iteratorINS9_10device_ptrItEEEENS9_16discard_iteratorINS9_11use_defaultEEEtNS9_4plusIvEEtEEDaPvRmT3_T4_T5_mT6_P12ihipStream_tbENKUlT_T0_E_clISt17integral_constantIbLb1EESX_EEDaSS_ST_EUlSS_E0_NS1_11comp_targetILNS1_3genE2ELNS1_11target_archE906ELNS1_3gpuE6ELNS1_3repE0EEENS1_30default_config_static_selectorELNS0_4arch9wavefront6targetE1EEEvT1_.kd
    .uniform_work_group_size: 1
    .uses_dynamic_stack: false
    .vgpr_count:     0
    .vgpr_spill_count: 0
    .wavefront_size: 64
  - .agpr_count:     0
    .args:
      - .offset:         0
        .size:           40
        .value_kind:     by_value
    .group_segment_fixed_size: 0
    .kernarg_segment_align: 8
    .kernarg_segment_size: 40
    .language:       OpenCL C
    .language_version:
      - 2
      - 0
    .max_flat_workgroup_size: 256
    .name:           _ZN7rocprim17ROCPRIM_400000_NS6detail17trampoline_kernelINS0_14default_configENS1_20scan_config_selectorItEEZZNS1_9scan_implILNS1_25lookback_scan_determinismE0ELb0ELb0ES3_N6thrust23THRUST_200600_302600_NS6detail15normal_iteratorINS9_10device_ptrItEEEENS9_16discard_iteratorINS9_11use_defaultEEEtNS9_4plusIvEEtEEDaPvRmT3_T4_T5_mT6_P12ihipStream_tbENKUlT_T0_E_clISt17integral_constantIbLb1EESX_EEDaSS_ST_EUlSS_E0_NS1_11comp_targetILNS1_3genE10ELNS1_11target_archE1201ELNS1_3gpuE5ELNS1_3repE0EEENS1_30default_config_static_selectorELNS0_4arch9wavefront6targetE1EEEvT1_
    .private_segment_fixed_size: 0
    .sgpr_count:     4
    .sgpr_spill_count: 0
    .symbol:         _ZN7rocprim17ROCPRIM_400000_NS6detail17trampoline_kernelINS0_14default_configENS1_20scan_config_selectorItEEZZNS1_9scan_implILNS1_25lookback_scan_determinismE0ELb0ELb0ES3_N6thrust23THRUST_200600_302600_NS6detail15normal_iteratorINS9_10device_ptrItEEEENS9_16discard_iteratorINS9_11use_defaultEEEtNS9_4plusIvEEtEEDaPvRmT3_T4_T5_mT6_P12ihipStream_tbENKUlT_T0_E_clISt17integral_constantIbLb1EESX_EEDaSS_ST_EUlSS_E0_NS1_11comp_targetILNS1_3genE10ELNS1_11target_archE1201ELNS1_3gpuE5ELNS1_3repE0EEENS1_30default_config_static_selectorELNS0_4arch9wavefront6targetE1EEEvT1_.kd
    .uniform_work_group_size: 1
    .uses_dynamic_stack: false
    .vgpr_count:     0
    .vgpr_spill_count: 0
    .wavefront_size: 64
  - .agpr_count:     0
    .args:
      - .offset:         0
        .size:           40
        .value_kind:     by_value
    .group_segment_fixed_size: 0
    .kernarg_segment_align: 8
    .kernarg_segment_size: 40
    .language:       OpenCL C
    .language_version:
      - 2
      - 0
    .max_flat_workgroup_size: 256
    .name:           _ZN7rocprim17ROCPRIM_400000_NS6detail17trampoline_kernelINS0_14default_configENS1_20scan_config_selectorItEEZZNS1_9scan_implILNS1_25lookback_scan_determinismE0ELb0ELb0ES3_N6thrust23THRUST_200600_302600_NS6detail15normal_iteratorINS9_10device_ptrItEEEENS9_16discard_iteratorINS9_11use_defaultEEEtNS9_4plusIvEEtEEDaPvRmT3_T4_T5_mT6_P12ihipStream_tbENKUlT_T0_E_clISt17integral_constantIbLb1EESX_EEDaSS_ST_EUlSS_E0_NS1_11comp_targetILNS1_3genE10ELNS1_11target_archE1200ELNS1_3gpuE4ELNS1_3repE0EEENS1_30default_config_static_selectorELNS0_4arch9wavefront6targetE1EEEvT1_
    .private_segment_fixed_size: 0
    .sgpr_count:     4
    .sgpr_spill_count: 0
    .symbol:         _ZN7rocprim17ROCPRIM_400000_NS6detail17trampoline_kernelINS0_14default_configENS1_20scan_config_selectorItEEZZNS1_9scan_implILNS1_25lookback_scan_determinismE0ELb0ELb0ES3_N6thrust23THRUST_200600_302600_NS6detail15normal_iteratorINS9_10device_ptrItEEEENS9_16discard_iteratorINS9_11use_defaultEEEtNS9_4plusIvEEtEEDaPvRmT3_T4_T5_mT6_P12ihipStream_tbENKUlT_T0_E_clISt17integral_constantIbLb1EESX_EEDaSS_ST_EUlSS_E0_NS1_11comp_targetILNS1_3genE10ELNS1_11target_archE1200ELNS1_3gpuE4ELNS1_3repE0EEENS1_30default_config_static_selectorELNS0_4arch9wavefront6targetE1EEEvT1_.kd
    .uniform_work_group_size: 1
    .uses_dynamic_stack: false
    .vgpr_count:     0
    .vgpr_spill_count: 0
    .wavefront_size: 64
  - .agpr_count:     0
    .args:
      - .offset:         0
        .size:           40
        .value_kind:     by_value
    .group_segment_fixed_size: 0
    .kernarg_segment_align: 8
    .kernarg_segment_size: 40
    .language:       OpenCL C
    .language_version:
      - 2
      - 0
    .max_flat_workgroup_size: 64
    .name:           _ZN7rocprim17ROCPRIM_400000_NS6detail17trampoline_kernelINS0_14default_configENS1_20scan_config_selectorItEEZZNS1_9scan_implILNS1_25lookback_scan_determinismE0ELb0ELb0ES3_N6thrust23THRUST_200600_302600_NS6detail15normal_iteratorINS9_10device_ptrItEEEENS9_16discard_iteratorINS9_11use_defaultEEEtNS9_4plusIvEEtEEDaPvRmT3_T4_T5_mT6_P12ihipStream_tbENKUlT_T0_E_clISt17integral_constantIbLb1EESX_EEDaSS_ST_EUlSS_E0_NS1_11comp_targetILNS1_3genE9ELNS1_11target_archE1100ELNS1_3gpuE3ELNS1_3repE0EEENS1_30default_config_static_selectorELNS0_4arch9wavefront6targetE1EEEvT1_
    .private_segment_fixed_size: 0
    .sgpr_count:     4
    .sgpr_spill_count: 0
    .symbol:         _ZN7rocprim17ROCPRIM_400000_NS6detail17trampoline_kernelINS0_14default_configENS1_20scan_config_selectorItEEZZNS1_9scan_implILNS1_25lookback_scan_determinismE0ELb0ELb0ES3_N6thrust23THRUST_200600_302600_NS6detail15normal_iteratorINS9_10device_ptrItEEEENS9_16discard_iteratorINS9_11use_defaultEEEtNS9_4plusIvEEtEEDaPvRmT3_T4_T5_mT6_P12ihipStream_tbENKUlT_T0_E_clISt17integral_constantIbLb1EESX_EEDaSS_ST_EUlSS_E0_NS1_11comp_targetILNS1_3genE9ELNS1_11target_archE1100ELNS1_3gpuE3ELNS1_3repE0EEENS1_30default_config_static_selectorELNS0_4arch9wavefront6targetE1EEEvT1_.kd
    .uniform_work_group_size: 1
    .uses_dynamic_stack: false
    .vgpr_count:     0
    .vgpr_spill_count: 0
    .wavefront_size: 64
  - .agpr_count:     0
    .args:
      - .offset:         0
        .size:           40
        .value_kind:     by_value
    .group_segment_fixed_size: 0
    .kernarg_segment_align: 8
    .kernarg_segment_size: 40
    .language:       OpenCL C
    .language_version:
      - 2
      - 0
    .max_flat_workgroup_size: 64
    .name:           _ZN7rocprim17ROCPRIM_400000_NS6detail17trampoline_kernelINS0_14default_configENS1_20scan_config_selectorItEEZZNS1_9scan_implILNS1_25lookback_scan_determinismE0ELb0ELb0ES3_N6thrust23THRUST_200600_302600_NS6detail15normal_iteratorINS9_10device_ptrItEEEENS9_16discard_iteratorINS9_11use_defaultEEEtNS9_4plusIvEEtEEDaPvRmT3_T4_T5_mT6_P12ihipStream_tbENKUlT_T0_E_clISt17integral_constantIbLb1EESX_EEDaSS_ST_EUlSS_E0_NS1_11comp_targetILNS1_3genE8ELNS1_11target_archE1030ELNS1_3gpuE2ELNS1_3repE0EEENS1_30default_config_static_selectorELNS0_4arch9wavefront6targetE1EEEvT1_
    .private_segment_fixed_size: 0
    .sgpr_count:     4
    .sgpr_spill_count: 0
    .symbol:         _ZN7rocprim17ROCPRIM_400000_NS6detail17trampoline_kernelINS0_14default_configENS1_20scan_config_selectorItEEZZNS1_9scan_implILNS1_25lookback_scan_determinismE0ELb0ELb0ES3_N6thrust23THRUST_200600_302600_NS6detail15normal_iteratorINS9_10device_ptrItEEEENS9_16discard_iteratorINS9_11use_defaultEEEtNS9_4plusIvEEtEEDaPvRmT3_T4_T5_mT6_P12ihipStream_tbENKUlT_T0_E_clISt17integral_constantIbLb1EESX_EEDaSS_ST_EUlSS_E0_NS1_11comp_targetILNS1_3genE8ELNS1_11target_archE1030ELNS1_3gpuE2ELNS1_3repE0EEENS1_30default_config_static_selectorELNS0_4arch9wavefront6targetE1EEEvT1_.kd
    .uniform_work_group_size: 1
    .uses_dynamic_stack: false
    .vgpr_count:     0
    .vgpr_spill_count: 0
    .wavefront_size: 64
  - .agpr_count:     0
    .args:
      - .offset:         0
        .size:           104
        .value_kind:     by_value
    .group_segment_fixed_size: 0
    .kernarg_segment_align: 8
    .kernarg_segment_size: 104
    .language:       OpenCL C
    .language_version:
      - 2
      - 0
    .max_flat_workgroup_size: 128
    .name:           _ZN7rocprim17ROCPRIM_400000_NS6detail17trampoline_kernelINS0_14default_configENS1_20scan_config_selectorItEEZZNS1_9scan_implILNS1_25lookback_scan_determinismE0ELb0ELb0ES3_N6thrust23THRUST_200600_302600_NS6detail15normal_iteratorINS9_10device_ptrItEEEENS9_16discard_iteratorINS9_11use_defaultEEEtNS9_4plusIvEEtEEDaPvRmT3_T4_T5_mT6_P12ihipStream_tbENKUlT_T0_E_clISt17integral_constantIbLb1EESW_IbLb0EEEEDaSS_ST_EUlSS_E_NS1_11comp_targetILNS1_3genE0ELNS1_11target_archE4294967295ELNS1_3gpuE0ELNS1_3repE0EEENS1_30default_config_static_selectorELNS0_4arch9wavefront6targetE1EEEvT1_
    .private_segment_fixed_size: 0
    .sgpr_count:     4
    .sgpr_spill_count: 0
    .symbol:         _ZN7rocprim17ROCPRIM_400000_NS6detail17trampoline_kernelINS0_14default_configENS1_20scan_config_selectorItEEZZNS1_9scan_implILNS1_25lookback_scan_determinismE0ELb0ELb0ES3_N6thrust23THRUST_200600_302600_NS6detail15normal_iteratorINS9_10device_ptrItEEEENS9_16discard_iteratorINS9_11use_defaultEEEtNS9_4plusIvEEtEEDaPvRmT3_T4_T5_mT6_P12ihipStream_tbENKUlT_T0_E_clISt17integral_constantIbLb1EESW_IbLb0EEEEDaSS_ST_EUlSS_E_NS1_11comp_targetILNS1_3genE0ELNS1_11target_archE4294967295ELNS1_3gpuE0ELNS1_3repE0EEENS1_30default_config_static_selectorELNS0_4arch9wavefront6targetE1EEEvT1_.kd
    .uniform_work_group_size: 1
    .uses_dynamic_stack: false
    .vgpr_count:     0
    .vgpr_spill_count: 0
    .wavefront_size: 64
  - .agpr_count:     0
    .args:
      - .offset:         0
        .size:           104
        .value_kind:     by_value
    .group_segment_fixed_size: 0
    .kernarg_segment_align: 8
    .kernarg_segment_size: 104
    .language:       OpenCL C
    .language_version:
      - 2
      - 0
    .max_flat_workgroup_size: 256
    .name:           _ZN7rocprim17ROCPRIM_400000_NS6detail17trampoline_kernelINS0_14default_configENS1_20scan_config_selectorItEEZZNS1_9scan_implILNS1_25lookback_scan_determinismE0ELb0ELb0ES3_N6thrust23THRUST_200600_302600_NS6detail15normal_iteratorINS9_10device_ptrItEEEENS9_16discard_iteratorINS9_11use_defaultEEEtNS9_4plusIvEEtEEDaPvRmT3_T4_T5_mT6_P12ihipStream_tbENKUlT_T0_E_clISt17integral_constantIbLb1EESW_IbLb0EEEEDaSS_ST_EUlSS_E_NS1_11comp_targetILNS1_3genE5ELNS1_11target_archE942ELNS1_3gpuE9ELNS1_3repE0EEENS1_30default_config_static_selectorELNS0_4arch9wavefront6targetE1EEEvT1_
    .private_segment_fixed_size: 0
    .sgpr_count:     4
    .sgpr_spill_count: 0
    .symbol:         _ZN7rocprim17ROCPRIM_400000_NS6detail17trampoline_kernelINS0_14default_configENS1_20scan_config_selectorItEEZZNS1_9scan_implILNS1_25lookback_scan_determinismE0ELb0ELb0ES3_N6thrust23THRUST_200600_302600_NS6detail15normal_iteratorINS9_10device_ptrItEEEENS9_16discard_iteratorINS9_11use_defaultEEEtNS9_4plusIvEEtEEDaPvRmT3_T4_T5_mT6_P12ihipStream_tbENKUlT_T0_E_clISt17integral_constantIbLb1EESW_IbLb0EEEEDaSS_ST_EUlSS_E_NS1_11comp_targetILNS1_3genE5ELNS1_11target_archE942ELNS1_3gpuE9ELNS1_3repE0EEENS1_30default_config_static_selectorELNS0_4arch9wavefront6targetE1EEEvT1_.kd
    .uniform_work_group_size: 1
    .uses_dynamic_stack: false
    .vgpr_count:     0
    .vgpr_spill_count: 0
    .wavefront_size: 64
  - .agpr_count:     0
    .args:
      - .offset:         0
        .size:           104
        .value_kind:     by_value
    .group_segment_fixed_size: 3072
    .kernarg_segment_align: 8
    .kernarg_segment_size: 104
    .language:       OpenCL C
    .language_version:
      - 2
      - 0
    .max_flat_workgroup_size: 64
    .name:           _ZN7rocprim17ROCPRIM_400000_NS6detail17trampoline_kernelINS0_14default_configENS1_20scan_config_selectorItEEZZNS1_9scan_implILNS1_25lookback_scan_determinismE0ELb0ELb0ES3_N6thrust23THRUST_200600_302600_NS6detail15normal_iteratorINS9_10device_ptrItEEEENS9_16discard_iteratorINS9_11use_defaultEEEtNS9_4plusIvEEtEEDaPvRmT3_T4_T5_mT6_P12ihipStream_tbENKUlT_T0_E_clISt17integral_constantIbLb1EESW_IbLb0EEEEDaSS_ST_EUlSS_E_NS1_11comp_targetILNS1_3genE4ELNS1_11target_archE910ELNS1_3gpuE8ELNS1_3repE0EEENS1_30default_config_static_selectorELNS0_4arch9wavefront6targetE1EEEvT1_
    .private_segment_fixed_size: 0
    .sgpr_count:     30
    .sgpr_spill_count: 0
    .symbol:         _ZN7rocprim17ROCPRIM_400000_NS6detail17trampoline_kernelINS0_14default_configENS1_20scan_config_selectorItEEZZNS1_9scan_implILNS1_25lookback_scan_determinismE0ELb0ELb0ES3_N6thrust23THRUST_200600_302600_NS6detail15normal_iteratorINS9_10device_ptrItEEEENS9_16discard_iteratorINS9_11use_defaultEEEtNS9_4plusIvEEtEEDaPvRmT3_T4_T5_mT6_P12ihipStream_tbENKUlT_T0_E_clISt17integral_constantIbLb1EESW_IbLb0EEEEDaSS_ST_EUlSS_E_NS1_11comp_targetILNS1_3genE4ELNS1_11target_archE910ELNS1_3gpuE8ELNS1_3repE0EEENS1_30default_config_static_selectorELNS0_4arch9wavefront6targetE1EEEvT1_.kd
    .uniform_work_group_size: 1
    .uses_dynamic_stack: false
    .vgpr_count:     43
    .vgpr_spill_count: 0
    .wavefront_size: 64
  - .agpr_count:     0
    .args:
      - .offset:         0
        .size:           104
        .value_kind:     by_value
    .group_segment_fixed_size: 0
    .kernarg_segment_align: 8
    .kernarg_segment_size: 104
    .language:       OpenCL C
    .language_version:
      - 2
      - 0
    .max_flat_workgroup_size: 128
    .name:           _ZN7rocprim17ROCPRIM_400000_NS6detail17trampoline_kernelINS0_14default_configENS1_20scan_config_selectorItEEZZNS1_9scan_implILNS1_25lookback_scan_determinismE0ELb0ELb0ES3_N6thrust23THRUST_200600_302600_NS6detail15normal_iteratorINS9_10device_ptrItEEEENS9_16discard_iteratorINS9_11use_defaultEEEtNS9_4plusIvEEtEEDaPvRmT3_T4_T5_mT6_P12ihipStream_tbENKUlT_T0_E_clISt17integral_constantIbLb1EESW_IbLb0EEEEDaSS_ST_EUlSS_E_NS1_11comp_targetILNS1_3genE3ELNS1_11target_archE908ELNS1_3gpuE7ELNS1_3repE0EEENS1_30default_config_static_selectorELNS0_4arch9wavefront6targetE1EEEvT1_
    .private_segment_fixed_size: 0
    .sgpr_count:     4
    .sgpr_spill_count: 0
    .symbol:         _ZN7rocprim17ROCPRIM_400000_NS6detail17trampoline_kernelINS0_14default_configENS1_20scan_config_selectorItEEZZNS1_9scan_implILNS1_25lookback_scan_determinismE0ELb0ELb0ES3_N6thrust23THRUST_200600_302600_NS6detail15normal_iteratorINS9_10device_ptrItEEEENS9_16discard_iteratorINS9_11use_defaultEEEtNS9_4plusIvEEtEEDaPvRmT3_T4_T5_mT6_P12ihipStream_tbENKUlT_T0_E_clISt17integral_constantIbLb1EESW_IbLb0EEEEDaSS_ST_EUlSS_E_NS1_11comp_targetILNS1_3genE3ELNS1_11target_archE908ELNS1_3gpuE7ELNS1_3repE0EEENS1_30default_config_static_selectorELNS0_4arch9wavefront6targetE1EEEvT1_.kd
    .uniform_work_group_size: 1
    .uses_dynamic_stack: false
    .vgpr_count:     0
    .vgpr_spill_count: 0
    .wavefront_size: 64
  - .agpr_count:     0
    .args:
      - .offset:         0
        .size:           104
        .value_kind:     by_value
    .group_segment_fixed_size: 0
    .kernarg_segment_align: 8
    .kernarg_segment_size: 104
    .language:       OpenCL C
    .language_version:
      - 2
      - 0
    .max_flat_workgroup_size: 256
    .name:           _ZN7rocprim17ROCPRIM_400000_NS6detail17trampoline_kernelINS0_14default_configENS1_20scan_config_selectorItEEZZNS1_9scan_implILNS1_25lookback_scan_determinismE0ELb0ELb0ES3_N6thrust23THRUST_200600_302600_NS6detail15normal_iteratorINS9_10device_ptrItEEEENS9_16discard_iteratorINS9_11use_defaultEEEtNS9_4plusIvEEtEEDaPvRmT3_T4_T5_mT6_P12ihipStream_tbENKUlT_T0_E_clISt17integral_constantIbLb1EESW_IbLb0EEEEDaSS_ST_EUlSS_E_NS1_11comp_targetILNS1_3genE2ELNS1_11target_archE906ELNS1_3gpuE6ELNS1_3repE0EEENS1_30default_config_static_selectorELNS0_4arch9wavefront6targetE1EEEvT1_
    .private_segment_fixed_size: 0
    .sgpr_count:     4
    .sgpr_spill_count: 0
    .symbol:         _ZN7rocprim17ROCPRIM_400000_NS6detail17trampoline_kernelINS0_14default_configENS1_20scan_config_selectorItEEZZNS1_9scan_implILNS1_25lookback_scan_determinismE0ELb0ELb0ES3_N6thrust23THRUST_200600_302600_NS6detail15normal_iteratorINS9_10device_ptrItEEEENS9_16discard_iteratorINS9_11use_defaultEEEtNS9_4plusIvEEtEEDaPvRmT3_T4_T5_mT6_P12ihipStream_tbENKUlT_T0_E_clISt17integral_constantIbLb1EESW_IbLb0EEEEDaSS_ST_EUlSS_E_NS1_11comp_targetILNS1_3genE2ELNS1_11target_archE906ELNS1_3gpuE6ELNS1_3repE0EEENS1_30default_config_static_selectorELNS0_4arch9wavefront6targetE1EEEvT1_.kd
    .uniform_work_group_size: 1
    .uses_dynamic_stack: false
    .vgpr_count:     0
    .vgpr_spill_count: 0
    .wavefront_size: 64
  - .agpr_count:     0
    .args:
      - .offset:         0
        .size:           104
        .value_kind:     by_value
    .group_segment_fixed_size: 0
    .kernarg_segment_align: 8
    .kernarg_segment_size: 104
    .language:       OpenCL C
    .language_version:
      - 2
      - 0
    .max_flat_workgroup_size: 256
    .name:           _ZN7rocprim17ROCPRIM_400000_NS6detail17trampoline_kernelINS0_14default_configENS1_20scan_config_selectorItEEZZNS1_9scan_implILNS1_25lookback_scan_determinismE0ELb0ELb0ES3_N6thrust23THRUST_200600_302600_NS6detail15normal_iteratorINS9_10device_ptrItEEEENS9_16discard_iteratorINS9_11use_defaultEEEtNS9_4plusIvEEtEEDaPvRmT3_T4_T5_mT6_P12ihipStream_tbENKUlT_T0_E_clISt17integral_constantIbLb1EESW_IbLb0EEEEDaSS_ST_EUlSS_E_NS1_11comp_targetILNS1_3genE10ELNS1_11target_archE1201ELNS1_3gpuE5ELNS1_3repE0EEENS1_30default_config_static_selectorELNS0_4arch9wavefront6targetE1EEEvT1_
    .private_segment_fixed_size: 0
    .sgpr_count:     4
    .sgpr_spill_count: 0
    .symbol:         _ZN7rocprim17ROCPRIM_400000_NS6detail17trampoline_kernelINS0_14default_configENS1_20scan_config_selectorItEEZZNS1_9scan_implILNS1_25lookback_scan_determinismE0ELb0ELb0ES3_N6thrust23THRUST_200600_302600_NS6detail15normal_iteratorINS9_10device_ptrItEEEENS9_16discard_iteratorINS9_11use_defaultEEEtNS9_4plusIvEEtEEDaPvRmT3_T4_T5_mT6_P12ihipStream_tbENKUlT_T0_E_clISt17integral_constantIbLb1EESW_IbLb0EEEEDaSS_ST_EUlSS_E_NS1_11comp_targetILNS1_3genE10ELNS1_11target_archE1201ELNS1_3gpuE5ELNS1_3repE0EEENS1_30default_config_static_selectorELNS0_4arch9wavefront6targetE1EEEvT1_.kd
    .uniform_work_group_size: 1
    .uses_dynamic_stack: false
    .vgpr_count:     0
    .vgpr_spill_count: 0
    .wavefront_size: 64
  - .agpr_count:     0
    .args:
      - .offset:         0
        .size:           104
        .value_kind:     by_value
    .group_segment_fixed_size: 0
    .kernarg_segment_align: 8
    .kernarg_segment_size: 104
    .language:       OpenCL C
    .language_version:
      - 2
      - 0
    .max_flat_workgroup_size: 256
    .name:           _ZN7rocprim17ROCPRIM_400000_NS6detail17trampoline_kernelINS0_14default_configENS1_20scan_config_selectorItEEZZNS1_9scan_implILNS1_25lookback_scan_determinismE0ELb0ELb0ES3_N6thrust23THRUST_200600_302600_NS6detail15normal_iteratorINS9_10device_ptrItEEEENS9_16discard_iteratorINS9_11use_defaultEEEtNS9_4plusIvEEtEEDaPvRmT3_T4_T5_mT6_P12ihipStream_tbENKUlT_T0_E_clISt17integral_constantIbLb1EESW_IbLb0EEEEDaSS_ST_EUlSS_E_NS1_11comp_targetILNS1_3genE10ELNS1_11target_archE1200ELNS1_3gpuE4ELNS1_3repE0EEENS1_30default_config_static_selectorELNS0_4arch9wavefront6targetE1EEEvT1_
    .private_segment_fixed_size: 0
    .sgpr_count:     4
    .sgpr_spill_count: 0
    .symbol:         _ZN7rocprim17ROCPRIM_400000_NS6detail17trampoline_kernelINS0_14default_configENS1_20scan_config_selectorItEEZZNS1_9scan_implILNS1_25lookback_scan_determinismE0ELb0ELb0ES3_N6thrust23THRUST_200600_302600_NS6detail15normal_iteratorINS9_10device_ptrItEEEENS9_16discard_iteratorINS9_11use_defaultEEEtNS9_4plusIvEEtEEDaPvRmT3_T4_T5_mT6_P12ihipStream_tbENKUlT_T0_E_clISt17integral_constantIbLb1EESW_IbLb0EEEEDaSS_ST_EUlSS_E_NS1_11comp_targetILNS1_3genE10ELNS1_11target_archE1200ELNS1_3gpuE4ELNS1_3repE0EEENS1_30default_config_static_selectorELNS0_4arch9wavefront6targetE1EEEvT1_.kd
    .uniform_work_group_size: 1
    .uses_dynamic_stack: false
    .vgpr_count:     0
    .vgpr_spill_count: 0
    .wavefront_size: 64
  - .agpr_count:     0
    .args:
      - .offset:         0
        .size:           104
        .value_kind:     by_value
    .group_segment_fixed_size: 0
    .kernarg_segment_align: 8
    .kernarg_segment_size: 104
    .language:       OpenCL C
    .language_version:
      - 2
      - 0
    .max_flat_workgroup_size: 64
    .name:           _ZN7rocprim17ROCPRIM_400000_NS6detail17trampoline_kernelINS0_14default_configENS1_20scan_config_selectorItEEZZNS1_9scan_implILNS1_25lookback_scan_determinismE0ELb0ELb0ES3_N6thrust23THRUST_200600_302600_NS6detail15normal_iteratorINS9_10device_ptrItEEEENS9_16discard_iteratorINS9_11use_defaultEEEtNS9_4plusIvEEtEEDaPvRmT3_T4_T5_mT6_P12ihipStream_tbENKUlT_T0_E_clISt17integral_constantIbLb1EESW_IbLb0EEEEDaSS_ST_EUlSS_E_NS1_11comp_targetILNS1_3genE9ELNS1_11target_archE1100ELNS1_3gpuE3ELNS1_3repE0EEENS1_30default_config_static_selectorELNS0_4arch9wavefront6targetE1EEEvT1_
    .private_segment_fixed_size: 0
    .sgpr_count:     4
    .sgpr_spill_count: 0
    .symbol:         _ZN7rocprim17ROCPRIM_400000_NS6detail17trampoline_kernelINS0_14default_configENS1_20scan_config_selectorItEEZZNS1_9scan_implILNS1_25lookback_scan_determinismE0ELb0ELb0ES3_N6thrust23THRUST_200600_302600_NS6detail15normal_iteratorINS9_10device_ptrItEEEENS9_16discard_iteratorINS9_11use_defaultEEEtNS9_4plusIvEEtEEDaPvRmT3_T4_T5_mT6_P12ihipStream_tbENKUlT_T0_E_clISt17integral_constantIbLb1EESW_IbLb0EEEEDaSS_ST_EUlSS_E_NS1_11comp_targetILNS1_3genE9ELNS1_11target_archE1100ELNS1_3gpuE3ELNS1_3repE0EEENS1_30default_config_static_selectorELNS0_4arch9wavefront6targetE1EEEvT1_.kd
    .uniform_work_group_size: 1
    .uses_dynamic_stack: false
    .vgpr_count:     0
    .vgpr_spill_count: 0
    .wavefront_size: 64
  - .agpr_count:     0
    .args:
      - .offset:         0
        .size:           104
        .value_kind:     by_value
    .group_segment_fixed_size: 0
    .kernarg_segment_align: 8
    .kernarg_segment_size: 104
    .language:       OpenCL C
    .language_version:
      - 2
      - 0
    .max_flat_workgroup_size: 64
    .name:           _ZN7rocprim17ROCPRIM_400000_NS6detail17trampoline_kernelINS0_14default_configENS1_20scan_config_selectorItEEZZNS1_9scan_implILNS1_25lookback_scan_determinismE0ELb0ELb0ES3_N6thrust23THRUST_200600_302600_NS6detail15normal_iteratorINS9_10device_ptrItEEEENS9_16discard_iteratorINS9_11use_defaultEEEtNS9_4plusIvEEtEEDaPvRmT3_T4_T5_mT6_P12ihipStream_tbENKUlT_T0_E_clISt17integral_constantIbLb1EESW_IbLb0EEEEDaSS_ST_EUlSS_E_NS1_11comp_targetILNS1_3genE8ELNS1_11target_archE1030ELNS1_3gpuE2ELNS1_3repE0EEENS1_30default_config_static_selectorELNS0_4arch9wavefront6targetE1EEEvT1_
    .private_segment_fixed_size: 0
    .sgpr_count:     4
    .sgpr_spill_count: 0
    .symbol:         _ZN7rocprim17ROCPRIM_400000_NS6detail17trampoline_kernelINS0_14default_configENS1_20scan_config_selectorItEEZZNS1_9scan_implILNS1_25lookback_scan_determinismE0ELb0ELb0ES3_N6thrust23THRUST_200600_302600_NS6detail15normal_iteratorINS9_10device_ptrItEEEENS9_16discard_iteratorINS9_11use_defaultEEEtNS9_4plusIvEEtEEDaPvRmT3_T4_T5_mT6_P12ihipStream_tbENKUlT_T0_E_clISt17integral_constantIbLb1EESW_IbLb0EEEEDaSS_ST_EUlSS_E_NS1_11comp_targetILNS1_3genE8ELNS1_11target_archE1030ELNS1_3gpuE2ELNS1_3repE0EEENS1_30default_config_static_selectorELNS0_4arch9wavefront6targetE1EEEvT1_.kd
    .uniform_work_group_size: 1
    .uses_dynamic_stack: false
    .vgpr_count:     0
    .vgpr_spill_count: 0
    .wavefront_size: 64
  - .agpr_count:     0
    .args:
      - .offset:         0
        .size:           40
        .value_kind:     by_value
    .group_segment_fixed_size: 0
    .kernarg_segment_align: 8
    .kernarg_segment_size: 40
    .language:       OpenCL C
    .language_version:
      - 2
      - 0
    .max_flat_workgroup_size: 128
    .name:           _ZN7rocprim17ROCPRIM_400000_NS6detail17trampoline_kernelINS0_14default_configENS1_20scan_config_selectorItEEZZNS1_9scan_implILNS1_25lookback_scan_determinismE0ELb0ELb0ES3_N6thrust23THRUST_200600_302600_NS6detail15normal_iteratorINS9_10device_ptrItEEEENS9_16discard_iteratorINS9_11use_defaultEEEtNS9_4plusIvEEtEEDaPvRmT3_T4_T5_mT6_P12ihipStream_tbENKUlT_T0_E_clISt17integral_constantIbLb1EESW_IbLb0EEEEDaSS_ST_EUlSS_E0_NS1_11comp_targetILNS1_3genE0ELNS1_11target_archE4294967295ELNS1_3gpuE0ELNS1_3repE0EEENS1_30default_config_static_selectorELNS0_4arch9wavefront6targetE1EEEvT1_
    .private_segment_fixed_size: 0
    .sgpr_count:     4
    .sgpr_spill_count: 0
    .symbol:         _ZN7rocprim17ROCPRIM_400000_NS6detail17trampoline_kernelINS0_14default_configENS1_20scan_config_selectorItEEZZNS1_9scan_implILNS1_25lookback_scan_determinismE0ELb0ELb0ES3_N6thrust23THRUST_200600_302600_NS6detail15normal_iteratorINS9_10device_ptrItEEEENS9_16discard_iteratorINS9_11use_defaultEEEtNS9_4plusIvEEtEEDaPvRmT3_T4_T5_mT6_P12ihipStream_tbENKUlT_T0_E_clISt17integral_constantIbLb1EESW_IbLb0EEEEDaSS_ST_EUlSS_E0_NS1_11comp_targetILNS1_3genE0ELNS1_11target_archE4294967295ELNS1_3gpuE0ELNS1_3repE0EEENS1_30default_config_static_selectorELNS0_4arch9wavefront6targetE1EEEvT1_.kd
    .uniform_work_group_size: 1
    .uses_dynamic_stack: false
    .vgpr_count:     0
    .vgpr_spill_count: 0
    .wavefront_size: 64
  - .agpr_count:     0
    .args:
      - .offset:         0
        .size:           40
        .value_kind:     by_value
    .group_segment_fixed_size: 0
    .kernarg_segment_align: 8
    .kernarg_segment_size: 40
    .language:       OpenCL C
    .language_version:
      - 2
      - 0
    .max_flat_workgroup_size: 256
    .name:           _ZN7rocprim17ROCPRIM_400000_NS6detail17trampoline_kernelINS0_14default_configENS1_20scan_config_selectorItEEZZNS1_9scan_implILNS1_25lookback_scan_determinismE0ELb0ELb0ES3_N6thrust23THRUST_200600_302600_NS6detail15normal_iteratorINS9_10device_ptrItEEEENS9_16discard_iteratorINS9_11use_defaultEEEtNS9_4plusIvEEtEEDaPvRmT3_T4_T5_mT6_P12ihipStream_tbENKUlT_T0_E_clISt17integral_constantIbLb1EESW_IbLb0EEEEDaSS_ST_EUlSS_E0_NS1_11comp_targetILNS1_3genE5ELNS1_11target_archE942ELNS1_3gpuE9ELNS1_3repE0EEENS1_30default_config_static_selectorELNS0_4arch9wavefront6targetE1EEEvT1_
    .private_segment_fixed_size: 0
    .sgpr_count:     4
    .sgpr_spill_count: 0
    .symbol:         _ZN7rocprim17ROCPRIM_400000_NS6detail17trampoline_kernelINS0_14default_configENS1_20scan_config_selectorItEEZZNS1_9scan_implILNS1_25lookback_scan_determinismE0ELb0ELb0ES3_N6thrust23THRUST_200600_302600_NS6detail15normal_iteratorINS9_10device_ptrItEEEENS9_16discard_iteratorINS9_11use_defaultEEEtNS9_4plusIvEEtEEDaPvRmT3_T4_T5_mT6_P12ihipStream_tbENKUlT_T0_E_clISt17integral_constantIbLb1EESW_IbLb0EEEEDaSS_ST_EUlSS_E0_NS1_11comp_targetILNS1_3genE5ELNS1_11target_archE942ELNS1_3gpuE9ELNS1_3repE0EEENS1_30default_config_static_selectorELNS0_4arch9wavefront6targetE1EEEvT1_.kd
    .uniform_work_group_size: 1
    .uses_dynamic_stack: false
    .vgpr_count:     0
    .vgpr_spill_count: 0
    .wavefront_size: 64
  - .agpr_count:     0
    .args:
      - .offset:         0
        .size:           40
        .value_kind:     by_value
    .group_segment_fixed_size: 3072
    .kernarg_segment_align: 8
    .kernarg_segment_size: 40
    .language:       OpenCL C
    .language_version:
      - 2
      - 0
    .max_flat_workgroup_size: 64
    .name:           _ZN7rocprim17ROCPRIM_400000_NS6detail17trampoline_kernelINS0_14default_configENS1_20scan_config_selectorItEEZZNS1_9scan_implILNS1_25lookback_scan_determinismE0ELb0ELb0ES3_N6thrust23THRUST_200600_302600_NS6detail15normal_iteratorINS9_10device_ptrItEEEENS9_16discard_iteratorINS9_11use_defaultEEEtNS9_4plusIvEEtEEDaPvRmT3_T4_T5_mT6_P12ihipStream_tbENKUlT_T0_E_clISt17integral_constantIbLb1EESW_IbLb0EEEEDaSS_ST_EUlSS_E0_NS1_11comp_targetILNS1_3genE4ELNS1_11target_archE910ELNS1_3gpuE8ELNS1_3repE0EEENS1_30default_config_static_selectorELNS0_4arch9wavefront6targetE1EEEvT1_
    .private_segment_fixed_size: 0
    .sgpr_count:     10
    .sgpr_spill_count: 0
    .symbol:         _ZN7rocprim17ROCPRIM_400000_NS6detail17trampoline_kernelINS0_14default_configENS1_20scan_config_selectorItEEZZNS1_9scan_implILNS1_25lookback_scan_determinismE0ELb0ELb0ES3_N6thrust23THRUST_200600_302600_NS6detail15normal_iteratorINS9_10device_ptrItEEEENS9_16discard_iteratorINS9_11use_defaultEEEtNS9_4plusIvEEtEEDaPvRmT3_T4_T5_mT6_P12ihipStream_tbENKUlT_T0_E_clISt17integral_constantIbLb1EESW_IbLb0EEEEDaSS_ST_EUlSS_E0_NS1_11comp_targetILNS1_3genE4ELNS1_11target_archE910ELNS1_3gpuE8ELNS1_3repE0EEENS1_30default_config_static_selectorELNS0_4arch9wavefront6targetE1EEEvT1_.kd
    .uniform_work_group_size: 1
    .uses_dynamic_stack: false
    .vgpr_count:     41
    .vgpr_spill_count: 0
    .wavefront_size: 64
  - .agpr_count:     0
    .args:
      - .offset:         0
        .size:           40
        .value_kind:     by_value
    .group_segment_fixed_size: 0
    .kernarg_segment_align: 8
    .kernarg_segment_size: 40
    .language:       OpenCL C
    .language_version:
      - 2
      - 0
    .max_flat_workgroup_size: 128
    .name:           _ZN7rocprim17ROCPRIM_400000_NS6detail17trampoline_kernelINS0_14default_configENS1_20scan_config_selectorItEEZZNS1_9scan_implILNS1_25lookback_scan_determinismE0ELb0ELb0ES3_N6thrust23THRUST_200600_302600_NS6detail15normal_iteratorINS9_10device_ptrItEEEENS9_16discard_iteratorINS9_11use_defaultEEEtNS9_4plusIvEEtEEDaPvRmT3_T4_T5_mT6_P12ihipStream_tbENKUlT_T0_E_clISt17integral_constantIbLb1EESW_IbLb0EEEEDaSS_ST_EUlSS_E0_NS1_11comp_targetILNS1_3genE3ELNS1_11target_archE908ELNS1_3gpuE7ELNS1_3repE0EEENS1_30default_config_static_selectorELNS0_4arch9wavefront6targetE1EEEvT1_
    .private_segment_fixed_size: 0
    .sgpr_count:     4
    .sgpr_spill_count: 0
    .symbol:         _ZN7rocprim17ROCPRIM_400000_NS6detail17trampoline_kernelINS0_14default_configENS1_20scan_config_selectorItEEZZNS1_9scan_implILNS1_25lookback_scan_determinismE0ELb0ELb0ES3_N6thrust23THRUST_200600_302600_NS6detail15normal_iteratorINS9_10device_ptrItEEEENS9_16discard_iteratorINS9_11use_defaultEEEtNS9_4plusIvEEtEEDaPvRmT3_T4_T5_mT6_P12ihipStream_tbENKUlT_T0_E_clISt17integral_constantIbLb1EESW_IbLb0EEEEDaSS_ST_EUlSS_E0_NS1_11comp_targetILNS1_3genE3ELNS1_11target_archE908ELNS1_3gpuE7ELNS1_3repE0EEENS1_30default_config_static_selectorELNS0_4arch9wavefront6targetE1EEEvT1_.kd
    .uniform_work_group_size: 1
    .uses_dynamic_stack: false
    .vgpr_count:     0
    .vgpr_spill_count: 0
    .wavefront_size: 64
  - .agpr_count:     0
    .args:
      - .offset:         0
        .size:           40
        .value_kind:     by_value
    .group_segment_fixed_size: 0
    .kernarg_segment_align: 8
    .kernarg_segment_size: 40
    .language:       OpenCL C
    .language_version:
      - 2
      - 0
    .max_flat_workgroup_size: 256
    .name:           _ZN7rocprim17ROCPRIM_400000_NS6detail17trampoline_kernelINS0_14default_configENS1_20scan_config_selectorItEEZZNS1_9scan_implILNS1_25lookback_scan_determinismE0ELb0ELb0ES3_N6thrust23THRUST_200600_302600_NS6detail15normal_iteratorINS9_10device_ptrItEEEENS9_16discard_iteratorINS9_11use_defaultEEEtNS9_4plusIvEEtEEDaPvRmT3_T4_T5_mT6_P12ihipStream_tbENKUlT_T0_E_clISt17integral_constantIbLb1EESW_IbLb0EEEEDaSS_ST_EUlSS_E0_NS1_11comp_targetILNS1_3genE2ELNS1_11target_archE906ELNS1_3gpuE6ELNS1_3repE0EEENS1_30default_config_static_selectorELNS0_4arch9wavefront6targetE1EEEvT1_
    .private_segment_fixed_size: 0
    .sgpr_count:     4
    .sgpr_spill_count: 0
    .symbol:         _ZN7rocprim17ROCPRIM_400000_NS6detail17trampoline_kernelINS0_14default_configENS1_20scan_config_selectorItEEZZNS1_9scan_implILNS1_25lookback_scan_determinismE0ELb0ELb0ES3_N6thrust23THRUST_200600_302600_NS6detail15normal_iteratorINS9_10device_ptrItEEEENS9_16discard_iteratorINS9_11use_defaultEEEtNS9_4plusIvEEtEEDaPvRmT3_T4_T5_mT6_P12ihipStream_tbENKUlT_T0_E_clISt17integral_constantIbLb1EESW_IbLb0EEEEDaSS_ST_EUlSS_E0_NS1_11comp_targetILNS1_3genE2ELNS1_11target_archE906ELNS1_3gpuE6ELNS1_3repE0EEENS1_30default_config_static_selectorELNS0_4arch9wavefront6targetE1EEEvT1_.kd
    .uniform_work_group_size: 1
    .uses_dynamic_stack: false
    .vgpr_count:     0
    .vgpr_spill_count: 0
    .wavefront_size: 64
  - .agpr_count:     0
    .args:
      - .offset:         0
        .size:           40
        .value_kind:     by_value
    .group_segment_fixed_size: 0
    .kernarg_segment_align: 8
    .kernarg_segment_size: 40
    .language:       OpenCL C
    .language_version:
      - 2
      - 0
    .max_flat_workgroup_size: 256
    .name:           _ZN7rocprim17ROCPRIM_400000_NS6detail17trampoline_kernelINS0_14default_configENS1_20scan_config_selectorItEEZZNS1_9scan_implILNS1_25lookback_scan_determinismE0ELb0ELb0ES3_N6thrust23THRUST_200600_302600_NS6detail15normal_iteratorINS9_10device_ptrItEEEENS9_16discard_iteratorINS9_11use_defaultEEEtNS9_4plusIvEEtEEDaPvRmT3_T4_T5_mT6_P12ihipStream_tbENKUlT_T0_E_clISt17integral_constantIbLb1EESW_IbLb0EEEEDaSS_ST_EUlSS_E0_NS1_11comp_targetILNS1_3genE10ELNS1_11target_archE1201ELNS1_3gpuE5ELNS1_3repE0EEENS1_30default_config_static_selectorELNS0_4arch9wavefront6targetE1EEEvT1_
    .private_segment_fixed_size: 0
    .sgpr_count:     4
    .sgpr_spill_count: 0
    .symbol:         _ZN7rocprim17ROCPRIM_400000_NS6detail17trampoline_kernelINS0_14default_configENS1_20scan_config_selectorItEEZZNS1_9scan_implILNS1_25lookback_scan_determinismE0ELb0ELb0ES3_N6thrust23THRUST_200600_302600_NS6detail15normal_iteratorINS9_10device_ptrItEEEENS9_16discard_iteratorINS9_11use_defaultEEEtNS9_4plusIvEEtEEDaPvRmT3_T4_T5_mT6_P12ihipStream_tbENKUlT_T0_E_clISt17integral_constantIbLb1EESW_IbLb0EEEEDaSS_ST_EUlSS_E0_NS1_11comp_targetILNS1_3genE10ELNS1_11target_archE1201ELNS1_3gpuE5ELNS1_3repE0EEENS1_30default_config_static_selectorELNS0_4arch9wavefront6targetE1EEEvT1_.kd
    .uniform_work_group_size: 1
    .uses_dynamic_stack: false
    .vgpr_count:     0
    .vgpr_spill_count: 0
    .wavefront_size: 64
  - .agpr_count:     0
    .args:
      - .offset:         0
        .size:           40
        .value_kind:     by_value
    .group_segment_fixed_size: 0
    .kernarg_segment_align: 8
    .kernarg_segment_size: 40
    .language:       OpenCL C
    .language_version:
      - 2
      - 0
    .max_flat_workgroup_size: 256
    .name:           _ZN7rocprim17ROCPRIM_400000_NS6detail17trampoline_kernelINS0_14default_configENS1_20scan_config_selectorItEEZZNS1_9scan_implILNS1_25lookback_scan_determinismE0ELb0ELb0ES3_N6thrust23THRUST_200600_302600_NS6detail15normal_iteratorINS9_10device_ptrItEEEENS9_16discard_iteratorINS9_11use_defaultEEEtNS9_4plusIvEEtEEDaPvRmT3_T4_T5_mT6_P12ihipStream_tbENKUlT_T0_E_clISt17integral_constantIbLb1EESW_IbLb0EEEEDaSS_ST_EUlSS_E0_NS1_11comp_targetILNS1_3genE10ELNS1_11target_archE1200ELNS1_3gpuE4ELNS1_3repE0EEENS1_30default_config_static_selectorELNS0_4arch9wavefront6targetE1EEEvT1_
    .private_segment_fixed_size: 0
    .sgpr_count:     4
    .sgpr_spill_count: 0
    .symbol:         _ZN7rocprim17ROCPRIM_400000_NS6detail17trampoline_kernelINS0_14default_configENS1_20scan_config_selectorItEEZZNS1_9scan_implILNS1_25lookback_scan_determinismE0ELb0ELb0ES3_N6thrust23THRUST_200600_302600_NS6detail15normal_iteratorINS9_10device_ptrItEEEENS9_16discard_iteratorINS9_11use_defaultEEEtNS9_4plusIvEEtEEDaPvRmT3_T4_T5_mT6_P12ihipStream_tbENKUlT_T0_E_clISt17integral_constantIbLb1EESW_IbLb0EEEEDaSS_ST_EUlSS_E0_NS1_11comp_targetILNS1_3genE10ELNS1_11target_archE1200ELNS1_3gpuE4ELNS1_3repE0EEENS1_30default_config_static_selectorELNS0_4arch9wavefront6targetE1EEEvT1_.kd
    .uniform_work_group_size: 1
    .uses_dynamic_stack: false
    .vgpr_count:     0
    .vgpr_spill_count: 0
    .wavefront_size: 64
  - .agpr_count:     0
    .args:
      - .offset:         0
        .size:           40
        .value_kind:     by_value
    .group_segment_fixed_size: 0
    .kernarg_segment_align: 8
    .kernarg_segment_size: 40
    .language:       OpenCL C
    .language_version:
      - 2
      - 0
    .max_flat_workgroup_size: 64
    .name:           _ZN7rocprim17ROCPRIM_400000_NS6detail17trampoline_kernelINS0_14default_configENS1_20scan_config_selectorItEEZZNS1_9scan_implILNS1_25lookback_scan_determinismE0ELb0ELb0ES3_N6thrust23THRUST_200600_302600_NS6detail15normal_iteratorINS9_10device_ptrItEEEENS9_16discard_iteratorINS9_11use_defaultEEEtNS9_4plusIvEEtEEDaPvRmT3_T4_T5_mT6_P12ihipStream_tbENKUlT_T0_E_clISt17integral_constantIbLb1EESW_IbLb0EEEEDaSS_ST_EUlSS_E0_NS1_11comp_targetILNS1_3genE9ELNS1_11target_archE1100ELNS1_3gpuE3ELNS1_3repE0EEENS1_30default_config_static_selectorELNS0_4arch9wavefront6targetE1EEEvT1_
    .private_segment_fixed_size: 0
    .sgpr_count:     4
    .sgpr_spill_count: 0
    .symbol:         _ZN7rocprim17ROCPRIM_400000_NS6detail17trampoline_kernelINS0_14default_configENS1_20scan_config_selectorItEEZZNS1_9scan_implILNS1_25lookback_scan_determinismE0ELb0ELb0ES3_N6thrust23THRUST_200600_302600_NS6detail15normal_iteratorINS9_10device_ptrItEEEENS9_16discard_iteratorINS9_11use_defaultEEEtNS9_4plusIvEEtEEDaPvRmT3_T4_T5_mT6_P12ihipStream_tbENKUlT_T0_E_clISt17integral_constantIbLb1EESW_IbLb0EEEEDaSS_ST_EUlSS_E0_NS1_11comp_targetILNS1_3genE9ELNS1_11target_archE1100ELNS1_3gpuE3ELNS1_3repE0EEENS1_30default_config_static_selectorELNS0_4arch9wavefront6targetE1EEEvT1_.kd
    .uniform_work_group_size: 1
    .uses_dynamic_stack: false
    .vgpr_count:     0
    .vgpr_spill_count: 0
    .wavefront_size: 64
  - .agpr_count:     0
    .args:
      - .offset:         0
        .size:           40
        .value_kind:     by_value
    .group_segment_fixed_size: 0
    .kernarg_segment_align: 8
    .kernarg_segment_size: 40
    .language:       OpenCL C
    .language_version:
      - 2
      - 0
    .max_flat_workgroup_size: 64
    .name:           _ZN7rocprim17ROCPRIM_400000_NS6detail17trampoline_kernelINS0_14default_configENS1_20scan_config_selectorItEEZZNS1_9scan_implILNS1_25lookback_scan_determinismE0ELb0ELb0ES3_N6thrust23THRUST_200600_302600_NS6detail15normal_iteratorINS9_10device_ptrItEEEENS9_16discard_iteratorINS9_11use_defaultEEEtNS9_4plusIvEEtEEDaPvRmT3_T4_T5_mT6_P12ihipStream_tbENKUlT_T0_E_clISt17integral_constantIbLb1EESW_IbLb0EEEEDaSS_ST_EUlSS_E0_NS1_11comp_targetILNS1_3genE8ELNS1_11target_archE1030ELNS1_3gpuE2ELNS1_3repE0EEENS1_30default_config_static_selectorELNS0_4arch9wavefront6targetE1EEEvT1_
    .private_segment_fixed_size: 0
    .sgpr_count:     4
    .sgpr_spill_count: 0
    .symbol:         _ZN7rocprim17ROCPRIM_400000_NS6detail17trampoline_kernelINS0_14default_configENS1_20scan_config_selectorItEEZZNS1_9scan_implILNS1_25lookback_scan_determinismE0ELb0ELb0ES3_N6thrust23THRUST_200600_302600_NS6detail15normal_iteratorINS9_10device_ptrItEEEENS9_16discard_iteratorINS9_11use_defaultEEEtNS9_4plusIvEEtEEDaPvRmT3_T4_T5_mT6_P12ihipStream_tbENKUlT_T0_E_clISt17integral_constantIbLb1EESW_IbLb0EEEEDaSS_ST_EUlSS_E0_NS1_11comp_targetILNS1_3genE8ELNS1_11target_archE1030ELNS1_3gpuE2ELNS1_3repE0EEENS1_30default_config_static_selectorELNS0_4arch9wavefront6targetE1EEEvT1_.kd
    .uniform_work_group_size: 1
    .uses_dynamic_stack: false
    .vgpr_count:     0
    .vgpr_spill_count: 0
    .wavefront_size: 64
  - .agpr_count:     0
    .args:
      - .offset:         0
        .size:           104
        .value_kind:     by_value
    .group_segment_fixed_size: 0
    .kernarg_segment_align: 8
    .kernarg_segment_size: 104
    .language:       OpenCL C
    .language_version:
      - 2
      - 0
    .max_flat_workgroup_size: 128
    .name:           _ZN7rocprim17ROCPRIM_400000_NS6detail17trampoline_kernelINS0_14default_configENS1_20scan_config_selectorItEEZZNS1_9scan_implILNS1_25lookback_scan_determinismE0ELb0ELb0ES3_N6thrust23THRUST_200600_302600_NS6detail15normal_iteratorINS9_10device_ptrItEEEENS9_16discard_iteratorINS9_11use_defaultEEEtNS9_4plusIvEEtEEDaPvRmT3_T4_T5_mT6_P12ihipStream_tbENKUlT_T0_E_clISt17integral_constantIbLb0EESW_IbLb1EEEEDaSS_ST_EUlSS_E_NS1_11comp_targetILNS1_3genE0ELNS1_11target_archE4294967295ELNS1_3gpuE0ELNS1_3repE0EEENS1_30default_config_static_selectorELNS0_4arch9wavefront6targetE1EEEvT1_
    .private_segment_fixed_size: 0
    .sgpr_count:     4
    .sgpr_spill_count: 0
    .symbol:         _ZN7rocprim17ROCPRIM_400000_NS6detail17trampoline_kernelINS0_14default_configENS1_20scan_config_selectorItEEZZNS1_9scan_implILNS1_25lookback_scan_determinismE0ELb0ELb0ES3_N6thrust23THRUST_200600_302600_NS6detail15normal_iteratorINS9_10device_ptrItEEEENS9_16discard_iteratorINS9_11use_defaultEEEtNS9_4plusIvEEtEEDaPvRmT3_T4_T5_mT6_P12ihipStream_tbENKUlT_T0_E_clISt17integral_constantIbLb0EESW_IbLb1EEEEDaSS_ST_EUlSS_E_NS1_11comp_targetILNS1_3genE0ELNS1_11target_archE4294967295ELNS1_3gpuE0ELNS1_3repE0EEENS1_30default_config_static_selectorELNS0_4arch9wavefront6targetE1EEEvT1_.kd
    .uniform_work_group_size: 1
    .uses_dynamic_stack: false
    .vgpr_count:     0
    .vgpr_spill_count: 0
    .wavefront_size: 64
  - .agpr_count:     0
    .args:
      - .offset:         0
        .size:           104
        .value_kind:     by_value
    .group_segment_fixed_size: 0
    .kernarg_segment_align: 8
    .kernarg_segment_size: 104
    .language:       OpenCL C
    .language_version:
      - 2
      - 0
    .max_flat_workgroup_size: 256
    .name:           _ZN7rocprim17ROCPRIM_400000_NS6detail17trampoline_kernelINS0_14default_configENS1_20scan_config_selectorItEEZZNS1_9scan_implILNS1_25lookback_scan_determinismE0ELb0ELb0ES3_N6thrust23THRUST_200600_302600_NS6detail15normal_iteratorINS9_10device_ptrItEEEENS9_16discard_iteratorINS9_11use_defaultEEEtNS9_4plusIvEEtEEDaPvRmT3_T4_T5_mT6_P12ihipStream_tbENKUlT_T0_E_clISt17integral_constantIbLb0EESW_IbLb1EEEEDaSS_ST_EUlSS_E_NS1_11comp_targetILNS1_3genE5ELNS1_11target_archE942ELNS1_3gpuE9ELNS1_3repE0EEENS1_30default_config_static_selectorELNS0_4arch9wavefront6targetE1EEEvT1_
    .private_segment_fixed_size: 0
    .sgpr_count:     4
    .sgpr_spill_count: 0
    .symbol:         _ZN7rocprim17ROCPRIM_400000_NS6detail17trampoline_kernelINS0_14default_configENS1_20scan_config_selectorItEEZZNS1_9scan_implILNS1_25lookback_scan_determinismE0ELb0ELb0ES3_N6thrust23THRUST_200600_302600_NS6detail15normal_iteratorINS9_10device_ptrItEEEENS9_16discard_iteratorINS9_11use_defaultEEEtNS9_4plusIvEEtEEDaPvRmT3_T4_T5_mT6_P12ihipStream_tbENKUlT_T0_E_clISt17integral_constantIbLb0EESW_IbLb1EEEEDaSS_ST_EUlSS_E_NS1_11comp_targetILNS1_3genE5ELNS1_11target_archE942ELNS1_3gpuE9ELNS1_3repE0EEENS1_30default_config_static_selectorELNS0_4arch9wavefront6targetE1EEEvT1_.kd
    .uniform_work_group_size: 1
    .uses_dynamic_stack: false
    .vgpr_count:     0
    .vgpr_spill_count: 0
    .wavefront_size: 64
  - .agpr_count:     0
    .args:
      - .offset:         0
        .size:           104
        .value_kind:     by_value
    .group_segment_fixed_size: 3072
    .kernarg_segment_align: 8
    .kernarg_segment_size: 104
    .language:       OpenCL C
    .language_version:
      - 2
      - 0
    .max_flat_workgroup_size: 64
    .name:           _ZN7rocprim17ROCPRIM_400000_NS6detail17trampoline_kernelINS0_14default_configENS1_20scan_config_selectorItEEZZNS1_9scan_implILNS1_25lookback_scan_determinismE0ELb0ELb0ES3_N6thrust23THRUST_200600_302600_NS6detail15normal_iteratorINS9_10device_ptrItEEEENS9_16discard_iteratorINS9_11use_defaultEEEtNS9_4plusIvEEtEEDaPvRmT3_T4_T5_mT6_P12ihipStream_tbENKUlT_T0_E_clISt17integral_constantIbLb0EESW_IbLb1EEEEDaSS_ST_EUlSS_E_NS1_11comp_targetILNS1_3genE4ELNS1_11target_archE910ELNS1_3gpuE8ELNS1_3repE0EEENS1_30default_config_static_selectorELNS0_4arch9wavefront6targetE1EEEvT1_
    .private_segment_fixed_size: 0
    .sgpr_count:     34
    .sgpr_spill_count: 0
    .symbol:         _ZN7rocprim17ROCPRIM_400000_NS6detail17trampoline_kernelINS0_14default_configENS1_20scan_config_selectorItEEZZNS1_9scan_implILNS1_25lookback_scan_determinismE0ELb0ELb0ES3_N6thrust23THRUST_200600_302600_NS6detail15normal_iteratorINS9_10device_ptrItEEEENS9_16discard_iteratorINS9_11use_defaultEEEtNS9_4plusIvEEtEEDaPvRmT3_T4_T5_mT6_P12ihipStream_tbENKUlT_T0_E_clISt17integral_constantIbLb0EESW_IbLb1EEEEDaSS_ST_EUlSS_E_NS1_11comp_targetILNS1_3genE4ELNS1_11target_archE910ELNS1_3gpuE8ELNS1_3repE0EEENS1_30default_config_static_selectorELNS0_4arch9wavefront6targetE1EEEvT1_.kd
    .uniform_work_group_size: 1
    .uses_dynamic_stack: false
    .vgpr_count:     43
    .vgpr_spill_count: 0
    .wavefront_size: 64
  - .agpr_count:     0
    .args:
      - .offset:         0
        .size:           104
        .value_kind:     by_value
    .group_segment_fixed_size: 0
    .kernarg_segment_align: 8
    .kernarg_segment_size: 104
    .language:       OpenCL C
    .language_version:
      - 2
      - 0
    .max_flat_workgroup_size: 128
    .name:           _ZN7rocprim17ROCPRIM_400000_NS6detail17trampoline_kernelINS0_14default_configENS1_20scan_config_selectorItEEZZNS1_9scan_implILNS1_25lookback_scan_determinismE0ELb0ELb0ES3_N6thrust23THRUST_200600_302600_NS6detail15normal_iteratorINS9_10device_ptrItEEEENS9_16discard_iteratorINS9_11use_defaultEEEtNS9_4plusIvEEtEEDaPvRmT3_T4_T5_mT6_P12ihipStream_tbENKUlT_T0_E_clISt17integral_constantIbLb0EESW_IbLb1EEEEDaSS_ST_EUlSS_E_NS1_11comp_targetILNS1_3genE3ELNS1_11target_archE908ELNS1_3gpuE7ELNS1_3repE0EEENS1_30default_config_static_selectorELNS0_4arch9wavefront6targetE1EEEvT1_
    .private_segment_fixed_size: 0
    .sgpr_count:     4
    .sgpr_spill_count: 0
    .symbol:         _ZN7rocprim17ROCPRIM_400000_NS6detail17trampoline_kernelINS0_14default_configENS1_20scan_config_selectorItEEZZNS1_9scan_implILNS1_25lookback_scan_determinismE0ELb0ELb0ES3_N6thrust23THRUST_200600_302600_NS6detail15normal_iteratorINS9_10device_ptrItEEEENS9_16discard_iteratorINS9_11use_defaultEEEtNS9_4plusIvEEtEEDaPvRmT3_T4_T5_mT6_P12ihipStream_tbENKUlT_T0_E_clISt17integral_constantIbLb0EESW_IbLb1EEEEDaSS_ST_EUlSS_E_NS1_11comp_targetILNS1_3genE3ELNS1_11target_archE908ELNS1_3gpuE7ELNS1_3repE0EEENS1_30default_config_static_selectorELNS0_4arch9wavefront6targetE1EEEvT1_.kd
    .uniform_work_group_size: 1
    .uses_dynamic_stack: false
    .vgpr_count:     0
    .vgpr_spill_count: 0
    .wavefront_size: 64
  - .agpr_count:     0
    .args:
      - .offset:         0
        .size:           104
        .value_kind:     by_value
    .group_segment_fixed_size: 0
    .kernarg_segment_align: 8
    .kernarg_segment_size: 104
    .language:       OpenCL C
    .language_version:
      - 2
      - 0
    .max_flat_workgroup_size: 256
    .name:           _ZN7rocprim17ROCPRIM_400000_NS6detail17trampoline_kernelINS0_14default_configENS1_20scan_config_selectorItEEZZNS1_9scan_implILNS1_25lookback_scan_determinismE0ELb0ELb0ES3_N6thrust23THRUST_200600_302600_NS6detail15normal_iteratorINS9_10device_ptrItEEEENS9_16discard_iteratorINS9_11use_defaultEEEtNS9_4plusIvEEtEEDaPvRmT3_T4_T5_mT6_P12ihipStream_tbENKUlT_T0_E_clISt17integral_constantIbLb0EESW_IbLb1EEEEDaSS_ST_EUlSS_E_NS1_11comp_targetILNS1_3genE2ELNS1_11target_archE906ELNS1_3gpuE6ELNS1_3repE0EEENS1_30default_config_static_selectorELNS0_4arch9wavefront6targetE1EEEvT1_
    .private_segment_fixed_size: 0
    .sgpr_count:     4
    .sgpr_spill_count: 0
    .symbol:         _ZN7rocprim17ROCPRIM_400000_NS6detail17trampoline_kernelINS0_14default_configENS1_20scan_config_selectorItEEZZNS1_9scan_implILNS1_25lookback_scan_determinismE0ELb0ELb0ES3_N6thrust23THRUST_200600_302600_NS6detail15normal_iteratorINS9_10device_ptrItEEEENS9_16discard_iteratorINS9_11use_defaultEEEtNS9_4plusIvEEtEEDaPvRmT3_T4_T5_mT6_P12ihipStream_tbENKUlT_T0_E_clISt17integral_constantIbLb0EESW_IbLb1EEEEDaSS_ST_EUlSS_E_NS1_11comp_targetILNS1_3genE2ELNS1_11target_archE906ELNS1_3gpuE6ELNS1_3repE0EEENS1_30default_config_static_selectorELNS0_4arch9wavefront6targetE1EEEvT1_.kd
    .uniform_work_group_size: 1
    .uses_dynamic_stack: false
    .vgpr_count:     0
    .vgpr_spill_count: 0
    .wavefront_size: 64
  - .agpr_count:     0
    .args:
      - .offset:         0
        .size:           104
        .value_kind:     by_value
    .group_segment_fixed_size: 0
    .kernarg_segment_align: 8
    .kernarg_segment_size: 104
    .language:       OpenCL C
    .language_version:
      - 2
      - 0
    .max_flat_workgroup_size: 256
    .name:           _ZN7rocprim17ROCPRIM_400000_NS6detail17trampoline_kernelINS0_14default_configENS1_20scan_config_selectorItEEZZNS1_9scan_implILNS1_25lookback_scan_determinismE0ELb0ELb0ES3_N6thrust23THRUST_200600_302600_NS6detail15normal_iteratorINS9_10device_ptrItEEEENS9_16discard_iteratorINS9_11use_defaultEEEtNS9_4plusIvEEtEEDaPvRmT3_T4_T5_mT6_P12ihipStream_tbENKUlT_T0_E_clISt17integral_constantIbLb0EESW_IbLb1EEEEDaSS_ST_EUlSS_E_NS1_11comp_targetILNS1_3genE10ELNS1_11target_archE1201ELNS1_3gpuE5ELNS1_3repE0EEENS1_30default_config_static_selectorELNS0_4arch9wavefront6targetE1EEEvT1_
    .private_segment_fixed_size: 0
    .sgpr_count:     4
    .sgpr_spill_count: 0
    .symbol:         _ZN7rocprim17ROCPRIM_400000_NS6detail17trampoline_kernelINS0_14default_configENS1_20scan_config_selectorItEEZZNS1_9scan_implILNS1_25lookback_scan_determinismE0ELb0ELb0ES3_N6thrust23THRUST_200600_302600_NS6detail15normal_iteratorINS9_10device_ptrItEEEENS9_16discard_iteratorINS9_11use_defaultEEEtNS9_4plusIvEEtEEDaPvRmT3_T4_T5_mT6_P12ihipStream_tbENKUlT_T0_E_clISt17integral_constantIbLb0EESW_IbLb1EEEEDaSS_ST_EUlSS_E_NS1_11comp_targetILNS1_3genE10ELNS1_11target_archE1201ELNS1_3gpuE5ELNS1_3repE0EEENS1_30default_config_static_selectorELNS0_4arch9wavefront6targetE1EEEvT1_.kd
    .uniform_work_group_size: 1
    .uses_dynamic_stack: false
    .vgpr_count:     0
    .vgpr_spill_count: 0
    .wavefront_size: 64
  - .agpr_count:     0
    .args:
      - .offset:         0
        .size:           104
        .value_kind:     by_value
    .group_segment_fixed_size: 0
    .kernarg_segment_align: 8
    .kernarg_segment_size: 104
    .language:       OpenCL C
    .language_version:
      - 2
      - 0
    .max_flat_workgroup_size: 256
    .name:           _ZN7rocprim17ROCPRIM_400000_NS6detail17trampoline_kernelINS0_14default_configENS1_20scan_config_selectorItEEZZNS1_9scan_implILNS1_25lookback_scan_determinismE0ELb0ELb0ES3_N6thrust23THRUST_200600_302600_NS6detail15normal_iteratorINS9_10device_ptrItEEEENS9_16discard_iteratorINS9_11use_defaultEEEtNS9_4plusIvEEtEEDaPvRmT3_T4_T5_mT6_P12ihipStream_tbENKUlT_T0_E_clISt17integral_constantIbLb0EESW_IbLb1EEEEDaSS_ST_EUlSS_E_NS1_11comp_targetILNS1_3genE10ELNS1_11target_archE1200ELNS1_3gpuE4ELNS1_3repE0EEENS1_30default_config_static_selectorELNS0_4arch9wavefront6targetE1EEEvT1_
    .private_segment_fixed_size: 0
    .sgpr_count:     4
    .sgpr_spill_count: 0
    .symbol:         _ZN7rocprim17ROCPRIM_400000_NS6detail17trampoline_kernelINS0_14default_configENS1_20scan_config_selectorItEEZZNS1_9scan_implILNS1_25lookback_scan_determinismE0ELb0ELb0ES3_N6thrust23THRUST_200600_302600_NS6detail15normal_iteratorINS9_10device_ptrItEEEENS9_16discard_iteratorINS9_11use_defaultEEEtNS9_4plusIvEEtEEDaPvRmT3_T4_T5_mT6_P12ihipStream_tbENKUlT_T0_E_clISt17integral_constantIbLb0EESW_IbLb1EEEEDaSS_ST_EUlSS_E_NS1_11comp_targetILNS1_3genE10ELNS1_11target_archE1200ELNS1_3gpuE4ELNS1_3repE0EEENS1_30default_config_static_selectorELNS0_4arch9wavefront6targetE1EEEvT1_.kd
    .uniform_work_group_size: 1
    .uses_dynamic_stack: false
    .vgpr_count:     0
    .vgpr_spill_count: 0
    .wavefront_size: 64
  - .agpr_count:     0
    .args:
      - .offset:         0
        .size:           104
        .value_kind:     by_value
    .group_segment_fixed_size: 0
    .kernarg_segment_align: 8
    .kernarg_segment_size: 104
    .language:       OpenCL C
    .language_version:
      - 2
      - 0
    .max_flat_workgroup_size: 64
    .name:           _ZN7rocprim17ROCPRIM_400000_NS6detail17trampoline_kernelINS0_14default_configENS1_20scan_config_selectorItEEZZNS1_9scan_implILNS1_25lookback_scan_determinismE0ELb0ELb0ES3_N6thrust23THRUST_200600_302600_NS6detail15normal_iteratorINS9_10device_ptrItEEEENS9_16discard_iteratorINS9_11use_defaultEEEtNS9_4plusIvEEtEEDaPvRmT3_T4_T5_mT6_P12ihipStream_tbENKUlT_T0_E_clISt17integral_constantIbLb0EESW_IbLb1EEEEDaSS_ST_EUlSS_E_NS1_11comp_targetILNS1_3genE9ELNS1_11target_archE1100ELNS1_3gpuE3ELNS1_3repE0EEENS1_30default_config_static_selectorELNS0_4arch9wavefront6targetE1EEEvT1_
    .private_segment_fixed_size: 0
    .sgpr_count:     4
    .sgpr_spill_count: 0
    .symbol:         _ZN7rocprim17ROCPRIM_400000_NS6detail17trampoline_kernelINS0_14default_configENS1_20scan_config_selectorItEEZZNS1_9scan_implILNS1_25lookback_scan_determinismE0ELb0ELb0ES3_N6thrust23THRUST_200600_302600_NS6detail15normal_iteratorINS9_10device_ptrItEEEENS9_16discard_iteratorINS9_11use_defaultEEEtNS9_4plusIvEEtEEDaPvRmT3_T4_T5_mT6_P12ihipStream_tbENKUlT_T0_E_clISt17integral_constantIbLb0EESW_IbLb1EEEEDaSS_ST_EUlSS_E_NS1_11comp_targetILNS1_3genE9ELNS1_11target_archE1100ELNS1_3gpuE3ELNS1_3repE0EEENS1_30default_config_static_selectorELNS0_4arch9wavefront6targetE1EEEvT1_.kd
    .uniform_work_group_size: 1
    .uses_dynamic_stack: false
    .vgpr_count:     0
    .vgpr_spill_count: 0
    .wavefront_size: 64
  - .agpr_count:     0
    .args:
      - .offset:         0
        .size:           104
        .value_kind:     by_value
    .group_segment_fixed_size: 0
    .kernarg_segment_align: 8
    .kernarg_segment_size: 104
    .language:       OpenCL C
    .language_version:
      - 2
      - 0
    .max_flat_workgroup_size: 64
    .name:           _ZN7rocprim17ROCPRIM_400000_NS6detail17trampoline_kernelINS0_14default_configENS1_20scan_config_selectorItEEZZNS1_9scan_implILNS1_25lookback_scan_determinismE0ELb0ELb0ES3_N6thrust23THRUST_200600_302600_NS6detail15normal_iteratorINS9_10device_ptrItEEEENS9_16discard_iteratorINS9_11use_defaultEEEtNS9_4plusIvEEtEEDaPvRmT3_T4_T5_mT6_P12ihipStream_tbENKUlT_T0_E_clISt17integral_constantIbLb0EESW_IbLb1EEEEDaSS_ST_EUlSS_E_NS1_11comp_targetILNS1_3genE8ELNS1_11target_archE1030ELNS1_3gpuE2ELNS1_3repE0EEENS1_30default_config_static_selectorELNS0_4arch9wavefront6targetE1EEEvT1_
    .private_segment_fixed_size: 0
    .sgpr_count:     4
    .sgpr_spill_count: 0
    .symbol:         _ZN7rocprim17ROCPRIM_400000_NS6detail17trampoline_kernelINS0_14default_configENS1_20scan_config_selectorItEEZZNS1_9scan_implILNS1_25lookback_scan_determinismE0ELb0ELb0ES3_N6thrust23THRUST_200600_302600_NS6detail15normal_iteratorINS9_10device_ptrItEEEENS9_16discard_iteratorINS9_11use_defaultEEEtNS9_4plusIvEEtEEDaPvRmT3_T4_T5_mT6_P12ihipStream_tbENKUlT_T0_E_clISt17integral_constantIbLb0EESW_IbLb1EEEEDaSS_ST_EUlSS_E_NS1_11comp_targetILNS1_3genE8ELNS1_11target_archE1030ELNS1_3gpuE2ELNS1_3repE0EEENS1_30default_config_static_selectorELNS0_4arch9wavefront6targetE1EEEvT1_.kd
    .uniform_work_group_size: 1
    .uses_dynamic_stack: false
    .vgpr_count:     0
    .vgpr_spill_count: 0
    .wavefront_size: 64
  - .agpr_count:     0
    .args:
      - .offset:         0
        .size:           40
        .value_kind:     by_value
    .group_segment_fixed_size: 0
    .kernarg_segment_align: 8
    .kernarg_segment_size: 40
    .language:       OpenCL C
    .language_version:
      - 2
      - 0
    .max_flat_workgroup_size: 128
    .name:           _ZN7rocprim17ROCPRIM_400000_NS6detail17trampoline_kernelINS0_14default_configENS1_20scan_config_selectorItEEZZNS1_9scan_implILNS1_25lookback_scan_determinismE0ELb0ELb0ES3_N6thrust23THRUST_200600_302600_NS6detail15normal_iteratorINS9_10device_ptrItEEEENS9_16discard_iteratorINS9_11use_defaultEEEtNS9_4plusIvEEtEEDaPvRmT3_T4_T5_mT6_P12ihipStream_tbENKUlT_T0_E_clISt17integral_constantIbLb0EESW_IbLb1EEEEDaSS_ST_EUlSS_E0_NS1_11comp_targetILNS1_3genE0ELNS1_11target_archE4294967295ELNS1_3gpuE0ELNS1_3repE0EEENS1_30default_config_static_selectorELNS0_4arch9wavefront6targetE1EEEvT1_
    .private_segment_fixed_size: 0
    .sgpr_count:     4
    .sgpr_spill_count: 0
    .symbol:         _ZN7rocprim17ROCPRIM_400000_NS6detail17trampoline_kernelINS0_14default_configENS1_20scan_config_selectorItEEZZNS1_9scan_implILNS1_25lookback_scan_determinismE0ELb0ELb0ES3_N6thrust23THRUST_200600_302600_NS6detail15normal_iteratorINS9_10device_ptrItEEEENS9_16discard_iteratorINS9_11use_defaultEEEtNS9_4plusIvEEtEEDaPvRmT3_T4_T5_mT6_P12ihipStream_tbENKUlT_T0_E_clISt17integral_constantIbLb0EESW_IbLb1EEEEDaSS_ST_EUlSS_E0_NS1_11comp_targetILNS1_3genE0ELNS1_11target_archE4294967295ELNS1_3gpuE0ELNS1_3repE0EEENS1_30default_config_static_selectorELNS0_4arch9wavefront6targetE1EEEvT1_.kd
    .uniform_work_group_size: 1
    .uses_dynamic_stack: false
    .vgpr_count:     0
    .vgpr_spill_count: 0
    .wavefront_size: 64
  - .agpr_count:     0
    .args:
      - .offset:         0
        .size:           40
        .value_kind:     by_value
    .group_segment_fixed_size: 0
    .kernarg_segment_align: 8
    .kernarg_segment_size: 40
    .language:       OpenCL C
    .language_version:
      - 2
      - 0
    .max_flat_workgroup_size: 256
    .name:           _ZN7rocprim17ROCPRIM_400000_NS6detail17trampoline_kernelINS0_14default_configENS1_20scan_config_selectorItEEZZNS1_9scan_implILNS1_25lookback_scan_determinismE0ELb0ELb0ES3_N6thrust23THRUST_200600_302600_NS6detail15normal_iteratorINS9_10device_ptrItEEEENS9_16discard_iteratorINS9_11use_defaultEEEtNS9_4plusIvEEtEEDaPvRmT3_T4_T5_mT6_P12ihipStream_tbENKUlT_T0_E_clISt17integral_constantIbLb0EESW_IbLb1EEEEDaSS_ST_EUlSS_E0_NS1_11comp_targetILNS1_3genE5ELNS1_11target_archE942ELNS1_3gpuE9ELNS1_3repE0EEENS1_30default_config_static_selectorELNS0_4arch9wavefront6targetE1EEEvT1_
    .private_segment_fixed_size: 0
    .sgpr_count:     4
    .sgpr_spill_count: 0
    .symbol:         _ZN7rocprim17ROCPRIM_400000_NS6detail17trampoline_kernelINS0_14default_configENS1_20scan_config_selectorItEEZZNS1_9scan_implILNS1_25lookback_scan_determinismE0ELb0ELb0ES3_N6thrust23THRUST_200600_302600_NS6detail15normal_iteratorINS9_10device_ptrItEEEENS9_16discard_iteratorINS9_11use_defaultEEEtNS9_4plusIvEEtEEDaPvRmT3_T4_T5_mT6_P12ihipStream_tbENKUlT_T0_E_clISt17integral_constantIbLb0EESW_IbLb1EEEEDaSS_ST_EUlSS_E0_NS1_11comp_targetILNS1_3genE5ELNS1_11target_archE942ELNS1_3gpuE9ELNS1_3repE0EEENS1_30default_config_static_selectorELNS0_4arch9wavefront6targetE1EEEvT1_.kd
    .uniform_work_group_size: 1
    .uses_dynamic_stack: false
    .vgpr_count:     0
    .vgpr_spill_count: 0
    .wavefront_size: 64
  - .agpr_count:     0
    .args:
      - .offset:         0
        .size:           40
        .value_kind:     by_value
    .group_segment_fixed_size: 3072
    .kernarg_segment_align: 8
    .kernarg_segment_size: 40
    .language:       OpenCL C
    .language_version:
      - 2
      - 0
    .max_flat_workgroup_size: 64
    .name:           _ZN7rocprim17ROCPRIM_400000_NS6detail17trampoline_kernelINS0_14default_configENS1_20scan_config_selectorItEEZZNS1_9scan_implILNS1_25lookback_scan_determinismE0ELb0ELb0ES3_N6thrust23THRUST_200600_302600_NS6detail15normal_iteratorINS9_10device_ptrItEEEENS9_16discard_iteratorINS9_11use_defaultEEEtNS9_4plusIvEEtEEDaPvRmT3_T4_T5_mT6_P12ihipStream_tbENKUlT_T0_E_clISt17integral_constantIbLb0EESW_IbLb1EEEEDaSS_ST_EUlSS_E0_NS1_11comp_targetILNS1_3genE4ELNS1_11target_archE910ELNS1_3gpuE8ELNS1_3repE0EEENS1_30default_config_static_selectorELNS0_4arch9wavefront6targetE1EEEvT1_
    .private_segment_fixed_size: 0
    .sgpr_count:     10
    .sgpr_spill_count: 0
    .symbol:         _ZN7rocprim17ROCPRIM_400000_NS6detail17trampoline_kernelINS0_14default_configENS1_20scan_config_selectorItEEZZNS1_9scan_implILNS1_25lookback_scan_determinismE0ELb0ELb0ES3_N6thrust23THRUST_200600_302600_NS6detail15normal_iteratorINS9_10device_ptrItEEEENS9_16discard_iteratorINS9_11use_defaultEEEtNS9_4plusIvEEtEEDaPvRmT3_T4_T5_mT6_P12ihipStream_tbENKUlT_T0_E_clISt17integral_constantIbLb0EESW_IbLb1EEEEDaSS_ST_EUlSS_E0_NS1_11comp_targetILNS1_3genE4ELNS1_11target_archE910ELNS1_3gpuE8ELNS1_3repE0EEENS1_30default_config_static_selectorELNS0_4arch9wavefront6targetE1EEEvT1_.kd
    .uniform_work_group_size: 1
    .uses_dynamic_stack: false
    .vgpr_count:     41
    .vgpr_spill_count: 0
    .wavefront_size: 64
  - .agpr_count:     0
    .args:
      - .offset:         0
        .size:           40
        .value_kind:     by_value
    .group_segment_fixed_size: 0
    .kernarg_segment_align: 8
    .kernarg_segment_size: 40
    .language:       OpenCL C
    .language_version:
      - 2
      - 0
    .max_flat_workgroup_size: 128
    .name:           _ZN7rocprim17ROCPRIM_400000_NS6detail17trampoline_kernelINS0_14default_configENS1_20scan_config_selectorItEEZZNS1_9scan_implILNS1_25lookback_scan_determinismE0ELb0ELb0ES3_N6thrust23THRUST_200600_302600_NS6detail15normal_iteratorINS9_10device_ptrItEEEENS9_16discard_iteratorINS9_11use_defaultEEEtNS9_4plusIvEEtEEDaPvRmT3_T4_T5_mT6_P12ihipStream_tbENKUlT_T0_E_clISt17integral_constantIbLb0EESW_IbLb1EEEEDaSS_ST_EUlSS_E0_NS1_11comp_targetILNS1_3genE3ELNS1_11target_archE908ELNS1_3gpuE7ELNS1_3repE0EEENS1_30default_config_static_selectorELNS0_4arch9wavefront6targetE1EEEvT1_
    .private_segment_fixed_size: 0
    .sgpr_count:     4
    .sgpr_spill_count: 0
    .symbol:         _ZN7rocprim17ROCPRIM_400000_NS6detail17trampoline_kernelINS0_14default_configENS1_20scan_config_selectorItEEZZNS1_9scan_implILNS1_25lookback_scan_determinismE0ELb0ELb0ES3_N6thrust23THRUST_200600_302600_NS6detail15normal_iteratorINS9_10device_ptrItEEEENS9_16discard_iteratorINS9_11use_defaultEEEtNS9_4plusIvEEtEEDaPvRmT3_T4_T5_mT6_P12ihipStream_tbENKUlT_T0_E_clISt17integral_constantIbLb0EESW_IbLb1EEEEDaSS_ST_EUlSS_E0_NS1_11comp_targetILNS1_3genE3ELNS1_11target_archE908ELNS1_3gpuE7ELNS1_3repE0EEENS1_30default_config_static_selectorELNS0_4arch9wavefront6targetE1EEEvT1_.kd
    .uniform_work_group_size: 1
    .uses_dynamic_stack: false
    .vgpr_count:     0
    .vgpr_spill_count: 0
    .wavefront_size: 64
  - .agpr_count:     0
    .args:
      - .offset:         0
        .size:           40
        .value_kind:     by_value
    .group_segment_fixed_size: 0
    .kernarg_segment_align: 8
    .kernarg_segment_size: 40
    .language:       OpenCL C
    .language_version:
      - 2
      - 0
    .max_flat_workgroup_size: 256
    .name:           _ZN7rocprim17ROCPRIM_400000_NS6detail17trampoline_kernelINS0_14default_configENS1_20scan_config_selectorItEEZZNS1_9scan_implILNS1_25lookback_scan_determinismE0ELb0ELb0ES3_N6thrust23THRUST_200600_302600_NS6detail15normal_iteratorINS9_10device_ptrItEEEENS9_16discard_iteratorINS9_11use_defaultEEEtNS9_4plusIvEEtEEDaPvRmT3_T4_T5_mT6_P12ihipStream_tbENKUlT_T0_E_clISt17integral_constantIbLb0EESW_IbLb1EEEEDaSS_ST_EUlSS_E0_NS1_11comp_targetILNS1_3genE2ELNS1_11target_archE906ELNS1_3gpuE6ELNS1_3repE0EEENS1_30default_config_static_selectorELNS0_4arch9wavefront6targetE1EEEvT1_
    .private_segment_fixed_size: 0
    .sgpr_count:     4
    .sgpr_spill_count: 0
    .symbol:         _ZN7rocprim17ROCPRIM_400000_NS6detail17trampoline_kernelINS0_14default_configENS1_20scan_config_selectorItEEZZNS1_9scan_implILNS1_25lookback_scan_determinismE0ELb0ELb0ES3_N6thrust23THRUST_200600_302600_NS6detail15normal_iteratorINS9_10device_ptrItEEEENS9_16discard_iteratorINS9_11use_defaultEEEtNS9_4plusIvEEtEEDaPvRmT3_T4_T5_mT6_P12ihipStream_tbENKUlT_T0_E_clISt17integral_constantIbLb0EESW_IbLb1EEEEDaSS_ST_EUlSS_E0_NS1_11comp_targetILNS1_3genE2ELNS1_11target_archE906ELNS1_3gpuE6ELNS1_3repE0EEENS1_30default_config_static_selectorELNS0_4arch9wavefront6targetE1EEEvT1_.kd
    .uniform_work_group_size: 1
    .uses_dynamic_stack: false
    .vgpr_count:     0
    .vgpr_spill_count: 0
    .wavefront_size: 64
  - .agpr_count:     0
    .args:
      - .offset:         0
        .size:           40
        .value_kind:     by_value
    .group_segment_fixed_size: 0
    .kernarg_segment_align: 8
    .kernarg_segment_size: 40
    .language:       OpenCL C
    .language_version:
      - 2
      - 0
    .max_flat_workgroup_size: 256
    .name:           _ZN7rocprim17ROCPRIM_400000_NS6detail17trampoline_kernelINS0_14default_configENS1_20scan_config_selectorItEEZZNS1_9scan_implILNS1_25lookback_scan_determinismE0ELb0ELb0ES3_N6thrust23THRUST_200600_302600_NS6detail15normal_iteratorINS9_10device_ptrItEEEENS9_16discard_iteratorINS9_11use_defaultEEEtNS9_4plusIvEEtEEDaPvRmT3_T4_T5_mT6_P12ihipStream_tbENKUlT_T0_E_clISt17integral_constantIbLb0EESW_IbLb1EEEEDaSS_ST_EUlSS_E0_NS1_11comp_targetILNS1_3genE10ELNS1_11target_archE1201ELNS1_3gpuE5ELNS1_3repE0EEENS1_30default_config_static_selectorELNS0_4arch9wavefront6targetE1EEEvT1_
    .private_segment_fixed_size: 0
    .sgpr_count:     4
    .sgpr_spill_count: 0
    .symbol:         _ZN7rocprim17ROCPRIM_400000_NS6detail17trampoline_kernelINS0_14default_configENS1_20scan_config_selectorItEEZZNS1_9scan_implILNS1_25lookback_scan_determinismE0ELb0ELb0ES3_N6thrust23THRUST_200600_302600_NS6detail15normal_iteratorINS9_10device_ptrItEEEENS9_16discard_iteratorINS9_11use_defaultEEEtNS9_4plusIvEEtEEDaPvRmT3_T4_T5_mT6_P12ihipStream_tbENKUlT_T0_E_clISt17integral_constantIbLb0EESW_IbLb1EEEEDaSS_ST_EUlSS_E0_NS1_11comp_targetILNS1_3genE10ELNS1_11target_archE1201ELNS1_3gpuE5ELNS1_3repE0EEENS1_30default_config_static_selectorELNS0_4arch9wavefront6targetE1EEEvT1_.kd
    .uniform_work_group_size: 1
    .uses_dynamic_stack: false
    .vgpr_count:     0
    .vgpr_spill_count: 0
    .wavefront_size: 64
  - .agpr_count:     0
    .args:
      - .offset:         0
        .size:           40
        .value_kind:     by_value
    .group_segment_fixed_size: 0
    .kernarg_segment_align: 8
    .kernarg_segment_size: 40
    .language:       OpenCL C
    .language_version:
      - 2
      - 0
    .max_flat_workgroup_size: 256
    .name:           _ZN7rocprim17ROCPRIM_400000_NS6detail17trampoline_kernelINS0_14default_configENS1_20scan_config_selectorItEEZZNS1_9scan_implILNS1_25lookback_scan_determinismE0ELb0ELb0ES3_N6thrust23THRUST_200600_302600_NS6detail15normal_iteratorINS9_10device_ptrItEEEENS9_16discard_iteratorINS9_11use_defaultEEEtNS9_4plusIvEEtEEDaPvRmT3_T4_T5_mT6_P12ihipStream_tbENKUlT_T0_E_clISt17integral_constantIbLb0EESW_IbLb1EEEEDaSS_ST_EUlSS_E0_NS1_11comp_targetILNS1_3genE10ELNS1_11target_archE1200ELNS1_3gpuE4ELNS1_3repE0EEENS1_30default_config_static_selectorELNS0_4arch9wavefront6targetE1EEEvT1_
    .private_segment_fixed_size: 0
    .sgpr_count:     4
    .sgpr_spill_count: 0
    .symbol:         _ZN7rocprim17ROCPRIM_400000_NS6detail17trampoline_kernelINS0_14default_configENS1_20scan_config_selectorItEEZZNS1_9scan_implILNS1_25lookback_scan_determinismE0ELb0ELb0ES3_N6thrust23THRUST_200600_302600_NS6detail15normal_iteratorINS9_10device_ptrItEEEENS9_16discard_iteratorINS9_11use_defaultEEEtNS9_4plusIvEEtEEDaPvRmT3_T4_T5_mT6_P12ihipStream_tbENKUlT_T0_E_clISt17integral_constantIbLb0EESW_IbLb1EEEEDaSS_ST_EUlSS_E0_NS1_11comp_targetILNS1_3genE10ELNS1_11target_archE1200ELNS1_3gpuE4ELNS1_3repE0EEENS1_30default_config_static_selectorELNS0_4arch9wavefront6targetE1EEEvT1_.kd
    .uniform_work_group_size: 1
    .uses_dynamic_stack: false
    .vgpr_count:     0
    .vgpr_spill_count: 0
    .wavefront_size: 64
  - .agpr_count:     0
    .args:
      - .offset:         0
        .size:           40
        .value_kind:     by_value
    .group_segment_fixed_size: 0
    .kernarg_segment_align: 8
    .kernarg_segment_size: 40
    .language:       OpenCL C
    .language_version:
      - 2
      - 0
    .max_flat_workgroup_size: 64
    .name:           _ZN7rocprim17ROCPRIM_400000_NS6detail17trampoline_kernelINS0_14default_configENS1_20scan_config_selectorItEEZZNS1_9scan_implILNS1_25lookback_scan_determinismE0ELb0ELb0ES3_N6thrust23THRUST_200600_302600_NS6detail15normal_iteratorINS9_10device_ptrItEEEENS9_16discard_iteratorINS9_11use_defaultEEEtNS9_4plusIvEEtEEDaPvRmT3_T4_T5_mT6_P12ihipStream_tbENKUlT_T0_E_clISt17integral_constantIbLb0EESW_IbLb1EEEEDaSS_ST_EUlSS_E0_NS1_11comp_targetILNS1_3genE9ELNS1_11target_archE1100ELNS1_3gpuE3ELNS1_3repE0EEENS1_30default_config_static_selectorELNS0_4arch9wavefront6targetE1EEEvT1_
    .private_segment_fixed_size: 0
    .sgpr_count:     4
    .sgpr_spill_count: 0
    .symbol:         _ZN7rocprim17ROCPRIM_400000_NS6detail17trampoline_kernelINS0_14default_configENS1_20scan_config_selectorItEEZZNS1_9scan_implILNS1_25lookback_scan_determinismE0ELb0ELb0ES3_N6thrust23THRUST_200600_302600_NS6detail15normal_iteratorINS9_10device_ptrItEEEENS9_16discard_iteratorINS9_11use_defaultEEEtNS9_4plusIvEEtEEDaPvRmT3_T4_T5_mT6_P12ihipStream_tbENKUlT_T0_E_clISt17integral_constantIbLb0EESW_IbLb1EEEEDaSS_ST_EUlSS_E0_NS1_11comp_targetILNS1_3genE9ELNS1_11target_archE1100ELNS1_3gpuE3ELNS1_3repE0EEENS1_30default_config_static_selectorELNS0_4arch9wavefront6targetE1EEEvT1_.kd
    .uniform_work_group_size: 1
    .uses_dynamic_stack: false
    .vgpr_count:     0
    .vgpr_spill_count: 0
    .wavefront_size: 64
  - .agpr_count:     0
    .args:
      - .offset:         0
        .size:           40
        .value_kind:     by_value
    .group_segment_fixed_size: 0
    .kernarg_segment_align: 8
    .kernarg_segment_size: 40
    .language:       OpenCL C
    .language_version:
      - 2
      - 0
    .max_flat_workgroup_size: 64
    .name:           _ZN7rocprim17ROCPRIM_400000_NS6detail17trampoline_kernelINS0_14default_configENS1_20scan_config_selectorItEEZZNS1_9scan_implILNS1_25lookback_scan_determinismE0ELb0ELb0ES3_N6thrust23THRUST_200600_302600_NS6detail15normal_iteratorINS9_10device_ptrItEEEENS9_16discard_iteratorINS9_11use_defaultEEEtNS9_4plusIvEEtEEDaPvRmT3_T4_T5_mT6_P12ihipStream_tbENKUlT_T0_E_clISt17integral_constantIbLb0EESW_IbLb1EEEEDaSS_ST_EUlSS_E0_NS1_11comp_targetILNS1_3genE8ELNS1_11target_archE1030ELNS1_3gpuE2ELNS1_3repE0EEENS1_30default_config_static_selectorELNS0_4arch9wavefront6targetE1EEEvT1_
    .private_segment_fixed_size: 0
    .sgpr_count:     4
    .sgpr_spill_count: 0
    .symbol:         _ZN7rocprim17ROCPRIM_400000_NS6detail17trampoline_kernelINS0_14default_configENS1_20scan_config_selectorItEEZZNS1_9scan_implILNS1_25lookback_scan_determinismE0ELb0ELb0ES3_N6thrust23THRUST_200600_302600_NS6detail15normal_iteratorINS9_10device_ptrItEEEENS9_16discard_iteratorINS9_11use_defaultEEEtNS9_4plusIvEEtEEDaPvRmT3_T4_T5_mT6_P12ihipStream_tbENKUlT_T0_E_clISt17integral_constantIbLb0EESW_IbLb1EEEEDaSS_ST_EUlSS_E0_NS1_11comp_targetILNS1_3genE8ELNS1_11target_archE1030ELNS1_3gpuE2ELNS1_3repE0EEENS1_30default_config_static_selectorELNS0_4arch9wavefront6targetE1EEEvT1_.kd
    .uniform_work_group_size: 1
    .uses_dynamic_stack: false
    .vgpr_count:     0
    .vgpr_spill_count: 0
    .wavefront_size: 64
  - .agpr_count:     0
    .args:
      - .offset:         0
        .size:           104
        .value_kind:     by_value
    .group_segment_fixed_size: 0
    .kernarg_segment_align: 8
    .kernarg_segment_size: 104
    .language:       OpenCL C
    .language_version:
      - 2
      - 0
    .max_flat_workgroup_size: 128
    .name:           _ZN7rocprim17ROCPRIM_400000_NS6detail17trampoline_kernelINS0_14default_configENS1_20scan_config_selectorItEEZZNS1_9scan_implILNS1_25lookback_scan_determinismE0ELb1ELb1ES3_N6thrust23THRUST_200600_302600_NS6detail15normal_iteratorINS9_10device_ptrItEEEENS9_16discard_iteratorINS9_11use_defaultEEEtNS9_4plusIvEEtEEDaPvRmT3_T4_T5_mT6_P12ihipStream_tbENKUlT_T0_E_clISt17integral_constantIbLb0EESX_EEDaSS_ST_EUlSS_E_NS1_11comp_targetILNS1_3genE0ELNS1_11target_archE4294967295ELNS1_3gpuE0ELNS1_3repE0EEENS1_30default_config_static_selectorELNS0_4arch9wavefront6targetE1EEEvT1_
    .private_segment_fixed_size: 0
    .sgpr_count:     4
    .sgpr_spill_count: 0
    .symbol:         _ZN7rocprim17ROCPRIM_400000_NS6detail17trampoline_kernelINS0_14default_configENS1_20scan_config_selectorItEEZZNS1_9scan_implILNS1_25lookback_scan_determinismE0ELb1ELb1ES3_N6thrust23THRUST_200600_302600_NS6detail15normal_iteratorINS9_10device_ptrItEEEENS9_16discard_iteratorINS9_11use_defaultEEEtNS9_4plusIvEEtEEDaPvRmT3_T4_T5_mT6_P12ihipStream_tbENKUlT_T0_E_clISt17integral_constantIbLb0EESX_EEDaSS_ST_EUlSS_E_NS1_11comp_targetILNS1_3genE0ELNS1_11target_archE4294967295ELNS1_3gpuE0ELNS1_3repE0EEENS1_30default_config_static_selectorELNS0_4arch9wavefront6targetE1EEEvT1_.kd
    .uniform_work_group_size: 1
    .uses_dynamic_stack: false
    .vgpr_count:     0
    .vgpr_spill_count: 0
    .wavefront_size: 64
  - .agpr_count:     0
    .args:
      - .offset:         0
        .size:           104
        .value_kind:     by_value
    .group_segment_fixed_size: 0
    .kernarg_segment_align: 8
    .kernarg_segment_size: 104
    .language:       OpenCL C
    .language_version:
      - 2
      - 0
    .max_flat_workgroup_size: 256
    .name:           _ZN7rocprim17ROCPRIM_400000_NS6detail17trampoline_kernelINS0_14default_configENS1_20scan_config_selectorItEEZZNS1_9scan_implILNS1_25lookback_scan_determinismE0ELb1ELb1ES3_N6thrust23THRUST_200600_302600_NS6detail15normal_iteratorINS9_10device_ptrItEEEENS9_16discard_iteratorINS9_11use_defaultEEEtNS9_4plusIvEEtEEDaPvRmT3_T4_T5_mT6_P12ihipStream_tbENKUlT_T0_E_clISt17integral_constantIbLb0EESX_EEDaSS_ST_EUlSS_E_NS1_11comp_targetILNS1_3genE5ELNS1_11target_archE942ELNS1_3gpuE9ELNS1_3repE0EEENS1_30default_config_static_selectorELNS0_4arch9wavefront6targetE1EEEvT1_
    .private_segment_fixed_size: 0
    .sgpr_count:     4
    .sgpr_spill_count: 0
    .symbol:         _ZN7rocprim17ROCPRIM_400000_NS6detail17trampoline_kernelINS0_14default_configENS1_20scan_config_selectorItEEZZNS1_9scan_implILNS1_25lookback_scan_determinismE0ELb1ELb1ES3_N6thrust23THRUST_200600_302600_NS6detail15normal_iteratorINS9_10device_ptrItEEEENS9_16discard_iteratorINS9_11use_defaultEEEtNS9_4plusIvEEtEEDaPvRmT3_T4_T5_mT6_P12ihipStream_tbENKUlT_T0_E_clISt17integral_constantIbLb0EESX_EEDaSS_ST_EUlSS_E_NS1_11comp_targetILNS1_3genE5ELNS1_11target_archE942ELNS1_3gpuE9ELNS1_3repE0EEENS1_30default_config_static_selectorELNS0_4arch9wavefront6targetE1EEEvT1_.kd
    .uniform_work_group_size: 1
    .uses_dynamic_stack: false
    .vgpr_count:     0
    .vgpr_spill_count: 0
    .wavefront_size: 64
  - .agpr_count:     0
    .args:
      - .offset:         0
        .size:           104
        .value_kind:     by_value
    .group_segment_fixed_size: 3072
    .kernarg_segment_align: 8
    .kernarg_segment_size: 104
    .language:       OpenCL C
    .language_version:
      - 2
      - 0
    .max_flat_workgroup_size: 64
    .name:           _ZN7rocprim17ROCPRIM_400000_NS6detail17trampoline_kernelINS0_14default_configENS1_20scan_config_selectorItEEZZNS1_9scan_implILNS1_25lookback_scan_determinismE0ELb1ELb1ES3_N6thrust23THRUST_200600_302600_NS6detail15normal_iteratorINS9_10device_ptrItEEEENS9_16discard_iteratorINS9_11use_defaultEEEtNS9_4plusIvEEtEEDaPvRmT3_T4_T5_mT6_P12ihipStream_tbENKUlT_T0_E_clISt17integral_constantIbLb0EESX_EEDaSS_ST_EUlSS_E_NS1_11comp_targetILNS1_3genE4ELNS1_11target_archE910ELNS1_3gpuE8ELNS1_3repE0EEENS1_30default_config_static_selectorELNS0_4arch9wavefront6targetE1EEEvT1_
    .private_segment_fixed_size: 0
    .sgpr_count:     30
    .sgpr_spill_count: 0
    .symbol:         _ZN7rocprim17ROCPRIM_400000_NS6detail17trampoline_kernelINS0_14default_configENS1_20scan_config_selectorItEEZZNS1_9scan_implILNS1_25lookback_scan_determinismE0ELb1ELb1ES3_N6thrust23THRUST_200600_302600_NS6detail15normal_iteratorINS9_10device_ptrItEEEENS9_16discard_iteratorINS9_11use_defaultEEEtNS9_4plusIvEEtEEDaPvRmT3_T4_T5_mT6_P12ihipStream_tbENKUlT_T0_E_clISt17integral_constantIbLb0EESX_EEDaSS_ST_EUlSS_E_NS1_11comp_targetILNS1_3genE4ELNS1_11target_archE910ELNS1_3gpuE8ELNS1_3repE0EEENS1_30default_config_static_selectorELNS0_4arch9wavefront6targetE1EEEvT1_.kd
    .uniform_work_group_size: 1
    .uses_dynamic_stack: false
    .vgpr_count:     44
    .vgpr_spill_count: 0
    .wavefront_size: 64
  - .agpr_count:     0
    .args:
      - .offset:         0
        .size:           104
        .value_kind:     by_value
    .group_segment_fixed_size: 0
    .kernarg_segment_align: 8
    .kernarg_segment_size: 104
    .language:       OpenCL C
    .language_version:
      - 2
      - 0
    .max_flat_workgroup_size: 128
    .name:           _ZN7rocprim17ROCPRIM_400000_NS6detail17trampoline_kernelINS0_14default_configENS1_20scan_config_selectorItEEZZNS1_9scan_implILNS1_25lookback_scan_determinismE0ELb1ELb1ES3_N6thrust23THRUST_200600_302600_NS6detail15normal_iteratorINS9_10device_ptrItEEEENS9_16discard_iteratorINS9_11use_defaultEEEtNS9_4plusIvEEtEEDaPvRmT3_T4_T5_mT6_P12ihipStream_tbENKUlT_T0_E_clISt17integral_constantIbLb0EESX_EEDaSS_ST_EUlSS_E_NS1_11comp_targetILNS1_3genE3ELNS1_11target_archE908ELNS1_3gpuE7ELNS1_3repE0EEENS1_30default_config_static_selectorELNS0_4arch9wavefront6targetE1EEEvT1_
    .private_segment_fixed_size: 0
    .sgpr_count:     4
    .sgpr_spill_count: 0
    .symbol:         _ZN7rocprim17ROCPRIM_400000_NS6detail17trampoline_kernelINS0_14default_configENS1_20scan_config_selectorItEEZZNS1_9scan_implILNS1_25lookback_scan_determinismE0ELb1ELb1ES3_N6thrust23THRUST_200600_302600_NS6detail15normal_iteratorINS9_10device_ptrItEEEENS9_16discard_iteratorINS9_11use_defaultEEEtNS9_4plusIvEEtEEDaPvRmT3_T4_T5_mT6_P12ihipStream_tbENKUlT_T0_E_clISt17integral_constantIbLb0EESX_EEDaSS_ST_EUlSS_E_NS1_11comp_targetILNS1_3genE3ELNS1_11target_archE908ELNS1_3gpuE7ELNS1_3repE0EEENS1_30default_config_static_selectorELNS0_4arch9wavefront6targetE1EEEvT1_.kd
    .uniform_work_group_size: 1
    .uses_dynamic_stack: false
    .vgpr_count:     0
    .vgpr_spill_count: 0
    .wavefront_size: 64
  - .agpr_count:     0
    .args:
      - .offset:         0
        .size:           104
        .value_kind:     by_value
    .group_segment_fixed_size: 0
    .kernarg_segment_align: 8
    .kernarg_segment_size: 104
    .language:       OpenCL C
    .language_version:
      - 2
      - 0
    .max_flat_workgroup_size: 256
    .name:           _ZN7rocprim17ROCPRIM_400000_NS6detail17trampoline_kernelINS0_14default_configENS1_20scan_config_selectorItEEZZNS1_9scan_implILNS1_25lookback_scan_determinismE0ELb1ELb1ES3_N6thrust23THRUST_200600_302600_NS6detail15normal_iteratorINS9_10device_ptrItEEEENS9_16discard_iteratorINS9_11use_defaultEEEtNS9_4plusIvEEtEEDaPvRmT3_T4_T5_mT6_P12ihipStream_tbENKUlT_T0_E_clISt17integral_constantIbLb0EESX_EEDaSS_ST_EUlSS_E_NS1_11comp_targetILNS1_3genE2ELNS1_11target_archE906ELNS1_3gpuE6ELNS1_3repE0EEENS1_30default_config_static_selectorELNS0_4arch9wavefront6targetE1EEEvT1_
    .private_segment_fixed_size: 0
    .sgpr_count:     4
    .sgpr_spill_count: 0
    .symbol:         _ZN7rocprim17ROCPRIM_400000_NS6detail17trampoline_kernelINS0_14default_configENS1_20scan_config_selectorItEEZZNS1_9scan_implILNS1_25lookback_scan_determinismE0ELb1ELb1ES3_N6thrust23THRUST_200600_302600_NS6detail15normal_iteratorINS9_10device_ptrItEEEENS9_16discard_iteratorINS9_11use_defaultEEEtNS9_4plusIvEEtEEDaPvRmT3_T4_T5_mT6_P12ihipStream_tbENKUlT_T0_E_clISt17integral_constantIbLb0EESX_EEDaSS_ST_EUlSS_E_NS1_11comp_targetILNS1_3genE2ELNS1_11target_archE906ELNS1_3gpuE6ELNS1_3repE0EEENS1_30default_config_static_selectorELNS0_4arch9wavefront6targetE1EEEvT1_.kd
    .uniform_work_group_size: 1
    .uses_dynamic_stack: false
    .vgpr_count:     0
    .vgpr_spill_count: 0
    .wavefront_size: 64
  - .agpr_count:     0
    .args:
      - .offset:         0
        .size:           104
        .value_kind:     by_value
    .group_segment_fixed_size: 0
    .kernarg_segment_align: 8
    .kernarg_segment_size: 104
    .language:       OpenCL C
    .language_version:
      - 2
      - 0
    .max_flat_workgroup_size: 256
    .name:           _ZN7rocprim17ROCPRIM_400000_NS6detail17trampoline_kernelINS0_14default_configENS1_20scan_config_selectorItEEZZNS1_9scan_implILNS1_25lookback_scan_determinismE0ELb1ELb1ES3_N6thrust23THRUST_200600_302600_NS6detail15normal_iteratorINS9_10device_ptrItEEEENS9_16discard_iteratorINS9_11use_defaultEEEtNS9_4plusIvEEtEEDaPvRmT3_T4_T5_mT6_P12ihipStream_tbENKUlT_T0_E_clISt17integral_constantIbLb0EESX_EEDaSS_ST_EUlSS_E_NS1_11comp_targetILNS1_3genE10ELNS1_11target_archE1201ELNS1_3gpuE5ELNS1_3repE0EEENS1_30default_config_static_selectorELNS0_4arch9wavefront6targetE1EEEvT1_
    .private_segment_fixed_size: 0
    .sgpr_count:     4
    .sgpr_spill_count: 0
    .symbol:         _ZN7rocprim17ROCPRIM_400000_NS6detail17trampoline_kernelINS0_14default_configENS1_20scan_config_selectorItEEZZNS1_9scan_implILNS1_25lookback_scan_determinismE0ELb1ELb1ES3_N6thrust23THRUST_200600_302600_NS6detail15normal_iteratorINS9_10device_ptrItEEEENS9_16discard_iteratorINS9_11use_defaultEEEtNS9_4plusIvEEtEEDaPvRmT3_T4_T5_mT6_P12ihipStream_tbENKUlT_T0_E_clISt17integral_constantIbLb0EESX_EEDaSS_ST_EUlSS_E_NS1_11comp_targetILNS1_3genE10ELNS1_11target_archE1201ELNS1_3gpuE5ELNS1_3repE0EEENS1_30default_config_static_selectorELNS0_4arch9wavefront6targetE1EEEvT1_.kd
    .uniform_work_group_size: 1
    .uses_dynamic_stack: false
    .vgpr_count:     0
    .vgpr_spill_count: 0
    .wavefront_size: 64
  - .agpr_count:     0
    .args:
      - .offset:         0
        .size:           104
        .value_kind:     by_value
    .group_segment_fixed_size: 0
    .kernarg_segment_align: 8
    .kernarg_segment_size: 104
    .language:       OpenCL C
    .language_version:
      - 2
      - 0
    .max_flat_workgroup_size: 256
    .name:           _ZN7rocprim17ROCPRIM_400000_NS6detail17trampoline_kernelINS0_14default_configENS1_20scan_config_selectorItEEZZNS1_9scan_implILNS1_25lookback_scan_determinismE0ELb1ELb1ES3_N6thrust23THRUST_200600_302600_NS6detail15normal_iteratorINS9_10device_ptrItEEEENS9_16discard_iteratorINS9_11use_defaultEEEtNS9_4plusIvEEtEEDaPvRmT3_T4_T5_mT6_P12ihipStream_tbENKUlT_T0_E_clISt17integral_constantIbLb0EESX_EEDaSS_ST_EUlSS_E_NS1_11comp_targetILNS1_3genE10ELNS1_11target_archE1200ELNS1_3gpuE4ELNS1_3repE0EEENS1_30default_config_static_selectorELNS0_4arch9wavefront6targetE1EEEvT1_
    .private_segment_fixed_size: 0
    .sgpr_count:     4
    .sgpr_spill_count: 0
    .symbol:         _ZN7rocprim17ROCPRIM_400000_NS6detail17trampoline_kernelINS0_14default_configENS1_20scan_config_selectorItEEZZNS1_9scan_implILNS1_25lookback_scan_determinismE0ELb1ELb1ES3_N6thrust23THRUST_200600_302600_NS6detail15normal_iteratorINS9_10device_ptrItEEEENS9_16discard_iteratorINS9_11use_defaultEEEtNS9_4plusIvEEtEEDaPvRmT3_T4_T5_mT6_P12ihipStream_tbENKUlT_T0_E_clISt17integral_constantIbLb0EESX_EEDaSS_ST_EUlSS_E_NS1_11comp_targetILNS1_3genE10ELNS1_11target_archE1200ELNS1_3gpuE4ELNS1_3repE0EEENS1_30default_config_static_selectorELNS0_4arch9wavefront6targetE1EEEvT1_.kd
    .uniform_work_group_size: 1
    .uses_dynamic_stack: false
    .vgpr_count:     0
    .vgpr_spill_count: 0
    .wavefront_size: 64
  - .agpr_count:     0
    .args:
      - .offset:         0
        .size:           104
        .value_kind:     by_value
    .group_segment_fixed_size: 0
    .kernarg_segment_align: 8
    .kernarg_segment_size: 104
    .language:       OpenCL C
    .language_version:
      - 2
      - 0
    .max_flat_workgroup_size: 64
    .name:           _ZN7rocprim17ROCPRIM_400000_NS6detail17trampoline_kernelINS0_14default_configENS1_20scan_config_selectorItEEZZNS1_9scan_implILNS1_25lookback_scan_determinismE0ELb1ELb1ES3_N6thrust23THRUST_200600_302600_NS6detail15normal_iteratorINS9_10device_ptrItEEEENS9_16discard_iteratorINS9_11use_defaultEEEtNS9_4plusIvEEtEEDaPvRmT3_T4_T5_mT6_P12ihipStream_tbENKUlT_T0_E_clISt17integral_constantIbLb0EESX_EEDaSS_ST_EUlSS_E_NS1_11comp_targetILNS1_3genE9ELNS1_11target_archE1100ELNS1_3gpuE3ELNS1_3repE0EEENS1_30default_config_static_selectorELNS0_4arch9wavefront6targetE1EEEvT1_
    .private_segment_fixed_size: 0
    .sgpr_count:     4
    .sgpr_spill_count: 0
    .symbol:         _ZN7rocprim17ROCPRIM_400000_NS6detail17trampoline_kernelINS0_14default_configENS1_20scan_config_selectorItEEZZNS1_9scan_implILNS1_25lookback_scan_determinismE0ELb1ELb1ES3_N6thrust23THRUST_200600_302600_NS6detail15normal_iteratorINS9_10device_ptrItEEEENS9_16discard_iteratorINS9_11use_defaultEEEtNS9_4plusIvEEtEEDaPvRmT3_T4_T5_mT6_P12ihipStream_tbENKUlT_T0_E_clISt17integral_constantIbLb0EESX_EEDaSS_ST_EUlSS_E_NS1_11comp_targetILNS1_3genE9ELNS1_11target_archE1100ELNS1_3gpuE3ELNS1_3repE0EEENS1_30default_config_static_selectorELNS0_4arch9wavefront6targetE1EEEvT1_.kd
    .uniform_work_group_size: 1
    .uses_dynamic_stack: false
    .vgpr_count:     0
    .vgpr_spill_count: 0
    .wavefront_size: 64
  - .agpr_count:     0
    .args:
      - .offset:         0
        .size:           104
        .value_kind:     by_value
    .group_segment_fixed_size: 0
    .kernarg_segment_align: 8
    .kernarg_segment_size: 104
    .language:       OpenCL C
    .language_version:
      - 2
      - 0
    .max_flat_workgroup_size: 64
    .name:           _ZN7rocprim17ROCPRIM_400000_NS6detail17trampoline_kernelINS0_14default_configENS1_20scan_config_selectorItEEZZNS1_9scan_implILNS1_25lookback_scan_determinismE0ELb1ELb1ES3_N6thrust23THRUST_200600_302600_NS6detail15normal_iteratorINS9_10device_ptrItEEEENS9_16discard_iteratorINS9_11use_defaultEEEtNS9_4plusIvEEtEEDaPvRmT3_T4_T5_mT6_P12ihipStream_tbENKUlT_T0_E_clISt17integral_constantIbLb0EESX_EEDaSS_ST_EUlSS_E_NS1_11comp_targetILNS1_3genE8ELNS1_11target_archE1030ELNS1_3gpuE2ELNS1_3repE0EEENS1_30default_config_static_selectorELNS0_4arch9wavefront6targetE1EEEvT1_
    .private_segment_fixed_size: 0
    .sgpr_count:     4
    .sgpr_spill_count: 0
    .symbol:         _ZN7rocprim17ROCPRIM_400000_NS6detail17trampoline_kernelINS0_14default_configENS1_20scan_config_selectorItEEZZNS1_9scan_implILNS1_25lookback_scan_determinismE0ELb1ELb1ES3_N6thrust23THRUST_200600_302600_NS6detail15normal_iteratorINS9_10device_ptrItEEEENS9_16discard_iteratorINS9_11use_defaultEEEtNS9_4plusIvEEtEEDaPvRmT3_T4_T5_mT6_P12ihipStream_tbENKUlT_T0_E_clISt17integral_constantIbLb0EESX_EEDaSS_ST_EUlSS_E_NS1_11comp_targetILNS1_3genE8ELNS1_11target_archE1030ELNS1_3gpuE2ELNS1_3repE0EEENS1_30default_config_static_selectorELNS0_4arch9wavefront6targetE1EEEvT1_.kd
    .uniform_work_group_size: 1
    .uses_dynamic_stack: false
    .vgpr_count:     0
    .vgpr_spill_count: 0
    .wavefront_size: 64
  - .agpr_count:     0
    .args:
      - .offset:         0
        .size:           40
        .value_kind:     by_value
    .group_segment_fixed_size: 0
    .kernarg_segment_align: 8
    .kernarg_segment_size: 40
    .language:       OpenCL C
    .language_version:
      - 2
      - 0
    .max_flat_workgroup_size: 128
    .name:           _ZN7rocprim17ROCPRIM_400000_NS6detail17trampoline_kernelINS0_14default_configENS1_20scan_config_selectorItEEZZNS1_9scan_implILNS1_25lookback_scan_determinismE0ELb1ELb1ES3_N6thrust23THRUST_200600_302600_NS6detail15normal_iteratorINS9_10device_ptrItEEEENS9_16discard_iteratorINS9_11use_defaultEEEtNS9_4plusIvEEtEEDaPvRmT3_T4_T5_mT6_P12ihipStream_tbENKUlT_T0_E_clISt17integral_constantIbLb0EESX_EEDaSS_ST_EUlSS_E0_NS1_11comp_targetILNS1_3genE0ELNS1_11target_archE4294967295ELNS1_3gpuE0ELNS1_3repE0EEENS1_30default_config_static_selectorELNS0_4arch9wavefront6targetE1EEEvT1_
    .private_segment_fixed_size: 0
    .sgpr_count:     4
    .sgpr_spill_count: 0
    .symbol:         _ZN7rocprim17ROCPRIM_400000_NS6detail17trampoline_kernelINS0_14default_configENS1_20scan_config_selectorItEEZZNS1_9scan_implILNS1_25lookback_scan_determinismE0ELb1ELb1ES3_N6thrust23THRUST_200600_302600_NS6detail15normal_iteratorINS9_10device_ptrItEEEENS9_16discard_iteratorINS9_11use_defaultEEEtNS9_4plusIvEEtEEDaPvRmT3_T4_T5_mT6_P12ihipStream_tbENKUlT_T0_E_clISt17integral_constantIbLb0EESX_EEDaSS_ST_EUlSS_E0_NS1_11comp_targetILNS1_3genE0ELNS1_11target_archE4294967295ELNS1_3gpuE0ELNS1_3repE0EEENS1_30default_config_static_selectorELNS0_4arch9wavefront6targetE1EEEvT1_.kd
    .uniform_work_group_size: 1
    .uses_dynamic_stack: false
    .vgpr_count:     0
    .vgpr_spill_count: 0
    .wavefront_size: 64
  - .agpr_count:     0
    .args:
      - .offset:         0
        .size:           40
        .value_kind:     by_value
    .group_segment_fixed_size: 0
    .kernarg_segment_align: 8
    .kernarg_segment_size: 40
    .language:       OpenCL C
    .language_version:
      - 2
      - 0
    .max_flat_workgroup_size: 256
    .name:           _ZN7rocprim17ROCPRIM_400000_NS6detail17trampoline_kernelINS0_14default_configENS1_20scan_config_selectorItEEZZNS1_9scan_implILNS1_25lookback_scan_determinismE0ELb1ELb1ES3_N6thrust23THRUST_200600_302600_NS6detail15normal_iteratorINS9_10device_ptrItEEEENS9_16discard_iteratorINS9_11use_defaultEEEtNS9_4plusIvEEtEEDaPvRmT3_T4_T5_mT6_P12ihipStream_tbENKUlT_T0_E_clISt17integral_constantIbLb0EESX_EEDaSS_ST_EUlSS_E0_NS1_11comp_targetILNS1_3genE5ELNS1_11target_archE942ELNS1_3gpuE9ELNS1_3repE0EEENS1_30default_config_static_selectorELNS0_4arch9wavefront6targetE1EEEvT1_
    .private_segment_fixed_size: 0
    .sgpr_count:     4
    .sgpr_spill_count: 0
    .symbol:         _ZN7rocprim17ROCPRIM_400000_NS6detail17trampoline_kernelINS0_14default_configENS1_20scan_config_selectorItEEZZNS1_9scan_implILNS1_25lookback_scan_determinismE0ELb1ELb1ES3_N6thrust23THRUST_200600_302600_NS6detail15normal_iteratorINS9_10device_ptrItEEEENS9_16discard_iteratorINS9_11use_defaultEEEtNS9_4plusIvEEtEEDaPvRmT3_T4_T5_mT6_P12ihipStream_tbENKUlT_T0_E_clISt17integral_constantIbLb0EESX_EEDaSS_ST_EUlSS_E0_NS1_11comp_targetILNS1_3genE5ELNS1_11target_archE942ELNS1_3gpuE9ELNS1_3repE0EEENS1_30default_config_static_selectorELNS0_4arch9wavefront6targetE1EEEvT1_.kd
    .uniform_work_group_size: 1
    .uses_dynamic_stack: false
    .vgpr_count:     0
    .vgpr_spill_count: 0
    .wavefront_size: 64
  - .agpr_count:     0
    .args:
      - .offset:         0
        .size:           40
        .value_kind:     by_value
    .group_segment_fixed_size: 3072
    .kernarg_segment_align: 8
    .kernarg_segment_size: 40
    .language:       OpenCL C
    .language_version:
      - 2
      - 0
    .max_flat_workgroup_size: 64
    .name:           _ZN7rocprim17ROCPRIM_400000_NS6detail17trampoline_kernelINS0_14default_configENS1_20scan_config_selectorItEEZZNS1_9scan_implILNS1_25lookback_scan_determinismE0ELb1ELb1ES3_N6thrust23THRUST_200600_302600_NS6detail15normal_iteratorINS9_10device_ptrItEEEENS9_16discard_iteratorINS9_11use_defaultEEEtNS9_4plusIvEEtEEDaPvRmT3_T4_T5_mT6_P12ihipStream_tbENKUlT_T0_E_clISt17integral_constantIbLb0EESX_EEDaSS_ST_EUlSS_E0_NS1_11comp_targetILNS1_3genE4ELNS1_11target_archE910ELNS1_3gpuE8ELNS1_3repE0EEENS1_30default_config_static_selectorELNS0_4arch9wavefront6targetE1EEEvT1_
    .private_segment_fixed_size: 0
    .sgpr_count:     12
    .sgpr_spill_count: 0
    .symbol:         _ZN7rocprim17ROCPRIM_400000_NS6detail17trampoline_kernelINS0_14default_configENS1_20scan_config_selectorItEEZZNS1_9scan_implILNS1_25lookback_scan_determinismE0ELb1ELb1ES3_N6thrust23THRUST_200600_302600_NS6detail15normal_iteratorINS9_10device_ptrItEEEENS9_16discard_iteratorINS9_11use_defaultEEEtNS9_4plusIvEEtEEDaPvRmT3_T4_T5_mT6_P12ihipStream_tbENKUlT_T0_E_clISt17integral_constantIbLb0EESX_EEDaSS_ST_EUlSS_E0_NS1_11comp_targetILNS1_3genE4ELNS1_11target_archE910ELNS1_3gpuE8ELNS1_3repE0EEENS1_30default_config_static_selectorELNS0_4arch9wavefront6targetE1EEEvT1_.kd
    .uniform_work_group_size: 1
    .uses_dynamic_stack: false
    .vgpr_count:     28
    .vgpr_spill_count: 0
    .wavefront_size: 64
  - .agpr_count:     0
    .args:
      - .offset:         0
        .size:           40
        .value_kind:     by_value
    .group_segment_fixed_size: 0
    .kernarg_segment_align: 8
    .kernarg_segment_size: 40
    .language:       OpenCL C
    .language_version:
      - 2
      - 0
    .max_flat_workgroup_size: 128
    .name:           _ZN7rocprim17ROCPRIM_400000_NS6detail17trampoline_kernelINS0_14default_configENS1_20scan_config_selectorItEEZZNS1_9scan_implILNS1_25lookback_scan_determinismE0ELb1ELb1ES3_N6thrust23THRUST_200600_302600_NS6detail15normal_iteratorINS9_10device_ptrItEEEENS9_16discard_iteratorINS9_11use_defaultEEEtNS9_4plusIvEEtEEDaPvRmT3_T4_T5_mT6_P12ihipStream_tbENKUlT_T0_E_clISt17integral_constantIbLb0EESX_EEDaSS_ST_EUlSS_E0_NS1_11comp_targetILNS1_3genE3ELNS1_11target_archE908ELNS1_3gpuE7ELNS1_3repE0EEENS1_30default_config_static_selectorELNS0_4arch9wavefront6targetE1EEEvT1_
    .private_segment_fixed_size: 0
    .sgpr_count:     4
    .sgpr_spill_count: 0
    .symbol:         _ZN7rocprim17ROCPRIM_400000_NS6detail17trampoline_kernelINS0_14default_configENS1_20scan_config_selectorItEEZZNS1_9scan_implILNS1_25lookback_scan_determinismE0ELb1ELb1ES3_N6thrust23THRUST_200600_302600_NS6detail15normal_iteratorINS9_10device_ptrItEEEENS9_16discard_iteratorINS9_11use_defaultEEEtNS9_4plusIvEEtEEDaPvRmT3_T4_T5_mT6_P12ihipStream_tbENKUlT_T0_E_clISt17integral_constantIbLb0EESX_EEDaSS_ST_EUlSS_E0_NS1_11comp_targetILNS1_3genE3ELNS1_11target_archE908ELNS1_3gpuE7ELNS1_3repE0EEENS1_30default_config_static_selectorELNS0_4arch9wavefront6targetE1EEEvT1_.kd
    .uniform_work_group_size: 1
    .uses_dynamic_stack: false
    .vgpr_count:     0
    .vgpr_spill_count: 0
    .wavefront_size: 64
  - .agpr_count:     0
    .args:
      - .offset:         0
        .size:           40
        .value_kind:     by_value
    .group_segment_fixed_size: 0
    .kernarg_segment_align: 8
    .kernarg_segment_size: 40
    .language:       OpenCL C
    .language_version:
      - 2
      - 0
    .max_flat_workgroup_size: 256
    .name:           _ZN7rocprim17ROCPRIM_400000_NS6detail17trampoline_kernelINS0_14default_configENS1_20scan_config_selectorItEEZZNS1_9scan_implILNS1_25lookback_scan_determinismE0ELb1ELb1ES3_N6thrust23THRUST_200600_302600_NS6detail15normal_iteratorINS9_10device_ptrItEEEENS9_16discard_iteratorINS9_11use_defaultEEEtNS9_4plusIvEEtEEDaPvRmT3_T4_T5_mT6_P12ihipStream_tbENKUlT_T0_E_clISt17integral_constantIbLb0EESX_EEDaSS_ST_EUlSS_E0_NS1_11comp_targetILNS1_3genE2ELNS1_11target_archE906ELNS1_3gpuE6ELNS1_3repE0EEENS1_30default_config_static_selectorELNS0_4arch9wavefront6targetE1EEEvT1_
    .private_segment_fixed_size: 0
    .sgpr_count:     4
    .sgpr_spill_count: 0
    .symbol:         _ZN7rocprim17ROCPRIM_400000_NS6detail17trampoline_kernelINS0_14default_configENS1_20scan_config_selectorItEEZZNS1_9scan_implILNS1_25lookback_scan_determinismE0ELb1ELb1ES3_N6thrust23THRUST_200600_302600_NS6detail15normal_iteratorINS9_10device_ptrItEEEENS9_16discard_iteratorINS9_11use_defaultEEEtNS9_4plusIvEEtEEDaPvRmT3_T4_T5_mT6_P12ihipStream_tbENKUlT_T0_E_clISt17integral_constantIbLb0EESX_EEDaSS_ST_EUlSS_E0_NS1_11comp_targetILNS1_3genE2ELNS1_11target_archE906ELNS1_3gpuE6ELNS1_3repE0EEENS1_30default_config_static_selectorELNS0_4arch9wavefront6targetE1EEEvT1_.kd
    .uniform_work_group_size: 1
    .uses_dynamic_stack: false
    .vgpr_count:     0
    .vgpr_spill_count: 0
    .wavefront_size: 64
  - .agpr_count:     0
    .args:
      - .offset:         0
        .size:           40
        .value_kind:     by_value
    .group_segment_fixed_size: 0
    .kernarg_segment_align: 8
    .kernarg_segment_size: 40
    .language:       OpenCL C
    .language_version:
      - 2
      - 0
    .max_flat_workgroup_size: 256
    .name:           _ZN7rocprim17ROCPRIM_400000_NS6detail17trampoline_kernelINS0_14default_configENS1_20scan_config_selectorItEEZZNS1_9scan_implILNS1_25lookback_scan_determinismE0ELb1ELb1ES3_N6thrust23THRUST_200600_302600_NS6detail15normal_iteratorINS9_10device_ptrItEEEENS9_16discard_iteratorINS9_11use_defaultEEEtNS9_4plusIvEEtEEDaPvRmT3_T4_T5_mT6_P12ihipStream_tbENKUlT_T0_E_clISt17integral_constantIbLb0EESX_EEDaSS_ST_EUlSS_E0_NS1_11comp_targetILNS1_3genE10ELNS1_11target_archE1201ELNS1_3gpuE5ELNS1_3repE0EEENS1_30default_config_static_selectorELNS0_4arch9wavefront6targetE1EEEvT1_
    .private_segment_fixed_size: 0
    .sgpr_count:     4
    .sgpr_spill_count: 0
    .symbol:         _ZN7rocprim17ROCPRIM_400000_NS6detail17trampoline_kernelINS0_14default_configENS1_20scan_config_selectorItEEZZNS1_9scan_implILNS1_25lookback_scan_determinismE0ELb1ELb1ES3_N6thrust23THRUST_200600_302600_NS6detail15normal_iteratorINS9_10device_ptrItEEEENS9_16discard_iteratorINS9_11use_defaultEEEtNS9_4plusIvEEtEEDaPvRmT3_T4_T5_mT6_P12ihipStream_tbENKUlT_T0_E_clISt17integral_constantIbLb0EESX_EEDaSS_ST_EUlSS_E0_NS1_11comp_targetILNS1_3genE10ELNS1_11target_archE1201ELNS1_3gpuE5ELNS1_3repE0EEENS1_30default_config_static_selectorELNS0_4arch9wavefront6targetE1EEEvT1_.kd
    .uniform_work_group_size: 1
    .uses_dynamic_stack: false
    .vgpr_count:     0
    .vgpr_spill_count: 0
    .wavefront_size: 64
  - .agpr_count:     0
    .args:
      - .offset:         0
        .size:           40
        .value_kind:     by_value
    .group_segment_fixed_size: 0
    .kernarg_segment_align: 8
    .kernarg_segment_size: 40
    .language:       OpenCL C
    .language_version:
      - 2
      - 0
    .max_flat_workgroup_size: 256
    .name:           _ZN7rocprim17ROCPRIM_400000_NS6detail17trampoline_kernelINS0_14default_configENS1_20scan_config_selectorItEEZZNS1_9scan_implILNS1_25lookback_scan_determinismE0ELb1ELb1ES3_N6thrust23THRUST_200600_302600_NS6detail15normal_iteratorINS9_10device_ptrItEEEENS9_16discard_iteratorINS9_11use_defaultEEEtNS9_4plusIvEEtEEDaPvRmT3_T4_T5_mT6_P12ihipStream_tbENKUlT_T0_E_clISt17integral_constantIbLb0EESX_EEDaSS_ST_EUlSS_E0_NS1_11comp_targetILNS1_3genE10ELNS1_11target_archE1200ELNS1_3gpuE4ELNS1_3repE0EEENS1_30default_config_static_selectorELNS0_4arch9wavefront6targetE1EEEvT1_
    .private_segment_fixed_size: 0
    .sgpr_count:     4
    .sgpr_spill_count: 0
    .symbol:         _ZN7rocprim17ROCPRIM_400000_NS6detail17trampoline_kernelINS0_14default_configENS1_20scan_config_selectorItEEZZNS1_9scan_implILNS1_25lookback_scan_determinismE0ELb1ELb1ES3_N6thrust23THRUST_200600_302600_NS6detail15normal_iteratorINS9_10device_ptrItEEEENS9_16discard_iteratorINS9_11use_defaultEEEtNS9_4plusIvEEtEEDaPvRmT3_T4_T5_mT6_P12ihipStream_tbENKUlT_T0_E_clISt17integral_constantIbLb0EESX_EEDaSS_ST_EUlSS_E0_NS1_11comp_targetILNS1_3genE10ELNS1_11target_archE1200ELNS1_3gpuE4ELNS1_3repE0EEENS1_30default_config_static_selectorELNS0_4arch9wavefront6targetE1EEEvT1_.kd
    .uniform_work_group_size: 1
    .uses_dynamic_stack: false
    .vgpr_count:     0
    .vgpr_spill_count: 0
    .wavefront_size: 64
  - .agpr_count:     0
    .args:
      - .offset:         0
        .size:           40
        .value_kind:     by_value
    .group_segment_fixed_size: 0
    .kernarg_segment_align: 8
    .kernarg_segment_size: 40
    .language:       OpenCL C
    .language_version:
      - 2
      - 0
    .max_flat_workgroup_size: 64
    .name:           _ZN7rocprim17ROCPRIM_400000_NS6detail17trampoline_kernelINS0_14default_configENS1_20scan_config_selectorItEEZZNS1_9scan_implILNS1_25lookback_scan_determinismE0ELb1ELb1ES3_N6thrust23THRUST_200600_302600_NS6detail15normal_iteratorINS9_10device_ptrItEEEENS9_16discard_iteratorINS9_11use_defaultEEEtNS9_4plusIvEEtEEDaPvRmT3_T4_T5_mT6_P12ihipStream_tbENKUlT_T0_E_clISt17integral_constantIbLb0EESX_EEDaSS_ST_EUlSS_E0_NS1_11comp_targetILNS1_3genE9ELNS1_11target_archE1100ELNS1_3gpuE3ELNS1_3repE0EEENS1_30default_config_static_selectorELNS0_4arch9wavefront6targetE1EEEvT1_
    .private_segment_fixed_size: 0
    .sgpr_count:     4
    .sgpr_spill_count: 0
    .symbol:         _ZN7rocprim17ROCPRIM_400000_NS6detail17trampoline_kernelINS0_14default_configENS1_20scan_config_selectorItEEZZNS1_9scan_implILNS1_25lookback_scan_determinismE0ELb1ELb1ES3_N6thrust23THRUST_200600_302600_NS6detail15normal_iteratorINS9_10device_ptrItEEEENS9_16discard_iteratorINS9_11use_defaultEEEtNS9_4plusIvEEtEEDaPvRmT3_T4_T5_mT6_P12ihipStream_tbENKUlT_T0_E_clISt17integral_constantIbLb0EESX_EEDaSS_ST_EUlSS_E0_NS1_11comp_targetILNS1_3genE9ELNS1_11target_archE1100ELNS1_3gpuE3ELNS1_3repE0EEENS1_30default_config_static_selectorELNS0_4arch9wavefront6targetE1EEEvT1_.kd
    .uniform_work_group_size: 1
    .uses_dynamic_stack: false
    .vgpr_count:     0
    .vgpr_spill_count: 0
    .wavefront_size: 64
  - .agpr_count:     0
    .args:
      - .offset:         0
        .size:           40
        .value_kind:     by_value
    .group_segment_fixed_size: 0
    .kernarg_segment_align: 8
    .kernarg_segment_size: 40
    .language:       OpenCL C
    .language_version:
      - 2
      - 0
    .max_flat_workgroup_size: 64
    .name:           _ZN7rocprim17ROCPRIM_400000_NS6detail17trampoline_kernelINS0_14default_configENS1_20scan_config_selectorItEEZZNS1_9scan_implILNS1_25lookback_scan_determinismE0ELb1ELb1ES3_N6thrust23THRUST_200600_302600_NS6detail15normal_iteratorINS9_10device_ptrItEEEENS9_16discard_iteratorINS9_11use_defaultEEEtNS9_4plusIvEEtEEDaPvRmT3_T4_T5_mT6_P12ihipStream_tbENKUlT_T0_E_clISt17integral_constantIbLb0EESX_EEDaSS_ST_EUlSS_E0_NS1_11comp_targetILNS1_3genE8ELNS1_11target_archE1030ELNS1_3gpuE2ELNS1_3repE0EEENS1_30default_config_static_selectorELNS0_4arch9wavefront6targetE1EEEvT1_
    .private_segment_fixed_size: 0
    .sgpr_count:     4
    .sgpr_spill_count: 0
    .symbol:         _ZN7rocprim17ROCPRIM_400000_NS6detail17trampoline_kernelINS0_14default_configENS1_20scan_config_selectorItEEZZNS1_9scan_implILNS1_25lookback_scan_determinismE0ELb1ELb1ES3_N6thrust23THRUST_200600_302600_NS6detail15normal_iteratorINS9_10device_ptrItEEEENS9_16discard_iteratorINS9_11use_defaultEEEtNS9_4plusIvEEtEEDaPvRmT3_T4_T5_mT6_P12ihipStream_tbENKUlT_T0_E_clISt17integral_constantIbLb0EESX_EEDaSS_ST_EUlSS_E0_NS1_11comp_targetILNS1_3genE8ELNS1_11target_archE1030ELNS1_3gpuE2ELNS1_3repE0EEENS1_30default_config_static_selectorELNS0_4arch9wavefront6targetE1EEEvT1_.kd
    .uniform_work_group_size: 1
    .uses_dynamic_stack: false
    .vgpr_count:     0
    .vgpr_spill_count: 0
    .wavefront_size: 64
  - .agpr_count:     0
    .args:
      - .offset:         0
        .size:           104
        .value_kind:     by_value
    .group_segment_fixed_size: 0
    .kernarg_segment_align: 8
    .kernarg_segment_size: 104
    .language:       OpenCL C
    .language_version:
      - 2
      - 0
    .max_flat_workgroup_size: 128
    .name:           _ZN7rocprim17ROCPRIM_400000_NS6detail17trampoline_kernelINS0_14default_configENS1_20scan_config_selectorItEEZZNS1_9scan_implILNS1_25lookback_scan_determinismE0ELb1ELb1ES3_N6thrust23THRUST_200600_302600_NS6detail15normal_iteratorINS9_10device_ptrItEEEENS9_16discard_iteratorINS9_11use_defaultEEEtNS9_4plusIvEEtEEDaPvRmT3_T4_T5_mT6_P12ihipStream_tbENKUlT_T0_E_clISt17integral_constantIbLb1EESX_EEDaSS_ST_EUlSS_E_NS1_11comp_targetILNS1_3genE0ELNS1_11target_archE4294967295ELNS1_3gpuE0ELNS1_3repE0EEENS1_30default_config_static_selectorELNS0_4arch9wavefront6targetE1EEEvT1_
    .private_segment_fixed_size: 0
    .sgpr_count:     4
    .sgpr_spill_count: 0
    .symbol:         _ZN7rocprim17ROCPRIM_400000_NS6detail17trampoline_kernelINS0_14default_configENS1_20scan_config_selectorItEEZZNS1_9scan_implILNS1_25lookback_scan_determinismE0ELb1ELb1ES3_N6thrust23THRUST_200600_302600_NS6detail15normal_iteratorINS9_10device_ptrItEEEENS9_16discard_iteratorINS9_11use_defaultEEEtNS9_4plusIvEEtEEDaPvRmT3_T4_T5_mT6_P12ihipStream_tbENKUlT_T0_E_clISt17integral_constantIbLb1EESX_EEDaSS_ST_EUlSS_E_NS1_11comp_targetILNS1_3genE0ELNS1_11target_archE4294967295ELNS1_3gpuE0ELNS1_3repE0EEENS1_30default_config_static_selectorELNS0_4arch9wavefront6targetE1EEEvT1_.kd
    .uniform_work_group_size: 1
    .uses_dynamic_stack: false
    .vgpr_count:     0
    .vgpr_spill_count: 0
    .wavefront_size: 64
  - .agpr_count:     0
    .args:
      - .offset:         0
        .size:           104
        .value_kind:     by_value
    .group_segment_fixed_size: 0
    .kernarg_segment_align: 8
    .kernarg_segment_size: 104
    .language:       OpenCL C
    .language_version:
      - 2
      - 0
    .max_flat_workgroup_size: 256
    .name:           _ZN7rocprim17ROCPRIM_400000_NS6detail17trampoline_kernelINS0_14default_configENS1_20scan_config_selectorItEEZZNS1_9scan_implILNS1_25lookback_scan_determinismE0ELb1ELb1ES3_N6thrust23THRUST_200600_302600_NS6detail15normal_iteratorINS9_10device_ptrItEEEENS9_16discard_iteratorINS9_11use_defaultEEEtNS9_4plusIvEEtEEDaPvRmT3_T4_T5_mT6_P12ihipStream_tbENKUlT_T0_E_clISt17integral_constantIbLb1EESX_EEDaSS_ST_EUlSS_E_NS1_11comp_targetILNS1_3genE5ELNS1_11target_archE942ELNS1_3gpuE9ELNS1_3repE0EEENS1_30default_config_static_selectorELNS0_4arch9wavefront6targetE1EEEvT1_
    .private_segment_fixed_size: 0
    .sgpr_count:     4
    .sgpr_spill_count: 0
    .symbol:         _ZN7rocprim17ROCPRIM_400000_NS6detail17trampoline_kernelINS0_14default_configENS1_20scan_config_selectorItEEZZNS1_9scan_implILNS1_25lookback_scan_determinismE0ELb1ELb1ES3_N6thrust23THRUST_200600_302600_NS6detail15normal_iteratorINS9_10device_ptrItEEEENS9_16discard_iteratorINS9_11use_defaultEEEtNS9_4plusIvEEtEEDaPvRmT3_T4_T5_mT6_P12ihipStream_tbENKUlT_T0_E_clISt17integral_constantIbLb1EESX_EEDaSS_ST_EUlSS_E_NS1_11comp_targetILNS1_3genE5ELNS1_11target_archE942ELNS1_3gpuE9ELNS1_3repE0EEENS1_30default_config_static_selectorELNS0_4arch9wavefront6targetE1EEEvT1_.kd
    .uniform_work_group_size: 1
    .uses_dynamic_stack: false
    .vgpr_count:     0
    .vgpr_spill_count: 0
    .wavefront_size: 64
  - .agpr_count:     0
    .args:
      - .offset:         0
        .size:           104
        .value_kind:     by_value
    .group_segment_fixed_size: 3072
    .kernarg_segment_align: 8
    .kernarg_segment_size: 104
    .language:       OpenCL C
    .language_version:
      - 2
      - 0
    .max_flat_workgroup_size: 64
    .name:           _ZN7rocprim17ROCPRIM_400000_NS6detail17trampoline_kernelINS0_14default_configENS1_20scan_config_selectorItEEZZNS1_9scan_implILNS1_25lookback_scan_determinismE0ELb1ELb1ES3_N6thrust23THRUST_200600_302600_NS6detail15normal_iteratorINS9_10device_ptrItEEEENS9_16discard_iteratorINS9_11use_defaultEEEtNS9_4plusIvEEtEEDaPvRmT3_T4_T5_mT6_P12ihipStream_tbENKUlT_T0_E_clISt17integral_constantIbLb1EESX_EEDaSS_ST_EUlSS_E_NS1_11comp_targetILNS1_3genE4ELNS1_11target_archE910ELNS1_3gpuE8ELNS1_3repE0EEENS1_30default_config_static_selectorELNS0_4arch9wavefront6targetE1EEEvT1_
    .private_segment_fixed_size: 0
    .sgpr_count:     36
    .sgpr_spill_count: 0
    .symbol:         _ZN7rocprim17ROCPRIM_400000_NS6detail17trampoline_kernelINS0_14default_configENS1_20scan_config_selectorItEEZZNS1_9scan_implILNS1_25lookback_scan_determinismE0ELb1ELb1ES3_N6thrust23THRUST_200600_302600_NS6detail15normal_iteratorINS9_10device_ptrItEEEENS9_16discard_iteratorINS9_11use_defaultEEEtNS9_4plusIvEEtEEDaPvRmT3_T4_T5_mT6_P12ihipStream_tbENKUlT_T0_E_clISt17integral_constantIbLb1EESX_EEDaSS_ST_EUlSS_E_NS1_11comp_targetILNS1_3genE4ELNS1_11target_archE910ELNS1_3gpuE8ELNS1_3repE0EEENS1_30default_config_static_selectorELNS0_4arch9wavefront6targetE1EEEvT1_.kd
    .uniform_work_group_size: 1
    .uses_dynamic_stack: false
    .vgpr_count:     44
    .vgpr_spill_count: 0
    .wavefront_size: 64
  - .agpr_count:     0
    .args:
      - .offset:         0
        .size:           104
        .value_kind:     by_value
    .group_segment_fixed_size: 0
    .kernarg_segment_align: 8
    .kernarg_segment_size: 104
    .language:       OpenCL C
    .language_version:
      - 2
      - 0
    .max_flat_workgroup_size: 128
    .name:           _ZN7rocprim17ROCPRIM_400000_NS6detail17trampoline_kernelINS0_14default_configENS1_20scan_config_selectorItEEZZNS1_9scan_implILNS1_25lookback_scan_determinismE0ELb1ELb1ES3_N6thrust23THRUST_200600_302600_NS6detail15normal_iteratorINS9_10device_ptrItEEEENS9_16discard_iteratorINS9_11use_defaultEEEtNS9_4plusIvEEtEEDaPvRmT3_T4_T5_mT6_P12ihipStream_tbENKUlT_T0_E_clISt17integral_constantIbLb1EESX_EEDaSS_ST_EUlSS_E_NS1_11comp_targetILNS1_3genE3ELNS1_11target_archE908ELNS1_3gpuE7ELNS1_3repE0EEENS1_30default_config_static_selectorELNS0_4arch9wavefront6targetE1EEEvT1_
    .private_segment_fixed_size: 0
    .sgpr_count:     4
    .sgpr_spill_count: 0
    .symbol:         _ZN7rocprim17ROCPRIM_400000_NS6detail17trampoline_kernelINS0_14default_configENS1_20scan_config_selectorItEEZZNS1_9scan_implILNS1_25lookback_scan_determinismE0ELb1ELb1ES3_N6thrust23THRUST_200600_302600_NS6detail15normal_iteratorINS9_10device_ptrItEEEENS9_16discard_iteratorINS9_11use_defaultEEEtNS9_4plusIvEEtEEDaPvRmT3_T4_T5_mT6_P12ihipStream_tbENKUlT_T0_E_clISt17integral_constantIbLb1EESX_EEDaSS_ST_EUlSS_E_NS1_11comp_targetILNS1_3genE3ELNS1_11target_archE908ELNS1_3gpuE7ELNS1_3repE0EEENS1_30default_config_static_selectorELNS0_4arch9wavefront6targetE1EEEvT1_.kd
    .uniform_work_group_size: 1
    .uses_dynamic_stack: false
    .vgpr_count:     0
    .vgpr_spill_count: 0
    .wavefront_size: 64
  - .agpr_count:     0
    .args:
      - .offset:         0
        .size:           104
        .value_kind:     by_value
    .group_segment_fixed_size: 0
    .kernarg_segment_align: 8
    .kernarg_segment_size: 104
    .language:       OpenCL C
    .language_version:
      - 2
      - 0
    .max_flat_workgroup_size: 256
    .name:           _ZN7rocprim17ROCPRIM_400000_NS6detail17trampoline_kernelINS0_14default_configENS1_20scan_config_selectorItEEZZNS1_9scan_implILNS1_25lookback_scan_determinismE0ELb1ELb1ES3_N6thrust23THRUST_200600_302600_NS6detail15normal_iteratorINS9_10device_ptrItEEEENS9_16discard_iteratorINS9_11use_defaultEEEtNS9_4plusIvEEtEEDaPvRmT3_T4_T5_mT6_P12ihipStream_tbENKUlT_T0_E_clISt17integral_constantIbLb1EESX_EEDaSS_ST_EUlSS_E_NS1_11comp_targetILNS1_3genE2ELNS1_11target_archE906ELNS1_3gpuE6ELNS1_3repE0EEENS1_30default_config_static_selectorELNS0_4arch9wavefront6targetE1EEEvT1_
    .private_segment_fixed_size: 0
    .sgpr_count:     4
    .sgpr_spill_count: 0
    .symbol:         _ZN7rocprim17ROCPRIM_400000_NS6detail17trampoline_kernelINS0_14default_configENS1_20scan_config_selectorItEEZZNS1_9scan_implILNS1_25lookback_scan_determinismE0ELb1ELb1ES3_N6thrust23THRUST_200600_302600_NS6detail15normal_iteratorINS9_10device_ptrItEEEENS9_16discard_iteratorINS9_11use_defaultEEEtNS9_4plusIvEEtEEDaPvRmT3_T4_T5_mT6_P12ihipStream_tbENKUlT_T0_E_clISt17integral_constantIbLb1EESX_EEDaSS_ST_EUlSS_E_NS1_11comp_targetILNS1_3genE2ELNS1_11target_archE906ELNS1_3gpuE6ELNS1_3repE0EEENS1_30default_config_static_selectorELNS0_4arch9wavefront6targetE1EEEvT1_.kd
    .uniform_work_group_size: 1
    .uses_dynamic_stack: false
    .vgpr_count:     0
    .vgpr_spill_count: 0
    .wavefront_size: 64
  - .agpr_count:     0
    .args:
      - .offset:         0
        .size:           104
        .value_kind:     by_value
    .group_segment_fixed_size: 0
    .kernarg_segment_align: 8
    .kernarg_segment_size: 104
    .language:       OpenCL C
    .language_version:
      - 2
      - 0
    .max_flat_workgroup_size: 256
    .name:           _ZN7rocprim17ROCPRIM_400000_NS6detail17trampoline_kernelINS0_14default_configENS1_20scan_config_selectorItEEZZNS1_9scan_implILNS1_25lookback_scan_determinismE0ELb1ELb1ES3_N6thrust23THRUST_200600_302600_NS6detail15normal_iteratorINS9_10device_ptrItEEEENS9_16discard_iteratorINS9_11use_defaultEEEtNS9_4plusIvEEtEEDaPvRmT3_T4_T5_mT6_P12ihipStream_tbENKUlT_T0_E_clISt17integral_constantIbLb1EESX_EEDaSS_ST_EUlSS_E_NS1_11comp_targetILNS1_3genE10ELNS1_11target_archE1201ELNS1_3gpuE5ELNS1_3repE0EEENS1_30default_config_static_selectorELNS0_4arch9wavefront6targetE1EEEvT1_
    .private_segment_fixed_size: 0
    .sgpr_count:     4
    .sgpr_spill_count: 0
    .symbol:         _ZN7rocprim17ROCPRIM_400000_NS6detail17trampoline_kernelINS0_14default_configENS1_20scan_config_selectorItEEZZNS1_9scan_implILNS1_25lookback_scan_determinismE0ELb1ELb1ES3_N6thrust23THRUST_200600_302600_NS6detail15normal_iteratorINS9_10device_ptrItEEEENS9_16discard_iteratorINS9_11use_defaultEEEtNS9_4plusIvEEtEEDaPvRmT3_T4_T5_mT6_P12ihipStream_tbENKUlT_T0_E_clISt17integral_constantIbLb1EESX_EEDaSS_ST_EUlSS_E_NS1_11comp_targetILNS1_3genE10ELNS1_11target_archE1201ELNS1_3gpuE5ELNS1_3repE0EEENS1_30default_config_static_selectorELNS0_4arch9wavefront6targetE1EEEvT1_.kd
    .uniform_work_group_size: 1
    .uses_dynamic_stack: false
    .vgpr_count:     0
    .vgpr_spill_count: 0
    .wavefront_size: 64
  - .agpr_count:     0
    .args:
      - .offset:         0
        .size:           104
        .value_kind:     by_value
    .group_segment_fixed_size: 0
    .kernarg_segment_align: 8
    .kernarg_segment_size: 104
    .language:       OpenCL C
    .language_version:
      - 2
      - 0
    .max_flat_workgroup_size: 256
    .name:           _ZN7rocprim17ROCPRIM_400000_NS6detail17trampoline_kernelINS0_14default_configENS1_20scan_config_selectorItEEZZNS1_9scan_implILNS1_25lookback_scan_determinismE0ELb1ELb1ES3_N6thrust23THRUST_200600_302600_NS6detail15normal_iteratorINS9_10device_ptrItEEEENS9_16discard_iteratorINS9_11use_defaultEEEtNS9_4plusIvEEtEEDaPvRmT3_T4_T5_mT6_P12ihipStream_tbENKUlT_T0_E_clISt17integral_constantIbLb1EESX_EEDaSS_ST_EUlSS_E_NS1_11comp_targetILNS1_3genE10ELNS1_11target_archE1200ELNS1_3gpuE4ELNS1_3repE0EEENS1_30default_config_static_selectorELNS0_4arch9wavefront6targetE1EEEvT1_
    .private_segment_fixed_size: 0
    .sgpr_count:     4
    .sgpr_spill_count: 0
    .symbol:         _ZN7rocprim17ROCPRIM_400000_NS6detail17trampoline_kernelINS0_14default_configENS1_20scan_config_selectorItEEZZNS1_9scan_implILNS1_25lookback_scan_determinismE0ELb1ELb1ES3_N6thrust23THRUST_200600_302600_NS6detail15normal_iteratorINS9_10device_ptrItEEEENS9_16discard_iteratorINS9_11use_defaultEEEtNS9_4plusIvEEtEEDaPvRmT3_T4_T5_mT6_P12ihipStream_tbENKUlT_T0_E_clISt17integral_constantIbLb1EESX_EEDaSS_ST_EUlSS_E_NS1_11comp_targetILNS1_3genE10ELNS1_11target_archE1200ELNS1_3gpuE4ELNS1_3repE0EEENS1_30default_config_static_selectorELNS0_4arch9wavefront6targetE1EEEvT1_.kd
    .uniform_work_group_size: 1
    .uses_dynamic_stack: false
    .vgpr_count:     0
    .vgpr_spill_count: 0
    .wavefront_size: 64
  - .agpr_count:     0
    .args:
      - .offset:         0
        .size:           104
        .value_kind:     by_value
    .group_segment_fixed_size: 0
    .kernarg_segment_align: 8
    .kernarg_segment_size: 104
    .language:       OpenCL C
    .language_version:
      - 2
      - 0
    .max_flat_workgroup_size: 64
    .name:           _ZN7rocprim17ROCPRIM_400000_NS6detail17trampoline_kernelINS0_14default_configENS1_20scan_config_selectorItEEZZNS1_9scan_implILNS1_25lookback_scan_determinismE0ELb1ELb1ES3_N6thrust23THRUST_200600_302600_NS6detail15normal_iteratorINS9_10device_ptrItEEEENS9_16discard_iteratorINS9_11use_defaultEEEtNS9_4plusIvEEtEEDaPvRmT3_T4_T5_mT6_P12ihipStream_tbENKUlT_T0_E_clISt17integral_constantIbLb1EESX_EEDaSS_ST_EUlSS_E_NS1_11comp_targetILNS1_3genE9ELNS1_11target_archE1100ELNS1_3gpuE3ELNS1_3repE0EEENS1_30default_config_static_selectorELNS0_4arch9wavefront6targetE1EEEvT1_
    .private_segment_fixed_size: 0
    .sgpr_count:     4
    .sgpr_spill_count: 0
    .symbol:         _ZN7rocprim17ROCPRIM_400000_NS6detail17trampoline_kernelINS0_14default_configENS1_20scan_config_selectorItEEZZNS1_9scan_implILNS1_25lookback_scan_determinismE0ELb1ELb1ES3_N6thrust23THRUST_200600_302600_NS6detail15normal_iteratorINS9_10device_ptrItEEEENS9_16discard_iteratorINS9_11use_defaultEEEtNS9_4plusIvEEtEEDaPvRmT3_T4_T5_mT6_P12ihipStream_tbENKUlT_T0_E_clISt17integral_constantIbLb1EESX_EEDaSS_ST_EUlSS_E_NS1_11comp_targetILNS1_3genE9ELNS1_11target_archE1100ELNS1_3gpuE3ELNS1_3repE0EEENS1_30default_config_static_selectorELNS0_4arch9wavefront6targetE1EEEvT1_.kd
    .uniform_work_group_size: 1
    .uses_dynamic_stack: false
    .vgpr_count:     0
    .vgpr_spill_count: 0
    .wavefront_size: 64
  - .agpr_count:     0
    .args:
      - .offset:         0
        .size:           104
        .value_kind:     by_value
    .group_segment_fixed_size: 0
    .kernarg_segment_align: 8
    .kernarg_segment_size: 104
    .language:       OpenCL C
    .language_version:
      - 2
      - 0
    .max_flat_workgroup_size: 64
    .name:           _ZN7rocprim17ROCPRIM_400000_NS6detail17trampoline_kernelINS0_14default_configENS1_20scan_config_selectorItEEZZNS1_9scan_implILNS1_25lookback_scan_determinismE0ELb1ELb1ES3_N6thrust23THRUST_200600_302600_NS6detail15normal_iteratorINS9_10device_ptrItEEEENS9_16discard_iteratorINS9_11use_defaultEEEtNS9_4plusIvEEtEEDaPvRmT3_T4_T5_mT6_P12ihipStream_tbENKUlT_T0_E_clISt17integral_constantIbLb1EESX_EEDaSS_ST_EUlSS_E_NS1_11comp_targetILNS1_3genE8ELNS1_11target_archE1030ELNS1_3gpuE2ELNS1_3repE0EEENS1_30default_config_static_selectorELNS0_4arch9wavefront6targetE1EEEvT1_
    .private_segment_fixed_size: 0
    .sgpr_count:     4
    .sgpr_spill_count: 0
    .symbol:         _ZN7rocprim17ROCPRIM_400000_NS6detail17trampoline_kernelINS0_14default_configENS1_20scan_config_selectorItEEZZNS1_9scan_implILNS1_25lookback_scan_determinismE0ELb1ELb1ES3_N6thrust23THRUST_200600_302600_NS6detail15normal_iteratorINS9_10device_ptrItEEEENS9_16discard_iteratorINS9_11use_defaultEEEtNS9_4plusIvEEtEEDaPvRmT3_T4_T5_mT6_P12ihipStream_tbENKUlT_T0_E_clISt17integral_constantIbLb1EESX_EEDaSS_ST_EUlSS_E_NS1_11comp_targetILNS1_3genE8ELNS1_11target_archE1030ELNS1_3gpuE2ELNS1_3repE0EEENS1_30default_config_static_selectorELNS0_4arch9wavefront6targetE1EEEvT1_.kd
    .uniform_work_group_size: 1
    .uses_dynamic_stack: false
    .vgpr_count:     0
    .vgpr_spill_count: 0
    .wavefront_size: 64
  - .agpr_count:     0
    .args:
      - .offset:         0
        .size:           40
        .value_kind:     by_value
    .group_segment_fixed_size: 0
    .kernarg_segment_align: 8
    .kernarg_segment_size: 40
    .language:       OpenCL C
    .language_version:
      - 2
      - 0
    .max_flat_workgroup_size: 128
    .name:           _ZN7rocprim17ROCPRIM_400000_NS6detail17trampoline_kernelINS0_14default_configENS1_20scan_config_selectorItEEZZNS1_9scan_implILNS1_25lookback_scan_determinismE0ELb1ELb1ES3_N6thrust23THRUST_200600_302600_NS6detail15normal_iteratorINS9_10device_ptrItEEEENS9_16discard_iteratorINS9_11use_defaultEEEtNS9_4plusIvEEtEEDaPvRmT3_T4_T5_mT6_P12ihipStream_tbENKUlT_T0_E_clISt17integral_constantIbLb1EESX_EEDaSS_ST_EUlSS_E0_NS1_11comp_targetILNS1_3genE0ELNS1_11target_archE4294967295ELNS1_3gpuE0ELNS1_3repE0EEENS1_30default_config_static_selectorELNS0_4arch9wavefront6targetE1EEEvT1_
    .private_segment_fixed_size: 0
    .sgpr_count:     4
    .sgpr_spill_count: 0
    .symbol:         _ZN7rocprim17ROCPRIM_400000_NS6detail17trampoline_kernelINS0_14default_configENS1_20scan_config_selectorItEEZZNS1_9scan_implILNS1_25lookback_scan_determinismE0ELb1ELb1ES3_N6thrust23THRUST_200600_302600_NS6detail15normal_iteratorINS9_10device_ptrItEEEENS9_16discard_iteratorINS9_11use_defaultEEEtNS9_4plusIvEEtEEDaPvRmT3_T4_T5_mT6_P12ihipStream_tbENKUlT_T0_E_clISt17integral_constantIbLb1EESX_EEDaSS_ST_EUlSS_E0_NS1_11comp_targetILNS1_3genE0ELNS1_11target_archE4294967295ELNS1_3gpuE0ELNS1_3repE0EEENS1_30default_config_static_selectorELNS0_4arch9wavefront6targetE1EEEvT1_.kd
    .uniform_work_group_size: 1
    .uses_dynamic_stack: false
    .vgpr_count:     0
    .vgpr_spill_count: 0
    .wavefront_size: 64
  - .agpr_count:     0
    .args:
      - .offset:         0
        .size:           40
        .value_kind:     by_value
    .group_segment_fixed_size: 0
    .kernarg_segment_align: 8
    .kernarg_segment_size: 40
    .language:       OpenCL C
    .language_version:
      - 2
      - 0
    .max_flat_workgroup_size: 256
    .name:           _ZN7rocprim17ROCPRIM_400000_NS6detail17trampoline_kernelINS0_14default_configENS1_20scan_config_selectorItEEZZNS1_9scan_implILNS1_25lookback_scan_determinismE0ELb1ELb1ES3_N6thrust23THRUST_200600_302600_NS6detail15normal_iteratorINS9_10device_ptrItEEEENS9_16discard_iteratorINS9_11use_defaultEEEtNS9_4plusIvEEtEEDaPvRmT3_T4_T5_mT6_P12ihipStream_tbENKUlT_T0_E_clISt17integral_constantIbLb1EESX_EEDaSS_ST_EUlSS_E0_NS1_11comp_targetILNS1_3genE5ELNS1_11target_archE942ELNS1_3gpuE9ELNS1_3repE0EEENS1_30default_config_static_selectorELNS0_4arch9wavefront6targetE1EEEvT1_
    .private_segment_fixed_size: 0
    .sgpr_count:     4
    .sgpr_spill_count: 0
    .symbol:         _ZN7rocprim17ROCPRIM_400000_NS6detail17trampoline_kernelINS0_14default_configENS1_20scan_config_selectorItEEZZNS1_9scan_implILNS1_25lookback_scan_determinismE0ELb1ELb1ES3_N6thrust23THRUST_200600_302600_NS6detail15normal_iteratorINS9_10device_ptrItEEEENS9_16discard_iteratorINS9_11use_defaultEEEtNS9_4plusIvEEtEEDaPvRmT3_T4_T5_mT6_P12ihipStream_tbENKUlT_T0_E_clISt17integral_constantIbLb1EESX_EEDaSS_ST_EUlSS_E0_NS1_11comp_targetILNS1_3genE5ELNS1_11target_archE942ELNS1_3gpuE9ELNS1_3repE0EEENS1_30default_config_static_selectorELNS0_4arch9wavefront6targetE1EEEvT1_.kd
    .uniform_work_group_size: 1
    .uses_dynamic_stack: false
    .vgpr_count:     0
    .vgpr_spill_count: 0
    .wavefront_size: 64
  - .agpr_count:     0
    .args:
      - .offset:         0
        .size:           40
        .value_kind:     by_value
    .group_segment_fixed_size: 3072
    .kernarg_segment_align: 8
    .kernarg_segment_size: 40
    .language:       OpenCL C
    .language_version:
      - 2
      - 0
    .max_flat_workgroup_size: 64
    .name:           _ZN7rocprim17ROCPRIM_400000_NS6detail17trampoline_kernelINS0_14default_configENS1_20scan_config_selectorItEEZZNS1_9scan_implILNS1_25lookback_scan_determinismE0ELb1ELb1ES3_N6thrust23THRUST_200600_302600_NS6detail15normal_iteratorINS9_10device_ptrItEEEENS9_16discard_iteratorINS9_11use_defaultEEEtNS9_4plusIvEEtEEDaPvRmT3_T4_T5_mT6_P12ihipStream_tbENKUlT_T0_E_clISt17integral_constantIbLb1EESX_EEDaSS_ST_EUlSS_E0_NS1_11comp_targetILNS1_3genE4ELNS1_11target_archE910ELNS1_3gpuE8ELNS1_3repE0EEENS1_30default_config_static_selectorELNS0_4arch9wavefront6targetE1EEEvT1_
    .private_segment_fixed_size: 0
    .sgpr_count:     12
    .sgpr_spill_count: 0
    .symbol:         _ZN7rocprim17ROCPRIM_400000_NS6detail17trampoline_kernelINS0_14default_configENS1_20scan_config_selectorItEEZZNS1_9scan_implILNS1_25lookback_scan_determinismE0ELb1ELb1ES3_N6thrust23THRUST_200600_302600_NS6detail15normal_iteratorINS9_10device_ptrItEEEENS9_16discard_iteratorINS9_11use_defaultEEEtNS9_4plusIvEEtEEDaPvRmT3_T4_T5_mT6_P12ihipStream_tbENKUlT_T0_E_clISt17integral_constantIbLb1EESX_EEDaSS_ST_EUlSS_E0_NS1_11comp_targetILNS1_3genE4ELNS1_11target_archE910ELNS1_3gpuE8ELNS1_3repE0EEENS1_30default_config_static_selectorELNS0_4arch9wavefront6targetE1EEEvT1_.kd
    .uniform_work_group_size: 1
    .uses_dynamic_stack: false
    .vgpr_count:     28
    .vgpr_spill_count: 0
    .wavefront_size: 64
  - .agpr_count:     0
    .args:
      - .offset:         0
        .size:           40
        .value_kind:     by_value
    .group_segment_fixed_size: 0
    .kernarg_segment_align: 8
    .kernarg_segment_size: 40
    .language:       OpenCL C
    .language_version:
      - 2
      - 0
    .max_flat_workgroup_size: 128
    .name:           _ZN7rocprim17ROCPRIM_400000_NS6detail17trampoline_kernelINS0_14default_configENS1_20scan_config_selectorItEEZZNS1_9scan_implILNS1_25lookback_scan_determinismE0ELb1ELb1ES3_N6thrust23THRUST_200600_302600_NS6detail15normal_iteratorINS9_10device_ptrItEEEENS9_16discard_iteratorINS9_11use_defaultEEEtNS9_4plusIvEEtEEDaPvRmT3_T4_T5_mT6_P12ihipStream_tbENKUlT_T0_E_clISt17integral_constantIbLb1EESX_EEDaSS_ST_EUlSS_E0_NS1_11comp_targetILNS1_3genE3ELNS1_11target_archE908ELNS1_3gpuE7ELNS1_3repE0EEENS1_30default_config_static_selectorELNS0_4arch9wavefront6targetE1EEEvT1_
    .private_segment_fixed_size: 0
    .sgpr_count:     4
    .sgpr_spill_count: 0
    .symbol:         _ZN7rocprim17ROCPRIM_400000_NS6detail17trampoline_kernelINS0_14default_configENS1_20scan_config_selectorItEEZZNS1_9scan_implILNS1_25lookback_scan_determinismE0ELb1ELb1ES3_N6thrust23THRUST_200600_302600_NS6detail15normal_iteratorINS9_10device_ptrItEEEENS9_16discard_iteratorINS9_11use_defaultEEEtNS9_4plusIvEEtEEDaPvRmT3_T4_T5_mT6_P12ihipStream_tbENKUlT_T0_E_clISt17integral_constantIbLb1EESX_EEDaSS_ST_EUlSS_E0_NS1_11comp_targetILNS1_3genE3ELNS1_11target_archE908ELNS1_3gpuE7ELNS1_3repE0EEENS1_30default_config_static_selectorELNS0_4arch9wavefront6targetE1EEEvT1_.kd
    .uniform_work_group_size: 1
    .uses_dynamic_stack: false
    .vgpr_count:     0
    .vgpr_spill_count: 0
    .wavefront_size: 64
  - .agpr_count:     0
    .args:
      - .offset:         0
        .size:           40
        .value_kind:     by_value
    .group_segment_fixed_size: 0
    .kernarg_segment_align: 8
    .kernarg_segment_size: 40
    .language:       OpenCL C
    .language_version:
      - 2
      - 0
    .max_flat_workgroup_size: 256
    .name:           _ZN7rocprim17ROCPRIM_400000_NS6detail17trampoline_kernelINS0_14default_configENS1_20scan_config_selectorItEEZZNS1_9scan_implILNS1_25lookback_scan_determinismE0ELb1ELb1ES3_N6thrust23THRUST_200600_302600_NS6detail15normal_iteratorINS9_10device_ptrItEEEENS9_16discard_iteratorINS9_11use_defaultEEEtNS9_4plusIvEEtEEDaPvRmT3_T4_T5_mT6_P12ihipStream_tbENKUlT_T0_E_clISt17integral_constantIbLb1EESX_EEDaSS_ST_EUlSS_E0_NS1_11comp_targetILNS1_3genE2ELNS1_11target_archE906ELNS1_3gpuE6ELNS1_3repE0EEENS1_30default_config_static_selectorELNS0_4arch9wavefront6targetE1EEEvT1_
    .private_segment_fixed_size: 0
    .sgpr_count:     4
    .sgpr_spill_count: 0
    .symbol:         _ZN7rocprim17ROCPRIM_400000_NS6detail17trampoline_kernelINS0_14default_configENS1_20scan_config_selectorItEEZZNS1_9scan_implILNS1_25lookback_scan_determinismE0ELb1ELb1ES3_N6thrust23THRUST_200600_302600_NS6detail15normal_iteratorINS9_10device_ptrItEEEENS9_16discard_iteratorINS9_11use_defaultEEEtNS9_4plusIvEEtEEDaPvRmT3_T4_T5_mT6_P12ihipStream_tbENKUlT_T0_E_clISt17integral_constantIbLb1EESX_EEDaSS_ST_EUlSS_E0_NS1_11comp_targetILNS1_3genE2ELNS1_11target_archE906ELNS1_3gpuE6ELNS1_3repE0EEENS1_30default_config_static_selectorELNS0_4arch9wavefront6targetE1EEEvT1_.kd
    .uniform_work_group_size: 1
    .uses_dynamic_stack: false
    .vgpr_count:     0
    .vgpr_spill_count: 0
    .wavefront_size: 64
  - .agpr_count:     0
    .args:
      - .offset:         0
        .size:           40
        .value_kind:     by_value
    .group_segment_fixed_size: 0
    .kernarg_segment_align: 8
    .kernarg_segment_size: 40
    .language:       OpenCL C
    .language_version:
      - 2
      - 0
    .max_flat_workgroup_size: 256
    .name:           _ZN7rocprim17ROCPRIM_400000_NS6detail17trampoline_kernelINS0_14default_configENS1_20scan_config_selectorItEEZZNS1_9scan_implILNS1_25lookback_scan_determinismE0ELb1ELb1ES3_N6thrust23THRUST_200600_302600_NS6detail15normal_iteratorINS9_10device_ptrItEEEENS9_16discard_iteratorINS9_11use_defaultEEEtNS9_4plusIvEEtEEDaPvRmT3_T4_T5_mT6_P12ihipStream_tbENKUlT_T0_E_clISt17integral_constantIbLb1EESX_EEDaSS_ST_EUlSS_E0_NS1_11comp_targetILNS1_3genE10ELNS1_11target_archE1201ELNS1_3gpuE5ELNS1_3repE0EEENS1_30default_config_static_selectorELNS0_4arch9wavefront6targetE1EEEvT1_
    .private_segment_fixed_size: 0
    .sgpr_count:     4
    .sgpr_spill_count: 0
    .symbol:         _ZN7rocprim17ROCPRIM_400000_NS6detail17trampoline_kernelINS0_14default_configENS1_20scan_config_selectorItEEZZNS1_9scan_implILNS1_25lookback_scan_determinismE0ELb1ELb1ES3_N6thrust23THRUST_200600_302600_NS6detail15normal_iteratorINS9_10device_ptrItEEEENS9_16discard_iteratorINS9_11use_defaultEEEtNS9_4plusIvEEtEEDaPvRmT3_T4_T5_mT6_P12ihipStream_tbENKUlT_T0_E_clISt17integral_constantIbLb1EESX_EEDaSS_ST_EUlSS_E0_NS1_11comp_targetILNS1_3genE10ELNS1_11target_archE1201ELNS1_3gpuE5ELNS1_3repE0EEENS1_30default_config_static_selectorELNS0_4arch9wavefront6targetE1EEEvT1_.kd
    .uniform_work_group_size: 1
    .uses_dynamic_stack: false
    .vgpr_count:     0
    .vgpr_spill_count: 0
    .wavefront_size: 64
  - .agpr_count:     0
    .args:
      - .offset:         0
        .size:           40
        .value_kind:     by_value
    .group_segment_fixed_size: 0
    .kernarg_segment_align: 8
    .kernarg_segment_size: 40
    .language:       OpenCL C
    .language_version:
      - 2
      - 0
    .max_flat_workgroup_size: 256
    .name:           _ZN7rocprim17ROCPRIM_400000_NS6detail17trampoline_kernelINS0_14default_configENS1_20scan_config_selectorItEEZZNS1_9scan_implILNS1_25lookback_scan_determinismE0ELb1ELb1ES3_N6thrust23THRUST_200600_302600_NS6detail15normal_iteratorINS9_10device_ptrItEEEENS9_16discard_iteratorINS9_11use_defaultEEEtNS9_4plusIvEEtEEDaPvRmT3_T4_T5_mT6_P12ihipStream_tbENKUlT_T0_E_clISt17integral_constantIbLb1EESX_EEDaSS_ST_EUlSS_E0_NS1_11comp_targetILNS1_3genE10ELNS1_11target_archE1200ELNS1_3gpuE4ELNS1_3repE0EEENS1_30default_config_static_selectorELNS0_4arch9wavefront6targetE1EEEvT1_
    .private_segment_fixed_size: 0
    .sgpr_count:     4
    .sgpr_spill_count: 0
    .symbol:         _ZN7rocprim17ROCPRIM_400000_NS6detail17trampoline_kernelINS0_14default_configENS1_20scan_config_selectorItEEZZNS1_9scan_implILNS1_25lookback_scan_determinismE0ELb1ELb1ES3_N6thrust23THRUST_200600_302600_NS6detail15normal_iteratorINS9_10device_ptrItEEEENS9_16discard_iteratorINS9_11use_defaultEEEtNS9_4plusIvEEtEEDaPvRmT3_T4_T5_mT6_P12ihipStream_tbENKUlT_T0_E_clISt17integral_constantIbLb1EESX_EEDaSS_ST_EUlSS_E0_NS1_11comp_targetILNS1_3genE10ELNS1_11target_archE1200ELNS1_3gpuE4ELNS1_3repE0EEENS1_30default_config_static_selectorELNS0_4arch9wavefront6targetE1EEEvT1_.kd
    .uniform_work_group_size: 1
    .uses_dynamic_stack: false
    .vgpr_count:     0
    .vgpr_spill_count: 0
    .wavefront_size: 64
  - .agpr_count:     0
    .args:
      - .offset:         0
        .size:           40
        .value_kind:     by_value
    .group_segment_fixed_size: 0
    .kernarg_segment_align: 8
    .kernarg_segment_size: 40
    .language:       OpenCL C
    .language_version:
      - 2
      - 0
    .max_flat_workgroup_size: 64
    .name:           _ZN7rocprim17ROCPRIM_400000_NS6detail17trampoline_kernelINS0_14default_configENS1_20scan_config_selectorItEEZZNS1_9scan_implILNS1_25lookback_scan_determinismE0ELb1ELb1ES3_N6thrust23THRUST_200600_302600_NS6detail15normal_iteratorINS9_10device_ptrItEEEENS9_16discard_iteratorINS9_11use_defaultEEEtNS9_4plusIvEEtEEDaPvRmT3_T4_T5_mT6_P12ihipStream_tbENKUlT_T0_E_clISt17integral_constantIbLb1EESX_EEDaSS_ST_EUlSS_E0_NS1_11comp_targetILNS1_3genE9ELNS1_11target_archE1100ELNS1_3gpuE3ELNS1_3repE0EEENS1_30default_config_static_selectorELNS0_4arch9wavefront6targetE1EEEvT1_
    .private_segment_fixed_size: 0
    .sgpr_count:     4
    .sgpr_spill_count: 0
    .symbol:         _ZN7rocprim17ROCPRIM_400000_NS6detail17trampoline_kernelINS0_14default_configENS1_20scan_config_selectorItEEZZNS1_9scan_implILNS1_25lookback_scan_determinismE0ELb1ELb1ES3_N6thrust23THRUST_200600_302600_NS6detail15normal_iteratorINS9_10device_ptrItEEEENS9_16discard_iteratorINS9_11use_defaultEEEtNS9_4plusIvEEtEEDaPvRmT3_T4_T5_mT6_P12ihipStream_tbENKUlT_T0_E_clISt17integral_constantIbLb1EESX_EEDaSS_ST_EUlSS_E0_NS1_11comp_targetILNS1_3genE9ELNS1_11target_archE1100ELNS1_3gpuE3ELNS1_3repE0EEENS1_30default_config_static_selectorELNS0_4arch9wavefront6targetE1EEEvT1_.kd
    .uniform_work_group_size: 1
    .uses_dynamic_stack: false
    .vgpr_count:     0
    .vgpr_spill_count: 0
    .wavefront_size: 64
  - .agpr_count:     0
    .args:
      - .offset:         0
        .size:           40
        .value_kind:     by_value
    .group_segment_fixed_size: 0
    .kernarg_segment_align: 8
    .kernarg_segment_size: 40
    .language:       OpenCL C
    .language_version:
      - 2
      - 0
    .max_flat_workgroup_size: 64
    .name:           _ZN7rocprim17ROCPRIM_400000_NS6detail17trampoline_kernelINS0_14default_configENS1_20scan_config_selectorItEEZZNS1_9scan_implILNS1_25lookback_scan_determinismE0ELb1ELb1ES3_N6thrust23THRUST_200600_302600_NS6detail15normal_iteratorINS9_10device_ptrItEEEENS9_16discard_iteratorINS9_11use_defaultEEEtNS9_4plusIvEEtEEDaPvRmT3_T4_T5_mT6_P12ihipStream_tbENKUlT_T0_E_clISt17integral_constantIbLb1EESX_EEDaSS_ST_EUlSS_E0_NS1_11comp_targetILNS1_3genE8ELNS1_11target_archE1030ELNS1_3gpuE2ELNS1_3repE0EEENS1_30default_config_static_selectorELNS0_4arch9wavefront6targetE1EEEvT1_
    .private_segment_fixed_size: 0
    .sgpr_count:     4
    .sgpr_spill_count: 0
    .symbol:         _ZN7rocprim17ROCPRIM_400000_NS6detail17trampoline_kernelINS0_14default_configENS1_20scan_config_selectorItEEZZNS1_9scan_implILNS1_25lookback_scan_determinismE0ELb1ELb1ES3_N6thrust23THRUST_200600_302600_NS6detail15normal_iteratorINS9_10device_ptrItEEEENS9_16discard_iteratorINS9_11use_defaultEEEtNS9_4plusIvEEtEEDaPvRmT3_T4_T5_mT6_P12ihipStream_tbENKUlT_T0_E_clISt17integral_constantIbLb1EESX_EEDaSS_ST_EUlSS_E0_NS1_11comp_targetILNS1_3genE8ELNS1_11target_archE1030ELNS1_3gpuE2ELNS1_3repE0EEENS1_30default_config_static_selectorELNS0_4arch9wavefront6targetE1EEEvT1_.kd
    .uniform_work_group_size: 1
    .uses_dynamic_stack: false
    .vgpr_count:     0
    .vgpr_spill_count: 0
    .wavefront_size: 64
  - .agpr_count:     0
    .args:
      - .offset:         0
        .size:           104
        .value_kind:     by_value
    .group_segment_fixed_size: 0
    .kernarg_segment_align: 8
    .kernarg_segment_size: 104
    .language:       OpenCL C
    .language_version:
      - 2
      - 0
    .max_flat_workgroup_size: 128
    .name:           _ZN7rocprim17ROCPRIM_400000_NS6detail17trampoline_kernelINS0_14default_configENS1_20scan_config_selectorItEEZZNS1_9scan_implILNS1_25lookback_scan_determinismE0ELb1ELb1ES3_N6thrust23THRUST_200600_302600_NS6detail15normal_iteratorINS9_10device_ptrItEEEENS9_16discard_iteratorINS9_11use_defaultEEEtNS9_4plusIvEEtEEDaPvRmT3_T4_T5_mT6_P12ihipStream_tbENKUlT_T0_E_clISt17integral_constantIbLb1EESW_IbLb0EEEEDaSS_ST_EUlSS_E_NS1_11comp_targetILNS1_3genE0ELNS1_11target_archE4294967295ELNS1_3gpuE0ELNS1_3repE0EEENS1_30default_config_static_selectorELNS0_4arch9wavefront6targetE1EEEvT1_
    .private_segment_fixed_size: 0
    .sgpr_count:     4
    .sgpr_spill_count: 0
    .symbol:         _ZN7rocprim17ROCPRIM_400000_NS6detail17trampoline_kernelINS0_14default_configENS1_20scan_config_selectorItEEZZNS1_9scan_implILNS1_25lookback_scan_determinismE0ELb1ELb1ES3_N6thrust23THRUST_200600_302600_NS6detail15normal_iteratorINS9_10device_ptrItEEEENS9_16discard_iteratorINS9_11use_defaultEEEtNS9_4plusIvEEtEEDaPvRmT3_T4_T5_mT6_P12ihipStream_tbENKUlT_T0_E_clISt17integral_constantIbLb1EESW_IbLb0EEEEDaSS_ST_EUlSS_E_NS1_11comp_targetILNS1_3genE0ELNS1_11target_archE4294967295ELNS1_3gpuE0ELNS1_3repE0EEENS1_30default_config_static_selectorELNS0_4arch9wavefront6targetE1EEEvT1_.kd
    .uniform_work_group_size: 1
    .uses_dynamic_stack: false
    .vgpr_count:     0
    .vgpr_spill_count: 0
    .wavefront_size: 64
  - .agpr_count:     0
    .args:
      - .offset:         0
        .size:           104
        .value_kind:     by_value
    .group_segment_fixed_size: 0
    .kernarg_segment_align: 8
    .kernarg_segment_size: 104
    .language:       OpenCL C
    .language_version:
      - 2
      - 0
    .max_flat_workgroup_size: 256
    .name:           _ZN7rocprim17ROCPRIM_400000_NS6detail17trampoline_kernelINS0_14default_configENS1_20scan_config_selectorItEEZZNS1_9scan_implILNS1_25lookback_scan_determinismE0ELb1ELb1ES3_N6thrust23THRUST_200600_302600_NS6detail15normal_iteratorINS9_10device_ptrItEEEENS9_16discard_iteratorINS9_11use_defaultEEEtNS9_4plusIvEEtEEDaPvRmT3_T4_T5_mT6_P12ihipStream_tbENKUlT_T0_E_clISt17integral_constantIbLb1EESW_IbLb0EEEEDaSS_ST_EUlSS_E_NS1_11comp_targetILNS1_3genE5ELNS1_11target_archE942ELNS1_3gpuE9ELNS1_3repE0EEENS1_30default_config_static_selectorELNS0_4arch9wavefront6targetE1EEEvT1_
    .private_segment_fixed_size: 0
    .sgpr_count:     4
    .sgpr_spill_count: 0
    .symbol:         _ZN7rocprim17ROCPRIM_400000_NS6detail17trampoline_kernelINS0_14default_configENS1_20scan_config_selectorItEEZZNS1_9scan_implILNS1_25lookback_scan_determinismE0ELb1ELb1ES3_N6thrust23THRUST_200600_302600_NS6detail15normal_iteratorINS9_10device_ptrItEEEENS9_16discard_iteratorINS9_11use_defaultEEEtNS9_4plusIvEEtEEDaPvRmT3_T4_T5_mT6_P12ihipStream_tbENKUlT_T0_E_clISt17integral_constantIbLb1EESW_IbLb0EEEEDaSS_ST_EUlSS_E_NS1_11comp_targetILNS1_3genE5ELNS1_11target_archE942ELNS1_3gpuE9ELNS1_3repE0EEENS1_30default_config_static_selectorELNS0_4arch9wavefront6targetE1EEEvT1_.kd
    .uniform_work_group_size: 1
    .uses_dynamic_stack: false
    .vgpr_count:     0
    .vgpr_spill_count: 0
    .wavefront_size: 64
  - .agpr_count:     0
    .args:
      - .offset:         0
        .size:           104
        .value_kind:     by_value
    .group_segment_fixed_size: 3072
    .kernarg_segment_align: 8
    .kernarg_segment_size: 104
    .language:       OpenCL C
    .language_version:
      - 2
      - 0
    .max_flat_workgroup_size: 64
    .name:           _ZN7rocprim17ROCPRIM_400000_NS6detail17trampoline_kernelINS0_14default_configENS1_20scan_config_selectorItEEZZNS1_9scan_implILNS1_25lookback_scan_determinismE0ELb1ELb1ES3_N6thrust23THRUST_200600_302600_NS6detail15normal_iteratorINS9_10device_ptrItEEEENS9_16discard_iteratorINS9_11use_defaultEEEtNS9_4plusIvEEtEEDaPvRmT3_T4_T5_mT6_P12ihipStream_tbENKUlT_T0_E_clISt17integral_constantIbLb1EESW_IbLb0EEEEDaSS_ST_EUlSS_E_NS1_11comp_targetILNS1_3genE4ELNS1_11target_archE910ELNS1_3gpuE8ELNS1_3repE0EEENS1_30default_config_static_selectorELNS0_4arch9wavefront6targetE1EEEvT1_
    .private_segment_fixed_size: 0
    .sgpr_count:     30
    .sgpr_spill_count: 0
    .symbol:         _ZN7rocprim17ROCPRIM_400000_NS6detail17trampoline_kernelINS0_14default_configENS1_20scan_config_selectorItEEZZNS1_9scan_implILNS1_25lookback_scan_determinismE0ELb1ELb1ES3_N6thrust23THRUST_200600_302600_NS6detail15normal_iteratorINS9_10device_ptrItEEEENS9_16discard_iteratorINS9_11use_defaultEEEtNS9_4plusIvEEtEEDaPvRmT3_T4_T5_mT6_P12ihipStream_tbENKUlT_T0_E_clISt17integral_constantIbLb1EESW_IbLb0EEEEDaSS_ST_EUlSS_E_NS1_11comp_targetILNS1_3genE4ELNS1_11target_archE910ELNS1_3gpuE8ELNS1_3repE0EEENS1_30default_config_static_selectorELNS0_4arch9wavefront6targetE1EEEvT1_.kd
    .uniform_work_group_size: 1
    .uses_dynamic_stack: false
    .vgpr_count:     44
    .vgpr_spill_count: 0
    .wavefront_size: 64
  - .agpr_count:     0
    .args:
      - .offset:         0
        .size:           104
        .value_kind:     by_value
    .group_segment_fixed_size: 0
    .kernarg_segment_align: 8
    .kernarg_segment_size: 104
    .language:       OpenCL C
    .language_version:
      - 2
      - 0
    .max_flat_workgroup_size: 128
    .name:           _ZN7rocprim17ROCPRIM_400000_NS6detail17trampoline_kernelINS0_14default_configENS1_20scan_config_selectorItEEZZNS1_9scan_implILNS1_25lookback_scan_determinismE0ELb1ELb1ES3_N6thrust23THRUST_200600_302600_NS6detail15normal_iteratorINS9_10device_ptrItEEEENS9_16discard_iteratorINS9_11use_defaultEEEtNS9_4plusIvEEtEEDaPvRmT3_T4_T5_mT6_P12ihipStream_tbENKUlT_T0_E_clISt17integral_constantIbLb1EESW_IbLb0EEEEDaSS_ST_EUlSS_E_NS1_11comp_targetILNS1_3genE3ELNS1_11target_archE908ELNS1_3gpuE7ELNS1_3repE0EEENS1_30default_config_static_selectorELNS0_4arch9wavefront6targetE1EEEvT1_
    .private_segment_fixed_size: 0
    .sgpr_count:     4
    .sgpr_spill_count: 0
    .symbol:         _ZN7rocprim17ROCPRIM_400000_NS6detail17trampoline_kernelINS0_14default_configENS1_20scan_config_selectorItEEZZNS1_9scan_implILNS1_25lookback_scan_determinismE0ELb1ELb1ES3_N6thrust23THRUST_200600_302600_NS6detail15normal_iteratorINS9_10device_ptrItEEEENS9_16discard_iteratorINS9_11use_defaultEEEtNS9_4plusIvEEtEEDaPvRmT3_T4_T5_mT6_P12ihipStream_tbENKUlT_T0_E_clISt17integral_constantIbLb1EESW_IbLb0EEEEDaSS_ST_EUlSS_E_NS1_11comp_targetILNS1_3genE3ELNS1_11target_archE908ELNS1_3gpuE7ELNS1_3repE0EEENS1_30default_config_static_selectorELNS0_4arch9wavefront6targetE1EEEvT1_.kd
    .uniform_work_group_size: 1
    .uses_dynamic_stack: false
    .vgpr_count:     0
    .vgpr_spill_count: 0
    .wavefront_size: 64
  - .agpr_count:     0
    .args:
      - .offset:         0
        .size:           104
        .value_kind:     by_value
    .group_segment_fixed_size: 0
    .kernarg_segment_align: 8
    .kernarg_segment_size: 104
    .language:       OpenCL C
    .language_version:
      - 2
      - 0
    .max_flat_workgroup_size: 256
    .name:           _ZN7rocprim17ROCPRIM_400000_NS6detail17trampoline_kernelINS0_14default_configENS1_20scan_config_selectorItEEZZNS1_9scan_implILNS1_25lookback_scan_determinismE0ELb1ELb1ES3_N6thrust23THRUST_200600_302600_NS6detail15normal_iteratorINS9_10device_ptrItEEEENS9_16discard_iteratorINS9_11use_defaultEEEtNS9_4plusIvEEtEEDaPvRmT3_T4_T5_mT6_P12ihipStream_tbENKUlT_T0_E_clISt17integral_constantIbLb1EESW_IbLb0EEEEDaSS_ST_EUlSS_E_NS1_11comp_targetILNS1_3genE2ELNS1_11target_archE906ELNS1_3gpuE6ELNS1_3repE0EEENS1_30default_config_static_selectorELNS0_4arch9wavefront6targetE1EEEvT1_
    .private_segment_fixed_size: 0
    .sgpr_count:     4
    .sgpr_spill_count: 0
    .symbol:         _ZN7rocprim17ROCPRIM_400000_NS6detail17trampoline_kernelINS0_14default_configENS1_20scan_config_selectorItEEZZNS1_9scan_implILNS1_25lookback_scan_determinismE0ELb1ELb1ES3_N6thrust23THRUST_200600_302600_NS6detail15normal_iteratorINS9_10device_ptrItEEEENS9_16discard_iteratorINS9_11use_defaultEEEtNS9_4plusIvEEtEEDaPvRmT3_T4_T5_mT6_P12ihipStream_tbENKUlT_T0_E_clISt17integral_constantIbLb1EESW_IbLb0EEEEDaSS_ST_EUlSS_E_NS1_11comp_targetILNS1_3genE2ELNS1_11target_archE906ELNS1_3gpuE6ELNS1_3repE0EEENS1_30default_config_static_selectorELNS0_4arch9wavefront6targetE1EEEvT1_.kd
    .uniform_work_group_size: 1
    .uses_dynamic_stack: false
    .vgpr_count:     0
    .vgpr_spill_count: 0
    .wavefront_size: 64
  - .agpr_count:     0
    .args:
      - .offset:         0
        .size:           104
        .value_kind:     by_value
    .group_segment_fixed_size: 0
    .kernarg_segment_align: 8
    .kernarg_segment_size: 104
    .language:       OpenCL C
    .language_version:
      - 2
      - 0
    .max_flat_workgroup_size: 256
    .name:           _ZN7rocprim17ROCPRIM_400000_NS6detail17trampoline_kernelINS0_14default_configENS1_20scan_config_selectorItEEZZNS1_9scan_implILNS1_25lookback_scan_determinismE0ELb1ELb1ES3_N6thrust23THRUST_200600_302600_NS6detail15normal_iteratorINS9_10device_ptrItEEEENS9_16discard_iteratorINS9_11use_defaultEEEtNS9_4plusIvEEtEEDaPvRmT3_T4_T5_mT6_P12ihipStream_tbENKUlT_T0_E_clISt17integral_constantIbLb1EESW_IbLb0EEEEDaSS_ST_EUlSS_E_NS1_11comp_targetILNS1_3genE10ELNS1_11target_archE1201ELNS1_3gpuE5ELNS1_3repE0EEENS1_30default_config_static_selectorELNS0_4arch9wavefront6targetE1EEEvT1_
    .private_segment_fixed_size: 0
    .sgpr_count:     4
    .sgpr_spill_count: 0
    .symbol:         _ZN7rocprim17ROCPRIM_400000_NS6detail17trampoline_kernelINS0_14default_configENS1_20scan_config_selectorItEEZZNS1_9scan_implILNS1_25lookback_scan_determinismE0ELb1ELb1ES3_N6thrust23THRUST_200600_302600_NS6detail15normal_iteratorINS9_10device_ptrItEEEENS9_16discard_iteratorINS9_11use_defaultEEEtNS9_4plusIvEEtEEDaPvRmT3_T4_T5_mT6_P12ihipStream_tbENKUlT_T0_E_clISt17integral_constantIbLb1EESW_IbLb0EEEEDaSS_ST_EUlSS_E_NS1_11comp_targetILNS1_3genE10ELNS1_11target_archE1201ELNS1_3gpuE5ELNS1_3repE0EEENS1_30default_config_static_selectorELNS0_4arch9wavefront6targetE1EEEvT1_.kd
    .uniform_work_group_size: 1
    .uses_dynamic_stack: false
    .vgpr_count:     0
    .vgpr_spill_count: 0
    .wavefront_size: 64
  - .agpr_count:     0
    .args:
      - .offset:         0
        .size:           104
        .value_kind:     by_value
    .group_segment_fixed_size: 0
    .kernarg_segment_align: 8
    .kernarg_segment_size: 104
    .language:       OpenCL C
    .language_version:
      - 2
      - 0
    .max_flat_workgroup_size: 256
    .name:           _ZN7rocprim17ROCPRIM_400000_NS6detail17trampoline_kernelINS0_14default_configENS1_20scan_config_selectorItEEZZNS1_9scan_implILNS1_25lookback_scan_determinismE0ELb1ELb1ES3_N6thrust23THRUST_200600_302600_NS6detail15normal_iteratorINS9_10device_ptrItEEEENS9_16discard_iteratorINS9_11use_defaultEEEtNS9_4plusIvEEtEEDaPvRmT3_T4_T5_mT6_P12ihipStream_tbENKUlT_T0_E_clISt17integral_constantIbLb1EESW_IbLb0EEEEDaSS_ST_EUlSS_E_NS1_11comp_targetILNS1_3genE10ELNS1_11target_archE1200ELNS1_3gpuE4ELNS1_3repE0EEENS1_30default_config_static_selectorELNS0_4arch9wavefront6targetE1EEEvT1_
    .private_segment_fixed_size: 0
    .sgpr_count:     4
    .sgpr_spill_count: 0
    .symbol:         _ZN7rocprim17ROCPRIM_400000_NS6detail17trampoline_kernelINS0_14default_configENS1_20scan_config_selectorItEEZZNS1_9scan_implILNS1_25lookback_scan_determinismE0ELb1ELb1ES3_N6thrust23THRUST_200600_302600_NS6detail15normal_iteratorINS9_10device_ptrItEEEENS9_16discard_iteratorINS9_11use_defaultEEEtNS9_4plusIvEEtEEDaPvRmT3_T4_T5_mT6_P12ihipStream_tbENKUlT_T0_E_clISt17integral_constantIbLb1EESW_IbLb0EEEEDaSS_ST_EUlSS_E_NS1_11comp_targetILNS1_3genE10ELNS1_11target_archE1200ELNS1_3gpuE4ELNS1_3repE0EEENS1_30default_config_static_selectorELNS0_4arch9wavefront6targetE1EEEvT1_.kd
    .uniform_work_group_size: 1
    .uses_dynamic_stack: false
    .vgpr_count:     0
    .vgpr_spill_count: 0
    .wavefront_size: 64
  - .agpr_count:     0
    .args:
      - .offset:         0
        .size:           104
        .value_kind:     by_value
    .group_segment_fixed_size: 0
    .kernarg_segment_align: 8
    .kernarg_segment_size: 104
    .language:       OpenCL C
    .language_version:
      - 2
      - 0
    .max_flat_workgroup_size: 64
    .name:           _ZN7rocprim17ROCPRIM_400000_NS6detail17trampoline_kernelINS0_14default_configENS1_20scan_config_selectorItEEZZNS1_9scan_implILNS1_25lookback_scan_determinismE0ELb1ELb1ES3_N6thrust23THRUST_200600_302600_NS6detail15normal_iteratorINS9_10device_ptrItEEEENS9_16discard_iteratorINS9_11use_defaultEEEtNS9_4plusIvEEtEEDaPvRmT3_T4_T5_mT6_P12ihipStream_tbENKUlT_T0_E_clISt17integral_constantIbLb1EESW_IbLb0EEEEDaSS_ST_EUlSS_E_NS1_11comp_targetILNS1_3genE9ELNS1_11target_archE1100ELNS1_3gpuE3ELNS1_3repE0EEENS1_30default_config_static_selectorELNS0_4arch9wavefront6targetE1EEEvT1_
    .private_segment_fixed_size: 0
    .sgpr_count:     4
    .sgpr_spill_count: 0
    .symbol:         _ZN7rocprim17ROCPRIM_400000_NS6detail17trampoline_kernelINS0_14default_configENS1_20scan_config_selectorItEEZZNS1_9scan_implILNS1_25lookback_scan_determinismE0ELb1ELb1ES3_N6thrust23THRUST_200600_302600_NS6detail15normal_iteratorINS9_10device_ptrItEEEENS9_16discard_iteratorINS9_11use_defaultEEEtNS9_4plusIvEEtEEDaPvRmT3_T4_T5_mT6_P12ihipStream_tbENKUlT_T0_E_clISt17integral_constantIbLb1EESW_IbLb0EEEEDaSS_ST_EUlSS_E_NS1_11comp_targetILNS1_3genE9ELNS1_11target_archE1100ELNS1_3gpuE3ELNS1_3repE0EEENS1_30default_config_static_selectorELNS0_4arch9wavefront6targetE1EEEvT1_.kd
    .uniform_work_group_size: 1
    .uses_dynamic_stack: false
    .vgpr_count:     0
    .vgpr_spill_count: 0
    .wavefront_size: 64
  - .agpr_count:     0
    .args:
      - .offset:         0
        .size:           104
        .value_kind:     by_value
    .group_segment_fixed_size: 0
    .kernarg_segment_align: 8
    .kernarg_segment_size: 104
    .language:       OpenCL C
    .language_version:
      - 2
      - 0
    .max_flat_workgroup_size: 64
    .name:           _ZN7rocprim17ROCPRIM_400000_NS6detail17trampoline_kernelINS0_14default_configENS1_20scan_config_selectorItEEZZNS1_9scan_implILNS1_25lookback_scan_determinismE0ELb1ELb1ES3_N6thrust23THRUST_200600_302600_NS6detail15normal_iteratorINS9_10device_ptrItEEEENS9_16discard_iteratorINS9_11use_defaultEEEtNS9_4plusIvEEtEEDaPvRmT3_T4_T5_mT6_P12ihipStream_tbENKUlT_T0_E_clISt17integral_constantIbLb1EESW_IbLb0EEEEDaSS_ST_EUlSS_E_NS1_11comp_targetILNS1_3genE8ELNS1_11target_archE1030ELNS1_3gpuE2ELNS1_3repE0EEENS1_30default_config_static_selectorELNS0_4arch9wavefront6targetE1EEEvT1_
    .private_segment_fixed_size: 0
    .sgpr_count:     4
    .sgpr_spill_count: 0
    .symbol:         _ZN7rocprim17ROCPRIM_400000_NS6detail17trampoline_kernelINS0_14default_configENS1_20scan_config_selectorItEEZZNS1_9scan_implILNS1_25lookback_scan_determinismE0ELb1ELb1ES3_N6thrust23THRUST_200600_302600_NS6detail15normal_iteratorINS9_10device_ptrItEEEENS9_16discard_iteratorINS9_11use_defaultEEEtNS9_4plusIvEEtEEDaPvRmT3_T4_T5_mT6_P12ihipStream_tbENKUlT_T0_E_clISt17integral_constantIbLb1EESW_IbLb0EEEEDaSS_ST_EUlSS_E_NS1_11comp_targetILNS1_3genE8ELNS1_11target_archE1030ELNS1_3gpuE2ELNS1_3repE0EEENS1_30default_config_static_selectorELNS0_4arch9wavefront6targetE1EEEvT1_.kd
    .uniform_work_group_size: 1
    .uses_dynamic_stack: false
    .vgpr_count:     0
    .vgpr_spill_count: 0
    .wavefront_size: 64
  - .agpr_count:     0
    .args:
      - .offset:         0
        .size:           40
        .value_kind:     by_value
    .group_segment_fixed_size: 0
    .kernarg_segment_align: 8
    .kernarg_segment_size: 40
    .language:       OpenCL C
    .language_version:
      - 2
      - 0
    .max_flat_workgroup_size: 128
    .name:           _ZN7rocprim17ROCPRIM_400000_NS6detail17trampoline_kernelINS0_14default_configENS1_20scan_config_selectorItEEZZNS1_9scan_implILNS1_25lookback_scan_determinismE0ELb1ELb1ES3_N6thrust23THRUST_200600_302600_NS6detail15normal_iteratorINS9_10device_ptrItEEEENS9_16discard_iteratorINS9_11use_defaultEEEtNS9_4plusIvEEtEEDaPvRmT3_T4_T5_mT6_P12ihipStream_tbENKUlT_T0_E_clISt17integral_constantIbLb1EESW_IbLb0EEEEDaSS_ST_EUlSS_E0_NS1_11comp_targetILNS1_3genE0ELNS1_11target_archE4294967295ELNS1_3gpuE0ELNS1_3repE0EEENS1_30default_config_static_selectorELNS0_4arch9wavefront6targetE1EEEvT1_
    .private_segment_fixed_size: 0
    .sgpr_count:     4
    .sgpr_spill_count: 0
    .symbol:         _ZN7rocprim17ROCPRIM_400000_NS6detail17trampoline_kernelINS0_14default_configENS1_20scan_config_selectorItEEZZNS1_9scan_implILNS1_25lookback_scan_determinismE0ELb1ELb1ES3_N6thrust23THRUST_200600_302600_NS6detail15normal_iteratorINS9_10device_ptrItEEEENS9_16discard_iteratorINS9_11use_defaultEEEtNS9_4plusIvEEtEEDaPvRmT3_T4_T5_mT6_P12ihipStream_tbENKUlT_T0_E_clISt17integral_constantIbLb1EESW_IbLb0EEEEDaSS_ST_EUlSS_E0_NS1_11comp_targetILNS1_3genE0ELNS1_11target_archE4294967295ELNS1_3gpuE0ELNS1_3repE0EEENS1_30default_config_static_selectorELNS0_4arch9wavefront6targetE1EEEvT1_.kd
    .uniform_work_group_size: 1
    .uses_dynamic_stack: false
    .vgpr_count:     0
    .vgpr_spill_count: 0
    .wavefront_size: 64
  - .agpr_count:     0
    .args:
      - .offset:         0
        .size:           40
        .value_kind:     by_value
    .group_segment_fixed_size: 0
    .kernarg_segment_align: 8
    .kernarg_segment_size: 40
    .language:       OpenCL C
    .language_version:
      - 2
      - 0
    .max_flat_workgroup_size: 256
    .name:           _ZN7rocprim17ROCPRIM_400000_NS6detail17trampoline_kernelINS0_14default_configENS1_20scan_config_selectorItEEZZNS1_9scan_implILNS1_25lookback_scan_determinismE0ELb1ELb1ES3_N6thrust23THRUST_200600_302600_NS6detail15normal_iteratorINS9_10device_ptrItEEEENS9_16discard_iteratorINS9_11use_defaultEEEtNS9_4plusIvEEtEEDaPvRmT3_T4_T5_mT6_P12ihipStream_tbENKUlT_T0_E_clISt17integral_constantIbLb1EESW_IbLb0EEEEDaSS_ST_EUlSS_E0_NS1_11comp_targetILNS1_3genE5ELNS1_11target_archE942ELNS1_3gpuE9ELNS1_3repE0EEENS1_30default_config_static_selectorELNS0_4arch9wavefront6targetE1EEEvT1_
    .private_segment_fixed_size: 0
    .sgpr_count:     4
    .sgpr_spill_count: 0
    .symbol:         _ZN7rocprim17ROCPRIM_400000_NS6detail17trampoline_kernelINS0_14default_configENS1_20scan_config_selectorItEEZZNS1_9scan_implILNS1_25lookback_scan_determinismE0ELb1ELb1ES3_N6thrust23THRUST_200600_302600_NS6detail15normal_iteratorINS9_10device_ptrItEEEENS9_16discard_iteratorINS9_11use_defaultEEEtNS9_4plusIvEEtEEDaPvRmT3_T4_T5_mT6_P12ihipStream_tbENKUlT_T0_E_clISt17integral_constantIbLb1EESW_IbLb0EEEEDaSS_ST_EUlSS_E0_NS1_11comp_targetILNS1_3genE5ELNS1_11target_archE942ELNS1_3gpuE9ELNS1_3repE0EEENS1_30default_config_static_selectorELNS0_4arch9wavefront6targetE1EEEvT1_.kd
    .uniform_work_group_size: 1
    .uses_dynamic_stack: false
    .vgpr_count:     0
    .vgpr_spill_count: 0
    .wavefront_size: 64
  - .agpr_count:     0
    .args:
      - .offset:         0
        .size:           40
        .value_kind:     by_value
    .group_segment_fixed_size: 3072
    .kernarg_segment_align: 8
    .kernarg_segment_size: 40
    .language:       OpenCL C
    .language_version:
      - 2
      - 0
    .max_flat_workgroup_size: 64
    .name:           _ZN7rocprim17ROCPRIM_400000_NS6detail17trampoline_kernelINS0_14default_configENS1_20scan_config_selectorItEEZZNS1_9scan_implILNS1_25lookback_scan_determinismE0ELb1ELb1ES3_N6thrust23THRUST_200600_302600_NS6detail15normal_iteratorINS9_10device_ptrItEEEENS9_16discard_iteratorINS9_11use_defaultEEEtNS9_4plusIvEEtEEDaPvRmT3_T4_T5_mT6_P12ihipStream_tbENKUlT_T0_E_clISt17integral_constantIbLb1EESW_IbLb0EEEEDaSS_ST_EUlSS_E0_NS1_11comp_targetILNS1_3genE4ELNS1_11target_archE910ELNS1_3gpuE8ELNS1_3repE0EEENS1_30default_config_static_selectorELNS0_4arch9wavefront6targetE1EEEvT1_
    .private_segment_fixed_size: 0
    .sgpr_count:     12
    .sgpr_spill_count: 0
    .symbol:         _ZN7rocprim17ROCPRIM_400000_NS6detail17trampoline_kernelINS0_14default_configENS1_20scan_config_selectorItEEZZNS1_9scan_implILNS1_25lookback_scan_determinismE0ELb1ELb1ES3_N6thrust23THRUST_200600_302600_NS6detail15normal_iteratorINS9_10device_ptrItEEEENS9_16discard_iteratorINS9_11use_defaultEEEtNS9_4plusIvEEtEEDaPvRmT3_T4_T5_mT6_P12ihipStream_tbENKUlT_T0_E_clISt17integral_constantIbLb1EESW_IbLb0EEEEDaSS_ST_EUlSS_E0_NS1_11comp_targetILNS1_3genE4ELNS1_11target_archE910ELNS1_3gpuE8ELNS1_3repE0EEENS1_30default_config_static_selectorELNS0_4arch9wavefront6targetE1EEEvT1_.kd
    .uniform_work_group_size: 1
    .uses_dynamic_stack: false
    .vgpr_count:     28
    .vgpr_spill_count: 0
    .wavefront_size: 64
  - .agpr_count:     0
    .args:
      - .offset:         0
        .size:           40
        .value_kind:     by_value
    .group_segment_fixed_size: 0
    .kernarg_segment_align: 8
    .kernarg_segment_size: 40
    .language:       OpenCL C
    .language_version:
      - 2
      - 0
    .max_flat_workgroup_size: 128
    .name:           _ZN7rocprim17ROCPRIM_400000_NS6detail17trampoline_kernelINS0_14default_configENS1_20scan_config_selectorItEEZZNS1_9scan_implILNS1_25lookback_scan_determinismE0ELb1ELb1ES3_N6thrust23THRUST_200600_302600_NS6detail15normal_iteratorINS9_10device_ptrItEEEENS9_16discard_iteratorINS9_11use_defaultEEEtNS9_4plusIvEEtEEDaPvRmT3_T4_T5_mT6_P12ihipStream_tbENKUlT_T0_E_clISt17integral_constantIbLb1EESW_IbLb0EEEEDaSS_ST_EUlSS_E0_NS1_11comp_targetILNS1_3genE3ELNS1_11target_archE908ELNS1_3gpuE7ELNS1_3repE0EEENS1_30default_config_static_selectorELNS0_4arch9wavefront6targetE1EEEvT1_
    .private_segment_fixed_size: 0
    .sgpr_count:     4
    .sgpr_spill_count: 0
    .symbol:         _ZN7rocprim17ROCPRIM_400000_NS6detail17trampoline_kernelINS0_14default_configENS1_20scan_config_selectorItEEZZNS1_9scan_implILNS1_25lookback_scan_determinismE0ELb1ELb1ES3_N6thrust23THRUST_200600_302600_NS6detail15normal_iteratorINS9_10device_ptrItEEEENS9_16discard_iteratorINS9_11use_defaultEEEtNS9_4plusIvEEtEEDaPvRmT3_T4_T5_mT6_P12ihipStream_tbENKUlT_T0_E_clISt17integral_constantIbLb1EESW_IbLb0EEEEDaSS_ST_EUlSS_E0_NS1_11comp_targetILNS1_3genE3ELNS1_11target_archE908ELNS1_3gpuE7ELNS1_3repE0EEENS1_30default_config_static_selectorELNS0_4arch9wavefront6targetE1EEEvT1_.kd
    .uniform_work_group_size: 1
    .uses_dynamic_stack: false
    .vgpr_count:     0
    .vgpr_spill_count: 0
    .wavefront_size: 64
  - .agpr_count:     0
    .args:
      - .offset:         0
        .size:           40
        .value_kind:     by_value
    .group_segment_fixed_size: 0
    .kernarg_segment_align: 8
    .kernarg_segment_size: 40
    .language:       OpenCL C
    .language_version:
      - 2
      - 0
    .max_flat_workgroup_size: 256
    .name:           _ZN7rocprim17ROCPRIM_400000_NS6detail17trampoline_kernelINS0_14default_configENS1_20scan_config_selectorItEEZZNS1_9scan_implILNS1_25lookback_scan_determinismE0ELb1ELb1ES3_N6thrust23THRUST_200600_302600_NS6detail15normal_iteratorINS9_10device_ptrItEEEENS9_16discard_iteratorINS9_11use_defaultEEEtNS9_4plusIvEEtEEDaPvRmT3_T4_T5_mT6_P12ihipStream_tbENKUlT_T0_E_clISt17integral_constantIbLb1EESW_IbLb0EEEEDaSS_ST_EUlSS_E0_NS1_11comp_targetILNS1_3genE2ELNS1_11target_archE906ELNS1_3gpuE6ELNS1_3repE0EEENS1_30default_config_static_selectorELNS0_4arch9wavefront6targetE1EEEvT1_
    .private_segment_fixed_size: 0
    .sgpr_count:     4
    .sgpr_spill_count: 0
    .symbol:         _ZN7rocprim17ROCPRIM_400000_NS6detail17trampoline_kernelINS0_14default_configENS1_20scan_config_selectorItEEZZNS1_9scan_implILNS1_25lookback_scan_determinismE0ELb1ELb1ES3_N6thrust23THRUST_200600_302600_NS6detail15normal_iteratorINS9_10device_ptrItEEEENS9_16discard_iteratorINS9_11use_defaultEEEtNS9_4plusIvEEtEEDaPvRmT3_T4_T5_mT6_P12ihipStream_tbENKUlT_T0_E_clISt17integral_constantIbLb1EESW_IbLb0EEEEDaSS_ST_EUlSS_E0_NS1_11comp_targetILNS1_3genE2ELNS1_11target_archE906ELNS1_3gpuE6ELNS1_3repE0EEENS1_30default_config_static_selectorELNS0_4arch9wavefront6targetE1EEEvT1_.kd
    .uniform_work_group_size: 1
    .uses_dynamic_stack: false
    .vgpr_count:     0
    .vgpr_spill_count: 0
    .wavefront_size: 64
  - .agpr_count:     0
    .args:
      - .offset:         0
        .size:           40
        .value_kind:     by_value
    .group_segment_fixed_size: 0
    .kernarg_segment_align: 8
    .kernarg_segment_size: 40
    .language:       OpenCL C
    .language_version:
      - 2
      - 0
    .max_flat_workgroup_size: 256
    .name:           _ZN7rocprim17ROCPRIM_400000_NS6detail17trampoline_kernelINS0_14default_configENS1_20scan_config_selectorItEEZZNS1_9scan_implILNS1_25lookback_scan_determinismE0ELb1ELb1ES3_N6thrust23THRUST_200600_302600_NS6detail15normal_iteratorINS9_10device_ptrItEEEENS9_16discard_iteratorINS9_11use_defaultEEEtNS9_4plusIvEEtEEDaPvRmT3_T4_T5_mT6_P12ihipStream_tbENKUlT_T0_E_clISt17integral_constantIbLb1EESW_IbLb0EEEEDaSS_ST_EUlSS_E0_NS1_11comp_targetILNS1_3genE10ELNS1_11target_archE1201ELNS1_3gpuE5ELNS1_3repE0EEENS1_30default_config_static_selectorELNS0_4arch9wavefront6targetE1EEEvT1_
    .private_segment_fixed_size: 0
    .sgpr_count:     4
    .sgpr_spill_count: 0
    .symbol:         _ZN7rocprim17ROCPRIM_400000_NS6detail17trampoline_kernelINS0_14default_configENS1_20scan_config_selectorItEEZZNS1_9scan_implILNS1_25lookback_scan_determinismE0ELb1ELb1ES3_N6thrust23THRUST_200600_302600_NS6detail15normal_iteratorINS9_10device_ptrItEEEENS9_16discard_iteratorINS9_11use_defaultEEEtNS9_4plusIvEEtEEDaPvRmT3_T4_T5_mT6_P12ihipStream_tbENKUlT_T0_E_clISt17integral_constantIbLb1EESW_IbLb0EEEEDaSS_ST_EUlSS_E0_NS1_11comp_targetILNS1_3genE10ELNS1_11target_archE1201ELNS1_3gpuE5ELNS1_3repE0EEENS1_30default_config_static_selectorELNS0_4arch9wavefront6targetE1EEEvT1_.kd
    .uniform_work_group_size: 1
    .uses_dynamic_stack: false
    .vgpr_count:     0
    .vgpr_spill_count: 0
    .wavefront_size: 64
  - .agpr_count:     0
    .args:
      - .offset:         0
        .size:           40
        .value_kind:     by_value
    .group_segment_fixed_size: 0
    .kernarg_segment_align: 8
    .kernarg_segment_size: 40
    .language:       OpenCL C
    .language_version:
      - 2
      - 0
    .max_flat_workgroup_size: 256
    .name:           _ZN7rocprim17ROCPRIM_400000_NS6detail17trampoline_kernelINS0_14default_configENS1_20scan_config_selectorItEEZZNS1_9scan_implILNS1_25lookback_scan_determinismE0ELb1ELb1ES3_N6thrust23THRUST_200600_302600_NS6detail15normal_iteratorINS9_10device_ptrItEEEENS9_16discard_iteratorINS9_11use_defaultEEEtNS9_4plusIvEEtEEDaPvRmT3_T4_T5_mT6_P12ihipStream_tbENKUlT_T0_E_clISt17integral_constantIbLb1EESW_IbLb0EEEEDaSS_ST_EUlSS_E0_NS1_11comp_targetILNS1_3genE10ELNS1_11target_archE1200ELNS1_3gpuE4ELNS1_3repE0EEENS1_30default_config_static_selectorELNS0_4arch9wavefront6targetE1EEEvT1_
    .private_segment_fixed_size: 0
    .sgpr_count:     4
    .sgpr_spill_count: 0
    .symbol:         _ZN7rocprim17ROCPRIM_400000_NS6detail17trampoline_kernelINS0_14default_configENS1_20scan_config_selectorItEEZZNS1_9scan_implILNS1_25lookback_scan_determinismE0ELb1ELb1ES3_N6thrust23THRUST_200600_302600_NS6detail15normal_iteratorINS9_10device_ptrItEEEENS9_16discard_iteratorINS9_11use_defaultEEEtNS9_4plusIvEEtEEDaPvRmT3_T4_T5_mT6_P12ihipStream_tbENKUlT_T0_E_clISt17integral_constantIbLb1EESW_IbLb0EEEEDaSS_ST_EUlSS_E0_NS1_11comp_targetILNS1_3genE10ELNS1_11target_archE1200ELNS1_3gpuE4ELNS1_3repE0EEENS1_30default_config_static_selectorELNS0_4arch9wavefront6targetE1EEEvT1_.kd
    .uniform_work_group_size: 1
    .uses_dynamic_stack: false
    .vgpr_count:     0
    .vgpr_spill_count: 0
    .wavefront_size: 64
  - .agpr_count:     0
    .args:
      - .offset:         0
        .size:           40
        .value_kind:     by_value
    .group_segment_fixed_size: 0
    .kernarg_segment_align: 8
    .kernarg_segment_size: 40
    .language:       OpenCL C
    .language_version:
      - 2
      - 0
    .max_flat_workgroup_size: 64
    .name:           _ZN7rocprim17ROCPRIM_400000_NS6detail17trampoline_kernelINS0_14default_configENS1_20scan_config_selectorItEEZZNS1_9scan_implILNS1_25lookback_scan_determinismE0ELb1ELb1ES3_N6thrust23THRUST_200600_302600_NS6detail15normal_iteratorINS9_10device_ptrItEEEENS9_16discard_iteratorINS9_11use_defaultEEEtNS9_4plusIvEEtEEDaPvRmT3_T4_T5_mT6_P12ihipStream_tbENKUlT_T0_E_clISt17integral_constantIbLb1EESW_IbLb0EEEEDaSS_ST_EUlSS_E0_NS1_11comp_targetILNS1_3genE9ELNS1_11target_archE1100ELNS1_3gpuE3ELNS1_3repE0EEENS1_30default_config_static_selectorELNS0_4arch9wavefront6targetE1EEEvT1_
    .private_segment_fixed_size: 0
    .sgpr_count:     4
    .sgpr_spill_count: 0
    .symbol:         _ZN7rocprim17ROCPRIM_400000_NS6detail17trampoline_kernelINS0_14default_configENS1_20scan_config_selectorItEEZZNS1_9scan_implILNS1_25lookback_scan_determinismE0ELb1ELb1ES3_N6thrust23THRUST_200600_302600_NS6detail15normal_iteratorINS9_10device_ptrItEEEENS9_16discard_iteratorINS9_11use_defaultEEEtNS9_4plusIvEEtEEDaPvRmT3_T4_T5_mT6_P12ihipStream_tbENKUlT_T0_E_clISt17integral_constantIbLb1EESW_IbLb0EEEEDaSS_ST_EUlSS_E0_NS1_11comp_targetILNS1_3genE9ELNS1_11target_archE1100ELNS1_3gpuE3ELNS1_3repE0EEENS1_30default_config_static_selectorELNS0_4arch9wavefront6targetE1EEEvT1_.kd
    .uniform_work_group_size: 1
    .uses_dynamic_stack: false
    .vgpr_count:     0
    .vgpr_spill_count: 0
    .wavefront_size: 64
  - .agpr_count:     0
    .args:
      - .offset:         0
        .size:           40
        .value_kind:     by_value
    .group_segment_fixed_size: 0
    .kernarg_segment_align: 8
    .kernarg_segment_size: 40
    .language:       OpenCL C
    .language_version:
      - 2
      - 0
    .max_flat_workgroup_size: 64
    .name:           _ZN7rocprim17ROCPRIM_400000_NS6detail17trampoline_kernelINS0_14default_configENS1_20scan_config_selectorItEEZZNS1_9scan_implILNS1_25lookback_scan_determinismE0ELb1ELb1ES3_N6thrust23THRUST_200600_302600_NS6detail15normal_iteratorINS9_10device_ptrItEEEENS9_16discard_iteratorINS9_11use_defaultEEEtNS9_4plusIvEEtEEDaPvRmT3_T4_T5_mT6_P12ihipStream_tbENKUlT_T0_E_clISt17integral_constantIbLb1EESW_IbLb0EEEEDaSS_ST_EUlSS_E0_NS1_11comp_targetILNS1_3genE8ELNS1_11target_archE1030ELNS1_3gpuE2ELNS1_3repE0EEENS1_30default_config_static_selectorELNS0_4arch9wavefront6targetE1EEEvT1_
    .private_segment_fixed_size: 0
    .sgpr_count:     4
    .sgpr_spill_count: 0
    .symbol:         _ZN7rocprim17ROCPRIM_400000_NS6detail17trampoline_kernelINS0_14default_configENS1_20scan_config_selectorItEEZZNS1_9scan_implILNS1_25lookback_scan_determinismE0ELb1ELb1ES3_N6thrust23THRUST_200600_302600_NS6detail15normal_iteratorINS9_10device_ptrItEEEENS9_16discard_iteratorINS9_11use_defaultEEEtNS9_4plusIvEEtEEDaPvRmT3_T4_T5_mT6_P12ihipStream_tbENKUlT_T0_E_clISt17integral_constantIbLb1EESW_IbLb0EEEEDaSS_ST_EUlSS_E0_NS1_11comp_targetILNS1_3genE8ELNS1_11target_archE1030ELNS1_3gpuE2ELNS1_3repE0EEENS1_30default_config_static_selectorELNS0_4arch9wavefront6targetE1EEEvT1_.kd
    .uniform_work_group_size: 1
    .uses_dynamic_stack: false
    .vgpr_count:     0
    .vgpr_spill_count: 0
    .wavefront_size: 64
  - .agpr_count:     0
    .args:
      - .offset:         0
        .size:           104
        .value_kind:     by_value
    .group_segment_fixed_size: 0
    .kernarg_segment_align: 8
    .kernarg_segment_size: 104
    .language:       OpenCL C
    .language_version:
      - 2
      - 0
    .max_flat_workgroup_size: 128
    .name:           _ZN7rocprim17ROCPRIM_400000_NS6detail17trampoline_kernelINS0_14default_configENS1_20scan_config_selectorItEEZZNS1_9scan_implILNS1_25lookback_scan_determinismE0ELb1ELb1ES3_N6thrust23THRUST_200600_302600_NS6detail15normal_iteratorINS9_10device_ptrItEEEENS9_16discard_iteratorINS9_11use_defaultEEEtNS9_4plusIvEEtEEDaPvRmT3_T4_T5_mT6_P12ihipStream_tbENKUlT_T0_E_clISt17integral_constantIbLb0EESW_IbLb1EEEEDaSS_ST_EUlSS_E_NS1_11comp_targetILNS1_3genE0ELNS1_11target_archE4294967295ELNS1_3gpuE0ELNS1_3repE0EEENS1_30default_config_static_selectorELNS0_4arch9wavefront6targetE1EEEvT1_
    .private_segment_fixed_size: 0
    .sgpr_count:     4
    .sgpr_spill_count: 0
    .symbol:         _ZN7rocprim17ROCPRIM_400000_NS6detail17trampoline_kernelINS0_14default_configENS1_20scan_config_selectorItEEZZNS1_9scan_implILNS1_25lookback_scan_determinismE0ELb1ELb1ES3_N6thrust23THRUST_200600_302600_NS6detail15normal_iteratorINS9_10device_ptrItEEEENS9_16discard_iteratorINS9_11use_defaultEEEtNS9_4plusIvEEtEEDaPvRmT3_T4_T5_mT6_P12ihipStream_tbENKUlT_T0_E_clISt17integral_constantIbLb0EESW_IbLb1EEEEDaSS_ST_EUlSS_E_NS1_11comp_targetILNS1_3genE0ELNS1_11target_archE4294967295ELNS1_3gpuE0ELNS1_3repE0EEENS1_30default_config_static_selectorELNS0_4arch9wavefront6targetE1EEEvT1_.kd
    .uniform_work_group_size: 1
    .uses_dynamic_stack: false
    .vgpr_count:     0
    .vgpr_spill_count: 0
    .wavefront_size: 64
  - .agpr_count:     0
    .args:
      - .offset:         0
        .size:           104
        .value_kind:     by_value
    .group_segment_fixed_size: 0
    .kernarg_segment_align: 8
    .kernarg_segment_size: 104
    .language:       OpenCL C
    .language_version:
      - 2
      - 0
    .max_flat_workgroup_size: 256
    .name:           _ZN7rocprim17ROCPRIM_400000_NS6detail17trampoline_kernelINS0_14default_configENS1_20scan_config_selectorItEEZZNS1_9scan_implILNS1_25lookback_scan_determinismE0ELb1ELb1ES3_N6thrust23THRUST_200600_302600_NS6detail15normal_iteratorINS9_10device_ptrItEEEENS9_16discard_iteratorINS9_11use_defaultEEEtNS9_4plusIvEEtEEDaPvRmT3_T4_T5_mT6_P12ihipStream_tbENKUlT_T0_E_clISt17integral_constantIbLb0EESW_IbLb1EEEEDaSS_ST_EUlSS_E_NS1_11comp_targetILNS1_3genE5ELNS1_11target_archE942ELNS1_3gpuE9ELNS1_3repE0EEENS1_30default_config_static_selectorELNS0_4arch9wavefront6targetE1EEEvT1_
    .private_segment_fixed_size: 0
    .sgpr_count:     4
    .sgpr_spill_count: 0
    .symbol:         _ZN7rocprim17ROCPRIM_400000_NS6detail17trampoline_kernelINS0_14default_configENS1_20scan_config_selectorItEEZZNS1_9scan_implILNS1_25lookback_scan_determinismE0ELb1ELb1ES3_N6thrust23THRUST_200600_302600_NS6detail15normal_iteratorINS9_10device_ptrItEEEENS9_16discard_iteratorINS9_11use_defaultEEEtNS9_4plusIvEEtEEDaPvRmT3_T4_T5_mT6_P12ihipStream_tbENKUlT_T0_E_clISt17integral_constantIbLb0EESW_IbLb1EEEEDaSS_ST_EUlSS_E_NS1_11comp_targetILNS1_3genE5ELNS1_11target_archE942ELNS1_3gpuE9ELNS1_3repE0EEENS1_30default_config_static_selectorELNS0_4arch9wavefront6targetE1EEEvT1_.kd
    .uniform_work_group_size: 1
    .uses_dynamic_stack: false
    .vgpr_count:     0
    .vgpr_spill_count: 0
    .wavefront_size: 64
  - .agpr_count:     0
    .args:
      - .offset:         0
        .size:           104
        .value_kind:     by_value
    .group_segment_fixed_size: 3072
    .kernarg_segment_align: 8
    .kernarg_segment_size: 104
    .language:       OpenCL C
    .language_version:
      - 2
      - 0
    .max_flat_workgroup_size: 64
    .name:           _ZN7rocprim17ROCPRIM_400000_NS6detail17trampoline_kernelINS0_14default_configENS1_20scan_config_selectorItEEZZNS1_9scan_implILNS1_25lookback_scan_determinismE0ELb1ELb1ES3_N6thrust23THRUST_200600_302600_NS6detail15normal_iteratorINS9_10device_ptrItEEEENS9_16discard_iteratorINS9_11use_defaultEEEtNS9_4plusIvEEtEEDaPvRmT3_T4_T5_mT6_P12ihipStream_tbENKUlT_T0_E_clISt17integral_constantIbLb0EESW_IbLb1EEEEDaSS_ST_EUlSS_E_NS1_11comp_targetILNS1_3genE4ELNS1_11target_archE910ELNS1_3gpuE8ELNS1_3repE0EEENS1_30default_config_static_selectorELNS0_4arch9wavefront6targetE1EEEvT1_
    .private_segment_fixed_size: 0
    .sgpr_count:     34
    .sgpr_spill_count: 0
    .symbol:         _ZN7rocprim17ROCPRIM_400000_NS6detail17trampoline_kernelINS0_14default_configENS1_20scan_config_selectorItEEZZNS1_9scan_implILNS1_25lookback_scan_determinismE0ELb1ELb1ES3_N6thrust23THRUST_200600_302600_NS6detail15normal_iteratorINS9_10device_ptrItEEEENS9_16discard_iteratorINS9_11use_defaultEEEtNS9_4plusIvEEtEEDaPvRmT3_T4_T5_mT6_P12ihipStream_tbENKUlT_T0_E_clISt17integral_constantIbLb0EESW_IbLb1EEEEDaSS_ST_EUlSS_E_NS1_11comp_targetILNS1_3genE4ELNS1_11target_archE910ELNS1_3gpuE8ELNS1_3repE0EEENS1_30default_config_static_selectorELNS0_4arch9wavefront6targetE1EEEvT1_.kd
    .uniform_work_group_size: 1
    .uses_dynamic_stack: false
    .vgpr_count:     44
    .vgpr_spill_count: 0
    .wavefront_size: 64
  - .agpr_count:     0
    .args:
      - .offset:         0
        .size:           104
        .value_kind:     by_value
    .group_segment_fixed_size: 0
    .kernarg_segment_align: 8
    .kernarg_segment_size: 104
    .language:       OpenCL C
    .language_version:
      - 2
      - 0
    .max_flat_workgroup_size: 128
    .name:           _ZN7rocprim17ROCPRIM_400000_NS6detail17trampoline_kernelINS0_14default_configENS1_20scan_config_selectorItEEZZNS1_9scan_implILNS1_25lookback_scan_determinismE0ELb1ELb1ES3_N6thrust23THRUST_200600_302600_NS6detail15normal_iteratorINS9_10device_ptrItEEEENS9_16discard_iteratorINS9_11use_defaultEEEtNS9_4plusIvEEtEEDaPvRmT3_T4_T5_mT6_P12ihipStream_tbENKUlT_T0_E_clISt17integral_constantIbLb0EESW_IbLb1EEEEDaSS_ST_EUlSS_E_NS1_11comp_targetILNS1_3genE3ELNS1_11target_archE908ELNS1_3gpuE7ELNS1_3repE0EEENS1_30default_config_static_selectorELNS0_4arch9wavefront6targetE1EEEvT1_
    .private_segment_fixed_size: 0
    .sgpr_count:     4
    .sgpr_spill_count: 0
    .symbol:         _ZN7rocprim17ROCPRIM_400000_NS6detail17trampoline_kernelINS0_14default_configENS1_20scan_config_selectorItEEZZNS1_9scan_implILNS1_25lookback_scan_determinismE0ELb1ELb1ES3_N6thrust23THRUST_200600_302600_NS6detail15normal_iteratorINS9_10device_ptrItEEEENS9_16discard_iteratorINS9_11use_defaultEEEtNS9_4plusIvEEtEEDaPvRmT3_T4_T5_mT6_P12ihipStream_tbENKUlT_T0_E_clISt17integral_constantIbLb0EESW_IbLb1EEEEDaSS_ST_EUlSS_E_NS1_11comp_targetILNS1_3genE3ELNS1_11target_archE908ELNS1_3gpuE7ELNS1_3repE0EEENS1_30default_config_static_selectorELNS0_4arch9wavefront6targetE1EEEvT1_.kd
    .uniform_work_group_size: 1
    .uses_dynamic_stack: false
    .vgpr_count:     0
    .vgpr_spill_count: 0
    .wavefront_size: 64
  - .agpr_count:     0
    .args:
      - .offset:         0
        .size:           104
        .value_kind:     by_value
    .group_segment_fixed_size: 0
    .kernarg_segment_align: 8
    .kernarg_segment_size: 104
    .language:       OpenCL C
    .language_version:
      - 2
      - 0
    .max_flat_workgroup_size: 256
    .name:           _ZN7rocprim17ROCPRIM_400000_NS6detail17trampoline_kernelINS0_14default_configENS1_20scan_config_selectorItEEZZNS1_9scan_implILNS1_25lookback_scan_determinismE0ELb1ELb1ES3_N6thrust23THRUST_200600_302600_NS6detail15normal_iteratorINS9_10device_ptrItEEEENS9_16discard_iteratorINS9_11use_defaultEEEtNS9_4plusIvEEtEEDaPvRmT3_T4_T5_mT6_P12ihipStream_tbENKUlT_T0_E_clISt17integral_constantIbLb0EESW_IbLb1EEEEDaSS_ST_EUlSS_E_NS1_11comp_targetILNS1_3genE2ELNS1_11target_archE906ELNS1_3gpuE6ELNS1_3repE0EEENS1_30default_config_static_selectorELNS0_4arch9wavefront6targetE1EEEvT1_
    .private_segment_fixed_size: 0
    .sgpr_count:     4
    .sgpr_spill_count: 0
    .symbol:         _ZN7rocprim17ROCPRIM_400000_NS6detail17trampoline_kernelINS0_14default_configENS1_20scan_config_selectorItEEZZNS1_9scan_implILNS1_25lookback_scan_determinismE0ELb1ELb1ES3_N6thrust23THRUST_200600_302600_NS6detail15normal_iteratorINS9_10device_ptrItEEEENS9_16discard_iteratorINS9_11use_defaultEEEtNS9_4plusIvEEtEEDaPvRmT3_T4_T5_mT6_P12ihipStream_tbENKUlT_T0_E_clISt17integral_constantIbLb0EESW_IbLb1EEEEDaSS_ST_EUlSS_E_NS1_11comp_targetILNS1_3genE2ELNS1_11target_archE906ELNS1_3gpuE6ELNS1_3repE0EEENS1_30default_config_static_selectorELNS0_4arch9wavefront6targetE1EEEvT1_.kd
    .uniform_work_group_size: 1
    .uses_dynamic_stack: false
    .vgpr_count:     0
    .vgpr_spill_count: 0
    .wavefront_size: 64
  - .agpr_count:     0
    .args:
      - .offset:         0
        .size:           104
        .value_kind:     by_value
    .group_segment_fixed_size: 0
    .kernarg_segment_align: 8
    .kernarg_segment_size: 104
    .language:       OpenCL C
    .language_version:
      - 2
      - 0
    .max_flat_workgroup_size: 256
    .name:           _ZN7rocprim17ROCPRIM_400000_NS6detail17trampoline_kernelINS0_14default_configENS1_20scan_config_selectorItEEZZNS1_9scan_implILNS1_25lookback_scan_determinismE0ELb1ELb1ES3_N6thrust23THRUST_200600_302600_NS6detail15normal_iteratorINS9_10device_ptrItEEEENS9_16discard_iteratorINS9_11use_defaultEEEtNS9_4plusIvEEtEEDaPvRmT3_T4_T5_mT6_P12ihipStream_tbENKUlT_T0_E_clISt17integral_constantIbLb0EESW_IbLb1EEEEDaSS_ST_EUlSS_E_NS1_11comp_targetILNS1_3genE10ELNS1_11target_archE1201ELNS1_3gpuE5ELNS1_3repE0EEENS1_30default_config_static_selectorELNS0_4arch9wavefront6targetE1EEEvT1_
    .private_segment_fixed_size: 0
    .sgpr_count:     4
    .sgpr_spill_count: 0
    .symbol:         _ZN7rocprim17ROCPRIM_400000_NS6detail17trampoline_kernelINS0_14default_configENS1_20scan_config_selectorItEEZZNS1_9scan_implILNS1_25lookback_scan_determinismE0ELb1ELb1ES3_N6thrust23THRUST_200600_302600_NS6detail15normal_iteratorINS9_10device_ptrItEEEENS9_16discard_iteratorINS9_11use_defaultEEEtNS9_4plusIvEEtEEDaPvRmT3_T4_T5_mT6_P12ihipStream_tbENKUlT_T0_E_clISt17integral_constantIbLb0EESW_IbLb1EEEEDaSS_ST_EUlSS_E_NS1_11comp_targetILNS1_3genE10ELNS1_11target_archE1201ELNS1_3gpuE5ELNS1_3repE0EEENS1_30default_config_static_selectorELNS0_4arch9wavefront6targetE1EEEvT1_.kd
    .uniform_work_group_size: 1
    .uses_dynamic_stack: false
    .vgpr_count:     0
    .vgpr_spill_count: 0
    .wavefront_size: 64
  - .agpr_count:     0
    .args:
      - .offset:         0
        .size:           104
        .value_kind:     by_value
    .group_segment_fixed_size: 0
    .kernarg_segment_align: 8
    .kernarg_segment_size: 104
    .language:       OpenCL C
    .language_version:
      - 2
      - 0
    .max_flat_workgroup_size: 256
    .name:           _ZN7rocprim17ROCPRIM_400000_NS6detail17trampoline_kernelINS0_14default_configENS1_20scan_config_selectorItEEZZNS1_9scan_implILNS1_25lookback_scan_determinismE0ELb1ELb1ES3_N6thrust23THRUST_200600_302600_NS6detail15normal_iteratorINS9_10device_ptrItEEEENS9_16discard_iteratorINS9_11use_defaultEEEtNS9_4plusIvEEtEEDaPvRmT3_T4_T5_mT6_P12ihipStream_tbENKUlT_T0_E_clISt17integral_constantIbLb0EESW_IbLb1EEEEDaSS_ST_EUlSS_E_NS1_11comp_targetILNS1_3genE10ELNS1_11target_archE1200ELNS1_3gpuE4ELNS1_3repE0EEENS1_30default_config_static_selectorELNS0_4arch9wavefront6targetE1EEEvT1_
    .private_segment_fixed_size: 0
    .sgpr_count:     4
    .sgpr_spill_count: 0
    .symbol:         _ZN7rocprim17ROCPRIM_400000_NS6detail17trampoline_kernelINS0_14default_configENS1_20scan_config_selectorItEEZZNS1_9scan_implILNS1_25lookback_scan_determinismE0ELb1ELb1ES3_N6thrust23THRUST_200600_302600_NS6detail15normal_iteratorINS9_10device_ptrItEEEENS9_16discard_iteratorINS9_11use_defaultEEEtNS9_4plusIvEEtEEDaPvRmT3_T4_T5_mT6_P12ihipStream_tbENKUlT_T0_E_clISt17integral_constantIbLb0EESW_IbLb1EEEEDaSS_ST_EUlSS_E_NS1_11comp_targetILNS1_3genE10ELNS1_11target_archE1200ELNS1_3gpuE4ELNS1_3repE0EEENS1_30default_config_static_selectorELNS0_4arch9wavefront6targetE1EEEvT1_.kd
    .uniform_work_group_size: 1
    .uses_dynamic_stack: false
    .vgpr_count:     0
    .vgpr_spill_count: 0
    .wavefront_size: 64
  - .agpr_count:     0
    .args:
      - .offset:         0
        .size:           104
        .value_kind:     by_value
    .group_segment_fixed_size: 0
    .kernarg_segment_align: 8
    .kernarg_segment_size: 104
    .language:       OpenCL C
    .language_version:
      - 2
      - 0
    .max_flat_workgroup_size: 64
    .name:           _ZN7rocprim17ROCPRIM_400000_NS6detail17trampoline_kernelINS0_14default_configENS1_20scan_config_selectorItEEZZNS1_9scan_implILNS1_25lookback_scan_determinismE0ELb1ELb1ES3_N6thrust23THRUST_200600_302600_NS6detail15normal_iteratorINS9_10device_ptrItEEEENS9_16discard_iteratorINS9_11use_defaultEEEtNS9_4plusIvEEtEEDaPvRmT3_T4_T5_mT6_P12ihipStream_tbENKUlT_T0_E_clISt17integral_constantIbLb0EESW_IbLb1EEEEDaSS_ST_EUlSS_E_NS1_11comp_targetILNS1_3genE9ELNS1_11target_archE1100ELNS1_3gpuE3ELNS1_3repE0EEENS1_30default_config_static_selectorELNS0_4arch9wavefront6targetE1EEEvT1_
    .private_segment_fixed_size: 0
    .sgpr_count:     4
    .sgpr_spill_count: 0
    .symbol:         _ZN7rocprim17ROCPRIM_400000_NS6detail17trampoline_kernelINS0_14default_configENS1_20scan_config_selectorItEEZZNS1_9scan_implILNS1_25lookback_scan_determinismE0ELb1ELb1ES3_N6thrust23THRUST_200600_302600_NS6detail15normal_iteratorINS9_10device_ptrItEEEENS9_16discard_iteratorINS9_11use_defaultEEEtNS9_4plusIvEEtEEDaPvRmT3_T4_T5_mT6_P12ihipStream_tbENKUlT_T0_E_clISt17integral_constantIbLb0EESW_IbLb1EEEEDaSS_ST_EUlSS_E_NS1_11comp_targetILNS1_3genE9ELNS1_11target_archE1100ELNS1_3gpuE3ELNS1_3repE0EEENS1_30default_config_static_selectorELNS0_4arch9wavefront6targetE1EEEvT1_.kd
    .uniform_work_group_size: 1
    .uses_dynamic_stack: false
    .vgpr_count:     0
    .vgpr_spill_count: 0
    .wavefront_size: 64
  - .agpr_count:     0
    .args:
      - .offset:         0
        .size:           104
        .value_kind:     by_value
    .group_segment_fixed_size: 0
    .kernarg_segment_align: 8
    .kernarg_segment_size: 104
    .language:       OpenCL C
    .language_version:
      - 2
      - 0
    .max_flat_workgroup_size: 64
    .name:           _ZN7rocprim17ROCPRIM_400000_NS6detail17trampoline_kernelINS0_14default_configENS1_20scan_config_selectorItEEZZNS1_9scan_implILNS1_25lookback_scan_determinismE0ELb1ELb1ES3_N6thrust23THRUST_200600_302600_NS6detail15normal_iteratorINS9_10device_ptrItEEEENS9_16discard_iteratorINS9_11use_defaultEEEtNS9_4plusIvEEtEEDaPvRmT3_T4_T5_mT6_P12ihipStream_tbENKUlT_T0_E_clISt17integral_constantIbLb0EESW_IbLb1EEEEDaSS_ST_EUlSS_E_NS1_11comp_targetILNS1_3genE8ELNS1_11target_archE1030ELNS1_3gpuE2ELNS1_3repE0EEENS1_30default_config_static_selectorELNS0_4arch9wavefront6targetE1EEEvT1_
    .private_segment_fixed_size: 0
    .sgpr_count:     4
    .sgpr_spill_count: 0
    .symbol:         _ZN7rocprim17ROCPRIM_400000_NS6detail17trampoline_kernelINS0_14default_configENS1_20scan_config_selectorItEEZZNS1_9scan_implILNS1_25lookback_scan_determinismE0ELb1ELb1ES3_N6thrust23THRUST_200600_302600_NS6detail15normal_iteratorINS9_10device_ptrItEEEENS9_16discard_iteratorINS9_11use_defaultEEEtNS9_4plusIvEEtEEDaPvRmT3_T4_T5_mT6_P12ihipStream_tbENKUlT_T0_E_clISt17integral_constantIbLb0EESW_IbLb1EEEEDaSS_ST_EUlSS_E_NS1_11comp_targetILNS1_3genE8ELNS1_11target_archE1030ELNS1_3gpuE2ELNS1_3repE0EEENS1_30default_config_static_selectorELNS0_4arch9wavefront6targetE1EEEvT1_.kd
    .uniform_work_group_size: 1
    .uses_dynamic_stack: false
    .vgpr_count:     0
    .vgpr_spill_count: 0
    .wavefront_size: 64
  - .agpr_count:     0
    .args:
      - .offset:         0
        .size:           40
        .value_kind:     by_value
    .group_segment_fixed_size: 0
    .kernarg_segment_align: 8
    .kernarg_segment_size: 40
    .language:       OpenCL C
    .language_version:
      - 2
      - 0
    .max_flat_workgroup_size: 128
    .name:           _ZN7rocprim17ROCPRIM_400000_NS6detail17trampoline_kernelINS0_14default_configENS1_20scan_config_selectorItEEZZNS1_9scan_implILNS1_25lookback_scan_determinismE0ELb1ELb1ES3_N6thrust23THRUST_200600_302600_NS6detail15normal_iteratorINS9_10device_ptrItEEEENS9_16discard_iteratorINS9_11use_defaultEEEtNS9_4plusIvEEtEEDaPvRmT3_T4_T5_mT6_P12ihipStream_tbENKUlT_T0_E_clISt17integral_constantIbLb0EESW_IbLb1EEEEDaSS_ST_EUlSS_E0_NS1_11comp_targetILNS1_3genE0ELNS1_11target_archE4294967295ELNS1_3gpuE0ELNS1_3repE0EEENS1_30default_config_static_selectorELNS0_4arch9wavefront6targetE1EEEvT1_
    .private_segment_fixed_size: 0
    .sgpr_count:     4
    .sgpr_spill_count: 0
    .symbol:         _ZN7rocprim17ROCPRIM_400000_NS6detail17trampoline_kernelINS0_14default_configENS1_20scan_config_selectorItEEZZNS1_9scan_implILNS1_25lookback_scan_determinismE0ELb1ELb1ES3_N6thrust23THRUST_200600_302600_NS6detail15normal_iteratorINS9_10device_ptrItEEEENS9_16discard_iteratorINS9_11use_defaultEEEtNS9_4plusIvEEtEEDaPvRmT3_T4_T5_mT6_P12ihipStream_tbENKUlT_T0_E_clISt17integral_constantIbLb0EESW_IbLb1EEEEDaSS_ST_EUlSS_E0_NS1_11comp_targetILNS1_3genE0ELNS1_11target_archE4294967295ELNS1_3gpuE0ELNS1_3repE0EEENS1_30default_config_static_selectorELNS0_4arch9wavefront6targetE1EEEvT1_.kd
    .uniform_work_group_size: 1
    .uses_dynamic_stack: false
    .vgpr_count:     0
    .vgpr_spill_count: 0
    .wavefront_size: 64
  - .agpr_count:     0
    .args:
      - .offset:         0
        .size:           40
        .value_kind:     by_value
    .group_segment_fixed_size: 0
    .kernarg_segment_align: 8
    .kernarg_segment_size: 40
    .language:       OpenCL C
    .language_version:
      - 2
      - 0
    .max_flat_workgroup_size: 256
    .name:           _ZN7rocprim17ROCPRIM_400000_NS6detail17trampoline_kernelINS0_14default_configENS1_20scan_config_selectorItEEZZNS1_9scan_implILNS1_25lookback_scan_determinismE0ELb1ELb1ES3_N6thrust23THRUST_200600_302600_NS6detail15normal_iteratorINS9_10device_ptrItEEEENS9_16discard_iteratorINS9_11use_defaultEEEtNS9_4plusIvEEtEEDaPvRmT3_T4_T5_mT6_P12ihipStream_tbENKUlT_T0_E_clISt17integral_constantIbLb0EESW_IbLb1EEEEDaSS_ST_EUlSS_E0_NS1_11comp_targetILNS1_3genE5ELNS1_11target_archE942ELNS1_3gpuE9ELNS1_3repE0EEENS1_30default_config_static_selectorELNS0_4arch9wavefront6targetE1EEEvT1_
    .private_segment_fixed_size: 0
    .sgpr_count:     4
    .sgpr_spill_count: 0
    .symbol:         _ZN7rocprim17ROCPRIM_400000_NS6detail17trampoline_kernelINS0_14default_configENS1_20scan_config_selectorItEEZZNS1_9scan_implILNS1_25lookback_scan_determinismE0ELb1ELb1ES3_N6thrust23THRUST_200600_302600_NS6detail15normal_iteratorINS9_10device_ptrItEEEENS9_16discard_iteratorINS9_11use_defaultEEEtNS9_4plusIvEEtEEDaPvRmT3_T4_T5_mT6_P12ihipStream_tbENKUlT_T0_E_clISt17integral_constantIbLb0EESW_IbLb1EEEEDaSS_ST_EUlSS_E0_NS1_11comp_targetILNS1_3genE5ELNS1_11target_archE942ELNS1_3gpuE9ELNS1_3repE0EEENS1_30default_config_static_selectorELNS0_4arch9wavefront6targetE1EEEvT1_.kd
    .uniform_work_group_size: 1
    .uses_dynamic_stack: false
    .vgpr_count:     0
    .vgpr_spill_count: 0
    .wavefront_size: 64
  - .agpr_count:     0
    .args:
      - .offset:         0
        .size:           40
        .value_kind:     by_value
    .group_segment_fixed_size: 3072
    .kernarg_segment_align: 8
    .kernarg_segment_size: 40
    .language:       OpenCL C
    .language_version:
      - 2
      - 0
    .max_flat_workgroup_size: 64
    .name:           _ZN7rocprim17ROCPRIM_400000_NS6detail17trampoline_kernelINS0_14default_configENS1_20scan_config_selectorItEEZZNS1_9scan_implILNS1_25lookback_scan_determinismE0ELb1ELb1ES3_N6thrust23THRUST_200600_302600_NS6detail15normal_iteratorINS9_10device_ptrItEEEENS9_16discard_iteratorINS9_11use_defaultEEEtNS9_4plusIvEEtEEDaPvRmT3_T4_T5_mT6_P12ihipStream_tbENKUlT_T0_E_clISt17integral_constantIbLb0EESW_IbLb1EEEEDaSS_ST_EUlSS_E0_NS1_11comp_targetILNS1_3genE4ELNS1_11target_archE910ELNS1_3gpuE8ELNS1_3repE0EEENS1_30default_config_static_selectorELNS0_4arch9wavefront6targetE1EEEvT1_
    .private_segment_fixed_size: 0
    .sgpr_count:     12
    .sgpr_spill_count: 0
    .symbol:         _ZN7rocprim17ROCPRIM_400000_NS6detail17trampoline_kernelINS0_14default_configENS1_20scan_config_selectorItEEZZNS1_9scan_implILNS1_25lookback_scan_determinismE0ELb1ELb1ES3_N6thrust23THRUST_200600_302600_NS6detail15normal_iteratorINS9_10device_ptrItEEEENS9_16discard_iteratorINS9_11use_defaultEEEtNS9_4plusIvEEtEEDaPvRmT3_T4_T5_mT6_P12ihipStream_tbENKUlT_T0_E_clISt17integral_constantIbLb0EESW_IbLb1EEEEDaSS_ST_EUlSS_E0_NS1_11comp_targetILNS1_3genE4ELNS1_11target_archE910ELNS1_3gpuE8ELNS1_3repE0EEENS1_30default_config_static_selectorELNS0_4arch9wavefront6targetE1EEEvT1_.kd
    .uniform_work_group_size: 1
    .uses_dynamic_stack: false
    .vgpr_count:     28
    .vgpr_spill_count: 0
    .wavefront_size: 64
  - .agpr_count:     0
    .args:
      - .offset:         0
        .size:           40
        .value_kind:     by_value
    .group_segment_fixed_size: 0
    .kernarg_segment_align: 8
    .kernarg_segment_size: 40
    .language:       OpenCL C
    .language_version:
      - 2
      - 0
    .max_flat_workgroup_size: 128
    .name:           _ZN7rocprim17ROCPRIM_400000_NS6detail17trampoline_kernelINS0_14default_configENS1_20scan_config_selectorItEEZZNS1_9scan_implILNS1_25lookback_scan_determinismE0ELb1ELb1ES3_N6thrust23THRUST_200600_302600_NS6detail15normal_iteratorINS9_10device_ptrItEEEENS9_16discard_iteratorINS9_11use_defaultEEEtNS9_4plusIvEEtEEDaPvRmT3_T4_T5_mT6_P12ihipStream_tbENKUlT_T0_E_clISt17integral_constantIbLb0EESW_IbLb1EEEEDaSS_ST_EUlSS_E0_NS1_11comp_targetILNS1_3genE3ELNS1_11target_archE908ELNS1_3gpuE7ELNS1_3repE0EEENS1_30default_config_static_selectorELNS0_4arch9wavefront6targetE1EEEvT1_
    .private_segment_fixed_size: 0
    .sgpr_count:     4
    .sgpr_spill_count: 0
    .symbol:         _ZN7rocprim17ROCPRIM_400000_NS6detail17trampoline_kernelINS0_14default_configENS1_20scan_config_selectorItEEZZNS1_9scan_implILNS1_25lookback_scan_determinismE0ELb1ELb1ES3_N6thrust23THRUST_200600_302600_NS6detail15normal_iteratorINS9_10device_ptrItEEEENS9_16discard_iteratorINS9_11use_defaultEEEtNS9_4plusIvEEtEEDaPvRmT3_T4_T5_mT6_P12ihipStream_tbENKUlT_T0_E_clISt17integral_constantIbLb0EESW_IbLb1EEEEDaSS_ST_EUlSS_E0_NS1_11comp_targetILNS1_3genE3ELNS1_11target_archE908ELNS1_3gpuE7ELNS1_3repE0EEENS1_30default_config_static_selectorELNS0_4arch9wavefront6targetE1EEEvT1_.kd
    .uniform_work_group_size: 1
    .uses_dynamic_stack: false
    .vgpr_count:     0
    .vgpr_spill_count: 0
    .wavefront_size: 64
  - .agpr_count:     0
    .args:
      - .offset:         0
        .size:           40
        .value_kind:     by_value
    .group_segment_fixed_size: 0
    .kernarg_segment_align: 8
    .kernarg_segment_size: 40
    .language:       OpenCL C
    .language_version:
      - 2
      - 0
    .max_flat_workgroup_size: 256
    .name:           _ZN7rocprim17ROCPRIM_400000_NS6detail17trampoline_kernelINS0_14default_configENS1_20scan_config_selectorItEEZZNS1_9scan_implILNS1_25lookback_scan_determinismE0ELb1ELb1ES3_N6thrust23THRUST_200600_302600_NS6detail15normal_iteratorINS9_10device_ptrItEEEENS9_16discard_iteratorINS9_11use_defaultEEEtNS9_4plusIvEEtEEDaPvRmT3_T4_T5_mT6_P12ihipStream_tbENKUlT_T0_E_clISt17integral_constantIbLb0EESW_IbLb1EEEEDaSS_ST_EUlSS_E0_NS1_11comp_targetILNS1_3genE2ELNS1_11target_archE906ELNS1_3gpuE6ELNS1_3repE0EEENS1_30default_config_static_selectorELNS0_4arch9wavefront6targetE1EEEvT1_
    .private_segment_fixed_size: 0
    .sgpr_count:     4
    .sgpr_spill_count: 0
    .symbol:         _ZN7rocprim17ROCPRIM_400000_NS6detail17trampoline_kernelINS0_14default_configENS1_20scan_config_selectorItEEZZNS1_9scan_implILNS1_25lookback_scan_determinismE0ELb1ELb1ES3_N6thrust23THRUST_200600_302600_NS6detail15normal_iteratorINS9_10device_ptrItEEEENS9_16discard_iteratorINS9_11use_defaultEEEtNS9_4plusIvEEtEEDaPvRmT3_T4_T5_mT6_P12ihipStream_tbENKUlT_T0_E_clISt17integral_constantIbLb0EESW_IbLb1EEEEDaSS_ST_EUlSS_E0_NS1_11comp_targetILNS1_3genE2ELNS1_11target_archE906ELNS1_3gpuE6ELNS1_3repE0EEENS1_30default_config_static_selectorELNS0_4arch9wavefront6targetE1EEEvT1_.kd
    .uniform_work_group_size: 1
    .uses_dynamic_stack: false
    .vgpr_count:     0
    .vgpr_spill_count: 0
    .wavefront_size: 64
  - .agpr_count:     0
    .args:
      - .offset:         0
        .size:           40
        .value_kind:     by_value
    .group_segment_fixed_size: 0
    .kernarg_segment_align: 8
    .kernarg_segment_size: 40
    .language:       OpenCL C
    .language_version:
      - 2
      - 0
    .max_flat_workgroup_size: 256
    .name:           _ZN7rocprim17ROCPRIM_400000_NS6detail17trampoline_kernelINS0_14default_configENS1_20scan_config_selectorItEEZZNS1_9scan_implILNS1_25lookback_scan_determinismE0ELb1ELb1ES3_N6thrust23THRUST_200600_302600_NS6detail15normal_iteratorINS9_10device_ptrItEEEENS9_16discard_iteratorINS9_11use_defaultEEEtNS9_4plusIvEEtEEDaPvRmT3_T4_T5_mT6_P12ihipStream_tbENKUlT_T0_E_clISt17integral_constantIbLb0EESW_IbLb1EEEEDaSS_ST_EUlSS_E0_NS1_11comp_targetILNS1_3genE10ELNS1_11target_archE1201ELNS1_3gpuE5ELNS1_3repE0EEENS1_30default_config_static_selectorELNS0_4arch9wavefront6targetE1EEEvT1_
    .private_segment_fixed_size: 0
    .sgpr_count:     4
    .sgpr_spill_count: 0
    .symbol:         _ZN7rocprim17ROCPRIM_400000_NS6detail17trampoline_kernelINS0_14default_configENS1_20scan_config_selectorItEEZZNS1_9scan_implILNS1_25lookback_scan_determinismE0ELb1ELb1ES3_N6thrust23THRUST_200600_302600_NS6detail15normal_iteratorINS9_10device_ptrItEEEENS9_16discard_iteratorINS9_11use_defaultEEEtNS9_4plusIvEEtEEDaPvRmT3_T4_T5_mT6_P12ihipStream_tbENKUlT_T0_E_clISt17integral_constantIbLb0EESW_IbLb1EEEEDaSS_ST_EUlSS_E0_NS1_11comp_targetILNS1_3genE10ELNS1_11target_archE1201ELNS1_3gpuE5ELNS1_3repE0EEENS1_30default_config_static_selectorELNS0_4arch9wavefront6targetE1EEEvT1_.kd
    .uniform_work_group_size: 1
    .uses_dynamic_stack: false
    .vgpr_count:     0
    .vgpr_spill_count: 0
    .wavefront_size: 64
  - .agpr_count:     0
    .args:
      - .offset:         0
        .size:           40
        .value_kind:     by_value
    .group_segment_fixed_size: 0
    .kernarg_segment_align: 8
    .kernarg_segment_size: 40
    .language:       OpenCL C
    .language_version:
      - 2
      - 0
    .max_flat_workgroup_size: 256
    .name:           _ZN7rocprim17ROCPRIM_400000_NS6detail17trampoline_kernelINS0_14default_configENS1_20scan_config_selectorItEEZZNS1_9scan_implILNS1_25lookback_scan_determinismE0ELb1ELb1ES3_N6thrust23THRUST_200600_302600_NS6detail15normal_iteratorINS9_10device_ptrItEEEENS9_16discard_iteratorINS9_11use_defaultEEEtNS9_4plusIvEEtEEDaPvRmT3_T4_T5_mT6_P12ihipStream_tbENKUlT_T0_E_clISt17integral_constantIbLb0EESW_IbLb1EEEEDaSS_ST_EUlSS_E0_NS1_11comp_targetILNS1_3genE10ELNS1_11target_archE1200ELNS1_3gpuE4ELNS1_3repE0EEENS1_30default_config_static_selectorELNS0_4arch9wavefront6targetE1EEEvT1_
    .private_segment_fixed_size: 0
    .sgpr_count:     4
    .sgpr_spill_count: 0
    .symbol:         _ZN7rocprim17ROCPRIM_400000_NS6detail17trampoline_kernelINS0_14default_configENS1_20scan_config_selectorItEEZZNS1_9scan_implILNS1_25lookback_scan_determinismE0ELb1ELb1ES3_N6thrust23THRUST_200600_302600_NS6detail15normal_iteratorINS9_10device_ptrItEEEENS9_16discard_iteratorINS9_11use_defaultEEEtNS9_4plusIvEEtEEDaPvRmT3_T4_T5_mT6_P12ihipStream_tbENKUlT_T0_E_clISt17integral_constantIbLb0EESW_IbLb1EEEEDaSS_ST_EUlSS_E0_NS1_11comp_targetILNS1_3genE10ELNS1_11target_archE1200ELNS1_3gpuE4ELNS1_3repE0EEENS1_30default_config_static_selectorELNS0_4arch9wavefront6targetE1EEEvT1_.kd
    .uniform_work_group_size: 1
    .uses_dynamic_stack: false
    .vgpr_count:     0
    .vgpr_spill_count: 0
    .wavefront_size: 64
  - .agpr_count:     0
    .args:
      - .offset:         0
        .size:           40
        .value_kind:     by_value
    .group_segment_fixed_size: 0
    .kernarg_segment_align: 8
    .kernarg_segment_size: 40
    .language:       OpenCL C
    .language_version:
      - 2
      - 0
    .max_flat_workgroup_size: 64
    .name:           _ZN7rocprim17ROCPRIM_400000_NS6detail17trampoline_kernelINS0_14default_configENS1_20scan_config_selectorItEEZZNS1_9scan_implILNS1_25lookback_scan_determinismE0ELb1ELb1ES3_N6thrust23THRUST_200600_302600_NS6detail15normal_iteratorINS9_10device_ptrItEEEENS9_16discard_iteratorINS9_11use_defaultEEEtNS9_4plusIvEEtEEDaPvRmT3_T4_T5_mT6_P12ihipStream_tbENKUlT_T0_E_clISt17integral_constantIbLb0EESW_IbLb1EEEEDaSS_ST_EUlSS_E0_NS1_11comp_targetILNS1_3genE9ELNS1_11target_archE1100ELNS1_3gpuE3ELNS1_3repE0EEENS1_30default_config_static_selectorELNS0_4arch9wavefront6targetE1EEEvT1_
    .private_segment_fixed_size: 0
    .sgpr_count:     4
    .sgpr_spill_count: 0
    .symbol:         _ZN7rocprim17ROCPRIM_400000_NS6detail17trampoline_kernelINS0_14default_configENS1_20scan_config_selectorItEEZZNS1_9scan_implILNS1_25lookback_scan_determinismE0ELb1ELb1ES3_N6thrust23THRUST_200600_302600_NS6detail15normal_iteratorINS9_10device_ptrItEEEENS9_16discard_iteratorINS9_11use_defaultEEEtNS9_4plusIvEEtEEDaPvRmT3_T4_T5_mT6_P12ihipStream_tbENKUlT_T0_E_clISt17integral_constantIbLb0EESW_IbLb1EEEEDaSS_ST_EUlSS_E0_NS1_11comp_targetILNS1_3genE9ELNS1_11target_archE1100ELNS1_3gpuE3ELNS1_3repE0EEENS1_30default_config_static_selectorELNS0_4arch9wavefront6targetE1EEEvT1_.kd
    .uniform_work_group_size: 1
    .uses_dynamic_stack: false
    .vgpr_count:     0
    .vgpr_spill_count: 0
    .wavefront_size: 64
  - .agpr_count:     0
    .args:
      - .offset:         0
        .size:           40
        .value_kind:     by_value
    .group_segment_fixed_size: 0
    .kernarg_segment_align: 8
    .kernarg_segment_size: 40
    .language:       OpenCL C
    .language_version:
      - 2
      - 0
    .max_flat_workgroup_size: 64
    .name:           _ZN7rocprim17ROCPRIM_400000_NS6detail17trampoline_kernelINS0_14default_configENS1_20scan_config_selectorItEEZZNS1_9scan_implILNS1_25lookback_scan_determinismE0ELb1ELb1ES3_N6thrust23THRUST_200600_302600_NS6detail15normal_iteratorINS9_10device_ptrItEEEENS9_16discard_iteratorINS9_11use_defaultEEEtNS9_4plusIvEEtEEDaPvRmT3_T4_T5_mT6_P12ihipStream_tbENKUlT_T0_E_clISt17integral_constantIbLb0EESW_IbLb1EEEEDaSS_ST_EUlSS_E0_NS1_11comp_targetILNS1_3genE8ELNS1_11target_archE1030ELNS1_3gpuE2ELNS1_3repE0EEENS1_30default_config_static_selectorELNS0_4arch9wavefront6targetE1EEEvT1_
    .private_segment_fixed_size: 0
    .sgpr_count:     4
    .sgpr_spill_count: 0
    .symbol:         _ZN7rocprim17ROCPRIM_400000_NS6detail17trampoline_kernelINS0_14default_configENS1_20scan_config_selectorItEEZZNS1_9scan_implILNS1_25lookback_scan_determinismE0ELb1ELb1ES3_N6thrust23THRUST_200600_302600_NS6detail15normal_iteratorINS9_10device_ptrItEEEENS9_16discard_iteratorINS9_11use_defaultEEEtNS9_4plusIvEEtEEDaPvRmT3_T4_T5_mT6_P12ihipStream_tbENKUlT_T0_E_clISt17integral_constantIbLb0EESW_IbLb1EEEEDaSS_ST_EUlSS_E0_NS1_11comp_targetILNS1_3genE8ELNS1_11target_archE1030ELNS1_3gpuE2ELNS1_3repE0EEENS1_30default_config_static_selectorELNS0_4arch9wavefront6targetE1EEEvT1_.kd
    .uniform_work_group_size: 1
    .uses_dynamic_stack: false
    .vgpr_count:     0
    .vgpr_spill_count: 0
    .wavefront_size: 64
  - .agpr_count:     0
    .args:
      - .offset:         0
        .size:           112
        .value_kind:     by_value
    .group_segment_fixed_size: 0
    .kernarg_segment_align: 8
    .kernarg_segment_size: 112
    .language:       OpenCL C
    .language_version:
      - 2
      - 0
    .max_flat_workgroup_size: 256
    .name:           _ZN7rocprim17ROCPRIM_400000_NS6detail17trampoline_kernelINS0_14default_configENS1_20scan_config_selectorIxEEZZNS1_9scan_implILNS1_25lookback_scan_determinismE0ELb0ELb0ES3_N6thrust23THRUST_200600_302600_NS6detail15normal_iteratorINS9_10device_ptrIxEEEENS9_16discard_iteratorINS9_11use_defaultEEExNS9_4plusIvEExEEDaPvRmT3_T4_T5_mT6_P12ihipStream_tbENKUlT_T0_E_clISt17integral_constantIbLb0EESX_EEDaSS_ST_EUlSS_E_NS1_11comp_targetILNS1_3genE0ELNS1_11target_archE4294967295ELNS1_3gpuE0ELNS1_3repE0EEENS1_30default_config_static_selectorELNS0_4arch9wavefront6targetE1EEEvT1_
    .private_segment_fixed_size: 0
    .sgpr_count:     4
    .sgpr_spill_count: 0
    .symbol:         _ZN7rocprim17ROCPRIM_400000_NS6detail17trampoline_kernelINS0_14default_configENS1_20scan_config_selectorIxEEZZNS1_9scan_implILNS1_25lookback_scan_determinismE0ELb0ELb0ES3_N6thrust23THRUST_200600_302600_NS6detail15normal_iteratorINS9_10device_ptrIxEEEENS9_16discard_iteratorINS9_11use_defaultEEExNS9_4plusIvEExEEDaPvRmT3_T4_T5_mT6_P12ihipStream_tbENKUlT_T0_E_clISt17integral_constantIbLb0EESX_EEDaSS_ST_EUlSS_E_NS1_11comp_targetILNS1_3genE0ELNS1_11target_archE4294967295ELNS1_3gpuE0ELNS1_3repE0EEENS1_30default_config_static_selectorELNS0_4arch9wavefront6targetE1EEEvT1_.kd
    .uniform_work_group_size: 1
    .uses_dynamic_stack: false
    .vgpr_count:     0
    .vgpr_spill_count: 0
    .wavefront_size: 64
  - .agpr_count:     0
    .args:
      - .offset:         0
        .size:           112
        .value_kind:     by_value
    .group_segment_fixed_size: 0
    .kernarg_segment_align: 8
    .kernarg_segment_size: 112
    .language:       OpenCL C
    .language_version:
      - 2
      - 0
    .max_flat_workgroup_size: 256
    .name:           _ZN7rocprim17ROCPRIM_400000_NS6detail17trampoline_kernelINS0_14default_configENS1_20scan_config_selectorIxEEZZNS1_9scan_implILNS1_25lookback_scan_determinismE0ELb0ELb0ES3_N6thrust23THRUST_200600_302600_NS6detail15normal_iteratorINS9_10device_ptrIxEEEENS9_16discard_iteratorINS9_11use_defaultEEExNS9_4plusIvEExEEDaPvRmT3_T4_T5_mT6_P12ihipStream_tbENKUlT_T0_E_clISt17integral_constantIbLb0EESX_EEDaSS_ST_EUlSS_E_NS1_11comp_targetILNS1_3genE5ELNS1_11target_archE942ELNS1_3gpuE9ELNS1_3repE0EEENS1_30default_config_static_selectorELNS0_4arch9wavefront6targetE1EEEvT1_
    .private_segment_fixed_size: 0
    .sgpr_count:     4
    .sgpr_spill_count: 0
    .symbol:         _ZN7rocprim17ROCPRIM_400000_NS6detail17trampoline_kernelINS0_14default_configENS1_20scan_config_selectorIxEEZZNS1_9scan_implILNS1_25lookback_scan_determinismE0ELb0ELb0ES3_N6thrust23THRUST_200600_302600_NS6detail15normal_iteratorINS9_10device_ptrIxEEEENS9_16discard_iteratorINS9_11use_defaultEEExNS9_4plusIvEExEEDaPvRmT3_T4_T5_mT6_P12ihipStream_tbENKUlT_T0_E_clISt17integral_constantIbLb0EESX_EEDaSS_ST_EUlSS_E_NS1_11comp_targetILNS1_3genE5ELNS1_11target_archE942ELNS1_3gpuE9ELNS1_3repE0EEENS1_30default_config_static_selectorELNS0_4arch9wavefront6targetE1EEEvT1_.kd
    .uniform_work_group_size: 1
    .uses_dynamic_stack: false
    .vgpr_count:     0
    .vgpr_spill_count: 0
    .wavefront_size: 64
  - .agpr_count:     0
    .args:
      - .offset:         0
        .size:           112
        .value_kind:     by_value
    .group_segment_fixed_size: 7168
    .kernarg_segment_align: 8
    .kernarg_segment_size: 112
    .language:       OpenCL C
    .language_version:
      - 2
      - 0
    .max_flat_workgroup_size: 128
    .name:           _ZN7rocprim17ROCPRIM_400000_NS6detail17trampoline_kernelINS0_14default_configENS1_20scan_config_selectorIxEEZZNS1_9scan_implILNS1_25lookback_scan_determinismE0ELb0ELb0ES3_N6thrust23THRUST_200600_302600_NS6detail15normal_iteratorINS9_10device_ptrIxEEEENS9_16discard_iteratorINS9_11use_defaultEEExNS9_4plusIvEExEEDaPvRmT3_T4_T5_mT6_P12ihipStream_tbENKUlT_T0_E_clISt17integral_constantIbLb0EESX_EEDaSS_ST_EUlSS_E_NS1_11comp_targetILNS1_3genE4ELNS1_11target_archE910ELNS1_3gpuE8ELNS1_3repE0EEENS1_30default_config_static_selectorELNS0_4arch9wavefront6targetE1EEEvT1_
    .private_segment_fixed_size: 0
    .sgpr_count:     26
    .sgpr_spill_count: 0
    .symbol:         _ZN7rocprim17ROCPRIM_400000_NS6detail17trampoline_kernelINS0_14default_configENS1_20scan_config_selectorIxEEZZNS1_9scan_implILNS1_25lookback_scan_determinismE0ELb0ELb0ES3_N6thrust23THRUST_200600_302600_NS6detail15normal_iteratorINS9_10device_ptrIxEEEENS9_16discard_iteratorINS9_11use_defaultEEExNS9_4plusIvEExEEDaPvRmT3_T4_T5_mT6_P12ihipStream_tbENKUlT_T0_E_clISt17integral_constantIbLb0EESX_EEDaSS_ST_EUlSS_E_NS1_11comp_targetILNS1_3genE4ELNS1_11target_archE910ELNS1_3gpuE8ELNS1_3repE0EEENS1_30default_config_static_selectorELNS0_4arch9wavefront6targetE1EEEvT1_.kd
    .uniform_work_group_size: 1
    .uses_dynamic_stack: false
    .vgpr_count:     50
    .vgpr_spill_count: 0
    .wavefront_size: 64
  - .agpr_count:     0
    .args:
      - .offset:         0
        .size:           112
        .value_kind:     by_value
    .group_segment_fixed_size: 0
    .kernarg_segment_align: 8
    .kernarg_segment_size: 112
    .language:       OpenCL C
    .language_version:
      - 2
      - 0
    .max_flat_workgroup_size: 256
    .name:           _ZN7rocprim17ROCPRIM_400000_NS6detail17trampoline_kernelINS0_14default_configENS1_20scan_config_selectorIxEEZZNS1_9scan_implILNS1_25lookback_scan_determinismE0ELb0ELb0ES3_N6thrust23THRUST_200600_302600_NS6detail15normal_iteratorINS9_10device_ptrIxEEEENS9_16discard_iteratorINS9_11use_defaultEEExNS9_4plusIvEExEEDaPvRmT3_T4_T5_mT6_P12ihipStream_tbENKUlT_T0_E_clISt17integral_constantIbLb0EESX_EEDaSS_ST_EUlSS_E_NS1_11comp_targetILNS1_3genE3ELNS1_11target_archE908ELNS1_3gpuE7ELNS1_3repE0EEENS1_30default_config_static_selectorELNS0_4arch9wavefront6targetE1EEEvT1_
    .private_segment_fixed_size: 0
    .sgpr_count:     4
    .sgpr_spill_count: 0
    .symbol:         _ZN7rocprim17ROCPRIM_400000_NS6detail17trampoline_kernelINS0_14default_configENS1_20scan_config_selectorIxEEZZNS1_9scan_implILNS1_25lookback_scan_determinismE0ELb0ELb0ES3_N6thrust23THRUST_200600_302600_NS6detail15normal_iteratorINS9_10device_ptrIxEEEENS9_16discard_iteratorINS9_11use_defaultEEExNS9_4plusIvEExEEDaPvRmT3_T4_T5_mT6_P12ihipStream_tbENKUlT_T0_E_clISt17integral_constantIbLb0EESX_EEDaSS_ST_EUlSS_E_NS1_11comp_targetILNS1_3genE3ELNS1_11target_archE908ELNS1_3gpuE7ELNS1_3repE0EEENS1_30default_config_static_selectorELNS0_4arch9wavefront6targetE1EEEvT1_.kd
    .uniform_work_group_size: 1
    .uses_dynamic_stack: false
    .vgpr_count:     0
    .vgpr_spill_count: 0
    .wavefront_size: 64
  - .agpr_count:     0
    .args:
      - .offset:         0
        .size:           112
        .value_kind:     by_value
    .group_segment_fixed_size: 0
    .kernarg_segment_align: 8
    .kernarg_segment_size: 112
    .language:       OpenCL C
    .language_version:
      - 2
      - 0
    .max_flat_workgroup_size: 64
    .name:           _ZN7rocprim17ROCPRIM_400000_NS6detail17trampoline_kernelINS0_14default_configENS1_20scan_config_selectorIxEEZZNS1_9scan_implILNS1_25lookback_scan_determinismE0ELb0ELb0ES3_N6thrust23THRUST_200600_302600_NS6detail15normal_iteratorINS9_10device_ptrIxEEEENS9_16discard_iteratorINS9_11use_defaultEEExNS9_4plusIvEExEEDaPvRmT3_T4_T5_mT6_P12ihipStream_tbENKUlT_T0_E_clISt17integral_constantIbLb0EESX_EEDaSS_ST_EUlSS_E_NS1_11comp_targetILNS1_3genE2ELNS1_11target_archE906ELNS1_3gpuE6ELNS1_3repE0EEENS1_30default_config_static_selectorELNS0_4arch9wavefront6targetE1EEEvT1_
    .private_segment_fixed_size: 0
    .sgpr_count:     4
    .sgpr_spill_count: 0
    .symbol:         _ZN7rocprim17ROCPRIM_400000_NS6detail17trampoline_kernelINS0_14default_configENS1_20scan_config_selectorIxEEZZNS1_9scan_implILNS1_25lookback_scan_determinismE0ELb0ELb0ES3_N6thrust23THRUST_200600_302600_NS6detail15normal_iteratorINS9_10device_ptrIxEEEENS9_16discard_iteratorINS9_11use_defaultEEExNS9_4plusIvEExEEDaPvRmT3_T4_T5_mT6_P12ihipStream_tbENKUlT_T0_E_clISt17integral_constantIbLb0EESX_EEDaSS_ST_EUlSS_E_NS1_11comp_targetILNS1_3genE2ELNS1_11target_archE906ELNS1_3gpuE6ELNS1_3repE0EEENS1_30default_config_static_selectorELNS0_4arch9wavefront6targetE1EEEvT1_.kd
    .uniform_work_group_size: 1
    .uses_dynamic_stack: false
    .vgpr_count:     0
    .vgpr_spill_count: 0
    .wavefront_size: 64
  - .agpr_count:     0
    .args:
      - .offset:         0
        .size:           112
        .value_kind:     by_value
    .group_segment_fixed_size: 0
    .kernarg_segment_align: 8
    .kernarg_segment_size: 112
    .language:       OpenCL C
    .language_version:
      - 2
      - 0
    .max_flat_workgroup_size: 256
    .name:           _ZN7rocprim17ROCPRIM_400000_NS6detail17trampoline_kernelINS0_14default_configENS1_20scan_config_selectorIxEEZZNS1_9scan_implILNS1_25lookback_scan_determinismE0ELb0ELb0ES3_N6thrust23THRUST_200600_302600_NS6detail15normal_iteratorINS9_10device_ptrIxEEEENS9_16discard_iteratorINS9_11use_defaultEEExNS9_4plusIvEExEEDaPvRmT3_T4_T5_mT6_P12ihipStream_tbENKUlT_T0_E_clISt17integral_constantIbLb0EESX_EEDaSS_ST_EUlSS_E_NS1_11comp_targetILNS1_3genE10ELNS1_11target_archE1201ELNS1_3gpuE5ELNS1_3repE0EEENS1_30default_config_static_selectorELNS0_4arch9wavefront6targetE1EEEvT1_
    .private_segment_fixed_size: 0
    .sgpr_count:     4
    .sgpr_spill_count: 0
    .symbol:         _ZN7rocprim17ROCPRIM_400000_NS6detail17trampoline_kernelINS0_14default_configENS1_20scan_config_selectorIxEEZZNS1_9scan_implILNS1_25lookback_scan_determinismE0ELb0ELb0ES3_N6thrust23THRUST_200600_302600_NS6detail15normal_iteratorINS9_10device_ptrIxEEEENS9_16discard_iteratorINS9_11use_defaultEEExNS9_4plusIvEExEEDaPvRmT3_T4_T5_mT6_P12ihipStream_tbENKUlT_T0_E_clISt17integral_constantIbLb0EESX_EEDaSS_ST_EUlSS_E_NS1_11comp_targetILNS1_3genE10ELNS1_11target_archE1201ELNS1_3gpuE5ELNS1_3repE0EEENS1_30default_config_static_selectorELNS0_4arch9wavefront6targetE1EEEvT1_.kd
    .uniform_work_group_size: 1
    .uses_dynamic_stack: false
    .vgpr_count:     0
    .vgpr_spill_count: 0
    .wavefront_size: 64
  - .agpr_count:     0
    .args:
      - .offset:         0
        .size:           112
        .value_kind:     by_value
    .group_segment_fixed_size: 0
    .kernarg_segment_align: 8
    .kernarg_segment_size: 112
    .language:       OpenCL C
    .language_version:
      - 2
      - 0
    .max_flat_workgroup_size: 256
    .name:           _ZN7rocprim17ROCPRIM_400000_NS6detail17trampoline_kernelINS0_14default_configENS1_20scan_config_selectorIxEEZZNS1_9scan_implILNS1_25lookback_scan_determinismE0ELb0ELb0ES3_N6thrust23THRUST_200600_302600_NS6detail15normal_iteratorINS9_10device_ptrIxEEEENS9_16discard_iteratorINS9_11use_defaultEEExNS9_4plusIvEExEEDaPvRmT3_T4_T5_mT6_P12ihipStream_tbENKUlT_T0_E_clISt17integral_constantIbLb0EESX_EEDaSS_ST_EUlSS_E_NS1_11comp_targetILNS1_3genE10ELNS1_11target_archE1200ELNS1_3gpuE4ELNS1_3repE0EEENS1_30default_config_static_selectorELNS0_4arch9wavefront6targetE1EEEvT1_
    .private_segment_fixed_size: 0
    .sgpr_count:     4
    .sgpr_spill_count: 0
    .symbol:         _ZN7rocprim17ROCPRIM_400000_NS6detail17trampoline_kernelINS0_14default_configENS1_20scan_config_selectorIxEEZZNS1_9scan_implILNS1_25lookback_scan_determinismE0ELb0ELb0ES3_N6thrust23THRUST_200600_302600_NS6detail15normal_iteratorINS9_10device_ptrIxEEEENS9_16discard_iteratorINS9_11use_defaultEEExNS9_4plusIvEExEEDaPvRmT3_T4_T5_mT6_P12ihipStream_tbENKUlT_T0_E_clISt17integral_constantIbLb0EESX_EEDaSS_ST_EUlSS_E_NS1_11comp_targetILNS1_3genE10ELNS1_11target_archE1200ELNS1_3gpuE4ELNS1_3repE0EEENS1_30default_config_static_selectorELNS0_4arch9wavefront6targetE1EEEvT1_.kd
    .uniform_work_group_size: 1
    .uses_dynamic_stack: false
    .vgpr_count:     0
    .vgpr_spill_count: 0
    .wavefront_size: 64
  - .agpr_count:     0
    .args:
      - .offset:         0
        .size:           112
        .value_kind:     by_value
    .group_segment_fixed_size: 0
    .kernarg_segment_align: 8
    .kernarg_segment_size: 112
    .language:       OpenCL C
    .language_version:
      - 2
      - 0
    .max_flat_workgroup_size: 256
    .name:           _ZN7rocprim17ROCPRIM_400000_NS6detail17trampoline_kernelINS0_14default_configENS1_20scan_config_selectorIxEEZZNS1_9scan_implILNS1_25lookback_scan_determinismE0ELb0ELb0ES3_N6thrust23THRUST_200600_302600_NS6detail15normal_iteratorINS9_10device_ptrIxEEEENS9_16discard_iteratorINS9_11use_defaultEEExNS9_4plusIvEExEEDaPvRmT3_T4_T5_mT6_P12ihipStream_tbENKUlT_T0_E_clISt17integral_constantIbLb0EESX_EEDaSS_ST_EUlSS_E_NS1_11comp_targetILNS1_3genE9ELNS1_11target_archE1100ELNS1_3gpuE3ELNS1_3repE0EEENS1_30default_config_static_selectorELNS0_4arch9wavefront6targetE1EEEvT1_
    .private_segment_fixed_size: 0
    .sgpr_count:     4
    .sgpr_spill_count: 0
    .symbol:         _ZN7rocprim17ROCPRIM_400000_NS6detail17trampoline_kernelINS0_14default_configENS1_20scan_config_selectorIxEEZZNS1_9scan_implILNS1_25lookback_scan_determinismE0ELb0ELb0ES3_N6thrust23THRUST_200600_302600_NS6detail15normal_iteratorINS9_10device_ptrIxEEEENS9_16discard_iteratorINS9_11use_defaultEEExNS9_4plusIvEExEEDaPvRmT3_T4_T5_mT6_P12ihipStream_tbENKUlT_T0_E_clISt17integral_constantIbLb0EESX_EEDaSS_ST_EUlSS_E_NS1_11comp_targetILNS1_3genE9ELNS1_11target_archE1100ELNS1_3gpuE3ELNS1_3repE0EEENS1_30default_config_static_selectorELNS0_4arch9wavefront6targetE1EEEvT1_.kd
    .uniform_work_group_size: 1
    .uses_dynamic_stack: false
    .vgpr_count:     0
    .vgpr_spill_count: 0
    .wavefront_size: 64
  - .agpr_count:     0
    .args:
      - .offset:         0
        .size:           112
        .value_kind:     by_value
    .group_segment_fixed_size: 0
    .kernarg_segment_align: 8
    .kernarg_segment_size: 112
    .language:       OpenCL C
    .language_version:
      - 2
      - 0
    .max_flat_workgroup_size: 256
    .name:           _ZN7rocprim17ROCPRIM_400000_NS6detail17trampoline_kernelINS0_14default_configENS1_20scan_config_selectorIxEEZZNS1_9scan_implILNS1_25lookback_scan_determinismE0ELb0ELb0ES3_N6thrust23THRUST_200600_302600_NS6detail15normal_iteratorINS9_10device_ptrIxEEEENS9_16discard_iteratorINS9_11use_defaultEEExNS9_4plusIvEExEEDaPvRmT3_T4_T5_mT6_P12ihipStream_tbENKUlT_T0_E_clISt17integral_constantIbLb0EESX_EEDaSS_ST_EUlSS_E_NS1_11comp_targetILNS1_3genE8ELNS1_11target_archE1030ELNS1_3gpuE2ELNS1_3repE0EEENS1_30default_config_static_selectorELNS0_4arch9wavefront6targetE1EEEvT1_
    .private_segment_fixed_size: 0
    .sgpr_count:     4
    .sgpr_spill_count: 0
    .symbol:         _ZN7rocprim17ROCPRIM_400000_NS6detail17trampoline_kernelINS0_14default_configENS1_20scan_config_selectorIxEEZZNS1_9scan_implILNS1_25lookback_scan_determinismE0ELb0ELb0ES3_N6thrust23THRUST_200600_302600_NS6detail15normal_iteratorINS9_10device_ptrIxEEEENS9_16discard_iteratorINS9_11use_defaultEEExNS9_4plusIvEExEEDaPvRmT3_T4_T5_mT6_P12ihipStream_tbENKUlT_T0_E_clISt17integral_constantIbLb0EESX_EEDaSS_ST_EUlSS_E_NS1_11comp_targetILNS1_3genE8ELNS1_11target_archE1030ELNS1_3gpuE2ELNS1_3repE0EEENS1_30default_config_static_selectorELNS0_4arch9wavefront6targetE1EEEvT1_.kd
    .uniform_work_group_size: 1
    .uses_dynamic_stack: false
    .vgpr_count:     0
    .vgpr_spill_count: 0
    .wavefront_size: 64
  - .agpr_count:     0
    .args:
      - .offset:         0
        .size:           48
        .value_kind:     by_value
    .group_segment_fixed_size: 0
    .kernarg_segment_align: 8
    .kernarg_segment_size: 48
    .language:       OpenCL C
    .language_version:
      - 2
      - 0
    .max_flat_workgroup_size: 256
    .name:           _ZN7rocprim17ROCPRIM_400000_NS6detail17trampoline_kernelINS0_14default_configENS1_20scan_config_selectorIxEEZZNS1_9scan_implILNS1_25lookback_scan_determinismE0ELb0ELb0ES3_N6thrust23THRUST_200600_302600_NS6detail15normal_iteratorINS9_10device_ptrIxEEEENS9_16discard_iteratorINS9_11use_defaultEEExNS9_4plusIvEExEEDaPvRmT3_T4_T5_mT6_P12ihipStream_tbENKUlT_T0_E_clISt17integral_constantIbLb0EESX_EEDaSS_ST_EUlSS_E0_NS1_11comp_targetILNS1_3genE0ELNS1_11target_archE4294967295ELNS1_3gpuE0ELNS1_3repE0EEENS1_30default_config_static_selectorELNS0_4arch9wavefront6targetE1EEEvT1_
    .private_segment_fixed_size: 0
    .sgpr_count:     4
    .sgpr_spill_count: 0
    .symbol:         _ZN7rocprim17ROCPRIM_400000_NS6detail17trampoline_kernelINS0_14default_configENS1_20scan_config_selectorIxEEZZNS1_9scan_implILNS1_25lookback_scan_determinismE0ELb0ELb0ES3_N6thrust23THRUST_200600_302600_NS6detail15normal_iteratorINS9_10device_ptrIxEEEENS9_16discard_iteratorINS9_11use_defaultEEExNS9_4plusIvEExEEDaPvRmT3_T4_T5_mT6_P12ihipStream_tbENKUlT_T0_E_clISt17integral_constantIbLb0EESX_EEDaSS_ST_EUlSS_E0_NS1_11comp_targetILNS1_3genE0ELNS1_11target_archE4294967295ELNS1_3gpuE0ELNS1_3repE0EEENS1_30default_config_static_selectorELNS0_4arch9wavefront6targetE1EEEvT1_.kd
    .uniform_work_group_size: 1
    .uses_dynamic_stack: false
    .vgpr_count:     0
    .vgpr_spill_count: 0
    .wavefront_size: 64
  - .agpr_count:     0
    .args:
      - .offset:         0
        .size:           48
        .value_kind:     by_value
    .group_segment_fixed_size: 0
    .kernarg_segment_align: 8
    .kernarg_segment_size: 48
    .language:       OpenCL C
    .language_version:
      - 2
      - 0
    .max_flat_workgroup_size: 256
    .name:           _ZN7rocprim17ROCPRIM_400000_NS6detail17trampoline_kernelINS0_14default_configENS1_20scan_config_selectorIxEEZZNS1_9scan_implILNS1_25lookback_scan_determinismE0ELb0ELb0ES3_N6thrust23THRUST_200600_302600_NS6detail15normal_iteratorINS9_10device_ptrIxEEEENS9_16discard_iteratorINS9_11use_defaultEEExNS9_4plusIvEExEEDaPvRmT3_T4_T5_mT6_P12ihipStream_tbENKUlT_T0_E_clISt17integral_constantIbLb0EESX_EEDaSS_ST_EUlSS_E0_NS1_11comp_targetILNS1_3genE5ELNS1_11target_archE942ELNS1_3gpuE9ELNS1_3repE0EEENS1_30default_config_static_selectorELNS0_4arch9wavefront6targetE1EEEvT1_
    .private_segment_fixed_size: 0
    .sgpr_count:     4
    .sgpr_spill_count: 0
    .symbol:         _ZN7rocprim17ROCPRIM_400000_NS6detail17trampoline_kernelINS0_14default_configENS1_20scan_config_selectorIxEEZZNS1_9scan_implILNS1_25lookback_scan_determinismE0ELb0ELb0ES3_N6thrust23THRUST_200600_302600_NS6detail15normal_iteratorINS9_10device_ptrIxEEEENS9_16discard_iteratorINS9_11use_defaultEEExNS9_4plusIvEExEEDaPvRmT3_T4_T5_mT6_P12ihipStream_tbENKUlT_T0_E_clISt17integral_constantIbLb0EESX_EEDaSS_ST_EUlSS_E0_NS1_11comp_targetILNS1_3genE5ELNS1_11target_archE942ELNS1_3gpuE9ELNS1_3repE0EEENS1_30default_config_static_selectorELNS0_4arch9wavefront6targetE1EEEvT1_.kd
    .uniform_work_group_size: 1
    .uses_dynamic_stack: false
    .vgpr_count:     0
    .vgpr_spill_count: 0
    .wavefront_size: 64
  - .agpr_count:     0
    .args:
      - .offset:         0
        .size:           48
        .value_kind:     by_value
    .group_segment_fixed_size: 7168
    .kernarg_segment_align: 8
    .kernarg_segment_size: 48
    .language:       OpenCL C
    .language_version:
      - 2
      - 0
    .max_flat_workgroup_size: 128
    .name:           _ZN7rocprim17ROCPRIM_400000_NS6detail17trampoline_kernelINS0_14default_configENS1_20scan_config_selectorIxEEZZNS1_9scan_implILNS1_25lookback_scan_determinismE0ELb0ELb0ES3_N6thrust23THRUST_200600_302600_NS6detail15normal_iteratorINS9_10device_ptrIxEEEENS9_16discard_iteratorINS9_11use_defaultEEExNS9_4plusIvEExEEDaPvRmT3_T4_T5_mT6_P12ihipStream_tbENKUlT_T0_E_clISt17integral_constantIbLb0EESX_EEDaSS_ST_EUlSS_E0_NS1_11comp_targetILNS1_3genE4ELNS1_11target_archE910ELNS1_3gpuE8ELNS1_3repE0EEENS1_30default_config_static_selectorELNS0_4arch9wavefront6targetE1EEEvT1_
    .private_segment_fixed_size: 0
    .sgpr_count:     12
    .sgpr_spill_count: 0
    .symbol:         _ZN7rocprim17ROCPRIM_400000_NS6detail17trampoline_kernelINS0_14default_configENS1_20scan_config_selectorIxEEZZNS1_9scan_implILNS1_25lookback_scan_determinismE0ELb0ELb0ES3_N6thrust23THRUST_200600_302600_NS6detail15normal_iteratorINS9_10device_ptrIxEEEENS9_16discard_iteratorINS9_11use_defaultEEExNS9_4plusIvEExEEDaPvRmT3_T4_T5_mT6_P12ihipStream_tbENKUlT_T0_E_clISt17integral_constantIbLb0EESX_EEDaSS_ST_EUlSS_E0_NS1_11comp_targetILNS1_3genE4ELNS1_11target_archE910ELNS1_3gpuE8ELNS1_3repE0EEENS1_30default_config_static_selectorELNS0_4arch9wavefront6targetE1EEEvT1_.kd
    .uniform_work_group_size: 1
    .uses_dynamic_stack: false
    .vgpr_count:     41
    .vgpr_spill_count: 0
    .wavefront_size: 64
  - .agpr_count:     0
    .args:
      - .offset:         0
        .size:           48
        .value_kind:     by_value
    .group_segment_fixed_size: 0
    .kernarg_segment_align: 8
    .kernarg_segment_size: 48
    .language:       OpenCL C
    .language_version:
      - 2
      - 0
    .max_flat_workgroup_size: 256
    .name:           _ZN7rocprim17ROCPRIM_400000_NS6detail17trampoline_kernelINS0_14default_configENS1_20scan_config_selectorIxEEZZNS1_9scan_implILNS1_25lookback_scan_determinismE0ELb0ELb0ES3_N6thrust23THRUST_200600_302600_NS6detail15normal_iteratorINS9_10device_ptrIxEEEENS9_16discard_iteratorINS9_11use_defaultEEExNS9_4plusIvEExEEDaPvRmT3_T4_T5_mT6_P12ihipStream_tbENKUlT_T0_E_clISt17integral_constantIbLb0EESX_EEDaSS_ST_EUlSS_E0_NS1_11comp_targetILNS1_3genE3ELNS1_11target_archE908ELNS1_3gpuE7ELNS1_3repE0EEENS1_30default_config_static_selectorELNS0_4arch9wavefront6targetE1EEEvT1_
    .private_segment_fixed_size: 0
    .sgpr_count:     4
    .sgpr_spill_count: 0
    .symbol:         _ZN7rocprim17ROCPRIM_400000_NS6detail17trampoline_kernelINS0_14default_configENS1_20scan_config_selectorIxEEZZNS1_9scan_implILNS1_25lookback_scan_determinismE0ELb0ELb0ES3_N6thrust23THRUST_200600_302600_NS6detail15normal_iteratorINS9_10device_ptrIxEEEENS9_16discard_iteratorINS9_11use_defaultEEExNS9_4plusIvEExEEDaPvRmT3_T4_T5_mT6_P12ihipStream_tbENKUlT_T0_E_clISt17integral_constantIbLb0EESX_EEDaSS_ST_EUlSS_E0_NS1_11comp_targetILNS1_3genE3ELNS1_11target_archE908ELNS1_3gpuE7ELNS1_3repE0EEENS1_30default_config_static_selectorELNS0_4arch9wavefront6targetE1EEEvT1_.kd
    .uniform_work_group_size: 1
    .uses_dynamic_stack: false
    .vgpr_count:     0
    .vgpr_spill_count: 0
    .wavefront_size: 64
  - .agpr_count:     0
    .args:
      - .offset:         0
        .size:           48
        .value_kind:     by_value
    .group_segment_fixed_size: 0
    .kernarg_segment_align: 8
    .kernarg_segment_size: 48
    .language:       OpenCL C
    .language_version:
      - 2
      - 0
    .max_flat_workgroup_size: 64
    .name:           _ZN7rocprim17ROCPRIM_400000_NS6detail17trampoline_kernelINS0_14default_configENS1_20scan_config_selectorIxEEZZNS1_9scan_implILNS1_25lookback_scan_determinismE0ELb0ELb0ES3_N6thrust23THRUST_200600_302600_NS6detail15normal_iteratorINS9_10device_ptrIxEEEENS9_16discard_iteratorINS9_11use_defaultEEExNS9_4plusIvEExEEDaPvRmT3_T4_T5_mT6_P12ihipStream_tbENKUlT_T0_E_clISt17integral_constantIbLb0EESX_EEDaSS_ST_EUlSS_E0_NS1_11comp_targetILNS1_3genE2ELNS1_11target_archE906ELNS1_3gpuE6ELNS1_3repE0EEENS1_30default_config_static_selectorELNS0_4arch9wavefront6targetE1EEEvT1_
    .private_segment_fixed_size: 0
    .sgpr_count:     4
    .sgpr_spill_count: 0
    .symbol:         _ZN7rocprim17ROCPRIM_400000_NS6detail17trampoline_kernelINS0_14default_configENS1_20scan_config_selectorIxEEZZNS1_9scan_implILNS1_25lookback_scan_determinismE0ELb0ELb0ES3_N6thrust23THRUST_200600_302600_NS6detail15normal_iteratorINS9_10device_ptrIxEEEENS9_16discard_iteratorINS9_11use_defaultEEExNS9_4plusIvEExEEDaPvRmT3_T4_T5_mT6_P12ihipStream_tbENKUlT_T0_E_clISt17integral_constantIbLb0EESX_EEDaSS_ST_EUlSS_E0_NS1_11comp_targetILNS1_3genE2ELNS1_11target_archE906ELNS1_3gpuE6ELNS1_3repE0EEENS1_30default_config_static_selectorELNS0_4arch9wavefront6targetE1EEEvT1_.kd
    .uniform_work_group_size: 1
    .uses_dynamic_stack: false
    .vgpr_count:     0
    .vgpr_spill_count: 0
    .wavefront_size: 64
  - .agpr_count:     0
    .args:
      - .offset:         0
        .size:           48
        .value_kind:     by_value
    .group_segment_fixed_size: 0
    .kernarg_segment_align: 8
    .kernarg_segment_size: 48
    .language:       OpenCL C
    .language_version:
      - 2
      - 0
    .max_flat_workgroup_size: 256
    .name:           _ZN7rocprim17ROCPRIM_400000_NS6detail17trampoline_kernelINS0_14default_configENS1_20scan_config_selectorIxEEZZNS1_9scan_implILNS1_25lookback_scan_determinismE0ELb0ELb0ES3_N6thrust23THRUST_200600_302600_NS6detail15normal_iteratorINS9_10device_ptrIxEEEENS9_16discard_iteratorINS9_11use_defaultEEExNS9_4plusIvEExEEDaPvRmT3_T4_T5_mT6_P12ihipStream_tbENKUlT_T0_E_clISt17integral_constantIbLb0EESX_EEDaSS_ST_EUlSS_E0_NS1_11comp_targetILNS1_3genE10ELNS1_11target_archE1201ELNS1_3gpuE5ELNS1_3repE0EEENS1_30default_config_static_selectorELNS0_4arch9wavefront6targetE1EEEvT1_
    .private_segment_fixed_size: 0
    .sgpr_count:     4
    .sgpr_spill_count: 0
    .symbol:         _ZN7rocprim17ROCPRIM_400000_NS6detail17trampoline_kernelINS0_14default_configENS1_20scan_config_selectorIxEEZZNS1_9scan_implILNS1_25lookback_scan_determinismE0ELb0ELb0ES3_N6thrust23THRUST_200600_302600_NS6detail15normal_iteratorINS9_10device_ptrIxEEEENS9_16discard_iteratorINS9_11use_defaultEEExNS9_4plusIvEExEEDaPvRmT3_T4_T5_mT6_P12ihipStream_tbENKUlT_T0_E_clISt17integral_constantIbLb0EESX_EEDaSS_ST_EUlSS_E0_NS1_11comp_targetILNS1_3genE10ELNS1_11target_archE1201ELNS1_3gpuE5ELNS1_3repE0EEENS1_30default_config_static_selectorELNS0_4arch9wavefront6targetE1EEEvT1_.kd
    .uniform_work_group_size: 1
    .uses_dynamic_stack: false
    .vgpr_count:     0
    .vgpr_spill_count: 0
    .wavefront_size: 64
  - .agpr_count:     0
    .args:
      - .offset:         0
        .size:           48
        .value_kind:     by_value
    .group_segment_fixed_size: 0
    .kernarg_segment_align: 8
    .kernarg_segment_size: 48
    .language:       OpenCL C
    .language_version:
      - 2
      - 0
    .max_flat_workgroup_size: 256
    .name:           _ZN7rocprim17ROCPRIM_400000_NS6detail17trampoline_kernelINS0_14default_configENS1_20scan_config_selectorIxEEZZNS1_9scan_implILNS1_25lookback_scan_determinismE0ELb0ELb0ES3_N6thrust23THRUST_200600_302600_NS6detail15normal_iteratorINS9_10device_ptrIxEEEENS9_16discard_iteratorINS9_11use_defaultEEExNS9_4plusIvEExEEDaPvRmT3_T4_T5_mT6_P12ihipStream_tbENKUlT_T0_E_clISt17integral_constantIbLb0EESX_EEDaSS_ST_EUlSS_E0_NS1_11comp_targetILNS1_3genE10ELNS1_11target_archE1200ELNS1_3gpuE4ELNS1_3repE0EEENS1_30default_config_static_selectorELNS0_4arch9wavefront6targetE1EEEvT1_
    .private_segment_fixed_size: 0
    .sgpr_count:     4
    .sgpr_spill_count: 0
    .symbol:         _ZN7rocprim17ROCPRIM_400000_NS6detail17trampoline_kernelINS0_14default_configENS1_20scan_config_selectorIxEEZZNS1_9scan_implILNS1_25lookback_scan_determinismE0ELb0ELb0ES3_N6thrust23THRUST_200600_302600_NS6detail15normal_iteratorINS9_10device_ptrIxEEEENS9_16discard_iteratorINS9_11use_defaultEEExNS9_4plusIvEExEEDaPvRmT3_T4_T5_mT6_P12ihipStream_tbENKUlT_T0_E_clISt17integral_constantIbLb0EESX_EEDaSS_ST_EUlSS_E0_NS1_11comp_targetILNS1_3genE10ELNS1_11target_archE1200ELNS1_3gpuE4ELNS1_3repE0EEENS1_30default_config_static_selectorELNS0_4arch9wavefront6targetE1EEEvT1_.kd
    .uniform_work_group_size: 1
    .uses_dynamic_stack: false
    .vgpr_count:     0
    .vgpr_spill_count: 0
    .wavefront_size: 64
  - .agpr_count:     0
    .args:
      - .offset:         0
        .size:           48
        .value_kind:     by_value
    .group_segment_fixed_size: 0
    .kernarg_segment_align: 8
    .kernarg_segment_size: 48
    .language:       OpenCL C
    .language_version:
      - 2
      - 0
    .max_flat_workgroup_size: 256
    .name:           _ZN7rocprim17ROCPRIM_400000_NS6detail17trampoline_kernelINS0_14default_configENS1_20scan_config_selectorIxEEZZNS1_9scan_implILNS1_25lookback_scan_determinismE0ELb0ELb0ES3_N6thrust23THRUST_200600_302600_NS6detail15normal_iteratorINS9_10device_ptrIxEEEENS9_16discard_iteratorINS9_11use_defaultEEExNS9_4plusIvEExEEDaPvRmT3_T4_T5_mT6_P12ihipStream_tbENKUlT_T0_E_clISt17integral_constantIbLb0EESX_EEDaSS_ST_EUlSS_E0_NS1_11comp_targetILNS1_3genE9ELNS1_11target_archE1100ELNS1_3gpuE3ELNS1_3repE0EEENS1_30default_config_static_selectorELNS0_4arch9wavefront6targetE1EEEvT1_
    .private_segment_fixed_size: 0
    .sgpr_count:     4
    .sgpr_spill_count: 0
    .symbol:         _ZN7rocprim17ROCPRIM_400000_NS6detail17trampoline_kernelINS0_14default_configENS1_20scan_config_selectorIxEEZZNS1_9scan_implILNS1_25lookback_scan_determinismE0ELb0ELb0ES3_N6thrust23THRUST_200600_302600_NS6detail15normal_iteratorINS9_10device_ptrIxEEEENS9_16discard_iteratorINS9_11use_defaultEEExNS9_4plusIvEExEEDaPvRmT3_T4_T5_mT6_P12ihipStream_tbENKUlT_T0_E_clISt17integral_constantIbLb0EESX_EEDaSS_ST_EUlSS_E0_NS1_11comp_targetILNS1_3genE9ELNS1_11target_archE1100ELNS1_3gpuE3ELNS1_3repE0EEENS1_30default_config_static_selectorELNS0_4arch9wavefront6targetE1EEEvT1_.kd
    .uniform_work_group_size: 1
    .uses_dynamic_stack: false
    .vgpr_count:     0
    .vgpr_spill_count: 0
    .wavefront_size: 64
  - .agpr_count:     0
    .args:
      - .offset:         0
        .size:           48
        .value_kind:     by_value
    .group_segment_fixed_size: 0
    .kernarg_segment_align: 8
    .kernarg_segment_size: 48
    .language:       OpenCL C
    .language_version:
      - 2
      - 0
    .max_flat_workgroup_size: 256
    .name:           _ZN7rocprim17ROCPRIM_400000_NS6detail17trampoline_kernelINS0_14default_configENS1_20scan_config_selectorIxEEZZNS1_9scan_implILNS1_25lookback_scan_determinismE0ELb0ELb0ES3_N6thrust23THRUST_200600_302600_NS6detail15normal_iteratorINS9_10device_ptrIxEEEENS9_16discard_iteratorINS9_11use_defaultEEExNS9_4plusIvEExEEDaPvRmT3_T4_T5_mT6_P12ihipStream_tbENKUlT_T0_E_clISt17integral_constantIbLb0EESX_EEDaSS_ST_EUlSS_E0_NS1_11comp_targetILNS1_3genE8ELNS1_11target_archE1030ELNS1_3gpuE2ELNS1_3repE0EEENS1_30default_config_static_selectorELNS0_4arch9wavefront6targetE1EEEvT1_
    .private_segment_fixed_size: 0
    .sgpr_count:     4
    .sgpr_spill_count: 0
    .symbol:         _ZN7rocprim17ROCPRIM_400000_NS6detail17trampoline_kernelINS0_14default_configENS1_20scan_config_selectorIxEEZZNS1_9scan_implILNS1_25lookback_scan_determinismE0ELb0ELb0ES3_N6thrust23THRUST_200600_302600_NS6detail15normal_iteratorINS9_10device_ptrIxEEEENS9_16discard_iteratorINS9_11use_defaultEEExNS9_4plusIvEExEEDaPvRmT3_T4_T5_mT6_P12ihipStream_tbENKUlT_T0_E_clISt17integral_constantIbLb0EESX_EEDaSS_ST_EUlSS_E0_NS1_11comp_targetILNS1_3genE8ELNS1_11target_archE1030ELNS1_3gpuE2ELNS1_3repE0EEENS1_30default_config_static_selectorELNS0_4arch9wavefront6targetE1EEEvT1_.kd
    .uniform_work_group_size: 1
    .uses_dynamic_stack: false
    .vgpr_count:     0
    .vgpr_spill_count: 0
    .wavefront_size: 64
  - .agpr_count:     0
    .args:
      - .offset:         0
        .size:           112
        .value_kind:     by_value
    .group_segment_fixed_size: 0
    .kernarg_segment_align: 8
    .kernarg_segment_size: 112
    .language:       OpenCL C
    .language_version:
      - 2
      - 0
    .max_flat_workgroup_size: 256
    .name:           _ZN7rocprim17ROCPRIM_400000_NS6detail17trampoline_kernelINS0_14default_configENS1_20scan_config_selectorIxEEZZNS1_9scan_implILNS1_25lookback_scan_determinismE0ELb0ELb0ES3_N6thrust23THRUST_200600_302600_NS6detail15normal_iteratorINS9_10device_ptrIxEEEENS9_16discard_iteratorINS9_11use_defaultEEExNS9_4plusIvEExEEDaPvRmT3_T4_T5_mT6_P12ihipStream_tbENKUlT_T0_E_clISt17integral_constantIbLb1EESX_EEDaSS_ST_EUlSS_E_NS1_11comp_targetILNS1_3genE0ELNS1_11target_archE4294967295ELNS1_3gpuE0ELNS1_3repE0EEENS1_30default_config_static_selectorELNS0_4arch9wavefront6targetE1EEEvT1_
    .private_segment_fixed_size: 0
    .sgpr_count:     4
    .sgpr_spill_count: 0
    .symbol:         _ZN7rocprim17ROCPRIM_400000_NS6detail17trampoline_kernelINS0_14default_configENS1_20scan_config_selectorIxEEZZNS1_9scan_implILNS1_25lookback_scan_determinismE0ELb0ELb0ES3_N6thrust23THRUST_200600_302600_NS6detail15normal_iteratorINS9_10device_ptrIxEEEENS9_16discard_iteratorINS9_11use_defaultEEExNS9_4plusIvEExEEDaPvRmT3_T4_T5_mT6_P12ihipStream_tbENKUlT_T0_E_clISt17integral_constantIbLb1EESX_EEDaSS_ST_EUlSS_E_NS1_11comp_targetILNS1_3genE0ELNS1_11target_archE4294967295ELNS1_3gpuE0ELNS1_3repE0EEENS1_30default_config_static_selectorELNS0_4arch9wavefront6targetE1EEEvT1_.kd
    .uniform_work_group_size: 1
    .uses_dynamic_stack: false
    .vgpr_count:     0
    .vgpr_spill_count: 0
    .wavefront_size: 64
  - .agpr_count:     0
    .args:
      - .offset:         0
        .size:           112
        .value_kind:     by_value
    .group_segment_fixed_size: 0
    .kernarg_segment_align: 8
    .kernarg_segment_size: 112
    .language:       OpenCL C
    .language_version:
      - 2
      - 0
    .max_flat_workgroup_size: 256
    .name:           _ZN7rocprim17ROCPRIM_400000_NS6detail17trampoline_kernelINS0_14default_configENS1_20scan_config_selectorIxEEZZNS1_9scan_implILNS1_25lookback_scan_determinismE0ELb0ELb0ES3_N6thrust23THRUST_200600_302600_NS6detail15normal_iteratorINS9_10device_ptrIxEEEENS9_16discard_iteratorINS9_11use_defaultEEExNS9_4plusIvEExEEDaPvRmT3_T4_T5_mT6_P12ihipStream_tbENKUlT_T0_E_clISt17integral_constantIbLb1EESX_EEDaSS_ST_EUlSS_E_NS1_11comp_targetILNS1_3genE5ELNS1_11target_archE942ELNS1_3gpuE9ELNS1_3repE0EEENS1_30default_config_static_selectorELNS0_4arch9wavefront6targetE1EEEvT1_
    .private_segment_fixed_size: 0
    .sgpr_count:     4
    .sgpr_spill_count: 0
    .symbol:         _ZN7rocprim17ROCPRIM_400000_NS6detail17trampoline_kernelINS0_14default_configENS1_20scan_config_selectorIxEEZZNS1_9scan_implILNS1_25lookback_scan_determinismE0ELb0ELb0ES3_N6thrust23THRUST_200600_302600_NS6detail15normal_iteratorINS9_10device_ptrIxEEEENS9_16discard_iteratorINS9_11use_defaultEEExNS9_4plusIvEExEEDaPvRmT3_T4_T5_mT6_P12ihipStream_tbENKUlT_T0_E_clISt17integral_constantIbLb1EESX_EEDaSS_ST_EUlSS_E_NS1_11comp_targetILNS1_3genE5ELNS1_11target_archE942ELNS1_3gpuE9ELNS1_3repE0EEENS1_30default_config_static_selectorELNS0_4arch9wavefront6targetE1EEEvT1_.kd
    .uniform_work_group_size: 1
    .uses_dynamic_stack: false
    .vgpr_count:     0
    .vgpr_spill_count: 0
    .wavefront_size: 64
  - .agpr_count:     0
    .args:
      - .offset:         0
        .size:           112
        .value_kind:     by_value
    .group_segment_fixed_size: 7168
    .kernarg_segment_align: 8
    .kernarg_segment_size: 112
    .language:       OpenCL C
    .language_version:
      - 2
      - 0
    .max_flat_workgroup_size: 128
    .name:           _ZN7rocprim17ROCPRIM_400000_NS6detail17trampoline_kernelINS0_14default_configENS1_20scan_config_selectorIxEEZZNS1_9scan_implILNS1_25lookback_scan_determinismE0ELb0ELb0ES3_N6thrust23THRUST_200600_302600_NS6detail15normal_iteratorINS9_10device_ptrIxEEEENS9_16discard_iteratorINS9_11use_defaultEEExNS9_4plusIvEExEEDaPvRmT3_T4_T5_mT6_P12ihipStream_tbENKUlT_T0_E_clISt17integral_constantIbLb1EESX_EEDaSS_ST_EUlSS_E_NS1_11comp_targetILNS1_3genE4ELNS1_11target_archE910ELNS1_3gpuE8ELNS1_3repE0EEENS1_30default_config_static_selectorELNS0_4arch9wavefront6targetE1EEEvT1_
    .private_segment_fixed_size: 0
    .sgpr_count:     34
    .sgpr_spill_count: 0
    .symbol:         _ZN7rocprim17ROCPRIM_400000_NS6detail17trampoline_kernelINS0_14default_configENS1_20scan_config_selectorIxEEZZNS1_9scan_implILNS1_25lookback_scan_determinismE0ELb0ELb0ES3_N6thrust23THRUST_200600_302600_NS6detail15normal_iteratorINS9_10device_ptrIxEEEENS9_16discard_iteratorINS9_11use_defaultEEExNS9_4plusIvEExEEDaPvRmT3_T4_T5_mT6_P12ihipStream_tbENKUlT_T0_E_clISt17integral_constantIbLb1EESX_EEDaSS_ST_EUlSS_E_NS1_11comp_targetILNS1_3genE4ELNS1_11target_archE910ELNS1_3gpuE8ELNS1_3repE0EEENS1_30default_config_static_selectorELNS0_4arch9wavefront6targetE1EEEvT1_.kd
    .uniform_work_group_size: 1
    .uses_dynamic_stack: false
    .vgpr_count:     50
    .vgpr_spill_count: 0
    .wavefront_size: 64
  - .agpr_count:     0
    .args:
      - .offset:         0
        .size:           112
        .value_kind:     by_value
    .group_segment_fixed_size: 0
    .kernarg_segment_align: 8
    .kernarg_segment_size: 112
    .language:       OpenCL C
    .language_version:
      - 2
      - 0
    .max_flat_workgroup_size: 256
    .name:           _ZN7rocprim17ROCPRIM_400000_NS6detail17trampoline_kernelINS0_14default_configENS1_20scan_config_selectorIxEEZZNS1_9scan_implILNS1_25lookback_scan_determinismE0ELb0ELb0ES3_N6thrust23THRUST_200600_302600_NS6detail15normal_iteratorINS9_10device_ptrIxEEEENS9_16discard_iteratorINS9_11use_defaultEEExNS9_4plusIvEExEEDaPvRmT3_T4_T5_mT6_P12ihipStream_tbENKUlT_T0_E_clISt17integral_constantIbLb1EESX_EEDaSS_ST_EUlSS_E_NS1_11comp_targetILNS1_3genE3ELNS1_11target_archE908ELNS1_3gpuE7ELNS1_3repE0EEENS1_30default_config_static_selectorELNS0_4arch9wavefront6targetE1EEEvT1_
    .private_segment_fixed_size: 0
    .sgpr_count:     4
    .sgpr_spill_count: 0
    .symbol:         _ZN7rocprim17ROCPRIM_400000_NS6detail17trampoline_kernelINS0_14default_configENS1_20scan_config_selectorIxEEZZNS1_9scan_implILNS1_25lookback_scan_determinismE0ELb0ELb0ES3_N6thrust23THRUST_200600_302600_NS6detail15normal_iteratorINS9_10device_ptrIxEEEENS9_16discard_iteratorINS9_11use_defaultEEExNS9_4plusIvEExEEDaPvRmT3_T4_T5_mT6_P12ihipStream_tbENKUlT_T0_E_clISt17integral_constantIbLb1EESX_EEDaSS_ST_EUlSS_E_NS1_11comp_targetILNS1_3genE3ELNS1_11target_archE908ELNS1_3gpuE7ELNS1_3repE0EEENS1_30default_config_static_selectorELNS0_4arch9wavefront6targetE1EEEvT1_.kd
    .uniform_work_group_size: 1
    .uses_dynamic_stack: false
    .vgpr_count:     0
    .vgpr_spill_count: 0
    .wavefront_size: 64
  - .agpr_count:     0
    .args:
      - .offset:         0
        .size:           112
        .value_kind:     by_value
    .group_segment_fixed_size: 0
    .kernarg_segment_align: 8
    .kernarg_segment_size: 112
    .language:       OpenCL C
    .language_version:
      - 2
      - 0
    .max_flat_workgroup_size: 64
    .name:           _ZN7rocprim17ROCPRIM_400000_NS6detail17trampoline_kernelINS0_14default_configENS1_20scan_config_selectorIxEEZZNS1_9scan_implILNS1_25lookback_scan_determinismE0ELb0ELb0ES3_N6thrust23THRUST_200600_302600_NS6detail15normal_iteratorINS9_10device_ptrIxEEEENS9_16discard_iteratorINS9_11use_defaultEEExNS9_4plusIvEExEEDaPvRmT3_T4_T5_mT6_P12ihipStream_tbENKUlT_T0_E_clISt17integral_constantIbLb1EESX_EEDaSS_ST_EUlSS_E_NS1_11comp_targetILNS1_3genE2ELNS1_11target_archE906ELNS1_3gpuE6ELNS1_3repE0EEENS1_30default_config_static_selectorELNS0_4arch9wavefront6targetE1EEEvT1_
    .private_segment_fixed_size: 0
    .sgpr_count:     4
    .sgpr_spill_count: 0
    .symbol:         _ZN7rocprim17ROCPRIM_400000_NS6detail17trampoline_kernelINS0_14default_configENS1_20scan_config_selectorIxEEZZNS1_9scan_implILNS1_25lookback_scan_determinismE0ELb0ELb0ES3_N6thrust23THRUST_200600_302600_NS6detail15normal_iteratorINS9_10device_ptrIxEEEENS9_16discard_iteratorINS9_11use_defaultEEExNS9_4plusIvEExEEDaPvRmT3_T4_T5_mT6_P12ihipStream_tbENKUlT_T0_E_clISt17integral_constantIbLb1EESX_EEDaSS_ST_EUlSS_E_NS1_11comp_targetILNS1_3genE2ELNS1_11target_archE906ELNS1_3gpuE6ELNS1_3repE0EEENS1_30default_config_static_selectorELNS0_4arch9wavefront6targetE1EEEvT1_.kd
    .uniform_work_group_size: 1
    .uses_dynamic_stack: false
    .vgpr_count:     0
    .vgpr_spill_count: 0
    .wavefront_size: 64
  - .agpr_count:     0
    .args:
      - .offset:         0
        .size:           112
        .value_kind:     by_value
    .group_segment_fixed_size: 0
    .kernarg_segment_align: 8
    .kernarg_segment_size: 112
    .language:       OpenCL C
    .language_version:
      - 2
      - 0
    .max_flat_workgroup_size: 256
    .name:           _ZN7rocprim17ROCPRIM_400000_NS6detail17trampoline_kernelINS0_14default_configENS1_20scan_config_selectorIxEEZZNS1_9scan_implILNS1_25lookback_scan_determinismE0ELb0ELb0ES3_N6thrust23THRUST_200600_302600_NS6detail15normal_iteratorINS9_10device_ptrIxEEEENS9_16discard_iteratorINS9_11use_defaultEEExNS9_4plusIvEExEEDaPvRmT3_T4_T5_mT6_P12ihipStream_tbENKUlT_T0_E_clISt17integral_constantIbLb1EESX_EEDaSS_ST_EUlSS_E_NS1_11comp_targetILNS1_3genE10ELNS1_11target_archE1201ELNS1_3gpuE5ELNS1_3repE0EEENS1_30default_config_static_selectorELNS0_4arch9wavefront6targetE1EEEvT1_
    .private_segment_fixed_size: 0
    .sgpr_count:     4
    .sgpr_spill_count: 0
    .symbol:         _ZN7rocprim17ROCPRIM_400000_NS6detail17trampoline_kernelINS0_14default_configENS1_20scan_config_selectorIxEEZZNS1_9scan_implILNS1_25lookback_scan_determinismE0ELb0ELb0ES3_N6thrust23THRUST_200600_302600_NS6detail15normal_iteratorINS9_10device_ptrIxEEEENS9_16discard_iteratorINS9_11use_defaultEEExNS9_4plusIvEExEEDaPvRmT3_T4_T5_mT6_P12ihipStream_tbENKUlT_T0_E_clISt17integral_constantIbLb1EESX_EEDaSS_ST_EUlSS_E_NS1_11comp_targetILNS1_3genE10ELNS1_11target_archE1201ELNS1_3gpuE5ELNS1_3repE0EEENS1_30default_config_static_selectorELNS0_4arch9wavefront6targetE1EEEvT1_.kd
    .uniform_work_group_size: 1
    .uses_dynamic_stack: false
    .vgpr_count:     0
    .vgpr_spill_count: 0
    .wavefront_size: 64
  - .agpr_count:     0
    .args:
      - .offset:         0
        .size:           112
        .value_kind:     by_value
    .group_segment_fixed_size: 0
    .kernarg_segment_align: 8
    .kernarg_segment_size: 112
    .language:       OpenCL C
    .language_version:
      - 2
      - 0
    .max_flat_workgroup_size: 256
    .name:           _ZN7rocprim17ROCPRIM_400000_NS6detail17trampoline_kernelINS0_14default_configENS1_20scan_config_selectorIxEEZZNS1_9scan_implILNS1_25lookback_scan_determinismE0ELb0ELb0ES3_N6thrust23THRUST_200600_302600_NS6detail15normal_iteratorINS9_10device_ptrIxEEEENS9_16discard_iteratorINS9_11use_defaultEEExNS9_4plusIvEExEEDaPvRmT3_T4_T5_mT6_P12ihipStream_tbENKUlT_T0_E_clISt17integral_constantIbLb1EESX_EEDaSS_ST_EUlSS_E_NS1_11comp_targetILNS1_3genE10ELNS1_11target_archE1200ELNS1_3gpuE4ELNS1_3repE0EEENS1_30default_config_static_selectorELNS0_4arch9wavefront6targetE1EEEvT1_
    .private_segment_fixed_size: 0
    .sgpr_count:     4
    .sgpr_spill_count: 0
    .symbol:         _ZN7rocprim17ROCPRIM_400000_NS6detail17trampoline_kernelINS0_14default_configENS1_20scan_config_selectorIxEEZZNS1_9scan_implILNS1_25lookback_scan_determinismE0ELb0ELb0ES3_N6thrust23THRUST_200600_302600_NS6detail15normal_iteratorINS9_10device_ptrIxEEEENS9_16discard_iteratorINS9_11use_defaultEEExNS9_4plusIvEExEEDaPvRmT3_T4_T5_mT6_P12ihipStream_tbENKUlT_T0_E_clISt17integral_constantIbLb1EESX_EEDaSS_ST_EUlSS_E_NS1_11comp_targetILNS1_3genE10ELNS1_11target_archE1200ELNS1_3gpuE4ELNS1_3repE0EEENS1_30default_config_static_selectorELNS0_4arch9wavefront6targetE1EEEvT1_.kd
    .uniform_work_group_size: 1
    .uses_dynamic_stack: false
    .vgpr_count:     0
    .vgpr_spill_count: 0
    .wavefront_size: 64
  - .agpr_count:     0
    .args:
      - .offset:         0
        .size:           112
        .value_kind:     by_value
    .group_segment_fixed_size: 0
    .kernarg_segment_align: 8
    .kernarg_segment_size: 112
    .language:       OpenCL C
    .language_version:
      - 2
      - 0
    .max_flat_workgroup_size: 256
    .name:           _ZN7rocprim17ROCPRIM_400000_NS6detail17trampoline_kernelINS0_14default_configENS1_20scan_config_selectorIxEEZZNS1_9scan_implILNS1_25lookback_scan_determinismE0ELb0ELb0ES3_N6thrust23THRUST_200600_302600_NS6detail15normal_iteratorINS9_10device_ptrIxEEEENS9_16discard_iteratorINS9_11use_defaultEEExNS9_4plusIvEExEEDaPvRmT3_T4_T5_mT6_P12ihipStream_tbENKUlT_T0_E_clISt17integral_constantIbLb1EESX_EEDaSS_ST_EUlSS_E_NS1_11comp_targetILNS1_3genE9ELNS1_11target_archE1100ELNS1_3gpuE3ELNS1_3repE0EEENS1_30default_config_static_selectorELNS0_4arch9wavefront6targetE1EEEvT1_
    .private_segment_fixed_size: 0
    .sgpr_count:     4
    .sgpr_spill_count: 0
    .symbol:         _ZN7rocprim17ROCPRIM_400000_NS6detail17trampoline_kernelINS0_14default_configENS1_20scan_config_selectorIxEEZZNS1_9scan_implILNS1_25lookback_scan_determinismE0ELb0ELb0ES3_N6thrust23THRUST_200600_302600_NS6detail15normal_iteratorINS9_10device_ptrIxEEEENS9_16discard_iteratorINS9_11use_defaultEEExNS9_4plusIvEExEEDaPvRmT3_T4_T5_mT6_P12ihipStream_tbENKUlT_T0_E_clISt17integral_constantIbLb1EESX_EEDaSS_ST_EUlSS_E_NS1_11comp_targetILNS1_3genE9ELNS1_11target_archE1100ELNS1_3gpuE3ELNS1_3repE0EEENS1_30default_config_static_selectorELNS0_4arch9wavefront6targetE1EEEvT1_.kd
    .uniform_work_group_size: 1
    .uses_dynamic_stack: false
    .vgpr_count:     0
    .vgpr_spill_count: 0
    .wavefront_size: 64
  - .agpr_count:     0
    .args:
      - .offset:         0
        .size:           112
        .value_kind:     by_value
    .group_segment_fixed_size: 0
    .kernarg_segment_align: 8
    .kernarg_segment_size: 112
    .language:       OpenCL C
    .language_version:
      - 2
      - 0
    .max_flat_workgroup_size: 256
    .name:           _ZN7rocprim17ROCPRIM_400000_NS6detail17trampoline_kernelINS0_14default_configENS1_20scan_config_selectorIxEEZZNS1_9scan_implILNS1_25lookback_scan_determinismE0ELb0ELb0ES3_N6thrust23THRUST_200600_302600_NS6detail15normal_iteratorINS9_10device_ptrIxEEEENS9_16discard_iteratorINS9_11use_defaultEEExNS9_4plusIvEExEEDaPvRmT3_T4_T5_mT6_P12ihipStream_tbENKUlT_T0_E_clISt17integral_constantIbLb1EESX_EEDaSS_ST_EUlSS_E_NS1_11comp_targetILNS1_3genE8ELNS1_11target_archE1030ELNS1_3gpuE2ELNS1_3repE0EEENS1_30default_config_static_selectorELNS0_4arch9wavefront6targetE1EEEvT1_
    .private_segment_fixed_size: 0
    .sgpr_count:     4
    .sgpr_spill_count: 0
    .symbol:         _ZN7rocprim17ROCPRIM_400000_NS6detail17trampoline_kernelINS0_14default_configENS1_20scan_config_selectorIxEEZZNS1_9scan_implILNS1_25lookback_scan_determinismE0ELb0ELb0ES3_N6thrust23THRUST_200600_302600_NS6detail15normal_iteratorINS9_10device_ptrIxEEEENS9_16discard_iteratorINS9_11use_defaultEEExNS9_4plusIvEExEEDaPvRmT3_T4_T5_mT6_P12ihipStream_tbENKUlT_T0_E_clISt17integral_constantIbLb1EESX_EEDaSS_ST_EUlSS_E_NS1_11comp_targetILNS1_3genE8ELNS1_11target_archE1030ELNS1_3gpuE2ELNS1_3repE0EEENS1_30default_config_static_selectorELNS0_4arch9wavefront6targetE1EEEvT1_.kd
    .uniform_work_group_size: 1
    .uses_dynamic_stack: false
    .vgpr_count:     0
    .vgpr_spill_count: 0
    .wavefront_size: 64
  - .agpr_count:     0
    .args:
      - .offset:         0
        .size:           48
        .value_kind:     by_value
    .group_segment_fixed_size: 0
    .kernarg_segment_align: 8
    .kernarg_segment_size: 48
    .language:       OpenCL C
    .language_version:
      - 2
      - 0
    .max_flat_workgroup_size: 256
    .name:           _ZN7rocprim17ROCPRIM_400000_NS6detail17trampoline_kernelINS0_14default_configENS1_20scan_config_selectorIxEEZZNS1_9scan_implILNS1_25lookback_scan_determinismE0ELb0ELb0ES3_N6thrust23THRUST_200600_302600_NS6detail15normal_iteratorINS9_10device_ptrIxEEEENS9_16discard_iteratorINS9_11use_defaultEEExNS9_4plusIvEExEEDaPvRmT3_T4_T5_mT6_P12ihipStream_tbENKUlT_T0_E_clISt17integral_constantIbLb1EESX_EEDaSS_ST_EUlSS_E0_NS1_11comp_targetILNS1_3genE0ELNS1_11target_archE4294967295ELNS1_3gpuE0ELNS1_3repE0EEENS1_30default_config_static_selectorELNS0_4arch9wavefront6targetE1EEEvT1_
    .private_segment_fixed_size: 0
    .sgpr_count:     4
    .sgpr_spill_count: 0
    .symbol:         _ZN7rocprim17ROCPRIM_400000_NS6detail17trampoline_kernelINS0_14default_configENS1_20scan_config_selectorIxEEZZNS1_9scan_implILNS1_25lookback_scan_determinismE0ELb0ELb0ES3_N6thrust23THRUST_200600_302600_NS6detail15normal_iteratorINS9_10device_ptrIxEEEENS9_16discard_iteratorINS9_11use_defaultEEExNS9_4plusIvEExEEDaPvRmT3_T4_T5_mT6_P12ihipStream_tbENKUlT_T0_E_clISt17integral_constantIbLb1EESX_EEDaSS_ST_EUlSS_E0_NS1_11comp_targetILNS1_3genE0ELNS1_11target_archE4294967295ELNS1_3gpuE0ELNS1_3repE0EEENS1_30default_config_static_selectorELNS0_4arch9wavefront6targetE1EEEvT1_.kd
    .uniform_work_group_size: 1
    .uses_dynamic_stack: false
    .vgpr_count:     0
    .vgpr_spill_count: 0
    .wavefront_size: 64
  - .agpr_count:     0
    .args:
      - .offset:         0
        .size:           48
        .value_kind:     by_value
    .group_segment_fixed_size: 0
    .kernarg_segment_align: 8
    .kernarg_segment_size: 48
    .language:       OpenCL C
    .language_version:
      - 2
      - 0
    .max_flat_workgroup_size: 256
    .name:           _ZN7rocprim17ROCPRIM_400000_NS6detail17trampoline_kernelINS0_14default_configENS1_20scan_config_selectorIxEEZZNS1_9scan_implILNS1_25lookback_scan_determinismE0ELb0ELb0ES3_N6thrust23THRUST_200600_302600_NS6detail15normal_iteratorINS9_10device_ptrIxEEEENS9_16discard_iteratorINS9_11use_defaultEEExNS9_4plusIvEExEEDaPvRmT3_T4_T5_mT6_P12ihipStream_tbENKUlT_T0_E_clISt17integral_constantIbLb1EESX_EEDaSS_ST_EUlSS_E0_NS1_11comp_targetILNS1_3genE5ELNS1_11target_archE942ELNS1_3gpuE9ELNS1_3repE0EEENS1_30default_config_static_selectorELNS0_4arch9wavefront6targetE1EEEvT1_
    .private_segment_fixed_size: 0
    .sgpr_count:     4
    .sgpr_spill_count: 0
    .symbol:         _ZN7rocprim17ROCPRIM_400000_NS6detail17trampoline_kernelINS0_14default_configENS1_20scan_config_selectorIxEEZZNS1_9scan_implILNS1_25lookback_scan_determinismE0ELb0ELb0ES3_N6thrust23THRUST_200600_302600_NS6detail15normal_iteratorINS9_10device_ptrIxEEEENS9_16discard_iteratorINS9_11use_defaultEEExNS9_4plusIvEExEEDaPvRmT3_T4_T5_mT6_P12ihipStream_tbENKUlT_T0_E_clISt17integral_constantIbLb1EESX_EEDaSS_ST_EUlSS_E0_NS1_11comp_targetILNS1_3genE5ELNS1_11target_archE942ELNS1_3gpuE9ELNS1_3repE0EEENS1_30default_config_static_selectorELNS0_4arch9wavefront6targetE1EEEvT1_.kd
    .uniform_work_group_size: 1
    .uses_dynamic_stack: false
    .vgpr_count:     0
    .vgpr_spill_count: 0
    .wavefront_size: 64
  - .agpr_count:     0
    .args:
      - .offset:         0
        .size:           48
        .value_kind:     by_value
    .group_segment_fixed_size: 7168
    .kernarg_segment_align: 8
    .kernarg_segment_size: 48
    .language:       OpenCL C
    .language_version:
      - 2
      - 0
    .max_flat_workgroup_size: 128
    .name:           _ZN7rocprim17ROCPRIM_400000_NS6detail17trampoline_kernelINS0_14default_configENS1_20scan_config_selectorIxEEZZNS1_9scan_implILNS1_25lookback_scan_determinismE0ELb0ELb0ES3_N6thrust23THRUST_200600_302600_NS6detail15normal_iteratorINS9_10device_ptrIxEEEENS9_16discard_iteratorINS9_11use_defaultEEExNS9_4plusIvEExEEDaPvRmT3_T4_T5_mT6_P12ihipStream_tbENKUlT_T0_E_clISt17integral_constantIbLb1EESX_EEDaSS_ST_EUlSS_E0_NS1_11comp_targetILNS1_3genE4ELNS1_11target_archE910ELNS1_3gpuE8ELNS1_3repE0EEENS1_30default_config_static_selectorELNS0_4arch9wavefront6targetE1EEEvT1_
    .private_segment_fixed_size: 0
    .sgpr_count:     12
    .sgpr_spill_count: 0
    .symbol:         _ZN7rocprim17ROCPRIM_400000_NS6detail17trampoline_kernelINS0_14default_configENS1_20scan_config_selectorIxEEZZNS1_9scan_implILNS1_25lookback_scan_determinismE0ELb0ELb0ES3_N6thrust23THRUST_200600_302600_NS6detail15normal_iteratorINS9_10device_ptrIxEEEENS9_16discard_iteratorINS9_11use_defaultEEExNS9_4plusIvEExEEDaPvRmT3_T4_T5_mT6_P12ihipStream_tbENKUlT_T0_E_clISt17integral_constantIbLb1EESX_EEDaSS_ST_EUlSS_E0_NS1_11comp_targetILNS1_3genE4ELNS1_11target_archE910ELNS1_3gpuE8ELNS1_3repE0EEENS1_30default_config_static_selectorELNS0_4arch9wavefront6targetE1EEEvT1_.kd
    .uniform_work_group_size: 1
    .uses_dynamic_stack: false
    .vgpr_count:     41
    .vgpr_spill_count: 0
    .wavefront_size: 64
  - .agpr_count:     0
    .args:
      - .offset:         0
        .size:           48
        .value_kind:     by_value
    .group_segment_fixed_size: 0
    .kernarg_segment_align: 8
    .kernarg_segment_size: 48
    .language:       OpenCL C
    .language_version:
      - 2
      - 0
    .max_flat_workgroup_size: 256
    .name:           _ZN7rocprim17ROCPRIM_400000_NS6detail17trampoline_kernelINS0_14default_configENS1_20scan_config_selectorIxEEZZNS1_9scan_implILNS1_25lookback_scan_determinismE0ELb0ELb0ES3_N6thrust23THRUST_200600_302600_NS6detail15normal_iteratorINS9_10device_ptrIxEEEENS9_16discard_iteratorINS9_11use_defaultEEExNS9_4plusIvEExEEDaPvRmT3_T4_T5_mT6_P12ihipStream_tbENKUlT_T0_E_clISt17integral_constantIbLb1EESX_EEDaSS_ST_EUlSS_E0_NS1_11comp_targetILNS1_3genE3ELNS1_11target_archE908ELNS1_3gpuE7ELNS1_3repE0EEENS1_30default_config_static_selectorELNS0_4arch9wavefront6targetE1EEEvT1_
    .private_segment_fixed_size: 0
    .sgpr_count:     4
    .sgpr_spill_count: 0
    .symbol:         _ZN7rocprim17ROCPRIM_400000_NS6detail17trampoline_kernelINS0_14default_configENS1_20scan_config_selectorIxEEZZNS1_9scan_implILNS1_25lookback_scan_determinismE0ELb0ELb0ES3_N6thrust23THRUST_200600_302600_NS6detail15normal_iteratorINS9_10device_ptrIxEEEENS9_16discard_iteratorINS9_11use_defaultEEExNS9_4plusIvEExEEDaPvRmT3_T4_T5_mT6_P12ihipStream_tbENKUlT_T0_E_clISt17integral_constantIbLb1EESX_EEDaSS_ST_EUlSS_E0_NS1_11comp_targetILNS1_3genE3ELNS1_11target_archE908ELNS1_3gpuE7ELNS1_3repE0EEENS1_30default_config_static_selectorELNS0_4arch9wavefront6targetE1EEEvT1_.kd
    .uniform_work_group_size: 1
    .uses_dynamic_stack: false
    .vgpr_count:     0
    .vgpr_spill_count: 0
    .wavefront_size: 64
  - .agpr_count:     0
    .args:
      - .offset:         0
        .size:           48
        .value_kind:     by_value
    .group_segment_fixed_size: 0
    .kernarg_segment_align: 8
    .kernarg_segment_size: 48
    .language:       OpenCL C
    .language_version:
      - 2
      - 0
    .max_flat_workgroup_size: 64
    .name:           _ZN7rocprim17ROCPRIM_400000_NS6detail17trampoline_kernelINS0_14default_configENS1_20scan_config_selectorIxEEZZNS1_9scan_implILNS1_25lookback_scan_determinismE0ELb0ELb0ES3_N6thrust23THRUST_200600_302600_NS6detail15normal_iteratorINS9_10device_ptrIxEEEENS9_16discard_iteratorINS9_11use_defaultEEExNS9_4plusIvEExEEDaPvRmT3_T4_T5_mT6_P12ihipStream_tbENKUlT_T0_E_clISt17integral_constantIbLb1EESX_EEDaSS_ST_EUlSS_E0_NS1_11comp_targetILNS1_3genE2ELNS1_11target_archE906ELNS1_3gpuE6ELNS1_3repE0EEENS1_30default_config_static_selectorELNS0_4arch9wavefront6targetE1EEEvT1_
    .private_segment_fixed_size: 0
    .sgpr_count:     4
    .sgpr_spill_count: 0
    .symbol:         _ZN7rocprim17ROCPRIM_400000_NS6detail17trampoline_kernelINS0_14default_configENS1_20scan_config_selectorIxEEZZNS1_9scan_implILNS1_25lookback_scan_determinismE0ELb0ELb0ES3_N6thrust23THRUST_200600_302600_NS6detail15normal_iteratorINS9_10device_ptrIxEEEENS9_16discard_iteratorINS9_11use_defaultEEExNS9_4plusIvEExEEDaPvRmT3_T4_T5_mT6_P12ihipStream_tbENKUlT_T0_E_clISt17integral_constantIbLb1EESX_EEDaSS_ST_EUlSS_E0_NS1_11comp_targetILNS1_3genE2ELNS1_11target_archE906ELNS1_3gpuE6ELNS1_3repE0EEENS1_30default_config_static_selectorELNS0_4arch9wavefront6targetE1EEEvT1_.kd
    .uniform_work_group_size: 1
    .uses_dynamic_stack: false
    .vgpr_count:     0
    .vgpr_spill_count: 0
    .wavefront_size: 64
  - .agpr_count:     0
    .args:
      - .offset:         0
        .size:           48
        .value_kind:     by_value
    .group_segment_fixed_size: 0
    .kernarg_segment_align: 8
    .kernarg_segment_size: 48
    .language:       OpenCL C
    .language_version:
      - 2
      - 0
    .max_flat_workgroup_size: 256
    .name:           _ZN7rocprim17ROCPRIM_400000_NS6detail17trampoline_kernelINS0_14default_configENS1_20scan_config_selectorIxEEZZNS1_9scan_implILNS1_25lookback_scan_determinismE0ELb0ELb0ES3_N6thrust23THRUST_200600_302600_NS6detail15normal_iteratorINS9_10device_ptrIxEEEENS9_16discard_iteratorINS9_11use_defaultEEExNS9_4plusIvEExEEDaPvRmT3_T4_T5_mT6_P12ihipStream_tbENKUlT_T0_E_clISt17integral_constantIbLb1EESX_EEDaSS_ST_EUlSS_E0_NS1_11comp_targetILNS1_3genE10ELNS1_11target_archE1201ELNS1_3gpuE5ELNS1_3repE0EEENS1_30default_config_static_selectorELNS0_4arch9wavefront6targetE1EEEvT1_
    .private_segment_fixed_size: 0
    .sgpr_count:     4
    .sgpr_spill_count: 0
    .symbol:         _ZN7rocprim17ROCPRIM_400000_NS6detail17trampoline_kernelINS0_14default_configENS1_20scan_config_selectorIxEEZZNS1_9scan_implILNS1_25lookback_scan_determinismE0ELb0ELb0ES3_N6thrust23THRUST_200600_302600_NS6detail15normal_iteratorINS9_10device_ptrIxEEEENS9_16discard_iteratorINS9_11use_defaultEEExNS9_4plusIvEExEEDaPvRmT3_T4_T5_mT6_P12ihipStream_tbENKUlT_T0_E_clISt17integral_constantIbLb1EESX_EEDaSS_ST_EUlSS_E0_NS1_11comp_targetILNS1_3genE10ELNS1_11target_archE1201ELNS1_3gpuE5ELNS1_3repE0EEENS1_30default_config_static_selectorELNS0_4arch9wavefront6targetE1EEEvT1_.kd
    .uniform_work_group_size: 1
    .uses_dynamic_stack: false
    .vgpr_count:     0
    .vgpr_spill_count: 0
    .wavefront_size: 64
  - .agpr_count:     0
    .args:
      - .offset:         0
        .size:           48
        .value_kind:     by_value
    .group_segment_fixed_size: 0
    .kernarg_segment_align: 8
    .kernarg_segment_size: 48
    .language:       OpenCL C
    .language_version:
      - 2
      - 0
    .max_flat_workgroup_size: 256
    .name:           _ZN7rocprim17ROCPRIM_400000_NS6detail17trampoline_kernelINS0_14default_configENS1_20scan_config_selectorIxEEZZNS1_9scan_implILNS1_25lookback_scan_determinismE0ELb0ELb0ES3_N6thrust23THRUST_200600_302600_NS6detail15normal_iteratorINS9_10device_ptrIxEEEENS9_16discard_iteratorINS9_11use_defaultEEExNS9_4plusIvEExEEDaPvRmT3_T4_T5_mT6_P12ihipStream_tbENKUlT_T0_E_clISt17integral_constantIbLb1EESX_EEDaSS_ST_EUlSS_E0_NS1_11comp_targetILNS1_3genE10ELNS1_11target_archE1200ELNS1_3gpuE4ELNS1_3repE0EEENS1_30default_config_static_selectorELNS0_4arch9wavefront6targetE1EEEvT1_
    .private_segment_fixed_size: 0
    .sgpr_count:     4
    .sgpr_spill_count: 0
    .symbol:         _ZN7rocprim17ROCPRIM_400000_NS6detail17trampoline_kernelINS0_14default_configENS1_20scan_config_selectorIxEEZZNS1_9scan_implILNS1_25lookback_scan_determinismE0ELb0ELb0ES3_N6thrust23THRUST_200600_302600_NS6detail15normal_iteratorINS9_10device_ptrIxEEEENS9_16discard_iteratorINS9_11use_defaultEEExNS9_4plusIvEExEEDaPvRmT3_T4_T5_mT6_P12ihipStream_tbENKUlT_T0_E_clISt17integral_constantIbLb1EESX_EEDaSS_ST_EUlSS_E0_NS1_11comp_targetILNS1_3genE10ELNS1_11target_archE1200ELNS1_3gpuE4ELNS1_3repE0EEENS1_30default_config_static_selectorELNS0_4arch9wavefront6targetE1EEEvT1_.kd
    .uniform_work_group_size: 1
    .uses_dynamic_stack: false
    .vgpr_count:     0
    .vgpr_spill_count: 0
    .wavefront_size: 64
  - .agpr_count:     0
    .args:
      - .offset:         0
        .size:           48
        .value_kind:     by_value
    .group_segment_fixed_size: 0
    .kernarg_segment_align: 8
    .kernarg_segment_size: 48
    .language:       OpenCL C
    .language_version:
      - 2
      - 0
    .max_flat_workgroup_size: 256
    .name:           _ZN7rocprim17ROCPRIM_400000_NS6detail17trampoline_kernelINS0_14default_configENS1_20scan_config_selectorIxEEZZNS1_9scan_implILNS1_25lookback_scan_determinismE0ELb0ELb0ES3_N6thrust23THRUST_200600_302600_NS6detail15normal_iteratorINS9_10device_ptrIxEEEENS9_16discard_iteratorINS9_11use_defaultEEExNS9_4plusIvEExEEDaPvRmT3_T4_T5_mT6_P12ihipStream_tbENKUlT_T0_E_clISt17integral_constantIbLb1EESX_EEDaSS_ST_EUlSS_E0_NS1_11comp_targetILNS1_3genE9ELNS1_11target_archE1100ELNS1_3gpuE3ELNS1_3repE0EEENS1_30default_config_static_selectorELNS0_4arch9wavefront6targetE1EEEvT1_
    .private_segment_fixed_size: 0
    .sgpr_count:     4
    .sgpr_spill_count: 0
    .symbol:         _ZN7rocprim17ROCPRIM_400000_NS6detail17trampoline_kernelINS0_14default_configENS1_20scan_config_selectorIxEEZZNS1_9scan_implILNS1_25lookback_scan_determinismE0ELb0ELb0ES3_N6thrust23THRUST_200600_302600_NS6detail15normal_iteratorINS9_10device_ptrIxEEEENS9_16discard_iteratorINS9_11use_defaultEEExNS9_4plusIvEExEEDaPvRmT3_T4_T5_mT6_P12ihipStream_tbENKUlT_T0_E_clISt17integral_constantIbLb1EESX_EEDaSS_ST_EUlSS_E0_NS1_11comp_targetILNS1_3genE9ELNS1_11target_archE1100ELNS1_3gpuE3ELNS1_3repE0EEENS1_30default_config_static_selectorELNS0_4arch9wavefront6targetE1EEEvT1_.kd
    .uniform_work_group_size: 1
    .uses_dynamic_stack: false
    .vgpr_count:     0
    .vgpr_spill_count: 0
    .wavefront_size: 64
  - .agpr_count:     0
    .args:
      - .offset:         0
        .size:           48
        .value_kind:     by_value
    .group_segment_fixed_size: 0
    .kernarg_segment_align: 8
    .kernarg_segment_size: 48
    .language:       OpenCL C
    .language_version:
      - 2
      - 0
    .max_flat_workgroup_size: 256
    .name:           _ZN7rocprim17ROCPRIM_400000_NS6detail17trampoline_kernelINS0_14default_configENS1_20scan_config_selectorIxEEZZNS1_9scan_implILNS1_25lookback_scan_determinismE0ELb0ELb0ES3_N6thrust23THRUST_200600_302600_NS6detail15normal_iteratorINS9_10device_ptrIxEEEENS9_16discard_iteratorINS9_11use_defaultEEExNS9_4plusIvEExEEDaPvRmT3_T4_T5_mT6_P12ihipStream_tbENKUlT_T0_E_clISt17integral_constantIbLb1EESX_EEDaSS_ST_EUlSS_E0_NS1_11comp_targetILNS1_3genE8ELNS1_11target_archE1030ELNS1_3gpuE2ELNS1_3repE0EEENS1_30default_config_static_selectorELNS0_4arch9wavefront6targetE1EEEvT1_
    .private_segment_fixed_size: 0
    .sgpr_count:     4
    .sgpr_spill_count: 0
    .symbol:         _ZN7rocprim17ROCPRIM_400000_NS6detail17trampoline_kernelINS0_14default_configENS1_20scan_config_selectorIxEEZZNS1_9scan_implILNS1_25lookback_scan_determinismE0ELb0ELb0ES3_N6thrust23THRUST_200600_302600_NS6detail15normal_iteratorINS9_10device_ptrIxEEEENS9_16discard_iteratorINS9_11use_defaultEEExNS9_4plusIvEExEEDaPvRmT3_T4_T5_mT6_P12ihipStream_tbENKUlT_T0_E_clISt17integral_constantIbLb1EESX_EEDaSS_ST_EUlSS_E0_NS1_11comp_targetILNS1_3genE8ELNS1_11target_archE1030ELNS1_3gpuE2ELNS1_3repE0EEENS1_30default_config_static_selectorELNS0_4arch9wavefront6targetE1EEEvT1_.kd
    .uniform_work_group_size: 1
    .uses_dynamic_stack: false
    .vgpr_count:     0
    .vgpr_spill_count: 0
    .wavefront_size: 64
  - .agpr_count:     0
    .args:
      - .offset:         0
        .size:           112
        .value_kind:     by_value
    .group_segment_fixed_size: 0
    .kernarg_segment_align: 8
    .kernarg_segment_size: 112
    .language:       OpenCL C
    .language_version:
      - 2
      - 0
    .max_flat_workgroup_size: 256
    .name:           _ZN7rocprim17ROCPRIM_400000_NS6detail17trampoline_kernelINS0_14default_configENS1_20scan_config_selectorIxEEZZNS1_9scan_implILNS1_25lookback_scan_determinismE0ELb0ELb0ES3_N6thrust23THRUST_200600_302600_NS6detail15normal_iteratorINS9_10device_ptrIxEEEENS9_16discard_iteratorINS9_11use_defaultEEExNS9_4plusIvEExEEDaPvRmT3_T4_T5_mT6_P12ihipStream_tbENKUlT_T0_E_clISt17integral_constantIbLb1EESW_IbLb0EEEEDaSS_ST_EUlSS_E_NS1_11comp_targetILNS1_3genE0ELNS1_11target_archE4294967295ELNS1_3gpuE0ELNS1_3repE0EEENS1_30default_config_static_selectorELNS0_4arch9wavefront6targetE1EEEvT1_
    .private_segment_fixed_size: 0
    .sgpr_count:     4
    .sgpr_spill_count: 0
    .symbol:         _ZN7rocprim17ROCPRIM_400000_NS6detail17trampoline_kernelINS0_14default_configENS1_20scan_config_selectorIxEEZZNS1_9scan_implILNS1_25lookback_scan_determinismE0ELb0ELb0ES3_N6thrust23THRUST_200600_302600_NS6detail15normal_iteratorINS9_10device_ptrIxEEEENS9_16discard_iteratorINS9_11use_defaultEEExNS9_4plusIvEExEEDaPvRmT3_T4_T5_mT6_P12ihipStream_tbENKUlT_T0_E_clISt17integral_constantIbLb1EESW_IbLb0EEEEDaSS_ST_EUlSS_E_NS1_11comp_targetILNS1_3genE0ELNS1_11target_archE4294967295ELNS1_3gpuE0ELNS1_3repE0EEENS1_30default_config_static_selectorELNS0_4arch9wavefront6targetE1EEEvT1_.kd
    .uniform_work_group_size: 1
    .uses_dynamic_stack: false
    .vgpr_count:     0
    .vgpr_spill_count: 0
    .wavefront_size: 64
  - .agpr_count:     0
    .args:
      - .offset:         0
        .size:           112
        .value_kind:     by_value
    .group_segment_fixed_size: 0
    .kernarg_segment_align: 8
    .kernarg_segment_size: 112
    .language:       OpenCL C
    .language_version:
      - 2
      - 0
    .max_flat_workgroup_size: 256
    .name:           _ZN7rocprim17ROCPRIM_400000_NS6detail17trampoline_kernelINS0_14default_configENS1_20scan_config_selectorIxEEZZNS1_9scan_implILNS1_25lookback_scan_determinismE0ELb0ELb0ES3_N6thrust23THRUST_200600_302600_NS6detail15normal_iteratorINS9_10device_ptrIxEEEENS9_16discard_iteratorINS9_11use_defaultEEExNS9_4plusIvEExEEDaPvRmT3_T4_T5_mT6_P12ihipStream_tbENKUlT_T0_E_clISt17integral_constantIbLb1EESW_IbLb0EEEEDaSS_ST_EUlSS_E_NS1_11comp_targetILNS1_3genE5ELNS1_11target_archE942ELNS1_3gpuE9ELNS1_3repE0EEENS1_30default_config_static_selectorELNS0_4arch9wavefront6targetE1EEEvT1_
    .private_segment_fixed_size: 0
    .sgpr_count:     4
    .sgpr_spill_count: 0
    .symbol:         _ZN7rocprim17ROCPRIM_400000_NS6detail17trampoline_kernelINS0_14default_configENS1_20scan_config_selectorIxEEZZNS1_9scan_implILNS1_25lookback_scan_determinismE0ELb0ELb0ES3_N6thrust23THRUST_200600_302600_NS6detail15normal_iteratorINS9_10device_ptrIxEEEENS9_16discard_iteratorINS9_11use_defaultEEExNS9_4plusIvEExEEDaPvRmT3_T4_T5_mT6_P12ihipStream_tbENKUlT_T0_E_clISt17integral_constantIbLb1EESW_IbLb0EEEEDaSS_ST_EUlSS_E_NS1_11comp_targetILNS1_3genE5ELNS1_11target_archE942ELNS1_3gpuE9ELNS1_3repE0EEENS1_30default_config_static_selectorELNS0_4arch9wavefront6targetE1EEEvT1_.kd
    .uniform_work_group_size: 1
    .uses_dynamic_stack: false
    .vgpr_count:     0
    .vgpr_spill_count: 0
    .wavefront_size: 64
  - .agpr_count:     0
    .args:
      - .offset:         0
        .size:           112
        .value_kind:     by_value
    .group_segment_fixed_size: 7168
    .kernarg_segment_align: 8
    .kernarg_segment_size: 112
    .language:       OpenCL C
    .language_version:
      - 2
      - 0
    .max_flat_workgroup_size: 128
    .name:           _ZN7rocprim17ROCPRIM_400000_NS6detail17trampoline_kernelINS0_14default_configENS1_20scan_config_selectorIxEEZZNS1_9scan_implILNS1_25lookback_scan_determinismE0ELb0ELb0ES3_N6thrust23THRUST_200600_302600_NS6detail15normal_iteratorINS9_10device_ptrIxEEEENS9_16discard_iteratorINS9_11use_defaultEEExNS9_4plusIvEExEEDaPvRmT3_T4_T5_mT6_P12ihipStream_tbENKUlT_T0_E_clISt17integral_constantIbLb1EESW_IbLb0EEEEDaSS_ST_EUlSS_E_NS1_11comp_targetILNS1_3genE4ELNS1_11target_archE910ELNS1_3gpuE8ELNS1_3repE0EEENS1_30default_config_static_selectorELNS0_4arch9wavefront6targetE1EEEvT1_
    .private_segment_fixed_size: 0
    .sgpr_count:     26
    .sgpr_spill_count: 0
    .symbol:         _ZN7rocprim17ROCPRIM_400000_NS6detail17trampoline_kernelINS0_14default_configENS1_20scan_config_selectorIxEEZZNS1_9scan_implILNS1_25lookback_scan_determinismE0ELb0ELb0ES3_N6thrust23THRUST_200600_302600_NS6detail15normal_iteratorINS9_10device_ptrIxEEEENS9_16discard_iteratorINS9_11use_defaultEEExNS9_4plusIvEExEEDaPvRmT3_T4_T5_mT6_P12ihipStream_tbENKUlT_T0_E_clISt17integral_constantIbLb1EESW_IbLb0EEEEDaSS_ST_EUlSS_E_NS1_11comp_targetILNS1_3genE4ELNS1_11target_archE910ELNS1_3gpuE8ELNS1_3repE0EEENS1_30default_config_static_selectorELNS0_4arch9wavefront6targetE1EEEvT1_.kd
    .uniform_work_group_size: 1
    .uses_dynamic_stack: false
    .vgpr_count:     50
    .vgpr_spill_count: 0
    .wavefront_size: 64
  - .agpr_count:     0
    .args:
      - .offset:         0
        .size:           112
        .value_kind:     by_value
    .group_segment_fixed_size: 0
    .kernarg_segment_align: 8
    .kernarg_segment_size: 112
    .language:       OpenCL C
    .language_version:
      - 2
      - 0
    .max_flat_workgroup_size: 256
    .name:           _ZN7rocprim17ROCPRIM_400000_NS6detail17trampoline_kernelINS0_14default_configENS1_20scan_config_selectorIxEEZZNS1_9scan_implILNS1_25lookback_scan_determinismE0ELb0ELb0ES3_N6thrust23THRUST_200600_302600_NS6detail15normal_iteratorINS9_10device_ptrIxEEEENS9_16discard_iteratorINS9_11use_defaultEEExNS9_4plusIvEExEEDaPvRmT3_T4_T5_mT6_P12ihipStream_tbENKUlT_T0_E_clISt17integral_constantIbLb1EESW_IbLb0EEEEDaSS_ST_EUlSS_E_NS1_11comp_targetILNS1_3genE3ELNS1_11target_archE908ELNS1_3gpuE7ELNS1_3repE0EEENS1_30default_config_static_selectorELNS0_4arch9wavefront6targetE1EEEvT1_
    .private_segment_fixed_size: 0
    .sgpr_count:     4
    .sgpr_spill_count: 0
    .symbol:         _ZN7rocprim17ROCPRIM_400000_NS6detail17trampoline_kernelINS0_14default_configENS1_20scan_config_selectorIxEEZZNS1_9scan_implILNS1_25lookback_scan_determinismE0ELb0ELb0ES3_N6thrust23THRUST_200600_302600_NS6detail15normal_iteratorINS9_10device_ptrIxEEEENS9_16discard_iteratorINS9_11use_defaultEEExNS9_4plusIvEExEEDaPvRmT3_T4_T5_mT6_P12ihipStream_tbENKUlT_T0_E_clISt17integral_constantIbLb1EESW_IbLb0EEEEDaSS_ST_EUlSS_E_NS1_11comp_targetILNS1_3genE3ELNS1_11target_archE908ELNS1_3gpuE7ELNS1_3repE0EEENS1_30default_config_static_selectorELNS0_4arch9wavefront6targetE1EEEvT1_.kd
    .uniform_work_group_size: 1
    .uses_dynamic_stack: false
    .vgpr_count:     0
    .vgpr_spill_count: 0
    .wavefront_size: 64
  - .agpr_count:     0
    .args:
      - .offset:         0
        .size:           112
        .value_kind:     by_value
    .group_segment_fixed_size: 0
    .kernarg_segment_align: 8
    .kernarg_segment_size: 112
    .language:       OpenCL C
    .language_version:
      - 2
      - 0
    .max_flat_workgroup_size: 64
    .name:           _ZN7rocprim17ROCPRIM_400000_NS6detail17trampoline_kernelINS0_14default_configENS1_20scan_config_selectorIxEEZZNS1_9scan_implILNS1_25lookback_scan_determinismE0ELb0ELb0ES3_N6thrust23THRUST_200600_302600_NS6detail15normal_iteratorINS9_10device_ptrIxEEEENS9_16discard_iteratorINS9_11use_defaultEEExNS9_4plusIvEExEEDaPvRmT3_T4_T5_mT6_P12ihipStream_tbENKUlT_T0_E_clISt17integral_constantIbLb1EESW_IbLb0EEEEDaSS_ST_EUlSS_E_NS1_11comp_targetILNS1_3genE2ELNS1_11target_archE906ELNS1_3gpuE6ELNS1_3repE0EEENS1_30default_config_static_selectorELNS0_4arch9wavefront6targetE1EEEvT1_
    .private_segment_fixed_size: 0
    .sgpr_count:     4
    .sgpr_spill_count: 0
    .symbol:         _ZN7rocprim17ROCPRIM_400000_NS6detail17trampoline_kernelINS0_14default_configENS1_20scan_config_selectorIxEEZZNS1_9scan_implILNS1_25lookback_scan_determinismE0ELb0ELb0ES3_N6thrust23THRUST_200600_302600_NS6detail15normal_iteratorINS9_10device_ptrIxEEEENS9_16discard_iteratorINS9_11use_defaultEEExNS9_4plusIvEExEEDaPvRmT3_T4_T5_mT6_P12ihipStream_tbENKUlT_T0_E_clISt17integral_constantIbLb1EESW_IbLb0EEEEDaSS_ST_EUlSS_E_NS1_11comp_targetILNS1_3genE2ELNS1_11target_archE906ELNS1_3gpuE6ELNS1_3repE0EEENS1_30default_config_static_selectorELNS0_4arch9wavefront6targetE1EEEvT1_.kd
    .uniform_work_group_size: 1
    .uses_dynamic_stack: false
    .vgpr_count:     0
    .vgpr_spill_count: 0
    .wavefront_size: 64
  - .agpr_count:     0
    .args:
      - .offset:         0
        .size:           112
        .value_kind:     by_value
    .group_segment_fixed_size: 0
    .kernarg_segment_align: 8
    .kernarg_segment_size: 112
    .language:       OpenCL C
    .language_version:
      - 2
      - 0
    .max_flat_workgroup_size: 256
    .name:           _ZN7rocprim17ROCPRIM_400000_NS6detail17trampoline_kernelINS0_14default_configENS1_20scan_config_selectorIxEEZZNS1_9scan_implILNS1_25lookback_scan_determinismE0ELb0ELb0ES3_N6thrust23THRUST_200600_302600_NS6detail15normal_iteratorINS9_10device_ptrIxEEEENS9_16discard_iteratorINS9_11use_defaultEEExNS9_4plusIvEExEEDaPvRmT3_T4_T5_mT6_P12ihipStream_tbENKUlT_T0_E_clISt17integral_constantIbLb1EESW_IbLb0EEEEDaSS_ST_EUlSS_E_NS1_11comp_targetILNS1_3genE10ELNS1_11target_archE1201ELNS1_3gpuE5ELNS1_3repE0EEENS1_30default_config_static_selectorELNS0_4arch9wavefront6targetE1EEEvT1_
    .private_segment_fixed_size: 0
    .sgpr_count:     4
    .sgpr_spill_count: 0
    .symbol:         _ZN7rocprim17ROCPRIM_400000_NS6detail17trampoline_kernelINS0_14default_configENS1_20scan_config_selectorIxEEZZNS1_9scan_implILNS1_25lookback_scan_determinismE0ELb0ELb0ES3_N6thrust23THRUST_200600_302600_NS6detail15normal_iteratorINS9_10device_ptrIxEEEENS9_16discard_iteratorINS9_11use_defaultEEExNS9_4plusIvEExEEDaPvRmT3_T4_T5_mT6_P12ihipStream_tbENKUlT_T0_E_clISt17integral_constantIbLb1EESW_IbLb0EEEEDaSS_ST_EUlSS_E_NS1_11comp_targetILNS1_3genE10ELNS1_11target_archE1201ELNS1_3gpuE5ELNS1_3repE0EEENS1_30default_config_static_selectorELNS0_4arch9wavefront6targetE1EEEvT1_.kd
    .uniform_work_group_size: 1
    .uses_dynamic_stack: false
    .vgpr_count:     0
    .vgpr_spill_count: 0
    .wavefront_size: 64
  - .agpr_count:     0
    .args:
      - .offset:         0
        .size:           112
        .value_kind:     by_value
    .group_segment_fixed_size: 0
    .kernarg_segment_align: 8
    .kernarg_segment_size: 112
    .language:       OpenCL C
    .language_version:
      - 2
      - 0
    .max_flat_workgroup_size: 256
    .name:           _ZN7rocprim17ROCPRIM_400000_NS6detail17trampoline_kernelINS0_14default_configENS1_20scan_config_selectorIxEEZZNS1_9scan_implILNS1_25lookback_scan_determinismE0ELb0ELb0ES3_N6thrust23THRUST_200600_302600_NS6detail15normal_iteratorINS9_10device_ptrIxEEEENS9_16discard_iteratorINS9_11use_defaultEEExNS9_4plusIvEExEEDaPvRmT3_T4_T5_mT6_P12ihipStream_tbENKUlT_T0_E_clISt17integral_constantIbLb1EESW_IbLb0EEEEDaSS_ST_EUlSS_E_NS1_11comp_targetILNS1_3genE10ELNS1_11target_archE1200ELNS1_3gpuE4ELNS1_3repE0EEENS1_30default_config_static_selectorELNS0_4arch9wavefront6targetE1EEEvT1_
    .private_segment_fixed_size: 0
    .sgpr_count:     4
    .sgpr_spill_count: 0
    .symbol:         _ZN7rocprim17ROCPRIM_400000_NS6detail17trampoline_kernelINS0_14default_configENS1_20scan_config_selectorIxEEZZNS1_9scan_implILNS1_25lookback_scan_determinismE0ELb0ELb0ES3_N6thrust23THRUST_200600_302600_NS6detail15normal_iteratorINS9_10device_ptrIxEEEENS9_16discard_iteratorINS9_11use_defaultEEExNS9_4plusIvEExEEDaPvRmT3_T4_T5_mT6_P12ihipStream_tbENKUlT_T0_E_clISt17integral_constantIbLb1EESW_IbLb0EEEEDaSS_ST_EUlSS_E_NS1_11comp_targetILNS1_3genE10ELNS1_11target_archE1200ELNS1_3gpuE4ELNS1_3repE0EEENS1_30default_config_static_selectorELNS0_4arch9wavefront6targetE1EEEvT1_.kd
    .uniform_work_group_size: 1
    .uses_dynamic_stack: false
    .vgpr_count:     0
    .vgpr_spill_count: 0
    .wavefront_size: 64
  - .agpr_count:     0
    .args:
      - .offset:         0
        .size:           112
        .value_kind:     by_value
    .group_segment_fixed_size: 0
    .kernarg_segment_align: 8
    .kernarg_segment_size: 112
    .language:       OpenCL C
    .language_version:
      - 2
      - 0
    .max_flat_workgroup_size: 256
    .name:           _ZN7rocprim17ROCPRIM_400000_NS6detail17trampoline_kernelINS0_14default_configENS1_20scan_config_selectorIxEEZZNS1_9scan_implILNS1_25lookback_scan_determinismE0ELb0ELb0ES3_N6thrust23THRUST_200600_302600_NS6detail15normal_iteratorINS9_10device_ptrIxEEEENS9_16discard_iteratorINS9_11use_defaultEEExNS9_4plusIvEExEEDaPvRmT3_T4_T5_mT6_P12ihipStream_tbENKUlT_T0_E_clISt17integral_constantIbLb1EESW_IbLb0EEEEDaSS_ST_EUlSS_E_NS1_11comp_targetILNS1_3genE9ELNS1_11target_archE1100ELNS1_3gpuE3ELNS1_3repE0EEENS1_30default_config_static_selectorELNS0_4arch9wavefront6targetE1EEEvT1_
    .private_segment_fixed_size: 0
    .sgpr_count:     4
    .sgpr_spill_count: 0
    .symbol:         _ZN7rocprim17ROCPRIM_400000_NS6detail17trampoline_kernelINS0_14default_configENS1_20scan_config_selectorIxEEZZNS1_9scan_implILNS1_25lookback_scan_determinismE0ELb0ELb0ES3_N6thrust23THRUST_200600_302600_NS6detail15normal_iteratorINS9_10device_ptrIxEEEENS9_16discard_iteratorINS9_11use_defaultEEExNS9_4plusIvEExEEDaPvRmT3_T4_T5_mT6_P12ihipStream_tbENKUlT_T0_E_clISt17integral_constantIbLb1EESW_IbLb0EEEEDaSS_ST_EUlSS_E_NS1_11comp_targetILNS1_3genE9ELNS1_11target_archE1100ELNS1_3gpuE3ELNS1_3repE0EEENS1_30default_config_static_selectorELNS0_4arch9wavefront6targetE1EEEvT1_.kd
    .uniform_work_group_size: 1
    .uses_dynamic_stack: false
    .vgpr_count:     0
    .vgpr_spill_count: 0
    .wavefront_size: 64
  - .agpr_count:     0
    .args:
      - .offset:         0
        .size:           112
        .value_kind:     by_value
    .group_segment_fixed_size: 0
    .kernarg_segment_align: 8
    .kernarg_segment_size: 112
    .language:       OpenCL C
    .language_version:
      - 2
      - 0
    .max_flat_workgroup_size: 256
    .name:           _ZN7rocprim17ROCPRIM_400000_NS6detail17trampoline_kernelINS0_14default_configENS1_20scan_config_selectorIxEEZZNS1_9scan_implILNS1_25lookback_scan_determinismE0ELb0ELb0ES3_N6thrust23THRUST_200600_302600_NS6detail15normal_iteratorINS9_10device_ptrIxEEEENS9_16discard_iteratorINS9_11use_defaultEEExNS9_4plusIvEExEEDaPvRmT3_T4_T5_mT6_P12ihipStream_tbENKUlT_T0_E_clISt17integral_constantIbLb1EESW_IbLb0EEEEDaSS_ST_EUlSS_E_NS1_11comp_targetILNS1_3genE8ELNS1_11target_archE1030ELNS1_3gpuE2ELNS1_3repE0EEENS1_30default_config_static_selectorELNS0_4arch9wavefront6targetE1EEEvT1_
    .private_segment_fixed_size: 0
    .sgpr_count:     4
    .sgpr_spill_count: 0
    .symbol:         _ZN7rocprim17ROCPRIM_400000_NS6detail17trampoline_kernelINS0_14default_configENS1_20scan_config_selectorIxEEZZNS1_9scan_implILNS1_25lookback_scan_determinismE0ELb0ELb0ES3_N6thrust23THRUST_200600_302600_NS6detail15normal_iteratorINS9_10device_ptrIxEEEENS9_16discard_iteratorINS9_11use_defaultEEExNS9_4plusIvEExEEDaPvRmT3_T4_T5_mT6_P12ihipStream_tbENKUlT_T0_E_clISt17integral_constantIbLb1EESW_IbLb0EEEEDaSS_ST_EUlSS_E_NS1_11comp_targetILNS1_3genE8ELNS1_11target_archE1030ELNS1_3gpuE2ELNS1_3repE0EEENS1_30default_config_static_selectorELNS0_4arch9wavefront6targetE1EEEvT1_.kd
    .uniform_work_group_size: 1
    .uses_dynamic_stack: false
    .vgpr_count:     0
    .vgpr_spill_count: 0
    .wavefront_size: 64
  - .agpr_count:     0
    .args:
      - .offset:         0
        .size:           48
        .value_kind:     by_value
    .group_segment_fixed_size: 0
    .kernarg_segment_align: 8
    .kernarg_segment_size: 48
    .language:       OpenCL C
    .language_version:
      - 2
      - 0
    .max_flat_workgroup_size: 256
    .name:           _ZN7rocprim17ROCPRIM_400000_NS6detail17trampoline_kernelINS0_14default_configENS1_20scan_config_selectorIxEEZZNS1_9scan_implILNS1_25lookback_scan_determinismE0ELb0ELb0ES3_N6thrust23THRUST_200600_302600_NS6detail15normal_iteratorINS9_10device_ptrIxEEEENS9_16discard_iteratorINS9_11use_defaultEEExNS9_4plusIvEExEEDaPvRmT3_T4_T5_mT6_P12ihipStream_tbENKUlT_T0_E_clISt17integral_constantIbLb1EESW_IbLb0EEEEDaSS_ST_EUlSS_E0_NS1_11comp_targetILNS1_3genE0ELNS1_11target_archE4294967295ELNS1_3gpuE0ELNS1_3repE0EEENS1_30default_config_static_selectorELNS0_4arch9wavefront6targetE1EEEvT1_
    .private_segment_fixed_size: 0
    .sgpr_count:     4
    .sgpr_spill_count: 0
    .symbol:         _ZN7rocprim17ROCPRIM_400000_NS6detail17trampoline_kernelINS0_14default_configENS1_20scan_config_selectorIxEEZZNS1_9scan_implILNS1_25lookback_scan_determinismE0ELb0ELb0ES3_N6thrust23THRUST_200600_302600_NS6detail15normal_iteratorINS9_10device_ptrIxEEEENS9_16discard_iteratorINS9_11use_defaultEEExNS9_4plusIvEExEEDaPvRmT3_T4_T5_mT6_P12ihipStream_tbENKUlT_T0_E_clISt17integral_constantIbLb1EESW_IbLb0EEEEDaSS_ST_EUlSS_E0_NS1_11comp_targetILNS1_3genE0ELNS1_11target_archE4294967295ELNS1_3gpuE0ELNS1_3repE0EEENS1_30default_config_static_selectorELNS0_4arch9wavefront6targetE1EEEvT1_.kd
    .uniform_work_group_size: 1
    .uses_dynamic_stack: false
    .vgpr_count:     0
    .vgpr_spill_count: 0
    .wavefront_size: 64
  - .agpr_count:     0
    .args:
      - .offset:         0
        .size:           48
        .value_kind:     by_value
    .group_segment_fixed_size: 0
    .kernarg_segment_align: 8
    .kernarg_segment_size: 48
    .language:       OpenCL C
    .language_version:
      - 2
      - 0
    .max_flat_workgroup_size: 256
    .name:           _ZN7rocprim17ROCPRIM_400000_NS6detail17trampoline_kernelINS0_14default_configENS1_20scan_config_selectorIxEEZZNS1_9scan_implILNS1_25lookback_scan_determinismE0ELb0ELb0ES3_N6thrust23THRUST_200600_302600_NS6detail15normal_iteratorINS9_10device_ptrIxEEEENS9_16discard_iteratorINS9_11use_defaultEEExNS9_4plusIvEExEEDaPvRmT3_T4_T5_mT6_P12ihipStream_tbENKUlT_T0_E_clISt17integral_constantIbLb1EESW_IbLb0EEEEDaSS_ST_EUlSS_E0_NS1_11comp_targetILNS1_3genE5ELNS1_11target_archE942ELNS1_3gpuE9ELNS1_3repE0EEENS1_30default_config_static_selectorELNS0_4arch9wavefront6targetE1EEEvT1_
    .private_segment_fixed_size: 0
    .sgpr_count:     4
    .sgpr_spill_count: 0
    .symbol:         _ZN7rocprim17ROCPRIM_400000_NS6detail17trampoline_kernelINS0_14default_configENS1_20scan_config_selectorIxEEZZNS1_9scan_implILNS1_25lookback_scan_determinismE0ELb0ELb0ES3_N6thrust23THRUST_200600_302600_NS6detail15normal_iteratorINS9_10device_ptrIxEEEENS9_16discard_iteratorINS9_11use_defaultEEExNS9_4plusIvEExEEDaPvRmT3_T4_T5_mT6_P12ihipStream_tbENKUlT_T0_E_clISt17integral_constantIbLb1EESW_IbLb0EEEEDaSS_ST_EUlSS_E0_NS1_11comp_targetILNS1_3genE5ELNS1_11target_archE942ELNS1_3gpuE9ELNS1_3repE0EEENS1_30default_config_static_selectorELNS0_4arch9wavefront6targetE1EEEvT1_.kd
    .uniform_work_group_size: 1
    .uses_dynamic_stack: false
    .vgpr_count:     0
    .vgpr_spill_count: 0
    .wavefront_size: 64
  - .agpr_count:     0
    .args:
      - .offset:         0
        .size:           48
        .value_kind:     by_value
    .group_segment_fixed_size: 7168
    .kernarg_segment_align: 8
    .kernarg_segment_size: 48
    .language:       OpenCL C
    .language_version:
      - 2
      - 0
    .max_flat_workgroup_size: 128
    .name:           _ZN7rocprim17ROCPRIM_400000_NS6detail17trampoline_kernelINS0_14default_configENS1_20scan_config_selectorIxEEZZNS1_9scan_implILNS1_25lookback_scan_determinismE0ELb0ELb0ES3_N6thrust23THRUST_200600_302600_NS6detail15normal_iteratorINS9_10device_ptrIxEEEENS9_16discard_iteratorINS9_11use_defaultEEExNS9_4plusIvEExEEDaPvRmT3_T4_T5_mT6_P12ihipStream_tbENKUlT_T0_E_clISt17integral_constantIbLb1EESW_IbLb0EEEEDaSS_ST_EUlSS_E0_NS1_11comp_targetILNS1_3genE4ELNS1_11target_archE910ELNS1_3gpuE8ELNS1_3repE0EEENS1_30default_config_static_selectorELNS0_4arch9wavefront6targetE1EEEvT1_
    .private_segment_fixed_size: 0
    .sgpr_count:     12
    .sgpr_spill_count: 0
    .symbol:         _ZN7rocprim17ROCPRIM_400000_NS6detail17trampoline_kernelINS0_14default_configENS1_20scan_config_selectorIxEEZZNS1_9scan_implILNS1_25lookback_scan_determinismE0ELb0ELb0ES3_N6thrust23THRUST_200600_302600_NS6detail15normal_iteratorINS9_10device_ptrIxEEEENS9_16discard_iteratorINS9_11use_defaultEEExNS9_4plusIvEExEEDaPvRmT3_T4_T5_mT6_P12ihipStream_tbENKUlT_T0_E_clISt17integral_constantIbLb1EESW_IbLb0EEEEDaSS_ST_EUlSS_E0_NS1_11comp_targetILNS1_3genE4ELNS1_11target_archE910ELNS1_3gpuE8ELNS1_3repE0EEENS1_30default_config_static_selectorELNS0_4arch9wavefront6targetE1EEEvT1_.kd
    .uniform_work_group_size: 1
    .uses_dynamic_stack: false
    .vgpr_count:     41
    .vgpr_spill_count: 0
    .wavefront_size: 64
  - .agpr_count:     0
    .args:
      - .offset:         0
        .size:           48
        .value_kind:     by_value
    .group_segment_fixed_size: 0
    .kernarg_segment_align: 8
    .kernarg_segment_size: 48
    .language:       OpenCL C
    .language_version:
      - 2
      - 0
    .max_flat_workgroup_size: 256
    .name:           _ZN7rocprim17ROCPRIM_400000_NS6detail17trampoline_kernelINS0_14default_configENS1_20scan_config_selectorIxEEZZNS1_9scan_implILNS1_25lookback_scan_determinismE0ELb0ELb0ES3_N6thrust23THRUST_200600_302600_NS6detail15normal_iteratorINS9_10device_ptrIxEEEENS9_16discard_iteratorINS9_11use_defaultEEExNS9_4plusIvEExEEDaPvRmT3_T4_T5_mT6_P12ihipStream_tbENKUlT_T0_E_clISt17integral_constantIbLb1EESW_IbLb0EEEEDaSS_ST_EUlSS_E0_NS1_11comp_targetILNS1_3genE3ELNS1_11target_archE908ELNS1_3gpuE7ELNS1_3repE0EEENS1_30default_config_static_selectorELNS0_4arch9wavefront6targetE1EEEvT1_
    .private_segment_fixed_size: 0
    .sgpr_count:     4
    .sgpr_spill_count: 0
    .symbol:         _ZN7rocprim17ROCPRIM_400000_NS6detail17trampoline_kernelINS0_14default_configENS1_20scan_config_selectorIxEEZZNS1_9scan_implILNS1_25lookback_scan_determinismE0ELb0ELb0ES3_N6thrust23THRUST_200600_302600_NS6detail15normal_iteratorINS9_10device_ptrIxEEEENS9_16discard_iteratorINS9_11use_defaultEEExNS9_4plusIvEExEEDaPvRmT3_T4_T5_mT6_P12ihipStream_tbENKUlT_T0_E_clISt17integral_constantIbLb1EESW_IbLb0EEEEDaSS_ST_EUlSS_E0_NS1_11comp_targetILNS1_3genE3ELNS1_11target_archE908ELNS1_3gpuE7ELNS1_3repE0EEENS1_30default_config_static_selectorELNS0_4arch9wavefront6targetE1EEEvT1_.kd
    .uniform_work_group_size: 1
    .uses_dynamic_stack: false
    .vgpr_count:     0
    .vgpr_spill_count: 0
    .wavefront_size: 64
  - .agpr_count:     0
    .args:
      - .offset:         0
        .size:           48
        .value_kind:     by_value
    .group_segment_fixed_size: 0
    .kernarg_segment_align: 8
    .kernarg_segment_size: 48
    .language:       OpenCL C
    .language_version:
      - 2
      - 0
    .max_flat_workgroup_size: 64
    .name:           _ZN7rocprim17ROCPRIM_400000_NS6detail17trampoline_kernelINS0_14default_configENS1_20scan_config_selectorIxEEZZNS1_9scan_implILNS1_25lookback_scan_determinismE0ELb0ELb0ES3_N6thrust23THRUST_200600_302600_NS6detail15normal_iteratorINS9_10device_ptrIxEEEENS9_16discard_iteratorINS9_11use_defaultEEExNS9_4plusIvEExEEDaPvRmT3_T4_T5_mT6_P12ihipStream_tbENKUlT_T0_E_clISt17integral_constantIbLb1EESW_IbLb0EEEEDaSS_ST_EUlSS_E0_NS1_11comp_targetILNS1_3genE2ELNS1_11target_archE906ELNS1_3gpuE6ELNS1_3repE0EEENS1_30default_config_static_selectorELNS0_4arch9wavefront6targetE1EEEvT1_
    .private_segment_fixed_size: 0
    .sgpr_count:     4
    .sgpr_spill_count: 0
    .symbol:         _ZN7rocprim17ROCPRIM_400000_NS6detail17trampoline_kernelINS0_14default_configENS1_20scan_config_selectorIxEEZZNS1_9scan_implILNS1_25lookback_scan_determinismE0ELb0ELb0ES3_N6thrust23THRUST_200600_302600_NS6detail15normal_iteratorINS9_10device_ptrIxEEEENS9_16discard_iteratorINS9_11use_defaultEEExNS9_4plusIvEExEEDaPvRmT3_T4_T5_mT6_P12ihipStream_tbENKUlT_T0_E_clISt17integral_constantIbLb1EESW_IbLb0EEEEDaSS_ST_EUlSS_E0_NS1_11comp_targetILNS1_3genE2ELNS1_11target_archE906ELNS1_3gpuE6ELNS1_3repE0EEENS1_30default_config_static_selectorELNS0_4arch9wavefront6targetE1EEEvT1_.kd
    .uniform_work_group_size: 1
    .uses_dynamic_stack: false
    .vgpr_count:     0
    .vgpr_spill_count: 0
    .wavefront_size: 64
  - .agpr_count:     0
    .args:
      - .offset:         0
        .size:           48
        .value_kind:     by_value
    .group_segment_fixed_size: 0
    .kernarg_segment_align: 8
    .kernarg_segment_size: 48
    .language:       OpenCL C
    .language_version:
      - 2
      - 0
    .max_flat_workgroup_size: 256
    .name:           _ZN7rocprim17ROCPRIM_400000_NS6detail17trampoline_kernelINS0_14default_configENS1_20scan_config_selectorIxEEZZNS1_9scan_implILNS1_25lookback_scan_determinismE0ELb0ELb0ES3_N6thrust23THRUST_200600_302600_NS6detail15normal_iteratorINS9_10device_ptrIxEEEENS9_16discard_iteratorINS9_11use_defaultEEExNS9_4plusIvEExEEDaPvRmT3_T4_T5_mT6_P12ihipStream_tbENKUlT_T0_E_clISt17integral_constantIbLb1EESW_IbLb0EEEEDaSS_ST_EUlSS_E0_NS1_11comp_targetILNS1_3genE10ELNS1_11target_archE1201ELNS1_3gpuE5ELNS1_3repE0EEENS1_30default_config_static_selectorELNS0_4arch9wavefront6targetE1EEEvT1_
    .private_segment_fixed_size: 0
    .sgpr_count:     4
    .sgpr_spill_count: 0
    .symbol:         _ZN7rocprim17ROCPRIM_400000_NS6detail17trampoline_kernelINS0_14default_configENS1_20scan_config_selectorIxEEZZNS1_9scan_implILNS1_25lookback_scan_determinismE0ELb0ELb0ES3_N6thrust23THRUST_200600_302600_NS6detail15normal_iteratorINS9_10device_ptrIxEEEENS9_16discard_iteratorINS9_11use_defaultEEExNS9_4plusIvEExEEDaPvRmT3_T4_T5_mT6_P12ihipStream_tbENKUlT_T0_E_clISt17integral_constantIbLb1EESW_IbLb0EEEEDaSS_ST_EUlSS_E0_NS1_11comp_targetILNS1_3genE10ELNS1_11target_archE1201ELNS1_3gpuE5ELNS1_3repE0EEENS1_30default_config_static_selectorELNS0_4arch9wavefront6targetE1EEEvT1_.kd
    .uniform_work_group_size: 1
    .uses_dynamic_stack: false
    .vgpr_count:     0
    .vgpr_spill_count: 0
    .wavefront_size: 64
  - .agpr_count:     0
    .args:
      - .offset:         0
        .size:           48
        .value_kind:     by_value
    .group_segment_fixed_size: 0
    .kernarg_segment_align: 8
    .kernarg_segment_size: 48
    .language:       OpenCL C
    .language_version:
      - 2
      - 0
    .max_flat_workgroup_size: 256
    .name:           _ZN7rocprim17ROCPRIM_400000_NS6detail17trampoline_kernelINS0_14default_configENS1_20scan_config_selectorIxEEZZNS1_9scan_implILNS1_25lookback_scan_determinismE0ELb0ELb0ES3_N6thrust23THRUST_200600_302600_NS6detail15normal_iteratorINS9_10device_ptrIxEEEENS9_16discard_iteratorINS9_11use_defaultEEExNS9_4plusIvEExEEDaPvRmT3_T4_T5_mT6_P12ihipStream_tbENKUlT_T0_E_clISt17integral_constantIbLb1EESW_IbLb0EEEEDaSS_ST_EUlSS_E0_NS1_11comp_targetILNS1_3genE10ELNS1_11target_archE1200ELNS1_3gpuE4ELNS1_3repE0EEENS1_30default_config_static_selectorELNS0_4arch9wavefront6targetE1EEEvT1_
    .private_segment_fixed_size: 0
    .sgpr_count:     4
    .sgpr_spill_count: 0
    .symbol:         _ZN7rocprim17ROCPRIM_400000_NS6detail17trampoline_kernelINS0_14default_configENS1_20scan_config_selectorIxEEZZNS1_9scan_implILNS1_25lookback_scan_determinismE0ELb0ELb0ES3_N6thrust23THRUST_200600_302600_NS6detail15normal_iteratorINS9_10device_ptrIxEEEENS9_16discard_iteratorINS9_11use_defaultEEExNS9_4plusIvEExEEDaPvRmT3_T4_T5_mT6_P12ihipStream_tbENKUlT_T0_E_clISt17integral_constantIbLb1EESW_IbLb0EEEEDaSS_ST_EUlSS_E0_NS1_11comp_targetILNS1_3genE10ELNS1_11target_archE1200ELNS1_3gpuE4ELNS1_3repE0EEENS1_30default_config_static_selectorELNS0_4arch9wavefront6targetE1EEEvT1_.kd
    .uniform_work_group_size: 1
    .uses_dynamic_stack: false
    .vgpr_count:     0
    .vgpr_spill_count: 0
    .wavefront_size: 64
  - .agpr_count:     0
    .args:
      - .offset:         0
        .size:           48
        .value_kind:     by_value
    .group_segment_fixed_size: 0
    .kernarg_segment_align: 8
    .kernarg_segment_size: 48
    .language:       OpenCL C
    .language_version:
      - 2
      - 0
    .max_flat_workgroup_size: 256
    .name:           _ZN7rocprim17ROCPRIM_400000_NS6detail17trampoline_kernelINS0_14default_configENS1_20scan_config_selectorIxEEZZNS1_9scan_implILNS1_25lookback_scan_determinismE0ELb0ELb0ES3_N6thrust23THRUST_200600_302600_NS6detail15normal_iteratorINS9_10device_ptrIxEEEENS9_16discard_iteratorINS9_11use_defaultEEExNS9_4plusIvEExEEDaPvRmT3_T4_T5_mT6_P12ihipStream_tbENKUlT_T0_E_clISt17integral_constantIbLb1EESW_IbLb0EEEEDaSS_ST_EUlSS_E0_NS1_11comp_targetILNS1_3genE9ELNS1_11target_archE1100ELNS1_3gpuE3ELNS1_3repE0EEENS1_30default_config_static_selectorELNS0_4arch9wavefront6targetE1EEEvT1_
    .private_segment_fixed_size: 0
    .sgpr_count:     4
    .sgpr_spill_count: 0
    .symbol:         _ZN7rocprim17ROCPRIM_400000_NS6detail17trampoline_kernelINS0_14default_configENS1_20scan_config_selectorIxEEZZNS1_9scan_implILNS1_25lookback_scan_determinismE0ELb0ELb0ES3_N6thrust23THRUST_200600_302600_NS6detail15normal_iteratorINS9_10device_ptrIxEEEENS9_16discard_iteratorINS9_11use_defaultEEExNS9_4plusIvEExEEDaPvRmT3_T4_T5_mT6_P12ihipStream_tbENKUlT_T0_E_clISt17integral_constantIbLb1EESW_IbLb0EEEEDaSS_ST_EUlSS_E0_NS1_11comp_targetILNS1_3genE9ELNS1_11target_archE1100ELNS1_3gpuE3ELNS1_3repE0EEENS1_30default_config_static_selectorELNS0_4arch9wavefront6targetE1EEEvT1_.kd
    .uniform_work_group_size: 1
    .uses_dynamic_stack: false
    .vgpr_count:     0
    .vgpr_spill_count: 0
    .wavefront_size: 64
  - .agpr_count:     0
    .args:
      - .offset:         0
        .size:           48
        .value_kind:     by_value
    .group_segment_fixed_size: 0
    .kernarg_segment_align: 8
    .kernarg_segment_size: 48
    .language:       OpenCL C
    .language_version:
      - 2
      - 0
    .max_flat_workgroup_size: 256
    .name:           _ZN7rocprim17ROCPRIM_400000_NS6detail17trampoline_kernelINS0_14default_configENS1_20scan_config_selectorIxEEZZNS1_9scan_implILNS1_25lookback_scan_determinismE0ELb0ELb0ES3_N6thrust23THRUST_200600_302600_NS6detail15normal_iteratorINS9_10device_ptrIxEEEENS9_16discard_iteratorINS9_11use_defaultEEExNS9_4plusIvEExEEDaPvRmT3_T4_T5_mT6_P12ihipStream_tbENKUlT_T0_E_clISt17integral_constantIbLb1EESW_IbLb0EEEEDaSS_ST_EUlSS_E0_NS1_11comp_targetILNS1_3genE8ELNS1_11target_archE1030ELNS1_3gpuE2ELNS1_3repE0EEENS1_30default_config_static_selectorELNS0_4arch9wavefront6targetE1EEEvT1_
    .private_segment_fixed_size: 0
    .sgpr_count:     4
    .sgpr_spill_count: 0
    .symbol:         _ZN7rocprim17ROCPRIM_400000_NS6detail17trampoline_kernelINS0_14default_configENS1_20scan_config_selectorIxEEZZNS1_9scan_implILNS1_25lookback_scan_determinismE0ELb0ELb0ES3_N6thrust23THRUST_200600_302600_NS6detail15normal_iteratorINS9_10device_ptrIxEEEENS9_16discard_iteratorINS9_11use_defaultEEExNS9_4plusIvEExEEDaPvRmT3_T4_T5_mT6_P12ihipStream_tbENKUlT_T0_E_clISt17integral_constantIbLb1EESW_IbLb0EEEEDaSS_ST_EUlSS_E0_NS1_11comp_targetILNS1_3genE8ELNS1_11target_archE1030ELNS1_3gpuE2ELNS1_3repE0EEENS1_30default_config_static_selectorELNS0_4arch9wavefront6targetE1EEEvT1_.kd
    .uniform_work_group_size: 1
    .uses_dynamic_stack: false
    .vgpr_count:     0
    .vgpr_spill_count: 0
    .wavefront_size: 64
  - .agpr_count:     0
    .args:
      - .offset:         0
        .size:           112
        .value_kind:     by_value
    .group_segment_fixed_size: 0
    .kernarg_segment_align: 8
    .kernarg_segment_size: 112
    .language:       OpenCL C
    .language_version:
      - 2
      - 0
    .max_flat_workgroup_size: 256
    .name:           _ZN7rocprim17ROCPRIM_400000_NS6detail17trampoline_kernelINS0_14default_configENS1_20scan_config_selectorIxEEZZNS1_9scan_implILNS1_25lookback_scan_determinismE0ELb0ELb0ES3_N6thrust23THRUST_200600_302600_NS6detail15normal_iteratorINS9_10device_ptrIxEEEENS9_16discard_iteratorINS9_11use_defaultEEExNS9_4plusIvEExEEDaPvRmT3_T4_T5_mT6_P12ihipStream_tbENKUlT_T0_E_clISt17integral_constantIbLb0EESW_IbLb1EEEEDaSS_ST_EUlSS_E_NS1_11comp_targetILNS1_3genE0ELNS1_11target_archE4294967295ELNS1_3gpuE0ELNS1_3repE0EEENS1_30default_config_static_selectorELNS0_4arch9wavefront6targetE1EEEvT1_
    .private_segment_fixed_size: 0
    .sgpr_count:     4
    .sgpr_spill_count: 0
    .symbol:         _ZN7rocprim17ROCPRIM_400000_NS6detail17trampoline_kernelINS0_14default_configENS1_20scan_config_selectorIxEEZZNS1_9scan_implILNS1_25lookback_scan_determinismE0ELb0ELb0ES3_N6thrust23THRUST_200600_302600_NS6detail15normal_iteratorINS9_10device_ptrIxEEEENS9_16discard_iteratorINS9_11use_defaultEEExNS9_4plusIvEExEEDaPvRmT3_T4_T5_mT6_P12ihipStream_tbENKUlT_T0_E_clISt17integral_constantIbLb0EESW_IbLb1EEEEDaSS_ST_EUlSS_E_NS1_11comp_targetILNS1_3genE0ELNS1_11target_archE4294967295ELNS1_3gpuE0ELNS1_3repE0EEENS1_30default_config_static_selectorELNS0_4arch9wavefront6targetE1EEEvT1_.kd
    .uniform_work_group_size: 1
    .uses_dynamic_stack: false
    .vgpr_count:     0
    .vgpr_spill_count: 0
    .wavefront_size: 64
  - .agpr_count:     0
    .args:
      - .offset:         0
        .size:           112
        .value_kind:     by_value
    .group_segment_fixed_size: 0
    .kernarg_segment_align: 8
    .kernarg_segment_size: 112
    .language:       OpenCL C
    .language_version:
      - 2
      - 0
    .max_flat_workgroup_size: 256
    .name:           _ZN7rocprim17ROCPRIM_400000_NS6detail17trampoline_kernelINS0_14default_configENS1_20scan_config_selectorIxEEZZNS1_9scan_implILNS1_25lookback_scan_determinismE0ELb0ELb0ES3_N6thrust23THRUST_200600_302600_NS6detail15normal_iteratorINS9_10device_ptrIxEEEENS9_16discard_iteratorINS9_11use_defaultEEExNS9_4plusIvEExEEDaPvRmT3_T4_T5_mT6_P12ihipStream_tbENKUlT_T0_E_clISt17integral_constantIbLb0EESW_IbLb1EEEEDaSS_ST_EUlSS_E_NS1_11comp_targetILNS1_3genE5ELNS1_11target_archE942ELNS1_3gpuE9ELNS1_3repE0EEENS1_30default_config_static_selectorELNS0_4arch9wavefront6targetE1EEEvT1_
    .private_segment_fixed_size: 0
    .sgpr_count:     4
    .sgpr_spill_count: 0
    .symbol:         _ZN7rocprim17ROCPRIM_400000_NS6detail17trampoline_kernelINS0_14default_configENS1_20scan_config_selectorIxEEZZNS1_9scan_implILNS1_25lookback_scan_determinismE0ELb0ELb0ES3_N6thrust23THRUST_200600_302600_NS6detail15normal_iteratorINS9_10device_ptrIxEEEENS9_16discard_iteratorINS9_11use_defaultEEExNS9_4plusIvEExEEDaPvRmT3_T4_T5_mT6_P12ihipStream_tbENKUlT_T0_E_clISt17integral_constantIbLb0EESW_IbLb1EEEEDaSS_ST_EUlSS_E_NS1_11comp_targetILNS1_3genE5ELNS1_11target_archE942ELNS1_3gpuE9ELNS1_3repE0EEENS1_30default_config_static_selectorELNS0_4arch9wavefront6targetE1EEEvT1_.kd
    .uniform_work_group_size: 1
    .uses_dynamic_stack: false
    .vgpr_count:     0
    .vgpr_spill_count: 0
    .wavefront_size: 64
  - .agpr_count:     0
    .args:
      - .offset:         0
        .size:           112
        .value_kind:     by_value
    .group_segment_fixed_size: 7168
    .kernarg_segment_align: 8
    .kernarg_segment_size: 112
    .language:       OpenCL C
    .language_version:
      - 2
      - 0
    .max_flat_workgroup_size: 128
    .name:           _ZN7rocprim17ROCPRIM_400000_NS6detail17trampoline_kernelINS0_14default_configENS1_20scan_config_selectorIxEEZZNS1_9scan_implILNS1_25lookback_scan_determinismE0ELb0ELb0ES3_N6thrust23THRUST_200600_302600_NS6detail15normal_iteratorINS9_10device_ptrIxEEEENS9_16discard_iteratorINS9_11use_defaultEEExNS9_4plusIvEExEEDaPvRmT3_T4_T5_mT6_P12ihipStream_tbENKUlT_T0_E_clISt17integral_constantIbLb0EESW_IbLb1EEEEDaSS_ST_EUlSS_E_NS1_11comp_targetILNS1_3genE4ELNS1_11target_archE910ELNS1_3gpuE8ELNS1_3repE0EEENS1_30default_config_static_selectorELNS0_4arch9wavefront6targetE1EEEvT1_
    .private_segment_fixed_size: 0
    .sgpr_count:     34
    .sgpr_spill_count: 0
    .symbol:         _ZN7rocprim17ROCPRIM_400000_NS6detail17trampoline_kernelINS0_14default_configENS1_20scan_config_selectorIxEEZZNS1_9scan_implILNS1_25lookback_scan_determinismE0ELb0ELb0ES3_N6thrust23THRUST_200600_302600_NS6detail15normal_iteratorINS9_10device_ptrIxEEEENS9_16discard_iteratorINS9_11use_defaultEEExNS9_4plusIvEExEEDaPvRmT3_T4_T5_mT6_P12ihipStream_tbENKUlT_T0_E_clISt17integral_constantIbLb0EESW_IbLb1EEEEDaSS_ST_EUlSS_E_NS1_11comp_targetILNS1_3genE4ELNS1_11target_archE910ELNS1_3gpuE8ELNS1_3repE0EEENS1_30default_config_static_selectorELNS0_4arch9wavefront6targetE1EEEvT1_.kd
    .uniform_work_group_size: 1
    .uses_dynamic_stack: false
    .vgpr_count:     50
    .vgpr_spill_count: 0
    .wavefront_size: 64
  - .agpr_count:     0
    .args:
      - .offset:         0
        .size:           112
        .value_kind:     by_value
    .group_segment_fixed_size: 0
    .kernarg_segment_align: 8
    .kernarg_segment_size: 112
    .language:       OpenCL C
    .language_version:
      - 2
      - 0
    .max_flat_workgroup_size: 256
    .name:           _ZN7rocprim17ROCPRIM_400000_NS6detail17trampoline_kernelINS0_14default_configENS1_20scan_config_selectorIxEEZZNS1_9scan_implILNS1_25lookback_scan_determinismE0ELb0ELb0ES3_N6thrust23THRUST_200600_302600_NS6detail15normal_iteratorINS9_10device_ptrIxEEEENS9_16discard_iteratorINS9_11use_defaultEEExNS9_4plusIvEExEEDaPvRmT3_T4_T5_mT6_P12ihipStream_tbENKUlT_T0_E_clISt17integral_constantIbLb0EESW_IbLb1EEEEDaSS_ST_EUlSS_E_NS1_11comp_targetILNS1_3genE3ELNS1_11target_archE908ELNS1_3gpuE7ELNS1_3repE0EEENS1_30default_config_static_selectorELNS0_4arch9wavefront6targetE1EEEvT1_
    .private_segment_fixed_size: 0
    .sgpr_count:     4
    .sgpr_spill_count: 0
    .symbol:         _ZN7rocprim17ROCPRIM_400000_NS6detail17trampoline_kernelINS0_14default_configENS1_20scan_config_selectorIxEEZZNS1_9scan_implILNS1_25lookback_scan_determinismE0ELb0ELb0ES3_N6thrust23THRUST_200600_302600_NS6detail15normal_iteratorINS9_10device_ptrIxEEEENS9_16discard_iteratorINS9_11use_defaultEEExNS9_4plusIvEExEEDaPvRmT3_T4_T5_mT6_P12ihipStream_tbENKUlT_T0_E_clISt17integral_constantIbLb0EESW_IbLb1EEEEDaSS_ST_EUlSS_E_NS1_11comp_targetILNS1_3genE3ELNS1_11target_archE908ELNS1_3gpuE7ELNS1_3repE0EEENS1_30default_config_static_selectorELNS0_4arch9wavefront6targetE1EEEvT1_.kd
    .uniform_work_group_size: 1
    .uses_dynamic_stack: false
    .vgpr_count:     0
    .vgpr_spill_count: 0
    .wavefront_size: 64
  - .agpr_count:     0
    .args:
      - .offset:         0
        .size:           112
        .value_kind:     by_value
    .group_segment_fixed_size: 0
    .kernarg_segment_align: 8
    .kernarg_segment_size: 112
    .language:       OpenCL C
    .language_version:
      - 2
      - 0
    .max_flat_workgroup_size: 64
    .name:           _ZN7rocprim17ROCPRIM_400000_NS6detail17trampoline_kernelINS0_14default_configENS1_20scan_config_selectorIxEEZZNS1_9scan_implILNS1_25lookback_scan_determinismE0ELb0ELb0ES3_N6thrust23THRUST_200600_302600_NS6detail15normal_iteratorINS9_10device_ptrIxEEEENS9_16discard_iteratorINS9_11use_defaultEEExNS9_4plusIvEExEEDaPvRmT3_T4_T5_mT6_P12ihipStream_tbENKUlT_T0_E_clISt17integral_constantIbLb0EESW_IbLb1EEEEDaSS_ST_EUlSS_E_NS1_11comp_targetILNS1_3genE2ELNS1_11target_archE906ELNS1_3gpuE6ELNS1_3repE0EEENS1_30default_config_static_selectorELNS0_4arch9wavefront6targetE1EEEvT1_
    .private_segment_fixed_size: 0
    .sgpr_count:     4
    .sgpr_spill_count: 0
    .symbol:         _ZN7rocprim17ROCPRIM_400000_NS6detail17trampoline_kernelINS0_14default_configENS1_20scan_config_selectorIxEEZZNS1_9scan_implILNS1_25lookback_scan_determinismE0ELb0ELb0ES3_N6thrust23THRUST_200600_302600_NS6detail15normal_iteratorINS9_10device_ptrIxEEEENS9_16discard_iteratorINS9_11use_defaultEEExNS9_4plusIvEExEEDaPvRmT3_T4_T5_mT6_P12ihipStream_tbENKUlT_T0_E_clISt17integral_constantIbLb0EESW_IbLb1EEEEDaSS_ST_EUlSS_E_NS1_11comp_targetILNS1_3genE2ELNS1_11target_archE906ELNS1_3gpuE6ELNS1_3repE0EEENS1_30default_config_static_selectorELNS0_4arch9wavefront6targetE1EEEvT1_.kd
    .uniform_work_group_size: 1
    .uses_dynamic_stack: false
    .vgpr_count:     0
    .vgpr_spill_count: 0
    .wavefront_size: 64
  - .agpr_count:     0
    .args:
      - .offset:         0
        .size:           112
        .value_kind:     by_value
    .group_segment_fixed_size: 0
    .kernarg_segment_align: 8
    .kernarg_segment_size: 112
    .language:       OpenCL C
    .language_version:
      - 2
      - 0
    .max_flat_workgroup_size: 256
    .name:           _ZN7rocprim17ROCPRIM_400000_NS6detail17trampoline_kernelINS0_14default_configENS1_20scan_config_selectorIxEEZZNS1_9scan_implILNS1_25lookback_scan_determinismE0ELb0ELb0ES3_N6thrust23THRUST_200600_302600_NS6detail15normal_iteratorINS9_10device_ptrIxEEEENS9_16discard_iteratorINS9_11use_defaultEEExNS9_4plusIvEExEEDaPvRmT3_T4_T5_mT6_P12ihipStream_tbENKUlT_T0_E_clISt17integral_constantIbLb0EESW_IbLb1EEEEDaSS_ST_EUlSS_E_NS1_11comp_targetILNS1_3genE10ELNS1_11target_archE1201ELNS1_3gpuE5ELNS1_3repE0EEENS1_30default_config_static_selectorELNS0_4arch9wavefront6targetE1EEEvT1_
    .private_segment_fixed_size: 0
    .sgpr_count:     4
    .sgpr_spill_count: 0
    .symbol:         _ZN7rocprim17ROCPRIM_400000_NS6detail17trampoline_kernelINS0_14default_configENS1_20scan_config_selectorIxEEZZNS1_9scan_implILNS1_25lookback_scan_determinismE0ELb0ELb0ES3_N6thrust23THRUST_200600_302600_NS6detail15normal_iteratorINS9_10device_ptrIxEEEENS9_16discard_iteratorINS9_11use_defaultEEExNS9_4plusIvEExEEDaPvRmT3_T4_T5_mT6_P12ihipStream_tbENKUlT_T0_E_clISt17integral_constantIbLb0EESW_IbLb1EEEEDaSS_ST_EUlSS_E_NS1_11comp_targetILNS1_3genE10ELNS1_11target_archE1201ELNS1_3gpuE5ELNS1_3repE0EEENS1_30default_config_static_selectorELNS0_4arch9wavefront6targetE1EEEvT1_.kd
    .uniform_work_group_size: 1
    .uses_dynamic_stack: false
    .vgpr_count:     0
    .vgpr_spill_count: 0
    .wavefront_size: 64
  - .agpr_count:     0
    .args:
      - .offset:         0
        .size:           112
        .value_kind:     by_value
    .group_segment_fixed_size: 0
    .kernarg_segment_align: 8
    .kernarg_segment_size: 112
    .language:       OpenCL C
    .language_version:
      - 2
      - 0
    .max_flat_workgroup_size: 256
    .name:           _ZN7rocprim17ROCPRIM_400000_NS6detail17trampoline_kernelINS0_14default_configENS1_20scan_config_selectorIxEEZZNS1_9scan_implILNS1_25lookback_scan_determinismE0ELb0ELb0ES3_N6thrust23THRUST_200600_302600_NS6detail15normal_iteratorINS9_10device_ptrIxEEEENS9_16discard_iteratorINS9_11use_defaultEEExNS9_4plusIvEExEEDaPvRmT3_T4_T5_mT6_P12ihipStream_tbENKUlT_T0_E_clISt17integral_constantIbLb0EESW_IbLb1EEEEDaSS_ST_EUlSS_E_NS1_11comp_targetILNS1_3genE10ELNS1_11target_archE1200ELNS1_3gpuE4ELNS1_3repE0EEENS1_30default_config_static_selectorELNS0_4arch9wavefront6targetE1EEEvT1_
    .private_segment_fixed_size: 0
    .sgpr_count:     4
    .sgpr_spill_count: 0
    .symbol:         _ZN7rocprim17ROCPRIM_400000_NS6detail17trampoline_kernelINS0_14default_configENS1_20scan_config_selectorIxEEZZNS1_9scan_implILNS1_25lookback_scan_determinismE0ELb0ELb0ES3_N6thrust23THRUST_200600_302600_NS6detail15normal_iteratorINS9_10device_ptrIxEEEENS9_16discard_iteratorINS9_11use_defaultEEExNS9_4plusIvEExEEDaPvRmT3_T4_T5_mT6_P12ihipStream_tbENKUlT_T0_E_clISt17integral_constantIbLb0EESW_IbLb1EEEEDaSS_ST_EUlSS_E_NS1_11comp_targetILNS1_3genE10ELNS1_11target_archE1200ELNS1_3gpuE4ELNS1_3repE0EEENS1_30default_config_static_selectorELNS0_4arch9wavefront6targetE1EEEvT1_.kd
    .uniform_work_group_size: 1
    .uses_dynamic_stack: false
    .vgpr_count:     0
    .vgpr_spill_count: 0
    .wavefront_size: 64
  - .agpr_count:     0
    .args:
      - .offset:         0
        .size:           112
        .value_kind:     by_value
    .group_segment_fixed_size: 0
    .kernarg_segment_align: 8
    .kernarg_segment_size: 112
    .language:       OpenCL C
    .language_version:
      - 2
      - 0
    .max_flat_workgroup_size: 256
    .name:           _ZN7rocprim17ROCPRIM_400000_NS6detail17trampoline_kernelINS0_14default_configENS1_20scan_config_selectorIxEEZZNS1_9scan_implILNS1_25lookback_scan_determinismE0ELb0ELb0ES3_N6thrust23THRUST_200600_302600_NS6detail15normal_iteratorINS9_10device_ptrIxEEEENS9_16discard_iteratorINS9_11use_defaultEEExNS9_4plusIvEExEEDaPvRmT3_T4_T5_mT6_P12ihipStream_tbENKUlT_T0_E_clISt17integral_constantIbLb0EESW_IbLb1EEEEDaSS_ST_EUlSS_E_NS1_11comp_targetILNS1_3genE9ELNS1_11target_archE1100ELNS1_3gpuE3ELNS1_3repE0EEENS1_30default_config_static_selectorELNS0_4arch9wavefront6targetE1EEEvT1_
    .private_segment_fixed_size: 0
    .sgpr_count:     4
    .sgpr_spill_count: 0
    .symbol:         _ZN7rocprim17ROCPRIM_400000_NS6detail17trampoline_kernelINS0_14default_configENS1_20scan_config_selectorIxEEZZNS1_9scan_implILNS1_25lookback_scan_determinismE0ELb0ELb0ES3_N6thrust23THRUST_200600_302600_NS6detail15normal_iteratorINS9_10device_ptrIxEEEENS9_16discard_iteratorINS9_11use_defaultEEExNS9_4plusIvEExEEDaPvRmT3_T4_T5_mT6_P12ihipStream_tbENKUlT_T0_E_clISt17integral_constantIbLb0EESW_IbLb1EEEEDaSS_ST_EUlSS_E_NS1_11comp_targetILNS1_3genE9ELNS1_11target_archE1100ELNS1_3gpuE3ELNS1_3repE0EEENS1_30default_config_static_selectorELNS0_4arch9wavefront6targetE1EEEvT1_.kd
    .uniform_work_group_size: 1
    .uses_dynamic_stack: false
    .vgpr_count:     0
    .vgpr_spill_count: 0
    .wavefront_size: 64
  - .agpr_count:     0
    .args:
      - .offset:         0
        .size:           112
        .value_kind:     by_value
    .group_segment_fixed_size: 0
    .kernarg_segment_align: 8
    .kernarg_segment_size: 112
    .language:       OpenCL C
    .language_version:
      - 2
      - 0
    .max_flat_workgroup_size: 256
    .name:           _ZN7rocprim17ROCPRIM_400000_NS6detail17trampoline_kernelINS0_14default_configENS1_20scan_config_selectorIxEEZZNS1_9scan_implILNS1_25lookback_scan_determinismE0ELb0ELb0ES3_N6thrust23THRUST_200600_302600_NS6detail15normal_iteratorINS9_10device_ptrIxEEEENS9_16discard_iteratorINS9_11use_defaultEEExNS9_4plusIvEExEEDaPvRmT3_T4_T5_mT6_P12ihipStream_tbENKUlT_T0_E_clISt17integral_constantIbLb0EESW_IbLb1EEEEDaSS_ST_EUlSS_E_NS1_11comp_targetILNS1_3genE8ELNS1_11target_archE1030ELNS1_3gpuE2ELNS1_3repE0EEENS1_30default_config_static_selectorELNS0_4arch9wavefront6targetE1EEEvT1_
    .private_segment_fixed_size: 0
    .sgpr_count:     4
    .sgpr_spill_count: 0
    .symbol:         _ZN7rocprim17ROCPRIM_400000_NS6detail17trampoline_kernelINS0_14default_configENS1_20scan_config_selectorIxEEZZNS1_9scan_implILNS1_25lookback_scan_determinismE0ELb0ELb0ES3_N6thrust23THRUST_200600_302600_NS6detail15normal_iteratorINS9_10device_ptrIxEEEENS9_16discard_iteratorINS9_11use_defaultEEExNS9_4plusIvEExEEDaPvRmT3_T4_T5_mT6_P12ihipStream_tbENKUlT_T0_E_clISt17integral_constantIbLb0EESW_IbLb1EEEEDaSS_ST_EUlSS_E_NS1_11comp_targetILNS1_3genE8ELNS1_11target_archE1030ELNS1_3gpuE2ELNS1_3repE0EEENS1_30default_config_static_selectorELNS0_4arch9wavefront6targetE1EEEvT1_.kd
    .uniform_work_group_size: 1
    .uses_dynamic_stack: false
    .vgpr_count:     0
    .vgpr_spill_count: 0
    .wavefront_size: 64
  - .agpr_count:     0
    .args:
      - .offset:         0
        .size:           48
        .value_kind:     by_value
    .group_segment_fixed_size: 0
    .kernarg_segment_align: 8
    .kernarg_segment_size: 48
    .language:       OpenCL C
    .language_version:
      - 2
      - 0
    .max_flat_workgroup_size: 256
    .name:           _ZN7rocprim17ROCPRIM_400000_NS6detail17trampoline_kernelINS0_14default_configENS1_20scan_config_selectorIxEEZZNS1_9scan_implILNS1_25lookback_scan_determinismE0ELb0ELb0ES3_N6thrust23THRUST_200600_302600_NS6detail15normal_iteratorINS9_10device_ptrIxEEEENS9_16discard_iteratorINS9_11use_defaultEEExNS9_4plusIvEExEEDaPvRmT3_T4_T5_mT6_P12ihipStream_tbENKUlT_T0_E_clISt17integral_constantIbLb0EESW_IbLb1EEEEDaSS_ST_EUlSS_E0_NS1_11comp_targetILNS1_3genE0ELNS1_11target_archE4294967295ELNS1_3gpuE0ELNS1_3repE0EEENS1_30default_config_static_selectorELNS0_4arch9wavefront6targetE1EEEvT1_
    .private_segment_fixed_size: 0
    .sgpr_count:     4
    .sgpr_spill_count: 0
    .symbol:         _ZN7rocprim17ROCPRIM_400000_NS6detail17trampoline_kernelINS0_14default_configENS1_20scan_config_selectorIxEEZZNS1_9scan_implILNS1_25lookback_scan_determinismE0ELb0ELb0ES3_N6thrust23THRUST_200600_302600_NS6detail15normal_iteratorINS9_10device_ptrIxEEEENS9_16discard_iteratorINS9_11use_defaultEEExNS9_4plusIvEExEEDaPvRmT3_T4_T5_mT6_P12ihipStream_tbENKUlT_T0_E_clISt17integral_constantIbLb0EESW_IbLb1EEEEDaSS_ST_EUlSS_E0_NS1_11comp_targetILNS1_3genE0ELNS1_11target_archE4294967295ELNS1_3gpuE0ELNS1_3repE0EEENS1_30default_config_static_selectorELNS0_4arch9wavefront6targetE1EEEvT1_.kd
    .uniform_work_group_size: 1
    .uses_dynamic_stack: false
    .vgpr_count:     0
    .vgpr_spill_count: 0
    .wavefront_size: 64
  - .agpr_count:     0
    .args:
      - .offset:         0
        .size:           48
        .value_kind:     by_value
    .group_segment_fixed_size: 0
    .kernarg_segment_align: 8
    .kernarg_segment_size: 48
    .language:       OpenCL C
    .language_version:
      - 2
      - 0
    .max_flat_workgroup_size: 256
    .name:           _ZN7rocprim17ROCPRIM_400000_NS6detail17trampoline_kernelINS0_14default_configENS1_20scan_config_selectorIxEEZZNS1_9scan_implILNS1_25lookback_scan_determinismE0ELb0ELb0ES3_N6thrust23THRUST_200600_302600_NS6detail15normal_iteratorINS9_10device_ptrIxEEEENS9_16discard_iteratorINS9_11use_defaultEEExNS9_4plusIvEExEEDaPvRmT3_T4_T5_mT6_P12ihipStream_tbENKUlT_T0_E_clISt17integral_constantIbLb0EESW_IbLb1EEEEDaSS_ST_EUlSS_E0_NS1_11comp_targetILNS1_3genE5ELNS1_11target_archE942ELNS1_3gpuE9ELNS1_3repE0EEENS1_30default_config_static_selectorELNS0_4arch9wavefront6targetE1EEEvT1_
    .private_segment_fixed_size: 0
    .sgpr_count:     4
    .sgpr_spill_count: 0
    .symbol:         _ZN7rocprim17ROCPRIM_400000_NS6detail17trampoline_kernelINS0_14default_configENS1_20scan_config_selectorIxEEZZNS1_9scan_implILNS1_25lookback_scan_determinismE0ELb0ELb0ES3_N6thrust23THRUST_200600_302600_NS6detail15normal_iteratorINS9_10device_ptrIxEEEENS9_16discard_iteratorINS9_11use_defaultEEExNS9_4plusIvEExEEDaPvRmT3_T4_T5_mT6_P12ihipStream_tbENKUlT_T0_E_clISt17integral_constantIbLb0EESW_IbLb1EEEEDaSS_ST_EUlSS_E0_NS1_11comp_targetILNS1_3genE5ELNS1_11target_archE942ELNS1_3gpuE9ELNS1_3repE0EEENS1_30default_config_static_selectorELNS0_4arch9wavefront6targetE1EEEvT1_.kd
    .uniform_work_group_size: 1
    .uses_dynamic_stack: false
    .vgpr_count:     0
    .vgpr_spill_count: 0
    .wavefront_size: 64
  - .agpr_count:     0
    .args:
      - .offset:         0
        .size:           48
        .value_kind:     by_value
    .group_segment_fixed_size: 7168
    .kernarg_segment_align: 8
    .kernarg_segment_size: 48
    .language:       OpenCL C
    .language_version:
      - 2
      - 0
    .max_flat_workgroup_size: 128
    .name:           _ZN7rocprim17ROCPRIM_400000_NS6detail17trampoline_kernelINS0_14default_configENS1_20scan_config_selectorIxEEZZNS1_9scan_implILNS1_25lookback_scan_determinismE0ELb0ELb0ES3_N6thrust23THRUST_200600_302600_NS6detail15normal_iteratorINS9_10device_ptrIxEEEENS9_16discard_iteratorINS9_11use_defaultEEExNS9_4plusIvEExEEDaPvRmT3_T4_T5_mT6_P12ihipStream_tbENKUlT_T0_E_clISt17integral_constantIbLb0EESW_IbLb1EEEEDaSS_ST_EUlSS_E0_NS1_11comp_targetILNS1_3genE4ELNS1_11target_archE910ELNS1_3gpuE8ELNS1_3repE0EEENS1_30default_config_static_selectorELNS0_4arch9wavefront6targetE1EEEvT1_
    .private_segment_fixed_size: 0
    .sgpr_count:     12
    .sgpr_spill_count: 0
    .symbol:         _ZN7rocprim17ROCPRIM_400000_NS6detail17trampoline_kernelINS0_14default_configENS1_20scan_config_selectorIxEEZZNS1_9scan_implILNS1_25lookback_scan_determinismE0ELb0ELb0ES3_N6thrust23THRUST_200600_302600_NS6detail15normal_iteratorINS9_10device_ptrIxEEEENS9_16discard_iteratorINS9_11use_defaultEEExNS9_4plusIvEExEEDaPvRmT3_T4_T5_mT6_P12ihipStream_tbENKUlT_T0_E_clISt17integral_constantIbLb0EESW_IbLb1EEEEDaSS_ST_EUlSS_E0_NS1_11comp_targetILNS1_3genE4ELNS1_11target_archE910ELNS1_3gpuE8ELNS1_3repE0EEENS1_30default_config_static_selectorELNS0_4arch9wavefront6targetE1EEEvT1_.kd
    .uniform_work_group_size: 1
    .uses_dynamic_stack: false
    .vgpr_count:     41
    .vgpr_spill_count: 0
    .wavefront_size: 64
  - .agpr_count:     0
    .args:
      - .offset:         0
        .size:           48
        .value_kind:     by_value
    .group_segment_fixed_size: 0
    .kernarg_segment_align: 8
    .kernarg_segment_size: 48
    .language:       OpenCL C
    .language_version:
      - 2
      - 0
    .max_flat_workgroup_size: 256
    .name:           _ZN7rocprim17ROCPRIM_400000_NS6detail17trampoline_kernelINS0_14default_configENS1_20scan_config_selectorIxEEZZNS1_9scan_implILNS1_25lookback_scan_determinismE0ELb0ELb0ES3_N6thrust23THRUST_200600_302600_NS6detail15normal_iteratorINS9_10device_ptrIxEEEENS9_16discard_iteratorINS9_11use_defaultEEExNS9_4plusIvEExEEDaPvRmT3_T4_T5_mT6_P12ihipStream_tbENKUlT_T0_E_clISt17integral_constantIbLb0EESW_IbLb1EEEEDaSS_ST_EUlSS_E0_NS1_11comp_targetILNS1_3genE3ELNS1_11target_archE908ELNS1_3gpuE7ELNS1_3repE0EEENS1_30default_config_static_selectorELNS0_4arch9wavefront6targetE1EEEvT1_
    .private_segment_fixed_size: 0
    .sgpr_count:     4
    .sgpr_spill_count: 0
    .symbol:         _ZN7rocprim17ROCPRIM_400000_NS6detail17trampoline_kernelINS0_14default_configENS1_20scan_config_selectorIxEEZZNS1_9scan_implILNS1_25lookback_scan_determinismE0ELb0ELb0ES3_N6thrust23THRUST_200600_302600_NS6detail15normal_iteratorINS9_10device_ptrIxEEEENS9_16discard_iteratorINS9_11use_defaultEEExNS9_4plusIvEExEEDaPvRmT3_T4_T5_mT6_P12ihipStream_tbENKUlT_T0_E_clISt17integral_constantIbLb0EESW_IbLb1EEEEDaSS_ST_EUlSS_E0_NS1_11comp_targetILNS1_3genE3ELNS1_11target_archE908ELNS1_3gpuE7ELNS1_3repE0EEENS1_30default_config_static_selectorELNS0_4arch9wavefront6targetE1EEEvT1_.kd
    .uniform_work_group_size: 1
    .uses_dynamic_stack: false
    .vgpr_count:     0
    .vgpr_spill_count: 0
    .wavefront_size: 64
  - .agpr_count:     0
    .args:
      - .offset:         0
        .size:           48
        .value_kind:     by_value
    .group_segment_fixed_size: 0
    .kernarg_segment_align: 8
    .kernarg_segment_size: 48
    .language:       OpenCL C
    .language_version:
      - 2
      - 0
    .max_flat_workgroup_size: 64
    .name:           _ZN7rocprim17ROCPRIM_400000_NS6detail17trampoline_kernelINS0_14default_configENS1_20scan_config_selectorIxEEZZNS1_9scan_implILNS1_25lookback_scan_determinismE0ELb0ELb0ES3_N6thrust23THRUST_200600_302600_NS6detail15normal_iteratorINS9_10device_ptrIxEEEENS9_16discard_iteratorINS9_11use_defaultEEExNS9_4plusIvEExEEDaPvRmT3_T4_T5_mT6_P12ihipStream_tbENKUlT_T0_E_clISt17integral_constantIbLb0EESW_IbLb1EEEEDaSS_ST_EUlSS_E0_NS1_11comp_targetILNS1_3genE2ELNS1_11target_archE906ELNS1_3gpuE6ELNS1_3repE0EEENS1_30default_config_static_selectorELNS0_4arch9wavefront6targetE1EEEvT1_
    .private_segment_fixed_size: 0
    .sgpr_count:     4
    .sgpr_spill_count: 0
    .symbol:         _ZN7rocprim17ROCPRIM_400000_NS6detail17trampoline_kernelINS0_14default_configENS1_20scan_config_selectorIxEEZZNS1_9scan_implILNS1_25lookback_scan_determinismE0ELb0ELb0ES3_N6thrust23THRUST_200600_302600_NS6detail15normal_iteratorINS9_10device_ptrIxEEEENS9_16discard_iteratorINS9_11use_defaultEEExNS9_4plusIvEExEEDaPvRmT3_T4_T5_mT6_P12ihipStream_tbENKUlT_T0_E_clISt17integral_constantIbLb0EESW_IbLb1EEEEDaSS_ST_EUlSS_E0_NS1_11comp_targetILNS1_3genE2ELNS1_11target_archE906ELNS1_3gpuE6ELNS1_3repE0EEENS1_30default_config_static_selectorELNS0_4arch9wavefront6targetE1EEEvT1_.kd
    .uniform_work_group_size: 1
    .uses_dynamic_stack: false
    .vgpr_count:     0
    .vgpr_spill_count: 0
    .wavefront_size: 64
  - .agpr_count:     0
    .args:
      - .offset:         0
        .size:           48
        .value_kind:     by_value
    .group_segment_fixed_size: 0
    .kernarg_segment_align: 8
    .kernarg_segment_size: 48
    .language:       OpenCL C
    .language_version:
      - 2
      - 0
    .max_flat_workgroup_size: 256
    .name:           _ZN7rocprim17ROCPRIM_400000_NS6detail17trampoline_kernelINS0_14default_configENS1_20scan_config_selectorIxEEZZNS1_9scan_implILNS1_25lookback_scan_determinismE0ELb0ELb0ES3_N6thrust23THRUST_200600_302600_NS6detail15normal_iteratorINS9_10device_ptrIxEEEENS9_16discard_iteratorINS9_11use_defaultEEExNS9_4plusIvEExEEDaPvRmT3_T4_T5_mT6_P12ihipStream_tbENKUlT_T0_E_clISt17integral_constantIbLb0EESW_IbLb1EEEEDaSS_ST_EUlSS_E0_NS1_11comp_targetILNS1_3genE10ELNS1_11target_archE1201ELNS1_3gpuE5ELNS1_3repE0EEENS1_30default_config_static_selectorELNS0_4arch9wavefront6targetE1EEEvT1_
    .private_segment_fixed_size: 0
    .sgpr_count:     4
    .sgpr_spill_count: 0
    .symbol:         _ZN7rocprim17ROCPRIM_400000_NS6detail17trampoline_kernelINS0_14default_configENS1_20scan_config_selectorIxEEZZNS1_9scan_implILNS1_25lookback_scan_determinismE0ELb0ELb0ES3_N6thrust23THRUST_200600_302600_NS6detail15normal_iteratorINS9_10device_ptrIxEEEENS9_16discard_iteratorINS9_11use_defaultEEExNS9_4plusIvEExEEDaPvRmT3_T4_T5_mT6_P12ihipStream_tbENKUlT_T0_E_clISt17integral_constantIbLb0EESW_IbLb1EEEEDaSS_ST_EUlSS_E0_NS1_11comp_targetILNS1_3genE10ELNS1_11target_archE1201ELNS1_3gpuE5ELNS1_3repE0EEENS1_30default_config_static_selectorELNS0_4arch9wavefront6targetE1EEEvT1_.kd
    .uniform_work_group_size: 1
    .uses_dynamic_stack: false
    .vgpr_count:     0
    .vgpr_spill_count: 0
    .wavefront_size: 64
  - .agpr_count:     0
    .args:
      - .offset:         0
        .size:           48
        .value_kind:     by_value
    .group_segment_fixed_size: 0
    .kernarg_segment_align: 8
    .kernarg_segment_size: 48
    .language:       OpenCL C
    .language_version:
      - 2
      - 0
    .max_flat_workgroup_size: 256
    .name:           _ZN7rocprim17ROCPRIM_400000_NS6detail17trampoline_kernelINS0_14default_configENS1_20scan_config_selectorIxEEZZNS1_9scan_implILNS1_25lookback_scan_determinismE0ELb0ELb0ES3_N6thrust23THRUST_200600_302600_NS6detail15normal_iteratorINS9_10device_ptrIxEEEENS9_16discard_iteratorINS9_11use_defaultEEExNS9_4plusIvEExEEDaPvRmT3_T4_T5_mT6_P12ihipStream_tbENKUlT_T0_E_clISt17integral_constantIbLb0EESW_IbLb1EEEEDaSS_ST_EUlSS_E0_NS1_11comp_targetILNS1_3genE10ELNS1_11target_archE1200ELNS1_3gpuE4ELNS1_3repE0EEENS1_30default_config_static_selectorELNS0_4arch9wavefront6targetE1EEEvT1_
    .private_segment_fixed_size: 0
    .sgpr_count:     4
    .sgpr_spill_count: 0
    .symbol:         _ZN7rocprim17ROCPRIM_400000_NS6detail17trampoline_kernelINS0_14default_configENS1_20scan_config_selectorIxEEZZNS1_9scan_implILNS1_25lookback_scan_determinismE0ELb0ELb0ES3_N6thrust23THRUST_200600_302600_NS6detail15normal_iteratorINS9_10device_ptrIxEEEENS9_16discard_iteratorINS9_11use_defaultEEExNS9_4plusIvEExEEDaPvRmT3_T4_T5_mT6_P12ihipStream_tbENKUlT_T0_E_clISt17integral_constantIbLb0EESW_IbLb1EEEEDaSS_ST_EUlSS_E0_NS1_11comp_targetILNS1_3genE10ELNS1_11target_archE1200ELNS1_3gpuE4ELNS1_3repE0EEENS1_30default_config_static_selectorELNS0_4arch9wavefront6targetE1EEEvT1_.kd
    .uniform_work_group_size: 1
    .uses_dynamic_stack: false
    .vgpr_count:     0
    .vgpr_spill_count: 0
    .wavefront_size: 64
  - .agpr_count:     0
    .args:
      - .offset:         0
        .size:           48
        .value_kind:     by_value
    .group_segment_fixed_size: 0
    .kernarg_segment_align: 8
    .kernarg_segment_size: 48
    .language:       OpenCL C
    .language_version:
      - 2
      - 0
    .max_flat_workgroup_size: 256
    .name:           _ZN7rocprim17ROCPRIM_400000_NS6detail17trampoline_kernelINS0_14default_configENS1_20scan_config_selectorIxEEZZNS1_9scan_implILNS1_25lookback_scan_determinismE0ELb0ELb0ES3_N6thrust23THRUST_200600_302600_NS6detail15normal_iteratorINS9_10device_ptrIxEEEENS9_16discard_iteratorINS9_11use_defaultEEExNS9_4plusIvEExEEDaPvRmT3_T4_T5_mT6_P12ihipStream_tbENKUlT_T0_E_clISt17integral_constantIbLb0EESW_IbLb1EEEEDaSS_ST_EUlSS_E0_NS1_11comp_targetILNS1_3genE9ELNS1_11target_archE1100ELNS1_3gpuE3ELNS1_3repE0EEENS1_30default_config_static_selectorELNS0_4arch9wavefront6targetE1EEEvT1_
    .private_segment_fixed_size: 0
    .sgpr_count:     4
    .sgpr_spill_count: 0
    .symbol:         _ZN7rocprim17ROCPRIM_400000_NS6detail17trampoline_kernelINS0_14default_configENS1_20scan_config_selectorIxEEZZNS1_9scan_implILNS1_25lookback_scan_determinismE0ELb0ELb0ES3_N6thrust23THRUST_200600_302600_NS6detail15normal_iteratorINS9_10device_ptrIxEEEENS9_16discard_iteratorINS9_11use_defaultEEExNS9_4plusIvEExEEDaPvRmT3_T4_T5_mT6_P12ihipStream_tbENKUlT_T0_E_clISt17integral_constantIbLb0EESW_IbLb1EEEEDaSS_ST_EUlSS_E0_NS1_11comp_targetILNS1_3genE9ELNS1_11target_archE1100ELNS1_3gpuE3ELNS1_3repE0EEENS1_30default_config_static_selectorELNS0_4arch9wavefront6targetE1EEEvT1_.kd
    .uniform_work_group_size: 1
    .uses_dynamic_stack: false
    .vgpr_count:     0
    .vgpr_spill_count: 0
    .wavefront_size: 64
  - .agpr_count:     0
    .args:
      - .offset:         0
        .size:           48
        .value_kind:     by_value
    .group_segment_fixed_size: 0
    .kernarg_segment_align: 8
    .kernarg_segment_size: 48
    .language:       OpenCL C
    .language_version:
      - 2
      - 0
    .max_flat_workgroup_size: 256
    .name:           _ZN7rocprim17ROCPRIM_400000_NS6detail17trampoline_kernelINS0_14default_configENS1_20scan_config_selectorIxEEZZNS1_9scan_implILNS1_25lookback_scan_determinismE0ELb0ELb0ES3_N6thrust23THRUST_200600_302600_NS6detail15normal_iteratorINS9_10device_ptrIxEEEENS9_16discard_iteratorINS9_11use_defaultEEExNS9_4plusIvEExEEDaPvRmT3_T4_T5_mT6_P12ihipStream_tbENKUlT_T0_E_clISt17integral_constantIbLb0EESW_IbLb1EEEEDaSS_ST_EUlSS_E0_NS1_11comp_targetILNS1_3genE8ELNS1_11target_archE1030ELNS1_3gpuE2ELNS1_3repE0EEENS1_30default_config_static_selectorELNS0_4arch9wavefront6targetE1EEEvT1_
    .private_segment_fixed_size: 0
    .sgpr_count:     4
    .sgpr_spill_count: 0
    .symbol:         _ZN7rocprim17ROCPRIM_400000_NS6detail17trampoline_kernelINS0_14default_configENS1_20scan_config_selectorIxEEZZNS1_9scan_implILNS1_25lookback_scan_determinismE0ELb0ELb0ES3_N6thrust23THRUST_200600_302600_NS6detail15normal_iteratorINS9_10device_ptrIxEEEENS9_16discard_iteratorINS9_11use_defaultEEExNS9_4plusIvEExEEDaPvRmT3_T4_T5_mT6_P12ihipStream_tbENKUlT_T0_E_clISt17integral_constantIbLb0EESW_IbLb1EEEEDaSS_ST_EUlSS_E0_NS1_11comp_targetILNS1_3genE8ELNS1_11target_archE1030ELNS1_3gpuE2ELNS1_3repE0EEENS1_30default_config_static_selectorELNS0_4arch9wavefront6targetE1EEEvT1_.kd
    .uniform_work_group_size: 1
    .uses_dynamic_stack: false
    .vgpr_count:     0
    .vgpr_spill_count: 0
    .wavefront_size: 64
  - .agpr_count:     0
    .args:
      - .offset:         0
        .size:           112
        .value_kind:     by_value
    .group_segment_fixed_size: 0
    .kernarg_segment_align: 8
    .kernarg_segment_size: 112
    .language:       OpenCL C
    .language_version:
      - 2
      - 0
    .max_flat_workgroup_size: 256
    .name:           _ZN7rocprim17ROCPRIM_400000_NS6detail17trampoline_kernelINS0_14default_configENS1_20scan_config_selectorIxEEZZNS1_9scan_implILNS1_25lookback_scan_determinismE0ELb1ELb1ES3_N6thrust23THRUST_200600_302600_NS6detail15normal_iteratorINS9_10device_ptrIxEEEENS9_16discard_iteratorINS9_11use_defaultEEExNS9_4plusIvEExEEDaPvRmT3_T4_T5_mT6_P12ihipStream_tbENKUlT_T0_E_clISt17integral_constantIbLb0EESX_EEDaSS_ST_EUlSS_E_NS1_11comp_targetILNS1_3genE0ELNS1_11target_archE4294967295ELNS1_3gpuE0ELNS1_3repE0EEENS1_30default_config_static_selectorELNS0_4arch9wavefront6targetE1EEEvT1_
    .private_segment_fixed_size: 0
    .sgpr_count:     4
    .sgpr_spill_count: 0
    .symbol:         _ZN7rocprim17ROCPRIM_400000_NS6detail17trampoline_kernelINS0_14default_configENS1_20scan_config_selectorIxEEZZNS1_9scan_implILNS1_25lookback_scan_determinismE0ELb1ELb1ES3_N6thrust23THRUST_200600_302600_NS6detail15normal_iteratorINS9_10device_ptrIxEEEENS9_16discard_iteratorINS9_11use_defaultEEExNS9_4plusIvEExEEDaPvRmT3_T4_T5_mT6_P12ihipStream_tbENKUlT_T0_E_clISt17integral_constantIbLb0EESX_EEDaSS_ST_EUlSS_E_NS1_11comp_targetILNS1_3genE0ELNS1_11target_archE4294967295ELNS1_3gpuE0ELNS1_3repE0EEENS1_30default_config_static_selectorELNS0_4arch9wavefront6targetE1EEEvT1_.kd
    .uniform_work_group_size: 1
    .uses_dynamic_stack: false
    .vgpr_count:     0
    .vgpr_spill_count: 0
    .wavefront_size: 64
  - .agpr_count:     0
    .args:
      - .offset:         0
        .size:           112
        .value_kind:     by_value
    .group_segment_fixed_size: 0
    .kernarg_segment_align: 8
    .kernarg_segment_size: 112
    .language:       OpenCL C
    .language_version:
      - 2
      - 0
    .max_flat_workgroup_size: 256
    .name:           _ZN7rocprim17ROCPRIM_400000_NS6detail17trampoline_kernelINS0_14default_configENS1_20scan_config_selectorIxEEZZNS1_9scan_implILNS1_25lookback_scan_determinismE0ELb1ELb1ES3_N6thrust23THRUST_200600_302600_NS6detail15normal_iteratorINS9_10device_ptrIxEEEENS9_16discard_iteratorINS9_11use_defaultEEExNS9_4plusIvEExEEDaPvRmT3_T4_T5_mT6_P12ihipStream_tbENKUlT_T0_E_clISt17integral_constantIbLb0EESX_EEDaSS_ST_EUlSS_E_NS1_11comp_targetILNS1_3genE5ELNS1_11target_archE942ELNS1_3gpuE9ELNS1_3repE0EEENS1_30default_config_static_selectorELNS0_4arch9wavefront6targetE1EEEvT1_
    .private_segment_fixed_size: 0
    .sgpr_count:     4
    .sgpr_spill_count: 0
    .symbol:         _ZN7rocprim17ROCPRIM_400000_NS6detail17trampoline_kernelINS0_14default_configENS1_20scan_config_selectorIxEEZZNS1_9scan_implILNS1_25lookback_scan_determinismE0ELb1ELb1ES3_N6thrust23THRUST_200600_302600_NS6detail15normal_iteratorINS9_10device_ptrIxEEEENS9_16discard_iteratorINS9_11use_defaultEEExNS9_4plusIvEExEEDaPvRmT3_T4_T5_mT6_P12ihipStream_tbENKUlT_T0_E_clISt17integral_constantIbLb0EESX_EEDaSS_ST_EUlSS_E_NS1_11comp_targetILNS1_3genE5ELNS1_11target_archE942ELNS1_3gpuE9ELNS1_3repE0EEENS1_30default_config_static_selectorELNS0_4arch9wavefront6targetE1EEEvT1_.kd
    .uniform_work_group_size: 1
    .uses_dynamic_stack: false
    .vgpr_count:     0
    .vgpr_spill_count: 0
    .wavefront_size: 64
  - .agpr_count:     0
    .args:
      - .offset:         0
        .size:           112
        .value_kind:     by_value
    .group_segment_fixed_size: 7168
    .kernarg_segment_align: 8
    .kernarg_segment_size: 112
    .language:       OpenCL C
    .language_version:
      - 2
      - 0
    .max_flat_workgroup_size: 128
    .name:           _ZN7rocprim17ROCPRIM_400000_NS6detail17trampoline_kernelINS0_14default_configENS1_20scan_config_selectorIxEEZZNS1_9scan_implILNS1_25lookback_scan_determinismE0ELb1ELb1ES3_N6thrust23THRUST_200600_302600_NS6detail15normal_iteratorINS9_10device_ptrIxEEEENS9_16discard_iteratorINS9_11use_defaultEEExNS9_4plusIvEExEEDaPvRmT3_T4_T5_mT6_P12ihipStream_tbENKUlT_T0_E_clISt17integral_constantIbLb0EESX_EEDaSS_ST_EUlSS_E_NS1_11comp_targetILNS1_3genE4ELNS1_11target_archE910ELNS1_3gpuE8ELNS1_3repE0EEENS1_30default_config_static_selectorELNS0_4arch9wavefront6targetE1EEEvT1_
    .private_segment_fixed_size: 0
    .sgpr_count:     30
    .sgpr_spill_count: 0
    .symbol:         _ZN7rocprim17ROCPRIM_400000_NS6detail17trampoline_kernelINS0_14default_configENS1_20scan_config_selectorIxEEZZNS1_9scan_implILNS1_25lookback_scan_determinismE0ELb1ELb1ES3_N6thrust23THRUST_200600_302600_NS6detail15normal_iteratorINS9_10device_ptrIxEEEENS9_16discard_iteratorINS9_11use_defaultEEExNS9_4plusIvEExEEDaPvRmT3_T4_T5_mT6_P12ihipStream_tbENKUlT_T0_E_clISt17integral_constantIbLb0EESX_EEDaSS_ST_EUlSS_E_NS1_11comp_targetILNS1_3genE4ELNS1_11target_archE910ELNS1_3gpuE8ELNS1_3repE0EEENS1_30default_config_static_selectorELNS0_4arch9wavefront6targetE1EEEvT1_.kd
    .uniform_work_group_size: 1
    .uses_dynamic_stack: false
    .vgpr_count:     50
    .vgpr_spill_count: 0
    .wavefront_size: 64
  - .agpr_count:     0
    .args:
      - .offset:         0
        .size:           112
        .value_kind:     by_value
    .group_segment_fixed_size: 0
    .kernarg_segment_align: 8
    .kernarg_segment_size: 112
    .language:       OpenCL C
    .language_version:
      - 2
      - 0
    .max_flat_workgroup_size: 256
    .name:           _ZN7rocprim17ROCPRIM_400000_NS6detail17trampoline_kernelINS0_14default_configENS1_20scan_config_selectorIxEEZZNS1_9scan_implILNS1_25lookback_scan_determinismE0ELb1ELb1ES3_N6thrust23THRUST_200600_302600_NS6detail15normal_iteratorINS9_10device_ptrIxEEEENS9_16discard_iteratorINS9_11use_defaultEEExNS9_4plusIvEExEEDaPvRmT3_T4_T5_mT6_P12ihipStream_tbENKUlT_T0_E_clISt17integral_constantIbLb0EESX_EEDaSS_ST_EUlSS_E_NS1_11comp_targetILNS1_3genE3ELNS1_11target_archE908ELNS1_3gpuE7ELNS1_3repE0EEENS1_30default_config_static_selectorELNS0_4arch9wavefront6targetE1EEEvT1_
    .private_segment_fixed_size: 0
    .sgpr_count:     4
    .sgpr_spill_count: 0
    .symbol:         _ZN7rocprim17ROCPRIM_400000_NS6detail17trampoline_kernelINS0_14default_configENS1_20scan_config_selectorIxEEZZNS1_9scan_implILNS1_25lookback_scan_determinismE0ELb1ELb1ES3_N6thrust23THRUST_200600_302600_NS6detail15normal_iteratorINS9_10device_ptrIxEEEENS9_16discard_iteratorINS9_11use_defaultEEExNS9_4plusIvEExEEDaPvRmT3_T4_T5_mT6_P12ihipStream_tbENKUlT_T0_E_clISt17integral_constantIbLb0EESX_EEDaSS_ST_EUlSS_E_NS1_11comp_targetILNS1_3genE3ELNS1_11target_archE908ELNS1_3gpuE7ELNS1_3repE0EEENS1_30default_config_static_selectorELNS0_4arch9wavefront6targetE1EEEvT1_.kd
    .uniform_work_group_size: 1
    .uses_dynamic_stack: false
    .vgpr_count:     0
    .vgpr_spill_count: 0
    .wavefront_size: 64
  - .agpr_count:     0
    .args:
      - .offset:         0
        .size:           112
        .value_kind:     by_value
    .group_segment_fixed_size: 0
    .kernarg_segment_align: 8
    .kernarg_segment_size: 112
    .language:       OpenCL C
    .language_version:
      - 2
      - 0
    .max_flat_workgroup_size: 64
    .name:           _ZN7rocprim17ROCPRIM_400000_NS6detail17trampoline_kernelINS0_14default_configENS1_20scan_config_selectorIxEEZZNS1_9scan_implILNS1_25lookback_scan_determinismE0ELb1ELb1ES3_N6thrust23THRUST_200600_302600_NS6detail15normal_iteratorINS9_10device_ptrIxEEEENS9_16discard_iteratorINS9_11use_defaultEEExNS9_4plusIvEExEEDaPvRmT3_T4_T5_mT6_P12ihipStream_tbENKUlT_T0_E_clISt17integral_constantIbLb0EESX_EEDaSS_ST_EUlSS_E_NS1_11comp_targetILNS1_3genE2ELNS1_11target_archE906ELNS1_3gpuE6ELNS1_3repE0EEENS1_30default_config_static_selectorELNS0_4arch9wavefront6targetE1EEEvT1_
    .private_segment_fixed_size: 0
    .sgpr_count:     4
    .sgpr_spill_count: 0
    .symbol:         _ZN7rocprim17ROCPRIM_400000_NS6detail17trampoline_kernelINS0_14default_configENS1_20scan_config_selectorIxEEZZNS1_9scan_implILNS1_25lookback_scan_determinismE0ELb1ELb1ES3_N6thrust23THRUST_200600_302600_NS6detail15normal_iteratorINS9_10device_ptrIxEEEENS9_16discard_iteratorINS9_11use_defaultEEExNS9_4plusIvEExEEDaPvRmT3_T4_T5_mT6_P12ihipStream_tbENKUlT_T0_E_clISt17integral_constantIbLb0EESX_EEDaSS_ST_EUlSS_E_NS1_11comp_targetILNS1_3genE2ELNS1_11target_archE906ELNS1_3gpuE6ELNS1_3repE0EEENS1_30default_config_static_selectorELNS0_4arch9wavefront6targetE1EEEvT1_.kd
    .uniform_work_group_size: 1
    .uses_dynamic_stack: false
    .vgpr_count:     0
    .vgpr_spill_count: 0
    .wavefront_size: 64
  - .agpr_count:     0
    .args:
      - .offset:         0
        .size:           112
        .value_kind:     by_value
    .group_segment_fixed_size: 0
    .kernarg_segment_align: 8
    .kernarg_segment_size: 112
    .language:       OpenCL C
    .language_version:
      - 2
      - 0
    .max_flat_workgroup_size: 256
    .name:           _ZN7rocprim17ROCPRIM_400000_NS6detail17trampoline_kernelINS0_14default_configENS1_20scan_config_selectorIxEEZZNS1_9scan_implILNS1_25lookback_scan_determinismE0ELb1ELb1ES3_N6thrust23THRUST_200600_302600_NS6detail15normal_iteratorINS9_10device_ptrIxEEEENS9_16discard_iteratorINS9_11use_defaultEEExNS9_4plusIvEExEEDaPvRmT3_T4_T5_mT6_P12ihipStream_tbENKUlT_T0_E_clISt17integral_constantIbLb0EESX_EEDaSS_ST_EUlSS_E_NS1_11comp_targetILNS1_3genE10ELNS1_11target_archE1201ELNS1_3gpuE5ELNS1_3repE0EEENS1_30default_config_static_selectorELNS0_4arch9wavefront6targetE1EEEvT1_
    .private_segment_fixed_size: 0
    .sgpr_count:     4
    .sgpr_spill_count: 0
    .symbol:         _ZN7rocprim17ROCPRIM_400000_NS6detail17trampoline_kernelINS0_14default_configENS1_20scan_config_selectorIxEEZZNS1_9scan_implILNS1_25lookback_scan_determinismE0ELb1ELb1ES3_N6thrust23THRUST_200600_302600_NS6detail15normal_iteratorINS9_10device_ptrIxEEEENS9_16discard_iteratorINS9_11use_defaultEEExNS9_4plusIvEExEEDaPvRmT3_T4_T5_mT6_P12ihipStream_tbENKUlT_T0_E_clISt17integral_constantIbLb0EESX_EEDaSS_ST_EUlSS_E_NS1_11comp_targetILNS1_3genE10ELNS1_11target_archE1201ELNS1_3gpuE5ELNS1_3repE0EEENS1_30default_config_static_selectorELNS0_4arch9wavefront6targetE1EEEvT1_.kd
    .uniform_work_group_size: 1
    .uses_dynamic_stack: false
    .vgpr_count:     0
    .vgpr_spill_count: 0
    .wavefront_size: 64
  - .agpr_count:     0
    .args:
      - .offset:         0
        .size:           112
        .value_kind:     by_value
    .group_segment_fixed_size: 0
    .kernarg_segment_align: 8
    .kernarg_segment_size: 112
    .language:       OpenCL C
    .language_version:
      - 2
      - 0
    .max_flat_workgroup_size: 256
    .name:           _ZN7rocprim17ROCPRIM_400000_NS6detail17trampoline_kernelINS0_14default_configENS1_20scan_config_selectorIxEEZZNS1_9scan_implILNS1_25lookback_scan_determinismE0ELb1ELb1ES3_N6thrust23THRUST_200600_302600_NS6detail15normal_iteratorINS9_10device_ptrIxEEEENS9_16discard_iteratorINS9_11use_defaultEEExNS9_4plusIvEExEEDaPvRmT3_T4_T5_mT6_P12ihipStream_tbENKUlT_T0_E_clISt17integral_constantIbLb0EESX_EEDaSS_ST_EUlSS_E_NS1_11comp_targetILNS1_3genE10ELNS1_11target_archE1200ELNS1_3gpuE4ELNS1_3repE0EEENS1_30default_config_static_selectorELNS0_4arch9wavefront6targetE1EEEvT1_
    .private_segment_fixed_size: 0
    .sgpr_count:     4
    .sgpr_spill_count: 0
    .symbol:         _ZN7rocprim17ROCPRIM_400000_NS6detail17trampoline_kernelINS0_14default_configENS1_20scan_config_selectorIxEEZZNS1_9scan_implILNS1_25lookback_scan_determinismE0ELb1ELb1ES3_N6thrust23THRUST_200600_302600_NS6detail15normal_iteratorINS9_10device_ptrIxEEEENS9_16discard_iteratorINS9_11use_defaultEEExNS9_4plusIvEExEEDaPvRmT3_T4_T5_mT6_P12ihipStream_tbENKUlT_T0_E_clISt17integral_constantIbLb0EESX_EEDaSS_ST_EUlSS_E_NS1_11comp_targetILNS1_3genE10ELNS1_11target_archE1200ELNS1_3gpuE4ELNS1_3repE0EEENS1_30default_config_static_selectorELNS0_4arch9wavefront6targetE1EEEvT1_.kd
    .uniform_work_group_size: 1
    .uses_dynamic_stack: false
    .vgpr_count:     0
    .vgpr_spill_count: 0
    .wavefront_size: 64
  - .agpr_count:     0
    .args:
      - .offset:         0
        .size:           112
        .value_kind:     by_value
    .group_segment_fixed_size: 0
    .kernarg_segment_align: 8
    .kernarg_segment_size: 112
    .language:       OpenCL C
    .language_version:
      - 2
      - 0
    .max_flat_workgroup_size: 256
    .name:           _ZN7rocprim17ROCPRIM_400000_NS6detail17trampoline_kernelINS0_14default_configENS1_20scan_config_selectorIxEEZZNS1_9scan_implILNS1_25lookback_scan_determinismE0ELb1ELb1ES3_N6thrust23THRUST_200600_302600_NS6detail15normal_iteratorINS9_10device_ptrIxEEEENS9_16discard_iteratorINS9_11use_defaultEEExNS9_4plusIvEExEEDaPvRmT3_T4_T5_mT6_P12ihipStream_tbENKUlT_T0_E_clISt17integral_constantIbLb0EESX_EEDaSS_ST_EUlSS_E_NS1_11comp_targetILNS1_3genE9ELNS1_11target_archE1100ELNS1_3gpuE3ELNS1_3repE0EEENS1_30default_config_static_selectorELNS0_4arch9wavefront6targetE1EEEvT1_
    .private_segment_fixed_size: 0
    .sgpr_count:     4
    .sgpr_spill_count: 0
    .symbol:         _ZN7rocprim17ROCPRIM_400000_NS6detail17trampoline_kernelINS0_14default_configENS1_20scan_config_selectorIxEEZZNS1_9scan_implILNS1_25lookback_scan_determinismE0ELb1ELb1ES3_N6thrust23THRUST_200600_302600_NS6detail15normal_iteratorINS9_10device_ptrIxEEEENS9_16discard_iteratorINS9_11use_defaultEEExNS9_4plusIvEExEEDaPvRmT3_T4_T5_mT6_P12ihipStream_tbENKUlT_T0_E_clISt17integral_constantIbLb0EESX_EEDaSS_ST_EUlSS_E_NS1_11comp_targetILNS1_3genE9ELNS1_11target_archE1100ELNS1_3gpuE3ELNS1_3repE0EEENS1_30default_config_static_selectorELNS0_4arch9wavefront6targetE1EEEvT1_.kd
    .uniform_work_group_size: 1
    .uses_dynamic_stack: false
    .vgpr_count:     0
    .vgpr_spill_count: 0
    .wavefront_size: 64
  - .agpr_count:     0
    .args:
      - .offset:         0
        .size:           112
        .value_kind:     by_value
    .group_segment_fixed_size: 0
    .kernarg_segment_align: 8
    .kernarg_segment_size: 112
    .language:       OpenCL C
    .language_version:
      - 2
      - 0
    .max_flat_workgroup_size: 256
    .name:           _ZN7rocprim17ROCPRIM_400000_NS6detail17trampoline_kernelINS0_14default_configENS1_20scan_config_selectorIxEEZZNS1_9scan_implILNS1_25lookback_scan_determinismE0ELb1ELb1ES3_N6thrust23THRUST_200600_302600_NS6detail15normal_iteratorINS9_10device_ptrIxEEEENS9_16discard_iteratorINS9_11use_defaultEEExNS9_4plusIvEExEEDaPvRmT3_T4_T5_mT6_P12ihipStream_tbENKUlT_T0_E_clISt17integral_constantIbLb0EESX_EEDaSS_ST_EUlSS_E_NS1_11comp_targetILNS1_3genE8ELNS1_11target_archE1030ELNS1_3gpuE2ELNS1_3repE0EEENS1_30default_config_static_selectorELNS0_4arch9wavefront6targetE1EEEvT1_
    .private_segment_fixed_size: 0
    .sgpr_count:     4
    .sgpr_spill_count: 0
    .symbol:         _ZN7rocprim17ROCPRIM_400000_NS6detail17trampoline_kernelINS0_14default_configENS1_20scan_config_selectorIxEEZZNS1_9scan_implILNS1_25lookback_scan_determinismE0ELb1ELb1ES3_N6thrust23THRUST_200600_302600_NS6detail15normal_iteratorINS9_10device_ptrIxEEEENS9_16discard_iteratorINS9_11use_defaultEEExNS9_4plusIvEExEEDaPvRmT3_T4_T5_mT6_P12ihipStream_tbENKUlT_T0_E_clISt17integral_constantIbLb0EESX_EEDaSS_ST_EUlSS_E_NS1_11comp_targetILNS1_3genE8ELNS1_11target_archE1030ELNS1_3gpuE2ELNS1_3repE0EEENS1_30default_config_static_selectorELNS0_4arch9wavefront6targetE1EEEvT1_.kd
    .uniform_work_group_size: 1
    .uses_dynamic_stack: false
    .vgpr_count:     0
    .vgpr_spill_count: 0
    .wavefront_size: 64
  - .agpr_count:     0
    .args:
      - .offset:         0
        .size:           48
        .value_kind:     by_value
    .group_segment_fixed_size: 0
    .kernarg_segment_align: 8
    .kernarg_segment_size: 48
    .language:       OpenCL C
    .language_version:
      - 2
      - 0
    .max_flat_workgroup_size: 256
    .name:           _ZN7rocprim17ROCPRIM_400000_NS6detail17trampoline_kernelINS0_14default_configENS1_20scan_config_selectorIxEEZZNS1_9scan_implILNS1_25lookback_scan_determinismE0ELb1ELb1ES3_N6thrust23THRUST_200600_302600_NS6detail15normal_iteratorINS9_10device_ptrIxEEEENS9_16discard_iteratorINS9_11use_defaultEEExNS9_4plusIvEExEEDaPvRmT3_T4_T5_mT6_P12ihipStream_tbENKUlT_T0_E_clISt17integral_constantIbLb0EESX_EEDaSS_ST_EUlSS_E0_NS1_11comp_targetILNS1_3genE0ELNS1_11target_archE4294967295ELNS1_3gpuE0ELNS1_3repE0EEENS1_30default_config_static_selectorELNS0_4arch9wavefront6targetE1EEEvT1_
    .private_segment_fixed_size: 0
    .sgpr_count:     4
    .sgpr_spill_count: 0
    .symbol:         _ZN7rocprim17ROCPRIM_400000_NS6detail17trampoline_kernelINS0_14default_configENS1_20scan_config_selectorIxEEZZNS1_9scan_implILNS1_25lookback_scan_determinismE0ELb1ELb1ES3_N6thrust23THRUST_200600_302600_NS6detail15normal_iteratorINS9_10device_ptrIxEEEENS9_16discard_iteratorINS9_11use_defaultEEExNS9_4plusIvEExEEDaPvRmT3_T4_T5_mT6_P12ihipStream_tbENKUlT_T0_E_clISt17integral_constantIbLb0EESX_EEDaSS_ST_EUlSS_E0_NS1_11comp_targetILNS1_3genE0ELNS1_11target_archE4294967295ELNS1_3gpuE0ELNS1_3repE0EEENS1_30default_config_static_selectorELNS0_4arch9wavefront6targetE1EEEvT1_.kd
    .uniform_work_group_size: 1
    .uses_dynamic_stack: false
    .vgpr_count:     0
    .vgpr_spill_count: 0
    .wavefront_size: 64
  - .agpr_count:     0
    .args:
      - .offset:         0
        .size:           48
        .value_kind:     by_value
    .group_segment_fixed_size: 0
    .kernarg_segment_align: 8
    .kernarg_segment_size: 48
    .language:       OpenCL C
    .language_version:
      - 2
      - 0
    .max_flat_workgroup_size: 256
    .name:           _ZN7rocprim17ROCPRIM_400000_NS6detail17trampoline_kernelINS0_14default_configENS1_20scan_config_selectorIxEEZZNS1_9scan_implILNS1_25lookback_scan_determinismE0ELb1ELb1ES3_N6thrust23THRUST_200600_302600_NS6detail15normal_iteratorINS9_10device_ptrIxEEEENS9_16discard_iteratorINS9_11use_defaultEEExNS9_4plusIvEExEEDaPvRmT3_T4_T5_mT6_P12ihipStream_tbENKUlT_T0_E_clISt17integral_constantIbLb0EESX_EEDaSS_ST_EUlSS_E0_NS1_11comp_targetILNS1_3genE5ELNS1_11target_archE942ELNS1_3gpuE9ELNS1_3repE0EEENS1_30default_config_static_selectorELNS0_4arch9wavefront6targetE1EEEvT1_
    .private_segment_fixed_size: 0
    .sgpr_count:     4
    .sgpr_spill_count: 0
    .symbol:         _ZN7rocprim17ROCPRIM_400000_NS6detail17trampoline_kernelINS0_14default_configENS1_20scan_config_selectorIxEEZZNS1_9scan_implILNS1_25lookback_scan_determinismE0ELb1ELb1ES3_N6thrust23THRUST_200600_302600_NS6detail15normal_iteratorINS9_10device_ptrIxEEEENS9_16discard_iteratorINS9_11use_defaultEEExNS9_4plusIvEExEEDaPvRmT3_T4_T5_mT6_P12ihipStream_tbENKUlT_T0_E_clISt17integral_constantIbLb0EESX_EEDaSS_ST_EUlSS_E0_NS1_11comp_targetILNS1_3genE5ELNS1_11target_archE942ELNS1_3gpuE9ELNS1_3repE0EEENS1_30default_config_static_selectorELNS0_4arch9wavefront6targetE1EEEvT1_.kd
    .uniform_work_group_size: 1
    .uses_dynamic_stack: false
    .vgpr_count:     0
    .vgpr_spill_count: 0
    .wavefront_size: 64
  - .agpr_count:     0
    .args:
      - .offset:         0
        .size:           48
        .value_kind:     by_value
    .group_segment_fixed_size: 7168
    .kernarg_segment_align: 8
    .kernarg_segment_size: 48
    .language:       OpenCL C
    .language_version:
      - 2
      - 0
    .max_flat_workgroup_size: 128
    .name:           _ZN7rocprim17ROCPRIM_400000_NS6detail17trampoline_kernelINS0_14default_configENS1_20scan_config_selectorIxEEZZNS1_9scan_implILNS1_25lookback_scan_determinismE0ELb1ELb1ES3_N6thrust23THRUST_200600_302600_NS6detail15normal_iteratorINS9_10device_ptrIxEEEENS9_16discard_iteratorINS9_11use_defaultEEExNS9_4plusIvEExEEDaPvRmT3_T4_T5_mT6_P12ihipStream_tbENKUlT_T0_E_clISt17integral_constantIbLb0EESX_EEDaSS_ST_EUlSS_E0_NS1_11comp_targetILNS1_3genE4ELNS1_11target_archE910ELNS1_3gpuE8ELNS1_3repE0EEENS1_30default_config_static_selectorELNS0_4arch9wavefront6targetE1EEEvT1_
    .private_segment_fixed_size: 0
    .sgpr_count:     14
    .sgpr_spill_count: 0
    .symbol:         _ZN7rocprim17ROCPRIM_400000_NS6detail17trampoline_kernelINS0_14default_configENS1_20scan_config_selectorIxEEZZNS1_9scan_implILNS1_25lookback_scan_determinismE0ELb1ELb1ES3_N6thrust23THRUST_200600_302600_NS6detail15normal_iteratorINS9_10device_ptrIxEEEENS9_16discard_iteratorINS9_11use_defaultEEExNS9_4plusIvEExEEDaPvRmT3_T4_T5_mT6_P12ihipStream_tbENKUlT_T0_E_clISt17integral_constantIbLb0EESX_EEDaSS_ST_EUlSS_E0_NS1_11comp_targetILNS1_3genE4ELNS1_11target_archE910ELNS1_3gpuE8ELNS1_3repE0EEENS1_30default_config_static_selectorELNS0_4arch9wavefront6targetE1EEEvT1_.kd
    .uniform_work_group_size: 1
    .uses_dynamic_stack: false
    .vgpr_count:     29
    .vgpr_spill_count: 0
    .wavefront_size: 64
  - .agpr_count:     0
    .args:
      - .offset:         0
        .size:           48
        .value_kind:     by_value
    .group_segment_fixed_size: 0
    .kernarg_segment_align: 8
    .kernarg_segment_size: 48
    .language:       OpenCL C
    .language_version:
      - 2
      - 0
    .max_flat_workgroup_size: 256
    .name:           _ZN7rocprim17ROCPRIM_400000_NS6detail17trampoline_kernelINS0_14default_configENS1_20scan_config_selectorIxEEZZNS1_9scan_implILNS1_25lookback_scan_determinismE0ELb1ELb1ES3_N6thrust23THRUST_200600_302600_NS6detail15normal_iteratorINS9_10device_ptrIxEEEENS9_16discard_iteratorINS9_11use_defaultEEExNS9_4plusIvEExEEDaPvRmT3_T4_T5_mT6_P12ihipStream_tbENKUlT_T0_E_clISt17integral_constantIbLb0EESX_EEDaSS_ST_EUlSS_E0_NS1_11comp_targetILNS1_3genE3ELNS1_11target_archE908ELNS1_3gpuE7ELNS1_3repE0EEENS1_30default_config_static_selectorELNS0_4arch9wavefront6targetE1EEEvT1_
    .private_segment_fixed_size: 0
    .sgpr_count:     4
    .sgpr_spill_count: 0
    .symbol:         _ZN7rocprim17ROCPRIM_400000_NS6detail17trampoline_kernelINS0_14default_configENS1_20scan_config_selectorIxEEZZNS1_9scan_implILNS1_25lookback_scan_determinismE0ELb1ELb1ES3_N6thrust23THRUST_200600_302600_NS6detail15normal_iteratorINS9_10device_ptrIxEEEENS9_16discard_iteratorINS9_11use_defaultEEExNS9_4plusIvEExEEDaPvRmT3_T4_T5_mT6_P12ihipStream_tbENKUlT_T0_E_clISt17integral_constantIbLb0EESX_EEDaSS_ST_EUlSS_E0_NS1_11comp_targetILNS1_3genE3ELNS1_11target_archE908ELNS1_3gpuE7ELNS1_3repE0EEENS1_30default_config_static_selectorELNS0_4arch9wavefront6targetE1EEEvT1_.kd
    .uniform_work_group_size: 1
    .uses_dynamic_stack: false
    .vgpr_count:     0
    .vgpr_spill_count: 0
    .wavefront_size: 64
  - .agpr_count:     0
    .args:
      - .offset:         0
        .size:           48
        .value_kind:     by_value
    .group_segment_fixed_size: 0
    .kernarg_segment_align: 8
    .kernarg_segment_size: 48
    .language:       OpenCL C
    .language_version:
      - 2
      - 0
    .max_flat_workgroup_size: 64
    .name:           _ZN7rocprim17ROCPRIM_400000_NS6detail17trampoline_kernelINS0_14default_configENS1_20scan_config_selectorIxEEZZNS1_9scan_implILNS1_25lookback_scan_determinismE0ELb1ELb1ES3_N6thrust23THRUST_200600_302600_NS6detail15normal_iteratorINS9_10device_ptrIxEEEENS9_16discard_iteratorINS9_11use_defaultEEExNS9_4plusIvEExEEDaPvRmT3_T4_T5_mT6_P12ihipStream_tbENKUlT_T0_E_clISt17integral_constantIbLb0EESX_EEDaSS_ST_EUlSS_E0_NS1_11comp_targetILNS1_3genE2ELNS1_11target_archE906ELNS1_3gpuE6ELNS1_3repE0EEENS1_30default_config_static_selectorELNS0_4arch9wavefront6targetE1EEEvT1_
    .private_segment_fixed_size: 0
    .sgpr_count:     4
    .sgpr_spill_count: 0
    .symbol:         _ZN7rocprim17ROCPRIM_400000_NS6detail17trampoline_kernelINS0_14default_configENS1_20scan_config_selectorIxEEZZNS1_9scan_implILNS1_25lookback_scan_determinismE0ELb1ELb1ES3_N6thrust23THRUST_200600_302600_NS6detail15normal_iteratorINS9_10device_ptrIxEEEENS9_16discard_iteratorINS9_11use_defaultEEExNS9_4plusIvEExEEDaPvRmT3_T4_T5_mT6_P12ihipStream_tbENKUlT_T0_E_clISt17integral_constantIbLb0EESX_EEDaSS_ST_EUlSS_E0_NS1_11comp_targetILNS1_3genE2ELNS1_11target_archE906ELNS1_3gpuE6ELNS1_3repE0EEENS1_30default_config_static_selectorELNS0_4arch9wavefront6targetE1EEEvT1_.kd
    .uniform_work_group_size: 1
    .uses_dynamic_stack: false
    .vgpr_count:     0
    .vgpr_spill_count: 0
    .wavefront_size: 64
  - .agpr_count:     0
    .args:
      - .offset:         0
        .size:           48
        .value_kind:     by_value
    .group_segment_fixed_size: 0
    .kernarg_segment_align: 8
    .kernarg_segment_size: 48
    .language:       OpenCL C
    .language_version:
      - 2
      - 0
    .max_flat_workgroup_size: 256
    .name:           _ZN7rocprim17ROCPRIM_400000_NS6detail17trampoline_kernelINS0_14default_configENS1_20scan_config_selectorIxEEZZNS1_9scan_implILNS1_25lookback_scan_determinismE0ELb1ELb1ES3_N6thrust23THRUST_200600_302600_NS6detail15normal_iteratorINS9_10device_ptrIxEEEENS9_16discard_iteratorINS9_11use_defaultEEExNS9_4plusIvEExEEDaPvRmT3_T4_T5_mT6_P12ihipStream_tbENKUlT_T0_E_clISt17integral_constantIbLb0EESX_EEDaSS_ST_EUlSS_E0_NS1_11comp_targetILNS1_3genE10ELNS1_11target_archE1201ELNS1_3gpuE5ELNS1_3repE0EEENS1_30default_config_static_selectorELNS0_4arch9wavefront6targetE1EEEvT1_
    .private_segment_fixed_size: 0
    .sgpr_count:     4
    .sgpr_spill_count: 0
    .symbol:         _ZN7rocprim17ROCPRIM_400000_NS6detail17trampoline_kernelINS0_14default_configENS1_20scan_config_selectorIxEEZZNS1_9scan_implILNS1_25lookback_scan_determinismE0ELb1ELb1ES3_N6thrust23THRUST_200600_302600_NS6detail15normal_iteratorINS9_10device_ptrIxEEEENS9_16discard_iteratorINS9_11use_defaultEEExNS9_4plusIvEExEEDaPvRmT3_T4_T5_mT6_P12ihipStream_tbENKUlT_T0_E_clISt17integral_constantIbLb0EESX_EEDaSS_ST_EUlSS_E0_NS1_11comp_targetILNS1_3genE10ELNS1_11target_archE1201ELNS1_3gpuE5ELNS1_3repE0EEENS1_30default_config_static_selectorELNS0_4arch9wavefront6targetE1EEEvT1_.kd
    .uniform_work_group_size: 1
    .uses_dynamic_stack: false
    .vgpr_count:     0
    .vgpr_spill_count: 0
    .wavefront_size: 64
  - .agpr_count:     0
    .args:
      - .offset:         0
        .size:           48
        .value_kind:     by_value
    .group_segment_fixed_size: 0
    .kernarg_segment_align: 8
    .kernarg_segment_size: 48
    .language:       OpenCL C
    .language_version:
      - 2
      - 0
    .max_flat_workgroup_size: 256
    .name:           _ZN7rocprim17ROCPRIM_400000_NS6detail17trampoline_kernelINS0_14default_configENS1_20scan_config_selectorIxEEZZNS1_9scan_implILNS1_25lookback_scan_determinismE0ELb1ELb1ES3_N6thrust23THRUST_200600_302600_NS6detail15normal_iteratorINS9_10device_ptrIxEEEENS9_16discard_iteratorINS9_11use_defaultEEExNS9_4plusIvEExEEDaPvRmT3_T4_T5_mT6_P12ihipStream_tbENKUlT_T0_E_clISt17integral_constantIbLb0EESX_EEDaSS_ST_EUlSS_E0_NS1_11comp_targetILNS1_3genE10ELNS1_11target_archE1200ELNS1_3gpuE4ELNS1_3repE0EEENS1_30default_config_static_selectorELNS0_4arch9wavefront6targetE1EEEvT1_
    .private_segment_fixed_size: 0
    .sgpr_count:     4
    .sgpr_spill_count: 0
    .symbol:         _ZN7rocprim17ROCPRIM_400000_NS6detail17trampoline_kernelINS0_14default_configENS1_20scan_config_selectorIxEEZZNS1_9scan_implILNS1_25lookback_scan_determinismE0ELb1ELb1ES3_N6thrust23THRUST_200600_302600_NS6detail15normal_iteratorINS9_10device_ptrIxEEEENS9_16discard_iteratorINS9_11use_defaultEEExNS9_4plusIvEExEEDaPvRmT3_T4_T5_mT6_P12ihipStream_tbENKUlT_T0_E_clISt17integral_constantIbLb0EESX_EEDaSS_ST_EUlSS_E0_NS1_11comp_targetILNS1_3genE10ELNS1_11target_archE1200ELNS1_3gpuE4ELNS1_3repE0EEENS1_30default_config_static_selectorELNS0_4arch9wavefront6targetE1EEEvT1_.kd
    .uniform_work_group_size: 1
    .uses_dynamic_stack: false
    .vgpr_count:     0
    .vgpr_spill_count: 0
    .wavefront_size: 64
  - .agpr_count:     0
    .args:
      - .offset:         0
        .size:           48
        .value_kind:     by_value
    .group_segment_fixed_size: 0
    .kernarg_segment_align: 8
    .kernarg_segment_size: 48
    .language:       OpenCL C
    .language_version:
      - 2
      - 0
    .max_flat_workgroup_size: 256
    .name:           _ZN7rocprim17ROCPRIM_400000_NS6detail17trampoline_kernelINS0_14default_configENS1_20scan_config_selectorIxEEZZNS1_9scan_implILNS1_25lookback_scan_determinismE0ELb1ELb1ES3_N6thrust23THRUST_200600_302600_NS6detail15normal_iteratorINS9_10device_ptrIxEEEENS9_16discard_iteratorINS9_11use_defaultEEExNS9_4plusIvEExEEDaPvRmT3_T4_T5_mT6_P12ihipStream_tbENKUlT_T0_E_clISt17integral_constantIbLb0EESX_EEDaSS_ST_EUlSS_E0_NS1_11comp_targetILNS1_3genE9ELNS1_11target_archE1100ELNS1_3gpuE3ELNS1_3repE0EEENS1_30default_config_static_selectorELNS0_4arch9wavefront6targetE1EEEvT1_
    .private_segment_fixed_size: 0
    .sgpr_count:     4
    .sgpr_spill_count: 0
    .symbol:         _ZN7rocprim17ROCPRIM_400000_NS6detail17trampoline_kernelINS0_14default_configENS1_20scan_config_selectorIxEEZZNS1_9scan_implILNS1_25lookback_scan_determinismE0ELb1ELb1ES3_N6thrust23THRUST_200600_302600_NS6detail15normal_iteratorINS9_10device_ptrIxEEEENS9_16discard_iteratorINS9_11use_defaultEEExNS9_4plusIvEExEEDaPvRmT3_T4_T5_mT6_P12ihipStream_tbENKUlT_T0_E_clISt17integral_constantIbLb0EESX_EEDaSS_ST_EUlSS_E0_NS1_11comp_targetILNS1_3genE9ELNS1_11target_archE1100ELNS1_3gpuE3ELNS1_3repE0EEENS1_30default_config_static_selectorELNS0_4arch9wavefront6targetE1EEEvT1_.kd
    .uniform_work_group_size: 1
    .uses_dynamic_stack: false
    .vgpr_count:     0
    .vgpr_spill_count: 0
    .wavefront_size: 64
  - .agpr_count:     0
    .args:
      - .offset:         0
        .size:           48
        .value_kind:     by_value
    .group_segment_fixed_size: 0
    .kernarg_segment_align: 8
    .kernarg_segment_size: 48
    .language:       OpenCL C
    .language_version:
      - 2
      - 0
    .max_flat_workgroup_size: 256
    .name:           _ZN7rocprim17ROCPRIM_400000_NS6detail17trampoline_kernelINS0_14default_configENS1_20scan_config_selectorIxEEZZNS1_9scan_implILNS1_25lookback_scan_determinismE0ELb1ELb1ES3_N6thrust23THRUST_200600_302600_NS6detail15normal_iteratorINS9_10device_ptrIxEEEENS9_16discard_iteratorINS9_11use_defaultEEExNS9_4plusIvEExEEDaPvRmT3_T4_T5_mT6_P12ihipStream_tbENKUlT_T0_E_clISt17integral_constantIbLb0EESX_EEDaSS_ST_EUlSS_E0_NS1_11comp_targetILNS1_3genE8ELNS1_11target_archE1030ELNS1_3gpuE2ELNS1_3repE0EEENS1_30default_config_static_selectorELNS0_4arch9wavefront6targetE1EEEvT1_
    .private_segment_fixed_size: 0
    .sgpr_count:     4
    .sgpr_spill_count: 0
    .symbol:         _ZN7rocprim17ROCPRIM_400000_NS6detail17trampoline_kernelINS0_14default_configENS1_20scan_config_selectorIxEEZZNS1_9scan_implILNS1_25lookback_scan_determinismE0ELb1ELb1ES3_N6thrust23THRUST_200600_302600_NS6detail15normal_iteratorINS9_10device_ptrIxEEEENS9_16discard_iteratorINS9_11use_defaultEEExNS9_4plusIvEExEEDaPvRmT3_T4_T5_mT6_P12ihipStream_tbENKUlT_T0_E_clISt17integral_constantIbLb0EESX_EEDaSS_ST_EUlSS_E0_NS1_11comp_targetILNS1_3genE8ELNS1_11target_archE1030ELNS1_3gpuE2ELNS1_3repE0EEENS1_30default_config_static_selectorELNS0_4arch9wavefront6targetE1EEEvT1_.kd
    .uniform_work_group_size: 1
    .uses_dynamic_stack: false
    .vgpr_count:     0
    .vgpr_spill_count: 0
    .wavefront_size: 64
  - .agpr_count:     0
    .args:
      - .offset:         0
        .size:           112
        .value_kind:     by_value
    .group_segment_fixed_size: 0
    .kernarg_segment_align: 8
    .kernarg_segment_size: 112
    .language:       OpenCL C
    .language_version:
      - 2
      - 0
    .max_flat_workgroup_size: 256
    .name:           _ZN7rocprim17ROCPRIM_400000_NS6detail17trampoline_kernelINS0_14default_configENS1_20scan_config_selectorIxEEZZNS1_9scan_implILNS1_25lookback_scan_determinismE0ELb1ELb1ES3_N6thrust23THRUST_200600_302600_NS6detail15normal_iteratorINS9_10device_ptrIxEEEENS9_16discard_iteratorINS9_11use_defaultEEExNS9_4plusIvEExEEDaPvRmT3_T4_T5_mT6_P12ihipStream_tbENKUlT_T0_E_clISt17integral_constantIbLb1EESX_EEDaSS_ST_EUlSS_E_NS1_11comp_targetILNS1_3genE0ELNS1_11target_archE4294967295ELNS1_3gpuE0ELNS1_3repE0EEENS1_30default_config_static_selectorELNS0_4arch9wavefront6targetE1EEEvT1_
    .private_segment_fixed_size: 0
    .sgpr_count:     4
    .sgpr_spill_count: 0
    .symbol:         _ZN7rocprim17ROCPRIM_400000_NS6detail17trampoline_kernelINS0_14default_configENS1_20scan_config_selectorIxEEZZNS1_9scan_implILNS1_25lookback_scan_determinismE0ELb1ELb1ES3_N6thrust23THRUST_200600_302600_NS6detail15normal_iteratorINS9_10device_ptrIxEEEENS9_16discard_iteratorINS9_11use_defaultEEExNS9_4plusIvEExEEDaPvRmT3_T4_T5_mT6_P12ihipStream_tbENKUlT_T0_E_clISt17integral_constantIbLb1EESX_EEDaSS_ST_EUlSS_E_NS1_11comp_targetILNS1_3genE0ELNS1_11target_archE4294967295ELNS1_3gpuE0ELNS1_3repE0EEENS1_30default_config_static_selectorELNS0_4arch9wavefront6targetE1EEEvT1_.kd
    .uniform_work_group_size: 1
    .uses_dynamic_stack: false
    .vgpr_count:     0
    .vgpr_spill_count: 0
    .wavefront_size: 64
  - .agpr_count:     0
    .args:
      - .offset:         0
        .size:           112
        .value_kind:     by_value
    .group_segment_fixed_size: 0
    .kernarg_segment_align: 8
    .kernarg_segment_size: 112
    .language:       OpenCL C
    .language_version:
      - 2
      - 0
    .max_flat_workgroup_size: 256
    .name:           _ZN7rocprim17ROCPRIM_400000_NS6detail17trampoline_kernelINS0_14default_configENS1_20scan_config_selectorIxEEZZNS1_9scan_implILNS1_25lookback_scan_determinismE0ELb1ELb1ES3_N6thrust23THRUST_200600_302600_NS6detail15normal_iteratorINS9_10device_ptrIxEEEENS9_16discard_iteratorINS9_11use_defaultEEExNS9_4plusIvEExEEDaPvRmT3_T4_T5_mT6_P12ihipStream_tbENKUlT_T0_E_clISt17integral_constantIbLb1EESX_EEDaSS_ST_EUlSS_E_NS1_11comp_targetILNS1_3genE5ELNS1_11target_archE942ELNS1_3gpuE9ELNS1_3repE0EEENS1_30default_config_static_selectorELNS0_4arch9wavefront6targetE1EEEvT1_
    .private_segment_fixed_size: 0
    .sgpr_count:     4
    .sgpr_spill_count: 0
    .symbol:         _ZN7rocprim17ROCPRIM_400000_NS6detail17trampoline_kernelINS0_14default_configENS1_20scan_config_selectorIxEEZZNS1_9scan_implILNS1_25lookback_scan_determinismE0ELb1ELb1ES3_N6thrust23THRUST_200600_302600_NS6detail15normal_iteratorINS9_10device_ptrIxEEEENS9_16discard_iteratorINS9_11use_defaultEEExNS9_4plusIvEExEEDaPvRmT3_T4_T5_mT6_P12ihipStream_tbENKUlT_T0_E_clISt17integral_constantIbLb1EESX_EEDaSS_ST_EUlSS_E_NS1_11comp_targetILNS1_3genE5ELNS1_11target_archE942ELNS1_3gpuE9ELNS1_3repE0EEENS1_30default_config_static_selectorELNS0_4arch9wavefront6targetE1EEEvT1_.kd
    .uniform_work_group_size: 1
    .uses_dynamic_stack: false
    .vgpr_count:     0
    .vgpr_spill_count: 0
    .wavefront_size: 64
  - .agpr_count:     0
    .args:
      - .offset:         0
        .size:           112
        .value_kind:     by_value
    .group_segment_fixed_size: 7168
    .kernarg_segment_align: 8
    .kernarg_segment_size: 112
    .language:       OpenCL C
    .language_version:
      - 2
      - 0
    .max_flat_workgroup_size: 128
    .name:           _ZN7rocprim17ROCPRIM_400000_NS6detail17trampoline_kernelINS0_14default_configENS1_20scan_config_selectorIxEEZZNS1_9scan_implILNS1_25lookback_scan_determinismE0ELb1ELb1ES3_N6thrust23THRUST_200600_302600_NS6detail15normal_iteratorINS9_10device_ptrIxEEEENS9_16discard_iteratorINS9_11use_defaultEEExNS9_4plusIvEExEEDaPvRmT3_T4_T5_mT6_P12ihipStream_tbENKUlT_T0_E_clISt17integral_constantIbLb1EESX_EEDaSS_ST_EUlSS_E_NS1_11comp_targetILNS1_3genE4ELNS1_11target_archE910ELNS1_3gpuE8ELNS1_3repE0EEENS1_30default_config_static_selectorELNS0_4arch9wavefront6targetE1EEEvT1_
    .private_segment_fixed_size: 0
    .sgpr_count:     40
    .sgpr_spill_count: 0
    .symbol:         _ZN7rocprim17ROCPRIM_400000_NS6detail17trampoline_kernelINS0_14default_configENS1_20scan_config_selectorIxEEZZNS1_9scan_implILNS1_25lookback_scan_determinismE0ELb1ELb1ES3_N6thrust23THRUST_200600_302600_NS6detail15normal_iteratorINS9_10device_ptrIxEEEENS9_16discard_iteratorINS9_11use_defaultEEExNS9_4plusIvEExEEDaPvRmT3_T4_T5_mT6_P12ihipStream_tbENKUlT_T0_E_clISt17integral_constantIbLb1EESX_EEDaSS_ST_EUlSS_E_NS1_11comp_targetILNS1_3genE4ELNS1_11target_archE910ELNS1_3gpuE8ELNS1_3repE0EEENS1_30default_config_static_selectorELNS0_4arch9wavefront6targetE1EEEvT1_.kd
    .uniform_work_group_size: 1
    .uses_dynamic_stack: false
    .vgpr_count:     50
    .vgpr_spill_count: 0
    .wavefront_size: 64
  - .agpr_count:     0
    .args:
      - .offset:         0
        .size:           112
        .value_kind:     by_value
    .group_segment_fixed_size: 0
    .kernarg_segment_align: 8
    .kernarg_segment_size: 112
    .language:       OpenCL C
    .language_version:
      - 2
      - 0
    .max_flat_workgroup_size: 256
    .name:           _ZN7rocprim17ROCPRIM_400000_NS6detail17trampoline_kernelINS0_14default_configENS1_20scan_config_selectorIxEEZZNS1_9scan_implILNS1_25lookback_scan_determinismE0ELb1ELb1ES3_N6thrust23THRUST_200600_302600_NS6detail15normal_iteratorINS9_10device_ptrIxEEEENS9_16discard_iteratorINS9_11use_defaultEEExNS9_4plusIvEExEEDaPvRmT3_T4_T5_mT6_P12ihipStream_tbENKUlT_T0_E_clISt17integral_constantIbLb1EESX_EEDaSS_ST_EUlSS_E_NS1_11comp_targetILNS1_3genE3ELNS1_11target_archE908ELNS1_3gpuE7ELNS1_3repE0EEENS1_30default_config_static_selectorELNS0_4arch9wavefront6targetE1EEEvT1_
    .private_segment_fixed_size: 0
    .sgpr_count:     4
    .sgpr_spill_count: 0
    .symbol:         _ZN7rocprim17ROCPRIM_400000_NS6detail17trampoline_kernelINS0_14default_configENS1_20scan_config_selectorIxEEZZNS1_9scan_implILNS1_25lookback_scan_determinismE0ELb1ELb1ES3_N6thrust23THRUST_200600_302600_NS6detail15normal_iteratorINS9_10device_ptrIxEEEENS9_16discard_iteratorINS9_11use_defaultEEExNS9_4plusIvEExEEDaPvRmT3_T4_T5_mT6_P12ihipStream_tbENKUlT_T0_E_clISt17integral_constantIbLb1EESX_EEDaSS_ST_EUlSS_E_NS1_11comp_targetILNS1_3genE3ELNS1_11target_archE908ELNS1_3gpuE7ELNS1_3repE0EEENS1_30default_config_static_selectorELNS0_4arch9wavefront6targetE1EEEvT1_.kd
    .uniform_work_group_size: 1
    .uses_dynamic_stack: false
    .vgpr_count:     0
    .vgpr_spill_count: 0
    .wavefront_size: 64
  - .agpr_count:     0
    .args:
      - .offset:         0
        .size:           112
        .value_kind:     by_value
    .group_segment_fixed_size: 0
    .kernarg_segment_align: 8
    .kernarg_segment_size: 112
    .language:       OpenCL C
    .language_version:
      - 2
      - 0
    .max_flat_workgroup_size: 64
    .name:           _ZN7rocprim17ROCPRIM_400000_NS6detail17trampoline_kernelINS0_14default_configENS1_20scan_config_selectorIxEEZZNS1_9scan_implILNS1_25lookback_scan_determinismE0ELb1ELb1ES3_N6thrust23THRUST_200600_302600_NS6detail15normal_iteratorINS9_10device_ptrIxEEEENS9_16discard_iteratorINS9_11use_defaultEEExNS9_4plusIvEExEEDaPvRmT3_T4_T5_mT6_P12ihipStream_tbENKUlT_T0_E_clISt17integral_constantIbLb1EESX_EEDaSS_ST_EUlSS_E_NS1_11comp_targetILNS1_3genE2ELNS1_11target_archE906ELNS1_3gpuE6ELNS1_3repE0EEENS1_30default_config_static_selectorELNS0_4arch9wavefront6targetE1EEEvT1_
    .private_segment_fixed_size: 0
    .sgpr_count:     4
    .sgpr_spill_count: 0
    .symbol:         _ZN7rocprim17ROCPRIM_400000_NS6detail17trampoline_kernelINS0_14default_configENS1_20scan_config_selectorIxEEZZNS1_9scan_implILNS1_25lookback_scan_determinismE0ELb1ELb1ES3_N6thrust23THRUST_200600_302600_NS6detail15normal_iteratorINS9_10device_ptrIxEEEENS9_16discard_iteratorINS9_11use_defaultEEExNS9_4plusIvEExEEDaPvRmT3_T4_T5_mT6_P12ihipStream_tbENKUlT_T0_E_clISt17integral_constantIbLb1EESX_EEDaSS_ST_EUlSS_E_NS1_11comp_targetILNS1_3genE2ELNS1_11target_archE906ELNS1_3gpuE6ELNS1_3repE0EEENS1_30default_config_static_selectorELNS0_4arch9wavefront6targetE1EEEvT1_.kd
    .uniform_work_group_size: 1
    .uses_dynamic_stack: false
    .vgpr_count:     0
    .vgpr_spill_count: 0
    .wavefront_size: 64
  - .agpr_count:     0
    .args:
      - .offset:         0
        .size:           112
        .value_kind:     by_value
    .group_segment_fixed_size: 0
    .kernarg_segment_align: 8
    .kernarg_segment_size: 112
    .language:       OpenCL C
    .language_version:
      - 2
      - 0
    .max_flat_workgroup_size: 256
    .name:           _ZN7rocprim17ROCPRIM_400000_NS6detail17trampoline_kernelINS0_14default_configENS1_20scan_config_selectorIxEEZZNS1_9scan_implILNS1_25lookback_scan_determinismE0ELb1ELb1ES3_N6thrust23THRUST_200600_302600_NS6detail15normal_iteratorINS9_10device_ptrIxEEEENS9_16discard_iteratorINS9_11use_defaultEEExNS9_4plusIvEExEEDaPvRmT3_T4_T5_mT6_P12ihipStream_tbENKUlT_T0_E_clISt17integral_constantIbLb1EESX_EEDaSS_ST_EUlSS_E_NS1_11comp_targetILNS1_3genE10ELNS1_11target_archE1201ELNS1_3gpuE5ELNS1_3repE0EEENS1_30default_config_static_selectorELNS0_4arch9wavefront6targetE1EEEvT1_
    .private_segment_fixed_size: 0
    .sgpr_count:     4
    .sgpr_spill_count: 0
    .symbol:         _ZN7rocprim17ROCPRIM_400000_NS6detail17trampoline_kernelINS0_14default_configENS1_20scan_config_selectorIxEEZZNS1_9scan_implILNS1_25lookback_scan_determinismE0ELb1ELb1ES3_N6thrust23THRUST_200600_302600_NS6detail15normal_iteratorINS9_10device_ptrIxEEEENS9_16discard_iteratorINS9_11use_defaultEEExNS9_4plusIvEExEEDaPvRmT3_T4_T5_mT6_P12ihipStream_tbENKUlT_T0_E_clISt17integral_constantIbLb1EESX_EEDaSS_ST_EUlSS_E_NS1_11comp_targetILNS1_3genE10ELNS1_11target_archE1201ELNS1_3gpuE5ELNS1_3repE0EEENS1_30default_config_static_selectorELNS0_4arch9wavefront6targetE1EEEvT1_.kd
    .uniform_work_group_size: 1
    .uses_dynamic_stack: false
    .vgpr_count:     0
    .vgpr_spill_count: 0
    .wavefront_size: 64
  - .agpr_count:     0
    .args:
      - .offset:         0
        .size:           112
        .value_kind:     by_value
    .group_segment_fixed_size: 0
    .kernarg_segment_align: 8
    .kernarg_segment_size: 112
    .language:       OpenCL C
    .language_version:
      - 2
      - 0
    .max_flat_workgroup_size: 256
    .name:           _ZN7rocprim17ROCPRIM_400000_NS6detail17trampoline_kernelINS0_14default_configENS1_20scan_config_selectorIxEEZZNS1_9scan_implILNS1_25lookback_scan_determinismE0ELb1ELb1ES3_N6thrust23THRUST_200600_302600_NS6detail15normal_iteratorINS9_10device_ptrIxEEEENS9_16discard_iteratorINS9_11use_defaultEEExNS9_4plusIvEExEEDaPvRmT3_T4_T5_mT6_P12ihipStream_tbENKUlT_T0_E_clISt17integral_constantIbLb1EESX_EEDaSS_ST_EUlSS_E_NS1_11comp_targetILNS1_3genE10ELNS1_11target_archE1200ELNS1_3gpuE4ELNS1_3repE0EEENS1_30default_config_static_selectorELNS0_4arch9wavefront6targetE1EEEvT1_
    .private_segment_fixed_size: 0
    .sgpr_count:     4
    .sgpr_spill_count: 0
    .symbol:         _ZN7rocprim17ROCPRIM_400000_NS6detail17trampoline_kernelINS0_14default_configENS1_20scan_config_selectorIxEEZZNS1_9scan_implILNS1_25lookback_scan_determinismE0ELb1ELb1ES3_N6thrust23THRUST_200600_302600_NS6detail15normal_iteratorINS9_10device_ptrIxEEEENS9_16discard_iteratorINS9_11use_defaultEEExNS9_4plusIvEExEEDaPvRmT3_T4_T5_mT6_P12ihipStream_tbENKUlT_T0_E_clISt17integral_constantIbLb1EESX_EEDaSS_ST_EUlSS_E_NS1_11comp_targetILNS1_3genE10ELNS1_11target_archE1200ELNS1_3gpuE4ELNS1_3repE0EEENS1_30default_config_static_selectorELNS0_4arch9wavefront6targetE1EEEvT1_.kd
    .uniform_work_group_size: 1
    .uses_dynamic_stack: false
    .vgpr_count:     0
    .vgpr_spill_count: 0
    .wavefront_size: 64
  - .agpr_count:     0
    .args:
      - .offset:         0
        .size:           112
        .value_kind:     by_value
    .group_segment_fixed_size: 0
    .kernarg_segment_align: 8
    .kernarg_segment_size: 112
    .language:       OpenCL C
    .language_version:
      - 2
      - 0
    .max_flat_workgroup_size: 256
    .name:           _ZN7rocprim17ROCPRIM_400000_NS6detail17trampoline_kernelINS0_14default_configENS1_20scan_config_selectorIxEEZZNS1_9scan_implILNS1_25lookback_scan_determinismE0ELb1ELb1ES3_N6thrust23THRUST_200600_302600_NS6detail15normal_iteratorINS9_10device_ptrIxEEEENS9_16discard_iteratorINS9_11use_defaultEEExNS9_4plusIvEExEEDaPvRmT3_T4_T5_mT6_P12ihipStream_tbENKUlT_T0_E_clISt17integral_constantIbLb1EESX_EEDaSS_ST_EUlSS_E_NS1_11comp_targetILNS1_3genE9ELNS1_11target_archE1100ELNS1_3gpuE3ELNS1_3repE0EEENS1_30default_config_static_selectorELNS0_4arch9wavefront6targetE1EEEvT1_
    .private_segment_fixed_size: 0
    .sgpr_count:     4
    .sgpr_spill_count: 0
    .symbol:         _ZN7rocprim17ROCPRIM_400000_NS6detail17trampoline_kernelINS0_14default_configENS1_20scan_config_selectorIxEEZZNS1_9scan_implILNS1_25lookback_scan_determinismE0ELb1ELb1ES3_N6thrust23THRUST_200600_302600_NS6detail15normal_iteratorINS9_10device_ptrIxEEEENS9_16discard_iteratorINS9_11use_defaultEEExNS9_4plusIvEExEEDaPvRmT3_T4_T5_mT6_P12ihipStream_tbENKUlT_T0_E_clISt17integral_constantIbLb1EESX_EEDaSS_ST_EUlSS_E_NS1_11comp_targetILNS1_3genE9ELNS1_11target_archE1100ELNS1_3gpuE3ELNS1_3repE0EEENS1_30default_config_static_selectorELNS0_4arch9wavefront6targetE1EEEvT1_.kd
    .uniform_work_group_size: 1
    .uses_dynamic_stack: false
    .vgpr_count:     0
    .vgpr_spill_count: 0
    .wavefront_size: 64
  - .agpr_count:     0
    .args:
      - .offset:         0
        .size:           112
        .value_kind:     by_value
    .group_segment_fixed_size: 0
    .kernarg_segment_align: 8
    .kernarg_segment_size: 112
    .language:       OpenCL C
    .language_version:
      - 2
      - 0
    .max_flat_workgroup_size: 256
    .name:           _ZN7rocprim17ROCPRIM_400000_NS6detail17trampoline_kernelINS0_14default_configENS1_20scan_config_selectorIxEEZZNS1_9scan_implILNS1_25lookback_scan_determinismE0ELb1ELb1ES3_N6thrust23THRUST_200600_302600_NS6detail15normal_iteratorINS9_10device_ptrIxEEEENS9_16discard_iteratorINS9_11use_defaultEEExNS9_4plusIvEExEEDaPvRmT3_T4_T5_mT6_P12ihipStream_tbENKUlT_T0_E_clISt17integral_constantIbLb1EESX_EEDaSS_ST_EUlSS_E_NS1_11comp_targetILNS1_3genE8ELNS1_11target_archE1030ELNS1_3gpuE2ELNS1_3repE0EEENS1_30default_config_static_selectorELNS0_4arch9wavefront6targetE1EEEvT1_
    .private_segment_fixed_size: 0
    .sgpr_count:     4
    .sgpr_spill_count: 0
    .symbol:         _ZN7rocprim17ROCPRIM_400000_NS6detail17trampoline_kernelINS0_14default_configENS1_20scan_config_selectorIxEEZZNS1_9scan_implILNS1_25lookback_scan_determinismE0ELb1ELb1ES3_N6thrust23THRUST_200600_302600_NS6detail15normal_iteratorINS9_10device_ptrIxEEEENS9_16discard_iteratorINS9_11use_defaultEEExNS9_4plusIvEExEEDaPvRmT3_T4_T5_mT6_P12ihipStream_tbENKUlT_T0_E_clISt17integral_constantIbLb1EESX_EEDaSS_ST_EUlSS_E_NS1_11comp_targetILNS1_3genE8ELNS1_11target_archE1030ELNS1_3gpuE2ELNS1_3repE0EEENS1_30default_config_static_selectorELNS0_4arch9wavefront6targetE1EEEvT1_.kd
    .uniform_work_group_size: 1
    .uses_dynamic_stack: false
    .vgpr_count:     0
    .vgpr_spill_count: 0
    .wavefront_size: 64
  - .agpr_count:     0
    .args:
      - .offset:         0
        .size:           48
        .value_kind:     by_value
    .group_segment_fixed_size: 0
    .kernarg_segment_align: 8
    .kernarg_segment_size: 48
    .language:       OpenCL C
    .language_version:
      - 2
      - 0
    .max_flat_workgroup_size: 256
    .name:           _ZN7rocprim17ROCPRIM_400000_NS6detail17trampoline_kernelINS0_14default_configENS1_20scan_config_selectorIxEEZZNS1_9scan_implILNS1_25lookback_scan_determinismE0ELb1ELb1ES3_N6thrust23THRUST_200600_302600_NS6detail15normal_iteratorINS9_10device_ptrIxEEEENS9_16discard_iteratorINS9_11use_defaultEEExNS9_4plusIvEExEEDaPvRmT3_T4_T5_mT6_P12ihipStream_tbENKUlT_T0_E_clISt17integral_constantIbLb1EESX_EEDaSS_ST_EUlSS_E0_NS1_11comp_targetILNS1_3genE0ELNS1_11target_archE4294967295ELNS1_3gpuE0ELNS1_3repE0EEENS1_30default_config_static_selectorELNS0_4arch9wavefront6targetE1EEEvT1_
    .private_segment_fixed_size: 0
    .sgpr_count:     4
    .sgpr_spill_count: 0
    .symbol:         _ZN7rocprim17ROCPRIM_400000_NS6detail17trampoline_kernelINS0_14default_configENS1_20scan_config_selectorIxEEZZNS1_9scan_implILNS1_25lookback_scan_determinismE0ELb1ELb1ES3_N6thrust23THRUST_200600_302600_NS6detail15normal_iteratorINS9_10device_ptrIxEEEENS9_16discard_iteratorINS9_11use_defaultEEExNS9_4plusIvEExEEDaPvRmT3_T4_T5_mT6_P12ihipStream_tbENKUlT_T0_E_clISt17integral_constantIbLb1EESX_EEDaSS_ST_EUlSS_E0_NS1_11comp_targetILNS1_3genE0ELNS1_11target_archE4294967295ELNS1_3gpuE0ELNS1_3repE0EEENS1_30default_config_static_selectorELNS0_4arch9wavefront6targetE1EEEvT1_.kd
    .uniform_work_group_size: 1
    .uses_dynamic_stack: false
    .vgpr_count:     0
    .vgpr_spill_count: 0
    .wavefront_size: 64
  - .agpr_count:     0
    .args:
      - .offset:         0
        .size:           48
        .value_kind:     by_value
    .group_segment_fixed_size: 0
    .kernarg_segment_align: 8
    .kernarg_segment_size: 48
    .language:       OpenCL C
    .language_version:
      - 2
      - 0
    .max_flat_workgroup_size: 256
    .name:           _ZN7rocprim17ROCPRIM_400000_NS6detail17trampoline_kernelINS0_14default_configENS1_20scan_config_selectorIxEEZZNS1_9scan_implILNS1_25lookback_scan_determinismE0ELb1ELb1ES3_N6thrust23THRUST_200600_302600_NS6detail15normal_iteratorINS9_10device_ptrIxEEEENS9_16discard_iteratorINS9_11use_defaultEEExNS9_4plusIvEExEEDaPvRmT3_T4_T5_mT6_P12ihipStream_tbENKUlT_T0_E_clISt17integral_constantIbLb1EESX_EEDaSS_ST_EUlSS_E0_NS1_11comp_targetILNS1_3genE5ELNS1_11target_archE942ELNS1_3gpuE9ELNS1_3repE0EEENS1_30default_config_static_selectorELNS0_4arch9wavefront6targetE1EEEvT1_
    .private_segment_fixed_size: 0
    .sgpr_count:     4
    .sgpr_spill_count: 0
    .symbol:         _ZN7rocprim17ROCPRIM_400000_NS6detail17trampoline_kernelINS0_14default_configENS1_20scan_config_selectorIxEEZZNS1_9scan_implILNS1_25lookback_scan_determinismE0ELb1ELb1ES3_N6thrust23THRUST_200600_302600_NS6detail15normal_iteratorINS9_10device_ptrIxEEEENS9_16discard_iteratorINS9_11use_defaultEEExNS9_4plusIvEExEEDaPvRmT3_T4_T5_mT6_P12ihipStream_tbENKUlT_T0_E_clISt17integral_constantIbLb1EESX_EEDaSS_ST_EUlSS_E0_NS1_11comp_targetILNS1_3genE5ELNS1_11target_archE942ELNS1_3gpuE9ELNS1_3repE0EEENS1_30default_config_static_selectorELNS0_4arch9wavefront6targetE1EEEvT1_.kd
    .uniform_work_group_size: 1
    .uses_dynamic_stack: false
    .vgpr_count:     0
    .vgpr_spill_count: 0
    .wavefront_size: 64
  - .agpr_count:     0
    .args:
      - .offset:         0
        .size:           48
        .value_kind:     by_value
    .group_segment_fixed_size: 7168
    .kernarg_segment_align: 8
    .kernarg_segment_size: 48
    .language:       OpenCL C
    .language_version:
      - 2
      - 0
    .max_flat_workgroup_size: 128
    .name:           _ZN7rocprim17ROCPRIM_400000_NS6detail17trampoline_kernelINS0_14default_configENS1_20scan_config_selectorIxEEZZNS1_9scan_implILNS1_25lookback_scan_determinismE0ELb1ELb1ES3_N6thrust23THRUST_200600_302600_NS6detail15normal_iteratorINS9_10device_ptrIxEEEENS9_16discard_iteratorINS9_11use_defaultEEExNS9_4plusIvEExEEDaPvRmT3_T4_T5_mT6_P12ihipStream_tbENKUlT_T0_E_clISt17integral_constantIbLb1EESX_EEDaSS_ST_EUlSS_E0_NS1_11comp_targetILNS1_3genE4ELNS1_11target_archE910ELNS1_3gpuE8ELNS1_3repE0EEENS1_30default_config_static_selectorELNS0_4arch9wavefront6targetE1EEEvT1_
    .private_segment_fixed_size: 0
    .sgpr_count:     14
    .sgpr_spill_count: 0
    .symbol:         _ZN7rocprim17ROCPRIM_400000_NS6detail17trampoline_kernelINS0_14default_configENS1_20scan_config_selectorIxEEZZNS1_9scan_implILNS1_25lookback_scan_determinismE0ELb1ELb1ES3_N6thrust23THRUST_200600_302600_NS6detail15normal_iteratorINS9_10device_ptrIxEEEENS9_16discard_iteratorINS9_11use_defaultEEExNS9_4plusIvEExEEDaPvRmT3_T4_T5_mT6_P12ihipStream_tbENKUlT_T0_E_clISt17integral_constantIbLb1EESX_EEDaSS_ST_EUlSS_E0_NS1_11comp_targetILNS1_3genE4ELNS1_11target_archE910ELNS1_3gpuE8ELNS1_3repE0EEENS1_30default_config_static_selectorELNS0_4arch9wavefront6targetE1EEEvT1_.kd
    .uniform_work_group_size: 1
    .uses_dynamic_stack: false
    .vgpr_count:     29
    .vgpr_spill_count: 0
    .wavefront_size: 64
  - .agpr_count:     0
    .args:
      - .offset:         0
        .size:           48
        .value_kind:     by_value
    .group_segment_fixed_size: 0
    .kernarg_segment_align: 8
    .kernarg_segment_size: 48
    .language:       OpenCL C
    .language_version:
      - 2
      - 0
    .max_flat_workgroup_size: 256
    .name:           _ZN7rocprim17ROCPRIM_400000_NS6detail17trampoline_kernelINS0_14default_configENS1_20scan_config_selectorIxEEZZNS1_9scan_implILNS1_25lookback_scan_determinismE0ELb1ELb1ES3_N6thrust23THRUST_200600_302600_NS6detail15normal_iteratorINS9_10device_ptrIxEEEENS9_16discard_iteratorINS9_11use_defaultEEExNS9_4plusIvEExEEDaPvRmT3_T4_T5_mT6_P12ihipStream_tbENKUlT_T0_E_clISt17integral_constantIbLb1EESX_EEDaSS_ST_EUlSS_E0_NS1_11comp_targetILNS1_3genE3ELNS1_11target_archE908ELNS1_3gpuE7ELNS1_3repE0EEENS1_30default_config_static_selectorELNS0_4arch9wavefront6targetE1EEEvT1_
    .private_segment_fixed_size: 0
    .sgpr_count:     4
    .sgpr_spill_count: 0
    .symbol:         _ZN7rocprim17ROCPRIM_400000_NS6detail17trampoline_kernelINS0_14default_configENS1_20scan_config_selectorIxEEZZNS1_9scan_implILNS1_25lookback_scan_determinismE0ELb1ELb1ES3_N6thrust23THRUST_200600_302600_NS6detail15normal_iteratorINS9_10device_ptrIxEEEENS9_16discard_iteratorINS9_11use_defaultEEExNS9_4plusIvEExEEDaPvRmT3_T4_T5_mT6_P12ihipStream_tbENKUlT_T0_E_clISt17integral_constantIbLb1EESX_EEDaSS_ST_EUlSS_E0_NS1_11comp_targetILNS1_3genE3ELNS1_11target_archE908ELNS1_3gpuE7ELNS1_3repE0EEENS1_30default_config_static_selectorELNS0_4arch9wavefront6targetE1EEEvT1_.kd
    .uniform_work_group_size: 1
    .uses_dynamic_stack: false
    .vgpr_count:     0
    .vgpr_spill_count: 0
    .wavefront_size: 64
  - .agpr_count:     0
    .args:
      - .offset:         0
        .size:           48
        .value_kind:     by_value
    .group_segment_fixed_size: 0
    .kernarg_segment_align: 8
    .kernarg_segment_size: 48
    .language:       OpenCL C
    .language_version:
      - 2
      - 0
    .max_flat_workgroup_size: 64
    .name:           _ZN7rocprim17ROCPRIM_400000_NS6detail17trampoline_kernelINS0_14default_configENS1_20scan_config_selectorIxEEZZNS1_9scan_implILNS1_25lookback_scan_determinismE0ELb1ELb1ES3_N6thrust23THRUST_200600_302600_NS6detail15normal_iteratorINS9_10device_ptrIxEEEENS9_16discard_iteratorINS9_11use_defaultEEExNS9_4plusIvEExEEDaPvRmT3_T4_T5_mT6_P12ihipStream_tbENKUlT_T0_E_clISt17integral_constantIbLb1EESX_EEDaSS_ST_EUlSS_E0_NS1_11comp_targetILNS1_3genE2ELNS1_11target_archE906ELNS1_3gpuE6ELNS1_3repE0EEENS1_30default_config_static_selectorELNS0_4arch9wavefront6targetE1EEEvT1_
    .private_segment_fixed_size: 0
    .sgpr_count:     4
    .sgpr_spill_count: 0
    .symbol:         _ZN7rocprim17ROCPRIM_400000_NS6detail17trampoline_kernelINS0_14default_configENS1_20scan_config_selectorIxEEZZNS1_9scan_implILNS1_25lookback_scan_determinismE0ELb1ELb1ES3_N6thrust23THRUST_200600_302600_NS6detail15normal_iteratorINS9_10device_ptrIxEEEENS9_16discard_iteratorINS9_11use_defaultEEExNS9_4plusIvEExEEDaPvRmT3_T4_T5_mT6_P12ihipStream_tbENKUlT_T0_E_clISt17integral_constantIbLb1EESX_EEDaSS_ST_EUlSS_E0_NS1_11comp_targetILNS1_3genE2ELNS1_11target_archE906ELNS1_3gpuE6ELNS1_3repE0EEENS1_30default_config_static_selectorELNS0_4arch9wavefront6targetE1EEEvT1_.kd
    .uniform_work_group_size: 1
    .uses_dynamic_stack: false
    .vgpr_count:     0
    .vgpr_spill_count: 0
    .wavefront_size: 64
  - .agpr_count:     0
    .args:
      - .offset:         0
        .size:           48
        .value_kind:     by_value
    .group_segment_fixed_size: 0
    .kernarg_segment_align: 8
    .kernarg_segment_size: 48
    .language:       OpenCL C
    .language_version:
      - 2
      - 0
    .max_flat_workgroup_size: 256
    .name:           _ZN7rocprim17ROCPRIM_400000_NS6detail17trampoline_kernelINS0_14default_configENS1_20scan_config_selectorIxEEZZNS1_9scan_implILNS1_25lookback_scan_determinismE0ELb1ELb1ES3_N6thrust23THRUST_200600_302600_NS6detail15normal_iteratorINS9_10device_ptrIxEEEENS9_16discard_iteratorINS9_11use_defaultEEExNS9_4plusIvEExEEDaPvRmT3_T4_T5_mT6_P12ihipStream_tbENKUlT_T0_E_clISt17integral_constantIbLb1EESX_EEDaSS_ST_EUlSS_E0_NS1_11comp_targetILNS1_3genE10ELNS1_11target_archE1201ELNS1_3gpuE5ELNS1_3repE0EEENS1_30default_config_static_selectorELNS0_4arch9wavefront6targetE1EEEvT1_
    .private_segment_fixed_size: 0
    .sgpr_count:     4
    .sgpr_spill_count: 0
    .symbol:         _ZN7rocprim17ROCPRIM_400000_NS6detail17trampoline_kernelINS0_14default_configENS1_20scan_config_selectorIxEEZZNS1_9scan_implILNS1_25lookback_scan_determinismE0ELb1ELb1ES3_N6thrust23THRUST_200600_302600_NS6detail15normal_iteratorINS9_10device_ptrIxEEEENS9_16discard_iteratorINS9_11use_defaultEEExNS9_4plusIvEExEEDaPvRmT3_T4_T5_mT6_P12ihipStream_tbENKUlT_T0_E_clISt17integral_constantIbLb1EESX_EEDaSS_ST_EUlSS_E0_NS1_11comp_targetILNS1_3genE10ELNS1_11target_archE1201ELNS1_3gpuE5ELNS1_3repE0EEENS1_30default_config_static_selectorELNS0_4arch9wavefront6targetE1EEEvT1_.kd
    .uniform_work_group_size: 1
    .uses_dynamic_stack: false
    .vgpr_count:     0
    .vgpr_spill_count: 0
    .wavefront_size: 64
  - .agpr_count:     0
    .args:
      - .offset:         0
        .size:           48
        .value_kind:     by_value
    .group_segment_fixed_size: 0
    .kernarg_segment_align: 8
    .kernarg_segment_size: 48
    .language:       OpenCL C
    .language_version:
      - 2
      - 0
    .max_flat_workgroup_size: 256
    .name:           _ZN7rocprim17ROCPRIM_400000_NS6detail17trampoline_kernelINS0_14default_configENS1_20scan_config_selectorIxEEZZNS1_9scan_implILNS1_25lookback_scan_determinismE0ELb1ELb1ES3_N6thrust23THRUST_200600_302600_NS6detail15normal_iteratorINS9_10device_ptrIxEEEENS9_16discard_iteratorINS9_11use_defaultEEExNS9_4plusIvEExEEDaPvRmT3_T4_T5_mT6_P12ihipStream_tbENKUlT_T0_E_clISt17integral_constantIbLb1EESX_EEDaSS_ST_EUlSS_E0_NS1_11comp_targetILNS1_3genE10ELNS1_11target_archE1200ELNS1_3gpuE4ELNS1_3repE0EEENS1_30default_config_static_selectorELNS0_4arch9wavefront6targetE1EEEvT1_
    .private_segment_fixed_size: 0
    .sgpr_count:     4
    .sgpr_spill_count: 0
    .symbol:         _ZN7rocprim17ROCPRIM_400000_NS6detail17trampoline_kernelINS0_14default_configENS1_20scan_config_selectorIxEEZZNS1_9scan_implILNS1_25lookback_scan_determinismE0ELb1ELb1ES3_N6thrust23THRUST_200600_302600_NS6detail15normal_iteratorINS9_10device_ptrIxEEEENS9_16discard_iteratorINS9_11use_defaultEEExNS9_4plusIvEExEEDaPvRmT3_T4_T5_mT6_P12ihipStream_tbENKUlT_T0_E_clISt17integral_constantIbLb1EESX_EEDaSS_ST_EUlSS_E0_NS1_11comp_targetILNS1_3genE10ELNS1_11target_archE1200ELNS1_3gpuE4ELNS1_3repE0EEENS1_30default_config_static_selectorELNS0_4arch9wavefront6targetE1EEEvT1_.kd
    .uniform_work_group_size: 1
    .uses_dynamic_stack: false
    .vgpr_count:     0
    .vgpr_spill_count: 0
    .wavefront_size: 64
  - .agpr_count:     0
    .args:
      - .offset:         0
        .size:           48
        .value_kind:     by_value
    .group_segment_fixed_size: 0
    .kernarg_segment_align: 8
    .kernarg_segment_size: 48
    .language:       OpenCL C
    .language_version:
      - 2
      - 0
    .max_flat_workgroup_size: 256
    .name:           _ZN7rocprim17ROCPRIM_400000_NS6detail17trampoline_kernelINS0_14default_configENS1_20scan_config_selectorIxEEZZNS1_9scan_implILNS1_25lookback_scan_determinismE0ELb1ELb1ES3_N6thrust23THRUST_200600_302600_NS6detail15normal_iteratorINS9_10device_ptrIxEEEENS9_16discard_iteratorINS9_11use_defaultEEExNS9_4plusIvEExEEDaPvRmT3_T4_T5_mT6_P12ihipStream_tbENKUlT_T0_E_clISt17integral_constantIbLb1EESX_EEDaSS_ST_EUlSS_E0_NS1_11comp_targetILNS1_3genE9ELNS1_11target_archE1100ELNS1_3gpuE3ELNS1_3repE0EEENS1_30default_config_static_selectorELNS0_4arch9wavefront6targetE1EEEvT1_
    .private_segment_fixed_size: 0
    .sgpr_count:     4
    .sgpr_spill_count: 0
    .symbol:         _ZN7rocprim17ROCPRIM_400000_NS6detail17trampoline_kernelINS0_14default_configENS1_20scan_config_selectorIxEEZZNS1_9scan_implILNS1_25lookback_scan_determinismE0ELb1ELb1ES3_N6thrust23THRUST_200600_302600_NS6detail15normal_iteratorINS9_10device_ptrIxEEEENS9_16discard_iteratorINS9_11use_defaultEEExNS9_4plusIvEExEEDaPvRmT3_T4_T5_mT6_P12ihipStream_tbENKUlT_T0_E_clISt17integral_constantIbLb1EESX_EEDaSS_ST_EUlSS_E0_NS1_11comp_targetILNS1_3genE9ELNS1_11target_archE1100ELNS1_3gpuE3ELNS1_3repE0EEENS1_30default_config_static_selectorELNS0_4arch9wavefront6targetE1EEEvT1_.kd
    .uniform_work_group_size: 1
    .uses_dynamic_stack: false
    .vgpr_count:     0
    .vgpr_spill_count: 0
    .wavefront_size: 64
  - .agpr_count:     0
    .args:
      - .offset:         0
        .size:           48
        .value_kind:     by_value
    .group_segment_fixed_size: 0
    .kernarg_segment_align: 8
    .kernarg_segment_size: 48
    .language:       OpenCL C
    .language_version:
      - 2
      - 0
    .max_flat_workgroup_size: 256
    .name:           _ZN7rocprim17ROCPRIM_400000_NS6detail17trampoline_kernelINS0_14default_configENS1_20scan_config_selectorIxEEZZNS1_9scan_implILNS1_25lookback_scan_determinismE0ELb1ELb1ES3_N6thrust23THRUST_200600_302600_NS6detail15normal_iteratorINS9_10device_ptrIxEEEENS9_16discard_iteratorINS9_11use_defaultEEExNS9_4plusIvEExEEDaPvRmT3_T4_T5_mT6_P12ihipStream_tbENKUlT_T0_E_clISt17integral_constantIbLb1EESX_EEDaSS_ST_EUlSS_E0_NS1_11comp_targetILNS1_3genE8ELNS1_11target_archE1030ELNS1_3gpuE2ELNS1_3repE0EEENS1_30default_config_static_selectorELNS0_4arch9wavefront6targetE1EEEvT1_
    .private_segment_fixed_size: 0
    .sgpr_count:     4
    .sgpr_spill_count: 0
    .symbol:         _ZN7rocprim17ROCPRIM_400000_NS6detail17trampoline_kernelINS0_14default_configENS1_20scan_config_selectorIxEEZZNS1_9scan_implILNS1_25lookback_scan_determinismE0ELb1ELb1ES3_N6thrust23THRUST_200600_302600_NS6detail15normal_iteratorINS9_10device_ptrIxEEEENS9_16discard_iteratorINS9_11use_defaultEEExNS9_4plusIvEExEEDaPvRmT3_T4_T5_mT6_P12ihipStream_tbENKUlT_T0_E_clISt17integral_constantIbLb1EESX_EEDaSS_ST_EUlSS_E0_NS1_11comp_targetILNS1_3genE8ELNS1_11target_archE1030ELNS1_3gpuE2ELNS1_3repE0EEENS1_30default_config_static_selectorELNS0_4arch9wavefront6targetE1EEEvT1_.kd
    .uniform_work_group_size: 1
    .uses_dynamic_stack: false
    .vgpr_count:     0
    .vgpr_spill_count: 0
    .wavefront_size: 64
  - .agpr_count:     0
    .args:
      - .offset:         0
        .size:           112
        .value_kind:     by_value
    .group_segment_fixed_size: 0
    .kernarg_segment_align: 8
    .kernarg_segment_size: 112
    .language:       OpenCL C
    .language_version:
      - 2
      - 0
    .max_flat_workgroup_size: 256
    .name:           _ZN7rocprim17ROCPRIM_400000_NS6detail17trampoline_kernelINS0_14default_configENS1_20scan_config_selectorIxEEZZNS1_9scan_implILNS1_25lookback_scan_determinismE0ELb1ELb1ES3_N6thrust23THRUST_200600_302600_NS6detail15normal_iteratorINS9_10device_ptrIxEEEENS9_16discard_iteratorINS9_11use_defaultEEExNS9_4plusIvEExEEDaPvRmT3_T4_T5_mT6_P12ihipStream_tbENKUlT_T0_E_clISt17integral_constantIbLb1EESW_IbLb0EEEEDaSS_ST_EUlSS_E_NS1_11comp_targetILNS1_3genE0ELNS1_11target_archE4294967295ELNS1_3gpuE0ELNS1_3repE0EEENS1_30default_config_static_selectorELNS0_4arch9wavefront6targetE1EEEvT1_
    .private_segment_fixed_size: 0
    .sgpr_count:     4
    .sgpr_spill_count: 0
    .symbol:         _ZN7rocprim17ROCPRIM_400000_NS6detail17trampoline_kernelINS0_14default_configENS1_20scan_config_selectorIxEEZZNS1_9scan_implILNS1_25lookback_scan_determinismE0ELb1ELb1ES3_N6thrust23THRUST_200600_302600_NS6detail15normal_iteratorINS9_10device_ptrIxEEEENS9_16discard_iteratorINS9_11use_defaultEEExNS9_4plusIvEExEEDaPvRmT3_T4_T5_mT6_P12ihipStream_tbENKUlT_T0_E_clISt17integral_constantIbLb1EESW_IbLb0EEEEDaSS_ST_EUlSS_E_NS1_11comp_targetILNS1_3genE0ELNS1_11target_archE4294967295ELNS1_3gpuE0ELNS1_3repE0EEENS1_30default_config_static_selectorELNS0_4arch9wavefront6targetE1EEEvT1_.kd
    .uniform_work_group_size: 1
    .uses_dynamic_stack: false
    .vgpr_count:     0
    .vgpr_spill_count: 0
    .wavefront_size: 64
  - .agpr_count:     0
    .args:
      - .offset:         0
        .size:           112
        .value_kind:     by_value
    .group_segment_fixed_size: 0
    .kernarg_segment_align: 8
    .kernarg_segment_size: 112
    .language:       OpenCL C
    .language_version:
      - 2
      - 0
    .max_flat_workgroup_size: 256
    .name:           _ZN7rocprim17ROCPRIM_400000_NS6detail17trampoline_kernelINS0_14default_configENS1_20scan_config_selectorIxEEZZNS1_9scan_implILNS1_25lookback_scan_determinismE0ELb1ELb1ES3_N6thrust23THRUST_200600_302600_NS6detail15normal_iteratorINS9_10device_ptrIxEEEENS9_16discard_iteratorINS9_11use_defaultEEExNS9_4plusIvEExEEDaPvRmT3_T4_T5_mT6_P12ihipStream_tbENKUlT_T0_E_clISt17integral_constantIbLb1EESW_IbLb0EEEEDaSS_ST_EUlSS_E_NS1_11comp_targetILNS1_3genE5ELNS1_11target_archE942ELNS1_3gpuE9ELNS1_3repE0EEENS1_30default_config_static_selectorELNS0_4arch9wavefront6targetE1EEEvT1_
    .private_segment_fixed_size: 0
    .sgpr_count:     4
    .sgpr_spill_count: 0
    .symbol:         _ZN7rocprim17ROCPRIM_400000_NS6detail17trampoline_kernelINS0_14default_configENS1_20scan_config_selectorIxEEZZNS1_9scan_implILNS1_25lookback_scan_determinismE0ELb1ELb1ES3_N6thrust23THRUST_200600_302600_NS6detail15normal_iteratorINS9_10device_ptrIxEEEENS9_16discard_iteratorINS9_11use_defaultEEExNS9_4plusIvEExEEDaPvRmT3_T4_T5_mT6_P12ihipStream_tbENKUlT_T0_E_clISt17integral_constantIbLb1EESW_IbLb0EEEEDaSS_ST_EUlSS_E_NS1_11comp_targetILNS1_3genE5ELNS1_11target_archE942ELNS1_3gpuE9ELNS1_3repE0EEENS1_30default_config_static_selectorELNS0_4arch9wavefront6targetE1EEEvT1_.kd
    .uniform_work_group_size: 1
    .uses_dynamic_stack: false
    .vgpr_count:     0
    .vgpr_spill_count: 0
    .wavefront_size: 64
  - .agpr_count:     0
    .args:
      - .offset:         0
        .size:           112
        .value_kind:     by_value
    .group_segment_fixed_size: 7168
    .kernarg_segment_align: 8
    .kernarg_segment_size: 112
    .language:       OpenCL C
    .language_version:
      - 2
      - 0
    .max_flat_workgroup_size: 128
    .name:           _ZN7rocprim17ROCPRIM_400000_NS6detail17trampoline_kernelINS0_14default_configENS1_20scan_config_selectorIxEEZZNS1_9scan_implILNS1_25lookback_scan_determinismE0ELb1ELb1ES3_N6thrust23THRUST_200600_302600_NS6detail15normal_iteratorINS9_10device_ptrIxEEEENS9_16discard_iteratorINS9_11use_defaultEEExNS9_4plusIvEExEEDaPvRmT3_T4_T5_mT6_P12ihipStream_tbENKUlT_T0_E_clISt17integral_constantIbLb1EESW_IbLb0EEEEDaSS_ST_EUlSS_E_NS1_11comp_targetILNS1_3genE4ELNS1_11target_archE910ELNS1_3gpuE8ELNS1_3repE0EEENS1_30default_config_static_selectorELNS0_4arch9wavefront6targetE1EEEvT1_
    .private_segment_fixed_size: 0
    .sgpr_count:     30
    .sgpr_spill_count: 0
    .symbol:         _ZN7rocprim17ROCPRIM_400000_NS6detail17trampoline_kernelINS0_14default_configENS1_20scan_config_selectorIxEEZZNS1_9scan_implILNS1_25lookback_scan_determinismE0ELb1ELb1ES3_N6thrust23THRUST_200600_302600_NS6detail15normal_iteratorINS9_10device_ptrIxEEEENS9_16discard_iteratorINS9_11use_defaultEEExNS9_4plusIvEExEEDaPvRmT3_T4_T5_mT6_P12ihipStream_tbENKUlT_T0_E_clISt17integral_constantIbLb1EESW_IbLb0EEEEDaSS_ST_EUlSS_E_NS1_11comp_targetILNS1_3genE4ELNS1_11target_archE910ELNS1_3gpuE8ELNS1_3repE0EEENS1_30default_config_static_selectorELNS0_4arch9wavefront6targetE1EEEvT1_.kd
    .uniform_work_group_size: 1
    .uses_dynamic_stack: false
    .vgpr_count:     50
    .vgpr_spill_count: 0
    .wavefront_size: 64
  - .agpr_count:     0
    .args:
      - .offset:         0
        .size:           112
        .value_kind:     by_value
    .group_segment_fixed_size: 0
    .kernarg_segment_align: 8
    .kernarg_segment_size: 112
    .language:       OpenCL C
    .language_version:
      - 2
      - 0
    .max_flat_workgroup_size: 256
    .name:           _ZN7rocprim17ROCPRIM_400000_NS6detail17trampoline_kernelINS0_14default_configENS1_20scan_config_selectorIxEEZZNS1_9scan_implILNS1_25lookback_scan_determinismE0ELb1ELb1ES3_N6thrust23THRUST_200600_302600_NS6detail15normal_iteratorINS9_10device_ptrIxEEEENS9_16discard_iteratorINS9_11use_defaultEEExNS9_4plusIvEExEEDaPvRmT3_T4_T5_mT6_P12ihipStream_tbENKUlT_T0_E_clISt17integral_constantIbLb1EESW_IbLb0EEEEDaSS_ST_EUlSS_E_NS1_11comp_targetILNS1_3genE3ELNS1_11target_archE908ELNS1_3gpuE7ELNS1_3repE0EEENS1_30default_config_static_selectorELNS0_4arch9wavefront6targetE1EEEvT1_
    .private_segment_fixed_size: 0
    .sgpr_count:     4
    .sgpr_spill_count: 0
    .symbol:         _ZN7rocprim17ROCPRIM_400000_NS6detail17trampoline_kernelINS0_14default_configENS1_20scan_config_selectorIxEEZZNS1_9scan_implILNS1_25lookback_scan_determinismE0ELb1ELb1ES3_N6thrust23THRUST_200600_302600_NS6detail15normal_iteratorINS9_10device_ptrIxEEEENS9_16discard_iteratorINS9_11use_defaultEEExNS9_4plusIvEExEEDaPvRmT3_T4_T5_mT6_P12ihipStream_tbENKUlT_T0_E_clISt17integral_constantIbLb1EESW_IbLb0EEEEDaSS_ST_EUlSS_E_NS1_11comp_targetILNS1_3genE3ELNS1_11target_archE908ELNS1_3gpuE7ELNS1_3repE0EEENS1_30default_config_static_selectorELNS0_4arch9wavefront6targetE1EEEvT1_.kd
    .uniform_work_group_size: 1
    .uses_dynamic_stack: false
    .vgpr_count:     0
    .vgpr_spill_count: 0
    .wavefront_size: 64
  - .agpr_count:     0
    .args:
      - .offset:         0
        .size:           112
        .value_kind:     by_value
    .group_segment_fixed_size: 0
    .kernarg_segment_align: 8
    .kernarg_segment_size: 112
    .language:       OpenCL C
    .language_version:
      - 2
      - 0
    .max_flat_workgroup_size: 64
    .name:           _ZN7rocprim17ROCPRIM_400000_NS6detail17trampoline_kernelINS0_14default_configENS1_20scan_config_selectorIxEEZZNS1_9scan_implILNS1_25lookback_scan_determinismE0ELb1ELb1ES3_N6thrust23THRUST_200600_302600_NS6detail15normal_iteratorINS9_10device_ptrIxEEEENS9_16discard_iteratorINS9_11use_defaultEEExNS9_4plusIvEExEEDaPvRmT3_T4_T5_mT6_P12ihipStream_tbENKUlT_T0_E_clISt17integral_constantIbLb1EESW_IbLb0EEEEDaSS_ST_EUlSS_E_NS1_11comp_targetILNS1_3genE2ELNS1_11target_archE906ELNS1_3gpuE6ELNS1_3repE0EEENS1_30default_config_static_selectorELNS0_4arch9wavefront6targetE1EEEvT1_
    .private_segment_fixed_size: 0
    .sgpr_count:     4
    .sgpr_spill_count: 0
    .symbol:         _ZN7rocprim17ROCPRIM_400000_NS6detail17trampoline_kernelINS0_14default_configENS1_20scan_config_selectorIxEEZZNS1_9scan_implILNS1_25lookback_scan_determinismE0ELb1ELb1ES3_N6thrust23THRUST_200600_302600_NS6detail15normal_iteratorINS9_10device_ptrIxEEEENS9_16discard_iteratorINS9_11use_defaultEEExNS9_4plusIvEExEEDaPvRmT3_T4_T5_mT6_P12ihipStream_tbENKUlT_T0_E_clISt17integral_constantIbLb1EESW_IbLb0EEEEDaSS_ST_EUlSS_E_NS1_11comp_targetILNS1_3genE2ELNS1_11target_archE906ELNS1_3gpuE6ELNS1_3repE0EEENS1_30default_config_static_selectorELNS0_4arch9wavefront6targetE1EEEvT1_.kd
    .uniform_work_group_size: 1
    .uses_dynamic_stack: false
    .vgpr_count:     0
    .vgpr_spill_count: 0
    .wavefront_size: 64
  - .agpr_count:     0
    .args:
      - .offset:         0
        .size:           112
        .value_kind:     by_value
    .group_segment_fixed_size: 0
    .kernarg_segment_align: 8
    .kernarg_segment_size: 112
    .language:       OpenCL C
    .language_version:
      - 2
      - 0
    .max_flat_workgroup_size: 256
    .name:           _ZN7rocprim17ROCPRIM_400000_NS6detail17trampoline_kernelINS0_14default_configENS1_20scan_config_selectorIxEEZZNS1_9scan_implILNS1_25lookback_scan_determinismE0ELb1ELb1ES3_N6thrust23THRUST_200600_302600_NS6detail15normal_iteratorINS9_10device_ptrIxEEEENS9_16discard_iteratorINS9_11use_defaultEEExNS9_4plusIvEExEEDaPvRmT3_T4_T5_mT6_P12ihipStream_tbENKUlT_T0_E_clISt17integral_constantIbLb1EESW_IbLb0EEEEDaSS_ST_EUlSS_E_NS1_11comp_targetILNS1_3genE10ELNS1_11target_archE1201ELNS1_3gpuE5ELNS1_3repE0EEENS1_30default_config_static_selectorELNS0_4arch9wavefront6targetE1EEEvT1_
    .private_segment_fixed_size: 0
    .sgpr_count:     4
    .sgpr_spill_count: 0
    .symbol:         _ZN7rocprim17ROCPRIM_400000_NS6detail17trampoline_kernelINS0_14default_configENS1_20scan_config_selectorIxEEZZNS1_9scan_implILNS1_25lookback_scan_determinismE0ELb1ELb1ES3_N6thrust23THRUST_200600_302600_NS6detail15normal_iteratorINS9_10device_ptrIxEEEENS9_16discard_iteratorINS9_11use_defaultEEExNS9_4plusIvEExEEDaPvRmT3_T4_T5_mT6_P12ihipStream_tbENKUlT_T0_E_clISt17integral_constantIbLb1EESW_IbLb0EEEEDaSS_ST_EUlSS_E_NS1_11comp_targetILNS1_3genE10ELNS1_11target_archE1201ELNS1_3gpuE5ELNS1_3repE0EEENS1_30default_config_static_selectorELNS0_4arch9wavefront6targetE1EEEvT1_.kd
    .uniform_work_group_size: 1
    .uses_dynamic_stack: false
    .vgpr_count:     0
    .vgpr_spill_count: 0
    .wavefront_size: 64
  - .agpr_count:     0
    .args:
      - .offset:         0
        .size:           112
        .value_kind:     by_value
    .group_segment_fixed_size: 0
    .kernarg_segment_align: 8
    .kernarg_segment_size: 112
    .language:       OpenCL C
    .language_version:
      - 2
      - 0
    .max_flat_workgroup_size: 256
    .name:           _ZN7rocprim17ROCPRIM_400000_NS6detail17trampoline_kernelINS0_14default_configENS1_20scan_config_selectorIxEEZZNS1_9scan_implILNS1_25lookback_scan_determinismE0ELb1ELb1ES3_N6thrust23THRUST_200600_302600_NS6detail15normal_iteratorINS9_10device_ptrIxEEEENS9_16discard_iteratorINS9_11use_defaultEEExNS9_4plusIvEExEEDaPvRmT3_T4_T5_mT6_P12ihipStream_tbENKUlT_T0_E_clISt17integral_constantIbLb1EESW_IbLb0EEEEDaSS_ST_EUlSS_E_NS1_11comp_targetILNS1_3genE10ELNS1_11target_archE1200ELNS1_3gpuE4ELNS1_3repE0EEENS1_30default_config_static_selectorELNS0_4arch9wavefront6targetE1EEEvT1_
    .private_segment_fixed_size: 0
    .sgpr_count:     4
    .sgpr_spill_count: 0
    .symbol:         _ZN7rocprim17ROCPRIM_400000_NS6detail17trampoline_kernelINS0_14default_configENS1_20scan_config_selectorIxEEZZNS1_9scan_implILNS1_25lookback_scan_determinismE0ELb1ELb1ES3_N6thrust23THRUST_200600_302600_NS6detail15normal_iteratorINS9_10device_ptrIxEEEENS9_16discard_iteratorINS9_11use_defaultEEExNS9_4plusIvEExEEDaPvRmT3_T4_T5_mT6_P12ihipStream_tbENKUlT_T0_E_clISt17integral_constantIbLb1EESW_IbLb0EEEEDaSS_ST_EUlSS_E_NS1_11comp_targetILNS1_3genE10ELNS1_11target_archE1200ELNS1_3gpuE4ELNS1_3repE0EEENS1_30default_config_static_selectorELNS0_4arch9wavefront6targetE1EEEvT1_.kd
    .uniform_work_group_size: 1
    .uses_dynamic_stack: false
    .vgpr_count:     0
    .vgpr_spill_count: 0
    .wavefront_size: 64
  - .agpr_count:     0
    .args:
      - .offset:         0
        .size:           112
        .value_kind:     by_value
    .group_segment_fixed_size: 0
    .kernarg_segment_align: 8
    .kernarg_segment_size: 112
    .language:       OpenCL C
    .language_version:
      - 2
      - 0
    .max_flat_workgroup_size: 256
    .name:           _ZN7rocprim17ROCPRIM_400000_NS6detail17trampoline_kernelINS0_14default_configENS1_20scan_config_selectorIxEEZZNS1_9scan_implILNS1_25lookback_scan_determinismE0ELb1ELb1ES3_N6thrust23THRUST_200600_302600_NS6detail15normal_iteratorINS9_10device_ptrIxEEEENS9_16discard_iteratorINS9_11use_defaultEEExNS9_4plusIvEExEEDaPvRmT3_T4_T5_mT6_P12ihipStream_tbENKUlT_T0_E_clISt17integral_constantIbLb1EESW_IbLb0EEEEDaSS_ST_EUlSS_E_NS1_11comp_targetILNS1_3genE9ELNS1_11target_archE1100ELNS1_3gpuE3ELNS1_3repE0EEENS1_30default_config_static_selectorELNS0_4arch9wavefront6targetE1EEEvT1_
    .private_segment_fixed_size: 0
    .sgpr_count:     4
    .sgpr_spill_count: 0
    .symbol:         _ZN7rocprim17ROCPRIM_400000_NS6detail17trampoline_kernelINS0_14default_configENS1_20scan_config_selectorIxEEZZNS1_9scan_implILNS1_25lookback_scan_determinismE0ELb1ELb1ES3_N6thrust23THRUST_200600_302600_NS6detail15normal_iteratorINS9_10device_ptrIxEEEENS9_16discard_iteratorINS9_11use_defaultEEExNS9_4plusIvEExEEDaPvRmT3_T4_T5_mT6_P12ihipStream_tbENKUlT_T0_E_clISt17integral_constantIbLb1EESW_IbLb0EEEEDaSS_ST_EUlSS_E_NS1_11comp_targetILNS1_3genE9ELNS1_11target_archE1100ELNS1_3gpuE3ELNS1_3repE0EEENS1_30default_config_static_selectorELNS0_4arch9wavefront6targetE1EEEvT1_.kd
    .uniform_work_group_size: 1
    .uses_dynamic_stack: false
    .vgpr_count:     0
    .vgpr_spill_count: 0
    .wavefront_size: 64
  - .agpr_count:     0
    .args:
      - .offset:         0
        .size:           112
        .value_kind:     by_value
    .group_segment_fixed_size: 0
    .kernarg_segment_align: 8
    .kernarg_segment_size: 112
    .language:       OpenCL C
    .language_version:
      - 2
      - 0
    .max_flat_workgroup_size: 256
    .name:           _ZN7rocprim17ROCPRIM_400000_NS6detail17trampoline_kernelINS0_14default_configENS1_20scan_config_selectorIxEEZZNS1_9scan_implILNS1_25lookback_scan_determinismE0ELb1ELb1ES3_N6thrust23THRUST_200600_302600_NS6detail15normal_iteratorINS9_10device_ptrIxEEEENS9_16discard_iteratorINS9_11use_defaultEEExNS9_4plusIvEExEEDaPvRmT3_T4_T5_mT6_P12ihipStream_tbENKUlT_T0_E_clISt17integral_constantIbLb1EESW_IbLb0EEEEDaSS_ST_EUlSS_E_NS1_11comp_targetILNS1_3genE8ELNS1_11target_archE1030ELNS1_3gpuE2ELNS1_3repE0EEENS1_30default_config_static_selectorELNS0_4arch9wavefront6targetE1EEEvT1_
    .private_segment_fixed_size: 0
    .sgpr_count:     4
    .sgpr_spill_count: 0
    .symbol:         _ZN7rocprim17ROCPRIM_400000_NS6detail17trampoline_kernelINS0_14default_configENS1_20scan_config_selectorIxEEZZNS1_9scan_implILNS1_25lookback_scan_determinismE0ELb1ELb1ES3_N6thrust23THRUST_200600_302600_NS6detail15normal_iteratorINS9_10device_ptrIxEEEENS9_16discard_iteratorINS9_11use_defaultEEExNS9_4plusIvEExEEDaPvRmT3_T4_T5_mT6_P12ihipStream_tbENKUlT_T0_E_clISt17integral_constantIbLb1EESW_IbLb0EEEEDaSS_ST_EUlSS_E_NS1_11comp_targetILNS1_3genE8ELNS1_11target_archE1030ELNS1_3gpuE2ELNS1_3repE0EEENS1_30default_config_static_selectorELNS0_4arch9wavefront6targetE1EEEvT1_.kd
    .uniform_work_group_size: 1
    .uses_dynamic_stack: false
    .vgpr_count:     0
    .vgpr_spill_count: 0
    .wavefront_size: 64
  - .agpr_count:     0
    .args:
      - .offset:         0
        .size:           48
        .value_kind:     by_value
    .group_segment_fixed_size: 0
    .kernarg_segment_align: 8
    .kernarg_segment_size: 48
    .language:       OpenCL C
    .language_version:
      - 2
      - 0
    .max_flat_workgroup_size: 256
    .name:           _ZN7rocprim17ROCPRIM_400000_NS6detail17trampoline_kernelINS0_14default_configENS1_20scan_config_selectorIxEEZZNS1_9scan_implILNS1_25lookback_scan_determinismE0ELb1ELb1ES3_N6thrust23THRUST_200600_302600_NS6detail15normal_iteratorINS9_10device_ptrIxEEEENS9_16discard_iteratorINS9_11use_defaultEEExNS9_4plusIvEExEEDaPvRmT3_T4_T5_mT6_P12ihipStream_tbENKUlT_T0_E_clISt17integral_constantIbLb1EESW_IbLb0EEEEDaSS_ST_EUlSS_E0_NS1_11comp_targetILNS1_3genE0ELNS1_11target_archE4294967295ELNS1_3gpuE0ELNS1_3repE0EEENS1_30default_config_static_selectorELNS0_4arch9wavefront6targetE1EEEvT1_
    .private_segment_fixed_size: 0
    .sgpr_count:     4
    .sgpr_spill_count: 0
    .symbol:         _ZN7rocprim17ROCPRIM_400000_NS6detail17trampoline_kernelINS0_14default_configENS1_20scan_config_selectorIxEEZZNS1_9scan_implILNS1_25lookback_scan_determinismE0ELb1ELb1ES3_N6thrust23THRUST_200600_302600_NS6detail15normal_iteratorINS9_10device_ptrIxEEEENS9_16discard_iteratorINS9_11use_defaultEEExNS9_4plusIvEExEEDaPvRmT3_T4_T5_mT6_P12ihipStream_tbENKUlT_T0_E_clISt17integral_constantIbLb1EESW_IbLb0EEEEDaSS_ST_EUlSS_E0_NS1_11comp_targetILNS1_3genE0ELNS1_11target_archE4294967295ELNS1_3gpuE0ELNS1_3repE0EEENS1_30default_config_static_selectorELNS0_4arch9wavefront6targetE1EEEvT1_.kd
    .uniform_work_group_size: 1
    .uses_dynamic_stack: false
    .vgpr_count:     0
    .vgpr_spill_count: 0
    .wavefront_size: 64
  - .agpr_count:     0
    .args:
      - .offset:         0
        .size:           48
        .value_kind:     by_value
    .group_segment_fixed_size: 0
    .kernarg_segment_align: 8
    .kernarg_segment_size: 48
    .language:       OpenCL C
    .language_version:
      - 2
      - 0
    .max_flat_workgroup_size: 256
    .name:           _ZN7rocprim17ROCPRIM_400000_NS6detail17trampoline_kernelINS0_14default_configENS1_20scan_config_selectorIxEEZZNS1_9scan_implILNS1_25lookback_scan_determinismE0ELb1ELb1ES3_N6thrust23THRUST_200600_302600_NS6detail15normal_iteratorINS9_10device_ptrIxEEEENS9_16discard_iteratorINS9_11use_defaultEEExNS9_4plusIvEExEEDaPvRmT3_T4_T5_mT6_P12ihipStream_tbENKUlT_T0_E_clISt17integral_constantIbLb1EESW_IbLb0EEEEDaSS_ST_EUlSS_E0_NS1_11comp_targetILNS1_3genE5ELNS1_11target_archE942ELNS1_3gpuE9ELNS1_3repE0EEENS1_30default_config_static_selectorELNS0_4arch9wavefront6targetE1EEEvT1_
    .private_segment_fixed_size: 0
    .sgpr_count:     4
    .sgpr_spill_count: 0
    .symbol:         _ZN7rocprim17ROCPRIM_400000_NS6detail17trampoline_kernelINS0_14default_configENS1_20scan_config_selectorIxEEZZNS1_9scan_implILNS1_25lookback_scan_determinismE0ELb1ELb1ES3_N6thrust23THRUST_200600_302600_NS6detail15normal_iteratorINS9_10device_ptrIxEEEENS9_16discard_iteratorINS9_11use_defaultEEExNS9_4plusIvEExEEDaPvRmT3_T4_T5_mT6_P12ihipStream_tbENKUlT_T0_E_clISt17integral_constantIbLb1EESW_IbLb0EEEEDaSS_ST_EUlSS_E0_NS1_11comp_targetILNS1_3genE5ELNS1_11target_archE942ELNS1_3gpuE9ELNS1_3repE0EEENS1_30default_config_static_selectorELNS0_4arch9wavefront6targetE1EEEvT1_.kd
    .uniform_work_group_size: 1
    .uses_dynamic_stack: false
    .vgpr_count:     0
    .vgpr_spill_count: 0
    .wavefront_size: 64
  - .agpr_count:     0
    .args:
      - .offset:         0
        .size:           48
        .value_kind:     by_value
    .group_segment_fixed_size: 7168
    .kernarg_segment_align: 8
    .kernarg_segment_size: 48
    .language:       OpenCL C
    .language_version:
      - 2
      - 0
    .max_flat_workgroup_size: 128
    .name:           _ZN7rocprim17ROCPRIM_400000_NS6detail17trampoline_kernelINS0_14default_configENS1_20scan_config_selectorIxEEZZNS1_9scan_implILNS1_25lookback_scan_determinismE0ELb1ELb1ES3_N6thrust23THRUST_200600_302600_NS6detail15normal_iteratorINS9_10device_ptrIxEEEENS9_16discard_iteratorINS9_11use_defaultEEExNS9_4plusIvEExEEDaPvRmT3_T4_T5_mT6_P12ihipStream_tbENKUlT_T0_E_clISt17integral_constantIbLb1EESW_IbLb0EEEEDaSS_ST_EUlSS_E0_NS1_11comp_targetILNS1_3genE4ELNS1_11target_archE910ELNS1_3gpuE8ELNS1_3repE0EEENS1_30default_config_static_selectorELNS0_4arch9wavefront6targetE1EEEvT1_
    .private_segment_fixed_size: 0
    .sgpr_count:     14
    .sgpr_spill_count: 0
    .symbol:         _ZN7rocprim17ROCPRIM_400000_NS6detail17trampoline_kernelINS0_14default_configENS1_20scan_config_selectorIxEEZZNS1_9scan_implILNS1_25lookback_scan_determinismE0ELb1ELb1ES3_N6thrust23THRUST_200600_302600_NS6detail15normal_iteratorINS9_10device_ptrIxEEEENS9_16discard_iteratorINS9_11use_defaultEEExNS9_4plusIvEExEEDaPvRmT3_T4_T5_mT6_P12ihipStream_tbENKUlT_T0_E_clISt17integral_constantIbLb1EESW_IbLb0EEEEDaSS_ST_EUlSS_E0_NS1_11comp_targetILNS1_3genE4ELNS1_11target_archE910ELNS1_3gpuE8ELNS1_3repE0EEENS1_30default_config_static_selectorELNS0_4arch9wavefront6targetE1EEEvT1_.kd
    .uniform_work_group_size: 1
    .uses_dynamic_stack: false
    .vgpr_count:     29
    .vgpr_spill_count: 0
    .wavefront_size: 64
  - .agpr_count:     0
    .args:
      - .offset:         0
        .size:           48
        .value_kind:     by_value
    .group_segment_fixed_size: 0
    .kernarg_segment_align: 8
    .kernarg_segment_size: 48
    .language:       OpenCL C
    .language_version:
      - 2
      - 0
    .max_flat_workgroup_size: 256
    .name:           _ZN7rocprim17ROCPRIM_400000_NS6detail17trampoline_kernelINS0_14default_configENS1_20scan_config_selectorIxEEZZNS1_9scan_implILNS1_25lookback_scan_determinismE0ELb1ELb1ES3_N6thrust23THRUST_200600_302600_NS6detail15normal_iteratorINS9_10device_ptrIxEEEENS9_16discard_iteratorINS9_11use_defaultEEExNS9_4plusIvEExEEDaPvRmT3_T4_T5_mT6_P12ihipStream_tbENKUlT_T0_E_clISt17integral_constantIbLb1EESW_IbLb0EEEEDaSS_ST_EUlSS_E0_NS1_11comp_targetILNS1_3genE3ELNS1_11target_archE908ELNS1_3gpuE7ELNS1_3repE0EEENS1_30default_config_static_selectorELNS0_4arch9wavefront6targetE1EEEvT1_
    .private_segment_fixed_size: 0
    .sgpr_count:     4
    .sgpr_spill_count: 0
    .symbol:         _ZN7rocprim17ROCPRIM_400000_NS6detail17trampoline_kernelINS0_14default_configENS1_20scan_config_selectorIxEEZZNS1_9scan_implILNS1_25lookback_scan_determinismE0ELb1ELb1ES3_N6thrust23THRUST_200600_302600_NS6detail15normal_iteratorINS9_10device_ptrIxEEEENS9_16discard_iteratorINS9_11use_defaultEEExNS9_4plusIvEExEEDaPvRmT3_T4_T5_mT6_P12ihipStream_tbENKUlT_T0_E_clISt17integral_constantIbLb1EESW_IbLb0EEEEDaSS_ST_EUlSS_E0_NS1_11comp_targetILNS1_3genE3ELNS1_11target_archE908ELNS1_3gpuE7ELNS1_3repE0EEENS1_30default_config_static_selectorELNS0_4arch9wavefront6targetE1EEEvT1_.kd
    .uniform_work_group_size: 1
    .uses_dynamic_stack: false
    .vgpr_count:     0
    .vgpr_spill_count: 0
    .wavefront_size: 64
  - .agpr_count:     0
    .args:
      - .offset:         0
        .size:           48
        .value_kind:     by_value
    .group_segment_fixed_size: 0
    .kernarg_segment_align: 8
    .kernarg_segment_size: 48
    .language:       OpenCL C
    .language_version:
      - 2
      - 0
    .max_flat_workgroup_size: 64
    .name:           _ZN7rocprim17ROCPRIM_400000_NS6detail17trampoline_kernelINS0_14default_configENS1_20scan_config_selectorIxEEZZNS1_9scan_implILNS1_25lookback_scan_determinismE0ELb1ELb1ES3_N6thrust23THRUST_200600_302600_NS6detail15normal_iteratorINS9_10device_ptrIxEEEENS9_16discard_iteratorINS9_11use_defaultEEExNS9_4plusIvEExEEDaPvRmT3_T4_T5_mT6_P12ihipStream_tbENKUlT_T0_E_clISt17integral_constantIbLb1EESW_IbLb0EEEEDaSS_ST_EUlSS_E0_NS1_11comp_targetILNS1_3genE2ELNS1_11target_archE906ELNS1_3gpuE6ELNS1_3repE0EEENS1_30default_config_static_selectorELNS0_4arch9wavefront6targetE1EEEvT1_
    .private_segment_fixed_size: 0
    .sgpr_count:     4
    .sgpr_spill_count: 0
    .symbol:         _ZN7rocprim17ROCPRIM_400000_NS6detail17trampoline_kernelINS0_14default_configENS1_20scan_config_selectorIxEEZZNS1_9scan_implILNS1_25lookback_scan_determinismE0ELb1ELb1ES3_N6thrust23THRUST_200600_302600_NS6detail15normal_iteratorINS9_10device_ptrIxEEEENS9_16discard_iteratorINS9_11use_defaultEEExNS9_4plusIvEExEEDaPvRmT3_T4_T5_mT6_P12ihipStream_tbENKUlT_T0_E_clISt17integral_constantIbLb1EESW_IbLb0EEEEDaSS_ST_EUlSS_E0_NS1_11comp_targetILNS1_3genE2ELNS1_11target_archE906ELNS1_3gpuE6ELNS1_3repE0EEENS1_30default_config_static_selectorELNS0_4arch9wavefront6targetE1EEEvT1_.kd
    .uniform_work_group_size: 1
    .uses_dynamic_stack: false
    .vgpr_count:     0
    .vgpr_spill_count: 0
    .wavefront_size: 64
  - .agpr_count:     0
    .args:
      - .offset:         0
        .size:           48
        .value_kind:     by_value
    .group_segment_fixed_size: 0
    .kernarg_segment_align: 8
    .kernarg_segment_size: 48
    .language:       OpenCL C
    .language_version:
      - 2
      - 0
    .max_flat_workgroup_size: 256
    .name:           _ZN7rocprim17ROCPRIM_400000_NS6detail17trampoline_kernelINS0_14default_configENS1_20scan_config_selectorIxEEZZNS1_9scan_implILNS1_25lookback_scan_determinismE0ELb1ELb1ES3_N6thrust23THRUST_200600_302600_NS6detail15normal_iteratorINS9_10device_ptrIxEEEENS9_16discard_iteratorINS9_11use_defaultEEExNS9_4plusIvEExEEDaPvRmT3_T4_T5_mT6_P12ihipStream_tbENKUlT_T0_E_clISt17integral_constantIbLb1EESW_IbLb0EEEEDaSS_ST_EUlSS_E0_NS1_11comp_targetILNS1_3genE10ELNS1_11target_archE1201ELNS1_3gpuE5ELNS1_3repE0EEENS1_30default_config_static_selectorELNS0_4arch9wavefront6targetE1EEEvT1_
    .private_segment_fixed_size: 0
    .sgpr_count:     4
    .sgpr_spill_count: 0
    .symbol:         _ZN7rocprim17ROCPRIM_400000_NS6detail17trampoline_kernelINS0_14default_configENS1_20scan_config_selectorIxEEZZNS1_9scan_implILNS1_25lookback_scan_determinismE0ELb1ELb1ES3_N6thrust23THRUST_200600_302600_NS6detail15normal_iteratorINS9_10device_ptrIxEEEENS9_16discard_iteratorINS9_11use_defaultEEExNS9_4plusIvEExEEDaPvRmT3_T4_T5_mT6_P12ihipStream_tbENKUlT_T0_E_clISt17integral_constantIbLb1EESW_IbLb0EEEEDaSS_ST_EUlSS_E0_NS1_11comp_targetILNS1_3genE10ELNS1_11target_archE1201ELNS1_3gpuE5ELNS1_3repE0EEENS1_30default_config_static_selectorELNS0_4arch9wavefront6targetE1EEEvT1_.kd
    .uniform_work_group_size: 1
    .uses_dynamic_stack: false
    .vgpr_count:     0
    .vgpr_spill_count: 0
    .wavefront_size: 64
  - .agpr_count:     0
    .args:
      - .offset:         0
        .size:           48
        .value_kind:     by_value
    .group_segment_fixed_size: 0
    .kernarg_segment_align: 8
    .kernarg_segment_size: 48
    .language:       OpenCL C
    .language_version:
      - 2
      - 0
    .max_flat_workgroup_size: 256
    .name:           _ZN7rocprim17ROCPRIM_400000_NS6detail17trampoline_kernelINS0_14default_configENS1_20scan_config_selectorIxEEZZNS1_9scan_implILNS1_25lookback_scan_determinismE0ELb1ELb1ES3_N6thrust23THRUST_200600_302600_NS6detail15normal_iteratorINS9_10device_ptrIxEEEENS9_16discard_iteratorINS9_11use_defaultEEExNS9_4plusIvEExEEDaPvRmT3_T4_T5_mT6_P12ihipStream_tbENKUlT_T0_E_clISt17integral_constantIbLb1EESW_IbLb0EEEEDaSS_ST_EUlSS_E0_NS1_11comp_targetILNS1_3genE10ELNS1_11target_archE1200ELNS1_3gpuE4ELNS1_3repE0EEENS1_30default_config_static_selectorELNS0_4arch9wavefront6targetE1EEEvT1_
    .private_segment_fixed_size: 0
    .sgpr_count:     4
    .sgpr_spill_count: 0
    .symbol:         _ZN7rocprim17ROCPRIM_400000_NS6detail17trampoline_kernelINS0_14default_configENS1_20scan_config_selectorIxEEZZNS1_9scan_implILNS1_25lookback_scan_determinismE0ELb1ELb1ES3_N6thrust23THRUST_200600_302600_NS6detail15normal_iteratorINS9_10device_ptrIxEEEENS9_16discard_iteratorINS9_11use_defaultEEExNS9_4plusIvEExEEDaPvRmT3_T4_T5_mT6_P12ihipStream_tbENKUlT_T0_E_clISt17integral_constantIbLb1EESW_IbLb0EEEEDaSS_ST_EUlSS_E0_NS1_11comp_targetILNS1_3genE10ELNS1_11target_archE1200ELNS1_3gpuE4ELNS1_3repE0EEENS1_30default_config_static_selectorELNS0_4arch9wavefront6targetE1EEEvT1_.kd
    .uniform_work_group_size: 1
    .uses_dynamic_stack: false
    .vgpr_count:     0
    .vgpr_spill_count: 0
    .wavefront_size: 64
  - .agpr_count:     0
    .args:
      - .offset:         0
        .size:           48
        .value_kind:     by_value
    .group_segment_fixed_size: 0
    .kernarg_segment_align: 8
    .kernarg_segment_size: 48
    .language:       OpenCL C
    .language_version:
      - 2
      - 0
    .max_flat_workgroup_size: 256
    .name:           _ZN7rocprim17ROCPRIM_400000_NS6detail17trampoline_kernelINS0_14default_configENS1_20scan_config_selectorIxEEZZNS1_9scan_implILNS1_25lookback_scan_determinismE0ELb1ELb1ES3_N6thrust23THRUST_200600_302600_NS6detail15normal_iteratorINS9_10device_ptrIxEEEENS9_16discard_iteratorINS9_11use_defaultEEExNS9_4plusIvEExEEDaPvRmT3_T4_T5_mT6_P12ihipStream_tbENKUlT_T0_E_clISt17integral_constantIbLb1EESW_IbLb0EEEEDaSS_ST_EUlSS_E0_NS1_11comp_targetILNS1_3genE9ELNS1_11target_archE1100ELNS1_3gpuE3ELNS1_3repE0EEENS1_30default_config_static_selectorELNS0_4arch9wavefront6targetE1EEEvT1_
    .private_segment_fixed_size: 0
    .sgpr_count:     4
    .sgpr_spill_count: 0
    .symbol:         _ZN7rocprim17ROCPRIM_400000_NS6detail17trampoline_kernelINS0_14default_configENS1_20scan_config_selectorIxEEZZNS1_9scan_implILNS1_25lookback_scan_determinismE0ELb1ELb1ES3_N6thrust23THRUST_200600_302600_NS6detail15normal_iteratorINS9_10device_ptrIxEEEENS9_16discard_iteratorINS9_11use_defaultEEExNS9_4plusIvEExEEDaPvRmT3_T4_T5_mT6_P12ihipStream_tbENKUlT_T0_E_clISt17integral_constantIbLb1EESW_IbLb0EEEEDaSS_ST_EUlSS_E0_NS1_11comp_targetILNS1_3genE9ELNS1_11target_archE1100ELNS1_3gpuE3ELNS1_3repE0EEENS1_30default_config_static_selectorELNS0_4arch9wavefront6targetE1EEEvT1_.kd
    .uniform_work_group_size: 1
    .uses_dynamic_stack: false
    .vgpr_count:     0
    .vgpr_spill_count: 0
    .wavefront_size: 64
  - .agpr_count:     0
    .args:
      - .offset:         0
        .size:           48
        .value_kind:     by_value
    .group_segment_fixed_size: 0
    .kernarg_segment_align: 8
    .kernarg_segment_size: 48
    .language:       OpenCL C
    .language_version:
      - 2
      - 0
    .max_flat_workgroup_size: 256
    .name:           _ZN7rocprim17ROCPRIM_400000_NS6detail17trampoline_kernelINS0_14default_configENS1_20scan_config_selectorIxEEZZNS1_9scan_implILNS1_25lookback_scan_determinismE0ELb1ELb1ES3_N6thrust23THRUST_200600_302600_NS6detail15normal_iteratorINS9_10device_ptrIxEEEENS9_16discard_iteratorINS9_11use_defaultEEExNS9_4plusIvEExEEDaPvRmT3_T4_T5_mT6_P12ihipStream_tbENKUlT_T0_E_clISt17integral_constantIbLb1EESW_IbLb0EEEEDaSS_ST_EUlSS_E0_NS1_11comp_targetILNS1_3genE8ELNS1_11target_archE1030ELNS1_3gpuE2ELNS1_3repE0EEENS1_30default_config_static_selectorELNS0_4arch9wavefront6targetE1EEEvT1_
    .private_segment_fixed_size: 0
    .sgpr_count:     4
    .sgpr_spill_count: 0
    .symbol:         _ZN7rocprim17ROCPRIM_400000_NS6detail17trampoline_kernelINS0_14default_configENS1_20scan_config_selectorIxEEZZNS1_9scan_implILNS1_25lookback_scan_determinismE0ELb1ELb1ES3_N6thrust23THRUST_200600_302600_NS6detail15normal_iteratorINS9_10device_ptrIxEEEENS9_16discard_iteratorINS9_11use_defaultEEExNS9_4plusIvEExEEDaPvRmT3_T4_T5_mT6_P12ihipStream_tbENKUlT_T0_E_clISt17integral_constantIbLb1EESW_IbLb0EEEEDaSS_ST_EUlSS_E0_NS1_11comp_targetILNS1_3genE8ELNS1_11target_archE1030ELNS1_3gpuE2ELNS1_3repE0EEENS1_30default_config_static_selectorELNS0_4arch9wavefront6targetE1EEEvT1_.kd
    .uniform_work_group_size: 1
    .uses_dynamic_stack: false
    .vgpr_count:     0
    .vgpr_spill_count: 0
    .wavefront_size: 64
  - .agpr_count:     0
    .args:
      - .offset:         0
        .size:           112
        .value_kind:     by_value
    .group_segment_fixed_size: 0
    .kernarg_segment_align: 8
    .kernarg_segment_size: 112
    .language:       OpenCL C
    .language_version:
      - 2
      - 0
    .max_flat_workgroup_size: 256
    .name:           _ZN7rocprim17ROCPRIM_400000_NS6detail17trampoline_kernelINS0_14default_configENS1_20scan_config_selectorIxEEZZNS1_9scan_implILNS1_25lookback_scan_determinismE0ELb1ELb1ES3_N6thrust23THRUST_200600_302600_NS6detail15normal_iteratorINS9_10device_ptrIxEEEENS9_16discard_iteratorINS9_11use_defaultEEExNS9_4plusIvEExEEDaPvRmT3_T4_T5_mT6_P12ihipStream_tbENKUlT_T0_E_clISt17integral_constantIbLb0EESW_IbLb1EEEEDaSS_ST_EUlSS_E_NS1_11comp_targetILNS1_3genE0ELNS1_11target_archE4294967295ELNS1_3gpuE0ELNS1_3repE0EEENS1_30default_config_static_selectorELNS0_4arch9wavefront6targetE1EEEvT1_
    .private_segment_fixed_size: 0
    .sgpr_count:     4
    .sgpr_spill_count: 0
    .symbol:         _ZN7rocprim17ROCPRIM_400000_NS6detail17trampoline_kernelINS0_14default_configENS1_20scan_config_selectorIxEEZZNS1_9scan_implILNS1_25lookback_scan_determinismE0ELb1ELb1ES3_N6thrust23THRUST_200600_302600_NS6detail15normal_iteratorINS9_10device_ptrIxEEEENS9_16discard_iteratorINS9_11use_defaultEEExNS9_4plusIvEExEEDaPvRmT3_T4_T5_mT6_P12ihipStream_tbENKUlT_T0_E_clISt17integral_constantIbLb0EESW_IbLb1EEEEDaSS_ST_EUlSS_E_NS1_11comp_targetILNS1_3genE0ELNS1_11target_archE4294967295ELNS1_3gpuE0ELNS1_3repE0EEENS1_30default_config_static_selectorELNS0_4arch9wavefront6targetE1EEEvT1_.kd
    .uniform_work_group_size: 1
    .uses_dynamic_stack: false
    .vgpr_count:     0
    .vgpr_spill_count: 0
    .wavefront_size: 64
  - .agpr_count:     0
    .args:
      - .offset:         0
        .size:           112
        .value_kind:     by_value
    .group_segment_fixed_size: 0
    .kernarg_segment_align: 8
    .kernarg_segment_size: 112
    .language:       OpenCL C
    .language_version:
      - 2
      - 0
    .max_flat_workgroup_size: 256
    .name:           _ZN7rocprim17ROCPRIM_400000_NS6detail17trampoline_kernelINS0_14default_configENS1_20scan_config_selectorIxEEZZNS1_9scan_implILNS1_25lookback_scan_determinismE0ELb1ELb1ES3_N6thrust23THRUST_200600_302600_NS6detail15normal_iteratorINS9_10device_ptrIxEEEENS9_16discard_iteratorINS9_11use_defaultEEExNS9_4plusIvEExEEDaPvRmT3_T4_T5_mT6_P12ihipStream_tbENKUlT_T0_E_clISt17integral_constantIbLb0EESW_IbLb1EEEEDaSS_ST_EUlSS_E_NS1_11comp_targetILNS1_3genE5ELNS1_11target_archE942ELNS1_3gpuE9ELNS1_3repE0EEENS1_30default_config_static_selectorELNS0_4arch9wavefront6targetE1EEEvT1_
    .private_segment_fixed_size: 0
    .sgpr_count:     4
    .sgpr_spill_count: 0
    .symbol:         _ZN7rocprim17ROCPRIM_400000_NS6detail17trampoline_kernelINS0_14default_configENS1_20scan_config_selectorIxEEZZNS1_9scan_implILNS1_25lookback_scan_determinismE0ELb1ELb1ES3_N6thrust23THRUST_200600_302600_NS6detail15normal_iteratorINS9_10device_ptrIxEEEENS9_16discard_iteratorINS9_11use_defaultEEExNS9_4plusIvEExEEDaPvRmT3_T4_T5_mT6_P12ihipStream_tbENKUlT_T0_E_clISt17integral_constantIbLb0EESW_IbLb1EEEEDaSS_ST_EUlSS_E_NS1_11comp_targetILNS1_3genE5ELNS1_11target_archE942ELNS1_3gpuE9ELNS1_3repE0EEENS1_30default_config_static_selectorELNS0_4arch9wavefront6targetE1EEEvT1_.kd
    .uniform_work_group_size: 1
    .uses_dynamic_stack: false
    .vgpr_count:     0
    .vgpr_spill_count: 0
    .wavefront_size: 64
  - .agpr_count:     0
    .args:
      - .offset:         0
        .size:           112
        .value_kind:     by_value
    .group_segment_fixed_size: 7168
    .kernarg_segment_align: 8
    .kernarg_segment_size: 112
    .language:       OpenCL C
    .language_version:
      - 2
      - 0
    .max_flat_workgroup_size: 128
    .name:           _ZN7rocprim17ROCPRIM_400000_NS6detail17trampoline_kernelINS0_14default_configENS1_20scan_config_selectorIxEEZZNS1_9scan_implILNS1_25lookback_scan_determinismE0ELb1ELb1ES3_N6thrust23THRUST_200600_302600_NS6detail15normal_iteratorINS9_10device_ptrIxEEEENS9_16discard_iteratorINS9_11use_defaultEEExNS9_4plusIvEExEEDaPvRmT3_T4_T5_mT6_P12ihipStream_tbENKUlT_T0_E_clISt17integral_constantIbLb0EESW_IbLb1EEEEDaSS_ST_EUlSS_E_NS1_11comp_targetILNS1_3genE4ELNS1_11target_archE910ELNS1_3gpuE8ELNS1_3repE0EEENS1_30default_config_static_selectorELNS0_4arch9wavefront6targetE1EEEvT1_
    .private_segment_fixed_size: 0
    .sgpr_count:     40
    .sgpr_spill_count: 0
    .symbol:         _ZN7rocprim17ROCPRIM_400000_NS6detail17trampoline_kernelINS0_14default_configENS1_20scan_config_selectorIxEEZZNS1_9scan_implILNS1_25lookback_scan_determinismE0ELb1ELb1ES3_N6thrust23THRUST_200600_302600_NS6detail15normal_iteratorINS9_10device_ptrIxEEEENS9_16discard_iteratorINS9_11use_defaultEEExNS9_4plusIvEExEEDaPvRmT3_T4_T5_mT6_P12ihipStream_tbENKUlT_T0_E_clISt17integral_constantIbLb0EESW_IbLb1EEEEDaSS_ST_EUlSS_E_NS1_11comp_targetILNS1_3genE4ELNS1_11target_archE910ELNS1_3gpuE8ELNS1_3repE0EEENS1_30default_config_static_selectorELNS0_4arch9wavefront6targetE1EEEvT1_.kd
    .uniform_work_group_size: 1
    .uses_dynamic_stack: false
    .vgpr_count:     50
    .vgpr_spill_count: 0
    .wavefront_size: 64
  - .agpr_count:     0
    .args:
      - .offset:         0
        .size:           112
        .value_kind:     by_value
    .group_segment_fixed_size: 0
    .kernarg_segment_align: 8
    .kernarg_segment_size: 112
    .language:       OpenCL C
    .language_version:
      - 2
      - 0
    .max_flat_workgroup_size: 256
    .name:           _ZN7rocprim17ROCPRIM_400000_NS6detail17trampoline_kernelINS0_14default_configENS1_20scan_config_selectorIxEEZZNS1_9scan_implILNS1_25lookback_scan_determinismE0ELb1ELb1ES3_N6thrust23THRUST_200600_302600_NS6detail15normal_iteratorINS9_10device_ptrIxEEEENS9_16discard_iteratorINS9_11use_defaultEEExNS9_4plusIvEExEEDaPvRmT3_T4_T5_mT6_P12ihipStream_tbENKUlT_T0_E_clISt17integral_constantIbLb0EESW_IbLb1EEEEDaSS_ST_EUlSS_E_NS1_11comp_targetILNS1_3genE3ELNS1_11target_archE908ELNS1_3gpuE7ELNS1_3repE0EEENS1_30default_config_static_selectorELNS0_4arch9wavefront6targetE1EEEvT1_
    .private_segment_fixed_size: 0
    .sgpr_count:     4
    .sgpr_spill_count: 0
    .symbol:         _ZN7rocprim17ROCPRIM_400000_NS6detail17trampoline_kernelINS0_14default_configENS1_20scan_config_selectorIxEEZZNS1_9scan_implILNS1_25lookback_scan_determinismE0ELb1ELb1ES3_N6thrust23THRUST_200600_302600_NS6detail15normal_iteratorINS9_10device_ptrIxEEEENS9_16discard_iteratorINS9_11use_defaultEEExNS9_4plusIvEExEEDaPvRmT3_T4_T5_mT6_P12ihipStream_tbENKUlT_T0_E_clISt17integral_constantIbLb0EESW_IbLb1EEEEDaSS_ST_EUlSS_E_NS1_11comp_targetILNS1_3genE3ELNS1_11target_archE908ELNS1_3gpuE7ELNS1_3repE0EEENS1_30default_config_static_selectorELNS0_4arch9wavefront6targetE1EEEvT1_.kd
    .uniform_work_group_size: 1
    .uses_dynamic_stack: false
    .vgpr_count:     0
    .vgpr_spill_count: 0
    .wavefront_size: 64
  - .agpr_count:     0
    .args:
      - .offset:         0
        .size:           112
        .value_kind:     by_value
    .group_segment_fixed_size: 0
    .kernarg_segment_align: 8
    .kernarg_segment_size: 112
    .language:       OpenCL C
    .language_version:
      - 2
      - 0
    .max_flat_workgroup_size: 64
    .name:           _ZN7rocprim17ROCPRIM_400000_NS6detail17trampoline_kernelINS0_14default_configENS1_20scan_config_selectorIxEEZZNS1_9scan_implILNS1_25lookback_scan_determinismE0ELb1ELb1ES3_N6thrust23THRUST_200600_302600_NS6detail15normal_iteratorINS9_10device_ptrIxEEEENS9_16discard_iteratorINS9_11use_defaultEEExNS9_4plusIvEExEEDaPvRmT3_T4_T5_mT6_P12ihipStream_tbENKUlT_T0_E_clISt17integral_constantIbLb0EESW_IbLb1EEEEDaSS_ST_EUlSS_E_NS1_11comp_targetILNS1_3genE2ELNS1_11target_archE906ELNS1_3gpuE6ELNS1_3repE0EEENS1_30default_config_static_selectorELNS0_4arch9wavefront6targetE1EEEvT1_
    .private_segment_fixed_size: 0
    .sgpr_count:     4
    .sgpr_spill_count: 0
    .symbol:         _ZN7rocprim17ROCPRIM_400000_NS6detail17trampoline_kernelINS0_14default_configENS1_20scan_config_selectorIxEEZZNS1_9scan_implILNS1_25lookback_scan_determinismE0ELb1ELb1ES3_N6thrust23THRUST_200600_302600_NS6detail15normal_iteratorINS9_10device_ptrIxEEEENS9_16discard_iteratorINS9_11use_defaultEEExNS9_4plusIvEExEEDaPvRmT3_T4_T5_mT6_P12ihipStream_tbENKUlT_T0_E_clISt17integral_constantIbLb0EESW_IbLb1EEEEDaSS_ST_EUlSS_E_NS1_11comp_targetILNS1_3genE2ELNS1_11target_archE906ELNS1_3gpuE6ELNS1_3repE0EEENS1_30default_config_static_selectorELNS0_4arch9wavefront6targetE1EEEvT1_.kd
    .uniform_work_group_size: 1
    .uses_dynamic_stack: false
    .vgpr_count:     0
    .vgpr_spill_count: 0
    .wavefront_size: 64
  - .agpr_count:     0
    .args:
      - .offset:         0
        .size:           112
        .value_kind:     by_value
    .group_segment_fixed_size: 0
    .kernarg_segment_align: 8
    .kernarg_segment_size: 112
    .language:       OpenCL C
    .language_version:
      - 2
      - 0
    .max_flat_workgroup_size: 256
    .name:           _ZN7rocprim17ROCPRIM_400000_NS6detail17trampoline_kernelINS0_14default_configENS1_20scan_config_selectorIxEEZZNS1_9scan_implILNS1_25lookback_scan_determinismE0ELb1ELb1ES3_N6thrust23THRUST_200600_302600_NS6detail15normal_iteratorINS9_10device_ptrIxEEEENS9_16discard_iteratorINS9_11use_defaultEEExNS9_4plusIvEExEEDaPvRmT3_T4_T5_mT6_P12ihipStream_tbENKUlT_T0_E_clISt17integral_constantIbLb0EESW_IbLb1EEEEDaSS_ST_EUlSS_E_NS1_11comp_targetILNS1_3genE10ELNS1_11target_archE1201ELNS1_3gpuE5ELNS1_3repE0EEENS1_30default_config_static_selectorELNS0_4arch9wavefront6targetE1EEEvT1_
    .private_segment_fixed_size: 0
    .sgpr_count:     4
    .sgpr_spill_count: 0
    .symbol:         _ZN7rocprim17ROCPRIM_400000_NS6detail17trampoline_kernelINS0_14default_configENS1_20scan_config_selectorIxEEZZNS1_9scan_implILNS1_25lookback_scan_determinismE0ELb1ELb1ES3_N6thrust23THRUST_200600_302600_NS6detail15normal_iteratorINS9_10device_ptrIxEEEENS9_16discard_iteratorINS9_11use_defaultEEExNS9_4plusIvEExEEDaPvRmT3_T4_T5_mT6_P12ihipStream_tbENKUlT_T0_E_clISt17integral_constantIbLb0EESW_IbLb1EEEEDaSS_ST_EUlSS_E_NS1_11comp_targetILNS1_3genE10ELNS1_11target_archE1201ELNS1_3gpuE5ELNS1_3repE0EEENS1_30default_config_static_selectorELNS0_4arch9wavefront6targetE1EEEvT1_.kd
    .uniform_work_group_size: 1
    .uses_dynamic_stack: false
    .vgpr_count:     0
    .vgpr_spill_count: 0
    .wavefront_size: 64
  - .agpr_count:     0
    .args:
      - .offset:         0
        .size:           112
        .value_kind:     by_value
    .group_segment_fixed_size: 0
    .kernarg_segment_align: 8
    .kernarg_segment_size: 112
    .language:       OpenCL C
    .language_version:
      - 2
      - 0
    .max_flat_workgroup_size: 256
    .name:           _ZN7rocprim17ROCPRIM_400000_NS6detail17trampoline_kernelINS0_14default_configENS1_20scan_config_selectorIxEEZZNS1_9scan_implILNS1_25lookback_scan_determinismE0ELb1ELb1ES3_N6thrust23THRUST_200600_302600_NS6detail15normal_iteratorINS9_10device_ptrIxEEEENS9_16discard_iteratorINS9_11use_defaultEEExNS9_4plusIvEExEEDaPvRmT3_T4_T5_mT6_P12ihipStream_tbENKUlT_T0_E_clISt17integral_constantIbLb0EESW_IbLb1EEEEDaSS_ST_EUlSS_E_NS1_11comp_targetILNS1_3genE10ELNS1_11target_archE1200ELNS1_3gpuE4ELNS1_3repE0EEENS1_30default_config_static_selectorELNS0_4arch9wavefront6targetE1EEEvT1_
    .private_segment_fixed_size: 0
    .sgpr_count:     4
    .sgpr_spill_count: 0
    .symbol:         _ZN7rocprim17ROCPRIM_400000_NS6detail17trampoline_kernelINS0_14default_configENS1_20scan_config_selectorIxEEZZNS1_9scan_implILNS1_25lookback_scan_determinismE0ELb1ELb1ES3_N6thrust23THRUST_200600_302600_NS6detail15normal_iteratorINS9_10device_ptrIxEEEENS9_16discard_iteratorINS9_11use_defaultEEExNS9_4plusIvEExEEDaPvRmT3_T4_T5_mT6_P12ihipStream_tbENKUlT_T0_E_clISt17integral_constantIbLb0EESW_IbLb1EEEEDaSS_ST_EUlSS_E_NS1_11comp_targetILNS1_3genE10ELNS1_11target_archE1200ELNS1_3gpuE4ELNS1_3repE0EEENS1_30default_config_static_selectorELNS0_4arch9wavefront6targetE1EEEvT1_.kd
    .uniform_work_group_size: 1
    .uses_dynamic_stack: false
    .vgpr_count:     0
    .vgpr_spill_count: 0
    .wavefront_size: 64
  - .agpr_count:     0
    .args:
      - .offset:         0
        .size:           112
        .value_kind:     by_value
    .group_segment_fixed_size: 0
    .kernarg_segment_align: 8
    .kernarg_segment_size: 112
    .language:       OpenCL C
    .language_version:
      - 2
      - 0
    .max_flat_workgroup_size: 256
    .name:           _ZN7rocprim17ROCPRIM_400000_NS6detail17trampoline_kernelINS0_14default_configENS1_20scan_config_selectorIxEEZZNS1_9scan_implILNS1_25lookback_scan_determinismE0ELb1ELb1ES3_N6thrust23THRUST_200600_302600_NS6detail15normal_iteratorINS9_10device_ptrIxEEEENS9_16discard_iteratorINS9_11use_defaultEEExNS9_4plusIvEExEEDaPvRmT3_T4_T5_mT6_P12ihipStream_tbENKUlT_T0_E_clISt17integral_constantIbLb0EESW_IbLb1EEEEDaSS_ST_EUlSS_E_NS1_11comp_targetILNS1_3genE9ELNS1_11target_archE1100ELNS1_3gpuE3ELNS1_3repE0EEENS1_30default_config_static_selectorELNS0_4arch9wavefront6targetE1EEEvT1_
    .private_segment_fixed_size: 0
    .sgpr_count:     4
    .sgpr_spill_count: 0
    .symbol:         _ZN7rocprim17ROCPRIM_400000_NS6detail17trampoline_kernelINS0_14default_configENS1_20scan_config_selectorIxEEZZNS1_9scan_implILNS1_25lookback_scan_determinismE0ELb1ELb1ES3_N6thrust23THRUST_200600_302600_NS6detail15normal_iteratorINS9_10device_ptrIxEEEENS9_16discard_iteratorINS9_11use_defaultEEExNS9_4plusIvEExEEDaPvRmT3_T4_T5_mT6_P12ihipStream_tbENKUlT_T0_E_clISt17integral_constantIbLb0EESW_IbLb1EEEEDaSS_ST_EUlSS_E_NS1_11comp_targetILNS1_3genE9ELNS1_11target_archE1100ELNS1_3gpuE3ELNS1_3repE0EEENS1_30default_config_static_selectorELNS0_4arch9wavefront6targetE1EEEvT1_.kd
    .uniform_work_group_size: 1
    .uses_dynamic_stack: false
    .vgpr_count:     0
    .vgpr_spill_count: 0
    .wavefront_size: 64
  - .agpr_count:     0
    .args:
      - .offset:         0
        .size:           112
        .value_kind:     by_value
    .group_segment_fixed_size: 0
    .kernarg_segment_align: 8
    .kernarg_segment_size: 112
    .language:       OpenCL C
    .language_version:
      - 2
      - 0
    .max_flat_workgroup_size: 256
    .name:           _ZN7rocprim17ROCPRIM_400000_NS6detail17trampoline_kernelINS0_14default_configENS1_20scan_config_selectorIxEEZZNS1_9scan_implILNS1_25lookback_scan_determinismE0ELb1ELb1ES3_N6thrust23THRUST_200600_302600_NS6detail15normal_iteratorINS9_10device_ptrIxEEEENS9_16discard_iteratorINS9_11use_defaultEEExNS9_4plusIvEExEEDaPvRmT3_T4_T5_mT6_P12ihipStream_tbENKUlT_T0_E_clISt17integral_constantIbLb0EESW_IbLb1EEEEDaSS_ST_EUlSS_E_NS1_11comp_targetILNS1_3genE8ELNS1_11target_archE1030ELNS1_3gpuE2ELNS1_3repE0EEENS1_30default_config_static_selectorELNS0_4arch9wavefront6targetE1EEEvT1_
    .private_segment_fixed_size: 0
    .sgpr_count:     4
    .sgpr_spill_count: 0
    .symbol:         _ZN7rocprim17ROCPRIM_400000_NS6detail17trampoline_kernelINS0_14default_configENS1_20scan_config_selectorIxEEZZNS1_9scan_implILNS1_25lookback_scan_determinismE0ELb1ELb1ES3_N6thrust23THRUST_200600_302600_NS6detail15normal_iteratorINS9_10device_ptrIxEEEENS9_16discard_iteratorINS9_11use_defaultEEExNS9_4plusIvEExEEDaPvRmT3_T4_T5_mT6_P12ihipStream_tbENKUlT_T0_E_clISt17integral_constantIbLb0EESW_IbLb1EEEEDaSS_ST_EUlSS_E_NS1_11comp_targetILNS1_3genE8ELNS1_11target_archE1030ELNS1_3gpuE2ELNS1_3repE0EEENS1_30default_config_static_selectorELNS0_4arch9wavefront6targetE1EEEvT1_.kd
    .uniform_work_group_size: 1
    .uses_dynamic_stack: false
    .vgpr_count:     0
    .vgpr_spill_count: 0
    .wavefront_size: 64
  - .agpr_count:     0
    .args:
      - .offset:         0
        .size:           48
        .value_kind:     by_value
    .group_segment_fixed_size: 0
    .kernarg_segment_align: 8
    .kernarg_segment_size: 48
    .language:       OpenCL C
    .language_version:
      - 2
      - 0
    .max_flat_workgroup_size: 256
    .name:           _ZN7rocprim17ROCPRIM_400000_NS6detail17trampoline_kernelINS0_14default_configENS1_20scan_config_selectorIxEEZZNS1_9scan_implILNS1_25lookback_scan_determinismE0ELb1ELb1ES3_N6thrust23THRUST_200600_302600_NS6detail15normal_iteratorINS9_10device_ptrIxEEEENS9_16discard_iteratorINS9_11use_defaultEEExNS9_4plusIvEExEEDaPvRmT3_T4_T5_mT6_P12ihipStream_tbENKUlT_T0_E_clISt17integral_constantIbLb0EESW_IbLb1EEEEDaSS_ST_EUlSS_E0_NS1_11comp_targetILNS1_3genE0ELNS1_11target_archE4294967295ELNS1_3gpuE0ELNS1_3repE0EEENS1_30default_config_static_selectorELNS0_4arch9wavefront6targetE1EEEvT1_
    .private_segment_fixed_size: 0
    .sgpr_count:     4
    .sgpr_spill_count: 0
    .symbol:         _ZN7rocprim17ROCPRIM_400000_NS6detail17trampoline_kernelINS0_14default_configENS1_20scan_config_selectorIxEEZZNS1_9scan_implILNS1_25lookback_scan_determinismE0ELb1ELb1ES3_N6thrust23THRUST_200600_302600_NS6detail15normal_iteratorINS9_10device_ptrIxEEEENS9_16discard_iteratorINS9_11use_defaultEEExNS9_4plusIvEExEEDaPvRmT3_T4_T5_mT6_P12ihipStream_tbENKUlT_T0_E_clISt17integral_constantIbLb0EESW_IbLb1EEEEDaSS_ST_EUlSS_E0_NS1_11comp_targetILNS1_3genE0ELNS1_11target_archE4294967295ELNS1_3gpuE0ELNS1_3repE0EEENS1_30default_config_static_selectorELNS0_4arch9wavefront6targetE1EEEvT1_.kd
    .uniform_work_group_size: 1
    .uses_dynamic_stack: false
    .vgpr_count:     0
    .vgpr_spill_count: 0
    .wavefront_size: 64
  - .agpr_count:     0
    .args:
      - .offset:         0
        .size:           48
        .value_kind:     by_value
    .group_segment_fixed_size: 0
    .kernarg_segment_align: 8
    .kernarg_segment_size: 48
    .language:       OpenCL C
    .language_version:
      - 2
      - 0
    .max_flat_workgroup_size: 256
    .name:           _ZN7rocprim17ROCPRIM_400000_NS6detail17trampoline_kernelINS0_14default_configENS1_20scan_config_selectorIxEEZZNS1_9scan_implILNS1_25lookback_scan_determinismE0ELb1ELb1ES3_N6thrust23THRUST_200600_302600_NS6detail15normal_iteratorINS9_10device_ptrIxEEEENS9_16discard_iteratorINS9_11use_defaultEEExNS9_4plusIvEExEEDaPvRmT3_T4_T5_mT6_P12ihipStream_tbENKUlT_T0_E_clISt17integral_constantIbLb0EESW_IbLb1EEEEDaSS_ST_EUlSS_E0_NS1_11comp_targetILNS1_3genE5ELNS1_11target_archE942ELNS1_3gpuE9ELNS1_3repE0EEENS1_30default_config_static_selectorELNS0_4arch9wavefront6targetE1EEEvT1_
    .private_segment_fixed_size: 0
    .sgpr_count:     4
    .sgpr_spill_count: 0
    .symbol:         _ZN7rocprim17ROCPRIM_400000_NS6detail17trampoline_kernelINS0_14default_configENS1_20scan_config_selectorIxEEZZNS1_9scan_implILNS1_25lookback_scan_determinismE0ELb1ELb1ES3_N6thrust23THRUST_200600_302600_NS6detail15normal_iteratorINS9_10device_ptrIxEEEENS9_16discard_iteratorINS9_11use_defaultEEExNS9_4plusIvEExEEDaPvRmT3_T4_T5_mT6_P12ihipStream_tbENKUlT_T0_E_clISt17integral_constantIbLb0EESW_IbLb1EEEEDaSS_ST_EUlSS_E0_NS1_11comp_targetILNS1_3genE5ELNS1_11target_archE942ELNS1_3gpuE9ELNS1_3repE0EEENS1_30default_config_static_selectorELNS0_4arch9wavefront6targetE1EEEvT1_.kd
    .uniform_work_group_size: 1
    .uses_dynamic_stack: false
    .vgpr_count:     0
    .vgpr_spill_count: 0
    .wavefront_size: 64
  - .agpr_count:     0
    .args:
      - .offset:         0
        .size:           48
        .value_kind:     by_value
    .group_segment_fixed_size: 7168
    .kernarg_segment_align: 8
    .kernarg_segment_size: 48
    .language:       OpenCL C
    .language_version:
      - 2
      - 0
    .max_flat_workgroup_size: 128
    .name:           _ZN7rocprim17ROCPRIM_400000_NS6detail17trampoline_kernelINS0_14default_configENS1_20scan_config_selectorIxEEZZNS1_9scan_implILNS1_25lookback_scan_determinismE0ELb1ELb1ES3_N6thrust23THRUST_200600_302600_NS6detail15normal_iteratorINS9_10device_ptrIxEEEENS9_16discard_iteratorINS9_11use_defaultEEExNS9_4plusIvEExEEDaPvRmT3_T4_T5_mT6_P12ihipStream_tbENKUlT_T0_E_clISt17integral_constantIbLb0EESW_IbLb1EEEEDaSS_ST_EUlSS_E0_NS1_11comp_targetILNS1_3genE4ELNS1_11target_archE910ELNS1_3gpuE8ELNS1_3repE0EEENS1_30default_config_static_selectorELNS0_4arch9wavefront6targetE1EEEvT1_
    .private_segment_fixed_size: 0
    .sgpr_count:     14
    .sgpr_spill_count: 0
    .symbol:         _ZN7rocprim17ROCPRIM_400000_NS6detail17trampoline_kernelINS0_14default_configENS1_20scan_config_selectorIxEEZZNS1_9scan_implILNS1_25lookback_scan_determinismE0ELb1ELb1ES3_N6thrust23THRUST_200600_302600_NS6detail15normal_iteratorINS9_10device_ptrIxEEEENS9_16discard_iteratorINS9_11use_defaultEEExNS9_4plusIvEExEEDaPvRmT3_T4_T5_mT6_P12ihipStream_tbENKUlT_T0_E_clISt17integral_constantIbLb0EESW_IbLb1EEEEDaSS_ST_EUlSS_E0_NS1_11comp_targetILNS1_3genE4ELNS1_11target_archE910ELNS1_3gpuE8ELNS1_3repE0EEENS1_30default_config_static_selectorELNS0_4arch9wavefront6targetE1EEEvT1_.kd
    .uniform_work_group_size: 1
    .uses_dynamic_stack: false
    .vgpr_count:     29
    .vgpr_spill_count: 0
    .wavefront_size: 64
  - .agpr_count:     0
    .args:
      - .offset:         0
        .size:           48
        .value_kind:     by_value
    .group_segment_fixed_size: 0
    .kernarg_segment_align: 8
    .kernarg_segment_size: 48
    .language:       OpenCL C
    .language_version:
      - 2
      - 0
    .max_flat_workgroup_size: 256
    .name:           _ZN7rocprim17ROCPRIM_400000_NS6detail17trampoline_kernelINS0_14default_configENS1_20scan_config_selectorIxEEZZNS1_9scan_implILNS1_25lookback_scan_determinismE0ELb1ELb1ES3_N6thrust23THRUST_200600_302600_NS6detail15normal_iteratorINS9_10device_ptrIxEEEENS9_16discard_iteratorINS9_11use_defaultEEExNS9_4plusIvEExEEDaPvRmT3_T4_T5_mT6_P12ihipStream_tbENKUlT_T0_E_clISt17integral_constantIbLb0EESW_IbLb1EEEEDaSS_ST_EUlSS_E0_NS1_11comp_targetILNS1_3genE3ELNS1_11target_archE908ELNS1_3gpuE7ELNS1_3repE0EEENS1_30default_config_static_selectorELNS0_4arch9wavefront6targetE1EEEvT1_
    .private_segment_fixed_size: 0
    .sgpr_count:     4
    .sgpr_spill_count: 0
    .symbol:         _ZN7rocprim17ROCPRIM_400000_NS6detail17trampoline_kernelINS0_14default_configENS1_20scan_config_selectorIxEEZZNS1_9scan_implILNS1_25lookback_scan_determinismE0ELb1ELb1ES3_N6thrust23THRUST_200600_302600_NS6detail15normal_iteratorINS9_10device_ptrIxEEEENS9_16discard_iteratorINS9_11use_defaultEEExNS9_4plusIvEExEEDaPvRmT3_T4_T5_mT6_P12ihipStream_tbENKUlT_T0_E_clISt17integral_constantIbLb0EESW_IbLb1EEEEDaSS_ST_EUlSS_E0_NS1_11comp_targetILNS1_3genE3ELNS1_11target_archE908ELNS1_3gpuE7ELNS1_3repE0EEENS1_30default_config_static_selectorELNS0_4arch9wavefront6targetE1EEEvT1_.kd
    .uniform_work_group_size: 1
    .uses_dynamic_stack: false
    .vgpr_count:     0
    .vgpr_spill_count: 0
    .wavefront_size: 64
  - .agpr_count:     0
    .args:
      - .offset:         0
        .size:           48
        .value_kind:     by_value
    .group_segment_fixed_size: 0
    .kernarg_segment_align: 8
    .kernarg_segment_size: 48
    .language:       OpenCL C
    .language_version:
      - 2
      - 0
    .max_flat_workgroup_size: 64
    .name:           _ZN7rocprim17ROCPRIM_400000_NS6detail17trampoline_kernelINS0_14default_configENS1_20scan_config_selectorIxEEZZNS1_9scan_implILNS1_25lookback_scan_determinismE0ELb1ELb1ES3_N6thrust23THRUST_200600_302600_NS6detail15normal_iteratorINS9_10device_ptrIxEEEENS9_16discard_iteratorINS9_11use_defaultEEExNS9_4plusIvEExEEDaPvRmT3_T4_T5_mT6_P12ihipStream_tbENKUlT_T0_E_clISt17integral_constantIbLb0EESW_IbLb1EEEEDaSS_ST_EUlSS_E0_NS1_11comp_targetILNS1_3genE2ELNS1_11target_archE906ELNS1_3gpuE6ELNS1_3repE0EEENS1_30default_config_static_selectorELNS0_4arch9wavefront6targetE1EEEvT1_
    .private_segment_fixed_size: 0
    .sgpr_count:     4
    .sgpr_spill_count: 0
    .symbol:         _ZN7rocprim17ROCPRIM_400000_NS6detail17trampoline_kernelINS0_14default_configENS1_20scan_config_selectorIxEEZZNS1_9scan_implILNS1_25lookback_scan_determinismE0ELb1ELb1ES3_N6thrust23THRUST_200600_302600_NS6detail15normal_iteratorINS9_10device_ptrIxEEEENS9_16discard_iteratorINS9_11use_defaultEEExNS9_4plusIvEExEEDaPvRmT3_T4_T5_mT6_P12ihipStream_tbENKUlT_T0_E_clISt17integral_constantIbLb0EESW_IbLb1EEEEDaSS_ST_EUlSS_E0_NS1_11comp_targetILNS1_3genE2ELNS1_11target_archE906ELNS1_3gpuE6ELNS1_3repE0EEENS1_30default_config_static_selectorELNS0_4arch9wavefront6targetE1EEEvT1_.kd
    .uniform_work_group_size: 1
    .uses_dynamic_stack: false
    .vgpr_count:     0
    .vgpr_spill_count: 0
    .wavefront_size: 64
  - .agpr_count:     0
    .args:
      - .offset:         0
        .size:           48
        .value_kind:     by_value
    .group_segment_fixed_size: 0
    .kernarg_segment_align: 8
    .kernarg_segment_size: 48
    .language:       OpenCL C
    .language_version:
      - 2
      - 0
    .max_flat_workgroup_size: 256
    .name:           _ZN7rocprim17ROCPRIM_400000_NS6detail17trampoline_kernelINS0_14default_configENS1_20scan_config_selectorIxEEZZNS1_9scan_implILNS1_25lookback_scan_determinismE0ELb1ELb1ES3_N6thrust23THRUST_200600_302600_NS6detail15normal_iteratorINS9_10device_ptrIxEEEENS9_16discard_iteratorINS9_11use_defaultEEExNS9_4plusIvEExEEDaPvRmT3_T4_T5_mT6_P12ihipStream_tbENKUlT_T0_E_clISt17integral_constantIbLb0EESW_IbLb1EEEEDaSS_ST_EUlSS_E0_NS1_11comp_targetILNS1_3genE10ELNS1_11target_archE1201ELNS1_3gpuE5ELNS1_3repE0EEENS1_30default_config_static_selectorELNS0_4arch9wavefront6targetE1EEEvT1_
    .private_segment_fixed_size: 0
    .sgpr_count:     4
    .sgpr_spill_count: 0
    .symbol:         _ZN7rocprim17ROCPRIM_400000_NS6detail17trampoline_kernelINS0_14default_configENS1_20scan_config_selectorIxEEZZNS1_9scan_implILNS1_25lookback_scan_determinismE0ELb1ELb1ES3_N6thrust23THRUST_200600_302600_NS6detail15normal_iteratorINS9_10device_ptrIxEEEENS9_16discard_iteratorINS9_11use_defaultEEExNS9_4plusIvEExEEDaPvRmT3_T4_T5_mT6_P12ihipStream_tbENKUlT_T0_E_clISt17integral_constantIbLb0EESW_IbLb1EEEEDaSS_ST_EUlSS_E0_NS1_11comp_targetILNS1_3genE10ELNS1_11target_archE1201ELNS1_3gpuE5ELNS1_3repE0EEENS1_30default_config_static_selectorELNS0_4arch9wavefront6targetE1EEEvT1_.kd
    .uniform_work_group_size: 1
    .uses_dynamic_stack: false
    .vgpr_count:     0
    .vgpr_spill_count: 0
    .wavefront_size: 64
  - .agpr_count:     0
    .args:
      - .offset:         0
        .size:           48
        .value_kind:     by_value
    .group_segment_fixed_size: 0
    .kernarg_segment_align: 8
    .kernarg_segment_size: 48
    .language:       OpenCL C
    .language_version:
      - 2
      - 0
    .max_flat_workgroup_size: 256
    .name:           _ZN7rocprim17ROCPRIM_400000_NS6detail17trampoline_kernelINS0_14default_configENS1_20scan_config_selectorIxEEZZNS1_9scan_implILNS1_25lookback_scan_determinismE0ELb1ELb1ES3_N6thrust23THRUST_200600_302600_NS6detail15normal_iteratorINS9_10device_ptrIxEEEENS9_16discard_iteratorINS9_11use_defaultEEExNS9_4plusIvEExEEDaPvRmT3_T4_T5_mT6_P12ihipStream_tbENKUlT_T0_E_clISt17integral_constantIbLb0EESW_IbLb1EEEEDaSS_ST_EUlSS_E0_NS1_11comp_targetILNS1_3genE10ELNS1_11target_archE1200ELNS1_3gpuE4ELNS1_3repE0EEENS1_30default_config_static_selectorELNS0_4arch9wavefront6targetE1EEEvT1_
    .private_segment_fixed_size: 0
    .sgpr_count:     4
    .sgpr_spill_count: 0
    .symbol:         _ZN7rocprim17ROCPRIM_400000_NS6detail17trampoline_kernelINS0_14default_configENS1_20scan_config_selectorIxEEZZNS1_9scan_implILNS1_25lookback_scan_determinismE0ELb1ELb1ES3_N6thrust23THRUST_200600_302600_NS6detail15normal_iteratorINS9_10device_ptrIxEEEENS9_16discard_iteratorINS9_11use_defaultEEExNS9_4plusIvEExEEDaPvRmT3_T4_T5_mT6_P12ihipStream_tbENKUlT_T0_E_clISt17integral_constantIbLb0EESW_IbLb1EEEEDaSS_ST_EUlSS_E0_NS1_11comp_targetILNS1_3genE10ELNS1_11target_archE1200ELNS1_3gpuE4ELNS1_3repE0EEENS1_30default_config_static_selectorELNS0_4arch9wavefront6targetE1EEEvT1_.kd
    .uniform_work_group_size: 1
    .uses_dynamic_stack: false
    .vgpr_count:     0
    .vgpr_spill_count: 0
    .wavefront_size: 64
  - .agpr_count:     0
    .args:
      - .offset:         0
        .size:           48
        .value_kind:     by_value
    .group_segment_fixed_size: 0
    .kernarg_segment_align: 8
    .kernarg_segment_size: 48
    .language:       OpenCL C
    .language_version:
      - 2
      - 0
    .max_flat_workgroup_size: 256
    .name:           _ZN7rocprim17ROCPRIM_400000_NS6detail17trampoline_kernelINS0_14default_configENS1_20scan_config_selectorIxEEZZNS1_9scan_implILNS1_25lookback_scan_determinismE0ELb1ELb1ES3_N6thrust23THRUST_200600_302600_NS6detail15normal_iteratorINS9_10device_ptrIxEEEENS9_16discard_iteratorINS9_11use_defaultEEExNS9_4plusIvEExEEDaPvRmT3_T4_T5_mT6_P12ihipStream_tbENKUlT_T0_E_clISt17integral_constantIbLb0EESW_IbLb1EEEEDaSS_ST_EUlSS_E0_NS1_11comp_targetILNS1_3genE9ELNS1_11target_archE1100ELNS1_3gpuE3ELNS1_3repE0EEENS1_30default_config_static_selectorELNS0_4arch9wavefront6targetE1EEEvT1_
    .private_segment_fixed_size: 0
    .sgpr_count:     4
    .sgpr_spill_count: 0
    .symbol:         _ZN7rocprim17ROCPRIM_400000_NS6detail17trampoline_kernelINS0_14default_configENS1_20scan_config_selectorIxEEZZNS1_9scan_implILNS1_25lookback_scan_determinismE0ELb1ELb1ES3_N6thrust23THRUST_200600_302600_NS6detail15normal_iteratorINS9_10device_ptrIxEEEENS9_16discard_iteratorINS9_11use_defaultEEExNS9_4plusIvEExEEDaPvRmT3_T4_T5_mT6_P12ihipStream_tbENKUlT_T0_E_clISt17integral_constantIbLb0EESW_IbLb1EEEEDaSS_ST_EUlSS_E0_NS1_11comp_targetILNS1_3genE9ELNS1_11target_archE1100ELNS1_3gpuE3ELNS1_3repE0EEENS1_30default_config_static_selectorELNS0_4arch9wavefront6targetE1EEEvT1_.kd
    .uniform_work_group_size: 1
    .uses_dynamic_stack: false
    .vgpr_count:     0
    .vgpr_spill_count: 0
    .wavefront_size: 64
  - .agpr_count:     0
    .args:
      - .offset:         0
        .size:           48
        .value_kind:     by_value
    .group_segment_fixed_size: 0
    .kernarg_segment_align: 8
    .kernarg_segment_size: 48
    .language:       OpenCL C
    .language_version:
      - 2
      - 0
    .max_flat_workgroup_size: 256
    .name:           _ZN7rocprim17ROCPRIM_400000_NS6detail17trampoline_kernelINS0_14default_configENS1_20scan_config_selectorIxEEZZNS1_9scan_implILNS1_25lookback_scan_determinismE0ELb1ELb1ES3_N6thrust23THRUST_200600_302600_NS6detail15normal_iteratorINS9_10device_ptrIxEEEENS9_16discard_iteratorINS9_11use_defaultEEExNS9_4plusIvEExEEDaPvRmT3_T4_T5_mT6_P12ihipStream_tbENKUlT_T0_E_clISt17integral_constantIbLb0EESW_IbLb1EEEEDaSS_ST_EUlSS_E0_NS1_11comp_targetILNS1_3genE8ELNS1_11target_archE1030ELNS1_3gpuE2ELNS1_3repE0EEENS1_30default_config_static_selectorELNS0_4arch9wavefront6targetE1EEEvT1_
    .private_segment_fixed_size: 0
    .sgpr_count:     4
    .sgpr_spill_count: 0
    .symbol:         _ZN7rocprim17ROCPRIM_400000_NS6detail17trampoline_kernelINS0_14default_configENS1_20scan_config_selectorIxEEZZNS1_9scan_implILNS1_25lookback_scan_determinismE0ELb1ELb1ES3_N6thrust23THRUST_200600_302600_NS6detail15normal_iteratorINS9_10device_ptrIxEEEENS9_16discard_iteratorINS9_11use_defaultEEExNS9_4plusIvEExEEDaPvRmT3_T4_T5_mT6_P12ihipStream_tbENKUlT_T0_E_clISt17integral_constantIbLb0EESW_IbLb1EEEEDaSS_ST_EUlSS_E0_NS1_11comp_targetILNS1_3genE8ELNS1_11target_archE1030ELNS1_3gpuE2ELNS1_3repE0EEENS1_30default_config_static_selectorELNS0_4arch9wavefront6targetE1EEEvT1_.kd
    .uniform_work_group_size: 1
    .uses_dynamic_stack: false
    .vgpr_count:     0
    .vgpr_spill_count: 0
    .wavefront_size: 64
  - .agpr_count:     0
    .args:
      - .offset:         0
        .size:           104
        .value_kind:     by_value
    .group_segment_fixed_size: 0
    .kernarg_segment_align: 8
    .kernarg_segment_size: 104
    .language:       OpenCL C
    .language_version:
      - 2
      - 0
    .max_flat_workgroup_size: 256
    .name:           _ZN7rocprim17ROCPRIM_400000_NS6detail17trampoline_kernelINS0_14default_configENS1_20scan_config_selectorIiEEZZNS1_9scan_implILNS1_25lookback_scan_determinismE0ELb0ELb0ES3_N6thrust23THRUST_200600_302600_NS6detail15normal_iteratorINS9_10device_ptrIiEEEENS9_16discard_iteratorINS9_11use_defaultEEEiNS9_4plusIvEEiEEDaPvRmT3_T4_T5_mT6_P12ihipStream_tbENKUlT_T0_E_clISt17integral_constantIbLb0EESX_EEDaSS_ST_EUlSS_E_NS1_11comp_targetILNS1_3genE0ELNS1_11target_archE4294967295ELNS1_3gpuE0ELNS1_3repE0EEENS1_30default_config_static_selectorELNS0_4arch9wavefront6targetE1EEEvT1_
    .private_segment_fixed_size: 0
    .sgpr_count:     4
    .sgpr_spill_count: 0
    .symbol:         _ZN7rocprim17ROCPRIM_400000_NS6detail17trampoline_kernelINS0_14default_configENS1_20scan_config_selectorIiEEZZNS1_9scan_implILNS1_25lookback_scan_determinismE0ELb0ELb0ES3_N6thrust23THRUST_200600_302600_NS6detail15normal_iteratorINS9_10device_ptrIiEEEENS9_16discard_iteratorINS9_11use_defaultEEEiNS9_4plusIvEEiEEDaPvRmT3_T4_T5_mT6_P12ihipStream_tbENKUlT_T0_E_clISt17integral_constantIbLb0EESX_EEDaSS_ST_EUlSS_E_NS1_11comp_targetILNS1_3genE0ELNS1_11target_archE4294967295ELNS1_3gpuE0ELNS1_3repE0EEENS1_30default_config_static_selectorELNS0_4arch9wavefront6targetE1EEEvT1_.kd
    .uniform_work_group_size: 1
    .uses_dynamic_stack: false
    .vgpr_count:     0
    .vgpr_spill_count: 0
    .wavefront_size: 64
  - .agpr_count:     0
    .args:
      - .offset:         0
        .size:           104
        .value_kind:     by_value
    .group_segment_fixed_size: 0
    .kernarg_segment_align: 8
    .kernarg_segment_size: 104
    .language:       OpenCL C
    .language_version:
      - 2
      - 0
    .max_flat_workgroup_size: 256
    .name:           _ZN7rocprim17ROCPRIM_400000_NS6detail17trampoline_kernelINS0_14default_configENS1_20scan_config_selectorIiEEZZNS1_9scan_implILNS1_25lookback_scan_determinismE0ELb0ELb0ES3_N6thrust23THRUST_200600_302600_NS6detail15normal_iteratorINS9_10device_ptrIiEEEENS9_16discard_iteratorINS9_11use_defaultEEEiNS9_4plusIvEEiEEDaPvRmT3_T4_T5_mT6_P12ihipStream_tbENKUlT_T0_E_clISt17integral_constantIbLb0EESX_EEDaSS_ST_EUlSS_E_NS1_11comp_targetILNS1_3genE5ELNS1_11target_archE942ELNS1_3gpuE9ELNS1_3repE0EEENS1_30default_config_static_selectorELNS0_4arch9wavefront6targetE1EEEvT1_
    .private_segment_fixed_size: 0
    .sgpr_count:     4
    .sgpr_spill_count: 0
    .symbol:         _ZN7rocprim17ROCPRIM_400000_NS6detail17trampoline_kernelINS0_14default_configENS1_20scan_config_selectorIiEEZZNS1_9scan_implILNS1_25lookback_scan_determinismE0ELb0ELb0ES3_N6thrust23THRUST_200600_302600_NS6detail15normal_iteratorINS9_10device_ptrIiEEEENS9_16discard_iteratorINS9_11use_defaultEEEiNS9_4plusIvEEiEEDaPvRmT3_T4_T5_mT6_P12ihipStream_tbENKUlT_T0_E_clISt17integral_constantIbLb0EESX_EEDaSS_ST_EUlSS_E_NS1_11comp_targetILNS1_3genE5ELNS1_11target_archE942ELNS1_3gpuE9ELNS1_3repE0EEENS1_30default_config_static_selectorELNS0_4arch9wavefront6targetE1EEEvT1_.kd
    .uniform_work_group_size: 1
    .uses_dynamic_stack: false
    .vgpr_count:     0
    .vgpr_spill_count: 0
    .wavefront_size: 64
  - .agpr_count:     0
    .args:
      - .offset:         0
        .size:           104
        .value_kind:     by_value
    .group_segment_fixed_size: 5120
    .kernarg_segment_align: 8
    .kernarg_segment_size: 104
    .language:       OpenCL C
    .language_version:
      - 2
      - 0
    .max_flat_workgroup_size: 128
    .name:           _ZN7rocprim17ROCPRIM_400000_NS6detail17trampoline_kernelINS0_14default_configENS1_20scan_config_selectorIiEEZZNS1_9scan_implILNS1_25lookback_scan_determinismE0ELb0ELb0ES3_N6thrust23THRUST_200600_302600_NS6detail15normal_iteratorINS9_10device_ptrIiEEEENS9_16discard_iteratorINS9_11use_defaultEEEiNS9_4plusIvEEiEEDaPvRmT3_T4_T5_mT6_P12ihipStream_tbENKUlT_T0_E_clISt17integral_constantIbLb0EESX_EEDaSS_ST_EUlSS_E_NS1_11comp_targetILNS1_3genE4ELNS1_11target_archE910ELNS1_3gpuE8ELNS1_3repE0EEENS1_30default_config_static_selectorELNS0_4arch9wavefront6targetE1EEEvT1_
    .private_segment_fixed_size: 0
    .sgpr_count:     26
    .sgpr_spill_count: 0
    .symbol:         _ZN7rocprim17ROCPRIM_400000_NS6detail17trampoline_kernelINS0_14default_configENS1_20scan_config_selectorIiEEZZNS1_9scan_implILNS1_25lookback_scan_determinismE0ELb0ELb0ES3_N6thrust23THRUST_200600_302600_NS6detail15normal_iteratorINS9_10device_ptrIiEEEENS9_16discard_iteratorINS9_11use_defaultEEEiNS9_4plusIvEEiEEDaPvRmT3_T4_T5_mT6_P12ihipStream_tbENKUlT_T0_E_clISt17integral_constantIbLb0EESX_EEDaSS_ST_EUlSS_E_NS1_11comp_targetILNS1_3genE4ELNS1_11target_archE910ELNS1_3gpuE8ELNS1_3repE0EEENS1_30default_config_static_selectorELNS0_4arch9wavefront6targetE1EEEvT1_.kd
    .uniform_work_group_size: 1
    .uses_dynamic_stack: false
    .vgpr_count:     39
    .vgpr_spill_count: 0
    .wavefront_size: 64
  - .agpr_count:     0
    .args:
      - .offset:         0
        .size:           104
        .value_kind:     by_value
    .group_segment_fixed_size: 0
    .kernarg_segment_align: 8
    .kernarg_segment_size: 104
    .language:       OpenCL C
    .language_version:
      - 2
      - 0
    .max_flat_workgroup_size: 256
    .name:           _ZN7rocprim17ROCPRIM_400000_NS6detail17trampoline_kernelINS0_14default_configENS1_20scan_config_selectorIiEEZZNS1_9scan_implILNS1_25lookback_scan_determinismE0ELb0ELb0ES3_N6thrust23THRUST_200600_302600_NS6detail15normal_iteratorINS9_10device_ptrIiEEEENS9_16discard_iteratorINS9_11use_defaultEEEiNS9_4plusIvEEiEEDaPvRmT3_T4_T5_mT6_P12ihipStream_tbENKUlT_T0_E_clISt17integral_constantIbLb0EESX_EEDaSS_ST_EUlSS_E_NS1_11comp_targetILNS1_3genE3ELNS1_11target_archE908ELNS1_3gpuE7ELNS1_3repE0EEENS1_30default_config_static_selectorELNS0_4arch9wavefront6targetE1EEEvT1_
    .private_segment_fixed_size: 0
    .sgpr_count:     4
    .sgpr_spill_count: 0
    .symbol:         _ZN7rocprim17ROCPRIM_400000_NS6detail17trampoline_kernelINS0_14default_configENS1_20scan_config_selectorIiEEZZNS1_9scan_implILNS1_25lookback_scan_determinismE0ELb0ELb0ES3_N6thrust23THRUST_200600_302600_NS6detail15normal_iteratorINS9_10device_ptrIiEEEENS9_16discard_iteratorINS9_11use_defaultEEEiNS9_4plusIvEEiEEDaPvRmT3_T4_T5_mT6_P12ihipStream_tbENKUlT_T0_E_clISt17integral_constantIbLb0EESX_EEDaSS_ST_EUlSS_E_NS1_11comp_targetILNS1_3genE3ELNS1_11target_archE908ELNS1_3gpuE7ELNS1_3repE0EEENS1_30default_config_static_selectorELNS0_4arch9wavefront6targetE1EEEvT1_.kd
    .uniform_work_group_size: 1
    .uses_dynamic_stack: false
    .vgpr_count:     0
    .vgpr_spill_count: 0
    .wavefront_size: 64
  - .agpr_count:     0
    .args:
      - .offset:         0
        .size:           104
        .value_kind:     by_value
    .group_segment_fixed_size: 0
    .kernarg_segment_align: 8
    .kernarg_segment_size: 104
    .language:       OpenCL C
    .language_version:
      - 2
      - 0
    .max_flat_workgroup_size: 256
    .name:           _ZN7rocprim17ROCPRIM_400000_NS6detail17trampoline_kernelINS0_14default_configENS1_20scan_config_selectorIiEEZZNS1_9scan_implILNS1_25lookback_scan_determinismE0ELb0ELb0ES3_N6thrust23THRUST_200600_302600_NS6detail15normal_iteratorINS9_10device_ptrIiEEEENS9_16discard_iteratorINS9_11use_defaultEEEiNS9_4plusIvEEiEEDaPvRmT3_T4_T5_mT6_P12ihipStream_tbENKUlT_T0_E_clISt17integral_constantIbLb0EESX_EEDaSS_ST_EUlSS_E_NS1_11comp_targetILNS1_3genE2ELNS1_11target_archE906ELNS1_3gpuE6ELNS1_3repE0EEENS1_30default_config_static_selectorELNS0_4arch9wavefront6targetE1EEEvT1_
    .private_segment_fixed_size: 0
    .sgpr_count:     4
    .sgpr_spill_count: 0
    .symbol:         _ZN7rocprim17ROCPRIM_400000_NS6detail17trampoline_kernelINS0_14default_configENS1_20scan_config_selectorIiEEZZNS1_9scan_implILNS1_25lookback_scan_determinismE0ELb0ELb0ES3_N6thrust23THRUST_200600_302600_NS6detail15normal_iteratorINS9_10device_ptrIiEEEENS9_16discard_iteratorINS9_11use_defaultEEEiNS9_4plusIvEEiEEDaPvRmT3_T4_T5_mT6_P12ihipStream_tbENKUlT_T0_E_clISt17integral_constantIbLb0EESX_EEDaSS_ST_EUlSS_E_NS1_11comp_targetILNS1_3genE2ELNS1_11target_archE906ELNS1_3gpuE6ELNS1_3repE0EEENS1_30default_config_static_selectorELNS0_4arch9wavefront6targetE1EEEvT1_.kd
    .uniform_work_group_size: 1
    .uses_dynamic_stack: false
    .vgpr_count:     0
    .vgpr_spill_count: 0
    .wavefront_size: 64
  - .agpr_count:     0
    .args:
      - .offset:         0
        .size:           104
        .value_kind:     by_value
    .group_segment_fixed_size: 0
    .kernarg_segment_align: 8
    .kernarg_segment_size: 104
    .language:       OpenCL C
    .language_version:
      - 2
      - 0
    .max_flat_workgroup_size: 256
    .name:           _ZN7rocprim17ROCPRIM_400000_NS6detail17trampoline_kernelINS0_14default_configENS1_20scan_config_selectorIiEEZZNS1_9scan_implILNS1_25lookback_scan_determinismE0ELb0ELb0ES3_N6thrust23THRUST_200600_302600_NS6detail15normal_iteratorINS9_10device_ptrIiEEEENS9_16discard_iteratorINS9_11use_defaultEEEiNS9_4plusIvEEiEEDaPvRmT3_T4_T5_mT6_P12ihipStream_tbENKUlT_T0_E_clISt17integral_constantIbLb0EESX_EEDaSS_ST_EUlSS_E_NS1_11comp_targetILNS1_3genE10ELNS1_11target_archE1201ELNS1_3gpuE5ELNS1_3repE0EEENS1_30default_config_static_selectorELNS0_4arch9wavefront6targetE1EEEvT1_
    .private_segment_fixed_size: 0
    .sgpr_count:     4
    .sgpr_spill_count: 0
    .symbol:         _ZN7rocprim17ROCPRIM_400000_NS6detail17trampoline_kernelINS0_14default_configENS1_20scan_config_selectorIiEEZZNS1_9scan_implILNS1_25lookback_scan_determinismE0ELb0ELb0ES3_N6thrust23THRUST_200600_302600_NS6detail15normal_iteratorINS9_10device_ptrIiEEEENS9_16discard_iteratorINS9_11use_defaultEEEiNS9_4plusIvEEiEEDaPvRmT3_T4_T5_mT6_P12ihipStream_tbENKUlT_T0_E_clISt17integral_constantIbLb0EESX_EEDaSS_ST_EUlSS_E_NS1_11comp_targetILNS1_3genE10ELNS1_11target_archE1201ELNS1_3gpuE5ELNS1_3repE0EEENS1_30default_config_static_selectorELNS0_4arch9wavefront6targetE1EEEvT1_.kd
    .uniform_work_group_size: 1
    .uses_dynamic_stack: false
    .vgpr_count:     0
    .vgpr_spill_count: 0
    .wavefront_size: 64
  - .agpr_count:     0
    .args:
      - .offset:         0
        .size:           104
        .value_kind:     by_value
    .group_segment_fixed_size: 0
    .kernarg_segment_align: 8
    .kernarg_segment_size: 104
    .language:       OpenCL C
    .language_version:
      - 2
      - 0
    .max_flat_workgroup_size: 256
    .name:           _ZN7rocprim17ROCPRIM_400000_NS6detail17trampoline_kernelINS0_14default_configENS1_20scan_config_selectorIiEEZZNS1_9scan_implILNS1_25lookback_scan_determinismE0ELb0ELb0ES3_N6thrust23THRUST_200600_302600_NS6detail15normal_iteratorINS9_10device_ptrIiEEEENS9_16discard_iteratorINS9_11use_defaultEEEiNS9_4plusIvEEiEEDaPvRmT3_T4_T5_mT6_P12ihipStream_tbENKUlT_T0_E_clISt17integral_constantIbLb0EESX_EEDaSS_ST_EUlSS_E_NS1_11comp_targetILNS1_3genE10ELNS1_11target_archE1200ELNS1_3gpuE4ELNS1_3repE0EEENS1_30default_config_static_selectorELNS0_4arch9wavefront6targetE1EEEvT1_
    .private_segment_fixed_size: 0
    .sgpr_count:     4
    .sgpr_spill_count: 0
    .symbol:         _ZN7rocprim17ROCPRIM_400000_NS6detail17trampoline_kernelINS0_14default_configENS1_20scan_config_selectorIiEEZZNS1_9scan_implILNS1_25lookback_scan_determinismE0ELb0ELb0ES3_N6thrust23THRUST_200600_302600_NS6detail15normal_iteratorINS9_10device_ptrIiEEEENS9_16discard_iteratorINS9_11use_defaultEEEiNS9_4plusIvEEiEEDaPvRmT3_T4_T5_mT6_P12ihipStream_tbENKUlT_T0_E_clISt17integral_constantIbLb0EESX_EEDaSS_ST_EUlSS_E_NS1_11comp_targetILNS1_3genE10ELNS1_11target_archE1200ELNS1_3gpuE4ELNS1_3repE0EEENS1_30default_config_static_selectorELNS0_4arch9wavefront6targetE1EEEvT1_.kd
    .uniform_work_group_size: 1
    .uses_dynamic_stack: false
    .vgpr_count:     0
    .vgpr_spill_count: 0
    .wavefront_size: 64
  - .agpr_count:     0
    .args:
      - .offset:         0
        .size:           104
        .value_kind:     by_value
    .group_segment_fixed_size: 0
    .kernarg_segment_align: 8
    .kernarg_segment_size: 104
    .language:       OpenCL C
    .language_version:
      - 2
      - 0
    .max_flat_workgroup_size: 256
    .name:           _ZN7rocprim17ROCPRIM_400000_NS6detail17trampoline_kernelINS0_14default_configENS1_20scan_config_selectorIiEEZZNS1_9scan_implILNS1_25lookback_scan_determinismE0ELb0ELb0ES3_N6thrust23THRUST_200600_302600_NS6detail15normal_iteratorINS9_10device_ptrIiEEEENS9_16discard_iteratorINS9_11use_defaultEEEiNS9_4plusIvEEiEEDaPvRmT3_T4_T5_mT6_P12ihipStream_tbENKUlT_T0_E_clISt17integral_constantIbLb0EESX_EEDaSS_ST_EUlSS_E_NS1_11comp_targetILNS1_3genE9ELNS1_11target_archE1100ELNS1_3gpuE3ELNS1_3repE0EEENS1_30default_config_static_selectorELNS0_4arch9wavefront6targetE1EEEvT1_
    .private_segment_fixed_size: 0
    .sgpr_count:     4
    .sgpr_spill_count: 0
    .symbol:         _ZN7rocprim17ROCPRIM_400000_NS6detail17trampoline_kernelINS0_14default_configENS1_20scan_config_selectorIiEEZZNS1_9scan_implILNS1_25lookback_scan_determinismE0ELb0ELb0ES3_N6thrust23THRUST_200600_302600_NS6detail15normal_iteratorINS9_10device_ptrIiEEEENS9_16discard_iteratorINS9_11use_defaultEEEiNS9_4plusIvEEiEEDaPvRmT3_T4_T5_mT6_P12ihipStream_tbENKUlT_T0_E_clISt17integral_constantIbLb0EESX_EEDaSS_ST_EUlSS_E_NS1_11comp_targetILNS1_3genE9ELNS1_11target_archE1100ELNS1_3gpuE3ELNS1_3repE0EEENS1_30default_config_static_selectorELNS0_4arch9wavefront6targetE1EEEvT1_.kd
    .uniform_work_group_size: 1
    .uses_dynamic_stack: false
    .vgpr_count:     0
    .vgpr_spill_count: 0
    .wavefront_size: 64
  - .agpr_count:     0
    .args:
      - .offset:         0
        .size:           104
        .value_kind:     by_value
    .group_segment_fixed_size: 0
    .kernarg_segment_align: 8
    .kernarg_segment_size: 104
    .language:       OpenCL C
    .language_version:
      - 2
      - 0
    .max_flat_workgroup_size: 64
    .name:           _ZN7rocprim17ROCPRIM_400000_NS6detail17trampoline_kernelINS0_14default_configENS1_20scan_config_selectorIiEEZZNS1_9scan_implILNS1_25lookback_scan_determinismE0ELb0ELb0ES3_N6thrust23THRUST_200600_302600_NS6detail15normal_iteratorINS9_10device_ptrIiEEEENS9_16discard_iteratorINS9_11use_defaultEEEiNS9_4plusIvEEiEEDaPvRmT3_T4_T5_mT6_P12ihipStream_tbENKUlT_T0_E_clISt17integral_constantIbLb0EESX_EEDaSS_ST_EUlSS_E_NS1_11comp_targetILNS1_3genE8ELNS1_11target_archE1030ELNS1_3gpuE2ELNS1_3repE0EEENS1_30default_config_static_selectorELNS0_4arch9wavefront6targetE1EEEvT1_
    .private_segment_fixed_size: 0
    .sgpr_count:     4
    .sgpr_spill_count: 0
    .symbol:         _ZN7rocprim17ROCPRIM_400000_NS6detail17trampoline_kernelINS0_14default_configENS1_20scan_config_selectorIiEEZZNS1_9scan_implILNS1_25lookback_scan_determinismE0ELb0ELb0ES3_N6thrust23THRUST_200600_302600_NS6detail15normal_iteratorINS9_10device_ptrIiEEEENS9_16discard_iteratorINS9_11use_defaultEEEiNS9_4plusIvEEiEEDaPvRmT3_T4_T5_mT6_P12ihipStream_tbENKUlT_T0_E_clISt17integral_constantIbLb0EESX_EEDaSS_ST_EUlSS_E_NS1_11comp_targetILNS1_3genE8ELNS1_11target_archE1030ELNS1_3gpuE2ELNS1_3repE0EEENS1_30default_config_static_selectorELNS0_4arch9wavefront6targetE1EEEvT1_.kd
    .uniform_work_group_size: 1
    .uses_dynamic_stack: false
    .vgpr_count:     0
    .vgpr_spill_count: 0
    .wavefront_size: 64
  - .agpr_count:     0
    .args:
      - .offset:         0
        .size:           40
        .value_kind:     by_value
    .group_segment_fixed_size: 0
    .kernarg_segment_align: 8
    .kernarg_segment_size: 40
    .language:       OpenCL C
    .language_version:
      - 2
      - 0
    .max_flat_workgroup_size: 256
    .name:           _ZN7rocprim17ROCPRIM_400000_NS6detail17trampoline_kernelINS0_14default_configENS1_20scan_config_selectorIiEEZZNS1_9scan_implILNS1_25lookback_scan_determinismE0ELb0ELb0ES3_N6thrust23THRUST_200600_302600_NS6detail15normal_iteratorINS9_10device_ptrIiEEEENS9_16discard_iteratorINS9_11use_defaultEEEiNS9_4plusIvEEiEEDaPvRmT3_T4_T5_mT6_P12ihipStream_tbENKUlT_T0_E_clISt17integral_constantIbLb0EESX_EEDaSS_ST_EUlSS_E0_NS1_11comp_targetILNS1_3genE0ELNS1_11target_archE4294967295ELNS1_3gpuE0ELNS1_3repE0EEENS1_30default_config_static_selectorELNS0_4arch9wavefront6targetE1EEEvT1_
    .private_segment_fixed_size: 0
    .sgpr_count:     4
    .sgpr_spill_count: 0
    .symbol:         _ZN7rocprim17ROCPRIM_400000_NS6detail17trampoline_kernelINS0_14default_configENS1_20scan_config_selectorIiEEZZNS1_9scan_implILNS1_25lookback_scan_determinismE0ELb0ELb0ES3_N6thrust23THRUST_200600_302600_NS6detail15normal_iteratorINS9_10device_ptrIiEEEENS9_16discard_iteratorINS9_11use_defaultEEEiNS9_4plusIvEEiEEDaPvRmT3_T4_T5_mT6_P12ihipStream_tbENKUlT_T0_E_clISt17integral_constantIbLb0EESX_EEDaSS_ST_EUlSS_E0_NS1_11comp_targetILNS1_3genE0ELNS1_11target_archE4294967295ELNS1_3gpuE0ELNS1_3repE0EEENS1_30default_config_static_selectorELNS0_4arch9wavefront6targetE1EEEvT1_.kd
    .uniform_work_group_size: 1
    .uses_dynamic_stack: false
    .vgpr_count:     0
    .vgpr_spill_count: 0
    .wavefront_size: 64
  - .agpr_count:     0
    .args:
      - .offset:         0
        .size:           40
        .value_kind:     by_value
    .group_segment_fixed_size: 0
    .kernarg_segment_align: 8
    .kernarg_segment_size: 40
    .language:       OpenCL C
    .language_version:
      - 2
      - 0
    .max_flat_workgroup_size: 256
    .name:           _ZN7rocprim17ROCPRIM_400000_NS6detail17trampoline_kernelINS0_14default_configENS1_20scan_config_selectorIiEEZZNS1_9scan_implILNS1_25lookback_scan_determinismE0ELb0ELb0ES3_N6thrust23THRUST_200600_302600_NS6detail15normal_iteratorINS9_10device_ptrIiEEEENS9_16discard_iteratorINS9_11use_defaultEEEiNS9_4plusIvEEiEEDaPvRmT3_T4_T5_mT6_P12ihipStream_tbENKUlT_T0_E_clISt17integral_constantIbLb0EESX_EEDaSS_ST_EUlSS_E0_NS1_11comp_targetILNS1_3genE5ELNS1_11target_archE942ELNS1_3gpuE9ELNS1_3repE0EEENS1_30default_config_static_selectorELNS0_4arch9wavefront6targetE1EEEvT1_
    .private_segment_fixed_size: 0
    .sgpr_count:     4
    .sgpr_spill_count: 0
    .symbol:         _ZN7rocprim17ROCPRIM_400000_NS6detail17trampoline_kernelINS0_14default_configENS1_20scan_config_selectorIiEEZZNS1_9scan_implILNS1_25lookback_scan_determinismE0ELb0ELb0ES3_N6thrust23THRUST_200600_302600_NS6detail15normal_iteratorINS9_10device_ptrIiEEEENS9_16discard_iteratorINS9_11use_defaultEEEiNS9_4plusIvEEiEEDaPvRmT3_T4_T5_mT6_P12ihipStream_tbENKUlT_T0_E_clISt17integral_constantIbLb0EESX_EEDaSS_ST_EUlSS_E0_NS1_11comp_targetILNS1_3genE5ELNS1_11target_archE942ELNS1_3gpuE9ELNS1_3repE0EEENS1_30default_config_static_selectorELNS0_4arch9wavefront6targetE1EEEvT1_.kd
    .uniform_work_group_size: 1
    .uses_dynamic_stack: false
    .vgpr_count:     0
    .vgpr_spill_count: 0
    .wavefront_size: 64
  - .agpr_count:     0
    .args:
      - .offset:         0
        .size:           40
        .value_kind:     by_value
    .group_segment_fixed_size: 5120
    .kernarg_segment_align: 8
    .kernarg_segment_size: 40
    .language:       OpenCL C
    .language_version:
      - 2
      - 0
    .max_flat_workgroup_size: 128
    .name:           _ZN7rocprim17ROCPRIM_400000_NS6detail17trampoline_kernelINS0_14default_configENS1_20scan_config_selectorIiEEZZNS1_9scan_implILNS1_25lookback_scan_determinismE0ELb0ELb0ES3_N6thrust23THRUST_200600_302600_NS6detail15normal_iteratorINS9_10device_ptrIiEEEENS9_16discard_iteratorINS9_11use_defaultEEEiNS9_4plusIvEEiEEDaPvRmT3_T4_T5_mT6_P12ihipStream_tbENKUlT_T0_E_clISt17integral_constantIbLb0EESX_EEDaSS_ST_EUlSS_E0_NS1_11comp_targetILNS1_3genE4ELNS1_11target_archE910ELNS1_3gpuE8ELNS1_3repE0EEENS1_30default_config_static_selectorELNS0_4arch9wavefront6targetE1EEEvT1_
    .private_segment_fixed_size: 0
    .sgpr_count:     10
    .sgpr_spill_count: 0
    .symbol:         _ZN7rocprim17ROCPRIM_400000_NS6detail17trampoline_kernelINS0_14default_configENS1_20scan_config_selectorIiEEZZNS1_9scan_implILNS1_25lookback_scan_determinismE0ELb0ELb0ES3_N6thrust23THRUST_200600_302600_NS6detail15normal_iteratorINS9_10device_ptrIiEEEENS9_16discard_iteratorINS9_11use_defaultEEEiNS9_4plusIvEEiEEDaPvRmT3_T4_T5_mT6_P12ihipStream_tbENKUlT_T0_E_clISt17integral_constantIbLb0EESX_EEDaSS_ST_EUlSS_E0_NS1_11comp_targetILNS1_3genE4ELNS1_11target_archE910ELNS1_3gpuE8ELNS1_3repE0EEENS1_30default_config_static_selectorELNS0_4arch9wavefront6targetE1EEEvT1_.kd
    .uniform_work_group_size: 1
    .uses_dynamic_stack: false
    .vgpr_count:     27
    .vgpr_spill_count: 0
    .wavefront_size: 64
  - .agpr_count:     0
    .args:
      - .offset:         0
        .size:           40
        .value_kind:     by_value
    .group_segment_fixed_size: 0
    .kernarg_segment_align: 8
    .kernarg_segment_size: 40
    .language:       OpenCL C
    .language_version:
      - 2
      - 0
    .max_flat_workgroup_size: 256
    .name:           _ZN7rocprim17ROCPRIM_400000_NS6detail17trampoline_kernelINS0_14default_configENS1_20scan_config_selectorIiEEZZNS1_9scan_implILNS1_25lookback_scan_determinismE0ELb0ELb0ES3_N6thrust23THRUST_200600_302600_NS6detail15normal_iteratorINS9_10device_ptrIiEEEENS9_16discard_iteratorINS9_11use_defaultEEEiNS9_4plusIvEEiEEDaPvRmT3_T4_T5_mT6_P12ihipStream_tbENKUlT_T0_E_clISt17integral_constantIbLb0EESX_EEDaSS_ST_EUlSS_E0_NS1_11comp_targetILNS1_3genE3ELNS1_11target_archE908ELNS1_3gpuE7ELNS1_3repE0EEENS1_30default_config_static_selectorELNS0_4arch9wavefront6targetE1EEEvT1_
    .private_segment_fixed_size: 0
    .sgpr_count:     4
    .sgpr_spill_count: 0
    .symbol:         _ZN7rocprim17ROCPRIM_400000_NS6detail17trampoline_kernelINS0_14default_configENS1_20scan_config_selectorIiEEZZNS1_9scan_implILNS1_25lookback_scan_determinismE0ELb0ELb0ES3_N6thrust23THRUST_200600_302600_NS6detail15normal_iteratorINS9_10device_ptrIiEEEENS9_16discard_iteratorINS9_11use_defaultEEEiNS9_4plusIvEEiEEDaPvRmT3_T4_T5_mT6_P12ihipStream_tbENKUlT_T0_E_clISt17integral_constantIbLb0EESX_EEDaSS_ST_EUlSS_E0_NS1_11comp_targetILNS1_3genE3ELNS1_11target_archE908ELNS1_3gpuE7ELNS1_3repE0EEENS1_30default_config_static_selectorELNS0_4arch9wavefront6targetE1EEEvT1_.kd
    .uniform_work_group_size: 1
    .uses_dynamic_stack: false
    .vgpr_count:     0
    .vgpr_spill_count: 0
    .wavefront_size: 64
  - .agpr_count:     0
    .args:
      - .offset:         0
        .size:           40
        .value_kind:     by_value
    .group_segment_fixed_size: 0
    .kernarg_segment_align: 8
    .kernarg_segment_size: 40
    .language:       OpenCL C
    .language_version:
      - 2
      - 0
    .max_flat_workgroup_size: 256
    .name:           _ZN7rocprim17ROCPRIM_400000_NS6detail17trampoline_kernelINS0_14default_configENS1_20scan_config_selectorIiEEZZNS1_9scan_implILNS1_25lookback_scan_determinismE0ELb0ELb0ES3_N6thrust23THRUST_200600_302600_NS6detail15normal_iteratorINS9_10device_ptrIiEEEENS9_16discard_iteratorINS9_11use_defaultEEEiNS9_4plusIvEEiEEDaPvRmT3_T4_T5_mT6_P12ihipStream_tbENKUlT_T0_E_clISt17integral_constantIbLb0EESX_EEDaSS_ST_EUlSS_E0_NS1_11comp_targetILNS1_3genE2ELNS1_11target_archE906ELNS1_3gpuE6ELNS1_3repE0EEENS1_30default_config_static_selectorELNS0_4arch9wavefront6targetE1EEEvT1_
    .private_segment_fixed_size: 0
    .sgpr_count:     4
    .sgpr_spill_count: 0
    .symbol:         _ZN7rocprim17ROCPRIM_400000_NS6detail17trampoline_kernelINS0_14default_configENS1_20scan_config_selectorIiEEZZNS1_9scan_implILNS1_25lookback_scan_determinismE0ELb0ELb0ES3_N6thrust23THRUST_200600_302600_NS6detail15normal_iteratorINS9_10device_ptrIiEEEENS9_16discard_iteratorINS9_11use_defaultEEEiNS9_4plusIvEEiEEDaPvRmT3_T4_T5_mT6_P12ihipStream_tbENKUlT_T0_E_clISt17integral_constantIbLb0EESX_EEDaSS_ST_EUlSS_E0_NS1_11comp_targetILNS1_3genE2ELNS1_11target_archE906ELNS1_3gpuE6ELNS1_3repE0EEENS1_30default_config_static_selectorELNS0_4arch9wavefront6targetE1EEEvT1_.kd
    .uniform_work_group_size: 1
    .uses_dynamic_stack: false
    .vgpr_count:     0
    .vgpr_spill_count: 0
    .wavefront_size: 64
  - .agpr_count:     0
    .args:
      - .offset:         0
        .size:           40
        .value_kind:     by_value
    .group_segment_fixed_size: 0
    .kernarg_segment_align: 8
    .kernarg_segment_size: 40
    .language:       OpenCL C
    .language_version:
      - 2
      - 0
    .max_flat_workgroup_size: 256
    .name:           _ZN7rocprim17ROCPRIM_400000_NS6detail17trampoline_kernelINS0_14default_configENS1_20scan_config_selectorIiEEZZNS1_9scan_implILNS1_25lookback_scan_determinismE0ELb0ELb0ES3_N6thrust23THRUST_200600_302600_NS6detail15normal_iteratorINS9_10device_ptrIiEEEENS9_16discard_iteratorINS9_11use_defaultEEEiNS9_4plusIvEEiEEDaPvRmT3_T4_T5_mT6_P12ihipStream_tbENKUlT_T0_E_clISt17integral_constantIbLb0EESX_EEDaSS_ST_EUlSS_E0_NS1_11comp_targetILNS1_3genE10ELNS1_11target_archE1201ELNS1_3gpuE5ELNS1_3repE0EEENS1_30default_config_static_selectorELNS0_4arch9wavefront6targetE1EEEvT1_
    .private_segment_fixed_size: 0
    .sgpr_count:     4
    .sgpr_spill_count: 0
    .symbol:         _ZN7rocprim17ROCPRIM_400000_NS6detail17trampoline_kernelINS0_14default_configENS1_20scan_config_selectorIiEEZZNS1_9scan_implILNS1_25lookback_scan_determinismE0ELb0ELb0ES3_N6thrust23THRUST_200600_302600_NS6detail15normal_iteratorINS9_10device_ptrIiEEEENS9_16discard_iteratorINS9_11use_defaultEEEiNS9_4plusIvEEiEEDaPvRmT3_T4_T5_mT6_P12ihipStream_tbENKUlT_T0_E_clISt17integral_constantIbLb0EESX_EEDaSS_ST_EUlSS_E0_NS1_11comp_targetILNS1_3genE10ELNS1_11target_archE1201ELNS1_3gpuE5ELNS1_3repE0EEENS1_30default_config_static_selectorELNS0_4arch9wavefront6targetE1EEEvT1_.kd
    .uniform_work_group_size: 1
    .uses_dynamic_stack: false
    .vgpr_count:     0
    .vgpr_spill_count: 0
    .wavefront_size: 64
  - .agpr_count:     0
    .args:
      - .offset:         0
        .size:           40
        .value_kind:     by_value
    .group_segment_fixed_size: 0
    .kernarg_segment_align: 8
    .kernarg_segment_size: 40
    .language:       OpenCL C
    .language_version:
      - 2
      - 0
    .max_flat_workgroup_size: 256
    .name:           _ZN7rocprim17ROCPRIM_400000_NS6detail17trampoline_kernelINS0_14default_configENS1_20scan_config_selectorIiEEZZNS1_9scan_implILNS1_25lookback_scan_determinismE0ELb0ELb0ES3_N6thrust23THRUST_200600_302600_NS6detail15normal_iteratorINS9_10device_ptrIiEEEENS9_16discard_iteratorINS9_11use_defaultEEEiNS9_4plusIvEEiEEDaPvRmT3_T4_T5_mT6_P12ihipStream_tbENKUlT_T0_E_clISt17integral_constantIbLb0EESX_EEDaSS_ST_EUlSS_E0_NS1_11comp_targetILNS1_3genE10ELNS1_11target_archE1200ELNS1_3gpuE4ELNS1_3repE0EEENS1_30default_config_static_selectorELNS0_4arch9wavefront6targetE1EEEvT1_
    .private_segment_fixed_size: 0
    .sgpr_count:     4
    .sgpr_spill_count: 0
    .symbol:         _ZN7rocprim17ROCPRIM_400000_NS6detail17trampoline_kernelINS0_14default_configENS1_20scan_config_selectorIiEEZZNS1_9scan_implILNS1_25lookback_scan_determinismE0ELb0ELb0ES3_N6thrust23THRUST_200600_302600_NS6detail15normal_iteratorINS9_10device_ptrIiEEEENS9_16discard_iteratorINS9_11use_defaultEEEiNS9_4plusIvEEiEEDaPvRmT3_T4_T5_mT6_P12ihipStream_tbENKUlT_T0_E_clISt17integral_constantIbLb0EESX_EEDaSS_ST_EUlSS_E0_NS1_11comp_targetILNS1_3genE10ELNS1_11target_archE1200ELNS1_3gpuE4ELNS1_3repE0EEENS1_30default_config_static_selectorELNS0_4arch9wavefront6targetE1EEEvT1_.kd
    .uniform_work_group_size: 1
    .uses_dynamic_stack: false
    .vgpr_count:     0
    .vgpr_spill_count: 0
    .wavefront_size: 64
  - .agpr_count:     0
    .args:
      - .offset:         0
        .size:           40
        .value_kind:     by_value
    .group_segment_fixed_size: 0
    .kernarg_segment_align: 8
    .kernarg_segment_size: 40
    .language:       OpenCL C
    .language_version:
      - 2
      - 0
    .max_flat_workgroup_size: 256
    .name:           _ZN7rocprim17ROCPRIM_400000_NS6detail17trampoline_kernelINS0_14default_configENS1_20scan_config_selectorIiEEZZNS1_9scan_implILNS1_25lookback_scan_determinismE0ELb0ELb0ES3_N6thrust23THRUST_200600_302600_NS6detail15normal_iteratorINS9_10device_ptrIiEEEENS9_16discard_iteratorINS9_11use_defaultEEEiNS9_4plusIvEEiEEDaPvRmT3_T4_T5_mT6_P12ihipStream_tbENKUlT_T0_E_clISt17integral_constantIbLb0EESX_EEDaSS_ST_EUlSS_E0_NS1_11comp_targetILNS1_3genE9ELNS1_11target_archE1100ELNS1_3gpuE3ELNS1_3repE0EEENS1_30default_config_static_selectorELNS0_4arch9wavefront6targetE1EEEvT1_
    .private_segment_fixed_size: 0
    .sgpr_count:     4
    .sgpr_spill_count: 0
    .symbol:         _ZN7rocprim17ROCPRIM_400000_NS6detail17trampoline_kernelINS0_14default_configENS1_20scan_config_selectorIiEEZZNS1_9scan_implILNS1_25lookback_scan_determinismE0ELb0ELb0ES3_N6thrust23THRUST_200600_302600_NS6detail15normal_iteratorINS9_10device_ptrIiEEEENS9_16discard_iteratorINS9_11use_defaultEEEiNS9_4plusIvEEiEEDaPvRmT3_T4_T5_mT6_P12ihipStream_tbENKUlT_T0_E_clISt17integral_constantIbLb0EESX_EEDaSS_ST_EUlSS_E0_NS1_11comp_targetILNS1_3genE9ELNS1_11target_archE1100ELNS1_3gpuE3ELNS1_3repE0EEENS1_30default_config_static_selectorELNS0_4arch9wavefront6targetE1EEEvT1_.kd
    .uniform_work_group_size: 1
    .uses_dynamic_stack: false
    .vgpr_count:     0
    .vgpr_spill_count: 0
    .wavefront_size: 64
  - .agpr_count:     0
    .args:
      - .offset:         0
        .size:           40
        .value_kind:     by_value
    .group_segment_fixed_size: 0
    .kernarg_segment_align: 8
    .kernarg_segment_size: 40
    .language:       OpenCL C
    .language_version:
      - 2
      - 0
    .max_flat_workgroup_size: 64
    .name:           _ZN7rocprim17ROCPRIM_400000_NS6detail17trampoline_kernelINS0_14default_configENS1_20scan_config_selectorIiEEZZNS1_9scan_implILNS1_25lookback_scan_determinismE0ELb0ELb0ES3_N6thrust23THRUST_200600_302600_NS6detail15normal_iteratorINS9_10device_ptrIiEEEENS9_16discard_iteratorINS9_11use_defaultEEEiNS9_4plusIvEEiEEDaPvRmT3_T4_T5_mT6_P12ihipStream_tbENKUlT_T0_E_clISt17integral_constantIbLb0EESX_EEDaSS_ST_EUlSS_E0_NS1_11comp_targetILNS1_3genE8ELNS1_11target_archE1030ELNS1_3gpuE2ELNS1_3repE0EEENS1_30default_config_static_selectorELNS0_4arch9wavefront6targetE1EEEvT1_
    .private_segment_fixed_size: 0
    .sgpr_count:     4
    .sgpr_spill_count: 0
    .symbol:         _ZN7rocprim17ROCPRIM_400000_NS6detail17trampoline_kernelINS0_14default_configENS1_20scan_config_selectorIiEEZZNS1_9scan_implILNS1_25lookback_scan_determinismE0ELb0ELb0ES3_N6thrust23THRUST_200600_302600_NS6detail15normal_iteratorINS9_10device_ptrIiEEEENS9_16discard_iteratorINS9_11use_defaultEEEiNS9_4plusIvEEiEEDaPvRmT3_T4_T5_mT6_P12ihipStream_tbENKUlT_T0_E_clISt17integral_constantIbLb0EESX_EEDaSS_ST_EUlSS_E0_NS1_11comp_targetILNS1_3genE8ELNS1_11target_archE1030ELNS1_3gpuE2ELNS1_3repE0EEENS1_30default_config_static_selectorELNS0_4arch9wavefront6targetE1EEEvT1_.kd
    .uniform_work_group_size: 1
    .uses_dynamic_stack: false
    .vgpr_count:     0
    .vgpr_spill_count: 0
    .wavefront_size: 64
  - .agpr_count:     0
    .args:
      - .offset:         0
        .size:           104
        .value_kind:     by_value
    .group_segment_fixed_size: 0
    .kernarg_segment_align: 8
    .kernarg_segment_size: 104
    .language:       OpenCL C
    .language_version:
      - 2
      - 0
    .max_flat_workgroup_size: 256
    .name:           _ZN7rocprim17ROCPRIM_400000_NS6detail17trampoline_kernelINS0_14default_configENS1_20scan_config_selectorIiEEZZNS1_9scan_implILNS1_25lookback_scan_determinismE0ELb0ELb0ES3_N6thrust23THRUST_200600_302600_NS6detail15normal_iteratorINS9_10device_ptrIiEEEENS9_16discard_iteratorINS9_11use_defaultEEEiNS9_4plusIvEEiEEDaPvRmT3_T4_T5_mT6_P12ihipStream_tbENKUlT_T0_E_clISt17integral_constantIbLb1EESX_EEDaSS_ST_EUlSS_E_NS1_11comp_targetILNS1_3genE0ELNS1_11target_archE4294967295ELNS1_3gpuE0ELNS1_3repE0EEENS1_30default_config_static_selectorELNS0_4arch9wavefront6targetE1EEEvT1_
    .private_segment_fixed_size: 0
    .sgpr_count:     4
    .sgpr_spill_count: 0
    .symbol:         _ZN7rocprim17ROCPRIM_400000_NS6detail17trampoline_kernelINS0_14default_configENS1_20scan_config_selectorIiEEZZNS1_9scan_implILNS1_25lookback_scan_determinismE0ELb0ELb0ES3_N6thrust23THRUST_200600_302600_NS6detail15normal_iteratorINS9_10device_ptrIiEEEENS9_16discard_iteratorINS9_11use_defaultEEEiNS9_4plusIvEEiEEDaPvRmT3_T4_T5_mT6_P12ihipStream_tbENKUlT_T0_E_clISt17integral_constantIbLb1EESX_EEDaSS_ST_EUlSS_E_NS1_11comp_targetILNS1_3genE0ELNS1_11target_archE4294967295ELNS1_3gpuE0ELNS1_3repE0EEENS1_30default_config_static_selectorELNS0_4arch9wavefront6targetE1EEEvT1_.kd
    .uniform_work_group_size: 1
    .uses_dynamic_stack: false
    .vgpr_count:     0
    .vgpr_spill_count: 0
    .wavefront_size: 64
  - .agpr_count:     0
    .args:
      - .offset:         0
        .size:           104
        .value_kind:     by_value
    .group_segment_fixed_size: 0
    .kernarg_segment_align: 8
    .kernarg_segment_size: 104
    .language:       OpenCL C
    .language_version:
      - 2
      - 0
    .max_flat_workgroup_size: 256
    .name:           _ZN7rocprim17ROCPRIM_400000_NS6detail17trampoline_kernelINS0_14default_configENS1_20scan_config_selectorIiEEZZNS1_9scan_implILNS1_25lookback_scan_determinismE0ELb0ELb0ES3_N6thrust23THRUST_200600_302600_NS6detail15normal_iteratorINS9_10device_ptrIiEEEENS9_16discard_iteratorINS9_11use_defaultEEEiNS9_4plusIvEEiEEDaPvRmT3_T4_T5_mT6_P12ihipStream_tbENKUlT_T0_E_clISt17integral_constantIbLb1EESX_EEDaSS_ST_EUlSS_E_NS1_11comp_targetILNS1_3genE5ELNS1_11target_archE942ELNS1_3gpuE9ELNS1_3repE0EEENS1_30default_config_static_selectorELNS0_4arch9wavefront6targetE1EEEvT1_
    .private_segment_fixed_size: 0
    .sgpr_count:     4
    .sgpr_spill_count: 0
    .symbol:         _ZN7rocprim17ROCPRIM_400000_NS6detail17trampoline_kernelINS0_14default_configENS1_20scan_config_selectorIiEEZZNS1_9scan_implILNS1_25lookback_scan_determinismE0ELb0ELb0ES3_N6thrust23THRUST_200600_302600_NS6detail15normal_iteratorINS9_10device_ptrIiEEEENS9_16discard_iteratorINS9_11use_defaultEEEiNS9_4plusIvEEiEEDaPvRmT3_T4_T5_mT6_P12ihipStream_tbENKUlT_T0_E_clISt17integral_constantIbLb1EESX_EEDaSS_ST_EUlSS_E_NS1_11comp_targetILNS1_3genE5ELNS1_11target_archE942ELNS1_3gpuE9ELNS1_3repE0EEENS1_30default_config_static_selectorELNS0_4arch9wavefront6targetE1EEEvT1_.kd
    .uniform_work_group_size: 1
    .uses_dynamic_stack: false
    .vgpr_count:     0
    .vgpr_spill_count: 0
    .wavefront_size: 64
  - .agpr_count:     0
    .args:
      - .offset:         0
        .size:           104
        .value_kind:     by_value
    .group_segment_fixed_size: 5120
    .kernarg_segment_align: 8
    .kernarg_segment_size: 104
    .language:       OpenCL C
    .language_version:
      - 2
      - 0
    .max_flat_workgroup_size: 128
    .name:           _ZN7rocprim17ROCPRIM_400000_NS6detail17trampoline_kernelINS0_14default_configENS1_20scan_config_selectorIiEEZZNS1_9scan_implILNS1_25lookback_scan_determinismE0ELb0ELb0ES3_N6thrust23THRUST_200600_302600_NS6detail15normal_iteratorINS9_10device_ptrIiEEEENS9_16discard_iteratorINS9_11use_defaultEEEiNS9_4plusIvEEiEEDaPvRmT3_T4_T5_mT6_P12ihipStream_tbENKUlT_T0_E_clISt17integral_constantIbLb1EESX_EEDaSS_ST_EUlSS_E_NS1_11comp_targetILNS1_3genE4ELNS1_11target_archE910ELNS1_3gpuE8ELNS1_3repE0EEENS1_30default_config_static_selectorELNS0_4arch9wavefront6targetE1EEEvT1_
    .private_segment_fixed_size: 0
    .sgpr_count:     34
    .sgpr_spill_count: 0
    .symbol:         _ZN7rocprim17ROCPRIM_400000_NS6detail17trampoline_kernelINS0_14default_configENS1_20scan_config_selectorIiEEZZNS1_9scan_implILNS1_25lookback_scan_determinismE0ELb0ELb0ES3_N6thrust23THRUST_200600_302600_NS6detail15normal_iteratorINS9_10device_ptrIiEEEENS9_16discard_iteratorINS9_11use_defaultEEEiNS9_4plusIvEEiEEDaPvRmT3_T4_T5_mT6_P12ihipStream_tbENKUlT_T0_E_clISt17integral_constantIbLb1EESX_EEDaSS_ST_EUlSS_E_NS1_11comp_targetILNS1_3genE4ELNS1_11target_archE910ELNS1_3gpuE8ELNS1_3repE0EEENS1_30default_config_static_selectorELNS0_4arch9wavefront6targetE1EEEvT1_.kd
    .uniform_work_group_size: 1
    .uses_dynamic_stack: false
    .vgpr_count:     39
    .vgpr_spill_count: 0
    .wavefront_size: 64
  - .agpr_count:     0
    .args:
      - .offset:         0
        .size:           104
        .value_kind:     by_value
    .group_segment_fixed_size: 0
    .kernarg_segment_align: 8
    .kernarg_segment_size: 104
    .language:       OpenCL C
    .language_version:
      - 2
      - 0
    .max_flat_workgroup_size: 256
    .name:           _ZN7rocprim17ROCPRIM_400000_NS6detail17trampoline_kernelINS0_14default_configENS1_20scan_config_selectorIiEEZZNS1_9scan_implILNS1_25lookback_scan_determinismE0ELb0ELb0ES3_N6thrust23THRUST_200600_302600_NS6detail15normal_iteratorINS9_10device_ptrIiEEEENS9_16discard_iteratorINS9_11use_defaultEEEiNS9_4plusIvEEiEEDaPvRmT3_T4_T5_mT6_P12ihipStream_tbENKUlT_T0_E_clISt17integral_constantIbLb1EESX_EEDaSS_ST_EUlSS_E_NS1_11comp_targetILNS1_3genE3ELNS1_11target_archE908ELNS1_3gpuE7ELNS1_3repE0EEENS1_30default_config_static_selectorELNS0_4arch9wavefront6targetE1EEEvT1_
    .private_segment_fixed_size: 0
    .sgpr_count:     4
    .sgpr_spill_count: 0
    .symbol:         _ZN7rocprim17ROCPRIM_400000_NS6detail17trampoline_kernelINS0_14default_configENS1_20scan_config_selectorIiEEZZNS1_9scan_implILNS1_25lookback_scan_determinismE0ELb0ELb0ES3_N6thrust23THRUST_200600_302600_NS6detail15normal_iteratorINS9_10device_ptrIiEEEENS9_16discard_iteratorINS9_11use_defaultEEEiNS9_4plusIvEEiEEDaPvRmT3_T4_T5_mT6_P12ihipStream_tbENKUlT_T0_E_clISt17integral_constantIbLb1EESX_EEDaSS_ST_EUlSS_E_NS1_11comp_targetILNS1_3genE3ELNS1_11target_archE908ELNS1_3gpuE7ELNS1_3repE0EEENS1_30default_config_static_selectorELNS0_4arch9wavefront6targetE1EEEvT1_.kd
    .uniform_work_group_size: 1
    .uses_dynamic_stack: false
    .vgpr_count:     0
    .vgpr_spill_count: 0
    .wavefront_size: 64
  - .agpr_count:     0
    .args:
      - .offset:         0
        .size:           104
        .value_kind:     by_value
    .group_segment_fixed_size: 0
    .kernarg_segment_align: 8
    .kernarg_segment_size: 104
    .language:       OpenCL C
    .language_version:
      - 2
      - 0
    .max_flat_workgroup_size: 256
    .name:           _ZN7rocprim17ROCPRIM_400000_NS6detail17trampoline_kernelINS0_14default_configENS1_20scan_config_selectorIiEEZZNS1_9scan_implILNS1_25lookback_scan_determinismE0ELb0ELb0ES3_N6thrust23THRUST_200600_302600_NS6detail15normal_iteratorINS9_10device_ptrIiEEEENS9_16discard_iteratorINS9_11use_defaultEEEiNS9_4plusIvEEiEEDaPvRmT3_T4_T5_mT6_P12ihipStream_tbENKUlT_T0_E_clISt17integral_constantIbLb1EESX_EEDaSS_ST_EUlSS_E_NS1_11comp_targetILNS1_3genE2ELNS1_11target_archE906ELNS1_3gpuE6ELNS1_3repE0EEENS1_30default_config_static_selectorELNS0_4arch9wavefront6targetE1EEEvT1_
    .private_segment_fixed_size: 0
    .sgpr_count:     4
    .sgpr_spill_count: 0
    .symbol:         _ZN7rocprim17ROCPRIM_400000_NS6detail17trampoline_kernelINS0_14default_configENS1_20scan_config_selectorIiEEZZNS1_9scan_implILNS1_25lookback_scan_determinismE0ELb0ELb0ES3_N6thrust23THRUST_200600_302600_NS6detail15normal_iteratorINS9_10device_ptrIiEEEENS9_16discard_iteratorINS9_11use_defaultEEEiNS9_4plusIvEEiEEDaPvRmT3_T4_T5_mT6_P12ihipStream_tbENKUlT_T0_E_clISt17integral_constantIbLb1EESX_EEDaSS_ST_EUlSS_E_NS1_11comp_targetILNS1_3genE2ELNS1_11target_archE906ELNS1_3gpuE6ELNS1_3repE0EEENS1_30default_config_static_selectorELNS0_4arch9wavefront6targetE1EEEvT1_.kd
    .uniform_work_group_size: 1
    .uses_dynamic_stack: false
    .vgpr_count:     0
    .vgpr_spill_count: 0
    .wavefront_size: 64
  - .agpr_count:     0
    .args:
      - .offset:         0
        .size:           104
        .value_kind:     by_value
    .group_segment_fixed_size: 0
    .kernarg_segment_align: 8
    .kernarg_segment_size: 104
    .language:       OpenCL C
    .language_version:
      - 2
      - 0
    .max_flat_workgroup_size: 256
    .name:           _ZN7rocprim17ROCPRIM_400000_NS6detail17trampoline_kernelINS0_14default_configENS1_20scan_config_selectorIiEEZZNS1_9scan_implILNS1_25lookback_scan_determinismE0ELb0ELb0ES3_N6thrust23THRUST_200600_302600_NS6detail15normal_iteratorINS9_10device_ptrIiEEEENS9_16discard_iteratorINS9_11use_defaultEEEiNS9_4plusIvEEiEEDaPvRmT3_T4_T5_mT6_P12ihipStream_tbENKUlT_T0_E_clISt17integral_constantIbLb1EESX_EEDaSS_ST_EUlSS_E_NS1_11comp_targetILNS1_3genE10ELNS1_11target_archE1201ELNS1_3gpuE5ELNS1_3repE0EEENS1_30default_config_static_selectorELNS0_4arch9wavefront6targetE1EEEvT1_
    .private_segment_fixed_size: 0
    .sgpr_count:     4
    .sgpr_spill_count: 0
    .symbol:         _ZN7rocprim17ROCPRIM_400000_NS6detail17trampoline_kernelINS0_14default_configENS1_20scan_config_selectorIiEEZZNS1_9scan_implILNS1_25lookback_scan_determinismE0ELb0ELb0ES3_N6thrust23THRUST_200600_302600_NS6detail15normal_iteratorINS9_10device_ptrIiEEEENS9_16discard_iteratorINS9_11use_defaultEEEiNS9_4plusIvEEiEEDaPvRmT3_T4_T5_mT6_P12ihipStream_tbENKUlT_T0_E_clISt17integral_constantIbLb1EESX_EEDaSS_ST_EUlSS_E_NS1_11comp_targetILNS1_3genE10ELNS1_11target_archE1201ELNS1_3gpuE5ELNS1_3repE0EEENS1_30default_config_static_selectorELNS0_4arch9wavefront6targetE1EEEvT1_.kd
    .uniform_work_group_size: 1
    .uses_dynamic_stack: false
    .vgpr_count:     0
    .vgpr_spill_count: 0
    .wavefront_size: 64
  - .agpr_count:     0
    .args:
      - .offset:         0
        .size:           104
        .value_kind:     by_value
    .group_segment_fixed_size: 0
    .kernarg_segment_align: 8
    .kernarg_segment_size: 104
    .language:       OpenCL C
    .language_version:
      - 2
      - 0
    .max_flat_workgroup_size: 256
    .name:           _ZN7rocprim17ROCPRIM_400000_NS6detail17trampoline_kernelINS0_14default_configENS1_20scan_config_selectorIiEEZZNS1_9scan_implILNS1_25lookback_scan_determinismE0ELb0ELb0ES3_N6thrust23THRUST_200600_302600_NS6detail15normal_iteratorINS9_10device_ptrIiEEEENS9_16discard_iteratorINS9_11use_defaultEEEiNS9_4plusIvEEiEEDaPvRmT3_T4_T5_mT6_P12ihipStream_tbENKUlT_T0_E_clISt17integral_constantIbLb1EESX_EEDaSS_ST_EUlSS_E_NS1_11comp_targetILNS1_3genE10ELNS1_11target_archE1200ELNS1_3gpuE4ELNS1_3repE0EEENS1_30default_config_static_selectorELNS0_4arch9wavefront6targetE1EEEvT1_
    .private_segment_fixed_size: 0
    .sgpr_count:     4
    .sgpr_spill_count: 0
    .symbol:         _ZN7rocprim17ROCPRIM_400000_NS6detail17trampoline_kernelINS0_14default_configENS1_20scan_config_selectorIiEEZZNS1_9scan_implILNS1_25lookback_scan_determinismE0ELb0ELb0ES3_N6thrust23THRUST_200600_302600_NS6detail15normal_iteratorINS9_10device_ptrIiEEEENS9_16discard_iteratorINS9_11use_defaultEEEiNS9_4plusIvEEiEEDaPvRmT3_T4_T5_mT6_P12ihipStream_tbENKUlT_T0_E_clISt17integral_constantIbLb1EESX_EEDaSS_ST_EUlSS_E_NS1_11comp_targetILNS1_3genE10ELNS1_11target_archE1200ELNS1_3gpuE4ELNS1_3repE0EEENS1_30default_config_static_selectorELNS0_4arch9wavefront6targetE1EEEvT1_.kd
    .uniform_work_group_size: 1
    .uses_dynamic_stack: false
    .vgpr_count:     0
    .vgpr_spill_count: 0
    .wavefront_size: 64
  - .agpr_count:     0
    .args:
      - .offset:         0
        .size:           104
        .value_kind:     by_value
    .group_segment_fixed_size: 0
    .kernarg_segment_align: 8
    .kernarg_segment_size: 104
    .language:       OpenCL C
    .language_version:
      - 2
      - 0
    .max_flat_workgroup_size: 256
    .name:           _ZN7rocprim17ROCPRIM_400000_NS6detail17trampoline_kernelINS0_14default_configENS1_20scan_config_selectorIiEEZZNS1_9scan_implILNS1_25lookback_scan_determinismE0ELb0ELb0ES3_N6thrust23THRUST_200600_302600_NS6detail15normal_iteratorINS9_10device_ptrIiEEEENS9_16discard_iteratorINS9_11use_defaultEEEiNS9_4plusIvEEiEEDaPvRmT3_T4_T5_mT6_P12ihipStream_tbENKUlT_T0_E_clISt17integral_constantIbLb1EESX_EEDaSS_ST_EUlSS_E_NS1_11comp_targetILNS1_3genE9ELNS1_11target_archE1100ELNS1_3gpuE3ELNS1_3repE0EEENS1_30default_config_static_selectorELNS0_4arch9wavefront6targetE1EEEvT1_
    .private_segment_fixed_size: 0
    .sgpr_count:     4
    .sgpr_spill_count: 0
    .symbol:         _ZN7rocprim17ROCPRIM_400000_NS6detail17trampoline_kernelINS0_14default_configENS1_20scan_config_selectorIiEEZZNS1_9scan_implILNS1_25lookback_scan_determinismE0ELb0ELb0ES3_N6thrust23THRUST_200600_302600_NS6detail15normal_iteratorINS9_10device_ptrIiEEEENS9_16discard_iteratorINS9_11use_defaultEEEiNS9_4plusIvEEiEEDaPvRmT3_T4_T5_mT6_P12ihipStream_tbENKUlT_T0_E_clISt17integral_constantIbLb1EESX_EEDaSS_ST_EUlSS_E_NS1_11comp_targetILNS1_3genE9ELNS1_11target_archE1100ELNS1_3gpuE3ELNS1_3repE0EEENS1_30default_config_static_selectorELNS0_4arch9wavefront6targetE1EEEvT1_.kd
    .uniform_work_group_size: 1
    .uses_dynamic_stack: false
    .vgpr_count:     0
    .vgpr_spill_count: 0
    .wavefront_size: 64
  - .agpr_count:     0
    .args:
      - .offset:         0
        .size:           104
        .value_kind:     by_value
    .group_segment_fixed_size: 0
    .kernarg_segment_align: 8
    .kernarg_segment_size: 104
    .language:       OpenCL C
    .language_version:
      - 2
      - 0
    .max_flat_workgroup_size: 64
    .name:           _ZN7rocprim17ROCPRIM_400000_NS6detail17trampoline_kernelINS0_14default_configENS1_20scan_config_selectorIiEEZZNS1_9scan_implILNS1_25lookback_scan_determinismE0ELb0ELb0ES3_N6thrust23THRUST_200600_302600_NS6detail15normal_iteratorINS9_10device_ptrIiEEEENS9_16discard_iteratorINS9_11use_defaultEEEiNS9_4plusIvEEiEEDaPvRmT3_T4_T5_mT6_P12ihipStream_tbENKUlT_T0_E_clISt17integral_constantIbLb1EESX_EEDaSS_ST_EUlSS_E_NS1_11comp_targetILNS1_3genE8ELNS1_11target_archE1030ELNS1_3gpuE2ELNS1_3repE0EEENS1_30default_config_static_selectorELNS0_4arch9wavefront6targetE1EEEvT1_
    .private_segment_fixed_size: 0
    .sgpr_count:     4
    .sgpr_spill_count: 0
    .symbol:         _ZN7rocprim17ROCPRIM_400000_NS6detail17trampoline_kernelINS0_14default_configENS1_20scan_config_selectorIiEEZZNS1_9scan_implILNS1_25lookback_scan_determinismE0ELb0ELb0ES3_N6thrust23THRUST_200600_302600_NS6detail15normal_iteratorINS9_10device_ptrIiEEEENS9_16discard_iteratorINS9_11use_defaultEEEiNS9_4plusIvEEiEEDaPvRmT3_T4_T5_mT6_P12ihipStream_tbENKUlT_T0_E_clISt17integral_constantIbLb1EESX_EEDaSS_ST_EUlSS_E_NS1_11comp_targetILNS1_3genE8ELNS1_11target_archE1030ELNS1_3gpuE2ELNS1_3repE0EEENS1_30default_config_static_selectorELNS0_4arch9wavefront6targetE1EEEvT1_.kd
    .uniform_work_group_size: 1
    .uses_dynamic_stack: false
    .vgpr_count:     0
    .vgpr_spill_count: 0
    .wavefront_size: 64
  - .agpr_count:     0
    .args:
      - .offset:         0
        .size:           40
        .value_kind:     by_value
    .group_segment_fixed_size: 0
    .kernarg_segment_align: 8
    .kernarg_segment_size: 40
    .language:       OpenCL C
    .language_version:
      - 2
      - 0
    .max_flat_workgroup_size: 256
    .name:           _ZN7rocprim17ROCPRIM_400000_NS6detail17trampoline_kernelINS0_14default_configENS1_20scan_config_selectorIiEEZZNS1_9scan_implILNS1_25lookback_scan_determinismE0ELb0ELb0ES3_N6thrust23THRUST_200600_302600_NS6detail15normal_iteratorINS9_10device_ptrIiEEEENS9_16discard_iteratorINS9_11use_defaultEEEiNS9_4plusIvEEiEEDaPvRmT3_T4_T5_mT6_P12ihipStream_tbENKUlT_T0_E_clISt17integral_constantIbLb1EESX_EEDaSS_ST_EUlSS_E0_NS1_11comp_targetILNS1_3genE0ELNS1_11target_archE4294967295ELNS1_3gpuE0ELNS1_3repE0EEENS1_30default_config_static_selectorELNS0_4arch9wavefront6targetE1EEEvT1_
    .private_segment_fixed_size: 0
    .sgpr_count:     4
    .sgpr_spill_count: 0
    .symbol:         _ZN7rocprim17ROCPRIM_400000_NS6detail17trampoline_kernelINS0_14default_configENS1_20scan_config_selectorIiEEZZNS1_9scan_implILNS1_25lookback_scan_determinismE0ELb0ELb0ES3_N6thrust23THRUST_200600_302600_NS6detail15normal_iteratorINS9_10device_ptrIiEEEENS9_16discard_iteratorINS9_11use_defaultEEEiNS9_4plusIvEEiEEDaPvRmT3_T4_T5_mT6_P12ihipStream_tbENKUlT_T0_E_clISt17integral_constantIbLb1EESX_EEDaSS_ST_EUlSS_E0_NS1_11comp_targetILNS1_3genE0ELNS1_11target_archE4294967295ELNS1_3gpuE0ELNS1_3repE0EEENS1_30default_config_static_selectorELNS0_4arch9wavefront6targetE1EEEvT1_.kd
    .uniform_work_group_size: 1
    .uses_dynamic_stack: false
    .vgpr_count:     0
    .vgpr_spill_count: 0
    .wavefront_size: 64
  - .agpr_count:     0
    .args:
      - .offset:         0
        .size:           40
        .value_kind:     by_value
    .group_segment_fixed_size: 0
    .kernarg_segment_align: 8
    .kernarg_segment_size: 40
    .language:       OpenCL C
    .language_version:
      - 2
      - 0
    .max_flat_workgroup_size: 256
    .name:           _ZN7rocprim17ROCPRIM_400000_NS6detail17trampoline_kernelINS0_14default_configENS1_20scan_config_selectorIiEEZZNS1_9scan_implILNS1_25lookback_scan_determinismE0ELb0ELb0ES3_N6thrust23THRUST_200600_302600_NS6detail15normal_iteratorINS9_10device_ptrIiEEEENS9_16discard_iteratorINS9_11use_defaultEEEiNS9_4plusIvEEiEEDaPvRmT3_T4_T5_mT6_P12ihipStream_tbENKUlT_T0_E_clISt17integral_constantIbLb1EESX_EEDaSS_ST_EUlSS_E0_NS1_11comp_targetILNS1_3genE5ELNS1_11target_archE942ELNS1_3gpuE9ELNS1_3repE0EEENS1_30default_config_static_selectorELNS0_4arch9wavefront6targetE1EEEvT1_
    .private_segment_fixed_size: 0
    .sgpr_count:     4
    .sgpr_spill_count: 0
    .symbol:         _ZN7rocprim17ROCPRIM_400000_NS6detail17trampoline_kernelINS0_14default_configENS1_20scan_config_selectorIiEEZZNS1_9scan_implILNS1_25lookback_scan_determinismE0ELb0ELb0ES3_N6thrust23THRUST_200600_302600_NS6detail15normal_iteratorINS9_10device_ptrIiEEEENS9_16discard_iteratorINS9_11use_defaultEEEiNS9_4plusIvEEiEEDaPvRmT3_T4_T5_mT6_P12ihipStream_tbENKUlT_T0_E_clISt17integral_constantIbLb1EESX_EEDaSS_ST_EUlSS_E0_NS1_11comp_targetILNS1_3genE5ELNS1_11target_archE942ELNS1_3gpuE9ELNS1_3repE0EEENS1_30default_config_static_selectorELNS0_4arch9wavefront6targetE1EEEvT1_.kd
    .uniform_work_group_size: 1
    .uses_dynamic_stack: false
    .vgpr_count:     0
    .vgpr_spill_count: 0
    .wavefront_size: 64
  - .agpr_count:     0
    .args:
      - .offset:         0
        .size:           40
        .value_kind:     by_value
    .group_segment_fixed_size: 5120
    .kernarg_segment_align: 8
    .kernarg_segment_size: 40
    .language:       OpenCL C
    .language_version:
      - 2
      - 0
    .max_flat_workgroup_size: 128
    .name:           _ZN7rocprim17ROCPRIM_400000_NS6detail17trampoline_kernelINS0_14default_configENS1_20scan_config_selectorIiEEZZNS1_9scan_implILNS1_25lookback_scan_determinismE0ELb0ELb0ES3_N6thrust23THRUST_200600_302600_NS6detail15normal_iteratorINS9_10device_ptrIiEEEENS9_16discard_iteratorINS9_11use_defaultEEEiNS9_4plusIvEEiEEDaPvRmT3_T4_T5_mT6_P12ihipStream_tbENKUlT_T0_E_clISt17integral_constantIbLb1EESX_EEDaSS_ST_EUlSS_E0_NS1_11comp_targetILNS1_3genE4ELNS1_11target_archE910ELNS1_3gpuE8ELNS1_3repE0EEENS1_30default_config_static_selectorELNS0_4arch9wavefront6targetE1EEEvT1_
    .private_segment_fixed_size: 0
    .sgpr_count:     10
    .sgpr_spill_count: 0
    .symbol:         _ZN7rocprim17ROCPRIM_400000_NS6detail17trampoline_kernelINS0_14default_configENS1_20scan_config_selectorIiEEZZNS1_9scan_implILNS1_25lookback_scan_determinismE0ELb0ELb0ES3_N6thrust23THRUST_200600_302600_NS6detail15normal_iteratorINS9_10device_ptrIiEEEENS9_16discard_iteratorINS9_11use_defaultEEEiNS9_4plusIvEEiEEDaPvRmT3_T4_T5_mT6_P12ihipStream_tbENKUlT_T0_E_clISt17integral_constantIbLb1EESX_EEDaSS_ST_EUlSS_E0_NS1_11comp_targetILNS1_3genE4ELNS1_11target_archE910ELNS1_3gpuE8ELNS1_3repE0EEENS1_30default_config_static_selectorELNS0_4arch9wavefront6targetE1EEEvT1_.kd
    .uniform_work_group_size: 1
    .uses_dynamic_stack: false
    .vgpr_count:     27
    .vgpr_spill_count: 0
    .wavefront_size: 64
  - .agpr_count:     0
    .args:
      - .offset:         0
        .size:           40
        .value_kind:     by_value
    .group_segment_fixed_size: 0
    .kernarg_segment_align: 8
    .kernarg_segment_size: 40
    .language:       OpenCL C
    .language_version:
      - 2
      - 0
    .max_flat_workgroup_size: 256
    .name:           _ZN7rocprim17ROCPRIM_400000_NS6detail17trampoline_kernelINS0_14default_configENS1_20scan_config_selectorIiEEZZNS1_9scan_implILNS1_25lookback_scan_determinismE0ELb0ELb0ES3_N6thrust23THRUST_200600_302600_NS6detail15normal_iteratorINS9_10device_ptrIiEEEENS9_16discard_iteratorINS9_11use_defaultEEEiNS9_4plusIvEEiEEDaPvRmT3_T4_T5_mT6_P12ihipStream_tbENKUlT_T0_E_clISt17integral_constantIbLb1EESX_EEDaSS_ST_EUlSS_E0_NS1_11comp_targetILNS1_3genE3ELNS1_11target_archE908ELNS1_3gpuE7ELNS1_3repE0EEENS1_30default_config_static_selectorELNS0_4arch9wavefront6targetE1EEEvT1_
    .private_segment_fixed_size: 0
    .sgpr_count:     4
    .sgpr_spill_count: 0
    .symbol:         _ZN7rocprim17ROCPRIM_400000_NS6detail17trampoline_kernelINS0_14default_configENS1_20scan_config_selectorIiEEZZNS1_9scan_implILNS1_25lookback_scan_determinismE0ELb0ELb0ES3_N6thrust23THRUST_200600_302600_NS6detail15normal_iteratorINS9_10device_ptrIiEEEENS9_16discard_iteratorINS9_11use_defaultEEEiNS9_4plusIvEEiEEDaPvRmT3_T4_T5_mT6_P12ihipStream_tbENKUlT_T0_E_clISt17integral_constantIbLb1EESX_EEDaSS_ST_EUlSS_E0_NS1_11comp_targetILNS1_3genE3ELNS1_11target_archE908ELNS1_3gpuE7ELNS1_3repE0EEENS1_30default_config_static_selectorELNS0_4arch9wavefront6targetE1EEEvT1_.kd
    .uniform_work_group_size: 1
    .uses_dynamic_stack: false
    .vgpr_count:     0
    .vgpr_spill_count: 0
    .wavefront_size: 64
  - .agpr_count:     0
    .args:
      - .offset:         0
        .size:           40
        .value_kind:     by_value
    .group_segment_fixed_size: 0
    .kernarg_segment_align: 8
    .kernarg_segment_size: 40
    .language:       OpenCL C
    .language_version:
      - 2
      - 0
    .max_flat_workgroup_size: 256
    .name:           _ZN7rocprim17ROCPRIM_400000_NS6detail17trampoline_kernelINS0_14default_configENS1_20scan_config_selectorIiEEZZNS1_9scan_implILNS1_25lookback_scan_determinismE0ELb0ELb0ES3_N6thrust23THRUST_200600_302600_NS6detail15normal_iteratorINS9_10device_ptrIiEEEENS9_16discard_iteratorINS9_11use_defaultEEEiNS9_4plusIvEEiEEDaPvRmT3_T4_T5_mT6_P12ihipStream_tbENKUlT_T0_E_clISt17integral_constantIbLb1EESX_EEDaSS_ST_EUlSS_E0_NS1_11comp_targetILNS1_3genE2ELNS1_11target_archE906ELNS1_3gpuE6ELNS1_3repE0EEENS1_30default_config_static_selectorELNS0_4arch9wavefront6targetE1EEEvT1_
    .private_segment_fixed_size: 0
    .sgpr_count:     4
    .sgpr_spill_count: 0
    .symbol:         _ZN7rocprim17ROCPRIM_400000_NS6detail17trampoline_kernelINS0_14default_configENS1_20scan_config_selectorIiEEZZNS1_9scan_implILNS1_25lookback_scan_determinismE0ELb0ELb0ES3_N6thrust23THRUST_200600_302600_NS6detail15normal_iteratorINS9_10device_ptrIiEEEENS9_16discard_iteratorINS9_11use_defaultEEEiNS9_4plusIvEEiEEDaPvRmT3_T4_T5_mT6_P12ihipStream_tbENKUlT_T0_E_clISt17integral_constantIbLb1EESX_EEDaSS_ST_EUlSS_E0_NS1_11comp_targetILNS1_3genE2ELNS1_11target_archE906ELNS1_3gpuE6ELNS1_3repE0EEENS1_30default_config_static_selectorELNS0_4arch9wavefront6targetE1EEEvT1_.kd
    .uniform_work_group_size: 1
    .uses_dynamic_stack: false
    .vgpr_count:     0
    .vgpr_spill_count: 0
    .wavefront_size: 64
  - .agpr_count:     0
    .args:
      - .offset:         0
        .size:           40
        .value_kind:     by_value
    .group_segment_fixed_size: 0
    .kernarg_segment_align: 8
    .kernarg_segment_size: 40
    .language:       OpenCL C
    .language_version:
      - 2
      - 0
    .max_flat_workgroup_size: 256
    .name:           _ZN7rocprim17ROCPRIM_400000_NS6detail17trampoline_kernelINS0_14default_configENS1_20scan_config_selectorIiEEZZNS1_9scan_implILNS1_25lookback_scan_determinismE0ELb0ELb0ES3_N6thrust23THRUST_200600_302600_NS6detail15normal_iteratorINS9_10device_ptrIiEEEENS9_16discard_iteratorINS9_11use_defaultEEEiNS9_4plusIvEEiEEDaPvRmT3_T4_T5_mT6_P12ihipStream_tbENKUlT_T0_E_clISt17integral_constantIbLb1EESX_EEDaSS_ST_EUlSS_E0_NS1_11comp_targetILNS1_3genE10ELNS1_11target_archE1201ELNS1_3gpuE5ELNS1_3repE0EEENS1_30default_config_static_selectorELNS0_4arch9wavefront6targetE1EEEvT1_
    .private_segment_fixed_size: 0
    .sgpr_count:     4
    .sgpr_spill_count: 0
    .symbol:         _ZN7rocprim17ROCPRIM_400000_NS6detail17trampoline_kernelINS0_14default_configENS1_20scan_config_selectorIiEEZZNS1_9scan_implILNS1_25lookback_scan_determinismE0ELb0ELb0ES3_N6thrust23THRUST_200600_302600_NS6detail15normal_iteratorINS9_10device_ptrIiEEEENS9_16discard_iteratorINS9_11use_defaultEEEiNS9_4plusIvEEiEEDaPvRmT3_T4_T5_mT6_P12ihipStream_tbENKUlT_T0_E_clISt17integral_constantIbLb1EESX_EEDaSS_ST_EUlSS_E0_NS1_11comp_targetILNS1_3genE10ELNS1_11target_archE1201ELNS1_3gpuE5ELNS1_3repE0EEENS1_30default_config_static_selectorELNS0_4arch9wavefront6targetE1EEEvT1_.kd
    .uniform_work_group_size: 1
    .uses_dynamic_stack: false
    .vgpr_count:     0
    .vgpr_spill_count: 0
    .wavefront_size: 64
  - .agpr_count:     0
    .args:
      - .offset:         0
        .size:           40
        .value_kind:     by_value
    .group_segment_fixed_size: 0
    .kernarg_segment_align: 8
    .kernarg_segment_size: 40
    .language:       OpenCL C
    .language_version:
      - 2
      - 0
    .max_flat_workgroup_size: 256
    .name:           _ZN7rocprim17ROCPRIM_400000_NS6detail17trampoline_kernelINS0_14default_configENS1_20scan_config_selectorIiEEZZNS1_9scan_implILNS1_25lookback_scan_determinismE0ELb0ELb0ES3_N6thrust23THRUST_200600_302600_NS6detail15normal_iteratorINS9_10device_ptrIiEEEENS9_16discard_iteratorINS9_11use_defaultEEEiNS9_4plusIvEEiEEDaPvRmT3_T4_T5_mT6_P12ihipStream_tbENKUlT_T0_E_clISt17integral_constantIbLb1EESX_EEDaSS_ST_EUlSS_E0_NS1_11comp_targetILNS1_3genE10ELNS1_11target_archE1200ELNS1_3gpuE4ELNS1_3repE0EEENS1_30default_config_static_selectorELNS0_4arch9wavefront6targetE1EEEvT1_
    .private_segment_fixed_size: 0
    .sgpr_count:     4
    .sgpr_spill_count: 0
    .symbol:         _ZN7rocprim17ROCPRIM_400000_NS6detail17trampoline_kernelINS0_14default_configENS1_20scan_config_selectorIiEEZZNS1_9scan_implILNS1_25lookback_scan_determinismE0ELb0ELb0ES3_N6thrust23THRUST_200600_302600_NS6detail15normal_iteratorINS9_10device_ptrIiEEEENS9_16discard_iteratorINS9_11use_defaultEEEiNS9_4plusIvEEiEEDaPvRmT3_T4_T5_mT6_P12ihipStream_tbENKUlT_T0_E_clISt17integral_constantIbLb1EESX_EEDaSS_ST_EUlSS_E0_NS1_11comp_targetILNS1_3genE10ELNS1_11target_archE1200ELNS1_3gpuE4ELNS1_3repE0EEENS1_30default_config_static_selectorELNS0_4arch9wavefront6targetE1EEEvT1_.kd
    .uniform_work_group_size: 1
    .uses_dynamic_stack: false
    .vgpr_count:     0
    .vgpr_spill_count: 0
    .wavefront_size: 64
  - .agpr_count:     0
    .args:
      - .offset:         0
        .size:           40
        .value_kind:     by_value
    .group_segment_fixed_size: 0
    .kernarg_segment_align: 8
    .kernarg_segment_size: 40
    .language:       OpenCL C
    .language_version:
      - 2
      - 0
    .max_flat_workgroup_size: 256
    .name:           _ZN7rocprim17ROCPRIM_400000_NS6detail17trampoline_kernelINS0_14default_configENS1_20scan_config_selectorIiEEZZNS1_9scan_implILNS1_25lookback_scan_determinismE0ELb0ELb0ES3_N6thrust23THRUST_200600_302600_NS6detail15normal_iteratorINS9_10device_ptrIiEEEENS9_16discard_iteratorINS9_11use_defaultEEEiNS9_4plusIvEEiEEDaPvRmT3_T4_T5_mT6_P12ihipStream_tbENKUlT_T0_E_clISt17integral_constantIbLb1EESX_EEDaSS_ST_EUlSS_E0_NS1_11comp_targetILNS1_3genE9ELNS1_11target_archE1100ELNS1_3gpuE3ELNS1_3repE0EEENS1_30default_config_static_selectorELNS0_4arch9wavefront6targetE1EEEvT1_
    .private_segment_fixed_size: 0
    .sgpr_count:     4
    .sgpr_spill_count: 0
    .symbol:         _ZN7rocprim17ROCPRIM_400000_NS6detail17trampoline_kernelINS0_14default_configENS1_20scan_config_selectorIiEEZZNS1_9scan_implILNS1_25lookback_scan_determinismE0ELb0ELb0ES3_N6thrust23THRUST_200600_302600_NS6detail15normal_iteratorINS9_10device_ptrIiEEEENS9_16discard_iteratorINS9_11use_defaultEEEiNS9_4plusIvEEiEEDaPvRmT3_T4_T5_mT6_P12ihipStream_tbENKUlT_T0_E_clISt17integral_constantIbLb1EESX_EEDaSS_ST_EUlSS_E0_NS1_11comp_targetILNS1_3genE9ELNS1_11target_archE1100ELNS1_3gpuE3ELNS1_3repE0EEENS1_30default_config_static_selectorELNS0_4arch9wavefront6targetE1EEEvT1_.kd
    .uniform_work_group_size: 1
    .uses_dynamic_stack: false
    .vgpr_count:     0
    .vgpr_spill_count: 0
    .wavefront_size: 64
  - .agpr_count:     0
    .args:
      - .offset:         0
        .size:           40
        .value_kind:     by_value
    .group_segment_fixed_size: 0
    .kernarg_segment_align: 8
    .kernarg_segment_size: 40
    .language:       OpenCL C
    .language_version:
      - 2
      - 0
    .max_flat_workgroup_size: 64
    .name:           _ZN7rocprim17ROCPRIM_400000_NS6detail17trampoline_kernelINS0_14default_configENS1_20scan_config_selectorIiEEZZNS1_9scan_implILNS1_25lookback_scan_determinismE0ELb0ELb0ES3_N6thrust23THRUST_200600_302600_NS6detail15normal_iteratorINS9_10device_ptrIiEEEENS9_16discard_iteratorINS9_11use_defaultEEEiNS9_4plusIvEEiEEDaPvRmT3_T4_T5_mT6_P12ihipStream_tbENKUlT_T0_E_clISt17integral_constantIbLb1EESX_EEDaSS_ST_EUlSS_E0_NS1_11comp_targetILNS1_3genE8ELNS1_11target_archE1030ELNS1_3gpuE2ELNS1_3repE0EEENS1_30default_config_static_selectorELNS0_4arch9wavefront6targetE1EEEvT1_
    .private_segment_fixed_size: 0
    .sgpr_count:     4
    .sgpr_spill_count: 0
    .symbol:         _ZN7rocprim17ROCPRIM_400000_NS6detail17trampoline_kernelINS0_14default_configENS1_20scan_config_selectorIiEEZZNS1_9scan_implILNS1_25lookback_scan_determinismE0ELb0ELb0ES3_N6thrust23THRUST_200600_302600_NS6detail15normal_iteratorINS9_10device_ptrIiEEEENS9_16discard_iteratorINS9_11use_defaultEEEiNS9_4plusIvEEiEEDaPvRmT3_T4_T5_mT6_P12ihipStream_tbENKUlT_T0_E_clISt17integral_constantIbLb1EESX_EEDaSS_ST_EUlSS_E0_NS1_11comp_targetILNS1_3genE8ELNS1_11target_archE1030ELNS1_3gpuE2ELNS1_3repE0EEENS1_30default_config_static_selectorELNS0_4arch9wavefront6targetE1EEEvT1_.kd
    .uniform_work_group_size: 1
    .uses_dynamic_stack: false
    .vgpr_count:     0
    .vgpr_spill_count: 0
    .wavefront_size: 64
  - .agpr_count:     0
    .args:
      - .offset:         0
        .size:           104
        .value_kind:     by_value
    .group_segment_fixed_size: 0
    .kernarg_segment_align: 8
    .kernarg_segment_size: 104
    .language:       OpenCL C
    .language_version:
      - 2
      - 0
    .max_flat_workgroup_size: 256
    .name:           _ZN7rocprim17ROCPRIM_400000_NS6detail17trampoline_kernelINS0_14default_configENS1_20scan_config_selectorIiEEZZNS1_9scan_implILNS1_25lookback_scan_determinismE0ELb0ELb0ES3_N6thrust23THRUST_200600_302600_NS6detail15normal_iteratorINS9_10device_ptrIiEEEENS9_16discard_iteratorINS9_11use_defaultEEEiNS9_4plusIvEEiEEDaPvRmT3_T4_T5_mT6_P12ihipStream_tbENKUlT_T0_E_clISt17integral_constantIbLb1EESW_IbLb0EEEEDaSS_ST_EUlSS_E_NS1_11comp_targetILNS1_3genE0ELNS1_11target_archE4294967295ELNS1_3gpuE0ELNS1_3repE0EEENS1_30default_config_static_selectorELNS0_4arch9wavefront6targetE1EEEvT1_
    .private_segment_fixed_size: 0
    .sgpr_count:     4
    .sgpr_spill_count: 0
    .symbol:         _ZN7rocprim17ROCPRIM_400000_NS6detail17trampoline_kernelINS0_14default_configENS1_20scan_config_selectorIiEEZZNS1_9scan_implILNS1_25lookback_scan_determinismE0ELb0ELb0ES3_N6thrust23THRUST_200600_302600_NS6detail15normal_iteratorINS9_10device_ptrIiEEEENS9_16discard_iteratorINS9_11use_defaultEEEiNS9_4plusIvEEiEEDaPvRmT3_T4_T5_mT6_P12ihipStream_tbENKUlT_T0_E_clISt17integral_constantIbLb1EESW_IbLb0EEEEDaSS_ST_EUlSS_E_NS1_11comp_targetILNS1_3genE0ELNS1_11target_archE4294967295ELNS1_3gpuE0ELNS1_3repE0EEENS1_30default_config_static_selectorELNS0_4arch9wavefront6targetE1EEEvT1_.kd
    .uniform_work_group_size: 1
    .uses_dynamic_stack: false
    .vgpr_count:     0
    .vgpr_spill_count: 0
    .wavefront_size: 64
  - .agpr_count:     0
    .args:
      - .offset:         0
        .size:           104
        .value_kind:     by_value
    .group_segment_fixed_size: 0
    .kernarg_segment_align: 8
    .kernarg_segment_size: 104
    .language:       OpenCL C
    .language_version:
      - 2
      - 0
    .max_flat_workgroup_size: 256
    .name:           _ZN7rocprim17ROCPRIM_400000_NS6detail17trampoline_kernelINS0_14default_configENS1_20scan_config_selectorIiEEZZNS1_9scan_implILNS1_25lookback_scan_determinismE0ELb0ELb0ES3_N6thrust23THRUST_200600_302600_NS6detail15normal_iteratorINS9_10device_ptrIiEEEENS9_16discard_iteratorINS9_11use_defaultEEEiNS9_4plusIvEEiEEDaPvRmT3_T4_T5_mT6_P12ihipStream_tbENKUlT_T0_E_clISt17integral_constantIbLb1EESW_IbLb0EEEEDaSS_ST_EUlSS_E_NS1_11comp_targetILNS1_3genE5ELNS1_11target_archE942ELNS1_3gpuE9ELNS1_3repE0EEENS1_30default_config_static_selectorELNS0_4arch9wavefront6targetE1EEEvT1_
    .private_segment_fixed_size: 0
    .sgpr_count:     4
    .sgpr_spill_count: 0
    .symbol:         _ZN7rocprim17ROCPRIM_400000_NS6detail17trampoline_kernelINS0_14default_configENS1_20scan_config_selectorIiEEZZNS1_9scan_implILNS1_25lookback_scan_determinismE0ELb0ELb0ES3_N6thrust23THRUST_200600_302600_NS6detail15normal_iteratorINS9_10device_ptrIiEEEENS9_16discard_iteratorINS9_11use_defaultEEEiNS9_4plusIvEEiEEDaPvRmT3_T4_T5_mT6_P12ihipStream_tbENKUlT_T0_E_clISt17integral_constantIbLb1EESW_IbLb0EEEEDaSS_ST_EUlSS_E_NS1_11comp_targetILNS1_3genE5ELNS1_11target_archE942ELNS1_3gpuE9ELNS1_3repE0EEENS1_30default_config_static_selectorELNS0_4arch9wavefront6targetE1EEEvT1_.kd
    .uniform_work_group_size: 1
    .uses_dynamic_stack: false
    .vgpr_count:     0
    .vgpr_spill_count: 0
    .wavefront_size: 64
  - .agpr_count:     0
    .args:
      - .offset:         0
        .size:           104
        .value_kind:     by_value
    .group_segment_fixed_size: 5120
    .kernarg_segment_align: 8
    .kernarg_segment_size: 104
    .language:       OpenCL C
    .language_version:
      - 2
      - 0
    .max_flat_workgroup_size: 128
    .name:           _ZN7rocprim17ROCPRIM_400000_NS6detail17trampoline_kernelINS0_14default_configENS1_20scan_config_selectorIiEEZZNS1_9scan_implILNS1_25lookback_scan_determinismE0ELb0ELb0ES3_N6thrust23THRUST_200600_302600_NS6detail15normal_iteratorINS9_10device_ptrIiEEEENS9_16discard_iteratorINS9_11use_defaultEEEiNS9_4plusIvEEiEEDaPvRmT3_T4_T5_mT6_P12ihipStream_tbENKUlT_T0_E_clISt17integral_constantIbLb1EESW_IbLb0EEEEDaSS_ST_EUlSS_E_NS1_11comp_targetILNS1_3genE4ELNS1_11target_archE910ELNS1_3gpuE8ELNS1_3repE0EEENS1_30default_config_static_selectorELNS0_4arch9wavefront6targetE1EEEvT1_
    .private_segment_fixed_size: 0
    .sgpr_count:     26
    .sgpr_spill_count: 0
    .symbol:         _ZN7rocprim17ROCPRIM_400000_NS6detail17trampoline_kernelINS0_14default_configENS1_20scan_config_selectorIiEEZZNS1_9scan_implILNS1_25lookback_scan_determinismE0ELb0ELb0ES3_N6thrust23THRUST_200600_302600_NS6detail15normal_iteratorINS9_10device_ptrIiEEEENS9_16discard_iteratorINS9_11use_defaultEEEiNS9_4plusIvEEiEEDaPvRmT3_T4_T5_mT6_P12ihipStream_tbENKUlT_T0_E_clISt17integral_constantIbLb1EESW_IbLb0EEEEDaSS_ST_EUlSS_E_NS1_11comp_targetILNS1_3genE4ELNS1_11target_archE910ELNS1_3gpuE8ELNS1_3repE0EEENS1_30default_config_static_selectorELNS0_4arch9wavefront6targetE1EEEvT1_.kd
    .uniform_work_group_size: 1
    .uses_dynamic_stack: false
    .vgpr_count:     39
    .vgpr_spill_count: 0
    .wavefront_size: 64
  - .agpr_count:     0
    .args:
      - .offset:         0
        .size:           104
        .value_kind:     by_value
    .group_segment_fixed_size: 0
    .kernarg_segment_align: 8
    .kernarg_segment_size: 104
    .language:       OpenCL C
    .language_version:
      - 2
      - 0
    .max_flat_workgroup_size: 256
    .name:           _ZN7rocprim17ROCPRIM_400000_NS6detail17trampoline_kernelINS0_14default_configENS1_20scan_config_selectorIiEEZZNS1_9scan_implILNS1_25lookback_scan_determinismE0ELb0ELb0ES3_N6thrust23THRUST_200600_302600_NS6detail15normal_iteratorINS9_10device_ptrIiEEEENS9_16discard_iteratorINS9_11use_defaultEEEiNS9_4plusIvEEiEEDaPvRmT3_T4_T5_mT6_P12ihipStream_tbENKUlT_T0_E_clISt17integral_constantIbLb1EESW_IbLb0EEEEDaSS_ST_EUlSS_E_NS1_11comp_targetILNS1_3genE3ELNS1_11target_archE908ELNS1_3gpuE7ELNS1_3repE0EEENS1_30default_config_static_selectorELNS0_4arch9wavefront6targetE1EEEvT1_
    .private_segment_fixed_size: 0
    .sgpr_count:     4
    .sgpr_spill_count: 0
    .symbol:         _ZN7rocprim17ROCPRIM_400000_NS6detail17trampoline_kernelINS0_14default_configENS1_20scan_config_selectorIiEEZZNS1_9scan_implILNS1_25lookback_scan_determinismE0ELb0ELb0ES3_N6thrust23THRUST_200600_302600_NS6detail15normal_iteratorINS9_10device_ptrIiEEEENS9_16discard_iteratorINS9_11use_defaultEEEiNS9_4plusIvEEiEEDaPvRmT3_T4_T5_mT6_P12ihipStream_tbENKUlT_T0_E_clISt17integral_constantIbLb1EESW_IbLb0EEEEDaSS_ST_EUlSS_E_NS1_11comp_targetILNS1_3genE3ELNS1_11target_archE908ELNS1_3gpuE7ELNS1_3repE0EEENS1_30default_config_static_selectorELNS0_4arch9wavefront6targetE1EEEvT1_.kd
    .uniform_work_group_size: 1
    .uses_dynamic_stack: false
    .vgpr_count:     0
    .vgpr_spill_count: 0
    .wavefront_size: 64
  - .agpr_count:     0
    .args:
      - .offset:         0
        .size:           104
        .value_kind:     by_value
    .group_segment_fixed_size: 0
    .kernarg_segment_align: 8
    .kernarg_segment_size: 104
    .language:       OpenCL C
    .language_version:
      - 2
      - 0
    .max_flat_workgroup_size: 256
    .name:           _ZN7rocprim17ROCPRIM_400000_NS6detail17trampoline_kernelINS0_14default_configENS1_20scan_config_selectorIiEEZZNS1_9scan_implILNS1_25lookback_scan_determinismE0ELb0ELb0ES3_N6thrust23THRUST_200600_302600_NS6detail15normal_iteratorINS9_10device_ptrIiEEEENS9_16discard_iteratorINS9_11use_defaultEEEiNS9_4plusIvEEiEEDaPvRmT3_T4_T5_mT6_P12ihipStream_tbENKUlT_T0_E_clISt17integral_constantIbLb1EESW_IbLb0EEEEDaSS_ST_EUlSS_E_NS1_11comp_targetILNS1_3genE2ELNS1_11target_archE906ELNS1_3gpuE6ELNS1_3repE0EEENS1_30default_config_static_selectorELNS0_4arch9wavefront6targetE1EEEvT1_
    .private_segment_fixed_size: 0
    .sgpr_count:     4
    .sgpr_spill_count: 0
    .symbol:         _ZN7rocprim17ROCPRIM_400000_NS6detail17trampoline_kernelINS0_14default_configENS1_20scan_config_selectorIiEEZZNS1_9scan_implILNS1_25lookback_scan_determinismE0ELb0ELb0ES3_N6thrust23THRUST_200600_302600_NS6detail15normal_iteratorINS9_10device_ptrIiEEEENS9_16discard_iteratorINS9_11use_defaultEEEiNS9_4plusIvEEiEEDaPvRmT3_T4_T5_mT6_P12ihipStream_tbENKUlT_T0_E_clISt17integral_constantIbLb1EESW_IbLb0EEEEDaSS_ST_EUlSS_E_NS1_11comp_targetILNS1_3genE2ELNS1_11target_archE906ELNS1_3gpuE6ELNS1_3repE0EEENS1_30default_config_static_selectorELNS0_4arch9wavefront6targetE1EEEvT1_.kd
    .uniform_work_group_size: 1
    .uses_dynamic_stack: false
    .vgpr_count:     0
    .vgpr_spill_count: 0
    .wavefront_size: 64
  - .agpr_count:     0
    .args:
      - .offset:         0
        .size:           104
        .value_kind:     by_value
    .group_segment_fixed_size: 0
    .kernarg_segment_align: 8
    .kernarg_segment_size: 104
    .language:       OpenCL C
    .language_version:
      - 2
      - 0
    .max_flat_workgroup_size: 256
    .name:           _ZN7rocprim17ROCPRIM_400000_NS6detail17trampoline_kernelINS0_14default_configENS1_20scan_config_selectorIiEEZZNS1_9scan_implILNS1_25lookback_scan_determinismE0ELb0ELb0ES3_N6thrust23THRUST_200600_302600_NS6detail15normal_iteratorINS9_10device_ptrIiEEEENS9_16discard_iteratorINS9_11use_defaultEEEiNS9_4plusIvEEiEEDaPvRmT3_T4_T5_mT6_P12ihipStream_tbENKUlT_T0_E_clISt17integral_constantIbLb1EESW_IbLb0EEEEDaSS_ST_EUlSS_E_NS1_11comp_targetILNS1_3genE10ELNS1_11target_archE1201ELNS1_3gpuE5ELNS1_3repE0EEENS1_30default_config_static_selectorELNS0_4arch9wavefront6targetE1EEEvT1_
    .private_segment_fixed_size: 0
    .sgpr_count:     4
    .sgpr_spill_count: 0
    .symbol:         _ZN7rocprim17ROCPRIM_400000_NS6detail17trampoline_kernelINS0_14default_configENS1_20scan_config_selectorIiEEZZNS1_9scan_implILNS1_25lookback_scan_determinismE0ELb0ELb0ES3_N6thrust23THRUST_200600_302600_NS6detail15normal_iteratorINS9_10device_ptrIiEEEENS9_16discard_iteratorINS9_11use_defaultEEEiNS9_4plusIvEEiEEDaPvRmT3_T4_T5_mT6_P12ihipStream_tbENKUlT_T0_E_clISt17integral_constantIbLb1EESW_IbLb0EEEEDaSS_ST_EUlSS_E_NS1_11comp_targetILNS1_3genE10ELNS1_11target_archE1201ELNS1_3gpuE5ELNS1_3repE0EEENS1_30default_config_static_selectorELNS0_4arch9wavefront6targetE1EEEvT1_.kd
    .uniform_work_group_size: 1
    .uses_dynamic_stack: false
    .vgpr_count:     0
    .vgpr_spill_count: 0
    .wavefront_size: 64
  - .agpr_count:     0
    .args:
      - .offset:         0
        .size:           104
        .value_kind:     by_value
    .group_segment_fixed_size: 0
    .kernarg_segment_align: 8
    .kernarg_segment_size: 104
    .language:       OpenCL C
    .language_version:
      - 2
      - 0
    .max_flat_workgroup_size: 256
    .name:           _ZN7rocprim17ROCPRIM_400000_NS6detail17trampoline_kernelINS0_14default_configENS1_20scan_config_selectorIiEEZZNS1_9scan_implILNS1_25lookback_scan_determinismE0ELb0ELb0ES3_N6thrust23THRUST_200600_302600_NS6detail15normal_iteratorINS9_10device_ptrIiEEEENS9_16discard_iteratorINS9_11use_defaultEEEiNS9_4plusIvEEiEEDaPvRmT3_T4_T5_mT6_P12ihipStream_tbENKUlT_T0_E_clISt17integral_constantIbLb1EESW_IbLb0EEEEDaSS_ST_EUlSS_E_NS1_11comp_targetILNS1_3genE10ELNS1_11target_archE1200ELNS1_3gpuE4ELNS1_3repE0EEENS1_30default_config_static_selectorELNS0_4arch9wavefront6targetE1EEEvT1_
    .private_segment_fixed_size: 0
    .sgpr_count:     4
    .sgpr_spill_count: 0
    .symbol:         _ZN7rocprim17ROCPRIM_400000_NS6detail17trampoline_kernelINS0_14default_configENS1_20scan_config_selectorIiEEZZNS1_9scan_implILNS1_25lookback_scan_determinismE0ELb0ELb0ES3_N6thrust23THRUST_200600_302600_NS6detail15normal_iteratorINS9_10device_ptrIiEEEENS9_16discard_iteratorINS9_11use_defaultEEEiNS9_4plusIvEEiEEDaPvRmT3_T4_T5_mT6_P12ihipStream_tbENKUlT_T0_E_clISt17integral_constantIbLb1EESW_IbLb0EEEEDaSS_ST_EUlSS_E_NS1_11comp_targetILNS1_3genE10ELNS1_11target_archE1200ELNS1_3gpuE4ELNS1_3repE0EEENS1_30default_config_static_selectorELNS0_4arch9wavefront6targetE1EEEvT1_.kd
    .uniform_work_group_size: 1
    .uses_dynamic_stack: false
    .vgpr_count:     0
    .vgpr_spill_count: 0
    .wavefront_size: 64
  - .agpr_count:     0
    .args:
      - .offset:         0
        .size:           104
        .value_kind:     by_value
    .group_segment_fixed_size: 0
    .kernarg_segment_align: 8
    .kernarg_segment_size: 104
    .language:       OpenCL C
    .language_version:
      - 2
      - 0
    .max_flat_workgroup_size: 256
    .name:           _ZN7rocprim17ROCPRIM_400000_NS6detail17trampoline_kernelINS0_14default_configENS1_20scan_config_selectorIiEEZZNS1_9scan_implILNS1_25lookback_scan_determinismE0ELb0ELb0ES3_N6thrust23THRUST_200600_302600_NS6detail15normal_iteratorINS9_10device_ptrIiEEEENS9_16discard_iteratorINS9_11use_defaultEEEiNS9_4plusIvEEiEEDaPvRmT3_T4_T5_mT6_P12ihipStream_tbENKUlT_T0_E_clISt17integral_constantIbLb1EESW_IbLb0EEEEDaSS_ST_EUlSS_E_NS1_11comp_targetILNS1_3genE9ELNS1_11target_archE1100ELNS1_3gpuE3ELNS1_3repE0EEENS1_30default_config_static_selectorELNS0_4arch9wavefront6targetE1EEEvT1_
    .private_segment_fixed_size: 0
    .sgpr_count:     4
    .sgpr_spill_count: 0
    .symbol:         _ZN7rocprim17ROCPRIM_400000_NS6detail17trampoline_kernelINS0_14default_configENS1_20scan_config_selectorIiEEZZNS1_9scan_implILNS1_25lookback_scan_determinismE0ELb0ELb0ES3_N6thrust23THRUST_200600_302600_NS6detail15normal_iteratorINS9_10device_ptrIiEEEENS9_16discard_iteratorINS9_11use_defaultEEEiNS9_4plusIvEEiEEDaPvRmT3_T4_T5_mT6_P12ihipStream_tbENKUlT_T0_E_clISt17integral_constantIbLb1EESW_IbLb0EEEEDaSS_ST_EUlSS_E_NS1_11comp_targetILNS1_3genE9ELNS1_11target_archE1100ELNS1_3gpuE3ELNS1_3repE0EEENS1_30default_config_static_selectorELNS0_4arch9wavefront6targetE1EEEvT1_.kd
    .uniform_work_group_size: 1
    .uses_dynamic_stack: false
    .vgpr_count:     0
    .vgpr_spill_count: 0
    .wavefront_size: 64
  - .agpr_count:     0
    .args:
      - .offset:         0
        .size:           104
        .value_kind:     by_value
    .group_segment_fixed_size: 0
    .kernarg_segment_align: 8
    .kernarg_segment_size: 104
    .language:       OpenCL C
    .language_version:
      - 2
      - 0
    .max_flat_workgroup_size: 64
    .name:           _ZN7rocprim17ROCPRIM_400000_NS6detail17trampoline_kernelINS0_14default_configENS1_20scan_config_selectorIiEEZZNS1_9scan_implILNS1_25lookback_scan_determinismE0ELb0ELb0ES3_N6thrust23THRUST_200600_302600_NS6detail15normal_iteratorINS9_10device_ptrIiEEEENS9_16discard_iteratorINS9_11use_defaultEEEiNS9_4plusIvEEiEEDaPvRmT3_T4_T5_mT6_P12ihipStream_tbENKUlT_T0_E_clISt17integral_constantIbLb1EESW_IbLb0EEEEDaSS_ST_EUlSS_E_NS1_11comp_targetILNS1_3genE8ELNS1_11target_archE1030ELNS1_3gpuE2ELNS1_3repE0EEENS1_30default_config_static_selectorELNS0_4arch9wavefront6targetE1EEEvT1_
    .private_segment_fixed_size: 0
    .sgpr_count:     4
    .sgpr_spill_count: 0
    .symbol:         _ZN7rocprim17ROCPRIM_400000_NS6detail17trampoline_kernelINS0_14default_configENS1_20scan_config_selectorIiEEZZNS1_9scan_implILNS1_25lookback_scan_determinismE0ELb0ELb0ES3_N6thrust23THRUST_200600_302600_NS6detail15normal_iteratorINS9_10device_ptrIiEEEENS9_16discard_iteratorINS9_11use_defaultEEEiNS9_4plusIvEEiEEDaPvRmT3_T4_T5_mT6_P12ihipStream_tbENKUlT_T0_E_clISt17integral_constantIbLb1EESW_IbLb0EEEEDaSS_ST_EUlSS_E_NS1_11comp_targetILNS1_3genE8ELNS1_11target_archE1030ELNS1_3gpuE2ELNS1_3repE0EEENS1_30default_config_static_selectorELNS0_4arch9wavefront6targetE1EEEvT1_.kd
    .uniform_work_group_size: 1
    .uses_dynamic_stack: false
    .vgpr_count:     0
    .vgpr_spill_count: 0
    .wavefront_size: 64
  - .agpr_count:     0
    .args:
      - .offset:         0
        .size:           40
        .value_kind:     by_value
    .group_segment_fixed_size: 0
    .kernarg_segment_align: 8
    .kernarg_segment_size: 40
    .language:       OpenCL C
    .language_version:
      - 2
      - 0
    .max_flat_workgroup_size: 256
    .name:           _ZN7rocprim17ROCPRIM_400000_NS6detail17trampoline_kernelINS0_14default_configENS1_20scan_config_selectorIiEEZZNS1_9scan_implILNS1_25lookback_scan_determinismE0ELb0ELb0ES3_N6thrust23THRUST_200600_302600_NS6detail15normal_iteratorINS9_10device_ptrIiEEEENS9_16discard_iteratorINS9_11use_defaultEEEiNS9_4plusIvEEiEEDaPvRmT3_T4_T5_mT6_P12ihipStream_tbENKUlT_T0_E_clISt17integral_constantIbLb1EESW_IbLb0EEEEDaSS_ST_EUlSS_E0_NS1_11comp_targetILNS1_3genE0ELNS1_11target_archE4294967295ELNS1_3gpuE0ELNS1_3repE0EEENS1_30default_config_static_selectorELNS0_4arch9wavefront6targetE1EEEvT1_
    .private_segment_fixed_size: 0
    .sgpr_count:     4
    .sgpr_spill_count: 0
    .symbol:         _ZN7rocprim17ROCPRIM_400000_NS6detail17trampoline_kernelINS0_14default_configENS1_20scan_config_selectorIiEEZZNS1_9scan_implILNS1_25lookback_scan_determinismE0ELb0ELb0ES3_N6thrust23THRUST_200600_302600_NS6detail15normal_iteratorINS9_10device_ptrIiEEEENS9_16discard_iteratorINS9_11use_defaultEEEiNS9_4plusIvEEiEEDaPvRmT3_T4_T5_mT6_P12ihipStream_tbENKUlT_T0_E_clISt17integral_constantIbLb1EESW_IbLb0EEEEDaSS_ST_EUlSS_E0_NS1_11comp_targetILNS1_3genE0ELNS1_11target_archE4294967295ELNS1_3gpuE0ELNS1_3repE0EEENS1_30default_config_static_selectorELNS0_4arch9wavefront6targetE1EEEvT1_.kd
    .uniform_work_group_size: 1
    .uses_dynamic_stack: false
    .vgpr_count:     0
    .vgpr_spill_count: 0
    .wavefront_size: 64
  - .agpr_count:     0
    .args:
      - .offset:         0
        .size:           40
        .value_kind:     by_value
    .group_segment_fixed_size: 0
    .kernarg_segment_align: 8
    .kernarg_segment_size: 40
    .language:       OpenCL C
    .language_version:
      - 2
      - 0
    .max_flat_workgroup_size: 256
    .name:           _ZN7rocprim17ROCPRIM_400000_NS6detail17trampoline_kernelINS0_14default_configENS1_20scan_config_selectorIiEEZZNS1_9scan_implILNS1_25lookback_scan_determinismE0ELb0ELb0ES3_N6thrust23THRUST_200600_302600_NS6detail15normal_iteratorINS9_10device_ptrIiEEEENS9_16discard_iteratorINS9_11use_defaultEEEiNS9_4plusIvEEiEEDaPvRmT3_T4_T5_mT6_P12ihipStream_tbENKUlT_T0_E_clISt17integral_constantIbLb1EESW_IbLb0EEEEDaSS_ST_EUlSS_E0_NS1_11comp_targetILNS1_3genE5ELNS1_11target_archE942ELNS1_3gpuE9ELNS1_3repE0EEENS1_30default_config_static_selectorELNS0_4arch9wavefront6targetE1EEEvT1_
    .private_segment_fixed_size: 0
    .sgpr_count:     4
    .sgpr_spill_count: 0
    .symbol:         _ZN7rocprim17ROCPRIM_400000_NS6detail17trampoline_kernelINS0_14default_configENS1_20scan_config_selectorIiEEZZNS1_9scan_implILNS1_25lookback_scan_determinismE0ELb0ELb0ES3_N6thrust23THRUST_200600_302600_NS6detail15normal_iteratorINS9_10device_ptrIiEEEENS9_16discard_iteratorINS9_11use_defaultEEEiNS9_4plusIvEEiEEDaPvRmT3_T4_T5_mT6_P12ihipStream_tbENKUlT_T0_E_clISt17integral_constantIbLb1EESW_IbLb0EEEEDaSS_ST_EUlSS_E0_NS1_11comp_targetILNS1_3genE5ELNS1_11target_archE942ELNS1_3gpuE9ELNS1_3repE0EEENS1_30default_config_static_selectorELNS0_4arch9wavefront6targetE1EEEvT1_.kd
    .uniform_work_group_size: 1
    .uses_dynamic_stack: false
    .vgpr_count:     0
    .vgpr_spill_count: 0
    .wavefront_size: 64
  - .agpr_count:     0
    .args:
      - .offset:         0
        .size:           40
        .value_kind:     by_value
    .group_segment_fixed_size: 5120
    .kernarg_segment_align: 8
    .kernarg_segment_size: 40
    .language:       OpenCL C
    .language_version:
      - 2
      - 0
    .max_flat_workgroup_size: 128
    .name:           _ZN7rocprim17ROCPRIM_400000_NS6detail17trampoline_kernelINS0_14default_configENS1_20scan_config_selectorIiEEZZNS1_9scan_implILNS1_25lookback_scan_determinismE0ELb0ELb0ES3_N6thrust23THRUST_200600_302600_NS6detail15normal_iteratorINS9_10device_ptrIiEEEENS9_16discard_iteratorINS9_11use_defaultEEEiNS9_4plusIvEEiEEDaPvRmT3_T4_T5_mT6_P12ihipStream_tbENKUlT_T0_E_clISt17integral_constantIbLb1EESW_IbLb0EEEEDaSS_ST_EUlSS_E0_NS1_11comp_targetILNS1_3genE4ELNS1_11target_archE910ELNS1_3gpuE8ELNS1_3repE0EEENS1_30default_config_static_selectorELNS0_4arch9wavefront6targetE1EEEvT1_
    .private_segment_fixed_size: 0
    .sgpr_count:     10
    .sgpr_spill_count: 0
    .symbol:         _ZN7rocprim17ROCPRIM_400000_NS6detail17trampoline_kernelINS0_14default_configENS1_20scan_config_selectorIiEEZZNS1_9scan_implILNS1_25lookback_scan_determinismE0ELb0ELb0ES3_N6thrust23THRUST_200600_302600_NS6detail15normal_iteratorINS9_10device_ptrIiEEEENS9_16discard_iteratorINS9_11use_defaultEEEiNS9_4plusIvEEiEEDaPvRmT3_T4_T5_mT6_P12ihipStream_tbENKUlT_T0_E_clISt17integral_constantIbLb1EESW_IbLb0EEEEDaSS_ST_EUlSS_E0_NS1_11comp_targetILNS1_3genE4ELNS1_11target_archE910ELNS1_3gpuE8ELNS1_3repE0EEENS1_30default_config_static_selectorELNS0_4arch9wavefront6targetE1EEEvT1_.kd
    .uniform_work_group_size: 1
    .uses_dynamic_stack: false
    .vgpr_count:     27
    .vgpr_spill_count: 0
    .wavefront_size: 64
  - .agpr_count:     0
    .args:
      - .offset:         0
        .size:           40
        .value_kind:     by_value
    .group_segment_fixed_size: 0
    .kernarg_segment_align: 8
    .kernarg_segment_size: 40
    .language:       OpenCL C
    .language_version:
      - 2
      - 0
    .max_flat_workgroup_size: 256
    .name:           _ZN7rocprim17ROCPRIM_400000_NS6detail17trampoline_kernelINS0_14default_configENS1_20scan_config_selectorIiEEZZNS1_9scan_implILNS1_25lookback_scan_determinismE0ELb0ELb0ES3_N6thrust23THRUST_200600_302600_NS6detail15normal_iteratorINS9_10device_ptrIiEEEENS9_16discard_iteratorINS9_11use_defaultEEEiNS9_4plusIvEEiEEDaPvRmT3_T4_T5_mT6_P12ihipStream_tbENKUlT_T0_E_clISt17integral_constantIbLb1EESW_IbLb0EEEEDaSS_ST_EUlSS_E0_NS1_11comp_targetILNS1_3genE3ELNS1_11target_archE908ELNS1_3gpuE7ELNS1_3repE0EEENS1_30default_config_static_selectorELNS0_4arch9wavefront6targetE1EEEvT1_
    .private_segment_fixed_size: 0
    .sgpr_count:     4
    .sgpr_spill_count: 0
    .symbol:         _ZN7rocprim17ROCPRIM_400000_NS6detail17trampoline_kernelINS0_14default_configENS1_20scan_config_selectorIiEEZZNS1_9scan_implILNS1_25lookback_scan_determinismE0ELb0ELb0ES3_N6thrust23THRUST_200600_302600_NS6detail15normal_iteratorINS9_10device_ptrIiEEEENS9_16discard_iteratorINS9_11use_defaultEEEiNS9_4plusIvEEiEEDaPvRmT3_T4_T5_mT6_P12ihipStream_tbENKUlT_T0_E_clISt17integral_constantIbLb1EESW_IbLb0EEEEDaSS_ST_EUlSS_E0_NS1_11comp_targetILNS1_3genE3ELNS1_11target_archE908ELNS1_3gpuE7ELNS1_3repE0EEENS1_30default_config_static_selectorELNS0_4arch9wavefront6targetE1EEEvT1_.kd
    .uniform_work_group_size: 1
    .uses_dynamic_stack: false
    .vgpr_count:     0
    .vgpr_spill_count: 0
    .wavefront_size: 64
  - .agpr_count:     0
    .args:
      - .offset:         0
        .size:           40
        .value_kind:     by_value
    .group_segment_fixed_size: 0
    .kernarg_segment_align: 8
    .kernarg_segment_size: 40
    .language:       OpenCL C
    .language_version:
      - 2
      - 0
    .max_flat_workgroup_size: 256
    .name:           _ZN7rocprim17ROCPRIM_400000_NS6detail17trampoline_kernelINS0_14default_configENS1_20scan_config_selectorIiEEZZNS1_9scan_implILNS1_25lookback_scan_determinismE0ELb0ELb0ES3_N6thrust23THRUST_200600_302600_NS6detail15normal_iteratorINS9_10device_ptrIiEEEENS9_16discard_iteratorINS9_11use_defaultEEEiNS9_4plusIvEEiEEDaPvRmT3_T4_T5_mT6_P12ihipStream_tbENKUlT_T0_E_clISt17integral_constantIbLb1EESW_IbLb0EEEEDaSS_ST_EUlSS_E0_NS1_11comp_targetILNS1_3genE2ELNS1_11target_archE906ELNS1_3gpuE6ELNS1_3repE0EEENS1_30default_config_static_selectorELNS0_4arch9wavefront6targetE1EEEvT1_
    .private_segment_fixed_size: 0
    .sgpr_count:     4
    .sgpr_spill_count: 0
    .symbol:         _ZN7rocprim17ROCPRIM_400000_NS6detail17trampoline_kernelINS0_14default_configENS1_20scan_config_selectorIiEEZZNS1_9scan_implILNS1_25lookback_scan_determinismE0ELb0ELb0ES3_N6thrust23THRUST_200600_302600_NS6detail15normal_iteratorINS9_10device_ptrIiEEEENS9_16discard_iteratorINS9_11use_defaultEEEiNS9_4plusIvEEiEEDaPvRmT3_T4_T5_mT6_P12ihipStream_tbENKUlT_T0_E_clISt17integral_constantIbLb1EESW_IbLb0EEEEDaSS_ST_EUlSS_E0_NS1_11comp_targetILNS1_3genE2ELNS1_11target_archE906ELNS1_3gpuE6ELNS1_3repE0EEENS1_30default_config_static_selectorELNS0_4arch9wavefront6targetE1EEEvT1_.kd
    .uniform_work_group_size: 1
    .uses_dynamic_stack: false
    .vgpr_count:     0
    .vgpr_spill_count: 0
    .wavefront_size: 64
  - .agpr_count:     0
    .args:
      - .offset:         0
        .size:           40
        .value_kind:     by_value
    .group_segment_fixed_size: 0
    .kernarg_segment_align: 8
    .kernarg_segment_size: 40
    .language:       OpenCL C
    .language_version:
      - 2
      - 0
    .max_flat_workgroup_size: 256
    .name:           _ZN7rocprim17ROCPRIM_400000_NS6detail17trampoline_kernelINS0_14default_configENS1_20scan_config_selectorIiEEZZNS1_9scan_implILNS1_25lookback_scan_determinismE0ELb0ELb0ES3_N6thrust23THRUST_200600_302600_NS6detail15normal_iteratorINS9_10device_ptrIiEEEENS9_16discard_iteratorINS9_11use_defaultEEEiNS9_4plusIvEEiEEDaPvRmT3_T4_T5_mT6_P12ihipStream_tbENKUlT_T0_E_clISt17integral_constantIbLb1EESW_IbLb0EEEEDaSS_ST_EUlSS_E0_NS1_11comp_targetILNS1_3genE10ELNS1_11target_archE1201ELNS1_3gpuE5ELNS1_3repE0EEENS1_30default_config_static_selectorELNS0_4arch9wavefront6targetE1EEEvT1_
    .private_segment_fixed_size: 0
    .sgpr_count:     4
    .sgpr_spill_count: 0
    .symbol:         _ZN7rocprim17ROCPRIM_400000_NS6detail17trampoline_kernelINS0_14default_configENS1_20scan_config_selectorIiEEZZNS1_9scan_implILNS1_25lookback_scan_determinismE0ELb0ELb0ES3_N6thrust23THRUST_200600_302600_NS6detail15normal_iteratorINS9_10device_ptrIiEEEENS9_16discard_iteratorINS9_11use_defaultEEEiNS9_4plusIvEEiEEDaPvRmT3_T4_T5_mT6_P12ihipStream_tbENKUlT_T0_E_clISt17integral_constantIbLb1EESW_IbLb0EEEEDaSS_ST_EUlSS_E0_NS1_11comp_targetILNS1_3genE10ELNS1_11target_archE1201ELNS1_3gpuE5ELNS1_3repE0EEENS1_30default_config_static_selectorELNS0_4arch9wavefront6targetE1EEEvT1_.kd
    .uniform_work_group_size: 1
    .uses_dynamic_stack: false
    .vgpr_count:     0
    .vgpr_spill_count: 0
    .wavefront_size: 64
  - .agpr_count:     0
    .args:
      - .offset:         0
        .size:           40
        .value_kind:     by_value
    .group_segment_fixed_size: 0
    .kernarg_segment_align: 8
    .kernarg_segment_size: 40
    .language:       OpenCL C
    .language_version:
      - 2
      - 0
    .max_flat_workgroup_size: 256
    .name:           _ZN7rocprim17ROCPRIM_400000_NS6detail17trampoline_kernelINS0_14default_configENS1_20scan_config_selectorIiEEZZNS1_9scan_implILNS1_25lookback_scan_determinismE0ELb0ELb0ES3_N6thrust23THRUST_200600_302600_NS6detail15normal_iteratorINS9_10device_ptrIiEEEENS9_16discard_iteratorINS9_11use_defaultEEEiNS9_4plusIvEEiEEDaPvRmT3_T4_T5_mT6_P12ihipStream_tbENKUlT_T0_E_clISt17integral_constantIbLb1EESW_IbLb0EEEEDaSS_ST_EUlSS_E0_NS1_11comp_targetILNS1_3genE10ELNS1_11target_archE1200ELNS1_3gpuE4ELNS1_3repE0EEENS1_30default_config_static_selectorELNS0_4arch9wavefront6targetE1EEEvT1_
    .private_segment_fixed_size: 0
    .sgpr_count:     4
    .sgpr_spill_count: 0
    .symbol:         _ZN7rocprim17ROCPRIM_400000_NS6detail17trampoline_kernelINS0_14default_configENS1_20scan_config_selectorIiEEZZNS1_9scan_implILNS1_25lookback_scan_determinismE0ELb0ELb0ES3_N6thrust23THRUST_200600_302600_NS6detail15normal_iteratorINS9_10device_ptrIiEEEENS9_16discard_iteratorINS9_11use_defaultEEEiNS9_4plusIvEEiEEDaPvRmT3_T4_T5_mT6_P12ihipStream_tbENKUlT_T0_E_clISt17integral_constantIbLb1EESW_IbLb0EEEEDaSS_ST_EUlSS_E0_NS1_11comp_targetILNS1_3genE10ELNS1_11target_archE1200ELNS1_3gpuE4ELNS1_3repE0EEENS1_30default_config_static_selectorELNS0_4arch9wavefront6targetE1EEEvT1_.kd
    .uniform_work_group_size: 1
    .uses_dynamic_stack: false
    .vgpr_count:     0
    .vgpr_spill_count: 0
    .wavefront_size: 64
  - .agpr_count:     0
    .args:
      - .offset:         0
        .size:           40
        .value_kind:     by_value
    .group_segment_fixed_size: 0
    .kernarg_segment_align: 8
    .kernarg_segment_size: 40
    .language:       OpenCL C
    .language_version:
      - 2
      - 0
    .max_flat_workgroup_size: 256
    .name:           _ZN7rocprim17ROCPRIM_400000_NS6detail17trampoline_kernelINS0_14default_configENS1_20scan_config_selectorIiEEZZNS1_9scan_implILNS1_25lookback_scan_determinismE0ELb0ELb0ES3_N6thrust23THRUST_200600_302600_NS6detail15normal_iteratorINS9_10device_ptrIiEEEENS9_16discard_iteratorINS9_11use_defaultEEEiNS9_4plusIvEEiEEDaPvRmT3_T4_T5_mT6_P12ihipStream_tbENKUlT_T0_E_clISt17integral_constantIbLb1EESW_IbLb0EEEEDaSS_ST_EUlSS_E0_NS1_11comp_targetILNS1_3genE9ELNS1_11target_archE1100ELNS1_3gpuE3ELNS1_3repE0EEENS1_30default_config_static_selectorELNS0_4arch9wavefront6targetE1EEEvT1_
    .private_segment_fixed_size: 0
    .sgpr_count:     4
    .sgpr_spill_count: 0
    .symbol:         _ZN7rocprim17ROCPRIM_400000_NS6detail17trampoline_kernelINS0_14default_configENS1_20scan_config_selectorIiEEZZNS1_9scan_implILNS1_25lookback_scan_determinismE0ELb0ELb0ES3_N6thrust23THRUST_200600_302600_NS6detail15normal_iteratorINS9_10device_ptrIiEEEENS9_16discard_iteratorINS9_11use_defaultEEEiNS9_4plusIvEEiEEDaPvRmT3_T4_T5_mT6_P12ihipStream_tbENKUlT_T0_E_clISt17integral_constantIbLb1EESW_IbLb0EEEEDaSS_ST_EUlSS_E0_NS1_11comp_targetILNS1_3genE9ELNS1_11target_archE1100ELNS1_3gpuE3ELNS1_3repE0EEENS1_30default_config_static_selectorELNS0_4arch9wavefront6targetE1EEEvT1_.kd
    .uniform_work_group_size: 1
    .uses_dynamic_stack: false
    .vgpr_count:     0
    .vgpr_spill_count: 0
    .wavefront_size: 64
  - .agpr_count:     0
    .args:
      - .offset:         0
        .size:           40
        .value_kind:     by_value
    .group_segment_fixed_size: 0
    .kernarg_segment_align: 8
    .kernarg_segment_size: 40
    .language:       OpenCL C
    .language_version:
      - 2
      - 0
    .max_flat_workgroup_size: 64
    .name:           _ZN7rocprim17ROCPRIM_400000_NS6detail17trampoline_kernelINS0_14default_configENS1_20scan_config_selectorIiEEZZNS1_9scan_implILNS1_25lookback_scan_determinismE0ELb0ELb0ES3_N6thrust23THRUST_200600_302600_NS6detail15normal_iteratorINS9_10device_ptrIiEEEENS9_16discard_iteratorINS9_11use_defaultEEEiNS9_4plusIvEEiEEDaPvRmT3_T4_T5_mT6_P12ihipStream_tbENKUlT_T0_E_clISt17integral_constantIbLb1EESW_IbLb0EEEEDaSS_ST_EUlSS_E0_NS1_11comp_targetILNS1_3genE8ELNS1_11target_archE1030ELNS1_3gpuE2ELNS1_3repE0EEENS1_30default_config_static_selectorELNS0_4arch9wavefront6targetE1EEEvT1_
    .private_segment_fixed_size: 0
    .sgpr_count:     4
    .sgpr_spill_count: 0
    .symbol:         _ZN7rocprim17ROCPRIM_400000_NS6detail17trampoline_kernelINS0_14default_configENS1_20scan_config_selectorIiEEZZNS1_9scan_implILNS1_25lookback_scan_determinismE0ELb0ELb0ES3_N6thrust23THRUST_200600_302600_NS6detail15normal_iteratorINS9_10device_ptrIiEEEENS9_16discard_iteratorINS9_11use_defaultEEEiNS9_4plusIvEEiEEDaPvRmT3_T4_T5_mT6_P12ihipStream_tbENKUlT_T0_E_clISt17integral_constantIbLb1EESW_IbLb0EEEEDaSS_ST_EUlSS_E0_NS1_11comp_targetILNS1_3genE8ELNS1_11target_archE1030ELNS1_3gpuE2ELNS1_3repE0EEENS1_30default_config_static_selectorELNS0_4arch9wavefront6targetE1EEEvT1_.kd
    .uniform_work_group_size: 1
    .uses_dynamic_stack: false
    .vgpr_count:     0
    .vgpr_spill_count: 0
    .wavefront_size: 64
  - .agpr_count:     0
    .args:
      - .offset:         0
        .size:           104
        .value_kind:     by_value
    .group_segment_fixed_size: 0
    .kernarg_segment_align: 8
    .kernarg_segment_size: 104
    .language:       OpenCL C
    .language_version:
      - 2
      - 0
    .max_flat_workgroup_size: 256
    .name:           _ZN7rocprim17ROCPRIM_400000_NS6detail17trampoline_kernelINS0_14default_configENS1_20scan_config_selectorIiEEZZNS1_9scan_implILNS1_25lookback_scan_determinismE0ELb0ELb0ES3_N6thrust23THRUST_200600_302600_NS6detail15normal_iteratorINS9_10device_ptrIiEEEENS9_16discard_iteratorINS9_11use_defaultEEEiNS9_4plusIvEEiEEDaPvRmT3_T4_T5_mT6_P12ihipStream_tbENKUlT_T0_E_clISt17integral_constantIbLb0EESW_IbLb1EEEEDaSS_ST_EUlSS_E_NS1_11comp_targetILNS1_3genE0ELNS1_11target_archE4294967295ELNS1_3gpuE0ELNS1_3repE0EEENS1_30default_config_static_selectorELNS0_4arch9wavefront6targetE1EEEvT1_
    .private_segment_fixed_size: 0
    .sgpr_count:     4
    .sgpr_spill_count: 0
    .symbol:         _ZN7rocprim17ROCPRIM_400000_NS6detail17trampoline_kernelINS0_14default_configENS1_20scan_config_selectorIiEEZZNS1_9scan_implILNS1_25lookback_scan_determinismE0ELb0ELb0ES3_N6thrust23THRUST_200600_302600_NS6detail15normal_iteratorINS9_10device_ptrIiEEEENS9_16discard_iteratorINS9_11use_defaultEEEiNS9_4plusIvEEiEEDaPvRmT3_T4_T5_mT6_P12ihipStream_tbENKUlT_T0_E_clISt17integral_constantIbLb0EESW_IbLb1EEEEDaSS_ST_EUlSS_E_NS1_11comp_targetILNS1_3genE0ELNS1_11target_archE4294967295ELNS1_3gpuE0ELNS1_3repE0EEENS1_30default_config_static_selectorELNS0_4arch9wavefront6targetE1EEEvT1_.kd
    .uniform_work_group_size: 1
    .uses_dynamic_stack: false
    .vgpr_count:     0
    .vgpr_spill_count: 0
    .wavefront_size: 64
  - .agpr_count:     0
    .args:
      - .offset:         0
        .size:           104
        .value_kind:     by_value
    .group_segment_fixed_size: 0
    .kernarg_segment_align: 8
    .kernarg_segment_size: 104
    .language:       OpenCL C
    .language_version:
      - 2
      - 0
    .max_flat_workgroup_size: 256
    .name:           _ZN7rocprim17ROCPRIM_400000_NS6detail17trampoline_kernelINS0_14default_configENS1_20scan_config_selectorIiEEZZNS1_9scan_implILNS1_25lookback_scan_determinismE0ELb0ELb0ES3_N6thrust23THRUST_200600_302600_NS6detail15normal_iteratorINS9_10device_ptrIiEEEENS9_16discard_iteratorINS9_11use_defaultEEEiNS9_4plusIvEEiEEDaPvRmT3_T4_T5_mT6_P12ihipStream_tbENKUlT_T0_E_clISt17integral_constantIbLb0EESW_IbLb1EEEEDaSS_ST_EUlSS_E_NS1_11comp_targetILNS1_3genE5ELNS1_11target_archE942ELNS1_3gpuE9ELNS1_3repE0EEENS1_30default_config_static_selectorELNS0_4arch9wavefront6targetE1EEEvT1_
    .private_segment_fixed_size: 0
    .sgpr_count:     4
    .sgpr_spill_count: 0
    .symbol:         _ZN7rocprim17ROCPRIM_400000_NS6detail17trampoline_kernelINS0_14default_configENS1_20scan_config_selectorIiEEZZNS1_9scan_implILNS1_25lookback_scan_determinismE0ELb0ELb0ES3_N6thrust23THRUST_200600_302600_NS6detail15normal_iteratorINS9_10device_ptrIiEEEENS9_16discard_iteratorINS9_11use_defaultEEEiNS9_4plusIvEEiEEDaPvRmT3_T4_T5_mT6_P12ihipStream_tbENKUlT_T0_E_clISt17integral_constantIbLb0EESW_IbLb1EEEEDaSS_ST_EUlSS_E_NS1_11comp_targetILNS1_3genE5ELNS1_11target_archE942ELNS1_3gpuE9ELNS1_3repE0EEENS1_30default_config_static_selectorELNS0_4arch9wavefront6targetE1EEEvT1_.kd
    .uniform_work_group_size: 1
    .uses_dynamic_stack: false
    .vgpr_count:     0
    .vgpr_spill_count: 0
    .wavefront_size: 64
  - .agpr_count:     0
    .args:
      - .offset:         0
        .size:           104
        .value_kind:     by_value
    .group_segment_fixed_size: 5120
    .kernarg_segment_align: 8
    .kernarg_segment_size: 104
    .language:       OpenCL C
    .language_version:
      - 2
      - 0
    .max_flat_workgroup_size: 128
    .name:           _ZN7rocprim17ROCPRIM_400000_NS6detail17trampoline_kernelINS0_14default_configENS1_20scan_config_selectorIiEEZZNS1_9scan_implILNS1_25lookback_scan_determinismE0ELb0ELb0ES3_N6thrust23THRUST_200600_302600_NS6detail15normal_iteratorINS9_10device_ptrIiEEEENS9_16discard_iteratorINS9_11use_defaultEEEiNS9_4plusIvEEiEEDaPvRmT3_T4_T5_mT6_P12ihipStream_tbENKUlT_T0_E_clISt17integral_constantIbLb0EESW_IbLb1EEEEDaSS_ST_EUlSS_E_NS1_11comp_targetILNS1_3genE4ELNS1_11target_archE910ELNS1_3gpuE8ELNS1_3repE0EEENS1_30default_config_static_selectorELNS0_4arch9wavefront6targetE1EEEvT1_
    .private_segment_fixed_size: 0
    .sgpr_count:     34
    .sgpr_spill_count: 0
    .symbol:         _ZN7rocprim17ROCPRIM_400000_NS6detail17trampoline_kernelINS0_14default_configENS1_20scan_config_selectorIiEEZZNS1_9scan_implILNS1_25lookback_scan_determinismE0ELb0ELb0ES3_N6thrust23THRUST_200600_302600_NS6detail15normal_iteratorINS9_10device_ptrIiEEEENS9_16discard_iteratorINS9_11use_defaultEEEiNS9_4plusIvEEiEEDaPvRmT3_T4_T5_mT6_P12ihipStream_tbENKUlT_T0_E_clISt17integral_constantIbLb0EESW_IbLb1EEEEDaSS_ST_EUlSS_E_NS1_11comp_targetILNS1_3genE4ELNS1_11target_archE910ELNS1_3gpuE8ELNS1_3repE0EEENS1_30default_config_static_selectorELNS0_4arch9wavefront6targetE1EEEvT1_.kd
    .uniform_work_group_size: 1
    .uses_dynamic_stack: false
    .vgpr_count:     39
    .vgpr_spill_count: 0
    .wavefront_size: 64
  - .agpr_count:     0
    .args:
      - .offset:         0
        .size:           104
        .value_kind:     by_value
    .group_segment_fixed_size: 0
    .kernarg_segment_align: 8
    .kernarg_segment_size: 104
    .language:       OpenCL C
    .language_version:
      - 2
      - 0
    .max_flat_workgroup_size: 256
    .name:           _ZN7rocprim17ROCPRIM_400000_NS6detail17trampoline_kernelINS0_14default_configENS1_20scan_config_selectorIiEEZZNS1_9scan_implILNS1_25lookback_scan_determinismE0ELb0ELb0ES3_N6thrust23THRUST_200600_302600_NS6detail15normal_iteratorINS9_10device_ptrIiEEEENS9_16discard_iteratorINS9_11use_defaultEEEiNS9_4plusIvEEiEEDaPvRmT3_T4_T5_mT6_P12ihipStream_tbENKUlT_T0_E_clISt17integral_constantIbLb0EESW_IbLb1EEEEDaSS_ST_EUlSS_E_NS1_11comp_targetILNS1_3genE3ELNS1_11target_archE908ELNS1_3gpuE7ELNS1_3repE0EEENS1_30default_config_static_selectorELNS0_4arch9wavefront6targetE1EEEvT1_
    .private_segment_fixed_size: 0
    .sgpr_count:     4
    .sgpr_spill_count: 0
    .symbol:         _ZN7rocprim17ROCPRIM_400000_NS6detail17trampoline_kernelINS0_14default_configENS1_20scan_config_selectorIiEEZZNS1_9scan_implILNS1_25lookback_scan_determinismE0ELb0ELb0ES3_N6thrust23THRUST_200600_302600_NS6detail15normal_iteratorINS9_10device_ptrIiEEEENS9_16discard_iteratorINS9_11use_defaultEEEiNS9_4plusIvEEiEEDaPvRmT3_T4_T5_mT6_P12ihipStream_tbENKUlT_T0_E_clISt17integral_constantIbLb0EESW_IbLb1EEEEDaSS_ST_EUlSS_E_NS1_11comp_targetILNS1_3genE3ELNS1_11target_archE908ELNS1_3gpuE7ELNS1_3repE0EEENS1_30default_config_static_selectorELNS0_4arch9wavefront6targetE1EEEvT1_.kd
    .uniform_work_group_size: 1
    .uses_dynamic_stack: false
    .vgpr_count:     0
    .vgpr_spill_count: 0
    .wavefront_size: 64
  - .agpr_count:     0
    .args:
      - .offset:         0
        .size:           104
        .value_kind:     by_value
    .group_segment_fixed_size: 0
    .kernarg_segment_align: 8
    .kernarg_segment_size: 104
    .language:       OpenCL C
    .language_version:
      - 2
      - 0
    .max_flat_workgroup_size: 256
    .name:           _ZN7rocprim17ROCPRIM_400000_NS6detail17trampoline_kernelINS0_14default_configENS1_20scan_config_selectorIiEEZZNS1_9scan_implILNS1_25lookback_scan_determinismE0ELb0ELb0ES3_N6thrust23THRUST_200600_302600_NS6detail15normal_iteratorINS9_10device_ptrIiEEEENS9_16discard_iteratorINS9_11use_defaultEEEiNS9_4plusIvEEiEEDaPvRmT3_T4_T5_mT6_P12ihipStream_tbENKUlT_T0_E_clISt17integral_constantIbLb0EESW_IbLb1EEEEDaSS_ST_EUlSS_E_NS1_11comp_targetILNS1_3genE2ELNS1_11target_archE906ELNS1_3gpuE6ELNS1_3repE0EEENS1_30default_config_static_selectorELNS0_4arch9wavefront6targetE1EEEvT1_
    .private_segment_fixed_size: 0
    .sgpr_count:     4
    .sgpr_spill_count: 0
    .symbol:         _ZN7rocprim17ROCPRIM_400000_NS6detail17trampoline_kernelINS0_14default_configENS1_20scan_config_selectorIiEEZZNS1_9scan_implILNS1_25lookback_scan_determinismE0ELb0ELb0ES3_N6thrust23THRUST_200600_302600_NS6detail15normal_iteratorINS9_10device_ptrIiEEEENS9_16discard_iteratorINS9_11use_defaultEEEiNS9_4plusIvEEiEEDaPvRmT3_T4_T5_mT6_P12ihipStream_tbENKUlT_T0_E_clISt17integral_constantIbLb0EESW_IbLb1EEEEDaSS_ST_EUlSS_E_NS1_11comp_targetILNS1_3genE2ELNS1_11target_archE906ELNS1_3gpuE6ELNS1_3repE0EEENS1_30default_config_static_selectorELNS0_4arch9wavefront6targetE1EEEvT1_.kd
    .uniform_work_group_size: 1
    .uses_dynamic_stack: false
    .vgpr_count:     0
    .vgpr_spill_count: 0
    .wavefront_size: 64
  - .agpr_count:     0
    .args:
      - .offset:         0
        .size:           104
        .value_kind:     by_value
    .group_segment_fixed_size: 0
    .kernarg_segment_align: 8
    .kernarg_segment_size: 104
    .language:       OpenCL C
    .language_version:
      - 2
      - 0
    .max_flat_workgroup_size: 256
    .name:           _ZN7rocprim17ROCPRIM_400000_NS6detail17trampoline_kernelINS0_14default_configENS1_20scan_config_selectorIiEEZZNS1_9scan_implILNS1_25lookback_scan_determinismE0ELb0ELb0ES3_N6thrust23THRUST_200600_302600_NS6detail15normal_iteratorINS9_10device_ptrIiEEEENS9_16discard_iteratorINS9_11use_defaultEEEiNS9_4plusIvEEiEEDaPvRmT3_T4_T5_mT6_P12ihipStream_tbENKUlT_T0_E_clISt17integral_constantIbLb0EESW_IbLb1EEEEDaSS_ST_EUlSS_E_NS1_11comp_targetILNS1_3genE10ELNS1_11target_archE1201ELNS1_3gpuE5ELNS1_3repE0EEENS1_30default_config_static_selectorELNS0_4arch9wavefront6targetE1EEEvT1_
    .private_segment_fixed_size: 0
    .sgpr_count:     4
    .sgpr_spill_count: 0
    .symbol:         _ZN7rocprim17ROCPRIM_400000_NS6detail17trampoline_kernelINS0_14default_configENS1_20scan_config_selectorIiEEZZNS1_9scan_implILNS1_25lookback_scan_determinismE0ELb0ELb0ES3_N6thrust23THRUST_200600_302600_NS6detail15normal_iteratorINS9_10device_ptrIiEEEENS9_16discard_iteratorINS9_11use_defaultEEEiNS9_4plusIvEEiEEDaPvRmT3_T4_T5_mT6_P12ihipStream_tbENKUlT_T0_E_clISt17integral_constantIbLb0EESW_IbLb1EEEEDaSS_ST_EUlSS_E_NS1_11comp_targetILNS1_3genE10ELNS1_11target_archE1201ELNS1_3gpuE5ELNS1_3repE0EEENS1_30default_config_static_selectorELNS0_4arch9wavefront6targetE1EEEvT1_.kd
    .uniform_work_group_size: 1
    .uses_dynamic_stack: false
    .vgpr_count:     0
    .vgpr_spill_count: 0
    .wavefront_size: 64
  - .agpr_count:     0
    .args:
      - .offset:         0
        .size:           104
        .value_kind:     by_value
    .group_segment_fixed_size: 0
    .kernarg_segment_align: 8
    .kernarg_segment_size: 104
    .language:       OpenCL C
    .language_version:
      - 2
      - 0
    .max_flat_workgroup_size: 256
    .name:           _ZN7rocprim17ROCPRIM_400000_NS6detail17trampoline_kernelINS0_14default_configENS1_20scan_config_selectorIiEEZZNS1_9scan_implILNS1_25lookback_scan_determinismE0ELb0ELb0ES3_N6thrust23THRUST_200600_302600_NS6detail15normal_iteratorINS9_10device_ptrIiEEEENS9_16discard_iteratorINS9_11use_defaultEEEiNS9_4plusIvEEiEEDaPvRmT3_T4_T5_mT6_P12ihipStream_tbENKUlT_T0_E_clISt17integral_constantIbLb0EESW_IbLb1EEEEDaSS_ST_EUlSS_E_NS1_11comp_targetILNS1_3genE10ELNS1_11target_archE1200ELNS1_3gpuE4ELNS1_3repE0EEENS1_30default_config_static_selectorELNS0_4arch9wavefront6targetE1EEEvT1_
    .private_segment_fixed_size: 0
    .sgpr_count:     4
    .sgpr_spill_count: 0
    .symbol:         _ZN7rocprim17ROCPRIM_400000_NS6detail17trampoline_kernelINS0_14default_configENS1_20scan_config_selectorIiEEZZNS1_9scan_implILNS1_25lookback_scan_determinismE0ELb0ELb0ES3_N6thrust23THRUST_200600_302600_NS6detail15normal_iteratorINS9_10device_ptrIiEEEENS9_16discard_iteratorINS9_11use_defaultEEEiNS9_4plusIvEEiEEDaPvRmT3_T4_T5_mT6_P12ihipStream_tbENKUlT_T0_E_clISt17integral_constantIbLb0EESW_IbLb1EEEEDaSS_ST_EUlSS_E_NS1_11comp_targetILNS1_3genE10ELNS1_11target_archE1200ELNS1_3gpuE4ELNS1_3repE0EEENS1_30default_config_static_selectorELNS0_4arch9wavefront6targetE1EEEvT1_.kd
    .uniform_work_group_size: 1
    .uses_dynamic_stack: false
    .vgpr_count:     0
    .vgpr_spill_count: 0
    .wavefront_size: 64
  - .agpr_count:     0
    .args:
      - .offset:         0
        .size:           104
        .value_kind:     by_value
    .group_segment_fixed_size: 0
    .kernarg_segment_align: 8
    .kernarg_segment_size: 104
    .language:       OpenCL C
    .language_version:
      - 2
      - 0
    .max_flat_workgroup_size: 256
    .name:           _ZN7rocprim17ROCPRIM_400000_NS6detail17trampoline_kernelINS0_14default_configENS1_20scan_config_selectorIiEEZZNS1_9scan_implILNS1_25lookback_scan_determinismE0ELb0ELb0ES3_N6thrust23THRUST_200600_302600_NS6detail15normal_iteratorINS9_10device_ptrIiEEEENS9_16discard_iteratorINS9_11use_defaultEEEiNS9_4plusIvEEiEEDaPvRmT3_T4_T5_mT6_P12ihipStream_tbENKUlT_T0_E_clISt17integral_constantIbLb0EESW_IbLb1EEEEDaSS_ST_EUlSS_E_NS1_11comp_targetILNS1_3genE9ELNS1_11target_archE1100ELNS1_3gpuE3ELNS1_3repE0EEENS1_30default_config_static_selectorELNS0_4arch9wavefront6targetE1EEEvT1_
    .private_segment_fixed_size: 0
    .sgpr_count:     4
    .sgpr_spill_count: 0
    .symbol:         _ZN7rocprim17ROCPRIM_400000_NS6detail17trampoline_kernelINS0_14default_configENS1_20scan_config_selectorIiEEZZNS1_9scan_implILNS1_25lookback_scan_determinismE0ELb0ELb0ES3_N6thrust23THRUST_200600_302600_NS6detail15normal_iteratorINS9_10device_ptrIiEEEENS9_16discard_iteratorINS9_11use_defaultEEEiNS9_4plusIvEEiEEDaPvRmT3_T4_T5_mT6_P12ihipStream_tbENKUlT_T0_E_clISt17integral_constantIbLb0EESW_IbLb1EEEEDaSS_ST_EUlSS_E_NS1_11comp_targetILNS1_3genE9ELNS1_11target_archE1100ELNS1_3gpuE3ELNS1_3repE0EEENS1_30default_config_static_selectorELNS0_4arch9wavefront6targetE1EEEvT1_.kd
    .uniform_work_group_size: 1
    .uses_dynamic_stack: false
    .vgpr_count:     0
    .vgpr_spill_count: 0
    .wavefront_size: 64
  - .agpr_count:     0
    .args:
      - .offset:         0
        .size:           104
        .value_kind:     by_value
    .group_segment_fixed_size: 0
    .kernarg_segment_align: 8
    .kernarg_segment_size: 104
    .language:       OpenCL C
    .language_version:
      - 2
      - 0
    .max_flat_workgroup_size: 64
    .name:           _ZN7rocprim17ROCPRIM_400000_NS6detail17trampoline_kernelINS0_14default_configENS1_20scan_config_selectorIiEEZZNS1_9scan_implILNS1_25lookback_scan_determinismE0ELb0ELb0ES3_N6thrust23THRUST_200600_302600_NS6detail15normal_iteratorINS9_10device_ptrIiEEEENS9_16discard_iteratorINS9_11use_defaultEEEiNS9_4plusIvEEiEEDaPvRmT3_T4_T5_mT6_P12ihipStream_tbENKUlT_T0_E_clISt17integral_constantIbLb0EESW_IbLb1EEEEDaSS_ST_EUlSS_E_NS1_11comp_targetILNS1_3genE8ELNS1_11target_archE1030ELNS1_3gpuE2ELNS1_3repE0EEENS1_30default_config_static_selectorELNS0_4arch9wavefront6targetE1EEEvT1_
    .private_segment_fixed_size: 0
    .sgpr_count:     4
    .sgpr_spill_count: 0
    .symbol:         _ZN7rocprim17ROCPRIM_400000_NS6detail17trampoline_kernelINS0_14default_configENS1_20scan_config_selectorIiEEZZNS1_9scan_implILNS1_25lookback_scan_determinismE0ELb0ELb0ES3_N6thrust23THRUST_200600_302600_NS6detail15normal_iteratorINS9_10device_ptrIiEEEENS9_16discard_iteratorINS9_11use_defaultEEEiNS9_4plusIvEEiEEDaPvRmT3_T4_T5_mT6_P12ihipStream_tbENKUlT_T0_E_clISt17integral_constantIbLb0EESW_IbLb1EEEEDaSS_ST_EUlSS_E_NS1_11comp_targetILNS1_3genE8ELNS1_11target_archE1030ELNS1_3gpuE2ELNS1_3repE0EEENS1_30default_config_static_selectorELNS0_4arch9wavefront6targetE1EEEvT1_.kd
    .uniform_work_group_size: 1
    .uses_dynamic_stack: false
    .vgpr_count:     0
    .vgpr_spill_count: 0
    .wavefront_size: 64
  - .agpr_count:     0
    .args:
      - .offset:         0
        .size:           40
        .value_kind:     by_value
    .group_segment_fixed_size: 0
    .kernarg_segment_align: 8
    .kernarg_segment_size: 40
    .language:       OpenCL C
    .language_version:
      - 2
      - 0
    .max_flat_workgroup_size: 256
    .name:           _ZN7rocprim17ROCPRIM_400000_NS6detail17trampoline_kernelINS0_14default_configENS1_20scan_config_selectorIiEEZZNS1_9scan_implILNS1_25lookback_scan_determinismE0ELb0ELb0ES3_N6thrust23THRUST_200600_302600_NS6detail15normal_iteratorINS9_10device_ptrIiEEEENS9_16discard_iteratorINS9_11use_defaultEEEiNS9_4plusIvEEiEEDaPvRmT3_T4_T5_mT6_P12ihipStream_tbENKUlT_T0_E_clISt17integral_constantIbLb0EESW_IbLb1EEEEDaSS_ST_EUlSS_E0_NS1_11comp_targetILNS1_3genE0ELNS1_11target_archE4294967295ELNS1_3gpuE0ELNS1_3repE0EEENS1_30default_config_static_selectorELNS0_4arch9wavefront6targetE1EEEvT1_
    .private_segment_fixed_size: 0
    .sgpr_count:     4
    .sgpr_spill_count: 0
    .symbol:         _ZN7rocprim17ROCPRIM_400000_NS6detail17trampoline_kernelINS0_14default_configENS1_20scan_config_selectorIiEEZZNS1_9scan_implILNS1_25lookback_scan_determinismE0ELb0ELb0ES3_N6thrust23THRUST_200600_302600_NS6detail15normal_iteratorINS9_10device_ptrIiEEEENS9_16discard_iteratorINS9_11use_defaultEEEiNS9_4plusIvEEiEEDaPvRmT3_T4_T5_mT6_P12ihipStream_tbENKUlT_T0_E_clISt17integral_constantIbLb0EESW_IbLb1EEEEDaSS_ST_EUlSS_E0_NS1_11comp_targetILNS1_3genE0ELNS1_11target_archE4294967295ELNS1_3gpuE0ELNS1_3repE0EEENS1_30default_config_static_selectorELNS0_4arch9wavefront6targetE1EEEvT1_.kd
    .uniform_work_group_size: 1
    .uses_dynamic_stack: false
    .vgpr_count:     0
    .vgpr_spill_count: 0
    .wavefront_size: 64
  - .agpr_count:     0
    .args:
      - .offset:         0
        .size:           40
        .value_kind:     by_value
    .group_segment_fixed_size: 0
    .kernarg_segment_align: 8
    .kernarg_segment_size: 40
    .language:       OpenCL C
    .language_version:
      - 2
      - 0
    .max_flat_workgroup_size: 256
    .name:           _ZN7rocprim17ROCPRIM_400000_NS6detail17trampoline_kernelINS0_14default_configENS1_20scan_config_selectorIiEEZZNS1_9scan_implILNS1_25lookback_scan_determinismE0ELb0ELb0ES3_N6thrust23THRUST_200600_302600_NS6detail15normal_iteratorINS9_10device_ptrIiEEEENS9_16discard_iteratorINS9_11use_defaultEEEiNS9_4plusIvEEiEEDaPvRmT3_T4_T5_mT6_P12ihipStream_tbENKUlT_T0_E_clISt17integral_constantIbLb0EESW_IbLb1EEEEDaSS_ST_EUlSS_E0_NS1_11comp_targetILNS1_3genE5ELNS1_11target_archE942ELNS1_3gpuE9ELNS1_3repE0EEENS1_30default_config_static_selectorELNS0_4arch9wavefront6targetE1EEEvT1_
    .private_segment_fixed_size: 0
    .sgpr_count:     4
    .sgpr_spill_count: 0
    .symbol:         _ZN7rocprim17ROCPRIM_400000_NS6detail17trampoline_kernelINS0_14default_configENS1_20scan_config_selectorIiEEZZNS1_9scan_implILNS1_25lookback_scan_determinismE0ELb0ELb0ES3_N6thrust23THRUST_200600_302600_NS6detail15normal_iteratorINS9_10device_ptrIiEEEENS9_16discard_iteratorINS9_11use_defaultEEEiNS9_4plusIvEEiEEDaPvRmT3_T4_T5_mT6_P12ihipStream_tbENKUlT_T0_E_clISt17integral_constantIbLb0EESW_IbLb1EEEEDaSS_ST_EUlSS_E0_NS1_11comp_targetILNS1_3genE5ELNS1_11target_archE942ELNS1_3gpuE9ELNS1_3repE0EEENS1_30default_config_static_selectorELNS0_4arch9wavefront6targetE1EEEvT1_.kd
    .uniform_work_group_size: 1
    .uses_dynamic_stack: false
    .vgpr_count:     0
    .vgpr_spill_count: 0
    .wavefront_size: 64
  - .agpr_count:     0
    .args:
      - .offset:         0
        .size:           40
        .value_kind:     by_value
    .group_segment_fixed_size: 5120
    .kernarg_segment_align: 8
    .kernarg_segment_size: 40
    .language:       OpenCL C
    .language_version:
      - 2
      - 0
    .max_flat_workgroup_size: 128
    .name:           _ZN7rocprim17ROCPRIM_400000_NS6detail17trampoline_kernelINS0_14default_configENS1_20scan_config_selectorIiEEZZNS1_9scan_implILNS1_25lookback_scan_determinismE0ELb0ELb0ES3_N6thrust23THRUST_200600_302600_NS6detail15normal_iteratorINS9_10device_ptrIiEEEENS9_16discard_iteratorINS9_11use_defaultEEEiNS9_4plusIvEEiEEDaPvRmT3_T4_T5_mT6_P12ihipStream_tbENKUlT_T0_E_clISt17integral_constantIbLb0EESW_IbLb1EEEEDaSS_ST_EUlSS_E0_NS1_11comp_targetILNS1_3genE4ELNS1_11target_archE910ELNS1_3gpuE8ELNS1_3repE0EEENS1_30default_config_static_selectorELNS0_4arch9wavefront6targetE1EEEvT1_
    .private_segment_fixed_size: 0
    .sgpr_count:     10
    .sgpr_spill_count: 0
    .symbol:         _ZN7rocprim17ROCPRIM_400000_NS6detail17trampoline_kernelINS0_14default_configENS1_20scan_config_selectorIiEEZZNS1_9scan_implILNS1_25lookback_scan_determinismE0ELb0ELb0ES3_N6thrust23THRUST_200600_302600_NS6detail15normal_iteratorINS9_10device_ptrIiEEEENS9_16discard_iteratorINS9_11use_defaultEEEiNS9_4plusIvEEiEEDaPvRmT3_T4_T5_mT6_P12ihipStream_tbENKUlT_T0_E_clISt17integral_constantIbLb0EESW_IbLb1EEEEDaSS_ST_EUlSS_E0_NS1_11comp_targetILNS1_3genE4ELNS1_11target_archE910ELNS1_3gpuE8ELNS1_3repE0EEENS1_30default_config_static_selectorELNS0_4arch9wavefront6targetE1EEEvT1_.kd
    .uniform_work_group_size: 1
    .uses_dynamic_stack: false
    .vgpr_count:     27
    .vgpr_spill_count: 0
    .wavefront_size: 64
  - .agpr_count:     0
    .args:
      - .offset:         0
        .size:           40
        .value_kind:     by_value
    .group_segment_fixed_size: 0
    .kernarg_segment_align: 8
    .kernarg_segment_size: 40
    .language:       OpenCL C
    .language_version:
      - 2
      - 0
    .max_flat_workgroup_size: 256
    .name:           _ZN7rocprim17ROCPRIM_400000_NS6detail17trampoline_kernelINS0_14default_configENS1_20scan_config_selectorIiEEZZNS1_9scan_implILNS1_25lookback_scan_determinismE0ELb0ELb0ES3_N6thrust23THRUST_200600_302600_NS6detail15normal_iteratorINS9_10device_ptrIiEEEENS9_16discard_iteratorINS9_11use_defaultEEEiNS9_4plusIvEEiEEDaPvRmT3_T4_T5_mT6_P12ihipStream_tbENKUlT_T0_E_clISt17integral_constantIbLb0EESW_IbLb1EEEEDaSS_ST_EUlSS_E0_NS1_11comp_targetILNS1_3genE3ELNS1_11target_archE908ELNS1_3gpuE7ELNS1_3repE0EEENS1_30default_config_static_selectorELNS0_4arch9wavefront6targetE1EEEvT1_
    .private_segment_fixed_size: 0
    .sgpr_count:     4
    .sgpr_spill_count: 0
    .symbol:         _ZN7rocprim17ROCPRIM_400000_NS6detail17trampoline_kernelINS0_14default_configENS1_20scan_config_selectorIiEEZZNS1_9scan_implILNS1_25lookback_scan_determinismE0ELb0ELb0ES3_N6thrust23THRUST_200600_302600_NS6detail15normal_iteratorINS9_10device_ptrIiEEEENS9_16discard_iteratorINS9_11use_defaultEEEiNS9_4plusIvEEiEEDaPvRmT3_T4_T5_mT6_P12ihipStream_tbENKUlT_T0_E_clISt17integral_constantIbLb0EESW_IbLb1EEEEDaSS_ST_EUlSS_E0_NS1_11comp_targetILNS1_3genE3ELNS1_11target_archE908ELNS1_3gpuE7ELNS1_3repE0EEENS1_30default_config_static_selectorELNS0_4arch9wavefront6targetE1EEEvT1_.kd
    .uniform_work_group_size: 1
    .uses_dynamic_stack: false
    .vgpr_count:     0
    .vgpr_spill_count: 0
    .wavefront_size: 64
  - .agpr_count:     0
    .args:
      - .offset:         0
        .size:           40
        .value_kind:     by_value
    .group_segment_fixed_size: 0
    .kernarg_segment_align: 8
    .kernarg_segment_size: 40
    .language:       OpenCL C
    .language_version:
      - 2
      - 0
    .max_flat_workgroup_size: 256
    .name:           _ZN7rocprim17ROCPRIM_400000_NS6detail17trampoline_kernelINS0_14default_configENS1_20scan_config_selectorIiEEZZNS1_9scan_implILNS1_25lookback_scan_determinismE0ELb0ELb0ES3_N6thrust23THRUST_200600_302600_NS6detail15normal_iteratorINS9_10device_ptrIiEEEENS9_16discard_iteratorINS9_11use_defaultEEEiNS9_4plusIvEEiEEDaPvRmT3_T4_T5_mT6_P12ihipStream_tbENKUlT_T0_E_clISt17integral_constantIbLb0EESW_IbLb1EEEEDaSS_ST_EUlSS_E0_NS1_11comp_targetILNS1_3genE2ELNS1_11target_archE906ELNS1_3gpuE6ELNS1_3repE0EEENS1_30default_config_static_selectorELNS0_4arch9wavefront6targetE1EEEvT1_
    .private_segment_fixed_size: 0
    .sgpr_count:     4
    .sgpr_spill_count: 0
    .symbol:         _ZN7rocprim17ROCPRIM_400000_NS6detail17trampoline_kernelINS0_14default_configENS1_20scan_config_selectorIiEEZZNS1_9scan_implILNS1_25lookback_scan_determinismE0ELb0ELb0ES3_N6thrust23THRUST_200600_302600_NS6detail15normal_iteratorINS9_10device_ptrIiEEEENS9_16discard_iteratorINS9_11use_defaultEEEiNS9_4plusIvEEiEEDaPvRmT3_T4_T5_mT6_P12ihipStream_tbENKUlT_T0_E_clISt17integral_constantIbLb0EESW_IbLb1EEEEDaSS_ST_EUlSS_E0_NS1_11comp_targetILNS1_3genE2ELNS1_11target_archE906ELNS1_3gpuE6ELNS1_3repE0EEENS1_30default_config_static_selectorELNS0_4arch9wavefront6targetE1EEEvT1_.kd
    .uniform_work_group_size: 1
    .uses_dynamic_stack: false
    .vgpr_count:     0
    .vgpr_spill_count: 0
    .wavefront_size: 64
  - .agpr_count:     0
    .args:
      - .offset:         0
        .size:           40
        .value_kind:     by_value
    .group_segment_fixed_size: 0
    .kernarg_segment_align: 8
    .kernarg_segment_size: 40
    .language:       OpenCL C
    .language_version:
      - 2
      - 0
    .max_flat_workgroup_size: 256
    .name:           _ZN7rocprim17ROCPRIM_400000_NS6detail17trampoline_kernelINS0_14default_configENS1_20scan_config_selectorIiEEZZNS1_9scan_implILNS1_25lookback_scan_determinismE0ELb0ELb0ES3_N6thrust23THRUST_200600_302600_NS6detail15normal_iteratorINS9_10device_ptrIiEEEENS9_16discard_iteratorINS9_11use_defaultEEEiNS9_4plusIvEEiEEDaPvRmT3_T4_T5_mT6_P12ihipStream_tbENKUlT_T0_E_clISt17integral_constantIbLb0EESW_IbLb1EEEEDaSS_ST_EUlSS_E0_NS1_11comp_targetILNS1_3genE10ELNS1_11target_archE1201ELNS1_3gpuE5ELNS1_3repE0EEENS1_30default_config_static_selectorELNS0_4arch9wavefront6targetE1EEEvT1_
    .private_segment_fixed_size: 0
    .sgpr_count:     4
    .sgpr_spill_count: 0
    .symbol:         _ZN7rocprim17ROCPRIM_400000_NS6detail17trampoline_kernelINS0_14default_configENS1_20scan_config_selectorIiEEZZNS1_9scan_implILNS1_25lookback_scan_determinismE0ELb0ELb0ES3_N6thrust23THRUST_200600_302600_NS6detail15normal_iteratorINS9_10device_ptrIiEEEENS9_16discard_iteratorINS9_11use_defaultEEEiNS9_4plusIvEEiEEDaPvRmT3_T4_T5_mT6_P12ihipStream_tbENKUlT_T0_E_clISt17integral_constantIbLb0EESW_IbLb1EEEEDaSS_ST_EUlSS_E0_NS1_11comp_targetILNS1_3genE10ELNS1_11target_archE1201ELNS1_3gpuE5ELNS1_3repE0EEENS1_30default_config_static_selectorELNS0_4arch9wavefront6targetE1EEEvT1_.kd
    .uniform_work_group_size: 1
    .uses_dynamic_stack: false
    .vgpr_count:     0
    .vgpr_spill_count: 0
    .wavefront_size: 64
  - .agpr_count:     0
    .args:
      - .offset:         0
        .size:           40
        .value_kind:     by_value
    .group_segment_fixed_size: 0
    .kernarg_segment_align: 8
    .kernarg_segment_size: 40
    .language:       OpenCL C
    .language_version:
      - 2
      - 0
    .max_flat_workgroup_size: 256
    .name:           _ZN7rocprim17ROCPRIM_400000_NS6detail17trampoline_kernelINS0_14default_configENS1_20scan_config_selectorIiEEZZNS1_9scan_implILNS1_25lookback_scan_determinismE0ELb0ELb0ES3_N6thrust23THRUST_200600_302600_NS6detail15normal_iteratorINS9_10device_ptrIiEEEENS9_16discard_iteratorINS9_11use_defaultEEEiNS9_4plusIvEEiEEDaPvRmT3_T4_T5_mT6_P12ihipStream_tbENKUlT_T0_E_clISt17integral_constantIbLb0EESW_IbLb1EEEEDaSS_ST_EUlSS_E0_NS1_11comp_targetILNS1_3genE10ELNS1_11target_archE1200ELNS1_3gpuE4ELNS1_3repE0EEENS1_30default_config_static_selectorELNS0_4arch9wavefront6targetE1EEEvT1_
    .private_segment_fixed_size: 0
    .sgpr_count:     4
    .sgpr_spill_count: 0
    .symbol:         _ZN7rocprim17ROCPRIM_400000_NS6detail17trampoline_kernelINS0_14default_configENS1_20scan_config_selectorIiEEZZNS1_9scan_implILNS1_25lookback_scan_determinismE0ELb0ELb0ES3_N6thrust23THRUST_200600_302600_NS6detail15normal_iteratorINS9_10device_ptrIiEEEENS9_16discard_iteratorINS9_11use_defaultEEEiNS9_4plusIvEEiEEDaPvRmT3_T4_T5_mT6_P12ihipStream_tbENKUlT_T0_E_clISt17integral_constantIbLb0EESW_IbLb1EEEEDaSS_ST_EUlSS_E0_NS1_11comp_targetILNS1_3genE10ELNS1_11target_archE1200ELNS1_3gpuE4ELNS1_3repE0EEENS1_30default_config_static_selectorELNS0_4arch9wavefront6targetE1EEEvT1_.kd
    .uniform_work_group_size: 1
    .uses_dynamic_stack: false
    .vgpr_count:     0
    .vgpr_spill_count: 0
    .wavefront_size: 64
  - .agpr_count:     0
    .args:
      - .offset:         0
        .size:           40
        .value_kind:     by_value
    .group_segment_fixed_size: 0
    .kernarg_segment_align: 8
    .kernarg_segment_size: 40
    .language:       OpenCL C
    .language_version:
      - 2
      - 0
    .max_flat_workgroup_size: 256
    .name:           _ZN7rocprim17ROCPRIM_400000_NS6detail17trampoline_kernelINS0_14default_configENS1_20scan_config_selectorIiEEZZNS1_9scan_implILNS1_25lookback_scan_determinismE0ELb0ELb0ES3_N6thrust23THRUST_200600_302600_NS6detail15normal_iteratorINS9_10device_ptrIiEEEENS9_16discard_iteratorINS9_11use_defaultEEEiNS9_4plusIvEEiEEDaPvRmT3_T4_T5_mT6_P12ihipStream_tbENKUlT_T0_E_clISt17integral_constantIbLb0EESW_IbLb1EEEEDaSS_ST_EUlSS_E0_NS1_11comp_targetILNS1_3genE9ELNS1_11target_archE1100ELNS1_3gpuE3ELNS1_3repE0EEENS1_30default_config_static_selectorELNS0_4arch9wavefront6targetE1EEEvT1_
    .private_segment_fixed_size: 0
    .sgpr_count:     4
    .sgpr_spill_count: 0
    .symbol:         _ZN7rocprim17ROCPRIM_400000_NS6detail17trampoline_kernelINS0_14default_configENS1_20scan_config_selectorIiEEZZNS1_9scan_implILNS1_25lookback_scan_determinismE0ELb0ELb0ES3_N6thrust23THRUST_200600_302600_NS6detail15normal_iteratorINS9_10device_ptrIiEEEENS9_16discard_iteratorINS9_11use_defaultEEEiNS9_4plusIvEEiEEDaPvRmT3_T4_T5_mT6_P12ihipStream_tbENKUlT_T0_E_clISt17integral_constantIbLb0EESW_IbLb1EEEEDaSS_ST_EUlSS_E0_NS1_11comp_targetILNS1_3genE9ELNS1_11target_archE1100ELNS1_3gpuE3ELNS1_3repE0EEENS1_30default_config_static_selectorELNS0_4arch9wavefront6targetE1EEEvT1_.kd
    .uniform_work_group_size: 1
    .uses_dynamic_stack: false
    .vgpr_count:     0
    .vgpr_spill_count: 0
    .wavefront_size: 64
  - .agpr_count:     0
    .args:
      - .offset:         0
        .size:           40
        .value_kind:     by_value
    .group_segment_fixed_size: 0
    .kernarg_segment_align: 8
    .kernarg_segment_size: 40
    .language:       OpenCL C
    .language_version:
      - 2
      - 0
    .max_flat_workgroup_size: 64
    .name:           _ZN7rocprim17ROCPRIM_400000_NS6detail17trampoline_kernelINS0_14default_configENS1_20scan_config_selectorIiEEZZNS1_9scan_implILNS1_25lookback_scan_determinismE0ELb0ELb0ES3_N6thrust23THRUST_200600_302600_NS6detail15normal_iteratorINS9_10device_ptrIiEEEENS9_16discard_iteratorINS9_11use_defaultEEEiNS9_4plusIvEEiEEDaPvRmT3_T4_T5_mT6_P12ihipStream_tbENKUlT_T0_E_clISt17integral_constantIbLb0EESW_IbLb1EEEEDaSS_ST_EUlSS_E0_NS1_11comp_targetILNS1_3genE8ELNS1_11target_archE1030ELNS1_3gpuE2ELNS1_3repE0EEENS1_30default_config_static_selectorELNS0_4arch9wavefront6targetE1EEEvT1_
    .private_segment_fixed_size: 0
    .sgpr_count:     4
    .sgpr_spill_count: 0
    .symbol:         _ZN7rocprim17ROCPRIM_400000_NS6detail17trampoline_kernelINS0_14default_configENS1_20scan_config_selectorIiEEZZNS1_9scan_implILNS1_25lookback_scan_determinismE0ELb0ELb0ES3_N6thrust23THRUST_200600_302600_NS6detail15normal_iteratorINS9_10device_ptrIiEEEENS9_16discard_iteratorINS9_11use_defaultEEEiNS9_4plusIvEEiEEDaPvRmT3_T4_T5_mT6_P12ihipStream_tbENKUlT_T0_E_clISt17integral_constantIbLb0EESW_IbLb1EEEEDaSS_ST_EUlSS_E0_NS1_11comp_targetILNS1_3genE8ELNS1_11target_archE1030ELNS1_3gpuE2ELNS1_3repE0EEENS1_30default_config_static_selectorELNS0_4arch9wavefront6targetE1EEEvT1_.kd
    .uniform_work_group_size: 1
    .uses_dynamic_stack: false
    .vgpr_count:     0
    .vgpr_spill_count: 0
    .wavefront_size: 64
  - .agpr_count:     0
    .args:
      - .offset:         0
        .size:           104
        .value_kind:     by_value
    .group_segment_fixed_size: 0
    .kernarg_segment_align: 8
    .kernarg_segment_size: 104
    .language:       OpenCL C
    .language_version:
      - 2
      - 0
    .max_flat_workgroup_size: 256
    .name:           _ZN7rocprim17ROCPRIM_400000_NS6detail17trampoline_kernelINS0_14default_configENS1_20scan_config_selectorIiEEZZNS1_9scan_implILNS1_25lookback_scan_determinismE0ELb1ELb1ES3_N6thrust23THRUST_200600_302600_NS6detail15normal_iteratorINS9_10device_ptrIiEEEENS9_16discard_iteratorINS9_11use_defaultEEEiNS9_4plusIvEEiEEDaPvRmT3_T4_T5_mT6_P12ihipStream_tbENKUlT_T0_E_clISt17integral_constantIbLb0EESX_EEDaSS_ST_EUlSS_E_NS1_11comp_targetILNS1_3genE0ELNS1_11target_archE4294967295ELNS1_3gpuE0ELNS1_3repE0EEENS1_30default_config_static_selectorELNS0_4arch9wavefront6targetE1EEEvT1_
    .private_segment_fixed_size: 0
    .sgpr_count:     4
    .sgpr_spill_count: 0
    .symbol:         _ZN7rocprim17ROCPRIM_400000_NS6detail17trampoline_kernelINS0_14default_configENS1_20scan_config_selectorIiEEZZNS1_9scan_implILNS1_25lookback_scan_determinismE0ELb1ELb1ES3_N6thrust23THRUST_200600_302600_NS6detail15normal_iteratorINS9_10device_ptrIiEEEENS9_16discard_iteratorINS9_11use_defaultEEEiNS9_4plusIvEEiEEDaPvRmT3_T4_T5_mT6_P12ihipStream_tbENKUlT_T0_E_clISt17integral_constantIbLb0EESX_EEDaSS_ST_EUlSS_E_NS1_11comp_targetILNS1_3genE0ELNS1_11target_archE4294967295ELNS1_3gpuE0ELNS1_3repE0EEENS1_30default_config_static_selectorELNS0_4arch9wavefront6targetE1EEEvT1_.kd
    .uniform_work_group_size: 1
    .uses_dynamic_stack: false
    .vgpr_count:     0
    .vgpr_spill_count: 0
    .wavefront_size: 64
  - .agpr_count:     0
    .args:
      - .offset:         0
        .size:           104
        .value_kind:     by_value
    .group_segment_fixed_size: 0
    .kernarg_segment_align: 8
    .kernarg_segment_size: 104
    .language:       OpenCL C
    .language_version:
      - 2
      - 0
    .max_flat_workgroup_size: 256
    .name:           _ZN7rocprim17ROCPRIM_400000_NS6detail17trampoline_kernelINS0_14default_configENS1_20scan_config_selectorIiEEZZNS1_9scan_implILNS1_25lookback_scan_determinismE0ELb1ELb1ES3_N6thrust23THRUST_200600_302600_NS6detail15normal_iteratorINS9_10device_ptrIiEEEENS9_16discard_iteratorINS9_11use_defaultEEEiNS9_4plusIvEEiEEDaPvRmT3_T4_T5_mT6_P12ihipStream_tbENKUlT_T0_E_clISt17integral_constantIbLb0EESX_EEDaSS_ST_EUlSS_E_NS1_11comp_targetILNS1_3genE5ELNS1_11target_archE942ELNS1_3gpuE9ELNS1_3repE0EEENS1_30default_config_static_selectorELNS0_4arch9wavefront6targetE1EEEvT1_
    .private_segment_fixed_size: 0
    .sgpr_count:     4
    .sgpr_spill_count: 0
    .symbol:         _ZN7rocprim17ROCPRIM_400000_NS6detail17trampoline_kernelINS0_14default_configENS1_20scan_config_selectorIiEEZZNS1_9scan_implILNS1_25lookback_scan_determinismE0ELb1ELb1ES3_N6thrust23THRUST_200600_302600_NS6detail15normal_iteratorINS9_10device_ptrIiEEEENS9_16discard_iteratorINS9_11use_defaultEEEiNS9_4plusIvEEiEEDaPvRmT3_T4_T5_mT6_P12ihipStream_tbENKUlT_T0_E_clISt17integral_constantIbLb0EESX_EEDaSS_ST_EUlSS_E_NS1_11comp_targetILNS1_3genE5ELNS1_11target_archE942ELNS1_3gpuE9ELNS1_3repE0EEENS1_30default_config_static_selectorELNS0_4arch9wavefront6targetE1EEEvT1_.kd
    .uniform_work_group_size: 1
    .uses_dynamic_stack: false
    .vgpr_count:     0
    .vgpr_spill_count: 0
    .wavefront_size: 64
  - .agpr_count:     0
    .args:
      - .offset:         0
        .size:           104
        .value_kind:     by_value
    .group_segment_fixed_size: 5120
    .kernarg_segment_align: 8
    .kernarg_segment_size: 104
    .language:       OpenCL C
    .language_version:
      - 2
      - 0
    .max_flat_workgroup_size: 128
    .name:           _ZN7rocprim17ROCPRIM_400000_NS6detail17trampoline_kernelINS0_14default_configENS1_20scan_config_selectorIiEEZZNS1_9scan_implILNS1_25lookback_scan_determinismE0ELb1ELb1ES3_N6thrust23THRUST_200600_302600_NS6detail15normal_iteratorINS9_10device_ptrIiEEEENS9_16discard_iteratorINS9_11use_defaultEEEiNS9_4plusIvEEiEEDaPvRmT3_T4_T5_mT6_P12ihipStream_tbENKUlT_T0_E_clISt17integral_constantIbLb0EESX_EEDaSS_ST_EUlSS_E_NS1_11comp_targetILNS1_3genE4ELNS1_11target_archE910ELNS1_3gpuE8ELNS1_3repE0EEENS1_30default_config_static_selectorELNS0_4arch9wavefront6targetE1EEEvT1_
    .private_segment_fixed_size: 0
    .sgpr_count:     27
    .sgpr_spill_count: 0
    .symbol:         _ZN7rocprim17ROCPRIM_400000_NS6detail17trampoline_kernelINS0_14default_configENS1_20scan_config_selectorIiEEZZNS1_9scan_implILNS1_25lookback_scan_determinismE0ELb1ELb1ES3_N6thrust23THRUST_200600_302600_NS6detail15normal_iteratorINS9_10device_ptrIiEEEENS9_16discard_iteratorINS9_11use_defaultEEEiNS9_4plusIvEEiEEDaPvRmT3_T4_T5_mT6_P12ihipStream_tbENKUlT_T0_E_clISt17integral_constantIbLb0EESX_EEDaSS_ST_EUlSS_E_NS1_11comp_targetILNS1_3genE4ELNS1_11target_archE910ELNS1_3gpuE8ELNS1_3repE0EEENS1_30default_config_static_selectorELNS0_4arch9wavefront6targetE1EEEvT1_.kd
    .uniform_work_group_size: 1
    .uses_dynamic_stack: false
    .vgpr_count:     40
    .vgpr_spill_count: 0
    .wavefront_size: 64
  - .agpr_count:     0
    .args:
      - .offset:         0
        .size:           104
        .value_kind:     by_value
    .group_segment_fixed_size: 0
    .kernarg_segment_align: 8
    .kernarg_segment_size: 104
    .language:       OpenCL C
    .language_version:
      - 2
      - 0
    .max_flat_workgroup_size: 256
    .name:           _ZN7rocprim17ROCPRIM_400000_NS6detail17trampoline_kernelINS0_14default_configENS1_20scan_config_selectorIiEEZZNS1_9scan_implILNS1_25lookback_scan_determinismE0ELb1ELb1ES3_N6thrust23THRUST_200600_302600_NS6detail15normal_iteratorINS9_10device_ptrIiEEEENS9_16discard_iteratorINS9_11use_defaultEEEiNS9_4plusIvEEiEEDaPvRmT3_T4_T5_mT6_P12ihipStream_tbENKUlT_T0_E_clISt17integral_constantIbLb0EESX_EEDaSS_ST_EUlSS_E_NS1_11comp_targetILNS1_3genE3ELNS1_11target_archE908ELNS1_3gpuE7ELNS1_3repE0EEENS1_30default_config_static_selectorELNS0_4arch9wavefront6targetE1EEEvT1_
    .private_segment_fixed_size: 0
    .sgpr_count:     4
    .sgpr_spill_count: 0
    .symbol:         _ZN7rocprim17ROCPRIM_400000_NS6detail17trampoline_kernelINS0_14default_configENS1_20scan_config_selectorIiEEZZNS1_9scan_implILNS1_25lookback_scan_determinismE0ELb1ELb1ES3_N6thrust23THRUST_200600_302600_NS6detail15normal_iteratorINS9_10device_ptrIiEEEENS9_16discard_iteratorINS9_11use_defaultEEEiNS9_4plusIvEEiEEDaPvRmT3_T4_T5_mT6_P12ihipStream_tbENKUlT_T0_E_clISt17integral_constantIbLb0EESX_EEDaSS_ST_EUlSS_E_NS1_11comp_targetILNS1_3genE3ELNS1_11target_archE908ELNS1_3gpuE7ELNS1_3repE0EEENS1_30default_config_static_selectorELNS0_4arch9wavefront6targetE1EEEvT1_.kd
    .uniform_work_group_size: 1
    .uses_dynamic_stack: false
    .vgpr_count:     0
    .vgpr_spill_count: 0
    .wavefront_size: 64
  - .agpr_count:     0
    .args:
      - .offset:         0
        .size:           104
        .value_kind:     by_value
    .group_segment_fixed_size: 0
    .kernarg_segment_align: 8
    .kernarg_segment_size: 104
    .language:       OpenCL C
    .language_version:
      - 2
      - 0
    .max_flat_workgroup_size: 256
    .name:           _ZN7rocprim17ROCPRIM_400000_NS6detail17trampoline_kernelINS0_14default_configENS1_20scan_config_selectorIiEEZZNS1_9scan_implILNS1_25lookback_scan_determinismE0ELb1ELb1ES3_N6thrust23THRUST_200600_302600_NS6detail15normal_iteratorINS9_10device_ptrIiEEEENS9_16discard_iteratorINS9_11use_defaultEEEiNS9_4plusIvEEiEEDaPvRmT3_T4_T5_mT6_P12ihipStream_tbENKUlT_T0_E_clISt17integral_constantIbLb0EESX_EEDaSS_ST_EUlSS_E_NS1_11comp_targetILNS1_3genE2ELNS1_11target_archE906ELNS1_3gpuE6ELNS1_3repE0EEENS1_30default_config_static_selectorELNS0_4arch9wavefront6targetE1EEEvT1_
    .private_segment_fixed_size: 0
    .sgpr_count:     4
    .sgpr_spill_count: 0
    .symbol:         _ZN7rocprim17ROCPRIM_400000_NS6detail17trampoline_kernelINS0_14default_configENS1_20scan_config_selectorIiEEZZNS1_9scan_implILNS1_25lookback_scan_determinismE0ELb1ELb1ES3_N6thrust23THRUST_200600_302600_NS6detail15normal_iteratorINS9_10device_ptrIiEEEENS9_16discard_iteratorINS9_11use_defaultEEEiNS9_4plusIvEEiEEDaPvRmT3_T4_T5_mT6_P12ihipStream_tbENKUlT_T0_E_clISt17integral_constantIbLb0EESX_EEDaSS_ST_EUlSS_E_NS1_11comp_targetILNS1_3genE2ELNS1_11target_archE906ELNS1_3gpuE6ELNS1_3repE0EEENS1_30default_config_static_selectorELNS0_4arch9wavefront6targetE1EEEvT1_.kd
    .uniform_work_group_size: 1
    .uses_dynamic_stack: false
    .vgpr_count:     0
    .vgpr_spill_count: 0
    .wavefront_size: 64
  - .agpr_count:     0
    .args:
      - .offset:         0
        .size:           104
        .value_kind:     by_value
    .group_segment_fixed_size: 0
    .kernarg_segment_align: 8
    .kernarg_segment_size: 104
    .language:       OpenCL C
    .language_version:
      - 2
      - 0
    .max_flat_workgroup_size: 256
    .name:           _ZN7rocprim17ROCPRIM_400000_NS6detail17trampoline_kernelINS0_14default_configENS1_20scan_config_selectorIiEEZZNS1_9scan_implILNS1_25lookback_scan_determinismE0ELb1ELb1ES3_N6thrust23THRUST_200600_302600_NS6detail15normal_iteratorINS9_10device_ptrIiEEEENS9_16discard_iteratorINS9_11use_defaultEEEiNS9_4plusIvEEiEEDaPvRmT3_T4_T5_mT6_P12ihipStream_tbENKUlT_T0_E_clISt17integral_constantIbLb0EESX_EEDaSS_ST_EUlSS_E_NS1_11comp_targetILNS1_3genE10ELNS1_11target_archE1201ELNS1_3gpuE5ELNS1_3repE0EEENS1_30default_config_static_selectorELNS0_4arch9wavefront6targetE1EEEvT1_
    .private_segment_fixed_size: 0
    .sgpr_count:     4
    .sgpr_spill_count: 0
    .symbol:         _ZN7rocprim17ROCPRIM_400000_NS6detail17trampoline_kernelINS0_14default_configENS1_20scan_config_selectorIiEEZZNS1_9scan_implILNS1_25lookback_scan_determinismE0ELb1ELb1ES3_N6thrust23THRUST_200600_302600_NS6detail15normal_iteratorINS9_10device_ptrIiEEEENS9_16discard_iteratorINS9_11use_defaultEEEiNS9_4plusIvEEiEEDaPvRmT3_T4_T5_mT6_P12ihipStream_tbENKUlT_T0_E_clISt17integral_constantIbLb0EESX_EEDaSS_ST_EUlSS_E_NS1_11comp_targetILNS1_3genE10ELNS1_11target_archE1201ELNS1_3gpuE5ELNS1_3repE0EEENS1_30default_config_static_selectorELNS0_4arch9wavefront6targetE1EEEvT1_.kd
    .uniform_work_group_size: 1
    .uses_dynamic_stack: false
    .vgpr_count:     0
    .vgpr_spill_count: 0
    .wavefront_size: 64
  - .agpr_count:     0
    .args:
      - .offset:         0
        .size:           104
        .value_kind:     by_value
    .group_segment_fixed_size: 0
    .kernarg_segment_align: 8
    .kernarg_segment_size: 104
    .language:       OpenCL C
    .language_version:
      - 2
      - 0
    .max_flat_workgroup_size: 256
    .name:           _ZN7rocprim17ROCPRIM_400000_NS6detail17trampoline_kernelINS0_14default_configENS1_20scan_config_selectorIiEEZZNS1_9scan_implILNS1_25lookback_scan_determinismE0ELb1ELb1ES3_N6thrust23THRUST_200600_302600_NS6detail15normal_iteratorINS9_10device_ptrIiEEEENS9_16discard_iteratorINS9_11use_defaultEEEiNS9_4plusIvEEiEEDaPvRmT3_T4_T5_mT6_P12ihipStream_tbENKUlT_T0_E_clISt17integral_constantIbLb0EESX_EEDaSS_ST_EUlSS_E_NS1_11comp_targetILNS1_3genE10ELNS1_11target_archE1200ELNS1_3gpuE4ELNS1_3repE0EEENS1_30default_config_static_selectorELNS0_4arch9wavefront6targetE1EEEvT1_
    .private_segment_fixed_size: 0
    .sgpr_count:     4
    .sgpr_spill_count: 0
    .symbol:         _ZN7rocprim17ROCPRIM_400000_NS6detail17trampoline_kernelINS0_14default_configENS1_20scan_config_selectorIiEEZZNS1_9scan_implILNS1_25lookback_scan_determinismE0ELb1ELb1ES3_N6thrust23THRUST_200600_302600_NS6detail15normal_iteratorINS9_10device_ptrIiEEEENS9_16discard_iteratorINS9_11use_defaultEEEiNS9_4plusIvEEiEEDaPvRmT3_T4_T5_mT6_P12ihipStream_tbENKUlT_T0_E_clISt17integral_constantIbLb0EESX_EEDaSS_ST_EUlSS_E_NS1_11comp_targetILNS1_3genE10ELNS1_11target_archE1200ELNS1_3gpuE4ELNS1_3repE0EEENS1_30default_config_static_selectorELNS0_4arch9wavefront6targetE1EEEvT1_.kd
    .uniform_work_group_size: 1
    .uses_dynamic_stack: false
    .vgpr_count:     0
    .vgpr_spill_count: 0
    .wavefront_size: 64
  - .agpr_count:     0
    .args:
      - .offset:         0
        .size:           104
        .value_kind:     by_value
    .group_segment_fixed_size: 0
    .kernarg_segment_align: 8
    .kernarg_segment_size: 104
    .language:       OpenCL C
    .language_version:
      - 2
      - 0
    .max_flat_workgroup_size: 256
    .name:           _ZN7rocprim17ROCPRIM_400000_NS6detail17trampoline_kernelINS0_14default_configENS1_20scan_config_selectorIiEEZZNS1_9scan_implILNS1_25lookback_scan_determinismE0ELb1ELb1ES3_N6thrust23THRUST_200600_302600_NS6detail15normal_iteratorINS9_10device_ptrIiEEEENS9_16discard_iteratorINS9_11use_defaultEEEiNS9_4plusIvEEiEEDaPvRmT3_T4_T5_mT6_P12ihipStream_tbENKUlT_T0_E_clISt17integral_constantIbLb0EESX_EEDaSS_ST_EUlSS_E_NS1_11comp_targetILNS1_3genE9ELNS1_11target_archE1100ELNS1_3gpuE3ELNS1_3repE0EEENS1_30default_config_static_selectorELNS0_4arch9wavefront6targetE1EEEvT1_
    .private_segment_fixed_size: 0
    .sgpr_count:     4
    .sgpr_spill_count: 0
    .symbol:         _ZN7rocprim17ROCPRIM_400000_NS6detail17trampoline_kernelINS0_14default_configENS1_20scan_config_selectorIiEEZZNS1_9scan_implILNS1_25lookback_scan_determinismE0ELb1ELb1ES3_N6thrust23THRUST_200600_302600_NS6detail15normal_iteratorINS9_10device_ptrIiEEEENS9_16discard_iteratorINS9_11use_defaultEEEiNS9_4plusIvEEiEEDaPvRmT3_T4_T5_mT6_P12ihipStream_tbENKUlT_T0_E_clISt17integral_constantIbLb0EESX_EEDaSS_ST_EUlSS_E_NS1_11comp_targetILNS1_3genE9ELNS1_11target_archE1100ELNS1_3gpuE3ELNS1_3repE0EEENS1_30default_config_static_selectorELNS0_4arch9wavefront6targetE1EEEvT1_.kd
    .uniform_work_group_size: 1
    .uses_dynamic_stack: false
    .vgpr_count:     0
    .vgpr_spill_count: 0
    .wavefront_size: 64
  - .agpr_count:     0
    .args:
      - .offset:         0
        .size:           104
        .value_kind:     by_value
    .group_segment_fixed_size: 0
    .kernarg_segment_align: 8
    .kernarg_segment_size: 104
    .language:       OpenCL C
    .language_version:
      - 2
      - 0
    .max_flat_workgroup_size: 64
    .name:           _ZN7rocprim17ROCPRIM_400000_NS6detail17trampoline_kernelINS0_14default_configENS1_20scan_config_selectorIiEEZZNS1_9scan_implILNS1_25lookback_scan_determinismE0ELb1ELb1ES3_N6thrust23THRUST_200600_302600_NS6detail15normal_iteratorINS9_10device_ptrIiEEEENS9_16discard_iteratorINS9_11use_defaultEEEiNS9_4plusIvEEiEEDaPvRmT3_T4_T5_mT6_P12ihipStream_tbENKUlT_T0_E_clISt17integral_constantIbLb0EESX_EEDaSS_ST_EUlSS_E_NS1_11comp_targetILNS1_3genE8ELNS1_11target_archE1030ELNS1_3gpuE2ELNS1_3repE0EEENS1_30default_config_static_selectorELNS0_4arch9wavefront6targetE1EEEvT1_
    .private_segment_fixed_size: 0
    .sgpr_count:     4
    .sgpr_spill_count: 0
    .symbol:         _ZN7rocprim17ROCPRIM_400000_NS6detail17trampoline_kernelINS0_14default_configENS1_20scan_config_selectorIiEEZZNS1_9scan_implILNS1_25lookback_scan_determinismE0ELb1ELb1ES3_N6thrust23THRUST_200600_302600_NS6detail15normal_iteratorINS9_10device_ptrIiEEEENS9_16discard_iteratorINS9_11use_defaultEEEiNS9_4plusIvEEiEEDaPvRmT3_T4_T5_mT6_P12ihipStream_tbENKUlT_T0_E_clISt17integral_constantIbLb0EESX_EEDaSS_ST_EUlSS_E_NS1_11comp_targetILNS1_3genE8ELNS1_11target_archE1030ELNS1_3gpuE2ELNS1_3repE0EEENS1_30default_config_static_selectorELNS0_4arch9wavefront6targetE1EEEvT1_.kd
    .uniform_work_group_size: 1
    .uses_dynamic_stack: false
    .vgpr_count:     0
    .vgpr_spill_count: 0
    .wavefront_size: 64
  - .agpr_count:     0
    .args:
      - .offset:         0
        .size:           40
        .value_kind:     by_value
    .group_segment_fixed_size: 0
    .kernarg_segment_align: 8
    .kernarg_segment_size: 40
    .language:       OpenCL C
    .language_version:
      - 2
      - 0
    .max_flat_workgroup_size: 256
    .name:           _ZN7rocprim17ROCPRIM_400000_NS6detail17trampoline_kernelINS0_14default_configENS1_20scan_config_selectorIiEEZZNS1_9scan_implILNS1_25lookback_scan_determinismE0ELb1ELb1ES3_N6thrust23THRUST_200600_302600_NS6detail15normal_iteratorINS9_10device_ptrIiEEEENS9_16discard_iteratorINS9_11use_defaultEEEiNS9_4plusIvEEiEEDaPvRmT3_T4_T5_mT6_P12ihipStream_tbENKUlT_T0_E_clISt17integral_constantIbLb0EESX_EEDaSS_ST_EUlSS_E0_NS1_11comp_targetILNS1_3genE0ELNS1_11target_archE4294967295ELNS1_3gpuE0ELNS1_3repE0EEENS1_30default_config_static_selectorELNS0_4arch9wavefront6targetE1EEEvT1_
    .private_segment_fixed_size: 0
    .sgpr_count:     4
    .sgpr_spill_count: 0
    .symbol:         _ZN7rocprim17ROCPRIM_400000_NS6detail17trampoline_kernelINS0_14default_configENS1_20scan_config_selectorIiEEZZNS1_9scan_implILNS1_25lookback_scan_determinismE0ELb1ELb1ES3_N6thrust23THRUST_200600_302600_NS6detail15normal_iteratorINS9_10device_ptrIiEEEENS9_16discard_iteratorINS9_11use_defaultEEEiNS9_4plusIvEEiEEDaPvRmT3_T4_T5_mT6_P12ihipStream_tbENKUlT_T0_E_clISt17integral_constantIbLb0EESX_EEDaSS_ST_EUlSS_E0_NS1_11comp_targetILNS1_3genE0ELNS1_11target_archE4294967295ELNS1_3gpuE0ELNS1_3repE0EEENS1_30default_config_static_selectorELNS0_4arch9wavefront6targetE1EEEvT1_.kd
    .uniform_work_group_size: 1
    .uses_dynamic_stack: false
    .vgpr_count:     0
    .vgpr_spill_count: 0
    .wavefront_size: 64
  - .agpr_count:     0
    .args:
      - .offset:         0
        .size:           40
        .value_kind:     by_value
    .group_segment_fixed_size: 0
    .kernarg_segment_align: 8
    .kernarg_segment_size: 40
    .language:       OpenCL C
    .language_version:
      - 2
      - 0
    .max_flat_workgroup_size: 256
    .name:           _ZN7rocprim17ROCPRIM_400000_NS6detail17trampoline_kernelINS0_14default_configENS1_20scan_config_selectorIiEEZZNS1_9scan_implILNS1_25lookback_scan_determinismE0ELb1ELb1ES3_N6thrust23THRUST_200600_302600_NS6detail15normal_iteratorINS9_10device_ptrIiEEEENS9_16discard_iteratorINS9_11use_defaultEEEiNS9_4plusIvEEiEEDaPvRmT3_T4_T5_mT6_P12ihipStream_tbENKUlT_T0_E_clISt17integral_constantIbLb0EESX_EEDaSS_ST_EUlSS_E0_NS1_11comp_targetILNS1_3genE5ELNS1_11target_archE942ELNS1_3gpuE9ELNS1_3repE0EEENS1_30default_config_static_selectorELNS0_4arch9wavefront6targetE1EEEvT1_
    .private_segment_fixed_size: 0
    .sgpr_count:     4
    .sgpr_spill_count: 0
    .symbol:         _ZN7rocprim17ROCPRIM_400000_NS6detail17trampoline_kernelINS0_14default_configENS1_20scan_config_selectorIiEEZZNS1_9scan_implILNS1_25lookback_scan_determinismE0ELb1ELb1ES3_N6thrust23THRUST_200600_302600_NS6detail15normal_iteratorINS9_10device_ptrIiEEEENS9_16discard_iteratorINS9_11use_defaultEEEiNS9_4plusIvEEiEEDaPvRmT3_T4_T5_mT6_P12ihipStream_tbENKUlT_T0_E_clISt17integral_constantIbLb0EESX_EEDaSS_ST_EUlSS_E0_NS1_11comp_targetILNS1_3genE5ELNS1_11target_archE942ELNS1_3gpuE9ELNS1_3repE0EEENS1_30default_config_static_selectorELNS0_4arch9wavefront6targetE1EEEvT1_.kd
    .uniform_work_group_size: 1
    .uses_dynamic_stack: false
    .vgpr_count:     0
    .vgpr_spill_count: 0
    .wavefront_size: 64
  - .agpr_count:     0
    .args:
      - .offset:         0
        .size:           40
        .value_kind:     by_value
    .group_segment_fixed_size: 5120
    .kernarg_segment_align: 8
    .kernarg_segment_size: 40
    .language:       OpenCL C
    .language_version:
      - 2
      - 0
    .max_flat_workgroup_size: 128
    .name:           _ZN7rocprim17ROCPRIM_400000_NS6detail17trampoline_kernelINS0_14default_configENS1_20scan_config_selectorIiEEZZNS1_9scan_implILNS1_25lookback_scan_determinismE0ELb1ELb1ES3_N6thrust23THRUST_200600_302600_NS6detail15normal_iteratorINS9_10device_ptrIiEEEENS9_16discard_iteratorINS9_11use_defaultEEEiNS9_4plusIvEEiEEDaPvRmT3_T4_T5_mT6_P12ihipStream_tbENKUlT_T0_E_clISt17integral_constantIbLb0EESX_EEDaSS_ST_EUlSS_E0_NS1_11comp_targetILNS1_3genE4ELNS1_11target_archE910ELNS1_3gpuE8ELNS1_3repE0EEENS1_30default_config_static_selectorELNS0_4arch9wavefront6targetE1EEEvT1_
    .private_segment_fixed_size: 0
    .sgpr_count:     12
    .sgpr_spill_count: 0
    .symbol:         _ZN7rocprim17ROCPRIM_400000_NS6detail17trampoline_kernelINS0_14default_configENS1_20scan_config_selectorIiEEZZNS1_9scan_implILNS1_25lookback_scan_determinismE0ELb1ELb1ES3_N6thrust23THRUST_200600_302600_NS6detail15normal_iteratorINS9_10device_ptrIiEEEENS9_16discard_iteratorINS9_11use_defaultEEEiNS9_4plusIvEEiEEDaPvRmT3_T4_T5_mT6_P12ihipStream_tbENKUlT_T0_E_clISt17integral_constantIbLb0EESX_EEDaSS_ST_EUlSS_E0_NS1_11comp_targetILNS1_3genE4ELNS1_11target_archE910ELNS1_3gpuE8ELNS1_3repE0EEENS1_30default_config_static_selectorELNS0_4arch9wavefront6targetE1EEEvT1_.kd
    .uniform_work_group_size: 1
    .uses_dynamic_stack: false
    .vgpr_count:     18
    .vgpr_spill_count: 0
    .wavefront_size: 64
  - .agpr_count:     0
    .args:
      - .offset:         0
        .size:           40
        .value_kind:     by_value
    .group_segment_fixed_size: 0
    .kernarg_segment_align: 8
    .kernarg_segment_size: 40
    .language:       OpenCL C
    .language_version:
      - 2
      - 0
    .max_flat_workgroup_size: 256
    .name:           _ZN7rocprim17ROCPRIM_400000_NS6detail17trampoline_kernelINS0_14default_configENS1_20scan_config_selectorIiEEZZNS1_9scan_implILNS1_25lookback_scan_determinismE0ELb1ELb1ES3_N6thrust23THRUST_200600_302600_NS6detail15normal_iteratorINS9_10device_ptrIiEEEENS9_16discard_iteratorINS9_11use_defaultEEEiNS9_4plusIvEEiEEDaPvRmT3_T4_T5_mT6_P12ihipStream_tbENKUlT_T0_E_clISt17integral_constantIbLb0EESX_EEDaSS_ST_EUlSS_E0_NS1_11comp_targetILNS1_3genE3ELNS1_11target_archE908ELNS1_3gpuE7ELNS1_3repE0EEENS1_30default_config_static_selectorELNS0_4arch9wavefront6targetE1EEEvT1_
    .private_segment_fixed_size: 0
    .sgpr_count:     4
    .sgpr_spill_count: 0
    .symbol:         _ZN7rocprim17ROCPRIM_400000_NS6detail17trampoline_kernelINS0_14default_configENS1_20scan_config_selectorIiEEZZNS1_9scan_implILNS1_25lookback_scan_determinismE0ELb1ELb1ES3_N6thrust23THRUST_200600_302600_NS6detail15normal_iteratorINS9_10device_ptrIiEEEENS9_16discard_iteratorINS9_11use_defaultEEEiNS9_4plusIvEEiEEDaPvRmT3_T4_T5_mT6_P12ihipStream_tbENKUlT_T0_E_clISt17integral_constantIbLb0EESX_EEDaSS_ST_EUlSS_E0_NS1_11comp_targetILNS1_3genE3ELNS1_11target_archE908ELNS1_3gpuE7ELNS1_3repE0EEENS1_30default_config_static_selectorELNS0_4arch9wavefront6targetE1EEEvT1_.kd
    .uniform_work_group_size: 1
    .uses_dynamic_stack: false
    .vgpr_count:     0
    .vgpr_spill_count: 0
    .wavefront_size: 64
  - .agpr_count:     0
    .args:
      - .offset:         0
        .size:           40
        .value_kind:     by_value
    .group_segment_fixed_size: 0
    .kernarg_segment_align: 8
    .kernarg_segment_size: 40
    .language:       OpenCL C
    .language_version:
      - 2
      - 0
    .max_flat_workgroup_size: 256
    .name:           _ZN7rocprim17ROCPRIM_400000_NS6detail17trampoline_kernelINS0_14default_configENS1_20scan_config_selectorIiEEZZNS1_9scan_implILNS1_25lookback_scan_determinismE0ELb1ELb1ES3_N6thrust23THRUST_200600_302600_NS6detail15normal_iteratorINS9_10device_ptrIiEEEENS9_16discard_iteratorINS9_11use_defaultEEEiNS9_4plusIvEEiEEDaPvRmT3_T4_T5_mT6_P12ihipStream_tbENKUlT_T0_E_clISt17integral_constantIbLb0EESX_EEDaSS_ST_EUlSS_E0_NS1_11comp_targetILNS1_3genE2ELNS1_11target_archE906ELNS1_3gpuE6ELNS1_3repE0EEENS1_30default_config_static_selectorELNS0_4arch9wavefront6targetE1EEEvT1_
    .private_segment_fixed_size: 0
    .sgpr_count:     4
    .sgpr_spill_count: 0
    .symbol:         _ZN7rocprim17ROCPRIM_400000_NS6detail17trampoline_kernelINS0_14default_configENS1_20scan_config_selectorIiEEZZNS1_9scan_implILNS1_25lookback_scan_determinismE0ELb1ELb1ES3_N6thrust23THRUST_200600_302600_NS6detail15normal_iteratorINS9_10device_ptrIiEEEENS9_16discard_iteratorINS9_11use_defaultEEEiNS9_4plusIvEEiEEDaPvRmT3_T4_T5_mT6_P12ihipStream_tbENKUlT_T0_E_clISt17integral_constantIbLb0EESX_EEDaSS_ST_EUlSS_E0_NS1_11comp_targetILNS1_3genE2ELNS1_11target_archE906ELNS1_3gpuE6ELNS1_3repE0EEENS1_30default_config_static_selectorELNS0_4arch9wavefront6targetE1EEEvT1_.kd
    .uniform_work_group_size: 1
    .uses_dynamic_stack: false
    .vgpr_count:     0
    .vgpr_spill_count: 0
    .wavefront_size: 64
  - .agpr_count:     0
    .args:
      - .offset:         0
        .size:           40
        .value_kind:     by_value
    .group_segment_fixed_size: 0
    .kernarg_segment_align: 8
    .kernarg_segment_size: 40
    .language:       OpenCL C
    .language_version:
      - 2
      - 0
    .max_flat_workgroup_size: 256
    .name:           _ZN7rocprim17ROCPRIM_400000_NS6detail17trampoline_kernelINS0_14default_configENS1_20scan_config_selectorIiEEZZNS1_9scan_implILNS1_25lookback_scan_determinismE0ELb1ELb1ES3_N6thrust23THRUST_200600_302600_NS6detail15normal_iteratorINS9_10device_ptrIiEEEENS9_16discard_iteratorINS9_11use_defaultEEEiNS9_4plusIvEEiEEDaPvRmT3_T4_T5_mT6_P12ihipStream_tbENKUlT_T0_E_clISt17integral_constantIbLb0EESX_EEDaSS_ST_EUlSS_E0_NS1_11comp_targetILNS1_3genE10ELNS1_11target_archE1201ELNS1_3gpuE5ELNS1_3repE0EEENS1_30default_config_static_selectorELNS0_4arch9wavefront6targetE1EEEvT1_
    .private_segment_fixed_size: 0
    .sgpr_count:     4
    .sgpr_spill_count: 0
    .symbol:         _ZN7rocprim17ROCPRIM_400000_NS6detail17trampoline_kernelINS0_14default_configENS1_20scan_config_selectorIiEEZZNS1_9scan_implILNS1_25lookback_scan_determinismE0ELb1ELb1ES3_N6thrust23THRUST_200600_302600_NS6detail15normal_iteratorINS9_10device_ptrIiEEEENS9_16discard_iteratorINS9_11use_defaultEEEiNS9_4plusIvEEiEEDaPvRmT3_T4_T5_mT6_P12ihipStream_tbENKUlT_T0_E_clISt17integral_constantIbLb0EESX_EEDaSS_ST_EUlSS_E0_NS1_11comp_targetILNS1_3genE10ELNS1_11target_archE1201ELNS1_3gpuE5ELNS1_3repE0EEENS1_30default_config_static_selectorELNS0_4arch9wavefront6targetE1EEEvT1_.kd
    .uniform_work_group_size: 1
    .uses_dynamic_stack: false
    .vgpr_count:     0
    .vgpr_spill_count: 0
    .wavefront_size: 64
  - .agpr_count:     0
    .args:
      - .offset:         0
        .size:           40
        .value_kind:     by_value
    .group_segment_fixed_size: 0
    .kernarg_segment_align: 8
    .kernarg_segment_size: 40
    .language:       OpenCL C
    .language_version:
      - 2
      - 0
    .max_flat_workgroup_size: 256
    .name:           _ZN7rocprim17ROCPRIM_400000_NS6detail17trampoline_kernelINS0_14default_configENS1_20scan_config_selectorIiEEZZNS1_9scan_implILNS1_25lookback_scan_determinismE0ELb1ELb1ES3_N6thrust23THRUST_200600_302600_NS6detail15normal_iteratorINS9_10device_ptrIiEEEENS9_16discard_iteratorINS9_11use_defaultEEEiNS9_4plusIvEEiEEDaPvRmT3_T4_T5_mT6_P12ihipStream_tbENKUlT_T0_E_clISt17integral_constantIbLb0EESX_EEDaSS_ST_EUlSS_E0_NS1_11comp_targetILNS1_3genE10ELNS1_11target_archE1200ELNS1_3gpuE4ELNS1_3repE0EEENS1_30default_config_static_selectorELNS0_4arch9wavefront6targetE1EEEvT1_
    .private_segment_fixed_size: 0
    .sgpr_count:     4
    .sgpr_spill_count: 0
    .symbol:         _ZN7rocprim17ROCPRIM_400000_NS6detail17trampoline_kernelINS0_14default_configENS1_20scan_config_selectorIiEEZZNS1_9scan_implILNS1_25lookback_scan_determinismE0ELb1ELb1ES3_N6thrust23THRUST_200600_302600_NS6detail15normal_iteratorINS9_10device_ptrIiEEEENS9_16discard_iteratorINS9_11use_defaultEEEiNS9_4plusIvEEiEEDaPvRmT3_T4_T5_mT6_P12ihipStream_tbENKUlT_T0_E_clISt17integral_constantIbLb0EESX_EEDaSS_ST_EUlSS_E0_NS1_11comp_targetILNS1_3genE10ELNS1_11target_archE1200ELNS1_3gpuE4ELNS1_3repE0EEENS1_30default_config_static_selectorELNS0_4arch9wavefront6targetE1EEEvT1_.kd
    .uniform_work_group_size: 1
    .uses_dynamic_stack: false
    .vgpr_count:     0
    .vgpr_spill_count: 0
    .wavefront_size: 64
  - .agpr_count:     0
    .args:
      - .offset:         0
        .size:           40
        .value_kind:     by_value
    .group_segment_fixed_size: 0
    .kernarg_segment_align: 8
    .kernarg_segment_size: 40
    .language:       OpenCL C
    .language_version:
      - 2
      - 0
    .max_flat_workgroup_size: 256
    .name:           _ZN7rocprim17ROCPRIM_400000_NS6detail17trampoline_kernelINS0_14default_configENS1_20scan_config_selectorIiEEZZNS1_9scan_implILNS1_25lookback_scan_determinismE0ELb1ELb1ES3_N6thrust23THRUST_200600_302600_NS6detail15normal_iteratorINS9_10device_ptrIiEEEENS9_16discard_iteratorINS9_11use_defaultEEEiNS9_4plusIvEEiEEDaPvRmT3_T4_T5_mT6_P12ihipStream_tbENKUlT_T0_E_clISt17integral_constantIbLb0EESX_EEDaSS_ST_EUlSS_E0_NS1_11comp_targetILNS1_3genE9ELNS1_11target_archE1100ELNS1_3gpuE3ELNS1_3repE0EEENS1_30default_config_static_selectorELNS0_4arch9wavefront6targetE1EEEvT1_
    .private_segment_fixed_size: 0
    .sgpr_count:     4
    .sgpr_spill_count: 0
    .symbol:         _ZN7rocprim17ROCPRIM_400000_NS6detail17trampoline_kernelINS0_14default_configENS1_20scan_config_selectorIiEEZZNS1_9scan_implILNS1_25lookback_scan_determinismE0ELb1ELb1ES3_N6thrust23THRUST_200600_302600_NS6detail15normal_iteratorINS9_10device_ptrIiEEEENS9_16discard_iteratorINS9_11use_defaultEEEiNS9_4plusIvEEiEEDaPvRmT3_T4_T5_mT6_P12ihipStream_tbENKUlT_T0_E_clISt17integral_constantIbLb0EESX_EEDaSS_ST_EUlSS_E0_NS1_11comp_targetILNS1_3genE9ELNS1_11target_archE1100ELNS1_3gpuE3ELNS1_3repE0EEENS1_30default_config_static_selectorELNS0_4arch9wavefront6targetE1EEEvT1_.kd
    .uniform_work_group_size: 1
    .uses_dynamic_stack: false
    .vgpr_count:     0
    .vgpr_spill_count: 0
    .wavefront_size: 64
  - .agpr_count:     0
    .args:
      - .offset:         0
        .size:           40
        .value_kind:     by_value
    .group_segment_fixed_size: 0
    .kernarg_segment_align: 8
    .kernarg_segment_size: 40
    .language:       OpenCL C
    .language_version:
      - 2
      - 0
    .max_flat_workgroup_size: 64
    .name:           _ZN7rocprim17ROCPRIM_400000_NS6detail17trampoline_kernelINS0_14default_configENS1_20scan_config_selectorIiEEZZNS1_9scan_implILNS1_25lookback_scan_determinismE0ELb1ELb1ES3_N6thrust23THRUST_200600_302600_NS6detail15normal_iteratorINS9_10device_ptrIiEEEENS9_16discard_iteratorINS9_11use_defaultEEEiNS9_4plusIvEEiEEDaPvRmT3_T4_T5_mT6_P12ihipStream_tbENKUlT_T0_E_clISt17integral_constantIbLb0EESX_EEDaSS_ST_EUlSS_E0_NS1_11comp_targetILNS1_3genE8ELNS1_11target_archE1030ELNS1_3gpuE2ELNS1_3repE0EEENS1_30default_config_static_selectorELNS0_4arch9wavefront6targetE1EEEvT1_
    .private_segment_fixed_size: 0
    .sgpr_count:     4
    .sgpr_spill_count: 0
    .symbol:         _ZN7rocprim17ROCPRIM_400000_NS6detail17trampoline_kernelINS0_14default_configENS1_20scan_config_selectorIiEEZZNS1_9scan_implILNS1_25lookback_scan_determinismE0ELb1ELb1ES3_N6thrust23THRUST_200600_302600_NS6detail15normal_iteratorINS9_10device_ptrIiEEEENS9_16discard_iteratorINS9_11use_defaultEEEiNS9_4plusIvEEiEEDaPvRmT3_T4_T5_mT6_P12ihipStream_tbENKUlT_T0_E_clISt17integral_constantIbLb0EESX_EEDaSS_ST_EUlSS_E0_NS1_11comp_targetILNS1_3genE8ELNS1_11target_archE1030ELNS1_3gpuE2ELNS1_3repE0EEENS1_30default_config_static_selectorELNS0_4arch9wavefront6targetE1EEEvT1_.kd
    .uniform_work_group_size: 1
    .uses_dynamic_stack: false
    .vgpr_count:     0
    .vgpr_spill_count: 0
    .wavefront_size: 64
  - .agpr_count:     0
    .args:
      - .offset:         0
        .size:           104
        .value_kind:     by_value
    .group_segment_fixed_size: 0
    .kernarg_segment_align: 8
    .kernarg_segment_size: 104
    .language:       OpenCL C
    .language_version:
      - 2
      - 0
    .max_flat_workgroup_size: 256
    .name:           _ZN7rocprim17ROCPRIM_400000_NS6detail17trampoline_kernelINS0_14default_configENS1_20scan_config_selectorIiEEZZNS1_9scan_implILNS1_25lookback_scan_determinismE0ELb1ELb1ES3_N6thrust23THRUST_200600_302600_NS6detail15normal_iteratorINS9_10device_ptrIiEEEENS9_16discard_iteratorINS9_11use_defaultEEEiNS9_4plusIvEEiEEDaPvRmT3_T4_T5_mT6_P12ihipStream_tbENKUlT_T0_E_clISt17integral_constantIbLb1EESX_EEDaSS_ST_EUlSS_E_NS1_11comp_targetILNS1_3genE0ELNS1_11target_archE4294967295ELNS1_3gpuE0ELNS1_3repE0EEENS1_30default_config_static_selectorELNS0_4arch9wavefront6targetE1EEEvT1_
    .private_segment_fixed_size: 0
    .sgpr_count:     4
    .sgpr_spill_count: 0
    .symbol:         _ZN7rocprim17ROCPRIM_400000_NS6detail17trampoline_kernelINS0_14default_configENS1_20scan_config_selectorIiEEZZNS1_9scan_implILNS1_25lookback_scan_determinismE0ELb1ELb1ES3_N6thrust23THRUST_200600_302600_NS6detail15normal_iteratorINS9_10device_ptrIiEEEENS9_16discard_iteratorINS9_11use_defaultEEEiNS9_4plusIvEEiEEDaPvRmT3_T4_T5_mT6_P12ihipStream_tbENKUlT_T0_E_clISt17integral_constantIbLb1EESX_EEDaSS_ST_EUlSS_E_NS1_11comp_targetILNS1_3genE0ELNS1_11target_archE4294967295ELNS1_3gpuE0ELNS1_3repE0EEENS1_30default_config_static_selectorELNS0_4arch9wavefront6targetE1EEEvT1_.kd
    .uniform_work_group_size: 1
    .uses_dynamic_stack: false
    .vgpr_count:     0
    .vgpr_spill_count: 0
    .wavefront_size: 64
  - .agpr_count:     0
    .args:
      - .offset:         0
        .size:           104
        .value_kind:     by_value
    .group_segment_fixed_size: 0
    .kernarg_segment_align: 8
    .kernarg_segment_size: 104
    .language:       OpenCL C
    .language_version:
      - 2
      - 0
    .max_flat_workgroup_size: 256
    .name:           _ZN7rocprim17ROCPRIM_400000_NS6detail17trampoline_kernelINS0_14default_configENS1_20scan_config_selectorIiEEZZNS1_9scan_implILNS1_25lookback_scan_determinismE0ELb1ELb1ES3_N6thrust23THRUST_200600_302600_NS6detail15normal_iteratorINS9_10device_ptrIiEEEENS9_16discard_iteratorINS9_11use_defaultEEEiNS9_4plusIvEEiEEDaPvRmT3_T4_T5_mT6_P12ihipStream_tbENKUlT_T0_E_clISt17integral_constantIbLb1EESX_EEDaSS_ST_EUlSS_E_NS1_11comp_targetILNS1_3genE5ELNS1_11target_archE942ELNS1_3gpuE9ELNS1_3repE0EEENS1_30default_config_static_selectorELNS0_4arch9wavefront6targetE1EEEvT1_
    .private_segment_fixed_size: 0
    .sgpr_count:     4
    .sgpr_spill_count: 0
    .symbol:         _ZN7rocprim17ROCPRIM_400000_NS6detail17trampoline_kernelINS0_14default_configENS1_20scan_config_selectorIiEEZZNS1_9scan_implILNS1_25lookback_scan_determinismE0ELb1ELb1ES3_N6thrust23THRUST_200600_302600_NS6detail15normal_iteratorINS9_10device_ptrIiEEEENS9_16discard_iteratorINS9_11use_defaultEEEiNS9_4plusIvEEiEEDaPvRmT3_T4_T5_mT6_P12ihipStream_tbENKUlT_T0_E_clISt17integral_constantIbLb1EESX_EEDaSS_ST_EUlSS_E_NS1_11comp_targetILNS1_3genE5ELNS1_11target_archE942ELNS1_3gpuE9ELNS1_3repE0EEENS1_30default_config_static_selectorELNS0_4arch9wavefront6targetE1EEEvT1_.kd
    .uniform_work_group_size: 1
    .uses_dynamic_stack: false
    .vgpr_count:     0
    .vgpr_spill_count: 0
    .wavefront_size: 64
  - .agpr_count:     0
    .args:
      - .offset:         0
        .size:           104
        .value_kind:     by_value
    .group_segment_fixed_size: 5120
    .kernarg_segment_align: 8
    .kernarg_segment_size: 104
    .language:       OpenCL C
    .language_version:
      - 2
      - 0
    .max_flat_workgroup_size: 128
    .name:           _ZN7rocprim17ROCPRIM_400000_NS6detail17trampoline_kernelINS0_14default_configENS1_20scan_config_selectorIiEEZZNS1_9scan_implILNS1_25lookback_scan_determinismE0ELb1ELb1ES3_N6thrust23THRUST_200600_302600_NS6detail15normal_iteratorINS9_10device_ptrIiEEEENS9_16discard_iteratorINS9_11use_defaultEEEiNS9_4plusIvEEiEEDaPvRmT3_T4_T5_mT6_P12ihipStream_tbENKUlT_T0_E_clISt17integral_constantIbLb1EESX_EEDaSS_ST_EUlSS_E_NS1_11comp_targetILNS1_3genE4ELNS1_11target_archE910ELNS1_3gpuE8ELNS1_3repE0EEENS1_30default_config_static_selectorELNS0_4arch9wavefront6targetE1EEEvT1_
    .private_segment_fixed_size: 0
    .sgpr_count:     40
    .sgpr_spill_count: 0
    .symbol:         _ZN7rocprim17ROCPRIM_400000_NS6detail17trampoline_kernelINS0_14default_configENS1_20scan_config_selectorIiEEZZNS1_9scan_implILNS1_25lookback_scan_determinismE0ELb1ELb1ES3_N6thrust23THRUST_200600_302600_NS6detail15normal_iteratorINS9_10device_ptrIiEEEENS9_16discard_iteratorINS9_11use_defaultEEEiNS9_4plusIvEEiEEDaPvRmT3_T4_T5_mT6_P12ihipStream_tbENKUlT_T0_E_clISt17integral_constantIbLb1EESX_EEDaSS_ST_EUlSS_E_NS1_11comp_targetILNS1_3genE4ELNS1_11target_archE910ELNS1_3gpuE8ELNS1_3repE0EEENS1_30default_config_static_selectorELNS0_4arch9wavefront6targetE1EEEvT1_.kd
    .uniform_work_group_size: 1
    .uses_dynamic_stack: false
    .vgpr_count:     40
    .vgpr_spill_count: 0
    .wavefront_size: 64
  - .agpr_count:     0
    .args:
      - .offset:         0
        .size:           104
        .value_kind:     by_value
    .group_segment_fixed_size: 0
    .kernarg_segment_align: 8
    .kernarg_segment_size: 104
    .language:       OpenCL C
    .language_version:
      - 2
      - 0
    .max_flat_workgroup_size: 256
    .name:           _ZN7rocprim17ROCPRIM_400000_NS6detail17trampoline_kernelINS0_14default_configENS1_20scan_config_selectorIiEEZZNS1_9scan_implILNS1_25lookback_scan_determinismE0ELb1ELb1ES3_N6thrust23THRUST_200600_302600_NS6detail15normal_iteratorINS9_10device_ptrIiEEEENS9_16discard_iteratorINS9_11use_defaultEEEiNS9_4plusIvEEiEEDaPvRmT3_T4_T5_mT6_P12ihipStream_tbENKUlT_T0_E_clISt17integral_constantIbLb1EESX_EEDaSS_ST_EUlSS_E_NS1_11comp_targetILNS1_3genE3ELNS1_11target_archE908ELNS1_3gpuE7ELNS1_3repE0EEENS1_30default_config_static_selectorELNS0_4arch9wavefront6targetE1EEEvT1_
    .private_segment_fixed_size: 0
    .sgpr_count:     4
    .sgpr_spill_count: 0
    .symbol:         _ZN7rocprim17ROCPRIM_400000_NS6detail17trampoline_kernelINS0_14default_configENS1_20scan_config_selectorIiEEZZNS1_9scan_implILNS1_25lookback_scan_determinismE0ELb1ELb1ES3_N6thrust23THRUST_200600_302600_NS6detail15normal_iteratorINS9_10device_ptrIiEEEENS9_16discard_iteratorINS9_11use_defaultEEEiNS9_4plusIvEEiEEDaPvRmT3_T4_T5_mT6_P12ihipStream_tbENKUlT_T0_E_clISt17integral_constantIbLb1EESX_EEDaSS_ST_EUlSS_E_NS1_11comp_targetILNS1_3genE3ELNS1_11target_archE908ELNS1_3gpuE7ELNS1_3repE0EEENS1_30default_config_static_selectorELNS0_4arch9wavefront6targetE1EEEvT1_.kd
    .uniform_work_group_size: 1
    .uses_dynamic_stack: false
    .vgpr_count:     0
    .vgpr_spill_count: 0
    .wavefront_size: 64
  - .agpr_count:     0
    .args:
      - .offset:         0
        .size:           104
        .value_kind:     by_value
    .group_segment_fixed_size: 0
    .kernarg_segment_align: 8
    .kernarg_segment_size: 104
    .language:       OpenCL C
    .language_version:
      - 2
      - 0
    .max_flat_workgroup_size: 256
    .name:           _ZN7rocprim17ROCPRIM_400000_NS6detail17trampoline_kernelINS0_14default_configENS1_20scan_config_selectorIiEEZZNS1_9scan_implILNS1_25lookback_scan_determinismE0ELb1ELb1ES3_N6thrust23THRUST_200600_302600_NS6detail15normal_iteratorINS9_10device_ptrIiEEEENS9_16discard_iteratorINS9_11use_defaultEEEiNS9_4plusIvEEiEEDaPvRmT3_T4_T5_mT6_P12ihipStream_tbENKUlT_T0_E_clISt17integral_constantIbLb1EESX_EEDaSS_ST_EUlSS_E_NS1_11comp_targetILNS1_3genE2ELNS1_11target_archE906ELNS1_3gpuE6ELNS1_3repE0EEENS1_30default_config_static_selectorELNS0_4arch9wavefront6targetE1EEEvT1_
    .private_segment_fixed_size: 0
    .sgpr_count:     4
    .sgpr_spill_count: 0
    .symbol:         _ZN7rocprim17ROCPRIM_400000_NS6detail17trampoline_kernelINS0_14default_configENS1_20scan_config_selectorIiEEZZNS1_9scan_implILNS1_25lookback_scan_determinismE0ELb1ELb1ES3_N6thrust23THRUST_200600_302600_NS6detail15normal_iteratorINS9_10device_ptrIiEEEENS9_16discard_iteratorINS9_11use_defaultEEEiNS9_4plusIvEEiEEDaPvRmT3_T4_T5_mT6_P12ihipStream_tbENKUlT_T0_E_clISt17integral_constantIbLb1EESX_EEDaSS_ST_EUlSS_E_NS1_11comp_targetILNS1_3genE2ELNS1_11target_archE906ELNS1_3gpuE6ELNS1_3repE0EEENS1_30default_config_static_selectorELNS0_4arch9wavefront6targetE1EEEvT1_.kd
    .uniform_work_group_size: 1
    .uses_dynamic_stack: false
    .vgpr_count:     0
    .vgpr_spill_count: 0
    .wavefront_size: 64
  - .agpr_count:     0
    .args:
      - .offset:         0
        .size:           104
        .value_kind:     by_value
    .group_segment_fixed_size: 0
    .kernarg_segment_align: 8
    .kernarg_segment_size: 104
    .language:       OpenCL C
    .language_version:
      - 2
      - 0
    .max_flat_workgroup_size: 256
    .name:           _ZN7rocprim17ROCPRIM_400000_NS6detail17trampoline_kernelINS0_14default_configENS1_20scan_config_selectorIiEEZZNS1_9scan_implILNS1_25lookback_scan_determinismE0ELb1ELb1ES3_N6thrust23THRUST_200600_302600_NS6detail15normal_iteratorINS9_10device_ptrIiEEEENS9_16discard_iteratorINS9_11use_defaultEEEiNS9_4plusIvEEiEEDaPvRmT3_T4_T5_mT6_P12ihipStream_tbENKUlT_T0_E_clISt17integral_constantIbLb1EESX_EEDaSS_ST_EUlSS_E_NS1_11comp_targetILNS1_3genE10ELNS1_11target_archE1201ELNS1_3gpuE5ELNS1_3repE0EEENS1_30default_config_static_selectorELNS0_4arch9wavefront6targetE1EEEvT1_
    .private_segment_fixed_size: 0
    .sgpr_count:     4
    .sgpr_spill_count: 0
    .symbol:         _ZN7rocprim17ROCPRIM_400000_NS6detail17trampoline_kernelINS0_14default_configENS1_20scan_config_selectorIiEEZZNS1_9scan_implILNS1_25lookback_scan_determinismE0ELb1ELb1ES3_N6thrust23THRUST_200600_302600_NS6detail15normal_iteratorINS9_10device_ptrIiEEEENS9_16discard_iteratorINS9_11use_defaultEEEiNS9_4plusIvEEiEEDaPvRmT3_T4_T5_mT6_P12ihipStream_tbENKUlT_T0_E_clISt17integral_constantIbLb1EESX_EEDaSS_ST_EUlSS_E_NS1_11comp_targetILNS1_3genE10ELNS1_11target_archE1201ELNS1_3gpuE5ELNS1_3repE0EEENS1_30default_config_static_selectorELNS0_4arch9wavefront6targetE1EEEvT1_.kd
    .uniform_work_group_size: 1
    .uses_dynamic_stack: false
    .vgpr_count:     0
    .vgpr_spill_count: 0
    .wavefront_size: 64
  - .agpr_count:     0
    .args:
      - .offset:         0
        .size:           104
        .value_kind:     by_value
    .group_segment_fixed_size: 0
    .kernarg_segment_align: 8
    .kernarg_segment_size: 104
    .language:       OpenCL C
    .language_version:
      - 2
      - 0
    .max_flat_workgroup_size: 256
    .name:           _ZN7rocprim17ROCPRIM_400000_NS6detail17trampoline_kernelINS0_14default_configENS1_20scan_config_selectorIiEEZZNS1_9scan_implILNS1_25lookback_scan_determinismE0ELb1ELb1ES3_N6thrust23THRUST_200600_302600_NS6detail15normal_iteratorINS9_10device_ptrIiEEEENS9_16discard_iteratorINS9_11use_defaultEEEiNS9_4plusIvEEiEEDaPvRmT3_T4_T5_mT6_P12ihipStream_tbENKUlT_T0_E_clISt17integral_constantIbLb1EESX_EEDaSS_ST_EUlSS_E_NS1_11comp_targetILNS1_3genE10ELNS1_11target_archE1200ELNS1_3gpuE4ELNS1_3repE0EEENS1_30default_config_static_selectorELNS0_4arch9wavefront6targetE1EEEvT1_
    .private_segment_fixed_size: 0
    .sgpr_count:     4
    .sgpr_spill_count: 0
    .symbol:         _ZN7rocprim17ROCPRIM_400000_NS6detail17trampoline_kernelINS0_14default_configENS1_20scan_config_selectorIiEEZZNS1_9scan_implILNS1_25lookback_scan_determinismE0ELb1ELb1ES3_N6thrust23THRUST_200600_302600_NS6detail15normal_iteratorINS9_10device_ptrIiEEEENS9_16discard_iteratorINS9_11use_defaultEEEiNS9_4plusIvEEiEEDaPvRmT3_T4_T5_mT6_P12ihipStream_tbENKUlT_T0_E_clISt17integral_constantIbLb1EESX_EEDaSS_ST_EUlSS_E_NS1_11comp_targetILNS1_3genE10ELNS1_11target_archE1200ELNS1_3gpuE4ELNS1_3repE0EEENS1_30default_config_static_selectorELNS0_4arch9wavefront6targetE1EEEvT1_.kd
    .uniform_work_group_size: 1
    .uses_dynamic_stack: false
    .vgpr_count:     0
    .vgpr_spill_count: 0
    .wavefront_size: 64
  - .agpr_count:     0
    .args:
      - .offset:         0
        .size:           104
        .value_kind:     by_value
    .group_segment_fixed_size: 0
    .kernarg_segment_align: 8
    .kernarg_segment_size: 104
    .language:       OpenCL C
    .language_version:
      - 2
      - 0
    .max_flat_workgroup_size: 256
    .name:           _ZN7rocprim17ROCPRIM_400000_NS6detail17trampoline_kernelINS0_14default_configENS1_20scan_config_selectorIiEEZZNS1_9scan_implILNS1_25lookback_scan_determinismE0ELb1ELb1ES3_N6thrust23THRUST_200600_302600_NS6detail15normal_iteratorINS9_10device_ptrIiEEEENS9_16discard_iteratorINS9_11use_defaultEEEiNS9_4plusIvEEiEEDaPvRmT3_T4_T5_mT6_P12ihipStream_tbENKUlT_T0_E_clISt17integral_constantIbLb1EESX_EEDaSS_ST_EUlSS_E_NS1_11comp_targetILNS1_3genE9ELNS1_11target_archE1100ELNS1_3gpuE3ELNS1_3repE0EEENS1_30default_config_static_selectorELNS0_4arch9wavefront6targetE1EEEvT1_
    .private_segment_fixed_size: 0
    .sgpr_count:     4
    .sgpr_spill_count: 0
    .symbol:         _ZN7rocprim17ROCPRIM_400000_NS6detail17trampoline_kernelINS0_14default_configENS1_20scan_config_selectorIiEEZZNS1_9scan_implILNS1_25lookback_scan_determinismE0ELb1ELb1ES3_N6thrust23THRUST_200600_302600_NS6detail15normal_iteratorINS9_10device_ptrIiEEEENS9_16discard_iteratorINS9_11use_defaultEEEiNS9_4plusIvEEiEEDaPvRmT3_T4_T5_mT6_P12ihipStream_tbENKUlT_T0_E_clISt17integral_constantIbLb1EESX_EEDaSS_ST_EUlSS_E_NS1_11comp_targetILNS1_3genE9ELNS1_11target_archE1100ELNS1_3gpuE3ELNS1_3repE0EEENS1_30default_config_static_selectorELNS0_4arch9wavefront6targetE1EEEvT1_.kd
    .uniform_work_group_size: 1
    .uses_dynamic_stack: false
    .vgpr_count:     0
    .vgpr_spill_count: 0
    .wavefront_size: 64
  - .agpr_count:     0
    .args:
      - .offset:         0
        .size:           104
        .value_kind:     by_value
    .group_segment_fixed_size: 0
    .kernarg_segment_align: 8
    .kernarg_segment_size: 104
    .language:       OpenCL C
    .language_version:
      - 2
      - 0
    .max_flat_workgroup_size: 64
    .name:           _ZN7rocprim17ROCPRIM_400000_NS6detail17trampoline_kernelINS0_14default_configENS1_20scan_config_selectorIiEEZZNS1_9scan_implILNS1_25lookback_scan_determinismE0ELb1ELb1ES3_N6thrust23THRUST_200600_302600_NS6detail15normal_iteratorINS9_10device_ptrIiEEEENS9_16discard_iteratorINS9_11use_defaultEEEiNS9_4plusIvEEiEEDaPvRmT3_T4_T5_mT6_P12ihipStream_tbENKUlT_T0_E_clISt17integral_constantIbLb1EESX_EEDaSS_ST_EUlSS_E_NS1_11comp_targetILNS1_3genE8ELNS1_11target_archE1030ELNS1_3gpuE2ELNS1_3repE0EEENS1_30default_config_static_selectorELNS0_4arch9wavefront6targetE1EEEvT1_
    .private_segment_fixed_size: 0
    .sgpr_count:     4
    .sgpr_spill_count: 0
    .symbol:         _ZN7rocprim17ROCPRIM_400000_NS6detail17trampoline_kernelINS0_14default_configENS1_20scan_config_selectorIiEEZZNS1_9scan_implILNS1_25lookback_scan_determinismE0ELb1ELb1ES3_N6thrust23THRUST_200600_302600_NS6detail15normal_iteratorINS9_10device_ptrIiEEEENS9_16discard_iteratorINS9_11use_defaultEEEiNS9_4plusIvEEiEEDaPvRmT3_T4_T5_mT6_P12ihipStream_tbENKUlT_T0_E_clISt17integral_constantIbLb1EESX_EEDaSS_ST_EUlSS_E_NS1_11comp_targetILNS1_3genE8ELNS1_11target_archE1030ELNS1_3gpuE2ELNS1_3repE0EEENS1_30default_config_static_selectorELNS0_4arch9wavefront6targetE1EEEvT1_.kd
    .uniform_work_group_size: 1
    .uses_dynamic_stack: false
    .vgpr_count:     0
    .vgpr_spill_count: 0
    .wavefront_size: 64
  - .agpr_count:     0
    .args:
      - .offset:         0
        .size:           40
        .value_kind:     by_value
    .group_segment_fixed_size: 0
    .kernarg_segment_align: 8
    .kernarg_segment_size: 40
    .language:       OpenCL C
    .language_version:
      - 2
      - 0
    .max_flat_workgroup_size: 256
    .name:           _ZN7rocprim17ROCPRIM_400000_NS6detail17trampoline_kernelINS0_14default_configENS1_20scan_config_selectorIiEEZZNS1_9scan_implILNS1_25lookback_scan_determinismE0ELb1ELb1ES3_N6thrust23THRUST_200600_302600_NS6detail15normal_iteratorINS9_10device_ptrIiEEEENS9_16discard_iteratorINS9_11use_defaultEEEiNS9_4plusIvEEiEEDaPvRmT3_T4_T5_mT6_P12ihipStream_tbENKUlT_T0_E_clISt17integral_constantIbLb1EESX_EEDaSS_ST_EUlSS_E0_NS1_11comp_targetILNS1_3genE0ELNS1_11target_archE4294967295ELNS1_3gpuE0ELNS1_3repE0EEENS1_30default_config_static_selectorELNS0_4arch9wavefront6targetE1EEEvT1_
    .private_segment_fixed_size: 0
    .sgpr_count:     4
    .sgpr_spill_count: 0
    .symbol:         _ZN7rocprim17ROCPRIM_400000_NS6detail17trampoline_kernelINS0_14default_configENS1_20scan_config_selectorIiEEZZNS1_9scan_implILNS1_25lookback_scan_determinismE0ELb1ELb1ES3_N6thrust23THRUST_200600_302600_NS6detail15normal_iteratorINS9_10device_ptrIiEEEENS9_16discard_iteratorINS9_11use_defaultEEEiNS9_4plusIvEEiEEDaPvRmT3_T4_T5_mT6_P12ihipStream_tbENKUlT_T0_E_clISt17integral_constantIbLb1EESX_EEDaSS_ST_EUlSS_E0_NS1_11comp_targetILNS1_3genE0ELNS1_11target_archE4294967295ELNS1_3gpuE0ELNS1_3repE0EEENS1_30default_config_static_selectorELNS0_4arch9wavefront6targetE1EEEvT1_.kd
    .uniform_work_group_size: 1
    .uses_dynamic_stack: false
    .vgpr_count:     0
    .vgpr_spill_count: 0
    .wavefront_size: 64
  - .agpr_count:     0
    .args:
      - .offset:         0
        .size:           40
        .value_kind:     by_value
    .group_segment_fixed_size: 0
    .kernarg_segment_align: 8
    .kernarg_segment_size: 40
    .language:       OpenCL C
    .language_version:
      - 2
      - 0
    .max_flat_workgroup_size: 256
    .name:           _ZN7rocprim17ROCPRIM_400000_NS6detail17trampoline_kernelINS0_14default_configENS1_20scan_config_selectorIiEEZZNS1_9scan_implILNS1_25lookback_scan_determinismE0ELb1ELb1ES3_N6thrust23THRUST_200600_302600_NS6detail15normal_iteratorINS9_10device_ptrIiEEEENS9_16discard_iteratorINS9_11use_defaultEEEiNS9_4plusIvEEiEEDaPvRmT3_T4_T5_mT6_P12ihipStream_tbENKUlT_T0_E_clISt17integral_constantIbLb1EESX_EEDaSS_ST_EUlSS_E0_NS1_11comp_targetILNS1_3genE5ELNS1_11target_archE942ELNS1_3gpuE9ELNS1_3repE0EEENS1_30default_config_static_selectorELNS0_4arch9wavefront6targetE1EEEvT1_
    .private_segment_fixed_size: 0
    .sgpr_count:     4
    .sgpr_spill_count: 0
    .symbol:         _ZN7rocprim17ROCPRIM_400000_NS6detail17trampoline_kernelINS0_14default_configENS1_20scan_config_selectorIiEEZZNS1_9scan_implILNS1_25lookback_scan_determinismE0ELb1ELb1ES3_N6thrust23THRUST_200600_302600_NS6detail15normal_iteratorINS9_10device_ptrIiEEEENS9_16discard_iteratorINS9_11use_defaultEEEiNS9_4plusIvEEiEEDaPvRmT3_T4_T5_mT6_P12ihipStream_tbENKUlT_T0_E_clISt17integral_constantIbLb1EESX_EEDaSS_ST_EUlSS_E0_NS1_11comp_targetILNS1_3genE5ELNS1_11target_archE942ELNS1_3gpuE9ELNS1_3repE0EEENS1_30default_config_static_selectorELNS0_4arch9wavefront6targetE1EEEvT1_.kd
    .uniform_work_group_size: 1
    .uses_dynamic_stack: false
    .vgpr_count:     0
    .vgpr_spill_count: 0
    .wavefront_size: 64
  - .agpr_count:     0
    .args:
      - .offset:         0
        .size:           40
        .value_kind:     by_value
    .group_segment_fixed_size: 5120
    .kernarg_segment_align: 8
    .kernarg_segment_size: 40
    .language:       OpenCL C
    .language_version:
      - 2
      - 0
    .max_flat_workgroup_size: 128
    .name:           _ZN7rocprim17ROCPRIM_400000_NS6detail17trampoline_kernelINS0_14default_configENS1_20scan_config_selectorIiEEZZNS1_9scan_implILNS1_25lookback_scan_determinismE0ELb1ELb1ES3_N6thrust23THRUST_200600_302600_NS6detail15normal_iteratorINS9_10device_ptrIiEEEENS9_16discard_iteratorINS9_11use_defaultEEEiNS9_4plusIvEEiEEDaPvRmT3_T4_T5_mT6_P12ihipStream_tbENKUlT_T0_E_clISt17integral_constantIbLb1EESX_EEDaSS_ST_EUlSS_E0_NS1_11comp_targetILNS1_3genE4ELNS1_11target_archE910ELNS1_3gpuE8ELNS1_3repE0EEENS1_30default_config_static_selectorELNS0_4arch9wavefront6targetE1EEEvT1_
    .private_segment_fixed_size: 0
    .sgpr_count:     12
    .sgpr_spill_count: 0
    .symbol:         _ZN7rocprim17ROCPRIM_400000_NS6detail17trampoline_kernelINS0_14default_configENS1_20scan_config_selectorIiEEZZNS1_9scan_implILNS1_25lookback_scan_determinismE0ELb1ELb1ES3_N6thrust23THRUST_200600_302600_NS6detail15normal_iteratorINS9_10device_ptrIiEEEENS9_16discard_iteratorINS9_11use_defaultEEEiNS9_4plusIvEEiEEDaPvRmT3_T4_T5_mT6_P12ihipStream_tbENKUlT_T0_E_clISt17integral_constantIbLb1EESX_EEDaSS_ST_EUlSS_E0_NS1_11comp_targetILNS1_3genE4ELNS1_11target_archE910ELNS1_3gpuE8ELNS1_3repE0EEENS1_30default_config_static_selectorELNS0_4arch9wavefront6targetE1EEEvT1_.kd
    .uniform_work_group_size: 1
    .uses_dynamic_stack: false
    .vgpr_count:     18
    .vgpr_spill_count: 0
    .wavefront_size: 64
  - .agpr_count:     0
    .args:
      - .offset:         0
        .size:           40
        .value_kind:     by_value
    .group_segment_fixed_size: 0
    .kernarg_segment_align: 8
    .kernarg_segment_size: 40
    .language:       OpenCL C
    .language_version:
      - 2
      - 0
    .max_flat_workgroup_size: 256
    .name:           _ZN7rocprim17ROCPRIM_400000_NS6detail17trampoline_kernelINS0_14default_configENS1_20scan_config_selectorIiEEZZNS1_9scan_implILNS1_25lookback_scan_determinismE0ELb1ELb1ES3_N6thrust23THRUST_200600_302600_NS6detail15normal_iteratorINS9_10device_ptrIiEEEENS9_16discard_iteratorINS9_11use_defaultEEEiNS9_4plusIvEEiEEDaPvRmT3_T4_T5_mT6_P12ihipStream_tbENKUlT_T0_E_clISt17integral_constantIbLb1EESX_EEDaSS_ST_EUlSS_E0_NS1_11comp_targetILNS1_3genE3ELNS1_11target_archE908ELNS1_3gpuE7ELNS1_3repE0EEENS1_30default_config_static_selectorELNS0_4arch9wavefront6targetE1EEEvT1_
    .private_segment_fixed_size: 0
    .sgpr_count:     4
    .sgpr_spill_count: 0
    .symbol:         _ZN7rocprim17ROCPRIM_400000_NS6detail17trampoline_kernelINS0_14default_configENS1_20scan_config_selectorIiEEZZNS1_9scan_implILNS1_25lookback_scan_determinismE0ELb1ELb1ES3_N6thrust23THRUST_200600_302600_NS6detail15normal_iteratorINS9_10device_ptrIiEEEENS9_16discard_iteratorINS9_11use_defaultEEEiNS9_4plusIvEEiEEDaPvRmT3_T4_T5_mT6_P12ihipStream_tbENKUlT_T0_E_clISt17integral_constantIbLb1EESX_EEDaSS_ST_EUlSS_E0_NS1_11comp_targetILNS1_3genE3ELNS1_11target_archE908ELNS1_3gpuE7ELNS1_3repE0EEENS1_30default_config_static_selectorELNS0_4arch9wavefront6targetE1EEEvT1_.kd
    .uniform_work_group_size: 1
    .uses_dynamic_stack: false
    .vgpr_count:     0
    .vgpr_spill_count: 0
    .wavefront_size: 64
  - .agpr_count:     0
    .args:
      - .offset:         0
        .size:           40
        .value_kind:     by_value
    .group_segment_fixed_size: 0
    .kernarg_segment_align: 8
    .kernarg_segment_size: 40
    .language:       OpenCL C
    .language_version:
      - 2
      - 0
    .max_flat_workgroup_size: 256
    .name:           _ZN7rocprim17ROCPRIM_400000_NS6detail17trampoline_kernelINS0_14default_configENS1_20scan_config_selectorIiEEZZNS1_9scan_implILNS1_25lookback_scan_determinismE0ELb1ELb1ES3_N6thrust23THRUST_200600_302600_NS6detail15normal_iteratorINS9_10device_ptrIiEEEENS9_16discard_iteratorINS9_11use_defaultEEEiNS9_4plusIvEEiEEDaPvRmT3_T4_T5_mT6_P12ihipStream_tbENKUlT_T0_E_clISt17integral_constantIbLb1EESX_EEDaSS_ST_EUlSS_E0_NS1_11comp_targetILNS1_3genE2ELNS1_11target_archE906ELNS1_3gpuE6ELNS1_3repE0EEENS1_30default_config_static_selectorELNS0_4arch9wavefront6targetE1EEEvT1_
    .private_segment_fixed_size: 0
    .sgpr_count:     4
    .sgpr_spill_count: 0
    .symbol:         _ZN7rocprim17ROCPRIM_400000_NS6detail17trampoline_kernelINS0_14default_configENS1_20scan_config_selectorIiEEZZNS1_9scan_implILNS1_25lookback_scan_determinismE0ELb1ELb1ES3_N6thrust23THRUST_200600_302600_NS6detail15normal_iteratorINS9_10device_ptrIiEEEENS9_16discard_iteratorINS9_11use_defaultEEEiNS9_4plusIvEEiEEDaPvRmT3_T4_T5_mT6_P12ihipStream_tbENKUlT_T0_E_clISt17integral_constantIbLb1EESX_EEDaSS_ST_EUlSS_E0_NS1_11comp_targetILNS1_3genE2ELNS1_11target_archE906ELNS1_3gpuE6ELNS1_3repE0EEENS1_30default_config_static_selectorELNS0_4arch9wavefront6targetE1EEEvT1_.kd
    .uniform_work_group_size: 1
    .uses_dynamic_stack: false
    .vgpr_count:     0
    .vgpr_spill_count: 0
    .wavefront_size: 64
  - .agpr_count:     0
    .args:
      - .offset:         0
        .size:           40
        .value_kind:     by_value
    .group_segment_fixed_size: 0
    .kernarg_segment_align: 8
    .kernarg_segment_size: 40
    .language:       OpenCL C
    .language_version:
      - 2
      - 0
    .max_flat_workgroup_size: 256
    .name:           _ZN7rocprim17ROCPRIM_400000_NS6detail17trampoline_kernelINS0_14default_configENS1_20scan_config_selectorIiEEZZNS1_9scan_implILNS1_25lookback_scan_determinismE0ELb1ELb1ES3_N6thrust23THRUST_200600_302600_NS6detail15normal_iteratorINS9_10device_ptrIiEEEENS9_16discard_iteratorINS9_11use_defaultEEEiNS9_4plusIvEEiEEDaPvRmT3_T4_T5_mT6_P12ihipStream_tbENKUlT_T0_E_clISt17integral_constantIbLb1EESX_EEDaSS_ST_EUlSS_E0_NS1_11comp_targetILNS1_3genE10ELNS1_11target_archE1201ELNS1_3gpuE5ELNS1_3repE0EEENS1_30default_config_static_selectorELNS0_4arch9wavefront6targetE1EEEvT1_
    .private_segment_fixed_size: 0
    .sgpr_count:     4
    .sgpr_spill_count: 0
    .symbol:         _ZN7rocprim17ROCPRIM_400000_NS6detail17trampoline_kernelINS0_14default_configENS1_20scan_config_selectorIiEEZZNS1_9scan_implILNS1_25lookback_scan_determinismE0ELb1ELb1ES3_N6thrust23THRUST_200600_302600_NS6detail15normal_iteratorINS9_10device_ptrIiEEEENS9_16discard_iteratorINS9_11use_defaultEEEiNS9_4plusIvEEiEEDaPvRmT3_T4_T5_mT6_P12ihipStream_tbENKUlT_T0_E_clISt17integral_constantIbLb1EESX_EEDaSS_ST_EUlSS_E0_NS1_11comp_targetILNS1_3genE10ELNS1_11target_archE1201ELNS1_3gpuE5ELNS1_3repE0EEENS1_30default_config_static_selectorELNS0_4arch9wavefront6targetE1EEEvT1_.kd
    .uniform_work_group_size: 1
    .uses_dynamic_stack: false
    .vgpr_count:     0
    .vgpr_spill_count: 0
    .wavefront_size: 64
  - .agpr_count:     0
    .args:
      - .offset:         0
        .size:           40
        .value_kind:     by_value
    .group_segment_fixed_size: 0
    .kernarg_segment_align: 8
    .kernarg_segment_size: 40
    .language:       OpenCL C
    .language_version:
      - 2
      - 0
    .max_flat_workgroup_size: 256
    .name:           _ZN7rocprim17ROCPRIM_400000_NS6detail17trampoline_kernelINS0_14default_configENS1_20scan_config_selectorIiEEZZNS1_9scan_implILNS1_25lookback_scan_determinismE0ELb1ELb1ES3_N6thrust23THRUST_200600_302600_NS6detail15normal_iteratorINS9_10device_ptrIiEEEENS9_16discard_iteratorINS9_11use_defaultEEEiNS9_4plusIvEEiEEDaPvRmT3_T4_T5_mT6_P12ihipStream_tbENKUlT_T0_E_clISt17integral_constantIbLb1EESX_EEDaSS_ST_EUlSS_E0_NS1_11comp_targetILNS1_3genE10ELNS1_11target_archE1200ELNS1_3gpuE4ELNS1_3repE0EEENS1_30default_config_static_selectorELNS0_4arch9wavefront6targetE1EEEvT1_
    .private_segment_fixed_size: 0
    .sgpr_count:     4
    .sgpr_spill_count: 0
    .symbol:         _ZN7rocprim17ROCPRIM_400000_NS6detail17trampoline_kernelINS0_14default_configENS1_20scan_config_selectorIiEEZZNS1_9scan_implILNS1_25lookback_scan_determinismE0ELb1ELb1ES3_N6thrust23THRUST_200600_302600_NS6detail15normal_iteratorINS9_10device_ptrIiEEEENS9_16discard_iteratorINS9_11use_defaultEEEiNS9_4plusIvEEiEEDaPvRmT3_T4_T5_mT6_P12ihipStream_tbENKUlT_T0_E_clISt17integral_constantIbLb1EESX_EEDaSS_ST_EUlSS_E0_NS1_11comp_targetILNS1_3genE10ELNS1_11target_archE1200ELNS1_3gpuE4ELNS1_3repE0EEENS1_30default_config_static_selectorELNS0_4arch9wavefront6targetE1EEEvT1_.kd
    .uniform_work_group_size: 1
    .uses_dynamic_stack: false
    .vgpr_count:     0
    .vgpr_spill_count: 0
    .wavefront_size: 64
  - .agpr_count:     0
    .args:
      - .offset:         0
        .size:           40
        .value_kind:     by_value
    .group_segment_fixed_size: 0
    .kernarg_segment_align: 8
    .kernarg_segment_size: 40
    .language:       OpenCL C
    .language_version:
      - 2
      - 0
    .max_flat_workgroup_size: 256
    .name:           _ZN7rocprim17ROCPRIM_400000_NS6detail17trampoline_kernelINS0_14default_configENS1_20scan_config_selectorIiEEZZNS1_9scan_implILNS1_25lookback_scan_determinismE0ELb1ELb1ES3_N6thrust23THRUST_200600_302600_NS6detail15normal_iteratorINS9_10device_ptrIiEEEENS9_16discard_iteratorINS9_11use_defaultEEEiNS9_4plusIvEEiEEDaPvRmT3_T4_T5_mT6_P12ihipStream_tbENKUlT_T0_E_clISt17integral_constantIbLb1EESX_EEDaSS_ST_EUlSS_E0_NS1_11comp_targetILNS1_3genE9ELNS1_11target_archE1100ELNS1_3gpuE3ELNS1_3repE0EEENS1_30default_config_static_selectorELNS0_4arch9wavefront6targetE1EEEvT1_
    .private_segment_fixed_size: 0
    .sgpr_count:     4
    .sgpr_spill_count: 0
    .symbol:         _ZN7rocprim17ROCPRIM_400000_NS6detail17trampoline_kernelINS0_14default_configENS1_20scan_config_selectorIiEEZZNS1_9scan_implILNS1_25lookback_scan_determinismE0ELb1ELb1ES3_N6thrust23THRUST_200600_302600_NS6detail15normal_iteratorINS9_10device_ptrIiEEEENS9_16discard_iteratorINS9_11use_defaultEEEiNS9_4plusIvEEiEEDaPvRmT3_T4_T5_mT6_P12ihipStream_tbENKUlT_T0_E_clISt17integral_constantIbLb1EESX_EEDaSS_ST_EUlSS_E0_NS1_11comp_targetILNS1_3genE9ELNS1_11target_archE1100ELNS1_3gpuE3ELNS1_3repE0EEENS1_30default_config_static_selectorELNS0_4arch9wavefront6targetE1EEEvT1_.kd
    .uniform_work_group_size: 1
    .uses_dynamic_stack: false
    .vgpr_count:     0
    .vgpr_spill_count: 0
    .wavefront_size: 64
  - .agpr_count:     0
    .args:
      - .offset:         0
        .size:           40
        .value_kind:     by_value
    .group_segment_fixed_size: 0
    .kernarg_segment_align: 8
    .kernarg_segment_size: 40
    .language:       OpenCL C
    .language_version:
      - 2
      - 0
    .max_flat_workgroup_size: 64
    .name:           _ZN7rocprim17ROCPRIM_400000_NS6detail17trampoline_kernelINS0_14default_configENS1_20scan_config_selectorIiEEZZNS1_9scan_implILNS1_25lookback_scan_determinismE0ELb1ELb1ES3_N6thrust23THRUST_200600_302600_NS6detail15normal_iteratorINS9_10device_ptrIiEEEENS9_16discard_iteratorINS9_11use_defaultEEEiNS9_4plusIvEEiEEDaPvRmT3_T4_T5_mT6_P12ihipStream_tbENKUlT_T0_E_clISt17integral_constantIbLb1EESX_EEDaSS_ST_EUlSS_E0_NS1_11comp_targetILNS1_3genE8ELNS1_11target_archE1030ELNS1_3gpuE2ELNS1_3repE0EEENS1_30default_config_static_selectorELNS0_4arch9wavefront6targetE1EEEvT1_
    .private_segment_fixed_size: 0
    .sgpr_count:     4
    .sgpr_spill_count: 0
    .symbol:         _ZN7rocprim17ROCPRIM_400000_NS6detail17trampoline_kernelINS0_14default_configENS1_20scan_config_selectorIiEEZZNS1_9scan_implILNS1_25lookback_scan_determinismE0ELb1ELb1ES3_N6thrust23THRUST_200600_302600_NS6detail15normal_iteratorINS9_10device_ptrIiEEEENS9_16discard_iteratorINS9_11use_defaultEEEiNS9_4plusIvEEiEEDaPvRmT3_T4_T5_mT6_P12ihipStream_tbENKUlT_T0_E_clISt17integral_constantIbLb1EESX_EEDaSS_ST_EUlSS_E0_NS1_11comp_targetILNS1_3genE8ELNS1_11target_archE1030ELNS1_3gpuE2ELNS1_3repE0EEENS1_30default_config_static_selectorELNS0_4arch9wavefront6targetE1EEEvT1_.kd
    .uniform_work_group_size: 1
    .uses_dynamic_stack: false
    .vgpr_count:     0
    .vgpr_spill_count: 0
    .wavefront_size: 64
  - .agpr_count:     0
    .args:
      - .offset:         0
        .size:           104
        .value_kind:     by_value
    .group_segment_fixed_size: 0
    .kernarg_segment_align: 8
    .kernarg_segment_size: 104
    .language:       OpenCL C
    .language_version:
      - 2
      - 0
    .max_flat_workgroup_size: 256
    .name:           _ZN7rocprim17ROCPRIM_400000_NS6detail17trampoline_kernelINS0_14default_configENS1_20scan_config_selectorIiEEZZNS1_9scan_implILNS1_25lookback_scan_determinismE0ELb1ELb1ES3_N6thrust23THRUST_200600_302600_NS6detail15normal_iteratorINS9_10device_ptrIiEEEENS9_16discard_iteratorINS9_11use_defaultEEEiNS9_4plusIvEEiEEDaPvRmT3_T4_T5_mT6_P12ihipStream_tbENKUlT_T0_E_clISt17integral_constantIbLb1EESW_IbLb0EEEEDaSS_ST_EUlSS_E_NS1_11comp_targetILNS1_3genE0ELNS1_11target_archE4294967295ELNS1_3gpuE0ELNS1_3repE0EEENS1_30default_config_static_selectorELNS0_4arch9wavefront6targetE1EEEvT1_
    .private_segment_fixed_size: 0
    .sgpr_count:     4
    .sgpr_spill_count: 0
    .symbol:         _ZN7rocprim17ROCPRIM_400000_NS6detail17trampoline_kernelINS0_14default_configENS1_20scan_config_selectorIiEEZZNS1_9scan_implILNS1_25lookback_scan_determinismE0ELb1ELb1ES3_N6thrust23THRUST_200600_302600_NS6detail15normal_iteratorINS9_10device_ptrIiEEEENS9_16discard_iteratorINS9_11use_defaultEEEiNS9_4plusIvEEiEEDaPvRmT3_T4_T5_mT6_P12ihipStream_tbENKUlT_T0_E_clISt17integral_constantIbLb1EESW_IbLb0EEEEDaSS_ST_EUlSS_E_NS1_11comp_targetILNS1_3genE0ELNS1_11target_archE4294967295ELNS1_3gpuE0ELNS1_3repE0EEENS1_30default_config_static_selectorELNS0_4arch9wavefront6targetE1EEEvT1_.kd
    .uniform_work_group_size: 1
    .uses_dynamic_stack: false
    .vgpr_count:     0
    .vgpr_spill_count: 0
    .wavefront_size: 64
  - .agpr_count:     0
    .args:
      - .offset:         0
        .size:           104
        .value_kind:     by_value
    .group_segment_fixed_size: 0
    .kernarg_segment_align: 8
    .kernarg_segment_size: 104
    .language:       OpenCL C
    .language_version:
      - 2
      - 0
    .max_flat_workgroup_size: 256
    .name:           _ZN7rocprim17ROCPRIM_400000_NS6detail17trampoline_kernelINS0_14default_configENS1_20scan_config_selectorIiEEZZNS1_9scan_implILNS1_25lookback_scan_determinismE0ELb1ELb1ES3_N6thrust23THRUST_200600_302600_NS6detail15normal_iteratorINS9_10device_ptrIiEEEENS9_16discard_iteratorINS9_11use_defaultEEEiNS9_4plusIvEEiEEDaPvRmT3_T4_T5_mT6_P12ihipStream_tbENKUlT_T0_E_clISt17integral_constantIbLb1EESW_IbLb0EEEEDaSS_ST_EUlSS_E_NS1_11comp_targetILNS1_3genE5ELNS1_11target_archE942ELNS1_3gpuE9ELNS1_3repE0EEENS1_30default_config_static_selectorELNS0_4arch9wavefront6targetE1EEEvT1_
    .private_segment_fixed_size: 0
    .sgpr_count:     4
    .sgpr_spill_count: 0
    .symbol:         _ZN7rocprim17ROCPRIM_400000_NS6detail17trampoline_kernelINS0_14default_configENS1_20scan_config_selectorIiEEZZNS1_9scan_implILNS1_25lookback_scan_determinismE0ELb1ELb1ES3_N6thrust23THRUST_200600_302600_NS6detail15normal_iteratorINS9_10device_ptrIiEEEENS9_16discard_iteratorINS9_11use_defaultEEEiNS9_4plusIvEEiEEDaPvRmT3_T4_T5_mT6_P12ihipStream_tbENKUlT_T0_E_clISt17integral_constantIbLb1EESW_IbLb0EEEEDaSS_ST_EUlSS_E_NS1_11comp_targetILNS1_3genE5ELNS1_11target_archE942ELNS1_3gpuE9ELNS1_3repE0EEENS1_30default_config_static_selectorELNS0_4arch9wavefront6targetE1EEEvT1_.kd
    .uniform_work_group_size: 1
    .uses_dynamic_stack: false
    .vgpr_count:     0
    .vgpr_spill_count: 0
    .wavefront_size: 64
  - .agpr_count:     0
    .args:
      - .offset:         0
        .size:           104
        .value_kind:     by_value
    .group_segment_fixed_size: 5120
    .kernarg_segment_align: 8
    .kernarg_segment_size: 104
    .language:       OpenCL C
    .language_version:
      - 2
      - 0
    .max_flat_workgroup_size: 128
    .name:           _ZN7rocprim17ROCPRIM_400000_NS6detail17trampoline_kernelINS0_14default_configENS1_20scan_config_selectorIiEEZZNS1_9scan_implILNS1_25lookback_scan_determinismE0ELb1ELb1ES3_N6thrust23THRUST_200600_302600_NS6detail15normal_iteratorINS9_10device_ptrIiEEEENS9_16discard_iteratorINS9_11use_defaultEEEiNS9_4plusIvEEiEEDaPvRmT3_T4_T5_mT6_P12ihipStream_tbENKUlT_T0_E_clISt17integral_constantIbLb1EESW_IbLb0EEEEDaSS_ST_EUlSS_E_NS1_11comp_targetILNS1_3genE4ELNS1_11target_archE910ELNS1_3gpuE8ELNS1_3repE0EEENS1_30default_config_static_selectorELNS0_4arch9wavefront6targetE1EEEvT1_
    .private_segment_fixed_size: 0
    .sgpr_count:     30
    .sgpr_spill_count: 0
    .symbol:         _ZN7rocprim17ROCPRIM_400000_NS6detail17trampoline_kernelINS0_14default_configENS1_20scan_config_selectorIiEEZZNS1_9scan_implILNS1_25lookback_scan_determinismE0ELb1ELb1ES3_N6thrust23THRUST_200600_302600_NS6detail15normal_iteratorINS9_10device_ptrIiEEEENS9_16discard_iteratorINS9_11use_defaultEEEiNS9_4plusIvEEiEEDaPvRmT3_T4_T5_mT6_P12ihipStream_tbENKUlT_T0_E_clISt17integral_constantIbLb1EESW_IbLb0EEEEDaSS_ST_EUlSS_E_NS1_11comp_targetILNS1_3genE4ELNS1_11target_archE910ELNS1_3gpuE8ELNS1_3repE0EEENS1_30default_config_static_selectorELNS0_4arch9wavefront6targetE1EEEvT1_.kd
    .uniform_work_group_size: 1
    .uses_dynamic_stack: false
    .vgpr_count:     40
    .vgpr_spill_count: 0
    .wavefront_size: 64
  - .agpr_count:     0
    .args:
      - .offset:         0
        .size:           104
        .value_kind:     by_value
    .group_segment_fixed_size: 0
    .kernarg_segment_align: 8
    .kernarg_segment_size: 104
    .language:       OpenCL C
    .language_version:
      - 2
      - 0
    .max_flat_workgroup_size: 256
    .name:           _ZN7rocprim17ROCPRIM_400000_NS6detail17trampoline_kernelINS0_14default_configENS1_20scan_config_selectorIiEEZZNS1_9scan_implILNS1_25lookback_scan_determinismE0ELb1ELb1ES3_N6thrust23THRUST_200600_302600_NS6detail15normal_iteratorINS9_10device_ptrIiEEEENS9_16discard_iteratorINS9_11use_defaultEEEiNS9_4plusIvEEiEEDaPvRmT3_T4_T5_mT6_P12ihipStream_tbENKUlT_T0_E_clISt17integral_constantIbLb1EESW_IbLb0EEEEDaSS_ST_EUlSS_E_NS1_11comp_targetILNS1_3genE3ELNS1_11target_archE908ELNS1_3gpuE7ELNS1_3repE0EEENS1_30default_config_static_selectorELNS0_4arch9wavefront6targetE1EEEvT1_
    .private_segment_fixed_size: 0
    .sgpr_count:     4
    .sgpr_spill_count: 0
    .symbol:         _ZN7rocprim17ROCPRIM_400000_NS6detail17trampoline_kernelINS0_14default_configENS1_20scan_config_selectorIiEEZZNS1_9scan_implILNS1_25lookback_scan_determinismE0ELb1ELb1ES3_N6thrust23THRUST_200600_302600_NS6detail15normal_iteratorINS9_10device_ptrIiEEEENS9_16discard_iteratorINS9_11use_defaultEEEiNS9_4plusIvEEiEEDaPvRmT3_T4_T5_mT6_P12ihipStream_tbENKUlT_T0_E_clISt17integral_constantIbLb1EESW_IbLb0EEEEDaSS_ST_EUlSS_E_NS1_11comp_targetILNS1_3genE3ELNS1_11target_archE908ELNS1_3gpuE7ELNS1_3repE0EEENS1_30default_config_static_selectorELNS0_4arch9wavefront6targetE1EEEvT1_.kd
    .uniform_work_group_size: 1
    .uses_dynamic_stack: false
    .vgpr_count:     0
    .vgpr_spill_count: 0
    .wavefront_size: 64
  - .agpr_count:     0
    .args:
      - .offset:         0
        .size:           104
        .value_kind:     by_value
    .group_segment_fixed_size: 0
    .kernarg_segment_align: 8
    .kernarg_segment_size: 104
    .language:       OpenCL C
    .language_version:
      - 2
      - 0
    .max_flat_workgroup_size: 256
    .name:           _ZN7rocprim17ROCPRIM_400000_NS6detail17trampoline_kernelINS0_14default_configENS1_20scan_config_selectorIiEEZZNS1_9scan_implILNS1_25lookback_scan_determinismE0ELb1ELb1ES3_N6thrust23THRUST_200600_302600_NS6detail15normal_iteratorINS9_10device_ptrIiEEEENS9_16discard_iteratorINS9_11use_defaultEEEiNS9_4plusIvEEiEEDaPvRmT3_T4_T5_mT6_P12ihipStream_tbENKUlT_T0_E_clISt17integral_constantIbLb1EESW_IbLb0EEEEDaSS_ST_EUlSS_E_NS1_11comp_targetILNS1_3genE2ELNS1_11target_archE906ELNS1_3gpuE6ELNS1_3repE0EEENS1_30default_config_static_selectorELNS0_4arch9wavefront6targetE1EEEvT1_
    .private_segment_fixed_size: 0
    .sgpr_count:     4
    .sgpr_spill_count: 0
    .symbol:         _ZN7rocprim17ROCPRIM_400000_NS6detail17trampoline_kernelINS0_14default_configENS1_20scan_config_selectorIiEEZZNS1_9scan_implILNS1_25lookback_scan_determinismE0ELb1ELb1ES3_N6thrust23THRUST_200600_302600_NS6detail15normal_iteratorINS9_10device_ptrIiEEEENS9_16discard_iteratorINS9_11use_defaultEEEiNS9_4plusIvEEiEEDaPvRmT3_T4_T5_mT6_P12ihipStream_tbENKUlT_T0_E_clISt17integral_constantIbLb1EESW_IbLb0EEEEDaSS_ST_EUlSS_E_NS1_11comp_targetILNS1_3genE2ELNS1_11target_archE906ELNS1_3gpuE6ELNS1_3repE0EEENS1_30default_config_static_selectorELNS0_4arch9wavefront6targetE1EEEvT1_.kd
    .uniform_work_group_size: 1
    .uses_dynamic_stack: false
    .vgpr_count:     0
    .vgpr_spill_count: 0
    .wavefront_size: 64
  - .agpr_count:     0
    .args:
      - .offset:         0
        .size:           104
        .value_kind:     by_value
    .group_segment_fixed_size: 0
    .kernarg_segment_align: 8
    .kernarg_segment_size: 104
    .language:       OpenCL C
    .language_version:
      - 2
      - 0
    .max_flat_workgroup_size: 256
    .name:           _ZN7rocprim17ROCPRIM_400000_NS6detail17trampoline_kernelINS0_14default_configENS1_20scan_config_selectorIiEEZZNS1_9scan_implILNS1_25lookback_scan_determinismE0ELb1ELb1ES3_N6thrust23THRUST_200600_302600_NS6detail15normal_iteratorINS9_10device_ptrIiEEEENS9_16discard_iteratorINS9_11use_defaultEEEiNS9_4plusIvEEiEEDaPvRmT3_T4_T5_mT6_P12ihipStream_tbENKUlT_T0_E_clISt17integral_constantIbLb1EESW_IbLb0EEEEDaSS_ST_EUlSS_E_NS1_11comp_targetILNS1_3genE10ELNS1_11target_archE1201ELNS1_3gpuE5ELNS1_3repE0EEENS1_30default_config_static_selectorELNS0_4arch9wavefront6targetE1EEEvT1_
    .private_segment_fixed_size: 0
    .sgpr_count:     4
    .sgpr_spill_count: 0
    .symbol:         _ZN7rocprim17ROCPRIM_400000_NS6detail17trampoline_kernelINS0_14default_configENS1_20scan_config_selectorIiEEZZNS1_9scan_implILNS1_25lookback_scan_determinismE0ELb1ELb1ES3_N6thrust23THRUST_200600_302600_NS6detail15normal_iteratorINS9_10device_ptrIiEEEENS9_16discard_iteratorINS9_11use_defaultEEEiNS9_4plusIvEEiEEDaPvRmT3_T4_T5_mT6_P12ihipStream_tbENKUlT_T0_E_clISt17integral_constantIbLb1EESW_IbLb0EEEEDaSS_ST_EUlSS_E_NS1_11comp_targetILNS1_3genE10ELNS1_11target_archE1201ELNS1_3gpuE5ELNS1_3repE0EEENS1_30default_config_static_selectorELNS0_4arch9wavefront6targetE1EEEvT1_.kd
    .uniform_work_group_size: 1
    .uses_dynamic_stack: false
    .vgpr_count:     0
    .vgpr_spill_count: 0
    .wavefront_size: 64
  - .agpr_count:     0
    .args:
      - .offset:         0
        .size:           104
        .value_kind:     by_value
    .group_segment_fixed_size: 0
    .kernarg_segment_align: 8
    .kernarg_segment_size: 104
    .language:       OpenCL C
    .language_version:
      - 2
      - 0
    .max_flat_workgroup_size: 256
    .name:           _ZN7rocprim17ROCPRIM_400000_NS6detail17trampoline_kernelINS0_14default_configENS1_20scan_config_selectorIiEEZZNS1_9scan_implILNS1_25lookback_scan_determinismE0ELb1ELb1ES3_N6thrust23THRUST_200600_302600_NS6detail15normal_iteratorINS9_10device_ptrIiEEEENS9_16discard_iteratorINS9_11use_defaultEEEiNS9_4plusIvEEiEEDaPvRmT3_T4_T5_mT6_P12ihipStream_tbENKUlT_T0_E_clISt17integral_constantIbLb1EESW_IbLb0EEEEDaSS_ST_EUlSS_E_NS1_11comp_targetILNS1_3genE10ELNS1_11target_archE1200ELNS1_3gpuE4ELNS1_3repE0EEENS1_30default_config_static_selectorELNS0_4arch9wavefront6targetE1EEEvT1_
    .private_segment_fixed_size: 0
    .sgpr_count:     4
    .sgpr_spill_count: 0
    .symbol:         _ZN7rocprim17ROCPRIM_400000_NS6detail17trampoline_kernelINS0_14default_configENS1_20scan_config_selectorIiEEZZNS1_9scan_implILNS1_25lookback_scan_determinismE0ELb1ELb1ES3_N6thrust23THRUST_200600_302600_NS6detail15normal_iteratorINS9_10device_ptrIiEEEENS9_16discard_iteratorINS9_11use_defaultEEEiNS9_4plusIvEEiEEDaPvRmT3_T4_T5_mT6_P12ihipStream_tbENKUlT_T0_E_clISt17integral_constantIbLb1EESW_IbLb0EEEEDaSS_ST_EUlSS_E_NS1_11comp_targetILNS1_3genE10ELNS1_11target_archE1200ELNS1_3gpuE4ELNS1_3repE0EEENS1_30default_config_static_selectorELNS0_4arch9wavefront6targetE1EEEvT1_.kd
    .uniform_work_group_size: 1
    .uses_dynamic_stack: false
    .vgpr_count:     0
    .vgpr_spill_count: 0
    .wavefront_size: 64
  - .agpr_count:     0
    .args:
      - .offset:         0
        .size:           104
        .value_kind:     by_value
    .group_segment_fixed_size: 0
    .kernarg_segment_align: 8
    .kernarg_segment_size: 104
    .language:       OpenCL C
    .language_version:
      - 2
      - 0
    .max_flat_workgroup_size: 256
    .name:           _ZN7rocprim17ROCPRIM_400000_NS6detail17trampoline_kernelINS0_14default_configENS1_20scan_config_selectorIiEEZZNS1_9scan_implILNS1_25lookback_scan_determinismE0ELb1ELb1ES3_N6thrust23THRUST_200600_302600_NS6detail15normal_iteratorINS9_10device_ptrIiEEEENS9_16discard_iteratorINS9_11use_defaultEEEiNS9_4plusIvEEiEEDaPvRmT3_T4_T5_mT6_P12ihipStream_tbENKUlT_T0_E_clISt17integral_constantIbLb1EESW_IbLb0EEEEDaSS_ST_EUlSS_E_NS1_11comp_targetILNS1_3genE9ELNS1_11target_archE1100ELNS1_3gpuE3ELNS1_3repE0EEENS1_30default_config_static_selectorELNS0_4arch9wavefront6targetE1EEEvT1_
    .private_segment_fixed_size: 0
    .sgpr_count:     4
    .sgpr_spill_count: 0
    .symbol:         _ZN7rocprim17ROCPRIM_400000_NS6detail17trampoline_kernelINS0_14default_configENS1_20scan_config_selectorIiEEZZNS1_9scan_implILNS1_25lookback_scan_determinismE0ELb1ELb1ES3_N6thrust23THRUST_200600_302600_NS6detail15normal_iteratorINS9_10device_ptrIiEEEENS9_16discard_iteratorINS9_11use_defaultEEEiNS9_4plusIvEEiEEDaPvRmT3_T4_T5_mT6_P12ihipStream_tbENKUlT_T0_E_clISt17integral_constantIbLb1EESW_IbLb0EEEEDaSS_ST_EUlSS_E_NS1_11comp_targetILNS1_3genE9ELNS1_11target_archE1100ELNS1_3gpuE3ELNS1_3repE0EEENS1_30default_config_static_selectorELNS0_4arch9wavefront6targetE1EEEvT1_.kd
    .uniform_work_group_size: 1
    .uses_dynamic_stack: false
    .vgpr_count:     0
    .vgpr_spill_count: 0
    .wavefront_size: 64
  - .agpr_count:     0
    .args:
      - .offset:         0
        .size:           104
        .value_kind:     by_value
    .group_segment_fixed_size: 0
    .kernarg_segment_align: 8
    .kernarg_segment_size: 104
    .language:       OpenCL C
    .language_version:
      - 2
      - 0
    .max_flat_workgroup_size: 64
    .name:           _ZN7rocprim17ROCPRIM_400000_NS6detail17trampoline_kernelINS0_14default_configENS1_20scan_config_selectorIiEEZZNS1_9scan_implILNS1_25lookback_scan_determinismE0ELb1ELb1ES3_N6thrust23THRUST_200600_302600_NS6detail15normal_iteratorINS9_10device_ptrIiEEEENS9_16discard_iteratorINS9_11use_defaultEEEiNS9_4plusIvEEiEEDaPvRmT3_T4_T5_mT6_P12ihipStream_tbENKUlT_T0_E_clISt17integral_constantIbLb1EESW_IbLb0EEEEDaSS_ST_EUlSS_E_NS1_11comp_targetILNS1_3genE8ELNS1_11target_archE1030ELNS1_3gpuE2ELNS1_3repE0EEENS1_30default_config_static_selectorELNS0_4arch9wavefront6targetE1EEEvT1_
    .private_segment_fixed_size: 0
    .sgpr_count:     4
    .sgpr_spill_count: 0
    .symbol:         _ZN7rocprim17ROCPRIM_400000_NS6detail17trampoline_kernelINS0_14default_configENS1_20scan_config_selectorIiEEZZNS1_9scan_implILNS1_25lookback_scan_determinismE0ELb1ELb1ES3_N6thrust23THRUST_200600_302600_NS6detail15normal_iteratorINS9_10device_ptrIiEEEENS9_16discard_iteratorINS9_11use_defaultEEEiNS9_4plusIvEEiEEDaPvRmT3_T4_T5_mT6_P12ihipStream_tbENKUlT_T0_E_clISt17integral_constantIbLb1EESW_IbLb0EEEEDaSS_ST_EUlSS_E_NS1_11comp_targetILNS1_3genE8ELNS1_11target_archE1030ELNS1_3gpuE2ELNS1_3repE0EEENS1_30default_config_static_selectorELNS0_4arch9wavefront6targetE1EEEvT1_.kd
    .uniform_work_group_size: 1
    .uses_dynamic_stack: false
    .vgpr_count:     0
    .vgpr_spill_count: 0
    .wavefront_size: 64
  - .agpr_count:     0
    .args:
      - .offset:         0
        .size:           40
        .value_kind:     by_value
    .group_segment_fixed_size: 0
    .kernarg_segment_align: 8
    .kernarg_segment_size: 40
    .language:       OpenCL C
    .language_version:
      - 2
      - 0
    .max_flat_workgroup_size: 256
    .name:           _ZN7rocprim17ROCPRIM_400000_NS6detail17trampoline_kernelINS0_14default_configENS1_20scan_config_selectorIiEEZZNS1_9scan_implILNS1_25lookback_scan_determinismE0ELb1ELb1ES3_N6thrust23THRUST_200600_302600_NS6detail15normal_iteratorINS9_10device_ptrIiEEEENS9_16discard_iteratorINS9_11use_defaultEEEiNS9_4plusIvEEiEEDaPvRmT3_T4_T5_mT6_P12ihipStream_tbENKUlT_T0_E_clISt17integral_constantIbLb1EESW_IbLb0EEEEDaSS_ST_EUlSS_E0_NS1_11comp_targetILNS1_3genE0ELNS1_11target_archE4294967295ELNS1_3gpuE0ELNS1_3repE0EEENS1_30default_config_static_selectorELNS0_4arch9wavefront6targetE1EEEvT1_
    .private_segment_fixed_size: 0
    .sgpr_count:     4
    .sgpr_spill_count: 0
    .symbol:         _ZN7rocprim17ROCPRIM_400000_NS6detail17trampoline_kernelINS0_14default_configENS1_20scan_config_selectorIiEEZZNS1_9scan_implILNS1_25lookback_scan_determinismE0ELb1ELb1ES3_N6thrust23THRUST_200600_302600_NS6detail15normal_iteratorINS9_10device_ptrIiEEEENS9_16discard_iteratorINS9_11use_defaultEEEiNS9_4plusIvEEiEEDaPvRmT3_T4_T5_mT6_P12ihipStream_tbENKUlT_T0_E_clISt17integral_constantIbLb1EESW_IbLb0EEEEDaSS_ST_EUlSS_E0_NS1_11comp_targetILNS1_3genE0ELNS1_11target_archE4294967295ELNS1_3gpuE0ELNS1_3repE0EEENS1_30default_config_static_selectorELNS0_4arch9wavefront6targetE1EEEvT1_.kd
    .uniform_work_group_size: 1
    .uses_dynamic_stack: false
    .vgpr_count:     0
    .vgpr_spill_count: 0
    .wavefront_size: 64
  - .agpr_count:     0
    .args:
      - .offset:         0
        .size:           40
        .value_kind:     by_value
    .group_segment_fixed_size: 0
    .kernarg_segment_align: 8
    .kernarg_segment_size: 40
    .language:       OpenCL C
    .language_version:
      - 2
      - 0
    .max_flat_workgroup_size: 256
    .name:           _ZN7rocprim17ROCPRIM_400000_NS6detail17trampoline_kernelINS0_14default_configENS1_20scan_config_selectorIiEEZZNS1_9scan_implILNS1_25lookback_scan_determinismE0ELb1ELb1ES3_N6thrust23THRUST_200600_302600_NS6detail15normal_iteratorINS9_10device_ptrIiEEEENS9_16discard_iteratorINS9_11use_defaultEEEiNS9_4plusIvEEiEEDaPvRmT3_T4_T5_mT6_P12ihipStream_tbENKUlT_T0_E_clISt17integral_constantIbLb1EESW_IbLb0EEEEDaSS_ST_EUlSS_E0_NS1_11comp_targetILNS1_3genE5ELNS1_11target_archE942ELNS1_3gpuE9ELNS1_3repE0EEENS1_30default_config_static_selectorELNS0_4arch9wavefront6targetE1EEEvT1_
    .private_segment_fixed_size: 0
    .sgpr_count:     4
    .sgpr_spill_count: 0
    .symbol:         _ZN7rocprim17ROCPRIM_400000_NS6detail17trampoline_kernelINS0_14default_configENS1_20scan_config_selectorIiEEZZNS1_9scan_implILNS1_25lookback_scan_determinismE0ELb1ELb1ES3_N6thrust23THRUST_200600_302600_NS6detail15normal_iteratorINS9_10device_ptrIiEEEENS9_16discard_iteratorINS9_11use_defaultEEEiNS9_4plusIvEEiEEDaPvRmT3_T4_T5_mT6_P12ihipStream_tbENKUlT_T0_E_clISt17integral_constantIbLb1EESW_IbLb0EEEEDaSS_ST_EUlSS_E0_NS1_11comp_targetILNS1_3genE5ELNS1_11target_archE942ELNS1_3gpuE9ELNS1_3repE0EEENS1_30default_config_static_selectorELNS0_4arch9wavefront6targetE1EEEvT1_.kd
    .uniform_work_group_size: 1
    .uses_dynamic_stack: false
    .vgpr_count:     0
    .vgpr_spill_count: 0
    .wavefront_size: 64
  - .agpr_count:     0
    .args:
      - .offset:         0
        .size:           40
        .value_kind:     by_value
    .group_segment_fixed_size: 5120
    .kernarg_segment_align: 8
    .kernarg_segment_size: 40
    .language:       OpenCL C
    .language_version:
      - 2
      - 0
    .max_flat_workgroup_size: 128
    .name:           _ZN7rocprim17ROCPRIM_400000_NS6detail17trampoline_kernelINS0_14default_configENS1_20scan_config_selectorIiEEZZNS1_9scan_implILNS1_25lookback_scan_determinismE0ELb1ELb1ES3_N6thrust23THRUST_200600_302600_NS6detail15normal_iteratorINS9_10device_ptrIiEEEENS9_16discard_iteratorINS9_11use_defaultEEEiNS9_4plusIvEEiEEDaPvRmT3_T4_T5_mT6_P12ihipStream_tbENKUlT_T0_E_clISt17integral_constantIbLb1EESW_IbLb0EEEEDaSS_ST_EUlSS_E0_NS1_11comp_targetILNS1_3genE4ELNS1_11target_archE910ELNS1_3gpuE8ELNS1_3repE0EEENS1_30default_config_static_selectorELNS0_4arch9wavefront6targetE1EEEvT1_
    .private_segment_fixed_size: 0
    .sgpr_count:     12
    .sgpr_spill_count: 0
    .symbol:         _ZN7rocprim17ROCPRIM_400000_NS6detail17trampoline_kernelINS0_14default_configENS1_20scan_config_selectorIiEEZZNS1_9scan_implILNS1_25lookback_scan_determinismE0ELb1ELb1ES3_N6thrust23THRUST_200600_302600_NS6detail15normal_iteratorINS9_10device_ptrIiEEEENS9_16discard_iteratorINS9_11use_defaultEEEiNS9_4plusIvEEiEEDaPvRmT3_T4_T5_mT6_P12ihipStream_tbENKUlT_T0_E_clISt17integral_constantIbLb1EESW_IbLb0EEEEDaSS_ST_EUlSS_E0_NS1_11comp_targetILNS1_3genE4ELNS1_11target_archE910ELNS1_3gpuE8ELNS1_3repE0EEENS1_30default_config_static_selectorELNS0_4arch9wavefront6targetE1EEEvT1_.kd
    .uniform_work_group_size: 1
    .uses_dynamic_stack: false
    .vgpr_count:     18
    .vgpr_spill_count: 0
    .wavefront_size: 64
  - .agpr_count:     0
    .args:
      - .offset:         0
        .size:           40
        .value_kind:     by_value
    .group_segment_fixed_size: 0
    .kernarg_segment_align: 8
    .kernarg_segment_size: 40
    .language:       OpenCL C
    .language_version:
      - 2
      - 0
    .max_flat_workgroup_size: 256
    .name:           _ZN7rocprim17ROCPRIM_400000_NS6detail17trampoline_kernelINS0_14default_configENS1_20scan_config_selectorIiEEZZNS1_9scan_implILNS1_25lookback_scan_determinismE0ELb1ELb1ES3_N6thrust23THRUST_200600_302600_NS6detail15normal_iteratorINS9_10device_ptrIiEEEENS9_16discard_iteratorINS9_11use_defaultEEEiNS9_4plusIvEEiEEDaPvRmT3_T4_T5_mT6_P12ihipStream_tbENKUlT_T0_E_clISt17integral_constantIbLb1EESW_IbLb0EEEEDaSS_ST_EUlSS_E0_NS1_11comp_targetILNS1_3genE3ELNS1_11target_archE908ELNS1_3gpuE7ELNS1_3repE0EEENS1_30default_config_static_selectorELNS0_4arch9wavefront6targetE1EEEvT1_
    .private_segment_fixed_size: 0
    .sgpr_count:     4
    .sgpr_spill_count: 0
    .symbol:         _ZN7rocprim17ROCPRIM_400000_NS6detail17trampoline_kernelINS0_14default_configENS1_20scan_config_selectorIiEEZZNS1_9scan_implILNS1_25lookback_scan_determinismE0ELb1ELb1ES3_N6thrust23THRUST_200600_302600_NS6detail15normal_iteratorINS9_10device_ptrIiEEEENS9_16discard_iteratorINS9_11use_defaultEEEiNS9_4plusIvEEiEEDaPvRmT3_T4_T5_mT6_P12ihipStream_tbENKUlT_T0_E_clISt17integral_constantIbLb1EESW_IbLb0EEEEDaSS_ST_EUlSS_E0_NS1_11comp_targetILNS1_3genE3ELNS1_11target_archE908ELNS1_3gpuE7ELNS1_3repE0EEENS1_30default_config_static_selectorELNS0_4arch9wavefront6targetE1EEEvT1_.kd
    .uniform_work_group_size: 1
    .uses_dynamic_stack: false
    .vgpr_count:     0
    .vgpr_spill_count: 0
    .wavefront_size: 64
  - .agpr_count:     0
    .args:
      - .offset:         0
        .size:           40
        .value_kind:     by_value
    .group_segment_fixed_size: 0
    .kernarg_segment_align: 8
    .kernarg_segment_size: 40
    .language:       OpenCL C
    .language_version:
      - 2
      - 0
    .max_flat_workgroup_size: 256
    .name:           _ZN7rocprim17ROCPRIM_400000_NS6detail17trampoline_kernelINS0_14default_configENS1_20scan_config_selectorIiEEZZNS1_9scan_implILNS1_25lookback_scan_determinismE0ELb1ELb1ES3_N6thrust23THRUST_200600_302600_NS6detail15normal_iteratorINS9_10device_ptrIiEEEENS9_16discard_iteratorINS9_11use_defaultEEEiNS9_4plusIvEEiEEDaPvRmT3_T4_T5_mT6_P12ihipStream_tbENKUlT_T0_E_clISt17integral_constantIbLb1EESW_IbLb0EEEEDaSS_ST_EUlSS_E0_NS1_11comp_targetILNS1_3genE2ELNS1_11target_archE906ELNS1_3gpuE6ELNS1_3repE0EEENS1_30default_config_static_selectorELNS0_4arch9wavefront6targetE1EEEvT1_
    .private_segment_fixed_size: 0
    .sgpr_count:     4
    .sgpr_spill_count: 0
    .symbol:         _ZN7rocprim17ROCPRIM_400000_NS6detail17trampoline_kernelINS0_14default_configENS1_20scan_config_selectorIiEEZZNS1_9scan_implILNS1_25lookback_scan_determinismE0ELb1ELb1ES3_N6thrust23THRUST_200600_302600_NS6detail15normal_iteratorINS9_10device_ptrIiEEEENS9_16discard_iteratorINS9_11use_defaultEEEiNS9_4plusIvEEiEEDaPvRmT3_T4_T5_mT6_P12ihipStream_tbENKUlT_T0_E_clISt17integral_constantIbLb1EESW_IbLb0EEEEDaSS_ST_EUlSS_E0_NS1_11comp_targetILNS1_3genE2ELNS1_11target_archE906ELNS1_3gpuE6ELNS1_3repE0EEENS1_30default_config_static_selectorELNS0_4arch9wavefront6targetE1EEEvT1_.kd
    .uniform_work_group_size: 1
    .uses_dynamic_stack: false
    .vgpr_count:     0
    .vgpr_spill_count: 0
    .wavefront_size: 64
  - .agpr_count:     0
    .args:
      - .offset:         0
        .size:           40
        .value_kind:     by_value
    .group_segment_fixed_size: 0
    .kernarg_segment_align: 8
    .kernarg_segment_size: 40
    .language:       OpenCL C
    .language_version:
      - 2
      - 0
    .max_flat_workgroup_size: 256
    .name:           _ZN7rocprim17ROCPRIM_400000_NS6detail17trampoline_kernelINS0_14default_configENS1_20scan_config_selectorIiEEZZNS1_9scan_implILNS1_25lookback_scan_determinismE0ELb1ELb1ES3_N6thrust23THRUST_200600_302600_NS6detail15normal_iteratorINS9_10device_ptrIiEEEENS9_16discard_iteratorINS9_11use_defaultEEEiNS9_4plusIvEEiEEDaPvRmT3_T4_T5_mT6_P12ihipStream_tbENKUlT_T0_E_clISt17integral_constantIbLb1EESW_IbLb0EEEEDaSS_ST_EUlSS_E0_NS1_11comp_targetILNS1_3genE10ELNS1_11target_archE1201ELNS1_3gpuE5ELNS1_3repE0EEENS1_30default_config_static_selectorELNS0_4arch9wavefront6targetE1EEEvT1_
    .private_segment_fixed_size: 0
    .sgpr_count:     4
    .sgpr_spill_count: 0
    .symbol:         _ZN7rocprim17ROCPRIM_400000_NS6detail17trampoline_kernelINS0_14default_configENS1_20scan_config_selectorIiEEZZNS1_9scan_implILNS1_25lookback_scan_determinismE0ELb1ELb1ES3_N6thrust23THRUST_200600_302600_NS6detail15normal_iteratorINS9_10device_ptrIiEEEENS9_16discard_iteratorINS9_11use_defaultEEEiNS9_4plusIvEEiEEDaPvRmT3_T4_T5_mT6_P12ihipStream_tbENKUlT_T0_E_clISt17integral_constantIbLb1EESW_IbLb0EEEEDaSS_ST_EUlSS_E0_NS1_11comp_targetILNS1_3genE10ELNS1_11target_archE1201ELNS1_3gpuE5ELNS1_3repE0EEENS1_30default_config_static_selectorELNS0_4arch9wavefront6targetE1EEEvT1_.kd
    .uniform_work_group_size: 1
    .uses_dynamic_stack: false
    .vgpr_count:     0
    .vgpr_spill_count: 0
    .wavefront_size: 64
  - .agpr_count:     0
    .args:
      - .offset:         0
        .size:           40
        .value_kind:     by_value
    .group_segment_fixed_size: 0
    .kernarg_segment_align: 8
    .kernarg_segment_size: 40
    .language:       OpenCL C
    .language_version:
      - 2
      - 0
    .max_flat_workgroup_size: 256
    .name:           _ZN7rocprim17ROCPRIM_400000_NS6detail17trampoline_kernelINS0_14default_configENS1_20scan_config_selectorIiEEZZNS1_9scan_implILNS1_25lookback_scan_determinismE0ELb1ELb1ES3_N6thrust23THRUST_200600_302600_NS6detail15normal_iteratorINS9_10device_ptrIiEEEENS9_16discard_iteratorINS9_11use_defaultEEEiNS9_4plusIvEEiEEDaPvRmT3_T4_T5_mT6_P12ihipStream_tbENKUlT_T0_E_clISt17integral_constantIbLb1EESW_IbLb0EEEEDaSS_ST_EUlSS_E0_NS1_11comp_targetILNS1_3genE10ELNS1_11target_archE1200ELNS1_3gpuE4ELNS1_3repE0EEENS1_30default_config_static_selectorELNS0_4arch9wavefront6targetE1EEEvT1_
    .private_segment_fixed_size: 0
    .sgpr_count:     4
    .sgpr_spill_count: 0
    .symbol:         _ZN7rocprim17ROCPRIM_400000_NS6detail17trampoline_kernelINS0_14default_configENS1_20scan_config_selectorIiEEZZNS1_9scan_implILNS1_25lookback_scan_determinismE0ELb1ELb1ES3_N6thrust23THRUST_200600_302600_NS6detail15normal_iteratorINS9_10device_ptrIiEEEENS9_16discard_iteratorINS9_11use_defaultEEEiNS9_4plusIvEEiEEDaPvRmT3_T4_T5_mT6_P12ihipStream_tbENKUlT_T0_E_clISt17integral_constantIbLb1EESW_IbLb0EEEEDaSS_ST_EUlSS_E0_NS1_11comp_targetILNS1_3genE10ELNS1_11target_archE1200ELNS1_3gpuE4ELNS1_3repE0EEENS1_30default_config_static_selectorELNS0_4arch9wavefront6targetE1EEEvT1_.kd
    .uniform_work_group_size: 1
    .uses_dynamic_stack: false
    .vgpr_count:     0
    .vgpr_spill_count: 0
    .wavefront_size: 64
  - .agpr_count:     0
    .args:
      - .offset:         0
        .size:           40
        .value_kind:     by_value
    .group_segment_fixed_size: 0
    .kernarg_segment_align: 8
    .kernarg_segment_size: 40
    .language:       OpenCL C
    .language_version:
      - 2
      - 0
    .max_flat_workgroup_size: 256
    .name:           _ZN7rocprim17ROCPRIM_400000_NS6detail17trampoline_kernelINS0_14default_configENS1_20scan_config_selectorIiEEZZNS1_9scan_implILNS1_25lookback_scan_determinismE0ELb1ELb1ES3_N6thrust23THRUST_200600_302600_NS6detail15normal_iteratorINS9_10device_ptrIiEEEENS9_16discard_iteratorINS9_11use_defaultEEEiNS9_4plusIvEEiEEDaPvRmT3_T4_T5_mT6_P12ihipStream_tbENKUlT_T0_E_clISt17integral_constantIbLb1EESW_IbLb0EEEEDaSS_ST_EUlSS_E0_NS1_11comp_targetILNS1_3genE9ELNS1_11target_archE1100ELNS1_3gpuE3ELNS1_3repE0EEENS1_30default_config_static_selectorELNS0_4arch9wavefront6targetE1EEEvT1_
    .private_segment_fixed_size: 0
    .sgpr_count:     4
    .sgpr_spill_count: 0
    .symbol:         _ZN7rocprim17ROCPRIM_400000_NS6detail17trampoline_kernelINS0_14default_configENS1_20scan_config_selectorIiEEZZNS1_9scan_implILNS1_25lookback_scan_determinismE0ELb1ELb1ES3_N6thrust23THRUST_200600_302600_NS6detail15normal_iteratorINS9_10device_ptrIiEEEENS9_16discard_iteratorINS9_11use_defaultEEEiNS9_4plusIvEEiEEDaPvRmT3_T4_T5_mT6_P12ihipStream_tbENKUlT_T0_E_clISt17integral_constantIbLb1EESW_IbLb0EEEEDaSS_ST_EUlSS_E0_NS1_11comp_targetILNS1_3genE9ELNS1_11target_archE1100ELNS1_3gpuE3ELNS1_3repE0EEENS1_30default_config_static_selectorELNS0_4arch9wavefront6targetE1EEEvT1_.kd
    .uniform_work_group_size: 1
    .uses_dynamic_stack: false
    .vgpr_count:     0
    .vgpr_spill_count: 0
    .wavefront_size: 64
  - .agpr_count:     0
    .args:
      - .offset:         0
        .size:           40
        .value_kind:     by_value
    .group_segment_fixed_size: 0
    .kernarg_segment_align: 8
    .kernarg_segment_size: 40
    .language:       OpenCL C
    .language_version:
      - 2
      - 0
    .max_flat_workgroup_size: 64
    .name:           _ZN7rocprim17ROCPRIM_400000_NS6detail17trampoline_kernelINS0_14default_configENS1_20scan_config_selectorIiEEZZNS1_9scan_implILNS1_25lookback_scan_determinismE0ELb1ELb1ES3_N6thrust23THRUST_200600_302600_NS6detail15normal_iteratorINS9_10device_ptrIiEEEENS9_16discard_iteratorINS9_11use_defaultEEEiNS9_4plusIvEEiEEDaPvRmT3_T4_T5_mT6_P12ihipStream_tbENKUlT_T0_E_clISt17integral_constantIbLb1EESW_IbLb0EEEEDaSS_ST_EUlSS_E0_NS1_11comp_targetILNS1_3genE8ELNS1_11target_archE1030ELNS1_3gpuE2ELNS1_3repE0EEENS1_30default_config_static_selectorELNS0_4arch9wavefront6targetE1EEEvT1_
    .private_segment_fixed_size: 0
    .sgpr_count:     4
    .sgpr_spill_count: 0
    .symbol:         _ZN7rocprim17ROCPRIM_400000_NS6detail17trampoline_kernelINS0_14default_configENS1_20scan_config_selectorIiEEZZNS1_9scan_implILNS1_25lookback_scan_determinismE0ELb1ELb1ES3_N6thrust23THRUST_200600_302600_NS6detail15normal_iteratorINS9_10device_ptrIiEEEENS9_16discard_iteratorINS9_11use_defaultEEEiNS9_4plusIvEEiEEDaPvRmT3_T4_T5_mT6_P12ihipStream_tbENKUlT_T0_E_clISt17integral_constantIbLb1EESW_IbLb0EEEEDaSS_ST_EUlSS_E0_NS1_11comp_targetILNS1_3genE8ELNS1_11target_archE1030ELNS1_3gpuE2ELNS1_3repE0EEENS1_30default_config_static_selectorELNS0_4arch9wavefront6targetE1EEEvT1_.kd
    .uniform_work_group_size: 1
    .uses_dynamic_stack: false
    .vgpr_count:     0
    .vgpr_spill_count: 0
    .wavefront_size: 64
  - .agpr_count:     0
    .args:
      - .offset:         0
        .size:           104
        .value_kind:     by_value
    .group_segment_fixed_size: 0
    .kernarg_segment_align: 8
    .kernarg_segment_size: 104
    .language:       OpenCL C
    .language_version:
      - 2
      - 0
    .max_flat_workgroup_size: 256
    .name:           _ZN7rocprim17ROCPRIM_400000_NS6detail17trampoline_kernelINS0_14default_configENS1_20scan_config_selectorIiEEZZNS1_9scan_implILNS1_25lookback_scan_determinismE0ELb1ELb1ES3_N6thrust23THRUST_200600_302600_NS6detail15normal_iteratorINS9_10device_ptrIiEEEENS9_16discard_iteratorINS9_11use_defaultEEEiNS9_4plusIvEEiEEDaPvRmT3_T4_T5_mT6_P12ihipStream_tbENKUlT_T0_E_clISt17integral_constantIbLb0EESW_IbLb1EEEEDaSS_ST_EUlSS_E_NS1_11comp_targetILNS1_3genE0ELNS1_11target_archE4294967295ELNS1_3gpuE0ELNS1_3repE0EEENS1_30default_config_static_selectorELNS0_4arch9wavefront6targetE1EEEvT1_
    .private_segment_fixed_size: 0
    .sgpr_count:     4
    .sgpr_spill_count: 0
    .symbol:         _ZN7rocprim17ROCPRIM_400000_NS6detail17trampoline_kernelINS0_14default_configENS1_20scan_config_selectorIiEEZZNS1_9scan_implILNS1_25lookback_scan_determinismE0ELb1ELb1ES3_N6thrust23THRUST_200600_302600_NS6detail15normal_iteratorINS9_10device_ptrIiEEEENS9_16discard_iteratorINS9_11use_defaultEEEiNS9_4plusIvEEiEEDaPvRmT3_T4_T5_mT6_P12ihipStream_tbENKUlT_T0_E_clISt17integral_constantIbLb0EESW_IbLb1EEEEDaSS_ST_EUlSS_E_NS1_11comp_targetILNS1_3genE0ELNS1_11target_archE4294967295ELNS1_3gpuE0ELNS1_3repE0EEENS1_30default_config_static_selectorELNS0_4arch9wavefront6targetE1EEEvT1_.kd
    .uniform_work_group_size: 1
    .uses_dynamic_stack: false
    .vgpr_count:     0
    .vgpr_spill_count: 0
    .wavefront_size: 64
  - .agpr_count:     0
    .args:
      - .offset:         0
        .size:           104
        .value_kind:     by_value
    .group_segment_fixed_size: 0
    .kernarg_segment_align: 8
    .kernarg_segment_size: 104
    .language:       OpenCL C
    .language_version:
      - 2
      - 0
    .max_flat_workgroup_size: 256
    .name:           _ZN7rocprim17ROCPRIM_400000_NS6detail17trampoline_kernelINS0_14default_configENS1_20scan_config_selectorIiEEZZNS1_9scan_implILNS1_25lookback_scan_determinismE0ELb1ELb1ES3_N6thrust23THRUST_200600_302600_NS6detail15normal_iteratorINS9_10device_ptrIiEEEENS9_16discard_iteratorINS9_11use_defaultEEEiNS9_4plusIvEEiEEDaPvRmT3_T4_T5_mT6_P12ihipStream_tbENKUlT_T0_E_clISt17integral_constantIbLb0EESW_IbLb1EEEEDaSS_ST_EUlSS_E_NS1_11comp_targetILNS1_3genE5ELNS1_11target_archE942ELNS1_3gpuE9ELNS1_3repE0EEENS1_30default_config_static_selectorELNS0_4arch9wavefront6targetE1EEEvT1_
    .private_segment_fixed_size: 0
    .sgpr_count:     4
    .sgpr_spill_count: 0
    .symbol:         _ZN7rocprim17ROCPRIM_400000_NS6detail17trampoline_kernelINS0_14default_configENS1_20scan_config_selectorIiEEZZNS1_9scan_implILNS1_25lookback_scan_determinismE0ELb1ELb1ES3_N6thrust23THRUST_200600_302600_NS6detail15normal_iteratorINS9_10device_ptrIiEEEENS9_16discard_iteratorINS9_11use_defaultEEEiNS9_4plusIvEEiEEDaPvRmT3_T4_T5_mT6_P12ihipStream_tbENKUlT_T0_E_clISt17integral_constantIbLb0EESW_IbLb1EEEEDaSS_ST_EUlSS_E_NS1_11comp_targetILNS1_3genE5ELNS1_11target_archE942ELNS1_3gpuE9ELNS1_3repE0EEENS1_30default_config_static_selectorELNS0_4arch9wavefront6targetE1EEEvT1_.kd
    .uniform_work_group_size: 1
    .uses_dynamic_stack: false
    .vgpr_count:     0
    .vgpr_spill_count: 0
    .wavefront_size: 64
  - .agpr_count:     0
    .args:
      - .offset:         0
        .size:           104
        .value_kind:     by_value
    .group_segment_fixed_size: 5120
    .kernarg_segment_align: 8
    .kernarg_segment_size: 104
    .language:       OpenCL C
    .language_version:
      - 2
      - 0
    .max_flat_workgroup_size: 128
    .name:           _ZN7rocprim17ROCPRIM_400000_NS6detail17trampoline_kernelINS0_14default_configENS1_20scan_config_selectorIiEEZZNS1_9scan_implILNS1_25lookback_scan_determinismE0ELb1ELb1ES3_N6thrust23THRUST_200600_302600_NS6detail15normal_iteratorINS9_10device_ptrIiEEEENS9_16discard_iteratorINS9_11use_defaultEEEiNS9_4plusIvEEiEEDaPvRmT3_T4_T5_mT6_P12ihipStream_tbENKUlT_T0_E_clISt17integral_constantIbLb0EESW_IbLb1EEEEDaSS_ST_EUlSS_E_NS1_11comp_targetILNS1_3genE4ELNS1_11target_archE910ELNS1_3gpuE8ELNS1_3repE0EEENS1_30default_config_static_selectorELNS0_4arch9wavefront6targetE1EEEvT1_
    .private_segment_fixed_size: 0
    .sgpr_count:     36
    .sgpr_spill_count: 0
    .symbol:         _ZN7rocprim17ROCPRIM_400000_NS6detail17trampoline_kernelINS0_14default_configENS1_20scan_config_selectorIiEEZZNS1_9scan_implILNS1_25lookback_scan_determinismE0ELb1ELb1ES3_N6thrust23THRUST_200600_302600_NS6detail15normal_iteratorINS9_10device_ptrIiEEEENS9_16discard_iteratorINS9_11use_defaultEEEiNS9_4plusIvEEiEEDaPvRmT3_T4_T5_mT6_P12ihipStream_tbENKUlT_T0_E_clISt17integral_constantIbLb0EESW_IbLb1EEEEDaSS_ST_EUlSS_E_NS1_11comp_targetILNS1_3genE4ELNS1_11target_archE910ELNS1_3gpuE8ELNS1_3repE0EEENS1_30default_config_static_selectorELNS0_4arch9wavefront6targetE1EEEvT1_.kd
    .uniform_work_group_size: 1
    .uses_dynamic_stack: false
    .vgpr_count:     40
    .vgpr_spill_count: 0
    .wavefront_size: 64
  - .agpr_count:     0
    .args:
      - .offset:         0
        .size:           104
        .value_kind:     by_value
    .group_segment_fixed_size: 0
    .kernarg_segment_align: 8
    .kernarg_segment_size: 104
    .language:       OpenCL C
    .language_version:
      - 2
      - 0
    .max_flat_workgroup_size: 256
    .name:           _ZN7rocprim17ROCPRIM_400000_NS6detail17trampoline_kernelINS0_14default_configENS1_20scan_config_selectorIiEEZZNS1_9scan_implILNS1_25lookback_scan_determinismE0ELb1ELb1ES3_N6thrust23THRUST_200600_302600_NS6detail15normal_iteratorINS9_10device_ptrIiEEEENS9_16discard_iteratorINS9_11use_defaultEEEiNS9_4plusIvEEiEEDaPvRmT3_T4_T5_mT6_P12ihipStream_tbENKUlT_T0_E_clISt17integral_constantIbLb0EESW_IbLb1EEEEDaSS_ST_EUlSS_E_NS1_11comp_targetILNS1_3genE3ELNS1_11target_archE908ELNS1_3gpuE7ELNS1_3repE0EEENS1_30default_config_static_selectorELNS0_4arch9wavefront6targetE1EEEvT1_
    .private_segment_fixed_size: 0
    .sgpr_count:     4
    .sgpr_spill_count: 0
    .symbol:         _ZN7rocprim17ROCPRIM_400000_NS6detail17trampoline_kernelINS0_14default_configENS1_20scan_config_selectorIiEEZZNS1_9scan_implILNS1_25lookback_scan_determinismE0ELb1ELb1ES3_N6thrust23THRUST_200600_302600_NS6detail15normal_iteratorINS9_10device_ptrIiEEEENS9_16discard_iteratorINS9_11use_defaultEEEiNS9_4plusIvEEiEEDaPvRmT3_T4_T5_mT6_P12ihipStream_tbENKUlT_T0_E_clISt17integral_constantIbLb0EESW_IbLb1EEEEDaSS_ST_EUlSS_E_NS1_11comp_targetILNS1_3genE3ELNS1_11target_archE908ELNS1_3gpuE7ELNS1_3repE0EEENS1_30default_config_static_selectorELNS0_4arch9wavefront6targetE1EEEvT1_.kd
    .uniform_work_group_size: 1
    .uses_dynamic_stack: false
    .vgpr_count:     0
    .vgpr_spill_count: 0
    .wavefront_size: 64
  - .agpr_count:     0
    .args:
      - .offset:         0
        .size:           104
        .value_kind:     by_value
    .group_segment_fixed_size: 0
    .kernarg_segment_align: 8
    .kernarg_segment_size: 104
    .language:       OpenCL C
    .language_version:
      - 2
      - 0
    .max_flat_workgroup_size: 256
    .name:           _ZN7rocprim17ROCPRIM_400000_NS6detail17trampoline_kernelINS0_14default_configENS1_20scan_config_selectorIiEEZZNS1_9scan_implILNS1_25lookback_scan_determinismE0ELb1ELb1ES3_N6thrust23THRUST_200600_302600_NS6detail15normal_iteratorINS9_10device_ptrIiEEEENS9_16discard_iteratorINS9_11use_defaultEEEiNS9_4plusIvEEiEEDaPvRmT3_T4_T5_mT6_P12ihipStream_tbENKUlT_T0_E_clISt17integral_constantIbLb0EESW_IbLb1EEEEDaSS_ST_EUlSS_E_NS1_11comp_targetILNS1_3genE2ELNS1_11target_archE906ELNS1_3gpuE6ELNS1_3repE0EEENS1_30default_config_static_selectorELNS0_4arch9wavefront6targetE1EEEvT1_
    .private_segment_fixed_size: 0
    .sgpr_count:     4
    .sgpr_spill_count: 0
    .symbol:         _ZN7rocprim17ROCPRIM_400000_NS6detail17trampoline_kernelINS0_14default_configENS1_20scan_config_selectorIiEEZZNS1_9scan_implILNS1_25lookback_scan_determinismE0ELb1ELb1ES3_N6thrust23THRUST_200600_302600_NS6detail15normal_iteratorINS9_10device_ptrIiEEEENS9_16discard_iteratorINS9_11use_defaultEEEiNS9_4plusIvEEiEEDaPvRmT3_T4_T5_mT6_P12ihipStream_tbENKUlT_T0_E_clISt17integral_constantIbLb0EESW_IbLb1EEEEDaSS_ST_EUlSS_E_NS1_11comp_targetILNS1_3genE2ELNS1_11target_archE906ELNS1_3gpuE6ELNS1_3repE0EEENS1_30default_config_static_selectorELNS0_4arch9wavefront6targetE1EEEvT1_.kd
    .uniform_work_group_size: 1
    .uses_dynamic_stack: false
    .vgpr_count:     0
    .vgpr_spill_count: 0
    .wavefront_size: 64
  - .agpr_count:     0
    .args:
      - .offset:         0
        .size:           104
        .value_kind:     by_value
    .group_segment_fixed_size: 0
    .kernarg_segment_align: 8
    .kernarg_segment_size: 104
    .language:       OpenCL C
    .language_version:
      - 2
      - 0
    .max_flat_workgroup_size: 256
    .name:           _ZN7rocprim17ROCPRIM_400000_NS6detail17trampoline_kernelINS0_14default_configENS1_20scan_config_selectorIiEEZZNS1_9scan_implILNS1_25lookback_scan_determinismE0ELb1ELb1ES3_N6thrust23THRUST_200600_302600_NS6detail15normal_iteratorINS9_10device_ptrIiEEEENS9_16discard_iteratorINS9_11use_defaultEEEiNS9_4plusIvEEiEEDaPvRmT3_T4_T5_mT6_P12ihipStream_tbENKUlT_T0_E_clISt17integral_constantIbLb0EESW_IbLb1EEEEDaSS_ST_EUlSS_E_NS1_11comp_targetILNS1_3genE10ELNS1_11target_archE1201ELNS1_3gpuE5ELNS1_3repE0EEENS1_30default_config_static_selectorELNS0_4arch9wavefront6targetE1EEEvT1_
    .private_segment_fixed_size: 0
    .sgpr_count:     4
    .sgpr_spill_count: 0
    .symbol:         _ZN7rocprim17ROCPRIM_400000_NS6detail17trampoline_kernelINS0_14default_configENS1_20scan_config_selectorIiEEZZNS1_9scan_implILNS1_25lookback_scan_determinismE0ELb1ELb1ES3_N6thrust23THRUST_200600_302600_NS6detail15normal_iteratorINS9_10device_ptrIiEEEENS9_16discard_iteratorINS9_11use_defaultEEEiNS9_4plusIvEEiEEDaPvRmT3_T4_T5_mT6_P12ihipStream_tbENKUlT_T0_E_clISt17integral_constantIbLb0EESW_IbLb1EEEEDaSS_ST_EUlSS_E_NS1_11comp_targetILNS1_3genE10ELNS1_11target_archE1201ELNS1_3gpuE5ELNS1_3repE0EEENS1_30default_config_static_selectorELNS0_4arch9wavefront6targetE1EEEvT1_.kd
    .uniform_work_group_size: 1
    .uses_dynamic_stack: false
    .vgpr_count:     0
    .vgpr_spill_count: 0
    .wavefront_size: 64
  - .agpr_count:     0
    .args:
      - .offset:         0
        .size:           104
        .value_kind:     by_value
    .group_segment_fixed_size: 0
    .kernarg_segment_align: 8
    .kernarg_segment_size: 104
    .language:       OpenCL C
    .language_version:
      - 2
      - 0
    .max_flat_workgroup_size: 256
    .name:           _ZN7rocprim17ROCPRIM_400000_NS6detail17trampoline_kernelINS0_14default_configENS1_20scan_config_selectorIiEEZZNS1_9scan_implILNS1_25lookback_scan_determinismE0ELb1ELb1ES3_N6thrust23THRUST_200600_302600_NS6detail15normal_iteratorINS9_10device_ptrIiEEEENS9_16discard_iteratorINS9_11use_defaultEEEiNS9_4plusIvEEiEEDaPvRmT3_T4_T5_mT6_P12ihipStream_tbENKUlT_T0_E_clISt17integral_constantIbLb0EESW_IbLb1EEEEDaSS_ST_EUlSS_E_NS1_11comp_targetILNS1_3genE10ELNS1_11target_archE1200ELNS1_3gpuE4ELNS1_3repE0EEENS1_30default_config_static_selectorELNS0_4arch9wavefront6targetE1EEEvT1_
    .private_segment_fixed_size: 0
    .sgpr_count:     4
    .sgpr_spill_count: 0
    .symbol:         _ZN7rocprim17ROCPRIM_400000_NS6detail17trampoline_kernelINS0_14default_configENS1_20scan_config_selectorIiEEZZNS1_9scan_implILNS1_25lookback_scan_determinismE0ELb1ELb1ES3_N6thrust23THRUST_200600_302600_NS6detail15normal_iteratorINS9_10device_ptrIiEEEENS9_16discard_iteratorINS9_11use_defaultEEEiNS9_4plusIvEEiEEDaPvRmT3_T4_T5_mT6_P12ihipStream_tbENKUlT_T0_E_clISt17integral_constantIbLb0EESW_IbLb1EEEEDaSS_ST_EUlSS_E_NS1_11comp_targetILNS1_3genE10ELNS1_11target_archE1200ELNS1_3gpuE4ELNS1_3repE0EEENS1_30default_config_static_selectorELNS0_4arch9wavefront6targetE1EEEvT1_.kd
    .uniform_work_group_size: 1
    .uses_dynamic_stack: false
    .vgpr_count:     0
    .vgpr_spill_count: 0
    .wavefront_size: 64
  - .agpr_count:     0
    .args:
      - .offset:         0
        .size:           104
        .value_kind:     by_value
    .group_segment_fixed_size: 0
    .kernarg_segment_align: 8
    .kernarg_segment_size: 104
    .language:       OpenCL C
    .language_version:
      - 2
      - 0
    .max_flat_workgroup_size: 256
    .name:           _ZN7rocprim17ROCPRIM_400000_NS6detail17trampoline_kernelINS0_14default_configENS1_20scan_config_selectorIiEEZZNS1_9scan_implILNS1_25lookback_scan_determinismE0ELb1ELb1ES3_N6thrust23THRUST_200600_302600_NS6detail15normal_iteratorINS9_10device_ptrIiEEEENS9_16discard_iteratorINS9_11use_defaultEEEiNS9_4plusIvEEiEEDaPvRmT3_T4_T5_mT6_P12ihipStream_tbENKUlT_T0_E_clISt17integral_constantIbLb0EESW_IbLb1EEEEDaSS_ST_EUlSS_E_NS1_11comp_targetILNS1_3genE9ELNS1_11target_archE1100ELNS1_3gpuE3ELNS1_3repE0EEENS1_30default_config_static_selectorELNS0_4arch9wavefront6targetE1EEEvT1_
    .private_segment_fixed_size: 0
    .sgpr_count:     4
    .sgpr_spill_count: 0
    .symbol:         _ZN7rocprim17ROCPRIM_400000_NS6detail17trampoline_kernelINS0_14default_configENS1_20scan_config_selectorIiEEZZNS1_9scan_implILNS1_25lookback_scan_determinismE0ELb1ELb1ES3_N6thrust23THRUST_200600_302600_NS6detail15normal_iteratorINS9_10device_ptrIiEEEENS9_16discard_iteratorINS9_11use_defaultEEEiNS9_4plusIvEEiEEDaPvRmT3_T4_T5_mT6_P12ihipStream_tbENKUlT_T0_E_clISt17integral_constantIbLb0EESW_IbLb1EEEEDaSS_ST_EUlSS_E_NS1_11comp_targetILNS1_3genE9ELNS1_11target_archE1100ELNS1_3gpuE3ELNS1_3repE0EEENS1_30default_config_static_selectorELNS0_4arch9wavefront6targetE1EEEvT1_.kd
    .uniform_work_group_size: 1
    .uses_dynamic_stack: false
    .vgpr_count:     0
    .vgpr_spill_count: 0
    .wavefront_size: 64
  - .agpr_count:     0
    .args:
      - .offset:         0
        .size:           104
        .value_kind:     by_value
    .group_segment_fixed_size: 0
    .kernarg_segment_align: 8
    .kernarg_segment_size: 104
    .language:       OpenCL C
    .language_version:
      - 2
      - 0
    .max_flat_workgroup_size: 64
    .name:           _ZN7rocprim17ROCPRIM_400000_NS6detail17trampoline_kernelINS0_14default_configENS1_20scan_config_selectorIiEEZZNS1_9scan_implILNS1_25lookback_scan_determinismE0ELb1ELb1ES3_N6thrust23THRUST_200600_302600_NS6detail15normal_iteratorINS9_10device_ptrIiEEEENS9_16discard_iteratorINS9_11use_defaultEEEiNS9_4plusIvEEiEEDaPvRmT3_T4_T5_mT6_P12ihipStream_tbENKUlT_T0_E_clISt17integral_constantIbLb0EESW_IbLb1EEEEDaSS_ST_EUlSS_E_NS1_11comp_targetILNS1_3genE8ELNS1_11target_archE1030ELNS1_3gpuE2ELNS1_3repE0EEENS1_30default_config_static_selectorELNS0_4arch9wavefront6targetE1EEEvT1_
    .private_segment_fixed_size: 0
    .sgpr_count:     4
    .sgpr_spill_count: 0
    .symbol:         _ZN7rocprim17ROCPRIM_400000_NS6detail17trampoline_kernelINS0_14default_configENS1_20scan_config_selectorIiEEZZNS1_9scan_implILNS1_25lookback_scan_determinismE0ELb1ELb1ES3_N6thrust23THRUST_200600_302600_NS6detail15normal_iteratorINS9_10device_ptrIiEEEENS9_16discard_iteratorINS9_11use_defaultEEEiNS9_4plusIvEEiEEDaPvRmT3_T4_T5_mT6_P12ihipStream_tbENKUlT_T0_E_clISt17integral_constantIbLb0EESW_IbLb1EEEEDaSS_ST_EUlSS_E_NS1_11comp_targetILNS1_3genE8ELNS1_11target_archE1030ELNS1_3gpuE2ELNS1_3repE0EEENS1_30default_config_static_selectorELNS0_4arch9wavefront6targetE1EEEvT1_.kd
    .uniform_work_group_size: 1
    .uses_dynamic_stack: false
    .vgpr_count:     0
    .vgpr_spill_count: 0
    .wavefront_size: 64
  - .agpr_count:     0
    .args:
      - .offset:         0
        .size:           40
        .value_kind:     by_value
    .group_segment_fixed_size: 0
    .kernarg_segment_align: 8
    .kernarg_segment_size: 40
    .language:       OpenCL C
    .language_version:
      - 2
      - 0
    .max_flat_workgroup_size: 256
    .name:           _ZN7rocprim17ROCPRIM_400000_NS6detail17trampoline_kernelINS0_14default_configENS1_20scan_config_selectorIiEEZZNS1_9scan_implILNS1_25lookback_scan_determinismE0ELb1ELb1ES3_N6thrust23THRUST_200600_302600_NS6detail15normal_iteratorINS9_10device_ptrIiEEEENS9_16discard_iteratorINS9_11use_defaultEEEiNS9_4plusIvEEiEEDaPvRmT3_T4_T5_mT6_P12ihipStream_tbENKUlT_T0_E_clISt17integral_constantIbLb0EESW_IbLb1EEEEDaSS_ST_EUlSS_E0_NS1_11comp_targetILNS1_3genE0ELNS1_11target_archE4294967295ELNS1_3gpuE0ELNS1_3repE0EEENS1_30default_config_static_selectorELNS0_4arch9wavefront6targetE1EEEvT1_
    .private_segment_fixed_size: 0
    .sgpr_count:     4
    .sgpr_spill_count: 0
    .symbol:         _ZN7rocprim17ROCPRIM_400000_NS6detail17trampoline_kernelINS0_14default_configENS1_20scan_config_selectorIiEEZZNS1_9scan_implILNS1_25lookback_scan_determinismE0ELb1ELb1ES3_N6thrust23THRUST_200600_302600_NS6detail15normal_iteratorINS9_10device_ptrIiEEEENS9_16discard_iteratorINS9_11use_defaultEEEiNS9_4plusIvEEiEEDaPvRmT3_T4_T5_mT6_P12ihipStream_tbENKUlT_T0_E_clISt17integral_constantIbLb0EESW_IbLb1EEEEDaSS_ST_EUlSS_E0_NS1_11comp_targetILNS1_3genE0ELNS1_11target_archE4294967295ELNS1_3gpuE0ELNS1_3repE0EEENS1_30default_config_static_selectorELNS0_4arch9wavefront6targetE1EEEvT1_.kd
    .uniform_work_group_size: 1
    .uses_dynamic_stack: false
    .vgpr_count:     0
    .vgpr_spill_count: 0
    .wavefront_size: 64
  - .agpr_count:     0
    .args:
      - .offset:         0
        .size:           40
        .value_kind:     by_value
    .group_segment_fixed_size: 0
    .kernarg_segment_align: 8
    .kernarg_segment_size: 40
    .language:       OpenCL C
    .language_version:
      - 2
      - 0
    .max_flat_workgroup_size: 256
    .name:           _ZN7rocprim17ROCPRIM_400000_NS6detail17trampoline_kernelINS0_14default_configENS1_20scan_config_selectorIiEEZZNS1_9scan_implILNS1_25lookback_scan_determinismE0ELb1ELb1ES3_N6thrust23THRUST_200600_302600_NS6detail15normal_iteratorINS9_10device_ptrIiEEEENS9_16discard_iteratorINS9_11use_defaultEEEiNS9_4plusIvEEiEEDaPvRmT3_T4_T5_mT6_P12ihipStream_tbENKUlT_T0_E_clISt17integral_constantIbLb0EESW_IbLb1EEEEDaSS_ST_EUlSS_E0_NS1_11comp_targetILNS1_3genE5ELNS1_11target_archE942ELNS1_3gpuE9ELNS1_3repE0EEENS1_30default_config_static_selectorELNS0_4arch9wavefront6targetE1EEEvT1_
    .private_segment_fixed_size: 0
    .sgpr_count:     4
    .sgpr_spill_count: 0
    .symbol:         _ZN7rocprim17ROCPRIM_400000_NS6detail17trampoline_kernelINS0_14default_configENS1_20scan_config_selectorIiEEZZNS1_9scan_implILNS1_25lookback_scan_determinismE0ELb1ELb1ES3_N6thrust23THRUST_200600_302600_NS6detail15normal_iteratorINS9_10device_ptrIiEEEENS9_16discard_iteratorINS9_11use_defaultEEEiNS9_4plusIvEEiEEDaPvRmT3_T4_T5_mT6_P12ihipStream_tbENKUlT_T0_E_clISt17integral_constantIbLb0EESW_IbLb1EEEEDaSS_ST_EUlSS_E0_NS1_11comp_targetILNS1_3genE5ELNS1_11target_archE942ELNS1_3gpuE9ELNS1_3repE0EEENS1_30default_config_static_selectorELNS0_4arch9wavefront6targetE1EEEvT1_.kd
    .uniform_work_group_size: 1
    .uses_dynamic_stack: false
    .vgpr_count:     0
    .vgpr_spill_count: 0
    .wavefront_size: 64
  - .agpr_count:     0
    .args:
      - .offset:         0
        .size:           40
        .value_kind:     by_value
    .group_segment_fixed_size: 5120
    .kernarg_segment_align: 8
    .kernarg_segment_size: 40
    .language:       OpenCL C
    .language_version:
      - 2
      - 0
    .max_flat_workgroup_size: 128
    .name:           _ZN7rocprim17ROCPRIM_400000_NS6detail17trampoline_kernelINS0_14default_configENS1_20scan_config_selectorIiEEZZNS1_9scan_implILNS1_25lookback_scan_determinismE0ELb1ELb1ES3_N6thrust23THRUST_200600_302600_NS6detail15normal_iteratorINS9_10device_ptrIiEEEENS9_16discard_iteratorINS9_11use_defaultEEEiNS9_4plusIvEEiEEDaPvRmT3_T4_T5_mT6_P12ihipStream_tbENKUlT_T0_E_clISt17integral_constantIbLb0EESW_IbLb1EEEEDaSS_ST_EUlSS_E0_NS1_11comp_targetILNS1_3genE4ELNS1_11target_archE910ELNS1_3gpuE8ELNS1_3repE0EEENS1_30default_config_static_selectorELNS0_4arch9wavefront6targetE1EEEvT1_
    .private_segment_fixed_size: 0
    .sgpr_count:     12
    .sgpr_spill_count: 0
    .symbol:         _ZN7rocprim17ROCPRIM_400000_NS6detail17trampoline_kernelINS0_14default_configENS1_20scan_config_selectorIiEEZZNS1_9scan_implILNS1_25lookback_scan_determinismE0ELb1ELb1ES3_N6thrust23THRUST_200600_302600_NS6detail15normal_iteratorINS9_10device_ptrIiEEEENS9_16discard_iteratorINS9_11use_defaultEEEiNS9_4plusIvEEiEEDaPvRmT3_T4_T5_mT6_P12ihipStream_tbENKUlT_T0_E_clISt17integral_constantIbLb0EESW_IbLb1EEEEDaSS_ST_EUlSS_E0_NS1_11comp_targetILNS1_3genE4ELNS1_11target_archE910ELNS1_3gpuE8ELNS1_3repE0EEENS1_30default_config_static_selectorELNS0_4arch9wavefront6targetE1EEEvT1_.kd
    .uniform_work_group_size: 1
    .uses_dynamic_stack: false
    .vgpr_count:     18
    .vgpr_spill_count: 0
    .wavefront_size: 64
  - .agpr_count:     0
    .args:
      - .offset:         0
        .size:           40
        .value_kind:     by_value
    .group_segment_fixed_size: 0
    .kernarg_segment_align: 8
    .kernarg_segment_size: 40
    .language:       OpenCL C
    .language_version:
      - 2
      - 0
    .max_flat_workgroup_size: 256
    .name:           _ZN7rocprim17ROCPRIM_400000_NS6detail17trampoline_kernelINS0_14default_configENS1_20scan_config_selectorIiEEZZNS1_9scan_implILNS1_25lookback_scan_determinismE0ELb1ELb1ES3_N6thrust23THRUST_200600_302600_NS6detail15normal_iteratorINS9_10device_ptrIiEEEENS9_16discard_iteratorINS9_11use_defaultEEEiNS9_4plusIvEEiEEDaPvRmT3_T4_T5_mT6_P12ihipStream_tbENKUlT_T0_E_clISt17integral_constantIbLb0EESW_IbLb1EEEEDaSS_ST_EUlSS_E0_NS1_11comp_targetILNS1_3genE3ELNS1_11target_archE908ELNS1_3gpuE7ELNS1_3repE0EEENS1_30default_config_static_selectorELNS0_4arch9wavefront6targetE1EEEvT1_
    .private_segment_fixed_size: 0
    .sgpr_count:     4
    .sgpr_spill_count: 0
    .symbol:         _ZN7rocprim17ROCPRIM_400000_NS6detail17trampoline_kernelINS0_14default_configENS1_20scan_config_selectorIiEEZZNS1_9scan_implILNS1_25lookback_scan_determinismE0ELb1ELb1ES3_N6thrust23THRUST_200600_302600_NS6detail15normal_iteratorINS9_10device_ptrIiEEEENS9_16discard_iteratorINS9_11use_defaultEEEiNS9_4plusIvEEiEEDaPvRmT3_T4_T5_mT6_P12ihipStream_tbENKUlT_T0_E_clISt17integral_constantIbLb0EESW_IbLb1EEEEDaSS_ST_EUlSS_E0_NS1_11comp_targetILNS1_3genE3ELNS1_11target_archE908ELNS1_3gpuE7ELNS1_3repE0EEENS1_30default_config_static_selectorELNS0_4arch9wavefront6targetE1EEEvT1_.kd
    .uniform_work_group_size: 1
    .uses_dynamic_stack: false
    .vgpr_count:     0
    .vgpr_spill_count: 0
    .wavefront_size: 64
  - .agpr_count:     0
    .args:
      - .offset:         0
        .size:           40
        .value_kind:     by_value
    .group_segment_fixed_size: 0
    .kernarg_segment_align: 8
    .kernarg_segment_size: 40
    .language:       OpenCL C
    .language_version:
      - 2
      - 0
    .max_flat_workgroup_size: 256
    .name:           _ZN7rocprim17ROCPRIM_400000_NS6detail17trampoline_kernelINS0_14default_configENS1_20scan_config_selectorIiEEZZNS1_9scan_implILNS1_25lookback_scan_determinismE0ELb1ELb1ES3_N6thrust23THRUST_200600_302600_NS6detail15normal_iteratorINS9_10device_ptrIiEEEENS9_16discard_iteratorINS9_11use_defaultEEEiNS9_4plusIvEEiEEDaPvRmT3_T4_T5_mT6_P12ihipStream_tbENKUlT_T0_E_clISt17integral_constantIbLb0EESW_IbLb1EEEEDaSS_ST_EUlSS_E0_NS1_11comp_targetILNS1_3genE2ELNS1_11target_archE906ELNS1_3gpuE6ELNS1_3repE0EEENS1_30default_config_static_selectorELNS0_4arch9wavefront6targetE1EEEvT1_
    .private_segment_fixed_size: 0
    .sgpr_count:     4
    .sgpr_spill_count: 0
    .symbol:         _ZN7rocprim17ROCPRIM_400000_NS6detail17trampoline_kernelINS0_14default_configENS1_20scan_config_selectorIiEEZZNS1_9scan_implILNS1_25lookback_scan_determinismE0ELb1ELb1ES3_N6thrust23THRUST_200600_302600_NS6detail15normal_iteratorINS9_10device_ptrIiEEEENS9_16discard_iteratorINS9_11use_defaultEEEiNS9_4plusIvEEiEEDaPvRmT3_T4_T5_mT6_P12ihipStream_tbENKUlT_T0_E_clISt17integral_constantIbLb0EESW_IbLb1EEEEDaSS_ST_EUlSS_E0_NS1_11comp_targetILNS1_3genE2ELNS1_11target_archE906ELNS1_3gpuE6ELNS1_3repE0EEENS1_30default_config_static_selectorELNS0_4arch9wavefront6targetE1EEEvT1_.kd
    .uniform_work_group_size: 1
    .uses_dynamic_stack: false
    .vgpr_count:     0
    .vgpr_spill_count: 0
    .wavefront_size: 64
  - .agpr_count:     0
    .args:
      - .offset:         0
        .size:           40
        .value_kind:     by_value
    .group_segment_fixed_size: 0
    .kernarg_segment_align: 8
    .kernarg_segment_size: 40
    .language:       OpenCL C
    .language_version:
      - 2
      - 0
    .max_flat_workgroup_size: 256
    .name:           _ZN7rocprim17ROCPRIM_400000_NS6detail17trampoline_kernelINS0_14default_configENS1_20scan_config_selectorIiEEZZNS1_9scan_implILNS1_25lookback_scan_determinismE0ELb1ELb1ES3_N6thrust23THRUST_200600_302600_NS6detail15normal_iteratorINS9_10device_ptrIiEEEENS9_16discard_iteratorINS9_11use_defaultEEEiNS9_4plusIvEEiEEDaPvRmT3_T4_T5_mT6_P12ihipStream_tbENKUlT_T0_E_clISt17integral_constantIbLb0EESW_IbLb1EEEEDaSS_ST_EUlSS_E0_NS1_11comp_targetILNS1_3genE10ELNS1_11target_archE1201ELNS1_3gpuE5ELNS1_3repE0EEENS1_30default_config_static_selectorELNS0_4arch9wavefront6targetE1EEEvT1_
    .private_segment_fixed_size: 0
    .sgpr_count:     4
    .sgpr_spill_count: 0
    .symbol:         _ZN7rocprim17ROCPRIM_400000_NS6detail17trampoline_kernelINS0_14default_configENS1_20scan_config_selectorIiEEZZNS1_9scan_implILNS1_25lookback_scan_determinismE0ELb1ELb1ES3_N6thrust23THRUST_200600_302600_NS6detail15normal_iteratorINS9_10device_ptrIiEEEENS9_16discard_iteratorINS9_11use_defaultEEEiNS9_4plusIvEEiEEDaPvRmT3_T4_T5_mT6_P12ihipStream_tbENKUlT_T0_E_clISt17integral_constantIbLb0EESW_IbLb1EEEEDaSS_ST_EUlSS_E0_NS1_11comp_targetILNS1_3genE10ELNS1_11target_archE1201ELNS1_3gpuE5ELNS1_3repE0EEENS1_30default_config_static_selectorELNS0_4arch9wavefront6targetE1EEEvT1_.kd
    .uniform_work_group_size: 1
    .uses_dynamic_stack: false
    .vgpr_count:     0
    .vgpr_spill_count: 0
    .wavefront_size: 64
  - .agpr_count:     0
    .args:
      - .offset:         0
        .size:           40
        .value_kind:     by_value
    .group_segment_fixed_size: 0
    .kernarg_segment_align: 8
    .kernarg_segment_size: 40
    .language:       OpenCL C
    .language_version:
      - 2
      - 0
    .max_flat_workgroup_size: 256
    .name:           _ZN7rocprim17ROCPRIM_400000_NS6detail17trampoline_kernelINS0_14default_configENS1_20scan_config_selectorIiEEZZNS1_9scan_implILNS1_25lookback_scan_determinismE0ELb1ELb1ES3_N6thrust23THRUST_200600_302600_NS6detail15normal_iteratorINS9_10device_ptrIiEEEENS9_16discard_iteratorINS9_11use_defaultEEEiNS9_4plusIvEEiEEDaPvRmT3_T4_T5_mT6_P12ihipStream_tbENKUlT_T0_E_clISt17integral_constantIbLb0EESW_IbLb1EEEEDaSS_ST_EUlSS_E0_NS1_11comp_targetILNS1_3genE10ELNS1_11target_archE1200ELNS1_3gpuE4ELNS1_3repE0EEENS1_30default_config_static_selectorELNS0_4arch9wavefront6targetE1EEEvT1_
    .private_segment_fixed_size: 0
    .sgpr_count:     4
    .sgpr_spill_count: 0
    .symbol:         _ZN7rocprim17ROCPRIM_400000_NS6detail17trampoline_kernelINS0_14default_configENS1_20scan_config_selectorIiEEZZNS1_9scan_implILNS1_25lookback_scan_determinismE0ELb1ELb1ES3_N6thrust23THRUST_200600_302600_NS6detail15normal_iteratorINS9_10device_ptrIiEEEENS9_16discard_iteratorINS9_11use_defaultEEEiNS9_4plusIvEEiEEDaPvRmT3_T4_T5_mT6_P12ihipStream_tbENKUlT_T0_E_clISt17integral_constantIbLb0EESW_IbLb1EEEEDaSS_ST_EUlSS_E0_NS1_11comp_targetILNS1_3genE10ELNS1_11target_archE1200ELNS1_3gpuE4ELNS1_3repE0EEENS1_30default_config_static_selectorELNS0_4arch9wavefront6targetE1EEEvT1_.kd
    .uniform_work_group_size: 1
    .uses_dynamic_stack: false
    .vgpr_count:     0
    .vgpr_spill_count: 0
    .wavefront_size: 64
  - .agpr_count:     0
    .args:
      - .offset:         0
        .size:           40
        .value_kind:     by_value
    .group_segment_fixed_size: 0
    .kernarg_segment_align: 8
    .kernarg_segment_size: 40
    .language:       OpenCL C
    .language_version:
      - 2
      - 0
    .max_flat_workgroup_size: 256
    .name:           _ZN7rocprim17ROCPRIM_400000_NS6detail17trampoline_kernelINS0_14default_configENS1_20scan_config_selectorIiEEZZNS1_9scan_implILNS1_25lookback_scan_determinismE0ELb1ELb1ES3_N6thrust23THRUST_200600_302600_NS6detail15normal_iteratorINS9_10device_ptrIiEEEENS9_16discard_iteratorINS9_11use_defaultEEEiNS9_4plusIvEEiEEDaPvRmT3_T4_T5_mT6_P12ihipStream_tbENKUlT_T0_E_clISt17integral_constantIbLb0EESW_IbLb1EEEEDaSS_ST_EUlSS_E0_NS1_11comp_targetILNS1_3genE9ELNS1_11target_archE1100ELNS1_3gpuE3ELNS1_3repE0EEENS1_30default_config_static_selectorELNS0_4arch9wavefront6targetE1EEEvT1_
    .private_segment_fixed_size: 0
    .sgpr_count:     4
    .sgpr_spill_count: 0
    .symbol:         _ZN7rocprim17ROCPRIM_400000_NS6detail17trampoline_kernelINS0_14default_configENS1_20scan_config_selectorIiEEZZNS1_9scan_implILNS1_25lookback_scan_determinismE0ELb1ELb1ES3_N6thrust23THRUST_200600_302600_NS6detail15normal_iteratorINS9_10device_ptrIiEEEENS9_16discard_iteratorINS9_11use_defaultEEEiNS9_4plusIvEEiEEDaPvRmT3_T4_T5_mT6_P12ihipStream_tbENKUlT_T0_E_clISt17integral_constantIbLb0EESW_IbLb1EEEEDaSS_ST_EUlSS_E0_NS1_11comp_targetILNS1_3genE9ELNS1_11target_archE1100ELNS1_3gpuE3ELNS1_3repE0EEENS1_30default_config_static_selectorELNS0_4arch9wavefront6targetE1EEEvT1_.kd
    .uniform_work_group_size: 1
    .uses_dynamic_stack: false
    .vgpr_count:     0
    .vgpr_spill_count: 0
    .wavefront_size: 64
  - .agpr_count:     0
    .args:
      - .offset:         0
        .size:           40
        .value_kind:     by_value
    .group_segment_fixed_size: 0
    .kernarg_segment_align: 8
    .kernarg_segment_size: 40
    .language:       OpenCL C
    .language_version:
      - 2
      - 0
    .max_flat_workgroup_size: 64
    .name:           _ZN7rocprim17ROCPRIM_400000_NS6detail17trampoline_kernelINS0_14default_configENS1_20scan_config_selectorIiEEZZNS1_9scan_implILNS1_25lookback_scan_determinismE0ELb1ELb1ES3_N6thrust23THRUST_200600_302600_NS6detail15normal_iteratorINS9_10device_ptrIiEEEENS9_16discard_iteratorINS9_11use_defaultEEEiNS9_4plusIvEEiEEDaPvRmT3_T4_T5_mT6_P12ihipStream_tbENKUlT_T0_E_clISt17integral_constantIbLb0EESW_IbLb1EEEEDaSS_ST_EUlSS_E0_NS1_11comp_targetILNS1_3genE8ELNS1_11target_archE1030ELNS1_3gpuE2ELNS1_3repE0EEENS1_30default_config_static_selectorELNS0_4arch9wavefront6targetE1EEEvT1_
    .private_segment_fixed_size: 0
    .sgpr_count:     4
    .sgpr_spill_count: 0
    .symbol:         _ZN7rocprim17ROCPRIM_400000_NS6detail17trampoline_kernelINS0_14default_configENS1_20scan_config_selectorIiEEZZNS1_9scan_implILNS1_25lookback_scan_determinismE0ELb1ELb1ES3_N6thrust23THRUST_200600_302600_NS6detail15normal_iteratorINS9_10device_ptrIiEEEENS9_16discard_iteratorINS9_11use_defaultEEEiNS9_4plusIvEEiEEDaPvRmT3_T4_T5_mT6_P12ihipStream_tbENKUlT_T0_E_clISt17integral_constantIbLb0EESW_IbLb1EEEEDaSS_ST_EUlSS_E0_NS1_11comp_targetILNS1_3genE8ELNS1_11target_archE1030ELNS1_3gpuE2ELNS1_3repE0EEENS1_30default_config_static_selectorELNS0_4arch9wavefront6targetE1EEEvT1_.kd
    .uniform_work_group_size: 1
    .uses_dynamic_stack: false
    .vgpr_count:     0
    .vgpr_spill_count: 0
    .wavefront_size: 64
  - .agpr_count:     0
    .args:
      - .offset:         0
        .size:           104
        .value_kind:     by_value
    .group_segment_fixed_size: 0
    .kernarg_segment_align: 8
    .kernarg_segment_size: 104
    .language:       OpenCL C
    .language_version:
      - 2
      - 0
    .max_flat_workgroup_size: 128
    .name:           _ZN7rocprim17ROCPRIM_400000_NS6detail17trampoline_kernelINS0_14default_configENS1_20scan_config_selectorIsEEZZNS1_9scan_implILNS1_25lookback_scan_determinismE0ELb0ELb0ES3_N6thrust23THRUST_200600_302600_NS6detail15normal_iteratorINS9_10device_ptrIsEEEENS9_16discard_iteratorINS9_11use_defaultEEEsNS9_4plusIvEEsEEDaPvRmT3_T4_T5_mT6_P12ihipStream_tbENKUlT_T0_E_clISt17integral_constantIbLb0EESX_EEDaSS_ST_EUlSS_E_NS1_11comp_targetILNS1_3genE0ELNS1_11target_archE4294967295ELNS1_3gpuE0ELNS1_3repE0EEENS1_30default_config_static_selectorELNS0_4arch9wavefront6targetE1EEEvT1_
    .private_segment_fixed_size: 0
    .sgpr_count:     4
    .sgpr_spill_count: 0
    .symbol:         _ZN7rocprim17ROCPRIM_400000_NS6detail17trampoline_kernelINS0_14default_configENS1_20scan_config_selectorIsEEZZNS1_9scan_implILNS1_25lookback_scan_determinismE0ELb0ELb0ES3_N6thrust23THRUST_200600_302600_NS6detail15normal_iteratorINS9_10device_ptrIsEEEENS9_16discard_iteratorINS9_11use_defaultEEEsNS9_4plusIvEEsEEDaPvRmT3_T4_T5_mT6_P12ihipStream_tbENKUlT_T0_E_clISt17integral_constantIbLb0EESX_EEDaSS_ST_EUlSS_E_NS1_11comp_targetILNS1_3genE0ELNS1_11target_archE4294967295ELNS1_3gpuE0ELNS1_3repE0EEENS1_30default_config_static_selectorELNS0_4arch9wavefront6targetE1EEEvT1_.kd
    .uniform_work_group_size: 1
    .uses_dynamic_stack: false
    .vgpr_count:     0
    .vgpr_spill_count: 0
    .wavefront_size: 64
  - .agpr_count:     0
    .args:
      - .offset:         0
        .size:           104
        .value_kind:     by_value
    .group_segment_fixed_size: 0
    .kernarg_segment_align: 8
    .kernarg_segment_size: 104
    .language:       OpenCL C
    .language_version:
      - 2
      - 0
    .max_flat_workgroup_size: 256
    .name:           _ZN7rocprim17ROCPRIM_400000_NS6detail17trampoline_kernelINS0_14default_configENS1_20scan_config_selectorIsEEZZNS1_9scan_implILNS1_25lookback_scan_determinismE0ELb0ELb0ES3_N6thrust23THRUST_200600_302600_NS6detail15normal_iteratorINS9_10device_ptrIsEEEENS9_16discard_iteratorINS9_11use_defaultEEEsNS9_4plusIvEEsEEDaPvRmT3_T4_T5_mT6_P12ihipStream_tbENKUlT_T0_E_clISt17integral_constantIbLb0EESX_EEDaSS_ST_EUlSS_E_NS1_11comp_targetILNS1_3genE5ELNS1_11target_archE942ELNS1_3gpuE9ELNS1_3repE0EEENS1_30default_config_static_selectorELNS0_4arch9wavefront6targetE1EEEvT1_
    .private_segment_fixed_size: 0
    .sgpr_count:     4
    .sgpr_spill_count: 0
    .symbol:         _ZN7rocprim17ROCPRIM_400000_NS6detail17trampoline_kernelINS0_14default_configENS1_20scan_config_selectorIsEEZZNS1_9scan_implILNS1_25lookback_scan_determinismE0ELb0ELb0ES3_N6thrust23THRUST_200600_302600_NS6detail15normal_iteratorINS9_10device_ptrIsEEEENS9_16discard_iteratorINS9_11use_defaultEEEsNS9_4plusIvEEsEEDaPvRmT3_T4_T5_mT6_P12ihipStream_tbENKUlT_T0_E_clISt17integral_constantIbLb0EESX_EEDaSS_ST_EUlSS_E_NS1_11comp_targetILNS1_3genE5ELNS1_11target_archE942ELNS1_3gpuE9ELNS1_3repE0EEENS1_30default_config_static_selectorELNS0_4arch9wavefront6targetE1EEEvT1_.kd
    .uniform_work_group_size: 1
    .uses_dynamic_stack: false
    .vgpr_count:     0
    .vgpr_spill_count: 0
    .wavefront_size: 64
  - .agpr_count:     0
    .args:
      - .offset:         0
        .size:           104
        .value_kind:     by_value
    .group_segment_fixed_size: 3072
    .kernarg_segment_align: 8
    .kernarg_segment_size: 104
    .language:       OpenCL C
    .language_version:
      - 2
      - 0
    .max_flat_workgroup_size: 64
    .name:           _ZN7rocprim17ROCPRIM_400000_NS6detail17trampoline_kernelINS0_14default_configENS1_20scan_config_selectorIsEEZZNS1_9scan_implILNS1_25lookback_scan_determinismE0ELb0ELb0ES3_N6thrust23THRUST_200600_302600_NS6detail15normal_iteratorINS9_10device_ptrIsEEEENS9_16discard_iteratorINS9_11use_defaultEEEsNS9_4plusIvEEsEEDaPvRmT3_T4_T5_mT6_P12ihipStream_tbENKUlT_T0_E_clISt17integral_constantIbLb0EESX_EEDaSS_ST_EUlSS_E_NS1_11comp_targetILNS1_3genE4ELNS1_11target_archE910ELNS1_3gpuE8ELNS1_3repE0EEENS1_30default_config_static_selectorELNS0_4arch9wavefront6targetE1EEEvT1_
    .private_segment_fixed_size: 0
    .sgpr_count:     30
    .sgpr_spill_count: 0
    .symbol:         _ZN7rocprim17ROCPRIM_400000_NS6detail17trampoline_kernelINS0_14default_configENS1_20scan_config_selectorIsEEZZNS1_9scan_implILNS1_25lookback_scan_determinismE0ELb0ELb0ES3_N6thrust23THRUST_200600_302600_NS6detail15normal_iteratorINS9_10device_ptrIsEEEENS9_16discard_iteratorINS9_11use_defaultEEEsNS9_4plusIvEEsEEDaPvRmT3_T4_T5_mT6_P12ihipStream_tbENKUlT_T0_E_clISt17integral_constantIbLb0EESX_EEDaSS_ST_EUlSS_E_NS1_11comp_targetILNS1_3genE4ELNS1_11target_archE910ELNS1_3gpuE8ELNS1_3repE0EEENS1_30default_config_static_selectorELNS0_4arch9wavefront6targetE1EEEvT1_.kd
    .uniform_work_group_size: 1
    .uses_dynamic_stack: false
    .vgpr_count:     43
    .vgpr_spill_count: 0
    .wavefront_size: 64
  - .agpr_count:     0
    .args:
      - .offset:         0
        .size:           104
        .value_kind:     by_value
    .group_segment_fixed_size: 0
    .kernarg_segment_align: 8
    .kernarg_segment_size: 104
    .language:       OpenCL C
    .language_version:
      - 2
      - 0
    .max_flat_workgroup_size: 128
    .name:           _ZN7rocprim17ROCPRIM_400000_NS6detail17trampoline_kernelINS0_14default_configENS1_20scan_config_selectorIsEEZZNS1_9scan_implILNS1_25lookback_scan_determinismE0ELb0ELb0ES3_N6thrust23THRUST_200600_302600_NS6detail15normal_iteratorINS9_10device_ptrIsEEEENS9_16discard_iteratorINS9_11use_defaultEEEsNS9_4plusIvEEsEEDaPvRmT3_T4_T5_mT6_P12ihipStream_tbENKUlT_T0_E_clISt17integral_constantIbLb0EESX_EEDaSS_ST_EUlSS_E_NS1_11comp_targetILNS1_3genE3ELNS1_11target_archE908ELNS1_3gpuE7ELNS1_3repE0EEENS1_30default_config_static_selectorELNS0_4arch9wavefront6targetE1EEEvT1_
    .private_segment_fixed_size: 0
    .sgpr_count:     4
    .sgpr_spill_count: 0
    .symbol:         _ZN7rocprim17ROCPRIM_400000_NS6detail17trampoline_kernelINS0_14default_configENS1_20scan_config_selectorIsEEZZNS1_9scan_implILNS1_25lookback_scan_determinismE0ELb0ELb0ES3_N6thrust23THRUST_200600_302600_NS6detail15normal_iteratorINS9_10device_ptrIsEEEENS9_16discard_iteratorINS9_11use_defaultEEEsNS9_4plusIvEEsEEDaPvRmT3_T4_T5_mT6_P12ihipStream_tbENKUlT_T0_E_clISt17integral_constantIbLb0EESX_EEDaSS_ST_EUlSS_E_NS1_11comp_targetILNS1_3genE3ELNS1_11target_archE908ELNS1_3gpuE7ELNS1_3repE0EEENS1_30default_config_static_selectorELNS0_4arch9wavefront6targetE1EEEvT1_.kd
    .uniform_work_group_size: 1
    .uses_dynamic_stack: false
    .vgpr_count:     0
    .vgpr_spill_count: 0
    .wavefront_size: 64
  - .agpr_count:     0
    .args:
      - .offset:         0
        .size:           104
        .value_kind:     by_value
    .group_segment_fixed_size: 0
    .kernarg_segment_align: 8
    .kernarg_segment_size: 104
    .language:       OpenCL C
    .language_version:
      - 2
      - 0
    .max_flat_workgroup_size: 256
    .name:           _ZN7rocprim17ROCPRIM_400000_NS6detail17trampoline_kernelINS0_14default_configENS1_20scan_config_selectorIsEEZZNS1_9scan_implILNS1_25lookback_scan_determinismE0ELb0ELb0ES3_N6thrust23THRUST_200600_302600_NS6detail15normal_iteratorINS9_10device_ptrIsEEEENS9_16discard_iteratorINS9_11use_defaultEEEsNS9_4plusIvEEsEEDaPvRmT3_T4_T5_mT6_P12ihipStream_tbENKUlT_T0_E_clISt17integral_constantIbLb0EESX_EEDaSS_ST_EUlSS_E_NS1_11comp_targetILNS1_3genE2ELNS1_11target_archE906ELNS1_3gpuE6ELNS1_3repE0EEENS1_30default_config_static_selectorELNS0_4arch9wavefront6targetE1EEEvT1_
    .private_segment_fixed_size: 0
    .sgpr_count:     4
    .sgpr_spill_count: 0
    .symbol:         _ZN7rocprim17ROCPRIM_400000_NS6detail17trampoline_kernelINS0_14default_configENS1_20scan_config_selectorIsEEZZNS1_9scan_implILNS1_25lookback_scan_determinismE0ELb0ELb0ES3_N6thrust23THRUST_200600_302600_NS6detail15normal_iteratorINS9_10device_ptrIsEEEENS9_16discard_iteratorINS9_11use_defaultEEEsNS9_4plusIvEEsEEDaPvRmT3_T4_T5_mT6_P12ihipStream_tbENKUlT_T0_E_clISt17integral_constantIbLb0EESX_EEDaSS_ST_EUlSS_E_NS1_11comp_targetILNS1_3genE2ELNS1_11target_archE906ELNS1_3gpuE6ELNS1_3repE0EEENS1_30default_config_static_selectorELNS0_4arch9wavefront6targetE1EEEvT1_.kd
    .uniform_work_group_size: 1
    .uses_dynamic_stack: false
    .vgpr_count:     0
    .vgpr_spill_count: 0
    .wavefront_size: 64
  - .agpr_count:     0
    .args:
      - .offset:         0
        .size:           104
        .value_kind:     by_value
    .group_segment_fixed_size: 0
    .kernarg_segment_align: 8
    .kernarg_segment_size: 104
    .language:       OpenCL C
    .language_version:
      - 2
      - 0
    .max_flat_workgroup_size: 256
    .name:           _ZN7rocprim17ROCPRIM_400000_NS6detail17trampoline_kernelINS0_14default_configENS1_20scan_config_selectorIsEEZZNS1_9scan_implILNS1_25lookback_scan_determinismE0ELb0ELb0ES3_N6thrust23THRUST_200600_302600_NS6detail15normal_iteratorINS9_10device_ptrIsEEEENS9_16discard_iteratorINS9_11use_defaultEEEsNS9_4plusIvEEsEEDaPvRmT3_T4_T5_mT6_P12ihipStream_tbENKUlT_T0_E_clISt17integral_constantIbLb0EESX_EEDaSS_ST_EUlSS_E_NS1_11comp_targetILNS1_3genE10ELNS1_11target_archE1201ELNS1_3gpuE5ELNS1_3repE0EEENS1_30default_config_static_selectorELNS0_4arch9wavefront6targetE1EEEvT1_
    .private_segment_fixed_size: 0
    .sgpr_count:     4
    .sgpr_spill_count: 0
    .symbol:         _ZN7rocprim17ROCPRIM_400000_NS6detail17trampoline_kernelINS0_14default_configENS1_20scan_config_selectorIsEEZZNS1_9scan_implILNS1_25lookback_scan_determinismE0ELb0ELb0ES3_N6thrust23THRUST_200600_302600_NS6detail15normal_iteratorINS9_10device_ptrIsEEEENS9_16discard_iteratorINS9_11use_defaultEEEsNS9_4plusIvEEsEEDaPvRmT3_T4_T5_mT6_P12ihipStream_tbENKUlT_T0_E_clISt17integral_constantIbLb0EESX_EEDaSS_ST_EUlSS_E_NS1_11comp_targetILNS1_3genE10ELNS1_11target_archE1201ELNS1_3gpuE5ELNS1_3repE0EEENS1_30default_config_static_selectorELNS0_4arch9wavefront6targetE1EEEvT1_.kd
    .uniform_work_group_size: 1
    .uses_dynamic_stack: false
    .vgpr_count:     0
    .vgpr_spill_count: 0
    .wavefront_size: 64
  - .agpr_count:     0
    .args:
      - .offset:         0
        .size:           104
        .value_kind:     by_value
    .group_segment_fixed_size: 0
    .kernarg_segment_align: 8
    .kernarg_segment_size: 104
    .language:       OpenCL C
    .language_version:
      - 2
      - 0
    .max_flat_workgroup_size: 256
    .name:           _ZN7rocprim17ROCPRIM_400000_NS6detail17trampoline_kernelINS0_14default_configENS1_20scan_config_selectorIsEEZZNS1_9scan_implILNS1_25lookback_scan_determinismE0ELb0ELb0ES3_N6thrust23THRUST_200600_302600_NS6detail15normal_iteratorINS9_10device_ptrIsEEEENS9_16discard_iteratorINS9_11use_defaultEEEsNS9_4plusIvEEsEEDaPvRmT3_T4_T5_mT6_P12ihipStream_tbENKUlT_T0_E_clISt17integral_constantIbLb0EESX_EEDaSS_ST_EUlSS_E_NS1_11comp_targetILNS1_3genE10ELNS1_11target_archE1200ELNS1_3gpuE4ELNS1_3repE0EEENS1_30default_config_static_selectorELNS0_4arch9wavefront6targetE1EEEvT1_
    .private_segment_fixed_size: 0
    .sgpr_count:     4
    .sgpr_spill_count: 0
    .symbol:         _ZN7rocprim17ROCPRIM_400000_NS6detail17trampoline_kernelINS0_14default_configENS1_20scan_config_selectorIsEEZZNS1_9scan_implILNS1_25lookback_scan_determinismE0ELb0ELb0ES3_N6thrust23THRUST_200600_302600_NS6detail15normal_iteratorINS9_10device_ptrIsEEEENS9_16discard_iteratorINS9_11use_defaultEEEsNS9_4plusIvEEsEEDaPvRmT3_T4_T5_mT6_P12ihipStream_tbENKUlT_T0_E_clISt17integral_constantIbLb0EESX_EEDaSS_ST_EUlSS_E_NS1_11comp_targetILNS1_3genE10ELNS1_11target_archE1200ELNS1_3gpuE4ELNS1_3repE0EEENS1_30default_config_static_selectorELNS0_4arch9wavefront6targetE1EEEvT1_.kd
    .uniform_work_group_size: 1
    .uses_dynamic_stack: false
    .vgpr_count:     0
    .vgpr_spill_count: 0
    .wavefront_size: 64
  - .agpr_count:     0
    .args:
      - .offset:         0
        .size:           104
        .value_kind:     by_value
    .group_segment_fixed_size: 0
    .kernarg_segment_align: 8
    .kernarg_segment_size: 104
    .language:       OpenCL C
    .language_version:
      - 2
      - 0
    .max_flat_workgroup_size: 64
    .name:           _ZN7rocprim17ROCPRIM_400000_NS6detail17trampoline_kernelINS0_14default_configENS1_20scan_config_selectorIsEEZZNS1_9scan_implILNS1_25lookback_scan_determinismE0ELb0ELb0ES3_N6thrust23THRUST_200600_302600_NS6detail15normal_iteratorINS9_10device_ptrIsEEEENS9_16discard_iteratorINS9_11use_defaultEEEsNS9_4plusIvEEsEEDaPvRmT3_T4_T5_mT6_P12ihipStream_tbENKUlT_T0_E_clISt17integral_constantIbLb0EESX_EEDaSS_ST_EUlSS_E_NS1_11comp_targetILNS1_3genE9ELNS1_11target_archE1100ELNS1_3gpuE3ELNS1_3repE0EEENS1_30default_config_static_selectorELNS0_4arch9wavefront6targetE1EEEvT1_
    .private_segment_fixed_size: 0
    .sgpr_count:     4
    .sgpr_spill_count: 0
    .symbol:         _ZN7rocprim17ROCPRIM_400000_NS6detail17trampoline_kernelINS0_14default_configENS1_20scan_config_selectorIsEEZZNS1_9scan_implILNS1_25lookback_scan_determinismE0ELb0ELb0ES3_N6thrust23THRUST_200600_302600_NS6detail15normal_iteratorINS9_10device_ptrIsEEEENS9_16discard_iteratorINS9_11use_defaultEEEsNS9_4plusIvEEsEEDaPvRmT3_T4_T5_mT6_P12ihipStream_tbENKUlT_T0_E_clISt17integral_constantIbLb0EESX_EEDaSS_ST_EUlSS_E_NS1_11comp_targetILNS1_3genE9ELNS1_11target_archE1100ELNS1_3gpuE3ELNS1_3repE0EEENS1_30default_config_static_selectorELNS0_4arch9wavefront6targetE1EEEvT1_.kd
    .uniform_work_group_size: 1
    .uses_dynamic_stack: false
    .vgpr_count:     0
    .vgpr_spill_count: 0
    .wavefront_size: 64
  - .agpr_count:     0
    .args:
      - .offset:         0
        .size:           104
        .value_kind:     by_value
    .group_segment_fixed_size: 0
    .kernarg_segment_align: 8
    .kernarg_segment_size: 104
    .language:       OpenCL C
    .language_version:
      - 2
      - 0
    .max_flat_workgroup_size: 64
    .name:           _ZN7rocprim17ROCPRIM_400000_NS6detail17trampoline_kernelINS0_14default_configENS1_20scan_config_selectorIsEEZZNS1_9scan_implILNS1_25lookback_scan_determinismE0ELb0ELb0ES3_N6thrust23THRUST_200600_302600_NS6detail15normal_iteratorINS9_10device_ptrIsEEEENS9_16discard_iteratorINS9_11use_defaultEEEsNS9_4plusIvEEsEEDaPvRmT3_T4_T5_mT6_P12ihipStream_tbENKUlT_T0_E_clISt17integral_constantIbLb0EESX_EEDaSS_ST_EUlSS_E_NS1_11comp_targetILNS1_3genE8ELNS1_11target_archE1030ELNS1_3gpuE2ELNS1_3repE0EEENS1_30default_config_static_selectorELNS0_4arch9wavefront6targetE1EEEvT1_
    .private_segment_fixed_size: 0
    .sgpr_count:     4
    .sgpr_spill_count: 0
    .symbol:         _ZN7rocprim17ROCPRIM_400000_NS6detail17trampoline_kernelINS0_14default_configENS1_20scan_config_selectorIsEEZZNS1_9scan_implILNS1_25lookback_scan_determinismE0ELb0ELb0ES3_N6thrust23THRUST_200600_302600_NS6detail15normal_iteratorINS9_10device_ptrIsEEEENS9_16discard_iteratorINS9_11use_defaultEEEsNS9_4plusIvEEsEEDaPvRmT3_T4_T5_mT6_P12ihipStream_tbENKUlT_T0_E_clISt17integral_constantIbLb0EESX_EEDaSS_ST_EUlSS_E_NS1_11comp_targetILNS1_3genE8ELNS1_11target_archE1030ELNS1_3gpuE2ELNS1_3repE0EEENS1_30default_config_static_selectorELNS0_4arch9wavefront6targetE1EEEvT1_.kd
    .uniform_work_group_size: 1
    .uses_dynamic_stack: false
    .vgpr_count:     0
    .vgpr_spill_count: 0
    .wavefront_size: 64
  - .agpr_count:     0
    .args:
      - .offset:         0
        .size:           40
        .value_kind:     by_value
    .group_segment_fixed_size: 0
    .kernarg_segment_align: 8
    .kernarg_segment_size: 40
    .language:       OpenCL C
    .language_version:
      - 2
      - 0
    .max_flat_workgroup_size: 128
    .name:           _ZN7rocprim17ROCPRIM_400000_NS6detail17trampoline_kernelINS0_14default_configENS1_20scan_config_selectorIsEEZZNS1_9scan_implILNS1_25lookback_scan_determinismE0ELb0ELb0ES3_N6thrust23THRUST_200600_302600_NS6detail15normal_iteratorINS9_10device_ptrIsEEEENS9_16discard_iteratorINS9_11use_defaultEEEsNS9_4plusIvEEsEEDaPvRmT3_T4_T5_mT6_P12ihipStream_tbENKUlT_T0_E_clISt17integral_constantIbLb0EESX_EEDaSS_ST_EUlSS_E0_NS1_11comp_targetILNS1_3genE0ELNS1_11target_archE4294967295ELNS1_3gpuE0ELNS1_3repE0EEENS1_30default_config_static_selectorELNS0_4arch9wavefront6targetE1EEEvT1_
    .private_segment_fixed_size: 0
    .sgpr_count:     4
    .sgpr_spill_count: 0
    .symbol:         _ZN7rocprim17ROCPRIM_400000_NS6detail17trampoline_kernelINS0_14default_configENS1_20scan_config_selectorIsEEZZNS1_9scan_implILNS1_25lookback_scan_determinismE0ELb0ELb0ES3_N6thrust23THRUST_200600_302600_NS6detail15normal_iteratorINS9_10device_ptrIsEEEENS9_16discard_iteratorINS9_11use_defaultEEEsNS9_4plusIvEEsEEDaPvRmT3_T4_T5_mT6_P12ihipStream_tbENKUlT_T0_E_clISt17integral_constantIbLb0EESX_EEDaSS_ST_EUlSS_E0_NS1_11comp_targetILNS1_3genE0ELNS1_11target_archE4294967295ELNS1_3gpuE0ELNS1_3repE0EEENS1_30default_config_static_selectorELNS0_4arch9wavefront6targetE1EEEvT1_.kd
    .uniform_work_group_size: 1
    .uses_dynamic_stack: false
    .vgpr_count:     0
    .vgpr_spill_count: 0
    .wavefront_size: 64
  - .agpr_count:     0
    .args:
      - .offset:         0
        .size:           40
        .value_kind:     by_value
    .group_segment_fixed_size: 0
    .kernarg_segment_align: 8
    .kernarg_segment_size: 40
    .language:       OpenCL C
    .language_version:
      - 2
      - 0
    .max_flat_workgroup_size: 256
    .name:           _ZN7rocprim17ROCPRIM_400000_NS6detail17trampoline_kernelINS0_14default_configENS1_20scan_config_selectorIsEEZZNS1_9scan_implILNS1_25lookback_scan_determinismE0ELb0ELb0ES3_N6thrust23THRUST_200600_302600_NS6detail15normal_iteratorINS9_10device_ptrIsEEEENS9_16discard_iteratorINS9_11use_defaultEEEsNS9_4plusIvEEsEEDaPvRmT3_T4_T5_mT6_P12ihipStream_tbENKUlT_T0_E_clISt17integral_constantIbLb0EESX_EEDaSS_ST_EUlSS_E0_NS1_11comp_targetILNS1_3genE5ELNS1_11target_archE942ELNS1_3gpuE9ELNS1_3repE0EEENS1_30default_config_static_selectorELNS0_4arch9wavefront6targetE1EEEvT1_
    .private_segment_fixed_size: 0
    .sgpr_count:     4
    .sgpr_spill_count: 0
    .symbol:         _ZN7rocprim17ROCPRIM_400000_NS6detail17trampoline_kernelINS0_14default_configENS1_20scan_config_selectorIsEEZZNS1_9scan_implILNS1_25lookback_scan_determinismE0ELb0ELb0ES3_N6thrust23THRUST_200600_302600_NS6detail15normal_iteratorINS9_10device_ptrIsEEEENS9_16discard_iteratorINS9_11use_defaultEEEsNS9_4plusIvEEsEEDaPvRmT3_T4_T5_mT6_P12ihipStream_tbENKUlT_T0_E_clISt17integral_constantIbLb0EESX_EEDaSS_ST_EUlSS_E0_NS1_11comp_targetILNS1_3genE5ELNS1_11target_archE942ELNS1_3gpuE9ELNS1_3repE0EEENS1_30default_config_static_selectorELNS0_4arch9wavefront6targetE1EEEvT1_.kd
    .uniform_work_group_size: 1
    .uses_dynamic_stack: false
    .vgpr_count:     0
    .vgpr_spill_count: 0
    .wavefront_size: 64
  - .agpr_count:     0
    .args:
      - .offset:         0
        .size:           40
        .value_kind:     by_value
    .group_segment_fixed_size: 3072
    .kernarg_segment_align: 8
    .kernarg_segment_size: 40
    .language:       OpenCL C
    .language_version:
      - 2
      - 0
    .max_flat_workgroup_size: 64
    .name:           _ZN7rocprim17ROCPRIM_400000_NS6detail17trampoline_kernelINS0_14default_configENS1_20scan_config_selectorIsEEZZNS1_9scan_implILNS1_25lookback_scan_determinismE0ELb0ELb0ES3_N6thrust23THRUST_200600_302600_NS6detail15normal_iteratorINS9_10device_ptrIsEEEENS9_16discard_iteratorINS9_11use_defaultEEEsNS9_4plusIvEEsEEDaPvRmT3_T4_T5_mT6_P12ihipStream_tbENKUlT_T0_E_clISt17integral_constantIbLb0EESX_EEDaSS_ST_EUlSS_E0_NS1_11comp_targetILNS1_3genE4ELNS1_11target_archE910ELNS1_3gpuE8ELNS1_3repE0EEENS1_30default_config_static_selectorELNS0_4arch9wavefront6targetE1EEEvT1_
    .private_segment_fixed_size: 0
    .sgpr_count:     10
    .sgpr_spill_count: 0
    .symbol:         _ZN7rocprim17ROCPRIM_400000_NS6detail17trampoline_kernelINS0_14default_configENS1_20scan_config_selectorIsEEZZNS1_9scan_implILNS1_25lookback_scan_determinismE0ELb0ELb0ES3_N6thrust23THRUST_200600_302600_NS6detail15normal_iteratorINS9_10device_ptrIsEEEENS9_16discard_iteratorINS9_11use_defaultEEEsNS9_4plusIvEEsEEDaPvRmT3_T4_T5_mT6_P12ihipStream_tbENKUlT_T0_E_clISt17integral_constantIbLb0EESX_EEDaSS_ST_EUlSS_E0_NS1_11comp_targetILNS1_3genE4ELNS1_11target_archE910ELNS1_3gpuE8ELNS1_3repE0EEENS1_30default_config_static_selectorELNS0_4arch9wavefront6targetE1EEEvT1_.kd
    .uniform_work_group_size: 1
    .uses_dynamic_stack: false
    .vgpr_count:     41
    .vgpr_spill_count: 0
    .wavefront_size: 64
  - .agpr_count:     0
    .args:
      - .offset:         0
        .size:           40
        .value_kind:     by_value
    .group_segment_fixed_size: 0
    .kernarg_segment_align: 8
    .kernarg_segment_size: 40
    .language:       OpenCL C
    .language_version:
      - 2
      - 0
    .max_flat_workgroup_size: 128
    .name:           _ZN7rocprim17ROCPRIM_400000_NS6detail17trampoline_kernelINS0_14default_configENS1_20scan_config_selectorIsEEZZNS1_9scan_implILNS1_25lookback_scan_determinismE0ELb0ELb0ES3_N6thrust23THRUST_200600_302600_NS6detail15normal_iteratorINS9_10device_ptrIsEEEENS9_16discard_iteratorINS9_11use_defaultEEEsNS9_4plusIvEEsEEDaPvRmT3_T4_T5_mT6_P12ihipStream_tbENKUlT_T0_E_clISt17integral_constantIbLb0EESX_EEDaSS_ST_EUlSS_E0_NS1_11comp_targetILNS1_3genE3ELNS1_11target_archE908ELNS1_3gpuE7ELNS1_3repE0EEENS1_30default_config_static_selectorELNS0_4arch9wavefront6targetE1EEEvT1_
    .private_segment_fixed_size: 0
    .sgpr_count:     4
    .sgpr_spill_count: 0
    .symbol:         _ZN7rocprim17ROCPRIM_400000_NS6detail17trampoline_kernelINS0_14default_configENS1_20scan_config_selectorIsEEZZNS1_9scan_implILNS1_25lookback_scan_determinismE0ELb0ELb0ES3_N6thrust23THRUST_200600_302600_NS6detail15normal_iteratorINS9_10device_ptrIsEEEENS9_16discard_iteratorINS9_11use_defaultEEEsNS9_4plusIvEEsEEDaPvRmT3_T4_T5_mT6_P12ihipStream_tbENKUlT_T0_E_clISt17integral_constantIbLb0EESX_EEDaSS_ST_EUlSS_E0_NS1_11comp_targetILNS1_3genE3ELNS1_11target_archE908ELNS1_3gpuE7ELNS1_3repE0EEENS1_30default_config_static_selectorELNS0_4arch9wavefront6targetE1EEEvT1_.kd
    .uniform_work_group_size: 1
    .uses_dynamic_stack: false
    .vgpr_count:     0
    .vgpr_spill_count: 0
    .wavefront_size: 64
  - .agpr_count:     0
    .args:
      - .offset:         0
        .size:           40
        .value_kind:     by_value
    .group_segment_fixed_size: 0
    .kernarg_segment_align: 8
    .kernarg_segment_size: 40
    .language:       OpenCL C
    .language_version:
      - 2
      - 0
    .max_flat_workgroup_size: 256
    .name:           _ZN7rocprim17ROCPRIM_400000_NS6detail17trampoline_kernelINS0_14default_configENS1_20scan_config_selectorIsEEZZNS1_9scan_implILNS1_25lookback_scan_determinismE0ELb0ELb0ES3_N6thrust23THRUST_200600_302600_NS6detail15normal_iteratorINS9_10device_ptrIsEEEENS9_16discard_iteratorINS9_11use_defaultEEEsNS9_4plusIvEEsEEDaPvRmT3_T4_T5_mT6_P12ihipStream_tbENKUlT_T0_E_clISt17integral_constantIbLb0EESX_EEDaSS_ST_EUlSS_E0_NS1_11comp_targetILNS1_3genE2ELNS1_11target_archE906ELNS1_3gpuE6ELNS1_3repE0EEENS1_30default_config_static_selectorELNS0_4arch9wavefront6targetE1EEEvT1_
    .private_segment_fixed_size: 0
    .sgpr_count:     4
    .sgpr_spill_count: 0
    .symbol:         _ZN7rocprim17ROCPRIM_400000_NS6detail17trampoline_kernelINS0_14default_configENS1_20scan_config_selectorIsEEZZNS1_9scan_implILNS1_25lookback_scan_determinismE0ELb0ELb0ES3_N6thrust23THRUST_200600_302600_NS6detail15normal_iteratorINS9_10device_ptrIsEEEENS9_16discard_iteratorINS9_11use_defaultEEEsNS9_4plusIvEEsEEDaPvRmT3_T4_T5_mT6_P12ihipStream_tbENKUlT_T0_E_clISt17integral_constantIbLb0EESX_EEDaSS_ST_EUlSS_E0_NS1_11comp_targetILNS1_3genE2ELNS1_11target_archE906ELNS1_3gpuE6ELNS1_3repE0EEENS1_30default_config_static_selectorELNS0_4arch9wavefront6targetE1EEEvT1_.kd
    .uniform_work_group_size: 1
    .uses_dynamic_stack: false
    .vgpr_count:     0
    .vgpr_spill_count: 0
    .wavefront_size: 64
  - .agpr_count:     0
    .args:
      - .offset:         0
        .size:           40
        .value_kind:     by_value
    .group_segment_fixed_size: 0
    .kernarg_segment_align: 8
    .kernarg_segment_size: 40
    .language:       OpenCL C
    .language_version:
      - 2
      - 0
    .max_flat_workgroup_size: 256
    .name:           _ZN7rocprim17ROCPRIM_400000_NS6detail17trampoline_kernelINS0_14default_configENS1_20scan_config_selectorIsEEZZNS1_9scan_implILNS1_25lookback_scan_determinismE0ELb0ELb0ES3_N6thrust23THRUST_200600_302600_NS6detail15normal_iteratorINS9_10device_ptrIsEEEENS9_16discard_iteratorINS9_11use_defaultEEEsNS9_4plusIvEEsEEDaPvRmT3_T4_T5_mT6_P12ihipStream_tbENKUlT_T0_E_clISt17integral_constantIbLb0EESX_EEDaSS_ST_EUlSS_E0_NS1_11comp_targetILNS1_3genE10ELNS1_11target_archE1201ELNS1_3gpuE5ELNS1_3repE0EEENS1_30default_config_static_selectorELNS0_4arch9wavefront6targetE1EEEvT1_
    .private_segment_fixed_size: 0
    .sgpr_count:     4
    .sgpr_spill_count: 0
    .symbol:         _ZN7rocprim17ROCPRIM_400000_NS6detail17trampoline_kernelINS0_14default_configENS1_20scan_config_selectorIsEEZZNS1_9scan_implILNS1_25lookback_scan_determinismE0ELb0ELb0ES3_N6thrust23THRUST_200600_302600_NS6detail15normal_iteratorINS9_10device_ptrIsEEEENS9_16discard_iteratorINS9_11use_defaultEEEsNS9_4plusIvEEsEEDaPvRmT3_T4_T5_mT6_P12ihipStream_tbENKUlT_T0_E_clISt17integral_constantIbLb0EESX_EEDaSS_ST_EUlSS_E0_NS1_11comp_targetILNS1_3genE10ELNS1_11target_archE1201ELNS1_3gpuE5ELNS1_3repE0EEENS1_30default_config_static_selectorELNS0_4arch9wavefront6targetE1EEEvT1_.kd
    .uniform_work_group_size: 1
    .uses_dynamic_stack: false
    .vgpr_count:     0
    .vgpr_spill_count: 0
    .wavefront_size: 64
  - .agpr_count:     0
    .args:
      - .offset:         0
        .size:           40
        .value_kind:     by_value
    .group_segment_fixed_size: 0
    .kernarg_segment_align: 8
    .kernarg_segment_size: 40
    .language:       OpenCL C
    .language_version:
      - 2
      - 0
    .max_flat_workgroup_size: 256
    .name:           _ZN7rocprim17ROCPRIM_400000_NS6detail17trampoline_kernelINS0_14default_configENS1_20scan_config_selectorIsEEZZNS1_9scan_implILNS1_25lookback_scan_determinismE0ELb0ELb0ES3_N6thrust23THRUST_200600_302600_NS6detail15normal_iteratorINS9_10device_ptrIsEEEENS9_16discard_iteratorINS9_11use_defaultEEEsNS9_4plusIvEEsEEDaPvRmT3_T4_T5_mT6_P12ihipStream_tbENKUlT_T0_E_clISt17integral_constantIbLb0EESX_EEDaSS_ST_EUlSS_E0_NS1_11comp_targetILNS1_3genE10ELNS1_11target_archE1200ELNS1_3gpuE4ELNS1_3repE0EEENS1_30default_config_static_selectorELNS0_4arch9wavefront6targetE1EEEvT1_
    .private_segment_fixed_size: 0
    .sgpr_count:     4
    .sgpr_spill_count: 0
    .symbol:         _ZN7rocprim17ROCPRIM_400000_NS6detail17trampoline_kernelINS0_14default_configENS1_20scan_config_selectorIsEEZZNS1_9scan_implILNS1_25lookback_scan_determinismE0ELb0ELb0ES3_N6thrust23THRUST_200600_302600_NS6detail15normal_iteratorINS9_10device_ptrIsEEEENS9_16discard_iteratorINS9_11use_defaultEEEsNS9_4plusIvEEsEEDaPvRmT3_T4_T5_mT6_P12ihipStream_tbENKUlT_T0_E_clISt17integral_constantIbLb0EESX_EEDaSS_ST_EUlSS_E0_NS1_11comp_targetILNS1_3genE10ELNS1_11target_archE1200ELNS1_3gpuE4ELNS1_3repE0EEENS1_30default_config_static_selectorELNS0_4arch9wavefront6targetE1EEEvT1_.kd
    .uniform_work_group_size: 1
    .uses_dynamic_stack: false
    .vgpr_count:     0
    .vgpr_spill_count: 0
    .wavefront_size: 64
  - .agpr_count:     0
    .args:
      - .offset:         0
        .size:           40
        .value_kind:     by_value
    .group_segment_fixed_size: 0
    .kernarg_segment_align: 8
    .kernarg_segment_size: 40
    .language:       OpenCL C
    .language_version:
      - 2
      - 0
    .max_flat_workgroup_size: 64
    .name:           _ZN7rocprim17ROCPRIM_400000_NS6detail17trampoline_kernelINS0_14default_configENS1_20scan_config_selectorIsEEZZNS1_9scan_implILNS1_25lookback_scan_determinismE0ELb0ELb0ES3_N6thrust23THRUST_200600_302600_NS6detail15normal_iteratorINS9_10device_ptrIsEEEENS9_16discard_iteratorINS9_11use_defaultEEEsNS9_4plusIvEEsEEDaPvRmT3_T4_T5_mT6_P12ihipStream_tbENKUlT_T0_E_clISt17integral_constantIbLb0EESX_EEDaSS_ST_EUlSS_E0_NS1_11comp_targetILNS1_3genE9ELNS1_11target_archE1100ELNS1_3gpuE3ELNS1_3repE0EEENS1_30default_config_static_selectorELNS0_4arch9wavefront6targetE1EEEvT1_
    .private_segment_fixed_size: 0
    .sgpr_count:     4
    .sgpr_spill_count: 0
    .symbol:         _ZN7rocprim17ROCPRIM_400000_NS6detail17trampoline_kernelINS0_14default_configENS1_20scan_config_selectorIsEEZZNS1_9scan_implILNS1_25lookback_scan_determinismE0ELb0ELb0ES3_N6thrust23THRUST_200600_302600_NS6detail15normal_iteratorINS9_10device_ptrIsEEEENS9_16discard_iteratorINS9_11use_defaultEEEsNS9_4plusIvEEsEEDaPvRmT3_T4_T5_mT6_P12ihipStream_tbENKUlT_T0_E_clISt17integral_constantIbLb0EESX_EEDaSS_ST_EUlSS_E0_NS1_11comp_targetILNS1_3genE9ELNS1_11target_archE1100ELNS1_3gpuE3ELNS1_3repE0EEENS1_30default_config_static_selectorELNS0_4arch9wavefront6targetE1EEEvT1_.kd
    .uniform_work_group_size: 1
    .uses_dynamic_stack: false
    .vgpr_count:     0
    .vgpr_spill_count: 0
    .wavefront_size: 64
  - .agpr_count:     0
    .args:
      - .offset:         0
        .size:           40
        .value_kind:     by_value
    .group_segment_fixed_size: 0
    .kernarg_segment_align: 8
    .kernarg_segment_size: 40
    .language:       OpenCL C
    .language_version:
      - 2
      - 0
    .max_flat_workgroup_size: 64
    .name:           _ZN7rocprim17ROCPRIM_400000_NS6detail17trampoline_kernelINS0_14default_configENS1_20scan_config_selectorIsEEZZNS1_9scan_implILNS1_25lookback_scan_determinismE0ELb0ELb0ES3_N6thrust23THRUST_200600_302600_NS6detail15normal_iteratorINS9_10device_ptrIsEEEENS9_16discard_iteratorINS9_11use_defaultEEEsNS9_4plusIvEEsEEDaPvRmT3_T4_T5_mT6_P12ihipStream_tbENKUlT_T0_E_clISt17integral_constantIbLb0EESX_EEDaSS_ST_EUlSS_E0_NS1_11comp_targetILNS1_3genE8ELNS1_11target_archE1030ELNS1_3gpuE2ELNS1_3repE0EEENS1_30default_config_static_selectorELNS0_4arch9wavefront6targetE1EEEvT1_
    .private_segment_fixed_size: 0
    .sgpr_count:     4
    .sgpr_spill_count: 0
    .symbol:         _ZN7rocprim17ROCPRIM_400000_NS6detail17trampoline_kernelINS0_14default_configENS1_20scan_config_selectorIsEEZZNS1_9scan_implILNS1_25lookback_scan_determinismE0ELb0ELb0ES3_N6thrust23THRUST_200600_302600_NS6detail15normal_iteratorINS9_10device_ptrIsEEEENS9_16discard_iteratorINS9_11use_defaultEEEsNS9_4plusIvEEsEEDaPvRmT3_T4_T5_mT6_P12ihipStream_tbENKUlT_T0_E_clISt17integral_constantIbLb0EESX_EEDaSS_ST_EUlSS_E0_NS1_11comp_targetILNS1_3genE8ELNS1_11target_archE1030ELNS1_3gpuE2ELNS1_3repE0EEENS1_30default_config_static_selectorELNS0_4arch9wavefront6targetE1EEEvT1_.kd
    .uniform_work_group_size: 1
    .uses_dynamic_stack: false
    .vgpr_count:     0
    .vgpr_spill_count: 0
    .wavefront_size: 64
  - .agpr_count:     0
    .args:
      - .offset:         0
        .size:           104
        .value_kind:     by_value
    .group_segment_fixed_size: 0
    .kernarg_segment_align: 8
    .kernarg_segment_size: 104
    .language:       OpenCL C
    .language_version:
      - 2
      - 0
    .max_flat_workgroup_size: 128
    .name:           _ZN7rocprim17ROCPRIM_400000_NS6detail17trampoline_kernelINS0_14default_configENS1_20scan_config_selectorIsEEZZNS1_9scan_implILNS1_25lookback_scan_determinismE0ELb0ELb0ES3_N6thrust23THRUST_200600_302600_NS6detail15normal_iteratorINS9_10device_ptrIsEEEENS9_16discard_iteratorINS9_11use_defaultEEEsNS9_4plusIvEEsEEDaPvRmT3_T4_T5_mT6_P12ihipStream_tbENKUlT_T0_E_clISt17integral_constantIbLb1EESX_EEDaSS_ST_EUlSS_E_NS1_11comp_targetILNS1_3genE0ELNS1_11target_archE4294967295ELNS1_3gpuE0ELNS1_3repE0EEENS1_30default_config_static_selectorELNS0_4arch9wavefront6targetE1EEEvT1_
    .private_segment_fixed_size: 0
    .sgpr_count:     4
    .sgpr_spill_count: 0
    .symbol:         _ZN7rocprim17ROCPRIM_400000_NS6detail17trampoline_kernelINS0_14default_configENS1_20scan_config_selectorIsEEZZNS1_9scan_implILNS1_25lookback_scan_determinismE0ELb0ELb0ES3_N6thrust23THRUST_200600_302600_NS6detail15normal_iteratorINS9_10device_ptrIsEEEENS9_16discard_iteratorINS9_11use_defaultEEEsNS9_4plusIvEEsEEDaPvRmT3_T4_T5_mT6_P12ihipStream_tbENKUlT_T0_E_clISt17integral_constantIbLb1EESX_EEDaSS_ST_EUlSS_E_NS1_11comp_targetILNS1_3genE0ELNS1_11target_archE4294967295ELNS1_3gpuE0ELNS1_3repE0EEENS1_30default_config_static_selectorELNS0_4arch9wavefront6targetE1EEEvT1_.kd
    .uniform_work_group_size: 1
    .uses_dynamic_stack: false
    .vgpr_count:     0
    .vgpr_spill_count: 0
    .wavefront_size: 64
  - .agpr_count:     0
    .args:
      - .offset:         0
        .size:           104
        .value_kind:     by_value
    .group_segment_fixed_size: 0
    .kernarg_segment_align: 8
    .kernarg_segment_size: 104
    .language:       OpenCL C
    .language_version:
      - 2
      - 0
    .max_flat_workgroup_size: 256
    .name:           _ZN7rocprim17ROCPRIM_400000_NS6detail17trampoline_kernelINS0_14default_configENS1_20scan_config_selectorIsEEZZNS1_9scan_implILNS1_25lookback_scan_determinismE0ELb0ELb0ES3_N6thrust23THRUST_200600_302600_NS6detail15normal_iteratorINS9_10device_ptrIsEEEENS9_16discard_iteratorINS9_11use_defaultEEEsNS9_4plusIvEEsEEDaPvRmT3_T4_T5_mT6_P12ihipStream_tbENKUlT_T0_E_clISt17integral_constantIbLb1EESX_EEDaSS_ST_EUlSS_E_NS1_11comp_targetILNS1_3genE5ELNS1_11target_archE942ELNS1_3gpuE9ELNS1_3repE0EEENS1_30default_config_static_selectorELNS0_4arch9wavefront6targetE1EEEvT1_
    .private_segment_fixed_size: 0
    .sgpr_count:     4
    .sgpr_spill_count: 0
    .symbol:         _ZN7rocprim17ROCPRIM_400000_NS6detail17trampoline_kernelINS0_14default_configENS1_20scan_config_selectorIsEEZZNS1_9scan_implILNS1_25lookback_scan_determinismE0ELb0ELb0ES3_N6thrust23THRUST_200600_302600_NS6detail15normal_iteratorINS9_10device_ptrIsEEEENS9_16discard_iteratorINS9_11use_defaultEEEsNS9_4plusIvEEsEEDaPvRmT3_T4_T5_mT6_P12ihipStream_tbENKUlT_T0_E_clISt17integral_constantIbLb1EESX_EEDaSS_ST_EUlSS_E_NS1_11comp_targetILNS1_3genE5ELNS1_11target_archE942ELNS1_3gpuE9ELNS1_3repE0EEENS1_30default_config_static_selectorELNS0_4arch9wavefront6targetE1EEEvT1_.kd
    .uniform_work_group_size: 1
    .uses_dynamic_stack: false
    .vgpr_count:     0
    .vgpr_spill_count: 0
    .wavefront_size: 64
  - .agpr_count:     0
    .args:
      - .offset:         0
        .size:           104
        .value_kind:     by_value
    .group_segment_fixed_size: 3072
    .kernarg_segment_align: 8
    .kernarg_segment_size: 104
    .language:       OpenCL C
    .language_version:
      - 2
      - 0
    .max_flat_workgroup_size: 64
    .name:           _ZN7rocprim17ROCPRIM_400000_NS6detail17trampoline_kernelINS0_14default_configENS1_20scan_config_selectorIsEEZZNS1_9scan_implILNS1_25lookback_scan_determinismE0ELb0ELb0ES3_N6thrust23THRUST_200600_302600_NS6detail15normal_iteratorINS9_10device_ptrIsEEEENS9_16discard_iteratorINS9_11use_defaultEEEsNS9_4plusIvEEsEEDaPvRmT3_T4_T5_mT6_P12ihipStream_tbENKUlT_T0_E_clISt17integral_constantIbLb1EESX_EEDaSS_ST_EUlSS_E_NS1_11comp_targetILNS1_3genE4ELNS1_11target_archE910ELNS1_3gpuE8ELNS1_3repE0EEENS1_30default_config_static_selectorELNS0_4arch9wavefront6targetE1EEEvT1_
    .private_segment_fixed_size: 0
    .sgpr_count:     34
    .sgpr_spill_count: 0
    .symbol:         _ZN7rocprim17ROCPRIM_400000_NS6detail17trampoline_kernelINS0_14default_configENS1_20scan_config_selectorIsEEZZNS1_9scan_implILNS1_25lookback_scan_determinismE0ELb0ELb0ES3_N6thrust23THRUST_200600_302600_NS6detail15normal_iteratorINS9_10device_ptrIsEEEENS9_16discard_iteratorINS9_11use_defaultEEEsNS9_4plusIvEEsEEDaPvRmT3_T4_T5_mT6_P12ihipStream_tbENKUlT_T0_E_clISt17integral_constantIbLb1EESX_EEDaSS_ST_EUlSS_E_NS1_11comp_targetILNS1_3genE4ELNS1_11target_archE910ELNS1_3gpuE8ELNS1_3repE0EEENS1_30default_config_static_selectorELNS0_4arch9wavefront6targetE1EEEvT1_.kd
    .uniform_work_group_size: 1
    .uses_dynamic_stack: false
    .vgpr_count:     43
    .vgpr_spill_count: 0
    .wavefront_size: 64
  - .agpr_count:     0
    .args:
      - .offset:         0
        .size:           104
        .value_kind:     by_value
    .group_segment_fixed_size: 0
    .kernarg_segment_align: 8
    .kernarg_segment_size: 104
    .language:       OpenCL C
    .language_version:
      - 2
      - 0
    .max_flat_workgroup_size: 128
    .name:           _ZN7rocprim17ROCPRIM_400000_NS6detail17trampoline_kernelINS0_14default_configENS1_20scan_config_selectorIsEEZZNS1_9scan_implILNS1_25lookback_scan_determinismE0ELb0ELb0ES3_N6thrust23THRUST_200600_302600_NS6detail15normal_iteratorINS9_10device_ptrIsEEEENS9_16discard_iteratorINS9_11use_defaultEEEsNS9_4plusIvEEsEEDaPvRmT3_T4_T5_mT6_P12ihipStream_tbENKUlT_T0_E_clISt17integral_constantIbLb1EESX_EEDaSS_ST_EUlSS_E_NS1_11comp_targetILNS1_3genE3ELNS1_11target_archE908ELNS1_3gpuE7ELNS1_3repE0EEENS1_30default_config_static_selectorELNS0_4arch9wavefront6targetE1EEEvT1_
    .private_segment_fixed_size: 0
    .sgpr_count:     4
    .sgpr_spill_count: 0
    .symbol:         _ZN7rocprim17ROCPRIM_400000_NS6detail17trampoline_kernelINS0_14default_configENS1_20scan_config_selectorIsEEZZNS1_9scan_implILNS1_25lookback_scan_determinismE0ELb0ELb0ES3_N6thrust23THRUST_200600_302600_NS6detail15normal_iteratorINS9_10device_ptrIsEEEENS9_16discard_iteratorINS9_11use_defaultEEEsNS9_4plusIvEEsEEDaPvRmT3_T4_T5_mT6_P12ihipStream_tbENKUlT_T0_E_clISt17integral_constantIbLb1EESX_EEDaSS_ST_EUlSS_E_NS1_11comp_targetILNS1_3genE3ELNS1_11target_archE908ELNS1_3gpuE7ELNS1_3repE0EEENS1_30default_config_static_selectorELNS0_4arch9wavefront6targetE1EEEvT1_.kd
    .uniform_work_group_size: 1
    .uses_dynamic_stack: false
    .vgpr_count:     0
    .vgpr_spill_count: 0
    .wavefront_size: 64
  - .agpr_count:     0
    .args:
      - .offset:         0
        .size:           104
        .value_kind:     by_value
    .group_segment_fixed_size: 0
    .kernarg_segment_align: 8
    .kernarg_segment_size: 104
    .language:       OpenCL C
    .language_version:
      - 2
      - 0
    .max_flat_workgroup_size: 256
    .name:           _ZN7rocprim17ROCPRIM_400000_NS6detail17trampoline_kernelINS0_14default_configENS1_20scan_config_selectorIsEEZZNS1_9scan_implILNS1_25lookback_scan_determinismE0ELb0ELb0ES3_N6thrust23THRUST_200600_302600_NS6detail15normal_iteratorINS9_10device_ptrIsEEEENS9_16discard_iteratorINS9_11use_defaultEEEsNS9_4plusIvEEsEEDaPvRmT3_T4_T5_mT6_P12ihipStream_tbENKUlT_T0_E_clISt17integral_constantIbLb1EESX_EEDaSS_ST_EUlSS_E_NS1_11comp_targetILNS1_3genE2ELNS1_11target_archE906ELNS1_3gpuE6ELNS1_3repE0EEENS1_30default_config_static_selectorELNS0_4arch9wavefront6targetE1EEEvT1_
    .private_segment_fixed_size: 0
    .sgpr_count:     4
    .sgpr_spill_count: 0
    .symbol:         _ZN7rocprim17ROCPRIM_400000_NS6detail17trampoline_kernelINS0_14default_configENS1_20scan_config_selectorIsEEZZNS1_9scan_implILNS1_25lookback_scan_determinismE0ELb0ELb0ES3_N6thrust23THRUST_200600_302600_NS6detail15normal_iteratorINS9_10device_ptrIsEEEENS9_16discard_iteratorINS9_11use_defaultEEEsNS9_4plusIvEEsEEDaPvRmT3_T4_T5_mT6_P12ihipStream_tbENKUlT_T0_E_clISt17integral_constantIbLb1EESX_EEDaSS_ST_EUlSS_E_NS1_11comp_targetILNS1_3genE2ELNS1_11target_archE906ELNS1_3gpuE6ELNS1_3repE0EEENS1_30default_config_static_selectorELNS0_4arch9wavefront6targetE1EEEvT1_.kd
    .uniform_work_group_size: 1
    .uses_dynamic_stack: false
    .vgpr_count:     0
    .vgpr_spill_count: 0
    .wavefront_size: 64
  - .agpr_count:     0
    .args:
      - .offset:         0
        .size:           104
        .value_kind:     by_value
    .group_segment_fixed_size: 0
    .kernarg_segment_align: 8
    .kernarg_segment_size: 104
    .language:       OpenCL C
    .language_version:
      - 2
      - 0
    .max_flat_workgroup_size: 256
    .name:           _ZN7rocprim17ROCPRIM_400000_NS6detail17trampoline_kernelINS0_14default_configENS1_20scan_config_selectorIsEEZZNS1_9scan_implILNS1_25lookback_scan_determinismE0ELb0ELb0ES3_N6thrust23THRUST_200600_302600_NS6detail15normal_iteratorINS9_10device_ptrIsEEEENS9_16discard_iteratorINS9_11use_defaultEEEsNS9_4plusIvEEsEEDaPvRmT3_T4_T5_mT6_P12ihipStream_tbENKUlT_T0_E_clISt17integral_constantIbLb1EESX_EEDaSS_ST_EUlSS_E_NS1_11comp_targetILNS1_3genE10ELNS1_11target_archE1201ELNS1_3gpuE5ELNS1_3repE0EEENS1_30default_config_static_selectorELNS0_4arch9wavefront6targetE1EEEvT1_
    .private_segment_fixed_size: 0
    .sgpr_count:     4
    .sgpr_spill_count: 0
    .symbol:         _ZN7rocprim17ROCPRIM_400000_NS6detail17trampoline_kernelINS0_14default_configENS1_20scan_config_selectorIsEEZZNS1_9scan_implILNS1_25lookback_scan_determinismE0ELb0ELb0ES3_N6thrust23THRUST_200600_302600_NS6detail15normal_iteratorINS9_10device_ptrIsEEEENS9_16discard_iteratorINS9_11use_defaultEEEsNS9_4plusIvEEsEEDaPvRmT3_T4_T5_mT6_P12ihipStream_tbENKUlT_T0_E_clISt17integral_constantIbLb1EESX_EEDaSS_ST_EUlSS_E_NS1_11comp_targetILNS1_3genE10ELNS1_11target_archE1201ELNS1_3gpuE5ELNS1_3repE0EEENS1_30default_config_static_selectorELNS0_4arch9wavefront6targetE1EEEvT1_.kd
    .uniform_work_group_size: 1
    .uses_dynamic_stack: false
    .vgpr_count:     0
    .vgpr_spill_count: 0
    .wavefront_size: 64
  - .agpr_count:     0
    .args:
      - .offset:         0
        .size:           104
        .value_kind:     by_value
    .group_segment_fixed_size: 0
    .kernarg_segment_align: 8
    .kernarg_segment_size: 104
    .language:       OpenCL C
    .language_version:
      - 2
      - 0
    .max_flat_workgroup_size: 256
    .name:           _ZN7rocprim17ROCPRIM_400000_NS6detail17trampoline_kernelINS0_14default_configENS1_20scan_config_selectorIsEEZZNS1_9scan_implILNS1_25lookback_scan_determinismE0ELb0ELb0ES3_N6thrust23THRUST_200600_302600_NS6detail15normal_iteratorINS9_10device_ptrIsEEEENS9_16discard_iteratorINS9_11use_defaultEEEsNS9_4plusIvEEsEEDaPvRmT3_T4_T5_mT6_P12ihipStream_tbENKUlT_T0_E_clISt17integral_constantIbLb1EESX_EEDaSS_ST_EUlSS_E_NS1_11comp_targetILNS1_3genE10ELNS1_11target_archE1200ELNS1_3gpuE4ELNS1_3repE0EEENS1_30default_config_static_selectorELNS0_4arch9wavefront6targetE1EEEvT1_
    .private_segment_fixed_size: 0
    .sgpr_count:     4
    .sgpr_spill_count: 0
    .symbol:         _ZN7rocprim17ROCPRIM_400000_NS6detail17trampoline_kernelINS0_14default_configENS1_20scan_config_selectorIsEEZZNS1_9scan_implILNS1_25lookback_scan_determinismE0ELb0ELb0ES3_N6thrust23THRUST_200600_302600_NS6detail15normal_iteratorINS9_10device_ptrIsEEEENS9_16discard_iteratorINS9_11use_defaultEEEsNS9_4plusIvEEsEEDaPvRmT3_T4_T5_mT6_P12ihipStream_tbENKUlT_T0_E_clISt17integral_constantIbLb1EESX_EEDaSS_ST_EUlSS_E_NS1_11comp_targetILNS1_3genE10ELNS1_11target_archE1200ELNS1_3gpuE4ELNS1_3repE0EEENS1_30default_config_static_selectorELNS0_4arch9wavefront6targetE1EEEvT1_.kd
    .uniform_work_group_size: 1
    .uses_dynamic_stack: false
    .vgpr_count:     0
    .vgpr_spill_count: 0
    .wavefront_size: 64
  - .agpr_count:     0
    .args:
      - .offset:         0
        .size:           104
        .value_kind:     by_value
    .group_segment_fixed_size: 0
    .kernarg_segment_align: 8
    .kernarg_segment_size: 104
    .language:       OpenCL C
    .language_version:
      - 2
      - 0
    .max_flat_workgroup_size: 64
    .name:           _ZN7rocprim17ROCPRIM_400000_NS6detail17trampoline_kernelINS0_14default_configENS1_20scan_config_selectorIsEEZZNS1_9scan_implILNS1_25lookback_scan_determinismE0ELb0ELb0ES3_N6thrust23THRUST_200600_302600_NS6detail15normal_iteratorINS9_10device_ptrIsEEEENS9_16discard_iteratorINS9_11use_defaultEEEsNS9_4plusIvEEsEEDaPvRmT3_T4_T5_mT6_P12ihipStream_tbENKUlT_T0_E_clISt17integral_constantIbLb1EESX_EEDaSS_ST_EUlSS_E_NS1_11comp_targetILNS1_3genE9ELNS1_11target_archE1100ELNS1_3gpuE3ELNS1_3repE0EEENS1_30default_config_static_selectorELNS0_4arch9wavefront6targetE1EEEvT1_
    .private_segment_fixed_size: 0
    .sgpr_count:     4
    .sgpr_spill_count: 0
    .symbol:         _ZN7rocprim17ROCPRIM_400000_NS6detail17trampoline_kernelINS0_14default_configENS1_20scan_config_selectorIsEEZZNS1_9scan_implILNS1_25lookback_scan_determinismE0ELb0ELb0ES3_N6thrust23THRUST_200600_302600_NS6detail15normal_iteratorINS9_10device_ptrIsEEEENS9_16discard_iteratorINS9_11use_defaultEEEsNS9_4plusIvEEsEEDaPvRmT3_T4_T5_mT6_P12ihipStream_tbENKUlT_T0_E_clISt17integral_constantIbLb1EESX_EEDaSS_ST_EUlSS_E_NS1_11comp_targetILNS1_3genE9ELNS1_11target_archE1100ELNS1_3gpuE3ELNS1_3repE0EEENS1_30default_config_static_selectorELNS0_4arch9wavefront6targetE1EEEvT1_.kd
    .uniform_work_group_size: 1
    .uses_dynamic_stack: false
    .vgpr_count:     0
    .vgpr_spill_count: 0
    .wavefront_size: 64
  - .agpr_count:     0
    .args:
      - .offset:         0
        .size:           104
        .value_kind:     by_value
    .group_segment_fixed_size: 0
    .kernarg_segment_align: 8
    .kernarg_segment_size: 104
    .language:       OpenCL C
    .language_version:
      - 2
      - 0
    .max_flat_workgroup_size: 64
    .name:           _ZN7rocprim17ROCPRIM_400000_NS6detail17trampoline_kernelINS0_14default_configENS1_20scan_config_selectorIsEEZZNS1_9scan_implILNS1_25lookback_scan_determinismE0ELb0ELb0ES3_N6thrust23THRUST_200600_302600_NS6detail15normal_iteratorINS9_10device_ptrIsEEEENS9_16discard_iteratorINS9_11use_defaultEEEsNS9_4plusIvEEsEEDaPvRmT3_T4_T5_mT6_P12ihipStream_tbENKUlT_T0_E_clISt17integral_constantIbLb1EESX_EEDaSS_ST_EUlSS_E_NS1_11comp_targetILNS1_3genE8ELNS1_11target_archE1030ELNS1_3gpuE2ELNS1_3repE0EEENS1_30default_config_static_selectorELNS0_4arch9wavefront6targetE1EEEvT1_
    .private_segment_fixed_size: 0
    .sgpr_count:     4
    .sgpr_spill_count: 0
    .symbol:         _ZN7rocprim17ROCPRIM_400000_NS6detail17trampoline_kernelINS0_14default_configENS1_20scan_config_selectorIsEEZZNS1_9scan_implILNS1_25lookback_scan_determinismE0ELb0ELb0ES3_N6thrust23THRUST_200600_302600_NS6detail15normal_iteratorINS9_10device_ptrIsEEEENS9_16discard_iteratorINS9_11use_defaultEEEsNS9_4plusIvEEsEEDaPvRmT3_T4_T5_mT6_P12ihipStream_tbENKUlT_T0_E_clISt17integral_constantIbLb1EESX_EEDaSS_ST_EUlSS_E_NS1_11comp_targetILNS1_3genE8ELNS1_11target_archE1030ELNS1_3gpuE2ELNS1_3repE0EEENS1_30default_config_static_selectorELNS0_4arch9wavefront6targetE1EEEvT1_.kd
    .uniform_work_group_size: 1
    .uses_dynamic_stack: false
    .vgpr_count:     0
    .vgpr_spill_count: 0
    .wavefront_size: 64
  - .agpr_count:     0
    .args:
      - .offset:         0
        .size:           40
        .value_kind:     by_value
    .group_segment_fixed_size: 0
    .kernarg_segment_align: 8
    .kernarg_segment_size: 40
    .language:       OpenCL C
    .language_version:
      - 2
      - 0
    .max_flat_workgroup_size: 128
    .name:           _ZN7rocprim17ROCPRIM_400000_NS6detail17trampoline_kernelINS0_14default_configENS1_20scan_config_selectorIsEEZZNS1_9scan_implILNS1_25lookback_scan_determinismE0ELb0ELb0ES3_N6thrust23THRUST_200600_302600_NS6detail15normal_iteratorINS9_10device_ptrIsEEEENS9_16discard_iteratorINS9_11use_defaultEEEsNS9_4plusIvEEsEEDaPvRmT3_T4_T5_mT6_P12ihipStream_tbENKUlT_T0_E_clISt17integral_constantIbLb1EESX_EEDaSS_ST_EUlSS_E0_NS1_11comp_targetILNS1_3genE0ELNS1_11target_archE4294967295ELNS1_3gpuE0ELNS1_3repE0EEENS1_30default_config_static_selectorELNS0_4arch9wavefront6targetE1EEEvT1_
    .private_segment_fixed_size: 0
    .sgpr_count:     4
    .sgpr_spill_count: 0
    .symbol:         _ZN7rocprim17ROCPRIM_400000_NS6detail17trampoline_kernelINS0_14default_configENS1_20scan_config_selectorIsEEZZNS1_9scan_implILNS1_25lookback_scan_determinismE0ELb0ELb0ES3_N6thrust23THRUST_200600_302600_NS6detail15normal_iteratorINS9_10device_ptrIsEEEENS9_16discard_iteratorINS9_11use_defaultEEEsNS9_4plusIvEEsEEDaPvRmT3_T4_T5_mT6_P12ihipStream_tbENKUlT_T0_E_clISt17integral_constantIbLb1EESX_EEDaSS_ST_EUlSS_E0_NS1_11comp_targetILNS1_3genE0ELNS1_11target_archE4294967295ELNS1_3gpuE0ELNS1_3repE0EEENS1_30default_config_static_selectorELNS0_4arch9wavefront6targetE1EEEvT1_.kd
    .uniform_work_group_size: 1
    .uses_dynamic_stack: false
    .vgpr_count:     0
    .vgpr_spill_count: 0
    .wavefront_size: 64
  - .agpr_count:     0
    .args:
      - .offset:         0
        .size:           40
        .value_kind:     by_value
    .group_segment_fixed_size: 0
    .kernarg_segment_align: 8
    .kernarg_segment_size: 40
    .language:       OpenCL C
    .language_version:
      - 2
      - 0
    .max_flat_workgroup_size: 256
    .name:           _ZN7rocprim17ROCPRIM_400000_NS6detail17trampoline_kernelINS0_14default_configENS1_20scan_config_selectorIsEEZZNS1_9scan_implILNS1_25lookback_scan_determinismE0ELb0ELb0ES3_N6thrust23THRUST_200600_302600_NS6detail15normal_iteratorINS9_10device_ptrIsEEEENS9_16discard_iteratorINS9_11use_defaultEEEsNS9_4plusIvEEsEEDaPvRmT3_T4_T5_mT6_P12ihipStream_tbENKUlT_T0_E_clISt17integral_constantIbLb1EESX_EEDaSS_ST_EUlSS_E0_NS1_11comp_targetILNS1_3genE5ELNS1_11target_archE942ELNS1_3gpuE9ELNS1_3repE0EEENS1_30default_config_static_selectorELNS0_4arch9wavefront6targetE1EEEvT1_
    .private_segment_fixed_size: 0
    .sgpr_count:     4
    .sgpr_spill_count: 0
    .symbol:         _ZN7rocprim17ROCPRIM_400000_NS6detail17trampoline_kernelINS0_14default_configENS1_20scan_config_selectorIsEEZZNS1_9scan_implILNS1_25lookback_scan_determinismE0ELb0ELb0ES3_N6thrust23THRUST_200600_302600_NS6detail15normal_iteratorINS9_10device_ptrIsEEEENS9_16discard_iteratorINS9_11use_defaultEEEsNS9_4plusIvEEsEEDaPvRmT3_T4_T5_mT6_P12ihipStream_tbENKUlT_T0_E_clISt17integral_constantIbLb1EESX_EEDaSS_ST_EUlSS_E0_NS1_11comp_targetILNS1_3genE5ELNS1_11target_archE942ELNS1_3gpuE9ELNS1_3repE0EEENS1_30default_config_static_selectorELNS0_4arch9wavefront6targetE1EEEvT1_.kd
    .uniform_work_group_size: 1
    .uses_dynamic_stack: false
    .vgpr_count:     0
    .vgpr_spill_count: 0
    .wavefront_size: 64
  - .agpr_count:     0
    .args:
      - .offset:         0
        .size:           40
        .value_kind:     by_value
    .group_segment_fixed_size: 3072
    .kernarg_segment_align: 8
    .kernarg_segment_size: 40
    .language:       OpenCL C
    .language_version:
      - 2
      - 0
    .max_flat_workgroup_size: 64
    .name:           _ZN7rocprim17ROCPRIM_400000_NS6detail17trampoline_kernelINS0_14default_configENS1_20scan_config_selectorIsEEZZNS1_9scan_implILNS1_25lookback_scan_determinismE0ELb0ELb0ES3_N6thrust23THRUST_200600_302600_NS6detail15normal_iteratorINS9_10device_ptrIsEEEENS9_16discard_iteratorINS9_11use_defaultEEEsNS9_4plusIvEEsEEDaPvRmT3_T4_T5_mT6_P12ihipStream_tbENKUlT_T0_E_clISt17integral_constantIbLb1EESX_EEDaSS_ST_EUlSS_E0_NS1_11comp_targetILNS1_3genE4ELNS1_11target_archE910ELNS1_3gpuE8ELNS1_3repE0EEENS1_30default_config_static_selectorELNS0_4arch9wavefront6targetE1EEEvT1_
    .private_segment_fixed_size: 0
    .sgpr_count:     10
    .sgpr_spill_count: 0
    .symbol:         _ZN7rocprim17ROCPRIM_400000_NS6detail17trampoline_kernelINS0_14default_configENS1_20scan_config_selectorIsEEZZNS1_9scan_implILNS1_25lookback_scan_determinismE0ELb0ELb0ES3_N6thrust23THRUST_200600_302600_NS6detail15normal_iteratorINS9_10device_ptrIsEEEENS9_16discard_iteratorINS9_11use_defaultEEEsNS9_4plusIvEEsEEDaPvRmT3_T4_T5_mT6_P12ihipStream_tbENKUlT_T0_E_clISt17integral_constantIbLb1EESX_EEDaSS_ST_EUlSS_E0_NS1_11comp_targetILNS1_3genE4ELNS1_11target_archE910ELNS1_3gpuE8ELNS1_3repE0EEENS1_30default_config_static_selectorELNS0_4arch9wavefront6targetE1EEEvT1_.kd
    .uniform_work_group_size: 1
    .uses_dynamic_stack: false
    .vgpr_count:     41
    .vgpr_spill_count: 0
    .wavefront_size: 64
  - .agpr_count:     0
    .args:
      - .offset:         0
        .size:           40
        .value_kind:     by_value
    .group_segment_fixed_size: 0
    .kernarg_segment_align: 8
    .kernarg_segment_size: 40
    .language:       OpenCL C
    .language_version:
      - 2
      - 0
    .max_flat_workgroup_size: 128
    .name:           _ZN7rocprim17ROCPRIM_400000_NS6detail17trampoline_kernelINS0_14default_configENS1_20scan_config_selectorIsEEZZNS1_9scan_implILNS1_25lookback_scan_determinismE0ELb0ELb0ES3_N6thrust23THRUST_200600_302600_NS6detail15normal_iteratorINS9_10device_ptrIsEEEENS9_16discard_iteratorINS9_11use_defaultEEEsNS9_4plusIvEEsEEDaPvRmT3_T4_T5_mT6_P12ihipStream_tbENKUlT_T0_E_clISt17integral_constantIbLb1EESX_EEDaSS_ST_EUlSS_E0_NS1_11comp_targetILNS1_3genE3ELNS1_11target_archE908ELNS1_3gpuE7ELNS1_3repE0EEENS1_30default_config_static_selectorELNS0_4arch9wavefront6targetE1EEEvT1_
    .private_segment_fixed_size: 0
    .sgpr_count:     4
    .sgpr_spill_count: 0
    .symbol:         _ZN7rocprim17ROCPRIM_400000_NS6detail17trampoline_kernelINS0_14default_configENS1_20scan_config_selectorIsEEZZNS1_9scan_implILNS1_25lookback_scan_determinismE0ELb0ELb0ES3_N6thrust23THRUST_200600_302600_NS6detail15normal_iteratorINS9_10device_ptrIsEEEENS9_16discard_iteratorINS9_11use_defaultEEEsNS9_4plusIvEEsEEDaPvRmT3_T4_T5_mT6_P12ihipStream_tbENKUlT_T0_E_clISt17integral_constantIbLb1EESX_EEDaSS_ST_EUlSS_E0_NS1_11comp_targetILNS1_3genE3ELNS1_11target_archE908ELNS1_3gpuE7ELNS1_3repE0EEENS1_30default_config_static_selectorELNS0_4arch9wavefront6targetE1EEEvT1_.kd
    .uniform_work_group_size: 1
    .uses_dynamic_stack: false
    .vgpr_count:     0
    .vgpr_spill_count: 0
    .wavefront_size: 64
  - .agpr_count:     0
    .args:
      - .offset:         0
        .size:           40
        .value_kind:     by_value
    .group_segment_fixed_size: 0
    .kernarg_segment_align: 8
    .kernarg_segment_size: 40
    .language:       OpenCL C
    .language_version:
      - 2
      - 0
    .max_flat_workgroup_size: 256
    .name:           _ZN7rocprim17ROCPRIM_400000_NS6detail17trampoline_kernelINS0_14default_configENS1_20scan_config_selectorIsEEZZNS1_9scan_implILNS1_25lookback_scan_determinismE0ELb0ELb0ES3_N6thrust23THRUST_200600_302600_NS6detail15normal_iteratorINS9_10device_ptrIsEEEENS9_16discard_iteratorINS9_11use_defaultEEEsNS9_4plusIvEEsEEDaPvRmT3_T4_T5_mT6_P12ihipStream_tbENKUlT_T0_E_clISt17integral_constantIbLb1EESX_EEDaSS_ST_EUlSS_E0_NS1_11comp_targetILNS1_3genE2ELNS1_11target_archE906ELNS1_3gpuE6ELNS1_3repE0EEENS1_30default_config_static_selectorELNS0_4arch9wavefront6targetE1EEEvT1_
    .private_segment_fixed_size: 0
    .sgpr_count:     4
    .sgpr_spill_count: 0
    .symbol:         _ZN7rocprim17ROCPRIM_400000_NS6detail17trampoline_kernelINS0_14default_configENS1_20scan_config_selectorIsEEZZNS1_9scan_implILNS1_25lookback_scan_determinismE0ELb0ELb0ES3_N6thrust23THRUST_200600_302600_NS6detail15normal_iteratorINS9_10device_ptrIsEEEENS9_16discard_iteratorINS9_11use_defaultEEEsNS9_4plusIvEEsEEDaPvRmT3_T4_T5_mT6_P12ihipStream_tbENKUlT_T0_E_clISt17integral_constantIbLb1EESX_EEDaSS_ST_EUlSS_E0_NS1_11comp_targetILNS1_3genE2ELNS1_11target_archE906ELNS1_3gpuE6ELNS1_3repE0EEENS1_30default_config_static_selectorELNS0_4arch9wavefront6targetE1EEEvT1_.kd
    .uniform_work_group_size: 1
    .uses_dynamic_stack: false
    .vgpr_count:     0
    .vgpr_spill_count: 0
    .wavefront_size: 64
  - .agpr_count:     0
    .args:
      - .offset:         0
        .size:           40
        .value_kind:     by_value
    .group_segment_fixed_size: 0
    .kernarg_segment_align: 8
    .kernarg_segment_size: 40
    .language:       OpenCL C
    .language_version:
      - 2
      - 0
    .max_flat_workgroup_size: 256
    .name:           _ZN7rocprim17ROCPRIM_400000_NS6detail17trampoline_kernelINS0_14default_configENS1_20scan_config_selectorIsEEZZNS1_9scan_implILNS1_25lookback_scan_determinismE0ELb0ELb0ES3_N6thrust23THRUST_200600_302600_NS6detail15normal_iteratorINS9_10device_ptrIsEEEENS9_16discard_iteratorINS9_11use_defaultEEEsNS9_4plusIvEEsEEDaPvRmT3_T4_T5_mT6_P12ihipStream_tbENKUlT_T0_E_clISt17integral_constantIbLb1EESX_EEDaSS_ST_EUlSS_E0_NS1_11comp_targetILNS1_3genE10ELNS1_11target_archE1201ELNS1_3gpuE5ELNS1_3repE0EEENS1_30default_config_static_selectorELNS0_4arch9wavefront6targetE1EEEvT1_
    .private_segment_fixed_size: 0
    .sgpr_count:     4
    .sgpr_spill_count: 0
    .symbol:         _ZN7rocprim17ROCPRIM_400000_NS6detail17trampoline_kernelINS0_14default_configENS1_20scan_config_selectorIsEEZZNS1_9scan_implILNS1_25lookback_scan_determinismE0ELb0ELb0ES3_N6thrust23THRUST_200600_302600_NS6detail15normal_iteratorINS9_10device_ptrIsEEEENS9_16discard_iteratorINS9_11use_defaultEEEsNS9_4plusIvEEsEEDaPvRmT3_T4_T5_mT6_P12ihipStream_tbENKUlT_T0_E_clISt17integral_constantIbLb1EESX_EEDaSS_ST_EUlSS_E0_NS1_11comp_targetILNS1_3genE10ELNS1_11target_archE1201ELNS1_3gpuE5ELNS1_3repE0EEENS1_30default_config_static_selectorELNS0_4arch9wavefront6targetE1EEEvT1_.kd
    .uniform_work_group_size: 1
    .uses_dynamic_stack: false
    .vgpr_count:     0
    .vgpr_spill_count: 0
    .wavefront_size: 64
  - .agpr_count:     0
    .args:
      - .offset:         0
        .size:           40
        .value_kind:     by_value
    .group_segment_fixed_size: 0
    .kernarg_segment_align: 8
    .kernarg_segment_size: 40
    .language:       OpenCL C
    .language_version:
      - 2
      - 0
    .max_flat_workgroup_size: 256
    .name:           _ZN7rocprim17ROCPRIM_400000_NS6detail17trampoline_kernelINS0_14default_configENS1_20scan_config_selectorIsEEZZNS1_9scan_implILNS1_25lookback_scan_determinismE0ELb0ELb0ES3_N6thrust23THRUST_200600_302600_NS6detail15normal_iteratorINS9_10device_ptrIsEEEENS9_16discard_iteratorINS9_11use_defaultEEEsNS9_4plusIvEEsEEDaPvRmT3_T4_T5_mT6_P12ihipStream_tbENKUlT_T0_E_clISt17integral_constantIbLb1EESX_EEDaSS_ST_EUlSS_E0_NS1_11comp_targetILNS1_3genE10ELNS1_11target_archE1200ELNS1_3gpuE4ELNS1_3repE0EEENS1_30default_config_static_selectorELNS0_4arch9wavefront6targetE1EEEvT1_
    .private_segment_fixed_size: 0
    .sgpr_count:     4
    .sgpr_spill_count: 0
    .symbol:         _ZN7rocprim17ROCPRIM_400000_NS6detail17trampoline_kernelINS0_14default_configENS1_20scan_config_selectorIsEEZZNS1_9scan_implILNS1_25lookback_scan_determinismE0ELb0ELb0ES3_N6thrust23THRUST_200600_302600_NS6detail15normal_iteratorINS9_10device_ptrIsEEEENS9_16discard_iteratorINS9_11use_defaultEEEsNS9_4plusIvEEsEEDaPvRmT3_T4_T5_mT6_P12ihipStream_tbENKUlT_T0_E_clISt17integral_constantIbLb1EESX_EEDaSS_ST_EUlSS_E0_NS1_11comp_targetILNS1_3genE10ELNS1_11target_archE1200ELNS1_3gpuE4ELNS1_3repE0EEENS1_30default_config_static_selectorELNS0_4arch9wavefront6targetE1EEEvT1_.kd
    .uniform_work_group_size: 1
    .uses_dynamic_stack: false
    .vgpr_count:     0
    .vgpr_spill_count: 0
    .wavefront_size: 64
  - .agpr_count:     0
    .args:
      - .offset:         0
        .size:           40
        .value_kind:     by_value
    .group_segment_fixed_size: 0
    .kernarg_segment_align: 8
    .kernarg_segment_size: 40
    .language:       OpenCL C
    .language_version:
      - 2
      - 0
    .max_flat_workgroup_size: 64
    .name:           _ZN7rocprim17ROCPRIM_400000_NS6detail17trampoline_kernelINS0_14default_configENS1_20scan_config_selectorIsEEZZNS1_9scan_implILNS1_25lookback_scan_determinismE0ELb0ELb0ES3_N6thrust23THRUST_200600_302600_NS6detail15normal_iteratorINS9_10device_ptrIsEEEENS9_16discard_iteratorINS9_11use_defaultEEEsNS9_4plusIvEEsEEDaPvRmT3_T4_T5_mT6_P12ihipStream_tbENKUlT_T0_E_clISt17integral_constantIbLb1EESX_EEDaSS_ST_EUlSS_E0_NS1_11comp_targetILNS1_3genE9ELNS1_11target_archE1100ELNS1_3gpuE3ELNS1_3repE0EEENS1_30default_config_static_selectorELNS0_4arch9wavefront6targetE1EEEvT1_
    .private_segment_fixed_size: 0
    .sgpr_count:     4
    .sgpr_spill_count: 0
    .symbol:         _ZN7rocprim17ROCPRIM_400000_NS6detail17trampoline_kernelINS0_14default_configENS1_20scan_config_selectorIsEEZZNS1_9scan_implILNS1_25lookback_scan_determinismE0ELb0ELb0ES3_N6thrust23THRUST_200600_302600_NS6detail15normal_iteratorINS9_10device_ptrIsEEEENS9_16discard_iteratorINS9_11use_defaultEEEsNS9_4plusIvEEsEEDaPvRmT3_T4_T5_mT6_P12ihipStream_tbENKUlT_T0_E_clISt17integral_constantIbLb1EESX_EEDaSS_ST_EUlSS_E0_NS1_11comp_targetILNS1_3genE9ELNS1_11target_archE1100ELNS1_3gpuE3ELNS1_3repE0EEENS1_30default_config_static_selectorELNS0_4arch9wavefront6targetE1EEEvT1_.kd
    .uniform_work_group_size: 1
    .uses_dynamic_stack: false
    .vgpr_count:     0
    .vgpr_spill_count: 0
    .wavefront_size: 64
  - .agpr_count:     0
    .args:
      - .offset:         0
        .size:           40
        .value_kind:     by_value
    .group_segment_fixed_size: 0
    .kernarg_segment_align: 8
    .kernarg_segment_size: 40
    .language:       OpenCL C
    .language_version:
      - 2
      - 0
    .max_flat_workgroup_size: 64
    .name:           _ZN7rocprim17ROCPRIM_400000_NS6detail17trampoline_kernelINS0_14default_configENS1_20scan_config_selectorIsEEZZNS1_9scan_implILNS1_25lookback_scan_determinismE0ELb0ELb0ES3_N6thrust23THRUST_200600_302600_NS6detail15normal_iteratorINS9_10device_ptrIsEEEENS9_16discard_iteratorINS9_11use_defaultEEEsNS9_4plusIvEEsEEDaPvRmT3_T4_T5_mT6_P12ihipStream_tbENKUlT_T0_E_clISt17integral_constantIbLb1EESX_EEDaSS_ST_EUlSS_E0_NS1_11comp_targetILNS1_3genE8ELNS1_11target_archE1030ELNS1_3gpuE2ELNS1_3repE0EEENS1_30default_config_static_selectorELNS0_4arch9wavefront6targetE1EEEvT1_
    .private_segment_fixed_size: 0
    .sgpr_count:     4
    .sgpr_spill_count: 0
    .symbol:         _ZN7rocprim17ROCPRIM_400000_NS6detail17trampoline_kernelINS0_14default_configENS1_20scan_config_selectorIsEEZZNS1_9scan_implILNS1_25lookback_scan_determinismE0ELb0ELb0ES3_N6thrust23THRUST_200600_302600_NS6detail15normal_iteratorINS9_10device_ptrIsEEEENS9_16discard_iteratorINS9_11use_defaultEEEsNS9_4plusIvEEsEEDaPvRmT3_T4_T5_mT6_P12ihipStream_tbENKUlT_T0_E_clISt17integral_constantIbLb1EESX_EEDaSS_ST_EUlSS_E0_NS1_11comp_targetILNS1_3genE8ELNS1_11target_archE1030ELNS1_3gpuE2ELNS1_3repE0EEENS1_30default_config_static_selectorELNS0_4arch9wavefront6targetE1EEEvT1_.kd
    .uniform_work_group_size: 1
    .uses_dynamic_stack: false
    .vgpr_count:     0
    .vgpr_spill_count: 0
    .wavefront_size: 64
  - .agpr_count:     0
    .args:
      - .offset:         0
        .size:           104
        .value_kind:     by_value
    .group_segment_fixed_size: 0
    .kernarg_segment_align: 8
    .kernarg_segment_size: 104
    .language:       OpenCL C
    .language_version:
      - 2
      - 0
    .max_flat_workgroup_size: 128
    .name:           _ZN7rocprim17ROCPRIM_400000_NS6detail17trampoline_kernelINS0_14default_configENS1_20scan_config_selectorIsEEZZNS1_9scan_implILNS1_25lookback_scan_determinismE0ELb0ELb0ES3_N6thrust23THRUST_200600_302600_NS6detail15normal_iteratorINS9_10device_ptrIsEEEENS9_16discard_iteratorINS9_11use_defaultEEEsNS9_4plusIvEEsEEDaPvRmT3_T4_T5_mT6_P12ihipStream_tbENKUlT_T0_E_clISt17integral_constantIbLb1EESW_IbLb0EEEEDaSS_ST_EUlSS_E_NS1_11comp_targetILNS1_3genE0ELNS1_11target_archE4294967295ELNS1_3gpuE0ELNS1_3repE0EEENS1_30default_config_static_selectorELNS0_4arch9wavefront6targetE1EEEvT1_
    .private_segment_fixed_size: 0
    .sgpr_count:     4
    .sgpr_spill_count: 0
    .symbol:         _ZN7rocprim17ROCPRIM_400000_NS6detail17trampoline_kernelINS0_14default_configENS1_20scan_config_selectorIsEEZZNS1_9scan_implILNS1_25lookback_scan_determinismE0ELb0ELb0ES3_N6thrust23THRUST_200600_302600_NS6detail15normal_iteratorINS9_10device_ptrIsEEEENS9_16discard_iteratorINS9_11use_defaultEEEsNS9_4plusIvEEsEEDaPvRmT3_T4_T5_mT6_P12ihipStream_tbENKUlT_T0_E_clISt17integral_constantIbLb1EESW_IbLb0EEEEDaSS_ST_EUlSS_E_NS1_11comp_targetILNS1_3genE0ELNS1_11target_archE4294967295ELNS1_3gpuE0ELNS1_3repE0EEENS1_30default_config_static_selectorELNS0_4arch9wavefront6targetE1EEEvT1_.kd
    .uniform_work_group_size: 1
    .uses_dynamic_stack: false
    .vgpr_count:     0
    .vgpr_spill_count: 0
    .wavefront_size: 64
  - .agpr_count:     0
    .args:
      - .offset:         0
        .size:           104
        .value_kind:     by_value
    .group_segment_fixed_size: 0
    .kernarg_segment_align: 8
    .kernarg_segment_size: 104
    .language:       OpenCL C
    .language_version:
      - 2
      - 0
    .max_flat_workgroup_size: 256
    .name:           _ZN7rocprim17ROCPRIM_400000_NS6detail17trampoline_kernelINS0_14default_configENS1_20scan_config_selectorIsEEZZNS1_9scan_implILNS1_25lookback_scan_determinismE0ELb0ELb0ES3_N6thrust23THRUST_200600_302600_NS6detail15normal_iteratorINS9_10device_ptrIsEEEENS9_16discard_iteratorINS9_11use_defaultEEEsNS9_4plusIvEEsEEDaPvRmT3_T4_T5_mT6_P12ihipStream_tbENKUlT_T0_E_clISt17integral_constantIbLb1EESW_IbLb0EEEEDaSS_ST_EUlSS_E_NS1_11comp_targetILNS1_3genE5ELNS1_11target_archE942ELNS1_3gpuE9ELNS1_3repE0EEENS1_30default_config_static_selectorELNS0_4arch9wavefront6targetE1EEEvT1_
    .private_segment_fixed_size: 0
    .sgpr_count:     4
    .sgpr_spill_count: 0
    .symbol:         _ZN7rocprim17ROCPRIM_400000_NS6detail17trampoline_kernelINS0_14default_configENS1_20scan_config_selectorIsEEZZNS1_9scan_implILNS1_25lookback_scan_determinismE0ELb0ELb0ES3_N6thrust23THRUST_200600_302600_NS6detail15normal_iteratorINS9_10device_ptrIsEEEENS9_16discard_iteratorINS9_11use_defaultEEEsNS9_4plusIvEEsEEDaPvRmT3_T4_T5_mT6_P12ihipStream_tbENKUlT_T0_E_clISt17integral_constantIbLb1EESW_IbLb0EEEEDaSS_ST_EUlSS_E_NS1_11comp_targetILNS1_3genE5ELNS1_11target_archE942ELNS1_3gpuE9ELNS1_3repE0EEENS1_30default_config_static_selectorELNS0_4arch9wavefront6targetE1EEEvT1_.kd
    .uniform_work_group_size: 1
    .uses_dynamic_stack: false
    .vgpr_count:     0
    .vgpr_spill_count: 0
    .wavefront_size: 64
  - .agpr_count:     0
    .args:
      - .offset:         0
        .size:           104
        .value_kind:     by_value
    .group_segment_fixed_size: 3072
    .kernarg_segment_align: 8
    .kernarg_segment_size: 104
    .language:       OpenCL C
    .language_version:
      - 2
      - 0
    .max_flat_workgroup_size: 64
    .name:           _ZN7rocprim17ROCPRIM_400000_NS6detail17trampoline_kernelINS0_14default_configENS1_20scan_config_selectorIsEEZZNS1_9scan_implILNS1_25lookback_scan_determinismE0ELb0ELb0ES3_N6thrust23THRUST_200600_302600_NS6detail15normal_iteratorINS9_10device_ptrIsEEEENS9_16discard_iteratorINS9_11use_defaultEEEsNS9_4plusIvEEsEEDaPvRmT3_T4_T5_mT6_P12ihipStream_tbENKUlT_T0_E_clISt17integral_constantIbLb1EESW_IbLb0EEEEDaSS_ST_EUlSS_E_NS1_11comp_targetILNS1_3genE4ELNS1_11target_archE910ELNS1_3gpuE8ELNS1_3repE0EEENS1_30default_config_static_selectorELNS0_4arch9wavefront6targetE1EEEvT1_
    .private_segment_fixed_size: 0
    .sgpr_count:     30
    .sgpr_spill_count: 0
    .symbol:         _ZN7rocprim17ROCPRIM_400000_NS6detail17trampoline_kernelINS0_14default_configENS1_20scan_config_selectorIsEEZZNS1_9scan_implILNS1_25lookback_scan_determinismE0ELb0ELb0ES3_N6thrust23THRUST_200600_302600_NS6detail15normal_iteratorINS9_10device_ptrIsEEEENS9_16discard_iteratorINS9_11use_defaultEEEsNS9_4plusIvEEsEEDaPvRmT3_T4_T5_mT6_P12ihipStream_tbENKUlT_T0_E_clISt17integral_constantIbLb1EESW_IbLb0EEEEDaSS_ST_EUlSS_E_NS1_11comp_targetILNS1_3genE4ELNS1_11target_archE910ELNS1_3gpuE8ELNS1_3repE0EEENS1_30default_config_static_selectorELNS0_4arch9wavefront6targetE1EEEvT1_.kd
    .uniform_work_group_size: 1
    .uses_dynamic_stack: false
    .vgpr_count:     43
    .vgpr_spill_count: 0
    .wavefront_size: 64
  - .agpr_count:     0
    .args:
      - .offset:         0
        .size:           104
        .value_kind:     by_value
    .group_segment_fixed_size: 0
    .kernarg_segment_align: 8
    .kernarg_segment_size: 104
    .language:       OpenCL C
    .language_version:
      - 2
      - 0
    .max_flat_workgroup_size: 128
    .name:           _ZN7rocprim17ROCPRIM_400000_NS6detail17trampoline_kernelINS0_14default_configENS1_20scan_config_selectorIsEEZZNS1_9scan_implILNS1_25lookback_scan_determinismE0ELb0ELb0ES3_N6thrust23THRUST_200600_302600_NS6detail15normal_iteratorINS9_10device_ptrIsEEEENS9_16discard_iteratorINS9_11use_defaultEEEsNS9_4plusIvEEsEEDaPvRmT3_T4_T5_mT6_P12ihipStream_tbENKUlT_T0_E_clISt17integral_constantIbLb1EESW_IbLb0EEEEDaSS_ST_EUlSS_E_NS1_11comp_targetILNS1_3genE3ELNS1_11target_archE908ELNS1_3gpuE7ELNS1_3repE0EEENS1_30default_config_static_selectorELNS0_4arch9wavefront6targetE1EEEvT1_
    .private_segment_fixed_size: 0
    .sgpr_count:     4
    .sgpr_spill_count: 0
    .symbol:         _ZN7rocprim17ROCPRIM_400000_NS6detail17trampoline_kernelINS0_14default_configENS1_20scan_config_selectorIsEEZZNS1_9scan_implILNS1_25lookback_scan_determinismE0ELb0ELb0ES3_N6thrust23THRUST_200600_302600_NS6detail15normal_iteratorINS9_10device_ptrIsEEEENS9_16discard_iteratorINS9_11use_defaultEEEsNS9_4plusIvEEsEEDaPvRmT3_T4_T5_mT6_P12ihipStream_tbENKUlT_T0_E_clISt17integral_constantIbLb1EESW_IbLb0EEEEDaSS_ST_EUlSS_E_NS1_11comp_targetILNS1_3genE3ELNS1_11target_archE908ELNS1_3gpuE7ELNS1_3repE0EEENS1_30default_config_static_selectorELNS0_4arch9wavefront6targetE1EEEvT1_.kd
    .uniform_work_group_size: 1
    .uses_dynamic_stack: false
    .vgpr_count:     0
    .vgpr_spill_count: 0
    .wavefront_size: 64
  - .agpr_count:     0
    .args:
      - .offset:         0
        .size:           104
        .value_kind:     by_value
    .group_segment_fixed_size: 0
    .kernarg_segment_align: 8
    .kernarg_segment_size: 104
    .language:       OpenCL C
    .language_version:
      - 2
      - 0
    .max_flat_workgroup_size: 256
    .name:           _ZN7rocprim17ROCPRIM_400000_NS6detail17trampoline_kernelINS0_14default_configENS1_20scan_config_selectorIsEEZZNS1_9scan_implILNS1_25lookback_scan_determinismE0ELb0ELb0ES3_N6thrust23THRUST_200600_302600_NS6detail15normal_iteratorINS9_10device_ptrIsEEEENS9_16discard_iteratorINS9_11use_defaultEEEsNS9_4plusIvEEsEEDaPvRmT3_T4_T5_mT6_P12ihipStream_tbENKUlT_T0_E_clISt17integral_constantIbLb1EESW_IbLb0EEEEDaSS_ST_EUlSS_E_NS1_11comp_targetILNS1_3genE2ELNS1_11target_archE906ELNS1_3gpuE6ELNS1_3repE0EEENS1_30default_config_static_selectorELNS0_4arch9wavefront6targetE1EEEvT1_
    .private_segment_fixed_size: 0
    .sgpr_count:     4
    .sgpr_spill_count: 0
    .symbol:         _ZN7rocprim17ROCPRIM_400000_NS6detail17trampoline_kernelINS0_14default_configENS1_20scan_config_selectorIsEEZZNS1_9scan_implILNS1_25lookback_scan_determinismE0ELb0ELb0ES3_N6thrust23THRUST_200600_302600_NS6detail15normal_iteratorINS9_10device_ptrIsEEEENS9_16discard_iteratorINS9_11use_defaultEEEsNS9_4plusIvEEsEEDaPvRmT3_T4_T5_mT6_P12ihipStream_tbENKUlT_T0_E_clISt17integral_constantIbLb1EESW_IbLb0EEEEDaSS_ST_EUlSS_E_NS1_11comp_targetILNS1_3genE2ELNS1_11target_archE906ELNS1_3gpuE6ELNS1_3repE0EEENS1_30default_config_static_selectorELNS0_4arch9wavefront6targetE1EEEvT1_.kd
    .uniform_work_group_size: 1
    .uses_dynamic_stack: false
    .vgpr_count:     0
    .vgpr_spill_count: 0
    .wavefront_size: 64
  - .agpr_count:     0
    .args:
      - .offset:         0
        .size:           104
        .value_kind:     by_value
    .group_segment_fixed_size: 0
    .kernarg_segment_align: 8
    .kernarg_segment_size: 104
    .language:       OpenCL C
    .language_version:
      - 2
      - 0
    .max_flat_workgroup_size: 256
    .name:           _ZN7rocprim17ROCPRIM_400000_NS6detail17trampoline_kernelINS0_14default_configENS1_20scan_config_selectorIsEEZZNS1_9scan_implILNS1_25lookback_scan_determinismE0ELb0ELb0ES3_N6thrust23THRUST_200600_302600_NS6detail15normal_iteratorINS9_10device_ptrIsEEEENS9_16discard_iteratorINS9_11use_defaultEEEsNS9_4plusIvEEsEEDaPvRmT3_T4_T5_mT6_P12ihipStream_tbENKUlT_T0_E_clISt17integral_constantIbLb1EESW_IbLb0EEEEDaSS_ST_EUlSS_E_NS1_11comp_targetILNS1_3genE10ELNS1_11target_archE1201ELNS1_3gpuE5ELNS1_3repE0EEENS1_30default_config_static_selectorELNS0_4arch9wavefront6targetE1EEEvT1_
    .private_segment_fixed_size: 0
    .sgpr_count:     4
    .sgpr_spill_count: 0
    .symbol:         _ZN7rocprim17ROCPRIM_400000_NS6detail17trampoline_kernelINS0_14default_configENS1_20scan_config_selectorIsEEZZNS1_9scan_implILNS1_25lookback_scan_determinismE0ELb0ELb0ES3_N6thrust23THRUST_200600_302600_NS6detail15normal_iteratorINS9_10device_ptrIsEEEENS9_16discard_iteratorINS9_11use_defaultEEEsNS9_4plusIvEEsEEDaPvRmT3_T4_T5_mT6_P12ihipStream_tbENKUlT_T0_E_clISt17integral_constantIbLb1EESW_IbLb0EEEEDaSS_ST_EUlSS_E_NS1_11comp_targetILNS1_3genE10ELNS1_11target_archE1201ELNS1_3gpuE5ELNS1_3repE0EEENS1_30default_config_static_selectorELNS0_4arch9wavefront6targetE1EEEvT1_.kd
    .uniform_work_group_size: 1
    .uses_dynamic_stack: false
    .vgpr_count:     0
    .vgpr_spill_count: 0
    .wavefront_size: 64
  - .agpr_count:     0
    .args:
      - .offset:         0
        .size:           104
        .value_kind:     by_value
    .group_segment_fixed_size: 0
    .kernarg_segment_align: 8
    .kernarg_segment_size: 104
    .language:       OpenCL C
    .language_version:
      - 2
      - 0
    .max_flat_workgroup_size: 256
    .name:           _ZN7rocprim17ROCPRIM_400000_NS6detail17trampoline_kernelINS0_14default_configENS1_20scan_config_selectorIsEEZZNS1_9scan_implILNS1_25lookback_scan_determinismE0ELb0ELb0ES3_N6thrust23THRUST_200600_302600_NS6detail15normal_iteratorINS9_10device_ptrIsEEEENS9_16discard_iteratorINS9_11use_defaultEEEsNS9_4plusIvEEsEEDaPvRmT3_T4_T5_mT6_P12ihipStream_tbENKUlT_T0_E_clISt17integral_constantIbLb1EESW_IbLb0EEEEDaSS_ST_EUlSS_E_NS1_11comp_targetILNS1_3genE10ELNS1_11target_archE1200ELNS1_3gpuE4ELNS1_3repE0EEENS1_30default_config_static_selectorELNS0_4arch9wavefront6targetE1EEEvT1_
    .private_segment_fixed_size: 0
    .sgpr_count:     4
    .sgpr_spill_count: 0
    .symbol:         _ZN7rocprim17ROCPRIM_400000_NS6detail17trampoline_kernelINS0_14default_configENS1_20scan_config_selectorIsEEZZNS1_9scan_implILNS1_25lookback_scan_determinismE0ELb0ELb0ES3_N6thrust23THRUST_200600_302600_NS6detail15normal_iteratorINS9_10device_ptrIsEEEENS9_16discard_iteratorINS9_11use_defaultEEEsNS9_4plusIvEEsEEDaPvRmT3_T4_T5_mT6_P12ihipStream_tbENKUlT_T0_E_clISt17integral_constantIbLb1EESW_IbLb0EEEEDaSS_ST_EUlSS_E_NS1_11comp_targetILNS1_3genE10ELNS1_11target_archE1200ELNS1_3gpuE4ELNS1_3repE0EEENS1_30default_config_static_selectorELNS0_4arch9wavefront6targetE1EEEvT1_.kd
    .uniform_work_group_size: 1
    .uses_dynamic_stack: false
    .vgpr_count:     0
    .vgpr_spill_count: 0
    .wavefront_size: 64
  - .agpr_count:     0
    .args:
      - .offset:         0
        .size:           104
        .value_kind:     by_value
    .group_segment_fixed_size: 0
    .kernarg_segment_align: 8
    .kernarg_segment_size: 104
    .language:       OpenCL C
    .language_version:
      - 2
      - 0
    .max_flat_workgroup_size: 64
    .name:           _ZN7rocprim17ROCPRIM_400000_NS6detail17trampoline_kernelINS0_14default_configENS1_20scan_config_selectorIsEEZZNS1_9scan_implILNS1_25lookback_scan_determinismE0ELb0ELb0ES3_N6thrust23THRUST_200600_302600_NS6detail15normal_iteratorINS9_10device_ptrIsEEEENS9_16discard_iteratorINS9_11use_defaultEEEsNS9_4plusIvEEsEEDaPvRmT3_T4_T5_mT6_P12ihipStream_tbENKUlT_T0_E_clISt17integral_constantIbLb1EESW_IbLb0EEEEDaSS_ST_EUlSS_E_NS1_11comp_targetILNS1_3genE9ELNS1_11target_archE1100ELNS1_3gpuE3ELNS1_3repE0EEENS1_30default_config_static_selectorELNS0_4arch9wavefront6targetE1EEEvT1_
    .private_segment_fixed_size: 0
    .sgpr_count:     4
    .sgpr_spill_count: 0
    .symbol:         _ZN7rocprim17ROCPRIM_400000_NS6detail17trampoline_kernelINS0_14default_configENS1_20scan_config_selectorIsEEZZNS1_9scan_implILNS1_25lookback_scan_determinismE0ELb0ELb0ES3_N6thrust23THRUST_200600_302600_NS6detail15normal_iteratorINS9_10device_ptrIsEEEENS9_16discard_iteratorINS9_11use_defaultEEEsNS9_4plusIvEEsEEDaPvRmT3_T4_T5_mT6_P12ihipStream_tbENKUlT_T0_E_clISt17integral_constantIbLb1EESW_IbLb0EEEEDaSS_ST_EUlSS_E_NS1_11comp_targetILNS1_3genE9ELNS1_11target_archE1100ELNS1_3gpuE3ELNS1_3repE0EEENS1_30default_config_static_selectorELNS0_4arch9wavefront6targetE1EEEvT1_.kd
    .uniform_work_group_size: 1
    .uses_dynamic_stack: false
    .vgpr_count:     0
    .vgpr_spill_count: 0
    .wavefront_size: 64
  - .agpr_count:     0
    .args:
      - .offset:         0
        .size:           104
        .value_kind:     by_value
    .group_segment_fixed_size: 0
    .kernarg_segment_align: 8
    .kernarg_segment_size: 104
    .language:       OpenCL C
    .language_version:
      - 2
      - 0
    .max_flat_workgroup_size: 64
    .name:           _ZN7rocprim17ROCPRIM_400000_NS6detail17trampoline_kernelINS0_14default_configENS1_20scan_config_selectorIsEEZZNS1_9scan_implILNS1_25lookback_scan_determinismE0ELb0ELb0ES3_N6thrust23THRUST_200600_302600_NS6detail15normal_iteratorINS9_10device_ptrIsEEEENS9_16discard_iteratorINS9_11use_defaultEEEsNS9_4plusIvEEsEEDaPvRmT3_T4_T5_mT6_P12ihipStream_tbENKUlT_T0_E_clISt17integral_constantIbLb1EESW_IbLb0EEEEDaSS_ST_EUlSS_E_NS1_11comp_targetILNS1_3genE8ELNS1_11target_archE1030ELNS1_3gpuE2ELNS1_3repE0EEENS1_30default_config_static_selectorELNS0_4arch9wavefront6targetE1EEEvT1_
    .private_segment_fixed_size: 0
    .sgpr_count:     4
    .sgpr_spill_count: 0
    .symbol:         _ZN7rocprim17ROCPRIM_400000_NS6detail17trampoline_kernelINS0_14default_configENS1_20scan_config_selectorIsEEZZNS1_9scan_implILNS1_25lookback_scan_determinismE0ELb0ELb0ES3_N6thrust23THRUST_200600_302600_NS6detail15normal_iteratorINS9_10device_ptrIsEEEENS9_16discard_iteratorINS9_11use_defaultEEEsNS9_4plusIvEEsEEDaPvRmT3_T4_T5_mT6_P12ihipStream_tbENKUlT_T0_E_clISt17integral_constantIbLb1EESW_IbLb0EEEEDaSS_ST_EUlSS_E_NS1_11comp_targetILNS1_3genE8ELNS1_11target_archE1030ELNS1_3gpuE2ELNS1_3repE0EEENS1_30default_config_static_selectorELNS0_4arch9wavefront6targetE1EEEvT1_.kd
    .uniform_work_group_size: 1
    .uses_dynamic_stack: false
    .vgpr_count:     0
    .vgpr_spill_count: 0
    .wavefront_size: 64
  - .agpr_count:     0
    .args:
      - .offset:         0
        .size:           40
        .value_kind:     by_value
    .group_segment_fixed_size: 0
    .kernarg_segment_align: 8
    .kernarg_segment_size: 40
    .language:       OpenCL C
    .language_version:
      - 2
      - 0
    .max_flat_workgroup_size: 128
    .name:           _ZN7rocprim17ROCPRIM_400000_NS6detail17trampoline_kernelINS0_14default_configENS1_20scan_config_selectorIsEEZZNS1_9scan_implILNS1_25lookback_scan_determinismE0ELb0ELb0ES3_N6thrust23THRUST_200600_302600_NS6detail15normal_iteratorINS9_10device_ptrIsEEEENS9_16discard_iteratorINS9_11use_defaultEEEsNS9_4plusIvEEsEEDaPvRmT3_T4_T5_mT6_P12ihipStream_tbENKUlT_T0_E_clISt17integral_constantIbLb1EESW_IbLb0EEEEDaSS_ST_EUlSS_E0_NS1_11comp_targetILNS1_3genE0ELNS1_11target_archE4294967295ELNS1_3gpuE0ELNS1_3repE0EEENS1_30default_config_static_selectorELNS0_4arch9wavefront6targetE1EEEvT1_
    .private_segment_fixed_size: 0
    .sgpr_count:     4
    .sgpr_spill_count: 0
    .symbol:         _ZN7rocprim17ROCPRIM_400000_NS6detail17trampoline_kernelINS0_14default_configENS1_20scan_config_selectorIsEEZZNS1_9scan_implILNS1_25lookback_scan_determinismE0ELb0ELb0ES3_N6thrust23THRUST_200600_302600_NS6detail15normal_iteratorINS9_10device_ptrIsEEEENS9_16discard_iteratorINS9_11use_defaultEEEsNS9_4plusIvEEsEEDaPvRmT3_T4_T5_mT6_P12ihipStream_tbENKUlT_T0_E_clISt17integral_constantIbLb1EESW_IbLb0EEEEDaSS_ST_EUlSS_E0_NS1_11comp_targetILNS1_3genE0ELNS1_11target_archE4294967295ELNS1_3gpuE0ELNS1_3repE0EEENS1_30default_config_static_selectorELNS0_4arch9wavefront6targetE1EEEvT1_.kd
    .uniform_work_group_size: 1
    .uses_dynamic_stack: false
    .vgpr_count:     0
    .vgpr_spill_count: 0
    .wavefront_size: 64
  - .agpr_count:     0
    .args:
      - .offset:         0
        .size:           40
        .value_kind:     by_value
    .group_segment_fixed_size: 0
    .kernarg_segment_align: 8
    .kernarg_segment_size: 40
    .language:       OpenCL C
    .language_version:
      - 2
      - 0
    .max_flat_workgroup_size: 256
    .name:           _ZN7rocprim17ROCPRIM_400000_NS6detail17trampoline_kernelINS0_14default_configENS1_20scan_config_selectorIsEEZZNS1_9scan_implILNS1_25lookback_scan_determinismE0ELb0ELb0ES3_N6thrust23THRUST_200600_302600_NS6detail15normal_iteratorINS9_10device_ptrIsEEEENS9_16discard_iteratorINS9_11use_defaultEEEsNS9_4plusIvEEsEEDaPvRmT3_T4_T5_mT6_P12ihipStream_tbENKUlT_T0_E_clISt17integral_constantIbLb1EESW_IbLb0EEEEDaSS_ST_EUlSS_E0_NS1_11comp_targetILNS1_3genE5ELNS1_11target_archE942ELNS1_3gpuE9ELNS1_3repE0EEENS1_30default_config_static_selectorELNS0_4arch9wavefront6targetE1EEEvT1_
    .private_segment_fixed_size: 0
    .sgpr_count:     4
    .sgpr_spill_count: 0
    .symbol:         _ZN7rocprim17ROCPRIM_400000_NS6detail17trampoline_kernelINS0_14default_configENS1_20scan_config_selectorIsEEZZNS1_9scan_implILNS1_25lookback_scan_determinismE0ELb0ELb0ES3_N6thrust23THRUST_200600_302600_NS6detail15normal_iteratorINS9_10device_ptrIsEEEENS9_16discard_iteratorINS9_11use_defaultEEEsNS9_4plusIvEEsEEDaPvRmT3_T4_T5_mT6_P12ihipStream_tbENKUlT_T0_E_clISt17integral_constantIbLb1EESW_IbLb0EEEEDaSS_ST_EUlSS_E0_NS1_11comp_targetILNS1_3genE5ELNS1_11target_archE942ELNS1_3gpuE9ELNS1_3repE0EEENS1_30default_config_static_selectorELNS0_4arch9wavefront6targetE1EEEvT1_.kd
    .uniform_work_group_size: 1
    .uses_dynamic_stack: false
    .vgpr_count:     0
    .vgpr_spill_count: 0
    .wavefront_size: 64
  - .agpr_count:     0
    .args:
      - .offset:         0
        .size:           40
        .value_kind:     by_value
    .group_segment_fixed_size: 3072
    .kernarg_segment_align: 8
    .kernarg_segment_size: 40
    .language:       OpenCL C
    .language_version:
      - 2
      - 0
    .max_flat_workgroup_size: 64
    .name:           _ZN7rocprim17ROCPRIM_400000_NS6detail17trampoline_kernelINS0_14default_configENS1_20scan_config_selectorIsEEZZNS1_9scan_implILNS1_25lookback_scan_determinismE0ELb0ELb0ES3_N6thrust23THRUST_200600_302600_NS6detail15normal_iteratorINS9_10device_ptrIsEEEENS9_16discard_iteratorINS9_11use_defaultEEEsNS9_4plusIvEEsEEDaPvRmT3_T4_T5_mT6_P12ihipStream_tbENKUlT_T0_E_clISt17integral_constantIbLb1EESW_IbLb0EEEEDaSS_ST_EUlSS_E0_NS1_11comp_targetILNS1_3genE4ELNS1_11target_archE910ELNS1_3gpuE8ELNS1_3repE0EEENS1_30default_config_static_selectorELNS0_4arch9wavefront6targetE1EEEvT1_
    .private_segment_fixed_size: 0
    .sgpr_count:     10
    .sgpr_spill_count: 0
    .symbol:         _ZN7rocprim17ROCPRIM_400000_NS6detail17trampoline_kernelINS0_14default_configENS1_20scan_config_selectorIsEEZZNS1_9scan_implILNS1_25lookback_scan_determinismE0ELb0ELb0ES3_N6thrust23THRUST_200600_302600_NS6detail15normal_iteratorINS9_10device_ptrIsEEEENS9_16discard_iteratorINS9_11use_defaultEEEsNS9_4plusIvEEsEEDaPvRmT3_T4_T5_mT6_P12ihipStream_tbENKUlT_T0_E_clISt17integral_constantIbLb1EESW_IbLb0EEEEDaSS_ST_EUlSS_E0_NS1_11comp_targetILNS1_3genE4ELNS1_11target_archE910ELNS1_3gpuE8ELNS1_3repE0EEENS1_30default_config_static_selectorELNS0_4arch9wavefront6targetE1EEEvT1_.kd
    .uniform_work_group_size: 1
    .uses_dynamic_stack: false
    .vgpr_count:     41
    .vgpr_spill_count: 0
    .wavefront_size: 64
  - .agpr_count:     0
    .args:
      - .offset:         0
        .size:           40
        .value_kind:     by_value
    .group_segment_fixed_size: 0
    .kernarg_segment_align: 8
    .kernarg_segment_size: 40
    .language:       OpenCL C
    .language_version:
      - 2
      - 0
    .max_flat_workgroup_size: 128
    .name:           _ZN7rocprim17ROCPRIM_400000_NS6detail17trampoline_kernelINS0_14default_configENS1_20scan_config_selectorIsEEZZNS1_9scan_implILNS1_25lookback_scan_determinismE0ELb0ELb0ES3_N6thrust23THRUST_200600_302600_NS6detail15normal_iteratorINS9_10device_ptrIsEEEENS9_16discard_iteratorINS9_11use_defaultEEEsNS9_4plusIvEEsEEDaPvRmT3_T4_T5_mT6_P12ihipStream_tbENKUlT_T0_E_clISt17integral_constantIbLb1EESW_IbLb0EEEEDaSS_ST_EUlSS_E0_NS1_11comp_targetILNS1_3genE3ELNS1_11target_archE908ELNS1_3gpuE7ELNS1_3repE0EEENS1_30default_config_static_selectorELNS0_4arch9wavefront6targetE1EEEvT1_
    .private_segment_fixed_size: 0
    .sgpr_count:     4
    .sgpr_spill_count: 0
    .symbol:         _ZN7rocprim17ROCPRIM_400000_NS6detail17trampoline_kernelINS0_14default_configENS1_20scan_config_selectorIsEEZZNS1_9scan_implILNS1_25lookback_scan_determinismE0ELb0ELb0ES3_N6thrust23THRUST_200600_302600_NS6detail15normal_iteratorINS9_10device_ptrIsEEEENS9_16discard_iteratorINS9_11use_defaultEEEsNS9_4plusIvEEsEEDaPvRmT3_T4_T5_mT6_P12ihipStream_tbENKUlT_T0_E_clISt17integral_constantIbLb1EESW_IbLb0EEEEDaSS_ST_EUlSS_E0_NS1_11comp_targetILNS1_3genE3ELNS1_11target_archE908ELNS1_3gpuE7ELNS1_3repE0EEENS1_30default_config_static_selectorELNS0_4arch9wavefront6targetE1EEEvT1_.kd
    .uniform_work_group_size: 1
    .uses_dynamic_stack: false
    .vgpr_count:     0
    .vgpr_spill_count: 0
    .wavefront_size: 64
  - .agpr_count:     0
    .args:
      - .offset:         0
        .size:           40
        .value_kind:     by_value
    .group_segment_fixed_size: 0
    .kernarg_segment_align: 8
    .kernarg_segment_size: 40
    .language:       OpenCL C
    .language_version:
      - 2
      - 0
    .max_flat_workgroup_size: 256
    .name:           _ZN7rocprim17ROCPRIM_400000_NS6detail17trampoline_kernelINS0_14default_configENS1_20scan_config_selectorIsEEZZNS1_9scan_implILNS1_25lookback_scan_determinismE0ELb0ELb0ES3_N6thrust23THRUST_200600_302600_NS6detail15normal_iteratorINS9_10device_ptrIsEEEENS9_16discard_iteratorINS9_11use_defaultEEEsNS9_4plusIvEEsEEDaPvRmT3_T4_T5_mT6_P12ihipStream_tbENKUlT_T0_E_clISt17integral_constantIbLb1EESW_IbLb0EEEEDaSS_ST_EUlSS_E0_NS1_11comp_targetILNS1_3genE2ELNS1_11target_archE906ELNS1_3gpuE6ELNS1_3repE0EEENS1_30default_config_static_selectorELNS0_4arch9wavefront6targetE1EEEvT1_
    .private_segment_fixed_size: 0
    .sgpr_count:     4
    .sgpr_spill_count: 0
    .symbol:         _ZN7rocprim17ROCPRIM_400000_NS6detail17trampoline_kernelINS0_14default_configENS1_20scan_config_selectorIsEEZZNS1_9scan_implILNS1_25lookback_scan_determinismE0ELb0ELb0ES3_N6thrust23THRUST_200600_302600_NS6detail15normal_iteratorINS9_10device_ptrIsEEEENS9_16discard_iteratorINS9_11use_defaultEEEsNS9_4plusIvEEsEEDaPvRmT3_T4_T5_mT6_P12ihipStream_tbENKUlT_T0_E_clISt17integral_constantIbLb1EESW_IbLb0EEEEDaSS_ST_EUlSS_E0_NS1_11comp_targetILNS1_3genE2ELNS1_11target_archE906ELNS1_3gpuE6ELNS1_3repE0EEENS1_30default_config_static_selectorELNS0_4arch9wavefront6targetE1EEEvT1_.kd
    .uniform_work_group_size: 1
    .uses_dynamic_stack: false
    .vgpr_count:     0
    .vgpr_spill_count: 0
    .wavefront_size: 64
  - .agpr_count:     0
    .args:
      - .offset:         0
        .size:           40
        .value_kind:     by_value
    .group_segment_fixed_size: 0
    .kernarg_segment_align: 8
    .kernarg_segment_size: 40
    .language:       OpenCL C
    .language_version:
      - 2
      - 0
    .max_flat_workgroup_size: 256
    .name:           _ZN7rocprim17ROCPRIM_400000_NS6detail17trampoline_kernelINS0_14default_configENS1_20scan_config_selectorIsEEZZNS1_9scan_implILNS1_25lookback_scan_determinismE0ELb0ELb0ES3_N6thrust23THRUST_200600_302600_NS6detail15normal_iteratorINS9_10device_ptrIsEEEENS9_16discard_iteratorINS9_11use_defaultEEEsNS9_4plusIvEEsEEDaPvRmT3_T4_T5_mT6_P12ihipStream_tbENKUlT_T0_E_clISt17integral_constantIbLb1EESW_IbLb0EEEEDaSS_ST_EUlSS_E0_NS1_11comp_targetILNS1_3genE10ELNS1_11target_archE1201ELNS1_3gpuE5ELNS1_3repE0EEENS1_30default_config_static_selectorELNS0_4arch9wavefront6targetE1EEEvT1_
    .private_segment_fixed_size: 0
    .sgpr_count:     4
    .sgpr_spill_count: 0
    .symbol:         _ZN7rocprim17ROCPRIM_400000_NS6detail17trampoline_kernelINS0_14default_configENS1_20scan_config_selectorIsEEZZNS1_9scan_implILNS1_25lookback_scan_determinismE0ELb0ELb0ES3_N6thrust23THRUST_200600_302600_NS6detail15normal_iteratorINS9_10device_ptrIsEEEENS9_16discard_iteratorINS9_11use_defaultEEEsNS9_4plusIvEEsEEDaPvRmT3_T4_T5_mT6_P12ihipStream_tbENKUlT_T0_E_clISt17integral_constantIbLb1EESW_IbLb0EEEEDaSS_ST_EUlSS_E0_NS1_11comp_targetILNS1_3genE10ELNS1_11target_archE1201ELNS1_3gpuE5ELNS1_3repE0EEENS1_30default_config_static_selectorELNS0_4arch9wavefront6targetE1EEEvT1_.kd
    .uniform_work_group_size: 1
    .uses_dynamic_stack: false
    .vgpr_count:     0
    .vgpr_spill_count: 0
    .wavefront_size: 64
  - .agpr_count:     0
    .args:
      - .offset:         0
        .size:           40
        .value_kind:     by_value
    .group_segment_fixed_size: 0
    .kernarg_segment_align: 8
    .kernarg_segment_size: 40
    .language:       OpenCL C
    .language_version:
      - 2
      - 0
    .max_flat_workgroup_size: 256
    .name:           _ZN7rocprim17ROCPRIM_400000_NS6detail17trampoline_kernelINS0_14default_configENS1_20scan_config_selectorIsEEZZNS1_9scan_implILNS1_25lookback_scan_determinismE0ELb0ELb0ES3_N6thrust23THRUST_200600_302600_NS6detail15normal_iteratorINS9_10device_ptrIsEEEENS9_16discard_iteratorINS9_11use_defaultEEEsNS9_4plusIvEEsEEDaPvRmT3_T4_T5_mT6_P12ihipStream_tbENKUlT_T0_E_clISt17integral_constantIbLb1EESW_IbLb0EEEEDaSS_ST_EUlSS_E0_NS1_11comp_targetILNS1_3genE10ELNS1_11target_archE1200ELNS1_3gpuE4ELNS1_3repE0EEENS1_30default_config_static_selectorELNS0_4arch9wavefront6targetE1EEEvT1_
    .private_segment_fixed_size: 0
    .sgpr_count:     4
    .sgpr_spill_count: 0
    .symbol:         _ZN7rocprim17ROCPRIM_400000_NS6detail17trampoline_kernelINS0_14default_configENS1_20scan_config_selectorIsEEZZNS1_9scan_implILNS1_25lookback_scan_determinismE0ELb0ELb0ES3_N6thrust23THRUST_200600_302600_NS6detail15normal_iteratorINS9_10device_ptrIsEEEENS9_16discard_iteratorINS9_11use_defaultEEEsNS9_4plusIvEEsEEDaPvRmT3_T4_T5_mT6_P12ihipStream_tbENKUlT_T0_E_clISt17integral_constantIbLb1EESW_IbLb0EEEEDaSS_ST_EUlSS_E0_NS1_11comp_targetILNS1_3genE10ELNS1_11target_archE1200ELNS1_3gpuE4ELNS1_3repE0EEENS1_30default_config_static_selectorELNS0_4arch9wavefront6targetE1EEEvT1_.kd
    .uniform_work_group_size: 1
    .uses_dynamic_stack: false
    .vgpr_count:     0
    .vgpr_spill_count: 0
    .wavefront_size: 64
  - .agpr_count:     0
    .args:
      - .offset:         0
        .size:           40
        .value_kind:     by_value
    .group_segment_fixed_size: 0
    .kernarg_segment_align: 8
    .kernarg_segment_size: 40
    .language:       OpenCL C
    .language_version:
      - 2
      - 0
    .max_flat_workgroup_size: 64
    .name:           _ZN7rocprim17ROCPRIM_400000_NS6detail17trampoline_kernelINS0_14default_configENS1_20scan_config_selectorIsEEZZNS1_9scan_implILNS1_25lookback_scan_determinismE0ELb0ELb0ES3_N6thrust23THRUST_200600_302600_NS6detail15normal_iteratorINS9_10device_ptrIsEEEENS9_16discard_iteratorINS9_11use_defaultEEEsNS9_4plusIvEEsEEDaPvRmT3_T4_T5_mT6_P12ihipStream_tbENKUlT_T0_E_clISt17integral_constantIbLb1EESW_IbLb0EEEEDaSS_ST_EUlSS_E0_NS1_11comp_targetILNS1_3genE9ELNS1_11target_archE1100ELNS1_3gpuE3ELNS1_3repE0EEENS1_30default_config_static_selectorELNS0_4arch9wavefront6targetE1EEEvT1_
    .private_segment_fixed_size: 0
    .sgpr_count:     4
    .sgpr_spill_count: 0
    .symbol:         _ZN7rocprim17ROCPRIM_400000_NS6detail17trampoline_kernelINS0_14default_configENS1_20scan_config_selectorIsEEZZNS1_9scan_implILNS1_25lookback_scan_determinismE0ELb0ELb0ES3_N6thrust23THRUST_200600_302600_NS6detail15normal_iteratorINS9_10device_ptrIsEEEENS9_16discard_iteratorINS9_11use_defaultEEEsNS9_4plusIvEEsEEDaPvRmT3_T4_T5_mT6_P12ihipStream_tbENKUlT_T0_E_clISt17integral_constantIbLb1EESW_IbLb0EEEEDaSS_ST_EUlSS_E0_NS1_11comp_targetILNS1_3genE9ELNS1_11target_archE1100ELNS1_3gpuE3ELNS1_3repE0EEENS1_30default_config_static_selectorELNS0_4arch9wavefront6targetE1EEEvT1_.kd
    .uniform_work_group_size: 1
    .uses_dynamic_stack: false
    .vgpr_count:     0
    .vgpr_spill_count: 0
    .wavefront_size: 64
  - .agpr_count:     0
    .args:
      - .offset:         0
        .size:           40
        .value_kind:     by_value
    .group_segment_fixed_size: 0
    .kernarg_segment_align: 8
    .kernarg_segment_size: 40
    .language:       OpenCL C
    .language_version:
      - 2
      - 0
    .max_flat_workgroup_size: 64
    .name:           _ZN7rocprim17ROCPRIM_400000_NS6detail17trampoline_kernelINS0_14default_configENS1_20scan_config_selectorIsEEZZNS1_9scan_implILNS1_25lookback_scan_determinismE0ELb0ELb0ES3_N6thrust23THRUST_200600_302600_NS6detail15normal_iteratorINS9_10device_ptrIsEEEENS9_16discard_iteratorINS9_11use_defaultEEEsNS9_4plusIvEEsEEDaPvRmT3_T4_T5_mT6_P12ihipStream_tbENKUlT_T0_E_clISt17integral_constantIbLb1EESW_IbLb0EEEEDaSS_ST_EUlSS_E0_NS1_11comp_targetILNS1_3genE8ELNS1_11target_archE1030ELNS1_3gpuE2ELNS1_3repE0EEENS1_30default_config_static_selectorELNS0_4arch9wavefront6targetE1EEEvT1_
    .private_segment_fixed_size: 0
    .sgpr_count:     4
    .sgpr_spill_count: 0
    .symbol:         _ZN7rocprim17ROCPRIM_400000_NS6detail17trampoline_kernelINS0_14default_configENS1_20scan_config_selectorIsEEZZNS1_9scan_implILNS1_25lookback_scan_determinismE0ELb0ELb0ES3_N6thrust23THRUST_200600_302600_NS6detail15normal_iteratorINS9_10device_ptrIsEEEENS9_16discard_iteratorINS9_11use_defaultEEEsNS9_4plusIvEEsEEDaPvRmT3_T4_T5_mT6_P12ihipStream_tbENKUlT_T0_E_clISt17integral_constantIbLb1EESW_IbLb0EEEEDaSS_ST_EUlSS_E0_NS1_11comp_targetILNS1_3genE8ELNS1_11target_archE1030ELNS1_3gpuE2ELNS1_3repE0EEENS1_30default_config_static_selectorELNS0_4arch9wavefront6targetE1EEEvT1_.kd
    .uniform_work_group_size: 1
    .uses_dynamic_stack: false
    .vgpr_count:     0
    .vgpr_spill_count: 0
    .wavefront_size: 64
  - .agpr_count:     0
    .args:
      - .offset:         0
        .size:           104
        .value_kind:     by_value
    .group_segment_fixed_size: 0
    .kernarg_segment_align: 8
    .kernarg_segment_size: 104
    .language:       OpenCL C
    .language_version:
      - 2
      - 0
    .max_flat_workgroup_size: 128
    .name:           _ZN7rocprim17ROCPRIM_400000_NS6detail17trampoline_kernelINS0_14default_configENS1_20scan_config_selectorIsEEZZNS1_9scan_implILNS1_25lookback_scan_determinismE0ELb0ELb0ES3_N6thrust23THRUST_200600_302600_NS6detail15normal_iteratorINS9_10device_ptrIsEEEENS9_16discard_iteratorINS9_11use_defaultEEEsNS9_4plusIvEEsEEDaPvRmT3_T4_T5_mT6_P12ihipStream_tbENKUlT_T0_E_clISt17integral_constantIbLb0EESW_IbLb1EEEEDaSS_ST_EUlSS_E_NS1_11comp_targetILNS1_3genE0ELNS1_11target_archE4294967295ELNS1_3gpuE0ELNS1_3repE0EEENS1_30default_config_static_selectorELNS0_4arch9wavefront6targetE1EEEvT1_
    .private_segment_fixed_size: 0
    .sgpr_count:     4
    .sgpr_spill_count: 0
    .symbol:         _ZN7rocprim17ROCPRIM_400000_NS6detail17trampoline_kernelINS0_14default_configENS1_20scan_config_selectorIsEEZZNS1_9scan_implILNS1_25lookback_scan_determinismE0ELb0ELb0ES3_N6thrust23THRUST_200600_302600_NS6detail15normal_iteratorINS9_10device_ptrIsEEEENS9_16discard_iteratorINS9_11use_defaultEEEsNS9_4plusIvEEsEEDaPvRmT3_T4_T5_mT6_P12ihipStream_tbENKUlT_T0_E_clISt17integral_constantIbLb0EESW_IbLb1EEEEDaSS_ST_EUlSS_E_NS1_11comp_targetILNS1_3genE0ELNS1_11target_archE4294967295ELNS1_3gpuE0ELNS1_3repE0EEENS1_30default_config_static_selectorELNS0_4arch9wavefront6targetE1EEEvT1_.kd
    .uniform_work_group_size: 1
    .uses_dynamic_stack: false
    .vgpr_count:     0
    .vgpr_spill_count: 0
    .wavefront_size: 64
  - .agpr_count:     0
    .args:
      - .offset:         0
        .size:           104
        .value_kind:     by_value
    .group_segment_fixed_size: 0
    .kernarg_segment_align: 8
    .kernarg_segment_size: 104
    .language:       OpenCL C
    .language_version:
      - 2
      - 0
    .max_flat_workgroup_size: 256
    .name:           _ZN7rocprim17ROCPRIM_400000_NS6detail17trampoline_kernelINS0_14default_configENS1_20scan_config_selectorIsEEZZNS1_9scan_implILNS1_25lookback_scan_determinismE0ELb0ELb0ES3_N6thrust23THRUST_200600_302600_NS6detail15normal_iteratorINS9_10device_ptrIsEEEENS9_16discard_iteratorINS9_11use_defaultEEEsNS9_4plusIvEEsEEDaPvRmT3_T4_T5_mT6_P12ihipStream_tbENKUlT_T0_E_clISt17integral_constantIbLb0EESW_IbLb1EEEEDaSS_ST_EUlSS_E_NS1_11comp_targetILNS1_3genE5ELNS1_11target_archE942ELNS1_3gpuE9ELNS1_3repE0EEENS1_30default_config_static_selectorELNS0_4arch9wavefront6targetE1EEEvT1_
    .private_segment_fixed_size: 0
    .sgpr_count:     4
    .sgpr_spill_count: 0
    .symbol:         _ZN7rocprim17ROCPRIM_400000_NS6detail17trampoline_kernelINS0_14default_configENS1_20scan_config_selectorIsEEZZNS1_9scan_implILNS1_25lookback_scan_determinismE0ELb0ELb0ES3_N6thrust23THRUST_200600_302600_NS6detail15normal_iteratorINS9_10device_ptrIsEEEENS9_16discard_iteratorINS9_11use_defaultEEEsNS9_4plusIvEEsEEDaPvRmT3_T4_T5_mT6_P12ihipStream_tbENKUlT_T0_E_clISt17integral_constantIbLb0EESW_IbLb1EEEEDaSS_ST_EUlSS_E_NS1_11comp_targetILNS1_3genE5ELNS1_11target_archE942ELNS1_3gpuE9ELNS1_3repE0EEENS1_30default_config_static_selectorELNS0_4arch9wavefront6targetE1EEEvT1_.kd
    .uniform_work_group_size: 1
    .uses_dynamic_stack: false
    .vgpr_count:     0
    .vgpr_spill_count: 0
    .wavefront_size: 64
  - .agpr_count:     0
    .args:
      - .offset:         0
        .size:           104
        .value_kind:     by_value
    .group_segment_fixed_size: 3072
    .kernarg_segment_align: 8
    .kernarg_segment_size: 104
    .language:       OpenCL C
    .language_version:
      - 2
      - 0
    .max_flat_workgroup_size: 64
    .name:           _ZN7rocprim17ROCPRIM_400000_NS6detail17trampoline_kernelINS0_14default_configENS1_20scan_config_selectorIsEEZZNS1_9scan_implILNS1_25lookback_scan_determinismE0ELb0ELb0ES3_N6thrust23THRUST_200600_302600_NS6detail15normal_iteratorINS9_10device_ptrIsEEEENS9_16discard_iteratorINS9_11use_defaultEEEsNS9_4plusIvEEsEEDaPvRmT3_T4_T5_mT6_P12ihipStream_tbENKUlT_T0_E_clISt17integral_constantIbLb0EESW_IbLb1EEEEDaSS_ST_EUlSS_E_NS1_11comp_targetILNS1_3genE4ELNS1_11target_archE910ELNS1_3gpuE8ELNS1_3repE0EEENS1_30default_config_static_selectorELNS0_4arch9wavefront6targetE1EEEvT1_
    .private_segment_fixed_size: 0
    .sgpr_count:     34
    .sgpr_spill_count: 0
    .symbol:         _ZN7rocprim17ROCPRIM_400000_NS6detail17trampoline_kernelINS0_14default_configENS1_20scan_config_selectorIsEEZZNS1_9scan_implILNS1_25lookback_scan_determinismE0ELb0ELb0ES3_N6thrust23THRUST_200600_302600_NS6detail15normal_iteratorINS9_10device_ptrIsEEEENS9_16discard_iteratorINS9_11use_defaultEEEsNS9_4plusIvEEsEEDaPvRmT3_T4_T5_mT6_P12ihipStream_tbENKUlT_T0_E_clISt17integral_constantIbLb0EESW_IbLb1EEEEDaSS_ST_EUlSS_E_NS1_11comp_targetILNS1_3genE4ELNS1_11target_archE910ELNS1_3gpuE8ELNS1_3repE0EEENS1_30default_config_static_selectorELNS0_4arch9wavefront6targetE1EEEvT1_.kd
    .uniform_work_group_size: 1
    .uses_dynamic_stack: false
    .vgpr_count:     43
    .vgpr_spill_count: 0
    .wavefront_size: 64
  - .agpr_count:     0
    .args:
      - .offset:         0
        .size:           104
        .value_kind:     by_value
    .group_segment_fixed_size: 0
    .kernarg_segment_align: 8
    .kernarg_segment_size: 104
    .language:       OpenCL C
    .language_version:
      - 2
      - 0
    .max_flat_workgroup_size: 128
    .name:           _ZN7rocprim17ROCPRIM_400000_NS6detail17trampoline_kernelINS0_14default_configENS1_20scan_config_selectorIsEEZZNS1_9scan_implILNS1_25lookback_scan_determinismE0ELb0ELb0ES3_N6thrust23THRUST_200600_302600_NS6detail15normal_iteratorINS9_10device_ptrIsEEEENS9_16discard_iteratorINS9_11use_defaultEEEsNS9_4plusIvEEsEEDaPvRmT3_T4_T5_mT6_P12ihipStream_tbENKUlT_T0_E_clISt17integral_constantIbLb0EESW_IbLb1EEEEDaSS_ST_EUlSS_E_NS1_11comp_targetILNS1_3genE3ELNS1_11target_archE908ELNS1_3gpuE7ELNS1_3repE0EEENS1_30default_config_static_selectorELNS0_4arch9wavefront6targetE1EEEvT1_
    .private_segment_fixed_size: 0
    .sgpr_count:     4
    .sgpr_spill_count: 0
    .symbol:         _ZN7rocprim17ROCPRIM_400000_NS6detail17trampoline_kernelINS0_14default_configENS1_20scan_config_selectorIsEEZZNS1_9scan_implILNS1_25lookback_scan_determinismE0ELb0ELb0ES3_N6thrust23THRUST_200600_302600_NS6detail15normal_iteratorINS9_10device_ptrIsEEEENS9_16discard_iteratorINS9_11use_defaultEEEsNS9_4plusIvEEsEEDaPvRmT3_T4_T5_mT6_P12ihipStream_tbENKUlT_T0_E_clISt17integral_constantIbLb0EESW_IbLb1EEEEDaSS_ST_EUlSS_E_NS1_11comp_targetILNS1_3genE3ELNS1_11target_archE908ELNS1_3gpuE7ELNS1_3repE0EEENS1_30default_config_static_selectorELNS0_4arch9wavefront6targetE1EEEvT1_.kd
    .uniform_work_group_size: 1
    .uses_dynamic_stack: false
    .vgpr_count:     0
    .vgpr_spill_count: 0
    .wavefront_size: 64
  - .agpr_count:     0
    .args:
      - .offset:         0
        .size:           104
        .value_kind:     by_value
    .group_segment_fixed_size: 0
    .kernarg_segment_align: 8
    .kernarg_segment_size: 104
    .language:       OpenCL C
    .language_version:
      - 2
      - 0
    .max_flat_workgroup_size: 256
    .name:           _ZN7rocprim17ROCPRIM_400000_NS6detail17trampoline_kernelINS0_14default_configENS1_20scan_config_selectorIsEEZZNS1_9scan_implILNS1_25lookback_scan_determinismE0ELb0ELb0ES3_N6thrust23THRUST_200600_302600_NS6detail15normal_iteratorINS9_10device_ptrIsEEEENS9_16discard_iteratorINS9_11use_defaultEEEsNS9_4plusIvEEsEEDaPvRmT3_T4_T5_mT6_P12ihipStream_tbENKUlT_T0_E_clISt17integral_constantIbLb0EESW_IbLb1EEEEDaSS_ST_EUlSS_E_NS1_11comp_targetILNS1_3genE2ELNS1_11target_archE906ELNS1_3gpuE6ELNS1_3repE0EEENS1_30default_config_static_selectorELNS0_4arch9wavefront6targetE1EEEvT1_
    .private_segment_fixed_size: 0
    .sgpr_count:     4
    .sgpr_spill_count: 0
    .symbol:         _ZN7rocprim17ROCPRIM_400000_NS6detail17trampoline_kernelINS0_14default_configENS1_20scan_config_selectorIsEEZZNS1_9scan_implILNS1_25lookback_scan_determinismE0ELb0ELb0ES3_N6thrust23THRUST_200600_302600_NS6detail15normal_iteratorINS9_10device_ptrIsEEEENS9_16discard_iteratorINS9_11use_defaultEEEsNS9_4plusIvEEsEEDaPvRmT3_T4_T5_mT6_P12ihipStream_tbENKUlT_T0_E_clISt17integral_constantIbLb0EESW_IbLb1EEEEDaSS_ST_EUlSS_E_NS1_11comp_targetILNS1_3genE2ELNS1_11target_archE906ELNS1_3gpuE6ELNS1_3repE0EEENS1_30default_config_static_selectorELNS0_4arch9wavefront6targetE1EEEvT1_.kd
    .uniform_work_group_size: 1
    .uses_dynamic_stack: false
    .vgpr_count:     0
    .vgpr_spill_count: 0
    .wavefront_size: 64
  - .agpr_count:     0
    .args:
      - .offset:         0
        .size:           104
        .value_kind:     by_value
    .group_segment_fixed_size: 0
    .kernarg_segment_align: 8
    .kernarg_segment_size: 104
    .language:       OpenCL C
    .language_version:
      - 2
      - 0
    .max_flat_workgroup_size: 256
    .name:           _ZN7rocprim17ROCPRIM_400000_NS6detail17trampoline_kernelINS0_14default_configENS1_20scan_config_selectorIsEEZZNS1_9scan_implILNS1_25lookback_scan_determinismE0ELb0ELb0ES3_N6thrust23THRUST_200600_302600_NS6detail15normal_iteratorINS9_10device_ptrIsEEEENS9_16discard_iteratorINS9_11use_defaultEEEsNS9_4plusIvEEsEEDaPvRmT3_T4_T5_mT6_P12ihipStream_tbENKUlT_T0_E_clISt17integral_constantIbLb0EESW_IbLb1EEEEDaSS_ST_EUlSS_E_NS1_11comp_targetILNS1_3genE10ELNS1_11target_archE1201ELNS1_3gpuE5ELNS1_3repE0EEENS1_30default_config_static_selectorELNS0_4arch9wavefront6targetE1EEEvT1_
    .private_segment_fixed_size: 0
    .sgpr_count:     4
    .sgpr_spill_count: 0
    .symbol:         _ZN7rocprim17ROCPRIM_400000_NS6detail17trampoline_kernelINS0_14default_configENS1_20scan_config_selectorIsEEZZNS1_9scan_implILNS1_25lookback_scan_determinismE0ELb0ELb0ES3_N6thrust23THRUST_200600_302600_NS6detail15normal_iteratorINS9_10device_ptrIsEEEENS9_16discard_iteratorINS9_11use_defaultEEEsNS9_4plusIvEEsEEDaPvRmT3_T4_T5_mT6_P12ihipStream_tbENKUlT_T0_E_clISt17integral_constantIbLb0EESW_IbLb1EEEEDaSS_ST_EUlSS_E_NS1_11comp_targetILNS1_3genE10ELNS1_11target_archE1201ELNS1_3gpuE5ELNS1_3repE0EEENS1_30default_config_static_selectorELNS0_4arch9wavefront6targetE1EEEvT1_.kd
    .uniform_work_group_size: 1
    .uses_dynamic_stack: false
    .vgpr_count:     0
    .vgpr_spill_count: 0
    .wavefront_size: 64
  - .agpr_count:     0
    .args:
      - .offset:         0
        .size:           104
        .value_kind:     by_value
    .group_segment_fixed_size: 0
    .kernarg_segment_align: 8
    .kernarg_segment_size: 104
    .language:       OpenCL C
    .language_version:
      - 2
      - 0
    .max_flat_workgroup_size: 256
    .name:           _ZN7rocprim17ROCPRIM_400000_NS6detail17trampoline_kernelINS0_14default_configENS1_20scan_config_selectorIsEEZZNS1_9scan_implILNS1_25lookback_scan_determinismE0ELb0ELb0ES3_N6thrust23THRUST_200600_302600_NS6detail15normal_iteratorINS9_10device_ptrIsEEEENS9_16discard_iteratorINS9_11use_defaultEEEsNS9_4plusIvEEsEEDaPvRmT3_T4_T5_mT6_P12ihipStream_tbENKUlT_T0_E_clISt17integral_constantIbLb0EESW_IbLb1EEEEDaSS_ST_EUlSS_E_NS1_11comp_targetILNS1_3genE10ELNS1_11target_archE1200ELNS1_3gpuE4ELNS1_3repE0EEENS1_30default_config_static_selectorELNS0_4arch9wavefront6targetE1EEEvT1_
    .private_segment_fixed_size: 0
    .sgpr_count:     4
    .sgpr_spill_count: 0
    .symbol:         _ZN7rocprim17ROCPRIM_400000_NS6detail17trampoline_kernelINS0_14default_configENS1_20scan_config_selectorIsEEZZNS1_9scan_implILNS1_25lookback_scan_determinismE0ELb0ELb0ES3_N6thrust23THRUST_200600_302600_NS6detail15normal_iteratorINS9_10device_ptrIsEEEENS9_16discard_iteratorINS9_11use_defaultEEEsNS9_4plusIvEEsEEDaPvRmT3_T4_T5_mT6_P12ihipStream_tbENKUlT_T0_E_clISt17integral_constantIbLb0EESW_IbLb1EEEEDaSS_ST_EUlSS_E_NS1_11comp_targetILNS1_3genE10ELNS1_11target_archE1200ELNS1_3gpuE4ELNS1_3repE0EEENS1_30default_config_static_selectorELNS0_4arch9wavefront6targetE1EEEvT1_.kd
    .uniform_work_group_size: 1
    .uses_dynamic_stack: false
    .vgpr_count:     0
    .vgpr_spill_count: 0
    .wavefront_size: 64
  - .agpr_count:     0
    .args:
      - .offset:         0
        .size:           104
        .value_kind:     by_value
    .group_segment_fixed_size: 0
    .kernarg_segment_align: 8
    .kernarg_segment_size: 104
    .language:       OpenCL C
    .language_version:
      - 2
      - 0
    .max_flat_workgroup_size: 64
    .name:           _ZN7rocprim17ROCPRIM_400000_NS6detail17trampoline_kernelINS0_14default_configENS1_20scan_config_selectorIsEEZZNS1_9scan_implILNS1_25lookback_scan_determinismE0ELb0ELb0ES3_N6thrust23THRUST_200600_302600_NS6detail15normal_iteratorINS9_10device_ptrIsEEEENS9_16discard_iteratorINS9_11use_defaultEEEsNS9_4plusIvEEsEEDaPvRmT3_T4_T5_mT6_P12ihipStream_tbENKUlT_T0_E_clISt17integral_constantIbLb0EESW_IbLb1EEEEDaSS_ST_EUlSS_E_NS1_11comp_targetILNS1_3genE9ELNS1_11target_archE1100ELNS1_3gpuE3ELNS1_3repE0EEENS1_30default_config_static_selectorELNS0_4arch9wavefront6targetE1EEEvT1_
    .private_segment_fixed_size: 0
    .sgpr_count:     4
    .sgpr_spill_count: 0
    .symbol:         _ZN7rocprim17ROCPRIM_400000_NS6detail17trampoline_kernelINS0_14default_configENS1_20scan_config_selectorIsEEZZNS1_9scan_implILNS1_25lookback_scan_determinismE0ELb0ELb0ES3_N6thrust23THRUST_200600_302600_NS6detail15normal_iteratorINS9_10device_ptrIsEEEENS9_16discard_iteratorINS9_11use_defaultEEEsNS9_4plusIvEEsEEDaPvRmT3_T4_T5_mT6_P12ihipStream_tbENKUlT_T0_E_clISt17integral_constantIbLb0EESW_IbLb1EEEEDaSS_ST_EUlSS_E_NS1_11comp_targetILNS1_3genE9ELNS1_11target_archE1100ELNS1_3gpuE3ELNS1_3repE0EEENS1_30default_config_static_selectorELNS0_4arch9wavefront6targetE1EEEvT1_.kd
    .uniform_work_group_size: 1
    .uses_dynamic_stack: false
    .vgpr_count:     0
    .vgpr_spill_count: 0
    .wavefront_size: 64
  - .agpr_count:     0
    .args:
      - .offset:         0
        .size:           104
        .value_kind:     by_value
    .group_segment_fixed_size: 0
    .kernarg_segment_align: 8
    .kernarg_segment_size: 104
    .language:       OpenCL C
    .language_version:
      - 2
      - 0
    .max_flat_workgroup_size: 64
    .name:           _ZN7rocprim17ROCPRIM_400000_NS6detail17trampoline_kernelINS0_14default_configENS1_20scan_config_selectorIsEEZZNS1_9scan_implILNS1_25lookback_scan_determinismE0ELb0ELb0ES3_N6thrust23THRUST_200600_302600_NS6detail15normal_iteratorINS9_10device_ptrIsEEEENS9_16discard_iteratorINS9_11use_defaultEEEsNS9_4plusIvEEsEEDaPvRmT3_T4_T5_mT6_P12ihipStream_tbENKUlT_T0_E_clISt17integral_constantIbLb0EESW_IbLb1EEEEDaSS_ST_EUlSS_E_NS1_11comp_targetILNS1_3genE8ELNS1_11target_archE1030ELNS1_3gpuE2ELNS1_3repE0EEENS1_30default_config_static_selectorELNS0_4arch9wavefront6targetE1EEEvT1_
    .private_segment_fixed_size: 0
    .sgpr_count:     4
    .sgpr_spill_count: 0
    .symbol:         _ZN7rocprim17ROCPRIM_400000_NS6detail17trampoline_kernelINS0_14default_configENS1_20scan_config_selectorIsEEZZNS1_9scan_implILNS1_25lookback_scan_determinismE0ELb0ELb0ES3_N6thrust23THRUST_200600_302600_NS6detail15normal_iteratorINS9_10device_ptrIsEEEENS9_16discard_iteratorINS9_11use_defaultEEEsNS9_4plusIvEEsEEDaPvRmT3_T4_T5_mT6_P12ihipStream_tbENKUlT_T0_E_clISt17integral_constantIbLb0EESW_IbLb1EEEEDaSS_ST_EUlSS_E_NS1_11comp_targetILNS1_3genE8ELNS1_11target_archE1030ELNS1_3gpuE2ELNS1_3repE0EEENS1_30default_config_static_selectorELNS0_4arch9wavefront6targetE1EEEvT1_.kd
    .uniform_work_group_size: 1
    .uses_dynamic_stack: false
    .vgpr_count:     0
    .vgpr_spill_count: 0
    .wavefront_size: 64
  - .agpr_count:     0
    .args:
      - .offset:         0
        .size:           40
        .value_kind:     by_value
    .group_segment_fixed_size: 0
    .kernarg_segment_align: 8
    .kernarg_segment_size: 40
    .language:       OpenCL C
    .language_version:
      - 2
      - 0
    .max_flat_workgroup_size: 128
    .name:           _ZN7rocprim17ROCPRIM_400000_NS6detail17trampoline_kernelINS0_14default_configENS1_20scan_config_selectorIsEEZZNS1_9scan_implILNS1_25lookback_scan_determinismE0ELb0ELb0ES3_N6thrust23THRUST_200600_302600_NS6detail15normal_iteratorINS9_10device_ptrIsEEEENS9_16discard_iteratorINS9_11use_defaultEEEsNS9_4plusIvEEsEEDaPvRmT3_T4_T5_mT6_P12ihipStream_tbENKUlT_T0_E_clISt17integral_constantIbLb0EESW_IbLb1EEEEDaSS_ST_EUlSS_E0_NS1_11comp_targetILNS1_3genE0ELNS1_11target_archE4294967295ELNS1_3gpuE0ELNS1_3repE0EEENS1_30default_config_static_selectorELNS0_4arch9wavefront6targetE1EEEvT1_
    .private_segment_fixed_size: 0
    .sgpr_count:     4
    .sgpr_spill_count: 0
    .symbol:         _ZN7rocprim17ROCPRIM_400000_NS6detail17trampoline_kernelINS0_14default_configENS1_20scan_config_selectorIsEEZZNS1_9scan_implILNS1_25lookback_scan_determinismE0ELb0ELb0ES3_N6thrust23THRUST_200600_302600_NS6detail15normal_iteratorINS9_10device_ptrIsEEEENS9_16discard_iteratorINS9_11use_defaultEEEsNS9_4plusIvEEsEEDaPvRmT3_T4_T5_mT6_P12ihipStream_tbENKUlT_T0_E_clISt17integral_constantIbLb0EESW_IbLb1EEEEDaSS_ST_EUlSS_E0_NS1_11comp_targetILNS1_3genE0ELNS1_11target_archE4294967295ELNS1_3gpuE0ELNS1_3repE0EEENS1_30default_config_static_selectorELNS0_4arch9wavefront6targetE1EEEvT1_.kd
    .uniform_work_group_size: 1
    .uses_dynamic_stack: false
    .vgpr_count:     0
    .vgpr_spill_count: 0
    .wavefront_size: 64
  - .agpr_count:     0
    .args:
      - .offset:         0
        .size:           40
        .value_kind:     by_value
    .group_segment_fixed_size: 0
    .kernarg_segment_align: 8
    .kernarg_segment_size: 40
    .language:       OpenCL C
    .language_version:
      - 2
      - 0
    .max_flat_workgroup_size: 256
    .name:           _ZN7rocprim17ROCPRIM_400000_NS6detail17trampoline_kernelINS0_14default_configENS1_20scan_config_selectorIsEEZZNS1_9scan_implILNS1_25lookback_scan_determinismE0ELb0ELb0ES3_N6thrust23THRUST_200600_302600_NS6detail15normal_iteratorINS9_10device_ptrIsEEEENS9_16discard_iteratorINS9_11use_defaultEEEsNS9_4plusIvEEsEEDaPvRmT3_T4_T5_mT6_P12ihipStream_tbENKUlT_T0_E_clISt17integral_constantIbLb0EESW_IbLb1EEEEDaSS_ST_EUlSS_E0_NS1_11comp_targetILNS1_3genE5ELNS1_11target_archE942ELNS1_3gpuE9ELNS1_3repE0EEENS1_30default_config_static_selectorELNS0_4arch9wavefront6targetE1EEEvT1_
    .private_segment_fixed_size: 0
    .sgpr_count:     4
    .sgpr_spill_count: 0
    .symbol:         _ZN7rocprim17ROCPRIM_400000_NS6detail17trampoline_kernelINS0_14default_configENS1_20scan_config_selectorIsEEZZNS1_9scan_implILNS1_25lookback_scan_determinismE0ELb0ELb0ES3_N6thrust23THRUST_200600_302600_NS6detail15normal_iteratorINS9_10device_ptrIsEEEENS9_16discard_iteratorINS9_11use_defaultEEEsNS9_4plusIvEEsEEDaPvRmT3_T4_T5_mT6_P12ihipStream_tbENKUlT_T0_E_clISt17integral_constantIbLb0EESW_IbLb1EEEEDaSS_ST_EUlSS_E0_NS1_11comp_targetILNS1_3genE5ELNS1_11target_archE942ELNS1_3gpuE9ELNS1_3repE0EEENS1_30default_config_static_selectorELNS0_4arch9wavefront6targetE1EEEvT1_.kd
    .uniform_work_group_size: 1
    .uses_dynamic_stack: false
    .vgpr_count:     0
    .vgpr_spill_count: 0
    .wavefront_size: 64
  - .agpr_count:     0
    .args:
      - .offset:         0
        .size:           40
        .value_kind:     by_value
    .group_segment_fixed_size: 3072
    .kernarg_segment_align: 8
    .kernarg_segment_size: 40
    .language:       OpenCL C
    .language_version:
      - 2
      - 0
    .max_flat_workgroup_size: 64
    .name:           _ZN7rocprim17ROCPRIM_400000_NS6detail17trampoline_kernelINS0_14default_configENS1_20scan_config_selectorIsEEZZNS1_9scan_implILNS1_25lookback_scan_determinismE0ELb0ELb0ES3_N6thrust23THRUST_200600_302600_NS6detail15normal_iteratorINS9_10device_ptrIsEEEENS9_16discard_iteratorINS9_11use_defaultEEEsNS9_4plusIvEEsEEDaPvRmT3_T4_T5_mT6_P12ihipStream_tbENKUlT_T0_E_clISt17integral_constantIbLb0EESW_IbLb1EEEEDaSS_ST_EUlSS_E0_NS1_11comp_targetILNS1_3genE4ELNS1_11target_archE910ELNS1_3gpuE8ELNS1_3repE0EEENS1_30default_config_static_selectorELNS0_4arch9wavefront6targetE1EEEvT1_
    .private_segment_fixed_size: 0
    .sgpr_count:     10
    .sgpr_spill_count: 0
    .symbol:         _ZN7rocprim17ROCPRIM_400000_NS6detail17trampoline_kernelINS0_14default_configENS1_20scan_config_selectorIsEEZZNS1_9scan_implILNS1_25lookback_scan_determinismE0ELb0ELb0ES3_N6thrust23THRUST_200600_302600_NS6detail15normal_iteratorINS9_10device_ptrIsEEEENS9_16discard_iteratorINS9_11use_defaultEEEsNS9_4plusIvEEsEEDaPvRmT3_T4_T5_mT6_P12ihipStream_tbENKUlT_T0_E_clISt17integral_constantIbLb0EESW_IbLb1EEEEDaSS_ST_EUlSS_E0_NS1_11comp_targetILNS1_3genE4ELNS1_11target_archE910ELNS1_3gpuE8ELNS1_3repE0EEENS1_30default_config_static_selectorELNS0_4arch9wavefront6targetE1EEEvT1_.kd
    .uniform_work_group_size: 1
    .uses_dynamic_stack: false
    .vgpr_count:     41
    .vgpr_spill_count: 0
    .wavefront_size: 64
  - .agpr_count:     0
    .args:
      - .offset:         0
        .size:           40
        .value_kind:     by_value
    .group_segment_fixed_size: 0
    .kernarg_segment_align: 8
    .kernarg_segment_size: 40
    .language:       OpenCL C
    .language_version:
      - 2
      - 0
    .max_flat_workgroup_size: 128
    .name:           _ZN7rocprim17ROCPRIM_400000_NS6detail17trampoline_kernelINS0_14default_configENS1_20scan_config_selectorIsEEZZNS1_9scan_implILNS1_25lookback_scan_determinismE0ELb0ELb0ES3_N6thrust23THRUST_200600_302600_NS6detail15normal_iteratorINS9_10device_ptrIsEEEENS9_16discard_iteratorINS9_11use_defaultEEEsNS9_4plusIvEEsEEDaPvRmT3_T4_T5_mT6_P12ihipStream_tbENKUlT_T0_E_clISt17integral_constantIbLb0EESW_IbLb1EEEEDaSS_ST_EUlSS_E0_NS1_11comp_targetILNS1_3genE3ELNS1_11target_archE908ELNS1_3gpuE7ELNS1_3repE0EEENS1_30default_config_static_selectorELNS0_4arch9wavefront6targetE1EEEvT1_
    .private_segment_fixed_size: 0
    .sgpr_count:     4
    .sgpr_spill_count: 0
    .symbol:         _ZN7rocprim17ROCPRIM_400000_NS6detail17trampoline_kernelINS0_14default_configENS1_20scan_config_selectorIsEEZZNS1_9scan_implILNS1_25lookback_scan_determinismE0ELb0ELb0ES3_N6thrust23THRUST_200600_302600_NS6detail15normal_iteratorINS9_10device_ptrIsEEEENS9_16discard_iteratorINS9_11use_defaultEEEsNS9_4plusIvEEsEEDaPvRmT3_T4_T5_mT6_P12ihipStream_tbENKUlT_T0_E_clISt17integral_constantIbLb0EESW_IbLb1EEEEDaSS_ST_EUlSS_E0_NS1_11comp_targetILNS1_3genE3ELNS1_11target_archE908ELNS1_3gpuE7ELNS1_3repE0EEENS1_30default_config_static_selectorELNS0_4arch9wavefront6targetE1EEEvT1_.kd
    .uniform_work_group_size: 1
    .uses_dynamic_stack: false
    .vgpr_count:     0
    .vgpr_spill_count: 0
    .wavefront_size: 64
  - .agpr_count:     0
    .args:
      - .offset:         0
        .size:           40
        .value_kind:     by_value
    .group_segment_fixed_size: 0
    .kernarg_segment_align: 8
    .kernarg_segment_size: 40
    .language:       OpenCL C
    .language_version:
      - 2
      - 0
    .max_flat_workgroup_size: 256
    .name:           _ZN7rocprim17ROCPRIM_400000_NS6detail17trampoline_kernelINS0_14default_configENS1_20scan_config_selectorIsEEZZNS1_9scan_implILNS1_25lookback_scan_determinismE0ELb0ELb0ES3_N6thrust23THRUST_200600_302600_NS6detail15normal_iteratorINS9_10device_ptrIsEEEENS9_16discard_iteratorINS9_11use_defaultEEEsNS9_4plusIvEEsEEDaPvRmT3_T4_T5_mT6_P12ihipStream_tbENKUlT_T0_E_clISt17integral_constantIbLb0EESW_IbLb1EEEEDaSS_ST_EUlSS_E0_NS1_11comp_targetILNS1_3genE2ELNS1_11target_archE906ELNS1_3gpuE6ELNS1_3repE0EEENS1_30default_config_static_selectorELNS0_4arch9wavefront6targetE1EEEvT1_
    .private_segment_fixed_size: 0
    .sgpr_count:     4
    .sgpr_spill_count: 0
    .symbol:         _ZN7rocprim17ROCPRIM_400000_NS6detail17trampoline_kernelINS0_14default_configENS1_20scan_config_selectorIsEEZZNS1_9scan_implILNS1_25lookback_scan_determinismE0ELb0ELb0ES3_N6thrust23THRUST_200600_302600_NS6detail15normal_iteratorINS9_10device_ptrIsEEEENS9_16discard_iteratorINS9_11use_defaultEEEsNS9_4plusIvEEsEEDaPvRmT3_T4_T5_mT6_P12ihipStream_tbENKUlT_T0_E_clISt17integral_constantIbLb0EESW_IbLb1EEEEDaSS_ST_EUlSS_E0_NS1_11comp_targetILNS1_3genE2ELNS1_11target_archE906ELNS1_3gpuE6ELNS1_3repE0EEENS1_30default_config_static_selectorELNS0_4arch9wavefront6targetE1EEEvT1_.kd
    .uniform_work_group_size: 1
    .uses_dynamic_stack: false
    .vgpr_count:     0
    .vgpr_spill_count: 0
    .wavefront_size: 64
  - .agpr_count:     0
    .args:
      - .offset:         0
        .size:           40
        .value_kind:     by_value
    .group_segment_fixed_size: 0
    .kernarg_segment_align: 8
    .kernarg_segment_size: 40
    .language:       OpenCL C
    .language_version:
      - 2
      - 0
    .max_flat_workgroup_size: 256
    .name:           _ZN7rocprim17ROCPRIM_400000_NS6detail17trampoline_kernelINS0_14default_configENS1_20scan_config_selectorIsEEZZNS1_9scan_implILNS1_25lookback_scan_determinismE0ELb0ELb0ES3_N6thrust23THRUST_200600_302600_NS6detail15normal_iteratorINS9_10device_ptrIsEEEENS9_16discard_iteratorINS9_11use_defaultEEEsNS9_4plusIvEEsEEDaPvRmT3_T4_T5_mT6_P12ihipStream_tbENKUlT_T0_E_clISt17integral_constantIbLb0EESW_IbLb1EEEEDaSS_ST_EUlSS_E0_NS1_11comp_targetILNS1_3genE10ELNS1_11target_archE1201ELNS1_3gpuE5ELNS1_3repE0EEENS1_30default_config_static_selectorELNS0_4arch9wavefront6targetE1EEEvT1_
    .private_segment_fixed_size: 0
    .sgpr_count:     4
    .sgpr_spill_count: 0
    .symbol:         _ZN7rocprim17ROCPRIM_400000_NS6detail17trampoline_kernelINS0_14default_configENS1_20scan_config_selectorIsEEZZNS1_9scan_implILNS1_25lookback_scan_determinismE0ELb0ELb0ES3_N6thrust23THRUST_200600_302600_NS6detail15normal_iteratorINS9_10device_ptrIsEEEENS9_16discard_iteratorINS9_11use_defaultEEEsNS9_4plusIvEEsEEDaPvRmT3_T4_T5_mT6_P12ihipStream_tbENKUlT_T0_E_clISt17integral_constantIbLb0EESW_IbLb1EEEEDaSS_ST_EUlSS_E0_NS1_11comp_targetILNS1_3genE10ELNS1_11target_archE1201ELNS1_3gpuE5ELNS1_3repE0EEENS1_30default_config_static_selectorELNS0_4arch9wavefront6targetE1EEEvT1_.kd
    .uniform_work_group_size: 1
    .uses_dynamic_stack: false
    .vgpr_count:     0
    .vgpr_spill_count: 0
    .wavefront_size: 64
  - .agpr_count:     0
    .args:
      - .offset:         0
        .size:           40
        .value_kind:     by_value
    .group_segment_fixed_size: 0
    .kernarg_segment_align: 8
    .kernarg_segment_size: 40
    .language:       OpenCL C
    .language_version:
      - 2
      - 0
    .max_flat_workgroup_size: 256
    .name:           _ZN7rocprim17ROCPRIM_400000_NS6detail17trampoline_kernelINS0_14default_configENS1_20scan_config_selectorIsEEZZNS1_9scan_implILNS1_25lookback_scan_determinismE0ELb0ELb0ES3_N6thrust23THRUST_200600_302600_NS6detail15normal_iteratorINS9_10device_ptrIsEEEENS9_16discard_iteratorINS9_11use_defaultEEEsNS9_4plusIvEEsEEDaPvRmT3_T4_T5_mT6_P12ihipStream_tbENKUlT_T0_E_clISt17integral_constantIbLb0EESW_IbLb1EEEEDaSS_ST_EUlSS_E0_NS1_11comp_targetILNS1_3genE10ELNS1_11target_archE1200ELNS1_3gpuE4ELNS1_3repE0EEENS1_30default_config_static_selectorELNS0_4arch9wavefront6targetE1EEEvT1_
    .private_segment_fixed_size: 0
    .sgpr_count:     4
    .sgpr_spill_count: 0
    .symbol:         _ZN7rocprim17ROCPRIM_400000_NS6detail17trampoline_kernelINS0_14default_configENS1_20scan_config_selectorIsEEZZNS1_9scan_implILNS1_25lookback_scan_determinismE0ELb0ELb0ES3_N6thrust23THRUST_200600_302600_NS6detail15normal_iteratorINS9_10device_ptrIsEEEENS9_16discard_iteratorINS9_11use_defaultEEEsNS9_4plusIvEEsEEDaPvRmT3_T4_T5_mT6_P12ihipStream_tbENKUlT_T0_E_clISt17integral_constantIbLb0EESW_IbLb1EEEEDaSS_ST_EUlSS_E0_NS1_11comp_targetILNS1_3genE10ELNS1_11target_archE1200ELNS1_3gpuE4ELNS1_3repE0EEENS1_30default_config_static_selectorELNS0_4arch9wavefront6targetE1EEEvT1_.kd
    .uniform_work_group_size: 1
    .uses_dynamic_stack: false
    .vgpr_count:     0
    .vgpr_spill_count: 0
    .wavefront_size: 64
  - .agpr_count:     0
    .args:
      - .offset:         0
        .size:           40
        .value_kind:     by_value
    .group_segment_fixed_size: 0
    .kernarg_segment_align: 8
    .kernarg_segment_size: 40
    .language:       OpenCL C
    .language_version:
      - 2
      - 0
    .max_flat_workgroup_size: 64
    .name:           _ZN7rocprim17ROCPRIM_400000_NS6detail17trampoline_kernelINS0_14default_configENS1_20scan_config_selectorIsEEZZNS1_9scan_implILNS1_25lookback_scan_determinismE0ELb0ELb0ES3_N6thrust23THRUST_200600_302600_NS6detail15normal_iteratorINS9_10device_ptrIsEEEENS9_16discard_iteratorINS9_11use_defaultEEEsNS9_4plusIvEEsEEDaPvRmT3_T4_T5_mT6_P12ihipStream_tbENKUlT_T0_E_clISt17integral_constantIbLb0EESW_IbLb1EEEEDaSS_ST_EUlSS_E0_NS1_11comp_targetILNS1_3genE9ELNS1_11target_archE1100ELNS1_3gpuE3ELNS1_3repE0EEENS1_30default_config_static_selectorELNS0_4arch9wavefront6targetE1EEEvT1_
    .private_segment_fixed_size: 0
    .sgpr_count:     4
    .sgpr_spill_count: 0
    .symbol:         _ZN7rocprim17ROCPRIM_400000_NS6detail17trampoline_kernelINS0_14default_configENS1_20scan_config_selectorIsEEZZNS1_9scan_implILNS1_25lookback_scan_determinismE0ELb0ELb0ES3_N6thrust23THRUST_200600_302600_NS6detail15normal_iteratorINS9_10device_ptrIsEEEENS9_16discard_iteratorINS9_11use_defaultEEEsNS9_4plusIvEEsEEDaPvRmT3_T4_T5_mT6_P12ihipStream_tbENKUlT_T0_E_clISt17integral_constantIbLb0EESW_IbLb1EEEEDaSS_ST_EUlSS_E0_NS1_11comp_targetILNS1_3genE9ELNS1_11target_archE1100ELNS1_3gpuE3ELNS1_3repE0EEENS1_30default_config_static_selectorELNS0_4arch9wavefront6targetE1EEEvT1_.kd
    .uniform_work_group_size: 1
    .uses_dynamic_stack: false
    .vgpr_count:     0
    .vgpr_spill_count: 0
    .wavefront_size: 64
  - .agpr_count:     0
    .args:
      - .offset:         0
        .size:           40
        .value_kind:     by_value
    .group_segment_fixed_size: 0
    .kernarg_segment_align: 8
    .kernarg_segment_size: 40
    .language:       OpenCL C
    .language_version:
      - 2
      - 0
    .max_flat_workgroup_size: 64
    .name:           _ZN7rocprim17ROCPRIM_400000_NS6detail17trampoline_kernelINS0_14default_configENS1_20scan_config_selectorIsEEZZNS1_9scan_implILNS1_25lookback_scan_determinismE0ELb0ELb0ES3_N6thrust23THRUST_200600_302600_NS6detail15normal_iteratorINS9_10device_ptrIsEEEENS9_16discard_iteratorINS9_11use_defaultEEEsNS9_4plusIvEEsEEDaPvRmT3_T4_T5_mT6_P12ihipStream_tbENKUlT_T0_E_clISt17integral_constantIbLb0EESW_IbLb1EEEEDaSS_ST_EUlSS_E0_NS1_11comp_targetILNS1_3genE8ELNS1_11target_archE1030ELNS1_3gpuE2ELNS1_3repE0EEENS1_30default_config_static_selectorELNS0_4arch9wavefront6targetE1EEEvT1_
    .private_segment_fixed_size: 0
    .sgpr_count:     4
    .sgpr_spill_count: 0
    .symbol:         _ZN7rocprim17ROCPRIM_400000_NS6detail17trampoline_kernelINS0_14default_configENS1_20scan_config_selectorIsEEZZNS1_9scan_implILNS1_25lookback_scan_determinismE0ELb0ELb0ES3_N6thrust23THRUST_200600_302600_NS6detail15normal_iteratorINS9_10device_ptrIsEEEENS9_16discard_iteratorINS9_11use_defaultEEEsNS9_4plusIvEEsEEDaPvRmT3_T4_T5_mT6_P12ihipStream_tbENKUlT_T0_E_clISt17integral_constantIbLb0EESW_IbLb1EEEEDaSS_ST_EUlSS_E0_NS1_11comp_targetILNS1_3genE8ELNS1_11target_archE1030ELNS1_3gpuE2ELNS1_3repE0EEENS1_30default_config_static_selectorELNS0_4arch9wavefront6targetE1EEEvT1_.kd
    .uniform_work_group_size: 1
    .uses_dynamic_stack: false
    .vgpr_count:     0
    .vgpr_spill_count: 0
    .wavefront_size: 64
  - .agpr_count:     0
    .args:
      - .offset:         0
        .size:           104
        .value_kind:     by_value
    .group_segment_fixed_size: 0
    .kernarg_segment_align: 8
    .kernarg_segment_size: 104
    .language:       OpenCL C
    .language_version:
      - 2
      - 0
    .max_flat_workgroup_size: 128
    .name:           _ZN7rocprim17ROCPRIM_400000_NS6detail17trampoline_kernelINS0_14default_configENS1_20scan_config_selectorIsEEZZNS1_9scan_implILNS1_25lookback_scan_determinismE0ELb1ELb1ES3_N6thrust23THRUST_200600_302600_NS6detail15normal_iteratorINS9_10device_ptrIsEEEENS9_16discard_iteratorINS9_11use_defaultEEEsNS9_4plusIvEEsEEDaPvRmT3_T4_T5_mT6_P12ihipStream_tbENKUlT_T0_E_clISt17integral_constantIbLb0EESX_EEDaSS_ST_EUlSS_E_NS1_11comp_targetILNS1_3genE0ELNS1_11target_archE4294967295ELNS1_3gpuE0ELNS1_3repE0EEENS1_30default_config_static_selectorELNS0_4arch9wavefront6targetE1EEEvT1_
    .private_segment_fixed_size: 0
    .sgpr_count:     4
    .sgpr_spill_count: 0
    .symbol:         _ZN7rocprim17ROCPRIM_400000_NS6detail17trampoline_kernelINS0_14default_configENS1_20scan_config_selectorIsEEZZNS1_9scan_implILNS1_25lookback_scan_determinismE0ELb1ELb1ES3_N6thrust23THRUST_200600_302600_NS6detail15normal_iteratorINS9_10device_ptrIsEEEENS9_16discard_iteratorINS9_11use_defaultEEEsNS9_4plusIvEEsEEDaPvRmT3_T4_T5_mT6_P12ihipStream_tbENKUlT_T0_E_clISt17integral_constantIbLb0EESX_EEDaSS_ST_EUlSS_E_NS1_11comp_targetILNS1_3genE0ELNS1_11target_archE4294967295ELNS1_3gpuE0ELNS1_3repE0EEENS1_30default_config_static_selectorELNS0_4arch9wavefront6targetE1EEEvT1_.kd
    .uniform_work_group_size: 1
    .uses_dynamic_stack: false
    .vgpr_count:     0
    .vgpr_spill_count: 0
    .wavefront_size: 64
  - .agpr_count:     0
    .args:
      - .offset:         0
        .size:           104
        .value_kind:     by_value
    .group_segment_fixed_size: 0
    .kernarg_segment_align: 8
    .kernarg_segment_size: 104
    .language:       OpenCL C
    .language_version:
      - 2
      - 0
    .max_flat_workgroup_size: 256
    .name:           _ZN7rocprim17ROCPRIM_400000_NS6detail17trampoline_kernelINS0_14default_configENS1_20scan_config_selectorIsEEZZNS1_9scan_implILNS1_25lookback_scan_determinismE0ELb1ELb1ES3_N6thrust23THRUST_200600_302600_NS6detail15normal_iteratorINS9_10device_ptrIsEEEENS9_16discard_iteratorINS9_11use_defaultEEEsNS9_4plusIvEEsEEDaPvRmT3_T4_T5_mT6_P12ihipStream_tbENKUlT_T0_E_clISt17integral_constantIbLb0EESX_EEDaSS_ST_EUlSS_E_NS1_11comp_targetILNS1_3genE5ELNS1_11target_archE942ELNS1_3gpuE9ELNS1_3repE0EEENS1_30default_config_static_selectorELNS0_4arch9wavefront6targetE1EEEvT1_
    .private_segment_fixed_size: 0
    .sgpr_count:     4
    .sgpr_spill_count: 0
    .symbol:         _ZN7rocprim17ROCPRIM_400000_NS6detail17trampoline_kernelINS0_14default_configENS1_20scan_config_selectorIsEEZZNS1_9scan_implILNS1_25lookback_scan_determinismE0ELb1ELb1ES3_N6thrust23THRUST_200600_302600_NS6detail15normal_iteratorINS9_10device_ptrIsEEEENS9_16discard_iteratorINS9_11use_defaultEEEsNS9_4plusIvEEsEEDaPvRmT3_T4_T5_mT6_P12ihipStream_tbENKUlT_T0_E_clISt17integral_constantIbLb0EESX_EEDaSS_ST_EUlSS_E_NS1_11comp_targetILNS1_3genE5ELNS1_11target_archE942ELNS1_3gpuE9ELNS1_3repE0EEENS1_30default_config_static_selectorELNS0_4arch9wavefront6targetE1EEEvT1_.kd
    .uniform_work_group_size: 1
    .uses_dynamic_stack: false
    .vgpr_count:     0
    .vgpr_spill_count: 0
    .wavefront_size: 64
  - .agpr_count:     0
    .args:
      - .offset:         0
        .size:           104
        .value_kind:     by_value
    .group_segment_fixed_size: 3072
    .kernarg_segment_align: 8
    .kernarg_segment_size: 104
    .language:       OpenCL C
    .language_version:
      - 2
      - 0
    .max_flat_workgroup_size: 64
    .name:           _ZN7rocprim17ROCPRIM_400000_NS6detail17trampoline_kernelINS0_14default_configENS1_20scan_config_selectorIsEEZZNS1_9scan_implILNS1_25lookback_scan_determinismE0ELb1ELb1ES3_N6thrust23THRUST_200600_302600_NS6detail15normal_iteratorINS9_10device_ptrIsEEEENS9_16discard_iteratorINS9_11use_defaultEEEsNS9_4plusIvEEsEEDaPvRmT3_T4_T5_mT6_P12ihipStream_tbENKUlT_T0_E_clISt17integral_constantIbLb0EESX_EEDaSS_ST_EUlSS_E_NS1_11comp_targetILNS1_3genE4ELNS1_11target_archE910ELNS1_3gpuE8ELNS1_3repE0EEENS1_30default_config_static_selectorELNS0_4arch9wavefront6targetE1EEEvT1_
    .private_segment_fixed_size: 0
    .sgpr_count:     30
    .sgpr_spill_count: 0
    .symbol:         _ZN7rocprim17ROCPRIM_400000_NS6detail17trampoline_kernelINS0_14default_configENS1_20scan_config_selectorIsEEZZNS1_9scan_implILNS1_25lookback_scan_determinismE0ELb1ELb1ES3_N6thrust23THRUST_200600_302600_NS6detail15normal_iteratorINS9_10device_ptrIsEEEENS9_16discard_iteratorINS9_11use_defaultEEEsNS9_4plusIvEEsEEDaPvRmT3_T4_T5_mT6_P12ihipStream_tbENKUlT_T0_E_clISt17integral_constantIbLb0EESX_EEDaSS_ST_EUlSS_E_NS1_11comp_targetILNS1_3genE4ELNS1_11target_archE910ELNS1_3gpuE8ELNS1_3repE0EEENS1_30default_config_static_selectorELNS0_4arch9wavefront6targetE1EEEvT1_.kd
    .uniform_work_group_size: 1
    .uses_dynamic_stack: false
    .vgpr_count:     44
    .vgpr_spill_count: 0
    .wavefront_size: 64
  - .agpr_count:     0
    .args:
      - .offset:         0
        .size:           104
        .value_kind:     by_value
    .group_segment_fixed_size: 0
    .kernarg_segment_align: 8
    .kernarg_segment_size: 104
    .language:       OpenCL C
    .language_version:
      - 2
      - 0
    .max_flat_workgroup_size: 128
    .name:           _ZN7rocprim17ROCPRIM_400000_NS6detail17trampoline_kernelINS0_14default_configENS1_20scan_config_selectorIsEEZZNS1_9scan_implILNS1_25lookback_scan_determinismE0ELb1ELb1ES3_N6thrust23THRUST_200600_302600_NS6detail15normal_iteratorINS9_10device_ptrIsEEEENS9_16discard_iteratorINS9_11use_defaultEEEsNS9_4plusIvEEsEEDaPvRmT3_T4_T5_mT6_P12ihipStream_tbENKUlT_T0_E_clISt17integral_constantIbLb0EESX_EEDaSS_ST_EUlSS_E_NS1_11comp_targetILNS1_3genE3ELNS1_11target_archE908ELNS1_3gpuE7ELNS1_3repE0EEENS1_30default_config_static_selectorELNS0_4arch9wavefront6targetE1EEEvT1_
    .private_segment_fixed_size: 0
    .sgpr_count:     4
    .sgpr_spill_count: 0
    .symbol:         _ZN7rocprim17ROCPRIM_400000_NS6detail17trampoline_kernelINS0_14default_configENS1_20scan_config_selectorIsEEZZNS1_9scan_implILNS1_25lookback_scan_determinismE0ELb1ELb1ES3_N6thrust23THRUST_200600_302600_NS6detail15normal_iteratorINS9_10device_ptrIsEEEENS9_16discard_iteratorINS9_11use_defaultEEEsNS9_4plusIvEEsEEDaPvRmT3_T4_T5_mT6_P12ihipStream_tbENKUlT_T0_E_clISt17integral_constantIbLb0EESX_EEDaSS_ST_EUlSS_E_NS1_11comp_targetILNS1_3genE3ELNS1_11target_archE908ELNS1_3gpuE7ELNS1_3repE0EEENS1_30default_config_static_selectorELNS0_4arch9wavefront6targetE1EEEvT1_.kd
    .uniform_work_group_size: 1
    .uses_dynamic_stack: false
    .vgpr_count:     0
    .vgpr_spill_count: 0
    .wavefront_size: 64
  - .agpr_count:     0
    .args:
      - .offset:         0
        .size:           104
        .value_kind:     by_value
    .group_segment_fixed_size: 0
    .kernarg_segment_align: 8
    .kernarg_segment_size: 104
    .language:       OpenCL C
    .language_version:
      - 2
      - 0
    .max_flat_workgroup_size: 256
    .name:           _ZN7rocprim17ROCPRIM_400000_NS6detail17trampoline_kernelINS0_14default_configENS1_20scan_config_selectorIsEEZZNS1_9scan_implILNS1_25lookback_scan_determinismE0ELb1ELb1ES3_N6thrust23THRUST_200600_302600_NS6detail15normal_iteratorINS9_10device_ptrIsEEEENS9_16discard_iteratorINS9_11use_defaultEEEsNS9_4plusIvEEsEEDaPvRmT3_T4_T5_mT6_P12ihipStream_tbENKUlT_T0_E_clISt17integral_constantIbLb0EESX_EEDaSS_ST_EUlSS_E_NS1_11comp_targetILNS1_3genE2ELNS1_11target_archE906ELNS1_3gpuE6ELNS1_3repE0EEENS1_30default_config_static_selectorELNS0_4arch9wavefront6targetE1EEEvT1_
    .private_segment_fixed_size: 0
    .sgpr_count:     4
    .sgpr_spill_count: 0
    .symbol:         _ZN7rocprim17ROCPRIM_400000_NS6detail17trampoline_kernelINS0_14default_configENS1_20scan_config_selectorIsEEZZNS1_9scan_implILNS1_25lookback_scan_determinismE0ELb1ELb1ES3_N6thrust23THRUST_200600_302600_NS6detail15normal_iteratorINS9_10device_ptrIsEEEENS9_16discard_iteratorINS9_11use_defaultEEEsNS9_4plusIvEEsEEDaPvRmT3_T4_T5_mT6_P12ihipStream_tbENKUlT_T0_E_clISt17integral_constantIbLb0EESX_EEDaSS_ST_EUlSS_E_NS1_11comp_targetILNS1_3genE2ELNS1_11target_archE906ELNS1_3gpuE6ELNS1_3repE0EEENS1_30default_config_static_selectorELNS0_4arch9wavefront6targetE1EEEvT1_.kd
    .uniform_work_group_size: 1
    .uses_dynamic_stack: false
    .vgpr_count:     0
    .vgpr_spill_count: 0
    .wavefront_size: 64
  - .agpr_count:     0
    .args:
      - .offset:         0
        .size:           104
        .value_kind:     by_value
    .group_segment_fixed_size: 0
    .kernarg_segment_align: 8
    .kernarg_segment_size: 104
    .language:       OpenCL C
    .language_version:
      - 2
      - 0
    .max_flat_workgroup_size: 256
    .name:           _ZN7rocprim17ROCPRIM_400000_NS6detail17trampoline_kernelINS0_14default_configENS1_20scan_config_selectorIsEEZZNS1_9scan_implILNS1_25lookback_scan_determinismE0ELb1ELb1ES3_N6thrust23THRUST_200600_302600_NS6detail15normal_iteratorINS9_10device_ptrIsEEEENS9_16discard_iteratorINS9_11use_defaultEEEsNS9_4plusIvEEsEEDaPvRmT3_T4_T5_mT6_P12ihipStream_tbENKUlT_T0_E_clISt17integral_constantIbLb0EESX_EEDaSS_ST_EUlSS_E_NS1_11comp_targetILNS1_3genE10ELNS1_11target_archE1201ELNS1_3gpuE5ELNS1_3repE0EEENS1_30default_config_static_selectorELNS0_4arch9wavefront6targetE1EEEvT1_
    .private_segment_fixed_size: 0
    .sgpr_count:     4
    .sgpr_spill_count: 0
    .symbol:         _ZN7rocprim17ROCPRIM_400000_NS6detail17trampoline_kernelINS0_14default_configENS1_20scan_config_selectorIsEEZZNS1_9scan_implILNS1_25lookback_scan_determinismE0ELb1ELb1ES3_N6thrust23THRUST_200600_302600_NS6detail15normal_iteratorINS9_10device_ptrIsEEEENS9_16discard_iteratorINS9_11use_defaultEEEsNS9_4plusIvEEsEEDaPvRmT3_T4_T5_mT6_P12ihipStream_tbENKUlT_T0_E_clISt17integral_constantIbLb0EESX_EEDaSS_ST_EUlSS_E_NS1_11comp_targetILNS1_3genE10ELNS1_11target_archE1201ELNS1_3gpuE5ELNS1_3repE0EEENS1_30default_config_static_selectorELNS0_4arch9wavefront6targetE1EEEvT1_.kd
    .uniform_work_group_size: 1
    .uses_dynamic_stack: false
    .vgpr_count:     0
    .vgpr_spill_count: 0
    .wavefront_size: 64
  - .agpr_count:     0
    .args:
      - .offset:         0
        .size:           104
        .value_kind:     by_value
    .group_segment_fixed_size: 0
    .kernarg_segment_align: 8
    .kernarg_segment_size: 104
    .language:       OpenCL C
    .language_version:
      - 2
      - 0
    .max_flat_workgroup_size: 256
    .name:           _ZN7rocprim17ROCPRIM_400000_NS6detail17trampoline_kernelINS0_14default_configENS1_20scan_config_selectorIsEEZZNS1_9scan_implILNS1_25lookback_scan_determinismE0ELb1ELb1ES3_N6thrust23THRUST_200600_302600_NS6detail15normal_iteratorINS9_10device_ptrIsEEEENS9_16discard_iteratorINS9_11use_defaultEEEsNS9_4plusIvEEsEEDaPvRmT3_T4_T5_mT6_P12ihipStream_tbENKUlT_T0_E_clISt17integral_constantIbLb0EESX_EEDaSS_ST_EUlSS_E_NS1_11comp_targetILNS1_3genE10ELNS1_11target_archE1200ELNS1_3gpuE4ELNS1_3repE0EEENS1_30default_config_static_selectorELNS0_4arch9wavefront6targetE1EEEvT1_
    .private_segment_fixed_size: 0
    .sgpr_count:     4
    .sgpr_spill_count: 0
    .symbol:         _ZN7rocprim17ROCPRIM_400000_NS6detail17trampoline_kernelINS0_14default_configENS1_20scan_config_selectorIsEEZZNS1_9scan_implILNS1_25lookback_scan_determinismE0ELb1ELb1ES3_N6thrust23THRUST_200600_302600_NS6detail15normal_iteratorINS9_10device_ptrIsEEEENS9_16discard_iteratorINS9_11use_defaultEEEsNS9_4plusIvEEsEEDaPvRmT3_T4_T5_mT6_P12ihipStream_tbENKUlT_T0_E_clISt17integral_constantIbLb0EESX_EEDaSS_ST_EUlSS_E_NS1_11comp_targetILNS1_3genE10ELNS1_11target_archE1200ELNS1_3gpuE4ELNS1_3repE0EEENS1_30default_config_static_selectorELNS0_4arch9wavefront6targetE1EEEvT1_.kd
    .uniform_work_group_size: 1
    .uses_dynamic_stack: false
    .vgpr_count:     0
    .vgpr_spill_count: 0
    .wavefront_size: 64
  - .agpr_count:     0
    .args:
      - .offset:         0
        .size:           104
        .value_kind:     by_value
    .group_segment_fixed_size: 0
    .kernarg_segment_align: 8
    .kernarg_segment_size: 104
    .language:       OpenCL C
    .language_version:
      - 2
      - 0
    .max_flat_workgroup_size: 64
    .name:           _ZN7rocprim17ROCPRIM_400000_NS6detail17trampoline_kernelINS0_14default_configENS1_20scan_config_selectorIsEEZZNS1_9scan_implILNS1_25lookback_scan_determinismE0ELb1ELb1ES3_N6thrust23THRUST_200600_302600_NS6detail15normal_iteratorINS9_10device_ptrIsEEEENS9_16discard_iteratorINS9_11use_defaultEEEsNS9_4plusIvEEsEEDaPvRmT3_T4_T5_mT6_P12ihipStream_tbENKUlT_T0_E_clISt17integral_constantIbLb0EESX_EEDaSS_ST_EUlSS_E_NS1_11comp_targetILNS1_3genE9ELNS1_11target_archE1100ELNS1_3gpuE3ELNS1_3repE0EEENS1_30default_config_static_selectorELNS0_4arch9wavefront6targetE1EEEvT1_
    .private_segment_fixed_size: 0
    .sgpr_count:     4
    .sgpr_spill_count: 0
    .symbol:         _ZN7rocprim17ROCPRIM_400000_NS6detail17trampoline_kernelINS0_14default_configENS1_20scan_config_selectorIsEEZZNS1_9scan_implILNS1_25lookback_scan_determinismE0ELb1ELb1ES3_N6thrust23THRUST_200600_302600_NS6detail15normal_iteratorINS9_10device_ptrIsEEEENS9_16discard_iteratorINS9_11use_defaultEEEsNS9_4plusIvEEsEEDaPvRmT3_T4_T5_mT6_P12ihipStream_tbENKUlT_T0_E_clISt17integral_constantIbLb0EESX_EEDaSS_ST_EUlSS_E_NS1_11comp_targetILNS1_3genE9ELNS1_11target_archE1100ELNS1_3gpuE3ELNS1_3repE0EEENS1_30default_config_static_selectorELNS0_4arch9wavefront6targetE1EEEvT1_.kd
    .uniform_work_group_size: 1
    .uses_dynamic_stack: false
    .vgpr_count:     0
    .vgpr_spill_count: 0
    .wavefront_size: 64
  - .agpr_count:     0
    .args:
      - .offset:         0
        .size:           104
        .value_kind:     by_value
    .group_segment_fixed_size: 0
    .kernarg_segment_align: 8
    .kernarg_segment_size: 104
    .language:       OpenCL C
    .language_version:
      - 2
      - 0
    .max_flat_workgroup_size: 64
    .name:           _ZN7rocprim17ROCPRIM_400000_NS6detail17trampoline_kernelINS0_14default_configENS1_20scan_config_selectorIsEEZZNS1_9scan_implILNS1_25lookback_scan_determinismE0ELb1ELb1ES3_N6thrust23THRUST_200600_302600_NS6detail15normal_iteratorINS9_10device_ptrIsEEEENS9_16discard_iteratorINS9_11use_defaultEEEsNS9_4plusIvEEsEEDaPvRmT3_T4_T5_mT6_P12ihipStream_tbENKUlT_T0_E_clISt17integral_constantIbLb0EESX_EEDaSS_ST_EUlSS_E_NS1_11comp_targetILNS1_3genE8ELNS1_11target_archE1030ELNS1_3gpuE2ELNS1_3repE0EEENS1_30default_config_static_selectorELNS0_4arch9wavefront6targetE1EEEvT1_
    .private_segment_fixed_size: 0
    .sgpr_count:     4
    .sgpr_spill_count: 0
    .symbol:         _ZN7rocprim17ROCPRIM_400000_NS6detail17trampoline_kernelINS0_14default_configENS1_20scan_config_selectorIsEEZZNS1_9scan_implILNS1_25lookback_scan_determinismE0ELb1ELb1ES3_N6thrust23THRUST_200600_302600_NS6detail15normal_iteratorINS9_10device_ptrIsEEEENS9_16discard_iteratorINS9_11use_defaultEEEsNS9_4plusIvEEsEEDaPvRmT3_T4_T5_mT6_P12ihipStream_tbENKUlT_T0_E_clISt17integral_constantIbLb0EESX_EEDaSS_ST_EUlSS_E_NS1_11comp_targetILNS1_3genE8ELNS1_11target_archE1030ELNS1_3gpuE2ELNS1_3repE0EEENS1_30default_config_static_selectorELNS0_4arch9wavefront6targetE1EEEvT1_.kd
    .uniform_work_group_size: 1
    .uses_dynamic_stack: false
    .vgpr_count:     0
    .vgpr_spill_count: 0
    .wavefront_size: 64
  - .agpr_count:     0
    .args:
      - .offset:         0
        .size:           40
        .value_kind:     by_value
    .group_segment_fixed_size: 0
    .kernarg_segment_align: 8
    .kernarg_segment_size: 40
    .language:       OpenCL C
    .language_version:
      - 2
      - 0
    .max_flat_workgroup_size: 128
    .name:           _ZN7rocprim17ROCPRIM_400000_NS6detail17trampoline_kernelINS0_14default_configENS1_20scan_config_selectorIsEEZZNS1_9scan_implILNS1_25lookback_scan_determinismE0ELb1ELb1ES3_N6thrust23THRUST_200600_302600_NS6detail15normal_iteratorINS9_10device_ptrIsEEEENS9_16discard_iteratorINS9_11use_defaultEEEsNS9_4plusIvEEsEEDaPvRmT3_T4_T5_mT6_P12ihipStream_tbENKUlT_T0_E_clISt17integral_constantIbLb0EESX_EEDaSS_ST_EUlSS_E0_NS1_11comp_targetILNS1_3genE0ELNS1_11target_archE4294967295ELNS1_3gpuE0ELNS1_3repE0EEENS1_30default_config_static_selectorELNS0_4arch9wavefront6targetE1EEEvT1_
    .private_segment_fixed_size: 0
    .sgpr_count:     4
    .sgpr_spill_count: 0
    .symbol:         _ZN7rocprim17ROCPRIM_400000_NS6detail17trampoline_kernelINS0_14default_configENS1_20scan_config_selectorIsEEZZNS1_9scan_implILNS1_25lookback_scan_determinismE0ELb1ELb1ES3_N6thrust23THRUST_200600_302600_NS6detail15normal_iteratorINS9_10device_ptrIsEEEENS9_16discard_iteratorINS9_11use_defaultEEEsNS9_4plusIvEEsEEDaPvRmT3_T4_T5_mT6_P12ihipStream_tbENKUlT_T0_E_clISt17integral_constantIbLb0EESX_EEDaSS_ST_EUlSS_E0_NS1_11comp_targetILNS1_3genE0ELNS1_11target_archE4294967295ELNS1_3gpuE0ELNS1_3repE0EEENS1_30default_config_static_selectorELNS0_4arch9wavefront6targetE1EEEvT1_.kd
    .uniform_work_group_size: 1
    .uses_dynamic_stack: false
    .vgpr_count:     0
    .vgpr_spill_count: 0
    .wavefront_size: 64
  - .agpr_count:     0
    .args:
      - .offset:         0
        .size:           40
        .value_kind:     by_value
    .group_segment_fixed_size: 0
    .kernarg_segment_align: 8
    .kernarg_segment_size: 40
    .language:       OpenCL C
    .language_version:
      - 2
      - 0
    .max_flat_workgroup_size: 256
    .name:           _ZN7rocprim17ROCPRIM_400000_NS6detail17trampoline_kernelINS0_14default_configENS1_20scan_config_selectorIsEEZZNS1_9scan_implILNS1_25lookback_scan_determinismE0ELb1ELb1ES3_N6thrust23THRUST_200600_302600_NS6detail15normal_iteratorINS9_10device_ptrIsEEEENS9_16discard_iteratorINS9_11use_defaultEEEsNS9_4plusIvEEsEEDaPvRmT3_T4_T5_mT6_P12ihipStream_tbENKUlT_T0_E_clISt17integral_constantIbLb0EESX_EEDaSS_ST_EUlSS_E0_NS1_11comp_targetILNS1_3genE5ELNS1_11target_archE942ELNS1_3gpuE9ELNS1_3repE0EEENS1_30default_config_static_selectorELNS0_4arch9wavefront6targetE1EEEvT1_
    .private_segment_fixed_size: 0
    .sgpr_count:     4
    .sgpr_spill_count: 0
    .symbol:         _ZN7rocprim17ROCPRIM_400000_NS6detail17trampoline_kernelINS0_14default_configENS1_20scan_config_selectorIsEEZZNS1_9scan_implILNS1_25lookback_scan_determinismE0ELb1ELb1ES3_N6thrust23THRUST_200600_302600_NS6detail15normal_iteratorINS9_10device_ptrIsEEEENS9_16discard_iteratorINS9_11use_defaultEEEsNS9_4plusIvEEsEEDaPvRmT3_T4_T5_mT6_P12ihipStream_tbENKUlT_T0_E_clISt17integral_constantIbLb0EESX_EEDaSS_ST_EUlSS_E0_NS1_11comp_targetILNS1_3genE5ELNS1_11target_archE942ELNS1_3gpuE9ELNS1_3repE0EEENS1_30default_config_static_selectorELNS0_4arch9wavefront6targetE1EEEvT1_.kd
    .uniform_work_group_size: 1
    .uses_dynamic_stack: false
    .vgpr_count:     0
    .vgpr_spill_count: 0
    .wavefront_size: 64
  - .agpr_count:     0
    .args:
      - .offset:         0
        .size:           40
        .value_kind:     by_value
    .group_segment_fixed_size: 3072
    .kernarg_segment_align: 8
    .kernarg_segment_size: 40
    .language:       OpenCL C
    .language_version:
      - 2
      - 0
    .max_flat_workgroup_size: 64
    .name:           _ZN7rocprim17ROCPRIM_400000_NS6detail17trampoline_kernelINS0_14default_configENS1_20scan_config_selectorIsEEZZNS1_9scan_implILNS1_25lookback_scan_determinismE0ELb1ELb1ES3_N6thrust23THRUST_200600_302600_NS6detail15normal_iteratorINS9_10device_ptrIsEEEENS9_16discard_iteratorINS9_11use_defaultEEEsNS9_4plusIvEEsEEDaPvRmT3_T4_T5_mT6_P12ihipStream_tbENKUlT_T0_E_clISt17integral_constantIbLb0EESX_EEDaSS_ST_EUlSS_E0_NS1_11comp_targetILNS1_3genE4ELNS1_11target_archE910ELNS1_3gpuE8ELNS1_3repE0EEENS1_30default_config_static_selectorELNS0_4arch9wavefront6targetE1EEEvT1_
    .private_segment_fixed_size: 0
    .sgpr_count:     12
    .sgpr_spill_count: 0
    .symbol:         _ZN7rocprim17ROCPRIM_400000_NS6detail17trampoline_kernelINS0_14default_configENS1_20scan_config_selectorIsEEZZNS1_9scan_implILNS1_25lookback_scan_determinismE0ELb1ELb1ES3_N6thrust23THRUST_200600_302600_NS6detail15normal_iteratorINS9_10device_ptrIsEEEENS9_16discard_iteratorINS9_11use_defaultEEEsNS9_4plusIvEEsEEDaPvRmT3_T4_T5_mT6_P12ihipStream_tbENKUlT_T0_E_clISt17integral_constantIbLb0EESX_EEDaSS_ST_EUlSS_E0_NS1_11comp_targetILNS1_3genE4ELNS1_11target_archE910ELNS1_3gpuE8ELNS1_3repE0EEENS1_30default_config_static_selectorELNS0_4arch9wavefront6targetE1EEEvT1_.kd
    .uniform_work_group_size: 1
    .uses_dynamic_stack: false
    .vgpr_count:     28
    .vgpr_spill_count: 0
    .wavefront_size: 64
  - .agpr_count:     0
    .args:
      - .offset:         0
        .size:           40
        .value_kind:     by_value
    .group_segment_fixed_size: 0
    .kernarg_segment_align: 8
    .kernarg_segment_size: 40
    .language:       OpenCL C
    .language_version:
      - 2
      - 0
    .max_flat_workgroup_size: 128
    .name:           _ZN7rocprim17ROCPRIM_400000_NS6detail17trampoline_kernelINS0_14default_configENS1_20scan_config_selectorIsEEZZNS1_9scan_implILNS1_25lookback_scan_determinismE0ELb1ELb1ES3_N6thrust23THRUST_200600_302600_NS6detail15normal_iteratorINS9_10device_ptrIsEEEENS9_16discard_iteratorINS9_11use_defaultEEEsNS9_4plusIvEEsEEDaPvRmT3_T4_T5_mT6_P12ihipStream_tbENKUlT_T0_E_clISt17integral_constantIbLb0EESX_EEDaSS_ST_EUlSS_E0_NS1_11comp_targetILNS1_3genE3ELNS1_11target_archE908ELNS1_3gpuE7ELNS1_3repE0EEENS1_30default_config_static_selectorELNS0_4arch9wavefront6targetE1EEEvT1_
    .private_segment_fixed_size: 0
    .sgpr_count:     4
    .sgpr_spill_count: 0
    .symbol:         _ZN7rocprim17ROCPRIM_400000_NS6detail17trampoline_kernelINS0_14default_configENS1_20scan_config_selectorIsEEZZNS1_9scan_implILNS1_25lookback_scan_determinismE0ELb1ELb1ES3_N6thrust23THRUST_200600_302600_NS6detail15normal_iteratorINS9_10device_ptrIsEEEENS9_16discard_iteratorINS9_11use_defaultEEEsNS9_4plusIvEEsEEDaPvRmT3_T4_T5_mT6_P12ihipStream_tbENKUlT_T0_E_clISt17integral_constantIbLb0EESX_EEDaSS_ST_EUlSS_E0_NS1_11comp_targetILNS1_3genE3ELNS1_11target_archE908ELNS1_3gpuE7ELNS1_3repE0EEENS1_30default_config_static_selectorELNS0_4arch9wavefront6targetE1EEEvT1_.kd
    .uniform_work_group_size: 1
    .uses_dynamic_stack: false
    .vgpr_count:     0
    .vgpr_spill_count: 0
    .wavefront_size: 64
  - .agpr_count:     0
    .args:
      - .offset:         0
        .size:           40
        .value_kind:     by_value
    .group_segment_fixed_size: 0
    .kernarg_segment_align: 8
    .kernarg_segment_size: 40
    .language:       OpenCL C
    .language_version:
      - 2
      - 0
    .max_flat_workgroup_size: 256
    .name:           _ZN7rocprim17ROCPRIM_400000_NS6detail17trampoline_kernelINS0_14default_configENS1_20scan_config_selectorIsEEZZNS1_9scan_implILNS1_25lookback_scan_determinismE0ELb1ELb1ES3_N6thrust23THRUST_200600_302600_NS6detail15normal_iteratorINS9_10device_ptrIsEEEENS9_16discard_iteratorINS9_11use_defaultEEEsNS9_4plusIvEEsEEDaPvRmT3_T4_T5_mT6_P12ihipStream_tbENKUlT_T0_E_clISt17integral_constantIbLb0EESX_EEDaSS_ST_EUlSS_E0_NS1_11comp_targetILNS1_3genE2ELNS1_11target_archE906ELNS1_3gpuE6ELNS1_3repE0EEENS1_30default_config_static_selectorELNS0_4arch9wavefront6targetE1EEEvT1_
    .private_segment_fixed_size: 0
    .sgpr_count:     4
    .sgpr_spill_count: 0
    .symbol:         _ZN7rocprim17ROCPRIM_400000_NS6detail17trampoline_kernelINS0_14default_configENS1_20scan_config_selectorIsEEZZNS1_9scan_implILNS1_25lookback_scan_determinismE0ELb1ELb1ES3_N6thrust23THRUST_200600_302600_NS6detail15normal_iteratorINS9_10device_ptrIsEEEENS9_16discard_iteratorINS9_11use_defaultEEEsNS9_4plusIvEEsEEDaPvRmT3_T4_T5_mT6_P12ihipStream_tbENKUlT_T0_E_clISt17integral_constantIbLb0EESX_EEDaSS_ST_EUlSS_E0_NS1_11comp_targetILNS1_3genE2ELNS1_11target_archE906ELNS1_3gpuE6ELNS1_3repE0EEENS1_30default_config_static_selectorELNS0_4arch9wavefront6targetE1EEEvT1_.kd
    .uniform_work_group_size: 1
    .uses_dynamic_stack: false
    .vgpr_count:     0
    .vgpr_spill_count: 0
    .wavefront_size: 64
  - .agpr_count:     0
    .args:
      - .offset:         0
        .size:           40
        .value_kind:     by_value
    .group_segment_fixed_size: 0
    .kernarg_segment_align: 8
    .kernarg_segment_size: 40
    .language:       OpenCL C
    .language_version:
      - 2
      - 0
    .max_flat_workgroup_size: 256
    .name:           _ZN7rocprim17ROCPRIM_400000_NS6detail17trampoline_kernelINS0_14default_configENS1_20scan_config_selectorIsEEZZNS1_9scan_implILNS1_25lookback_scan_determinismE0ELb1ELb1ES3_N6thrust23THRUST_200600_302600_NS6detail15normal_iteratorINS9_10device_ptrIsEEEENS9_16discard_iteratorINS9_11use_defaultEEEsNS9_4plusIvEEsEEDaPvRmT3_T4_T5_mT6_P12ihipStream_tbENKUlT_T0_E_clISt17integral_constantIbLb0EESX_EEDaSS_ST_EUlSS_E0_NS1_11comp_targetILNS1_3genE10ELNS1_11target_archE1201ELNS1_3gpuE5ELNS1_3repE0EEENS1_30default_config_static_selectorELNS0_4arch9wavefront6targetE1EEEvT1_
    .private_segment_fixed_size: 0
    .sgpr_count:     4
    .sgpr_spill_count: 0
    .symbol:         _ZN7rocprim17ROCPRIM_400000_NS6detail17trampoline_kernelINS0_14default_configENS1_20scan_config_selectorIsEEZZNS1_9scan_implILNS1_25lookback_scan_determinismE0ELb1ELb1ES3_N6thrust23THRUST_200600_302600_NS6detail15normal_iteratorINS9_10device_ptrIsEEEENS9_16discard_iteratorINS9_11use_defaultEEEsNS9_4plusIvEEsEEDaPvRmT3_T4_T5_mT6_P12ihipStream_tbENKUlT_T0_E_clISt17integral_constantIbLb0EESX_EEDaSS_ST_EUlSS_E0_NS1_11comp_targetILNS1_3genE10ELNS1_11target_archE1201ELNS1_3gpuE5ELNS1_3repE0EEENS1_30default_config_static_selectorELNS0_4arch9wavefront6targetE1EEEvT1_.kd
    .uniform_work_group_size: 1
    .uses_dynamic_stack: false
    .vgpr_count:     0
    .vgpr_spill_count: 0
    .wavefront_size: 64
  - .agpr_count:     0
    .args:
      - .offset:         0
        .size:           40
        .value_kind:     by_value
    .group_segment_fixed_size: 0
    .kernarg_segment_align: 8
    .kernarg_segment_size: 40
    .language:       OpenCL C
    .language_version:
      - 2
      - 0
    .max_flat_workgroup_size: 256
    .name:           _ZN7rocprim17ROCPRIM_400000_NS6detail17trampoline_kernelINS0_14default_configENS1_20scan_config_selectorIsEEZZNS1_9scan_implILNS1_25lookback_scan_determinismE0ELb1ELb1ES3_N6thrust23THRUST_200600_302600_NS6detail15normal_iteratorINS9_10device_ptrIsEEEENS9_16discard_iteratorINS9_11use_defaultEEEsNS9_4plusIvEEsEEDaPvRmT3_T4_T5_mT6_P12ihipStream_tbENKUlT_T0_E_clISt17integral_constantIbLb0EESX_EEDaSS_ST_EUlSS_E0_NS1_11comp_targetILNS1_3genE10ELNS1_11target_archE1200ELNS1_3gpuE4ELNS1_3repE0EEENS1_30default_config_static_selectorELNS0_4arch9wavefront6targetE1EEEvT1_
    .private_segment_fixed_size: 0
    .sgpr_count:     4
    .sgpr_spill_count: 0
    .symbol:         _ZN7rocprim17ROCPRIM_400000_NS6detail17trampoline_kernelINS0_14default_configENS1_20scan_config_selectorIsEEZZNS1_9scan_implILNS1_25lookback_scan_determinismE0ELb1ELb1ES3_N6thrust23THRUST_200600_302600_NS6detail15normal_iteratorINS9_10device_ptrIsEEEENS9_16discard_iteratorINS9_11use_defaultEEEsNS9_4plusIvEEsEEDaPvRmT3_T4_T5_mT6_P12ihipStream_tbENKUlT_T0_E_clISt17integral_constantIbLb0EESX_EEDaSS_ST_EUlSS_E0_NS1_11comp_targetILNS1_3genE10ELNS1_11target_archE1200ELNS1_3gpuE4ELNS1_3repE0EEENS1_30default_config_static_selectorELNS0_4arch9wavefront6targetE1EEEvT1_.kd
    .uniform_work_group_size: 1
    .uses_dynamic_stack: false
    .vgpr_count:     0
    .vgpr_spill_count: 0
    .wavefront_size: 64
  - .agpr_count:     0
    .args:
      - .offset:         0
        .size:           40
        .value_kind:     by_value
    .group_segment_fixed_size: 0
    .kernarg_segment_align: 8
    .kernarg_segment_size: 40
    .language:       OpenCL C
    .language_version:
      - 2
      - 0
    .max_flat_workgroup_size: 64
    .name:           _ZN7rocprim17ROCPRIM_400000_NS6detail17trampoline_kernelINS0_14default_configENS1_20scan_config_selectorIsEEZZNS1_9scan_implILNS1_25lookback_scan_determinismE0ELb1ELb1ES3_N6thrust23THRUST_200600_302600_NS6detail15normal_iteratorINS9_10device_ptrIsEEEENS9_16discard_iteratorINS9_11use_defaultEEEsNS9_4plusIvEEsEEDaPvRmT3_T4_T5_mT6_P12ihipStream_tbENKUlT_T0_E_clISt17integral_constantIbLb0EESX_EEDaSS_ST_EUlSS_E0_NS1_11comp_targetILNS1_3genE9ELNS1_11target_archE1100ELNS1_3gpuE3ELNS1_3repE0EEENS1_30default_config_static_selectorELNS0_4arch9wavefront6targetE1EEEvT1_
    .private_segment_fixed_size: 0
    .sgpr_count:     4
    .sgpr_spill_count: 0
    .symbol:         _ZN7rocprim17ROCPRIM_400000_NS6detail17trampoline_kernelINS0_14default_configENS1_20scan_config_selectorIsEEZZNS1_9scan_implILNS1_25lookback_scan_determinismE0ELb1ELb1ES3_N6thrust23THRUST_200600_302600_NS6detail15normal_iteratorINS9_10device_ptrIsEEEENS9_16discard_iteratorINS9_11use_defaultEEEsNS9_4plusIvEEsEEDaPvRmT3_T4_T5_mT6_P12ihipStream_tbENKUlT_T0_E_clISt17integral_constantIbLb0EESX_EEDaSS_ST_EUlSS_E0_NS1_11comp_targetILNS1_3genE9ELNS1_11target_archE1100ELNS1_3gpuE3ELNS1_3repE0EEENS1_30default_config_static_selectorELNS0_4arch9wavefront6targetE1EEEvT1_.kd
    .uniform_work_group_size: 1
    .uses_dynamic_stack: false
    .vgpr_count:     0
    .vgpr_spill_count: 0
    .wavefront_size: 64
  - .agpr_count:     0
    .args:
      - .offset:         0
        .size:           40
        .value_kind:     by_value
    .group_segment_fixed_size: 0
    .kernarg_segment_align: 8
    .kernarg_segment_size: 40
    .language:       OpenCL C
    .language_version:
      - 2
      - 0
    .max_flat_workgroup_size: 64
    .name:           _ZN7rocprim17ROCPRIM_400000_NS6detail17trampoline_kernelINS0_14default_configENS1_20scan_config_selectorIsEEZZNS1_9scan_implILNS1_25lookback_scan_determinismE0ELb1ELb1ES3_N6thrust23THRUST_200600_302600_NS6detail15normal_iteratorINS9_10device_ptrIsEEEENS9_16discard_iteratorINS9_11use_defaultEEEsNS9_4plusIvEEsEEDaPvRmT3_T4_T5_mT6_P12ihipStream_tbENKUlT_T0_E_clISt17integral_constantIbLb0EESX_EEDaSS_ST_EUlSS_E0_NS1_11comp_targetILNS1_3genE8ELNS1_11target_archE1030ELNS1_3gpuE2ELNS1_3repE0EEENS1_30default_config_static_selectorELNS0_4arch9wavefront6targetE1EEEvT1_
    .private_segment_fixed_size: 0
    .sgpr_count:     4
    .sgpr_spill_count: 0
    .symbol:         _ZN7rocprim17ROCPRIM_400000_NS6detail17trampoline_kernelINS0_14default_configENS1_20scan_config_selectorIsEEZZNS1_9scan_implILNS1_25lookback_scan_determinismE0ELb1ELb1ES3_N6thrust23THRUST_200600_302600_NS6detail15normal_iteratorINS9_10device_ptrIsEEEENS9_16discard_iteratorINS9_11use_defaultEEEsNS9_4plusIvEEsEEDaPvRmT3_T4_T5_mT6_P12ihipStream_tbENKUlT_T0_E_clISt17integral_constantIbLb0EESX_EEDaSS_ST_EUlSS_E0_NS1_11comp_targetILNS1_3genE8ELNS1_11target_archE1030ELNS1_3gpuE2ELNS1_3repE0EEENS1_30default_config_static_selectorELNS0_4arch9wavefront6targetE1EEEvT1_.kd
    .uniform_work_group_size: 1
    .uses_dynamic_stack: false
    .vgpr_count:     0
    .vgpr_spill_count: 0
    .wavefront_size: 64
  - .agpr_count:     0
    .args:
      - .offset:         0
        .size:           104
        .value_kind:     by_value
    .group_segment_fixed_size: 0
    .kernarg_segment_align: 8
    .kernarg_segment_size: 104
    .language:       OpenCL C
    .language_version:
      - 2
      - 0
    .max_flat_workgroup_size: 128
    .name:           _ZN7rocprim17ROCPRIM_400000_NS6detail17trampoline_kernelINS0_14default_configENS1_20scan_config_selectorIsEEZZNS1_9scan_implILNS1_25lookback_scan_determinismE0ELb1ELb1ES3_N6thrust23THRUST_200600_302600_NS6detail15normal_iteratorINS9_10device_ptrIsEEEENS9_16discard_iteratorINS9_11use_defaultEEEsNS9_4plusIvEEsEEDaPvRmT3_T4_T5_mT6_P12ihipStream_tbENKUlT_T0_E_clISt17integral_constantIbLb1EESX_EEDaSS_ST_EUlSS_E_NS1_11comp_targetILNS1_3genE0ELNS1_11target_archE4294967295ELNS1_3gpuE0ELNS1_3repE0EEENS1_30default_config_static_selectorELNS0_4arch9wavefront6targetE1EEEvT1_
    .private_segment_fixed_size: 0
    .sgpr_count:     4
    .sgpr_spill_count: 0
    .symbol:         _ZN7rocprim17ROCPRIM_400000_NS6detail17trampoline_kernelINS0_14default_configENS1_20scan_config_selectorIsEEZZNS1_9scan_implILNS1_25lookback_scan_determinismE0ELb1ELb1ES3_N6thrust23THRUST_200600_302600_NS6detail15normal_iteratorINS9_10device_ptrIsEEEENS9_16discard_iteratorINS9_11use_defaultEEEsNS9_4plusIvEEsEEDaPvRmT3_T4_T5_mT6_P12ihipStream_tbENKUlT_T0_E_clISt17integral_constantIbLb1EESX_EEDaSS_ST_EUlSS_E_NS1_11comp_targetILNS1_3genE0ELNS1_11target_archE4294967295ELNS1_3gpuE0ELNS1_3repE0EEENS1_30default_config_static_selectorELNS0_4arch9wavefront6targetE1EEEvT1_.kd
    .uniform_work_group_size: 1
    .uses_dynamic_stack: false
    .vgpr_count:     0
    .vgpr_spill_count: 0
    .wavefront_size: 64
  - .agpr_count:     0
    .args:
      - .offset:         0
        .size:           104
        .value_kind:     by_value
    .group_segment_fixed_size: 0
    .kernarg_segment_align: 8
    .kernarg_segment_size: 104
    .language:       OpenCL C
    .language_version:
      - 2
      - 0
    .max_flat_workgroup_size: 256
    .name:           _ZN7rocprim17ROCPRIM_400000_NS6detail17trampoline_kernelINS0_14default_configENS1_20scan_config_selectorIsEEZZNS1_9scan_implILNS1_25lookback_scan_determinismE0ELb1ELb1ES3_N6thrust23THRUST_200600_302600_NS6detail15normal_iteratorINS9_10device_ptrIsEEEENS9_16discard_iteratorINS9_11use_defaultEEEsNS9_4plusIvEEsEEDaPvRmT3_T4_T5_mT6_P12ihipStream_tbENKUlT_T0_E_clISt17integral_constantIbLb1EESX_EEDaSS_ST_EUlSS_E_NS1_11comp_targetILNS1_3genE5ELNS1_11target_archE942ELNS1_3gpuE9ELNS1_3repE0EEENS1_30default_config_static_selectorELNS0_4arch9wavefront6targetE1EEEvT1_
    .private_segment_fixed_size: 0
    .sgpr_count:     4
    .sgpr_spill_count: 0
    .symbol:         _ZN7rocprim17ROCPRIM_400000_NS6detail17trampoline_kernelINS0_14default_configENS1_20scan_config_selectorIsEEZZNS1_9scan_implILNS1_25lookback_scan_determinismE0ELb1ELb1ES3_N6thrust23THRUST_200600_302600_NS6detail15normal_iteratorINS9_10device_ptrIsEEEENS9_16discard_iteratorINS9_11use_defaultEEEsNS9_4plusIvEEsEEDaPvRmT3_T4_T5_mT6_P12ihipStream_tbENKUlT_T0_E_clISt17integral_constantIbLb1EESX_EEDaSS_ST_EUlSS_E_NS1_11comp_targetILNS1_3genE5ELNS1_11target_archE942ELNS1_3gpuE9ELNS1_3repE0EEENS1_30default_config_static_selectorELNS0_4arch9wavefront6targetE1EEEvT1_.kd
    .uniform_work_group_size: 1
    .uses_dynamic_stack: false
    .vgpr_count:     0
    .vgpr_spill_count: 0
    .wavefront_size: 64
  - .agpr_count:     0
    .args:
      - .offset:         0
        .size:           104
        .value_kind:     by_value
    .group_segment_fixed_size: 3072
    .kernarg_segment_align: 8
    .kernarg_segment_size: 104
    .language:       OpenCL C
    .language_version:
      - 2
      - 0
    .max_flat_workgroup_size: 64
    .name:           _ZN7rocprim17ROCPRIM_400000_NS6detail17trampoline_kernelINS0_14default_configENS1_20scan_config_selectorIsEEZZNS1_9scan_implILNS1_25lookback_scan_determinismE0ELb1ELb1ES3_N6thrust23THRUST_200600_302600_NS6detail15normal_iteratorINS9_10device_ptrIsEEEENS9_16discard_iteratorINS9_11use_defaultEEEsNS9_4plusIvEEsEEDaPvRmT3_T4_T5_mT6_P12ihipStream_tbENKUlT_T0_E_clISt17integral_constantIbLb1EESX_EEDaSS_ST_EUlSS_E_NS1_11comp_targetILNS1_3genE4ELNS1_11target_archE910ELNS1_3gpuE8ELNS1_3repE0EEENS1_30default_config_static_selectorELNS0_4arch9wavefront6targetE1EEEvT1_
    .private_segment_fixed_size: 0
    .sgpr_count:     36
    .sgpr_spill_count: 0
    .symbol:         _ZN7rocprim17ROCPRIM_400000_NS6detail17trampoline_kernelINS0_14default_configENS1_20scan_config_selectorIsEEZZNS1_9scan_implILNS1_25lookback_scan_determinismE0ELb1ELb1ES3_N6thrust23THRUST_200600_302600_NS6detail15normal_iteratorINS9_10device_ptrIsEEEENS9_16discard_iteratorINS9_11use_defaultEEEsNS9_4plusIvEEsEEDaPvRmT3_T4_T5_mT6_P12ihipStream_tbENKUlT_T0_E_clISt17integral_constantIbLb1EESX_EEDaSS_ST_EUlSS_E_NS1_11comp_targetILNS1_3genE4ELNS1_11target_archE910ELNS1_3gpuE8ELNS1_3repE0EEENS1_30default_config_static_selectorELNS0_4arch9wavefront6targetE1EEEvT1_.kd
    .uniform_work_group_size: 1
    .uses_dynamic_stack: false
    .vgpr_count:     44
    .vgpr_spill_count: 0
    .wavefront_size: 64
  - .agpr_count:     0
    .args:
      - .offset:         0
        .size:           104
        .value_kind:     by_value
    .group_segment_fixed_size: 0
    .kernarg_segment_align: 8
    .kernarg_segment_size: 104
    .language:       OpenCL C
    .language_version:
      - 2
      - 0
    .max_flat_workgroup_size: 128
    .name:           _ZN7rocprim17ROCPRIM_400000_NS6detail17trampoline_kernelINS0_14default_configENS1_20scan_config_selectorIsEEZZNS1_9scan_implILNS1_25lookback_scan_determinismE0ELb1ELb1ES3_N6thrust23THRUST_200600_302600_NS6detail15normal_iteratorINS9_10device_ptrIsEEEENS9_16discard_iteratorINS9_11use_defaultEEEsNS9_4plusIvEEsEEDaPvRmT3_T4_T5_mT6_P12ihipStream_tbENKUlT_T0_E_clISt17integral_constantIbLb1EESX_EEDaSS_ST_EUlSS_E_NS1_11comp_targetILNS1_3genE3ELNS1_11target_archE908ELNS1_3gpuE7ELNS1_3repE0EEENS1_30default_config_static_selectorELNS0_4arch9wavefront6targetE1EEEvT1_
    .private_segment_fixed_size: 0
    .sgpr_count:     4
    .sgpr_spill_count: 0
    .symbol:         _ZN7rocprim17ROCPRIM_400000_NS6detail17trampoline_kernelINS0_14default_configENS1_20scan_config_selectorIsEEZZNS1_9scan_implILNS1_25lookback_scan_determinismE0ELb1ELb1ES3_N6thrust23THRUST_200600_302600_NS6detail15normal_iteratorINS9_10device_ptrIsEEEENS9_16discard_iteratorINS9_11use_defaultEEEsNS9_4plusIvEEsEEDaPvRmT3_T4_T5_mT6_P12ihipStream_tbENKUlT_T0_E_clISt17integral_constantIbLb1EESX_EEDaSS_ST_EUlSS_E_NS1_11comp_targetILNS1_3genE3ELNS1_11target_archE908ELNS1_3gpuE7ELNS1_3repE0EEENS1_30default_config_static_selectorELNS0_4arch9wavefront6targetE1EEEvT1_.kd
    .uniform_work_group_size: 1
    .uses_dynamic_stack: false
    .vgpr_count:     0
    .vgpr_spill_count: 0
    .wavefront_size: 64
  - .agpr_count:     0
    .args:
      - .offset:         0
        .size:           104
        .value_kind:     by_value
    .group_segment_fixed_size: 0
    .kernarg_segment_align: 8
    .kernarg_segment_size: 104
    .language:       OpenCL C
    .language_version:
      - 2
      - 0
    .max_flat_workgroup_size: 256
    .name:           _ZN7rocprim17ROCPRIM_400000_NS6detail17trampoline_kernelINS0_14default_configENS1_20scan_config_selectorIsEEZZNS1_9scan_implILNS1_25lookback_scan_determinismE0ELb1ELb1ES3_N6thrust23THRUST_200600_302600_NS6detail15normal_iteratorINS9_10device_ptrIsEEEENS9_16discard_iteratorINS9_11use_defaultEEEsNS9_4plusIvEEsEEDaPvRmT3_T4_T5_mT6_P12ihipStream_tbENKUlT_T0_E_clISt17integral_constantIbLb1EESX_EEDaSS_ST_EUlSS_E_NS1_11comp_targetILNS1_3genE2ELNS1_11target_archE906ELNS1_3gpuE6ELNS1_3repE0EEENS1_30default_config_static_selectorELNS0_4arch9wavefront6targetE1EEEvT1_
    .private_segment_fixed_size: 0
    .sgpr_count:     4
    .sgpr_spill_count: 0
    .symbol:         _ZN7rocprim17ROCPRIM_400000_NS6detail17trampoline_kernelINS0_14default_configENS1_20scan_config_selectorIsEEZZNS1_9scan_implILNS1_25lookback_scan_determinismE0ELb1ELb1ES3_N6thrust23THRUST_200600_302600_NS6detail15normal_iteratorINS9_10device_ptrIsEEEENS9_16discard_iteratorINS9_11use_defaultEEEsNS9_4plusIvEEsEEDaPvRmT3_T4_T5_mT6_P12ihipStream_tbENKUlT_T0_E_clISt17integral_constantIbLb1EESX_EEDaSS_ST_EUlSS_E_NS1_11comp_targetILNS1_3genE2ELNS1_11target_archE906ELNS1_3gpuE6ELNS1_3repE0EEENS1_30default_config_static_selectorELNS0_4arch9wavefront6targetE1EEEvT1_.kd
    .uniform_work_group_size: 1
    .uses_dynamic_stack: false
    .vgpr_count:     0
    .vgpr_spill_count: 0
    .wavefront_size: 64
  - .agpr_count:     0
    .args:
      - .offset:         0
        .size:           104
        .value_kind:     by_value
    .group_segment_fixed_size: 0
    .kernarg_segment_align: 8
    .kernarg_segment_size: 104
    .language:       OpenCL C
    .language_version:
      - 2
      - 0
    .max_flat_workgroup_size: 256
    .name:           _ZN7rocprim17ROCPRIM_400000_NS6detail17trampoline_kernelINS0_14default_configENS1_20scan_config_selectorIsEEZZNS1_9scan_implILNS1_25lookback_scan_determinismE0ELb1ELb1ES3_N6thrust23THRUST_200600_302600_NS6detail15normal_iteratorINS9_10device_ptrIsEEEENS9_16discard_iteratorINS9_11use_defaultEEEsNS9_4plusIvEEsEEDaPvRmT3_T4_T5_mT6_P12ihipStream_tbENKUlT_T0_E_clISt17integral_constantIbLb1EESX_EEDaSS_ST_EUlSS_E_NS1_11comp_targetILNS1_3genE10ELNS1_11target_archE1201ELNS1_3gpuE5ELNS1_3repE0EEENS1_30default_config_static_selectorELNS0_4arch9wavefront6targetE1EEEvT1_
    .private_segment_fixed_size: 0
    .sgpr_count:     4
    .sgpr_spill_count: 0
    .symbol:         _ZN7rocprim17ROCPRIM_400000_NS6detail17trampoline_kernelINS0_14default_configENS1_20scan_config_selectorIsEEZZNS1_9scan_implILNS1_25lookback_scan_determinismE0ELb1ELb1ES3_N6thrust23THRUST_200600_302600_NS6detail15normal_iteratorINS9_10device_ptrIsEEEENS9_16discard_iteratorINS9_11use_defaultEEEsNS9_4plusIvEEsEEDaPvRmT3_T4_T5_mT6_P12ihipStream_tbENKUlT_T0_E_clISt17integral_constantIbLb1EESX_EEDaSS_ST_EUlSS_E_NS1_11comp_targetILNS1_3genE10ELNS1_11target_archE1201ELNS1_3gpuE5ELNS1_3repE0EEENS1_30default_config_static_selectorELNS0_4arch9wavefront6targetE1EEEvT1_.kd
    .uniform_work_group_size: 1
    .uses_dynamic_stack: false
    .vgpr_count:     0
    .vgpr_spill_count: 0
    .wavefront_size: 64
  - .agpr_count:     0
    .args:
      - .offset:         0
        .size:           104
        .value_kind:     by_value
    .group_segment_fixed_size: 0
    .kernarg_segment_align: 8
    .kernarg_segment_size: 104
    .language:       OpenCL C
    .language_version:
      - 2
      - 0
    .max_flat_workgroup_size: 256
    .name:           _ZN7rocprim17ROCPRIM_400000_NS6detail17trampoline_kernelINS0_14default_configENS1_20scan_config_selectorIsEEZZNS1_9scan_implILNS1_25lookback_scan_determinismE0ELb1ELb1ES3_N6thrust23THRUST_200600_302600_NS6detail15normal_iteratorINS9_10device_ptrIsEEEENS9_16discard_iteratorINS9_11use_defaultEEEsNS9_4plusIvEEsEEDaPvRmT3_T4_T5_mT6_P12ihipStream_tbENKUlT_T0_E_clISt17integral_constantIbLb1EESX_EEDaSS_ST_EUlSS_E_NS1_11comp_targetILNS1_3genE10ELNS1_11target_archE1200ELNS1_3gpuE4ELNS1_3repE0EEENS1_30default_config_static_selectorELNS0_4arch9wavefront6targetE1EEEvT1_
    .private_segment_fixed_size: 0
    .sgpr_count:     4
    .sgpr_spill_count: 0
    .symbol:         _ZN7rocprim17ROCPRIM_400000_NS6detail17trampoline_kernelINS0_14default_configENS1_20scan_config_selectorIsEEZZNS1_9scan_implILNS1_25lookback_scan_determinismE0ELb1ELb1ES3_N6thrust23THRUST_200600_302600_NS6detail15normal_iteratorINS9_10device_ptrIsEEEENS9_16discard_iteratorINS9_11use_defaultEEEsNS9_4plusIvEEsEEDaPvRmT3_T4_T5_mT6_P12ihipStream_tbENKUlT_T0_E_clISt17integral_constantIbLb1EESX_EEDaSS_ST_EUlSS_E_NS1_11comp_targetILNS1_3genE10ELNS1_11target_archE1200ELNS1_3gpuE4ELNS1_3repE0EEENS1_30default_config_static_selectorELNS0_4arch9wavefront6targetE1EEEvT1_.kd
    .uniform_work_group_size: 1
    .uses_dynamic_stack: false
    .vgpr_count:     0
    .vgpr_spill_count: 0
    .wavefront_size: 64
  - .agpr_count:     0
    .args:
      - .offset:         0
        .size:           104
        .value_kind:     by_value
    .group_segment_fixed_size: 0
    .kernarg_segment_align: 8
    .kernarg_segment_size: 104
    .language:       OpenCL C
    .language_version:
      - 2
      - 0
    .max_flat_workgroup_size: 64
    .name:           _ZN7rocprim17ROCPRIM_400000_NS6detail17trampoline_kernelINS0_14default_configENS1_20scan_config_selectorIsEEZZNS1_9scan_implILNS1_25lookback_scan_determinismE0ELb1ELb1ES3_N6thrust23THRUST_200600_302600_NS6detail15normal_iteratorINS9_10device_ptrIsEEEENS9_16discard_iteratorINS9_11use_defaultEEEsNS9_4plusIvEEsEEDaPvRmT3_T4_T5_mT6_P12ihipStream_tbENKUlT_T0_E_clISt17integral_constantIbLb1EESX_EEDaSS_ST_EUlSS_E_NS1_11comp_targetILNS1_3genE9ELNS1_11target_archE1100ELNS1_3gpuE3ELNS1_3repE0EEENS1_30default_config_static_selectorELNS0_4arch9wavefront6targetE1EEEvT1_
    .private_segment_fixed_size: 0
    .sgpr_count:     4
    .sgpr_spill_count: 0
    .symbol:         _ZN7rocprim17ROCPRIM_400000_NS6detail17trampoline_kernelINS0_14default_configENS1_20scan_config_selectorIsEEZZNS1_9scan_implILNS1_25lookback_scan_determinismE0ELb1ELb1ES3_N6thrust23THRUST_200600_302600_NS6detail15normal_iteratorINS9_10device_ptrIsEEEENS9_16discard_iteratorINS9_11use_defaultEEEsNS9_4plusIvEEsEEDaPvRmT3_T4_T5_mT6_P12ihipStream_tbENKUlT_T0_E_clISt17integral_constantIbLb1EESX_EEDaSS_ST_EUlSS_E_NS1_11comp_targetILNS1_3genE9ELNS1_11target_archE1100ELNS1_3gpuE3ELNS1_3repE0EEENS1_30default_config_static_selectorELNS0_4arch9wavefront6targetE1EEEvT1_.kd
    .uniform_work_group_size: 1
    .uses_dynamic_stack: false
    .vgpr_count:     0
    .vgpr_spill_count: 0
    .wavefront_size: 64
  - .agpr_count:     0
    .args:
      - .offset:         0
        .size:           104
        .value_kind:     by_value
    .group_segment_fixed_size: 0
    .kernarg_segment_align: 8
    .kernarg_segment_size: 104
    .language:       OpenCL C
    .language_version:
      - 2
      - 0
    .max_flat_workgroup_size: 64
    .name:           _ZN7rocprim17ROCPRIM_400000_NS6detail17trampoline_kernelINS0_14default_configENS1_20scan_config_selectorIsEEZZNS1_9scan_implILNS1_25lookback_scan_determinismE0ELb1ELb1ES3_N6thrust23THRUST_200600_302600_NS6detail15normal_iteratorINS9_10device_ptrIsEEEENS9_16discard_iteratorINS9_11use_defaultEEEsNS9_4plusIvEEsEEDaPvRmT3_T4_T5_mT6_P12ihipStream_tbENKUlT_T0_E_clISt17integral_constantIbLb1EESX_EEDaSS_ST_EUlSS_E_NS1_11comp_targetILNS1_3genE8ELNS1_11target_archE1030ELNS1_3gpuE2ELNS1_3repE0EEENS1_30default_config_static_selectorELNS0_4arch9wavefront6targetE1EEEvT1_
    .private_segment_fixed_size: 0
    .sgpr_count:     4
    .sgpr_spill_count: 0
    .symbol:         _ZN7rocprim17ROCPRIM_400000_NS6detail17trampoline_kernelINS0_14default_configENS1_20scan_config_selectorIsEEZZNS1_9scan_implILNS1_25lookback_scan_determinismE0ELb1ELb1ES3_N6thrust23THRUST_200600_302600_NS6detail15normal_iteratorINS9_10device_ptrIsEEEENS9_16discard_iteratorINS9_11use_defaultEEEsNS9_4plusIvEEsEEDaPvRmT3_T4_T5_mT6_P12ihipStream_tbENKUlT_T0_E_clISt17integral_constantIbLb1EESX_EEDaSS_ST_EUlSS_E_NS1_11comp_targetILNS1_3genE8ELNS1_11target_archE1030ELNS1_3gpuE2ELNS1_3repE0EEENS1_30default_config_static_selectorELNS0_4arch9wavefront6targetE1EEEvT1_.kd
    .uniform_work_group_size: 1
    .uses_dynamic_stack: false
    .vgpr_count:     0
    .vgpr_spill_count: 0
    .wavefront_size: 64
  - .agpr_count:     0
    .args:
      - .offset:         0
        .size:           40
        .value_kind:     by_value
    .group_segment_fixed_size: 0
    .kernarg_segment_align: 8
    .kernarg_segment_size: 40
    .language:       OpenCL C
    .language_version:
      - 2
      - 0
    .max_flat_workgroup_size: 128
    .name:           _ZN7rocprim17ROCPRIM_400000_NS6detail17trampoline_kernelINS0_14default_configENS1_20scan_config_selectorIsEEZZNS1_9scan_implILNS1_25lookback_scan_determinismE0ELb1ELb1ES3_N6thrust23THRUST_200600_302600_NS6detail15normal_iteratorINS9_10device_ptrIsEEEENS9_16discard_iteratorINS9_11use_defaultEEEsNS9_4plusIvEEsEEDaPvRmT3_T4_T5_mT6_P12ihipStream_tbENKUlT_T0_E_clISt17integral_constantIbLb1EESX_EEDaSS_ST_EUlSS_E0_NS1_11comp_targetILNS1_3genE0ELNS1_11target_archE4294967295ELNS1_3gpuE0ELNS1_3repE0EEENS1_30default_config_static_selectorELNS0_4arch9wavefront6targetE1EEEvT1_
    .private_segment_fixed_size: 0
    .sgpr_count:     4
    .sgpr_spill_count: 0
    .symbol:         _ZN7rocprim17ROCPRIM_400000_NS6detail17trampoline_kernelINS0_14default_configENS1_20scan_config_selectorIsEEZZNS1_9scan_implILNS1_25lookback_scan_determinismE0ELb1ELb1ES3_N6thrust23THRUST_200600_302600_NS6detail15normal_iteratorINS9_10device_ptrIsEEEENS9_16discard_iteratorINS9_11use_defaultEEEsNS9_4plusIvEEsEEDaPvRmT3_T4_T5_mT6_P12ihipStream_tbENKUlT_T0_E_clISt17integral_constantIbLb1EESX_EEDaSS_ST_EUlSS_E0_NS1_11comp_targetILNS1_3genE0ELNS1_11target_archE4294967295ELNS1_3gpuE0ELNS1_3repE0EEENS1_30default_config_static_selectorELNS0_4arch9wavefront6targetE1EEEvT1_.kd
    .uniform_work_group_size: 1
    .uses_dynamic_stack: false
    .vgpr_count:     0
    .vgpr_spill_count: 0
    .wavefront_size: 64
  - .agpr_count:     0
    .args:
      - .offset:         0
        .size:           40
        .value_kind:     by_value
    .group_segment_fixed_size: 0
    .kernarg_segment_align: 8
    .kernarg_segment_size: 40
    .language:       OpenCL C
    .language_version:
      - 2
      - 0
    .max_flat_workgroup_size: 256
    .name:           _ZN7rocprim17ROCPRIM_400000_NS6detail17trampoline_kernelINS0_14default_configENS1_20scan_config_selectorIsEEZZNS1_9scan_implILNS1_25lookback_scan_determinismE0ELb1ELb1ES3_N6thrust23THRUST_200600_302600_NS6detail15normal_iteratorINS9_10device_ptrIsEEEENS9_16discard_iteratorINS9_11use_defaultEEEsNS9_4plusIvEEsEEDaPvRmT3_T4_T5_mT6_P12ihipStream_tbENKUlT_T0_E_clISt17integral_constantIbLb1EESX_EEDaSS_ST_EUlSS_E0_NS1_11comp_targetILNS1_3genE5ELNS1_11target_archE942ELNS1_3gpuE9ELNS1_3repE0EEENS1_30default_config_static_selectorELNS0_4arch9wavefront6targetE1EEEvT1_
    .private_segment_fixed_size: 0
    .sgpr_count:     4
    .sgpr_spill_count: 0
    .symbol:         _ZN7rocprim17ROCPRIM_400000_NS6detail17trampoline_kernelINS0_14default_configENS1_20scan_config_selectorIsEEZZNS1_9scan_implILNS1_25lookback_scan_determinismE0ELb1ELb1ES3_N6thrust23THRUST_200600_302600_NS6detail15normal_iteratorINS9_10device_ptrIsEEEENS9_16discard_iteratorINS9_11use_defaultEEEsNS9_4plusIvEEsEEDaPvRmT3_T4_T5_mT6_P12ihipStream_tbENKUlT_T0_E_clISt17integral_constantIbLb1EESX_EEDaSS_ST_EUlSS_E0_NS1_11comp_targetILNS1_3genE5ELNS1_11target_archE942ELNS1_3gpuE9ELNS1_3repE0EEENS1_30default_config_static_selectorELNS0_4arch9wavefront6targetE1EEEvT1_.kd
    .uniform_work_group_size: 1
    .uses_dynamic_stack: false
    .vgpr_count:     0
    .vgpr_spill_count: 0
    .wavefront_size: 64
  - .agpr_count:     0
    .args:
      - .offset:         0
        .size:           40
        .value_kind:     by_value
    .group_segment_fixed_size: 3072
    .kernarg_segment_align: 8
    .kernarg_segment_size: 40
    .language:       OpenCL C
    .language_version:
      - 2
      - 0
    .max_flat_workgroup_size: 64
    .name:           _ZN7rocprim17ROCPRIM_400000_NS6detail17trampoline_kernelINS0_14default_configENS1_20scan_config_selectorIsEEZZNS1_9scan_implILNS1_25lookback_scan_determinismE0ELb1ELb1ES3_N6thrust23THRUST_200600_302600_NS6detail15normal_iteratorINS9_10device_ptrIsEEEENS9_16discard_iteratorINS9_11use_defaultEEEsNS9_4plusIvEEsEEDaPvRmT3_T4_T5_mT6_P12ihipStream_tbENKUlT_T0_E_clISt17integral_constantIbLb1EESX_EEDaSS_ST_EUlSS_E0_NS1_11comp_targetILNS1_3genE4ELNS1_11target_archE910ELNS1_3gpuE8ELNS1_3repE0EEENS1_30default_config_static_selectorELNS0_4arch9wavefront6targetE1EEEvT1_
    .private_segment_fixed_size: 0
    .sgpr_count:     12
    .sgpr_spill_count: 0
    .symbol:         _ZN7rocprim17ROCPRIM_400000_NS6detail17trampoline_kernelINS0_14default_configENS1_20scan_config_selectorIsEEZZNS1_9scan_implILNS1_25lookback_scan_determinismE0ELb1ELb1ES3_N6thrust23THRUST_200600_302600_NS6detail15normal_iteratorINS9_10device_ptrIsEEEENS9_16discard_iteratorINS9_11use_defaultEEEsNS9_4plusIvEEsEEDaPvRmT3_T4_T5_mT6_P12ihipStream_tbENKUlT_T0_E_clISt17integral_constantIbLb1EESX_EEDaSS_ST_EUlSS_E0_NS1_11comp_targetILNS1_3genE4ELNS1_11target_archE910ELNS1_3gpuE8ELNS1_3repE0EEENS1_30default_config_static_selectorELNS0_4arch9wavefront6targetE1EEEvT1_.kd
    .uniform_work_group_size: 1
    .uses_dynamic_stack: false
    .vgpr_count:     28
    .vgpr_spill_count: 0
    .wavefront_size: 64
  - .agpr_count:     0
    .args:
      - .offset:         0
        .size:           40
        .value_kind:     by_value
    .group_segment_fixed_size: 0
    .kernarg_segment_align: 8
    .kernarg_segment_size: 40
    .language:       OpenCL C
    .language_version:
      - 2
      - 0
    .max_flat_workgroup_size: 128
    .name:           _ZN7rocprim17ROCPRIM_400000_NS6detail17trampoline_kernelINS0_14default_configENS1_20scan_config_selectorIsEEZZNS1_9scan_implILNS1_25lookback_scan_determinismE0ELb1ELb1ES3_N6thrust23THRUST_200600_302600_NS6detail15normal_iteratorINS9_10device_ptrIsEEEENS9_16discard_iteratorINS9_11use_defaultEEEsNS9_4plusIvEEsEEDaPvRmT3_T4_T5_mT6_P12ihipStream_tbENKUlT_T0_E_clISt17integral_constantIbLb1EESX_EEDaSS_ST_EUlSS_E0_NS1_11comp_targetILNS1_3genE3ELNS1_11target_archE908ELNS1_3gpuE7ELNS1_3repE0EEENS1_30default_config_static_selectorELNS0_4arch9wavefront6targetE1EEEvT1_
    .private_segment_fixed_size: 0
    .sgpr_count:     4
    .sgpr_spill_count: 0
    .symbol:         _ZN7rocprim17ROCPRIM_400000_NS6detail17trampoline_kernelINS0_14default_configENS1_20scan_config_selectorIsEEZZNS1_9scan_implILNS1_25lookback_scan_determinismE0ELb1ELb1ES3_N6thrust23THRUST_200600_302600_NS6detail15normal_iteratorINS9_10device_ptrIsEEEENS9_16discard_iteratorINS9_11use_defaultEEEsNS9_4plusIvEEsEEDaPvRmT3_T4_T5_mT6_P12ihipStream_tbENKUlT_T0_E_clISt17integral_constantIbLb1EESX_EEDaSS_ST_EUlSS_E0_NS1_11comp_targetILNS1_3genE3ELNS1_11target_archE908ELNS1_3gpuE7ELNS1_3repE0EEENS1_30default_config_static_selectorELNS0_4arch9wavefront6targetE1EEEvT1_.kd
    .uniform_work_group_size: 1
    .uses_dynamic_stack: false
    .vgpr_count:     0
    .vgpr_spill_count: 0
    .wavefront_size: 64
  - .agpr_count:     0
    .args:
      - .offset:         0
        .size:           40
        .value_kind:     by_value
    .group_segment_fixed_size: 0
    .kernarg_segment_align: 8
    .kernarg_segment_size: 40
    .language:       OpenCL C
    .language_version:
      - 2
      - 0
    .max_flat_workgroup_size: 256
    .name:           _ZN7rocprim17ROCPRIM_400000_NS6detail17trampoline_kernelINS0_14default_configENS1_20scan_config_selectorIsEEZZNS1_9scan_implILNS1_25lookback_scan_determinismE0ELb1ELb1ES3_N6thrust23THRUST_200600_302600_NS6detail15normal_iteratorINS9_10device_ptrIsEEEENS9_16discard_iteratorINS9_11use_defaultEEEsNS9_4plusIvEEsEEDaPvRmT3_T4_T5_mT6_P12ihipStream_tbENKUlT_T0_E_clISt17integral_constantIbLb1EESX_EEDaSS_ST_EUlSS_E0_NS1_11comp_targetILNS1_3genE2ELNS1_11target_archE906ELNS1_3gpuE6ELNS1_3repE0EEENS1_30default_config_static_selectorELNS0_4arch9wavefront6targetE1EEEvT1_
    .private_segment_fixed_size: 0
    .sgpr_count:     4
    .sgpr_spill_count: 0
    .symbol:         _ZN7rocprim17ROCPRIM_400000_NS6detail17trampoline_kernelINS0_14default_configENS1_20scan_config_selectorIsEEZZNS1_9scan_implILNS1_25lookback_scan_determinismE0ELb1ELb1ES3_N6thrust23THRUST_200600_302600_NS6detail15normal_iteratorINS9_10device_ptrIsEEEENS9_16discard_iteratorINS9_11use_defaultEEEsNS9_4plusIvEEsEEDaPvRmT3_T4_T5_mT6_P12ihipStream_tbENKUlT_T0_E_clISt17integral_constantIbLb1EESX_EEDaSS_ST_EUlSS_E0_NS1_11comp_targetILNS1_3genE2ELNS1_11target_archE906ELNS1_3gpuE6ELNS1_3repE0EEENS1_30default_config_static_selectorELNS0_4arch9wavefront6targetE1EEEvT1_.kd
    .uniform_work_group_size: 1
    .uses_dynamic_stack: false
    .vgpr_count:     0
    .vgpr_spill_count: 0
    .wavefront_size: 64
  - .agpr_count:     0
    .args:
      - .offset:         0
        .size:           40
        .value_kind:     by_value
    .group_segment_fixed_size: 0
    .kernarg_segment_align: 8
    .kernarg_segment_size: 40
    .language:       OpenCL C
    .language_version:
      - 2
      - 0
    .max_flat_workgroup_size: 256
    .name:           _ZN7rocprim17ROCPRIM_400000_NS6detail17trampoline_kernelINS0_14default_configENS1_20scan_config_selectorIsEEZZNS1_9scan_implILNS1_25lookback_scan_determinismE0ELb1ELb1ES3_N6thrust23THRUST_200600_302600_NS6detail15normal_iteratorINS9_10device_ptrIsEEEENS9_16discard_iteratorINS9_11use_defaultEEEsNS9_4plusIvEEsEEDaPvRmT3_T4_T5_mT6_P12ihipStream_tbENKUlT_T0_E_clISt17integral_constantIbLb1EESX_EEDaSS_ST_EUlSS_E0_NS1_11comp_targetILNS1_3genE10ELNS1_11target_archE1201ELNS1_3gpuE5ELNS1_3repE0EEENS1_30default_config_static_selectorELNS0_4arch9wavefront6targetE1EEEvT1_
    .private_segment_fixed_size: 0
    .sgpr_count:     4
    .sgpr_spill_count: 0
    .symbol:         _ZN7rocprim17ROCPRIM_400000_NS6detail17trampoline_kernelINS0_14default_configENS1_20scan_config_selectorIsEEZZNS1_9scan_implILNS1_25lookback_scan_determinismE0ELb1ELb1ES3_N6thrust23THRUST_200600_302600_NS6detail15normal_iteratorINS9_10device_ptrIsEEEENS9_16discard_iteratorINS9_11use_defaultEEEsNS9_4plusIvEEsEEDaPvRmT3_T4_T5_mT6_P12ihipStream_tbENKUlT_T0_E_clISt17integral_constantIbLb1EESX_EEDaSS_ST_EUlSS_E0_NS1_11comp_targetILNS1_3genE10ELNS1_11target_archE1201ELNS1_3gpuE5ELNS1_3repE0EEENS1_30default_config_static_selectorELNS0_4arch9wavefront6targetE1EEEvT1_.kd
    .uniform_work_group_size: 1
    .uses_dynamic_stack: false
    .vgpr_count:     0
    .vgpr_spill_count: 0
    .wavefront_size: 64
  - .agpr_count:     0
    .args:
      - .offset:         0
        .size:           40
        .value_kind:     by_value
    .group_segment_fixed_size: 0
    .kernarg_segment_align: 8
    .kernarg_segment_size: 40
    .language:       OpenCL C
    .language_version:
      - 2
      - 0
    .max_flat_workgroup_size: 256
    .name:           _ZN7rocprim17ROCPRIM_400000_NS6detail17trampoline_kernelINS0_14default_configENS1_20scan_config_selectorIsEEZZNS1_9scan_implILNS1_25lookback_scan_determinismE0ELb1ELb1ES3_N6thrust23THRUST_200600_302600_NS6detail15normal_iteratorINS9_10device_ptrIsEEEENS9_16discard_iteratorINS9_11use_defaultEEEsNS9_4plusIvEEsEEDaPvRmT3_T4_T5_mT6_P12ihipStream_tbENKUlT_T0_E_clISt17integral_constantIbLb1EESX_EEDaSS_ST_EUlSS_E0_NS1_11comp_targetILNS1_3genE10ELNS1_11target_archE1200ELNS1_3gpuE4ELNS1_3repE0EEENS1_30default_config_static_selectorELNS0_4arch9wavefront6targetE1EEEvT1_
    .private_segment_fixed_size: 0
    .sgpr_count:     4
    .sgpr_spill_count: 0
    .symbol:         _ZN7rocprim17ROCPRIM_400000_NS6detail17trampoline_kernelINS0_14default_configENS1_20scan_config_selectorIsEEZZNS1_9scan_implILNS1_25lookback_scan_determinismE0ELb1ELb1ES3_N6thrust23THRUST_200600_302600_NS6detail15normal_iteratorINS9_10device_ptrIsEEEENS9_16discard_iteratorINS9_11use_defaultEEEsNS9_4plusIvEEsEEDaPvRmT3_T4_T5_mT6_P12ihipStream_tbENKUlT_T0_E_clISt17integral_constantIbLb1EESX_EEDaSS_ST_EUlSS_E0_NS1_11comp_targetILNS1_3genE10ELNS1_11target_archE1200ELNS1_3gpuE4ELNS1_3repE0EEENS1_30default_config_static_selectorELNS0_4arch9wavefront6targetE1EEEvT1_.kd
    .uniform_work_group_size: 1
    .uses_dynamic_stack: false
    .vgpr_count:     0
    .vgpr_spill_count: 0
    .wavefront_size: 64
  - .agpr_count:     0
    .args:
      - .offset:         0
        .size:           40
        .value_kind:     by_value
    .group_segment_fixed_size: 0
    .kernarg_segment_align: 8
    .kernarg_segment_size: 40
    .language:       OpenCL C
    .language_version:
      - 2
      - 0
    .max_flat_workgroup_size: 64
    .name:           _ZN7rocprim17ROCPRIM_400000_NS6detail17trampoline_kernelINS0_14default_configENS1_20scan_config_selectorIsEEZZNS1_9scan_implILNS1_25lookback_scan_determinismE0ELb1ELb1ES3_N6thrust23THRUST_200600_302600_NS6detail15normal_iteratorINS9_10device_ptrIsEEEENS9_16discard_iteratorINS9_11use_defaultEEEsNS9_4plusIvEEsEEDaPvRmT3_T4_T5_mT6_P12ihipStream_tbENKUlT_T0_E_clISt17integral_constantIbLb1EESX_EEDaSS_ST_EUlSS_E0_NS1_11comp_targetILNS1_3genE9ELNS1_11target_archE1100ELNS1_3gpuE3ELNS1_3repE0EEENS1_30default_config_static_selectorELNS0_4arch9wavefront6targetE1EEEvT1_
    .private_segment_fixed_size: 0
    .sgpr_count:     4
    .sgpr_spill_count: 0
    .symbol:         _ZN7rocprim17ROCPRIM_400000_NS6detail17trampoline_kernelINS0_14default_configENS1_20scan_config_selectorIsEEZZNS1_9scan_implILNS1_25lookback_scan_determinismE0ELb1ELb1ES3_N6thrust23THRUST_200600_302600_NS6detail15normal_iteratorINS9_10device_ptrIsEEEENS9_16discard_iteratorINS9_11use_defaultEEEsNS9_4plusIvEEsEEDaPvRmT3_T4_T5_mT6_P12ihipStream_tbENKUlT_T0_E_clISt17integral_constantIbLb1EESX_EEDaSS_ST_EUlSS_E0_NS1_11comp_targetILNS1_3genE9ELNS1_11target_archE1100ELNS1_3gpuE3ELNS1_3repE0EEENS1_30default_config_static_selectorELNS0_4arch9wavefront6targetE1EEEvT1_.kd
    .uniform_work_group_size: 1
    .uses_dynamic_stack: false
    .vgpr_count:     0
    .vgpr_spill_count: 0
    .wavefront_size: 64
  - .agpr_count:     0
    .args:
      - .offset:         0
        .size:           40
        .value_kind:     by_value
    .group_segment_fixed_size: 0
    .kernarg_segment_align: 8
    .kernarg_segment_size: 40
    .language:       OpenCL C
    .language_version:
      - 2
      - 0
    .max_flat_workgroup_size: 64
    .name:           _ZN7rocprim17ROCPRIM_400000_NS6detail17trampoline_kernelINS0_14default_configENS1_20scan_config_selectorIsEEZZNS1_9scan_implILNS1_25lookback_scan_determinismE0ELb1ELb1ES3_N6thrust23THRUST_200600_302600_NS6detail15normal_iteratorINS9_10device_ptrIsEEEENS9_16discard_iteratorINS9_11use_defaultEEEsNS9_4plusIvEEsEEDaPvRmT3_T4_T5_mT6_P12ihipStream_tbENKUlT_T0_E_clISt17integral_constantIbLb1EESX_EEDaSS_ST_EUlSS_E0_NS1_11comp_targetILNS1_3genE8ELNS1_11target_archE1030ELNS1_3gpuE2ELNS1_3repE0EEENS1_30default_config_static_selectorELNS0_4arch9wavefront6targetE1EEEvT1_
    .private_segment_fixed_size: 0
    .sgpr_count:     4
    .sgpr_spill_count: 0
    .symbol:         _ZN7rocprim17ROCPRIM_400000_NS6detail17trampoline_kernelINS0_14default_configENS1_20scan_config_selectorIsEEZZNS1_9scan_implILNS1_25lookback_scan_determinismE0ELb1ELb1ES3_N6thrust23THRUST_200600_302600_NS6detail15normal_iteratorINS9_10device_ptrIsEEEENS9_16discard_iteratorINS9_11use_defaultEEEsNS9_4plusIvEEsEEDaPvRmT3_T4_T5_mT6_P12ihipStream_tbENKUlT_T0_E_clISt17integral_constantIbLb1EESX_EEDaSS_ST_EUlSS_E0_NS1_11comp_targetILNS1_3genE8ELNS1_11target_archE1030ELNS1_3gpuE2ELNS1_3repE0EEENS1_30default_config_static_selectorELNS0_4arch9wavefront6targetE1EEEvT1_.kd
    .uniform_work_group_size: 1
    .uses_dynamic_stack: false
    .vgpr_count:     0
    .vgpr_spill_count: 0
    .wavefront_size: 64
  - .agpr_count:     0
    .args:
      - .offset:         0
        .size:           104
        .value_kind:     by_value
    .group_segment_fixed_size: 0
    .kernarg_segment_align: 8
    .kernarg_segment_size: 104
    .language:       OpenCL C
    .language_version:
      - 2
      - 0
    .max_flat_workgroup_size: 128
    .name:           _ZN7rocprim17ROCPRIM_400000_NS6detail17trampoline_kernelINS0_14default_configENS1_20scan_config_selectorIsEEZZNS1_9scan_implILNS1_25lookback_scan_determinismE0ELb1ELb1ES3_N6thrust23THRUST_200600_302600_NS6detail15normal_iteratorINS9_10device_ptrIsEEEENS9_16discard_iteratorINS9_11use_defaultEEEsNS9_4plusIvEEsEEDaPvRmT3_T4_T5_mT6_P12ihipStream_tbENKUlT_T0_E_clISt17integral_constantIbLb1EESW_IbLb0EEEEDaSS_ST_EUlSS_E_NS1_11comp_targetILNS1_3genE0ELNS1_11target_archE4294967295ELNS1_3gpuE0ELNS1_3repE0EEENS1_30default_config_static_selectorELNS0_4arch9wavefront6targetE1EEEvT1_
    .private_segment_fixed_size: 0
    .sgpr_count:     4
    .sgpr_spill_count: 0
    .symbol:         _ZN7rocprim17ROCPRIM_400000_NS6detail17trampoline_kernelINS0_14default_configENS1_20scan_config_selectorIsEEZZNS1_9scan_implILNS1_25lookback_scan_determinismE0ELb1ELb1ES3_N6thrust23THRUST_200600_302600_NS6detail15normal_iteratorINS9_10device_ptrIsEEEENS9_16discard_iteratorINS9_11use_defaultEEEsNS9_4plusIvEEsEEDaPvRmT3_T4_T5_mT6_P12ihipStream_tbENKUlT_T0_E_clISt17integral_constantIbLb1EESW_IbLb0EEEEDaSS_ST_EUlSS_E_NS1_11comp_targetILNS1_3genE0ELNS1_11target_archE4294967295ELNS1_3gpuE0ELNS1_3repE0EEENS1_30default_config_static_selectorELNS0_4arch9wavefront6targetE1EEEvT1_.kd
    .uniform_work_group_size: 1
    .uses_dynamic_stack: false
    .vgpr_count:     0
    .vgpr_spill_count: 0
    .wavefront_size: 64
  - .agpr_count:     0
    .args:
      - .offset:         0
        .size:           104
        .value_kind:     by_value
    .group_segment_fixed_size: 0
    .kernarg_segment_align: 8
    .kernarg_segment_size: 104
    .language:       OpenCL C
    .language_version:
      - 2
      - 0
    .max_flat_workgroup_size: 256
    .name:           _ZN7rocprim17ROCPRIM_400000_NS6detail17trampoline_kernelINS0_14default_configENS1_20scan_config_selectorIsEEZZNS1_9scan_implILNS1_25lookback_scan_determinismE0ELb1ELb1ES3_N6thrust23THRUST_200600_302600_NS6detail15normal_iteratorINS9_10device_ptrIsEEEENS9_16discard_iteratorINS9_11use_defaultEEEsNS9_4plusIvEEsEEDaPvRmT3_T4_T5_mT6_P12ihipStream_tbENKUlT_T0_E_clISt17integral_constantIbLb1EESW_IbLb0EEEEDaSS_ST_EUlSS_E_NS1_11comp_targetILNS1_3genE5ELNS1_11target_archE942ELNS1_3gpuE9ELNS1_3repE0EEENS1_30default_config_static_selectorELNS0_4arch9wavefront6targetE1EEEvT1_
    .private_segment_fixed_size: 0
    .sgpr_count:     4
    .sgpr_spill_count: 0
    .symbol:         _ZN7rocprim17ROCPRIM_400000_NS6detail17trampoline_kernelINS0_14default_configENS1_20scan_config_selectorIsEEZZNS1_9scan_implILNS1_25lookback_scan_determinismE0ELb1ELb1ES3_N6thrust23THRUST_200600_302600_NS6detail15normal_iteratorINS9_10device_ptrIsEEEENS9_16discard_iteratorINS9_11use_defaultEEEsNS9_4plusIvEEsEEDaPvRmT3_T4_T5_mT6_P12ihipStream_tbENKUlT_T0_E_clISt17integral_constantIbLb1EESW_IbLb0EEEEDaSS_ST_EUlSS_E_NS1_11comp_targetILNS1_3genE5ELNS1_11target_archE942ELNS1_3gpuE9ELNS1_3repE0EEENS1_30default_config_static_selectorELNS0_4arch9wavefront6targetE1EEEvT1_.kd
    .uniform_work_group_size: 1
    .uses_dynamic_stack: false
    .vgpr_count:     0
    .vgpr_spill_count: 0
    .wavefront_size: 64
  - .agpr_count:     0
    .args:
      - .offset:         0
        .size:           104
        .value_kind:     by_value
    .group_segment_fixed_size: 3072
    .kernarg_segment_align: 8
    .kernarg_segment_size: 104
    .language:       OpenCL C
    .language_version:
      - 2
      - 0
    .max_flat_workgroup_size: 64
    .name:           _ZN7rocprim17ROCPRIM_400000_NS6detail17trampoline_kernelINS0_14default_configENS1_20scan_config_selectorIsEEZZNS1_9scan_implILNS1_25lookback_scan_determinismE0ELb1ELb1ES3_N6thrust23THRUST_200600_302600_NS6detail15normal_iteratorINS9_10device_ptrIsEEEENS9_16discard_iteratorINS9_11use_defaultEEEsNS9_4plusIvEEsEEDaPvRmT3_T4_T5_mT6_P12ihipStream_tbENKUlT_T0_E_clISt17integral_constantIbLb1EESW_IbLb0EEEEDaSS_ST_EUlSS_E_NS1_11comp_targetILNS1_3genE4ELNS1_11target_archE910ELNS1_3gpuE8ELNS1_3repE0EEENS1_30default_config_static_selectorELNS0_4arch9wavefront6targetE1EEEvT1_
    .private_segment_fixed_size: 0
    .sgpr_count:     30
    .sgpr_spill_count: 0
    .symbol:         _ZN7rocprim17ROCPRIM_400000_NS6detail17trampoline_kernelINS0_14default_configENS1_20scan_config_selectorIsEEZZNS1_9scan_implILNS1_25lookback_scan_determinismE0ELb1ELb1ES3_N6thrust23THRUST_200600_302600_NS6detail15normal_iteratorINS9_10device_ptrIsEEEENS9_16discard_iteratorINS9_11use_defaultEEEsNS9_4plusIvEEsEEDaPvRmT3_T4_T5_mT6_P12ihipStream_tbENKUlT_T0_E_clISt17integral_constantIbLb1EESW_IbLb0EEEEDaSS_ST_EUlSS_E_NS1_11comp_targetILNS1_3genE4ELNS1_11target_archE910ELNS1_3gpuE8ELNS1_3repE0EEENS1_30default_config_static_selectorELNS0_4arch9wavefront6targetE1EEEvT1_.kd
    .uniform_work_group_size: 1
    .uses_dynamic_stack: false
    .vgpr_count:     44
    .vgpr_spill_count: 0
    .wavefront_size: 64
  - .agpr_count:     0
    .args:
      - .offset:         0
        .size:           104
        .value_kind:     by_value
    .group_segment_fixed_size: 0
    .kernarg_segment_align: 8
    .kernarg_segment_size: 104
    .language:       OpenCL C
    .language_version:
      - 2
      - 0
    .max_flat_workgroup_size: 128
    .name:           _ZN7rocprim17ROCPRIM_400000_NS6detail17trampoline_kernelINS0_14default_configENS1_20scan_config_selectorIsEEZZNS1_9scan_implILNS1_25lookback_scan_determinismE0ELb1ELb1ES3_N6thrust23THRUST_200600_302600_NS6detail15normal_iteratorINS9_10device_ptrIsEEEENS9_16discard_iteratorINS9_11use_defaultEEEsNS9_4plusIvEEsEEDaPvRmT3_T4_T5_mT6_P12ihipStream_tbENKUlT_T0_E_clISt17integral_constantIbLb1EESW_IbLb0EEEEDaSS_ST_EUlSS_E_NS1_11comp_targetILNS1_3genE3ELNS1_11target_archE908ELNS1_3gpuE7ELNS1_3repE0EEENS1_30default_config_static_selectorELNS0_4arch9wavefront6targetE1EEEvT1_
    .private_segment_fixed_size: 0
    .sgpr_count:     4
    .sgpr_spill_count: 0
    .symbol:         _ZN7rocprim17ROCPRIM_400000_NS6detail17trampoline_kernelINS0_14default_configENS1_20scan_config_selectorIsEEZZNS1_9scan_implILNS1_25lookback_scan_determinismE0ELb1ELb1ES3_N6thrust23THRUST_200600_302600_NS6detail15normal_iteratorINS9_10device_ptrIsEEEENS9_16discard_iteratorINS9_11use_defaultEEEsNS9_4plusIvEEsEEDaPvRmT3_T4_T5_mT6_P12ihipStream_tbENKUlT_T0_E_clISt17integral_constantIbLb1EESW_IbLb0EEEEDaSS_ST_EUlSS_E_NS1_11comp_targetILNS1_3genE3ELNS1_11target_archE908ELNS1_3gpuE7ELNS1_3repE0EEENS1_30default_config_static_selectorELNS0_4arch9wavefront6targetE1EEEvT1_.kd
    .uniform_work_group_size: 1
    .uses_dynamic_stack: false
    .vgpr_count:     0
    .vgpr_spill_count: 0
    .wavefront_size: 64
  - .agpr_count:     0
    .args:
      - .offset:         0
        .size:           104
        .value_kind:     by_value
    .group_segment_fixed_size: 0
    .kernarg_segment_align: 8
    .kernarg_segment_size: 104
    .language:       OpenCL C
    .language_version:
      - 2
      - 0
    .max_flat_workgroup_size: 256
    .name:           _ZN7rocprim17ROCPRIM_400000_NS6detail17trampoline_kernelINS0_14default_configENS1_20scan_config_selectorIsEEZZNS1_9scan_implILNS1_25lookback_scan_determinismE0ELb1ELb1ES3_N6thrust23THRUST_200600_302600_NS6detail15normal_iteratorINS9_10device_ptrIsEEEENS9_16discard_iteratorINS9_11use_defaultEEEsNS9_4plusIvEEsEEDaPvRmT3_T4_T5_mT6_P12ihipStream_tbENKUlT_T0_E_clISt17integral_constantIbLb1EESW_IbLb0EEEEDaSS_ST_EUlSS_E_NS1_11comp_targetILNS1_3genE2ELNS1_11target_archE906ELNS1_3gpuE6ELNS1_3repE0EEENS1_30default_config_static_selectorELNS0_4arch9wavefront6targetE1EEEvT1_
    .private_segment_fixed_size: 0
    .sgpr_count:     4
    .sgpr_spill_count: 0
    .symbol:         _ZN7rocprim17ROCPRIM_400000_NS6detail17trampoline_kernelINS0_14default_configENS1_20scan_config_selectorIsEEZZNS1_9scan_implILNS1_25lookback_scan_determinismE0ELb1ELb1ES3_N6thrust23THRUST_200600_302600_NS6detail15normal_iteratorINS9_10device_ptrIsEEEENS9_16discard_iteratorINS9_11use_defaultEEEsNS9_4plusIvEEsEEDaPvRmT3_T4_T5_mT6_P12ihipStream_tbENKUlT_T0_E_clISt17integral_constantIbLb1EESW_IbLb0EEEEDaSS_ST_EUlSS_E_NS1_11comp_targetILNS1_3genE2ELNS1_11target_archE906ELNS1_3gpuE6ELNS1_3repE0EEENS1_30default_config_static_selectorELNS0_4arch9wavefront6targetE1EEEvT1_.kd
    .uniform_work_group_size: 1
    .uses_dynamic_stack: false
    .vgpr_count:     0
    .vgpr_spill_count: 0
    .wavefront_size: 64
  - .agpr_count:     0
    .args:
      - .offset:         0
        .size:           104
        .value_kind:     by_value
    .group_segment_fixed_size: 0
    .kernarg_segment_align: 8
    .kernarg_segment_size: 104
    .language:       OpenCL C
    .language_version:
      - 2
      - 0
    .max_flat_workgroup_size: 256
    .name:           _ZN7rocprim17ROCPRIM_400000_NS6detail17trampoline_kernelINS0_14default_configENS1_20scan_config_selectorIsEEZZNS1_9scan_implILNS1_25lookback_scan_determinismE0ELb1ELb1ES3_N6thrust23THRUST_200600_302600_NS6detail15normal_iteratorINS9_10device_ptrIsEEEENS9_16discard_iteratorINS9_11use_defaultEEEsNS9_4plusIvEEsEEDaPvRmT3_T4_T5_mT6_P12ihipStream_tbENKUlT_T0_E_clISt17integral_constantIbLb1EESW_IbLb0EEEEDaSS_ST_EUlSS_E_NS1_11comp_targetILNS1_3genE10ELNS1_11target_archE1201ELNS1_3gpuE5ELNS1_3repE0EEENS1_30default_config_static_selectorELNS0_4arch9wavefront6targetE1EEEvT1_
    .private_segment_fixed_size: 0
    .sgpr_count:     4
    .sgpr_spill_count: 0
    .symbol:         _ZN7rocprim17ROCPRIM_400000_NS6detail17trampoline_kernelINS0_14default_configENS1_20scan_config_selectorIsEEZZNS1_9scan_implILNS1_25lookback_scan_determinismE0ELb1ELb1ES3_N6thrust23THRUST_200600_302600_NS6detail15normal_iteratorINS9_10device_ptrIsEEEENS9_16discard_iteratorINS9_11use_defaultEEEsNS9_4plusIvEEsEEDaPvRmT3_T4_T5_mT6_P12ihipStream_tbENKUlT_T0_E_clISt17integral_constantIbLb1EESW_IbLb0EEEEDaSS_ST_EUlSS_E_NS1_11comp_targetILNS1_3genE10ELNS1_11target_archE1201ELNS1_3gpuE5ELNS1_3repE0EEENS1_30default_config_static_selectorELNS0_4arch9wavefront6targetE1EEEvT1_.kd
    .uniform_work_group_size: 1
    .uses_dynamic_stack: false
    .vgpr_count:     0
    .vgpr_spill_count: 0
    .wavefront_size: 64
  - .agpr_count:     0
    .args:
      - .offset:         0
        .size:           104
        .value_kind:     by_value
    .group_segment_fixed_size: 0
    .kernarg_segment_align: 8
    .kernarg_segment_size: 104
    .language:       OpenCL C
    .language_version:
      - 2
      - 0
    .max_flat_workgroup_size: 256
    .name:           _ZN7rocprim17ROCPRIM_400000_NS6detail17trampoline_kernelINS0_14default_configENS1_20scan_config_selectorIsEEZZNS1_9scan_implILNS1_25lookback_scan_determinismE0ELb1ELb1ES3_N6thrust23THRUST_200600_302600_NS6detail15normal_iteratorINS9_10device_ptrIsEEEENS9_16discard_iteratorINS9_11use_defaultEEEsNS9_4plusIvEEsEEDaPvRmT3_T4_T5_mT6_P12ihipStream_tbENKUlT_T0_E_clISt17integral_constantIbLb1EESW_IbLb0EEEEDaSS_ST_EUlSS_E_NS1_11comp_targetILNS1_3genE10ELNS1_11target_archE1200ELNS1_3gpuE4ELNS1_3repE0EEENS1_30default_config_static_selectorELNS0_4arch9wavefront6targetE1EEEvT1_
    .private_segment_fixed_size: 0
    .sgpr_count:     4
    .sgpr_spill_count: 0
    .symbol:         _ZN7rocprim17ROCPRIM_400000_NS6detail17trampoline_kernelINS0_14default_configENS1_20scan_config_selectorIsEEZZNS1_9scan_implILNS1_25lookback_scan_determinismE0ELb1ELb1ES3_N6thrust23THRUST_200600_302600_NS6detail15normal_iteratorINS9_10device_ptrIsEEEENS9_16discard_iteratorINS9_11use_defaultEEEsNS9_4plusIvEEsEEDaPvRmT3_T4_T5_mT6_P12ihipStream_tbENKUlT_T0_E_clISt17integral_constantIbLb1EESW_IbLb0EEEEDaSS_ST_EUlSS_E_NS1_11comp_targetILNS1_3genE10ELNS1_11target_archE1200ELNS1_3gpuE4ELNS1_3repE0EEENS1_30default_config_static_selectorELNS0_4arch9wavefront6targetE1EEEvT1_.kd
    .uniform_work_group_size: 1
    .uses_dynamic_stack: false
    .vgpr_count:     0
    .vgpr_spill_count: 0
    .wavefront_size: 64
  - .agpr_count:     0
    .args:
      - .offset:         0
        .size:           104
        .value_kind:     by_value
    .group_segment_fixed_size: 0
    .kernarg_segment_align: 8
    .kernarg_segment_size: 104
    .language:       OpenCL C
    .language_version:
      - 2
      - 0
    .max_flat_workgroup_size: 64
    .name:           _ZN7rocprim17ROCPRIM_400000_NS6detail17trampoline_kernelINS0_14default_configENS1_20scan_config_selectorIsEEZZNS1_9scan_implILNS1_25lookback_scan_determinismE0ELb1ELb1ES3_N6thrust23THRUST_200600_302600_NS6detail15normal_iteratorINS9_10device_ptrIsEEEENS9_16discard_iteratorINS9_11use_defaultEEEsNS9_4plusIvEEsEEDaPvRmT3_T4_T5_mT6_P12ihipStream_tbENKUlT_T0_E_clISt17integral_constantIbLb1EESW_IbLb0EEEEDaSS_ST_EUlSS_E_NS1_11comp_targetILNS1_3genE9ELNS1_11target_archE1100ELNS1_3gpuE3ELNS1_3repE0EEENS1_30default_config_static_selectorELNS0_4arch9wavefront6targetE1EEEvT1_
    .private_segment_fixed_size: 0
    .sgpr_count:     4
    .sgpr_spill_count: 0
    .symbol:         _ZN7rocprim17ROCPRIM_400000_NS6detail17trampoline_kernelINS0_14default_configENS1_20scan_config_selectorIsEEZZNS1_9scan_implILNS1_25lookback_scan_determinismE0ELb1ELb1ES3_N6thrust23THRUST_200600_302600_NS6detail15normal_iteratorINS9_10device_ptrIsEEEENS9_16discard_iteratorINS9_11use_defaultEEEsNS9_4plusIvEEsEEDaPvRmT3_T4_T5_mT6_P12ihipStream_tbENKUlT_T0_E_clISt17integral_constantIbLb1EESW_IbLb0EEEEDaSS_ST_EUlSS_E_NS1_11comp_targetILNS1_3genE9ELNS1_11target_archE1100ELNS1_3gpuE3ELNS1_3repE0EEENS1_30default_config_static_selectorELNS0_4arch9wavefront6targetE1EEEvT1_.kd
    .uniform_work_group_size: 1
    .uses_dynamic_stack: false
    .vgpr_count:     0
    .vgpr_spill_count: 0
    .wavefront_size: 64
  - .agpr_count:     0
    .args:
      - .offset:         0
        .size:           104
        .value_kind:     by_value
    .group_segment_fixed_size: 0
    .kernarg_segment_align: 8
    .kernarg_segment_size: 104
    .language:       OpenCL C
    .language_version:
      - 2
      - 0
    .max_flat_workgroup_size: 64
    .name:           _ZN7rocprim17ROCPRIM_400000_NS6detail17trampoline_kernelINS0_14default_configENS1_20scan_config_selectorIsEEZZNS1_9scan_implILNS1_25lookback_scan_determinismE0ELb1ELb1ES3_N6thrust23THRUST_200600_302600_NS6detail15normal_iteratorINS9_10device_ptrIsEEEENS9_16discard_iteratorINS9_11use_defaultEEEsNS9_4plusIvEEsEEDaPvRmT3_T4_T5_mT6_P12ihipStream_tbENKUlT_T0_E_clISt17integral_constantIbLb1EESW_IbLb0EEEEDaSS_ST_EUlSS_E_NS1_11comp_targetILNS1_3genE8ELNS1_11target_archE1030ELNS1_3gpuE2ELNS1_3repE0EEENS1_30default_config_static_selectorELNS0_4arch9wavefront6targetE1EEEvT1_
    .private_segment_fixed_size: 0
    .sgpr_count:     4
    .sgpr_spill_count: 0
    .symbol:         _ZN7rocprim17ROCPRIM_400000_NS6detail17trampoline_kernelINS0_14default_configENS1_20scan_config_selectorIsEEZZNS1_9scan_implILNS1_25lookback_scan_determinismE0ELb1ELb1ES3_N6thrust23THRUST_200600_302600_NS6detail15normal_iteratorINS9_10device_ptrIsEEEENS9_16discard_iteratorINS9_11use_defaultEEEsNS9_4plusIvEEsEEDaPvRmT3_T4_T5_mT6_P12ihipStream_tbENKUlT_T0_E_clISt17integral_constantIbLb1EESW_IbLb0EEEEDaSS_ST_EUlSS_E_NS1_11comp_targetILNS1_3genE8ELNS1_11target_archE1030ELNS1_3gpuE2ELNS1_3repE0EEENS1_30default_config_static_selectorELNS0_4arch9wavefront6targetE1EEEvT1_.kd
    .uniform_work_group_size: 1
    .uses_dynamic_stack: false
    .vgpr_count:     0
    .vgpr_spill_count: 0
    .wavefront_size: 64
  - .agpr_count:     0
    .args:
      - .offset:         0
        .size:           40
        .value_kind:     by_value
    .group_segment_fixed_size: 0
    .kernarg_segment_align: 8
    .kernarg_segment_size: 40
    .language:       OpenCL C
    .language_version:
      - 2
      - 0
    .max_flat_workgroup_size: 128
    .name:           _ZN7rocprim17ROCPRIM_400000_NS6detail17trampoline_kernelINS0_14default_configENS1_20scan_config_selectorIsEEZZNS1_9scan_implILNS1_25lookback_scan_determinismE0ELb1ELb1ES3_N6thrust23THRUST_200600_302600_NS6detail15normal_iteratorINS9_10device_ptrIsEEEENS9_16discard_iteratorINS9_11use_defaultEEEsNS9_4plusIvEEsEEDaPvRmT3_T4_T5_mT6_P12ihipStream_tbENKUlT_T0_E_clISt17integral_constantIbLb1EESW_IbLb0EEEEDaSS_ST_EUlSS_E0_NS1_11comp_targetILNS1_3genE0ELNS1_11target_archE4294967295ELNS1_3gpuE0ELNS1_3repE0EEENS1_30default_config_static_selectorELNS0_4arch9wavefront6targetE1EEEvT1_
    .private_segment_fixed_size: 0
    .sgpr_count:     4
    .sgpr_spill_count: 0
    .symbol:         _ZN7rocprim17ROCPRIM_400000_NS6detail17trampoline_kernelINS0_14default_configENS1_20scan_config_selectorIsEEZZNS1_9scan_implILNS1_25lookback_scan_determinismE0ELb1ELb1ES3_N6thrust23THRUST_200600_302600_NS6detail15normal_iteratorINS9_10device_ptrIsEEEENS9_16discard_iteratorINS9_11use_defaultEEEsNS9_4plusIvEEsEEDaPvRmT3_T4_T5_mT6_P12ihipStream_tbENKUlT_T0_E_clISt17integral_constantIbLb1EESW_IbLb0EEEEDaSS_ST_EUlSS_E0_NS1_11comp_targetILNS1_3genE0ELNS1_11target_archE4294967295ELNS1_3gpuE0ELNS1_3repE0EEENS1_30default_config_static_selectorELNS0_4arch9wavefront6targetE1EEEvT1_.kd
    .uniform_work_group_size: 1
    .uses_dynamic_stack: false
    .vgpr_count:     0
    .vgpr_spill_count: 0
    .wavefront_size: 64
  - .agpr_count:     0
    .args:
      - .offset:         0
        .size:           40
        .value_kind:     by_value
    .group_segment_fixed_size: 0
    .kernarg_segment_align: 8
    .kernarg_segment_size: 40
    .language:       OpenCL C
    .language_version:
      - 2
      - 0
    .max_flat_workgroup_size: 256
    .name:           _ZN7rocprim17ROCPRIM_400000_NS6detail17trampoline_kernelINS0_14default_configENS1_20scan_config_selectorIsEEZZNS1_9scan_implILNS1_25lookback_scan_determinismE0ELb1ELb1ES3_N6thrust23THRUST_200600_302600_NS6detail15normal_iteratorINS9_10device_ptrIsEEEENS9_16discard_iteratorINS9_11use_defaultEEEsNS9_4plusIvEEsEEDaPvRmT3_T4_T5_mT6_P12ihipStream_tbENKUlT_T0_E_clISt17integral_constantIbLb1EESW_IbLb0EEEEDaSS_ST_EUlSS_E0_NS1_11comp_targetILNS1_3genE5ELNS1_11target_archE942ELNS1_3gpuE9ELNS1_3repE0EEENS1_30default_config_static_selectorELNS0_4arch9wavefront6targetE1EEEvT1_
    .private_segment_fixed_size: 0
    .sgpr_count:     4
    .sgpr_spill_count: 0
    .symbol:         _ZN7rocprim17ROCPRIM_400000_NS6detail17trampoline_kernelINS0_14default_configENS1_20scan_config_selectorIsEEZZNS1_9scan_implILNS1_25lookback_scan_determinismE0ELb1ELb1ES3_N6thrust23THRUST_200600_302600_NS6detail15normal_iteratorINS9_10device_ptrIsEEEENS9_16discard_iteratorINS9_11use_defaultEEEsNS9_4plusIvEEsEEDaPvRmT3_T4_T5_mT6_P12ihipStream_tbENKUlT_T0_E_clISt17integral_constantIbLb1EESW_IbLb0EEEEDaSS_ST_EUlSS_E0_NS1_11comp_targetILNS1_3genE5ELNS1_11target_archE942ELNS1_3gpuE9ELNS1_3repE0EEENS1_30default_config_static_selectorELNS0_4arch9wavefront6targetE1EEEvT1_.kd
    .uniform_work_group_size: 1
    .uses_dynamic_stack: false
    .vgpr_count:     0
    .vgpr_spill_count: 0
    .wavefront_size: 64
  - .agpr_count:     0
    .args:
      - .offset:         0
        .size:           40
        .value_kind:     by_value
    .group_segment_fixed_size: 3072
    .kernarg_segment_align: 8
    .kernarg_segment_size: 40
    .language:       OpenCL C
    .language_version:
      - 2
      - 0
    .max_flat_workgroup_size: 64
    .name:           _ZN7rocprim17ROCPRIM_400000_NS6detail17trampoline_kernelINS0_14default_configENS1_20scan_config_selectorIsEEZZNS1_9scan_implILNS1_25lookback_scan_determinismE0ELb1ELb1ES3_N6thrust23THRUST_200600_302600_NS6detail15normal_iteratorINS9_10device_ptrIsEEEENS9_16discard_iteratorINS9_11use_defaultEEEsNS9_4plusIvEEsEEDaPvRmT3_T4_T5_mT6_P12ihipStream_tbENKUlT_T0_E_clISt17integral_constantIbLb1EESW_IbLb0EEEEDaSS_ST_EUlSS_E0_NS1_11comp_targetILNS1_3genE4ELNS1_11target_archE910ELNS1_3gpuE8ELNS1_3repE0EEENS1_30default_config_static_selectorELNS0_4arch9wavefront6targetE1EEEvT1_
    .private_segment_fixed_size: 0
    .sgpr_count:     12
    .sgpr_spill_count: 0
    .symbol:         _ZN7rocprim17ROCPRIM_400000_NS6detail17trampoline_kernelINS0_14default_configENS1_20scan_config_selectorIsEEZZNS1_9scan_implILNS1_25lookback_scan_determinismE0ELb1ELb1ES3_N6thrust23THRUST_200600_302600_NS6detail15normal_iteratorINS9_10device_ptrIsEEEENS9_16discard_iteratorINS9_11use_defaultEEEsNS9_4plusIvEEsEEDaPvRmT3_T4_T5_mT6_P12ihipStream_tbENKUlT_T0_E_clISt17integral_constantIbLb1EESW_IbLb0EEEEDaSS_ST_EUlSS_E0_NS1_11comp_targetILNS1_3genE4ELNS1_11target_archE910ELNS1_3gpuE8ELNS1_3repE0EEENS1_30default_config_static_selectorELNS0_4arch9wavefront6targetE1EEEvT1_.kd
    .uniform_work_group_size: 1
    .uses_dynamic_stack: false
    .vgpr_count:     28
    .vgpr_spill_count: 0
    .wavefront_size: 64
  - .agpr_count:     0
    .args:
      - .offset:         0
        .size:           40
        .value_kind:     by_value
    .group_segment_fixed_size: 0
    .kernarg_segment_align: 8
    .kernarg_segment_size: 40
    .language:       OpenCL C
    .language_version:
      - 2
      - 0
    .max_flat_workgroup_size: 128
    .name:           _ZN7rocprim17ROCPRIM_400000_NS6detail17trampoline_kernelINS0_14default_configENS1_20scan_config_selectorIsEEZZNS1_9scan_implILNS1_25lookback_scan_determinismE0ELb1ELb1ES3_N6thrust23THRUST_200600_302600_NS6detail15normal_iteratorINS9_10device_ptrIsEEEENS9_16discard_iteratorINS9_11use_defaultEEEsNS9_4plusIvEEsEEDaPvRmT3_T4_T5_mT6_P12ihipStream_tbENKUlT_T0_E_clISt17integral_constantIbLb1EESW_IbLb0EEEEDaSS_ST_EUlSS_E0_NS1_11comp_targetILNS1_3genE3ELNS1_11target_archE908ELNS1_3gpuE7ELNS1_3repE0EEENS1_30default_config_static_selectorELNS0_4arch9wavefront6targetE1EEEvT1_
    .private_segment_fixed_size: 0
    .sgpr_count:     4
    .sgpr_spill_count: 0
    .symbol:         _ZN7rocprim17ROCPRIM_400000_NS6detail17trampoline_kernelINS0_14default_configENS1_20scan_config_selectorIsEEZZNS1_9scan_implILNS1_25lookback_scan_determinismE0ELb1ELb1ES3_N6thrust23THRUST_200600_302600_NS6detail15normal_iteratorINS9_10device_ptrIsEEEENS9_16discard_iteratorINS9_11use_defaultEEEsNS9_4plusIvEEsEEDaPvRmT3_T4_T5_mT6_P12ihipStream_tbENKUlT_T0_E_clISt17integral_constantIbLb1EESW_IbLb0EEEEDaSS_ST_EUlSS_E0_NS1_11comp_targetILNS1_3genE3ELNS1_11target_archE908ELNS1_3gpuE7ELNS1_3repE0EEENS1_30default_config_static_selectorELNS0_4arch9wavefront6targetE1EEEvT1_.kd
    .uniform_work_group_size: 1
    .uses_dynamic_stack: false
    .vgpr_count:     0
    .vgpr_spill_count: 0
    .wavefront_size: 64
  - .agpr_count:     0
    .args:
      - .offset:         0
        .size:           40
        .value_kind:     by_value
    .group_segment_fixed_size: 0
    .kernarg_segment_align: 8
    .kernarg_segment_size: 40
    .language:       OpenCL C
    .language_version:
      - 2
      - 0
    .max_flat_workgroup_size: 256
    .name:           _ZN7rocprim17ROCPRIM_400000_NS6detail17trampoline_kernelINS0_14default_configENS1_20scan_config_selectorIsEEZZNS1_9scan_implILNS1_25lookback_scan_determinismE0ELb1ELb1ES3_N6thrust23THRUST_200600_302600_NS6detail15normal_iteratorINS9_10device_ptrIsEEEENS9_16discard_iteratorINS9_11use_defaultEEEsNS9_4plusIvEEsEEDaPvRmT3_T4_T5_mT6_P12ihipStream_tbENKUlT_T0_E_clISt17integral_constantIbLb1EESW_IbLb0EEEEDaSS_ST_EUlSS_E0_NS1_11comp_targetILNS1_3genE2ELNS1_11target_archE906ELNS1_3gpuE6ELNS1_3repE0EEENS1_30default_config_static_selectorELNS0_4arch9wavefront6targetE1EEEvT1_
    .private_segment_fixed_size: 0
    .sgpr_count:     4
    .sgpr_spill_count: 0
    .symbol:         _ZN7rocprim17ROCPRIM_400000_NS6detail17trampoline_kernelINS0_14default_configENS1_20scan_config_selectorIsEEZZNS1_9scan_implILNS1_25lookback_scan_determinismE0ELb1ELb1ES3_N6thrust23THRUST_200600_302600_NS6detail15normal_iteratorINS9_10device_ptrIsEEEENS9_16discard_iteratorINS9_11use_defaultEEEsNS9_4plusIvEEsEEDaPvRmT3_T4_T5_mT6_P12ihipStream_tbENKUlT_T0_E_clISt17integral_constantIbLb1EESW_IbLb0EEEEDaSS_ST_EUlSS_E0_NS1_11comp_targetILNS1_3genE2ELNS1_11target_archE906ELNS1_3gpuE6ELNS1_3repE0EEENS1_30default_config_static_selectorELNS0_4arch9wavefront6targetE1EEEvT1_.kd
    .uniform_work_group_size: 1
    .uses_dynamic_stack: false
    .vgpr_count:     0
    .vgpr_spill_count: 0
    .wavefront_size: 64
  - .agpr_count:     0
    .args:
      - .offset:         0
        .size:           40
        .value_kind:     by_value
    .group_segment_fixed_size: 0
    .kernarg_segment_align: 8
    .kernarg_segment_size: 40
    .language:       OpenCL C
    .language_version:
      - 2
      - 0
    .max_flat_workgroup_size: 256
    .name:           _ZN7rocprim17ROCPRIM_400000_NS6detail17trampoline_kernelINS0_14default_configENS1_20scan_config_selectorIsEEZZNS1_9scan_implILNS1_25lookback_scan_determinismE0ELb1ELb1ES3_N6thrust23THRUST_200600_302600_NS6detail15normal_iteratorINS9_10device_ptrIsEEEENS9_16discard_iteratorINS9_11use_defaultEEEsNS9_4plusIvEEsEEDaPvRmT3_T4_T5_mT6_P12ihipStream_tbENKUlT_T0_E_clISt17integral_constantIbLb1EESW_IbLb0EEEEDaSS_ST_EUlSS_E0_NS1_11comp_targetILNS1_3genE10ELNS1_11target_archE1201ELNS1_3gpuE5ELNS1_3repE0EEENS1_30default_config_static_selectorELNS0_4arch9wavefront6targetE1EEEvT1_
    .private_segment_fixed_size: 0
    .sgpr_count:     4
    .sgpr_spill_count: 0
    .symbol:         _ZN7rocprim17ROCPRIM_400000_NS6detail17trampoline_kernelINS0_14default_configENS1_20scan_config_selectorIsEEZZNS1_9scan_implILNS1_25lookback_scan_determinismE0ELb1ELb1ES3_N6thrust23THRUST_200600_302600_NS6detail15normal_iteratorINS9_10device_ptrIsEEEENS9_16discard_iteratorINS9_11use_defaultEEEsNS9_4plusIvEEsEEDaPvRmT3_T4_T5_mT6_P12ihipStream_tbENKUlT_T0_E_clISt17integral_constantIbLb1EESW_IbLb0EEEEDaSS_ST_EUlSS_E0_NS1_11comp_targetILNS1_3genE10ELNS1_11target_archE1201ELNS1_3gpuE5ELNS1_3repE0EEENS1_30default_config_static_selectorELNS0_4arch9wavefront6targetE1EEEvT1_.kd
    .uniform_work_group_size: 1
    .uses_dynamic_stack: false
    .vgpr_count:     0
    .vgpr_spill_count: 0
    .wavefront_size: 64
  - .agpr_count:     0
    .args:
      - .offset:         0
        .size:           40
        .value_kind:     by_value
    .group_segment_fixed_size: 0
    .kernarg_segment_align: 8
    .kernarg_segment_size: 40
    .language:       OpenCL C
    .language_version:
      - 2
      - 0
    .max_flat_workgroup_size: 256
    .name:           _ZN7rocprim17ROCPRIM_400000_NS6detail17trampoline_kernelINS0_14default_configENS1_20scan_config_selectorIsEEZZNS1_9scan_implILNS1_25lookback_scan_determinismE0ELb1ELb1ES3_N6thrust23THRUST_200600_302600_NS6detail15normal_iteratorINS9_10device_ptrIsEEEENS9_16discard_iteratorINS9_11use_defaultEEEsNS9_4plusIvEEsEEDaPvRmT3_T4_T5_mT6_P12ihipStream_tbENKUlT_T0_E_clISt17integral_constantIbLb1EESW_IbLb0EEEEDaSS_ST_EUlSS_E0_NS1_11comp_targetILNS1_3genE10ELNS1_11target_archE1200ELNS1_3gpuE4ELNS1_3repE0EEENS1_30default_config_static_selectorELNS0_4arch9wavefront6targetE1EEEvT1_
    .private_segment_fixed_size: 0
    .sgpr_count:     4
    .sgpr_spill_count: 0
    .symbol:         _ZN7rocprim17ROCPRIM_400000_NS6detail17trampoline_kernelINS0_14default_configENS1_20scan_config_selectorIsEEZZNS1_9scan_implILNS1_25lookback_scan_determinismE0ELb1ELb1ES3_N6thrust23THRUST_200600_302600_NS6detail15normal_iteratorINS9_10device_ptrIsEEEENS9_16discard_iteratorINS9_11use_defaultEEEsNS9_4plusIvEEsEEDaPvRmT3_T4_T5_mT6_P12ihipStream_tbENKUlT_T0_E_clISt17integral_constantIbLb1EESW_IbLb0EEEEDaSS_ST_EUlSS_E0_NS1_11comp_targetILNS1_3genE10ELNS1_11target_archE1200ELNS1_3gpuE4ELNS1_3repE0EEENS1_30default_config_static_selectorELNS0_4arch9wavefront6targetE1EEEvT1_.kd
    .uniform_work_group_size: 1
    .uses_dynamic_stack: false
    .vgpr_count:     0
    .vgpr_spill_count: 0
    .wavefront_size: 64
  - .agpr_count:     0
    .args:
      - .offset:         0
        .size:           40
        .value_kind:     by_value
    .group_segment_fixed_size: 0
    .kernarg_segment_align: 8
    .kernarg_segment_size: 40
    .language:       OpenCL C
    .language_version:
      - 2
      - 0
    .max_flat_workgroup_size: 64
    .name:           _ZN7rocprim17ROCPRIM_400000_NS6detail17trampoline_kernelINS0_14default_configENS1_20scan_config_selectorIsEEZZNS1_9scan_implILNS1_25lookback_scan_determinismE0ELb1ELb1ES3_N6thrust23THRUST_200600_302600_NS6detail15normal_iteratorINS9_10device_ptrIsEEEENS9_16discard_iteratorINS9_11use_defaultEEEsNS9_4plusIvEEsEEDaPvRmT3_T4_T5_mT6_P12ihipStream_tbENKUlT_T0_E_clISt17integral_constantIbLb1EESW_IbLb0EEEEDaSS_ST_EUlSS_E0_NS1_11comp_targetILNS1_3genE9ELNS1_11target_archE1100ELNS1_3gpuE3ELNS1_3repE0EEENS1_30default_config_static_selectorELNS0_4arch9wavefront6targetE1EEEvT1_
    .private_segment_fixed_size: 0
    .sgpr_count:     4
    .sgpr_spill_count: 0
    .symbol:         _ZN7rocprim17ROCPRIM_400000_NS6detail17trampoline_kernelINS0_14default_configENS1_20scan_config_selectorIsEEZZNS1_9scan_implILNS1_25lookback_scan_determinismE0ELb1ELb1ES3_N6thrust23THRUST_200600_302600_NS6detail15normal_iteratorINS9_10device_ptrIsEEEENS9_16discard_iteratorINS9_11use_defaultEEEsNS9_4plusIvEEsEEDaPvRmT3_T4_T5_mT6_P12ihipStream_tbENKUlT_T0_E_clISt17integral_constantIbLb1EESW_IbLb0EEEEDaSS_ST_EUlSS_E0_NS1_11comp_targetILNS1_3genE9ELNS1_11target_archE1100ELNS1_3gpuE3ELNS1_3repE0EEENS1_30default_config_static_selectorELNS0_4arch9wavefront6targetE1EEEvT1_.kd
    .uniform_work_group_size: 1
    .uses_dynamic_stack: false
    .vgpr_count:     0
    .vgpr_spill_count: 0
    .wavefront_size: 64
  - .agpr_count:     0
    .args:
      - .offset:         0
        .size:           40
        .value_kind:     by_value
    .group_segment_fixed_size: 0
    .kernarg_segment_align: 8
    .kernarg_segment_size: 40
    .language:       OpenCL C
    .language_version:
      - 2
      - 0
    .max_flat_workgroup_size: 64
    .name:           _ZN7rocprim17ROCPRIM_400000_NS6detail17trampoline_kernelINS0_14default_configENS1_20scan_config_selectorIsEEZZNS1_9scan_implILNS1_25lookback_scan_determinismE0ELb1ELb1ES3_N6thrust23THRUST_200600_302600_NS6detail15normal_iteratorINS9_10device_ptrIsEEEENS9_16discard_iteratorINS9_11use_defaultEEEsNS9_4plusIvEEsEEDaPvRmT3_T4_T5_mT6_P12ihipStream_tbENKUlT_T0_E_clISt17integral_constantIbLb1EESW_IbLb0EEEEDaSS_ST_EUlSS_E0_NS1_11comp_targetILNS1_3genE8ELNS1_11target_archE1030ELNS1_3gpuE2ELNS1_3repE0EEENS1_30default_config_static_selectorELNS0_4arch9wavefront6targetE1EEEvT1_
    .private_segment_fixed_size: 0
    .sgpr_count:     4
    .sgpr_spill_count: 0
    .symbol:         _ZN7rocprim17ROCPRIM_400000_NS6detail17trampoline_kernelINS0_14default_configENS1_20scan_config_selectorIsEEZZNS1_9scan_implILNS1_25lookback_scan_determinismE0ELb1ELb1ES3_N6thrust23THRUST_200600_302600_NS6detail15normal_iteratorINS9_10device_ptrIsEEEENS9_16discard_iteratorINS9_11use_defaultEEEsNS9_4plusIvEEsEEDaPvRmT3_T4_T5_mT6_P12ihipStream_tbENKUlT_T0_E_clISt17integral_constantIbLb1EESW_IbLb0EEEEDaSS_ST_EUlSS_E0_NS1_11comp_targetILNS1_3genE8ELNS1_11target_archE1030ELNS1_3gpuE2ELNS1_3repE0EEENS1_30default_config_static_selectorELNS0_4arch9wavefront6targetE1EEEvT1_.kd
    .uniform_work_group_size: 1
    .uses_dynamic_stack: false
    .vgpr_count:     0
    .vgpr_spill_count: 0
    .wavefront_size: 64
  - .agpr_count:     0
    .args:
      - .offset:         0
        .size:           104
        .value_kind:     by_value
    .group_segment_fixed_size: 0
    .kernarg_segment_align: 8
    .kernarg_segment_size: 104
    .language:       OpenCL C
    .language_version:
      - 2
      - 0
    .max_flat_workgroup_size: 128
    .name:           _ZN7rocprim17ROCPRIM_400000_NS6detail17trampoline_kernelINS0_14default_configENS1_20scan_config_selectorIsEEZZNS1_9scan_implILNS1_25lookback_scan_determinismE0ELb1ELb1ES3_N6thrust23THRUST_200600_302600_NS6detail15normal_iteratorINS9_10device_ptrIsEEEENS9_16discard_iteratorINS9_11use_defaultEEEsNS9_4plusIvEEsEEDaPvRmT3_T4_T5_mT6_P12ihipStream_tbENKUlT_T0_E_clISt17integral_constantIbLb0EESW_IbLb1EEEEDaSS_ST_EUlSS_E_NS1_11comp_targetILNS1_3genE0ELNS1_11target_archE4294967295ELNS1_3gpuE0ELNS1_3repE0EEENS1_30default_config_static_selectorELNS0_4arch9wavefront6targetE1EEEvT1_
    .private_segment_fixed_size: 0
    .sgpr_count:     4
    .sgpr_spill_count: 0
    .symbol:         _ZN7rocprim17ROCPRIM_400000_NS6detail17trampoline_kernelINS0_14default_configENS1_20scan_config_selectorIsEEZZNS1_9scan_implILNS1_25lookback_scan_determinismE0ELb1ELb1ES3_N6thrust23THRUST_200600_302600_NS6detail15normal_iteratorINS9_10device_ptrIsEEEENS9_16discard_iteratorINS9_11use_defaultEEEsNS9_4plusIvEEsEEDaPvRmT3_T4_T5_mT6_P12ihipStream_tbENKUlT_T0_E_clISt17integral_constantIbLb0EESW_IbLb1EEEEDaSS_ST_EUlSS_E_NS1_11comp_targetILNS1_3genE0ELNS1_11target_archE4294967295ELNS1_3gpuE0ELNS1_3repE0EEENS1_30default_config_static_selectorELNS0_4arch9wavefront6targetE1EEEvT1_.kd
    .uniform_work_group_size: 1
    .uses_dynamic_stack: false
    .vgpr_count:     0
    .vgpr_spill_count: 0
    .wavefront_size: 64
  - .agpr_count:     0
    .args:
      - .offset:         0
        .size:           104
        .value_kind:     by_value
    .group_segment_fixed_size: 0
    .kernarg_segment_align: 8
    .kernarg_segment_size: 104
    .language:       OpenCL C
    .language_version:
      - 2
      - 0
    .max_flat_workgroup_size: 256
    .name:           _ZN7rocprim17ROCPRIM_400000_NS6detail17trampoline_kernelINS0_14default_configENS1_20scan_config_selectorIsEEZZNS1_9scan_implILNS1_25lookback_scan_determinismE0ELb1ELb1ES3_N6thrust23THRUST_200600_302600_NS6detail15normal_iteratorINS9_10device_ptrIsEEEENS9_16discard_iteratorINS9_11use_defaultEEEsNS9_4plusIvEEsEEDaPvRmT3_T4_T5_mT6_P12ihipStream_tbENKUlT_T0_E_clISt17integral_constantIbLb0EESW_IbLb1EEEEDaSS_ST_EUlSS_E_NS1_11comp_targetILNS1_3genE5ELNS1_11target_archE942ELNS1_3gpuE9ELNS1_3repE0EEENS1_30default_config_static_selectorELNS0_4arch9wavefront6targetE1EEEvT1_
    .private_segment_fixed_size: 0
    .sgpr_count:     4
    .sgpr_spill_count: 0
    .symbol:         _ZN7rocprim17ROCPRIM_400000_NS6detail17trampoline_kernelINS0_14default_configENS1_20scan_config_selectorIsEEZZNS1_9scan_implILNS1_25lookback_scan_determinismE0ELb1ELb1ES3_N6thrust23THRUST_200600_302600_NS6detail15normal_iteratorINS9_10device_ptrIsEEEENS9_16discard_iteratorINS9_11use_defaultEEEsNS9_4plusIvEEsEEDaPvRmT3_T4_T5_mT6_P12ihipStream_tbENKUlT_T0_E_clISt17integral_constantIbLb0EESW_IbLb1EEEEDaSS_ST_EUlSS_E_NS1_11comp_targetILNS1_3genE5ELNS1_11target_archE942ELNS1_3gpuE9ELNS1_3repE0EEENS1_30default_config_static_selectorELNS0_4arch9wavefront6targetE1EEEvT1_.kd
    .uniform_work_group_size: 1
    .uses_dynamic_stack: false
    .vgpr_count:     0
    .vgpr_spill_count: 0
    .wavefront_size: 64
  - .agpr_count:     0
    .args:
      - .offset:         0
        .size:           104
        .value_kind:     by_value
    .group_segment_fixed_size: 3072
    .kernarg_segment_align: 8
    .kernarg_segment_size: 104
    .language:       OpenCL C
    .language_version:
      - 2
      - 0
    .max_flat_workgroup_size: 64
    .name:           _ZN7rocprim17ROCPRIM_400000_NS6detail17trampoline_kernelINS0_14default_configENS1_20scan_config_selectorIsEEZZNS1_9scan_implILNS1_25lookback_scan_determinismE0ELb1ELb1ES3_N6thrust23THRUST_200600_302600_NS6detail15normal_iteratorINS9_10device_ptrIsEEEENS9_16discard_iteratorINS9_11use_defaultEEEsNS9_4plusIvEEsEEDaPvRmT3_T4_T5_mT6_P12ihipStream_tbENKUlT_T0_E_clISt17integral_constantIbLb0EESW_IbLb1EEEEDaSS_ST_EUlSS_E_NS1_11comp_targetILNS1_3genE4ELNS1_11target_archE910ELNS1_3gpuE8ELNS1_3repE0EEENS1_30default_config_static_selectorELNS0_4arch9wavefront6targetE1EEEvT1_
    .private_segment_fixed_size: 0
    .sgpr_count:     34
    .sgpr_spill_count: 0
    .symbol:         _ZN7rocprim17ROCPRIM_400000_NS6detail17trampoline_kernelINS0_14default_configENS1_20scan_config_selectorIsEEZZNS1_9scan_implILNS1_25lookback_scan_determinismE0ELb1ELb1ES3_N6thrust23THRUST_200600_302600_NS6detail15normal_iteratorINS9_10device_ptrIsEEEENS9_16discard_iteratorINS9_11use_defaultEEEsNS9_4plusIvEEsEEDaPvRmT3_T4_T5_mT6_P12ihipStream_tbENKUlT_T0_E_clISt17integral_constantIbLb0EESW_IbLb1EEEEDaSS_ST_EUlSS_E_NS1_11comp_targetILNS1_3genE4ELNS1_11target_archE910ELNS1_3gpuE8ELNS1_3repE0EEENS1_30default_config_static_selectorELNS0_4arch9wavefront6targetE1EEEvT1_.kd
    .uniform_work_group_size: 1
    .uses_dynamic_stack: false
    .vgpr_count:     44
    .vgpr_spill_count: 0
    .wavefront_size: 64
  - .agpr_count:     0
    .args:
      - .offset:         0
        .size:           104
        .value_kind:     by_value
    .group_segment_fixed_size: 0
    .kernarg_segment_align: 8
    .kernarg_segment_size: 104
    .language:       OpenCL C
    .language_version:
      - 2
      - 0
    .max_flat_workgroup_size: 128
    .name:           _ZN7rocprim17ROCPRIM_400000_NS6detail17trampoline_kernelINS0_14default_configENS1_20scan_config_selectorIsEEZZNS1_9scan_implILNS1_25lookback_scan_determinismE0ELb1ELb1ES3_N6thrust23THRUST_200600_302600_NS6detail15normal_iteratorINS9_10device_ptrIsEEEENS9_16discard_iteratorINS9_11use_defaultEEEsNS9_4plusIvEEsEEDaPvRmT3_T4_T5_mT6_P12ihipStream_tbENKUlT_T0_E_clISt17integral_constantIbLb0EESW_IbLb1EEEEDaSS_ST_EUlSS_E_NS1_11comp_targetILNS1_3genE3ELNS1_11target_archE908ELNS1_3gpuE7ELNS1_3repE0EEENS1_30default_config_static_selectorELNS0_4arch9wavefront6targetE1EEEvT1_
    .private_segment_fixed_size: 0
    .sgpr_count:     4
    .sgpr_spill_count: 0
    .symbol:         _ZN7rocprim17ROCPRIM_400000_NS6detail17trampoline_kernelINS0_14default_configENS1_20scan_config_selectorIsEEZZNS1_9scan_implILNS1_25lookback_scan_determinismE0ELb1ELb1ES3_N6thrust23THRUST_200600_302600_NS6detail15normal_iteratorINS9_10device_ptrIsEEEENS9_16discard_iteratorINS9_11use_defaultEEEsNS9_4plusIvEEsEEDaPvRmT3_T4_T5_mT6_P12ihipStream_tbENKUlT_T0_E_clISt17integral_constantIbLb0EESW_IbLb1EEEEDaSS_ST_EUlSS_E_NS1_11comp_targetILNS1_3genE3ELNS1_11target_archE908ELNS1_3gpuE7ELNS1_3repE0EEENS1_30default_config_static_selectorELNS0_4arch9wavefront6targetE1EEEvT1_.kd
    .uniform_work_group_size: 1
    .uses_dynamic_stack: false
    .vgpr_count:     0
    .vgpr_spill_count: 0
    .wavefront_size: 64
  - .agpr_count:     0
    .args:
      - .offset:         0
        .size:           104
        .value_kind:     by_value
    .group_segment_fixed_size: 0
    .kernarg_segment_align: 8
    .kernarg_segment_size: 104
    .language:       OpenCL C
    .language_version:
      - 2
      - 0
    .max_flat_workgroup_size: 256
    .name:           _ZN7rocprim17ROCPRIM_400000_NS6detail17trampoline_kernelINS0_14default_configENS1_20scan_config_selectorIsEEZZNS1_9scan_implILNS1_25lookback_scan_determinismE0ELb1ELb1ES3_N6thrust23THRUST_200600_302600_NS6detail15normal_iteratorINS9_10device_ptrIsEEEENS9_16discard_iteratorINS9_11use_defaultEEEsNS9_4plusIvEEsEEDaPvRmT3_T4_T5_mT6_P12ihipStream_tbENKUlT_T0_E_clISt17integral_constantIbLb0EESW_IbLb1EEEEDaSS_ST_EUlSS_E_NS1_11comp_targetILNS1_3genE2ELNS1_11target_archE906ELNS1_3gpuE6ELNS1_3repE0EEENS1_30default_config_static_selectorELNS0_4arch9wavefront6targetE1EEEvT1_
    .private_segment_fixed_size: 0
    .sgpr_count:     4
    .sgpr_spill_count: 0
    .symbol:         _ZN7rocprim17ROCPRIM_400000_NS6detail17trampoline_kernelINS0_14default_configENS1_20scan_config_selectorIsEEZZNS1_9scan_implILNS1_25lookback_scan_determinismE0ELb1ELb1ES3_N6thrust23THRUST_200600_302600_NS6detail15normal_iteratorINS9_10device_ptrIsEEEENS9_16discard_iteratorINS9_11use_defaultEEEsNS9_4plusIvEEsEEDaPvRmT3_T4_T5_mT6_P12ihipStream_tbENKUlT_T0_E_clISt17integral_constantIbLb0EESW_IbLb1EEEEDaSS_ST_EUlSS_E_NS1_11comp_targetILNS1_3genE2ELNS1_11target_archE906ELNS1_3gpuE6ELNS1_3repE0EEENS1_30default_config_static_selectorELNS0_4arch9wavefront6targetE1EEEvT1_.kd
    .uniform_work_group_size: 1
    .uses_dynamic_stack: false
    .vgpr_count:     0
    .vgpr_spill_count: 0
    .wavefront_size: 64
  - .agpr_count:     0
    .args:
      - .offset:         0
        .size:           104
        .value_kind:     by_value
    .group_segment_fixed_size: 0
    .kernarg_segment_align: 8
    .kernarg_segment_size: 104
    .language:       OpenCL C
    .language_version:
      - 2
      - 0
    .max_flat_workgroup_size: 256
    .name:           _ZN7rocprim17ROCPRIM_400000_NS6detail17trampoline_kernelINS0_14default_configENS1_20scan_config_selectorIsEEZZNS1_9scan_implILNS1_25lookback_scan_determinismE0ELb1ELb1ES3_N6thrust23THRUST_200600_302600_NS6detail15normal_iteratorINS9_10device_ptrIsEEEENS9_16discard_iteratorINS9_11use_defaultEEEsNS9_4plusIvEEsEEDaPvRmT3_T4_T5_mT6_P12ihipStream_tbENKUlT_T0_E_clISt17integral_constantIbLb0EESW_IbLb1EEEEDaSS_ST_EUlSS_E_NS1_11comp_targetILNS1_3genE10ELNS1_11target_archE1201ELNS1_3gpuE5ELNS1_3repE0EEENS1_30default_config_static_selectorELNS0_4arch9wavefront6targetE1EEEvT1_
    .private_segment_fixed_size: 0
    .sgpr_count:     4
    .sgpr_spill_count: 0
    .symbol:         _ZN7rocprim17ROCPRIM_400000_NS6detail17trampoline_kernelINS0_14default_configENS1_20scan_config_selectorIsEEZZNS1_9scan_implILNS1_25lookback_scan_determinismE0ELb1ELb1ES3_N6thrust23THRUST_200600_302600_NS6detail15normal_iteratorINS9_10device_ptrIsEEEENS9_16discard_iteratorINS9_11use_defaultEEEsNS9_4plusIvEEsEEDaPvRmT3_T4_T5_mT6_P12ihipStream_tbENKUlT_T0_E_clISt17integral_constantIbLb0EESW_IbLb1EEEEDaSS_ST_EUlSS_E_NS1_11comp_targetILNS1_3genE10ELNS1_11target_archE1201ELNS1_3gpuE5ELNS1_3repE0EEENS1_30default_config_static_selectorELNS0_4arch9wavefront6targetE1EEEvT1_.kd
    .uniform_work_group_size: 1
    .uses_dynamic_stack: false
    .vgpr_count:     0
    .vgpr_spill_count: 0
    .wavefront_size: 64
  - .agpr_count:     0
    .args:
      - .offset:         0
        .size:           104
        .value_kind:     by_value
    .group_segment_fixed_size: 0
    .kernarg_segment_align: 8
    .kernarg_segment_size: 104
    .language:       OpenCL C
    .language_version:
      - 2
      - 0
    .max_flat_workgroup_size: 256
    .name:           _ZN7rocprim17ROCPRIM_400000_NS6detail17trampoline_kernelINS0_14default_configENS1_20scan_config_selectorIsEEZZNS1_9scan_implILNS1_25lookback_scan_determinismE0ELb1ELb1ES3_N6thrust23THRUST_200600_302600_NS6detail15normal_iteratorINS9_10device_ptrIsEEEENS9_16discard_iteratorINS9_11use_defaultEEEsNS9_4plusIvEEsEEDaPvRmT3_T4_T5_mT6_P12ihipStream_tbENKUlT_T0_E_clISt17integral_constantIbLb0EESW_IbLb1EEEEDaSS_ST_EUlSS_E_NS1_11comp_targetILNS1_3genE10ELNS1_11target_archE1200ELNS1_3gpuE4ELNS1_3repE0EEENS1_30default_config_static_selectorELNS0_4arch9wavefront6targetE1EEEvT1_
    .private_segment_fixed_size: 0
    .sgpr_count:     4
    .sgpr_spill_count: 0
    .symbol:         _ZN7rocprim17ROCPRIM_400000_NS6detail17trampoline_kernelINS0_14default_configENS1_20scan_config_selectorIsEEZZNS1_9scan_implILNS1_25lookback_scan_determinismE0ELb1ELb1ES3_N6thrust23THRUST_200600_302600_NS6detail15normal_iteratorINS9_10device_ptrIsEEEENS9_16discard_iteratorINS9_11use_defaultEEEsNS9_4plusIvEEsEEDaPvRmT3_T4_T5_mT6_P12ihipStream_tbENKUlT_T0_E_clISt17integral_constantIbLb0EESW_IbLb1EEEEDaSS_ST_EUlSS_E_NS1_11comp_targetILNS1_3genE10ELNS1_11target_archE1200ELNS1_3gpuE4ELNS1_3repE0EEENS1_30default_config_static_selectorELNS0_4arch9wavefront6targetE1EEEvT1_.kd
    .uniform_work_group_size: 1
    .uses_dynamic_stack: false
    .vgpr_count:     0
    .vgpr_spill_count: 0
    .wavefront_size: 64
  - .agpr_count:     0
    .args:
      - .offset:         0
        .size:           104
        .value_kind:     by_value
    .group_segment_fixed_size: 0
    .kernarg_segment_align: 8
    .kernarg_segment_size: 104
    .language:       OpenCL C
    .language_version:
      - 2
      - 0
    .max_flat_workgroup_size: 64
    .name:           _ZN7rocprim17ROCPRIM_400000_NS6detail17trampoline_kernelINS0_14default_configENS1_20scan_config_selectorIsEEZZNS1_9scan_implILNS1_25lookback_scan_determinismE0ELb1ELb1ES3_N6thrust23THRUST_200600_302600_NS6detail15normal_iteratorINS9_10device_ptrIsEEEENS9_16discard_iteratorINS9_11use_defaultEEEsNS9_4plusIvEEsEEDaPvRmT3_T4_T5_mT6_P12ihipStream_tbENKUlT_T0_E_clISt17integral_constantIbLb0EESW_IbLb1EEEEDaSS_ST_EUlSS_E_NS1_11comp_targetILNS1_3genE9ELNS1_11target_archE1100ELNS1_3gpuE3ELNS1_3repE0EEENS1_30default_config_static_selectorELNS0_4arch9wavefront6targetE1EEEvT1_
    .private_segment_fixed_size: 0
    .sgpr_count:     4
    .sgpr_spill_count: 0
    .symbol:         _ZN7rocprim17ROCPRIM_400000_NS6detail17trampoline_kernelINS0_14default_configENS1_20scan_config_selectorIsEEZZNS1_9scan_implILNS1_25lookback_scan_determinismE0ELb1ELb1ES3_N6thrust23THRUST_200600_302600_NS6detail15normal_iteratorINS9_10device_ptrIsEEEENS9_16discard_iteratorINS9_11use_defaultEEEsNS9_4plusIvEEsEEDaPvRmT3_T4_T5_mT6_P12ihipStream_tbENKUlT_T0_E_clISt17integral_constantIbLb0EESW_IbLb1EEEEDaSS_ST_EUlSS_E_NS1_11comp_targetILNS1_3genE9ELNS1_11target_archE1100ELNS1_3gpuE3ELNS1_3repE0EEENS1_30default_config_static_selectorELNS0_4arch9wavefront6targetE1EEEvT1_.kd
    .uniform_work_group_size: 1
    .uses_dynamic_stack: false
    .vgpr_count:     0
    .vgpr_spill_count: 0
    .wavefront_size: 64
  - .agpr_count:     0
    .args:
      - .offset:         0
        .size:           104
        .value_kind:     by_value
    .group_segment_fixed_size: 0
    .kernarg_segment_align: 8
    .kernarg_segment_size: 104
    .language:       OpenCL C
    .language_version:
      - 2
      - 0
    .max_flat_workgroup_size: 64
    .name:           _ZN7rocprim17ROCPRIM_400000_NS6detail17trampoline_kernelINS0_14default_configENS1_20scan_config_selectorIsEEZZNS1_9scan_implILNS1_25lookback_scan_determinismE0ELb1ELb1ES3_N6thrust23THRUST_200600_302600_NS6detail15normal_iteratorINS9_10device_ptrIsEEEENS9_16discard_iteratorINS9_11use_defaultEEEsNS9_4plusIvEEsEEDaPvRmT3_T4_T5_mT6_P12ihipStream_tbENKUlT_T0_E_clISt17integral_constantIbLb0EESW_IbLb1EEEEDaSS_ST_EUlSS_E_NS1_11comp_targetILNS1_3genE8ELNS1_11target_archE1030ELNS1_3gpuE2ELNS1_3repE0EEENS1_30default_config_static_selectorELNS0_4arch9wavefront6targetE1EEEvT1_
    .private_segment_fixed_size: 0
    .sgpr_count:     4
    .sgpr_spill_count: 0
    .symbol:         _ZN7rocprim17ROCPRIM_400000_NS6detail17trampoline_kernelINS0_14default_configENS1_20scan_config_selectorIsEEZZNS1_9scan_implILNS1_25lookback_scan_determinismE0ELb1ELb1ES3_N6thrust23THRUST_200600_302600_NS6detail15normal_iteratorINS9_10device_ptrIsEEEENS9_16discard_iteratorINS9_11use_defaultEEEsNS9_4plusIvEEsEEDaPvRmT3_T4_T5_mT6_P12ihipStream_tbENKUlT_T0_E_clISt17integral_constantIbLb0EESW_IbLb1EEEEDaSS_ST_EUlSS_E_NS1_11comp_targetILNS1_3genE8ELNS1_11target_archE1030ELNS1_3gpuE2ELNS1_3repE0EEENS1_30default_config_static_selectorELNS0_4arch9wavefront6targetE1EEEvT1_.kd
    .uniform_work_group_size: 1
    .uses_dynamic_stack: false
    .vgpr_count:     0
    .vgpr_spill_count: 0
    .wavefront_size: 64
  - .agpr_count:     0
    .args:
      - .offset:         0
        .size:           40
        .value_kind:     by_value
    .group_segment_fixed_size: 0
    .kernarg_segment_align: 8
    .kernarg_segment_size: 40
    .language:       OpenCL C
    .language_version:
      - 2
      - 0
    .max_flat_workgroup_size: 128
    .name:           _ZN7rocprim17ROCPRIM_400000_NS6detail17trampoline_kernelINS0_14default_configENS1_20scan_config_selectorIsEEZZNS1_9scan_implILNS1_25lookback_scan_determinismE0ELb1ELb1ES3_N6thrust23THRUST_200600_302600_NS6detail15normal_iteratorINS9_10device_ptrIsEEEENS9_16discard_iteratorINS9_11use_defaultEEEsNS9_4plusIvEEsEEDaPvRmT3_T4_T5_mT6_P12ihipStream_tbENKUlT_T0_E_clISt17integral_constantIbLb0EESW_IbLb1EEEEDaSS_ST_EUlSS_E0_NS1_11comp_targetILNS1_3genE0ELNS1_11target_archE4294967295ELNS1_3gpuE0ELNS1_3repE0EEENS1_30default_config_static_selectorELNS0_4arch9wavefront6targetE1EEEvT1_
    .private_segment_fixed_size: 0
    .sgpr_count:     4
    .sgpr_spill_count: 0
    .symbol:         _ZN7rocprim17ROCPRIM_400000_NS6detail17trampoline_kernelINS0_14default_configENS1_20scan_config_selectorIsEEZZNS1_9scan_implILNS1_25lookback_scan_determinismE0ELb1ELb1ES3_N6thrust23THRUST_200600_302600_NS6detail15normal_iteratorINS9_10device_ptrIsEEEENS9_16discard_iteratorINS9_11use_defaultEEEsNS9_4plusIvEEsEEDaPvRmT3_T4_T5_mT6_P12ihipStream_tbENKUlT_T0_E_clISt17integral_constantIbLb0EESW_IbLb1EEEEDaSS_ST_EUlSS_E0_NS1_11comp_targetILNS1_3genE0ELNS1_11target_archE4294967295ELNS1_3gpuE0ELNS1_3repE0EEENS1_30default_config_static_selectorELNS0_4arch9wavefront6targetE1EEEvT1_.kd
    .uniform_work_group_size: 1
    .uses_dynamic_stack: false
    .vgpr_count:     0
    .vgpr_spill_count: 0
    .wavefront_size: 64
  - .agpr_count:     0
    .args:
      - .offset:         0
        .size:           40
        .value_kind:     by_value
    .group_segment_fixed_size: 0
    .kernarg_segment_align: 8
    .kernarg_segment_size: 40
    .language:       OpenCL C
    .language_version:
      - 2
      - 0
    .max_flat_workgroup_size: 256
    .name:           _ZN7rocprim17ROCPRIM_400000_NS6detail17trampoline_kernelINS0_14default_configENS1_20scan_config_selectorIsEEZZNS1_9scan_implILNS1_25lookback_scan_determinismE0ELb1ELb1ES3_N6thrust23THRUST_200600_302600_NS6detail15normal_iteratorINS9_10device_ptrIsEEEENS9_16discard_iteratorINS9_11use_defaultEEEsNS9_4plusIvEEsEEDaPvRmT3_T4_T5_mT6_P12ihipStream_tbENKUlT_T0_E_clISt17integral_constantIbLb0EESW_IbLb1EEEEDaSS_ST_EUlSS_E0_NS1_11comp_targetILNS1_3genE5ELNS1_11target_archE942ELNS1_3gpuE9ELNS1_3repE0EEENS1_30default_config_static_selectorELNS0_4arch9wavefront6targetE1EEEvT1_
    .private_segment_fixed_size: 0
    .sgpr_count:     4
    .sgpr_spill_count: 0
    .symbol:         _ZN7rocprim17ROCPRIM_400000_NS6detail17trampoline_kernelINS0_14default_configENS1_20scan_config_selectorIsEEZZNS1_9scan_implILNS1_25lookback_scan_determinismE0ELb1ELb1ES3_N6thrust23THRUST_200600_302600_NS6detail15normal_iteratorINS9_10device_ptrIsEEEENS9_16discard_iteratorINS9_11use_defaultEEEsNS9_4plusIvEEsEEDaPvRmT3_T4_T5_mT6_P12ihipStream_tbENKUlT_T0_E_clISt17integral_constantIbLb0EESW_IbLb1EEEEDaSS_ST_EUlSS_E0_NS1_11comp_targetILNS1_3genE5ELNS1_11target_archE942ELNS1_3gpuE9ELNS1_3repE0EEENS1_30default_config_static_selectorELNS0_4arch9wavefront6targetE1EEEvT1_.kd
    .uniform_work_group_size: 1
    .uses_dynamic_stack: false
    .vgpr_count:     0
    .vgpr_spill_count: 0
    .wavefront_size: 64
  - .agpr_count:     0
    .args:
      - .offset:         0
        .size:           40
        .value_kind:     by_value
    .group_segment_fixed_size: 3072
    .kernarg_segment_align: 8
    .kernarg_segment_size: 40
    .language:       OpenCL C
    .language_version:
      - 2
      - 0
    .max_flat_workgroup_size: 64
    .name:           _ZN7rocprim17ROCPRIM_400000_NS6detail17trampoline_kernelINS0_14default_configENS1_20scan_config_selectorIsEEZZNS1_9scan_implILNS1_25lookback_scan_determinismE0ELb1ELb1ES3_N6thrust23THRUST_200600_302600_NS6detail15normal_iteratorINS9_10device_ptrIsEEEENS9_16discard_iteratorINS9_11use_defaultEEEsNS9_4plusIvEEsEEDaPvRmT3_T4_T5_mT6_P12ihipStream_tbENKUlT_T0_E_clISt17integral_constantIbLb0EESW_IbLb1EEEEDaSS_ST_EUlSS_E0_NS1_11comp_targetILNS1_3genE4ELNS1_11target_archE910ELNS1_3gpuE8ELNS1_3repE0EEENS1_30default_config_static_selectorELNS0_4arch9wavefront6targetE1EEEvT1_
    .private_segment_fixed_size: 0
    .sgpr_count:     12
    .sgpr_spill_count: 0
    .symbol:         _ZN7rocprim17ROCPRIM_400000_NS6detail17trampoline_kernelINS0_14default_configENS1_20scan_config_selectorIsEEZZNS1_9scan_implILNS1_25lookback_scan_determinismE0ELb1ELb1ES3_N6thrust23THRUST_200600_302600_NS6detail15normal_iteratorINS9_10device_ptrIsEEEENS9_16discard_iteratorINS9_11use_defaultEEEsNS9_4plusIvEEsEEDaPvRmT3_T4_T5_mT6_P12ihipStream_tbENKUlT_T0_E_clISt17integral_constantIbLb0EESW_IbLb1EEEEDaSS_ST_EUlSS_E0_NS1_11comp_targetILNS1_3genE4ELNS1_11target_archE910ELNS1_3gpuE8ELNS1_3repE0EEENS1_30default_config_static_selectorELNS0_4arch9wavefront6targetE1EEEvT1_.kd
    .uniform_work_group_size: 1
    .uses_dynamic_stack: false
    .vgpr_count:     28
    .vgpr_spill_count: 0
    .wavefront_size: 64
  - .agpr_count:     0
    .args:
      - .offset:         0
        .size:           40
        .value_kind:     by_value
    .group_segment_fixed_size: 0
    .kernarg_segment_align: 8
    .kernarg_segment_size: 40
    .language:       OpenCL C
    .language_version:
      - 2
      - 0
    .max_flat_workgroup_size: 128
    .name:           _ZN7rocprim17ROCPRIM_400000_NS6detail17trampoline_kernelINS0_14default_configENS1_20scan_config_selectorIsEEZZNS1_9scan_implILNS1_25lookback_scan_determinismE0ELb1ELb1ES3_N6thrust23THRUST_200600_302600_NS6detail15normal_iteratorINS9_10device_ptrIsEEEENS9_16discard_iteratorINS9_11use_defaultEEEsNS9_4plusIvEEsEEDaPvRmT3_T4_T5_mT6_P12ihipStream_tbENKUlT_T0_E_clISt17integral_constantIbLb0EESW_IbLb1EEEEDaSS_ST_EUlSS_E0_NS1_11comp_targetILNS1_3genE3ELNS1_11target_archE908ELNS1_3gpuE7ELNS1_3repE0EEENS1_30default_config_static_selectorELNS0_4arch9wavefront6targetE1EEEvT1_
    .private_segment_fixed_size: 0
    .sgpr_count:     4
    .sgpr_spill_count: 0
    .symbol:         _ZN7rocprim17ROCPRIM_400000_NS6detail17trampoline_kernelINS0_14default_configENS1_20scan_config_selectorIsEEZZNS1_9scan_implILNS1_25lookback_scan_determinismE0ELb1ELb1ES3_N6thrust23THRUST_200600_302600_NS6detail15normal_iteratorINS9_10device_ptrIsEEEENS9_16discard_iteratorINS9_11use_defaultEEEsNS9_4plusIvEEsEEDaPvRmT3_T4_T5_mT6_P12ihipStream_tbENKUlT_T0_E_clISt17integral_constantIbLb0EESW_IbLb1EEEEDaSS_ST_EUlSS_E0_NS1_11comp_targetILNS1_3genE3ELNS1_11target_archE908ELNS1_3gpuE7ELNS1_3repE0EEENS1_30default_config_static_selectorELNS0_4arch9wavefront6targetE1EEEvT1_.kd
    .uniform_work_group_size: 1
    .uses_dynamic_stack: false
    .vgpr_count:     0
    .vgpr_spill_count: 0
    .wavefront_size: 64
  - .agpr_count:     0
    .args:
      - .offset:         0
        .size:           40
        .value_kind:     by_value
    .group_segment_fixed_size: 0
    .kernarg_segment_align: 8
    .kernarg_segment_size: 40
    .language:       OpenCL C
    .language_version:
      - 2
      - 0
    .max_flat_workgroup_size: 256
    .name:           _ZN7rocprim17ROCPRIM_400000_NS6detail17trampoline_kernelINS0_14default_configENS1_20scan_config_selectorIsEEZZNS1_9scan_implILNS1_25lookback_scan_determinismE0ELb1ELb1ES3_N6thrust23THRUST_200600_302600_NS6detail15normal_iteratorINS9_10device_ptrIsEEEENS9_16discard_iteratorINS9_11use_defaultEEEsNS9_4plusIvEEsEEDaPvRmT3_T4_T5_mT6_P12ihipStream_tbENKUlT_T0_E_clISt17integral_constantIbLb0EESW_IbLb1EEEEDaSS_ST_EUlSS_E0_NS1_11comp_targetILNS1_3genE2ELNS1_11target_archE906ELNS1_3gpuE6ELNS1_3repE0EEENS1_30default_config_static_selectorELNS0_4arch9wavefront6targetE1EEEvT1_
    .private_segment_fixed_size: 0
    .sgpr_count:     4
    .sgpr_spill_count: 0
    .symbol:         _ZN7rocprim17ROCPRIM_400000_NS6detail17trampoline_kernelINS0_14default_configENS1_20scan_config_selectorIsEEZZNS1_9scan_implILNS1_25lookback_scan_determinismE0ELb1ELb1ES3_N6thrust23THRUST_200600_302600_NS6detail15normal_iteratorINS9_10device_ptrIsEEEENS9_16discard_iteratorINS9_11use_defaultEEEsNS9_4plusIvEEsEEDaPvRmT3_T4_T5_mT6_P12ihipStream_tbENKUlT_T0_E_clISt17integral_constantIbLb0EESW_IbLb1EEEEDaSS_ST_EUlSS_E0_NS1_11comp_targetILNS1_3genE2ELNS1_11target_archE906ELNS1_3gpuE6ELNS1_3repE0EEENS1_30default_config_static_selectorELNS0_4arch9wavefront6targetE1EEEvT1_.kd
    .uniform_work_group_size: 1
    .uses_dynamic_stack: false
    .vgpr_count:     0
    .vgpr_spill_count: 0
    .wavefront_size: 64
  - .agpr_count:     0
    .args:
      - .offset:         0
        .size:           40
        .value_kind:     by_value
    .group_segment_fixed_size: 0
    .kernarg_segment_align: 8
    .kernarg_segment_size: 40
    .language:       OpenCL C
    .language_version:
      - 2
      - 0
    .max_flat_workgroup_size: 256
    .name:           _ZN7rocprim17ROCPRIM_400000_NS6detail17trampoline_kernelINS0_14default_configENS1_20scan_config_selectorIsEEZZNS1_9scan_implILNS1_25lookback_scan_determinismE0ELb1ELb1ES3_N6thrust23THRUST_200600_302600_NS6detail15normal_iteratorINS9_10device_ptrIsEEEENS9_16discard_iteratorINS9_11use_defaultEEEsNS9_4plusIvEEsEEDaPvRmT3_T4_T5_mT6_P12ihipStream_tbENKUlT_T0_E_clISt17integral_constantIbLb0EESW_IbLb1EEEEDaSS_ST_EUlSS_E0_NS1_11comp_targetILNS1_3genE10ELNS1_11target_archE1201ELNS1_3gpuE5ELNS1_3repE0EEENS1_30default_config_static_selectorELNS0_4arch9wavefront6targetE1EEEvT1_
    .private_segment_fixed_size: 0
    .sgpr_count:     4
    .sgpr_spill_count: 0
    .symbol:         _ZN7rocprim17ROCPRIM_400000_NS6detail17trampoline_kernelINS0_14default_configENS1_20scan_config_selectorIsEEZZNS1_9scan_implILNS1_25lookback_scan_determinismE0ELb1ELb1ES3_N6thrust23THRUST_200600_302600_NS6detail15normal_iteratorINS9_10device_ptrIsEEEENS9_16discard_iteratorINS9_11use_defaultEEEsNS9_4plusIvEEsEEDaPvRmT3_T4_T5_mT6_P12ihipStream_tbENKUlT_T0_E_clISt17integral_constantIbLb0EESW_IbLb1EEEEDaSS_ST_EUlSS_E0_NS1_11comp_targetILNS1_3genE10ELNS1_11target_archE1201ELNS1_3gpuE5ELNS1_3repE0EEENS1_30default_config_static_selectorELNS0_4arch9wavefront6targetE1EEEvT1_.kd
    .uniform_work_group_size: 1
    .uses_dynamic_stack: false
    .vgpr_count:     0
    .vgpr_spill_count: 0
    .wavefront_size: 64
  - .agpr_count:     0
    .args:
      - .offset:         0
        .size:           40
        .value_kind:     by_value
    .group_segment_fixed_size: 0
    .kernarg_segment_align: 8
    .kernarg_segment_size: 40
    .language:       OpenCL C
    .language_version:
      - 2
      - 0
    .max_flat_workgroup_size: 256
    .name:           _ZN7rocprim17ROCPRIM_400000_NS6detail17trampoline_kernelINS0_14default_configENS1_20scan_config_selectorIsEEZZNS1_9scan_implILNS1_25lookback_scan_determinismE0ELb1ELb1ES3_N6thrust23THRUST_200600_302600_NS6detail15normal_iteratorINS9_10device_ptrIsEEEENS9_16discard_iteratorINS9_11use_defaultEEEsNS9_4plusIvEEsEEDaPvRmT3_T4_T5_mT6_P12ihipStream_tbENKUlT_T0_E_clISt17integral_constantIbLb0EESW_IbLb1EEEEDaSS_ST_EUlSS_E0_NS1_11comp_targetILNS1_3genE10ELNS1_11target_archE1200ELNS1_3gpuE4ELNS1_3repE0EEENS1_30default_config_static_selectorELNS0_4arch9wavefront6targetE1EEEvT1_
    .private_segment_fixed_size: 0
    .sgpr_count:     4
    .sgpr_spill_count: 0
    .symbol:         _ZN7rocprim17ROCPRIM_400000_NS6detail17trampoline_kernelINS0_14default_configENS1_20scan_config_selectorIsEEZZNS1_9scan_implILNS1_25lookback_scan_determinismE0ELb1ELb1ES3_N6thrust23THRUST_200600_302600_NS6detail15normal_iteratorINS9_10device_ptrIsEEEENS9_16discard_iteratorINS9_11use_defaultEEEsNS9_4plusIvEEsEEDaPvRmT3_T4_T5_mT6_P12ihipStream_tbENKUlT_T0_E_clISt17integral_constantIbLb0EESW_IbLb1EEEEDaSS_ST_EUlSS_E0_NS1_11comp_targetILNS1_3genE10ELNS1_11target_archE1200ELNS1_3gpuE4ELNS1_3repE0EEENS1_30default_config_static_selectorELNS0_4arch9wavefront6targetE1EEEvT1_.kd
    .uniform_work_group_size: 1
    .uses_dynamic_stack: false
    .vgpr_count:     0
    .vgpr_spill_count: 0
    .wavefront_size: 64
  - .agpr_count:     0
    .args:
      - .offset:         0
        .size:           40
        .value_kind:     by_value
    .group_segment_fixed_size: 0
    .kernarg_segment_align: 8
    .kernarg_segment_size: 40
    .language:       OpenCL C
    .language_version:
      - 2
      - 0
    .max_flat_workgroup_size: 64
    .name:           _ZN7rocprim17ROCPRIM_400000_NS6detail17trampoline_kernelINS0_14default_configENS1_20scan_config_selectorIsEEZZNS1_9scan_implILNS1_25lookback_scan_determinismE0ELb1ELb1ES3_N6thrust23THRUST_200600_302600_NS6detail15normal_iteratorINS9_10device_ptrIsEEEENS9_16discard_iteratorINS9_11use_defaultEEEsNS9_4plusIvEEsEEDaPvRmT3_T4_T5_mT6_P12ihipStream_tbENKUlT_T0_E_clISt17integral_constantIbLb0EESW_IbLb1EEEEDaSS_ST_EUlSS_E0_NS1_11comp_targetILNS1_3genE9ELNS1_11target_archE1100ELNS1_3gpuE3ELNS1_3repE0EEENS1_30default_config_static_selectorELNS0_4arch9wavefront6targetE1EEEvT1_
    .private_segment_fixed_size: 0
    .sgpr_count:     4
    .sgpr_spill_count: 0
    .symbol:         _ZN7rocprim17ROCPRIM_400000_NS6detail17trampoline_kernelINS0_14default_configENS1_20scan_config_selectorIsEEZZNS1_9scan_implILNS1_25lookback_scan_determinismE0ELb1ELb1ES3_N6thrust23THRUST_200600_302600_NS6detail15normal_iteratorINS9_10device_ptrIsEEEENS9_16discard_iteratorINS9_11use_defaultEEEsNS9_4plusIvEEsEEDaPvRmT3_T4_T5_mT6_P12ihipStream_tbENKUlT_T0_E_clISt17integral_constantIbLb0EESW_IbLb1EEEEDaSS_ST_EUlSS_E0_NS1_11comp_targetILNS1_3genE9ELNS1_11target_archE1100ELNS1_3gpuE3ELNS1_3repE0EEENS1_30default_config_static_selectorELNS0_4arch9wavefront6targetE1EEEvT1_.kd
    .uniform_work_group_size: 1
    .uses_dynamic_stack: false
    .vgpr_count:     0
    .vgpr_spill_count: 0
    .wavefront_size: 64
  - .agpr_count:     0
    .args:
      - .offset:         0
        .size:           40
        .value_kind:     by_value
    .group_segment_fixed_size: 0
    .kernarg_segment_align: 8
    .kernarg_segment_size: 40
    .language:       OpenCL C
    .language_version:
      - 2
      - 0
    .max_flat_workgroup_size: 64
    .name:           _ZN7rocprim17ROCPRIM_400000_NS6detail17trampoline_kernelINS0_14default_configENS1_20scan_config_selectorIsEEZZNS1_9scan_implILNS1_25lookback_scan_determinismE0ELb1ELb1ES3_N6thrust23THRUST_200600_302600_NS6detail15normal_iteratorINS9_10device_ptrIsEEEENS9_16discard_iteratorINS9_11use_defaultEEEsNS9_4plusIvEEsEEDaPvRmT3_T4_T5_mT6_P12ihipStream_tbENKUlT_T0_E_clISt17integral_constantIbLb0EESW_IbLb1EEEEDaSS_ST_EUlSS_E0_NS1_11comp_targetILNS1_3genE8ELNS1_11target_archE1030ELNS1_3gpuE2ELNS1_3repE0EEENS1_30default_config_static_selectorELNS0_4arch9wavefront6targetE1EEEvT1_
    .private_segment_fixed_size: 0
    .sgpr_count:     4
    .sgpr_spill_count: 0
    .symbol:         _ZN7rocprim17ROCPRIM_400000_NS6detail17trampoline_kernelINS0_14default_configENS1_20scan_config_selectorIsEEZZNS1_9scan_implILNS1_25lookback_scan_determinismE0ELb1ELb1ES3_N6thrust23THRUST_200600_302600_NS6detail15normal_iteratorINS9_10device_ptrIsEEEENS9_16discard_iteratorINS9_11use_defaultEEEsNS9_4plusIvEEsEEDaPvRmT3_T4_T5_mT6_P12ihipStream_tbENKUlT_T0_E_clISt17integral_constantIbLb0EESW_IbLb1EEEEDaSS_ST_EUlSS_E0_NS1_11comp_targetILNS1_3genE8ELNS1_11target_archE1030ELNS1_3gpuE2ELNS1_3repE0EEENS1_30default_config_static_selectorELNS0_4arch9wavefront6targetE1EEEvT1_.kd
    .uniform_work_group_size: 1
    .uses_dynamic_stack: false
    .vgpr_count:     0
    .vgpr_spill_count: 0
    .wavefront_size: 64
  - .agpr_count:     0
    .args:
      - .offset:         0
        .size:           16
        .value_kind:     by_value
      - .offset:         16
        .size:           8
        .value_kind:     by_value
      - .offset:         24
        .size:           8
        .value_kind:     by_value
    .group_segment_fixed_size: 0
    .kernarg_segment_align: 8
    .kernarg_segment_size: 32
    .language:       OpenCL C
    .language_version:
      - 2
      - 0
    .max_flat_workgroup_size: 256
    .name:           _ZN6thrust23THRUST_200600_302600_NS11hip_rocprim14__parallel_for6kernelILj256ENS1_20__uninitialized_fill7functorINS0_10device_ptrIfEEfEEmLj1EEEvT0_T1_SA_
    .private_segment_fixed_size: 0
    .sgpr_count:     16
    .sgpr_spill_count: 0
    .symbol:         _ZN6thrust23THRUST_200600_302600_NS11hip_rocprim14__parallel_for6kernelILj256ENS1_20__uninitialized_fill7functorINS0_10device_ptrIfEEfEEmLj1EEEvT0_T1_SA_.kd
    .uniform_work_group_size: 1
    .uses_dynamic_stack: false
    .vgpr_count:     4
    .vgpr_spill_count: 0
    .wavefront_size: 64
  - .agpr_count:     0
    .args:
      - .offset:         0
        .size:           96
        .value_kind:     by_value
    .group_segment_fixed_size: 0
    .kernarg_segment_align: 8
    .kernarg_segment_size: 96
    .language:       OpenCL C
    .language_version:
      - 2
      - 0
    .max_flat_workgroup_size: 256
    .name:           _ZN7rocprim17ROCPRIM_400000_NS6detail17trampoline_kernelINS0_14default_configENS1_20scan_config_selectorIjEEZZNS1_9scan_implILNS1_25lookback_scan_determinismE0ELb0ELb0ES3_N6thrust23THRUST_200600_302600_NS6detail15normal_iteratorINS9_10device_ptrIjEEEENSB_INSC_IfEEEEjNS9_4plusIvEEjEEDaPvRmT3_T4_T5_mT6_P12ihipStream_tbENKUlT_T0_E_clISt17integral_constantIbLb0EESW_EEDaSR_SS_EUlSR_E_NS1_11comp_targetILNS1_3genE0ELNS1_11target_archE4294967295ELNS1_3gpuE0ELNS1_3repE0EEENS1_30default_config_static_selectorELNS0_4arch9wavefront6targetE1EEEvT1_
    .private_segment_fixed_size: 0
    .sgpr_count:     4
    .sgpr_spill_count: 0
    .symbol:         _ZN7rocprim17ROCPRIM_400000_NS6detail17trampoline_kernelINS0_14default_configENS1_20scan_config_selectorIjEEZZNS1_9scan_implILNS1_25lookback_scan_determinismE0ELb0ELb0ES3_N6thrust23THRUST_200600_302600_NS6detail15normal_iteratorINS9_10device_ptrIjEEEENSB_INSC_IfEEEEjNS9_4plusIvEEjEEDaPvRmT3_T4_T5_mT6_P12ihipStream_tbENKUlT_T0_E_clISt17integral_constantIbLb0EESW_EEDaSR_SS_EUlSR_E_NS1_11comp_targetILNS1_3genE0ELNS1_11target_archE4294967295ELNS1_3gpuE0ELNS1_3repE0EEENS1_30default_config_static_selectorELNS0_4arch9wavefront6targetE1EEEvT1_.kd
    .uniform_work_group_size: 1
    .uses_dynamic_stack: false
    .vgpr_count:     0
    .vgpr_spill_count: 0
    .wavefront_size: 64
  - .agpr_count:     0
    .args:
      - .offset:         0
        .size:           96
        .value_kind:     by_value
    .group_segment_fixed_size: 0
    .kernarg_segment_align: 8
    .kernarg_segment_size: 96
    .language:       OpenCL C
    .language_version:
      - 2
      - 0
    .max_flat_workgroup_size: 256
    .name:           _ZN7rocprim17ROCPRIM_400000_NS6detail17trampoline_kernelINS0_14default_configENS1_20scan_config_selectorIjEEZZNS1_9scan_implILNS1_25lookback_scan_determinismE0ELb0ELb0ES3_N6thrust23THRUST_200600_302600_NS6detail15normal_iteratorINS9_10device_ptrIjEEEENSB_INSC_IfEEEEjNS9_4plusIvEEjEEDaPvRmT3_T4_T5_mT6_P12ihipStream_tbENKUlT_T0_E_clISt17integral_constantIbLb0EESW_EEDaSR_SS_EUlSR_E_NS1_11comp_targetILNS1_3genE5ELNS1_11target_archE942ELNS1_3gpuE9ELNS1_3repE0EEENS1_30default_config_static_selectorELNS0_4arch9wavefront6targetE1EEEvT1_
    .private_segment_fixed_size: 0
    .sgpr_count:     4
    .sgpr_spill_count: 0
    .symbol:         _ZN7rocprim17ROCPRIM_400000_NS6detail17trampoline_kernelINS0_14default_configENS1_20scan_config_selectorIjEEZZNS1_9scan_implILNS1_25lookback_scan_determinismE0ELb0ELb0ES3_N6thrust23THRUST_200600_302600_NS6detail15normal_iteratorINS9_10device_ptrIjEEEENSB_INSC_IfEEEEjNS9_4plusIvEEjEEDaPvRmT3_T4_T5_mT6_P12ihipStream_tbENKUlT_T0_E_clISt17integral_constantIbLb0EESW_EEDaSR_SS_EUlSR_E_NS1_11comp_targetILNS1_3genE5ELNS1_11target_archE942ELNS1_3gpuE9ELNS1_3repE0EEENS1_30default_config_static_selectorELNS0_4arch9wavefront6targetE1EEEvT1_.kd
    .uniform_work_group_size: 1
    .uses_dynamic_stack: false
    .vgpr_count:     0
    .vgpr_spill_count: 0
    .wavefront_size: 64
  - .agpr_count:     0
    .args:
      - .offset:         0
        .size:           96
        .value_kind:     by_value
    .group_segment_fixed_size: 5120
    .kernarg_segment_align: 8
    .kernarg_segment_size: 96
    .language:       OpenCL C
    .language_version:
      - 2
      - 0
    .max_flat_workgroup_size: 128
    .name:           _ZN7rocprim17ROCPRIM_400000_NS6detail17trampoline_kernelINS0_14default_configENS1_20scan_config_selectorIjEEZZNS1_9scan_implILNS1_25lookback_scan_determinismE0ELb0ELb0ES3_N6thrust23THRUST_200600_302600_NS6detail15normal_iteratorINS9_10device_ptrIjEEEENSB_INSC_IfEEEEjNS9_4plusIvEEjEEDaPvRmT3_T4_T5_mT6_P12ihipStream_tbENKUlT_T0_E_clISt17integral_constantIbLb0EESW_EEDaSR_SS_EUlSR_E_NS1_11comp_targetILNS1_3genE4ELNS1_11target_archE910ELNS1_3gpuE8ELNS1_3repE0EEENS1_30default_config_static_selectorELNS0_4arch9wavefront6targetE1EEEvT1_
    .private_segment_fixed_size: 0
    .sgpr_count:     32
    .sgpr_spill_count: 0
    .symbol:         _ZN7rocprim17ROCPRIM_400000_NS6detail17trampoline_kernelINS0_14default_configENS1_20scan_config_selectorIjEEZZNS1_9scan_implILNS1_25lookback_scan_determinismE0ELb0ELb0ES3_N6thrust23THRUST_200600_302600_NS6detail15normal_iteratorINS9_10device_ptrIjEEEENSB_INSC_IfEEEEjNS9_4plusIvEEjEEDaPvRmT3_T4_T5_mT6_P12ihipStream_tbENKUlT_T0_E_clISt17integral_constantIbLb0EESW_EEDaSR_SS_EUlSR_E_NS1_11comp_targetILNS1_3genE4ELNS1_11target_archE910ELNS1_3gpuE8ELNS1_3repE0EEENS1_30default_config_static_selectorELNS0_4arch9wavefront6targetE1EEEvT1_.kd
    .uniform_work_group_size: 1
    .uses_dynamic_stack: false
    .vgpr_count:     40
    .vgpr_spill_count: 0
    .wavefront_size: 64
  - .agpr_count:     0
    .args:
      - .offset:         0
        .size:           96
        .value_kind:     by_value
    .group_segment_fixed_size: 0
    .kernarg_segment_align: 8
    .kernarg_segment_size: 96
    .language:       OpenCL C
    .language_version:
      - 2
      - 0
    .max_flat_workgroup_size: 256
    .name:           _ZN7rocprim17ROCPRIM_400000_NS6detail17trampoline_kernelINS0_14default_configENS1_20scan_config_selectorIjEEZZNS1_9scan_implILNS1_25lookback_scan_determinismE0ELb0ELb0ES3_N6thrust23THRUST_200600_302600_NS6detail15normal_iteratorINS9_10device_ptrIjEEEENSB_INSC_IfEEEEjNS9_4plusIvEEjEEDaPvRmT3_T4_T5_mT6_P12ihipStream_tbENKUlT_T0_E_clISt17integral_constantIbLb0EESW_EEDaSR_SS_EUlSR_E_NS1_11comp_targetILNS1_3genE3ELNS1_11target_archE908ELNS1_3gpuE7ELNS1_3repE0EEENS1_30default_config_static_selectorELNS0_4arch9wavefront6targetE1EEEvT1_
    .private_segment_fixed_size: 0
    .sgpr_count:     4
    .sgpr_spill_count: 0
    .symbol:         _ZN7rocprim17ROCPRIM_400000_NS6detail17trampoline_kernelINS0_14default_configENS1_20scan_config_selectorIjEEZZNS1_9scan_implILNS1_25lookback_scan_determinismE0ELb0ELb0ES3_N6thrust23THRUST_200600_302600_NS6detail15normal_iteratorINS9_10device_ptrIjEEEENSB_INSC_IfEEEEjNS9_4plusIvEEjEEDaPvRmT3_T4_T5_mT6_P12ihipStream_tbENKUlT_T0_E_clISt17integral_constantIbLb0EESW_EEDaSR_SS_EUlSR_E_NS1_11comp_targetILNS1_3genE3ELNS1_11target_archE908ELNS1_3gpuE7ELNS1_3repE0EEENS1_30default_config_static_selectorELNS0_4arch9wavefront6targetE1EEEvT1_.kd
    .uniform_work_group_size: 1
    .uses_dynamic_stack: false
    .vgpr_count:     0
    .vgpr_spill_count: 0
    .wavefront_size: 64
  - .agpr_count:     0
    .args:
      - .offset:         0
        .size:           96
        .value_kind:     by_value
    .group_segment_fixed_size: 0
    .kernarg_segment_align: 8
    .kernarg_segment_size: 96
    .language:       OpenCL C
    .language_version:
      - 2
      - 0
    .max_flat_workgroup_size: 256
    .name:           _ZN7rocprim17ROCPRIM_400000_NS6detail17trampoline_kernelINS0_14default_configENS1_20scan_config_selectorIjEEZZNS1_9scan_implILNS1_25lookback_scan_determinismE0ELb0ELb0ES3_N6thrust23THRUST_200600_302600_NS6detail15normal_iteratorINS9_10device_ptrIjEEEENSB_INSC_IfEEEEjNS9_4plusIvEEjEEDaPvRmT3_T4_T5_mT6_P12ihipStream_tbENKUlT_T0_E_clISt17integral_constantIbLb0EESW_EEDaSR_SS_EUlSR_E_NS1_11comp_targetILNS1_3genE2ELNS1_11target_archE906ELNS1_3gpuE6ELNS1_3repE0EEENS1_30default_config_static_selectorELNS0_4arch9wavefront6targetE1EEEvT1_
    .private_segment_fixed_size: 0
    .sgpr_count:     4
    .sgpr_spill_count: 0
    .symbol:         _ZN7rocprim17ROCPRIM_400000_NS6detail17trampoline_kernelINS0_14default_configENS1_20scan_config_selectorIjEEZZNS1_9scan_implILNS1_25lookback_scan_determinismE0ELb0ELb0ES3_N6thrust23THRUST_200600_302600_NS6detail15normal_iteratorINS9_10device_ptrIjEEEENSB_INSC_IfEEEEjNS9_4plusIvEEjEEDaPvRmT3_T4_T5_mT6_P12ihipStream_tbENKUlT_T0_E_clISt17integral_constantIbLb0EESW_EEDaSR_SS_EUlSR_E_NS1_11comp_targetILNS1_3genE2ELNS1_11target_archE906ELNS1_3gpuE6ELNS1_3repE0EEENS1_30default_config_static_selectorELNS0_4arch9wavefront6targetE1EEEvT1_.kd
    .uniform_work_group_size: 1
    .uses_dynamic_stack: false
    .vgpr_count:     0
    .vgpr_spill_count: 0
    .wavefront_size: 64
  - .agpr_count:     0
    .args:
      - .offset:         0
        .size:           96
        .value_kind:     by_value
    .group_segment_fixed_size: 0
    .kernarg_segment_align: 8
    .kernarg_segment_size: 96
    .language:       OpenCL C
    .language_version:
      - 2
      - 0
    .max_flat_workgroup_size: 256
    .name:           _ZN7rocprim17ROCPRIM_400000_NS6detail17trampoline_kernelINS0_14default_configENS1_20scan_config_selectorIjEEZZNS1_9scan_implILNS1_25lookback_scan_determinismE0ELb0ELb0ES3_N6thrust23THRUST_200600_302600_NS6detail15normal_iteratorINS9_10device_ptrIjEEEENSB_INSC_IfEEEEjNS9_4plusIvEEjEEDaPvRmT3_T4_T5_mT6_P12ihipStream_tbENKUlT_T0_E_clISt17integral_constantIbLb0EESW_EEDaSR_SS_EUlSR_E_NS1_11comp_targetILNS1_3genE10ELNS1_11target_archE1201ELNS1_3gpuE5ELNS1_3repE0EEENS1_30default_config_static_selectorELNS0_4arch9wavefront6targetE1EEEvT1_
    .private_segment_fixed_size: 0
    .sgpr_count:     4
    .sgpr_spill_count: 0
    .symbol:         _ZN7rocprim17ROCPRIM_400000_NS6detail17trampoline_kernelINS0_14default_configENS1_20scan_config_selectorIjEEZZNS1_9scan_implILNS1_25lookback_scan_determinismE0ELb0ELb0ES3_N6thrust23THRUST_200600_302600_NS6detail15normal_iteratorINS9_10device_ptrIjEEEENSB_INSC_IfEEEEjNS9_4plusIvEEjEEDaPvRmT3_T4_T5_mT6_P12ihipStream_tbENKUlT_T0_E_clISt17integral_constantIbLb0EESW_EEDaSR_SS_EUlSR_E_NS1_11comp_targetILNS1_3genE10ELNS1_11target_archE1201ELNS1_3gpuE5ELNS1_3repE0EEENS1_30default_config_static_selectorELNS0_4arch9wavefront6targetE1EEEvT1_.kd
    .uniform_work_group_size: 1
    .uses_dynamic_stack: false
    .vgpr_count:     0
    .vgpr_spill_count: 0
    .wavefront_size: 64
  - .agpr_count:     0
    .args:
      - .offset:         0
        .size:           96
        .value_kind:     by_value
    .group_segment_fixed_size: 0
    .kernarg_segment_align: 8
    .kernarg_segment_size: 96
    .language:       OpenCL C
    .language_version:
      - 2
      - 0
    .max_flat_workgroup_size: 256
    .name:           _ZN7rocprim17ROCPRIM_400000_NS6detail17trampoline_kernelINS0_14default_configENS1_20scan_config_selectorIjEEZZNS1_9scan_implILNS1_25lookback_scan_determinismE0ELb0ELb0ES3_N6thrust23THRUST_200600_302600_NS6detail15normal_iteratorINS9_10device_ptrIjEEEENSB_INSC_IfEEEEjNS9_4plusIvEEjEEDaPvRmT3_T4_T5_mT6_P12ihipStream_tbENKUlT_T0_E_clISt17integral_constantIbLb0EESW_EEDaSR_SS_EUlSR_E_NS1_11comp_targetILNS1_3genE10ELNS1_11target_archE1200ELNS1_3gpuE4ELNS1_3repE0EEENS1_30default_config_static_selectorELNS0_4arch9wavefront6targetE1EEEvT1_
    .private_segment_fixed_size: 0
    .sgpr_count:     4
    .sgpr_spill_count: 0
    .symbol:         _ZN7rocprim17ROCPRIM_400000_NS6detail17trampoline_kernelINS0_14default_configENS1_20scan_config_selectorIjEEZZNS1_9scan_implILNS1_25lookback_scan_determinismE0ELb0ELb0ES3_N6thrust23THRUST_200600_302600_NS6detail15normal_iteratorINS9_10device_ptrIjEEEENSB_INSC_IfEEEEjNS9_4plusIvEEjEEDaPvRmT3_T4_T5_mT6_P12ihipStream_tbENKUlT_T0_E_clISt17integral_constantIbLb0EESW_EEDaSR_SS_EUlSR_E_NS1_11comp_targetILNS1_3genE10ELNS1_11target_archE1200ELNS1_3gpuE4ELNS1_3repE0EEENS1_30default_config_static_selectorELNS0_4arch9wavefront6targetE1EEEvT1_.kd
    .uniform_work_group_size: 1
    .uses_dynamic_stack: false
    .vgpr_count:     0
    .vgpr_spill_count: 0
    .wavefront_size: 64
  - .agpr_count:     0
    .args:
      - .offset:         0
        .size:           96
        .value_kind:     by_value
    .group_segment_fixed_size: 0
    .kernarg_segment_align: 8
    .kernarg_segment_size: 96
    .language:       OpenCL C
    .language_version:
      - 2
      - 0
    .max_flat_workgroup_size: 256
    .name:           _ZN7rocprim17ROCPRIM_400000_NS6detail17trampoline_kernelINS0_14default_configENS1_20scan_config_selectorIjEEZZNS1_9scan_implILNS1_25lookback_scan_determinismE0ELb0ELb0ES3_N6thrust23THRUST_200600_302600_NS6detail15normal_iteratorINS9_10device_ptrIjEEEENSB_INSC_IfEEEEjNS9_4plusIvEEjEEDaPvRmT3_T4_T5_mT6_P12ihipStream_tbENKUlT_T0_E_clISt17integral_constantIbLb0EESW_EEDaSR_SS_EUlSR_E_NS1_11comp_targetILNS1_3genE9ELNS1_11target_archE1100ELNS1_3gpuE3ELNS1_3repE0EEENS1_30default_config_static_selectorELNS0_4arch9wavefront6targetE1EEEvT1_
    .private_segment_fixed_size: 0
    .sgpr_count:     4
    .sgpr_spill_count: 0
    .symbol:         _ZN7rocprim17ROCPRIM_400000_NS6detail17trampoline_kernelINS0_14default_configENS1_20scan_config_selectorIjEEZZNS1_9scan_implILNS1_25lookback_scan_determinismE0ELb0ELb0ES3_N6thrust23THRUST_200600_302600_NS6detail15normal_iteratorINS9_10device_ptrIjEEEENSB_INSC_IfEEEEjNS9_4plusIvEEjEEDaPvRmT3_T4_T5_mT6_P12ihipStream_tbENKUlT_T0_E_clISt17integral_constantIbLb0EESW_EEDaSR_SS_EUlSR_E_NS1_11comp_targetILNS1_3genE9ELNS1_11target_archE1100ELNS1_3gpuE3ELNS1_3repE0EEENS1_30default_config_static_selectorELNS0_4arch9wavefront6targetE1EEEvT1_.kd
    .uniform_work_group_size: 1
    .uses_dynamic_stack: false
    .vgpr_count:     0
    .vgpr_spill_count: 0
    .wavefront_size: 64
  - .agpr_count:     0
    .args:
      - .offset:         0
        .size:           96
        .value_kind:     by_value
    .group_segment_fixed_size: 0
    .kernarg_segment_align: 8
    .kernarg_segment_size: 96
    .language:       OpenCL C
    .language_version:
      - 2
      - 0
    .max_flat_workgroup_size: 64
    .name:           _ZN7rocprim17ROCPRIM_400000_NS6detail17trampoline_kernelINS0_14default_configENS1_20scan_config_selectorIjEEZZNS1_9scan_implILNS1_25lookback_scan_determinismE0ELb0ELb0ES3_N6thrust23THRUST_200600_302600_NS6detail15normal_iteratorINS9_10device_ptrIjEEEENSB_INSC_IfEEEEjNS9_4plusIvEEjEEDaPvRmT3_T4_T5_mT6_P12ihipStream_tbENKUlT_T0_E_clISt17integral_constantIbLb0EESW_EEDaSR_SS_EUlSR_E_NS1_11comp_targetILNS1_3genE8ELNS1_11target_archE1030ELNS1_3gpuE2ELNS1_3repE0EEENS1_30default_config_static_selectorELNS0_4arch9wavefront6targetE1EEEvT1_
    .private_segment_fixed_size: 0
    .sgpr_count:     4
    .sgpr_spill_count: 0
    .symbol:         _ZN7rocprim17ROCPRIM_400000_NS6detail17trampoline_kernelINS0_14default_configENS1_20scan_config_selectorIjEEZZNS1_9scan_implILNS1_25lookback_scan_determinismE0ELb0ELb0ES3_N6thrust23THRUST_200600_302600_NS6detail15normal_iteratorINS9_10device_ptrIjEEEENSB_INSC_IfEEEEjNS9_4plusIvEEjEEDaPvRmT3_T4_T5_mT6_P12ihipStream_tbENKUlT_T0_E_clISt17integral_constantIbLb0EESW_EEDaSR_SS_EUlSR_E_NS1_11comp_targetILNS1_3genE8ELNS1_11target_archE1030ELNS1_3gpuE2ELNS1_3repE0EEENS1_30default_config_static_selectorELNS0_4arch9wavefront6targetE1EEEvT1_.kd
    .uniform_work_group_size: 1
    .uses_dynamic_stack: false
    .vgpr_count:     0
    .vgpr_spill_count: 0
    .wavefront_size: 64
  - .agpr_count:     0
    .args:
      - .offset:         0
        .size:           32
        .value_kind:     by_value
    .group_segment_fixed_size: 0
    .kernarg_segment_align: 8
    .kernarg_segment_size: 32
    .language:       OpenCL C
    .language_version:
      - 2
      - 0
    .max_flat_workgroup_size: 256
    .name:           _ZN7rocprim17ROCPRIM_400000_NS6detail17trampoline_kernelINS0_14default_configENS1_20scan_config_selectorIjEEZZNS1_9scan_implILNS1_25lookback_scan_determinismE0ELb0ELb0ES3_N6thrust23THRUST_200600_302600_NS6detail15normal_iteratorINS9_10device_ptrIjEEEENSB_INSC_IfEEEEjNS9_4plusIvEEjEEDaPvRmT3_T4_T5_mT6_P12ihipStream_tbENKUlT_T0_E_clISt17integral_constantIbLb0EESW_EEDaSR_SS_EUlSR_E0_NS1_11comp_targetILNS1_3genE0ELNS1_11target_archE4294967295ELNS1_3gpuE0ELNS1_3repE0EEENS1_30default_config_static_selectorELNS0_4arch9wavefront6targetE1EEEvT1_
    .private_segment_fixed_size: 0
    .sgpr_count:     4
    .sgpr_spill_count: 0
    .symbol:         _ZN7rocprim17ROCPRIM_400000_NS6detail17trampoline_kernelINS0_14default_configENS1_20scan_config_selectorIjEEZZNS1_9scan_implILNS1_25lookback_scan_determinismE0ELb0ELb0ES3_N6thrust23THRUST_200600_302600_NS6detail15normal_iteratorINS9_10device_ptrIjEEEENSB_INSC_IfEEEEjNS9_4plusIvEEjEEDaPvRmT3_T4_T5_mT6_P12ihipStream_tbENKUlT_T0_E_clISt17integral_constantIbLb0EESW_EEDaSR_SS_EUlSR_E0_NS1_11comp_targetILNS1_3genE0ELNS1_11target_archE4294967295ELNS1_3gpuE0ELNS1_3repE0EEENS1_30default_config_static_selectorELNS0_4arch9wavefront6targetE1EEEvT1_.kd
    .uniform_work_group_size: 1
    .uses_dynamic_stack: false
    .vgpr_count:     0
    .vgpr_spill_count: 0
    .wavefront_size: 64
  - .agpr_count:     0
    .args:
      - .offset:         0
        .size:           32
        .value_kind:     by_value
    .group_segment_fixed_size: 0
    .kernarg_segment_align: 8
    .kernarg_segment_size: 32
    .language:       OpenCL C
    .language_version:
      - 2
      - 0
    .max_flat_workgroup_size: 256
    .name:           _ZN7rocprim17ROCPRIM_400000_NS6detail17trampoline_kernelINS0_14default_configENS1_20scan_config_selectorIjEEZZNS1_9scan_implILNS1_25lookback_scan_determinismE0ELb0ELb0ES3_N6thrust23THRUST_200600_302600_NS6detail15normal_iteratorINS9_10device_ptrIjEEEENSB_INSC_IfEEEEjNS9_4plusIvEEjEEDaPvRmT3_T4_T5_mT6_P12ihipStream_tbENKUlT_T0_E_clISt17integral_constantIbLb0EESW_EEDaSR_SS_EUlSR_E0_NS1_11comp_targetILNS1_3genE5ELNS1_11target_archE942ELNS1_3gpuE9ELNS1_3repE0EEENS1_30default_config_static_selectorELNS0_4arch9wavefront6targetE1EEEvT1_
    .private_segment_fixed_size: 0
    .sgpr_count:     4
    .sgpr_spill_count: 0
    .symbol:         _ZN7rocprim17ROCPRIM_400000_NS6detail17trampoline_kernelINS0_14default_configENS1_20scan_config_selectorIjEEZZNS1_9scan_implILNS1_25lookback_scan_determinismE0ELb0ELb0ES3_N6thrust23THRUST_200600_302600_NS6detail15normal_iteratorINS9_10device_ptrIjEEEENSB_INSC_IfEEEEjNS9_4plusIvEEjEEDaPvRmT3_T4_T5_mT6_P12ihipStream_tbENKUlT_T0_E_clISt17integral_constantIbLb0EESW_EEDaSR_SS_EUlSR_E0_NS1_11comp_targetILNS1_3genE5ELNS1_11target_archE942ELNS1_3gpuE9ELNS1_3repE0EEENS1_30default_config_static_selectorELNS0_4arch9wavefront6targetE1EEEvT1_.kd
    .uniform_work_group_size: 1
    .uses_dynamic_stack: false
    .vgpr_count:     0
    .vgpr_spill_count: 0
    .wavefront_size: 64
  - .agpr_count:     0
    .args:
      - .offset:         0
        .size:           32
        .value_kind:     by_value
    .group_segment_fixed_size: 5120
    .kernarg_segment_align: 8
    .kernarg_segment_size: 32
    .language:       OpenCL C
    .language_version:
      - 2
      - 0
    .max_flat_workgroup_size: 128
    .name:           _ZN7rocprim17ROCPRIM_400000_NS6detail17trampoline_kernelINS0_14default_configENS1_20scan_config_selectorIjEEZZNS1_9scan_implILNS1_25lookback_scan_determinismE0ELb0ELb0ES3_N6thrust23THRUST_200600_302600_NS6detail15normal_iteratorINS9_10device_ptrIjEEEENSB_INSC_IfEEEEjNS9_4plusIvEEjEEDaPvRmT3_T4_T5_mT6_P12ihipStream_tbENKUlT_T0_E_clISt17integral_constantIbLb0EESW_EEDaSR_SS_EUlSR_E0_NS1_11comp_targetILNS1_3genE4ELNS1_11target_archE910ELNS1_3gpuE8ELNS1_3repE0EEENS1_30default_config_static_selectorELNS0_4arch9wavefront6targetE1EEEvT1_
    .private_segment_fixed_size: 0
    .sgpr_count:     28
    .sgpr_spill_count: 0
    .symbol:         _ZN7rocprim17ROCPRIM_400000_NS6detail17trampoline_kernelINS0_14default_configENS1_20scan_config_selectorIjEEZZNS1_9scan_implILNS1_25lookback_scan_determinismE0ELb0ELb0ES3_N6thrust23THRUST_200600_302600_NS6detail15normal_iteratorINS9_10device_ptrIjEEEENSB_INSC_IfEEEEjNS9_4plusIvEEjEEDaPvRmT3_T4_T5_mT6_P12ihipStream_tbENKUlT_T0_E_clISt17integral_constantIbLb0EESW_EEDaSR_SS_EUlSR_E0_NS1_11comp_targetILNS1_3genE4ELNS1_11target_archE910ELNS1_3gpuE8ELNS1_3repE0EEENS1_30default_config_static_selectorELNS0_4arch9wavefront6targetE1EEEvT1_.kd
    .uniform_work_group_size: 1
    .uses_dynamic_stack: false
    .vgpr_count:     27
    .vgpr_spill_count: 0
    .wavefront_size: 64
  - .agpr_count:     0
    .args:
      - .offset:         0
        .size:           32
        .value_kind:     by_value
    .group_segment_fixed_size: 0
    .kernarg_segment_align: 8
    .kernarg_segment_size: 32
    .language:       OpenCL C
    .language_version:
      - 2
      - 0
    .max_flat_workgroup_size: 256
    .name:           _ZN7rocprim17ROCPRIM_400000_NS6detail17trampoline_kernelINS0_14default_configENS1_20scan_config_selectorIjEEZZNS1_9scan_implILNS1_25lookback_scan_determinismE0ELb0ELb0ES3_N6thrust23THRUST_200600_302600_NS6detail15normal_iteratorINS9_10device_ptrIjEEEENSB_INSC_IfEEEEjNS9_4plusIvEEjEEDaPvRmT3_T4_T5_mT6_P12ihipStream_tbENKUlT_T0_E_clISt17integral_constantIbLb0EESW_EEDaSR_SS_EUlSR_E0_NS1_11comp_targetILNS1_3genE3ELNS1_11target_archE908ELNS1_3gpuE7ELNS1_3repE0EEENS1_30default_config_static_selectorELNS0_4arch9wavefront6targetE1EEEvT1_
    .private_segment_fixed_size: 0
    .sgpr_count:     4
    .sgpr_spill_count: 0
    .symbol:         _ZN7rocprim17ROCPRIM_400000_NS6detail17trampoline_kernelINS0_14default_configENS1_20scan_config_selectorIjEEZZNS1_9scan_implILNS1_25lookback_scan_determinismE0ELb0ELb0ES3_N6thrust23THRUST_200600_302600_NS6detail15normal_iteratorINS9_10device_ptrIjEEEENSB_INSC_IfEEEEjNS9_4plusIvEEjEEDaPvRmT3_T4_T5_mT6_P12ihipStream_tbENKUlT_T0_E_clISt17integral_constantIbLb0EESW_EEDaSR_SS_EUlSR_E0_NS1_11comp_targetILNS1_3genE3ELNS1_11target_archE908ELNS1_3gpuE7ELNS1_3repE0EEENS1_30default_config_static_selectorELNS0_4arch9wavefront6targetE1EEEvT1_.kd
    .uniform_work_group_size: 1
    .uses_dynamic_stack: false
    .vgpr_count:     0
    .vgpr_spill_count: 0
    .wavefront_size: 64
  - .agpr_count:     0
    .args:
      - .offset:         0
        .size:           32
        .value_kind:     by_value
    .group_segment_fixed_size: 0
    .kernarg_segment_align: 8
    .kernarg_segment_size: 32
    .language:       OpenCL C
    .language_version:
      - 2
      - 0
    .max_flat_workgroup_size: 256
    .name:           _ZN7rocprim17ROCPRIM_400000_NS6detail17trampoline_kernelINS0_14default_configENS1_20scan_config_selectorIjEEZZNS1_9scan_implILNS1_25lookback_scan_determinismE0ELb0ELb0ES3_N6thrust23THRUST_200600_302600_NS6detail15normal_iteratorINS9_10device_ptrIjEEEENSB_INSC_IfEEEEjNS9_4plusIvEEjEEDaPvRmT3_T4_T5_mT6_P12ihipStream_tbENKUlT_T0_E_clISt17integral_constantIbLb0EESW_EEDaSR_SS_EUlSR_E0_NS1_11comp_targetILNS1_3genE2ELNS1_11target_archE906ELNS1_3gpuE6ELNS1_3repE0EEENS1_30default_config_static_selectorELNS0_4arch9wavefront6targetE1EEEvT1_
    .private_segment_fixed_size: 0
    .sgpr_count:     4
    .sgpr_spill_count: 0
    .symbol:         _ZN7rocprim17ROCPRIM_400000_NS6detail17trampoline_kernelINS0_14default_configENS1_20scan_config_selectorIjEEZZNS1_9scan_implILNS1_25lookback_scan_determinismE0ELb0ELb0ES3_N6thrust23THRUST_200600_302600_NS6detail15normal_iteratorINS9_10device_ptrIjEEEENSB_INSC_IfEEEEjNS9_4plusIvEEjEEDaPvRmT3_T4_T5_mT6_P12ihipStream_tbENKUlT_T0_E_clISt17integral_constantIbLb0EESW_EEDaSR_SS_EUlSR_E0_NS1_11comp_targetILNS1_3genE2ELNS1_11target_archE906ELNS1_3gpuE6ELNS1_3repE0EEENS1_30default_config_static_selectorELNS0_4arch9wavefront6targetE1EEEvT1_.kd
    .uniform_work_group_size: 1
    .uses_dynamic_stack: false
    .vgpr_count:     0
    .vgpr_spill_count: 0
    .wavefront_size: 64
  - .agpr_count:     0
    .args:
      - .offset:         0
        .size:           32
        .value_kind:     by_value
    .group_segment_fixed_size: 0
    .kernarg_segment_align: 8
    .kernarg_segment_size: 32
    .language:       OpenCL C
    .language_version:
      - 2
      - 0
    .max_flat_workgroup_size: 256
    .name:           _ZN7rocprim17ROCPRIM_400000_NS6detail17trampoline_kernelINS0_14default_configENS1_20scan_config_selectorIjEEZZNS1_9scan_implILNS1_25lookback_scan_determinismE0ELb0ELb0ES3_N6thrust23THRUST_200600_302600_NS6detail15normal_iteratorINS9_10device_ptrIjEEEENSB_INSC_IfEEEEjNS9_4plusIvEEjEEDaPvRmT3_T4_T5_mT6_P12ihipStream_tbENKUlT_T0_E_clISt17integral_constantIbLb0EESW_EEDaSR_SS_EUlSR_E0_NS1_11comp_targetILNS1_3genE10ELNS1_11target_archE1201ELNS1_3gpuE5ELNS1_3repE0EEENS1_30default_config_static_selectorELNS0_4arch9wavefront6targetE1EEEvT1_
    .private_segment_fixed_size: 0
    .sgpr_count:     4
    .sgpr_spill_count: 0
    .symbol:         _ZN7rocprim17ROCPRIM_400000_NS6detail17trampoline_kernelINS0_14default_configENS1_20scan_config_selectorIjEEZZNS1_9scan_implILNS1_25lookback_scan_determinismE0ELb0ELb0ES3_N6thrust23THRUST_200600_302600_NS6detail15normal_iteratorINS9_10device_ptrIjEEEENSB_INSC_IfEEEEjNS9_4plusIvEEjEEDaPvRmT3_T4_T5_mT6_P12ihipStream_tbENKUlT_T0_E_clISt17integral_constantIbLb0EESW_EEDaSR_SS_EUlSR_E0_NS1_11comp_targetILNS1_3genE10ELNS1_11target_archE1201ELNS1_3gpuE5ELNS1_3repE0EEENS1_30default_config_static_selectorELNS0_4arch9wavefront6targetE1EEEvT1_.kd
    .uniform_work_group_size: 1
    .uses_dynamic_stack: false
    .vgpr_count:     0
    .vgpr_spill_count: 0
    .wavefront_size: 64
  - .agpr_count:     0
    .args:
      - .offset:         0
        .size:           32
        .value_kind:     by_value
    .group_segment_fixed_size: 0
    .kernarg_segment_align: 8
    .kernarg_segment_size: 32
    .language:       OpenCL C
    .language_version:
      - 2
      - 0
    .max_flat_workgroup_size: 256
    .name:           _ZN7rocprim17ROCPRIM_400000_NS6detail17trampoline_kernelINS0_14default_configENS1_20scan_config_selectorIjEEZZNS1_9scan_implILNS1_25lookback_scan_determinismE0ELb0ELb0ES3_N6thrust23THRUST_200600_302600_NS6detail15normal_iteratorINS9_10device_ptrIjEEEENSB_INSC_IfEEEEjNS9_4plusIvEEjEEDaPvRmT3_T4_T5_mT6_P12ihipStream_tbENKUlT_T0_E_clISt17integral_constantIbLb0EESW_EEDaSR_SS_EUlSR_E0_NS1_11comp_targetILNS1_3genE10ELNS1_11target_archE1200ELNS1_3gpuE4ELNS1_3repE0EEENS1_30default_config_static_selectorELNS0_4arch9wavefront6targetE1EEEvT1_
    .private_segment_fixed_size: 0
    .sgpr_count:     4
    .sgpr_spill_count: 0
    .symbol:         _ZN7rocprim17ROCPRIM_400000_NS6detail17trampoline_kernelINS0_14default_configENS1_20scan_config_selectorIjEEZZNS1_9scan_implILNS1_25lookback_scan_determinismE0ELb0ELb0ES3_N6thrust23THRUST_200600_302600_NS6detail15normal_iteratorINS9_10device_ptrIjEEEENSB_INSC_IfEEEEjNS9_4plusIvEEjEEDaPvRmT3_T4_T5_mT6_P12ihipStream_tbENKUlT_T0_E_clISt17integral_constantIbLb0EESW_EEDaSR_SS_EUlSR_E0_NS1_11comp_targetILNS1_3genE10ELNS1_11target_archE1200ELNS1_3gpuE4ELNS1_3repE0EEENS1_30default_config_static_selectorELNS0_4arch9wavefront6targetE1EEEvT1_.kd
    .uniform_work_group_size: 1
    .uses_dynamic_stack: false
    .vgpr_count:     0
    .vgpr_spill_count: 0
    .wavefront_size: 64
  - .agpr_count:     0
    .args:
      - .offset:         0
        .size:           32
        .value_kind:     by_value
    .group_segment_fixed_size: 0
    .kernarg_segment_align: 8
    .kernarg_segment_size: 32
    .language:       OpenCL C
    .language_version:
      - 2
      - 0
    .max_flat_workgroup_size: 256
    .name:           _ZN7rocprim17ROCPRIM_400000_NS6detail17trampoline_kernelINS0_14default_configENS1_20scan_config_selectorIjEEZZNS1_9scan_implILNS1_25lookback_scan_determinismE0ELb0ELb0ES3_N6thrust23THRUST_200600_302600_NS6detail15normal_iteratorINS9_10device_ptrIjEEEENSB_INSC_IfEEEEjNS9_4plusIvEEjEEDaPvRmT3_T4_T5_mT6_P12ihipStream_tbENKUlT_T0_E_clISt17integral_constantIbLb0EESW_EEDaSR_SS_EUlSR_E0_NS1_11comp_targetILNS1_3genE9ELNS1_11target_archE1100ELNS1_3gpuE3ELNS1_3repE0EEENS1_30default_config_static_selectorELNS0_4arch9wavefront6targetE1EEEvT1_
    .private_segment_fixed_size: 0
    .sgpr_count:     4
    .sgpr_spill_count: 0
    .symbol:         _ZN7rocprim17ROCPRIM_400000_NS6detail17trampoline_kernelINS0_14default_configENS1_20scan_config_selectorIjEEZZNS1_9scan_implILNS1_25lookback_scan_determinismE0ELb0ELb0ES3_N6thrust23THRUST_200600_302600_NS6detail15normal_iteratorINS9_10device_ptrIjEEEENSB_INSC_IfEEEEjNS9_4plusIvEEjEEDaPvRmT3_T4_T5_mT6_P12ihipStream_tbENKUlT_T0_E_clISt17integral_constantIbLb0EESW_EEDaSR_SS_EUlSR_E0_NS1_11comp_targetILNS1_3genE9ELNS1_11target_archE1100ELNS1_3gpuE3ELNS1_3repE0EEENS1_30default_config_static_selectorELNS0_4arch9wavefront6targetE1EEEvT1_.kd
    .uniform_work_group_size: 1
    .uses_dynamic_stack: false
    .vgpr_count:     0
    .vgpr_spill_count: 0
    .wavefront_size: 64
  - .agpr_count:     0
    .args:
      - .offset:         0
        .size:           32
        .value_kind:     by_value
    .group_segment_fixed_size: 0
    .kernarg_segment_align: 8
    .kernarg_segment_size: 32
    .language:       OpenCL C
    .language_version:
      - 2
      - 0
    .max_flat_workgroup_size: 64
    .name:           _ZN7rocprim17ROCPRIM_400000_NS6detail17trampoline_kernelINS0_14default_configENS1_20scan_config_selectorIjEEZZNS1_9scan_implILNS1_25lookback_scan_determinismE0ELb0ELb0ES3_N6thrust23THRUST_200600_302600_NS6detail15normal_iteratorINS9_10device_ptrIjEEEENSB_INSC_IfEEEEjNS9_4plusIvEEjEEDaPvRmT3_T4_T5_mT6_P12ihipStream_tbENKUlT_T0_E_clISt17integral_constantIbLb0EESW_EEDaSR_SS_EUlSR_E0_NS1_11comp_targetILNS1_3genE8ELNS1_11target_archE1030ELNS1_3gpuE2ELNS1_3repE0EEENS1_30default_config_static_selectorELNS0_4arch9wavefront6targetE1EEEvT1_
    .private_segment_fixed_size: 0
    .sgpr_count:     4
    .sgpr_spill_count: 0
    .symbol:         _ZN7rocprim17ROCPRIM_400000_NS6detail17trampoline_kernelINS0_14default_configENS1_20scan_config_selectorIjEEZZNS1_9scan_implILNS1_25lookback_scan_determinismE0ELb0ELb0ES3_N6thrust23THRUST_200600_302600_NS6detail15normal_iteratorINS9_10device_ptrIjEEEENSB_INSC_IfEEEEjNS9_4plusIvEEjEEDaPvRmT3_T4_T5_mT6_P12ihipStream_tbENKUlT_T0_E_clISt17integral_constantIbLb0EESW_EEDaSR_SS_EUlSR_E0_NS1_11comp_targetILNS1_3genE8ELNS1_11target_archE1030ELNS1_3gpuE2ELNS1_3repE0EEENS1_30default_config_static_selectorELNS0_4arch9wavefront6targetE1EEEvT1_.kd
    .uniform_work_group_size: 1
    .uses_dynamic_stack: false
    .vgpr_count:     0
    .vgpr_spill_count: 0
    .wavefront_size: 64
  - .agpr_count:     0
    .args:
      - .offset:         0
        .size:           96
        .value_kind:     by_value
    .group_segment_fixed_size: 0
    .kernarg_segment_align: 8
    .kernarg_segment_size: 96
    .language:       OpenCL C
    .language_version:
      - 2
      - 0
    .max_flat_workgroup_size: 256
    .name:           _ZN7rocprim17ROCPRIM_400000_NS6detail17trampoline_kernelINS0_14default_configENS1_20scan_config_selectorIjEEZZNS1_9scan_implILNS1_25lookback_scan_determinismE0ELb0ELb0ES3_N6thrust23THRUST_200600_302600_NS6detail15normal_iteratorINS9_10device_ptrIjEEEENSB_INSC_IfEEEEjNS9_4plusIvEEjEEDaPvRmT3_T4_T5_mT6_P12ihipStream_tbENKUlT_T0_E_clISt17integral_constantIbLb1EESW_EEDaSR_SS_EUlSR_E_NS1_11comp_targetILNS1_3genE0ELNS1_11target_archE4294967295ELNS1_3gpuE0ELNS1_3repE0EEENS1_30default_config_static_selectorELNS0_4arch9wavefront6targetE1EEEvT1_
    .private_segment_fixed_size: 0
    .sgpr_count:     4
    .sgpr_spill_count: 0
    .symbol:         _ZN7rocprim17ROCPRIM_400000_NS6detail17trampoline_kernelINS0_14default_configENS1_20scan_config_selectorIjEEZZNS1_9scan_implILNS1_25lookback_scan_determinismE0ELb0ELb0ES3_N6thrust23THRUST_200600_302600_NS6detail15normal_iteratorINS9_10device_ptrIjEEEENSB_INSC_IfEEEEjNS9_4plusIvEEjEEDaPvRmT3_T4_T5_mT6_P12ihipStream_tbENKUlT_T0_E_clISt17integral_constantIbLb1EESW_EEDaSR_SS_EUlSR_E_NS1_11comp_targetILNS1_3genE0ELNS1_11target_archE4294967295ELNS1_3gpuE0ELNS1_3repE0EEENS1_30default_config_static_selectorELNS0_4arch9wavefront6targetE1EEEvT1_.kd
    .uniform_work_group_size: 1
    .uses_dynamic_stack: false
    .vgpr_count:     0
    .vgpr_spill_count: 0
    .wavefront_size: 64
  - .agpr_count:     0
    .args:
      - .offset:         0
        .size:           96
        .value_kind:     by_value
    .group_segment_fixed_size: 0
    .kernarg_segment_align: 8
    .kernarg_segment_size: 96
    .language:       OpenCL C
    .language_version:
      - 2
      - 0
    .max_flat_workgroup_size: 256
    .name:           _ZN7rocprim17ROCPRIM_400000_NS6detail17trampoline_kernelINS0_14default_configENS1_20scan_config_selectorIjEEZZNS1_9scan_implILNS1_25lookback_scan_determinismE0ELb0ELb0ES3_N6thrust23THRUST_200600_302600_NS6detail15normal_iteratorINS9_10device_ptrIjEEEENSB_INSC_IfEEEEjNS9_4plusIvEEjEEDaPvRmT3_T4_T5_mT6_P12ihipStream_tbENKUlT_T0_E_clISt17integral_constantIbLb1EESW_EEDaSR_SS_EUlSR_E_NS1_11comp_targetILNS1_3genE5ELNS1_11target_archE942ELNS1_3gpuE9ELNS1_3repE0EEENS1_30default_config_static_selectorELNS0_4arch9wavefront6targetE1EEEvT1_
    .private_segment_fixed_size: 0
    .sgpr_count:     4
    .sgpr_spill_count: 0
    .symbol:         _ZN7rocprim17ROCPRIM_400000_NS6detail17trampoline_kernelINS0_14default_configENS1_20scan_config_selectorIjEEZZNS1_9scan_implILNS1_25lookback_scan_determinismE0ELb0ELb0ES3_N6thrust23THRUST_200600_302600_NS6detail15normal_iteratorINS9_10device_ptrIjEEEENSB_INSC_IfEEEEjNS9_4plusIvEEjEEDaPvRmT3_T4_T5_mT6_P12ihipStream_tbENKUlT_T0_E_clISt17integral_constantIbLb1EESW_EEDaSR_SS_EUlSR_E_NS1_11comp_targetILNS1_3genE5ELNS1_11target_archE942ELNS1_3gpuE9ELNS1_3repE0EEENS1_30default_config_static_selectorELNS0_4arch9wavefront6targetE1EEEvT1_.kd
    .uniform_work_group_size: 1
    .uses_dynamic_stack: false
    .vgpr_count:     0
    .vgpr_spill_count: 0
    .wavefront_size: 64
  - .agpr_count:     0
    .args:
      - .offset:         0
        .size:           96
        .value_kind:     by_value
    .group_segment_fixed_size: 5120
    .kernarg_segment_align: 8
    .kernarg_segment_size: 96
    .language:       OpenCL C
    .language_version:
      - 2
      - 0
    .max_flat_workgroup_size: 128
    .name:           _ZN7rocprim17ROCPRIM_400000_NS6detail17trampoline_kernelINS0_14default_configENS1_20scan_config_selectorIjEEZZNS1_9scan_implILNS1_25lookback_scan_determinismE0ELb0ELb0ES3_N6thrust23THRUST_200600_302600_NS6detail15normal_iteratorINS9_10device_ptrIjEEEENSB_INSC_IfEEEEjNS9_4plusIvEEjEEDaPvRmT3_T4_T5_mT6_P12ihipStream_tbENKUlT_T0_E_clISt17integral_constantIbLb1EESW_EEDaSR_SS_EUlSR_E_NS1_11comp_targetILNS1_3genE4ELNS1_11target_archE910ELNS1_3gpuE8ELNS1_3repE0EEENS1_30default_config_static_selectorELNS0_4arch9wavefront6targetE1EEEvT1_
    .private_segment_fixed_size: 0
    .sgpr_count:     42
    .sgpr_spill_count: 0
    .symbol:         _ZN7rocprim17ROCPRIM_400000_NS6detail17trampoline_kernelINS0_14default_configENS1_20scan_config_selectorIjEEZZNS1_9scan_implILNS1_25lookback_scan_determinismE0ELb0ELb0ES3_N6thrust23THRUST_200600_302600_NS6detail15normal_iteratorINS9_10device_ptrIjEEEENSB_INSC_IfEEEEjNS9_4plusIvEEjEEDaPvRmT3_T4_T5_mT6_P12ihipStream_tbENKUlT_T0_E_clISt17integral_constantIbLb1EESW_EEDaSR_SS_EUlSR_E_NS1_11comp_targetILNS1_3genE4ELNS1_11target_archE910ELNS1_3gpuE8ELNS1_3repE0EEENS1_30default_config_static_selectorELNS0_4arch9wavefront6targetE1EEEvT1_.kd
    .uniform_work_group_size: 1
    .uses_dynamic_stack: false
    .vgpr_count:     40
    .vgpr_spill_count: 0
    .wavefront_size: 64
  - .agpr_count:     0
    .args:
      - .offset:         0
        .size:           96
        .value_kind:     by_value
    .group_segment_fixed_size: 0
    .kernarg_segment_align: 8
    .kernarg_segment_size: 96
    .language:       OpenCL C
    .language_version:
      - 2
      - 0
    .max_flat_workgroup_size: 256
    .name:           _ZN7rocprim17ROCPRIM_400000_NS6detail17trampoline_kernelINS0_14default_configENS1_20scan_config_selectorIjEEZZNS1_9scan_implILNS1_25lookback_scan_determinismE0ELb0ELb0ES3_N6thrust23THRUST_200600_302600_NS6detail15normal_iteratorINS9_10device_ptrIjEEEENSB_INSC_IfEEEEjNS9_4plusIvEEjEEDaPvRmT3_T4_T5_mT6_P12ihipStream_tbENKUlT_T0_E_clISt17integral_constantIbLb1EESW_EEDaSR_SS_EUlSR_E_NS1_11comp_targetILNS1_3genE3ELNS1_11target_archE908ELNS1_3gpuE7ELNS1_3repE0EEENS1_30default_config_static_selectorELNS0_4arch9wavefront6targetE1EEEvT1_
    .private_segment_fixed_size: 0
    .sgpr_count:     4
    .sgpr_spill_count: 0
    .symbol:         _ZN7rocprim17ROCPRIM_400000_NS6detail17trampoline_kernelINS0_14default_configENS1_20scan_config_selectorIjEEZZNS1_9scan_implILNS1_25lookback_scan_determinismE0ELb0ELb0ES3_N6thrust23THRUST_200600_302600_NS6detail15normal_iteratorINS9_10device_ptrIjEEEENSB_INSC_IfEEEEjNS9_4plusIvEEjEEDaPvRmT3_T4_T5_mT6_P12ihipStream_tbENKUlT_T0_E_clISt17integral_constantIbLb1EESW_EEDaSR_SS_EUlSR_E_NS1_11comp_targetILNS1_3genE3ELNS1_11target_archE908ELNS1_3gpuE7ELNS1_3repE0EEENS1_30default_config_static_selectorELNS0_4arch9wavefront6targetE1EEEvT1_.kd
    .uniform_work_group_size: 1
    .uses_dynamic_stack: false
    .vgpr_count:     0
    .vgpr_spill_count: 0
    .wavefront_size: 64
  - .agpr_count:     0
    .args:
      - .offset:         0
        .size:           96
        .value_kind:     by_value
    .group_segment_fixed_size: 0
    .kernarg_segment_align: 8
    .kernarg_segment_size: 96
    .language:       OpenCL C
    .language_version:
      - 2
      - 0
    .max_flat_workgroup_size: 256
    .name:           _ZN7rocprim17ROCPRIM_400000_NS6detail17trampoline_kernelINS0_14default_configENS1_20scan_config_selectorIjEEZZNS1_9scan_implILNS1_25lookback_scan_determinismE0ELb0ELb0ES3_N6thrust23THRUST_200600_302600_NS6detail15normal_iteratorINS9_10device_ptrIjEEEENSB_INSC_IfEEEEjNS9_4plusIvEEjEEDaPvRmT3_T4_T5_mT6_P12ihipStream_tbENKUlT_T0_E_clISt17integral_constantIbLb1EESW_EEDaSR_SS_EUlSR_E_NS1_11comp_targetILNS1_3genE2ELNS1_11target_archE906ELNS1_3gpuE6ELNS1_3repE0EEENS1_30default_config_static_selectorELNS0_4arch9wavefront6targetE1EEEvT1_
    .private_segment_fixed_size: 0
    .sgpr_count:     4
    .sgpr_spill_count: 0
    .symbol:         _ZN7rocprim17ROCPRIM_400000_NS6detail17trampoline_kernelINS0_14default_configENS1_20scan_config_selectorIjEEZZNS1_9scan_implILNS1_25lookback_scan_determinismE0ELb0ELb0ES3_N6thrust23THRUST_200600_302600_NS6detail15normal_iteratorINS9_10device_ptrIjEEEENSB_INSC_IfEEEEjNS9_4plusIvEEjEEDaPvRmT3_T4_T5_mT6_P12ihipStream_tbENKUlT_T0_E_clISt17integral_constantIbLb1EESW_EEDaSR_SS_EUlSR_E_NS1_11comp_targetILNS1_3genE2ELNS1_11target_archE906ELNS1_3gpuE6ELNS1_3repE0EEENS1_30default_config_static_selectorELNS0_4arch9wavefront6targetE1EEEvT1_.kd
    .uniform_work_group_size: 1
    .uses_dynamic_stack: false
    .vgpr_count:     0
    .vgpr_spill_count: 0
    .wavefront_size: 64
  - .agpr_count:     0
    .args:
      - .offset:         0
        .size:           96
        .value_kind:     by_value
    .group_segment_fixed_size: 0
    .kernarg_segment_align: 8
    .kernarg_segment_size: 96
    .language:       OpenCL C
    .language_version:
      - 2
      - 0
    .max_flat_workgroup_size: 256
    .name:           _ZN7rocprim17ROCPRIM_400000_NS6detail17trampoline_kernelINS0_14default_configENS1_20scan_config_selectorIjEEZZNS1_9scan_implILNS1_25lookback_scan_determinismE0ELb0ELb0ES3_N6thrust23THRUST_200600_302600_NS6detail15normal_iteratorINS9_10device_ptrIjEEEENSB_INSC_IfEEEEjNS9_4plusIvEEjEEDaPvRmT3_T4_T5_mT6_P12ihipStream_tbENKUlT_T0_E_clISt17integral_constantIbLb1EESW_EEDaSR_SS_EUlSR_E_NS1_11comp_targetILNS1_3genE10ELNS1_11target_archE1201ELNS1_3gpuE5ELNS1_3repE0EEENS1_30default_config_static_selectorELNS0_4arch9wavefront6targetE1EEEvT1_
    .private_segment_fixed_size: 0
    .sgpr_count:     4
    .sgpr_spill_count: 0
    .symbol:         _ZN7rocprim17ROCPRIM_400000_NS6detail17trampoline_kernelINS0_14default_configENS1_20scan_config_selectorIjEEZZNS1_9scan_implILNS1_25lookback_scan_determinismE0ELb0ELb0ES3_N6thrust23THRUST_200600_302600_NS6detail15normal_iteratorINS9_10device_ptrIjEEEENSB_INSC_IfEEEEjNS9_4plusIvEEjEEDaPvRmT3_T4_T5_mT6_P12ihipStream_tbENKUlT_T0_E_clISt17integral_constantIbLb1EESW_EEDaSR_SS_EUlSR_E_NS1_11comp_targetILNS1_3genE10ELNS1_11target_archE1201ELNS1_3gpuE5ELNS1_3repE0EEENS1_30default_config_static_selectorELNS0_4arch9wavefront6targetE1EEEvT1_.kd
    .uniform_work_group_size: 1
    .uses_dynamic_stack: false
    .vgpr_count:     0
    .vgpr_spill_count: 0
    .wavefront_size: 64
  - .agpr_count:     0
    .args:
      - .offset:         0
        .size:           96
        .value_kind:     by_value
    .group_segment_fixed_size: 0
    .kernarg_segment_align: 8
    .kernarg_segment_size: 96
    .language:       OpenCL C
    .language_version:
      - 2
      - 0
    .max_flat_workgroup_size: 256
    .name:           _ZN7rocprim17ROCPRIM_400000_NS6detail17trampoline_kernelINS0_14default_configENS1_20scan_config_selectorIjEEZZNS1_9scan_implILNS1_25lookback_scan_determinismE0ELb0ELb0ES3_N6thrust23THRUST_200600_302600_NS6detail15normal_iteratorINS9_10device_ptrIjEEEENSB_INSC_IfEEEEjNS9_4plusIvEEjEEDaPvRmT3_T4_T5_mT6_P12ihipStream_tbENKUlT_T0_E_clISt17integral_constantIbLb1EESW_EEDaSR_SS_EUlSR_E_NS1_11comp_targetILNS1_3genE10ELNS1_11target_archE1200ELNS1_3gpuE4ELNS1_3repE0EEENS1_30default_config_static_selectorELNS0_4arch9wavefront6targetE1EEEvT1_
    .private_segment_fixed_size: 0
    .sgpr_count:     4
    .sgpr_spill_count: 0
    .symbol:         _ZN7rocprim17ROCPRIM_400000_NS6detail17trampoline_kernelINS0_14default_configENS1_20scan_config_selectorIjEEZZNS1_9scan_implILNS1_25lookback_scan_determinismE0ELb0ELb0ES3_N6thrust23THRUST_200600_302600_NS6detail15normal_iteratorINS9_10device_ptrIjEEEENSB_INSC_IfEEEEjNS9_4plusIvEEjEEDaPvRmT3_T4_T5_mT6_P12ihipStream_tbENKUlT_T0_E_clISt17integral_constantIbLb1EESW_EEDaSR_SS_EUlSR_E_NS1_11comp_targetILNS1_3genE10ELNS1_11target_archE1200ELNS1_3gpuE4ELNS1_3repE0EEENS1_30default_config_static_selectorELNS0_4arch9wavefront6targetE1EEEvT1_.kd
    .uniform_work_group_size: 1
    .uses_dynamic_stack: false
    .vgpr_count:     0
    .vgpr_spill_count: 0
    .wavefront_size: 64
  - .agpr_count:     0
    .args:
      - .offset:         0
        .size:           96
        .value_kind:     by_value
    .group_segment_fixed_size: 0
    .kernarg_segment_align: 8
    .kernarg_segment_size: 96
    .language:       OpenCL C
    .language_version:
      - 2
      - 0
    .max_flat_workgroup_size: 256
    .name:           _ZN7rocprim17ROCPRIM_400000_NS6detail17trampoline_kernelINS0_14default_configENS1_20scan_config_selectorIjEEZZNS1_9scan_implILNS1_25lookback_scan_determinismE0ELb0ELb0ES3_N6thrust23THRUST_200600_302600_NS6detail15normal_iteratorINS9_10device_ptrIjEEEENSB_INSC_IfEEEEjNS9_4plusIvEEjEEDaPvRmT3_T4_T5_mT6_P12ihipStream_tbENKUlT_T0_E_clISt17integral_constantIbLb1EESW_EEDaSR_SS_EUlSR_E_NS1_11comp_targetILNS1_3genE9ELNS1_11target_archE1100ELNS1_3gpuE3ELNS1_3repE0EEENS1_30default_config_static_selectorELNS0_4arch9wavefront6targetE1EEEvT1_
    .private_segment_fixed_size: 0
    .sgpr_count:     4
    .sgpr_spill_count: 0
    .symbol:         _ZN7rocprim17ROCPRIM_400000_NS6detail17trampoline_kernelINS0_14default_configENS1_20scan_config_selectorIjEEZZNS1_9scan_implILNS1_25lookback_scan_determinismE0ELb0ELb0ES3_N6thrust23THRUST_200600_302600_NS6detail15normal_iteratorINS9_10device_ptrIjEEEENSB_INSC_IfEEEEjNS9_4plusIvEEjEEDaPvRmT3_T4_T5_mT6_P12ihipStream_tbENKUlT_T0_E_clISt17integral_constantIbLb1EESW_EEDaSR_SS_EUlSR_E_NS1_11comp_targetILNS1_3genE9ELNS1_11target_archE1100ELNS1_3gpuE3ELNS1_3repE0EEENS1_30default_config_static_selectorELNS0_4arch9wavefront6targetE1EEEvT1_.kd
    .uniform_work_group_size: 1
    .uses_dynamic_stack: false
    .vgpr_count:     0
    .vgpr_spill_count: 0
    .wavefront_size: 64
  - .agpr_count:     0
    .args:
      - .offset:         0
        .size:           96
        .value_kind:     by_value
    .group_segment_fixed_size: 0
    .kernarg_segment_align: 8
    .kernarg_segment_size: 96
    .language:       OpenCL C
    .language_version:
      - 2
      - 0
    .max_flat_workgroup_size: 64
    .name:           _ZN7rocprim17ROCPRIM_400000_NS6detail17trampoline_kernelINS0_14default_configENS1_20scan_config_selectorIjEEZZNS1_9scan_implILNS1_25lookback_scan_determinismE0ELb0ELb0ES3_N6thrust23THRUST_200600_302600_NS6detail15normal_iteratorINS9_10device_ptrIjEEEENSB_INSC_IfEEEEjNS9_4plusIvEEjEEDaPvRmT3_T4_T5_mT6_P12ihipStream_tbENKUlT_T0_E_clISt17integral_constantIbLb1EESW_EEDaSR_SS_EUlSR_E_NS1_11comp_targetILNS1_3genE8ELNS1_11target_archE1030ELNS1_3gpuE2ELNS1_3repE0EEENS1_30default_config_static_selectorELNS0_4arch9wavefront6targetE1EEEvT1_
    .private_segment_fixed_size: 0
    .sgpr_count:     4
    .sgpr_spill_count: 0
    .symbol:         _ZN7rocprim17ROCPRIM_400000_NS6detail17trampoline_kernelINS0_14default_configENS1_20scan_config_selectorIjEEZZNS1_9scan_implILNS1_25lookback_scan_determinismE0ELb0ELb0ES3_N6thrust23THRUST_200600_302600_NS6detail15normal_iteratorINS9_10device_ptrIjEEEENSB_INSC_IfEEEEjNS9_4plusIvEEjEEDaPvRmT3_T4_T5_mT6_P12ihipStream_tbENKUlT_T0_E_clISt17integral_constantIbLb1EESW_EEDaSR_SS_EUlSR_E_NS1_11comp_targetILNS1_3genE8ELNS1_11target_archE1030ELNS1_3gpuE2ELNS1_3repE0EEENS1_30default_config_static_selectorELNS0_4arch9wavefront6targetE1EEEvT1_.kd
    .uniform_work_group_size: 1
    .uses_dynamic_stack: false
    .vgpr_count:     0
    .vgpr_spill_count: 0
    .wavefront_size: 64
  - .agpr_count:     0
    .args:
      - .offset:         0
        .size:           32
        .value_kind:     by_value
    .group_segment_fixed_size: 0
    .kernarg_segment_align: 8
    .kernarg_segment_size: 32
    .language:       OpenCL C
    .language_version:
      - 2
      - 0
    .max_flat_workgroup_size: 256
    .name:           _ZN7rocprim17ROCPRIM_400000_NS6detail17trampoline_kernelINS0_14default_configENS1_20scan_config_selectorIjEEZZNS1_9scan_implILNS1_25lookback_scan_determinismE0ELb0ELb0ES3_N6thrust23THRUST_200600_302600_NS6detail15normal_iteratorINS9_10device_ptrIjEEEENSB_INSC_IfEEEEjNS9_4plusIvEEjEEDaPvRmT3_T4_T5_mT6_P12ihipStream_tbENKUlT_T0_E_clISt17integral_constantIbLb1EESW_EEDaSR_SS_EUlSR_E0_NS1_11comp_targetILNS1_3genE0ELNS1_11target_archE4294967295ELNS1_3gpuE0ELNS1_3repE0EEENS1_30default_config_static_selectorELNS0_4arch9wavefront6targetE1EEEvT1_
    .private_segment_fixed_size: 0
    .sgpr_count:     4
    .sgpr_spill_count: 0
    .symbol:         _ZN7rocprim17ROCPRIM_400000_NS6detail17trampoline_kernelINS0_14default_configENS1_20scan_config_selectorIjEEZZNS1_9scan_implILNS1_25lookback_scan_determinismE0ELb0ELb0ES3_N6thrust23THRUST_200600_302600_NS6detail15normal_iteratorINS9_10device_ptrIjEEEENSB_INSC_IfEEEEjNS9_4plusIvEEjEEDaPvRmT3_T4_T5_mT6_P12ihipStream_tbENKUlT_T0_E_clISt17integral_constantIbLb1EESW_EEDaSR_SS_EUlSR_E0_NS1_11comp_targetILNS1_3genE0ELNS1_11target_archE4294967295ELNS1_3gpuE0ELNS1_3repE0EEENS1_30default_config_static_selectorELNS0_4arch9wavefront6targetE1EEEvT1_.kd
    .uniform_work_group_size: 1
    .uses_dynamic_stack: false
    .vgpr_count:     0
    .vgpr_spill_count: 0
    .wavefront_size: 64
  - .agpr_count:     0
    .args:
      - .offset:         0
        .size:           32
        .value_kind:     by_value
    .group_segment_fixed_size: 0
    .kernarg_segment_align: 8
    .kernarg_segment_size: 32
    .language:       OpenCL C
    .language_version:
      - 2
      - 0
    .max_flat_workgroup_size: 256
    .name:           _ZN7rocprim17ROCPRIM_400000_NS6detail17trampoline_kernelINS0_14default_configENS1_20scan_config_selectorIjEEZZNS1_9scan_implILNS1_25lookback_scan_determinismE0ELb0ELb0ES3_N6thrust23THRUST_200600_302600_NS6detail15normal_iteratorINS9_10device_ptrIjEEEENSB_INSC_IfEEEEjNS9_4plusIvEEjEEDaPvRmT3_T4_T5_mT6_P12ihipStream_tbENKUlT_T0_E_clISt17integral_constantIbLb1EESW_EEDaSR_SS_EUlSR_E0_NS1_11comp_targetILNS1_3genE5ELNS1_11target_archE942ELNS1_3gpuE9ELNS1_3repE0EEENS1_30default_config_static_selectorELNS0_4arch9wavefront6targetE1EEEvT1_
    .private_segment_fixed_size: 0
    .sgpr_count:     4
    .sgpr_spill_count: 0
    .symbol:         _ZN7rocprim17ROCPRIM_400000_NS6detail17trampoline_kernelINS0_14default_configENS1_20scan_config_selectorIjEEZZNS1_9scan_implILNS1_25lookback_scan_determinismE0ELb0ELb0ES3_N6thrust23THRUST_200600_302600_NS6detail15normal_iteratorINS9_10device_ptrIjEEEENSB_INSC_IfEEEEjNS9_4plusIvEEjEEDaPvRmT3_T4_T5_mT6_P12ihipStream_tbENKUlT_T0_E_clISt17integral_constantIbLb1EESW_EEDaSR_SS_EUlSR_E0_NS1_11comp_targetILNS1_3genE5ELNS1_11target_archE942ELNS1_3gpuE9ELNS1_3repE0EEENS1_30default_config_static_selectorELNS0_4arch9wavefront6targetE1EEEvT1_.kd
    .uniform_work_group_size: 1
    .uses_dynamic_stack: false
    .vgpr_count:     0
    .vgpr_spill_count: 0
    .wavefront_size: 64
  - .agpr_count:     0
    .args:
      - .offset:         0
        .size:           32
        .value_kind:     by_value
    .group_segment_fixed_size: 5120
    .kernarg_segment_align: 8
    .kernarg_segment_size: 32
    .language:       OpenCL C
    .language_version:
      - 2
      - 0
    .max_flat_workgroup_size: 128
    .name:           _ZN7rocprim17ROCPRIM_400000_NS6detail17trampoline_kernelINS0_14default_configENS1_20scan_config_selectorIjEEZZNS1_9scan_implILNS1_25lookback_scan_determinismE0ELb0ELb0ES3_N6thrust23THRUST_200600_302600_NS6detail15normal_iteratorINS9_10device_ptrIjEEEENSB_INSC_IfEEEEjNS9_4plusIvEEjEEDaPvRmT3_T4_T5_mT6_P12ihipStream_tbENKUlT_T0_E_clISt17integral_constantIbLb1EESW_EEDaSR_SS_EUlSR_E0_NS1_11comp_targetILNS1_3genE4ELNS1_11target_archE910ELNS1_3gpuE8ELNS1_3repE0EEENS1_30default_config_static_selectorELNS0_4arch9wavefront6targetE1EEEvT1_
    .private_segment_fixed_size: 0
    .sgpr_count:     28
    .sgpr_spill_count: 0
    .symbol:         _ZN7rocprim17ROCPRIM_400000_NS6detail17trampoline_kernelINS0_14default_configENS1_20scan_config_selectorIjEEZZNS1_9scan_implILNS1_25lookback_scan_determinismE0ELb0ELb0ES3_N6thrust23THRUST_200600_302600_NS6detail15normal_iteratorINS9_10device_ptrIjEEEENSB_INSC_IfEEEEjNS9_4plusIvEEjEEDaPvRmT3_T4_T5_mT6_P12ihipStream_tbENKUlT_T0_E_clISt17integral_constantIbLb1EESW_EEDaSR_SS_EUlSR_E0_NS1_11comp_targetILNS1_3genE4ELNS1_11target_archE910ELNS1_3gpuE8ELNS1_3repE0EEENS1_30default_config_static_selectorELNS0_4arch9wavefront6targetE1EEEvT1_.kd
    .uniform_work_group_size: 1
    .uses_dynamic_stack: false
    .vgpr_count:     27
    .vgpr_spill_count: 0
    .wavefront_size: 64
  - .agpr_count:     0
    .args:
      - .offset:         0
        .size:           32
        .value_kind:     by_value
    .group_segment_fixed_size: 0
    .kernarg_segment_align: 8
    .kernarg_segment_size: 32
    .language:       OpenCL C
    .language_version:
      - 2
      - 0
    .max_flat_workgroup_size: 256
    .name:           _ZN7rocprim17ROCPRIM_400000_NS6detail17trampoline_kernelINS0_14default_configENS1_20scan_config_selectorIjEEZZNS1_9scan_implILNS1_25lookback_scan_determinismE0ELb0ELb0ES3_N6thrust23THRUST_200600_302600_NS6detail15normal_iteratorINS9_10device_ptrIjEEEENSB_INSC_IfEEEEjNS9_4plusIvEEjEEDaPvRmT3_T4_T5_mT6_P12ihipStream_tbENKUlT_T0_E_clISt17integral_constantIbLb1EESW_EEDaSR_SS_EUlSR_E0_NS1_11comp_targetILNS1_3genE3ELNS1_11target_archE908ELNS1_3gpuE7ELNS1_3repE0EEENS1_30default_config_static_selectorELNS0_4arch9wavefront6targetE1EEEvT1_
    .private_segment_fixed_size: 0
    .sgpr_count:     4
    .sgpr_spill_count: 0
    .symbol:         _ZN7rocprim17ROCPRIM_400000_NS6detail17trampoline_kernelINS0_14default_configENS1_20scan_config_selectorIjEEZZNS1_9scan_implILNS1_25lookback_scan_determinismE0ELb0ELb0ES3_N6thrust23THRUST_200600_302600_NS6detail15normal_iteratorINS9_10device_ptrIjEEEENSB_INSC_IfEEEEjNS9_4plusIvEEjEEDaPvRmT3_T4_T5_mT6_P12ihipStream_tbENKUlT_T0_E_clISt17integral_constantIbLb1EESW_EEDaSR_SS_EUlSR_E0_NS1_11comp_targetILNS1_3genE3ELNS1_11target_archE908ELNS1_3gpuE7ELNS1_3repE0EEENS1_30default_config_static_selectorELNS0_4arch9wavefront6targetE1EEEvT1_.kd
    .uniform_work_group_size: 1
    .uses_dynamic_stack: false
    .vgpr_count:     0
    .vgpr_spill_count: 0
    .wavefront_size: 64
  - .agpr_count:     0
    .args:
      - .offset:         0
        .size:           32
        .value_kind:     by_value
    .group_segment_fixed_size: 0
    .kernarg_segment_align: 8
    .kernarg_segment_size: 32
    .language:       OpenCL C
    .language_version:
      - 2
      - 0
    .max_flat_workgroup_size: 256
    .name:           _ZN7rocprim17ROCPRIM_400000_NS6detail17trampoline_kernelINS0_14default_configENS1_20scan_config_selectorIjEEZZNS1_9scan_implILNS1_25lookback_scan_determinismE0ELb0ELb0ES3_N6thrust23THRUST_200600_302600_NS6detail15normal_iteratorINS9_10device_ptrIjEEEENSB_INSC_IfEEEEjNS9_4plusIvEEjEEDaPvRmT3_T4_T5_mT6_P12ihipStream_tbENKUlT_T0_E_clISt17integral_constantIbLb1EESW_EEDaSR_SS_EUlSR_E0_NS1_11comp_targetILNS1_3genE2ELNS1_11target_archE906ELNS1_3gpuE6ELNS1_3repE0EEENS1_30default_config_static_selectorELNS0_4arch9wavefront6targetE1EEEvT1_
    .private_segment_fixed_size: 0
    .sgpr_count:     4
    .sgpr_spill_count: 0
    .symbol:         _ZN7rocprim17ROCPRIM_400000_NS6detail17trampoline_kernelINS0_14default_configENS1_20scan_config_selectorIjEEZZNS1_9scan_implILNS1_25lookback_scan_determinismE0ELb0ELb0ES3_N6thrust23THRUST_200600_302600_NS6detail15normal_iteratorINS9_10device_ptrIjEEEENSB_INSC_IfEEEEjNS9_4plusIvEEjEEDaPvRmT3_T4_T5_mT6_P12ihipStream_tbENKUlT_T0_E_clISt17integral_constantIbLb1EESW_EEDaSR_SS_EUlSR_E0_NS1_11comp_targetILNS1_3genE2ELNS1_11target_archE906ELNS1_3gpuE6ELNS1_3repE0EEENS1_30default_config_static_selectorELNS0_4arch9wavefront6targetE1EEEvT1_.kd
    .uniform_work_group_size: 1
    .uses_dynamic_stack: false
    .vgpr_count:     0
    .vgpr_spill_count: 0
    .wavefront_size: 64
  - .agpr_count:     0
    .args:
      - .offset:         0
        .size:           32
        .value_kind:     by_value
    .group_segment_fixed_size: 0
    .kernarg_segment_align: 8
    .kernarg_segment_size: 32
    .language:       OpenCL C
    .language_version:
      - 2
      - 0
    .max_flat_workgroup_size: 256
    .name:           _ZN7rocprim17ROCPRIM_400000_NS6detail17trampoline_kernelINS0_14default_configENS1_20scan_config_selectorIjEEZZNS1_9scan_implILNS1_25lookback_scan_determinismE0ELb0ELb0ES3_N6thrust23THRUST_200600_302600_NS6detail15normal_iteratorINS9_10device_ptrIjEEEENSB_INSC_IfEEEEjNS9_4plusIvEEjEEDaPvRmT3_T4_T5_mT6_P12ihipStream_tbENKUlT_T0_E_clISt17integral_constantIbLb1EESW_EEDaSR_SS_EUlSR_E0_NS1_11comp_targetILNS1_3genE10ELNS1_11target_archE1201ELNS1_3gpuE5ELNS1_3repE0EEENS1_30default_config_static_selectorELNS0_4arch9wavefront6targetE1EEEvT1_
    .private_segment_fixed_size: 0
    .sgpr_count:     4
    .sgpr_spill_count: 0
    .symbol:         _ZN7rocprim17ROCPRIM_400000_NS6detail17trampoline_kernelINS0_14default_configENS1_20scan_config_selectorIjEEZZNS1_9scan_implILNS1_25lookback_scan_determinismE0ELb0ELb0ES3_N6thrust23THRUST_200600_302600_NS6detail15normal_iteratorINS9_10device_ptrIjEEEENSB_INSC_IfEEEEjNS9_4plusIvEEjEEDaPvRmT3_T4_T5_mT6_P12ihipStream_tbENKUlT_T0_E_clISt17integral_constantIbLb1EESW_EEDaSR_SS_EUlSR_E0_NS1_11comp_targetILNS1_3genE10ELNS1_11target_archE1201ELNS1_3gpuE5ELNS1_3repE0EEENS1_30default_config_static_selectorELNS0_4arch9wavefront6targetE1EEEvT1_.kd
    .uniform_work_group_size: 1
    .uses_dynamic_stack: false
    .vgpr_count:     0
    .vgpr_spill_count: 0
    .wavefront_size: 64
  - .agpr_count:     0
    .args:
      - .offset:         0
        .size:           32
        .value_kind:     by_value
    .group_segment_fixed_size: 0
    .kernarg_segment_align: 8
    .kernarg_segment_size: 32
    .language:       OpenCL C
    .language_version:
      - 2
      - 0
    .max_flat_workgroup_size: 256
    .name:           _ZN7rocprim17ROCPRIM_400000_NS6detail17trampoline_kernelINS0_14default_configENS1_20scan_config_selectorIjEEZZNS1_9scan_implILNS1_25lookback_scan_determinismE0ELb0ELb0ES3_N6thrust23THRUST_200600_302600_NS6detail15normal_iteratorINS9_10device_ptrIjEEEENSB_INSC_IfEEEEjNS9_4plusIvEEjEEDaPvRmT3_T4_T5_mT6_P12ihipStream_tbENKUlT_T0_E_clISt17integral_constantIbLb1EESW_EEDaSR_SS_EUlSR_E0_NS1_11comp_targetILNS1_3genE10ELNS1_11target_archE1200ELNS1_3gpuE4ELNS1_3repE0EEENS1_30default_config_static_selectorELNS0_4arch9wavefront6targetE1EEEvT1_
    .private_segment_fixed_size: 0
    .sgpr_count:     4
    .sgpr_spill_count: 0
    .symbol:         _ZN7rocprim17ROCPRIM_400000_NS6detail17trampoline_kernelINS0_14default_configENS1_20scan_config_selectorIjEEZZNS1_9scan_implILNS1_25lookback_scan_determinismE0ELb0ELb0ES3_N6thrust23THRUST_200600_302600_NS6detail15normal_iteratorINS9_10device_ptrIjEEEENSB_INSC_IfEEEEjNS9_4plusIvEEjEEDaPvRmT3_T4_T5_mT6_P12ihipStream_tbENKUlT_T0_E_clISt17integral_constantIbLb1EESW_EEDaSR_SS_EUlSR_E0_NS1_11comp_targetILNS1_3genE10ELNS1_11target_archE1200ELNS1_3gpuE4ELNS1_3repE0EEENS1_30default_config_static_selectorELNS0_4arch9wavefront6targetE1EEEvT1_.kd
    .uniform_work_group_size: 1
    .uses_dynamic_stack: false
    .vgpr_count:     0
    .vgpr_spill_count: 0
    .wavefront_size: 64
  - .agpr_count:     0
    .args:
      - .offset:         0
        .size:           32
        .value_kind:     by_value
    .group_segment_fixed_size: 0
    .kernarg_segment_align: 8
    .kernarg_segment_size: 32
    .language:       OpenCL C
    .language_version:
      - 2
      - 0
    .max_flat_workgroup_size: 256
    .name:           _ZN7rocprim17ROCPRIM_400000_NS6detail17trampoline_kernelINS0_14default_configENS1_20scan_config_selectorIjEEZZNS1_9scan_implILNS1_25lookback_scan_determinismE0ELb0ELb0ES3_N6thrust23THRUST_200600_302600_NS6detail15normal_iteratorINS9_10device_ptrIjEEEENSB_INSC_IfEEEEjNS9_4plusIvEEjEEDaPvRmT3_T4_T5_mT6_P12ihipStream_tbENKUlT_T0_E_clISt17integral_constantIbLb1EESW_EEDaSR_SS_EUlSR_E0_NS1_11comp_targetILNS1_3genE9ELNS1_11target_archE1100ELNS1_3gpuE3ELNS1_3repE0EEENS1_30default_config_static_selectorELNS0_4arch9wavefront6targetE1EEEvT1_
    .private_segment_fixed_size: 0
    .sgpr_count:     4
    .sgpr_spill_count: 0
    .symbol:         _ZN7rocprim17ROCPRIM_400000_NS6detail17trampoline_kernelINS0_14default_configENS1_20scan_config_selectorIjEEZZNS1_9scan_implILNS1_25lookback_scan_determinismE0ELb0ELb0ES3_N6thrust23THRUST_200600_302600_NS6detail15normal_iteratorINS9_10device_ptrIjEEEENSB_INSC_IfEEEEjNS9_4plusIvEEjEEDaPvRmT3_T4_T5_mT6_P12ihipStream_tbENKUlT_T0_E_clISt17integral_constantIbLb1EESW_EEDaSR_SS_EUlSR_E0_NS1_11comp_targetILNS1_3genE9ELNS1_11target_archE1100ELNS1_3gpuE3ELNS1_3repE0EEENS1_30default_config_static_selectorELNS0_4arch9wavefront6targetE1EEEvT1_.kd
    .uniform_work_group_size: 1
    .uses_dynamic_stack: false
    .vgpr_count:     0
    .vgpr_spill_count: 0
    .wavefront_size: 64
  - .agpr_count:     0
    .args:
      - .offset:         0
        .size:           32
        .value_kind:     by_value
    .group_segment_fixed_size: 0
    .kernarg_segment_align: 8
    .kernarg_segment_size: 32
    .language:       OpenCL C
    .language_version:
      - 2
      - 0
    .max_flat_workgroup_size: 64
    .name:           _ZN7rocprim17ROCPRIM_400000_NS6detail17trampoline_kernelINS0_14default_configENS1_20scan_config_selectorIjEEZZNS1_9scan_implILNS1_25lookback_scan_determinismE0ELb0ELb0ES3_N6thrust23THRUST_200600_302600_NS6detail15normal_iteratorINS9_10device_ptrIjEEEENSB_INSC_IfEEEEjNS9_4plusIvEEjEEDaPvRmT3_T4_T5_mT6_P12ihipStream_tbENKUlT_T0_E_clISt17integral_constantIbLb1EESW_EEDaSR_SS_EUlSR_E0_NS1_11comp_targetILNS1_3genE8ELNS1_11target_archE1030ELNS1_3gpuE2ELNS1_3repE0EEENS1_30default_config_static_selectorELNS0_4arch9wavefront6targetE1EEEvT1_
    .private_segment_fixed_size: 0
    .sgpr_count:     4
    .sgpr_spill_count: 0
    .symbol:         _ZN7rocprim17ROCPRIM_400000_NS6detail17trampoline_kernelINS0_14default_configENS1_20scan_config_selectorIjEEZZNS1_9scan_implILNS1_25lookback_scan_determinismE0ELb0ELb0ES3_N6thrust23THRUST_200600_302600_NS6detail15normal_iteratorINS9_10device_ptrIjEEEENSB_INSC_IfEEEEjNS9_4plusIvEEjEEDaPvRmT3_T4_T5_mT6_P12ihipStream_tbENKUlT_T0_E_clISt17integral_constantIbLb1EESW_EEDaSR_SS_EUlSR_E0_NS1_11comp_targetILNS1_3genE8ELNS1_11target_archE1030ELNS1_3gpuE2ELNS1_3repE0EEENS1_30default_config_static_selectorELNS0_4arch9wavefront6targetE1EEEvT1_.kd
    .uniform_work_group_size: 1
    .uses_dynamic_stack: false
    .vgpr_count:     0
    .vgpr_spill_count: 0
    .wavefront_size: 64
  - .agpr_count:     0
    .args:
      - .offset:         0
        .size:           96
        .value_kind:     by_value
    .group_segment_fixed_size: 0
    .kernarg_segment_align: 8
    .kernarg_segment_size: 96
    .language:       OpenCL C
    .language_version:
      - 2
      - 0
    .max_flat_workgroup_size: 256
    .name:           _ZN7rocprim17ROCPRIM_400000_NS6detail17trampoline_kernelINS0_14default_configENS1_20scan_config_selectorIjEEZZNS1_9scan_implILNS1_25lookback_scan_determinismE0ELb0ELb0ES3_N6thrust23THRUST_200600_302600_NS6detail15normal_iteratorINS9_10device_ptrIjEEEENSB_INSC_IfEEEEjNS9_4plusIvEEjEEDaPvRmT3_T4_T5_mT6_P12ihipStream_tbENKUlT_T0_E_clISt17integral_constantIbLb1EESV_IbLb0EEEEDaSR_SS_EUlSR_E_NS1_11comp_targetILNS1_3genE0ELNS1_11target_archE4294967295ELNS1_3gpuE0ELNS1_3repE0EEENS1_30default_config_static_selectorELNS0_4arch9wavefront6targetE1EEEvT1_
    .private_segment_fixed_size: 0
    .sgpr_count:     4
    .sgpr_spill_count: 0
    .symbol:         _ZN7rocprim17ROCPRIM_400000_NS6detail17trampoline_kernelINS0_14default_configENS1_20scan_config_selectorIjEEZZNS1_9scan_implILNS1_25lookback_scan_determinismE0ELb0ELb0ES3_N6thrust23THRUST_200600_302600_NS6detail15normal_iteratorINS9_10device_ptrIjEEEENSB_INSC_IfEEEEjNS9_4plusIvEEjEEDaPvRmT3_T4_T5_mT6_P12ihipStream_tbENKUlT_T0_E_clISt17integral_constantIbLb1EESV_IbLb0EEEEDaSR_SS_EUlSR_E_NS1_11comp_targetILNS1_3genE0ELNS1_11target_archE4294967295ELNS1_3gpuE0ELNS1_3repE0EEENS1_30default_config_static_selectorELNS0_4arch9wavefront6targetE1EEEvT1_.kd
    .uniform_work_group_size: 1
    .uses_dynamic_stack: false
    .vgpr_count:     0
    .vgpr_spill_count: 0
    .wavefront_size: 64
  - .agpr_count:     0
    .args:
      - .offset:         0
        .size:           96
        .value_kind:     by_value
    .group_segment_fixed_size: 0
    .kernarg_segment_align: 8
    .kernarg_segment_size: 96
    .language:       OpenCL C
    .language_version:
      - 2
      - 0
    .max_flat_workgroup_size: 256
    .name:           _ZN7rocprim17ROCPRIM_400000_NS6detail17trampoline_kernelINS0_14default_configENS1_20scan_config_selectorIjEEZZNS1_9scan_implILNS1_25lookback_scan_determinismE0ELb0ELb0ES3_N6thrust23THRUST_200600_302600_NS6detail15normal_iteratorINS9_10device_ptrIjEEEENSB_INSC_IfEEEEjNS9_4plusIvEEjEEDaPvRmT3_T4_T5_mT6_P12ihipStream_tbENKUlT_T0_E_clISt17integral_constantIbLb1EESV_IbLb0EEEEDaSR_SS_EUlSR_E_NS1_11comp_targetILNS1_3genE5ELNS1_11target_archE942ELNS1_3gpuE9ELNS1_3repE0EEENS1_30default_config_static_selectorELNS0_4arch9wavefront6targetE1EEEvT1_
    .private_segment_fixed_size: 0
    .sgpr_count:     4
    .sgpr_spill_count: 0
    .symbol:         _ZN7rocprim17ROCPRIM_400000_NS6detail17trampoline_kernelINS0_14default_configENS1_20scan_config_selectorIjEEZZNS1_9scan_implILNS1_25lookback_scan_determinismE0ELb0ELb0ES3_N6thrust23THRUST_200600_302600_NS6detail15normal_iteratorINS9_10device_ptrIjEEEENSB_INSC_IfEEEEjNS9_4plusIvEEjEEDaPvRmT3_T4_T5_mT6_P12ihipStream_tbENKUlT_T0_E_clISt17integral_constantIbLb1EESV_IbLb0EEEEDaSR_SS_EUlSR_E_NS1_11comp_targetILNS1_3genE5ELNS1_11target_archE942ELNS1_3gpuE9ELNS1_3repE0EEENS1_30default_config_static_selectorELNS0_4arch9wavefront6targetE1EEEvT1_.kd
    .uniform_work_group_size: 1
    .uses_dynamic_stack: false
    .vgpr_count:     0
    .vgpr_spill_count: 0
    .wavefront_size: 64
  - .agpr_count:     0
    .args:
      - .offset:         0
        .size:           96
        .value_kind:     by_value
    .group_segment_fixed_size: 5120
    .kernarg_segment_align: 8
    .kernarg_segment_size: 96
    .language:       OpenCL C
    .language_version:
      - 2
      - 0
    .max_flat_workgroup_size: 128
    .name:           _ZN7rocprim17ROCPRIM_400000_NS6detail17trampoline_kernelINS0_14default_configENS1_20scan_config_selectorIjEEZZNS1_9scan_implILNS1_25lookback_scan_determinismE0ELb0ELb0ES3_N6thrust23THRUST_200600_302600_NS6detail15normal_iteratorINS9_10device_ptrIjEEEENSB_INSC_IfEEEEjNS9_4plusIvEEjEEDaPvRmT3_T4_T5_mT6_P12ihipStream_tbENKUlT_T0_E_clISt17integral_constantIbLb1EESV_IbLb0EEEEDaSR_SS_EUlSR_E_NS1_11comp_targetILNS1_3genE4ELNS1_11target_archE910ELNS1_3gpuE8ELNS1_3repE0EEENS1_30default_config_static_selectorELNS0_4arch9wavefront6targetE1EEEvT1_
    .private_segment_fixed_size: 0
    .sgpr_count:     32
    .sgpr_spill_count: 0
    .symbol:         _ZN7rocprim17ROCPRIM_400000_NS6detail17trampoline_kernelINS0_14default_configENS1_20scan_config_selectorIjEEZZNS1_9scan_implILNS1_25lookback_scan_determinismE0ELb0ELb0ES3_N6thrust23THRUST_200600_302600_NS6detail15normal_iteratorINS9_10device_ptrIjEEEENSB_INSC_IfEEEEjNS9_4plusIvEEjEEDaPvRmT3_T4_T5_mT6_P12ihipStream_tbENKUlT_T0_E_clISt17integral_constantIbLb1EESV_IbLb0EEEEDaSR_SS_EUlSR_E_NS1_11comp_targetILNS1_3genE4ELNS1_11target_archE910ELNS1_3gpuE8ELNS1_3repE0EEENS1_30default_config_static_selectorELNS0_4arch9wavefront6targetE1EEEvT1_.kd
    .uniform_work_group_size: 1
    .uses_dynamic_stack: false
    .vgpr_count:     40
    .vgpr_spill_count: 0
    .wavefront_size: 64
  - .agpr_count:     0
    .args:
      - .offset:         0
        .size:           96
        .value_kind:     by_value
    .group_segment_fixed_size: 0
    .kernarg_segment_align: 8
    .kernarg_segment_size: 96
    .language:       OpenCL C
    .language_version:
      - 2
      - 0
    .max_flat_workgroup_size: 256
    .name:           _ZN7rocprim17ROCPRIM_400000_NS6detail17trampoline_kernelINS0_14default_configENS1_20scan_config_selectorIjEEZZNS1_9scan_implILNS1_25lookback_scan_determinismE0ELb0ELb0ES3_N6thrust23THRUST_200600_302600_NS6detail15normal_iteratorINS9_10device_ptrIjEEEENSB_INSC_IfEEEEjNS9_4plusIvEEjEEDaPvRmT3_T4_T5_mT6_P12ihipStream_tbENKUlT_T0_E_clISt17integral_constantIbLb1EESV_IbLb0EEEEDaSR_SS_EUlSR_E_NS1_11comp_targetILNS1_3genE3ELNS1_11target_archE908ELNS1_3gpuE7ELNS1_3repE0EEENS1_30default_config_static_selectorELNS0_4arch9wavefront6targetE1EEEvT1_
    .private_segment_fixed_size: 0
    .sgpr_count:     4
    .sgpr_spill_count: 0
    .symbol:         _ZN7rocprim17ROCPRIM_400000_NS6detail17trampoline_kernelINS0_14default_configENS1_20scan_config_selectorIjEEZZNS1_9scan_implILNS1_25lookback_scan_determinismE0ELb0ELb0ES3_N6thrust23THRUST_200600_302600_NS6detail15normal_iteratorINS9_10device_ptrIjEEEENSB_INSC_IfEEEEjNS9_4plusIvEEjEEDaPvRmT3_T4_T5_mT6_P12ihipStream_tbENKUlT_T0_E_clISt17integral_constantIbLb1EESV_IbLb0EEEEDaSR_SS_EUlSR_E_NS1_11comp_targetILNS1_3genE3ELNS1_11target_archE908ELNS1_3gpuE7ELNS1_3repE0EEENS1_30default_config_static_selectorELNS0_4arch9wavefront6targetE1EEEvT1_.kd
    .uniform_work_group_size: 1
    .uses_dynamic_stack: false
    .vgpr_count:     0
    .vgpr_spill_count: 0
    .wavefront_size: 64
  - .agpr_count:     0
    .args:
      - .offset:         0
        .size:           96
        .value_kind:     by_value
    .group_segment_fixed_size: 0
    .kernarg_segment_align: 8
    .kernarg_segment_size: 96
    .language:       OpenCL C
    .language_version:
      - 2
      - 0
    .max_flat_workgroup_size: 256
    .name:           _ZN7rocprim17ROCPRIM_400000_NS6detail17trampoline_kernelINS0_14default_configENS1_20scan_config_selectorIjEEZZNS1_9scan_implILNS1_25lookback_scan_determinismE0ELb0ELb0ES3_N6thrust23THRUST_200600_302600_NS6detail15normal_iteratorINS9_10device_ptrIjEEEENSB_INSC_IfEEEEjNS9_4plusIvEEjEEDaPvRmT3_T4_T5_mT6_P12ihipStream_tbENKUlT_T0_E_clISt17integral_constantIbLb1EESV_IbLb0EEEEDaSR_SS_EUlSR_E_NS1_11comp_targetILNS1_3genE2ELNS1_11target_archE906ELNS1_3gpuE6ELNS1_3repE0EEENS1_30default_config_static_selectorELNS0_4arch9wavefront6targetE1EEEvT1_
    .private_segment_fixed_size: 0
    .sgpr_count:     4
    .sgpr_spill_count: 0
    .symbol:         _ZN7rocprim17ROCPRIM_400000_NS6detail17trampoline_kernelINS0_14default_configENS1_20scan_config_selectorIjEEZZNS1_9scan_implILNS1_25lookback_scan_determinismE0ELb0ELb0ES3_N6thrust23THRUST_200600_302600_NS6detail15normal_iteratorINS9_10device_ptrIjEEEENSB_INSC_IfEEEEjNS9_4plusIvEEjEEDaPvRmT3_T4_T5_mT6_P12ihipStream_tbENKUlT_T0_E_clISt17integral_constantIbLb1EESV_IbLb0EEEEDaSR_SS_EUlSR_E_NS1_11comp_targetILNS1_3genE2ELNS1_11target_archE906ELNS1_3gpuE6ELNS1_3repE0EEENS1_30default_config_static_selectorELNS0_4arch9wavefront6targetE1EEEvT1_.kd
    .uniform_work_group_size: 1
    .uses_dynamic_stack: false
    .vgpr_count:     0
    .vgpr_spill_count: 0
    .wavefront_size: 64
  - .agpr_count:     0
    .args:
      - .offset:         0
        .size:           96
        .value_kind:     by_value
    .group_segment_fixed_size: 0
    .kernarg_segment_align: 8
    .kernarg_segment_size: 96
    .language:       OpenCL C
    .language_version:
      - 2
      - 0
    .max_flat_workgroup_size: 256
    .name:           _ZN7rocprim17ROCPRIM_400000_NS6detail17trampoline_kernelINS0_14default_configENS1_20scan_config_selectorIjEEZZNS1_9scan_implILNS1_25lookback_scan_determinismE0ELb0ELb0ES3_N6thrust23THRUST_200600_302600_NS6detail15normal_iteratorINS9_10device_ptrIjEEEENSB_INSC_IfEEEEjNS9_4plusIvEEjEEDaPvRmT3_T4_T5_mT6_P12ihipStream_tbENKUlT_T0_E_clISt17integral_constantIbLb1EESV_IbLb0EEEEDaSR_SS_EUlSR_E_NS1_11comp_targetILNS1_3genE10ELNS1_11target_archE1201ELNS1_3gpuE5ELNS1_3repE0EEENS1_30default_config_static_selectorELNS0_4arch9wavefront6targetE1EEEvT1_
    .private_segment_fixed_size: 0
    .sgpr_count:     4
    .sgpr_spill_count: 0
    .symbol:         _ZN7rocprim17ROCPRIM_400000_NS6detail17trampoline_kernelINS0_14default_configENS1_20scan_config_selectorIjEEZZNS1_9scan_implILNS1_25lookback_scan_determinismE0ELb0ELb0ES3_N6thrust23THRUST_200600_302600_NS6detail15normal_iteratorINS9_10device_ptrIjEEEENSB_INSC_IfEEEEjNS9_4plusIvEEjEEDaPvRmT3_T4_T5_mT6_P12ihipStream_tbENKUlT_T0_E_clISt17integral_constantIbLb1EESV_IbLb0EEEEDaSR_SS_EUlSR_E_NS1_11comp_targetILNS1_3genE10ELNS1_11target_archE1201ELNS1_3gpuE5ELNS1_3repE0EEENS1_30default_config_static_selectorELNS0_4arch9wavefront6targetE1EEEvT1_.kd
    .uniform_work_group_size: 1
    .uses_dynamic_stack: false
    .vgpr_count:     0
    .vgpr_spill_count: 0
    .wavefront_size: 64
  - .agpr_count:     0
    .args:
      - .offset:         0
        .size:           96
        .value_kind:     by_value
    .group_segment_fixed_size: 0
    .kernarg_segment_align: 8
    .kernarg_segment_size: 96
    .language:       OpenCL C
    .language_version:
      - 2
      - 0
    .max_flat_workgroup_size: 256
    .name:           _ZN7rocprim17ROCPRIM_400000_NS6detail17trampoline_kernelINS0_14default_configENS1_20scan_config_selectorIjEEZZNS1_9scan_implILNS1_25lookback_scan_determinismE0ELb0ELb0ES3_N6thrust23THRUST_200600_302600_NS6detail15normal_iteratorINS9_10device_ptrIjEEEENSB_INSC_IfEEEEjNS9_4plusIvEEjEEDaPvRmT3_T4_T5_mT6_P12ihipStream_tbENKUlT_T0_E_clISt17integral_constantIbLb1EESV_IbLb0EEEEDaSR_SS_EUlSR_E_NS1_11comp_targetILNS1_3genE10ELNS1_11target_archE1200ELNS1_3gpuE4ELNS1_3repE0EEENS1_30default_config_static_selectorELNS0_4arch9wavefront6targetE1EEEvT1_
    .private_segment_fixed_size: 0
    .sgpr_count:     4
    .sgpr_spill_count: 0
    .symbol:         _ZN7rocprim17ROCPRIM_400000_NS6detail17trampoline_kernelINS0_14default_configENS1_20scan_config_selectorIjEEZZNS1_9scan_implILNS1_25lookback_scan_determinismE0ELb0ELb0ES3_N6thrust23THRUST_200600_302600_NS6detail15normal_iteratorINS9_10device_ptrIjEEEENSB_INSC_IfEEEEjNS9_4plusIvEEjEEDaPvRmT3_T4_T5_mT6_P12ihipStream_tbENKUlT_T0_E_clISt17integral_constantIbLb1EESV_IbLb0EEEEDaSR_SS_EUlSR_E_NS1_11comp_targetILNS1_3genE10ELNS1_11target_archE1200ELNS1_3gpuE4ELNS1_3repE0EEENS1_30default_config_static_selectorELNS0_4arch9wavefront6targetE1EEEvT1_.kd
    .uniform_work_group_size: 1
    .uses_dynamic_stack: false
    .vgpr_count:     0
    .vgpr_spill_count: 0
    .wavefront_size: 64
  - .agpr_count:     0
    .args:
      - .offset:         0
        .size:           96
        .value_kind:     by_value
    .group_segment_fixed_size: 0
    .kernarg_segment_align: 8
    .kernarg_segment_size: 96
    .language:       OpenCL C
    .language_version:
      - 2
      - 0
    .max_flat_workgroup_size: 256
    .name:           _ZN7rocprim17ROCPRIM_400000_NS6detail17trampoline_kernelINS0_14default_configENS1_20scan_config_selectorIjEEZZNS1_9scan_implILNS1_25lookback_scan_determinismE0ELb0ELb0ES3_N6thrust23THRUST_200600_302600_NS6detail15normal_iteratorINS9_10device_ptrIjEEEENSB_INSC_IfEEEEjNS9_4plusIvEEjEEDaPvRmT3_T4_T5_mT6_P12ihipStream_tbENKUlT_T0_E_clISt17integral_constantIbLb1EESV_IbLb0EEEEDaSR_SS_EUlSR_E_NS1_11comp_targetILNS1_3genE9ELNS1_11target_archE1100ELNS1_3gpuE3ELNS1_3repE0EEENS1_30default_config_static_selectorELNS0_4arch9wavefront6targetE1EEEvT1_
    .private_segment_fixed_size: 0
    .sgpr_count:     4
    .sgpr_spill_count: 0
    .symbol:         _ZN7rocprim17ROCPRIM_400000_NS6detail17trampoline_kernelINS0_14default_configENS1_20scan_config_selectorIjEEZZNS1_9scan_implILNS1_25lookback_scan_determinismE0ELb0ELb0ES3_N6thrust23THRUST_200600_302600_NS6detail15normal_iteratorINS9_10device_ptrIjEEEENSB_INSC_IfEEEEjNS9_4plusIvEEjEEDaPvRmT3_T4_T5_mT6_P12ihipStream_tbENKUlT_T0_E_clISt17integral_constantIbLb1EESV_IbLb0EEEEDaSR_SS_EUlSR_E_NS1_11comp_targetILNS1_3genE9ELNS1_11target_archE1100ELNS1_3gpuE3ELNS1_3repE0EEENS1_30default_config_static_selectorELNS0_4arch9wavefront6targetE1EEEvT1_.kd
    .uniform_work_group_size: 1
    .uses_dynamic_stack: false
    .vgpr_count:     0
    .vgpr_spill_count: 0
    .wavefront_size: 64
  - .agpr_count:     0
    .args:
      - .offset:         0
        .size:           96
        .value_kind:     by_value
    .group_segment_fixed_size: 0
    .kernarg_segment_align: 8
    .kernarg_segment_size: 96
    .language:       OpenCL C
    .language_version:
      - 2
      - 0
    .max_flat_workgroup_size: 64
    .name:           _ZN7rocprim17ROCPRIM_400000_NS6detail17trampoline_kernelINS0_14default_configENS1_20scan_config_selectorIjEEZZNS1_9scan_implILNS1_25lookback_scan_determinismE0ELb0ELb0ES3_N6thrust23THRUST_200600_302600_NS6detail15normal_iteratorINS9_10device_ptrIjEEEENSB_INSC_IfEEEEjNS9_4plusIvEEjEEDaPvRmT3_T4_T5_mT6_P12ihipStream_tbENKUlT_T0_E_clISt17integral_constantIbLb1EESV_IbLb0EEEEDaSR_SS_EUlSR_E_NS1_11comp_targetILNS1_3genE8ELNS1_11target_archE1030ELNS1_3gpuE2ELNS1_3repE0EEENS1_30default_config_static_selectorELNS0_4arch9wavefront6targetE1EEEvT1_
    .private_segment_fixed_size: 0
    .sgpr_count:     4
    .sgpr_spill_count: 0
    .symbol:         _ZN7rocprim17ROCPRIM_400000_NS6detail17trampoline_kernelINS0_14default_configENS1_20scan_config_selectorIjEEZZNS1_9scan_implILNS1_25lookback_scan_determinismE0ELb0ELb0ES3_N6thrust23THRUST_200600_302600_NS6detail15normal_iteratorINS9_10device_ptrIjEEEENSB_INSC_IfEEEEjNS9_4plusIvEEjEEDaPvRmT3_T4_T5_mT6_P12ihipStream_tbENKUlT_T0_E_clISt17integral_constantIbLb1EESV_IbLb0EEEEDaSR_SS_EUlSR_E_NS1_11comp_targetILNS1_3genE8ELNS1_11target_archE1030ELNS1_3gpuE2ELNS1_3repE0EEENS1_30default_config_static_selectorELNS0_4arch9wavefront6targetE1EEEvT1_.kd
    .uniform_work_group_size: 1
    .uses_dynamic_stack: false
    .vgpr_count:     0
    .vgpr_spill_count: 0
    .wavefront_size: 64
  - .agpr_count:     0
    .args:
      - .offset:         0
        .size:           32
        .value_kind:     by_value
    .group_segment_fixed_size: 0
    .kernarg_segment_align: 8
    .kernarg_segment_size: 32
    .language:       OpenCL C
    .language_version:
      - 2
      - 0
    .max_flat_workgroup_size: 256
    .name:           _ZN7rocprim17ROCPRIM_400000_NS6detail17trampoline_kernelINS0_14default_configENS1_20scan_config_selectorIjEEZZNS1_9scan_implILNS1_25lookback_scan_determinismE0ELb0ELb0ES3_N6thrust23THRUST_200600_302600_NS6detail15normal_iteratorINS9_10device_ptrIjEEEENSB_INSC_IfEEEEjNS9_4plusIvEEjEEDaPvRmT3_T4_T5_mT6_P12ihipStream_tbENKUlT_T0_E_clISt17integral_constantIbLb1EESV_IbLb0EEEEDaSR_SS_EUlSR_E0_NS1_11comp_targetILNS1_3genE0ELNS1_11target_archE4294967295ELNS1_3gpuE0ELNS1_3repE0EEENS1_30default_config_static_selectorELNS0_4arch9wavefront6targetE1EEEvT1_
    .private_segment_fixed_size: 0
    .sgpr_count:     4
    .sgpr_spill_count: 0
    .symbol:         _ZN7rocprim17ROCPRIM_400000_NS6detail17trampoline_kernelINS0_14default_configENS1_20scan_config_selectorIjEEZZNS1_9scan_implILNS1_25lookback_scan_determinismE0ELb0ELb0ES3_N6thrust23THRUST_200600_302600_NS6detail15normal_iteratorINS9_10device_ptrIjEEEENSB_INSC_IfEEEEjNS9_4plusIvEEjEEDaPvRmT3_T4_T5_mT6_P12ihipStream_tbENKUlT_T0_E_clISt17integral_constantIbLb1EESV_IbLb0EEEEDaSR_SS_EUlSR_E0_NS1_11comp_targetILNS1_3genE0ELNS1_11target_archE4294967295ELNS1_3gpuE0ELNS1_3repE0EEENS1_30default_config_static_selectorELNS0_4arch9wavefront6targetE1EEEvT1_.kd
    .uniform_work_group_size: 1
    .uses_dynamic_stack: false
    .vgpr_count:     0
    .vgpr_spill_count: 0
    .wavefront_size: 64
  - .agpr_count:     0
    .args:
      - .offset:         0
        .size:           32
        .value_kind:     by_value
    .group_segment_fixed_size: 0
    .kernarg_segment_align: 8
    .kernarg_segment_size: 32
    .language:       OpenCL C
    .language_version:
      - 2
      - 0
    .max_flat_workgroup_size: 256
    .name:           _ZN7rocprim17ROCPRIM_400000_NS6detail17trampoline_kernelINS0_14default_configENS1_20scan_config_selectorIjEEZZNS1_9scan_implILNS1_25lookback_scan_determinismE0ELb0ELb0ES3_N6thrust23THRUST_200600_302600_NS6detail15normal_iteratorINS9_10device_ptrIjEEEENSB_INSC_IfEEEEjNS9_4plusIvEEjEEDaPvRmT3_T4_T5_mT6_P12ihipStream_tbENKUlT_T0_E_clISt17integral_constantIbLb1EESV_IbLb0EEEEDaSR_SS_EUlSR_E0_NS1_11comp_targetILNS1_3genE5ELNS1_11target_archE942ELNS1_3gpuE9ELNS1_3repE0EEENS1_30default_config_static_selectorELNS0_4arch9wavefront6targetE1EEEvT1_
    .private_segment_fixed_size: 0
    .sgpr_count:     4
    .sgpr_spill_count: 0
    .symbol:         _ZN7rocprim17ROCPRIM_400000_NS6detail17trampoline_kernelINS0_14default_configENS1_20scan_config_selectorIjEEZZNS1_9scan_implILNS1_25lookback_scan_determinismE0ELb0ELb0ES3_N6thrust23THRUST_200600_302600_NS6detail15normal_iteratorINS9_10device_ptrIjEEEENSB_INSC_IfEEEEjNS9_4plusIvEEjEEDaPvRmT3_T4_T5_mT6_P12ihipStream_tbENKUlT_T0_E_clISt17integral_constantIbLb1EESV_IbLb0EEEEDaSR_SS_EUlSR_E0_NS1_11comp_targetILNS1_3genE5ELNS1_11target_archE942ELNS1_3gpuE9ELNS1_3repE0EEENS1_30default_config_static_selectorELNS0_4arch9wavefront6targetE1EEEvT1_.kd
    .uniform_work_group_size: 1
    .uses_dynamic_stack: false
    .vgpr_count:     0
    .vgpr_spill_count: 0
    .wavefront_size: 64
  - .agpr_count:     0
    .args:
      - .offset:         0
        .size:           32
        .value_kind:     by_value
    .group_segment_fixed_size: 5120
    .kernarg_segment_align: 8
    .kernarg_segment_size: 32
    .language:       OpenCL C
    .language_version:
      - 2
      - 0
    .max_flat_workgroup_size: 128
    .name:           _ZN7rocprim17ROCPRIM_400000_NS6detail17trampoline_kernelINS0_14default_configENS1_20scan_config_selectorIjEEZZNS1_9scan_implILNS1_25lookback_scan_determinismE0ELb0ELb0ES3_N6thrust23THRUST_200600_302600_NS6detail15normal_iteratorINS9_10device_ptrIjEEEENSB_INSC_IfEEEEjNS9_4plusIvEEjEEDaPvRmT3_T4_T5_mT6_P12ihipStream_tbENKUlT_T0_E_clISt17integral_constantIbLb1EESV_IbLb0EEEEDaSR_SS_EUlSR_E0_NS1_11comp_targetILNS1_3genE4ELNS1_11target_archE910ELNS1_3gpuE8ELNS1_3repE0EEENS1_30default_config_static_selectorELNS0_4arch9wavefront6targetE1EEEvT1_
    .private_segment_fixed_size: 0
    .sgpr_count:     28
    .sgpr_spill_count: 0
    .symbol:         _ZN7rocprim17ROCPRIM_400000_NS6detail17trampoline_kernelINS0_14default_configENS1_20scan_config_selectorIjEEZZNS1_9scan_implILNS1_25lookback_scan_determinismE0ELb0ELb0ES3_N6thrust23THRUST_200600_302600_NS6detail15normal_iteratorINS9_10device_ptrIjEEEENSB_INSC_IfEEEEjNS9_4plusIvEEjEEDaPvRmT3_T4_T5_mT6_P12ihipStream_tbENKUlT_T0_E_clISt17integral_constantIbLb1EESV_IbLb0EEEEDaSR_SS_EUlSR_E0_NS1_11comp_targetILNS1_3genE4ELNS1_11target_archE910ELNS1_3gpuE8ELNS1_3repE0EEENS1_30default_config_static_selectorELNS0_4arch9wavefront6targetE1EEEvT1_.kd
    .uniform_work_group_size: 1
    .uses_dynamic_stack: false
    .vgpr_count:     27
    .vgpr_spill_count: 0
    .wavefront_size: 64
  - .agpr_count:     0
    .args:
      - .offset:         0
        .size:           32
        .value_kind:     by_value
    .group_segment_fixed_size: 0
    .kernarg_segment_align: 8
    .kernarg_segment_size: 32
    .language:       OpenCL C
    .language_version:
      - 2
      - 0
    .max_flat_workgroup_size: 256
    .name:           _ZN7rocprim17ROCPRIM_400000_NS6detail17trampoline_kernelINS0_14default_configENS1_20scan_config_selectorIjEEZZNS1_9scan_implILNS1_25lookback_scan_determinismE0ELb0ELb0ES3_N6thrust23THRUST_200600_302600_NS6detail15normal_iteratorINS9_10device_ptrIjEEEENSB_INSC_IfEEEEjNS9_4plusIvEEjEEDaPvRmT3_T4_T5_mT6_P12ihipStream_tbENKUlT_T0_E_clISt17integral_constantIbLb1EESV_IbLb0EEEEDaSR_SS_EUlSR_E0_NS1_11comp_targetILNS1_3genE3ELNS1_11target_archE908ELNS1_3gpuE7ELNS1_3repE0EEENS1_30default_config_static_selectorELNS0_4arch9wavefront6targetE1EEEvT1_
    .private_segment_fixed_size: 0
    .sgpr_count:     4
    .sgpr_spill_count: 0
    .symbol:         _ZN7rocprim17ROCPRIM_400000_NS6detail17trampoline_kernelINS0_14default_configENS1_20scan_config_selectorIjEEZZNS1_9scan_implILNS1_25lookback_scan_determinismE0ELb0ELb0ES3_N6thrust23THRUST_200600_302600_NS6detail15normal_iteratorINS9_10device_ptrIjEEEENSB_INSC_IfEEEEjNS9_4plusIvEEjEEDaPvRmT3_T4_T5_mT6_P12ihipStream_tbENKUlT_T0_E_clISt17integral_constantIbLb1EESV_IbLb0EEEEDaSR_SS_EUlSR_E0_NS1_11comp_targetILNS1_3genE3ELNS1_11target_archE908ELNS1_3gpuE7ELNS1_3repE0EEENS1_30default_config_static_selectorELNS0_4arch9wavefront6targetE1EEEvT1_.kd
    .uniform_work_group_size: 1
    .uses_dynamic_stack: false
    .vgpr_count:     0
    .vgpr_spill_count: 0
    .wavefront_size: 64
  - .agpr_count:     0
    .args:
      - .offset:         0
        .size:           32
        .value_kind:     by_value
    .group_segment_fixed_size: 0
    .kernarg_segment_align: 8
    .kernarg_segment_size: 32
    .language:       OpenCL C
    .language_version:
      - 2
      - 0
    .max_flat_workgroup_size: 256
    .name:           _ZN7rocprim17ROCPRIM_400000_NS6detail17trampoline_kernelINS0_14default_configENS1_20scan_config_selectorIjEEZZNS1_9scan_implILNS1_25lookback_scan_determinismE0ELb0ELb0ES3_N6thrust23THRUST_200600_302600_NS6detail15normal_iteratorINS9_10device_ptrIjEEEENSB_INSC_IfEEEEjNS9_4plusIvEEjEEDaPvRmT3_T4_T5_mT6_P12ihipStream_tbENKUlT_T0_E_clISt17integral_constantIbLb1EESV_IbLb0EEEEDaSR_SS_EUlSR_E0_NS1_11comp_targetILNS1_3genE2ELNS1_11target_archE906ELNS1_3gpuE6ELNS1_3repE0EEENS1_30default_config_static_selectorELNS0_4arch9wavefront6targetE1EEEvT1_
    .private_segment_fixed_size: 0
    .sgpr_count:     4
    .sgpr_spill_count: 0
    .symbol:         _ZN7rocprim17ROCPRIM_400000_NS6detail17trampoline_kernelINS0_14default_configENS1_20scan_config_selectorIjEEZZNS1_9scan_implILNS1_25lookback_scan_determinismE0ELb0ELb0ES3_N6thrust23THRUST_200600_302600_NS6detail15normal_iteratorINS9_10device_ptrIjEEEENSB_INSC_IfEEEEjNS9_4plusIvEEjEEDaPvRmT3_T4_T5_mT6_P12ihipStream_tbENKUlT_T0_E_clISt17integral_constantIbLb1EESV_IbLb0EEEEDaSR_SS_EUlSR_E0_NS1_11comp_targetILNS1_3genE2ELNS1_11target_archE906ELNS1_3gpuE6ELNS1_3repE0EEENS1_30default_config_static_selectorELNS0_4arch9wavefront6targetE1EEEvT1_.kd
    .uniform_work_group_size: 1
    .uses_dynamic_stack: false
    .vgpr_count:     0
    .vgpr_spill_count: 0
    .wavefront_size: 64
  - .agpr_count:     0
    .args:
      - .offset:         0
        .size:           32
        .value_kind:     by_value
    .group_segment_fixed_size: 0
    .kernarg_segment_align: 8
    .kernarg_segment_size: 32
    .language:       OpenCL C
    .language_version:
      - 2
      - 0
    .max_flat_workgroup_size: 256
    .name:           _ZN7rocprim17ROCPRIM_400000_NS6detail17trampoline_kernelINS0_14default_configENS1_20scan_config_selectorIjEEZZNS1_9scan_implILNS1_25lookback_scan_determinismE0ELb0ELb0ES3_N6thrust23THRUST_200600_302600_NS6detail15normal_iteratorINS9_10device_ptrIjEEEENSB_INSC_IfEEEEjNS9_4plusIvEEjEEDaPvRmT3_T4_T5_mT6_P12ihipStream_tbENKUlT_T0_E_clISt17integral_constantIbLb1EESV_IbLb0EEEEDaSR_SS_EUlSR_E0_NS1_11comp_targetILNS1_3genE10ELNS1_11target_archE1201ELNS1_3gpuE5ELNS1_3repE0EEENS1_30default_config_static_selectorELNS0_4arch9wavefront6targetE1EEEvT1_
    .private_segment_fixed_size: 0
    .sgpr_count:     4
    .sgpr_spill_count: 0
    .symbol:         _ZN7rocprim17ROCPRIM_400000_NS6detail17trampoline_kernelINS0_14default_configENS1_20scan_config_selectorIjEEZZNS1_9scan_implILNS1_25lookback_scan_determinismE0ELb0ELb0ES3_N6thrust23THRUST_200600_302600_NS6detail15normal_iteratorINS9_10device_ptrIjEEEENSB_INSC_IfEEEEjNS9_4plusIvEEjEEDaPvRmT3_T4_T5_mT6_P12ihipStream_tbENKUlT_T0_E_clISt17integral_constantIbLb1EESV_IbLb0EEEEDaSR_SS_EUlSR_E0_NS1_11comp_targetILNS1_3genE10ELNS1_11target_archE1201ELNS1_3gpuE5ELNS1_3repE0EEENS1_30default_config_static_selectorELNS0_4arch9wavefront6targetE1EEEvT1_.kd
    .uniform_work_group_size: 1
    .uses_dynamic_stack: false
    .vgpr_count:     0
    .vgpr_spill_count: 0
    .wavefront_size: 64
  - .agpr_count:     0
    .args:
      - .offset:         0
        .size:           32
        .value_kind:     by_value
    .group_segment_fixed_size: 0
    .kernarg_segment_align: 8
    .kernarg_segment_size: 32
    .language:       OpenCL C
    .language_version:
      - 2
      - 0
    .max_flat_workgroup_size: 256
    .name:           _ZN7rocprim17ROCPRIM_400000_NS6detail17trampoline_kernelINS0_14default_configENS1_20scan_config_selectorIjEEZZNS1_9scan_implILNS1_25lookback_scan_determinismE0ELb0ELb0ES3_N6thrust23THRUST_200600_302600_NS6detail15normal_iteratorINS9_10device_ptrIjEEEENSB_INSC_IfEEEEjNS9_4plusIvEEjEEDaPvRmT3_T4_T5_mT6_P12ihipStream_tbENKUlT_T0_E_clISt17integral_constantIbLb1EESV_IbLb0EEEEDaSR_SS_EUlSR_E0_NS1_11comp_targetILNS1_3genE10ELNS1_11target_archE1200ELNS1_3gpuE4ELNS1_3repE0EEENS1_30default_config_static_selectorELNS0_4arch9wavefront6targetE1EEEvT1_
    .private_segment_fixed_size: 0
    .sgpr_count:     4
    .sgpr_spill_count: 0
    .symbol:         _ZN7rocprim17ROCPRIM_400000_NS6detail17trampoline_kernelINS0_14default_configENS1_20scan_config_selectorIjEEZZNS1_9scan_implILNS1_25lookback_scan_determinismE0ELb0ELb0ES3_N6thrust23THRUST_200600_302600_NS6detail15normal_iteratorINS9_10device_ptrIjEEEENSB_INSC_IfEEEEjNS9_4plusIvEEjEEDaPvRmT3_T4_T5_mT6_P12ihipStream_tbENKUlT_T0_E_clISt17integral_constantIbLb1EESV_IbLb0EEEEDaSR_SS_EUlSR_E0_NS1_11comp_targetILNS1_3genE10ELNS1_11target_archE1200ELNS1_3gpuE4ELNS1_3repE0EEENS1_30default_config_static_selectorELNS0_4arch9wavefront6targetE1EEEvT1_.kd
    .uniform_work_group_size: 1
    .uses_dynamic_stack: false
    .vgpr_count:     0
    .vgpr_spill_count: 0
    .wavefront_size: 64
  - .agpr_count:     0
    .args:
      - .offset:         0
        .size:           32
        .value_kind:     by_value
    .group_segment_fixed_size: 0
    .kernarg_segment_align: 8
    .kernarg_segment_size: 32
    .language:       OpenCL C
    .language_version:
      - 2
      - 0
    .max_flat_workgroup_size: 256
    .name:           _ZN7rocprim17ROCPRIM_400000_NS6detail17trampoline_kernelINS0_14default_configENS1_20scan_config_selectorIjEEZZNS1_9scan_implILNS1_25lookback_scan_determinismE0ELb0ELb0ES3_N6thrust23THRUST_200600_302600_NS6detail15normal_iteratorINS9_10device_ptrIjEEEENSB_INSC_IfEEEEjNS9_4plusIvEEjEEDaPvRmT3_T4_T5_mT6_P12ihipStream_tbENKUlT_T0_E_clISt17integral_constantIbLb1EESV_IbLb0EEEEDaSR_SS_EUlSR_E0_NS1_11comp_targetILNS1_3genE9ELNS1_11target_archE1100ELNS1_3gpuE3ELNS1_3repE0EEENS1_30default_config_static_selectorELNS0_4arch9wavefront6targetE1EEEvT1_
    .private_segment_fixed_size: 0
    .sgpr_count:     4
    .sgpr_spill_count: 0
    .symbol:         _ZN7rocprim17ROCPRIM_400000_NS6detail17trampoline_kernelINS0_14default_configENS1_20scan_config_selectorIjEEZZNS1_9scan_implILNS1_25lookback_scan_determinismE0ELb0ELb0ES3_N6thrust23THRUST_200600_302600_NS6detail15normal_iteratorINS9_10device_ptrIjEEEENSB_INSC_IfEEEEjNS9_4plusIvEEjEEDaPvRmT3_T4_T5_mT6_P12ihipStream_tbENKUlT_T0_E_clISt17integral_constantIbLb1EESV_IbLb0EEEEDaSR_SS_EUlSR_E0_NS1_11comp_targetILNS1_3genE9ELNS1_11target_archE1100ELNS1_3gpuE3ELNS1_3repE0EEENS1_30default_config_static_selectorELNS0_4arch9wavefront6targetE1EEEvT1_.kd
    .uniform_work_group_size: 1
    .uses_dynamic_stack: false
    .vgpr_count:     0
    .vgpr_spill_count: 0
    .wavefront_size: 64
  - .agpr_count:     0
    .args:
      - .offset:         0
        .size:           32
        .value_kind:     by_value
    .group_segment_fixed_size: 0
    .kernarg_segment_align: 8
    .kernarg_segment_size: 32
    .language:       OpenCL C
    .language_version:
      - 2
      - 0
    .max_flat_workgroup_size: 64
    .name:           _ZN7rocprim17ROCPRIM_400000_NS6detail17trampoline_kernelINS0_14default_configENS1_20scan_config_selectorIjEEZZNS1_9scan_implILNS1_25lookback_scan_determinismE0ELb0ELb0ES3_N6thrust23THRUST_200600_302600_NS6detail15normal_iteratorINS9_10device_ptrIjEEEENSB_INSC_IfEEEEjNS9_4plusIvEEjEEDaPvRmT3_T4_T5_mT6_P12ihipStream_tbENKUlT_T0_E_clISt17integral_constantIbLb1EESV_IbLb0EEEEDaSR_SS_EUlSR_E0_NS1_11comp_targetILNS1_3genE8ELNS1_11target_archE1030ELNS1_3gpuE2ELNS1_3repE0EEENS1_30default_config_static_selectorELNS0_4arch9wavefront6targetE1EEEvT1_
    .private_segment_fixed_size: 0
    .sgpr_count:     4
    .sgpr_spill_count: 0
    .symbol:         _ZN7rocprim17ROCPRIM_400000_NS6detail17trampoline_kernelINS0_14default_configENS1_20scan_config_selectorIjEEZZNS1_9scan_implILNS1_25lookback_scan_determinismE0ELb0ELb0ES3_N6thrust23THRUST_200600_302600_NS6detail15normal_iteratorINS9_10device_ptrIjEEEENSB_INSC_IfEEEEjNS9_4plusIvEEjEEDaPvRmT3_T4_T5_mT6_P12ihipStream_tbENKUlT_T0_E_clISt17integral_constantIbLb1EESV_IbLb0EEEEDaSR_SS_EUlSR_E0_NS1_11comp_targetILNS1_3genE8ELNS1_11target_archE1030ELNS1_3gpuE2ELNS1_3repE0EEENS1_30default_config_static_selectorELNS0_4arch9wavefront6targetE1EEEvT1_.kd
    .uniform_work_group_size: 1
    .uses_dynamic_stack: false
    .vgpr_count:     0
    .vgpr_spill_count: 0
    .wavefront_size: 64
  - .agpr_count:     0
    .args:
      - .offset:         0
        .size:           96
        .value_kind:     by_value
    .group_segment_fixed_size: 0
    .kernarg_segment_align: 8
    .kernarg_segment_size: 96
    .language:       OpenCL C
    .language_version:
      - 2
      - 0
    .max_flat_workgroup_size: 256
    .name:           _ZN7rocprim17ROCPRIM_400000_NS6detail17trampoline_kernelINS0_14default_configENS1_20scan_config_selectorIjEEZZNS1_9scan_implILNS1_25lookback_scan_determinismE0ELb0ELb0ES3_N6thrust23THRUST_200600_302600_NS6detail15normal_iteratorINS9_10device_ptrIjEEEENSB_INSC_IfEEEEjNS9_4plusIvEEjEEDaPvRmT3_T4_T5_mT6_P12ihipStream_tbENKUlT_T0_E_clISt17integral_constantIbLb0EESV_IbLb1EEEEDaSR_SS_EUlSR_E_NS1_11comp_targetILNS1_3genE0ELNS1_11target_archE4294967295ELNS1_3gpuE0ELNS1_3repE0EEENS1_30default_config_static_selectorELNS0_4arch9wavefront6targetE1EEEvT1_
    .private_segment_fixed_size: 0
    .sgpr_count:     4
    .sgpr_spill_count: 0
    .symbol:         _ZN7rocprim17ROCPRIM_400000_NS6detail17trampoline_kernelINS0_14default_configENS1_20scan_config_selectorIjEEZZNS1_9scan_implILNS1_25lookback_scan_determinismE0ELb0ELb0ES3_N6thrust23THRUST_200600_302600_NS6detail15normal_iteratorINS9_10device_ptrIjEEEENSB_INSC_IfEEEEjNS9_4plusIvEEjEEDaPvRmT3_T4_T5_mT6_P12ihipStream_tbENKUlT_T0_E_clISt17integral_constantIbLb0EESV_IbLb1EEEEDaSR_SS_EUlSR_E_NS1_11comp_targetILNS1_3genE0ELNS1_11target_archE4294967295ELNS1_3gpuE0ELNS1_3repE0EEENS1_30default_config_static_selectorELNS0_4arch9wavefront6targetE1EEEvT1_.kd
    .uniform_work_group_size: 1
    .uses_dynamic_stack: false
    .vgpr_count:     0
    .vgpr_spill_count: 0
    .wavefront_size: 64
  - .agpr_count:     0
    .args:
      - .offset:         0
        .size:           96
        .value_kind:     by_value
    .group_segment_fixed_size: 0
    .kernarg_segment_align: 8
    .kernarg_segment_size: 96
    .language:       OpenCL C
    .language_version:
      - 2
      - 0
    .max_flat_workgroup_size: 256
    .name:           _ZN7rocprim17ROCPRIM_400000_NS6detail17trampoline_kernelINS0_14default_configENS1_20scan_config_selectorIjEEZZNS1_9scan_implILNS1_25lookback_scan_determinismE0ELb0ELb0ES3_N6thrust23THRUST_200600_302600_NS6detail15normal_iteratorINS9_10device_ptrIjEEEENSB_INSC_IfEEEEjNS9_4plusIvEEjEEDaPvRmT3_T4_T5_mT6_P12ihipStream_tbENKUlT_T0_E_clISt17integral_constantIbLb0EESV_IbLb1EEEEDaSR_SS_EUlSR_E_NS1_11comp_targetILNS1_3genE5ELNS1_11target_archE942ELNS1_3gpuE9ELNS1_3repE0EEENS1_30default_config_static_selectorELNS0_4arch9wavefront6targetE1EEEvT1_
    .private_segment_fixed_size: 0
    .sgpr_count:     4
    .sgpr_spill_count: 0
    .symbol:         _ZN7rocprim17ROCPRIM_400000_NS6detail17trampoline_kernelINS0_14default_configENS1_20scan_config_selectorIjEEZZNS1_9scan_implILNS1_25lookback_scan_determinismE0ELb0ELb0ES3_N6thrust23THRUST_200600_302600_NS6detail15normal_iteratorINS9_10device_ptrIjEEEENSB_INSC_IfEEEEjNS9_4plusIvEEjEEDaPvRmT3_T4_T5_mT6_P12ihipStream_tbENKUlT_T0_E_clISt17integral_constantIbLb0EESV_IbLb1EEEEDaSR_SS_EUlSR_E_NS1_11comp_targetILNS1_3genE5ELNS1_11target_archE942ELNS1_3gpuE9ELNS1_3repE0EEENS1_30default_config_static_selectorELNS0_4arch9wavefront6targetE1EEEvT1_.kd
    .uniform_work_group_size: 1
    .uses_dynamic_stack: false
    .vgpr_count:     0
    .vgpr_spill_count: 0
    .wavefront_size: 64
  - .agpr_count:     0
    .args:
      - .offset:         0
        .size:           96
        .value_kind:     by_value
    .group_segment_fixed_size: 5120
    .kernarg_segment_align: 8
    .kernarg_segment_size: 96
    .language:       OpenCL C
    .language_version:
      - 2
      - 0
    .max_flat_workgroup_size: 128
    .name:           _ZN7rocprim17ROCPRIM_400000_NS6detail17trampoline_kernelINS0_14default_configENS1_20scan_config_selectorIjEEZZNS1_9scan_implILNS1_25lookback_scan_determinismE0ELb0ELb0ES3_N6thrust23THRUST_200600_302600_NS6detail15normal_iteratorINS9_10device_ptrIjEEEENSB_INSC_IfEEEEjNS9_4plusIvEEjEEDaPvRmT3_T4_T5_mT6_P12ihipStream_tbENKUlT_T0_E_clISt17integral_constantIbLb0EESV_IbLb1EEEEDaSR_SS_EUlSR_E_NS1_11comp_targetILNS1_3genE4ELNS1_11target_archE910ELNS1_3gpuE8ELNS1_3repE0EEENS1_30default_config_static_selectorELNS0_4arch9wavefront6targetE1EEEvT1_
    .private_segment_fixed_size: 0
    .sgpr_count:     40
    .sgpr_spill_count: 0
    .symbol:         _ZN7rocprim17ROCPRIM_400000_NS6detail17trampoline_kernelINS0_14default_configENS1_20scan_config_selectorIjEEZZNS1_9scan_implILNS1_25lookback_scan_determinismE0ELb0ELb0ES3_N6thrust23THRUST_200600_302600_NS6detail15normal_iteratorINS9_10device_ptrIjEEEENSB_INSC_IfEEEEjNS9_4plusIvEEjEEDaPvRmT3_T4_T5_mT6_P12ihipStream_tbENKUlT_T0_E_clISt17integral_constantIbLb0EESV_IbLb1EEEEDaSR_SS_EUlSR_E_NS1_11comp_targetILNS1_3genE4ELNS1_11target_archE910ELNS1_3gpuE8ELNS1_3repE0EEENS1_30default_config_static_selectorELNS0_4arch9wavefront6targetE1EEEvT1_.kd
    .uniform_work_group_size: 1
    .uses_dynamic_stack: false
    .vgpr_count:     40
    .vgpr_spill_count: 0
    .wavefront_size: 64
  - .agpr_count:     0
    .args:
      - .offset:         0
        .size:           96
        .value_kind:     by_value
    .group_segment_fixed_size: 0
    .kernarg_segment_align: 8
    .kernarg_segment_size: 96
    .language:       OpenCL C
    .language_version:
      - 2
      - 0
    .max_flat_workgroup_size: 256
    .name:           _ZN7rocprim17ROCPRIM_400000_NS6detail17trampoline_kernelINS0_14default_configENS1_20scan_config_selectorIjEEZZNS1_9scan_implILNS1_25lookback_scan_determinismE0ELb0ELb0ES3_N6thrust23THRUST_200600_302600_NS6detail15normal_iteratorINS9_10device_ptrIjEEEENSB_INSC_IfEEEEjNS9_4plusIvEEjEEDaPvRmT3_T4_T5_mT6_P12ihipStream_tbENKUlT_T0_E_clISt17integral_constantIbLb0EESV_IbLb1EEEEDaSR_SS_EUlSR_E_NS1_11comp_targetILNS1_3genE3ELNS1_11target_archE908ELNS1_3gpuE7ELNS1_3repE0EEENS1_30default_config_static_selectorELNS0_4arch9wavefront6targetE1EEEvT1_
    .private_segment_fixed_size: 0
    .sgpr_count:     4
    .sgpr_spill_count: 0
    .symbol:         _ZN7rocprim17ROCPRIM_400000_NS6detail17trampoline_kernelINS0_14default_configENS1_20scan_config_selectorIjEEZZNS1_9scan_implILNS1_25lookback_scan_determinismE0ELb0ELb0ES3_N6thrust23THRUST_200600_302600_NS6detail15normal_iteratorINS9_10device_ptrIjEEEENSB_INSC_IfEEEEjNS9_4plusIvEEjEEDaPvRmT3_T4_T5_mT6_P12ihipStream_tbENKUlT_T0_E_clISt17integral_constantIbLb0EESV_IbLb1EEEEDaSR_SS_EUlSR_E_NS1_11comp_targetILNS1_3genE3ELNS1_11target_archE908ELNS1_3gpuE7ELNS1_3repE0EEENS1_30default_config_static_selectorELNS0_4arch9wavefront6targetE1EEEvT1_.kd
    .uniform_work_group_size: 1
    .uses_dynamic_stack: false
    .vgpr_count:     0
    .vgpr_spill_count: 0
    .wavefront_size: 64
  - .agpr_count:     0
    .args:
      - .offset:         0
        .size:           96
        .value_kind:     by_value
    .group_segment_fixed_size: 0
    .kernarg_segment_align: 8
    .kernarg_segment_size: 96
    .language:       OpenCL C
    .language_version:
      - 2
      - 0
    .max_flat_workgroup_size: 256
    .name:           _ZN7rocprim17ROCPRIM_400000_NS6detail17trampoline_kernelINS0_14default_configENS1_20scan_config_selectorIjEEZZNS1_9scan_implILNS1_25lookback_scan_determinismE0ELb0ELb0ES3_N6thrust23THRUST_200600_302600_NS6detail15normal_iteratorINS9_10device_ptrIjEEEENSB_INSC_IfEEEEjNS9_4plusIvEEjEEDaPvRmT3_T4_T5_mT6_P12ihipStream_tbENKUlT_T0_E_clISt17integral_constantIbLb0EESV_IbLb1EEEEDaSR_SS_EUlSR_E_NS1_11comp_targetILNS1_3genE2ELNS1_11target_archE906ELNS1_3gpuE6ELNS1_3repE0EEENS1_30default_config_static_selectorELNS0_4arch9wavefront6targetE1EEEvT1_
    .private_segment_fixed_size: 0
    .sgpr_count:     4
    .sgpr_spill_count: 0
    .symbol:         _ZN7rocprim17ROCPRIM_400000_NS6detail17trampoline_kernelINS0_14default_configENS1_20scan_config_selectorIjEEZZNS1_9scan_implILNS1_25lookback_scan_determinismE0ELb0ELb0ES3_N6thrust23THRUST_200600_302600_NS6detail15normal_iteratorINS9_10device_ptrIjEEEENSB_INSC_IfEEEEjNS9_4plusIvEEjEEDaPvRmT3_T4_T5_mT6_P12ihipStream_tbENKUlT_T0_E_clISt17integral_constantIbLb0EESV_IbLb1EEEEDaSR_SS_EUlSR_E_NS1_11comp_targetILNS1_3genE2ELNS1_11target_archE906ELNS1_3gpuE6ELNS1_3repE0EEENS1_30default_config_static_selectorELNS0_4arch9wavefront6targetE1EEEvT1_.kd
    .uniform_work_group_size: 1
    .uses_dynamic_stack: false
    .vgpr_count:     0
    .vgpr_spill_count: 0
    .wavefront_size: 64
  - .agpr_count:     0
    .args:
      - .offset:         0
        .size:           96
        .value_kind:     by_value
    .group_segment_fixed_size: 0
    .kernarg_segment_align: 8
    .kernarg_segment_size: 96
    .language:       OpenCL C
    .language_version:
      - 2
      - 0
    .max_flat_workgroup_size: 256
    .name:           _ZN7rocprim17ROCPRIM_400000_NS6detail17trampoline_kernelINS0_14default_configENS1_20scan_config_selectorIjEEZZNS1_9scan_implILNS1_25lookback_scan_determinismE0ELb0ELb0ES3_N6thrust23THRUST_200600_302600_NS6detail15normal_iteratorINS9_10device_ptrIjEEEENSB_INSC_IfEEEEjNS9_4plusIvEEjEEDaPvRmT3_T4_T5_mT6_P12ihipStream_tbENKUlT_T0_E_clISt17integral_constantIbLb0EESV_IbLb1EEEEDaSR_SS_EUlSR_E_NS1_11comp_targetILNS1_3genE10ELNS1_11target_archE1201ELNS1_3gpuE5ELNS1_3repE0EEENS1_30default_config_static_selectorELNS0_4arch9wavefront6targetE1EEEvT1_
    .private_segment_fixed_size: 0
    .sgpr_count:     4
    .sgpr_spill_count: 0
    .symbol:         _ZN7rocprim17ROCPRIM_400000_NS6detail17trampoline_kernelINS0_14default_configENS1_20scan_config_selectorIjEEZZNS1_9scan_implILNS1_25lookback_scan_determinismE0ELb0ELb0ES3_N6thrust23THRUST_200600_302600_NS6detail15normal_iteratorINS9_10device_ptrIjEEEENSB_INSC_IfEEEEjNS9_4plusIvEEjEEDaPvRmT3_T4_T5_mT6_P12ihipStream_tbENKUlT_T0_E_clISt17integral_constantIbLb0EESV_IbLb1EEEEDaSR_SS_EUlSR_E_NS1_11comp_targetILNS1_3genE10ELNS1_11target_archE1201ELNS1_3gpuE5ELNS1_3repE0EEENS1_30default_config_static_selectorELNS0_4arch9wavefront6targetE1EEEvT1_.kd
    .uniform_work_group_size: 1
    .uses_dynamic_stack: false
    .vgpr_count:     0
    .vgpr_spill_count: 0
    .wavefront_size: 64
  - .agpr_count:     0
    .args:
      - .offset:         0
        .size:           96
        .value_kind:     by_value
    .group_segment_fixed_size: 0
    .kernarg_segment_align: 8
    .kernarg_segment_size: 96
    .language:       OpenCL C
    .language_version:
      - 2
      - 0
    .max_flat_workgroup_size: 256
    .name:           _ZN7rocprim17ROCPRIM_400000_NS6detail17trampoline_kernelINS0_14default_configENS1_20scan_config_selectorIjEEZZNS1_9scan_implILNS1_25lookback_scan_determinismE0ELb0ELb0ES3_N6thrust23THRUST_200600_302600_NS6detail15normal_iteratorINS9_10device_ptrIjEEEENSB_INSC_IfEEEEjNS9_4plusIvEEjEEDaPvRmT3_T4_T5_mT6_P12ihipStream_tbENKUlT_T0_E_clISt17integral_constantIbLb0EESV_IbLb1EEEEDaSR_SS_EUlSR_E_NS1_11comp_targetILNS1_3genE10ELNS1_11target_archE1200ELNS1_3gpuE4ELNS1_3repE0EEENS1_30default_config_static_selectorELNS0_4arch9wavefront6targetE1EEEvT1_
    .private_segment_fixed_size: 0
    .sgpr_count:     4
    .sgpr_spill_count: 0
    .symbol:         _ZN7rocprim17ROCPRIM_400000_NS6detail17trampoline_kernelINS0_14default_configENS1_20scan_config_selectorIjEEZZNS1_9scan_implILNS1_25lookback_scan_determinismE0ELb0ELb0ES3_N6thrust23THRUST_200600_302600_NS6detail15normal_iteratorINS9_10device_ptrIjEEEENSB_INSC_IfEEEEjNS9_4plusIvEEjEEDaPvRmT3_T4_T5_mT6_P12ihipStream_tbENKUlT_T0_E_clISt17integral_constantIbLb0EESV_IbLb1EEEEDaSR_SS_EUlSR_E_NS1_11comp_targetILNS1_3genE10ELNS1_11target_archE1200ELNS1_3gpuE4ELNS1_3repE0EEENS1_30default_config_static_selectorELNS0_4arch9wavefront6targetE1EEEvT1_.kd
    .uniform_work_group_size: 1
    .uses_dynamic_stack: false
    .vgpr_count:     0
    .vgpr_spill_count: 0
    .wavefront_size: 64
  - .agpr_count:     0
    .args:
      - .offset:         0
        .size:           96
        .value_kind:     by_value
    .group_segment_fixed_size: 0
    .kernarg_segment_align: 8
    .kernarg_segment_size: 96
    .language:       OpenCL C
    .language_version:
      - 2
      - 0
    .max_flat_workgroup_size: 256
    .name:           _ZN7rocprim17ROCPRIM_400000_NS6detail17trampoline_kernelINS0_14default_configENS1_20scan_config_selectorIjEEZZNS1_9scan_implILNS1_25lookback_scan_determinismE0ELb0ELb0ES3_N6thrust23THRUST_200600_302600_NS6detail15normal_iteratorINS9_10device_ptrIjEEEENSB_INSC_IfEEEEjNS9_4plusIvEEjEEDaPvRmT3_T4_T5_mT6_P12ihipStream_tbENKUlT_T0_E_clISt17integral_constantIbLb0EESV_IbLb1EEEEDaSR_SS_EUlSR_E_NS1_11comp_targetILNS1_3genE9ELNS1_11target_archE1100ELNS1_3gpuE3ELNS1_3repE0EEENS1_30default_config_static_selectorELNS0_4arch9wavefront6targetE1EEEvT1_
    .private_segment_fixed_size: 0
    .sgpr_count:     4
    .sgpr_spill_count: 0
    .symbol:         _ZN7rocprim17ROCPRIM_400000_NS6detail17trampoline_kernelINS0_14default_configENS1_20scan_config_selectorIjEEZZNS1_9scan_implILNS1_25lookback_scan_determinismE0ELb0ELb0ES3_N6thrust23THRUST_200600_302600_NS6detail15normal_iteratorINS9_10device_ptrIjEEEENSB_INSC_IfEEEEjNS9_4plusIvEEjEEDaPvRmT3_T4_T5_mT6_P12ihipStream_tbENKUlT_T0_E_clISt17integral_constantIbLb0EESV_IbLb1EEEEDaSR_SS_EUlSR_E_NS1_11comp_targetILNS1_3genE9ELNS1_11target_archE1100ELNS1_3gpuE3ELNS1_3repE0EEENS1_30default_config_static_selectorELNS0_4arch9wavefront6targetE1EEEvT1_.kd
    .uniform_work_group_size: 1
    .uses_dynamic_stack: false
    .vgpr_count:     0
    .vgpr_spill_count: 0
    .wavefront_size: 64
  - .agpr_count:     0
    .args:
      - .offset:         0
        .size:           96
        .value_kind:     by_value
    .group_segment_fixed_size: 0
    .kernarg_segment_align: 8
    .kernarg_segment_size: 96
    .language:       OpenCL C
    .language_version:
      - 2
      - 0
    .max_flat_workgroup_size: 64
    .name:           _ZN7rocprim17ROCPRIM_400000_NS6detail17trampoline_kernelINS0_14default_configENS1_20scan_config_selectorIjEEZZNS1_9scan_implILNS1_25lookback_scan_determinismE0ELb0ELb0ES3_N6thrust23THRUST_200600_302600_NS6detail15normal_iteratorINS9_10device_ptrIjEEEENSB_INSC_IfEEEEjNS9_4plusIvEEjEEDaPvRmT3_T4_T5_mT6_P12ihipStream_tbENKUlT_T0_E_clISt17integral_constantIbLb0EESV_IbLb1EEEEDaSR_SS_EUlSR_E_NS1_11comp_targetILNS1_3genE8ELNS1_11target_archE1030ELNS1_3gpuE2ELNS1_3repE0EEENS1_30default_config_static_selectorELNS0_4arch9wavefront6targetE1EEEvT1_
    .private_segment_fixed_size: 0
    .sgpr_count:     4
    .sgpr_spill_count: 0
    .symbol:         _ZN7rocprim17ROCPRIM_400000_NS6detail17trampoline_kernelINS0_14default_configENS1_20scan_config_selectorIjEEZZNS1_9scan_implILNS1_25lookback_scan_determinismE0ELb0ELb0ES3_N6thrust23THRUST_200600_302600_NS6detail15normal_iteratorINS9_10device_ptrIjEEEENSB_INSC_IfEEEEjNS9_4plusIvEEjEEDaPvRmT3_T4_T5_mT6_P12ihipStream_tbENKUlT_T0_E_clISt17integral_constantIbLb0EESV_IbLb1EEEEDaSR_SS_EUlSR_E_NS1_11comp_targetILNS1_3genE8ELNS1_11target_archE1030ELNS1_3gpuE2ELNS1_3repE0EEENS1_30default_config_static_selectorELNS0_4arch9wavefront6targetE1EEEvT1_.kd
    .uniform_work_group_size: 1
    .uses_dynamic_stack: false
    .vgpr_count:     0
    .vgpr_spill_count: 0
    .wavefront_size: 64
  - .agpr_count:     0
    .args:
      - .offset:         0
        .size:           32
        .value_kind:     by_value
    .group_segment_fixed_size: 0
    .kernarg_segment_align: 8
    .kernarg_segment_size: 32
    .language:       OpenCL C
    .language_version:
      - 2
      - 0
    .max_flat_workgroup_size: 256
    .name:           _ZN7rocprim17ROCPRIM_400000_NS6detail17trampoline_kernelINS0_14default_configENS1_20scan_config_selectorIjEEZZNS1_9scan_implILNS1_25lookback_scan_determinismE0ELb0ELb0ES3_N6thrust23THRUST_200600_302600_NS6detail15normal_iteratorINS9_10device_ptrIjEEEENSB_INSC_IfEEEEjNS9_4plusIvEEjEEDaPvRmT3_T4_T5_mT6_P12ihipStream_tbENKUlT_T0_E_clISt17integral_constantIbLb0EESV_IbLb1EEEEDaSR_SS_EUlSR_E0_NS1_11comp_targetILNS1_3genE0ELNS1_11target_archE4294967295ELNS1_3gpuE0ELNS1_3repE0EEENS1_30default_config_static_selectorELNS0_4arch9wavefront6targetE1EEEvT1_
    .private_segment_fixed_size: 0
    .sgpr_count:     4
    .sgpr_spill_count: 0
    .symbol:         _ZN7rocprim17ROCPRIM_400000_NS6detail17trampoline_kernelINS0_14default_configENS1_20scan_config_selectorIjEEZZNS1_9scan_implILNS1_25lookback_scan_determinismE0ELb0ELb0ES3_N6thrust23THRUST_200600_302600_NS6detail15normal_iteratorINS9_10device_ptrIjEEEENSB_INSC_IfEEEEjNS9_4plusIvEEjEEDaPvRmT3_T4_T5_mT6_P12ihipStream_tbENKUlT_T0_E_clISt17integral_constantIbLb0EESV_IbLb1EEEEDaSR_SS_EUlSR_E0_NS1_11comp_targetILNS1_3genE0ELNS1_11target_archE4294967295ELNS1_3gpuE0ELNS1_3repE0EEENS1_30default_config_static_selectorELNS0_4arch9wavefront6targetE1EEEvT1_.kd
    .uniform_work_group_size: 1
    .uses_dynamic_stack: false
    .vgpr_count:     0
    .vgpr_spill_count: 0
    .wavefront_size: 64
  - .agpr_count:     0
    .args:
      - .offset:         0
        .size:           32
        .value_kind:     by_value
    .group_segment_fixed_size: 0
    .kernarg_segment_align: 8
    .kernarg_segment_size: 32
    .language:       OpenCL C
    .language_version:
      - 2
      - 0
    .max_flat_workgroup_size: 256
    .name:           _ZN7rocprim17ROCPRIM_400000_NS6detail17trampoline_kernelINS0_14default_configENS1_20scan_config_selectorIjEEZZNS1_9scan_implILNS1_25lookback_scan_determinismE0ELb0ELb0ES3_N6thrust23THRUST_200600_302600_NS6detail15normal_iteratorINS9_10device_ptrIjEEEENSB_INSC_IfEEEEjNS9_4plusIvEEjEEDaPvRmT3_T4_T5_mT6_P12ihipStream_tbENKUlT_T0_E_clISt17integral_constantIbLb0EESV_IbLb1EEEEDaSR_SS_EUlSR_E0_NS1_11comp_targetILNS1_3genE5ELNS1_11target_archE942ELNS1_3gpuE9ELNS1_3repE0EEENS1_30default_config_static_selectorELNS0_4arch9wavefront6targetE1EEEvT1_
    .private_segment_fixed_size: 0
    .sgpr_count:     4
    .sgpr_spill_count: 0
    .symbol:         _ZN7rocprim17ROCPRIM_400000_NS6detail17trampoline_kernelINS0_14default_configENS1_20scan_config_selectorIjEEZZNS1_9scan_implILNS1_25lookback_scan_determinismE0ELb0ELb0ES3_N6thrust23THRUST_200600_302600_NS6detail15normal_iteratorINS9_10device_ptrIjEEEENSB_INSC_IfEEEEjNS9_4plusIvEEjEEDaPvRmT3_T4_T5_mT6_P12ihipStream_tbENKUlT_T0_E_clISt17integral_constantIbLb0EESV_IbLb1EEEEDaSR_SS_EUlSR_E0_NS1_11comp_targetILNS1_3genE5ELNS1_11target_archE942ELNS1_3gpuE9ELNS1_3repE0EEENS1_30default_config_static_selectorELNS0_4arch9wavefront6targetE1EEEvT1_.kd
    .uniform_work_group_size: 1
    .uses_dynamic_stack: false
    .vgpr_count:     0
    .vgpr_spill_count: 0
    .wavefront_size: 64
  - .agpr_count:     0
    .args:
      - .offset:         0
        .size:           32
        .value_kind:     by_value
    .group_segment_fixed_size: 5120
    .kernarg_segment_align: 8
    .kernarg_segment_size: 32
    .language:       OpenCL C
    .language_version:
      - 2
      - 0
    .max_flat_workgroup_size: 128
    .name:           _ZN7rocprim17ROCPRIM_400000_NS6detail17trampoline_kernelINS0_14default_configENS1_20scan_config_selectorIjEEZZNS1_9scan_implILNS1_25lookback_scan_determinismE0ELb0ELb0ES3_N6thrust23THRUST_200600_302600_NS6detail15normal_iteratorINS9_10device_ptrIjEEEENSB_INSC_IfEEEEjNS9_4plusIvEEjEEDaPvRmT3_T4_T5_mT6_P12ihipStream_tbENKUlT_T0_E_clISt17integral_constantIbLb0EESV_IbLb1EEEEDaSR_SS_EUlSR_E0_NS1_11comp_targetILNS1_3genE4ELNS1_11target_archE910ELNS1_3gpuE8ELNS1_3repE0EEENS1_30default_config_static_selectorELNS0_4arch9wavefront6targetE1EEEvT1_
    .private_segment_fixed_size: 0
    .sgpr_count:     28
    .sgpr_spill_count: 0
    .symbol:         _ZN7rocprim17ROCPRIM_400000_NS6detail17trampoline_kernelINS0_14default_configENS1_20scan_config_selectorIjEEZZNS1_9scan_implILNS1_25lookback_scan_determinismE0ELb0ELb0ES3_N6thrust23THRUST_200600_302600_NS6detail15normal_iteratorINS9_10device_ptrIjEEEENSB_INSC_IfEEEEjNS9_4plusIvEEjEEDaPvRmT3_T4_T5_mT6_P12ihipStream_tbENKUlT_T0_E_clISt17integral_constantIbLb0EESV_IbLb1EEEEDaSR_SS_EUlSR_E0_NS1_11comp_targetILNS1_3genE4ELNS1_11target_archE910ELNS1_3gpuE8ELNS1_3repE0EEENS1_30default_config_static_selectorELNS0_4arch9wavefront6targetE1EEEvT1_.kd
    .uniform_work_group_size: 1
    .uses_dynamic_stack: false
    .vgpr_count:     27
    .vgpr_spill_count: 0
    .wavefront_size: 64
  - .agpr_count:     0
    .args:
      - .offset:         0
        .size:           32
        .value_kind:     by_value
    .group_segment_fixed_size: 0
    .kernarg_segment_align: 8
    .kernarg_segment_size: 32
    .language:       OpenCL C
    .language_version:
      - 2
      - 0
    .max_flat_workgroup_size: 256
    .name:           _ZN7rocprim17ROCPRIM_400000_NS6detail17trampoline_kernelINS0_14default_configENS1_20scan_config_selectorIjEEZZNS1_9scan_implILNS1_25lookback_scan_determinismE0ELb0ELb0ES3_N6thrust23THRUST_200600_302600_NS6detail15normal_iteratorINS9_10device_ptrIjEEEENSB_INSC_IfEEEEjNS9_4plusIvEEjEEDaPvRmT3_T4_T5_mT6_P12ihipStream_tbENKUlT_T0_E_clISt17integral_constantIbLb0EESV_IbLb1EEEEDaSR_SS_EUlSR_E0_NS1_11comp_targetILNS1_3genE3ELNS1_11target_archE908ELNS1_3gpuE7ELNS1_3repE0EEENS1_30default_config_static_selectorELNS0_4arch9wavefront6targetE1EEEvT1_
    .private_segment_fixed_size: 0
    .sgpr_count:     4
    .sgpr_spill_count: 0
    .symbol:         _ZN7rocprim17ROCPRIM_400000_NS6detail17trampoline_kernelINS0_14default_configENS1_20scan_config_selectorIjEEZZNS1_9scan_implILNS1_25lookback_scan_determinismE0ELb0ELb0ES3_N6thrust23THRUST_200600_302600_NS6detail15normal_iteratorINS9_10device_ptrIjEEEENSB_INSC_IfEEEEjNS9_4plusIvEEjEEDaPvRmT3_T4_T5_mT6_P12ihipStream_tbENKUlT_T0_E_clISt17integral_constantIbLb0EESV_IbLb1EEEEDaSR_SS_EUlSR_E0_NS1_11comp_targetILNS1_3genE3ELNS1_11target_archE908ELNS1_3gpuE7ELNS1_3repE0EEENS1_30default_config_static_selectorELNS0_4arch9wavefront6targetE1EEEvT1_.kd
    .uniform_work_group_size: 1
    .uses_dynamic_stack: false
    .vgpr_count:     0
    .vgpr_spill_count: 0
    .wavefront_size: 64
  - .agpr_count:     0
    .args:
      - .offset:         0
        .size:           32
        .value_kind:     by_value
    .group_segment_fixed_size: 0
    .kernarg_segment_align: 8
    .kernarg_segment_size: 32
    .language:       OpenCL C
    .language_version:
      - 2
      - 0
    .max_flat_workgroup_size: 256
    .name:           _ZN7rocprim17ROCPRIM_400000_NS6detail17trampoline_kernelINS0_14default_configENS1_20scan_config_selectorIjEEZZNS1_9scan_implILNS1_25lookback_scan_determinismE0ELb0ELb0ES3_N6thrust23THRUST_200600_302600_NS6detail15normal_iteratorINS9_10device_ptrIjEEEENSB_INSC_IfEEEEjNS9_4plusIvEEjEEDaPvRmT3_T4_T5_mT6_P12ihipStream_tbENKUlT_T0_E_clISt17integral_constantIbLb0EESV_IbLb1EEEEDaSR_SS_EUlSR_E0_NS1_11comp_targetILNS1_3genE2ELNS1_11target_archE906ELNS1_3gpuE6ELNS1_3repE0EEENS1_30default_config_static_selectorELNS0_4arch9wavefront6targetE1EEEvT1_
    .private_segment_fixed_size: 0
    .sgpr_count:     4
    .sgpr_spill_count: 0
    .symbol:         _ZN7rocprim17ROCPRIM_400000_NS6detail17trampoline_kernelINS0_14default_configENS1_20scan_config_selectorIjEEZZNS1_9scan_implILNS1_25lookback_scan_determinismE0ELb0ELb0ES3_N6thrust23THRUST_200600_302600_NS6detail15normal_iteratorINS9_10device_ptrIjEEEENSB_INSC_IfEEEEjNS9_4plusIvEEjEEDaPvRmT3_T4_T5_mT6_P12ihipStream_tbENKUlT_T0_E_clISt17integral_constantIbLb0EESV_IbLb1EEEEDaSR_SS_EUlSR_E0_NS1_11comp_targetILNS1_3genE2ELNS1_11target_archE906ELNS1_3gpuE6ELNS1_3repE0EEENS1_30default_config_static_selectorELNS0_4arch9wavefront6targetE1EEEvT1_.kd
    .uniform_work_group_size: 1
    .uses_dynamic_stack: false
    .vgpr_count:     0
    .vgpr_spill_count: 0
    .wavefront_size: 64
  - .agpr_count:     0
    .args:
      - .offset:         0
        .size:           32
        .value_kind:     by_value
    .group_segment_fixed_size: 0
    .kernarg_segment_align: 8
    .kernarg_segment_size: 32
    .language:       OpenCL C
    .language_version:
      - 2
      - 0
    .max_flat_workgroup_size: 256
    .name:           _ZN7rocprim17ROCPRIM_400000_NS6detail17trampoline_kernelINS0_14default_configENS1_20scan_config_selectorIjEEZZNS1_9scan_implILNS1_25lookback_scan_determinismE0ELb0ELb0ES3_N6thrust23THRUST_200600_302600_NS6detail15normal_iteratorINS9_10device_ptrIjEEEENSB_INSC_IfEEEEjNS9_4plusIvEEjEEDaPvRmT3_T4_T5_mT6_P12ihipStream_tbENKUlT_T0_E_clISt17integral_constantIbLb0EESV_IbLb1EEEEDaSR_SS_EUlSR_E0_NS1_11comp_targetILNS1_3genE10ELNS1_11target_archE1201ELNS1_3gpuE5ELNS1_3repE0EEENS1_30default_config_static_selectorELNS0_4arch9wavefront6targetE1EEEvT1_
    .private_segment_fixed_size: 0
    .sgpr_count:     4
    .sgpr_spill_count: 0
    .symbol:         _ZN7rocprim17ROCPRIM_400000_NS6detail17trampoline_kernelINS0_14default_configENS1_20scan_config_selectorIjEEZZNS1_9scan_implILNS1_25lookback_scan_determinismE0ELb0ELb0ES3_N6thrust23THRUST_200600_302600_NS6detail15normal_iteratorINS9_10device_ptrIjEEEENSB_INSC_IfEEEEjNS9_4plusIvEEjEEDaPvRmT3_T4_T5_mT6_P12ihipStream_tbENKUlT_T0_E_clISt17integral_constantIbLb0EESV_IbLb1EEEEDaSR_SS_EUlSR_E0_NS1_11comp_targetILNS1_3genE10ELNS1_11target_archE1201ELNS1_3gpuE5ELNS1_3repE0EEENS1_30default_config_static_selectorELNS0_4arch9wavefront6targetE1EEEvT1_.kd
    .uniform_work_group_size: 1
    .uses_dynamic_stack: false
    .vgpr_count:     0
    .vgpr_spill_count: 0
    .wavefront_size: 64
  - .agpr_count:     0
    .args:
      - .offset:         0
        .size:           32
        .value_kind:     by_value
    .group_segment_fixed_size: 0
    .kernarg_segment_align: 8
    .kernarg_segment_size: 32
    .language:       OpenCL C
    .language_version:
      - 2
      - 0
    .max_flat_workgroup_size: 256
    .name:           _ZN7rocprim17ROCPRIM_400000_NS6detail17trampoline_kernelINS0_14default_configENS1_20scan_config_selectorIjEEZZNS1_9scan_implILNS1_25lookback_scan_determinismE0ELb0ELb0ES3_N6thrust23THRUST_200600_302600_NS6detail15normal_iteratorINS9_10device_ptrIjEEEENSB_INSC_IfEEEEjNS9_4plusIvEEjEEDaPvRmT3_T4_T5_mT6_P12ihipStream_tbENKUlT_T0_E_clISt17integral_constantIbLb0EESV_IbLb1EEEEDaSR_SS_EUlSR_E0_NS1_11comp_targetILNS1_3genE10ELNS1_11target_archE1200ELNS1_3gpuE4ELNS1_3repE0EEENS1_30default_config_static_selectorELNS0_4arch9wavefront6targetE1EEEvT1_
    .private_segment_fixed_size: 0
    .sgpr_count:     4
    .sgpr_spill_count: 0
    .symbol:         _ZN7rocprim17ROCPRIM_400000_NS6detail17trampoline_kernelINS0_14default_configENS1_20scan_config_selectorIjEEZZNS1_9scan_implILNS1_25lookback_scan_determinismE0ELb0ELb0ES3_N6thrust23THRUST_200600_302600_NS6detail15normal_iteratorINS9_10device_ptrIjEEEENSB_INSC_IfEEEEjNS9_4plusIvEEjEEDaPvRmT3_T4_T5_mT6_P12ihipStream_tbENKUlT_T0_E_clISt17integral_constantIbLb0EESV_IbLb1EEEEDaSR_SS_EUlSR_E0_NS1_11comp_targetILNS1_3genE10ELNS1_11target_archE1200ELNS1_3gpuE4ELNS1_3repE0EEENS1_30default_config_static_selectorELNS0_4arch9wavefront6targetE1EEEvT1_.kd
    .uniform_work_group_size: 1
    .uses_dynamic_stack: false
    .vgpr_count:     0
    .vgpr_spill_count: 0
    .wavefront_size: 64
  - .agpr_count:     0
    .args:
      - .offset:         0
        .size:           32
        .value_kind:     by_value
    .group_segment_fixed_size: 0
    .kernarg_segment_align: 8
    .kernarg_segment_size: 32
    .language:       OpenCL C
    .language_version:
      - 2
      - 0
    .max_flat_workgroup_size: 256
    .name:           _ZN7rocprim17ROCPRIM_400000_NS6detail17trampoline_kernelINS0_14default_configENS1_20scan_config_selectorIjEEZZNS1_9scan_implILNS1_25lookback_scan_determinismE0ELb0ELb0ES3_N6thrust23THRUST_200600_302600_NS6detail15normal_iteratorINS9_10device_ptrIjEEEENSB_INSC_IfEEEEjNS9_4plusIvEEjEEDaPvRmT3_T4_T5_mT6_P12ihipStream_tbENKUlT_T0_E_clISt17integral_constantIbLb0EESV_IbLb1EEEEDaSR_SS_EUlSR_E0_NS1_11comp_targetILNS1_3genE9ELNS1_11target_archE1100ELNS1_3gpuE3ELNS1_3repE0EEENS1_30default_config_static_selectorELNS0_4arch9wavefront6targetE1EEEvT1_
    .private_segment_fixed_size: 0
    .sgpr_count:     4
    .sgpr_spill_count: 0
    .symbol:         _ZN7rocprim17ROCPRIM_400000_NS6detail17trampoline_kernelINS0_14default_configENS1_20scan_config_selectorIjEEZZNS1_9scan_implILNS1_25lookback_scan_determinismE0ELb0ELb0ES3_N6thrust23THRUST_200600_302600_NS6detail15normal_iteratorINS9_10device_ptrIjEEEENSB_INSC_IfEEEEjNS9_4plusIvEEjEEDaPvRmT3_T4_T5_mT6_P12ihipStream_tbENKUlT_T0_E_clISt17integral_constantIbLb0EESV_IbLb1EEEEDaSR_SS_EUlSR_E0_NS1_11comp_targetILNS1_3genE9ELNS1_11target_archE1100ELNS1_3gpuE3ELNS1_3repE0EEENS1_30default_config_static_selectorELNS0_4arch9wavefront6targetE1EEEvT1_.kd
    .uniform_work_group_size: 1
    .uses_dynamic_stack: false
    .vgpr_count:     0
    .vgpr_spill_count: 0
    .wavefront_size: 64
  - .agpr_count:     0
    .args:
      - .offset:         0
        .size:           32
        .value_kind:     by_value
    .group_segment_fixed_size: 0
    .kernarg_segment_align: 8
    .kernarg_segment_size: 32
    .language:       OpenCL C
    .language_version:
      - 2
      - 0
    .max_flat_workgroup_size: 64
    .name:           _ZN7rocprim17ROCPRIM_400000_NS6detail17trampoline_kernelINS0_14default_configENS1_20scan_config_selectorIjEEZZNS1_9scan_implILNS1_25lookback_scan_determinismE0ELb0ELb0ES3_N6thrust23THRUST_200600_302600_NS6detail15normal_iteratorINS9_10device_ptrIjEEEENSB_INSC_IfEEEEjNS9_4plusIvEEjEEDaPvRmT3_T4_T5_mT6_P12ihipStream_tbENKUlT_T0_E_clISt17integral_constantIbLb0EESV_IbLb1EEEEDaSR_SS_EUlSR_E0_NS1_11comp_targetILNS1_3genE8ELNS1_11target_archE1030ELNS1_3gpuE2ELNS1_3repE0EEENS1_30default_config_static_selectorELNS0_4arch9wavefront6targetE1EEEvT1_
    .private_segment_fixed_size: 0
    .sgpr_count:     4
    .sgpr_spill_count: 0
    .symbol:         _ZN7rocprim17ROCPRIM_400000_NS6detail17trampoline_kernelINS0_14default_configENS1_20scan_config_selectorIjEEZZNS1_9scan_implILNS1_25lookback_scan_determinismE0ELb0ELb0ES3_N6thrust23THRUST_200600_302600_NS6detail15normal_iteratorINS9_10device_ptrIjEEEENSB_INSC_IfEEEEjNS9_4plusIvEEjEEDaPvRmT3_T4_T5_mT6_P12ihipStream_tbENKUlT_T0_E_clISt17integral_constantIbLb0EESV_IbLb1EEEEDaSR_SS_EUlSR_E0_NS1_11comp_targetILNS1_3genE8ELNS1_11target_archE1030ELNS1_3gpuE2ELNS1_3repE0EEENS1_30default_config_static_selectorELNS0_4arch9wavefront6targetE1EEEvT1_.kd
    .uniform_work_group_size: 1
    .uses_dynamic_stack: false
    .vgpr_count:     0
    .vgpr_spill_count: 0
    .wavefront_size: 64
  - .agpr_count:     0
    .args:
      - .offset:         0
        .size:           24
        .value_kind:     by_value
      - .offset:         24
        .size:           8
        .value_kind:     by_value
      - .offset:         32
        .size:           8
        .value_kind:     by_value
    .group_segment_fixed_size: 0
    .kernarg_segment_align: 8
    .kernarg_segment_size: 40
    .language:       OpenCL C
    .language_version:
      - 2
      - 0
    .max_flat_workgroup_size: 256
    .name:           _ZN6thrust23THRUST_200600_302600_NS11hip_rocprim14__parallel_for6kernelILj256ENS1_11__transform17unary_transform_fINS0_10device_ptrIjEENS6_IfEENS4_14no_stencil_tagENS0_8identityIjEENS4_21always_true_predicateEEElLj1EEEvT0_T1_SF_
    .private_segment_fixed_size: 0
    .sgpr_count:     16
    .sgpr_spill_count: 0
    .symbol:         _ZN6thrust23THRUST_200600_302600_NS11hip_rocprim14__parallel_for6kernelILj256ENS1_11__transform17unary_transform_fINS0_10device_ptrIjEENS6_IfEENS4_14no_stencil_tagENS0_8identityIjEENS4_21always_true_predicateEEElLj1EEEvT0_T1_SF_.kd
    .uniform_work_group_size: 1
    .uses_dynamic_stack: false
    .vgpr_count:     6
    .vgpr_spill_count: 0
    .wavefront_size: 64
  - .agpr_count:     0
    .args:
      - .offset:         0
        .size:           96
        .value_kind:     by_value
    .group_segment_fixed_size: 0
    .kernarg_segment_align: 8
    .kernarg_segment_size: 96
    .language:       OpenCL C
    .language_version:
      - 2
      - 0
    .max_flat_workgroup_size: 256
    .name:           _ZN7rocprim17ROCPRIM_400000_NS6detail17trampoline_kernelINS0_14default_configENS1_20scan_config_selectorIfEEZZNS1_9scan_implILNS1_25lookback_scan_determinismE0ELb1ELb1ES3_N6thrust23THRUST_200600_302600_NS6detail15normal_iteratorINS9_10device_ptrIjEEEENSB_INSC_IfEEEEfNS9_4plusIvEEfEEDaPvRmT3_T4_T5_mT6_P12ihipStream_tbENKUlT_T0_E_clISt17integral_constantIbLb0EESW_EEDaSR_SS_EUlSR_E_NS1_11comp_targetILNS1_3genE0ELNS1_11target_archE4294967295ELNS1_3gpuE0ELNS1_3repE0EEENS1_30default_config_static_selectorELNS0_4arch9wavefront6targetE1EEEvT1_
    .private_segment_fixed_size: 0
    .sgpr_count:     4
    .sgpr_spill_count: 0
    .symbol:         _ZN7rocprim17ROCPRIM_400000_NS6detail17trampoline_kernelINS0_14default_configENS1_20scan_config_selectorIfEEZZNS1_9scan_implILNS1_25lookback_scan_determinismE0ELb1ELb1ES3_N6thrust23THRUST_200600_302600_NS6detail15normal_iteratorINS9_10device_ptrIjEEEENSB_INSC_IfEEEEfNS9_4plusIvEEfEEDaPvRmT3_T4_T5_mT6_P12ihipStream_tbENKUlT_T0_E_clISt17integral_constantIbLb0EESW_EEDaSR_SS_EUlSR_E_NS1_11comp_targetILNS1_3genE0ELNS1_11target_archE4294967295ELNS1_3gpuE0ELNS1_3repE0EEENS1_30default_config_static_selectorELNS0_4arch9wavefront6targetE1EEEvT1_.kd
    .uniform_work_group_size: 1
    .uses_dynamic_stack: false
    .vgpr_count:     0
    .vgpr_spill_count: 0
    .wavefront_size: 64
  - .agpr_count:     0
    .args:
      - .offset:         0
        .size:           96
        .value_kind:     by_value
    .group_segment_fixed_size: 0
    .kernarg_segment_align: 8
    .kernarg_segment_size: 96
    .language:       OpenCL C
    .language_version:
      - 2
      - 0
    .max_flat_workgroup_size: 256
    .name:           _ZN7rocprim17ROCPRIM_400000_NS6detail17trampoline_kernelINS0_14default_configENS1_20scan_config_selectorIfEEZZNS1_9scan_implILNS1_25lookback_scan_determinismE0ELb1ELb1ES3_N6thrust23THRUST_200600_302600_NS6detail15normal_iteratorINS9_10device_ptrIjEEEENSB_INSC_IfEEEEfNS9_4plusIvEEfEEDaPvRmT3_T4_T5_mT6_P12ihipStream_tbENKUlT_T0_E_clISt17integral_constantIbLb0EESW_EEDaSR_SS_EUlSR_E_NS1_11comp_targetILNS1_3genE5ELNS1_11target_archE942ELNS1_3gpuE9ELNS1_3repE0EEENS1_30default_config_static_selectorELNS0_4arch9wavefront6targetE1EEEvT1_
    .private_segment_fixed_size: 0
    .sgpr_count:     4
    .sgpr_spill_count: 0
    .symbol:         _ZN7rocprim17ROCPRIM_400000_NS6detail17trampoline_kernelINS0_14default_configENS1_20scan_config_selectorIfEEZZNS1_9scan_implILNS1_25lookback_scan_determinismE0ELb1ELb1ES3_N6thrust23THRUST_200600_302600_NS6detail15normal_iteratorINS9_10device_ptrIjEEEENSB_INSC_IfEEEEfNS9_4plusIvEEfEEDaPvRmT3_T4_T5_mT6_P12ihipStream_tbENKUlT_T0_E_clISt17integral_constantIbLb0EESW_EEDaSR_SS_EUlSR_E_NS1_11comp_targetILNS1_3genE5ELNS1_11target_archE942ELNS1_3gpuE9ELNS1_3repE0EEENS1_30default_config_static_selectorELNS0_4arch9wavefront6targetE1EEEvT1_.kd
    .uniform_work_group_size: 1
    .uses_dynamic_stack: false
    .vgpr_count:     0
    .vgpr_spill_count: 0
    .wavefront_size: 64
  - .agpr_count:     0
    .args:
      - .offset:         0
        .size:           96
        .value_kind:     by_value
    .group_segment_fixed_size: 7168
    .kernarg_segment_align: 8
    .kernarg_segment_size: 96
    .language:       OpenCL C
    .language_version:
      - 2
      - 0
    .max_flat_workgroup_size: 128
    .name:           _ZN7rocprim17ROCPRIM_400000_NS6detail17trampoline_kernelINS0_14default_configENS1_20scan_config_selectorIfEEZZNS1_9scan_implILNS1_25lookback_scan_determinismE0ELb1ELb1ES3_N6thrust23THRUST_200600_302600_NS6detail15normal_iteratorINS9_10device_ptrIjEEEENSB_INSC_IfEEEEfNS9_4plusIvEEfEEDaPvRmT3_T4_T5_mT6_P12ihipStream_tbENKUlT_T0_E_clISt17integral_constantIbLb0EESW_EEDaSR_SS_EUlSR_E_NS1_11comp_targetILNS1_3genE4ELNS1_11target_archE910ELNS1_3gpuE8ELNS1_3repE0EEENS1_30default_config_static_selectorELNS0_4arch9wavefront6targetE1EEEvT1_
    .private_segment_fixed_size: 0
    .sgpr_count:     35
    .sgpr_spill_count: 0
    .symbol:         _ZN7rocprim17ROCPRIM_400000_NS6detail17trampoline_kernelINS0_14default_configENS1_20scan_config_selectorIfEEZZNS1_9scan_implILNS1_25lookback_scan_determinismE0ELb1ELb1ES3_N6thrust23THRUST_200600_302600_NS6detail15normal_iteratorINS9_10device_ptrIjEEEENSB_INSC_IfEEEEfNS9_4plusIvEEfEEDaPvRmT3_T4_T5_mT6_P12ihipStream_tbENKUlT_T0_E_clISt17integral_constantIbLb0EESW_EEDaSR_SS_EUlSR_E_NS1_11comp_targetILNS1_3genE4ELNS1_11target_archE910ELNS1_3gpuE8ELNS1_3repE0EEENS1_30default_config_static_selectorELNS0_4arch9wavefront6targetE1EEEvT1_.kd
    .uniform_work_group_size: 1
    .uses_dynamic_stack: false
    .vgpr_count:     49
    .vgpr_spill_count: 0
    .wavefront_size: 64
  - .agpr_count:     0
    .args:
      - .offset:         0
        .size:           96
        .value_kind:     by_value
    .group_segment_fixed_size: 0
    .kernarg_segment_align: 8
    .kernarg_segment_size: 96
    .language:       OpenCL C
    .language_version:
      - 2
      - 0
    .max_flat_workgroup_size: 256
    .name:           _ZN7rocprim17ROCPRIM_400000_NS6detail17trampoline_kernelINS0_14default_configENS1_20scan_config_selectorIfEEZZNS1_9scan_implILNS1_25lookback_scan_determinismE0ELb1ELb1ES3_N6thrust23THRUST_200600_302600_NS6detail15normal_iteratorINS9_10device_ptrIjEEEENSB_INSC_IfEEEEfNS9_4plusIvEEfEEDaPvRmT3_T4_T5_mT6_P12ihipStream_tbENKUlT_T0_E_clISt17integral_constantIbLb0EESW_EEDaSR_SS_EUlSR_E_NS1_11comp_targetILNS1_3genE3ELNS1_11target_archE908ELNS1_3gpuE7ELNS1_3repE0EEENS1_30default_config_static_selectorELNS0_4arch9wavefront6targetE1EEEvT1_
    .private_segment_fixed_size: 0
    .sgpr_count:     4
    .sgpr_spill_count: 0
    .symbol:         _ZN7rocprim17ROCPRIM_400000_NS6detail17trampoline_kernelINS0_14default_configENS1_20scan_config_selectorIfEEZZNS1_9scan_implILNS1_25lookback_scan_determinismE0ELb1ELb1ES3_N6thrust23THRUST_200600_302600_NS6detail15normal_iteratorINS9_10device_ptrIjEEEENSB_INSC_IfEEEEfNS9_4plusIvEEfEEDaPvRmT3_T4_T5_mT6_P12ihipStream_tbENKUlT_T0_E_clISt17integral_constantIbLb0EESW_EEDaSR_SS_EUlSR_E_NS1_11comp_targetILNS1_3genE3ELNS1_11target_archE908ELNS1_3gpuE7ELNS1_3repE0EEENS1_30default_config_static_selectorELNS0_4arch9wavefront6targetE1EEEvT1_.kd
    .uniform_work_group_size: 1
    .uses_dynamic_stack: false
    .vgpr_count:     0
    .vgpr_spill_count: 0
    .wavefront_size: 64
  - .agpr_count:     0
    .args:
      - .offset:         0
        .size:           96
        .value_kind:     by_value
    .group_segment_fixed_size: 0
    .kernarg_segment_align: 8
    .kernarg_segment_size: 96
    .language:       OpenCL C
    .language_version:
      - 2
      - 0
    .max_flat_workgroup_size: 256
    .name:           _ZN7rocprim17ROCPRIM_400000_NS6detail17trampoline_kernelINS0_14default_configENS1_20scan_config_selectorIfEEZZNS1_9scan_implILNS1_25lookback_scan_determinismE0ELb1ELb1ES3_N6thrust23THRUST_200600_302600_NS6detail15normal_iteratorINS9_10device_ptrIjEEEENSB_INSC_IfEEEEfNS9_4plusIvEEfEEDaPvRmT3_T4_T5_mT6_P12ihipStream_tbENKUlT_T0_E_clISt17integral_constantIbLb0EESW_EEDaSR_SS_EUlSR_E_NS1_11comp_targetILNS1_3genE2ELNS1_11target_archE906ELNS1_3gpuE6ELNS1_3repE0EEENS1_30default_config_static_selectorELNS0_4arch9wavefront6targetE1EEEvT1_
    .private_segment_fixed_size: 0
    .sgpr_count:     4
    .sgpr_spill_count: 0
    .symbol:         _ZN7rocprim17ROCPRIM_400000_NS6detail17trampoline_kernelINS0_14default_configENS1_20scan_config_selectorIfEEZZNS1_9scan_implILNS1_25lookback_scan_determinismE0ELb1ELb1ES3_N6thrust23THRUST_200600_302600_NS6detail15normal_iteratorINS9_10device_ptrIjEEEENSB_INSC_IfEEEEfNS9_4plusIvEEfEEDaPvRmT3_T4_T5_mT6_P12ihipStream_tbENKUlT_T0_E_clISt17integral_constantIbLb0EESW_EEDaSR_SS_EUlSR_E_NS1_11comp_targetILNS1_3genE2ELNS1_11target_archE906ELNS1_3gpuE6ELNS1_3repE0EEENS1_30default_config_static_selectorELNS0_4arch9wavefront6targetE1EEEvT1_.kd
    .uniform_work_group_size: 1
    .uses_dynamic_stack: false
    .vgpr_count:     0
    .vgpr_spill_count: 0
    .wavefront_size: 64
  - .agpr_count:     0
    .args:
      - .offset:         0
        .size:           96
        .value_kind:     by_value
    .group_segment_fixed_size: 0
    .kernarg_segment_align: 8
    .kernarg_segment_size: 96
    .language:       OpenCL C
    .language_version:
      - 2
      - 0
    .max_flat_workgroup_size: 256
    .name:           _ZN7rocprim17ROCPRIM_400000_NS6detail17trampoline_kernelINS0_14default_configENS1_20scan_config_selectorIfEEZZNS1_9scan_implILNS1_25lookback_scan_determinismE0ELb1ELb1ES3_N6thrust23THRUST_200600_302600_NS6detail15normal_iteratorINS9_10device_ptrIjEEEENSB_INSC_IfEEEEfNS9_4plusIvEEfEEDaPvRmT3_T4_T5_mT6_P12ihipStream_tbENKUlT_T0_E_clISt17integral_constantIbLb0EESW_EEDaSR_SS_EUlSR_E_NS1_11comp_targetILNS1_3genE10ELNS1_11target_archE1201ELNS1_3gpuE5ELNS1_3repE0EEENS1_30default_config_static_selectorELNS0_4arch9wavefront6targetE1EEEvT1_
    .private_segment_fixed_size: 0
    .sgpr_count:     4
    .sgpr_spill_count: 0
    .symbol:         _ZN7rocprim17ROCPRIM_400000_NS6detail17trampoline_kernelINS0_14default_configENS1_20scan_config_selectorIfEEZZNS1_9scan_implILNS1_25lookback_scan_determinismE0ELb1ELb1ES3_N6thrust23THRUST_200600_302600_NS6detail15normal_iteratorINS9_10device_ptrIjEEEENSB_INSC_IfEEEEfNS9_4plusIvEEfEEDaPvRmT3_T4_T5_mT6_P12ihipStream_tbENKUlT_T0_E_clISt17integral_constantIbLb0EESW_EEDaSR_SS_EUlSR_E_NS1_11comp_targetILNS1_3genE10ELNS1_11target_archE1201ELNS1_3gpuE5ELNS1_3repE0EEENS1_30default_config_static_selectorELNS0_4arch9wavefront6targetE1EEEvT1_.kd
    .uniform_work_group_size: 1
    .uses_dynamic_stack: false
    .vgpr_count:     0
    .vgpr_spill_count: 0
    .wavefront_size: 64
  - .agpr_count:     0
    .args:
      - .offset:         0
        .size:           96
        .value_kind:     by_value
    .group_segment_fixed_size: 0
    .kernarg_segment_align: 8
    .kernarg_segment_size: 96
    .language:       OpenCL C
    .language_version:
      - 2
      - 0
    .max_flat_workgroup_size: 256
    .name:           _ZN7rocprim17ROCPRIM_400000_NS6detail17trampoline_kernelINS0_14default_configENS1_20scan_config_selectorIfEEZZNS1_9scan_implILNS1_25lookback_scan_determinismE0ELb1ELb1ES3_N6thrust23THRUST_200600_302600_NS6detail15normal_iteratorINS9_10device_ptrIjEEEENSB_INSC_IfEEEEfNS9_4plusIvEEfEEDaPvRmT3_T4_T5_mT6_P12ihipStream_tbENKUlT_T0_E_clISt17integral_constantIbLb0EESW_EEDaSR_SS_EUlSR_E_NS1_11comp_targetILNS1_3genE10ELNS1_11target_archE1200ELNS1_3gpuE4ELNS1_3repE0EEENS1_30default_config_static_selectorELNS0_4arch9wavefront6targetE1EEEvT1_
    .private_segment_fixed_size: 0
    .sgpr_count:     4
    .sgpr_spill_count: 0
    .symbol:         _ZN7rocprim17ROCPRIM_400000_NS6detail17trampoline_kernelINS0_14default_configENS1_20scan_config_selectorIfEEZZNS1_9scan_implILNS1_25lookback_scan_determinismE0ELb1ELb1ES3_N6thrust23THRUST_200600_302600_NS6detail15normal_iteratorINS9_10device_ptrIjEEEENSB_INSC_IfEEEEfNS9_4plusIvEEfEEDaPvRmT3_T4_T5_mT6_P12ihipStream_tbENKUlT_T0_E_clISt17integral_constantIbLb0EESW_EEDaSR_SS_EUlSR_E_NS1_11comp_targetILNS1_3genE10ELNS1_11target_archE1200ELNS1_3gpuE4ELNS1_3repE0EEENS1_30default_config_static_selectorELNS0_4arch9wavefront6targetE1EEEvT1_.kd
    .uniform_work_group_size: 1
    .uses_dynamic_stack: false
    .vgpr_count:     0
    .vgpr_spill_count: 0
    .wavefront_size: 64
  - .agpr_count:     0
    .args:
      - .offset:         0
        .size:           96
        .value_kind:     by_value
    .group_segment_fixed_size: 0
    .kernarg_segment_align: 8
    .kernarg_segment_size: 96
    .language:       OpenCL C
    .language_version:
      - 2
      - 0
    .max_flat_workgroup_size: 256
    .name:           _ZN7rocprim17ROCPRIM_400000_NS6detail17trampoline_kernelINS0_14default_configENS1_20scan_config_selectorIfEEZZNS1_9scan_implILNS1_25lookback_scan_determinismE0ELb1ELb1ES3_N6thrust23THRUST_200600_302600_NS6detail15normal_iteratorINS9_10device_ptrIjEEEENSB_INSC_IfEEEEfNS9_4plusIvEEfEEDaPvRmT3_T4_T5_mT6_P12ihipStream_tbENKUlT_T0_E_clISt17integral_constantIbLb0EESW_EEDaSR_SS_EUlSR_E_NS1_11comp_targetILNS1_3genE9ELNS1_11target_archE1100ELNS1_3gpuE3ELNS1_3repE0EEENS1_30default_config_static_selectorELNS0_4arch9wavefront6targetE1EEEvT1_
    .private_segment_fixed_size: 0
    .sgpr_count:     4
    .sgpr_spill_count: 0
    .symbol:         _ZN7rocprim17ROCPRIM_400000_NS6detail17trampoline_kernelINS0_14default_configENS1_20scan_config_selectorIfEEZZNS1_9scan_implILNS1_25lookback_scan_determinismE0ELb1ELb1ES3_N6thrust23THRUST_200600_302600_NS6detail15normal_iteratorINS9_10device_ptrIjEEEENSB_INSC_IfEEEEfNS9_4plusIvEEfEEDaPvRmT3_T4_T5_mT6_P12ihipStream_tbENKUlT_T0_E_clISt17integral_constantIbLb0EESW_EEDaSR_SS_EUlSR_E_NS1_11comp_targetILNS1_3genE9ELNS1_11target_archE1100ELNS1_3gpuE3ELNS1_3repE0EEENS1_30default_config_static_selectorELNS0_4arch9wavefront6targetE1EEEvT1_.kd
    .uniform_work_group_size: 1
    .uses_dynamic_stack: false
    .vgpr_count:     0
    .vgpr_spill_count: 0
    .wavefront_size: 64
  - .agpr_count:     0
    .args:
      - .offset:         0
        .size:           96
        .value_kind:     by_value
    .group_segment_fixed_size: 0
    .kernarg_segment_align: 8
    .kernarg_segment_size: 96
    .language:       OpenCL C
    .language_version:
      - 2
      - 0
    .max_flat_workgroup_size: 64
    .name:           _ZN7rocprim17ROCPRIM_400000_NS6detail17trampoline_kernelINS0_14default_configENS1_20scan_config_selectorIfEEZZNS1_9scan_implILNS1_25lookback_scan_determinismE0ELb1ELb1ES3_N6thrust23THRUST_200600_302600_NS6detail15normal_iteratorINS9_10device_ptrIjEEEENSB_INSC_IfEEEEfNS9_4plusIvEEfEEDaPvRmT3_T4_T5_mT6_P12ihipStream_tbENKUlT_T0_E_clISt17integral_constantIbLb0EESW_EEDaSR_SS_EUlSR_E_NS1_11comp_targetILNS1_3genE8ELNS1_11target_archE1030ELNS1_3gpuE2ELNS1_3repE0EEENS1_30default_config_static_selectorELNS0_4arch9wavefront6targetE1EEEvT1_
    .private_segment_fixed_size: 0
    .sgpr_count:     4
    .sgpr_spill_count: 0
    .symbol:         _ZN7rocprim17ROCPRIM_400000_NS6detail17trampoline_kernelINS0_14default_configENS1_20scan_config_selectorIfEEZZNS1_9scan_implILNS1_25lookback_scan_determinismE0ELb1ELb1ES3_N6thrust23THRUST_200600_302600_NS6detail15normal_iteratorINS9_10device_ptrIjEEEENSB_INSC_IfEEEEfNS9_4plusIvEEfEEDaPvRmT3_T4_T5_mT6_P12ihipStream_tbENKUlT_T0_E_clISt17integral_constantIbLb0EESW_EEDaSR_SS_EUlSR_E_NS1_11comp_targetILNS1_3genE8ELNS1_11target_archE1030ELNS1_3gpuE2ELNS1_3repE0EEENS1_30default_config_static_selectorELNS0_4arch9wavefront6targetE1EEEvT1_.kd
    .uniform_work_group_size: 1
    .uses_dynamic_stack: false
    .vgpr_count:     0
    .vgpr_spill_count: 0
    .wavefront_size: 64
  - .agpr_count:     0
    .args:
      - .offset:         0
        .size:           32
        .value_kind:     by_value
    .group_segment_fixed_size: 0
    .kernarg_segment_align: 8
    .kernarg_segment_size: 32
    .language:       OpenCL C
    .language_version:
      - 2
      - 0
    .max_flat_workgroup_size: 256
    .name:           _ZN7rocprim17ROCPRIM_400000_NS6detail17trampoline_kernelINS0_14default_configENS1_20scan_config_selectorIfEEZZNS1_9scan_implILNS1_25lookback_scan_determinismE0ELb1ELb1ES3_N6thrust23THRUST_200600_302600_NS6detail15normal_iteratorINS9_10device_ptrIjEEEENSB_INSC_IfEEEEfNS9_4plusIvEEfEEDaPvRmT3_T4_T5_mT6_P12ihipStream_tbENKUlT_T0_E_clISt17integral_constantIbLb0EESW_EEDaSR_SS_EUlSR_E0_NS1_11comp_targetILNS1_3genE0ELNS1_11target_archE4294967295ELNS1_3gpuE0ELNS1_3repE0EEENS1_30default_config_static_selectorELNS0_4arch9wavefront6targetE1EEEvT1_
    .private_segment_fixed_size: 0
    .sgpr_count:     4
    .sgpr_spill_count: 0
    .symbol:         _ZN7rocprim17ROCPRIM_400000_NS6detail17trampoline_kernelINS0_14default_configENS1_20scan_config_selectorIfEEZZNS1_9scan_implILNS1_25lookback_scan_determinismE0ELb1ELb1ES3_N6thrust23THRUST_200600_302600_NS6detail15normal_iteratorINS9_10device_ptrIjEEEENSB_INSC_IfEEEEfNS9_4plusIvEEfEEDaPvRmT3_T4_T5_mT6_P12ihipStream_tbENKUlT_T0_E_clISt17integral_constantIbLb0EESW_EEDaSR_SS_EUlSR_E0_NS1_11comp_targetILNS1_3genE0ELNS1_11target_archE4294967295ELNS1_3gpuE0ELNS1_3repE0EEENS1_30default_config_static_selectorELNS0_4arch9wavefront6targetE1EEEvT1_.kd
    .uniform_work_group_size: 1
    .uses_dynamic_stack: false
    .vgpr_count:     0
    .vgpr_spill_count: 0
    .wavefront_size: 64
  - .agpr_count:     0
    .args:
      - .offset:         0
        .size:           32
        .value_kind:     by_value
    .group_segment_fixed_size: 0
    .kernarg_segment_align: 8
    .kernarg_segment_size: 32
    .language:       OpenCL C
    .language_version:
      - 2
      - 0
    .max_flat_workgroup_size: 256
    .name:           _ZN7rocprim17ROCPRIM_400000_NS6detail17trampoline_kernelINS0_14default_configENS1_20scan_config_selectorIfEEZZNS1_9scan_implILNS1_25lookback_scan_determinismE0ELb1ELb1ES3_N6thrust23THRUST_200600_302600_NS6detail15normal_iteratorINS9_10device_ptrIjEEEENSB_INSC_IfEEEEfNS9_4plusIvEEfEEDaPvRmT3_T4_T5_mT6_P12ihipStream_tbENKUlT_T0_E_clISt17integral_constantIbLb0EESW_EEDaSR_SS_EUlSR_E0_NS1_11comp_targetILNS1_3genE5ELNS1_11target_archE942ELNS1_3gpuE9ELNS1_3repE0EEENS1_30default_config_static_selectorELNS0_4arch9wavefront6targetE1EEEvT1_
    .private_segment_fixed_size: 0
    .sgpr_count:     4
    .sgpr_spill_count: 0
    .symbol:         _ZN7rocprim17ROCPRIM_400000_NS6detail17trampoline_kernelINS0_14default_configENS1_20scan_config_selectorIfEEZZNS1_9scan_implILNS1_25lookback_scan_determinismE0ELb1ELb1ES3_N6thrust23THRUST_200600_302600_NS6detail15normal_iteratorINS9_10device_ptrIjEEEENSB_INSC_IfEEEEfNS9_4plusIvEEfEEDaPvRmT3_T4_T5_mT6_P12ihipStream_tbENKUlT_T0_E_clISt17integral_constantIbLb0EESW_EEDaSR_SS_EUlSR_E0_NS1_11comp_targetILNS1_3genE5ELNS1_11target_archE942ELNS1_3gpuE9ELNS1_3repE0EEENS1_30default_config_static_selectorELNS0_4arch9wavefront6targetE1EEEvT1_.kd
    .uniform_work_group_size: 1
    .uses_dynamic_stack: false
    .vgpr_count:     0
    .vgpr_spill_count: 0
    .wavefront_size: 64
  - .agpr_count:     0
    .args:
      - .offset:         0
        .size:           32
        .value_kind:     by_value
    .group_segment_fixed_size: 7168
    .kernarg_segment_align: 8
    .kernarg_segment_size: 32
    .language:       OpenCL C
    .language_version:
      - 2
      - 0
    .max_flat_workgroup_size: 128
    .name:           _ZN7rocprim17ROCPRIM_400000_NS6detail17trampoline_kernelINS0_14default_configENS1_20scan_config_selectorIfEEZZNS1_9scan_implILNS1_25lookback_scan_determinismE0ELb1ELb1ES3_N6thrust23THRUST_200600_302600_NS6detail15normal_iteratorINS9_10device_ptrIjEEEENSB_INSC_IfEEEEfNS9_4plusIvEEfEEDaPvRmT3_T4_T5_mT6_P12ihipStream_tbENKUlT_T0_E_clISt17integral_constantIbLb0EESW_EEDaSR_SS_EUlSR_E0_NS1_11comp_targetILNS1_3genE4ELNS1_11target_archE910ELNS1_3gpuE8ELNS1_3repE0EEENS1_30default_config_static_selectorELNS0_4arch9wavefront6targetE1EEEvT1_
    .private_segment_fixed_size: 0
    .sgpr_count:     42
    .sgpr_spill_count: 0
    .symbol:         _ZN7rocprim17ROCPRIM_400000_NS6detail17trampoline_kernelINS0_14default_configENS1_20scan_config_selectorIfEEZZNS1_9scan_implILNS1_25lookback_scan_determinismE0ELb1ELb1ES3_N6thrust23THRUST_200600_302600_NS6detail15normal_iteratorINS9_10device_ptrIjEEEENSB_INSC_IfEEEEfNS9_4plusIvEEfEEDaPvRmT3_T4_T5_mT6_P12ihipStream_tbENKUlT_T0_E_clISt17integral_constantIbLb0EESW_EEDaSR_SS_EUlSR_E0_NS1_11comp_targetILNS1_3genE4ELNS1_11target_archE910ELNS1_3gpuE8ELNS1_3repE0EEENS1_30default_config_static_selectorELNS0_4arch9wavefront6targetE1EEEvT1_.kd
    .uniform_work_group_size: 1
    .uses_dynamic_stack: false
    .vgpr_count:     24
    .vgpr_spill_count: 0
    .wavefront_size: 64
  - .agpr_count:     0
    .args:
      - .offset:         0
        .size:           32
        .value_kind:     by_value
    .group_segment_fixed_size: 0
    .kernarg_segment_align: 8
    .kernarg_segment_size: 32
    .language:       OpenCL C
    .language_version:
      - 2
      - 0
    .max_flat_workgroup_size: 256
    .name:           _ZN7rocprim17ROCPRIM_400000_NS6detail17trampoline_kernelINS0_14default_configENS1_20scan_config_selectorIfEEZZNS1_9scan_implILNS1_25lookback_scan_determinismE0ELb1ELb1ES3_N6thrust23THRUST_200600_302600_NS6detail15normal_iteratorINS9_10device_ptrIjEEEENSB_INSC_IfEEEEfNS9_4plusIvEEfEEDaPvRmT3_T4_T5_mT6_P12ihipStream_tbENKUlT_T0_E_clISt17integral_constantIbLb0EESW_EEDaSR_SS_EUlSR_E0_NS1_11comp_targetILNS1_3genE3ELNS1_11target_archE908ELNS1_3gpuE7ELNS1_3repE0EEENS1_30default_config_static_selectorELNS0_4arch9wavefront6targetE1EEEvT1_
    .private_segment_fixed_size: 0
    .sgpr_count:     4
    .sgpr_spill_count: 0
    .symbol:         _ZN7rocprim17ROCPRIM_400000_NS6detail17trampoline_kernelINS0_14default_configENS1_20scan_config_selectorIfEEZZNS1_9scan_implILNS1_25lookback_scan_determinismE0ELb1ELb1ES3_N6thrust23THRUST_200600_302600_NS6detail15normal_iteratorINS9_10device_ptrIjEEEENSB_INSC_IfEEEEfNS9_4plusIvEEfEEDaPvRmT3_T4_T5_mT6_P12ihipStream_tbENKUlT_T0_E_clISt17integral_constantIbLb0EESW_EEDaSR_SS_EUlSR_E0_NS1_11comp_targetILNS1_3genE3ELNS1_11target_archE908ELNS1_3gpuE7ELNS1_3repE0EEENS1_30default_config_static_selectorELNS0_4arch9wavefront6targetE1EEEvT1_.kd
    .uniform_work_group_size: 1
    .uses_dynamic_stack: false
    .vgpr_count:     0
    .vgpr_spill_count: 0
    .wavefront_size: 64
  - .agpr_count:     0
    .args:
      - .offset:         0
        .size:           32
        .value_kind:     by_value
    .group_segment_fixed_size: 0
    .kernarg_segment_align: 8
    .kernarg_segment_size: 32
    .language:       OpenCL C
    .language_version:
      - 2
      - 0
    .max_flat_workgroup_size: 256
    .name:           _ZN7rocprim17ROCPRIM_400000_NS6detail17trampoline_kernelINS0_14default_configENS1_20scan_config_selectorIfEEZZNS1_9scan_implILNS1_25lookback_scan_determinismE0ELb1ELb1ES3_N6thrust23THRUST_200600_302600_NS6detail15normal_iteratorINS9_10device_ptrIjEEEENSB_INSC_IfEEEEfNS9_4plusIvEEfEEDaPvRmT3_T4_T5_mT6_P12ihipStream_tbENKUlT_T0_E_clISt17integral_constantIbLb0EESW_EEDaSR_SS_EUlSR_E0_NS1_11comp_targetILNS1_3genE2ELNS1_11target_archE906ELNS1_3gpuE6ELNS1_3repE0EEENS1_30default_config_static_selectorELNS0_4arch9wavefront6targetE1EEEvT1_
    .private_segment_fixed_size: 0
    .sgpr_count:     4
    .sgpr_spill_count: 0
    .symbol:         _ZN7rocprim17ROCPRIM_400000_NS6detail17trampoline_kernelINS0_14default_configENS1_20scan_config_selectorIfEEZZNS1_9scan_implILNS1_25lookback_scan_determinismE0ELb1ELb1ES3_N6thrust23THRUST_200600_302600_NS6detail15normal_iteratorINS9_10device_ptrIjEEEENSB_INSC_IfEEEEfNS9_4plusIvEEfEEDaPvRmT3_T4_T5_mT6_P12ihipStream_tbENKUlT_T0_E_clISt17integral_constantIbLb0EESW_EEDaSR_SS_EUlSR_E0_NS1_11comp_targetILNS1_3genE2ELNS1_11target_archE906ELNS1_3gpuE6ELNS1_3repE0EEENS1_30default_config_static_selectorELNS0_4arch9wavefront6targetE1EEEvT1_.kd
    .uniform_work_group_size: 1
    .uses_dynamic_stack: false
    .vgpr_count:     0
    .vgpr_spill_count: 0
    .wavefront_size: 64
  - .agpr_count:     0
    .args:
      - .offset:         0
        .size:           32
        .value_kind:     by_value
    .group_segment_fixed_size: 0
    .kernarg_segment_align: 8
    .kernarg_segment_size: 32
    .language:       OpenCL C
    .language_version:
      - 2
      - 0
    .max_flat_workgroup_size: 256
    .name:           _ZN7rocprim17ROCPRIM_400000_NS6detail17trampoline_kernelINS0_14default_configENS1_20scan_config_selectorIfEEZZNS1_9scan_implILNS1_25lookback_scan_determinismE0ELb1ELb1ES3_N6thrust23THRUST_200600_302600_NS6detail15normal_iteratorINS9_10device_ptrIjEEEENSB_INSC_IfEEEEfNS9_4plusIvEEfEEDaPvRmT3_T4_T5_mT6_P12ihipStream_tbENKUlT_T0_E_clISt17integral_constantIbLb0EESW_EEDaSR_SS_EUlSR_E0_NS1_11comp_targetILNS1_3genE10ELNS1_11target_archE1201ELNS1_3gpuE5ELNS1_3repE0EEENS1_30default_config_static_selectorELNS0_4arch9wavefront6targetE1EEEvT1_
    .private_segment_fixed_size: 0
    .sgpr_count:     4
    .sgpr_spill_count: 0
    .symbol:         _ZN7rocprim17ROCPRIM_400000_NS6detail17trampoline_kernelINS0_14default_configENS1_20scan_config_selectorIfEEZZNS1_9scan_implILNS1_25lookback_scan_determinismE0ELb1ELb1ES3_N6thrust23THRUST_200600_302600_NS6detail15normal_iteratorINS9_10device_ptrIjEEEENSB_INSC_IfEEEEfNS9_4plusIvEEfEEDaPvRmT3_T4_T5_mT6_P12ihipStream_tbENKUlT_T0_E_clISt17integral_constantIbLb0EESW_EEDaSR_SS_EUlSR_E0_NS1_11comp_targetILNS1_3genE10ELNS1_11target_archE1201ELNS1_3gpuE5ELNS1_3repE0EEENS1_30default_config_static_selectorELNS0_4arch9wavefront6targetE1EEEvT1_.kd
    .uniform_work_group_size: 1
    .uses_dynamic_stack: false
    .vgpr_count:     0
    .vgpr_spill_count: 0
    .wavefront_size: 64
  - .agpr_count:     0
    .args:
      - .offset:         0
        .size:           32
        .value_kind:     by_value
    .group_segment_fixed_size: 0
    .kernarg_segment_align: 8
    .kernarg_segment_size: 32
    .language:       OpenCL C
    .language_version:
      - 2
      - 0
    .max_flat_workgroup_size: 256
    .name:           _ZN7rocprim17ROCPRIM_400000_NS6detail17trampoline_kernelINS0_14default_configENS1_20scan_config_selectorIfEEZZNS1_9scan_implILNS1_25lookback_scan_determinismE0ELb1ELb1ES3_N6thrust23THRUST_200600_302600_NS6detail15normal_iteratorINS9_10device_ptrIjEEEENSB_INSC_IfEEEEfNS9_4plusIvEEfEEDaPvRmT3_T4_T5_mT6_P12ihipStream_tbENKUlT_T0_E_clISt17integral_constantIbLb0EESW_EEDaSR_SS_EUlSR_E0_NS1_11comp_targetILNS1_3genE10ELNS1_11target_archE1200ELNS1_3gpuE4ELNS1_3repE0EEENS1_30default_config_static_selectorELNS0_4arch9wavefront6targetE1EEEvT1_
    .private_segment_fixed_size: 0
    .sgpr_count:     4
    .sgpr_spill_count: 0
    .symbol:         _ZN7rocprim17ROCPRIM_400000_NS6detail17trampoline_kernelINS0_14default_configENS1_20scan_config_selectorIfEEZZNS1_9scan_implILNS1_25lookback_scan_determinismE0ELb1ELb1ES3_N6thrust23THRUST_200600_302600_NS6detail15normal_iteratorINS9_10device_ptrIjEEEENSB_INSC_IfEEEEfNS9_4plusIvEEfEEDaPvRmT3_T4_T5_mT6_P12ihipStream_tbENKUlT_T0_E_clISt17integral_constantIbLb0EESW_EEDaSR_SS_EUlSR_E0_NS1_11comp_targetILNS1_3genE10ELNS1_11target_archE1200ELNS1_3gpuE4ELNS1_3repE0EEENS1_30default_config_static_selectorELNS0_4arch9wavefront6targetE1EEEvT1_.kd
    .uniform_work_group_size: 1
    .uses_dynamic_stack: false
    .vgpr_count:     0
    .vgpr_spill_count: 0
    .wavefront_size: 64
  - .agpr_count:     0
    .args:
      - .offset:         0
        .size:           32
        .value_kind:     by_value
    .group_segment_fixed_size: 0
    .kernarg_segment_align: 8
    .kernarg_segment_size: 32
    .language:       OpenCL C
    .language_version:
      - 2
      - 0
    .max_flat_workgroup_size: 256
    .name:           _ZN7rocprim17ROCPRIM_400000_NS6detail17trampoline_kernelINS0_14default_configENS1_20scan_config_selectorIfEEZZNS1_9scan_implILNS1_25lookback_scan_determinismE0ELb1ELb1ES3_N6thrust23THRUST_200600_302600_NS6detail15normal_iteratorINS9_10device_ptrIjEEEENSB_INSC_IfEEEEfNS9_4plusIvEEfEEDaPvRmT3_T4_T5_mT6_P12ihipStream_tbENKUlT_T0_E_clISt17integral_constantIbLb0EESW_EEDaSR_SS_EUlSR_E0_NS1_11comp_targetILNS1_3genE9ELNS1_11target_archE1100ELNS1_3gpuE3ELNS1_3repE0EEENS1_30default_config_static_selectorELNS0_4arch9wavefront6targetE1EEEvT1_
    .private_segment_fixed_size: 0
    .sgpr_count:     4
    .sgpr_spill_count: 0
    .symbol:         _ZN7rocprim17ROCPRIM_400000_NS6detail17trampoline_kernelINS0_14default_configENS1_20scan_config_selectorIfEEZZNS1_9scan_implILNS1_25lookback_scan_determinismE0ELb1ELb1ES3_N6thrust23THRUST_200600_302600_NS6detail15normal_iteratorINS9_10device_ptrIjEEEENSB_INSC_IfEEEEfNS9_4plusIvEEfEEDaPvRmT3_T4_T5_mT6_P12ihipStream_tbENKUlT_T0_E_clISt17integral_constantIbLb0EESW_EEDaSR_SS_EUlSR_E0_NS1_11comp_targetILNS1_3genE9ELNS1_11target_archE1100ELNS1_3gpuE3ELNS1_3repE0EEENS1_30default_config_static_selectorELNS0_4arch9wavefront6targetE1EEEvT1_.kd
    .uniform_work_group_size: 1
    .uses_dynamic_stack: false
    .vgpr_count:     0
    .vgpr_spill_count: 0
    .wavefront_size: 64
  - .agpr_count:     0
    .args:
      - .offset:         0
        .size:           32
        .value_kind:     by_value
    .group_segment_fixed_size: 0
    .kernarg_segment_align: 8
    .kernarg_segment_size: 32
    .language:       OpenCL C
    .language_version:
      - 2
      - 0
    .max_flat_workgroup_size: 64
    .name:           _ZN7rocprim17ROCPRIM_400000_NS6detail17trampoline_kernelINS0_14default_configENS1_20scan_config_selectorIfEEZZNS1_9scan_implILNS1_25lookback_scan_determinismE0ELb1ELb1ES3_N6thrust23THRUST_200600_302600_NS6detail15normal_iteratorINS9_10device_ptrIjEEEENSB_INSC_IfEEEEfNS9_4plusIvEEfEEDaPvRmT3_T4_T5_mT6_P12ihipStream_tbENKUlT_T0_E_clISt17integral_constantIbLb0EESW_EEDaSR_SS_EUlSR_E0_NS1_11comp_targetILNS1_3genE8ELNS1_11target_archE1030ELNS1_3gpuE2ELNS1_3repE0EEENS1_30default_config_static_selectorELNS0_4arch9wavefront6targetE1EEEvT1_
    .private_segment_fixed_size: 0
    .sgpr_count:     4
    .sgpr_spill_count: 0
    .symbol:         _ZN7rocprim17ROCPRIM_400000_NS6detail17trampoline_kernelINS0_14default_configENS1_20scan_config_selectorIfEEZZNS1_9scan_implILNS1_25lookback_scan_determinismE0ELb1ELb1ES3_N6thrust23THRUST_200600_302600_NS6detail15normal_iteratorINS9_10device_ptrIjEEEENSB_INSC_IfEEEEfNS9_4plusIvEEfEEDaPvRmT3_T4_T5_mT6_P12ihipStream_tbENKUlT_T0_E_clISt17integral_constantIbLb0EESW_EEDaSR_SS_EUlSR_E0_NS1_11comp_targetILNS1_3genE8ELNS1_11target_archE1030ELNS1_3gpuE2ELNS1_3repE0EEENS1_30default_config_static_selectorELNS0_4arch9wavefront6targetE1EEEvT1_.kd
    .uniform_work_group_size: 1
    .uses_dynamic_stack: false
    .vgpr_count:     0
    .vgpr_spill_count: 0
    .wavefront_size: 64
  - .agpr_count:     0
    .args:
      - .offset:         0
        .size:           96
        .value_kind:     by_value
    .group_segment_fixed_size: 0
    .kernarg_segment_align: 8
    .kernarg_segment_size: 96
    .language:       OpenCL C
    .language_version:
      - 2
      - 0
    .max_flat_workgroup_size: 256
    .name:           _ZN7rocprim17ROCPRIM_400000_NS6detail17trampoline_kernelINS0_14default_configENS1_20scan_config_selectorIfEEZZNS1_9scan_implILNS1_25lookback_scan_determinismE0ELb1ELb1ES3_N6thrust23THRUST_200600_302600_NS6detail15normal_iteratorINS9_10device_ptrIjEEEENSB_INSC_IfEEEEfNS9_4plusIvEEfEEDaPvRmT3_T4_T5_mT6_P12ihipStream_tbENKUlT_T0_E_clISt17integral_constantIbLb1EESW_EEDaSR_SS_EUlSR_E_NS1_11comp_targetILNS1_3genE0ELNS1_11target_archE4294967295ELNS1_3gpuE0ELNS1_3repE0EEENS1_30default_config_static_selectorELNS0_4arch9wavefront6targetE1EEEvT1_
    .private_segment_fixed_size: 0
    .sgpr_count:     4
    .sgpr_spill_count: 0
    .symbol:         _ZN7rocprim17ROCPRIM_400000_NS6detail17trampoline_kernelINS0_14default_configENS1_20scan_config_selectorIfEEZZNS1_9scan_implILNS1_25lookback_scan_determinismE0ELb1ELb1ES3_N6thrust23THRUST_200600_302600_NS6detail15normal_iteratorINS9_10device_ptrIjEEEENSB_INSC_IfEEEEfNS9_4plusIvEEfEEDaPvRmT3_T4_T5_mT6_P12ihipStream_tbENKUlT_T0_E_clISt17integral_constantIbLb1EESW_EEDaSR_SS_EUlSR_E_NS1_11comp_targetILNS1_3genE0ELNS1_11target_archE4294967295ELNS1_3gpuE0ELNS1_3repE0EEENS1_30default_config_static_selectorELNS0_4arch9wavefront6targetE1EEEvT1_.kd
    .uniform_work_group_size: 1
    .uses_dynamic_stack: false
    .vgpr_count:     0
    .vgpr_spill_count: 0
    .wavefront_size: 64
  - .agpr_count:     0
    .args:
      - .offset:         0
        .size:           96
        .value_kind:     by_value
    .group_segment_fixed_size: 0
    .kernarg_segment_align: 8
    .kernarg_segment_size: 96
    .language:       OpenCL C
    .language_version:
      - 2
      - 0
    .max_flat_workgroup_size: 256
    .name:           _ZN7rocprim17ROCPRIM_400000_NS6detail17trampoline_kernelINS0_14default_configENS1_20scan_config_selectorIfEEZZNS1_9scan_implILNS1_25lookback_scan_determinismE0ELb1ELb1ES3_N6thrust23THRUST_200600_302600_NS6detail15normal_iteratorINS9_10device_ptrIjEEEENSB_INSC_IfEEEEfNS9_4plusIvEEfEEDaPvRmT3_T4_T5_mT6_P12ihipStream_tbENKUlT_T0_E_clISt17integral_constantIbLb1EESW_EEDaSR_SS_EUlSR_E_NS1_11comp_targetILNS1_3genE5ELNS1_11target_archE942ELNS1_3gpuE9ELNS1_3repE0EEENS1_30default_config_static_selectorELNS0_4arch9wavefront6targetE1EEEvT1_
    .private_segment_fixed_size: 0
    .sgpr_count:     4
    .sgpr_spill_count: 0
    .symbol:         _ZN7rocprim17ROCPRIM_400000_NS6detail17trampoline_kernelINS0_14default_configENS1_20scan_config_selectorIfEEZZNS1_9scan_implILNS1_25lookback_scan_determinismE0ELb1ELb1ES3_N6thrust23THRUST_200600_302600_NS6detail15normal_iteratorINS9_10device_ptrIjEEEENSB_INSC_IfEEEEfNS9_4plusIvEEfEEDaPvRmT3_T4_T5_mT6_P12ihipStream_tbENKUlT_T0_E_clISt17integral_constantIbLb1EESW_EEDaSR_SS_EUlSR_E_NS1_11comp_targetILNS1_3genE5ELNS1_11target_archE942ELNS1_3gpuE9ELNS1_3repE0EEENS1_30default_config_static_selectorELNS0_4arch9wavefront6targetE1EEEvT1_.kd
    .uniform_work_group_size: 1
    .uses_dynamic_stack: false
    .vgpr_count:     0
    .vgpr_spill_count: 0
    .wavefront_size: 64
  - .agpr_count:     0
    .args:
      - .offset:         0
        .size:           96
        .value_kind:     by_value
    .group_segment_fixed_size: 7168
    .kernarg_segment_align: 8
    .kernarg_segment_size: 96
    .language:       OpenCL C
    .language_version:
      - 2
      - 0
    .max_flat_workgroup_size: 128
    .name:           _ZN7rocprim17ROCPRIM_400000_NS6detail17trampoline_kernelINS0_14default_configENS1_20scan_config_selectorIfEEZZNS1_9scan_implILNS1_25lookback_scan_determinismE0ELb1ELb1ES3_N6thrust23THRUST_200600_302600_NS6detail15normal_iteratorINS9_10device_ptrIjEEEENSB_INSC_IfEEEEfNS9_4plusIvEEfEEDaPvRmT3_T4_T5_mT6_P12ihipStream_tbENKUlT_T0_E_clISt17integral_constantIbLb1EESW_EEDaSR_SS_EUlSR_E_NS1_11comp_targetILNS1_3genE4ELNS1_11target_archE910ELNS1_3gpuE8ELNS1_3repE0EEENS1_30default_config_static_selectorELNS0_4arch9wavefront6targetE1EEEvT1_
    .private_segment_fixed_size: 0
    .sgpr_count:     45
    .sgpr_spill_count: 0
    .symbol:         _ZN7rocprim17ROCPRIM_400000_NS6detail17trampoline_kernelINS0_14default_configENS1_20scan_config_selectorIfEEZZNS1_9scan_implILNS1_25lookback_scan_determinismE0ELb1ELb1ES3_N6thrust23THRUST_200600_302600_NS6detail15normal_iteratorINS9_10device_ptrIjEEEENSB_INSC_IfEEEEfNS9_4plusIvEEfEEDaPvRmT3_T4_T5_mT6_P12ihipStream_tbENKUlT_T0_E_clISt17integral_constantIbLb1EESW_EEDaSR_SS_EUlSR_E_NS1_11comp_targetILNS1_3genE4ELNS1_11target_archE910ELNS1_3gpuE8ELNS1_3repE0EEENS1_30default_config_static_selectorELNS0_4arch9wavefront6targetE1EEEvT1_.kd
    .uniform_work_group_size: 1
    .uses_dynamic_stack: false
    .vgpr_count:     49
    .vgpr_spill_count: 0
    .wavefront_size: 64
  - .agpr_count:     0
    .args:
      - .offset:         0
        .size:           96
        .value_kind:     by_value
    .group_segment_fixed_size: 0
    .kernarg_segment_align: 8
    .kernarg_segment_size: 96
    .language:       OpenCL C
    .language_version:
      - 2
      - 0
    .max_flat_workgroup_size: 256
    .name:           _ZN7rocprim17ROCPRIM_400000_NS6detail17trampoline_kernelINS0_14default_configENS1_20scan_config_selectorIfEEZZNS1_9scan_implILNS1_25lookback_scan_determinismE0ELb1ELb1ES3_N6thrust23THRUST_200600_302600_NS6detail15normal_iteratorINS9_10device_ptrIjEEEENSB_INSC_IfEEEEfNS9_4plusIvEEfEEDaPvRmT3_T4_T5_mT6_P12ihipStream_tbENKUlT_T0_E_clISt17integral_constantIbLb1EESW_EEDaSR_SS_EUlSR_E_NS1_11comp_targetILNS1_3genE3ELNS1_11target_archE908ELNS1_3gpuE7ELNS1_3repE0EEENS1_30default_config_static_selectorELNS0_4arch9wavefront6targetE1EEEvT1_
    .private_segment_fixed_size: 0
    .sgpr_count:     4
    .sgpr_spill_count: 0
    .symbol:         _ZN7rocprim17ROCPRIM_400000_NS6detail17trampoline_kernelINS0_14default_configENS1_20scan_config_selectorIfEEZZNS1_9scan_implILNS1_25lookback_scan_determinismE0ELb1ELb1ES3_N6thrust23THRUST_200600_302600_NS6detail15normal_iteratorINS9_10device_ptrIjEEEENSB_INSC_IfEEEEfNS9_4plusIvEEfEEDaPvRmT3_T4_T5_mT6_P12ihipStream_tbENKUlT_T0_E_clISt17integral_constantIbLb1EESW_EEDaSR_SS_EUlSR_E_NS1_11comp_targetILNS1_3genE3ELNS1_11target_archE908ELNS1_3gpuE7ELNS1_3repE0EEENS1_30default_config_static_selectorELNS0_4arch9wavefront6targetE1EEEvT1_.kd
    .uniform_work_group_size: 1
    .uses_dynamic_stack: false
    .vgpr_count:     0
    .vgpr_spill_count: 0
    .wavefront_size: 64
  - .agpr_count:     0
    .args:
      - .offset:         0
        .size:           96
        .value_kind:     by_value
    .group_segment_fixed_size: 0
    .kernarg_segment_align: 8
    .kernarg_segment_size: 96
    .language:       OpenCL C
    .language_version:
      - 2
      - 0
    .max_flat_workgroup_size: 256
    .name:           _ZN7rocprim17ROCPRIM_400000_NS6detail17trampoline_kernelINS0_14default_configENS1_20scan_config_selectorIfEEZZNS1_9scan_implILNS1_25lookback_scan_determinismE0ELb1ELb1ES3_N6thrust23THRUST_200600_302600_NS6detail15normal_iteratorINS9_10device_ptrIjEEEENSB_INSC_IfEEEEfNS9_4plusIvEEfEEDaPvRmT3_T4_T5_mT6_P12ihipStream_tbENKUlT_T0_E_clISt17integral_constantIbLb1EESW_EEDaSR_SS_EUlSR_E_NS1_11comp_targetILNS1_3genE2ELNS1_11target_archE906ELNS1_3gpuE6ELNS1_3repE0EEENS1_30default_config_static_selectorELNS0_4arch9wavefront6targetE1EEEvT1_
    .private_segment_fixed_size: 0
    .sgpr_count:     4
    .sgpr_spill_count: 0
    .symbol:         _ZN7rocprim17ROCPRIM_400000_NS6detail17trampoline_kernelINS0_14default_configENS1_20scan_config_selectorIfEEZZNS1_9scan_implILNS1_25lookback_scan_determinismE0ELb1ELb1ES3_N6thrust23THRUST_200600_302600_NS6detail15normal_iteratorINS9_10device_ptrIjEEEENSB_INSC_IfEEEEfNS9_4plusIvEEfEEDaPvRmT3_T4_T5_mT6_P12ihipStream_tbENKUlT_T0_E_clISt17integral_constantIbLb1EESW_EEDaSR_SS_EUlSR_E_NS1_11comp_targetILNS1_3genE2ELNS1_11target_archE906ELNS1_3gpuE6ELNS1_3repE0EEENS1_30default_config_static_selectorELNS0_4arch9wavefront6targetE1EEEvT1_.kd
    .uniform_work_group_size: 1
    .uses_dynamic_stack: false
    .vgpr_count:     0
    .vgpr_spill_count: 0
    .wavefront_size: 64
  - .agpr_count:     0
    .args:
      - .offset:         0
        .size:           96
        .value_kind:     by_value
    .group_segment_fixed_size: 0
    .kernarg_segment_align: 8
    .kernarg_segment_size: 96
    .language:       OpenCL C
    .language_version:
      - 2
      - 0
    .max_flat_workgroup_size: 256
    .name:           _ZN7rocprim17ROCPRIM_400000_NS6detail17trampoline_kernelINS0_14default_configENS1_20scan_config_selectorIfEEZZNS1_9scan_implILNS1_25lookback_scan_determinismE0ELb1ELb1ES3_N6thrust23THRUST_200600_302600_NS6detail15normal_iteratorINS9_10device_ptrIjEEEENSB_INSC_IfEEEEfNS9_4plusIvEEfEEDaPvRmT3_T4_T5_mT6_P12ihipStream_tbENKUlT_T0_E_clISt17integral_constantIbLb1EESW_EEDaSR_SS_EUlSR_E_NS1_11comp_targetILNS1_3genE10ELNS1_11target_archE1201ELNS1_3gpuE5ELNS1_3repE0EEENS1_30default_config_static_selectorELNS0_4arch9wavefront6targetE1EEEvT1_
    .private_segment_fixed_size: 0
    .sgpr_count:     4
    .sgpr_spill_count: 0
    .symbol:         _ZN7rocprim17ROCPRIM_400000_NS6detail17trampoline_kernelINS0_14default_configENS1_20scan_config_selectorIfEEZZNS1_9scan_implILNS1_25lookback_scan_determinismE0ELb1ELb1ES3_N6thrust23THRUST_200600_302600_NS6detail15normal_iteratorINS9_10device_ptrIjEEEENSB_INSC_IfEEEEfNS9_4plusIvEEfEEDaPvRmT3_T4_T5_mT6_P12ihipStream_tbENKUlT_T0_E_clISt17integral_constantIbLb1EESW_EEDaSR_SS_EUlSR_E_NS1_11comp_targetILNS1_3genE10ELNS1_11target_archE1201ELNS1_3gpuE5ELNS1_3repE0EEENS1_30default_config_static_selectorELNS0_4arch9wavefront6targetE1EEEvT1_.kd
    .uniform_work_group_size: 1
    .uses_dynamic_stack: false
    .vgpr_count:     0
    .vgpr_spill_count: 0
    .wavefront_size: 64
  - .agpr_count:     0
    .args:
      - .offset:         0
        .size:           96
        .value_kind:     by_value
    .group_segment_fixed_size: 0
    .kernarg_segment_align: 8
    .kernarg_segment_size: 96
    .language:       OpenCL C
    .language_version:
      - 2
      - 0
    .max_flat_workgroup_size: 256
    .name:           _ZN7rocprim17ROCPRIM_400000_NS6detail17trampoline_kernelINS0_14default_configENS1_20scan_config_selectorIfEEZZNS1_9scan_implILNS1_25lookback_scan_determinismE0ELb1ELb1ES3_N6thrust23THRUST_200600_302600_NS6detail15normal_iteratorINS9_10device_ptrIjEEEENSB_INSC_IfEEEEfNS9_4plusIvEEfEEDaPvRmT3_T4_T5_mT6_P12ihipStream_tbENKUlT_T0_E_clISt17integral_constantIbLb1EESW_EEDaSR_SS_EUlSR_E_NS1_11comp_targetILNS1_3genE10ELNS1_11target_archE1200ELNS1_3gpuE4ELNS1_3repE0EEENS1_30default_config_static_selectorELNS0_4arch9wavefront6targetE1EEEvT1_
    .private_segment_fixed_size: 0
    .sgpr_count:     4
    .sgpr_spill_count: 0
    .symbol:         _ZN7rocprim17ROCPRIM_400000_NS6detail17trampoline_kernelINS0_14default_configENS1_20scan_config_selectorIfEEZZNS1_9scan_implILNS1_25lookback_scan_determinismE0ELb1ELb1ES3_N6thrust23THRUST_200600_302600_NS6detail15normal_iteratorINS9_10device_ptrIjEEEENSB_INSC_IfEEEEfNS9_4plusIvEEfEEDaPvRmT3_T4_T5_mT6_P12ihipStream_tbENKUlT_T0_E_clISt17integral_constantIbLb1EESW_EEDaSR_SS_EUlSR_E_NS1_11comp_targetILNS1_3genE10ELNS1_11target_archE1200ELNS1_3gpuE4ELNS1_3repE0EEENS1_30default_config_static_selectorELNS0_4arch9wavefront6targetE1EEEvT1_.kd
    .uniform_work_group_size: 1
    .uses_dynamic_stack: false
    .vgpr_count:     0
    .vgpr_spill_count: 0
    .wavefront_size: 64
  - .agpr_count:     0
    .args:
      - .offset:         0
        .size:           96
        .value_kind:     by_value
    .group_segment_fixed_size: 0
    .kernarg_segment_align: 8
    .kernarg_segment_size: 96
    .language:       OpenCL C
    .language_version:
      - 2
      - 0
    .max_flat_workgroup_size: 256
    .name:           _ZN7rocprim17ROCPRIM_400000_NS6detail17trampoline_kernelINS0_14default_configENS1_20scan_config_selectorIfEEZZNS1_9scan_implILNS1_25lookback_scan_determinismE0ELb1ELb1ES3_N6thrust23THRUST_200600_302600_NS6detail15normal_iteratorINS9_10device_ptrIjEEEENSB_INSC_IfEEEEfNS9_4plusIvEEfEEDaPvRmT3_T4_T5_mT6_P12ihipStream_tbENKUlT_T0_E_clISt17integral_constantIbLb1EESW_EEDaSR_SS_EUlSR_E_NS1_11comp_targetILNS1_3genE9ELNS1_11target_archE1100ELNS1_3gpuE3ELNS1_3repE0EEENS1_30default_config_static_selectorELNS0_4arch9wavefront6targetE1EEEvT1_
    .private_segment_fixed_size: 0
    .sgpr_count:     4
    .sgpr_spill_count: 0
    .symbol:         _ZN7rocprim17ROCPRIM_400000_NS6detail17trampoline_kernelINS0_14default_configENS1_20scan_config_selectorIfEEZZNS1_9scan_implILNS1_25lookback_scan_determinismE0ELb1ELb1ES3_N6thrust23THRUST_200600_302600_NS6detail15normal_iteratorINS9_10device_ptrIjEEEENSB_INSC_IfEEEEfNS9_4plusIvEEfEEDaPvRmT3_T4_T5_mT6_P12ihipStream_tbENKUlT_T0_E_clISt17integral_constantIbLb1EESW_EEDaSR_SS_EUlSR_E_NS1_11comp_targetILNS1_3genE9ELNS1_11target_archE1100ELNS1_3gpuE3ELNS1_3repE0EEENS1_30default_config_static_selectorELNS0_4arch9wavefront6targetE1EEEvT1_.kd
    .uniform_work_group_size: 1
    .uses_dynamic_stack: false
    .vgpr_count:     0
    .vgpr_spill_count: 0
    .wavefront_size: 64
  - .agpr_count:     0
    .args:
      - .offset:         0
        .size:           96
        .value_kind:     by_value
    .group_segment_fixed_size: 0
    .kernarg_segment_align: 8
    .kernarg_segment_size: 96
    .language:       OpenCL C
    .language_version:
      - 2
      - 0
    .max_flat_workgroup_size: 64
    .name:           _ZN7rocprim17ROCPRIM_400000_NS6detail17trampoline_kernelINS0_14default_configENS1_20scan_config_selectorIfEEZZNS1_9scan_implILNS1_25lookback_scan_determinismE0ELb1ELb1ES3_N6thrust23THRUST_200600_302600_NS6detail15normal_iteratorINS9_10device_ptrIjEEEENSB_INSC_IfEEEEfNS9_4plusIvEEfEEDaPvRmT3_T4_T5_mT6_P12ihipStream_tbENKUlT_T0_E_clISt17integral_constantIbLb1EESW_EEDaSR_SS_EUlSR_E_NS1_11comp_targetILNS1_3genE8ELNS1_11target_archE1030ELNS1_3gpuE2ELNS1_3repE0EEENS1_30default_config_static_selectorELNS0_4arch9wavefront6targetE1EEEvT1_
    .private_segment_fixed_size: 0
    .sgpr_count:     4
    .sgpr_spill_count: 0
    .symbol:         _ZN7rocprim17ROCPRIM_400000_NS6detail17trampoline_kernelINS0_14default_configENS1_20scan_config_selectorIfEEZZNS1_9scan_implILNS1_25lookback_scan_determinismE0ELb1ELb1ES3_N6thrust23THRUST_200600_302600_NS6detail15normal_iteratorINS9_10device_ptrIjEEEENSB_INSC_IfEEEEfNS9_4plusIvEEfEEDaPvRmT3_T4_T5_mT6_P12ihipStream_tbENKUlT_T0_E_clISt17integral_constantIbLb1EESW_EEDaSR_SS_EUlSR_E_NS1_11comp_targetILNS1_3genE8ELNS1_11target_archE1030ELNS1_3gpuE2ELNS1_3repE0EEENS1_30default_config_static_selectorELNS0_4arch9wavefront6targetE1EEEvT1_.kd
    .uniform_work_group_size: 1
    .uses_dynamic_stack: false
    .vgpr_count:     0
    .vgpr_spill_count: 0
    .wavefront_size: 64
  - .agpr_count:     0
    .args:
      - .offset:         0
        .size:           32
        .value_kind:     by_value
    .group_segment_fixed_size: 0
    .kernarg_segment_align: 8
    .kernarg_segment_size: 32
    .language:       OpenCL C
    .language_version:
      - 2
      - 0
    .max_flat_workgroup_size: 256
    .name:           _ZN7rocprim17ROCPRIM_400000_NS6detail17trampoline_kernelINS0_14default_configENS1_20scan_config_selectorIfEEZZNS1_9scan_implILNS1_25lookback_scan_determinismE0ELb1ELb1ES3_N6thrust23THRUST_200600_302600_NS6detail15normal_iteratorINS9_10device_ptrIjEEEENSB_INSC_IfEEEEfNS9_4plusIvEEfEEDaPvRmT3_T4_T5_mT6_P12ihipStream_tbENKUlT_T0_E_clISt17integral_constantIbLb1EESW_EEDaSR_SS_EUlSR_E0_NS1_11comp_targetILNS1_3genE0ELNS1_11target_archE4294967295ELNS1_3gpuE0ELNS1_3repE0EEENS1_30default_config_static_selectorELNS0_4arch9wavefront6targetE1EEEvT1_
    .private_segment_fixed_size: 0
    .sgpr_count:     4
    .sgpr_spill_count: 0
    .symbol:         _ZN7rocprim17ROCPRIM_400000_NS6detail17trampoline_kernelINS0_14default_configENS1_20scan_config_selectorIfEEZZNS1_9scan_implILNS1_25lookback_scan_determinismE0ELb1ELb1ES3_N6thrust23THRUST_200600_302600_NS6detail15normal_iteratorINS9_10device_ptrIjEEEENSB_INSC_IfEEEEfNS9_4plusIvEEfEEDaPvRmT3_T4_T5_mT6_P12ihipStream_tbENKUlT_T0_E_clISt17integral_constantIbLb1EESW_EEDaSR_SS_EUlSR_E0_NS1_11comp_targetILNS1_3genE0ELNS1_11target_archE4294967295ELNS1_3gpuE0ELNS1_3repE0EEENS1_30default_config_static_selectorELNS0_4arch9wavefront6targetE1EEEvT1_.kd
    .uniform_work_group_size: 1
    .uses_dynamic_stack: false
    .vgpr_count:     0
    .vgpr_spill_count: 0
    .wavefront_size: 64
  - .agpr_count:     0
    .args:
      - .offset:         0
        .size:           32
        .value_kind:     by_value
    .group_segment_fixed_size: 0
    .kernarg_segment_align: 8
    .kernarg_segment_size: 32
    .language:       OpenCL C
    .language_version:
      - 2
      - 0
    .max_flat_workgroup_size: 256
    .name:           _ZN7rocprim17ROCPRIM_400000_NS6detail17trampoline_kernelINS0_14default_configENS1_20scan_config_selectorIfEEZZNS1_9scan_implILNS1_25lookback_scan_determinismE0ELb1ELb1ES3_N6thrust23THRUST_200600_302600_NS6detail15normal_iteratorINS9_10device_ptrIjEEEENSB_INSC_IfEEEEfNS9_4plusIvEEfEEDaPvRmT3_T4_T5_mT6_P12ihipStream_tbENKUlT_T0_E_clISt17integral_constantIbLb1EESW_EEDaSR_SS_EUlSR_E0_NS1_11comp_targetILNS1_3genE5ELNS1_11target_archE942ELNS1_3gpuE9ELNS1_3repE0EEENS1_30default_config_static_selectorELNS0_4arch9wavefront6targetE1EEEvT1_
    .private_segment_fixed_size: 0
    .sgpr_count:     4
    .sgpr_spill_count: 0
    .symbol:         _ZN7rocprim17ROCPRIM_400000_NS6detail17trampoline_kernelINS0_14default_configENS1_20scan_config_selectorIfEEZZNS1_9scan_implILNS1_25lookback_scan_determinismE0ELb1ELb1ES3_N6thrust23THRUST_200600_302600_NS6detail15normal_iteratorINS9_10device_ptrIjEEEENSB_INSC_IfEEEEfNS9_4plusIvEEfEEDaPvRmT3_T4_T5_mT6_P12ihipStream_tbENKUlT_T0_E_clISt17integral_constantIbLb1EESW_EEDaSR_SS_EUlSR_E0_NS1_11comp_targetILNS1_3genE5ELNS1_11target_archE942ELNS1_3gpuE9ELNS1_3repE0EEENS1_30default_config_static_selectorELNS0_4arch9wavefront6targetE1EEEvT1_.kd
    .uniform_work_group_size: 1
    .uses_dynamic_stack: false
    .vgpr_count:     0
    .vgpr_spill_count: 0
    .wavefront_size: 64
  - .agpr_count:     0
    .args:
      - .offset:         0
        .size:           32
        .value_kind:     by_value
    .group_segment_fixed_size: 7168
    .kernarg_segment_align: 8
    .kernarg_segment_size: 32
    .language:       OpenCL C
    .language_version:
      - 2
      - 0
    .max_flat_workgroup_size: 128
    .name:           _ZN7rocprim17ROCPRIM_400000_NS6detail17trampoline_kernelINS0_14default_configENS1_20scan_config_selectorIfEEZZNS1_9scan_implILNS1_25lookback_scan_determinismE0ELb1ELb1ES3_N6thrust23THRUST_200600_302600_NS6detail15normal_iteratorINS9_10device_ptrIjEEEENSB_INSC_IfEEEEfNS9_4plusIvEEfEEDaPvRmT3_T4_T5_mT6_P12ihipStream_tbENKUlT_T0_E_clISt17integral_constantIbLb1EESW_EEDaSR_SS_EUlSR_E0_NS1_11comp_targetILNS1_3genE4ELNS1_11target_archE910ELNS1_3gpuE8ELNS1_3repE0EEENS1_30default_config_static_selectorELNS0_4arch9wavefront6targetE1EEEvT1_
    .private_segment_fixed_size: 0
    .sgpr_count:     42
    .sgpr_spill_count: 0
    .symbol:         _ZN7rocprim17ROCPRIM_400000_NS6detail17trampoline_kernelINS0_14default_configENS1_20scan_config_selectorIfEEZZNS1_9scan_implILNS1_25lookback_scan_determinismE0ELb1ELb1ES3_N6thrust23THRUST_200600_302600_NS6detail15normal_iteratorINS9_10device_ptrIjEEEENSB_INSC_IfEEEEfNS9_4plusIvEEfEEDaPvRmT3_T4_T5_mT6_P12ihipStream_tbENKUlT_T0_E_clISt17integral_constantIbLb1EESW_EEDaSR_SS_EUlSR_E0_NS1_11comp_targetILNS1_3genE4ELNS1_11target_archE910ELNS1_3gpuE8ELNS1_3repE0EEENS1_30default_config_static_selectorELNS0_4arch9wavefront6targetE1EEEvT1_.kd
    .uniform_work_group_size: 1
    .uses_dynamic_stack: false
    .vgpr_count:     24
    .vgpr_spill_count: 0
    .wavefront_size: 64
  - .agpr_count:     0
    .args:
      - .offset:         0
        .size:           32
        .value_kind:     by_value
    .group_segment_fixed_size: 0
    .kernarg_segment_align: 8
    .kernarg_segment_size: 32
    .language:       OpenCL C
    .language_version:
      - 2
      - 0
    .max_flat_workgroup_size: 256
    .name:           _ZN7rocprim17ROCPRIM_400000_NS6detail17trampoline_kernelINS0_14default_configENS1_20scan_config_selectorIfEEZZNS1_9scan_implILNS1_25lookback_scan_determinismE0ELb1ELb1ES3_N6thrust23THRUST_200600_302600_NS6detail15normal_iteratorINS9_10device_ptrIjEEEENSB_INSC_IfEEEEfNS9_4plusIvEEfEEDaPvRmT3_T4_T5_mT6_P12ihipStream_tbENKUlT_T0_E_clISt17integral_constantIbLb1EESW_EEDaSR_SS_EUlSR_E0_NS1_11comp_targetILNS1_3genE3ELNS1_11target_archE908ELNS1_3gpuE7ELNS1_3repE0EEENS1_30default_config_static_selectorELNS0_4arch9wavefront6targetE1EEEvT1_
    .private_segment_fixed_size: 0
    .sgpr_count:     4
    .sgpr_spill_count: 0
    .symbol:         _ZN7rocprim17ROCPRIM_400000_NS6detail17trampoline_kernelINS0_14default_configENS1_20scan_config_selectorIfEEZZNS1_9scan_implILNS1_25lookback_scan_determinismE0ELb1ELb1ES3_N6thrust23THRUST_200600_302600_NS6detail15normal_iteratorINS9_10device_ptrIjEEEENSB_INSC_IfEEEEfNS9_4plusIvEEfEEDaPvRmT3_T4_T5_mT6_P12ihipStream_tbENKUlT_T0_E_clISt17integral_constantIbLb1EESW_EEDaSR_SS_EUlSR_E0_NS1_11comp_targetILNS1_3genE3ELNS1_11target_archE908ELNS1_3gpuE7ELNS1_3repE0EEENS1_30default_config_static_selectorELNS0_4arch9wavefront6targetE1EEEvT1_.kd
    .uniform_work_group_size: 1
    .uses_dynamic_stack: false
    .vgpr_count:     0
    .vgpr_spill_count: 0
    .wavefront_size: 64
  - .agpr_count:     0
    .args:
      - .offset:         0
        .size:           32
        .value_kind:     by_value
    .group_segment_fixed_size: 0
    .kernarg_segment_align: 8
    .kernarg_segment_size: 32
    .language:       OpenCL C
    .language_version:
      - 2
      - 0
    .max_flat_workgroup_size: 256
    .name:           _ZN7rocprim17ROCPRIM_400000_NS6detail17trampoline_kernelINS0_14default_configENS1_20scan_config_selectorIfEEZZNS1_9scan_implILNS1_25lookback_scan_determinismE0ELb1ELb1ES3_N6thrust23THRUST_200600_302600_NS6detail15normal_iteratorINS9_10device_ptrIjEEEENSB_INSC_IfEEEEfNS9_4plusIvEEfEEDaPvRmT3_T4_T5_mT6_P12ihipStream_tbENKUlT_T0_E_clISt17integral_constantIbLb1EESW_EEDaSR_SS_EUlSR_E0_NS1_11comp_targetILNS1_3genE2ELNS1_11target_archE906ELNS1_3gpuE6ELNS1_3repE0EEENS1_30default_config_static_selectorELNS0_4arch9wavefront6targetE1EEEvT1_
    .private_segment_fixed_size: 0
    .sgpr_count:     4
    .sgpr_spill_count: 0
    .symbol:         _ZN7rocprim17ROCPRIM_400000_NS6detail17trampoline_kernelINS0_14default_configENS1_20scan_config_selectorIfEEZZNS1_9scan_implILNS1_25lookback_scan_determinismE0ELb1ELb1ES3_N6thrust23THRUST_200600_302600_NS6detail15normal_iteratorINS9_10device_ptrIjEEEENSB_INSC_IfEEEEfNS9_4plusIvEEfEEDaPvRmT3_T4_T5_mT6_P12ihipStream_tbENKUlT_T0_E_clISt17integral_constantIbLb1EESW_EEDaSR_SS_EUlSR_E0_NS1_11comp_targetILNS1_3genE2ELNS1_11target_archE906ELNS1_3gpuE6ELNS1_3repE0EEENS1_30default_config_static_selectorELNS0_4arch9wavefront6targetE1EEEvT1_.kd
    .uniform_work_group_size: 1
    .uses_dynamic_stack: false
    .vgpr_count:     0
    .vgpr_spill_count: 0
    .wavefront_size: 64
  - .agpr_count:     0
    .args:
      - .offset:         0
        .size:           32
        .value_kind:     by_value
    .group_segment_fixed_size: 0
    .kernarg_segment_align: 8
    .kernarg_segment_size: 32
    .language:       OpenCL C
    .language_version:
      - 2
      - 0
    .max_flat_workgroup_size: 256
    .name:           _ZN7rocprim17ROCPRIM_400000_NS6detail17trampoline_kernelINS0_14default_configENS1_20scan_config_selectorIfEEZZNS1_9scan_implILNS1_25lookback_scan_determinismE0ELb1ELb1ES3_N6thrust23THRUST_200600_302600_NS6detail15normal_iteratorINS9_10device_ptrIjEEEENSB_INSC_IfEEEEfNS9_4plusIvEEfEEDaPvRmT3_T4_T5_mT6_P12ihipStream_tbENKUlT_T0_E_clISt17integral_constantIbLb1EESW_EEDaSR_SS_EUlSR_E0_NS1_11comp_targetILNS1_3genE10ELNS1_11target_archE1201ELNS1_3gpuE5ELNS1_3repE0EEENS1_30default_config_static_selectorELNS0_4arch9wavefront6targetE1EEEvT1_
    .private_segment_fixed_size: 0
    .sgpr_count:     4
    .sgpr_spill_count: 0
    .symbol:         _ZN7rocprim17ROCPRIM_400000_NS6detail17trampoline_kernelINS0_14default_configENS1_20scan_config_selectorIfEEZZNS1_9scan_implILNS1_25lookback_scan_determinismE0ELb1ELb1ES3_N6thrust23THRUST_200600_302600_NS6detail15normal_iteratorINS9_10device_ptrIjEEEENSB_INSC_IfEEEEfNS9_4plusIvEEfEEDaPvRmT3_T4_T5_mT6_P12ihipStream_tbENKUlT_T0_E_clISt17integral_constantIbLb1EESW_EEDaSR_SS_EUlSR_E0_NS1_11comp_targetILNS1_3genE10ELNS1_11target_archE1201ELNS1_3gpuE5ELNS1_3repE0EEENS1_30default_config_static_selectorELNS0_4arch9wavefront6targetE1EEEvT1_.kd
    .uniform_work_group_size: 1
    .uses_dynamic_stack: false
    .vgpr_count:     0
    .vgpr_spill_count: 0
    .wavefront_size: 64
  - .agpr_count:     0
    .args:
      - .offset:         0
        .size:           32
        .value_kind:     by_value
    .group_segment_fixed_size: 0
    .kernarg_segment_align: 8
    .kernarg_segment_size: 32
    .language:       OpenCL C
    .language_version:
      - 2
      - 0
    .max_flat_workgroup_size: 256
    .name:           _ZN7rocprim17ROCPRIM_400000_NS6detail17trampoline_kernelINS0_14default_configENS1_20scan_config_selectorIfEEZZNS1_9scan_implILNS1_25lookback_scan_determinismE0ELb1ELb1ES3_N6thrust23THRUST_200600_302600_NS6detail15normal_iteratorINS9_10device_ptrIjEEEENSB_INSC_IfEEEEfNS9_4plusIvEEfEEDaPvRmT3_T4_T5_mT6_P12ihipStream_tbENKUlT_T0_E_clISt17integral_constantIbLb1EESW_EEDaSR_SS_EUlSR_E0_NS1_11comp_targetILNS1_3genE10ELNS1_11target_archE1200ELNS1_3gpuE4ELNS1_3repE0EEENS1_30default_config_static_selectorELNS0_4arch9wavefront6targetE1EEEvT1_
    .private_segment_fixed_size: 0
    .sgpr_count:     4
    .sgpr_spill_count: 0
    .symbol:         _ZN7rocprim17ROCPRIM_400000_NS6detail17trampoline_kernelINS0_14default_configENS1_20scan_config_selectorIfEEZZNS1_9scan_implILNS1_25lookback_scan_determinismE0ELb1ELb1ES3_N6thrust23THRUST_200600_302600_NS6detail15normal_iteratorINS9_10device_ptrIjEEEENSB_INSC_IfEEEEfNS9_4plusIvEEfEEDaPvRmT3_T4_T5_mT6_P12ihipStream_tbENKUlT_T0_E_clISt17integral_constantIbLb1EESW_EEDaSR_SS_EUlSR_E0_NS1_11comp_targetILNS1_3genE10ELNS1_11target_archE1200ELNS1_3gpuE4ELNS1_3repE0EEENS1_30default_config_static_selectorELNS0_4arch9wavefront6targetE1EEEvT1_.kd
    .uniform_work_group_size: 1
    .uses_dynamic_stack: false
    .vgpr_count:     0
    .vgpr_spill_count: 0
    .wavefront_size: 64
  - .agpr_count:     0
    .args:
      - .offset:         0
        .size:           32
        .value_kind:     by_value
    .group_segment_fixed_size: 0
    .kernarg_segment_align: 8
    .kernarg_segment_size: 32
    .language:       OpenCL C
    .language_version:
      - 2
      - 0
    .max_flat_workgroup_size: 256
    .name:           _ZN7rocprim17ROCPRIM_400000_NS6detail17trampoline_kernelINS0_14default_configENS1_20scan_config_selectorIfEEZZNS1_9scan_implILNS1_25lookback_scan_determinismE0ELb1ELb1ES3_N6thrust23THRUST_200600_302600_NS6detail15normal_iteratorINS9_10device_ptrIjEEEENSB_INSC_IfEEEEfNS9_4plusIvEEfEEDaPvRmT3_T4_T5_mT6_P12ihipStream_tbENKUlT_T0_E_clISt17integral_constantIbLb1EESW_EEDaSR_SS_EUlSR_E0_NS1_11comp_targetILNS1_3genE9ELNS1_11target_archE1100ELNS1_3gpuE3ELNS1_3repE0EEENS1_30default_config_static_selectorELNS0_4arch9wavefront6targetE1EEEvT1_
    .private_segment_fixed_size: 0
    .sgpr_count:     4
    .sgpr_spill_count: 0
    .symbol:         _ZN7rocprim17ROCPRIM_400000_NS6detail17trampoline_kernelINS0_14default_configENS1_20scan_config_selectorIfEEZZNS1_9scan_implILNS1_25lookback_scan_determinismE0ELb1ELb1ES3_N6thrust23THRUST_200600_302600_NS6detail15normal_iteratorINS9_10device_ptrIjEEEENSB_INSC_IfEEEEfNS9_4plusIvEEfEEDaPvRmT3_T4_T5_mT6_P12ihipStream_tbENKUlT_T0_E_clISt17integral_constantIbLb1EESW_EEDaSR_SS_EUlSR_E0_NS1_11comp_targetILNS1_3genE9ELNS1_11target_archE1100ELNS1_3gpuE3ELNS1_3repE0EEENS1_30default_config_static_selectorELNS0_4arch9wavefront6targetE1EEEvT1_.kd
    .uniform_work_group_size: 1
    .uses_dynamic_stack: false
    .vgpr_count:     0
    .vgpr_spill_count: 0
    .wavefront_size: 64
  - .agpr_count:     0
    .args:
      - .offset:         0
        .size:           32
        .value_kind:     by_value
    .group_segment_fixed_size: 0
    .kernarg_segment_align: 8
    .kernarg_segment_size: 32
    .language:       OpenCL C
    .language_version:
      - 2
      - 0
    .max_flat_workgroup_size: 64
    .name:           _ZN7rocprim17ROCPRIM_400000_NS6detail17trampoline_kernelINS0_14default_configENS1_20scan_config_selectorIfEEZZNS1_9scan_implILNS1_25lookback_scan_determinismE0ELb1ELb1ES3_N6thrust23THRUST_200600_302600_NS6detail15normal_iteratorINS9_10device_ptrIjEEEENSB_INSC_IfEEEEfNS9_4plusIvEEfEEDaPvRmT3_T4_T5_mT6_P12ihipStream_tbENKUlT_T0_E_clISt17integral_constantIbLb1EESW_EEDaSR_SS_EUlSR_E0_NS1_11comp_targetILNS1_3genE8ELNS1_11target_archE1030ELNS1_3gpuE2ELNS1_3repE0EEENS1_30default_config_static_selectorELNS0_4arch9wavefront6targetE1EEEvT1_
    .private_segment_fixed_size: 0
    .sgpr_count:     4
    .sgpr_spill_count: 0
    .symbol:         _ZN7rocprim17ROCPRIM_400000_NS6detail17trampoline_kernelINS0_14default_configENS1_20scan_config_selectorIfEEZZNS1_9scan_implILNS1_25lookback_scan_determinismE0ELb1ELb1ES3_N6thrust23THRUST_200600_302600_NS6detail15normal_iteratorINS9_10device_ptrIjEEEENSB_INSC_IfEEEEfNS9_4plusIvEEfEEDaPvRmT3_T4_T5_mT6_P12ihipStream_tbENKUlT_T0_E_clISt17integral_constantIbLb1EESW_EEDaSR_SS_EUlSR_E0_NS1_11comp_targetILNS1_3genE8ELNS1_11target_archE1030ELNS1_3gpuE2ELNS1_3repE0EEENS1_30default_config_static_selectorELNS0_4arch9wavefront6targetE1EEEvT1_.kd
    .uniform_work_group_size: 1
    .uses_dynamic_stack: false
    .vgpr_count:     0
    .vgpr_spill_count: 0
    .wavefront_size: 64
  - .agpr_count:     0
    .args:
      - .offset:         0
        .size:           96
        .value_kind:     by_value
    .group_segment_fixed_size: 0
    .kernarg_segment_align: 8
    .kernarg_segment_size: 96
    .language:       OpenCL C
    .language_version:
      - 2
      - 0
    .max_flat_workgroup_size: 256
    .name:           _ZN7rocprim17ROCPRIM_400000_NS6detail17trampoline_kernelINS0_14default_configENS1_20scan_config_selectorIfEEZZNS1_9scan_implILNS1_25lookback_scan_determinismE0ELb1ELb1ES3_N6thrust23THRUST_200600_302600_NS6detail15normal_iteratorINS9_10device_ptrIjEEEENSB_INSC_IfEEEEfNS9_4plusIvEEfEEDaPvRmT3_T4_T5_mT6_P12ihipStream_tbENKUlT_T0_E_clISt17integral_constantIbLb1EESV_IbLb0EEEEDaSR_SS_EUlSR_E_NS1_11comp_targetILNS1_3genE0ELNS1_11target_archE4294967295ELNS1_3gpuE0ELNS1_3repE0EEENS1_30default_config_static_selectorELNS0_4arch9wavefront6targetE1EEEvT1_
    .private_segment_fixed_size: 0
    .sgpr_count:     4
    .sgpr_spill_count: 0
    .symbol:         _ZN7rocprim17ROCPRIM_400000_NS6detail17trampoline_kernelINS0_14default_configENS1_20scan_config_selectorIfEEZZNS1_9scan_implILNS1_25lookback_scan_determinismE0ELb1ELb1ES3_N6thrust23THRUST_200600_302600_NS6detail15normal_iteratorINS9_10device_ptrIjEEEENSB_INSC_IfEEEEfNS9_4plusIvEEfEEDaPvRmT3_T4_T5_mT6_P12ihipStream_tbENKUlT_T0_E_clISt17integral_constantIbLb1EESV_IbLb0EEEEDaSR_SS_EUlSR_E_NS1_11comp_targetILNS1_3genE0ELNS1_11target_archE4294967295ELNS1_3gpuE0ELNS1_3repE0EEENS1_30default_config_static_selectorELNS0_4arch9wavefront6targetE1EEEvT1_.kd
    .uniform_work_group_size: 1
    .uses_dynamic_stack: false
    .vgpr_count:     0
    .vgpr_spill_count: 0
    .wavefront_size: 64
  - .agpr_count:     0
    .args:
      - .offset:         0
        .size:           96
        .value_kind:     by_value
    .group_segment_fixed_size: 0
    .kernarg_segment_align: 8
    .kernarg_segment_size: 96
    .language:       OpenCL C
    .language_version:
      - 2
      - 0
    .max_flat_workgroup_size: 256
    .name:           _ZN7rocprim17ROCPRIM_400000_NS6detail17trampoline_kernelINS0_14default_configENS1_20scan_config_selectorIfEEZZNS1_9scan_implILNS1_25lookback_scan_determinismE0ELb1ELb1ES3_N6thrust23THRUST_200600_302600_NS6detail15normal_iteratorINS9_10device_ptrIjEEEENSB_INSC_IfEEEEfNS9_4plusIvEEfEEDaPvRmT3_T4_T5_mT6_P12ihipStream_tbENKUlT_T0_E_clISt17integral_constantIbLb1EESV_IbLb0EEEEDaSR_SS_EUlSR_E_NS1_11comp_targetILNS1_3genE5ELNS1_11target_archE942ELNS1_3gpuE9ELNS1_3repE0EEENS1_30default_config_static_selectorELNS0_4arch9wavefront6targetE1EEEvT1_
    .private_segment_fixed_size: 0
    .sgpr_count:     4
    .sgpr_spill_count: 0
    .symbol:         _ZN7rocprim17ROCPRIM_400000_NS6detail17trampoline_kernelINS0_14default_configENS1_20scan_config_selectorIfEEZZNS1_9scan_implILNS1_25lookback_scan_determinismE0ELb1ELb1ES3_N6thrust23THRUST_200600_302600_NS6detail15normal_iteratorINS9_10device_ptrIjEEEENSB_INSC_IfEEEEfNS9_4plusIvEEfEEDaPvRmT3_T4_T5_mT6_P12ihipStream_tbENKUlT_T0_E_clISt17integral_constantIbLb1EESV_IbLb0EEEEDaSR_SS_EUlSR_E_NS1_11comp_targetILNS1_3genE5ELNS1_11target_archE942ELNS1_3gpuE9ELNS1_3repE0EEENS1_30default_config_static_selectorELNS0_4arch9wavefront6targetE1EEEvT1_.kd
    .uniform_work_group_size: 1
    .uses_dynamic_stack: false
    .vgpr_count:     0
    .vgpr_spill_count: 0
    .wavefront_size: 64
  - .agpr_count:     0
    .args:
      - .offset:         0
        .size:           96
        .value_kind:     by_value
    .group_segment_fixed_size: 7168
    .kernarg_segment_align: 8
    .kernarg_segment_size: 96
    .language:       OpenCL C
    .language_version:
      - 2
      - 0
    .max_flat_workgroup_size: 128
    .name:           _ZN7rocprim17ROCPRIM_400000_NS6detail17trampoline_kernelINS0_14default_configENS1_20scan_config_selectorIfEEZZNS1_9scan_implILNS1_25lookback_scan_determinismE0ELb1ELb1ES3_N6thrust23THRUST_200600_302600_NS6detail15normal_iteratorINS9_10device_ptrIjEEEENSB_INSC_IfEEEEfNS9_4plusIvEEfEEDaPvRmT3_T4_T5_mT6_P12ihipStream_tbENKUlT_T0_E_clISt17integral_constantIbLb1EESV_IbLb0EEEEDaSR_SS_EUlSR_E_NS1_11comp_targetILNS1_3genE4ELNS1_11target_archE910ELNS1_3gpuE8ELNS1_3repE0EEENS1_30default_config_static_selectorELNS0_4arch9wavefront6targetE1EEEvT1_
    .private_segment_fixed_size: 0
    .sgpr_count:     35
    .sgpr_spill_count: 0
    .symbol:         _ZN7rocprim17ROCPRIM_400000_NS6detail17trampoline_kernelINS0_14default_configENS1_20scan_config_selectorIfEEZZNS1_9scan_implILNS1_25lookback_scan_determinismE0ELb1ELb1ES3_N6thrust23THRUST_200600_302600_NS6detail15normal_iteratorINS9_10device_ptrIjEEEENSB_INSC_IfEEEEfNS9_4plusIvEEfEEDaPvRmT3_T4_T5_mT6_P12ihipStream_tbENKUlT_T0_E_clISt17integral_constantIbLb1EESV_IbLb0EEEEDaSR_SS_EUlSR_E_NS1_11comp_targetILNS1_3genE4ELNS1_11target_archE910ELNS1_3gpuE8ELNS1_3repE0EEENS1_30default_config_static_selectorELNS0_4arch9wavefront6targetE1EEEvT1_.kd
    .uniform_work_group_size: 1
    .uses_dynamic_stack: false
    .vgpr_count:     49
    .vgpr_spill_count: 0
    .wavefront_size: 64
  - .agpr_count:     0
    .args:
      - .offset:         0
        .size:           96
        .value_kind:     by_value
    .group_segment_fixed_size: 0
    .kernarg_segment_align: 8
    .kernarg_segment_size: 96
    .language:       OpenCL C
    .language_version:
      - 2
      - 0
    .max_flat_workgroup_size: 256
    .name:           _ZN7rocprim17ROCPRIM_400000_NS6detail17trampoline_kernelINS0_14default_configENS1_20scan_config_selectorIfEEZZNS1_9scan_implILNS1_25lookback_scan_determinismE0ELb1ELb1ES3_N6thrust23THRUST_200600_302600_NS6detail15normal_iteratorINS9_10device_ptrIjEEEENSB_INSC_IfEEEEfNS9_4plusIvEEfEEDaPvRmT3_T4_T5_mT6_P12ihipStream_tbENKUlT_T0_E_clISt17integral_constantIbLb1EESV_IbLb0EEEEDaSR_SS_EUlSR_E_NS1_11comp_targetILNS1_3genE3ELNS1_11target_archE908ELNS1_3gpuE7ELNS1_3repE0EEENS1_30default_config_static_selectorELNS0_4arch9wavefront6targetE1EEEvT1_
    .private_segment_fixed_size: 0
    .sgpr_count:     4
    .sgpr_spill_count: 0
    .symbol:         _ZN7rocprim17ROCPRIM_400000_NS6detail17trampoline_kernelINS0_14default_configENS1_20scan_config_selectorIfEEZZNS1_9scan_implILNS1_25lookback_scan_determinismE0ELb1ELb1ES3_N6thrust23THRUST_200600_302600_NS6detail15normal_iteratorINS9_10device_ptrIjEEEENSB_INSC_IfEEEEfNS9_4plusIvEEfEEDaPvRmT3_T4_T5_mT6_P12ihipStream_tbENKUlT_T0_E_clISt17integral_constantIbLb1EESV_IbLb0EEEEDaSR_SS_EUlSR_E_NS1_11comp_targetILNS1_3genE3ELNS1_11target_archE908ELNS1_3gpuE7ELNS1_3repE0EEENS1_30default_config_static_selectorELNS0_4arch9wavefront6targetE1EEEvT1_.kd
    .uniform_work_group_size: 1
    .uses_dynamic_stack: false
    .vgpr_count:     0
    .vgpr_spill_count: 0
    .wavefront_size: 64
  - .agpr_count:     0
    .args:
      - .offset:         0
        .size:           96
        .value_kind:     by_value
    .group_segment_fixed_size: 0
    .kernarg_segment_align: 8
    .kernarg_segment_size: 96
    .language:       OpenCL C
    .language_version:
      - 2
      - 0
    .max_flat_workgroup_size: 256
    .name:           _ZN7rocprim17ROCPRIM_400000_NS6detail17trampoline_kernelINS0_14default_configENS1_20scan_config_selectorIfEEZZNS1_9scan_implILNS1_25lookback_scan_determinismE0ELb1ELb1ES3_N6thrust23THRUST_200600_302600_NS6detail15normal_iteratorINS9_10device_ptrIjEEEENSB_INSC_IfEEEEfNS9_4plusIvEEfEEDaPvRmT3_T4_T5_mT6_P12ihipStream_tbENKUlT_T0_E_clISt17integral_constantIbLb1EESV_IbLb0EEEEDaSR_SS_EUlSR_E_NS1_11comp_targetILNS1_3genE2ELNS1_11target_archE906ELNS1_3gpuE6ELNS1_3repE0EEENS1_30default_config_static_selectorELNS0_4arch9wavefront6targetE1EEEvT1_
    .private_segment_fixed_size: 0
    .sgpr_count:     4
    .sgpr_spill_count: 0
    .symbol:         _ZN7rocprim17ROCPRIM_400000_NS6detail17trampoline_kernelINS0_14default_configENS1_20scan_config_selectorIfEEZZNS1_9scan_implILNS1_25lookback_scan_determinismE0ELb1ELb1ES3_N6thrust23THRUST_200600_302600_NS6detail15normal_iteratorINS9_10device_ptrIjEEEENSB_INSC_IfEEEEfNS9_4plusIvEEfEEDaPvRmT3_T4_T5_mT6_P12ihipStream_tbENKUlT_T0_E_clISt17integral_constantIbLb1EESV_IbLb0EEEEDaSR_SS_EUlSR_E_NS1_11comp_targetILNS1_3genE2ELNS1_11target_archE906ELNS1_3gpuE6ELNS1_3repE0EEENS1_30default_config_static_selectorELNS0_4arch9wavefront6targetE1EEEvT1_.kd
    .uniform_work_group_size: 1
    .uses_dynamic_stack: false
    .vgpr_count:     0
    .vgpr_spill_count: 0
    .wavefront_size: 64
  - .agpr_count:     0
    .args:
      - .offset:         0
        .size:           96
        .value_kind:     by_value
    .group_segment_fixed_size: 0
    .kernarg_segment_align: 8
    .kernarg_segment_size: 96
    .language:       OpenCL C
    .language_version:
      - 2
      - 0
    .max_flat_workgroup_size: 256
    .name:           _ZN7rocprim17ROCPRIM_400000_NS6detail17trampoline_kernelINS0_14default_configENS1_20scan_config_selectorIfEEZZNS1_9scan_implILNS1_25lookback_scan_determinismE0ELb1ELb1ES3_N6thrust23THRUST_200600_302600_NS6detail15normal_iteratorINS9_10device_ptrIjEEEENSB_INSC_IfEEEEfNS9_4plusIvEEfEEDaPvRmT3_T4_T5_mT6_P12ihipStream_tbENKUlT_T0_E_clISt17integral_constantIbLb1EESV_IbLb0EEEEDaSR_SS_EUlSR_E_NS1_11comp_targetILNS1_3genE10ELNS1_11target_archE1201ELNS1_3gpuE5ELNS1_3repE0EEENS1_30default_config_static_selectorELNS0_4arch9wavefront6targetE1EEEvT1_
    .private_segment_fixed_size: 0
    .sgpr_count:     4
    .sgpr_spill_count: 0
    .symbol:         _ZN7rocprim17ROCPRIM_400000_NS6detail17trampoline_kernelINS0_14default_configENS1_20scan_config_selectorIfEEZZNS1_9scan_implILNS1_25lookback_scan_determinismE0ELb1ELb1ES3_N6thrust23THRUST_200600_302600_NS6detail15normal_iteratorINS9_10device_ptrIjEEEENSB_INSC_IfEEEEfNS9_4plusIvEEfEEDaPvRmT3_T4_T5_mT6_P12ihipStream_tbENKUlT_T0_E_clISt17integral_constantIbLb1EESV_IbLb0EEEEDaSR_SS_EUlSR_E_NS1_11comp_targetILNS1_3genE10ELNS1_11target_archE1201ELNS1_3gpuE5ELNS1_3repE0EEENS1_30default_config_static_selectorELNS0_4arch9wavefront6targetE1EEEvT1_.kd
    .uniform_work_group_size: 1
    .uses_dynamic_stack: false
    .vgpr_count:     0
    .vgpr_spill_count: 0
    .wavefront_size: 64
  - .agpr_count:     0
    .args:
      - .offset:         0
        .size:           96
        .value_kind:     by_value
    .group_segment_fixed_size: 0
    .kernarg_segment_align: 8
    .kernarg_segment_size: 96
    .language:       OpenCL C
    .language_version:
      - 2
      - 0
    .max_flat_workgroup_size: 256
    .name:           _ZN7rocprim17ROCPRIM_400000_NS6detail17trampoline_kernelINS0_14default_configENS1_20scan_config_selectorIfEEZZNS1_9scan_implILNS1_25lookback_scan_determinismE0ELb1ELb1ES3_N6thrust23THRUST_200600_302600_NS6detail15normal_iteratorINS9_10device_ptrIjEEEENSB_INSC_IfEEEEfNS9_4plusIvEEfEEDaPvRmT3_T4_T5_mT6_P12ihipStream_tbENKUlT_T0_E_clISt17integral_constantIbLb1EESV_IbLb0EEEEDaSR_SS_EUlSR_E_NS1_11comp_targetILNS1_3genE10ELNS1_11target_archE1200ELNS1_3gpuE4ELNS1_3repE0EEENS1_30default_config_static_selectorELNS0_4arch9wavefront6targetE1EEEvT1_
    .private_segment_fixed_size: 0
    .sgpr_count:     4
    .sgpr_spill_count: 0
    .symbol:         _ZN7rocprim17ROCPRIM_400000_NS6detail17trampoline_kernelINS0_14default_configENS1_20scan_config_selectorIfEEZZNS1_9scan_implILNS1_25lookback_scan_determinismE0ELb1ELb1ES3_N6thrust23THRUST_200600_302600_NS6detail15normal_iteratorINS9_10device_ptrIjEEEENSB_INSC_IfEEEEfNS9_4plusIvEEfEEDaPvRmT3_T4_T5_mT6_P12ihipStream_tbENKUlT_T0_E_clISt17integral_constantIbLb1EESV_IbLb0EEEEDaSR_SS_EUlSR_E_NS1_11comp_targetILNS1_3genE10ELNS1_11target_archE1200ELNS1_3gpuE4ELNS1_3repE0EEENS1_30default_config_static_selectorELNS0_4arch9wavefront6targetE1EEEvT1_.kd
    .uniform_work_group_size: 1
    .uses_dynamic_stack: false
    .vgpr_count:     0
    .vgpr_spill_count: 0
    .wavefront_size: 64
  - .agpr_count:     0
    .args:
      - .offset:         0
        .size:           96
        .value_kind:     by_value
    .group_segment_fixed_size: 0
    .kernarg_segment_align: 8
    .kernarg_segment_size: 96
    .language:       OpenCL C
    .language_version:
      - 2
      - 0
    .max_flat_workgroup_size: 256
    .name:           _ZN7rocprim17ROCPRIM_400000_NS6detail17trampoline_kernelINS0_14default_configENS1_20scan_config_selectorIfEEZZNS1_9scan_implILNS1_25lookback_scan_determinismE0ELb1ELb1ES3_N6thrust23THRUST_200600_302600_NS6detail15normal_iteratorINS9_10device_ptrIjEEEENSB_INSC_IfEEEEfNS9_4plusIvEEfEEDaPvRmT3_T4_T5_mT6_P12ihipStream_tbENKUlT_T0_E_clISt17integral_constantIbLb1EESV_IbLb0EEEEDaSR_SS_EUlSR_E_NS1_11comp_targetILNS1_3genE9ELNS1_11target_archE1100ELNS1_3gpuE3ELNS1_3repE0EEENS1_30default_config_static_selectorELNS0_4arch9wavefront6targetE1EEEvT1_
    .private_segment_fixed_size: 0
    .sgpr_count:     4
    .sgpr_spill_count: 0
    .symbol:         _ZN7rocprim17ROCPRIM_400000_NS6detail17trampoline_kernelINS0_14default_configENS1_20scan_config_selectorIfEEZZNS1_9scan_implILNS1_25lookback_scan_determinismE0ELb1ELb1ES3_N6thrust23THRUST_200600_302600_NS6detail15normal_iteratorINS9_10device_ptrIjEEEENSB_INSC_IfEEEEfNS9_4plusIvEEfEEDaPvRmT3_T4_T5_mT6_P12ihipStream_tbENKUlT_T0_E_clISt17integral_constantIbLb1EESV_IbLb0EEEEDaSR_SS_EUlSR_E_NS1_11comp_targetILNS1_3genE9ELNS1_11target_archE1100ELNS1_3gpuE3ELNS1_3repE0EEENS1_30default_config_static_selectorELNS0_4arch9wavefront6targetE1EEEvT1_.kd
    .uniform_work_group_size: 1
    .uses_dynamic_stack: false
    .vgpr_count:     0
    .vgpr_spill_count: 0
    .wavefront_size: 64
  - .agpr_count:     0
    .args:
      - .offset:         0
        .size:           96
        .value_kind:     by_value
    .group_segment_fixed_size: 0
    .kernarg_segment_align: 8
    .kernarg_segment_size: 96
    .language:       OpenCL C
    .language_version:
      - 2
      - 0
    .max_flat_workgroup_size: 64
    .name:           _ZN7rocprim17ROCPRIM_400000_NS6detail17trampoline_kernelINS0_14default_configENS1_20scan_config_selectorIfEEZZNS1_9scan_implILNS1_25lookback_scan_determinismE0ELb1ELb1ES3_N6thrust23THRUST_200600_302600_NS6detail15normal_iteratorINS9_10device_ptrIjEEEENSB_INSC_IfEEEEfNS9_4plusIvEEfEEDaPvRmT3_T4_T5_mT6_P12ihipStream_tbENKUlT_T0_E_clISt17integral_constantIbLb1EESV_IbLb0EEEEDaSR_SS_EUlSR_E_NS1_11comp_targetILNS1_3genE8ELNS1_11target_archE1030ELNS1_3gpuE2ELNS1_3repE0EEENS1_30default_config_static_selectorELNS0_4arch9wavefront6targetE1EEEvT1_
    .private_segment_fixed_size: 0
    .sgpr_count:     4
    .sgpr_spill_count: 0
    .symbol:         _ZN7rocprim17ROCPRIM_400000_NS6detail17trampoline_kernelINS0_14default_configENS1_20scan_config_selectorIfEEZZNS1_9scan_implILNS1_25lookback_scan_determinismE0ELb1ELb1ES3_N6thrust23THRUST_200600_302600_NS6detail15normal_iteratorINS9_10device_ptrIjEEEENSB_INSC_IfEEEEfNS9_4plusIvEEfEEDaPvRmT3_T4_T5_mT6_P12ihipStream_tbENKUlT_T0_E_clISt17integral_constantIbLb1EESV_IbLb0EEEEDaSR_SS_EUlSR_E_NS1_11comp_targetILNS1_3genE8ELNS1_11target_archE1030ELNS1_3gpuE2ELNS1_3repE0EEENS1_30default_config_static_selectorELNS0_4arch9wavefront6targetE1EEEvT1_.kd
    .uniform_work_group_size: 1
    .uses_dynamic_stack: false
    .vgpr_count:     0
    .vgpr_spill_count: 0
    .wavefront_size: 64
  - .agpr_count:     0
    .args:
      - .offset:         0
        .size:           32
        .value_kind:     by_value
    .group_segment_fixed_size: 0
    .kernarg_segment_align: 8
    .kernarg_segment_size: 32
    .language:       OpenCL C
    .language_version:
      - 2
      - 0
    .max_flat_workgroup_size: 256
    .name:           _ZN7rocprim17ROCPRIM_400000_NS6detail17trampoline_kernelINS0_14default_configENS1_20scan_config_selectorIfEEZZNS1_9scan_implILNS1_25lookback_scan_determinismE0ELb1ELb1ES3_N6thrust23THRUST_200600_302600_NS6detail15normal_iteratorINS9_10device_ptrIjEEEENSB_INSC_IfEEEEfNS9_4plusIvEEfEEDaPvRmT3_T4_T5_mT6_P12ihipStream_tbENKUlT_T0_E_clISt17integral_constantIbLb1EESV_IbLb0EEEEDaSR_SS_EUlSR_E0_NS1_11comp_targetILNS1_3genE0ELNS1_11target_archE4294967295ELNS1_3gpuE0ELNS1_3repE0EEENS1_30default_config_static_selectorELNS0_4arch9wavefront6targetE1EEEvT1_
    .private_segment_fixed_size: 0
    .sgpr_count:     4
    .sgpr_spill_count: 0
    .symbol:         _ZN7rocprim17ROCPRIM_400000_NS6detail17trampoline_kernelINS0_14default_configENS1_20scan_config_selectorIfEEZZNS1_9scan_implILNS1_25lookback_scan_determinismE0ELb1ELb1ES3_N6thrust23THRUST_200600_302600_NS6detail15normal_iteratorINS9_10device_ptrIjEEEENSB_INSC_IfEEEEfNS9_4plusIvEEfEEDaPvRmT3_T4_T5_mT6_P12ihipStream_tbENKUlT_T0_E_clISt17integral_constantIbLb1EESV_IbLb0EEEEDaSR_SS_EUlSR_E0_NS1_11comp_targetILNS1_3genE0ELNS1_11target_archE4294967295ELNS1_3gpuE0ELNS1_3repE0EEENS1_30default_config_static_selectorELNS0_4arch9wavefront6targetE1EEEvT1_.kd
    .uniform_work_group_size: 1
    .uses_dynamic_stack: false
    .vgpr_count:     0
    .vgpr_spill_count: 0
    .wavefront_size: 64
  - .agpr_count:     0
    .args:
      - .offset:         0
        .size:           32
        .value_kind:     by_value
    .group_segment_fixed_size: 0
    .kernarg_segment_align: 8
    .kernarg_segment_size: 32
    .language:       OpenCL C
    .language_version:
      - 2
      - 0
    .max_flat_workgroup_size: 256
    .name:           _ZN7rocprim17ROCPRIM_400000_NS6detail17trampoline_kernelINS0_14default_configENS1_20scan_config_selectorIfEEZZNS1_9scan_implILNS1_25lookback_scan_determinismE0ELb1ELb1ES3_N6thrust23THRUST_200600_302600_NS6detail15normal_iteratorINS9_10device_ptrIjEEEENSB_INSC_IfEEEEfNS9_4plusIvEEfEEDaPvRmT3_T4_T5_mT6_P12ihipStream_tbENKUlT_T0_E_clISt17integral_constantIbLb1EESV_IbLb0EEEEDaSR_SS_EUlSR_E0_NS1_11comp_targetILNS1_3genE5ELNS1_11target_archE942ELNS1_3gpuE9ELNS1_3repE0EEENS1_30default_config_static_selectorELNS0_4arch9wavefront6targetE1EEEvT1_
    .private_segment_fixed_size: 0
    .sgpr_count:     4
    .sgpr_spill_count: 0
    .symbol:         _ZN7rocprim17ROCPRIM_400000_NS6detail17trampoline_kernelINS0_14default_configENS1_20scan_config_selectorIfEEZZNS1_9scan_implILNS1_25lookback_scan_determinismE0ELb1ELb1ES3_N6thrust23THRUST_200600_302600_NS6detail15normal_iteratorINS9_10device_ptrIjEEEENSB_INSC_IfEEEEfNS9_4plusIvEEfEEDaPvRmT3_T4_T5_mT6_P12ihipStream_tbENKUlT_T0_E_clISt17integral_constantIbLb1EESV_IbLb0EEEEDaSR_SS_EUlSR_E0_NS1_11comp_targetILNS1_3genE5ELNS1_11target_archE942ELNS1_3gpuE9ELNS1_3repE0EEENS1_30default_config_static_selectorELNS0_4arch9wavefront6targetE1EEEvT1_.kd
    .uniform_work_group_size: 1
    .uses_dynamic_stack: false
    .vgpr_count:     0
    .vgpr_spill_count: 0
    .wavefront_size: 64
  - .agpr_count:     0
    .args:
      - .offset:         0
        .size:           32
        .value_kind:     by_value
    .group_segment_fixed_size: 7168
    .kernarg_segment_align: 8
    .kernarg_segment_size: 32
    .language:       OpenCL C
    .language_version:
      - 2
      - 0
    .max_flat_workgroup_size: 128
    .name:           _ZN7rocprim17ROCPRIM_400000_NS6detail17trampoline_kernelINS0_14default_configENS1_20scan_config_selectorIfEEZZNS1_9scan_implILNS1_25lookback_scan_determinismE0ELb1ELb1ES3_N6thrust23THRUST_200600_302600_NS6detail15normal_iteratorINS9_10device_ptrIjEEEENSB_INSC_IfEEEEfNS9_4plusIvEEfEEDaPvRmT3_T4_T5_mT6_P12ihipStream_tbENKUlT_T0_E_clISt17integral_constantIbLb1EESV_IbLb0EEEEDaSR_SS_EUlSR_E0_NS1_11comp_targetILNS1_3genE4ELNS1_11target_archE910ELNS1_3gpuE8ELNS1_3repE0EEENS1_30default_config_static_selectorELNS0_4arch9wavefront6targetE1EEEvT1_
    .private_segment_fixed_size: 0
    .sgpr_count:     42
    .sgpr_spill_count: 0
    .symbol:         _ZN7rocprim17ROCPRIM_400000_NS6detail17trampoline_kernelINS0_14default_configENS1_20scan_config_selectorIfEEZZNS1_9scan_implILNS1_25lookback_scan_determinismE0ELb1ELb1ES3_N6thrust23THRUST_200600_302600_NS6detail15normal_iteratorINS9_10device_ptrIjEEEENSB_INSC_IfEEEEfNS9_4plusIvEEfEEDaPvRmT3_T4_T5_mT6_P12ihipStream_tbENKUlT_T0_E_clISt17integral_constantIbLb1EESV_IbLb0EEEEDaSR_SS_EUlSR_E0_NS1_11comp_targetILNS1_3genE4ELNS1_11target_archE910ELNS1_3gpuE8ELNS1_3repE0EEENS1_30default_config_static_selectorELNS0_4arch9wavefront6targetE1EEEvT1_.kd
    .uniform_work_group_size: 1
    .uses_dynamic_stack: false
    .vgpr_count:     24
    .vgpr_spill_count: 0
    .wavefront_size: 64
  - .agpr_count:     0
    .args:
      - .offset:         0
        .size:           32
        .value_kind:     by_value
    .group_segment_fixed_size: 0
    .kernarg_segment_align: 8
    .kernarg_segment_size: 32
    .language:       OpenCL C
    .language_version:
      - 2
      - 0
    .max_flat_workgroup_size: 256
    .name:           _ZN7rocprim17ROCPRIM_400000_NS6detail17trampoline_kernelINS0_14default_configENS1_20scan_config_selectorIfEEZZNS1_9scan_implILNS1_25lookback_scan_determinismE0ELb1ELb1ES3_N6thrust23THRUST_200600_302600_NS6detail15normal_iteratorINS9_10device_ptrIjEEEENSB_INSC_IfEEEEfNS9_4plusIvEEfEEDaPvRmT3_T4_T5_mT6_P12ihipStream_tbENKUlT_T0_E_clISt17integral_constantIbLb1EESV_IbLb0EEEEDaSR_SS_EUlSR_E0_NS1_11comp_targetILNS1_3genE3ELNS1_11target_archE908ELNS1_3gpuE7ELNS1_3repE0EEENS1_30default_config_static_selectorELNS0_4arch9wavefront6targetE1EEEvT1_
    .private_segment_fixed_size: 0
    .sgpr_count:     4
    .sgpr_spill_count: 0
    .symbol:         _ZN7rocprim17ROCPRIM_400000_NS6detail17trampoline_kernelINS0_14default_configENS1_20scan_config_selectorIfEEZZNS1_9scan_implILNS1_25lookback_scan_determinismE0ELb1ELb1ES3_N6thrust23THRUST_200600_302600_NS6detail15normal_iteratorINS9_10device_ptrIjEEEENSB_INSC_IfEEEEfNS9_4plusIvEEfEEDaPvRmT3_T4_T5_mT6_P12ihipStream_tbENKUlT_T0_E_clISt17integral_constantIbLb1EESV_IbLb0EEEEDaSR_SS_EUlSR_E0_NS1_11comp_targetILNS1_3genE3ELNS1_11target_archE908ELNS1_3gpuE7ELNS1_3repE0EEENS1_30default_config_static_selectorELNS0_4arch9wavefront6targetE1EEEvT1_.kd
    .uniform_work_group_size: 1
    .uses_dynamic_stack: false
    .vgpr_count:     0
    .vgpr_spill_count: 0
    .wavefront_size: 64
  - .agpr_count:     0
    .args:
      - .offset:         0
        .size:           32
        .value_kind:     by_value
    .group_segment_fixed_size: 0
    .kernarg_segment_align: 8
    .kernarg_segment_size: 32
    .language:       OpenCL C
    .language_version:
      - 2
      - 0
    .max_flat_workgroup_size: 256
    .name:           _ZN7rocprim17ROCPRIM_400000_NS6detail17trampoline_kernelINS0_14default_configENS1_20scan_config_selectorIfEEZZNS1_9scan_implILNS1_25lookback_scan_determinismE0ELb1ELb1ES3_N6thrust23THRUST_200600_302600_NS6detail15normal_iteratorINS9_10device_ptrIjEEEENSB_INSC_IfEEEEfNS9_4plusIvEEfEEDaPvRmT3_T4_T5_mT6_P12ihipStream_tbENKUlT_T0_E_clISt17integral_constantIbLb1EESV_IbLb0EEEEDaSR_SS_EUlSR_E0_NS1_11comp_targetILNS1_3genE2ELNS1_11target_archE906ELNS1_3gpuE6ELNS1_3repE0EEENS1_30default_config_static_selectorELNS0_4arch9wavefront6targetE1EEEvT1_
    .private_segment_fixed_size: 0
    .sgpr_count:     4
    .sgpr_spill_count: 0
    .symbol:         _ZN7rocprim17ROCPRIM_400000_NS6detail17trampoline_kernelINS0_14default_configENS1_20scan_config_selectorIfEEZZNS1_9scan_implILNS1_25lookback_scan_determinismE0ELb1ELb1ES3_N6thrust23THRUST_200600_302600_NS6detail15normal_iteratorINS9_10device_ptrIjEEEENSB_INSC_IfEEEEfNS9_4plusIvEEfEEDaPvRmT3_T4_T5_mT6_P12ihipStream_tbENKUlT_T0_E_clISt17integral_constantIbLb1EESV_IbLb0EEEEDaSR_SS_EUlSR_E0_NS1_11comp_targetILNS1_3genE2ELNS1_11target_archE906ELNS1_3gpuE6ELNS1_3repE0EEENS1_30default_config_static_selectorELNS0_4arch9wavefront6targetE1EEEvT1_.kd
    .uniform_work_group_size: 1
    .uses_dynamic_stack: false
    .vgpr_count:     0
    .vgpr_spill_count: 0
    .wavefront_size: 64
  - .agpr_count:     0
    .args:
      - .offset:         0
        .size:           32
        .value_kind:     by_value
    .group_segment_fixed_size: 0
    .kernarg_segment_align: 8
    .kernarg_segment_size: 32
    .language:       OpenCL C
    .language_version:
      - 2
      - 0
    .max_flat_workgroup_size: 256
    .name:           _ZN7rocprim17ROCPRIM_400000_NS6detail17trampoline_kernelINS0_14default_configENS1_20scan_config_selectorIfEEZZNS1_9scan_implILNS1_25lookback_scan_determinismE0ELb1ELb1ES3_N6thrust23THRUST_200600_302600_NS6detail15normal_iteratorINS9_10device_ptrIjEEEENSB_INSC_IfEEEEfNS9_4plusIvEEfEEDaPvRmT3_T4_T5_mT6_P12ihipStream_tbENKUlT_T0_E_clISt17integral_constantIbLb1EESV_IbLb0EEEEDaSR_SS_EUlSR_E0_NS1_11comp_targetILNS1_3genE10ELNS1_11target_archE1201ELNS1_3gpuE5ELNS1_3repE0EEENS1_30default_config_static_selectorELNS0_4arch9wavefront6targetE1EEEvT1_
    .private_segment_fixed_size: 0
    .sgpr_count:     4
    .sgpr_spill_count: 0
    .symbol:         _ZN7rocprim17ROCPRIM_400000_NS6detail17trampoline_kernelINS0_14default_configENS1_20scan_config_selectorIfEEZZNS1_9scan_implILNS1_25lookback_scan_determinismE0ELb1ELb1ES3_N6thrust23THRUST_200600_302600_NS6detail15normal_iteratorINS9_10device_ptrIjEEEENSB_INSC_IfEEEEfNS9_4plusIvEEfEEDaPvRmT3_T4_T5_mT6_P12ihipStream_tbENKUlT_T0_E_clISt17integral_constantIbLb1EESV_IbLb0EEEEDaSR_SS_EUlSR_E0_NS1_11comp_targetILNS1_3genE10ELNS1_11target_archE1201ELNS1_3gpuE5ELNS1_3repE0EEENS1_30default_config_static_selectorELNS0_4arch9wavefront6targetE1EEEvT1_.kd
    .uniform_work_group_size: 1
    .uses_dynamic_stack: false
    .vgpr_count:     0
    .vgpr_spill_count: 0
    .wavefront_size: 64
  - .agpr_count:     0
    .args:
      - .offset:         0
        .size:           32
        .value_kind:     by_value
    .group_segment_fixed_size: 0
    .kernarg_segment_align: 8
    .kernarg_segment_size: 32
    .language:       OpenCL C
    .language_version:
      - 2
      - 0
    .max_flat_workgroup_size: 256
    .name:           _ZN7rocprim17ROCPRIM_400000_NS6detail17trampoline_kernelINS0_14default_configENS1_20scan_config_selectorIfEEZZNS1_9scan_implILNS1_25lookback_scan_determinismE0ELb1ELb1ES3_N6thrust23THRUST_200600_302600_NS6detail15normal_iteratorINS9_10device_ptrIjEEEENSB_INSC_IfEEEEfNS9_4plusIvEEfEEDaPvRmT3_T4_T5_mT6_P12ihipStream_tbENKUlT_T0_E_clISt17integral_constantIbLb1EESV_IbLb0EEEEDaSR_SS_EUlSR_E0_NS1_11comp_targetILNS1_3genE10ELNS1_11target_archE1200ELNS1_3gpuE4ELNS1_3repE0EEENS1_30default_config_static_selectorELNS0_4arch9wavefront6targetE1EEEvT1_
    .private_segment_fixed_size: 0
    .sgpr_count:     4
    .sgpr_spill_count: 0
    .symbol:         _ZN7rocprim17ROCPRIM_400000_NS6detail17trampoline_kernelINS0_14default_configENS1_20scan_config_selectorIfEEZZNS1_9scan_implILNS1_25lookback_scan_determinismE0ELb1ELb1ES3_N6thrust23THRUST_200600_302600_NS6detail15normal_iteratorINS9_10device_ptrIjEEEENSB_INSC_IfEEEEfNS9_4plusIvEEfEEDaPvRmT3_T4_T5_mT6_P12ihipStream_tbENKUlT_T0_E_clISt17integral_constantIbLb1EESV_IbLb0EEEEDaSR_SS_EUlSR_E0_NS1_11comp_targetILNS1_3genE10ELNS1_11target_archE1200ELNS1_3gpuE4ELNS1_3repE0EEENS1_30default_config_static_selectorELNS0_4arch9wavefront6targetE1EEEvT1_.kd
    .uniform_work_group_size: 1
    .uses_dynamic_stack: false
    .vgpr_count:     0
    .vgpr_spill_count: 0
    .wavefront_size: 64
  - .agpr_count:     0
    .args:
      - .offset:         0
        .size:           32
        .value_kind:     by_value
    .group_segment_fixed_size: 0
    .kernarg_segment_align: 8
    .kernarg_segment_size: 32
    .language:       OpenCL C
    .language_version:
      - 2
      - 0
    .max_flat_workgroup_size: 256
    .name:           _ZN7rocprim17ROCPRIM_400000_NS6detail17trampoline_kernelINS0_14default_configENS1_20scan_config_selectorIfEEZZNS1_9scan_implILNS1_25lookback_scan_determinismE0ELb1ELb1ES3_N6thrust23THRUST_200600_302600_NS6detail15normal_iteratorINS9_10device_ptrIjEEEENSB_INSC_IfEEEEfNS9_4plusIvEEfEEDaPvRmT3_T4_T5_mT6_P12ihipStream_tbENKUlT_T0_E_clISt17integral_constantIbLb1EESV_IbLb0EEEEDaSR_SS_EUlSR_E0_NS1_11comp_targetILNS1_3genE9ELNS1_11target_archE1100ELNS1_3gpuE3ELNS1_3repE0EEENS1_30default_config_static_selectorELNS0_4arch9wavefront6targetE1EEEvT1_
    .private_segment_fixed_size: 0
    .sgpr_count:     4
    .sgpr_spill_count: 0
    .symbol:         _ZN7rocprim17ROCPRIM_400000_NS6detail17trampoline_kernelINS0_14default_configENS1_20scan_config_selectorIfEEZZNS1_9scan_implILNS1_25lookback_scan_determinismE0ELb1ELb1ES3_N6thrust23THRUST_200600_302600_NS6detail15normal_iteratorINS9_10device_ptrIjEEEENSB_INSC_IfEEEEfNS9_4plusIvEEfEEDaPvRmT3_T4_T5_mT6_P12ihipStream_tbENKUlT_T0_E_clISt17integral_constantIbLb1EESV_IbLb0EEEEDaSR_SS_EUlSR_E0_NS1_11comp_targetILNS1_3genE9ELNS1_11target_archE1100ELNS1_3gpuE3ELNS1_3repE0EEENS1_30default_config_static_selectorELNS0_4arch9wavefront6targetE1EEEvT1_.kd
    .uniform_work_group_size: 1
    .uses_dynamic_stack: false
    .vgpr_count:     0
    .vgpr_spill_count: 0
    .wavefront_size: 64
  - .agpr_count:     0
    .args:
      - .offset:         0
        .size:           32
        .value_kind:     by_value
    .group_segment_fixed_size: 0
    .kernarg_segment_align: 8
    .kernarg_segment_size: 32
    .language:       OpenCL C
    .language_version:
      - 2
      - 0
    .max_flat_workgroup_size: 64
    .name:           _ZN7rocprim17ROCPRIM_400000_NS6detail17trampoline_kernelINS0_14default_configENS1_20scan_config_selectorIfEEZZNS1_9scan_implILNS1_25lookback_scan_determinismE0ELb1ELb1ES3_N6thrust23THRUST_200600_302600_NS6detail15normal_iteratorINS9_10device_ptrIjEEEENSB_INSC_IfEEEEfNS9_4plusIvEEfEEDaPvRmT3_T4_T5_mT6_P12ihipStream_tbENKUlT_T0_E_clISt17integral_constantIbLb1EESV_IbLb0EEEEDaSR_SS_EUlSR_E0_NS1_11comp_targetILNS1_3genE8ELNS1_11target_archE1030ELNS1_3gpuE2ELNS1_3repE0EEENS1_30default_config_static_selectorELNS0_4arch9wavefront6targetE1EEEvT1_
    .private_segment_fixed_size: 0
    .sgpr_count:     4
    .sgpr_spill_count: 0
    .symbol:         _ZN7rocprim17ROCPRIM_400000_NS6detail17trampoline_kernelINS0_14default_configENS1_20scan_config_selectorIfEEZZNS1_9scan_implILNS1_25lookback_scan_determinismE0ELb1ELb1ES3_N6thrust23THRUST_200600_302600_NS6detail15normal_iteratorINS9_10device_ptrIjEEEENSB_INSC_IfEEEEfNS9_4plusIvEEfEEDaPvRmT3_T4_T5_mT6_P12ihipStream_tbENKUlT_T0_E_clISt17integral_constantIbLb1EESV_IbLb0EEEEDaSR_SS_EUlSR_E0_NS1_11comp_targetILNS1_3genE8ELNS1_11target_archE1030ELNS1_3gpuE2ELNS1_3repE0EEENS1_30default_config_static_selectorELNS0_4arch9wavefront6targetE1EEEvT1_.kd
    .uniform_work_group_size: 1
    .uses_dynamic_stack: false
    .vgpr_count:     0
    .vgpr_spill_count: 0
    .wavefront_size: 64
  - .agpr_count:     0
    .args:
      - .offset:         0
        .size:           96
        .value_kind:     by_value
    .group_segment_fixed_size: 0
    .kernarg_segment_align: 8
    .kernarg_segment_size: 96
    .language:       OpenCL C
    .language_version:
      - 2
      - 0
    .max_flat_workgroup_size: 256
    .name:           _ZN7rocprim17ROCPRIM_400000_NS6detail17trampoline_kernelINS0_14default_configENS1_20scan_config_selectorIfEEZZNS1_9scan_implILNS1_25lookback_scan_determinismE0ELb1ELb1ES3_N6thrust23THRUST_200600_302600_NS6detail15normal_iteratorINS9_10device_ptrIjEEEENSB_INSC_IfEEEEfNS9_4plusIvEEfEEDaPvRmT3_T4_T5_mT6_P12ihipStream_tbENKUlT_T0_E_clISt17integral_constantIbLb0EESV_IbLb1EEEEDaSR_SS_EUlSR_E_NS1_11comp_targetILNS1_3genE0ELNS1_11target_archE4294967295ELNS1_3gpuE0ELNS1_3repE0EEENS1_30default_config_static_selectorELNS0_4arch9wavefront6targetE1EEEvT1_
    .private_segment_fixed_size: 0
    .sgpr_count:     4
    .sgpr_spill_count: 0
    .symbol:         _ZN7rocprim17ROCPRIM_400000_NS6detail17trampoline_kernelINS0_14default_configENS1_20scan_config_selectorIfEEZZNS1_9scan_implILNS1_25lookback_scan_determinismE0ELb1ELb1ES3_N6thrust23THRUST_200600_302600_NS6detail15normal_iteratorINS9_10device_ptrIjEEEENSB_INSC_IfEEEEfNS9_4plusIvEEfEEDaPvRmT3_T4_T5_mT6_P12ihipStream_tbENKUlT_T0_E_clISt17integral_constantIbLb0EESV_IbLb1EEEEDaSR_SS_EUlSR_E_NS1_11comp_targetILNS1_3genE0ELNS1_11target_archE4294967295ELNS1_3gpuE0ELNS1_3repE0EEENS1_30default_config_static_selectorELNS0_4arch9wavefront6targetE1EEEvT1_.kd
    .uniform_work_group_size: 1
    .uses_dynamic_stack: false
    .vgpr_count:     0
    .vgpr_spill_count: 0
    .wavefront_size: 64
  - .agpr_count:     0
    .args:
      - .offset:         0
        .size:           96
        .value_kind:     by_value
    .group_segment_fixed_size: 0
    .kernarg_segment_align: 8
    .kernarg_segment_size: 96
    .language:       OpenCL C
    .language_version:
      - 2
      - 0
    .max_flat_workgroup_size: 256
    .name:           _ZN7rocprim17ROCPRIM_400000_NS6detail17trampoline_kernelINS0_14default_configENS1_20scan_config_selectorIfEEZZNS1_9scan_implILNS1_25lookback_scan_determinismE0ELb1ELb1ES3_N6thrust23THRUST_200600_302600_NS6detail15normal_iteratorINS9_10device_ptrIjEEEENSB_INSC_IfEEEEfNS9_4plusIvEEfEEDaPvRmT3_T4_T5_mT6_P12ihipStream_tbENKUlT_T0_E_clISt17integral_constantIbLb0EESV_IbLb1EEEEDaSR_SS_EUlSR_E_NS1_11comp_targetILNS1_3genE5ELNS1_11target_archE942ELNS1_3gpuE9ELNS1_3repE0EEENS1_30default_config_static_selectorELNS0_4arch9wavefront6targetE1EEEvT1_
    .private_segment_fixed_size: 0
    .sgpr_count:     4
    .sgpr_spill_count: 0
    .symbol:         _ZN7rocprim17ROCPRIM_400000_NS6detail17trampoline_kernelINS0_14default_configENS1_20scan_config_selectorIfEEZZNS1_9scan_implILNS1_25lookback_scan_determinismE0ELb1ELb1ES3_N6thrust23THRUST_200600_302600_NS6detail15normal_iteratorINS9_10device_ptrIjEEEENSB_INSC_IfEEEEfNS9_4plusIvEEfEEDaPvRmT3_T4_T5_mT6_P12ihipStream_tbENKUlT_T0_E_clISt17integral_constantIbLb0EESV_IbLb1EEEEDaSR_SS_EUlSR_E_NS1_11comp_targetILNS1_3genE5ELNS1_11target_archE942ELNS1_3gpuE9ELNS1_3repE0EEENS1_30default_config_static_selectorELNS0_4arch9wavefront6targetE1EEEvT1_.kd
    .uniform_work_group_size: 1
    .uses_dynamic_stack: false
    .vgpr_count:     0
    .vgpr_spill_count: 0
    .wavefront_size: 64
  - .agpr_count:     0
    .args:
      - .offset:         0
        .size:           96
        .value_kind:     by_value
    .group_segment_fixed_size: 7168
    .kernarg_segment_align: 8
    .kernarg_segment_size: 96
    .language:       OpenCL C
    .language_version:
      - 2
      - 0
    .max_flat_workgroup_size: 128
    .name:           _ZN7rocprim17ROCPRIM_400000_NS6detail17trampoline_kernelINS0_14default_configENS1_20scan_config_selectorIfEEZZNS1_9scan_implILNS1_25lookback_scan_determinismE0ELb1ELb1ES3_N6thrust23THRUST_200600_302600_NS6detail15normal_iteratorINS9_10device_ptrIjEEEENSB_INSC_IfEEEEfNS9_4plusIvEEfEEDaPvRmT3_T4_T5_mT6_P12ihipStream_tbENKUlT_T0_E_clISt17integral_constantIbLb0EESV_IbLb1EEEEDaSR_SS_EUlSR_E_NS1_11comp_targetILNS1_3genE4ELNS1_11target_archE910ELNS1_3gpuE8ELNS1_3repE0EEENS1_30default_config_static_selectorELNS0_4arch9wavefront6targetE1EEEvT1_
    .private_segment_fixed_size: 0
    .sgpr_count:     45
    .sgpr_spill_count: 0
    .symbol:         _ZN7rocprim17ROCPRIM_400000_NS6detail17trampoline_kernelINS0_14default_configENS1_20scan_config_selectorIfEEZZNS1_9scan_implILNS1_25lookback_scan_determinismE0ELb1ELb1ES3_N6thrust23THRUST_200600_302600_NS6detail15normal_iteratorINS9_10device_ptrIjEEEENSB_INSC_IfEEEEfNS9_4plusIvEEfEEDaPvRmT3_T4_T5_mT6_P12ihipStream_tbENKUlT_T0_E_clISt17integral_constantIbLb0EESV_IbLb1EEEEDaSR_SS_EUlSR_E_NS1_11comp_targetILNS1_3genE4ELNS1_11target_archE910ELNS1_3gpuE8ELNS1_3repE0EEENS1_30default_config_static_selectorELNS0_4arch9wavefront6targetE1EEEvT1_.kd
    .uniform_work_group_size: 1
    .uses_dynamic_stack: false
    .vgpr_count:     49
    .vgpr_spill_count: 0
    .wavefront_size: 64
  - .agpr_count:     0
    .args:
      - .offset:         0
        .size:           96
        .value_kind:     by_value
    .group_segment_fixed_size: 0
    .kernarg_segment_align: 8
    .kernarg_segment_size: 96
    .language:       OpenCL C
    .language_version:
      - 2
      - 0
    .max_flat_workgroup_size: 256
    .name:           _ZN7rocprim17ROCPRIM_400000_NS6detail17trampoline_kernelINS0_14default_configENS1_20scan_config_selectorIfEEZZNS1_9scan_implILNS1_25lookback_scan_determinismE0ELb1ELb1ES3_N6thrust23THRUST_200600_302600_NS6detail15normal_iteratorINS9_10device_ptrIjEEEENSB_INSC_IfEEEEfNS9_4plusIvEEfEEDaPvRmT3_T4_T5_mT6_P12ihipStream_tbENKUlT_T0_E_clISt17integral_constantIbLb0EESV_IbLb1EEEEDaSR_SS_EUlSR_E_NS1_11comp_targetILNS1_3genE3ELNS1_11target_archE908ELNS1_3gpuE7ELNS1_3repE0EEENS1_30default_config_static_selectorELNS0_4arch9wavefront6targetE1EEEvT1_
    .private_segment_fixed_size: 0
    .sgpr_count:     4
    .sgpr_spill_count: 0
    .symbol:         _ZN7rocprim17ROCPRIM_400000_NS6detail17trampoline_kernelINS0_14default_configENS1_20scan_config_selectorIfEEZZNS1_9scan_implILNS1_25lookback_scan_determinismE0ELb1ELb1ES3_N6thrust23THRUST_200600_302600_NS6detail15normal_iteratorINS9_10device_ptrIjEEEENSB_INSC_IfEEEEfNS9_4plusIvEEfEEDaPvRmT3_T4_T5_mT6_P12ihipStream_tbENKUlT_T0_E_clISt17integral_constantIbLb0EESV_IbLb1EEEEDaSR_SS_EUlSR_E_NS1_11comp_targetILNS1_3genE3ELNS1_11target_archE908ELNS1_3gpuE7ELNS1_3repE0EEENS1_30default_config_static_selectorELNS0_4arch9wavefront6targetE1EEEvT1_.kd
    .uniform_work_group_size: 1
    .uses_dynamic_stack: false
    .vgpr_count:     0
    .vgpr_spill_count: 0
    .wavefront_size: 64
  - .agpr_count:     0
    .args:
      - .offset:         0
        .size:           96
        .value_kind:     by_value
    .group_segment_fixed_size: 0
    .kernarg_segment_align: 8
    .kernarg_segment_size: 96
    .language:       OpenCL C
    .language_version:
      - 2
      - 0
    .max_flat_workgroup_size: 256
    .name:           _ZN7rocprim17ROCPRIM_400000_NS6detail17trampoline_kernelINS0_14default_configENS1_20scan_config_selectorIfEEZZNS1_9scan_implILNS1_25lookback_scan_determinismE0ELb1ELb1ES3_N6thrust23THRUST_200600_302600_NS6detail15normal_iteratorINS9_10device_ptrIjEEEENSB_INSC_IfEEEEfNS9_4plusIvEEfEEDaPvRmT3_T4_T5_mT6_P12ihipStream_tbENKUlT_T0_E_clISt17integral_constantIbLb0EESV_IbLb1EEEEDaSR_SS_EUlSR_E_NS1_11comp_targetILNS1_3genE2ELNS1_11target_archE906ELNS1_3gpuE6ELNS1_3repE0EEENS1_30default_config_static_selectorELNS0_4arch9wavefront6targetE1EEEvT1_
    .private_segment_fixed_size: 0
    .sgpr_count:     4
    .sgpr_spill_count: 0
    .symbol:         _ZN7rocprim17ROCPRIM_400000_NS6detail17trampoline_kernelINS0_14default_configENS1_20scan_config_selectorIfEEZZNS1_9scan_implILNS1_25lookback_scan_determinismE0ELb1ELb1ES3_N6thrust23THRUST_200600_302600_NS6detail15normal_iteratorINS9_10device_ptrIjEEEENSB_INSC_IfEEEEfNS9_4plusIvEEfEEDaPvRmT3_T4_T5_mT6_P12ihipStream_tbENKUlT_T0_E_clISt17integral_constantIbLb0EESV_IbLb1EEEEDaSR_SS_EUlSR_E_NS1_11comp_targetILNS1_3genE2ELNS1_11target_archE906ELNS1_3gpuE6ELNS1_3repE0EEENS1_30default_config_static_selectorELNS0_4arch9wavefront6targetE1EEEvT1_.kd
    .uniform_work_group_size: 1
    .uses_dynamic_stack: false
    .vgpr_count:     0
    .vgpr_spill_count: 0
    .wavefront_size: 64
  - .agpr_count:     0
    .args:
      - .offset:         0
        .size:           96
        .value_kind:     by_value
    .group_segment_fixed_size: 0
    .kernarg_segment_align: 8
    .kernarg_segment_size: 96
    .language:       OpenCL C
    .language_version:
      - 2
      - 0
    .max_flat_workgroup_size: 256
    .name:           _ZN7rocprim17ROCPRIM_400000_NS6detail17trampoline_kernelINS0_14default_configENS1_20scan_config_selectorIfEEZZNS1_9scan_implILNS1_25lookback_scan_determinismE0ELb1ELb1ES3_N6thrust23THRUST_200600_302600_NS6detail15normal_iteratorINS9_10device_ptrIjEEEENSB_INSC_IfEEEEfNS9_4plusIvEEfEEDaPvRmT3_T4_T5_mT6_P12ihipStream_tbENKUlT_T0_E_clISt17integral_constantIbLb0EESV_IbLb1EEEEDaSR_SS_EUlSR_E_NS1_11comp_targetILNS1_3genE10ELNS1_11target_archE1201ELNS1_3gpuE5ELNS1_3repE0EEENS1_30default_config_static_selectorELNS0_4arch9wavefront6targetE1EEEvT1_
    .private_segment_fixed_size: 0
    .sgpr_count:     4
    .sgpr_spill_count: 0
    .symbol:         _ZN7rocprim17ROCPRIM_400000_NS6detail17trampoline_kernelINS0_14default_configENS1_20scan_config_selectorIfEEZZNS1_9scan_implILNS1_25lookback_scan_determinismE0ELb1ELb1ES3_N6thrust23THRUST_200600_302600_NS6detail15normal_iteratorINS9_10device_ptrIjEEEENSB_INSC_IfEEEEfNS9_4plusIvEEfEEDaPvRmT3_T4_T5_mT6_P12ihipStream_tbENKUlT_T0_E_clISt17integral_constantIbLb0EESV_IbLb1EEEEDaSR_SS_EUlSR_E_NS1_11comp_targetILNS1_3genE10ELNS1_11target_archE1201ELNS1_3gpuE5ELNS1_3repE0EEENS1_30default_config_static_selectorELNS0_4arch9wavefront6targetE1EEEvT1_.kd
    .uniform_work_group_size: 1
    .uses_dynamic_stack: false
    .vgpr_count:     0
    .vgpr_spill_count: 0
    .wavefront_size: 64
  - .agpr_count:     0
    .args:
      - .offset:         0
        .size:           96
        .value_kind:     by_value
    .group_segment_fixed_size: 0
    .kernarg_segment_align: 8
    .kernarg_segment_size: 96
    .language:       OpenCL C
    .language_version:
      - 2
      - 0
    .max_flat_workgroup_size: 256
    .name:           _ZN7rocprim17ROCPRIM_400000_NS6detail17trampoline_kernelINS0_14default_configENS1_20scan_config_selectorIfEEZZNS1_9scan_implILNS1_25lookback_scan_determinismE0ELb1ELb1ES3_N6thrust23THRUST_200600_302600_NS6detail15normal_iteratorINS9_10device_ptrIjEEEENSB_INSC_IfEEEEfNS9_4plusIvEEfEEDaPvRmT3_T4_T5_mT6_P12ihipStream_tbENKUlT_T0_E_clISt17integral_constantIbLb0EESV_IbLb1EEEEDaSR_SS_EUlSR_E_NS1_11comp_targetILNS1_3genE10ELNS1_11target_archE1200ELNS1_3gpuE4ELNS1_3repE0EEENS1_30default_config_static_selectorELNS0_4arch9wavefront6targetE1EEEvT1_
    .private_segment_fixed_size: 0
    .sgpr_count:     4
    .sgpr_spill_count: 0
    .symbol:         _ZN7rocprim17ROCPRIM_400000_NS6detail17trampoline_kernelINS0_14default_configENS1_20scan_config_selectorIfEEZZNS1_9scan_implILNS1_25lookback_scan_determinismE0ELb1ELb1ES3_N6thrust23THRUST_200600_302600_NS6detail15normal_iteratorINS9_10device_ptrIjEEEENSB_INSC_IfEEEEfNS9_4plusIvEEfEEDaPvRmT3_T4_T5_mT6_P12ihipStream_tbENKUlT_T0_E_clISt17integral_constantIbLb0EESV_IbLb1EEEEDaSR_SS_EUlSR_E_NS1_11comp_targetILNS1_3genE10ELNS1_11target_archE1200ELNS1_3gpuE4ELNS1_3repE0EEENS1_30default_config_static_selectorELNS0_4arch9wavefront6targetE1EEEvT1_.kd
    .uniform_work_group_size: 1
    .uses_dynamic_stack: false
    .vgpr_count:     0
    .vgpr_spill_count: 0
    .wavefront_size: 64
  - .agpr_count:     0
    .args:
      - .offset:         0
        .size:           96
        .value_kind:     by_value
    .group_segment_fixed_size: 0
    .kernarg_segment_align: 8
    .kernarg_segment_size: 96
    .language:       OpenCL C
    .language_version:
      - 2
      - 0
    .max_flat_workgroup_size: 256
    .name:           _ZN7rocprim17ROCPRIM_400000_NS6detail17trampoline_kernelINS0_14default_configENS1_20scan_config_selectorIfEEZZNS1_9scan_implILNS1_25lookback_scan_determinismE0ELb1ELb1ES3_N6thrust23THRUST_200600_302600_NS6detail15normal_iteratorINS9_10device_ptrIjEEEENSB_INSC_IfEEEEfNS9_4plusIvEEfEEDaPvRmT3_T4_T5_mT6_P12ihipStream_tbENKUlT_T0_E_clISt17integral_constantIbLb0EESV_IbLb1EEEEDaSR_SS_EUlSR_E_NS1_11comp_targetILNS1_3genE9ELNS1_11target_archE1100ELNS1_3gpuE3ELNS1_3repE0EEENS1_30default_config_static_selectorELNS0_4arch9wavefront6targetE1EEEvT1_
    .private_segment_fixed_size: 0
    .sgpr_count:     4
    .sgpr_spill_count: 0
    .symbol:         _ZN7rocprim17ROCPRIM_400000_NS6detail17trampoline_kernelINS0_14default_configENS1_20scan_config_selectorIfEEZZNS1_9scan_implILNS1_25lookback_scan_determinismE0ELb1ELb1ES3_N6thrust23THRUST_200600_302600_NS6detail15normal_iteratorINS9_10device_ptrIjEEEENSB_INSC_IfEEEEfNS9_4plusIvEEfEEDaPvRmT3_T4_T5_mT6_P12ihipStream_tbENKUlT_T0_E_clISt17integral_constantIbLb0EESV_IbLb1EEEEDaSR_SS_EUlSR_E_NS1_11comp_targetILNS1_3genE9ELNS1_11target_archE1100ELNS1_3gpuE3ELNS1_3repE0EEENS1_30default_config_static_selectorELNS0_4arch9wavefront6targetE1EEEvT1_.kd
    .uniform_work_group_size: 1
    .uses_dynamic_stack: false
    .vgpr_count:     0
    .vgpr_spill_count: 0
    .wavefront_size: 64
  - .agpr_count:     0
    .args:
      - .offset:         0
        .size:           96
        .value_kind:     by_value
    .group_segment_fixed_size: 0
    .kernarg_segment_align: 8
    .kernarg_segment_size: 96
    .language:       OpenCL C
    .language_version:
      - 2
      - 0
    .max_flat_workgroup_size: 64
    .name:           _ZN7rocprim17ROCPRIM_400000_NS6detail17trampoline_kernelINS0_14default_configENS1_20scan_config_selectorIfEEZZNS1_9scan_implILNS1_25lookback_scan_determinismE0ELb1ELb1ES3_N6thrust23THRUST_200600_302600_NS6detail15normal_iteratorINS9_10device_ptrIjEEEENSB_INSC_IfEEEEfNS9_4plusIvEEfEEDaPvRmT3_T4_T5_mT6_P12ihipStream_tbENKUlT_T0_E_clISt17integral_constantIbLb0EESV_IbLb1EEEEDaSR_SS_EUlSR_E_NS1_11comp_targetILNS1_3genE8ELNS1_11target_archE1030ELNS1_3gpuE2ELNS1_3repE0EEENS1_30default_config_static_selectorELNS0_4arch9wavefront6targetE1EEEvT1_
    .private_segment_fixed_size: 0
    .sgpr_count:     4
    .sgpr_spill_count: 0
    .symbol:         _ZN7rocprim17ROCPRIM_400000_NS6detail17trampoline_kernelINS0_14default_configENS1_20scan_config_selectorIfEEZZNS1_9scan_implILNS1_25lookback_scan_determinismE0ELb1ELb1ES3_N6thrust23THRUST_200600_302600_NS6detail15normal_iteratorINS9_10device_ptrIjEEEENSB_INSC_IfEEEEfNS9_4plusIvEEfEEDaPvRmT3_T4_T5_mT6_P12ihipStream_tbENKUlT_T0_E_clISt17integral_constantIbLb0EESV_IbLb1EEEEDaSR_SS_EUlSR_E_NS1_11comp_targetILNS1_3genE8ELNS1_11target_archE1030ELNS1_3gpuE2ELNS1_3repE0EEENS1_30default_config_static_selectorELNS0_4arch9wavefront6targetE1EEEvT1_.kd
    .uniform_work_group_size: 1
    .uses_dynamic_stack: false
    .vgpr_count:     0
    .vgpr_spill_count: 0
    .wavefront_size: 64
  - .agpr_count:     0
    .args:
      - .offset:         0
        .size:           32
        .value_kind:     by_value
    .group_segment_fixed_size: 0
    .kernarg_segment_align: 8
    .kernarg_segment_size: 32
    .language:       OpenCL C
    .language_version:
      - 2
      - 0
    .max_flat_workgroup_size: 256
    .name:           _ZN7rocprim17ROCPRIM_400000_NS6detail17trampoline_kernelINS0_14default_configENS1_20scan_config_selectorIfEEZZNS1_9scan_implILNS1_25lookback_scan_determinismE0ELb1ELb1ES3_N6thrust23THRUST_200600_302600_NS6detail15normal_iteratorINS9_10device_ptrIjEEEENSB_INSC_IfEEEEfNS9_4plusIvEEfEEDaPvRmT3_T4_T5_mT6_P12ihipStream_tbENKUlT_T0_E_clISt17integral_constantIbLb0EESV_IbLb1EEEEDaSR_SS_EUlSR_E0_NS1_11comp_targetILNS1_3genE0ELNS1_11target_archE4294967295ELNS1_3gpuE0ELNS1_3repE0EEENS1_30default_config_static_selectorELNS0_4arch9wavefront6targetE1EEEvT1_
    .private_segment_fixed_size: 0
    .sgpr_count:     4
    .sgpr_spill_count: 0
    .symbol:         _ZN7rocprim17ROCPRIM_400000_NS6detail17trampoline_kernelINS0_14default_configENS1_20scan_config_selectorIfEEZZNS1_9scan_implILNS1_25lookback_scan_determinismE0ELb1ELb1ES3_N6thrust23THRUST_200600_302600_NS6detail15normal_iteratorINS9_10device_ptrIjEEEENSB_INSC_IfEEEEfNS9_4plusIvEEfEEDaPvRmT3_T4_T5_mT6_P12ihipStream_tbENKUlT_T0_E_clISt17integral_constantIbLb0EESV_IbLb1EEEEDaSR_SS_EUlSR_E0_NS1_11comp_targetILNS1_3genE0ELNS1_11target_archE4294967295ELNS1_3gpuE0ELNS1_3repE0EEENS1_30default_config_static_selectorELNS0_4arch9wavefront6targetE1EEEvT1_.kd
    .uniform_work_group_size: 1
    .uses_dynamic_stack: false
    .vgpr_count:     0
    .vgpr_spill_count: 0
    .wavefront_size: 64
  - .agpr_count:     0
    .args:
      - .offset:         0
        .size:           32
        .value_kind:     by_value
    .group_segment_fixed_size: 0
    .kernarg_segment_align: 8
    .kernarg_segment_size: 32
    .language:       OpenCL C
    .language_version:
      - 2
      - 0
    .max_flat_workgroup_size: 256
    .name:           _ZN7rocprim17ROCPRIM_400000_NS6detail17trampoline_kernelINS0_14default_configENS1_20scan_config_selectorIfEEZZNS1_9scan_implILNS1_25lookback_scan_determinismE0ELb1ELb1ES3_N6thrust23THRUST_200600_302600_NS6detail15normal_iteratorINS9_10device_ptrIjEEEENSB_INSC_IfEEEEfNS9_4plusIvEEfEEDaPvRmT3_T4_T5_mT6_P12ihipStream_tbENKUlT_T0_E_clISt17integral_constantIbLb0EESV_IbLb1EEEEDaSR_SS_EUlSR_E0_NS1_11comp_targetILNS1_3genE5ELNS1_11target_archE942ELNS1_3gpuE9ELNS1_3repE0EEENS1_30default_config_static_selectorELNS0_4arch9wavefront6targetE1EEEvT1_
    .private_segment_fixed_size: 0
    .sgpr_count:     4
    .sgpr_spill_count: 0
    .symbol:         _ZN7rocprim17ROCPRIM_400000_NS6detail17trampoline_kernelINS0_14default_configENS1_20scan_config_selectorIfEEZZNS1_9scan_implILNS1_25lookback_scan_determinismE0ELb1ELb1ES3_N6thrust23THRUST_200600_302600_NS6detail15normal_iteratorINS9_10device_ptrIjEEEENSB_INSC_IfEEEEfNS9_4plusIvEEfEEDaPvRmT3_T4_T5_mT6_P12ihipStream_tbENKUlT_T0_E_clISt17integral_constantIbLb0EESV_IbLb1EEEEDaSR_SS_EUlSR_E0_NS1_11comp_targetILNS1_3genE5ELNS1_11target_archE942ELNS1_3gpuE9ELNS1_3repE0EEENS1_30default_config_static_selectorELNS0_4arch9wavefront6targetE1EEEvT1_.kd
    .uniform_work_group_size: 1
    .uses_dynamic_stack: false
    .vgpr_count:     0
    .vgpr_spill_count: 0
    .wavefront_size: 64
  - .agpr_count:     0
    .args:
      - .offset:         0
        .size:           32
        .value_kind:     by_value
    .group_segment_fixed_size: 7168
    .kernarg_segment_align: 8
    .kernarg_segment_size: 32
    .language:       OpenCL C
    .language_version:
      - 2
      - 0
    .max_flat_workgroup_size: 128
    .name:           _ZN7rocprim17ROCPRIM_400000_NS6detail17trampoline_kernelINS0_14default_configENS1_20scan_config_selectorIfEEZZNS1_9scan_implILNS1_25lookback_scan_determinismE0ELb1ELb1ES3_N6thrust23THRUST_200600_302600_NS6detail15normal_iteratorINS9_10device_ptrIjEEEENSB_INSC_IfEEEEfNS9_4plusIvEEfEEDaPvRmT3_T4_T5_mT6_P12ihipStream_tbENKUlT_T0_E_clISt17integral_constantIbLb0EESV_IbLb1EEEEDaSR_SS_EUlSR_E0_NS1_11comp_targetILNS1_3genE4ELNS1_11target_archE910ELNS1_3gpuE8ELNS1_3repE0EEENS1_30default_config_static_selectorELNS0_4arch9wavefront6targetE1EEEvT1_
    .private_segment_fixed_size: 0
    .sgpr_count:     42
    .sgpr_spill_count: 0
    .symbol:         _ZN7rocprim17ROCPRIM_400000_NS6detail17trampoline_kernelINS0_14default_configENS1_20scan_config_selectorIfEEZZNS1_9scan_implILNS1_25lookback_scan_determinismE0ELb1ELb1ES3_N6thrust23THRUST_200600_302600_NS6detail15normal_iteratorINS9_10device_ptrIjEEEENSB_INSC_IfEEEEfNS9_4plusIvEEfEEDaPvRmT3_T4_T5_mT6_P12ihipStream_tbENKUlT_T0_E_clISt17integral_constantIbLb0EESV_IbLb1EEEEDaSR_SS_EUlSR_E0_NS1_11comp_targetILNS1_3genE4ELNS1_11target_archE910ELNS1_3gpuE8ELNS1_3repE0EEENS1_30default_config_static_selectorELNS0_4arch9wavefront6targetE1EEEvT1_.kd
    .uniform_work_group_size: 1
    .uses_dynamic_stack: false
    .vgpr_count:     24
    .vgpr_spill_count: 0
    .wavefront_size: 64
  - .agpr_count:     0
    .args:
      - .offset:         0
        .size:           32
        .value_kind:     by_value
    .group_segment_fixed_size: 0
    .kernarg_segment_align: 8
    .kernarg_segment_size: 32
    .language:       OpenCL C
    .language_version:
      - 2
      - 0
    .max_flat_workgroup_size: 256
    .name:           _ZN7rocprim17ROCPRIM_400000_NS6detail17trampoline_kernelINS0_14default_configENS1_20scan_config_selectorIfEEZZNS1_9scan_implILNS1_25lookback_scan_determinismE0ELb1ELb1ES3_N6thrust23THRUST_200600_302600_NS6detail15normal_iteratorINS9_10device_ptrIjEEEENSB_INSC_IfEEEEfNS9_4plusIvEEfEEDaPvRmT3_T4_T5_mT6_P12ihipStream_tbENKUlT_T0_E_clISt17integral_constantIbLb0EESV_IbLb1EEEEDaSR_SS_EUlSR_E0_NS1_11comp_targetILNS1_3genE3ELNS1_11target_archE908ELNS1_3gpuE7ELNS1_3repE0EEENS1_30default_config_static_selectorELNS0_4arch9wavefront6targetE1EEEvT1_
    .private_segment_fixed_size: 0
    .sgpr_count:     4
    .sgpr_spill_count: 0
    .symbol:         _ZN7rocprim17ROCPRIM_400000_NS6detail17trampoline_kernelINS0_14default_configENS1_20scan_config_selectorIfEEZZNS1_9scan_implILNS1_25lookback_scan_determinismE0ELb1ELb1ES3_N6thrust23THRUST_200600_302600_NS6detail15normal_iteratorINS9_10device_ptrIjEEEENSB_INSC_IfEEEEfNS9_4plusIvEEfEEDaPvRmT3_T4_T5_mT6_P12ihipStream_tbENKUlT_T0_E_clISt17integral_constantIbLb0EESV_IbLb1EEEEDaSR_SS_EUlSR_E0_NS1_11comp_targetILNS1_3genE3ELNS1_11target_archE908ELNS1_3gpuE7ELNS1_3repE0EEENS1_30default_config_static_selectorELNS0_4arch9wavefront6targetE1EEEvT1_.kd
    .uniform_work_group_size: 1
    .uses_dynamic_stack: false
    .vgpr_count:     0
    .vgpr_spill_count: 0
    .wavefront_size: 64
  - .agpr_count:     0
    .args:
      - .offset:         0
        .size:           32
        .value_kind:     by_value
    .group_segment_fixed_size: 0
    .kernarg_segment_align: 8
    .kernarg_segment_size: 32
    .language:       OpenCL C
    .language_version:
      - 2
      - 0
    .max_flat_workgroup_size: 256
    .name:           _ZN7rocprim17ROCPRIM_400000_NS6detail17trampoline_kernelINS0_14default_configENS1_20scan_config_selectorIfEEZZNS1_9scan_implILNS1_25lookback_scan_determinismE0ELb1ELb1ES3_N6thrust23THRUST_200600_302600_NS6detail15normal_iteratorINS9_10device_ptrIjEEEENSB_INSC_IfEEEEfNS9_4plusIvEEfEEDaPvRmT3_T4_T5_mT6_P12ihipStream_tbENKUlT_T0_E_clISt17integral_constantIbLb0EESV_IbLb1EEEEDaSR_SS_EUlSR_E0_NS1_11comp_targetILNS1_3genE2ELNS1_11target_archE906ELNS1_3gpuE6ELNS1_3repE0EEENS1_30default_config_static_selectorELNS0_4arch9wavefront6targetE1EEEvT1_
    .private_segment_fixed_size: 0
    .sgpr_count:     4
    .sgpr_spill_count: 0
    .symbol:         _ZN7rocprim17ROCPRIM_400000_NS6detail17trampoline_kernelINS0_14default_configENS1_20scan_config_selectorIfEEZZNS1_9scan_implILNS1_25lookback_scan_determinismE0ELb1ELb1ES3_N6thrust23THRUST_200600_302600_NS6detail15normal_iteratorINS9_10device_ptrIjEEEENSB_INSC_IfEEEEfNS9_4plusIvEEfEEDaPvRmT3_T4_T5_mT6_P12ihipStream_tbENKUlT_T0_E_clISt17integral_constantIbLb0EESV_IbLb1EEEEDaSR_SS_EUlSR_E0_NS1_11comp_targetILNS1_3genE2ELNS1_11target_archE906ELNS1_3gpuE6ELNS1_3repE0EEENS1_30default_config_static_selectorELNS0_4arch9wavefront6targetE1EEEvT1_.kd
    .uniform_work_group_size: 1
    .uses_dynamic_stack: false
    .vgpr_count:     0
    .vgpr_spill_count: 0
    .wavefront_size: 64
  - .agpr_count:     0
    .args:
      - .offset:         0
        .size:           32
        .value_kind:     by_value
    .group_segment_fixed_size: 0
    .kernarg_segment_align: 8
    .kernarg_segment_size: 32
    .language:       OpenCL C
    .language_version:
      - 2
      - 0
    .max_flat_workgroup_size: 256
    .name:           _ZN7rocprim17ROCPRIM_400000_NS6detail17trampoline_kernelINS0_14default_configENS1_20scan_config_selectorIfEEZZNS1_9scan_implILNS1_25lookback_scan_determinismE0ELb1ELb1ES3_N6thrust23THRUST_200600_302600_NS6detail15normal_iteratorINS9_10device_ptrIjEEEENSB_INSC_IfEEEEfNS9_4plusIvEEfEEDaPvRmT3_T4_T5_mT6_P12ihipStream_tbENKUlT_T0_E_clISt17integral_constantIbLb0EESV_IbLb1EEEEDaSR_SS_EUlSR_E0_NS1_11comp_targetILNS1_3genE10ELNS1_11target_archE1201ELNS1_3gpuE5ELNS1_3repE0EEENS1_30default_config_static_selectorELNS0_4arch9wavefront6targetE1EEEvT1_
    .private_segment_fixed_size: 0
    .sgpr_count:     4
    .sgpr_spill_count: 0
    .symbol:         _ZN7rocprim17ROCPRIM_400000_NS6detail17trampoline_kernelINS0_14default_configENS1_20scan_config_selectorIfEEZZNS1_9scan_implILNS1_25lookback_scan_determinismE0ELb1ELb1ES3_N6thrust23THRUST_200600_302600_NS6detail15normal_iteratorINS9_10device_ptrIjEEEENSB_INSC_IfEEEEfNS9_4plusIvEEfEEDaPvRmT3_T4_T5_mT6_P12ihipStream_tbENKUlT_T0_E_clISt17integral_constantIbLb0EESV_IbLb1EEEEDaSR_SS_EUlSR_E0_NS1_11comp_targetILNS1_3genE10ELNS1_11target_archE1201ELNS1_3gpuE5ELNS1_3repE0EEENS1_30default_config_static_selectorELNS0_4arch9wavefront6targetE1EEEvT1_.kd
    .uniform_work_group_size: 1
    .uses_dynamic_stack: false
    .vgpr_count:     0
    .vgpr_spill_count: 0
    .wavefront_size: 64
  - .agpr_count:     0
    .args:
      - .offset:         0
        .size:           32
        .value_kind:     by_value
    .group_segment_fixed_size: 0
    .kernarg_segment_align: 8
    .kernarg_segment_size: 32
    .language:       OpenCL C
    .language_version:
      - 2
      - 0
    .max_flat_workgroup_size: 256
    .name:           _ZN7rocprim17ROCPRIM_400000_NS6detail17trampoline_kernelINS0_14default_configENS1_20scan_config_selectorIfEEZZNS1_9scan_implILNS1_25lookback_scan_determinismE0ELb1ELb1ES3_N6thrust23THRUST_200600_302600_NS6detail15normal_iteratorINS9_10device_ptrIjEEEENSB_INSC_IfEEEEfNS9_4plusIvEEfEEDaPvRmT3_T4_T5_mT6_P12ihipStream_tbENKUlT_T0_E_clISt17integral_constantIbLb0EESV_IbLb1EEEEDaSR_SS_EUlSR_E0_NS1_11comp_targetILNS1_3genE10ELNS1_11target_archE1200ELNS1_3gpuE4ELNS1_3repE0EEENS1_30default_config_static_selectorELNS0_4arch9wavefront6targetE1EEEvT1_
    .private_segment_fixed_size: 0
    .sgpr_count:     4
    .sgpr_spill_count: 0
    .symbol:         _ZN7rocprim17ROCPRIM_400000_NS6detail17trampoline_kernelINS0_14default_configENS1_20scan_config_selectorIfEEZZNS1_9scan_implILNS1_25lookback_scan_determinismE0ELb1ELb1ES3_N6thrust23THRUST_200600_302600_NS6detail15normal_iteratorINS9_10device_ptrIjEEEENSB_INSC_IfEEEEfNS9_4plusIvEEfEEDaPvRmT3_T4_T5_mT6_P12ihipStream_tbENKUlT_T0_E_clISt17integral_constantIbLb0EESV_IbLb1EEEEDaSR_SS_EUlSR_E0_NS1_11comp_targetILNS1_3genE10ELNS1_11target_archE1200ELNS1_3gpuE4ELNS1_3repE0EEENS1_30default_config_static_selectorELNS0_4arch9wavefront6targetE1EEEvT1_.kd
    .uniform_work_group_size: 1
    .uses_dynamic_stack: false
    .vgpr_count:     0
    .vgpr_spill_count: 0
    .wavefront_size: 64
  - .agpr_count:     0
    .args:
      - .offset:         0
        .size:           32
        .value_kind:     by_value
    .group_segment_fixed_size: 0
    .kernarg_segment_align: 8
    .kernarg_segment_size: 32
    .language:       OpenCL C
    .language_version:
      - 2
      - 0
    .max_flat_workgroup_size: 256
    .name:           _ZN7rocprim17ROCPRIM_400000_NS6detail17trampoline_kernelINS0_14default_configENS1_20scan_config_selectorIfEEZZNS1_9scan_implILNS1_25lookback_scan_determinismE0ELb1ELb1ES3_N6thrust23THRUST_200600_302600_NS6detail15normal_iteratorINS9_10device_ptrIjEEEENSB_INSC_IfEEEEfNS9_4plusIvEEfEEDaPvRmT3_T4_T5_mT6_P12ihipStream_tbENKUlT_T0_E_clISt17integral_constantIbLb0EESV_IbLb1EEEEDaSR_SS_EUlSR_E0_NS1_11comp_targetILNS1_3genE9ELNS1_11target_archE1100ELNS1_3gpuE3ELNS1_3repE0EEENS1_30default_config_static_selectorELNS0_4arch9wavefront6targetE1EEEvT1_
    .private_segment_fixed_size: 0
    .sgpr_count:     4
    .sgpr_spill_count: 0
    .symbol:         _ZN7rocprim17ROCPRIM_400000_NS6detail17trampoline_kernelINS0_14default_configENS1_20scan_config_selectorIfEEZZNS1_9scan_implILNS1_25lookback_scan_determinismE0ELb1ELb1ES3_N6thrust23THRUST_200600_302600_NS6detail15normal_iteratorINS9_10device_ptrIjEEEENSB_INSC_IfEEEEfNS9_4plusIvEEfEEDaPvRmT3_T4_T5_mT6_P12ihipStream_tbENKUlT_T0_E_clISt17integral_constantIbLb0EESV_IbLb1EEEEDaSR_SS_EUlSR_E0_NS1_11comp_targetILNS1_3genE9ELNS1_11target_archE1100ELNS1_3gpuE3ELNS1_3repE0EEENS1_30default_config_static_selectorELNS0_4arch9wavefront6targetE1EEEvT1_.kd
    .uniform_work_group_size: 1
    .uses_dynamic_stack: false
    .vgpr_count:     0
    .vgpr_spill_count: 0
    .wavefront_size: 64
  - .agpr_count:     0
    .args:
      - .offset:         0
        .size:           32
        .value_kind:     by_value
    .group_segment_fixed_size: 0
    .kernarg_segment_align: 8
    .kernarg_segment_size: 32
    .language:       OpenCL C
    .language_version:
      - 2
      - 0
    .max_flat_workgroup_size: 64
    .name:           _ZN7rocprim17ROCPRIM_400000_NS6detail17trampoline_kernelINS0_14default_configENS1_20scan_config_selectorIfEEZZNS1_9scan_implILNS1_25lookback_scan_determinismE0ELb1ELb1ES3_N6thrust23THRUST_200600_302600_NS6detail15normal_iteratorINS9_10device_ptrIjEEEENSB_INSC_IfEEEEfNS9_4plusIvEEfEEDaPvRmT3_T4_T5_mT6_P12ihipStream_tbENKUlT_T0_E_clISt17integral_constantIbLb0EESV_IbLb1EEEEDaSR_SS_EUlSR_E0_NS1_11comp_targetILNS1_3genE8ELNS1_11target_archE1030ELNS1_3gpuE2ELNS1_3repE0EEENS1_30default_config_static_selectorELNS0_4arch9wavefront6targetE1EEEvT1_
    .private_segment_fixed_size: 0
    .sgpr_count:     4
    .sgpr_spill_count: 0
    .symbol:         _ZN7rocprim17ROCPRIM_400000_NS6detail17trampoline_kernelINS0_14default_configENS1_20scan_config_selectorIfEEZZNS1_9scan_implILNS1_25lookback_scan_determinismE0ELb1ELb1ES3_N6thrust23THRUST_200600_302600_NS6detail15normal_iteratorINS9_10device_ptrIjEEEENSB_INSC_IfEEEEfNS9_4plusIvEEfEEDaPvRmT3_T4_T5_mT6_P12ihipStream_tbENKUlT_T0_E_clISt17integral_constantIbLb0EESV_IbLb1EEEEDaSR_SS_EUlSR_E0_NS1_11comp_targetILNS1_3genE8ELNS1_11target_archE1030ELNS1_3gpuE2ELNS1_3repE0EEENS1_30default_config_static_selectorELNS0_4arch9wavefront6targetE1EEEvT1_.kd
    .uniform_work_group_size: 1
    .uses_dynamic_stack: false
    .vgpr_count:     0
    .vgpr_spill_count: 0
    .wavefront_size: 64
  - .agpr_count:     0
    .args:
      - .offset:         0
        .size:           96
        .value_kind:     by_value
    .group_segment_fixed_size: 0
    .kernarg_segment_align: 8
    .kernarg_segment_size: 96
    .language:       OpenCL C
    .language_version:
      - 2
      - 0
    .max_flat_workgroup_size: 256
    .name:           _ZN7rocprim17ROCPRIM_400000_NS6detail17trampoline_kernelINS0_14default_configENS1_20scan_config_selectorIiEEZZNS1_9scan_implILNS1_25lookback_scan_determinismE0ELb1ELb1ES3_N6thrust23THRUST_200600_302600_NS6detail15normal_iteratorINS9_10device_ptrIjEEEENSB_INSC_IfEEEEiNS9_4plusIvEEiEEDaPvRmT3_T4_T5_mT6_P12ihipStream_tbENKUlT_T0_E_clISt17integral_constantIbLb0EESW_EEDaSR_SS_EUlSR_E_NS1_11comp_targetILNS1_3genE0ELNS1_11target_archE4294967295ELNS1_3gpuE0ELNS1_3repE0EEENS1_30default_config_static_selectorELNS0_4arch9wavefront6targetE1EEEvT1_
    .private_segment_fixed_size: 0
    .sgpr_count:     4
    .sgpr_spill_count: 0
    .symbol:         _ZN7rocprim17ROCPRIM_400000_NS6detail17trampoline_kernelINS0_14default_configENS1_20scan_config_selectorIiEEZZNS1_9scan_implILNS1_25lookback_scan_determinismE0ELb1ELb1ES3_N6thrust23THRUST_200600_302600_NS6detail15normal_iteratorINS9_10device_ptrIjEEEENSB_INSC_IfEEEEiNS9_4plusIvEEiEEDaPvRmT3_T4_T5_mT6_P12ihipStream_tbENKUlT_T0_E_clISt17integral_constantIbLb0EESW_EEDaSR_SS_EUlSR_E_NS1_11comp_targetILNS1_3genE0ELNS1_11target_archE4294967295ELNS1_3gpuE0ELNS1_3repE0EEENS1_30default_config_static_selectorELNS0_4arch9wavefront6targetE1EEEvT1_.kd
    .uniform_work_group_size: 1
    .uses_dynamic_stack: false
    .vgpr_count:     0
    .vgpr_spill_count: 0
    .wavefront_size: 64
  - .agpr_count:     0
    .args:
      - .offset:         0
        .size:           96
        .value_kind:     by_value
    .group_segment_fixed_size: 0
    .kernarg_segment_align: 8
    .kernarg_segment_size: 96
    .language:       OpenCL C
    .language_version:
      - 2
      - 0
    .max_flat_workgroup_size: 256
    .name:           _ZN7rocprim17ROCPRIM_400000_NS6detail17trampoline_kernelINS0_14default_configENS1_20scan_config_selectorIiEEZZNS1_9scan_implILNS1_25lookback_scan_determinismE0ELb1ELb1ES3_N6thrust23THRUST_200600_302600_NS6detail15normal_iteratorINS9_10device_ptrIjEEEENSB_INSC_IfEEEEiNS9_4plusIvEEiEEDaPvRmT3_T4_T5_mT6_P12ihipStream_tbENKUlT_T0_E_clISt17integral_constantIbLb0EESW_EEDaSR_SS_EUlSR_E_NS1_11comp_targetILNS1_3genE5ELNS1_11target_archE942ELNS1_3gpuE9ELNS1_3repE0EEENS1_30default_config_static_selectorELNS0_4arch9wavefront6targetE1EEEvT1_
    .private_segment_fixed_size: 0
    .sgpr_count:     4
    .sgpr_spill_count: 0
    .symbol:         _ZN7rocprim17ROCPRIM_400000_NS6detail17trampoline_kernelINS0_14default_configENS1_20scan_config_selectorIiEEZZNS1_9scan_implILNS1_25lookback_scan_determinismE0ELb1ELb1ES3_N6thrust23THRUST_200600_302600_NS6detail15normal_iteratorINS9_10device_ptrIjEEEENSB_INSC_IfEEEEiNS9_4plusIvEEiEEDaPvRmT3_T4_T5_mT6_P12ihipStream_tbENKUlT_T0_E_clISt17integral_constantIbLb0EESW_EEDaSR_SS_EUlSR_E_NS1_11comp_targetILNS1_3genE5ELNS1_11target_archE942ELNS1_3gpuE9ELNS1_3repE0EEENS1_30default_config_static_selectorELNS0_4arch9wavefront6targetE1EEEvT1_.kd
    .uniform_work_group_size: 1
    .uses_dynamic_stack: false
    .vgpr_count:     0
    .vgpr_spill_count: 0
    .wavefront_size: 64
  - .agpr_count:     0
    .args:
      - .offset:         0
        .size:           96
        .value_kind:     by_value
    .group_segment_fixed_size: 5120
    .kernarg_segment_align: 8
    .kernarg_segment_size: 96
    .language:       OpenCL C
    .language_version:
      - 2
      - 0
    .max_flat_workgroup_size: 128
    .name:           _ZN7rocprim17ROCPRIM_400000_NS6detail17trampoline_kernelINS0_14default_configENS1_20scan_config_selectorIiEEZZNS1_9scan_implILNS1_25lookback_scan_determinismE0ELb1ELb1ES3_N6thrust23THRUST_200600_302600_NS6detail15normal_iteratorINS9_10device_ptrIjEEEENSB_INSC_IfEEEEiNS9_4plusIvEEiEEDaPvRmT3_T4_T5_mT6_P12ihipStream_tbENKUlT_T0_E_clISt17integral_constantIbLb0EESW_EEDaSR_SS_EUlSR_E_NS1_11comp_targetILNS1_3genE4ELNS1_11target_archE910ELNS1_3gpuE8ELNS1_3repE0EEENS1_30default_config_static_selectorELNS0_4arch9wavefront6targetE1EEEvT1_
    .private_segment_fixed_size: 0
    .sgpr_count:     33
    .sgpr_spill_count: 0
    .symbol:         _ZN7rocprim17ROCPRIM_400000_NS6detail17trampoline_kernelINS0_14default_configENS1_20scan_config_selectorIiEEZZNS1_9scan_implILNS1_25lookback_scan_determinismE0ELb1ELb1ES3_N6thrust23THRUST_200600_302600_NS6detail15normal_iteratorINS9_10device_ptrIjEEEENSB_INSC_IfEEEEiNS9_4plusIvEEiEEDaPvRmT3_T4_T5_mT6_P12ihipStream_tbENKUlT_T0_E_clISt17integral_constantIbLb0EESW_EEDaSR_SS_EUlSR_E_NS1_11comp_targetILNS1_3genE4ELNS1_11target_archE910ELNS1_3gpuE8ELNS1_3repE0EEENS1_30default_config_static_selectorELNS0_4arch9wavefront6targetE1EEEvT1_.kd
    .uniform_work_group_size: 1
    .uses_dynamic_stack: false
    .vgpr_count:     41
    .vgpr_spill_count: 0
    .wavefront_size: 64
  - .agpr_count:     0
    .args:
      - .offset:         0
        .size:           96
        .value_kind:     by_value
    .group_segment_fixed_size: 0
    .kernarg_segment_align: 8
    .kernarg_segment_size: 96
    .language:       OpenCL C
    .language_version:
      - 2
      - 0
    .max_flat_workgroup_size: 256
    .name:           _ZN7rocprim17ROCPRIM_400000_NS6detail17trampoline_kernelINS0_14default_configENS1_20scan_config_selectorIiEEZZNS1_9scan_implILNS1_25lookback_scan_determinismE0ELb1ELb1ES3_N6thrust23THRUST_200600_302600_NS6detail15normal_iteratorINS9_10device_ptrIjEEEENSB_INSC_IfEEEEiNS9_4plusIvEEiEEDaPvRmT3_T4_T5_mT6_P12ihipStream_tbENKUlT_T0_E_clISt17integral_constantIbLb0EESW_EEDaSR_SS_EUlSR_E_NS1_11comp_targetILNS1_3genE3ELNS1_11target_archE908ELNS1_3gpuE7ELNS1_3repE0EEENS1_30default_config_static_selectorELNS0_4arch9wavefront6targetE1EEEvT1_
    .private_segment_fixed_size: 0
    .sgpr_count:     4
    .sgpr_spill_count: 0
    .symbol:         _ZN7rocprim17ROCPRIM_400000_NS6detail17trampoline_kernelINS0_14default_configENS1_20scan_config_selectorIiEEZZNS1_9scan_implILNS1_25lookback_scan_determinismE0ELb1ELb1ES3_N6thrust23THRUST_200600_302600_NS6detail15normal_iteratorINS9_10device_ptrIjEEEENSB_INSC_IfEEEEiNS9_4plusIvEEiEEDaPvRmT3_T4_T5_mT6_P12ihipStream_tbENKUlT_T0_E_clISt17integral_constantIbLb0EESW_EEDaSR_SS_EUlSR_E_NS1_11comp_targetILNS1_3genE3ELNS1_11target_archE908ELNS1_3gpuE7ELNS1_3repE0EEENS1_30default_config_static_selectorELNS0_4arch9wavefront6targetE1EEEvT1_.kd
    .uniform_work_group_size: 1
    .uses_dynamic_stack: false
    .vgpr_count:     0
    .vgpr_spill_count: 0
    .wavefront_size: 64
  - .agpr_count:     0
    .args:
      - .offset:         0
        .size:           96
        .value_kind:     by_value
    .group_segment_fixed_size: 0
    .kernarg_segment_align: 8
    .kernarg_segment_size: 96
    .language:       OpenCL C
    .language_version:
      - 2
      - 0
    .max_flat_workgroup_size: 256
    .name:           _ZN7rocprim17ROCPRIM_400000_NS6detail17trampoline_kernelINS0_14default_configENS1_20scan_config_selectorIiEEZZNS1_9scan_implILNS1_25lookback_scan_determinismE0ELb1ELb1ES3_N6thrust23THRUST_200600_302600_NS6detail15normal_iteratorINS9_10device_ptrIjEEEENSB_INSC_IfEEEEiNS9_4plusIvEEiEEDaPvRmT3_T4_T5_mT6_P12ihipStream_tbENKUlT_T0_E_clISt17integral_constantIbLb0EESW_EEDaSR_SS_EUlSR_E_NS1_11comp_targetILNS1_3genE2ELNS1_11target_archE906ELNS1_3gpuE6ELNS1_3repE0EEENS1_30default_config_static_selectorELNS0_4arch9wavefront6targetE1EEEvT1_
    .private_segment_fixed_size: 0
    .sgpr_count:     4
    .sgpr_spill_count: 0
    .symbol:         _ZN7rocprim17ROCPRIM_400000_NS6detail17trampoline_kernelINS0_14default_configENS1_20scan_config_selectorIiEEZZNS1_9scan_implILNS1_25lookback_scan_determinismE0ELb1ELb1ES3_N6thrust23THRUST_200600_302600_NS6detail15normal_iteratorINS9_10device_ptrIjEEEENSB_INSC_IfEEEEiNS9_4plusIvEEiEEDaPvRmT3_T4_T5_mT6_P12ihipStream_tbENKUlT_T0_E_clISt17integral_constantIbLb0EESW_EEDaSR_SS_EUlSR_E_NS1_11comp_targetILNS1_3genE2ELNS1_11target_archE906ELNS1_3gpuE6ELNS1_3repE0EEENS1_30default_config_static_selectorELNS0_4arch9wavefront6targetE1EEEvT1_.kd
    .uniform_work_group_size: 1
    .uses_dynamic_stack: false
    .vgpr_count:     0
    .vgpr_spill_count: 0
    .wavefront_size: 64
  - .agpr_count:     0
    .args:
      - .offset:         0
        .size:           96
        .value_kind:     by_value
    .group_segment_fixed_size: 0
    .kernarg_segment_align: 8
    .kernarg_segment_size: 96
    .language:       OpenCL C
    .language_version:
      - 2
      - 0
    .max_flat_workgroup_size: 256
    .name:           _ZN7rocprim17ROCPRIM_400000_NS6detail17trampoline_kernelINS0_14default_configENS1_20scan_config_selectorIiEEZZNS1_9scan_implILNS1_25lookback_scan_determinismE0ELb1ELb1ES3_N6thrust23THRUST_200600_302600_NS6detail15normal_iteratorINS9_10device_ptrIjEEEENSB_INSC_IfEEEEiNS9_4plusIvEEiEEDaPvRmT3_T4_T5_mT6_P12ihipStream_tbENKUlT_T0_E_clISt17integral_constantIbLb0EESW_EEDaSR_SS_EUlSR_E_NS1_11comp_targetILNS1_3genE10ELNS1_11target_archE1201ELNS1_3gpuE5ELNS1_3repE0EEENS1_30default_config_static_selectorELNS0_4arch9wavefront6targetE1EEEvT1_
    .private_segment_fixed_size: 0
    .sgpr_count:     4
    .sgpr_spill_count: 0
    .symbol:         _ZN7rocprim17ROCPRIM_400000_NS6detail17trampoline_kernelINS0_14default_configENS1_20scan_config_selectorIiEEZZNS1_9scan_implILNS1_25lookback_scan_determinismE0ELb1ELb1ES3_N6thrust23THRUST_200600_302600_NS6detail15normal_iteratorINS9_10device_ptrIjEEEENSB_INSC_IfEEEEiNS9_4plusIvEEiEEDaPvRmT3_T4_T5_mT6_P12ihipStream_tbENKUlT_T0_E_clISt17integral_constantIbLb0EESW_EEDaSR_SS_EUlSR_E_NS1_11comp_targetILNS1_3genE10ELNS1_11target_archE1201ELNS1_3gpuE5ELNS1_3repE0EEENS1_30default_config_static_selectorELNS0_4arch9wavefront6targetE1EEEvT1_.kd
    .uniform_work_group_size: 1
    .uses_dynamic_stack: false
    .vgpr_count:     0
    .vgpr_spill_count: 0
    .wavefront_size: 64
  - .agpr_count:     0
    .args:
      - .offset:         0
        .size:           96
        .value_kind:     by_value
    .group_segment_fixed_size: 0
    .kernarg_segment_align: 8
    .kernarg_segment_size: 96
    .language:       OpenCL C
    .language_version:
      - 2
      - 0
    .max_flat_workgroup_size: 256
    .name:           _ZN7rocprim17ROCPRIM_400000_NS6detail17trampoline_kernelINS0_14default_configENS1_20scan_config_selectorIiEEZZNS1_9scan_implILNS1_25lookback_scan_determinismE0ELb1ELb1ES3_N6thrust23THRUST_200600_302600_NS6detail15normal_iteratorINS9_10device_ptrIjEEEENSB_INSC_IfEEEEiNS9_4plusIvEEiEEDaPvRmT3_T4_T5_mT6_P12ihipStream_tbENKUlT_T0_E_clISt17integral_constantIbLb0EESW_EEDaSR_SS_EUlSR_E_NS1_11comp_targetILNS1_3genE10ELNS1_11target_archE1200ELNS1_3gpuE4ELNS1_3repE0EEENS1_30default_config_static_selectorELNS0_4arch9wavefront6targetE1EEEvT1_
    .private_segment_fixed_size: 0
    .sgpr_count:     4
    .sgpr_spill_count: 0
    .symbol:         _ZN7rocprim17ROCPRIM_400000_NS6detail17trampoline_kernelINS0_14default_configENS1_20scan_config_selectorIiEEZZNS1_9scan_implILNS1_25lookback_scan_determinismE0ELb1ELb1ES3_N6thrust23THRUST_200600_302600_NS6detail15normal_iteratorINS9_10device_ptrIjEEEENSB_INSC_IfEEEEiNS9_4plusIvEEiEEDaPvRmT3_T4_T5_mT6_P12ihipStream_tbENKUlT_T0_E_clISt17integral_constantIbLb0EESW_EEDaSR_SS_EUlSR_E_NS1_11comp_targetILNS1_3genE10ELNS1_11target_archE1200ELNS1_3gpuE4ELNS1_3repE0EEENS1_30default_config_static_selectorELNS0_4arch9wavefront6targetE1EEEvT1_.kd
    .uniform_work_group_size: 1
    .uses_dynamic_stack: false
    .vgpr_count:     0
    .vgpr_spill_count: 0
    .wavefront_size: 64
  - .agpr_count:     0
    .args:
      - .offset:         0
        .size:           96
        .value_kind:     by_value
    .group_segment_fixed_size: 0
    .kernarg_segment_align: 8
    .kernarg_segment_size: 96
    .language:       OpenCL C
    .language_version:
      - 2
      - 0
    .max_flat_workgroup_size: 256
    .name:           _ZN7rocprim17ROCPRIM_400000_NS6detail17trampoline_kernelINS0_14default_configENS1_20scan_config_selectorIiEEZZNS1_9scan_implILNS1_25lookback_scan_determinismE0ELb1ELb1ES3_N6thrust23THRUST_200600_302600_NS6detail15normal_iteratorINS9_10device_ptrIjEEEENSB_INSC_IfEEEEiNS9_4plusIvEEiEEDaPvRmT3_T4_T5_mT6_P12ihipStream_tbENKUlT_T0_E_clISt17integral_constantIbLb0EESW_EEDaSR_SS_EUlSR_E_NS1_11comp_targetILNS1_3genE9ELNS1_11target_archE1100ELNS1_3gpuE3ELNS1_3repE0EEENS1_30default_config_static_selectorELNS0_4arch9wavefront6targetE1EEEvT1_
    .private_segment_fixed_size: 0
    .sgpr_count:     4
    .sgpr_spill_count: 0
    .symbol:         _ZN7rocprim17ROCPRIM_400000_NS6detail17trampoline_kernelINS0_14default_configENS1_20scan_config_selectorIiEEZZNS1_9scan_implILNS1_25lookback_scan_determinismE0ELb1ELb1ES3_N6thrust23THRUST_200600_302600_NS6detail15normal_iteratorINS9_10device_ptrIjEEEENSB_INSC_IfEEEEiNS9_4plusIvEEiEEDaPvRmT3_T4_T5_mT6_P12ihipStream_tbENKUlT_T0_E_clISt17integral_constantIbLb0EESW_EEDaSR_SS_EUlSR_E_NS1_11comp_targetILNS1_3genE9ELNS1_11target_archE1100ELNS1_3gpuE3ELNS1_3repE0EEENS1_30default_config_static_selectorELNS0_4arch9wavefront6targetE1EEEvT1_.kd
    .uniform_work_group_size: 1
    .uses_dynamic_stack: false
    .vgpr_count:     0
    .vgpr_spill_count: 0
    .wavefront_size: 64
  - .agpr_count:     0
    .args:
      - .offset:         0
        .size:           96
        .value_kind:     by_value
    .group_segment_fixed_size: 0
    .kernarg_segment_align: 8
    .kernarg_segment_size: 96
    .language:       OpenCL C
    .language_version:
      - 2
      - 0
    .max_flat_workgroup_size: 64
    .name:           _ZN7rocprim17ROCPRIM_400000_NS6detail17trampoline_kernelINS0_14default_configENS1_20scan_config_selectorIiEEZZNS1_9scan_implILNS1_25lookback_scan_determinismE0ELb1ELb1ES3_N6thrust23THRUST_200600_302600_NS6detail15normal_iteratorINS9_10device_ptrIjEEEENSB_INSC_IfEEEEiNS9_4plusIvEEiEEDaPvRmT3_T4_T5_mT6_P12ihipStream_tbENKUlT_T0_E_clISt17integral_constantIbLb0EESW_EEDaSR_SS_EUlSR_E_NS1_11comp_targetILNS1_3genE8ELNS1_11target_archE1030ELNS1_3gpuE2ELNS1_3repE0EEENS1_30default_config_static_selectorELNS0_4arch9wavefront6targetE1EEEvT1_
    .private_segment_fixed_size: 0
    .sgpr_count:     4
    .sgpr_spill_count: 0
    .symbol:         _ZN7rocprim17ROCPRIM_400000_NS6detail17trampoline_kernelINS0_14default_configENS1_20scan_config_selectorIiEEZZNS1_9scan_implILNS1_25lookback_scan_determinismE0ELb1ELb1ES3_N6thrust23THRUST_200600_302600_NS6detail15normal_iteratorINS9_10device_ptrIjEEEENSB_INSC_IfEEEEiNS9_4plusIvEEiEEDaPvRmT3_T4_T5_mT6_P12ihipStream_tbENKUlT_T0_E_clISt17integral_constantIbLb0EESW_EEDaSR_SS_EUlSR_E_NS1_11comp_targetILNS1_3genE8ELNS1_11target_archE1030ELNS1_3gpuE2ELNS1_3repE0EEENS1_30default_config_static_selectorELNS0_4arch9wavefront6targetE1EEEvT1_.kd
    .uniform_work_group_size: 1
    .uses_dynamic_stack: false
    .vgpr_count:     0
    .vgpr_spill_count: 0
    .wavefront_size: 64
  - .agpr_count:     0
    .args:
      - .offset:         0
        .size:           32
        .value_kind:     by_value
    .group_segment_fixed_size: 0
    .kernarg_segment_align: 8
    .kernarg_segment_size: 32
    .language:       OpenCL C
    .language_version:
      - 2
      - 0
    .max_flat_workgroup_size: 256
    .name:           _ZN7rocprim17ROCPRIM_400000_NS6detail17trampoline_kernelINS0_14default_configENS1_20scan_config_selectorIiEEZZNS1_9scan_implILNS1_25lookback_scan_determinismE0ELb1ELb1ES3_N6thrust23THRUST_200600_302600_NS6detail15normal_iteratorINS9_10device_ptrIjEEEENSB_INSC_IfEEEEiNS9_4plusIvEEiEEDaPvRmT3_T4_T5_mT6_P12ihipStream_tbENKUlT_T0_E_clISt17integral_constantIbLb0EESW_EEDaSR_SS_EUlSR_E0_NS1_11comp_targetILNS1_3genE0ELNS1_11target_archE4294967295ELNS1_3gpuE0ELNS1_3repE0EEENS1_30default_config_static_selectorELNS0_4arch9wavefront6targetE1EEEvT1_
    .private_segment_fixed_size: 0
    .sgpr_count:     4
    .sgpr_spill_count: 0
    .symbol:         _ZN7rocprim17ROCPRIM_400000_NS6detail17trampoline_kernelINS0_14default_configENS1_20scan_config_selectorIiEEZZNS1_9scan_implILNS1_25lookback_scan_determinismE0ELb1ELb1ES3_N6thrust23THRUST_200600_302600_NS6detail15normal_iteratorINS9_10device_ptrIjEEEENSB_INSC_IfEEEEiNS9_4plusIvEEiEEDaPvRmT3_T4_T5_mT6_P12ihipStream_tbENKUlT_T0_E_clISt17integral_constantIbLb0EESW_EEDaSR_SS_EUlSR_E0_NS1_11comp_targetILNS1_3genE0ELNS1_11target_archE4294967295ELNS1_3gpuE0ELNS1_3repE0EEENS1_30default_config_static_selectorELNS0_4arch9wavefront6targetE1EEEvT1_.kd
    .uniform_work_group_size: 1
    .uses_dynamic_stack: false
    .vgpr_count:     0
    .vgpr_spill_count: 0
    .wavefront_size: 64
  - .agpr_count:     0
    .args:
      - .offset:         0
        .size:           32
        .value_kind:     by_value
    .group_segment_fixed_size: 0
    .kernarg_segment_align: 8
    .kernarg_segment_size: 32
    .language:       OpenCL C
    .language_version:
      - 2
      - 0
    .max_flat_workgroup_size: 256
    .name:           _ZN7rocprim17ROCPRIM_400000_NS6detail17trampoline_kernelINS0_14default_configENS1_20scan_config_selectorIiEEZZNS1_9scan_implILNS1_25lookback_scan_determinismE0ELb1ELb1ES3_N6thrust23THRUST_200600_302600_NS6detail15normal_iteratorINS9_10device_ptrIjEEEENSB_INSC_IfEEEEiNS9_4plusIvEEiEEDaPvRmT3_T4_T5_mT6_P12ihipStream_tbENKUlT_T0_E_clISt17integral_constantIbLb0EESW_EEDaSR_SS_EUlSR_E0_NS1_11comp_targetILNS1_3genE5ELNS1_11target_archE942ELNS1_3gpuE9ELNS1_3repE0EEENS1_30default_config_static_selectorELNS0_4arch9wavefront6targetE1EEEvT1_
    .private_segment_fixed_size: 0
    .sgpr_count:     4
    .sgpr_spill_count: 0
    .symbol:         _ZN7rocprim17ROCPRIM_400000_NS6detail17trampoline_kernelINS0_14default_configENS1_20scan_config_selectorIiEEZZNS1_9scan_implILNS1_25lookback_scan_determinismE0ELb1ELb1ES3_N6thrust23THRUST_200600_302600_NS6detail15normal_iteratorINS9_10device_ptrIjEEEENSB_INSC_IfEEEEiNS9_4plusIvEEiEEDaPvRmT3_T4_T5_mT6_P12ihipStream_tbENKUlT_T0_E_clISt17integral_constantIbLb0EESW_EEDaSR_SS_EUlSR_E0_NS1_11comp_targetILNS1_3genE5ELNS1_11target_archE942ELNS1_3gpuE9ELNS1_3repE0EEENS1_30default_config_static_selectorELNS0_4arch9wavefront6targetE1EEEvT1_.kd
    .uniform_work_group_size: 1
    .uses_dynamic_stack: false
    .vgpr_count:     0
    .vgpr_spill_count: 0
    .wavefront_size: 64
  - .agpr_count:     0
    .args:
      - .offset:         0
        .size:           32
        .value_kind:     by_value
    .group_segment_fixed_size: 5120
    .kernarg_segment_align: 8
    .kernarg_segment_size: 32
    .language:       OpenCL C
    .language_version:
      - 2
      - 0
    .max_flat_workgroup_size: 128
    .name:           _ZN7rocprim17ROCPRIM_400000_NS6detail17trampoline_kernelINS0_14default_configENS1_20scan_config_selectorIiEEZZNS1_9scan_implILNS1_25lookback_scan_determinismE0ELb1ELb1ES3_N6thrust23THRUST_200600_302600_NS6detail15normal_iteratorINS9_10device_ptrIjEEEENSB_INSC_IfEEEEiNS9_4plusIvEEiEEDaPvRmT3_T4_T5_mT6_P12ihipStream_tbENKUlT_T0_E_clISt17integral_constantIbLb0EESW_EEDaSR_SS_EUlSR_E0_NS1_11comp_targetILNS1_3genE4ELNS1_11target_archE910ELNS1_3gpuE8ELNS1_3repE0EEENS1_30default_config_static_selectorELNS0_4arch9wavefront6targetE1EEEvT1_
    .private_segment_fixed_size: 0
    .sgpr_count:     29
    .sgpr_spill_count: 0
    .symbol:         _ZN7rocprim17ROCPRIM_400000_NS6detail17trampoline_kernelINS0_14default_configENS1_20scan_config_selectorIiEEZZNS1_9scan_implILNS1_25lookback_scan_determinismE0ELb1ELb1ES3_N6thrust23THRUST_200600_302600_NS6detail15normal_iteratorINS9_10device_ptrIjEEEENSB_INSC_IfEEEEiNS9_4plusIvEEiEEDaPvRmT3_T4_T5_mT6_P12ihipStream_tbENKUlT_T0_E_clISt17integral_constantIbLb0EESW_EEDaSR_SS_EUlSR_E0_NS1_11comp_targetILNS1_3genE4ELNS1_11target_archE910ELNS1_3gpuE8ELNS1_3repE0EEENS1_30default_config_static_selectorELNS0_4arch9wavefront6targetE1EEEvT1_.kd
    .uniform_work_group_size: 1
    .uses_dynamic_stack: false
    .vgpr_count:     18
    .vgpr_spill_count: 0
    .wavefront_size: 64
  - .agpr_count:     0
    .args:
      - .offset:         0
        .size:           32
        .value_kind:     by_value
    .group_segment_fixed_size: 0
    .kernarg_segment_align: 8
    .kernarg_segment_size: 32
    .language:       OpenCL C
    .language_version:
      - 2
      - 0
    .max_flat_workgroup_size: 256
    .name:           _ZN7rocprim17ROCPRIM_400000_NS6detail17trampoline_kernelINS0_14default_configENS1_20scan_config_selectorIiEEZZNS1_9scan_implILNS1_25lookback_scan_determinismE0ELb1ELb1ES3_N6thrust23THRUST_200600_302600_NS6detail15normal_iteratorINS9_10device_ptrIjEEEENSB_INSC_IfEEEEiNS9_4plusIvEEiEEDaPvRmT3_T4_T5_mT6_P12ihipStream_tbENKUlT_T0_E_clISt17integral_constantIbLb0EESW_EEDaSR_SS_EUlSR_E0_NS1_11comp_targetILNS1_3genE3ELNS1_11target_archE908ELNS1_3gpuE7ELNS1_3repE0EEENS1_30default_config_static_selectorELNS0_4arch9wavefront6targetE1EEEvT1_
    .private_segment_fixed_size: 0
    .sgpr_count:     4
    .sgpr_spill_count: 0
    .symbol:         _ZN7rocprim17ROCPRIM_400000_NS6detail17trampoline_kernelINS0_14default_configENS1_20scan_config_selectorIiEEZZNS1_9scan_implILNS1_25lookback_scan_determinismE0ELb1ELb1ES3_N6thrust23THRUST_200600_302600_NS6detail15normal_iteratorINS9_10device_ptrIjEEEENSB_INSC_IfEEEEiNS9_4plusIvEEiEEDaPvRmT3_T4_T5_mT6_P12ihipStream_tbENKUlT_T0_E_clISt17integral_constantIbLb0EESW_EEDaSR_SS_EUlSR_E0_NS1_11comp_targetILNS1_3genE3ELNS1_11target_archE908ELNS1_3gpuE7ELNS1_3repE0EEENS1_30default_config_static_selectorELNS0_4arch9wavefront6targetE1EEEvT1_.kd
    .uniform_work_group_size: 1
    .uses_dynamic_stack: false
    .vgpr_count:     0
    .vgpr_spill_count: 0
    .wavefront_size: 64
  - .agpr_count:     0
    .args:
      - .offset:         0
        .size:           32
        .value_kind:     by_value
    .group_segment_fixed_size: 0
    .kernarg_segment_align: 8
    .kernarg_segment_size: 32
    .language:       OpenCL C
    .language_version:
      - 2
      - 0
    .max_flat_workgroup_size: 256
    .name:           _ZN7rocprim17ROCPRIM_400000_NS6detail17trampoline_kernelINS0_14default_configENS1_20scan_config_selectorIiEEZZNS1_9scan_implILNS1_25lookback_scan_determinismE0ELb1ELb1ES3_N6thrust23THRUST_200600_302600_NS6detail15normal_iteratorINS9_10device_ptrIjEEEENSB_INSC_IfEEEEiNS9_4plusIvEEiEEDaPvRmT3_T4_T5_mT6_P12ihipStream_tbENKUlT_T0_E_clISt17integral_constantIbLb0EESW_EEDaSR_SS_EUlSR_E0_NS1_11comp_targetILNS1_3genE2ELNS1_11target_archE906ELNS1_3gpuE6ELNS1_3repE0EEENS1_30default_config_static_selectorELNS0_4arch9wavefront6targetE1EEEvT1_
    .private_segment_fixed_size: 0
    .sgpr_count:     4
    .sgpr_spill_count: 0
    .symbol:         _ZN7rocprim17ROCPRIM_400000_NS6detail17trampoline_kernelINS0_14default_configENS1_20scan_config_selectorIiEEZZNS1_9scan_implILNS1_25lookback_scan_determinismE0ELb1ELb1ES3_N6thrust23THRUST_200600_302600_NS6detail15normal_iteratorINS9_10device_ptrIjEEEENSB_INSC_IfEEEEiNS9_4plusIvEEiEEDaPvRmT3_T4_T5_mT6_P12ihipStream_tbENKUlT_T0_E_clISt17integral_constantIbLb0EESW_EEDaSR_SS_EUlSR_E0_NS1_11comp_targetILNS1_3genE2ELNS1_11target_archE906ELNS1_3gpuE6ELNS1_3repE0EEENS1_30default_config_static_selectorELNS0_4arch9wavefront6targetE1EEEvT1_.kd
    .uniform_work_group_size: 1
    .uses_dynamic_stack: false
    .vgpr_count:     0
    .vgpr_spill_count: 0
    .wavefront_size: 64
  - .agpr_count:     0
    .args:
      - .offset:         0
        .size:           32
        .value_kind:     by_value
    .group_segment_fixed_size: 0
    .kernarg_segment_align: 8
    .kernarg_segment_size: 32
    .language:       OpenCL C
    .language_version:
      - 2
      - 0
    .max_flat_workgroup_size: 256
    .name:           _ZN7rocprim17ROCPRIM_400000_NS6detail17trampoline_kernelINS0_14default_configENS1_20scan_config_selectorIiEEZZNS1_9scan_implILNS1_25lookback_scan_determinismE0ELb1ELb1ES3_N6thrust23THRUST_200600_302600_NS6detail15normal_iteratorINS9_10device_ptrIjEEEENSB_INSC_IfEEEEiNS9_4plusIvEEiEEDaPvRmT3_T4_T5_mT6_P12ihipStream_tbENKUlT_T0_E_clISt17integral_constantIbLb0EESW_EEDaSR_SS_EUlSR_E0_NS1_11comp_targetILNS1_3genE10ELNS1_11target_archE1201ELNS1_3gpuE5ELNS1_3repE0EEENS1_30default_config_static_selectorELNS0_4arch9wavefront6targetE1EEEvT1_
    .private_segment_fixed_size: 0
    .sgpr_count:     4
    .sgpr_spill_count: 0
    .symbol:         _ZN7rocprim17ROCPRIM_400000_NS6detail17trampoline_kernelINS0_14default_configENS1_20scan_config_selectorIiEEZZNS1_9scan_implILNS1_25lookback_scan_determinismE0ELb1ELb1ES3_N6thrust23THRUST_200600_302600_NS6detail15normal_iteratorINS9_10device_ptrIjEEEENSB_INSC_IfEEEEiNS9_4plusIvEEiEEDaPvRmT3_T4_T5_mT6_P12ihipStream_tbENKUlT_T0_E_clISt17integral_constantIbLb0EESW_EEDaSR_SS_EUlSR_E0_NS1_11comp_targetILNS1_3genE10ELNS1_11target_archE1201ELNS1_3gpuE5ELNS1_3repE0EEENS1_30default_config_static_selectorELNS0_4arch9wavefront6targetE1EEEvT1_.kd
    .uniform_work_group_size: 1
    .uses_dynamic_stack: false
    .vgpr_count:     0
    .vgpr_spill_count: 0
    .wavefront_size: 64
  - .agpr_count:     0
    .args:
      - .offset:         0
        .size:           32
        .value_kind:     by_value
    .group_segment_fixed_size: 0
    .kernarg_segment_align: 8
    .kernarg_segment_size: 32
    .language:       OpenCL C
    .language_version:
      - 2
      - 0
    .max_flat_workgroup_size: 256
    .name:           _ZN7rocprim17ROCPRIM_400000_NS6detail17trampoline_kernelINS0_14default_configENS1_20scan_config_selectorIiEEZZNS1_9scan_implILNS1_25lookback_scan_determinismE0ELb1ELb1ES3_N6thrust23THRUST_200600_302600_NS6detail15normal_iteratorINS9_10device_ptrIjEEEENSB_INSC_IfEEEEiNS9_4plusIvEEiEEDaPvRmT3_T4_T5_mT6_P12ihipStream_tbENKUlT_T0_E_clISt17integral_constantIbLb0EESW_EEDaSR_SS_EUlSR_E0_NS1_11comp_targetILNS1_3genE10ELNS1_11target_archE1200ELNS1_3gpuE4ELNS1_3repE0EEENS1_30default_config_static_selectorELNS0_4arch9wavefront6targetE1EEEvT1_
    .private_segment_fixed_size: 0
    .sgpr_count:     4
    .sgpr_spill_count: 0
    .symbol:         _ZN7rocprim17ROCPRIM_400000_NS6detail17trampoline_kernelINS0_14default_configENS1_20scan_config_selectorIiEEZZNS1_9scan_implILNS1_25lookback_scan_determinismE0ELb1ELb1ES3_N6thrust23THRUST_200600_302600_NS6detail15normal_iteratorINS9_10device_ptrIjEEEENSB_INSC_IfEEEEiNS9_4plusIvEEiEEDaPvRmT3_T4_T5_mT6_P12ihipStream_tbENKUlT_T0_E_clISt17integral_constantIbLb0EESW_EEDaSR_SS_EUlSR_E0_NS1_11comp_targetILNS1_3genE10ELNS1_11target_archE1200ELNS1_3gpuE4ELNS1_3repE0EEENS1_30default_config_static_selectorELNS0_4arch9wavefront6targetE1EEEvT1_.kd
    .uniform_work_group_size: 1
    .uses_dynamic_stack: false
    .vgpr_count:     0
    .vgpr_spill_count: 0
    .wavefront_size: 64
  - .agpr_count:     0
    .args:
      - .offset:         0
        .size:           32
        .value_kind:     by_value
    .group_segment_fixed_size: 0
    .kernarg_segment_align: 8
    .kernarg_segment_size: 32
    .language:       OpenCL C
    .language_version:
      - 2
      - 0
    .max_flat_workgroup_size: 256
    .name:           _ZN7rocprim17ROCPRIM_400000_NS6detail17trampoline_kernelINS0_14default_configENS1_20scan_config_selectorIiEEZZNS1_9scan_implILNS1_25lookback_scan_determinismE0ELb1ELb1ES3_N6thrust23THRUST_200600_302600_NS6detail15normal_iteratorINS9_10device_ptrIjEEEENSB_INSC_IfEEEEiNS9_4plusIvEEiEEDaPvRmT3_T4_T5_mT6_P12ihipStream_tbENKUlT_T0_E_clISt17integral_constantIbLb0EESW_EEDaSR_SS_EUlSR_E0_NS1_11comp_targetILNS1_3genE9ELNS1_11target_archE1100ELNS1_3gpuE3ELNS1_3repE0EEENS1_30default_config_static_selectorELNS0_4arch9wavefront6targetE1EEEvT1_
    .private_segment_fixed_size: 0
    .sgpr_count:     4
    .sgpr_spill_count: 0
    .symbol:         _ZN7rocprim17ROCPRIM_400000_NS6detail17trampoline_kernelINS0_14default_configENS1_20scan_config_selectorIiEEZZNS1_9scan_implILNS1_25lookback_scan_determinismE0ELb1ELb1ES3_N6thrust23THRUST_200600_302600_NS6detail15normal_iteratorINS9_10device_ptrIjEEEENSB_INSC_IfEEEEiNS9_4plusIvEEiEEDaPvRmT3_T4_T5_mT6_P12ihipStream_tbENKUlT_T0_E_clISt17integral_constantIbLb0EESW_EEDaSR_SS_EUlSR_E0_NS1_11comp_targetILNS1_3genE9ELNS1_11target_archE1100ELNS1_3gpuE3ELNS1_3repE0EEENS1_30default_config_static_selectorELNS0_4arch9wavefront6targetE1EEEvT1_.kd
    .uniform_work_group_size: 1
    .uses_dynamic_stack: false
    .vgpr_count:     0
    .vgpr_spill_count: 0
    .wavefront_size: 64
  - .agpr_count:     0
    .args:
      - .offset:         0
        .size:           32
        .value_kind:     by_value
    .group_segment_fixed_size: 0
    .kernarg_segment_align: 8
    .kernarg_segment_size: 32
    .language:       OpenCL C
    .language_version:
      - 2
      - 0
    .max_flat_workgroup_size: 64
    .name:           _ZN7rocprim17ROCPRIM_400000_NS6detail17trampoline_kernelINS0_14default_configENS1_20scan_config_selectorIiEEZZNS1_9scan_implILNS1_25lookback_scan_determinismE0ELb1ELb1ES3_N6thrust23THRUST_200600_302600_NS6detail15normal_iteratorINS9_10device_ptrIjEEEENSB_INSC_IfEEEEiNS9_4plusIvEEiEEDaPvRmT3_T4_T5_mT6_P12ihipStream_tbENKUlT_T0_E_clISt17integral_constantIbLb0EESW_EEDaSR_SS_EUlSR_E0_NS1_11comp_targetILNS1_3genE8ELNS1_11target_archE1030ELNS1_3gpuE2ELNS1_3repE0EEENS1_30default_config_static_selectorELNS0_4arch9wavefront6targetE1EEEvT1_
    .private_segment_fixed_size: 0
    .sgpr_count:     4
    .sgpr_spill_count: 0
    .symbol:         _ZN7rocprim17ROCPRIM_400000_NS6detail17trampoline_kernelINS0_14default_configENS1_20scan_config_selectorIiEEZZNS1_9scan_implILNS1_25lookback_scan_determinismE0ELb1ELb1ES3_N6thrust23THRUST_200600_302600_NS6detail15normal_iteratorINS9_10device_ptrIjEEEENSB_INSC_IfEEEEiNS9_4plusIvEEiEEDaPvRmT3_T4_T5_mT6_P12ihipStream_tbENKUlT_T0_E_clISt17integral_constantIbLb0EESW_EEDaSR_SS_EUlSR_E0_NS1_11comp_targetILNS1_3genE8ELNS1_11target_archE1030ELNS1_3gpuE2ELNS1_3repE0EEENS1_30default_config_static_selectorELNS0_4arch9wavefront6targetE1EEEvT1_.kd
    .uniform_work_group_size: 1
    .uses_dynamic_stack: false
    .vgpr_count:     0
    .vgpr_spill_count: 0
    .wavefront_size: 64
  - .agpr_count:     0
    .args:
      - .offset:         0
        .size:           96
        .value_kind:     by_value
    .group_segment_fixed_size: 0
    .kernarg_segment_align: 8
    .kernarg_segment_size: 96
    .language:       OpenCL C
    .language_version:
      - 2
      - 0
    .max_flat_workgroup_size: 256
    .name:           _ZN7rocprim17ROCPRIM_400000_NS6detail17trampoline_kernelINS0_14default_configENS1_20scan_config_selectorIiEEZZNS1_9scan_implILNS1_25lookback_scan_determinismE0ELb1ELb1ES3_N6thrust23THRUST_200600_302600_NS6detail15normal_iteratorINS9_10device_ptrIjEEEENSB_INSC_IfEEEEiNS9_4plusIvEEiEEDaPvRmT3_T4_T5_mT6_P12ihipStream_tbENKUlT_T0_E_clISt17integral_constantIbLb1EESW_EEDaSR_SS_EUlSR_E_NS1_11comp_targetILNS1_3genE0ELNS1_11target_archE4294967295ELNS1_3gpuE0ELNS1_3repE0EEENS1_30default_config_static_selectorELNS0_4arch9wavefront6targetE1EEEvT1_
    .private_segment_fixed_size: 0
    .sgpr_count:     4
    .sgpr_spill_count: 0
    .symbol:         _ZN7rocprim17ROCPRIM_400000_NS6detail17trampoline_kernelINS0_14default_configENS1_20scan_config_selectorIiEEZZNS1_9scan_implILNS1_25lookback_scan_determinismE0ELb1ELb1ES3_N6thrust23THRUST_200600_302600_NS6detail15normal_iteratorINS9_10device_ptrIjEEEENSB_INSC_IfEEEEiNS9_4plusIvEEiEEDaPvRmT3_T4_T5_mT6_P12ihipStream_tbENKUlT_T0_E_clISt17integral_constantIbLb1EESW_EEDaSR_SS_EUlSR_E_NS1_11comp_targetILNS1_3genE0ELNS1_11target_archE4294967295ELNS1_3gpuE0ELNS1_3repE0EEENS1_30default_config_static_selectorELNS0_4arch9wavefront6targetE1EEEvT1_.kd
    .uniform_work_group_size: 1
    .uses_dynamic_stack: false
    .vgpr_count:     0
    .vgpr_spill_count: 0
    .wavefront_size: 64
  - .agpr_count:     0
    .args:
      - .offset:         0
        .size:           96
        .value_kind:     by_value
    .group_segment_fixed_size: 0
    .kernarg_segment_align: 8
    .kernarg_segment_size: 96
    .language:       OpenCL C
    .language_version:
      - 2
      - 0
    .max_flat_workgroup_size: 256
    .name:           _ZN7rocprim17ROCPRIM_400000_NS6detail17trampoline_kernelINS0_14default_configENS1_20scan_config_selectorIiEEZZNS1_9scan_implILNS1_25lookback_scan_determinismE0ELb1ELb1ES3_N6thrust23THRUST_200600_302600_NS6detail15normal_iteratorINS9_10device_ptrIjEEEENSB_INSC_IfEEEEiNS9_4plusIvEEiEEDaPvRmT3_T4_T5_mT6_P12ihipStream_tbENKUlT_T0_E_clISt17integral_constantIbLb1EESW_EEDaSR_SS_EUlSR_E_NS1_11comp_targetILNS1_3genE5ELNS1_11target_archE942ELNS1_3gpuE9ELNS1_3repE0EEENS1_30default_config_static_selectorELNS0_4arch9wavefront6targetE1EEEvT1_
    .private_segment_fixed_size: 0
    .sgpr_count:     4
    .sgpr_spill_count: 0
    .symbol:         _ZN7rocprim17ROCPRIM_400000_NS6detail17trampoline_kernelINS0_14default_configENS1_20scan_config_selectorIiEEZZNS1_9scan_implILNS1_25lookback_scan_determinismE0ELb1ELb1ES3_N6thrust23THRUST_200600_302600_NS6detail15normal_iteratorINS9_10device_ptrIjEEEENSB_INSC_IfEEEEiNS9_4plusIvEEiEEDaPvRmT3_T4_T5_mT6_P12ihipStream_tbENKUlT_T0_E_clISt17integral_constantIbLb1EESW_EEDaSR_SS_EUlSR_E_NS1_11comp_targetILNS1_3genE5ELNS1_11target_archE942ELNS1_3gpuE9ELNS1_3repE0EEENS1_30default_config_static_selectorELNS0_4arch9wavefront6targetE1EEEvT1_.kd
    .uniform_work_group_size: 1
    .uses_dynamic_stack: false
    .vgpr_count:     0
    .vgpr_spill_count: 0
    .wavefront_size: 64
  - .agpr_count:     0
    .args:
      - .offset:         0
        .size:           96
        .value_kind:     by_value
    .group_segment_fixed_size: 5120
    .kernarg_segment_align: 8
    .kernarg_segment_size: 96
    .language:       OpenCL C
    .language_version:
      - 2
      - 0
    .max_flat_workgroup_size: 128
    .name:           _ZN7rocprim17ROCPRIM_400000_NS6detail17trampoline_kernelINS0_14default_configENS1_20scan_config_selectorIiEEZZNS1_9scan_implILNS1_25lookback_scan_determinismE0ELb1ELb1ES3_N6thrust23THRUST_200600_302600_NS6detail15normal_iteratorINS9_10device_ptrIjEEEENSB_INSC_IfEEEEiNS9_4plusIvEEiEEDaPvRmT3_T4_T5_mT6_P12ihipStream_tbENKUlT_T0_E_clISt17integral_constantIbLb1EESW_EEDaSR_SS_EUlSR_E_NS1_11comp_targetILNS1_3genE4ELNS1_11target_archE910ELNS1_3gpuE8ELNS1_3repE0EEENS1_30default_config_static_selectorELNS0_4arch9wavefront6targetE1EEEvT1_
    .private_segment_fixed_size: 0
    .sgpr_count:     44
    .sgpr_spill_count: 0
    .symbol:         _ZN7rocprim17ROCPRIM_400000_NS6detail17trampoline_kernelINS0_14default_configENS1_20scan_config_selectorIiEEZZNS1_9scan_implILNS1_25lookback_scan_determinismE0ELb1ELb1ES3_N6thrust23THRUST_200600_302600_NS6detail15normal_iteratorINS9_10device_ptrIjEEEENSB_INSC_IfEEEEiNS9_4plusIvEEiEEDaPvRmT3_T4_T5_mT6_P12ihipStream_tbENKUlT_T0_E_clISt17integral_constantIbLb1EESW_EEDaSR_SS_EUlSR_E_NS1_11comp_targetILNS1_3genE4ELNS1_11target_archE910ELNS1_3gpuE8ELNS1_3repE0EEENS1_30default_config_static_selectorELNS0_4arch9wavefront6targetE1EEEvT1_.kd
    .uniform_work_group_size: 1
    .uses_dynamic_stack: false
    .vgpr_count:     41
    .vgpr_spill_count: 0
    .wavefront_size: 64
  - .agpr_count:     0
    .args:
      - .offset:         0
        .size:           96
        .value_kind:     by_value
    .group_segment_fixed_size: 0
    .kernarg_segment_align: 8
    .kernarg_segment_size: 96
    .language:       OpenCL C
    .language_version:
      - 2
      - 0
    .max_flat_workgroup_size: 256
    .name:           _ZN7rocprim17ROCPRIM_400000_NS6detail17trampoline_kernelINS0_14default_configENS1_20scan_config_selectorIiEEZZNS1_9scan_implILNS1_25lookback_scan_determinismE0ELb1ELb1ES3_N6thrust23THRUST_200600_302600_NS6detail15normal_iteratorINS9_10device_ptrIjEEEENSB_INSC_IfEEEEiNS9_4plusIvEEiEEDaPvRmT3_T4_T5_mT6_P12ihipStream_tbENKUlT_T0_E_clISt17integral_constantIbLb1EESW_EEDaSR_SS_EUlSR_E_NS1_11comp_targetILNS1_3genE3ELNS1_11target_archE908ELNS1_3gpuE7ELNS1_3repE0EEENS1_30default_config_static_selectorELNS0_4arch9wavefront6targetE1EEEvT1_
    .private_segment_fixed_size: 0
    .sgpr_count:     4
    .sgpr_spill_count: 0
    .symbol:         _ZN7rocprim17ROCPRIM_400000_NS6detail17trampoline_kernelINS0_14default_configENS1_20scan_config_selectorIiEEZZNS1_9scan_implILNS1_25lookback_scan_determinismE0ELb1ELb1ES3_N6thrust23THRUST_200600_302600_NS6detail15normal_iteratorINS9_10device_ptrIjEEEENSB_INSC_IfEEEEiNS9_4plusIvEEiEEDaPvRmT3_T4_T5_mT6_P12ihipStream_tbENKUlT_T0_E_clISt17integral_constantIbLb1EESW_EEDaSR_SS_EUlSR_E_NS1_11comp_targetILNS1_3genE3ELNS1_11target_archE908ELNS1_3gpuE7ELNS1_3repE0EEENS1_30default_config_static_selectorELNS0_4arch9wavefront6targetE1EEEvT1_.kd
    .uniform_work_group_size: 1
    .uses_dynamic_stack: false
    .vgpr_count:     0
    .vgpr_spill_count: 0
    .wavefront_size: 64
  - .agpr_count:     0
    .args:
      - .offset:         0
        .size:           96
        .value_kind:     by_value
    .group_segment_fixed_size: 0
    .kernarg_segment_align: 8
    .kernarg_segment_size: 96
    .language:       OpenCL C
    .language_version:
      - 2
      - 0
    .max_flat_workgroup_size: 256
    .name:           _ZN7rocprim17ROCPRIM_400000_NS6detail17trampoline_kernelINS0_14default_configENS1_20scan_config_selectorIiEEZZNS1_9scan_implILNS1_25lookback_scan_determinismE0ELb1ELb1ES3_N6thrust23THRUST_200600_302600_NS6detail15normal_iteratorINS9_10device_ptrIjEEEENSB_INSC_IfEEEEiNS9_4plusIvEEiEEDaPvRmT3_T4_T5_mT6_P12ihipStream_tbENKUlT_T0_E_clISt17integral_constantIbLb1EESW_EEDaSR_SS_EUlSR_E_NS1_11comp_targetILNS1_3genE2ELNS1_11target_archE906ELNS1_3gpuE6ELNS1_3repE0EEENS1_30default_config_static_selectorELNS0_4arch9wavefront6targetE1EEEvT1_
    .private_segment_fixed_size: 0
    .sgpr_count:     4
    .sgpr_spill_count: 0
    .symbol:         _ZN7rocprim17ROCPRIM_400000_NS6detail17trampoline_kernelINS0_14default_configENS1_20scan_config_selectorIiEEZZNS1_9scan_implILNS1_25lookback_scan_determinismE0ELb1ELb1ES3_N6thrust23THRUST_200600_302600_NS6detail15normal_iteratorINS9_10device_ptrIjEEEENSB_INSC_IfEEEEiNS9_4plusIvEEiEEDaPvRmT3_T4_T5_mT6_P12ihipStream_tbENKUlT_T0_E_clISt17integral_constantIbLb1EESW_EEDaSR_SS_EUlSR_E_NS1_11comp_targetILNS1_3genE2ELNS1_11target_archE906ELNS1_3gpuE6ELNS1_3repE0EEENS1_30default_config_static_selectorELNS0_4arch9wavefront6targetE1EEEvT1_.kd
    .uniform_work_group_size: 1
    .uses_dynamic_stack: false
    .vgpr_count:     0
    .vgpr_spill_count: 0
    .wavefront_size: 64
  - .agpr_count:     0
    .args:
      - .offset:         0
        .size:           96
        .value_kind:     by_value
    .group_segment_fixed_size: 0
    .kernarg_segment_align: 8
    .kernarg_segment_size: 96
    .language:       OpenCL C
    .language_version:
      - 2
      - 0
    .max_flat_workgroup_size: 256
    .name:           _ZN7rocprim17ROCPRIM_400000_NS6detail17trampoline_kernelINS0_14default_configENS1_20scan_config_selectorIiEEZZNS1_9scan_implILNS1_25lookback_scan_determinismE0ELb1ELb1ES3_N6thrust23THRUST_200600_302600_NS6detail15normal_iteratorINS9_10device_ptrIjEEEENSB_INSC_IfEEEEiNS9_4plusIvEEiEEDaPvRmT3_T4_T5_mT6_P12ihipStream_tbENKUlT_T0_E_clISt17integral_constantIbLb1EESW_EEDaSR_SS_EUlSR_E_NS1_11comp_targetILNS1_3genE10ELNS1_11target_archE1201ELNS1_3gpuE5ELNS1_3repE0EEENS1_30default_config_static_selectorELNS0_4arch9wavefront6targetE1EEEvT1_
    .private_segment_fixed_size: 0
    .sgpr_count:     4
    .sgpr_spill_count: 0
    .symbol:         _ZN7rocprim17ROCPRIM_400000_NS6detail17trampoline_kernelINS0_14default_configENS1_20scan_config_selectorIiEEZZNS1_9scan_implILNS1_25lookback_scan_determinismE0ELb1ELb1ES3_N6thrust23THRUST_200600_302600_NS6detail15normal_iteratorINS9_10device_ptrIjEEEENSB_INSC_IfEEEEiNS9_4plusIvEEiEEDaPvRmT3_T4_T5_mT6_P12ihipStream_tbENKUlT_T0_E_clISt17integral_constantIbLb1EESW_EEDaSR_SS_EUlSR_E_NS1_11comp_targetILNS1_3genE10ELNS1_11target_archE1201ELNS1_3gpuE5ELNS1_3repE0EEENS1_30default_config_static_selectorELNS0_4arch9wavefront6targetE1EEEvT1_.kd
    .uniform_work_group_size: 1
    .uses_dynamic_stack: false
    .vgpr_count:     0
    .vgpr_spill_count: 0
    .wavefront_size: 64
  - .agpr_count:     0
    .args:
      - .offset:         0
        .size:           96
        .value_kind:     by_value
    .group_segment_fixed_size: 0
    .kernarg_segment_align: 8
    .kernarg_segment_size: 96
    .language:       OpenCL C
    .language_version:
      - 2
      - 0
    .max_flat_workgroup_size: 256
    .name:           _ZN7rocprim17ROCPRIM_400000_NS6detail17trampoline_kernelINS0_14default_configENS1_20scan_config_selectorIiEEZZNS1_9scan_implILNS1_25lookback_scan_determinismE0ELb1ELb1ES3_N6thrust23THRUST_200600_302600_NS6detail15normal_iteratorINS9_10device_ptrIjEEEENSB_INSC_IfEEEEiNS9_4plusIvEEiEEDaPvRmT3_T4_T5_mT6_P12ihipStream_tbENKUlT_T0_E_clISt17integral_constantIbLb1EESW_EEDaSR_SS_EUlSR_E_NS1_11comp_targetILNS1_3genE10ELNS1_11target_archE1200ELNS1_3gpuE4ELNS1_3repE0EEENS1_30default_config_static_selectorELNS0_4arch9wavefront6targetE1EEEvT1_
    .private_segment_fixed_size: 0
    .sgpr_count:     4
    .sgpr_spill_count: 0
    .symbol:         _ZN7rocprim17ROCPRIM_400000_NS6detail17trampoline_kernelINS0_14default_configENS1_20scan_config_selectorIiEEZZNS1_9scan_implILNS1_25lookback_scan_determinismE0ELb1ELb1ES3_N6thrust23THRUST_200600_302600_NS6detail15normal_iteratorINS9_10device_ptrIjEEEENSB_INSC_IfEEEEiNS9_4plusIvEEiEEDaPvRmT3_T4_T5_mT6_P12ihipStream_tbENKUlT_T0_E_clISt17integral_constantIbLb1EESW_EEDaSR_SS_EUlSR_E_NS1_11comp_targetILNS1_3genE10ELNS1_11target_archE1200ELNS1_3gpuE4ELNS1_3repE0EEENS1_30default_config_static_selectorELNS0_4arch9wavefront6targetE1EEEvT1_.kd
    .uniform_work_group_size: 1
    .uses_dynamic_stack: false
    .vgpr_count:     0
    .vgpr_spill_count: 0
    .wavefront_size: 64
  - .agpr_count:     0
    .args:
      - .offset:         0
        .size:           96
        .value_kind:     by_value
    .group_segment_fixed_size: 0
    .kernarg_segment_align: 8
    .kernarg_segment_size: 96
    .language:       OpenCL C
    .language_version:
      - 2
      - 0
    .max_flat_workgroup_size: 256
    .name:           _ZN7rocprim17ROCPRIM_400000_NS6detail17trampoline_kernelINS0_14default_configENS1_20scan_config_selectorIiEEZZNS1_9scan_implILNS1_25lookback_scan_determinismE0ELb1ELb1ES3_N6thrust23THRUST_200600_302600_NS6detail15normal_iteratorINS9_10device_ptrIjEEEENSB_INSC_IfEEEEiNS9_4plusIvEEiEEDaPvRmT3_T4_T5_mT6_P12ihipStream_tbENKUlT_T0_E_clISt17integral_constantIbLb1EESW_EEDaSR_SS_EUlSR_E_NS1_11comp_targetILNS1_3genE9ELNS1_11target_archE1100ELNS1_3gpuE3ELNS1_3repE0EEENS1_30default_config_static_selectorELNS0_4arch9wavefront6targetE1EEEvT1_
    .private_segment_fixed_size: 0
    .sgpr_count:     4
    .sgpr_spill_count: 0
    .symbol:         _ZN7rocprim17ROCPRIM_400000_NS6detail17trampoline_kernelINS0_14default_configENS1_20scan_config_selectorIiEEZZNS1_9scan_implILNS1_25lookback_scan_determinismE0ELb1ELb1ES3_N6thrust23THRUST_200600_302600_NS6detail15normal_iteratorINS9_10device_ptrIjEEEENSB_INSC_IfEEEEiNS9_4plusIvEEiEEDaPvRmT3_T4_T5_mT6_P12ihipStream_tbENKUlT_T0_E_clISt17integral_constantIbLb1EESW_EEDaSR_SS_EUlSR_E_NS1_11comp_targetILNS1_3genE9ELNS1_11target_archE1100ELNS1_3gpuE3ELNS1_3repE0EEENS1_30default_config_static_selectorELNS0_4arch9wavefront6targetE1EEEvT1_.kd
    .uniform_work_group_size: 1
    .uses_dynamic_stack: false
    .vgpr_count:     0
    .vgpr_spill_count: 0
    .wavefront_size: 64
  - .agpr_count:     0
    .args:
      - .offset:         0
        .size:           96
        .value_kind:     by_value
    .group_segment_fixed_size: 0
    .kernarg_segment_align: 8
    .kernarg_segment_size: 96
    .language:       OpenCL C
    .language_version:
      - 2
      - 0
    .max_flat_workgroup_size: 64
    .name:           _ZN7rocprim17ROCPRIM_400000_NS6detail17trampoline_kernelINS0_14default_configENS1_20scan_config_selectorIiEEZZNS1_9scan_implILNS1_25lookback_scan_determinismE0ELb1ELb1ES3_N6thrust23THRUST_200600_302600_NS6detail15normal_iteratorINS9_10device_ptrIjEEEENSB_INSC_IfEEEEiNS9_4plusIvEEiEEDaPvRmT3_T4_T5_mT6_P12ihipStream_tbENKUlT_T0_E_clISt17integral_constantIbLb1EESW_EEDaSR_SS_EUlSR_E_NS1_11comp_targetILNS1_3genE8ELNS1_11target_archE1030ELNS1_3gpuE2ELNS1_3repE0EEENS1_30default_config_static_selectorELNS0_4arch9wavefront6targetE1EEEvT1_
    .private_segment_fixed_size: 0
    .sgpr_count:     4
    .sgpr_spill_count: 0
    .symbol:         _ZN7rocprim17ROCPRIM_400000_NS6detail17trampoline_kernelINS0_14default_configENS1_20scan_config_selectorIiEEZZNS1_9scan_implILNS1_25lookback_scan_determinismE0ELb1ELb1ES3_N6thrust23THRUST_200600_302600_NS6detail15normal_iteratorINS9_10device_ptrIjEEEENSB_INSC_IfEEEEiNS9_4plusIvEEiEEDaPvRmT3_T4_T5_mT6_P12ihipStream_tbENKUlT_T0_E_clISt17integral_constantIbLb1EESW_EEDaSR_SS_EUlSR_E_NS1_11comp_targetILNS1_3genE8ELNS1_11target_archE1030ELNS1_3gpuE2ELNS1_3repE0EEENS1_30default_config_static_selectorELNS0_4arch9wavefront6targetE1EEEvT1_.kd
    .uniform_work_group_size: 1
    .uses_dynamic_stack: false
    .vgpr_count:     0
    .vgpr_spill_count: 0
    .wavefront_size: 64
  - .agpr_count:     0
    .args:
      - .offset:         0
        .size:           32
        .value_kind:     by_value
    .group_segment_fixed_size: 0
    .kernarg_segment_align: 8
    .kernarg_segment_size: 32
    .language:       OpenCL C
    .language_version:
      - 2
      - 0
    .max_flat_workgroup_size: 256
    .name:           _ZN7rocprim17ROCPRIM_400000_NS6detail17trampoline_kernelINS0_14default_configENS1_20scan_config_selectorIiEEZZNS1_9scan_implILNS1_25lookback_scan_determinismE0ELb1ELb1ES3_N6thrust23THRUST_200600_302600_NS6detail15normal_iteratorINS9_10device_ptrIjEEEENSB_INSC_IfEEEEiNS9_4plusIvEEiEEDaPvRmT3_T4_T5_mT6_P12ihipStream_tbENKUlT_T0_E_clISt17integral_constantIbLb1EESW_EEDaSR_SS_EUlSR_E0_NS1_11comp_targetILNS1_3genE0ELNS1_11target_archE4294967295ELNS1_3gpuE0ELNS1_3repE0EEENS1_30default_config_static_selectorELNS0_4arch9wavefront6targetE1EEEvT1_
    .private_segment_fixed_size: 0
    .sgpr_count:     4
    .sgpr_spill_count: 0
    .symbol:         _ZN7rocprim17ROCPRIM_400000_NS6detail17trampoline_kernelINS0_14default_configENS1_20scan_config_selectorIiEEZZNS1_9scan_implILNS1_25lookback_scan_determinismE0ELb1ELb1ES3_N6thrust23THRUST_200600_302600_NS6detail15normal_iteratorINS9_10device_ptrIjEEEENSB_INSC_IfEEEEiNS9_4plusIvEEiEEDaPvRmT3_T4_T5_mT6_P12ihipStream_tbENKUlT_T0_E_clISt17integral_constantIbLb1EESW_EEDaSR_SS_EUlSR_E0_NS1_11comp_targetILNS1_3genE0ELNS1_11target_archE4294967295ELNS1_3gpuE0ELNS1_3repE0EEENS1_30default_config_static_selectorELNS0_4arch9wavefront6targetE1EEEvT1_.kd
    .uniform_work_group_size: 1
    .uses_dynamic_stack: false
    .vgpr_count:     0
    .vgpr_spill_count: 0
    .wavefront_size: 64
  - .agpr_count:     0
    .args:
      - .offset:         0
        .size:           32
        .value_kind:     by_value
    .group_segment_fixed_size: 0
    .kernarg_segment_align: 8
    .kernarg_segment_size: 32
    .language:       OpenCL C
    .language_version:
      - 2
      - 0
    .max_flat_workgroup_size: 256
    .name:           _ZN7rocprim17ROCPRIM_400000_NS6detail17trampoline_kernelINS0_14default_configENS1_20scan_config_selectorIiEEZZNS1_9scan_implILNS1_25lookback_scan_determinismE0ELb1ELb1ES3_N6thrust23THRUST_200600_302600_NS6detail15normal_iteratorINS9_10device_ptrIjEEEENSB_INSC_IfEEEEiNS9_4plusIvEEiEEDaPvRmT3_T4_T5_mT6_P12ihipStream_tbENKUlT_T0_E_clISt17integral_constantIbLb1EESW_EEDaSR_SS_EUlSR_E0_NS1_11comp_targetILNS1_3genE5ELNS1_11target_archE942ELNS1_3gpuE9ELNS1_3repE0EEENS1_30default_config_static_selectorELNS0_4arch9wavefront6targetE1EEEvT1_
    .private_segment_fixed_size: 0
    .sgpr_count:     4
    .sgpr_spill_count: 0
    .symbol:         _ZN7rocprim17ROCPRIM_400000_NS6detail17trampoline_kernelINS0_14default_configENS1_20scan_config_selectorIiEEZZNS1_9scan_implILNS1_25lookback_scan_determinismE0ELb1ELb1ES3_N6thrust23THRUST_200600_302600_NS6detail15normal_iteratorINS9_10device_ptrIjEEEENSB_INSC_IfEEEEiNS9_4plusIvEEiEEDaPvRmT3_T4_T5_mT6_P12ihipStream_tbENKUlT_T0_E_clISt17integral_constantIbLb1EESW_EEDaSR_SS_EUlSR_E0_NS1_11comp_targetILNS1_3genE5ELNS1_11target_archE942ELNS1_3gpuE9ELNS1_3repE0EEENS1_30default_config_static_selectorELNS0_4arch9wavefront6targetE1EEEvT1_.kd
    .uniform_work_group_size: 1
    .uses_dynamic_stack: false
    .vgpr_count:     0
    .vgpr_spill_count: 0
    .wavefront_size: 64
  - .agpr_count:     0
    .args:
      - .offset:         0
        .size:           32
        .value_kind:     by_value
    .group_segment_fixed_size: 5120
    .kernarg_segment_align: 8
    .kernarg_segment_size: 32
    .language:       OpenCL C
    .language_version:
      - 2
      - 0
    .max_flat_workgroup_size: 128
    .name:           _ZN7rocprim17ROCPRIM_400000_NS6detail17trampoline_kernelINS0_14default_configENS1_20scan_config_selectorIiEEZZNS1_9scan_implILNS1_25lookback_scan_determinismE0ELb1ELb1ES3_N6thrust23THRUST_200600_302600_NS6detail15normal_iteratorINS9_10device_ptrIjEEEENSB_INSC_IfEEEEiNS9_4plusIvEEiEEDaPvRmT3_T4_T5_mT6_P12ihipStream_tbENKUlT_T0_E_clISt17integral_constantIbLb1EESW_EEDaSR_SS_EUlSR_E0_NS1_11comp_targetILNS1_3genE4ELNS1_11target_archE910ELNS1_3gpuE8ELNS1_3repE0EEENS1_30default_config_static_selectorELNS0_4arch9wavefront6targetE1EEEvT1_
    .private_segment_fixed_size: 0
    .sgpr_count:     29
    .sgpr_spill_count: 0
    .symbol:         _ZN7rocprim17ROCPRIM_400000_NS6detail17trampoline_kernelINS0_14default_configENS1_20scan_config_selectorIiEEZZNS1_9scan_implILNS1_25lookback_scan_determinismE0ELb1ELb1ES3_N6thrust23THRUST_200600_302600_NS6detail15normal_iteratorINS9_10device_ptrIjEEEENSB_INSC_IfEEEEiNS9_4plusIvEEiEEDaPvRmT3_T4_T5_mT6_P12ihipStream_tbENKUlT_T0_E_clISt17integral_constantIbLb1EESW_EEDaSR_SS_EUlSR_E0_NS1_11comp_targetILNS1_3genE4ELNS1_11target_archE910ELNS1_3gpuE8ELNS1_3repE0EEENS1_30default_config_static_selectorELNS0_4arch9wavefront6targetE1EEEvT1_.kd
    .uniform_work_group_size: 1
    .uses_dynamic_stack: false
    .vgpr_count:     18
    .vgpr_spill_count: 0
    .wavefront_size: 64
  - .agpr_count:     0
    .args:
      - .offset:         0
        .size:           32
        .value_kind:     by_value
    .group_segment_fixed_size: 0
    .kernarg_segment_align: 8
    .kernarg_segment_size: 32
    .language:       OpenCL C
    .language_version:
      - 2
      - 0
    .max_flat_workgroup_size: 256
    .name:           _ZN7rocprim17ROCPRIM_400000_NS6detail17trampoline_kernelINS0_14default_configENS1_20scan_config_selectorIiEEZZNS1_9scan_implILNS1_25lookback_scan_determinismE0ELb1ELb1ES3_N6thrust23THRUST_200600_302600_NS6detail15normal_iteratorINS9_10device_ptrIjEEEENSB_INSC_IfEEEEiNS9_4plusIvEEiEEDaPvRmT3_T4_T5_mT6_P12ihipStream_tbENKUlT_T0_E_clISt17integral_constantIbLb1EESW_EEDaSR_SS_EUlSR_E0_NS1_11comp_targetILNS1_3genE3ELNS1_11target_archE908ELNS1_3gpuE7ELNS1_3repE0EEENS1_30default_config_static_selectorELNS0_4arch9wavefront6targetE1EEEvT1_
    .private_segment_fixed_size: 0
    .sgpr_count:     4
    .sgpr_spill_count: 0
    .symbol:         _ZN7rocprim17ROCPRIM_400000_NS6detail17trampoline_kernelINS0_14default_configENS1_20scan_config_selectorIiEEZZNS1_9scan_implILNS1_25lookback_scan_determinismE0ELb1ELb1ES3_N6thrust23THRUST_200600_302600_NS6detail15normal_iteratorINS9_10device_ptrIjEEEENSB_INSC_IfEEEEiNS9_4plusIvEEiEEDaPvRmT3_T4_T5_mT6_P12ihipStream_tbENKUlT_T0_E_clISt17integral_constantIbLb1EESW_EEDaSR_SS_EUlSR_E0_NS1_11comp_targetILNS1_3genE3ELNS1_11target_archE908ELNS1_3gpuE7ELNS1_3repE0EEENS1_30default_config_static_selectorELNS0_4arch9wavefront6targetE1EEEvT1_.kd
    .uniform_work_group_size: 1
    .uses_dynamic_stack: false
    .vgpr_count:     0
    .vgpr_spill_count: 0
    .wavefront_size: 64
  - .agpr_count:     0
    .args:
      - .offset:         0
        .size:           32
        .value_kind:     by_value
    .group_segment_fixed_size: 0
    .kernarg_segment_align: 8
    .kernarg_segment_size: 32
    .language:       OpenCL C
    .language_version:
      - 2
      - 0
    .max_flat_workgroup_size: 256
    .name:           _ZN7rocprim17ROCPRIM_400000_NS6detail17trampoline_kernelINS0_14default_configENS1_20scan_config_selectorIiEEZZNS1_9scan_implILNS1_25lookback_scan_determinismE0ELb1ELb1ES3_N6thrust23THRUST_200600_302600_NS6detail15normal_iteratorINS9_10device_ptrIjEEEENSB_INSC_IfEEEEiNS9_4plusIvEEiEEDaPvRmT3_T4_T5_mT6_P12ihipStream_tbENKUlT_T0_E_clISt17integral_constantIbLb1EESW_EEDaSR_SS_EUlSR_E0_NS1_11comp_targetILNS1_3genE2ELNS1_11target_archE906ELNS1_3gpuE6ELNS1_3repE0EEENS1_30default_config_static_selectorELNS0_4arch9wavefront6targetE1EEEvT1_
    .private_segment_fixed_size: 0
    .sgpr_count:     4
    .sgpr_spill_count: 0
    .symbol:         _ZN7rocprim17ROCPRIM_400000_NS6detail17trampoline_kernelINS0_14default_configENS1_20scan_config_selectorIiEEZZNS1_9scan_implILNS1_25lookback_scan_determinismE0ELb1ELb1ES3_N6thrust23THRUST_200600_302600_NS6detail15normal_iteratorINS9_10device_ptrIjEEEENSB_INSC_IfEEEEiNS9_4plusIvEEiEEDaPvRmT3_T4_T5_mT6_P12ihipStream_tbENKUlT_T0_E_clISt17integral_constantIbLb1EESW_EEDaSR_SS_EUlSR_E0_NS1_11comp_targetILNS1_3genE2ELNS1_11target_archE906ELNS1_3gpuE6ELNS1_3repE0EEENS1_30default_config_static_selectorELNS0_4arch9wavefront6targetE1EEEvT1_.kd
    .uniform_work_group_size: 1
    .uses_dynamic_stack: false
    .vgpr_count:     0
    .vgpr_spill_count: 0
    .wavefront_size: 64
  - .agpr_count:     0
    .args:
      - .offset:         0
        .size:           32
        .value_kind:     by_value
    .group_segment_fixed_size: 0
    .kernarg_segment_align: 8
    .kernarg_segment_size: 32
    .language:       OpenCL C
    .language_version:
      - 2
      - 0
    .max_flat_workgroup_size: 256
    .name:           _ZN7rocprim17ROCPRIM_400000_NS6detail17trampoline_kernelINS0_14default_configENS1_20scan_config_selectorIiEEZZNS1_9scan_implILNS1_25lookback_scan_determinismE0ELb1ELb1ES3_N6thrust23THRUST_200600_302600_NS6detail15normal_iteratorINS9_10device_ptrIjEEEENSB_INSC_IfEEEEiNS9_4plusIvEEiEEDaPvRmT3_T4_T5_mT6_P12ihipStream_tbENKUlT_T0_E_clISt17integral_constantIbLb1EESW_EEDaSR_SS_EUlSR_E0_NS1_11comp_targetILNS1_3genE10ELNS1_11target_archE1201ELNS1_3gpuE5ELNS1_3repE0EEENS1_30default_config_static_selectorELNS0_4arch9wavefront6targetE1EEEvT1_
    .private_segment_fixed_size: 0
    .sgpr_count:     4
    .sgpr_spill_count: 0
    .symbol:         _ZN7rocprim17ROCPRIM_400000_NS6detail17trampoline_kernelINS0_14default_configENS1_20scan_config_selectorIiEEZZNS1_9scan_implILNS1_25lookback_scan_determinismE0ELb1ELb1ES3_N6thrust23THRUST_200600_302600_NS6detail15normal_iteratorINS9_10device_ptrIjEEEENSB_INSC_IfEEEEiNS9_4plusIvEEiEEDaPvRmT3_T4_T5_mT6_P12ihipStream_tbENKUlT_T0_E_clISt17integral_constantIbLb1EESW_EEDaSR_SS_EUlSR_E0_NS1_11comp_targetILNS1_3genE10ELNS1_11target_archE1201ELNS1_3gpuE5ELNS1_3repE0EEENS1_30default_config_static_selectorELNS0_4arch9wavefront6targetE1EEEvT1_.kd
    .uniform_work_group_size: 1
    .uses_dynamic_stack: false
    .vgpr_count:     0
    .vgpr_spill_count: 0
    .wavefront_size: 64
  - .agpr_count:     0
    .args:
      - .offset:         0
        .size:           32
        .value_kind:     by_value
    .group_segment_fixed_size: 0
    .kernarg_segment_align: 8
    .kernarg_segment_size: 32
    .language:       OpenCL C
    .language_version:
      - 2
      - 0
    .max_flat_workgroup_size: 256
    .name:           _ZN7rocprim17ROCPRIM_400000_NS6detail17trampoline_kernelINS0_14default_configENS1_20scan_config_selectorIiEEZZNS1_9scan_implILNS1_25lookback_scan_determinismE0ELb1ELb1ES3_N6thrust23THRUST_200600_302600_NS6detail15normal_iteratorINS9_10device_ptrIjEEEENSB_INSC_IfEEEEiNS9_4plusIvEEiEEDaPvRmT3_T4_T5_mT6_P12ihipStream_tbENKUlT_T0_E_clISt17integral_constantIbLb1EESW_EEDaSR_SS_EUlSR_E0_NS1_11comp_targetILNS1_3genE10ELNS1_11target_archE1200ELNS1_3gpuE4ELNS1_3repE0EEENS1_30default_config_static_selectorELNS0_4arch9wavefront6targetE1EEEvT1_
    .private_segment_fixed_size: 0
    .sgpr_count:     4
    .sgpr_spill_count: 0
    .symbol:         _ZN7rocprim17ROCPRIM_400000_NS6detail17trampoline_kernelINS0_14default_configENS1_20scan_config_selectorIiEEZZNS1_9scan_implILNS1_25lookback_scan_determinismE0ELb1ELb1ES3_N6thrust23THRUST_200600_302600_NS6detail15normal_iteratorINS9_10device_ptrIjEEEENSB_INSC_IfEEEEiNS9_4plusIvEEiEEDaPvRmT3_T4_T5_mT6_P12ihipStream_tbENKUlT_T0_E_clISt17integral_constantIbLb1EESW_EEDaSR_SS_EUlSR_E0_NS1_11comp_targetILNS1_3genE10ELNS1_11target_archE1200ELNS1_3gpuE4ELNS1_3repE0EEENS1_30default_config_static_selectorELNS0_4arch9wavefront6targetE1EEEvT1_.kd
    .uniform_work_group_size: 1
    .uses_dynamic_stack: false
    .vgpr_count:     0
    .vgpr_spill_count: 0
    .wavefront_size: 64
  - .agpr_count:     0
    .args:
      - .offset:         0
        .size:           32
        .value_kind:     by_value
    .group_segment_fixed_size: 0
    .kernarg_segment_align: 8
    .kernarg_segment_size: 32
    .language:       OpenCL C
    .language_version:
      - 2
      - 0
    .max_flat_workgroup_size: 256
    .name:           _ZN7rocprim17ROCPRIM_400000_NS6detail17trampoline_kernelINS0_14default_configENS1_20scan_config_selectorIiEEZZNS1_9scan_implILNS1_25lookback_scan_determinismE0ELb1ELb1ES3_N6thrust23THRUST_200600_302600_NS6detail15normal_iteratorINS9_10device_ptrIjEEEENSB_INSC_IfEEEEiNS9_4plusIvEEiEEDaPvRmT3_T4_T5_mT6_P12ihipStream_tbENKUlT_T0_E_clISt17integral_constantIbLb1EESW_EEDaSR_SS_EUlSR_E0_NS1_11comp_targetILNS1_3genE9ELNS1_11target_archE1100ELNS1_3gpuE3ELNS1_3repE0EEENS1_30default_config_static_selectorELNS0_4arch9wavefront6targetE1EEEvT1_
    .private_segment_fixed_size: 0
    .sgpr_count:     4
    .sgpr_spill_count: 0
    .symbol:         _ZN7rocprim17ROCPRIM_400000_NS6detail17trampoline_kernelINS0_14default_configENS1_20scan_config_selectorIiEEZZNS1_9scan_implILNS1_25lookback_scan_determinismE0ELb1ELb1ES3_N6thrust23THRUST_200600_302600_NS6detail15normal_iteratorINS9_10device_ptrIjEEEENSB_INSC_IfEEEEiNS9_4plusIvEEiEEDaPvRmT3_T4_T5_mT6_P12ihipStream_tbENKUlT_T0_E_clISt17integral_constantIbLb1EESW_EEDaSR_SS_EUlSR_E0_NS1_11comp_targetILNS1_3genE9ELNS1_11target_archE1100ELNS1_3gpuE3ELNS1_3repE0EEENS1_30default_config_static_selectorELNS0_4arch9wavefront6targetE1EEEvT1_.kd
    .uniform_work_group_size: 1
    .uses_dynamic_stack: false
    .vgpr_count:     0
    .vgpr_spill_count: 0
    .wavefront_size: 64
  - .agpr_count:     0
    .args:
      - .offset:         0
        .size:           32
        .value_kind:     by_value
    .group_segment_fixed_size: 0
    .kernarg_segment_align: 8
    .kernarg_segment_size: 32
    .language:       OpenCL C
    .language_version:
      - 2
      - 0
    .max_flat_workgroup_size: 64
    .name:           _ZN7rocprim17ROCPRIM_400000_NS6detail17trampoline_kernelINS0_14default_configENS1_20scan_config_selectorIiEEZZNS1_9scan_implILNS1_25lookback_scan_determinismE0ELb1ELb1ES3_N6thrust23THRUST_200600_302600_NS6detail15normal_iteratorINS9_10device_ptrIjEEEENSB_INSC_IfEEEEiNS9_4plusIvEEiEEDaPvRmT3_T4_T5_mT6_P12ihipStream_tbENKUlT_T0_E_clISt17integral_constantIbLb1EESW_EEDaSR_SS_EUlSR_E0_NS1_11comp_targetILNS1_3genE8ELNS1_11target_archE1030ELNS1_3gpuE2ELNS1_3repE0EEENS1_30default_config_static_selectorELNS0_4arch9wavefront6targetE1EEEvT1_
    .private_segment_fixed_size: 0
    .sgpr_count:     4
    .sgpr_spill_count: 0
    .symbol:         _ZN7rocprim17ROCPRIM_400000_NS6detail17trampoline_kernelINS0_14default_configENS1_20scan_config_selectorIiEEZZNS1_9scan_implILNS1_25lookback_scan_determinismE0ELb1ELb1ES3_N6thrust23THRUST_200600_302600_NS6detail15normal_iteratorINS9_10device_ptrIjEEEENSB_INSC_IfEEEEiNS9_4plusIvEEiEEDaPvRmT3_T4_T5_mT6_P12ihipStream_tbENKUlT_T0_E_clISt17integral_constantIbLb1EESW_EEDaSR_SS_EUlSR_E0_NS1_11comp_targetILNS1_3genE8ELNS1_11target_archE1030ELNS1_3gpuE2ELNS1_3repE0EEENS1_30default_config_static_selectorELNS0_4arch9wavefront6targetE1EEEvT1_.kd
    .uniform_work_group_size: 1
    .uses_dynamic_stack: false
    .vgpr_count:     0
    .vgpr_spill_count: 0
    .wavefront_size: 64
  - .agpr_count:     0
    .args:
      - .offset:         0
        .size:           96
        .value_kind:     by_value
    .group_segment_fixed_size: 0
    .kernarg_segment_align: 8
    .kernarg_segment_size: 96
    .language:       OpenCL C
    .language_version:
      - 2
      - 0
    .max_flat_workgroup_size: 256
    .name:           _ZN7rocprim17ROCPRIM_400000_NS6detail17trampoline_kernelINS0_14default_configENS1_20scan_config_selectorIiEEZZNS1_9scan_implILNS1_25lookback_scan_determinismE0ELb1ELb1ES3_N6thrust23THRUST_200600_302600_NS6detail15normal_iteratorINS9_10device_ptrIjEEEENSB_INSC_IfEEEEiNS9_4plusIvEEiEEDaPvRmT3_T4_T5_mT6_P12ihipStream_tbENKUlT_T0_E_clISt17integral_constantIbLb1EESV_IbLb0EEEEDaSR_SS_EUlSR_E_NS1_11comp_targetILNS1_3genE0ELNS1_11target_archE4294967295ELNS1_3gpuE0ELNS1_3repE0EEENS1_30default_config_static_selectorELNS0_4arch9wavefront6targetE1EEEvT1_
    .private_segment_fixed_size: 0
    .sgpr_count:     4
    .sgpr_spill_count: 0
    .symbol:         _ZN7rocprim17ROCPRIM_400000_NS6detail17trampoline_kernelINS0_14default_configENS1_20scan_config_selectorIiEEZZNS1_9scan_implILNS1_25lookback_scan_determinismE0ELb1ELb1ES3_N6thrust23THRUST_200600_302600_NS6detail15normal_iteratorINS9_10device_ptrIjEEEENSB_INSC_IfEEEEiNS9_4plusIvEEiEEDaPvRmT3_T4_T5_mT6_P12ihipStream_tbENKUlT_T0_E_clISt17integral_constantIbLb1EESV_IbLb0EEEEDaSR_SS_EUlSR_E_NS1_11comp_targetILNS1_3genE0ELNS1_11target_archE4294967295ELNS1_3gpuE0ELNS1_3repE0EEENS1_30default_config_static_selectorELNS0_4arch9wavefront6targetE1EEEvT1_.kd
    .uniform_work_group_size: 1
    .uses_dynamic_stack: false
    .vgpr_count:     0
    .vgpr_spill_count: 0
    .wavefront_size: 64
  - .agpr_count:     0
    .args:
      - .offset:         0
        .size:           96
        .value_kind:     by_value
    .group_segment_fixed_size: 0
    .kernarg_segment_align: 8
    .kernarg_segment_size: 96
    .language:       OpenCL C
    .language_version:
      - 2
      - 0
    .max_flat_workgroup_size: 256
    .name:           _ZN7rocprim17ROCPRIM_400000_NS6detail17trampoline_kernelINS0_14default_configENS1_20scan_config_selectorIiEEZZNS1_9scan_implILNS1_25lookback_scan_determinismE0ELb1ELb1ES3_N6thrust23THRUST_200600_302600_NS6detail15normal_iteratorINS9_10device_ptrIjEEEENSB_INSC_IfEEEEiNS9_4plusIvEEiEEDaPvRmT3_T4_T5_mT6_P12ihipStream_tbENKUlT_T0_E_clISt17integral_constantIbLb1EESV_IbLb0EEEEDaSR_SS_EUlSR_E_NS1_11comp_targetILNS1_3genE5ELNS1_11target_archE942ELNS1_3gpuE9ELNS1_3repE0EEENS1_30default_config_static_selectorELNS0_4arch9wavefront6targetE1EEEvT1_
    .private_segment_fixed_size: 0
    .sgpr_count:     4
    .sgpr_spill_count: 0
    .symbol:         _ZN7rocprim17ROCPRIM_400000_NS6detail17trampoline_kernelINS0_14default_configENS1_20scan_config_selectorIiEEZZNS1_9scan_implILNS1_25lookback_scan_determinismE0ELb1ELb1ES3_N6thrust23THRUST_200600_302600_NS6detail15normal_iteratorINS9_10device_ptrIjEEEENSB_INSC_IfEEEEiNS9_4plusIvEEiEEDaPvRmT3_T4_T5_mT6_P12ihipStream_tbENKUlT_T0_E_clISt17integral_constantIbLb1EESV_IbLb0EEEEDaSR_SS_EUlSR_E_NS1_11comp_targetILNS1_3genE5ELNS1_11target_archE942ELNS1_3gpuE9ELNS1_3repE0EEENS1_30default_config_static_selectorELNS0_4arch9wavefront6targetE1EEEvT1_.kd
    .uniform_work_group_size: 1
    .uses_dynamic_stack: false
    .vgpr_count:     0
    .vgpr_spill_count: 0
    .wavefront_size: 64
  - .agpr_count:     0
    .args:
      - .offset:         0
        .size:           96
        .value_kind:     by_value
    .group_segment_fixed_size: 5120
    .kernarg_segment_align: 8
    .kernarg_segment_size: 96
    .language:       OpenCL C
    .language_version:
      - 2
      - 0
    .max_flat_workgroup_size: 128
    .name:           _ZN7rocprim17ROCPRIM_400000_NS6detail17trampoline_kernelINS0_14default_configENS1_20scan_config_selectorIiEEZZNS1_9scan_implILNS1_25lookback_scan_determinismE0ELb1ELb1ES3_N6thrust23THRUST_200600_302600_NS6detail15normal_iteratorINS9_10device_ptrIjEEEENSB_INSC_IfEEEEiNS9_4plusIvEEiEEDaPvRmT3_T4_T5_mT6_P12ihipStream_tbENKUlT_T0_E_clISt17integral_constantIbLb1EESV_IbLb0EEEEDaSR_SS_EUlSR_E_NS1_11comp_targetILNS1_3genE4ELNS1_11target_archE910ELNS1_3gpuE8ELNS1_3repE0EEENS1_30default_config_static_selectorELNS0_4arch9wavefront6targetE1EEEvT1_
    .private_segment_fixed_size: 0
    .sgpr_count:     36
    .sgpr_spill_count: 0
    .symbol:         _ZN7rocprim17ROCPRIM_400000_NS6detail17trampoline_kernelINS0_14default_configENS1_20scan_config_selectorIiEEZZNS1_9scan_implILNS1_25lookback_scan_determinismE0ELb1ELb1ES3_N6thrust23THRUST_200600_302600_NS6detail15normal_iteratorINS9_10device_ptrIjEEEENSB_INSC_IfEEEEiNS9_4plusIvEEiEEDaPvRmT3_T4_T5_mT6_P12ihipStream_tbENKUlT_T0_E_clISt17integral_constantIbLb1EESV_IbLb0EEEEDaSR_SS_EUlSR_E_NS1_11comp_targetILNS1_3genE4ELNS1_11target_archE910ELNS1_3gpuE8ELNS1_3repE0EEENS1_30default_config_static_selectorELNS0_4arch9wavefront6targetE1EEEvT1_.kd
    .uniform_work_group_size: 1
    .uses_dynamic_stack: false
    .vgpr_count:     41
    .vgpr_spill_count: 0
    .wavefront_size: 64
  - .agpr_count:     0
    .args:
      - .offset:         0
        .size:           96
        .value_kind:     by_value
    .group_segment_fixed_size: 0
    .kernarg_segment_align: 8
    .kernarg_segment_size: 96
    .language:       OpenCL C
    .language_version:
      - 2
      - 0
    .max_flat_workgroup_size: 256
    .name:           _ZN7rocprim17ROCPRIM_400000_NS6detail17trampoline_kernelINS0_14default_configENS1_20scan_config_selectorIiEEZZNS1_9scan_implILNS1_25lookback_scan_determinismE0ELb1ELb1ES3_N6thrust23THRUST_200600_302600_NS6detail15normal_iteratorINS9_10device_ptrIjEEEENSB_INSC_IfEEEEiNS9_4plusIvEEiEEDaPvRmT3_T4_T5_mT6_P12ihipStream_tbENKUlT_T0_E_clISt17integral_constantIbLb1EESV_IbLb0EEEEDaSR_SS_EUlSR_E_NS1_11comp_targetILNS1_3genE3ELNS1_11target_archE908ELNS1_3gpuE7ELNS1_3repE0EEENS1_30default_config_static_selectorELNS0_4arch9wavefront6targetE1EEEvT1_
    .private_segment_fixed_size: 0
    .sgpr_count:     4
    .sgpr_spill_count: 0
    .symbol:         _ZN7rocprim17ROCPRIM_400000_NS6detail17trampoline_kernelINS0_14default_configENS1_20scan_config_selectorIiEEZZNS1_9scan_implILNS1_25lookback_scan_determinismE0ELb1ELb1ES3_N6thrust23THRUST_200600_302600_NS6detail15normal_iteratorINS9_10device_ptrIjEEEENSB_INSC_IfEEEEiNS9_4plusIvEEiEEDaPvRmT3_T4_T5_mT6_P12ihipStream_tbENKUlT_T0_E_clISt17integral_constantIbLb1EESV_IbLb0EEEEDaSR_SS_EUlSR_E_NS1_11comp_targetILNS1_3genE3ELNS1_11target_archE908ELNS1_3gpuE7ELNS1_3repE0EEENS1_30default_config_static_selectorELNS0_4arch9wavefront6targetE1EEEvT1_.kd
    .uniform_work_group_size: 1
    .uses_dynamic_stack: false
    .vgpr_count:     0
    .vgpr_spill_count: 0
    .wavefront_size: 64
  - .agpr_count:     0
    .args:
      - .offset:         0
        .size:           96
        .value_kind:     by_value
    .group_segment_fixed_size: 0
    .kernarg_segment_align: 8
    .kernarg_segment_size: 96
    .language:       OpenCL C
    .language_version:
      - 2
      - 0
    .max_flat_workgroup_size: 256
    .name:           _ZN7rocprim17ROCPRIM_400000_NS6detail17trampoline_kernelINS0_14default_configENS1_20scan_config_selectorIiEEZZNS1_9scan_implILNS1_25lookback_scan_determinismE0ELb1ELb1ES3_N6thrust23THRUST_200600_302600_NS6detail15normal_iteratorINS9_10device_ptrIjEEEENSB_INSC_IfEEEEiNS9_4plusIvEEiEEDaPvRmT3_T4_T5_mT6_P12ihipStream_tbENKUlT_T0_E_clISt17integral_constantIbLb1EESV_IbLb0EEEEDaSR_SS_EUlSR_E_NS1_11comp_targetILNS1_3genE2ELNS1_11target_archE906ELNS1_3gpuE6ELNS1_3repE0EEENS1_30default_config_static_selectorELNS0_4arch9wavefront6targetE1EEEvT1_
    .private_segment_fixed_size: 0
    .sgpr_count:     4
    .sgpr_spill_count: 0
    .symbol:         _ZN7rocprim17ROCPRIM_400000_NS6detail17trampoline_kernelINS0_14default_configENS1_20scan_config_selectorIiEEZZNS1_9scan_implILNS1_25lookback_scan_determinismE0ELb1ELb1ES3_N6thrust23THRUST_200600_302600_NS6detail15normal_iteratorINS9_10device_ptrIjEEEENSB_INSC_IfEEEEiNS9_4plusIvEEiEEDaPvRmT3_T4_T5_mT6_P12ihipStream_tbENKUlT_T0_E_clISt17integral_constantIbLb1EESV_IbLb0EEEEDaSR_SS_EUlSR_E_NS1_11comp_targetILNS1_3genE2ELNS1_11target_archE906ELNS1_3gpuE6ELNS1_3repE0EEENS1_30default_config_static_selectorELNS0_4arch9wavefront6targetE1EEEvT1_.kd
    .uniform_work_group_size: 1
    .uses_dynamic_stack: false
    .vgpr_count:     0
    .vgpr_spill_count: 0
    .wavefront_size: 64
  - .agpr_count:     0
    .args:
      - .offset:         0
        .size:           96
        .value_kind:     by_value
    .group_segment_fixed_size: 0
    .kernarg_segment_align: 8
    .kernarg_segment_size: 96
    .language:       OpenCL C
    .language_version:
      - 2
      - 0
    .max_flat_workgroup_size: 256
    .name:           _ZN7rocprim17ROCPRIM_400000_NS6detail17trampoline_kernelINS0_14default_configENS1_20scan_config_selectorIiEEZZNS1_9scan_implILNS1_25lookback_scan_determinismE0ELb1ELb1ES3_N6thrust23THRUST_200600_302600_NS6detail15normal_iteratorINS9_10device_ptrIjEEEENSB_INSC_IfEEEEiNS9_4plusIvEEiEEDaPvRmT3_T4_T5_mT6_P12ihipStream_tbENKUlT_T0_E_clISt17integral_constantIbLb1EESV_IbLb0EEEEDaSR_SS_EUlSR_E_NS1_11comp_targetILNS1_3genE10ELNS1_11target_archE1201ELNS1_3gpuE5ELNS1_3repE0EEENS1_30default_config_static_selectorELNS0_4arch9wavefront6targetE1EEEvT1_
    .private_segment_fixed_size: 0
    .sgpr_count:     4
    .sgpr_spill_count: 0
    .symbol:         _ZN7rocprim17ROCPRIM_400000_NS6detail17trampoline_kernelINS0_14default_configENS1_20scan_config_selectorIiEEZZNS1_9scan_implILNS1_25lookback_scan_determinismE0ELb1ELb1ES3_N6thrust23THRUST_200600_302600_NS6detail15normal_iteratorINS9_10device_ptrIjEEEENSB_INSC_IfEEEEiNS9_4plusIvEEiEEDaPvRmT3_T4_T5_mT6_P12ihipStream_tbENKUlT_T0_E_clISt17integral_constantIbLb1EESV_IbLb0EEEEDaSR_SS_EUlSR_E_NS1_11comp_targetILNS1_3genE10ELNS1_11target_archE1201ELNS1_3gpuE5ELNS1_3repE0EEENS1_30default_config_static_selectorELNS0_4arch9wavefront6targetE1EEEvT1_.kd
    .uniform_work_group_size: 1
    .uses_dynamic_stack: false
    .vgpr_count:     0
    .vgpr_spill_count: 0
    .wavefront_size: 64
  - .agpr_count:     0
    .args:
      - .offset:         0
        .size:           96
        .value_kind:     by_value
    .group_segment_fixed_size: 0
    .kernarg_segment_align: 8
    .kernarg_segment_size: 96
    .language:       OpenCL C
    .language_version:
      - 2
      - 0
    .max_flat_workgroup_size: 256
    .name:           _ZN7rocprim17ROCPRIM_400000_NS6detail17trampoline_kernelINS0_14default_configENS1_20scan_config_selectorIiEEZZNS1_9scan_implILNS1_25lookback_scan_determinismE0ELb1ELb1ES3_N6thrust23THRUST_200600_302600_NS6detail15normal_iteratorINS9_10device_ptrIjEEEENSB_INSC_IfEEEEiNS9_4plusIvEEiEEDaPvRmT3_T4_T5_mT6_P12ihipStream_tbENKUlT_T0_E_clISt17integral_constantIbLb1EESV_IbLb0EEEEDaSR_SS_EUlSR_E_NS1_11comp_targetILNS1_3genE10ELNS1_11target_archE1200ELNS1_3gpuE4ELNS1_3repE0EEENS1_30default_config_static_selectorELNS0_4arch9wavefront6targetE1EEEvT1_
    .private_segment_fixed_size: 0
    .sgpr_count:     4
    .sgpr_spill_count: 0
    .symbol:         _ZN7rocprim17ROCPRIM_400000_NS6detail17trampoline_kernelINS0_14default_configENS1_20scan_config_selectorIiEEZZNS1_9scan_implILNS1_25lookback_scan_determinismE0ELb1ELb1ES3_N6thrust23THRUST_200600_302600_NS6detail15normal_iteratorINS9_10device_ptrIjEEEENSB_INSC_IfEEEEiNS9_4plusIvEEiEEDaPvRmT3_T4_T5_mT6_P12ihipStream_tbENKUlT_T0_E_clISt17integral_constantIbLb1EESV_IbLb0EEEEDaSR_SS_EUlSR_E_NS1_11comp_targetILNS1_3genE10ELNS1_11target_archE1200ELNS1_3gpuE4ELNS1_3repE0EEENS1_30default_config_static_selectorELNS0_4arch9wavefront6targetE1EEEvT1_.kd
    .uniform_work_group_size: 1
    .uses_dynamic_stack: false
    .vgpr_count:     0
    .vgpr_spill_count: 0
    .wavefront_size: 64
  - .agpr_count:     0
    .args:
      - .offset:         0
        .size:           96
        .value_kind:     by_value
    .group_segment_fixed_size: 0
    .kernarg_segment_align: 8
    .kernarg_segment_size: 96
    .language:       OpenCL C
    .language_version:
      - 2
      - 0
    .max_flat_workgroup_size: 256
    .name:           _ZN7rocprim17ROCPRIM_400000_NS6detail17trampoline_kernelINS0_14default_configENS1_20scan_config_selectorIiEEZZNS1_9scan_implILNS1_25lookback_scan_determinismE0ELb1ELb1ES3_N6thrust23THRUST_200600_302600_NS6detail15normal_iteratorINS9_10device_ptrIjEEEENSB_INSC_IfEEEEiNS9_4plusIvEEiEEDaPvRmT3_T4_T5_mT6_P12ihipStream_tbENKUlT_T0_E_clISt17integral_constantIbLb1EESV_IbLb0EEEEDaSR_SS_EUlSR_E_NS1_11comp_targetILNS1_3genE9ELNS1_11target_archE1100ELNS1_3gpuE3ELNS1_3repE0EEENS1_30default_config_static_selectorELNS0_4arch9wavefront6targetE1EEEvT1_
    .private_segment_fixed_size: 0
    .sgpr_count:     4
    .sgpr_spill_count: 0
    .symbol:         _ZN7rocprim17ROCPRIM_400000_NS6detail17trampoline_kernelINS0_14default_configENS1_20scan_config_selectorIiEEZZNS1_9scan_implILNS1_25lookback_scan_determinismE0ELb1ELb1ES3_N6thrust23THRUST_200600_302600_NS6detail15normal_iteratorINS9_10device_ptrIjEEEENSB_INSC_IfEEEEiNS9_4plusIvEEiEEDaPvRmT3_T4_T5_mT6_P12ihipStream_tbENKUlT_T0_E_clISt17integral_constantIbLb1EESV_IbLb0EEEEDaSR_SS_EUlSR_E_NS1_11comp_targetILNS1_3genE9ELNS1_11target_archE1100ELNS1_3gpuE3ELNS1_3repE0EEENS1_30default_config_static_selectorELNS0_4arch9wavefront6targetE1EEEvT1_.kd
    .uniform_work_group_size: 1
    .uses_dynamic_stack: false
    .vgpr_count:     0
    .vgpr_spill_count: 0
    .wavefront_size: 64
  - .agpr_count:     0
    .args:
      - .offset:         0
        .size:           96
        .value_kind:     by_value
    .group_segment_fixed_size: 0
    .kernarg_segment_align: 8
    .kernarg_segment_size: 96
    .language:       OpenCL C
    .language_version:
      - 2
      - 0
    .max_flat_workgroup_size: 64
    .name:           _ZN7rocprim17ROCPRIM_400000_NS6detail17trampoline_kernelINS0_14default_configENS1_20scan_config_selectorIiEEZZNS1_9scan_implILNS1_25lookback_scan_determinismE0ELb1ELb1ES3_N6thrust23THRUST_200600_302600_NS6detail15normal_iteratorINS9_10device_ptrIjEEEENSB_INSC_IfEEEEiNS9_4plusIvEEiEEDaPvRmT3_T4_T5_mT6_P12ihipStream_tbENKUlT_T0_E_clISt17integral_constantIbLb1EESV_IbLb0EEEEDaSR_SS_EUlSR_E_NS1_11comp_targetILNS1_3genE8ELNS1_11target_archE1030ELNS1_3gpuE2ELNS1_3repE0EEENS1_30default_config_static_selectorELNS0_4arch9wavefront6targetE1EEEvT1_
    .private_segment_fixed_size: 0
    .sgpr_count:     4
    .sgpr_spill_count: 0
    .symbol:         _ZN7rocprim17ROCPRIM_400000_NS6detail17trampoline_kernelINS0_14default_configENS1_20scan_config_selectorIiEEZZNS1_9scan_implILNS1_25lookback_scan_determinismE0ELb1ELb1ES3_N6thrust23THRUST_200600_302600_NS6detail15normal_iteratorINS9_10device_ptrIjEEEENSB_INSC_IfEEEEiNS9_4plusIvEEiEEDaPvRmT3_T4_T5_mT6_P12ihipStream_tbENKUlT_T0_E_clISt17integral_constantIbLb1EESV_IbLb0EEEEDaSR_SS_EUlSR_E_NS1_11comp_targetILNS1_3genE8ELNS1_11target_archE1030ELNS1_3gpuE2ELNS1_3repE0EEENS1_30default_config_static_selectorELNS0_4arch9wavefront6targetE1EEEvT1_.kd
    .uniform_work_group_size: 1
    .uses_dynamic_stack: false
    .vgpr_count:     0
    .vgpr_spill_count: 0
    .wavefront_size: 64
  - .agpr_count:     0
    .args:
      - .offset:         0
        .size:           32
        .value_kind:     by_value
    .group_segment_fixed_size: 0
    .kernarg_segment_align: 8
    .kernarg_segment_size: 32
    .language:       OpenCL C
    .language_version:
      - 2
      - 0
    .max_flat_workgroup_size: 256
    .name:           _ZN7rocprim17ROCPRIM_400000_NS6detail17trampoline_kernelINS0_14default_configENS1_20scan_config_selectorIiEEZZNS1_9scan_implILNS1_25lookback_scan_determinismE0ELb1ELb1ES3_N6thrust23THRUST_200600_302600_NS6detail15normal_iteratorINS9_10device_ptrIjEEEENSB_INSC_IfEEEEiNS9_4plusIvEEiEEDaPvRmT3_T4_T5_mT6_P12ihipStream_tbENKUlT_T0_E_clISt17integral_constantIbLb1EESV_IbLb0EEEEDaSR_SS_EUlSR_E0_NS1_11comp_targetILNS1_3genE0ELNS1_11target_archE4294967295ELNS1_3gpuE0ELNS1_3repE0EEENS1_30default_config_static_selectorELNS0_4arch9wavefront6targetE1EEEvT1_
    .private_segment_fixed_size: 0
    .sgpr_count:     4
    .sgpr_spill_count: 0
    .symbol:         _ZN7rocprim17ROCPRIM_400000_NS6detail17trampoline_kernelINS0_14default_configENS1_20scan_config_selectorIiEEZZNS1_9scan_implILNS1_25lookback_scan_determinismE0ELb1ELb1ES3_N6thrust23THRUST_200600_302600_NS6detail15normal_iteratorINS9_10device_ptrIjEEEENSB_INSC_IfEEEEiNS9_4plusIvEEiEEDaPvRmT3_T4_T5_mT6_P12ihipStream_tbENKUlT_T0_E_clISt17integral_constantIbLb1EESV_IbLb0EEEEDaSR_SS_EUlSR_E0_NS1_11comp_targetILNS1_3genE0ELNS1_11target_archE4294967295ELNS1_3gpuE0ELNS1_3repE0EEENS1_30default_config_static_selectorELNS0_4arch9wavefront6targetE1EEEvT1_.kd
    .uniform_work_group_size: 1
    .uses_dynamic_stack: false
    .vgpr_count:     0
    .vgpr_spill_count: 0
    .wavefront_size: 64
  - .agpr_count:     0
    .args:
      - .offset:         0
        .size:           32
        .value_kind:     by_value
    .group_segment_fixed_size: 0
    .kernarg_segment_align: 8
    .kernarg_segment_size: 32
    .language:       OpenCL C
    .language_version:
      - 2
      - 0
    .max_flat_workgroup_size: 256
    .name:           _ZN7rocprim17ROCPRIM_400000_NS6detail17trampoline_kernelINS0_14default_configENS1_20scan_config_selectorIiEEZZNS1_9scan_implILNS1_25lookback_scan_determinismE0ELb1ELb1ES3_N6thrust23THRUST_200600_302600_NS6detail15normal_iteratorINS9_10device_ptrIjEEEENSB_INSC_IfEEEEiNS9_4plusIvEEiEEDaPvRmT3_T4_T5_mT6_P12ihipStream_tbENKUlT_T0_E_clISt17integral_constantIbLb1EESV_IbLb0EEEEDaSR_SS_EUlSR_E0_NS1_11comp_targetILNS1_3genE5ELNS1_11target_archE942ELNS1_3gpuE9ELNS1_3repE0EEENS1_30default_config_static_selectorELNS0_4arch9wavefront6targetE1EEEvT1_
    .private_segment_fixed_size: 0
    .sgpr_count:     4
    .sgpr_spill_count: 0
    .symbol:         _ZN7rocprim17ROCPRIM_400000_NS6detail17trampoline_kernelINS0_14default_configENS1_20scan_config_selectorIiEEZZNS1_9scan_implILNS1_25lookback_scan_determinismE0ELb1ELb1ES3_N6thrust23THRUST_200600_302600_NS6detail15normal_iteratorINS9_10device_ptrIjEEEENSB_INSC_IfEEEEiNS9_4plusIvEEiEEDaPvRmT3_T4_T5_mT6_P12ihipStream_tbENKUlT_T0_E_clISt17integral_constantIbLb1EESV_IbLb0EEEEDaSR_SS_EUlSR_E0_NS1_11comp_targetILNS1_3genE5ELNS1_11target_archE942ELNS1_3gpuE9ELNS1_3repE0EEENS1_30default_config_static_selectorELNS0_4arch9wavefront6targetE1EEEvT1_.kd
    .uniform_work_group_size: 1
    .uses_dynamic_stack: false
    .vgpr_count:     0
    .vgpr_spill_count: 0
    .wavefront_size: 64
  - .agpr_count:     0
    .args:
      - .offset:         0
        .size:           32
        .value_kind:     by_value
    .group_segment_fixed_size: 5120
    .kernarg_segment_align: 8
    .kernarg_segment_size: 32
    .language:       OpenCL C
    .language_version:
      - 2
      - 0
    .max_flat_workgroup_size: 128
    .name:           _ZN7rocprim17ROCPRIM_400000_NS6detail17trampoline_kernelINS0_14default_configENS1_20scan_config_selectorIiEEZZNS1_9scan_implILNS1_25lookback_scan_determinismE0ELb1ELb1ES3_N6thrust23THRUST_200600_302600_NS6detail15normal_iteratorINS9_10device_ptrIjEEEENSB_INSC_IfEEEEiNS9_4plusIvEEiEEDaPvRmT3_T4_T5_mT6_P12ihipStream_tbENKUlT_T0_E_clISt17integral_constantIbLb1EESV_IbLb0EEEEDaSR_SS_EUlSR_E0_NS1_11comp_targetILNS1_3genE4ELNS1_11target_archE910ELNS1_3gpuE8ELNS1_3repE0EEENS1_30default_config_static_selectorELNS0_4arch9wavefront6targetE1EEEvT1_
    .private_segment_fixed_size: 0
    .sgpr_count:     29
    .sgpr_spill_count: 0
    .symbol:         _ZN7rocprim17ROCPRIM_400000_NS6detail17trampoline_kernelINS0_14default_configENS1_20scan_config_selectorIiEEZZNS1_9scan_implILNS1_25lookback_scan_determinismE0ELb1ELb1ES3_N6thrust23THRUST_200600_302600_NS6detail15normal_iteratorINS9_10device_ptrIjEEEENSB_INSC_IfEEEEiNS9_4plusIvEEiEEDaPvRmT3_T4_T5_mT6_P12ihipStream_tbENKUlT_T0_E_clISt17integral_constantIbLb1EESV_IbLb0EEEEDaSR_SS_EUlSR_E0_NS1_11comp_targetILNS1_3genE4ELNS1_11target_archE910ELNS1_3gpuE8ELNS1_3repE0EEENS1_30default_config_static_selectorELNS0_4arch9wavefront6targetE1EEEvT1_.kd
    .uniform_work_group_size: 1
    .uses_dynamic_stack: false
    .vgpr_count:     18
    .vgpr_spill_count: 0
    .wavefront_size: 64
  - .agpr_count:     0
    .args:
      - .offset:         0
        .size:           32
        .value_kind:     by_value
    .group_segment_fixed_size: 0
    .kernarg_segment_align: 8
    .kernarg_segment_size: 32
    .language:       OpenCL C
    .language_version:
      - 2
      - 0
    .max_flat_workgroup_size: 256
    .name:           _ZN7rocprim17ROCPRIM_400000_NS6detail17trampoline_kernelINS0_14default_configENS1_20scan_config_selectorIiEEZZNS1_9scan_implILNS1_25lookback_scan_determinismE0ELb1ELb1ES3_N6thrust23THRUST_200600_302600_NS6detail15normal_iteratorINS9_10device_ptrIjEEEENSB_INSC_IfEEEEiNS9_4plusIvEEiEEDaPvRmT3_T4_T5_mT6_P12ihipStream_tbENKUlT_T0_E_clISt17integral_constantIbLb1EESV_IbLb0EEEEDaSR_SS_EUlSR_E0_NS1_11comp_targetILNS1_3genE3ELNS1_11target_archE908ELNS1_3gpuE7ELNS1_3repE0EEENS1_30default_config_static_selectorELNS0_4arch9wavefront6targetE1EEEvT1_
    .private_segment_fixed_size: 0
    .sgpr_count:     4
    .sgpr_spill_count: 0
    .symbol:         _ZN7rocprim17ROCPRIM_400000_NS6detail17trampoline_kernelINS0_14default_configENS1_20scan_config_selectorIiEEZZNS1_9scan_implILNS1_25lookback_scan_determinismE0ELb1ELb1ES3_N6thrust23THRUST_200600_302600_NS6detail15normal_iteratorINS9_10device_ptrIjEEEENSB_INSC_IfEEEEiNS9_4plusIvEEiEEDaPvRmT3_T4_T5_mT6_P12ihipStream_tbENKUlT_T0_E_clISt17integral_constantIbLb1EESV_IbLb0EEEEDaSR_SS_EUlSR_E0_NS1_11comp_targetILNS1_3genE3ELNS1_11target_archE908ELNS1_3gpuE7ELNS1_3repE0EEENS1_30default_config_static_selectorELNS0_4arch9wavefront6targetE1EEEvT1_.kd
    .uniform_work_group_size: 1
    .uses_dynamic_stack: false
    .vgpr_count:     0
    .vgpr_spill_count: 0
    .wavefront_size: 64
  - .agpr_count:     0
    .args:
      - .offset:         0
        .size:           32
        .value_kind:     by_value
    .group_segment_fixed_size: 0
    .kernarg_segment_align: 8
    .kernarg_segment_size: 32
    .language:       OpenCL C
    .language_version:
      - 2
      - 0
    .max_flat_workgroup_size: 256
    .name:           _ZN7rocprim17ROCPRIM_400000_NS6detail17trampoline_kernelINS0_14default_configENS1_20scan_config_selectorIiEEZZNS1_9scan_implILNS1_25lookback_scan_determinismE0ELb1ELb1ES3_N6thrust23THRUST_200600_302600_NS6detail15normal_iteratorINS9_10device_ptrIjEEEENSB_INSC_IfEEEEiNS9_4plusIvEEiEEDaPvRmT3_T4_T5_mT6_P12ihipStream_tbENKUlT_T0_E_clISt17integral_constantIbLb1EESV_IbLb0EEEEDaSR_SS_EUlSR_E0_NS1_11comp_targetILNS1_3genE2ELNS1_11target_archE906ELNS1_3gpuE6ELNS1_3repE0EEENS1_30default_config_static_selectorELNS0_4arch9wavefront6targetE1EEEvT1_
    .private_segment_fixed_size: 0
    .sgpr_count:     4
    .sgpr_spill_count: 0
    .symbol:         _ZN7rocprim17ROCPRIM_400000_NS6detail17trampoline_kernelINS0_14default_configENS1_20scan_config_selectorIiEEZZNS1_9scan_implILNS1_25lookback_scan_determinismE0ELb1ELb1ES3_N6thrust23THRUST_200600_302600_NS6detail15normal_iteratorINS9_10device_ptrIjEEEENSB_INSC_IfEEEEiNS9_4plusIvEEiEEDaPvRmT3_T4_T5_mT6_P12ihipStream_tbENKUlT_T0_E_clISt17integral_constantIbLb1EESV_IbLb0EEEEDaSR_SS_EUlSR_E0_NS1_11comp_targetILNS1_3genE2ELNS1_11target_archE906ELNS1_3gpuE6ELNS1_3repE0EEENS1_30default_config_static_selectorELNS0_4arch9wavefront6targetE1EEEvT1_.kd
    .uniform_work_group_size: 1
    .uses_dynamic_stack: false
    .vgpr_count:     0
    .vgpr_spill_count: 0
    .wavefront_size: 64
  - .agpr_count:     0
    .args:
      - .offset:         0
        .size:           32
        .value_kind:     by_value
    .group_segment_fixed_size: 0
    .kernarg_segment_align: 8
    .kernarg_segment_size: 32
    .language:       OpenCL C
    .language_version:
      - 2
      - 0
    .max_flat_workgroup_size: 256
    .name:           _ZN7rocprim17ROCPRIM_400000_NS6detail17trampoline_kernelINS0_14default_configENS1_20scan_config_selectorIiEEZZNS1_9scan_implILNS1_25lookback_scan_determinismE0ELb1ELb1ES3_N6thrust23THRUST_200600_302600_NS6detail15normal_iteratorINS9_10device_ptrIjEEEENSB_INSC_IfEEEEiNS9_4plusIvEEiEEDaPvRmT3_T4_T5_mT6_P12ihipStream_tbENKUlT_T0_E_clISt17integral_constantIbLb1EESV_IbLb0EEEEDaSR_SS_EUlSR_E0_NS1_11comp_targetILNS1_3genE10ELNS1_11target_archE1201ELNS1_3gpuE5ELNS1_3repE0EEENS1_30default_config_static_selectorELNS0_4arch9wavefront6targetE1EEEvT1_
    .private_segment_fixed_size: 0
    .sgpr_count:     4
    .sgpr_spill_count: 0
    .symbol:         _ZN7rocprim17ROCPRIM_400000_NS6detail17trampoline_kernelINS0_14default_configENS1_20scan_config_selectorIiEEZZNS1_9scan_implILNS1_25lookback_scan_determinismE0ELb1ELb1ES3_N6thrust23THRUST_200600_302600_NS6detail15normal_iteratorINS9_10device_ptrIjEEEENSB_INSC_IfEEEEiNS9_4plusIvEEiEEDaPvRmT3_T4_T5_mT6_P12ihipStream_tbENKUlT_T0_E_clISt17integral_constantIbLb1EESV_IbLb0EEEEDaSR_SS_EUlSR_E0_NS1_11comp_targetILNS1_3genE10ELNS1_11target_archE1201ELNS1_3gpuE5ELNS1_3repE0EEENS1_30default_config_static_selectorELNS0_4arch9wavefront6targetE1EEEvT1_.kd
    .uniform_work_group_size: 1
    .uses_dynamic_stack: false
    .vgpr_count:     0
    .vgpr_spill_count: 0
    .wavefront_size: 64
  - .agpr_count:     0
    .args:
      - .offset:         0
        .size:           32
        .value_kind:     by_value
    .group_segment_fixed_size: 0
    .kernarg_segment_align: 8
    .kernarg_segment_size: 32
    .language:       OpenCL C
    .language_version:
      - 2
      - 0
    .max_flat_workgroup_size: 256
    .name:           _ZN7rocprim17ROCPRIM_400000_NS6detail17trampoline_kernelINS0_14default_configENS1_20scan_config_selectorIiEEZZNS1_9scan_implILNS1_25lookback_scan_determinismE0ELb1ELb1ES3_N6thrust23THRUST_200600_302600_NS6detail15normal_iteratorINS9_10device_ptrIjEEEENSB_INSC_IfEEEEiNS9_4plusIvEEiEEDaPvRmT3_T4_T5_mT6_P12ihipStream_tbENKUlT_T0_E_clISt17integral_constantIbLb1EESV_IbLb0EEEEDaSR_SS_EUlSR_E0_NS1_11comp_targetILNS1_3genE10ELNS1_11target_archE1200ELNS1_3gpuE4ELNS1_3repE0EEENS1_30default_config_static_selectorELNS0_4arch9wavefront6targetE1EEEvT1_
    .private_segment_fixed_size: 0
    .sgpr_count:     4
    .sgpr_spill_count: 0
    .symbol:         _ZN7rocprim17ROCPRIM_400000_NS6detail17trampoline_kernelINS0_14default_configENS1_20scan_config_selectorIiEEZZNS1_9scan_implILNS1_25lookback_scan_determinismE0ELb1ELb1ES3_N6thrust23THRUST_200600_302600_NS6detail15normal_iteratorINS9_10device_ptrIjEEEENSB_INSC_IfEEEEiNS9_4plusIvEEiEEDaPvRmT3_T4_T5_mT6_P12ihipStream_tbENKUlT_T0_E_clISt17integral_constantIbLb1EESV_IbLb0EEEEDaSR_SS_EUlSR_E0_NS1_11comp_targetILNS1_3genE10ELNS1_11target_archE1200ELNS1_3gpuE4ELNS1_3repE0EEENS1_30default_config_static_selectorELNS0_4arch9wavefront6targetE1EEEvT1_.kd
    .uniform_work_group_size: 1
    .uses_dynamic_stack: false
    .vgpr_count:     0
    .vgpr_spill_count: 0
    .wavefront_size: 64
  - .agpr_count:     0
    .args:
      - .offset:         0
        .size:           32
        .value_kind:     by_value
    .group_segment_fixed_size: 0
    .kernarg_segment_align: 8
    .kernarg_segment_size: 32
    .language:       OpenCL C
    .language_version:
      - 2
      - 0
    .max_flat_workgroup_size: 256
    .name:           _ZN7rocprim17ROCPRIM_400000_NS6detail17trampoline_kernelINS0_14default_configENS1_20scan_config_selectorIiEEZZNS1_9scan_implILNS1_25lookback_scan_determinismE0ELb1ELb1ES3_N6thrust23THRUST_200600_302600_NS6detail15normal_iteratorINS9_10device_ptrIjEEEENSB_INSC_IfEEEEiNS9_4plusIvEEiEEDaPvRmT3_T4_T5_mT6_P12ihipStream_tbENKUlT_T0_E_clISt17integral_constantIbLb1EESV_IbLb0EEEEDaSR_SS_EUlSR_E0_NS1_11comp_targetILNS1_3genE9ELNS1_11target_archE1100ELNS1_3gpuE3ELNS1_3repE0EEENS1_30default_config_static_selectorELNS0_4arch9wavefront6targetE1EEEvT1_
    .private_segment_fixed_size: 0
    .sgpr_count:     4
    .sgpr_spill_count: 0
    .symbol:         _ZN7rocprim17ROCPRIM_400000_NS6detail17trampoline_kernelINS0_14default_configENS1_20scan_config_selectorIiEEZZNS1_9scan_implILNS1_25lookback_scan_determinismE0ELb1ELb1ES3_N6thrust23THRUST_200600_302600_NS6detail15normal_iteratorINS9_10device_ptrIjEEEENSB_INSC_IfEEEEiNS9_4plusIvEEiEEDaPvRmT3_T4_T5_mT6_P12ihipStream_tbENKUlT_T0_E_clISt17integral_constantIbLb1EESV_IbLb0EEEEDaSR_SS_EUlSR_E0_NS1_11comp_targetILNS1_3genE9ELNS1_11target_archE1100ELNS1_3gpuE3ELNS1_3repE0EEENS1_30default_config_static_selectorELNS0_4arch9wavefront6targetE1EEEvT1_.kd
    .uniform_work_group_size: 1
    .uses_dynamic_stack: false
    .vgpr_count:     0
    .vgpr_spill_count: 0
    .wavefront_size: 64
  - .agpr_count:     0
    .args:
      - .offset:         0
        .size:           32
        .value_kind:     by_value
    .group_segment_fixed_size: 0
    .kernarg_segment_align: 8
    .kernarg_segment_size: 32
    .language:       OpenCL C
    .language_version:
      - 2
      - 0
    .max_flat_workgroup_size: 64
    .name:           _ZN7rocprim17ROCPRIM_400000_NS6detail17trampoline_kernelINS0_14default_configENS1_20scan_config_selectorIiEEZZNS1_9scan_implILNS1_25lookback_scan_determinismE0ELb1ELb1ES3_N6thrust23THRUST_200600_302600_NS6detail15normal_iteratorINS9_10device_ptrIjEEEENSB_INSC_IfEEEEiNS9_4plusIvEEiEEDaPvRmT3_T4_T5_mT6_P12ihipStream_tbENKUlT_T0_E_clISt17integral_constantIbLb1EESV_IbLb0EEEEDaSR_SS_EUlSR_E0_NS1_11comp_targetILNS1_3genE8ELNS1_11target_archE1030ELNS1_3gpuE2ELNS1_3repE0EEENS1_30default_config_static_selectorELNS0_4arch9wavefront6targetE1EEEvT1_
    .private_segment_fixed_size: 0
    .sgpr_count:     4
    .sgpr_spill_count: 0
    .symbol:         _ZN7rocprim17ROCPRIM_400000_NS6detail17trampoline_kernelINS0_14default_configENS1_20scan_config_selectorIiEEZZNS1_9scan_implILNS1_25lookback_scan_determinismE0ELb1ELb1ES3_N6thrust23THRUST_200600_302600_NS6detail15normal_iteratorINS9_10device_ptrIjEEEENSB_INSC_IfEEEEiNS9_4plusIvEEiEEDaPvRmT3_T4_T5_mT6_P12ihipStream_tbENKUlT_T0_E_clISt17integral_constantIbLb1EESV_IbLb0EEEEDaSR_SS_EUlSR_E0_NS1_11comp_targetILNS1_3genE8ELNS1_11target_archE1030ELNS1_3gpuE2ELNS1_3repE0EEENS1_30default_config_static_selectorELNS0_4arch9wavefront6targetE1EEEvT1_.kd
    .uniform_work_group_size: 1
    .uses_dynamic_stack: false
    .vgpr_count:     0
    .vgpr_spill_count: 0
    .wavefront_size: 64
  - .agpr_count:     0
    .args:
      - .offset:         0
        .size:           96
        .value_kind:     by_value
    .group_segment_fixed_size: 0
    .kernarg_segment_align: 8
    .kernarg_segment_size: 96
    .language:       OpenCL C
    .language_version:
      - 2
      - 0
    .max_flat_workgroup_size: 256
    .name:           _ZN7rocprim17ROCPRIM_400000_NS6detail17trampoline_kernelINS0_14default_configENS1_20scan_config_selectorIiEEZZNS1_9scan_implILNS1_25lookback_scan_determinismE0ELb1ELb1ES3_N6thrust23THRUST_200600_302600_NS6detail15normal_iteratorINS9_10device_ptrIjEEEENSB_INSC_IfEEEEiNS9_4plusIvEEiEEDaPvRmT3_T4_T5_mT6_P12ihipStream_tbENKUlT_T0_E_clISt17integral_constantIbLb0EESV_IbLb1EEEEDaSR_SS_EUlSR_E_NS1_11comp_targetILNS1_3genE0ELNS1_11target_archE4294967295ELNS1_3gpuE0ELNS1_3repE0EEENS1_30default_config_static_selectorELNS0_4arch9wavefront6targetE1EEEvT1_
    .private_segment_fixed_size: 0
    .sgpr_count:     4
    .sgpr_spill_count: 0
    .symbol:         _ZN7rocprim17ROCPRIM_400000_NS6detail17trampoline_kernelINS0_14default_configENS1_20scan_config_selectorIiEEZZNS1_9scan_implILNS1_25lookback_scan_determinismE0ELb1ELb1ES3_N6thrust23THRUST_200600_302600_NS6detail15normal_iteratorINS9_10device_ptrIjEEEENSB_INSC_IfEEEEiNS9_4plusIvEEiEEDaPvRmT3_T4_T5_mT6_P12ihipStream_tbENKUlT_T0_E_clISt17integral_constantIbLb0EESV_IbLb1EEEEDaSR_SS_EUlSR_E_NS1_11comp_targetILNS1_3genE0ELNS1_11target_archE4294967295ELNS1_3gpuE0ELNS1_3repE0EEENS1_30default_config_static_selectorELNS0_4arch9wavefront6targetE1EEEvT1_.kd
    .uniform_work_group_size: 1
    .uses_dynamic_stack: false
    .vgpr_count:     0
    .vgpr_spill_count: 0
    .wavefront_size: 64
  - .agpr_count:     0
    .args:
      - .offset:         0
        .size:           96
        .value_kind:     by_value
    .group_segment_fixed_size: 0
    .kernarg_segment_align: 8
    .kernarg_segment_size: 96
    .language:       OpenCL C
    .language_version:
      - 2
      - 0
    .max_flat_workgroup_size: 256
    .name:           _ZN7rocprim17ROCPRIM_400000_NS6detail17trampoline_kernelINS0_14default_configENS1_20scan_config_selectorIiEEZZNS1_9scan_implILNS1_25lookback_scan_determinismE0ELb1ELb1ES3_N6thrust23THRUST_200600_302600_NS6detail15normal_iteratorINS9_10device_ptrIjEEEENSB_INSC_IfEEEEiNS9_4plusIvEEiEEDaPvRmT3_T4_T5_mT6_P12ihipStream_tbENKUlT_T0_E_clISt17integral_constantIbLb0EESV_IbLb1EEEEDaSR_SS_EUlSR_E_NS1_11comp_targetILNS1_3genE5ELNS1_11target_archE942ELNS1_3gpuE9ELNS1_3repE0EEENS1_30default_config_static_selectorELNS0_4arch9wavefront6targetE1EEEvT1_
    .private_segment_fixed_size: 0
    .sgpr_count:     4
    .sgpr_spill_count: 0
    .symbol:         _ZN7rocprim17ROCPRIM_400000_NS6detail17trampoline_kernelINS0_14default_configENS1_20scan_config_selectorIiEEZZNS1_9scan_implILNS1_25lookback_scan_determinismE0ELb1ELb1ES3_N6thrust23THRUST_200600_302600_NS6detail15normal_iteratorINS9_10device_ptrIjEEEENSB_INSC_IfEEEEiNS9_4plusIvEEiEEDaPvRmT3_T4_T5_mT6_P12ihipStream_tbENKUlT_T0_E_clISt17integral_constantIbLb0EESV_IbLb1EEEEDaSR_SS_EUlSR_E_NS1_11comp_targetILNS1_3genE5ELNS1_11target_archE942ELNS1_3gpuE9ELNS1_3repE0EEENS1_30default_config_static_selectorELNS0_4arch9wavefront6targetE1EEEvT1_.kd
    .uniform_work_group_size: 1
    .uses_dynamic_stack: false
    .vgpr_count:     0
    .vgpr_spill_count: 0
    .wavefront_size: 64
  - .agpr_count:     0
    .args:
      - .offset:         0
        .size:           96
        .value_kind:     by_value
    .group_segment_fixed_size: 5120
    .kernarg_segment_align: 8
    .kernarg_segment_size: 96
    .language:       OpenCL C
    .language_version:
      - 2
      - 0
    .max_flat_workgroup_size: 128
    .name:           _ZN7rocprim17ROCPRIM_400000_NS6detail17trampoline_kernelINS0_14default_configENS1_20scan_config_selectorIiEEZZNS1_9scan_implILNS1_25lookback_scan_determinismE0ELb1ELb1ES3_N6thrust23THRUST_200600_302600_NS6detail15normal_iteratorINS9_10device_ptrIjEEEENSB_INSC_IfEEEEiNS9_4plusIvEEiEEDaPvRmT3_T4_T5_mT6_P12ihipStream_tbENKUlT_T0_E_clISt17integral_constantIbLb0EESV_IbLb1EEEEDaSR_SS_EUlSR_E_NS1_11comp_targetILNS1_3genE4ELNS1_11target_archE910ELNS1_3gpuE8ELNS1_3repE0EEENS1_30default_config_static_selectorELNS0_4arch9wavefront6targetE1EEEvT1_
    .private_segment_fixed_size: 0
    .sgpr_count:     44
    .sgpr_spill_count: 0
    .symbol:         _ZN7rocprim17ROCPRIM_400000_NS6detail17trampoline_kernelINS0_14default_configENS1_20scan_config_selectorIiEEZZNS1_9scan_implILNS1_25lookback_scan_determinismE0ELb1ELb1ES3_N6thrust23THRUST_200600_302600_NS6detail15normal_iteratorINS9_10device_ptrIjEEEENSB_INSC_IfEEEEiNS9_4plusIvEEiEEDaPvRmT3_T4_T5_mT6_P12ihipStream_tbENKUlT_T0_E_clISt17integral_constantIbLb0EESV_IbLb1EEEEDaSR_SS_EUlSR_E_NS1_11comp_targetILNS1_3genE4ELNS1_11target_archE910ELNS1_3gpuE8ELNS1_3repE0EEENS1_30default_config_static_selectorELNS0_4arch9wavefront6targetE1EEEvT1_.kd
    .uniform_work_group_size: 1
    .uses_dynamic_stack: false
    .vgpr_count:     41
    .vgpr_spill_count: 0
    .wavefront_size: 64
  - .agpr_count:     0
    .args:
      - .offset:         0
        .size:           96
        .value_kind:     by_value
    .group_segment_fixed_size: 0
    .kernarg_segment_align: 8
    .kernarg_segment_size: 96
    .language:       OpenCL C
    .language_version:
      - 2
      - 0
    .max_flat_workgroup_size: 256
    .name:           _ZN7rocprim17ROCPRIM_400000_NS6detail17trampoline_kernelINS0_14default_configENS1_20scan_config_selectorIiEEZZNS1_9scan_implILNS1_25lookback_scan_determinismE0ELb1ELb1ES3_N6thrust23THRUST_200600_302600_NS6detail15normal_iteratorINS9_10device_ptrIjEEEENSB_INSC_IfEEEEiNS9_4plusIvEEiEEDaPvRmT3_T4_T5_mT6_P12ihipStream_tbENKUlT_T0_E_clISt17integral_constantIbLb0EESV_IbLb1EEEEDaSR_SS_EUlSR_E_NS1_11comp_targetILNS1_3genE3ELNS1_11target_archE908ELNS1_3gpuE7ELNS1_3repE0EEENS1_30default_config_static_selectorELNS0_4arch9wavefront6targetE1EEEvT1_
    .private_segment_fixed_size: 0
    .sgpr_count:     4
    .sgpr_spill_count: 0
    .symbol:         _ZN7rocprim17ROCPRIM_400000_NS6detail17trampoline_kernelINS0_14default_configENS1_20scan_config_selectorIiEEZZNS1_9scan_implILNS1_25lookback_scan_determinismE0ELb1ELb1ES3_N6thrust23THRUST_200600_302600_NS6detail15normal_iteratorINS9_10device_ptrIjEEEENSB_INSC_IfEEEEiNS9_4plusIvEEiEEDaPvRmT3_T4_T5_mT6_P12ihipStream_tbENKUlT_T0_E_clISt17integral_constantIbLb0EESV_IbLb1EEEEDaSR_SS_EUlSR_E_NS1_11comp_targetILNS1_3genE3ELNS1_11target_archE908ELNS1_3gpuE7ELNS1_3repE0EEENS1_30default_config_static_selectorELNS0_4arch9wavefront6targetE1EEEvT1_.kd
    .uniform_work_group_size: 1
    .uses_dynamic_stack: false
    .vgpr_count:     0
    .vgpr_spill_count: 0
    .wavefront_size: 64
  - .agpr_count:     0
    .args:
      - .offset:         0
        .size:           96
        .value_kind:     by_value
    .group_segment_fixed_size: 0
    .kernarg_segment_align: 8
    .kernarg_segment_size: 96
    .language:       OpenCL C
    .language_version:
      - 2
      - 0
    .max_flat_workgroup_size: 256
    .name:           _ZN7rocprim17ROCPRIM_400000_NS6detail17trampoline_kernelINS0_14default_configENS1_20scan_config_selectorIiEEZZNS1_9scan_implILNS1_25lookback_scan_determinismE0ELb1ELb1ES3_N6thrust23THRUST_200600_302600_NS6detail15normal_iteratorINS9_10device_ptrIjEEEENSB_INSC_IfEEEEiNS9_4plusIvEEiEEDaPvRmT3_T4_T5_mT6_P12ihipStream_tbENKUlT_T0_E_clISt17integral_constantIbLb0EESV_IbLb1EEEEDaSR_SS_EUlSR_E_NS1_11comp_targetILNS1_3genE2ELNS1_11target_archE906ELNS1_3gpuE6ELNS1_3repE0EEENS1_30default_config_static_selectorELNS0_4arch9wavefront6targetE1EEEvT1_
    .private_segment_fixed_size: 0
    .sgpr_count:     4
    .sgpr_spill_count: 0
    .symbol:         _ZN7rocprim17ROCPRIM_400000_NS6detail17trampoline_kernelINS0_14default_configENS1_20scan_config_selectorIiEEZZNS1_9scan_implILNS1_25lookback_scan_determinismE0ELb1ELb1ES3_N6thrust23THRUST_200600_302600_NS6detail15normal_iteratorINS9_10device_ptrIjEEEENSB_INSC_IfEEEEiNS9_4plusIvEEiEEDaPvRmT3_T4_T5_mT6_P12ihipStream_tbENKUlT_T0_E_clISt17integral_constantIbLb0EESV_IbLb1EEEEDaSR_SS_EUlSR_E_NS1_11comp_targetILNS1_3genE2ELNS1_11target_archE906ELNS1_3gpuE6ELNS1_3repE0EEENS1_30default_config_static_selectorELNS0_4arch9wavefront6targetE1EEEvT1_.kd
    .uniform_work_group_size: 1
    .uses_dynamic_stack: false
    .vgpr_count:     0
    .vgpr_spill_count: 0
    .wavefront_size: 64
  - .agpr_count:     0
    .args:
      - .offset:         0
        .size:           96
        .value_kind:     by_value
    .group_segment_fixed_size: 0
    .kernarg_segment_align: 8
    .kernarg_segment_size: 96
    .language:       OpenCL C
    .language_version:
      - 2
      - 0
    .max_flat_workgroup_size: 256
    .name:           _ZN7rocprim17ROCPRIM_400000_NS6detail17trampoline_kernelINS0_14default_configENS1_20scan_config_selectorIiEEZZNS1_9scan_implILNS1_25lookback_scan_determinismE0ELb1ELb1ES3_N6thrust23THRUST_200600_302600_NS6detail15normal_iteratorINS9_10device_ptrIjEEEENSB_INSC_IfEEEEiNS9_4plusIvEEiEEDaPvRmT3_T4_T5_mT6_P12ihipStream_tbENKUlT_T0_E_clISt17integral_constantIbLb0EESV_IbLb1EEEEDaSR_SS_EUlSR_E_NS1_11comp_targetILNS1_3genE10ELNS1_11target_archE1201ELNS1_3gpuE5ELNS1_3repE0EEENS1_30default_config_static_selectorELNS0_4arch9wavefront6targetE1EEEvT1_
    .private_segment_fixed_size: 0
    .sgpr_count:     4
    .sgpr_spill_count: 0
    .symbol:         _ZN7rocprim17ROCPRIM_400000_NS6detail17trampoline_kernelINS0_14default_configENS1_20scan_config_selectorIiEEZZNS1_9scan_implILNS1_25lookback_scan_determinismE0ELb1ELb1ES3_N6thrust23THRUST_200600_302600_NS6detail15normal_iteratorINS9_10device_ptrIjEEEENSB_INSC_IfEEEEiNS9_4plusIvEEiEEDaPvRmT3_T4_T5_mT6_P12ihipStream_tbENKUlT_T0_E_clISt17integral_constantIbLb0EESV_IbLb1EEEEDaSR_SS_EUlSR_E_NS1_11comp_targetILNS1_3genE10ELNS1_11target_archE1201ELNS1_3gpuE5ELNS1_3repE0EEENS1_30default_config_static_selectorELNS0_4arch9wavefront6targetE1EEEvT1_.kd
    .uniform_work_group_size: 1
    .uses_dynamic_stack: false
    .vgpr_count:     0
    .vgpr_spill_count: 0
    .wavefront_size: 64
  - .agpr_count:     0
    .args:
      - .offset:         0
        .size:           96
        .value_kind:     by_value
    .group_segment_fixed_size: 0
    .kernarg_segment_align: 8
    .kernarg_segment_size: 96
    .language:       OpenCL C
    .language_version:
      - 2
      - 0
    .max_flat_workgroup_size: 256
    .name:           _ZN7rocprim17ROCPRIM_400000_NS6detail17trampoline_kernelINS0_14default_configENS1_20scan_config_selectorIiEEZZNS1_9scan_implILNS1_25lookback_scan_determinismE0ELb1ELb1ES3_N6thrust23THRUST_200600_302600_NS6detail15normal_iteratorINS9_10device_ptrIjEEEENSB_INSC_IfEEEEiNS9_4plusIvEEiEEDaPvRmT3_T4_T5_mT6_P12ihipStream_tbENKUlT_T0_E_clISt17integral_constantIbLb0EESV_IbLb1EEEEDaSR_SS_EUlSR_E_NS1_11comp_targetILNS1_3genE10ELNS1_11target_archE1200ELNS1_3gpuE4ELNS1_3repE0EEENS1_30default_config_static_selectorELNS0_4arch9wavefront6targetE1EEEvT1_
    .private_segment_fixed_size: 0
    .sgpr_count:     4
    .sgpr_spill_count: 0
    .symbol:         _ZN7rocprim17ROCPRIM_400000_NS6detail17trampoline_kernelINS0_14default_configENS1_20scan_config_selectorIiEEZZNS1_9scan_implILNS1_25lookback_scan_determinismE0ELb1ELb1ES3_N6thrust23THRUST_200600_302600_NS6detail15normal_iteratorINS9_10device_ptrIjEEEENSB_INSC_IfEEEEiNS9_4plusIvEEiEEDaPvRmT3_T4_T5_mT6_P12ihipStream_tbENKUlT_T0_E_clISt17integral_constantIbLb0EESV_IbLb1EEEEDaSR_SS_EUlSR_E_NS1_11comp_targetILNS1_3genE10ELNS1_11target_archE1200ELNS1_3gpuE4ELNS1_3repE0EEENS1_30default_config_static_selectorELNS0_4arch9wavefront6targetE1EEEvT1_.kd
    .uniform_work_group_size: 1
    .uses_dynamic_stack: false
    .vgpr_count:     0
    .vgpr_spill_count: 0
    .wavefront_size: 64
  - .agpr_count:     0
    .args:
      - .offset:         0
        .size:           96
        .value_kind:     by_value
    .group_segment_fixed_size: 0
    .kernarg_segment_align: 8
    .kernarg_segment_size: 96
    .language:       OpenCL C
    .language_version:
      - 2
      - 0
    .max_flat_workgroup_size: 256
    .name:           _ZN7rocprim17ROCPRIM_400000_NS6detail17trampoline_kernelINS0_14default_configENS1_20scan_config_selectorIiEEZZNS1_9scan_implILNS1_25lookback_scan_determinismE0ELb1ELb1ES3_N6thrust23THRUST_200600_302600_NS6detail15normal_iteratorINS9_10device_ptrIjEEEENSB_INSC_IfEEEEiNS9_4plusIvEEiEEDaPvRmT3_T4_T5_mT6_P12ihipStream_tbENKUlT_T0_E_clISt17integral_constantIbLb0EESV_IbLb1EEEEDaSR_SS_EUlSR_E_NS1_11comp_targetILNS1_3genE9ELNS1_11target_archE1100ELNS1_3gpuE3ELNS1_3repE0EEENS1_30default_config_static_selectorELNS0_4arch9wavefront6targetE1EEEvT1_
    .private_segment_fixed_size: 0
    .sgpr_count:     4
    .sgpr_spill_count: 0
    .symbol:         _ZN7rocprim17ROCPRIM_400000_NS6detail17trampoline_kernelINS0_14default_configENS1_20scan_config_selectorIiEEZZNS1_9scan_implILNS1_25lookback_scan_determinismE0ELb1ELb1ES3_N6thrust23THRUST_200600_302600_NS6detail15normal_iteratorINS9_10device_ptrIjEEEENSB_INSC_IfEEEEiNS9_4plusIvEEiEEDaPvRmT3_T4_T5_mT6_P12ihipStream_tbENKUlT_T0_E_clISt17integral_constantIbLb0EESV_IbLb1EEEEDaSR_SS_EUlSR_E_NS1_11comp_targetILNS1_3genE9ELNS1_11target_archE1100ELNS1_3gpuE3ELNS1_3repE0EEENS1_30default_config_static_selectorELNS0_4arch9wavefront6targetE1EEEvT1_.kd
    .uniform_work_group_size: 1
    .uses_dynamic_stack: false
    .vgpr_count:     0
    .vgpr_spill_count: 0
    .wavefront_size: 64
  - .agpr_count:     0
    .args:
      - .offset:         0
        .size:           96
        .value_kind:     by_value
    .group_segment_fixed_size: 0
    .kernarg_segment_align: 8
    .kernarg_segment_size: 96
    .language:       OpenCL C
    .language_version:
      - 2
      - 0
    .max_flat_workgroup_size: 64
    .name:           _ZN7rocprim17ROCPRIM_400000_NS6detail17trampoline_kernelINS0_14default_configENS1_20scan_config_selectorIiEEZZNS1_9scan_implILNS1_25lookback_scan_determinismE0ELb1ELb1ES3_N6thrust23THRUST_200600_302600_NS6detail15normal_iteratorINS9_10device_ptrIjEEEENSB_INSC_IfEEEEiNS9_4plusIvEEiEEDaPvRmT3_T4_T5_mT6_P12ihipStream_tbENKUlT_T0_E_clISt17integral_constantIbLb0EESV_IbLb1EEEEDaSR_SS_EUlSR_E_NS1_11comp_targetILNS1_3genE8ELNS1_11target_archE1030ELNS1_3gpuE2ELNS1_3repE0EEENS1_30default_config_static_selectorELNS0_4arch9wavefront6targetE1EEEvT1_
    .private_segment_fixed_size: 0
    .sgpr_count:     4
    .sgpr_spill_count: 0
    .symbol:         _ZN7rocprim17ROCPRIM_400000_NS6detail17trampoline_kernelINS0_14default_configENS1_20scan_config_selectorIiEEZZNS1_9scan_implILNS1_25lookback_scan_determinismE0ELb1ELb1ES3_N6thrust23THRUST_200600_302600_NS6detail15normal_iteratorINS9_10device_ptrIjEEEENSB_INSC_IfEEEEiNS9_4plusIvEEiEEDaPvRmT3_T4_T5_mT6_P12ihipStream_tbENKUlT_T0_E_clISt17integral_constantIbLb0EESV_IbLb1EEEEDaSR_SS_EUlSR_E_NS1_11comp_targetILNS1_3genE8ELNS1_11target_archE1030ELNS1_3gpuE2ELNS1_3repE0EEENS1_30default_config_static_selectorELNS0_4arch9wavefront6targetE1EEEvT1_.kd
    .uniform_work_group_size: 1
    .uses_dynamic_stack: false
    .vgpr_count:     0
    .vgpr_spill_count: 0
    .wavefront_size: 64
  - .agpr_count:     0
    .args:
      - .offset:         0
        .size:           32
        .value_kind:     by_value
    .group_segment_fixed_size: 0
    .kernarg_segment_align: 8
    .kernarg_segment_size: 32
    .language:       OpenCL C
    .language_version:
      - 2
      - 0
    .max_flat_workgroup_size: 256
    .name:           _ZN7rocprim17ROCPRIM_400000_NS6detail17trampoline_kernelINS0_14default_configENS1_20scan_config_selectorIiEEZZNS1_9scan_implILNS1_25lookback_scan_determinismE0ELb1ELb1ES3_N6thrust23THRUST_200600_302600_NS6detail15normal_iteratorINS9_10device_ptrIjEEEENSB_INSC_IfEEEEiNS9_4plusIvEEiEEDaPvRmT3_T4_T5_mT6_P12ihipStream_tbENKUlT_T0_E_clISt17integral_constantIbLb0EESV_IbLb1EEEEDaSR_SS_EUlSR_E0_NS1_11comp_targetILNS1_3genE0ELNS1_11target_archE4294967295ELNS1_3gpuE0ELNS1_3repE0EEENS1_30default_config_static_selectorELNS0_4arch9wavefront6targetE1EEEvT1_
    .private_segment_fixed_size: 0
    .sgpr_count:     4
    .sgpr_spill_count: 0
    .symbol:         _ZN7rocprim17ROCPRIM_400000_NS6detail17trampoline_kernelINS0_14default_configENS1_20scan_config_selectorIiEEZZNS1_9scan_implILNS1_25lookback_scan_determinismE0ELb1ELb1ES3_N6thrust23THRUST_200600_302600_NS6detail15normal_iteratorINS9_10device_ptrIjEEEENSB_INSC_IfEEEEiNS9_4plusIvEEiEEDaPvRmT3_T4_T5_mT6_P12ihipStream_tbENKUlT_T0_E_clISt17integral_constantIbLb0EESV_IbLb1EEEEDaSR_SS_EUlSR_E0_NS1_11comp_targetILNS1_3genE0ELNS1_11target_archE4294967295ELNS1_3gpuE0ELNS1_3repE0EEENS1_30default_config_static_selectorELNS0_4arch9wavefront6targetE1EEEvT1_.kd
    .uniform_work_group_size: 1
    .uses_dynamic_stack: false
    .vgpr_count:     0
    .vgpr_spill_count: 0
    .wavefront_size: 64
  - .agpr_count:     0
    .args:
      - .offset:         0
        .size:           32
        .value_kind:     by_value
    .group_segment_fixed_size: 0
    .kernarg_segment_align: 8
    .kernarg_segment_size: 32
    .language:       OpenCL C
    .language_version:
      - 2
      - 0
    .max_flat_workgroup_size: 256
    .name:           _ZN7rocprim17ROCPRIM_400000_NS6detail17trampoline_kernelINS0_14default_configENS1_20scan_config_selectorIiEEZZNS1_9scan_implILNS1_25lookback_scan_determinismE0ELb1ELb1ES3_N6thrust23THRUST_200600_302600_NS6detail15normal_iteratorINS9_10device_ptrIjEEEENSB_INSC_IfEEEEiNS9_4plusIvEEiEEDaPvRmT3_T4_T5_mT6_P12ihipStream_tbENKUlT_T0_E_clISt17integral_constantIbLb0EESV_IbLb1EEEEDaSR_SS_EUlSR_E0_NS1_11comp_targetILNS1_3genE5ELNS1_11target_archE942ELNS1_3gpuE9ELNS1_3repE0EEENS1_30default_config_static_selectorELNS0_4arch9wavefront6targetE1EEEvT1_
    .private_segment_fixed_size: 0
    .sgpr_count:     4
    .sgpr_spill_count: 0
    .symbol:         _ZN7rocprim17ROCPRIM_400000_NS6detail17trampoline_kernelINS0_14default_configENS1_20scan_config_selectorIiEEZZNS1_9scan_implILNS1_25lookback_scan_determinismE0ELb1ELb1ES3_N6thrust23THRUST_200600_302600_NS6detail15normal_iteratorINS9_10device_ptrIjEEEENSB_INSC_IfEEEEiNS9_4plusIvEEiEEDaPvRmT3_T4_T5_mT6_P12ihipStream_tbENKUlT_T0_E_clISt17integral_constantIbLb0EESV_IbLb1EEEEDaSR_SS_EUlSR_E0_NS1_11comp_targetILNS1_3genE5ELNS1_11target_archE942ELNS1_3gpuE9ELNS1_3repE0EEENS1_30default_config_static_selectorELNS0_4arch9wavefront6targetE1EEEvT1_.kd
    .uniform_work_group_size: 1
    .uses_dynamic_stack: false
    .vgpr_count:     0
    .vgpr_spill_count: 0
    .wavefront_size: 64
  - .agpr_count:     0
    .args:
      - .offset:         0
        .size:           32
        .value_kind:     by_value
    .group_segment_fixed_size: 5120
    .kernarg_segment_align: 8
    .kernarg_segment_size: 32
    .language:       OpenCL C
    .language_version:
      - 2
      - 0
    .max_flat_workgroup_size: 128
    .name:           _ZN7rocprim17ROCPRIM_400000_NS6detail17trampoline_kernelINS0_14default_configENS1_20scan_config_selectorIiEEZZNS1_9scan_implILNS1_25lookback_scan_determinismE0ELb1ELb1ES3_N6thrust23THRUST_200600_302600_NS6detail15normal_iteratorINS9_10device_ptrIjEEEENSB_INSC_IfEEEEiNS9_4plusIvEEiEEDaPvRmT3_T4_T5_mT6_P12ihipStream_tbENKUlT_T0_E_clISt17integral_constantIbLb0EESV_IbLb1EEEEDaSR_SS_EUlSR_E0_NS1_11comp_targetILNS1_3genE4ELNS1_11target_archE910ELNS1_3gpuE8ELNS1_3repE0EEENS1_30default_config_static_selectorELNS0_4arch9wavefront6targetE1EEEvT1_
    .private_segment_fixed_size: 0
    .sgpr_count:     29
    .sgpr_spill_count: 0
    .symbol:         _ZN7rocprim17ROCPRIM_400000_NS6detail17trampoline_kernelINS0_14default_configENS1_20scan_config_selectorIiEEZZNS1_9scan_implILNS1_25lookback_scan_determinismE0ELb1ELb1ES3_N6thrust23THRUST_200600_302600_NS6detail15normal_iteratorINS9_10device_ptrIjEEEENSB_INSC_IfEEEEiNS9_4plusIvEEiEEDaPvRmT3_T4_T5_mT6_P12ihipStream_tbENKUlT_T0_E_clISt17integral_constantIbLb0EESV_IbLb1EEEEDaSR_SS_EUlSR_E0_NS1_11comp_targetILNS1_3genE4ELNS1_11target_archE910ELNS1_3gpuE8ELNS1_3repE0EEENS1_30default_config_static_selectorELNS0_4arch9wavefront6targetE1EEEvT1_.kd
    .uniform_work_group_size: 1
    .uses_dynamic_stack: false
    .vgpr_count:     18
    .vgpr_spill_count: 0
    .wavefront_size: 64
  - .agpr_count:     0
    .args:
      - .offset:         0
        .size:           32
        .value_kind:     by_value
    .group_segment_fixed_size: 0
    .kernarg_segment_align: 8
    .kernarg_segment_size: 32
    .language:       OpenCL C
    .language_version:
      - 2
      - 0
    .max_flat_workgroup_size: 256
    .name:           _ZN7rocprim17ROCPRIM_400000_NS6detail17trampoline_kernelINS0_14default_configENS1_20scan_config_selectorIiEEZZNS1_9scan_implILNS1_25lookback_scan_determinismE0ELb1ELb1ES3_N6thrust23THRUST_200600_302600_NS6detail15normal_iteratorINS9_10device_ptrIjEEEENSB_INSC_IfEEEEiNS9_4plusIvEEiEEDaPvRmT3_T4_T5_mT6_P12ihipStream_tbENKUlT_T0_E_clISt17integral_constantIbLb0EESV_IbLb1EEEEDaSR_SS_EUlSR_E0_NS1_11comp_targetILNS1_3genE3ELNS1_11target_archE908ELNS1_3gpuE7ELNS1_3repE0EEENS1_30default_config_static_selectorELNS0_4arch9wavefront6targetE1EEEvT1_
    .private_segment_fixed_size: 0
    .sgpr_count:     4
    .sgpr_spill_count: 0
    .symbol:         _ZN7rocprim17ROCPRIM_400000_NS6detail17trampoline_kernelINS0_14default_configENS1_20scan_config_selectorIiEEZZNS1_9scan_implILNS1_25lookback_scan_determinismE0ELb1ELb1ES3_N6thrust23THRUST_200600_302600_NS6detail15normal_iteratorINS9_10device_ptrIjEEEENSB_INSC_IfEEEEiNS9_4plusIvEEiEEDaPvRmT3_T4_T5_mT6_P12ihipStream_tbENKUlT_T0_E_clISt17integral_constantIbLb0EESV_IbLb1EEEEDaSR_SS_EUlSR_E0_NS1_11comp_targetILNS1_3genE3ELNS1_11target_archE908ELNS1_3gpuE7ELNS1_3repE0EEENS1_30default_config_static_selectorELNS0_4arch9wavefront6targetE1EEEvT1_.kd
    .uniform_work_group_size: 1
    .uses_dynamic_stack: false
    .vgpr_count:     0
    .vgpr_spill_count: 0
    .wavefront_size: 64
  - .agpr_count:     0
    .args:
      - .offset:         0
        .size:           32
        .value_kind:     by_value
    .group_segment_fixed_size: 0
    .kernarg_segment_align: 8
    .kernarg_segment_size: 32
    .language:       OpenCL C
    .language_version:
      - 2
      - 0
    .max_flat_workgroup_size: 256
    .name:           _ZN7rocprim17ROCPRIM_400000_NS6detail17trampoline_kernelINS0_14default_configENS1_20scan_config_selectorIiEEZZNS1_9scan_implILNS1_25lookback_scan_determinismE0ELb1ELb1ES3_N6thrust23THRUST_200600_302600_NS6detail15normal_iteratorINS9_10device_ptrIjEEEENSB_INSC_IfEEEEiNS9_4plusIvEEiEEDaPvRmT3_T4_T5_mT6_P12ihipStream_tbENKUlT_T0_E_clISt17integral_constantIbLb0EESV_IbLb1EEEEDaSR_SS_EUlSR_E0_NS1_11comp_targetILNS1_3genE2ELNS1_11target_archE906ELNS1_3gpuE6ELNS1_3repE0EEENS1_30default_config_static_selectorELNS0_4arch9wavefront6targetE1EEEvT1_
    .private_segment_fixed_size: 0
    .sgpr_count:     4
    .sgpr_spill_count: 0
    .symbol:         _ZN7rocprim17ROCPRIM_400000_NS6detail17trampoline_kernelINS0_14default_configENS1_20scan_config_selectorIiEEZZNS1_9scan_implILNS1_25lookback_scan_determinismE0ELb1ELb1ES3_N6thrust23THRUST_200600_302600_NS6detail15normal_iteratorINS9_10device_ptrIjEEEENSB_INSC_IfEEEEiNS9_4plusIvEEiEEDaPvRmT3_T4_T5_mT6_P12ihipStream_tbENKUlT_T0_E_clISt17integral_constantIbLb0EESV_IbLb1EEEEDaSR_SS_EUlSR_E0_NS1_11comp_targetILNS1_3genE2ELNS1_11target_archE906ELNS1_3gpuE6ELNS1_3repE0EEENS1_30default_config_static_selectorELNS0_4arch9wavefront6targetE1EEEvT1_.kd
    .uniform_work_group_size: 1
    .uses_dynamic_stack: false
    .vgpr_count:     0
    .vgpr_spill_count: 0
    .wavefront_size: 64
  - .agpr_count:     0
    .args:
      - .offset:         0
        .size:           32
        .value_kind:     by_value
    .group_segment_fixed_size: 0
    .kernarg_segment_align: 8
    .kernarg_segment_size: 32
    .language:       OpenCL C
    .language_version:
      - 2
      - 0
    .max_flat_workgroup_size: 256
    .name:           _ZN7rocprim17ROCPRIM_400000_NS6detail17trampoline_kernelINS0_14default_configENS1_20scan_config_selectorIiEEZZNS1_9scan_implILNS1_25lookback_scan_determinismE0ELb1ELb1ES3_N6thrust23THRUST_200600_302600_NS6detail15normal_iteratorINS9_10device_ptrIjEEEENSB_INSC_IfEEEEiNS9_4plusIvEEiEEDaPvRmT3_T4_T5_mT6_P12ihipStream_tbENKUlT_T0_E_clISt17integral_constantIbLb0EESV_IbLb1EEEEDaSR_SS_EUlSR_E0_NS1_11comp_targetILNS1_3genE10ELNS1_11target_archE1201ELNS1_3gpuE5ELNS1_3repE0EEENS1_30default_config_static_selectorELNS0_4arch9wavefront6targetE1EEEvT1_
    .private_segment_fixed_size: 0
    .sgpr_count:     4
    .sgpr_spill_count: 0
    .symbol:         _ZN7rocprim17ROCPRIM_400000_NS6detail17trampoline_kernelINS0_14default_configENS1_20scan_config_selectorIiEEZZNS1_9scan_implILNS1_25lookback_scan_determinismE0ELb1ELb1ES3_N6thrust23THRUST_200600_302600_NS6detail15normal_iteratorINS9_10device_ptrIjEEEENSB_INSC_IfEEEEiNS9_4plusIvEEiEEDaPvRmT3_T4_T5_mT6_P12ihipStream_tbENKUlT_T0_E_clISt17integral_constantIbLb0EESV_IbLb1EEEEDaSR_SS_EUlSR_E0_NS1_11comp_targetILNS1_3genE10ELNS1_11target_archE1201ELNS1_3gpuE5ELNS1_3repE0EEENS1_30default_config_static_selectorELNS0_4arch9wavefront6targetE1EEEvT1_.kd
    .uniform_work_group_size: 1
    .uses_dynamic_stack: false
    .vgpr_count:     0
    .vgpr_spill_count: 0
    .wavefront_size: 64
  - .agpr_count:     0
    .args:
      - .offset:         0
        .size:           32
        .value_kind:     by_value
    .group_segment_fixed_size: 0
    .kernarg_segment_align: 8
    .kernarg_segment_size: 32
    .language:       OpenCL C
    .language_version:
      - 2
      - 0
    .max_flat_workgroup_size: 256
    .name:           _ZN7rocprim17ROCPRIM_400000_NS6detail17trampoline_kernelINS0_14default_configENS1_20scan_config_selectorIiEEZZNS1_9scan_implILNS1_25lookback_scan_determinismE0ELb1ELb1ES3_N6thrust23THRUST_200600_302600_NS6detail15normal_iteratorINS9_10device_ptrIjEEEENSB_INSC_IfEEEEiNS9_4plusIvEEiEEDaPvRmT3_T4_T5_mT6_P12ihipStream_tbENKUlT_T0_E_clISt17integral_constantIbLb0EESV_IbLb1EEEEDaSR_SS_EUlSR_E0_NS1_11comp_targetILNS1_3genE10ELNS1_11target_archE1200ELNS1_3gpuE4ELNS1_3repE0EEENS1_30default_config_static_selectorELNS0_4arch9wavefront6targetE1EEEvT1_
    .private_segment_fixed_size: 0
    .sgpr_count:     4
    .sgpr_spill_count: 0
    .symbol:         _ZN7rocprim17ROCPRIM_400000_NS6detail17trampoline_kernelINS0_14default_configENS1_20scan_config_selectorIiEEZZNS1_9scan_implILNS1_25lookback_scan_determinismE0ELb1ELb1ES3_N6thrust23THRUST_200600_302600_NS6detail15normal_iteratorINS9_10device_ptrIjEEEENSB_INSC_IfEEEEiNS9_4plusIvEEiEEDaPvRmT3_T4_T5_mT6_P12ihipStream_tbENKUlT_T0_E_clISt17integral_constantIbLb0EESV_IbLb1EEEEDaSR_SS_EUlSR_E0_NS1_11comp_targetILNS1_3genE10ELNS1_11target_archE1200ELNS1_3gpuE4ELNS1_3repE0EEENS1_30default_config_static_selectorELNS0_4arch9wavefront6targetE1EEEvT1_.kd
    .uniform_work_group_size: 1
    .uses_dynamic_stack: false
    .vgpr_count:     0
    .vgpr_spill_count: 0
    .wavefront_size: 64
  - .agpr_count:     0
    .args:
      - .offset:         0
        .size:           32
        .value_kind:     by_value
    .group_segment_fixed_size: 0
    .kernarg_segment_align: 8
    .kernarg_segment_size: 32
    .language:       OpenCL C
    .language_version:
      - 2
      - 0
    .max_flat_workgroup_size: 256
    .name:           _ZN7rocprim17ROCPRIM_400000_NS6detail17trampoline_kernelINS0_14default_configENS1_20scan_config_selectorIiEEZZNS1_9scan_implILNS1_25lookback_scan_determinismE0ELb1ELb1ES3_N6thrust23THRUST_200600_302600_NS6detail15normal_iteratorINS9_10device_ptrIjEEEENSB_INSC_IfEEEEiNS9_4plusIvEEiEEDaPvRmT3_T4_T5_mT6_P12ihipStream_tbENKUlT_T0_E_clISt17integral_constantIbLb0EESV_IbLb1EEEEDaSR_SS_EUlSR_E0_NS1_11comp_targetILNS1_3genE9ELNS1_11target_archE1100ELNS1_3gpuE3ELNS1_3repE0EEENS1_30default_config_static_selectorELNS0_4arch9wavefront6targetE1EEEvT1_
    .private_segment_fixed_size: 0
    .sgpr_count:     4
    .sgpr_spill_count: 0
    .symbol:         _ZN7rocprim17ROCPRIM_400000_NS6detail17trampoline_kernelINS0_14default_configENS1_20scan_config_selectorIiEEZZNS1_9scan_implILNS1_25lookback_scan_determinismE0ELb1ELb1ES3_N6thrust23THRUST_200600_302600_NS6detail15normal_iteratorINS9_10device_ptrIjEEEENSB_INSC_IfEEEEiNS9_4plusIvEEiEEDaPvRmT3_T4_T5_mT6_P12ihipStream_tbENKUlT_T0_E_clISt17integral_constantIbLb0EESV_IbLb1EEEEDaSR_SS_EUlSR_E0_NS1_11comp_targetILNS1_3genE9ELNS1_11target_archE1100ELNS1_3gpuE3ELNS1_3repE0EEENS1_30default_config_static_selectorELNS0_4arch9wavefront6targetE1EEEvT1_.kd
    .uniform_work_group_size: 1
    .uses_dynamic_stack: false
    .vgpr_count:     0
    .vgpr_spill_count: 0
    .wavefront_size: 64
  - .agpr_count:     0
    .args:
      - .offset:         0
        .size:           32
        .value_kind:     by_value
    .group_segment_fixed_size: 0
    .kernarg_segment_align: 8
    .kernarg_segment_size: 32
    .language:       OpenCL C
    .language_version:
      - 2
      - 0
    .max_flat_workgroup_size: 64
    .name:           _ZN7rocprim17ROCPRIM_400000_NS6detail17trampoline_kernelINS0_14default_configENS1_20scan_config_selectorIiEEZZNS1_9scan_implILNS1_25lookback_scan_determinismE0ELb1ELb1ES3_N6thrust23THRUST_200600_302600_NS6detail15normal_iteratorINS9_10device_ptrIjEEEENSB_INSC_IfEEEEiNS9_4plusIvEEiEEDaPvRmT3_T4_T5_mT6_P12ihipStream_tbENKUlT_T0_E_clISt17integral_constantIbLb0EESV_IbLb1EEEEDaSR_SS_EUlSR_E0_NS1_11comp_targetILNS1_3genE8ELNS1_11target_archE1030ELNS1_3gpuE2ELNS1_3repE0EEENS1_30default_config_static_selectorELNS0_4arch9wavefront6targetE1EEEvT1_
    .private_segment_fixed_size: 0
    .sgpr_count:     4
    .sgpr_spill_count: 0
    .symbol:         _ZN7rocprim17ROCPRIM_400000_NS6detail17trampoline_kernelINS0_14default_configENS1_20scan_config_selectorIiEEZZNS1_9scan_implILNS1_25lookback_scan_determinismE0ELb1ELb1ES3_N6thrust23THRUST_200600_302600_NS6detail15normal_iteratorINS9_10device_ptrIjEEEENSB_INSC_IfEEEEiNS9_4plusIvEEiEEDaPvRmT3_T4_T5_mT6_P12ihipStream_tbENKUlT_T0_E_clISt17integral_constantIbLb0EESV_IbLb1EEEEDaSR_SS_EUlSR_E0_NS1_11comp_targetILNS1_3genE8ELNS1_11target_archE1030ELNS1_3gpuE2ELNS1_3repE0EEENS1_30default_config_static_selectorELNS0_4arch9wavefront6targetE1EEEvT1_.kd
    .uniform_work_group_size: 1
    .uses_dynamic_stack: false
    .vgpr_count:     0
    .vgpr_spill_count: 0
    .wavefront_size: 64
  - .agpr_count:     0
    .args:
      - .offset:         0
        .size:           96
        .value_kind:     by_value
    .group_segment_fixed_size: 0
    .kernarg_segment_align: 8
    .kernarg_segment_size: 96
    .language:       OpenCL C
    .language_version:
      - 2
      - 0
    .max_flat_workgroup_size: 256
    .name:           _ZN7rocprim17ROCPRIM_400000_NS6detail17trampoline_kernelINS0_14default_configENS1_20scan_config_selectorIiEEZZNS1_9scan_implILNS1_25lookback_scan_determinismE0ELb1ELb1ES3_N6thrust23THRUST_200600_302600_NS6detail15normal_iteratorINS9_10device_ptrIjEEEENSB_INSC_IiEEEEiNS9_4plusIvEEiEEDaPvRmT3_T4_T5_mT6_P12ihipStream_tbENKUlT_T0_E_clISt17integral_constantIbLb0EESW_EEDaSR_SS_EUlSR_E_NS1_11comp_targetILNS1_3genE0ELNS1_11target_archE4294967295ELNS1_3gpuE0ELNS1_3repE0EEENS1_30default_config_static_selectorELNS0_4arch9wavefront6targetE1EEEvT1_
    .private_segment_fixed_size: 0
    .sgpr_count:     4
    .sgpr_spill_count: 0
    .symbol:         _ZN7rocprim17ROCPRIM_400000_NS6detail17trampoline_kernelINS0_14default_configENS1_20scan_config_selectorIiEEZZNS1_9scan_implILNS1_25lookback_scan_determinismE0ELb1ELb1ES3_N6thrust23THRUST_200600_302600_NS6detail15normal_iteratorINS9_10device_ptrIjEEEENSB_INSC_IiEEEEiNS9_4plusIvEEiEEDaPvRmT3_T4_T5_mT6_P12ihipStream_tbENKUlT_T0_E_clISt17integral_constantIbLb0EESW_EEDaSR_SS_EUlSR_E_NS1_11comp_targetILNS1_3genE0ELNS1_11target_archE4294967295ELNS1_3gpuE0ELNS1_3repE0EEENS1_30default_config_static_selectorELNS0_4arch9wavefront6targetE1EEEvT1_.kd
    .uniform_work_group_size: 1
    .uses_dynamic_stack: false
    .vgpr_count:     0
    .vgpr_spill_count: 0
    .wavefront_size: 64
  - .agpr_count:     0
    .args:
      - .offset:         0
        .size:           96
        .value_kind:     by_value
    .group_segment_fixed_size: 0
    .kernarg_segment_align: 8
    .kernarg_segment_size: 96
    .language:       OpenCL C
    .language_version:
      - 2
      - 0
    .max_flat_workgroup_size: 256
    .name:           _ZN7rocprim17ROCPRIM_400000_NS6detail17trampoline_kernelINS0_14default_configENS1_20scan_config_selectorIiEEZZNS1_9scan_implILNS1_25lookback_scan_determinismE0ELb1ELb1ES3_N6thrust23THRUST_200600_302600_NS6detail15normal_iteratorINS9_10device_ptrIjEEEENSB_INSC_IiEEEEiNS9_4plusIvEEiEEDaPvRmT3_T4_T5_mT6_P12ihipStream_tbENKUlT_T0_E_clISt17integral_constantIbLb0EESW_EEDaSR_SS_EUlSR_E_NS1_11comp_targetILNS1_3genE5ELNS1_11target_archE942ELNS1_3gpuE9ELNS1_3repE0EEENS1_30default_config_static_selectorELNS0_4arch9wavefront6targetE1EEEvT1_
    .private_segment_fixed_size: 0
    .sgpr_count:     4
    .sgpr_spill_count: 0
    .symbol:         _ZN7rocprim17ROCPRIM_400000_NS6detail17trampoline_kernelINS0_14default_configENS1_20scan_config_selectorIiEEZZNS1_9scan_implILNS1_25lookback_scan_determinismE0ELb1ELb1ES3_N6thrust23THRUST_200600_302600_NS6detail15normal_iteratorINS9_10device_ptrIjEEEENSB_INSC_IiEEEEiNS9_4plusIvEEiEEDaPvRmT3_T4_T5_mT6_P12ihipStream_tbENKUlT_T0_E_clISt17integral_constantIbLb0EESW_EEDaSR_SS_EUlSR_E_NS1_11comp_targetILNS1_3genE5ELNS1_11target_archE942ELNS1_3gpuE9ELNS1_3repE0EEENS1_30default_config_static_selectorELNS0_4arch9wavefront6targetE1EEEvT1_.kd
    .uniform_work_group_size: 1
    .uses_dynamic_stack: false
    .vgpr_count:     0
    .vgpr_spill_count: 0
    .wavefront_size: 64
  - .agpr_count:     0
    .args:
      - .offset:         0
        .size:           96
        .value_kind:     by_value
    .group_segment_fixed_size: 5120
    .kernarg_segment_align: 8
    .kernarg_segment_size: 96
    .language:       OpenCL C
    .language_version:
      - 2
      - 0
    .max_flat_workgroup_size: 128
    .name:           _ZN7rocprim17ROCPRIM_400000_NS6detail17trampoline_kernelINS0_14default_configENS1_20scan_config_selectorIiEEZZNS1_9scan_implILNS1_25lookback_scan_determinismE0ELb1ELb1ES3_N6thrust23THRUST_200600_302600_NS6detail15normal_iteratorINS9_10device_ptrIjEEEENSB_INSC_IiEEEEiNS9_4plusIvEEiEEDaPvRmT3_T4_T5_mT6_P12ihipStream_tbENKUlT_T0_E_clISt17integral_constantIbLb0EESW_EEDaSR_SS_EUlSR_E_NS1_11comp_targetILNS1_3genE4ELNS1_11target_archE910ELNS1_3gpuE8ELNS1_3repE0EEENS1_30default_config_static_selectorELNS0_4arch9wavefront6targetE1EEEvT1_
    .private_segment_fixed_size: 0
    .sgpr_count:     33
    .sgpr_spill_count: 0
    .symbol:         _ZN7rocprim17ROCPRIM_400000_NS6detail17trampoline_kernelINS0_14default_configENS1_20scan_config_selectorIiEEZZNS1_9scan_implILNS1_25lookback_scan_determinismE0ELb1ELb1ES3_N6thrust23THRUST_200600_302600_NS6detail15normal_iteratorINS9_10device_ptrIjEEEENSB_INSC_IiEEEEiNS9_4plusIvEEiEEDaPvRmT3_T4_T5_mT6_P12ihipStream_tbENKUlT_T0_E_clISt17integral_constantIbLb0EESW_EEDaSR_SS_EUlSR_E_NS1_11comp_targetILNS1_3genE4ELNS1_11target_archE910ELNS1_3gpuE8ELNS1_3repE0EEENS1_30default_config_static_selectorELNS0_4arch9wavefront6targetE1EEEvT1_.kd
    .uniform_work_group_size: 1
    .uses_dynamic_stack: false
    .vgpr_count:     41
    .vgpr_spill_count: 0
    .wavefront_size: 64
  - .agpr_count:     0
    .args:
      - .offset:         0
        .size:           96
        .value_kind:     by_value
    .group_segment_fixed_size: 0
    .kernarg_segment_align: 8
    .kernarg_segment_size: 96
    .language:       OpenCL C
    .language_version:
      - 2
      - 0
    .max_flat_workgroup_size: 256
    .name:           _ZN7rocprim17ROCPRIM_400000_NS6detail17trampoline_kernelINS0_14default_configENS1_20scan_config_selectorIiEEZZNS1_9scan_implILNS1_25lookback_scan_determinismE0ELb1ELb1ES3_N6thrust23THRUST_200600_302600_NS6detail15normal_iteratorINS9_10device_ptrIjEEEENSB_INSC_IiEEEEiNS9_4plusIvEEiEEDaPvRmT3_T4_T5_mT6_P12ihipStream_tbENKUlT_T0_E_clISt17integral_constantIbLb0EESW_EEDaSR_SS_EUlSR_E_NS1_11comp_targetILNS1_3genE3ELNS1_11target_archE908ELNS1_3gpuE7ELNS1_3repE0EEENS1_30default_config_static_selectorELNS0_4arch9wavefront6targetE1EEEvT1_
    .private_segment_fixed_size: 0
    .sgpr_count:     4
    .sgpr_spill_count: 0
    .symbol:         _ZN7rocprim17ROCPRIM_400000_NS6detail17trampoline_kernelINS0_14default_configENS1_20scan_config_selectorIiEEZZNS1_9scan_implILNS1_25lookback_scan_determinismE0ELb1ELb1ES3_N6thrust23THRUST_200600_302600_NS6detail15normal_iteratorINS9_10device_ptrIjEEEENSB_INSC_IiEEEEiNS9_4plusIvEEiEEDaPvRmT3_T4_T5_mT6_P12ihipStream_tbENKUlT_T0_E_clISt17integral_constantIbLb0EESW_EEDaSR_SS_EUlSR_E_NS1_11comp_targetILNS1_3genE3ELNS1_11target_archE908ELNS1_3gpuE7ELNS1_3repE0EEENS1_30default_config_static_selectorELNS0_4arch9wavefront6targetE1EEEvT1_.kd
    .uniform_work_group_size: 1
    .uses_dynamic_stack: false
    .vgpr_count:     0
    .vgpr_spill_count: 0
    .wavefront_size: 64
  - .agpr_count:     0
    .args:
      - .offset:         0
        .size:           96
        .value_kind:     by_value
    .group_segment_fixed_size: 0
    .kernarg_segment_align: 8
    .kernarg_segment_size: 96
    .language:       OpenCL C
    .language_version:
      - 2
      - 0
    .max_flat_workgroup_size: 256
    .name:           _ZN7rocprim17ROCPRIM_400000_NS6detail17trampoline_kernelINS0_14default_configENS1_20scan_config_selectorIiEEZZNS1_9scan_implILNS1_25lookback_scan_determinismE0ELb1ELb1ES3_N6thrust23THRUST_200600_302600_NS6detail15normal_iteratorINS9_10device_ptrIjEEEENSB_INSC_IiEEEEiNS9_4plusIvEEiEEDaPvRmT3_T4_T5_mT6_P12ihipStream_tbENKUlT_T0_E_clISt17integral_constantIbLb0EESW_EEDaSR_SS_EUlSR_E_NS1_11comp_targetILNS1_3genE2ELNS1_11target_archE906ELNS1_3gpuE6ELNS1_3repE0EEENS1_30default_config_static_selectorELNS0_4arch9wavefront6targetE1EEEvT1_
    .private_segment_fixed_size: 0
    .sgpr_count:     4
    .sgpr_spill_count: 0
    .symbol:         _ZN7rocprim17ROCPRIM_400000_NS6detail17trampoline_kernelINS0_14default_configENS1_20scan_config_selectorIiEEZZNS1_9scan_implILNS1_25lookback_scan_determinismE0ELb1ELb1ES3_N6thrust23THRUST_200600_302600_NS6detail15normal_iteratorINS9_10device_ptrIjEEEENSB_INSC_IiEEEEiNS9_4plusIvEEiEEDaPvRmT3_T4_T5_mT6_P12ihipStream_tbENKUlT_T0_E_clISt17integral_constantIbLb0EESW_EEDaSR_SS_EUlSR_E_NS1_11comp_targetILNS1_3genE2ELNS1_11target_archE906ELNS1_3gpuE6ELNS1_3repE0EEENS1_30default_config_static_selectorELNS0_4arch9wavefront6targetE1EEEvT1_.kd
    .uniform_work_group_size: 1
    .uses_dynamic_stack: false
    .vgpr_count:     0
    .vgpr_spill_count: 0
    .wavefront_size: 64
  - .agpr_count:     0
    .args:
      - .offset:         0
        .size:           96
        .value_kind:     by_value
    .group_segment_fixed_size: 0
    .kernarg_segment_align: 8
    .kernarg_segment_size: 96
    .language:       OpenCL C
    .language_version:
      - 2
      - 0
    .max_flat_workgroup_size: 256
    .name:           _ZN7rocprim17ROCPRIM_400000_NS6detail17trampoline_kernelINS0_14default_configENS1_20scan_config_selectorIiEEZZNS1_9scan_implILNS1_25lookback_scan_determinismE0ELb1ELb1ES3_N6thrust23THRUST_200600_302600_NS6detail15normal_iteratorINS9_10device_ptrIjEEEENSB_INSC_IiEEEEiNS9_4plusIvEEiEEDaPvRmT3_T4_T5_mT6_P12ihipStream_tbENKUlT_T0_E_clISt17integral_constantIbLb0EESW_EEDaSR_SS_EUlSR_E_NS1_11comp_targetILNS1_3genE10ELNS1_11target_archE1201ELNS1_3gpuE5ELNS1_3repE0EEENS1_30default_config_static_selectorELNS0_4arch9wavefront6targetE1EEEvT1_
    .private_segment_fixed_size: 0
    .sgpr_count:     4
    .sgpr_spill_count: 0
    .symbol:         _ZN7rocprim17ROCPRIM_400000_NS6detail17trampoline_kernelINS0_14default_configENS1_20scan_config_selectorIiEEZZNS1_9scan_implILNS1_25lookback_scan_determinismE0ELb1ELb1ES3_N6thrust23THRUST_200600_302600_NS6detail15normal_iteratorINS9_10device_ptrIjEEEENSB_INSC_IiEEEEiNS9_4plusIvEEiEEDaPvRmT3_T4_T5_mT6_P12ihipStream_tbENKUlT_T0_E_clISt17integral_constantIbLb0EESW_EEDaSR_SS_EUlSR_E_NS1_11comp_targetILNS1_3genE10ELNS1_11target_archE1201ELNS1_3gpuE5ELNS1_3repE0EEENS1_30default_config_static_selectorELNS0_4arch9wavefront6targetE1EEEvT1_.kd
    .uniform_work_group_size: 1
    .uses_dynamic_stack: false
    .vgpr_count:     0
    .vgpr_spill_count: 0
    .wavefront_size: 64
  - .agpr_count:     0
    .args:
      - .offset:         0
        .size:           96
        .value_kind:     by_value
    .group_segment_fixed_size: 0
    .kernarg_segment_align: 8
    .kernarg_segment_size: 96
    .language:       OpenCL C
    .language_version:
      - 2
      - 0
    .max_flat_workgroup_size: 256
    .name:           _ZN7rocprim17ROCPRIM_400000_NS6detail17trampoline_kernelINS0_14default_configENS1_20scan_config_selectorIiEEZZNS1_9scan_implILNS1_25lookback_scan_determinismE0ELb1ELb1ES3_N6thrust23THRUST_200600_302600_NS6detail15normal_iteratorINS9_10device_ptrIjEEEENSB_INSC_IiEEEEiNS9_4plusIvEEiEEDaPvRmT3_T4_T5_mT6_P12ihipStream_tbENKUlT_T0_E_clISt17integral_constantIbLb0EESW_EEDaSR_SS_EUlSR_E_NS1_11comp_targetILNS1_3genE10ELNS1_11target_archE1200ELNS1_3gpuE4ELNS1_3repE0EEENS1_30default_config_static_selectorELNS0_4arch9wavefront6targetE1EEEvT1_
    .private_segment_fixed_size: 0
    .sgpr_count:     4
    .sgpr_spill_count: 0
    .symbol:         _ZN7rocprim17ROCPRIM_400000_NS6detail17trampoline_kernelINS0_14default_configENS1_20scan_config_selectorIiEEZZNS1_9scan_implILNS1_25lookback_scan_determinismE0ELb1ELb1ES3_N6thrust23THRUST_200600_302600_NS6detail15normal_iteratorINS9_10device_ptrIjEEEENSB_INSC_IiEEEEiNS9_4plusIvEEiEEDaPvRmT3_T4_T5_mT6_P12ihipStream_tbENKUlT_T0_E_clISt17integral_constantIbLb0EESW_EEDaSR_SS_EUlSR_E_NS1_11comp_targetILNS1_3genE10ELNS1_11target_archE1200ELNS1_3gpuE4ELNS1_3repE0EEENS1_30default_config_static_selectorELNS0_4arch9wavefront6targetE1EEEvT1_.kd
    .uniform_work_group_size: 1
    .uses_dynamic_stack: false
    .vgpr_count:     0
    .vgpr_spill_count: 0
    .wavefront_size: 64
  - .agpr_count:     0
    .args:
      - .offset:         0
        .size:           96
        .value_kind:     by_value
    .group_segment_fixed_size: 0
    .kernarg_segment_align: 8
    .kernarg_segment_size: 96
    .language:       OpenCL C
    .language_version:
      - 2
      - 0
    .max_flat_workgroup_size: 256
    .name:           _ZN7rocprim17ROCPRIM_400000_NS6detail17trampoline_kernelINS0_14default_configENS1_20scan_config_selectorIiEEZZNS1_9scan_implILNS1_25lookback_scan_determinismE0ELb1ELb1ES3_N6thrust23THRUST_200600_302600_NS6detail15normal_iteratorINS9_10device_ptrIjEEEENSB_INSC_IiEEEEiNS9_4plusIvEEiEEDaPvRmT3_T4_T5_mT6_P12ihipStream_tbENKUlT_T0_E_clISt17integral_constantIbLb0EESW_EEDaSR_SS_EUlSR_E_NS1_11comp_targetILNS1_3genE9ELNS1_11target_archE1100ELNS1_3gpuE3ELNS1_3repE0EEENS1_30default_config_static_selectorELNS0_4arch9wavefront6targetE1EEEvT1_
    .private_segment_fixed_size: 0
    .sgpr_count:     4
    .sgpr_spill_count: 0
    .symbol:         _ZN7rocprim17ROCPRIM_400000_NS6detail17trampoline_kernelINS0_14default_configENS1_20scan_config_selectorIiEEZZNS1_9scan_implILNS1_25lookback_scan_determinismE0ELb1ELb1ES3_N6thrust23THRUST_200600_302600_NS6detail15normal_iteratorINS9_10device_ptrIjEEEENSB_INSC_IiEEEEiNS9_4plusIvEEiEEDaPvRmT3_T4_T5_mT6_P12ihipStream_tbENKUlT_T0_E_clISt17integral_constantIbLb0EESW_EEDaSR_SS_EUlSR_E_NS1_11comp_targetILNS1_3genE9ELNS1_11target_archE1100ELNS1_3gpuE3ELNS1_3repE0EEENS1_30default_config_static_selectorELNS0_4arch9wavefront6targetE1EEEvT1_.kd
    .uniform_work_group_size: 1
    .uses_dynamic_stack: false
    .vgpr_count:     0
    .vgpr_spill_count: 0
    .wavefront_size: 64
  - .agpr_count:     0
    .args:
      - .offset:         0
        .size:           96
        .value_kind:     by_value
    .group_segment_fixed_size: 0
    .kernarg_segment_align: 8
    .kernarg_segment_size: 96
    .language:       OpenCL C
    .language_version:
      - 2
      - 0
    .max_flat_workgroup_size: 64
    .name:           _ZN7rocprim17ROCPRIM_400000_NS6detail17trampoline_kernelINS0_14default_configENS1_20scan_config_selectorIiEEZZNS1_9scan_implILNS1_25lookback_scan_determinismE0ELb1ELb1ES3_N6thrust23THRUST_200600_302600_NS6detail15normal_iteratorINS9_10device_ptrIjEEEENSB_INSC_IiEEEEiNS9_4plusIvEEiEEDaPvRmT3_T4_T5_mT6_P12ihipStream_tbENKUlT_T0_E_clISt17integral_constantIbLb0EESW_EEDaSR_SS_EUlSR_E_NS1_11comp_targetILNS1_3genE8ELNS1_11target_archE1030ELNS1_3gpuE2ELNS1_3repE0EEENS1_30default_config_static_selectorELNS0_4arch9wavefront6targetE1EEEvT1_
    .private_segment_fixed_size: 0
    .sgpr_count:     4
    .sgpr_spill_count: 0
    .symbol:         _ZN7rocprim17ROCPRIM_400000_NS6detail17trampoline_kernelINS0_14default_configENS1_20scan_config_selectorIiEEZZNS1_9scan_implILNS1_25lookback_scan_determinismE0ELb1ELb1ES3_N6thrust23THRUST_200600_302600_NS6detail15normal_iteratorINS9_10device_ptrIjEEEENSB_INSC_IiEEEEiNS9_4plusIvEEiEEDaPvRmT3_T4_T5_mT6_P12ihipStream_tbENKUlT_T0_E_clISt17integral_constantIbLb0EESW_EEDaSR_SS_EUlSR_E_NS1_11comp_targetILNS1_3genE8ELNS1_11target_archE1030ELNS1_3gpuE2ELNS1_3repE0EEENS1_30default_config_static_selectorELNS0_4arch9wavefront6targetE1EEEvT1_.kd
    .uniform_work_group_size: 1
    .uses_dynamic_stack: false
    .vgpr_count:     0
    .vgpr_spill_count: 0
    .wavefront_size: 64
  - .agpr_count:     0
    .args:
      - .offset:         0
        .size:           32
        .value_kind:     by_value
    .group_segment_fixed_size: 0
    .kernarg_segment_align: 8
    .kernarg_segment_size: 32
    .language:       OpenCL C
    .language_version:
      - 2
      - 0
    .max_flat_workgroup_size: 256
    .name:           _ZN7rocprim17ROCPRIM_400000_NS6detail17trampoline_kernelINS0_14default_configENS1_20scan_config_selectorIiEEZZNS1_9scan_implILNS1_25lookback_scan_determinismE0ELb1ELb1ES3_N6thrust23THRUST_200600_302600_NS6detail15normal_iteratorINS9_10device_ptrIjEEEENSB_INSC_IiEEEEiNS9_4plusIvEEiEEDaPvRmT3_T4_T5_mT6_P12ihipStream_tbENKUlT_T0_E_clISt17integral_constantIbLb0EESW_EEDaSR_SS_EUlSR_E0_NS1_11comp_targetILNS1_3genE0ELNS1_11target_archE4294967295ELNS1_3gpuE0ELNS1_3repE0EEENS1_30default_config_static_selectorELNS0_4arch9wavefront6targetE1EEEvT1_
    .private_segment_fixed_size: 0
    .sgpr_count:     4
    .sgpr_spill_count: 0
    .symbol:         _ZN7rocprim17ROCPRIM_400000_NS6detail17trampoline_kernelINS0_14default_configENS1_20scan_config_selectorIiEEZZNS1_9scan_implILNS1_25lookback_scan_determinismE0ELb1ELb1ES3_N6thrust23THRUST_200600_302600_NS6detail15normal_iteratorINS9_10device_ptrIjEEEENSB_INSC_IiEEEEiNS9_4plusIvEEiEEDaPvRmT3_T4_T5_mT6_P12ihipStream_tbENKUlT_T0_E_clISt17integral_constantIbLb0EESW_EEDaSR_SS_EUlSR_E0_NS1_11comp_targetILNS1_3genE0ELNS1_11target_archE4294967295ELNS1_3gpuE0ELNS1_3repE0EEENS1_30default_config_static_selectorELNS0_4arch9wavefront6targetE1EEEvT1_.kd
    .uniform_work_group_size: 1
    .uses_dynamic_stack: false
    .vgpr_count:     0
    .vgpr_spill_count: 0
    .wavefront_size: 64
  - .agpr_count:     0
    .args:
      - .offset:         0
        .size:           32
        .value_kind:     by_value
    .group_segment_fixed_size: 0
    .kernarg_segment_align: 8
    .kernarg_segment_size: 32
    .language:       OpenCL C
    .language_version:
      - 2
      - 0
    .max_flat_workgroup_size: 256
    .name:           _ZN7rocprim17ROCPRIM_400000_NS6detail17trampoline_kernelINS0_14default_configENS1_20scan_config_selectorIiEEZZNS1_9scan_implILNS1_25lookback_scan_determinismE0ELb1ELb1ES3_N6thrust23THRUST_200600_302600_NS6detail15normal_iteratorINS9_10device_ptrIjEEEENSB_INSC_IiEEEEiNS9_4plusIvEEiEEDaPvRmT3_T4_T5_mT6_P12ihipStream_tbENKUlT_T0_E_clISt17integral_constantIbLb0EESW_EEDaSR_SS_EUlSR_E0_NS1_11comp_targetILNS1_3genE5ELNS1_11target_archE942ELNS1_3gpuE9ELNS1_3repE0EEENS1_30default_config_static_selectorELNS0_4arch9wavefront6targetE1EEEvT1_
    .private_segment_fixed_size: 0
    .sgpr_count:     4
    .sgpr_spill_count: 0
    .symbol:         _ZN7rocprim17ROCPRIM_400000_NS6detail17trampoline_kernelINS0_14default_configENS1_20scan_config_selectorIiEEZZNS1_9scan_implILNS1_25lookback_scan_determinismE0ELb1ELb1ES3_N6thrust23THRUST_200600_302600_NS6detail15normal_iteratorINS9_10device_ptrIjEEEENSB_INSC_IiEEEEiNS9_4plusIvEEiEEDaPvRmT3_T4_T5_mT6_P12ihipStream_tbENKUlT_T0_E_clISt17integral_constantIbLb0EESW_EEDaSR_SS_EUlSR_E0_NS1_11comp_targetILNS1_3genE5ELNS1_11target_archE942ELNS1_3gpuE9ELNS1_3repE0EEENS1_30default_config_static_selectorELNS0_4arch9wavefront6targetE1EEEvT1_.kd
    .uniform_work_group_size: 1
    .uses_dynamic_stack: false
    .vgpr_count:     0
    .vgpr_spill_count: 0
    .wavefront_size: 64
  - .agpr_count:     0
    .args:
      - .offset:         0
        .size:           32
        .value_kind:     by_value
    .group_segment_fixed_size: 5120
    .kernarg_segment_align: 8
    .kernarg_segment_size: 32
    .language:       OpenCL C
    .language_version:
      - 2
      - 0
    .max_flat_workgroup_size: 128
    .name:           _ZN7rocprim17ROCPRIM_400000_NS6detail17trampoline_kernelINS0_14default_configENS1_20scan_config_selectorIiEEZZNS1_9scan_implILNS1_25lookback_scan_determinismE0ELb1ELb1ES3_N6thrust23THRUST_200600_302600_NS6detail15normal_iteratorINS9_10device_ptrIjEEEENSB_INSC_IiEEEEiNS9_4plusIvEEiEEDaPvRmT3_T4_T5_mT6_P12ihipStream_tbENKUlT_T0_E_clISt17integral_constantIbLb0EESW_EEDaSR_SS_EUlSR_E0_NS1_11comp_targetILNS1_3genE4ELNS1_11target_archE910ELNS1_3gpuE8ELNS1_3repE0EEENS1_30default_config_static_selectorELNS0_4arch9wavefront6targetE1EEEvT1_
    .private_segment_fixed_size: 0
    .sgpr_count:     29
    .sgpr_spill_count: 0
    .symbol:         _ZN7rocprim17ROCPRIM_400000_NS6detail17trampoline_kernelINS0_14default_configENS1_20scan_config_selectorIiEEZZNS1_9scan_implILNS1_25lookback_scan_determinismE0ELb1ELb1ES3_N6thrust23THRUST_200600_302600_NS6detail15normal_iteratorINS9_10device_ptrIjEEEENSB_INSC_IiEEEEiNS9_4plusIvEEiEEDaPvRmT3_T4_T5_mT6_P12ihipStream_tbENKUlT_T0_E_clISt17integral_constantIbLb0EESW_EEDaSR_SS_EUlSR_E0_NS1_11comp_targetILNS1_3genE4ELNS1_11target_archE910ELNS1_3gpuE8ELNS1_3repE0EEENS1_30default_config_static_selectorELNS0_4arch9wavefront6targetE1EEEvT1_.kd
    .uniform_work_group_size: 1
    .uses_dynamic_stack: false
    .vgpr_count:     18
    .vgpr_spill_count: 0
    .wavefront_size: 64
  - .agpr_count:     0
    .args:
      - .offset:         0
        .size:           32
        .value_kind:     by_value
    .group_segment_fixed_size: 0
    .kernarg_segment_align: 8
    .kernarg_segment_size: 32
    .language:       OpenCL C
    .language_version:
      - 2
      - 0
    .max_flat_workgroup_size: 256
    .name:           _ZN7rocprim17ROCPRIM_400000_NS6detail17trampoline_kernelINS0_14default_configENS1_20scan_config_selectorIiEEZZNS1_9scan_implILNS1_25lookback_scan_determinismE0ELb1ELb1ES3_N6thrust23THRUST_200600_302600_NS6detail15normal_iteratorINS9_10device_ptrIjEEEENSB_INSC_IiEEEEiNS9_4plusIvEEiEEDaPvRmT3_T4_T5_mT6_P12ihipStream_tbENKUlT_T0_E_clISt17integral_constantIbLb0EESW_EEDaSR_SS_EUlSR_E0_NS1_11comp_targetILNS1_3genE3ELNS1_11target_archE908ELNS1_3gpuE7ELNS1_3repE0EEENS1_30default_config_static_selectorELNS0_4arch9wavefront6targetE1EEEvT1_
    .private_segment_fixed_size: 0
    .sgpr_count:     4
    .sgpr_spill_count: 0
    .symbol:         _ZN7rocprim17ROCPRIM_400000_NS6detail17trampoline_kernelINS0_14default_configENS1_20scan_config_selectorIiEEZZNS1_9scan_implILNS1_25lookback_scan_determinismE0ELb1ELb1ES3_N6thrust23THRUST_200600_302600_NS6detail15normal_iteratorINS9_10device_ptrIjEEEENSB_INSC_IiEEEEiNS9_4plusIvEEiEEDaPvRmT3_T4_T5_mT6_P12ihipStream_tbENKUlT_T0_E_clISt17integral_constantIbLb0EESW_EEDaSR_SS_EUlSR_E0_NS1_11comp_targetILNS1_3genE3ELNS1_11target_archE908ELNS1_3gpuE7ELNS1_3repE0EEENS1_30default_config_static_selectorELNS0_4arch9wavefront6targetE1EEEvT1_.kd
    .uniform_work_group_size: 1
    .uses_dynamic_stack: false
    .vgpr_count:     0
    .vgpr_spill_count: 0
    .wavefront_size: 64
  - .agpr_count:     0
    .args:
      - .offset:         0
        .size:           32
        .value_kind:     by_value
    .group_segment_fixed_size: 0
    .kernarg_segment_align: 8
    .kernarg_segment_size: 32
    .language:       OpenCL C
    .language_version:
      - 2
      - 0
    .max_flat_workgroup_size: 256
    .name:           _ZN7rocprim17ROCPRIM_400000_NS6detail17trampoline_kernelINS0_14default_configENS1_20scan_config_selectorIiEEZZNS1_9scan_implILNS1_25lookback_scan_determinismE0ELb1ELb1ES3_N6thrust23THRUST_200600_302600_NS6detail15normal_iteratorINS9_10device_ptrIjEEEENSB_INSC_IiEEEEiNS9_4plusIvEEiEEDaPvRmT3_T4_T5_mT6_P12ihipStream_tbENKUlT_T0_E_clISt17integral_constantIbLb0EESW_EEDaSR_SS_EUlSR_E0_NS1_11comp_targetILNS1_3genE2ELNS1_11target_archE906ELNS1_3gpuE6ELNS1_3repE0EEENS1_30default_config_static_selectorELNS0_4arch9wavefront6targetE1EEEvT1_
    .private_segment_fixed_size: 0
    .sgpr_count:     4
    .sgpr_spill_count: 0
    .symbol:         _ZN7rocprim17ROCPRIM_400000_NS6detail17trampoline_kernelINS0_14default_configENS1_20scan_config_selectorIiEEZZNS1_9scan_implILNS1_25lookback_scan_determinismE0ELb1ELb1ES3_N6thrust23THRUST_200600_302600_NS6detail15normal_iteratorINS9_10device_ptrIjEEEENSB_INSC_IiEEEEiNS9_4plusIvEEiEEDaPvRmT3_T4_T5_mT6_P12ihipStream_tbENKUlT_T0_E_clISt17integral_constantIbLb0EESW_EEDaSR_SS_EUlSR_E0_NS1_11comp_targetILNS1_3genE2ELNS1_11target_archE906ELNS1_3gpuE6ELNS1_3repE0EEENS1_30default_config_static_selectorELNS0_4arch9wavefront6targetE1EEEvT1_.kd
    .uniform_work_group_size: 1
    .uses_dynamic_stack: false
    .vgpr_count:     0
    .vgpr_spill_count: 0
    .wavefront_size: 64
  - .agpr_count:     0
    .args:
      - .offset:         0
        .size:           32
        .value_kind:     by_value
    .group_segment_fixed_size: 0
    .kernarg_segment_align: 8
    .kernarg_segment_size: 32
    .language:       OpenCL C
    .language_version:
      - 2
      - 0
    .max_flat_workgroup_size: 256
    .name:           _ZN7rocprim17ROCPRIM_400000_NS6detail17trampoline_kernelINS0_14default_configENS1_20scan_config_selectorIiEEZZNS1_9scan_implILNS1_25lookback_scan_determinismE0ELb1ELb1ES3_N6thrust23THRUST_200600_302600_NS6detail15normal_iteratorINS9_10device_ptrIjEEEENSB_INSC_IiEEEEiNS9_4plusIvEEiEEDaPvRmT3_T4_T5_mT6_P12ihipStream_tbENKUlT_T0_E_clISt17integral_constantIbLb0EESW_EEDaSR_SS_EUlSR_E0_NS1_11comp_targetILNS1_3genE10ELNS1_11target_archE1201ELNS1_3gpuE5ELNS1_3repE0EEENS1_30default_config_static_selectorELNS0_4arch9wavefront6targetE1EEEvT1_
    .private_segment_fixed_size: 0
    .sgpr_count:     4
    .sgpr_spill_count: 0
    .symbol:         _ZN7rocprim17ROCPRIM_400000_NS6detail17trampoline_kernelINS0_14default_configENS1_20scan_config_selectorIiEEZZNS1_9scan_implILNS1_25lookback_scan_determinismE0ELb1ELb1ES3_N6thrust23THRUST_200600_302600_NS6detail15normal_iteratorINS9_10device_ptrIjEEEENSB_INSC_IiEEEEiNS9_4plusIvEEiEEDaPvRmT3_T4_T5_mT6_P12ihipStream_tbENKUlT_T0_E_clISt17integral_constantIbLb0EESW_EEDaSR_SS_EUlSR_E0_NS1_11comp_targetILNS1_3genE10ELNS1_11target_archE1201ELNS1_3gpuE5ELNS1_3repE0EEENS1_30default_config_static_selectorELNS0_4arch9wavefront6targetE1EEEvT1_.kd
    .uniform_work_group_size: 1
    .uses_dynamic_stack: false
    .vgpr_count:     0
    .vgpr_spill_count: 0
    .wavefront_size: 64
  - .agpr_count:     0
    .args:
      - .offset:         0
        .size:           32
        .value_kind:     by_value
    .group_segment_fixed_size: 0
    .kernarg_segment_align: 8
    .kernarg_segment_size: 32
    .language:       OpenCL C
    .language_version:
      - 2
      - 0
    .max_flat_workgroup_size: 256
    .name:           _ZN7rocprim17ROCPRIM_400000_NS6detail17trampoline_kernelINS0_14default_configENS1_20scan_config_selectorIiEEZZNS1_9scan_implILNS1_25lookback_scan_determinismE0ELb1ELb1ES3_N6thrust23THRUST_200600_302600_NS6detail15normal_iteratorINS9_10device_ptrIjEEEENSB_INSC_IiEEEEiNS9_4plusIvEEiEEDaPvRmT3_T4_T5_mT6_P12ihipStream_tbENKUlT_T0_E_clISt17integral_constantIbLb0EESW_EEDaSR_SS_EUlSR_E0_NS1_11comp_targetILNS1_3genE10ELNS1_11target_archE1200ELNS1_3gpuE4ELNS1_3repE0EEENS1_30default_config_static_selectorELNS0_4arch9wavefront6targetE1EEEvT1_
    .private_segment_fixed_size: 0
    .sgpr_count:     4
    .sgpr_spill_count: 0
    .symbol:         _ZN7rocprim17ROCPRIM_400000_NS6detail17trampoline_kernelINS0_14default_configENS1_20scan_config_selectorIiEEZZNS1_9scan_implILNS1_25lookback_scan_determinismE0ELb1ELb1ES3_N6thrust23THRUST_200600_302600_NS6detail15normal_iteratorINS9_10device_ptrIjEEEENSB_INSC_IiEEEEiNS9_4plusIvEEiEEDaPvRmT3_T4_T5_mT6_P12ihipStream_tbENKUlT_T0_E_clISt17integral_constantIbLb0EESW_EEDaSR_SS_EUlSR_E0_NS1_11comp_targetILNS1_3genE10ELNS1_11target_archE1200ELNS1_3gpuE4ELNS1_3repE0EEENS1_30default_config_static_selectorELNS0_4arch9wavefront6targetE1EEEvT1_.kd
    .uniform_work_group_size: 1
    .uses_dynamic_stack: false
    .vgpr_count:     0
    .vgpr_spill_count: 0
    .wavefront_size: 64
  - .agpr_count:     0
    .args:
      - .offset:         0
        .size:           32
        .value_kind:     by_value
    .group_segment_fixed_size: 0
    .kernarg_segment_align: 8
    .kernarg_segment_size: 32
    .language:       OpenCL C
    .language_version:
      - 2
      - 0
    .max_flat_workgroup_size: 256
    .name:           _ZN7rocprim17ROCPRIM_400000_NS6detail17trampoline_kernelINS0_14default_configENS1_20scan_config_selectorIiEEZZNS1_9scan_implILNS1_25lookback_scan_determinismE0ELb1ELb1ES3_N6thrust23THRUST_200600_302600_NS6detail15normal_iteratorINS9_10device_ptrIjEEEENSB_INSC_IiEEEEiNS9_4plusIvEEiEEDaPvRmT3_T4_T5_mT6_P12ihipStream_tbENKUlT_T0_E_clISt17integral_constantIbLb0EESW_EEDaSR_SS_EUlSR_E0_NS1_11comp_targetILNS1_3genE9ELNS1_11target_archE1100ELNS1_3gpuE3ELNS1_3repE0EEENS1_30default_config_static_selectorELNS0_4arch9wavefront6targetE1EEEvT1_
    .private_segment_fixed_size: 0
    .sgpr_count:     4
    .sgpr_spill_count: 0
    .symbol:         _ZN7rocprim17ROCPRIM_400000_NS6detail17trampoline_kernelINS0_14default_configENS1_20scan_config_selectorIiEEZZNS1_9scan_implILNS1_25lookback_scan_determinismE0ELb1ELb1ES3_N6thrust23THRUST_200600_302600_NS6detail15normal_iteratorINS9_10device_ptrIjEEEENSB_INSC_IiEEEEiNS9_4plusIvEEiEEDaPvRmT3_T4_T5_mT6_P12ihipStream_tbENKUlT_T0_E_clISt17integral_constantIbLb0EESW_EEDaSR_SS_EUlSR_E0_NS1_11comp_targetILNS1_3genE9ELNS1_11target_archE1100ELNS1_3gpuE3ELNS1_3repE0EEENS1_30default_config_static_selectorELNS0_4arch9wavefront6targetE1EEEvT1_.kd
    .uniform_work_group_size: 1
    .uses_dynamic_stack: false
    .vgpr_count:     0
    .vgpr_spill_count: 0
    .wavefront_size: 64
  - .agpr_count:     0
    .args:
      - .offset:         0
        .size:           32
        .value_kind:     by_value
    .group_segment_fixed_size: 0
    .kernarg_segment_align: 8
    .kernarg_segment_size: 32
    .language:       OpenCL C
    .language_version:
      - 2
      - 0
    .max_flat_workgroup_size: 64
    .name:           _ZN7rocprim17ROCPRIM_400000_NS6detail17trampoline_kernelINS0_14default_configENS1_20scan_config_selectorIiEEZZNS1_9scan_implILNS1_25lookback_scan_determinismE0ELb1ELb1ES3_N6thrust23THRUST_200600_302600_NS6detail15normal_iteratorINS9_10device_ptrIjEEEENSB_INSC_IiEEEEiNS9_4plusIvEEiEEDaPvRmT3_T4_T5_mT6_P12ihipStream_tbENKUlT_T0_E_clISt17integral_constantIbLb0EESW_EEDaSR_SS_EUlSR_E0_NS1_11comp_targetILNS1_3genE8ELNS1_11target_archE1030ELNS1_3gpuE2ELNS1_3repE0EEENS1_30default_config_static_selectorELNS0_4arch9wavefront6targetE1EEEvT1_
    .private_segment_fixed_size: 0
    .sgpr_count:     4
    .sgpr_spill_count: 0
    .symbol:         _ZN7rocprim17ROCPRIM_400000_NS6detail17trampoline_kernelINS0_14default_configENS1_20scan_config_selectorIiEEZZNS1_9scan_implILNS1_25lookback_scan_determinismE0ELb1ELb1ES3_N6thrust23THRUST_200600_302600_NS6detail15normal_iteratorINS9_10device_ptrIjEEEENSB_INSC_IiEEEEiNS9_4plusIvEEiEEDaPvRmT3_T4_T5_mT6_P12ihipStream_tbENKUlT_T0_E_clISt17integral_constantIbLb0EESW_EEDaSR_SS_EUlSR_E0_NS1_11comp_targetILNS1_3genE8ELNS1_11target_archE1030ELNS1_3gpuE2ELNS1_3repE0EEENS1_30default_config_static_selectorELNS0_4arch9wavefront6targetE1EEEvT1_.kd
    .uniform_work_group_size: 1
    .uses_dynamic_stack: false
    .vgpr_count:     0
    .vgpr_spill_count: 0
    .wavefront_size: 64
  - .agpr_count:     0
    .args:
      - .offset:         0
        .size:           96
        .value_kind:     by_value
    .group_segment_fixed_size: 0
    .kernarg_segment_align: 8
    .kernarg_segment_size: 96
    .language:       OpenCL C
    .language_version:
      - 2
      - 0
    .max_flat_workgroup_size: 256
    .name:           _ZN7rocprim17ROCPRIM_400000_NS6detail17trampoline_kernelINS0_14default_configENS1_20scan_config_selectorIiEEZZNS1_9scan_implILNS1_25lookback_scan_determinismE0ELb1ELb1ES3_N6thrust23THRUST_200600_302600_NS6detail15normal_iteratorINS9_10device_ptrIjEEEENSB_INSC_IiEEEEiNS9_4plusIvEEiEEDaPvRmT3_T4_T5_mT6_P12ihipStream_tbENKUlT_T0_E_clISt17integral_constantIbLb1EESW_EEDaSR_SS_EUlSR_E_NS1_11comp_targetILNS1_3genE0ELNS1_11target_archE4294967295ELNS1_3gpuE0ELNS1_3repE0EEENS1_30default_config_static_selectorELNS0_4arch9wavefront6targetE1EEEvT1_
    .private_segment_fixed_size: 0
    .sgpr_count:     4
    .sgpr_spill_count: 0
    .symbol:         _ZN7rocprim17ROCPRIM_400000_NS6detail17trampoline_kernelINS0_14default_configENS1_20scan_config_selectorIiEEZZNS1_9scan_implILNS1_25lookback_scan_determinismE0ELb1ELb1ES3_N6thrust23THRUST_200600_302600_NS6detail15normal_iteratorINS9_10device_ptrIjEEEENSB_INSC_IiEEEEiNS9_4plusIvEEiEEDaPvRmT3_T4_T5_mT6_P12ihipStream_tbENKUlT_T0_E_clISt17integral_constantIbLb1EESW_EEDaSR_SS_EUlSR_E_NS1_11comp_targetILNS1_3genE0ELNS1_11target_archE4294967295ELNS1_3gpuE0ELNS1_3repE0EEENS1_30default_config_static_selectorELNS0_4arch9wavefront6targetE1EEEvT1_.kd
    .uniform_work_group_size: 1
    .uses_dynamic_stack: false
    .vgpr_count:     0
    .vgpr_spill_count: 0
    .wavefront_size: 64
  - .agpr_count:     0
    .args:
      - .offset:         0
        .size:           96
        .value_kind:     by_value
    .group_segment_fixed_size: 0
    .kernarg_segment_align: 8
    .kernarg_segment_size: 96
    .language:       OpenCL C
    .language_version:
      - 2
      - 0
    .max_flat_workgroup_size: 256
    .name:           _ZN7rocprim17ROCPRIM_400000_NS6detail17trampoline_kernelINS0_14default_configENS1_20scan_config_selectorIiEEZZNS1_9scan_implILNS1_25lookback_scan_determinismE0ELb1ELb1ES3_N6thrust23THRUST_200600_302600_NS6detail15normal_iteratorINS9_10device_ptrIjEEEENSB_INSC_IiEEEEiNS9_4plusIvEEiEEDaPvRmT3_T4_T5_mT6_P12ihipStream_tbENKUlT_T0_E_clISt17integral_constantIbLb1EESW_EEDaSR_SS_EUlSR_E_NS1_11comp_targetILNS1_3genE5ELNS1_11target_archE942ELNS1_3gpuE9ELNS1_3repE0EEENS1_30default_config_static_selectorELNS0_4arch9wavefront6targetE1EEEvT1_
    .private_segment_fixed_size: 0
    .sgpr_count:     4
    .sgpr_spill_count: 0
    .symbol:         _ZN7rocprim17ROCPRIM_400000_NS6detail17trampoline_kernelINS0_14default_configENS1_20scan_config_selectorIiEEZZNS1_9scan_implILNS1_25lookback_scan_determinismE0ELb1ELb1ES3_N6thrust23THRUST_200600_302600_NS6detail15normal_iteratorINS9_10device_ptrIjEEEENSB_INSC_IiEEEEiNS9_4plusIvEEiEEDaPvRmT3_T4_T5_mT6_P12ihipStream_tbENKUlT_T0_E_clISt17integral_constantIbLb1EESW_EEDaSR_SS_EUlSR_E_NS1_11comp_targetILNS1_3genE5ELNS1_11target_archE942ELNS1_3gpuE9ELNS1_3repE0EEENS1_30default_config_static_selectorELNS0_4arch9wavefront6targetE1EEEvT1_.kd
    .uniform_work_group_size: 1
    .uses_dynamic_stack: false
    .vgpr_count:     0
    .vgpr_spill_count: 0
    .wavefront_size: 64
  - .agpr_count:     0
    .args:
      - .offset:         0
        .size:           96
        .value_kind:     by_value
    .group_segment_fixed_size: 5120
    .kernarg_segment_align: 8
    .kernarg_segment_size: 96
    .language:       OpenCL C
    .language_version:
      - 2
      - 0
    .max_flat_workgroup_size: 128
    .name:           _ZN7rocprim17ROCPRIM_400000_NS6detail17trampoline_kernelINS0_14default_configENS1_20scan_config_selectorIiEEZZNS1_9scan_implILNS1_25lookback_scan_determinismE0ELb1ELb1ES3_N6thrust23THRUST_200600_302600_NS6detail15normal_iteratorINS9_10device_ptrIjEEEENSB_INSC_IiEEEEiNS9_4plusIvEEiEEDaPvRmT3_T4_T5_mT6_P12ihipStream_tbENKUlT_T0_E_clISt17integral_constantIbLb1EESW_EEDaSR_SS_EUlSR_E_NS1_11comp_targetILNS1_3genE4ELNS1_11target_archE910ELNS1_3gpuE8ELNS1_3repE0EEENS1_30default_config_static_selectorELNS0_4arch9wavefront6targetE1EEEvT1_
    .private_segment_fixed_size: 0
    .sgpr_count:     44
    .sgpr_spill_count: 0
    .symbol:         _ZN7rocprim17ROCPRIM_400000_NS6detail17trampoline_kernelINS0_14default_configENS1_20scan_config_selectorIiEEZZNS1_9scan_implILNS1_25lookback_scan_determinismE0ELb1ELb1ES3_N6thrust23THRUST_200600_302600_NS6detail15normal_iteratorINS9_10device_ptrIjEEEENSB_INSC_IiEEEEiNS9_4plusIvEEiEEDaPvRmT3_T4_T5_mT6_P12ihipStream_tbENKUlT_T0_E_clISt17integral_constantIbLb1EESW_EEDaSR_SS_EUlSR_E_NS1_11comp_targetILNS1_3genE4ELNS1_11target_archE910ELNS1_3gpuE8ELNS1_3repE0EEENS1_30default_config_static_selectorELNS0_4arch9wavefront6targetE1EEEvT1_.kd
    .uniform_work_group_size: 1
    .uses_dynamic_stack: false
    .vgpr_count:     41
    .vgpr_spill_count: 0
    .wavefront_size: 64
  - .agpr_count:     0
    .args:
      - .offset:         0
        .size:           96
        .value_kind:     by_value
    .group_segment_fixed_size: 0
    .kernarg_segment_align: 8
    .kernarg_segment_size: 96
    .language:       OpenCL C
    .language_version:
      - 2
      - 0
    .max_flat_workgroup_size: 256
    .name:           _ZN7rocprim17ROCPRIM_400000_NS6detail17trampoline_kernelINS0_14default_configENS1_20scan_config_selectorIiEEZZNS1_9scan_implILNS1_25lookback_scan_determinismE0ELb1ELb1ES3_N6thrust23THRUST_200600_302600_NS6detail15normal_iteratorINS9_10device_ptrIjEEEENSB_INSC_IiEEEEiNS9_4plusIvEEiEEDaPvRmT3_T4_T5_mT6_P12ihipStream_tbENKUlT_T0_E_clISt17integral_constantIbLb1EESW_EEDaSR_SS_EUlSR_E_NS1_11comp_targetILNS1_3genE3ELNS1_11target_archE908ELNS1_3gpuE7ELNS1_3repE0EEENS1_30default_config_static_selectorELNS0_4arch9wavefront6targetE1EEEvT1_
    .private_segment_fixed_size: 0
    .sgpr_count:     4
    .sgpr_spill_count: 0
    .symbol:         _ZN7rocprim17ROCPRIM_400000_NS6detail17trampoline_kernelINS0_14default_configENS1_20scan_config_selectorIiEEZZNS1_9scan_implILNS1_25lookback_scan_determinismE0ELb1ELb1ES3_N6thrust23THRUST_200600_302600_NS6detail15normal_iteratorINS9_10device_ptrIjEEEENSB_INSC_IiEEEEiNS9_4plusIvEEiEEDaPvRmT3_T4_T5_mT6_P12ihipStream_tbENKUlT_T0_E_clISt17integral_constantIbLb1EESW_EEDaSR_SS_EUlSR_E_NS1_11comp_targetILNS1_3genE3ELNS1_11target_archE908ELNS1_3gpuE7ELNS1_3repE0EEENS1_30default_config_static_selectorELNS0_4arch9wavefront6targetE1EEEvT1_.kd
    .uniform_work_group_size: 1
    .uses_dynamic_stack: false
    .vgpr_count:     0
    .vgpr_spill_count: 0
    .wavefront_size: 64
  - .agpr_count:     0
    .args:
      - .offset:         0
        .size:           96
        .value_kind:     by_value
    .group_segment_fixed_size: 0
    .kernarg_segment_align: 8
    .kernarg_segment_size: 96
    .language:       OpenCL C
    .language_version:
      - 2
      - 0
    .max_flat_workgroup_size: 256
    .name:           _ZN7rocprim17ROCPRIM_400000_NS6detail17trampoline_kernelINS0_14default_configENS1_20scan_config_selectorIiEEZZNS1_9scan_implILNS1_25lookback_scan_determinismE0ELb1ELb1ES3_N6thrust23THRUST_200600_302600_NS6detail15normal_iteratorINS9_10device_ptrIjEEEENSB_INSC_IiEEEEiNS9_4plusIvEEiEEDaPvRmT3_T4_T5_mT6_P12ihipStream_tbENKUlT_T0_E_clISt17integral_constantIbLb1EESW_EEDaSR_SS_EUlSR_E_NS1_11comp_targetILNS1_3genE2ELNS1_11target_archE906ELNS1_3gpuE6ELNS1_3repE0EEENS1_30default_config_static_selectorELNS0_4arch9wavefront6targetE1EEEvT1_
    .private_segment_fixed_size: 0
    .sgpr_count:     4
    .sgpr_spill_count: 0
    .symbol:         _ZN7rocprim17ROCPRIM_400000_NS6detail17trampoline_kernelINS0_14default_configENS1_20scan_config_selectorIiEEZZNS1_9scan_implILNS1_25lookback_scan_determinismE0ELb1ELb1ES3_N6thrust23THRUST_200600_302600_NS6detail15normal_iteratorINS9_10device_ptrIjEEEENSB_INSC_IiEEEEiNS9_4plusIvEEiEEDaPvRmT3_T4_T5_mT6_P12ihipStream_tbENKUlT_T0_E_clISt17integral_constantIbLb1EESW_EEDaSR_SS_EUlSR_E_NS1_11comp_targetILNS1_3genE2ELNS1_11target_archE906ELNS1_3gpuE6ELNS1_3repE0EEENS1_30default_config_static_selectorELNS0_4arch9wavefront6targetE1EEEvT1_.kd
    .uniform_work_group_size: 1
    .uses_dynamic_stack: false
    .vgpr_count:     0
    .vgpr_spill_count: 0
    .wavefront_size: 64
  - .agpr_count:     0
    .args:
      - .offset:         0
        .size:           96
        .value_kind:     by_value
    .group_segment_fixed_size: 0
    .kernarg_segment_align: 8
    .kernarg_segment_size: 96
    .language:       OpenCL C
    .language_version:
      - 2
      - 0
    .max_flat_workgroup_size: 256
    .name:           _ZN7rocprim17ROCPRIM_400000_NS6detail17trampoline_kernelINS0_14default_configENS1_20scan_config_selectorIiEEZZNS1_9scan_implILNS1_25lookback_scan_determinismE0ELb1ELb1ES3_N6thrust23THRUST_200600_302600_NS6detail15normal_iteratorINS9_10device_ptrIjEEEENSB_INSC_IiEEEEiNS9_4plusIvEEiEEDaPvRmT3_T4_T5_mT6_P12ihipStream_tbENKUlT_T0_E_clISt17integral_constantIbLb1EESW_EEDaSR_SS_EUlSR_E_NS1_11comp_targetILNS1_3genE10ELNS1_11target_archE1201ELNS1_3gpuE5ELNS1_3repE0EEENS1_30default_config_static_selectorELNS0_4arch9wavefront6targetE1EEEvT1_
    .private_segment_fixed_size: 0
    .sgpr_count:     4
    .sgpr_spill_count: 0
    .symbol:         _ZN7rocprim17ROCPRIM_400000_NS6detail17trampoline_kernelINS0_14default_configENS1_20scan_config_selectorIiEEZZNS1_9scan_implILNS1_25lookback_scan_determinismE0ELb1ELb1ES3_N6thrust23THRUST_200600_302600_NS6detail15normal_iteratorINS9_10device_ptrIjEEEENSB_INSC_IiEEEEiNS9_4plusIvEEiEEDaPvRmT3_T4_T5_mT6_P12ihipStream_tbENKUlT_T0_E_clISt17integral_constantIbLb1EESW_EEDaSR_SS_EUlSR_E_NS1_11comp_targetILNS1_3genE10ELNS1_11target_archE1201ELNS1_3gpuE5ELNS1_3repE0EEENS1_30default_config_static_selectorELNS0_4arch9wavefront6targetE1EEEvT1_.kd
    .uniform_work_group_size: 1
    .uses_dynamic_stack: false
    .vgpr_count:     0
    .vgpr_spill_count: 0
    .wavefront_size: 64
  - .agpr_count:     0
    .args:
      - .offset:         0
        .size:           96
        .value_kind:     by_value
    .group_segment_fixed_size: 0
    .kernarg_segment_align: 8
    .kernarg_segment_size: 96
    .language:       OpenCL C
    .language_version:
      - 2
      - 0
    .max_flat_workgroup_size: 256
    .name:           _ZN7rocprim17ROCPRIM_400000_NS6detail17trampoline_kernelINS0_14default_configENS1_20scan_config_selectorIiEEZZNS1_9scan_implILNS1_25lookback_scan_determinismE0ELb1ELb1ES3_N6thrust23THRUST_200600_302600_NS6detail15normal_iteratorINS9_10device_ptrIjEEEENSB_INSC_IiEEEEiNS9_4plusIvEEiEEDaPvRmT3_T4_T5_mT6_P12ihipStream_tbENKUlT_T0_E_clISt17integral_constantIbLb1EESW_EEDaSR_SS_EUlSR_E_NS1_11comp_targetILNS1_3genE10ELNS1_11target_archE1200ELNS1_3gpuE4ELNS1_3repE0EEENS1_30default_config_static_selectorELNS0_4arch9wavefront6targetE1EEEvT1_
    .private_segment_fixed_size: 0
    .sgpr_count:     4
    .sgpr_spill_count: 0
    .symbol:         _ZN7rocprim17ROCPRIM_400000_NS6detail17trampoline_kernelINS0_14default_configENS1_20scan_config_selectorIiEEZZNS1_9scan_implILNS1_25lookback_scan_determinismE0ELb1ELb1ES3_N6thrust23THRUST_200600_302600_NS6detail15normal_iteratorINS9_10device_ptrIjEEEENSB_INSC_IiEEEEiNS9_4plusIvEEiEEDaPvRmT3_T4_T5_mT6_P12ihipStream_tbENKUlT_T0_E_clISt17integral_constantIbLb1EESW_EEDaSR_SS_EUlSR_E_NS1_11comp_targetILNS1_3genE10ELNS1_11target_archE1200ELNS1_3gpuE4ELNS1_3repE0EEENS1_30default_config_static_selectorELNS0_4arch9wavefront6targetE1EEEvT1_.kd
    .uniform_work_group_size: 1
    .uses_dynamic_stack: false
    .vgpr_count:     0
    .vgpr_spill_count: 0
    .wavefront_size: 64
  - .agpr_count:     0
    .args:
      - .offset:         0
        .size:           96
        .value_kind:     by_value
    .group_segment_fixed_size: 0
    .kernarg_segment_align: 8
    .kernarg_segment_size: 96
    .language:       OpenCL C
    .language_version:
      - 2
      - 0
    .max_flat_workgroup_size: 256
    .name:           _ZN7rocprim17ROCPRIM_400000_NS6detail17trampoline_kernelINS0_14default_configENS1_20scan_config_selectorIiEEZZNS1_9scan_implILNS1_25lookback_scan_determinismE0ELb1ELb1ES3_N6thrust23THRUST_200600_302600_NS6detail15normal_iteratorINS9_10device_ptrIjEEEENSB_INSC_IiEEEEiNS9_4plusIvEEiEEDaPvRmT3_T4_T5_mT6_P12ihipStream_tbENKUlT_T0_E_clISt17integral_constantIbLb1EESW_EEDaSR_SS_EUlSR_E_NS1_11comp_targetILNS1_3genE9ELNS1_11target_archE1100ELNS1_3gpuE3ELNS1_3repE0EEENS1_30default_config_static_selectorELNS0_4arch9wavefront6targetE1EEEvT1_
    .private_segment_fixed_size: 0
    .sgpr_count:     4
    .sgpr_spill_count: 0
    .symbol:         _ZN7rocprim17ROCPRIM_400000_NS6detail17trampoline_kernelINS0_14default_configENS1_20scan_config_selectorIiEEZZNS1_9scan_implILNS1_25lookback_scan_determinismE0ELb1ELb1ES3_N6thrust23THRUST_200600_302600_NS6detail15normal_iteratorINS9_10device_ptrIjEEEENSB_INSC_IiEEEEiNS9_4plusIvEEiEEDaPvRmT3_T4_T5_mT6_P12ihipStream_tbENKUlT_T0_E_clISt17integral_constantIbLb1EESW_EEDaSR_SS_EUlSR_E_NS1_11comp_targetILNS1_3genE9ELNS1_11target_archE1100ELNS1_3gpuE3ELNS1_3repE0EEENS1_30default_config_static_selectorELNS0_4arch9wavefront6targetE1EEEvT1_.kd
    .uniform_work_group_size: 1
    .uses_dynamic_stack: false
    .vgpr_count:     0
    .vgpr_spill_count: 0
    .wavefront_size: 64
  - .agpr_count:     0
    .args:
      - .offset:         0
        .size:           96
        .value_kind:     by_value
    .group_segment_fixed_size: 0
    .kernarg_segment_align: 8
    .kernarg_segment_size: 96
    .language:       OpenCL C
    .language_version:
      - 2
      - 0
    .max_flat_workgroup_size: 64
    .name:           _ZN7rocprim17ROCPRIM_400000_NS6detail17trampoline_kernelINS0_14default_configENS1_20scan_config_selectorIiEEZZNS1_9scan_implILNS1_25lookback_scan_determinismE0ELb1ELb1ES3_N6thrust23THRUST_200600_302600_NS6detail15normal_iteratorINS9_10device_ptrIjEEEENSB_INSC_IiEEEEiNS9_4plusIvEEiEEDaPvRmT3_T4_T5_mT6_P12ihipStream_tbENKUlT_T0_E_clISt17integral_constantIbLb1EESW_EEDaSR_SS_EUlSR_E_NS1_11comp_targetILNS1_3genE8ELNS1_11target_archE1030ELNS1_3gpuE2ELNS1_3repE0EEENS1_30default_config_static_selectorELNS0_4arch9wavefront6targetE1EEEvT1_
    .private_segment_fixed_size: 0
    .sgpr_count:     4
    .sgpr_spill_count: 0
    .symbol:         _ZN7rocprim17ROCPRIM_400000_NS6detail17trampoline_kernelINS0_14default_configENS1_20scan_config_selectorIiEEZZNS1_9scan_implILNS1_25lookback_scan_determinismE0ELb1ELb1ES3_N6thrust23THRUST_200600_302600_NS6detail15normal_iteratorINS9_10device_ptrIjEEEENSB_INSC_IiEEEEiNS9_4plusIvEEiEEDaPvRmT3_T4_T5_mT6_P12ihipStream_tbENKUlT_T0_E_clISt17integral_constantIbLb1EESW_EEDaSR_SS_EUlSR_E_NS1_11comp_targetILNS1_3genE8ELNS1_11target_archE1030ELNS1_3gpuE2ELNS1_3repE0EEENS1_30default_config_static_selectorELNS0_4arch9wavefront6targetE1EEEvT1_.kd
    .uniform_work_group_size: 1
    .uses_dynamic_stack: false
    .vgpr_count:     0
    .vgpr_spill_count: 0
    .wavefront_size: 64
  - .agpr_count:     0
    .args:
      - .offset:         0
        .size:           32
        .value_kind:     by_value
    .group_segment_fixed_size: 0
    .kernarg_segment_align: 8
    .kernarg_segment_size: 32
    .language:       OpenCL C
    .language_version:
      - 2
      - 0
    .max_flat_workgroup_size: 256
    .name:           _ZN7rocprim17ROCPRIM_400000_NS6detail17trampoline_kernelINS0_14default_configENS1_20scan_config_selectorIiEEZZNS1_9scan_implILNS1_25lookback_scan_determinismE0ELb1ELb1ES3_N6thrust23THRUST_200600_302600_NS6detail15normal_iteratorINS9_10device_ptrIjEEEENSB_INSC_IiEEEEiNS9_4plusIvEEiEEDaPvRmT3_T4_T5_mT6_P12ihipStream_tbENKUlT_T0_E_clISt17integral_constantIbLb1EESW_EEDaSR_SS_EUlSR_E0_NS1_11comp_targetILNS1_3genE0ELNS1_11target_archE4294967295ELNS1_3gpuE0ELNS1_3repE0EEENS1_30default_config_static_selectorELNS0_4arch9wavefront6targetE1EEEvT1_
    .private_segment_fixed_size: 0
    .sgpr_count:     4
    .sgpr_spill_count: 0
    .symbol:         _ZN7rocprim17ROCPRIM_400000_NS6detail17trampoline_kernelINS0_14default_configENS1_20scan_config_selectorIiEEZZNS1_9scan_implILNS1_25lookback_scan_determinismE0ELb1ELb1ES3_N6thrust23THRUST_200600_302600_NS6detail15normal_iteratorINS9_10device_ptrIjEEEENSB_INSC_IiEEEEiNS9_4plusIvEEiEEDaPvRmT3_T4_T5_mT6_P12ihipStream_tbENKUlT_T0_E_clISt17integral_constantIbLb1EESW_EEDaSR_SS_EUlSR_E0_NS1_11comp_targetILNS1_3genE0ELNS1_11target_archE4294967295ELNS1_3gpuE0ELNS1_3repE0EEENS1_30default_config_static_selectorELNS0_4arch9wavefront6targetE1EEEvT1_.kd
    .uniform_work_group_size: 1
    .uses_dynamic_stack: false
    .vgpr_count:     0
    .vgpr_spill_count: 0
    .wavefront_size: 64
  - .agpr_count:     0
    .args:
      - .offset:         0
        .size:           32
        .value_kind:     by_value
    .group_segment_fixed_size: 0
    .kernarg_segment_align: 8
    .kernarg_segment_size: 32
    .language:       OpenCL C
    .language_version:
      - 2
      - 0
    .max_flat_workgroup_size: 256
    .name:           _ZN7rocprim17ROCPRIM_400000_NS6detail17trampoline_kernelINS0_14default_configENS1_20scan_config_selectorIiEEZZNS1_9scan_implILNS1_25lookback_scan_determinismE0ELb1ELb1ES3_N6thrust23THRUST_200600_302600_NS6detail15normal_iteratorINS9_10device_ptrIjEEEENSB_INSC_IiEEEEiNS9_4plusIvEEiEEDaPvRmT3_T4_T5_mT6_P12ihipStream_tbENKUlT_T0_E_clISt17integral_constantIbLb1EESW_EEDaSR_SS_EUlSR_E0_NS1_11comp_targetILNS1_3genE5ELNS1_11target_archE942ELNS1_3gpuE9ELNS1_3repE0EEENS1_30default_config_static_selectorELNS0_4arch9wavefront6targetE1EEEvT1_
    .private_segment_fixed_size: 0
    .sgpr_count:     4
    .sgpr_spill_count: 0
    .symbol:         _ZN7rocprim17ROCPRIM_400000_NS6detail17trampoline_kernelINS0_14default_configENS1_20scan_config_selectorIiEEZZNS1_9scan_implILNS1_25lookback_scan_determinismE0ELb1ELb1ES3_N6thrust23THRUST_200600_302600_NS6detail15normal_iteratorINS9_10device_ptrIjEEEENSB_INSC_IiEEEEiNS9_4plusIvEEiEEDaPvRmT3_T4_T5_mT6_P12ihipStream_tbENKUlT_T0_E_clISt17integral_constantIbLb1EESW_EEDaSR_SS_EUlSR_E0_NS1_11comp_targetILNS1_3genE5ELNS1_11target_archE942ELNS1_3gpuE9ELNS1_3repE0EEENS1_30default_config_static_selectorELNS0_4arch9wavefront6targetE1EEEvT1_.kd
    .uniform_work_group_size: 1
    .uses_dynamic_stack: false
    .vgpr_count:     0
    .vgpr_spill_count: 0
    .wavefront_size: 64
  - .agpr_count:     0
    .args:
      - .offset:         0
        .size:           32
        .value_kind:     by_value
    .group_segment_fixed_size: 5120
    .kernarg_segment_align: 8
    .kernarg_segment_size: 32
    .language:       OpenCL C
    .language_version:
      - 2
      - 0
    .max_flat_workgroup_size: 128
    .name:           _ZN7rocprim17ROCPRIM_400000_NS6detail17trampoline_kernelINS0_14default_configENS1_20scan_config_selectorIiEEZZNS1_9scan_implILNS1_25lookback_scan_determinismE0ELb1ELb1ES3_N6thrust23THRUST_200600_302600_NS6detail15normal_iteratorINS9_10device_ptrIjEEEENSB_INSC_IiEEEEiNS9_4plusIvEEiEEDaPvRmT3_T4_T5_mT6_P12ihipStream_tbENKUlT_T0_E_clISt17integral_constantIbLb1EESW_EEDaSR_SS_EUlSR_E0_NS1_11comp_targetILNS1_3genE4ELNS1_11target_archE910ELNS1_3gpuE8ELNS1_3repE0EEENS1_30default_config_static_selectorELNS0_4arch9wavefront6targetE1EEEvT1_
    .private_segment_fixed_size: 0
    .sgpr_count:     29
    .sgpr_spill_count: 0
    .symbol:         _ZN7rocprim17ROCPRIM_400000_NS6detail17trampoline_kernelINS0_14default_configENS1_20scan_config_selectorIiEEZZNS1_9scan_implILNS1_25lookback_scan_determinismE0ELb1ELb1ES3_N6thrust23THRUST_200600_302600_NS6detail15normal_iteratorINS9_10device_ptrIjEEEENSB_INSC_IiEEEEiNS9_4plusIvEEiEEDaPvRmT3_T4_T5_mT6_P12ihipStream_tbENKUlT_T0_E_clISt17integral_constantIbLb1EESW_EEDaSR_SS_EUlSR_E0_NS1_11comp_targetILNS1_3genE4ELNS1_11target_archE910ELNS1_3gpuE8ELNS1_3repE0EEENS1_30default_config_static_selectorELNS0_4arch9wavefront6targetE1EEEvT1_.kd
    .uniform_work_group_size: 1
    .uses_dynamic_stack: false
    .vgpr_count:     18
    .vgpr_spill_count: 0
    .wavefront_size: 64
  - .agpr_count:     0
    .args:
      - .offset:         0
        .size:           32
        .value_kind:     by_value
    .group_segment_fixed_size: 0
    .kernarg_segment_align: 8
    .kernarg_segment_size: 32
    .language:       OpenCL C
    .language_version:
      - 2
      - 0
    .max_flat_workgroup_size: 256
    .name:           _ZN7rocprim17ROCPRIM_400000_NS6detail17trampoline_kernelINS0_14default_configENS1_20scan_config_selectorIiEEZZNS1_9scan_implILNS1_25lookback_scan_determinismE0ELb1ELb1ES3_N6thrust23THRUST_200600_302600_NS6detail15normal_iteratorINS9_10device_ptrIjEEEENSB_INSC_IiEEEEiNS9_4plusIvEEiEEDaPvRmT3_T4_T5_mT6_P12ihipStream_tbENKUlT_T0_E_clISt17integral_constantIbLb1EESW_EEDaSR_SS_EUlSR_E0_NS1_11comp_targetILNS1_3genE3ELNS1_11target_archE908ELNS1_3gpuE7ELNS1_3repE0EEENS1_30default_config_static_selectorELNS0_4arch9wavefront6targetE1EEEvT1_
    .private_segment_fixed_size: 0
    .sgpr_count:     4
    .sgpr_spill_count: 0
    .symbol:         _ZN7rocprim17ROCPRIM_400000_NS6detail17trampoline_kernelINS0_14default_configENS1_20scan_config_selectorIiEEZZNS1_9scan_implILNS1_25lookback_scan_determinismE0ELb1ELb1ES3_N6thrust23THRUST_200600_302600_NS6detail15normal_iteratorINS9_10device_ptrIjEEEENSB_INSC_IiEEEEiNS9_4plusIvEEiEEDaPvRmT3_T4_T5_mT6_P12ihipStream_tbENKUlT_T0_E_clISt17integral_constantIbLb1EESW_EEDaSR_SS_EUlSR_E0_NS1_11comp_targetILNS1_3genE3ELNS1_11target_archE908ELNS1_3gpuE7ELNS1_3repE0EEENS1_30default_config_static_selectorELNS0_4arch9wavefront6targetE1EEEvT1_.kd
    .uniform_work_group_size: 1
    .uses_dynamic_stack: false
    .vgpr_count:     0
    .vgpr_spill_count: 0
    .wavefront_size: 64
  - .agpr_count:     0
    .args:
      - .offset:         0
        .size:           32
        .value_kind:     by_value
    .group_segment_fixed_size: 0
    .kernarg_segment_align: 8
    .kernarg_segment_size: 32
    .language:       OpenCL C
    .language_version:
      - 2
      - 0
    .max_flat_workgroup_size: 256
    .name:           _ZN7rocprim17ROCPRIM_400000_NS6detail17trampoline_kernelINS0_14default_configENS1_20scan_config_selectorIiEEZZNS1_9scan_implILNS1_25lookback_scan_determinismE0ELb1ELb1ES3_N6thrust23THRUST_200600_302600_NS6detail15normal_iteratorINS9_10device_ptrIjEEEENSB_INSC_IiEEEEiNS9_4plusIvEEiEEDaPvRmT3_T4_T5_mT6_P12ihipStream_tbENKUlT_T0_E_clISt17integral_constantIbLb1EESW_EEDaSR_SS_EUlSR_E0_NS1_11comp_targetILNS1_3genE2ELNS1_11target_archE906ELNS1_3gpuE6ELNS1_3repE0EEENS1_30default_config_static_selectorELNS0_4arch9wavefront6targetE1EEEvT1_
    .private_segment_fixed_size: 0
    .sgpr_count:     4
    .sgpr_spill_count: 0
    .symbol:         _ZN7rocprim17ROCPRIM_400000_NS6detail17trampoline_kernelINS0_14default_configENS1_20scan_config_selectorIiEEZZNS1_9scan_implILNS1_25lookback_scan_determinismE0ELb1ELb1ES3_N6thrust23THRUST_200600_302600_NS6detail15normal_iteratorINS9_10device_ptrIjEEEENSB_INSC_IiEEEEiNS9_4plusIvEEiEEDaPvRmT3_T4_T5_mT6_P12ihipStream_tbENKUlT_T0_E_clISt17integral_constantIbLb1EESW_EEDaSR_SS_EUlSR_E0_NS1_11comp_targetILNS1_3genE2ELNS1_11target_archE906ELNS1_3gpuE6ELNS1_3repE0EEENS1_30default_config_static_selectorELNS0_4arch9wavefront6targetE1EEEvT1_.kd
    .uniform_work_group_size: 1
    .uses_dynamic_stack: false
    .vgpr_count:     0
    .vgpr_spill_count: 0
    .wavefront_size: 64
  - .agpr_count:     0
    .args:
      - .offset:         0
        .size:           32
        .value_kind:     by_value
    .group_segment_fixed_size: 0
    .kernarg_segment_align: 8
    .kernarg_segment_size: 32
    .language:       OpenCL C
    .language_version:
      - 2
      - 0
    .max_flat_workgroup_size: 256
    .name:           _ZN7rocprim17ROCPRIM_400000_NS6detail17trampoline_kernelINS0_14default_configENS1_20scan_config_selectorIiEEZZNS1_9scan_implILNS1_25lookback_scan_determinismE0ELb1ELb1ES3_N6thrust23THRUST_200600_302600_NS6detail15normal_iteratorINS9_10device_ptrIjEEEENSB_INSC_IiEEEEiNS9_4plusIvEEiEEDaPvRmT3_T4_T5_mT6_P12ihipStream_tbENKUlT_T0_E_clISt17integral_constantIbLb1EESW_EEDaSR_SS_EUlSR_E0_NS1_11comp_targetILNS1_3genE10ELNS1_11target_archE1201ELNS1_3gpuE5ELNS1_3repE0EEENS1_30default_config_static_selectorELNS0_4arch9wavefront6targetE1EEEvT1_
    .private_segment_fixed_size: 0
    .sgpr_count:     4
    .sgpr_spill_count: 0
    .symbol:         _ZN7rocprim17ROCPRIM_400000_NS6detail17trampoline_kernelINS0_14default_configENS1_20scan_config_selectorIiEEZZNS1_9scan_implILNS1_25lookback_scan_determinismE0ELb1ELb1ES3_N6thrust23THRUST_200600_302600_NS6detail15normal_iteratorINS9_10device_ptrIjEEEENSB_INSC_IiEEEEiNS9_4plusIvEEiEEDaPvRmT3_T4_T5_mT6_P12ihipStream_tbENKUlT_T0_E_clISt17integral_constantIbLb1EESW_EEDaSR_SS_EUlSR_E0_NS1_11comp_targetILNS1_3genE10ELNS1_11target_archE1201ELNS1_3gpuE5ELNS1_3repE0EEENS1_30default_config_static_selectorELNS0_4arch9wavefront6targetE1EEEvT1_.kd
    .uniform_work_group_size: 1
    .uses_dynamic_stack: false
    .vgpr_count:     0
    .vgpr_spill_count: 0
    .wavefront_size: 64
  - .agpr_count:     0
    .args:
      - .offset:         0
        .size:           32
        .value_kind:     by_value
    .group_segment_fixed_size: 0
    .kernarg_segment_align: 8
    .kernarg_segment_size: 32
    .language:       OpenCL C
    .language_version:
      - 2
      - 0
    .max_flat_workgroup_size: 256
    .name:           _ZN7rocprim17ROCPRIM_400000_NS6detail17trampoline_kernelINS0_14default_configENS1_20scan_config_selectorIiEEZZNS1_9scan_implILNS1_25lookback_scan_determinismE0ELb1ELb1ES3_N6thrust23THRUST_200600_302600_NS6detail15normal_iteratorINS9_10device_ptrIjEEEENSB_INSC_IiEEEEiNS9_4plusIvEEiEEDaPvRmT3_T4_T5_mT6_P12ihipStream_tbENKUlT_T0_E_clISt17integral_constantIbLb1EESW_EEDaSR_SS_EUlSR_E0_NS1_11comp_targetILNS1_3genE10ELNS1_11target_archE1200ELNS1_3gpuE4ELNS1_3repE0EEENS1_30default_config_static_selectorELNS0_4arch9wavefront6targetE1EEEvT1_
    .private_segment_fixed_size: 0
    .sgpr_count:     4
    .sgpr_spill_count: 0
    .symbol:         _ZN7rocprim17ROCPRIM_400000_NS6detail17trampoline_kernelINS0_14default_configENS1_20scan_config_selectorIiEEZZNS1_9scan_implILNS1_25lookback_scan_determinismE0ELb1ELb1ES3_N6thrust23THRUST_200600_302600_NS6detail15normal_iteratorINS9_10device_ptrIjEEEENSB_INSC_IiEEEEiNS9_4plusIvEEiEEDaPvRmT3_T4_T5_mT6_P12ihipStream_tbENKUlT_T0_E_clISt17integral_constantIbLb1EESW_EEDaSR_SS_EUlSR_E0_NS1_11comp_targetILNS1_3genE10ELNS1_11target_archE1200ELNS1_3gpuE4ELNS1_3repE0EEENS1_30default_config_static_selectorELNS0_4arch9wavefront6targetE1EEEvT1_.kd
    .uniform_work_group_size: 1
    .uses_dynamic_stack: false
    .vgpr_count:     0
    .vgpr_spill_count: 0
    .wavefront_size: 64
  - .agpr_count:     0
    .args:
      - .offset:         0
        .size:           32
        .value_kind:     by_value
    .group_segment_fixed_size: 0
    .kernarg_segment_align: 8
    .kernarg_segment_size: 32
    .language:       OpenCL C
    .language_version:
      - 2
      - 0
    .max_flat_workgroup_size: 256
    .name:           _ZN7rocprim17ROCPRIM_400000_NS6detail17trampoline_kernelINS0_14default_configENS1_20scan_config_selectorIiEEZZNS1_9scan_implILNS1_25lookback_scan_determinismE0ELb1ELb1ES3_N6thrust23THRUST_200600_302600_NS6detail15normal_iteratorINS9_10device_ptrIjEEEENSB_INSC_IiEEEEiNS9_4plusIvEEiEEDaPvRmT3_T4_T5_mT6_P12ihipStream_tbENKUlT_T0_E_clISt17integral_constantIbLb1EESW_EEDaSR_SS_EUlSR_E0_NS1_11comp_targetILNS1_3genE9ELNS1_11target_archE1100ELNS1_3gpuE3ELNS1_3repE0EEENS1_30default_config_static_selectorELNS0_4arch9wavefront6targetE1EEEvT1_
    .private_segment_fixed_size: 0
    .sgpr_count:     4
    .sgpr_spill_count: 0
    .symbol:         _ZN7rocprim17ROCPRIM_400000_NS6detail17trampoline_kernelINS0_14default_configENS1_20scan_config_selectorIiEEZZNS1_9scan_implILNS1_25lookback_scan_determinismE0ELb1ELb1ES3_N6thrust23THRUST_200600_302600_NS6detail15normal_iteratorINS9_10device_ptrIjEEEENSB_INSC_IiEEEEiNS9_4plusIvEEiEEDaPvRmT3_T4_T5_mT6_P12ihipStream_tbENKUlT_T0_E_clISt17integral_constantIbLb1EESW_EEDaSR_SS_EUlSR_E0_NS1_11comp_targetILNS1_3genE9ELNS1_11target_archE1100ELNS1_3gpuE3ELNS1_3repE0EEENS1_30default_config_static_selectorELNS0_4arch9wavefront6targetE1EEEvT1_.kd
    .uniform_work_group_size: 1
    .uses_dynamic_stack: false
    .vgpr_count:     0
    .vgpr_spill_count: 0
    .wavefront_size: 64
  - .agpr_count:     0
    .args:
      - .offset:         0
        .size:           32
        .value_kind:     by_value
    .group_segment_fixed_size: 0
    .kernarg_segment_align: 8
    .kernarg_segment_size: 32
    .language:       OpenCL C
    .language_version:
      - 2
      - 0
    .max_flat_workgroup_size: 64
    .name:           _ZN7rocprim17ROCPRIM_400000_NS6detail17trampoline_kernelINS0_14default_configENS1_20scan_config_selectorIiEEZZNS1_9scan_implILNS1_25lookback_scan_determinismE0ELb1ELb1ES3_N6thrust23THRUST_200600_302600_NS6detail15normal_iteratorINS9_10device_ptrIjEEEENSB_INSC_IiEEEEiNS9_4plusIvEEiEEDaPvRmT3_T4_T5_mT6_P12ihipStream_tbENKUlT_T0_E_clISt17integral_constantIbLb1EESW_EEDaSR_SS_EUlSR_E0_NS1_11comp_targetILNS1_3genE8ELNS1_11target_archE1030ELNS1_3gpuE2ELNS1_3repE0EEENS1_30default_config_static_selectorELNS0_4arch9wavefront6targetE1EEEvT1_
    .private_segment_fixed_size: 0
    .sgpr_count:     4
    .sgpr_spill_count: 0
    .symbol:         _ZN7rocprim17ROCPRIM_400000_NS6detail17trampoline_kernelINS0_14default_configENS1_20scan_config_selectorIiEEZZNS1_9scan_implILNS1_25lookback_scan_determinismE0ELb1ELb1ES3_N6thrust23THRUST_200600_302600_NS6detail15normal_iteratorINS9_10device_ptrIjEEEENSB_INSC_IiEEEEiNS9_4plusIvEEiEEDaPvRmT3_T4_T5_mT6_P12ihipStream_tbENKUlT_T0_E_clISt17integral_constantIbLb1EESW_EEDaSR_SS_EUlSR_E0_NS1_11comp_targetILNS1_3genE8ELNS1_11target_archE1030ELNS1_3gpuE2ELNS1_3repE0EEENS1_30default_config_static_selectorELNS0_4arch9wavefront6targetE1EEEvT1_.kd
    .uniform_work_group_size: 1
    .uses_dynamic_stack: false
    .vgpr_count:     0
    .vgpr_spill_count: 0
    .wavefront_size: 64
  - .agpr_count:     0
    .args:
      - .offset:         0
        .size:           96
        .value_kind:     by_value
    .group_segment_fixed_size: 0
    .kernarg_segment_align: 8
    .kernarg_segment_size: 96
    .language:       OpenCL C
    .language_version:
      - 2
      - 0
    .max_flat_workgroup_size: 256
    .name:           _ZN7rocprim17ROCPRIM_400000_NS6detail17trampoline_kernelINS0_14default_configENS1_20scan_config_selectorIiEEZZNS1_9scan_implILNS1_25lookback_scan_determinismE0ELb1ELb1ES3_N6thrust23THRUST_200600_302600_NS6detail15normal_iteratorINS9_10device_ptrIjEEEENSB_INSC_IiEEEEiNS9_4plusIvEEiEEDaPvRmT3_T4_T5_mT6_P12ihipStream_tbENKUlT_T0_E_clISt17integral_constantIbLb1EESV_IbLb0EEEEDaSR_SS_EUlSR_E_NS1_11comp_targetILNS1_3genE0ELNS1_11target_archE4294967295ELNS1_3gpuE0ELNS1_3repE0EEENS1_30default_config_static_selectorELNS0_4arch9wavefront6targetE1EEEvT1_
    .private_segment_fixed_size: 0
    .sgpr_count:     4
    .sgpr_spill_count: 0
    .symbol:         _ZN7rocprim17ROCPRIM_400000_NS6detail17trampoline_kernelINS0_14default_configENS1_20scan_config_selectorIiEEZZNS1_9scan_implILNS1_25lookback_scan_determinismE0ELb1ELb1ES3_N6thrust23THRUST_200600_302600_NS6detail15normal_iteratorINS9_10device_ptrIjEEEENSB_INSC_IiEEEEiNS9_4plusIvEEiEEDaPvRmT3_T4_T5_mT6_P12ihipStream_tbENKUlT_T0_E_clISt17integral_constantIbLb1EESV_IbLb0EEEEDaSR_SS_EUlSR_E_NS1_11comp_targetILNS1_3genE0ELNS1_11target_archE4294967295ELNS1_3gpuE0ELNS1_3repE0EEENS1_30default_config_static_selectorELNS0_4arch9wavefront6targetE1EEEvT1_.kd
    .uniform_work_group_size: 1
    .uses_dynamic_stack: false
    .vgpr_count:     0
    .vgpr_spill_count: 0
    .wavefront_size: 64
  - .agpr_count:     0
    .args:
      - .offset:         0
        .size:           96
        .value_kind:     by_value
    .group_segment_fixed_size: 0
    .kernarg_segment_align: 8
    .kernarg_segment_size: 96
    .language:       OpenCL C
    .language_version:
      - 2
      - 0
    .max_flat_workgroup_size: 256
    .name:           _ZN7rocprim17ROCPRIM_400000_NS6detail17trampoline_kernelINS0_14default_configENS1_20scan_config_selectorIiEEZZNS1_9scan_implILNS1_25lookback_scan_determinismE0ELb1ELb1ES3_N6thrust23THRUST_200600_302600_NS6detail15normal_iteratorINS9_10device_ptrIjEEEENSB_INSC_IiEEEEiNS9_4plusIvEEiEEDaPvRmT3_T4_T5_mT6_P12ihipStream_tbENKUlT_T0_E_clISt17integral_constantIbLb1EESV_IbLb0EEEEDaSR_SS_EUlSR_E_NS1_11comp_targetILNS1_3genE5ELNS1_11target_archE942ELNS1_3gpuE9ELNS1_3repE0EEENS1_30default_config_static_selectorELNS0_4arch9wavefront6targetE1EEEvT1_
    .private_segment_fixed_size: 0
    .sgpr_count:     4
    .sgpr_spill_count: 0
    .symbol:         _ZN7rocprim17ROCPRIM_400000_NS6detail17trampoline_kernelINS0_14default_configENS1_20scan_config_selectorIiEEZZNS1_9scan_implILNS1_25lookback_scan_determinismE0ELb1ELb1ES3_N6thrust23THRUST_200600_302600_NS6detail15normal_iteratorINS9_10device_ptrIjEEEENSB_INSC_IiEEEEiNS9_4plusIvEEiEEDaPvRmT3_T4_T5_mT6_P12ihipStream_tbENKUlT_T0_E_clISt17integral_constantIbLb1EESV_IbLb0EEEEDaSR_SS_EUlSR_E_NS1_11comp_targetILNS1_3genE5ELNS1_11target_archE942ELNS1_3gpuE9ELNS1_3repE0EEENS1_30default_config_static_selectorELNS0_4arch9wavefront6targetE1EEEvT1_.kd
    .uniform_work_group_size: 1
    .uses_dynamic_stack: false
    .vgpr_count:     0
    .vgpr_spill_count: 0
    .wavefront_size: 64
  - .agpr_count:     0
    .args:
      - .offset:         0
        .size:           96
        .value_kind:     by_value
    .group_segment_fixed_size: 5120
    .kernarg_segment_align: 8
    .kernarg_segment_size: 96
    .language:       OpenCL C
    .language_version:
      - 2
      - 0
    .max_flat_workgroup_size: 128
    .name:           _ZN7rocprim17ROCPRIM_400000_NS6detail17trampoline_kernelINS0_14default_configENS1_20scan_config_selectorIiEEZZNS1_9scan_implILNS1_25lookback_scan_determinismE0ELb1ELb1ES3_N6thrust23THRUST_200600_302600_NS6detail15normal_iteratorINS9_10device_ptrIjEEEENSB_INSC_IiEEEEiNS9_4plusIvEEiEEDaPvRmT3_T4_T5_mT6_P12ihipStream_tbENKUlT_T0_E_clISt17integral_constantIbLb1EESV_IbLb0EEEEDaSR_SS_EUlSR_E_NS1_11comp_targetILNS1_3genE4ELNS1_11target_archE910ELNS1_3gpuE8ELNS1_3repE0EEENS1_30default_config_static_selectorELNS0_4arch9wavefront6targetE1EEEvT1_
    .private_segment_fixed_size: 0
    .sgpr_count:     36
    .sgpr_spill_count: 0
    .symbol:         _ZN7rocprim17ROCPRIM_400000_NS6detail17trampoline_kernelINS0_14default_configENS1_20scan_config_selectorIiEEZZNS1_9scan_implILNS1_25lookback_scan_determinismE0ELb1ELb1ES3_N6thrust23THRUST_200600_302600_NS6detail15normal_iteratorINS9_10device_ptrIjEEEENSB_INSC_IiEEEEiNS9_4plusIvEEiEEDaPvRmT3_T4_T5_mT6_P12ihipStream_tbENKUlT_T0_E_clISt17integral_constantIbLb1EESV_IbLb0EEEEDaSR_SS_EUlSR_E_NS1_11comp_targetILNS1_3genE4ELNS1_11target_archE910ELNS1_3gpuE8ELNS1_3repE0EEENS1_30default_config_static_selectorELNS0_4arch9wavefront6targetE1EEEvT1_.kd
    .uniform_work_group_size: 1
    .uses_dynamic_stack: false
    .vgpr_count:     41
    .vgpr_spill_count: 0
    .wavefront_size: 64
  - .agpr_count:     0
    .args:
      - .offset:         0
        .size:           96
        .value_kind:     by_value
    .group_segment_fixed_size: 0
    .kernarg_segment_align: 8
    .kernarg_segment_size: 96
    .language:       OpenCL C
    .language_version:
      - 2
      - 0
    .max_flat_workgroup_size: 256
    .name:           _ZN7rocprim17ROCPRIM_400000_NS6detail17trampoline_kernelINS0_14default_configENS1_20scan_config_selectorIiEEZZNS1_9scan_implILNS1_25lookback_scan_determinismE0ELb1ELb1ES3_N6thrust23THRUST_200600_302600_NS6detail15normal_iteratorINS9_10device_ptrIjEEEENSB_INSC_IiEEEEiNS9_4plusIvEEiEEDaPvRmT3_T4_T5_mT6_P12ihipStream_tbENKUlT_T0_E_clISt17integral_constantIbLb1EESV_IbLb0EEEEDaSR_SS_EUlSR_E_NS1_11comp_targetILNS1_3genE3ELNS1_11target_archE908ELNS1_3gpuE7ELNS1_3repE0EEENS1_30default_config_static_selectorELNS0_4arch9wavefront6targetE1EEEvT1_
    .private_segment_fixed_size: 0
    .sgpr_count:     4
    .sgpr_spill_count: 0
    .symbol:         _ZN7rocprim17ROCPRIM_400000_NS6detail17trampoline_kernelINS0_14default_configENS1_20scan_config_selectorIiEEZZNS1_9scan_implILNS1_25lookback_scan_determinismE0ELb1ELb1ES3_N6thrust23THRUST_200600_302600_NS6detail15normal_iteratorINS9_10device_ptrIjEEEENSB_INSC_IiEEEEiNS9_4plusIvEEiEEDaPvRmT3_T4_T5_mT6_P12ihipStream_tbENKUlT_T0_E_clISt17integral_constantIbLb1EESV_IbLb0EEEEDaSR_SS_EUlSR_E_NS1_11comp_targetILNS1_3genE3ELNS1_11target_archE908ELNS1_3gpuE7ELNS1_3repE0EEENS1_30default_config_static_selectorELNS0_4arch9wavefront6targetE1EEEvT1_.kd
    .uniform_work_group_size: 1
    .uses_dynamic_stack: false
    .vgpr_count:     0
    .vgpr_spill_count: 0
    .wavefront_size: 64
  - .agpr_count:     0
    .args:
      - .offset:         0
        .size:           96
        .value_kind:     by_value
    .group_segment_fixed_size: 0
    .kernarg_segment_align: 8
    .kernarg_segment_size: 96
    .language:       OpenCL C
    .language_version:
      - 2
      - 0
    .max_flat_workgroup_size: 256
    .name:           _ZN7rocprim17ROCPRIM_400000_NS6detail17trampoline_kernelINS0_14default_configENS1_20scan_config_selectorIiEEZZNS1_9scan_implILNS1_25lookback_scan_determinismE0ELb1ELb1ES3_N6thrust23THRUST_200600_302600_NS6detail15normal_iteratorINS9_10device_ptrIjEEEENSB_INSC_IiEEEEiNS9_4plusIvEEiEEDaPvRmT3_T4_T5_mT6_P12ihipStream_tbENKUlT_T0_E_clISt17integral_constantIbLb1EESV_IbLb0EEEEDaSR_SS_EUlSR_E_NS1_11comp_targetILNS1_3genE2ELNS1_11target_archE906ELNS1_3gpuE6ELNS1_3repE0EEENS1_30default_config_static_selectorELNS0_4arch9wavefront6targetE1EEEvT1_
    .private_segment_fixed_size: 0
    .sgpr_count:     4
    .sgpr_spill_count: 0
    .symbol:         _ZN7rocprim17ROCPRIM_400000_NS6detail17trampoline_kernelINS0_14default_configENS1_20scan_config_selectorIiEEZZNS1_9scan_implILNS1_25lookback_scan_determinismE0ELb1ELb1ES3_N6thrust23THRUST_200600_302600_NS6detail15normal_iteratorINS9_10device_ptrIjEEEENSB_INSC_IiEEEEiNS9_4plusIvEEiEEDaPvRmT3_T4_T5_mT6_P12ihipStream_tbENKUlT_T0_E_clISt17integral_constantIbLb1EESV_IbLb0EEEEDaSR_SS_EUlSR_E_NS1_11comp_targetILNS1_3genE2ELNS1_11target_archE906ELNS1_3gpuE6ELNS1_3repE0EEENS1_30default_config_static_selectorELNS0_4arch9wavefront6targetE1EEEvT1_.kd
    .uniform_work_group_size: 1
    .uses_dynamic_stack: false
    .vgpr_count:     0
    .vgpr_spill_count: 0
    .wavefront_size: 64
  - .agpr_count:     0
    .args:
      - .offset:         0
        .size:           96
        .value_kind:     by_value
    .group_segment_fixed_size: 0
    .kernarg_segment_align: 8
    .kernarg_segment_size: 96
    .language:       OpenCL C
    .language_version:
      - 2
      - 0
    .max_flat_workgroup_size: 256
    .name:           _ZN7rocprim17ROCPRIM_400000_NS6detail17trampoline_kernelINS0_14default_configENS1_20scan_config_selectorIiEEZZNS1_9scan_implILNS1_25lookback_scan_determinismE0ELb1ELb1ES3_N6thrust23THRUST_200600_302600_NS6detail15normal_iteratorINS9_10device_ptrIjEEEENSB_INSC_IiEEEEiNS9_4plusIvEEiEEDaPvRmT3_T4_T5_mT6_P12ihipStream_tbENKUlT_T0_E_clISt17integral_constantIbLb1EESV_IbLb0EEEEDaSR_SS_EUlSR_E_NS1_11comp_targetILNS1_3genE10ELNS1_11target_archE1201ELNS1_3gpuE5ELNS1_3repE0EEENS1_30default_config_static_selectorELNS0_4arch9wavefront6targetE1EEEvT1_
    .private_segment_fixed_size: 0
    .sgpr_count:     4
    .sgpr_spill_count: 0
    .symbol:         _ZN7rocprim17ROCPRIM_400000_NS6detail17trampoline_kernelINS0_14default_configENS1_20scan_config_selectorIiEEZZNS1_9scan_implILNS1_25lookback_scan_determinismE0ELb1ELb1ES3_N6thrust23THRUST_200600_302600_NS6detail15normal_iteratorINS9_10device_ptrIjEEEENSB_INSC_IiEEEEiNS9_4plusIvEEiEEDaPvRmT3_T4_T5_mT6_P12ihipStream_tbENKUlT_T0_E_clISt17integral_constantIbLb1EESV_IbLb0EEEEDaSR_SS_EUlSR_E_NS1_11comp_targetILNS1_3genE10ELNS1_11target_archE1201ELNS1_3gpuE5ELNS1_3repE0EEENS1_30default_config_static_selectorELNS0_4arch9wavefront6targetE1EEEvT1_.kd
    .uniform_work_group_size: 1
    .uses_dynamic_stack: false
    .vgpr_count:     0
    .vgpr_spill_count: 0
    .wavefront_size: 64
  - .agpr_count:     0
    .args:
      - .offset:         0
        .size:           96
        .value_kind:     by_value
    .group_segment_fixed_size: 0
    .kernarg_segment_align: 8
    .kernarg_segment_size: 96
    .language:       OpenCL C
    .language_version:
      - 2
      - 0
    .max_flat_workgroup_size: 256
    .name:           _ZN7rocprim17ROCPRIM_400000_NS6detail17trampoline_kernelINS0_14default_configENS1_20scan_config_selectorIiEEZZNS1_9scan_implILNS1_25lookback_scan_determinismE0ELb1ELb1ES3_N6thrust23THRUST_200600_302600_NS6detail15normal_iteratorINS9_10device_ptrIjEEEENSB_INSC_IiEEEEiNS9_4plusIvEEiEEDaPvRmT3_T4_T5_mT6_P12ihipStream_tbENKUlT_T0_E_clISt17integral_constantIbLb1EESV_IbLb0EEEEDaSR_SS_EUlSR_E_NS1_11comp_targetILNS1_3genE10ELNS1_11target_archE1200ELNS1_3gpuE4ELNS1_3repE0EEENS1_30default_config_static_selectorELNS0_4arch9wavefront6targetE1EEEvT1_
    .private_segment_fixed_size: 0
    .sgpr_count:     4
    .sgpr_spill_count: 0
    .symbol:         _ZN7rocprim17ROCPRIM_400000_NS6detail17trampoline_kernelINS0_14default_configENS1_20scan_config_selectorIiEEZZNS1_9scan_implILNS1_25lookback_scan_determinismE0ELb1ELb1ES3_N6thrust23THRUST_200600_302600_NS6detail15normal_iteratorINS9_10device_ptrIjEEEENSB_INSC_IiEEEEiNS9_4plusIvEEiEEDaPvRmT3_T4_T5_mT6_P12ihipStream_tbENKUlT_T0_E_clISt17integral_constantIbLb1EESV_IbLb0EEEEDaSR_SS_EUlSR_E_NS1_11comp_targetILNS1_3genE10ELNS1_11target_archE1200ELNS1_3gpuE4ELNS1_3repE0EEENS1_30default_config_static_selectorELNS0_4arch9wavefront6targetE1EEEvT1_.kd
    .uniform_work_group_size: 1
    .uses_dynamic_stack: false
    .vgpr_count:     0
    .vgpr_spill_count: 0
    .wavefront_size: 64
  - .agpr_count:     0
    .args:
      - .offset:         0
        .size:           96
        .value_kind:     by_value
    .group_segment_fixed_size: 0
    .kernarg_segment_align: 8
    .kernarg_segment_size: 96
    .language:       OpenCL C
    .language_version:
      - 2
      - 0
    .max_flat_workgroup_size: 256
    .name:           _ZN7rocprim17ROCPRIM_400000_NS6detail17trampoline_kernelINS0_14default_configENS1_20scan_config_selectorIiEEZZNS1_9scan_implILNS1_25lookback_scan_determinismE0ELb1ELb1ES3_N6thrust23THRUST_200600_302600_NS6detail15normal_iteratorINS9_10device_ptrIjEEEENSB_INSC_IiEEEEiNS9_4plusIvEEiEEDaPvRmT3_T4_T5_mT6_P12ihipStream_tbENKUlT_T0_E_clISt17integral_constantIbLb1EESV_IbLb0EEEEDaSR_SS_EUlSR_E_NS1_11comp_targetILNS1_3genE9ELNS1_11target_archE1100ELNS1_3gpuE3ELNS1_3repE0EEENS1_30default_config_static_selectorELNS0_4arch9wavefront6targetE1EEEvT1_
    .private_segment_fixed_size: 0
    .sgpr_count:     4
    .sgpr_spill_count: 0
    .symbol:         _ZN7rocprim17ROCPRIM_400000_NS6detail17trampoline_kernelINS0_14default_configENS1_20scan_config_selectorIiEEZZNS1_9scan_implILNS1_25lookback_scan_determinismE0ELb1ELb1ES3_N6thrust23THRUST_200600_302600_NS6detail15normal_iteratorINS9_10device_ptrIjEEEENSB_INSC_IiEEEEiNS9_4plusIvEEiEEDaPvRmT3_T4_T5_mT6_P12ihipStream_tbENKUlT_T0_E_clISt17integral_constantIbLb1EESV_IbLb0EEEEDaSR_SS_EUlSR_E_NS1_11comp_targetILNS1_3genE9ELNS1_11target_archE1100ELNS1_3gpuE3ELNS1_3repE0EEENS1_30default_config_static_selectorELNS0_4arch9wavefront6targetE1EEEvT1_.kd
    .uniform_work_group_size: 1
    .uses_dynamic_stack: false
    .vgpr_count:     0
    .vgpr_spill_count: 0
    .wavefront_size: 64
  - .agpr_count:     0
    .args:
      - .offset:         0
        .size:           96
        .value_kind:     by_value
    .group_segment_fixed_size: 0
    .kernarg_segment_align: 8
    .kernarg_segment_size: 96
    .language:       OpenCL C
    .language_version:
      - 2
      - 0
    .max_flat_workgroup_size: 64
    .name:           _ZN7rocprim17ROCPRIM_400000_NS6detail17trampoline_kernelINS0_14default_configENS1_20scan_config_selectorIiEEZZNS1_9scan_implILNS1_25lookback_scan_determinismE0ELb1ELb1ES3_N6thrust23THRUST_200600_302600_NS6detail15normal_iteratorINS9_10device_ptrIjEEEENSB_INSC_IiEEEEiNS9_4plusIvEEiEEDaPvRmT3_T4_T5_mT6_P12ihipStream_tbENKUlT_T0_E_clISt17integral_constantIbLb1EESV_IbLb0EEEEDaSR_SS_EUlSR_E_NS1_11comp_targetILNS1_3genE8ELNS1_11target_archE1030ELNS1_3gpuE2ELNS1_3repE0EEENS1_30default_config_static_selectorELNS0_4arch9wavefront6targetE1EEEvT1_
    .private_segment_fixed_size: 0
    .sgpr_count:     4
    .sgpr_spill_count: 0
    .symbol:         _ZN7rocprim17ROCPRIM_400000_NS6detail17trampoline_kernelINS0_14default_configENS1_20scan_config_selectorIiEEZZNS1_9scan_implILNS1_25lookback_scan_determinismE0ELb1ELb1ES3_N6thrust23THRUST_200600_302600_NS6detail15normal_iteratorINS9_10device_ptrIjEEEENSB_INSC_IiEEEEiNS9_4plusIvEEiEEDaPvRmT3_T4_T5_mT6_P12ihipStream_tbENKUlT_T0_E_clISt17integral_constantIbLb1EESV_IbLb0EEEEDaSR_SS_EUlSR_E_NS1_11comp_targetILNS1_3genE8ELNS1_11target_archE1030ELNS1_3gpuE2ELNS1_3repE0EEENS1_30default_config_static_selectorELNS0_4arch9wavefront6targetE1EEEvT1_.kd
    .uniform_work_group_size: 1
    .uses_dynamic_stack: false
    .vgpr_count:     0
    .vgpr_spill_count: 0
    .wavefront_size: 64
  - .agpr_count:     0
    .args:
      - .offset:         0
        .size:           32
        .value_kind:     by_value
    .group_segment_fixed_size: 0
    .kernarg_segment_align: 8
    .kernarg_segment_size: 32
    .language:       OpenCL C
    .language_version:
      - 2
      - 0
    .max_flat_workgroup_size: 256
    .name:           _ZN7rocprim17ROCPRIM_400000_NS6detail17trampoline_kernelINS0_14default_configENS1_20scan_config_selectorIiEEZZNS1_9scan_implILNS1_25lookback_scan_determinismE0ELb1ELb1ES3_N6thrust23THRUST_200600_302600_NS6detail15normal_iteratorINS9_10device_ptrIjEEEENSB_INSC_IiEEEEiNS9_4plusIvEEiEEDaPvRmT3_T4_T5_mT6_P12ihipStream_tbENKUlT_T0_E_clISt17integral_constantIbLb1EESV_IbLb0EEEEDaSR_SS_EUlSR_E0_NS1_11comp_targetILNS1_3genE0ELNS1_11target_archE4294967295ELNS1_3gpuE0ELNS1_3repE0EEENS1_30default_config_static_selectorELNS0_4arch9wavefront6targetE1EEEvT1_
    .private_segment_fixed_size: 0
    .sgpr_count:     4
    .sgpr_spill_count: 0
    .symbol:         _ZN7rocprim17ROCPRIM_400000_NS6detail17trampoline_kernelINS0_14default_configENS1_20scan_config_selectorIiEEZZNS1_9scan_implILNS1_25lookback_scan_determinismE0ELb1ELb1ES3_N6thrust23THRUST_200600_302600_NS6detail15normal_iteratorINS9_10device_ptrIjEEEENSB_INSC_IiEEEEiNS9_4plusIvEEiEEDaPvRmT3_T4_T5_mT6_P12ihipStream_tbENKUlT_T0_E_clISt17integral_constantIbLb1EESV_IbLb0EEEEDaSR_SS_EUlSR_E0_NS1_11comp_targetILNS1_3genE0ELNS1_11target_archE4294967295ELNS1_3gpuE0ELNS1_3repE0EEENS1_30default_config_static_selectorELNS0_4arch9wavefront6targetE1EEEvT1_.kd
    .uniform_work_group_size: 1
    .uses_dynamic_stack: false
    .vgpr_count:     0
    .vgpr_spill_count: 0
    .wavefront_size: 64
  - .agpr_count:     0
    .args:
      - .offset:         0
        .size:           32
        .value_kind:     by_value
    .group_segment_fixed_size: 0
    .kernarg_segment_align: 8
    .kernarg_segment_size: 32
    .language:       OpenCL C
    .language_version:
      - 2
      - 0
    .max_flat_workgroup_size: 256
    .name:           _ZN7rocprim17ROCPRIM_400000_NS6detail17trampoline_kernelINS0_14default_configENS1_20scan_config_selectorIiEEZZNS1_9scan_implILNS1_25lookback_scan_determinismE0ELb1ELb1ES3_N6thrust23THRUST_200600_302600_NS6detail15normal_iteratorINS9_10device_ptrIjEEEENSB_INSC_IiEEEEiNS9_4plusIvEEiEEDaPvRmT3_T4_T5_mT6_P12ihipStream_tbENKUlT_T0_E_clISt17integral_constantIbLb1EESV_IbLb0EEEEDaSR_SS_EUlSR_E0_NS1_11comp_targetILNS1_3genE5ELNS1_11target_archE942ELNS1_3gpuE9ELNS1_3repE0EEENS1_30default_config_static_selectorELNS0_4arch9wavefront6targetE1EEEvT1_
    .private_segment_fixed_size: 0
    .sgpr_count:     4
    .sgpr_spill_count: 0
    .symbol:         _ZN7rocprim17ROCPRIM_400000_NS6detail17trampoline_kernelINS0_14default_configENS1_20scan_config_selectorIiEEZZNS1_9scan_implILNS1_25lookback_scan_determinismE0ELb1ELb1ES3_N6thrust23THRUST_200600_302600_NS6detail15normal_iteratorINS9_10device_ptrIjEEEENSB_INSC_IiEEEEiNS9_4plusIvEEiEEDaPvRmT3_T4_T5_mT6_P12ihipStream_tbENKUlT_T0_E_clISt17integral_constantIbLb1EESV_IbLb0EEEEDaSR_SS_EUlSR_E0_NS1_11comp_targetILNS1_3genE5ELNS1_11target_archE942ELNS1_3gpuE9ELNS1_3repE0EEENS1_30default_config_static_selectorELNS0_4arch9wavefront6targetE1EEEvT1_.kd
    .uniform_work_group_size: 1
    .uses_dynamic_stack: false
    .vgpr_count:     0
    .vgpr_spill_count: 0
    .wavefront_size: 64
  - .agpr_count:     0
    .args:
      - .offset:         0
        .size:           32
        .value_kind:     by_value
    .group_segment_fixed_size: 5120
    .kernarg_segment_align: 8
    .kernarg_segment_size: 32
    .language:       OpenCL C
    .language_version:
      - 2
      - 0
    .max_flat_workgroup_size: 128
    .name:           _ZN7rocprim17ROCPRIM_400000_NS6detail17trampoline_kernelINS0_14default_configENS1_20scan_config_selectorIiEEZZNS1_9scan_implILNS1_25lookback_scan_determinismE0ELb1ELb1ES3_N6thrust23THRUST_200600_302600_NS6detail15normal_iteratorINS9_10device_ptrIjEEEENSB_INSC_IiEEEEiNS9_4plusIvEEiEEDaPvRmT3_T4_T5_mT6_P12ihipStream_tbENKUlT_T0_E_clISt17integral_constantIbLb1EESV_IbLb0EEEEDaSR_SS_EUlSR_E0_NS1_11comp_targetILNS1_3genE4ELNS1_11target_archE910ELNS1_3gpuE8ELNS1_3repE0EEENS1_30default_config_static_selectorELNS0_4arch9wavefront6targetE1EEEvT1_
    .private_segment_fixed_size: 0
    .sgpr_count:     29
    .sgpr_spill_count: 0
    .symbol:         _ZN7rocprim17ROCPRIM_400000_NS6detail17trampoline_kernelINS0_14default_configENS1_20scan_config_selectorIiEEZZNS1_9scan_implILNS1_25lookback_scan_determinismE0ELb1ELb1ES3_N6thrust23THRUST_200600_302600_NS6detail15normal_iteratorINS9_10device_ptrIjEEEENSB_INSC_IiEEEEiNS9_4plusIvEEiEEDaPvRmT3_T4_T5_mT6_P12ihipStream_tbENKUlT_T0_E_clISt17integral_constantIbLb1EESV_IbLb0EEEEDaSR_SS_EUlSR_E0_NS1_11comp_targetILNS1_3genE4ELNS1_11target_archE910ELNS1_3gpuE8ELNS1_3repE0EEENS1_30default_config_static_selectorELNS0_4arch9wavefront6targetE1EEEvT1_.kd
    .uniform_work_group_size: 1
    .uses_dynamic_stack: false
    .vgpr_count:     18
    .vgpr_spill_count: 0
    .wavefront_size: 64
  - .agpr_count:     0
    .args:
      - .offset:         0
        .size:           32
        .value_kind:     by_value
    .group_segment_fixed_size: 0
    .kernarg_segment_align: 8
    .kernarg_segment_size: 32
    .language:       OpenCL C
    .language_version:
      - 2
      - 0
    .max_flat_workgroup_size: 256
    .name:           _ZN7rocprim17ROCPRIM_400000_NS6detail17trampoline_kernelINS0_14default_configENS1_20scan_config_selectorIiEEZZNS1_9scan_implILNS1_25lookback_scan_determinismE0ELb1ELb1ES3_N6thrust23THRUST_200600_302600_NS6detail15normal_iteratorINS9_10device_ptrIjEEEENSB_INSC_IiEEEEiNS9_4plusIvEEiEEDaPvRmT3_T4_T5_mT6_P12ihipStream_tbENKUlT_T0_E_clISt17integral_constantIbLb1EESV_IbLb0EEEEDaSR_SS_EUlSR_E0_NS1_11comp_targetILNS1_3genE3ELNS1_11target_archE908ELNS1_3gpuE7ELNS1_3repE0EEENS1_30default_config_static_selectorELNS0_4arch9wavefront6targetE1EEEvT1_
    .private_segment_fixed_size: 0
    .sgpr_count:     4
    .sgpr_spill_count: 0
    .symbol:         _ZN7rocprim17ROCPRIM_400000_NS6detail17trampoline_kernelINS0_14default_configENS1_20scan_config_selectorIiEEZZNS1_9scan_implILNS1_25lookback_scan_determinismE0ELb1ELb1ES3_N6thrust23THRUST_200600_302600_NS6detail15normal_iteratorINS9_10device_ptrIjEEEENSB_INSC_IiEEEEiNS9_4plusIvEEiEEDaPvRmT3_T4_T5_mT6_P12ihipStream_tbENKUlT_T0_E_clISt17integral_constantIbLb1EESV_IbLb0EEEEDaSR_SS_EUlSR_E0_NS1_11comp_targetILNS1_3genE3ELNS1_11target_archE908ELNS1_3gpuE7ELNS1_3repE0EEENS1_30default_config_static_selectorELNS0_4arch9wavefront6targetE1EEEvT1_.kd
    .uniform_work_group_size: 1
    .uses_dynamic_stack: false
    .vgpr_count:     0
    .vgpr_spill_count: 0
    .wavefront_size: 64
  - .agpr_count:     0
    .args:
      - .offset:         0
        .size:           32
        .value_kind:     by_value
    .group_segment_fixed_size: 0
    .kernarg_segment_align: 8
    .kernarg_segment_size: 32
    .language:       OpenCL C
    .language_version:
      - 2
      - 0
    .max_flat_workgroup_size: 256
    .name:           _ZN7rocprim17ROCPRIM_400000_NS6detail17trampoline_kernelINS0_14default_configENS1_20scan_config_selectorIiEEZZNS1_9scan_implILNS1_25lookback_scan_determinismE0ELb1ELb1ES3_N6thrust23THRUST_200600_302600_NS6detail15normal_iteratorINS9_10device_ptrIjEEEENSB_INSC_IiEEEEiNS9_4plusIvEEiEEDaPvRmT3_T4_T5_mT6_P12ihipStream_tbENKUlT_T0_E_clISt17integral_constantIbLb1EESV_IbLb0EEEEDaSR_SS_EUlSR_E0_NS1_11comp_targetILNS1_3genE2ELNS1_11target_archE906ELNS1_3gpuE6ELNS1_3repE0EEENS1_30default_config_static_selectorELNS0_4arch9wavefront6targetE1EEEvT1_
    .private_segment_fixed_size: 0
    .sgpr_count:     4
    .sgpr_spill_count: 0
    .symbol:         _ZN7rocprim17ROCPRIM_400000_NS6detail17trampoline_kernelINS0_14default_configENS1_20scan_config_selectorIiEEZZNS1_9scan_implILNS1_25lookback_scan_determinismE0ELb1ELb1ES3_N6thrust23THRUST_200600_302600_NS6detail15normal_iteratorINS9_10device_ptrIjEEEENSB_INSC_IiEEEEiNS9_4plusIvEEiEEDaPvRmT3_T4_T5_mT6_P12ihipStream_tbENKUlT_T0_E_clISt17integral_constantIbLb1EESV_IbLb0EEEEDaSR_SS_EUlSR_E0_NS1_11comp_targetILNS1_3genE2ELNS1_11target_archE906ELNS1_3gpuE6ELNS1_3repE0EEENS1_30default_config_static_selectorELNS0_4arch9wavefront6targetE1EEEvT1_.kd
    .uniform_work_group_size: 1
    .uses_dynamic_stack: false
    .vgpr_count:     0
    .vgpr_spill_count: 0
    .wavefront_size: 64
  - .agpr_count:     0
    .args:
      - .offset:         0
        .size:           32
        .value_kind:     by_value
    .group_segment_fixed_size: 0
    .kernarg_segment_align: 8
    .kernarg_segment_size: 32
    .language:       OpenCL C
    .language_version:
      - 2
      - 0
    .max_flat_workgroup_size: 256
    .name:           _ZN7rocprim17ROCPRIM_400000_NS6detail17trampoline_kernelINS0_14default_configENS1_20scan_config_selectorIiEEZZNS1_9scan_implILNS1_25lookback_scan_determinismE0ELb1ELb1ES3_N6thrust23THRUST_200600_302600_NS6detail15normal_iteratorINS9_10device_ptrIjEEEENSB_INSC_IiEEEEiNS9_4plusIvEEiEEDaPvRmT3_T4_T5_mT6_P12ihipStream_tbENKUlT_T0_E_clISt17integral_constantIbLb1EESV_IbLb0EEEEDaSR_SS_EUlSR_E0_NS1_11comp_targetILNS1_3genE10ELNS1_11target_archE1201ELNS1_3gpuE5ELNS1_3repE0EEENS1_30default_config_static_selectorELNS0_4arch9wavefront6targetE1EEEvT1_
    .private_segment_fixed_size: 0
    .sgpr_count:     4
    .sgpr_spill_count: 0
    .symbol:         _ZN7rocprim17ROCPRIM_400000_NS6detail17trampoline_kernelINS0_14default_configENS1_20scan_config_selectorIiEEZZNS1_9scan_implILNS1_25lookback_scan_determinismE0ELb1ELb1ES3_N6thrust23THRUST_200600_302600_NS6detail15normal_iteratorINS9_10device_ptrIjEEEENSB_INSC_IiEEEEiNS9_4plusIvEEiEEDaPvRmT3_T4_T5_mT6_P12ihipStream_tbENKUlT_T0_E_clISt17integral_constantIbLb1EESV_IbLb0EEEEDaSR_SS_EUlSR_E0_NS1_11comp_targetILNS1_3genE10ELNS1_11target_archE1201ELNS1_3gpuE5ELNS1_3repE0EEENS1_30default_config_static_selectorELNS0_4arch9wavefront6targetE1EEEvT1_.kd
    .uniform_work_group_size: 1
    .uses_dynamic_stack: false
    .vgpr_count:     0
    .vgpr_spill_count: 0
    .wavefront_size: 64
  - .agpr_count:     0
    .args:
      - .offset:         0
        .size:           32
        .value_kind:     by_value
    .group_segment_fixed_size: 0
    .kernarg_segment_align: 8
    .kernarg_segment_size: 32
    .language:       OpenCL C
    .language_version:
      - 2
      - 0
    .max_flat_workgroup_size: 256
    .name:           _ZN7rocprim17ROCPRIM_400000_NS6detail17trampoline_kernelINS0_14default_configENS1_20scan_config_selectorIiEEZZNS1_9scan_implILNS1_25lookback_scan_determinismE0ELb1ELb1ES3_N6thrust23THRUST_200600_302600_NS6detail15normal_iteratorINS9_10device_ptrIjEEEENSB_INSC_IiEEEEiNS9_4plusIvEEiEEDaPvRmT3_T4_T5_mT6_P12ihipStream_tbENKUlT_T0_E_clISt17integral_constantIbLb1EESV_IbLb0EEEEDaSR_SS_EUlSR_E0_NS1_11comp_targetILNS1_3genE10ELNS1_11target_archE1200ELNS1_3gpuE4ELNS1_3repE0EEENS1_30default_config_static_selectorELNS0_4arch9wavefront6targetE1EEEvT1_
    .private_segment_fixed_size: 0
    .sgpr_count:     4
    .sgpr_spill_count: 0
    .symbol:         _ZN7rocprim17ROCPRIM_400000_NS6detail17trampoline_kernelINS0_14default_configENS1_20scan_config_selectorIiEEZZNS1_9scan_implILNS1_25lookback_scan_determinismE0ELb1ELb1ES3_N6thrust23THRUST_200600_302600_NS6detail15normal_iteratorINS9_10device_ptrIjEEEENSB_INSC_IiEEEEiNS9_4plusIvEEiEEDaPvRmT3_T4_T5_mT6_P12ihipStream_tbENKUlT_T0_E_clISt17integral_constantIbLb1EESV_IbLb0EEEEDaSR_SS_EUlSR_E0_NS1_11comp_targetILNS1_3genE10ELNS1_11target_archE1200ELNS1_3gpuE4ELNS1_3repE0EEENS1_30default_config_static_selectorELNS0_4arch9wavefront6targetE1EEEvT1_.kd
    .uniform_work_group_size: 1
    .uses_dynamic_stack: false
    .vgpr_count:     0
    .vgpr_spill_count: 0
    .wavefront_size: 64
  - .agpr_count:     0
    .args:
      - .offset:         0
        .size:           32
        .value_kind:     by_value
    .group_segment_fixed_size: 0
    .kernarg_segment_align: 8
    .kernarg_segment_size: 32
    .language:       OpenCL C
    .language_version:
      - 2
      - 0
    .max_flat_workgroup_size: 256
    .name:           _ZN7rocprim17ROCPRIM_400000_NS6detail17trampoline_kernelINS0_14default_configENS1_20scan_config_selectorIiEEZZNS1_9scan_implILNS1_25lookback_scan_determinismE0ELb1ELb1ES3_N6thrust23THRUST_200600_302600_NS6detail15normal_iteratorINS9_10device_ptrIjEEEENSB_INSC_IiEEEEiNS9_4plusIvEEiEEDaPvRmT3_T4_T5_mT6_P12ihipStream_tbENKUlT_T0_E_clISt17integral_constantIbLb1EESV_IbLb0EEEEDaSR_SS_EUlSR_E0_NS1_11comp_targetILNS1_3genE9ELNS1_11target_archE1100ELNS1_3gpuE3ELNS1_3repE0EEENS1_30default_config_static_selectorELNS0_4arch9wavefront6targetE1EEEvT1_
    .private_segment_fixed_size: 0
    .sgpr_count:     4
    .sgpr_spill_count: 0
    .symbol:         _ZN7rocprim17ROCPRIM_400000_NS6detail17trampoline_kernelINS0_14default_configENS1_20scan_config_selectorIiEEZZNS1_9scan_implILNS1_25lookback_scan_determinismE0ELb1ELb1ES3_N6thrust23THRUST_200600_302600_NS6detail15normal_iteratorINS9_10device_ptrIjEEEENSB_INSC_IiEEEEiNS9_4plusIvEEiEEDaPvRmT3_T4_T5_mT6_P12ihipStream_tbENKUlT_T0_E_clISt17integral_constantIbLb1EESV_IbLb0EEEEDaSR_SS_EUlSR_E0_NS1_11comp_targetILNS1_3genE9ELNS1_11target_archE1100ELNS1_3gpuE3ELNS1_3repE0EEENS1_30default_config_static_selectorELNS0_4arch9wavefront6targetE1EEEvT1_.kd
    .uniform_work_group_size: 1
    .uses_dynamic_stack: false
    .vgpr_count:     0
    .vgpr_spill_count: 0
    .wavefront_size: 64
  - .agpr_count:     0
    .args:
      - .offset:         0
        .size:           32
        .value_kind:     by_value
    .group_segment_fixed_size: 0
    .kernarg_segment_align: 8
    .kernarg_segment_size: 32
    .language:       OpenCL C
    .language_version:
      - 2
      - 0
    .max_flat_workgroup_size: 64
    .name:           _ZN7rocprim17ROCPRIM_400000_NS6detail17trampoline_kernelINS0_14default_configENS1_20scan_config_selectorIiEEZZNS1_9scan_implILNS1_25lookback_scan_determinismE0ELb1ELb1ES3_N6thrust23THRUST_200600_302600_NS6detail15normal_iteratorINS9_10device_ptrIjEEEENSB_INSC_IiEEEEiNS9_4plusIvEEiEEDaPvRmT3_T4_T5_mT6_P12ihipStream_tbENKUlT_T0_E_clISt17integral_constantIbLb1EESV_IbLb0EEEEDaSR_SS_EUlSR_E0_NS1_11comp_targetILNS1_3genE8ELNS1_11target_archE1030ELNS1_3gpuE2ELNS1_3repE0EEENS1_30default_config_static_selectorELNS0_4arch9wavefront6targetE1EEEvT1_
    .private_segment_fixed_size: 0
    .sgpr_count:     4
    .sgpr_spill_count: 0
    .symbol:         _ZN7rocprim17ROCPRIM_400000_NS6detail17trampoline_kernelINS0_14default_configENS1_20scan_config_selectorIiEEZZNS1_9scan_implILNS1_25lookback_scan_determinismE0ELb1ELb1ES3_N6thrust23THRUST_200600_302600_NS6detail15normal_iteratorINS9_10device_ptrIjEEEENSB_INSC_IiEEEEiNS9_4plusIvEEiEEDaPvRmT3_T4_T5_mT6_P12ihipStream_tbENKUlT_T0_E_clISt17integral_constantIbLb1EESV_IbLb0EEEEDaSR_SS_EUlSR_E0_NS1_11comp_targetILNS1_3genE8ELNS1_11target_archE1030ELNS1_3gpuE2ELNS1_3repE0EEENS1_30default_config_static_selectorELNS0_4arch9wavefront6targetE1EEEvT1_.kd
    .uniform_work_group_size: 1
    .uses_dynamic_stack: false
    .vgpr_count:     0
    .vgpr_spill_count: 0
    .wavefront_size: 64
  - .agpr_count:     0
    .args:
      - .offset:         0
        .size:           96
        .value_kind:     by_value
    .group_segment_fixed_size: 0
    .kernarg_segment_align: 8
    .kernarg_segment_size: 96
    .language:       OpenCL C
    .language_version:
      - 2
      - 0
    .max_flat_workgroup_size: 256
    .name:           _ZN7rocprim17ROCPRIM_400000_NS6detail17trampoline_kernelINS0_14default_configENS1_20scan_config_selectorIiEEZZNS1_9scan_implILNS1_25lookback_scan_determinismE0ELb1ELb1ES3_N6thrust23THRUST_200600_302600_NS6detail15normal_iteratorINS9_10device_ptrIjEEEENSB_INSC_IiEEEEiNS9_4plusIvEEiEEDaPvRmT3_T4_T5_mT6_P12ihipStream_tbENKUlT_T0_E_clISt17integral_constantIbLb0EESV_IbLb1EEEEDaSR_SS_EUlSR_E_NS1_11comp_targetILNS1_3genE0ELNS1_11target_archE4294967295ELNS1_3gpuE0ELNS1_3repE0EEENS1_30default_config_static_selectorELNS0_4arch9wavefront6targetE1EEEvT1_
    .private_segment_fixed_size: 0
    .sgpr_count:     4
    .sgpr_spill_count: 0
    .symbol:         _ZN7rocprim17ROCPRIM_400000_NS6detail17trampoline_kernelINS0_14default_configENS1_20scan_config_selectorIiEEZZNS1_9scan_implILNS1_25lookback_scan_determinismE0ELb1ELb1ES3_N6thrust23THRUST_200600_302600_NS6detail15normal_iteratorINS9_10device_ptrIjEEEENSB_INSC_IiEEEEiNS9_4plusIvEEiEEDaPvRmT3_T4_T5_mT6_P12ihipStream_tbENKUlT_T0_E_clISt17integral_constantIbLb0EESV_IbLb1EEEEDaSR_SS_EUlSR_E_NS1_11comp_targetILNS1_3genE0ELNS1_11target_archE4294967295ELNS1_3gpuE0ELNS1_3repE0EEENS1_30default_config_static_selectorELNS0_4arch9wavefront6targetE1EEEvT1_.kd
    .uniform_work_group_size: 1
    .uses_dynamic_stack: false
    .vgpr_count:     0
    .vgpr_spill_count: 0
    .wavefront_size: 64
  - .agpr_count:     0
    .args:
      - .offset:         0
        .size:           96
        .value_kind:     by_value
    .group_segment_fixed_size: 0
    .kernarg_segment_align: 8
    .kernarg_segment_size: 96
    .language:       OpenCL C
    .language_version:
      - 2
      - 0
    .max_flat_workgroup_size: 256
    .name:           _ZN7rocprim17ROCPRIM_400000_NS6detail17trampoline_kernelINS0_14default_configENS1_20scan_config_selectorIiEEZZNS1_9scan_implILNS1_25lookback_scan_determinismE0ELb1ELb1ES3_N6thrust23THRUST_200600_302600_NS6detail15normal_iteratorINS9_10device_ptrIjEEEENSB_INSC_IiEEEEiNS9_4plusIvEEiEEDaPvRmT3_T4_T5_mT6_P12ihipStream_tbENKUlT_T0_E_clISt17integral_constantIbLb0EESV_IbLb1EEEEDaSR_SS_EUlSR_E_NS1_11comp_targetILNS1_3genE5ELNS1_11target_archE942ELNS1_3gpuE9ELNS1_3repE0EEENS1_30default_config_static_selectorELNS0_4arch9wavefront6targetE1EEEvT1_
    .private_segment_fixed_size: 0
    .sgpr_count:     4
    .sgpr_spill_count: 0
    .symbol:         _ZN7rocprim17ROCPRIM_400000_NS6detail17trampoline_kernelINS0_14default_configENS1_20scan_config_selectorIiEEZZNS1_9scan_implILNS1_25lookback_scan_determinismE0ELb1ELb1ES3_N6thrust23THRUST_200600_302600_NS6detail15normal_iteratorINS9_10device_ptrIjEEEENSB_INSC_IiEEEEiNS9_4plusIvEEiEEDaPvRmT3_T4_T5_mT6_P12ihipStream_tbENKUlT_T0_E_clISt17integral_constantIbLb0EESV_IbLb1EEEEDaSR_SS_EUlSR_E_NS1_11comp_targetILNS1_3genE5ELNS1_11target_archE942ELNS1_3gpuE9ELNS1_3repE0EEENS1_30default_config_static_selectorELNS0_4arch9wavefront6targetE1EEEvT1_.kd
    .uniform_work_group_size: 1
    .uses_dynamic_stack: false
    .vgpr_count:     0
    .vgpr_spill_count: 0
    .wavefront_size: 64
  - .agpr_count:     0
    .args:
      - .offset:         0
        .size:           96
        .value_kind:     by_value
    .group_segment_fixed_size: 5120
    .kernarg_segment_align: 8
    .kernarg_segment_size: 96
    .language:       OpenCL C
    .language_version:
      - 2
      - 0
    .max_flat_workgroup_size: 128
    .name:           _ZN7rocprim17ROCPRIM_400000_NS6detail17trampoline_kernelINS0_14default_configENS1_20scan_config_selectorIiEEZZNS1_9scan_implILNS1_25lookback_scan_determinismE0ELb1ELb1ES3_N6thrust23THRUST_200600_302600_NS6detail15normal_iteratorINS9_10device_ptrIjEEEENSB_INSC_IiEEEEiNS9_4plusIvEEiEEDaPvRmT3_T4_T5_mT6_P12ihipStream_tbENKUlT_T0_E_clISt17integral_constantIbLb0EESV_IbLb1EEEEDaSR_SS_EUlSR_E_NS1_11comp_targetILNS1_3genE4ELNS1_11target_archE910ELNS1_3gpuE8ELNS1_3repE0EEENS1_30default_config_static_selectorELNS0_4arch9wavefront6targetE1EEEvT1_
    .private_segment_fixed_size: 0
    .sgpr_count:     44
    .sgpr_spill_count: 0
    .symbol:         _ZN7rocprim17ROCPRIM_400000_NS6detail17trampoline_kernelINS0_14default_configENS1_20scan_config_selectorIiEEZZNS1_9scan_implILNS1_25lookback_scan_determinismE0ELb1ELb1ES3_N6thrust23THRUST_200600_302600_NS6detail15normal_iteratorINS9_10device_ptrIjEEEENSB_INSC_IiEEEEiNS9_4plusIvEEiEEDaPvRmT3_T4_T5_mT6_P12ihipStream_tbENKUlT_T0_E_clISt17integral_constantIbLb0EESV_IbLb1EEEEDaSR_SS_EUlSR_E_NS1_11comp_targetILNS1_3genE4ELNS1_11target_archE910ELNS1_3gpuE8ELNS1_3repE0EEENS1_30default_config_static_selectorELNS0_4arch9wavefront6targetE1EEEvT1_.kd
    .uniform_work_group_size: 1
    .uses_dynamic_stack: false
    .vgpr_count:     41
    .vgpr_spill_count: 0
    .wavefront_size: 64
  - .agpr_count:     0
    .args:
      - .offset:         0
        .size:           96
        .value_kind:     by_value
    .group_segment_fixed_size: 0
    .kernarg_segment_align: 8
    .kernarg_segment_size: 96
    .language:       OpenCL C
    .language_version:
      - 2
      - 0
    .max_flat_workgroup_size: 256
    .name:           _ZN7rocprim17ROCPRIM_400000_NS6detail17trampoline_kernelINS0_14default_configENS1_20scan_config_selectorIiEEZZNS1_9scan_implILNS1_25lookback_scan_determinismE0ELb1ELb1ES3_N6thrust23THRUST_200600_302600_NS6detail15normal_iteratorINS9_10device_ptrIjEEEENSB_INSC_IiEEEEiNS9_4plusIvEEiEEDaPvRmT3_T4_T5_mT6_P12ihipStream_tbENKUlT_T0_E_clISt17integral_constantIbLb0EESV_IbLb1EEEEDaSR_SS_EUlSR_E_NS1_11comp_targetILNS1_3genE3ELNS1_11target_archE908ELNS1_3gpuE7ELNS1_3repE0EEENS1_30default_config_static_selectorELNS0_4arch9wavefront6targetE1EEEvT1_
    .private_segment_fixed_size: 0
    .sgpr_count:     4
    .sgpr_spill_count: 0
    .symbol:         _ZN7rocprim17ROCPRIM_400000_NS6detail17trampoline_kernelINS0_14default_configENS1_20scan_config_selectorIiEEZZNS1_9scan_implILNS1_25lookback_scan_determinismE0ELb1ELb1ES3_N6thrust23THRUST_200600_302600_NS6detail15normal_iteratorINS9_10device_ptrIjEEEENSB_INSC_IiEEEEiNS9_4plusIvEEiEEDaPvRmT3_T4_T5_mT6_P12ihipStream_tbENKUlT_T0_E_clISt17integral_constantIbLb0EESV_IbLb1EEEEDaSR_SS_EUlSR_E_NS1_11comp_targetILNS1_3genE3ELNS1_11target_archE908ELNS1_3gpuE7ELNS1_3repE0EEENS1_30default_config_static_selectorELNS0_4arch9wavefront6targetE1EEEvT1_.kd
    .uniform_work_group_size: 1
    .uses_dynamic_stack: false
    .vgpr_count:     0
    .vgpr_spill_count: 0
    .wavefront_size: 64
  - .agpr_count:     0
    .args:
      - .offset:         0
        .size:           96
        .value_kind:     by_value
    .group_segment_fixed_size: 0
    .kernarg_segment_align: 8
    .kernarg_segment_size: 96
    .language:       OpenCL C
    .language_version:
      - 2
      - 0
    .max_flat_workgroup_size: 256
    .name:           _ZN7rocprim17ROCPRIM_400000_NS6detail17trampoline_kernelINS0_14default_configENS1_20scan_config_selectorIiEEZZNS1_9scan_implILNS1_25lookback_scan_determinismE0ELb1ELb1ES3_N6thrust23THRUST_200600_302600_NS6detail15normal_iteratorINS9_10device_ptrIjEEEENSB_INSC_IiEEEEiNS9_4plusIvEEiEEDaPvRmT3_T4_T5_mT6_P12ihipStream_tbENKUlT_T0_E_clISt17integral_constantIbLb0EESV_IbLb1EEEEDaSR_SS_EUlSR_E_NS1_11comp_targetILNS1_3genE2ELNS1_11target_archE906ELNS1_3gpuE6ELNS1_3repE0EEENS1_30default_config_static_selectorELNS0_4arch9wavefront6targetE1EEEvT1_
    .private_segment_fixed_size: 0
    .sgpr_count:     4
    .sgpr_spill_count: 0
    .symbol:         _ZN7rocprim17ROCPRIM_400000_NS6detail17trampoline_kernelINS0_14default_configENS1_20scan_config_selectorIiEEZZNS1_9scan_implILNS1_25lookback_scan_determinismE0ELb1ELb1ES3_N6thrust23THRUST_200600_302600_NS6detail15normal_iteratorINS9_10device_ptrIjEEEENSB_INSC_IiEEEEiNS9_4plusIvEEiEEDaPvRmT3_T4_T5_mT6_P12ihipStream_tbENKUlT_T0_E_clISt17integral_constantIbLb0EESV_IbLb1EEEEDaSR_SS_EUlSR_E_NS1_11comp_targetILNS1_3genE2ELNS1_11target_archE906ELNS1_3gpuE6ELNS1_3repE0EEENS1_30default_config_static_selectorELNS0_4arch9wavefront6targetE1EEEvT1_.kd
    .uniform_work_group_size: 1
    .uses_dynamic_stack: false
    .vgpr_count:     0
    .vgpr_spill_count: 0
    .wavefront_size: 64
  - .agpr_count:     0
    .args:
      - .offset:         0
        .size:           96
        .value_kind:     by_value
    .group_segment_fixed_size: 0
    .kernarg_segment_align: 8
    .kernarg_segment_size: 96
    .language:       OpenCL C
    .language_version:
      - 2
      - 0
    .max_flat_workgroup_size: 256
    .name:           _ZN7rocprim17ROCPRIM_400000_NS6detail17trampoline_kernelINS0_14default_configENS1_20scan_config_selectorIiEEZZNS1_9scan_implILNS1_25lookback_scan_determinismE0ELb1ELb1ES3_N6thrust23THRUST_200600_302600_NS6detail15normal_iteratorINS9_10device_ptrIjEEEENSB_INSC_IiEEEEiNS9_4plusIvEEiEEDaPvRmT3_T4_T5_mT6_P12ihipStream_tbENKUlT_T0_E_clISt17integral_constantIbLb0EESV_IbLb1EEEEDaSR_SS_EUlSR_E_NS1_11comp_targetILNS1_3genE10ELNS1_11target_archE1201ELNS1_3gpuE5ELNS1_3repE0EEENS1_30default_config_static_selectorELNS0_4arch9wavefront6targetE1EEEvT1_
    .private_segment_fixed_size: 0
    .sgpr_count:     4
    .sgpr_spill_count: 0
    .symbol:         _ZN7rocprim17ROCPRIM_400000_NS6detail17trampoline_kernelINS0_14default_configENS1_20scan_config_selectorIiEEZZNS1_9scan_implILNS1_25lookback_scan_determinismE0ELb1ELb1ES3_N6thrust23THRUST_200600_302600_NS6detail15normal_iteratorINS9_10device_ptrIjEEEENSB_INSC_IiEEEEiNS9_4plusIvEEiEEDaPvRmT3_T4_T5_mT6_P12ihipStream_tbENKUlT_T0_E_clISt17integral_constantIbLb0EESV_IbLb1EEEEDaSR_SS_EUlSR_E_NS1_11comp_targetILNS1_3genE10ELNS1_11target_archE1201ELNS1_3gpuE5ELNS1_3repE0EEENS1_30default_config_static_selectorELNS0_4arch9wavefront6targetE1EEEvT1_.kd
    .uniform_work_group_size: 1
    .uses_dynamic_stack: false
    .vgpr_count:     0
    .vgpr_spill_count: 0
    .wavefront_size: 64
  - .agpr_count:     0
    .args:
      - .offset:         0
        .size:           96
        .value_kind:     by_value
    .group_segment_fixed_size: 0
    .kernarg_segment_align: 8
    .kernarg_segment_size: 96
    .language:       OpenCL C
    .language_version:
      - 2
      - 0
    .max_flat_workgroup_size: 256
    .name:           _ZN7rocprim17ROCPRIM_400000_NS6detail17trampoline_kernelINS0_14default_configENS1_20scan_config_selectorIiEEZZNS1_9scan_implILNS1_25lookback_scan_determinismE0ELb1ELb1ES3_N6thrust23THRUST_200600_302600_NS6detail15normal_iteratorINS9_10device_ptrIjEEEENSB_INSC_IiEEEEiNS9_4plusIvEEiEEDaPvRmT3_T4_T5_mT6_P12ihipStream_tbENKUlT_T0_E_clISt17integral_constantIbLb0EESV_IbLb1EEEEDaSR_SS_EUlSR_E_NS1_11comp_targetILNS1_3genE10ELNS1_11target_archE1200ELNS1_3gpuE4ELNS1_3repE0EEENS1_30default_config_static_selectorELNS0_4arch9wavefront6targetE1EEEvT1_
    .private_segment_fixed_size: 0
    .sgpr_count:     4
    .sgpr_spill_count: 0
    .symbol:         _ZN7rocprim17ROCPRIM_400000_NS6detail17trampoline_kernelINS0_14default_configENS1_20scan_config_selectorIiEEZZNS1_9scan_implILNS1_25lookback_scan_determinismE0ELb1ELb1ES3_N6thrust23THRUST_200600_302600_NS6detail15normal_iteratorINS9_10device_ptrIjEEEENSB_INSC_IiEEEEiNS9_4plusIvEEiEEDaPvRmT3_T4_T5_mT6_P12ihipStream_tbENKUlT_T0_E_clISt17integral_constantIbLb0EESV_IbLb1EEEEDaSR_SS_EUlSR_E_NS1_11comp_targetILNS1_3genE10ELNS1_11target_archE1200ELNS1_3gpuE4ELNS1_3repE0EEENS1_30default_config_static_selectorELNS0_4arch9wavefront6targetE1EEEvT1_.kd
    .uniform_work_group_size: 1
    .uses_dynamic_stack: false
    .vgpr_count:     0
    .vgpr_spill_count: 0
    .wavefront_size: 64
  - .agpr_count:     0
    .args:
      - .offset:         0
        .size:           96
        .value_kind:     by_value
    .group_segment_fixed_size: 0
    .kernarg_segment_align: 8
    .kernarg_segment_size: 96
    .language:       OpenCL C
    .language_version:
      - 2
      - 0
    .max_flat_workgroup_size: 256
    .name:           _ZN7rocprim17ROCPRIM_400000_NS6detail17trampoline_kernelINS0_14default_configENS1_20scan_config_selectorIiEEZZNS1_9scan_implILNS1_25lookback_scan_determinismE0ELb1ELb1ES3_N6thrust23THRUST_200600_302600_NS6detail15normal_iteratorINS9_10device_ptrIjEEEENSB_INSC_IiEEEEiNS9_4plusIvEEiEEDaPvRmT3_T4_T5_mT6_P12ihipStream_tbENKUlT_T0_E_clISt17integral_constantIbLb0EESV_IbLb1EEEEDaSR_SS_EUlSR_E_NS1_11comp_targetILNS1_3genE9ELNS1_11target_archE1100ELNS1_3gpuE3ELNS1_3repE0EEENS1_30default_config_static_selectorELNS0_4arch9wavefront6targetE1EEEvT1_
    .private_segment_fixed_size: 0
    .sgpr_count:     4
    .sgpr_spill_count: 0
    .symbol:         _ZN7rocprim17ROCPRIM_400000_NS6detail17trampoline_kernelINS0_14default_configENS1_20scan_config_selectorIiEEZZNS1_9scan_implILNS1_25lookback_scan_determinismE0ELb1ELb1ES3_N6thrust23THRUST_200600_302600_NS6detail15normal_iteratorINS9_10device_ptrIjEEEENSB_INSC_IiEEEEiNS9_4plusIvEEiEEDaPvRmT3_T4_T5_mT6_P12ihipStream_tbENKUlT_T0_E_clISt17integral_constantIbLb0EESV_IbLb1EEEEDaSR_SS_EUlSR_E_NS1_11comp_targetILNS1_3genE9ELNS1_11target_archE1100ELNS1_3gpuE3ELNS1_3repE0EEENS1_30default_config_static_selectorELNS0_4arch9wavefront6targetE1EEEvT1_.kd
    .uniform_work_group_size: 1
    .uses_dynamic_stack: false
    .vgpr_count:     0
    .vgpr_spill_count: 0
    .wavefront_size: 64
  - .agpr_count:     0
    .args:
      - .offset:         0
        .size:           96
        .value_kind:     by_value
    .group_segment_fixed_size: 0
    .kernarg_segment_align: 8
    .kernarg_segment_size: 96
    .language:       OpenCL C
    .language_version:
      - 2
      - 0
    .max_flat_workgroup_size: 64
    .name:           _ZN7rocprim17ROCPRIM_400000_NS6detail17trampoline_kernelINS0_14default_configENS1_20scan_config_selectorIiEEZZNS1_9scan_implILNS1_25lookback_scan_determinismE0ELb1ELb1ES3_N6thrust23THRUST_200600_302600_NS6detail15normal_iteratorINS9_10device_ptrIjEEEENSB_INSC_IiEEEEiNS9_4plusIvEEiEEDaPvRmT3_T4_T5_mT6_P12ihipStream_tbENKUlT_T0_E_clISt17integral_constantIbLb0EESV_IbLb1EEEEDaSR_SS_EUlSR_E_NS1_11comp_targetILNS1_3genE8ELNS1_11target_archE1030ELNS1_3gpuE2ELNS1_3repE0EEENS1_30default_config_static_selectorELNS0_4arch9wavefront6targetE1EEEvT1_
    .private_segment_fixed_size: 0
    .sgpr_count:     4
    .sgpr_spill_count: 0
    .symbol:         _ZN7rocprim17ROCPRIM_400000_NS6detail17trampoline_kernelINS0_14default_configENS1_20scan_config_selectorIiEEZZNS1_9scan_implILNS1_25lookback_scan_determinismE0ELb1ELb1ES3_N6thrust23THRUST_200600_302600_NS6detail15normal_iteratorINS9_10device_ptrIjEEEENSB_INSC_IiEEEEiNS9_4plusIvEEiEEDaPvRmT3_T4_T5_mT6_P12ihipStream_tbENKUlT_T0_E_clISt17integral_constantIbLb0EESV_IbLb1EEEEDaSR_SS_EUlSR_E_NS1_11comp_targetILNS1_3genE8ELNS1_11target_archE1030ELNS1_3gpuE2ELNS1_3repE0EEENS1_30default_config_static_selectorELNS0_4arch9wavefront6targetE1EEEvT1_.kd
    .uniform_work_group_size: 1
    .uses_dynamic_stack: false
    .vgpr_count:     0
    .vgpr_spill_count: 0
    .wavefront_size: 64
  - .agpr_count:     0
    .args:
      - .offset:         0
        .size:           32
        .value_kind:     by_value
    .group_segment_fixed_size: 0
    .kernarg_segment_align: 8
    .kernarg_segment_size: 32
    .language:       OpenCL C
    .language_version:
      - 2
      - 0
    .max_flat_workgroup_size: 256
    .name:           _ZN7rocprim17ROCPRIM_400000_NS6detail17trampoline_kernelINS0_14default_configENS1_20scan_config_selectorIiEEZZNS1_9scan_implILNS1_25lookback_scan_determinismE0ELb1ELb1ES3_N6thrust23THRUST_200600_302600_NS6detail15normal_iteratorINS9_10device_ptrIjEEEENSB_INSC_IiEEEEiNS9_4plusIvEEiEEDaPvRmT3_T4_T5_mT6_P12ihipStream_tbENKUlT_T0_E_clISt17integral_constantIbLb0EESV_IbLb1EEEEDaSR_SS_EUlSR_E0_NS1_11comp_targetILNS1_3genE0ELNS1_11target_archE4294967295ELNS1_3gpuE0ELNS1_3repE0EEENS1_30default_config_static_selectorELNS0_4arch9wavefront6targetE1EEEvT1_
    .private_segment_fixed_size: 0
    .sgpr_count:     4
    .sgpr_spill_count: 0
    .symbol:         _ZN7rocprim17ROCPRIM_400000_NS6detail17trampoline_kernelINS0_14default_configENS1_20scan_config_selectorIiEEZZNS1_9scan_implILNS1_25lookback_scan_determinismE0ELb1ELb1ES3_N6thrust23THRUST_200600_302600_NS6detail15normal_iteratorINS9_10device_ptrIjEEEENSB_INSC_IiEEEEiNS9_4plusIvEEiEEDaPvRmT3_T4_T5_mT6_P12ihipStream_tbENKUlT_T0_E_clISt17integral_constantIbLb0EESV_IbLb1EEEEDaSR_SS_EUlSR_E0_NS1_11comp_targetILNS1_3genE0ELNS1_11target_archE4294967295ELNS1_3gpuE0ELNS1_3repE0EEENS1_30default_config_static_selectorELNS0_4arch9wavefront6targetE1EEEvT1_.kd
    .uniform_work_group_size: 1
    .uses_dynamic_stack: false
    .vgpr_count:     0
    .vgpr_spill_count: 0
    .wavefront_size: 64
  - .agpr_count:     0
    .args:
      - .offset:         0
        .size:           32
        .value_kind:     by_value
    .group_segment_fixed_size: 0
    .kernarg_segment_align: 8
    .kernarg_segment_size: 32
    .language:       OpenCL C
    .language_version:
      - 2
      - 0
    .max_flat_workgroup_size: 256
    .name:           _ZN7rocprim17ROCPRIM_400000_NS6detail17trampoline_kernelINS0_14default_configENS1_20scan_config_selectorIiEEZZNS1_9scan_implILNS1_25lookback_scan_determinismE0ELb1ELb1ES3_N6thrust23THRUST_200600_302600_NS6detail15normal_iteratorINS9_10device_ptrIjEEEENSB_INSC_IiEEEEiNS9_4plusIvEEiEEDaPvRmT3_T4_T5_mT6_P12ihipStream_tbENKUlT_T0_E_clISt17integral_constantIbLb0EESV_IbLb1EEEEDaSR_SS_EUlSR_E0_NS1_11comp_targetILNS1_3genE5ELNS1_11target_archE942ELNS1_3gpuE9ELNS1_3repE0EEENS1_30default_config_static_selectorELNS0_4arch9wavefront6targetE1EEEvT1_
    .private_segment_fixed_size: 0
    .sgpr_count:     4
    .sgpr_spill_count: 0
    .symbol:         _ZN7rocprim17ROCPRIM_400000_NS6detail17trampoline_kernelINS0_14default_configENS1_20scan_config_selectorIiEEZZNS1_9scan_implILNS1_25lookback_scan_determinismE0ELb1ELb1ES3_N6thrust23THRUST_200600_302600_NS6detail15normal_iteratorINS9_10device_ptrIjEEEENSB_INSC_IiEEEEiNS9_4plusIvEEiEEDaPvRmT3_T4_T5_mT6_P12ihipStream_tbENKUlT_T0_E_clISt17integral_constantIbLb0EESV_IbLb1EEEEDaSR_SS_EUlSR_E0_NS1_11comp_targetILNS1_3genE5ELNS1_11target_archE942ELNS1_3gpuE9ELNS1_3repE0EEENS1_30default_config_static_selectorELNS0_4arch9wavefront6targetE1EEEvT1_.kd
    .uniform_work_group_size: 1
    .uses_dynamic_stack: false
    .vgpr_count:     0
    .vgpr_spill_count: 0
    .wavefront_size: 64
  - .agpr_count:     0
    .args:
      - .offset:         0
        .size:           32
        .value_kind:     by_value
    .group_segment_fixed_size: 5120
    .kernarg_segment_align: 8
    .kernarg_segment_size: 32
    .language:       OpenCL C
    .language_version:
      - 2
      - 0
    .max_flat_workgroup_size: 128
    .name:           _ZN7rocprim17ROCPRIM_400000_NS6detail17trampoline_kernelINS0_14default_configENS1_20scan_config_selectorIiEEZZNS1_9scan_implILNS1_25lookback_scan_determinismE0ELb1ELb1ES3_N6thrust23THRUST_200600_302600_NS6detail15normal_iteratorINS9_10device_ptrIjEEEENSB_INSC_IiEEEEiNS9_4plusIvEEiEEDaPvRmT3_T4_T5_mT6_P12ihipStream_tbENKUlT_T0_E_clISt17integral_constantIbLb0EESV_IbLb1EEEEDaSR_SS_EUlSR_E0_NS1_11comp_targetILNS1_3genE4ELNS1_11target_archE910ELNS1_3gpuE8ELNS1_3repE0EEENS1_30default_config_static_selectorELNS0_4arch9wavefront6targetE1EEEvT1_
    .private_segment_fixed_size: 0
    .sgpr_count:     29
    .sgpr_spill_count: 0
    .symbol:         _ZN7rocprim17ROCPRIM_400000_NS6detail17trampoline_kernelINS0_14default_configENS1_20scan_config_selectorIiEEZZNS1_9scan_implILNS1_25lookback_scan_determinismE0ELb1ELb1ES3_N6thrust23THRUST_200600_302600_NS6detail15normal_iteratorINS9_10device_ptrIjEEEENSB_INSC_IiEEEEiNS9_4plusIvEEiEEDaPvRmT3_T4_T5_mT6_P12ihipStream_tbENKUlT_T0_E_clISt17integral_constantIbLb0EESV_IbLb1EEEEDaSR_SS_EUlSR_E0_NS1_11comp_targetILNS1_3genE4ELNS1_11target_archE910ELNS1_3gpuE8ELNS1_3repE0EEENS1_30default_config_static_selectorELNS0_4arch9wavefront6targetE1EEEvT1_.kd
    .uniform_work_group_size: 1
    .uses_dynamic_stack: false
    .vgpr_count:     18
    .vgpr_spill_count: 0
    .wavefront_size: 64
  - .agpr_count:     0
    .args:
      - .offset:         0
        .size:           32
        .value_kind:     by_value
    .group_segment_fixed_size: 0
    .kernarg_segment_align: 8
    .kernarg_segment_size: 32
    .language:       OpenCL C
    .language_version:
      - 2
      - 0
    .max_flat_workgroup_size: 256
    .name:           _ZN7rocprim17ROCPRIM_400000_NS6detail17trampoline_kernelINS0_14default_configENS1_20scan_config_selectorIiEEZZNS1_9scan_implILNS1_25lookback_scan_determinismE0ELb1ELb1ES3_N6thrust23THRUST_200600_302600_NS6detail15normal_iteratorINS9_10device_ptrIjEEEENSB_INSC_IiEEEEiNS9_4plusIvEEiEEDaPvRmT3_T4_T5_mT6_P12ihipStream_tbENKUlT_T0_E_clISt17integral_constantIbLb0EESV_IbLb1EEEEDaSR_SS_EUlSR_E0_NS1_11comp_targetILNS1_3genE3ELNS1_11target_archE908ELNS1_3gpuE7ELNS1_3repE0EEENS1_30default_config_static_selectorELNS0_4arch9wavefront6targetE1EEEvT1_
    .private_segment_fixed_size: 0
    .sgpr_count:     4
    .sgpr_spill_count: 0
    .symbol:         _ZN7rocprim17ROCPRIM_400000_NS6detail17trampoline_kernelINS0_14default_configENS1_20scan_config_selectorIiEEZZNS1_9scan_implILNS1_25lookback_scan_determinismE0ELb1ELb1ES3_N6thrust23THRUST_200600_302600_NS6detail15normal_iteratorINS9_10device_ptrIjEEEENSB_INSC_IiEEEEiNS9_4plusIvEEiEEDaPvRmT3_T4_T5_mT6_P12ihipStream_tbENKUlT_T0_E_clISt17integral_constantIbLb0EESV_IbLb1EEEEDaSR_SS_EUlSR_E0_NS1_11comp_targetILNS1_3genE3ELNS1_11target_archE908ELNS1_3gpuE7ELNS1_3repE0EEENS1_30default_config_static_selectorELNS0_4arch9wavefront6targetE1EEEvT1_.kd
    .uniform_work_group_size: 1
    .uses_dynamic_stack: false
    .vgpr_count:     0
    .vgpr_spill_count: 0
    .wavefront_size: 64
  - .agpr_count:     0
    .args:
      - .offset:         0
        .size:           32
        .value_kind:     by_value
    .group_segment_fixed_size: 0
    .kernarg_segment_align: 8
    .kernarg_segment_size: 32
    .language:       OpenCL C
    .language_version:
      - 2
      - 0
    .max_flat_workgroup_size: 256
    .name:           _ZN7rocprim17ROCPRIM_400000_NS6detail17trampoline_kernelINS0_14default_configENS1_20scan_config_selectorIiEEZZNS1_9scan_implILNS1_25lookback_scan_determinismE0ELb1ELb1ES3_N6thrust23THRUST_200600_302600_NS6detail15normal_iteratorINS9_10device_ptrIjEEEENSB_INSC_IiEEEEiNS9_4plusIvEEiEEDaPvRmT3_T4_T5_mT6_P12ihipStream_tbENKUlT_T0_E_clISt17integral_constantIbLb0EESV_IbLb1EEEEDaSR_SS_EUlSR_E0_NS1_11comp_targetILNS1_3genE2ELNS1_11target_archE906ELNS1_3gpuE6ELNS1_3repE0EEENS1_30default_config_static_selectorELNS0_4arch9wavefront6targetE1EEEvT1_
    .private_segment_fixed_size: 0
    .sgpr_count:     4
    .sgpr_spill_count: 0
    .symbol:         _ZN7rocprim17ROCPRIM_400000_NS6detail17trampoline_kernelINS0_14default_configENS1_20scan_config_selectorIiEEZZNS1_9scan_implILNS1_25lookback_scan_determinismE0ELb1ELb1ES3_N6thrust23THRUST_200600_302600_NS6detail15normal_iteratorINS9_10device_ptrIjEEEENSB_INSC_IiEEEEiNS9_4plusIvEEiEEDaPvRmT3_T4_T5_mT6_P12ihipStream_tbENKUlT_T0_E_clISt17integral_constantIbLb0EESV_IbLb1EEEEDaSR_SS_EUlSR_E0_NS1_11comp_targetILNS1_3genE2ELNS1_11target_archE906ELNS1_3gpuE6ELNS1_3repE0EEENS1_30default_config_static_selectorELNS0_4arch9wavefront6targetE1EEEvT1_.kd
    .uniform_work_group_size: 1
    .uses_dynamic_stack: false
    .vgpr_count:     0
    .vgpr_spill_count: 0
    .wavefront_size: 64
  - .agpr_count:     0
    .args:
      - .offset:         0
        .size:           32
        .value_kind:     by_value
    .group_segment_fixed_size: 0
    .kernarg_segment_align: 8
    .kernarg_segment_size: 32
    .language:       OpenCL C
    .language_version:
      - 2
      - 0
    .max_flat_workgroup_size: 256
    .name:           _ZN7rocprim17ROCPRIM_400000_NS6detail17trampoline_kernelINS0_14default_configENS1_20scan_config_selectorIiEEZZNS1_9scan_implILNS1_25lookback_scan_determinismE0ELb1ELb1ES3_N6thrust23THRUST_200600_302600_NS6detail15normal_iteratorINS9_10device_ptrIjEEEENSB_INSC_IiEEEEiNS9_4plusIvEEiEEDaPvRmT3_T4_T5_mT6_P12ihipStream_tbENKUlT_T0_E_clISt17integral_constantIbLb0EESV_IbLb1EEEEDaSR_SS_EUlSR_E0_NS1_11comp_targetILNS1_3genE10ELNS1_11target_archE1201ELNS1_3gpuE5ELNS1_3repE0EEENS1_30default_config_static_selectorELNS0_4arch9wavefront6targetE1EEEvT1_
    .private_segment_fixed_size: 0
    .sgpr_count:     4
    .sgpr_spill_count: 0
    .symbol:         _ZN7rocprim17ROCPRIM_400000_NS6detail17trampoline_kernelINS0_14default_configENS1_20scan_config_selectorIiEEZZNS1_9scan_implILNS1_25lookback_scan_determinismE0ELb1ELb1ES3_N6thrust23THRUST_200600_302600_NS6detail15normal_iteratorINS9_10device_ptrIjEEEENSB_INSC_IiEEEEiNS9_4plusIvEEiEEDaPvRmT3_T4_T5_mT6_P12ihipStream_tbENKUlT_T0_E_clISt17integral_constantIbLb0EESV_IbLb1EEEEDaSR_SS_EUlSR_E0_NS1_11comp_targetILNS1_3genE10ELNS1_11target_archE1201ELNS1_3gpuE5ELNS1_3repE0EEENS1_30default_config_static_selectorELNS0_4arch9wavefront6targetE1EEEvT1_.kd
    .uniform_work_group_size: 1
    .uses_dynamic_stack: false
    .vgpr_count:     0
    .vgpr_spill_count: 0
    .wavefront_size: 64
  - .agpr_count:     0
    .args:
      - .offset:         0
        .size:           32
        .value_kind:     by_value
    .group_segment_fixed_size: 0
    .kernarg_segment_align: 8
    .kernarg_segment_size: 32
    .language:       OpenCL C
    .language_version:
      - 2
      - 0
    .max_flat_workgroup_size: 256
    .name:           _ZN7rocprim17ROCPRIM_400000_NS6detail17trampoline_kernelINS0_14default_configENS1_20scan_config_selectorIiEEZZNS1_9scan_implILNS1_25lookback_scan_determinismE0ELb1ELb1ES3_N6thrust23THRUST_200600_302600_NS6detail15normal_iteratorINS9_10device_ptrIjEEEENSB_INSC_IiEEEEiNS9_4plusIvEEiEEDaPvRmT3_T4_T5_mT6_P12ihipStream_tbENKUlT_T0_E_clISt17integral_constantIbLb0EESV_IbLb1EEEEDaSR_SS_EUlSR_E0_NS1_11comp_targetILNS1_3genE10ELNS1_11target_archE1200ELNS1_3gpuE4ELNS1_3repE0EEENS1_30default_config_static_selectorELNS0_4arch9wavefront6targetE1EEEvT1_
    .private_segment_fixed_size: 0
    .sgpr_count:     4
    .sgpr_spill_count: 0
    .symbol:         _ZN7rocprim17ROCPRIM_400000_NS6detail17trampoline_kernelINS0_14default_configENS1_20scan_config_selectorIiEEZZNS1_9scan_implILNS1_25lookback_scan_determinismE0ELb1ELb1ES3_N6thrust23THRUST_200600_302600_NS6detail15normal_iteratorINS9_10device_ptrIjEEEENSB_INSC_IiEEEEiNS9_4plusIvEEiEEDaPvRmT3_T4_T5_mT6_P12ihipStream_tbENKUlT_T0_E_clISt17integral_constantIbLb0EESV_IbLb1EEEEDaSR_SS_EUlSR_E0_NS1_11comp_targetILNS1_3genE10ELNS1_11target_archE1200ELNS1_3gpuE4ELNS1_3repE0EEENS1_30default_config_static_selectorELNS0_4arch9wavefront6targetE1EEEvT1_.kd
    .uniform_work_group_size: 1
    .uses_dynamic_stack: false
    .vgpr_count:     0
    .vgpr_spill_count: 0
    .wavefront_size: 64
  - .agpr_count:     0
    .args:
      - .offset:         0
        .size:           32
        .value_kind:     by_value
    .group_segment_fixed_size: 0
    .kernarg_segment_align: 8
    .kernarg_segment_size: 32
    .language:       OpenCL C
    .language_version:
      - 2
      - 0
    .max_flat_workgroup_size: 256
    .name:           _ZN7rocprim17ROCPRIM_400000_NS6detail17trampoline_kernelINS0_14default_configENS1_20scan_config_selectorIiEEZZNS1_9scan_implILNS1_25lookback_scan_determinismE0ELb1ELb1ES3_N6thrust23THRUST_200600_302600_NS6detail15normal_iteratorINS9_10device_ptrIjEEEENSB_INSC_IiEEEEiNS9_4plusIvEEiEEDaPvRmT3_T4_T5_mT6_P12ihipStream_tbENKUlT_T0_E_clISt17integral_constantIbLb0EESV_IbLb1EEEEDaSR_SS_EUlSR_E0_NS1_11comp_targetILNS1_3genE9ELNS1_11target_archE1100ELNS1_3gpuE3ELNS1_3repE0EEENS1_30default_config_static_selectorELNS0_4arch9wavefront6targetE1EEEvT1_
    .private_segment_fixed_size: 0
    .sgpr_count:     4
    .sgpr_spill_count: 0
    .symbol:         _ZN7rocprim17ROCPRIM_400000_NS6detail17trampoline_kernelINS0_14default_configENS1_20scan_config_selectorIiEEZZNS1_9scan_implILNS1_25lookback_scan_determinismE0ELb1ELb1ES3_N6thrust23THRUST_200600_302600_NS6detail15normal_iteratorINS9_10device_ptrIjEEEENSB_INSC_IiEEEEiNS9_4plusIvEEiEEDaPvRmT3_T4_T5_mT6_P12ihipStream_tbENKUlT_T0_E_clISt17integral_constantIbLb0EESV_IbLb1EEEEDaSR_SS_EUlSR_E0_NS1_11comp_targetILNS1_3genE9ELNS1_11target_archE1100ELNS1_3gpuE3ELNS1_3repE0EEENS1_30default_config_static_selectorELNS0_4arch9wavefront6targetE1EEEvT1_.kd
    .uniform_work_group_size: 1
    .uses_dynamic_stack: false
    .vgpr_count:     0
    .vgpr_spill_count: 0
    .wavefront_size: 64
  - .agpr_count:     0
    .args:
      - .offset:         0
        .size:           32
        .value_kind:     by_value
    .group_segment_fixed_size: 0
    .kernarg_segment_align: 8
    .kernarg_segment_size: 32
    .language:       OpenCL C
    .language_version:
      - 2
      - 0
    .max_flat_workgroup_size: 64
    .name:           _ZN7rocprim17ROCPRIM_400000_NS6detail17trampoline_kernelINS0_14default_configENS1_20scan_config_selectorIiEEZZNS1_9scan_implILNS1_25lookback_scan_determinismE0ELb1ELb1ES3_N6thrust23THRUST_200600_302600_NS6detail15normal_iteratorINS9_10device_ptrIjEEEENSB_INSC_IiEEEEiNS9_4plusIvEEiEEDaPvRmT3_T4_T5_mT6_P12ihipStream_tbENKUlT_T0_E_clISt17integral_constantIbLb0EESV_IbLb1EEEEDaSR_SS_EUlSR_E0_NS1_11comp_targetILNS1_3genE8ELNS1_11target_archE1030ELNS1_3gpuE2ELNS1_3repE0EEENS1_30default_config_static_selectorELNS0_4arch9wavefront6targetE1EEEvT1_
    .private_segment_fixed_size: 0
    .sgpr_count:     4
    .sgpr_spill_count: 0
    .symbol:         _ZN7rocprim17ROCPRIM_400000_NS6detail17trampoline_kernelINS0_14default_configENS1_20scan_config_selectorIiEEZZNS1_9scan_implILNS1_25lookback_scan_determinismE0ELb1ELb1ES3_N6thrust23THRUST_200600_302600_NS6detail15normal_iteratorINS9_10device_ptrIjEEEENSB_INSC_IiEEEEiNS9_4plusIvEEiEEDaPvRmT3_T4_T5_mT6_P12ihipStream_tbENKUlT_T0_E_clISt17integral_constantIbLb0EESV_IbLb1EEEEDaSR_SS_EUlSR_E0_NS1_11comp_targetILNS1_3genE8ELNS1_11target_archE1030ELNS1_3gpuE2ELNS1_3repE0EEENS1_30default_config_static_selectorELNS0_4arch9wavefront6targetE1EEEvT1_.kd
    .uniform_work_group_size: 1
    .uses_dynamic_stack: false
    .vgpr_count:     0
    .vgpr_spill_count: 0
    .wavefront_size: 64
  - .agpr_count:     0
    .args:
      - .offset:         0
        .size:           96
        .value_kind:     by_value
    .group_segment_fixed_size: 0
    .kernarg_segment_align: 8
    .kernarg_segment_size: 96
    .language:       OpenCL C
    .language_version:
      - 2
      - 0
    .max_flat_workgroup_size: 256
    .name:           _ZN7rocprim17ROCPRIM_400000_NS6detail17trampoline_kernelINS0_14default_configENS1_20scan_config_selectorIfEEZZNS1_9scan_implILNS1_25lookback_scan_determinismE0ELb1ELb1ES3_N6thrust23THRUST_200600_302600_NS6detail15normal_iteratorINS9_10device_ptrIjEEEENSB_INSC_IiEEEEfNS9_4plusIvEEfEEDaPvRmT3_T4_T5_mT6_P12ihipStream_tbENKUlT_T0_E_clISt17integral_constantIbLb0EESW_EEDaSR_SS_EUlSR_E_NS1_11comp_targetILNS1_3genE0ELNS1_11target_archE4294967295ELNS1_3gpuE0ELNS1_3repE0EEENS1_30default_config_static_selectorELNS0_4arch9wavefront6targetE1EEEvT1_
    .private_segment_fixed_size: 0
    .sgpr_count:     4
    .sgpr_spill_count: 0
    .symbol:         _ZN7rocprim17ROCPRIM_400000_NS6detail17trampoline_kernelINS0_14default_configENS1_20scan_config_selectorIfEEZZNS1_9scan_implILNS1_25lookback_scan_determinismE0ELb1ELb1ES3_N6thrust23THRUST_200600_302600_NS6detail15normal_iteratorINS9_10device_ptrIjEEEENSB_INSC_IiEEEEfNS9_4plusIvEEfEEDaPvRmT3_T4_T5_mT6_P12ihipStream_tbENKUlT_T0_E_clISt17integral_constantIbLb0EESW_EEDaSR_SS_EUlSR_E_NS1_11comp_targetILNS1_3genE0ELNS1_11target_archE4294967295ELNS1_3gpuE0ELNS1_3repE0EEENS1_30default_config_static_selectorELNS0_4arch9wavefront6targetE1EEEvT1_.kd
    .uniform_work_group_size: 1
    .uses_dynamic_stack: false
    .vgpr_count:     0
    .vgpr_spill_count: 0
    .wavefront_size: 64
  - .agpr_count:     0
    .args:
      - .offset:         0
        .size:           96
        .value_kind:     by_value
    .group_segment_fixed_size: 0
    .kernarg_segment_align: 8
    .kernarg_segment_size: 96
    .language:       OpenCL C
    .language_version:
      - 2
      - 0
    .max_flat_workgroup_size: 256
    .name:           _ZN7rocprim17ROCPRIM_400000_NS6detail17trampoline_kernelINS0_14default_configENS1_20scan_config_selectorIfEEZZNS1_9scan_implILNS1_25lookback_scan_determinismE0ELb1ELb1ES3_N6thrust23THRUST_200600_302600_NS6detail15normal_iteratorINS9_10device_ptrIjEEEENSB_INSC_IiEEEEfNS9_4plusIvEEfEEDaPvRmT3_T4_T5_mT6_P12ihipStream_tbENKUlT_T0_E_clISt17integral_constantIbLb0EESW_EEDaSR_SS_EUlSR_E_NS1_11comp_targetILNS1_3genE5ELNS1_11target_archE942ELNS1_3gpuE9ELNS1_3repE0EEENS1_30default_config_static_selectorELNS0_4arch9wavefront6targetE1EEEvT1_
    .private_segment_fixed_size: 0
    .sgpr_count:     4
    .sgpr_spill_count: 0
    .symbol:         _ZN7rocprim17ROCPRIM_400000_NS6detail17trampoline_kernelINS0_14default_configENS1_20scan_config_selectorIfEEZZNS1_9scan_implILNS1_25lookback_scan_determinismE0ELb1ELb1ES3_N6thrust23THRUST_200600_302600_NS6detail15normal_iteratorINS9_10device_ptrIjEEEENSB_INSC_IiEEEEfNS9_4plusIvEEfEEDaPvRmT3_T4_T5_mT6_P12ihipStream_tbENKUlT_T0_E_clISt17integral_constantIbLb0EESW_EEDaSR_SS_EUlSR_E_NS1_11comp_targetILNS1_3genE5ELNS1_11target_archE942ELNS1_3gpuE9ELNS1_3repE0EEENS1_30default_config_static_selectorELNS0_4arch9wavefront6targetE1EEEvT1_.kd
    .uniform_work_group_size: 1
    .uses_dynamic_stack: false
    .vgpr_count:     0
    .vgpr_spill_count: 0
    .wavefront_size: 64
  - .agpr_count:     0
    .args:
      - .offset:         0
        .size:           96
        .value_kind:     by_value
    .group_segment_fixed_size: 7168
    .kernarg_segment_align: 8
    .kernarg_segment_size: 96
    .language:       OpenCL C
    .language_version:
      - 2
      - 0
    .max_flat_workgroup_size: 128
    .name:           _ZN7rocprim17ROCPRIM_400000_NS6detail17trampoline_kernelINS0_14default_configENS1_20scan_config_selectorIfEEZZNS1_9scan_implILNS1_25lookback_scan_determinismE0ELb1ELb1ES3_N6thrust23THRUST_200600_302600_NS6detail15normal_iteratorINS9_10device_ptrIjEEEENSB_INSC_IiEEEEfNS9_4plusIvEEfEEDaPvRmT3_T4_T5_mT6_P12ihipStream_tbENKUlT_T0_E_clISt17integral_constantIbLb0EESW_EEDaSR_SS_EUlSR_E_NS1_11comp_targetILNS1_3genE4ELNS1_11target_archE910ELNS1_3gpuE8ELNS1_3repE0EEENS1_30default_config_static_selectorELNS0_4arch9wavefront6targetE1EEEvT1_
    .private_segment_fixed_size: 0
    .sgpr_count:     35
    .sgpr_spill_count: 0
    .symbol:         _ZN7rocprim17ROCPRIM_400000_NS6detail17trampoline_kernelINS0_14default_configENS1_20scan_config_selectorIfEEZZNS1_9scan_implILNS1_25lookback_scan_determinismE0ELb1ELb1ES3_N6thrust23THRUST_200600_302600_NS6detail15normal_iteratorINS9_10device_ptrIjEEEENSB_INSC_IiEEEEfNS9_4plusIvEEfEEDaPvRmT3_T4_T5_mT6_P12ihipStream_tbENKUlT_T0_E_clISt17integral_constantIbLb0EESW_EEDaSR_SS_EUlSR_E_NS1_11comp_targetILNS1_3genE4ELNS1_11target_archE910ELNS1_3gpuE8ELNS1_3repE0EEENS1_30default_config_static_selectorELNS0_4arch9wavefront6targetE1EEEvT1_.kd
    .uniform_work_group_size: 1
    .uses_dynamic_stack: false
    .vgpr_count:     49
    .vgpr_spill_count: 0
    .wavefront_size: 64
  - .agpr_count:     0
    .args:
      - .offset:         0
        .size:           96
        .value_kind:     by_value
    .group_segment_fixed_size: 0
    .kernarg_segment_align: 8
    .kernarg_segment_size: 96
    .language:       OpenCL C
    .language_version:
      - 2
      - 0
    .max_flat_workgroup_size: 256
    .name:           _ZN7rocprim17ROCPRIM_400000_NS6detail17trampoline_kernelINS0_14default_configENS1_20scan_config_selectorIfEEZZNS1_9scan_implILNS1_25lookback_scan_determinismE0ELb1ELb1ES3_N6thrust23THRUST_200600_302600_NS6detail15normal_iteratorINS9_10device_ptrIjEEEENSB_INSC_IiEEEEfNS9_4plusIvEEfEEDaPvRmT3_T4_T5_mT6_P12ihipStream_tbENKUlT_T0_E_clISt17integral_constantIbLb0EESW_EEDaSR_SS_EUlSR_E_NS1_11comp_targetILNS1_3genE3ELNS1_11target_archE908ELNS1_3gpuE7ELNS1_3repE0EEENS1_30default_config_static_selectorELNS0_4arch9wavefront6targetE1EEEvT1_
    .private_segment_fixed_size: 0
    .sgpr_count:     4
    .sgpr_spill_count: 0
    .symbol:         _ZN7rocprim17ROCPRIM_400000_NS6detail17trampoline_kernelINS0_14default_configENS1_20scan_config_selectorIfEEZZNS1_9scan_implILNS1_25lookback_scan_determinismE0ELb1ELb1ES3_N6thrust23THRUST_200600_302600_NS6detail15normal_iteratorINS9_10device_ptrIjEEEENSB_INSC_IiEEEEfNS9_4plusIvEEfEEDaPvRmT3_T4_T5_mT6_P12ihipStream_tbENKUlT_T0_E_clISt17integral_constantIbLb0EESW_EEDaSR_SS_EUlSR_E_NS1_11comp_targetILNS1_3genE3ELNS1_11target_archE908ELNS1_3gpuE7ELNS1_3repE0EEENS1_30default_config_static_selectorELNS0_4arch9wavefront6targetE1EEEvT1_.kd
    .uniform_work_group_size: 1
    .uses_dynamic_stack: false
    .vgpr_count:     0
    .vgpr_spill_count: 0
    .wavefront_size: 64
  - .agpr_count:     0
    .args:
      - .offset:         0
        .size:           96
        .value_kind:     by_value
    .group_segment_fixed_size: 0
    .kernarg_segment_align: 8
    .kernarg_segment_size: 96
    .language:       OpenCL C
    .language_version:
      - 2
      - 0
    .max_flat_workgroup_size: 256
    .name:           _ZN7rocprim17ROCPRIM_400000_NS6detail17trampoline_kernelINS0_14default_configENS1_20scan_config_selectorIfEEZZNS1_9scan_implILNS1_25lookback_scan_determinismE0ELb1ELb1ES3_N6thrust23THRUST_200600_302600_NS6detail15normal_iteratorINS9_10device_ptrIjEEEENSB_INSC_IiEEEEfNS9_4plusIvEEfEEDaPvRmT3_T4_T5_mT6_P12ihipStream_tbENKUlT_T0_E_clISt17integral_constantIbLb0EESW_EEDaSR_SS_EUlSR_E_NS1_11comp_targetILNS1_3genE2ELNS1_11target_archE906ELNS1_3gpuE6ELNS1_3repE0EEENS1_30default_config_static_selectorELNS0_4arch9wavefront6targetE1EEEvT1_
    .private_segment_fixed_size: 0
    .sgpr_count:     4
    .sgpr_spill_count: 0
    .symbol:         _ZN7rocprim17ROCPRIM_400000_NS6detail17trampoline_kernelINS0_14default_configENS1_20scan_config_selectorIfEEZZNS1_9scan_implILNS1_25lookback_scan_determinismE0ELb1ELb1ES3_N6thrust23THRUST_200600_302600_NS6detail15normal_iteratorINS9_10device_ptrIjEEEENSB_INSC_IiEEEEfNS9_4plusIvEEfEEDaPvRmT3_T4_T5_mT6_P12ihipStream_tbENKUlT_T0_E_clISt17integral_constantIbLb0EESW_EEDaSR_SS_EUlSR_E_NS1_11comp_targetILNS1_3genE2ELNS1_11target_archE906ELNS1_3gpuE6ELNS1_3repE0EEENS1_30default_config_static_selectorELNS0_4arch9wavefront6targetE1EEEvT1_.kd
    .uniform_work_group_size: 1
    .uses_dynamic_stack: false
    .vgpr_count:     0
    .vgpr_spill_count: 0
    .wavefront_size: 64
  - .agpr_count:     0
    .args:
      - .offset:         0
        .size:           96
        .value_kind:     by_value
    .group_segment_fixed_size: 0
    .kernarg_segment_align: 8
    .kernarg_segment_size: 96
    .language:       OpenCL C
    .language_version:
      - 2
      - 0
    .max_flat_workgroup_size: 256
    .name:           _ZN7rocprim17ROCPRIM_400000_NS6detail17trampoline_kernelINS0_14default_configENS1_20scan_config_selectorIfEEZZNS1_9scan_implILNS1_25lookback_scan_determinismE0ELb1ELb1ES3_N6thrust23THRUST_200600_302600_NS6detail15normal_iteratorINS9_10device_ptrIjEEEENSB_INSC_IiEEEEfNS9_4plusIvEEfEEDaPvRmT3_T4_T5_mT6_P12ihipStream_tbENKUlT_T0_E_clISt17integral_constantIbLb0EESW_EEDaSR_SS_EUlSR_E_NS1_11comp_targetILNS1_3genE10ELNS1_11target_archE1201ELNS1_3gpuE5ELNS1_3repE0EEENS1_30default_config_static_selectorELNS0_4arch9wavefront6targetE1EEEvT1_
    .private_segment_fixed_size: 0
    .sgpr_count:     4
    .sgpr_spill_count: 0
    .symbol:         _ZN7rocprim17ROCPRIM_400000_NS6detail17trampoline_kernelINS0_14default_configENS1_20scan_config_selectorIfEEZZNS1_9scan_implILNS1_25lookback_scan_determinismE0ELb1ELb1ES3_N6thrust23THRUST_200600_302600_NS6detail15normal_iteratorINS9_10device_ptrIjEEEENSB_INSC_IiEEEEfNS9_4plusIvEEfEEDaPvRmT3_T4_T5_mT6_P12ihipStream_tbENKUlT_T0_E_clISt17integral_constantIbLb0EESW_EEDaSR_SS_EUlSR_E_NS1_11comp_targetILNS1_3genE10ELNS1_11target_archE1201ELNS1_3gpuE5ELNS1_3repE0EEENS1_30default_config_static_selectorELNS0_4arch9wavefront6targetE1EEEvT1_.kd
    .uniform_work_group_size: 1
    .uses_dynamic_stack: false
    .vgpr_count:     0
    .vgpr_spill_count: 0
    .wavefront_size: 64
  - .agpr_count:     0
    .args:
      - .offset:         0
        .size:           96
        .value_kind:     by_value
    .group_segment_fixed_size: 0
    .kernarg_segment_align: 8
    .kernarg_segment_size: 96
    .language:       OpenCL C
    .language_version:
      - 2
      - 0
    .max_flat_workgroup_size: 256
    .name:           _ZN7rocprim17ROCPRIM_400000_NS6detail17trampoline_kernelINS0_14default_configENS1_20scan_config_selectorIfEEZZNS1_9scan_implILNS1_25lookback_scan_determinismE0ELb1ELb1ES3_N6thrust23THRUST_200600_302600_NS6detail15normal_iteratorINS9_10device_ptrIjEEEENSB_INSC_IiEEEEfNS9_4plusIvEEfEEDaPvRmT3_T4_T5_mT6_P12ihipStream_tbENKUlT_T0_E_clISt17integral_constantIbLb0EESW_EEDaSR_SS_EUlSR_E_NS1_11comp_targetILNS1_3genE10ELNS1_11target_archE1200ELNS1_3gpuE4ELNS1_3repE0EEENS1_30default_config_static_selectorELNS0_4arch9wavefront6targetE1EEEvT1_
    .private_segment_fixed_size: 0
    .sgpr_count:     4
    .sgpr_spill_count: 0
    .symbol:         _ZN7rocprim17ROCPRIM_400000_NS6detail17trampoline_kernelINS0_14default_configENS1_20scan_config_selectorIfEEZZNS1_9scan_implILNS1_25lookback_scan_determinismE0ELb1ELb1ES3_N6thrust23THRUST_200600_302600_NS6detail15normal_iteratorINS9_10device_ptrIjEEEENSB_INSC_IiEEEEfNS9_4plusIvEEfEEDaPvRmT3_T4_T5_mT6_P12ihipStream_tbENKUlT_T0_E_clISt17integral_constantIbLb0EESW_EEDaSR_SS_EUlSR_E_NS1_11comp_targetILNS1_3genE10ELNS1_11target_archE1200ELNS1_3gpuE4ELNS1_3repE0EEENS1_30default_config_static_selectorELNS0_4arch9wavefront6targetE1EEEvT1_.kd
    .uniform_work_group_size: 1
    .uses_dynamic_stack: false
    .vgpr_count:     0
    .vgpr_spill_count: 0
    .wavefront_size: 64
  - .agpr_count:     0
    .args:
      - .offset:         0
        .size:           96
        .value_kind:     by_value
    .group_segment_fixed_size: 0
    .kernarg_segment_align: 8
    .kernarg_segment_size: 96
    .language:       OpenCL C
    .language_version:
      - 2
      - 0
    .max_flat_workgroup_size: 256
    .name:           _ZN7rocprim17ROCPRIM_400000_NS6detail17trampoline_kernelINS0_14default_configENS1_20scan_config_selectorIfEEZZNS1_9scan_implILNS1_25lookback_scan_determinismE0ELb1ELb1ES3_N6thrust23THRUST_200600_302600_NS6detail15normal_iteratorINS9_10device_ptrIjEEEENSB_INSC_IiEEEEfNS9_4plusIvEEfEEDaPvRmT3_T4_T5_mT6_P12ihipStream_tbENKUlT_T0_E_clISt17integral_constantIbLb0EESW_EEDaSR_SS_EUlSR_E_NS1_11comp_targetILNS1_3genE9ELNS1_11target_archE1100ELNS1_3gpuE3ELNS1_3repE0EEENS1_30default_config_static_selectorELNS0_4arch9wavefront6targetE1EEEvT1_
    .private_segment_fixed_size: 0
    .sgpr_count:     4
    .sgpr_spill_count: 0
    .symbol:         _ZN7rocprim17ROCPRIM_400000_NS6detail17trampoline_kernelINS0_14default_configENS1_20scan_config_selectorIfEEZZNS1_9scan_implILNS1_25lookback_scan_determinismE0ELb1ELb1ES3_N6thrust23THRUST_200600_302600_NS6detail15normal_iteratorINS9_10device_ptrIjEEEENSB_INSC_IiEEEEfNS9_4plusIvEEfEEDaPvRmT3_T4_T5_mT6_P12ihipStream_tbENKUlT_T0_E_clISt17integral_constantIbLb0EESW_EEDaSR_SS_EUlSR_E_NS1_11comp_targetILNS1_3genE9ELNS1_11target_archE1100ELNS1_3gpuE3ELNS1_3repE0EEENS1_30default_config_static_selectorELNS0_4arch9wavefront6targetE1EEEvT1_.kd
    .uniform_work_group_size: 1
    .uses_dynamic_stack: false
    .vgpr_count:     0
    .vgpr_spill_count: 0
    .wavefront_size: 64
  - .agpr_count:     0
    .args:
      - .offset:         0
        .size:           96
        .value_kind:     by_value
    .group_segment_fixed_size: 0
    .kernarg_segment_align: 8
    .kernarg_segment_size: 96
    .language:       OpenCL C
    .language_version:
      - 2
      - 0
    .max_flat_workgroup_size: 64
    .name:           _ZN7rocprim17ROCPRIM_400000_NS6detail17trampoline_kernelINS0_14default_configENS1_20scan_config_selectorIfEEZZNS1_9scan_implILNS1_25lookback_scan_determinismE0ELb1ELb1ES3_N6thrust23THRUST_200600_302600_NS6detail15normal_iteratorINS9_10device_ptrIjEEEENSB_INSC_IiEEEEfNS9_4plusIvEEfEEDaPvRmT3_T4_T5_mT6_P12ihipStream_tbENKUlT_T0_E_clISt17integral_constantIbLb0EESW_EEDaSR_SS_EUlSR_E_NS1_11comp_targetILNS1_3genE8ELNS1_11target_archE1030ELNS1_3gpuE2ELNS1_3repE0EEENS1_30default_config_static_selectorELNS0_4arch9wavefront6targetE1EEEvT1_
    .private_segment_fixed_size: 0
    .sgpr_count:     4
    .sgpr_spill_count: 0
    .symbol:         _ZN7rocprim17ROCPRIM_400000_NS6detail17trampoline_kernelINS0_14default_configENS1_20scan_config_selectorIfEEZZNS1_9scan_implILNS1_25lookback_scan_determinismE0ELb1ELb1ES3_N6thrust23THRUST_200600_302600_NS6detail15normal_iteratorINS9_10device_ptrIjEEEENSB_INSC_IiEEEEfNS9_4plusIvEEfEEDaPvRmT3_T4_T5_mT6_P12ihipStream_tbENKUlT_T0_E_clISt17integral_constantIbLb0EESW_EEDaSR_SS_EUlSR_E_NS1_11comp_targetILNS1_3genE8ELNS1_11target_archE1030ELNS1_3gpuE2ELNS1_3repE0EEENS1_30default_config_static_selectorELNS0_4arch9wavefront6targetE1EEEvT1_.kd
    .uniform_work_group_size: 1
    .uses_dynamic_stack: false
    .vgpr_count:     0
    .vgpr_spill_count: 0
    .wavefront_size: 64
  - .agpr_count:     0
    .args:
      - .offset:         0
        .size:           32
        .value_kind:     by_value
    .group_segment_fixed_size: 0
    .kernarg_segment_align: 8
    .kernarg_segment_size: 32
    .language:       OpenCL C
    .language_version:
      - 2
      - 0
    .max_flat_workgroup_size: 256
    .name:           _ZN7rocprim17ROCPRIM_400000_NS6detail17trampoline_kernelINS0_14default_configENS1_20scan_config_selectorIfEEZZNS1_9scan_implILNS1_25lookback_scan_determinismE0ELb1ELb1ES3_N6thrust23THRUST_200600_302600_NS6detail15normal_iteratorINS9_10device_ptrIjEEEENSB_INSC_IiEEEEfNS9_4plusIvEEfEEDaPvRmT3_T4_T5_mT6_P12ihipStream_tbENKUlT_T0_E_clISt17integral_constantIbLb0EESW_EEDaSR_SS_EUlSR_E0_NS1_11comp_targetILNS1_3genE0ELNS1_11target_archE4294967295ELNS1_3gpuE0ELNS1_3repE0EEENS1_30default_config_static_selectorELNS0_4arch9wavefront6targetE1EEEvT1_
    .private_segment_fixed_size: 0
    .sgpr_count:     4
    .sgpr_spill_count: 0
    .symbol:         _ZN7rocprim17ROCPRIM_400000_NS6detail17trampoline_kernelINS0_14default_configENS1_20scan_config_selectorIfEEZZNS1_9scan_implILNS1_25lookback_scan_determinismE0ELb1ELb1ES3_N6thrust23THRUST_200600_302600_NS6detail15normal_iteratorINS9_10device_ptrIjEEEENSB_INSC_IiEEEEfNS9_4plusIvEEfEEDaPvRmT3_T4_T5_mT6_P12ihipStream_tbENKUlT_T0_E_clISt17integral_constantIbLb0EESW_EEDaSR_SS_EUlSR_E0_NS1_11comp_targetILNS1_3genE0ELNS1_11target_archE4294967295ELNS1_3gpuE0ELNS1_3repE0EEENS1_30default_config_static_selectorELNS0_4arch9wavefront6targetE1EEEvT1_.kd
    .uniform_work_group_size: 1
    .uses_dynamic_stack: false
    .vgpr_count:     0
    .vgpr_spill_count: 0
    .wavefront_size: 64
  - .agpr_count:     0
    .args:
      - .offset:         0
        .size:           32
        .value_kind:     by_value
    .group_segment_fixed_size: 0
    .kernarg_segment_align: 8
    .kernarg_segment_size: 32
    .language:       OpenCL C
    .language_version:
      - 2
      - 0
    .max_flat_workgroup_size: 256
    .name:           _ZN7rocprim17ROCPRIM_400000_NS6detail17trampoline_kernelINS0_14default_configENS1_20scan_config_selectorIfEEZZNS1_9scan_implILNS1_25lookback_scan_determinismE0ELb1ELb1ES3_N6thrust23THRUST_200600_302600_NS6detail15normal_iteratorINS9_10device_ptrIjEEEENSB_INSC_IiEEEEfNS9_4plusIvEEfEEDaPvRmT3_T4_T5_mT6_P12ihipStream_tbENKUlT_T0_E_clISt17integral_constantIbLb0EESW_EEDaSR_SS_EUlSR_E0_NS1_11comp_targetILNS1_3genE5ELNS1_11target_archE942ELNS1_3gpuE9ELNS1_3repE0EEENS1_30default_config_static_selectorELNS0_4arch9wavefront6targetE1EEEvT1_
    .private_segment_fixed_size: 0
    .sgpr_count:     4
    .sgpr_spill_count: 0
    .symbol:         _ZN7rocprim17ROCPRIM_400000_NS6detail17trampoline_kernelINS0_14default_configENS1_20scan_config_selectorIfEEZZNS1_9scan_implILNS1_25lookback_scan_determinismE0ELb1ELb1ES3_N6thrust23THRUST_200600_302600_NS6detail15normal_iteratorINS9_10device_ptrIjEEEENSB_INSC_IiEEEEfNS9_4plusIvEEfEEDaPvRmT3_T4_T5_mT6_P12ihipStream_tbENKUlT_T0_E_clISt17integral_constantIbLb0EESW_EEDaSR_SS_EUlSR_E0_NS1_11comp_targetILNS1_3genE5ELNS1_11target_archE942ELNS1_3gpuE9ELNS1_3repE0EEENS1_30default_config_static_selectorELNS0_4arch9wavefront6targetE1EEEvT1_.kd
    .uniform_work_group_size: 1
    .uses_dynamic_stack: false
    .vgpr_count:     0
    .vgpr_spill_count: 0
    .wavefront_size: 64
  - .agpr_count:     0
    .args:
      - .offset:         0
        .size:           32
        .value_kind:     by_value
    .group_segment_fixed_size: 7168
    .kernarg_segment_align: 8
    .kernarg_segment_size: 32
    .language:       OpenCL C
    .language_version:
      - 2
      - 0
    .max_flat_workgroup_size: 128
    .name:           _ZN7rocprim17ROCPRIM_400000_NS6detail17trampoline_kernelINS0_14default_configENS1_20scan_config_selectorIfEEZZNS1_9scan_implILNS1_25lookback_scan_determinismE0ELb1ELb1ES3_N6thrust23THRUST_200600_302600_NS6detail15normal_iteratorINS9_10device_ptrIjEEEENSB_INSC_IiEEEEfNS9_4plusIvEEfEEDaPvRmT3_T4_T5_mT6_P12ihipStream_tbENKUlT_T0_E_clISt17integral_constantIbLb0EESW_EEDaSR_SS_EUlSR_E0_NS1_11comp_targetILNS1_3genE4ELNS1_11target_archE910ELNS1_3gpuE8ELNS1_3repE0EEENS1_30default_config_static_selectorELNS0_4arch9wavefront6targetE1EEEvT1_
    .private_segment_fixed_size: 0
    .sgpr_count:     42
    .sgpr_spill_count: 0
    .symbol:         _ZN7rocprim17ROCPRIM_400000_NS6detail17trampoline_kernelINS0_14default_configENS1_20scan_config_selectorIfEEZZNS1_9scan_implILNS1_25lookback_scan_determinismE0ELb1ELb1ES3_N6thrust23THRUST_200600_302600_NS6detail15normal_iteratorINS9_10device_ptrIjEEEENSB_INSC_IiEEEEfNS9_4plusIvEEfEEDaPvRmT3_T4_T5_mT6_P12ihipStream_tbENKUlT_T0_E_clISt17integral_constantIbLb0EESW_EEDaSR_SS_EUlSR_E0_NS1_11comp_targetILNS1_3genE4ELNS1_11target_archE910ELNS1_3gpuE8ELNS1_3repE0EEENS1_30default_config_static_selectorELNS0_4arch9wavefront6targetE1EEEvT1_.kd
    .uniform_work_group_size: 1
    .uses_dynamic_stack: false
    .vgpr_count:     24
    .vgpr_spill_count: 0
    .wavefront_size: 64
  - .agpr_count:     0
    .args:
      - .offset:         0
        .size:           32
        .value_kind:     by_value
    .group_segment_fixed_size: 0
    .kernarg_segment_align: 8
    .kernarg_segment_size: 32
    .language:       OpenCL C
    .language_version:
      - 2
      - 0
    .max_flat_workgroup_size: 256
    .name:           _ZN7rocprim17ROCPRIM_400000_NS6detail17trampoline_kernelINS0_14default_configENS1_20scan_config_selectorIfEEZZNS1_9scan_implILNS1_25lookback_scan_determinismE0ELb1ELb1ES3_N6thrust23THRUST_200600_302600_NS6detail15normal_iteratorINS9_10device_ptrIjEEEENSB_INSC_IiEEEEfNS9_4plusIvEEfEEDaPvRmT3_T4_T5_mT6_P12ihipStream_tbENKUlT_T0_E_clISt17integral_constantIbLb0EESW_EEDaSR_SS_EUlSR_E0_NS1_11comp_targetILNS1_3genE3ELNS1_11target_archE908ELNS1_3gpuE7ELNS1_3repE0EEENS1_30default_config_static_selectorELNS0_4arch9wavefront6targetE1EEEvT1_
    .private_segment_fixed_size: 0
    .sgpr_count:     4
    .sgpr_spill_count: 0
    .symbol:         _ZN7rocprim17ROCPRIM_400000_NS6detail17trampoline_kernelINS0_14default_configENS1_20scan_config_selectorIfEEZZNS1_9scan_implILNS1_25lookback_scan_determinismE0ELb1ELb1ES3_N6thrust23THRUST_200600_302600_NS6detail15normal_iteratorINS9_10device_ptrIjEEEENSB_INSC_IiEEEEfNS9_4plusIvEEfEEDaPvRmT3_T4_T5_mT6_P12ihipStream_tbENKUlT_T0_E_clISt17integral_constantIbLb0EESW_EEDaSR_SS_EUlSR_E0_NS1_11comp_targetILNS1_3genE3ELNS1_11target_archE908ELNS1_3gpuE7ELNS1_3repE0EEENS1_30default_config_static_selectorELNS0_4arch9wavefront6targetE1EEEvT1_.kd
    .uniform_work_group_size: 1
    .uses_dynamic_stack: false
    .vgpr_count:     0
    .vgpr_spill_count: 0
    .wavefront_size: 64
  - .agpr_count:     0
    .args:
      - .offset:         0
        .size:           32
        .value_kind:     by_value
    .group_segment_fixed_size: 0
    .kernarg_segment_align: 8
    .kernarg_segment_size: 32
    .language:       OpenCL C
    .language_version:
      - 2
      - 0
    .max_flat_workgroup_size: 256
    .name:           _ZN7rocprim17ROCPRIM_400000_NS6detail17trampoline_kernelINS0_14default_configENS1_20scan_config_selectorIfEEZZNS1_9scan_implILNS1_25lookback_scan_determinismE0ELb1ELb1ES3_N6thrust23THRUST_200600_302600_NS6detail15normal_iteratorINS9_10device_ptrIjEEEENSB_INSC_IiEEEEfNS9_4plusIvEEfEEDaPvRmT3_T4_T5_mT6_P12ihipStream_tbENKUlT_T0_E_clISt17integral_constantIbLb0EESW_EEDaSR_SS_EUlSR_E0_NS1_11comp_targetILNS1_3genE2ELNS1_11target_archE906ELNS1_3gpuE6ELNS1_3repE0EEENS1_30default_config_static_selectorELNS0_4arch9wavefront6targetE1EEEvT1_
    .private_segment_fixed_size: 0
    .sgpr_count:     4
    .sgpr_spill_count: 0
    .symbol:         _ZN7rocprim17ROCPRIM_400000_NS6detail17trampoline_kernelINS0_14default_configENS1_20scan_config_selectorIfEEZZNS1_9scan_implILNS1_25lookback_scan_determinismE0ELb1ELb1ES3_N6thrust23THRUST_200600_302600_NS6detail15normal_iteratorINS9_10device_ptrIjEEEENSB_INSC_IiEEEEfNS9_4plusIvEEfEEDaPvRmT3_T4_T5_mT6_P12ihipStream_tbENKUlT_T0_E_clISt17integral_constantIbLb0EESW_EEDaSR_SS_EUlSR_E0_NS1_11comp_targetILNS1_3genE2ELNS1_11target_archE906ELNS1_3gpuE6ELNS1_3repE0EEENS1_30default_config_static_selectorELNS0_4arch9wavefront6targetE1EEEvT1_.kd
    .uniform_work_group_size: 1
    .uses_dynamic_stack: false
    .vgpr_count:     0
    .vgpr_spill_count: 0
    .wavefront_size: 64
  - .agpr_count:     0
    .args:
      - .offset:         0
        .size:           32
        .value_kind:     by_value
    .group_segment_fixed_size: 0
    .kernarg_segment_align: 8
    .kernarg_segment_size: 32
    .language:       OpenCL C
    .language_version:
      - 2
      - 0
    .max_flat_workgroup_size: 256
    .name:           _ZN7rocprim17ROCPRIM_400000_NS6detail17trampoline_kernelINS0_14default_configENS1_20scan_config_selectorIfEEZZNS1_9scan_implILNS1_25lookback_scan_determinismE0ELb1ELb1ES3_N6thrust23THRUST_200600_302600_NS6detail15normal_iteratorINS9_10device_ptrIjEEEENSB_INSC_IiEEEEfNS9_4plusIvEEfEEDaPvRmT3_T4_T5_mT6_P12ihipStream_tbENKUlT_T0_E_clISt17integral_constantIbLb0EESW_EEDaSR_SS_EUlSR_E0_NS1_11comp_targetILNS1_3genE10ELNS1_11target_archE1201ELNS1_3gpuE5ELNS1_3repE0EEENS1_30default_config_static_selectorELNS0_4arch9wavefront6targetE1EEEvT1_
    .private_segment_fixed_size: 0
    .sgpr_count:     4
    .sgpr_spill_count: 0
    .symbol:         _ZN7rocprim17ROCPRIM_400000_NS6detail17trampoline_kernelINS0_14default_configENS1_20scan_config_selectorIfEEZZNS1_9scan_implILNS1_25lookback_scan_determinismE0ELb1ELb1ES3_N6thrust23THRUST_200600_302600_NS6detail15normal_iteratorINS9_10device_ptrIjEEEENSB_INSC_IiEEEEfNS9_4plusIvEEfEEDaPvRmT3_T4_T5_mT6_P12ihipStream_tbENKUlT_T0_E_clISt17integral_constantIbLb0EESW_EEDaSR_SS_EUlSR_E0_NS1_11comp_targetILNS1_3genE10ELNS1_11target_archE1201ELNS1_3gpuE5ELNS1_3repE0EEENS1_30default_config_static_selectorELNS0_4arch9wavefront6targetE1EEEvT1_.kd
    .uniform_work_group_size: 1
    .uses_dynamic_stack: false
    .vgpr_count:     0
    .vgpr_spill_count: 0
    .wavefront_size: 64
  - .agpr_count:     0
    .args:
      - .offset:         0
        .size:           32
        .value_kind:     by_value
    .group_segment_fixed_size: 0
    .kernarg_segment_align: 8
    .kernarg_segment_size: 32
    .language:       OpenCL C
    .language_version:
      - 2
      - 0
    .max_flat_workgroup_size: 256
    .name:           _ZN7rocprim17ROCPRIM_400000_NS6detail17trampoline_kernelINS0_14default_configENS1_20scan_config_selectorIfEEZZNS1_9scan_implILNS1_25lookback_scan_determinismE0ELb1ELb1ES3_N6thrust23THRUST_200600_302600_NS6detail15normal_iteratorINS9_10device_ptrIjEEEENSB_INSC_IiEEEEfNS9_4plusIvEEfEEDaPvRmT3_T4_T5_mT6_P12ihipStream_tbENKUlT_T0_E_clISt17integral_constantIbLb0EESW_EEDaSR_SS_EUlSR_E0_NS1_11comp_targetILNS1_3genE10ELNS1_11target_archE1200ELNS1_3gpuE4ELNS1_3repE0EEENS1_30default_config_static_selectorELNS0_4arch9wavefront6targetE1EEEvT1_
    .private_segment_fixed_size: 0
    .sgpr_count:     4
    .sgpr_spill_count: 0
    .symbol:         _ZN7rocprim17ROCPRIM_400000_NS6detail17trampoline_kernelINS0_14default_configENS1_20scan_config_selectorIfEEZZNS1_9scan_implILNS1_25lookback_scan_determinismE0ELb1ELb1ES3_N6thrust23THRUST_200600_302600_NS6detail15normal_iteratorINS9_10device_ptrIjEEEENSB_INSC_IiEEEEfNS9_4plusIvEEfEEDaPvRmT3_T4_T5_mT6_P12ihipStream_tbENKUlT_T0_E_clISt17integral_constantIbLb0EESW_EEDaSR_SS_EUlSR_E0_NS1_11comp_targetILNS1_3genE10ELNS1_11target_archE1200ELNS1_3gpuE4ELNS1_3repE0EEENS1_30default_config_static_selectorELNS0_4arch9wavefront6targetE1EEEvT1_.kd
    .uniform_work_group_size: 1
    .uses_dynamic_stack: false
    .vgpr_count:     0
    .vgpr_spill_count: 0
    .wavefront_size: 64
  - .agpr_count:     0
    .args:
      - .offset:         0
        .size:           32
        .value_kind:     by_value
    .group_segment_fixed_size: 0
    .kernarg_segment_align: 8
    .kernarg_segment_size: 32
    .language:       OpenCL C
    .language_version:
      - 2
      - 0
    .max_flat_workgroup_size: 256
    .name:           _ZN7rocprim17ROCPRIM_400000_NS6detail17trampoline_kernelINS0_14default_configENS1_20scan_config_selectorIfEEZZNS1_9scan_implILNS1_25lookback_scan_determinismE0ELb1ELb1ES3_N6thrust23THRUST_200600_302600_NS6detail15normal_iteratorINS9_10device_ptrIjEEEENSB_INSC_IiEEEEfNS9_4plusIvEEfEEDaPvRmT3_T4_T5_mT6_P12ihipStream_tbENKUlT_T0_E_clISt17integral_constantIbLb0EESW_EEDaSR_SS_EUlSR_E0_NS1_11comp_targetILNS1_3genE9ELNS1_11target_archE1100ELNS1_3gpuE3ELNS1_3repE0EEENS1_30default_config_static_selectorELNS0_4arch9wavefront6targetE1EEEvT1_
    .private_segment_fixed_size: 0
    .sgpr_count:     4
    .sgpr_spill_count: 0
    .symbol:         _ZN7rocprim17ROCPRIM_400000_NS6detail17trampoline_kernelINS0_14default_configENS1_20scan_config_selectorIfEEZZNS1_9scan_implILNS1_25lookback_scan_determinismE0ELb1ELb1ES3_N6thrust23THRUST_200600_302600_NS6detail15normal_iteratorINS9_10device_ptrIjEEEENSB_INSC_IiEEEEfNS9_4plusIvEEfEEDaPvRmT3_T4_T5_mT6_P12ihipStream_tbENKUlT_T0_E_clISt17integral_constantIbLb0EESW_EEDaSR_SS_EUlSR_E0_NS1_11comp_targetILNS1_3genE9ELNS1_11target_archE1100ELNS1_3gpuE3ELNS1_3repE0EEENS1_30default_config_static_selectorELNS0_4arch9wavefront6targetE1EEEvT1_.kd
    .uniform_work_group_size: 1
    .uses_dynamic_stack: false
    .vgpr_count:     0
    .vgpr_spill_count: 0
    .wavefront_size: 64
  - .agpr_count:     0
    .args:
      - .offset:         0
        .size:           32
        .value_kind:     by_value
    .group_segment_fixed_size: 0
    .kernarg_segment_align: 8
    .kernarg_segment_size: 32
    .language:       OpenCL C
    .language_version:
      - 2
      - 0
    .max_flat_workgroup_size: 64
    .name:           _ZN7rocprim17ROCPRIM_400000_NS6detail17trampoline_kernelINS0_14default_configENS1_20scan_config_selectorIfEEZZNS1_9scan_implILNS1_25lookback_scan_determinismE0ELb1ELb1ES3_N6thrust23THRUST_200600_302600_NS6detail15normal_iteratorINS9_10device_ptrIjEEEENSB_INSC_IiEEEEfNS9_4plusIvEEfEEDaPvRmT3_T4_T5_mT6_P12ihipStream_tbENKUlT_T0_E_clISt17integral_constantIbLb0EESW_EEDaSR_SS_EUlSR_E0_NS1_11comp_targetILNS1_3genE8ELNS1_11target_archE1030ELNS1_3gpuE2ELNS1_3repE0EEENS1_30default_config_static_selectorELNS0_4arch9wavefront6targetE1EEEvT1_
    .private_segment_fixed_size: 0
    .sgpr_count:     4
    .sgpr_spill_count: 0
    .symbol:         _ZN7rocprim17ROCPRIM_400000_NS6detail17trampoline_kernelINS0_14default_configENS1_20scan_config_selectorIfEEZZNS1_9scan_implILNS1_25lookback_scan_determinismE0ELb1ELb1ES3_N6thrust23THRUST_200600_302600_NS6detail15normal_iteratorINS9_10device_ptrIjEEEENSB_INSC_IiEEEEfNS9_4plusIvEEfEEDaPvRmT3_T4_T5_mT6_P12ihipStream_tbENKUlT_T0_E_clISt17integral_constantIbLb0EESW_EEDaSR_SS_EUlSR_E0_NS1_11comp_targetILNS1_3genE8ELNS1_11target_archE1030ELNS1_3gpuE2ELNS1_3repE0EEENS1_30default_config_static_selectorELNS0_4arch9wavefront6targetE1EEEvT1_.kd
    .uniform_work_group_size: 1
    .uses_dynamic_stack: false
    .vgpr_count:     0
    .vgpr_spill_count: 0
    .wavefront_size: 64
  - .agpr_count:     0
    .args:
      - .offset:         0
        .size:           96
        .value_kind:     by_value
    .group_segment_fixed_size: 0
    .kernarg_segment_align: 8
    .kernarg_segment_size: 96
    .language:       OpenCL C
    .language_version:
      - 2
      - 0
    .max_flat_workgroup_size: 256
    .name:           _ZN7rocprim17ROCPRIM_400000_NS6detail17trampoline_kernelINS0_14default_configENS1_20scan_config_selectorIfEEZZNS1_9scan_implILNS1_25lookback_scan_determinismE0ELb1ELb1ES3_N6thrust23THRUST_200600_302600_NS6detail15normal_iteratorINS9_10device_ptrIjEEEENSB_INSC_IiEEEEfNS9_4plusIvEEfEEDaPvRmT3_T4_T5_mT6_P12ihipStream_tbENKUlT_T0_E_clISt17integral_constantIbLb1EESW_EEDaSR_SS_EUlSR_E_NS1_11comp_targetILNS1_3genE0ELNS1_11target_archE4294967295ELNS1_3gpuE0ELNS1_3repE0EEENS1_30default_config_static_selectorELNS0_4arch9wavefront6targetE1EEEvT1_
    .private_segment_fixed_size: 0
    .sgpr_count:     4
    .sgpr_spill_count: 0
    .symbol:         _ZN7rocprim17ROCPRIM_400000_NS6detail17trampoline_kernelINS0_14default_configENS1_20scan_config_selectorIfEEZZNS1_9scan_implILNS1_25lookback_scan_determinismE0ELb1ELb1ES3_N6thrust23THRUST_200600_302600_NS6detail15normal_iteratorINS9_10device_ptrIjEEEENSB_INSC_IiEEEEfNS9_4plusIvEEfEEDaPvRmT3_T4_T5_mT6_P12ihipStream_tbENKUlT_T0_E_clISt17integral_constantIbLb1EESW_EEDaSR_SS_EUlSR_E_NS1_11comp_targetILNS1_3genE0ELNS1_11target_archE4294967295ELNS1_3gpuE0ELNS1_3repE0EEENS1_30default_config_static_selectorELNS0_4arch9wavefront6targetE1EEEvT1_.kd
    .uniform_work_group_size: 1
    .uses_dynamic_stack: false
    .vgpr_count:     0
    .vgpr_spill_count: 0
    .wavefront_size: 64
  - .agpr_count:     0
    .args:
      - .offset:         0
        .size:           96
        .value_kind:     by_value
    .group_segment_fixed_size: 0
    .kernarg_segment_align: 8
    .kernarg_segment_size: 96
    .language:       OpenCL C
    .language_version:
      - 2
      - 0
    .max_flat_workgroup_size: 256
    .name:           _ZN7rocprim17ROCPRIM_400000_NS6detail17trampoline_kernelINS0_14default_configENS1_20scan_config_selectorIfEEZZNS1_9scan_implILNS1_25lookback_scan_determinismE0ELb1ELb1ES3_N6thrust23THRUST_200600_302600_NS6detail15normal_iteratorINS9_10device_ptrIjEEEENSB_INSC_IiEEEEfNS9_4plusIvEEfEEDaPvRmT3_T4_T5_mT6_P12ihipStream_tbENKUlT_T0_E_clISt17integral_constantIbLb1EESW_EEDaSR_SS_EUlSR_E_NS1_11comp_targetILNS1_3genE5ELNS1_11target_archE942ELNS1_3gpuE9ELNS1_3repE0EEENS1_30default_config_static_selectorELNS0_4arch9wavefront6targetE1EEEvT1_
    .private_segment_fixed_size: 0
    .sgpr_count:     4
    .sgpr_spill_count: 0
    .symbol:         _ZN7rocprim17ROCPRIM_400000_NS6detail17trampoline_kernelINS0_14default_configENS1_20scan_config_selectorIfEEZZNS1_9scan_implILNS1_25lookback_scan_determinismE0ELb1ELb1ES3_N6thrust23THRUST_200600_302600_NS6detail15normal_iteratorINS9_10device_ptrIjEEEENSB_INSC_IiEEEEfNS9_4plusIvEEfEEDaPvRmT3_T4_T5_mT6_P12ihipStream_tbENKUlT_T0_E_clISt17integral_constantIbLb1EESW_EEDaSR_SS_EUlSR_E_NS1_11comp_targetILNS1_3genE5ELNS1_11target_archE942ELNS1_3gpuE9ELNS1_3repE0EEENS1_30default_config_static_selectorELNS0_4arch9wavefront6targetE1EEEvT1_.kd
    .uniform_work_group_size: 1
    .uses_dynamic_stack: false
    .vgpr_count:     0
    .vgpr_spill_count: 0
    .wavefront_size: 64
  - .agpr_count:     0
    .args:
      - .offset:         0
        .size:           96
        .value_kind:     by_value
    .group_segment_fixed_size: 7168
    .kernarg_segment_align: 8
    .kernarg_segment_size: 96
    .language:       OpenCL C
    .language_version:
      - 2
      - 0
    .max_flat_workgroup_size: 128
    .name:           _ZN7rocprim17ROCPRIM_400000_NS6detail17trampoline_kernelINS0_14default_configENS1_20scan_config_selectorIfEEZZNS1_9scan_implILNS1_25lookback_scan_determinismE0ELb1ELb1ES3_N6thrust23THRUST_200600_302600_NS6detail15normal_iteratorINS9_10device_ptrIjEEEENSB_INSC_IiEEEEfNS9_4plusIvEEfEEDaPvRmT3_T4_T5_mT6_P12ihipStream_tbENKUlT_T0_E_clISt17integral_constantIbLb1EESW_EEDaSR_SS_EUlSR_E_NS1_11comp_targetILNS1_3genE4ELNS1_11target_archE910ELNS1_3gpuE8ELNS1_3repE0EEENS1_30default_config_static_selectorELNS0_4arch9wavefront6targetE1EEEvT1_
    .private_segment_fixed_size: 0
    .sgpr_count:     45
    .sgpr_spill_count: 0
    .symbol:         _ZN7rocprim17ROCPRIM_400000_NS6detail17trampoline_kernelINS0_14default_configENS1_20scan_config_selectorIfEEZZNS1_9scan_implILNS1_25lookback_scan_determinismE0ELb1ELb1ES3_N6thrust23THRUST_200600_302600_NS6detail15normal_iteratorINS9_10device_ptrIjEEEENSB_INSC_IiEEEEfNS9_4plusIvEEfEEDaPvRmT3_T4_T5_mT6_P12ihipStream_tbENKUlT_T0_E_clISt17integral_constantIbLb1EESW_EEDaSR_SS_EUlSR_E_NS1_11comp_targetILNS1_3genE4ELNS1_11target_archE910ELNS1_3gpuE8ELNS1_3repE0EEENS1_30default_config_static_selectorELNS0_4arch9wavefront6targetE1EEEvT1_.kd
    .uniform_work_group_size: 1
    .uses_dynamic_stack: false
    .vgpr_count:     49
    .vgpr_spill_count: 0
    .wavefront_size: 64
  - .agpr_count:     0
    .args:
      - .offset:         0
        .size:           96
        .value_kind:     by_value
    .group_segment_fixed_size: 0
    .kernarg_segment_align: 8
    .kernarg_segment_size: 96
    .language:       OpenCL C
    .language_version:
      - 2
      - 0
    .max_flat_workgroup_size: 256
    .name:           _ZN7rocprim17ROCPRIM_400000_NS6detail17trampoline_kernelINS0_14default_configENS1_20scan_config_selectorIfEEZZNS1_9scan_implILNS1_25lookback_scan_determinismE0ELb1ELb1ES3_N6thrust23THRUST_200600_302600_NS6detail15normal_iteratorINS9_10device_ptrIjEEEENSB_INSC_IiEEEEfNS9_4plusIvEEfEEDaPvRmT3_T4_T5_mT6_P12ihipStream_tbENKUlT_T0_E_clISt17integral_constantIbLb1EESW_EEDaSR_SS_EUlSR_E_NS1_11comp_targetILNS1_3genE3ELNS1_11target_archE908ELNS1_3gpuE7ELNS1_3repE0EEENS1_30default_config_static_selectorELNS0_4arch9wavefront6targetE1EEEvT1_
    .private_segment_fixed_size: 0
    .sgpr_count:     4
    .sgpr_spill_count: 0
    .symbol:         _ZN7rocprim17ROCPRIM_400000_NS6detail17trampoline_kernelINS0_14default_configENS1_20scan_config_selectorIfEEZZNS1_9scan_implILNS1_25lookback_scan_determinismE0ELb1ELb1ES3_N6thrust23THRUST_200600_302600_NS6detail15normal_iteratorINS9_10device_ptrIjEEEENSB_INSC_IiEEEEfNS9_4plusIvEEfEEDaPvRmT3_T4_T5_mT6_P12ihipStream_tbENKUlT_T0_E_clISt17integral_constantIbLb1EESW_EEDaSR_SS_EUlSR_E_NS1_11comp_targetILNS1_3genE3ELNS1_11target_archE908ELNS1_3gpuE7ELNS1_3repE0EEENS1_30default_config_static_selectorELNS0_4arch9wavefront6targetE1EEEvT1_.kd
    .uniform_work_group_size: 1
    .uses_dynamic_stack: false
    .vgpr_count:     0
    .vgpr_spill_count: 0
    .wavefront_size: 64
  - .agpr_count:     0
    .args:
      - .offset:         0
        .size:           96
        .value_kind:     by_value
    .group_segment_fixed_size: 0
    .kernarg_segment_align: 8
    .kernarg_segment_size: 96
    .language:       OpenCL C
    .language_version:
      - 2
      - 0
    .max_flat_workgroup_size: 256
    .name:           _ZN7rocprim17ROCPRIM_400000_NS6detail17trampoline_kernelINS0_14default_configENS1_20scan_config_selectorIfEEZZNS1_9scan_implILNS1_25lookback_scan_determinismE0ELb1ELb1ES3_N6thrust23THRUST_200600_302600_NS6detail15normal_iteratorINS9_10device_ptrIjEEEENSB_INSC_IiEEEEfNS9_4plusIvEEfEEDaPvRmT3_T4_T5_mT6_P12ihipStream_tbENKUlT_T0_E_clISt17integral_constantIbLb1EESW_EEDaSR_SS_EUlSR_E_NS1_11comp_targetILNS1_3genE2ELNS1_11target_archE906ELNS1_3gpuE6ELNS1_3repE0EEENS1_30default_config_static_selectorELNS0_4arch9wavefront6targetE1EEEvT1_
    .private_segment_fixed_size: 0
    .sgpr_count:     4
    .sgpr_spill_count: 0
    .symbol:         _ZN7rocprim17ROCPRIM_400000_NS6detail17trampoline_kernelINS0_14default_configENS1_20scan_config_selectorIfEEZZNS1_9scan_implILNS1_25lookback_scan_determinismE0ELb1ELb1ES3_N6thrust23THRUST_200600_302600_NS6detail15normal_iteratorINS9_10device_ptrIjEEEENSB_INSC_IiEEEEfNS9_4plusIvEEfEEDaPvRmT3_T4_T5_mT6_P12ihipStream_tbENKUlT_T0_E_clISt17integral_constantIbLb1EESW_EEDaSR_SS_EUlSR_E_NS1_11comp_targetILNS1_3genE2ELNS1_11target_archE906ELNS1_3gpuE6ELNS1_3repE0EEENS1_30default_config_static_selectorELNS0_4arch9wavefront6targetE1EEEvT1_.kd
    .uniform_work_group_size: 1
    .uses_dynamic_stack: false
    .vgpr_count:     0
    .vgpr_spill_count: 0
    .wavefront_size: 64
  - .agpr_count:     0
    .args:
      - .offset:         0
        .size:           96
        .value_kind:     by_value
    .group_segment_fixed_size: 0
    .kernarg_segment_align: 8
    .kernarg_segment_size: 96
    .language:       OpenCL C
    .language_version:
      - 2
      - 0
    .max_flat_workgroup_size: 256
    .name:           _ZN7rocprim17ROCPRIM_400000_NS6detail17trampoline_kernelINS0_14default_configENS1_20scan_config_selectorIfEEZZNS1_9scan_implILNS1_25lookback_scan_determinismE0ELb1ELb1ES3_N6thrust23THRUST_200600_302600_NS6detail15normal_iteratorINS9_10device_ptrIjEEEENSB_INSC_IiEEEEfNS9_4plusIvEEfEEDaPvRmT3_T4_T5_mT6_P12ihipStream_tbENKUlT_T0_E_clISt17integral_constantIbLb1EESW_EEDaSR_SS_EUlSR_E_NS1_11comp_targetILNS1_3genE10ELNS1_11target_archE1201ELNS1_3gpuE5ELNS1_3repE0EEENS1_30default_config_static_selectorELNS0_4arch9wavefront6targetE1EEEvT1_
    .private_segment_fixed_size: 0
    .sgpr_count:     4
    .sgpr_spill_count: 0
    .symbol:         _ZN7rocprim17ROCPRIM_400000_NS6detail17trampoline_kernelINS0_14default_configENS1_20scan_config_selectorIfEEZZNS1_9scan_implILNS1_25lookback_scan_determinismE0ELb1ELb1ES3_N6thrust23THRUST_200600_302600_NS6detail15normal_iteratorINS9_10device_ptrIjEEEENSB_INSC_IiEEEEfNS9_4plusIvEEfEEDaPvRmT3_T4_T5_mT6_P12ihipStream_tbENKUlT_T0_E_clISt17integral_constantIbLb1EESW_EEDaSR_SS_EUlSR_E_NS1_11comp_targetILNS1_3genE10ELNS1_11target_archE1201ELNS1_3gpuE5ELNS1_3repE0EEENS1_30default_config_static_selectorELNS0_4arch9wavefront6targetE1EEEvT1_.kd
    .uniform_work_group_size: 1
    .uses_dynamic_stack: false
    .vgpr_count:     0
    .vgpr_spill_count: 0
    .wavefront_size: 64
  - .agpr_count:     0
    .args:
      - .offset:         0
        .size:           96
        .value_kind:     by_value
    .group_segment_fixed_size: 0
    .kernarg_segment_align: 8
    .kernarg_segment_size: 96
    .language:       OpenCL C
    .language_version:
      - 2
      - 0
    .max_flat_workgroup_size: 256
    .name:           _ZN7rocprim17ROCPRIM_400000_NS6detail17trampoline_kernelINS0_14default_configENS1_20scan_config_selectorIfEEZZNS1_9scan_implILNS1_25lookback_scan_determinismE0ELb1ELb1ES3_N6thrust23THRUST_200600_302600_NS6detail15normal_iteratorINS9_10device_ptrIjEEEENSB_INSC_IiEEEEfNS9_4plusIvEEfEEDaPvRmT3_T4_T5_mT6_P12ihipStream_tbENKUlT_T0_E_clISt17integral_constantIbLb1EESW_EEDaSR_SS_EUlSR_E_NS1_11comp_targetILNS1_3genE10ELNS1_11target_archE1200ELNS1_3gpuE4ELNS1_3repE0EEENS1_30default_config_static_selectorELNS0_4arch9wavefront6targetE1EEEvT1_
    .private_segment_fixed_size: 0
    .sgpr_count:     4
    .sgpr_spill_count: 0
    .symbol:         _ZN7rocprim17ROCPRIM_400000_NS6detail17trampoline_kernelINS0_14default_configENS1_20scan_config_selectorIfEEZZNS1_9scan_implILNS1_25lookback_scan_determinismE0ELb1ELb1ES3_N6thrust23THRUST_200600_302600_NS6detail15normal_iteratorINS9_10device_ptrIjEEEENSB_INSC_IiEEEEfNS9_4plusIvEEfEEDaPvRmT3_T4_T5_mT6_P12ihipStream_tbENKUlT_T0_E_clISt17integral_constantIbLb1EESW_EEDaSR_SS_EUlSR_E_NS1_11comp_targetILNS1_3genE10ELNS1_11target_archE1200ELNS1_3gpuE4ELNS1_3repE0EEENS1_30default_config_static_selectorELNS0_4arch9wavefront6targetE1EEEvT1_.kd
    .uniform_work_group_size: 1
    .uses_dynamic_stack: false
    .vgpr_count:     0
    .vgpr_spill_count: 0
    .wavefront_size: 64
  - .agpr_count:     0
    .args:
      - .offset:         0
        .size:           96
        .value_kind:     by_value
    .group_segment_fixed_size: 0
    .kernarg_segment_align: 8
    .kernarg_segment_size: 96
    .language:       OpenCL C
    .language_version:
      - 2
      - 0
    .max_flat_workgroup_size: 256
    .name:           _ZN7rocprim17ROCPRIM_400000_NS6detail17trampoline_kernelINS0_14default_configENS1_20scan_config_selectorIfEEZZNS1_9scan_implILNS1_25lookback_scan_determinismE0ELb1ELb1ES3_N6thrust23THRUST_200600_302600_NS6detail15normal_iteratorINS9_10device_ptrIjEEEENSB_INSC_IiEEEEfNS9_4plusIvEEfEEDaPvRmT3_T4_T5_mT6_P12ihipStream_tbENKUlT_T0_E_clISt17integral_constantIbLb1EESW_EEDaSR_SS_EUlSR_E_NS1_11comp_targetILNS1_3genE9ELNS1_11target_archE1100ELNS1_3gpuE3ELNS1_3repE0EEENS1_30default_config_static_selectorELNS0_4arch9wavefront6targetE1EEEvT1_
    .private_segment_fixed_size: 0
    .sgpr_count:     4
    .sgpr_spill_count: 0
    .symbol:         _ZN7rocprim17ROCPRIM_400000_NS6detail17trampoline_kernelINS0_14default_configENS1_20scan_config_selectorIfEEZZNS1_9scan_implILNS1_25lookback_scan_determinismE0ELb1ELb1ES3_N6thrust23THRUST_200600_302600_NS6detail15normal_iteratorINS9_10device_ptrIjEEEENSB_INSC_IiEEEEfNS9_4plusIvEEfEEDaPvRmT3_T4_T5_mT6_P12ihipStream_tbENKUlT_T0_E_clISt17integral_constantIbLb1EESW_EEDaSR_SS_EUlSR_E_NS1_11comp_targetILNS1_3genE9ELNS1_11target_archE1100ELNS1_3gpuE3ELNS1_3repE0EEENS1_30default_config_static_selectorELNS0_4arch9wavefront6targetE1EEEvT1_.kd
    .uniform_work_group_size: 1
    .uses_dynamic_stack: false
    .vgpr_count:     0
    .vgpr_spill_count: 0
    .wavefront_size: 64
  - .agpr_count:     0
    .args:
      - .offset:         0
        .size:           96
        .value_kind:     by_value
    .group_segment_fixed_size: 0
    .kernarg_segment_align: 8
    .kernarg_segment_size: 96
    .language:       OpenCL C
    .language_version:
      - 2
      - 0
    .max_flat_workgroup_size: 64
    .name:           _ZN7rocprim17ROCPRIM_400000_NS6detail17trampoline_kernelINS0_14default_configENS1_20scan_config_selectorIfEEZZNS1_9scan_implILNS1_25lookback_scan_determinismE0ELb1ELb1ES3_N6thrust23THRUST_200600_302600_NS6detail15normal_iteratorINS9_10device_ptrIjEEEENSB_INSC_IiEEEEfNS9_4plusIvEEfEEDaPvRmT3_T4_T5_mT6_P12ihipStream_tbENKUlT_T0_E_clISt17integral_constantIbLb1EESW_EEDaSR_SS_EUlSR_E_NS1_11comp_targetILNS1_3genE8ELNS1_11target_archE1030ELNS1_3gpuE2ELNS1_3repE0EEENS1_30default_config_static_selectorELNS0_4arch9wavefront6targetE1EEEvT1_
    .private_segment_fixed_size: 0
    .sgpr_count:     4
    .sgpr_spill_count: 0
    .symbol:         _ZN7rocprim17ROCPRIM_400000_NS6detail17trampoline_kernelINS0_14default_configENS1_20scan_config_selectorIfEEZZNS1_9scan_implILNS1_25lookback_scan_determinismE0ELb1ELb1ES3_N6thrust23THRUST_200600_302600_NS6detail15normal_iteratorINS9_10device_ptrIjEEEENSB_INSC_IiEEEEfNS9_4plusIvEEfEEDaPvRmT3_T4_T5_mT6_P12ihipStream_tbENKUlT_T0_E_clISt17integral_constantIbLb1EESW_EEDaSR_SS_EUlSR_E_NS1_11comp_targetILNS1_3genE8ELNS1_11target_archE1030ELNS1_3gpuE2ELNS1_3repE0EEENS1_30default_config_static_selectorELNS0_4arch9wavefront6targetE1EEEvT1_.kd
    .uniform_work_group_size: 1
    .uses_dynamic_stack: false
    .vgpr_count:     0
    .vgpr_spill_count: 0
    .wavefront_size: 64
  - .agpr_count:     0
    .args:
      - .offset:         0
        .size:           32
        .value_kind:     by_value
    .group_segment_fixed_size: 0
    .kernarg_segment_align: 8
    .kernarg_segment_size: 32
    .language:       OpenCL C
    .language_version:
      - 2
      - 0
    .max_flat_workgroup_size: 256
    .name:           _ZN7rocprim17ROCPRIM_400000_NS6detail17trampoline_kernelINS0_14default_configENS1_20scan_config_selectorIfEEZZNS1_9scan_implILNS1_25lookback_scan_determinismE0ELb1ELb1ES3_N6thrust23THRUST_200600_302600_NS6detail15normal_iteratorINS9_10device_ptrIjEEEENSB_INSC_IiEEEEfNS9_4plusIvEEfEEDaPvRmT3_T4_T5_mT6_P12ihipStream_tbENKUlT_T0_E_clISt17integral_constantIbLb1EESW_EEDaSR_SS_EUlSR_E0_NS1_11comp_targetILNS1_3genE0ELNS1_11target_archE4294967295ELNS1_3gpuE0ELNS1_3repE0EEENS1_30default_config_static_selectorELNS0_4arch9wavefront6targetE1EEEvT1_
    .private_segment_fixed_size: 0
    .sgpr_count:     4
    .sgpr_spill_count: 0
    .symbol:         _ZN7rocprim17ROCPRIM_400000_NS6detail17trampoline_kernelINS0_14default_configENS1_20scan_config_selectorIfEEZZNS1_9scan_implILNS1_25lookback_scan_determinismE0ELb1ELb1ES3_N6thrust23THRUST_200600_302600_NS6detail15normal_iteratorINS9_10device_ptrIjEEEENSB_INSC_IiEEEEfNS9_4plusIvEEfEEDaPvRmT3_T4_T5_mT6_P12ihipStream_tbENKUlT_T0_E_clISt17integral_constantIbLb1EESW_EEDaSR_SS_EUlSR_E0_NS1_11comp_targetILNS1_3genE0ELNS1_11target_archE4294967295ELNS1_3gpuE0ELNS1_3repE0EEENS1_30default_config_static_selectorELNS0_4arch9wavefront6targetE1EEEvT1_.kd
    .uniform_work_group_size: 1
    .uses_dynamic_stack: false
    .vgpr_count:     0
    .vgpr_spill_count: 0
    .wavefront_size: 64
  - .agpr_count:     0
    .args:
      - .offset:         0
        .size:           32
        .value_kind:     by_value
    .group_segment_fixed_size: 0
    .kernarg_segment_align: 8
    .kernarg_segment_size: 32
    .language:       OpenCL C
    .language_version:
      - 2
      - 0
    .max_flat_workgroup_size: 256
    .name:           _ZN7rocprim17ROCPRIM_400000_NS6detail17trampoline_kernelINS0_14default_configENS1_20scan_config_selectorIfEEZZNS1_9scan_implILNS1_25lookback_scan_determinismE0ELb1ELb1ES3_N6thrust23THRUST_200600_302600_NS6detail15normal_iteratorINS9_10device_ptrIjEEEENSB_INSC_IiEEEEfNS9_4plusIvEEfEEDaPvRmT3_T4_T5_mT6_P12ihipStream_tbENKUlT_T0_E_clISt17integral_constantIbLb1EESW_EEDaSR_SS_EUlSR_E0_NS1_11comp_targetILNS1_3genE5ELNS1_11target_archE942ELNS1_3gpuE9ELNS1_3repE0EEENS1_30default_config_static_selectorELNS0_4arch9wavefront6targetE1EEEvT1_
    .private_segment_fixed_size: 0
    .sgpr_count:     4
    .sgpr_spill_count: 0
    .symbol:         _ZN7rocprim17ROCPRIM_400000_NS6detail17trampoline_kernelINS0_14default_configENS1_20scan_config_selectorIfEEZZNS1_9scan_implILNS1_25lookback_scan_determinismE0ELb1ELb1ES3_N6thrust23THRUST_200600_302600_NS6detail15normal_iteratorINS9_10device_ptrIjEEEENSB_INSC_IiEEEEfNS9_4plusIvEEfEEDaPvRmT3_T4_T5_mT6_P12ihipStream_tbENKUlT_T0_E_clISt17integral_constantIbLb1EESW_EEDaSR_SS_EUlSR_E0_NS1_11comp_targetILNS1_3genE5ELNS1_11target_archE942ELNS1_3gpuE9ELNS1_3repE0EEENS1_30default_config_static_selectorELNS0_4arch9wavefront6targetE1EEEvT1_.kd
    .uniform_work_group_size: 1
    .uses_dynamic_stack: false
    .vgpr_count:     0
    .vgpr_spill_count: 0
    .wavefront_size: 64
  - .agpr_count:     0
    .args:
      - .offset:         0
        .size:           32
        .value_kind:     by_value
    .group_segment_fixed_size: 7168
    .kernarg_segment_align: 8
    .kernarg_segment_size: 32
    .language:       OpenCL C
    .language_version:
      - 2
      - 0
    .max_flat_workgroup_size: 128
    .name:           _ZN7rocprim17ROCPRIM_400000_NS6detail17trampoline_kernelINS0_14default_configENS1_20scan_config_selectorIfEEZZNS1_9scan_implILNS1_25lookback_scan_determinismE0ELb1ELb1ES3_N6thrust23THRUST_200600_302600_NS6detail15normal_iteratorINS9_10device_ptrIjEEEENSB_INSC_IiEEEEfNS9_4plusIvEEfEEDaPvRmT3_T4_T5_mT6_P12ihipStream_tbENKUlT_T0_E_clISt17integral_constantIbLb1EESW_EEDaSR_SS_EUlSR_E0_NS1_11comp_targetILNS1_3genE4ELNS1_11target_archE910ELNS1_3gpuE8ELNS1_3repE0EEENS1_30default_config_static_selectorELNS0_4arch9wavefront6targetE1EEEvT1_
    .private_segment_fixed_size: 0
    .sgpr_count:     42
    .sgpr_spill_count: 0
    .symbol:         _ZN7rocprim17ROCPRIM_400000_NS6detail17trampoline_kernelINS0_14default_configENS1_20scan_config_selectorIfEEZZNS1_9scan_implILNS1_25lookback_scan_determinismE0ELb1ELb1ES3_N6thrust23THRUST_200600_302600_NS6detail15normal_iteratorINS9_10device_ptrIjEEEENSB_INSC_IiEEEEfNS9_4plusIvEEfEEDaPvRmT3_T4_T5_mT6_P12ihipStream_tbENKUlT_T0_E_clISt17integral_constantIbLb1EESW_EEDaSR_SS_EUlSR_E0_NS1_11comp_targetILNS1_3genE4ELNS1_11target_archE910ELNS1_3gpuE8ELNS1_3repE0EEENS1_30default_config_static_selectorELNS0_4arch9wavefront6targetE1EEEvT1_.kd
    .uniform_work_group_size: 1
    .uses_dynamic_stack: false
    .vgpr_count:     24
    .vgpr_spill_count: 0
    .wavefront_size: 64
  - .agpr_count:     0
    .args:
      - .offset:         0
        .size:           32
        .value_kind:     by_value
    .group_segment_fixed_size: 0
    .kernarg_segment_align: 8
    .kernarg_segment_size: 32
    .language:       OpenCL C
    .language_version:
      - 2
      - 0
    .max_flat_workgroup_size: 256
    .name:           _ZN7rocprim17ROCPRIM_400000_NS6detail17trampoline_kernelINS0_14default_configENS1_20scan_config_selectorIfEEZZNS1_9scan_implILNS1_25lookback_scan_determinismE0ELb1ELb1ES3_N6thrust23THRUST_200600_302600_NS6detail15normal_iteratorINS9_10device_ptrIjEEEENSB_INSC_IiEEEEfNS9_4plusIvEEfEEDaPvRmT3_T4_T5_mT6_P12ihipStream_tbENKUlT_T0_E_clISt17integral_constantIbLb1EESW_EEDaSR_SS_EUlSR_E0_NS1_11comp_targetILNS1_3genE3ELNS1_11target_archE908ELNS1_3gpuE7ELNS1_3repE0EEENS1_30default_config_static_selectorELNS0_4arch9wavefront6targetE1EEEvT1_
    .private_segment_fixed_size: 0
    .sgpr_count:     4
    .sgpr_spill_count: 0
    .symbol:         _ZN7rocprim17ROCPRIM_400000_NS6detail17trampoline_kernelINS0_14default_configENS1_20scan_config_selectorIfEEZZNS1_9scan_implILNS1_25lookback_scan_determinismE0ELb1ELb1ES3_N6thrust23THRUST_200600_302600_NS6detail15normal_iteratorINS9_10device_ptrIjEEEENSB_INSC_IiEEEEfNS9_4plusIvEEfEEDaPvRmT3_T4_T5_mT6_P12ihipStream_tbENKUlT_T0_E_clISt17integral_constantIbLb1EESW_EEDaSR_SS_EUlSR_E0_NS1_11comp_targetILNS1_3genE3ELNS1_11target_archE908ELNS1_3gpuE7ELNS1_3repE0EEENS1_30default_config_static_selectorELNS0_4arch9wavefront6targetE1EEEvT1_.kd
    .uniform_work_group_size: 1
    .uses_dynamic_stack: false
    .vgpr_count:     0
    .vgpr_spill_count: 0
    .wavefront_size: 64
  - .agpr_count:     0
    .args:
      - .offset:         0
        .size:           32
        .value_kind:     by_value
    .group_segment_fixed_size: 0
    .kernarg_segment_align: 8
    .kernarg_segment_size: 32
    .language:       OpenCL C
    .language_version:
      - 2
      - 0
    .max_flat_workgroup_size: 256
    .name:           _ZN7rocprim17ROCPRIM_400000_NS6detail17trampoline_kernelINS0_14default_configENS1_20scan_config_selectorIfEEZZNS1_9scan_implILNS1_25lookback_scan_determinismE0ELb1ELb1ES3_N6thrust23THRUST_200600_302600_NS6detail15normal_iteratorINS9_10device_ptrIjEEEENSB_INSC_IiEEEEfNS9_4plusIvEEfEEDaPvRmT3_T4_T5_mT6_P12ihipStream_tbENKUlT_T0_E_clISt17integral_constantIbLb1EESW_EEDaSR_SS_EUlSR_E0_NS1_11comp_targetILNS1_3genE2ELNS1_11target_archE906ELNS1_3gpuE6ELNS1_3repE0EEENS1_30default_config_static_selectorELNS0_4arch9wavefront6targetE1EEEvT1_
    .private_segment_fixed_size: 0
    .sgpr_count:     4
    .sgpr_spill_count: 0
    .symbol:         _ZN7rocprim17ROCPRIM_400000_NS6detail17trampoline_kernelINS0_14default_configENS1_20scan_config_selectorIfEEZZNS1_9scan_implILNS1_25lookback_scan_determinismE0ELb1ELb1ES3_N6thrust23THRUST_200600_302600_NS6detail15normal_iteratorINS9_10device_ptrIjEEEENSB_INSC_IiEEEEfNS9_4plusIvEEfEEDaPvRmT3_T4_T5_mT6_P12ihipStream_tbENKUlT_T0_E_clISt17integral_constantIbLb1EESW_EEDaSR_SS_EUlSR_E0_NS1_11comp_targetILNS1_3genE2ELNS1_11target_archE906ELNS1_3gpuE6ELNS1_3repE0EEENS1_30default_config_static_selectorELNS0_4arch9wavefront6targetE1EEEvT1_.kd
    .uniform_work_group_size: 1
    .uses_dynamic_stack: false
    .vgpr_count:     0
    .vgpr_spill_count: 0
    .wavefront_size: 64
  - .agpr_count:     0
    .args:
      - .offset:         0
        .size:           32
        .value_kind:     by_value
    .group_segment_fixed_size: 0
    .kernarg_segment_align: 8
    .kernarg_segment_size: 32
    .language:       OpenCL C
    .language_version:
      - 2
      - 0
    .max_flat_workgroup_size: 256
    .name:           _ZN7rocprim17ROCPRIM_400000_NS6detail17trampoline_kernelINS0_14default_configENS1_20scan_config_selectorIfEEZZNS1_9scan_implILNS1_25lookback_scan_determinismE0ELb1ELb1ES3_N6thrust23THRUST_200600_302600_NS6detail15normal_iteratorINS9_10device_ptrIjEEEENSB_INSC_IiEEEEfNS9_4plusIvEEfEEDaPvRmT3_T4_T5_mT6_P12ihipStream_tbENKUlT_T0_E_clISt17integral_constantIbLb1EESW_EEDaSR_SS_EUlSR_E0_NS1_11comp_targetILNS1_3genE10ELNS1_11target_archE1201ELNS1_3gpuE5ELNS1_3repE0EEENS1_30default_config_static_selectorELNS0_4arch9wavefront6targetE1EEEvT1_
    .private_segment_fixed_size: 0
    .sgpr_count:     4
    .sgpr_spill_count: 0
    .symbol:         _ZN7rocprim17ROCPRIM_400000_NS6detail17trampoline_kernelINS0_14default_configENS1_20scan_config_selectorIfEEZZNS1_9scan_implILNS1_25lookback_scan_determinismE0ELb1ELb1ES3_N6thrust23THRUST_200600_302600_NS6detail15normal_iteratorINS9_10device_ptrIjEEEENSB_INSC_IiEEEEfNS9_4plusIvEEfEEDaPvRmT3_T4_T5_mT6_P12ihipStream_tbENKUlT_T0_E_clISt17integral_constantIbLb1EESW_EEDaSR_SS_EUlSR_E0_NS1_11comp_targetILNS1_3genE10ELNS1_11target_archE1201ELNS1_3gpuE5ELNS1_3repE0EEENS1_30default_config_static_selectorELNS0_4arch9wavefront6targetE1EEEvT1_.kd
    .uniform_work_group_size: 1
    .uses_dynamic_stack: false
    .vgpr_count:     0
    .vgpr_spill_count: 0
    .wavefront_size: 64
  - .agpr_count:     0
    .args:
      - .offset:         0
        .size:           32
        .value_kind:     by_value
    .group_segment_fixed_size: 0
    .kernarg_segment_align: 8
    .kernarg_segment_size: 32
    .language:       OpenCL C
    .language_version:
      - 2
      - 0
    .max_flat_workgroup_size: 256
    .name:           _ZN7rocprim17ROCPRIM_400000_NS6detail17trampoline_kernelINS0_14default_configENS1_20scan_config_selectorIfEEZZNS1_9scan_implILNS1_25lookback_scan_determinismE0ELb1ELb1ES3_N6thrust23THRUST_200600_302600_NS6detail15normal_iteratorINS9_10device_ptrIjEEEENSB_INSC_IiEEEEfNS9_4plusIvEEfEEDaPvRmT3_T4_T5_mT6_P12ihipStream_tbENKUlT_T0_E_clISt17integral_constantIbLb1EESW_EEDaSR_SS_EUlSR_E0_NS1_11comp_targetILNS1_3genE10ELNS1_11target_archE1200ELNS1_3gpuE4ELNS1_3repE0EEENS1_30default_config_static_selectorELNS0_4arch9wavefront6targetE1EEEvT1_
    .private_segment_fixed_size: 0
    .sgpr_count:     4
    .sgpr_spill_count: 0
    .symbol:         _ZN7rocprim17ROCPRIM_400000_NS6detail17trampoline_kernelINS0_14default_configENS1_20scan_config_selectorIfEEZZNS1_9scan_implILNS1_25lookback_scan_determinismE0ELb1ELb1ES3_N6thrust23THRUST_200600_302600_NS6detail15normal_iteratorINS9_10device_ptrIjEEEENSB_INSC_IiEEEEfNS9_4plusIvEEfEEDaPvRmT3_T4_T5_mT6_P12ihipStream_tbENKUlT_T0_E_clISt17integral_constantIbLb1EESW_EEDaSR_SS_EUlSR_E0_NS1_11comp_targetILNS1_3genE10ELNS1_11target_archE1200ELNS1_3gpuE4ELNS1_3repE0EEENS1_30default_config_static_selectorELNS0_4arch9wavefront6targetE1EEEvT1_.kd
    .uniform_work_group_size: 1
    .uses_dynamic_stack: false
    .vgpr_count:     0
    .vgpr_spill_count: 0
    .wavefront_size: 64
  - .agpr_count:     0
    .args:
      - .offset:         0
        .size:           32
        .value_kind:     by_value
    .group_segment_fixed_size: 0
    .kernarg_segment_align: 8
    .kernarg_segment_size: 32
    .language:       OpenCL C
    .language_version:
      - 2
      - 0
    .max_flat_workgroup_size: 256
    .name:           _ZN7rocprim17ROCPRIM_400000_NS6detail17trampoline_kernelINS0_14default_configENS1_20scan_config_selectorIfEEZZNS1_9scan_implILNS1_25lookback_scan_determinismE0ELb1ELb1ES3_N6thrust23THRUST_200600_302600_NS6detail15normal_iteratorINS9_10device_ptrIjEEEENSB_INSC_IiEEEEfNS9_4plusIvEEfEEDaPvRmT3_T4_T5_mT6_P12ihipStream_tbENKUlT_T0_E_clISt17integral_constantIbLb1EESW_EEDaSR_SS_EUlSR_E0_NS1_11comp_targetILNS1_3genE9ELNS1_11target_archE1100ELNS1_3gpuE3ELNS1_3repE0EEENS1_30default_config_static_selectorELNS0_4arch9wavefront6targetE1EEEvT1_
    .private_segment_fixed_size: 0
    .sgpr_count:     4
    .sgpr_spill_count: 0
    .symbol:         _ZN7rocprim17ROCPRIM_400000_NS6detail17trampoline_kernelINS0_14default_configENS1_20scan_config_selectorIfEEZZNS1_9scan_implILNS1_25lookback_scan_determinismE0ELb1ELb1ES3_N6thrust23THRUST_200600_302600_NS6detail15normal_iteratorINS9_10device_ptrIjEEEENSB_INSC_IiEEEEfNS9_4plusIvEEfEEDaPvRmT3_T4_T5_mT6_P12ihipStream_tbENKUlT_T0_E_clISt17integral_constantIbLb1EESW_EEDaSR_SS_EUlSR_E0_NS1_11comp_targetILNS1_3genE9ELNS1_11target_archE1100ELNS1_3gpuE3ELNS1_3repE0EEENS1_30default_config_static_selectorELNS0_4arch9wavefront6targetE1EEEvT1_.kd
    .uniform_work_group_size: 1
    .uses_dynamic_stack: false
    .vgpr_count:     0
    .vgpr_spill_count: 0
    .wavefront_size: 64
  - .agpr_count:     0
    .args:
      - .offset:         0
        .size:           32
        .value_kind:     by_value
    .group_segment_fixed_size: 0
    .kernarg_segment_align: 8
    .kernarg_segment_size: 32
    .language:       OpenCL C
    .language_version:
      - 2
      - 0
    .max_flat_workgroup_size: 64
    .name:           _ZN7rocprim17ROCPRIM_400000_NS6detail17trampoline_kernelINS0_14default_configENS1_20scan_config_selectorIfEEZZNS1_9scan_implILNS1_25lookback_scan_determinismE0ELb1ELb1ES3_N6thrust23THRUST_200600_302600_NS6detail15normal_iteratorINS9_10device_ptrIjEEEENSB_INSC_IiEEEEfNS9_4plusIvEEfEEDaPvRmT3_T4_T5_mT6_P12ihipStream_tbENKUlT_T0_E_clISt17integral_constantIbLb1EESW_EEDaSR_SS_EUlSR_E0_NS1_11comp_targetILNS1_3genE8ELNS1_11target_archE1030ELNS1_3gpuE2ELNS1_3repE0EEENS1_30default_config_static_selectorELNS0_4arch9wavefront6targetE1EEEvT1_
    .private_segment_fixed_size: 0
    .sgpr_count:     4
    .sgpr_spill_count: 0
    .symbol:         _ZN7rocprim17ROCPRIM_400000_NS6detail17trampoline_kernelINS0_14default_configENS1_20scan_config_selectorIfEEZZNS1_9scan_implILNS1_25lookback_scan_determinismE0ELb1ELb1ES3_N6thrust23THRUST_200600_302600_NS6detail15normal_iteratorINS9_10device_ptrIjEEEENSB_INSC_IiEEEEfNS9_4plusIvEEfEEDaPvRmT3_T4_T5_mT6_P12ihipStream_tbENKUlT_T0_E_clISt17integral_constantIbLb1EESW_EEDaSR_SS_EUlSR_E0_NS1_11comp_targetILNS1_3genE8ELNS1_11target_archE1030ELNS1_3gpuE2ELNS1_3repE0EEENS1_30default_config_static_selectorELNS0_4arch9wavefront6targetE1EEEvT1_.kd
    .uniform_work_group_size: 1
    .uses_dynamic_stack: false
    .vgpr_count:     0
    .vgpr_spill_count: 0
    .wavefront_size: 64
  - .agpr_count:     0
    .args:
      - .offset:         0
        .size:           96
        .value_kind:     by_value
    .group_segment_fixed_size: 0
    .kernarg_segment_align: 8
    .kernarg_segment_size: 96
    .language:       OpenCL C
    .language_version:
      - 2
      - 0
    .max_flat_workgroup_size: 256
    .name:           _ZN7rocprim17ROCPRIM_400000_NS6detail17trampoline_kernelINS0_14default_configENS1_20scan_config_selectorIfEEZZNS1_9scan_implILNS1_25lookback_scan_determinismE0ELb1ELb1ES3_N6thrust23THRUST_200600_302600_NS6detail15normal_iteratorINS9_10device_ptrIjEEEENSB_INSC_IiEEEEfNS9_4plusIvEEfEEDaPvRmT3_T4_T5_mT6_P12ihipStream_tbENKUlT_T0_E_clISt17integral_constantIbLb1EESV_IbLb0EEEEDaSR_SS_EUlSR_E_NS1_11comp_targetILNS1_3genE0ELNS1_11target_archE4294967295ELNS1_3gpuE0ELNS1_3repE0EEENS1_30default_config_static_selectorELNS0_4arch9wavefront6targetE1EEEvT1_
    .private_segment_fixed_size: 0
    .sgpr_count:     4
    .sgpr_spill_count: 0
    .symbol:         _ZN7rocprim17ROCPRIM_400000_NS6detail17trampoline_kernelINS0_14default_configENS1_20scan_config_selectorIfEEZZNS1_9scan_implILNS1_25lookback_scan_determinismE0ELb1ELb1ES3_N6thrust23THRUST_200600_302600_NS6detail15normal_iteratorINS9_10device_ptrIjEEEENSB_INSC_IiEEEEfNS9_4plusIvEEfEEDaPvRmT3_T4_T5_mT6_P12ihipStream_tbENKUlT_T0_E_clISt17integral_constantIbLb1EESV_IbLb0EEEEDaSR_SS_EUlSR_E_NS1_11comp_targetILNS1_3genE0ELNS1_11target_archE4294967295ELNS1_3gpuE0ELNS1_3repE0EEENS1_30default_config_static_selectorELNS0_4arch9wavefront6targetE1EEEvT1_.kd
    .uniform_work_group_size: 1
    .uses_dynamic_stack: false
    .vgpr_count:     0
    .vgpr_spill_count: 0
    .wavefront_size: 64
  - .agpr_count:     0
    .args:
      - .offset:         0
        .size:           96
        .value_kind:     by_value
    .group_segment_fixed_size: 0
    .kernarg_segment_align: 8
    .kernarg_segment_size: 96
    .language:       OpenCL C
    .language_version:
      - 2
      - 0
    .max_flat_workgroup_size: 256
    .name:           _ZN7rocprim17ROCPRIM_400000_NS6detail17trampoline_kernelINS0_14default_configENS1_20scan_config_selectorIfEEZZNS1_9scan_implILNS1_25lookback_scan_determinismE0ELb1ELb1ES3_N6thrust23THRUST_200600_302600_NS6detail15normal_iteratorINS9_10device_ptrIjEEEENSB_INSC_IiEEEEfNS9_4plusIvEEfEEDaPvRmT3_T4_T5_mT6_P12ihipStream_tbENKUlT_T0_E_clISt17integral_constantIbLb1EESV_IbLb0EEEEDaSR_SS_EUlSR_E_NS1_11comp_targetILNS1_3genE5ELNS1_11target_archE942ELNS1_3gpuE9ELNS1_3repE0EEENS1_30default_config_static_selectorELNS0_4arch9wavefront6targetE1EEEvT1_
    .private_segment_fixed_size: 0
    .sgpr_count:     4
    .sgpr_spill_count: 0
    .symbol:         _ZN7rocprim17ROCPRIM_400000_NS6detail17trampoline_kernelINS0_14default_configENS1_20scan_config_selectorIfEEZZNS1_9scan_implILNS1_25lookback_scan_determinismE0ELb1ELb1ES3_N6thrust23THRUST_200600_302600_NS6detail15normal_iteratorINS9_10device_ptrIjEEEENSB_INSC_IiEEEEfNS9_4plusIvEEfEEDaPvRmT3_T4_T5_mT6_P12ihipStream_tbENKUlT_T0_E_clISt17integral_constantIbLb1EESV_IbLb0EEEEDaSR_SS_EUlSR_E_NS1_11comp_targetILNS1_3genE5ELNS1_11target_archE942ELNS1_3gpuE9ELNS1_3repE0EEENS1_30default_config_static_selectorELNS0_4arch9wavefront6targetE1EEEvT1_.kd
    .uniform_work_group_size: 1
    .uses_dynamic_stack: false
    .vgpr_count:     0
    .vgpr_spill_count: 0
    .wavefront_size: 64
  - .agpr_count:     0
    .args:
      - .offset:         0
        .size:           96
        .value_kind:     by_value
    .group_segment_fixed_size: 7168
    .kernarg_segment_align: 8
    .kernarg_segment_size: 96
    .language:       OpenCL C
    .language_version:
      - 2
      - 0
    .max_flat_workgroup_size: 128
    .name:           _ZN7rocprim17ROCPRIM_400000_NS6detail17trampoline_kernelINS0_14default_configENS1_20scan_config_selectorIfEEZZNS1_9scan_implILNS1_25lookback_scan_determinismE0ELb1ELb1ES3_N6thrust23THRUST_200600_302600_NS6detail15normal_iteratorINS9_10device_ptrIjEEEENSB_INSC_IiEEEEfNS9_4plusIvEEfEEDaPvRmT3_T4_T5_mT6_P12ihipStream_tbENKUlT_T0_E_clISt17integral_constantIbLb1EESV_IbLb0EEEEDaSR_SS_EUlSR_E_NS1_11comp_targetILNS1_3genE4ELNS1_11target_archE910ELNS1_3gpuE8ELNS1_3repE0EEENS1_30default_config_static_selectorELNS0_4arch9wavefront6targetE1EEEvT1_
    .private_segment_fixed_size: 0
    .sgpr_count:     35
    .sgpr_spill_count: 0
    .symbol:         _ZN7rocprim17ROCPRIM_400000_NS6detail17trampoline_kernelINS0_14default_configENS1_20scan_config_selectorIfEEZZNS1_9scan_implILNS1_25lookback_scan_determinismE0ELb1ELb1ES3_N6thrust23THRUST_200600_302600_NS6detail15normal_iteratorINS9_10device_ptrIjEEEENSB_INSC_IiEEEEfNS9_4plusIvEEfEEDaPvRmT3_T4_T5_mT6_P12ihipStream_tbENKUlT_T0_E_clISt17integral_constantIbLb1EESV_IbLb0EEEEDaSR_SS_EUlSR_E_NS1_11comp_targetILNS1_3genE4ELNS1_11target_archE910ELNS1_3gpuE8ELNS1_3repE0EEENS1_30default_config_static_selectorELNS0_4arch9wavefront6targetE1EEEvT1_.kd
    .uniform_work_group_size: 1
    .uses_dynamic_stack: false
    .vgpr_count:     49
    .vgpr_spill_count: 0
    .wavefront_size: 64
  - .agpr_count:     0
    .args:
      - .offset:         0
        .size:           96
        .value_kind:     by_value
    .group_segment_fixed_size: 0
    .kernarg_segment_align: 8
    .kernarg_segment_size: 96
    .language:       OpenCL C
    .language_version:
      - 2
      - 0
    .max_flat_workgroup_size: 256
    .name:           _ZN7rocprim17ROCPRIM_400000_NS6detail17trampoline_kernelINS0_14default_configENS1_20scan_config_selectorIfEEZZNS1_9scan_implILNS1_25lookback_scan_determinismE0ELb1ELb1ES3_N6thrust23THRUST_200600_302600_NS6detail15normal_iteratorINS9_10device_ptrIjEEEENSB_INSC_IiEEEEfNS9_4plusIvEEfEEDaPvRmT3_T4_T5_mT6_P12ihipStream_tbENKUlT_T0_E_clISt17integral_constantIbLb1EESV_IbLb0EEEEDaSR_SS_EUlSR_E_NS1_11comp_targetILNS1_3genE3ELNS1_11target_archE908ELNS1_3gpuE7ELNS1_3repE0EEENS1_30default_config_static_selectorELNS0_4arch9wavefront6targetE1EEEvT1_
    .private_segment_fixed_size: 0
    .sgpr_count:     4
    .sgpr_spill_count: 0
    .symbol:         _ZN7rocprim17ROCPRIM_400000_NS6detail17trampoline_kernelINS0_14default_configENS1_20scan_config_selectorIfEEZZNS1_9scan_implILNS1_25lookback_scan_determinismE0ELb1ELb1ES3_N6thrust23THRUST_200600_302600_NS6detail15normal_iteratorINS9_10device_ptrIjEEEENSB_INSC_IiEEEEfNS9_4plusIvEEfEEDaPvRmT3_T4_T5_mT6_P12ihipStream_tbENKUlT_T0_E_clISt17integral_constantIbLb1EESV_IbLb0EEEEDaSR_SS_EUlSR_E_NS1_11comp_targetILNS1_3genE3ELNS1_11target_archE908ELNS1_3gpuE7ELNS1_3repE0EEENS1_30default_config_static_selectorELNS0_4arch9wavefront6targetE1EEEvT1_.kd
    .uniform_work_group_size: 1
    .uses_dynamic_stack: false
    .vgpr_count:     0
    .vgpr_spill_count: 0
    .wavefront_size: 64
  - .agpr_count:     0
    .args:
      - .offset:         0
        .size:           96
        .value_kind:     by_value
    .group_segment_fixed_size: 0
    .kernarg_segment_align: 8
    .kernarg_segment_size: 96
    .language:       OpenCL C
    .language_version:
      - 2
      - 0
    .max_flat_workgroup_size: 256
    .name:           _ZN7rocprim17ROCPRIM_400000_NS6detail17trampoline_kernelINS0_14default_configENS1_20scan_config_selectorIfEEZZNS1_9scan_implILNS1_25lookback_scan_determinismE0ELb1ELb1ES3_N6thrust23THRUST_200600_302600_NS6detail15normal_iteratorINS9_10device_ptrIjEEEENSB_INSC_IiEEEEfNS9_4plusIvEEfEEDaPvRmT3_T4_T5_mT6_P12ihipStream_tbENKUlT_T0_E_clISt17integral_constantIbLb1EESV_IbLb0EEEEDaSR_SS_EUlSR_E_NS1_11comp_targetILNS1_3genE2ELNS1_11target_archE906ELNS1_3gpuE6ELNS1_3repE0EEENS1_30default_config_static_selectorELNS0_4arch9wavefront6targetE1EEEvT1_
    .private_segment_fixed_size: 0
    .sgpr_count:     4
    .sgpr_spill_count: 0
    .symbol:         _ZN7rocprim17ROCPRIM_400000_NS6detail17trampoline_kernelINS0_14default_configENS1_20scan_config_selectorIfEEZZNS1_9scan_implILNS1_25lookback_scan_determinismE0ELb1ELb1ES3_N6thrust23THRUST_200600_302600_NS6detail15normal_iteratorINS9_10device_ptrIjEEEENSB_INSC_IiEEEEfNS9_4plusIvEEfEEDaPvRmT3_T4_T5_mT6_P12ihipStream_tbENKUlT_T0_E_clISt17integral_constantIbLb1EESV_IbLb0EEEEDaSR_SS_EUlSR_E_NS1_11comp_targetILNS1_3genE2ELNS1_11target_archE906ELNS1_3gpuE6ELNS1_3repE0EEENS1_30default_config_static_selectorELNS0_4arch9wavefront6targetE1EEEvT1_.kd
    .uniform_work_group_size: 1
    .uses_dynamic_stack: false
    .vgpr_count:     0
    .vgpr_spill_count: 0
    .wavefront_size: 64
  - .agpr_count:     0
    .args:
      - .offset:         0
        .size:           96
        .value_kind:     by_value
    .group_segment_fixed_size: 0
    .kernarg_segment_align: 8
    .kernarg_segment_size: 96
    .language:       OpenCL C
    .language_version:
      - 2
      - 0
    .max_flat_workgroup_size: 256
    .name:           _ZN7rocprim17ROCPRIM_400000_NS6detail17trampoline_kernelINS0_14default_configENS1_20scan_config_selectorIfEEZZNS1_9scan_implILNS1_25lookback_scan_determinismE0ELb1ELb1ES3_N6thrust23THRUST_200600_302600_NS6detail15normal_iteratorINS9_10device_ptrIjEEEENSB_INSC_IiEEEEfNS9_4plusIvEEfEEDaPvRmT3_T4_T5_mT6_P12ihipStream_tbENKUlT_T0_E_clISt17integral_constantIbLb1EESV_IbLb0EEEEDaSR_SS_EUlSR_E_NS1_11comp_targetILNS1_3genE10ELNS1_11target_archE1201ELNS1_3gpuE5ELNS1_3repE0EEENS1_30default_config_static_selectorELNS0_4arch9wavefront6targetE1EEEvT1_
    .private_segment_fixed_size: 0
    .sgpr_count:     4
    .sgpr_spill_count: 0
    .symbol:         _ZN7rocprim17ROCPRIM_400000_NS6detail17trampoline_kernelINS0_14default_configENS1_20scan_config_selectorIfEEZZNS1_9scan_implILNS1_25lookback_scan_determinismE0ELb1ELb1ES3_N6thrust23THRUST_200600_302600_NS6detail15normal_iteratorINS9_10device_ptrIjEEEENSB_INSC_IiEEEEfNS9_4plusIvEEfEEDaPvRmT3_T4_T5_mT6_P12ihipStream_tbENKUlT_T0_E_clISt17integral_constantIbLb1EESV_IbLb0EEEEDaSR_SS_EUlSR_E_NS1_11comp_targetILNS1_3genE10ELNS1_11target_archE1201ELNS1_3gpuE5ELNS1_3repE0EEENS1_30default_config_static_selectorELNS0_4arch9wavefront6targetE1EEEvT1_.kd
    .uniform_work_group_size: 1
    .uses_dynamic_stack: false
    .vgpr_count:     0
    .vgpr_spill_count: 0
    .wavefront_size: 64
  - .agpr_count:     0
    .args:
      - .offset:         0
        .size:           96
        .value_kind:     by_value
    .group_segment_fixed_size: 0
    .kernarg_segment_align: 8
    .kernarg_segment_size: 96
    .language:       OpenCL C
    .language_version:
      - 2
      - 0
    .max_flat_workgroup_size: 256
    .name:           _ZN7rocprim17ROCPRIM_400000_NS6detail17trampoline_kernelINS0_14default_configENS1_20scan_config_selectorIfEEZZNS1_9scan_implILNS1_25lookback_scan_determinismE0ELb1ELb1ES3_N6thrust23THRUST_200600_302600_NS6detail15normal_iteratorINS9_10device_ptrIjEEEENSB_INSC_IiEEEEfNS9_4plusIvEEfEEDaPvRmT3_T4_T5_mT6_P12ihipStream_tbENKUlT_T0_E_clISt17integral_constantIbLb1EESV_IbLb0EEEEDaSR_SS_EUlSR_E_NS1_11comp_targetILNS1_3genE10ELNS1_11target_archE1200ELNS1_3gpuE4ELNS1_3repE0EEENS1_30default_config_static_selectorELNS0_4arch9wavefront6targetE1EEEvT1_
    .private_segment_fixed_size: 0
    .sgpr_count:     4
    .sgpr_spill_count: 0
    .symbol:         _ZN7rocprim17ROCPRIM_400000_NS6detail17trampoline_kernelINS0_14default_configENS1_20scan_config_selectorIfEEZZNS1_9scan_implILNS1_25lookback_scan_determinismE0ELb1ELb1ES3_N6thrust23THRUST_200600_302600_NS6detail15normal_iteratorINS9_10device_ptrIjEEEENSB_INSC_IiEEEEfNS9_4plusIvEEfEEDaPvRmT3_T4_T5_mT6_P12ihipStream_tbENKUlT_T0_E_clISt17integral_constantIbLb1EESV_IbLb0EEEEDaSR_SS_EUlSR_E_NS1_11comp_targetILNS1_3genE10ELNS1_11target_archE1200ELNS1_3gpuE4ELNS1_3repE0EEENS1_30default_config_static_selectorELNS0_4arch9wavefront6targetE1EEEvT1_.kd
    .uniform_work_group_size: 1
    .uses_dynamic_stack: false
    .vgpr_count:     0
    .vgpr_spill_count: 0
    .wavefront_size: 64
  - .agpr_count:     0
    .args:
      - .offset:         0
        .size:           96
        .value_kind:     by_value
    .group_segment_fixed_size: 0
    .kernarg_segment_align: 8
    .kernarg_segment_size: 96
    .language:       OpenCL C
    .language_version:
      - 2
      - 0
    .max_flat_workgroup_size: 256
    .name:           _ZN7rocprim17ROCPRIM_400000_NS6detail17trampoline_kernelINS0_14default_configENS1_20scan_config_selectorIfEEZZNS1_9scan_implILNS1_25lookback_scan_determinismE0ELb1ELb1ES3_N6thrust23THRUST_200600_302600_NS6detail15normal_iteratorINS9_10device_ptrIjEEEENSB_INSC_IiEEEEfNS9_4plusIvEEfEEDaPvRmT3_T4_T5_mT6_P12ihipStream_tbENKUlT_T0_E_clISt17integral_constantIbLb1EESV_IbLb0EEEEDaSR_SS_EUlSR_E_NS1_11comp_targetILNS1_3genE9ELNS1_11target_archE1100ELNS1_3gpuE3ELNS1_3repE0EEENS1_30default_config_static_selectorELNS0_4arch9wavefront6targetE1EEEvT1_
    .private_segment_fixed_size: 0
    .sgpr_count:     4
    .sgpr_spill_count: 0
    .symbol:         _ZN7rocprim17ROCPRIM_400000_NS6detail17trampoline_kernelINS0_14default_configENS1_20scan_config_selectorIfEEZZNS1_9scan_implILNS1_25lookback_scan_determinismE0ELb1ELb1ES3_N6thrust23THRUST_200600_302600_NS6detail15normal_iteratorINS9_10device_ptrIjEEEENSB_INSC_IiEEEEfNS9_4plusIvEEfEEDaPvRmT3_T4_T5_mT6_P12ihipStream_tbENKUlT_T0_E_clISt17integral_constantIbLb1EESV_IbLb0EEEEDaSR_SS_EUlSR_E_NS1_11comp_targetILNS1_3genE9ELNS1_11target_archE1100ELNS1_3gpuE3ELNS1_3repE0EEENS1_30default_config_static_selectorELNS0_4arch9wavefront6targetE1EEEvT1_.kd
    .uniform_work_group_size: 1
    .uses_dynamic_stack: false
    .vgpr_count:     0
    .vgpr_spill_count: 0
    .wavefront_size: 64
  - .agpr_count:     0
    .args:
      - .offset:         0
        .size:           96
        .value_kind:     by_value
    .group_segment_fixed_size: 0
    .kernarg_segment_align: 8
    .kernarg_segment_size: 96
    .language:       OpenCL C
    .language_version:
      - 2
      - 0
    .max_flat_workgroup_size: 64
    .name:           _ZN7rocprim17ROCPRIM_400000_NS6detail17trampoline_kernelINS0_14default_configENS1_20scan_config_selectorIfEEZZNS1_9scan_implILNS1_25lookback_scan_determinismE0ELb1ELb1ES3_N6thrust23THRUST_200600_302600_NS6detail15normal_iteratorINS9_10device_ptrIjEEEENSB_INSC_IiEEEEfNS9_4plusIvEEfEEDaPvRmT3_T4_T5_mT6_P12ihipStream_tbENKUlT_T0_E_clISt17integral_constantIbLb1EESV_IbLb0EEEEDaSR_SS_EUlSR_E_NS1_11comp_targetILNS1_3genE8ELNS1_11target_archE1030ELNS1_3gpuE2ELNS1_3repE0EEENS1_30default_config_static_selectorELNS0_4arch9wavefront6targetE1EEEvT1_
    .private_segment_fixed_size: 0
    .sgpr_count:     4
    .sgpr_spill_count: 0
    .symbol:         _ZN7rocprim17ROCPRIM_400000_NS6detail17trampoline_kernelINS0_14default_configENS1_20scan_config_selectorIfEEZZNS1_9scan_implILNS1_25lookback_scan_determinismE0ELb1ELb1ES3_N6thrust23THRUST_200600_302600_NS6detail15normal_iteratorINS9_10device_ptrIjEEEENSB_INSC_IiEEEEfNS9_4plusIvEEfEEDaPvRmT3_T4_T5_mT6_P12ihipStream_tbENKUlT_T0_E_clISt17integral_constantIbLb1EESV_IbLb0EEEEDaSR_SS_EUlSR_E_NS1_11comp_targetILNS1_3genE8ELNS1_11target_archE1030ELNS1_3gpuE2ELNS1_3repE0EEENS1_30default_config_static_selectorELNS0_4arch9wavefront6targetE1EEEvT1_.kd
    .uniform_work_group_size: 1
    .uses_dynamic_stack: false
    .vgpr_count:     0
    .vgpr_spill_count: 0
    .wavefront_size: 64
  - .agpr_count:     0
    .args:
      - .offset:         0
        .size:           32
        .value_kind:     by_value
    .group_segment_fixed_size: 0
    .kernarg_segment_align: 8
    .kernarg_segment_size: 32
    .language:       OpenCL C
    .language_version:
      - 2
      - 0
    .max_flat_workgroup_size: 256
    .name:           _ZN7rocprim17ROCPRIM_400000_NS6detail17trampoline_kernelINS0_14default_configENS1_20scan_config_selectorIfEEZZNS1_9scan_implILNS1_25lookback_scan_determinismE0ELb1ELb1ES3_N6thrust23THRUST_200600_302600_NS6detail15normal_iteratorINS9_10device_ptrIjEEEENSB_INSC_IiEEEEfNS9_4plusIvEEfEEDaPvRmT3_T4_T5_mT6_P12ihipStream_tbENKUlT_T0_E_clISt17integral_constantIbLb1EESV_IbLb0EEEEDaSR_SS_EUlSR_E0_NS1_11comp_targetILNS1_3genE0ELNS1_11target_archE4294967295ELNS1_3gpuE0ELNS1_3repE0EEENS1_30default_config_static_selectorELNS0_4arch9wavefront6targetE1EEEvT1_
    .private_segment_fixed_size: 0
    .sgpr_count:     4
    .sgpr_spill_count: 0
    .symbol:         _ZN7rocprim17ROCPRIM_400000_NS6detail17trampoline_kernelINS0_14default_configENS1_20scan_config_selectorIfEEZZNS1_9scan_implILNS1_25lookback_scan_determinismE0ELb1ELb1ES3_N6thrust23THRUST_200600_302600_NS6detail15normal_iteratorINS9_10device_ptrIjEEEENSB_INSC_IiEEEEfNS9_4plusIvEEfEEDaPvRmT3_T4_T5_mT6_P12ihipStream_tbENKUlT_T0_E_clISt17integral_constantIbLb1EESV_IbLb0EEEEDaSR_SS_EUlSR_E0_NS1_11comp_targetILNS1_3genE0ELNS1_11target_archE4294967295ELNS1_3gpuE0ELNS1_3repE0EEENS1_30default_config_static_selectorELNS0_4arch9wavefront6targetE1EEEvT1_.kd
    .uniform_work_group_size: 1
    .uses_dynamic_stack: false
    .vgpr_count:     0
    .vgpr_spill_count: 0
    .wavefront_size: 64
  - .agpr_count:     0
    .args:
      - .offset:         0
        .size:           32
        .value_kind:     by_value
    .group_segment_fixed_size: 0
    .kernarg_segment_align: 8
    .kernarg_segment_size: 32
    .language:       OpenCL C
    .language_version:
      - 2
      - 0
    .max_flat_workgroup_size: 256
    .name:           _ZN7rocprim17ROCPRIM_400000_NS6detail17trampoline_kernelINS0_14default_configENS1_20scan_config_selectorIfEEZZNS1_9scan_implILNS1_25lookback_scan_determinismE0ELb1ELb1ES3_N6thrust23THRUST_200600_302600_NS6detail15normal_iteratorINS9_10device_ptrIjEEEENSB_INSC_IiEEEEfNS9_4plusIvEEfEEDaPvRmT3_T4_T5_mT6_P12ihipStream_tbENKUlT_T0_E_clISt17integral_constantIbLb1EESV_IbLb0EEEEDaSR_SS_EUlSR_E0_NS1_11comp_targetILNS1_3genE5ELNS1_11target_archE942ELNS1_3gpuE9ELNS1_3repE0EEENS1_30default_config_static_selectorELNS0_4arch9wavefront6targetE1EEEvT1_
    .private_segment_fixed_size: 0
    .sgpr_count:     4
    .sgpr_spill_count: 0
    .symbol:         _ZN7rocprim17ROCPRIM_400000_NS6detail17trampoline_kernelINS0_14default_configENS1_20scan_config_selectorIfEEZZNS1_9scan_implILNS1_25lookback_scan_determinismE0ELb1ELb1ES3_N6thrust23THRUST_200600_302600_NS6detail15normal_iteratorINS9_10device_ptrIjEEEENSB_INSC_IiEEEEfNS9_4plusIvEEfEEDaPvRmT3_T4_T5_mT6_P12ihipStream_tbENKUlT_T0_E_clISt17integral_constantIbLb1EESV_IbLb0EEEEDaSR_SS_EUlSR_E0_NS1_11comp_targetILNS1_3genE5ELNS1_11target_archE942ELNS1_3gpuE9ELNS1_3repE0EEENS1_30default_config_static_selectorELNS0_4arch9wavefront6targetE1EEEvT1_.kd
    .uniform_work_group_size: 1
    .uses_dynamic_stack: false
    .vgpr_count:     0
    .vgpr_spill_count: 0
    .wavefront_size: 64
  - .agpr_count:     0
    .args:
      - .offset:         0
        .size:           32
        .value_kind:     by_value
    .group_segment_fixed_size: 7168
    .kernarg_segment_align: 8
    .kernarg_segment_size: 32
    .language:       OpenCL C
    .language_version:
      - 2
      - 0
    .max_flat_workgroup_size: 128
    .name:           _ZN7rocprim17ROCPRIM_400000_NS6detail17trampoline_kernelINS0_14default_configENS1_20scan_config_selectorIfEEZZNS1_9scan_implILNS1_25lookback_scan_determinismE0ELb1ELb1ES3_N6thrust23THRUST_200600_302600_NS6detail15normal_iteratorINS9_10device_ptrIjEEEENSB_INSC_IiEEEEfNS9_4plusIvEEfEEDaPvRmT3_T4_T5_mT6_P12ihipStream_tbENKUlT_T0_E_clISt17integral_constantIbLb1EESV_IbLb0EEEEDaSR_SS_EUlSR_E0_NS1_11comp_targetILNS1_3genE4ELNS1_11target_archE910ELNS1_3gpuE8ELNS1_3repE0EEENS1_30default_config_static_selectorELNS0_4arch9wavefront6targetE1EEEvT1_
    .private_segment_fixed_size: 0
    .sgpr_count:     42
    .sgpr_spill_count: 0
    .symbol:         _ZN7rocprim17ROCPRIM_400000_NS6detail17trampoline_kernelINS0_14default_configENS1_20scan_config_selectorIfEEZZNS1_9scan_implILNS1_25lookback_scan_determinismE0ELb1ELb1ES3_N6thrust23THRUST_200600_302600_NS6detail15normal_iteratorINS9_10device_ptrIjEEEENSB_INSC_IiEEEEfNS9_4plusIvEEfEEDaPvRmT3_T4_T5_mT6_P12ihipStream_tbENKUlT_T0_E_clISt17integral_constantIbLb1EESV_IbLb0EEEEDaSR_SS_EUlSR_E0_NS1_11comp_targetILNS1_3genE4ELNS1_11target_archE910ELNS1_3gpuE8ELNS1_3repE0EEENS1_30default_config_static_selectorELNS0_4arch9wavefront6targetE1EEEvT1_.kd
    .uniform_work_group_size: 1
    .uses_dynamic_stack: false
    .vgpr_count:     24
    .vgpr_spill_count: 0
    .wavefront_size: 64
  - .agpr_count:     0
    .args:
      - .offset:         0
        .size:           32
        .value_kind:     by_value
    .group_segment_fixed_size: 0
    .kernarg_segment_align: 8
    .kernarg_segment_size: 32
    .language:       OpenCL C
    .language_version:
      - 2
      - 0
    .max_flat_workgroup_size: 256
    .name:           _ZN7rocprim17ROCPRIM_400000_NS6detail17trampoline_kernelINS0_14default_configENS1_20scan_config_selectorIfEEZZNS1_9scan_implILNS1_25lookback_scan_determinismE0ELb1ELb1ES3_N6thrust23THRUST_200600_302600_NS6detail15normal_iteratorINS9_10device_ptrIjEEEENSB_INSC_IiEEEEfNS9_4plusIvEEfEEDaPvRmT3_T4_T5_mT6_P12ihipStream_tbENKUlT_T0_E_clISt17integral_constantIbLb1EESV_IbLb0EEEEDaSR_SS_EUlSR_E0_NS1_11comp_targetILNS1_3genE3ELNS1_11target_archE908ELNS1_3gpuE7ELNS1_3repE0EEENS1_30default_config_static_selectorELNS0_4arch9wavefront6targetE1EEEvT1_
    .private_segment_fixed_size: 0
    .sgpr_count:     4
    .sgpr_spill_count: 0
    .symbol:         _ZN7rocprim17ROCPRIM_400000_NS6detail17trampoline_kernelINS0_14default_configENS1_20scan_config_selectorIfEEZZNS1_9scan_implILNS1_25lookback_scan_determinismE0ELb1ELb1ES3_N6thrust23THRUST_200600_302600_NS6detail15normal_iteratorINS9_10device_ptrIjEEEENSB_INSC_IiEEEEfNS9_4plusIvEEfEEDaPvRmT3_T4_T5_mT6_P12ihipStream_tbENKUlT_T0_E_clISt17integral_constantIbLb1EESV_IbLb0EEEEDaSR_SS_EUlSR_E0_NS1_11comp_targetILNS1_3genE3ELNS1_11target_archE908ELNS1_3gpuE7ELNS1_3repE0EEENS1_30default_config_static_selectorELNS0_4arch9wavefront6targetE1EEEvT1_.kd
    .uniform_work_group_size: 1
    .uses_dynamic_stack: false
    .vgpr_count:     0
    .vgpr_spill_count: 0
    .wavefront_size: 64
  - .agpr_count:     0
    .args:
      - .offset:         0
        .size:           32
        .value_kind:     by_value
    .group_segment_fixed_size: 0
    .kernarg_segment_align: 8
    .kernarg_segment_size: 32
    .language:       OpenCL C
    .language_version:
      - 2
      - 0
    .max_flat_workgroup_size: 256
    .name:           _ZN7rocprim17ROCPRIM_400000_NS6detail17trampoline_kernelINS0_14default_configENS1_20scan_config_selectorIfEEZZNS1_9scan_implILNS1_25lookback_scan_determinismE0ELb1ELb1ES3_N6thrust23THRUST_200600_302600_NS6detail15normal_iteratorINS9_10device_ptrIjEEEENSB_INSC_IiEEEEfNS9_4plusIvEEfEEDaPvRmT3_T4_T5_mT6_P12ihipStream_tbENKUlT_T0_E_clISt17integral_constantIbLb1EESV_IbLb0EEEEDaSR_SS_EUlSR_E0_NS1_11comp_targetILNS1_3genE2ELNS1_11target_archE906ELNS1_3gpuE6ELNS1_3repE0EEENS1_30default_config_static_selectorELNS0_4arch9wavefront6targetE1EEEvT1_
    .private_segment_fixed_size: 0
    .sgpr_count:     4
    .sgpr_spill_count: 0
    .symbol:         _ZN7rocprim17ROCPRIM_400000_NS6detail17trampoline_kernelINS0_14default_configENS1_20scan_config_selectorIfEEZZNS1_9scan_implILNS1_25lookback_scan_determinismE0ELb1ELb1ES3_N6thrust23THRUST_200600_302600_NS6detail15normal_iteratorINS9_10device_ptrIjEEEENSB_INSC_IiEEEEfNS9_4plusIvEEfEEDaPvRmT3_T4_T5_mT6_P12ihipStream_tbENKUlT_T0_E_clISt17integral_constantIbLb1EESV_IbLb0EEEEDaSR_SS_EUlSR_E0_NS1_11comp_targetILNS1_3genE2ELNS1_11target_archE906ELNS1_3gpuE6ELNS1_3repE0EEENS1_30default_config_static_selectorELNS0_4arch9wavefront6targetE1EEEvT1_.kd
    .uniform_work_group_size: 1
    .uses_dynamic_stack: false
    .vgpr_count:     0
    .vgpr_spill_count: 0
    .wavefront_size: 64
  - .agpr_count:     0
    .args:
      - .offset:         0
        .size:           32
        .value_kind:     by_value
    .group_segment_fixed_size: 0
    .kernarg_segment_align: 8
    .kernarg_segment_size: 32
    .language:       OpenCL C
    .language_version:
      - 2
      - 0
    .max_flat_workgroup_size: 256
    .name:           _ZN7rocprim17ROCPRIM_400000_NS6detail17trampoline_kernelINS0_14default_configENS1_20scan_config_selectorIfEEZZNS1_9scan_implILNS1_25lookback_scan_determinismE0ELb1ELb1ES3_N6thrust23THRUST_200600_302600_NS6detail15normal_iteratorINS9_10device_ptrIjEEEENSB_INSC_IiEEEEfNS9_4plusIvEEfEEDaPvRmT3_T4_T5_mT6_P12ihipStream_tbENKUlT_T0_E_clISt17integral_constantIbLb1EESV_IbLb0EEEEDaSR_SS_EUlSR_E0_NS1_11comp_targetILNS1_3genE10ELNS1_11target_archE1201ELNS1_3gpuE5ELNS1_3repE0EEENS1_30default_config_static_selectorELNS0_4arch9wavefront6targetE1EEEvT1_
    .private_segment_fixed_size: 0
    .sgpr_count:     4
    .sgpr_spill_count: 0
    .symbol:         _ZN7rocprim17ROCPRIM_400000_NS6detail17trampoline_kernelINS0_14default_configENS1_20scan_config_selectorIfEEZZNS1_9scan_implILNS1_25lookback_scan_determinismE0ELb1ELb1ES3_N6thrust23THRUST_200600_302600_NS6detail15normal_iteratorINS9_10device_ptrIjEEEENSB_INSC_IiEEEEfNS9_4plusIvEEfEEDaPvRmT3_T4_T5_mT6_P12ihipStream_tbENKUlT_T0_E_clISt17integral_constantIbLb1EESV_IbLb0EEEEDaSR_SS_EUlSR_E0_NS1_11comp_targetILNS1_3genE10ELNS1_11target_archE1201ELNS1_3gpuE5ELNS1_3repE0EEENS1_30default_config_static_selectorELNS0_4arch9wavefront6targetE1EEEvT1_.kd
    .uniform_work_group_size: 1
    .uses_dynamic_stack: false
    .vgpr_count:     0
    .vgpr_spill_count: 0
    .wavefront_size: 64
  - .agpr_count:     0
    .args:
      - .offset:         0
        .size:           32
        .value_kind:     by_value
    .group_segment_fixed_size: 0
    .kernarg_segment_align: 8
    .kernarg_segment_size: 32
    .language:       OpenCL C
    .language_version:
      - 2
      - 0
    .max_flat_workgroup_size: 256
    .name:           _ZN7rocprim17ROCPRIM_400000_NS6detail17trampoline_kernelINS0_14default_configENS1_20scan_config_selectorIfEEZZNS1_9scan_implILNS1_25lookback_scan_determinismE0ELb1ELb1ES3_N6thrust23THRUST_200600_302600_NS6detail15normal_iteratorINS9_10device_ptrIjEEEENSB_INSC_IiEEEEfNS9_4plusIvEEfEEDaPvRmT3_T4_T5_mT6_P12ihipStream_tbENKUlT_T0_E_clISt17integral_constantIbLb1EESV_IbLb0EEEEDaSR_SS_EUlSR_E0_NS1_11comp_targetILNS1_3genE10ELNS1_11target_archE1200ELNS1_3gpuE4ELNS1_3repE0EEENS1_30default_config_static_selectorELNS0_4arch9wavefront6targetE1EEEvT1_
    .private_segment_fixed_size: 0
    .sgpr_count:     4
    .sgpr_spill_count: 0
    .symbol:         _ZN7rocprim17ROCPRIM_400000_NS6detail17trampoline_kernelINS0_14default_configENS1_20scan_config_selectorIfEEZZNS1_9scan_implILNS1_25lookback_scan_determinismE0ELb1ELb1ES3_N6thrust23THRUST_200600_302600_NS6detail15normal_iteratorINS9_10device_ptrIjEEEENSB_INSC_IiEEEEfNS9_4plusIvEEfEEDaPvRmT3_T4_T5_mT6_P12ihipStream_tbENKUlT_T0_E_clISt17integral_constantIbLb1EESV_IbLb0EEEEDaSR_SS_EUlSR_E0_NS1_11comp_targetILNS1_3genE10ELNS1_11target_archE1200ELNS1_3gpuE4ELNS1_3repE0EEENS1_30default_config_static_selectorELNS0_4arch9wavefront6targetE1EEEvT1_.kd
    .uniform_work_group_size: 1
    .uses_dynamic_stack: false
    .vgpr_count:     0
    .vgpr_spill_count: 0
    .wavefront_size: 64
  - .agpr_count:     0
    .args:
      - .offset:         0
        .size:           32
        .value_kind:     by_value
    .group_segment_fixed_size: 0
    .kernarg_segment_align: 8
    .kernarg_segment_size: 32
    .language:       OpenCL C
    .language_version:
      - 2
      - 0
    .max_flat_workgroup_size: 256
    .name:           _ZN7rocprim17ROCPRIM_400000_NS6detail17trampoline_kernelINS0_14default_configENS1_20scan_config_selectorIfEEZZNS1_9scan_implILNS1_25lookback_scan_determinismE0ELb1ELb1ES3_N6thrust23THRUST_200600_302600_NS6detail15normal_iteratorINS9_10device_ptrIjEEEENSB_INSC_IiEEEEfNS9_4plusIvEEfEEDaPvRmT3_T4_T5_mT6_P12ihipStream_tbENKUlT_T0_E_clISt17integral_constantIbLb1EESV_IbLb0EEEEDaSR_SS_EUlSR_E0_NS1_11comp_targetILNS1_3genE9ELNS1_11target_archE1100ELNS1_3gpuE3ELNS1_3repE0EEENS1_30default_config_static_selectorELNS0_4arch9wavefront6targetE1EEEvT1_
    .private_segment_fixed_size: 0
    .sgpr_count:     4
    .sgpr_spill_count: 0
    .symbol:         _ZN7rocprim17ROCPRIM_400000_NS6detail17trampoline_kernelINS0_14default_configENS1_20scan_config_selectorIfEEZZNS1_9scan_implILNS1_25lookback_scan_determinismE0ELb1ELb1ES3_N6thrust23THRUST_200600_302600_NS6detail15normal_iteratorINS9_10device_ptrIjEEEENSB_INSC_IiEEEEfNS9_4plusIvEEfEEDaPvRmT3_T4_T5_mT6_P12ihipStream_tbENKUlT_T0_E_clISt17integral_constantIbLb1EESV_IbLb0EEEEDaSR_SS_EUlSR_E0_NS1_11comp_targetILNS1_3genE9ELNS1_11target_archE1100ELNS1_3gpuE3ELNS1_3repE0EEENS1_30default_config_static_selectorELNS0_4arch9wavefront6targetE1EEEvT1_.kd
    .uniform_work_group_size: 1
    .uses_dynamic_stack: false
    .vgpr_count:     0
    .vgpr_spill_count: 0
    .wavefront_size: 64
  - .agpr_count:     0
    .args:
      - .offset:         0
        .size:           32
        .value_kind:     by_value
    .group_segment_fixed_size: 0
    .kernarg_segment_align: 8
    .kernarg_segment_size: 32
    .language:       OpenCL C
    .language_version:
      - 2
      - 0
    .max_flat_workgroup_size: 64
    .name:           _ZN7rocprim17ROCPRIM_400000_NS6detail17trampoline_kernelINS0_14default_configENS1_20scan_config_selectorIfEEZZNS1_9scan_implILNS1_25lookback_scan_determinismE0ELb1ELb1ES3_N6thrust23THRUST_200600_302600_NS6detail15normal_iteratorINS9_10device_ptrIjEEEENSB_INSC_IiEEEEfNS9_4plusIvEEfEEDaPvRmT3_T4_T5_mT6_P12ihipStream_tbENKUlT_T0_E_clISt17integral_constantIbLb1EESV_IbLb0EEEEDaSR_SS_EUlSR_E0_NS1_11comp_targetILNS1_3genE8ELNS1_11target_archE1030ELNS1_3gpuE2ELNS1_3repE0EEENS1_30default_config_static_selectorELNS0_4arch9wavefront6targetE1EEEvT1_
    .private_segment_fixed_size: 0
    .sgpr_count:     4
    .sgpr_spill_count: 0
    .symbol:         _ZN7rocprim17ROCPRIM_400000_NS6detail17trampoline_kernelINS0_14default_configENS1_20scan_config_selectorIfEEZZNS1_9scan_implILNS1_25lookback_scan_determinismE0ELb1ELb1ES3_N6thrust23THRUST_200600_302600_NS6detail15normal_iteratorINS9_10device_ptrIjEEEENSB_INSC_IiEEEEfNS9_4plusIvEEfEEDaPvRmT3_T4_T5_mT6_P12ihipStream_tbENKUlT_T0_E_clISt17integral_constantIbLb1EESV_IbLb0EEEEDaSR_SS_EUlSR_E0_NS1_11comp_targetILNS1_3genE8ELNS1_11target_archE1030ELNS1_3gpuE2ELNS1_3repE0EEENS1_30default_config_static_selectorELNS0_4arch9wavefront6targetE1EEEvT1_.kd
    .uniform_work_group_size: 1
    .uses_dynamic_stack: false
    .vgpr_count:     0
    .vgpr_spill_count: 0
    .wavefront_size: 64
  - .agpr_count:     0
    .args:
      - .offset:         0
        .size:           96
        .value_kind:     by_value
    .group_segment_fixed_size: 0
    .kernarg_segment_align: 8
    .kernarg_segment_size: 96
    .language:       OpenCL C
    .language_version:
      - 2
      - 0
    .max_flat_workgroup_size: 256
    .name:           _ZN7rocprim17ROCPRIM_400000_NS6detail17trampoline_kernelINS0_14default_configENS1_20scan_config_selectorIfEEZZNS1_9scan_implILNS1_25lookback_scan_determinismE0ELb1ELb1ES3_N6thrust23THRUST_200600_302600_NS6detail15normal_iteratorINS9_10device_ptrIjEEEENSB_INSC_IiEEEEfNS9_4plusIvEEfEEDaPvRmT3_T4_T5_mT6_P12ihipStream_tbENKUlT_T0_E_clISt17integral_constantIbLb0EESV_IbLb1EEEEDaSR_SS_EUlSR_E_NS1_11comp_targetILNS1_3genE0ELNS1_11target_archE4294967295ELNS1_3gpuE0ELNS1_3repE0EEENS1_30default_config_static_selectorELNS0_4arch9wavefront6targetE1EEEvT1_
    .private_segment_fixed_size: 0
    .sgpr_count:     4
    .sgpr_spill_count: 0
    .symbol:         _ZN7rocprim17ROCPRIM_400000_NS6detail17trampoline_kernelINS0_14default_configENS1_20scan_config_selectorIfEEZZNS1_9scan_implILNS1_25lookback_scan_determinismE0ELb1ELb1ES3_N6thrust23THRUST_200600_302600_NS6detail15normal_iteratorINS9_10device_ptrIjEEEENSB_INSC_IiEEEEfNS9_4plusIvEEfEEDaPvRmT3_T4_T5_mT6_P12ihipStream_tbENKUlT_T0_E_clISt17integral_constantIbLb0EESV_IbLb1EEEEDaSR_SS_EUlSR_E_NS1_11comp_targetILNS1_3genE0ELNS1_11target_archE4294967295ELNS1_3gpuE0ELNS1_3repE0EEENS1_30default_config_static_selectorELNS0_4arch9wavefront6targetE1EEEvT1_.kd
    .uniform_work_group_size: 1
    .uses_dynamic_stack: false
    .vgpr_count:     0
    .vgpr_spill_count: 0
    .wavefront_size: 64
  - .agpr_count:     0
    .args:
      - .offset:         0
        .size:           96
        .value_kind:     by_value
    .group_segment_fixed_size: 0
    .kernarg_segment_align: 8
    .kernarg_segment_size: 96
    .language:       OpenCL C
    .language_version:
      - 2
      - 0
    .max_flat_workgroup_size: 256
    .name:           _ZN7rocprim17ROCPRIM_400000_NS6detail17trampoline_kernelINS0_14default_configENS1_20scan_config_selectorIfEEZZNS1_9scan_implILNS1_25lookback_scan_determinismE0ELb1ELb1ES3_N6thrust23THRUST_200600_302600_NS6detail15normal_iteratorINS9_10device_ptrIjEEEENSB_INSC_IiEEEEfNS9_4plusIvEEfEEDaPvRmT3_T4_T5_mT6_P12ihipStream_tbENKUlT_T0_E_clISt17integral_constantIbLb0EESV_IbLb1EEEEDaSR_SS_EUlSR_E_NS1_11comp_targetILNS1_3genE5ELNS1_11target_archE942ELNS1_3gpuE9ELNS1_3repE0EEENS1_30default_config_static_selectorELNS0_4arch9wavefront6targetE1EEEvT1_
    .private_segment_fixed_size: 0
    .sgpr_count:     4
    .sgpr_spill_count: 0
    .symbol:         _ZN7rocprim17ROCPRIM_400000_NS6detail17trampoline_kernelINS0_14default_configENS1_20scan_config_selectorIfEEZZNS1_9scan_implILNS1_25lookback_scan_determinismE0ELb1ELb1ES3_N6thrust23THRUST_200600_302600_NS6detail15normal_iteratorINS9_10device_ptrIjEEEENSB_INSC_IiEEEEfNS9_4plusIvEEfEEDaPvRmT3_T4_T5_mT6_P12ihipStream_tbENKUlT_T0_E_clISt17integral_constantIbLb0EESV_IbLb1EEEEDaSR_SS_EUlSR_E_NS1_11comp_targetILNS1_3genE5ELNS1_11target_archE942ELNS1_3gpuE9ELNS1_3repE0EEENS1_30default_config_static_selectorELNS0_4arch9wavefront6targetE1EEEvT1_.kd
    .uniform_work_group_size: 1
    .uses_dynamic_stack: false
    .vgpr_count:     0
    .vgpr_spill_count: 0
    .wavefront_size: 64
  - .agpr_count:     0
    .args:
      - .offset:         0
        .size:           96
        .value_kind:     by_value
    .group_segment_fixed_size: 7168
    .kernarg_segment_align: 8
    .kernarg_segment_size: 96
    .language:       OpenCL C
    .language_version:
      - 2
      - 0
    .max_flat_workgroup_size: 128
    .name:           _ZN7rocprim17ROCPRIM_400000_NS6detail17trampoline_kernelINS0_14default_configENS1_20scan_config_selectorIfEEZZNS1_9scan_implILNS1_25lookback_scan_determinismE0ELb1ELb1ES3_N6thrust23THRUST_200600_302600_NS6detail15normal_iteratorINS9_10device_ptrIjEEEENSB_INSC_IiEEEEfNS9_4plusIvEEfEEDaPvRmT3_T4_T5_mT6_P12ihipStream_tbENKUlT_T0_E_clISt17integral_constantIbLb0EESV_IbLb1EEEEDaSR_SS_EUlSR_E_NS1_11comp_targetILNS1_3genE4ELNS1_11target_archE910ELNS1_3gpuE8ELNS1_3repE0EEENS1_30default_config_static_selectorELNS0_4arch9wavefront6targetE1EEEvT1_
    .private_segment_fixed_size: 0
    .sgpr_count:     45
    .sgpr_spill_count: 0
    .symbol:         _ZN7rocprim17ROCPRIM_400000_NS6detail17trampoline_kernelINS0_14default_configENS1_20scan_config_selectorIfEEZZNS1_9scan_implILNS1_25lookback_scan_determinismE0ELb1ELb1ES3_N6thrust23THRUST_200600_302600_NS6detail15normal_iteratorINS9_10device_ptrIjEEEENSB_INSC_IiEEEEfNS9_4plusIvEEfEEDaPvRmT3_T4_T5_mT6_P12ihipStream_tbENKUlT_T0_E_clISt17integral_constantIbLb0EESV_IbLb1EEEEDaSR_SS_EUlSR_E_NS1_11comp_targetILNS1_3genE4ELNS1_11target_archE910ELNS1_3gpuE8ELNS1_3repE0EEENS1_30default_config_static_selectorELNS0_4arch9wavefront6targetE1EEEvT1_.kd
    .uniform_work_group_size: 1
    .uses_dynamic_stack: false
    .vgpr_count:     49
    .vgpr_spill_count: 0
    .wavefront_size: 64
  - .agpr_count:     0
    .args:
      - .offset:         0
        .size:           96
        .value_kind:     by_value
    .group_segment_fixed_size: 0
    .kernarg_segment_align: 8
    .kernarg_segment_size: 96
    .language:       OpenCL C
    .language_version:
      - 2
      - 0
    .max_flat_workgroup_size: 256
    .name:           _ZN7rocprim17ROCPRIM_400000_NS6detail17trampoline_kernelINS0_14default_configENS1_20scan_config_selectorIfEEZZNS1_9scan_implILNS1_25lookback_scan_determinismE0ELb1ELb1ES3_N6thrust23THRUST_200600_302600_NS6detail15normal_iteratorINS9_10device_ptrIjEEEENSB_INSC_IiEEEEfNS9_4plusIvEEfEEDaPvRmT3_T4_T5_mT6_P12ihipStream_tbENKUlT_T0_E_clISt17integral_constantIbLb0EESV_IbLb1EEEEDaSR_SS_EUlSR_E_NS1_11comp_targetILNS1_3genE3ELNS1_11target_archE908ELNS1_3gpuE7ELNS1_3repE0EEENS1_30default_config_static_selectorELNS0_4arch9wavefront6targetE1EEEvT1_
    .private_segment_fixed_size: 0
    .sgpr_count:     4
    .sgpr_spill_count: 0
    .symbol:         _ZN7rocprim17ROCPRIM_400000_NS6detail17trampoline_kernelINS0_14default_configENS1_20scan_config_selectorIfEEZZNS1_9scan_implILNS1_25lookback_scan_determinismE0ELb1ELb1ES3_N6thrust23THRUST_200600_302600_NS6detail15normal_iteratorINS9_10device_ptrIjEEEENSB_INSC_IiEEEEfNS9_4plusIvEEfEEDaPvRmT3_T4_T5_mT6_P12ihipStream_tbENKUlT_T0_E_clISt17integral_constantIbLb0EESV_IbLb1EEEEDaSR_SS_EUlSR_E_NS1_11comp_targetILNS1_3genE3ELNS1_11target_archE908ELNS1_3gpuE7ELNS1_3repE0EEENS1_30default_config_static_selectorELNS0_4arch9wavefront6targetE1EEEvT1_.kd
    .uniform_work_group_size: 1
    .uses_dynamic_stack: false
    .vgpr_count:     0
    .vgpr_spill_count: 0
    .wavefront_size: 64
  - .agpr_count:     0
    .args:
      - .offset:         0
        .size:           96
        .value_kind:     by_value
    .group_segment_fixed_size: 0
    .kernarg_segment_align: 8
    .kernarg_segment_size: 96
    .language:       OpenCL C
    .language_version:
      - 2
      - 0
    .max_flat_workgroup_size: 256
    .name:           _ZN7rocprim17ROCPRIM_400000_NS6detail17trampoline_kernelINS0_14default_configENS1_20scan_config_selectorIfEEZZNS1_9scan_implILNS1_25lookback_scan_determinismE0ELb1ELb1ES3_N6thrust23THRUST_200600_302600_NS6detail15normal_iteratorINS9_10device_ptrIjEEEENSB_INSC_IiEEEEfNS9_4plusIvEEfEEDaPvRmT3_T4_T5_mT6_P12ihipStream_tbENKUlT_T0_E_clISt17integral_constantIbLb0EESV_IbLb1EEEEDaSR_SS_EUlSR_E_NS1_11comp_targetILNS1_3genE2ELNS1_11target_archE906ELNS1_3gpuE6ELNS1_3repE0EEENS1_30default_config_static_selectorELNS0_4arch9wavefront6targetE1EEEvT1_
    .private_segment_fixed_size: 0
    .sgpr_count:     4
    .sgpr_spill_count: 0
    .symbol:         _ZN7rocprim17ROCPRIM_400000_NS6detail17trampoline_kernelINS0_14default_configENS1_20scan_config_selectorIfEEZZNS1_9scan_implILNS1_25lookback_scan_determinismE0ELb1ELb1ES3_N6thrust23THRUST_200600_302600_NS6detail15normal_iteratorINS9_10device_ptrIjEEEENSB_INSC_IiEEEEfNS9_4plusIvEEfEEDaPvRmT3_T4_T5_mT6_P12ihipStream_tbENKUlT_T0_E_clISt17integral_constantIbLb0EESV_IbLb1EEEEDaSR_SS_EUlSR_E_NS1_11comp_targetILNS1_3genE2ELNS1_11target_archE906ELNS1_3gpuE6ELNS1_3repE0EEENS1_30default_config_static_selectorELNS0_4arch9wavefront6targetE1EEEvT1_.kd
    .uniform_work_group_size: 1
    .uses_dynamic_stack: false
    .vgpr_count:     0
    .vgpr_spill_count: 0
    .wavefront_size: 64
  - .agpr_count:     0
    .args:
      - .offset:         0
        .size:           96
        .value_kind:     by_value
    .group_segment_fixed_size: 0
    .kernarg_segment_align: 8
    .kernarg_segment_size: 96
    .language:       OpenCL C
    .language_version:
      - 2
      - 0
    .max_flat_workgroup_size: 256
    .name:           _ZN7rocprim17ROCPRIM_400000_NS6detail17trampoline_kernelINS0_14default_configENS1_20scan_config_selectorIfEEZZNS1_9scan_implILNS1_25lookback_scan_determinismE0ELb1ELb1ES3_N6thrust23THRUST_200600_302600_NS6detail15normal_iteratorINS9_10device_ptrIjEEEENSB_INSC_IiEEEEfNS9_4plusIvEEfEEDaPvRmT3_T4_T5_mT6_P12ihipStream_tbENKUlT_T0_E_clISt17integral_constantIbLb0EESV_IbLb1EEEEDaSR_SS_EUlSR_E_NS1_11comp_targetILNS1_3genE10ELNS1_11target_archE1201ELNS1_3gpuE5ELNS1_3repE0EEENS1_30default_config_static_selectorELNS0_4arch9wavefront6targetE1EEEvT1_
    .private_segment_fixed_size: 0
    .sgpr_count:     4
    .sgpr_spill_count: 0
    .symbol:         _ZN7rocprim17ROCPRIM_400000_NS6detail17trampoline_kernelINS0_14default_configENS1_20scan_config_selectorIfEEZZNS1_9scan_implILNS1_25lookback_scan_determinismE0ELb1ELb1ES3_N6thrust23THRUST_200600_302600_NS6detail15normal_iteratorINS9_10device_ptrIjEEEENSB_INSC_IiEEEEfNS9_4plusIvEEfEEDaPvRmT3_T4_T5_mT6_P12ihipStream_tbENKUlT_T0_E_clISt17integral_constantIbLb0EESV_IbLb1EEEEDaSR_SS_EUlSR_E_NS1_11comp_targetILNS1_3genE10ELNS1_11target_archE1201ELNS1_3gpuE5ELNS1_3repE0EEENS1_30default_config_static_selectorELNS0_4arch9wavefront6targetE1EEEvT1_.kd
    .uniform_work_group_size: 1
    .uses_dynamic_stack: false
    .vgpr_count:     0
    .vgpr_spill_count: 0
    .wavefront_size: 64
  - .agpr_count:     0
    .args:
      - .offset:         0
        .size:           96
        .value_kind:     by_value
    .group_segment_fixed_size: 0
    .kernarg_segment_align: 8
    .kernarg_segment_size: 96
    .language:       OpenCL C
    .language_version:
      - 2
      - 0
    .max_flat_workgroup_size: 256
    .name:           _ZN7rocprim17ROCPRIM_400000_NS6detail17trampoline_kernelINS0_14default_configENS1_20scan_config_selectorIfEEZZNS1_9scan_implILNS1_25lookback_scan_determinismE0ELb1ELb1ES3_N6thrust23THRUST_200600_302600_NS6detail15normal_iteratorINS9_10device_ptrIjEEEENSB_INSC_IiEEEEfNS9_4plusIvEEfEEDaPvRmT3_T4_T5_mT6_P12ihipStream_tbENKUlT_T0_E_clISt17integral_constantIbLb0EESV_IbLb1EEEEDaSR_SS_EUlSR_E_NS1_11comp_targetILNS1_3genE10ELNS1_11target_archE1200ELNS1_3gpuE4ELNS1_3repE0EEENS1_30default_config_static_selectorELNS0_4arch9wavefront6targetE1EEEvT1_
    .private_segment_fixed_size: 0
    .sgpr_count:     4
    .sgpr_spill_count: 0
    .symbol:         _ZN7rocprim17ROCPRIM_400000_NS6detail17trampoline_kernelINS0_14default_configENS1_20scan_config_selectorIfEEZZNS1_9scan_implILNS1_25lookback_scan_determinismE0ELb1ELb1ES3_N6thrust23THRUST_200600_302600_NS6detail15normal_iteratorINS9_10device_ptrIjEEEENSB_INSC_IiEEEEfNS9_4plusIvEEfEEDaPvRmT3_T4_T5_mT6_P12ihipStream_tbENKUlT_T0_E_clISt17integral_constantIbLb0EESV_IbLb1EEEEDaSR_SS_EUlSR_E_NS1_11comp_targetILNS1_3genE10ELNS1_11target_archE1200ELNS1_3gpuE4ELNS1_3repE0EEENS1_30default_config_static_selectorELNS0_4arch9wavefront6targetE1EEEvT1_.kd
    .uniform_work_group_size: 1
    .uses_dynamic_stack: false
    .vgpr_count:     0
    .vgpr_spill_count: 0
    .wavefront_size: 64
  - .agpr_count:     0
    .args:
      - .offset:         0
        .size:           96
        .value_kind:     by_value
    .group_segment_fixed_size: 0
    .kernarg_segment_align: 8
    .kernarg_segment_size: 96
    .language:       OpenCL C
    .language_version:
      - 2
      - 0
    .max_flat_workgroup_size: 256
    .name:           _ZN7rocprim17ROCPRIM_400000_NS6detail17trampoline_kernelINS0_14default_configENS1_20scan_config_selectorIfEEZZNS1_9scan_implILNS1_25lookback_scan_determinismE0ELb1ELb1ES3_N6thrust23THRUST_200600_302600_NS6detail15normal_iteratorINS9_10device_ptrIjEEEENSB_INSC_IiEEEEfNS9_4plusIvEEfEEDaPvRmT3_T4_T5_mT6_P12ihipStream_tbENKUlT_T0_E_clISt17integral_constantIbLb0EESV_IbLb1EEEEDaSR_SS_EUlSR_E_NS1_11comp_targetILNS1_3genE9ELNS1_11target_archE1100ELNS1_3gpuE3ELNS1_3repE0EEENS1_30default_config_static_selectorELNS0_4arch9wavefront6targetE1EEEvT1_
    .private_segment_fixed_size: 0
    .sgpr_count:     4
    .sgpr_spill_count: 0
    .symbol:         _ZN7rocprim17ROCPRIM_400000_NS6detail17trampoline_kernelINS0_14default_configENS1_20scan_config_selectorIfEEZZNS1_9scan_implILNS1_25lookback_scan_determinismE0ELb1ELb1ES3_N6thrust23THRUST_200600_302600_NS6detail15normal_iteratorINS9_10device_ptrIjEEEENSB_INSC_IiEEEEfNS9_4plusIvEEfEEDaPvRmT3_T4_T5_mT6_P12ihipStream_tbENKUlT_T0_E_clISt17integral_constantIbLb0EESV_IbLb1EEEEDaSR_SS_EUlSR_E_NS1_11comp_targetILNS1_3genE9ELNS1_11target_archE1100ELNS1_3gpuE3ELNS1_3repE0EEENS1_30default_config_static_selectorELNS0_4arch9wavefront6targetE1EEEvT1_.kd
    .uniform_work_group_size: 1
    .uses_dynamic_stack: false
    .vgpr_count:     0
    .vgpr_spill_count: 0
    .wavefront_size: 64
  - .agpr_count:     0
    .args:
      - .offset:         0
        .size:           96
        .value_kind:     by_value
    .group_segment_fixed_size: 0
    .kernarg_segment_align: 8
    .kernarg_segment_size: 96
    .language:       OpenCL C
    .language_version:
      - 2
      - 0
    .max_flat_workgroup_size: 64
    .name:           _ZN7rocprim17ROCPRIM_400000_NS6detail17trampoline_kernelINS0_14default_configENS1_20scan_config_selectorIfEEZZNS1_9scan_implILNS1_25lookback_scan_determinismE0ELb1ELb1ES3_N6thrust23THRUST_200600_302600_NS6detail15normal_iteratorINS9_10device_ptrIjEEEENSB_INSC_IiEEEEfNS9_4plusIvEEfEEDaPvRmT3_T4_T5_mT6_P12ihipStream_tbENKUlT_T0_E_clISt17integral_constantIbLb0EESV_IbLb1EEEEDaSR_SS_EUlSR_E_NS1_11comp_targetILNS1_3genE8ELNS1_11target_archE1030ELNS1_3gpuE2ELNS1_3repE0EEENS1_30default_config_static_selectorELNS0_4arch9wavefront6targetE1EEEvT1_
    .private_segment_fixed_size: 0
    .sgpr_count:     4
    .sgpr_spill_count: 0
    .symbol:         _ZN7rocprim17ROCPRIM_400000_NS6detail17trampoline_kernelINS0_14default_configENS1_20scan_config_selectorIfEEZZNS1_9scan_implILNS1_25lookback_scan_determinismE0ELb1ELb1ES3_N6thrust23THRUST_200600_302600_NS6detail15normal_iteratorINS9_10device_ptrIjEEEENSB_INSC_IiEEEEfNS9_4plusIvEEfEEDaPvRmT3_T4_T5_mT6_P12ihipStream_tbENKUlT_T0_E_clISt17integral_constantIbLb0EESV_IbLb1EEEEDaSR_SS_EUlSR_E_NS1_11comp_targetILNS1_3genE8ELNS1_11target_archE1030ELNS1_3gpuE2ELNS1_3repE0EEENS1_30default_config_static_selectorELNS0_4arch9wavefront6targetE1EEEvT1_.kd
    .uniform_work_group_size: 1
    .uses_dynamic_stack: false
    .vgpr_count:     0
    .vgpr_spill_count: 0
    .wavefront_size: 64
  - .agpr_count:     0
    .args:
      - .offset:         0
        .size:           32
        .value_kind:     by_value
    .group_segment_fixed_size: 0
    .kernarg_segment_align: 8
    .kernarg_segment_size: 32
    .language:       OpenCL C
    .language_version:
      - 2
      - 0
    .max_flat_workgroup_size: 256
    .name:           _ZN7rocprim17ROCPRIM_400000_NS6detail17trampoline_kernelINS0_14default_configENS1_20scan_config_selectorIfEEZZNS1_9scan_implILNS1_25lookback_scan_determinismE0ELb1ELb1ES3_N6thrust23THRUST_200600_302600_NS6detail15normal_iteratorINS9_10device_ptrIjEEEENSB_INSC_IiEEEEfNS9_4plusIvEEfEEDaPvRmT3_T4_T5_mT6_P12ihipStream_tbENKUlT_T0_E_clISt17integral_constantIbLb0EESV_IbLb1EEEEDaSR_SS_EUlSR_E0_NS1_11comp_targetILNS1_3genE0ELNS1_11target_archE4294967295ELNS1_3gpuE0ELNS1_3repE0EEENS1_30default_config_static_selectorELNS0_4arch9wavefront6targetE1EEEvT1_
    .private_segment_fixed_size: 0
    .sgpr_count:     4
    .sgpr_spill_count: 0
    .symbol:         _ZN7rocprim17ROCPRIM_400000_NS6detail17trampoline_kernelINS0_14default_configENS1_20scan_config_selectorIfEEZZNS1_9scan_implILNS1_25lookback_scan_determinismE0ELb1ELb1ES3_N6thrust23THRUST_200600_302600_NS6detail15normal_iteratorINS9_10device_ptrIjEEEENSB_INSC_IiEEEEfNS9_4plusIvEEfEEDaPvRmT3_T4_T5_mT6_P12ihipStream_tbENKUlT_T0_E_clISt17integral_constantIbLb0EESV_IbLb1EEEEDaSR_SS_EUlSR_E0_NS1_11comp_targetILNS1_3genE0ELNS1_11target_archE4294967295ELNS1_3gpuE0ELNS1_3repE0EEENS1_30default_config_static_selectorELNS0_4arch9wavefront6targetE1EEEvT1_.kd
    .uniform_work_group_size: 1
    .uses_dynamic_stack: false
    .vgpr_count:     0
    .vgpr_spill_count: 0
    .wavefront_size: 64
  - .agpr_count:     0
    .args:
      - .offset:         0
        .size:           32
        .value_kind:     by_value
    .group_segment_fixed_size: 0
    .kernarg_segment_align: 8
    .kernarg_segment_size: 32
    .language:       OpenCL C
    .language_version:
      - 2
      - 0
    .max_flat_workgroup_size: 256
    .name:           _ZN7rocprim17ROCPRIM_400000_NS6detail17trampoline_kernelINS0_14default_configENS1_20scan_config_selectorIfEEZZNS1_9scan_implILNS1_25lookback_scan_determinismE0ELb1ELb1ES3_N6thrust23THRUST_200600_302600_NS6detail15normal_iteratorINS9_10device_ptrIjEEEENSB_INSC_IiEEEEfNS9_4plusIvEEfEEDaPvRmT3_T4_T5_mT6_P12ihipStream_tbENKUlT_T0_E_clISt17integral_constantIbLb0EESV_IbLb1EEEEDaSR_SS_EUlSR_E0_NS1_11comp_targetILNS1_3genE5ELNS1_11target_archE942ELNS1_3gpuE9ELNS1_3repE0EEENS1_30default_config_static_selectorELNS0_4arch9wavefront6targetE1EEEvT1_
    .private_segment_fixed_size: 0
    .sgpr_count:     4
    .sgpr_spill_count: 0
    .symbol:         _ZN7rocprim17ROCPRIM_400000_NS6detail17trampoline_kernelINS0_14default_configENS1_20scan_config_selectorIfEEZZNS1_9scan_implILNS1_25lookback_scan_determinismE0ELb1ELb1ES3_N6thrust23THRUST_200600_302600_NS6detail15normal_iteratorINS9_10device_ptrIjEEEENSB_INSC_IiEEEEfNS9_4plusIvEEfEEDaPvRmT3_T4_T5_mT6_P12ihipStream_tbENKUlT_T0_E_clISt17integral_constantIbLb0EESV_IbLb1EEEEDaSR_SS_EUlSR_E0_NS1_11comp_targetILNS1_3genE5ELNS1_11target_archE942ELNS1_3gpuE9ELNS1_3repE0EEENS1_30default_config_static_selectorELNS0_4arch9wavefront6targetE1EEEvT1_.kd
    .uniform_work_group_size: 1
    .uses_dynamic_stack: false
    .vgpr_count:     0
    .vgpr_spill_count: 0
    .wavefront_size: 64
  - .agpr_count:     0
    .args:
      - .offset:         0
        .size:           32
        .value_kind:     by_value
    .group_segment_fixed_size: 7168
    .kernarg_segment_align: 8
    .kernarg_segment_size: 32
    .language:       OpenCL C
    .language_version:
      - 2
      - 0
    .max_flat_workgroup_size: 128
    .name:           _ZN7rocprim17ROCPRIM_400000_NS6detail17trampoline_kernelINS0_14default_configENS1_20scan_config_selectorIfEEZZNS1_9scan_implILNS1_25lookback_scan_determinismE0ELb1ELb1ES3_N6thrust23THRUST_200600_302600_NS6detail15normal_iteratorINS9_10device_ptrIjEEEENSB_INSC_IiEEEEfNS9_4plusIvEEfEEDaPvRmT3_T4_T5_mT6_P12ihipStream_tbENKUlT_T0_E_clISt17integral_constantIbLb0EESV_IbLb1EEEEDaSR_SS_EUlSR_E0_NS1_11comp_targetILNS1_3genE4ELNS1_11target_archE910ELNS1_3gpuE8ELNS1_3repE0EEENS1_30default_config_static_selectorELNS0_4arch9wavefront6targetE1EEEvT1_
    .private_segment_fixed_size: 0
    .sgpr_count:     42
    .sgpr_spill_count: 0
    .symbol:         _ZN7rocprim17ROCPRIM_400000_NS6detail17trampoline_kernelINS0_14default_configENS1_20scan_config_selectorIfEEZZNS1_9scan_implILNS1_25lookback_scan_determinismE0ELb1ELb1ES3_N6thrust23THRUST_200600_302600_NS6detail15normal_iteratorINS9_10device_ptrIjEEEENSB_INSC_IiEEEEfNS9_4plusIvEEfEEDaPvRmT3_T4_T5_mT6_P12ihipStream_tbENKUlT_T0_E_clISt17integral_constantIbLb0EESV_IbLb1EEEEDaSR_SS_EUlSR_E0_NS1_11comp_targetILNS1_3genE4ELNS1_11target_archE910ELNS1_3gpuE8ELNS1_3repE0EEENS1_30default_config_static_selectorELNS0_4arch9wavefront6targetE1EEEvT1_.kd
    .uniform_work_group_size: 1
    .uses_dynamic_stack: false
    .vgpr_count:     24
    .vgpr_spill_count: 0
    .wavefront_size: 64
  - .agpr_count:     0
    .args:
      - .offset:         0
        .size:           32
        .value_kind:     by_value
    .group_segment_fixed_size: 0
    .kernarg_segment_align: 8
    .kernarg_segment_size: 32
    .language:       OpenCL C
    .language_version:
      - 2
      - 0
    .max_flat_workgroup_size: 256
    .name:           _ZN7rocprim17ROCPRIM_400000_NS6detail17trampoline_kernelINS0_14default_configENS1_20scan_config_selectorIfEEZZNS1_9scan_implILNS1_25lookback_scan_determinismE0ELb1ELb1ES3_N6thrust23THRUST_200600_302600_NS6detail15normal_iteratorINS9_10device_ptrIjEEEENSB_INSC_IiEEEEfNS9_4plusIvEEfEEDaPvRmT3_T4_T5_mT6_P12ihipStream_tbENKUlT_T0_E_clISt17integral_constantIbLb0EESV_IbLb1EEEEDaSR_SS_EUlSR_E0_NS1_11comp_targetILNS1_3genE3ELNS1_11target_archE908ELNS1_3gpuE7ELNS1_3repE0EEENS1_30default_config_static_selectorELNS0_4arch9wavefront6targetE1EEEvT1_
    .private_segment_fixed_size: 0
    .sgpr_count:     4
    .sgpr_spill_count: 0
    .symbol:         _ZN7rocprim17ROCPRIM_400000_NS6detail17trampoline_kernelINS0_14default_configENS1_20scan_config_selectorIfEEZZNS1_9scan_implILNS1_25lookback_scan_determinismE0ELb1ELb1ES3_N6thrust23THRUST_200600_302600_NS6detail15normal_iteratorINS9_10device_ptrIjEEEENSB_INSC_IiEEEEfNS9_4plusIvEEfEEDaPvRmT3_T4_T5_mT6_P12ihipStream_tbENKUlT_T0_E_clISt17integral_constantIbLb0EESV_IbLb1EEEEDaSR_SS_EUlSR_E0_NS1_11comp_targetILNS1_3genE3ELNS1_11target_archE908ELNS1_3gpuE7ELNS1_3repE0EEENS1_30default_config_static_selectorELNS0_4arch9wavefront6targetE1EEEvT1_.kd
    .uniform_work_group_size: 1
    .uses_dynamic_stack: false
    .vgpr_count:     0
    .vgpr_spill_count: 0
    .wavefront_size: 64
  - .agpr_count:     0
    .args:
      - .offset:         0
        .size:           32
        .value_kind:     by_value
    .group_segment_fixed_size: 0
    .kernarg_segment_align: 8
    .kernarg_segment_size: 32
    .language:       OpenCL C
    .language_version:
      - 2
      - 0
    .max_flat_workgroup_size: 256
    .name:           _ZN7rocprim17ROCPRIM_400000_NS6detail17trampoline_kernelINS0_14default_configENS1_20scan_config_selectorIfEEZZNS1_9scan_implILNS1_25lookback_scan_determinismE0ELb1ELb1ES3_N6thrust23THRUST_200600_302600_NS6detail15normal_iteratorINS9_10device_ptrIjEEEENSB_INSC_IiEEEEfNS9_4plusIvEEfEEDaPvRmT3_T4_T5_mT6_P12ihipStream_tbENKUlT_T0_E_clISt17integral_constantIbLb0EESV_IbLb1EEEEDaSR_SS_EUlSR_E0_NS1_11comp_targetILNS1_3genE2ELNS1_11target_archE906ELNS1_3gpuE6ELNS1_3repE0EEENS1_30default_config_static_selectorELNS0_4arch9wavefront6targetE1EEEvT1_
    .private_segment_fixed_size: 0
    .sgpr_count:     4
    .sgpr_spill_count: 0
    .symbol:         _ZN7rocprim17ROCPRIM_400000_NS6detail17trampoline_kernelINS0_14default_configENS1_20scan_config_selectorIfEEZZNS1_9scan_implILNS1_25lookback_scan_determinismE0ELb1ELb1ES3_N6thrust23THRUST_200600_302600_NS6detail15normal_iteratorINS9_10device_ptrIjEEEENSB_INSC_IiEEEEfNS9_4plusIvEEfEEDaPvRmT3_T4_T5_mT6_P12ihipStream_tbENKUlT_T0_E_clISt17integral_constantIbLb0EESV_IbLb1EEEEDaSR_SS_EUlSR_E0_NS1_11comp_targetILNS1_3genE2ELNS1_11target_archE906ELNS1_3gpuE6ELNS1_3repE0EEENS1_30default_config_static_selectorELNS0_4arch9wavefront6targetE1EEEvT1_.kd
    .uniform_work_group_size: 1
    .uses_dynamic_stack: false
    .vgpr_count:     0
    .vgpr_spill_count: 0
    .wavefront_size: 64
  - .agpr_count:     0
    .args:
      - .offset:         0
        .size:           32
        .value_kind:     by_value
    .group_segment_fixed_size: 0
    .kernarg_segment_align: 8
    .kernarg_segment_size: 32
    .language:       OpenCL C
    .language_version:
      - 2
      - 0
    .max_flat_workgroup_size: 256
    .name:           _ZN7rocprim17ROCPRIM_400000_NS6detail17trampoline_kernelINS0_14default_configENS1_20scan_config_selectorIfEEZZNS1_9scan_implILNS1_25lookback_scan_determinismE0ELb1ELb1ES3_N6thrust23THRUST_200600_302600_NS6detail15normal_iteratorINS9_10device_ptrIjEEEENSB_INSC_IiEEEEfNS9_4plusIvEEfEEDaPvRmT3_T4_T5_mT6_P12ihipStream_tbENKUlT_T0_E_clISt17integral_constantIbLb0EESV_IbLb1EEEEDaSR_SS_EUlSR_E0_NS1_11comp_targetILNS1_3genE10ELNS1_11target_archE1201ELNS1_3gpuE5ELNS1_3repE0EEENS1_30default_config_static_selectorELNS0_4arch9wavefront6targetE1EEEvT1_
    .private_segment_fixed_size: 0
    .sgpr_count:     4
    .sgpr_spill_count: 0
    .symbol:         _ZN7rocprim17ROCPRIM_400000_NS6detail17trampoline_kernelINS0_14default_configENS1_20scan_config_selectorIfEEZZNS1_9scan_implILNS1_25lookback_scan_determinismE0ELb1ELb1ES3_N6thrust23THRUST_200600_302600_NS6detail15normal_iteratorINS9_10device_ptrIjEEEENSB_INSC_IiEEEEfNS9_4plusIvEEfEEDaPvRmT3_T4_T5_mT6_P12ihipStream_tbENKUlT_T0_E_clISt17integral_constantIbLb0EESV_IbLb1EEEEDaSR_SS_EUlSR_E0_NS1_11comp_targetILNS1_3genE10ELNS1_11target_archE1201ELNS1_3gpuE5ELNS1_3repE0EEENS1_30default_config_static_selectorELNS0_4arch9wavefront6targetE1EEEvT1_.kd
    .uniform_work_group_size: 1
    .uses_dynamic_stack: false
    .vgpr_count:     0
    .vgpr_spill_count: 0
    .wavefront_size: 64
  - .agpr_count:     0
    .args:
      - .offset:         0
        .size:           32
        .value_kind:     by_value
    .group_segment_fixed_size: 0
    .kernarg_segment_align: 8
    .kernarg_segment_size: 32
    .language:       OpenCL C
    .language_version:
      - 2
      - 0
    .max_flat_workgroup_size: 256
    .name:           _ZN7rocprim17ROCPRIM_400000_NS6detail17trampoline_kernelINS0_14default_configENS1_20scan_config_selectorIfEEZZNS1_9scan_implILNS1_25lookback_scan_determinismE0ELb1ELb1ES3_N6thrust23THRUST_200600_302600_NS6detail15normal_iteratorINS9_10device_ptrIjEEEENSB_INSC_IiEEEEfNS9_4plusIvEEfEEDaPvRmT3_T4_T5_mT6_P12ihipStream_tbENKUlT_T0_E_clISt17integral_constantIbLb0EESV_IbLb1EEEEDaSR_SS_EUlSR_E0_NS1_11comp_targetILNS1_3genE10ELNS1_11target_archE1200ELNS1_3gpuE4ELNS1_3repE0EEENS1_30default_config_static_selectorELNS0_4arch9wavefront6targetE1EEEvT1_
    .private_segment_fixed_size: 0
    .sgpr_count:     4
    .sgpr_spill_count: 0
    .symbol:         _ZN7rocprim17ROCPRIM_400000_NS6detail17trampoline_kernelINS0_14default_configENS1_20scan_config_selectorIfEEZZNS1_9scan_implILNS1_25lookback_scan_determinismE0ELb1ELb1ES3_N6thrust23THRUST_200600_302600_NS6detail15normal_iteratorINS9_10device_ptrIjEEEENSB_INSC_IiEEEEfNS9_4plusIvEEfEEDaPvRmT3_T4_T5_mT6_P12ihipStream_tbENKUlT_T0_E_clISt17integral_constantIbLb0EESV_IbLb1EEEEDaSR_SS_EUlSR_E0_NS1_11comp_targetILNS1_3genE10ELNS1_11target_archE1200ELNS1_3gpuE4ELNS1_3repE0EEENS1_30default_config_static_selectorELNS0_4arch9wavefront6targetE1EEEvT1_.kd
    .uniform_work_group_size: 1
    .uses_dynamic_stack: false
    .vgpr_count:     0
    .vgpr_spill_count: 0
    .wavefront_size: 64
  - .agpr_count:     0
    .args:
      - .offset:         0
        .size:           32
        .value_kind:     by_value
    .group_segment_fixed_size: 0
    .kernarg_segment_align: 8
    .kernarg_segment_size: 32
    .language:       OpenCL C
    .language_version:
      - 2
      - 0
    .max_flat_workgroup_size: 256
    .name:           _ZN7rocprim17ROCPRIM_400000_NS6detail17trampoline_kernelINS0_14default_configENS1_20scan_config_selectorIfEEZZNS1_9scan_implILNS1_25lookback_scan_determinismE0ELb1ELb1ES3_N6thrust23THRUST_200600_302600_NS6detail15normal_iteratorINS9_10device_ptrIjEEEENSB_INSC_IiEEEEfNS9_4plusIvEEfEEDaPvRmT3_T4_T5_mT6_P12ihipStream_tbENKUlT_T0_E_clISt17integral_constantIbLb0EESV_IbLb1EEEEDaSR_SS_EUlSR_E0_NS1_11comp_targetILNS1_3genE9ELNS1_11target_archE1100ELNS1_3gpuE3ELNS1_3repE0EEENS1_30default_config_static_selectorELNS0_4arch9wavefront6targetE1EEEvT1_
    .private_segment_fixed_size: 0
    .sgpr_count:     4
    .sgpr_spill_count: 0
    .symbol:         _ZN7rocprim17ROCPRIM_400000_NS6detail17trampoline_kernelINS0_14default_configENS1_20scan_config_selectorIfEEZZNS1_9scan_implILNS1_25lookback_scan_determinismE0ELb1ELb1ES3_N6thrust23THRUST_200600_302600_NS6detail15normal_iteratorINS9_10device_ptrIjEEEENSB_INSC_IiEEEEfNS9_4plusIvEEfEEDaPvRmT3_T4_T5_mT6_P12ihipStream_tbENKUlT_T0_E_clISt17integral_constantIbLb0EESV_IbLb1EEEEDaSR_SS_EUlSR_E0_NS1_11comp_targetILNS1_3genE9ELNS1_11target_archE1100ELNS1_3gpuE3ELNS1_3repE0EEENS1_30default_config_static_selectorELNS0_4arch9wavefront6targetE1EEEvT1_.kd
    .uniform_work_group_size: 1
    .uses_dynamic_stack: false
    .vgpr_count:     0
    .vgpr_spill_count: 0
    .wavefront_size: 64
  - .agpr_count:     0
    .args:
      - .offset:         0
        .size:           32
        .value_kind:     by_value
    .group_segment_fixed_size: 0
    .kernarg_segment_align: 8
    .kernarg_segment_size: 32
    .language:       OpenCL C
    .language_version:
      - 2
      - 0
    .max_flat_workgroup_size: 64
    .name:           _ZN7rocprim17ROCPRIM_400000_NS6detail17trampoline_kernelINS0_14default_configENS1_20scan_config_selectorIfEEZZNS1_9scan_implILNS1_25lookback_scan_determinismE0ELb1ELb1ES3_N6thrust23THRUST_200600_302600_NS6detail15normal_iteratorINS9_10device_ptrIjEEEENSB_INSC_IiEEEEfNS9_4plusIvEEfEEDaPvRmT3_T4_T5_mT6_P12ihipStream_tbENKUlT_T0_E_clISt17integral_constantIbLb0EESV_IbLb1EEEEDaSR_SS_EUlSR_E0_NS1_11comp_targetILNS1_3genE8ELNS1_11target_archE1030ELNS1_3gpuE2ELNS1_3repE0EEENS1_30default_config_static_selectorELNS0_4arch9wavefront6targetE1EEEvT1_
    .private_segment_fixed_size: 0
    .sgpr_count:     4
    .sgpr_spill_count: 0
    .symbol:         _ZN7rocprim17ROCPRIM_400000_NS6detail17trampoline_kernelINS0_14default_configENS1_20scan_config_selectorIfEEZZNS1_9scan_implILNS1_25lookback_scan_determinismE0ELb1ELb1ES3_N6thrust23THRUST_200600_302600_NS6detail15normal_iteratorINS9_10device_ptrIjEEEENSB_INSC_IiEEEEfNS9_4plusIvEEfEEDaPvRmT3_T4_T5_mT6_P12ihipStream_tbENKUlT_T0_E_clISt17integral_constantIbLb0EESV_IbLb1EEEEDaSR_SS_EUlSR_E0_NS1_11comp_targetILNS1_3genE8ELNS1_11target_archE1030ELNS1_3gpuE2ELNS1_3repE0EEENS1_30default_config_static_selectorELNS0_4arch9wavefront6targetE1EEEvT1_.kd
    .uniform_work_group_size: 1
    .uses_dynamic_stack: false
    .vgpr_count:     0
    .vgpr_spill_count: 0
    .wavefront_size: 64
  - .agpr_count:     0
    .args:
      - .offset:         0
        .size:           16
        .value_kind:     by_value
      - .offset:         16
        .size:           8
        .value_kind:     by_value
      - .offset:         24
        .size:           8
        .value_kind:     by_value
    .group_segment_fixed_size: 0
    .kernarg_segment_align: 8
    .kernarg_segment_size: 32
    .language:       OpenCL C
    .language_version:
      - 2
      - 0
    .max_flat_workgroup_size: 256
    .name:           _ZN6thrust23THRUST_200600_302600_NS11hip_rocprim14__parallel_for6kernelILj256ENS1_10for_each_fINS0_10device_ptrI11FixedVectorIiLj1EEEENS0_6detail16wrapped_functionINS9_23allocator_traits_detail5gozerEvEEEElLj1EEEvT0_T1_SG_
    .private_segment_fixed_size: 0
    .sgpr_count:     4
    .sgpr_spill_count: 0
    .symbol:         _ZN6thrust23THRUST_200600_302600_NS11hip_rocprim14__parallel_for6kernelILj256ENS1_10for_each_fINS0_10device_ptrI11FixedVectorIiLj1EEEENS0_6detail16wrapped_functionINS9_23allocator_traits_detail5gozerEvEEEElLj1EEEvT0_T1_SG_.kd
    .uniform_work_group_size: 1
    .uses_dynamic_stack: false
    .vgpr_count:     0
    .vgpr_spill_count: 0
    .wavefront_size: 64
  - .agpr_count:     0
    .args:
      - .offset:         0
        .size:           16
        .value_kind:     by_value
      - .offset:         16
        .size:           8
        .value_kind:     by_value
      - .offset:         24
        .size:           8
        .value_kind:     by_value
    .group_segment_fixed_size: 0
    .kernarg_segment_align: 8
    .kernarg_segment_size: 32
    .language:       OpenCL C
    .language_version:
      - 2
      - 0
    .max_flat_workgroup_size: 256
    .name:           _ZN6thrust23THRUST_200600_302600_NS11hip_rocprim14__parallel_for6kernelILj256ENS1_10for_each_fINS0_10device_ptrI11FixedVectorIiLj1EEEENS0_6detail16wrapped_functionINS9_23allocator_traits_detail24construct1_via_allocatorINS0_16device_allocatorIS7_EEEEvEEEEmLj1EEEvT0_T1_SJ_
    .private_segment_fixed_size: 0
    .sgpr_count:     16
    .sgpr_spill_count: 0
    .symbol:         _ZN6thrust23THRUST_200600_302600_NS11hip_rocprim14__parallel_for6kernelILj256ENS1_10for_each_fINS0_10device_ptrI11FixedVectorIiLj1EEEENS0_6detail16wrapped_functionINS9_23allocator_traits_detail24construct1_via_allocatorINS0_16device_allocatorIS7_EEEEvEEEEmLj1EEEvT0_T1_SJ_.kd
    .uniform_work_group_size: 1
    .uses_dynamic_stack: false
    .vgpr_count:     4
    .vgpr_spill_count: 0
    .wavefront_size: 64
  - .agpr_count:     0
    .args:
      - .address_space:  global
        .offset:         0
        .size:           8
        .value_kind:     global_buffer
      - .offset:         8
        .size:           4
        .value_kind:     by_value
      - .offset:         12
        .size:           1
        .value_kind:     by_value
      - .offset:         16
        .size:           4
        .value_kind:     by_value
      - .address_space:  global
        .offset:         24
        .size:           8
        .value_kind:     global_buffer
      - .offset:         32
        .size:           4
        .value_kind:     hidden_block_count_x
      - .offset:         36
        .size:           4
        .value_kind:     hidden_block_count_y
      - .offset:         40
        .size:           4
        .value_kind:     hidden_block_count_z
      - .offset:         44
        .size:           2
        .value_kind:     hidden_group_size_x
      - .offset:         46
        .size:           2
        .value_kind:     hidden_group_size_y
      - .offset:         48
        .size:           2
        .value_kind:     hidden_group_size_z
      - .offset:         50
        .size:           2
        .value_kind:     hidden_remainder_x
      - .offset:         52
        .size:           2
        .value_kind:     hidden_remainder_y
      - .offset:         54
        .size:           2
        .value_kind:     hidden_remainder_z
      - .offset:         72
        .size:           8
        .value_kind:     hidden_global_offset_x
      - .offset:         80
        .size:           8
        .value_kind:     hidden_global_offset_y
      - .offset:         88
        .size:           8
        .value_kind:     hidden_global_offset_z
      - .offset:         96
        .size:           2
        .value_kind:     hidden_grid_dims
    .group_segment_fixed_size: 0
    .kernarg_segment_align: 8
    .kernarg_segment_size: 288
    .language:       OpenCL C
    .language_version:
      - 2
      - 0
    .max_flat_workgroup_size: 256
    .name:           _ZN7rocprim17ROCPRIM_400000_NS6detail31init_lookback_scan_state_kernelINS1_19lookback_scan_stateI11FixedVectorIiLj1EELb0ELb1EEENS1_16block_id_wrapperIjLb0EEEEEvT_jT0_jPNS9_10value_typeE
    .private_segment_fixed_size: 0
    .sgpr_count:     13
    .sgpr_spill_count: 0
    .symbol:         _ZN7rocprim17ROCPRIM_400000_NS6detail31init_lookback_scan_state_kernelINS1_19lookback_scan_stateI11FixedVectorIiLj1EELb0ELb1EEENS1_16block_id_wrapperIjLb0EEEEEvT_jT0_jPNS9_10value_typeE.kd
    .uniform_work_group_size: 1
    .uses_dynamic_stack: false
    .vgpr_count:     6
    .vgpr_spill_count: 0
    .wavefront_size: 64
  - .agpr_count:     0
    .args:
      - .offset:         0
        .size:           96
        .value_kind:     by_value
    .group_segment_fixed_size: 0
    .kernarg_segment_align: 8
    .kernarg_segment_size: 96
    .language:       OpenCL C
    .language_version:
      - 2
      - 0
    .max_flat_workgroup_size: 256
    .name:           _ZN7rocprim17ROCPRIM_400000_NS6detail17trampoline_kernelINS0_14default_configENS1_20scan_config_selectorI11FixedVectorIiLj1EEEEZZNS1_9scan_implILNS1_25lookback_scan_determinismE0ELb0ELb0ES3_N6thrust23THRUST_200600_302600_NS6detail15normal_iteratorINSB_10device_ptrIS6_EEEESG_S6_NSB_4plusIvEES6_EEDaPvRmT3_T4_T5_mT6_P12ihipStream_tbENKUlT_T0_E_clISt17integral_constantIbLb0EESW_EEDaSR_SS_EUlSR_E_NS1_11comp_targetILNS1_3genE0ELNS1_11target_archE4294967295ELNS1_3gpuE0ELNS1_3repE0EEENS1_30default_config_static_selectorELNS0_4arch9wavefront6targetE1EEEvT1_
    .private_segment_fixed_size: 0
    .sgpr_count:     4
    .sgpr_spill_count: 0
    .symbol:         _ZN7rocprim17ROCPRIM_400000_NS6detail17trampoline_kernelINS0_14default_configENS1_20scan_config_selectorI11FixedVectorIiLj1EEEEZZNS1_9scan_implILNS1_25lookback_scan_determinismE0ELb0ELb0ES3_N6thrust23THRUST_200600_302600_NS6detail15normal_iteratorINSB_10device_ptrIS6_EEEESG_S6_NSB_4plusIvEES6_EEDaPvRmT3_T4_T5_mT6_P12ihipStream_tbENKUlT_T0_E_clISt17integral_constantIbLb0EESW_EEDaSR_SS_EUlSR_E_NS1_11comp_targetILNS1_3genE0ELNS1_11target_archE4294967295ELNS1_3gpuE0ELNS1_3repE0EEENS1_30default_config_static_selectorELNS0_4arch9wavefront6targetE1EEEvT1_.kd
    .uniform_work_group_size: 1
    .uses_dynamic_stack: false
    .vgpr_count:     0
    .vgpr_spill_count: 0
    .wavefront_size: 64
  - .agpr_count:     0
    .args:
      - .offset:         0
        .size:           96
        .value_kind:     by_value
    .group_segment_fixed_size: 0
    .kernarg_segment_align: 8
    .kernarg_segment_size: 96
    .language:       OpenCL C
    .language_version:
      - 2
      - 0
    .max_flat_workgroup_size: 256
    .name:           _ZN7rocprim17ROCPRIM_400000_NS6detail17trampoline_kernelINS0_14default_configENS1_20scan_config_selectorI11FixedVectorIiLj1EEEEZZNS1_9scan_implILNS1_25lookback_scan_determinismE0ELb0ELb0ES3_N6thrust23THRUST_200600_302600_NS6detail15normal_iteratorINSB_10device_ptrIS6_EEEESG_S6_NSB_4plusIvEES6_EEDaPvRmT3_T4_T5_mT6_P12ihipStream_tbENKUlT_T0_E_clISt17integral_constantIbLb0EESW_EEDaSR_SS_EUlSR_E_NS1_11comp_targetILNS1_3genE5ELNS1_11target_archE942ELNS1_3gpuE9ELNS1_3repE0EEENS1_30default_config_static_selectorELNS0_4arch9wavefront6targetE1EEEvT1_
    .private_segment_fixed_size: 0
    .sgpr_count:     4
    .sgpr_spill_count: 0
    .symbol:         _ZN7rocprim17ROCPRIM_400000_NS6detail17trampoline_kernelINS0_14default_configENS1_20scan_config_selectorI11FixedVectorIiLj1EEEEZZNS1_9scan_implILNS1_25lookback_scan_determinismE0ELb0ELb0ES3_N6thrust23THRUST_200600_302600_NS6detail15normal_iteratorINSB_10device_ptrIS6_EEEESG_S6_NSB_4plusIvEES6_EEDaPvRmT3_T4_T5_mT6_P12ihipStream_tbENKUlT_T0_E_clISt17integral_constantIbLb0EESW_EEDaSR_SS_EUlSR_E_NS1_11comp_targetILNS1_3genE5ELNS1_11target_archE942ELNS1_3gpuE9ELNS1_3repE0EEENS1_30default_config_static_selectorELNS0_4arch9wavefront6targetE1EEEvT1_.kd
    .uniform_work_group_size: 1
    .uses_dynamic_stack: false
    .vgpr_count:     0
    .vgpr_spill_count: 0
    .wavefront_size: 64
  - .agpr_count:     0
    .args:
      - .offset:         0
        .size:           96
        .value_kind:     by_value
    .group_segment_fixed_size: 5120
    .kernarg_segment_align: 8
    .kernarg_segment_size: 96
    .language:       OpenCL C
    .language_version:
      - 2
      - 0
    .max_flat_workgroup_size: 128
    .name:           _ZN7rocprim17ROCPRIM_400000_NS6detail17trampoline_kernelINS0_14default_configENS1_20scan_config_selectorI11FixedVectorIiLj1EEEEZZNS1_9scan_implILNS1_25lookback_scan_determinismE0ELb0ELb0ES3_N6thrust23THRUST_200600_302600_NS6detail15normal_iteratorINSB_10device_ptrIS6_EEEESG_S6_NSB_4plusIvEES6_EEDaPvRmT3_T4_T5_mT6_P12ihipStream_tbENKUlT_T0_E_clISt17integral_constantIbLb0EESW_EEDaSR_SS_EUlSR_E_NS1_11comp_targetILNS1_3genE4ELNS1_11target_archE910ELNS1_3gpuE8ELNS1_3repE0EEENS1_30default_config_static_selectorELNS0_4arch9wavefront6targetE1EEEvT1_
    .private_segment_fixed_size: 0
    .sgpr_count:     32
    .sgpr_spill_count: 0
    .symbol:         _ZN7rocprim17ROCPRIM_400000_NS6detail17trampoline_kernelINS0_14default_configENS1_20scan_config_selectorI11FixedVectorIiLj1EEEEZZNS1_9scan_implILNS1_25lookback_scan_determinismE0ELb0ELb0ES3_N6thrust23THRUST_200600_302600_NS6detail15normal_iteratorINSB_10device_ptrIS6_EEEESG_S6_NSB_4plusIvEES6_EEDaPvRmT3_T4_T5_mT6_P12ihipStream_tbENKUlT_T0_E_clISt17integral_constantIbLb0EESW_EEDaSR_SS_EUlSR_E_NS1_11comp_targetILNS1_3genE4ELNS1_11target_archE910ELNS1_3gpuE8ELNS1_3repE0EEENS1_30default_config_static_selectorELNS0_4arch9wavefront6targetE1EEEvT1_.kd
    .uniform_work_group_size: 1
    .uses_dynamic_stack: false
    .vgpr_count:     40
    .vgpr_spill_count: 0
    .wavefront_size: 64
  - .agpr_count:     0
    .args:
      - .offset:         0
        .size:           96
        .value_kind:     by_value
    .group_segment_fixed_size: 0
    .kernarg_segment_align: 8
    .kernarg_segment_size: 96
    .language:       OpenCL C
    .language_version:
      - 2
      - 0
    .max_flat_workgroup_size: 256
    .name:           _ZN7rocprim17ROCPRIM_400000_NS6detail17trampoline_kernelINS0_14default_configENS1_20scan_config_selectorI11FixedVectorIiLj1EEEEZZNS1_9scan_implILNS1_25lookback_scan_determinismE0ELb0ELb0ES3_N6thrust23THRUST_200600_302600_NS6detail15normal_iteratorINSB_10device_ptrIS6_EEEESG_S6_NSB_4plusIvEES6_EEDaPvRmT3_T4_T5_mT6_P12ihipStream_tbENKUlT_T0_E_clISt17integral_constantIbLb0EESW_EEDaSR_SS_EUlSR_E_NS1_11comp_targetILNS1_3genE3ELNS1_11target_archE908ELNS1_3gpuE7ELNS1_3repE0EEENS1_30default_config_static_selectorELNS0_4arch9wavefront6targetE1EEEvT1_
    .private_segment_fixed_size: 0
    .sgpr_count:     4
    .sgpr_spill_count: 0
    .symbol:         _ZN7rocprim17ROCPRIM_400000_NS6detail17trampoline_kernelINS0_14default_configENS1_20scan_config_selectorI11FixedVectorIiLj1EEEEZZNS1_9scan_implILNS1_25lookback_scan_determinismE0ELb0ELb0ES3_N6thrust23THRUST_200600_302600_NS6detail15normal_iteratorINSB_10device_ptrIS6_EEEESG_S6_NSB_4plusIvEES6_EEDaPvRmT3_T4_T5_mT6_P12ihipStream_tbENKUlT_T0_E_clISt17integral_constantIbLb0EESW_EEDaSR_SS_EUlSR_E_NS1_11comp_targetILNS1_3genE3ELNS1_11target_archE908ELNS1_3gpuE7ELNS1_3repE0EEENS1_30default_config_static_selectorELNS0_4arch9wavefront6targetE1EEEvT1_.kd
    .uniform_work_group_size: 1
    .uses_dynamic_stack: false
    .vgpr_count:     0
    .vgpr_spill_count: 0
    .wavefront_size: 64
  - .agpr_count:     0
    .args:
      - .offset:         0
        .size:           96
        .value_kind:     by_value
    .group_segment_fixed_size: 0
    .kernarg_segment_align: 8
    .kernarg_segment_size: 96
    .language:       OpenCL C
    .language_version:
      - 2
      - 0
    .max_flat_workgroup_size: 256
    .name:           _ZN7rocprim17ROCPRIM_400000_NS6detail17trampoline_kernelINS0_14default_configENS1_20scan_config_selectorI11FixedVectorIiLj1EEEEZZNS1_9scan_implILNS1_25lookback_scan_determinismE0ELb0ELb0ES3_N6thrust23THRUST_200600_302600_NS6detail15normal_iteratorINSB_10device_ptrIS6_EEEESG_S6_NSB_4plusIvEES6_EEDaPvRmT3_T4_T5_mT6_P12ihipStream_tbENKUlT_T0_E_clISt17integral_constantIbLb0EESW_EEDaSR_SS_EUlSR_E_NS1_11comp_targetILNS1_3genE2ELNS1_11target_archE906ELNS1_3gpuE6ELNS1_3repE0EEENS1_30default_config_static_selectorELNS0_4arch9wavefront6targetE1EEEvT1_
    .private_segment_fixed_size: 0
    .sgpr_count:     4
    .sgpr_spill_count: 0
    .symbol:         _ZN7rocprim17ROCPRIM_400000_NS6detail17trampoline_kernelINS0_14default_configENS1_20scan_config_selectorI11FixedVectorIiLj1EEEEZZNS1_9scan_implILNS1_25lookback_scan_determinismE0ELb0ELb0ES3_N6thrust23THRUST_200600_302600_NS6detail15normal_iteratorINSB_10device_ptrIS6_EEEESG_S6_NSB_4plusIvEES6_EEDaPvRmT3_T4_T5_mT6_P12ihipStream_tbENKUlT_T0_E_clISt17integral_constantIbLb0EESW_EEDaSR_SS_EUlSR_E_NS1_11comp_targetILNS1_3genE2ELNS1_11target_archE906ELNS1_3gpuE6ELNS1_3repE0EEENS1_30default_config_static_selectorELNS0_4arch9wavefront6targetE1EEEvT1_.kd
    .uniform_work_group_size: 1
    .uses_dynamic_stack: false
    .vgpr_count:     0
    .vgpr_spill_count: 0
    .wavefront_size: 64
  - .agpr_count:     0
    .args:
      - .offset:         0
        .size:           96
        .value_kind:     by_value
    .group_segment_fixed_size: 0
    .kernarg_segment_align: 8
    .kernarg_segment_size: 96
    .language:       OpenCL C
    .language_version:
      - 2
      - 0
    .max_flat_workgroup_size: 256
    .name:           _ZN7rocprim17ROCPRIM_400000_NS6detail17trampoline_kernelINS0_14default_configENS1_20scan_config_selectorI11FixedVectorIiLj1EEEEZZNS1_9scan_implILNS1_25lookback_scan_determinismE0ELb0ELb0ES3_N6thrust23THRUST_200600_302600_NS6detail15normal_iteratorINSB_10device_ptrIS6_EEEESG_S6_NSB_4plusIvEES6_EEDaPvRmT3_T4_T5_mT6_P12ihipStream_tbENKUlT_T0_E_clISt17integral_constantIbLb0EESW_EEDaSR_SS_EUlSR_E_NS1_11comp_targetILNS1_3genE10ELNS1_11target_archE1201ELNS1_3gpuE5ELNS1_3repE0EEENS1_30default_config_static_selectorELNS0_4arch9wavefront6targetE1EEEvT1_
    .private_segment_fixed_size: 0
    .sgpr_count:     4
    .sgpr_spill_count: 0
    .symbol:         _ZN7rocprim17ROCPRIM_400000_NS6detail17trampoline_kernelINS0_14default_configENS1_20scan_config_selectorI11FixedVectorIiLj1EEEEZZNS1_9scan_implILNS1_25lookback_scan_determinismE0ELb0ELb0ES3_N6thrust23THRUST_200600_302600_NS6detail15normal_iteratorINSB_10device_ptrIS6_EEEESG_S6_NSB_4plusIvEES6_EEDaPvRmT3_T4_T5_mT6_P12ihipStream_tbENKUlT_T0_E_clISt17integral_constantIbLb0EESW_EEDaSR_SS_EUlSR_E_NS1_11comp_targetILNS1_3genE10ELNS1_11target_archE1201ELNS1_3gpuE5ELNS1_3repE0EEENS1_30default_config_static_selectorELNS0_4arch9wavefront6targetE1EEEvT1_.kd
    .uniform_work_group_size: 1
    .uses_dynamic_stack: false
    .vgpr_count:     0
    .vgpr_spill_count: 0
    .wavefront_size: 64
  - .agpr_count:     0
    .args:
      - .offset:         0
        .size:           96
        .value_kind:     by_value
    .group_segment_fixed_size: 0
    .kernarg_segment_align: 8
    .kernarg_segment_size: 96
    .language:       OpenCL C
    .language_version:
      - 2
      - 0
    .max_flat_workgroup_size: 256
    .name:           _ZN7rocprim17ROCPRIM_400000_NS6detail17trampoline_kernelINS0_14default_configENS1_20scan_config_selectorI11FixedVectorIiLj1EEEEZZNS1_9scan_implILNS1_25lookback_scan_determinismE0ELb0ELb0ES3_N6thrust23THRUST_200600_302600_NS6detail15normal_iteratorINSB_10device_ptrIS6_EEEESG_S6_NSB_4plusIvEES6_EEDaPvRmT3_T4_T5_mT6_P12ihipStream_tbENKUlT_T0_E_clISt17integral_constantIbLb0EESW_EEDaSR_SS_EUlSR_E_NS1_11comp_targetILNS1_3genE10ELNS1_11target_archE1200ELNS1_3gpuE4ELNS1_3repE0EEENS1_30default_config_static_selectorELNS0_4arch9wavefront6targetE1EEEvT1_
    .private_segment_fixed_size: 0
    .sgpr_count:     4
    .sgpr_spill_count: 0
    .symbol:         _ZN7rocprim17ROCPRIM_400000_NS6detail17trampoline_kernelINS0_14default_configENS1_20scan_config_selectorI11FixedVectorIiLj1EEEEZZNS1_9scan_implILNS1_25lookback_scan_determinismE0ELb0ELb0ES3_N6thrust23THRUST_200600_302600_NS6detail15normal_iteratorINSB_10device_ptrIS6_EEEESG_S6_NSB_4plusIvEES6_EEDaPvRmT3_T4_T5_mT6_P12ihipStream_tbENKUlT_T0_E_clISt17integral_constantIbLb0EESW_EEDaSR_SS_EUlSR_E_NS1_11comp_targetILNS1_3genE10ELNS1_11target_archE1200ELNS1_3gpuE4ELNS1_3repE0EEENS1_30default_config_static_selectorELNS0_4arch9wavefront6targetE1EEEvT1_.kd
    .uniform_work_group_size: 1
    .uses_dynamic_stack: false
    .vgpr_count:     0
    .vgpr_spill_count: 0
    .wavefront_size: 64
  - .agpr_count:     0
    .args:
      - .offset:         0
        .size:           96
        .value_kind:     by_value
    .group_segment_fixed_size: 0
    .kernarg_segment_align: 8
    .kernarg_segment_size: 96
    .language:       OpenCL C
    .language_version:
      - 2
      - 0
    .max_flat_workgroup_size: 256
    .name:           _ZN7rocprim17ROCPRIM_400000_NS6detail17trampoline_kernelINS0_14default_configENS1_20scan_config_selectorI11FixedVectorIiLj1EEEEZZNS1_9scan_implILNS1_25lookback_scan_determinismE0ELb0ELb0ES3_N6thrust23THRUST_200600_302600_NS6detail15normal_iteratorINSB_10device_ptrIS6_EEEESG_S6_NSB_4plusIvEES6_EEDaPvRmT3_T4_T5_mT6_P12ihipStream_tbENKUlT_T0_E_clISt17integral_constantIbLb0EESW_EEDaSR_SS_EUlSR_E_NS1_11comp_targetILNS1_3genE9ELNS1_11target_archE1100ELNS1_3gpuE3ELNS1_3repE0EEENS1_30default_config_static_selectorELNS0_4arch9wavefront6targetE1EEEvT1_
    .private_segment_fixed_size: 0
    .sgpr_count:     4
    .sgpr_spill_count: 0
    .symbol:         _ZN7rocprim17ROCPRIM_400000_NS6detail17trampoline_kernelINS0_14default_configENS1_20scan_config_selectorI11FixedVectorIiLj1EEEEZZNS1_9scan_implILNS1_25lookback_scan_determinismE0ELb0ELb0ES3_N6thrust23THRUST_200600_302600_NS6detail15normal_iteratorINSB_10device_ptrIS6_EEEESG_S6_NSB_4plusIvEES6_EEDaPvRmT3_T4_T5_mT6_P12ihipStream_tbENKUlT_T0_E_clISt17integral_constantIbLb0EESW_EEDaSR_SS_EUlSR_E_NS1_11comp_targetILNS1_3genE9ELNS1_11target_archE1100ELNS1_3gpuE3ELNS1_3repE0EEENS1_30default_config_static_selectorELNS0_4arch9wavefront6targetE1EEEvT1_.kd
    .uniform_work_group_size: 1
    .uses_dynamic_stack: false
    .vgpr_count:     0
    .vgpr_spill_count: 0
    .wavefront_size: 64
  - .agpr_count:     0
    .args:
      - .offset:         0
        .size:           96
        .value_kind:     by_value
    .group_segment_fixed_size: 0
    .kernarg_segment_align: 8
    .kernarg_segment_size: 96
    .language:       OpenCL C
    .language_version:
      - 2
      - 0
    .max_flat_workgroup_size: 64
    .name:           _ZN7rocprim17ROCPRIM_400000_NS6detail17trampoline_kernelINS0_14default_configENS1_20scan_config_selectorI11FixedVectorIiLj1EEEEZZNS1_9scan_implILNS1_25lookback_scan_determinismE0ELb0ELb0ES3_N6thrust23THRUST_200600_302600_NS6detail15normal_iteratorINSB_10device_ptrIS6_EEEESG_S6_NSB_4plusIvEES6_EEDaPvRmT3_T4_T5_mT6_P12ihipStream_tbENKUlT_T0_E_clISt17integral_constantIbLb0EESW_EEDaSR_SS_EUlSR_E_NS1_11comp_targetILNS1_3genE8ELNS1_11target_archE1030ELNS1_3gpuE2ELNS1_3repE0EEENS1_30default_config_static_selectorELNS0_4arch9wavefront6targetE1EEEvT1_
    .private_segment_fixed_size: 0
    .sgpr_count:     4
    .sgpr_spill_count: 0
    .symbol:         _ZN7rocprim17ROCPRIM_400000_NS6detail17trampoline_kernelINS0_14default_configENS1_20scan_config_selectorI11FixedVectorIiLj1EEEEZZNS1_9scan_implILNS1_25lookback_scan_determinismE0ELb0ELb0ES3_N6thrust23THRUST_200600_302600_NS6detail15normal_iteratorINSB_10device_ptrIS6_EEEESG_S6_NSB_4plusIvEES6_EEDaPvRmT3_T4_T5_mT6_P12ihipStream_tbENKUlT_T0_E_clISt17integral_constantIbLb0EESW_EEDaSR_SS_EUlSR_E_NS1_11comp_targetILNS1_3genE8ELNS1_11target_archE1030ELNS1_3gpuE2ELNS1_3repE0EEENS1_30default_config_static_selectorELNS0_4arch9wavefront6targetE1EEEvT1_.kd
    .uniform_work_group_size: 1
    .uses_dynamic_stack: false
    .vgpr_count:     0
    .vgpr_spill_count: 0
    .wavefront_size: 64
  - .agpr_count:     0
    .args:
      - .offset:         0
        .size:           40
        .value_kind:     by_value
    .group_segment_fixed_size: 0
    .kernarg_segment_align: 8
    .kernarg_segment_size: 40
    .language:       OpenCL C
    .language_version:
      - 2
      - 0
    .max_flat_workgroup_size: 128
    .name:           _ZN7rocprim17ROCPRIM_400000_NS6detail17trampoline_kernelINS0_14default_configENS1_25transform_config_selectorI11FixedVectorIiLj1EELb1EEEZNS1_14transform_implILb1ES3_S7_PS6_S9_NS0_8identityIS6_EEEE10hipError_tT2_T3_mT4_P12ihipStream_tbEUlT_E_NS1_11comp_targetILNS1_3genE0ELNS1_11target_archE4294967295ELNS1_3gpuE0ELNS1_3repE0EEENS1_30default_config_static_selectorELNS0_4arch9wavefront6targetE1EEEvT1_
    .private_segment_fixed_size: 0
    .sgpr_count:     4
    .sgpr_spill_count: 0
    .symbol:         _ZN7rocprim17ROCPRIM_400000_NS6detail17trampoline_kernelINS0_14default_configENS1_25transform_config_selectorI11FixedVectorIiLj1EELb1EEEZNS1_14transform_implILb1ES3_S7_PS6_S9_NS0_8identityIS6_EEEE10hipError_tT2_T3_mT4_P12ihipStream_tbEUlT_E_NS1_11comp_targetILNS1_3genE0ELNS1_11target_archE4294967295ELNS1_3gpuE0ELNS1_3repE0EEENS1_30default_config_static_selectorELNS0_4arch9wavefront6targetE1EEEvT1_.kd
    .uniform_work_group_size: 1
    .uses_dynamic_stack: false
    .vgpr_count:     0
    .vgpr_spill_count: 0
    .wavefront_size: 64
  - .agpr_count:     0
    .args:
      - .offset:         0
        .size:           40
        .value_kind:     by_value
    .group_segment_fixed_size: 0
    .kernarg_segment_align: 8
    .kernarg_segment_size: 40
    .language:       OpenCL C
    .language_version:
      - 2
      - 0
    .max_flat_workgroup_size: 1024
    .name:           _ZN7rocprim17ROCPRIM_400000_NS6detail17trampoline_kernelINS0_14default_configENS1_25transform_config_selectorI11FixedVectorIiLj1EELb1EEEZNS1_14transform_implILb1ES3_S7_PS6_S9_NS0_8identityIS6_EEEE10hipError_tT2_T3_mT4_P12ihipStream_tbEUlT_E_NS1_11comp_targetILNS1_3genE10ELNS1_11target_archE1201ELNS1_3gpuE5ELNS1_3repE0EEENS1_30default_config_static_selectorELNS0_4arch9wavefront6targetE1EEEvT1_
    .private_segment_fixed_size: 0
    .sgpr_count:     4
    .sgpr_spill_count: 0
    .symbol:         _ZN7rocprim17ROCPRIM_400000_NS6detail17trampoline_kernelINS0_14default_configENS1_25transform_config_selectorI11FixedVectorIiLj1EELb1EEEZNS1_14transform_implILb1ES3_S7_PS6_S9_NS0_8identityIS6_EEEE10hipError_tT2_T3_mT4_P12ihipStream_tbEUlT_E_NS1_11comp_targetILNS1_3genE10ELNS1_11target_archE1201ELNS1_3gpuE5ELNS1_3repE0EEENS1_30default_config_static_selectorELNS0_4arch9wavefront6targetE1EEEvT1_.kd
    .uniform_work_group_size: 1
    .uses_dynamic_stack: false
    .vgpr_count:     0
    .vgpr_spill_count: 0
    .wavefront_size: 64
  - .agpr_count:     0
    .args:
      - .offset:         0
        .size:           40
        .value_kind:     by_value
    .group_segment_fixed_size: 0
    .kernarg_segment_align: 8
    .kernarg_segment_size: 40
    .language:       OpenCL C
    .language_version:
      - 2
      - 0
    .max_flat_workgroup_size: 256
    .name:           _ZN7rocprim17ROCPRIM_400000_NS6detail17trampoline_kernelINS0_14default_configENS1_25transform_config_selectorI11FixedVectorIiLj1EELb1EEEZNS1_14transform_implILb1ES3_S7_PS6_S9_NS0_8identityIS6_EEEE10hipError_tT2_T3_mT4_P12ihipStream_tbEUlT_E_NS1_11comp_targetILNS1_3genE5ELNS1_11target_archE942ELNS1_3gpuE9ELNS1_3repE0EEENS1_30default_config_static_selectorELNS0_4arch9wavefront6targetE1EEEvT1_
    .private_segment_fixed_size: 0
    .sgpr_count:     4
    .sgpr_spill_count: 0
    .symbol:         _ZN7rocprim17ROCPRIM_400000_NS6detail17trampoline_kernelINS0_14default_configENS1_25transform_config_selectorI11FixedVectorIiLj1EELb1EEEZNS1_14transform_implILb1ES3_S7_PS6_S9_NS0_8identityIS6_EEEE10hipError_tT2_T3_mT4_P12ihipStream_tbEUlT_E_NS1_11comp_targetILNS1_3genE5ELNS1_11target_archE942ELNS1_3gpuE9ELNS1_3repE0EEENS1_30default_config_static_selectorELNS0_4arch9wavefront6targetE1EEEvT1_.kd
    .uniform_work_group_size: 1
    .uses_dynamic_stack: false
    .vgpr_count:     0
    .vgpr_spill_count: 0
    .wavefront_size: 64
  - .agpr_count:     0
    .args:
      - .offset:         0
        .size:           40
        .value_kind:     by_value
      - .offset:         40
        .size:           4
        .value_kind:     hidden_block_count_x
      - .offset:         44
        .size:           4
        .value_kind:     hidden_block_count_y
      - .offset:         48
        .size:           4
        .value_kind:     hidden_block_count_z
      - .offset:         52
        .size:           2
        .value_kind:     hidden_group_size_x
      - .offset:         54
        .size:           2
        .value_kind:     hidden_group_size_y
      - .offset:         56
        .size:           2
        .value_kind:     hidden_group_size_z
      - .offset:         58
        .size:           2
        .value_kind:     hidden_remainder_x
      - .offset:         60
        .size:           2
        .value_kind:     hidden_remainder_y
      - .offset:         62
        .size:           2
        .value_kind:     hidden_remainder_z
      - .offset:         80
        .size:           8
        .value_kind:     hidden_global_offset_x
      - .offset:         88
        .size:           8
        .value_kind:     hidden_global_offset_y
      - .offset:         96
        .size:           8
        .value_kind:     hidden_global_offset_z
      - .offset:         104
        .size:           2
        .value_kind:     hidden_grid_dims
    .group_segment_fixed_size: 0
    .kernarg_segment_align: 8
    .kernarg_segment_size: 296
    .language:       OpenCL C
    .language_version:
      - 2
      - 0
    .max_flat_workgroup_size: 1024
    .name:           _ZN7rocprim17ROCPRIM_400000_NS6detail17trampoline_kernelINS0_14default_configENS1_25transform_config_selectorI11FixedVectorIiLj1EELb1EEEZNS1_14transform_implILb1ES3_S7_PS6_S9_NS0_8identityIS6_EEEE10hipError_tT2_T3_mT4_P12ihipStream_tbEUlT_E_NS1_11comp_targetILNS1_3genE4ELNS1_11target_archE910ELNS1_3gpuE8ELNS1_3repE0EEENS1_30default_config_static_selectorELNS0_4arch9wavefront6targetE1EEEvT1_
    .private_segment_fixed_size: 0
    .sgpr_count:     20
    .sgpr_spill_count: 0
    .symbol:         _ZN7rocprim17ROCPRIM_400000_NS6detail17trampoline_kernelINS0_14default_configENS1_25transform_config_selectorI11FixedVectorIiLj1EELb1EEEZNS1_14transform_implILb1ES3_S7_PS6_S9_NS0_8identityIS6_EEEE10hipError_tT2_T3_mT4_P12ihipStream_tbEUlT_E_NS1_11comp_targetILNS1_3genE4ELNS1_11target_archE910ELNS1_3gpuE8ELNS1_3repE0EEENS1_30default_config_static_selectorELNS0_4arch9wavefront6targetE1EEEvT1_.kd
    .uniform_work_group_size: 1
    .uses_dynamic_stack: false
    .vgpr_count:     8
    .vgpr_spill_count: 0
    .wavefront_size: 64
  - .agpr_count:     0
    .args:
      - .offset:         0
        .size:           40
        .value_kind:     by_value
    .group_segment_fixed_size: 0
    .kernarg_segment_align: 8
    .kernarg_segment_size: 40
    .language:       OpenCL C
    .language_version:
      - 2
      - 0
    .max_flat_workgroup_size: 128
    .name:           _ZN7rocprim17ROCPRIM_400000_NS6detail17trampoline_kernelINS0_14default_configENS1_25transform_config_selectorI11FixedVectorIiLj1EELb1EEEZNS1_14transform_implILb1ES3_S7_PS6_S9_NS0_8identityIS6_EEEE10hipError_tT2_T3_mT4_P12ihipStream_tbEUlT_E_NS1_11comp_targetILNS1_3genE3ELNS1_11target_archE908ELNS1_3gpuE7ELNS1_3repE0EEENS1_30default_config_static_selectorELNS0_4arch9wavefront6targetE1EEEvT1_
    .private_segment_fixed_size: 0
    .sgpr_count:     4
    .sgpr_spill_count: 0
    .symbol:         _ZN7rocprim17ROCPRIM_400000_NS6detail17trampoline_kernelINS0_14default_configENS1_25transform_config_selectorI11FixedVectorIiLj1EELb1EEEZNS1_14transform_implILb1ES3_S7_PS6_S9_NS0_8identityIS6_EEEE10hipError_tT2_T3_mT4_P12ihipStream_tbEUlT_E_NS1_11comp_targetILNS1_3genE3ELNS1_11target_archE908ELNS1_3gpuE7ELNS1_3repE0EEENS1_30default_config_static_selectorELNS0_4arch9wavefront6targetE1EEEvT1_.kd
    .uniform_work_group_size: 1
    .uses_dynamic_stack: false
    .vgpr_count:     0
    .vgpr_spill_count: 0
    .wavefront_size: 64
  - .agpr_count:     0
    .args:
      - .offset:         0
        .size:           40
        .value_kind:     by_value
    .group_segment_fixed_size: 0
    .kernarg_segment_align: 8
    .kernarg_segment_size: 40
    .language:       OpenCL C
    .language_version:
      - 2
      - 0
    .max_flat_workgroup_size: 1024
    .name:           _ZN7rocprim17ROCPRIM_400000_NS6detail17trampoline_kernelINS0_14default_configENS1_25transform_config_selectorI11FixedVectorIiLj1EELb1EEEZNS1_14transform_implILb1ES3_S7_PS6_S9_NS0_8identityIS6_EEEE10hipError_tT2_T3_mT4_P12ihipStream_tbEUlT_E_NS1_11comp_targetILNS1_3genE2ELNS1_11target_archE906ELNS1_3gpuE6ELNS1_3repE0EEENS1_30default_config_static_selectorELNS0_4arch9wavefront6targetE1EEEvT1_
    .private_segment_fixed_size: 0
    .sgpr_count:     4
    .sgpr_spill_count: 0
    .symbol:         _ZN7rocprim17ROCPRIM_400000_NS6detail17trampoline_kernelINS0_14default_configENS1_25transform_config_selectorI11FixedVectorIiLj1EELb1EEEZNS1_14transform_implILb1ES3_S7_PS6_S9_NS0_8identityIS6_EEEE10hipError_tT2_T3_mT4_P12ihipStream_tbEUlT_E_NS1_11comp_targetILNS1_3genE2ELNS1_11target_archE906ELNS1_3gpuE6ELNS1_3repE0EEENS1_30default_config_static_selectorELNS0_4arch9wavefront6targetE1EEEvT1_.kd
    .uniform_work_group_size: 1
    .uses_dynamic_stack: false
    .vgpr_count:     0
    .vgpr_spill_count: 0
    .wavefront_size: 64
  - .agpr_count:     0
    .args:
      - .offset:         0
        .size:           40
        .value_kind:     by_value
    .group_segment_fixed_size: 0
    .kernarg_segment_align: 8
    .kernarg_segment_size: 40
    .language:       OpenCL C
    .language_version:
      - 2
      - 0
    .max_flat_workgroup_size: 1024
    .name:           _ZN7rocprim17ROCPRIM_400000_NS6detail17trampoline_kernelINS0_14default_configENS1_25transform_config_selectorI11FixedVectorIiLj1EELb1EEEZNS1_14transform_implILb1ES3_S7_PS6_S9_NS0_8identityIS6_EEEE10hipError_tT2_T3_mT4_P12ihipStream_tbEUlT_E_NS1_11comp_targetILNS1_3genE9ELNS1_11target_archE1100ELNS1_3gpuE3ELNS1_3repE0EEENS1_30default_config_static_selectorELNS0_4arch9wavefront6targetE1EEEvT1_
    .private_segment_fixed_size: 0
    .sgpr_count:     4
    .sgpr_spill_count: 0
    .symbol:         _ZN7rocprim17ROCPRIM_400000_NS6detail17trampoline_kernelINS0_14default_configENS1_25transform_config_selectorI11FixedVectorIiLj1EELb1EEEZNS1_14transform_implILb1ES3_S7_PS6_S9_NS0_8identityIS6_EEEE10hipError_tT2_T3_mT4_P12ihipStream_tbEUlT_E_NS1_11comp_targetILNS1_3genE9ELNS1_11target_archE1100ELNS1_3gpuE3ELNS1_3repE0EEENS1_30default_config_static_selectorELNS0_4arch9wavefront6targetE1EEEvT1_.kd
    .uniform_work_group_size: 1
    .uses_dynamic_stack: false
    .vgpr_count:     0
    .vgpr_spill_count: 0
    .wavefront_size: 64
  - .agpr_count:     0
    .args:
      - .offset:         0
        .size:           40
        .value_kind:     by_value
    .group_segment_fixed_size: 0
    .kernarg_segment_align: 8
    .kernarg_segment_size: 40
    .language:       OpenCL C
    .language_version:
      - 2
      - 0
    .max_flat_workgroup_size: 1024
    .name:           _ZN7rocprim17ROCPRIM_400000_NS6detail17trampoline_kernelINS0_14default_configENS1_25transform_config_selectorI11FixedVectorIiLj1EELb1EEEZNS1_14transform_implILb1ES3_S7_PS6_S9_NS0_8identityIS6_EEEE10hipError_tT2_T3_mT4_P12ihipStream_tbEUlT_E_NS1_11comp_targetILNS1_3genE8ELNS1_11target_archE1030ELNS1_3gpuE2ELNS1_3repE0EEENS1_30default_config_static_selectorELNS0_4arch9wavefront6targetE1EEEvT1_
    .private_segment_fixed_size: 0
    .sgpr_count:     4
    .sgpr_spill_count: 0
    .symbol:         _ZN7rocprim17ROCPRIM_400000_NS6detail17trampoline_kernelINS0_14default_configENS1_25transform_config_selectorI11FixedVectorIiLj1EELb1EEEZNS1_14transform_implILb1ES3_S7_PS6_S9_NS0_8identityIS6_EEEE10hipError_tT2_T3_mT4_P12ihipStream_tbEUlT_E_NS1_11comp_targetILNS1_3genE8ELNS1_11target_archE1030ELNS1_3gpuE2ELNS1_3repE0EEENS1_30default_config_static_selectorELNS0_4arch9wavefront6targetE1EEEvT1_.kd
    .uniform_work_group_size: 1
    .uses_dynamic_stack: false
    .vgpr_count:     0
    .vgpr_spill_count: 0
    .wavefront_size: 64
  - .agpr_count:     0
    .args:
      - .offset:         0
        .size:           32
        .value_kind:     by_value
    .group_segment_fixed_size: 0
    .kernarg_segment_align: 8
    .kernarg_segment_size: 32
    .language:       OpenCL C
    .language_version:
      - 2
      - 0
    .max_flat_workgroup_size: 256
    .name:           _ZN7rocprim17ROCPRIM_400000_NS6detail17trampoline_kernelINS0_14default_configENS1_20scan_config_selectorI11FixedVectorIiLj1EEEEZZNS1_9scan_implILNS1_25lookback_scan_determinismE0ELb0ELb0ES3_N6thrust23THRUST_200600_302600_NS6detail15normal_iteratorINSB_10device_ptrIS6_EEEESG_S6_NSB_4plusIvEES6_EEDaPvRmT3_T4_T5_mT6_P12ihipStream_tbENKUlT_T0_E_clISt17integral_constantIbLb0EESW_EEDaSR_SS_EUlSR_E0_NS1_11comp_targetILNS1_3genE0ELNS1_11target_archE4294967295ELNS1_3gpuE0ELNS1_3repE0EEENS1_30default_config_static_selectorELNS0_4arch9wavefront6targetE1EEEvT1_
    .private_segment_fixed_size: 0
    .sgpr_count:     4
    .sgpr_spill_count: 0
    .symbol:         _ZN7rocprim17ROCPRIM_400000_NS6detail17trampoline_kernelINS0_14default_configENS1_20scan_config_selectorI11FixedVectorIiLj1EEEEZZNS1_9scan_implILNS1_25lookback_scan_determinismE0ELb0ELb0ES3_N6thrust23THRUST_200600_302600_NS6detail15normal_iteratorINSB_10device_ptrIS6_EEEESG_S6_NSB_4plusIvEES6_EEDaPvRmT3_T4_T5_mT6_P12ihipStream_tbENKUlT_T0_E_clISt17integral_constantIbLb0EESW_EEDaSR_SS_EUlSR_E0_NS1_11comp_targetILNS1_3genE0ELNS1_11target_archE4294967295ELNS1_3gpuE0ELNS1_3repE0EEENS1_30default_config_static_selectorELNS0_4arch9wavefront6targetE1EEEvT1_.kd
    .uniform_work_group_size: 1
    .uses_dynamic_stack: false
    .vgpr_count:     0
    .vgpr_spill_count: 0
    .wavefront_size: 64
  - .agpr_count:     0
    .args:
      - .offset:         0
        .size:           32
        .value_kind:     by_value
    .group_segment_fixed_size: 0
    .kernarg_segment_align: 8
    .kernarg_segment_size: 32
    .language:       OpenCL C
    .language_version:
      - 2
      - 0
    .max_flat_workgroup_size: 256
    .name:           _ZN7rocprim17ROCPRIM_400000_NS6detail17trampoline_kernelINS0_14default_configENS1_20scan_config_selectorI11FixedVectorIiLj1EEEEZZNS1_9scan_implILNS1_25lookback_scan_determinismE0ELb0ELb0ES3_N6thrust23THRUST_200600_302600_NS6detail15normal_iteratorINSB_10device_ptrIS6_EEEESG_S6_NSB_4plusIvEES6_EEDaPvRmT3_T4_T5_mT6_P12ihipStream_tbENKUlT_T0_E_clISt17integral_constantIbLb0EESW_EEDaSR_SS_EUlSR_E0_NS1_11comp_targetILNS1_3genE5ELNS1_11target_archE942ELNS1_3gpuE9ELNS1_3repE0EEENS1_30default_config_static_selectorELNS0_4arch9wavefront6targetE1EEEvT1_
    .private_segment_fixed_size: 0
    .sgpr_count:     4
    .sgpr_spill_count: 0
    .symbol:         _ZN7rocprim17ROCPRIM_400000_NS6detail17trampoline_kernelINS0_14default_configENS1_20scan_config_selectorI11FixedVectorIiLj1EEEEZZNS1_9scan_implILNS1_25lookback_scan_determinismE0ELb0ELb0ES3_N6thrust23THRUST_200600_302600_NS6detail15normal_iteratorINSB_10device_ptrIS6_EEEESG_S6_NSB_4plusIvEES6_EEDaPvRmT3_T4_T5_mT6_P12ihipStream_tbENKUlT_T0_E_clISt17integral_constantIbLb0EESW_EEDaSR_SS_EUlSR_E0_NS1_11comp_targetILNS1_3genE5ELNS1_11target_archE942ELNS1_3gpuE9ELNS1_3repE0EEENS1_30default_config_static_selectorELNS0_4arch9wavefront6targetE1EEEvT1_.kd
    .uniform_work_group_size: 1
    .uses_dynamic_stack: false
    .vgpr_count:     0
    .vgpr_spill_count: 0
    .wavefront_size: 64
  - .agpr_count:     0
    .args:
      - .offset:         0
        .size:           32
        .value_kind:     by_value
    .group_segment_fixed_size: 5120
    .kernarg_segment_align: 8
    .kernarg_segment_size: 32
    .language:       OpenCL C
    .language_version:
      - 2
      - 0
    .max_flat_workgroup_size: 128
    .name:           _ZN7rocprim17ROCPRIM_400000_NS6detail17trampoline_kernelINS0_14default_configENS1_20scan_config_selectorI11FixedVectorIiLj1EEEEZZNS1_9scan_implILNS1_25lookback_scan_determinismE0ELb0ELb0ES3_N6thrust23THRUST_200600_302600_NS6detail15normal_iteratorINSB_10device_ptrIS6_EEEESG_S6_NSB_4plusIvEES6_EEDaPvRmT3_T4_T5_mT6_P12ihipStream_tbENKUlT_T0_E_clISt17integral_constantIbLb0EESW_EEDaSR_SS_EUlSR_E0_NS1_11comp_targetILNS1_3genE4ELNS1_11target_archE910ELNS1_3gpuE8ELNS1_3repE0EEENS1_30default_config_static_selectorELNS0_4arch9wavefront6targetE1EEEvT1_
    .private_segment_fixed_size: 0
    .sgpr_count:     28
    .sgpr_spill_count: 0
    .symbol:         _ZN7rocprim17ROCPRIM_400000_NS6detail17trampoline_kernelINS0_14default_configENS1_20scan_config_selectorI11FixedVectorIiLj1EEEEZZNS1_9scan_implILNS1_25lookback_scan_determinismE0ELb0ELb0ES3_N6thrust23THRUST_200600_302600_NS6detail15normal_iteratorINSB_10device_ptrIS6_EEEESG_S6_NSB_4plusIvEES6_EEDaPvRmT3_T4_T5_mT6_P12ihipStream_tbENKUlT_T0_E_clISt17integral_constantIbLb0EESW_EEDaSR_SS_EUlSR_E0_NS1_11comp_targetILNS1_3genE4ELNS1_11target_archE910ELNS1_3gpuE8ELNS1_3repE0EEENS1_30default_config_static_selectorELNS0_4arch9wavefront6targetE1EEEvT1_.kd
    .uniform_work_group_size: 1
    .uses_dynamic_stack: false
    .vgpr_count:     27
    .vgpr_spill_count: 0
    .wavefront_size: 64
  - .agpr_count:     0
    .args:
      - .offset:         0
        .size:           32
        .value_kind:     by_value
    .group_segment_fixed_size: 0
    .kernarg_segment_align: 8
    .kernarg_segment_size: 32
    .language:       OpenCL C
    .language_version:
      - 2
      - 0
    .max_flat_workgroup_size: 256
    .name:           _ZN7rocprim17ROCPRIM_400000_NS6detail17trampoline_kernelINS0_14default_configENS1_20scan_config_selectorI11FixedVectorIiLj1EEEEZZNS1_9scan_implILNS1_25lookback_scan_determinismE0ELb0ELb0ES3_N6thrust23THRUST_200600_302600_NS6detail15normal_iteratorINSB_10device_ptrIS6_EEEESG_S6_NSB_4plusIvEES6_EEDaPvRmT3_T4_T5_mT6_P12ihipStream_tbENKUlT_T0_E_clISt17integral_constantIbLb0EESW_EEDaSR_SS_EUlSR_E0_NS1_11comp_targetILNS1_3genE3ELNS1_11target_archE908ELNS1_3gpuE7ELNS1_3repE0EEENS1_30default_config_static_selectorELNS0_4arch9wavefront6targetE1EEEvT1_
    .private_segment_fixed_size: 0
    .sgpr_count:     4
    .sgpr_spill_count: 0
    .symbol:         _ZN7rocprim17ROCPRIM_400000_NS6detail17trampoline_kernelINS0_14default_configENS1_20scan_config_selectorI11FixedVectorIiLj1EEEEZZNS1_9scan_implILNS1_25lookback_scan_determinismE0ELb0ELb0ES3_N6thrust23THRUST_200600_302600_NS6detail15normal_iteratorINSB_10device_ptrIS6_EEEESG_S6_NSB_4plusIvEES6_EEDaPvRmT3_T4_T5_mT6_P12ihipStream_tbENKUlT_T0_E_clISt17integral_constantIbLb0EESW_EEDaSR_SS_EUlSR_E0_NS1_11comp_targetILNS1_3genE3ELNS1_11target_archE908ELNS1_3gpuE7ELNS1_3repE0EEENS1_30default_config_static_selectorELNS0_4arch9wavefront6targetE1EEEvT1_.kd
    .uniform_work_group_size: 1
    .uses_dynamic_stack: false
    .vgpr_count:     0
    .vgpr_spill_count: 0
    .wavefront_size: 64
  - .agpr_count:     0
    .args:
      - .offset:         0
        .size:           32
        .value_kind:     by_value
    .group_segment_fixed_size: 0
    .kernarg_segment_align: 8
    .kernarg_segment_size: 32
    .language:       OpenCL C
    .language_version:
      - 2
      - 0
    .max_flat_workgroup_size: 256
    .name:           _ZN7rocprim17ROCPRIM_400000_NS6detail17trampoline_kernelINS0_14default_configENS1_20scan_config_selectorI11FixedVectorIiLj1EEEEZZNS1_9scan_implILNS1_25lookback_scan_determinismE0ELb0ELb0ES3_N6thrust23THRUST_200600_302600_NS6detail15normal_iteratorINSB_10device_ptrIS6_EEEESG_S6_NSB_4plusIvEES6_EEDaPvRmT3_T4_T5_mT6_P12ihipStream_tbENKUlT_T0_E_clISt17integral_constantIbLb0EESW_EEDaSR_SS_EUlSR_E0_NS1_11comp_targetILNS1_3genE2ELNS1_11target_archE906ELNS1_3gpuE6ELNS1_3repE0EEENS1_30default_config_static_selectorELNS0_4arch9wavefront6targetE1EEEvT1_
    .private_segment_fixed_size: 0
    .sgpr_count:     4
    .sgpr_spill_count: 0
    .symbol:         _ZN7rocprim17ROCPRIM_400000_NS6detail17trampoline_kernelINS0_14default_configENS1_20scan_config_selectorI11FixedVectorIiLj1EEEEZZNS1_9scan_implILNS1_25lookback_scan_determinismE0ELb0ELb0ES3_N6thrust23THRUST_200600_302600_NS6detail15normal_iteratorINSB_10device_ptrIS6_EEEESG_S6_NSB_4plusIvEES6_EEDaPvRmT3_T4_T5_mT6_P12ihipStream_tbENKUlT_T0_E_clISt17integral_constantIbLb0EESW_EEDaSR_SS_EUlSR_E0_NS1_11comp_targetILNS1_3genE2ELNS1_11target_archE906ELNS1_3gpuE6ELNS1_3repE0EEENS1_30default_config_static_selectorELNS0_4arch9wavefront6targetE1EEEvT1_.kd
    .uniform_work_group_size: 1
    .uses_dynamic_stack: false
    .vgpr_count:     0
    .vgpr_spill_count: 0
    .wavefront_size: 64
  - .agpr_count:     0
    .args:
      - .offset:         0
        .size:           32
        .value_kind:     by_value
    .group_segment_fixed_size: 0
    .kernarg_segment_align: 8
    .kernarg_segment_size: 32
    .language:       OpenCL C
    .language_version:
      - 2
      - 0
    .max_flat_workgroup_size: 256
    .name:           _ZN7rocprim17ROCPRIM_400000_NS6detail17trampoline_kernelINS0_14default_configENS1_20scan_config_selectorI11FixedVectorIiLj1EEEEZZNS1_9scan_implILNS1_25lookback_scan_determinismE0ELb0ELb0ES3_N6thrust23THRUST_200600_302600_NS6detail15normal_iteratorINSB_10device_ptrIS6_EEEESG_S6_NSB_4plusIvEES6_EEDaPvRmT3_T4_T5_mT6_P12ihipStream_tbENKUlT_T0_E_clISt17integral_constantIbLb0EESW_EEDaSR_SS_EUlSR_E0_NS1_11comp_targetILNS1_3genE10ELNS1_11target_archE1201ELNS1_3gpuE5ELNS1_3repE0EEENS1_30default_config_static_selectorELNS0_4arch9wavefront6targetE1EEEvT1_
    .private_segment_fixed_size: 0
    .sgpr_count:     4
    .sgpr_spill_count: 0
    .symbol:         _ZN7rocprim17ROCPRIM_400000_NS6detail17trampoline_kernelINS0_14default_configENS1_20scan_config_selectorI11FixedVectorIiLj1EEEEZZNS1_9scan_implILNS1_25lookback_scan_determinismE0ELb0ELb0ES3_N6thrust23THRUST_200600_302600_NS6detail15normal_iteratorINSB_10device_ptrIS6_EEEESG_S6_NSB_4plusIvEES6_EEDaPvRmT3_T4_T5_mT6_P12ihipStream_tbENKUlT_T0_E_clISt17integral_constantIbLb0EESW_EEDaSR_SS_EUlSR_E0_NS1_11comp_targetILNS1_3genE10ELNS1_11target_archE1201ELNS1_3gpuE5ELNS1_3repE0EEENS1_30default_config_static_selectorELNS0_4arch9wavefront6targetE1EEEvT1_.kd
    .uniform_work_group_size: 1
    .uses_dynamic_stack: false
    .vgpr_count:     0
    .vgpr_spill_count: 0
    .wavefront_size: 64
  - .agpr_count:     0
    .args:
      - .offset:         0
        .size:           32
        .value_kind:     by_value
    .group_segment_fixed_size: 0
    .kernarg_segment_align: 8
    .kernarg_segment_size: 32
    .language:       OpenCL C
    .language_version:
      - 2
      - 0
    .max_flat_workgroup_size: 256
    .name:           _ZN7rocprim17ROCPRIM_400000_NS6detail17trampoline_kernelINS0_14default_configENS1_20scan_config_selectorI11FixedVectorIiLj1EEEEZZNS1_9scan_implILNS1_25lookback_scan_determinismE0ELb0ELb0ES3_N6thrust23THRUST_200600_302600_NS6detail15normal_iteratorINSB_10device_ptrIS6_EEEESG_S6_NSB_4plusIvEES6_EEDaPvRmT3_T4_T5_mT6_P12ihipStream_tbENKUlT_T0_E_clISt17integral_constantIbLb0EESW_EEDaSR_SS_EUlSR_E0_NS1_11comp_targetILNS1_3genE10ELNS1_11target_archE1200ELNS1_3gpuE4ELNS1_3repE0EEENS1_30default_config_static_selectorELNS0_4arch9wavefront6targetE1EEEvT1_
    .private_segment_fixed_size: 0
    .sgpr_count:     4
    .sgpr_spill_count: 0
    .symbol:         _ZN7rocprim17ROCPRIM_400000_NS6detail17trampoline_kernelINS0_14default_configENS1_20scan_config_selectorI11FixedVectorIiLj1EEEEZZNS1_9scan_implILNS1_25lookback_scan_determinismE0ELb0ELb0ES3_N6thrust23THRUST_200600_302600_NS6detail15normal_iteratorINSB_10device_ptrIS6_EEEESG_S6_NSB_4plusIvEES6_EEDaPvRmT3_T4_T5_mT6_P12ihipStream_tbENKUlT_T0_E_clISt17integral_constantIbLb0EESW_EEDaSR_SS_EUlSR_E0_NS1_11comp_targetILNS1_3genE10ELNS1_11target_archE1200ELNS1_3gpuE4ELNS1_3repE0EEENS1_30default_config_static_selectorELNS0_4arch9wavefront6targetE1EEEvT1_.kd
    .uniform_work_group_size: 1
    .uses_dynamic_stack: false
    .vgpr_count:     0
    .vgpr_spill_count: 0
    .wavefront_size: 64
  - .agpr_count:     0
    .args:
      - .offset:         0
        .size:           32
        .value_kind:     by_value
    .group_segment_fixed_size: 0
    .kernarg_segment_align: 8
    .kernarg_segment_size: 32
    .language:       OpenCL C
    .language_version:
      - 2
      - 0
    .max_flat_workgroup_size: 256
    .name:           _ZN7rocprim17ROCPRIM_400000_NS6detail17trampoline_kernelINS0_14default_configENS1_20scan_config_selectorI11FixedVectorIiLj1EEEEZZNS1_9scan_implILNS1_25lookback_scan_determinismE0ELb0ELb0ES3_N6thrust23THRUST_200600_302600_NS6detail15normal_iteratorINSB_10device_ptrIS6_EEEESG_S6_NSB_4plusIvEES6_EEDaPvRmT3_T4_T5_mT6_P12ihipStream_tbENKUlT_T0_E_clISt17integral_constantIbLb0EESW_EEDaSR_SS_EUlSR_E0_NS1_11comp_targetILNS1_3genE9ELNS1_11target_archE1100ELNS1_3gpuE3ELNS1_3repE0EEENS1_30default_config_static_selectorELNS0_4arch9wavefront6targetE1EEEvT1_
    .private_segment_fixed_size: 0
    .sgpr_count:     4
    .sgpr_spill_count: 0
    .symbol:         _ZN7rocprim17ROCPRIM_400000_NS6detail17trampoline_kernelINS0_14default_configENS1_20scan_config_selectorI11FixedVectorIiLj1EEEEZZNS1_9scan_implILNS1_25lookback_scan_determinismE0ELb0ELb0ES3_N6thrust23THRUST_200600_302600_NS6detail15normal_iteratorINSB_10device_ptrIS6_EEEESG_S6_NSB_4plusIvEES6_EEDaPvRmT3_T4_T5_mT6_P12ihipStream_tbENKUlT_T0_E_clISt17integral_constantIbLb0EESW_EEDaSR_SS_EUlSR_E0_NS1_11comp_targetILNS1_3genE9ELNS1_11target_archE1100ELNS1_3gpuE3ELNS1_3repE0EEENS1_30default_config_static_selectorELNS0_4arch9wavefront6targetE1EEEvT1_.kd
    .uniform_work_group_size: 1
    .uses_dynamic_stack: false
    .vgpr_count:     0
    .vgpr_spill_count: 0
    .wavefront_size: 64
  - .agpr_count:     0
    .args:
      - .offset:         0
        .size:           32
        .value_kind:     by_value
    .group_segment_fixed_size: 0
    .kernarg_segment_align: 8
    .kernarg_segment_size: 32
    .language:       OpenCL C
    .language_version:
      - 2
      - 0
    .max_flat_workgroup_size: 64
    .name:           _ZN7rocprim17ROCPRIM_400000_NS6detail17trampoline_kernelINS0_14default_configENS1_20scan_config_selectorI11FixedVectorIiLj1EEEEZZNS1_9scan_implILNS1_25lookback_scan_determinismE0ELb0ELb0ES3_N6thrust23THRUST_200600_302600_NS6detail15normal_iteratorINSB_10device_ptrIS6_EEEESG_S6_NSB_4plusIvEES6_EEDaPvRmT3_T4_T5_mT6_P12ihipStream_tbENKUlT_T0_E_clISt17integral_constantIbLb0EESW_EEDaSR_SS_EUlSR_E0_NS1_11comp_targetILNS1_3genE8ELNS1_11target_archE1030ELNS1_3gpuE2ELNS1_3repE0EEENS1_30default_config_static_selectorELNS0_4arch9wavefront6targetE1EEEvT1_
    .private_segment_fixed_size: 0
    .sgpr_count:     4
    .sgpr_spill_count: 0
    .symbol:         _ZN7rocprim17ROCPRIM_400000_NS6detail17trampoline_kernelINS0_14default_configENS1_20scan_config_selectorI11FixedVectorIiLj1EEEEZZNS1_9scan_implILNS1_25lookback_scan_determinismE0ELb0ELb0ES3_N6thrust23THRUST_200600_302600_NS6detail15normal_iteratorINSB_10device_ptrIS6_EEEESG_S6_NSB_4plusIvEES6_EEDaPvRmT3_T4_T5_mT6_P12ihipStream_tbENKUlT_T0_E_clISt17integral_constantIbLb0EESW_EEDaSR_SS_EUlSR_E0_NS1_11comp_targetILNS1_3genE8ELNS1_11target_archE1030ELNS1_3gpuE2ELNS1_3repE0EEENS1_30default_config_static_selectorELNS0_4arch9wavefront6targetE1EEEvT1_.kd
    .uniform_work_group_size: 1
    .uses_dynamic_stack: false
    .vgpr_count:     0
    .vgpr_spill_count: 0
    .wavefront_size: 64
  - .agpr_count:     0
    .args:
      - .address_space:  global
        .offset:         0
        .size:           8
        .value_kind:     global_buffer
      - .offset:         8
        .size:           4
        .value_kind:     by_value
      - .address_space:  global
        .offset:         16
        .size:           8
        .value_kind:     global_buffer
      - .offset:         24
        .size:           4
        .value_kind:     by_value
      - .address_space:  global
        .offset:         32
        .size:           8
        .value_kind:     global_buffer
      - .offset:         40
        .size:           4
        .value_kind:     hidden_block_count_x
      - .offset:         44
        .size:           4
        .value_kind:     hidden_block_count_y
      - .offset:         48
        .size:           4
        .value_kind:     hidden_block_count_z
      - .offset:         52
        .size:           2
        .value_kind:     hidden_group_size_x
      - .offset:         54
        .size:           2
        .value_kind:     hidden_group_size_y
      - .offset:         56
        .size:           2
        .value_kind:     hidden_group_size_z
      - .offset:         58
        .size:           2
        .value_kind:     hidden_remainder_x
      - .offset:         60
        .size:           2
        .value_kind:     hidden_remainder_y
      - .offset:         62
        .size:           2
        .value_kind:     hidden_remainder_z
      - .offset:         80
        .size:           8
        .value_kind:     hidden_global_offset_x
      - .offset:         88
        .size:           8
        .value_kind:     hidden_global_offset_y
      - .offset:         96
        .size:           8
        .value_kind:     hidden_global_offset_z
      - .offset:         104
        .size:           2
        .value_kind:     hidden_grid_dims
    .group_segment_fixed_size: 0
    .kernarg_segment_align: 8
    .kernarg_segment_size: 296
    .language:       OpenCL C
    .language_version:
      - 2
      - 0
    .max_flat_workgroup_size: 256
    .name:           _ZN7rocprim17ROCPRIM_400000_NS6detail31init_lookback_scan_state_kernelINS1_19lookback_scan_stateI11FixedVectorIiLj1EELb1ELb1EEENS1_16block_id_wrapperIjLb1EEEEEvT_jT0_jPNS9_10value_typeE
    .private_segment_fixed_size: 0
    .sgpr_count:     18
    .sgpr_spill_count: 0
    .symbol:         _ZN7rocprim17ROCPRIM_400000_NS6detail31init_lookback_scan_state_kernelINS1_19lookback_scan_stateI11FixedVectorIiLj1EELb1ELb1EEENS1_16block_id_wrapperIjLb1EEEEEvT_jT0_jPNS9_10value_typeE.kd
    .uniform_work_group_size: 1
    .uses_dynamic_stack: false
    .vgpr_count:     6
    .vgpr_spill_count: 0
    .wavefront_size: 64
  - .agpr_count:     0
    .args:
      - .offset:         0
        .size:           96
        .value_kind:     by_value
    .group_segment_fixed_size: 0
    .kernarg_segment_align: 8
    .kernarg_segment_size: 96
    .language:       OpenCL C
    .language_version:
      - 2
      - 0
    .max_flat_workgroup_size: 256
    .name:           _ZN7rocprim17ROCPRIM_400000_NS6detail17trampoline_kernelINS0_14default_configENS1_20scan_config_selectorI11FixedVectorIiLj1EEEEZZNS1_9scan_implILNS1_25lookback_scan_determinismE0ELb0ELb0ES3_N6thrust23THRUST_200600_302600_NS6detail15normal_iteratorINSB_10device_ptrIS6_EEEESG_S6_NSB_4plusIvEES6_EEDaPvRmT3_T4_T5_mT6_P12ihipStream_tbENKUlT_T0_E_clISt17integral_constantIbLb1EESW_EEDaSR_SS_EUlSR_E_NS1_11comp_targetILNS1_3genE0ELNS1_11target_archE4294967295ELNS1_3gpuE0ELNS1_3repE0EEENS1_30default_config_static_selectorELNS0_4arch9wavefront6targetE1EEEvT1_
    .private_segment_fixed_size: 0
    .sgpr_count:     4
    .sgpr_spill_count: 0
    .symbol:         _ZN7rocprim17ROCPRIM_400000_NS6detail17trampoline_kernelINS0_14default_configENS1_20scan_config_selectorI11FixedVectorIiLj1EEEEZZNS1_9scan_implILNS1_25lookback_scan_determinismE0ELb0ELb0ES3_N6thrust23THRUST_200600_302600_NS6detail15normal_iteratorINSB_10device_ptrIS6_EEEESG_S6_NSB_4plusIvEES6_EEDaPvRmT3_T4_T5_mT6_P12ihipStream_tbENKUlT_T0_E_clISt17integral_constantIbLb1EESW_EEDaSR_SS_EUlSR_E_NS1_11comp_targetILNS1_3genE0ELNS1_11target_archE4294967295ELNS1_3gpuE0ELNS1_3repE0EEENS1_30default_config_static_selectorELNS0_4arch9wavefront6targetE1EEEvT1_.kd
    .uniform_work_group_size: 1
    .uses_dynamic_stack: false
    .vgpr_count:     0
    .vgpr_spill_count: 0
    .wavefront_size: 64
  - .agpr_count:     0
    .args:
      - .offset:         0
        .size:           96
        .value_kind:     by_value
    .group_segment_fixed_size: 0
    .kernarg_segment_align: 8
    .kernarg_segment_size: 96
    .language:       OpenCL C
    .language_version:
      - 2
      - 0
    .max_flat_workgroup_size: 256
    .name:           _ZN7rocprim17ROCPRIM_400000_NS6detail17trampoline_kernelINS0_14default_configENS1_20scan_config_selectorI11FixedVectorIiLj1EEEEZZNS1_9scan_implILNS1_25lookback_scan_determinismE0ELb0ELb0ES3_N6thrust23THRUST_200600_302600_NS6detail15normal_iteratorINSB_10device_ptrIS6_EEEESG_S6_NSB_4plusIvEES6_EEDaPvRmT3_T4_T5_mT6_P12ihipStream_tbENKUlT_T0_E_clISt17integral_constantIbLb1EESW_EEDaSR_SS_EUlSR_E_NS1_11comp_targetILNS1_3genE5ELNS1_11target_archE942ELNS1_3gpuE9ELNS1_3repE0EEENS1_30default_config_static_selectorELNS0_4arch9wavefront6targetE1EEEvT1_
    .private_segment_fixed_size: 0
    .sgpr_count:     4
    .sgpr_spill_count: 0
    .symbol:         _ZN7rocprim17ROCPRIM_400000_NS6detail17trampoline_kernelINS0_14default_configENS1_20scan_config_selectorI11FixedVectorIiLj1EEEEZZNS1_9scan_implILNS1_25lookback_scan_determinismE0ELb0ELb0ES3_N6thrust23THRUST_200600_302600_NS6detail15normal_iteratorINSB_10device_ptrIS6_EEEESG_S6_NSB_4plusIvEES6_EEDaPvRmT3_T4_T5_mT6_P12ihipStream_tbENKUlT_T0_E_clISt17integral_constantIbLb1EESW_EEDaSR_SS_EUlSR_E_NS1_11comp_targetILNS1_3genE5ELNS1_11target_archE942ELNS1_3gpuE9ELNS1_3repE0EEENS1_30default_config_static_selectorELNS0_4arch9wavefront6targetE1EEEvT1_.kd
    .uniform_work_group_size: 1
    .uses_dynamic_stack: false
    .vgpr_count:     0
    .vgpr_spill_count: 0
    .wavefront_size: 64
  - .agpr_count:     0
    .args:
      - .offset:         0
        .size:           96
        .value_kind:     by_value
    .group_segment_fixed_size: 5120
    .kernarg_segment_align: 8
    .kernarg_segment_size: 96
    .language:       OpenCL C
    .language_version:
      - 2
      - 0
    .max_flat_workgroup_size: 128
    .name:           _ZN7rocprim17ROCPRIM_400000_NS6detail17trampoline_kernelINS0_14default_configENS1_20scan_config_selectorI11FixedVectorIiLj1EEEEZZNS1_9scan_implILNS1_25lookback_scan_determinismE0ELb0ELb0ES3_N6thrust23THRUST_200600_302600_NS6detail15normal_iteratorINSB_10device_ptrIS6_EEEESG_S6_NSB_4plusIvEES6_EEDaPvRmT3_T4_T5_mT6_P12ihipStream_tbENKUlT_T0_E_clISt17integral_constantIbLb1EESW_EEDaSR_SS_EUlSR_E_NS1_11comp_targetILNS1_3genE4ELNS1_11target_archE910ELNS1_3gpuE8ELNS1_3repE0EEENS1_30default_config_static_selectorELNS0_4arch9wavefront6targetE1EEEvT1_
    .private_segment_fixed_size: 0
    .sgpr_count:     42
    .sgpr_spill_count: 0
    .symbol:         _ZN7rocprim17ROCPRIM_400000_NS6detail17trampoline_kernelINS0_14default_configENS1_20scan_config_selectorI11FixedVectorIiLj1EEEEZZNS1_9scan_implILNS1_25lookback_scan_determinismE0ELb0ELb0ES3_N6thrust23THRUST_200600_302600_NS6detail15normal_iteratorINSB_10device_ptrIS6_EEEESG_S6_NSB_4plusIvEES6_EEDaPvRmT3_T4_T5_mT6_P12ihipStream_tbENKUlT_T0_E_clISt17integral_constantIbLb1EESW_EEDaSR_SS_EUlSR_E_NS1_11comp_targetILNS1_3genE4ELNS1_11target_archE910ELNS1_3gpuE8ELNS1_3repE0EEENS1_30default_config_static_selectorELNS0_4arch9wavefront6targetE1EEEvT1_.kd
    .uniform_work_group_size: 1
    .uses_dynamic_stack: false
    .vgpr_count:     40
    .vgpr_spill_count: 0
    .wavefront_size: 64
  - .agpr_count:     0
    .args:
      - .offset:         0
        .size:           96
        .value_kind:     by_value
    .group_segment_fixed_size: 0
    .kernarg_segment_align: 8
    .kernarg_segment_size: 96
    .language:       OpenCL C
    .language_version:
      - 2
      - 0
    .max_flat_workgroup_size: 256
    .name:           _ZN7rocprim17ROCPRIM_400000_NS6detail17trampoline_kernelINS0_14default_configENS1_20scan_config_selectorI11FixedVectorIiLj1EEEEZZNS1_9scan_implILNS1_25lookback_scan_determinismE0ELb0ELb0ES3_N6thrust23THRUST_200600_302600_NS6detail15normal_iteratorINSB_10device_ptrIS6_EEEESG_S6_NSB_4plusIvEES6_EEDaPvRmT3_T4_T5_mT6_P12ihipStream_tbENKUlT_T0_E_clISt17integral_constantIbLb1EESW_EEDaSR_SS_EUlSR_E_NS1_11comp_targetILNS1_3genE3ELNS1_11target_archE908ELNS1_3gpuE7ELNS1_3repE0EEENS1_30default_config_static_selectorELNS0_4arch9wavefront6targetE1EEEvT1_
    .private_segment_fixed_size: 0
    .sgpr_count:     4
    .sgpr_spill_count: 0
    .symbol:         _ZN7rocprim17ROCPRIM_400000_NS6detail17trampoline_kernelINS0_14default_configENS1_20scan_config_selectorI11FixedVectorIiLj1EEEEZZNS1_9scan_implILNS1_25lookback_scan_determinismE0ELb0ELb0ES3_N6thrust23THRUST_200600_302600_NS6detail15normal_iteratorINSB_10device_ptrIS6_EEEESG_S6_NSB_4plusIvEES6_EEDaPvRmT3_T4_T5_mT6_P12ihipStream_tbENKUlT_T0_E_clISt17integral_constantIbLb1EESW_EEDaSR_SS_EUlSR_E_NS1_11comp_targetILNS1_3genE3ELNS1_11target_archE908ELNS1_3gpuE7ELNS1_3repE0EEENS1_30default_config_static_selectorELNS0_4arch9wavefront6targetE1EEEvT1_.kd
    .uniform_work_group_size: 1
    .uses_dynamic_stack: false
    .vgpr_count:     0
    .vgpr_spill_count: 0
    .wavefront_size: 64
  - .agpr_count:     0
    .args:
      - .offset:         0
        .size:           96
        .value_kind:     by_value
    .group_segment_fixed_size: 0
    .kernarg_segment_align: 8
    .kernarg_segment_size: 96
    .language:       OpenCL C
    .language_version:
      - 2
      - 0
    .max_flat_workgroup_size: 256
    .name:           _ZN7rocprim17ROCPRIM_400000_NS6detail17trampoline_kernelINS0_14default_configENS1_20scan_config_selectorI11FixedVectorIiLj1EEEEZZNS1_9scan_implILNS1_25lookback_scan_determinismE0ELb0ELb0ES3_N6thrust23THRUST_200600_302600_NS6detail15normal_iteratorINSB_10device_ptrIS6_EEEESG_S6_NSB_4plusIvEES6_EEDaPvRmT3_T4_T5_mT6_P12ihipStream_tbENKUlT_T0_E_clISt17integral_constantIbLb1EESW_EEDaSR_SS_EUlSR_E_NS1_11comp_targetILNS1_3genE2ELNS1_11target_archE906ELNS1_3gpuE6ELNS1_3repE0EEENS1_30default_config_static_selectorELNS0_4arch9wavefront6targetE1EEEvT1_
    .private_segment_fixed_size: 0
    .sgpr_count:     4
    .sgpr_spill_count: 0
    .symbol:         _ZN7rocprim17ROCPRIM_400000_NS6detail17trampoline_kernelINS0_14default_configENS1_20scan_config_selectorI11FixedVectorIiLj1EEEEZZNS1_9scan_implILNS1_25lookback_scan_determinismE0ELb0ELb0ES3_N6thrust23THRUST_200600_302600_NS6detail15normal_iteratorINSB_10device_ptrIS6_EEEESG_S6_NSB_4plusIvEES6_EEDaPvRmT3_T4_T5_mT6_P12ihipStream_tbENKUlT_T0_E_clISt17integral_constantIbLb1EESW_EEDaSR_SS_EUlSR_E_NS1_11comp_targetILNS1_3genE2ELNS1_11target_archE906ELNS1_3gpuE6ELNS1_3repE0EEENS1_30default_config_static_selectorELNS0_4arch9wavefront6targetE1EEEvT1_.kd
    .uniform_work_group_size: 1
    .uses_dynamic_stack: false
    .vgpr_count:     0
    .vgpr_spill_count: 0
    .wavefront_size: 64
  - .agpr_count:     0
    .args:
      - .offset:         0
        .size:           96
        .value_kind:     by_value
    .group_segment_fixed_size: 0
    .kernarg_segment_align: 8
    .kernarg_segment_size: 96
    .language:       OpenCL C
    .language_version:
      - 2
      - 0
    .max_flat_workgroup_size: 256
    .name:           _ZN7rocprim17ROCPRIM_400000_NS6detail17trampoline_kernelINS0_14default_configENS1_20scan_config_selectorI11FixedVectorIiLj1EEEEZZNS1_9scan_implILNS1_25lookback_scan_determinismE0ELb0ELb0ES3_N6thrust23THRUST_200600_302600_NS6detail15normal_iteratorINSB_10device_ptrIS6_EEEESG_S6_NSB_4plusIvEES6_EEDaPvRmT3_T4_T5_mT6_P12ihipStream_tbENKUlT_T0_E_clISt17integral_constantIbLb1EESW_EEDaSR_SS_EUlSR_E_NS1_11comp_targetILNS1_3genE10ELNS1_11target_archE1201ELNS1_3gpuE5ELNS1_3repE0EEENS1_30default_config_static_selectorELNS0_4arch9wavefront6targetE1EEEvT1_
    .private_segment_fixed_size: 0
    .sgpr_count:     4
    .sgpr_spill_count: 0
    .symbol:         _ZN7rocprim17ROCPRIM_400000_NS6detail17trampoline_kernelINS0_14default_configENS1_20scan_config_selectorI11FixedVectorIiLj1EEEEZZNS1_9scan_implILNS1_25lookback_scan_determinismE0ELb0ELb0ES3_N6thrust23THRUST_200600_302600_NS6detail15normal_iteratorINSB_10device_ptrIS6_EEEESG_S6_NSB_4plusIvEES6_EEDaPvRmT3_T4_T5_mT6_P12ihipStream_tbENKUlT_T0_E_clISt17integral_constantIbLb1EESW_EEDaSR_SS_EUlSR_E_NS1_11comp_targetILNS1_3genE10ELNS1_11target_archE1201ELNS1_3gpuE5ELNS1_3repE0EEENS1_30default_config_static_selectorELNS0_4arch9wavefront6targetE1EEEvT1_.kd
    .uniform_work_group_size: 1
    .uses_dynamic_stack: false
    .vgpr_count:     0
    .vgpr_spill_count: 0
    .wavefront_size: 64
  - .agpr_count:     0
    .args:
      - .offset:         0
        .size:           96
        .value_kind:     by_value
    .group_segment_fixed_size: 0
    .kernarg_segment_align: 8
    .kernarg_segment_size: 96
    .language:       OpenCL C
    .language_version:
      - 2
      - 0
    .max_flat_workgroup_size: 256
    .name:           _ZN7rocprim17ROCPRIM_400000_NS6detail17trampoline_kernelINS0_14default_configENS1_20scan_config_selectorI11FixedVectorIiLj1EEEEZZNS1_9scan_implILNS1_25lookback_scan_determinismE0ELb0ELb0ES3_N6thrust23THRUST_200600_302600_NS6detail15normal_iteratorINSB_10device_ptrIS6_EEEESG_S6_NSB_4plusIvEES6_EEDaPvRmT3_T4_T5_mT6_P12ihipStream_tbENKUlT_T0_E_clISt17integral_constantIbLb1EESW_EEDaSR_SS_EUlSR_E_NS1_11comp_targetILNS1_3genE10ELNS1_11target_archE1200ELNS1_3gpuE4ELNS1_3repE0EEENS1_30default_config_static_selectorELNS0_4arch9wavefront6targetE1EEEvT1_
    .private_segment_fixed_size: 0
    .sgpr_count:     4
    .sgpr_spill_count: 0
    .symbol:         _ZN7rocprim17ROCPRIM_400000_NS6detail17trampoline_kernelINS0_14default_configENS1_20scan_config_selectorI11FixedVectorIiLj1EEEEZZNS1_9scan_implILNS1_25lookback_scan_determinismE0ELb0ELb0ES3_N6thrust23THRUST_200600_302600_NS6detail15normal_iteratorINSB_10device_ptrIS6_EEEESG_S6_NSB_4plusIvEES6_EEDaPvRmT3_T4_T5_mT6_P12ihipStream_tbENKUlT_T0_E_clISt17integral_constantIbLb1EESW_EEDaSR_SS_EUlSR_E_NS1_11comp_targetILNS1_3genE10ELNS1_11target_archE1200ELNS1_3gpuE4ELNS1_3repE0EEENS1_30default_config_static_selectorELNS0_4arch9wavefront6targetE1EEEvT1_.kd
    .uniform_work_group_size: 1
    .uses_dynamic_stack: false
    .vgpr_count:     0
    .vgpr_spill_count: 0
    .wavefront_size: 64
  - .agpr_count:     0
    .args:
      - .offset:         0
        .size:           96
        .value_kind:     by_value
    .group_segment_fixed_size: 0
    .kernarg_segment_align: 8
    .kernarg_segment_size: 96
    .language:       OpenCL C
    .language_version:
      - 2
      - 0
    .max_flat_workgroup_size: 256
    .name:           _ZN7rocprim17ROCPRIM_400000_NS6detail17trampoline_kernelINS0_14default_configENS1_20scan_config_selectorI11FixedVectorIiLj1EEEEZZNS1_9scan_implILNS1_25lookback_scan_determinismE0ELb0ELb0ES3_N6thrust23THRUST_200600_302600_NS6detail15normal_iteratorINSB_10device_ptrIS6_EEEESG_S6_NSB_4plusIvEES6_EEDaPvRmT3_T4_T5_mT6_P12ihipStream_tbENKUlT_T0_E_clISt17integral_constantIbLb1EESW_EEDaSR_SS_EUlSR_E_NS1_11comp_targetILNS1_3genE9ELNS1_11target_archE1100ELNS1_3gpuE3ELNS1_3repE0EEENS1_30default_config_static_selectorELNS0_4arch9wavefront6targetE1EEEvT1_
    .private_segment_fixed_size: 0
    .sgpr_count:     4
    .sgpr_spill_count: 0
    .symbol:         _ZN7rocprim17ROCPRIM_400000_NS6detail17trampoline_kernelINS0_14default_configENS1_20scan_config_selectorI11FixedVectorIiLj1EEEEZZNS1_9scan_implILNS1_25lookback_scan_determinismE0ELb0ELb0ES3_N6thrust23THRUST_200600_302600_NS6detail15normal_iteratorINSB_10device_ptrIS6_EEEESG_S6_NSB_4plusIvEES6_EEDaPvRmT3_T4_T5_mT6_P12ihipStream_tbENKUlT_T0_E_clISt17integral_constantIbLb1EESW_EEDaSR_SS_EUlSR_E_NS1_11comp_targetILNS1_3genE9ELNS1_11target_archE1100ELNS1_3gpuE3ELNS1_3repE0EEENS1_30default_config_static_selectorELNS0_4arch9wavefront6targetE1EEEvT1_.kd
    .uniform_work_group_size: 1
    .uses_dynamic_stack: false
    .vgpr_count:     0
    .vgpr_spill_count: 0
    .wavefront_size: 64
  - .agpr_count:     0
    .args:
      - .offset:         0
        .size:           96
        .value_kind:     by_value
    .group_segment_fixed_size: 0
    .kernarg_segment_align: 8
    .kernarg_segment_size: 96
    .language:       OpenCL C
    .language_version:
      - 2
      - 0
    .max_flat_workgroup_size: 64
    .name:           _ZN7rocprim17ROCPRIM_400000_NS6detail17trampoline_kernelINS0_14default_configENS1_20scan_config_selectorI11FixedVectorIiLj1EEEEZZNS1_9scan_implILNS1_25lookback_scan_determinismE0ELb0ELb0ES3_N6thrust23THRUST_200600_302600_NS6detail15normal_iteratorINSB_10device_ptrIS6_EEEESG_S6_NSB_4plusIvEES6_EEDaPvRmT3_T4_T5_mT6_P12ihipStream_tbENKUlT_T0_E_clISt17integral_constantIbLb1EESW_EEDaSR_SS_EUlSR_E_NS1_11comp_targetILNS1_3genE8ELNS1_11target_archE1030ELNS1_3gpuE2ELNS1_3repE0EEENS1_30default_config_static_selectorELNS0_4arch9wavefront6targetE1EEEvT1_
    .private_segment_fixed_size: 0
    .sgpr_count:     4
    .sgpr_spill_count: 0
    .symbol:         _ZN7rocprim17ROCPRIM_400000_NS6detail17trampoline_kernelINS0_14default_configENS1_20scan_config_selectorI11FixedVectorIiLj1EEEEZZNS1_9scan_implILNS1_25lookback_scan_determinismE0ELb0ELb0ES3_N6thrust23THRUST_200600_302600_NS6detail15normal_iteratorINSB_10device_ptrIS6_EEEESG_S6_NSB_4plusIvEES6_EEDaPvRmT3_T4_T5_mT6_P12ihipStream_tbENKUlT_T0_E_clISt17integral_constantIbLb1EESW_EEDaSR_SS_EUlSR_E_NS1_11comp_targetILNS1_3genE8ELNS1_11target_archE1030ELNS1_3gpuE2ELNS1_3repE0EEENS1_30default_config_static_selectorELNS0_4arch9wavefront6targetE1EEEvT1_.kd
    .uniform_work_group_size: 1
    .uses_dynamic_stack: false
    .vgpr_count:     0
    .vgpr_spill_count: 0
    .wavefront_size: 64
  - .agpr_count:     0
    .args:
      - .offset:         0
        .size:           32
        .value_kind:     by_value
    .group_segment_fixed_size: 0
    .kernarg_segment_align: 8
    .kernarg_segment_size: 32
    .language:       OpenCL C
    .language_version:
      - 2
      - 0
    .max_flat_workgroup_size: 256
    .name:           _ZN7rocprim17ROCPRIM_400000_NS6detail17trampoline_kernelINS0_14default_configENS1_20scan_config_selectorI11FixedVectorIiLj1EEEEZZNS1_9scan_implILNS1_25lookback_scan_determinismE0ELb0ELb0ES3_N6thrust23THRUST_200600_302600_NS6detail15normal_iteratorINSB_10device_ptrIS6_EEEESG_S6_NSB_4plusIvEES6_EEDaPvRmT3_T4_T5_mT6_P12ihipStream_tbENKUlT_T0_E_clISt17integral_constantIbLb1EESW_EEDaSR_SS_EUlSR_E0_NS1_11comp_targetILNS1_3genE0ELNS1_11target_archE4294967295ELNS1_3gpuE0ELNS1_3repE0EEENS1_30default_config_static_selectorELNS0_4arch9wavefront6targetE1EEEvT1_
    .private_segment_fixed_size: 0
    .sgpr_count:     4
    .sgpr_spill_count: 0
    .symbol:         _ZN7rocprim17ROCPRIM_400000_NS6detail17trampoline_kernelINS0_14default_configENS1_20scan_config_selectorI11FixedVectorIiLj1EEEEZZNS1_9scan_implILNS1_25lookback_scan_determinismE0ELb0ELb0ES3_N6thrust23THRUST_200600_302600_NS6detail15normal_iteratorINSB_10device_ptrIS6_EEEESG_S6_NSB_4plusIvEES6_EEDaPvRmT3_T4_T5_mT6_P12ihipStream_tbENKUlT_T0_E_clISt17integral_constantIbLb1EESW_EEDaSR_SS_EUlSR_E0_NS1_11comp_targetILNS1_3genE0ELNS1_11target_archE4294967295ELNS1_3gpuE0ELNS1_3repE0EEENS1_30default_config_static_selectorELNS0_4arch9wavefront6targetE1EEEvT1_.kd
    .uniform_work_group_size: 1
    .uses_dynamic_stack: false
    .vgpr_count:     0
    .vgpr_spill_count: 0
    .wavefront_size: 64
  - .agpr_count:     0
    .args:
      - .offset:         0
        .size:           32
        .value_kind:     by_value
    .group_segment_fixed_size: 0
    .kernarg_segment_align: 8
    .kernarg_segment_size: 32
    .language:       OpenCL C
    .language_version:
      - 2
      - 0
    .max_flat_workgroup_size: 256
    .name:           _ZN7rocprim17ROCPRIM_400000_NS6detail17trampoline_kernelINS0_14default_configENS1_20scan_config_selectorI11FixedVectorIiLj1EEEEZZNS1_9scan_implILNS1_25lookback_scan_determinismE0ELb0ELb0ES3_N6thrust23THRUST_200600_302600_NS6detail15normal_iteratorINSB_10device_ptrIS6_EEEESG_S6_NSB_4plusIvEES6_EEDaPvRmT3_T4_T5_mT6_P12ihipStream_tbENKUlT_T0_E_clISt17integral_constantIbLb1EESW_EEDaSR_SS_EUlSR_E0_NS1_11comp_targetILNS1_3genE5ELNS1_11target_archE942ELNS1_3gpuE9ELNS1_3repE0EEENS1_30default_config_static_selectorELNS0_4arch9wavefront6targetE1EEEvT1_
    .private_segment_fixed_size: 0
    .sgpr_count:     4
    .sgpr_spill_count: 0
    .symbol:         _ZN7rocprim17ROCPRIM_400000_NS6detail17trampoline_kernelINS0_14default_configENS1_20scan_config_selectorI11FixedVectorIiLj1EEEEZZNS1_9scan_implILNS1_25lookback_scan_determinismE0ELb0ELb0ES3_N6thrust23THRUST_200600_302600_NS6detail15normal_iteratorINSB_10device_ptrIS6_EEEESG_S6_NSB_4plusIvEES6_EEDaPvRmT3_T4_T5_mT6_P12ihipStream_tbENKUlT_T0_E_clISt17integral_constantIbLb1EESW_EEDaSR_SS_EUlSR_E0_NS1_11comp_targetILNS1_3genE5ELNS1_11target_archE942ELNS1_3gpuE9ELNS1_3repE0EEENS1_30default_config_static_selectorELNS0_4arch9wavefront6targetE1EEEvT1_.kd
    .uniform_work_group_size: 1
    .uses_dynamic_stack: false
    .vgpr_count:     0
    .vgpr_spill_count: 0
    .wavefront_size: 64
  - .agpr_count:     0
    .args:
      - .offset:         0
        .size:           32
        .value_kind:     by_value
    .group_segment_fixed_size: 5120
    .kernarg_segment_align: 8
    .kernarg_segment_size: 32
    .language:       OpenCL C
    .language_version:
      - 2
      - 0
    .max_flat_workgroup_size: 128
    .name:           _ZN7rocprim17ROCPRIM_400000_NS6detail17trampoline_kernelINS0_14default_configENS1_20scan_config_selectorI11FixedVectorIiLj1EEEEZZNS1_9scan_implILNS1_25lookback_scan_determinismE0ELb0ELb0ES3_N6thrust23THRUST_200600_302600_NS6detail15normal_iteratorINSB_10device_ptrIS6_EEEESG_S6_NSB_4plusIvEES6_EEDaPvRmT3_T4_T5_mT6_P12ihipStream_tbENKUlT_T0_E_clISt17integral_constantIbLb1EESW_EEDaSR_SS_EUlSR_E0_NS1_11comp_targetILNS1_3genE4ELNS1_11target_archE910ELNS1_3gpuE8ELNS1_3repE0EEENS1_30default_config_static_selectorELNS0_4arch9wavefront6targetE1EEEvT1_
    .private_segment_fixed_size: 0
    .sgpr_count:     28
    .sgpr_spill_count: 0
    .symbol:         _ZN7rocprim17ROCPRIM_400000_NS6detail17trampoline_kernelINS0_14default_configENS1_20scan_config_selectorI11FixedVectorIiLj1EEEEZZNS1_9scan_implILNS1_25lookback_scan_determinismE0ELb0ELb0ES3_N6thrust23THRUST_200600_302600_NS6detail15normal_iteratorINSB_10device_ptrIS6_EEEESG_S6_NSB_4plusIvEES6_EEDaPvRmT3_T4_T5_mT6_P12ihipStream_tbENKUlT_T0_E_clISt17integral_constantIbLb1EESW_EEDaSR_SS_EUlSR_E0_NS1_11comp_targetILNS1_3genE4ELNS1_11target_archE910ELNS1_3gpuE8ELNS1_3repE0EEENS1_30default_config_static_selectorELNS0_4arch9wavefront6targetE1EEEvT1_.kd
    .uniform_work_group_size: 1
    .uses_dynamic_stack: false
    .vgpr_count:     27
    .vgpr_spill_count: 0
    .wavefront_size: 64
  - .agpr_count:     0
    .args:
      - .offset:         0
        .size:           32
        .value_kind:     by_value
    .group_segment_fixed_size: 0
    .kernarg_segment_align: 8
    .kernarg_segment_size: 32
    .language:       OpenCL C
    .language_version:
      - 2
      - 0
    .max_flat_workgroup_size: 256
    .name:           _ZN7rocprim17ROCPRIM_400000_NS6detail17trampoline_kernelINS0_14default_configENS1_20scan_config_selectorI11FixedVectorIiLj1EEEEZZNS1_9scan_implILNS1_25lookback_scan_determinismE0ELb0ELb0ES3_N6thrust23THRUST_200600_302600_NS6detail15normal_iteratorINSB_10device_ptrIS6_EEEESG_S6_NSB_4plusIvEES6_EEDaPvRmT3_T4_T5_mT6_P12ihipStream_tbENKUlT_T0_E_clISt17integral_constantIbLb1EESW_EEDaSR_SS_EUlSR_E0_NS1_11comp_targetILNS1_3genE3ELNS1_11target_archE908ELNS1_3gpuE7ELNS1_3repE0EEENS1_30default_config_static_selectorELNS0_4arch9wavefront6targetE1EEEvT1_
    .private_segment_fixed_size: 0
    .sgpr_count:     4
    .sgpr_spill_count: 0
    .symbol:         _ZN7rocprim17ROCPRIM_400000_NS6detail17trampoline_kernelINS0_14default_configENS1_20scan_config_selectorI11FixedVectorIiLj1EEEEZZNS1_9scan_implILNS1_25lookback_scan_determinismE0ELb0ELb0ES3_N6thrust23THRUST_200600_302600_NS6detail15normal_iteratorINSB_10device_ptrIS6_EEEESG_S6_NSB_4plusIvEES6_EEDaPvRmT3_T4_T5_mT6_P12ihipStream_tbENKUlT_T0_E_clISt17integral_constantIbLb1EESW_EEDaSR_SS_EUlSR_E0_NS1_11comp_targetILNS1_3genE3ELNS1_11target_archE908ELNS1_3gpuE7ELNS1_3repE0EEENS1_30default_config_static_selectorELNS0_4arch9wavefront6targetE1EEEvT1_.kd
    .uniform_work_group_size: 1
    .uses_dynamic_stack: false
    .vgpr_count:     0
    .vgpr_spill_count: 0
    .wavefront_size: 64
  - .agpr_count:     0
    .args:
      - .offset:         0
        .size:           32
        .value_kind:     by_value
    .group_segment_fixed_size: 0
    .kernarg_segment_align: 8
    .kernarg_segment_size: 32
    .language:       OpenCL C
    .language_version:
      - 2
      - 0
    .max_flat_workgroup_size: 256
    .name:           _ZN7rocprim17ROCPRIM_400000_NS6detail17trampoline_kernelINS0_14default_configENS1_20scan_config_selectorI11FixedVectorIiLj1EEEEZZNS1_9scan_implILNS1_25lookback_scan_determinismE0ELb0ELb0ES3_N6thrust23THRUST_200600_302600_NS6detail15normal_iteratorINSB_10device_ptrIS6_EEEESG_S6_NSB_4plusIvEES6_EEDaPvRmT3_T4_T5_mT6_P12ihipStream_tbENKUlT_T0_E_clISt17integral_constantIbLb1EESW_EEDaSR_SS_EUlSR_E0_NS1_11comp_targetILNS1_3genE2ELNS1_11target_archE906ELNS1_3gpuE6ELNS1_3repE0EEENS1_30default_config_static_selectorELNS0_4arch9wavefront6targetE1EEEvT1_
    .private_segment_fixed_size: 0
    .sgpr_count:     4
    .sgpr_spill_count: 0
    .symbol:         _ZN7rocprim17ROCPRIM_400000_NS6detail17trampoline_kernelINS0_14default_configENS1_20scan_config_selectorI11FixedVectorIiLj1EEEEZZNS1_9scan_implILNS1_25lookback_scan_determinismE0ELb0ELb0ES3_N6thrust23THRUST_200600_302600_NS6detail15normal_iteratorINSB_10device_ptrIS6_EEEESG_S6_NSB_4plusIvEES6_EEDaPvRmT3_T4_T5_mT6_P12ihipStream_tbENKUlT_T0_E_clISt17integral_constantIbLb1EESW_EEDaSR_SS_EUlSR_E0_NS1_11comp_targetILNS1_3genE2ELNS1_11target_archE906ELNS1_3gpuE6ELNS1_3repE0EEENS1_30default_config_static_selectorELNS0_4arch9wavefront6targetE1EEEvT1_.kd
    .uniform_work_group_size: 1
    .uses_dynamic_stack: false
    .vgpr_count:     0
    .vgpr_spill_count: 0
    .wavefront_size: 64
  - .agpr_count:     0
    .args:
      - .offset:         0
        .size:           32
        .value_kind:     by_value
    .group_segment_fixed_size: 0
    .kernarg_segment_align: 8
    .kernarg_segment_size: 32
    .language:       OpenCL C
    .language_version:
      - 2
      - 0
    .max_flat_workgroup_size: 256
    .name:           _ZN7rocprim17ROCPRIM_400000_NS6detail17trampoline_kernelINS0_14default_configENS1_20scan_config_selectorI11FixedVectorIiLj1EEEEZZNS1_9scan_implILNS1_25lookback_scan_determinismE0ELb0ELb0ES3_N6thrust23THRUST_200600_302600_NS6detail15normal_iteratorINSB_10device_ptrIS6_EEEESG_S6_NSB_4plusIvEES6_EEDaPvRmT3_T4_T5_mT6_P12ihipStream_tbENKUlT_T0_E_clISt17integral_constantIbLb1EESW_EEDaSR_SS_EUlSR_E0_NS1_11comp_targetILNS1_3genE10ELNS1_11target_archE1201ELNS1_3gpuE5ELNS1_3repE0EEENS1_30default_config_static_selectorELNS0_4arch9wavefront6targetE1EEEvT1_
    .private_segment_fixed_size: 0
    .sgpr_count:     4
    .sgpr_spill_count: 0
    .symbol:         _ZN7rocprim17ROCPRIM_400000_NS6detail17trampoline_kernelINS0_14default_configENS1_20scan_config_selectorI11FixedVectorIiLj1EEEEZZNS1_9scan_implILNS1_25lookback_scan_determinismE0ELb0ELb0ES3_N6thrust23THRUST_200600_302600_NS6detail15normal_iteratorINSB_10device_ptrIS6_EEEESG_S6_NSB_4plusIvEES6_EEDaPvRmT3_T4_T5_mT6_P12ihipStream_tbENKUlT_T0_E_clISt17integral_constantIbLb1EESW_EEDaSR_SS_EUlSR_E0_NS1_11comp_targetILNS1_3genE10ELNS1_11target_archE1201ELNS1_3gpuE5ELNS1_3repE0EEENS1_30default_config_static_selectorELNS0_4arch9wavefront6targetE1EEEvT1_.kd
    .uniform_work_group_size: 1
    .uses_dynamic_stack: false
    .vgpr_count:     0
    .vgpr_spill_count: 0
    .wavefront_size: 64
  - .agpr_count:     0
    .args:
      - .offset:         0
        .size:           32
        .value_kind:     by_value
    .group_segment_fixed_size: 0
    .kernarg_segment_align: 8
    .kernarg_segment_size: 32
    .language:       OpenCL C
    .language_version:
      - 2
      - 0
    .max_flat_workgroup_size: 256
    .name:           _ZN7rocprim17ROCPRIM_400000_NS6detail17trampoline_kernelINS0_14default_configENS1_20scan_config_selectorI11FixedVectorIiLj1EEEEZZNS1_9scan_implILNS1_25lookback_scan_determinismE0ELb0ELb0ES3_N6thrust23THRUST_200600_302600_NS6detail15normal_iteratorINSB_10device_ptrIS6_EEEESG_S6_NSB_4plusIvEES6_EEDaPvRmT3_T4_T5_mT6_P12ihipStream_tbENKUlT_T0_E_clISt17integral_constantIbLb1EESW_EEDaSR_SS_EUlSR_E0_NS1_11comp_targetILNS1_3genE10ELNS1_11target_archE1200ELNS1_3gpuE4ELNS1_3repE0EEENS1_30default_config_static_selectorELNS0_4arch9wavefront6targetE1EEEvT1_
    .private_segment_fixed_size: 0
    .sgpr_count:     4
    .sgpr_spill_count: 0
    .symbol:         _ZN7rocprim17ROCPRIM_400000_NS6detail17trampoline_kernelINS0_14default_configENS1_20scan_config_selectorI11FixedVectorIiLj1EEEEZZNS1_9scan_implILNS1_25lookback_scan_determinismE0ELb0ELb0ES3_N6thrust23THRUST_200600_302600_NS6detail15normal_iteratorINSB_10device_ptrIS6_EEEESG_S6_NSB_4plusIvEES6_EEDaPvRmT3_T4_T5_mT6_P12ihipStream_tbENKUlT_T0_E_clISt17integral_constantIbLb1EESW_EEDaSR_SS_EUlSR_E0_NS1_11comp_targetILNS1_3genE10ELNS1_11target_archE1200ELNS1_3gpuE4ELNS1_3repE0EEENS1_30default_config_static_selectorELNS0_4arch9wavefront6targetE1EEEvT1_.kd
    .uniform_work_group_size: 1
    .uses_dynamic_stack: false
    .vgpr_count:     0
    .vgpr_spill_count: 0
    .wavefront_size: 64
  - .agpr_count:     0
    .args:
      - .offset:         0
        .size:           32
        .value_kind:     by_value
    .group_segment_fixed_size: 0
    .kernarg_segment_align: 8
    .kernarg_segment_size: 32
    .language:       OpenCL C
    .language_version:
      - 2
      - 0
    .max_flat_workgroup_size: 256
    .name:           _ZN7rocprim17ROCPRIM_400000_NS6detail17trampoline_kernelINS0_14default_configENS1_20scan_config_selectorI11FixedVectorIiLj1EEEEZZNS1_9scan_implILNS1_25lookback_scan_determinismE0ELb0ELb0ES3_N6thrust23THRUST_200600_302600_NS6detail15normal_iteratorINSB_10device_ptrIS6_EEEESG_S6_NSB_4plusIvEES6_EEDaPvRmT3_T4_T5_mT6_P12ihipStream_tbENKUlT_T0_E_clISt17integral_constantIbLb1EESW_EEDaSR_SS_EUlSR_E0_NS1_11comp_targetILNS1_3genE9ELNS1_11target_archE1100ELNS1_3gpuE3ELNS1_3repE0EEENS1_30default_config_static_selectorELNS0_4arch9wavefront6targetE1EEEvT1_
    .private_segment_fixed_size: 0
    .sgpr_count:     4
    .sgpr_spill_count: 0
    .symbol:         _ZN7rocprim17ROCPRIM_400000_NS6detail17trampoline_kernelINS0_14default_configENS1_20scan_config_selectorI11FixedVectorIiLj1EEEEZZNS1_9scan_implILNS1_25lookback_scan_determinismE0ELb0ELb0ES3_N6thrust23THRUST_200600_302600_NS6detail15normal_iteratorINSB_10device_ptrIS6_EEEESG_S6_NSB_4plusIvEES6_EEDaPvRmT3_T4_T5_mT6_P12ihipStream_tbENKUlT_T0_E_clISt17integral_constantIbLb1EESW_EEDaSR_SS_EUlSR_E0_NS1_11comp_targetILNS1_3genE9ELNS1_11target_archE1100ELNS1_3gpuE3ELNS1_3repE0EEENS1_30default_config_static_selectorELNS0_4arch9wavefront6targetE1EEEvT1_.kd
    .uniform_work_group_size: 1
    .uses_dynamic_stack: false
    .vgpr_count:     0
    .vgpr_spill_count: 0
    .wavefront_size: 64
  - .agpr_count:     0
    .args:
      - .offset:         0
        .size:           32
        .value_kind:     by_value
    .group_segment_fixed_size: 0
    .kernarg_segment_align: 8
    .kernarg_segment_size: 32
    .language:       OpenCL C
    .language_version:
      - 2
      - 0
    .max_flat_workgroup_size: 64
    .name:           _ZN7rocprim17ROCPRIM_400000_NS6detail17trampoline_kernelINS0_14default_configENS1_20scan_config_selectorI11FixedVectorIiLj1EEEEZZNS1_9scan_implILNS1_25lookback_scan_determinismE0ELb0ELb0ES3_N6thrust23THRUST_200600_302600_NS6detail15normal_iteratorINSB_10device_ptrIS6_EEEESG_S6_NSB_4plusIvEES6_EEDaPvRmT3_T4_T5_mT6_P12ihipStream_tbENKUlT_T0_E_clISt17integral_constantIbLb1EESW_EEDaSR_SS_EUlSR_E0_NS1_11comp_targetILNS1_3genE8ELNS1_11target_archE1030ELNS1_3gpuE2ELNS1_3repE0EEENS1_30default_config_static_selectorELNS0_4arch9wavefront6targetE1EEEvT1_
    .private_segment_fixed_size: 0
    .sgpr_count:     4
    .sgpr_spill_count: 0
    .symbol:         _ZN7rocprim17ROCPRIM_400000_NS6detail17trampoline_kernelINS0_14default_configENS1_20scan_config_selectorI11FixedVectorIiLj1EEEEZZNS1_9scan_implILNS1_25lookback_scan_determinismE0ELb0ELb0ES3_N6thrust23THRUST_200600_302600_NS6detail15normal_iteratorINSB_10device_ptrIS6_EEEESG_S6_NSB_4plusIvEES6_EEDaPvRmT3_T4_T5_mT6_P12ihipStream_tbENKUlT_T0_E_clISt17integral_constantIbLb1EESW_EEDaSR_SS_EUlSR_E0_NS1_11comp_targetILNS1_3genE8ELNS1_11target_archE1030ELNS1_3gpuE2ELNS1_3repE0EEENS1_30default_config_static_selectorELNS0_4arch9wavefront6targetE1EEEvT1_.kd
    .uniform_work_group_size: 1
    .uses_dynamic_stack: false
    .vgpr_count:     0
    .vgpr_spill_count: 0
    .wavefront_size: 64
  - .agpr_count:     0
    .args:
      - .address_space:  global
        .offset:         0
        .size:           8
        .value_kind:     global_buffer
      - .offset:         8
        .size:           4
        .value_kind:     by_value
      - .offset:         12
        .size:           1
        .value_kind:     by_value
      - .offset:         16
        .size:           4
        .value_kind:     by_value
      - .address_space:  global
        .offset:         24
        .size:           8
        .value_kind:     global_buffer
      - .offset:         32
        .size:           4
        .value_kind:     hidden_block_count_x
      - .offset:         36
        .size:           4
        .value_kind:     hidden_block_count_y
      - .offset:         40
        .size:           4
        .value_kind:     hidden_block_count_z
      - .offset:         44
        .size:           2
        .value_kind:     hidden_group_size_x
      - .offset:         46
        .size:           2
        .value_kind:     hidden_group_size_y
      - .offset:         48
        .size:           2
        .value_kind:     hidden_group_size_z
      - .offset:         50
        .size:           2
        .value_kind:     hidden_remainder_x
      - .offset:         52
        .size:           2
        .value_kind:     hidden_remainder_y
      - .offset:         54
        .size:           2
        .value_kind:     hidden_remainder_z
      - .offset:         72
        .size:           8
        .value_kind:     hidden_global_offset_x
      - .offset:         80
        .size:           8
        .value_kind:     hidden_global_offset_y
      - .offset:         88
        .size:           8
        .value_kind:     hidden_global_offset_z
      - .offset:         96
        .size:           2
        .value_kind:     hidden_grid_dims
    .group_segment_fixed_size: 0
    .kernarg_segment_align: 8
    .kernarg_segment_size: 288
    .language:       OpenCL C
    .language_version:
      - 2
      - 0
    .max_flat_workgroup_size: 256
    .name:           _ZN7rocprim17ROCPRIM_400000_NS6detail31init_lookback_scan_state_kernelINS1_19lookback_scan_stateI11FixedVectorIiLj1EELb1ELb1EEENS1_16block_id_wrapperIjLb0EEEEEvT_jT0_jPNS9_10value_typeE
    .private_segment_fixed_size: 0
    .sgpr_count:     16
    .sgpr_spill_count: 0
    .symbol:         _ZN7rocprim17ROCPRIM_400000_NS6detail31init_lookback_scan_state_kernelINS1_19lookback_scan_stateI11FixedVectorIiLj1EELb1ELb1EEENS1_16block_id_wrapperIjLb0EEEEEvT_jT0_jPNS9_10value_typeE.kd
    .uniform_work_group_size: 1
    .uses_dynamic_stack: false
    .vgpr_count:     6
    .vgpr_spill_count: 0
    .wavefront_size: 64
  - .agpr_count:     0
    .args:
      - .offset:         0
        .size:           96
        .value_kind:     by_value
    .group_segment_fixed_size: 0
    .kernarg_segment_align: 8
    .kernarg_segment_size: 96
    .language:       OpenCL C
    .language_version:
      - 2
      - 0
    .max_flat_workgroup_size: 256
    .name:           _ZN7rocprim17ROCPRIM_400000_NS6detail17trampoline_kernelINS0_14default_configENS1_20scan_config_selectorI11FixedVectorIiLj1EEEEZZNS1_9scan_implILNS1_25lookback_scan_determinismE0ELb0ELb0ES3_N6thrust23THRUST_200600_302600_NS6detail15normal_iteratorINSB_10device_ptrIS6_EEEESG_S6_NSB_4plusIvEES6_EEDaPvRmT3_T4_T5_mT6_P12ihipStream_tbENKUlT_T0_E_clISt17integral_constantIbLb1EESV_IbLb0EEEEDaSR_SS_EUlSR_E_NS1_11comp_targetILNS1_3genE0ELNS1_11target_archE4294967295ELNS1_3gpuE0ELNS1_3repE0EEENS1_30default_config_static_selectorELNS0_4arch9wavefront6targetE1EEEvT1_
    .private_segment_fixed_size: 0
    .sgpr_count:     4
    .sgpr_spill_count: 0
    .symbol:         _ZN7rocprim17ROCPRIM_400000_NS6detail17trampoline_kernelINS0_14default_configENS1_20scan_config_selectorI11FixedVectorIiLj1EEEEZZNS1_9scan_implILNS1_25lookback_scan_determinismE0ELb0ELb0ES3_N6thrust23THRUST_200600_302600_NS6detail15normal_iteratorINSB_10device_ptrIS6_EEEESG_S6_NSB_4plusIvEES6_EEDaPvRmT3_T4_T5_mT6_P12ihipStream_tbENKUlT_T0_E_clISt17integral_constantIbLb1EESV_IbLb0EEEEDaSR_SS_EUlSR_E_NS1_11comp_targetILNS1_3genE0ELNS1_11target_archE4294967295ELNS1_3gpuE0ELNS1_3repE0EEENS1_30default_config_static_selectorELNS0_4arch9wavefront6targetE1EEEvT1_.kd
    .uniform_work_group_size: 1
    .uses_dynamic_stack: false
    .vgpr_count:     0
    .vgpr_spill_count: 0
    .wavefront_size: 64
  - .agpr_count:     0
    .args:
      - .offset:         0
        .size:           96
        .value_kind:     by_value
    .group_segment_fixed_size: 0
    .kernarg_segment_align: 8
    .kernarg_segment_size: 96
    .language:       OpenCL C
    .language_version:
      - 2
      - 0
    .max_flat_workgroup_size: 256
    .name:           _ZN7rocprim17ROCPRIM_400000_NS6detail17trampoline_kernelINS0_14default_configENS1_20scan_config_selectorI11FixedVectorIiLj1EEEEZZNS1_9scan_implILNS1_25lookback_scan_determinismE0ELb0ELb0ES3_N6thrust23THRUST_200600_302600_NS6detail15normal_iteratorINSB_10device_ptrIS6_EEEESG_S6_NSB_4plusIvEES6_EEDaPvRmT3_T4_T5_mT6_P12ihipStream_tbENKUlT_T0_E_clISt17integral_constantIbLb1EESV_IbLb0EEEEDaSR_SS_EUlSR_E_NS1_11comp_targetILNS1_3genE5ELNS1_11target_archE942ELNS1_3gpuE9ELNS1_3repE0EEENS1_30default_config_static_selectorELNS0_4arch9wavefront6targetE1EEEvT1_
    .private_segment_fixed_size: 0
    .sgpr_count:     4
    .sgpr_spill_count: 0
    .symbol:         _ZN7rocprim17ROCPRIM_400000_NS6detail17trampoline_kernelINS0_14default_configENS1_20scan_config_selectorI11FixedVectorIiLj1EEEEZZNS1_9scan_implILNS1_25lookback_scan_determinismE0ELb0ELb0ES3_N6thrust23THRUST_200600_302600_NS6detail15normal_iteratorINSB_10device_ptrIS6_EEEESG_S6_NSB_4plusIvEES6_EEDaPvRmT3_T4_T5_mT6_P12ihipStream_tbENKUlT_T0_E_clISt17integral_constantIbLb1EESV_IbLb0EEEEDaSR_SS_EUlSR_E_NS1_11comp_targetILNS1_3genE5ELNS1_11target_archE942ELNS1_3gpuE9ELNS1_3repE0EEENS1_30default_config_static_selectorELNS0_4arch9wavefront6targetE1EEEvT1_.kd
    .uniform_work_group_size: 1
    .uses_dynamic_stack: false
    .vgpr_count:     0
    .vgpr_spill_count: 0
    .wavefront_size: 64
  - .agpr_count:     0
    .args:
      - .offset:         0
        .size:           96
        .value_kind:     by_value
    .group_segment_fixed_size: 5120
    .kernarg_segment_align: 8
    .kernarg_segment_size: 96
    .language:       OpenCL C
    .language_version:
      - 2
      - 0
    .max_flat_workgroup_size: 128
    .name:           _ZN7rocprim17ROCPRIM_400000_NS6detail17trampoline_kernelINS0_14default_configENS1_20scan_config_selectorI11FixedVectorIiLj1EEEEZZNS1_9scan_implILNS1_25lookback_scan_determinismE0ELb0ELb0ES3_N6thrust23THRUST_200600_302600_NS6detail15normal_iteratorINSB_10device_ptrIS6_EEEESG_S6_NSB_4plusIvEES6_EEDaPvRmT3_T4_T5_mT6_P12ihipStream_tbENKUlT_T0_E_clISt17integral_constantIbLb1EESV_IbLb0EEEEDaSR_SS_EUlSR_E_NS1_11comp_targetILNS1_3genE4ELNS1_11target_archE910ELNS1_3gpuE8ELNS1_3repE0EEENS1_30default_config_static_selectorELNS0_4arch9wavefront6targetE1EEEvT1_
    .private_segment_fixed_size: 0
    .sgpr_count:     32
    .sgpr_spill_count: 0
    .symbol:         _ZN7rocprim17ROCPRIM_400000_NS6detail17trampoline_kernelINS0_14default_configENS1_20scan_config_selectorI11FixedVectorIiLj1EEEEZZNS1_9scan_implILNS1_25lookback_scan_determinismE0ELb0ELb0ES3_N6thrust23THRUST_200600_302600_NS6detail15normal_iteratorINSB_10device_ptrIS6_EEEESG_S6_NSB_4plusIvEES6_EEDaPvRmT3_T4_T5_mT6_P12ihipStream_tbENKUlT_T0_E_clISt17integral_constantIbLb1EESV_IbLb0EEEEDaSR_SS_EUlSR_E_NS1_11comp_targetILNS1_3genE4ELNS1_11target_archE910ELNS1_3gpuE8ELNS1_3repE0EEENS1_30default_config_static_selectorELNS0_4arch9wavefront6targetE1EEEvT1_.kd
    .uniform_work_group_size: 1
    .uses_dynamic_stack: false
    .vgpr_count:     40
    .vgpr_spill_count: 0
    .wavefront_size: 64
  - .agpr_count:     0
    .args:
      - .offset:         0
        .size:           96
        .value_kind:     by_value
    .group_segment_fixed_size: 0
    .kernarg_segment_align: 8
    .kernarg_segment_size: 96
    .language:       OpenCL C
    .language_version:
      - 2
      - 0
    .max_flat_workgroup_size: 256
    .name:           _ZN7rocprim17ROCPRIM_400000_NS6detail17trampoline_kernelINS0_14default_configENS1_20scan_config_selectorI11FixedVectorIiLj1EEEEZZNS1_9scan_implILNS1_25lookback_scan_determinismE0ELb0ELb0ES3_N6thrust23THRUST_200600_302600_NS6detail15normal_iteratorINSB_10device_ptrIS6_EEEESG_S6_NSB_4plusIvEES6_EEDaPvRmT3_T4_T5_mT6_P12ihipStream_tbENKUlT_T0_E_clISt17integral_constantIbLb1EESV_IbLb0EEEEDaSR_SS_EUlSR_E_NS1_11comp_targetILNS1_3genE3ELNS1_11target_archE908ELNS1_3gpuE7ELNS1_3repE0EEENS1_30default_config_static_selectorELNS0_4arch9wavefront6targetE1EEEvT1_
    .private_segment_fixed_size: 0
    .sgpr_count:     4
    .sgpr_spill_count: 0
    .symbol:         _ZN7rocprim17ROCPRIM_400000_NS6detail17trampoline_kernelINS0_14default_configENS1_20scan_config_selectorI11FixedVectorIiLj1EEEEZZNS1_9scan_implILNS1_25lookback_scan_determinismE0ELb0ELb0ES3_N6thrust23THRUST_200600_302600_NS6detail15normal_iteratorINSB_10device_ptrIS6_EEEESG_S6_NSB_4plusIvEES6_EEDaPvRmT3_T4_T5_mT6_P12ihipStream_tbENKUlT_T0_E_clISt17integral_constantIbLb1EESV_IbLb0EEEEDaSR_SS_EUlSR_E_NS1_11comp_targetILNS1_3genE3ELNS1_11target_archE908ELNS1_3gpuE7ELNS1_3repE0EEENS1_30default_config_static_selectorELNS0_4arch9wavefront6targetE1EEEvT1_.kd
    .uniform_work_group_size: 1
    .uses_dynamic_stack: false
    .vgpr_count:     0
    .vgpr_spill_count: 0
    .wavefront_size: 64
  - .agpr_count:     0
    .args:
      - .offset:         0
        .size:           96
        .value_kind:     by_value
    .group_segment_fixed_size: 0
    .kernarg_segment_align: 8
    .kernarg_segment_size: 96
    .language:       OpenCL C
    .language_version:
      - 2
      - 0
    .max_flat_workgroup_size: 256
    .name:           _ZN7rocprim17ROCPRIM_400000_NS6detail17trampoline_kernelINS0_14default_configENS1_20scan_config_selectorI11FixedVectorIiLj1EEEEZZNS1_9scan_implILNS1_25lookback_scan_determinismE0ELb0ELb0ES3_N6thrust23THRUST_200600_302600_NS6detail15normal_iteratorINSB_10device_ptrIS6_EEEESG_S6_NSB_4plusIvEES6_EEDaPvRmT3_T4_T5_mT6_P12ihipStream_tbENKUlT_T0_E_clISt17integral_constantIbLb1EESV_IbLb0EEEEDaSR_SS_EUlSR_E_NS1_11comp_targetILNS1_3genE2ELNS1_11target_archE906ELNS1_3gpuE6ELNS1_3repE0EEENS1_30default_config_static_selectorELNS0_4arch9wavefront6targetE1EEEvT1_
    .private_segment_fixed_size: 0
    .sgpr_count:     4
    .sgpr_spill_count: 0
    .symbol:         _ZN7rocprim17ROCPRIM_400000_NS6detail17trampoline_kernelINS0_14default_configENS1_20scan_config_selectorI11FixedVectorIiLj1EEEEZZNS1_9scan_implILNS1_25lookback_scan_determinismE0ELb0ELb0ES3_N6thrust23THRUST_200600_302600_NS6detail15normal_iteratorINSB_10device_ptrIS6_EEEESG_S6_NSB_4plusIvEES6_EEDaPvRmT3_T4_T5_mT6_P12ihipStream_tbENKUlT_T0_E_clISt17integral_constantIbLb1EESV_IbLb0EEEEDaSR_SS_EUlSR_E_NS1_11comp_targetILNS1_3genE2ELNS1_11target_archE906ELNS1_3gpuE6ELNS1_3repE0EEENS1_30default_config_static_selectorELNS0_4arch9wavefront6targetE1EEEvT1_.kd
    .uniform_work_group_size: 1
    .uses_dynamic_stack: false
    .vgpr_count:     0
    .vgpr_spill_count: 0
    .wavefront_size: 64
  - .agpr_count:     0
    .args:
      - .offset:         0
        .size:           96
        .value_kind:     by_value
    .group_segment_fixed_size: 0
    .kernarg_segment_align: 8
    .kernarg_segment_size: 96
    .language:       OpenCL C
    .language_version:
      - 2
      - 0
    .max_flat_workgroup_size: 256
    .name:           _ZN7rocprim17ROCPRIM_400000_NS6detail17trampoline_kernelINS0_14default_configENS1_20scan_config_selectorI11FixedVectorIiLj1EEEEZZNS1_9scan_implILNS1_25lookback_scan_determinismE0ELb0ELb0ES3_N6thrust23THRUST_200600_302600_NS6detail15normal_iteratorINSB_10device_ptrIS6_EEEESG_S6_NSB_4plusIvEES6_EEDaPvRmT3_T4_T5_mT6_P12ihipStream_tbENKUlT_T0_E_clISt17integral_constantIbLb1EESV_IbLb0EEEEDaSR_SS_EUlSR_E_NS1_11comp_targetILNS1_3genE10ELNS1_11target_archE1201ELNS1_3gpuE5ELNS1_3repE0EEENS1_30default_config_static_selectorELNS0_4arch9wavefront6targetE1EEEvT1_
    .private_segment_fixed_size: 0
    .sgpr_count:     4
    .sgpr_spill_count: 0
    .symbol:         _ZN7rocprim17ROCPRIM_400000_NS6detail17trampoline_kernelINS0_14default_configENS1_20scan_config_selectorI11FixedVectorIiLj1EEEEZZNS1_9scan_implILNS1_25lookback_scan_determinismE0ELb0ELb0ES3_N6thrust23THRUST_200600_302600_NS6detail15normal_iteratorINSB_10device_ptrIS6_EEEESG_S6_NSB_4plusIvEES6_EEDaPvRmT3_T4_T5_mT6_P12ihipStream_tbENKUlT_T0_E_clISt17integral_constantIbLb1EESV_IbLb0EEEEDaSR_SS_EUlSR_E_NS1_11comp_targetILNS1_3genE10ELNS1_11target_archE1201ELNS1_3gpuE5ELNS1_3repE0EEENS1_30default_config_static_selectorELNS0_4arch9wavefront6targetE1EEEvT1_.kd
    .uniform_work_group_size: 1
    .uses_dynamic_stack: false
    .vgpr_count:     0
    .vgpr_spill_count: 0
    .wavefront_size: 64
  - .agpr_count:     0
    .args:
      - .offset:         0
        .size:           96
        .value_kind:     by_value
    .group_segment_fixed_size: 0
    .kernarg_segment_align: 8
    .kernarg_segment_size: 96
    .language:       OpenCL C
    .language_version:
      - 2
      - 0
    .max_flat_workgroup_size: 256
    .name:           _ZN7rocprim17ROCPRIM_400000_NS6detail17trampoline_kernelINS0_14default_configENS1_20scan_config_selectorI11FixedVectorIiLj1EEEEZZNS1_9scan_implILNS1_25lookback_scan_determinismE0ELb0ELb0ES3_N6thrust23THRUST_200600_302600_NS6detail15normal_iteratorINSB_10device_ptrIS6_EEEESG_S6_NSB_4plusIvEES6_EEDaPvRmT3_T4_T5_mT6_P12ihipStream_tbENKUlT_T0_E_clISt17integral_constantIbLb1EESV_IbLb0EEEEDaSR_SS_EUlSR_E_NS1_11comp_targetILNS1_3genE10ELNS1_11target_archE1200ELNS1_3gpuE4ELNS1_3repE0EEENS1_30default_config_static_selectorELNS0_4arch9wavefront6targetE1EEEvT1_
    .private_segment_fixed_size: 0
    .sgpr_count:     4
    .sgpr_spill_count: 0
    .symbol:         _ZN7rocprim17ROCPRIM_400000_NS6detail17trampoline_kernelINS0_14default_configENS1_20scan_config_selectorI11FixedVectorIiLj1EEEEZZNS1_9scan_implILNS1_25lookback_scan_determinismE0ELb0ELb0ES3_N6thrust23THRUST_200600_302600_NS6detail15normal_iteratorINSB_10device_ptrIS6_EEEESG_S6_NSB_4plusIvEES6_EEDaPvRmT3_T4_T5_mT6_P12ihipStream_tbENKUlT_T0_E_clISt17integral_constantIbLb1EESV_IbLb0EEEEDaSR_SS_EUlSR_E_NS1_11comp_targetILNS1_3genE10ELNS1_11target_archE1200ELNS1_3gpuE4ELNS1_3repE0EEENS1_30default_config_static_selectorELNS0_4arch9wavefront6targetE1EEEvT1_.kd
    .uniform_work_group_size: 1
    .uses_dynamic_stack: false
    .vgpr_count:     0
    .vgpr_spill_count: 0
    .wavefront_size: 64
  - .agpr_count:     0
    .args:
      - .offset:         0
        .size:           96
        .value_kind:     by_value
    .group_segment_fixed_size: 0
    .kernarg_segment_align: 8
    .kernarg_segment_size: 96
    .language:       OpenCL C
    .language_version:
      - 2
      - 0
    .max_flat_workgroup_size: 256
    .name:           _ZN7rocprim17ROCPRIM_400000_NS6detail17trampoline_kernelINS0_14default_configENS1_20scan_config_selectorI11FixedVectorIiLj1EEEEZZNS1_9scan_implILNS1_25lookback_scan_determinismE0ELb0ELb0ES3_N6thrust23THRUST_200600_302600_NS6detail15normal_iteratorINSB_10device_ptrIS6_EEEESG_S6_NSB_4plusIvEES6_EEDaPvRmT3_T4_T5_mT6_P12ihipStream_tbENKUlT_T0_E_clISt17integral_constantIbLb1EESV_IbLb0EEEEDaSR_SS_EUlSR_E_NS1_11comp_targetILNS1_3genE9ELNS1_11target_archE1100ELNS1_3gpuE3ELNS1_3repE0EEENS1_30default_config_static_selectorELNS0_4arch9wavefront6targetE1EEEvT1_
    .private_segment_fixed_size: 0
    .sgpr_count:     4
    .sgpr_spill_count: 0
    .symbol:         _ZN7rocprim17ROCPRIM_400000_NS6detail17trampoline_kernelINS0_14default_configENS1_20scan_config_selectorI11FixedVectorIiLj1EEEEZZNS1_9scan_implILNS1_25lookback_scan_determinismE0ELb0ELb0ES3_N6thrust23THRUST_200600_302600_NS6detail15normal_iteratorINSB_10device_ptrIS6_EEEESG_S6_NSB_4plusIvEES6_EEDaPvRmT3_T4_T5_mT6_P12ihipStream_tbENKUlT_T0_E_clISt17integral_constantIbLb1EESV_IbLb0EEEEDaSR_SS_EUlSR_E_NS1_11comp_targetILNS1_3genE9ELNS1_11target_archE1100ELNS1_3gpuE3ELNS1_3repE0EEENS1_30default_config_static_selectorELNS0_4arch9wavefront6targetE1EEEvT1_.kd
    .uniform_work_group_size: 1
    .uses_dynamic_stack: false
    .vgpr_count:     0
    .vgpr_spill_count: 0
    .wavefront_size: 64
  - .agpr_count:     0
    .args:
      - .offset:         0
        .size:           96
        .value_kind:     by_value
    .group_segment_fixed_size: 0
    .kernarg_segment_align: 8
    .kernarg_segment_size: 96
    .language:       OpenCL C
    .language_version:
      - 2
      - 0
    .max_flat_workgroup_size: 64
    .name:           _ZN7rocprim17ROCPRIM_400000_NS6detail17trampoline_kernelINS0_14default_configENS1_20scan_config_selectorI11FixedVectorIiLj1EEEEZZNS1_9scan_implILNS1_25lookback_scan_determinismE0ELb0ELb0ES3_N6thrust23THRUST_200600_302600_NS6detail15normal_iteratorINSB_10device_ptrIS6_EEEESG_S6_NSB_4plusIvEES6_EEDaPvRmT3_T4_T5_mT6_P12ihipStream_tbENKUlT_T0_E_clISt17integral_constantIbLb1EESV_IbLb0EEEEDaSR_SS_EUlSR_E_NS1_11comp_targetILNS1_3genE8ELNS1_11target_archE1030ELNS1_3gpuE2ELNS1_3repE0EEENS1_30default_config_static_selectorELNS0_4arch9wavefront6targetE1EEEvT1_
    .private_segment_fixed_size: 0
    .sgpr_count:     4
    .sgpr_spill_count: 0
    .symbol:         _ZN7rocprim17ROCPRIM_400000_NS6detail17trampoline_kernelINS0_14default_configENS1_20scan_config_selectorI11FixedVectorIiLj1EEEEZZNS1_9scan_implILNS1_25lookback_scan_determinismE0ELb0ELb0ES3_N6thrust23THRUST_200600_302600_NS6detail15normal_iteratorINSB_10device_ptrIS6_EEEESG_S6_NSB_4plusIvEES6_EEDaPvRmT3_T4_T5_mT6_P12ihipStream_tbENKUlT_T0_E_clISt17integral_constantIbLb1EESV_IbLb0EEEEDaSR_SS_EUlSR_E_NS1_11comp_targetILNS1_3genE8ELNS1_11target_archE1030ELNS1_3gpuE2ELNS1_3repE0EEENS1_30default_config_static_selectorELNS0_4arch9wavefront6targetE1EEEvT1_.kd
    .uniform_work_group_size: 1
    .uses_dynamic_stack: false
    .vgpr_count:     0
    .vgpr_spill_count: 0
    .wavefront_size: 64
  - .agpr_count:     0
    .args:
      - .offset:         0
        .size:           32
        .value_kind:     by_value
    .group_segment_fixed_size: 0
    .kernarg_segment_align: 8
    .kernarg_segment_size: 32
    .language:       OpenCL C
    .language_version:
      - 2
      - 0
    .max_flat_workgroup_size: 256
    .name:           _ZN7rocprim17ROCPRIM_400000_NS6detail17trampoline_kernelINS0_14default_configENS1_20scan_config_selectorI11FixedVectorIiLj1EEEEZZNS1_9scan_implILNS1_25lookback_scan_determinismE0ELb0ELb0ES3_N6thrust23THRUST_200600_302600_NS6detail15normal_iteratorINSB_10device_ptrIS6_EEEESG_S6_NSB_4plusIvEES6_EEDaPvRmT3_T4_T5_mT6_P12ihipStream_tbENKUlT_T0_E_clISt17integral_constantIbLb1EESV_IbLb0EEEEDaSR_SS_EUlSR_E0_NS1_11comp_targetILNS1_3genE0ELNS1_11target_archE4294967295ELNS1_3gpuE0ELNS1_3repE0EEENS1_30default_config_static_selectorELNS0_4arch9wavefront6targetE1EEEvT1_
    .private_segment_fixed_size: 0
    .sgpr_count:     4
    .sgpr_spill_count: 0
    .symbol:         _ZN7rocprim17ROCPRIM_400000_NS6detail17trampoline_kernelINS0_14default_configENS1_20scan_config_selectorI11FixedVectorIiLj1EEEEZZNS1_9scan_implILNS1_25lookback_scan_determinismE0ELb0ELb0ES3_N6thrust23THRUST_200600_302600_NS6detail15normal_iteratorINSB_10device_ptrIS6_EEEESG_S6_NSB_4plusIvEES6_EEDaPvRmT3_T4_T5_mT6_P12ihipStream_tbENKUlT_T0_E_clISt17integral_constantIbLb1EESV_IbLb0EEEEDaSR_SS_EUlSR_E0_NS1_11comp_targetILNS1_3genE0ELNS1_11target_archE4294967295ELNS1_3gpuE0ELNS1_3repE0EEENS1_30default_config_static_selectorELNS0_4arch9wavefront6targetE1EEEvT1_.kd
    .uniform_work_group_size: 1
    .uses_dynamic_stack: false
    .vgpr_count:     0
    .vgpr_spill_count: 0
    .wavefront_size: 64
  - .agpr_count:     0
    .args:
      - .offset:         0
        .size:           32
        .value_kind:     by_value
    .group_segment_fixed_size: 0
    .kernarg_segment_align: 8
    .kernarg_segment_size: 32
    .language:       OpenCL C
    .language_version:
      - 2
      - 0
    .max_flat_workgroup_size: 256
    .name:           _ZN7rocprim17ROCPRIM_400000_NS6detail17trampoline_kernelINS0_14default_configENS1_20scan_config_selectorI11FixedVectorIiLj1EEEEZZNS1_9scan_implILNS1_25lookback_scan_determinismE0ELb0ELb0ES3_N6thrust23THRUST_200600_302600_NS6detail15normal_iteratorINSB_10device_ptrIS6_EEEESG_S6_NSB_4plusIvEES6_EEDaPvRmT3_T4_T5_mT6_P12ihipStream_tbENKUlT_T0_E_clISt17integral_constantIbLb1EESV_IbLb0EEEEDaSR_SS_EUlSR_E0_NS1_11comp_targetILNS1_3genE5ELNS1_11target_archE942ELNS1_3gpuE9ELNS1_3repE0EEENS1_30default_config_static_selectorELNS0_4arch9wavefront6targetE1EEEvT1_
    .private_segment_fixed_size: 0
    .sgpr_count:     4
    .sgpr_spill_count: 0
    .symbol:         _ZN7rocprim17ROCPRIM_400000_NS6detail17trampoline_kernelINS0_14default_configENS1_20scan_config_selectorI11FixedVectorIiLj1EEEEZZNS1_9scan_implILNS1_25lookback_scan_determinismE0ELb0ELb0ES3_N6thrust23THRUST_200600_302600_NS6detail15normal_iteratorINSB_10device_ptrIS6_EEEESG_S6_NSB_4plusIvEES6_EEDaPvRmT3_T4_T5_mT6_P12ihipStream_tbENKUlT_T0_E_clISt17integral_constantIbLb1EESV_IbLb0EEEEDaSR_SS_EUlSR_E0_NS1_11comp_targetILNS1_3genE5ELNS1_11target_archE942ELNS1_3gpuE9ELNS1_3repE0EEENS1_30default_config_static_selectorELNS0_4arch9wavefront6targetE1EEEvT1_.kd
    .uniform_work_group_size: 1
    .uses_dynamic_stack: false
    .vgpr_count:     0
    .vgpr_spill_count: 0
    .wavefront_size: 64
  - .agpr_count:     0
    .args:
      - .offset:         0
        .size:           32
        .value_kind:     by_value
    .group_segment_fixed_size: 5120
    .kernarg_segment_align: 8
    .kernarg_segment_size: 32
    .language:       OpenCL C
    .language_version:
      - 2
      - 0
    .max_flat_workgroup_size: 128
    .name:           _ZN7rocprim17ROCPRIM_400000_NS6detail17trampoline_kernelINS0_14default_configENS1_20scan_config_selectorI11FixedVectorIiLj1EEEEZZNS1_9scan_implILNS1_25lookback_scan_determinismE0ELb0ELb0ES3_N6thrust23THRUST_200600_302600_NS6detail15normal_iteratorINSB_10device_ptrIS6_EEEESG_S6_NSB_4plusIvEES6_EEDaPvRmT3_T4_T5_mT6_P12ihipStream_tbENKUlT_T0_E_clISt17integral_constantIbLb1EESV_IbLb0EEEEDaSR_SS_EUlSR_E0_NS1_11comp_targetILNS1_3genE4ELNS1_11target_archE910ELNS1_3gpuE8ELNS1_3repE0EEENS1_30default_config_static_selectorELNS0_4arch9wavefront6targetE1EEEvT1_
    .private_segment_fixed_size: 0
    .sgpr_count:     28
    .sgpr_spill_count: 0
    .symbol:         _ZN7rocprim17ROCPRIM_400000_NS6detail17trampoline_kernelINS0_14default_configENS1_20scan_config_selectorI11FixedVectorIiLj1EEEEZZNS1_9scan_implILNS1_25lookback_scan_determinismE0ELb0ELb0ES3_N6thrust23THRUST_200600_302600_NS6detail15normal_iteratorINSB_10device_ptrIS6_EEEESG_S6_NSB_4plusIvEES6_EEDaPvRmT3_T4_T5_mT6_P12ihipStream_tbENKUlT_T0_E_clISt17integral_constantIbLb1EESV_IbLb0EEEEDaSR_SS_EUlSR_E0_NS1_11comp_targetILNS1_3genE4ELNS1_11target_archE910ELNS1_3gpuE8ELNS1_3repE0EEENS1_30default_config_static_selectorELNS0_4arch9wavefront6targetE1EEEvT1_.kd
    .uniform_work_group_size: 1
    .uses_dynamic_stack: false
    .vgpr_count:     27
    .vgpr_spill_count: 0
    .wavefront_size: 64
  - .agpr_count:     0
    .args:
      - .offset:         0
        .size:           32
        .value_kind:     by_value
    .group_segment_fixed_size: 0
    .kernarg_segment_align: 8
    .kernarg_segment_size: 32
    .language:       OpenCL C
    .language_version:
      - 2
      - 0
    .max_flat_workgroup_size: 256
    .name:           _ZN7rocprim17ROCPRIM_400000_NS6detail17trampoline_kernelINS0_14default_configENS1_20scan_config_selectorI11FixedVectorIiLj1EEEEZZNS1_9scan_implILNS1_25lookback_scan_determinismE0ELb0ELb0ES3_N6thrust23THRUST_200600_302600_NS6detail15normal_iteratorINSB_10device_ptrIS6_EEEESG_S6_NSB_4plusIvEES6_EEDaPvRmT3_T4_T5_mT6_P12ihipStream_tbENKUlT_T0_E_clISt17integral_constantIbLb1EESV_IbLb0EEEEDaSR_SS_EUlSR_E0_NS1_11comp_targetILNS1_3genE3ELNS1_11target_archE908ELNS1_3gpuE7ELNS1_3repE0EEENS1_30default_config_static_selectorELNS0_4arch9wavefront6targetE1EEEvT1_
    .private_segment_fixed_size: 0
    .sgpr_count:     4
    .sgpr_spill_count: 0
    .symbol:         _ZN7rocprim17ROCPRIM_400000_NS6detail17trampoline_kernelINS0_14default_configENS1_20scan_config_selectorI11FixedVectorIiLj1EEEEZZNS1_9scan_implILNS1_25lookback_scan_determinismE0ELb0ELb0ES3_N6thrust23THRUST_200600_302600_NS6detail15normal_iteratorINSB_10device_ptrIS6_EEEESG_S6_NSB_4plusIvEES6_EEDaPvRmT3_T4_T5_mT6_P12ihipStream_tbENKUlT_T0_E_clISt17integral_constantIbLb1EESV_IbLb0EEEEDaSR_SS_EUlSR_E0_NS1_11comp_targetILNS1_3genE3ELNS1_11target_archE908ELNS1_3gpuE7ELNS1_3repE0EEENS1_30default_config_static_selectorELNS0_4arch9wavefront6targetE1EEEvT1_.kd
    .uniform_work_group_size: 1
    .uses_dynamic_stack: false
    .vgpr_count:     0
    .vgpr_spill_count: 0
    .wavefront_size: 64
  - .agpr_count:     0
    .args:
      - .offset:         0
        .size:           32
        .value_kind:     by_value
    .group_segment_fixed_size: 0
    .kernarg_segment_align: 8
    .kernarg_segment_size: 32
    .language:       OpenCL C
    .language_version:
      - 2
      - 0
    .max_flat_workgroup_size: 256
    .name:           _ZN7rocprim17ROCPRIM_400000_NS6detail17trampoline_kernelINS0_14default_configENS1_20scan_config_selectorI11FixedVectorIiLj1EEEEZZNS1_9scan_implILNS1_25lookback_scan_determinismE0ELb0ELb0ES3_N6thrust23THRUST_200600_302600_NS6detail15normal_iteratorINSB_10device_ptrIS6_EEEESG_S6_NSB_4plusIvEES6_EEDaPvRmT3_T4_T5_mT6_P12ihipStream_tbENKUlT_T0_E_clISt17integral_constantIbLb1EESV_IbLb0EEEEDaSR_SS_EUlSR_E0_NS1_11comp_targetILNS1_3genE2ELNS1_11target_archE906ELNS1_3gpuE6ELNS1_3repE0EEENS1_30default_config_static_selectorELNS0_4arch9wavefront6targetE1EEEvT1_
    .private_segment_fixed_size: 0
    .sgpr_count:     4
    .sgpr_spill_count: 0
    .symbol:         _ZN7rocprim17ROCPRIM_400000_NS6detail17trampoline_kernelINS0_14default_configENS1_20scan_config_selectorI11FixedVectorIiLj1EEEEZZNS1_9scan_implILNS1_25lookback_scan_determinismE0ELb0ELb0ES3_N6thrust23THRUST_200600_302600_NS6detail15normal_iteratorINSB_10device_ptrIS6_EEEESG_S6_NSB_4plusIvEES6_EEDaPvRmT3_T4_T5_mT6_P12ihipStream_tbENKUlT_T0_E_clISt17integral_constantIbLb1EESV_IbLb0EEEEDaSR_SS_EUlSR_E0_NS1_11comp_targetILNS1_3genE2ELNS1_11target_archE906ELNS1_3gpuE6ELNS1_3repE0EEENS1_30default_config_static_selectorELNS0_4arch9wavefront6targetE1EEEvT1_.kd
    .uniform_work_group_size: 1
    .uses_dynamic_stack: false
    .vgpr_count:     0
    .vgpr_spill_count: 0
    .wavefront_size: 64
  - .agpr_count:     0
    .args:
      - .offset:         0
        .size:           32
        .value_kind:     by_value
    .group_segment_fixed_size: 0
    .kernarg_segment_align: 8
    .kernarg_segment_size: 32
    .language:       OpenCL C
    .language_version:
      - 2
      - 0
    .max_flat_workgroup_size: 256
    .name:           _ZN7rocprim17ROCPRIM_400000_NS6detail17trampoline_kernelINS0_14default_configENS1_20scan_config_selectorI11FixedVectorIiLj1EEEEZZNS1_9scan_implILNS1_25lookback_scan_determinismE0ELb0ELb0ES3_N6thrust23THRUST_200600_302600_NS6detail15normal_iteratorINSB_10device_ptrIS6_EEEESG_S6_NSB_4plusIvEES6_EEDaPvRmT3_T4_T5_mT6_P12ihipStream_tbENKUlT_T0_E_clISt17integral_constantIbLb1EESV_IbLb0EEEEDaSR_SS_EUlSR_E0_NS1_11comp_targetILNS1_3genE10ELNS1_11target_archE1201ELNS1_3gpuE5ELNS1_3repE0EEENS1_30default_config_static_selectorELNS0_4arch9wavefront6targetE1EEEvT1_
    .private_segment_fixed_size: 0
    .sgpr_count:     4
    .sgpr_spill_count: 0
    .symbol:         _ZN7rocprim17ROCPRIM_400000_NS6detail17trampoline_kernelINS0_14default_configENS1_20scan_config_selectorI11FixedVectorIiLj1EEEEZZNS1_9scan_implILNS1_25lookback_scan_determinismE0ELb0ELb0ES3_N6thrust23THRUST_200600_302600_NS6detail15normal_iteratorINSB_10device_ptrIS6_EEEESG_S6_NSB_4plusIvEES6_EEDaPvRmT3_T4_T5_mT6_P12ihipStream_tbENKUlT_T0_E_clISt17integral_constantIbLb1EESV_IbLb0EEEEDaSR_SS_EUlSR_E0_NS1_11comp_targetILNS1_3genE10ELNS1_11target_archE1201ELNS1_3gpuE5ELNS1_3repE0EEENS1_30default_config_static_selectorELNS0_4arch9wavefront6targetE1EEEvT1_.kd
    .uniform_work_group_size: 1
    .uses_dynamic_stack: false
    .vgpr_count:     0
    .vgpr_spill_count: 0
    .wavefront_size: 64
  - .agpr_count:     0
    .args:
      - .offset:         0
        .size:           32
        .value_kind:     by_value
    .group_segment_fixed_size: 0
    .kernarg_segment_align: 8
    .kernarg_segment_size: 32
    .language:       OpenCL C
    .language_version:
      - 2
      - 0
    .max_flat_workgroup_size: 256
    .name:           _ZN7rocprim17ROCPRIM_400000_NS6detail17trampoline_kernelINS0_14default_configENS1_20scan_config_selectorI11FixedVectorIiLj1EEEEZZNS1_9scan_implILNS1_25lookback_scan_determinismE0ELb0ELb0ES3_N6thrust23THRUST_200600_302600_NS6detail15normal_iteratorINSB_10device_ptrIS6_EEEESG_S6_NSB_4plusIvEES6_EEDaPvRmT3_T4_T5_mT6_P12ihipStream_tbENKUlT_T0_E_clISt17integral_constantIbLb1EESV_IbLb0EEEEDaSR_SS_EUlSR_E0_NS1_11comp_targetILNS1_3genE10ELNS1_11target_archE1200ELNS1_3gpuE4ELNS1_3repE0EEENS1_30default_config_static_selectorELNS0_4arch9wavefront6targetE1EEEvT1_
    .private_segment_fixed_size: 0
    .sgpr_count:     4
    .sgpr_spill_count: 0
    .symbol:         _ZN7rocprim17ROCPRIM_400000_NS6detail17trampoline_kernelINS0_14default_configENS1_20scan_config_selectorI11FixedVectorIiLj1EEEEZZNS1_9scan_implILNS1_25lookback_scan_determinismE0ELb0ELb0ES3_N6thrust23THRUST_200600_302600_NS6detail15normal_iteratorINSB_10device_ptrIS6_EEEESG_S6_NSB_4plusIvEES6_EEDaPvRmT3_T4_T5_mT6_P12ihipStream_tbENKUlT_T0_E_clISt17integral_constantIbLb1EESV_IbLb0EEEEDaSR_SS_EUlSR_E0_NS1_11comp_targetILNS1_3genE10ELNS1_11target_archE1200ELNS1_3gpuE4ELNS1_3repE0EEENS1_30default_config_static_selectorELNS0_4arch9wavefront6targetE1EEEvT1_.kd
    .uniform_work_group_size: 1
    .uses_dynamic_stack: false
    .vgpr_count:     0
    .vgpr_spill_count: 0
    .wavefront_size: 64
  - .agpr_count:     0
    .args:
      - .offset:         0
        .size:           32
        .value_kind:     by_value
    .group_segment_fixed_size: 0
    .kernarg_segment_align: 8
    .kernarg_segment_size: 32
    .language:       OpenCL C
    .language_version:
      - 2
      - 0
    .max_flat_workgroup_size: 256
    .name:           _ZN7rocprim17ROCPRIM_400000_NS6detail17trampoline_kernelINS0_14default_configENS1_20scan_config_selectorI11FixedVectorIiLj1EEEEZZNS1_9scan_implILNS1_25lookback_scan_determinismE0ELb0ELb0ES3_N6thrust23THRUST_200600_302600_NS6detail15normal_iteratorINSB_10device_ptrIS6_EEEESG_S6_NSB_4plusIvEES6_EEDaPvRmT3_T4_T5_mT6_P12ihipStream_tbENKUlT_T0_E_clISt17integral_constantIbLb1EESV_IbLb0EEEEDaSR_SS_EUlSR_E0_NS1_11comp_targetILNS1_3genE9ELNS1_11target_archE1100ELNS1_3gpuE3ELNS1_3repE0EEENS1_30default_config_static_selectorELNS0_4arch9wavefront6targetE1EEEvT1_
    .private_segment_fixed_size: 0
    .sgpr_count:     4
    .sgpr_spill_count: 0
    .symbol:         _ZN7rocprim17ROCPRIM_400000_NS6detail17trampoline_kernelINS0_14default_configENS1_20scan_config_selectorI11FixedVectorIiLj1EEEEZZNS1_9scan_implILNS1_25lookback_scan_determinismE0ELb0ELb0ES3_N6thrust23THRUST_200600_302600_NS6detail15normal_iteratorINSB_10device_ptrIS6_EEEESG_S6_NSB_4plusIvEES6_EEDaPvRmT3_T4_T5_mT6_P12ihipStream_tbENKUlT_T0_E_clISt17integral_constantIbLb1EESV_IbLb0EEEEDaSR_SS_EUlSR_E0_NS1_11comp_targetILNS1_3genE9ELNS1_11target_archE1100ELNS1_3gpuE3ELNS1_3repE0EEENS1_30default_config_static_selectorELNS0_4arch9wavefront6targetE1EEEvT1_.kd
    .uniform_work_group_size: 1
    .uses_dynamic_stack: false
    .vgpr_count:     0
    .vgpr_spill_count: 0
    .wavefront_size: 64
  - .agpr_count:     0
    .args:
      - .offset:         0
        .size:           32
        .value_kind:     by_value
    .group_segment_fixed_size: 0
    .kernarg_segment_align: 8
    .kernarg_segment_size: 32
    .language:       OpenCL C
    .language_version:
      - 2
      - 0
    .max_flat_workgroup_size: 64
    .name:           _ZN7rocprim17ROCPRIM_400000_NS6detail17trampoline_kernelINS0_14default_configENS1_20scan_config_selectorI11FixedVectorIiLj1EEEEZZNS1_9scan_implILNS1_25lookback_scan_determinismE0ELb0ELb0ES3_N6thrust23THRUST_200600_302600_NS6detail15normal_iteratorINSB_10device_ptrIS6_EEEESG_S6_NSB_4plusIvEES6_EEDaPvRmT3_T4_T5_mT6_P12ihipStream_tbENKUlT_T0_E_clISt17integral_constantIbLb1EESV_IbLb0EEEEDaSR_SS_EUlSR_E0_NS1_11comp_targetILNS1_3genE8ELNS1_11target_archE1030ELNS1_3gpuE2ELNS1_3repE0EEENS1_30default_config_static_selectorELNS0_4arch9wavefront6targetE1EEEvT1_
    .private_segment_fixed_size: 0
    .sgpr_count:     4
    .sgpr_spill_count: 0
    .symbol:         _ZN7rocprim17ROCPRIM_400000_NS6detail17trampoline_kernelINS0_14default_configENS1_20scan_config_selectorI11FixedVectorIiLj1EEEEZZNS1_9scan_implILNS1_25lookback_scan_determinismE0ELb0ELb0ES3_N6thrust23THRUST_200600_302600_NS6detail15normal_iteratorINSB_10device_ptrIS6_EEEESG_S6_NSB_4plusIvEES6_EEDaPvRmT3_T4_T5_mT6_P12ihipStream_tbENKUlT_T0_E_clISt17integral_constantIbLb1EESV_IbLb0EEEEDaSR_SS_EUlSR_E0_NS1_11comp_targetILNS1_3genE8ELNS1_11target_archE1030ELNS1_3gpuE2ELNS1_3repE0EEENS1_30default_config_static_selectorELNS0_4arch9wavefront6targetE1EEEvT1_.kd
    .uniform_work_group_size: 1
    .uses_dynamic_stack: false
    .vgpr_count:     0
    .vgpr_spill_count: 0
    .wavefront_size: 64
  - .agpr_count:     0
    .args:
      - .address_space:  global
        .offset:         0
        .size:           8
        .value_kind:     global_buffer
      - .offset:         8
        .size:           4
        .value_kind:     by_value
      - .address_space:  global
        .offset:         16
        .size:           8
        .value_kind:     global_buffer
      - .offset:         24
        .size:           4
        .value_kind:     by_value
      - .address_space:  global
        .offset:         32
        .size:           8
        .value_kind:     global_buffer
      - .offset:         40
        .size:           4
        .value_kind:     hidden_block_count_x
      - .offset:         44
        .size:           4
        .value_kind:     hidden_block_count_y
      - .offset:         48
        .size:           4
        .value_kind:     hidden_block_count_z
      - .offset:         52
        .size:           2
        .value_kind:     hidden_group_size_x
      - .offset:         54
        .size:           2
        .value_kind:     hidden_group_size_y
      - .offset:         56
        .size:           2
        .value_kind:     hidden_group_size_z
      - .offset:         58
        .size:           2
        .value_kind:     hidden_remainder_x
      - .offset:         60
        .size:           2
        .value_kind:     hidden_remainder_y
      - .offset:         62
        .size:           2
        .value_kind:     hidden_remainder_z
      - .offset:         80
        .size:           8
        .value_kind:     hidden_global_offset_x
      - .offset:         88
        .size:           8
        .value_kind:     hidden_global_offset_y
      - .offset:         96
        .size:           8
        .value_kind:     hidden_global_offset_z
      - .offset:         104
        .size:           2
        .value_kind:     hidden_grid_dims
    .group_segment_fixed_size: 0
    .kernarg_segment_align: 8
    .kernarg_segment_size: 296
    .language:       OpenCL C
    .language_version:
      - 2
      - 0
    .max_flat_workgroup_size: 256
    .name:           _ZN7rocprim17ROCPRIM_400000_NS6detail31init_lookback_scan_state_kernelINS1_19lookback_scan_stateI11FixedVectorIiLj1EELb0ELb1EEENS1_16block_id_wrapperIjLb1EEEEEvT_jT0_jPNS9_10value_typeE
    .private_segment_fixed_size: 0
    .sgpr_count:     15
    .sgpr_spill_count: 0
    .symbol:         _ZN7rocprim17ROCPRIM_400000_NS6detail31init_lookback_scan_state_kernelINS1_19lookback_scan_stateI11FixedVectorIiLj1EELb0ELb1EEENS1_16block_id_wrapperIjLb1EEEEEvT_jT0_jPNS9_10value_typeE.kd
    .uniform_work_group_size: 1
    .uses_dynamic_stack: false
    .vgpr_count:     6
    .vgpr_spill_count: 0
    .wavefront_size: 64
  - .agpr_count:     0
    .args:
      - .offset:         0
        .size:           96
        .value_kind:     by_value
    .group_segment_fixed_size: 0
    .kernarg_segment_align: 8
    .kernarg_segment_size: 96
    .language:       OpenCL C
    .language_version:
      - 2
      - 0
    .max_flat_workgroup_size: 256
    .name:           _ZN7rocprim17ROCPRIM_400000_NS6detail17trampoline_kernelINS0_14default_configENS1_20scan_config_selectorI11FixedVectorIiLj1EEEEZZNS1_9scan_implILNS1_25lookback_scan_determinismE0ELb0ELb0ES3_N6thrust23THRUST_200600_302600_NS6detail15normal_iteratorINSB_10device_ptrIS6_EEEESG_S6_NSB_4plusIvEES6_EEDaPvRmT3_T4_T5_mT6_P12ihipStream_tbENKUlT_T0_E_clISt17integral_constantIbLb0EESV_IbLb1EEEEDaSR_SS_EUlSR_E_NS1_11comp_targetILNS1_3genE0ELNS1_11target_archE4294967295ELNS1_3gpuE0ELNS1_3repE0EEENS1_30default_config_static_selectorELNS0_4arch9wavefront6targetE1EEEvT1_
    .private_segment_fixed_size: 0
    .sgpr_count:     4
    .sgpr_spill_count: 0
    .symbol:         _ZN7rocprim17ROCPRIM_400000_NS6detail17trampoline_kernelINS0_14default_configENS1_20scan_config_selectorI11FixedVectorIiLj1EEEEZZNS1_9scan_implILNS1_25lookback_scan_determinismE0ELb0ELb0ES3_N6thrust23THRUST_200600_302600_NS6detail15normal_iteratorINSB_10device_ptrIS6_EEEESG_S6_NSB_4plusIvEES6_EEDaPvRmT3_T4_T5_mT6_P12ihipStream_tbENKUlT_T0_E_clISt17integral_constantIbLb0EESV_IbLb1EEEEDaSR_SS_EUlSR_E_NS1_11comp_targetILNS1_3genE0ELNS1_11target_archE4294967295ELNS1_3gpuE0ELNS1_3repE0EEENS1_30default_config_static_selectorELNS0_4arch9wavefront6targetE1EEEvT1_.kd
    .uniform_work_group_size: 1
    .uses_dynamic_stack: false
    .vgpr_count:     0
    .vgpr_spill_count: 0
    .wavefront_size: 64
  - .agpr_count:     0
    .args:
      - .offset:         0
        .size:           96
        .value_kind:     by_value
    .group_segment_fixed_size: 0
    .kernarg_segment_align: 8
    .kernarg_segment_size: 96
    .language:       OpenCL C
    .language_version:
      - 2
      - 0
    .max_flat_workgroup_size: 256
    .name:           _ZN7rocprim17ROCPRIM_400000_NS6detail17trampoline_kernelINS0_14default_configENS1_20scan_config_selectorI11FixedVectorIiLj1EEEEZZNS1_9scan_implILNS1_25lookback_scan_determinismE0ELb0ELb0ES3_N6thrust23THRUST_200600_302600_NS6detail15normal_iteratorINSB_10device_ptrIS6_EEEESG_S6_NSB_4plusIvEES6_EEDaPvRmT3_T4_T5_mT6_P12ihipStream_tbENKUlT_T0_E_clISt17integral_constantIbLb0EESV_IbLb1EEEEDaSR_SS_EUlSR_E_NS1_11comp_targetILNS1_3genE5ELNS1_11target_archE942ELNS1_3gpuE9ELNS1_3repE0EEENS1_30default_config_static_selectorELNS0_4arch9wavefront6targetE1EEEvT1_
    .private_segment_fixed_size: 0
    .sgpr_count:     4
    .sgpr_spill_count: 0
    .symbol:         _ZN7rocprim17ROCPRIM_400000_NS6detail17trampoline_kernelINS0_14default_configENS1_20scan_config_selectorI11FixedVectorIiLj1EEEEZZNS1_9scan_implILNS1_25lookback_scan_determinismE0ELb0ELb0ES3_N6thrust23THRUST_200600_302600_NS6detail15normal_iteratorINSB_10device_ptrIS6_EEEESG_S6_NSB_4plusIvEES6_EEDaPvRmT3_T4_T5_mT6_P12ihipStream_tbENKUlT_T0_E_clISt17integral_constantIbLb0EESV_IbLb1EEEEDaSR_SS_EUlSR_E_NS1_11comp_targetILNS1_3genE5ELNS1_11target_archE942ELNS1_3gpuE9ELNS1_3repE0EEENS1_30default_config_static_selectorELNS0_4arch9wavefront6targetE1EEEvT1_.kd
    .uniform_work_group_size: 1
    .uses_dynamic_stack: false
    .vgpr_count:     0
    .vgpr_spill_count: 0
    .wavefront_size: 64
  - .agpr_count:     0
    .args:
      - .offset:         0
        .size:           96
        .value_kind:     by_value
    .group_segment_fixed_size: 5120
    .kernarg_segment_align: 8
    .kernarg_segment_size: 96
    .language:       OpenCL C
    .language_version:
      - 2
      - 0
    .max_flat_workgroup_size: 128
    .name:           _ZN7rocprim17ROCPRIM_400000_NS6detail17trampoline_kernelINS0_14default_configENS1_20scan_config_selectorI11FixedVectorIiLj1EEEEZZNS1_9scan_implILNS1_25lookback_scan_determinismE0ELb0ELb0ES3_N6thrust23THRUST_200600_302600_NS6detail15normal_iteratorINSB_10device_ptrIS6_EEEESG_S6_NSB_4plusIvEES6_EEDaPvRmT3_T4_T5_mT6_P12ihipStream_tbENKUlT_T0_E_clISt17integral_constantIbLb0EESV_IbLb1EEEEDaSR_SS_EUlSR_E_NS1_11comp_targetILNS1_3genE4ELNS1_11target_archE910ELNS1_3gpuE8ELNS1_3repE0EEENS1_30default_config_static_selectorELNS0_4arch9wavefront6targetE1EEEvT1_
    .private_segment_fixed_size: 0
    .sgpr_count:     40
    .sgpr_spill_count: 0
    .symbol:         _ZN7rocprim17ROCPRIM_400000_NS6detail17trampoline_kernelINS0_14default_configENS1_20scan_config_selectorI11FixedVectorIiLj1EEEEZZNS1_9scan_implILNS1_25lookback_scan_determinismE0ELb0ELb0ES3_N6thrust23THRUST_200600_302600_NS6detail15normal_iteratorINSB_10device_ptrIS6_EEEESG_S6_NSB_4plusIvEES6_EEDaPvRmT3_T4_T5_mT6_P12ihipStream_tbENKUlT_T0_E_clISt17integral_constantIbLb0EESV_IbLb1EEEEDaSR_SS_EUlSR_E_NS1_11comp_targetILNS1_3genE4ELNS1_11target_archE910ELNS1_3gpuE8ELNS1_3repE0EEENS1_30default_config_static_selectorELNS0_4arch9wavefront6targetE1EEEvT1_.kd
    .uniform_work_group_size: 1
    .uses_dynamic_stack: false
    .vgpr_count:     40
    .vgpr_spill_count: 0
    .wavefront_size: 64
  - .agpr_count:     0
    .args:
      - .offset:         0
        .size:           96
        .value_kind:     by_value
    .group_segment_fixed_size: 0
    .kernarg_segment_align: 8
    .kernarg_segment_size: 96
    .language:       OpenCL C
    .language_version:
      - 2
      - 0
    .max_flat_workgroup_size: 256
    .name:           _ZN7rocprim17ROCPRIM_400000_NS6detail17trampoline_kernelINS0_14default_configENS1_20scan_config_selectorI11FixedVectorIiLj1EEEEZZNS1_9scan_implILNS1_25lookback_scan_determinismE0ELb0ELb0ES3_N6thrust23THRUST_200600_302600_NS6detail15normal_iteratorINSB_10device_ptrIS6_EEEESG_S6_NSB_4plusIvEES6_EEDaPvRmT3_T4_T5_mT6_P12ihipStream_tbENKUlT_T0_E_clISt17integral_constantIbLb0EESV_IbLb1EEEEDaSR_SS_EUlSR_E_NS1_11comp_targetILNS1_3genE3ELNS1_11target_archE908ELNS1_3gpuE7ELNS1_3repE0EEENS1_30default_config_static_selectorELNS0_4arch9wavefront6targetE1EEEvT1_
    .private_segment_fixed_size: 0
    .sgpr_count:     4
    .sgpr_spill_count: 0
    .symbol:         _ZN7rocprim17ROCPRIM_400000_NS6detail17trampoline_kernelINS0_14default_configENS1_20scan_config_selectorI11FixedVectorIiLj1EEEEZZNS1_9scan_implILNS1_25lookback_scan_determinismE0ELb0ELb0ES3_N6thrust23THRUST_200600_302600_NS6detail15normal_iteratorINSB_10device_ptrIS6_EEEESG_S6_NSB_4plusIvEES6_EEDaPvRmT3_T4_T5_mT6_P12ihipStream_tbENKUlT_T0_E_clISt17integral_constantIbLb0EESV_IbLb1EEEEDaSR_SS_EUlSR_E_NS1_11comp_targetILNS1_3genE3ELNS1_11target_archE908ELNS1_3gpuE7ELNS1_3repE0EEENS1_30default_config_static_selectorELNS0_4arch9wavefront6targetE1EEEvT1_.kd
    .uniform_work_group_size: 1
    .uses_dynamic_stack: false
    .vgpr_count:     0
    .vgpr_spill_count: 0
    .wavefront_size: 64
  - .agpr_count:     0
    .args:
      - .offset:         0
        .size:           96
        .value_kind:     by_value
    .group_segment_fixed_size: 0
    .kernarg_segment_align: 8
    .kernarg_segment_size: 96
    .language:       OpenCL C
    .language_version:
      - 2
      - 0
    .max_flat_workgroup_size: 256
    .name:           _ZN7rocprim17ROCPRIM_400000_NS6detail17trampoline_kernelINS0_14default_configENS1_20scan_config_selectorI11FixedVectorIiLj1EEEEZZNS1_9scan_implILNS1_25lookback_scan_determinismE0ELb0ELb0ES3_N6thrust23THRUST_200600_302600_NS6detail15normal_iteratorINSB_10device_ptrIS6_EEEESG_S6_NSB_4plusIvEES6_EEDaPvRmT3_T4_T5_mT6_P12ihipStream_tbENKUlT_T0_E_clISt17integral_constantIbLb0EESV_IbLb1EEEEDaSR_SS_EUlSR_E_NS1_11comp_targetILNS1_3genE2ELNS1_11target_archE906ELNS1_3gpuE6ELNS1_3repE0EEENS1_30default_config_static_selectorELNS0_4arch9wavefront6targetE1EEEvT1_
    .private_segment_fixed_size: 0
    .sgpr_count:     4
    .sgpr_spill_count: 0
    .symbol:         _ZN7rocprim17ROCPRIM_400000_NS6detail17trampoline_kernelINS0_14default_configENS1_20scan_config_selectorI11FixedVectorIiLj1EEEEZZNS1_9scan_implILNS1_25lookback_scan_determinismE0ELb0ELb0ES3_N6thrust23THRUST_200600_302600_NS6detail15normal_iteratorINSB_10device_ptrIS6_EEEESG_S6_NSB_4plusIvEES6_EEDaPvRmT3_T4_T5_mT6_P12ihipStream_tbENKUlT_T0_E_clISt17integral_constantIbLb0EESV_IbLb1EEEEDaSR_SS_EUlSR_E_NS1_11comp_targetILNS1_3genE2ELNS1_11target_archE906ELNS1_3gpuE6ELNS1_3repE0EEENS1_30default_config_static_selectorELNS0_4arch9wavefront6targetE1EEEvT1_.kd
    .uniform_work_group_size: 1
    .uses_dynamic_stack: false
    .vgpr_count:     0
    .vgpr_spill_count: 0
    .wavefront_size: 64
  - .agpr_count:     0
    .args:
      - .offset:         0
        .size:           96
        .value_kind:     by_value
    .group_segment_fixed_size: 0
    .kernarg_segment_align: 8
    .kernarg_segment_size: 96
    .language:       OpenCL C
    .language_version:
      - 2
      - 0
    .max_flat_workgroup_size: 256
    .name:           _ZN7rocprim17ROCPRIM_400000_NS6detail17trampoline_kernelINS0_14default_configENS1_20scan_config_selectorI11FixedVectorIiLj1EEEEZZNS1_9scan_implILNS1_25lookback_scan_determinismE0ELb0ELb0ES3_N6thrust23THRUST_200600_302600_NS6detail15normal_iteratorINSB_10device_ptrIS6_EEEESG_S6_NSB_4plusIvEES6_EEDaPvRmT3_T4_T5_mT6_P12ihipStream_tbENKUlT_T0_E_clISt17integral_constantIbLb0EESV_IbLb1EEEEDaSR_SS_EUlSR_E_NS1_11comp_targetILNS1_3genE10ELNS1_11target_archE1201ELNS1_3gpuE5ELNS1_3repE0EEENS1_30default_config_static_selectorELNS0_4arch9wavefront6targetE1EEEvT1_
    .private_segment_fixed_size: 0
    .sgpr_count:     4
    .sgpr_spill_count: 0
    .symbol:         _ZN7rocprim17ROCPRIM_400000_NS6detail17trampoline_kernelINS0_14default_configENS1_20scan_config_selectorI11FixedVectorIiLj1EEEEZZNS1_9scan_implILNS1_25lookback_scan_determinismE0ELb0ELb0ES3_N6thrust23THRUST_200600_302600_NS6detail15normal_iteratorINSB_10device_ptrIS6_EEEESG_S6_NSB_4plusIvEES6_EEDaPvRmT3_T4_T5_mT6_P12ihipStream_tbENKUlT_T0_E_clISt17integral_constantIbLb0EESV_IbLb1EEEEDaSR_SS_EUlSR_E_NS1_11comp_targetILNS1_3genE10ELNS1_11target_archE1201ELNS1_3gpuE5ELNS1_3repE0EEENS1_30default_config_static_selectorELNS0_4arch9wavefront6targetE1EEEvT1_.kd
    .uniform_work_group_size: 1
    .uses_dynamic_stack: false
    .vgpr_count:     0
    .vgpr_spill_count: 0
    .wavefront_size: 64
  - .agpr_count:     0
    .args:
      - .offset:         0
        .size:           96
        .value_kind:     by_value
    .group_segment_fixed_size: 0
    .kernarg_segment_align: 8
    .kernarg_segment_size: 96
    .language:       OpenCL C
    .language_version:
      - 2
      - 0
    .max_flat_workgroup_size: 256
    .name:           _ZN7rocprim17ROCPRIM_400000_NS6detail17trampoline_kernelINS0_14default_configENS1_20scan_config_selectorI11FixedVectorIiLj1EEEEZZNS1_9scan_implILNS1_25lookback_scan_determinismE0ELb0ELb0ES3_N6thrust23THRUST_200600_302600_NS6detail15normal_iteratorINSB_10device_ptrIS6_EEEESG_S6_NSB_4plusIvEES6_EEDaPvRmT3_T4_T5_mT6_P12ihipStream_tbENKUlT_T0_E_clISt17integral_constantIbLb0EESV_IbLb1EEEEDaSR_SS_EUlSR_E_NS1_11comp_targetILNS1_3genE10ELNS1_11target_archE1200ELNS1_3gpuE4ELNS1_3repE0EEENS1_30default_config_static_selectorELNS0_4arch9wavefront6targetE1EEEvT1_
    .private_segment_fixed_size: 0
    .sgpr_count:     4
    .sgpr_spill_count: 0
    .symbol:         _ZN7rocprim17ROCPRIM_400000_NS6detail17trampoline_kernelINS0_14default_configENS1_20scan_config_selectorI11FixedVectorIiLj1EEEEZZNS1_9scan_implILNS1_25lookback_scan_determinismE0ELb0ELb0ES3_N6thrust23THRUST_200600_302600_NS6detail15normal_iteratorINSB_10device_ptrIS6_EEEESG_S6_NSB_4plusIvEES6_EEDaPvRmT3_T4_T5_mT6_P12ihipStream_tbENKUlT_T0_E_clISt17integral_constantIbLb0EESV_IbLb1EEEEDaSR_SS_EUlSR_E_NS1_11comp_targetILNS1_3genE10ELNS1_11target_archE1200ELNS1_3gpuE4ELNS1_3repE0EEENS1_30default_config_static_selectorELNS0_4arch9wavefront6targetE1EEEvT1_.kd
    .uniform_work_group_size: 1
    .uses_dynamic_stack: false
    .vgpr_count:     0
    .vgpr_spill_count: 0
    .wavefront_size: 64
  - .agpr_count:     0
    .args:
      - .offset:         0
        .size:           96
        .value_kind:     by_value
    .group_segment_fixed_size: 0
    .kernarg_segment_align: 8
    .kernarg_segment_size: 96
    .language:       OpenCL C
    .language_version:
      - 2
      - 0
    .max_flat_workgroup_size: 256
    .name:           _ZN7rocprim17ROCPRIM_400000_NS6detail17trampoline_kernelINS0_14default_configENS1_20scan_config_selectorI11FixedVectorIiLj1EEEEZZNS1_9scan_implILNS1_25lookback_scan_determinismE0ELb0ELb0ES3_N6thrust23THRUST_200600_302600_NS6detail15normal_iteratorINSB_10device_ptrIS6_EEEESG_S6_NSB_4plusIvEES6_EEDaPvRmT3_T4_T5_mT6_P12ihipStream_tbENKUlT_T0_E_clISt17integral_constantIbLb0EESV_IbLb1EEEEDaSR_SS_EUlSR_E_NS1_11comp_targetILNS1_3genE9ELNS1_11target_archE1100ELNS1_3gpuE3ELNS1_3repE0EEENS1_30default_config_static_selectorELNS0_4arch9wavefront6targetE1EEEvT1_
    .private_segment_fixed_size: 0
    .sgpr_count:     4
    .sgpr_spill_count: 0
    .symbol:         _ZN7rocprim17ROCPRIM_400000_NS6detail17trampoline_kernelINS0_14default_configENS1_20scan_config_selectorI11FixedVectorIiLj1EEEEZZNS1_9scan_implILNS1_25lookback_scan_determinismE0ELb0ELb0ES3_N6thrust23THRUST_200600_302600_NS6detail15normal_iteratorINSB_10device_ptrIS6_EEEESG_S6_NSB_4plusIvEES6_EEDaPvRmT3_T4_T5_mT6_P12ihipStream_tbENKUlT_T0_E_clISt17integral_constantIbLb0EESV_IbLb1EEEEDaSR_SS_EUlSR_E_NS1_11comp_targetILNS1_3genE9ELNS1_11target_archE1100ELNS1_3gpuE3ELNS1_3repE0EEENS1_30default_config_static_selectorELNS0_4arch9wavefront6targetE1EEEvT1_.kd
    .uniform_work_group_size: 1
    .uses_dynamic_stack: false
    .vgpr_count:     0
    .vgpr_spill_count: 0
    .wavefront_size: 64
  - .agpr_count:     0
    .args:
      - .offset:         0
        .size:           96
        .value_kind:     by_value
    .group_segment_fixed_size: 0
    .kernarg_segment_align: 8
    .kernarg_segment_size: 96
    .language:       OpenCL C
    .language_version:
      - 2
      - 0
    .max_flat_workgroup_size: 64
    .name:           _ZN7rocprim17ROCPRIM_400000_NS6detail17trampoline_kernelINS0_14default_configENS1_20scan_config_selectorI11FixedVectorIiLj1EEEEZZNS1_9scan_implILNS1_25lookback_scan_determinismE0ELb0ELb0ES3_N6thrust23THRUST_200600_302600_NS6detail15normal_iteratorINSB_10device_ptrIS6_EEEESG_S6_NSB_4plusIvEES6_EEDaPvRmT3_T4_T5_mT6_P12ihipStream_tbENKUlT_T0_E_clISt17integral_constantIbLb0EESV_IbLb1EEEEDaSR_SS_EUlSR_E_NS1_11comp_targetILNS1_3genE8ELNS1_11target_archE1030ELNS1_3gpuE2ELNS1_3repE0EEENS1_30default_config_static_selectorELNS0_4arch9wavefront6targetE1EEEvT1_
    .private_segment_fixed_size: 0
    .sgpr_count:     4
    .sgpr_spill_count: 0
    .symbol:         _ZN7rocprim17ROCPRIM_400000_NS6detail17trampoline_kernelINS0_14default_configENS1_20scan_config_selectorI11FixedVectorIiLj1EEEEZZNS1_9scan_implILNS1_25lookback_scan_determinismE0ELb0ELb0ES3_N6thrust23THRUST_200600_302600_NS6detail15normal_iteratorINSB_10device_ptrIS6_EEEESG_S6_NSB_4plusIvEES6_EEDaPvRmT3_T4_T5_mT6_P12ihipStream_tbENKUlT_T0_E_clISt17integral_constantIbLb0EESV_IbLb1EEEEDaSR_SS_EUlSR_E_NS1_11comp_targetILNS1_3genE8ELNS1_11target_archE1030ELNS1_3gpuE2ELNS1_3repE0EEENS1_30default_config_static_selectorELNS0_4arch9wavefront6targetE1EEEvT1_.kd
    .uniform_work_group_size: 1
    .uses_dynamic_stack: false
    .vgpr_count:     0
    .vgpr_spill_count: 0
    .wavefront_size: 64
  - .agpr_count:     0
    .args:
      - .offset:         0
        .size:           32
        .value_kind:     by_value
    .group_segment_fixed_size: 0
    .kernarg_segment_align: 8
    .kernarg_segment_size: 32
    .language:       OpenCL C
    .language_version:
      - 2
      - 0
    .max_flat_workgroup_size: 256
    .name:           _ZN7rocprim17ROCPRIM_400000_NS6detail17trampoline_kernelINS0_14default_configENS1_20scan_config_selectorI11FixedVectorIiLj1EEEEZZNS1_9scan_implILNS1_25lookback_scan_determinismE0ELb0ELb0ES3_N6thrust23THRUST_200600_302600_NS6detail15normal_iteratorINSB_10device_ptrIS6_EEEESG_S6_NSB_4plusIvEES6_EEDaPvRmT3_T4_T5_mT6_P12ihipStream_tbENKUlT_T0_E_clISt17integral_constantIbLb0EESV_IbLb1EEEEDaSR_SS_EUlSR_E0_NS1_11comp_targetILNS1_3genE0ELNS1_11target_archE4294967295ELNS1_3gpuE0ELNS1_3repE0EEENS1_30default_config_static_selectorELNS0_4arch9wavefront6targetE1EEEvT1_
    .private_segment_fixed_size: 0
    .sgpr_count:     4
    .sgpr_spill_count: 0
    .symbol:         _ZN7rocprim17ROCPRIM_400000_NS6detail17trampoline_kernelINS0_14default_configENS1_20scan_config_selectorI11FixedVectorIiLj1EEEEZZNS1_9scan_implILNS1_25lookback_scan_determinismE0ELb0ELb0ES3_N6thrust23THRUST_200600_302600_NS6detail15normal_iteratorINSB_10device_ptrIS6_EEEESG_S6_NSB_4plusIvEES6_EEDaPvRmT3_T4_T5_mT6_P12ihipStream_tbENKUlT_T0_E_clISt17integral_constantIbLb0EESV_IbLb1EEEEDaSR_SS_EUlSR_E0_NS1_11comp_targetILNS1_3genE0ELNS1_11target_archE4294967295ELNS1_3gpuE0ELNS1_3repE0EEENS1_30default_config_static_selectorELNS0_4arch9wavefront6targetE1EEEvT1_.kd
    .uniform_work_group_size: 1
    .uses_dynamic_stack: false
    .vgpr_count:     0
    .vgpr_spill_count: 0
    .wavefront_size: 64
  - .agpr_count:     0
    .args:
      - .offset:         0
        .size:           32
        .value_kind:     by_value
    .group_segment_fixed_size: 0
    .kernarg_segment_align: 8
    .kernarg_segment_size: 32
    .language:       OpenCL C
    .language_version:
      - 2
      - 0
    .max_flat_workgroup_size: 256
    .name:           _ZN7rocprim17ROCPRIM_400000_NS6detail17trampoline_kernelINS0_14default_configENS1_20scan_config_selectorI11FixedVectorIiLj1EEEEZZNS1_9scan_implILNS1_25lookback_scan_determinismE0ELb0ELb0ES3_N6thrust23THRUST_200600_302600_NS6detail15normal_iteratorINSB_10device_ptrIS6_EEEESG_S6_NSB_4plusIvEES6_EEDaPvRmT3_T4_T5_mT6_P12ihipStream_tbENKUlT_T0_E_clISt17integral_constantIbLb0EESV_IbLb1EEEEDaSR_SS_EUlSR_E0_NS1_11comp_targetILNS1_3genE5ELNS1_11target_archE942ELNS1_3gpuE9ELNS1_3repE0EEENS1_30default_config_static_selectorELNS0_4arch9wavefront6targetE1EEEvT1_
    .private_segment_fixed_size: 0
    .sgpr_count:     4
    .sgpr_spill_count: 0
    .symbol:         _ZN7rocprim17ROCPRIM_400000_NS6detail17trampoline_kernelINS0_14default_configENS1_20scan_config_selectorI11FixedVectorIiLj1EEEEZZNS1_9scan_implILNS1_25lookback_scan_determinismE0ELb0ELb0ES3_N6thrust23THRUST_200600_302600_NS6detail15normal_iteratorINSB_10device_ptrIS6_EEEESG_S6_NSB_4plusIvEES6_EEDaPvRmT3_T4_T5_mT6_P12ihipStream_tbENKUlT_T0_E_clISt17integral_constantIbLb0EESV_IbLb1EEEEDaSR_SS_EUlSR_E0_NS1_11comp_targetILNS1_3genE5ELNS1_11target_archE942ELNS1_3gpuE9ELNS1_3repE0EEENS1_30default_config_static_selectorELNS0_4arch9wavefront6targetE1EEEvT1_.kd
    .uniform_work_group_size: 1
    .uses_dynamic_stack: false
    .vgpr_count:     0
    .vgpr_spill_count: 0
    .wavefront_size: 64
  - .agpr_count:     0
    .args:
      - .offset:         0
        .size:           32
        .value_kind:     by_value
    .group_segment_fixed_size: 5120
    .kernarg_segment_align: 8
    .kernarg_segment_size: 32
    .language:       OpenCL C
    .language_version:
      - 2
      - 0
    .max_flat_workgroup_size: 128
    .name:           _ZN7rocprim17ROCPRIM_400000_NS6detail17trampoline_kernelINS0_14default_configENS1_20scan_config_selectorI11FixedVectorIiLj1EEEEZZNS1_9scan_implILNS1_25lookback_scan_determinismE0ELb0ELb0ES3_N6thrust23THRUST_200600_302600_NS6detail15normal_iteratorINSB_10device_ptrIS6_EEEESG_S6_NSB_4plusIvEES6_EEDaPvRmT3_T4_T5_mT6_P12ihipStream_tbENKUlT_T0_E_clISt17integral_constantIbLb0EESV_IbLb1EEEEDaSR_SS_EUlSR_E0_NS1_11comp_targetILNS1_3genE4ELNS1_11target_archE910ELNS1_3gpuE8ELNS1_3repE0EEENS1_30default_config_static_selectorELNS0_4arch9wavefront6targetE1EEEvT1_
    .private_segment_fixed_size: 0
    .sgpr_count:     28
    .sgpr_spill_count: 0
    .symbol:         _ZN7rocprim17ROCPRIM_400000_NS6detail17trampoline_kernelINS0_14default_configENS1_20scan_config_selectorI11FixedVectorIiLj1EEEEZZNS1_9scan_implILNS1_25lookback_scan_determinismE0ELb0ELb0ES3_N6thrust23THRUST_200600_302600_NS6detail15normal_iteratorINSB_10device_ptrIS6_EEEESG_S6_NSB_4plusIvEES6_EEDaPvRmT3_T4_T5_mT6_P12ihipStream_tbENKUlT_T0_E_clISt17integral_constantIbLb0EESV_IbLb1EEEEDaSR_SS_EUlSR_E0_NS1_11comp_targetILNS1_3genE4ELNS1_11target_archE910ELNS1_3gpuE8ELNS1_3repE0EEENS1_30default_config_static_selectorELNS0_4arch9wavefront6targetE1EEEvT1_.kd
    .uniform_work_group_size: 1
    .uses_dynamic_stack: false
    .vgpr_count:     27
    .vgpr_spill_count: 0
    .wavefront_size: 64
  - .agpr_count:     0
    .args:
      - .offset:         0
        .size:           32
        .value_kind:     by_value
    .group_segment_fixed_size: 0
    .kernarg_segment_align: 8
    .kernarg_segment_size: 32
    .language:       OpenCL C
    .language_version:
      - 2
      - 0
    .max_flat_workgroup_size: 256
    .name:           _ZN7rocprim17ROCPRIM_400000_NS6detail17trampoline_kernelINS0_14default_configENS1_20scan_config_selectorI11FixedVectorIiLj1EEEEZZNS1_9scan_implILNS1_25lookback_scan_determinismE0ELb0ELb0ES3_N6thrust23THRUST_200600_302600_NS6detail15normal_iteratorINSB_10device_ptrIS6_EEEESG_S6_NSB_4plusIvEES6_EEDaPvRmT3_T4_T5_mT6_P12ihipStream_tbENKUlT_T0_E_clISt17integral_constantIbLb0EESV_IbLb1EEEEDaSR_SS_EUlSR_E0_NS1_11comp_targetILNS1_3genE3ELNS1_11target_archE908ELNS1_3gpuE7ELNS1_3repE0EEENS1_30default_config_static_selectorELNS0_4arch9wavefront6targetE1EEEvT1_
    .private_segment_fixed_size: 0
    .sgpr_count:     4
    .sgpr_spill_count: 0
    .symbol:         _ZN7rocprim17ROCPRIM_400000_NS6detail17trampoline_kernelINS0_14default_configENS1_20scan_config_selectorI11FixedVectorIiLj1EEEEZZNS1_9scan_implILNS1_25lookback_scan_determinismE0ELb0ELb0ES3_N6thrust23THRUST_200600_302600_NS6detail15normal_iteratorINSB_10device_ptrIS6_EEEESG_S6_NSB_4plusIvEES6_EEDaPvRmT3_T4_T5_mT6_P12ihipStream_tbENKUlT_T0_E_clISt17integral_constantIbLb0EESV_IbLb1EEEEDaSR_SS_EUlSR_E0_NS1_11comp_targetILNS1_3genE3ELNS1_11target_archE908ELNS1_3gpuE7ELNS1_3repE0EEENS1_30default_config_static_selectorELNS0_4arch9wavefront6targetE1EEEvT1_.kd
    .uniform_work_group_size: 1
    .uses_dynamic_stack: false
    .vgpr_count:     0
    .vgpr_spill_count: 0
    .wavefront_size: 64
  - .agpr_count:     0
    .args:
      - .offset:         0
        .size:           32
        .value_kind:     by_value
    .group_segment_fixed_size: 0
    .kernarg_segment_align: 8
    .kernarg_segment_size: 32
    .language:       OpenCL C
    .language_version:
      - 2
      - 0
    .max_flat_workgroup_size: 256
    .name:           _ZN7rocprim17ROCPRIM_400000_NS6detail17trampoline_kernelINS0_14default_configENS1_20scan_config_selectorI11FixedVectorIiLj1EEEEZZNS1_9scan_implILNS1_25lookback_scan_determinismE0ELb0ELb0ES3_N6thrust23THRUST_200600_302600_NS6detail15normal_iteratorINSB_10device_ptrIS6_EEEESG_S6_NSB_4plusIvEES6_EEDaPvRmT3_T4_T5_mT6_P12ihipStream_tbENKUlT_T0_E_clISt17integral_constantIbLb0EESV_IbLb1EEEEDaSR_SS_EUlSR_E0_NS1_11comp_targetILNS1_3genE2ELNS1_11target_archE906ELNS1_3gpuE6ELNS1_3repE0EEENS1_30default_config_static_selectorELNS0_4arch9wavefront6targetE1EEEvT1_
    .private_segment_fixed_size: 0
    .sgpr_count:     4
    .sgpr_spill_count: 0
    .symbol:         _ZN7rocprim17ROCPRIM_400000_NS6detail17trampoline_kernelINS0_14default_configENS1_20scan_config_selectorI11FixedVectorIiLj1EEEEZZNS1_9scan_implILNS1_25lookback_scan_determinismE0ELb0ELb0ES3_N6thrust23THRUST_200600_302600_NS6detail15normal_iteratorINSB_10device_ptrIS6_EEEESG_S6_NSB_4plusIvEES6_EEDaPvRmT3_T4_T5_mT6_P12ihipStream_tbENKUlT_T0_E_clISt17integral_constantIbLb0EESV_IbLb1EEEEDaSR_SS_EUlSR_E0_NS1_11comp_targetILNS1_3genE2ELNS1_11target_archE906ELNS1_3gpuE6ELNS1_3repE0EEENS1_30default_config_static_selectorELNS0_4arch9wavefront6targetE1EEEvT1_.kd
    .uniform_work_group_size: 1
    .uses_dynamic_stack: false
    .vgpr_count:     0
    .vgpr_spill_count: 0
    .wavefront_size: 64
  - .agpr_count:     0
    .args:
      - .offset:         0
        .size:           32
        .value_kind:     by_value
    .group_segment_fixed_size: 0
    .kernarg_segment_align: 8
    .kernarg_segment_size: 32
    .language:       OpenCL C
    .language_version:
      - 2
      - 0
    .max_flat_workgroup_size: 256
    .name:           _ZN7rocprim17ROCPRIM_400000_NS6detail17trampoline_kernelINS0_14default_configENS1_20scan_config_selectorI11FixedVectorIiLj1EEEEZZNS1_9scan_implILNS1_25lookback_scan_determinismE0ELb0ELb0ES3_N6thrust23THRUST_200600_302600_NS6detail15normal_iteratorINSB_10device_ptrIS6_EEEESG_S6_NSB_4plusIvEES6_EEDaPvRmT3_T4_T5_mT6_P12ihipStream_tbENKUlT_T0_E_clISt17integral_constantIbLb0EESV_IbLb1EEEEDaSR_SS_EUlSR_E0_NS1_11comp_targetILNS1_3genE10ELNS1_11target_archE1201ELNS1_3gpuE5ELNS1_3repE0EEENS1_30default_config_static_selectorELNS0_4arch9wavefront6targetE1EEEvT1_
    .private_segment_fixed_size: 0
    .sgpr_count:     4
    .sgpr_spill_count: 0
    .symbol:         _ZN7rocprim17ROCPRIM_400000_NS6detail17trampoline_kernelINS0_14default_configENS1_20scan_config_selectorI11FixedVectorIiLj1EEEEZZNS1_9scan_implILNS1_25lookback_scan_determinismE0ELb0ELb0ES3_N6thrust23THRUST_200600_302600_NS6detail15normal_iteratorINSB_10device_ptrIS6_EEEESG_S6_NSB_4plusIvEES6_EEDaPvRmT3_T4_T5_mT6_P12ihipStream_tbENKUlT_T0_E_clISt17integral_constantIbLb0EESV_IbLb1EEEEDaSR_SS_EUlSR_E0_NS1_11comp_targetILNS1_3genE10ELNS1_11target_archE1201ELNS1_3gpuE5ELNS1_3repE0EEENS1_30default_config_static_selectorELNS0_4arch9wavefront6targetE1EEEvT1_.kd
    .uniform_work_group_size: 1
    .uses_dynamic_stack: false
    .vgpr_count:     0
    .vgpr_spill_count: 0
    .wavefront_size: 64
  - .agpr_count:     0
    .args:
      - .offset:         0
        .size:           32
        .value_kind:     by_value
    .group_segment_fixed_size: 0
    .kernarg_segment_align: 8
    .kernarg_segment_size: 32
    .language:       OpenCL C
    .language_version:
      - 2
      - 0
    .max_flat_workgroup_size: 256
    .name:           _ZN7rocprim17ROCPRIM_400000_NS6detail17trampoline_kernelINS0_14default_configENS1_20scan_config_selectorI11FixedVectorIiLj1EEEEZZNS1_9scan_implILNS1_25lookback_scan_determinismE0ELb0ELb0ES3_N6thrust23THRUST_200600_302600_NS6detail15normal_iteratorINSB_10device_ptrIS6_EEEESG_S6_NSB_4plusIvEES6_EEDaPvRmT3_T4_T5_mT6_P12ihipStream_tbENKUlT_T0_E_clISt17integral_constantIbLb0EESV_IbLb1EEEEDaSR_SS_EUlSR_E0_NS1_11comp_targetILNS1_3genE10ELNS1_11target_archE1200ELNS1_3gpuE4ELNS1_3repE0EEENS1_30default_config_static_selectorELNS0_4arch9wavefront6targetE1EEEvT1_
    .private_segment_fixed_size: 0
    .sgpr_count:     4
    .sgpr_spill_count: 0
    .symbol:         _ZN7rocprim17ROCPRIM_400000_NS6detail17trampoline_kernelINS0_14default_configENS1_20scan_config_selectorI11FixedVectorIiLj1EEEEZZNS1_9scan_implILNS1_25lookback_scan_determinismE0ELb0ELb0ES3_N6thrust23THRUST_200600_302600_NS6detail15normal_iteratorINSB_10device_ptrIS6_EEEESG_S6_NSB_4plusIvEES6_EEDaPvRmT3_T4_T5_mT6_P12ihipStream_tbENKUlT_T0_E_clISt17integral_constantIbLb0EESV_IbLb1EEEEDaSR_SS_EUlSR_E0_NS1_11comp_targetILNS1_3genE10ELNS1_11target_archE1200ELNS1_3gpuE4ELNS1_3repE0EEENS1_30default_config_static_selectorELNS0_4arch9wavefront6targetE1EEEvT1_.kd
    .uniform_work_group_size: 1
    .uses_dynamic_stack: false
    .vgpr_count:     0
    .vgpr_spill_count: 0
    .wavefront_size: 64
  - .agpr_count:     0
    .args:
      - .offset:         0
        .size:           32
        .value_kind:     by_value
    .group_segment_fixed_size: 0
    .kernarg_segment_align: 8
    .kernarg_segment_size: 32
    .language:       OpenCL C
    .language_version:
      - 2
      - 0
    .max_flat_workgroup_size: 256
    .name:           _ZN7rocprim17ROCPRIM_400000_NS6detail17trampoline_kernelINS0_14default_configENS1_20scan_config_selectorI11FixedVectorIiLj1EEEEZZNS1_9scan_implILNS1_25lookback_scan_determinismE0ELb0ELb0ES3_N6thrust23THRUST_200600_302600_NS6detail15normal_iteratorINSB_10device_ptrIS6_EEEESG_S6_NSB_4plusIvEES6_EEDaPvRmT3_T4_T5_mT6_P12ihipStream_tbENKUlT_T0_E_clISt17integral_constantIbLb0EESV_IbLb1EEEEDaSR_SS_EUlSR_E0_NS1_11comp_targetILNS1_3genE9ELNS1_11target_archE1100ELNS1_3gpuE3ELNS1_3repE0EEENS1_30default_config_static_selectorELNS0_4arch9wavefront6targetE1EEEvT1_
    .private_segment_fixed_size: 0
    .sgpr_count:     4
    .sgpr_spill_count: 0
    .symbol:         _ZN7rocprim17ROCPRIM_400000_NS6detail17trampoline_kernelINS0_14default_configENS1_20scan_config_selectorI11FixedVectorIiLj1EEEEZZNS1_9scan_implILNS1_25lookback_scan_determinismE0ELb0ELb0ES3_N6thrust23THRUST_200600_302600_NS6detail15normal_iteratorINSB_10device_ptrIS6_EEEESG_S6_NSB_4plusIvEES6_EEDaPvRmT3_T4_T5_mT6_P12ihipStream_tbENKUlT_T0_E_clISt17integral_constantIbLb0EESV_IbLb1EEEEDaSR_SS_EUlSR_E0_NS1_11comp_targetILNS1_3genE9ELNS1_11target_archE1100ELNS1_3gpuE3ELNS1_3repE0EEENS1_30default_config_static_selectorELNS0_4arch9wavefront6targetE1EEEvT1_.kd
    .uniform_work_group_size: 1
    .uses_dynamic_stack: false
    .vgpr_count:     0
    .vgpr_spill_count: 0
    .wavefront_size: 64
  - .agpr_count:     0
    .args:
      - .offset:         0
        .size:           32
        .value_kind:     by_value
    .group_segment_fixed_size: 0
    .kernarg_segment_align: 8
    .kernarg_segment_size: 32
    .language:       OpenCL C
    .language_version:
      - 2
      - 0
    .max_flat_workgroup_size: 64
    .name:           _ZN7rocprim17ROCPRIM_400000_NS6detail17trampoline_kernelINS0_14default_configENS1_20scan_config_selectorI11FixedVectorIiLj1EEEEZZNS1_9scan_implILNS1_25lookback_scan_determinismE0ELb0ELb0ES3_N6thrust23THRUST_200600_302600_NS6detail15normal_iteratorINSB_10device_ptrIS6_EEEESG_S6_NSB_4plusIvEES6_EEDaPvRmT3_T4_T5_mT6_P12ihipStream_tbENKUlT_T0_E_clISt17integral_constantIbLb0EESV_IbLb1EEEEDaSR_SS_EUlSR_E0_NS1_11comp_targetILNS1_3genE8ELNS1_11target_archE1030ELNS1_3gpuE2ELNS1_3repE0EEENS1_30default_config_static_selectorELNS0_4arch9wavefront6targetE1EEEvT1_
    .private_segment_fixed_size: 0
    .sgpr_count:     4
    .sgpr_spill_count: 0
    .symbol:         _ZN7rocprim17ROCPRIM_400000_NS6detail17trampoline_kernelINS0_14default_configENS1_20scan_config_selectorI11FixedVectorIiLj1EEEEZZNS1_9scan_implILNS1_25lookback_scan_determinismE0ELb0ELb0ES3_N6thrust23THRUST_200600_302600_NS6detail15normal_iteratorINSB_10device_ptrIS6_EEEESG_S6_NSB_4plusIvEES6_EEDaPvRmT3_T4_T5_mT6_P12ihipStream_tbENKUlT_T0_E_clISt17integral_constantIbLb0EESV_IbLb1EEEEDaSR_SS_EUlSR_E0_NS1_11comp_targetILNS1_3genE8ELNS1_11target_archE1030ELNS1_3gpuE2ELNS1_3repE0EEENS1_30default_config_static_selectorELNS0_4arch9wavefront6targetE1EEEvT1_.kd
    .uniform_work_group_size: 1
    .uses_dynamic_stack: false
    .vgpr_count:     0
    .vgpr_spill_count: 0
    .wavefront_size: 64
  - .agpr_count:     0
    .args:
      - .offset:         0
        .size:           96
        .value_kind:     by_value
    .group_segment_fixed_size: 0
    .kernarg_segment_align: 8
    .kernarg_segment_size: 96
    .language:       OpenCL C
    .language_version:
      - 2
      - 0
    .max_flat_workgroup_size: 256
    .name:           _ZN7rocprim17ROCPRIM_400000_NS6detail17trampoline_kernelINS0_14default_configENS1_20scan_config_selectorI11FixedVectorIiLj1EEEEZZNS1_9scan_implILNS1_25lookback_scan_determinismE0ELb1ELb1ES3_N6thrust23THRUST_200600_302600_NS6detail15normal_iteratorINSB_10device_ptrIS6_EEEESG_S6_NSB_4plusIvEES6_EEDaPvRmT3_T4_T5_mT6_P12ihipStream_tbENKUlT_T0_E_clISt17integral_constantIbLb0EESW_EEDaSR_SS_EUlSR_E_NS1_11comp_targetILNS1_3genE0ELNS1_11target_archE4294967295ELNS1_3gpuE0ELNS1_3repE0EEENS1_30default_config_static_selectorELNS0_4arch9wavefront6targetE1EEEvT1_
    .private_segment_fixed_size: 0
    .sgpr_count:     4
    .sgpr_spill_count: 0
    .symbol:         _ZN7rocprim17ROCPRIM_400000_NS6detail17trampoline_kernelINS0_14default_configENS1_20scan_config_selectorI11FixedVectorIiLj1EEEEZZNS1_9scan_implILNS1_25lookback_scan_determinismE0ELb1ELb1ES3_N6thrust23THRUST_200600_302600_NS6detail15normal_iteratorINSB_10device_ptrIS6_EEEESG_S6_NSB_4plusIvEES6_EEDaPvRmT3_T4_T5_mT6_P12ihipStream_tbENKUlT_T0_E_clISt17integral_constantIbLb0EESW_EEDaSR_SS_EUlSR_E_NS1_11comp_targetILNS1_3genE0ELNS1_11target_archE4294967295ELNS1_3gpuE0ELNS1_3repE0EEENS1_30default_config_static_selectorELNS0_4arch9wavefront6targetE1EEEvT1_.kd
    .uniform_work_group_size: 1
    .uses_dynamic_stack: false
    .vgpr_count:     0
    .vgpr_spill_count: 0
    .wavefront_size: 64
  - .agpr_count:     0
    .args:
      - .offset:         0
        .size:           96
        .value_kind:     by_value
    .group_segment_fixed_size: 0
    .kernarg_segment_align: 8
    .kernarg_segment_size: 96
    .language:       OpenCL C
    .language_version:
      - 2
      - 0
    .max_flat_workgroup_size: 256
    .name:           _ZN7rocprim17ROCPRIM_400000_NS6detail17trampoline_kernelINS0_14default_configENS1_20scan_config_selectorI11FixedVectorIiLj1EEEEZZNS1_9scan_implILNS1_25lookback_scan_determinismE0ELb1ELb1ES3_N6thrust23THRUST_200600_302600_NS6detail15normal_iteratorINSB_10device_ptrIS6_EEEESG_S6_NSB_4plusIvEES6_EEDaPvRmT3_T4_T5_mT6_P12ihipStream_tbENKUlT_T0_E_clISt17integral_constantIbLb0EESW_EEDaSR_SS_EUlSR_E_NS1_11comp_targetILNS1_3genE5ELNS1_11target_archE942ELNS1_3gpuE9ELNS1_3repE0EEENS1_30default_config_static_selectorELNS0_4arch9wavefront6targetE1EEEvT1_
    .private_segment_fixed_size: 0
    .sgpr_count:     4
    .sgpr_spill_count: 0
    .symbol:         _ZN7rocprim17ROCPRIM_400000_NS6detail17trampoline_kernelINS0_14default_configENS1_20scan_config_selectorI11FixedVectorIiLj1EEEEZZNS1_9scan_implILNS1_25lookback_scan_determinismE0ELb1ELb1ES3_N6thrust23THRUST_200600_302600_NS6detail15normal_iteratorINSB_10device_ptrIS6_EEEESG_S6_NSB_4plusIvEES6_EEDaPvRmT3_T4_T5_mT6_P12ihipStream_tbENKUlT_T0_E_clISt17integral_constantIbLb0EESW_EEDaSR_SS_EUlSR_E_NS1_11comp_targetILNS1_3genE5ELNS1_11target_archE942ELNS1_3gpuE9ELNS1_3repE0EEENS1_30default_config_static_selectorELNS0_4arch9wavefront6targetE1EEEvT1_.kd
    .uniform_work_group_size: 1
    .uses_dynamic_stack: false
    .vgpr_count:     0
    .vgpr_spill_count: 0
    .wavefront_size: 64
  - .agpr_count:     0
    .args:
      - .offset:         0
        .size:           96
        .value_kind:     by_value
    .group_segment_fixed_size: 5120
    .kernarg_segment_align: 8
    .kernarg_segment_size: 96
    .language:       OpenCL C
    .language_version:
      - 2
      - 0
    .max_flat_workgroup_size: 128
    .name:           _ZN7rocprim17ROCPRIM_400000_NS6detail17trampoline_kernelINS0_14default_configENS1_20scan_config_selectorI11FixedVectorIiLj1EEEEZZNS1_9scan_implILNS1_25lookback_scan_determinismE0ELb1ELb1ES3_N6thrust23THRUST_200600_302600_NS6detail15normal_iteratorINSB_10device_ptrIS6_EEEESG_S6_NSB_4plusIvEES6_EEDaPvRmT3_T4_T5_mT6_P12ihipStream_tbENKUlT_T0_E_clISt17integral_constantIbLb0EESW_EEDaSR_SS_EUlSR_E_NS1_11comp_targetILNS1_3genE4ELNS1_11target_archE910ELNS1_3gpuE8ELNS1_3repE0EEENS1_30default_config_static_selectorELNS0_4arch9wavefront6targetE1EEEvT1_
    .private_segment_fixed_size: 0
    .sgpr_count:     33
    .sgpr_spill_count: 0
    .symbol:         _ZN7rocprim17ROCPRIM_400000_NS6detail17trampoline_kernelINS0_14default_configENS1_20scan_config_selectorI11FixedVectorIiLj1EEEEZZNS1_9scan_implILNS1_25lookback_scan_determinismE0ELb1ELb1ES3_N6thrust23THRUST_200600_302600_NS6detail15normal_iteratorINSB_10device_ptrIS6_EEEESG_S6_NSB_4plusIvEES6_EEDaPvRmT3_T4_T5_mT6_P12ihipStream_tbENKUlT_T0_E_clISt17integral_constantIbLb0EESW_EEDaSR_SS_EUlSR_E_NS1_11comp_targetILNS1_3genE4ELNS1_11target_archE910ELNS1_3gpuE8ELNS1_3repE0EEENS1_30default_config_static_selectorELNS0_4arch9wavefront6targetE1EEEvT1_.kd
    .uniform_work_group_size: 1
    .uses_dynamic_stack: false
    .vgpr_count:     41
    .vgpr_spill_count: 0
    .wavefront_size: 64
  - .agpr_count:     0
    .args:
      - .offset:         0
        .size:           96
        .value_kind:     by_value
    .group_segment_fixed_size: 0
    .kernarg_segment_align: 8
    .kernarg_segment_size: 96
    .language:       OpenCL C
    .language_version:
      - 2
      - 0
    .max_flat_workgroup_size: 256
    .name:           _ZN7rocprim17ROCPRIM_400000_NS6detail17trampoline_kernelINS0_14default_configENS1_20scan_config_selectorI11FixedVectorIiLj1EEEEZZNS1_9scan_implILNS1_25lookback_scan_determinismE0ELb1ELb1ES3_N6thrust23THRUST_200600_302600_NS6detail15normal_iteratorINSB_10device_ptrIS6_EEEESG_S6_NSB_4plusIvEES6_EEDaPvRmT3_T4_T5_mT6_P12ihipStream_tbENKUlT_T0_E_clISt17integral_constantIbLb0EESW_EEDaSR_SS_EUlSR_E_NS1_11comp_targetILNS1_3genE3ELNS1_11target_archE908ELNS1_3gpuE7ELNS1_3repE0EEENS1_30default_config_static_selectorELNS0_4arch9wavefront6targetE1EEEvT1_
    .private_segment_fixed_size: 0
    .sgpr_count:     4
    .sgpr_spill_count: 0
    .symbol:         _ZN7rocprim17ROCPRIM_400000_NS6detail17trampoline_kernelINS0_14default_configENS1_20scan_config_selectorI11FixedVectorIiLj1EEEEZZNS1_9scan_implILNS1_25lookback_scan_determinismE0ELb1ELb1ES3_N6thrust23THRUST_200600_302600_NS6detail15normal_iteratorINSB_10device_ptrIS6_EEEESG_S6_NSB_4plusIvEES6_EEDaPvRmT3_T4_T5_mT6_P12ihipStream_tbENKUlT_T0_E_clISt17integral_constantIbLb0EESW_EEDaSR_SS_EUlSR_E_NS1_11comp_targetILNS1_3genE3ELNS1_11target_archE908ELNS1_3gpuE7ELNS1_3repE0EEENS1_30default_config_static_selectorELNS0_4arch9wavefront6targetE1EEEvT1_.kd
    .uniform_work_group_size: 1
    .uses_dynamic_stack: false
    .vgpr_count:     0
    .vgpr_spill_count: 0
    .wavefront_size: 64
  - .agpr_count:     0
    .args:
      - .offset:         0
        .size:           96
        .value_kind:     by_value
    .group_segment_fixed_size: 0
    .kernarg_segment_align: 8
    .kernarg_segment_size: 96
    .language:       OpenCL C
    .language_version:
      - 2
      - 0
    .max_flat_workgroup_size: 256
    .name:           _ZN7rocprim17ROCPRIM_400000_NS6detail17trampoline_kernelINS0_14default_configENS1_20scan_config_selectorI11FixedVectorIiLj1EEEEZZNS1_9scan_implILNS1_25lookback_scan_determinismE0ELb1ELb1ES3_N6thrust23THRUST_200600_302600_NS6detail15normal_iteratorINSB_10device_ptrIS6_EEEESG_S6_NSB_4plusIvEES6_EEDaPvRmT3_T4_T5_mT6_P12ihipStream_tbENKUlT_T0_E_clISt17integral_constantIbLb0EESW_EEDaSR_SS_EUlSR_E_NS1_11comp_targetILNS1_3genE2ELNS1_11target_archE906ELNS1_3gpuE6ELNS1_3repE0EEENS1_30default_config_static_selectorELNS0_4arch9wavefront6targetE1EEEvT1_
    .private_segment_fixed_size: 0
    .sgpr_count:     4
    .sgpr_spill_count: 0
    .symbol:         _ZN7rocprim17ROCPRIM_400000_NS6detail17trampoline_kernelINS0_14default_configENS1_20scan_config_selectorI11FixedVectorIiLj1EEEEZZNS1_9scan_implILNS1_25lookback_scan_determinismE0ELb1ELb1ES3_N6thrust23THRUST_200600_302600_NS6detail15normal_iteratorINSB_10device_ptrIS6_EEEESG_S6_NSB_4plusIvEES6_EEDaPvRmT3_T4_T5_mT6_P12ihipStream_tbENKUlT_T0_E_clISt17integral_constantIbLb0EESW_EEDaSR_SS_EUlSR_E_NS1_11comp_targetILNS1_3genE2ELNS1_11target_archE906ELNS1_3gpuE6ELNS1_3repE0EEENS1_30default_config_static_selectorELNS0_4arch9wavefront6targetE1EEEvT1_.kd
    .uniform_work_group_size: 1
    .uses_dynamic_stack: false
    .vgpr_count:     0
    .vgpr_spill_count: 0
    .wavefront_size: 64
  - .agpr_count:     0
    .args:
      - .offset:         0
        .size:           96
        .value_kind:     by_value
    .group_segment_fixed_size: 0
    .kernarg_segment_align: 8
    .kernarg_segment_size: 96
    .language:       OpenCL C
    .language_version:
      - 2
      - 0
    .max_flat_workgroup_size: 256
    .name:           _ZN7rocprim17ROCPRIM_400000_NS6detail17trampoline_kernelINS0_14default_configENS1_20scan_config_selectorI11FixedVectorIiLj1EEEEZZNS1_9scan_implILNS1_25lookback_scan_determinismE0ELb1ELb1ES3_N6thrust23THRUST_200600_302600_NS6detail15normal_iteratorINSB_10device_ptrIS6_EEEESG_S6_NSB_4plusIvEES6_EEDaPvRmT3_T4_T5_mT6_P12ihipStream_tbENKUlT_T0_E_clISt17integral_constantIbLb0EESW_EEDaSR_SS_EUlSR_E_NS1_11comp_targetILNS1_3genE10ELNS1_11target_archE1201ELNS1_3gpuE5ELNS1_3repE0EEENS1_30default_config_static_selectorELNS0_4arch9wavefront6targetE1EEEvT1_
    .private_segment_fixed_size: 0
    .sgpr_count:     4
    .sgpr_spill_count: 0
    .symbol:         _ZN7rocprim17ROCPRIM_400000_NS6detail17trampoline_kernelINS0_14default_configENS1_20scan_config_selectorI11FixedVectorIiLj1EEEEZZNS1_9scan_implILNS1_25lookback_scan_determinismE0ELb1ELb1ES3_N6thrust23THRUST_200600_302600_NS6detail15normal_iteratorINSB_10device_ptrIS6_EEEESG_S6_NSB_4plusIvEES6_EEDaPvRmT3_T4_T5_mT6_P12ihipStream_tbENKUlT_T0_E_clISt17integral_constantIbLb0EESW_EEDaSR_SS_EUlSR_E_NS1_11comp_targetILNS1_3genE10ELNS1_11target_archE1201ELNS1_3gpuE5ELNS1_3repE0EEENS1_30default_config_static_selectorELNS0_4arch9wavefront6targetE1EEEvT1_.kd
    .uniform_work_group_size: 1
    .uses_dynamic_stack: false
    .vgpr_count:     0
    .vgpr_spill_count: 0
    .wavefront_size: 64
  - .agpr_count:     0
    .args:
      - .offset:         0
        .size:           96
        .value_kind:     by_value
    .group_segment_fixed_size: 0
    .kernarg_segment_align: 8
    .kernarg_segment_size: 96
    .language:       OpenCL C
    .language_version:
      - 2
      - 0
    .max_flat_workgroup_size: 256
    .name:           _ZN7rocprim17ROCPRIM_400000_NS6detail17trampoline_kernelINS0_14default_configENS1_20scan_config_selectorI11FixedVectorIiLj1EEEEZZNS1_9scan_implILNS1_25lookback_scan_determinismE0ELb1ELb1ES3_N6thrust23THRUST_200600_302600_NS6detail15normal_iteratorINSB_10device_ptrIS6_EEEESG_S6_NSB_4plusIvEES6_EEDaPvRmT3_T4_T5_mT6_P12ihipStream_tbENKUlT_T0_E_clISt17integral_constantIbLb0EESW_EEDaSR_SS_EUlSR_E_NS1_11comp_targetILNS1_3genE10ELNS1_11target_archE1200ELNS1_3gpuE4ELNS1_3repE0EEENS1_30default_config_static_selectorELNS0_4arch9wavefront6targetE1EEEvT1_
    .private_segment_fixed_size: 0
    .sgpr_count:     4
    .sgpr_spill_count: 0
    .symbol:         _ZN7rocprim17ROCPRIM_400000_NS6detail17trampoline_kernelINS0_14default_configENS1_20scan_config_selectorI11FixedVectorIiLj1EEEEZZNS1_9scan_implILNS1_25lookback_scan_determinismE0ELb1ELb1ES3_N6thrust23THRUST_200600_302600_NS6detail15normal_iteratorINSB_10device_ptrIS6_EEEESG_S6_NSB_4plusIvEES6_EEDaPvRmT3_T4_T5_mT6_P12ihipStream_tbENKUlT_T0_E_clISt17integral_constantIbLb0EESW_EEDaSR_SS_EUlSR_E_NS1_11comp_targetILNS1_3genE10ELNS1_11target_archE1200ELNS1_3gpuE4ELNS1_3repE0EEENS1_30default_config_static_selectorELNS0_4arch9wavefront6targetE1EEEvT1_.kd
    .uniform_work_group_size: 1
    .uses_dynamic_stack: false
    .vgpr_count:     0
    .vgpr_spill_count: 0
    .wavefront_size: 64
  - .agpr_count:     0
    .args:
      - .offset:         0
        .size:           96
        .value_kind:     by_value
    .group_segment_fixed_size: 0
    .kernarg_segment_align: 8
    .kernarg_segment_size: 96
    .language:       OpenCL C
    .language_version:
      - 2
      - 0
    .max_flat_workgroup_size: 256
    .name:           _ZN7rocprim17ROCPRIM_400000_NS6detail17trampoline_kernelINS0_14default_configENS1_20scan_config_selectorI11FixedVectorIiLj1EEEEZZNS1_9scan_implILNS1_25lookback_scan_determinismE0ELb1ELb1ES3_N6thrust23THRUST_200600_302600_NS6detail15normal_iteratorINSB_10device_ptrIS6_EEEESG_S6_NSB_4plusIvEES6_EEDaPvRmT3_T4_T5_mT6_P12ihipStream_tbENKUlT_T0_E_clISt17integral_constantIbLb0EESW_EEDaSR_SS_EUlSR_E_NS1_11comp_targetILNS1_3genE9ELNS1_11target_archE1100ELNS1_3gpuE3ELNS1_3repE0EEENS1_30default_config_static_selectorELNS0_4arch9wavefront6targetE1EEEvT1_
    .private_segment_fixed_size: 0
    .sgpr_count:     4
    .sgpr_spill_count: 0
    .symbol:         _ZN7rocprim17ROCPRIM_400000_NS6detail17trampoline_kernelINS0_14default_configENS1_20scan_config_selectorI11FixedVectorIiLj1EEEEZZNS1_9scan_implILNS1_25lookback_scan_determinismE0ELb1ELb1ES3_N6thrust23THRUST_200600_302600_NS6detail15normal_iteratorINSB_10device_ptrIS6_EEEESG_S6_NSB_4plusIvEES6_EEDaPvRmT3_T4_T5_mT6_P12ihipStream_tbENKUlT_T0_E_clISt17integral_constantIbLb0EESW_EEDaSR_SS_EUlSR_E_NS1_11comp_targetILNS1_3genE9ELNS1_11target_archE1100ELNS1_3gpuE3ELNS1_3repE0EEENS1_30default_config_static_selectorELNS0_4arch9wavefront6targetE1EEEvT1_.kd
    .uniform_work_group_size: 1
    .uses_dynamic_stack: false
    .vgpr_count:     0
    .vgpr_spill_count: 0
    .wavefront_size: 64
  - .agpr_count:     0
    .args:
      - .offset:         0
        .size:           96
        .value_kind:     by_value
    .group_segment_fixed_size: 0
    .kernarg_segment_align: 8
    .kernarg_segment_size: 96
    .language:       OpenCL C
    .language_version:
      - 2
      - 0
    .max_flat_workgroup_size: 64
    .name:           _ZN7rocprim17ROCPRIM_400000_NS6detail17trampoline_kernelINS0_14default_configENS1_20scan_config_selectorI11FixedVectorIiLj1EEEEZZNS1_9scan_implILNS1_25lookback_scan_determinismE0ELb1ELb1ES3_N6thrust23THRUST_200600_302600_NS6detail15normal_iteratorINSB_10device_ptrIS6_EEEESG_S6_NSB_4plusIvEES6_EEDaPvRmT3_T4_T5_mT6_P12ihipStream_tbENKUlT_T0_E_clISt17integral_constantIbLb0EESW_EEDaSR_SS_EUlSR_E_NS1_11comp_targetILNS1_3genE8ELNS1_11target_archE1030ELNS1_3gpuE2ELNS1_3repE0EEENS1_30default_config_static_selectorELNS0_4arch9wavefront6targetE1EEEvT1_
    .private_segment_fixed_size: 0
    .sgpr_count:     4
    .sgpr_spill_count: 0
    .symbol:         _ZN7rocprim17ROCPRIM_400000_NS6detail17trampoline_kernelINS0_14default_configENS1_20scan_config_selectorI11FixedVectorIiLj1EEEEZZNS1_9scan_implILNS1_25lookback_scan_determinismE0ELb1ELb1ES3_N6thrust23THRUST_200600_302600_NS6detail15normal_iteratorINSB_10device_ptrIS6_EEEESG_S6_NSB_4plusIvEES6_EEDaPvRmT3_T4_T5_mT6_P12ihipStream_tbENKUlT_T0_E_clISt17integral_constantIbLb0EESW_EEDaSR_SS_EUlSR_E_NS1_11comp_targetILNS1_3genE8ELNS1_11target_archE1030ELNS1_3gpuE2ELNS1_3repE0EEENS1_30default_config_static_selectorELNS0_4arch9wavefront6targetE1EEEvT1_.kd
    .uniform_work_group_size: 1
    .uses_dynamic_stack: false
    .vgpr_count:     0
    .vgpr_spill_count: 0
    .wavefront_size: 64
  - .agpr_count:     0
    .args:
      - .offset:         0
        .size:           32
        .value_kind:     by_value
    .group_segment_fixed_size: 0
    .kernarg_segment_align: 8
    .kernarg_segment_size: 32
    .language:       OpenCL C
    .language_version:
      - 2
      - 0
    .max_flat_workgroup_size: 256
    .name:           _ZN7rocprim17ROCPRIM_400000_NS6detail17trampoline_kernelINS0_14default_configENS1_20scan_config_selectorI11FixedVectorIiLj1EEEEZZNS1_9scan_implILNS1_25lookback_scan_determinismE0ELb1ELb1ES3_N6thrust23THRUST_200600_302600_NS6detail15normal_iteratorINSB_10device_ptrIS6_EEEESG_S6_NSB_4plusIvEES6_EEDaPvRmT3_T4_T5_mT6_P12ihipStream_tbENKUlT_T0_E_clISt17integral_constantIbLb0EESW_EEDaSR_SS_EUlSR_E0_NS1_11comp_targetILNS1_3genE0ELNS1_11target_archE4294967295ELNS1_3gpuE0ELNS1_3repE0EEENS1_30default_config_static_selectorELNS0_4arch9wavefront6targetE1EEEvT1_
    .private_segment_fixed_size: 0
    .sgpr_count:     4
    .sgpr_spill_count: 0
    .symbol:         _ZN7rocprim17ROCPRIM_400000_NS6detail17trampoline_kernelINS0_14default_configENS1_20scan_config_selectorI11FixedVectorIiLj1EEEEZZNS1_9scan_implILNS1_25lookback_scan_determinismE0ELb1ELb1ES3_N6thrust23THRUST_200600_302600_NS6detail15normal_iteratorINSB_10device_ptrIS6_EEEESG_S6_NSB_4plusIvEES6_EEDaPvRmT3_T4_T5_mT6_P12ihipStream_tbENKUlT_T0_E_clISt17integral_constantIbLb0EESW_EEDaSR_SS_EUlSR_E0_NS1_11comp_targetILNS1_3genE0ELNS1_11target_archE4294967295ELNS1_3gpuE0ELNS1_3repE0EEENS1_30default_config_static_selectorELNS0_4arch9wavefront6targetE1EEEvT1_.kd
    .uniform_work_group_size: 1
    .uses_dynamic_stack: false
    .vgpr_count:     0
    .vgpr_spill_count: 0
    .wavefront_size: 64
  - .agpr_count:     0
    .args:
      - .offset:         0
        .size:           32
        .value_kind:     by_value
    .group_segment_fixed_size: 0
    .kernarg_segment_align: 8
    .kernarg_segment_size: 32
    .language:       OpenCL C
    .language_version:
      - 2
      - 0
    .max_flat_workgroup_size: 256
    .name:           _ZN7rocprim17ROCPRIM_400000_NS6detail17trampoline_kernelINS0_14default_configENS1_20scan_config_selectorI11FixedVectorIiLj1EEEEZZNS1_9scan_implILNS1_25lookback_scan_determinismE0ELb1ELb1ES3_N6thrust23THRUST_200600_302600_NS6detail15normal_iteratorINSB_10device_ptrIS6_EEEESG_S6_NSB_4plusIvEES6_EEDaPvRmT3_T4_T5_mT6_P12ihipStream_tbENKUlT_T0_E_clISt17integral_constantIbLb0EESW_EEDaSR_SS_EUlSR_E0_NS1_11comp_targetILNS1_3genE5ELNS1_11target_archE942ELNS1_3gpuE9ELNS1_3repE0EEENS1_30default_config_static_selectorELNS0_4arch9wavefront6targetE1EEEvT1_
    .private_segment_fixed_size: 0
    .sgpr_count:     4
    .sgpr_spill_count: 0
    .symbol:         _ZN7rocprim17ROCPRIM_400000_NS6detail17trampoline_kernelINS0_14default_configENS1_20scan_config_selectorI11FixedVectorIiLj1EEEEZZNS1_9scan_implILNS1_25lookback_scan_determinismE0ELb1ELb1ES3_N6thrust23THRUST_200600_302600_NS6detail15normal_iteratorINSB_10device_ptrIS6_EEEESG_S6_NSB_4plusIvEES6_EEDaPvRmT3_T4_T5_mT6_P12ihipStream_tbENKUlT_T0_E_clISt17integral_constantIbLb0EESW_EEDaSR_SS_EUlSR_E0_NS1_11comp_targetILNS1_3genE5ELNS1_11target_archE942ELNS1_3gpuE9ELNS1_3repE0EEENS1_30default_config_static_selectorELNS0_4arch9wavefront6targetE1EEEvT1_.kd
    .uniform_work_group_size: 1
    .uses_dynamic_stack: false
    .vgpr_count:     0
    .vgpr_spill_count: 0
    .wavefront_size: 64
  - .agpr_count:     0
    .args:
      - .offset:         0
        .size:           32
        .value_kind:     by_value
    .group_segment_fixed_size: 5120
    .kernarg_segment_align: 8
    .kernarg_segment_size: 32
    .language:       OpenCL C
    .language_version:
      - 2
      - 0
    .max_flat_workgroup_size: 128
    .name:           _ZN7rocprim17ROCPRIM_400000_NS6detail17trampoline_kernelINS0_14default_configENS1_20scan_config_selectorI11FixedVectorIiLj1EEEEZZNS1_9scan_implILNS1_25lookback_scan_determinismE0ELb1ELb1ES3_N6thrust23THRUST_200600_302600_NS6detail15normal_iteratorINSB_10device_ptrIS6_EEEESG_S6_NSB_4plusIvEES6_EEDaPvRmT3_T4_T5_mT6_P12ihipStream_tbENKUlT_T0_E_clISt17integral_constantIbLb0EESW_EEDaSR_SS_EUlSR_E0_NS1_11comp_targetILNS1_3genE4ELNS1_11target_archE910ELNS1_3gpuE8ELNS1_3repE0EEENS1_30default_config_static_selectorELNS0_4arch9wavefront6targetE1EEEvT1_
    .private_segment_fixed_size: 0
    .sgpr_count:     29
    .sgpr_spill_count: 0
    .symbol:         _ZN7rocprim17ROCPRIM_400000_NS6detail17trampoline_kernelINS0_14default_configENS1_20scan_config_selectorI11FixedVectorIiLj1EEEEZZNS1_9scan_implILNS1_25lookback_scan_determinismE0ELb1ELb1ES3_N6thrust23THRUST_200600_302600_NS6detail15normal_iteratorINSB_10device_ptrIS6_EEEESG_S6_NSB_4plusIvEES6_EEDaPvRmT3_T4_T5_mT6_P12ihipStream_tbENKUlT_T0_E_clISt17integral_constantIbLb0EESW_EEDaSR_SS_EUlSR_E0_NS1_11comp_targetILNS1_3genE4ELNS1_11target_archE910ELNS1_3gpuE8ELNS1_3repE0EEENS1_30default_config_static_selectorELNS0_4arch9wavefront6targetE1EEEvT1_.kd
    .uniform_work_group_size: 1
    .uses_dynamic_stack: false
    .vgpr_count:     18
    .vgpr_spill_count: 0
    .wavefront_size: 64
  - .agpr_count:     0
    .args:
      - .offset:         0
        .size:           32
        .value_kind:     by_value
    .group_segment_fixed_size: 0
    .kernarg_segment_align: 8
    .kernarg_segment_size: 32
    .language:       OpenCL C
    .language_version:
      - 2
      - 0
    .max_flat_workgroup_size: 256
    .name:           _ZN7rocprim17ROCPRIM_400000_NS6detail17trampoline_kernelINS0_14default_configENS1_20scan_config_selectorI11FixedVectorIiLj1EEEEZZNS1_9scan_implILNS1_25lookback_scan_determinismE0ELb1ELb1ES3_N6thrust23THRUST_200600_302600_NS6detail15normal_iteratorINSB_10device_ptrIS6_EEEESG_S6_NSB_4plusIvEES6_EEDaPvRmT3_T4_T5_mT6_P12ihipStream_tbENKUlT_T0_E_clISt17integral_constantIbLb0EESW_EEDaSR_SS_EUlSR_E0_NS1_11comp_targetILNS1_3genE3ELNS1_11target_archE908ELNS1_3gpuE7ELNS1_3repE0EEENS1_30default_config_static_selectorELNS0_4arch9wavefront6targetE1EEEvT1_
    .private_segment_fixed_size: 0
    .sgpr_count:     4
    .sgpr_spill_count: 0
    .symbol:         _ZN7rocprim17ROCPRIM_400000_NS6detail17trampoline_kernelINS0_14default_configENS1_20scan_config_selectorI11FixedVectorIiLj1EEEEZZNS1_9scan_implILNS1_25lookback_scan_determinismE0ELb1ELb1ES3_N6thrust23THRUST_200600_302600_NS6detail15normal_iteratorINSB_10device_ptrIS6_EEEESG_S6_NSB_4plusIvEES6_EEDaPvRmT3_T4_T5_mT6_P12ihipStream_tbENKUlT_T0_E_clISt17integral_constantIbLb0EESW_EEDaSR_SS_EUlSR_E0_NS1_11comp_targetILNS1_3genE3ELNS1_11target_archE908ELNS1_3gpuE7ELNS1_3repE0EEENS1_30default_config_static_selectorELNS0_4arch9wavefront6targetE1EEEvT1_.kd
    .uniform_work_group_size: 1
    .uses_dynamic_stack: false
    .vgpr_count:     0
    .vgpr_spill_count: 0
    .wavefront_size: 64
  - .agpr_count:     0
    .args:
      - .offset:         0
        .size:           32
        .value_kind:     by_value
    .group_segment_fixed_size: 0
    .kernarg_segment_align: 8
    .kernarg_segment_size: 32
    .language:       OpenCL C
    .language_version:
      - 2
      - 0
    .max_flat_workgroup_size: 256
    .name:           _ZN7rocprim17ROCPRIM_400000_NS6detail17trampoline_kernelINS0_14default_configENS1_20scan_config_selectorI11FixedVectorIiLj1EEEEZZNS1_9scan_implILNS1_25lookback_scan_determinismE0ELb1ELb1ES3_N6thrust23THRUST_200600_302600_NS6detail15normal_iteratorINSB_10device_ptrIS6_EEEESG_S6_NSB_4plusIvEES6_EEDaPvRmT3_T4_T5_mT6_P12ihipStream_tbENKUlT_T0_E_clISt17integral_constantIbLb0EESW_EEDaSR_SS_EUlSR_E0_NS1_11comp_targetILNS1_3genE2ELNS1_11target_archE906ELNS1_3gpuE6ELNS1_3repE0EEENS1_30default_config_static_selectorELNS0_4arch9wavefront6targetE1EEEvT1_
    .private_segment_fixed_size: 0
    .sgpr_count:     4
    .sgpr_spill_count: 0
    .symbol:         _ZN7rocprim17ROCPRIM_400000_NS6detail17trampoline_kernelINS0_14default_configENS1_20scan_config_selectorI11FixedVectorIiLj1EEEEZZNS1_9scan_implILNS1_25lookback_scan_determinismE0ELb1ELb1ES3_N6thrust23THRUST_200600_302600_NS6detail15normal_iteratorINSB_10device_ptrIS6_EEEESG_S6_NSB_4plusIvEES6_EEDaPvRmT3_T4_T5_mT6_P12ihipStream_tbENKUlT_T0_E_clISt17integral_constantIbLb0EESW_EEDaSR_SS_EUlSR_E0_NS1_11comp_targetILNS1_3genE2ELNS1_11target_archE906ELNS1_3gpuE6ELNS1_3repE0EEENS1_30default_config_static_selectorELNS0_4arch9wavefront6targetE1EEEvT1_.kd
    .uniform_work_group_size: 1
    .uses_dynamic_stack: false
    .vgpr_count:     0
    .vgpr_spill_count: 0
    .wavefront_size: 64
  - .agpr_count:     0
    .args:
      - .offset:         0
        .size:           32
        .value_kind:     by_value
    .group_segment_fixed_size: 0
    .kernarg_segment_align: 8
    .kernarg_segment_size: 32
    .language:       OpenCL C
    .language_version:
      - 2
      - 0
    .max_flat_workgroup_size: 256
    .name:           _ZN7rocprim17ROCPRIM_400000_NS6detail17trampoline_kernelINS0_14default_configENS1_20scan_config_selectorI11FixedVectorIiLj1EEEEZZNS1_9scan_implILNS1_25lookback_scan_determinismE0ELb1ELb1ES3_N6thrust23THRUST_200600_302600_NS6detail15normal_iteratorINSB_10device_ptrIS6_EEEESG_S6_NSB_4plusIvEES6_EEDaPvRmT3_T4_T5_mT6_P12ihipStream_tbENKUlT_T0_E_clISt17integral_constantIbLb0EESW_EEDaSR_SS_EUlSR_E0_NS1_11comp_targetILNS1_3genE10ELNS1_11target_archE1201ELNS1_3gpuE5ELNS1_3repE0EEENS1_30default_config_static_selectorELNS0_4arch9wavefront6targetE1EEEvT1_
    .private_segment_fixed_size: 0
    .sgpr_count:     4
    .sgpr_spill_count: 0
    .symbol:         _ZN7rocprim17ROCPRIM_400000_NS6detail17trampoline_kernelINS0_14default_configENS1_20scan_config_selectorI11FixedVectorIiLj1EEEEZZNS1_9scan_implILNS1_25lookback_scan_determinismE0ELb1ELb1ES3_N6thrust23THRUST_200600_302600_NS6detail15normal_iteratorINSB_10device_ptrIS6_EEEESG_S6_NSB_4plusIvEES6_EEDaPvRmT3_T4_T5_mT6_P12ihipStream_tbENKUlT_T0_E_clISt17integral_constantIbLb0EESW_EEDaSR_SS_EUlSR_E0_NS1_11comp_targetILNS1_3genE10ELNS1_11target_archE1201ELNS1_3gpuE5ELNS1_3repE0EEENS1_30default_config_static_selectorELNS0_4arch9wavefront6targetE1EEEvT1_.kd
    .uniform_work_group_size: 1
    .uses_dynamic_stack: false
    .vgpr_count:     0
    .vgpr_spill_count: 0
    .wavefront_size: 64
  - .agpr_count:     0
    .args:
      - .offset:         0
        .size:           32
        .value_kind:     by_value
    .group_segment_fixed_size: 0
    .kernarg_segment_align: 8
    .kernarg_segment_size: 32
    .language:       OpenCL C
    .language_version:
      - 2
      - 0
    .max_flat_workgroup_size: 256
    .name:           _ZN7rocprim17ROCPRIM_400000_NS6detail17trampoline_kernelINS0_14default_configENS1_20scan_config_selectorI11FixedVectorIiLj1EEEEZZNS1_9scan_implILNS1_25lookback_scan_determinismE0ELb1ELb1ES3_N6thrust23THRUST_200600_302600_NS6detail15normal_iteratorINSB_10device_ptrIS6_EEEESG_S6_NSB_4plusIvEES6_EEDaPvRmT3_T4_T5_mT6_P12ihipStream_tbENKUlT_T0_E_clISt17integral_constantIbLb0EESW_EEDaSR_SS_EUlSR_E0_NS1_11comp_targetILNS1_3genE10ELNS1_11target_archE1200ELNS1_3gpuE4ELNS1_3repE0EEENS1_30default_config_static_selectorELNS0_4arch9wavefront6targetE1EEEvT1_
    .private_segment_fixed_size: 0
    .sgpr_count:     4
    .sgpr_spill_count: 0
    .symbol:         _ZN7rocprim17ROCPRIM_400000_NS6detail17trampoline_kernelINS0_14default_configENS1_20scan_config_selectorI11FixedVectorIiLj1EEEEZZNS1_9scan_implILNS1_25lookback_scan_determinismE0ELb1ELb1ES3_N6thrust23THRUST_200600_302600_NS6detail15normal_iteratorINSB_10device_ptrIS6_EEEESG_S6_NSB_4plusIvEES6_EEDaPvRmT3_T4_T5_mT6_P12ihipStream_tbENKUlT_T0_E_clISt17integral_constantIbLb0EESW_EEDaSR_SS_EUlSR_E0_NS1_11comp_targetILNS1_3genE10ELNS1_11target_archE1200ELNS1_3gpuE4ELNS1_3repE0EEENS1_30default_config_static_selectorELNS0_4arch9wavefront6targetE1EEEvT1_.kd
    .uniform_work_group_size: 1
    .uses_dynamic_stack: false
    .vgpr_count:     0
    .vgpr_spill_count: 0
    .wavefront_size: 64
  - .agpr_count:     0
    .args:
      - .offset:         0
        .size:           32
        .value_kind:     by_value
    .group_segment_fixed_size: 0
    .kernarg_segment_align: 8
    .kernarg_segment_size: 32
    .language:       OpenCL C
    .language_version:
      - 2
      - 0
    .max_flat_workgroup_size: 256
    .name:           _ZN7rocprim17ROCPRIM_400000_NS6detail17trampoline_kernelINS0_14default_configENS1_20scan_config_selectorI11FixedVectorIiLj1EEEEZZNS1_9scan_implILNS1_25lookback_scan_determinismE0ELb1ELb1ES3_N6thrust23THRUST_200600_302600_NS6detail15normal_iteratorINSB_10device_ptrIS6_EEEESG_S6_NSB_4plusIvEES6_EEDaPvRmT3_T4_T5_mT6_P12ihipStream_tbENKUlT_T0_E_clISt17integral_constantIbLb0EESW_EEDaSR_SS_EUlSR_E0_NS1_11comp_targetILNS1_3genE9ELNS1_11target_archE1100ELNS1_3gpuE3ELNS1_3repE0EEENS1_30default_config_static_selectorELNS0_4arch9wavefront6targetE1EEEvT1_
    .private_segment_fixed_size: 0
    .sgpr_count:     4
    .sgpr_spill_count: 0
    .symbol:         _ZN7rocprim17ROCPRIM_400000_NS6detail17trampoline_kernelINS0_14default_configENS1_20scan_config_selectorI11FixedVectorIiLj1EEEEZZNS1_9scan_implILNS1_25lookback_scan_determinismE0ELb1ELb1ES3_N6thrust23THRUST_200600_302600_NS6detail15normal_iteratorINSB_10device_ptrIS6_EEEESG_S6_NSB_4plusIvEES6_EEDaPvRmT3_T4_T5_mT6_P12ihipStream_tbENKUlT_T0_E_clISt17integral_constantIbLb0EESW_EEDaSR_SS_EUlSR_E0_NS1_11comp_targetILNS1_3genE9ELNS1_11target_archE1100ELNS1_3gpuE3ELNS1_3repE0EEENS1_30default_config_static_selectorELNS0_4arch9wavefront6targetE1EEEvT1_.kd
    .uniform_work_group_size: 1
    .uses_dynamic_stack: false
    .vgpr_count:     0
    .vgpr_spill_count: 0
    .wavefront_size: 64
  - .agpr_count:     0
    .args:
      - .offset:         0
        .size:           32
        .value_kind:     by_value
    .group_segment_fixed_size: 0
    .kernarg_segment_align: 8
    .kernarg_segment_size: 32
    .language:       OpenCL C
    .language_version:
      - 2
      - 0
    .max_flat_workgroup_size: 64
    .name:           _ZN7rocprim17ROCPRIM_400000_NS6detail17trampoline_kernelINS0_14default_configENS1_20scan_config_selectorI11FixedVectorIiLj1EEEEZZNS1_9scan_implILNS1_25lookback_scan_determinismE0ELb1ELb1ES3_N6thrust23THRUST_200600_302600_NS6detail15normal_iteratorINSB_10device_ptrIS6_EEEESG_S6_NSB_4plusIvEES6_EEDaPvRmT3_T4_T5_mT6_P12ihipStream_tbENKUlT_T0_E_clISt17integral_constantIbLb0EESW_EEDaSR_SS_EUlSR_E0_NS1_11comp_targetILNS1_3genE8ELNS1_11target_archE1030ELNS1_3gpuE2ELNS1_3repE0EEENS1_30default_config_static_selectorELNS0_4arch9wavefront6targetE1EEEvT1_
    .private_segment_fixed_size: 0
    .sgpr_count:     4
    .sgpr_spill_count: 0
    .symbol:         _ZN7rocprim17ROCPRIM_400000_NS6detail17trampoline_kernelINS0_14default_configENS1_20scan_config_selectorI11FixedVectorIiLj1EEEEZZNS1_9scan_implILNS1_25lookback_scan_determinismE0ELb1ELb1ES3_N6thrust23THRUST_200600_302600_NS6detail15normal_iteratorINSB_10device_ptrIS6_EEEESG_S6_NSB_4plusIvEES6_EEDaPvRmT3_T4_T5_mT6_P12ihipStream_tbENKUlT_T0_E_clISt17integral_constantIbLb0EESW_EEDaSR_SS_EUlSR_E0_NS1_11comp_targetILNS1_3genE8ELNS1_11target_archE1030ELNS1_3gpuE2ELNS1_3repE0EEENS1_30default_config_static_selectorELNS0_4arch9wavefront6targetE1EEEvT1_.kd
    .uniform_work_group_size: 1
    .uses_dynamic_stack: false
    .vgpr_count:     0
    .vgpr_spill_count: 0
    .wavefront_size: 64
  - .agpr_count:     0
    .args:
      - .offset:         0
        .size:           96
        .value_kind:     by_value
    .group_segment_fixed_size: 0
    .kernarg_segment_align: 8
    .kernarg_segment_size: 96
    .language:       OpenCL C
    .language_version:
      - 2
      - 0
    .max_flat_workgroup_size: 256
    .name:           _ZN7rocprim17ROCPRIM_400000_NS6detail17trampoline_kernelINS0_14default_configENS1_20scan_config_selectorI11FixedVectorIiLj1EEEEZZNS1_9scan_implILNS1_25lookback_scan_determinismE0ELb1ELb1ES3_N6thrust23THRUST_200600_302600_NS6detail15normal_iteratorINSB_10device_ptrIS6_EEEESG_S6_NSB_4plusIvEES6_EEDaPvRmT3_T4_T5_mT6_P12ihipStream_tbENKUlT_T0_E_clISt17integral_constantIbLb1EESW_EEDaSR_SS_EUlSR_E_NS1_11comp_targetILNS1_3genE0ELNS1_11target_archE4294967295ELNS1_3gpuE0ELNS1_3repE0EEENS1_30default_config_static_selectorELNS0_4arch9wavefront6targetE1EEEvT1_
    .private_segment_fixed_size: 0
    .sgpr_count:     4
    .sgpr_spill_count: 0
    .symbol:         _ZN7rocprim17ROCPRIM_400000_NS6detail17trampoline_kernelINS0_14default_configENS1_20scan_config_selectorI11FixedVectorIiLj1EEEEZZNS1_9scan_implILNS1_25lookback_scan_determinismE0ELb1ELb1ES3_N6thrust23THRUST_200600_302600_NS6detail15normal_iteratorINSB_10device_ptrIS6_EEEESG_S6_NSB_4plusIvEES6_EEDaPvRmT3_T4_T5_mT6_P12ihipStream_tbENKUlT_T0_E_clISt17integral_constantIbLb1EESW_EEDaSR_SS_EUlSR_E_NS1_11comp_targetILNS1_3genE0ELNS1_11target_archE4294967295ELNS1_3gpuE0ELNS1_3repE0EEENS1_30default_config_static_selectorELNS0_4arch9wavefront6targetE1EEEvT1_.kd
    .uniform_work_group_size: 1
    .uses_dynamic_stack: false
    .vgpr_count:     0
    .vgpr_spill_count: 0
    .wavefront_size: 64
  - .agpr_count:     0
    .args:
      - .offset:         0
        .size:           96
        .value_kind:     by_value
    .group_segment_fixed_size: 0
    .kernarg_segment_align: 8
    .kernarg_segment_size: 96
    .language:       OpenCL C
    .language_version:
      - 2
      - 0
    .max_flat_workgroup_size: 256
    .name:           _ZN7rocprim17ROCPRIM_400000_NS6detail17trampoline_kernelINS0_14default_configENS1_20scan_config_selectorI11FixedVectorIiLj1EEEEZZNS1_9scan_implILNS1_25lookback_scan_determinismE0ELb1ELb1ES3_N6thrust23THRUST_200600_302600_NS6detail15normal_iteratorINSB_10device_ptrIS6_EEEESG_S6_NSB_4plusIvEES6_EEDaPvRmT3_T4_T5_mT6_P12ihipStream_tbENKUlT_T0_E_clISt17integral_constantIbLb1EESW_EEDaSR_SS_EUlSR_E_NS1_11comp_targetILNS1_3genE5ELNS1_11target_archE942ELNS1_3gpuE9ELNS1_3repE0EEENS1_30default_config_static_selectorELNS0_4arch9wavefront6targetE1EEEvT1_
    .private_segment_fixed_size: 0
    .sgpr_count:     4
    .sgpr_spill_count: 0
    .symbol:         _ZN7rocprim17ROCPRIM_400000_NS6detail17trampoline_kernelINS0_14default_configENS1_20scan_config_selectorI11FixedVectorIiLj1EEEEZZNS1_9scan_implILNS1_25lookback_scan_determinismE0ELb1ELb1ES3_N6thrust23THRUST_200600_302600_NS6detail15normal_iteratorINSB_10device_ptrIS6_EEEESG_S6_NSB_4plusIvEES6_EEDaPvRmT3_T4_T5_mT6_P12ihipStream_tbENKUlT_T0_E_clISt17integral_constantIbLb1EESW_EEDaSR_SS_EUlSR_E_NS1_11comp_targetILNS1_3genE5ELNS1_11target_archE942ELNS1_3gpuE9ELNS1_3repE0EEENS1_30default_config_static_selectorELNS0_4arch9wavefront6targetE1EEEvT1_.kd
    .uniform_work_group_size: 1
    .uses_dynamic_stack: false
    .vgpr_count:     0
    .vgpr_spill_count: 0
    .wavefront_size: 64
  - .agpr_count:     0
    .args:
      - .offset:         0
        .size:           96
        .value_kind:     by_value
    .group_segment_fixed_size: 5120
    .kernarg_segment_align: 8
    .kernarg_segment_size: 96
    .language:       OpenCL C
    .language_version:
      - 2
      - 0
    .max_flat_workgroup_size: 128
    .name:           _ZN7rocprim17ROCPRIM_400000_NS6detail17trampoline_kernelINS0_14default_configENS1_20scan_config_selectorI11FixedVectorIiLj1EEEEZZNS1_9scan_implILNS1_25lookback_scan_determinismE0ELb1ELb1ES3_N6thrust23THRUST_200600_302600_NS6detail15normal_iteratorINSB_10device_ptrIS6_EEEESG_S6_NSB_4plusIvEES6_EEDaPvRmT3_T4_T5_mT6_P12ihipStream_tbENKUlT_T0_E_clISt17integral_constantIbLb1EESW_EEDaSR_SS_EUlSR_E_NS1_11comp_targetILNS1_3genE4ELNS1_11target_archE910ELNS1_3gpuE8ELNS1_3repE0EEENS1_30default_config_static_selectorELNS0_4arch9wavefront6targetE1EEEvT1_
    .private_segment_fixed_size: 0
    .sgpr_count:     44
    .sgpr_spill_count: 0
    .symbol:         _ZN7rocprim17ROCPRIM_400000_NS6detail17trampoline_kernelINS0_14default_configENS1_20scan_config_selectorI11FixedVectorIiLj1EEEEZZNS1_9scan_implILNS1_25lookback_scan_determinismE0ELb1ELb1ES3_N6thrust23THRUST_200600_302600_NS6detail15normal_iteratorINSB_10device_ptrIS6_EEEESG_S6_NSB_4plusIvEES6_EEDaPvRmT3_T4_T5_mT6_P12ihipStream_tbENKUlT_T0_E_clISt17integral_constantIbLb1EESW_EEDaSR_SS_EUlSR_E_NS1_11comp_targetILNS1_3genE4ELNS1_11target_archE910ELNS1_3gpuE8ELNS1_3repE0EEENS1_30default_config_static_selectorELNS0_4arch9wavefront6targetE1EEEvT1_.kd
    .uniform_work_group_size: 1
    .uses_dynamic_stack: false
    .vgpr_count:     41
    .vgpr_spill_count: 0
    .wavefront_size: 64
  - .agpr_count:     0
    .args:
      - .offset:         0
        .size:           96
        .value_kind:     by_value
    .group_segment_fixed_size: 0
    .kernarg_segment_align: 8
    .kernarg_segment_size: 96
    .language:       OpenCL C
    .language_version:
      - 2
      - 0
    .max_flat_workgroup_size: 256
    .name:           _ZN7rocprim17ROCPRIM_400000_NS6detail17trampoline_kernelINS0_14default_configENS1_20scan_config_selectorI11FixedVectorIiLj1EEEEZZNS1_9scan_implILNS1_25lookback_scan_determinismE0ELb1ELb1ES3_N6thrust23THRUST_200600_302600_NS6detail15normal_iteratorINSB_10device_ptrIS6_EEEESG_S6_NSB_4plusIvEES6_EEDaPvRmT3_T4_T5_mT6_P12ihipStream_tbENKUlT_T0_E_clISt17integral_constantIbLb1EESW_EEDaSR_SS_EUlSR_E_NS1_11comp_targetILNS1_3genE3ELNS1_11target_archE908ELNS1_3gpuE7ELNS1_3repE0EEENS1_30default_config_static_selectorELNS0_4arch9wavefront6targetE1EEEvT1_
    .private_segment_fixed_size: 0
    .sgpr_count:     4
    .sgpr_spill_count: 0
    .symbol:         _ZN7rocprim17ROCPRIM_400000_NS6detail17trampoline_kernelINS0_14default_configENS1_20scan_config_selectorI11FixedVectorIiLj1EEEEZZNS1_9scan_implILNS1_25lookback_scan_determinismE0ELb1ELb1ES3_N6thrust23THRUST_200600_302600_NS6detail15normal_iteratorINSB_10device_ptrIS6_EEEESG_S6_NSB_4plusIvEES6_EEDaPvRmT3_T4_T5_mT6_P12ihipStream_tbENKUlT_T0_E_clISt17integral_constantIbLb1EESW_EEDaSR_SS_EUlSR_E_NS1_11comp_targetILNS1_3genE3ELNS1_11target_archE908ELNS1_3gpuE7ELNS1_3repE0EEENS1_30default_config_static_selectorELNS0_4arch9wavefront6targetE1EEEvT1_.kd
    .uniform_work_group_size: 1
    .uses_dynamic_stack: false
    .vgpr_count:     0
    .vgpr_spill_count: 0
    .wavefront_size: 64
  - .agpr_count:     0
    .args:
      - .offset:         0
        .size:           96
        .value_kind:     by_value
    .group_segment_fixed_size: 0
    .kernarg_segment_align: 8
    .kernarg_segment_size: 96
    .language:       OpenCL C
    .language_version:
      - 2
      - 0
    .max_flat_workgroup_size: 256
    .name:           _ZN7rocprim17ROCPRIM_400000_NS6detail17trampoline_kernelINS0_14default_configENS1_20scan_config_selectorI11FixedVectorIiLj1EEEEZZNS1_9scan_implILNS1_25lookback_scan_determinismE0ELb1ELb1ES3_N6thrust23THRUST_200600_302600_NS6detail15normal_iteratorINSB_10device_ptrIS6_EEEESG_S6_NSB_4plusIvEES6_EEDaPvRmT3_T4_T5_mT6_P12ihipStream_tbENKUlT_T0_E_clISt17integral_constantIbLb1EESW_EEDaSR_SS_EUlSR_E_NS1_11comp_targetILNS1_3genE2ELNS1_11target_archE906ELNS1_3gpuE6ELNS1_3repE0EEENS1_30default_config_static_selectorELNS0_4arch9wavefront6targetE1EEEvT1_
    .private_segment_fixed_size: 0
    .sgpr_count:     4
    .sgpr_spill_count: 0
    .symbol:         _ZN7rocprim17ROCPRIM_400000_NS6detail17trampoline_kernelINS0_14default_configENS1_20scan_config_selectorI11FixedVectorIiLj1EEEEZZNS1_9scan_implILNS1_25lookback_scan_determinismE0ELb1ELb1ES3_N6thrust23THRUST_200600_302600_NS6detail15normal_iteratorINSB_10device_ptrIS6_EEEESG_S6_NSB_4plusIvEES6_EEDaPvRmT3_T4_T5_mT6_P12ihipStream_tbENKUlT_T0_E_clISt17integral_constantIbLb1EESW_EEDaSR_SS_EUlSR_E_NS1_11comp_targetILNS1_3genE2ELNS1_11target_archE906ELNS1_3gpuE6ELNS1_3repE0EEENS1_30default_config_static_selectorELNS0_4arch9wavefront6targetE1EEEvT1_.kd
    .uniform_work_group_size: 1
    .uses_dynamic_stack: false
    .vgpr_count:     0
    .vgpr_spill_count: 0
    .wavefront_size: 64
  - .agpr_count:     0
    .args:
      - .offset:         0
        .size:           96
        .value_kind:     by_value
    .group_segment_fixed_size: 0
    .kernarg_segment_align: 8
    .kernarg_segment_size: 96
    .language:       OpenCL C
    .language_version:
      - 2
      - 0
    .max_flat_workgroup_size: 256
    .name:           _ZN7rocprim17ROCPRIM_400000_NS6detail17trampoline_kernelINS0_14default_configENS1_20scan_config_selectorI11FixedVectorIiLj1EEEEZZNS1_9scan_implILNS1_25lookback_scan_determinismE0ELb1ELb1ES3_N6thrust23THRUST_200600_302600_NS6detail15normal_iteratorINSB_10device_ptrIS6_EEEESG_S6_NSB_4plusIvEES6_EEDaPvRmT3_T4_T5_mT6_P12ihipStream_tbENKUlT_T0_E_clISt17integral_constantIbLb1EESW_EEDaSR_SS_EUlSR_E_NS1_11comp_targetILNS1_3genE10ELNS1_11target_archE1201ELNS1_3gpuE5ELNS1_3repE0EEENS1_30default_config_static_selectorELNS0_4arch9wavefront6targetE1EEEvT1_
    .private_segment_fixed_size: 0
    .sgpr_count:     4
    .sgpr_spill_count: 0
    .symbol:         _ZN7rocprim17ROCPRIM_400000_NS6detail17trampoline_kernelINS0_14default_configENS1_20scan_config_selectorI11FixedVectorIiLj1EEEEZZNS1_9scan_implILNS1_25lookback_scan_determinismE0ELb1ELb1ES3_N6thrust23THRUST_200600_302600_NS6detail15normal_iteratorINSB_10device_ptrIS6_EEEESG_S6_NSB_4plusIvEES6_EEDaPvRmT3_T4_T5_mT6_P12ihipStream_tbENKUlT_T0_E_clISt17integral_constantIbLb1EESW_EEDaSR_SS_EUlSR_E_NS1_11comp_targetILNS1_3genE10ELNS1_11target_archE1201ELNS1_3gpuE5ELNS1_3repE0EEENS1_30default_config_static_selectorELNS0_4arch9wavefront6targetE1EEEvT1_.kd
    .uniform_work_group_size: 1
    .uses_dynamic_stack: false
    .vgpr_count:     0
    .vgpr_spill_count: 0
    .wavefront_size: 64
  - .agpr_count:     0
    .args:
      - .offset:         0
        .size:           96
        .value_kind:     by_value
    .group_segment_fixed_size: 0
    .kernarg_segment_align: 8
    .kernarg_segment_size: 96
    .language:       OpenCL C
    .language_version:
      - 2
      - 0
    .max_flat_workgroup_size: 256
    .name:           _ZN7rocprim17ROCPRIM_400000_NS6detail17trampoline_kernelINS0_14default_configENS1_20scan_config_selectorI11FixedVectorIiLj1EEEEZZNS1_9scan_implILNS1_25lookback_scan_determinismE0ELb1ELb1ES3_N6thrust23THRUST_200600_302600_NS6detail15normal_iteratorINSB_10device_ptrIS6_EEEESG_S6_NSB_4plusIvEES6_EEDaPvRmT3_T4_T5_mT6_P12ihipStream_tbENKUlT_T0_E_clISt17integral_constantIbLb1EESW_EEDaSR_SS_EUlSR_E_NS1_11comp_targetILNS1_3genE10ELNS1_11target_archE1200ELNS1_3gpuE4ELNS1_3repE0EEENS1_30default_config_static_selectorELNS0_4arch9wavefront6targetE1EEEvT1_
    .private_segment_fixed_size: 0
    .sgpr_count:     4
    .sgpr_spill_count: 0
    .symbol:         _ZN7rocprim17ROCPRIM_400000_NS6detail17trampoline_kernelINS0_14default_configENS1_20scan_config_selectorI11FixedVectorIiLj1EEEEZZNS1_9scan_implILNS1_25lookback_scan_determinismE0ELb1ELb1ES3_N6thrust23THRUST_200600_302600_NS6detail15normal_iteratorINSB_10device_ptrIS6_EEEESG_S6_NSB_4plusIvEES6_EEDaPvRmT3_T4_T5_mT6_P12ihipStream_tbENKUlT_T0_E_clISt17integral_constantIbLb1EESW_EEDaSR_SS_EUlSR_E_NS1_11comp_targetILNS1_3genE10ELNS1_11target_archE1200ELNS1_3gpuE4ELNS1_3repE0EEENS1_30default_config_static_selectorELNS0_4arch9wavefront6targetE1EEEvT1_.kd
    .uniform_work_group_size: 1
    .uses_dynamic_stack: false
    .vgpr_count:     0
    .vgpr_spill_count: 0
    .wavefront_size: 64
  - .agpr_count:     0
    .args:
      - .offset:         0
        .size:           96
        .value_kind:     by_value
    .group_segment_fixed_size: 0
    .kernarg_segment_align: 8
    .kernarg_segment_size: 96
    .language:       OpenCL C
    .language_version:
      - 2
      - 0
    .max_flat_workgroup_size: 256
    .name:           _ZN7rocprim17ROCPRIM_400000_NS6detail17trampoline_kernelINS0_14default_configENS1_20scan_config_selectorI11FixedVectorIiLj1EEEEZZNS1_9scan_implILNS1_25lookback_scan_determinismE0ELb1ELb1ES3_N6thrust23THRUST_200600_302600_NS6detail15normal_iteratorINSB_10device_ptrIS6_EEEESG_S6_NSB_4plusIvEES6_EEDaPvRmT3_T4_T5_mT6_P12ihipStream_tbENKUlT_T0_E_clISt17integral_constantIbLb1EESW_EEDaSR_SS_EUlSR_E_NS1_11comp_targetILNS1_3genE9ELNS1_11target_archE1100ELNS1_3gpuE3ELNS1_3repE0EEENS1_30default_config_static_selectorELNS0_4arch9wavefront6targetE1EEEvT1_
    .private_segment_fixed_size: 0
    .sgpr_count:     4
    .sgpr_spill_count: 0
    .symbol:         _ZN7rocprim17ROCPRIM_400000_NS6detail17trampoline_kernelINS0_14default_configENS1_20scan_config_selectorI11FixedVectorIiLj1EEEEZZNS1_9scan_implILNS1_25lookback_scan_determinismE0ELb1ELb1ES3_N6thrust23THRUST_200600_302600_NS6detail15normal_iteratorINSB_10device_ptrIS6_EEEESG_S6_NSB_4plusIvEES6_EEDaPvRmT3_T4_T5_mT6_P12ihipStream_tbENKUlT_T0_E_clISt17integral_constantIbLb1EESW_EEDaSR_SS_EUlSR_E_NS1_11comp_targetILNS1_3genE9ELNS1_11target_archE1100ELNS1_3gpuE3ELNS1_3repE0EEENS1_30default_config_static_selectorELNS0_4arch9wavefront6targetE1EEEvT1_.kd
    .uniform_work_group_size: 1
    .uses_dynamic_stack: false
    .vgpr_count:     0
    .vgpr_spill_count: 0
    .wavefront_size: 64
  - .agpr_count:     0
    .args:
      - .offset:         0
        .size:           96
        .value_kind:     by_value
    .group_segment_fixed_size: 0
    .kernarg_segment_align: 8
    .kernarg_segment_size: 96
    .language:       OpenCL C
    .language_version:
      - 2
      - 0
    .max_flat_workgroup_size: 64
    .name:           _ZN7rocprim17ROCPRIM_400000_NS6detail17trampoline_kernelINS0_14default_configENS1_20scan_config_selectorI11FixedVectorIiLj1EEEEZZNS1_9scan_implILNS1_25lookback_scan_determinismE0ELb1ELb1ES3_N6thrust23THRUST_200600_302600_NS6detail15normal_iteratorINSB_10device_ptrIS6_EEEESG_S6_NSB_4plusIvEES6_EEDaPvRmT3_T4_T5_mT6_P12ihipStream_tbENKUlT_T0_E_clISt17integral_constantIbLb1EESW_EEDaSR_SS_EUlSR_E_NS1_11comp_targetILNS1_3genE8ELNS1_11target_archE1030ELNS1_3gpuE2ELNS1_3repE0EEENS1_30default_config_static_selectorELNS0_4arch9wavefront6targetE1EEEvT1_
    .private_segment_fixed_size: 0
    .sgpr_count:     4
    .sgpr_spill_count: 0
    .symbol:         _ZN7rocprim17ROCPRIM_400000_NS6detail17trampoline_kernelINS0_14default_configENS1_20scan_config_selectorI11FixedVectorIiLj1EEEEZZNS1_9scan_implILNS1_25lookback_scan_determinismE0ELb1ELb1ES3_N6thrust23THRUST_200600_302600_NS6detail15normal_iteratorINSB_10device_ptrIS6_EEEESG_S6_NSB_4plusIvEES6_EEDaPvRmT3_T4_T5_mT6_P12ihipStream_tbENKUlT_T0_E_clISt17integral_constantIbLb1EESW_EEDaSR_SS_EUlSR_E_NS1_11comp_targetILNS1_3genE8ELNS1_11target_archE1030ELNS1_3gpuE2ELNS1_3repE0EEENS1_30default_config_static_selectorELNS0_4arch9wavefront6targetE1EEEvT1_.kd
    .uniform_work_group_size: 1
    .uses_dynamic_stack: false
    .vgpr_count:     0
    .vgpr_spill_count: 0
    .wavefront_size: 64
  - .agpr_count:     0
    .args:
      - .offset:         0
        .size:           32
        .value_kind:     by_value
    .group_segment_fixed_size: 0
    .kernarg_segment_align: 8
    .kernarg_segment_size: 32
    .language:       OpenCL C
    .language_version:
      - 2
      - 0
    .max_flat_workgroup_size: 256
    .name:           _ZN7rocprim17ROCPRIM_400000_NS6detail17trampoline_kernelINS0_14default_configENS1_20scan_config_selectorI11FixedVectorIiLj1EEEEZZNS1_9scan_implILNS1_25lookback_scan_determinismE0ELb1ELb1ES3_N6thrust23THRUST_200600_302600_NS6detail15normal_iteratorINSB_10device_ptrIS6_EEEESG_S6_NSB_4plusIvEES6_EEDaPvRmT3_T4_T5_mT6_P12ihipStream_tbENKUlT_T0_E_clISt17integral_constantIbLb1EESW_EEDaSR_SS_EUlSR_E0_NS1_11comp_targetILNS1_3genE0ELNS1_11target_archE4294967295ELNS1_3gpuE0ELNS1_3repE0EEENS1_30default_config_static_selectorELNS0_4arch9wavefront6targetE1EEEvT1_
    .private_segment_fixed_size: 0
    .sgpr_count:     4
    .sgpr_spill_count: 0
    .symbol:         _ZN7rocprim17ROCPRIM_400000_NS6detail17trampoline_kernelINS0_14default_configENS1_20scan_config_selectorI11FixedVectorIiLj1EEEEZZNS1_9scan_implILNS1_25lookback_scan_determinismE0ELb1ELb1ES3_N6thrust23THRUST_200600_302600_NS6detail15normal_iteratorINSB_10device_ptrIS6_EEEESG_S6_NSB_4plusIvEES6_EEDaPvRmT3_T4_T5_mT6_P12ihipStream_tbENKUlT_T0_E_clISt17integral_constantIbLb1EESW_EEDaSR_SS_EUlSR_E0_NS1_11comp_targetILNS1_3genE0ELNS1_11target_archE4294967295ELNS1_3gpuE0ELNS1_3repE0EEENS1_30default_config_static_selectorELNS0_4arch9wavefront6targetE1EEEvT1_.kd
    .uniform_work_group_size: 1
    .uses_dynamic_stack: false
    .vgpr_count:     0
    .vgpr_spill_count: 0
    .wavefront_size: 64
  - .agpr_count:     0
    .args:
      - .offset:         0
        .size:           32
        .value_kind:     by_value
    .group_segment_fixed_size: 0
    .kernarg_segment_align: 8
    .kernarg_segment_size: 32
    .language:       OpenCL C
    .language_version:
      - 2
      - 0
    .max_flat_workgroup_size: 256
    .name:           _ZN7rocprim17ROCPRIM_400000_NS6detail17trampoline_kernelINS0_14default_configENS1_20scan_config_selectorI11FixedVectorIiLj1EEEEZZNS1_9scan_implILNS1_25lookback_scan_determinismE0ELb1ELb1ES3_N6thrust23THRUST_200600_302600_NS6detail15normal_iteratorINSB_10device_ptrIS6_EEEESG_S6_NSB_4plusIvEES6_EEDaPvRmT3_T4_T5_mT6_P12ihipStream_tbENKUlT_T0_E_clISt17integral_constantIbLb1EESW_EEDaSR_SS_EUlSR_E0_NS1_11comp_targetILNS1_3genE5ELNS1_11target_archE942ELNS1_3gpuE9ELNS1_3repE0EEENS1_30default_config_static_selectorELNS0_4arch9wavefront6targetE1EEEvT1_
    .private_segment_fixed_size: 0
    .sgpr_count:     4
    .sgpr_spill_count: 0
    .symbol:         _ZN7rocprim17ROCPRIM_400000_NS6detail17trampoline_kernelINS0_14default_configENS1_20scan_config_selectorI11FixedVectorIiLj1EEEEZZNS1_9scan_implILNS1_25lookback_scan_determinismE0ELb1ELb1ES3_N6thrust23THRUST_200600_302600_NS6detail15normal_iteratorINSB_10device_ptrIS6_EEEESG_S6_NSB_4plusIvEES6_EEDaPvRmT3_T4_T5_mT6_P12ihipStream_tbENKUlT_T0_E_clISt17integral_constantIbLb1EESW_EEDaSR_SS_EUlSR_E0_NS1_11comp_targetILNS1_3genE5ELNS1_11target_archE942ELNS1_3gpuE9ELNS1_3repE0EEENS1_30default_config_static_selectorELNS0_4arch9wavefront6targetE1EEEvT1_.kd
    .uniform_work_group_size: 1
    .uses_dynamic_stack: false
    .vgpr_count:     0
    .vgpr_spill_count: 0
    .wavefront_size: 64
  - .agpr_count:     0
    .args:
      - .offset:         0
        .size:           32
        .value_kind:     by_value
    .group_segment_fixed_size: 5120
    .kernarg_segment_align: 8
    .kernarg_segment_size: 32
    .language:       OpenCL C
    .language_version:
      - 2
      - 0
    .max_flat_workgroup_size: 128
    .name:           _ZN7rocprim17ROCPRIM_400000_NS6detail17trampoline_kernelINS0_14default_configENS1_20scan_config_selectorI11FixedVectorIiLj1EEEEZZNS1_9scan_implILNS1_25lookback_scan_determinismE0ELb1ELb1ES3_N6thrust23THRUST_200600_302600_NS6detail15normal_iteratorINSB_10device_ptrIS6_EEEESG_S6_NSB_4plusIvEES6_EEDaPvRmT3_T4_T5_mT6_P12ihipStream_tbENKUlT_T0_E_clISt17integral_constantIbLb1EESW_EEDaSR_SS_EUlSR_E0_NS1_11comp_targetILNS1_3genE4ELNS1_11target_archE910ELNS1_3gpuE8ELNS1_3repE0EEENS1_30default_config_static_selectorELNS0_4arch9wavefront6targetE1EEEvT1_
    .private_segment_fixed_size: 0
    .sgpr_count:     29
    .sgpr_spill_count: 0
    .symbol:         _ZN7rocprim17ROCPRIM_400000_NS6detail17trampoline_kernelINS0_14default_configENS1_20scan_config_selectorI11FixedVectorIiLj1EEEEZZNS1_9scan_implILNS1_25lookback_scan_determinismE0ELb1ELb1ES3_N6thrust23THRUST_200600_302600_NS6detail15normal_iteratorINSB_10device_ptrIS6_EEEESG_S6_NSB_4plusIvEES6_EEDaPvRmT3_T4_T5_mT6_P12ihipStream_tbENKUlT_T0_E_clISt17integral_constantIbLb1EESW_EEDaSR_SS_EUlSR_E0_NS1_11comp_targetILNS1_3genE4ELNS1_11target_archE910ELNS1_3gpuE8ELNS1_3repE0EEENS1_30default_config_static_selectorELNS0_4arch9wavefront6targetE1EEEvT1_.kd
    .uniform_work_group_size: 1
    .uses_dynamic_stack: false
    .vgpr_count:     18
    .vgpr_spill_count: 0
    .wavefront_size: 64
  - .agpr_count:     0
    .args:
      - .offset:         0
        .size:           32
        .value_kind:     by_value
    .group_segment_fixed_size: 0
    .kernarg_segment_align: 8
    .kernarg_segment_size: 32
    .language:       OpenCL C
    .language_version:
      - 2
      - 0
    .max_flat_workgroup_size: 256
    .name:           _ZN7rocprim17ROCPRIM_400000_NS6detail17trampoline_kernelINS0_14default_configENS1_20scan_config_selectorI11FixedVectorIiLj1EEEEZZNS1_9scan_implILNS1_25lookback_scan_determinismE0ELb1ELb1ES3_N6thrust23THRUST_200600_302600_NS6detail15normal_iteratorINSB_10device_ptrIS6_EEEESG_S6_NSB_4plusIvEES6_EEDaPvRmT3_T4_T5_mT6_P12ihipStream_tbENKUlT_T0_E_clISt17integral_constantIbLb1EESW_EEDaSR_SS_EUlSR_E0_NS1_11comp_targetILNS1_3genE3ELNS1_11target_archE908ELNS1_3gpuE7ELNS1_3repE0EEENS1_30default_config_static_selectorELNS0_4arch9wavefront6targetE1EEEvT1_
    .private_segment_fixed_size: 0
    .sgpr_count:     4
    .sgpr_spill_count: 0
    .symbol:         _ZN7rocprim17ROCPRIM_400000_NS6detail17trampoline_kernelINS0_14default_configENS1_20scan_config_selectorI11FixedVectorIiLj1EEEEZZNS1_9scan_implILNS1_25lookback_scan_determinismE0ELb1ELb1ES3_N6thrust23THRUST_200600_302600_NS6detail15normal_iteratorINSB_10device_ptrIS6_EEEESG_S6_NSB_4plusIvEES6_EEDaPvRmT3_T4_T5_mT6_P12ihipStream_tbENKUlT_T0_E_clISt17integral_constantIbLb1EESW_EEDaSR_SS_EUlSR_E0_NS1_11comp_targetILNS1_3genE3ELNS1_11target_archE908ELNS1_3gpuE7ELNS1_3repE0EEENS1_30default_config_static_selectorELNS0_4arch9wavefront6targetE1EEEvT1_.kd
    .uniform_work_group_size: 1
    .uses_dynamic_stack: false
    .vgpr_count:     0
    .vgpr_spill_count: 0
    .wavefront_size: 64
  - .agpr_count:     0
    .args:
      - .offset:         0
        .size:           32
        .value_kind:     by_value
    .group_segment_fixed_size: 0
    .kernarg_segment_align: 8
    .kernarg_segment_size: 32
    .language:       OpenCL C
    .language_version:
      - 2
      - 0
    .max_flat_workgroup_size: 256
    .name:           _ZN7rocprim17ROCPRIM_400000_NS6detail17trampoline_kernelINS0_14default_configENS1_20scan_config_selectorI11FixedVectorIiLj1EEEEZZNS1_9scan_implILNS1_25lookback_scan_determinismE0ELb1ELb1ES3_N6thrust23THRUST_200600_302600_NS6detail15normal_iteratorINSB_10device_ptrIS6_EEEESG_S6_NSB_4plusIvEES6_EEDaPvRmT3_T4_T5_mT6_P12ihipStream_tbENKUlT_T0_E_clISt17integral_constantIbLb1EESW_EEDaSR_SS_EUlSR_E0_NS1_11comp_targetILNS1_3genE2ELNS1_11target_archE906ELNS1_3gpuE6ELNS1_3repE0EEENS1_30default_config_static_selectorELNS0_4arch9wavefront6targetE1EEEvT1_
    .private_segment_fixed_size: 0
    .sgpr_count:     4
    .sgpr_spill_count: 0
    .symbol:         _ZN7rocprim17ROCPRIM_400000_NS6detail17trampoline_kernelINS0_14default_configENS1_20scan_config_selectorI11FixedVectorIiLj1EEEEZZNS1_9scan_implILNS1_25lookback_scan_determinismE0ELb1ELb1ES3_N6thrust23THRUST_200600_302600_NS6detail15normal_iteratorINSB_10device_ptrIS6_EEEESG_S6_NSB_4plusIvEES6_EEDaPvRmT3_T4_T5_mT6_P12ihipStream_tbENKUlT_T0_E_clISt17integral_constantIbLb1EESW_EEDaSR_SS_EUlSR_E0_NS1_11comp_targetILNS1_3genE2ELNS1_11target_archE906ELNS1_3gpuE6ELNS1_3repE0EEENS1_30default_config_static_selectorELNS0_4arch9wavefront6targetE1EEEvT1_.kd
    .uniform_work_group_size: 1
    .uses_dynamic_stack: false
    .vgpr_count:     0
    .vgpr_spill_count: 0
    .wavefront_size: 64
  - .agpr_count:     0
    .args:
      - .offset:         0
        .size:           32
        .value_kind:     by_value
    .group_segment_fixed_size: 0
    .kernarg_segment_align: 8
    .kernarg_segment_size: 32
    .language:       OpenCL C
    .language_version:
      - 2
      - 0
    .max_flat_workgroup_size: 256
    .name:           _ZN7rocprim17ROCPRIM_400000_NS6detail17trampoline_kernelINS0_14default_configENS1_20scan_config_selectorI11FixedVectorIiLj1EEEEZZNS1_9scan_implILNS1_25lookback_scan_determinismE0ELb1ELb1ES3_N6thrust23THRUST_200600_302600_NS6detail15normal_iteratorINSB_10device_ptrIS6_EEEESG_S6_NSB_4plusIvEES6_EEDaPvRmT3_T4_T5_mT6_P12ihipStream_tbENKUlT_T0_E_clISt17integral_constantIbLb1EESW_EEDaSR_SS_EUlSR_E0_NS1_11comp_targetILNS1_3genE10ELNS1_11target_archE1201ELNS1_3gpuE5ELNS1_3repE0EEENS1_30default_config_static_selectorELNS0_4arch9wavefront6targetE1EEEvT1_
    .private_segment_fixed_size: 0
    .sgpr_count:     4
    .sgpr_spill_count: 0
    .symbol:         _ZN7rocprim17ROCPRIM_400000_NS6detail17trampoline_kernelINS0_14default_configENS1_20scan_config_selectorI11FixedVectorIiLj1EEEEZZNS1_9scan_implILNS1_25lookback_scan_determinismE0ELb1ELb1ES3_N6thrust23THRUST_200600_302600_NS6detail15normal_iteratorINSB_10device_ptrIS6_EEEESG_S6_NSB_4plusIvEES6_EEDaPvRmT3_T4_T5_mT6_P12ihipStream_tbENKUlT_T0_E_clISt17integral_constantIbLb1EESW_EEDaSR_SS_EUlSR_E0_NS1_11comp_targetILNS1_3genE10ELNS1_11target_archE1201ELNS1_3gpuE5ELNS1_3repE0EEENS1_30default_config_static_selectorELNS0_4arch9wavefront6targetE1EEEvT1_.kd
    .uniform_work_group_size: 1
    .uses_dynamic_stack: false
    .vgpr_count:     0
    .vgpr_spill_count: 0
    .wavefront_size: 64
  - .agpr_count:     0
    .args:
      - .offset:         0
        .size:           32
        .value_kind:     by_value
    .group_segment_fixed_size: 0
    .kernarg_segment_align: 8
    .kernarg_segment_size: 32
    .language:       OpenCL C
    .language_version:
      - 2
      - 0
    .max_flat_workgroup_size: 256
    .name:           _ZN7rocprim17ROCPRIM_400000_NS6detail17trampoline_kernelINS0_14default_configENS1_20scan_config_selectorI11FixedVectorIiLj1EEEEZZNS1_9scan_implILNS1_25lookback_scan_determinismE0ELb1ELb1ES3_N6thrust23THRUST_200600_302600_NS6detail15normal_iteratorINSB_10device_ptrIS6_EEEESG_S6_NSB_4plusIvEES6_EEDaPvRmT3_T4_T5_mT6_P12ihipStream_tbENKUlT_T0_E_clISt17integral_constantIbLb1EESW_EEDaSR_SS_EUlSR_E0_NS1_11comp_targetILNS1_3genE10ELNS1_11target_archE1200ELNS1_3gpuE4ELNS1_3repE0EEENS1_30default_config_static_selectorELNS0_4arch9wavefront6targetE1EEEvT1_
    .private_segment_fixed_size: 0
    .sgpr_count:     4
    .sgpr_spill_count: 0
    .symbol:         _ZN7rocprim17ROCPRIM_400000_NS6detail17trampoline_kernelINS0_14default_configENS1_20scan_config_selectorI11FixedVectorIiLj1EEEEZZNS1_9scan_implILNS1_25lookback_scan_determinismE0ELb1ELb1ES3_N6thrust23THRUST_200600_302600_NS6detail15normal_iteratorINSB_10device_ptrIS6_EEEESG_S6_NSB_4plusIvEES6_EEDaPvRmT3_T4_T5_mT6_P12ihipStream_tbENKUlT_T0_E_clISt17integral_constantIbLb1EESW_EEDaSR_SS_EUlSR_E0_NS1_11comp_targetILNS1_3genE10ELNS1_11target_archE1200ELNS1_3gpuE4ELNS1_3repE0EEENS1_30default_config_static_selectorELNS0_4arch9wavefront6targetE1EEEvT1_.kd
    .uniform_work_group_size: 1
    .uses_dynamic_stack: false
    .vgpr_count:     0
    .vgpr_spill_count: 0
    .wavefront_size: 64
  - .agpr_count:     0
    .args:
      - .offset:         0
        .size:           32
        .value_kind:     by_value
    .group_segment_fixed_size: 0
    .kernarg_segment_align: 8
    .kernarg_segment_size: 32
    .language:       OpenCL C
    .language_version:
      - 2
      - 0
    .max_flat_workgroup_size: 256
    .name:           _ZN7rocprim17ROCPRIM_400000_NS6detail17trampoline_kernelINS0_14default_configENS1_20scan_config_selectorI11FixedVectorIiLj1EEEEZZNS1_9scan_implILNS1_25lookback_scan_determinismE0ELb1ELb1ES3_N6thrust23THRUST_200600_302600_NS6detail15normal_iteratorINSB_10device_ptrIS6_EEEESG_S6_NSB_4plusIvEES6_EEDaPvRmT3_T4_T5_mT6_P12ihipStream_tbENKUlT_T0_E_clISt17integral_constantIbLb1EESW_EEDaSR_SS_EUlSR_E0_NS1_11comp_targetILNS1_3genE9ELNS1_11target_archE1100ELNS1_3gpuE3ELNS1_3repE0EEENS1_30default_config_static_selectorELNS0_4arch9wavefront6targetE1EEEvT1_
    .private_segment_fixed_size: 0
    .sgpr_count:     4
    .sgpr_spill_count: 0
    .symbol:         _ZN7rocprim17ROCPRIM_400000_NS6detail17trampoline_kernelINS0_14default_configENS1_20scan_config_selectorI11FixedVectorIiLj1EEEEZZNS1_9scan_implILNS1_25lookback_scan_determinismE0ELb1ELb1ES3_N6thrust23THRUST_200600_302600_NS6detail15normal_iteratorINSB_10device_ptrIS6_EEEESG_S6_NSB_4plusIvEES6_EEDaPvRmT3_T4_T5_mT6_P12ihipStream_tbENKUlT_T0_E_clISt17integral_constantIbLb1EESW_EEDaSR_SS_EUlSR_E0_NS1_11comp_targetILNS1_3genE9ELNS1_11target_archE1100ELNS1_3gpuE3ELNS1_3repE0EEENS1_30default_config_static_selectorELNS0_4arch9wavefront6targetE1EEEvT1_.kd
    .uniform_work_group_size: 1
    .uses_dynamic_stack: false
    .vgpr_count:     0
    .vgpr_spill_count: 0
    .wavefront_size: 64
  - .agpr_count:     0
    .args:
      - .offset:         0
        .size:           32
        .value_kind:     by_value
    .group_segment_fixed_size: 0
    .kernarg_segment_align: 8
    .kernarg_segment_size: 32
    .language:       OpenCL C
    .language_version:
      - 2
      - 0
    .max_flat_workgroup_size: 64
    .name:           _ZN7rocprim17ROCPRIM_400000_NS6detail17trampoline_kernelINS0_14default_configENS1_20scan_config_selectorI11FixedVectorIiLj1EEEEZZNS1_9scan_implILNS1_25lookback_scan_determinismE0ELb1ELb1ES3_N6thrust23THRUST_200600_302600_NS6detail15normal_iteratorINSB_10device_ptrIS6_EEEESG_S6_NSB_4plusIvEES6_EEDaPvRmT3_T4_T5_mT6_P12ihipStream_tbENKUlT_T0_E_clISt17integral_constantIbLb1EESW_EEDaSR_SS_EUlSR_E0_NS1_11comp_targetILNS1_3genE8ELNS1_11target_archE1030ELNS1_3gpuE2ELNS1_3repE0EEENS1_30default_config_static_selectorELNS0_4arch9wavefront6targetE1EEEvT1_
    .private_segment_fixed_size: 0
    .sgpr_count:     4
    .sgpr_spill_count: 0
    .symbol:         _ZN7rocprim17ROCPRIM_400000_NS6detail17trampoline_kernelINS0_14default_configENS1_20scan_config_selectorI11FixedVectorIiLj1EEEEZZNS1_9scan_implILNS1_25lookback_scan_determinismE0ELb1ELb1ES3_N6thrust23THRUST_200600_302600_NS6detail15normal_iteratorINSB_10device_ptrIS6_EEEESG_S6_NSB_4plusIvEES6_EEDaPvRmT3_T4_T5_mT6_P12ihipStream_tbENKUlT_T0_E_clISt17integral_constantIbLb1EESW_EEDaSR_SS_EUlSR_E0_NS1_11comp_targetILNS1_3genE8ELNS1_11target_archE1030ELNS1_3gpuE2ELNS1_3repE0EEENS1_30default_config_static_selectorELNS0_4arch9wavefront6targetE1EEEvT1_.kd
    .uniform_work_group_size: 1
    .uses_dynamic_stack: false
    .vgpr_count:     0
    .vgpr_spill_count: 0
    .wavefront_size: 64
  - .agpr_count:     0
    .args:
      - .offset:         0
        .size:           96
        .value_kind:     by_value
    .group_segment_fixed_size: 0
    .kernarg_segment_align: 8
    .kernarg_segment_size: 96
    .language:       OpenCL C
    .language_version:
      - 2
      - 0
    .max_flat_workgroup_size: 256
    .name:           _ZN7rocprim17ROCPRIM_400000_NS6detail17trampoline_kernelINS0_14default_configENS1_20scan_config_selectorI11FixedVectorIiLj1EEEEZZNS1_9scan_implILNS1_25lookback_scan_determinismE0ELb1ELb1ES3_N6thrust23THRUST_200600_302600_NS6detail15normal_iteratorINSB_10device_ptrIS6_EEEESG_S6_NSB_4plusIvEES6_EEDaPvRmT3_T4_T5_mT6_P12ihipStream_tbENKUlT_T0_E_clISt17integral_constantIbLb1EESV_IbLb0EEEEDaSR_SS_EUlSR_E_NS1_11comp_targetILNS1_3genE0ELNS1_11target_archE4294967295ELNS1_3gpuE0ELNS1_3repE0EEENS1_30default_config_static_selectorELNS0_4arch9wavefront6targetE1EEEvT1_
    .private_segment_fixed_size: 0
    .sgpr_count:     4
    .sgpr_spill_count: 0
    .symbol:         _ZN7rocprim17ROCPRIM_400000_NS6detail17trampoline_kernelINS0_14default_configENS1_20scan_config_selectorI11FixedVectorIiLj1EEEEZZNS1_9scan_implILNS1_25lookback_scan_determinismE0ELb1ELb1ES3_N6thrust23THRUST_200600_302600_NS6detail15normal_iteratorINSB_10device_ptrIS6_EEEESG_S6_NSB_4plusIvEES6_EEDaPvRmT3_T4_T5_mT6_P12ihipStream_tbENKUlT_T0_E_clISt17integral_constantIbLb1EESV_IbLb0EEEEDaSR_SS_EUlSR_E_NS1_11comp_targetILNS1_3genE0ELNS1_11target_archE4294967295ELNS1_3gpuE0ELNS1_3repE0EEENS1_30default_config_static_selectorELNS0_4arch9wavefront6targetE1EEEvT1_.kd
    .uniform_work_group_size: 1
    .uses_dynamic_stack: false
    .vgpr_count:     0
    .vgpr_spill_count: 0
    .wavefront_size: 64
  - .agpr_count:     0
    .args:
      - .offset:         0
        .size:           96
        .value_kind:     by_value
    .group_segment_fixed_size: 0
    .kernarg_segment_align: 8
    .kernarg_segment_size: 96
    .language:       OpenCL C
    .language_version:
      - 2
      - 0
    .max_flat_workgroup_size: 256
    .name:           _ZN7rocprim17ROCPRIM_400000_NS6detail17trampoline_kernelINS0_14default_configENS1_20scan_config_selectorI11FixedVectorIiLj1EEEEZZNS1_9scan_implILNS1_25lookback_scan_determinismE0ELb1ELb1ES3_N6thrust23THRUST_200600_302600_NS6detail15normal_iteratorINSB_10device_ptrIS6_EEEESG_S6_NSB_4plusIvEES6_EEDaPvRmT3_T4_T5_mT6_P12ihipStream_tbENKUlT_T0_E_clISt17integral_constantIbLb1EESV_IbLb0EEEEDaSR_SS_EUlSR_E_NS1_11comp_targetILNS1_3genE5ELNS1_11target_archE942ELNS1_3gpuE9ELNS1_3repE0EEENS1_30default_config_static_selectorELNS0_4arch9wavefront6targetE1EEEvT1_
    .private_segment_fixed_size: 0
    .sgpr_count:     4
    .sgpr_spill_count: 0
    .symbol:         _ZN7rocprim17ROCPRIM_400000_NS6detail17trampoline_kernelINS0_14default_configENS1_20scan_config_selectorI11FixedVectorIiLj1EEEEZZNS1_9scan_implILNS1_25lookback_scan_determinismE0ELb1ELb1ES3_N6thrust23THRUST_200600_302600_NS6detail15normal_iteratorINSB_10device_ptrIS6_EEEESG_S6_NSB_4plusIvEES6_EEDaPvRmT3_T4_T5_mT6_P12ihipStream_tbENKUlT_T0_E_clISt17integral_constantIbLb1EESV_IbLb0EEEEDaSR_SS_EUlSR_E_NS1_11comp_targetILNS1_3genE5ELNS1_11target_archE942ELNS1_3gpuE9ELNS1_3repE0EEENS1_30default_config_static_selectorELNS0_4arch9wavefront6targetE1EEEvT1_.kd
    .uniform_work_group_size: 1
    .uses_dynamic_stack: false
    .vgpr_count:     0
    .vgpr_spill_count: 0
    .wavefront_size: 64
  - .agpr_count:     0
    .args:
      - .offset:         0
        .size:           96
        .value_kind:     by_value
    .group_segment_fixed_size: 5120
    .kernarg_segment_align: 8
    .kernarg_segment_size: 96
    .language:       OpenCL C
    .language_version:
      - 2
      - 0
    .max_flat_workgroup_size: 128
    .name:           _ZN7rocprim17ROCPRIM_400000_NS6detail17trampoline_kernelINS0_14default_configENS1_20scan_config_selectorI11FixedVectorIiLj1EEEEZZNS1_9scan_implILNS1_25lookback_scan_determinismE0ELb1ELb1ES3_N6thrust23THRUST_200600_302600_NS6detail15normal_iteratorINSB_10device_ptrIS6_EEEESG_S6_NSB_4plusIvEES6_EEDaPvRmT3_T4_T5_mT6_P12ihipStream_tbENKUlT_T0_E_clISt17integral_constantIbLb1EESV_IbLb0EEEEDaSR_SS_EUlSR_E_NS1_11comp_targetILNS1_3genE4ELNS1_11target_archE910ELNS1_3gpuE8ELNS1_3repE0EEENS1_30default_config_static_selectorELNS0_4arch9wavefront6targetE1EEEvT1_
    .private_segment_fixed_size: 0
    .sgpr_count:     36
    .sgpr_spill_count: 0
    .symbol:         _ZN7rocprim17ROCPRIM_400000_NS6detail17trampoline_kernelINS0_14default_configENS1_20scan_config_selectorI11FixedVectorIiLj1EEEEZZNS1_9scan_implILNS1_25lookback_scan_determinismE0ELb1ELb1ES3_N6thrust23THRUST_200600_302600_NS6detail15normal_iteratorINSB_10device_ptrIS6_EEEESG_S6_NSB_4plusIvEES6_EEDaPvRmT3_T4_T5_mT6_P12ihipStream_tbENKUlT_T0_E_clISt17integral_constantIbLb1EESV_IbLb0EEEEDaSR_SS_EUlSR_E_NS1_11comp_targetILNS1_3genE4ELNS1_11target_archE910ELNS1_3gpuE8ELNS1_3repE0EEENS1_30default_config_static_selectorELNS0_4arch9wavefront6targetE1EEEvT1_.kd
    .uniform_work_group_size: 1
    .uses_dynamic_stack: false
    .vgpr_count:     41
    .vgpr_spill_count: 0
    .wavefront_size: 64
  - .agpr_count:     0
    .args:
      - .offset:         0
        .size:           96
        .value_kind:     by_value
    .group_segment_fixed_size: 0
    .kernarg_segment_align: 8
    .kernarg_segment_size: 96
    .language:       OpenCL C
    .language_version:
      - 2
      - 0
    .max_flat_workgroup_size: 256
    .name:           _ZN7rocprim17ROCPRIM_400000_NS6detail17trampoline_kernelINS0_14default_configENS1_20scan_config_selectorI11FixedVectorIiLj1EEEEZZNS1_9scan_implILNS1_25lookback_scan_determinismE0ELb1ELb1ES3_N6thrust23THRUST_200600_302600_NS6detail15normal_iteratorINSB_10device_ptrIS6_EEEESG_S6_NSB_4plusIvEES6_EEDaPvRmT3_T4_T5_mT6_P12ihipStream_tbENKUlT_T0_E_clISt17integral_constantIbLb1EESV_IbLb0EEEEDaSR_SS_EUlSR_E_NS1_11comp_targetILNS1_3genE3ELNS1_11target_archE908ELNS1_3gpuE7ELNS1_3repE0EEENS1_30default_config_static_selectorELNS0_4arch9wavefront6targetE1EEEvT1_
    .private_segment_fixed_size: 0
    .sgpr_count:     4
    .sgpr_spill_count: 0
    .symbol:         _ZN7rocprim17ROCPRIM_400000_NS6detail17trampoline_kernelINS0_14default_configENS1_20scan_config_selectorI11FixedVectorIiLj1EEEEZZNS1_9scan_implILNS1_25lookback_scan_determinismE0ELb1ELb1ES3_N6thrust23THRUST_200600_302600_NS6detail15normal_iteratorINSB_10device_ptrIS6_EEEESG_S6_NSB_4plusIvEES6_EEDaPvRmT3_T4_T5_mT6_P12ihipStream_tbENKUlT_T0_E_clISt17integral_constantIbLb1EESV_IbLb0EEEEDaSR_SS_EUlSR_E_NS1_11comp_targetILNS1_3genE3ELNS1_11target_archE908ELNS1_3gpuE7ELNS1_3repE0EEENS1_30default_config_static_selectorELNS0_4arch9wavefront6targetE1EEEvT1_.kd
    .uniform_work_group_size: 1
    .uses_dynamic_stack: false
    .vgpr_count:     0
    .vgpr_spill_count: 0
    .wavefront_size: 64
  - .agpr_count:     0
    .args:
      - .offset:         0
        .size:           96
        .value_kind:     by_value
    .group_segment_fixed_size: 0
    .kernarg_segment_align: 8
    .kernarg_segment_size: 96
    .language:       OpenCL C
    .language_version:
      - 2
      - 0
    .max_flat_workgroup_size: 256
    .name:           _ZN7rocprim17ROCPRIM_400000_NS6detail17trampoline_kernelINS0_14default_configENS1_20scan_config_selectorI11FixedVectorIiLj1EEEEZZNS1_9scan_implILNS1_25lookback_scan_determinismE0ELb1ELb1ES3_N6thrust23THRUST_200600_302600_NS6detail15normal_iteratorINSB_10device_ptrIS6_EEEESG_S6_NSB_4plusIvEES6_EEDaPvRmT3_T4_T5_mT6_P12ihipStream_tbENKUlT_T0_E_clISt17integral_constantIbLb1EESV_IbLb0EEEEDaSR_SS_EUlSR_E_NS1_11comp_targetILNS1_3genE2ELNS1_11target_archE906ELNS1_3gpuE6ELNS1_3repE0EEENS1_30default_config_static_selectorELNS0_4arch9wavefront6targetE1EEEvT1_
    .private_segment_fixed_size: 0
    .sgpr_count:     4
    .sgpr_spill_count: 0
    .symbol:         _ZN7rocprim17ROCPRIM_400000_NS6detail17trampoline_kernelINS0_14default_configENS1_20scan_config_selectorI11FixedVectorIiLj1EEEEZZNS1_9scan_implILNS1_25lookback_scan_determinismE0ELb1ELb1ES3_N6thrust23THRUST_200600_302600_NS6detail15normal_iteratorINSB_10device_ptrIS6_EEEESG_S6_NSB_4plusIvEES6_EEDaPvRmT3_T4_T5_mT6_P12ihipStream_tbENKUlT_T0_E_clISt17integral_constantIbLb1EESV_IbLb0EEEEDaSR_SS_EUlSR_E_NS1_11comp_targetILNS1_3genE2ELNS1_11target_archE906ELNS1_3gpuE6ELNS1_3repE0EEENS1_30default_config_static_selectorELNS0_4arch9wavefront6targetE1EEEvT1_.kd
    .uniform_work_group_size: 1
    .uses_dynamic_stack: false
    .vgpr_count:     0
    .vgpr_spill_count: 0
    .wavefront_size: 64
  - .agpr_count:     0
    .args:
      - .offset:         0
        .size:           96
        .value_kind:     by_value
    .group_segment_fixed_size: 0
    .kernarg_segment_align: 8
    .kernarg_segment_size: 96
    .language:       OpenCL C
    .language_version:
      - 2
      - 0
    .max_flat_workgroup_size: 256
    .name:           _ZN7rocprim17ROCPRIM_400000_NS6detail17trampoline_kernelINS0_14default_configENS1_20scan_config_selectorI11FixedVectorIiLj1EEEEZZNS1_9scan_implILNS1_25lookback_scan_determinismE0ELb1ELb1ES3_N6thrust23THRUST_200600_302600_NS6detail15normal_iteratorINSB_10device_ptrIS6_EEEESG_S6_NSB_4plusIvEES6_EEDaPvRmT3_T4_T5_mT6_P12ihipStream_tbENKUlT_T0_E_clISt17integral_constantIbLb1EESV_IbLb0EEEEDaSR_SS_EUlSR_E_NS1_11comp_targetILNS1_3genE10ELNS1_11target_archE1201ELNS1_3gpuE5ELNS1_3repE0EEENS1_30default_config_static_selectorELNS0_4arch9wavefront6targetE1EEEvT1_
    .private_segment_fixed_size: 0
    .sgpr_count:     4
    .sgpr_spill_count: 0
    .symbol:         _ZN7rocprim17ROCPRIM_400000_NS6detail17trampoline_kernelINS0_14default_configENS1_20scan_config_selectorI11FixedVectorIiLj1EEEEZZNS1_9scan_implILNS1_25lookback_scan_determinismE0ELb1ELb1ES3_N6thrust23THRUST_200600_302600_NS6detail15normal_iteratorINSB_10device_ptrIS6_EEEESG_S6_NSB_4plusIvEES6_EEDaPvRmT3_T4_T5_mT6_P12ihipStream_tbENKUlT_T0_E_clISt17integral_constantIbLb1EESV_IbLb0EEEEDaSR_SS_EUlSR_E_NS1_11comp_targetILNS1_3genE10ELNS1_11target_archE1201ELNS1_3gpuE5ELNS1_3repE0EEENS1_30default_config_static_selectorELNS0_4arch9wavefront6targetE1EEEvT1_.kd
    .uniform_work_group_size: 1
    .uses_dynamic_stack: false
    .vgpr_count:     0
    .vgpr_spill_count: 0
    .wavefront_size: 64
  - .agpr_count:     0
    .args:
      - .offset:         0
        .size:           96
        .value_kind:     by_value
    .group_segment_fixed_size: 0
    .kernarg_segment_align: 8
    .kernarg_segment_size: 96
    .language:       OpenCL C
    .language_version:
      - 2
      - 0
    .max_flat_workgroup_size: 256
    .name:           _ZN7rocprim17ROCPRIM_400000_NS6detail17trampoline_kernelINS0_14default_configENS1_20scan_config_selectorI11FixedVectorIiLj1EEEEZZNS1_9scan_implILNS1_25lookback_scan_determinismE0ELb1ELb1ES3_N6thrust23THRUST_200600_302600_NS6detail15normal_iteratorINSB_10device_ptrIS6_EEEESG_S6_NSB_4plusIvEES6_EEDaPvRmT3_T4_T5_mT6_P12ihipStream_tbENKUlT_T0_E_clISt17integral_constantIbLb1EESV_IbLb0EEEEDaSR_SS_EUlSR_E_NS1_11comp_targetILNS1_3genE10ELNS1_11target_archE1200ELNS1_3gpuE4ELNS1_3repE0EEENS1_30default_config_static_selectorELNS0_4arch9wavefront6targetE1EEEvT1_
    .private_segment_fixed_size: 0
    .sgpr_count:     4
    .sgpr_spill_count: 0
    .symbol:         _ZN7rocprim17ROCPRIM_400000_NS6detail17trampoline_kernelINS0_14default_configENS1_20scan_config_selectorI11FixedVectorIiLj1EEEEZZNS1_9scan_implILNS1_25lookback_scan_determinismE0ELb1ELb1ES3_N6thrust23THRUST_200600_302600_NS6detail15normal_iteratorINSB_10device_ptrIS6_EEEESG_S6_NSB_4plusIvEES6_EEDaPvRmT3_T4_T5_mT6_P12ihipStream_tbENKUlT_T0_E_clISt17integral_constantIbLb1EESV_IbLb0EEEEDaSR_SS_EUlSR_E_NS1_11comp_targetILNS1_3genE10ELNS1_11target_archE1200ELNS1_3gpuE4ELNS1_3repE0EEENS1_30default_config_static_selectorELNS0_4arch9wavefront6targetE1EEEvT1_.kd
    .uniform_work_group_size: 1
    .uses_dynamic_stack: false
    .vgpr_count:     0
    .vgpr_spill_count: 0
    .wavefront_size: 64
  - .agpr_count:     0
    .args:
      - .offset:         0
        .size:           96
        .value_kind:     by_value
    .group_segment_fixed_size: 0
    .kernarg_segment_align: 8
    .kernarg_segment_size: 96
    .language:       OpenCL C
    .language_version:
      - 2
      - 0
    .max_flat_workgroup_size: 256
    .name:           _ZN7rocprim17ROCPRIM_400000_NS6detail17trampoline_kernelINS0_14default_configENS1_20scan_config_selectorI11FixedVectorIiLj1EEEEZZNS1_9scan_implILNS1_25lookback_scan_determinismE0ELb1ELb1ES3_N6thrust23THRUST_200600_302600_NS6detail15normal_iteratorINSB_10device_ptrIS6_EEEESG_S6_NSB_4plusIvEES6_EEDaPvRmT3_T4_T5_mT6_P12ihipStream_tbENKUlT_T0_E_clISt17integral_constantIbLb1EESV_IbLb0EEEEDaSR_SS_EUlSR_E_NS1_11comp_targetILNS1_3genE9ELNS1_11target_archE1100ELNS1_3gpuE3ELNS1_3repE0EEENS1_30default_config_static_selectorELNS0_4arch9wavefront6targetE1EEEvT1_
    .private_segment_fixed_size: 0
    .sgpr_count:     4
    .sgpr_spill_count: 0
    .symbol:         _ZN7rocprim17ROCPRIM_400000_NS6detail17trampoline_kernelINS0_14default_configENS1_20scan_config_selectorI11FixedVectorIiLj1EEEEZZNS1_9scan_implILNS1_25lookback_scan_determinismE0ELb1ELb1ES3_N6thrust23THRUST_200600_302600_NS6detail15normal_iteratorINSB_10device_ptrIS6_EEEESG_S6_NSB_4plusIvEES6_EEDaPvRmT3_T4_T5_mT6_P12ihipStream_tbENKUlT_T0_E_clISt17integral_constantIbLb1EESV_IbLb0EEEEDaSR_SS_EUlSR_E_NS1_11comp_targetILNS1_3genE9ELNS1_11target_archE1100ELNS1_3gpuE3ELNS1_3repE0EEENS1_30default_config_static_selectorELNS0_4arch9wavefront6targetE1EEEvT1_.kd
    .uniform_work_group_size: 1
    .uses_dynamic_stack: false
    .vgpr_count:     0
    .vgpr_spill_count: 0
    .wavefront_size: 64
  - .agpr_count:     0
    .args:
      - .offset:         0
        .size:           96
        .value_kind:     by_value
    .group_segment_fixed_size: 0
    .kernarg_segment_align: 8
    .kernarg_segment_size: 96
    .language:       OpenCL C
    .language_version:
      - 2
      - 0
    .max_flat_workgroup_size: 64
    .name:           _ZN7rocprim17ROCPRIM_400000_NS6detail17trampoline_kernelINS0_14default_configENS1_20scan_config_selectorI11FixedVectorIiLj1EEEEZZNS1_9scan_implILNS1_25lookback_scan_determinismE0ELb1ELb1ES3_N6thrust23THRUST_200600_302600_NS6detail15normal_iteratorINSB_10device_ptrIS6_EEEESG_S6_NSB_4plusIvEES6_EEDaPvRmT3_T4_T5_mT6_P12ihipStream_tbENKUlT_T0_E_clISt17integral_constantIbLb1EESV_IbLb0EEEEDaSR_SS_EUlSR_E_NS1_11comp_targetILNS1_3genE8ELNS1_11target_archE1030ELNS1_3gpuE2ELNS1_3repE0EEENS1_30default_config_static_selectorELNS0_4arch9wavefront6targetE1EEEvT1_
    .private_segment_fixed_size: 0
    .sgpr_count:     4
    .sgpr_spill_count: 0
    .symbol:         _ZN7rocprim17ROCPRIM_400000_NS6detail17trampoline_kernelINS0_14default_configENS1_20scan_config_selectorI11FixedVectorIiLj1EEEEZZNS1_9scan_implILNS1_25lookback_scan_determinismE0ELb1ELb1ES3_N6thrust23THRUST_200600_302600_NS6detail15normal_iteratorINSB_10device_ptrIS6_EEEESG_S6_NSB_4plusIvEES6_EEDaPvRmT3_T4_T5_mT6_P12ihipStream_tbENKUlT_T0_E_clISt17integral_constantIbLb1EESV_IbLb0EEEEDaSR_SS_EUlSR_E_NS1_11comp_targetILNS1_3genE8ELNS1_11target_archE1030ELNS1_3gpuE2ELNS1_3repE0EEENS1_30default_config_static_selectorELNS0_4arch9wavefront6targetE1EEEvT1_.kd
    .uniform_work_group_size: 1
    .uses_dynamic_stack: false
    .vgpr_count:     0
    .vgpr_spill_count: 0
    .wavefront_size: 64
  - .agpr_count:     0
    .args:
      - .offset:         0
        .size:           32
        .value_kind:     by_value
    .group_segment_fixed_size: 0
    .kernarg_segment_align: 8
    .kernarg_segment_size: 32
    .language:       OpenCL C
    .language_version:
      - 2
      - 0
    .max_flat_workgroup_size: 256
    .name:           _ZN7rocprim17ROCPRIM_400000_NS6detail17trampoline_kernelINS0_14default_configENS1_20scan_config_selectorI11FixedVectorIiLj1EEEEZZNS1_9scan_implILNS1_25lookback_scan_determinismE0ELb1ELb1ES3_N6thrust23THRUST_200600_302600_NS6detail15normal_iteratorINSB_10device_ptrIS6_EEEESG_S6_NSB_4plusIvEES6_EEDaPvRmT3_T4_T5_mT6_P12ihipStream_tbENKUlT_T0_E_clISt17integral_constantIbLb1EESV_IbLb0EEEEDaSR_SS_EUlSR_E0_NS1_11comp_targetILNS1_3genE0ELNS1_11target_archE4294967295ELNS1_3gpuE0ELNS1_3repE0EEENS1_30default_config_static_selectorELNS0_4arch9wavefront6targetE1EEEvT1_
    .private_segment_fixed_size: 0
    .sgpr_count:     4
    .sgpr_spill_count: 0
    .symbol:         _ZN7rocprim17ROCPRIM_400000_NS6detail17trampoline_kernelINS0_14default_configENS1_20scan_config_selectorI11FixedVectorIiLj1EEEEZZNS1_9scan_implILNS1_25lookback_scan_determinismE0ELb1ELb1ES3_N6thrust23THRUST_200600_302600_NS6detail15normal_iteratorINSB_10device_ptrIS6_EEEESG_S6_NSB_4plusIvEES6_EEDaPvRmT3_T4_T5_mT6_P12ihipStream_tbENKUlT_T0_E_clISt17integral_constantIbLb1EESV_IbLb0EEEEDaSR_SS_EUlSR_E0_NS1_11comp_targetILNS1_3genE0ELNS1_11target_archE4294967295ELNS1_3gpuE0ELNS1_3repE0EEENS1_30default_config_static_selectorELNS0_4arch9wavefront6targetE1EEEvT1_.kd
    .uniform_work_group_size: 1
    .uses_dynamic_stack: false
    .vgpr_count:     0
    .vgpr_spill_count: 0
    .wavefront_size: 64
  - .agpr_count:     0
    .args:
      - .offset:         0
        .size:           32
        .value_kind:     by_value
    .group_segment_fixed_size: 0
    .kernarg_segment_align: 8
    .kernarg_segment_size: 32
    .language:       OpenCL C
    .language_version:
      - 2
      - 0
    .max_flat_workgroup_size: 256
    .name:           _ZN7rocprim17ROCPRIM_400000_NS6detail17trampoline_kernelINS0_14default_configENS1_20scan_config_selectorI11FixedVectorIiLj1EEEEZZNS1_9scan_implILNS1_25lookback_scan_determinismE0ELb1ELb1ES3_N6thrust23THRUST_200600_302600_NS6detail15normal_iteratorINSB_10device_ptrIS6_EEEESG_S6_NSB_4plusIvEES6_EEDaPvRmT3_T4_T5_mT6_P12ihipStream_tbENKUlT_T0_E_clISt17integral_constantIbLb1EESV_IbLb0EEEEDaSR_SS_EUlSR_E0_NS1_11comp_targetILNS1_3genE5ELNS1_11target_archE942ELNS1_3gpuE9ELNS1_3repE0EEENS1_30default_config_static_selectorELNS0_4arch9wavefront6targetE1EEEvT1_
    .private_segment_fixed_size: 0
    .sgpr_count:     4
    .sgpr_spill_count: 0
    .symbol:         _ZN7rocprim17ROCPRIM_400000_NS6detail17trampoline_kernelINS0_14default_configENS1_20scan_config_selectorI11FixedVectorIiLj1EEEEZZNS1_9scan_implILNS1_25lookback_scan_determinismE0ELb1ELb1ES3_N6thrust23THRUST_200600_302600_NS6detail15normal_iteratorINSB_10device_ptrIS6_EEEESG_S6_NSB_4plusIvEES6_EEDaPvRmT3_T4_T5_mT6_P12ihipStream_tbENKUlT_T0_E_clISt17integral_constantIbLb1EESV_IbLb0EEEEDaSR_SS_EUlSR_E0_NS1_11comp_targetILNS1_3genE5ELNS1_11target_archE942ELNS1_3gpuE9ELNS1_3repE0EEENS1_30default_config_static_selectorELNS0_4arch9wavefront6targetE1EEEvT1_.kd
    .uniform_work_group_size: 1
    .uses_dynamic_stack: false
    .vgpr_count:     0
    .vgpr_spill_count: 0
    .wavefront_size: 64
  - .agpr_count:     0
    .args:
      - .offset:         0
        .size:           32
        .value_kind:     by_value
    .group_segment_fixed_size: 5120
    .kernarg_segment_align: 8
    .kernarg_segment_size: 32
    .language:       OpenCL C
    .language_version:
      - 2
      - 0
    .max_flat_workgroup_size: 128
    .name:           _ZN7rocprim17ROCPRIM_400000_NS6detail17trampoline_kernelINS0_14default_configENS1_20scan_config_selectorI11FixedVectorIiLj1EEEEZZNS1_9scan_implILNS1_25lookback_scan_determinismE0ELb1ELb1ES3_N6thrust23THRUST_200600_302600_NS6detail15normal_iteratorINSB_10device_ptrIS6_EEEESG_S6_NSB_4plusIvEES6_EEDaPvRmT3_T4_T5_mT6_P12ihipStream_tbENKUlT_T0_E_clISt17integral_constantIbLb1EESV_IbLb0EEEEDaSR_SS_EUlSR_E0_NS1_11comp_targetILNS1_3genE4ELNS1_11target_archE910ELNS1_3gpuE8ELNS1_3repE0EEENS1_30default_config_static_selectorELNS0_4arch9wavefront6targetE1EEEvT1_
    .private_segment_fixed_size: 0
    .sgpr_count:     29
    .sgpr_spill_count: 0
    .symbol:         _ZN7rocprim17ROCPRIM_400000_NS6detail17trampoline_kernelINS0_14default_configENS1_20scan_config_selectorI11FixedVectorIiLj1EEEEZZNS1_9scan_implILNS1_25lookback_scan_determinismE0ELb1ELb1ES3_N6thrust23THRUST_200600_302600_NS6detail15normal_iteratorINSB_10device_ptrIS6_EEEESG_S6_NSB_4plusIvEES6_EEDaPvRmT3_T4_T5_mT6_P12ihipStream_tbENKUlT_T0_E_clISt17integral_constantIbLb1EESV_IbLb0EEEEDaSR_SS_EUlSR_E0_NS1_11comp_targetILNS1_3genE4ELNS1_11target_archE910ELNS1_3gpuE8ELNS1_3repE0EEENS1_30default_config_static_selectorELNS0_4arch9wavefront6targetE1EEEvT1_.kd
    .uniform_work_group_size: 1
    .uses_dynamic_stack: false
    .vgpr_count:     18
    .vgpr_spill_count: 0
    .wavefront_size: 64
  - .agpr_count:     0
    .args:
      - .offset:         0
        .size:           32
        .value_kind:     by_value
    .group_segment_fixed_size: 0
    .kernarg_segment_align: 8
    .kernarg_segment_size: 32
    .language:       OpenCL C
    .language_version:
      - 2
      - 0
    .max_flat_workgroup_size: 256
    .name:           _ZN7rocprim17ROCPRIM_400000_NS6detail17trampoline_kernelINS0_14default_configENS1_20scan_config_selectorI11FixedVectorIiLj1EEEEZZNS1_9scan_implILNS1_25lookback_scan_determinismE0ELb1ELb1ES3_N6thrust23THRUST_200600_302600_NS6detail15normal_iteratorINSB_10device_ptrIS6_EEEESG_S6_NSB_4plusIvEES6_EEDaPvRmT3_T4_T5_mT6_P12ihipStream_tbENKUlT_T0_E_clISt17integral_constantIbLb1EESV_IbLb0EEEEDaSR_SS_EUlSR_E0_NS1_11comp_targetILNS1_3genE3ELNS1_11target_archE908ELNS1_3gpuE7ELNS1_3repE0EEENS1_30default_config_static_selectorELNS0_4arch9wavefront6targetE1EEEvT1_
    .private_segment_fixed_size: 0
    .sgpr_count:     4
    .sgpr_spill_count: 0
    .symbol:         _ZN7rocprim17ROCPRIM_400000_NS6detail17trampoline_kernelINS0_14default_configENS1_20scan_config_selectorI11FixedVectorIiLj1EEEEZZNS1_9scan_implILNS1_25lookback_scan_determinismE0ELb1ELb1ES3_N6thrust23THRUST_200600_302600_NS6detail15normal_iteratorINSB_10device_ptrIS6_EEEESG_S6_NSB_4plusIvEES6_EEDaPvRmT3_T4_T5_mT6_P12ihipStream_tbENKUlT_T0_E_clISt17integral_constantIbLb1EESV_IbLb0EEEEDaSR_SS_EUlSR_E0_NS1_11comp_targetILNS1_3genE3ELNS1_11target_archE908ELNS1_3gpuE7ELNS1_3repE0EEENS1_30default_config_static_selectorELNS0_4arch9wavefront6targetE1EEEvT1_.kd
    .uniform_work_group_size: 1
    .uses_dynamic_stack: false
    .vgpr_count:     0
    .vgpr_spill_count: 0
    .wavefront_size: 64
  - .agpr_count:     0
    .args:
      - .offset:         0
        .size:           32
        .value_kind:     by_value
    .group_segment_fixed_size: 0
    .kernarg_segment_align: 8
    .kernarg_segment_size: 32
    .language:       OpenCL C
    .language_version:
      - 2
      - 0
    .max_flat_workgroup_size: 256
    .name:           _ZN7rocprim17ROCPRIM_400000_NS6detail17trampoline_kernelINS0_14default_configENS1_20scan_config_selectorI11FixedVectorIiLj1EEEEZZNS1_9scan_implILNS1_25lookback_scan_determinismE0ELb1ELb1ES3_N6thrust23THRUST_200600_302600_NS6detail15normal_iteratorINSB_10device_ptrIS6_EEEESG_S6_NSB_4plusIvEES6_EEDaPvRmT3_T4_T5_mT6_P12ihipStream_tbENKUlT_T0_E_clISt17integral_constantIbLb1EESV_IbLb0EEEEDaSR_SS_EUlSR_E0_NS1_11comp_targetILNS1_3genE2ELNS1_11target_archE906ELNS1_3gpuE6ELNS1_3repE0EEENS1_30default_config_static_selectorELNS0_4arch9wavefront6targetE1EEEvT1_
    .private_segment_fixed_size: 0
    .sgpr_count:     4
    .sgpr_spill_count: 0
    .symbol:         _ZN7rocprim17ROCPRIM_400000_NS6detail17trampoline_kernelINS0_14default_configENS1_20scan_config_selectorI11FixedVectorIiLj1EEEEZZNS1_9scan_implILNS1_25lookback_scan_determinismE0ELb1ELb1ES3_N6thrust23THRUST_200600_302600_NS6detail15normal_iteratorINSB_10device_ptrIS6_EEEESG_S6_NSB_4plusIvEES6_EEDaPvRmT3_T4_T5_mT6_P12ihipStream_tbENKUlT_T0_E_clISt17integral_constantIbLb1EESV_IbLb0EEEEDaSR_SS_EUlSR_E0_NS1_11comp_targetILNS1_3genE2ELNS1_11target_archE906ELNS1_3gpuE6ELNS1_3repE0EEENS1_30default_config_static_selectorELNS0_4arch9wavefront6targetE1EEEvT1_.kd
    .uniform_work_group_size: 1
    .uses_dynamic_stack: false
    .vgpr_count:     0
    .vgpr_spill_count: 0
    .wavefront_size: 64
  - .agpr_count:     0
    .args:
      - .offset:         0
        .size:           32
        .value_kind:     by_value
    .group_segment_fixed_size: 0
    .kernarg_segment_align: 8
    .kernarg_segment_size: 32
    .language:       OpenCL C
    .language_version:
      - 2
      - 0
    .max_flat_workgroup_size: 256
    .name:           _ZN7rocprim17ROCPRIM_400000_NS6detail17trampoline_kernelINS0_14default_configENS1_20scan_config_selectorI11FixedVectorIiLj1EEEEZZNS1_9scan_implILNS1_25lookback_scan_determinismE0ELb1ELb1ES3_N6thrust23THRUST_200600_302600_NS6detail15normal_iteratorINSB_10device_ptrIS6_EEEESG_S6_NSB_4plusIvEES6_EEDaPvRmT3_T4_T5_mT6_P12ihipStream_tbENKUlT_T0_E_clISt17integral_constantIbLb1EESV_IbLb0EEEEDaSR_SS_EUlSR_E0_NS1_11comp_targetILNS1_3genE10ELNS1_11target_archE1201ELNS1_3gpuE5ELNS1_3repE0EEENS1_30default_config_static_selectorELNS0_4arch9wavefront6targetE1EEEvT1_
    .private_segment_fixed_size: 0
    .sgpr_count:     4
    .sgpr_spill_count: 0
    .symbol:         _ZN7rocprim17ROCPRIM_400000_NS6detail17trampoline_kernelINS0_14default_configENS1_20scan_config_selectorI11FixedVectorIiLj1EEEEZZNS1_9scan_implILNS1_25lookback_scan_determinismE0ELb1ELb1ES3_N6thrust23THRUST_200600_302600_NS6detail15normal_iteratorINSB_10device_ptrIS6_EEEESG_S6_NSB_4plusIvEES6_EEDaPvRmT3_T4_T5_mT6_P12ihipStream_tbENKUlT_T0_E_clISt17integral_constantIbLb1EESV_IbLb0EEEEDaSR_SS_EUlSR_E0_NS1_11comp_targetILNS1_3genE10ELNS1_11target_archE1201ELNS1_3gpuE5ELNS1_3repE0EEENS1_30default_config_static_selectorELNS0_4arch9wavefront6targetE1EEEvT1_.kd
    .uniform_work_group_size: 1
    .uses_dynamic_stack: false
    .vgpr_count:     0
    .vgpr_spill_count: 0
    .wavefront_size: 64
  - .agpr_count:     0
    .args:
      - .offset:         0
        .size:           32
        .value_kind:     by_value
    .group_segment_fixed_size: 0
    .kernarg_segment_align: 8
    .kernarg_segment_size: 32
    .language:       OpenCL C
    .language_version:
      - 2
      - 0
    .max_flat_workgroup_size: 256
    .name:           _ZN7rocprim17ROCPRIM_400000_NS6detail17trampoline_kernelINS0_14default_configENS1_20scan_config_selectorI11FixedVectorIiLj1EEEEZZNS1_9scan_implILNS1_25lookback_scan_determinismE0ELb1ELb1ES3_N6thrust23THRUST_200600_302600_NS6detail15normal_iteratorINSB_10device_ptrIS6_EEEESG_S6_NSB_4plusIvEES6_EEDaPvRmT3_T4_T5_mT6_P12ihipStream_tbENKUlT_T0_E_clISt17integral_constantIbLb1EESV_IbLb0EEEEDaSR_SS_EUlSR_E0_NS1_11comp_targetILNS1_3genE10ELNS1_11target_archE1200ELNS1_3gpuE4ELNS1_3repE0EEENS1_30default_config_static_selectorELNS0_4arch9wavefront6targetE1EEEvT1_
    .private_segment_fixed_size: 0
    .sgpr_count:     4
    .sgpr_spill_count: 0
    .symbol:         _ZN7rocprim17ROCPRIM_400000_NS6detail17trampoline_kernelINS0_14default_configENS1_20scan_config_selectorI11FixedVectorIiLj1EEEEZZNS1_9scan_implILNS1_25lookback_scan_determinismE0ELb1ELb1ES3_N6thrust23THRUST_200600_302600_NS6detail15normal_iteratorINSB_10device_ptrIS6_EEEESG_S6_NSB_4plusIvEES6_EEDaPvRmT3_T4_T5_mT6_P12ihipStream_tbENKUlT_T0_E_clISt17integral_constantIbLb1EESV_IbLb0EEEEDaSR_SS_EUlSR_E0_NS1_11comp_targetILNS1_3genE10ELNS1_11target_archE1200ELNS1_3gpuE4ELNS1_3repE0EEENS1_30default_config_static_selectorELNS0_4arch9wavefront6targetE1EEEvT1_.kd
    .uniform_work_group_size: 1
    .uses_dynamic_stack: false
    .vgpr_count:     0
    .vgpr_spill_count: 0
    .wavefront_size: 64
  - .agpr_count:     0
    .args:
      - .offset:         0
        .size:           32
        .value_kind:     by_value
    .group_segment_fixed_size: 0
    .kernarg_segment_align: 8
    .kernarg_segment_size: 32
    .language:       OpenCL C
    .language_version:
      - 2
      - 0
    .max_flat_workgroup_size: 256
    .name:           _ZN7rocprim17ROCPRIM_400000_NS6detail17trampoline_kernelINS0_14default_configENS1_20scan_config_selectorI11FixedVectorIiLj1EEEEZZNS1_9scan_implILNS1_25lookback_scan_determinismE0ELb1ELb1ES3_N6thrust23THRUST_200600_302600_NS6detail15normal_iteratorINSB_10device_ptrIS6_EEEESG_S6_NSB_4plusIvEES6_EEDaPvRmT3_T4_T5_mT6_P12ihipStream_tbENKUlT_T0_E_clISt17integral_constantIbLb1EESV_IbLb0EEEEDaSR_SS_EUlSR_E0_NS1_11comp_targetILNS1_3genE9ELNS1_11target_archE1100ELNS1_3gpuE3ELNS1_3repE0EEENS1_30default_config_static_selectorELNS0_4arch9wavefront6targetE1EEEvT1_
    .private_segment_fixed_size: 0
    .sgpr_count:     4
    .sgpr_spill_count: 0
    .symbol:         _ZN7rocprim17ROCPRIM_400000_NS6detail17trampoline_kernelINS0_14default_configENS1_20scan_config_selectorI11FixedVectorIiLj1EEEEZZNS1_9scan_implILNS1_25lookback_scan_determinismE0ELb1ELb1ES3_N6thrust23THRUST_200600_302600_NS6detail15normal_iteratorINSB_10device_ptrIS6_EEEESG_S6_NSB_4plusIvEES6_EEDaPvRmT3_T4_T5_mT6_P12ihipStream_tbENKUlT_T0_E_clISt17integral_constantIbLb1EESV_IbLb0EEEEDaSR_SS_EUlSR_E0_NS1_11comp_targetILNS1_3genE9ELNS1_11target_archE1100ELNS1_3gpuE3ELNS1_3repE0EEENS1_30default_config_static_selectorELNS0_4arch9wavefront6targetE1EEEvT1_.kd
    .uniform_work_group_size: 1
    .uses_dynamic_stack: false
    .vgpr_count:     0
    .vgpr_spill_count: 0
    .wavefront_size: 64
  - .agpr_count:     0
    .args:
      - .offset:         0
        .size:           32
        .value_kind:     by_value
    .group_segment_fixed_size: 0
    .kernarg_segment_align: 8
    .kernarg_segment_size: 32
    .language:       OpenCL C
    .language_version:
      - 2
      - 0
    .max_flat_workgroup_size: 64
    .name:           _ZN7rocprim17ROCPRIM_400000_NS6detail17trampoline_kernelINS0_14default_configENS1_20scan_config_selectorI11FixedVectorIiLj1EEEEZZNS1_9scan_implILNS1_25lookback_scan_determinismE0ELb1ELb1ES3_N6thrust23THRUST_200600_302600_NS6detail15normal_iteratorINSB_10device_ptrIS6_EEEESG_S6_NSB_4plusIvEES6_EEDaPvRmT3_T4_T5_mT6_P12ihipStream_tbENKUlT_T0_E_clISt17integral_constantIbLb1EESV_IbLb0EEEEDaSR_SS_EUlSR_E0_NS1_11comp_targetILNS1_3genE8ELNS1_11target_archE1030ELNS1_3gpuE2ELNS1_3repE0EEENS1_30default_config_static_selectorELNS0_4arch9wavefront6targetE1EEEvT1_
    .private_segment_fixed_size: 0
    .sgpr_count:     4
    .sgpr_spill_count: 0
    .symbol:         _ZN7rocprim17ROCPRIM_400000_NS6detail17trampoline_kernelINS0_14default_configENS1_20scan_config_selectorI11FixedVectorIiLj1EEEEZZNS1_9scan_implILNS1_25lookback_scan_determinismE0ELb1ELb1ES3_N6thrust23THRUST_200600_302600_NS6detail15normal_iteratorINSB_10device_ptrIS6_EEEESG_S6_NSB_4plusIvEES6_EEDaPvRmT3_T4_T5_mT6_P12ihipStream_tbENKUlT_T0_E_clISt17integral_constantIbLb1EESV_IbLb0EEEEDaSR_SS_EUlSR_E0_NS1_11comp_targetILNS1_3genE8ELNS1_11target_archE1030ELNS1_3gpuE2ELNS1_3repE0EEENS1_30default_config_static_selectorELNS0_4arch9wavefront6targetE1EEEvT1_.kd
    .uniform_work_group_size: 1
    .uses_dynamic_stack: false
    .vgpr_count:     0
    .vgpr_spill_count: 0
    .wavefront_size: 64
  - .agpr_count:     0
    .args:
      - .offset:         0
        .size:           96
        .value_kind:     by_value
    .group_segment_fixed_size: 0
    .kernarg_segment_align: 8
    .kernarg_segment_size: 96
    .language:       OpenCL C
    .language_version:
      - 2
      - 0
    .max_flat_workgroup_size: 256
    .name:           _ZN7rocprim17ROCPRIM_400000_NS6detail17trampoline_kernelINS0_14default_configENS1_20scan_config_selectorI11FixedVectorIiLj1EEEEZZNS1_9scan_implILNS1_25lookback_scan_determinismE0ELb1ELb1ES3_N6thrust23THRUST_200600_302600_NS6detail15normal_iteratorINSB_10device_ptrIS6_EEEESG_S6_NSB_4plusIvEES6_EEDaPvRmT3_T4_T5_mT6_P12ihipStream_tbENKUlT_T0_E_clISt17integral_constantIbLb0EESV_IbLb1EEEEDaSR_SS_EUlSR_E_NS1_11comp_targetILNS1_3genE0ELNS1_11target_archE4294967295ELNS1_3gpuE0ELNS1_3repE0EEENS1_30default_config_static_selectorELNS0_4arch9wavefront6targetE1EEEvT1_
    .private_segment_fixed_size: 0
    .sgpr_count:     4
    .sgpr_spill_count: 0
    .symbol:         _ZN7rocprim17ROCPRIM_400000_NS6detail17trampoline_kernelINS0_14default_configENS1_20scan_config_selectorI11FixedVectorIiLj1EEEEZZNS1_9scan_implILNS1_25lookback_scan_determinismE0ELb1ELb1ES3_N6thrust23THRUST_200600_302600_NS6detail15normal_iteratorINSB_10device_ptrIS6_EEEESG_S6_NSB_4plusIvEES6_EEDaPvRmT3_T4_T5_mT6_P12ihipStream_tbENKUlT_T0_E_clISt17integral_constantIbLb0EESV_IbLb1EEEEDaSR_SS_EUlSR_E_NS1_11comp_targetILNS1_3genE0ELNS1_11target_archE4294967295ELNS1_3gpuE0ELNS1_3repE0EEENS1_30default_config_static_selectorELNS0_4arch9wavefront6targetE1EEEvT1_.kd
    .uniform_work_group_size: 1
    .uses_dynamic_stack: false
    .vgpr_count:     0
    .vgpr_spill_count: 0
    .wavefront_size: 64
  - .agpr_count:     0
    .args:
      - .offset:         0
        .size:           96
        .value_kind:     by_value
    .group_segment_fixed_size: 0
    .kernarg_segment_align: 8
    .kernarg_segment_size: 96
    .language:       OpenCL C
    .language_version:
      - 2
      - 0
    .max_flat_workgroup_size: 256
    .name:           _ZN7rocprim17ROCPRIM_400000_NS6detail17trampoline_kernelINS0_14default_configENS1_20scan_config_selectorI11FixedVectorIiLj1EEEEZZNS1_9scan_implILNS1_25lookback_scan_determinismE0ELb1ELb1ES3_N6thrust23THRUST_200600_302600_NS6detail15normal_iteratorINSB_10device_ptrIS6_EEEESG_S6_NSB_4plusIvEES6_EEDaPvRmT3_T4_T5_mT6_P12ihipStream_tbENKUlT_T0_E_clISt17integral_constantIbLb0EESV_IbLb1EEEEDaSR_SS_EUlSR_E_NS1_11comp_targetILNS1_3genE5ELNS1_11target_archE942ELNS1_3gpuE9ELNS1_3repE0EEENS1_30default_config_static_selectorELNS0_4arch9wavefront6targetE1EEEvT1_
    .private_segment_fixed_size: 0
    .sgpr_count:     4
    .sgpr_spill_count: 0
    .symbol:         _ZN7rocprim17ROCPRIM_400000_NS6detail17trampoline_kernelINS0_14default_configENS1_20scan_config_selectorI11FixedVectorIiLj1EEEEZZNS1_9scan_implILNS1_25lookback_scan_determinismE0ELb1ELb1ES3_N6thrust23THRUST_200600_302600_NS6detail15normal_iteratorINSB_10device_ptrIS6_EEEESG_S6_NSB_4plusIvEES6_EEDaPvRmT3_T4_T5_mT6_P12ihipStream_tbENKUlT_T0_E_clISt17integral_constantIbLb0EESV_IbLb1EEEEDaSR_SS_EUlSR_E_NS1_11comp_targetILNS1_3genE5ELNS1_11target_archE942ELNS1_3gpuE9ELNS1_3repE0EEENS1_30default_config_static_selectorELNS0_4arch9wavefront6targetE1EEEvT1_.kd
    .uniform_work_group_size: 1
    .uses_dynamic_stack: false
    .vgpr_count:     0
    .vgpr_spill_count: 0
    .wavefront_size: 64
  - .agpr_count:     0
    .args:
      - .offset:         0
        .size:           96
        .value_kind:     by_value
    .group_segment_fixed_size: 5120
    .kernarg_segment_align: 8
    .kernarg_segment_size: 96
    .language:       OpenCL C
    .language_version:
      - 2
      - 0
    .max_flat_workgroup_size: 128
    .name:           _ZN7rocprim17ROCPRIM_400000_NS6detail17trampoline_kernelINS0_14default_configENS1_20scan_config_selectorI11FixedVectorIiLj1EEEEZZNS1_9scan_implILNS1_25lookback_scan_determinismE0ELb1ELb1ES3_N6thrust23THRUST_200600_302600_NS6detail15normal_iteratorINSB_10device_ptrIS6_EEEESG_S6_NSB_4plusIvEES6_EEDaPvRmT3_T4_T5_mT6_P12ihipStream_tbENKUlT_T0_E_clISt17integral_constantIbLb0EESV_IbLb1EEEEDaSR_SS_EUlSR_E_NS1_11comp_targetILNS1_3genE4ELNS1_11target_archE910ELNS1_3gpuE8ELNS1_3repE0EEENS1_30default_config_static_selectorELNS0_4arch9wavefront6targetE1EEEvT1_
    .private_segment_fixed_size: 0
    .sgpr_count:     44
    .sgpr_spill_count: 0
    .symbol:         _ZN7rocprim17ROCPRIM_400000_NS6detail17trampoline_kernelINS0_14default_configENS1_20scan_config_selectorI11FixedVectorIiLj1EEEEZZNS1_9scan_implILNS1_25lookback_scan_determinismE0ELb1ELb1ES3_N6thrust23THRUST_200600_302600_NS6detail15normal_iteratorINSB_10device_ptrIS6_EEEESG_S6_NSB_4plusIvEES6_EEDaPvRmT3_T4_T5_mT6_P12ihipStream_tbENKUlT_T0_E_clISt17integral_constantIbLb0EESV_IbLb1EEEEDaSR_SS_EUlSR_E_NS1_11comp_targetILNS1_3genE4ELNS1_11target_archE910ELNS1_3gpuE8ELNS1_3repE0EEENS1_30default_config_static_selectorELNS0_4arch9wavefront6targetE1EEEvT1_.kd
    .uniform_work_group_size: 1
    .uses_dynamic_stack: false
    .vgpr_count:     41
    .vgpr_spill_count: 0
    .wavefront_size: 64
  - .agpr_count:     0
    .args:
      - .offset:         0
        .size:           96
        .value_kind:     by_value
    .group_segment_fixed_size: 0
    .kernarg_segment_align: 8
    .kernarg_segment_size: 96
    .language:       OpenCL C
    .language_version:
      - 2
      - 0
    .max_flat_workgroup_size: 256
    .name:           _ZN7rocprim17ROCPRIM_400000_NS6detail17trampoline_kernelINS0_14default_configENS1_20scan_config_selectorI11FixedVectorIiLj1EEEEZZNS1_9scan_implILNS1_25lookback_scan_determinismE0ELb1ELb1ES3_N6thrust23THRUST_200600_302600_NS6detail15normal_iteratorINSB_10device_ptrIS6_EEEESG_S6_NSB_4plusIvEES6_EEDaPvRmT3_T4_T5_mT6_P12ihipStream_tbENKUlT_T0_E_clISt17integral_constantIbLb0EESV_IbLb1EEEEDaSR_SS_EUlSR_E_NS1_11comp_targetILNS1_3genE3ELNS1_11target_archE908ELNS1_3gpuE7ELNS1_3repE0EEENS1_30default_config_static_selectorELNS0_4arch9wavefront6targetE1EEEvT1_
    .private_segment_fixed_size: 0
    .sgpr_count:     4
    .sgpr_spill_count: 0
    .symbol:         _ZN7rocprim17ROCPRIM_400000_NS6detail17trampoline_kernelINS0_14default_configENS1_20scan_config_selectorI11FixedVectorIiLj1EEEEZZNS1_9scan_implILNS1_25lookback_scan_determinismE0ELb1ELb1ES3_N6thrust23THRUST_200600_302600_NS6detail15normal_iteratorINSB_10device_ptrIS6_EEEESG_S6_NSB_4plusIvEES6_EEDaPvRmT3_T4_T5_mT6_P12ihipStream_tbENKUlT_T0_E_clISt17integral_constantIbLb0EESV_IbLb1EEEEDaSR_SS_EUlSR_E_NS1_11comp_targetILNS1_3genE3ELNS1_11target_archE908ELNS1_3gpuE7ELNS1_3repE0EEENS1_30default_config_static_selectorELNS0_4arch9wavefront6targetE1EEEvT1_.kd
    .uniform_work_group_size: 1
    .uses_dynamic_stack: false
    .vgpr_count:     0
    .vgpr_spill_count: 0
    .wavefront_size: 64
  - .agpr_count:     0
    .args:
      - .offset:         0
        .size:           96
        .value_kind:     by_value
    .group_segment_fixed_size: 0
    .kernarg_segment_align: 8
    .kernarg_segment_size: 96
    .language:       OpenCL C
    .language_version:
      - 2
      - 0
    .max_flat_workgroup_size: 256
    .name:           _ZN7rocprim17ROCPRIM_400000_NS6detail17trampoline_kernelINS0_14default_configENS1_20scan_config_selectorI11FixedVectorIiLj1EEEEZZNS1_9scan_implILNS1_25lookback_scan_determinismE0ELb1ELb1ES3_N6thrust23THRUST_200600_302600_NS6detail15normal_iteratorINSB_10device_ptrIS6_EEEESG_S6_NSB_4plusIvEES6_EEDaPvRmT3_T4_T5_mT6_P12ihipStream_tbENKUlT_T0_E_clISt17integral_constantIbLb0EESV_IbLb1EEEEDaSR_SS_EUlSR_E_NS1_11comp_targetILNS1_3genE2ELNS1_11target_archE906ELNS1_3gpuE6ELNS1_3repE0EEENS1_30default_config_static_selectorELNS0_4arch9wavefront6targetE1EEEvT1_
    .private_segment_fixed_size: 0
    .sgpr_count:     4
    .sgpr_spill_count: 0
    .symbol:         _ZN7rocprim17ROCPRIM_400000_NS6detail17trampoline_kernelINS0_14default_configENS1_20scan_config_selectorI11FixedVectorIiLj1EEEEZZNS1_9scan_implILNS1_25lookback_scan_determinismE0ELb1ELb1ES3_N6thrust23THRUST_200600_302600_NS6detail15normal_iteratorINSB_10device_ptrIS6_EEEESG_S6_NSB_4plusIvEES6_EEDaPvRmT3_T4_T5_mT6_P12ihipStream_tbENKUlT_T0_E_clISt17integral_constantIbLb0EESV_IbLb1EEEEDaSR_SS_EUlSR_E_NS1_11comp_targetILNS1_3genE2ELNS1_11target_archE906ELNS1_3gpuE6ELNS1_3repE0EEENS1_30default_config_static_selectorELNS0_4arch9wavefront6targetE1EEEvT1_.kd
    .uniform_work_group_size: 1
    .uses_dynamic_stack: false
    .vgpr_count:     0
    .vgpr_spill_count: 0
    .wavefront_size: 64
  - .agpr_count:     0
    .args:
      - .offset:         0
        .size:           96
        .value_kind:     by_value
    .group_segment_fixed_size: 0
    .kernarg_segment_align: 8
    .kernarg_segment_size: 96
    .language:       OpenCL C
    .language_version:
      - 2
      - 0
    .max_flat_workgroup_size: 256
    .name:           _ZN7rocprim17ROCPRIM_400000_NS6detail17trampoline_kernelINS0_14default_configENS1_20scan_config_selectorI11FixedVectorIiLj1EEEEZZNS1_9scan_implILNS1_25lookback_scan_determinismE0ELb1ELb1ES3_N6thrust23THRUST_200600_302600_NS6detail15normal_iteratorINSB_10device_ptrIS6_EEEESG_S6_NSB_4plusIvEES6_EEDaPvRmT3_T4_T5_mT6_P12ihipStream_tbENKUlT_T0_E_clISt17integral_constantIbLb0EESV_IbLb1EEEEDaSR_SS_EUlSR_E_NS1_11comp_targetILNS1_3genE10ELNS1_11target_archE1201ELNS1_3gpuE5ELNS1_3repE0EEENS1_30default_config_static_selectorELNS0_4arch9wavefront6targetE1EEEvT1_
    .private_segment_fixed_size: 0
    .sgpr_count:     4
    .sgpr_spill_count: 0
    .symbol:         _ZN7rocprim17ROCPRIM_400000_NS6detail17trampoline_kernelINS0_14default_configENS1_20scan_config_selectorI11FixedVectorIiLj1EEEEZZNS1_9scan_implILNS1_25lookback_scan_determinismE0ELb1ELb1ES3_N6thrust23THRUST_200600_302600_NS6detail15normal_iteratorINSB_10device_ptrIS6_EEEESG_S6_NSB_4plusIvEES6_EEDaPvRmT3_T4_T5_mT6_P12ihipStream_tbENKUlT_T0_E_clISt17integral_constantIbLb0EESV_IbLb1EEEEDaSR_SS_EUlSR_E_NS1_11comp_targetILNS1_3genE10ELNS1_11target_archE1201ELNS1_3gpuE5ELNS1_3repE0EEENS1_30default_config_static_selectorELNS0_4arch9wavefront6targetE1EEEvT1_.kd
    .uniform_work_group_size: 1
    .uses_dynamic_stack: false
    .vgpr_count:     0
    .vgpr_spill_count: 0
    .wavefront_size: 64
  - .agpr_count:     0
    .args:
      - .offset:         0
        .size:           96
        .value_kind:     by_value
    .group_segment_fixed_size: 0
    .kernarg_segment_align: 8
    .kernarg_segment_size: 96
    .language:       OpenCL C
    .language_version:
      - 2
      - 0
    .max_flat_workgroup_size: 256
    .name:           _ZN7rocprim17ROCPRIM_400000_NS6detail17trampoline_kernelINS0_14default_configENS1_20scan_config_selectorI11FixedVectorIiLj1EEEEZZNS1_9scan_implILNS1_25lookback_scan_determinismE0ELb1ELb1ES3_N6thrust23THRUST_200600_302600_NS6detail15normal_iteratorINSB_10device_ptrIS6_EEEESG_S6_NSB_4plusIvEES6_EEDaPvRmT3_T4_T5_mT6_P12ihipStream_tbENKUlT_T0_E_clISt17integral_constantIbLb0EESV_IbLb1EEEEDaSR_SS_EUlSR_E_NS1_11comp_targetILNS1_3genE10ELNS1_11target_archE1200ELNS1_3gpuE4ELNS1_3repE0EEENS1_30default_config_static_selectorELNS0_4arch9wavefront6targetE1EEEvT1_
    .private_segment_fixed_size: 0
    .sgpr_count:     4
    .sgpr_spill_count: 0
    .symbol:         _ZN7rocprim17ROCPRIM_400000_NS6detail17trampoline_kernelINS0_14default_configENS1_20scan_config_selectorI11FixedVectorIiLj1EEEEZZNS1_9scan_implILNS1_25lookback_scan_determinismE0ELb1ELb1ES3_N6thrust23THRUST_200600_302600_NS6detail15normal_iteratorINSB_10device_ptrIS6_EEEESG_S6_NSB_4plusIvEES6_EEDaPvRmT3_T4_T5_mT6_P12ihipStream_tbENKUlT_T0_E_clISt17integral_constantIbLb0EESV_IbLb1EEEEDaSR_SS_EUlSR_E_NS1_11comp_targetILNS1_3genE10ELNS1_11target_archE1200ELNS1_3gpuE4ELNS1_3repE0EEENS1_30default_config_static_selectorELNS0_4arch9wavefront6targetE1EEEvT1_.kd
    .uniform_work_group_size: 1
    .uses_dynamic_stack: false
    .vgpr_count:     0
    .vgpr_spill_count: 0
    .wavefront_size: 64
  - .agpr_count:     0
    .args:
      - .offset:         0
        .size:           96
        .value_kind:     by_value
    .group_segment_fixed_size: 0
    .kernarg_segment_align: 8
    .kernarg_segment_size: 96
    .language:       OpenCL C
    .language_version:
      - 2
      - 0
    .max_flat_workgroup_size: 256
    .name:           _ZN7rocprim17ROCPRIM_400000_NS6detail17trampoline_kernelINS0_14default_configENS1_20scan_config_selectorI11FixedVectorIiLj1EEEEZZNS1_9scan_implILNS1_25lookback_scan_determinismE0ELb1ELb1ES3_N6thrust23THRUST_200600_302600_NS6detail15normal_iteratorINSB_10device_ptrIS6_EEEESG_S6_NSB_4plusIvEES6_EEDaPvRmT3_T4_T5_mT6_P12ihipStream_tbENKUlT_T0_E_clISt17integral_constantIbLb0EESV_IbLb1EEEEDaSR_SS_EUlSR_E_NS1_11comp_targetILNS1_3genE9ELNS1_11target_archE1100ELNS1_3gpuE3ELNS1_3repE0EEENS1_30default_config_static_selectorELNS0_4arch9wavefront6targetE1EEEvT1_
    .private_segment_fixed_size: 0
    .sgpr_count:     4
    .sgpr_spill_count: 0
    .symbol:         _ZN7rocprim17ROCPRIM_400000_NS6detail17trampoline_kernelINS0_14default_configENS1_20scan_config_selectorI11FixedVectorIiLj1EEEEZZNS1_9scan_implILNS1_25lookback_scan_determinismE0ELb1ELb1ES3_N6thrust23THRUST_200600_302600_NS6detail15normal_iteratorINSB_10device_ptrIS6_EEEESG_S6_NSB_4plusIvEES6_EEDaPvRmT3_T4_T5_mT6_P12ihipStream_tbENKUlT_T0_E_clISt17integral_constantIbLb0EESV_IbLb1EEEEDaSR_SS_EUlSR_E_NS1_11comp_targetILNS1_3genE9ELNS1_11target_archE1100ELNS1_3gpuE3ELNS1_3repE0EEENS1_30default_config_static_selectorELNS0_4arch9wavefront6targetE1EEEvT1_.kd
    .uniform_work_group_size: 1
    .uses_dynamic_stack: false
    .vgpr_count:     0
    .vgpr_spill_count: 0
    .wavefront_size: 64
  - .agpr_count:     0
    .args:
      - .offset:         0
        .size:           96
        .value_kind:     by_value
    .group_segment_fixed_size: 0
    .kernarg_segment_align: 8
    .kernarg_segment_size: 96
    .language:       OpenCL C
    .language_version:
      - 2
      - 0
    .max_flat_workgroup_size: 64
    .name:           _ZN7rocprim17ROCPRIM_400000_NS6detail17trampoline_kernelINS0_14default_configENS1_20scan_config_selectorI11FixedVectorIiLj1EEEEZZNS1_9scan_implILNS1_25lookback_scan_determinismE0ELb1ELb1ES3_N6thrust23THRUST_200600_302600_NS6detail15normal_iteratorINSB_10device_ptrIS6_EEEESG_S6_NSB_4plusIvEES6_EEDaPvRmT3_T4_T5_mT6_P12ihipStream_tbENKUlT_T0_E_clISt17integral_constantIbLb0EESV_IbLb1EEEEDaSR_SS_EUlSR_E_NS1_11comp_targetILNS1_3genE8ELNS1_11target_archE1030ELNS1_3gpuE2ELNS1_3repE0EEENS1_30default_config_static_selectorELNS0_4arch9wavefront6targetE1EEEvT1_
    .private_segment_fixed_size: 0
    .sgpr_count:     4
    .sgpr_spill_count: 0
    .symbol:         _ZN7rocprim17ROCPRIM_400000_NS6detail17trampoline_kernelINS0_14default_configENS1_20scan_config_selectorI11FixedVectorIiLj1EEEEZZNS1_9scan_implILNS1_25lookback_scan_determinismE0ELb1ELb1ES3_N6thrust23THRUST_200600_302600_NS6detail15normal_iteratorINSB_10device_ptrIS6_EEEESG_S6_NSB_4plusIvEES6_EEDaPvRmT3_T4_T5_mT6_P12ihipStream_tbENKUlT_T0_E_clISt17integral_constantIbLb0EESV_IbLb1EEEEDaSR_SS_EUlSR_E_NS1_11comp_targetILNS1_3genE8ELNS1_11target_archE1030ELNS1_3gpuE2ELNS1_3repE0EEENS1_30default_config_static_selectorELNS0_4arch9wavefront6targetE1EEEvT1_.kd
    .uniform_work_group_size: 1
    .uses_dynamic_stack: false
    .vgpr_count:     0
    .vgpr_spill_count: 0
    .wavefront_size: 64
  - .agpr_count:     0
    .args:
      - .offset:         0
        .size:           32
        .value_kind:     by_value
    .group_segment_fixed_size: 0
    .kernarg_segment_align: 8
    .kernarg_segment_size: 32
    .language:       OpenCL C
    .language_version:
      - 2
      - 0
    .max_flat_workgroup_size: 256
    .name:           _ZN7rocprim17ROCPRIM_400000_NS6detail17trampoline_kernelINS0_14default_configENS1_20scan_config_selectorI11FixedVectorIiLj1EEEEZZNS1_9scan_implILNS1_25lookback_scan_determinismE0ELb1ELb1ES3_N6thrust23THRUST_200600_302600_NS6detail15normal_iteratorINSB_10device_ptrIS6_EEEESG_S6_NSB_4plusIvEES6_EEDaPvRmT3_T4_T5_mT6_P12ihipStream_tbENKUlT_T0_E_clISt17integral_constantIbLb0EESV_IbLb1EEEEDaSR_SS_EUlSR_E0_NS1_11comp_targetILNS1_3genE0ELNS1_11target_archE4294967295ELNS1_3gpuE0ELNS1_3repE0EEENS1_30default_config_static_selectorELNS0_4arch9wavefront6targetE1EEEvT1_
    .private_segment_fixed_size: 0
    .sgpr_count:     4
    .sgpr_spill_count: 0
    .symbol:         _ZN7rocprim17ROCPRIM_400000_NS6detail17trampoline_kernelINS0_14default_configENS1_20scan_config_selectorI11FixedVectorIiLj1EEEEZZNS1_9scan_implILNS1_25lookback_scan_determinismE0ELb1ELb1ES3_N6thrust23THRUST_200600_302600_NS6detail15normal_iteratorINSB_10device_ptrIS6_EEEESG_S6_NSB_4plusIvEES6_EEDaPvRmT3_T4_T5_mT6_P12ihipStream_tbENKUlT_T0_E_clISt17integral_constantIbLb0EESV_IbLb1EEEEDaSR_SS_EUlSR_E0_NS1_11comp_targetILNS1_3genE0ELNS1_11target_archE4294967295ELNS1_3gpuE0ELNS1_3repE0EEENS1_30default_config_static_selectorELNS0_4arch9wavefront6targetE1EEEvT1_.kd
    .uniform_work_group_size: 1
    .uses_dynamic_stack: false
    .vgpr_count:     0
    .vgpr_spill_count: 0
    .wavefront_size: 64
  - .agpr_count:     0
    .args:
      - .offset:         0
        .size:           32
        .value_kind:     by_value
    .group_segment_fixed_size: 0
    .kernarg_segment_align: 8
    .kernarg_segment_size: 32
    .language:       OpenCL C
    .language_version:
      - 2
      - 0
    .max_flat_workgroup_size: 256
    .name:           _ZN7rocprim17ROCPRIM_400000_NS6detail17trampoline_kernelINS0_14default_configENS1_20scan_config_selectorI11FixedVectorIiLj1EEEEZZNS1_9scan_implILNS1_25lookback_scan_determinismE0ELb1ELb1ES3_N6thrust23THRUST_200600_302600_NS6detail15normal_iteratorINSB_10device_ptrIS6_EEEESG_S6_NSB_4plusIvEES6_EEDaPvRmT3_T4_T5_mT6_P12ihipStream_tbENKUlT_T0_E_clISt17integral_constantIbLb0EESV_IbLb1EEEEDaSR_SS_EUlSR_E0_NS1_11comp_targetILNS1_3genE5ELNS1_11target_archE942ELNS1_3gpuE9ELNS1_3repE0EEENS1_30default_config_static_selectorELNS0_4arch9wavefront6targetE1EEEvT1_
    .private_segment_fixed_size: 0
    .sgpr_count:     4
    .sgpr_spill_count: 0
    .symbol:         _ZN7rocprim17ROCPRIM_400000_NS6detail17trampoline_kernelINS0_14default_configENS1_20scan_config_selectorI11FixedVectorIiLj1EEEEZZNS1_9scan_implILNS1_25lookback_scan_determinismE0ELb1ELb1ES3_N6thrust23THRUST_200600_302600_NS6detail15normal_iteratorINSB_10device_ptrIS6_EEEESG_S6_NSB_4plusIvEES6_EEDaPvRmT3_T4_T5_mT6_P12ihipStream_tbENKUlT_T0_E_clISt17integral_constantIbLb0EESV_IbLb1EEEEDaSR_SS_EUlSR_E0_NS1_11comp_targetILNS1_3genE5ELNS1_11target_archE942ELNS1_3gpuE9ELNS1_3repE0EEENS1_30default_config_static_selectorELNS0_4arch9wavefront6targetE1EEEvT1_.kd
    .uniform_work_group_size: 1
    .uses_dynamic_stack: false
    .vgpr_count:     0
    .vgpr_spill_count: 0
    .wavefront_size: 64
  - .agpr_count:     0
    .args:
      - .offset:         0
        .size:           32
        .value_kind:     by_value
    .group_segment_fixed_size: 5120
    .kernarg_segment_align: 8
    .kernarg_segment_size: 32
    .language:       OpenCL C
    .language_version:
      - 2
      - 0
    .max_flat_workgroup_size: 128
    .name:           _ZN7rocprim17ROCPRIM_400000_NS6detail17trampoline_kernelINS0_14default_configENS1_20scan_config_selectorI11FixedVectorIiLj1EEEEZZNS1_9scan_implILNS1_25lookback_scan_determinismE0ELb1ELb1ES3_N6thrust23THRUST_200600_302600_NS6detail15normal_iteratorINSB_10device_ptrIS6_EEEESG_S6_NSB_4plusIvEES6_EEDaPvRmT3_T4_T5_mT6_P12ihipStream_tbENKUlT_T0_E_clISt17integral_constantIbLb0EESV_IbLb1EEEEDaSR_SS_EUlSR_E0_NS1_11comp_targetILNS1_3genE4ELNS1_11target_archE910ELNS1_3gpuE8ELNS1_3repE0EEENS1_30default_config_static_selectorELNS0_4arch9wavefront6targetE1EEEvT1_
    .private_segment_fixed_size: 0
    .sgpr_count:     29
    .sgpr_spill_count: 0
    .symbol:         _ZN7rocprim17ROCPRIM_400000_NS6detail17trampoline_kernelINS0_14default_configENS1_20scan_config_selectorI11FixedVectorIiLj1EEEEZZNS1_9scan_implILNS1_25lookback_scan_determinismE0ELb1ELb1ES3_N6thrust23THRUST_200600_302600_NS6detail15normal_iteratorINSB_10device_ptrIS6_EEEESG_S6_NSB_4plusIvEES6_EEDaPvRmT3_T4_T5_mT6_P12ihipStream_tbENKUlT_T0_E_clISt17integral_constantIbLb0EESV_IbLb1EEEEDaSR_SS_EUlSR_E0_NS1_11comp_targetILNS1_3genE4ELNS1_11target_archE910ELNS1_3gpuE8ELNS1_3repE0EEENS1_30default_config_static_selectorELNS0_4arch9wavefront6targetE1EEEvT1_.kd
    .uniform_work_group_size: 1
    .uses_dynamic_stack: false
    .vgpr_count:     18
    .vgpr_spill_count: 0
    .wavefront_size: 64
  - .agpr_count:     0
    .args:
      - .offset:         0
        .size:           32
        .value_kind:     by_value
    .group_segment_fixed_size: 0
    .kernarg_segment_align: 8
    .kernarg_segment_size: 32
    .language:       OpenCL C
    .language_version:
      - 2
      - 0
    .max_flat_workgroup_size: 256
    .name:           _ZN7rocprim17ROCPRIM_400000_NS6detail17trampoline_kernelINS0_14default_configENS1_20scan_config_selectorI11FixedVectorIiLj1EEEEZZNS1_9scan_implILNS1_25lookback_scan_determinismE0ELb1ELb1ES3_N6thrust23THRUST_200600_302600_NS6detail15normal_iteratorINSB_10device_ptrIS6_EEEESG_S6_NSB_4plusIvEES6_EEDaPvRmT3_T4_T5_mT6_P12ihipStream_tbENKUlT_T0_E_clISt17integral_constantIbLb0EESV_IbLb1EEEEDaSR_SS_EUlSR_E0_NS1_11comp_targetILNS1_3genE3ELNS1_11target_archE908ELNS1_3gpuE7ELNS1_3repE0EEENS1_30default_config_static_selectorELNS0_4arch9wavefront6targetE1EEEvT1_
    .private_segment_fixed_size: 0
    .sgpr_count:     4
    .sgpr_spill_count: 0
    .symbol:         _ZN7rocprim17ROCPRIM_400000_NS6detail17trampoline_kernelINS0_14default_configENS1_20scan_config_selectorI11FixedVectorIiLj1EEEEZZNS1_9scan_implILNS1_25lookback_scan_determinismE0ELb1ELb1ES3_N6thrust23THRUST_200600_302600_NS6detail15normal_iteratorINSB_10device_ptrIS6_EEEESG_S6_NSB_4plusIvEES6_EEDaPvRmT3_T4_T5_mT6_P12ihipStream_tbENKUlT_T0_E_clISt17integral_constantIbLb0EESV_IbLb1EEEEDaSR_SS_EUlSR_E0_NS1_11comp_targetILNS1_3genE3ELNS1_11target_archE908ELNS1_3gpuE7ELNS1_3repE0EEENS1_30default_config_static_selectorELNS0_4arch9wavefront6targetE1EEEvT1_.kd
    .uniform_work_group_size: 1
    .uses_dynamic_stack: false
    .vgpr_count:     0
    .vgpr_spill_count: 0
    .wavefront_size: 64
  - .agpr_count:     0
    .args:
      - .offset:         0
        .size:           32
        .value_kind:     by_value
    .group_segment_fixed_size: 0
    .kernarg_segment_align: 8
    .kernarg_segment_size: 32
    .language:       OpenCL C
    .language_version:
      - 2
      - 0
    .max_flat_workgroup_size: 256
    .name:           _ZN7rocprim17ROCPRIM_400000_NS6detail17trampoline_kernelINS0_14default_configENS1_20scan_config_selectorI11FixedVectorIiLj1EEEEZZNS1_9scan_implILNS1_25lookback_scan_determinismE0ELb1ELb1ES3_N6thrust23THRUST_200600_302600_NS6detail15normal_iteratorINSB_10device_ptrIS6_EEEESG_S6_NSB_4plusIvEES6_EEDaPvRmT3_T4_T5_mT6_P12ihipStream_tbENKUlT_T0_E_clISt17integral_constantIbLb0EESV_IbLb1EEEEDaSR_SS_EUlSR_E0_NS1_11comp_targetILNS1_3genE2ELNS1_11target_archE906ELNS1_3gpuE6ELNS1_3repE0EEENS1_30default_config_static_selectorELNS0_4arch9wavefront6targetE1EEEvT1_
    .private_segment_fixed_size: 0
    .sgpr_count:     4
    .sgpr_spill_count: 0
    .symbol:         _ZN7rocprim17ROCPRIM_400000_NS6detail17trampoline_kernelINS0_14default_configENS1_20scan_config_selectorI11FixedVectorIiLj1EEEEZZNS1_9scan_implILNS1_25lookback_scan_determinismE0ELb1ELb1ES3_N6thrust23THRUST_200600_302600_NS6detail15normal_iteratorINSB_10device_ptrIS6_EEEESG_S6_NSB_4plusIvEES6_EEDaPvRmT3_T4_T5_mT6_P12ihipStream_tbENKUlT_T0_E_clISt17integral_constantIbLb0EESV_IbLb1EEEEDaSR_SS_EUlSR_E0_NS1_11comp_targetILNS1_3genE2ELNS1_11target_archE906ELNS1_3gpuE6ELNS1_3repE0EEENS1_30default_config_static_selectorELNS0_4arch9wavefront6targetE1EEEvT1_.kd
    .uniform_work_group_size: 1
    .uses_dynamic_stack: false
    .vgpr_count:     0
    .vgpr_spill_count: 0
    .wavefront_size: 64
  - .agpr_count:     0
    .args:
      - .offset:         0
        .size:           32
        .value_kind:     by_value
    .group_segment_fixed_size: 0
    .kernarg_segment_align: 8
    .kernarg_segment_size: 32
    .language:       OpenCL C
    .language_version:
      - 2
      - 0
    .max_flat_workgroup_size: 256
    .name:           _ZN7rocprim17ROCPRIM_400000_NS6detail17trampoline_kernelINS0_14default_configENS1_20scan_config_selectorI11FixedVectorIiLj1EEEEZZNS1_9scan_implILNS1_25lookback_scan_determinismE0ELb1ELb1ES3_N6thrust23THRUST_200600_302600_NS6detail15normal_iteratorINSB_10device_ptrIS6_EEEESG_S6_NSB_4plusIvEES6_EEDaPvRmT3_T4_T5_mT6_P12ihipStream_tbENKUlT_T0_E_clISt17integral_constantIbLb0EESV_IbLb1EEEEDaSR_SS_EUlSR_E0_NS1_11comp_targetILNS1_3genE10ELNS1_11target_archE1201ELNS1_3gpuE5ELNS1_3repE0EEENS1_30default_config_static_selectorELNS0_4arch9wavefront6targetE1EEEvT1_
    .private_segment_fixed_size: 0
    .sgpr_count:     4
    .sgpr_spill_count: 0
    .symbol:         _ZN7rocprim17ROCPRIM_400000_NS6detail17trampoline_kernelINS0_14default_configENS1_20scan_config_selectorI11FixedVectorIiLj1EEEEZZNS1_9scan_implILNS1_25lookback_scan_determinismE0ELb1ELb1ES3_N6thrust23THRUST_200600_302600_NS6detail15normal_iteratorINSB_10device_ptrIS6_EEEESG_S6_NSB_4plusIvEES6_EEDaPvRmT3_T4_T5_mT6_P12ihipStream_tbENKUlT_T0_E_clISt17integral_constantIbLb0EESV_IbLb1EEEEDaSR_SS_EUlSR_E0_NS1_11comp_targetILNS1_3genE10ELNS1_11target_archE1201ELNS1_3gpuE5ELNS1_3repE0EEENS1_30default_config_static_selectorELNS0_4arch9wavefront6targetE1EEEvT1_.kd
    .uniform_work_group_size: 1
    .uses_dynamic_stack: false
    .vgpr_count:     0
    .vgpr_spill_count: 0
    .wavefront_size: 64
  - .agpr_count:     0
    .args:
      - .offset:         0
        .size:           32
        .value_kind:     by_value
    .group_segment_fixed_size: 0
    .kernarg_segment_align: 8
    .kernarg_segment_size: 32
    .language:       OpenCL C
    .language_version:
      - 2
      - 0
    .max_flat_workgroup_size: 256
    .name:           _ZN7rocprim17ROCPRIM_400000_NS6detail17trampoline_kernelINS0_14default_configENS1_20scan_config_selectorI11FixedVectorIiLj1EEEEZZNS1_9scan_implILNS1_25lookback_scan_determinismE0ELb1ELb1ES3_N6thrust23THRUST_200600_302600_NS6detail15normal_iteratorINSB_10device_ptrIS6_EEEESG_S6_NSB_4plusIvEES6_EEDaPvRmT3_T4_T5_mT6_P12ihipStream_tbENKUlT_T0_E_clISt17integral_constantIbLb0EESV_IbLb1EEEEDaSR_SS_EUlSR_E0_NS1_11comp_targetILNS1_3genE10ELNS1_11target_archE1200ELNS1_3gpuE4ELNS1_3repE0EEENS1_30default_config_static_selectorELNS0_4arch9wavefront6targetE1EEEvT1_
    .private_segment_fixed_size: 0
    .sgpr_count:     4
    .sgpr_spill_count: 0
    .symbol:         _ZN7rocprim17ROCPRIM_400000_NS6detail17trampoline_kernelINS0_14default_configENS1_20scan_config_selectorI11FixedVectorIiLj1EEEEZZNS1_9scan_implILNS1_25lookback_scan_determinismE0ELb1ELb1ES3_N6thrust23THRUST_200600_302600_NS6detail15normal_iteratorINSB_10device_ptrIS6_EEEESG_S6_NSB_4plusIvEES6_EEDaPvRmT3_T4_T5_mT6_P12ihipStream_tbENKUlT_T0_E_clISt17integral_constantIbLb0EESV_IbLb1EEEEDaSR_SS_EUlSR_E0_NS1_11comp_targetILNS1_3genE10ELNS1_11target_archE1200ELNS1_3gpuE4ELNS1_3repE0EEENS1_30default_config_static_selectorELNS0_4arch9wavefront6targetE1EEEvT1_.kd
    .uniform_work_group_size: 1
    .uses_dynamic_stack: false
    .vgpr_count:     0
    .vgpr_spill_count: 0
    .wavefront_size: 64
  - .agpr_count:     0
    .args:
      - .offset:         0
        .size:           32
        .value_kind:     by_value
    .group_segment_fixed_size: 0
    .kernarg_segment_align: 8
    .kernarg_segment_size: 32
    .language:       OpenCL C
    .language_version:
      - 2
      - 0
    .max_flat_workgroup_size: 256
    .name:           _ZN7rocprim17ROCPRIM_400000_NS6detail17trampoline_kernelINS0_14default_configENS1_20scan_config_selectorI11FixedVectorIiLj1EEEEZZNS1_9scan_implILNS1_25lookback_scan_determinismE0ELb1ELb1ES3_N6thrust23THRUST_200600_302600_NS6detail15normal_iteratorINSB_10device_ptrIS6_EEEESG_S6_NSB_4plusIvEES6_EEDaPvRmT3_T4_T5_mT6_P12ihipStream_tbENKUlT_T0_E_clISt17integral_constantIbLb0EESV_IbLb1EEEEDaSR_SS_EUlSR_E0_NS1_11comp_targetILNS1_3genE9ELNS1_11target_archE1100ELNS1_3gpuE3ELNS1_3repE0EEENS1_30default_config_static_selectorELNS0_4arch9wavefront6targetE1EEEvT1_
    .private_segment_fixed_size: 0
    .sgpr_count:     4
    .sgpr_spill_count: 0
    .symbol:         _ZN7rocprim17ROCPRIM_400000_NS6detail17trampoline_kernelINS0_14default_configENS1_20scan_config_selectorI11FixedVectorIiLj1EEEEZZNS1_9scan_implILNS1_25lookback_scan_determinismE0ELb1ELb1ES3_N6thrust23THRUST_200600_302600_NS6detail15normal_iteratorINSB_10device_ptrIS6_EEEESG_S6_NSB_4plusIvEES6_EEDaPvRmT3_T4_T5_mT6_P12ihipStream_tbENKUlT_T0_E_clISt17integral_constantIbLb0EESV_IbLb1EEEEDaSR_SS_EUlSR_E0_NS1_11comp_targetILNS1_3genE9ELNS1_11target_archE1100ELNS1_3gpuE3ELNS1_3repE0EEENS1_30default_config_static_selectorELNS0_4arch9wavefront6targetE1EEEvT1_.kd
    .uniform_work_group_size: 1
    .uses_dynamic_stack: false
    .vgpr_count:     0
    .vgpr_spill_count: 0
    .wavefront_size: 64
  - .agpr_count:     0
    .args:
      - .offset:         0
        .size:           32
        .value_kind:     by_value
    .group_segment_fixed_size: 0
    .kernarg_segment_align: 8
    .kernarg_segment_size: 32
    .language:       OpenCL C
    .language_version:
      - 2
      - 0
    .max_flat_workgroup_size: 64
    .name:           _ZN7rocprim17ROCPRIM_400000_NS6detail17trampoline_kernelINS0_14default_configENS1_20scan_config_selectorI11FixedVectorIiLj1EEEEZZNS1_9scan_implILNS1_25lookback_scan_determinismE0ELb1ELb1ES3_N6thrust23THRUST_200600_302600_NS6detail15normal_iteratorINSB_10device_ptrIS6_EEEESG_S6_NSB_4plusIvEES6_EEDaPvRmT3_T4_T5_mT6_P12ihipStream_tbENKUlT_T0_E_clISt17integral_constantIbLb0EESV_IbLb1EEEEDaSR_SS_EUlSR_E0_NS1_11comp_targetILNS1_3genE8ELNS1_11target_archE1030ELNS1_3gpuE2ELNS1_3repE0EEENS1_30default_config_static_selectorELNS0_4arch9wavefront6targetE1EEEvT1_
    .private_segment_fixed_size: 0
    .sgpr_count:     4
    .sgpr_spill_count: 0
    .symbol:         _ZN7rocprim17ROCPRIM_400000_NS6detail17trampoline_kernelINS0_14default_configENS1_20scan_config_selectorI11FixedVectorIiLj1EEEEZZNS1_9scan_implILNS1_25lookback_scan_determinismE0ELb1ELb1ES3_N6thrust23THRUST_200600_302600_NS6detail15normal_iteratorINSB_10device_ptrIS6_EEEESG_S6_NSB_4plusIvEES6_EEDaPvRmT3_T4_T5_mT6_P12ihipStream_tbENKUlT_T0_E_clISt17integral_constantIbLb0EESV_IbLb1EEEEDaSR_SS_EUlSR_E0_NS1_11comp_targetILNS1_3genE8ELNS1_11target_archE1030ELNS1_3gpuE2ELNS1_3repE0EEENS1_30default_config_static_selectorELNS0_4arch9wavefront6targetE1EEEvT1_.kd
    .uniform_work_group_size: 1
    .uses_dynamic_stack: false
    .vgpr_count:     0
    .vgpr_spill_count: 0
    .wavefront_size: 64
  - .agpr_count:     0
    .args:
      - .offset:         0
        .size:           104
        .value_kind:     by_value
    .group_segment_fixed_size: 0
    .kernarg_segment_align: 8
    .kernarg_segment_size: 104
    .language:       OpenCL C
    .language_version:
      - 2
      - 0
    .max_flat_workgroup_size: 256
    .name:           _ZN7rocprim17ROCPRIM_400000_NS6detail17trampoline_kernelINS0_14default_configENS1_20scan_config_selectorIxEEZZNS1_9scan_implILNS1_25lookback_scan_determinismE0ELb0ELb0ES3_N6thrust23THRUST_200600_302600_NS6detail15normal_iteratorINS9_10device_ptrIxEEEESE_x9plus_mod3IxExEEDaPvRmT3_T4_T5_mT6_P12ihipStream_tbENKUlT_T0_E_clISt17integral_constantIbLb0EESU_EEDaSP_SQ_EUlSP_E_NS1_11comp_targetILNS1_3genE0ELNS1_11target_archE4294967295ELNS1_3gpuE0ELNS1_3repE0EEENS1_30default_config_static_selectorELNS0_4arch9wavefront6targetE1EEEvT1_
    .private_segment_fixed_size: 0
    .sgpr_count:     4
    .sgpr_spill_count: 0
    .symbol:         _ZN7rocprim17ROCPRIM_400000_NS6detail17trampoline_kernelINS0_14default_configENS1_20scan_config_selectorIxEEZZNS1_9scan_implILNS1_25lookback_scan_determinismE0ELb0ELb0ES3_N6thrust23THRUST_200600_302600_NS6detail15normal_iteratorINS9_10device_ptrIxEEEESE_x9plus_mod3IxExEEDaPvRmT3_T4_T5_mT6_P12ihipStream_tbENKUlT_T0_E_clISt17integral_constantIbLb0EESU_EEDaSP_SQ_EUlSP_E_NS1_11comp_targetILNS1_3genE0ELNS1_11target_archE4294967295ELNS1_3gpuE0ELNS1_3repE0EEENS1_30default_config_static_selectorELNS0_4arch9wavefront6targetE1EEEvT1_.kd
    .uniform_work_group_size: 1
    .uses_dynamic_stack: false
    .vgpr_count:     0
    .vgpr_spill_count: 0
    .wavefront_size: 64
  - .agpr_count:     0
    .args:
      - .offset:         0
        .size:           104
        .value_kind:     by_value
    .group_segment_fixed_size: 0
    .kernarg_segment_align: 8
    .kernarg_segment_size: 104
    .language:       OpenCL C
    .language_version:
      - 2
      - 0
    .max_flat_workgroup_size: 256
    .name:           _ZN7rocprim17ROCPRIM_400000_NS6detail17trampoline_kernelINS0_14default_configENS1_20scan_config_selectorIxEEZZNS1_9scan_implILNS1_25lookback_scan_determinismE0ELb0ELb0ES3_N6thrust23THRUST_200600_302600_NS6detail15normal_iteratorINS9_10device_ptrIxEEEESE_x9plus_mod3IxExEEDaPvRmT3_T4_T5_mT6_P12ihipStream_tbENKUlT_T0_E_clISt17integral_constantIbLb0EESU_EEDaSP_SQ_EUlSP_E_NS1_11comp_targetILNS1_3genE5ELNS1_11target_archE942ELNS1_3gpuE9ELNS1_3repE0EEENS1_30default_config_static_selectorELNS0_4arch9wavefront6targetE1EEEvT1_
    .private_segment_fixed_size: 0
    .sgpr_count:     4
    .sgpr_spill_count: 0
    .symbol:         _ZN7rocprim17ROCPRIM_400000_NS6detail17trampoline_kernelINS0_14default_configENS1_20scan_config_selectorIxEEZZNS1_9scan_implILNS1_25lookback_scan_determinismE0ELb0ELb0ES3_N6thrust23THRUST_200600_302600_NS6detail15normal_iteratorINS9_10device_ptrIxEEEESE_x9plus_mod3IxExEEDaPvRmT3_T4_T5_mT6_P12ihipStream_tbENKUlT_T0_E_clISt17integral_constantIbLb0EESU_EEDaSP_SQ_EUlSP_E_NS1_11comp_targetILNS1_3genE5ELNS1_11target_archE942ELNS1_3gpuE9ELNS1_3repE0EEENS1_30default_config_static_selectorELNS0_4arch9wavefront6targetE1EEEvT1_.kd
    .uniform_work_group_size: 1
    .uses_dynamic_stack: false
    .vgpr_count:     0
    .vgpr_spill_count: 0
    .wavefront_size: 64
  - .agpr_count:     0
    .args:
      - .offset:         0
        .size:           104
        .value_kind:     by_value
    .group_segment_fixed_size: 7168
    .kernarg_segment_align: 8
    .kernarg_segment_size: 104
    .language:       OpenCL C
    .language_version:
      - 2
      - 0
    .max_flat_workgroup_size: 128
    .name:           _ZN7rocprim17ROCPRIM_400000_NS6detail17trampoline_kernelINS0_14default_configENS1_20scan_config_selectorIxEEZZNS1_9scan_implILNS1_25lookback_scan_determinismE0ELb0ELb0ES3_N6thrust23THRUST_200600_302600_NS6detail15normal_iteratorINS9_10device_ptrIxEEEESE_x9plus_mod3IxExEEDaPvRmT3_T4_T5_mT6_P12ihipStream_tbENKUlT_T0_E_clISt17integral_constantIbLb0EESU_EEDaSP_SQ_EUlSP_E_NS1_11comp_targetILNS1_3genE4ELNS1_11target_archE910ELNS1_3gpuE8ELNS1_3repE0EEENS1_30default_config_static_selectorELNS0_4arch9wavefront6targetE1EEEvT1_
    .private_segment_fixed_size: 0
    .sgpr_count:     44
    .sgpr_spill_count: 0
    .symbol:         _ZN7rocprim17ROCPRIM_400000_NS6detail17trampoline_kernelINS0_14default_configENS1_20scan_config_selectorIxEEZZNS1_9scan_implILNS1_25lookback_scan_determinismE0ELb0ELb0ES3_N6thrust23THRUST_200600_302600_NS6detail15normal_iteratorINS9_10device_ptrIxEEEESE_x9plus_mod3IxExEEDaPvRmT3_T4_T5_mT6_P12ihipStream_tbENKUlT_T0_E_clISt17integral_constantIbLb0EESU_EEDaSP_SQ_EUlSP_E_NS1_11comp_targetILNS1_3genE4ELNS1_11target_archE910ELNS1_3gpuE8ELNS1_3repE0EEENS1_30default_config_static_selectorELNS0_4arch9wavefront6targetE1EEEvT1_.kd
    .uniform_work_group_size: 1
    .uses_dynamic_stack: false
    .vgpr_count:     39
    .vgpr_spill_count: 0
    .wavefront_size: 64
  - .agpr_count:     0
    .args:
      - .offset:         0
        .size:           104
        .value_kind:     by_value
    .group_segment_fixed_size: 0
    .kernarg_segment_align: 8
    .kernarg_segment_size: 104
    .language:       OpenCL C
    .language_version:
      - 2
      - 0
    .max_flat_workgroup_size: 256
    .name:           _ZN7rocprim17ROCPRIM_400000_NS6detail17trampoline_kernelINS0_14default_configENS1_20scan_config_selectorIxEEZZNS1_9scan_implILNS1_25lookback_scan_determinismE0ELb0ELb0ES3_N6thrust23THRUST_200600_302600_NS6detail15normal_iteratorINS9_10device_ptrIxEEEESE_x9plus_mod3IxExEEDaPvRmT3_T4_T5_mT6_P12ihipStream_tbENKUlT_T0_E_clISt17integral_constantIbLb0EESU_EEDaSP_SQ_EUlSP_E_NS1_11comp_targetILNS1_3genE3ELNS1_11target_archE908ELNS1_3gpuE7ELNS1_3repE0EEENS1_30default_config_static_selectorELNS0_4arch9wavefront6targetE1EEEvT1_
    .private_segment_fixed_size: 0
    .sgpr_count:     4
    .sgpr_spill_count: 0
    .symbol:         _ZN7rocprim17ROCPRIM_400000_NS6detail17trampoline_kernelINS0_14default_configENS1_20scan_config_selectorIxEEZZNS1_9scan_implILNS1_25lookback_scan_determinismE0ELb0ELb0ES3_N6thrust23THRUST_200600_302600_NS6detail15normal_iteratorINS9_10device_ptrIxEEEESE_x9plus_mod3IxExEEDaPvRmT3_T4_T5_mT6_P12ihipStream_tbENKUlT_T0_E_clISt17integral_constantIbLb0EESU_EEDaSP_SQ_EUlSP_E_NS1_11comp_targetILNS1_3genE3ELNS1_11target_archE908ELNS1_3gpuE7ELNS1_3repE0EEENS1_30default_config_static_selectorELNS0_4arch9wavefront6targetE1EEEvT1_.kd
    .uniform_work_group_size: 1
    .uses_dynamic_stack: false
    .vgpr_count:     0
    .vgpr_spill_count: 0
    .wavefront_size: 64
  - .agpr_count:     0
    .args:
      - .offset:         0
        .size:           104
        .value_kind:     by_value
    .group_segment_fixed_size: 0
    .kernarg_segment_align: 8
    .kernarg_segment_size: 104
    .language:       OpenCL C
    .language_version:
      - 2
      - 0
    .max_flat_workgroup_size: 64
    .name:           _ZN7rocprim17ROCPRIM_400000_NS6detail17trampoline_kernelINS0_14default_configENS1_20scan_config_selectorIxEEZZNS1_9scan_implILNS1_25lookback_scan_determinismE0ELb0ELb0ES3_N6thrust23THRUST_200600_302600_NS6detail15normal_iteratorINS9_10device_ptrIxEEEESE_x9plus_mod3IxExEEDaPvRmT3_T4_T5_mT6_P12ihipStream_tbENKUlT_T0_E_clISt17integral_constantIbLb0EESU_EEDaSP_SQ_EUlSP_E_NS1_11comp_targetILNS1_3genE2ELNS1_11target_archE906ELNS1_3gpuE6ELNS1_3repE0EEENS1_30default_config_static_selectorELNS0_4arch9wavefront6targetE1EEEvT1_
    .private_segment_fixed_size: 0
    .sgpr_count:     4
    .sgpr_spill_count: 0
    .symbol:         _ZN7rocprim17ROCPRIM_400000_NS6detail17trampoline_kernelINS0_14default_configENS1_20scan_config_selectorIxEEZZNS1_9scan_implILNS1_25lookback_scan_determinismE0ELb0ELb0ES3_N6thrust23THRUST_200600_302600_NS6detail15normal_iteratorINS9_10device_ptrIxEEEESE_x9plus_mod3IxExEEDaPvRmT3_T4_T5_mT6_P12ihipStream_tbENKUlT_T0_E_clISt17integral_constantIbLb0EESU_EEDaSP_SQ_EUlSP_E_NS1_11comp_targetILNS1_3genE2ELNS1_11target_archE906ELNS1_3gpuE6ELNS1_3repE0EEENS1_30default_config_static_selectorELNS0_4arch9wavefront6targetE1EEEvT1_.kd
    .uniform_work_group_size: 1
    .uses_dynamic_stack: false
    .vgpr_count:     0
    .vgpr_spill_count: 0
    .wavefront_size: 64
  - .agpr_count:     0
    .args:
      - .offset:         0
        .size:           104
        .value_kind:     by_value
    .group_segment_fixed_size: 0
    .kernarg_segment_align: 8
    .kernarg_segment_size: 104
    .language:       OpenCL C
    .language_version:
      - 2
      - 0
    .max_flat_workgroup_size: 256
    .name:           _ZN7rocprim17ROCPRIM_400000_NS6detail17trampoline_kernelINS0_14default_configENS1_20scan_config_selectorIxEEZZNS1_9scan_implILNS1_25lookback_scan_determinismE0ELb0ELb0ES3_N6thrust23THRUST_200600_302600_NS6detail15normal_iteratorINS9_10device_ptrIxEEEESE_x9plus_mod3IxExEEDaPvRmT3_T4_T5_mT6_P12ihipStream_tbENKUlT_T0_E_clISt17integral_constantIbLb0EESU_EEDaSP_SQ_EUlSP_E_NS1_11comp_targetILNS1_3genE10ELNS1_11target_archE1201ELNS1_3gpuE5ELNS1_3repE0EEENS1_30default_config_static_selectorELNS0_4arch9wavefront6targetE1EEEvT1_
    .private_segment_fixed_size: 0
    .sgpr_count:     4
    .sgpr_spill_count: 0
    .symbol:         _ZN7rocprim17ROCPRIM_400000_NS6detail17trampoline_kernelINS0_14default_configENS1_20scan_config_selectorIxEEZZNS1_9scan_implILNS1_25lookback_scan_determinismE0ELb0ELb0ES3_N6thrust23THRUST_200600_302600_NS6detail15normal_iteratorINS9_10device_ptrIxEEEESE_x9plus_mod3IxExEEDaPvRmT3_T4_T5_mT6_P12ihipStream_tbENKUlT_T0_E_clISt17integral_constantIbLb0EESU_EEDaSP_SQ_EUlSP_E_NS1_11comp_targetILNS1_3genE10ELNS1_11target_archE1201ELNS1_3gpuE5ELNS1_3repE0EEENS1_30default_config_static_selectorELNS0_4arch9wavefront6targetE1EEEvT1_.kd
    .uniform_work_group_size: 1
    .uses_dynamic_stack: false
    .vgpr_count:     0
    .vgpr_spill_count: 0
    .wavefront_size: 64
  - .agpr_count:     0
    .args:
      - .offset:         0
        .size:           104
        .value_kind:     by_value
    .group_segment_fixed_size: 0
    .kernarg_segment_align: 8
    .kernarg_segment_size: 104
    .language:       OpenCL C
    .language_version:
      - 2
      - 0
    .max_flat_workgroup_size: 256
    .name:           _ZN7rocprim17ROCPRIM_400000_NS6detail17trampoline_kernelINS0_14default_configENS1_20scan_config_selectorIxEEZZNS1_9scan_implILNS1_25lookback_scan_determinismE0ELb0ELb0ES3_N6thrust23THRUST_200600_302600_NS6detail15normal_iteratorINS9_10device_ptrIxEEEESE_x9plus_mod3IxExEEDaPvRmT3_T4_T5_mT6_P12ihipStream_tbENKUlT_T0_E_clISt17integral_constantIbLb0EESU_EEDaSP_SQ_EUlSP_E_NS1_11comp_targetILNS1_3genE10ELNS1_11target_archE1200ELNS1_3gpuE4ELNS1_3repE0EEENS1_30default_config_static_selectorELNS0_4arch9wavefront6targetE1EEEvT1_
    .private_segment_fixed_size: 0
    .sgpr_count:     4
    .sgpr_spill_count: 0
    .symbol:         _ZN7rocprim17ROCPRIM_400000_NS6detail17trampoline_kernelINS0_14default_configENS1_20scan_config_selectorIxEEZZNS1_9scan_implILNS1_25lookback_scan_determinismE0ELb0ELb0ES3_N6thrust23THRUST_200600_302600_NS6detail15normal_iteratorINS9_10device_ptrIxEEEESE_x9plus_mod3IxExEEDaPvRmT3_T4_T5_mT6_P12ihipStream_tbENKUlT_T0_E_clISt17integral_constantIbLb0EESU_EEDaSP_SQ_EUlSP_E_NS1_11comp_targetILNS1_3genE10ELNS1_11target_archE1200ELNS1_3gpuE4ELNS1_3repE0EEENS1_30default_config_static_selectorELNS0_4arch9wavefront6targetE1EEEvT1_.kd
    .uniform_work_group_size: 1
    .uses_dynamic_stack: false
    .vgpr_count:     0
    .vgpr_spill_count: 0
    .wavefront_size: 64
  - .agpr_count:     0
    .args:
      - .offset:         0
        .size:           104
        .value_kind:     by_value
    .group_segment_fixed_size: 0
    .kernarg_segment_align: 8
    .kernarg_segment_size: 104
    .language:       OpenCL C
    .language_version:
      - 2
      - 0
    .max_flat_workgroup_size: 256
    .name:           _ZN7rocprim17ROCPRIM_400000_NS6detail17trampoline_kernelINS0_14default_configENS1_20scan_config_selectorIxEEZZNS1_9scan_implILNS1_25lookback_scan_determinismE0ELb0ELb0ES3_N6thrust23THRUST_200600_302600_NS6detail15normal_iteratorINS9_10device_ptrIxEEEESE_x9plus_mod3IxExEEDaPvRmT3_T4_T5_mT6_P12ihipStream_tbENKUlT_T0_E_clISt17integral_constantIbLb0EESU_EEDaSP_SQ_EUlSP_E_NS1_11comp_targetILNS1_3genE9ELNS1_11target_archE1100ELNS1_3gpuE3ELNS1_3repE0EEENS1_30default_config_static_selectorELNS0_4arch9wavefront6targetE1EEEvT1_
    .private_segment_fixed_size: 0
    .sgpr_count:     4
    .sgpr_spill_count: 0
    .symbol:         _ZN7rocprim17ROCPRIM_400000_NS6detail17trampoline_kernelINS0_14default_configENS1_20scan_config_selectorIxEEZZNS1_9scan_implILNS1_25lookback_scan_determinismE0ELb0ELb0ES3_N6thrust23THRUST_200600_302600_NS6detail15normal_iteratorINS9_10device_ptrIxEEEESE_x9plus_mod3IxExEEDaPvRmT3_T4_T5_mT6_P12ihipStream_tbENKUlT_T0_E_clISt17integral_constantIbLb0EESU_EEDaSP_SQ_EUlSP_E_NS1_11comp_targetILNS1_3genE9ELNS1_11target_archE1100ELNS1_3gpuE3ELNS1_3repE0EEENS1_30default_config_static_selectorELNS0_4arch9wavefront6targetE1EEEvT1_.kd
    .uniform_work_group_size: 1
    .uses_dynamic_stack: false
    .vgpr_count:     0
    .vgpr_spill_count: 0
    .wavefront_size: 64
  - .agpr_count:     0
    .args:
      - .offset:         0
        .size:           104
        .value_kind:     by_value
    .group_segment_fixed_size: 0
    .kernarg_segment_align: 8
    .kernarg_segment_size: 104
    .language:       OpenCL C
    .language_version:
      - 2
      - 0
    .max_flat_workgroup_size: 256
    .name:           _ZN7rocprim17ROCPRIM_400000_NS6detail17trampoline_kernelINS0_14default_configENS1_20scan_config_selectorIxEEZZNS1_9scan_implILNS1_25lookback_scan_determinismE0ELb0ELb0ES3_N6thrust23THRUST_200600_302600_NS6detail15normal_iteratorINS9_10device_ptrIxEEEESE_x9plus_mod3IxExEEDaPvRmT3_T4_T5_mT6_P12ihipStream_tbENKUlT_T0_E_clISt17integral_constantIbLb0EESU_EEDaSP_SQ_EUlSP_E_NS1_11comp_targetILNS1_3genE8ELNS1_11target_archE1030ELNS1_3gpuE2ELNS1_3repE0EEENS1_30default_config_static_selectorELNS0_4arch9wavefront6targetE1EEEvT1_
    .private_segment_fixed_size: 0
    .sgpr_count:     4
    .sgpr_spill_count: 0
    .symbol:         _ZN7rocprim17ROCPRIM_400000_NS6detail17trampoline_kernelINS0_14default_configENS1_20scan_config_selectorIxEEZZNS1_9scan_implILNS1_25lookback_scan_determinismE0ELb0ELb0ES3_N6thrust23THRUST_200600_302600_NS6detail15normal_iteratorINS9_10device_ptrIxEEEESE_x9plus_mod3IxExEEDaPvRmT3_T4_T5_mT6_P12ihipStream_tbENKUlT_T0_E_clISt17integral_constantIbLb0EESU_EEDaSP_SQ_EUlSP_E_NS1_11comp_targetILNS1_3genE8ELNS1_11target_archE1030ELNS1_3gpuE2ELNS1_3repE0EEENS1_30default_config_static_selectorELNS0_4arch9wavefront6targetE1EEEvT1_.kd
    .uniform_work_group_size: 1
    .uses_dynamic_stack: false
    .vgpr_count:     0
    .vgpr_spill_count: 0
    .wavefront_size: 64
  - .agpr_count:     0
    .args:
      - .offset:         0
        .size:           40
        .value_kind:     by_value
    .group_segment_fixed_size: 0
    .kernarg_segment_align: 8
    .kernarg_segment_size: 40
    .language:       OpenCL C
    .language_version:
      - 2
      - 0
    .max_flat_workgroup_size: 256
    .name:           _ZN7rocprim17ROCPRIM_400000_NS6detail17trampoline_kernelINS0_14default_configENS1_20scan_config_selectorIxEEZZNS1_9scan_implILNS1_25lookback_scan_determinismE0ELb0ELb0ES3_N6thrust23THRUST_200600_302600_NS6detail15normal_iteratorINS9_10device_ptrIxEEEESE_x9plus_mod3IxExEEDaPvRmT3_T4_T5_mT6_P12ihipStream_tbENKUlT_T0_E_clISt17integral_constantIbLb0EESU_EEDaSP_SQ_EUlSP_E0_NS1_11comp_targetILNS1_3genE0ELNS1_11target_archE4294967295ELNS1_3gpuE0ELNS1_3repE0EEENS1_30default_config_static_selectorELNS0_4arch9wavefront6targetE1EEEvT1_
    .private_segment_fixed_size: 0
    .sgpr_count:     4
    .sgpr_spill_count: 0
    .symbol:         _ZN7rocprim17ROCPRIM_400000_NS6detail17trampoline_kernelINS0_14default_configENS1_20scan_config_selectorIxEEZZNS1_9scan_implILNS1_25lookback_scan_determinismE0ELb0ELb0ES3_N6thrust23THRUST_200600_302600_NS6detail15normal_iteratorINS9_10device_ptrIxEEEESE_x9plus_mod3IxExEEDaPvRmT3_T4_T5_mT6_P12ihipStream_tbENKUlT_T0_E_clISt17integral_constantIbLb0EESU_EEDaSP_SQ_EUlSP_E0_NS1_11comp_targetILNS1_3genE0ELNS1_11target_archE4294967295ELNS1_3gpuE0ELNS1_3repE0EEENS1_30default_config_static_selectorELNS0_4arch9wavefront6targetE1EEEvT1_.kd
    .uniform_work_group_size: 1
    .uses_dynamic_stack: false
    .vgpr_count:     0
    .vgpr_spill_count: 0
    .wavefront_size: 64
  - .agpr_count:     0
    .args:
      - .offset:         0
        .size:           40
        .value_kind:     by_value
    .group_segment_fixed_size: 0
    .kernarg_segment_align: 8
    .kernarg_segment_size: 40
    .language:       OpenCL C
    .language_version:
      - 2
      - 0
    .max_flat_workgroup_size: 256
    .name:           _ZN7rocprim17ROCPRIM_400000_NS6detail17trampoline_kernelINS0_14default_configENS1_20scan_config_selectorIxEEZZNS1_9scan_implILNS1_25lookback_scan_determinismE0ELb0ELb0ES3_N6thrust23THRUST_200600_302600_NS6detail15normal_iteratorINS9_10device_ptrIxEEEESE_x9plus_mod3IxExEEDaPvRmT3_T4_T5_mT6_P12ihipStream_tbENKUlT_T0_E_clISt17integral_constantIbLb0EESU_EEDaSP_SQ_EUlSP_E0_NS1_11comp_targetILNS1_3genE5ELNS1_11target_archE942ELNS1_3gpuE9ELNS1_3repE0EEENS1_30default_config_static_selectorELNS0_4arch9wavefront6targetE1EEEvT1_
    .private_segment_fixed_size: 0
    .sgpr_count:     4
    .sgpr_spill_count: 0
    .symbol:         _ZN7rocprim17ROCPRIM_400000_NS6detail17trampoline_kernelINS0_14default_configENS1_20scan_config_selectorIxEEZZNS1_9scan_implILNS1_25lookback_scan_determinismE0ELb0ELb0ES3_N6thrust23THRUST_200600_302600_NS6detail15normal_iteratorINS9_10device_ptrIxEEEESE_x9plus_mod3IxExEEDaPvRmT3_T4_T5_mT6_P12ihipStream_tbENKUlT_T0_E_clISt17integral_constantIbLb0EESU_EEDaSP_SQ_EUlSP_E0_NS1_11comp_targetILNS1_3genE5ELNS1_11target_archE942ELNS1_3gpuE9ELNS1_3repE0EEENS1_30default_config_static_selectorELNS0_4arch9wavefront6targetE1EEEvT1_.kd
    .uniform_work_group_size: 1
    .uses_dynamic_stack: false
    .vgpr_count:     0
    .vgpr_spill_count: 0
    .wavefront_size: 64
  - .agpr_count:     0
    .args:
      - .offset:         0
        .size:           40
        .value_kind:     by_value
    .group_segment_fixed_size: 7168
    .kernarg_segment_align: 8
    .kernarg_segment_size: 40
    .language:       OpenCL C
    .language_version:
      - 2
      - 0
    .max_flat_workgroup_size: 128
    .name:           _ZN7rocprim17ROCPRIM_400000_NS6detail17trampoline_kernelINS0_14default_configENS1_20scan_config_selectorIxEEZZNS1_9scan_implILNS1_25lookback_scan_determinismE0ELb0ELb0ES3_N6thrust23THRUST_200600_302600_NS6detail15normal_iteratorINS9_10device_ptrIxEEEESE_x9plus_mod3IxExEEDaPvRmT3_T4_T5_mT6_P12ihipStream_tbENKUlT_T0_E_clISt17integral_constantIbLb0EESU_EEDaSP_SQ_EUlSP_E0_NS1_11comp_targetILNS1_3genE4ELNS1_11target_archE910ELNS1_3gpuE8ELNS1_3repE0EEENS1_30default_config_static_selectorELNS0_4arch9wavefront6targetE1EEEvT1_
    .private_segment_fixed_size: 0
    .sgpr_count:     28
    .sgpr_spill_count: 0
    .symbol:         _ZN7rocprim17ROCPRIM_400000_NS6detail17trampoline_kernelINS0_14default_configENS1_20scan_config_selectorIxEEZZNS1_9scan_implILNS1_25lookback_scan_determinismE0ELb0ELb0ES3_N6thrust23THRUST_200600_302600_NS6detail15normal_iteratorINS9_10device_ptrIxEEEESE_x9plus_mod3IxExEEDaPvRmT3_T4_T5_mT6_P12ihipStream_tbENKUlT_T0_E_clISt17integral_constantIbLb0EESU_EEDaSP_SQ_EUlSP_E0_NS1_11comp_targetILNS1_3genE4ELNS1_11target_archE910ELNS1_3gpuE8ELNS1_3repE0EEENS1_30default_config_static_selectorELNS0_4arch9wavefront6targetE1EEEvT1_.kd
    .uniform_work_group_size: 1
    .uses_dynamic_stack: false
    .vgpr_count:     27
    .vgpr_spill_count: 0
    .wavefront_size: 64
  - .agpr_count:     0
    .args:
      - .offset:         0
        .size:           40
        .value_kind:     by_value
    .group_segment_fixed_size: 0
    .kernarg_segment_align: 8
    .kernarg_segment_size: 40
    .language:       OpenCL C
    .language_version:
      - 2
      - 0
    .max_flat_workgroup_size: 256
    .name:           _ZN7rocprim17ROCPRIM_400000_NS6detail17trampoline_kernelINS0_14default_configENS1_20scan_config_selectorIxEEZZNS1_9scan_implILNS1_25lookback_scan_determinismE0ELb0ELb0ES3_N6thrust23THRUST_200600_302600_NS6detail15normal_iteratorINS9_10device_ptrIxEEEESE_x9plus_mod3IxExEEDaPvRmT3_T4_T5_mT6_P12ihipStream_tbENKUlT_T0_E_clISt17integral_constantIbLb0EESU_EEDaSP_SQ_EUlSP_E0_NS1_11comp_targetILNS1_3genE3ELNS1_11target_archE908ELNS1_3gpuE7ELNS1_3repE0EEENS1_30default_config_static_selectorELNS0_4arch9wavefront6targetE1EEEvT1_
    .private_segment_fixed_size: 0
    .sgpr_count:     4
    .sgpr_spill_count: 0
    .symbol:         _ZN7rocprim17ROCPRIM_400000_NS6detail17trampoline_kernelINS0_14default_configENS1_20scan_config_selectorIxEEZZNS1_9scan_implILNS1_25lookback_scan_determinismE0ELb0ELb0ES3_N6thrust23THRUST_200600_302600_NS6detail15normal_iteratorINS9_10device_ptrIxEEEESE_x9plus_mod3IxExEEDaPvRmT3_T4_T5_mT6_P12ihipStream_tbENKUlT_T0_E_clISt17integral_constantIbLb0EESU_EEDaSP_SQ_EUlSP_E0_NS1_11comp_targetILNS1_3genE3ELNS1_11target_archE908ELNS1_3gpuE7ELNS1_3repE0EEENS1_30default_config_static_selectorELNS0_4arch9wavefront6targetE1EEEvT1_.kd
    .uniform_work_group_size: 1
    .uses_dynamic_stack: false
    .vgpr_count:     0
    .vgpr_spill_count: 0
    .wavefront_size: 64
  - .agpr_count:     0
    .args:
      - .offset:         0
        .size:           40
        .value_kind:     by_value
    .group_segment_fixed_size: 0
    .kernarg_segment_align: 8
    .kernarg_segment_size: 40
    .language:       OpenCL C
    .language_version:
      - 2
      - 0
    .max_flat_workgroup_size: 64
    .name:           _ZN7rocprim17ROCPRIM_400000_NS6detail17trampoline_kernelINS0_14default_configENS1_20scan_config_selectorIxEEZZNS1_9scan_implILNS1_25lookback_scan_determinismE0ELb0ELb0ES3_N6thrust23THRUST_200600_302600_NS6detail15normal_iteratorINS9_10device_ptrIxEEEESE_x9plus_mod3IxExEEDaPvRmT3_T4_T5_mT6_P12ihipStream_tbENKUlT_T0_E_clISt17integral_constantIbLb0EESU_EEDaSP_SQ_EUlSP_E0_NS1_11comp_targetILNS1_3genE2ELNS1_11target_archE906ELNS1_3gpuE6ELNS1_3repE0EEENS1_30default_config_static_selectorELNS0_4arch9wavefront6targetE1EEEvT1_
    .private_segment_fixed_size: 0
    .sgpr_count:     4
    .sgpr_spill_count: 0
    .symbol:         _ZN7rocprim17ROCPRIM_400000_NS6detail17trampoline_kernelINS0_14default_configENS1_20scan_config_selectorIxEEZZNS1_9scan_implILNS1_25lookback_scan_determinismE0ELb0ELb0ES3_N6thrust23THRUST_200600_302600_NS6detail15normal_iteratorINS9_10device_ptrIxEEEESE_x9plus_mod3IxExEEDaPvRmT3_T4_T5_mT6_P12ihipStream_tbENKUlT_T0_E_clISt17integral_constantIbLb0EESU_EEDaSP_SQ_EUlSP_E0_NS1_11comp_targetILNS1_3genE2ELNS1_11target_archE906ELNS1_3gpuE6ELNS1_3repE0EEENS1_30default_config_static_selectorELNS0_4arch9wavefront6targetE1EEEvT1_.kd
    .uniform_work_group_size: 1
    .uses_dynamic_stack: false
    .vgpr_count:     0
    .vgpr_spill_count: 0
    .wavefront_size: 64
  - .agpr_count:     0
    .args:
      - .offset:         0
        .size:           40
        .value_kind:     by_value
    .group_segment_fixed_size: 0
    .kernarg_segment_align: 8
    .kernarg_segment_size: 40
    .language:       OpenCL C
    .language_version:
      - 2
      - 0
    .max_flat_workgroup_size: 256
    .name:           _ZN7rocprim17ROCPRIM_400000_NS6detail17trampoline_kernelINS0_14default_configENS1_20scan_config_selectorIxEEZZNS1_9scan_implILNS1_25lookback_scan_determinismE0ELb0ELb0ES3_N6thrust23THRUST_200600_302600_NS6detail15normal_iteratorINS9_10device_ptrIxEEEESE_x9plus_mod3IxExEEDaPvRmT3_T4_T5_mT6_P12ihipStream_tbENKUlT_T0_E_clISt17integral_constantIbLb0EESU_EEDaSP_SQ_EUlSP_E0_NS1_11comp_targetILNS1_3genE10ELNS1_11target_archE1201ELNS1_3gpuE5ELNS1_3repE0EEENS1_30default_config_static_selectorELNS0_4arch9wavefront6targetE1EEEvT1_
    .private_segment_fixed_size: 0
    .sgpr_count:     4
    .sgpr_spill_count: 0
    .symbol:         _ZN7rocprim17ROCPRIM_400000_NS6detail17trampoline_kernelINS0_14default_configENS1_20scan_config_selectorIxEEZZNS1_9scan_implILNS1_25lookback_scan_determinismE0ELb0ELb0ES3_N6thrust23THRUST_200600_302600_NS6detail15normal_iteratorINS9_10device_ptrIxEEEESE_x9plus_mod3IxExEEDaPvRmT3_T4_T5_mT6_P12ihipStream_tbENKUlT_T0_E_clISt17integral_constantIbLb0EESU_EEDaSP_SQ_EUlSP_E0_NS1_11comp_targetILNS1_3genE10ELNS1_11target_archE1201ELNS1_3gpuE5ELNS1_3repE0EEENS1_30default_config_static_selectorELNS0_4arch9wavefront6targetE1EEEvT1_.kd
    .uniform_work_group_size: 1
    .uses_dynamic_stack: false
    .vgpr_count:     0
    .vgpr_spill_count: 0
    .wavefront_size: 64
  - .agpr_count:     0
    .args:
      - .offset:         0
        .size:           40
        .value_kind:     by_value
    .group_segment_fixed_size: 0
    .kernarg_segment_align: 8
    .kernarg_segment_size: 40
    .language:       OpenCL C
    .language_version:
      - 2
      - 0
    .max_flat_workgroup_size: 256
    .name:           _ZN7rocprim17ROCPRIM_400000_NS6detail17trampoline_kernelINS0_14default_configENS1_20scan_config_selectorIxEEZZNS1_9scan_implILNS1_25lookback_scan_determinismE0ELb0ELb0ES3_N6thrust23THRUST_200600_302600_NS6detail15normal_iteratorINS9_10device_ptrIxEEEESE_x9plus_mod3IxExEEDaPvRmT3_T4_T5_mT6_P12ihipStream_tbENKUlT_T0_E_clISt17integral_constantIbLb0EESU_EEDaSP_SQ_EUlSP_E0_NS1_11comp_targetILNS1_3genE10ELNS1_11target_archE1200ELNS1_3gpuE4ELNS1_3repE0EEENS1_30default_config_static_selectorELNS0_4arch9wavefront6targetE1EEEvT1_
    .private_segment_fixed_size: 0
    .sgpr_count:     4
    .sgpr_spill_count: 0
    .symbol:         _ZN7rocprim17ROCPRIM_400000_NS6detail17trampoline_kernelINS0_14default_configENS1_20scan_config_selectorIxEEZZNS1_9scan_implILNS1_25lookback_scan_determinismE0ELb0ELb0ES3_N6thrust23THRUST_200600_302600_NS6detail15normal_iteratorINS9_10device_ptrIxEEEESE_x9plus_mod3IxExEEDaPvRmT3_T4_T5_mT6_P12ihipStream_tbENKUlT_T0_E_clISt17integral_constantIbLb0EESU_EEDaSP_SQ_EUlSP_E0_NS1_11comp_targetILNS1_3genE10ELNS1_11target_archE1200ELNS1_3gpuE4ELNS1_3repE0EEENS1_30default_config_static_selectorELNS0_4arch9wavefront6targetE1EEEvT1_.kd
    .uniform_work_group_size: 1
    .uses_dynamic_stack: false
    .vgpr_count:     0
    .vgpr_spill_count: 0
    .wavefront_size: 64
  - .agpr_count:     0
    .args:
      - .offset:         0
        .size:           40
        .value_kind:     by_value
    .group_segment_fixed_size: 0
    .kernarg_segment_align: 8
    .kernarg_segment_size: 40
    .language:       OpenCL C
    .language_version:
      - 2
      - 0
    .max_flat_workgroup_size: 256
    .name:           _ZN7rocprim17ROCPRIM_400000_NS6detail17trampoline_kernelINS0_14default_configENS1_20scan_config_selectorIxEEZZNS1_9scan_implILNS1_25lookback_scan_determinismE0ELb0ELb0ES3_N6thrust23THRUST_200600_302600_NS6detail15normal_iteratorINS9_10device_ptrIxEEEESE_x9plus_mod3IxExEEDaPvRmT3_T4_T5_mT6_P12ihipStream_tbENKUlT_T0_E_clISt17integral_constantIbLb0EESU_EEDaSP_SQ_EUlSP_E0_NS1_11comp_targetILNS1_3genE9ELNS1_11target_archE1100ELNS1_3gpuE3ELNS1_3repE0EEENS1_30default_config_static_selectorELNS0_4arch9wavefront6targetE1EEEvT1_
    .private_segment_fixed_size: 0
    .sgpr_count:     4
    .sgpr_spill_count: 0
    .symbol:         _ZN7rocprim17ROCPRIM_400000_NS6detail17trampoline_kernelINS0_14default_configENS1_20scan_config_selectorIxEEZZNS1_9scan_implILNS1_25lookback_scan_determinismE0ELb0ELb0ES3_N6thrust23THRUST_200600_302600_NS6detail15normal_iteratorINS9_10device_ptrIxEEEESE_x9plus_mod3IxExEEDaPvRmT3_T4_T5_mT6_P12ihipStream_tbENKUlT_T0_E_clISt17integral_constantIbLb0EESU_EEDaSP_SQ_EUlSP_E0_NS1_11comp_targetILNS1_3genE9ELNS1_11target_archE1100ELNS1_3gpuE3ELNS1_3repE0EEENS1_30default_config_static_selectorELNS0_4arch9wavefront6targetE1EEEvT1_.kd
    .uniform_work_group_size: 1
    .uses_dynamic_stack: false
    .vgpr_count:     0
    .vgpr_spill_count: 0
    .wavefront_size: 64
  - .agpr_count:     0
    .args:
      - .offset:         0
        .size:           40
        .value_kind:     by_value
    .group_segment_fixed_size: 0
    .kernarg_segment_align: 8
    .kernarg_segment_size: 40
    .language:       OpenCL C
    .language_version:
      - 2
      - 0
    .max_flat_workgroup_size: 256
    .name:           _ZN7rocprim17ROCPRIM_400000_NS6detail17trampoline_kernelINS0_14default_configENS1_20scan_config_selectorIxEEZZNS1_9scan_implILNS1_25lookback_scan_determinismE0ELb0ELb0ES3_N6thrust23THRUST_200600_302600_NS6detail15normal_iteratorINS9_10device_ptrIxEEEESE_x9plus_mod3IxExEEDaPvRmT3_T4_T5_mT6_P12ihipStream_tbENKUlT_T0_E_clISt17integral_constantIbLb0EESU_EEDaSP_SQ_EUlSP_E0_NS1_11comp_targetILNS1_3genE8ELNS1_11target_archE1030ELNS1_3gpuE2ELNS1_3repE0EEENS1_30default_config_static_selectorELNS0_4arch9wavefront6targetE1EEEvT1_
    .private_segment_fixed_size: 0
    .sgpr_count:     4
    .sgpr_spill_count: 0
    .symbol:         _ZN7rocprim17ROCPRIM_400000_NS6detail17trampoline_kernelINS0_14default_configENS1_20scan_config_selectorIxEEZZNS1_9scan_implILNS1_25lookback_scan_determinismE0ELb0ELb0ES3_N6thrust23THRUST_200600_302600_NS6detail15normal_iteratorINS9_10device_ptrIxEEEESE_x9plus_mod3IxExEEDaPvRmT3_T4_T5_mT6_P12ihipStream_tbENKUlT_T0_E_clISt17integral_constantIbLb0EESU_EEDaSP_SQ_EUlSP_E0_NS1_11comp_targetILNS1_3genE8ELNS1_11target_archE1030ELNS1_3gpuE2ELNS1_3repE0EEENS1_30default_config_static_selectorELNS0_4arch9wavefront6targetE1EEEvT1_.kd
    .uniform_work_group_size: 1
    .uses_dynamic_stack: false
    .vgpr_count:     0
    .vgpr_spill_count: 0
    .wavefront_size: 64
  - .agpr_count:     0
    .args:
      - .offset:         0
        .size:           104
        .value_kind:     by_value
    .group_segment_fixed_size: 0
    .kernarg_segment_align: 8
    .kernarg_segment_size: 104
    .language:       OpenCL C
    .language_version:
      - 2
      - 0
    .max_flat_workgroup_size: 256
    .name:           _ZN7rocprim17ROCPRIM_400000_NS6detail17trampoline_kernelINS0_14default_configENS1_20scan_config_selectorIxEEZZNS1_9scan_implILNS1_25lookback_scan_determinismE0ELb0ELb0ES3_N6thrust23THRUST_200600_302600_NS6detail15normal_iteratorINS9_10device_ptrIxEEEESE_x9plus_mod3IxExEEDaPvRmT3_T4_T5_mT6_P12ihipStream_tbENKUlT_T0_E_clISt17integral_constantIbLb1EESU_EEDaSP_SQ_EUlSP_E_NS1_11comp_targetILNS1_3genE0ELNS1_11target_archE4294967295ELNS1_3gpuE0ELNS1_3repE0EEENS1_30default_config_static_selectorELNS0_4arch9wavefront6targetE1EEEvT1_
    .private_segment_fixed_size: 0
    .sgpr_count:     4
    .sgpr_spill_count: 0
    .symbol:         _ZN7rocprim17ROCPRIM_400000_NS6detail17trampoline_kernelINS0_14default_configENS1_20scan_config_selectorIxEEZZNS1_9scan_implILNS1_25lookback_scan_determinismE0ELb0ELb0ES3_N6thrust23THRUST_200600_302600_NS6detail15normal_iteratorINS9_10device_ptrIxEEEESE_x9plus_mod3IxExEEDaPvRmT3_T4_T5_mT6_P12ihipStream_tbENKUlT_T0_E_clISt17integral_constantIbLb1EESU_EEDaSP_SQ_EUlSP_E_NS1_11comp_targetILNS1_3genE0ELNS1_11target_archE4294967295ELNS1_3gpuE0ELNS1_3repE0EEENS1_30default_config_static_selectorELNS0_4arch9wavefront6targetE1EEEvT1_.kd
    .uniform_work_group_size: 1
    .uses_dynamic_stack: false
    .vgpr_count:     0
    .vgpr_spill_count: 0
    .wavefront_size: 64
  - .agpr_count:     0
    .args:
      - .offset:         0
        .size:           104
        .value_kind:     by_value
    .group_segment_fixed_size: 0
    .kernarg_segment_align: 8
    .kernarg_segment_size: 104
    .language:       OpenCL C
    .language_version:
      - 2
      - 0
    .max_flat_workgroup_size: 256
    .name:           _ZN7rocprim17ROCPRIM_400000_NS6detail17trampoline_kernelINS0_14default_configENS1_20scan_config_selectorIxEEZZNS1_9scan_implILNS1_25lookback_scan_determinismE0ELb0ELb0ES3_N6thrust23THRUST_200600_302600_NS6detail15normal_iteratorINS9_10device_ptrIxEEEESE_x9plus_mod3IxExEEDaPvRmT3_T4_T5_mT6_P12ihipStream_tbENKUlT_T0_E_clISt17integral_constantIbLb1EESU_EEDaSP_SQ_EUlSP_E_NS1_11comp_targetILNS1_3genE5ELNS1_11target_archE942ELNS1_3gpuE9ELNS1_3repE0EEENS1_30default_config_static_selectorELNS0_4arch9wavefront6targetE1EEEvT1_
    .private_segment_fixed_size: 0
    .sgpr_count:     4
    .sgpr_spill_count: 0
    .symbol:         _ZN7rocprim17ROCPRIM_400000_NS6detail17trampoline_kernelINS0_14default_configENS1_20scan_config_selectorIxEEZZNS1_9scan_implILNS1_25lookback_scan_determinismE0ELb0ELb0ES3_N6thrust23THRUST_200600_302600_NS6detail15normal_iteratorINS9_10device_ptrIxEEEESE_x9plus_mod3IxExEEDaPvRmT3_T4_T5_mT6_P12ihipStream_tbENKUlT_T0_E_clISt17integral_constantIbLb1EESU_EEDaSP_SQ_EUlSP_E_NS1_11comp_targetILNS1_3genE5ELNS1_11target_archE942ELNS1_3gpuE9ELNS1_3repE0EEENS1_30default_config_static_selectorELNS0_4arch9wavefront6targetE1EEEvT1_.kd
    .uniform_work_group_size: 1
    .uses_dynamic_stack: false
    .vgpr_count:     0
    .vgpr_spill_count: 0
    .wavefront_size: 64
  - .agpr_count:     0
    .args:
      - .offset:         0
        .size:           104
        .value_kind:     by_value
    .group_segment_fixed_size: 7168
    .kernarg_segment_align: 8
    .kernarg_segment_size: 104
    .language:       OpenCL C
    .language_version:
      - 2
      - 0
    .max_flat_workgroup_size: 128
    .name:           _ZN7rocprim17ROCPRIM_400000_NS6detail17trampoline_kernelINS0_14default_configENS1_20scan_config_selectorIxEEZZNS1_9scan_implILNS1_25lookback_scan_determinismE0ELb0ELb0ES3_N6thrust23THRUST_200600_302600_NS6detail15normal_iteratorINS9_10device_ptrIxEEEESE_x9plus_mod3IxExEEDaPvRmT3_T4_T5_mT6_P12ihipStream_tbENKUlT_T0_E_clISt17integral_constantIbLb1EESU_EEDaSP_SQ_EUlSP_E_NS1_11comp_targetILNS1_3genE4ELNS1_11target_archE910ELNS1_3gpuE8ELNS1_3repE0EEENS1_30default_config_static_selectorELNS0_4arch9wavefront6targetE1EEEvT1_
    .private_segment_fixed_size: 0
    .sgpr_count:     48
    .sgpr_spill_count: 0
    .symbol:         _ZN7rocprim17ROCPRIM_400000_NS6detail17trampoline_kernelINS0_14default_configENS1_20scan_config_selectorIxEEZZNS1_9scan_implILNS1_25lookback_scan_determinismE0ELb0ELb0ES3_N6thrust23THRUST_200600_302600_NS6detail15normal_iteratorINS9_10device_ptrIxEEEESE_x9plus_mod3IxExEEDaPvRmT3_T4_T5_mT6_P12ihipStream_tbENKUlT_T0_E_clISt17integral_constantIbLb1EESU_EEDaSP_SQ_EUlSP_E_NS1_11comp_targetILNS1_3genE4ELNS1_11target_archE910ELNS1_3gpuE8ELNS1_3repE0EEENS1_30default_config_static_selectorELNS0_4arch9wavefront6targetE1EEEvT1_.kd
    .uniform_work_group_size: 1
    .uses_dynamic_stack: false
    .vgpr_count:     39
    .vgpr_spill_count: 0
    .wavefront_size: 64
  - .agpr_count:     0
    .args:
      - .offset:         0
        .size:           104
        .value_kind:     by_value
    .group_segment_fixed_size: 0
    .kernarg_segment_align: 8
    .kernarg_segment_size: 104
    .language:       OpenCL C
    .language_version:
      - 2
      - 0
    .max_flat_workgroup_size: 256
    .name:           _ZN7rocprim17ROCPRIM_400000_NS6detail17trampoline_kernelINS0_14default_configENS1_20scan_config_selectorIxEEZZNS1_9scan_implILNS1_25lookback_scan_determinismE0ELb0ELb0ES3_N6thrust23THRUST_200600_302600_NS6detail15normal_iteratorINS9_10device_ptrIxEEEESE_x9plus_mod3IxExEEDaPvRmT3_T4_T5_mT6_P12ihipStream_tbENKUlT_T0_E_clISt17integral_constantIbLb1EESU_EEDaSP_SQ_EUlSP_E_NS1_11comp_targetILNS1_3genE3ELNS1_11target_archE908ELNS1_3gpuE7ELNS1_3repE0EEENS1_30default_config_static_selectorELNS0_4arch9wavefront6targetE1EEEvT1_
    .private_segment_fixed_size: 0
    .sgpr_count:     4
    .sgpr_spill_count: 0
    .symbol:         _ZN7rocprim17ROCPRIM_400000_NS6detail17trampoline_kernelINS0_14default_configENS1_20scan_config_selectorIxEEZZNS1_9scan_implILNS1_25lookback_scan_determinismE0ELb0ELb0ES3_N6thrust23THRUST_200600_302600_NS6detail15normal_iteratorINS9_10device_ptrIxEEEESE_x9plus_mod3IxExEEDaPvRmT3_T4_T5_mT6_P12ihipStream_tbENKUlT_T0_E_clISt17integral_constantIbLb1EESU_EEDaSP_SQ_EUlSP_E_NS1_11comp_targetILNS1_3genE3ELNS1_11target_archE908ELNS1_3gpuE7ELNS1_3repE0EEENS1_30default_config_static_selectorELNS0_4arch9wavefront6targetE1EEEvT1_.kd
    .uniform_work_group_size: 1
    .uses_dynamic_stack: false
    .vgpr_count:     0
    .vgpr_spill_count: 0
    .wavefront_size: 64
  - .agpr_count:     0
    .args:
      - .offset:         0
        .size:           104
        .value_kind:     by_value
    .group_segment_fixed_size: 0
    .kernarg_segment_align: 8
    .kernarg_segment_size: 104
    .language:       OpenCL C
    .language_version:
      - 2
      - 0
    .max_flat_workgroup_size: 64
    .name:           _ZN7rocprim17ROCPRIM_400000_NS6detail17trampoline_kernelINS0_14default_configENS1_20scan_config_selectorIxEEZZNS1_9scan_implILNS1_25lookback_scan_determinismE0ELb0ELb0ES3_N6thrust23THRUST_200600_302600_NS6detail15normal_iteratorINS9_10device_ptrIxEEEESE_x9plus_mod3IxExEEDaPvRmT3_T4_T5_mT6_P12ihipStream_tbENKUlT_T0_E_clISt17integral_constantIbLb1EESU_EEDaSP_SQ_EUlSP_E_NS1_11comp_targetILNS1_3genE2ELNS1_11target_archE906ELNS1_3gpuE6ELNS1_3repE0EEENS1_30default_config_static_selectorELNS0_4arch9wavefront6targetE1EEEvT1_
    .private_segment_fixed_size: 0
    .sgpr_count:     4
    .sgpr_spill_count: 0
    .symbol:         _ZN7rocprim17ROCPRIM_400000_NS6detail17trampoline_kernelINS0_14default_configENS1_20scan_config_selectorIxEEZZNS1_9scan_implILNS1_25lookback_scan_determinismE0ELb0ELb0ES3_N6thrust23THRUST_200600_302600_NS6detail15normal_iteratorINS9_10device_ptrIxEEEESE_x9plus_mod3IxExEEDaPvRmT3_T4_T5_mT6_P12ihipStream_tbENKUlT_T0_E_clISt17integral_constantIbLb1EESU_EEDaSP_SQ_EUlSP_E_NS1_11comp_targetILNS1_3genE2ELNS1_11target_archE906ELNS1_3gpuE6ELNS1_3repE0EEENS1_30default_config_static_selectorELNS0_4arch9wavefront6targetE1EEEvT1_.kd
    .uniform_work_group_size: 1
    .uses_dynamic_stack: false
    .vgpr_count:     0
    .vgpr_spill_count: 0
    .wavefront_size: 64
  - .agpr_count:     0
    .args:
      - .offset:         0
        .size:           104
        .value_kind:     by_value
    .group_segment_fixed_size: 0
    .kernarg_segment_align: 8
    .kernarg_segment_size: 104
    .language:       OpenCL C
    .language_version:
      - 2
      - 0
    .max_flat_workgroup_size: 256
    .name:           _ZN7rocprim17ROCPRIM_400000_NS6detail17trampoline_kernelINS0_14default_configENS1_20scan_config_selectorIxEEZZNS1_9scan_implILNS1_25lookback_scan_determinismE0ELb0ELb0ES3_N6thrust23THRUST_200600_302600_NS6detail15normal_iteratorINS9_10device_ptrIxEEEESE_x9plus_mod3IxExEEDaPvRmT3_T4_T5_mT6_P12ihipStream_tbENKUlT_T0_E_clISt17integral_constantIbLb1EESU_EEDaSP_SQ_EUlSP_E_NS1_11comp_targetILNS1_3genE10ELNS1_11target_archE1201ELNS1_3gpuE5ELNS1_3repE0EEENS1_30default_config_static_selectorELNS0_4arch9wavefront6targetE1EEEvT1_
    .private_segment_fixed_size: 0
    .sgpr_count:     4
    .sgpr_spill_count: 0
    .symbol:         _ZN7rocprim17ROCPRIM_400000_NS6detail17trampoline_kernelINS0_14default_configENS1_20scan_config_selectorIxEEZZNS1_9scan_implILNS1_25lookback_scan_determinismE0ELb0ELb0ES3_N6thrust23THRUST_200600_302600_NS6detail15normal_iteratorINS9_10device_ptrIxEEEESE_x9plus_mod3IxExEEDaPvRmT3_T4_T5_mT6_P12ihipStream_tbENKUlT_T0_E_clISt17integral_constantIbLb1EESU_EEDaSP_SQ_EUlSP_E_NS1_11comp_targetILNS1_3genE10ELNS1_11target_archE1201ELNS1_3gpuE5ELNS1_3repE0EEENS1_30default_config_static_selectorELNS0_4arch9wavefront6targetE1EEEvT1_.kd
    .uniform_work_group_size: 1
    .uses_dynamic_stack: false
    .vgpr_count:     0
    .vgpr_spill_count: 0
    .wavefront_size: 64
  - .agpr_count:     0
    .args:
      - .offset:         0
        .size:           104
        .value_kind:     by_value
    .group_segment_fixed_size: 0
    .kernarg_segment_align: 8
    .kernarg_segment_size: 104
    .language:       OpenCL C
    .language_version:
      - 2
      - 0
    .max_flat_workgroup_size: 256
    .name:           _ZN7rocprim17ROCPRIM_400000_NS6detail17trampoline_kernelINS0_14default_configENS1_20scan_config_selectorIxEEZZNS1_9scan_implILNS1_25lookback_scan_determinismE0ELb0ELb0ES3_N6thrust23THRUST_200600_302600_NS6detail15normal_iteratorINS9_10device_ptrIxEEEESE_x9plus_mod3IxExEEDaPvRmT3_T4_T5_mT6_P12ihipStream_tbENKUlT_T0_E_clISt17integral_constantIbLb1EESU_EEDaSP_SQ_EUlSP_E_NS1_11comp_targetILNS1_3genE10ELNS1_11target_archE1200ELNS1_3gpuE4ELNS1_3repE0EEENS1_30default_config_static_selectorELNS0_4arch9wavefront6targetE1EEEvT1_
    .private_segment_fixed_size: 0
    .sgpr_count:     4
    .sgpr_spill_count: 0
    .symbol:         _ZN7rocprim17ROCPRIM_400000_NS6detail17trampoline_kernelINS0_14default_configENS1_20scan_config_selectorIxEEZZNS1_9scan_implILNS1_25lookback_scan_determinismE0ELb0ELb0ES3_N6thrust23THRUST_200600_302600_NS6detail15normal_iteratorINS9_10device_ptrIxEEEESE_x9plus_mod3IxExEEDaPvRmT3_T4_T5_mT6_P12ihipStream_tbENKUlT_T0_E_clISt17integral_constantIbLb1EESU_EEDaSP_SQ_EUlSP_E_NS1_11comp_targetILNS1_3genE10ELNS1_11target_archE1200ELNS1_3gpuE4ELNS1_3repE0EEENS1_30default_config_static_selectorELNS0_4arch9wavefront6targetE1EEEvT1_.kd
    .uniform_work_group_size: 1
    .uses_dynamic_stack: false
    .vgpr_count:     0
    .vgpr_spill_count: 0
    .wavefront_size: 64
  - .agpr_count:     0
    .args:
      - .offset:         0
        .size:           104
        .value_kind:     by_value
    .group_segment_fixed_size: 0
    .kernarg_segment_align: 8
    .kernarg_segment_size: 104
    .language:       OpenCL C
    .language_version:
      - 2
      - 0
    .max_flat_workgroup_size: 256
    .name:           _ZN7rocprim17ROCPRIM_400000_NS6detail17trampoline_kernelINS0_14default_configENS1_20scan_config_selectorIxEEZZNS1_9scan_implILNS1_25lookback_scan_determinismE0ELb0ELb0ES3_N6thrust23THRUST_200600_302600_NS6detail15normal_iteratorINS9_10device_ptrIxEEEESE_x9plus_mod3IxExEEDaPvRmT3_T4_T5_mT6_P12ihipStream_tbENKUlT_T0_E_clISt17integral_constantIbLb1EESU_EEDaSP_SQ_EUlSP_E_NS1_11comp_targetILNS1_3genE9ELNS1_11target_archE1100ELNS1_3gpuE3ELNS1_3repE0EEENS1_30default_config_static_selectorELNS0_4arch9wavefront6targetE1EEEvT1_
    .private_segment_fixed_size: 0
    .sgpr_count:     4
    .sgpr_spill_count: 0
    .symbol:         _ZN7rocprim17ROCPRIM_400000_NS6detail17trampoline_kernelINS0_14default_configENS1_20scan_config_selectorIxEEZZNS1_9scan_implILNS1_25lookback_scan_determinismE0ELb0ELb0ES3_N6thrust23THRUST_200600_302600_NS6detail15normal_iteratorINS9_10device_ptrIxEEEESE_x9plus_mod3IxExEEDaPvRmT3_T4_T5_mT6_P12ihipStream_tbENKUlT_T0_E_clISt17integral_constantIbLb1EESU_EEDaSP_SQ_EUlSP_E_NS1_11comp_targetILNS1_3genE9ELNS1_11target_archE1100ELNS1_3gpuE3ELNS1_3repE0EEENS1_30default_config_static_selectorELNS0_4arch9wavefront6targetE1EEEvT1_.kd
    .uniform_work_group_size: 1
    .uses_dynamic_stack: false
    .vgpr_count:     0
    .vgpr_spill_count: 0
    .wavefront_size: 64
  - .agpr_count:     0
    .args:
      - .offset:         0
        .size:           104
        .value_kind:     by_value
    .group_segment_fixed_size: 0
    .kernarg_segment_align: 8
    .kernarg_segment_size: 104
    .language:       OpenCL C
    .language_version:
      - 2
      - 0
    .max_flat_workgroup_size: 256
    .name:           _ZN7rocprim17ROCPRIM_400000_NS6detail17trampoline_kernelINS0_14default_configENS1_20scan_config_selectorIxEEZZNS1_9scan_implILNS1_25lookback_scan_determinismE0ELb0ELb0ES3_N6thrust23THRUST_200600_302600_NS6detail15normal_iteratorINS9_10device_ptrIxEEEESE_x9plus_mod3IxExEEDaPvRmT3_T4_T5_mT6_P12ihipStream_tbENKUlT_T0_E_clISt17integral_constantIbLb1EESU_EEDaSP_SQ_EUlSP_E_NS1_11comp_targetILNS1_3genE8ELNS1_11target_archE1030ELNS1_3gpuE2ELNS1_3repE0EEENS1_30default_config_static_selectorELNS0_4arch9wavefront6targetE1EEEvT1_
    .private_segment_fixed_size: 0
    .sgpr_count:     4
    .sgpr_spill_count: 0
    .symbol:         _ZN7rocprim17ROCPRIM_400000_NS6detail17trampoline_kernelINS0_14default_configENS1_20scan_config_selectorIxEEZZNS1_9scan_implILNS1_25lookback_scan_determinismE0ELb0ELb0ES3_N6thrust23THRUST_200600_302600_NS6detail15normal_iteratorINS9_10device_ptrIxEEEESE_x9plus_mod3IxExEEDaPvRmT3_T4_T5_mT6_P12ihipStream_tbENKUlT_T0_E_clISt17integral_constantIbLb1EESU_EEDaSP_SQ_EUlSP_E_NS1_11comp_targetILNS1_3genE8ELNS1_11target_archE1030ELNS1_3gpuE2ELNS1_3repE0EEENS1_30default_config_static_selectorELNS0_4arch9wavefront6targetE1EEEvT1_.kd
    .uniform_work_group_size: 1
    .uses_dynamic_stack: false
    .vgpr_count:     0
    .vgpr_spill_count: 0
    .wavefront_size: 64
  - .agpr_count:     0
    .args:
      - .offset:         0
        .size:           40
        .value_kind:     by_value
    .group_segment_fixed_size: 0
    .kernarg_segment_align: 8
    .kernarg_segment_size: 40
    .language:       OpenCL C
    .language_version:
      - 2
      - 0
    .max_flat_workgroup_size: 256
    .name:           _ZN7rocprim17ROCPRIM_400000_NS6detail17trampoline_kernelINS0_14default_configENS1_20scan_config_selectorIxEEZZNS1_9scan_implILNS1_25lookback_scan_determinismE0ELb0ELb0ES3_N6thrust23THRUST_200600_302600_NS6detail15normal_iteratorINS9_10device_ptrIxEEEESE_x9plus_mod3IxExEEDaPvRmT3_T4_T5_mT6_P12ihipStream_tbENKUlT_T0_E_clISt17integral_constantIbLb1EESU_EEDaSP_SQ_EUlSP_E0_NS1_11comp_targetILNS1_3genE0ELNS1_11target_archE4294967295ELNS1_3gpuE0ELNS1_3repE0EEENS1_30default_config_static_selectorELNS0_4arch9wavefront6targetE1EEEvT1_
    .private_segment_fixed_size: 0
    .sgpr_count:     4
    .sgpr_spill_count: 0
    .symbol:         _ZN7rocprim17ROCPRIM_400000_NS6detail17trampoline_kernelINS0_14default_configENS1_20scan_config_selectorIxEEZZNS1_9scan_implILNS1_25lookback_scan_determinismE0ELb0ELb0ES3_N6thrust23THRUST_200600_302600_NS6detail15normal_iteratorINS9_10device_ptrIxEEEESE_x9plus_mod3IxExEEDaPvRmT3_T4_T5_mT6_P12ihipStream_tbENKUlT_T0_E_clISt17integral_constantIbLb1EESU_EEDaSP_SQ_EUlSP_E0_NS1_11comp_targetILNS1_3genE0ELNS1_11target_archE4294967295ELNS1_3gpuE0ELNS1_3repE0EEENS1_30default_config_static_selectorELNS0_4arch9wavefront6targetE1EEEvT1_.kd
    .uniform_work_group_size: 1
    .uses_dynamic_stack: false
    .vgpr_count:     0
    .vgpr_spill_count: 0
    .wavefront_size: 64
  - .agpr_count:     0
    .args:
      - .offset:         0
        .size:           40
        .value_kind:     by_value
    .group_segment_fixed_size: 0
    .kernarg_segment_align: 8
    .kernarg_segment_size: 40
    .language:       OpenCL C
    .language_version:
      - 2
      - 0
    .max_flat_workgroup_size: 256
    .name:           _ZN7rocprim17ROCPRIM_400000_NS6detail17trampoline_kernelINS0_14default_configENS1_20scan_config_selectorIxEEZZNS1_9scan_implILNS1_25lookback_scan_determinismE0ELb0ELb0ES3_N6thrust23THRUST_200600_302600_NS6detail15normal_iteratorINS9_10device_ptrIxEEEESE_x9plus_mod3IxExEEDaPvRmT3_T4_T5_mT6_P12ihipStream_tbENKUlT_T0_E_clISt17integral_constantIbLb1EESU_EEDaSP_SQ_EUlSP_E0_NS1_11comp_targetILNS1_3genE5ELNS1_11target_archE942ELNS1_3gpuE9ELNS1_3repE0EEENS1_30default_config_static_selectorELNS0_4arch9wavefront6targetE1EEEvT1_
    .private_segment_fixed_size: 0
    .sgpr_count:     4
    .sgpr_spill_count: 0
    .symbol:         _ZN7rocprim17ROCPRIM_400000_NS6detail17trampoline_kernelINS0_14default_configENS1_20scan_config_selectorIxEEZZNS1_9scan_implILNS1_25lookback_scan_determinismE0ELb0ELb0ES3_N6thrust23THRUST_200600_302600_NS6detail15normal_iteratorINS9_10device_ptrIxEEEESE_x9plus_mod3IxExEEDaPvRmT3_T4_T5_mT6_P12ihipStream_tbENKUlT_T0_E_clISt17integral_constantIbLb1EESU_EEDaSP_SQ_EUlSP_E0_NS1_11comp_targetILNS1_3genE5ELNS1_11target_archE942ELNS1_3gpuE9ELNS1_3repE0EEENS1_30default_config_static_selectorELNS0_4arch9wavefront6targetE1EEEvT1_.kd
    .uniform_work_group_size: 1
    .uses_dynamic_stack: false
    .vgpr_count:     0
    .vgpr_spill_count: 0
    .wavefront_size: 64
  - .agpr_count:     0
    .args:
      - .offset:         0
        .size:           40
        .value_kind:     by_value
    .group_segment_fixed_size: 7168
    .kernarg_segment_align: 8
    .kernarg_segment_size: 40
    .language:       OpenCL C
    .language_version:
      - 2
      - 0
    .max_flat_workgroup_size: 128
    .name:           _ZN7rocprim17ROCPRIM_400000_NS6detail17trampoline_kernelINS0_14default_configENS1_20scan_config_selectorIxEEZZNS1_9scan_implILNS1_25lookback_scan_determinismE0ELb0ELb0ES3_N6thrust23THRUST_200600_302600_NS6detail15normal_iteratorINS9_10device_ptrIxEEEESE_x9plus_mod3IxExEEDaPvRmT3_T4_T5_mT6_P12ihipStream_tbENKUlT_T0_E_clISt17integral_constantIbLb1EESU_EEDaSP_SQ_EUlSP_E0_NS1_11comp_targetILNS1_3genE4ELNS1_11target_archE910ELNS1_3gpuE8ELNS1_3repE0EEENS1_30default_config_static_selectorELNS0_4arch9wavefront6targetE1EEEvT1_
    .private_segment_fixed_size: 0
    .sgpr_count:     28
    .sgpr_spill_count: 0
    .symbol:         _ZN7rocprim17ROCPRIM_400000_NS6detail17trampoline_kernelINS0_14default_configENS1_20scan_config_selectorIxEEZZNS1_9scan_implILNS1_25lookback_scan_determinismE0ELb0ELb0ES3_N6thrust23THRUST_200600_302600_NS6detail15normal_iteratorINS9_10device_ptrIxEEEESE_x9plus_mod3IxExEEDaPvRmT3_T4_T5_mT6_P12ihipStream_tbENKUlT_T0_E_clISt17integral_constantIbLb1EESU_EEDaSP_SQ_EUlSP_E0_NS1_11comp_targetILNS1_3genE4ELNS1_11target_archE910ELNS1_3gpuE8ELNS1_3repE0EEENS1_30default_config_static_selectorELNS0_4arch9wavefront6targetE1EEEvT1_.kd
    .uniform_work_group_size: 1
    .uses_dynamic_stack: false
    .vgpr_count:     27
    .vgpr_spill_count: 0
    .wavefront_size: 64
  - .agpr_count:     0
    .args:
      - .offset:         0
        .size:           40
        .value_kind:     by_value
    .group_segment_fixed_size: 0
    .kernarg_segment_align: 8
    .kernarg_segment_size: 40
    .language:       OpenCL C
    .language_version:
      - 2
      - 0
    .max_flat_workgroup_size: 256
    .name:           _ZN7rocprim17ROCPRIM_400000_NS6detail17trampoline_kernelINS0_14default_configENS1_20scan_config_selectorIxEEZZNS1_9scan_implILNS1_25lookback_scan_determinismE0ELb0ELb0ES3_N6thrust23THRUST_200600_302600_NS6detail15normal_iteratorINS9_10device_ptrIxEEEESE_x9plus_mod3IxExEEDaPvRmT3_T4_T5_mT6_P12ihipStream_tbENKUlT_T0_E_clISt17integral_constantIbLb1EESU_EEDaSP_SQ_EUlSP_E0_NS1_11comp_targetILNS1_3genE3ELNS1_11target_archE908ELNS1_3gpuE7ELNS1_3repE0EEENS1_30default_config_static_selectorELNS0_4arch9wavefront6targetE1EEEvT1_
    .private_segment_fixed_size: 0
    .sgpr_count:     4
    .sgpr_spill_count: 0
    .symbol:         _ZN7rocprim17ROCPRIM_400000_NS6detail17trampoline_kernelINS0_14default_configENS1_20scan_config_selectorIxEEZZNS1_9scan_implILNS1_25lookback_scan_determinismE0ELb0ELb0ES3_N6thrust23THRUST_200600_302600_NS6detail15normal_iteratorINS9_10device_ptrIxEEEESE_x9plus_mod3IxExEEDaPvRmT3_T4_T5_mT6_P12ihipStream_tbENKUlT_T0_E_clISt17integral_constantIbLb1EESU_EEDaSP_SQ_EUlSP_E0_NS1_11comp_targetILNS1_3genE3ELNS1_11target_archE908ELNS1_3gpuE7ELNS1_3repE0EEENS1_30default_config_static_selectorELNS0_4arch9wavefront6targetE1EEEvT1_.kd
    .uniform_work_group_size: 1
    .uses_dynamic_stack: false
    .vgpr_count:     0
    .vgpr_spill_count: 0
    .wavefront_size: 64
  - .agpr_count:     0
    .args:
      - .offset:         0
        .size:           40
        .value_kind:     by_value
    .group_segment_fixed_size: 0
    .kernarg_segment_align: 8
    .kernarg_segment_size: 40
    .language:       OpenCL C
    .language_version:
      - 2
      - 0
    .max_flat_workgroup_size: 64
    .name:           _ZN7rocprim17ROCPRIM_400000_NS6detail17trampoline_kernelINS0_14default_configENS1_20scan_config_selectorIxEEZZNS1_9scan_implILNS1_25lookback_scan_determinismE0ELb0ELb0ES3_N6thrust23THRUST_200600_302600_NS6detail15normal_iteratorINS9_10device_ptrIxEEEESE_x9plus_mod3IxExEEDaPvRmT3_T4_T5_mT6_P12ihipStream_tbENKUlT_T0_E_clISt17integral_constantIbLb1EESU_EEDaSP_SQ_EUlSP_E0_NS1_11comp_targetILNS1_3genE2ELNS1_11target_archE906ELNS1_3gpuE6ELNS1_3repE0EEENS1_30default_config_static_selectorELNS0_4arch9wavefront6targetE1EEEvT1_
    .private_segment_fixed_size: 0
    .sgpr_count:     4
    .sgpr_spill_count: 0
    .symbol:         _ZN7rocprim17ROCPRIM_400000_NS6detail17trampoline_kernelINS0_14default_configENS1_20scan_config_selectorIxEEZZNS1_9scan_implILNS1_25lookback_scan_determinismE0ELb0ELb0ES3_N6thrust23THRUST_200600_302600_NS6detail15normal_iteratorINS9_10device_ptrIxEEEESE_x9plus_mod3IxExEEDaPvRmT3_T4_T5_mT6_P12ihipStream_tbENKUlT_T0_E_clISt17integral_constantIbLb1EESU_EEDaSP_SQ_EUlSP_E0_NS1_11comp_targetILNS1_3genE2ELNS1_11target_archE906ELNS1_3gpuE6ELNS1_3repE0EEENS1_30default_config_static_selectorELNS0_4arch9wavefront6targetE1EEEvT1_.kd
    .uniform_work_group_size: 1
    .uses_dynamic_stack: false
    .vgpr_count:     0
    .vgpr_spill_count: 0
    .wavefront_size: 64
  - .agpr_count:     0
    .args:
      - .offset:         0
        .size:           40
        .value_kind:     by_value
    .group_segment_fixed_size: 0
    .kernarg_segment_align: 8
    .kernarg_segment_size: 40
    .language:       OpenCL C
    .language_version:
      - 2
      - 0
    .max_flat_workgroup_size: 256
    .name:           _ZN7rocprim17ROCPRIM_400000_NS6detail17trampoline_kernelINS0_14default_configENS1_20scan_config_selectorIxEEZZNS1_9scan_implILNS1_25lookback_scan_determinismE0ELb0ELb0ES3_N6thrust23THRUST_200600_302600_NS6detail15normal_iteratorINS9_10device_ptrIxEEEESE_x9plus_mod3IxExEEDaPvRmT3_T4_T5_mT6_P12ihipStream_tbENKUlT_T0_E_clISt17integral_constantIbLb1EESU_EEDaSP_SQ_EUlSP_E0_NS1_11comp_targetILNS1_3genE10ELNS1_11target_archE1201ELNS1_3gpuE5ELNS1_3repE0EEENS1_30default_config_static_selectorELNS0_4arch9wavefront6targetE1EEEvT1_
    .private_segment_fixed_size: 0
    .sgpr_count:     4
    .sgpr_spill_count: 0
    .symbol:         _ZN7rocprim17ROCPRIM_400000_NS6detail17trampoline_kernelINS0_14default_configENS1_20scan_config_selectorIxEEZZNS1_9scan_implILNS1_25lookback_scan_determinismE0ELb0ELb0ES3_N6thrust23THRUST_200600_302600_NS6detail15normal_iteratorINS9_10device_ptrIxEEEESE_x9plus_mod3IxExEEDaPvRmT3_T4_T5_mT6_P12ihipStream_tbENKUlT_T0_E_clISt17integral_constantIbLb1EESU_EEDaSP_SQ_EUlSP_E0_NS1_11comp_targetILNS1_3genE10ELNS1_11target_archE1201ELNS1_3gpuE5ELNS1_3repE0EEENS1_30default_config_static_selectorELNS0_4arch9wavefront6targetE1EEEvT1_.kd
    .uniform_work_group_size: 1
    .uses_dynamic_stack: false
    .vgpr_count:     0
    .vgpr_spill_count: 0
    .wavefront_size: 64
  - .agpr_count:     0
    .args:
      - .offset:         0
        .size:           40
        .value_kind:     by_value
    .group_segment_fixed_size: 0
    .kernarg_segment_align: 8
    .kernarg_segment_size: 40
    .language:       OpenCL C
    .language_version:
      - 2
      - 0
    .max_flat_workgroup_size: 256
    .name:           _ZN7rocprim17ROCPRIM_400000_NS6detail17trampoline_kernelINS0_14default_configENS1_20scan_config_selectorIxEEZZNS1_9scan_implILNS1_25lookback_scan_determinismE0ELb0ELb0ES3_N6thrust23THRUST_200600_302600_NS6detail15normal_iteratorINS9_10device_ptrIxEEEESE_x9plus_mod3IxExEEDaPvRmT3_T4_T5_mT6_P12ihipStream_tbENKUlT_T0_E_clISt17integral_constantIbLb1EESU_EEDaSP_SQ_EUlSP_E0_NS1_11comp_targetILNS1_3genE10ELNS1_11target_archE1200ELNS1_3gpuE4ELNS1_3repE0EEENS1_30default_config_static_selectorELNS0_4arch9wavefront6targetE1EEEvT1_
    .private_segment_fixed_size: 0
    .sgpr_count:     4
    .sgpr_spill_count: 0
    .symbol:         _ZN7rocprim17ROCPRIM_400000_NS6detail17trampoline_kernelINS0_14default_configENS1_20scan_config_selectorIxEEZZNS1_9scan_implILNS1_25lookback_scan_determinismE0ELb0ELb0ES3_N6thrust23THRUST_200600_302600_NS6detail15normal_iteratorINS9_10device_ptrIxEEEESE_x9plus_mod3IxExEEDaPvRmT3_T4_T5_mT6_P12ihipStream_tbENKUlT_T0_E_clISt17integral_constantIbLb1EESU_EEDaSP_SQ_EUlSP_E0_NS1_11comp_targetILNS1_3genE10ELNS1_11target_archE1200ELNS1_3gpuE4ELNS1_3repE0EEENS1_30default_config_static_selectorELNS0_4arch9wavefront6targetE1EEEvT1_.kd
    .uniform_work_group_size: 1
    .uses_dynamic_stack: false
    .vgpr_count:     0
    .vgpr_spill_count: 0
    .wavefront_size: 64
  - .agpr_count:     0
    .args:
      - .offset:         0
        .size:           40
        .value_kind:     by_value
    .group_segment_fixed_size: 0
    .kernarg_segment_align: 8
    .kernarg_segment_size: 40
    .language:       OpenCL C
    .language_version:
      - 2
      - 0
    .max_flat_workgroup_size: 256
    .name:           _ZN7rocprim17ROCPRIM_400000_NS6detail17trampoline_kernelINS0_14default_configENS1_20scan_config_selectorIxEEZZNS1_9scan_implILNS1_25lookback_scan_determinismE0ELb0ELb0ES3_N6thrust23THRUST_200600_302600_NS6detail15normal_iteratorINS9_10device_ptrIxEEEESE_x9plus_mod3IxExEEDaPvRmT3_T4_T5_mT6_P12ihipStream_tbENKUlT_T0_E_clISt17integral_constantIbLb1EESU_EEDaSP_SQ_EUlSP_E0_NS1_11comp_targetILNS1_3genE9ELNS1_11target_archE1100ELNS1_3gpuE3ELNS1_3repE0EEENS1_30default_config_static_selectorELNS0_4arch9wavefront6targetE1EEEvT1_
    .private_segment_fixed_size: 0
    .sgpr_count:     4
    .sgpr_spill_count: 0
    .symbol:         _ZN7rocprim17ROCPRIM_400000_NS6detail17trampoline_kernelINS0_14default_configENS1_20scan_config_selectorIxEEZZNS1_9scan_implILNS1_25lookback_scan_determinismE0ELb0ELb0ES3_N6thrust23THRUST_200600_302600_NS6detail15normal_iteratorINS9_10device_ptrIxEEEESE_x9plus_mod3IxExEEDaPvRmT3_T4_T5_mT6_P12ihipStream_tbENKUlT_T0_E_clISt17integral_constantIbLb1EESU_EEDaSP_SQ_EUlSP_E0_NS1_11comp_targetILNS1_3genE9ELNS1_11target_archE1100ELNS1_3gpuE3ELNS1_3repE0EEENS1_30default_config_static_selectorELNS0_4arch9wavefront6targetE1EEEvT1_.kd
    .uniform_work_group_size: 1
    .uses_dynamic_stack: false
    .vgpr_count:     0
    .vgpr_spill_count: 0
    .wavefront_size: 64
  - .agpr_count:     0
    .args:
      - .offset:         0
        .size:           40
        .value_kind:     by_value
    .group_segment_fixed_size: 0
    .kernarg_segment_align: 8
    .kernarg_segment_size: 40
    .language:       OpenCL C
    .language_version:
      - 2
      - 0
    .max_flat_workgroup_size: 256
    .name:           _ZN7rocprim17ROCPRIM_400000_NS6detail17trampoline_kernelINS0_14default_configENS1_20scan_config_selectorIxEEZZNS1_9scan_implILNS1_25lookback_scan_determinismE0ELb0ELb0ES3_N6thrust23THRUST_200600_302600_NS6detail15normal_iteratorINS9_10device_ptrIxEEEESE_x9plus_mod3IxExEEDaPvRmT3_T4_T5_mT6_P12ihipStream_tbENKUlT_T0_E_clISt17integral_constantIbLb1EESU_EEDaSP_SQ_EUlSP_E0_NS1_11comp_targetILNS1_3genE8ELNS1_11target_archE1030ELNS1_3gpuE2ELNS1_3repE0EEENS1_30default_config_static_selectorELNS0_4arch9wavefront6targetE1EEEvT1_
    .private_segment_fixed_size: 0
    .sgpr_count:     4
    .sgpr_spill_count: 0
    .symbol:         _ZN7rocprim17ROCPRIM_400000_NS6detail17trampoline_kernelINS0_14default_configENS1_20scan_config_selectorIxEEZZNS1_9scan_implILNS1_25lookback_scan_determinismE0ELb0ELb0ES3_N6thrust23THRUST_200600_302600_NS6detail15normal_iteratorINS9_10device_ptrIxEEEESE_x9plus_mod3IxExEEDaPvRmT3_T4_T5_mT6_P12ihipStream_tbENKUlT_T0_E_clISt17integral_constantIbLb1EESU_EEDaSP_SQ_EUlSP_E0_NS1_11comp_targetILNS1_3genE8ELNS1_11target_archE1030ELNS1_3gpuE2ELNS1_3repE0EEENS1_30default_config_static_selectorELNS0_4arch9wavefront6targetE1EEEvT1_.kd
    .uniform_work_group_size: 1
    .uses_dynamic_stack: false
    .vgpr_count:     0
    .vgpr_spill_count: 0
    .wavefront_size: 64
  - .agpr_count:     0
    .args:
      - .offset:         0
        .size:           104
        .value_kind:     by_value
    .group_segment_fixed_size: 0
    .kernarg_segment_align: 8
    .kernarg_segment_size: 104
    .language:       OpenCL C
    .language_version:
      - 2
      - 0
    .max_flat_workgroup_size: 256
    .name:           _ZN7rocprim17ROCPRIM_400000_NS6detail17trampoline_kernelINS0_14default_configENS1_20scan_config_selectorIxEEZZNS1_9scan_implILNS1_25lookback_scan_determinismE0ELb0ELb0ES3_N6thrust23THRUST_200600_302600_NS6detail15normal_iteratorINS9_10device_ptrIxEEEESE_x9plus_mod3IxExEEDaPvRmT3_T4_T5_mT6_P12ihipStream_tbENKUlT_T0_E_clISt17integral_constantIbLb1EEST_IbLb0EEEEDaSP_SQ_EUlSP_E_NS1_11comp_targetILNS1_3genE0ELNS1_11target_archE4294967295ELNS1_3gpuE0ELNS1_3repE0EEENS1_30default_config_static_selectorELNS0_4arch9wavefront6targetE1EEEvT1_
    .private_segment_fixed_size: 0
    .sgpr_count:     4
    .sgpr_spill_count: 0
    .symbol:         _ZN7rocprim17ROCPRIM_400000_NS6detail17trampoline_kernelINS0_14default_configENS1_20scan_config_selectorIxEEZZNS1_9scan_implILNS1_25lookback_scan_determinismE0ELb0ELb0ES3_N6thrust23THRUST_200600_302600_NS6detail15normal_iteratorINS9_10device_ptrIxEEEESE_x9plus_mod3IxExEEDaPvRmT3_T4_T5_mT6_P12ihipStream_tbENKUlT_T0_E_clISt17integral_constantIbLb1EEST_IbLb0EEEEDaSP_SQ_EUlSP_E_NS1_11comp_targetILNS1_3genE0ELNS1_11target_archE4294967295ELNS1_3gpuE0ELNS1_3repE0EEENS1_30default_config_static_selectorELNS0_4arch9wavefront6targetE1EEEvT1_.kd
    .uniform_work_group_size: 1
    .uses_dynamic_stack: false
    .vgpr_count:     0
    .vgpr_spill_count: 0
    .wavefront_size: 64
  - .agpr_count:     0
    .args:
      - .offset:         0
        .size:           104
        .value_kind:     by_value
    .group_segment_fixed_size: 0
    .kernarg_segment_align: 8
    .kernarg_segment_size: 104
    .language:       OpenCL C
    .language_version:
      - 2
      - 0
    .max_flat_workgroup_size: 256
    .name:           _ZN7rocprim17ROCPRIM_400000_NS6detail17trampoline_kernelINS0_14default_configENS1_20scan_config_selectorIxEEZZNS1_9scan_implILNS1_25lookback_scan_determinismE0ELb0ELb0ES3_N6thrust23THRUST_200600_302600_NS6detail15normal_iteratorINS9_10device_ptrIxEEEESE_x9plus_mod3IxExEEDaPvRmT3_T4_T5_mT6_P12ihipStream_tbENKUlT_T0_E_clISt17integral_constantIbLb1EEST_IbLb0EEEEDaSP_SQ_EUlSP_E_NS1_11comp_targetILNS1_3genE5ELNS1_11target_archE942ELNS1_3gpuE9ELNS1_3repE0EEENS1_30default_config_static_selectorELNS0_4arch9wavefront6targetE1EEEvT1_
    .private_segment_fixed_size: 0
    .sgpr_count:     4
    .sgpr_spill_count: 0
    .symbol:         _ZN7rocprim17ROCPRIM_400000_NS6detail17trampoline_kernelINS0_14default_configENS1_20scan_config_selectorIxEEZZNS1_9scan_implILNS1_25lookback_scan_determinismE0ELb0ELb0ES3_N6thrust23THRUST_200600_302600_NS6detail15normal_iteratorINS9_10device_ptrIxEEEESE_x9plus_mod3IxExEEDaPvRmT3_T4_T5_mT6_P12ihipStream_tbENKUlT_T0_E_clISt17integral_constantIbLb1EEST_IbLb0EEEEDaSP_SQ_EUlSP_E_NS1_11comp_targetILNS1_3genE5ELNS1_11target_archE942ELNS1_3gpuE9ELNS1_3repE0EEENS1_30default_config_static_selectorELNS0_4arch9wavefront6targetE1EEEvT1_.kd
    .uniform_work_group_size: 1
    .uses_dynamic_stack: false
    .vgpr_count:     0
    .vgpr_spill_count: 0
    .wavefront_size: 64
  - .agpr_count:     0
    .args:
      - .offset:         0
        .size:           104
        .value_kind:     by_value
    .group_segment_fixed_size: 7168
    .kernarg_segment_align: 8
    .kernarg_segment_size: 104
    .language:       OpenCL C
    .language_version:
      - 2
      - 0
    .max_flat_workgroup_size: 128
    .name:           _ZN7rocprim17ROCPRIM_400000_NS6detail17trampoline_kernelINS0_14default_configENS1_20scan_config_selectorIxEEZZNS1_9scan_implILNS1_25lookback_scan_determinismE0ELb0ELb0ES3_N6thrust23THRUST_200600_302600_NS6detail15normal_iteratorINS9_10device_ptrIxEEEESE_x9plus_mod3IxExEEDaPvRmT3_T4_T5_mT6_P12ihipStream_tbENKUlT_T0_E_clISt17integral_constantIbLb1EEST_IbLb0EEEEDaSP_SQ_EUlSP_E_NS1_11comp_targetILNS1_3genE4ELNS1_11target_archE910ELNS1_3gpuE8ELNS1_3repE0EEENS1_30default_config_static_selectorELNS0_4arch9wavefront6targetE1EEEvT1_
    .private_segment_fixed_size: 0
    .sgpr_count:     44
    .sgpr_spill_count: 0
    .symbol:         _ZN7rocprim17ROCPRIM_400000_NS6detail17trampoline_kernelINS0_14default_configENS1_20scan_config_selectorIxEEZZNS1_9scan_implILNS1_25lookback_scan_determinismE0ELb0ELb0ES3_N6thrust23THRUST_200600_302600_NS6detail15normal_iteratorINS9_10device_ptrIxEEEESE_x9plus_mod3IxExEEDaPvRmT3_T4_T5_mT6_P12ihipStream_tbENKUlT_T0_E_clISt17integral_constantIbLb1EEST_IbLb0EEEEDaSP_SQ_EUlSP_E_NS1_11comp_targetILNS1_3genE4ELNS1_11target_archE910ELNS1_3gpuE8ELNS1_3repE0EEENS1_30default_config_static_selectorELNS0_4arch9wavefront6targetE1EEEvT1_.kd
    .uniform_work_group_size: 1
    .uses_dynamic_stack: false
    .vgpr_count:     39
    .vgpr_spill_count: 0
    .wavefront_size: 64
  - .agpr_count:     0
    .args:
      - .offset:         0
        .size:           104
        .value_kind:     by_value
    .group_segment_fixed_size: 0
    .kernarg_segment_align: 8
    .kernarg_segment_size: 104
    .language:       OpenCL C
    .language_version:
      - 2
      - 0
    .max_flat_workgroup_size: 256
    .name:           _ZN7rocprim17ROCPRIM_400000_NS6detail17trampoline_kernelINS0_14default_configENS1_20scan_config_selectorIxEEZZNS1_9scan_implILNS1_25lookback_scan_determinismE0ELb0ELb0ES3_N6thrust23THRUST_200600_302600_NS6detail15normal_iteratorINS9_10device_ptrIxEEEESE_x9plus_mod3IxExEEDaPvRmT3_T4_T5_mT6_P12ihipStream_tbENKUlT_T0_E_clISt17integral_constantIbLb1EEST_IbLb0EEEEDaSP_SQ_EUlSP_E_NS1_11comp_targetILNS1_3genE3ELNS1_11target_archE908ELNS1_3gpuE7ELNS1_3repE0EEENS1_30default_config_static_selectorELNS0_4arch9wavefront6targetE1EEEvT1_
    .private_segment_fixed_size: 0
    .sgpr_count:     4
    .sgpr_spill_count: 0
    .symbol:         _ZN7rocprim17ROCPRIM_400000_NS6detail17trampoline_kernelINS0_14default_configENS1_20scan_config_selectorIxEEZZNS1_9scan_implILNS1_25lookback_scan_determinismE0ELb0ELb0ES3_N6thrust23THRUST_200600_302600_NS6detail15normal_iteratorINS9_10device_ptrIxEEEESE_x9plus_mod3IxExEEDaPvRmT3_T4_T5_mT6_P12ihipStream_tbENKUlT_T0_E_clISt17integral_constantIbLb1EEST_IbLb0EEEEDaSP_SQ_EUlSP_E_NS1_11comp_targetILNS1_3genE3ELNS1_11target_archE908ELNS1_3gpuE7ELNS1_3repE0EEENS1_30default_config_static_selectorELNS0_4arch9wavefront6targetE1EEEvT1_.kd
    .uniform_work_group_size: 1
    .uses_dynamic_stack: false
    .vgpr_count:     0
    .vgpr_spill_count: 0
    .wavefront_size: 64
  - .agpr_count:     0
    .args:
      - .offset:         0
        .size:           104
        .value_kind:     by_value
    .group_segment_fixed_size: 0
    .kernarg_segment_align: 8
    .kernarg_segment_size: 104
    .language:       OpenCL C
    .language_version:
      - 2
      - 0
    .max_flat_workgroup_size: 64
    .name:           _ZN7rocprim17ROCPRIM_400000_NS6detail17trampoline_kernelINS0_14default_configENS1_20scan_config_selectorIxEEZZNS1_9scan_implILNS1_25lookback_scan_determinismE0ELb0ELb0ES3_N6thrust23THRUST_200600_302600_NS6detail15normal_iteratorINS9_10device_ptrIxEEEESE_x9plus_mod3IxExEEDaPvRmT3_T4_T5_mT6_P12ihipStream_tbENKUlT_T0_E_clISt17integral_constantIbLb1EEST_IbLb0EEEEDaSP_SQ_EUlSP_E_NS1_11comp_targetILNS1_3genE2ELNS1_11target_archE906ELNS1_3gpuE6ELNS1_3repE0EEENS1_30default_config_static_selectorELNS0_4arch9wavefront6targetE1EEEvT1_
    .private_segment_fixed_size: 0
    .sgpr_count:     4
    .sgpr_spill_count: 0
    .symbol:         _ZN7rocprim17ROCPRIM_400000_NS6detail17trampoline_kernelINS0_14default_configENS1_20scan_config_selectorIxEEZZNS1_9scan_implILNS1_25lookback_scan_determinismE0ELb0ELb0ES3_N6thrust23THRUST_200600_302600_NS6detail15normal_iteratorINS9_10device_ptrIxEEEESE_x9plus_mod3IxExEEDaPvRmT3_T4_T5_mT6_P12ihipStream_tbENKUlT_T0_E_clISt17integral_constantIbLb1EEST_IbLb0EEEEDaSP_SQ_EUlSP_E_NS1_11comp_targetILNS1_3genE2ELNS1_11target_archE906ELNS1_3gpuE6ELNS1_3repE0EEENS1_30default_config_static_selectorELNS0_4arch9wavefront6targetE1EEEvT1_.kd
    .uniform_work_group_size: 1
    .uses_dynamic_stack: false
    .vgpr_count:     0
    .vgpr_spill_count: 0
    .wavefront_size: 64
  - .agpr_count:     0
    .args:
      - .offset:         0
        .size:           104
        .value_kind:     by_value
    .group_segment_fixed_size: 0
    .kernarg_segment_align: 8
    .kernarg_segment_size: 104
    .language:       OpenCL C
    .language_version:
      - 2
      - 0
    .max_flat_workgroup_size: 256
    .name:           _ZN7rocprim17ROCPRIM_400000_NS6detail17trampoline_kernelINS0_14default_configENS1_20scan_config_selectorIxEEZZNS1_9scan_implILNS1_25lookback_scan_determinismE0ELb0ELb0ES3_N6thrust23THRUST_200600_302600_NS6detail15normal_iteratorINS9_10device_ptrIxEEEESE_x9plus_mod3IxExEEDaPvRmT3_T4_T5_mT6_P12ihipStream_tbENKUlT_T0_E_clISt17integral_constantIbLb1EEST_IbLb0EEEEDaSP_SQ_EUlSP_E_NS1_11comp_targetILNS1_3genE10ELNS1_11target_archE1201ELNS1_3gpuE5ELNS1_3repE0EEENS1_30default_config_static_selectorELNS0_4arch9wavefront6targetE1EEEvT1_
    .private_segment_fixed_size: 0
    .sgpr_count:     4
    .sgpr_spill_count: 0
    .symbol:         _ZN7rocprim17ROCPRIM_400000_NS6detail17trampoline_kernelINS0_14default_configENS1_20scan_config_selectorIxEEZZNS1_9scan_implILNS1_25lookback_scan_determinismE0ELb0ELb0ES3_N6thrust23THRUST_200600_302600_NS6detail15normal_iteratorINS9_10device_ptrIxEEEESE_x9plus_mod3IxExEEDaPvRmT3_T4_T5_mT6_P12ihipStream_tbENKUlT_T0_E_clISt17integral_constantIbLb1EEST_IbLb0EEEEDaSP_SQ_EUlSP_E_NS1_11comp_targetILNS1_3genE10ELNS1_11target_archE1201ELNS1_3gpuE5ELNS1_3repE0EEENS1_30default_config_static_selectorELNS0_4arch9wavefront6targetE1EEEvT1_.kd
    .uniform_work_group_size: 1
    .uses_dynamic_stack: false
    .vgpr_count:     0
    .vgpr_spill_count: 0
    .wavefront_size: 64
  - .agpr_count:     0
    .args:
      - .offset:         0
        .size:           104
        .value_kind:     by_value
    .group_segment_fixed_size: 0
    .kernarg_segment_align: 8
    .kernarg_segment_size: 104
    .language:       OpenCL C
    .language_version:
      - 2
      - 0
    .max_flat_workgroup_size: 256
    .name:           _ZN7rocprim17ROCPRIM_400000_NS6detail17trampoline_kernelINS0_14default_configENS1_20scan_config_selectorIxEEZZNS1_9scan_implILNS1_25lookback_scan_determinismE0ELb0ELb0ES3_N6thrust23THRUST_200600_302600_NS6detail15normal_iteratorINS9_10device_ptrIxEEEESE_x9plus_mod3IxExEEDaPvRmT3_T4_T5_mT6_P12ihipStream_tbENKUlT_T0_E_clISt17integral_constantIbLb1EEST_IbLb0EEEEDaSP_SQ_EUlSP_E_NS1_11comp_targetILNS1_3genE10ELNS1_11target_archE1200ELNS1_3gpuE4ELNS1_3repE0EEENS1_30default_config_static_selectorELNS0_4arch9wavefront6targetE1EEEvT1_
    .private_segment_fixed_size: 0
    .sgpr_count:     4
    .sgpr_spill_count: 0
    .symbol:         _ZN7rocprim17ROCPRIM_400000_NS6detail17trampoline_kernelINS0_14default_configENS1_20scan_config_selectorIxEEZZNS1_9scan_implILNS1_25lookback_scan_determinismE0ELb0ELb0ES3_N6thrust23THRUST_200600_302600_NS6detail15normal_iteratorINS9_10device_ptrIxEEEESE_x9plus_mod3IxExEEDaPvRmT3_T4_T5_mT6_P12ihipStream_tbENKUlT_T0_E_clISt17integral_constantIbLb1EEST_IbLb0EEEEDaSP_SQ_EUlSP_E_NS1_11comp_targetILNS1_3genE10ELNS1_11target_archE1200ELNS1_3gpuE4ELNS1_3repE0EEENS1_30default_config_static_selectorELNS0_4arch9wavefront6targetE1EEEvT1_.kd
    .uniform_work_group_size: 1
    .uses_dynamic_stack: false
    .vgpr_count:     0
    .vgpr_spill_count: 0
    .wavefront_size: 64
  - .agpr_count:     0
    .args:
      - .offset:         0
        .size:           104
        .value_kind:     by_value
    .group_segment_fixed_size: 0
    .kernarg_segment_align: 8
    .kernarg_segment_size: 104
    .language:       OpenCL C
    .language_version:
      - 2
      - 0
    .max_flat_workgroup_size: 256
    .name:           _ZN7rocprim17ROCPRIM_400000_NS6detail17trampoline_kernelINS0_14default_configENS1_20scan_config_selectorIxEEZZNS1_9scan_implILNS1_25lookback_scan_determinismE0ELb0ELb0ES3_N6thrust23THRUST_200600_302600_NS6detail15normal_iteratorINS9_10device_ptrIxEEEESE_x9plus_mod3IxExEEDaPvRmT3_T4_T5_mT6_P12ihipStream_tbENKUlT_T0_E_clISt17integral_constantIbLb1EEST_IbLb0EEEEDaSP_SQ_EUlSP_E_NS1_11comp_targetILNS1_3genE9ELNS1_11target_archE1100ELNS1_3gpuE3ELNS1_3repE0EEENS1_30default_config_static_selectorELNS0_4arch9wavefront6targetE1EEEvT1_
    .private_segment_fixed_size: 0
    .sgpr_count:     4
    .sgpr_spill_count: 0
    .symbol:         _ZN7rocprim17ROCPRIM_400000_NS6detail17trampoline_kernelINS0_14default_configENS1_20scan_config_selectorIxEEZZNS1_9scan_implILNS1_25lookback_scan_determinismE0ELb0ELb0ES3_N6thrust23THRUST_200600_302600_NS6detail15normal_iteratorINS9_10device_ptrIxEEEESE_x9plus_mod3IxExEEDaPvRmT3_T4_T5_mT6_P12ihipStream_tbENKUlT_T0_E_clISt17integral_constantIbLb1EEST_IbLb0EEEEDaSP_SQ_EUlSP_E_NS1_11comp_targetILNS1_3genE9ELNS1_11target_archE1100ELNS1_3gpuE3ELNS1_3repE0EEENS1_30default_config_static_selectorELNS0_4arch9wavefront6targetE1EEEvT1_.kd
    .uniform_work_group_size: 1
    .uses_dynamic_stack: false
    .vgpr_count:     0
    .vgpr_spill_count: 0
    .wavefront_size: 64
  - .agpr_count:     0
    .args:
      - .offset:         0
        .size:           104
        .value_kind:     by_value
    .group_segment_fixed_size: 0
    .kernarg_segment_align: 8
    .kernarg_segment_size: 104
    .language:       OpenCL C
    .language_version:
      - 2
      - 0
    .max_flat_workgroup_size: 256
    .name:           _ZN7rocprim17ROCPRIM_400000_NS6detail17trampoline_kernelINS0_14default_configENS1_20scan_config_selectorIxEEZZNS1_9scan_implILNS1_25lookback_scan_determinismE0ELb0ELb0ES3_N6thrust23THRUST_200600_302600_NS6detail15normal_iteratorINS9_10device_ptrIxEEEESE_x9plus_mod3IxExEEDaPvRmT3_T4_T5_mT6_P12ihipStream_tbENKUlT_T0_E_clISt17integral_constantIbLb1EEST_IbLb0EEEEDaSP_SQ_EUlSP_E_NS1_11comp_targetILNS1_3genE8ELNS1_11target_archE1030ELNS1_3gpuE2ELNS1_3repE0EEENS1_30default_config_static_selectorELNS0_4arch9wavefront6targetE1EEEvT1_
    .private_segment_fixed_size: 0
    .sgpr_count:     4
    .sgpr_spill_count: 0
    .symbol:         _ZN7rocprim17ROCPRIM_400000_NS6detail17trampoline_kernelINS0_14default_configENS1_20scan_config_selectorIxEEZZNS1_9scan_implILNS1_25lookback_scan_determinismE0ELb0ELb0ES3_N6thrust23THRUST_200600_302600_NS6detail15normal_iteratorINS9_10device_ptrIxEEEESE_x9plus_mod3IxExEEDaPvRmT3_T4_T5_mT6_P12ihipStream_tbENKUlT_T0_E_clISt17integral_constantIbLb1EEST_IbLb0EEEEDaSP_SQ_EUlSP_E_NS1_11comp_targetILNS1_3genE8ELNS1_11target_archE1030ELNS1_3gpuE2ELNS1_3repE0EEENS1_30default_config_static_selectorELNS0_4arch9wavefront6targetE1EEEvT1_.kd
    .uniform_work_group_size: 1
    .uses_dynamic_stack: false
    .vgpr_count:     0
    .vgpr_spill_count: 0
    .wavefront_size: 64
  - .agpr_count:     0
    .args:
      - .offset:         0
        .size:           40
        .value_kind:     by_value
    .group_segment_fixed_size: 0
    .kernarg_segment_align: 8
    .kernarg_segment_size: 40
    .language:       OpenCL C
    .language_version:
      - 2
      - 0
    .max_flat_workgroup_size: 256
    .name:           _ZN7rocprim17ROCPRIM_400000_NS6detail17trampoline_kernelINS0_14default_configENS1_20scan_config_selectorIxEEZZNS1_9scan_implILNS1_25lookback_scan_determinismE0ELb0ELb0ES3_N6thrust23THRUST_200600_302600_NS6detail15normal_iteratorINS9_10device_ptrIxEEEESE_x9plus_mod3IxExEEDaPvRmT3_T4_T5_mT6_P12ihipStream_tbENKUlT_T0_E_clISt17integral_constantIbLb1EEST_IbLb0EEEEDaSP_SQ_EUlSP_E0_NS1_11comp_targetILNS1_3genE0ELNS1_11target_archE4294967295ELNS1_3gpuE0ELNS1_3repE0EEENS1_30default_config_static_selectorELNS0_4arch9wavefront6targetE1EEEvT1_
    .private_segment_fixed_size: 0
    .sgpr_count:     4
    .sgpr_spill_count: 0
    .symbol:         _ZN7rocprim17ROCPRIM_400000_NS6detail17trampoline_kernelINS0_14default_configENS1_20scan_config_selectorIxEEZZNS1_9scan_implILNS1_25lookback_scan_determinismE0ELb0ELb0ES3_N6thrust23THRUST_200600_302600_NS6detail15normal_iteratorINS9_10device_ptrIxEEEESE_x9plus_mod3IxExEEDaPvRmT3_T4_T5_mT6_P12ihipStream_tbENKUlT_T0_E_clISt17integral_constantIbLb1EEST_IbLb0EEEEDaSP_SQ_EUlSP_E0_NS1_11comp_targetILNS1_3genE0ELNS1_11target_archE4294967295ELNS1_3gpuE0ELNS1_3repE0EEENS1_30default_config_static_selectorELNS0_4arch9wavefront6targetE1EEEvT1_.kd
    .uniform_work_group_size: 1
    .uses_dynamic_stack: false
    .vgpr_count:     0
    .vgpr_spill_count: 0
    .wavefront_size: 64
  - .agpr_count:     0
    .args:
      - .offset:         0
        .size:           40
        .value_kind:     by_value
    .group_segment_fixed_size: 0
    .kernarg_segment_align: 8
    .kernarg_segment_size: 40
    .language:       OpenCL C
    .language_version:
      - 2
      - 0
    .max_flat_workgroup_size: 256
    .name:           _ZN7rocprim17ROCPRIM_400000_NS6detail17trampoline_kernelINS0_14default_configENS1_20scan_config_selectorIxEEZZNS1_9scan_implILNS1_25lookback_scan_determinismE0ELb0ELb0ES3_N6thrust23THRUST_200600_302600_NS6detail15normal_iteratorINS9_10device_ptrIxEEEESE_x9plus_mod3IxExEEDaPvRmT3_T4_T5_mT6_P12ihipStream_tbENKUlT_T0_E_clISt17integral_constantIbLb1EEST_IbLb0EEEEDaSP_SQ_EUlSP_E0_NS1_11comp_targetILNS1_3genE5ELNS1_11target_archE942ELNS1_3gpuE9ELNS1_3repE0EEENS1_30default_config_static_selectorELNS0_4arch9wavefront6targetE1EEEvT1_
    .private_segment_fixed_size: 0
    .sgpr_count:     4
    .sgpr_spill_count: 0
    .symbol:         _ZN7rocprim17ROCPRIM_400000_NS6detail17trampoline_kernelINS0_14default_configENS1_20scan_config_selectorIxEEZZNS1_9scan_implILNS1_25lookback_scan_determinismE0ELb0ELb0ES3_N6thrust23THRUST_200600_302600_NS6detail15normal_iteratorINS9_10device_ptrIxEEEESE_x9plus_mod3IxExEEDaPvRmT3_T4_T5_mT6_P12ihipStream_tbENKUlT_T0_E_clISt17integral_constantIbLb1EEST_IbLb0EEEEDaSP_SQ_EUlSP_E0_NS1_11comp_targetILNS1_3genE5ELNS1_11target_archE942ELNS1_3gpuE9ELNS1_3repE0EEENS1_30default_config_static_selectorELNS0_4arch9wavefront6targetE1EEEvT1_.kd
    .uniform_work_group_size: 1
    .uses_dynamic_stack: false
    .vgpr_count:     0
    .vgpr_spill_count: 0
    .wavefront_size: 64
  - .agpr_count:     0
    .args:
      - .offset:         0
        .size:           40
        .value_kind:     by_value
    .group_segment_fixed_size: 7168
    .kernarg_segment_align: 8
    .kernarg_segment_size: 40
    .language:       OpenCL C
    .language_version:
      - 2
      - 0
    .max_flat_workgroup_size: 128
    .name:           _ZN7rocprim17ROCPRIM_400000_NS6detail17trampoline_kernelINS0_14default_configENS1_20scan_config_selectorIxEEZZNS1_9scan_implILNS1_25lookback_scan_determinismE0ELb0ELb0ES3_N6thrust23THRUST_200600_302600_NS6detail15normal_iteratorINS9_10device_ptrIxEEEESE_x9plus_mod3IxExEEDaPvRmT3_T4_T5_mT6_P12ihipStream_tbENKUlT_T0_E_clISt17integral_constantIbLb1EEST_IbLb0EEEEDaSP_SQ_EUlSP_E0_NS1_11comp_targetILNS1_3genE4ELNS1_11target_archE910ELNS1_3gpuE8ELNS1_3repE0EEENS1_30default_config_static_selectorELNS0_4arch9wavefront6targetE1EEEvT1_
    .private_segment_fixed_size: 0
    .sgpr_count:     28
    .sgpr_spill_count: 0
    .symbol:         _ZN7rocprim17ROCPRIM_400000_NS6detail17trampoline_kernelINS0_14default_configENS1_20scan_config_selectorIxEEZZNS1_9scan_implILNS1_25lookback_scan_determinismE0ELb0ELb0ES3_N6thrust23THRUST_200600_302600_NS6detail15normal_iteratorINS9_10device_ptrIxEEEESE_x9plus_mod3IxExEEDaPvRmT3_T4_T5_mT6_P12ihipStream_tbENKUlT_T0_E_clISt17integral_constantIbLb1EEST_IbLb0EEEEDaSP_SQ_EUlSP_E0_NS1_11comp_targetILNS1_3genE4ELNS1_11target_archE910ELNS1_3gpuE8ELNS1_3repE0EEENS1_30default_config_static_selectorELNS0_4arch9wavefront6targetE1EEEvT1_.kd
    .uniform_work_group_size: 1
    .uses_dynamic_stack: false
    .vgpr_count:     27
    .vgpr_spill_count: 0
    .wavefront_size: 64
  - .agpr_count:     0
    .args:
      - .offset:         0
        .size:           40
        .value_kind:     by_value
    .group_segment_fixed_size: 0
    .kernarg_segment_align: 8
    .kernarg_segment_size: 40
    .language:       OpenCL C
    .language_version:
      - 2
      - 0
    .max_flat_workgroup_size: 256
    .name:           _ZN7rocprim17ROCPRIM_400000_NS6detail17trampoline_kernelINS0_14default_configENS1_20scan_config_selectorIxEEZZNS1_9scan_implILNS1_25lookback_scan_determinismE0ELb0ELb0ES3_N6thrust23THRUST_200600_302600_NS6detail15normal_iteratorINS9_10device_ptrIxEEEESE_x9plus_mod3IxExEEDaPvRmT3_T4_T5_mT6_P12ihipStream_tbENKUlT_T0_E_clISt17integral_constantIbLb1EEST_IbLb0EEEEDaSP_SQ_EUlSP_E0_NS1_11comp_targetILNS1_3genE3ELNS1_11target_archE908ELNS1_3gpuE7ELNS1_3repE0EEENS1_30default_config_static_selectorELNS0_4arch9wavefront6targetE1EEEvT1_
    .private_segment_fixed_size: 0
    .sgpr_count:     4
    .sgpr_spill_count: 0
    .symbol:         _ZN7rocprim17ROCPRIM_400000_NS6detail17trampoline_kernelINS0_14default_configENS1_20scan_config_selectorIxEEZZNS1_9scan_implILNS1_25lookback_scan_determinismE0ELb0ELb0ES3_N6thrust23THRUST_200600_302600_NS6detail15normal_iteratorINS9_10device_ptrIxEEEESE_x9plus_mod3IxExEEDaPvRmT3_T4_T5_mT6_P12ihipStream_tbENKUlT_T0_E_clISt17integral_constantIbLb1EEST_IbLb0EEEEDaSP_SQ_EUlSP_E0_NS1_11comp_targetILNS1_3genE3ELNS1_11target_archE908ELNS1_3gpuE7ELNS1_3repE0EEENS1_30default_config_static_selectorELNS0_4arch9wavefront6targetE1EEEvT1_.kd
    .uniform_work_group_size: 1
    .uses_dynamic_stack: false
    .vgpr_count:     0
    .vgpr_spill_count: 0
    .wavefront_size: 64
  - .agpr_count:     0
    .args:
      - .offset:         0
        .size:           40
        .value_kind:     by_value
    .group_segment_fixed_size: 0
    .kernarg_segment_align: 8
    .kernarg_segment_size: 40
    .language:       OpenCL C
    .language_version:
      - 2
      - 0
    .max_flat_workgroup_size: 64
    .name:           _ZN7rocprim17ROCPRIM_400000_NS6detail17trampoline_kernelINS0_14default_configENS1_20scan_config_selectorIxEEZZNS1_9scan_implILNS1_25lookback_scan_determinismE0ELb0ELb0ES3_N6thrust23THRUST_200600_302600_NS6detail15normal_iteratorINS9_10device_ptrIxEEEESE_x9plus_mod3IxExEEDaPvRmT3_T4_T5_mT6_P12ihipStream_tbENKUlT_T0_E_clISt17integral_constantIbLb1EEST_IbLb0EEEEDaSP_SQ_EUlSP_E0_NS1_11comp_targetILNS1_3genE2ELNS1_11target_archE906ELNS1_3gpuE6ELNS1_3repE0EEENS1_30default_config_static_selectorELNS0_4arch9wavefront6targetE1EEEvT1_
    .private_segment_fixed_size: 0
    .sgpr_count:     4
    .sgpr_spill_count: 0
    .symbol:         _ZN7rocprim17ROCPRIM_400000_NS6detail17trampoline_kernelINS0_14default_configENS1_20scan_config_selectorIxEEZZNS1_9scan_implILNS1_25lookback_scan_determinismE0ELb0ELb0ES3_N6thrust23THRUST_200600_302600_NS6detail15normal_iteratorINS9_10device_ptrIxEEEESE_x9plus_mod3IxExEEDaPvRmT3_T4_T5_mT6_P12ihipStream_tbENKUlT_T0_E_clISt17integral_constantIbLb1EEST_IbLb0EEEEDaSP_SQ_EUlSP_E0_NS1_11comp_targetILNS1_3genE2ELNS1_11target_archE906ELNS1_3gpuE6ELNS1_3repE0EEENS1_30default_config_static_selectorELNS0_4arch9wavefront6targetE1EEEvT1_.kd
    .uniform_work_group_size: 1
    .uses_dynamic_stack: false
    .vgpr_count:     0
    .vgpr_spill_count: 0
    .wavefront_size: 64
  - .agpr_count:     0
    .args:
      - .offset:         0
        .size:           40
        .value_kind:     by_value
    .group_segment_fixed_size: 0
    .kernarg_segment_align: 8
    .kernarg_segment_size: 40
    .language:       OpenCL C
    .language_version:
      - 2
      - 0
    .max_flat_workgroup_size: 256
    .name:           _ZN7rocprim17ROCPRIM_400000_NS6detail17trampoline_kernelINS0_14default_configENS1_20scan_config_selectorIxEEZZNS1_9scan_implILNS1_25lookback_scan_determinismE0ELb0ELb0ES3_N6thrust23THRUST_200600_302600_NS6detail15normal_iteratorINS9_10device_ptrIxEEEESE_x9plus_mod3IxExEEDaPvRmT3_T4_T5_mT6_P12ihipStream_tbENKUlT_T0_E_clISt17integral_constantIbLb1EEST_IbLb0EEEEDaSP_SQ_EUlSP_E0_NS1_11comp_targetILNS1_3genE10ELNS1_11target_archE1201ELNS1_3gpuE5ELNS1_3repE0EEENS1_30default_config_static_selectorELNS0_4arch9wavefront6targetE1EEEvT1_
    .private_segment_fixed_size: 0
    .sgpr_count:     4
    .sgpr_spill_count: 0
    .symbol:         _ZN7rocprim17ROCPRIM_400000_NS6detail17trampoline_kernelINS0_14default_configENS1_20scan_config_selectorIxEEZZNS1_9scan_implILNS1_25lookback_scan_determinismE0ELb0ELb0ES3_N6thrust23THRUST_200600_302600_NS6detail15normal_iteratorINS9_10device_ptrIxEEEESE_x9plus_mod3IxExEEDaPvRmT3_T4_T5_mT6_P12ihipStream_tbENKUlT_T0_E_clISt17integral_constantIbLb1EEST_IbLb0EEEEDaSP_SQ_EUlSP_E0_NS1_11comp_targetILNS1_3genE10ELNS1_11target_archE1201ELNS1_3gpuE5ELNS1_3repE0EEENS1_30default_config_static_selectorELNS0_4arch9wavefront6targetE1EEEvT1_.kd
    .uniform_work_group_size: 1
    .uses_dynamic_stack: false
    .vgpr_count:     0
    .vgpr_spill_count: 0
    .wavefront_size: 64
  - .agpr_count:     0
    .args:
      - .offset:         0
        .size:           40
        .value_kind:     by_value
    .group_segment_fixed_size: 0
    .kernarg_segment_align: 8
    .kernarg_segment_size: 40
    .language:       OpenCL C
    .language_version:
      - 2
      - 0
    .max_flat_workgroup_size: 256
    .name:           _ZN7rocprim17ROCPRIM_400000_NS6detail17trampoline_kernelINS0_14default_configENS1_20scan_config_selectorIxEEZZNS1_9scan_implILNS1_25lookback_scan_determinismE0ELb0ELb0ES3_N6thrust23THRUST_200600_302600_NS6detail15normal_iteratorINS9_10device_ptrIxEEEESE_x9plus_mod3IxExEEDaPvRmT3_T4_T5_mT6_P12ihipStream_tbENKUlT_T0_E_clISt17integral_constantIbLb1EEST_IbLb0EEEEDaSP_SQ_EUlSP_E0_NS1_11comp_targetILNS1_3genE10ELNS1_11target_archE1200ELNS1_3gpuE4ELNS1_3repE0EEENS1_30default_config_static_selectorELNS0_4arch9wavefront6targetE1EEEvT1_
    .private_segment_fixed_size: 0
    .sgpr_count:     4
    .sgpr_spill_count: 0
    .symbol:         _ZN7rocprim17ROCPRIM_400000_NS6detail17trampoline_kernelINS0_14default_configENS1_20scan_config_selectorIxEEZZNS1_9scan_implILNS1_25lookback_scan_determinismE0ELb0ELb0ES3_N6thrust23THRUST_200600_302600_NS6detail15normal_iteratorINS9_10device_ptrIxEEEESE_x9plus_mod3IxExEEDaPvRmT3_T4_T5_mT6_P12ihipStream_tbENKUlT_T0_E_clISt17integral_constantIbLb1EEST_IbLb0EEEEDaSP_SQ_EUlSP_E0_NS1_11comp_targetILNS1_3genE10ELNS1_11target_archE1200ELNS1_3gpuE4ELNS1_3repE0EEENS1_30default_config_static_selectorELNS0_4arch9wavefront6targetE1EEEvT1_.kd
    .uniform_work_group_size: 1
    .uses_dynamic_stack: false
    .vgpr_count:     0
    .vgpr_spill_count: 0
    .wavefront_size: 64
  - .agpr_count:     0
    .args:
      - .offset:         0
        .size:           40
        .value_kind:     by_value
    .group_segment_fixed_size: 0
    .kernarg_segment_align: 8
    .kernarg_segment_size: 40
    .language:       OpenCL C
    .language_version:
      - 2
      - 0
    .max_flat_workgroup_size: 256
    .name:           _ZN7rocprim17ROCPRIM_400000_NS6detail17trampoline_kernelINS0_14default_configENS1_20scan_config_selectorIxEEZZNS1_9scan_implILNS1_25lookback_scan_determinismE0ELb0ELb0ES3_N6thrust23THRUST_200600_302600_NS6detail15normal_iteratorINS9_10device_ptrIxEEEESE_x9plus_mod3IxExEEDaPvRmT3_T4_T5_mT6_P12ihipStream_tbENKUlT_T0_E_clISt17integral_constantIbLb1EEST_IbLb0EEEEDaSP_SQ_EUlSP_E0_NS1_11comp_targetILNS1_3genE9ELNS1_11target_archE1100ELNS1_3gpuE3ELNS1_3repE0EEENS1_30default_config_static_selectorELNS0_4arch9wavefront6targetE1EEEvT1_
    .private_segment_fixed_size: 0
    .sgpr_count:     4
    .sgpr_spill_count: 0
    .symbol:         _ZN7rocprim17ROCPRIM_400000_NS6detail17trampoline_kernelINS0_14default_configENS1_20scan_config_selectorIxEEZZNS1_9scan_implILNS1_25lookback_scan_determinismE0ELb0ELb0ES3_N6thrust23THRUST_200600_302600_NS6detail15normal_iteratorINS9_10device_ptrIxEEEESE_x9plus_mod3IxExEEDaPvRmT3_T4_T5_mT6_P12ihipStream_tbENKUlT_T0_E_clISt17integral_constantIbLb1EEST_IbLb0EEEEDaSP_SQ_EUlSP_E0_NS1_11comp_targetILNS1_3genE9ELNS1_11target_archE1100ELNS1_3gpuE3ELNS1_3repE0EEENS1_30default_config_static_selectorELNS0_4arch9wavefront6targetE1EEEvT1_.kd
    .uniform_work_group_size: 1
    .uses_dynamic_stack: false
    .vgpr_count:     0
    .vgpr_spill_count: 0
    .wavefront_size: 64
  - .agpr_count:     0
    .args:
      - .offset:         0
        .size:           40
        .value_kind:     by_value
    .group_segment_fixed_size: 0
    .kernarg_segment_align: 8
    .kernarg_segment_size: 40
    .language:       OpenCL C
    .language_version:
      - 2
      - 0
    .max_flat_workgroup_size: 256
    .name:           _ZN7rocprim17ROCPRIM_400000_NS6detail17trampoline_kernelINS0_14default_configENS1_20scan_config_selectorIxEEZZNS1_9scan_implILNS1_25lookback_scan_determinismE0ELb0ELb0ES3_N6thrust23THRUST_200600_302600_NS6detail15normal_iteratorINS9_10device_ptrIxEEEESE_x9plus_mod3IxExEEDaPvRmT3_T4_T5_mT6_P12ihipStream_tbENKUlT_T0_E_clISt17integral_constantIbLb1EEST_IbLb0EEEEDaSP_SQ_EUlSP_E0_NS1_11comp_targetILNS1_3genE8ELNS1_11target_archE1030ELNS1_3gpuE2ELNS1_3repE0EEENS1_30default_config_static_selectorELNS0_4arch9wavefront6targetE1EEEvT1_
    .private_segment_fixed_size: 0
    .sgpr_count:     4
    .sgpr_spill_count: 0
    .symbol:         _ZN7rocprim17ROCPRIM_400000_NS6detail17trampoline_kernelINS0_14default_configENS1_20scan_config_selectorIxEEZZNS1_9scan_implILNS1_25lookback_scan_determinismE0ELb0ELb0ES3_N6thrust23THRUST_200600_302600_NS6detail15normal_iteratorINS9_10device_ptrIxEEEESE_x9plus_mod3IxExEEDaPvRmT3_T4_T5_mT6_P12ihipStream_tbENKUlT_T0_E_clISt17integral_constantIbLb1EEST_IbLb0EEEEDaSP_SQ_EUlSP_E0_NS1_11comp_targetILNS1_3genE8ELNS1_11target_archE1030ELNS1_3gpuE2ELNS1_3repE0EEENS1_30default_config_static_selectorELNS0_4arch9wavefront6targetE1EEEvT1_.kd
    .uniform_work_group_size: 1
    .uses_dynamic_stack: false
    .vgpr_count:     0
    .vgpr_spill_count: 0
    .wavefront_size: 64
  - .agpr_count:     0
    .args:
      - .offset:         0
        .size:           104
        .value_kind:     by_value
    .group_segment_fixed_size: 0
    .kernarg_segment_align: 8
    .kernarg_segment_size: 104
    .language:       OpenCL C
    .language_version:
      - 2
      - 0
    .max_flat_workgroup_size: 256
    .name:           _ZN7rocprim17ROCPRIM_400000_NS6detail17trampoline_kernelINS0_14default_configENS1_20scan_config_selectorIxEEZZNS1_9scan_implILNS1_25lookback_scan_determinismE0ELb0ELb0ES3_N6thrust23THRUST_200600_302600_NS6detail15normal_iteratorINS9_10device_ptrIxEEEESE_x9plus_mod3IxExEEDaPvRmT3_T4_T5_mT6_P12ihipStream_tbENKUlT_T0_E_clISt17integral_constantIbLb0EEST_IbLb1EEEEDaSP_SQ_EUlSP_E_NS1_11comp_targetILNS1_3genE0ELNS1_11target_archE4294967295ELNS1_3gpuE0ELNS1_3repE0EEENS1_30default_config_static_selectorELNS0_4arch9wavefront6targetE1EEEvT1_
    .private_segment_fixed_size: 0
    .sgpr_count:     4
    .sgpr_spill_count: 0
    .symbol:         _ZN7rocprim17ROCPRIM_400000_NS6detail17trampoline_kernelINS0_14default_configENS1_20scan_config_selectorIxEEZZNS1_9scan_implILNS1_25lookback_scan_determinismE0ELb0ELb0ES3_N6thrust23THRUST_200600_302600_NS6detail15normal_iteratorINS9_10device_ptrIxEEEESE_x9plus_mod3IxExEEDaPvRmT3_T4_T5_mT6_P12ihipStream_tbENKUlT_T0_E_clISt17integral_constantIbLb0EEST_IbLb1EEEEDaSP_SQ_EUlSP_E_NS1_11comp_targetILNS1_3genE0ELNS1_11target_archE4294967295ELNS1_3gpuE0ELNS1_3repE0EEENS1_30default_config_static_selectorELNS0_4arch9wavefront6targetE1EEEvT1_.kd
    .uniform_work_group_size: 1
    .uses_dynamic_stack: false
    .vgpr_count:     0
    .vgpr_spill_count: 0
    .wavefront_size: 64
  - .agpr_count:     0
    .args:
      - .offset:         0
        .size:           104
        .value_kind:     by_value
    .group_segment_fixed_size: 0
    .kernarg_segment_align: 8
    .kernarg_segment_size: 104
    .language:       OpenCL C
    .language_version:
      - 2
      - 0
    .max_flat_workgroup_size: 256
    .name:           _ZN7rocprim17ROCPRIM_400000_NS6detail17trampoline_kernelINS0_14default_configENS1_20scan_config_selectorIxEEZZNS1_9scan_implILNS1_25lookback_scan_determinismE0ELb0ELb0ES3_N6thrust23THRUST_200600_302600_NS6detail15normal_iteratorINS9_10device_ptrIxEEEESE_x9plus_mod3IxExEEDaPvRmT3_T4_T5_mT6_P12ihipStream_tbENKUlT_T0_E_clISt17integral_constantIbLb0EEST_IbLb1EEEEDaSP_SQ_EUlSP_E_NS1_11comp_targetILNS1_3genE5ELNS1_11target_archE942ELNS1_3gpuE9ELNS1_3repE0EEENS1_30default_config_static_selectorELNS0_4arch9wavefront6targetE1EEEvT1_
    .private_segment_fixed_size: 0
    .sgpr_count:     4
    .sgpr_spill_count: 0
    .symbol:         _ZN7rocprim17ROCPRIM_400000_NS6detail17trampoline_kernelINS0_14default_configENS1_20scan_config_selectorIxEEZZNS1_9scan_implILNS1_25lookback_scan_determinismE0ELb0ELb0ES3_N6thrust23THRUST_200600_302600_NS6detail15normal_iteratorINS9_10device_ptrIxEEEESE_x9plus_mod3IxExEEDaPvRmT3_T4_T5_mT6_P12ihipStream_tbENKUlT_T0_E_clISt17integral_constantIbLb0EEST_IbLb1EEEEDaSP_SQ_EUlSP_E_NS1_11comp_targetILNS1_3genE5ELNS1_11target_archE942ELNS1_3gpuE9ELNS1_3repE0EEENS1_30default_config_static_selectorELNS0_4arch9wavefront6targetE1EEEvT1_.kd
    .uniform_work_group_size: 1
    .uses_dynamic_stack: false
    .vgpr_count:     0
    .vgpr_spill_count: 0
    .wavefront_size: 64
  - .agpr_count:     0
    .args:
      - .offset:         0
        .size:           104
        .value_kind:     by_value
    .group_segment_fixed_size: 7168
    .kernarg_segment_align: 8
    .kernarg_segment_size: 104
    .language:       OpenCL C
    .language_version:
      - 2
      - 0
    .max_flat_workgroup_size: 128
    .name:           _ZN7rocprim17ROCPRIM_400000_NS6detail17trampoline_kernelINS0_14default_configENS1_20scan_config_selectorIxEEZZNS1_9scan_implILNS1_25lookback_scan_determinismE0ELb0ELb0ES3_N6thrust23THRUST_200600_302600_NS6detail15normal_iteratorINS9_10device_ptrIxEEEESE_x9plus_mod3IxExEEDaPvRmT3_T4_T5_mT6_P12ihipStream_tbENKUlT_T0_E_clISt17integral_constantIbLb0EEST_IbLb1EEEEDaSP_SQ_EUlSP_E_NS1_11comp_targetILNS1_3genE4ELNS1_11target_archE910ELNS1_3gpuE8ELNS1_3repE0EEENS1_30default_config_static_selectorELNS0_4arch9wavefront6targetE1EEEvT1_
    .private_segment_fixed_size: 0
    .sgpr_count:     48
    .sgpr_spill_count: 0
    .symbol:         _ZN7rocprim17ROCPRIM_400000_NS6detail17trampoline_kernelINS0_14default_configENS1_20scan_config_selectorIxEEZZNS1_9scan_implILNS1_25lookback_scan_determinismE0ELb0ELb0ES3_N6thrust23THRUST_200600_302600_NS6detail15normal_iteratorINS9_10device_ptrIxEEEESE_x9plus_mod3IxExEEDaPvRmT3_T4_T5_mT6_P12ihipStream_tbENKUlT_T0_E_clISt17integral_constantIbLb0EEST_IbLb1EEEEDaSP_SQ_EUlSP_E_NS1_11comp_targetILNS1_3genE4ELNS1_11target_archE910ELNS1_3gpuE8ELNS1_3repE0EEENS1_30default_config_static_selectorELNS0_4arch9wavefront6targetE1EEEvT1_.kd
    .uniform_work_group_size: 1
    .uses_dynamic_stack: false
    .vgpr_count:     39
    .vgpr_spill_count: 0
    .wavefront_size: 64
  - .agpr_count:     0
    .args:
      - .offset:         0
        .size:           104
        .value_kind:     by_value
    .group_segment_fixed_size: 0
    .kernarg_segment_align: 8
    .kernarg_segment_size: 104
    .language:       OpenCL C
    .language_version:
      - 2
      - 0
    .max_flat_workgroup_size: 256
    .name:           _ZN7rocprim17ROCPRIM_400000_NS6detail17trampoline_kernelINS0_14default_configENS1_20scan_config_selectorIxEEZZNS1_9scan_implILNS1_25lookback_scan_determinismE0ELb0ELb0ES3_N6thrust23THRUST_200600_302600_NS6detail15normal_iteratorINS9_10device_ptrIxEEEESE_x9plus_mod3IxExEEDaPvRmT3_T4_T5_mT6_P12ihipStream_tbENKUlT_T0_E_clISt17integral_constantIbLb0EEST_IbLb1EEEEDaSP_SQ_EUlSP_E_NS1_11comp_targetILNS1_3genE3ELNS1_11target_archE908ELNS1_3gpuE7ELNS1_3repE0EEENS1_30default_config_static_selectorELNS0_4arch9wavefront6targetE1EEEvT1_
    .private_segment_fixed_size: 0
    .sgpr_count:     4
    .sgpr_spill_count: 0
    .symbol:         _ZN7rocprim17ROCPRIM_400000_NS6detail17trampoline_kernelINS0_14default_configENS1_20scan_config_selectorIxEEZZNS1_9scan_implILNS1_25lookback_scan_determinismE0ELb0ELb0ES3_N6thrust23THRUST_200600_302600_NS6detail15normal_iteratorINS9_10device_ptrIxEEEESE_x9plus_mod3IxExEEDaPvRmT3_T4_T5_mT6_P12ihipStream_tbENKUlT_T0_E_clISt17integral_constantIbLb0EEST_IbLb1EEEEDaSP_SQ_EUlSP_E_NS1_11comp_targetILNS1_3genE3ELNS1_11target_archE908ELNS1_3gpuE7ELNS1_3repE0EEENS1_30default_config_static_selectorELNS0_4arch9wavefront6targetE1EEEvT1_.kd
    .uniform_work_group_size: 1
    .uses_dynamic_stack: false
    .vgpr_count:     0
    .vgpr_spill_count: 0
    .wavefront_size: 64
  - .agpr_count:     0
    .args:
      - .offset:         0
        .size:           104
        .value_kind:     by_value
    .group_segment_fixed_size: 0
    .kernarg_segment_align: 8
    .kernarg_segment_size: 104
    .language:       OpenCL C
    .language_version:
      - 2
      - 0
    .max_flat_workgroup_size: 64
    .name:           _ZN7rocprim17ROCPRIM_400000_NS6detail17trampoline_kernelINS0_14default_configENS1_20scan_config_selectorIxEEZZNS1_9scan_implILNS1_25lookback_scan_determinismE0ELb0ELb0ES3_N6thrust23THRUST_200600_302600_NS6detail15normal_iteratorINS9_10device_ptrIxEEEESE_x9plus_mod3IxExEEDaPvRmT3_T4_T5_mT6_P12ihipStream_tbENKUlT_T0_E_clISt17integral_constantIbLb0EEST_IbLb1EEEEDaSP_SQ_EUlSP_E_NS1_11comp_targetILNS1_3genE2ELNS1_11target_archE906ELNS1_3gpuE6ELNS1_3repE0EEENS1_30default_config_static_selectorELNS0_4arch9wavefront6targetE1EEEvT1_
    .private_segment_fixed_size: 0
    .sgpr_count:     4
    .sgpr_spill_count: 0
    .symbol:         _ZN7rocprim17ROCPRIM_400000_NS6detail17trampoline_kernelINS0_14default_configENS1_20scan_config_selectorIxEEZZNS1_9scan_implILNS1_25lookback_scan_determinismE0ELb0ELb0ES3_N6thrust23THRUST_200600_302600_NS6detail15normal_iteratorINS9_10device_ptrIxEEEESE_x9plus_mod3IxExEEDaPvRmT3_T4_T5_mT6_P12ihipStream_tbENKUlT_T0_E_clISt17integral_constantIbLb0EEST_IbLb1EEEEDaSP_SQ_EUlSP_E_NS1_11comp_targetILNS1_3genE2ELNS1_11target_archE906ELNS1_3gpuE6ELNS1_3repE0EEENS1_30default_config_static_selectorELNS0_4arch9wavefront6targetE1EEEvT1_.kd
    .uniform_work_group_size: 1
    .uses_dynamic_stack: false
    .vgpr_count:     0
    .vgpr_spill_count: 0
    .wavefront_size: 64
  - .agpr_count:     0
    .args:
      - .offset:         0
        .size:           104
        .value_kind:     by_value
    .group_segment_fixed_size: 0
    .kernarg_segment_align: 8
    .kernarg_segment_size: 104
    .language:       OpenCL C
    .language_version:
      - 2
      - 0
    .max_flat_workgroup_size: 256
    .name:           _ZN7rocprim17ROCPRIM_400000_NS6detail17trampoline_kernelINS0_14default_configENS1_20scan_config_selectorIxEEZZNS1_9scan_implILNS1_25lookback_scan_determinismE0ELb0ELb0ES3_N6thrust23THRUST_200600_302600_NS6detail15normal_iteratorINS9_10device_ptrIxEEEESE_x9plus_mod3IxExEEDaPvRmT3_T4_T5_mT6_P12ihipStream_tbENKUlT_T0_E_clISt17integral_constantIbLb0EEST_IbLb1EEEEDaSP_SQ_EUlSP_E_NS1_11comp_targetILNS1_3genE10ELNS1_11target_archE1201ELNS1_3gpuE5ELNS1_3repE0EEENS1_30default_config_static_selectorELNS0_4arch9wavefront6targetE1EEEvT1_
    .private_segment_fixed_size: 0
    .sgpr_count:     4
    .sgpr_spill_count: 0
    .symbol:         _ZN7rocprim17ROCPRIM_400000_NS6detail17trampoline_kernelINS0_14default_configENS1_20scan_config_selectorIxEEZZNS1_9scan_implILNS1_25lookback_scan_determinismE0ELb0ELb0ES3_N6thrust23THRUST_200600_302600_NS6detail15normal_iteratorINS9_10device_ptrIxEEEESE_x9plus_mod3IxExEEDaPvRmT3_T4_T5_mT6_P12ihipStream_tbENKUlT_T0_E_clISt17integral_constantIbLb0EEST_IbLb1EEEEDaSP_SQ_EUlSP_E_NS1_11comp_targetILNS1_3genE10ELNS1_11target_archE1201ELNS1_3gpuE5ELNS1_3repE0EEENS1_30default_config_static_selectorELNS0_4arch9wavefront6targetE1EEEvT1_.kd
    .uniform_work_group_size: 1
    .uses_dynamic_stack: false
    .vgpr_count:     0
    .vgpr_spill_count: 0
    .wavefront_size: 64
  - .agpr_count:     0
    .args:
      - .offset:         0
        .size:           104
        .value_kind:     by_value
    .group_segment_fixed_size: 0
    .kernarg_segment_align: 8
    .kernarg_segment_size: 104
    .language:       OpenCL C
    .language_version:
      - 2
      - 0
    .max_flat_workgroup_size: 256
    .name:           _ZN7rocprim17ROCPRIM_400000_NS6detail17trampoline_kernelINS0_14default_configENS1_20scan_config_selectorIxEEZZNS1_9scan_implILNS1_25lookback_scan_determinismE0ELb0ELb0ES3_N6thrust23THRUST_200600_302600_NS6detail15normal_iteratorINS9_10device_ptrIxEEEESE_x9plus_mod3IxExEEDaPvRmT3_T4_T5_mT6_P12ihipStream_tbENKUlT_T0_E_clISt17integral_constantIbLb0EEST_IbLb1EEEEDaSP_SQ_EUlSP_E_NS1_11comp_targetILNS1_3genE10ELNS1_11target_archE1200ELNS1_3gpuE4ELNS1_3repE0EEENS1_30default_config_static_selectorELNS0_4arch9wavefront6targetE1EEEvT1_
    .private_segment_fixed_size: 0
    .sgpr_count:     4
    .sgpr_spill_count: 0
    .symbol:         _ZN7rocprim17ROCPRIM_400000_NS6detail17trampoline_kernelINS0_14default_configENS1_20scan_config_selectorIxEEZZNS1_9scan_implILNS1_25lookback_scan_determinismE0ELb0ELb0ES3_N6thrust23THRUST_200600_302600_NS6detail15normal_iteratorINS9_10device_ptrIxEEEESE_x9plus_mod3IxExEEDaPvRmT3_T4_T5_mT6_P12ihipStream_tbENKUlT_T0_E_clISt17integral_constantIbLb0EEST_IbLb1EEEEDaSP_SQ_EUlSP_E_NS1_11comp_targetILNS1_3genE10ELNS1_11target_archE1200ELNS1_3gpuE4ELNS1_3repE0EEENS1_30default_config_static_selectorELNS0_4arch9wavefront6targetE1EEEvT1_.kd
    .uniform_work_group_size: 1
    .uses_dynamic_stack: false
    .vgpr_count:     0
    .vgpr_spill_count: 0
    .wavefront_size: 64
  - .agpr_count:     0
    .args:
      - .offset:         0
        .size:           104
        .value_kind:     by_value
    .group_segment_fixed_size: 0
    .kernarg_segment_align: 8
    .kernarg_segment_size: 104
    .language:       OpenCL C
    .language_version:
      - 2
      - 0
    .max_flat_workgroup_size: 256
    .name:           _ZN7rocprim17ROCPRIM_400000_NS6detail17trampoline_kernelINS0_14default_configENS1_20scan_config_selectorIxEEZZNS1_9scan_implILNS1_25lookback_scan_determinismE0ELb0ELb0ES3_N6thrust23THRUST_200600_302600_NS6detail15normal_iteratorINS9_10device_ptrIxEEEESE_x9plus_mod3IxExEEDaPvRmT3_T4_T5_mT6_P12ihipStream_tbENKUlT_T0_E_clISt17integral_constantIbLb0EEST_IbLb1EEEEDaSP_SQ_EUlSP_E_NS1_11comp_targetILNS1_3genE9ELNS1_11target_archE1100ELNS1_3gpuE3ELNS1_3repE0EEENS1_30default_config_static_selectorELNS0_4arch9wavefront6targetE1EEEvT1_
    .private_segment_fixed_size: 0
    .sgpr_count:     4
    .sgpr_spill_count: 0
    .symbol:         _ZN7rocprim17ROCPRIM_400000_NS6detail17trampoline_kernelINS0_14default_configENS1_20scan_config_selectorIxEEZZNS1_9scan_implILNS1_25lookback_scan_determinismE0ELb0ELb0ES3_N6thrust23THRUST_200600_302600_NS6detail15normal_iteratorINS9_10device_ptrIxEEEESE_x9plus_mod3IxExEEDaPvRmT3_T4_T5_mT6_P12ihipStream_tbENKUlT_T0_E_clISt17integral_constantIbLb0EEST_IbLb1EEEEDaSP_SQ_EUlSP_E_NS1_11comp_targetILNS1_3genE9ELNS1_11target_archE1100ELNS1_3gpuE3ELNS1_3repE0EEENS1_30default_config_static_selectorELNS0_4arch9wavefront6targetE1EEEvT1_.kd
    .uniform_work_group_size: 1
    .uses_dynamic_stack: false
    .vgpr_count:     0
    .vgpr_spill_count: 0
    .wavefront_size: 64
  - .agpr_count:     0
    .args:
      - .offset:         0
        .size:           104
        .value_kind:     by_value
    .group_segment_fixed_size: 0
    .kernarg_segment_align: 8
    .kernarg_segment_size: 104
    .language:       OpenCL C
    .language_version:
      - 2
      - 0
    .max_flat_workgroup_size: 256
    .name:           _ZN7rocprim17ROCPRIM_400000_NS6detail17trampoline_kernelINS0_14default_configENS1_20scan_config_selectorIxEEZZNS1_9scan_implILNS1_25lookback_scan_determinismE0ELb0ELb0ES3_N6thrust23THRUST_200600_302600_NS6detail15normal_iteratorINS9_10device_ptrIxEEEESE_x9plus_mod3IxExEEDaPvRmT3_T4_T5_mT6_P12ihipStream_tbENKUlT_T0_E_clISt17integral_constantIbLb0EEST_IbLb1EEEEDaSP_SQ_EUlSP_E_NS1_11comp_targetILNS1_3genE8ELNS1_11target_archE1030ELNS1_3gpuE2ELNS1_3repE0EEENS1_30default_config_static_selectorELNS0_4arch9wavefront6targetE1EEEvT1_
    .private_segment_fixed_size: 0
    .sgpr_count:     4
    .sgpr_spill_count: 0
    .symbol:         _ZN7rocprim17ROCPRIM_400000_NS6detail17trampoline_kernelINS0_14default_configENS1_20scan_config_selectorIxEEZZNS1_9scan_implILNS1_25lookback_scan_determinismE0ELb0ELb0ES3_N6thrust23THRUST_200600_302600_NS6detail15normal_iteratorINS9_10device_ptrIxEEEESE_x9plus_mod3IxExEEDaPvRmT3_T4_T5_mT6_P12ihipStream_tbENKUlT_T0_E_clISt17integral_constantIbLb0EEST_IbLb1EEEEDaSP_SQ_EUlSP_E_NS1_11comp_targetILNS1_3genE8ELNS1_11target_archE1030ELNS1_3gpuE2ELNS1_3repE0EEENS1_30default_config_static_selectorELNS0_4arch9wavefront6targetE1EEEvT1_.kd
    .uniform_work_group_size: 1
    .uses_dynamic_stack: false
    .vgpr_count:     0
    .vgpr_spill_count: 0
    .wavefront_size: 64
  - .agpr_count:     0
    .args:
      - .offset:         0
        .size:           40
        .value_kind:     by_value
    .group_segment_fixed_size: 0
    .kernarg_segment_align: 8
    .kernarg_segment_size: 40
    .language:       OpenCL C
    .language_version:
      - 2
      - 0
    .max_flat_workgroup_size: 256
    .name:           _ZN7rocprim17ROCPRIM_400000_NS6detail17trampoline_kernelINS0_14default_configENS1_20scan_config_selectorIxEEZZNS1_9scan_implILNS1_25lookback_scan_determinismE0ELb0ELb0ES3_N6thrust23THRUST_200600_302600_NS6detail15normal_iteratorINS9_10device_ptrIxEEEESE_x9plus_mod3IxExEEDaPvRmT3_T4_T5_mT6_P12ihipStream_tbENKUlT_T0_E_clISt17integral_constantIbLb0EEST_IbLb1EEEEDaSP_SQ_EUlSP_E0_NS1_11comp_targetILNS1_3genE0ELNS1_11target_archE4294967295ELNS1_3gpuE0ELNS1_3repE0EEENS1_30default_config_static_selectorELNS0_4arch9wavefront6targetE1EEEvT1_
    .private_segment_fixed_size: 0
    .sgpr_count:     4
    .sgpr_spill_count: 0
    .symbol:         _ZN7rocprim17ROCPRIM_400000_NS6detail17trampoline_kernelINS0_14default_configENS1_20scan_config_selectorIxEEZZNS1_9scan_implILNS1_25lookback_scan_determinismE0ELb0ELb0ES3_N6thrust23THRUST_200600_302600_NS6detail15normal_iteratorINS9_10device_ptrIxEEEESE_x9plus_mod3IxExEEDaPvRmT3_T4_T5_mT6_P12ihipStream_tbENKUlT_T0_E_clISt17integral_constantIbLb0EEST_IbLb1EEEEDaSP_SQ_EUlSP_E0_NS1_11comp_targetILNS1_3genE0ELNS1_11target_archE4294967295ELNS1_3gpuE0ELNS1_3repE0EEENS1_30default_config_static_selectorELNS0_4arch9wavefront6targetE1EEEvT1_.kd
    .uniform_work_group_size: 1
    .uses_dynamic_stack: false
    .vgpr_count:     0
    .vgpr_spill_count: 0
    .wavefront_size: 64
  - .agpr_count:     0
    .args:
      - .offset:         0
        .size:           40
        .value_kind:     by_value
    .group_segment_fixed_size: 0
    .kernarg_segment_align: 8
    .kernarg_segment_size: 40
    .language:       OpenCL C
    .language_version:
      - 2
      - 0
    .max_flat_workgroup_size: 256
    .name:           _ZN7rocprim17ROCPRIM_400000_NS6detail17trampoline_kernelINS0_14default_configENS1_20scan_config_selectorIxEEZZNS1_9scan_implILNS1_25lookback_scan_determinismE0ELb0ELb0ES3_N6thrust23THRUST_200600_302600_NS6detail15normal_iteratorINS9_10device_ptrIxEEEESE_x9plus_mod3IxExEEDaPvRmT3_T4_T5_mT6_P12ihipStream_tbENKUlT_T0_E_clISt17integral_constantIbLb0EEST_IbLb1EEEEDaSP_SQ_EUlSP_E0_NS1_11comp_targetILNS1_3genE5ELNS1_11target_archE942ELNS1_3gpuE9ELNS1_3repE0EEENS1_30default_config_static_selectorELNS0_4arch9wavefront6targetE1EEEvT1_
    .private_segment_fixed_size: 0
    .sgpr_count:     4
    .sgpr_spill_count: 0
    .symbol:         _ZN7rocprim17ROCPRIM_400000_NS6detail17trampoline_kernelINS0_14default_configENS1_20scan_config_selectorIxEEZZNS1_9scan_implILNS1_25lookback_scan_determinismE0ELb0ELb0ES3_N6thrust23THRUST_200600_302600_NS6detail15normal_iteratorINS9_10device_ptrIxEEEESE_x9plus_mod3IxExEEDaPvRmT3_T4_T5_mT6_P12ihipStream_tbENKUlT_T0_E_clISt17integral_constantIbLb0EEST_IbLb1EEEEDaSP_SQ_EUlSP_E0_NS1_11comp_targetILNS1_3genE5ELNS1_11target_archE942ELNS1_3gpuE9ELNS1_3repE0EEENS1_30default_config_static_selectorELNS0_4arch9wavefront6targetE1EEEvT1_.kd
    .uniform_work_group_size: 1
    .uses_dynamic_stack: false
    .vgpr_count:     0
    .vgpr_spill_count: 0
    .wavefront_size: 64
  - .agpr_count:     0
    .args:
      - .offset:         0
        .size:           40
        .value_kind:     by_value
    .group_segment_fixed_size: 7168
    .kernarg_segment_align: 8
    .kernarg_segment_size: 40
    .language:       OpenCL C
    .language_version:
      - 2
      - 0
    .max_flat_workgroup_size: 128
    .name:           _ZN7rocprim17ROCPRIM_400000_NS6detail17trampoline_kernelINS0_14default_configENS1_20scan_config_selectorIxEEZZNS1_9scan_implILNS1_25lookback_scan_determinismE0ELb0ELb0ES3_N6thrust23THRUST_200600_302600_NS6detail15normal_iteratorINS9_10device_ptrIxEEEESE_x9plus_mod3IxExEEDaPvRmT3_T4_T5_mT6_P12ihipStream_tbENKUlT_T0_E_clISt17integral_constantIbLb0EEST_IbLb1EEEEDaSP_SQ_EUlSP_E0_NS1_11comp_targetILNS1_3genE4ELNS1_11target_archE910ELNS1_3gpuE8ELNS1_3repE0EEENS1_30default_config_static_selectorELNS0_4arch9wavefront6targetE1EEEvT1_
    .private_segment_fixed_size: 0
    .sgpr_count:     28
    .sgpr_spill_count: 0
    .symbol:         _ZN7rocprim17ROCPRIM_400000_NS6detail17trampoline_kernelINS0_14default_configENS1_20scan_config_selectorIxEEZZNS1_9scan_implILNS1_25lookback_scan_determinismE0ELb0ELb0ES3_N6thrust23THRUST_200600_302600_NS6detail15normal_iteratorINS9_10device_ptrIxEEEESE_x9plus_mod3IxExEEDaPvRmT3_T4_T5_mT6_P12ihipStream_tbENKUlT_T0_E_clISt17integral_constantIbLb0EEST_IbLb1EEEEDaSP_SQ_EUlSP_E0_NS1_11comp_targetILNS1_3genE4ELNS1_11target_archE910ELNS1_3gpuE8ELNS1_3repE0EEENS1_30default_config_static_selectorELNS0_4arch9wavefront6targetE1EEEvT1_.kd
    .uniform_work_group_size: 1
    .uses_dynamic_stack: false
    .vgpr_count:     27
    .vgpr_spill_count: 0
    .wavefront_size: 64
  - .agpr_count:     0
    .args:
      - .offset:         0
        .size:           40
        .value_kind:     by_value
    .group_segment_fixed_size: 0
    .kernarg_segment_align: 8
    .kernarg_segment_size: 40
    .language:       OpenCL C
    .language_version:
      - 2
      - 0
    .max_flat_workgroup_size: 256
    .name:           _ZN7rocprim17ROCPRIM_400000_NS6detail17trampoline_kernelINS0_14default_configENS1_20scan_config_selectorIxEEZZNS1_9scan_implILNS1_25lookback_scan_determinismE0ELb0ELb0ES3_N6thrust23THRUST_200600_302600_NS6detail15normal_iteratorINS9_10device_ptrIxEEEESE_x9plus_mod3IxExEEDaPvRmT3_T4_T5_mT6_P12ihipStream_tbENKUlT_T0_E_clISt17integral_constantIbLb0EEST_IbLb1EEEEDaSP_SQ_EUlSP_E0_NS1_11comp_targetILNS1_3genE3ELNS1_11target_archE908ELNS1_3gpuE7ELNS1_3repE0EEENS1_30default_config_static_selectorELNS0_4arch9wavefront6targetE1EEEvT1_
    .private_segment_fixed_size: 0
    .sgpr_count:     4
    .sgpr_spill_count: 0
    .symbol:         _ZN7rocprim17ROCPRIM_400000_NS6detail17trampoline_kernelINS0_14default_configENS1_20scan_config_selectorIxEEZZNS1_9scan_implILNS1_25lookback_scan_determinismE0ELb0ELb0ES3_N6thrust23THRUST_200600_302600_NS6detail15normal_iteratorINS9_10device_ptrIxEEEESE_x9plus_mod3IxExEEDaPvRmT3_T4_T5_mT6_P12ihipStream_tbENKUlT_T0_E_clISt17integral_constantIbLb0EEST_IbLb1EEEEDaSP_SQ_EUlSP_E0_NS1_11comp_targetILNS1_3genE3ELNS1_11target_archE908ELNS1_3gpuE7ELNS1_3repE0EEENS1_30default_config_static_selectorELNS0_4arch9wavefront6targetE1EEEvT1_.kd
    .uniform_work_group_size: 1
    .uses_dynamic_stack: false
    .vgpr_count:     0
    .vgpr_spill_count: 0
    .wavefront_size: 64
  - .agpr_count:     0
    .args:
      - .offset:         0
        .size:           40
        .value_kind:     by_value
    .group_segment_fixed_size: 0
    .kernarg_segment_align: 8
    .kernarg_segment_size: 40
    .language:       OpenCL C
    .language_version:
      - 2
      - 0
    .max_flat_workgroup_size: 64
    .name:           _ZN7rocprim17ROCPRIM_400000_NS6detail17trampoline_kernelINS0_14default_configENS1_20scan_config_selectorIxEEZZNS1_9scan_implILNS1_25lookback_scan_determinismE0ELb0ELb0ES3_N6thrust23THRUST_200600_302600_NS6detail15normal_iteratorINS9_10device_ptrIxEEEESE_x9plus_mod3IxExEEDaPvRmT3_T4_T5_mT6_P12ihipStream_tbENKUlT_T0_E_clISt17integral_constantIbLb0EEST_IbLb1EEEEDaSP_SQ_EUlSP_E0_NS1_11comp_targetILNS1_3genE2ELNS1_11target_archE906ELNS1_3gpuE6ELNS1_3repE0EEENS1_30default_config_static_selectorELNS0_4arch9wavefront6targetE1EEEvT1_
    .private_segment_fixed_size: 0
    .sgpr_count:     4
    .sgpr_spill_count: 0
    .symbol:         _ZN7rocprim17ROCPRIM_400000_NS6detail17trampoline_kernelINS0_14default_configENS1_20scan_config_selectorIxEEZZNS1_9scan_implILNS1_25lookback_scan_determinismE0ELb0ELb0ES3_N6thrust23THRUST_200600_302600_NS6detail15normal_iteratorINS9_10device_ptrIxEEEESE_x9plus_mod3IxExEEDaPvRmT3_T4_T5_mT6_P12ihipStream_tbENKUlT_T0_E_clISt17integral_constantIbLb0EEST_IbLb1EEEEDaSP_SQ_EUlSP_E0_NS1_11comp_targetILNS1_3genE2ELNS1_11target_archE906ELNS1_3gpuE6ELNS1_3repE0EEENS1_30default_config_static_selectorELNS0_4arch9wavefront6targetE1EEEvT1_.kd
    .uniform_work_group_size: 1
    .uses_dynamic_stack: false
    .vgpr_count:     0
    .vgpr_spill_count: 0
    .wavefront_size: 64
  - .agpr_count:     0
    .args:
      - .offset:         0
        .size:           40
        .value_kind:     by_value
    .group_segment_fixed_size: 0
    .kernarg_segment_align: 8
    .kernarg_segment_size: 40
    .language:       OpenCL C
    .language_version:
      - 2
      - 0
    .max_flat_workgroup_size: 256
    .name:           _ZN7rocprim17ROCPRIM_400000_NS6detail17trampoline_kernelINS0_14default_configENS1_20scan_config_selectorIxEEZZNS1_9scan_implILNS1_25lookback_scan_determinismE0ELb0ELb0ES3_N6thrust23THRUST_200600_302600_NS6detail15normal_iteratorINS9_10device_ptrIxEEEESE_x9plus_mod3IxExEEDaPvRmT3_T4_T5_mT6_P12ihipStream_tbENKUlT_T0_E_clISt17integral_constantIbLb0EEST_IbLb1EEEEDaSP_SQ_EUlSP_E0_NS1_11comp_targetILNS1_3genE10ELNS1_11target_archE1201ELNS1_3gpuE5ELNS1_3repE0EEENS1_30default_config_static_selectorELNS0_4arch9wavefront6targetE1EEEvT1_
    .private_segment_fixed_size: 0
    .sgpr_count:     4
    .sgpr_spill_count: 0
    .symbol:         _ZN7rocprim17ROCPRIM_400000_NS6detail17trampoline_kernelINS0_14default_configENS1_20scan_config_selectorIxEEZZNS1_9scan_implILNS1_25lookback_scan_determinismE0ELb0ELb0ES3_N6thrust23THRUST_200600_302600_NS6detail15normal_iteratorINS9_10device_ptrIxEEEESE_x9plus_mod3IxExEEDaPvRmT3_T4_T5_mT6_P12ihipStream_tbENKUlT_T0_E_clISt17integral_constantIbLb0EEST_IbLb1EEEEDaSP_SQ_EUlSP_E0_NS1_11comp_targetILNS1_3genE10ELNS1_11target_archE1201ELNS1_3gpuE5ELNS1_3repE0EEENS1_30default_config_static_selectorELNS0_4arch9wavefront6targetE1EEEvT1_.kd
    .uniform_work_group_size: 1
    .uses_dynamic_stack: false
    .vgpr_count:     0
    .vgpr_spill_count: 0
    .wavefront_size: 64
  - .agpr_count:     0
    .args:
      - .offset:         0
        .size:           40
        .value_kind:     by_value
    .group_segment_fixed_size: 0
    .kernarg_segment_align: 8
    .kernarg_segment_size: 40
    .language:       OpenCL C
    .language_version:
      - 2
      - 0
    .max_flat_workgroup_size: 256
    .name:           _ZN7rocprim17ROCPRIM_400000_NS6detail17trampoline_kernelINS0_14default_configENS1_20scan_config_selectorIxEEZZNS1_9scan_implILNS1_25lookback_scan_determinismE0ELb0ELb0ES3_N6thrust23THRUST_200600_302600_NS6detail15normal_iteratorINS9_10device_ptrIxEEEESE_x9plus_mod3IxExEEDaPvRmT3_T4_T5_mT6_P12ihipStream_tbENKUlT_T0_E_clISt17integral_constantIbLb0EEST_IbLb1EEEEDaSP_SQ_EUlSP_E0_NS1_11comp_targetILNS1_3genE10ELNS1_11target_archE1200ELNS1_3gpuE4ELNS1_3repE0EEENS1_30default_config_static_selectorELNS0_4arch9wavefront6targetE1EEEvT1_
    .private_segment_fixed_size: 0
    .sgpr_count:     4
    .sgpr_spill_count: 0
    .symbol:         _ZN7rocprim17ROCPRIM_400000_NS6detail17trampoline_kernelINS0_14default_configENS1_20scan_config_selectorIxEEZZNS1_9scan_implILNS1_25lookback_scan_determinismE0ELb0ELb0ES3_N6thrust23THRUST_200600_302600_NS6detail15normal_iteratorINS9_10device_ptrIxEEEESE_x9plus_mod3IxExEEDaPvRmT3_T4_T5_mT6_P12ihipStream_tbENKUlT_T0_E_clISt17integral_constantIbLb0EEST_IbLb1EEEEDaSP_SQ_EUlSP_E0_NS1_11comp_targetILNS1_3genE10ELNS1_11target_archE1200ELNS1_3gpuE4ELNS1_3repE0EEENS1_30default_config_static_selectorELNS0_4arch9wavefront6targetE1EEEvT1_.kd
    .uniform_work_group_size: 1
    .uses_dynamic_stack: false
    .vgpr_count:     0
    .vgpr_spill_count: 0
    .wavefront_size: 64
  - .agpr_count:     0
    .args:
      - .offset:         0
        .size:           40
        .value_kind:     by_value
    .group_segment_fixed_size: 0
    .kernarg_segment_align: 8
    .kernarg_segment_size: 40
    .language:       OpenCL C
    .language_version:
      - 2
      - 0
    .max_flat_workgroup_size: 256
    .name:           _ZN7rocprim17ROCPRIM_400000_NS6detail17trampoline_kernelINS0_14default_configENS1_20scan_config_selectorIxEEZZNS1_9scan_implILNS1_25lookback_scan_determinismE0ELb0ELb0ES3_N6thrust23THRUST_200600_302600_NS6detail15normal_iteratorINS9_10device_ptrIxEEEESE_x9plus_mod3IxExEEDaPvRmT3_T4_T5_mT6_P12ihipStream_tbENKUlT_T0_E_clISt17integral_constantIbLb0EEST_IbLb1EEEEDaSP_SQ_EUlSP_E0_NS1_11comp_targetILNS1_3genE9ELNS1_11target_archE1100ELNS1_3gpuE3ELNS1_3repE0EEENS1_30default_config_static_selectorELNS0_4arch9wavefront6targetE1EEEvT1_
    .private_segment_fixed_size: 0
    .sgpr_count:     4
    .sgpr_spill_count: 0
    .symbol:         _ZN7rocprim17ROCPRIM_400000_NS6detail17trampoline_kernelINS0_14default_configENS1_20scan_config_selectorIxEEZZNS1_9scan_implILNS1_25lookback_scan_determinismE0ELb0ELb0ES3_N6thrust23THRUST_200600_302600_NS6detail15normal_iteratorINS9_10device_ptrIxEEEESE_x9plus_mod3IxExEEDaPvRmT3_T4_T5_mT6_P12ihipStream_tbENKUlT_T0_E_clISt17integral_constantIbLb0EEST_IbLb1EEEEDaSP_SQ_EUlSP_E0_NS1_11comp_targetILNS1_3genE9ELNS1_11target_archE1100ELNS1_3gpuE3ELNS1_3repE0EEENS1_30default_config_static_selectorELNS0_4arch9wavefront6targetE1EEEvT1_.kd
    .uniform_work_group_size: 1
    .uses_dynamic_stack: false
    .vgpr_count:     0
    .vgpr_spill_count: 0
    .wavefront_size: 64
  - .agpr_count:     0
    .args:
      - .offset:         0
        .size:           40
        .value_kind:     by_value
    .group_segment_fixed_size: 0
    .kernarg_segment_align: 8
    .kernarg_segment_size: 40
    .language:       OpenCL C
    .language_version:
      - 2
      - 0
    .max_flat_workgroup_size: 256
    .name:           _ZN7rocprim17ROCPRIM_400000_NS6detail17trampoline_kernelINS0_14default_configENS1_20scan_config_selectorIxEEZZNS1_9scan_implILNS1_25lookback_scan_determinismE0ELb0ELb0ES3_N6thrust23THRUST_200600_302600_NS6detail15normal_iteratorINS9_10device_ptrIxEEEESE_x9plus_mod3IxExEEDaPvRmT3_T4_T5_mT6_P12ihipStream_tbENKUlT_T0_E_clISt17integral_constantIbLb0EEST_IbLb1EEEEDaSP_SQ_EUlSP_E0_NS1_11comp_targetILNS1_3genE8ELNS1_11target_archE1030ELNS1_3gpuE2ELNS1_3repE0EEENS1_30default_config_static_selectorELNS0_4arch9wavefront6targetE1EEEvT1_
    .private_segment_fixed_size: 0
    .sgpr_count:     4
    .sgpr_spill_count: 0
    .symbol:         _ZN7rocprim17ROCPRIM_400000_NS6detail17trampoline_kernelINS0_14default_configENS1_20scan_config_selectorIxEEZZNS1_9scan_implILNS1_25lookback_scan_determinismE0ELb0ELb0ES3_N6thrust23THRUST_200600_302600_NS6detail15normal_iteratorINS9_10device_ptrIxEEEESE_x9plus_mod3IxExEEDaPvRmT3_T4_T5_mT6_P12ihipStream_tbENKUlT_T0_E_clISt17integral_constantIbLb0EEST_IbLb1EEEEDaSP_SQ_EUlSP_E0_NS1_11comp_targetILNS1_3genE8ELNS1_11target_archE1030ELNS1_3gpuE2ELNS1_3repE0EEENS1_30default_config_static_selectorELNS0_4arch9wavefront6targetE1EEEvT1_.kd
    .uniform_work_group_size: 1
    .uses_dynamic_stack: false
    .vgpr_count:     0
    .vgpr_spill_count: 0
    .wavefront_size: 64
  - .agpr_count:     0
    .args:
      - .offset:         0
        .size:           104
        .value_kind:     by_value
    .group_segment_fixed_size: 0
    .kernarg_segment_align: 8
    .kernarg_segment_size: 104
    .language:       OpenCL C
    .language_version:
      - 2
      - 0
    .max_flat_workgroup_size: 256
    .name:           _ZN7rocprim17ROCPRIM_400000_NS6detail17trampoline_kernelINS0_14default_configENS1_20scan_config_selectorIiEEZZNS1_9scan_implILNS1_25lookback_scan_determinismE0ELb0ELb0ES3_N6thrust23THRUST_200600_302600_NS6detail15normal_iteratorINS9_10device_ptrIiEEEESE_i9plus_mod3IiEiEEDaPvRmT3_T4_T5_mT6_P12ihipStream_tbENKUlT_T0_E_clISt17integral_constantIbLb0EESU_EEDaSP_SQ_EUlSP_E_NS1_11comp_targetILNS1_3genE0ELNS1_11target_archE4294967295ELNS1_3gpuE0ELNS1_3repE0EEENS1_30default_config_static_selectorELNS0_4arch9wavefront6targetE1EEEvT1_
    .private_segment_fixed_size: 0
    .sgpr_count:     4
    .sgpr_spill_count: 0
    .symbol:         _ZN7rocprim17ROCPRIM_400000_NS6detail17trampoline_kernelINS0_14default_configENS1_20scan_config_selectorIiEEZZNS1_9scan_implILNS1_25lookback_scan_determinismE0ELb0ELb0ES3_N6thrust23THRUST_200600_302600_NS6detail15normal_iteratorINS9_10device_ptrIiEEEESE_i9plus_mod3IiEiEEDaPvRmT3_T4_T5_mT6_P12ihipStream_tbENKUlT_T0_E_clISt17integral_constantIbLb0EESU_EEDaSP_SQ_EUlSP_E_NS1_11comp_targetILNS1_3genE0ELNS1_11target_archE4294967295ELNS1_3gpuE0ELNS1_3repE0EEENS1_30default_config_static_selectorELNS0_4arch9wavefront6targetE1EEEvT1_.kd
    .uniform_work_group_size: 1
    .uses_dynamic_stack: false
    .vgpr_count:     0
    .vgpr_spill_count: 0
    .wavefront_size: 64
  - .agpr_count:     0
    .args:
      - .offset:         0
        .size:           104
        .value_kind:     by_value
    .group_segment_fixed_size: 0
    .kernarg_segment_align: 8
    .kernarg_segment_size: 104
    .language:       OpenCL C
    .language_version:
      - 2
      - 0
    .max_flat_workgroup_size: 256
    .name:           _ZN7rocprim17ROCPRIM_400000_NS6detail17trampoline_kernelINS0_14default_configENS1_20scan_config_selectorIiEEZZNS1_9scan_implILNS1_25lookback_scan_determinismE0ELb0ELb0ES3_N6thrust23THRUST_200600_302600_NS6detail15normal_iteratorINS9_10device_ptrIiEEEESE_i9plus_mod3IiEiEEDaPvRmT3_T4_T5_mT6_P12ihipStream_tbENKUlT_T0_E_clISt17integral_constantIbLb0EESU_EEDaSP_SQ_EUlSP_E_NS1_11comp_targetILNS1_3genE5ELNS1_11target_archE942ELNS1_3gpuE9ELNS1_3repE0EEENS1_30default_config_static_selectorELNS0_4arch9wavefront6targetE1EEEvT1_
    .private_segment_fixed_size: 0
    .sgpr_count:     4
    .sgpr_spill_count: 0
    .symbol:         _ZN7rocprim17ROCPRIM_400000_NS6detail17trampoline_kernelINS0_14default_configENS1_20scan_config_selectorIiEEZZNS1_9scan_implILNS1_25lookback_scan_determinismE0ELb0ELb0ES3_N6thrust23THRUST_200600_302600_NS6detail15normal_iteratorINS9_10device_ptrIiEEEESE_i9plus_mod3IiEiEEDaPvRmT3_T4_T5_mT6_P12ihipStream_tbENKUlT_T0_E_clISt17integral_constantIbLb0EESU_EEDaSP_SQ_EUlSP_E_NS1_11comp_targetILNS1_3genE5ELNS1_11target_archE942ELNS1_3gpuE9ELNS1_3repE0EEENS1_30default_config_static_selectorELNS0_4arch9wavefront6targetE1EEEvT1_.kd
    .uniform_work_group_size: 1
    .uses_dynamic_stack: false
    .vgpr_count:     0
    .vgpr_spill_count: 0
    .wavefront_size: 64
  - .agpr_count:     0
    .args:
      - .offset:         0
        .size:           104
        .value_kind:     by_value
    .group_segment_fixed_size: 5120
    .kernarg_segment_align: 8
    .kernarg_segment_size: 104
    .language:       OpenCL C
    .language_version:
      - 2
      - 0
    .max_flat_workgroup_size: 128
    .name:           _ZN7rocprim17ROCPRIM_400000_NS6detail17trampoline_kernelINS0_14default_configENS1_20scan_config_selectorIiEEZZNS1_9scan_implILNS1_25lookback_scan_determinismE0ELb0ELb0ES3_N6thrust23THRUST_200600_302600_NS6detail15normal_iteratorINS9_10device_ptrIiEEEESE_i9plus_mod3IiEiEEDaPvRmT3_T4_T5_mT6_P12ihipStream_tbENKUlT_T0_E_clISt17integral_constantIbLb0EESU_EEDaSP_SQ_EUlSP_E_NS1_11comp_targetILNS1_3genE4ELNS1_11target_archE910ELNS1_3gpuE8ELNS1_3repE0EEENS1_30default_config_static_selectorELNS0_4arch9wavefront6targetE1EEEvT1_
    .private_segment_fixed_size: 0
    .sgpr_count:     44
    .sgpr_spill_count: 0
    .symbol:         _ZN7rocprim17ROCPRIM_400000_NS6detail17trampoline_kernelINS0_14default_configENS1_20scan_config_selectorIiEEZZNS1_9scan_implILNS1_25lookback_scan_determinismE0ELb0ELb0ES3_N6thrust23THRUST_200600_302600_NS6detail15normal_iteratorINS9_10device_ptrIiEEEESE_i9plus_mod3IiEiEEDaPvRmT3_T4_T5_mT6_P12ihipStream_tbENKUlT_T0_E_clISt17integral_constantIbLb0EESU_EEDaSP_SQ_EUlSP_E_NS1_11comp_targetILNS1_3genE4ELNS1_11target_archE910ELNS1_3gpuE8ELNS1_3repE0EEENS1_30default_config_static_selectorELNS0_4arch9wavefront6targetE1EEEvT1_.kd
    .uniform_work_group_size: 1
    .uses_dynamic_stack: false
    .vgpr_count:     42
    .vgpr_spill_count: 0
    .wavefront_size: 64
  - .agpr_count:     0
    .args:
      - .offset:         0
        .size:           104
        .value_kind:     by_value
    .group_segment_fixed_size: 0
    .kernarg_segment_align: 8
    .kernarg_segment_size: 104
    .language:       OpenCL C
    .language_version:
      - 2
      - 0
    .max_flat_workgroup_size: 256
    .name:           _ZN7rocprim17ROCPRIM_400000_NS6detail17trampoline_kernelINS0_14default_configENS1_20scan_config_selectorIiEEZZNS1_9scan_implILNS1_25lookback_scan_determinismE0ELb0ELb0ES3_N6thrust23THRUST_200600_302600_NS6detail15normal_iteratorINS9_10device_ptrIiEEEESE_i9plus_mod3IiEiEEDaPvRmT3_T4_T5_mT6_P12ihipStream_tbENKUlT_T0_E_clISt17integral_constantIbLb0EESU_EEDaSP_SQ_EUlSP_E_NS1_11comp_targetILNS1_3genE3ELNS1_11target_archE908ELNS1_3gpuE7ELNS1_3repE0EEENS1_30default_config_static_selectorELNS0_4arch9wavefront6targetE1EEEvT1_
    .private_segment_fixed_size: 0
    .sgpr_count:     4
    .sgpr_spill_count: 0
    .symbol:         _ZN7rocprim17ROCPRIM_400000_NS6detail17trampoline_kernelINS0_14default_configENS1_20scan_config_selectorIiEEZZNS1_9scan_implILNS1_25lookback_scan_determinismE0ELb0ELb0ES3_N6thrust23THRUST_200600_302600_NS6detail15normal_iteratorINS9_10device_ptrIiEEEESE_i9plus_mod3IiEiEEDaPvRmT3_T4_T5_mT6_P12ihipStream_tbENKUlT_T0_E_clISt17integral_constantIbLb0EESU_EEDaSP_SQ_EUlSP_E_NS1_11comp_targetILNS1_3genE3ELNS1_11target_archE908ELNS1_3gpuE7ELNS1_3repE0EEENS1_30default_config_static_selectorELNS0_4arch9wavefront6targetE1EEEvT1_.kd
    .uniform_work_group_size: 1
    .uses_dynamic_stack: false
    .vgpr_count:     0
    .vgpr_spill_count: 0
    .wavefront_size: 64
  - .agpr_count:     0
    .args:
      - .offset:         0
        .size:           104
        .value_kind:     by_value
    .group_segment_fixed_size: 0
    .kernarg_segment_align: 8
    .kernarg_segment_size: 104
    .language:       OpenCL C
    .language_version:
      - 2
      - 0
    .max_flat_workgroup_size: 256
    .name:           _ZN7rocprim17ROCPRIM_400000_NS6detail17trampoline_kernelINS0_14default_configENS1_20scan_config_selectorIiEEZZNS1_9scan_implILNS1_25lookback_scan_determinismE0ELb0ELb0ES3_N6thrust23THRUST_200600_302600_NS6detail15normal_iteratorINS9_10device_ptrIiEEEESE_i9plus_mod3IiEiEEDaPvRmT3_T4_T5_mT6_P12ihipStream_tbENKUlT_T0_E_clISt17integral_constantIbLb0EESU_EEDaSP_SQ_EUlSP_E_NS1_11comp_targetILNS1_3genE2ELNS1_11target_archE906ELNS1_3gpuE6ELNS1_3repE0EEENS1_30default_config_static_selectorELNS0_4arch9wavefront6targetE1EEEvT1_
    .private_segment_fixed_size: 0
    .sgpr_count:     4
    .sgpr_spill_count: 0
    .symbol:         _ZN7rocprim17ROCPRIM_400000_NS6detail17trampoline_kernelINS0_14default_configENS1_20scan_config_selectorIiEEZZNS1_9scan_implILNS1_25lookback_scan_determinismE0ELb0ELb0ES3_N6thrust23THRUST_200600_302600_NS6detail15normal_iteratorINS9_10device_ptrIiEEEESE_i9plus_mod3IiEiEEDaPvRmT3_T4_T5_mT6_P12ihipStream_tbENKUlT_T0_E_clISt17integral_constantIbLb0EESU_EEDaSP_SQ_EUlSP_E_NS1_11comp_targetILNS1_3genE2ELNS1_11target_archE906ELNS1_3gpuE6ELNS1_3repE0EEENS1_30default_config_static_selectorELNS0_4arch9wavefront6targetE1EEEvT1_.kd
    .uniform_work_group_size: 1
    .uses_dynamic_stack: false
    .vgpr_count:     0
    .vgpr_spill_count: 0
    .wavefront_size: 64
  - .agpr_count:     0
    .args:
      - .offset:         0
        .size:           104
        .value_kind:     by_value
    .group_segment_fixed_size: 0
    .kernarg_segment_align: 8
    .kernarg_segment_size: 104
    .language:       OpenCL C
    .language_version:
      - 2
      - 0
    .max_flat_workgroup_size: 256
    .name:           _ZN7rocprim17ROCPRIM_400000_NS6detail17trampoline_kernelINS0_14default_configENS1_20scan_config_selectorIiEEZZNS1_9scan_implILNS1_25lookback_scan_determinismE0ELb0ELb0ES3_N6thrust23THRUST_200600_302600_NS6detail15normal_iteratorINS9_10device_ptrIiEEEESE_i9plus_mod3IiEiEEDaPvRmT3_T4_T5_mT6_P12ihipStream_tbENKUlT_T0_E_clISt17integral_constantIbLb0EESU_EEDaSP_SQ_EUlSP_E_NS1_11comp_targetILNS1_3genE10ELNS1_11target_archE1201ELNS1_3gpuE5ELNS1_3repE0EEENS1_30default_config_static_selectorELNS0_4arch9wavefront6targetE1EEEvT1_
    .private_segment_fixed_size: 0
    .sgpr_count:     4
    .sgpr_spill_count: 0
    .symbol:         _ZN7rocprim17ROCPRIM_400000_NS6detail17trampoline_kernelINS0_14default_configENS1_20scan_config_selectorIiEEZZNS1_9scan_implILNS1_25lookback_scan_determinismE0ELb0ELb0ES3_N6thrust23THRUST_200600_302600_NS6detail15normal_iteratorINS9_10device_ptrIiEEEESE_i9plus_mod3IiEiEEDaPvRmT3_T4_T5_mT6_P12ihipStream_tbENKUlT_T0_E_clISt17integral_constantIbLb0EESU_EEDaSP_SQ_EUlSP_E_NS1_11comp_targetILNS1_3genE10ELNS1_11target_archE1201ELNS1_3gpuE5ELNS1_3repE0EEENS1_30default_config_static_selectorELNS0_4arch9wavefront6targetE1EEEvT1_.kd
    .uniform_work_group_size: 1
    .uses_dynamic_stack: false
    .vgpr_count:     0
    .vgpr_spill_count: 0
    .wavefront_size: 64
  - .agpr_count:     0
    .args:
      - .offset:         0
        .size:           104
        .value_kind:     by_value
    .group_segment_fixed_size: 0
    .kernarg_segment_align: 8
    .kernarg_segment_size: 104
    .language:       OpenCL C
    .language_version:
      - 2
      - 0
    .max_flat_workgroup_size: 256
    .name:           _ZN7rocprim17ROCPRIM_400000_NS6detail17trampoline_kernelINS0_14default_configENS1_20scan_config_selectorIiEEZZNS1_9scan_implILNS1_25lookback_scan_determinismE0ELb0ELb0ES3_N6thrust23THRUST_200600_302600_NS6detail15normal_iteratorINS9_10device_ptrIiEEEESE_i9plus_mod3IiEiEEDaPvRmT3_T4_T5_mT6_P12ihipStream_tbENKUlT_T0_E_clISt17integral_constantIbLb0EESU_EEDaSP_SQ_EUlSP_E_NS1_11comp_targetILNS1_3genE10ELNS1_11target_archE1200ELNS1_3gpuE4ELNS1_3repE0EEENS1_30default_config_static_selectorELNS0_4arch9wavefront6targetE1EEEvT1_
    .private_segment_fixed_size: 0
    .sgpr_count:     4
    .sgpr_spill_count: 0
    .symbol:         _ZN7rocprim17ROCPRIM_400000_NS6detail17trampoline_kernelINS0_14default_configENS1_20scan_config_selectorIiEEZZNS1_9scan_implILNS1_25lookback_scan_determinismE0ELb0ELb0ES3_N6thrust23THRUST_200600_302600_NS6detail15normal_iteratorINS9_10device_ptrIiEEEESE_i9plus_mod3IiEiEEDaPvRmT3_T4_T5_mT6_P12ihipStream_tbENKUlT_T0_E_clISt17integral_constantIbLb0EESU_EEDaSP_SQ_EUlSP_E_NS1_11comp_targetILNS1_3genE10ELNS1_11target_archE1200ELNS1_3gpuE4ELNS1_3repE0EEENS1_30default_config_static_selectorELNS0_4arch9wavefront6targetE1EEEvT1_.kd
    .uniform_work_group_size: 1
    .uses_dynamic_stack: false
    .vgpr_count:     0
    .vgpr_spill_count: 0
    .wavefront_size: 64
  - .agpr_count:     0
    .args:
      - .offset:         0
        .size:           104
        .value_kind:     by_value
    .group_segment_fixed_size: 0
    .kernarg_segment_align: 8
    .kernarg_segment_size: 104
    .language:       OpenCL C
    .language_version:
      - 2
      - 0
    .max_flat_workgroup_size: 256
    .name:           _ZN7rocprim17ROCPRIM_400000_NS6detail17trampoline_kernelINS0_14default_configENS1_20scan_config_selectorIiEEZZNS1_9scan_implILNS1_25lookback_scan_determinismE0ELb0ELb0ES3_N6thrust23THRUST_200600_302600_NS6detail15normal_iteratorINS9_10device_ptrIiEEEESE_i9plus_mod3IiEiEEDaPvRmT3_T4_T5_mT6_P12ihipStream_tbENKUlT_T0_E_clISt17integral_constantIbLb0EESU_EEDaSP_SQ_EUlSP_E_NS1_11comp_targetILNS1_3genE9ELNS1_11target_archE1100ELNS1_3gpuE3ELNS1_3repE0EEENS1_30default_config_static_selectorELNS0_4arch9wavefront6targetE1EEEvT1_
    .private_segment_fixed_size: 0
    .sgpr_count:     4
    .sgpr_spill_count: 0
    .symbol:         _ZN7rocprim17ROCPRIM_400000_NS6detail17trampoline_kernelINS0_14default_configENS1_20scan_config_selectorIiEEZZNS1_9scan_implILNS1_25lookback_scan_determinismE0ELb0ELb0ES3_N6thrust23THRUST_200600_302600_NS6detail15normal_iteratorINS9_10device_ptrIiEEEESE_i9plus_mod3IiEiEEDaPvRmT3_T4_T5_mT6_P12ihipStream_tbENKUlT_T0_E_clISt17integral_constantIbLb0EESU_EEDaSP_SQ_EUlSP_E_NS1_11comp_targetILNS1_3genE9ELNS1_11target_archE1100ELNS1_3gpuE3ELNS1_3repE0EEENS1_30default_config_static_selectorELNS0_4arch9wavefront6targetE1EEEvT1_.kd
    .uniform_work_group_size: 1
    .uses_dynamic_stack: false
    .vgpr_count:     0
    .vgpr_spill_count: 0
    .wavefront_size: 64
  - .agpr_count:     0
    .args:
      - .offset:         0
        .size:           104
        .value_kind:     by_value
    .group_segment_fixed_size: 0
    .kernarg_segment_align: 8
    .kernarg_segment_size: 104
    .language:       OpenCL C
    .language_version:
      - 2
      - 0
    .max_flat_workgroup_size: 64
    .name:           _ZN7rocprim17ROCPRIM_400000_NS6detail17trampoline_kernelINS0_14default_configENS1_20scan_config_selectorIiEEZZNS1_9scan_implILNS1_25lookback_scan_determinismE0ELb0ELb0ES3_N6thrust23THRUST_200600_302600_NS6detail15normal_iteratorINS9_10device_ptrIiEEEESE_i9plus_mod3IiEiEEDaPvRmT3_T4_T5_mT6_P12ihipStream_tbENKUlT_T0_E_clISt17integral_constantIbLb0EESU_EEDaSP_SQ_EUlSP_E_NS1_11comp_targetILNS1_3genE8ELNS1_11target_archE1030ELNS1_3gpuE2ELNS1_3repE0EEENS1_30default_config_static_selectorELNS0_4arch9wavefront6targetE1EEEvT1_
    .private_segment_fixed_size: 0
    .sgpr_count:     4
    .sgpr_spill_count: 0
    .symbol:         _ZN7rocprim17ROCPRIM_400000_NS6detail17trampoline_kernelINS0_14default_configENS1_20scan_config_selectorIiEEZZNS1_9scan_implILNS1_25lookback_scan_determinismE0ELb0ELb0ES3_N6thrust23THRUST_200600_302600_NS6detail15normal_iteratorINS9_10device_ptrIiEEEESE_i9plus_mod3IiEiEEDaPvRmT3_T4_T5_mT6_P12ihipStream_tbENKUlT_T0_E_clISt17integral_constantIbLb0EESU_EEDaSP_SQ_EUlSP_E_NS1_11comp_targetILNS1_3genE8ELNS1_11target_archE1030ELNS1_3gpuE2ELNS1_3repE0EEENS1_30default_config_static_selectorELNS0_4arch9wavefront6targetE1EEEvT1_.kd
    .uniform_work_group_size: 1
    .uses_dynamic_stack: false
    .vgpr_count:     0
    .vgpr_spill_count: 0
    .wavefront_size: 64
  - .agpr_count:     0
    .args:
      - .offset:         0
        .size:           40
        .value_kind:     by_value
    .group_segment_fixed_size: 0
    .kernarg_segment_align: 8
    .kernarg_segment_size: 40
    .language:       OpenCL C
    .language_version:
      - 2
      - 0
    .max_flat_workgroup_size: 256
    .name:           _ZN7rocprim17ROCPRIM_400000_NS6detail17trampoline_kernelINS0_14default_configENS1_20scan_config_selectorIiEEZZNS1_9scan_implILNS1_25lookback_scan_determinismE0ELb0ELb0ES3_N6thrust23THRUST_200600_302600_NS6detail15normal_iteratorINS9_10device_ptrIiEEEESE_i9plus_mod3IiEiEEDaPvRmT3_T4_T5_mT6_P12ihipStream_tbENKUlT_T0_E_clISt17integral_constantIbLb0EESU_EEDaSP_SQ_EUlSP_E0_NS1_11comp_targetILNS1_3genE0ELNS1_11target_archE4294967295ELNS1_3gpuE0ELNS1_3repE0EEENS1_30default_config_static_selectorELNS0_4arch9wavefront6targetE1EEEvT1_
    .private_segment_fixed_size: 0
    .sgpr_count:     4
    .sgpr_spill_count: 0
    .symbol:         _ZN7rocprim17ROCPRIM_400000_NS6detail17trampoline_kernelINS0_14default_configENS1_20scan_config_selectorIiEEZZNS1_9scan_implILNS1_25lookback_scan_determinismE0ELb0ELb0ES3_N6thrust23THRUST_200600_302600_NS6detail15normal_iteratorINS9_10device_ptrIiEEEESE_i9plus_mod3IiEiEEDaPvRmT3_T4_T5_mT6_P12ihipStream_tbENKUlT_T0_E_clISt17integral_constantIbLb0EESU_EEDaSP_SQ_EUlSP_E0_NS1_11comp_targetILNS1_3genE0ELNS1_11target_archE4294967295ELNS1_3gpuE0ELNS1_3repE0EEENS1_30default_config_static_selectorELNS0_4arch9wavefront6targetE1EEEvT1_.kd
    .uniform_work_group_size: 1
    .uses_dynamic_stack: false
    .vgpr_count:     0
    .vgpr_spill_count: 0
    .wavefront_size: 64
  - .agpr_count:     0
    .args:
      - .offset:         0
        .size:           40
        .value_kind:     by_value
    .group_segment_fixed_size: 0
    .kernarg_segment_align: 8
    .kernarg_segment_size: 40
    .language:       OpenCL C
    .language_version:
      - 2
      - 0
    .max_flat_workgroup_size: 256
    .name:           _ZN7rocprim17ROCPRIM_400000_NS6detail17trampoline_kernelINS0_14default_configENS1_20scan_config_selectorIiEEZZNS1_9scan_implILNS1_25lookback_scan_determinismE0ELb0ELb0ES3_N6thrust23THRUST_200600_302600_NS6detail15normal_iteratorINS9_10device_ptrIiEEEESE_i9plus_mod3IiEiEEDaPvRmT3_T4_T5_mT6_P12ihipStream_tbENKUlT_T0_E_clISt17integral_constantIbLb0EESU_EEDaSP_SQ_EUlSP_E0_NS1_11comp_targetILNS1_3genE5ELNS1_11target_archE942ELNS1_3gpuE9ELNS1_3repE0EEENS1_30default_config_static_selectorELNS0_4arch9wavefront6targetE1EEEvT1_
    .private_segment_fixed_size: 0
    .sgpr_count:     4
    .sgpr_spill_count: 0
    .symbol:         _ZN7rocprim17ROCPRIM_400000_NS6detail17trampoline_kernelINS0_14default_configENS1_20scan_config_selectorIiEEZZNS1_9scan_implILNS1_25lookback_scan_determinismE0ELb0ELb0ES3_N6thrust23THRUST_200600_302600_NS6detail15normal_iteratorINS9_10device_ptrIiEEEESE_i9plus_mod3IiEiEEDaPvRmT3_T4_T5_mT6_P12ihipStream_tbENKUlT_T0_E_clISt17integral_constantIbLb0EESU_EEDaSP_SQ_EUlSP_E0_NS1_11comp_targetILNS1_3genE5ELNS1_11target_archE942ELNS1_3gpuE9ELNS1_3repE0EEENS1_30default_config_static_selectorELNS0_4arch9wavefront6targetE1EEEvT1_.kd
    .uniform_work_group_size: 1
    .uses_dynamic_stack: false
    .vgpr_count:     0
    .vgpr_spill_count: 0
    .wavefront_size: 64
  - .agpr_count:     0
    .args:
      - .offset:         0
        .size:           40
        .value_kind:     by_value
    .group_segment_fixed_size: 5120
    .kernarg_segment_align: 8
    .kernarg_segment_size: 40
    .language:       OpenCL C
    .language_version:
      - 2
      - 0
    .max_flat_workgroup_size: 128
    .name:           _ZN7rocprim17ROCPRIM_400000_NS6detail17trampoline_kernelINS0_14default_configENS1_20scan_config_selectorIiEEZZNS1_9scan_implILNS1_25lookback_scan_determinismE0ELb0ELb0ES3_N6thrust23THRUST_200600_302600_NS6detail15normal_iteratorINS9_10device_ptrIiEEEESE_i9plus_mod3IiEiEEDaPvRmT3_T4_T5_mT6_P12ihipStream_tbENKUlT_T0_E_clISt17integral_constantIbLb0EESU_EEDaSP_SQ_EUlSP_E0_NS1_11comp_targetILNS1_3genE4ELNS1_11target_archE910ELNS1_3gpuE8ELNS1_3repE0EEENS1_30default_config_static_selectorELNS0_4arch9wavefront6targetE1EEEvT1_
    .private_segment_fixed_size: 0
    .sgpr_count:     32
    .sgpr_spill_count: 0
    .symbol:         _ZN7rocprim17ROCPRIM_400000_NS6detail17trampoline_kernelINS0_14default_configENS1_20scan_config_selectorIiEEZZNS1_9scan_implILNS1_25lookback_scan_determinismE0ELb0ELb0ES3_N6thrust23THRUST_200600_302600_NS6detail15normal_iteratorINS9_10device_ptrIiEEEESE_i9plus_mod3IiEiEEDaPvRmT3_T4_T5_mT6_P12ihipStream_tbENKUlT_T0_E_clISt17integral_constantIbLb0EESU_EEDaSP_SQ_EUlSP_E0_NS1_11comp_targetILNS1_3genE4ELNS1_11target_archE910ELNS1_3gpuE8ELNS1_3repE0EEENS1_30default_config_static_selectorELNS0_4arch9wavefront6targetE1EEEvT1_.kd
    .uniform_work_group_size: 1
    .uses_dynamic_stack: false
    .vgpr_count:     22
    .vgpr_spill_count: 0
    .wavefront_size: 64
  - .agpr_count:     0
    .args:
      - .offset:         0
        .size:           40
        .value_kind:     by_value
    .group_segment_fixed_size: 0
    .kernarg_segment_align: 8
    .kernarg_segment_size: 40
    .language:       OpenCL C
    .language_version:
      - 2
      - 0
    .max_flat_workgroup_size: 256
    .name:           _ZN7rocprim17ROCPRIM_400000_NS6detail17trampoline_kernelINS0_14default_configENS1_20scan_config_selectorIiEEZZNS1_9scan_implILNS1_25lookback_scan_determinismE0ELb0ELb0ES3_N6thrust23THRUST_200600_302600_NS6detail15normal_iteratorINS9_10device_ptrIiEEEESE_i9plus_mod3IiEiEEDaPvRmT3_T4_T5_mT6_P12ihipStream_tbENKUlT_T0_E_clISt17integral_constantIbLb0EESU_EEDaSP_SQ_EUlSP_E0_NS1_11comp_targetILNS1_3genE3ELNS1_11target_archE908ELNS1_3gpuE7ELNS1_3repE0EEENS1_30default_config_static_selectorELNS0_4arch9wavefront6targetE1EEEvT1_
    .private_segment_fixed_size: 0
    .sgpr_count:     4
    .sgpr_spill_count: 0
    .symbol:         _ZN7rocprim17ROCPRIM_400000_NS6detail17trampoline_kernelINS0_14default_configENS1_20scan_config_selectorIiEEZZNS1_9scan_implILNS1_25lookback_scan_determinismE0ELb0ELb0ES3_N6thrust23THRUST_200600_302600_NS6detail15normal_iteratorINS9_10device_ptrIiEEEESE_i9plus_mod3IiEiEEDaPvRmT3_T4_T5_mT6_P12ihipStream_tbENKUlT_T0_E_clISt17integral_constantIbLb0EESU_EEDaSP_SQ_EUlSP_E0_NS1_11comp_targetILNS1_3genE3ELNS1_11target_archE908ELNS1_3gpuE7ELNS1_3repE0EEENS1_30default_config_static_selectorELNS0_4arch9wavefront6targetE1EEEvT1_.kd
    .uniform_work_group_size: 1
    .uses_dynamic_stack: false
    .vgpr_count:     0
    .vgpr_spill_count: 0
    .wavefront_size: 64
  - .agpr_count:     0
    .args:
      - .offset:         0
        .size:           40
        .value_kind:     by_value
    .group_segment_fixed_size: 0
    .kernarg_segment_align: 8
    .kernarg_segment_size: 40
    .language:       OpenCL C
    .language_version:
      - 2
      - 0
    .max_flat_workgroup_size: 256
    .name:           _ZN7rocprim17ROCPRIM_400000_NS6detail17trampoline_kernelINS0_14default_configENS1_20scan_config_selectorIiEEZZNS1_9scan_implILNS1_25lookback_scan_determinismE0ELb0ELb0ES3_N6thrust23THRUST_200600_302600_NS6detail15normal_iteratorINS9_10device_ptrIiEEEESE_i9plus_mod3IiEiEEDaPvRmT3_T4_T5_mT6_P12ihipStream_tbENKUlT_T0_E_clISt17integral_constantIbLb0EESU_EEDaSP_SQ_EUlSP_E0_NS1_11comp_targetILNS1_3genE2ELNS1_11target_archE906ELNS1_3gpuE6ELNS1_3repE0EEENS1_30default_config_static_selectorELNS0_4arch9wavefront6targetE1EEEvT1_
    .private_segment_fixed_size: 0
    .sgpr_count:     4
    .sgpr_spill_count: 0
    .symbol:         _ZN7rocprim17ROCPRIM_400000_NS6detail17trampoline_kernelINS0_14default_configENS1_20scan_config_selectorIiEEZZNS1_9scan_implILNS1_25lookback_scan_determinismE0ELb0ELb0ES3_N6thrust23THRUST_200600_302600_NS6detail15normal_iteratorINS9_10device_ptrIiEEEESE_i9plus_mod3IiEiEEDaPvRmT3_T4_T5_mT6_P12ihipStream_tbENKUlT_T0_E_clISt17integral_constantIbLb0EESU_EEDaSP_SQ_EUlSP_E0_NS1_11comp_targetILNS1_3genE2ELNS1_11target_archE906ELNS1_3gpuE6ELNS1_3repE0EEENS1_30default_config_static_selectorELNS0_4arch9wavefront6targetE1EEEvT1_.kd
    .uniform_work_group_size: 1
    .uses_dynamic_stack: false
    .vgpr_count:     0
    .vgpr_spill_count: 0
    .wavefront_size: 64
  - .agpr_count:     0
    .args:
      - .offset:         0
        .size:           40
        .value_kind:     by_value
    .group_segment_fixed_size: 0
    .kernarg_segment_align: 8
    .kernarg_segment_size: 40
    .language:       OpenCL C
    .language_version:
      - 2
      - 0
    .max_flat_workgroup_size: 256
    .name:           _ZN7rocprim17ROCPRIM_400000_NS6detail17trampoline_kernelINS0_14default_configENS1_20scan_config_selectorIiEEZZNS1_9scan_implILNS1_25lookback_scan_determinismE0ELb0ELb0ES3_N6thrust23THRUST_200600_302600_NS6detail15normal_iteratorINS9_10device_ptrIiEEEESE_i9plus_mod3IiEiEEDaPvRmT3_T4_T5_mT6_P12ihipStream_tbENKUlT_T0_E_clISt17integral_constantIbLb0EESU_EEDaSP_SQ_EUlSP_E0_NS1_11comp_targetILNS1_3genE10ELNS1_11target_archE1201ELNS1_3gpuE5ELNS1_3repE0EEENS1_30default_config_static_selectorELNS0_4arch9wavefront6targetE1EEEvT1_
    .private_segment_fixed_size: 0
    .sgpr_count:     4
    .sgpr_spill_count: 0
    .symbol:         _ZN7rocprim17ROCPRIM_400000_NS6detail17trampoline_kernelINS0_14default_configENS1_20scan_config_selectorIiEEZZNS1_9scan_implILNS1_25lookback_scan_determinismE0ELb0ELb0ES3_N6thrust23THRUST_200600_302600_NS6detail15normal_iteratorINS9_10device_ptrIiEEEESE_i9plus_mod3IiEiEEDaPvRmT3_T4_T5_mT6_P12ihipStream_tbENKUlT_T0_E_clISt17integral_constantIbLb0EESU_EEDaSP_SQ_EUlSP_E0_NS1_11comp_targetILNS1_3genE10ELNS1_11target_archE1201ELNS1_3gpuE5ELNS1_3repE0EEENS1_30default_config_static_selectorELNS0_4arch9wavefront6targetE1EEEvT1_.kd
    .uniform_work_group_size: 1
    .uses_dynamic_stack: false
    .vgpr_count:     0
    .vgpr_spill_count: 0
    .wavefront_size: 64
  - .agpr_count:     0
    .args:
      - .offset:         0
        .size:           40
        .value_kind:     by_value
    .group_segment_fixed_size: 0
    .kernarg_segment_align: 8
    .kernarg_segment_size: 40
    .language:       OpenCL C
    .language_version:
      - 2
      - 0
    .max_flat_workgroup_size: 256
    .name:           _ZN7rocprim17ROCPRIM_400000_NS6detail17trampoline_kernelINS0_14default_configENS1_20scan_config_selectorIiEEZZNS1_9scan_implILNS1_25lookback_scan_determinismE0ELb0ELb0ES3_N6thrust23THRUST_200600_302600_NS6detail15normal_iteratorINS9_10device_ptrIiEEEESE_i9plus_mod3IiEiEEDaPvRmT3_T4_T5_mT6_P12ihipStream_tbENKUlT_T0_E_clISt17integral_constantIbLb0EESU_EEDaSP_SQ_EUlSP_E0_NS1_11comp_targetILNS1_3genE10ELNS1_11target_archE1200ELNS1_3gpuE4ELNS1_3repE0EEENS1_30default_config_static_selectorELNS0_4arch9wavefront6targetE1EEEvT1_
    .private_segment_fixed_size: 0
    .sgpr_count:     4
    .sgpr_spill_count: 0
    .symbol:         _ZN7rocprim17ROCPRIM_400000_NS6detail17trampoline_kernelINS0_14default_configENS1_20scan_config_selectorIiEEZZNS1_9scan_implILNS1_25lookback_scan_determinismE0ELb0ELb0ES3_N6thrust23THRUST_200600_302600_NS6detail15normal_iteratorINS9_10device_ptrIiEEEESE_i9plus_mod3IiEiEEDaPvRmT3_T4_T5_mT6_P12ihipStream_tbENKUlT_T0_E_clISt17integral_constantIbLb0EESU_EEDaSP_SQ_EUlSP_E0_NS1_11comp_targetILNS1_3genE10ELNS1_11target_archE1200ELNS1_3gpuE4ELNS1_3repE0EEENS1_30default_config_static_selectorELNS0_4arch9wavefront6targetE1EEEvT1_.kd
    .uniform_work_group_size: 1
    .uses_dynamic_stack: false
    .vgpr_count:     0
    .vgpr_spill_count: 0
    .wavefront_size: 64
  - .agpr_count:     0
    .args:
      - .offset:         0
        .size:           40
        .value_kind:     by_value
    .group_segment_fixed_size: 0
    .kernarg_segment_align: 8
    .kernarg_segment_size: 40
    .language:       OpenCL C
    .language_version:
      - 2
      - 0
    .max_flat_workgroup_size: 256
    .name:           _ZN7rocprim17ROCPRIM_400000_NS6detail17trampoline_kernelINS0_14default_configENS1_20scan_config_selectorIiEEZZNS1_9scan_implILNS1_25lookback_scan_determinismE0ELb0ELb0ES3_N6thrust23THRUST_200600_302600_NS6detail15normal_iteratorINS9_10device_ptrIiEEEESE_i9plus_mod3IiEiEEDaPvRmT3_T4_T5_mT6_P12ihipStream_tbENKUlT_T0_E_clISt17integral_constantIbLb0EESU_EEDaSP_SQ_EUlSP_E0_NS1_11comp_targetILNS1_3genE9ELNS1_11target_archE1100ELNS1_3gpuE3ELNS1_3repE0EEENS1_30default_config_static_selectorELNS0_4arch9wavefront6targetE1EEEvT1_
    .private_segment_fixed_size: 0
    .sgpr_count:     4
    .sgpr_spill_count: 0
    .symbol:         _ZN7rocprim17ROCPRIM_400000_NS6detail17trampoline_kernelINS0_14default_configENS1_20scan_config_selectorIiEEZZNS1_9scan_implILNS1_25lookback_scan_determinismE0ELb0ELb0ES3_N6thrust23THRUST_200600_302600_NS6detail15normal_iteratorINS9_10device_ptrIiEEEESE_i9plus_mod3IiEiEEDaPvRmT3_T4_T5_mT6_P12ihipStream_tbENKUlT_T0_E_clISt17integral_constantIbLb0EESU_EEDaSP_SQ_EUlSP_E0_NS1_11comp_targetILNS1_3genE9ELNS1_11target_archE1100ELNS1_3gpuE3ELNS1_3repE0EEENS1_30default_config_static_selectorELNS0_4arch9wavefront6targetE1EEEvT1_.kd
    .uniform_work_group_size: 1
    .uses_dynamic_stack: false
    .vgpr_count:     0
    .vgpr_spill_count: 0
    .wavefront_size: 64
  - .agpr_count:     0
    .args:
      - .offset:         0
        .size:           40
        .value_kind:     by_value
    .group_segment_fixed_size: 0
    .kernarg_segment_align: 8
    .kernarg_segment_size: 40
    .language:       OpenCL C
    .language_version:
      - 2
      - 0
    .max_flat_workgroup_size: 64
    .name:           _ZN7rocprim17ROCPRIM_400000_NS6detail17trampoline_kernelINS0_14default_configENS1_20scan_config_selectorIiEEZZNS1_9scan_implILNS1_25lookback_scan_determinismE0ELb0ELb0ES3_N6thrust23THRUST_200600_302600_NS6detail15normal_iteratorINS9_10device_ptrIiEEEESE_i9plus_mod3IiEiEEDaPvRmT3_T4_T5_mT6_P12ihipStream_tbENKUlT_T0_E_clISt17integral_constantIbLb0EESU_EEDaSP_SQ_EUlSP_E0_NS1_11comp_targetILNS1_3genE8ELNS1_11target_archE1030ELNS1_3gpuE2ELNS1_3repE0EEENS1_30default_config_static_selectorELNS0_4arch9wavefront6targetE1EEEvT1_
    .private_segment_fixed_size: 0
    .sgpr_count:     4
    .sgpr_spill_count: 0
    .symbol:         _ZN7rocprim17ROCPRIM_400000_NS6detail17trampoline_kernelINS0_14default_configENS1_20scan_config_selectorIiEEZZNS1_9scan_implILNS1_25lookback_scan_determinismE0ELb0ELb0ES3_N6thrust23THRUST_200600_302600_NS6detail15normal_iteratorINS9_10device_ptrIiEEEESE_i9plus_mod3IiEiEEDaPvRmT3_T4_T5_mT6_P12ihipStream_tbENKUlT_T0_E_clISt17integral_constantIbLb0EESU_EEDaSP_SQ_EUlSP_E0_NS1_11comp_targetILNS1_3genE8ELNS1_11target_archE1030ELNS1_3gpuE2ELNS1_3repE0EEENS1_30default_config_static_selectorELNS0_4arch9wavefront6targetE1EEEvT1_.kd
    .uniform_work_group_size: 1
    .uses_dynamic_stack: false
    .vgpr_count:     0
    .vgpr_spill_count: 0
    .wavefront_size: 64
  - .agpr_count:     0
    .args:
      - .offset:         0
        .size:           104
        .value_kind:     by_value
    .group_segment_fixed_size: 0
    .kernarg_segment_align: 8
    .kernarg_segment_size: 104
    .language:       OpenCL C
    .language_version:
      - 2
      - 0
    .max_flat_workgroup_size: 256
    .name:           _ZN7rocprim17ROCPRIM_400000_NS6detail17trampoline_kernelINS0_14default_configENS1_20scan_config_selectorIiEEZZNS1_9scan_implILNS1_25lookback_scan_determinismE0ELb0ELb0ES3_N6thrust23THRUST_200600_302600_NS6detail15normal_iteratorINS9_10device_ptrIiEEEESE_i9plus_mod3IiEiEEDaPvRmT3_T4_T5_mT6_P12ihipStream_tbENKUlT_T0_E_clISt17integral_constantIbLb1EESU_EEDaSP_SQ_EUlSP_E_NS1_11comp_targetILNS1_3genE0ELNS1_11target_archE4294967295ELNS1_3gpuE0ELNS1_3repE0EEENS1_30default_config_static_selectorELNS0_4arch9wavefront6targetE1EEEvT1_
    .private_segment_fixed_size: 0
    .sgpr_count:     4
    .sgpr_spill_count: 0
    .symbol:         _ZN7rocprim17ROCPRIM_400000_NS6detail17trampoline_kernelINS0_14default_configENS1_20scan_config_selectorIiEEZZNS1_9scan_implILNS1_25lookback_scan_determinismE0ELb0ELb0ES3_N6thrust23THRUST_200600_302600_NS6detail15normal_iteratorINS9_10device_ptrIiEEEESE_i9plus_mod3IiEiEEDaPvRmT3_T4_T5_mT6_P12ihipStream_tbENKUlT_T0_E_clISt17integral_constantIbLb1EESU_EEDaSP_SQ_EUlSP_E_NS1_11comp_targetILNS1_3genE0ELNS1_11target_archE4294967295ELNS1_3gpuE0ELNS1_3repE0EEENS1_30default_config_static_selectorELNS0_4arch9wavefront6targetE1EEEvT1_.kd
    .uniform_work_group_size: 1
    .uses_dynamic_stack: false
    .vgpr_count:     0
    .vgpr_spill_count: 0
    .wavefront_size: 64
  - .agpr_count:     0
    .args:
      - .offset:         0
        .size:           104
        .value_kind:     by_value
    .group_segment_fixed_size: 0
    .kernarg_segment_align: 8
    .kernarg_segment_size: 104
    .language:       OpenCL C
    .language_version:
      - 2
      - 0
    .max_flat_workgroup_size: 256
    .name:           _ZN7rocprim17ROCPRIM_400000_NS6detail17trampoline_kernelINS0_14default_configENS1_20scan_config_selectorIiEEZZNS1_9scan_implILNS1_25lookback_scan_determinismE0ELb0ELb0ES3_N6thrust23THRUST_200600_302600_NS6detail15normal_iteratorINS9_10device_ptrIiEEEESE_i9plus_mod3IiEiEEDaPvRmT3_T4_T5_mT6_P12ihipStream_tbENKUlT_T0_E_clISt17integral_constantIbLb1EESU_EEDaSP_SQ_EUlSP_E_NS1_11comp_targetILNS1_3genE5ELNS1_11target_archE942ELNS1_3gpuE9ELNS1_3repE0EEENS1_30default_config_static_selectorELNS0_4arch9wavefront6targetE1EEEvT1_
    .private_segment_fixed_size: 0
    .sgpr_count:     4
    .sgpr_spill_count: 0
    .symbol:         _ZN7rocprim17ROCPRIM_400000_NS6detail17trampoline_kernelINS0_14default_configENS1_20scan_config_selectorIiEEZZNS1_9scan_implILNS1_25lookback_scan_determinismE0ELb0ELb0ES3_N6thrust23THRUST_200600_302600_NS6detail15normal_iteratorINS9_10device_ptrIiEEEESE_i9plus_mod3IiEiEEDaPvRmT3_T4_T5_mT6_P12ihipStream_tbENKUlT_T0_E_clISt17integral_constantIbLb1EESU_EEDaSP_SQ_EUlSP_E_NS1_11comp_targetILNS1_3genE5ELNS1_11target_archE942ELNS1_3gpuE9ELNS1_3repE0EEENS1_30default_config_static_selectorELNS0_4arch9wavefront6targetE1EEEvT1_.kd
    .uniform_work_group_size: 1
    .uses_dynamic_stack: false
    .vgpr_count:     0
    .vgpr_spill_count: 0
    .wavefront_size: 64
  - .agpr_count:     0
    .args:
      - .offset:         0
        .size:           104
        .value_kind:     by_value
    .group_segment_fixed_size: 5120
    .kernarg_segment_align: 8
    .kernarg_segment_size: 104
    .language:       OpenCL C
    .language_version:
      - 2
      - 0
    .max_flat_workgroup_size: 128
    .name:           _ZN7rocprim17ROCPRIM_400000_NS6detail17trampoline_kernelINS0_14default_configENS1_20scan_config_selectorIiEEZZNS1_9scan_implILNS1_25lookback_scan_determinismE0ELb0ELb0ES3_N6thrust23THRUST_200600_302600_NS6detail15normal_iteratorINS9_10device_ptrIiEEEESE_i9plus_mod3IiEiEEDaPvRmT3_T4_T5_mT6_P12ihipStream_tbENKUlT_T0_E_clISt17integral_constantIbLb1EESU_EEDaSP_SQ_EUlSP_E_NS1_11comp_targetILNS1_3genE4ELNS1_11target_archE910ELNS1_3gpuE8ELNS1_3repE0EEENS1_30default_config_static_selectorELNS0_4arch9wavefront6targetE1EEEvT1_
    .private_segment_fixed_size: 0
    .sgpr_count:     48
    .sgpr_spill_count: 0
    .symbol:         _ZN7rocprim17ROCPRIM_400000_NS6detail17trampoline_kernelINS0_14default_configENS1_20scan_config_selectorIiEEZZNS1_9scan_implILNS1_25lookback_scan_determinismE0ELb0ELb0ES3_N6thrust23THRUST_200600_302600_NS6detail15normal_iteratorINS9_10device_ptrIiEEEESE_i9plus_mod3IiEiEEDaPvRmT3_T4_T5_mT6_P12ihipStream_tbENKUlT_T0_E_clISt17integral_constantIbLb1EESU_EEDaSP_SQ_EUlSP_E_NS1_11comp_targetILNS1_3genE4ELNS1_11target_archE910ELNS1_3gpuE8ELNS1_3repE0EEENS1_30default_config_static_selectorELNS0_4arch9wavefront6targetE1EEEvT1_.kd
    .uniform_work_group_size: 1
    .uses_dynamic_stack: false
    .vgpr_count:     42
    .vgpr_spill_count: 0
    .wavefront_size: 64
  - .agpr_count:     0
    .args:
      - .offset:         0
        .size:           104
        .value_kind:     by_value
    .group_segment_fixed_size: 0
    .kernarg_segment_align: 8
    .kernarg_segment_size: 104
    .language:       OpenCL C
    .language_version:
      - 2
      - 0
    .max_flat_workgroup_size: 256
    .name:           _ZN7rocprim17ROCPRIM_400000_NS6detail17trampoline_kernelINS0_14default_configENS1_20scan_config_selectorIiEEZZNS1_9scan_implILNS1_25lookback_scan_determinismE0ELb0ELb0ES3_N6thrust23THRUST_200600_302600_NS6detail15normal_iteratorINS9_10device_ptrIiEEEESE_i9plus_mod3IiEiEEDaPvRmT3_T4_T5_mT6_P12ihipStream_tbENKUlT_T0_E_clISt17integral_constantIbLb1EESU_EEDaSP_SQ_EUlSP_E_NS1_11comp_targetILNS1_3genE3ELNS1_11target_archE908ELNS1_3gpuE7ELNS1_3repE0EEENS1_30default_config_static_selectorELNS0_4arch9wavefront6targetE1EEEvT1_
    .private_segment_fixed_size: 0
    .sgpr_count:     4
    .sgpr_spill_count: 0
    .symbol:         _ZN7rocprim17ROCPRIM_400000_NS6detail17trampoline_kernelINS0_14default_configENS1_20scan_config_selectorIiEEZZNS1_9scan_implILNS1_25lookback_scan_determinismE0ELb0ELb0ES3_N6thrust23THRUST_200600_302600_NS6detail15normal_iteratorINS9_10device_ptrIiEEEESE_i9plus_mod3IiEiEEDaPvRmT3_T4_T5_mT6_P12ihipStream_tbENKUlT_T0_E_clISt17integral_constantIbLb1EESU_EEDaSP_SQ_EUlSP_E_NS1_11comp_targetILNS1_3genE3ELNS1_11target_archE908ELNS1_3gpuE7ELNS1_3repE0EEENS1_30default_config_static_selectorELNS0_4arch9wavefront6targetE1EEEvT1_.kd
    .uniform_work_group_size: 1
    .uses_dynamic_stack: false
    .vgpr_count:     0
    .vgpr_spill_count: 0
    .wavefront_size: 64
  - .agpr_count:     0
    .args:
      - .offset:         0
        .size:           104
        .value_kind:     by_value
    .group_segment_fixed_size: 0
    .kernarg_segment_align: 8
    .kernarg_segment_size: 104
    .language:       OpenCL C
    .language_version:
      - 2
      - 0
    .max_flat_workgroup_size: 256
    .name:           _ZN7rocprim17ROCPRIM_400000_NS6detail17trampoline_kernelINS0_14default_configENS1_20scan_config_selectorIiEEZZNS1_9scan_implILNS1_25lookback_scan_determinismE0ELb0ELb0ES3_N6thrust23THRUST_200600_302600_NS6detail15normal_iteratorINS9_10device_ptrIiEEEESE_i9plus_mod3IiEiEEDaPvRmT3_T4_T5_mT6_P12ihipStream_tbENKUlT_T0_E_clISt17integral_constantIbLb1EESU_EEDaSP_SQ_EUlSP_E_NS1_11comp_targetILNS1_3genE2ELNS1_11target_archE906ELNS1_3gpuE6ELNS1_3repE0EEENS1_30default_config_static_selectorELNS0_4arch9wavefront6targetE1EEEvT1_
    .private_segment_fixed_size: 0
    .sgpr_count:     4
    .sgpr_spill_count: 0
    .symbol:         _ZN7rocprim17ROCPRIM_400000_NS6detail17trampoline_kernelINS0_14default_configENS1_20scan_config_selectorIiEEZZNS1_9scan_implILNS1_25lookback_scan_determinismE0ELb0ELb0ES3_N6thrust23THRUST_200600_302600_NS6detail15normal_iteratorINS9_10device_ptrIiEEEESE_i9plus_mod3IiEiEEDaPvRmT3_T4_T5_mT6_P12ihipStream_tbENKUlT_T0_E_clISt17integral_constantIbLb1EESU_EEDaSP_SQ_EUlSP_E_NS1_11comp_targetILNS1_3genE2ELNS1_11target_archE906ELNS1_3gpuE6ELNS1_3repE0EEENS1_30default_config_static_selectorELNS0_4arch9wavefront6targetE1EEEvT1_.kd
    .uniform_work_group_size: 1
    .uses_dynamic_stack: false
    .vgpr_count:     0
    .vgpr_spill_count: 0
    .wavefront_size: 64
  - .agpr_count:     0
    .args:
      - .offset:         0
        .size:           104
        .value_kind:     by_value
    .group_segment_fixed_size: 0
    .kernarg_segment_align: 8
    .kernarg_segment_size: 104
    .language:       OpenCL C
    .language_version:
      - 2
      - 0
    .max_flat_workgroup_size: 256
    .name:           _ZN7rocprim17ROCPRIM_400000_NS6detail17trampoline_kernelINS0_14default_configENS1_20scan_config_selectorIiEEZZNS1_9scan_implILNS1_25lookback_scan_determinismE0ELb0ELb0ES3_N6thrust23THRUST_200600_302600_NS6detail15normal_iteratorINS9_10device_ptrIiEEEESE_i9plus_mod3IiEiEEDaPvRmT3_T4_T5_mT6_P12ihipStream_tbENKUlT_T0_E_clISt17integral_constantIbLb1EESU_EEDaSP_SQ_EUlSP_E_NS1_11comp_targetILNS1_3genE10ELNS1_11target_archE1201ELNS1_3gpuE5ELNS1_3repE0EEENS1_30default_config_static_selectorELNS0_4arch9wavefront6targetE1EEEvT1_
    .private_segment_fixed_size: 0
    .sgpr_count:     4
    .sgpr_spill_count: 0
    .symbol:         _ZN7rocprim17ROCPRIM_400000_NS6detail17trampoline_kernelINS0_14default_configENS1_20scan_config_selectorIiEEZZNS1_9scan_implILNS1_25lookback_scan_determinismE0ELb0ELb0ES3_N6thrust23THRUST_200600_302600_NS6detail15normal_iteratorINS9_10device_ptrIiEEEESE_i9plus_mod3IiEiEEDaPvRmT3_T4_T5_mT6_P12ihipStream_tbENKUlT_T0_E_clISt17integral_constantIbLb1EESU_EEDaSP_SQ_EUlSP_E_NS1_11comp_targetILNS1_3genE10ELNS1_11target_archE1201ELNS1_3gpuE5ELNS1_3repE0EEENS1_30default_config_static_selectorELNS0_4arch9wavefront6targetE1EEEvT1_.kd
    .uniform_work_group_size: 1
    .uses_dynamic_stack: false
    .vgpr_count:     0
    .vgpr_spill_count: 0
    .wavefront_size: 64
  - .agpr_count:     0
    .args:
      - .offset:         0
        .size:           104
        .value_kind:     by_value
    .group_segment_fixed_size: 0
    .kernarg_segment_align: 8
    .kernarg_segment_size: 104
    .language:       OpenCL C
    .language_version:
      - 2
      - 0
    .max_flat_workgroup_size: 256
    .name:           _ZN7rocprim17ROCPRIM_400000_NS6detail17trampoline_kernelINS0_14default_configENS1_20scan_config_selectorIiEEZZNS1_9scan_implILNS1_25lookback_scan_determinismE0ELb0ELb0ES3_N6thrust23THRUST_200600_302600_NS6detail15normal_iteratorINS9_10device_ptrIiEEEESE_i9plus_mod3IiEiEEDaPvRmT3_T4_T5_mT6_P12ihipStream_tbENKUlT_T0_E_clISt17integral_constantIbLb1EESU_EEDaSP_SQ_EUlSP_E_NS1_11comp_targetILNS1_3genE10ELNS1_11target_archE1200ELNS1_3gpuE4ELNS1_3repE0EEENS1_30default_config_static_selectorELNS0_4arch9wavefront6targetE1EEEvT1_
    .private_segment_fixed_size: 0
    .sgpr_count:     4
    .sgpr_spill_count: 0
    .symbol:         _ZN7rocprim17ROCPRIM_400000_NS6detail17trampoline_kernelINS0_14default_configENS1_20scan_config_selectorIiEEZZNS1_9scan_implILNS1_25lookback_scan_determinismE0ELb0ELb0ES3_N6thrust23THRUST_200600_302600_NS6detail15normal_iteratorINS9_10device_ptrIiEEEESE_i9plus_mod3IiEiEEDaPvRmT3_T4_T5_mT6_P12ihipStream_tbENKUlT_T0_E_clISt17integral_constantIbLb1EESU_EEDaSP_SQ_EUlSP_E_NS1_11comp_targetILNS1_3genE10ELNS1_11target_archE1200ELNS1_3gpuE4ELNS1_3repE0EEENS1_30default_config_static_selectorELNS0_4arch9wavefront6targetE1EEEvT1_.kd
    .uniform_work_group_size: 1
    .uses_dynamic_stack: false
    .vgpr_count:     0
    .vgpr_spill_count: 0
    .wavefront_size: 64
  - .agpr_count:     0
    .args:
      - .offset:         0
        .size:           104
        .value_kind:     by_value
    .group_segment_fixed_size: 0
    .kernarg_segment_align: 8
    .kernarg_segment_size: 104
    .language:       OpenCL C
    .language_version:
      - 2
      - 0
    .max_flat_workgroup_size: 256
    .name:           _ZN7rocprim17ROCPRIM_400000_NS6detail17trampoline_kernelINS0_14default_configENS1_20scan_config_selectorIiEEZZNS1_9scan_implILNS1_25lookback_scan_determinismE0ELb0ELb0ES3_N6thrust23THRUST_200600_302600_NS6detail15normal_iteratorINS9_10device_ptrIiEEEESE_i9plus_mod3IiEiEEDaPvRmT3_T4_T5_mT6_P12ihipStream_tbENKUlT_T0_E_clISt17integral_constantIbLb1EESU_EEDaSP_SQ_EUlSP_E_NS1_11comp_targetILNS1_3genE9ELNS1_11target_archE1100ELNS1_3gpuE3ELNS1_3repE0EEENS1_30default_config_static_selectorELNS0_4arch9wavefront6targetE1EEEvT1_
    .private_segment_fixed_size: 0
    .sgpr_count:     4
    .sgpr_spill_count: 0
    .symbol:         _ZN7rocprim17ROCPRIM_400000_NS6detail17trampoline_kernelINS0_14default_configENS1_20scan_config_selectorIiEEZZNS1_9scan_implILNS1_25lookback_scan_determinismE0ELb0ELb0ES3_N6thrust23THRUST_200600_302600_NS6detail15normal_iteratorINS9_10device_ptrIiEEEESE_i9plus_mod3IiEiEEDaPvRmT3_T4_T5_mT6_P12ihipStream_tbENKUlT_T0_E_clISt17integral_constantIbLb1EESU_EEDaSP_SQ_EUlSP_E_NS1_11comp_targetILNS1_3genE9ELNS1_11target_archE1100ELNS1_3gpuE3ELNS1_3repE0EEENS1_30default_config_static_selectorELNS0_4arch9wavefront6targetE1EEEvT1_.kd
    .uniform_work_group_size: 1
    .uses_dynamic_stack: false
    .vgpr_count:     0
    .vgpr_spill_count: 0
    .wavefront_size: 64
  - .agpr_count:     0
    .args:
      - .offset:         0
        .size:           104
        .value_kind:     by_value
    .group_segment_fixed_size: 0
    .kernarg_segment_align: 8
    .kernarg_segment_size: 104
    .language:       OpenCL C
    .language_version:
      - 2
      - 0
    .max_flat_workgroup_size: 64
    .name:           _ZN7rocprim17ROCPRIM_400000_NS6detail17trampoline_kernelINS0_14default_configENS1_20scan_config_selectorIiEEZZNS1_9scan_implILNS1_25lookback_scan_determinismE0ELb0ELb0ES3_N6thrust23THRUST_200600_302600_NS6detail15normal_iteratorINS9_10device_ptrIiEEEESE_i9plus_mod3IiEiEEDaPvRmT3_T4_T5_mT6_P12ihipStream_tbENKUlT_T0_E_clISt17integral_constantIbLb1EESU_EEDaSP_SQ_EUlSP_E_NS1_11comp_targetILNS1_3genE8ELNS1_11target_archE1030ELNS1_3gpuE2ELNS1_3repE0EEENS1_30default_config_static_selectorELNS0_4arch9wavefront6targetE1EEEvT1_
    .private_segment_fixed_size: 0
    .sgpr_count:     4
    .sgpr_spill_count: 0
    .symbol:         _ZN7rocprim17ROCPRIM_400000_NS6detail17trampoline_kernelINS0_14default_configENS1_20scan_config_selectorIiEEZZNS1_9scan_implILNS1_25lookback_scan_determinismE0ELb0ELb0ES3_N6thrust23THRUST_200600_302600_NS6detail15normal_iteratorINS9_10device_ptrIiEEEESE_i9plus_mod3IiEiEEDaPvRmT3_T4_T5_mT6_P12ihipStream_tbENKUlT_T0_E_clISt17integral_constantIbLb1EESU_EEDaSP_SQ_EUlSP_E_NS1_11comp_targetILNS1_3genE8ELNS1_11target_archE1030ELNS1_3gpuE2ELNS1_3repE0EEENS1_30default_config_static_selectorELNS0_4arch9wavefront6targetE1EEEvT1_.kd
    .uniform_work_group_size: 1
    .uses_dynamic_stack: false
    .vgpr_count:     0
    .vgpr_spill_count: 0
    .wavefront_size: 64
  - .agpr_count:     0
    .args:
      - .offset:         0
        .size:           40
        .value_kind:     by_value
    .group_segment_fixed_size: 0
    .kernarg_segment_align: 8
    .kernarg_segment_size: 40
    .language:       OpenCL C
    .language_version:
      - 2
      - 0
    .max_flat_workgroup_size: 256
    .name:           _ZN7rocprim17ROCPRIM_400000_NS6detail17trampoline_kernelINS0_14default_configENS1_20scan_config_selectorIiEEZZNS1_9scan_implILNS1_25lookback_scan_determinismE0ELb0ELb0ES3_N6thrust23THRUST_200600_302600_NS6detail15normal_iteratorINS9_10device_ptrIiEEEESE_i9plus_mod3IiEiEEDaPvRmT3_T4_T5_mT6_P12ihipStream_tbENKUlT_T0_E_clISt17integral_constantIbLb1EESU_EEDaSP_SQ_EUlSP_E0_NS1_11comp_targetILNS1_3genE0ELNS1_11target_archE4294967295ELNS1_3gpuE0ELNS1_3repE0EEENS1_30default_config_static_selectorELNS0_4arch9wavefront6targetE1EEEvT1_
    .private_segment_fixed_size: 0
    .sgpr_count:     4
    .sgpr_spill_count: 0
    .symbol:         _ZN7rocprim17ROCPRIM_400000_NS6detail17trampoline_kernelINS0_14default_configENS1_20scan_config_selectorIiEEZZNS1_9scan_implILNS1_25lookback_scan_determinismE0ELb0ELb0ES3_N6thrust23THRUST_200600_302600_NS6detail15normal_iteratorINS9_10device_ptrIiEEEESE_i9plus_mod3IiEiEEDaPvRmT3_T4_T5_mT6_P12ihipStream_tbENKUlT_T0_E_clISt17integral_constantIbLb1EESU_EEDaSP_SQ_EUlSP_E0_NS1_11comp_targetILNS1_3genE0ELNS1_11target_archE4294967295ELNS1_3gpuE0ELNS1_3repE0EEENS1_30default_config_static_selectorELNS0_4arch9wavefront6targetE1EEEvT1_.kd
    .uniform_work_group_size: 1
    .uses_dynamic_stack: false
    .vgpr_count:     0
    .vgpr_spill_count: 0
    .wavefront_size: 64
  - .agpr_count:     0
    .args:
      - .offset:         0
        .size:           40
        .value_kind:     by_value
    .group_segment_fixed_size: 0
    .kernarg_segment_align: 8
    .kernarg_segment_size: 40
    .language:       OpenCL C
    .language_version:
      - 2
      - 0
    .max_flat_workgroup_size: 256
    .name:           _ZN7rocprim17ROCPRIM_400000_NS6detail17trampoline_kernelINS0_14default_configENS1_20scan_config_selectorIiEEZZNS1_9scan_implILNS1_25lookback_scan_determinismE0ELb0ELb0ES3_N6thrust23THRUST_200600_302600_NS6detail15normal_iteratorINS9_10device_ptrIiEEEESE_i9plus_mod3IiEiEEDaPvRmT3_T4_T5_mT6_P12ihipStream_tbENKUlT_T0_E_clISt17integral_constantIbLb1EESU_EEDaSP_SQ_EUlSP_E0_NS1_11comp_targetILNS1_3genE5ELNS1_11target_archE942ELNS1_3gpuE9ELNS1_3repE0EEENS1_30default_config_static_selectorELNS0_4arch9wavefront6targetE1EEEvT1_
    .private_segment_fixed_size: 0
    .sgpr_count:     4
    .sgpr_spill_count: 0
    .symbol:         _ZN7rocprim17ROCPRIM_400000_NS6detail17trampoline_kernelINS0_14default_configENS1_20scan_config_selectorIiEEZZNS1_9scan_implILNS1_25lookback_scan_determinismE0ELb0ELb0ES3_N6thrust23THRUST_200600_302600_NS6detail15normal_iteratorINS9_10device_ptrIiEEEESE_i9plus_mod3IiEiEEDaPvRmT3_T4_T5_mT6_P12ihipStream_tbENKUlT_T0_E_clISt17integral_constantIbLb1EESU_EEDaSP_SQ_EUlSP_E0_NS1_11comp_targetILNS1_3genE5ELNS1_11target_archE942ELNS1_3gpuE9ELNS1_3repE0EEENS1_30default_config_static_selectorELNS0_4arch9wavefront6targetE1EEEvT1_.kd
    .uniform_work_group_size: 1
    .uses_dynamic_stack: false
    .vgpr_count:     0
    .vgpr_spill_count: 0
    .wavefront_size: 64
  - .agpr_count:     0
    .args:
      - .offset:         0
        .size:           40
        .value_kind:     by_value
    .group_segment_fixed_size: 5120
    .kernarg_segment_align: 8
    .kernarg_segment_size: 40
    .language:       OpenCL C
    .language_version:
      - 2
      - 0
    .max_flat_workgroup_size: 128
    .name:           _ZN7rocprim17ROCPRIM_400000_NS6detail17trampoline_kernelINS0_14default_configENS1_20scan_config_selectorIiEEZZNS1_9scan_implILNS1_25lookback_scan_determinismE0ELb0ELb0ES3_N6thrust23THRUST_200600_302600_NS6detail15normal_iteratorINS9_10device_ptrIiEEEESE_i9plus_mod3IiEiEEDaPvRmT3_T4_T5_mT6_P12ihipStream_tbENKUlT_T0_E_clISt17integral_constantIbLb1EESU_EEDaSP_SQ_EUlSP_E0_NS1_11comp_targetILNS1_3genE4ELNS1_11target_archE910ELNS1_3gpuE8ELNS1_3repE0EEENS1_30default_config_static_selectorELNS0_4arch9wavefront6targetE1EEEvT1_
    .private_segment_fixed_size: 0
    .sgpr_count:     32
    .sgpr_spill_count: 0
    .symbol:         _ZN7rocprim17ROCPRIM_400000_NS6detail17trampoline_kernelINS0_14default_configENS1_20scan_config_selectorIiEEZZNS1_9scan_implILNS1_25lookback_scan_determinismE0ELb0ELb0ES3_N6thrust23THRUST_200600_302600_NS6detail15normal_iteratorINS9_10device_ptrIiEEEESE_i9plus_mod3IiEiEEDaPvRmT3_T4_T5_mT6_P12ihipStream_tbENKUlT_T0_E_clISt17integral_constantIbLb1EESU_EEDaSP_SQ_EUlSP_E0_NS1_11comp_targetILNS1_3genE4ELNS1_11target_archE910ELNS1_3gpuE8ELNS1_3repE0EEENS1_30default_config_static_selectorELNS0_4arch9wavefront6targetE1EEEvT1_.kd
    .uniform_work_group_size: 1
    .uses_dynamic_stack: false
    .vgpr_count:     22
    .vgpr_spill_count: 0
    .wavefront_size: 64
  - .agpr_count:     0
    .args:
      - .offset:         0
        .size:           40
        .value_kind:     by_value
    .group_segment_fixed_size: 0
    .kernarg_segment_align: 8
    .kernarg_segment_size: 40
    .language:       OpenCL C
    .language_version:
      - 2
      - 0
    .max_flat_workgroup_size: 256
    .name:           _ZN7rocprim17ROCPRIM_400000_NS6detail17trampoline_kernelINS0_14default_configENS1_20scan_config_selectorIiEEZZNS1_9scan_implILNS1_25lookback_scan_determinismE0ELb0ELb0ES3_N6thrust23THRUST_200600_302600_NS6detail15normal_iteratorINS9_10device_ptrIiEEEESE_i9plus_mod3IiEiEEDaPvRmT3_T4_T5_mT6_P12ihipStream_tbENKUlT_T0_E_clISt17integral_constantIbLb1EESU_EEDaSP_SQ_EUlSP_E0_NS1_11comp_targetILNS1_3genE3ELNS1_11target_archE908ELNS1_3gpuE7ELNS1_3repE0EEENS1_30default_config_static_selectorELNS0_4arch9wavefront6targetE1EEEvT1_
    .private_segment_fixed_size: 0
    .sgpr_count:     4
    .sgpr_spill_count: 0
    .symbol:         _ZN7rocprim17ROCPRIM_400000_NS6detail17trampoline_kernelINS0_14default_configENS1_20scan_config_selectorIiEEZZNS1_9scan_implILNS1_25lookback_scan_determinismE0ELb0ELb0ES3_N6thrust23THRUST_200600_302600_NS6detail15normal_iteratorINS9_10device_ptrIiEEEESE_i9plus_mod3IiEiEEDaPvRmT3_T4_T5_mT6_P12ihipStream_tbENKUlT_T0_E_clISt17integral_constantIbLb1EESU_EEDaSP_SQ_EUlSP_E0_NS1_11comp_targetILNS1_3genE3ELNS1_11target_archE908ELNS1_3gpuE7ELNS1_3repE0EEENS1_30default_config_static_selectorELNS0_4arch9wavefront6targetE1EEEvT1_.kd
    .uniform_work_group_size: 1
    .uses_dynamic_stack: false
    .vgpr_count:     0
    .vgpr_spill_count: 0
    .wavefront_size: 64
  - .agpr_count:     0
    .args:
      - .offset:         0
        .size:           40
        .value_kind:     by_value
    .group_segment_fixed_size: 0
    .kernarg_segment_align: 8
    .kernarg_segment_size: 40
    .language:       OpenCL C
    .language_version:
      - 2
      - 0
    .max_flat_workgroup_size: 256
    .name:           _ZN7rocprim17ROCPRIM_400000_NS6detail17trampoline_kernelINS0_14default_configENS1_20scan_config_selectorIiEEZZNS1_9scan_implILNS1_25lookback_scan_determinismE0ELb0ELb0ES3_N6thrust23THRUST_200600_302600_NS6detail15normal_iteratorINS9_10device_ptrIiEEEESE_i9plus_mod3IiEiEEDaPvRmT3_T4_T5_mT6_P12ihipStream_tbENKUlT_T0_E_clISt17integral_constantIbLb1EESU_EEDaSP_SQ_EUlSP_E0_NS1_11comp_targetILNS1_3genE2ELNS1_11target_archE906ELNS1_3gpuE6ELNS1_3repE0EEENS1_30default_config_static_selectorELNS0_4arch9wavefront6targetE1EEEvT1_
    .private_segment_fixed_size: 0
    .sgpr_count:     4
    .sgpr_spill_count: 0
    .symbol:         _ZN7rocprim17ROCPRIM_400000_NS6detail17trampoline_kernelINS0_14default_configENS1_20scan_config_selectorIiEEZZNS1_9scan_implILNS1_25lookback_scan_determinismE0ELb0ELb0ES3_N6thrust23THRUST_200600_302600_NS6detail15normal_iteratorINS9_10device_ptrIiEEEESE_i9plus_mod3IiEiEEDaPvRmT3_T4_T5_mT6_P12ihipStream_tbENKUlT_T0_E_clISt17integral_constantIbLb1EESU_EEDaSP_SQ_EUlSP_E0_NS1_11comp_targetILNS1_3genE2ELNS1_11target_archE906ELNS1_3gpuE6ELNS1_3repE0EEENS1_30default_config_static_selectorELNS0_4arch9wavefront6targetE1EEEvT1_.kd
    .uniform_work_group_size: 1
    .uses_dynamic_stack: false
    .vgpr_count:     0
    .vgpr_spill_count: 0
    .wavefront_size: 64
  - .agpr_count:     0
    .args:
      - .offset:         0
        .size:           40
        .value_kind:     by_value
    .group_segment_fixed_size: 0
    .kernarg_segment_align: 8
    .kernarg_segment_size: 40
    .language:       OpenCL C
    .language_version:
      - 2
      - 0
    .max_flat_workgroup_size: 256
    .name:           _ZN7rocprim17ROCPRIM_400000_NS6detail17trampoline_kernelINS0_14default_configENS1_20scan_config_selectorIiEEZZNS1_9scan_implILNS1_25lookback_scan_determinismE0ELb0ELb0ES3_N6thrust23THRUST_200600_302600_NS6detail15normal_iteratorINS9_10device_ptrIiEEEESE_i9plus_mod3IiEiEEDaPvRmT3_T4_T5_mT6_P12ihipStream_tbENKUlT_T0_E_clISt17integral_constantIbLb1EESU_EEDaSP_SQ_EUlSP_E0_NS1_11comp_targetILNS1_3genE10ELNS1_11target_archE1201ELNS1_3gpuE5ELNS1_3repE0EEENS1_30default_config_static_selectorELNS0_4arch9wavefront6targetE1EEEvT1_
    .private_segment_fixed_size: 0
    .sgpr_count:     4
    .sgpr_spill_count: 0
    .symbol:         _ZN7rocprim17ROCPRIM_400000_NS6detail17trampoline_kernelINS0_14default_configENS1_20scan_config_selectorIiEEZZNS1_9scan_implILNS1_25lookback_scan_determinismE0ELb0ELb0ES3_N6thrust23THRUST_200600_302600_NS6detail15normal_iteratorINS9_10device_ptrIiEEEESE_i9plus_mod3IiEiEEDaPvRmT3_T4_T5_mT6_P12ihipStream_tbENKUlT_T0_E_clISt17integral_constantIbLb1EESU_EEDaSP_SQ_EUlSP_E0_NS1_11comp_targetILNS1_3genE10ELNS1_11target_archE1201ELNS1_3gpuE5ELNS1_3repE0EEENS1_30default_config_static_selectorELNS0_4arch9wavefront6targetE1EEEvT1_.kd
    .uniform_work_group_size: 1
    .uses_dynamic_stack: false
    .vgpr_count:     0
    .vgpr_spill_count: 0
    .wavefront_size: 64
  - .agpr_count:     0
    .args:
      - .offset:         0
        .size:           40
        .value_kind:     by_value
    .group_segment_fixed_size: 0
    .kernarg_segment_align: 8
    .kernarg_segment_size: 40
    .language:       OpenCL C
    .language_version:
      - 2
      - 0
    .max_flat_workgroup_size: 256
    .name:           _ZN7rocprim17ROCPRIM_400000_NS6detail17trampoline_kernelINS0_14default_configENS1_20scan_config_selectorIiEEZZNS1_9scan_implILNS1_25lookback_scan_determinismE0ELb0ELb0ES3_N6thrust23THRUST_200600_302600_NS6detail15normal_iteratorINS9_10device_ptrIiEEEESE_i9plus_mod3IiEiEEDaPvRmT3_T4_T5_mT6_P12ihipStream_tbENKUlT_T0_E_clISt17integral_constantIbLb1EESU_EEDaSP_SQ_EUlSP_E0_NS1_11comp_targetILNS1_3genE10ELNS1_11target_archE1200ELNS1_3gpuE4ELNS1_3repE0EEENS1_30default_config_static_selectorELNS0_4arch9wavefront6targetE1EEEvT1_
    .private_segment_fixed_size: 0
    .sgpr_count:     4
    .sgpr_spill_count: 0
    .symbol:         _ZN7rocprim17ROCPRIM_400000_NS6detail17trampoline_kernelINS0_14default_configENS1_20scan_config_selectorIiEEZZNS1_9scan_implILNS1_25lookback_scan_determinismE0ELb0ELb0ES3_N6thrust23THRUST_200600_302600_NS6detail15normal_iteratorINS9_10device_ptrIiEEEESE_i9plus_mod3IiEiEEDaPvRmT3_T4_T5_mT6_P12ihipStream_tbENKUlT_T0_E_clISt17integral_constantIbLb1EESU_EEDaSP_SQ_EUlSP_E0_NS1_11comp_targetILNS1_3genE10ELNS1_11target_archE1200ELNS1_3gpuE4ELNS1_3repE0EEENS1_30default_config_static_selectorELNS0_4arch9wavefront6targetE1EEEvT1_.kd
    .uniform_work_group_size: 1
    .uses_dynamic_stack: false
    .vgpr_count:     0
    .vgpr_spill_count: 0
    .wavefront_size: 64
  - .agpr_count:     0
    .args:
      - .offset:         0
        .size:           40
        .value_kind:     by_value
    .group_segment_fixed_size: 0
    .kernarg_segment_align: 8
    .kernarg_segment_size: 40
    .language:       OpenCL C
    .language_version:
      - 2
      - 0
    .max_flat_workgroup_size: 256
    .name:           _ZN7rocprim17ROCPRIM_400000_NS6detail17trampoline_kernelINS0_14default_configENS1_20scan_config_selectorIiEEZZNS1_9scan_implILNS1_25lookback_scan_determinismE0ELb0ELb0ES3_N6thrust23THRUST_200600_302600_NS6detail15normal_iteratorINS9_10device_ptrIiEEEESE_i9plus_mod3IiEiEEDaPvRmT3_T4_T5_mT6_P12ihipStream_tbENKUlT_T0_E_clISt17integral_constantIbLb1EESU_EEDaSP_SQ_EUlSP_E0_NS1_11comp_targetILNS1_3genE9ELNS1_11target_archE1100ELNS1_3gpuE3ELNS1_3repE0EEENS1_30default_config_static_selectorELNS0_4arch9wavefront6targetE1EEEvT1_
    .private_segment_fixed_size: 0
    .sgpr_count:     4
    .sgpr_spill_count: 0
    .symbol:         _ZN7rocprim17ROCPRIM_400000_NS6detail17trampoline_kernelINS0_14default_configENS1_20scan_config_selectorIiEEZZNS1_9scan_implILNS1_25lookback_scan_determinismE0ELb0ELb0ES3_N6thrust23THRUST_200600_302600_NS6detail15normal_iteratorINS9_10device_ptrIiEEEESE_i9plus_mod3IiEiEEDaPvRmT3_T4_T5_mT6_P12ihipStream_tbENKUlT_T0_E_clISt17integral_constantIbLb1EESU_EEDaSP_SQ_EUlSP_E0_NS1_11comp_targetILNS1_3genE9ELNS1_11target_archE1100ELNS1_3gpuE3ELNS1_3repE0EEENS1_30default_config_static_selectorELNS0_4arch9wavefront6targetE1EEEvT1_.kd
    .uniform_work_group_size: 1
    .uses_dynamic_stack: false
    .vgpr_count:     0
    .vgpr_spill_count: 0
    .wavefront_size: 64
  - .agpr_count:     0
    .args:
      - .offset:         0
        .size:           40
        .value_kind:     by_value
    .group_segment_fixed_size: 0
    .kernarg_segment_align: 8
    .kernarg_segment_size: 40
    .language:       OpenCL C
    .language_version:
      - 2
      - 0
    .max_flat_workgroup_size: 64
    .name:           _ZN7rocprim17ROCPRIM_400000_NS6detail17trampoline_kernelINS0_14default_configENS1_20scan_config_selectorIiEEZZNS1_9scan_implILNS1_25lookback_scan_determinismE0ELb0ELb0ES3_N6thrust23THRUST_200600_302600_NS6detail15normal_iteratorINS9_10device_ptrIiEEEESE_i9plus_mod3IiEiEEDaPvRmT3_T4_T5_mT6_P12ihipStream_tbENKUlT_T0_E_clISt17integral_constantIbLb1EESU_EEDaSP_SQ_EUlSP_E0_NS1_11comp_targetILNS1_3genE8ELNS1_11target_archE1030ELNS1_3gpuE2ELNS1_3repE0EEENS1_30default_config_static_selectorELNS0_4arch9wavefront6targetE1EEEvT1_
    .private_segment_fixed_size: 0
    .sgpr_count:     4
    .sgpr_spill_count: 0
    .symbol:         _ZN7rocprim17ROCPRIM_400000_NS6detail17trampoline_kernelINS0_14default_configENS1_20scan_config_selectorIiEEZZNS1_9scan_implILNS1_25lookback_scan_determinismE0ELb0ELb0ES3_N6thrust23THRUST_200600_302600_NS6detail15normal_iteratorINS9_10device_ptrIiEEEESE_i9plus_mod3IiEiEEDaPvRmT3_T4_T5_mT6_P12ihipStream_tbENKUlT_T0_E_clISt17integral_constantIbLb1EESU_EEDaSP_SQ_EUlSP_E0_NS1_11comp_targetILNS1_3genE8ELNS1_11target_archE1030ELNS1_3gpuE2ELNS1_3repE0EEENS1_30default_config_static_selectorELNS0_4arch9wavefront6targetE1EEEvT1_.kd
    .uniform_work_group_size: 1
    .uses_dynamic_stack: false
    .vgpr_count:     0
    .vgpr_spill_count: 0
    .wavefront_size: 64
  - .agpr_count:     0
    .args:
      - .offset:         0
        .size:           104
        .value_kind:     by_value
    .group_segment_fixed_size: 0
    .kernarg_segment_align: 8
    .kernarg_segment_size: 104
    .language:       OpenCL C
    .language_version:
      - 2
      - 0
    .max_flat_workgroup_size: 256
    .name:           _ZN7rocprim17ROCPRIM_400000_NS6detail17trampoline_kernelINS0_14default_configENS1_20scan_config_selectorIiEEZZNS1_9scan_implILNS1_25lookback_scan_determinismE0ELb0ELb0ES3_N6thrust23THRUST_200600_302600_NS6detail15normal_iteratorINS9_10device_ptrIiEEEESE_i9plus_mod3IiEiEEDaPvRmT3_T4_T5_mT6_P12ihipStream_tbENKUlT_T0_E_clISt17integral_constantIbLb1EEST_IbLb0EEEEDaSP_SQ_EUlSP_E_NS1_11comp_targetILNS1_3genE0ELNS1_11target_archE4294967295ELNS1_3gpuE0ELNS1_3repE0EEENS1_30default_config_static_selectorELNS0_4arch9wavefront6targetE1EEEvT1_
    .private_segment_fixed_size: 0
    .sgpr_count:     4
    .sgpr_spill_count: 0
    .symbol:         _ZN7rocprim17ROCPRIM_400000_NS6detail17trampoline_kernelINS0_14default_configENS1_20scan_config_selectorIiEEZZNS1_9scan_implILNS1_25lookback_scan_determinismE0ELb0ELb0ES3_N6thrust23THRUST_200600_302600_NS6detail15normal_iteratorINS9_10device_ptrIiEEEESE_i9plus_mod3IiEiEEDaPvRmT3_T4_T5_mT6_P12ihipStream_tbENKUlT_T0_E_clISt17integral_constantIbLb1EEST_IbLb0EEEEDaSP_SQ_EUlSP_E_NS1_11comp_targetILNS1_3genE0ELNS1_11target_archE4294967295ELNS1_3gpuE0ELNS1_3repE0EEENS1_30default_config_static_selectorELNS0_4arch9wavefront6targetE1EEEvT1_.kd
    .uniform_work_group_size: 1
    .uses_dynamic_stack: false
    .vgpr_count:     0
    .vgpr_spill_count: 0
    .wavefront_size: 64
  - .agpr_count:     0
    .args:
      - .offset:         0
        .size:           104
        .value_kind:     by_value
    .group_segment_fixed_size: 0
    .kernarg_segment_align: 8
    .kernarg_segment_size: 104
    .language:       OpenCL C
    .language_version:
      - 2
      - 0
    .max_flat_workgroup_size: 256
    .name:           _ZN7rocprim17ROCPRIM_400000_NS6detail17trampoline_kernelINS0_14default_configENS1_20scan_config_selectorIiEEZZNS1_9scan_implILNS1_25lookback_scan_determinismE0ELb0ELb0ES3_N6thrust23THRUST_200600_302600_NS6detail15normal_iteratorINS9_10device_ptrIiEEEESE_i9plus_mod3IiEiEEDaPvRmT3_T4_T5_mT6_P12ihipStream_tbENKUlT_T0_E_clISt17integral_constantIbLb1EEST_IbLb0EEEEDaSP_SQ_EUlSP_E_NS1_11comp_targetILNS1_3genE5ELNS1_11target_archE942ELNS1_3gpuE9ELNS1_3repE0EEENS1_30default_config_static_selectorELNS0_4arch9wavefront6targetE1EEEvT1_
    .private_segment_fixed_size: 0
    .sgpr_count:     4
    .sgpr_spill_count: 0
    .symbol:         _ZN7rocprim17ROCPRIM_400000_NS6detail17trampoline_kernelINS0_14default_configENS1_20scan_config_selectorIiEEZZNS1_9scan_implILNS1_25lookback_scan_determinismE0ELb0ELb0ES3_N6thrust23THRUST_200600_302600_NS6detail15normal_iteratorINS9_10device_ptrIiEEEESE_i9plus_mod3IiEiEEDaPvRmT3_T4_T5_mT6_P12ihipStream_tbENKUlT_T0_E_clISt17integral_constantIbLb1EEST_IbLb0EEEEDaSP_SQ_EUlSP_E_NS1_11comp_targetILNS1_3genE5ELNS1_11target_archE942ELNS1_3gpuE9ELNS1_3repE0EEENS1_30default_config_static_selectorELNS0_4arch9wavefront6targetE1EEEvT1_.kd
    .uniform_work_group_size: 1
    .uses_dynamic_stack: false
    .vgpr_count:     0
    .vgpr_spill_count: 0
    .wavefront_size: 64
  - .agpr_count:     0
    .args:
      - .offset:         0
        .size:           104
        .value_kind:     by_value
    .group_segment_fixed_size: 5120
    .kernarg_segment_align: 8
    .kernarg_segment_size: 104
    .language:       OpenCL C
    .language_version:
      - 2
      - 0
    .max_flat_workgroup_size: 128
    .name:           _ZN7rocprim17ROCPRIM_400000_NS6detail17trampoline_kernelINS0_14default_configENS1_20scan_config_selectorIiEEZZNS1_9scan_implILNS1_25lookback_scan_determinismE0ELb0ELb0ES3_N6thrust23THRUST_200600_302600_NS6detail15normal_iteratorINS9_10device_ptrIiEEEESE_i9plus_mod3IiEiEEDaPvRmT3_T4_T5_mT6_P12ihipStream_tbENKUlT_T0_E_clISt17integral_constantIbLb1EEST_IbLb0EEEEDaSP_SQ_EUlSP_E_NS1_11comp_targetILNS1_3genE4ELNS1_11target_archE910ELNS1_3gpuE8ELNS1_3repE0EEENS1_30default_config_static_selectorELNS0_4arch9wavefront6targetE1EEEvT1_
    .private_segment_fixed_size: 0
    .sgpr_count:     44
    .sgpr_spill_count: 0
    .symbol:         _ZN7rocprim17ROCPRIM_400000_NS6detail17trampoline_kernelINS0_14default_configENS1_20scan_config_selectorIiEEZZNS1_9scan_implILNS1_25lookback_scan_determinismE0ELb0ELb0ES3_N6thrust23THRUST_200600_302600_NS6detail15normal_iteratorINS9_10device_ptrIiEEEESE_i9plus_mod3IiEiEEDaPvRmT3_T4_T5_mT6_P12ihipStream_tbENKUlT_T0_E_clISt17integral_constantIbLb1EEST_IbLb0EEEEDaSP_SQ_EUlSP_E_NS1_11comp_targetILNS1_3genE4ELNS1_11target_archE910ELNS1_3gpuE8ELNS1_3repE0EEENS1_30default_config_static_selectorELNS0_4arch9wavefront6targetE1EEEvT1_.kd
    .uniform_work_group_size: 1
    .uses_dynamic_stack: false
    .vgpr_count:     42
    .vgpr_spill_count: 0
    .wavefront_size: 64
  - .agpr_count:     0
    .args:
      - .offset:         0
        .size:           104
        .value_kind:     by_value
    .group_segment_fixed_size: 0
    .kernarg_segment_align: 8
    .kernarg_segment_size: 104
    .language:       OpenCL C
    .language_version:
      - 2
      - 0
    .max_flat_workgroup_size: 256
    .name:           _ZN7rocprim17ROCPRIM_400000_NS6detail17trampoline_kernelINS0_14default_configENS1_20scan_config_selectorIiEEZZNS1_9scan_implILNS1_25lookback_scan_determinismE0ELb0ELb0ES3_N6thrust23THRUST_200600_302600_NS6detail15normal_iteratorINS9_10device_ptrIiEEEESE_i9plus_mod3IiEiEEDaPvRmT3_T4_T5_mT6_P12ihipStream_tbENKUlT_T0_E_clISt17integral_constantIbLb1EEST_IbLb0EEEEDaSP_SQ_EUlSP_E_NS1_11comp_targetILNS1_3genE3ELNS1_11target_archE908ELNS1_3gpuE7ELNS1_3repE0EEENS1_30default_config_static_selectorELNS0_4arch9wavefront6targetE1EEEvT1_
    .private_segment_fixed_size: 0
    .sgpr_count:     4
    .sgpr_spill_count: 0
    .symbol:         _ZN7rocprim17ROCPRIM_400000_NS6detail17trampoline_kernelINS0_14default_configENS1_20scan_config_selectorIiEEZZNS1_9scan_implILNS1_25lookback_scan_determinismE0ELb0ELb0ES3_N6thrust23THRUST_200600_302600_NS6detail15normal_iteratorINS9_10device_ptrIiEEEESE_i9plus_mod3IiEiEEDaPvRmT3_T4_T5_mT6_P12ihipStream_tbENKUlT_T0_E_clISt17integral_constantIbLb1EEST_IbLb0EEEEDaSP_SQ_EUlSP_E_NS1_11comp_targetILNS1_3genE3ELNS1_11target_archE908ELNS1_3gpuE7ELNS1_3repE0EEENS1_30default_config_static_selectorELNS0_4arch9wavefront6targetE1EEEvT1_.kd
    .uniform_work_group_size: 1
    .uses_dynamic_stack: false
    .vgpr_count:     0
    .vgpr_spill_count: 0
    .wavefront_size: 64
  - .agpr_count:     0
    .args:
      - .offset:         0
        .size:           104
        .value_kind:     by_value
    .group_segment_fixed_size: 0
    .kernarg_segment_align: 8
    .kernarg_segment_size: 104
    .language:       OpenCL C
    .language_version:
      - 2
      - 0
    .max_flat_workgroup_size: 256
    .name:           _ZN7rocprim17ROCPRIM_400000_NS6detail17trampoline_kernelINS0_14default_configENS1_20scan_config_selectorIiEEZZNS1_9scan_implILNS1_25lookback_scan_determinismE0ELb0ELb0ES3_N6thrust23THRUST_200600_302600_NS6detail15normal_iteratorINS9_10device_ptrIiEEEESE_i9plus_mod3IiEiEEDaPvRmT3_T4_T5_mT6_P12ihipStream_tbENKUlT_T0_E_clISt17integral_constantIbLb1EEST_IbLb0EEEEDaSP_SQ_EUlSP_E_NS1_11comp_targetILNS1_3genE2ELNS1_11target_archE906ELNS1_3gpuE6ELNS1_3repE0EEENS1_30default_config_static_selectorELNS0_4arch9wavefront6targetE1EEEvT1_
    .private_segment_fixed_size: 0
    .sgpr_count:     4
    .sgpr_spill_count: 0
    .symbol:         _ZN7rocprim17ROCPRIM_400000_NS6detail17trampoline_kernelINS0_14default_configENS1_20scan_config_selectorIiEEZZNS1_9scan_implILNS1_25lookback_scan_determinismE0ELb0ELb0ES3_N6thrust23THRUST_200600_302600_NS6detail15normal_iteratorINS9_10device_ptrIiEEEESE_i9plus_mod3IiEiEEDaPvRmT3_T4_T5_mT6_P12ihipStream_tbENKUlT_T0_E_clISt17integral_constantIbLb1EEST_IbLb0EEEEDaSP_SQ_EUlSP_E_NS1_11comp_targetILNS1_3genE2ELNS1_11target_archE906ELNS1_3gpuE6ELNS1_3repE0EEENS1_30default_config_static_selectorELNS0_4arch9wavefront6targetE1EEEvT1_.kd
    .uniform_work_group_size: 1
    .uses_dynamic_stack: false
    .vgpr_count:     0
    .vgpr_spill_count: 0
    .wavefront_size: 64
  - .agpr_count:     0
    .args:
      - .offset:         0
        .size:           104
        .value_kind:     by_value
    .group_segment_fixed_size: 0
    .kernarg_segment_align: 8
    .kernarg_segment_size: 104
    .language:       OpenCL C
    .language_version:
      - 2
      - 0
    .max_flat_workgroup_size: 256
    .name:           _ZN7rocprim17ROCPRIM_400000_NS6detail17trampoline_kernelINS0_14default_configENS1_20scan_config_selectorIiEEZZNS1_9scan_implILNS1_25lookback_scan_determinismE0ELb0ELb0ES3_N6thrust23THRUST_200600_302600_NS6detail15normal_iteratorINS9_10device_ptrIiEEEESE_i9plus_mod3IiEiEEDaPvRmT3_T4_T5_mT6_P12ihipStream_tbENKUlT_T0_E_clISt17integral_constantIbLb1EEST_IbLb0EEEEDaSP_SQ_EUlSP_E_NS1_11comp_targetILNS1_3genE10ELNS1_11target_archE1201ELNS1_3gpuE5ELNS1_3repE0EEENS1_30default_config_static_selectorELNS0_4arch9wavefront6targetE1EEEvT1_
    .private_segment_fixed_size: 0
    .sgpr_count:     4
    .sgpr_spill_count: 0
    .symbol:         _ZN7rocprim17ROCPRIM_400000_NS6detail17trampoline_kernelINS0_14default_configENS1_20scan_config_selectorIiEEZZNS1_9scan_implILNS1_25lookback_scan_determinismE0ELb0ELb0ES3_N6thrust23THRUST_200600_302600_NS6detail15normal_iteratorINS9_10device_ptrIiEEEESE_i9plus_mod3IiEiEEDaPvRmT3_T4_T5_mT6_P12ihipStream_tbENKUlT_T0_E_clISt17integral_constantIbLb1EEST_IbLb0EEEEDaSP_SQ_EUlSP_E_NS1_11comp_targetILNS1_3genE10ELNS1_11target_archE1201ELNS1_3gpuE5ELNS1_3repE0EEENS1_30default_config_static_selectorELNS0_4arch9wavefront6targetE1EEEvT1_.kd
    .uniform_work_group_size: 1
    .uses_dynamic_stack: false
    .vgpr_count:     0
    .vgpr_spill_count: 0
    .wavefront_size: 64
  - .agpr_count:     0
    .args:
      - .offset:         0
        .size:           104
        .value_kind:     by_value
    .group_segment_fixed_size: 0
    .kernarg_segment_align: 8
    .kernarg_segment_size: 104
    .language:       OpenCL C
    .language_version:
      - 2
      - 0
    .max_flat_workgroup_size: 256
    .name:           _ZN7rocprim17ROCPRIM_400000_NS6detail17trampoline_kernelINS0_14default_configENS1_20scan_config_selectorIiEEZZNS1_9scan_implILNS1_25lookback_scan_determinismE0ELb0ELb0ES3_N6thrust23THRUST_200600_302600_NS6detail15normal_iteratorINS9_10device_ptrIiEEEESE_i9plus_mod3IiEiEEDaPvRmT3_T4_T5_mT6_P12ihipStream_tbENKUlT_T0_E_clISt17integral_constantIbLb1EEST_IbLb0EEEEDaSP_SQ_EUlSP_E_NS1_11comp_targetILNS1_3genE10ELNS1_11target_archE1200ELNS1_3gpuE4ELNS1_3repE0EEENS1_30default_config_static_selectorELNS0_4arch9wavefront6targetE1EEEvT1_
    .private_segment_fixed_size: 0
    .sgpr_count:     4
    .sgpr_spill_count: 0
    .symbol:         _ZN7rocprim17ROCPRIM_400000_NS6detail17trampoline_kernelINS0_14default_configENS1_20scan_config_selectorIiEEZZNS1_9scan_implILNS1_25lookback_scan_determinismE0ELb0ELb0ES3_N6thrust23THRUST_200600_302600_NS6detail15normal_iteratorINS9_10device_ptrIiEEEESE_i9plus_mod3IiEiEEDaPvRmT3_T4_T5_mT6_P12ihipStream_tbENKUlT_T0_E_clISt17integral_constantIbLb1EEST_IbLb0EEEEDaSP_SQ_EUlSP_E_NS1_11comp_targetILNS1_3genE10ELNS1_11target_archE1200ELNS1_3gpuE4ELNS1_3repE0EEENS1_30default_config_static_selectorELNS0_4arch9wavefront6targetE1EEEvT1_.kd
    .uniform_work_group_size: 1
    .uses_dynamic_stack: false
    .vgpr_count:     0
    .vgpr_spill_count: 0
    .wavefront_size: 64
  - .agpr_count:     0
    .args:
      - .offset:         0
        .size:           104
        .value_kind:     by_value
    .group_segment_fixed_size: 0
    .kernarg_segment_align: 8
    .kernarg_segment_size: 104
    .language:       OpenCL C
    .language_version:
      - 2
      - 0
    .max_flat_workgroup_size: 256
    .name:           _ZN7rocprim17ROCPRIM_400000_NS6detail17trampoline_kernelINS0_14default_configENS1_20scan_config_selectorIiEEZZNS1_9scan_implILNS1_25lookback_scan_determinismE0ELb0ELb0ES3_N6thrust23THRUST_200600_302600_NS6detail15normal_iteratorINS9_10device_ptrIiEEEESE_i9plus_mod3IiEiEEDaPvRmT3_T4_T5_mT6_P12ihipStream_tbENKUlT_T0_E_clISt17integral_constantIbLb1EEST_IbLb0EEEEDaSP_SQ_EUlSP_E_NS1_11comp_targetILNS1_3genE9ELNS1_11target_archE1100ELNS1_3gpuE3ELNS1_3repE0EEENS1_30default_config_static_selectorELNS0_4arch9wavefront6targetE1EEEvT1_
    .private_segment_fixed_size: 0
    .sgpr_count:     4
    .sgpr_spill_count: 0
    .symbol:         _ZN7rocprim17ROCPRIM_400000_NS6detail17trampoline_kernelINS0_14default_configENS1_20scan_config_selectorIiEEZZNS1_9scan_implILNS1_25lookback_scan_determinismE0ELb0ELb0ES3_N6thrust23THRUST_200600_302600_NS6detail15normal_iteratorINS9_10device_ptrIiEEEESE_i9plus_mod3IiEiEEDaPvRmT3_T4_T5_mT6_P12ihipStream_tbENKUlT_T0_E_clISt17integral_constantIbLb1EEST_IbLb0EEEEDaSP_SQ_EUlSP_E_NS1_11comp_targetILNS1_3genE9ELNS1_11target_archE1100ELNS1_3gpuE3ELNS1_3repE0EEENS1_30default_config_static_selectorELNS0_4arch9wavefront6targetE1EEEvT1_.kd
    .uniform_work_group_size: 1
    .uses_dynamic_stack: false
    .vgpr_count:     0
    .vgpr_spill_count: 0
    .wavefront_size: 64
  - .agpr_count:     0
    .args:
      - .offset:         0
        .size:           104
        .value_kind:     by_value
    .group_segment_fixed_size: 0
    .kernarg_segment_align: 8
    .kernarg_segment_size: 104
    .language:       OpenCL C
    .language_version:
      - 2
      - 0
    .max_flat_workgroup_size: 64
    .name:           _ZN7rocprim17ROCPRIM_400000_NS6detail17trampoline_kernelINS0_14default_configENS1_20scan_config_selectorIiEEZZNS1_9scan_implILNS1_25lookback_scan_determinismE0ELb0ELb0ES3_N6thrust23THRUST_200600_302600_NS6detail15normal_iteratorINS9_10device_ptrIiEEEESE_i9plus_mod3IiEiEEDaPvRmT3_T4_T5_mT6_P12ihipStream_tbENKUlT_T0_E_clISt17integral_constantIbLb1EEST_IbLb0EEEEDaSP_SQ_EUlSP_E_NS1_11comp_targetILNS1_3genE8ELNS1_11target_archE1030ELNS1_3gpuE2ELNS1_3repE0EEENS1_30default_config_static_selectorELNS0_4arch9wavefront6targetE1EEEvT1_
    .private_segment_fixed_size: 0
    .sgpr_count:     4
    .sgpr_spill_count: 0
    .symbol:         _ZN7rocprim17ROCPRIM_400000_NS6detail17trampoline_kernelINS0_14default_configENS1_20scan_config_selectorIiEEZZNS1_9scan_implILNS1_25lookback_scan_determinismE0ELb0ELb0ES3_N6thrust23THRUST_200600_302600_NS6detail15normal_iteratorINS9_10device_ptrIiEEEESE_i9plus_mod3IiEiEEDaPvRmT3_T4_T5_mT6_P12ihipStream_tbENKUlT_T0_E_clISt17integral_constantIbLb1EEST_IbLb0EEEEDaSP_SQ_EUlSP_E_NS1_11comp_targetILNS1_3genE8ELNS1_11target_archE1030ELNS1_3gpuE2ELNS1_3repE0EEENS1_30default_config_static_selectorELNS0_4arch9wavefront6targetE1EEEvT1_.kd
    .uniform_work_group_size: 1
    .uses_dynamic_stack: false
    .vgpr_count:     0
    .vgpr_spill_count: 0
    .wavefront_size: 64
  - .agpr_count:     0
    .args:
      - .offset:         0
        .size:           40
        .value_kind:     by_value
    .group_segment_fixed_size: 0
    .kernarg_segment_align: 8
    .kernarg_segment_size: 40
    .language:       OpenCL C
    .language_version:
      - 2
      - 0
    .max_flat_workgroup_size: 256
    .name:           _ZN7rocprim17ROCPRIM_400000_NS6detail17trampoline_kernelINS0_14default_configENS1_20scan_config_selectorIiEEZZNS1_9scan_implILNS1_25lookback_scan_determinismE0ELb0ELb0ES3_N6thrust23THRUST_200600_302600_NS6detail15normal_iteratorINS9_10device_ptrIiEEEESE_i9plus_mod3IiEiEEDaPvRmT3_T4_T5_mT6_P12ihipStream_tbENKUlT_T0_E_clISt17integral_constantIbLb1EEST_IbLb0EEEEDaSP_SQ_EUlSP_E0_NS1_11comp_targetILNS1_3genE0ELNS1_11target_archE4294967295ELNS1_3gpuE0ELNS1_3repE0EEENS1_30default_config_static_selectorELNS0_4arch9wavefront6targetE1EEEvT1_
    .private_segment_fixed_size: 0
    .sgpr_count:     4
    .sgpr_spill_count: 0
    .symbol:         _ZN7rocprim17ROCPRIM_400000_NS6detail17trampoline_kernelINS0_14default_configENS1_20scan_config_selectorIiEEZZNS1_9scan_implILNS1_25lookback_scan_determinismE0ELb0ELb0ES3_N6thrust23THRUST_200600_302600_NS6detail15normal_iteratorINS9_10device_ptrIiEEEESE_i9plus_mod3IiEiEEDaPvRmT3_T4_T5_mT6_P12ihipStream_tbENKUlT_T0_E_clISt17integral_constantIbLb1EEST_IbLb0EEEEDaSP_SQ_EUlSP_E0_NS1_11comp_targetILNS1_3genE0ELNS1_11target_archE4294967295ELNS1_3gpuE0ELNS1_3repE0EEENS1_30default_config_static_selectorELNS0_4arch9wavefront6targetE1EEEvT1_.kd
    .uniform_work_group_size: 1
    .uses_dynamic_stack: false
    .vgpr_count:     0
    .vgpr_spill_count: 0
    .wavefront_size: 64
  - .agpr_count:     0
    .args:
      - .offset:         0
        .size:           40
        .value_kind:     by_value
    .group_segment_fixed_size: 0
    .kernarg_segment_align: 8
    .kernarg_segment_size: 40
    .language:       OpenCL C
    .language_version:
      - 2
      - 0
    .max_flat_workgroup_size: 256
    .name:           _ZN7rocprim17ROCPRIM_400000_NS6detail17trampoline_kernelINS0_14default_configENS1_20scan_config_selectorIiEEZZNS1_9scan_implILNS1_25lookback_scan_determinismE0ELb0ELb0ES3_N6thrust23THRUST_200600_302600_NS6detail15normal_iteratorINS9_10device_ptrIiEEEESE_i9plus_mod3IiEiEEDaPvRmT3_T4_T5_mT6_P12ihipStream_tbENKUlT_T0_E_clISt17integral_constantIbLb1EEST_IbLb0EEEEDaSP_SQ_EUlSP_E0_NS1_11comp_targetILNS1_3genE5ELNS1_11target_archE942ELNS1_3gpuE9ELNS1_3repE0EEENS1_30default_config_static_selectorELNS0_4arch9wavefront6targetE1EEEvT1_
    .private_segment_fixed_size: 0
    .sgpr_count:     4
    .sgpr_spill_count: 0
    .symbol:         _ZN7rocprim17ROCPRIM_400000_NS6detail17trampoline_kernelINS0_14default_configENS1_20scan_config_selectorIiEEZZNS1_9scan_implILNS1_25lookback_scan_determinismE0ELb0ELb0ES3_N6thrust23THRUST_200600_302600_NS6detail15normal_iteratorINS9_10device_ptrIiEEEESE_i9plus_mod3IiEiEEDaPvRmT3_T4_T5_mT6_P12ihipStream_tbENKUlT_T0_E_clISt17integral_constantIbLb1EEST_IbLb0EEEEDaSP_SQ_EUlSP_E0_NS1_11comp_targetILNS1_3genE5ELNS1_11target_archE942ELNS1_3gpuE9ELNS1_3repE0EEENS1_30default_config_static_selectorELNS0_4arch9wavefront6targetE1EEEvT1_.kd
    .uniform_work_group_size: 1
    .uses_dynamic_stack: false
    .vgpr_count:     0
    .vgpr_spill_count: 0
    .wavefront_size: 64
  - .agpr_count:     0
    .args:
      - .offset:         0
        .size:           40
        .value_kind:     by_value
    .group_segment_fixed_size: 5120
    .kernarg_segment_align: 8
    .kernarg_segment_size: 40
    .language:       OpenCL C
    .language_version:
      - 2
      - 0
    .max_flat_workgroup_size: 128
    .name:           _ZN7rocprim17ROCPRIM_400000_NS6detail17trampoline_kernelINS0_14default_configENS1_20scan_config_selectorIiEEZZNS1_9scan_implILNS1_25lookback_scan_determinismE0ELb0ELb0ES3_N6thrust23THRUST_200600_302600_NS6detail15normal_iteratorINS9_10device_ptrIiEEEESE_i9plus_mod3IiEiEEDaPvRmT3_T4_T5_mT6_P12ihipStream_tbENKUlT_T0_E_clISt17integral_constantIbLb1EEST_IbLb0EEEEDaSP_SQ_EUlSP_E0_NS1_11comp_targetILNS1_3genE4ELNS1_11target_archE910ELNS1_3gpuE8ELNS1_3repE0EEENS1_30default_config_static_selectorELNS0_4arch9wavefront6targetE1EEEvT1_
    .private_segment_fixed_size: 0
    .sgpr_count:     32
    .sgpr_spill_count: 0
    .symbol:         _ZN7rocprim17ROCPRIM_400000_NS6detail17trampoline_kernelINS0_14default_configENS1_20scan_config_selectorIiEEZZNS1_9scan_implILNS1_25lookback_scan_determinismE0ELb0ELb0ES3_N6thrust23THRUST_200600_302600_NS6detail15normal_iteratorINS9_10device_ptrIiEEEESE_i9plus_mod3IiEiEEDaPvRmT3_T4_T5_mT6_P12ihipStream_tbENKUlT_T0_E_clISt17integral_constantIbLb1EEST_IbLb0EEEEDaSP_SQ_EUlSP_E0_NS1_11comp_targetILNS1_3genE4ELNS1_11target_archE910ELNS1_3gpuE8ELNS1_3repE0EEENS1_30default_config_static_selectorELNS0_4arch9wavefront6targetE1EEEvT1_.kd
    .uniform_work_group_size: 1
    .uses_dynamic_stack: false
    .vgpr_count:     22
    .vgpr_spill_count: 0
    .wavefront_size: 64
  - .agpr_count:     0
    .args:
      - .offset:         0
        .size:           40
        .value_kind:     by_value
    .group_segment_fixed_size: 0
    .kernarg_segment_align: 8
    .kernarg_segment_size: 40
    .language:       OpenCL C
    .language_version:
      - 2
      - 0
    .max_flat_workgroup_size: 256
    .name:           _ZN7rocprim17ROCPRIM_400000_NS6detail17trampoline_kernelINS0_14default_configENS1_20scan_config_selectorIiEEZZNS1_9scan_implILNS1_25lookback_scan_determinismE0ELb0ELb0ES3_N6thrust23THRUST_200600_302600_NS6detail15normal_iteratorINS9_10device_ptrIiEEEESE_i9plus_mod3IiEiEEDaPvRmT3_T4_T5_mT6_P12ihipStream_tbENKUlT_T0_E_clISt17integral_constantIbLb1EEST_IbLb0EEEEDaSP_SQ_EUlSP_E0_NS1_11comp_targetILNS1_3genE3ELNS1_11target_archE908ELNS1_3gpuE7ELNS1_3repE0EEENS1_30default_config_static_selectorELNS0_4arch9wavefront6targetE1EEEvT1_
    .private_segment_fixed_size: 0
    .sgpr_count:     4
    .sgpr_spill_count: 0
    .symbol:         _ZN7rocprim17ROCPRIM_400000_NS6detail17trampoline_kernelINS0_14default_configENS1_20scan_config_selectorIiEEZZNS1_9scan_implILNS1_25lookback_scan_determinismE0ELb0ELb0ES3_N6thrust23THRUST_200600_302600_NS6detail15normal_iteratorINS9_10device_ptrIiEEEESE_i9plus_mod3IiEiEEDaPvRmT3_T4_T5_mT6_P12ihipStream_tbENKUlT_T0_E_clISt17integral_constantIbLb1EEST_IbLb0EEEEDaSP_SQ_EUlSP_E0_NS1_11comp_targetILNS1_3genE3ELNS1_11target_archE908ELNS1_3gpuE7ELNS1_3repE0EEENS1_30default_config_static_selectorELNS0_4arch9wavefront6targetE1EEEvT1_.kd
    .uniform_work_group_size: 1
    .uses_dynamic_stack: false
    .vgpr_count:     0
    .vgpr_spill_count: 0
    .wavefront_size: 64
  - .agpr_count:     0
    .args:
      - .offset:         0
        .size:           40
        .value_kind:     by_value
    .group_segment_fixed_size: 0
    .kernarg_segment_align: 8
    .kernarg_segment_size: 40
    .language:       OpenCL C
    .language_version:
      - 2
      - 0
    .max_flat_workgroup_size: 256
    .name:           _ZN7rocprim17ROCPRIM_400000_NS6detail17trampoline_kernelINS0_14default_configENS1_20scan_config_selectorIiEEZZNS1_9scan_implILNS1_25lookback_scan_determinismE0ELb0ELb0ES3_N6thrust23THRUST_200600_302600_NS6detail15normal_iteratorINS9_10device_ptrIiEEEESE_i9plus_mod3IiEiEEDaPvRmT3_T4_T5_mT6_P12ihipStream_tbENKUlT_T0_E_clISt17integral_constantIbLb1EEST_IbLb0EEEEDaSP_SQ_EUlSP_E0_NS1_11comp_targetILNS1_3genE2ELNS1_11target_archE906ELNS1_3gpuE6ELNS1_3repE0EEENS1_30default_config_static_selectorELNS0_4arch9wavefront6targetE1EEEvT1_
    .private_segment_fixed_size: 0
    .sgpr_count:     4
    .sgpr_spill_count: 0
    .symbol:         _ZN7rocprim17ROCPRIM_400000_NS6detail17trampoline_kernelINS0_14default_configENS1_20scan_config_selectorIiEEZZNS1_9scan_implILNS1_25lookback_scan_determinismE0ELb0ELb0ES3_N6thrust23THRUST_200600_302600_NS6detail15normal_iteratorINS9_10device_ptrIiEEEESE_i9plus_mod3IiEiEEDaPvRmT3_T4_T5_mT6_P12ihipStream_tbENKUlT_T0_E_clISt17integral_constantIbLb1EEST_IbLb0EEEEDaSP_SQ_EUlSP_E0_NS1_11comp_targetILNS1_3genE2ELNS1_11target_archE906ELNS1_3gpuE6ELNS1_3repE0EEENS1_30default_config_static_selectorELNS0_4arch9wavefront6targetE1EEEvT1_.kd
    .uniform_work_group_size: 1
    .uses_dynamic_stack: false
    .vgpr_count:     0
    .vgpr_spill_count: 0
    .wavefront_size: 64
  - .agpr_count:     0
    .args:
      - .offset:         0
        .size:           40
        .value_kind:     by_value
    .group_segment_fixed_size: 0
    .kernarg_segment_align: 8
    .kernarg_segment_size: 40
    .language:       OpenCL C
    .language_version:
      - 2
      - 0
    .max_flat_workgroup_size: 256
    .name:           _ZN7rocprim17ROCPRIM_400000_NS6detail17trampoline_kernelINS0_14default_configENS1_20scan_config_selectorIiEEZZNS1_9scan_implILNS1_25lookback_scan_determinismE0ELb0ELb0ES3_N6thrust23THRUST_200600_302600_NS6detail15normal_iteratorINS9_10device_ptrIiEEEESE_i9plus_mod3IiEiEEDaPvRmT3_T4_T5_mT6_P12ihipStream_tbENKUlT_T0_E_clISt17integral_constantIbLb1EEST_IbLb0EEEEDaSP_SQ_EUlSP_E0_NS1_11comp_targetILNS1_3genE10ELNS1_11target_archE1201ELNS1_3gpuE5ELNS1_3repE0EEENS1_30default_config_static_selectorELNS0_4arch9wavefront6targetE1EEEvT1_
    .private_segment_fixed_size: 0
    .sgpr_count:     4
    .sgpr_spill_count: 0
    .symbol:         _ZN7rocprim17ROCPRIM_400000_NS6detail17trampoline_kernelINS0_14default_configENS1_20scan_config_selectorIiEEZZNS1_9scan_implILNS1_25lookback_scan_determinismE0ELb0ELb0ES3_N6thrust23THRUST_200600_302600_NS6detail15normal_iteratorINS9_10device_ptrIiEEEESE_i9plus_mod3IiEiEEDaPvRmT3_T4_T5_mT6_P12ihipStream_tbENKUlT_T0_E_clISt17integral_constantIbLb1EEST_IbLb0EEEEDaSP_SQ_EUlSP_E0_NS1_11comp_targetILNS1_3genE10ELNS1_11target_archE1201ELNS1_3gpuE5ELNS1_3repE0EEENS1_30default_config_static_selectorELNS0_4arch9wavefront6targetE1EEEvT1_.kd
    .uniform_work_group_size: 1
    .uses_dynamic_stack: false
    .vgpr_count:     0
    .vgpr_spill_count: 0
    .wavefront_size: 64
  - .agpr_count:     0
    .args:
      - .offset:         0
        .size:           40
        .value_kind:     by_value
    .group_segment_fixed_size: 0
    .kernarg_segment_align: 8
    .kernarg_segment_size: 40
    .language:       OpenCL C
    .language_version:
      - 2
      - 0
    .max_flat_workgroup_size: 256
    .name:           _ZN7rocprim17ROCPRIM_400000_NS6detail17trampoline_kernelINS0_14default_configENS1_20scan_config_selectorIiEEZZNS1_9scan_implILNS1_25lookback_scan_determinismE0ELb0ELb0ES3_N6thrust23THRUST_200600_302600_NS6detail15normal_iteratorINS9_10device_ptrIiEEEESE_i9plus_mod3IiEiEEDaPvRmT3_T4_T5_mT6_P12ihipStream_tbENKUlT_T0_E_clISt17integral_constantIbLb1EEST_IbLb0EEEEDaSP_SQ_EUlSP_E0_NS1_11comp_targetILNS1_3genE10ELNS1_11target_archE1200ELNS1_3gpuE4ELNS1_3repE0EEENS1_30default_config_static_selectorELNS0_4arch9wavefront6targetE1EEEvT1_
    .private_segment_fixed_size: 0
    .sgpr_count:     4
    .sgpr_spill_count: 0
    .symbol:         _ZN7rocprim17ROCPRIM_400000_NS6detail17trampoline_kernelINS0_14default_configENS1_20scan_config_selectorIiEEZZNS1_9scan_implILNS1_25lookback_scan_determinismE0ELb0ELb0ES3_N6thrust23THRUST_200600_302600_NS6detail15normal_iteratorINS9_10device_ptrIiEEEESE_i9plus_mod3IiEiEEDaPvRmT3_T4_T5_mT6_P12ihipStream_tbENKUlT_T0_E_clISt17integral_constantIbLb1EEST_IbLb0EEEEDaSP_SQ_EUlSP_E0_NS1_11comp_targetILNS1_3genE10ELNS1_11target_archE1200ELNS1_3gpuE4ELNS1_3repE0EEENS1_30default_config_static_selectorELNS0_4arch9wavefront6targetE1EEEvT1_.kd
    .uniform_work_group_size: 1
    .uses_dynamic_stack: false
    .vgpr_count:     0
    .vgpr_spill_count: 0
    .wavefront_size: 64
  - .agpr_count:     0
    .args:
      - .offset:         0
        .size:           40
        .value_kind:     by_value
    .group_segment_fixed_size: 0
    .kernarg_segment_align: 8
    .kernarg_segment_size: 40
    .language:       OpenCL C
    .language_version:
      - 2
      - 0
    .max_flat_workgroup_size: 256
    .name:           _ZN7rocprim17ROCPRIM_400000_NS6detail17trampoline_kernelINS0_14default_configENS1_20scan_config_selectorIiEEZZNS1_9scan_implILNS1_25lookback_scan_determinismE0ELb0ELb0ES3_N6thrust23THRUST_200600_302600_NS6detail15normal_iteratorINS9_10device_ptrIiEEEESE_i9plus_mod3IiEiEEDaPvRmT3_T4_T5_mT6_P12ihipStream_tbENKUlT_T0_E_clISt17integral_constantIbLb1EEST_IbLb0EEEEDaSP_SQ_EUlSP_E0_NS1_11comp_targetILNS1_3genE9ELNS1_11target_archE1100ELNS1_3gpuE3ELNS1_3repE0EEENS1_30default_config_static_selectorELNS0_4arch9wavefront6targetE1EEEvT1_
    .private_segment_fixed_size: 0
    .sgpr_count:     4
    .sgpr_spill_count: 0
    .symbol:         _ZN7rocprim17ROCPRIM_400000_NS6detail17trampoline_kernelINS0_14default_configENS1_20scan_config_selectorIiEEZZNS1_9scan_implILNS1_25lookback_scan_determinismE0ELb0ELb0ES3_N6thrust23THRUST_200600_302600_NS6detail15normal_iteratorINS9_10device_ptrIiEEEESE_i9plus_mod3IiEiEEDaPvRmT3_T4_T5_mT6_P12ihipStream_tbENKUlT_T0_E_clISt17integral_constantIbLb1EEST_IbLb0EEEEDaSP_SQ_EUlSP_E0_NS1_11comp_targetILNS1_3genE9ELNS1_11target_archE1100ELNS1_3gpuE3ELNS1_3repE0EEENS1_30default_config_static_selectorELNS0_4arch9wavefront6targetE1EEEvT1_.kd
    .uniform_work_group_size: 1
    .uses_dynamic_stack: false
    .vgpr_count:     0
    .vgpr_spill_count: 0
    .wavefront_size: 64
  - .agpr_count:     0
    .args:
      - .offset:         0
        .size:           40
        .value_kind:     by_value
    .group_segment_fixed_size: 0
    .kernarg_segment_align: 8
    .kernarg_segment_size: 40
    .language:       OpenCL C
    .language_version:
      - 2
      - 0
    .max_flat_workgroup_size: 64
    .name:           _ZN7rocprim17ROCPRIM_400000_NS6detail17trampoline_kernelINS0_14default_configENS1_20scan_config_selectorIiEEZZNS1_9scan_implILNS1_25lookback_scan_determinismE0ELb0ELb0ES3_N6thrust23THRUST_200600_302600_NS6detail15normal_iteratorINS9_10device_ptrIiEEEESE_i9plus_mod3IiEiEEDaPvRmT3_T4_T5_mT6_P12ihipStream_tbENKUlT_T0_E_clISt17integral_constantIbLb1EEST_IbLb0EEEEDaSP_SQ_EUlSP_E0_NS1_11comp_targetILNS1_3genE8ELNS1_11target_archE1030ELNS1_3gpuE2ELNS1_3repE0EEENS1_30default_config_static_selectorELNS0_4arch9wavefront6targetE1EEEvT1_
    .private_segment_fixed_size: 0
    .sgpr_count:     4
    .sgpr_spill_count: 0
    .symbol:         _ZN7rocprim17ROCPRIM_400000_NS6detail17trampoline_kernelINS0_14default_configENS1_20scan_config_selectorIiEEZZNS1_9scan_implILNS1_25lookback_scan_determinismE0ELb0ELb0ES3_N6thrust23THRUST_200600_302600_NS6detail15normal_iteratorINS9_10device_ptrIiEEEESE_i9plus_mod3IiEiEEDaPvRmT3_T4_T5_mT6_P12ihipStream_tbENKUlT_T0_E_clISt17integral_constantIbLb1EEST_IbLb0EEEEDaSP_SQ_EUlSP_E0_NS1_11comp_targetILNS1_3genE8ELNS1_11target_archE1030ELNS1_3gpuE2ELNS1_3repE0EEENS1_30default_config_static_selectorELNS0_4arch9wavefront6targetE1EEEvT1_.kd
    .uniform_work_group_size: 1
    .uses_dynamic_stack: false
    .vgpr_count:     0
    .vgpr_spill_count: 0
    .wavefront_size: 64
  - .agpr_count:     0
    .args:
      - .offset:         0
        .size:           104
        .value_kind:     by_value
    .group_segment_fixed_size: 0
    .kernarg_segment_align: 8
    .kernarg_segment_size: 104
    .language:       OpenCL C
    .language_version:
      - 2
      - 0
    .max_flat_workgroup_size: 256
    .name:           _ZN7rocprim17ROCPRIM_400000_NS6detail17trampoline_kernelINS0_14default_configENS1_20scan_config_selectorIiEEZZNS1_9scan_implILNS1_25lookback_scan_determinismE0ELb0ELb0ES3_N6thrust23THRUST_200600_302600_NS6detail15normal_iteratorINS9_10device_ptrIiEEEESE_i9plus_mod3IiEiEEDaPvRmT3_T4_T5_mT6_P12ihipStream_tbENKUlT_T0_E_clISt17integral_constantIbLb0EEST_IbLb1EEEEDaSP_SQ_EUlSP_E_NS1_11comp_targetILNS1_3genE0ELNS1_11target_archE4294967295ELNS1_3gpuE0ELNS1_3repE0EEENS1_30default_config_static_selectorELNS0_4arch9wavefront6targetE1EEEvT1_
    .private_segment_fixed_size: 0
    .sgpr_count:     4
    .sgpr_spill_count: 0
    .symbol:         _ZN7rocprim17ROCPRIM_400000_NS6detail17trampoline_kernelINS0_14default_configENS1_20scan_config_selectorIiEEZZNS1_9scan_implILNS1_25lookback_scan_determinismE0ELb0ELb0ES3_N6thrust23THRUST_200600_302600_NS6detail15normal_iteratorINS9_10device_ptrIiEEEESE_i9plus_mod3IiEiEEDaPvRmT3_T4_T5_mT6_P12ihipStream_tbENKUlT_T0_E_clISt17integral_constantIbLb0EEST_IbLb1EEEEDaSP_SQ_EUlSP_E_NS1_11comp_targetILNS1_3genE0ELNS1_11target_archE4294967295ELNS1_3gpuE0ELNS1_3repE0EEENS1_30default_config_static_selectorELNS0_4arch9wavefront6targetE1EEEvT1_.kd
    .uniform_work_group_size: 1
    .uses_dynamic_stack: false
    .vgpr_count:     0
    .vgpr_spill_count: 0
    .wavefront_size: 64
  - .agpr_count:     0
    .args:
      - .offset:         0
        .size:           104
        .value_kind:     by_value
    .group_segment_fixed_size: 0
    .kernarg_segment_align: 8
    .kernarg_segment_size: 104
    .language:       OpenCL C
    .language_version:
      - 2
      - 0
    .max_flat_workgroup_size: 256
    .name:           _ZN7rocprim17ROCPRIM_400000_NS6detail17trampoline_kernelINS0_14default_configENS1_20scan_config_selectorIiEEZZNS1_9scan_implILNS1_25lookback_scan_determinismE0ELb0ELb0ES3_N6thrust23THRUST_200600_302600_NS6detail15normal_iteratorINS9_10device_ptrIiEEEESE_i9plus_mod3IiEiEEDaPvRmT3_T4_T5_mT6_P12ihipStream_tbENKUlT_T0_E_clISt17integral_constantIbLb0EEST_IbLb1EEEEDaSP_SQ_EUlSP_E_NS1_11comp_targetILNS1_3genE5ELNS1_11target_archE942ELNS1_3gpuE9ELNS1_3repE0EEENS1_30default_config_static_selectorELNS0_4arch9wavefront6targetE1EEEvT1_
    .private_segment_fixed_size: 0
    .sgpr_count:     4
    .sgpr_spill_count: 0
    .symbol:         _ZN7rocprim17ROCPRIM_400000_NS6detail17trampoline_kernelINS0_14default_configENS1_20scan_config_selectorIiEEZZNS1_9scan_implILNS1_25lookback_scan_determinismE0ELb0ELb0ES3_N6thrust23THRUST_200600_302600_NS6detail15normal_iteratorINS9_10device_ptrIiEEEESE_i9plus_mod3IiEiEEDaPvRmT3_T4_T5_mT6_P12ihipStream_tbENKUlT_T0_E_clISt17integral_constantIbLb0EEST_IbLb1EEEEDaSP_SQ_EUlSP_E_NS1_11comp_targetILNS1_3genE5ELNS1_11target_archE942ELNS1_3gpuE9ELNS1_3repE0EEENS1_30default_config_static_selectorELNS0_4arch9wavefront6targetE1EEEvT1_.kd
    .uniform_work_group_size: 1
    .uses_dynamic_stack: false
    .vgpr_count:     0
    .vgpr_spill_count: 0
    .wavefront_size: 64
  - .agpr_count:     0
    .args:
      - .offset:         0
        .size:           104
        .value_kind:     by_value
    .group_segment_fixed_size: 5120
    .kernarg_segment_align: 8
    .kernarg_segment_size: 104
    .language:       OpenCL C
    .language_version:
      - 2
      - 0
    .max_flat_workgroup_size: 128
    .name:           _ZN7rocprim17ROCPRIM_400000_NS6detail17trampoline_kernelINS0_14default_configENS1_20scan_config_selectorIiEEZZNS1_9scan_implILNS1_25lookback_scan_determinismE0ELb0ELb0ES3_N6thrust23THRUST_200600_302600_NS6detail15normal_iteratorINS9_10device_ptrIiEEEESE_i9plus_mod3IiEiEEDaPvRmT3_T4_T5_mT6_P12ihipStream_tbENKUlT_T0_E_clISt17integral_constantIbLb0EEST_IbLb1EEEEDaSP_SQ_EUlSP_E_NS1_11comp_targetILNS1_3genE4ELNS1_11target_archE910ELNS1_3gpuE8ELNS1_3repE0EEENS1_30default_config_static_selectorELNS0_4arch9wavefront6targetE1EEEvT1_
    .private_segment_fixed_size: 0
    .sgpr_count:     48
    .sgpr_spill_count: 0
    .symbol:         _ZN7rocprim17ROCPRIM_400000_NS6detail17trampoline_kernelINS0_14default_configENS1_20scan_config_selectorIiEEZZNS1_9scan_implILNS1_25lookback_scan_determinismE0ELb0ELb0ES3_N6thrust23THRUST_200600_302600_NS6detail15normal_iteratorINS9_10device_ptrIiEEEESE_i9plus_mod3IiEiEEDaPvRmT3_T4_T5_mT6_P12ihipStream_tbENKUlT_T0_E_clISt17integral_constantIbLb0EEST_IbLb1EEEEDaSP_SQ_EUlSP_E_NS1_11comp_targetILNS1_3genE4ELNS1_11target_archE910ELNS1_3gpuE8ELNS1_3repE0EEENS1_30default_config_static_selectorELNS0_4arch9wavefront6targetE1EEEvT1_.kd
    .uniform_work_group_size: 1
    .uses_dynamic_stack: false
    .vgpr_count:     42
    .vgpr_spill_count: 0
    .wavefront_size: 64
  - .agpr_count:     0
    .args:
      - .offset:         0
        .size:           104
        .value_kind:     by_value
    .group_segment_fixed_size: 0
    .kernarg_segment_align: 8
    .kernarg_segment_size: 104
    .language:       OpenCL C
    .language_version:
      - 2
      - 0
    .max_flat_workgroup_size: 256
    .name:           _ZN7rocprim17ROCPRIM_400000_NS6detail17trampoline_kernelINS0_14default_configENS1_20scan_config_selectorIiEEZZNS1_9scan_implILNS1_25lookback_scan_determinismE0ELb0ELb0ES3_N6thrust23THRUST_200600_302600_NS6detail15normal_iteratorINS9_10device_ptrIiEEEESE_i9plus_mod3IiEiEEDaPvRmT3_T4_T5_mT6_P12ihipStream_tbENKUlT_T0_E_clISt17integral_constantIbLb0EEST_IbLb1EEEEDaSP_SQ_EUlSP_E_NS1_11comp_targetILNS1_3genE3ELNS1_11target_archE908ELNS1_3gpuE7ELNS1_3repE0EEENS1_30default_config_static_selectorELNS0_4arch9wavefront6targetE1EEEvT1_
    .private_segment_fixed_size: 0
    .sgpr_count:     4
    .sgpr_spill_count: 0
    .symbol:         _ZN7rocprim17ROCPRIM_400000_NS6detail17trampoline_kernelINS0_14default_configENS1_20scan_config_selectorIiEEZZNS1_9scan_implILNS1_25lookback_scan_determinismE0ELb0ELb0ES3_N6thrust23THRUST_200600_302600_NS6detail15normal_iteratorINS9_10device_ptrIiEEEESE_i9plus_mod3IiEiEEDaPvRmT3_T4_T5_mT6_P12ihipStream_tbENKUlT_T0_E_clISt17integral_constantIbLb0EEST_IbLb1EEEEDaSP_SQ_EUlSP_E_NS1_11comp_targetILNS1_3genE3ELNS1_11target_archE908ELNS1_3gpuE7ELNS1_3repE0EEENS1_30default_config_static_selectorELNS0_4arch9wavefront6targetE1EEEvT1_.kd
    .uniform_work_group_size: 1
    .uses_dynamic_stack: false
    .vgpr_count:     0
    .vgpr_spill_count: 0
    .wavefront_size: 64
  - .agpr_count:     0
    .args:
      - .offset:         0
        .size:           104
        .value_kind:     by_value
    .group_segment_fixed_size: 0
    .kernarg_segment_align: 8
    .kernarg_segment_size: 104
    .language:       OpenCL C
    .language_version:
      - 2
      - 0
    .max_flat_workgroup_size: 256
    .name:           _ZN7rocprim17ROCPRIM_400000_NS6detail17trampoline_kernelINS0_14default_configENS1_20scan_config_selectorIiEEZZNS1_9scan_implILNS1_25lookback_scan_determinismE0ELb0ELb0ES3_N6thrust23THRUST_200600_302600_NS6detail15normal_iteratorINS9_10device_ptrIiEEEESE_i9plus_mod3IiEiEEDaPvRmT3_T4_T5_mT6_P12ihipStream_tbENKUlT_T0_E_clISt17integral_constantIbLb0EEST_IbLb1EEEEDaSP_SQ_EUlSP_E_NS1_11comp_targetILNS1_3genE2ELNS1_11target_archE906ELNS1_3gpuE6ELNS1_3repE0EEENS1_30default_config_static_selectorELNS0_4arch9wavefront6targetE1EEEvT1_
    .private_segment_fixed_size: 0
    .sgpr_count:     4
    .sgpr_spill_count: 0
    .symbol:         _ZN7rocprim17ROCPRIM_400000_NS6detail17trampoline_kernelINS0_14default_configENS1_20scan_config_selectorIiEEZZNS1_9scan_implILNS1_25lookback_scan_determinismE0ELb0ELb0ES3_N6thrust23THRUST_200600_302600_NS6detail15normal_iteratorINS9_10device_ptrIiEEEESE_i9plus_mod3IiEiEEDaPvRmT3_T4_T5_mT6_P12ihipStream_tbENKUlT_T0_E_clISt17integral_constantIbLb0EEST_IbLb1EEEEDaSP_SQ_EUlSP_E_NS1_11comp_targetILNS1_3genE2ELNS1_11target_archE906ELNS1_3gpuE6ELNS1_3repE0EEENS1_30default_config_static_selectorELNS0_4arch9wavefront6targetE1EEEvT1_.kd
    .uniform_work_group_size: 1
    .uses_dynamic_stack: false
    .vgpr_count:     0
    .vgpr_spill_count: 0
    .wavefront_size: 64
  - .agpr_count:     0
    .args:
      - .offset:         0
        .size:           104
        .value_kind:     by_value
    .group_segment_fixed_size: 0
    .kernarg_segment_align: 8
    .kernarg_segment_size: 104
    .language:       OpenCL C
    .language_version:
      - 2
      - 0
    .max_flat_workgroup_size: 256
    .name:           _ZN7rocprim17ROCPRIM_400000_NS6detail17trampoline_kernelINS0_14default_configENS1_20scan_config_selectorIiEEZZNS1_9scan_implILNS1_25lookback_scan_determinismE0ELb0ELb0ES3_N6thrust23THRUST_200600_302600_NS6detail15normal_iteratorINS9_10device_ptrIiEEEESE_i9plus_mod3IiEiEEDaPvRmT3_T4_T5_mT6_P12ihipStream_tbENKUlT_T0_E_clISt17integral_constantIbLb0EEST_IbLb1EEEEDaSP_SQ_EUlSP_E_NS1_11comp_targetILNS1_3genE10ELNS1_11target_archE1201ELNS1_3gpuE5ELNS1_3repE0EEENS1_30default_config_static_selectorELNS0_4arch9wavefront6targetE1EEEvT1_
    .private_segment_fixed_size: 0
    .sgpr_count:     4
    .sgpr_spill_count: 0
    .symbol:         _ZN7rocprim17ROCPRIM_400000_NS6detail17trampoline_kernelINS0_14default_configENS1_20scan_config_selectorIiEEZZNS1_9scan_implILNS1_25lookback_scan_determinismE0ELb0ELb0ES3_N6thrust23THRUST_200600_302600_NS6detail15normal_iteratorINS9_10device_ptrIiEEEESE_i9plus_mod3IiEiEEDaPvRmT3_T4_T5_mT6_P12ihipStream_tbENKUlT_T0_E_clISt17integral_constantIbLb0EEST_IbLb1EEEEDaSP_SQ_EUlSP_E_NS1_11comp_targetILNS1_3genE10ELNS1_11target_archE1201ELNS1_3gpuE5ELNS1_3repE0EEENS1_30default_config_static_selectorELNS0_4arch9wavefront6targetE1EEEvT1_.kd
    .uniform_work_group_size: 1
    .uses_dynamic_stack: false
    .vgpr_count:     0
    .vgpr_spill_count: 0
    .wavefront_size: 64
  - .agpr_count:     0
    .args:
      - .offset:         0
        .size:           104
        .value_kind:     by_value
    .group_segment_fixed_size: 0
    .kernarg_segment_align: 8
    .kernarg_segment_size: 104
    .language:       OpenCL C
    .language_version:
      - 2
      - 0
    .max_flat_workgroup_size: 256
    .name:           _ZN7rocprim17ROCPRIM_400000_NS6detail17trampoline_kernelINS0_14default_configENS1_20scan_config_selectorIiEEZZNS1_9scan_implILNS1_25lookback_scan_determinismE0ELb0ELb0ES3_N6thrust23THRUST_200600_302600_NS6detail15normal_iteratorINS9_10device_ptrIiEEEESE_i9plus_mod3IiEiEEDaPvRmT3_T4_T5_mT6_P12ihipStream_tbENKUlT_T0_E_clISt17integral_constantIbLb0EEST_IbLb1EEEEDaSP_SQ_EUlSP_E_NS1_11comp_targetILNS1_3genE10ELNS1_11target_archE1200ELNS1_3gpuE4ELNS1_3repE0EEENS1_30default_config_static_selectorELNS0_4arch9wavefront6targetE1EEEvT1_
    .private_segment_fixed_size: 0
    .sgpr_count:     4
    .sgpr_spill_count: 0
    .symbol:         _ZN7rocprim17ROCPRIM_400000_NS6detail17trampoline_kernelINS0_14default_configENS1_20scan_config_selectorIiEEZZNS1_9scan_implILNS1_25lookback_scan_determinismE0ELb0ELb0ES3_N6thrust23THRUST_200600_302600_NS6detail15normal_iteratorINS9_10device_ptrIiEEEESE_i9plus_mod3IiEiEEDaPvRmT3_T4_T5_mT6_P12ihipStream_tbENKUlT_T0_E_clISt17integral_constantIbLb0EEST_IbLb1EEEEDaSP_SQ_EUlSP_E_NS1_11comp_targetILNS1_3genE10ELNS1_11target_archE1200ELNS1_3gpuE4ELNS1_3repE0EEENS1_30default_config_static_selectorELNS0_4arch9wavefront6targetE1EEEvT1_.kd
    .uniform_work_group_size: 1
    .uses_dynamic_stack: false
    .vgpr_count:     0
    .vgpr_spill_count: 0
    .wavefront_size: 64
  - .agpr_count:     0
    .args:
      - .offset:         0
        .size:           104
        .value_kind:     by_value
    .group_segment_fixed_size: 0
    .kernarg_segment_align: 8
    .kernarg_segment_size: 104
    .language:       OpenCL C
    .language_version:
      - 2
      - 0
    .max_flat_workgroup_size: 256
    .name:           _ZN7rocprim17ROCPRIM_400000_NS6detail17trampoline_kernelINS0_14default_configENS1_20scan_config_selectorIiEEZZNS1_9scan_implILNS1_25lookback_scan_determinismE0ELb0ELb0ES3_N6thrust23THRUST_200600_302600_NS6detail15normal_iteratorINS9_10device_ptrIiEEEESE_i9plus_mod3IiEiEEDaPvRmT3_T4_T5_mT6_P12ihipStream_tbENKUlT_T0_E_clISt17integral_constantIbLb0EEST_IbLb1EEEEDaSP_SQ_EUlSP_E_NS1_11comp_targetILNS1_3genE9ELNS1_11target_archE1100ELNS1_3gpuE3ELNS1_3repE0EEENS1_30default_config_static_selectorELNS0_4arch9wavefront6targetE1EEEvT1_
    .private_segment_fixed_size: 0
    .sgpr_count:     4
    .sgpr_spill_count: 0
    .symbol:         _ZN7rocprim17ROCPRIM_400000_NS6detail17trampoline_kernelINS0_14default_configENS1_20scan_config_selectorIiEEZZNS1_9scan_implILNS1_25lookback_scan_determinismE0ELb0ELb0ES3_N6thrust23THRUST_200600_302600_NS6detail15normal_iteratorINS9_10device_ptrIiEEEESE_i9plus_mod3IiEiEEDaPvRmT3_T4_T5_mT6_P12ihipStream_tbENKUlT_T0_E_clISt17integral_constantIbLb0EEST_IbLb1EEEEDaSP_SQ_EUlSP_E_NS1_11comp_targetILNS1_3genE9ELNS1_11target_archE1100ELNS1_3gpuE3ELNS1_3repE0EEENS1_30default_config_static_selectorELNS0_4arch9wavefront6targetE1EEEvT1_.kd
    .uniform_work_group_size: 1
    .uses_dynamic_stack: false
    .vgpr_count:     0
    .vgpr_spill_count: 0
    .wavefront_size: 64
  - .agpr_count:     0
    .args:
      - .offset:         0
        .size:           104
        .value_kind:     by_value
    .group_segment_fixed_size: 0
    .kernarg_segment_align: 8
    .kernarg_segment_size: 104
    .language:       OpenCL C
    .language_version:
      - 2
      - 0
    .max_flat_workgroup_size: 64
    .name:           _ZN7rocprim17ROCPRIM_400000_NS6detail17trampoline_kernelINS0_14default_configENS1_20scan_config_selectorIiEEZZNS1_9scan_implILNS1_25lookback_scan_determinismE0ELb0ELb0ES3_N6thrust23THRUST_200600_302600_NS6detail15normal_iteratorINS9_10device_ptrIiEEEESE_i9plus_mod3IiEiEEDaPvRmT3_T4_T5_mT6_P12ihipStream_tbENKUlT_T0_E_clISt17integral_constantIbLb0EEST_IbLb1EEEEDaSP_SQ_EUlSP_E_NS1_11comp_targetILNS1_3genE8ELNS1_11target_archE1030ELNS1_3gpuE2ELNS1_3repE0EEENS1_30default_config_static_selectorELNS0_4arch9wavefront6targetE1EEEvT1_
    .private_segment_fixed_size: 0
    .sgpr_count:     4
    .sgpr_spill_count: 0
    .symbol:         _ZN7rocprim17ROCPRIM_400000_NS6detail17trampoline_kernelINS0_14default_configENS1_20scan_config_selectorIiEEZZNS1_9scan_implILNS1_25lookback_scan_determinismE0ELb0ELb0ES3_N6thrust23THRUST_200600_302600_NS6detail15normal_iteratorINS9_10device_ptrIiEEEESE_i9plus_mod3IiEiEEDaPvRmT3_T4_T5_mT6_P12ihipStream_tbENKUlT_T0_E_clISt17integral_constantIbLb0EEST_IbLb1EEEEDaSP_SQ_EUlSP_E_NS1_11comp_targetILNS1_3genE8ELNS1_11target_archE1030ELNS1_3gpuE2ELNS1_3repE0EEENS1_30default_config_static_selectorELNS0_4arch9wavefront6targetE1EEEvT1_.kd
    .uniform_work_group_size: 1
    .uses_dynamic_stack: false
    .vgpr_count:     0
    .vgpr_spill_count: 0
    .wavefront_size: 64
  - .agpr_count:     0
    .args:
      - .offset:         0
        .size:           40
        .value_kind:     by_value
    .group_segment_fixed_size: 0
    .kernarg_segment_align: 8
    .kernarg_segment_size: 40
    .language:       OpenCL C
    .language_version:
      - 2
      - 0
    .max_flat_workgroup_size: 256
    .name:           _ZN7rocprim17ROCPRIM_400000_NS6detail17trampoline_kernelINS0_14default_configENS1_20scan_config_selectorIiEEZZNS1_9scan_implILNS1_25lookback_scan_determinismE0ELb0ELb0ES3_N6thrust23THRUST_200600_302600_NS6detail15normal_iteratorINS9_10device_ptrIiEEEESE_i9plus_mod3IiEiEEDaPvRmT3_T4_T5_mT6_P12ihipStream_tbENKUlT_T0_E_clISt17integral_constantIbLb0EEST_IbLb1EEEEDaSP_SQ_EUlSP_E0_NS1_11comp_targetILNS1_3genE0ELNS1_11target_archE4294967295ELNS1_3gpuE0ELNS1_3repE0EEENS1_30default_config_static_selectorELNS0_4arch9wavefront6targetE1EEEvT1_
    .private_segment_fixed_size: 0
    .sgpr_count:     4
    .sgpr_spill_count: 0
    .symbol:         _ZN7rocprim17ROCPRIM_400000_NS6detail17trampoline_kernelINS0_14default_configENS1_20scan_config_selectorIiEEZZNS1_9scan_implILNS1_25lookback_scan_determinismE0ELb0ELb0ES3_N6thrust23THRUST_200600_302600_NS6detail15normal_iteratorINS9_10device_ptrIiEEEESE_i9plus_mod3IiEiEEDaPvRmT3_T4_T5_mT6_P12ihipStream_tbENKUlT_T0_E_clISt17integral_constantIbLb0EEST_IbLb1EEEEDaSP_SQ_EUlSP_E0_NS1_11comp_targetILNS1_3genE0ELNS1_11target_archE4294967295ELNS1_3gpuE0ELNS1_3repE0EEENS1_30default_config_static_selectorELNS0_4arch9wavefront6targetE1EEEvT1_.kd
    .uniform_work_group_size: 1
    .uses_dynamic_stack: false
    .vgpr_count:     0
    .vgpr_spill_count: 0
    .wavefront_size: 64
  - .agpr_count:     0
    .args:
      - .offset:         0
        .size:           40
        .value_kind:     by_value
    .group_segment_fixed_size: 0
    .kernarg_segment_align: 8
    .kernarg_segment_size: 40
    .language:       OpenCL C
    .language_version:
      - 2
      - 0
    .max_flat_workgroup_size: 256
    .name:           _ZN7rocprim17ROCPRIM_400000_NS6detail17trampoline_kernelINS0_14default_configENS1_20scan_config_selectorIiEEZZNS1_9scan_implILNS1_25lookback_scan_determinismE0ELb0ELb0ES3_N6thrust23THRUST_200600_302600_NS6detail15normal_iteratorINS9_10device_ptrIiEEEESE_i9plus_mod3IiEiEEDaPvRmT3_T4_T5_mT6_P12ihipStream_tbENKUlT_T0_E_clISt17integral_constantIbLb0EEST_IbLb1EEEEDaSP_SQ_EUlSP_E0_NS1_11comp_targetILNS1_3genE5ELNS1_11target_archE942ELNS1_3gpuE9ELNS1_3repE0EEENS1_30default_config_static_selectorELNS0_4arch9wavefront6targetE1EEEvT1_
    .private_segment_fixed_size: 0
    .sgpr_count:     4
    .sgpr_spill_count: 0
    .symbol:         _ZN7rocprim17ROCPRIM_400000_NS6detail17trampoline_kernelINS0_14default_configENS1_20scan_config_selectorIiEEZZNS1_9scan_implILNS1_25lookback_scan_determinismE0ELb0ELb0ES3_N6thrust23THRUST_200600_302600_NS6detail15normal_iteratorINS9_10device_ptrIiEEEESE_i9plus_mod3IiEiEEDaPvRmT3_T4_T5_mT6_P12ihipStream_tbENKUlT_T0_E_clISt17integral_constantIbLb0EEST_IbLb1EEEEDaSP_SQ_EUlSP_E0_NS1_11comp_targetILNS1_3genE5ELNS1_11target_archE942ELNS1_3gpuE9ELNS1_3repE0EEENS1_30default_config_static_selectorELNS0_4arch9wavefront6targetE1EEEvT1_.kd
    .uniform_work_group_size: 1
    .uses_dynamic_stack: false
    .vgpr_count:     0
    .vgpr_spill_count: 0
    .wavefront_size: 64
  - .agpr_count:     0
    .args:
      - .offset:         0
        .size:           40
        .value_kind:     by_value
    .group_segment_fixed_size: 5120
    .kernarg_segment_align: 8
    .kernarg_segment_size: 40
    .language:       OpenCL C
    .language_version:
      - 2
      - 0
    .max_flat_workgroup_size: 128
    .name:           _ZN7rocprim17ROCPRIM_400000_NS6detail17trampoline_kernelINS0_14default_configENS1_20scan_config_selectorIiEEZZNS1_9scan_implILNS1_25lookback_scan_determinismE0ELb0ELb0ES3_N6thrust23THRUST_200600_302600_NS6detail15normal_iteratorINS9_10device_ptrIiEEEESE_i9plus_mod3IiEiEEDaPvRmT3_T4_T5_mT6_P12ihipStream_tbENKUlT_T0_E_clISt17integral_constantIbLb0EEST_IbLb1EEEEDaSP_SQ_EUlSP_E0_NS1_11comp_targetILNS1_3genE4ELNS1_11target_archE910ELNS1_3gpuE8ELNS1_3repE0EEENS1_30default_config_static_selectorELNS0_4arch9wavefront6targetE1EEEvT1_
    .private_segment_fixed_size: 0
    .sgpr_count:     32
    .sgpr_spill_count: 0
    .symbol:         _ZN7rocprim17ROCPRIM_400000_NS6detail17trampoline_kernelINS0_14default_configENS1_20scan_config_selectorIiEEZZNS1_9scan_implILNS1_25lookback_scan_determinismE0ELb0ELb0ES3_N6thrust23THRUST_200600_302600_NS6detail15normal_iteratorINS9_10device_ptrIiEEEESE_i9plus_mod3IiEiEEDaPvRmT3_T4_T5_mT6_P12ihipStream_tbENKUlT_T0_E_clISt17integral_constantIbLb0EEST_IbLb1EEEEDaSP_SQ_EUlSP_E0_NS1_11comp_targetILNS1_3genE4ELNS1_11target_archE910ELNS1_3gpuE8ELNS1_3repE0EEENS1_30default_config_static_selectorELNS0_4arch9wavefront6targetE1EEEvT1_.kd
    .uniform_work_group_size: 1
    .uses_dynamic_stack: false
    .vgpr_count:     22
    .vgpr_spill_count: 0
    .wavefront_size: 64
  - .agpr_count:     0
    .args:
      - .offset:         0
        .size:           40
        .value_kind:     by_value
    .group_segment_fixed_size: 0
    .kernarg_segment_align: 8
    .kernarg_segment_size: 40
    .language:       OpenCL C
    .language_version:
      - 2
      - 0
    .max_flat_workgroup_size: 256
    .name:           _ZN7rocprim17ROCPRIM_400000_NS6detail17trampoline_kernelINS0_14default_configENS1_20scan_config_selectorIiEEZZNS1_9scan_implILNS1_25lookback_scan_determinismE0ELb0ELb0ES3_N6thrust23THRUST_200600_302600_NS6detail15normal_iteratorINS9_10device_ptrIiEEEESE_i9plus_mod3IiEiEEDaPvRmT3_T4_T5_mT6_P12ihipStream_tbENKUlT_T0_E_clISt17integral_constantIbLb0EEST_IbLb1EEEEDaSP_SQ_EUlSP_E0_NS1_11comp_targetILNS1_3genE3ELNS1_11target_archE908ELNS1_3gpuE7ELNS1_3repE0EEENS1_30default_config_static_selectorELNS0_4arch9wavefront6targetE1EEEvT1_
    .private_segment_fixed_size: 0
    .sgpr_count:     4
    .sgpr_spill_count: 0
    .symbol:         _ZN7rocprim17ROCPRIM_400000_NS6detail17trampoline_kernelINS0_14default_configENS1_20scan_config_selectorIiEEZZNS1_9scan_implILNS1_25lookback_scan_determinismE0ELb0ELb0ES3_N6thrust23THRUST_200600_302600_NS6detail15normal_iteratorINS9_10device_ptrIiEEEESE_i9plus_mod3IiEiEEDaPvRmT3_T4_T5_mT6_P12ihipStream_tbENKUlT_T0_E_clISt17integral_constantIbLb0EEST_IbLb1EEEEDaSP_SQ_EUlSP_E0_NS1_11comp_targetILNS1_3genE3ELNS1_11target_archE908ELNS1_3gpuE7ELNS1_3repE0EEENS1_30default_config_static_selectorELNS0_4arch9wavefront6targetE1EEEvT1_.kd
    .uniform_work_group_size: 1
    .uses_dynamic_stack: false
    .vgpr_count:     0
    .vgpr_spill_count: 0
    .wavefront_size: 64
  - .agpr_count:     0
    .args:
      - .offset:         0
        .size:           40
        .value_kind:     by_value
    .group_segment_fixed_size: 0
    .kernarg_segment_align: 8
    .kernarg_segment_size: 40
    .language:       OpenCL C
    .language_version:
      - 2
      - 0
    .max_flat_workgroup_size: 256
    .name:           _ZN7rocprim17ROCPRIM_400000_NS6detail17trampoline_kernelINS0_14default_configENS1_20scan_config_selectorIiEEZZNS1_9scan_implILNS1_25lookback_scan_determinismE0ELb0ELb0ES3_N6thrust23THRUST_200600_302600_NS6detail15normal_iteratorINS9_10device_ptrIiEEEESE_i9plus_mod3IiEiEEDaPvRmT3_T4_T5_mT6_P12ihipStream_tbENKUlT_T0_E_clISt17integral_constantIbLb0EEST_IbLb1EEEEDaSP_SQ_EUlSP_E0_NS1_11comp_targetILNS1_3genE2ELNS1_11target_archE906ELNS1_3gpuE6ELNS1_3repE0EEENS1_30default_config_static_selectorELNS0_4arch9wavefront6targetE1EEEvT1_
    .private_segment_fixed_size: 0
    .sgpr_count:     4
    .sgpr_spill_count: 0
    .symbol:         _ZN7rocprim17ROCPRIM_400000_NS6detail17trampoline_kernelINS0_14default_configENS1_20scan_config_selectorIiEEZZNS1_9scan_implILNS1_25lookback_scan_determinismE0ELb0ELb0ES3_N6thrust23THRUST_200600_302600_NS6detail15normal_iteratorINS9_10device_ptrIiEEEESE_i9plus_mod3IiEiEEDaPvRmT3_T4_T5_mT6_P12ihipStream_tbENKUlT_T0_E_clISt17integral_constantIbLb0EEST_IbLb1EEEEDaSP_SQ_EUlSP_E0_NS1_11comp_targetILNS1_3genE2ELNS1_11target_archE906ELNS1_3gpuE6ELNS1_3repE0EEENS1_30default_config_static_selectorELNS0_4arch9wavefront6targetE1EEEvT1_.kd
    .uniform_work_group_size: 1
    .uses_dynamic_stack: false
    .vgpr_count:     0
    .vgpr_spill_count: 0
    .wavefront_size: 64
  - .agpr_count:     0
    .args:
      - .offset:         0
        .size:           40
        .value_kind:     by_value
    .group_segment_fixed_size: 0
    .kernarg_segment_align: 8
    .kernarg_segment_size: 40
    .language:       OpenCL C
    .language_version:
      - 2
      - 0
    .max_flat_workgroup_size: 256
    .name:           _ZN7rocprim17ROCPRIM_400000_NS6detail17trampoline_kernelINS0_14default_configENS1_20scan_config_selectorIiEEZZNS1_9scan_implILNS1_25lookback_scan_determinismE0ELb0ELb0ES3_N6thrust23THRUST_200600_302600_NS6detail15normal_iteratorINS9_10device_ptrIiEEEESE_i9plus_mod3IiEiEEDaPvRmT3_T4_T5_mT6_P12ihipStream_tbENKUlT_T0_E_clISt17integral_constantIbLb0EEST_IbLb1EEEEDaSP_SQ_EUlSP_E0_NS1_11comp_targetILNS1_3genE10ELNS1_11target_archE1201ELNS1_3gpuE5ELNS1_3repE0EEENS1_30default_config_static_selectorELNS0_4arch9wavefront6targetE1EEEvT1_
    .private_segment_fixed_size: 0
    .sgpr_count:     4
    .sgpr_spill_count: 0
    .symbol:         _ZN7rocprim17ROCPRIM_400000_NS6detail17trampoline_kernelINS0_14default_configENS1_20scan_config_selectorIiEEZZNS1_9scan_implILNS1_25lookback_scan_determinismE0ELb0ELb0ES3_N6thrust23THRUST_200600_302600_NS6detail15normal_iteratorINS9_10device_ptrIiEEEESE_i9plus_mod3IiEiEEDaPvRmT3_T4_T5_mT6_P12ihipStream_tbENKUlT_T0_E_clISt17integral_constantIbLb0EEST_IbLb1EEEEDaSP_SQ_EUlSP_E0_NS1_11comp_targetILNS1_3genE10ELNS1_11target_archE1201ELNS1_3gpuE5ELNS1_3repE0EEENS1_30default_config_static_selectorELNS0_4arch9wavefront6targetE1EEEvT1_.kd
    .uniform_work_group_size: 1
    .uses_dynamic_stack: false
    .vgpr_count:     0
    .vgpr_spill_count: 0
    .wavefront_size: 64
  - .agpr_count:     0
    .args:
      - .offset:         0
        .size:           40
        .value_kind:     by_value
    .group_segment_fixed_size: 0
    .kernarg_segment_align: 8
    .kernarg_segment_size: 40
    .language:       OpenCL C
    .language_version:
      - 2
      - 0
    .max_flat_workgroup_size: 256
    .name:           _ZN7rocprim17ROCPRIM_400000_NS6detail17trampoline_kernelINS0_14default_configENS1_20scan_config_selectorIiEEZZNS1_9scan_implILNS1_25lookback_scan_determinismE0ELb0ELb0ES3_N6thrust23THRUST_200600_302600_NS6detail15normal_iteratorINS9_10device_ptrIiEEEESE_i9plus_mod3IiEiEEDaPvRmT3_T4_T5_mT6_P12ihipStream_tbENKUlT_T0_E_clISt17integral_constantIbLb0EEST_IbLb1EEEEDaSP_SQ_EUlSP_E0_NS1_11comp_targetILNS1_3genE10ELNS1_11target_archE1200ELNS1_3gpuE4ELNS1_3repE0EEENS1_30default_config_static_selectorELNS0_4arch9wavefront6targetE1EEEvT1_
    .private_segment_fixed_size: 0
    .sgpr_count:     4
    .sgpr_spill_count: 0
    .symbol:         _ZN7rocprim17ROCPRIM_400000_NS6detail17trampoline_kernelINS0_14default_configENS1_20scan_config_selectorIiEEZZNS1_9scan_implILNS1_25lookback_scan_determinismE0ELb0ELb0ES3_N6thrust23THRUST_200600_302600_NS6detail15normal_iteratorINS9_10device_ptrIiEEEESE_i9plus_mod3IiEiEEDaPvRmT3_T4_T5_mT6_P12ihipStream_tbENKUlT_T0_E_clISt17integral_constantIbLb0EEST_IbLb1EEEEDaSP_SQ_EUlSP_E0_NS1_11comp_targetILNS1_3genE10ELNS1_11target_archE1200ELNS1_3gpuE4ELNS1_3repE0EEENS1_30default_config_static_selectorELNS0_4arch9wavefront6targetE1EEEvT1_.kd
    .uniform_work_group_size: 1
    .uses_dynamic_stack: false
    .vgpr_count:     0
    .vgpr_spill_count: 0
    .wavefront_size: 64
  - .agpr_count:     0
    .args:
      - .offset:         0
        .size:           40
        .value_kind:     by_value
    .group_segment_fixed_size: 0
    .kernarg_segment_align: 8
    .kernarg_segment_size: 40
    .language:       OpenCL C
    .language_version:
      - 2
      - 0
    .max_flat_workgroup_size: 256
    .name:           _ZN7rocprim17ROCPRIM_400000_NS6detail17trampoline_kernelINS0_14default_configENS1_20scan_config_selectorIiEEZZNS1_9scan_implILNS1_25lookback_scan_determinismE0ELb0ELb0ES3_N6thrust23THRUST_200600_302600_NS6detail15normal_iteratorINS9_10device_ptrIiEEEESE_i9plus_mod3IiEiEEDaPvRmT3_T4_T5_mT6_P12ihipStream_tbENKUlT_T0_E_clISt17integral_constantIbLb0EEST_IbLb1EEEEDaSP_SQ_EUlSP_E0_NS1_11comp_targetILNS1_3genE9ELNS1_11target_archE1100ELNS1_3gpuE3ELNS1_3repE0EEENS1_30default_config_static_selectorELNS0_4arch9wavefront6targetE1EEEvT1_
    .private_segment_fixed_size: 0
    .sgpr_count:     4
    .sgpr_spill_count: 0
    .symbol:         _ZN7rocprim17ROCPRIM_400000_NS6detail17trampoline_kernelINS0_14default_configENS1_20scan_config_selectorIiEEZZNS1_9scan_implILNS1_25lookback_scan_determinismE0ELb0ELb0ES3_N6thrust23THRUST_200600_302600_NS6detail15normal_iteratorINS9_10device_ptrIiEEEESE_i9plus_mod3IiEiEEDaPvRmT3_T4_T5_mT6_P12ihipStream_tbENKUlT_T0_E_clISt17integral_constantIbLb0EEST_IbLb1EEEEDaSP_SQ_EUlSP_E0_NS1_11comp_targetILNS1_3genE9ELNS1_11target_archE1100ELNS1_3gpuE3ELNS1_3repE0EEENS1_30default_config_static_selectorELNS0_4arch9wavefront6targetE1EEEvT1_.kd
    .uniform_work_group_size: 1
    .uses_dynamic_stack: false
    .vgpr_count:     0
    .vgpr_spill_count: 0
    .wavefront_size: 64
  - .agpr_count:     0
    .args:
      - .offset:         0
        .size:           40
        .value_kind:     by_value
    .group_segment_fixed_size: 0
    .kernarg_segment_align: 8
    .kernarg_segment_size: 40
    .language:       OpenCL C
    .language_version:
      - 2
      - 0
    .max_flat_workgroup_size: 64
    .name:           _ZN7rocprim17ROCPRIM_400000_NS6detail17trampoline_kernelINS0_14default_configENS1_20scan_config_selectorIiEEZZNS1_9scan_implILNS1_25lookback_scan_determinismE0ELb0ELb0ES3_N6thrust23THRUST_200600_302600_NS6detail15normal_iteratorINS9_10device_ptrIiEEEESE_i9plus_mod3IiEiEEDaPvRmT3_T4_T5_mT6_P12ihipStream_tbENKUlT_T0_E_clISt17integral_constantIbLb0EEST_IbLb1EEEEDaSP_SQ_EUlSP_E0_NS1_11comp_targetILNS1_3genE8ELNS1_11target_archE1030ELNS1_3gpuE2ELNS1_3repE0EEENS1_30default_config_static_selectorELNS0_4arch9wavefront6targetE1EEEvT1_
    .private_segment_fixed_size: 0
    .sgpr_count:     4
    .sgpr_spill_count: 0
    .symbol:         _ZN7rocprim17ROCPRIM_400000_NS6detail17trampoline_kernelINS0_14default_configENS1_20scan_config_selectorIiEEZZNS1_9scan_implILNS1_25lookback_scan_determinismE0ELb0ELb0ES3_N6thrust23THRUST_200600_302600_NS6detail15normal_iteratorINS9_10device_ptrIiEEEESE_i9plus_mod3IiEiEEDaPvRmT3_T4_T5_mT6_P12ihipStream_tbENKUlT_T0_E_clISt17integral_constantIbLb0EEST_IbLb1EEEEDaSP_SQ_EUlSP_E0_NS1_11comp_targetILNS1_3genE8ELNS1_11target_archE1030ELNS1_3gpuE2ELNS1_3repE0EEENS1_30default_config_static_selectorELNS0_4arch9wavefront6targetE1EEEvT1_.kd
    .uniform_work_group_size: 1
    .uses_dynamic_stack: false
    .vgpr_count:     0
    .vgpr_spill_count: 0
    .wavefront_size: 64
  - .agpr_count:     0
    .args:
      - .offset:         0
        .size:           104
        .value_kind:     by_value
    .group_segment_fixed_size: 0
    .kernarg_segment_align: 8
    .kernarg_segment_size: 104
    .language:       OpenCL C
    .language_version:
      - 2
      - 0
    .max_flat_workgroup_size: 128
    .name:           _ZN7rocprim17ROCPRIM_400000_NS6detail17trampoline_kernelINS0_14default_configENS1_20scan_config_selectorIsEEZZNS1_9scan_implILNS1_25lookback_scan_determinismE0ELb0ELb0ES3_N6thrust23THRUST_200600_302600_NS6detail15normal_iteratorINS9_10device_ptrIsEEEESE_s9plus_mod3IsEsEEDaPvRmT3_T4_T5_mT6_P12ihipStream_tbENKUlT_T0_E_clISt17integral_constantIbLb0EESU_EEDaSP_SQ_EUlSP_E_NS1_11comp_targetILNS1_3genE0ELNS1_11target_archE4294967295ELNS1_3gpuE0ELNS1_3repE0EEENS1_30default_config_static_selectorELNS0_4arch9wavefront6targetE1EEEvT1_
    .private_segment_fixed_size: 0
    .sgpr_count:     4
    .sgpr_spill_count: 0
    .symbol:         _ZN7rocprim17ROCPRIM_400000_NS6detail17trampoline_kernelINS0_14default_configENS1_20scan_config_selectorIsEEZZNS1_9scan_implILNS1_25lookback_scan_determinismE0ELb0ELb0ES3_N6thrust23THRUST_200600_302600_NS6detail15normal_iteratorINS9_10device_ptrIsEEEESE_s9plus_mod3IsEsEEDaPvRmT3_T4_T5_mT6_P12ihipStream_tbENKUlT_T0_E_clISt17integral_constantIbLb0EESU_EEDaSP_SQ_EUlSP_E_NS1_11comp_targetILNS1_3genE0ELNS1_11target_archE4294967295ELNS1_3gpuE0ELNS1_3repE0EEENS1_30default_config_static_selectorELNS0_4arch9wavefront6targetE1EEEvT1_.kd
    .uniform_work_group_size: 1
    .uses_dynamic_stack: false
    .vgpr_count:     0
    .vgpr_spill_count: 0
    .wavefront_size: 64
  - .agpr_count:     0
    .args:
      - .offset:         0
        .size:           104
        .value_kind:     by_value
    .group_segment_fixed_size: 0
    .kernarg_segment_align: 8
    .kernarg_segment_size: 104
    .language:       OpenCL C
    .language_version:
      - 2
      - 0
    .max_flat_workgroup_size: 256
    .name:           _ZN7rocprim17ROCPRIM_400000_NS6detail17trampoline_kernelINS0_14default_configENS1_20scan_config_selectorIsEEZZNS1_9scan_implILNS1_25lookback_scan_determinismE0ELb0ELb0ES3_N6thrust23THRUST_200600_302600_NS6detail15normal_iteratorINS9_10device_ptrIsEEEESE_s9plus_mod3IsEsEEDaPvRmT3_T4_T5_mT6_P12ihipStream_tbENKUlT_T0_E_clISt17integral_constantIbLb0EESU_EEDaSP_SQ_EUlSP_E_NS1_11comp_targetILNS1_3genE5ELNS1_11target_archE942ELNS1_3gpuE9ELNS1_3repE0EEENS1_30default_config_static_selectorELNS0_4arch9wavefront6targetE1EEEvT1_
    .private_segment_fixed_size: 0
    .sgpr_count:     4
    .sgpr_spill_count: 0
    .symbol:         _ZN7rocprim17ROCPRIM_400000_NS6detail17trampoline_kernelINS0_14default_configENS1_20scan_config_selectorIsEEZZNS1_9scan_implILNS1_25lookback_scan_determinismE0ELb0ELb0ES3_N6thrust23THRUST_200600_302600_NS6detail15normal_iteratorINS9_10device_ptrIsEEEESE_s9plus_mod3IsEsEEDaPvRmT3_T4_T5_mT6_P12ihipStream_tbENKUlT_T0_E_clISt17integral_constantIbLb0EESU_EEDaSP_SQ_EUlSP_E_NS1_11comp_targetILNS1_3genE5ELNS1_11target_archE942ELNS1_3gpuE9ELNS1_3repE0EEENS1_30default_config_static_selectorELNS0_4arch9wavefront6targetE1EEEvT1_.kd
    .uniform_work_group_size: 1
    .uses_dynamic_stack: false
    .vgpr_count:     0
    .vgpr_spill_count: 0
    .wavefront_size: 64
  - .agpr_count:     0
    .args:
      - .offset:         0
        .size:           104
        .value_kind:     by_value
    .group_segment_fixed_size: 3072
    .kernarg_segment_align: 8
    .kernarg_segment_size: 104
    .language:       OpenCL C
    .language_version:
      - 2
      - 0
    .max_flat_workgroup_size: 64
    .name:           _ZN7rocprim17ROCPRIM_400000_NS6detail17trampoline_kernelINS0_14default_configENS1_20scan_config_selectorIsEEZZNS1_9scan_implILNS1_25lookback_scan_determinismE0ELb0ELb0ES3_N6thrust23THRUST_200600_302600_NS6detail15normal_iteratorINS9_10device_ptrIsEEEESE_s9plus_mod3IsEsEEDaPvRmT3_T4_T5_mT6_P12ihipStream_tbENKUlT_T0_E_clISt17integral_constantIbLb0EESU_EEDaSP_SQ_EUlSP_E_NS1_11comp_targetILNS1_3genE4ELNS1_11target_archE910ELNS1_3gpuE8ELNS1_3repE0EEENS1_30default_config_static_selectorELNS0_4arch9wavefront6targetE1EEEvT1_
    .private_segment_fixed_size: 0
    .sgpr_count:     40
    .sgpr_spill_count: 0
    .symbol:         _ZN7rocprim17ROCPRIM_400000_NS6detail17trampoline_kernelINS0_14default_configENS1_20scan_config_selectorIsEEZZNS1_9scan_implILNS1_25lookback_scan_determinismE0ELb0ELb0ES3_N6thrust23THRUST_200600_302600_NS6detail15normal_iteratorINS9_10device_ptrIsEEEESE_s9plus_mod3IsEsEEDaPvRmT3_T4_T5_mT6_P12ihipStream_tbENKUlT_T0_E_clISt17integral_constantIbLb0EESU_EEDaSP_SQ_EUlSP_E_NS1_11comp_targetILNS1_3genE4ELNS1_11target_archE910ELNS1_3gpuE8ELNS1_3repE0EEENS1_30default_config_static_selectorELNS0_4arch9wavefront6targetE1EEEvT1_.kd
    .uniform_work_group_size: 1
    .uses_dynamic_stack: false
    .vgpr_count:     114
    .vgpr_spill_count: 0
    .wavefront_size: 64
  - .agpr_count:     0
    .args:
      - .offset:         0
        .size:           104
        .value_kind:     by_value
    .group_segment_fixed_size: 0
    .kernarg_segment_align: 8
    .kernarg_segment_size: 104
    .language:       OpenCL C
    .language_version:
      - 2
      - 0
    .max_flat_workgroup_size: 128
    .name:           _ZN7rocprim17ROCPRIM_400000_NS6detail17trampoline_kernelINS0_14default_configENS1_20scan_config_selectorIsEEZZNS1_9scan_implILNS1_25lookback_scan_determinismE0ELb0ELb0ES3_N6thrust23THRUST_200600_302600_NS6detail15normal_iteratorINS9_10device_ptrIsEEEESE_s9plus_mod3IsEsEEDaPvRmT3_T4_T5_mT6_P12ihipStream_tbENKUlT_T0_E_clISt17integral_constantIbLb0EESU_EEDaSP_SQ_EUlSP_E_NS1_11comp_targetILNS1_3genE3ELNS1_11target_archE908ELNS1_3gpuE7ELNS1_3repE0EEENS1_30default_config_static_selectorELNS0_4arch9wavefront6targetE1EEEvT1_
    .private_segment_fixed_size: 0
    .sgpr_count:     4
    .sgpr_spill_count: 0
    .symbol:         _ZN7rocprim17ROCPRIM_400000_NS6detail17trampoline_kernelINS0_14default_configENS1_20scan_config_selectorIsEEZZNS1_9scan_implILNS1_25lookback_scan_determinismE0ELb0ELb0ES3_N6thrust23THRUST_200600_302600_NS6detail15normal_iteratorINS9_10device_ptrIsEEEESE_s9plus_mod3IsEsEEDaPvRmT3_T4_T5_mT6_P12ihipStream_tbENKUlT_T0_E_clISt17integral_constantIbLb0EESU_EEDaSP_SQ_EUlSP_E_NS1_11comp_targetILNS1_3genE3ELNS1_11target_archE908ELNS1_3gpuE7ELNS1_3repE0EEENS1_30default_config_static_selectorELNS0_4arch9wavefront6targetE1EEEvT1_.kd
    .uniform_work_group_size: 1
    .uses_dynamic_stack: false
    .vgpr_count:     0
    .vgpr_spill_count: 0
    .wavefront_size: 64
  - .agpr_count:     0
    .args:
      - .offset:         0
        .size:           104
        .value_kind:     by_value
    .group_segment_fixed_size: 0
    .kernarg_segment_align: 8
    .kernarg_segment_size: 104
    .language:       OpenCL C
    .language_version:
      - 2
      - 0
    .max_flat_workgroup_size: 256
    .name:           _ZN7rocprim17ROCPRIM_400000_NS6detail17trampoline_kernelINS0_14default_configENS1_20scan_config_selectorIsEEZZNS1_9scan_implILNS1_25lookback_scan_determinismE0ELb0ELb0ES3_N6thrust23THRUST_200600_302600_NS6detail15normal_iteratorINS9_10device_ptrIsEEEESE_s9plus_mod3IsEsEEDaPvRmT3_T4_T5_mT6_P12ihipStream_tbENKUlT_T0_E_clISt17integral_constantIbLb0EESU_EEDaSP_SQ_EUlSP_E_NS1_11comp_targetILNS1_3genE2ELNS1_11target_archE906ELNS1_3gpuE6ELNS1_3repE0EEENS1_30default_config_static_selectorELNS0_4arch9wavefront6targetE1EEEvT1_
    .private_segment_fixed_size: 0
    .sgpr_count:     4
    .sgpr_spill_count: 0
    .symbol:         _ZN7rocprim17ROCPRIM_400000_NS6detail17trampoline_kernelINS0_14default_configENS1_20scan_config_selectorIsEEZZNS1_9scan_implILNS1_25lookback_scan_determinismE0ELb0ELb0ES3_N6thrust23THRUST_200600_302600_NS6detail15normal_iteratorINS9_10device_ptrIsEEEESE_s9plus_mod3IsEsEEDaPvRmT3_T4_T5_mT6_P12ihipStream_tbENKUlT_T0_E_clISt17integral_constantIbLb0EESU_EEDaSP_SQ_EUlSP_E_NS1_11comp_targetILNS1_3genE2ELNS1_11target_archE906ELNS1_3gpuE6ELNS1_3repE0EEENS1_30default_config_static_selectorELNS0_4arch9wavefront6targetE1EEEvT1_.kd
    .uniform_work_group_size: 1
    .uses_dynamic_stack: false
    .vgpr_count:     0
    .vgpr_spill_count: 0
    .wavefront_size: 64
  - .agpr_count:     0
    .args:
      - .offset:         0
        .size:           104
        .value_kind:     by_value
    .group_segment_fixed_size: 0
    .kernarg_segment_align: 8
    .kernarg_segment_size: 104
    .language:       OpenCL C
    .language_version:
      - 2
      - 0
    .max_flat_workgroup_size: 256
    .name:           _ZN7rocprim17ROCPRIM_400000_NS6detail17trampoline_kernelINS0_14default_configENS1_20scan_config_selectorIsEEZZNS1_9scan_implILNS1_25lookback_scan_determinismE0ELb0ELb0ES3_N6thrust23THRUST_200600_302600_NS6detail15normal_iteratorINS9_10device_ptrIsEEEESE_s9plus_mod3IsEsEEDaPvRmT3_T4_T5_mT6_P12ihipStream_tbENKUlT_T0_E_clISt17integral_constantIbLb0EESU_EEDaSP_SQ_EUlSP_E_NS1_11comp_targetILNS1_3genE10ELNS1_11target_archE1201ELNS1_3gpuE5ELNS1_3repE0EEENS1_30default_config_static_selectorELNS0_4arch9wavefront6targetE1EEEvT1_
    .private_segment_fixed_size: 0
    .sgpr_count:     4
    .sgpr_spill_count: 0
    .symbol:         _ZN7rocprim17ROCPRIM_400000_NS6detail17trampoline_kernelINS0_14default_configENS1_20scan_config_selectorIsEEZZNS1_9scan_implILNS1_25lookback_scan_determinismE0ELb0ELb0ES3_N6thrust23THRUST_200600_302600_NS6detail15normal_iteratorINS9_10device_ptrIsEEEESE_s9plus_mod3IsEsEEDaPvRmT3_T4_T5_mT6_P12ihipStream_tbENKUlT_T0_E_clISt17integral_constantIbLb0EESU_EEDaSP_SQ_EUlSP_E_NS1_11comp_targetILNS1_3genE10ELNS1_11target_archE1201ELNS1_3gpuE5ELNS1_3repE0EEENS1_30default_config_static_selectorELNS0_4arch9wavefront6targetE1EEEvT1_.kd
    .uniform_work_group_size: 1
    .uses_dynamic_stack: false
    .vgpr_count:     0
    .vgpr_spill_count: 0
    .wavefront_size: 64
  - .agpr_count:     0
    .args:
      - .offset:         0
        .size:           104
        .value_kind:     by_value
    .group_segment_fixed_size: 0
    .kernarg_segment_align: 8
    .kernarg_segment_size: 104
    .language:       OpenCL C
    .language_version:
      - 2
      - 0
    .max_flat_workgroup_size: 256
    .name:           _ZN7rocprim17ROCPRIM_400000_NS6detail17trampoline_kernelINS0_14default_configENS1_20scan_config_selectorIsEEZZNS1_9scan_implILNS1_25lookback_scan_determinismE0ELb0ELb0ES3_N6thrust23THRUST_200600_302600_NS6detail15normal_iteratorINS9_10device_ptrIsEEEESE_s9plus_mod3IsEsEEDaPvRmT3_T4_T5_mT6_P12ihipStream_tbENKUlT_T0_E_clISt17integral_constantIbLb0EESU_EEDaSP_SQ_EUlSP_E_NS1_11comp_targetILNS1_3genE10ELNS1_11target_archE1200ELNS1_3gpuE4ELNS1_3repE0EEENS1_30default_config_static_selectorELNS0_4arch9wavefront6targetE1EEEvT1_
    .private_segment_fixed_size: 0
    .sgpr_count:     4
    .sgpr_spill_count: 0
    .symbol:         _ZN7rocprim17ROCPRIM_400000_NS6detail17trampoline_kernelINS0_14default_configENS1_20scan_config_selectorIsEEZZNS1_9scan_implILNS1_25lookback_scan_determinismE0ELb0ELb0ES3_N6thrust23THRUST_200600_302600_NS6detail15normal_iteratorINS9_10device_ptrIsEEEESE_s9plus_mod3IsEsEEDaPvRmT3_T4_T5_mT6_P12ihipStream_tbENKUlT_T0_E_clISt17integral_constantIbLb0EESU_EEDaSP_SQ_EUlSP_E_NS1_11comp_targetILNS1_3genE10ELNS1_11target_archE1200ELNS1_3gpuE4ELNS1_3repE0EEENS1_30default_config_static_selectorELNS0_4arch9wavefront6targetE1EEEvT1_.kd
    .uniform_work_group_size: 1
    .uses_dynamic_stack: false
    .vgpr_count:     0
    .vgpr_spill_count: 0
    .wavefront_size: 64
  - .agpr_count:     0
    .args:
      - .offset:         0
        .size:           104
        .value_kind:     by_value
    .group_segment_fixed_size: 0
    .kernarg_segment_align: 8
    .kernarg_segment_size: 104
    .language:       OpenCL C
    .language_version:
      - 2
      - 0
    .max_flat_workgroup_size: 64
    .name:           _ZN7rocprim17ROCPRIM_400000_NS6detail17trampoline_kernelINS0_14default_configENS1_20scan_config_selectorIsEEZZNS1_9scan_implILNS1_25lookback_scan_determinismE0ELb0ELb0ES3_N6thrust23THRUST_200600_302600_NS6detail15normal_iteratorINS9_10device_ptrIsEEEESE_s9plus_mod3IsEsEEDaPvRmT3_T4_T5_mT6_P12ihipStream_tbENKUlT_T0_E_clISt17integral_constantIbLb0EESU_EEDaSP_SQ_EUlSP_E_NS1_11comp_targetILNS1_3genE9ELNS1_11target_archE1100ELNS1_3gpuE3ELNS1_3repE0EEENS1_30default_config_static_selectorELNS0_4arch9wavefront6targetE1EEEvT1_
    .private_segment_fixed_size: 0
    .sgpr_count:     4
    .sgpr_spill_count: 0
    .symbol:         _ZN7rocprim17ROCPRIM_400000_NS6detail17trampoline_kernelINS0_14default_configENS1_20scan_config_selectorIsEEZZNS1_9scan_implILNS1_25lookback_scan_determinismE0ELb0ELb0ES3_N6thrust23THRUST_200600_302600_NS6detail15normal_iteratorINS9_10device_ptrIsEEEESE_s9plus_mod3IsEsEEDaPvRmT3_T4_T5_mT6_P12ihipStream_tbENKUlT_T0_E_clISt17integral_constantIbLb0EESU_EEDaSP_SQ_EUlSP_E_NS1_11comp_targetILNS1_3genE9ELNS1_11target_archE1100ELNS1_3gpuE3ELNS1_3repE0EEENS1_30default_config_static_selectorELNS0_4arch9wavefront6targetE1EEEvT1_.kd
    .uniform_work_group_size: 1
    .uses_dynamic_stack: false
    .vgpr_count:     0
    .vgpr_spill_count: 0
    .wavefront_size: 64
  - .agpr_count:     0
    .args:
      - .offset:         0
        .size:           104
        .value_kind:     by_value
    .group_segment_fixed_size: 0
    .kernarg_segment_align: 8
    .kernarg_segment_size: 104
    .language:       OpenCL C
    .language_version:
      - 2
      - 0
    .max_flat_workgroup_size: 64
    .name:           _ZN7rocprim17ROCPRIM_400000_NS6detail17trampoline_kernelINS0_14default_configENS1_20scan_config_selectorIsEEZZNS1_9scan_implILNS1_25lookback_scan_determinismE0ELb0ELb0ES3_N6thrust23THRUST_200600_302600_NS6detail15normal_iteratorINS9_10device_ptrIsEEEESE_s9plus_mod3IsEsEEDaPvRmT3_T4_T5_mT6_P12ihipStream_tbENKUlT_T0_E_clISt17integral_constantIbLb0EESU_EEDaSP_SQ_EUlSP_E_NS1_11comp_targetILNS1_3genE8ELNS1_11target_archE1030ELNS1_3gpuE2ELNS1_3repE0EEENS1_30default_config_static_selectorELNS0_4arch9wavefront6targetE1EEEvT1_
    .private_segment_fixed_size: 0
    .sgpr_count:     4
    .sgpr_spill_count: 0
    .symbol:         _ZN7rocprim17ROCPRIM_400000_NS6detail17trampoline_kernelINS0_14default_configENS1_20scan_config_selectorIsEEZZNS1_9scan_implILNS1_25lookback_scan_determinismE0ELb0ELb0ES3_N6thrust23THRUST_200600_302600_NS6detail15normal_iteratorINS9_10device_ptrIsEEEESE_s9plus_mod3IsEsEEDaPvRmT3_T4_T5_mT6_P12ihipStream_tbENKUlT_T0_E_clISt17integral_constantIbLb0EESU_EEDaSP_SQ_EUlSP_E_NS1_11comp_targetILNS1_3genE8ELNS1_11target_archE1030ELNS1_3gpuE2ELNS1_3repE0EEENS1_30default_config_static_selectorELNS0_4arch9wavefront6targetE1EEEvT1_.kd
    .uniform_work_group_size: 1
    .uses_dynamic_stack: false
    .vgpr_count:     0
    .vgpr_spill_count: 0
    .wavefront_size: 64
  - .agpr_count:     0
    .args:
      - .offset:         0
        .size:           40
        .value_kind:     by_value
    .group_segment_fixed_size: 0
    .kernarg_segment_align: 8
    .kernarg_segment_size: 40
    .language:       OpenCL C
    .language_version:
      - 2
      - 0
    .max_flat_workgroup_size: 128
    .name:           _ZN7rocprim17ROCPRIM_400000_NS6detail17trampoline_kernelINS0_14default_configENS1_20scan_config_selectorIsEEZZNS1_9scan_implILNS1_25lookback_scan_determinismE0ELb0ELb0ES3_N6thrust23THRUST_200600_302600_NS6detail15normal_iteratorINS9_10device_ptrIsEEEESE_s9plus_mod3IsEsEEDaPvRmT3_T4_T5_mT6_P12ihipStream_tbENKUlT_T0_E_clISt17integral_constantIbLb0EESU_EEDaSP_SQ_EUlSP_E0_NS1_11comp_targetILNS1_3genE0ELNS1_11target_archE4294967295ELNS1_3gpuE0ELNS1_3repE0EEENS1_30default_config_static_selectorELNS0_4arch9wavefront6targetE1EEEvT1_
    .private_segment_fixed_size: 0
    .sgpr_count:     4
    .sgpr_spill_count: 0
    .symbol:         _ZN7rocprim17ROCPRIM_400000_NS6detail17trampoline_kernelINS0_14default_configENS1_20scan_config_selectorIsEEZZNS1_9scan_implILNS1_25lookback_scan_determinismE0ELb0ELb0ES3_N6thrust23THRUST_200600_302600_NS6detail15normal_iteratorINS9_10device_ptrIsEEEESE_s9plus_mod3IsEsEEDaPvRmT3_T4_T5_mT6_P12ihipStream_tbENKUlT_T0_E_clISt17integral_constantIbLb0EESU_EEDaSP_SQ_EUlSP_E0_NS1_11comp_targetILNS1_3genE0ELNS1_11target_archE4294967295ELNS1_3gpuE0ELNS1_3repE0EEENS1_30default_config_static_selectorELNS0_4arch9wavefront6targetE1EEEvT1_.kd
    .uniform_work_group_size: 1
    .uses_dynamic_stack: false
    .vgpr_count:     0
    .vgpr_spill_count: 0
    .wavefront_size: 64
  - .agpr_count:     0
    .args:
      - .offset:         0
        .size:           40
        .value_kind:     by_value
    .group_segment_fixed_size: 0
    .kernarg_segment_align: 8
    .kernarg_segment_size: 40
    .language:       OpenCL C
    .language_version:
      - 2
      - 0
    .max_flat_workgroup_size: 256
    .name:           _ZN7rocprim17ROCPRIM_400000_NS6detail17trampoline_kernelINS0_14default_configENS1_20scan_config_selectorIsEEZZNS1_9scan_implILNS1_25lookback_scan_determinismE0ELb0ELb0ES3_N6thrust23THRUST_200600_302600_NS6detail15normal_iteratorINS9_10device_ptrIsEEEESE_s9plus_mod3IsEsEEDaPvRmT3_T4_T5_mT6_P12ihipStream_tbENKUlT_T0_E_clISt17integral_constantIbLb0EESU_EEDaSP_SQ_EUlSP_E0_NS1_11comp_targetILNS1_3genE5ELNS1_11target_archE942ELNS1_3gpuE9ELNS1_3repE0EEENS1_30default_config_static_selectorELNS0_4arch9wavefront6targetE1EEEvT1_
    .private_segment_fixed_size: 0
    .sgpr_count:     4
    .sgpr_spill_count: 0
    .symbol:         _ZN7rocprim17ROCPRIM_400000_NS6detail17trampoline_kernelINS0_14default_configENS1_20scan_config_selectorIsEEZZNS1_9scan_implILNS1_25lookback_scan_determinismE0ELb0ELb0ES3_N6thrust23THRUST_200600_302600_NS6detail15normal_iteratorINS9_10device_ptrIsEEEESE_s9plus_mod3IsEsEEDaPvRmT3_T4_T5_mT6_P12ihipStream_tbENKUlT_T0_E_clISt17integral_constantIbLb0EESU_EEDaSP_SQ_EUlSP_E0_NS1_11comp_targetILNS1_3genE5ELNS1_11target_archE942ELNS1_3gpuE9ELNS1_3repE0EEENS1_30default_config_static_selectorELNS0_4arch9wavefront6targetE1EEEvT1_.kd
    .uniform_work_group_size: 1
    .uses_dynamic_stack: false
    .vgpr_count:     0
    .vgpr_spill_count: 0
    .wavefront_size: 64
  - .agpr_count:     0
    .args:
      - .offset:         0
        .size:           40
        .value_kind:     by_value
    .group_segment_fixed_size: 3072
    .kernarg_segment_align: 8
    .kernarg_segment_size: 40
    .language:       OpenCL C
    .language_version:
      - 2
      - 0
    .max_flat_workgroup_size: 64
    .name:           _ZN7rocprim17ROCPRIM_400000_NS6detail17trampoline_kernelINS0_14default_configENS1_20scan_config_selectorIsEEZZNS1_9scan_implILNS1_25lookback_scan_determinismE0ELb0ELb0ES3_N6thrust23THRUST_200600_302600_NS6detail15normal_iteratorINS9_10device_ptrIsEEEESE_s9plus_mod3IsEsEEDaPvRmT3_T4_T5_mT6_P12ihipStream_tbENKUlT_T0_E_clISt17integral_constantIbLb0EESU_EEDaSP_SQ_EUlSP_E0_NS1_11comp_targetILNS1_3genE4ELNS1_11target_archE910ELNS1_3gpuE8ELNS1_3repE0EEENS1_30default_config_static_selectorELNS0_4arch9wavefront6targetE1EEEvT1_
    .private_segment_fixed_size: 0
    .sgpr_count:     64
    .sgpr_spill_count: 0
    .symbol:         _ZN7rocprim17ROCPRIM_400000_NS6detail17trampoline_kernelINS0_14default_configENS1_20scan_config_selectorIsEEZZNS1_9scan_implILNS1_25lookback_scan_determinismE0ELb0ELb0ES3_N6thrust23THRUST_200600_302600_NS6detail15normal_iteratorINS9_10device_ptrIsEEEESE_s9plus_mod3IsEsEEDaPvRmT3_T4_T5_mT6_P12ihipStream_tbENKUlT_T0_E_clISt17integral_constantIbLb0EESU_EEDaSP_SQ_EUlSP_E0_NS1_11comp_targetILNS1_3genE4ELNS1_11target_archE910ELNS1_3gpuE8ELNS1_3repE0EEENS1_30default_config_static_selectorELNS0_4arch9wavefront6targetE1EEEvT1_.kd
    .uniform_work_group_size: 1
    .uses_dynamic_stack: false
    .vgpr_count:     61
    .vgpr_spill_count: 0
    .wavefront_size: 64
  - .agpr_count:     0
    .args:
      - .offset:         0
        .size:           40
        .value_kind:     by_value
    .group_segment_fixed_size: 0
    .kernarg_segment_align: 8
    .kernarg_segment_size: 40
    .language:       OpenCL C
    .language_version:
      - 2
      - 0
    .max_flat_workgroup_size: 128
    .name:           _ZN7rocprim17ROCPRIM_400000_NS6detail17trampoline_kernelINS0_14default_configENS1_20scan_config_selectorIsEEZZNS1_9scan_implILNS1_25lookback_scan_determinismE0ELb0ELb0ES3_N6thrust23THRUST_200600_302600_NS6detail15normal_iteratorINS9_10device_ptrIsEEEESE_s9plus_mod3IsEsEEDaPvRmT3_T4_T5_mT6_P12ihipStream_tbENKUlT_T0_E_clISt17integral_constantIbLb0EESU_EEDaSP_SQ_EUlSP_E0_NS1_11comp_targetILNS1_3genE3ELNS1_11target_archE908ELNS1_3gpuE7ELNS1_3repE0EEENS1_30default_config_static_selectorELNS0_4arch9wavefront6targetE1EEEvT1_
    .private_segment_fixed_size: 0
    .sgpr_count:     4
    .sgpr_spill_count: 0
    .symbol:         _ZN7rocprim17ROCPRIM_400000_NS6detail17trampoline_kernelINS0_14default_configENS1_20scan_config_selectorIsEEZZNS1_9scan_implILNS1_25lookback_scan_determinismE0ELb0ELb0ES3_N6thrust23THRUST_200600_302600_NS6detail15normal_iteratorINS9_10device_ptrIsEEEESE_s9plus_mod3IsEsEEDaPvRmT3_T4_T5_mT6_P12ihipStream_tbENKUlT_T0_E_clISt17integral_constantIbLb0EESU_EEDaSP_SQ_EUlSP_E0_NS1_11comp_targetILNS1_3genE3ELNS1_11target_archE908ELNS1_3gpuE7ELNS1_3repE0EEENS1_30default_config_static_selectorELNS0_4arch9wavefront6targetE1EEEvT1_.kd
    .uniform_work_group_size: 1
    .uses_dynamic_stack: false
    .vgpr_count:     0
    .vgpr_spill_count: 0
    .wavefront_size: 64
  - .agpr_count:     0
    .args:
      - .offset:         0
        .size:           40
        .value_kind:     by_value
    .group_segment_fixed_size: 0
    .kernarg_segment_align: 8
    .kernarg_segment_size: 40
    .language:       OpenCL C
    .language_version:
      - 2
      - 0
    .max_flat_workgroup_size: 256
    .name:           _ZN7rocprim17ROCPRIM_400000_NS6detail17trampoline_kernelINS0_14default_configENS1_20scan_config_selectorIsEEZZNS1_9scan_implILNS1_25lookback_scan_determinismE0ELb0ELb0ES3_N6thrust23THRUST_200600_302600_NS6detail15normal_iteratorINS9_10device_ptrIsEEEESE_s9plus_mod3IsEsEEDaPvRmT3_T4_T5_mT6_P12ihipStream_tbENKUlT_T0_E_clISt17integral_constantIbLb0EESU_EEDaSP_SQ_EUlSP_E0_NS1_11comp_targetILNS1_3genE2ELNS1_11target_archE906ELNS1_3gpuE6ELNS1_3repE0EEENS1_30default_config_static_selectorELNS0_4arch9wavefront6targetE1EEEvT1_
    .private_segment_fixed_size: 0
    .sgpr_count:     4
    .sgpr_spill_count: 0
    .symbol:         _ZN7rocprim17ROCPRIM_400000_NS6detail17trampoline_kernelINS0_14default_configENS1_20scan_config_selectorIsEEZZNS1_9scan_implILNS1_25lookback_scan_determinismE0ELb0ELb0ES3_N6thrust23THRUST_200600_302600_NS6detail15normal_iteratorINS9_10device_ptrIsEEEESE_s9plus_mod3IsEsEEDaPvRmT3_T4_T5_mT6_P12ihipStream_tbENKUlT_T0_E_clISt17integral_constantIbLb0EESU_EEDaSP_SQ_EUlSP_E0_NS1_11comp_targetILNS1_3genE2ELNS1_11target_archE906ELNS1_3gpuE6ELNS1_3repE0EEENS1_30default_config_static_selectorELNS0_4arch9wavefront6targetE1EEEvT1_.kd
    .uniform_work_group_size: 1
    .uses_dynamic_stack: false
    .vgpr_count:     0
    .vgpr_spill_count: 0
    .wavefront_size: 64
  - .agpr_count:     0
    .args:
      - .offset:         0
        .size:           40
        .value_kind:     by_value
    .group_segment_fixed_size: 0
    .kernarg_segment_align: 8
    .kernarg_segment_size: 40
    .language:       OpenCL C
    .language_version:
      - 2
      - 0
    .max_flat_workgroup_size: 256
    .name:           _ZN7rocprim17ROCPRIM_400000_NS6detail17trampoline_kernelINS0_14default_configENS1_20scan_config_selectorIsEEZZNS1_9scan_implILNS1_25lookback_scan_determinismE0ELb0ELb0ES3_N6thrust23THRUST_200600_302600_NS6detail15normal_iteratorINS9_10device_ptrIsEEEESE_s9plus_mod3IsEsEEDaPvRmT3_T4_T5_mT6_P12ihipStream_tbENKUlT_T0_E_clISt17integral_constantIbLb0EESU_EEDaSP_SQ_EUlSP_E0_NS1_11comp_targetILNS1_3genE10ELNS1_11target_archE1201ELNS1_3gpuE5ELNS1_3repE0EEENS1_30default_config_static_selectorELNS0_4arch9wavefront6targetE1EEEvT1_
    .private_segment_fixed_size: 0
    .sgpr_count:     4
    .sgpr_spill_count: 0
    .symbol:         _ZN7rocprim17ROCPRIM_400000_NS6detail17trampoline_kernelINS0_14default_configENS1_20scan_config_selectorIsEEZZNS1_9scan_implILNS1_25lookback_scan_determinismE0ELb0ELb0ES3_N6thrust23THRUST_200600_302600_NS6detail15normal_iteratorINS9_10device_ptrIsEEEESE_s9plus_mod3IsEsEEDaPvRmT3_T4_T5_mT6_P12ihipStream_tbENKUlT_T0_E_clISt17integral_constantIbLb0EESU_EEDaSP_SQ_EUlSP_E0_NS1_11comp_targetILNS1_3genE10ELNS1_11target_archE1201ELNS1_3gpuE5ELNS1_3repE0EEENS1_30default_config_static_selectorELNS0_4arch9wavefront6targetE1EEEvT1_.kd
    .uniform_work_group_size: 1
    .uses_dynamic_stack: false
    .vgpr_count:     0
    .vgpr_spill_count: 0
    .wavefront_size: 64
  - .agpr_count:     0
    .args:
      - .offset:         0
        .size:           40
        .value_kind:     by_value
    .group_segment_fixed_size: 0
    .kernarg_segment_align: 8
    .kernarg_segment_size: 40
    .language:       OpenCL C
    .language_version:
      - 2
      - 0
    .max_flat_workgroup_size: 256
    .name:           _ZN7rocprim17ROCPRIM_400000_NS6detail17trampoline_kernelINS0_14default_configENS1_20scan_config_selectorIsEEZZNS1_9scan_implILNS1_25lookback_scan_determinismE0ELb0ELb0ES3_N6thrust23THRUST_200600_302600_NS6detail15normal_iteratorINS9_10device_ptrIsEEEESE_s9plus_mod3IsEsEEDaPvRmT3_T4_T5_mT6_P12ihipStream_tbENKUlT_T0_E_clISt17integral_constantIbLb0EESU_EEDaSP_SQ_EUlSP_E0_NS1_11comp_targetILNS1_3genE10ELNS1_11target_archE1200ELNS1_3gpuE4ELNS1_3repE0EEENS1_30default_config_static_selectorELNS0_4arch9wavefront6targetE1EEEvT1_
    .private_segment_fixed_size: 0
    .sgpr_count:     4
    .sgpr_spill_count: 0
    .symbol:         _ZN7rocprim17ROCPRIM_400000_NS6detail17trampoline_kernelINS0_14default_configENS1_20scan_config_selectorIsEEZZNS1_9scan_implILNS1_25lookback_scan_determinismE0ELb0ELb0ES3_N6thrust23THRUST_200600_302600_NS6detail15normal_iteratorINS9_10device_ptrIsEEEESE_s9plus_mod3IsEsEEDaPvRmT3_T4_T5_mT6_P12ihipStream_tbENKUlT_T0_E_clISt17integral_constantIbLb0EESU_EEDaSP_SQ_EUlSP_E0_NS1_11comp_targetILNS1_3genE10ELNS1_11target_archE1200ELNS1_3gpuE4ELNS1_3repE0EEENS1_30default_config_static_selectorELNS0_4arch9wavefront6targetE1EEEvT1_.kd
    .uniform_work_group_size: 1
    .uses_dynamic_stack: false
    .vgpr_count:     0
    .vgpr_spill_count: 0
    .wavefront_size: 64
  - .agpr_count:     0
    .args:
      - .offset:         0
        .size:           40
        .value_kind:     by_value
    .group_segment_fixed_size: 0
    .kernarg_segment_align: 8
    .kernarg_segment_size: 40
    .language:       OpenCL C
    .language_version:
      - 2
      - 0
    .max_flat_workgroup_size: 64
    .name:           _ZN7rocprim17ROCPRIM_400000_NS6detail17trampoline_kernelINS0_14default_configENS1_20scan_config_selectorIsEEZZNS1_9scan_implILNS1_25lookback_scan_determinismE0ELb0ELb0ES3_N6thrust23THRUST_200600_302600_NS6detail15normal_iteratorINS9_10device_ptrIsEEEESE_s9plus_mod3IsEsEEDaPvRmT3_T4_T5_mT6_P12ihipStream_tbENKUlT_T0_E_clISt17integral_constantIbLb0EESU_EEDaSP_SQ_EUlSP_E0_NS1_11comp_targetILNS1_3genE9ELNS1_11target_archE1100ELNS1_3gpuE3ELNS1_3repE0EEENS1_30default_config_static_selectorELNS0_4arch9wavefront6targetE1EEEvT1_
    .private_segment_fixed_size: 0
    .sgpr_count:     4
    .sgpr_spill_count: 0
    .symbol:         _ZN7rocprim17ROCPRIM_400000_NS6detail17trampoline_kernelINS0_14default_configENS1_20scan_config_selectorIsEEZZNS1_9scan_implILNS1_25lookback_scan_determinismE0ELb0ELb0ES3_N6thrust23THRUST_200600_302600_NS6detail15normal_iteratorINS9_10device_ptrIsEEEESE_s9plus_mod3IsEsEEDaPvRmT3_T4_T5_mT6_P12ihipStream_tbENKUlT_T0_E_clISt17integral_constantIbLb0EESU_EEDaSP_SQ_EUlSP_E0_NS1_11comp_targetILNS1_3genE9ELNS1_11target_archE1100ELNS1_3gpuE3ELNS1_3repE0EEENS1_30default_config_static_selectorELNS0_4arch9wavefront6targetE1EEEvT1_.kd
    .uniform_work_group_size: 1
    .uses_dynamic_stack: false
    .vgpr_count:     0
    .vgpr_spill_count: 0
    .wavefront_size: 64
  - .agpr_count:     0
    .args:
      - .offset:         0
        .size:           40
        .value_kind:     by_value
    .group_segment_fixed_size: 0
    .kernarg_segment_align: 8
    .kernarg_segment_size: 40
    .language:       OpenCL C
    .language_version:
      - 2
      - 0
    .max_flat_workgroup_size: 64
    .name:           _ZN7rocprim17ROCPRIM_400000_NS6detail17trampoline_kernelINS0_14default_configENS1_20scan_config_selectorIsEEZZNS1_9scan_implILNS1_25lookback_scan_determinismE0ELb0ELb0ES3_N6thrust23THRUST_200600_302600_NS6detail15normal_iteratorINS9_10device_ptrIsEEEESE_s9plus_mod3IsEsEEDaPvRmT3_T4_T5_mT6_P12ihipStream_tbENKUlT_T0_E_clISt17integral_constantIbLb0EESU_EEDaSP_SQ_EUlSP_E0_NS1_11comp_targetILNS1_3genE8ELNS1_11target_archE1030ELNS1_3gpuE2ELNS1_3repE0EEENS1_30default_config_static_selectorELNS0_4arch9wavefront6targetE1EEEvT1_
    .private_segment_fixed_size: 0
    .sgpr_count:     4
    .sgpr_spill_count: 0
    .symbol:         _ZN7rocprim17ROCPRIM_400000_NS6detail17trampoline_kernelINS0_14default_configENS1_20scan_config_selectorIsEEZZNS1_9scan_implILNS1_25lookback_scan_determinismE0ELb0ELb0ES3_N6thrust23THRUST_200600_302600_NS6detail15normal_iteratorINS9_10device_ptrIsEEEESE_s9plus_mod3IsEsEEDaPvRmT3_T4_T5_mT6_P12ihipStream_tbENKUlT_T0_E_clISt17integral_constantIbLb0EESU_EEDaSP_SQ_EUlSP_E0_NS1_11comp_targetILNS1_3genE8ELNS1_11target_archE1030ELNS1_3gpuE2ELNS1_3repE0EEENS1_30default_config_static_selectorELNS0_4arch9wavefront6targetE1EEEvT1_.kd
    .uniform_work_group_size: 1
    .uses_dynamic_stack: false
    .vgpr_count:     0
    .vgpr_spill_count: 0
    .wavefront_size: 64
  - .agpr_count:     0
    .args:
      - .offset:         0
        .size:           104
        .value_kind:     by_value
    .group_segment_fixed_size: 0
    .kernarg_segment_align: 8
    .kernarg_segment_size: 104
    .language:       OpenCL C
    .language_version:
      - 2
      - 0
    .max_flat_workgroup_size: 128
    .name:           _ZN7rocprim17ROCPRIM_400000_NS6detail17trampoline_kernelINS0_14default_configENS1_20scan_config_selectorIsEEZZNS1_9scan_implILNS1_25lookback_scan_determinismE0ELb0ELb0ES3_N6thrust23THRUST_200600_302600_NS6detail15normal_iteratorINS9_10device_ptrIsEEEESE_s9plus_mod3IsEsEEDaPvRmT3_T4_T5_mT6_P12ihipStream_tbENKUlT_T0_E_clISt17integral_constantIbLb1EESU_EEDaSP_SQ_EUlSP_E_NS1_11comp_targetILNS1_3genE0ELNS1_11target_archE4294967295ELNS1_3gpuE0ELNS1_3repE0EEENS1_30default_config_static_selectorELNS0_4arch9wavefront6targetE1EEEvT1_
    .private_segment_fixed_size: 0
    .sgpr_count:     4
    .sgpr_spill_count: 0
    .symbol:         _ZN7rocprim17ROCPRIM_400000_NS6detail17trampoline_kernelINS0_14default_configENS1_20scan_config_selectorIsEEZZNS1_9scan_implILNS1_25lookback_scan_determinismE0ELb0ELb0ES3_N6thrust23THRUST_200600_302600_NS6detail15normal_iteratorINS9_10device_ptrIsEEEESE_s9plus_mod3IsEsEEDaPvRmT3_T4_T5_mT6_P12ihipStream_tbENKUlT_T0_E_clISt17integral_constantIbLb1EESU_EEDaSP_SQ_EUlSP_E_NS1_11comp_targetILNS1_3genE0ELNS1_11target_archE4294967295ELNS1_3gpuE0ELNS1_3repE0EEENS1_30default_config_static_selectorELNS0_4arch9wavefront6targetE1EEEvT1_.kd
    .uniform_work_group_size: 1
    .uses_dynamic_stack: false
    .vgpr_count:     0
    .vgpr_spill_count: 0
    .wavefront_size: 64
  - .agpr_count:     0
    .args:
      - .offset:         0
        .size:           104
        .value_kind:     by_value
    .group_segment_fixed_size: 0
    .kernarg_segment_align: 8
    .kernarg_segment_size: 104
    .language:       OpenCL C
    .language_version:
      - 2
      - 0
    .max_flat_workgroup_size: 256
    .name:           _ZN7rocprim17ROCPRIM_400000_NS6detail17trampoline_kernelINS0_14default_configENS1_20scan_config_selectorIsEEZZNS1_9scan_implILNS1_25lookback_scan_determinismE0ELb0ELb0ES3_N6thrust23THRUST_200600_302600_NS6detail15normal_iteratorINS9_10device_ptrIsEEEESE_s9plus_mod3IsEsEEDaPvRmT3_T4_T5_mT6_P12ihipStream_tbENKUlT_T0_E_clISt17integral_constantIbLb1EESU_EEDaSP_SQ_EUlSP_E_NS1_11comp_targetILNS1_3genE5ELNS1_11target_archE942ELNS1_3gpuE9ELNS1_3repE0EEENS1_30default_config_static_selectorELNS0_4arch9wavefront6targetE1EEEvT1_
    .private_segment_fixed_size: 0
    .sgpr_count:     4
    .sgpr_spill_count: 0
    .symbol:         _ZN7rocprim17ROCPRIM_400000_NS6detail17trampoline_kernelINS0_14default_configENS1_20scan_config_selectorIsEEZZNS1_9scan_implILNS1_25lookback_scan_determinismE0ELb0ELb0ES3_N6thrust23THRUST_200600_302600_NS6detail15normal_iteratorINS9_10device_ptrIsEEEESE_s9plus_mod3IsEsEEDaPvRmT3_T4_T5_mT6_P12ihipStream_tbENKUlT_T0_E_clISt17integral_constantIbLb1EESU_EEDaSP_SQ_EUlSP_E_NS1_11comp_targetILNS1_3genE5ELNS1_11target_archE942ELNS1_3gpuE9ELNS1_3repE0EEENS1_30default_config_static_selectorELNS0_4arch9wavefront6targetE1EEEvT1_.kd
    .uniform_work_group_size: 1
    .uses_dynamic_stack: false
    .vgpr_count:     0
    .vgpr_spill_count: 0
    .wavefront_size: 64
  - .agpr_count:     0
    .args:
      - .offset:         0
        .size:           104
        .value_kind:     by_value
    .group_segment_fixed_size: 3072
    .kernarg_segment_align: 8
    .kernarg_segment_size: 104
    .language:       OpenCL C
    .language_version:
      - 2
      - 0
    .max_flat_workgroup_size: 64
    .name:           _ZN7rocprim17ROCPRIM_400000_NS6detail17trampoline_kernelINS0_14default_configENS1_20scan_config_selectorIsEEZZNS1_9scan_implILNS1_25lookback_scan_determinismE0ELb0ELb0ES3_N6thrust23THRUST_200600_302600_NS6detail15normal_iteratorINS9_10device_ptrIsEEEESE_s9plus_mod3IsEsEEDaPvRmT3_T4_T5_mT6_P12ihipStream_tbENKUlT_T0_E_clISt17integral_constantIbLb1EESU_EEDaSP_SQ_EUlSP_E_NS1_11comp_targetILNS1_3genE4ELNS1_11target_archE910ELNS1_3gpuE8ELNS1_3repE0EEENS1_30default_config_static_selectorELNS0_4arch9wavefront6targetE1EEEvT1_
    .private_segment_fixed_size: 0
    .sgpr_count:     48
    .sgpr_spill_count: 0
    .symbol:         _ZN7rocprim17ROCPRIM_400000_NS6detail17trampoline_kernelINS0_14default_configENS1_20scan_config_selectorIsEEZZNS1_9scan_implILNS1_25lookback_scan_determinismE0ELb0ELb0ES3_N6thrust23THRUST_200600_302600_NS6detail15normal_iteratorINS9_10device_ptrIsEEEESE_s9plus_mod3IsEsEEDaPvRmT3_T4_T5_mT6_P12ihipStream_tbENKUlT_T0_E_clISt17integral_constantIbLb1EESU_EEDaSP_SQ_EUlSP_E_NS1_11comp_targetILNS1_3genE4ELNS1_11target_archE910ELNS1_3gpuE8ELNS1_3repE0EEENS1_30default_config_static_selectorELNS0_4arch9wavefront6targetE1EEEvT1_.kd
    .uniform_work_group_size: 1
    .uses_dynamic_stack: false
    .vgpr_count:     114
    .vgpr_spill_count: 0
    .wavefront_size: 64
  - .agpr_count:     0
    .args:
      - .offset:         0
        .size:           104
        .value_kind:     by_value
    .group_segment_fixed_size: 0
    .kernarg_segment_align: 8
    .kernarg_segment_size: 104
    .language:       OpenCL C
    .language_version:
      - 2
      - 0
    .max_flat_workgroup_size: 128
    .name:           _ZN7rocprim17ROCPRIM_400000_NS6detail17trampoline_kernelINS0_14default_configENS1_20scan_config_selectorIsEEZZNS1_9scan_implILNS1_25lookback_scan_determinismE0ELb0ELb0ES3_N6thrust23THRUST_200600_302600_NS6detail15normal_iteratorINS9_10device_ptrIsEEEESE_s9plus_mod3IsEsEEDaPvRmT3_T4_T5_mT6_P12ihipStream_tbENKUlT_T0_E_clISt17integral_constantIbLb1EESU_EEDaSP_SQ_EUlSP_E_NS1_11comp_targetILNS1_3genE3ELNS1_11target_archE908ELNS1_3gpuE7ELNS1_3repE0EEENS1_30default_config_static_selectorELNS0_4arch9wavefront6targetE1EEEvT1_
    .private_segment_fixed_size: 0
    .sgpr_count:     4
    .sgpr_spill_count: 0
    .symbol:         _ZN7rocprim17ROCPRIM_400000_NS6detail17trampoline_kernelINS0_14default_configENS1_20scan_config_selectorIsEEZZNS1_9scan_implILNS1_25lookback_scan_determinismE0ELb0ELb0ES3_N6thrust23THRUST_200600_302600_NS6detail15normal_iteratorINS9_10device_ptrIsEEEESE_s9plus_mod3IsEsEEDaPvRmT3_T4_T5_mT6_P12ihipStream_tbENKUlT_T0_E_clISt17integral_constantIbLb1EESU_EEDaSP_SQ_EUlSP_E_NS1_11comp_targetILNS1_3genE3ELNS1_11target_archE908ELNS1_3gpuE7ELNS1_3repE0EEENS1_30default_config_static_selectorELNS0_4arch9wavefront6targetE1EEEvT1_.kd
    .uniform_work_group_size: 1
    .uses_dynamic_stack: false
    .vgpr_count:     0
    .vgpr_spill_count: 0
    .wavefront_size: 64
  - .agpr_count:     0
    .args:
      - .offset:         0
        .size:           104
        .value_kind:     by_value
    .group_segment_fixed_size: 0
    .kernarg_segment_align: 8
    .kernarg_segment_size: 104
    .language:       OpenCL C
    .language_version:
      - 2
      - 0
    .max_flat_workgroup_size: 256
    .name:           _ZN7rocprim17ROCPRIM_400000_NS6detail17trampoline_kernelINS0_14default_configENS1_20scan_config_selectorIsEEZZNS1_9scan_implILNS1_25lookback_scan_determinismE0ELb0ELb0ES3_N6thrust23THRUST_200600_302600_NS6detail15normal_iteratorINS9_10device_ptrIsEEEESE_s9plus_mod3IsEsEEDaPvRmT3_T4_T5_mT6_P12ihipStream_tbENKUlT_T0_E_clISt17integral_constantIbLb1EESU_EEDaSP_SQ_EUlSP_E_NS1_11comp_targetILNS1_3genE2ELNS1_11target_archE906ELNS1_3gpuE6ELNS1_3repE0EEENS1_30default_config_static_selectorELNS0_4arch9wavefront6targetE1EEEvT1_
    .private_segment_fixed_size: 0
    .sgpr_count:     4
    .sgpr_spill_count: 0
    .symbol:         _ZN7rocprim17ROCPRIM_400000_NS6detail17trampoline_kernelINS0_14default_configENS1_20scan_config_selectorIsEEZZNS1_9scan_implILNS1_25lookback_scan_determinismE0ELb0ELb0ES3_N6thrust23THRUST_200600_302600_NS6detail15normal_iteratorINS9_10device_ptrIsEEEESE_s9plus_mod3IsEsEEDaPvRmT3_T4_T5_mT6_P12ihipStream_tbENKUlT_T0_E_clISt17integral_constantIbLb1EESU_EEDaSP_SQ_EUlSP_E_NS1_11comp_targetILNS1_3genE2ELNS1_11target_archE906ELNS1_3gpuE6ELNS1_3repE0EEENS1_30default_config_static_selectorELNS0_4arch9wavefront6targetE1EEEvT1_.kd
    .uniform_work_group_size: 1
    .uses_dynamic_stack: false
    .vgpr_count:     0
    .vgpr_spill_count: 0
    .wavefront_size: 64
  - .agpr_count:     0
    .args:
      - .offset:         0
        .size:           104
        .value_kind:     by_value
    .group_segment_fixed_size: 0
    .kernarg_segment_align: 8
    .kernarg_segment_size: 104
    .language:       OpenCL C
    .language_version:
      - 2
      - 0
    .max_flat_workgroup_size: 256
    .name:           _ZN7rocprim17ROCPRIM_400000_NS6detail17trampoline_kernelINS0_14default_configENS1_20scan_config_selectorIsEEZZNS1_9scan_implILNS1_25lookback_scan_determinismE0ELb0ELb0ES3_N6thrust23THRUST_200600_302600_NS6detail15normal_iteratorINS9_10device_ptrIsEEEESE_s9plus_mod3IsEsEEDaPvRmT3_T4_T5_mT6_P12ihipStream_tbENKUlT_T0_E_clISt17integral_constantIbLb1EESU_EEDaSP_SQ_EUlSP_E_NS1_11comp_targetILNS1_3genE10ELNS1_11target_archE1201ELNS1_3gpuE5ELNS1_3repE0EEENS1_30default_config_static_selectorELNS0_4arch9wavefront6targetE1EEEvT1_
    .private_segment_fixed_size: 0
    .sgpr_count:     4
    .sgpr_spill_count: 0
    .symbol:         _ZN7rocprim17ROCPRIM_400000_NS6detail17trampoline_kernelINS0_14default_configENS1_20scan_config_selectorIsEEZZNS1_9scan_implILNS1_25lookback_scan_determinismE0ELb0ELb0ES3_N6thrust23THRUST_200600_302600_NS6detail15normal_iteratorINS9_10device_ptrIsEEEESE_s9plus_mod3IsEsEEDaPvRmT3_T4_T5_mT6_P12ihipStream_tbENKUlT_T0_E_clISt17integral_constantIbLb1EESU_EEDaSP_SQ_EUlSP_E_NS1_11comp_targetILNS1_3genE10ELNS1_11target_archE1201ELNS1_3gpuE5ELNS1_3repE0EEENS1_30default_config_static_selectorELNS0_4arch9wavefront6targetE1EEEvT1_.kd
    .uniform_work_group_size: 1
    .uses_dynamic_stack: false
    .vgpr_count:     0
    .vgpr_spill_count: 0
    .wavefront_size: 64
  - .agpr_count:     0
    .args:
      - .offset:         0
        .size:           104
        .value_kind:     by_value
    .group_segment_fixed_size: 0
    .kernarg_segment_align: 8
    .kernarg_segment_size: 104
    .language:       OpenCL C
    .language_version:
      - 2
      - 0
    .max_flat_workgroup_size: 256
    .name:           _ZN7rocprim17ROCPRIM_400000_NS6detail17trampoline_kernelINS0_14default_configENS1_20scan_config_selectorIsEEZZNS1_9scan_implILNS1_25lookback_scan_determinismE0ELb0ELb0ES3_N6thrust23THRUST_200600_302600_NS6detail15normal_iteratorINS9_10device_ptrIsEEEESE_s9plus_mod3IsEsEEDaPvRmT3_T4_T5_mT6_P12ihipStream_tbENKUlT_T0_E_clISt17integral_constantIbLb1EESU_EEDaSP_SQ_EUlSP_E_NS1_11comp_targetILNS1_3genE10ELNS1_11target_archE1200ELNS1_3gpuE4ELNS1_3repE0EEENS1_30default_config_static_selectorELNS0_4arch9wavefront6targetE1EEEvT1_
    .private_segment_fixed_size: 0
    .sgpr_count:     4
    .sgpr_spill_count: 0
    .symbol:         _ZN7rocprim17ROCPRIM_400000_NS6detail17trampoline_kernelINS0_14default_configENS1_20scan_config_selectorIsEEZZNS1_9scan_implILNS1_25lookback_scan_determinismE0ELb0ELb0ES3_N6thrust23THRUST_200600_302600_NS6detail15normal_iteratorINS9_10device_ptrIsEEEESE_s9plus_mod3IsEsEEDaPvRmT3_T4_T5_mT6_P12ihipStream_tbENKUlT_T0_E_clISt17integral_constantIbLb1EESU_EEDaSP_SQ_EUlSP_E_NS1_11comp_targetILNS1_3genE10ELNS1_11target_archE1200ELNS1_3gpuE4ELNS1_3repE0EEENS1_30default_config_static_selectorELNS0_4arch9wavefront6targetE1EEEvT1_.kd
    .uniform_work_group_size: 1
    .uses_dynamic_stack: false
    .vgpr_count:     0
    .vgpr_spill_count: 0
    .wavefront_size: 64
  - .agpr_count:     0
    .args:
      - .offset:         0
        .size:           104
        .value_kind:     by_value
    .group_segment_fixed_size: 0
    .kernarg_segment_align: 8
    .kernarg_segment_size: 104
    .language:       OpenCL C
    .language_version:
      - 2
      - 0
    .max_flat_workgroup_size: 64
    .name:           _ZN7rocprim17ROCPRIM_400000_NS6detail17trampoline_kernelINS0_14default_configENS1_20scan_config_selectorIsEEZZNS1_9scan_implILNS1_25lookback_scan_determinismE0ELb0ELb0ES3_N6thrust23THRUST_200600_302600_NS6detail15normal_iteratorINS9_10device_ptrIsEEEESE_s9plus_mod3IsEsEEDaPvRmT3_T4_T5_mT6_P12ihipStream_tbENKUlT_T0_E_clISt17integral_constantIbLb1EESU_EEDaSP_SQ_EUlSP_E_NS1_11comp_targetILNS1_3genE9ELNS1_11target_archE1100ELNS1_3gpuE3ELNS1_3repE0EEENS1_30default_config_static_selectorELNS0_4arch9wavefront6targetE1EEEvT1_
    .private_segment_fixed_size: 0
    .sgpr_count:     4
    .sgpr_spill_count: 0
    .symbol:         _ZN7rocprim17ROCPRIM_400000_NS6detail17trampoline_kernelINS0_14default_configENS1_20scan_config_selectorIsEEZZNS1_9scan_implILNS1_25lookback_scan_determinismE0ELb0ELb0ES3_N6thrust23THRUST_200600_302600_NS6detail15normal_iteratorINS9_10device_ptrIsEEEESE_s9plus_mod3IsEsEEDaPvRmT3_T4_T5_mT6_P12ihipStream_tbENKUlT_T0_E_clISt17integral_constantIbLb1EESU_EEDaSP_SQ_EUlSP_E_NS1_11comp_targetILNS1_3genE9ELNS1_11target_archE1100ELNS1_3gpuE3ELNS1_3repE0EEENS1_30default_config_static_selectorELNS0_4arch9wavefront6targetE1EEEvT1_.kd
    .uniform_work_group_size: 1
    .uses_dynamic_stack: false
    .vgpr_count:     0
    .vgpr_spill_count: 0
    .wavefront_size: 64
  - .agpr_count:     0
    .args:
      - .offset:         0
        .size:           104
        .value_kind:     by_value
    .group_segment_fixed_size: 0
    .kernarg_segment_align: 8
    .kernarg_segment_size: 104
    .language:       OpenCL C
    .language_version:
      - 2
      - 0
    .max_flat_workgroup_size: 64
    .name:           _ZN7rocprim17ROCPRIM_400000_NS6detail17trampoline_kernelINS0_14default_configENS1_20scan_config_selectorIsEEZZNS1_9scan_implILNS1_25lookback_scan_determinismE0ELb0ELb0ES3_N6thrust23THRUST_200600_302600_NS6detail15normal_iteratorINS9_10device_ptrIsEEEESE_s9plus_mod3IsEsEEDaPvRmT3_T4_T5_mT6_P12ihipStream_tbENKUlT_T0_E_clISt17integral_constantIbLb1EESU_EEDaSP_SQ_EUlSP_E_NS1_11comp_targetILNS1_3genE8ELNS1_11target_archE1030ELNS1_3gpuE2ELNS1_3repE0EEENS1_30default_config_static_selectorELNS0_4arch9wavefront6targetE1EEEvT1_
    .private_segment_fixed_size: 0
    .sgpr_count:     4
    .sgpr_spill_count: 0
    .symbol:         _ZN7rocprim17ROCPRIM_400000_NS6detail17trampoline_kernelINS0_14default_configENS1_20scan_config_selectorIsEEZZNS1_9scan_implILNS1_25lookback_scan_determinismE0ELb0ELb0ES3_N6thrust23THRUST_200600_302600_NS6detail15normal_iteratorINS9_10device_ptrIsEEEESE_s9plus_mod3IsEsEEDaPvRmT3_T4_T5_mT6_P12ihipStream_tbENKUlT_T0_E_clISt17integral_constantIbLb1EESU_EEDaSP_SQ_EUlSP_E_NS1_11comp_targetILNS1_3genE8ELNS1_11target_archE1030ELNS1_3gpuE2ELNS1_3repE0EEENS1_30default_config_static_selectorELNS0_4arch9wavefront6targetE1EEEvT1_.kd
    .uniform_work_group_size: 1
    .uses_dynamic_stack: false
    .vgpr_count:     0
    .vgpr_spill_count: 0
    .wavefront_size: 64
  - .agpr_count:     0
    .args:
      - .offset:         0
        .size:           40
        .value_kind:     by_value
    .group_segment_fixed_size: 0
    .kernarg_segment_align: 8
    .kernarg_segment_size: 40
    .language:       OpenCL C
    .language_version:
      - 2
      - 0
    .max_flat_workgroup_size: 128
    .name:           _ZN7rocprim17ROCPRIM_400000_NS6detail17trampoline_kernelINS0_14default_configENS1_20scan_config_selectorIsEEZZNS1_9scan_implILNS1_25lookback_scan_determinismE0ELb0ELb0ES3_N6thrust23THRUST_200600_302600_NS6detail15normal_iteratorINS9_10device_ptrIsEEEESE_s9plus_mod3IsEsEEDaPvRmT3_T4_T5_mT6_P12ihipStream_tbENKUlT_T0_E_clISt17integral_constantIbLb1EESU_EEDaSP_SQ_EUlSP_E0_NS1_11comp_targetILNS1_3genE0ELNS1_11target_archE4294967295ELNS1_3gpuE0ELNS1_3repE0EEENS1_30default_config_static_selectorELNS0_4arch9wavefront6targetE1EEEvT1_
    .private_segment_fixed_size: 0
    .sgpr_count:     4
    .sgpr_spill_count: 0
    .symbol:         _ZN7rocprim17ROCPRIM_400000_NS6detail17trampoline_kernelINS0_14default_configENS1_20scan_config_selectorIsEEZZNS1_9scan_implILNS1_25lookback_scan_determinismE0ELb0ELb0ES3_N6thrust23THRUST_200600_302600_NS6detail15normal_iteratorINS9_10device_ptrIsEEEESE_s9plus_mod3IsEsEEDaPvRmT3_T4_T5_mT6_P12ihipStream_tbENKUlT_T0_E_clISt17integral_constantIbLb1EESU_EEDaSP_SQ_EUlSP_E0_NS1_11comp_targetILNS1_3genE0ELNS1_11target_archE4294967295ELNS1_3gpuE0ELNS1_3repE0EEENS1_30default_config_static_selectorELNS0_4arch9wavefront6targetE1EEEvT1_.kd
    .uniform_work_group_size: 1
    .uses_dynamic_stack: false
    .vgpr_count:     0
    .vgpr_spill_count: 0
    .wavefront_size: 64
  - .agpr_count:     0
    .args:
      - .offset:         0
        .size:           40
        .value_kind:     by_value
    .group_segment_fixed_size: 0
    .kernarg_segment_align: 8
    .kernarg_segment_size: 40
    .language:       OpenCL C
    .language_version:
      - 2
      - 0
    .max_flat_workgroup_size: 256
    .name:           _ZN7rocprim17ROCPRIM_400000_NS6detail17trampoline_kernelINS0_14default_configENS1_20scan_config_selectorIsEEZZNS1_9scan_implILNS1_25lookback_scan_determinismE0ELb0ELb0ES3_N6thrust23THRUST_200600_302600_NS6detail15normal_iteratorINS9_10device_ptrIsEEEESE_s9plus_mod3IsEsEEDaPvRmT3_T4_T5_mT6_P12ihipStream_tbENKUlT_T0_E_clISt17integral_constantIbLb1EESU_EEDaSP_SQ_EUlSP_E0_NS1_11comp_targetILNS1_3genE5ELNS1_11target_archE942ELNS1_3gpuE9ELNS1_3repE0EEENS1_30default_config_static_selectorELNS0_4arch9wavefront6targetE1EEEvT1_
    .private_segment_fixed_size: 0
    .sgpr_count:     4
    .sgpr_spill_count: 0
    .symbol:         _ZN7rocprim17ROCPRIM_400000_NS6detail17trampoline_kernelINS0_14default_configENS1_20scan_config_selectorIsEEZZNS1_9scan_implILNS1_25lookback_scan_determinismE0ELb0ELb0ES3_N6thrust23THRUST_200600_302600_NS6detail15normal_iteratorINS9_10device_ptrIsEEEESE_s9plus_mod3IsEsEEDaPvRmT3_T4_T5_mT6_P12ihipStream_tbENKUlT_T0_E_clISt17integral_constantIbLb1EESU_EEDaSP_SQ_EUlSP_E0_NS1_11comp_targetILNS1_3genE5ELNS1_11target_archE942ELNS1_3gpuE9ELNS1_3repE0EEENS1_30default_config_static_selectorELNS0_4arch9wavefront6targetE1EEEvT1_.kd
    .uniform_work_group_size: 1
    .uses_dynamic_stack: false
    .vgpr_count:     0
    .vgpr_spill_count: 0
    .wavefront_size: 64
  - .agpr_count:     0
    .args:
      - .offset:         0
        .size:           40
        .value_kind:     by_value
    .group_segment_fixed_size: 3072
    .kernarg_segment_align: 8
    .kernarg_segment_size: 40
    .language:       OpenCL C
    .language_version:
      - 2
      - 0
    .max_flat_workgroup_size: 64
    .name:           _ZN7rocprim17ROCPRIM_400000_NS6detail17trampoline_kernelINS0_14default_configENS1_20scan_config_selectorIsEEZZNS1_9scan_implILNS1_25lookback_scan_determinismE0ELb0ELb0ES3_N6thrust23THRUST_200600_302600_NS6detail15normal_iteratorINS9_10device_ptrIsEEEESE_s9plus_mod3IsEsEEDaPvRmT3_T4_T5_mT6_P12ihipStream_tbENKUlT_T0_E_clISt17integral_constantIbLb1EESU_EEDaSP_SQ_EUlSP_E0_NS1_11comp_targetILNS1_3genE4ELNS1_11target_archE910ELNS1_3gpuE8ELNS1_3repE0EEENS1_30default_config_static_selectorELNS0_4arch9wavefront6targetE1EEEvT1_
    .private_segment_fixed_size: 0
    .sgpr_count:     64
    .sgpr_spill_count: 0
    .symbol:         _ZN7rocprim17ROCPRIM_400000_NS6detail17trampoline_kernelINS0_14default_configENS1_20scan_config_selectorIsEEZZNS1_9scan_implILNS1_25lookback_scan_determinismE0ELb0ELb0ES3_N6thrust23THRUST_200600_302600_NS6detail15normal_iteratorINS9_10device_ptrIsEEEESE_s9plus_mod3IsEsEEDaPvRmT3_T4_T5_mT6_P12ihipStream_tbENKUlT_T0_E_clISt17integral_constantIbLb1EESU_EEDaSP_SQ_EUlSP_E0_NS1_11comp_targetILNS1_3genE4ELNS1_11target_archE910ELNS1_3gpuE8ELNS1_3repE0EEENS1_30default_config_static_selectorELNS0_4arch9wavefront6targetE1EEEvT1_.kd
    .uniform_work_group_size: 1
    .uses_dynamic_stack: false
    .vgpr_count:     61
    .vgpr_spill_count: 0
    .wavefront_size: 64
  - .agpr_count:     0
    .args:
      - .offset:         0
        .size:           40
        .value_kind:     by_value
    .group_segment_fixed_size: 0
    .kernarg_segment_align: 8
    .kernarg_segment_size: 40
    .language:       OpenCL C
    .language_version:
      - 2
      - 0
    .max_flat_workgroup_size: 128
    .name:           _ZN7rocprim17ROCPRIM_400000_NS6detail17trampoline_kernelINS0_14default_configENS1_20scan_config_selectorIsEEZZNS1_9scan_implILNS1_25lookback_scan_determinismE0ELb0ELb0ES3_N6thrust23THRUST_200600_302600_NS6detail15normal_iteratorINS9_10device_ptrIsEEEESE_s9plus_mod3IsEsEEDaPvRmT3_T4_T5_mT6_P12ihipStream_tbENKUlT_T0_E_clISt17integral_constantIbLb1EESU_EEDaSP_SQ_EUlSP_E0_NS1_11comp_targetILNS1_3genE3ELNS1_11target_archE908ELNS1_3gpuE7ELNS1_3repE0EEENS1_30default_config_static_selectorELNS0_4arch9wavefront6targetE1EEEvT1_
    .private_segment_fixed_size: 0
    .sgpr_count:     4
    .sgpr_spill_count: 0
    .symbol:         _ZN7rocprim17ROCPRIM_400000_NS6detail17trampoline_kernelINS0_14default_configENS1_20scan_config_selectorIsEEZZNS1_9scan_implILNS1_25lookback_scan_determinismE0ELb0ELb0ES3_N6thrust23THRUST_200600_302600_NS6detail15normal_iteratorINS9_10device_ptrIsEEEESE_s9plus_mod3IsEsEEDaPvRmT3_T4_T5_mT6_P12ihipStream_tbENKUlT_T0_E_clISt17integral_constantIbLb1EESU_EEDaSP_SQ_EUlSP_E0_NS1_11comp_targetILNS1_3genE3ELNS1_11target_archE908ELNS1_3gpuE7ELNS1_3repE0EEENS1_30default_config_static_selectorELNS0_4arch9wavefront6targetE1EEEvT1_.kd
    .uniform_work_group_size: 1
    .uses_dynamic_stack: false
    .vgpr_count:     0
    .vgpr_spill_count: 0
    .wavefront_size: 64
  - .agpr_count:     0
    .args:
      - .offset:         0
        .size:           40
        .value_kind:     by_value
    .group_segment_fixed_size: 0
    .kernarg_segment_align: 8
    .kernarg_segment_size: 40
    .language:       OpenCL C
    .language_version:
      - 2
      - 0
    .max_flat_workgroup_size: 256
    .name:           _ZN7rocprim17ROCPRIM_400000_NS6detail17trampoline_kernelINS0_14default_configENS1_20scan_config_selectorIsEEZZNS1_9scan_implILNS1_25lookback_scan_determinismE0ELb0ELb0ES3_N6thrust23THRUST_200600_302600_NS6detail15normal_iteratorINS9_10device_ptrIsEEEESE_s9plus_mod3IsEsEEDaPvRmT3_T4_T5_mT6_P12ihipStream_tbENKUlT_T0_E_clISt17integral_constantIbLb1EESU_EEDaSP_SQ_EUlSP_E0_NS1_11comp_targetILNS1_3genE2ELNS1_11target_archE906ELNS1_3gpuE6ELNS1_3repE0EEENS1_30default_config_static_selectorELNS0_4arch9wavefront6targetE1EEEvT1_
    .private_segment_fixed_size: 0
    .sgpr_count:     4
    .sgpr_spill_count: 0
    .symbol:         _ZN7rocprim17ROCPRIM_400000_NS6detail17trampoline_kernelINS0_14default_configENS1_20scan_config_selectorIsEEZZNS1_9scan_implILNS1_25lookback_scan_determinismE0ELb0ELb0ES3_N6thrust23THRUST_200600_302600_NS6detail15normal_iteratorINS9_10device_ptrIsEEEESE_s9plus_mod3IsEsEEDaPvRmT3_T4_T5_mT6_P12ihipStream_tbENKUlT_T0_E_clISt17integral_constantIbLb1EESU_EEDaSP_SQ_EUlSP_E0_NS1_11comp_targetILNS1_3genE2ELNS1_11target_archE906ELNS1_3gpuE6ELNS1_3repE0EEENS1_30default_config_static_selectorELNS0_4arch9wavefront6targetE1EEEvT1_.kd
    .uniform_work_group_size: 1
    .uses_dynamic_stack: false
    .vgpr_count:     0
    .vgpr_spill_count: 0
    .wavefront_size: 64
  - .agpr_count:     0
    .args:
      - .offset:         0
        .size:           40
        .value_kind:     by_value
    .group_segment_fixed_size: 0
    .kernarg_segment_align: 8
    .kernarg_segment_size: 40
    .language:       OpenCL C
    .language_version:
      - 2
      - 0
    .max_flat_workgroup_size: 256
    .name:           _ZN7rocprim17ROCPRIM_400000_NS6detail17trampoline_kernelINS0_14default_configENS1_20scan_config_selectorIsEEZZNS1_9scan_implILNS1_25lookback_scan_determinismE0ELb0ELb0ES3_N6thrust23THRUST_200600_302600_NS6detail15normal_iteratorINS9_10device_ptrIsEEEESE_s9plus_mod3IsEsEEDaPvRmT3_T4_T5_mT6_P12ihipStream_tbENKUlT_T0_E_clISt17integral_constantIbLb1EESU_EEDaSP_SQ_EUlSP_E0_NS1_11comp_targetILNS1_3genE10ELNS1_11target_archE1201ELNS1_3gpuE5ELNS1_3repE0EEENS1_30default_config_static_selectorELNS0_4arch9wavefront6targetE1EEEvT1_
    .private_segment_fixed_size: 0
    .sgpr_count:     4
    .sgpr_spill_count: 0
    .symbol:         _ZN7rocprim17ROCPRIM_400000_NS6detail17trampoline_kernelINS0_14default_configENS1_20scan_config_selectorIsEEZZNS1_9scan_implILNS1_25lookback_scan_determinismE0ELb0ELb0ES3_N6thrust23THRUST_200600_302600_NS6detail15normal_iteratorINS9_10device_ptrIsEEEESE_s9plus_mod3IsEsEEDaPvRmT3_T4_T5_mT6_P12ihipStream_tbENKUlT_T0_E_clISt17integral_constantIbLb1EESU_EEDaSP_SQ_EUlSP_E0_NS1_11comp_targetILNS1_3genE10ELNS1_11target_archE1201ELNS1_3gpuE5ELNS1_3repE0EEENS1_30default_config_static_selectorELNS0_4arch9wavefront6targetE1EEEvT1_.kd
    .uniform_work_group_size: 1
    .uses_dynamic_stack: false
    .vgpr_count:     0
    .vgpr_spill_count: 0
    .wavefront_size: 64
  - .agpr_count:     0
    .args:
      - .offset:         0
        .size:           40
        .value_kind:     by_value
    .group_segment_fixed_size: 0
    .kernarg_segment_align: 8
    .kernarg_segment_size: 40
    .language:       OpenCL C
    .language_version:
      - 2
      - 0
    .max_flat_workgroup_size: 256
    .name:           _ZN7rocprim17ROCPRIM_400000_NS6detail17trampoline_kernelINS0_14default_configENS1_20scan_config_selectorIsEEZZNS1_9scan_implILNS1_25lookback_scan_determinismE0ELb0ELb0ES3_N6thrust23THRUST_200600_302600_NS6detail15normal_iteratorINS9_10device_ptrIsEEEESE_s9plus_mod3IsEsEEDaPvRmT3_T4_T5_mT6_P12ihipStream_tbENKUlT_T0_E_clISt17integral_constantIbLb1EESU_EEDaSP_SQ_EUlSP_E0_NS1_11comp_targetILNS1_3genE10ELNS1_11target_archE1200ELNS1_3gpuE4ELNS1_3repE0EEENS1_30default_config_static_selectorELNS0_4arch9wavefront6targetE1EEEvT1_
    .private_segment_fixed_size: 0
    .sgpr_count:     4
    .sgpr_spill_count: 0
    .symbol:         _ZN7rocprim17ROCPRIM_400000_NS6detail17trampoline_kernelINS0_14default_configENS1_20scan_config_selectorIsEEZZNS1_9scan_implILNS1_25lookback_scan_determinismE0ELb0ELb0ES3_N6thrust23THRUST_200600_302600_NS6detail15normal_iteratorINS9_10device_ptrIsEEEESE_s9plus_mod3IsEsEEDaPvRmT3_T4_T5_mT6_P12ihipStream_tbENKUlT_T0_E_clISt17integral_constantIbLb1EESU_EEDaSP_SQ_EUlSP_E0_NS1_11comp_targetILNS1_3genE10ELNS1_11target_archE1200ELNS1_3gpuE4ELNS1_3repE0EEENS1_30default_config_static_selectorELNS0_4arch9wavefront6targetE1EEEvT1_.kd
    .uniform_work_group_size: 1
    .uses_dynamic_stack: false
    .vgpr_count:     0
    .vgpr_spill_count: 0
    .wavefront_size: 64
  - .agpr_count:     0
    .args:
      - .offset:         0
        .size:           40
        .value_kind:     by_value
    .group_segment_fixed_size: 0
    .kernarg_segment_align: 8
    .kernarg_segment_size: 40
    .language:       OpenCL C
    .language_version:
      - 2
      - 0
    .max_flat_workgroup_size: 64
    .name:           _ZN7rocprim17ROCPRIM_400000_NS6detail17trampoline_kernelINS0_14default_configENS1_20scan_config_selectorIsEEZZNS1_9scan_implILNS1_25lookback_scan_determinismE0ELb0ELb0ES3_N6thrust23THRUST_200600_302600_NS6detail15normal_iteratorINS9_10device_ptrIsEEEESE_s9plus_mod3IsEsEEDaPvRmT3_T4_T5_mT6_P12ihipStream_tbENKUlT_T0_E_clISt17integral_constantIbLb1EESU_EEDaSP_SQ_EUlSP_E0_NS1_11comp_targetILNS1_3genE9ELNS1_11target_archE1100ELNS1_3gpuE3ELNS1_3repE0EEENS1_30default_config_static_selectorELNS0_4arch9wavefront6targetE1EEEvT1_
    .private_segment_fixed_size: 0
    .sgpr_count:     4
    .sgpr_spill_count: 0
    .symbol:         _ZN7rocprim17ROCPRIM_400000_NS6detail17trampoline_kernelINS0_14default_configENS1_20scan_config_selectorIsEEZZNS1_9scan_implILNS1_25lookback_scan_determinismE0ELb0ELb0ES3_N6thrust23THRUST_200600_302600_NS6detail15normal_iteratorINS9_10device_ptrIsEEEESE_s9plus_mod3IsEsEEDaPvRmT3_T4_T5_mT6_P12ihipStream_tbENKUlT_T0_E_clISt17integral_constantIbLb1EESU_EEDaSP_SQ_EUlSP_E0_NS1_11comp_targetILNS1_3genE9ELNS1_11target_archE1100ELNS1_3gpuE3ELNS1_3repE0EEENS1_30default_config_static_selectorELNS0_4arch9wavefront6targetE1EEEvT1_.kd
    .uniform_work_group_size: 1
    .uses_dynamic_stack: false
    .vgpr_count:     0
    .vgpr_spill_count: 0
    .wavefront_size: 64
  - .agpr_count:     0
    .args:
      - .offset:         0
        .size:           40
        .value_kind:     by_value
    .group_segment_fixed_size: 0
    .kernarg_segment_align: 8
    .kernarg_segment_size: 40
    .language:       OpenCL C
    .language_version:
      - 2
      - 0
    .max_flat_workgroup_size: 64
    .name:           _ZN7rocprim17ROCPRIM_400000_NS6detail17trampoline_kernelINS0_14default_configENS1_20scan_config_selectorIsEEZZNS1_9scan_implILNS1_25lookback_scan_determinismE0ELb0ELb0ES3_N6thrust23THRUST_200600_302600_NS6detail15normal_iteratorINS9_10device_ptrIsEEEESE_s9plus_mod3IsEsEEDaPvRmT3_T4_T5_mT6_P12ihipStream_tbENKUlT_T0_E_clISt17integral_constantIbLb1EESU_EEDaSP_SQ_EUlSP_E0_NS1_11comp_targetILNS1_3genE8ELNS1_11target_archE1030ELNS1_3gpuE2ELNS1_3repE0EEENS1_30default_config_static_selectorELNS0_4arch9wavefront6targetE1EEEvT1_
    .private_segment_fixed_size: 0
    .sgpr_count:     4
    .sgpr_spill_count: 0
    .symbol:         _ZN7rocprim17ROCPRIM_400000_NS6detail17trampoline_kernelINS0_14default_configENS1_20scan_config_selectorIsEEZZNS1_9scan_implILNS1_25lookback_scan_determinismE0ELb0ELb0ES3_N6thrust23THRUST_200600_302600_NS6detail15normal_iteratorINS9_10device_ptrIsEEEESE_s9plus_mod3IsEsEEDaPvRmT3_T4_T5_mT6_P12ihipStream_tbENKUlT_T0_E_clISt17integral_constantIbLb1EESU_EEDaSP_SQ_EUlSP_E0_NS1_11comp_targetILNS1_3genE8ELNS1_11target_archE1030ELNS1_3gpuE2ELNS1_3repE0EEENS1_30default_config_static_selectorELNS0_4arch9wavefront6targetE1EEEvT1_.kd
    .uniform_work_group_size: 1
    .uses_dynamic_stack: false
    .vgpr_count:     0
    .vgpr_spill_count: 0
    .wavefront_size: 64
  - .agpr_count:     0
    .args:
      - .offset:         0
        .size:           104
        .value_kind:     by_value
    .group_segment_fixed_size: 0
    .kernarg_segment_align: 8
    .kernarg_segment_size: 104
    .language:       OpenCL C
    .language_version:
      - 2
      - 0
    .max_flat_workgroup_size: 128
    .name:           _ZN7rocprim17ROCPRIM_400000_NS6detail17trampoline_kernelINS0_14default_configENS1_20scan_config_selectorIsEEZZNS1_9scan_implILNS1_25lookback_scan_determinismE0ELb0ELb0ES3_N6thrust23THRUST_200600_302600_NS6detail15normal_iteratorINS9_10device_ptrIsEEEESE_s9plus_mod3IsEsEEDaPvRmT3_T4_T5_mT6_P12ihipStream_tbENKUlT_T0_E_clISt17integral_constantIbLb1EEST_IbLb0EEEEDaSP_SQ_EUlSP_E_NS1_11comp_targetILNS1_3genE0ELNS1_11target_archE4294967295ELNS1_3gpuE0ELNS1_3repE0EEENS1_30default_config_static_selectorELNS0_4arch9wavefront6targetE1EEEvT1_
    .private_segment_fixed_size: 0
    .sgpr_count:     4
    .sgpr_spill_count: 0
    .symbol:         _ZN7rocprim17ROCPRIM_400000_NS6detail17trampoline_kernelINS0_14default_configENS1_20scan_config_selectorIsEEZZNS1_9scan_implILNS1_25lookback_scan_determinismE0ELb0ELb0ES3_N6thrust23THRUST_200600_302600_NS6detail15normal_iteratorINS9_10device_ptrIsEEEESE_s9plus_mod3IsEsEEDaPvRmT3_T4_T5_mT6_P12ihipStream_tbENKUlT_T0_E_clISt17integral_constantIbLb1EEST_IbLb0EEEEDaSP_SQ_EUlSP_E_NS1_11comp_targetILNS1_3genE0ELNS1_11target_archE4294967295ELNS1_3gpuE0ELNS1_3repE0EEENS1_30default_config_static_selectorELNS0_4arch9wavefront6targetE1EEEvT1_.kd
    .uniform_work_group_size: 1
    .uses_dynamic_stack: false
    .vgpr_count:     0
    .vgpr_spill_count: 0
    .wavefront_size: 64
  - .agpr_count:     0
    .args:
      - .offset:         0
        .size:           104
        .value_kind:     by_value
    .group_segment_fixed_size: 0
    .kernarg_segment_align: 8
    .kernarg_segment_size: 104
    .language:       OpenCL C
    .language_version:
      - 2
      - 0
    .max_flat_workgroup_size: 256
    .name:           _ZN7rocprim17ROCPRIM_400000_NS6detail17trampoline_kernelINS0_14default_configENS1_20scan_config_selectorIsEEZZNS1_9scan_implILNS1_25lookback_scan_determinismE0ELb0ELb0ES3_N6thrust23THRUST_200600_302600_NS6detail15normal_iteratorINS9_10device_ptrIsEEEESE_s9plus_mod3IsEsEEDaPvRmT3_T4_T5_mT6_P12ihipStream_tbENKUlT_T0_E_clISt17integral_constantIbLb1EEST_IbLb0EEEEDaSP_SQ_EUlSP_E_NS1_11comp_targetILNS1_3genE5ELNS1_11target_archE942ELNS1_3gpuE9ELNS1_3repE0EEENS1_30default_config_static_selectorELNS0_4arch9wavefront6targetE1EEEvT1_
    .private_segment_fixed_size: 0
    .sgpr_count:     4
    .sgpr_spill_count: 0
    .symbol:         _ZN7rocprim17ROCPRIM_400000_NS6detail17trampoline_kernelINS0_14default_configENS1_20scan_config_selectorIsEEZZNS1_9scan_implILNS1_25lookback_scan_determinismE0ELb0ELb0ES3_N6thrust23THRUST_200600_302600_NS6detail15normal_iteratorINS9_10device_ptrIsEEEESE_s9plus_mod3IsEsEEDaPvRmT3_T4_T5_mT6_P12ihipStream_tbENKUlT_T0_E_clISt17integral_constantIbLb1EEST_IbLb0EEEEDaSP_SQ_EUlSP_E_NS1_11comp_targetILNS1_3genE5ELNS1_11target_archE942ELNS1_3gpuE9ELNS1_3repE0EEENS1_30default_config_static_selectorELNS0_4arch9wavefront6targetE1EEEvT1_.kd
    .uniform_work_group_size: 1
    .uses_dynamic_stack: false
    .vgpr_count:     0
    .vgpr_spill_count: 0
    .wavefront_size: 64
  - .agpr_count:     0
    .args:
      - .offset:         0
        .size:           104
        .value_kind:     by_value
    .group_segment_fixed_size: 3072
    .kernarg_segment_align: 8
    .kernarg_segment_size: 104
    .language:       OpenCL C
    .language_version:
      - 2
      - 0
    .max_flat_workgroup_size: 64
    .name:           _ZN7rocprim17ROCPRIM_400000_NS6detail17trampoline_kernelINS0_14default_configENS1_20scan_config_selectorIsEEZZNS1_9scan_implILNS1_25lookback_scan_determinismE0ELb0ELb0ES3_N6thrust23THRUST_200600_302600_NS6detail15normal_iteratorINS9_10device_ptrIsEEEESE_s9plus_mod3IsEsEEDaPvRmT3_T4_T5_mT6_P12ihipStream_tbENKUlT_T0_E_clISt17integral_constantIbLb1EEST_IbLb0EEEEDaSP_SQ_EUlSP_E_NS1_11comp_targetILNS1_3genE4ELNS1_11target_archE910ELNS1_3gpuE8ELNS1_3repE0EEENS1_30default_config_static_selectorELNS0_4arch9wavefront6targetE1EEEvT1_
    .private_segment_fixed_size: 0
    .sgpr_count:     40
    .sgpr_spill_count: 0
    .symbol:         _ZN7rocprim17ROCPRIM_400000_NS6detail17trampoline_kernelINS0_14default_configENS1_20scan_config_selectorIsEEZZNS1_9scan_implILNS1_25lookback_scan_determinismE0ELb0ELb0ES3_N6thrust23THRUST_200600_302600_NS6detail15normal_iteratorINS9_10device_ptrIsEEEESE_s9plus_mod3IsEsEEDaPvRmT3_T4_T5_mT6_P12ihipStream_tbENKUlT_T0_E_clISt17integral_constantIbLb1EEST_IbLb0EEEEDaSP_SQ_EUlSP_E_NS1_11comp_targetILNS1_3genE4ELNS1_11target_archE910ELNS1_3gpuE8ELNS1_3repE0EEENS1_30default_config_static_selectorELNS0_4arch9wavefront6targetE1EEEvT1_.kd
    .uniform_work_group_size: 1
    .uses_dynamic_stack: false
    .vgpr_count:     114
    .vgpr_spill_count: 0
    .wavefront_size: 64
  - .agpr_count:     0
    .args:
      - .offset:         0
        .size:           104
        .value_kind:     by_value
    .group_segment_fixed_size: 0
    .kernarg_segment_align: 8
    .kernarg_segment_size: 104
    .language:       OpenCL C
    .language_version:
      - 2
      - 0
    .max_flat_workgroup_size: 128
    .name:           _ZN7rocprim17ROCPRIM_400000_NS6detail17trampoline_kernelINS0_14default_configENS1_20scan_config_selectorIsEEZZNS1_9scan_implILNS1_25lookback_scan_determinismE0ELb0ELb0ES3_N6thrust23THRUST_200600_302600_NS6detail15normal_iteratorINS9_10device_ptrIsEEEESE_s9plus_mod3IsEsEEDaPvRmT3_T4_T5_mT6_P12ihipStream_tbENKUlT_T0_E_clISt17integral_constantIbLb1EEST_IbLb0EEEEDaSP_SQ_EUlSP_E_NS1_11comp_targetILNS1_3genE3ELNS1_11target_archE908ELNS1_3gpuE7ELNS1_3repE0EEENS1_30default_config_static_selectorELNS0_4arch9wavefront6targetE1EEEvT1_
    .private_segment_fixed_size: 0
    .sgpr_count:     4
    .sgpr_spill_count: 0
    .symbol:         _ZN7rocprim17ROCPRIM_400000_NS6detail17trampoline_kernelINS0_14default_configENS1_20scan_config_selectorIsEEZZNS1_9scan_implILNS1_25lookback_scan_determinismE0ELb0ELb0ES3_N6thrust23THRUST_200600_302600_NS6detail15normal_iteratorINS9_10device_ptrIsEEEESE_s9plus_mod3IsEsEEDaPvRmT3_T4_T5_mT6_P12ihipStream_tbENKUlT_T0_E_clISt17integral_constantIbLb1EEST_IbLb0EEEEDaSP_SQ_EUlSP_E_NS1_11comp_targetILNS1_3genE3ELNS1_11target_archE908ELNS1_3gpuE7ELNS1_3repE0EEENS1_30default_config_static_selectorELNS0_4arch9wavefront6targetE1EEEvT1_.kd
    .uniform_work_group_size: 1
    .uses_dynamic_stack: false
    .vgpr_count:     0
    .vgpr_spill_count: 0
    .wavefront_size: 64
  - .agpr_count:     0
    .args:
      - .offset:         0
        .size:           104
        .value_kind:     by_value
    .group_segment_fixed_size: 0
    .kernarg_segment_align: 8
    .kernarg_segment_size: 104
    .language:       OpenCL C
    .language_version:
      - 2
      - 0
    .max_flat_workgroup_size: 256
    .name:           _ZN7rocprim17ROCPRIM_400000_NS6detail17trampoline_kernelINS0_14default_configENS1_20scan_config_selectorIsEEZZNS1_9scan_implILNS1_25lookback_scan_determinismE0ELb0ELb0ES3_N6thrust23THRUST_200600_302600_NS6detail15normal_iteratorINS9_10device_ptrIsEEEESE_s9plus_mod3IsEsEEDaPvRmT3_T4_T5_mT6_P12ihipStream_tbENKUlT_T0_E_clISt17integral_constantIbLb1EEST_IbLb0EEEEDaSP_SQ_EUlSP_E_NS1_11comp_targetILNS1_3genE2ELNS1_11target_archE906ELNS1_3gpuE6ELNS1_3repE0EEENS1_30default_config_static_selectorELNS0_4arch9wavefront6targetE1EEEvT1_
    .private_segment_fixed_size: 0
    .sgpr_count:     4
    .sgpr_spill_count: 0
    .symbol:         _ZN7rocprim17ROCPRIM_400000_NS6detail17trampoline_kernelINS0_14default_configENS1_20scan_config_selectorIsEEZZNS1_9scan_implILNS1_25lookback_scan_determinismE0ELb0ELb0ES3_N6thrust23THRUST_200600_302600_NS6detail15normal_iteratorINS9_10device_ptrIsEEEESE_s9plus_mod3IsEsEEDaPvRmT3_T4_T5_mT6_P12ihipStream_tbENKUlT_T0_E_clISt17integral_constantIbLb1EEST_IbLb0EEEEDaSP_SQ_EUlSP_E_NS1_11comp_targetILNS1_3genE2ELNS1_11target_archE906ELNS1_3gpuE6ELNS1_3repE0EEENS1_30default_config_static_selectorELNS0_4arch9wavefront6targetE1EEEvT1_.kd
    .uniform_work_group_size: 1
    .uses_dynamic_stack: false
    .vgpr_count:     0
    .vgpr_spill_count: 0
    .wavefront_size: 64
  - .agpr_count:     0
    .args:
      - .offset:         0
        .size:           104
        .value_kind:     by_value
    .group_segment_fixed_size: 0
    .kernarg_segment_align: 8
    .kernarg_segment_size: 104
    .language:       OpenCL C
    .language_version:
      - 2
      - 0
    .max_flat_workgroup_size: 256
    .name:           _ZN7rocprim17ROCPRIM_400000_NS6detail17trampoline_kernelINS0_14default_configENS1_20scan_config_selectorIsEEZZNS1_9scan_implILNS1_25lookback_scan_determinismE0ELb0ELb0ES3_N6thrust23THRUST_200600_302600_NS6detail15normal_iteratorINS9_10device_ptrIsEEEESE_s9plus_mod3IsEsEEDaPvRmT3_T4_T5_mT6_P12ihipStream_tbENKUlT_T0_E_clISt17integral_constantIbLb1EEST_IbLb0EEEEDaSP_SQ_EUlSP_E_NS1_11comp_targetILNS1_3genE10ELNS1_11target_archE1201ELNS1_3gpuE5ELNS1_3repE0EEENS1_30default_config_static_selectorELNS0_4arch9wavefront6targetE1EEEvT1_
    .private_segment_fixed_size: 0
    .sgpr_count:     4
    .sgpr_spill_count: 0
    .symbol:         _ZN7rocprim17ROCPRIM_400000_NS6detail17trampoline_kernelINS0_14default_configENS1_20scan_config_selectorIsEEZZNS1_9scan_implILNS1_25lookback_scan_determinismE0ELb0ELb0ES3_N6thrust23THRUST_200600_302600_NS6detail15normal_iteratorINS9_10device_ptrIsEEEESE_s9plus_mod3IsEsEEDaPvRmT3_T4_T5_mT6_P12ihipStream_tbENKUlT_T0_E_clISt17integral_constantIbLb1EEST_IbLb0EEEEDaSP_SQ_EUlSP_E_NS1_11comp_targetILNS1_3genE10ELNS1_11target_archE1201ELNS1_3gpuE5ELNS1_3repE0EEENS1_30default_config_static_selectorELNS0_4arch9wavefront6targetE1EEEvT1_.kd
    .uniform_work_group_size: 1
    .uses_dynamic_stack: false
    .vgpr_count:     0
    .vgpr_spill_count: 0
    .wavefront_size: 64
  - .agpr_count:     0
    .args:
      - .offset:         0
        .size:           104
        .value_kind:     by_value
    .group_segment_fixed_size: 0
    .kernarg_segment_align: 8
    .kernarg_segment_size: 104
    .language:       OpenCL C
    .language_version:
      - 2
      - 0
    .max_flat_workgroup_size: 256
    .name:           _ZN7rocprim17ROCPRIM_400000_NS6detail17trampoline_kernelINS0_14default_configENS1_20scan_config_selectorIsEEZZNS1_9scan_implILNS1_25lookback_scan_determinismE0ELb0ELb0ES3_N6thrust23THRUST_200600_302600_NS6detail15normal_iteratorINS9_10device_ptrIsEEEESE_s9plus_mod3IsEsEEDaPvRmT3_T4_T5_mT6_P12ihipStream_tbENKUlT_T0_E_clISt17integral_constantIbLb1EEST_IbLb0EEEEDaSP_SQ_EUlSP_E_NS1_11comp_targetILNS1_3genE10ELNS1_11target_archE1200ELNS1_3gpuE4ELNS1_3repE0EEENS1_30default_config_static_selectorELNS0_4arch9wavefront6targetE1EEEvT1_
    .private_segment_fixed_size: 0
    .sgpr_count:     4
    .sgpr_spill_count: 0
    .symbol:         _ZN7rocprim17ROCPRIM_400000_NS6detail17trampoline_kernelINS0_14default_configENS1_20scan_config_selectorIsEEZZNS1_9scan_implILNS1_25lookback_scan_determinismE0ELb0ELb0ES3_N6thrust23THRUST_200600_302600_NS6detail15normal_iteratorINS9_10device_ptrIsEEEESE_s9plus_mod3IsEsEEDaPvRmT3_T4_T5_mT6_P12ihipStream_tbENKUlT_T0_E_clISt17integral_constantIbLb1EEST_IbLb0EEEEDaSP_SQ_EUlSP_E_NS1_11comp_targetILNS1_3genE10ELNS1_11target_archE1200ELNS1_3gpuE4ELNS1_3repE0EEENS1_30default_config_static_selectorELNS0_4arch9wavefront6targetE1EEEvT1_.kd
    .uniform_work_group_size: 1
    .uses_dynamic_stack: false
    .vgpr_count:     0
    .vgpr_spill_count: 0
    .wavefront_size: 64
  - .agpr_count:     0
    .args:
      - .offset:         0
        .size:           104
        .value_kind:     by_value
    .group_segment_fixed_size: 0
    .kernarg_segment_align: 8
    .kernarg_segment_size: 104
    .language:       OpenCL C
    .language_version:
      - 2
      - 0
    .max_flat_workgroup_size: 64
    .name:           _ZN7rocprim17ROCPRIM_400000_NS6detail17trampoline_kernelINS0_14default_configENS1_20scan_config_selectorIsEEZZNS1_9scan_implILNS1_25lookback_scan_determinismE0ELb0ELb0ES3_N6thrust23THRUST_200600_302600_NS6detail15normal_iteratorINS9_10device_ptrIsEEEESE_s9plus_mod3IsEsEEDaPvRmT3_T4_T5_mT6_P12ihipStream_tbENKUlT_T0_E_clISt17integral_constantIbLb1EEST_IbLb0EEEEDaSP_SQ_EUlSP_E_NS1_11comp_targetILNS1_3genE9ELNS1_11target_archE1100ELNS1_3gpuE3ELNS1_3repE0EEENS1_30default_config_static_selectorELNS0_4arch9wavefront6targetE1EEEvT1_
    .private_segment_fixed_size: 0
    .sgpr_count:     4
    .sgpr_spill_count: 0
    .symbol:         _ZN7rocprim17ROCPRIM_400000_NS6detail17trampoline_kernelINS0_14default_configENS1_20scan_config_selectorIsEEZZNS1_9scan_implILNS1_25lookback_scan_determinismE0ELb0ELb0ES3_N6thrust23THRUST_200600_302600_NS6detail15normal_iteratorINS9_10device_ptrIsEEEESE_s9plus_mod3IsEsEEDaPvRmT3_T4_T5_mT6_P12ihipStream_tbENKUlT_T0_E_clISt17integral_constantIbLb1EEST_IbLb0EEEEDaSP_SQ_EUlSP_E_NS1_11comp_targetILNS1_3genE9ELNS1_11target_archE1100ELNS1_3gpuE3ELNS1_3repE0EEENS1_30default_config_static_selectorELNS0_4arch9wavefront6targetE1EEEvT1_.kd
    .uniform_work_group_size: 1
    .uses_dynamic_stack: false
    .vgpr_count:     0
    .vgpr_spill_count: 0
    .wavefront_size: 64
  - .agpr_count:     0
    .args:
      - .offset:         0
        .size:           104
        .value_kind:     by_value
    .group_segment_fixed_size: 0
    .kernarg_segment_align: 8
    .kernarg_segment_size: 104
    .language:       OpenCL C
    .language_version:
      - 2
      - 0
    .max_flat_workgroup_size: 64
    .name:           _ZN7rocprim17ROCPRIM_400000_NS6detail17trampoline_kernelINS0_14default_configENS1_20scan_config_selectorIsEEZZNS1_9scan_implILNS1_25lookback_scan_determinismE0ELb0ELb0ES3_N6thrust23THRUST_200600_302600_NS6detail15normal_iteratorINS9_10device_ptrIsEEEESE_s9plus_mod3IsEsEEDaPvRmT3_T4_T5_mT6_P12ihipStream_tbENKUlT_T0_E_clISt17integral_constantIbLb1EEST_IbLb0EEEEDaSP_SQ_EUlSP_E_NS1_11comp_targetILNS1_3genE8ELNS1_11target_archE1030ELNS1_3gpuE2ELNS1_3repE0EEENS1_30default_config_static_selectorELNS0_4arch9wavefront6targetE1EEEvT1_
    .private_segment_fixed_size: 0
    .sgpr_count:     4
    .sgpr_spill_count: 0
    .symbol:         _ZN7rocprim17ROCPRIM_400000_NS6detail17trampoline_kernelINS0_14default_configENS1_20scan_config_selectorIsEEZZNS1_9scan_implILNS1_25lookback_scan_determinismE0ELb0ELb0ES3_N6thrust23THRUST_200600_302600_NS6detail15normal_iteratorINS9_10device_ptrIsEEEESE_s9plus_mod3IsEsEEDaPvRmT3_T4_T5_mT6_P12ihipStream_tbENKUlT_T0_E_clISt17integral_constantIbLb1EEST_IbLb0EEEEDaSP_SQ_EUlSP_E_NS1_11comp_targetILNS1_3genE8ELNS1_11target_archE1030ELNS1_3gpuE2ELNS1_3repE0EEENS1_30default_config_static_selectorELNS0_4arch9wavefront6targetE1EEEvT1_.kd
    .uniform_work_group_size: 1
    .uses_dynamic_stack: false
    .vgpr_count:     0
    .vgpr_spill_count: 0
    .wavefront_size: 64
  - .agpr_count:     0
    .args:
      - .offset:         0
        .size:           40
        .value_kind:     by_value
    .group_segment_fixed_size: 0
    .kernarg_segment_align: 8
    .kernarg_segment_size: 40
    .language:       OpenCL C
    .language_version:
      - 2
      - 0
    .max_flat_workgroup_size: 128
    .name:           _ZN7rocprim17ROCPRIM_400000_NS6detail17trampoline_kernelINS0_14default_configENS1_20scan_config_selectorIsEEZZNS1_9scan_implILNS1_25lookback_scan_determinismE0ELb0ELb0ES3_N6thrust23THRUST_200600_302600_NS6detail15normal_iteratorINS9_10device_ptrIsEEEESE_s9plus_mod3IsEsEEDaPvRmT3_T4_T5_mT6_P12ihipStream_tbENKUlT_T0_E_clISt17integral_constantIbLb1EEST_IbLb0EEEEDaSP_SQ_EUlSP_E0_NS1_11comp_targetILNS1_3genE0ELNS1_11target_archE4294967295ELNS1_3gpuE0ELNS1_3repE0EEENS1_30default_config_static_selectorELNS0_4arch9wavefront6targetE1EEEvT1_
    .private_segment_fixed_size: 0
    .sgpr_count:     4
    .sgpr_spill_count: 0
    .symbol:         _ZN7rocprim17ROCPRIM_400000_NS6detail17trampoline_kernelINS0_14default_configENS1_20scan_config_selectorIsEEZZNS1_9scan_implILNS1_25lookback_scan_determinismE0ELb0ELb0ES3_N6thrust23THRUST_200600_302600_NS6detail15normal_iteratorINS9_10device_ptrIsEEEESE_s9plus_mod3IsEsEEDaPvRmT3_T4_T5_mT6_P12ihipStream_tbENKUlT_T0_E_clISt17integral_constantIbLb1EEST_IbLb0EEEEDaSP_SQ_EUlSP_E0_NS1_11comp_targetILNS1_3genE0ELNS1_11target_archE4294967295ELNS1_3gpuE0ELNS1_3repE0EEENS1_30default_config_static_selectorELNS0_4arch9wavefront6targetE1EEEvT1_.kd
    .uniform_work_group_size: 1
    .uses_dynamic_stack: false
    .vgpr_count:     0
    .vgpr_spill_count: 0
    .wavefront_size: 64
  - .agpr_count:     0
    .args:
      - .offset:         0
        .size:           40
        .value_kind:     by_value
    .group_segment_fixed_size: 0
    .kernarg_segment_align: 8
    .kernarg_segment_size: 40
    .language:       OpenCL C
    .language_version:
      - 2
      - 0
    .max_flat_workgroup_size: 256
    .name:           _ZN7rocprim17ROCPRIM_400000_NS6detail17trampoline_kernelINS0_14default_configENS1_20scan_config_selectorIsEEZZNS1_9scan_implILNS1_25lookback_scan_determinismE0ELb0ELb0ES3_N6thrust23THRUST_200600_302600_NS6detail15normal_iteratorINS9_10device_ptrIsEEEESE_s9plus_mod3IsEsEEDaPvRmT3_T4_T5_mT6_P12ihipStream_tbENKUlT_T0_E_clISt17integral_constantIbLb1EEST_IbLb0EEEEDaSP_SQ_EUlSP_E0_NS1_11comp_targetILNS1_3genE5ELNS1_11target_archE942ELNS1_3gpuE9ELNS1_3repE0EEENS1_30default_config_static_selectorELNS0_4arch9wavefront6targetE1EEEvT1_
    .private_segment_fixed_size: 0
    .sgpr_count:     4
    .sgpr_spill_count: 0
    .symbol:         _ZN7rocprim17ROCPRIM_400000_NS6detail17trampoline_kernelINS0_14default_configENS1_20scan_config_selectorIsEEZZNS1_9scan_implILNS1_25lookback_scan_determinismE0ELb0ELb0ES3_N6thrust23THRUST_200600_302600_NS6detail15normal_iteratorINS9_10device_ptrIsEEEESE_s9plus_mod3IsEsEEDaPvRmT3_T4_T5_mT6_P12ihipStream_tbENKUlT_T0_E_clISt17integral_constantIbLb1EEST_IbLb0EEEEDaSP_SQ_EUlSP_E0_NS1_11comp_targetILNS1_3genE5ELNS1_11target_archE942ELNS1_3gpuE9ELNS1_3repE0EEENS1_30default_config_static_selectorELNS0_4arch9wavefront6targetE1EEEvT1_.kd
    .uniform_work_group_size: 1
    .uses_dynamic_stack: false
    .vgpr_count:     0
    .vgpr_spill_count: 0
    .wavefront_size: 64
  - .agpr_count:     0
    .args:
      - .offset:         0
        .size:           40
        .value_kind:     by_value
    .group_segment_fixed_size: 3072
    .kernarg_segment_align: 8
    .kernarg_segment_size: 40
    .language:       OpenCL C
    .language_version:
      - 2
      - 0
    .max_flat_workgroup_size: 64
    .name:           _ZN7rocprim17ROCPRIM_400000_NS6detail17trampoline_kernelINS0_14default_configENS1_20scan_config_selectorIsEEZZNS1_9scan_implILNS1_25lookback_scan_determinismE0ELb0ELb0ES3_N6thrust23THRUST_200600_302600_NS6detail15normal_iteratorINS9_10device_ptrIsEEEESE_s9plus_mod3IsEsEEDaPvRmT3_T4_T5_mT6_P12ihipStream_tbENKUlT_T0_E_clISt17integral_constantIbLb1EEST_IbLb0EEEEDaSP_SQ_EUlSP_E0_NS1_11comp_targetILNS1_3genE4ELNS1_11target_archE910ELNS1_3gpuE8ELNS1_3repE0EEENS1_30default_config_static_selectorELNS0_4arch9wavefront6targetE1EEEvT1_
    .private_segment_fixed_size: 0
    .sgpr_count:     64
    .sgpr_spill_count: 0
    .symbol:         _ZN7rocprim17ROCPRIM_400000_NS6detail17trampoline_kernelINS0_14default_configENS1_20scan_config_selectorIsEEZZNS1_9scan_implILNS1_25lookback_scan_determinismE0ELb0ELb0ES3_N6thrust23THRUST_200600_302600_NS6detail15normal_iteratorINS9_10device_ptrIsEEEESE_s9plus_mod3IsEsEEDaPvRmT3_T4_T5_mT6_P12ihipStream_tbENKUlT_T0_E_clISt17integral_constantIbLb1EEST_IbLb0EEEEDaSP_SQ_EUlSP_E0_NS1_11comp_targetILNS1_3genE4ELNS1_11target_archE910ELNS1_3gpuE8ELNS1_3repE0EEENS1_30default_config_static_selectorELNS0_4arch9wavefront6targetE1EEEvT1_.kd
    .uniform_work_group_size: 1
    .uses_dynamic_stack: false
    .vgpr_count:     61
    .vgpr_spill_count: 0
    .wavefront_size: 64
  - .agpr_count:     0
    .args:
      - .offset:         0
        .size:           40
        .value_kind:     by_value
    .group_segment_fixed_size: 0
    .kernarg_segment_align: 8
    .kernarg_segment_size: 40
    .language:       OpenCL C
    .language_version:
      - 2
      - 0
    .max_flat_workgroup_size: 128
    .name:           _ZN7rocprim17ROCPRIM_400000_NS6detail17trampoline_kernelINS0_14default_configENS1_20scan_config_selectorIsEEZZNS1_9scan_implILNS1_25lookback_scan_determinismE0ELb0ELb0ES3_N6thrust23THRUST_200600_302600_NS6detail15normal_iteratorINS9_10device_ptrIsEEEESE_s9plus_mod3IsEsEEDaPvRmT3_T4_T5_mT6_P12ihipStream_tbENKUlT_T0_E_clISt17integral_constantIbLb1EEST_IbLb0EEEEDaSP_SQ_EUlSP_E0_NS1_11comp_targetILNS1_3genE3ELNS1_11target_archE908ELNS1_3gpuE7ELNS1_3repE0EEENS1_30default_config_static_selectorELNS0_4arch9wavefront6targetE1EEEvT1_
    .private_segment_fixed_size: 0
    .sgpr_count:     4
    .sgpr_spill_count: 0
    .symbol:         _ZN7rocprim17ROCPRIM_400000_NS6detail17trampoline_kernelINS0_14default_configENS1_20scan_config_selectorIsEEZZNS1_9scan_implILNS1_25lookback_scan_determinismE0ELb0ELb0ES3_N6thrust23THRUST_200600_302600_NS6detail15normal_iteratorINS9_10device_ptrIsEEEESE_s9plus_mod3IsEsEEDaPvRmT3_T4_T5_mT6_P12ihipStream_tbENKUlT_T0_E_clISt17integral_constantIbLb1EEST_IbLb0EEEEDaSP_SQ_EUlSP_E0_NS1_11comp_targetILNS1_3genE3ELNS1_11target_archE908ELNS1_3gpuE7ELNS1_3repE0EEENS1_30default_config_static_selectorELNS0_4arch9wavefront6targetE1EEEvT1_.kd
    .uniform_work_group_size: 1
    .uses_dynamic_stack: false
    .vgpr_count:     0
    .vgpr_spill_count: 0
    .wavefront_size: 64
  - .agpr_count:     0
    .args:
      - .offset:         0
        .size:           40
        .value_kind:     by_value
    .group_segment_fixed_size: 0
    .kernarg_segment_align: 8
    .kernarg_segment_size: 40
    .language:       OpenCL C
    .language_version:
      - 2
      - 0
    .max_flat_workgroup_size: 256
    .name:           _ZN7rocprim17ROCPRIM_400000_NS6detail17trampoline_kernelINS0_14default_configENS1_20scan_config_selectorIsEEZZNS1_9scan_implILNS1_25lookback_scan_determinismE0ELb0ELb0ES3_N6thrust23THRUST_200600_302600_NS6detail15normal_iteratorINS9_10device_ptrIsEEEESE_s9plus_mod3IsEsEEDaPvRmT3_T4_T5_mT6_P12ihipStream_tbENKUlT_T0_E_clISt17integral_constantIbLb1EEST_IbLb0EEEEDaSP_SQ_EUlSP_E0_NS1_11comp_targetILNS1_3genE2ELNS1_11target_archE906ELNS1_3gpuE6ELNS1_3repE0EEENS1_30default_config_static_selectorELNS0_4arch9wavefront6targetE1EEEvT1_
    .private_segment_fixed_size: 0
    .sgpr_count:     4
    .sgpr_spill_count: 0
    .symbol:         _ZN7rocprim17ROCPRIM_400000_NS6detail17trampoline_kernelINS0_14default_configENS1_20scan_config_selectorIsEEZZNS1_9scan_implILNS1_25lookback_scan_determinismE0ELb0ELb0ES3_N6thrust23THRUST_200600_302600_NS6detail15normal_iteratorINS9_10device_ptrIsEEEESE_s9plus_mod3IsEsEEDaPvRmT3_T4_T5_mT6_P12ihipStream_tbENKUlT_T0_E_clISt17integral_constantIbLb1EEST_IbLb0EEEEDaSP_SQ_EUlSP_E0_NS1_11comp_targetILNS1_3genE2ELNS1_11target_archE906ELNS1_3gpuE6ELNS1_3repE0EEENS1_30default_config_static_selectorELNS0_4arch9wavefront6targetE1EEEvT1_.kd
    .uniform_work_group_size: 1
    .uses_dynamic_stack: false
    .vgpr_count:     0
    .vgpr_spill_count: 0
    .wavefront_size: 64
  - .agpr_count:     0
    .args:
      - .offset:         0
        .size:           40
        .value_kind:     by_value
    .group_segment_fixed_size: 0
    .kernarg_segment_align: 8
    .kernarg_segment_size: 40
    .language:       OpenCL C
    .language_version:
      - 2
      - 0
    .max_flat_workgroup_size: 256
    .name:           _ZN7rocprim17ROCPRIM_400000_NS6detail17trampoline_kernelINS0_14default_configENS1_20scan_config_selectorIsEEZZNS1_9scan_implILNS1_25lookback_scan_determinismE0ELb0ELb0ES3_N6thrust23THRUST_200600_302600_NS6detail15normal_iteratorINS9_10device_ptrIsEEEESE_s9plus_mod3IsEsEEDaPvRmT3_T4_T5_mT6_P12ihipStream_tbENKUlT_T0_E_clISt17integral_constantIbLb1EEST_IbLb0EEEEDaSP_SQ_EUlSP_E0_NS1_11comp_targetILNS1_3genE10ELNS1_11target_archE1201ELNS1_3gpuE5ELNS1_3repE0EEENS1_30default_config_static_selectorELNS0_4arch9wavefront6targetE1EEEvT1_
    .private_segment_fixed_size: 0
    .sgpr_count:     4
    .sgpr_spill_count: 0
    .symbol:         _ZN7rocprim17ROCPRIM_400000_NS6detail17trampoline_kernelINS0_14default_configENS1_20scan_config_selectorIsEEZZNS1_9scan_implILNS1_25lookback_scan_determinismE0ELb0ELb0ES3_N6thrust23THRUST_200600_302600_NS6detail15normal_iteratorINS9_10device_ptrIsEEEESE_s9plus_mod3IsEsEEDaPvRmT3_T4_T5_mT6_P12ihipStream_tbENKUlT_T0_E_clISt17integral_constantIbLb1EEST_IbLb0EEEEDaSP_SQ_EUlSP_E0_NS1_11comp_targetILNS1_3genE10ELNS1_11target_archE1201ELNS1_3gpuE5ELNS1_3repE0EEENS1_30default_config_static_selectorELNS0_4arch9wavefront6targetE1EEEvT1_.kd
    .uniform_work_group_size: 1
    .uses_dynamic_stack: false
    .vgpr_count:     0
    .vgpr_spill_count: 0
    .wavefront_size: 64
  - .agpr_count:     0
    .args:
      - .offset:         0
        .size:           40
        .value_kind:     by_value
    .group_segment_fixed_size: 0
    .kernarg_segment_align: 8
    .kernarg_segment_size: 40
    .language:       OpenCL C
    .language_version:
      - 2
      - 0
    .max_flat_workgroup_size: 256
    .name:           _ZN7rocprim17ROCPRIM_400000_NS6detail17trampoline_kernelINS0_14default_configENS1_20scan_config_selectorIsEEZZNS1_9scan_implILNS1_25lookback_scan_determinismE0ELb0ELb0ES3_N6thrust23THRUST_200600_302600_NS6detail15normal_iteratorINS9_10device_ptrIsEEEESE_s9plus_mod3IsEsEEDaPvRmT3_T4_T5_mT6_P12ihipStream_tbENKUlT_T0_E_clISt17integral_constantIbLb1EEST_IbLb0EEEEDaSP_SQ_EUlSP_E0_NS1_11comp_targetILNS1_3genE10ELNS1_11target_archE1200ELNS1_3gpuE4ELNS1_3repE0EEENS1_30default_config_static_selectorELNS0_4arch9wavefront6targetE1EEEvT1_
    .private_segment_fixed_size: 0
    .sgpr_count:     4
    .sgpr_spill_count: 0
    .symbol:         _ZN7rocprim17ROCPRIM_400000_NS6detail17trampoline_kernelINS0_14default_configENS1_20scan_config_selectorIsEEZZNS1_9scan_implILNS1_25lookback_scan_determinismE0ELb0ELb0ES3_N6thrust23THRUST_200600_302600_NS6detail15normal_iteratorINS9_10device_ptrIsEEEESE_s9plus_mod3IsEsEEDaPvRmT3_T4_T5_mT6_P12ihipStream_tbENKUlT_T0_E_clISt17integral_constantIbLb1EEST_IbLb0EEEEDaSP_SQ_EUlSP_E0_NS1_11comp_targetILNS1_3genE10ELNS1_11target_archE1200ELNS1_3gpuE4ELNS1_3repE0EEENS1_30default_config_static_selectorELNS0_4arch9wavefront6targetE1EEEvT1_.kd
    .uniform_work_group_size: 1
    .uses_dynamic_stack: false
    .vgpr_count:     0
    .vgpr_spill_count: 0
    .wavefront_size: 64
  - .agpr_count:     0
    .args:
      - .offset:         0
        .size:           40
        .value_kind:     by_value
    .group_segment_fixed_size: 0
    .kernarg_segment_align: 8
    .kernarg_segment_size: 40
    .language:       OpenCL C
    .language_version:
      - 2
      - 0
    .max_flat_workgroup_size: 64
    .name:           _ZN7rocprim17ROCPRIM_400000_NS6detail17trampoline_kernelINS0_14default_configENS1_20scan_config_selectorIsEEZZNS1_9scan_implILNS1_25lookback_scan_determinismE0ELb0ELb0ES3_N6thrust23THRUST_200600_302600_NS6detail15normal_iteratorINS9_10device_ptrIsEEEESE_s9plus_mod3IsEsEEDaPvRmT3_T4_T5_mT6_P12ihipStream_tbENKUlT_T0_E_clISt17integral_constantIbLb1EEST_IbLb0EEEEDaSP_SQ_EUlSP_E0_NS1_11comp_targetILNS1_3genE9ELNS1_11target_archE1100ELNS1_3gpuE3ELNS1_3repE0EEENS1_30default_config_static_selectorELNS0_4arch9wavefront6targetE1EEEvT1_
    .private_segment_fixed_size: 0
    .sgpr_count:     4
    .sgpr_spill_count: 0
    .symbol:         _ZN7rocprim17ROCPRIM_400000_NS6detail17trampoline_kernelINS0_14default_configENS1_20scan_config_selectorIsEEZZNS1_9scan_implILNS1_25lookback_scan_determinismE0ELb0ELb0ES3_N6thrust23THRUST_200600_302600_NS6detail15normal_iteratorINS9_10device_ptrIsEEEESE_s9plus_mod3IsEsEEDaPvRmT3_T4_T5_mT6_P12ihipStream_tbENKUlT_T0_E_clISt17integral_constantIbLb1EEST_IbLb0EEEEDaSP_SQ_EUlSP_E0_NS1_11comp_targetILNS1_3genE9ELNS1_11target_archE1100ELNS1_3gpuE3ELNS1_3repE0EEENS1_30default_config_static_selectorELNS0_4arch9wavefront6targetE1EEEvT1_.kd
    .uniform_work_group_size: 1
    .uses_dynamic_stack: false
    .vgpr_count:     0
    .vgpr_spill_count: 0
    .wavefront_size: 64
  - .agpr_count:     0
    .args:
      - .offset:         0
        .size:           40
        .value_kind:     by_value
    .group_segment_fixed_size: 0
    .kernarg_segment_align: 8
    .kernarg_segment_size: 40
    .language:       OpenCL C
    .language_version:
      - 2
      - 0
    .max_flat_workgroup_size: 64
    .name:           _ZN7rocprim17ROCPRIM_400000_NS6detail17trampoline_kernelINS0_14default_configENS1_20scan_config_selectorIsEEZZNS1_9scan_implILNS1_25lookback_scan_determinismE0ELb0ELb0ES3_N6thrust23THRUST_200600_302600_NS6detail15normal_iteratorINS9_10device_ptrIsEEEESE_s9plus_mod3IsEsEEDaPvRmT3_T4_T5_mT6_P12ihipStream_tbENKUlT_T0_E_clISt17integral_constantIbLb1EEST_IbLb0EEEEDaSP_SQ_EUlSP_E0_NS1_11comp_targetILNS1_3genE8ELNS1_11target_archE1030ELNS1_3gpuE2ELNS1_3repE0EEENS1_30default_config_static_selectorELNS0_4arch9wavefront6targetE1EEEvT1_
    .private_segment_fixed_size: 0
    .sgpr_count:     4
    .sgpr_spill_count: 0
    .symbol:         _ZN7rocprim17ROCPRIM_400000_NS6detail17trampoline_kernelINS0_14default_configENS1_20scan_config_selectorIsEEZZNS1_9scan_implILNS1_25lookback_scan_determinismE0ELb0ELb0ES3_N6thrust23THRUST_200600_302600_NS6detail15normal_iteratorINS9_10device_ptrIsEEEESE_s9plus_mod3IsEsEEDaPvRmT3_T4_T5_mT6_P12ihipStream_tbENKUlT_T0_E_clISt17integral_constantIbLb1EEST_IbLb0EEEEDaSP_SQ_EUlSP_E0_NS1_11comp_targetILNS1_3genE8ELNS1_11target_archE1030ELNS1_3gpuE2ELNS1_3repE0EEENS1_30default_config_static_selectorELNS0_4arch9wavefront6targetE1EEEvT1_.kd
    .uniform_work_group_size: 1
    .uses_dynamic_stack: false
    .vgpr_count:     0
    .vgpr_spill_count: 0
    .wavefront_size: 64
  - .agpr_count:     0
    .args:
      - .offset:         0
        .size:           104
        .value_kind:     by_value
    .group_segment_fixed_size: 0
    .kernarg_segment_align: 8
    .kernarg_segment_size: 104
    .language:       OpenCL C
    .language_version:
      - 2
      - 0
    .max_flat_workgroup_size: 128
    .name:           _ZN7rocprim17ROCPRIM_400000_NS6detail17trampoline_kernelINS0_14default_configENS1_20scan_config_selectorIsEEZZNS1_9scan_implILNS1_25lookback_scan_determinismE0ELb0ELb0ES3_N6thrust23THRUST_200600_302600_NS6detail15normal_iteratorINS9_10device_ptrIsEEEESE_s9plus_mod3IsEsEEDaPvRmT3_T4_T5_mT6_P12ihipStream_tbENKUlT_T0_E_clISt17integral_constantIbLb0EEST_IbLb1EEEEDaSP_SQ_EUlSP_E_NS1_11comp_targetILNS1_3genE0ELNS1_11target_archE4294967295ELNS1_3gpuE0ELNS1_3repE0EEENS1_30default_config_static_selectorELNS0_4arch9wavefront6targetE1EEEvT1_
    .private_segment_fixed_size: 0
    .sgpr_count:     4
    .sgpr_spill_count: 0
    .symbol:         _ZN7rocprim17ROCPRIM_400000_NS6detail17trampoline_kernelINS0_14default_configENS1_20scan_config_selectorIsEEZZNS1_9scan_implILNS1_25lookback_scan_determinismE0ELb0ELb0ES3_N6thrust23THRUST_200600_302600_NS6detail15normal_iteratorINS9_10device_ptrIsEEEESE_s9plus_mod3IsEsEEDaPvRmT3_T4_T5_mT6_P12ihipStream_tbENKUlT_T0_E_clISt17integral_constantIbLb0EEST_IbLb1EEEEDaSP_SQ_EUlSP_E_NS1_11comp_targetILNS1_3genE0ELNS1_11target_archE4294967295ELNS1_3gpuE0ELNS1_3repE0EEENS1_30default_config_static_selectorELNS0_4arch9wavefront6targetE1EEEvT1_.kd
    .uniform_work_group_size: 1
    .uses_dynamic_stack: false
    .vgpr_count:     0
    .vgpr_spill_count: 0
    .wavefront_size: 64
  - .agpr_count:     0
    .args:
      - .offset:         0
        .size:           104
        .value_kind:     by_value
    .group_segment_fixed_size: 0
    .kernarg_segment_align: 8
    .kernarg_segment_size: 104
    .language:       OpenCL C
    .language_version:
      - 2
      - 0
    .max_flat_workgroup_size: 256
    .name:           _ZN7rocprim17ROCPRIM_400000_NS6detail17trampoline_kernelINS0_14default_configENS1_20scan_config_selectorIsEEZZNS1_9scan_implILNS1_25lookback_scan_determinismE0ELb0ELb0ES3_N6thrust23THRUST_200600_302600_NS6detail15normal_iteratorINS9_10device_ptrIsEEEESE_s9plus_mod3IsEsEEDaPvRmT3_T4_T5_mT6_P12ihipStream_tbENKUlT_T0_E_clISt17integral_constantIbLb0EEST_IbLb1EEEEDaSP_SQ_EUlSP_E_NS1_11comp_targetILNS1_3genE5ELNS1_11target_archE942ELNS1_3gpuE9ELNS1_3repE0EEENS1_30default_config_static_selectorELNS0_4arch9wavefront6targetE1EEEvT1_
    .private_segment_fixed_size: 0
    .sgpr_count:     4
    .sgpr_spill_count: 0
    .symbol:         _ZN7rocprim17ROCPRIM_400000_NS6detail17trampoline_kernelINS0_14default_configENS1_20scan_config_selectorIsEEZZNS1_9scan_implILNS1_25lookback_scan_determinismE0ELb0ELb0ES3_N6thrust23THRUST_200600_302600_NS6detail15normal_iteratorINS9_10device_ptrIsEEEESE_s9plus_mod3IsEsEEDaPvRmT3_T4_T5_mT6_P12ihipStream_tbENKUlT_T0_E_clISt17integral_constantIbLb0EEST_IbLb1EEEEDaSP_SQ_EUlSP_E_NS1_11comp_targetILNS1_3genE5ELNS1_11target_archE942ELNS1_3gpuE9ELNS1_3repE0EEENS1_30default_config_static_selectorELNS0_4arch9wavefront6targetE1EEEvT1_.kd
    .uniform_work_group_size: 1
    .uses_dynamic_stack: false
    .vgpr_count:     0
    .vgpr_spill_count: 0
    .wavefront_size: 64
  - .agpr_count:     0
    .args:
      - .offset:         0
        .size:           104
        .value_kind:     by_value
    .group_segment_fixed_size: 3072
    .kernarg_segment_align: 8
    .kernarg_segment_size: 104
    .language:       OpenCL C
    .language_version:
      - 2
      - 0
    .max_flat_workgroup_size: 64
    .name:           _ZN7rocprim17ROCPRIM_400000_NS6detail17trampoline_kernelINS0_14default_configENS1_20scan_config_selectorIsEEZZNS1_9scan_implILNS1_25lookback_scan_determinismE0ELb0ELb0ES3_N6thrust23THRUST_200600_302600_NS6detail15normal_iteratorINS9_10device_ptrIsEEEESE_s9plus_mod3IsEsEEDaPvRmT3_T4_T5_mT6_P12ihipStream_tbENKUlT_T0_E_clISt17integral_constantIbLb0EEST_IbLb1EEEEDaSP_SQ_EUlSP_E_NS1_11comp_targetILNS1_3genE4ELNS1_11target_archE910ELNS1_3gpuE8ELNS1_3repE0EEENS1_30default_config_static_selectorELNS0_4arch9wavefront6targetE1EEEvT1_
    .private_segment_fixed_size: 0
    .sgpr_count:     48
    .sgpr_spill_count: 0
    .symbol:         _ZN7rocprim17ROCPRIM_400000_NS6detail17trampoline_kernelINS0_14default_configENS1_20scan_config_selectorIsEEZZNS1_9scan_implILNS1_25lookback_scan_determinismE0ELb0ELb0ES3_N6thrust23THRUST_200600_302600_NS6detail15normal_iteratorINS9_10device_ptrIsEEEESE_s9plus_mod3IsEsEEDaPvRmT3_T4_T5_mT6_P12ihipStream_tbENKUlT_T0_E_clISt17integral_constantIbLb0EEST_IbLb1EEEEDaSP_SQ_EUlSP_E_NS1_11comp_targetILNS1_3genE4ELNS1_11target_archE910ELNS1_3gpuE8ELNS1_3repE0EEENS1_30default_config_static_selectorELNS0_4arch9wavefront6targetE1EEEvT1_.kd
    .uniform_work_group_size: 1
    .uses_dynamic_stack: false
    .vgpr_count:     114
    .vgpr_spill_count: 0
    .wavefront_size: 64
  - .agpr_count:     0
    .args:
      - .offset:         0
        .size:           104
        .value_kind:     by_value
    .group_segment_fixed_size: 0
    .kernarg_segment_align: 8
    .kernarg_segment_size: 104
    .language:       OpenCL C
    .language_version:
      - 2
      - 0
    .max_flat_workgroup_size: 128
    .name:           _ZN7rocprim17ROCPRIM_400000_NS6detail17trampoline_kernelINS0_14default_configENS1_20scan_config_selectorIsEEZZNS1_9scan_implILNS1_25lookback_scan_determinismE0ELb0ELb0ES3_N6thrust23THRUST_200600_302600_NS6detail15normal_iteratorINS9_10device_ptrIsEEEESE_s9plus_mod3IsEsEEDaPvRmT3_T4_T5_mT6_P12ihipStream_tbENKUlT_T0_E_clISt17integral_constantIbLb0EEST_IbLb1EEEEDaSP_SQ_EUlSP_E_NS1_11comp_targetILNS1_3genE3ELNS1_11target_archE908ELNS1_3gpuE7ELNS1_3repE0EEENS1_30default_config_static_selectorELNS0_4arch9wavefront6targetE1EEEvT1_
    .private_segment_fixed_size: 0
    .sgpr_count:     4
    .sgpr_spill_count: 0
    .symbol:         _ZN7rocprim17ROCPRIM_400000_NS6detail17trampoline_kernelINS0_14default_configENS1_20scan_config_selectorIsEEZZNS1_9scan_implILNS1_25lookback_scan_determinismE0ELb0ELb0ES3_N6thrust23THRUST_200600_302600_NS6detail15normal_iteratorINS9_10device_ptrIsEEEESE_s9plus_mod3IsEsEEDaPvRmT3_T4_T5_mT6_P12ihipStream_tbENKUlT_T0_E_clISt17integral_constantIbLb0EEST_IbLb1EEEEDaSP_SQ_EUlSP_E_NS1_11comp_targetILNS1_3genE3ELNS1_11target_archE908ELNS1_3gpuE7ELNS1_3repE0EEENS1_30default_config_static_selectorELNS0_4arch9wavefront6targetE1EEEvT1_.kd
    .uniform_work_group_size: 1
    .uses_dynamic_stack: false
    .vgpr_count:     0
    .vgpr_spill_count: 0
    .wavefront_size: 64
  - .agpr_count:     0
    .args:
      - .offset:         0
        .size:           104
        .value_kind:     by_value
    .group_segment_fixed_size: 0
    .kernarg_segment_align: 8
    .kernarg_segment_size: 104
    .language:       OpenCL C
    .language_version:
      - 2
      - 0
    .max_flat_workgroup_size: 256
    .name:           _ZN7rocprim17ROCPRIM_400000_NS6detail17trampoline_kernelINS0_14default_configENS1_20scan_config_selectorIsEEZZNS1_9scan_implILNS1_25lookback_scan_determinismE0ELb0ELb0ES3_N6thrust23THRUST_200600_302600_NS6detail15normal_iteratorINS9_10device_ptrIsEEEESE_s9plus_mod3IsEsEEDaPvRmT3_T4_T5_mT6_P12ihipStream_tbENKUlT_T0_E_clISt17integral_constantIbLb0EEST_IbLb1EEEEDaSP_SQ_EUlSP_E_NS1_11comp_targetILNS1_3genE2ELNS1_11target_archE906ELNS1_3gpuE6ELNS1_3repE0EEENS1_30default_config_static_selectorELNS0_4arch9wavefront6targetE1EEEvT1_
    .private_segment_fixed_size: 0
    .sgpr_count:     4
    .sgpr_spill_count: 0
    .symbol:         _ZN7rocprim17ROCPRIM_400000_NS6detail17trampoline_kernelINS0_14default_configENS1_20scan_config_selectorIsEEZZNS1_9scan_implILNS1_25lookback_scan_determinismE0ELb0ELb0ES3_N6thrust23THRUST_200600_302600_NS6detail15normal_iteratorINS9_10device_ptrIsEEEESE_s9plus_mod3IsEsEEDaPvRmT3_T4_T5_mT6_P12ihipStream_tbENKUlT_T0_E_clISt17integral_constantIbLb0EEST_IbLb1EEEEDaSP_SQ_EUlSP_E_NS1_11comp_targetILNS1_3genE2ELNS1_11target_archE906ELNS1_3gpuE6ELNS1_3repE0EEENS1_30default_config_static_selectorELNS0_4arch9wavefront6targetE1EEEvT1_.kd
    .uniform_work_group_size: 1
    .uses_dynamic_stack: false
    .vgpr_count:     0
    .vgpr_spill_count: 0
    .wavefront_size: 64
  - .agpr_count:     0
    .args:
      - .offset:         0
        .size:           104
        .value_kind:     by_value
    .group_segment_fixed_size: 0
    .kernarg_segment_align: 8
    .kernarg_segment_size: 104
    .language:       OpenCL C
    .language_version:
      - 2
      - 0
    .max_flat_workgroup_size: 256
    .name:           _ZN7rocprim17ROCPRIM_400000_NS6detail17trampoline_kernelINS0_14default_configENS1_20scan_config_selectorIsEEZZNS1_9scan_implILNS1_25lookback_scan_determinismE0ELb0ELb0ES3_N6thrust23THRUST_200600_302600_NS6detail15normal_iteratorINS9_10device_ptrIsEEEESE_s9plus_mod3IsEsEEDaPvRmT3_T4_T5_mT6_P12ihipStream_tbENKUlT_T0_E_clISt17integral_constantIbLb0EEST_IbLb1EEEEDaSP_SQ_EUlSP_E_NS1_11comp_targetILNS1_3genE10ELNS1_11target_archE1201ELNS1_3gpuE5ELNS1_3repE0EEENS1_30default_config_static_selectorELNS0_4arch9wavefront6targetE1EEEvT1_
    .private_segment_fixed_size: 0
    .sgpr_count:     4
    .sgpr_spill_count: 0
    .symbol:         _ZN7rocprim17ROCPRIM_400000_NS6detail17trampoline_kernelINS0_14default_configENS1_20scan_config_selectorIsEEZZNS1_9scan_implILNS1_25lookback_scan_determinismE0ELb0ELb0ES3_N6thrust23THRUST_200600_302600_NS6detail15normal_iteratorINS9_10device_ptrIsEEEESE_s9plus_mod3IsEsEEDaPvRmT3_T4_T5_mT6_P12ihipStream_tbENKUlT_T0_E_clISt17integral_constantIbLb0EEST_IbLb1EEEEDaSP_SQ_EUlSP_E_NS1_11comp_targetILNS1_3genE10ELNS1_11target_archE1201ELNS1_3gpuE5ELNS1_3repE0EEENS1_30default_config_static_selectorELNS0_4arch9wavefront6targetE1EEEvT1_.kd
    .uniform_work_group_size: 1
    .uses_dynamic_stack: false
    .vgpr_count:     0
    .vgpr_spill_count: 0
    .wavefront_size: 64
  - .agpr_count:     0
    .args:
      - .offset:         0
        .size:           104
        .value_kind:     by_value
    .group_segment_fixed_size: 0
    .kernarg_segment_align: 8
    .kernarg_segment_size: 104
    .language:       OpenCL C
    .language_version:
      - 2
      - 0
    .max_flat_workgroup_size: 256
    .name:           _ZN7rocprim17ROCPRIM_400000_NS6detail17trampoline_kernelINS0_14default_configENS1_20scan_config_selectorIsEEZZNS1_9scan_implILNS1_25lookback_scan_determinismE0ELb0ELb0ES3_N6thrust23THRUST_200600_302600_NS6detail15normal_iteratorINS9_10device_ptrIsEEEESE_s9plus_mod3IsEsEEDaPvRmT3_T4_T5_mT6_P12ihipStream_tbENKUlT_T0_E_clISt17integral_constantIbLb0EEST_IbLb1EEEEDaSP_SQ_EUlSP_E_NS1_11comp_targetILNS1_3genE10ELNS1_11target_archE1200ELNS1_3gpuE4ELNS1_3repE0EEENS1_30default_config_static_selectorELNS0_4arch9wavefront6targetE1EEEvT1_
    .private_segment_fixed_size: 0
    .sgpr_count:     4
    .sgpr_spill_count: 0
    .symbol:         _ZN7rocprim17ROCPRIM_400000_NS6detail17trampoline_kernelINS0_14default_configENS1_20scan_config_selectorIsEEZZNS1_9scan_implILNS1_25lookback_scan_determinismE0ELb0ELb0ES3_N6thrust23THRUST_200600_302600_NS6detail15normal_iteratorINS9_10device_ptrIsEEEESE_s9plus_mod3IsEsEEDaPvRmT3_T4_T5_mT6_P12ihipStream_tbENKUlT_T0_E_clISt17integral_constantIbLb0EEST_IbLb1EEEEDaSP_SQ_EUlSP_E_NS1_11comp_targetILNS1_3genE10ELNS1_11target_archE1200ELNS1_3gpuE4ELNS1_3repE0EEENS1_30default_config_static_selectorELNS0_4arch9wavefront6targetE1EEEvT1_.kd
    .uniform_work_group_size: 1
    .uses_dynamic_stack: false
    .vgpr_count:     0
    .vgpr_spill_count: 0
    .wavefront_size: 64
  - .agpr_count:     0
    .args:
      - .offset:         0
        .size:           104
        .value_kind:     by_value
    .group_segment_fixed_size: 0
    .kernarg_segment_align: 8
    .kernarg_segment_size: 104
    .language:       OpenCL C
    .language_version:
      - 2
      - 0
    .max_flat_workgroup_size: 64
    .name:           _ZN7rocprim17ROCPRIM_400000_NS6detail17trampoline_kernelINS0_14default_configENS1_20scan_config_selectorIsEEZZNS1_9scan_implILNS1_25lookback_scan_determinismE0ELb0ELb0ES3_N6thrust23THRUST_200600_302600_NS6detail15normal_iteratorINS9_10device_ptrIsEEEESE_s9plus_mod3IsEsEEDaPvRmT3_T4_T5_mT6_P12ihipStream_tbENKUlT_T0_E_clISt17integral_constantIbLb0EEST_IbLb1EEEEDaSP_SQ_EUlSP_E_NS1_11comp_targetILNS1_3genE9ELNS1_11target_archE1100ELNS1_3gpuE3ELNS1_3repE0EEENS1_30default_config_static_selectorELNS0_4arch9wavefront6targetE1EEEvT1_
    .private_segment_fixed_size: 0
    .sgpr_count:     4
    .sgpr_spill_count: 0
    .symbol:         _ZN7rocprim17ROCPRIM_400000_NS6detail17trampoline_kernelINS0_14default_configENS1_20scan_config_selectorIsEEZZNS1_9scan_implILNS1_25lookback_scan_determinismE0ELb0ELb0ES3_N6thrust23THRUST_200600_302600_NS6detail15normal_iteratorINS9_10device_ptrIsEEEESE_s9plus_mod3IsEsEEDaPvRmT3_T4_T5_mT6_P12ihipStream_tbENKUlT_T0_E_clISt17integral_constantIbLb0EEST_IbLb1EEEEDaSP_SQ_EUlSP_E_NS1_11comp_targetILNS1_3genE9ELNS1_11target_archE1100ELNS1_3gpuE3ELNS1_3repE0EEENS1_30default_config_static_selectorELNS0_4arch9wavefront6targetE1EEEvT1_.kd
    .uniform_work_group_size: 1
    .uses_dynamic_stack: false
    .vgpr_count:     0
    .vgpr_spill_count: 0
    .wavefront_size: 64
  - .agpr_count:     0
    .args:
      - .offset:         0
        .size:           104
        .value_kind:     by_value
    .group_segment_fixed_size: 0
    .kernarg_segment_align: 8
    .kernarg_segment_size: 104
    .language:       OpenCL C
    .language_version:
      - 2
      - 0
    .max_flat_workgroup_size: 64
    .name:           _ZN7rocprim17ROCPRIM_400000_NS6detail17trampoline_kernelINS0_14default_configENS1_20scan_config_selectorIsEEZZNS1_9scan_implILNS1_25lookback_scan_determinismE0ELb0ELb0ES3_N6thrust23THRUST_200600_302600_NS6detail15normal_iteratorINS9_10device_ptrIsEEEESE_s9plus_mod3IsEsEEDaPvRmT3_T4_T5_mT6_P12ihipStream_tbENKUlT_T0_E_clISt17integral_constantIbLb0EEST_IbLb1EEEEDaSP_SQ_EUlSP_E_NS1_11comp_targetILNS1_3genE8ELNS1_11target_archE1030ELNS1_3gpuE2ELNS1_3repE0EEENS1_30default_config_static_selectorELNS0_4arch9wavefront6targetE1EEEvT1_
    .private_segment_fixed_size: 0
    .sgpr_count:     4
    .sgpr_spill_count: 0
    .symbol:         _ZN7rocprim17ROCPRIM_400000_NS6detail17trampoline_kernelINS0_14default_configENS1_20scan_config_selectorIsEEZZNS1_9scan_implILNS1_25lookback_scan_determinismE0ELb0ELb0ES3_N6thrust23THRUST_200600_302600_NS6detail15normal_iteratorINS9_10device_ptrIsEEEESE_s9plus_mod3IsEsEEDaPvRmT3_T4_T5_mT6_P12ihipStream_tbENKUlT_T0_E_clISt17integral_constantIbLb0EEST_IbLb1EEEEDaSP_SQ_EUlSP_E_NS1_11comp_targetILNS1_3genE8ELNS1_11target_archE1030ELNS1_3gpuE2ELNS1_3repE0EEENS1_30default_config_static_selectorELNS0_4arch9wavefront6targetE1EEEvT1_.kd
    .uniform_work_group_size: 1
    .uses_dynamic_stack: false
    .vgpr_count:     0
    .vgpr_spill_count: 0
    .wavefront_size: 64
  - .agpr_count:     0
    .args:
      - .offset:         0
        .size:           40
        .value_kind:     by_value
    .group_segment_fixed_size: 0
    .kernarg_segment_align: 8
    .kernarg_segment_size: 40
    .language:       OpenCL C
    .language_version:
      - 2
      - 0
    .max_flat_workgroup_size: 128
    .name:           _ZN7rocprim17ROCPRIM_400000_NS6detail17trampoline_kernelINS0_14default_configENS1_20scan_config_selectorIsEEZZNS1_9scan_implILNS1_25lookback_scan_determinismE0ELb0ELb0ES3_N6thrust23THRUST_200600_302600_NS6detail15normal_iteratorINS9_10device_ptrIsEEEESE_s9plus_mod3IsEsEEDaPvRmT3_T4_T5_mT6_P12ihipStream_tbENKUlT_T0_E_clISt17integral_constantIbLb0EEST_IbLb1EEEEDaSP_SQ_EUlSP_E0_NS1_11comp_targetILNS1_3genE0ELNS1_11target_archE4294967295ELNS1_3gpuE0ELNS1_3repE0EEENS1_30default_config_static_selectorELNS0_4arch9wavefront6targetE1EEEvT1_
    .private_segment_fixed_size: 0
    .sgpr_count:     4
    .sgpr_spill_count: 0
    .symbol:         _ZN7rocprim17ROCPRIM_400000_NS6detail17trampoline_kernelINS0_14default_configENS1_20scan_config_selectorIsEEZZNS1_9scan_implILNS1_25lookback_scan_determinismE0ELb0ELb0ES3_N6thrust23THRUST_200600_302600_NS6detail15normal_iteratorINS9_10device_ptrIsEEEESE_s9plus_mod3IsEsEEDaPvRmT3_T4_T5_mT6_P12ihipStream_tbENKUlT_T0_E_clISt17integral_constantIbLb0EEST_IbLb1EEEEDaSP_SQ_EUlSP_E0_NS1_11comp_targetILNS1_3genE0ELNS1_11target_archE4294967295ELNS1_3gpuE0ELNS1_3repE0EEENS1_30default_config_static_selectorELNS0_4arch9wavefront6targetE1EEEvT1_.kd
    .uniform_work_group_size: 1
    .uses_dynamic_stack: false
    .vgpr_count:     0
    .vgpr_spill_count: 0
    .wavefront_size: 64
  - .agpr_count:     0
    .args:
      - .offset:         0
        .size:           40
        .value_kind:     by_value
    .group_segment_fixed_size: 0
    .kernarg_segment_align: 8
    .kernarg_segment_size: 40
    .language:       OpenCL C
    .language_version:
      - 2
      - 0
    .max_flat_workgroup_size: 256
    .name:           _ZN7rocprim17ROCPRIM_400000_NS6detail17trampoline_kernelINS0_14default_configENS1_20scan_config_selectorIsEEZZNS1_9scan_implILNS1_25lookback_scan_determinismE0ELb0ELb0ES3_N6thrust23THRUST_200600_302600_NS6detail15normal_iteratorINS9_10device_ptrIsEEEESE_s9plus_mod3IsEsEEDaPvRmT3_T4_T5_mT6_P12ihipStream_tbENKUlT_T0_E_clISt17integral_constantIbLb0EEST_IbLb1EEEEDaSP_SQ_EUlSP_E0_NS1_11comp_targetILNS1_3genE5ELNS1_11target_archE942ELNS1_3gpuE9ELNS1_3repE0EEENS1_30default_config_static_selectorELNS0_4arch9wavefront6targetE1EEEvT1_
    .private_segment_fixed_size: 0
    .sgpr_count:     4
    .sgpr_spill_count: 0
    .symbol:         _ZN7rocprim17ROCPRIM_400000_NS6detail17trampoline_kernelINS0_14default_configENS1_20scan_config_selectorIsEEZZNS1_9scan_implILNS1_25lookback_scan_determinismE0ELb0ELb0ES3_N6thrust23THRUST_200600_302600_NS6detail15normal_iteratorINS9_10device_ptrIsEEEESE_s9plus_mod3IsEsEEDaPvRmT3_T4_T5_mT6_P12ihipStream_tbENKUlT_T0_E_clISt17integral_constantIbLb0EEST_IbLb1EEEEDaSP_SQ_EUlSP_E0_NS1_11comp_targetILNS1_3genE5ELNS1_11target_archE942ELNS1_3gpuE9ELNS1_3repE0EEENS1_30default_config_static_selectorELNS0_4arch9wavefront6targetE1EEEvT1_.kd
    .uniform_work_group_size: 1
    .uses_dynamic_stack: false
    .vgpr_count:     0
    .vgpr_spill_count: 0
    .wavefront_size: 64
  - .agpr_count:     0
    .args:
      - .offset:         0
        .size:           40
        .value_kind:     by_value
    .group_segment_fixed_size: 3072
    .kernarg_segment_align: 8
    .kernarg_segment_size: 40
    .language:       OpenCL C
    .language_version:
      - 2
      - 0
    .max_flat_workgroup_size: 64
    .name:           _ZN7rocprim17ROCPRIM_400000_NS6detail17trampoline_kernelINS0_14default_configENS1_20scan_config_selectorIsEEZZNS1_9scan_implILNS1_25lookback_scan_determinismE0ELb0ELb0ES3_N6thrust23THRUST_200600_302600_NS6detail15normal_iteratorINS9_10device_ptrIsEEEESE_s9plus_mod3IsEsEEDaPvRmT3_T4_T5_mT6_P12ihipStream_tbENKUlT_T0_E_clISt17integral_constantIbLb0EEST_IbLb1EEEEDaSP_SQ_EUlSP_E0_NS1_11comp_targetILNS1_3genE4ELNS1_11target_archE910ELNS1_3gpuE8ELNS1_3repE0EEENS1_30default_config_static_selectorELNS0_4arch9wavefront6targetE1EEEvT1_
    .private_segment_fixed_size: 0
    .sgpr_count:     64
    .sgpr_spill_count: 0
    .symbol:         _ZN7rocprim17ROCPRIM_400000_NS6detail17trampoline_kernelINS0_14default_configENS1_20scan_config_selectorIsEEZZNS1_9scan_implILNS1_25lookback_scan_determinismE0ELb0ELb0ES3_N6thrust23THRUST_200600_302600_NS6detail15normal_iteratorINS9_10device_ptrIsEEEESE_s9plus_mod3IsEsEEDaPvRmT3_T4_T5_mT6_P12ihipStream_tbENKUlT_T0_E_clISt17integral_constantIbLb0EEST_IbLb1EEEEDaSP_SQ_EUlSP_E0_NS1_11comp_targetILNS1_3genE4ELNS1_11target_archE910ELNS1_3gpuE8ELNS1_3repE0EEENS1_30default_config_static_selectorELNS0_4arch9wavefront6targetE1EEEvT1_.kd
    .uniform_work_group_size: 1
    .uses_dynamic_stack: false
    .vgpr_count:     61
    .vgpr_spill_count: 0
    .wavefront_size: 64
  - .agpr_count:     0
    .args:
      - .offset:         0
        .size:           40
        .value_kind:     by_value
    .group_segment_fixed_size: 0
    .kernarg_segment_align: 8
    .kernarg_segment_size: 40
    .language:       OpenCL C
    .language_version:
      - 2
      - 0
    .max_flat_workgroup_size: 128
    .name:           _ZN7rocprim17ROCPRIM_400000_NS6detail17trampoline_kernelINS0_14default_configENS1_20scan_config_selectorIsEEZZNS1_9scan_implILNS1_25lookback_scan_determinismE0ELb0ELb0ES3_N6thrust23THRUST_200600_302600_NS6detail15normal_iteratorINS9_10device_ptrIsEEEESE_s9plus_mod3IsEsEEDaPvRmT3_T4_T5_mT6_P12ihipStream_tbENKUlT_T0_E_clISt17integral_constantIbLb0EEST_IbLb1EEEEDaSP_SQ_EUlSP_E0_NS1_11comp_targetILNS1_3genE3ELNS1_11target_archE908ELNS1_3gpuE7ELNS1_3repE0EEENS1_30default_config_static_selectorELNS0_4arch9wavefront6targetE1EEEvT1_
    .private_segment_fixed_size: 0
    .sgpr_count:     4
    .sgpr_spill_count: 0
    .symbol:         _ZN7rocprim17ROCPRIM_400000_NS6detail17trampoline_kernelINS0_14default_configENS1_20scan_config_selectorIsEEZZNS1_9scan_implILNS1_25lookback_scan_determinismE0ELb0ELb0ES3_N6thrust23THRUST_200600_302600_NS6detail15normal_iteratorINS9_10device_ptrIsEEEESE_s9plus_mod3IsEsEEDaPvRmT3_T4_T5_mT6_P12ihipStream_tbENKUlT_T0_E_clISt17integral_constantIbLb0EEST_IbLb1EEEEDaSP_SQ_EUlSP_E0_NS1_11comp_targetILNS1_3genE3ELNS1_11target_archE908ELNS1_3gpuE7ELNS1_3repE0EEENS1_30default_config_static_selectorELNS0_4arch9wavefront6targetE1EEEvT1_.kd
    .uniform_work_group_size: 1
    .uses_dynamic_stack: false
    .vgpr_count:     0
    .vgpr_spill_count: 0
    .wavefront_size: 64
  - .agpr_count:     0
    .args:
      - .offset:         0
        .size:           40
        .value_kind:     by_value
    .group_segment_fixed_size: 0
    .kernarg_segment_align: 8
    .kernarg_segment_size: 40
    .language:       OpenCL C
    .language_version:
      - 2
      - 0
    .max_flat_workgroup_size: 256
    .name:           _ZN7rocprim17ROCPRIM_400000_NS6detail17trampoline_kernelINS0_14default_configENS1_20scan_config_selectorIsEEZZNS1_9scan_implILNS1_25lookback_scan_determinismE0ELb0ELb0ES3_N6thrust23THRUST_200600_302600_NS6detail15normal_iteratorINS9_10device_ptrIsEEEESE_s9plus_mod3IsEsEEDaPvRmT3_T4_T5_mT6_P12ihipStream_tbENKUlT_T0_E_clISt17integral_constantIbLb0EEST_IbLb1EEEEDaSP_SQ_EUlSP_E0_NS1_11comp_targetILNS1_3genE2ELNS1_11target_archE906ELNS1_3gpuE6ELNS1_3repE0EEENS1_30default_config_static_selectorELNS0_4arch9wavefront6targetE1EEEvT1_
    .private_segment_fixed_size: 0
    .sgpr_count:     4
    .sgpr_spill_count: 0
    .symbol:         _ZN7rocprim17ROCPRIM_400000_NS6detail17trampoline_kernelINS0_14default_configENS1_20scan_config_selectorIsEEZZNS1_9scan_implILNS1_25lookback_scan_determinismE0ELb0ELb0ES3_N6thrust23THRUST_200600_302600_NS6detail15normal_iteratorINS9_10device_ptrIsEEEESE_s9plus_mod3IsEsEEDaPvRmT3_T4_T5_mT6_P12ihipStream_tbENKUlT_T0_E_clISt17integral_constantIbLb0EEST_IbLb1EEEEDaSP_SQ_EUlSP_E0_NS1_11comp_targetILNS1_3genE2ELNS1_11target_archE906ELNS1_3gpuE6ELNS1_3repE0EEENS1_30default_config_static_selectorELNS0_4arch9wavefront6targetE1EEEvT1_.kd
    .uniform_work_group_size: 1
    .uses_dynamic_stack: false
    .vgpr_count:     0
    .vgpr_spill_count: 0
    .wavefront_size: 64
  - .agpr_count:     0
    .args:
      - .offset:         0
        .size:           40
        .value_kind:     by_value
    .group_segment_fixed_size: 0
    .kernarg_segment_align: 8
    .kernarg_segment_size: 40
    .language:       OpenCL C
    .language_version:
      - 2
      - 0
    .max_flat_workgroup_size: 256
    .name:           _ZN7rocprim17ROCPRIM_400000_NS6detail17trampoline_kernelINS0_14default_configENS1_20scan_config_selectorIsEEZZNS1_9scan_implILNS1_25lookback_scan_determinismE0ELb0ELb0ES3_N6thrust23THRUST_200600_302600_NS6detail15normal_iteratorINS9_10device_ptrIsEEEESE_s9plus_mod3IsEsEEDaPvRmT3_T4_T5_mT6_P12ihipStream_tbENKUlT_T0_E_clISt17integral_constantIbLb0EEST_IbLb1EEEEDaSP_SQ_EUlSP_E0_NS1_11comp_targetILNS1_3genE10ELNS1_11target_archE1201ELNS1_3gpuE5ELNS1_3repE0EEENS1_30default_config_static_selectorELNS0_4arch9wavefront6targetE1EEEvT1_
    .private_segment_fixed_size: 0
    .sgpr_count:     4
    .sgpr_spill_count: 0
    .symbol:         _ZN7rocprim17ROCPRIM_400000_NS6detail17trampoline_kernelINS0_14default_configENS1_20scan_config_selectorIsEEZZNS1_9scan_implILNS1_25lookback_scan_determinismE0ELb0ELb0ES3_N6thrust23THRUST_200600_302600_NS6detail15normal_iteratorINS9_10device_ptrIsEEEESE_s9plus_mod3IsEsEEDaPvRmT3_T4_T5_mT6_P12ihipStream_tbENKUlT_T0_E_clISt17integral_constantIbLb0EEST_IbLb1EEEEDaSP_SQ_EUlSP_E0_NS1_11comp_targetILNS1_3genE10ELNS1_11target_archE1201ELNS1_3gpuE5ELNS1_3repE0EEENS1_30default_config_static_selectorELNS0_4arch9wavefront6targetE1EEEvT1_.kd
    .uniform_work_group_size: 1
    .uses_dynamic_stack: false
    .vgpr_count:     0
    .vgpr_spill_count: 0
    .wavefront_size: 64
  - .agpr_count:     0
    .args:
      - .offset:         0
        .size:           40
        .value_kind:     by_value
    .group_segment_fixed_size: 0
    .kernarg_segment_align: 8
    .kernarg_segment_size: 40
    .language:       OpenCL C
    .language_version:
      - 2
      - 0
    .max_flat_workgroup_size: 256
    .name:           _ZN7rocprim17ROCPRIM_400000_NS6detail17trampoline_kernelINS0_14default_configENS1_20scan_config_selectorIsEEZZNS1_9scan_implILNS1_25lookback_scan_determinismE0ELb0ELb0ES3_N6thrust23THRUST_200600_302600_NS6detail15normal_iteratorINS9_10device_ptrIsEEEESE_s9plus_mod3IsEsEEDaPvRmT3_T4_T5_mT6_P12ihipStream_tbENKUlT_T0_E_clISt17integral_constantIbLb0EEST_IbLb1EEEEDaSP_SQ_EUlSP_E0_NS1_11comp_targetILNS1_3genE10ELNS1_11target_archE1200ELNS1_3gpuE4ELNS1_3repE0EEENS1_30default_config_static_selectorELNS0_4arch9wavefront6targetE1EEEvT1_
    .private_segment_fixed_size: 0
    .sgpr_count:     4
    .sgpr_spill_count: 0
    .symbol:         _ZN7rocprim17ROCPRIM_400000_NS6detail17trampoline_kernelINS0_14default_configENS1_20scan_config_selectorIsEEZZNS1_9scan_implILNS1_25lookback_scan_determinismE0ELb0ELb0ES3_N6thrust23THRUST_200600_302600_NS6detail15normal_iteratorINS9_10device_ptrIsEEEESE_s9plus_mod3IsEsEEDaPvRmT3_T4_T5_mT6_P12ihipStream_tbENKUlT_T0_E_clISt17integral_constantIbLb0EEST_IbLb1EEEEDaSP_SQ_EUlSP_E0_NS1_11comp_targetILNS1_3genE10ELNS1_11target_archE1200ELNS1_3gpuE4ELNS1_3repE0EEENS1_30default_config_static_selectorELNS0_4arch9wavefront6targetE1EEEvT1_.kd
    .uniform_work_group_size: 1
    .uses_dynamic_stack: false
    .vgpr_count:     0
    .vgpr_spill_count: 0
    .wavefront_size: 64
  - .agpr_count:     0
    .args:
      - .offset:         0
        .size:           40
        .value_kind:     by_value
    .group_segment_fixed_size: 0
    .kernarg_segment_align: 8
    .kernarg_segment_size: 40
    .language:       OpenCL C
    .language_version:
      - 2
      - 0
    .max_flat_workgroup_size: 64
    .name:           _ZN7rocprim17ROCPRIM_400000_NS6detail17trampoline_kernelINS0_14default_configENS1_20scan_config_selectorIsEEZZNS1_9scan_implILNS1_25lookback_scan_determinismE0ELb0ELb0ES3_N6thrust23THRUST_200600_302600_NS6detail15normal_iteratorINS9_10device_ptrIsEEEESE_s9plus_mod3IsEsEEDaPvRmT3_T4_T5_mT6_P12ihipStream_tbENKUlT_T0_E_clISt17integral_constantIbLb0EEST_IbLb1EEEEDaSP_SQ_EUlSP_E0_NS1_11comp_targetILNS1_3genE9ELNS1_11target_archE1100ELNS1_3gpuE3ELNS1_3repE0EEENS1_30default_config_static_selectorELNS0_4arch9wavefront6targetE1EEEvT1_
    .private_segment_fixed_size: 0
    .sgpr_count:     4
    .sgpr_spill_count: 0
    .symbol:         _ZN7rocprim17ROCPRIM_400000_NS6detail17trampoline_kernelINS0_14default_configENS1_20scan_config_selectorIsEEZZNS1_9scan_implILNS1_25lookback_scan_determinismE0ELb0ELb0ES3_N6thrust23THRUST_200600_302600_NS6detail15normal_iteratorINS9_10device_ptrIsEEEESE_s9plus_mod3IsEsEEDaPvRmT3_T4_T5_mT6_P12ihipStream_tbENKUlT_T0_E_clISt17integral_constantIbLb0EEST_IbLb1EEEEDaSP_SQ_EUlSP_E0_NS1_11comp_targetILNS1_3genE9ELNS1_11target_archE1100ELNS1_3gpuE3ELNS1_3repE0EEENS1_30default_config_static_selectorELNS0_4arch9wavefront6targetE1EEEvT1_.kd
    .uniform_work_group_size: 1
    .uses_dynamic_stack: false
    .vgpr_count:     0
    .vgpr_spill_count: 0
    .wavefront_size: 64
  - .agpr_count:     0
    .args:
      - .offset:         0
        .size:           40
        .value_kind:     by_value
    .group_segment_fixed_size: 0
    .kernarg_segment_align: 8
    .kernarg_segment_size: 40
    .language:       OpenCL C
    .language_version:
      - 2
      - 0
    .max_flat_workgroup_size: 64
    .name:           _ZN7rocprim17ROCPRIM_400000_NS6detail17trampoline_kernelINS0_14default_configENS1_20scan_config_selectorIsEEZZNS1_9scan_implILNS1_25lookback_scan_determinismE0ELb0ELb0ES3_N6thrust23THRUST_200600_302600_NS6detail15normal_iteratorINS9_10device_ptrIsEEEESE_s9plus_mod3IsEsEEDaPvRmT3_T4_T5_mT6_P12ihipStream_tbENKUlT_T0_E_clISt17integral_constantIbLb0EEST_IbLb1EEEEDaSP_SQ_EUlSP_E0_NS1_11comp_targetILNS1_3genE8ELNS1_11target_archE1030ELNS1_3gpuE2ELNS1_3repE0EEENS1_30default_config_static_selectorELNS0_4arch9wavefront6targetE1EEEvT1_
    .private_segment_fixed_size: 0
    .sgpr_count:     4
    .sgpr_spill_count: 0
    .symbol:         _ZN7rocprim17ROCPRIM_400000_NS6detail17trampoline_kernelINS0_14default_configENS1_20scan_config_selectorIsEEZZNS1_9scan_implILNS1_25lookback_scan_determinismE0ELb0ELb0ES3_N6thrust23THRUST_200600_302600_NS6detail15normal_iteratorINS9_10device_ptrIsEEEESE_s9plus_mod3IsEsEEDaPvRmT3_T4_T5_mT6_P12ihipStream_tbENKUlT_T0_E_clISt17integral_constantIbLb0EEST_IbLb1EEEEDaSP_SQ_EUlSP_E0_NS1_11comp_targetILNS1_3genE8ELNS1_11target_archE1030ELNS1_3gpuE2ELNS1_3repE0EEENS1_30default_config_static_selectorELNS0_4arch9wavefront6targetE1EEEvT1_.kd
    .uniform_work_group_size: 1
    .uses_dynamic_stack: false
    .vgpr_count:     0
    .vgpr_spill_count: 0
    .wavefront_size: 64
  - .agpr_count:     0
    .args:
      - .offset:         0
        .size:           96
        .value_kind:     by_value
    .group_segment_fixed_size: 0
    .kernarg_segment_align: 8
    .kernarg_segment_size: 96
    .language:       OpenCL C
    .language_version:
      - 2
      - 0
    .max_flat_workgroup_size: 256
    .name:           _ZN7rocprim17ROCPRIM_400000_NS6detail17trampoline_kernelINS0_14default_configENS1_20scan_config_selectorIiEEZZNS1_9scan_implILNS1_25lookback_scan_determinismE0ELb0ELb0ES3_N6thrust23THRUST_200600_302600_NS10device_ptrIiEESB_iNS9_4plusIvEEiEEDaPvRmT3_T4_T5_mT6_P12ihipStream_tbENKUlT_T0_E_clISt17integral_constantIbLb0EESR_EEDaSM_SN_EUlSM_E_NS1_11comp_targetILNS1_3genE0ELNS1_11target_archE4294967295ELNS1_3gpuE0ELNS1_3repE0EEENS1_30default_config_static_selectorELNS0_4arch9wavefront6targetE1EEEvT1_
    .private_segment_fixed_size: 0
    .sgpr_count:     4
    .sgpr_spill_count: 0
    .symbol:         _ZN7rocprim17ROCPRIM_400000_NS6detail17trampoline_kernelINS0_14default_configENS1_20scan_config_selectorIiEEZZNS1_9scan_implILNS1_25lookback_scan_determinismE0ELb0ELb0ES3_N6thrust23THRUST_200600_302600_NS10device_ptrIiEESB_iNS9_4plusIvEEiEEDaPvRmT3_T4_T5_mT6_P12ihipStream_tbENKUlT_T0_E_clISt17integral_constantIbLb0EESR_EEDaSM_SN_EUlSM_E_NS1_11comp_targetILNS1_3genE0ELNS1_11target_archE4294967295ELNS1_3gpuE0ELNS1_3repE0EEENS1_30default_config_static_selectorELNS0_4arch9wavefront6targetE1EEEvT1_.kd
    .uniform_work_group_size: 1
    .uses_dynamic_stack: false
    .vgpr_count:     0
    .vgpr_spill_count: 0
    .wavefront_size: 64
  - .agpr_count:     0
    .args:
      - .offset:         0
        .size:           96
        .value_kind:     by_value
    .group_segment_fixed_size: 0
    .kernarg_segment_align: 8
    .kernarg_segment_size: 96
    .language:       OpenCL C
    .language_version:
      - 2
      - 0
    .max_flat_workgroup_size: 256
    .name:           _ZN7rocprim17ROCPRIM_400000_NS6detail17trampoline_kernelINS0_14default_configENS1_20scan_config_selectorIiEEZZNS1_9scan_implILNS1_25lookback_scan_determinismE0ELb0ELb0ES3_N6thrust23THRUST_200600_302600_NS10device_ptrIiEESB_iNS9_4plusIvEEiEEDaPvRmT3_T4_T5_mT6_P12ihipStream_tbENKUlT_T0_E_clISt17integral_constantIbLb0EESR_EEDaSM_SN_EUlSM_E_NS1_11comp_targetILNS1_3genE5ELNS1_11target_archE942ELNS1_3gpuE9ELNS1_3repE0EEENS1_30default_config_static_selectorELNS0_4arch9wavefront6targetE1EEEvT1_
    .private_segment_fixed_size: 0
    .sgpr_count:     4
    .sgpr_spill_count: 0
    .symbol:         _ZN7rocprim17ROCPRIM_400000_NS6detail17trampoline_kernelINS0_14default_configENS1_20scan_config_selectorIiEEZZNS1_9scan_implILNS1_25lookback_scan_determinismE0ELb0ELb0ES3_N6thrust23THRUST_200600_302600_NS10device_ptrIiEESB_iNS9_4plusIvEEiEEDaPvRmT3_T4_T5_mT6_P12ihipStream_tbENKUlT_T0_E_clISt17integral_constantIbLb0EESR_EEDaSM_SN_EUlSM_E_NS1_11comp_targetILNS1_3genE5ELNS1_11target_archE942ELNS1_3gpuE9ELNS1_3repE0EEENS1_30default_config_static_selectorELNS0_4arch9wavefront6targetE1EEEvT1_.kd
    .uniform_work_group_size: 1
    .uses_dynamic_stack: false
    .vgpr_count:     0
    .vgpr_spill_count: 0
    .wavefront_size: 64
  - .agpr_count:     0
    .args:
      - .offset:         0
        .size:           96
        .value_kind:     by_value
    .group_segment_fixed_size: 5120
    .kernarg_segment_align: 8
    .kernarg_segment_size: 96
    .language:       OpenCL C
    .language_version:
      - 2
      - 0
    .max_flat_workgroup_size: 128
    .name:           _ZN7rocprim17ROCPRIM_400000_NS6detail17trampoline_kernelINS0_14default_configENS1_20scan_config_selectorIiEEZZNS1_9scan_implILNS1_25lookback_scan_determinismE0ELb0ELb0ES3_N6thrust23THRUST_200600_302600_NS10device_ptrIiEESB_iNS9_4plusIvEEiEEDaPvRmT3_T4_T5_mT6_P12ihipStream_tbENKUlT_T0_E_clISt17integral_constantIbLb0EESR_EEDaSM_SN_EUlSM_E_NS1_11comp_targetILNS1_3genE4ELNS1_11target_archE910ELNS1_3gpuE8ELNS1_3repE0EEENS1_30default_config_static_selectorELNS0_4arch9wavefront6targetE1EEEvT1_
    .private_segment_fixed_size: 0
    .sgpr_count:     32
    .sgpr_spill_count: 0
    .symbol:         _ZN7rocprim17ROCPRIM_400000_NS6detail17trampoline_kernelINS0_14default_configENS1_20scan_config_selectorIiEEZZNS1_9scan_implILNS1_25lookback_scan_determinismE0ELb0ELb0ES3_N6thrust23THRUST_200600_302600_NS10device_ptrIiEESB_iNS9_4plusIvEEiEEDaPvRmT3_T4_T5_mT6_P12ihipStream_tbENKUlT_T0_E_clISt17integral_constantIbLb0EESR_EEDaSM_SN_EUlSM_E_NS1_11comp_targetILNS1_3genE4ELNS1_11target_archE910ELNS1_3gpuE8ELNS1_3repE0EEENS1_30default_config_static_selectorELNS0_4arch9wavefront6targetE1EEEvT1_.kd
    .uniform_work_group_size: 1
    .uses_dynamic_stack: false
    .vgpr_count:     40
    .vgpr_spill_count: 0
    .wavefront_size: 64
  - .agpr_count:     0
    .args:
      - .offset:         0
        .size:           96
        .value_kind:     by_value
    .group_segment_fixed_size: 0
    .kernarg_segment_align: 8
    .kernarg_segment_size: 96
    .language:       OpenCL C
    .language_version:
      - 2
      - 0
    .max_flat_workgroup_size: 256
    .name:           _ZN7rocprim17ROCPRIM_400000_NS6detail17trampoline_kernelINS0_14default_configENS1_20scan_config_selectorIiEEZZNS1_9scan_implILNS1_25lookback_scan_determinismE0ELb0ELb0ES3_N6thrust23THRUST_200600_302600_NS10device_ptrIiEESB_iNS9_4plusIvEEiEEDaPvRmT3_T4_T5_mT6_P12ihipStream_tbENKUlT_T0_E_clISt17integral_constantIbLb0EESR_EEDaSM_SN_EUlSM_E_NS1_11comp_targetILNS1_3genE3ELNS1_11target_archE908ELNS1_3gpuE7ELNS1_3repE0EEENS1_30default_config_static_selectorELNS0_4arch9wavefront6targetE1EEEvT1_
    .private_segment_fixed_size: 0
    .sgpr_count:     4
    .sgpr_spill_count: 0
    .symbol:         _ZN7rocprim17ROCPRIM_400000_NS6detail17trampoline_kernelINS0_14default_configENS1_20scan_config_selectorIiEEZZNS1_9scan_implILNS1_25lookback_scan_determinismE0ELb0ELb0ES3_N6thrust23THRUST_200600_302600_NS10device_ptrIiEESB_iNS9_4plusIvEEiEEDaPvRmT3_T4_T5_mT6_P12ihipStream_tbENKUlT_T0_E_clISt17integral_constantIbLb0EESR_EEDaSM_SN_EUlSM_E_NS1_11comp_targetILNS1_3genE3ELNS1_11target_archE908ELNS1_3gpuE7ELNS1_3repE0EEENS1_30default_config_static_selectorELNS0_4arch9wavefront6targetE1EEEvT1_.kd
    .uniform_work_group_size: 1
    .uses_dynamic_stack: false
    .vgpr_count:     0
    .vgpr_spill_count: 0
    .wavefront_size: 64
  - .agpr_count:     0
    .args:
      - .offset:         0
        .size:           96
        .value_kind:     by_value
    .group_segment_fixed_size: 0
    .kernarg_segment_align: 8
    .kernarg_segment_size: 96
    .language:       OpenCL C
    .language_version:
      - 2
      - 0
    .max_flat_workgroup_size: 256
    .name:           _ZN7rocprim17ROCPRIM_400000_NS6detail17trampoline_kernelINS0_14default_configENS1_20scan_config_selectorIiEEZZNS1_9scan_implILNS1_25lookback_scan_determinismE0ELb0ELb0ES3_N6thrust23THRUST_200600_302600_NS10device_ptrIiEESB_iNS9_4plusIvEEiEEDaPvRmT3_T4_T5_mT6_P12ihipStream_tbENKUlT_T0_E_clISt17integral_constantIbLb0EESR_EEDaSM_SN_EUlSM_E_NS1_11comp_targetILNS1_3genE2ELNS1_11target_archE906ELNS1_3gpuE6ELNS1_3repE0EEENS1_30default_config_static_selectorELNS0_4arch9wavefront6targetE1EEEvT1_
    .private_segment_fixed_size: 0
    .sgpr_count:     4
    .sgpr_spill_count: 0
    .symbol:         _ZN7rocprim17ROCPRIM_400000_NS6detail17trampoline_kernelINS0_14default_configENS1_20scan_config_selectorIiEEZZNS1_9scan_implILNS1_25lookback_scan_determinismE0ELb0ELb0ES3_N6thrust23THRUST_200600_302600_NS10device_ptrIiEESB_iNS9_4plusIvEEiEEDaPvRmT3_T4_T5_mT6_P12ihipStream_tbENKUlT_T0_E_clISt17integral_constantIbLb0EESR_EEDaSM_SN_EUlSM_E_NS1_11comp_targetILNS1_3genE2ELNS1_11target_archE906ELNS1_3gpuE6ELNS1_3repE0EEENS1_30default_config_static_selectorELNS0_4arch9wavefront6targetE1EEEvT1_.kd
    .uniform_work_group_size: 1
    .uses_dynamic_stack: false
    .vgpr_count:     0
    .vgpr_spill_count: 0
    .wavefront_size: 64
  - .agpr_count:     0
    .args:
      - .offset:         0
        .size:           96
        .value_kind:     by_value
    .group_segment_fixed_size: 0
    .kernarg_segment_align: 8
    .kernarg_segment_size: 96
    .language:       OpenCL C
    .language_version:
      - 2
      - 0
    .max_flat_workgroup_size: 256
    .name:           _ZN7rocprim17ROCPRIM_400000_NS6detail17trampoline_kernelINS0_14default_configENS1_20scan_config_selectorIiEEZZNS1_9scan_implILNS1_25lookback_scan_determinismE0ELb0ELb0ES3_N6thrust23THRUST_200600_302600_NS10device_ptrIiEESB_iNS9_4plusIvEEiEEDaPvRmT3_T4_T5_mT6_P12ihipStream_tbENKUlT_T0_E_clISt17integral_constantIbLb0EESR_EEDaSM_SN_EUlSM_E_NS1_11comp_targetILNS1_3genE10ELNS1_11target_archE1201ELNS1_3gpuE5ELNS1_3repE0EEENS1_30default_config_static_selectorELNS0_4arch9wavefront6targetE1EEEvT1_
    .private_segment_fixed_size: 0
    .sgpr_count:     4
    .sgpr_spill_count: 0
    .symbol:         _ZN7rocprim17ROCPRIM_400000_NS6detail17trampoline_kernelINS0_14default_configENS1_20scan_config_selectorIiEEZZNS1_9scan_implILNS1_25lookback_scan_determinismE0ELb0ELb0ES3_N6thrust23THRUST_200600_302600_NS10device_ptrIiEESB_iNS9_4plusIvEEiEEDaPvRmT3_T4_T5_mT6_P12ihipStream_tbENKUlT_T0_E_clISt17integral_constantIbLb0EESR_EEDaSM_SN_EUlSM_E_NS1_11comp_targetILNS1_3genE10ELNS1_11target_archE1201ELNS1_3gpuE5ELNS1_3repE0EEENS1_30default_config_static_selectorELNS0_4arch9wavefront6targetE1EEEvT1_.kd
    .uniform_work_group_size: 1
    .uses_dynamic_stack: false
    .vgpr_count:     0
    .vgpr_spill_count: 0
    .wavefront_size: 64
  - .agpr_count:     0
    .args:
      - .offset:         0
        .size:           96
        .value_kind:     by_value
    .group_segment_fixed_size: 0
    .kernarg_segment_align: 8
    .kernarg_segment_size: 96
    .language:       OpenCL C
    .language_version:
      - 2
      - 0
    .max_flat_workgroup_size: 256
    .name:           _ZN7rocprim17ROCPRIM_400000_NS6detail17trampoline_kernelINS0_14default_configENS1_20scan_config_selectorIiEEZZNS1_9scan_implILNS1_25lookback_scan_determinismE0ELb0ELb0ES3_N6thrust23THRUST_200600_302600_NS10device_ptrIiEESB_iNS9_4plusIvEEiEEDaPvRmT3_T4_T5_mT6_P12ihipStream_tbENKUlT_T0_E_clISt17integral_constantIbLb0EESR_EEDaSM_SN_EUlSM_E_NS1_11comp_targetILNS1_3genE10ELNS1_11target_archE1200ELNS1_3gpuE4ELNS1_3repE0EEENS1_30default_config_static_selectorELNS0_4arch9wavefront6targetE1EEEvT1_
    .private_segment_fixed_size: 0
    .sgpr_count:     4
    .sgpr_spill_count: 0
    .symbol:         _ZN7rocprim17ROCPRIM_400000_NS6detail17trampoline_kernelINS0_14default_configENS1_20scan_config_selectorIiEEZZNS1_9scan_implILNS1_25lookback_scan_determinismE0ELb0ELb0ES3_N6thrust23THRUST_200600_302600_NS10device_ptrIiEESB_iNS9_4plusIvEEiEEDaPvRmT3_T4_T5_mT6_P12ihipStream_tbENKUlT_T0_E_clISt17integral_constantIbLb0EESR_EEDaSM_SN_EUlSM_E_NS1_11comp_targetILNS1_3genE10ELNS1_11target_archE1200ELNS1_3gpuE4ELNS1_3repE0EEENS1_30default_config_static_selectorELNS0_4arch9wavefront6targetE1EEEvT1_.kd
    .uniform_work_group_size: 1
    .uses_dynamic_stack: false
    .vgpr_count:     0
    .vgpr_spill_count: 0
    .wavefront_size: 64
  - .agpr_count:     0
    .args:
      - .offset:         0
        .size:           96
        .value_kind:     by_value
    .group_segment_fixed_size: 0
    .kernarg_segment_align: 8
    .kernarg_segment_size: 96
    .language:       OpenCL C
    .language_version:
      - 2
      - 0
    .max_flat_workgroup_size: 256
    .name:           _ZN7rocprim17ROCPRIM_400000_NS6detail17trampoline_kernelINS0_14default_configENS1_20scan_config_selectorIiEEZZNS1_9scan_implILNS1_25lookback_scan_determinismE0ELb0ELb0ES3_N6thrust23THRUST_200600_302600_NS10device_ptrIiEESB_iNS9_4plusIvEEiEEDaPvRmT3_T4_T5_mT6_P12ihipStream_tbENKUlT_T0_E_clISt17integral_constantIbLb0EESR_EEDaSM_SN_EUlSM_E_NS1_11comp_targetILNS1_3genE9ELNS1_11target_archE1100ELNS1_3gpuE3ELNS1_3repE0EEENS1_30default_config_static_selectorELNS0_4arch9wavefront6targetE1EEEvT1_
    .private_segment_fixed_size: 0
    .sgpr_count:     4
    .sgpr_spill_count: 0
    .symbol:         _ZN7rocprim17ROCPRIM_400000_NS6detail17trampoline_kernelINS0_14default_configENS1_20scan_config_selectorIiEEZZNS1_9scan_implILNS1_25lookback_scan_determinismE0ELb0ELb0ES3_N6thrust23THRUST_200600_302600_NS10device_ptrIiEESB_iNS9_4plusIvEEiEEDaPvRmT3_T4_T5_mT6_P12ihipStream_tbENKUlT_T0_E_clISt17integral_constantIbLb0EESR_EEDaSM_SN_EUlSM_E_NS1_11comp_targetILNS1_3genE9ELNS1_11target_archE1100ELNS1_3gpuE3ELNS1_3repE0EEENS1_30default_config_static_selectorELNS0_4arch9wavefront6targetE1EEEvT1_.kd
    .uniform_work_group_size: 1
    .uses_dynamic_stack: false
    .vgpr_count:     0
    .vgpr_spill_count: 0
    .wavefront_size: 64
  - .agpr_count:     0
    .args:
      - .offset:         0
        .size:           96
        .value_kind:     by_value
    .group_segment_fixed_size: 0
    .kernarg_segment_align: 8
    .kernarg_segment_size: 96
    .language:       OpenCL C
    .language_version:
      - 2
      - 0
    .max_flat_workgroup_size: 64
    .name:           _ZN7rocprim17ROCPRIM_400000_NS6detail17trampoline_kernelINS0_14default_configENS1_20scan_config_selectorIiEEZZNS1_9scan_implILNS1_25lookback_scan_determinismE0ELb0ELb0ES3_N6thrust23THRUST_200600_302600_NS10device_ptrIiEESB_iNS9_4plusIvEEiEEDaPvRmT3_T4_T5_mT6_P12ihipStream_tbENKUlT_T0_E_clISt17integral_constantIbLb0EESR_EEDaSM_SN_EUlSM_E_NS1_11comp_targetILNS1_3genE8ELNS1_11target_archE1030ELNS1_3gpuE2ELNS1_3repE0EEENS1_30default_config_static_selectorELNS0_4arch9wavefront6targetE1EEEvT1_
    .private_segment_fixed_size: 0
    .sgpr_count:     4
    .sgpr_spill_count: 0
    .symbol:         _ZN7rocprim17ROCPRIM_400000_NS6detail17trampoline_kernelINS0_14default_configENS1_20scan_config_selectorIiEEZZNS1_9scan_implILNS1_25lookback_scan_determinismE0ELb0ELb0ES3_N6thrust23THRUST_200600_302600_NS10device_ptrIiEESB_iNS9_4plusIvEEiEEDaPvRmT3_T4_T5_mT6_P12ihipStream_tbENKUlT_T0_E_clISt17integral_constantIbLb0EESR_EEDaSM_SN_EUlSM_E_NS1_11comp_targetILNS1_3genE8ELNS1_11target_archE1030ELNS1_3gpuE2ELNS1_3repE0EEENS1_30default_config_static_selectorELNS0_4arch9wavefront6targetE1EEEvT1_.kd
    .uniform_work_group_size: 1
    .uses_dynamic_stack: false
    .vgpr_count:     0
    .vgpr_spill_count: 0
    .wavefront_size: 64
  - .agpr_count:     0
    .args:
      - .offset:         0
        .size:           32
        .value_kind:     by_value
    .group_segment_fixed_size: 0
    .kernarg_segment_align: 8
    .kernarg_segment_size: 32
    .language:       OpenCL C
    .language_version:
      - 2
      - 0
    .max_flat_workgroup_size: 256
    .name:           _ZN7rocprim17ROCPRIM_400000_NS6detail17trampoline_kernelINS0_14default_configENS1_20scan_config_selectorIiEEZZNS1_9scan_implILNS1_25lookback_scan_determinismE0ELb0ELb0ES3_N6thrust23THRUST_200600_302600_NS10device_ptrIiEESB_iNS9_4plusIvEEiEEDaPvRmT3_T4_T5_mT6_P12ihipStream_tbENKUlT_T0_E_clISt17integral_constantIbLb0EESR_EEDaSM_SN_EUlSM_E0_NS1_11comp_targetILNS1_3genE0ELNS1_11target_archE4294967295ELNS1_3gpuE0ELNS1_3repE0EEENS1_30default_config_static_selectorELNS0_4arch9wavefront6targetE1EEEvT1_
    .private_segment_fixed_size: 0
    .sgpr_count:     4
    .sgpr_spill_count: 0
    .symbol:         _ZN7rocprim17ROCPRIM_400000_NS6detail17trampoline_kernelINS0_14default_configENS1_20scan_config_selectorIiEEZZNS1_9scan_implILNS1_25lookback_scan_determinismE0ELb0ELb0ES3_N6thrust23THRUST_200600_302600_NS10device_ptrIiEESB_iNS9_4plusIvEEiEEDaPvRmT3_T4_T5_mT6_P12ihipStream_tbENKUlT_T0_E_clISt17integral_constantIbLb0EESR_EEDaSM_SN_EUlSM_E0_NS1_11comp_targetILNS1_3genE0ELNS1_11target_archE4294967295ELNS1_3gpuE0ELNS1_3repE0EEENS1_30default_config_static_selectorELNS0_4arch9wavefront6targetE1EEEvT1_.kd
    .uniform_work_group_size: 1
    .uses_dynamic_stack: false
    .vgpr_count:     0
    .vgpr_spill_count: 0
    .wavefront_size: 64
  - .agpr_count:     0
    .args:
      - .offset:         0
        .size:           32
        .value_kind:     by_value
    .group_segment_fixed_size: 0
    .kernarg_segment_align: 8
    .kernarg_segment_size: 32
    .language:       OpenCL C
    .language_version:
      - 2
      - 0
    .max_flat_workgroup_size: 256
    .name:           _ZN7rocprim17ROCPRIM_400000_NS6detail17trampoline_kernelINS0_14default_configENS1_20scan_config_selectorIiEEZZNS1_9scan_implILNS1_25lookback_scan_determinismE0ELb0ELb0ES3_N6thrust23THRUST_200600_302600_NS10device_ptrIiEESB_iNS9_4plusIvEEiEEDaPvRmT3_T4_T5_mT6_P12ihipStream_tbENKUlT_T0_E_clISt17integral_constantIbLb0EESR_EEDaSM_SN_EUlSM_E0_NS1_11comp_targetILNS1_3genE5ELNS1_11target_archE942ELNS1_3gpuE9ELNS1_3repE0EEENS1_30default_config_static_selectorELNS0_4arch9wavefront6targetE1EEEvT1_
    .private_segment_fixed_size: 0
    .sgpr_count:     4
    .sgpr_spill_count: 0
    .symbol:         _ZN7rocprim17ROCPRIM_400000_NS6detail17trampoline_kernelINS0_14default_configENS1_20scan_config_selectorIiEEZZNS1_9scan_implILNS1_25lookback_scan_determinismE0ELb0ELb0ES3_N6thrust23THRUST_200600_302600_NS10device_ptrIiEESB_iNS9_4plusIvEEiEEDaPvRmT3_T4_T5_mT6_P12ihipStream_tbENKUlT_T0_E_clISt17integral_constantIbLb0EESR_EEDaSM_SN_EUlSM_E0_NS1_11comp_targetILNS1_3genE5ELNS1_11target_archE942ELNS1_3gpuE9ELNS1_3repE0EEENS1_30default_config_static_selectorELNS0_4arch9wavefront6targetE1EEEvT1_.kd
    .uniform_work_group_size: 1
    .uses_dynamic_stack: false
    .vgpr_count:     0
    .vgpr_spill_count: 0
    .wavefront_size: 64
  - .agpr_count:     0
    .args:
      - .offset:         0
        .size:           32
        .value_kind:     by_value
    .group_segment_fixed_size: 5120
    .kernarg_segment_align: 8
    .kernarg_segment_size: 32
    .language:       OpenCL C
    .language_version:
      - 2
      - 0
    .max_flat_workgroup_size: 128
    .name:           _ZN7rocprim17ROCPRIM_400000_NS6detail17trampoline_kernelINS0_14default_configENS1_20scan_config_selectorIiEEZZNS1_9scan_implILNS1_25lookback_scan_determinismE0ELb0ELb0ES3_N6thrust23THRUST_200600_302600_NS10device_ptrIiEESB_iNS9_4plusIvEEiEEDaPvRmT3_T4_T5_mT6_P12ihipStream_tbENKUlT_T0_E_clISt17integral_constantIbLb0EESR_EEDaSM_SN_EUlSM_E0_NS1_11comp_targetILNS1_3genE4ELNS1_11target_archE910ELNS1_3gpuE8ELNS1_3repE0EEENS1_30default_config_static_selectorELNS0_4arch9wavefront6targetE1EEEvT1_
    .private_segment_fixed_size: 0
    .sgpr_count:     28
    .sgpr_spill_count: 0
    .symbol:         _ZN7rocprim17ROCPRIM_400000_NS6detail17trampoline_kernelINS0_14default_configENS1_20scan_config_selectorIiEEZZNS1_9scan_implILNS1_25lookback_scan_determinismE0ELb0ELb0ES3_N6thrust23THRUST_200600_302600_NS10device_ptrIiEESB_iNS9_4plusIvEEiEEDaPvRmT3_T4_T5_mT6_P12ihipStream_tbENKUlT_T0_E_clISt17integral_constantIbLb0EESR_EEDaSM_SN_EUlSM_E0_NS1_11comp_targetILNS1_3genE4ELNS1_11target_archE910ELNS1_3gpuE8ELNS1_3repE0EEENS1_30default_config_static_selectorELNS0_4arch9wavefront6targetE1EEEvT1_.kd
    .uniform_work_group_size: 1
    .uses_dynamic_stack: false
    .vgpr_count:     27
    .vgpr_spill_count: 0
    .wavefront_size: 64
  - .agpr_count:     0
    .args:
      - .offset:         0
        .size:           32
        .value_kind:     by_value
    .group_segment_fixed_size: 0
    .kernarg_segment_align: 8
    .kernarg_segment_size: 32
    .language:       OpenCL C
    .language_version:
      - 2
      - 0
    .max_flat_workgroup_size: 256
    .name:           _ZN7rocprim17ROCPRIM_400000_NS6detail17trampoline_kernelINS0_14default_configENS1_20scan_config_selectorIiEEZZNS1_9scan_implILNS1_25lookback_scan_determinismE0ELb0ELb0ES3_N6thrust23THRUST_200600_302600_NS10device_ptrIiEESB_iNS9_4plusIvEEiEEDaPvRmT3_T4_T5_mT6_P12ihipStream_tbENKUlT_T0_E_clISt17integral_constantIbLb0EESR_EEDaSM_SN_EUlSM_E0_NS1_11comp_targetILNS1_3genE3ELNS1_11target_archE908ELNS1_3gpuE7ELNS1_3repE0EEENS1_30default_config_static_selectorELNS0_4arch9wavefront6targetE1EEEvT1_
    .private_segment_fixed_size: 0
    .sgpr_count:     4
    .sgpr_spill_count: 0
    .symbol:         _ZN7rocprim17ROCPRIM_400000_NS6detail17trampoline_kernelINS0_14default_configENS1_20scan_config_selectorIiEEZZNS1_9scan_implILNS1_25lookback_scan_determinismE0ELb0ELb0ES3_N6thrust23THRUST_200600_302600_NS10device_ptrIiEESB_iNS9_4plusIvEEiEEDaPvRmT3_T4_T5_mT6_P12ihipStream_tbENKUlT_T0_E_clISt17integral_constantIbLb0EESR_EEDaSM_SN_EUlSM_E0_NS1_11comp_targetILNS1_3genE3ELNS1_11target_archE908ELNS1_3gpuE7ELNS1_3repE0EEENS1_30default_config_static_selectorELNS0_4arch9wavefront6targetE1EEEvT1_.kd
    .uniform_work_group_size: 1
    .uses_dynamic_stack: false
    .vgpr_count:     0
    .vgpr_spill_count: 0
    .wavefront_size: 64
  - .agpr_count:     0
    .args:
      - .offset:         0
        .size:           32
        .value_kind:     by_value
    .group_segment_fixed_size: 0
    .kernarg_segment_align: 8
    .kernarg_segment_size: 32
    .language:       OpenCL C
    .language_version:
      - 2
      - 0
    .max_flat_workgroup_size: 256
    .name:           _ZN7rocprim17ROCPRIM_400000_NS6detail17trampoline_kernelINS0_14default_configENS1_20scan_config_selectorIiEEZZNS1_9scan_implILNS1_25lookback_scan_determinismE0ELb0ELb0ES3_N6thrust23THRUST_200600_302600_NS10device_ptrIiEESB_iNS9_4plusIvEEiEEDaPvRmT3_T4_T5_mT6_P12ihipStream_tbENKUlT_T0_E_clISt17integral_constantIbLb0EESR_EEDaSM_SN_EUlSM_E0_NS1_11comp_targetILNS1_3genE2ELNS1_11target_archE906ELNS1_3gpuE6ELNS1_3repE0EEENS1_30default_config_static_selectorELNS0_4arch9wavefront6targetE1EEEvT1_
    .private_segment_fixed_size: 0
    .sgpr_count:     4
    .sgpr_spill_count: 0
    .symbol:         _ZN7rocprim17ROCPRIM_400000_NS6detail17trampoline_kernelINS0_14default_configENS1_20scan_config_selectorIiEEZZNS1_9scan_implILNS1_25lookback_scan_determinismE0ELb0ELb0ES3_N6thrust23THRUST_200600_302600_NS10device_ptrIiEESB_iNS9_4plusIvEEiEEDaPvRmT3_T4_T5_mT6_P12ihipStream_tbENKUlT_T0_E_clISt17integral_constantIbLb0EESR_EEDaSM_SN_EUlSM_E0_NS1_11comp_targetILNS1_3genE2ELNS1_11target_archE906ELNS1_3gpuE6ELNS1_3repE0EEENS1_30default_config_static_selectorELNS0_4arch9wavefront6targetE1EEEvT1_.kd
    .uniform_work_group_size: 1
    .uses_dynamic_stack: false
    .vgpr_count:     0
    .vgpr_spill_count: 0
    .wavefront_size: 64
  - .agpr_count:     0
    .args:
      - .offset:         0
        .size:           32
        .value_kind:     by_value
    .group_segment_fixed_size: 0
    .kernarg_segment_align: 8
    .kernarg_segment_size: 32
    .language:       OpenCL C
    .language_version:
      - 2
      - 0
    .max_flat_workgroup_size: 256
    .name:           _ZN7rocprim17ROCPRIM_400000_NS6detail17trampoline_kernelINS0_14default_configENS1_20scan_config_selectorIiEEZZNS1_9scan_implILNS1_25lookback_scan_determinismE0ELb0ELb0ES3_N6thrust23THRUST_200600_302600_NS10device_ptrIiEESB_iNS9_4plusIvEEiEEDaPvRmT3_T4_T5_mT6_P12ihipStream_tbENKUlT_T0_E_clISt17integral_constantIbLb0EESR_EEDaSM_SN_EUlSM_E0_NS1_11comp_targetILNS1_3genE10ELNS1_11target_archE1201ELNS1_3gpuE5ELNS1_3repE0EEENS1_30default_config_static_selectorELNS0_4arch9wavefront6targetE1EEEvT1_
    .private_segment_fixed_size: 0
    .sgpr_count:     4
    .sgpr_spill_count: 0
    .symbol:         _ZN7rocprim17ROCPRIM_400000_NS6detail17trampoline_kernelINS0_14default_configENS1_20scan_config_selectorIiEEZZNS1_9scan_implILNS1_25lookback_scan_determinismE0ELb0ELb0ES3_N6thrust23THRUST_200600_302600_NS10device_ptrIiEESB_iNS9_4plusIvEEiEEDaPvRmT3_T4_T5_mT6_P12ihipStream_tbENKUlT_T0_E_clISt17integral_constantIbLb0EESR_EEDaSM_SN_EUlSM_E0_NS1_11comp_targetILNS1_3genE10ELNS1_11target_archE1201ELNS1_3gpuE5ELNS1_3repE0EEENS1_30default_config_static_selectorELNS0_4arch9wavefront6targetE1EEEvT1_.kd
    .uniform_work_group_size: 1
    .uses_dynamic_stack: false
    .vgpr_count:     0
    .vgpr_spill_count: 0
    .wavefront_size: 64
  - .agpr_count:     0
    .args:
      - .offset:         0
        .size:           32
        .value_kind:     by_value
    .group_segment_fixed_size: 0
    .kernarg_segment_align: 8
    .kernarg_segment_size: 32
    .language:       OpenCL C
    .language_version:
      - 2
      - 0
    .max_flat_workgroup_size: 256
    .name:           _ZN7rocprim17ROCPRIM_400000_NS6detail17trampoline_kernelINS0_14default_configENS1_20scan_config_selectorIiEEZZNS1_9scan_implILNS1_25lookback_scan_determinismE0ELb0ELb0ES3_N6thrust23THRUST_200600_302600_NS10device_ptrIiEESB_iNS9_4plusIvEEiEEDaPvRmT3_T4_T5_mT6_P12ihipStream_tbENKUlT_T0_E_clISt17integral_constantIbLb0EESR_EEDaSM_SN_EUlSM_E0_NS1_11comp_targetILNS1_3genE10ELNS1_11target_archE1200ELNS1_3gpuE4ELNS1_3repE0EEENS1_30default_config_static_selectorELNS0_4arch9wavefront6targetE1EEEvT1_
    .private_segment_fixed_size: 0
    .sgpr_count:     4
    .sgpr_spill_count: 0
    .symbol:         _ZN7rocprim17ROCPRIM_400000_NS6detail17trampoline_kernelINS0_14default_configENS1_20scan_config_selectorIiEEZZNS1_9scan_implILNS1_25lookback_scan_determinismE0ELb0ELb0ES3_N6thrust23THRUST_200600_302600_NS10device_ptrIiEESB_iNS9_4plusIvEEiEEDaPvRmT3_T4_T5_mT6_P12ihipStream_tbENKUlT_T0_E_clISt17integral_constantIbLb0EESR_EEDaSM_SN_EUlSM_E0_NS1_11comp_targetILNS1_3genE10ELNS1_11target_archE1200ELNS1_3gpuE4ELNS1_3repE0EEENS1_30default_config_static_selectorELNS0_4arch9wavefront6targetE1EEEvT1_.kd
    .uniform_work_group_size: 1
    .uses_dynamic_stack: false
    .vgpr_count:     0
    .vgpr_spill_count: 0
    .wavefront_size: 64
  - .agpr_count:     0
    .args:
      - .offset:         0
        .size:           32
        .value_kind:     by_value
    .group_segment_fixed_size: 0
    .kernarg_segment_align: 8
    .kernarg_segment_size: 32
    .language:       OpenCL C
    .language_version:
      - 2
      - 0
    .max_flat_workgroup_size: 256
    .name:           _ZN7rocprim17ROCPRIM_400000_NS6detail17trampoline_kernelINS0_14default_configENS1_20scan_config_selectorIiEEZZNS1_9scan_implILNS1_25lookback_scan_determinismE0ELb0ELb0ES3_N6thrust23THRUST_200600_302600_NS10device_ptrIiEESB_iNS9_4plusIvEEiEEDaPvRmT3_T4_T5_mT6_P12ihipStream_tbENKUlT_T0_E_clISt17integral_constantIbLb0EESR_EEDaSM_SN_EUlSM_E0_NS1_11comp_targetILNS1_3genE9ELNS1_11target_archE1100ELNS1_3gpuE3ELNS1_3repE0EEENS1_30default_config_static_selectorELNS0_4arch9wavefront6targetE1EEEvT1_
    .private_segment_fixed_size: 0
    .sgpr_count:     4
    .sgpr_spill_count: 0
    .symbol:         _ZN7rocprim17ROCPRIM_400000_NS6detail17trampoline_kernelINS0_14default_configENS1_20scan_config_selectorIiEEZZNS1_9scan_implILNS1_25lookback_scan_determinismE0ELb0ELb0ES3_N6thrust23THRUST_200600_302600_NS10device_ptrIiEESB_iNS9_4plusIvEEiEEDaPvRmT3_T4_T5_mT6_P12ihipStream_tbENKUlT_T0_E_clISt17integral_constantIbLb0EESR_EEDaSM_SN_EUlSM_E0_NS1_11comp_targetILNS1_3genE9ELNS1_11target_archE1100ELNS1_3gpuE3ELNS1_3repE0EEENS1_30default_config_static_selectorELNS0_4arch9wavefront6targetE1EEEvT1_.kd
    .uniform_work_group_size: 1
    .uses_dynamic_stack: false
    .vgpr_count:     0
    .vgpr_spill_count: 0
    .wavefront_size: 64
  - .agpr_count:     0
    .args:
      - .offset:         0
        .size:           32
        .value_kind:     by_value
    .group_segment_fixed_size: 0
    .kernarg_segment_align: 8
    .kernarg_segment_size: 32
    .language:       OpenCL C
    .language_version:
      - 2
      - 0
    .max_flat_workgroup_size: 64
    .name:           _ZN7rocprim17ROCPRIM_400000_NS6detail17trampoline_kernelINS0_14default_configENS1_20scan_config_selectorIiEEZZNS1_9scan_implILNS1_25lookback_scan_determinismE0ELb0ELb0ES3_N6thrust23THRUST_200600_302600_NS10device_ptrIiEESB_iNS9_4plusIvEEiEEDaPvRmT3_T4_T5_mT6_P12ihipStream_tbENKUlT_T0_E_clISt17integral_constantIbLb0EESR_EEDaSM_SN_EUlSM_E0_NS1_11comp_targetILNS1_3genE8ELNS1_11target_archE1030ELNS1_3gpuE2ELNS1_3repE0EEENS1_30default_config_static_selectorELNS0_4arch9wavefront6targetE1EEEvT1_
    .private_segment_fixed_size: 0
    .sgpr_count:     4
    .sgpr_spill_count: 0
    .symbol:         _ZN7rocprim17ROCPRIM_400000_NS6detail17trampoline_kernelINS0_14default_configENS1_20scan_config_selectorIiEEZZNS1_9scan_implILNS1_25lookback_scan_determinismE0ELb0ELb0ES3_N6thrust23THRUST_200600_302600_NS10device_ptrIiEESB_iNS9_4plusIvEEiEEDaPvRmT3_T4_T5_mT6_P12ihipStream_tbENKUlT_T0_E_clISt17integral_constantIbLb0EESR_EEDaSM_SN_EUlSM_E0_NS1_11comp_targetILNS1_3genE8ELNS1_11target_archE1030ELNS1_3gpuE2ELNS1_3repE0EEENS1_30default_config_static_selectorELNS0_4arch9wavefront6targetE1EEEvT1_.kd
    .uniform_work_group_size: 1
    .uses_dynamic_stack: false
    .vgpr_count:     0
    .vgpr_spill_count: 0
    .wavefront_size: 64
  - .agpr_count:     0
    .args:
      - .offset:         0
        .size:           96
        .value_kind:     by_value
    .group_segment_fixed_size: 0
    .kernarg_segment_align: 8
    .kernarg_segment_size: 96
    .language:       OpenCL C
    .language_version:
      - 2
      - 0
    .max_flat_workgroup_size: 256
    .name:           _ZN7rocprim17ROCPRIM_400000_NS6detail17trampoline_kernelINS0_14default_configENS1_20scan_config_selectorIiEEZZNS1_9scan_implILNS1_25lookback_scan_determinismE0ELb0ELb0ES3_N6thrust23THRUST_200600_302600_NS10device_ptrIiEESB_iNS9_4plusIvEEiEEDaPvRmT3_T4_T5_mT6_P12ihipStream_tbENKUlT_T0_E_clISt17integral_constantIbLb1EESR_EEDaSM_SN_EUlSM_E_NS1_11comp_targetILNS1_3genE0ELNS1_11target_archE4294967295ELNS1_3gpuE0ELNS1_3repE0EEENS1_30default_config_static_selectorELNS0_4arch9wavefront6targetE1EEEvT1_
    .private_segment_fixed_size: 0
    .sgpr_count:     4
    .sgpr_spill_count: 0
    .symbol:         _ZN7rocprim17ROCPRIM_400000_NS6detail17trampoline_kernelINS0_14default_configENS1_20scan_config_selectorIiEEZZNS1_9scan_implILNS1_25lookback_scan_determinismE0ELb0ELb0ES3_N6thrust23THRUST_200600_302600_NS10device_ptrIiEESB_iNS9_4plusIvEEiEEDaPvRmT3_T4_T5_mT6_P12ihipStream_tbENKUlT_T0_E_clISt17integral_constantIbLb1EESR_EEDaSM_SN_EUlSM_E_NS1_11comp_targetILNS1_3genE0ELNS1_11target_archE4294967295ELNS1_3gpuE0ELNS1_3repE0EEENS1_30default_config_static_selectorELNS0_4arch9wavefront6targetE1EEEvT1_.kd
    .uniform_work_group_size: 1
    .uses_dynamic_stack: false
    .vgpr_count:     0
    .vgpr_spill_count: 0
    .wavefront_size: 64
  - .agpr_count:     0
    .args:
      - .offset:         0
        .size:           96
        .value_kind:     by_value
    .group_segment_fixed_size: 0
    .kernarg_segment_align: 8
    .kernarg_segment_size: 96
    .language:       OpenCL C
    .language_version:
      - 2
      - 0
    .max_flat_workgroup_size: 256
    .name:           _ZN7rocprim17ROCPRIM_400000_NS6detail17trampoline_kernelINS0_14default_configENS1_20scan_config_selectorIiEEZZNS1_9scan_implILNS1_25lookback_scan_determinismE0ELb0ELb0ES3_N6thrust23THRUST_200600_302600_NS10device_ptrIiEESB_iNS9_4plusIvEEiEEDaPvRmT3_T4_T5_mT6_P12ihipStream_tbENKUlT_T0_E_clISt17integral_constantIbLb1EESR_EEDaSM_SN_EUlSM_E_NS1_11comp_targetILNS1_3genE5ELNS1_11target_archE942ELNS1_3gpuE9ELNS1_3repE0EEENS1_30default_config_static_selectorELNS0_4arch9wavefront6targetE1EEEvT1_
    .private_segment_fixed_size: 0
    .sgpr_count:     4
    .sgpr_spill_count: 0
    .symbol:         _ZN7rocprim17ROCPRIM_400000_NS6detail17trampoline_kernelINS0_14default_configENS1_20scan_config_selectorIiEEZZNS1_9scan_implILNS1_25lookback_scan_determinismE0ELb0ELb0ES3_N6thrust23THRUST_200600_302600_NS10device_ptrIiEESB_iNS9_4plusIvEEiEEDaPvRmT3_T4_T5_mT6_P12ihipStream_tbENKUlT_T0_E_clISt17integral_constantIbLb1EESR_EEDaSM_SN_EUlSM_E_NS1_11comp_targetILNS1_3genE5ELNS1_11target_archE942ELNS1_3gpuE9ELNS1_3repE0EEENS1_30default_config_static_selectorELNS0_4arch9wavefront6targetE1EEEvT1_.kd
    .uniform_work_group_size: 1
    .uses_dynamic_stack: false
    .vgpr_count:     0
    .vgpr_spill_count: 0
    .wavefront_size: 64
  - .agpr_count:     0
    .args:
      - .offset:         0
        .size:           96
        .value_kind:     by_value
    .group_segment_fixed_size: 5120
    .kernarg_segment_align: 8
    .kernarg_segment_size: 96
    .language:       OpenCL C
    .language_version:
      - 2
      - 0
    .max_flat_workgroup_size: 128
    .name:           _ZN7rocprim17ROCPRIM_400000_NS6detail17trampoline_kernelINS0_14default_configENS1_20scan_config_selectorIiEEZZNS1_9scan_implILNS1_25lookback_scan_determinismE0ELb0ELb0ES3_N6thrust23THRUST_200600_302600_NS10device_ptrIiEESB_iNS9_4plusIvEEiEEDaPvRmT3_T4_T5_mT6_P12ihipStream_tbENKUlT_T0_E_clISt17integral_constantIbLb1EESR_EEDaSM_SN_EUlSM_E_NS1_11comp_targetILNS1_3genE4ELNS1_11target_archE910ELNS1_3gpuE8ELNS1_3repE0EEENS1_30default_config_static_selectorELNS0_4arch9wavefront6targetE1EEEvT1_
    .private_segment_fixed_size: 0
    .sgpr_count:     42
    .sgpr_spill_count: 0
    .symbol:         _ZN7rocprim17ROCPRIM_400000_NS6detail17trampoline_kernelINS0_14default_configENS1_20scan_config_selectorIiEEZZNS1_9scan_implILNS1_25lookback_scan_determinismE0ELb0ELb0ES3_N6thrust23THRUST_200600_302600_NS10device_ptrIiEESB_iNS9_4plusIvEEiEEDaPvRmT3_T4_T5_mT6_P12ihipStream_tbENKUlT_T0_E_clISt17integral_constantIbLb1EESR_EEDaSM_SN_EUlSM_E_NS1_11comp_targetILNS1_3genE4ELNS1_11target_archE910ELNS1_3gpuE8ELNS1_3repE0EEENS1_30default_config_static_selectorELNS0_4arch9wavefront6targetE1EEEvT1_.kd
    .uniform_work_group_size: 1
    .uses_dynamic_stack: false
    .vgpr_count:     40
    .vgpr_spill_count: 0
    .wavefront_size: 64
  - .agpr_count:     0
    .args:
      - .offset:         0
        .size:           96
        .value_kind:     by_value
    .group_segment_fixed_size: 0
    .kernarg_segment_align: 8
    .kernarg_segment_size: 96
    .language:       OpenCL C
    .language_version:
      - 2
      - 0
    .max_flat_workgroup_size: 256
    .name:           _ZN7rocprim17ROCPRIM_400000_NS6detail17trampoline_kernelINS0_14default_configENS1_20scan_config_selectorIiEEZZNS1_9scan_implILNS1_25lookback_scan_determinismE0ELb0ELb0ES3_N6thrust23THRUST_200600_302600_NS10device_ptrIiEESB_iNS9_4plusIvEEiEEDaPvRmT3_T4_T5_mT6_P12ihipStream_tbENKUlT_T0_E_clISt17integral_constantIbLb1EESR_EEDaSM_SN_EUlSM_E_NS1_11comp_targetILNS1_3genE3ELNS1_11target_archE908ELNS1_3gpuE7ELNS1_3repE0EEENS1_30default_config_static_selectorELNS0_4arch9wavefront6targetE1EEEvT1_
    .private_segment_fixed_size: 0
    .sgpr_count:     4
    .sgpr_spill_count: 0
    .symbol:         _ZN7rocprim17ROCPRIM_400000_NS6detail17trampoline_kernelINS0_14default_configENS1_20scan_config_selectorIiEEZZNS1_9scan_implILNS1_25lookback_scan_determinismE0ELb0ELb0ES3_N6thrust23THRUST_200600_302600_NS10device_ptrIiEESB_iNS9_4plusIvEEiEEDaPvRmT3_T4_T5_mT6_P12ihipStream_tbENKUlT_T0_E_clISt17integral_constantIbLb1EESR_EEDaSM_SN_EUlSM_E_NS1_11comp_targetILNS1_3genE3ELNS1_11target_archE908ELNS1_3gpuE7ELNS1_3repE0EEENS1_30default_config_static_selectorELNS0_4arch9wavefront6targetE1EEEvT1_.kd
    .uniform_work_group_size: 1
    .uses_dynamic_stack: false
    .vgpr_count:     0
    .vgpr_spill_count: 0
    .wavefront_size: 64
  - .agpr_count:     0
    .args:
      - .offset:         0
        .size:           96
        .value_kind:     by_value
    .group_segment_fixed_size: 0
    .kernarg_segment_align: 8
    .kernarg_segment_size: 96
    .language:       OpenCL C
    .language_version:
      - 2
      - 0
    .max_flat_workgroup_size: 256
    .name:           _ZN7rocprim17ROCPRIM_400000_NS6detail17trampoline_kernelINS0_14default_configENS1_20scan_config_selectorIiEEZZNS1_9scan_implILNS1_25lookback_scan_determinismE0ELb0ELb0ES3_N6thrust23THRUST_200600_302600_NS10device_ptrIiEESB_iNS9_4plusIvEEiEEDaPvRmT3_T4_T5_mT6_P12ihipStream_tbENKUlT_T0_E_clISt17integral_constantIbLb1EESR_EEDaSM_SN_EUlSM_E_NS1_11comp_targetILNS1_3genE2ELNS1_11target_archE906ELNS1_3gpuE6ELNS1_3repE0EEENS1_30default_config_static_selectorELNS0_4arch9wavefront6targetE1EEEvT1_
    .private_segment_fixed_size: 0
    .sgpr_count:     4
    .sgpr_spill_count: 0
    .symbol:         _ZN7rocprim17ROCPRIM_400000_NS6detail17trampoline_kernelINS0_14default_configENS1_20scan_config_selectorIiEEZZNS1_9scan_implILNS1_25lookback_scan_determinismE0ELb0ELb0ES3_N6thrust23THRUST_200600_302600_NS10device_ptrIiEESB_iNS9_4plusIvEEiEEDaPvRmT3_T4_T5_mT6_P12ihipStream_tbENKUlT_T0_E_clISt17integral_constantIbLb1EESR_EEDaSM_SN_EUlSM_E_NS1_11comp_targetILNS1_3genE2ELNS1_11target_archE906ELNS1_3gpuE6ELNS1_3repE0EEENS1_30default_config_static_selectorELNS0_4arch9wavefront6targetE1EEEvT1_.kd
    .uniform_work_group_size: 1
    .uses_dynamic_stack: false
    .vgpr_count:     0
    .vgpr_spill_count: 0
    .wavefront_size: 64
  - .agpr_count:     0
    .args:
      - .offset:         0
        .size:           96
        .value_kind:     by_value
    .group_segment_fixed_size: 0
    .kernarg_segment_align: 8
    .kernarg_segment_size: 96
    .language:       OpenCL C
    .language_version:
      - 2
      - 0
    .max_flat_workgroup_size: 256
    .name:           _ZN7rocprim17ROCPRIM_400000_NS6detail17trampoline_kernelINS0_14default_configENS1_20scan_config_selectorIiEEZZNS1_9scan_implILNS1_25lookback_scan_determinismE0ELb0ELb0ES3_N6thrust23THRUST_200600_302600_NS10device_ptrIiEESB_iNS9_4plusIvEEiEEDaPvRmT3_T4_T5_mT6_P12ihipStream_tbENKUlT_T0_E_clISt17integral_constantIbLb1EESR_EEDaSM_SN_EUlSM_E_NS1_11comp_targetILNS1_3genE10ELNS1_11target_archE1201ELNS1_3gpuE5ELNS1_3repE0EEENS1_30default_config_static_selectorELNS0_4arch9wavefront6targetE1EEEvT1_
    .private_segment_fixed_size: 0
    .sgpr_count:     4
    .sgpr_spill_count: 0
    .symbol:         _ZN7rocprim17ROCPRIM_400000_NS6detail17trampoline_kernelINS0_14default_configENS1_20scan_config_selectorIiEEZZNS1_9scan_implILNS1_25lookback_scan_determinismE0ELb0ELb0ES3_N6thrust23THRUST_200600_302600_NS10device_ptrIiEESB_iNS9_4plusIvEEiEEDaPvRmT3_T4_T5_mT6_P12ihipStream_tbENKUlT_T0_E_clISt17integral_constantIbLb1EESR_EEDaSM_SN_EUlSM_E_NS1_11comp_targetILNS1_3genE10ELNS1_11target_archE1201ELNS1_3gpuE5ELNS1_3repE0EEENS1_30default_config_static_selectorELNS0_4arch9wavefront6targetE1EEEvT1_.kd
    .uniform_work_group_size: 1
    .uses_dynamic_stack: false
    .vgpr_count:     0
    .vgpr_spill_count: 0
    .wavefront_size: 64
  - .agpr_count:     0
    .args:
      - .offset:         0
        .size:           96
        .value_kind:     by_value
    .group_segment_fixed_size: 0
    .kernarg_segment_align: 8
    .kernarg_segment_size: 96
    .language:       OpenCL C
    .language_version:
      - 2
      - 0
    .max_flat_workgroup_size: 256
    .name:           _ZN7rocprim17ROCPRIM_400000_NS6detail17trampoline_kernelINS0_14default_configENS1_20scan_config_selectorIiEEZZNS1_9scan_implILNS1_25lookback_scan_determinismE0ELb0ELb0ES3_N6thrust23THRUST_200600_302600_NS10device_ptrIiEESB_iNS9_4plusIvEEiEEDaPvRmT3_T4_T5_mT6_P12ihipStream_tbENKUlT_T0_E_clISt17integral_constantIbLb1EESR_EEDaSM_SN_EUlSM_E_NS1_11comp_targetILNS1_3genE10ELNS1_11target_archE1200ELNS1_3gpuE4ELNS1_3repE0EEENS1_30default_config_static_selectorELNS0_4arch9wavefront6targetE1EEEvT1_
    .private_segment_fixed_size: 0
    .sgpr_count:     4
    .sgpr_spill_count: 0
    .symbol:         _ZN7rocprim17ROCPRIM_400000_NS6detail17trampoline_kernelINS0_14default_configENS1_20scan_config_selectorIiEEZZNS1_9scan_implILNS1_25lookback_scan_determinismE0ELb0ELb0ES3_N6thrust23THRUST_200600_302600_NS10device_ptrIiEESB_iNS9_4plusIvEEiEEDaPvRmT3_T4_T5_mT6_P12ihipStream_tbENKUlT_T0_E_clISt17integral_constantIbLb1EESR_EEDaSM_SN_EUlSM_E_NS1_11comp_targetILNS1_3genE10ELNS1_11target_archE1200ELNS1_3gpuE4ELNS1_3repE0EEENS1_30default_config_static_selectorELNS0_4arch9wavefront6targetE1EEEvT1_.kd
    .uniform_work_group_size: 1
    .uses_dynamic_stack: false
    .vgpr_count:     0
    .vgpr_spill_count: 0
    .wavefront_size: 64
  - .agpr_count:     0
    .args:
      - .offset:         0
        .size:           96
        .value_kind:     by_value
    .group_segment_fixed_size: 0
    .kernarg_segment_align: 8
    .kernarg_segment_size: 96
    .language:       OpenCL C
    .language_version:
      - 2
      - 0
    .max_flat_workgroup_size: 256
    .name:           _ZN7rocprim17ROCPRIM_400000_NS6detail17trampoline_kernelINS0_14default_configENS1_20scan_config_selectorIiEEZZNS1_9scan_implILNS1_25lookback_scan_determinismE0ELb0ELb0ES3_N6thrust23THRUST_200600_302600_NS10device_ptrIiEESB_iNS9_4plusIvEEiEEDaPvRmT3_T4_T5_mT6_P12ihipStream_tbENKUlT_T0_E_clISt17integral_constantIbLb1EESR_EEDaSM_SN_EUlSM_E_NS1_11comp_targetILNS1_3genE9ELNS1_11target_archE1100ELNS1_3gpuE3ELNS1_3repE0EEENS1_30default_config_static_selectorELNS0_4arch9wavefront6targetE1EEEvT1_
    .private_segment_fixed_size: 0
    .sgpr_count:     4
    .sgpr_spill_count: 0
    .symbol:         _ZN7rocprim17ROCPRIM_400000_NS6detail17trampoline_kernelINS0_14default_configENS1_20scan_config_selectorIiEEZZNS1_9scan_implILNS1_25lookback_scan_determinismE0ELb0ELb0ES3_N6thrust23THRUST_200600_302600_NS10device_ptrIiEESB_iNS9_4plusIvEEiEEDaPvRmT3_T4_T5_mT6_P12ihipStream_tbENKUlT_T0_E_clISt17integral_constantIbLb1EESR_EEDaSM_SN_EUlSM_E_NS1_11comp_targetILNS1_3genE9ELNS1_11target_archE1100ELNS1_3gpuE3ELNS1_3repE0EEENS1_30default_config_static_selectorELNS0_4arch9wavefront6targetE1EEEvT1_.kd
    .uniform_work_group_size: 1
    .uses_dynamic_stack: false
    .vgpr_count:     0
    .vgpr_spill_count: 0
    .wavefront_size: 64
  - .agpr_count:     0
    .args:
      - .offset:         0
        .size:           96
        .value_kind:     by_value
    .group_segment_fixed_size: 0
    .kernarg_segment_align: 8
    .kernarg_segment_size: 96
    .language:       OpenCL C
    .language_version:
      - 2
      - 0
    .max_flat_workgroup_size: 64
    .name:           _ZN7rocprim17ROCPRIM_400000_NS6detail17trampoline_kernelINS0_14default_configENS1_20scan_config_selectorIiEEZZNS1_9scan_implILNS1_25lookback_scan_determinismE0ELb0ELb0ES3_N6thrust23THRUST_200600_302600_NS10device_ptrIiEESB_iNS9_4plusIvEEiEEDaPvRmT3_T4_T5_mT6_P12ihipStream_tbENKUlT_T0_E_clISt17integral_constantIbLb1EESR_EEDaSM_SN_EUlSM_E_NS1_11comp_targetILNS1_3genE8ELNS1_11target_archE1030ELNS1_3gpuE2ELNS1_3repE0EEENS1_30default_config_static_selectorELNS0_4arch9wavefront6targetE1EEEvT1_
    .private_segment_fixed_size: 0
    .sgpr_count:     4
    .sgpr_spill_count: 0
    .symbol:         _ZN7rocprim17ROCPRIM_400000_NS6detail17trampoline_kernelINS0_14default_configENS1_20scan_config_selectorIiEEZZNS1_9scan_implILNS1_25lookback_scan_determinismE0ELb0ELb0ES3_N6thrust23THRUST_200600_302600_NS10device_ptrIiEESB_iNS9_4plusIvEEiEEDaPvRmT3_T4_T5_mT6_P12ihipStream_tbENKUlT_T0_E_clISt17integral_constantIbLb1EESR_EEDaSM_SN_EUlSM_E_NS1_11comp_targetILNS1_3genE8ELNS1_11target_archE1030ELNS1_3gpuE2ELNS1_3repE0EEENS1_30default_config_static_selectorELNS0_4arch9wavefront6targetE1EEEvT1_.kd
    .uniform_work_group_size: 1
    .uses_dynamic_stack: false
    .vgpr_count:     0
    .vgpr_spill_count: 0
    .wavefront_size: 64
  - .agpr_count:     0
    .args:
      - .offset:         0
        .size:           32
        .value_kind:     by_value
    .group_segment_fixed_size: 0
    .kernarg_segment_align: 8
    .kernarg_segment_size: 32
    .language:       OpenCL C
    .language_version:
      - 2
      - 0
    .max_flat_workgroup_size: 256
    .name:           _ZN7rocprim17ROCPRIM_400000_NS6detail17trampoline_kernelINS0_14default_configENS1_20scan_config_selectorIiEEZZNS1_9scan_implILNS1_25lookback_scan_determinismE0ELb0ELb0ES3_N6thrust23THRUST_200600_302600_NS10device_ptrIiEESB_iNS9_4plusIvEEiEEDaPvRmT3_T4_T5_mT6_P12ihipStream_tbENKUlT_T0_E_clISt17integral_constantIbLb1EESR_EEDaSM_SN_EUlSM_E0_NS1_11comp_targetILNS1_3genE0ELNS1_11target_archE4294967295ELNS1_3gpuE0ELNS1_3repE0EEENS1_30default_config_static_selectorELNS0_4arch9wavefront6targetE1EEEvT1_
    .private_segment_fixed_size: 0
    .sgpr_count:     4
    .sgpr_spill_count: 0
    .symbol:         _ZN7rocprim17ROCPRIM_400000_NS6detail17trampoline_kernelINS0_14default_configENS1_20scan_config_selectorIiEEZZNS1_9scan_implILNS1_25lookback_scan_determinismE0ELb0ELb0ES3_N6thrust23THRUST_200600_302600_NS10device_ptrIiEESB_iNS9_4plusIvEEiEEDaPvRmT3_T4_T5_mT6_P12ihipStream_tbENKUlT_T0_E_clISt17integral_constantIbLb1EESR_EEDaSM_SN_EUlSM_E0_NS1_11comp_targetILNS1_3genE0ELNS1_11target_archE4294967295ELNS1_3gpuE0ELNS1_3repE0EEENS1_30default_config_static_selectorELNS0_4arch9wavefront6targetE1EEEvT1_.kd
    .uniform_work_group_size: 1
    .uses_dynamic_stack: false
    .vgpr_count:     0
    .vgpr_spill_count: 0
    .wavefront_size: 64
  - .agpr_count:     0
    .args:
      - .offset:         0
        .size:           32
        .value_kind:     by_value
    .group_segment_fixed_size: 0
    .kernarg_segment_align: 8
    .kernarg_segment_size: 32
    .language:       OpenCL C
    .language_version:
      - 2
      - 0
    .max_flat_workgroup_size: 256
    .name:           _ZN7rocprim17ROCPRIM_400000_NS6detail17trampoline_kernelINS0_14default_configENS1_20scan_config_selectorIiEEZZNS1_9scan_implILNS1_25lookback_scan_determinismE0ELb0ELb0ES3_N6thrust23THRUST_200600_302600_NS10device_ptrIiEESB_iNS9_4plusIvEEiEEDaPvRmT3_T4_T5_mT6_P12ihipStream_tbENKUlT_T0_E_clISt17integral_constantIbLb1EESR_EEDaSM_SN_EUlSM_E0_NS1_11comp_targetILNS1_3genE5ELNS1_11target_archE942ELNS1_3gpuE9ELNS1_3repE0EEENS1_30default_config_static_selectorELNS0_4arch9wavefront6targetE1EEEvT1_
    .private_segment_fixed_size: 0
    .sgpr_count:     4
    .sgpr_spill_count: 0
    .symbol:         _ZN7rocprim17ROCPRIM_400000_NS6detail17trampoline_kernelINS0_14default_configENS1_20scan_config_selectorIiEEZZNS1_9scan_implILNS1_25lookback_scan_determinismE0ELb0ELb0ES3_N6thrust23THRUST_200600_302600_NS10device_ptrIiEESB_iNS9_4plusIvEEiEEDaPvRmT3_T4_T5_mT6_P12ihipStream_tbENKUlT_T0_E_clISt17integral_constantIbLb1EESR_EEDaSM_SN_EUlSM_E0_NS1_11comp_targetILNS1_3genE5ELNS1_11target_archE942ELNS1_3gpuE9ELNS1_3repE0EEENS1_30default_config_static_selectorELNS0_4arch9wavefront6targetE1EEEvT1_.kd
    .uniform_work_group_size: 1
    .uses_dynamic_stack: false
    .vgpr_count:     0
    .vgpr_spill_count: 0
    .wavefront_size: 64
  - .agpr_count:     0
    .args:
      - .offset:         0
        .size:           32
        .value_kind:     by_value
    .group_segment_fixed_size: 5120
    .kernarg_segment_align: 8
    .kernarg_segment_size: 32
    .language:       OpenCL C
    .language_version:
      - 2
      - 0
    .max_flat_workgroup_size: 128
    .name:           _ZN7rocprim17ROCPRIM_400000_NS6detail17trampoline_kernelINS0_14default_configENS1_20scan_config_selectorIiEEZZNS1_9scan_implILNS1_25lookback_scan_determinismE0ELb0ELb0ES3_N6thrust23THRUST_200600_302600_NS10device_ptrIiEESB_iNS9_4plusIvEEiEEDaPvRmT3_T4_T5_mT6_P12ihipStream_tbENKUlT_T0_E_clISt17integral_constantIbLb1EESR_EEDaSM_SN_EUlSM_E0_NS1_11comp_targetILNS1_3genE4ELNS1_11target_archE910ELNS1_3gpuE8ELNS1_3repE0EEENS1_30default_config_static_selectorELNS0_4arch9wavefront6targetE1EEEvT1_
    .private_segment_fixed_size: 0
    .sgpr_count:     28
    .sgpr_spill_count: 0
    .symbol:         _ZN7rocprim17ROCPRIM_400000_NS6detail17trampoline_kernelINS0_14default_configENS1_20scan_config_selectorIiEEZZNS1_9scan_implILNS1_25lookback_scan_determinismE0ELb0ELb0ES3_N6thrust23THRUST_200600_302600_NS10device_ptrIiEESB_iNS9_4plusIvEEiEEDaPvRmT3_T4_T5_mT6_P12ihipStream_tbENKUlT_T0_E_clISt17integral_constantIbLb1EESR_EEDaSM_SN_EUlSM_E0_NS1_11comp_targetILNS1_3genE4ELNS1_11target_archE910ELNS1_3gpuE8ELNS1_3repE0EEENS1_30default_config_static_selectorELNS0_4arch9wavefront6targetE1EEEvT1_.kd
    .uniform_work_group_size: 1
    .uses_dynamic_stack: false
    .vgpr_count:     27
    .vgpr_spill_count: 0
    .wavefront_size: 64
  - .agpr_count:     0
    .args:
      - .offset:         0
        .size:           32
        .value_kind:     by_value
    .group_segment_fixed_size: 0
    .kernarg_segment_align: 8
    .kernarg_segment_size: 32
    .language:       OpenCL C
    .language_version:
      - 2
      - 0
    .max_flat_workgroup_size: 256
    .name:           _ZN7rocprim17ROCPRIM_400000_NS6detail17trampoline_kernelINS0_14default_configENS1_20scan_config_selectorIiEEZZNS1_9scan_implILNS1_25lookback_scan_determinismE0ELb0ELb0ES3_N6thrust23THRUST_200600_302600_NS10device_ptrIiEESB_iNS9_4plusIvEEiEEDaPvRmT3_T4_T5_mT6_P12ihipStream_tbENKUlT_T0_E_clISt17integral_constantIbLb1EESR_EEDaSM_SN_EUlSM_E0_NS1_11comp_targetILNS1_3genE3ELNS1_11target_archE908ELNS1_3gpuE7ELNS1_3repE0EEENS1_30default_config_static_selectorELNS0_4arch9wavefront6targetE1EEEvT1_
    .private_segment_fixed_size: 0
    .sgpr_count:     4
    .sgpr_spill_count: 0
    .symbol:         _ZN7rocprim17ROCPRIM_400000_NS6detail17trampoline_kernelINS0_14default_configENS1_20scan_config_selectorIiEEZZNS1_9scan_implILNS1_25lookback_scan_determinismE0ELb0ELb0ES3_N6thrust23THRUST_200600_302600_NS10device_ptrIiEESB_iNS9_4plusIvEEiEEDaPvRmT3_T4_T5_mT6_P12ihipStream_tbENKUlT_T0_E_clISt17integral_constantIbLb1EESR_EEDaSM_SN_EUlSM_E0_NS1_11comp_targetILNS1_3genE3ELNS1_11target_archE908ELNS1_3gpuE7ELNS1_3repE0EEENS1_30default_config_static_selectorELNS0_4arch9wavefront6targetE1EEEvT1_.kd
    .uniform_work_group_size: 1
    .uses_dynamic_stack: false
    .vgpr_count:     0
    .vgpr_spill_count: 0
    .wavefront_size: 64
  - .agpr_count:     0
    .args:
      - .offset:         0
        .size:           32
        .value_kind:     by_value
    .group_segment_fixed_size: 0
    .kernarg_segment_align: 8
    .kernarg_segment_size: 32
    .language:       OpenCL C
    .language_version:
      - 2
      - 0
    .max_flat_workgroup_size: 256
    .name:           _ZN7rocprim17ROCPRIM_400000_NS6detail17trampoline_kernelINS0_14default_configENS1_20scan_config_selectorIiEEZZNS1_9scan_implILNS1_25lookback_scan_determinismE0ELb0ELb0ES3_N6thrust23THRUST_200600_302600_NS10device_ptrIiEESB_iNS9_4plusIvEEiEEDaPvRmT3_T4_T5_mT6_P12ihipStream_tbENKUlT_T0_E_clISt17integral_constantIbLb1EESR_EEDaSM_SN_EUlSM_E0_NS1_11comp_targetILNS1_3genE2ELNS1_11target_archE906ELNS1_3gpuE6ELNS1_3repE0EEENS1_30default_config_static_selectorELNS0_4arch9wavefront6targetE1EEEvT1_
    .private_segment_fixed_size: 0
    .sgpr_count:     4
    .sgpr_spill_count: 0
    .symbol:         _ZN7rocprim17ROCPRIM_400000_NS6detail17trampoline_kernelINS0_14default_configENS1_20scan_config_selectorIiEEZZNS1_9scan_implILNS1_25lookback_scan_determinismE0ELb0ELb0ES3_N6thrust23THRUST_200600_302600_NS10device_ptrIiEESB_iNS9_4plusIvEEiEEDaPvRmT3_T4_T5_mT6_P12ihipStream_tbENKUlT_T0_E_clISt17integral_constantIbLb1EESR_EEDaSM_SN_EUlSM_E0_NS1_11comp_targetILNS1_3genE2ELNS1_11target_archE906ELNS1_3gpuE6ELNS1_3repE0EEENS1_30default_config_static_selectorELNS0_4arch9wavefront6targetE1EEEvT1_.kd
    .uniform_work_group_size: 1
    .uses_dynamic_stack: false
    .vgpr_count:     0
    .vgpr_spill_count: 0
    .wavefront_size: 64
  - .agpr_count:     0
    .args:
      - .offset:         0
        .size:           32
        .value_kind:     by_value
    .group_segment_fixed_size: 0
    .kernarg_segment_align: 8
    .kernarg_segment_size: 32
    .language:       OpenCL C
    .language_version:
      - 2
      - 0
    .max_flat_workgroup_size: 256
    .name:           _ZN7rocprim17ROCPRIM_400000_NS6detail17trampoline_kernelINS0_14default_configENS1_20scan_config_selectorIiEEZZNS1_9scan_implILNS1_25lookback_scan_determinismE0ELb0ELb0ES3_N6thrust23THRUST_200600_302600_NS10device_ptrIiEESB_iNS9_4plusIvEEiEEDaPvRmT3_T4_T5_mT6_P12ihipStream_tbENKUlT_T0_E_clISt17integral_constantIbLb1EESR_EEDaSM_SN_EUlSM_E0_NS1_11comp_targetILNS1_3genE10ELNS1_11target_archE1201ELNS1_3gpuE5ELNS1_3repE0EEENS1_30default_config_static_selectorELNS0_4arch9wavefront6targetE1EEEvT1_
    .private_segment_fixed_size: 0
    .sgpr_count:     4
    .sgpr_spill_count: 0
    .symbol:         _ZN7rocprim17ROCPRIM_400000_NS6detail17trampoline_kernelINS0_14default_configENS1_20scan_config_selectorIiEEZZNS1_9scan_implILNS1_25lookback_scan_determinismE0ELb0ELb0ES3_N6thrust23THRUST_200600_302600_NS10device_ptrIiEESB_iNS9_4plusIvEEiEEDaPvRmT3_T4_T5_mT6_P12ihipStream_tbENKUlT_T0_E_clISt17integral_constantIbLb1EESR_EEDaSM_SN_EUlSM_E0_NS1_11comp_targetILNS1_3genE10ELNS1_11target_archE1201ELNS1_3gpuE5ELNS1_3repE0EEENS1_30default_config_static_selectorELNS0_4arch9wavefront6targetE1EEEvT1_.kd
    .uniform_work_group_size: 1
    .uses_dynamic_stack: false
    .vgpr_count:     0
    .vgpr_spill_count: 0
    .wavefront_size: 64
  - .agpr_count:     0
    .args:
      - .offset:         0
        .size:           32
        .value_kind:     by_value
    .group_segment_fixed_size: 0
    .kernarg_segment_align: 8
    .kernarg_segment_size: 32
    .language:       OpenCL C
    .language_version:
      - 2
      - 0
    .max_flat_workgroup_size: 256
    .name:           _ZN7rocprim17ROCPRIM_400000_NS6detail17trampoline_kernelINS0_14default_configENS1_20scan_config_selectorIiEEZZNS1_9scan_implILNS1_25lookback_scan_determinismE0ELb0ELb0ES3_N6thrust23THRUST_200600_302600_NS10device_ptrIiEESB_iNS9_4plusIvEEiEEDaPvRmT3_T4_T5_mT6_P12ihipStream_tbENKUlT_T0_E_clISt17integral_constantIbLb1EESR_EEDaSM_SN_EUlSM_E0_NS1_11comp_targetILNS1_3genE10ELNS1_11target_archE1200ELNS1_3gpuE4ELNS1_3repE0EEENS1_30default_config_static_selectorELNS0_4arch9wavefront6targetE1EEEvT1_
    .private_segment_fixed_size: 0
    .sgpr_count:     4
    .sgpr_spill_count: 0
    .symbol:         _ZN7rocprim17ROCPRIM_400000_NS6detail17trampoline_kernelINS0_14default_configENS1_20scan_config_selectorIiEEZZNS1_9scan_implILNS1_25lookback_scan_determinismE0ELb0ELb0ES3_N6thrust23THRUST_200600_302600_NS10device_ptrIiEESB_iNS9_4plusIvEEiEEDaPvRmT3_T4_T5_mT6_P12ihipStream_tbENKUlT_T0_E_clISt17integral_constantIbLb1EESR_EEDaSM_SN_EUlSM_E0_NS1_11comp_targetILNS1_3genE10ELNS1_11target_archE1200ELNS1_3gpuE4ELNS1_3repE0EEENS1_30default_config_static_selectorELNS0_4arch9wavefront6targetE1EEEvT1_.kd
    .uniform_work_group_size: 1
    .uses_dynamic_stack: false
    .vgpr_count:     0
    .vgpr_spill_count: 0
    .wavefront_size: 64
  - .agpr_count:     0
    .args:
      - .offset:         0
        .size:           32
        .value_kind:     by_value
    .group_segment_fixed_size: 0
    .kernarg_segment_align: 8
    .kernarg_segment_size: 32
    .language:       OpenCL C
    .language_version:
      - 2
      - 0
    .max_flat_workgroup_size: 256
    .name:           _ZN7rocprim17ROCPRIM_400000_NS6detail17trampoline_kernelINS0_14default_configENS1_20scan_config_selectorIiEEZZNS1_9scan_implILNS1_25lookback_scan_determinismE0ELb0ELb0ES3_N6thrust23THRUST_200600_302600_NS10device_ptrIiEESB_iNS9_4plusIvEEiEEDaPvRmT3_T4_T5_mT6_P12ihipStream_tbENKUlT_T0_E_clISt17integral_constantIbLb1EESR_EEDaSM_SN_EUlSM_E0_NS1_11comp_targetILNS1_3genE9ELNS1_11target_archE1100ELNS1_3gpuE3ELNS1_3repE0EEENS1_30default_config_static_selectorELNS0_4arch9wavefront6targetE1EEEvT1_
    .private_segment_fixed_size: 0
    .sgpr_count:     4
    .sgpr_spill_count: 0
    .symbol:         _ZN7rocprim17ROCPRIM_400000_NS6detail17trampoline_kernelINS0_14default_configENS1_20scan_config_selectorIiEEZZNS1_9scan_implILNS1_25lookback_scan_determinismE0ELb0ELb0ES3_N6thrust23THRUST_200600_302600_NS10device_ptrIiEESB_iNS9_4plusIvEEiEEDaPvRmT3_T4_T5_mT6_P12ihipStream_tbENKUlT_T0_E_clISt17integral_constantIbLb1EESR_EEDaSM_SN_EUlSM_E0_NS1_11comp_targetILNS1_3genE9ELNS1_11target_archE1100ELNS1_3gpuE3ELNS1_3repE0EEENS1_30default_config_static_selectorELNS0_4arch9wavefront6targetE1EEEvT1_.kd
    .uniform_work_group_size: 1
    .uses_dynamic_stack: false
    .vgpr_count:     0
    .vgpr_spill_count: 0
    .wavefront_size: 64
  - .agpr_count:     0
    .args:
      - .offset:         0
        .size:           32
        .value_kind:     by_value
    .group_segment_fixed_size: 0
    .kernarg_segment_align: 8
    .kernarg_segment_size: 32
    .language:       OpenCL C
    .language_version:
      - 2
      - 0
    .max_flat_workgroup_size: 64
    .name:           _ZN7rocprim17ROCPRIM_400000_NS6detail17trampoline_kernelINS0_14default_configENS1_20scan_config_selectorIiEEZZNS1_9scan_implILNS1_25lookback_scan_determinismE0ELb0ELb0ES3_N6thrust23THRUST_200600_302600_NS10device_ptrIiEESB_iNS9_4plusIvEEiEEDaPvRmT3_T4_T5_mT6_P12ihipStream_tbENKUlT_T0_E_clISt17integral_constantIbLb1EESR_EEDaSM_SN_EUlSM_E0_NS1_11comp_targetILNS1_3genE8ELNS1_11target_archE1030ELNS1_3gpuE2ELNS1_3repE0EEENS1_30default_config_static_selectorELNS0_4arch9wavefront6targetE1EEEvT1_
    .private_segment_fixed_size: 0
    .sgpr_count:     4
    .sgpr_spill_count: 0
    .symbol:         _ZN7rocprim17ROCPRIM_400000_NS6detail17trampoline_kernelINS0_14default_configENS1_20scan_config_selectorIiEEZZNS1_9scan_implILNS1_25lookback_scan_determinismE0ELb0ELb0ES3_N6thrust23THRUST_200600_302600_NS10device_ptrIiEESB_iNS9_4plusIvEEiEEDaPvRmT3_T4_T5_mT6_P12ihipStream_tbENKUlT_T0_E_clISt17integral_constantIbLb1EESR_EEDaSM_SN_EUlSM_E0_NS1_11comp_targetILNS1_3genE8ELNS1_11target_archE1030ELNS1_3gpuE2ELNS1_3repE0EEENS1_30default_config_static_selectorELNS0_4arch9wavefront6targetE1EEEvT1_.kd
    .uniform_work_group_size: 1
    .uses_dynamic_stack: false
    .vgpr_count:     0
    .vgpr_spill_count: 0
    .wavefront_size: 64
  - .agpr_count:     0
    .args:
      - .offset:         0
        .size:           96
        .value_kind:     by_value
    .group_segment_fixed_size: 0
    .kernarg_segment_align: 8
    .kernarg_segment_size: 96
    .language:       OpenCL C
    .language_version:
      - 2
      - 0
    .max_flat_workgroup_size: 256
    .name:           _ZN7rocprim17ROCPRIM_400000_NS6detail17trampoline_kernelINS0_14default_configENS1_20scan_config_selectorIiEEZZNS1_9scan_implILNS1_25lookback_scan_determinismE0ELb0ELb0ES3_N6thrust23THRUST_200600_302600_NS10device_ptrIiEESB_iNS9_4plusIvEEiEEDaPvRmT3_T4_T5_mT6_P12ihipStream_tbENKUlT_T0_E_clISt17integral_constantIbLb1EESQ_IbLb0EEEEDaSM_SN_EUlSM_E_NS1_11comp_targetILNS1_3genE0ELNS1_11target_archE4294967295ELNS1_3gpuE0ELNS1_3repE0EEENS1_30default_config_static_selectorELNS0_4arch9wavefront6targetE1EEEvT1_
    .private_segment_fixed_size: 0
    .sgpr_count:     4
    .sgpr_spill_count: 0
    .symbol:         _ZN7rocprim17ROCPRIM_400000_NS6detail17trampoline_kernelINS0_14default_configENS1_20scan_config_selectorIiEEZZNS1_9scan_implILNS1_25lookback_scan_determinismE0ELb0ELb0ES3_N6thrust23THRUST_200600_302600_NS10device_ptrIiEESB_iNS9_4plusIvEEiEEDaPvRmT3_T4_T5_mT6_P12ihipStream_tbENKUlT_T0_E_clISt17integral_constantIbLb1EESQ_IbLb0EEEEDaSM_SN_EUlSM_E_NS1_11comp_targetILNS1_3genE0ELNS1_11target_archE4294967295ELNS1_3gpuE0ELNS1_3repE0EEENS1_30default_config_static_selectorELNS0_4arch9wavefront6targetE1EEEvT1_.kd
    .uniform_work_group_size: 1
    .uses_dynamic_stack: false
    .vgpr_count:     0
    .vgpr_spill_count: 0
    .wavefront_size: 64
  - .agpr_count:     0
    .args:
      - .offset:         0
        .size:           96
        .value_kind:     by_value
    .group_segment_fixed_size: 0
    .kernarg_segment_align: 8
    .kernarg_segment_size: 96
    .language:       OpenCL C
    .language_version:
      - 2
      - 0
    .max_flat_workgroup_size: 256
    .name:           _ZN7rocprim17ROCPRIM_400000_NS6detail17trampoline_kernelINS0_14default_configENS1_20scan_config_selectorIiEEZZNS1_9scan_implILNS1_25lookback_scan_determinismE0ELb0ELb0ES3_N6thrust23THRUST_200600_302600_NS10device_ptrIiEESB_iNS9_4plusIvEEiEEDaPvRmT3_T4_T5_mT6_P12ihipStream_tbENKUlT_T0_E_clISt17integral_constantIbLb1EESQ_IbLb0EEEEDaSM_SN_EUlSM_E_NS1_11comp_targetILNS1_3genE5ELNS1_11target_archE942ELNS1_3gpuE9ELNS1_3repE0EEENS1_30default_config_static_selectorELNS0_4arch9wavefront6targetE1EEEvT1_
    .private_segment_fixed_size: 0
    .sgpr_count:     4
    .sgpr_spill_count: 0
    .symbol:         _ZN7rocprim17ROCPRIM_400000_NS6detail17trampoline_kernelINS0_14default_configENS1_20scan_config_selectorIiEEZZNS1_9scan_implILNS1_25lookback_scan_determinismE0ELb0ELb0ES3_N6thrust23THRUST_200600_302600_NS10device_ptrIiEESB_iNS9_4plusIvEEiEEDaPvRmT3_T4_T5_mT6_P12ihipStream_tbENKUlT_T0_E_clISt17integral_constantIbLb1EESQ_IbLb0EEEEDaSM_SN_EUlSM_E_NS1_11comp_targetILNS1_3genE5ELNS1_11target_archE942ELNS1_3gpuE9ELNS1_3repE0EEENS1_30default_config_static_selectorELNS0_4arch9wavefront6targetE1EEEvT1_.kd
    .uniform_work_group_size: 1
    .uses_dynamic_stack: false
    .vgpr_count:     0
    .vgpr_spill_count: 0
    .wavefront_size: 64
  - .agpr_count:     0
    .args:
      - .offset:         0
        .size:           96
        .value_kind:     by_value
    .group_segment_fixed_size: 5120
    .kernarg_segment_align: 8
    .kernarg_segment_size: 96
    .language:       OpenCL C
    .language_version:
      - 2
      - 0
    .max_flat_workgroup_size: 128
    .name:           _ZN7rocprim17ROCPRIM_400000_NS6detail17trampoline_kernelINS0_14default_configENS1_20scan_config_selectorIiEEZZNS1_9scan_implILNS1_25lookback_scan_determinismE0ELb0ELb0ES3_N6thrust23THRUST_200600_302600_NS10device_ptrIiEESB_iNS9_4plusIvEEiEEDaPvRmT3_T4_T5_mT6_P12ihipStream_tbENKUlT_T0_E_clISt17integral_constantIbLb1EESQ_IbLb0EEEEDaSM_SN_EUlSM_E_NS1_11comp_targetILNS1_3genE4ELNS1_11target_archE910ELNS1_3gpuE8ELNS1_3repE0EEENS1_30default_config_static_selectorELNS0_4arch9wavefront6targetE1EEEvT1_
    .private_segment_fixed_size: 0
    .sgpr_count:     32
    .sgpr_spill_count: 0
    .symbol:         _ZN7rocprim17ROCPRIM_400000_NS6detail17trampoline_kernelINS0_14default_configENS1_20scan_config_selectorIiEEZZNS1_9scan_implILNS1_25lookback_scan_determinismE0ELb0ELb0ES3_N6thrust23THRUST_200600_302600_NS10device_ptrIiEESB_iNS9_4plusIvEEiEEDaPvRmT3_T4_T5_mT6_P12ihipStream_tbENKUlT_T0_E_clISt17integral_constantIbLb1EESQ_IbLb0EEEEDaSM_SN_EUlSM_E_NS1_11comp_targetILNS1_3genE4ELNS1_11target_archE910ELNS1_3gpuE8ELNS1_3repE0EEENS1_30default_config_static_selectorELNS0_4arch9wavefront6targetE1EEEvT1_.kd
    .uniform_work_group_size: 1
    .uses_dynamic_stack: false
    .vgpr_count:     40
    .vgpr_spill_count: 0
    .wavefront_size: 64
  - .agpr_count:     0
    .args:
      - .offset:         0
        .size:           96
        .value_kind:     by_value
    .group_segment_fixed_size: 0
    .kernarg_segment_align: 8
    .kernarg_segment_size: 96
    .language:       OpenCL C
    .language_version:
      - 2
      - 0
    .max_flat_workgroup_size: 256
    .name:           _ZN7rocprim17ROCPRIM_400000_NS6detail17trampoline_kernelINS0_14default_configENS1_20scan_config_selectorIiEEZZNS1_9scan_implILNS1_25lookback_scan_determinismE0ELb0ELb0ES3_N6thrust23THRUST_200600_302600_NS10device_ptrIiEESB_iNS9_4plusIvEEiEEDaPvRmT3_T4_T5_mT6_P12ihipStream_tbENKUlT_T0_E_clISt17integral_constantIbLb1EESQ_IbLb0EEEEDaSM_SN_EUlSM_E_NS1_11comp_targetILNS1_3genE3ELNS1_11target_archE908ELNS1_3gpuE7ELNS1_3repE0EEENS1_30default_config_static_selectorELNS0_4arch9wavefront6targetE1EEEvT1_
    .private_segment_fixed_size: 0
    .sgpr_count:     4
    .sgpr_spill_count: 0
    .symbol:         _ZN7rocprim17ROCPRIM_400000_NS6detail17trampoline_kernelINS0_14default_configENS1_20scan_config_selectorIiEEZZNS1_9scan_implILNS1_25lookback_scan_determinismE0ELb0ELb0ES3_N6thrust23THRUST_200600_302600_NS10device_ptrIiEESB_iNS9_4plusIvEEiEEDaPvRmT3_T4_T5_mT6_P12ihipStream_tbENKUlT_T0_E_clISt17integral_constantIbLb1EESQ_IbLb0EEEEDaSM_SN_EUlSM_E_NS1_11comp_targetILNS1_3genE3ELNS1_11target_archE908ELNS1_3gpuE7ELNS1_3repE0EEENS1_30default_config_static_selectorELNS0_4arch9wavefront6targetE1EEEvT1_.kd
    .uniform_work_group_size: 1
    .uses_dynamic_stack: false
    .vgpr_count:     0
    .vgpr_spill_count: 0
    .wavefront_size: 64
  - .agpr_count:     0
    .args:
      - .offset:         0
        .size:           96
        .value_kind:     by_value
    .group_segment_fixed_size: 0
    .kernarg_segment_align: 8
    .kernarg_segment_size: 96
    .language:       OpenCL C
    .language_version:
      - 2
      - 0
    .max_flat_workgroup_size: 256
    .name:           _ZN7rocprim17ROCPRIM_400000_NS6detail17trampoline_kernelINS0_14default_configENS1_20scan_config_selectorIiEEZZNS1_9scan_implILNS1_25lookback_scan_determinismE0ELb0ELb0ES3_N6thrust23THRUST_200600_302600_NS10device_ptrIiEESB_iNS9_4plusIvEEiEEDaPvRmT3_T4_T5_mT6_P12ihipStream_tbENKUlT_T0_E_clISt17integral_constantIbLb1EESQ_IbLb0EEEEDaSM_SN_EUlSM_E_NS1_11comp_targetILNS1_3genE2ELNS1_11target_archE906ELNS1_3gpuE6ELNS1_3repE0EEENS1_30default_config_static_selectorELNS0_4arch9wavefront6targetE1EEEvT1_
    .private_segment_fixed_size: 0
    .sgpr_count:     4
    .sgpr_spill_count: 0
    .symbol:         _ZN7rocprim17ROCPRIM_400000_NS6detail17trampoline_kernelINS0_14default_configENS1_20scan_config_selectorIiEEZZNS1_9scan_implILNS1_25lookback_scan_determinismE0ELb0ELb0ES3_N6thrust23THRUST_200600_302600_NS10device_ptrIiEESB_iNS9_4plusIvEEiEEDaPvRmT3_T4_T5_mT6_P12ihipStream_tbENKUlT_T0_E_clISt17integral_constantIbLb1EESQ_IbLb0EEEEDaSM_SN_EUlSM_E_NS1_11comp_targetILNS1_3genE2ELNS1_11target_archE906ELNS1_3gpuE6ELNS1_3repE0EEENS1_30default_config_static_selectorELNS0_4arch9wavefront6targetE1EEEvT1_.kd
    .uniform_work_group_size: 1
    .uses_dynamic_stack: false
    .vgpr_count:     0
    .vgpr_spill_count: 0
    .wavefront_size: 64
  - .agpr_count:     0
    .args:
      - .offset:         0
        .size:           96
        .value_kind:     by_value
    .group_segment_fixed_size: 0
    .kernarg_segment_align: 8
    .kernarg_segment_size: 96
    .language:       OpenCL C
    .language_version:
      - 2
      - 0
    .max_flat_workgroup_size: 256
    .name:           _ZN7rocprim17ROCPRIM_400000_NS6detail17trampoline_kernelINS0_14default_configENS1_20scan_config_selectorIiEEZZNS1_9scan_implILNS1_25lookback_scan_determinismE0ELb0ELb0ES3_N6thrust23THRUST_200600_302600_NS10device_ptrIiEESB_iNS9_4plusIvEEiEEDaPvRmT3_T4_T5_mT6_P12ihipStream_tbENKUlT_T0_E_clISt17integral_constantIbLb1EESQ_IbLb0EEEEDaSM_SN_EUlSM_E_NS1_11comp_targetILNS1_3genE10ELNS1_11target_archE1201ELNS1_3gpuE5ELNS1_3repE0EEENS1_30default_config_static_selectorELNS0_4arch9wavefront6targetE1EEEvT1_
    .private_segment_fixed_size: 0
    .sgpr_count:     4
    .sgpr_spill_count: 0
    .symbol:         _ZN7rocprim17ROCPRIM_400000_NS6detail17trampoline_kernelINS0_14default_configENS1_20scan_config_selectorIiEEZZNS1_9scan_implILNS1_25lookback_scan_determinismE0ELb0ELb0ES3_N6thrust23THRUST_200600_302600_NS10device_ptrIiEESB_iNS9_4plusIvEEiEEDaPvRmT3_T4_T5_mT6_P12ihipStream_tbENKUlT_T0_E_clISt17integral_constantIbLb1EESQ_IbLb0EEEEDaSM_SN_EUlSM_E_NS1_11comp_targetILNS1_3genE10ELNS1_11target_archE1201ELNS1_3gpuE5ELNS1_3repE0EEENS1_30default_config_static_selectorELNS0_4arch9wavefront6targetE1EEEvT1_.kd
    .uniform_work_group_size: 1
    .uses_dynamic_stack: false
    .vgpr_count:     0
    .vgpr_spill_count: 0
    .wavefront_size: 64
  - .agpr_count:     0
    .args:
      - .offset:         0
        .size:           96
        .value_kind:     by_value
    .group_segment_fixed_size: 0
    .kernarg_segment_align: 8
    .kernarg_segment_size: 96
    .language:       OpenCL C
    .language_version:
      - 2
      - 0
    .max_flat_workgroup_size: 256
    .name:           _ZN7rocprim17ROCPRIM_400000_NS6detail17trampoline_kernelINS0_14default_configENS1_20scan_config_selectorIiEEZZNS1_9scan_implILNS1_25lookback_scan_determinismE0ELb0ELb0ES3_N6thrust23THRUST_200600_302600_NS10device_ptrIiEESB_iNS9_4plusIvEEiEEDaPvRmT3_T4_T5_mT6_P12ihipStream_tbENKUlT_T0_E_clISt17integral_constantIbLb1EESQ_IbLb0EEEEDaSM_SN_EUlSM_E_NS1_11comp_targetILNS1_3genE10ELNS1_11target_archE1200ELNS1_3gpuE4ELNS1_3repE0EEENS1_30default_config_static_selectorELNS0_4arch9wavefront6targetE1EEEvT1_
    .private_segment_fixed_size: 0
    .sgpr_count:     4
    .sgpr_spill_count: 0
    .symbol:         _ZN7rocprim17ROCPRIM_400000_NS6detail17trampoline_kernelINS0_14default_configENS1_20scan_config_selectorIiEEZZNS1_9scan_implILNS1_25lookback_scan_determinismE0ELb0ELb0ES3_N6thrust23THRUST_200600_302600_NS10device_ptrIiEESB_iNS9_4plusIvEEiEEDaPvRmT3_T4_T5_mT6_P12ihipStream_tbENKUlT_T0_E_clISt17integral_constantIbLb1EESQ_IbLb0EEEEDaSM_SN_EUlSM_E_NS1_11comp_targetILNS1_3genE10ELNS1_11target_archE1200ELNS1_3gpuE4ELNS1_3repE0EEENS1_30default_config_static_selectorELNS0_4arch9wavefront6targetE1EEEvT1_.kd
    .uniform_work_group_size: 1
    .uses_dynamic_stack: false
    .vgpr_count:     0
    .vgpr_spill_count: 0
    .wavefront_size: 64
  - .agpr_count:     0
    .args:
      - .offset:         0
        .size:           96
        .value_kind:     by_value
    .group_segment_fixed_size: 0
    .kernarg_segment_align: 8
    .kernarg_segment_size: 96
    .language:       OpenCL C
    .language_version:
      - 2
      - 0
    .max_flat_workgroup_size: 256
    .name:           _ZN7rocprim17ROCPRIM_400000_NS6detail17trampoline_kernelINS0_14default_configENS1_20scan_config_selectorIiEEZZNS1_9scan_implILNS1_25lookback_scan_determinismE0ELb0ELb0ES3_N6thrust23THRUST_200600_302600_NS10device_ptrIiEESB_iNS9_4plusIvEEiEEDaPvRmT3_T4_T5_mT6_P12ihipStream_tbENKUlT_T0_E_clISt17integral_constantIbLb1EESQ_IbLb0EEEEDaSM_SN_EUlSM_E_NS1_11comp_targetILNS1_3genE9ELNS1_11target_archE1100ELNS1_3gpuE3ELNS1_3repE0EEENS1_30default_config_static_selectorELNS0_4arch9wavefront6targetE1EEEvT1_
    .private_segment_fixed_size: 0
    .sgpr_count:     4
    .sgpr_spill_count: 0
    .symbol:         _ZN7rocprim17ROCPRIM_400000_NS6detail17trampoline_kernelINS0_14default_configENS1_20scan_config_selectorIiEEZZNS1_9scan_implILNS1_25lookback_scan_determinismE0ELb0ELb0ES3_N6thrust23THRUST_200600_302600_NS10device_ptrIiEESB_iNS9_4plusIvEEiEEDaPvRmT3_T4_T5_mT6_P12ihipStream_tbENKUlT_T0_E_clISt17integral_constantIbLb1EESQ_IbLb0EEEEDaSM_SN_EUlSM_E_NS1_11comp_targetILNS1_3genE9ELNS1_11target_archE1100ELNS1_3gpuE3ELNS1_3repE0EEENS1_30default_config_static_selectorELNS0_4arch9wavefront6targetE1EEEvT1_.kd
    .uniform_work_group_size: 1
    .uses_dynamic_stack: false
    .vgpr_count:     0
    .vgpr_spill_count: 0
    .wavefront_size: 64
  - .agpr_count:     0
    .args:
      - .offset:         0
        .size:           96
        .value_kind:     by_value
    .group_segment_fixed_size: 0
    .kernarg_segment_align: 8
    .kernarg_segment_size: 96
    .language:       OpenCL C
    .language_version:
      - 2
      - 0
    .max_flat_workgroup_size: 64
    .name:           _ZN7rocprim17ROCPRIM_400000_NS6detail17trampoline_kernelINS0_14default_configENS1_20scan_config_selectorIiEEZZNS1_9scan_implILNS1_25lookback_scan_determinismE0ELb0ELb0ES3_N6thrust23THRUST_200600_302600_NS10device_ptrIiEESB_iNS9_4plusIvEEiEEDaPvRmT3_T4_T5_mT6_P12ihipStream_tbENKUlT_T0_E_clISt17integral_constantIbLb1EESQ_IbLb0EEEEDaSM_SN_EUlSM_E_NS1_11comp_targetILNS1_3genE8ELNS1_11target_archE1030ELNS1_3gpuE2ELNS1_3repE0EEENS1_30default_config_static_selectorELNS0_4arch9wavefront6targetE1EEEvT1_
    .private_segment_fixed_size: 0
    .sgpr_count:     4
    .sgpr_spill_count: 0
    .symbol:         _ZN7rocprim17ROCPRIM_400000_NS6detail17trampoline_kernelINS0_14default_configENS1_20scan_config_selectorIiEEZZNS1_9scan_implILNS1_25lookback_scan_determinismE0ELb0ELb0ES3_N6thrust23THRUST_200600_302600_NS10device_ptrIiEESB_iNS9_4plusIvEEiEEDaPvRmT3_T4_T5_mT6_P12ihipStream_tbENKUlT_T0_E_clISt17integral_constantIbLb1EESQ_IbLb0EEEEDaSM_SN_EUlSM_E_NS1_11comp_targetILNS1_3genE8ELNS1_11target_archE1030ELNS1_3gpuE2ELNS1_3repE0EEENS1_30default_config_static_selectorELNS0_4arch9wavefront6targetE1EEEvT1_.kd
    .uniform_work_group_size: 1
    .uses_dynamic_stack: false
    .vgpr_count:     0
    .vgpr_spill_count: 0
    .wavefront_size: 64
  - .agpr_count:     0
    .args:
      - .offset:         0
        .size:           32
        .value_kind:     by_value
    .group_segment_fixed_size: 0
    .kernarg_segment_align: 8
    .kernarg_segment_size: 32
    .language:       OpenCL C
    .language_version:
      - 2
      - 0
    .max_flat_workgroup_size: 256
    .name:           _ZN7rocprim17ROCPRIM_400000_NS6detail17trampoline_kernelINS0_14default_configENS1_20scan_config_selectorIiEEZZNS1_9scan_implILNS1_25lookback_scan_determinismE0ELb0ELb0ES3_N6thrust23THRUST_200600_302600_NS10device_ptrIiEESB_iNS9_4plusIvEEiEEDaPvRmT3_T4_T5_mT6_P12ihipStream_tbENKUlT_T0_E_clISt17integral_constantIbLb1EESQ_IbLb0EEEEDaSM_SN_EUlSM_E0_NS1_11comp_targetILNS1_3genE0ELNS1_11target_archE4294967295ELNS1_3gpuE0ELNS1_3repE0EEENS1_30default_config_static_selectorELNS0_4arch9wavefront6targetE1EEEvT1_
    .private_segment_fixed_size: 0
    .sgpr_count:     4
    .sgpr_spill_count: 0
    .symbol:         _ZN7rocprim17ROCPRIM_400000_NS6detail17trampoline_kernelINS0_14default_configENS1_20scan_config_selectorIiEEZZNS1_9scan_implILNS1_25lookback_scan_determinismE0ELb0ELb0ES3_N6thrust23THRUST_200600_302600_NS10device_ptrIiEESB_iNS9_4plusIvEEiEEDaPvRmT3_T4_T5_mT6_P12ihipStream_tbENKUlT_T0_E_clISt17integral_constantIbLb1EESQ_IbLb0EEEEDaSM_SN_EUlSM_E0_NS1_11comp_targetILNS1_3genE0ELNS1_11target_archE4294967295ELNS1_3gpuE0ELNS1_3repE0EEENS1_30default_config_static_selectorELNS0_4arch9wavefront6targetE1EEEvT1_.kd
    .uniform_work_group_size: 1
    .uses_dynamic_stack: false
    .vgpr_count:     0
    .vgpr_spill_count: 0
    .wavefront_size: 64
  - .agpr_count:     0
    .args:
      - .offset:         0
        .size:           32
        .value_kind:     by_value
    .group_segment_fixed_size: 0
    .kernarg_segment_align: 8
    .kernarg_segment_size: 32
    .language:       OpenCL C
    .language_version:
      - 2
      - 0
    .max_flat_workgroup_size: 256
    .name:           _ZN7rocprim17ROCPRIM_400000_NS6detail17trampoline_kernelINS0_14default_configENS1_20scan_config_selectorIiEEZZNS1_9scan_implILNS1_25lookback_scan_determinismE0ELb0ELb0ES3_N6thrust23THRUST_200600_302600_NS10device_ptrIiEESB_iNS9_4plusIvEEiEEDaPvRmT3_T4_T5_mT6_P12ihipStream_tbENKUlT_T0_E_clISt17integral_constantIbLb1EESQ_IbLb0EEEEDaSM_SN_EUlSM_E0_NS1_11comp_targetILNS1_3genE5ELNS1_11target_archE942ELNS1_3gpuE9ELNS1_3repE0EEENS1_30default_config_static_selectorELNS0_4arch9wavefront6targetE1EEEvT1_
    .private_segment_fixed_size: 0
    .sgpr_count:     4
    .sgpr_spill_count: 0
    .symbol:         _ZN7rocprim17ROCPRIM_400000_NS6detail17trampoline_kernelINS0_14default_configENS1_20scan_config_selectorIiEEZZNS1_9scan_implILNS1_25lookback_scan_determinismE0ELb0ELb0ES3_N6thrust23THRUST_200600_302600_NS10device_ptrIiEESB_iNS9_4plusIvEEiEEDaPvRmT3_T4_T5_mT6_P12ihipStream_tbENKUlT_T0_E_clISt17integral_constantIbLb1EESQ_IbLb0EEEEDaSM_SN_EUlSM_E0_NS1_11comp_targetILNS1_3genE5ELNS1_11target_archE942ELNS1_3gpuE9ELNS1_3repE0EEENS1_30default_config_static_selectorELNS0_4arch9wavefront6targetE1EEEvT1_.kd
    .uniform_work_group_size: 1
    .uses_dynamic_stack: false
    .vgpr_count:     0
    .vgpr_spill_count: 0
    .wavefront_size: 64
  - .agpr_count:     0
    .args:
      - .offset:         0
        .size:           32
        .value_kind:     by_value
    .group_segment_fixed_size: 5120
    .kernarg_segment_align: 8
    .kernarg_segment_size: 32
    .language:       OpenCL C
    .language_version:
      - 2
      - 0
    .max_flat_workgroup_size: 128
    .name:           _ZN7rocprim17ROCPRIM_400000_NS6detail17trampoline_kernelINS0_14default_configENS1_20scan_config_selectorIiEEZZNS1_9scan_implILNS1_25lookback_scan_determinismE0ELb0ELb0ES3_N6thrust23THRUST_200600_302600_NS10device_ptrIiEESB_iNS9_4plusIvEEiEEDaPvRmT3_T4_T5_mT6_P12ihipStream_tbENKUlT_T0_E_clISt17integral_constantIbLb1EESQ_IbLb0EEEEDaSM_SN_EUlSM_E0_NS1_11comp_targetILNS1_3genE4ELNS1_11target_archE910ELNS1_3gpuE8ELNS1_3repE0EEENS1_30default_config_static_selectorELNS0_4arch9wavefront6targetE1EEEvT1_
    .private_segment_fixed_size: 0
    .sgpr_count:     28
    .sgpr_spill_count: 0
    .symbol:         _ZN7rocprim17ROCPRIM_400000_NS6detail17trampoline_kernelINS0_14default_configENS1_20scan_config_selectorIiEEZZNS1_9scan_implILNS1_25lookback_scan_determinismE0ELb0ELb0ES3_N6thrust23THRUST_200600_302600_NS10device_ptrIiEESB_iNS9_4plusIvEEiEEDaPvRmT3_T4_T5_mT6_P12ihipStream_tbENKUlT_T0_E_clISt17integral_constantIbLb1EESQ_IbLb0EEEEDaSM_SN_EUlSM_E0_NS1_11comp_targetILNS1_3genE4ELNS1_11target_archE910ELNS1_3gpuE8ELNS1_3repE0EEENS1_30default_config_static_selectorELNS0_4arch9wavefront6targetE1EEEvT1_.kd
    .uniform_work_group_size: 1
    .uses_dynamic_stack: false
    .vgpr_count:     27
    .vgpr_spill_count: 0
    .wavefront_size: 64
  - .agpr_count:     0
    .args:
      - .offset:         0
        .size:           32
        .value_kind:     by_value
    .group_segment_fixed_size: 0
    .kernarg_segment_align: 8
    .kernarg_segment_size: 32
    .language:       OpenCL C
    .language_version:
      - 2
      - 0
    .max_flat_workgroup_size: 256
    .name:           _ZN7rocprim17ROCPRIM_400000_NS6detail17trampoline_kernelINS0_14default_configENS1_20scan_config_selectorIiEEZZNS1_9scan_implILNS1_25lookback_scan_determinismE0ELb0ELb0ES3_N6thrust23THRUST_200600_302600_NS10device_ptrIiEESB_iNS9_4plusIvEEiEEDaPvRmT3_T4_T5_mT6_P12ihipStream_tbENKUlT_T0_E_clISt17integral_constantIbLb1EESQ_IbLb0EEEEDaSM_SN_EUlSM_E0_NS1_11comp_targetILNS1_3genE3ELNS1_11target_archE908ELNS1_3gpuE7ELNS1_3repE0EEENS1_30default_config_static_selectorELNS0_4arch9wavefront6targetE1EEEvT1_
    .private_segment_fixed_size: 0
    .sgpr_count:     4
    .sgpr_spill_count: 0
    .symbol:         _ZN7rocprim17ROCPRIM_400000_NS6detail17trampoline_kernelINS0_14default_configENS1_20scan_config_selectorIiEEZZNS1_9scan_implILNS1_25lookback_scan_determinismE0ELb0ELb0ES3_N6thrust23THRUST_200600_302600_NS10device_ptrIiEESB_iNS9_4plusIvEEiEEDaPvRmT3_T4_T5_mT6_P12ihipStream_tbENKUlT_T0_E_clISt17integral_constantIbLb1EESQ_IbLb0EEEEDaSM_SN_EUlSM_E0_NS1_11comp_targetILNS1_3genE3ELNS1_11target_archE908ELNS1_3gpuE7ELNS1_3repE0EEENS1_30default_config_static_selectorELNS0_4arch9wavefront6targetE1EEEvT1_.kd
    .uniform_work_group_size: 1
    .uses_dynamic_stack: false
    .vgpr_count:     0
    .vgpr_spill_count: 0
    .wavefront_size: 64
  - .agpr_count:     0
    .args:
      - .offset:         0
        .size:           32
        .value_kind:     by_value
    .group_segment_fixed_size: 0
    .kernarg_segment_align: 8
    .kernarg_segment_size: 32
    .language:       OpenCL C
    .language_version:
      - 2
      - 0
    .max_flat_workgroup_size: 256
    .name:           _ZN7rocprim17ROCPRIM_400000_NS6detail17trampoline_kernelINS0_14default_configENS1_20scan_config_selectorIiEEZZNS1_9scan_implILNS1_25lookback_scan_determinismE0ELb0ELb0ES3_N6thrust23THRUST_200600_302600_NS10device_ptrIiEESB_iNS9_4plusIvEEiEEDaPvRmT3_T4_T5_mT6_P12ihipStream_tbENKUlT_T0_E_clISt17integral_constantIbLb1EESQ_IbLb0EEEEDaSM_SN_EUlSM_E0_NS1_11comp_targetILNS1_3genE2ELNS1_11target_archE906ELNS1_3gpuE6ELNS1_3repE0EEENS1_30default_config_static_selectorELNS0_4arch9wavefront6targetE1EEEvT1_
    .private_segment_fixed_size: 0
    .sgpr_count:     4
    .sgpr_spill_count: 0
    .symbol:         _ZN7rocprim17ROCPRIM_400000_NS6detail17trampoline_kernelINS0_14default_configENS1_20scan_config_selectorIiEEZZNS1_9scan_implILNS1_25lookback_scan_determinismE0ELb0ELb0ES3_N6thrust23THRUST_200600_302600_NS10device_ptrIiEESB_iNS9_4plusIvEEiEEDaPvRmT3_T4_T5_mT6_P12ihipStream_tbENKUlT_T0_E_clISt17integral_constantIbLb1EESQ_IbLb0EEEEDaSM_SN_EUlSM_E0_NS1_11comp_targetILNS1_3genE2ELNS1_11target_archE906ELNS1_3gpuE6ELNS1_3repE0EEENS1_30default_config_static_selectorELNS0_4arch9wavefront6targetE1EEEvT1_.kd
    .uniform_work_group_size: 1
    .uses_dynamic_stack: false
    .vgpr_count:     0
    .vgpr_spill_count: 0
    .wavefront_size: 64
  - .agpr_count:     0
    .args:
      - .offset:         0
        .size:           32
        .value_kind:     by_value
    .group_segment_fixed_size: 0
    .kernarg_segment_align: 8
    .kernarg_segment_size: 32
    .language:       OpenCL C
    .language_version:
      - 2
      - 0
    .max_flat_workgroup_size: 256
    .name:           _ZN7rocprim17ROCPRIM_400000_NS6detail17trampoline_kernelINS0_14default_configENS1_20scan_config_selectorIiEEZZNS1_9scan_implILNS1_25lookback_scan_determinismE0ELb0ELb0ES3_N6thrust23THRUST_200600_302600_NS10device_ptrIiEESB_iNS9_4plusIvEEiEEDaPvRmT3_T4_T5_mT6_P12ihipStream_tbENKUlT_T0_E_clISt17integral_constantIbLb1EESQ_IbLb0EEEEDaSM_SN_EUlSM_E0_NS1_11comp_targetILNS1_3genE10ELNS1_11target_archE1201ELNS1_3gpuE5ELNS1_3repE0EEENS1_30default_config_static_selectorELNS0_4arch9wavefront6targetE1EEEvT1_
    .private_segment_fixed_size: 0
    .sgpr_count:     4
    .sgpr_spill_count: 0
    .symbol:         _ZN7rocprim17ROCPRIM_400000_NS6detail17trampoline_kernelINS0_14default_configENS1_20scan_config_selectorIiEEZZNS1_9scan_implILNS1_25lookback_scan_determinismE0ELb0ELb0ES3_N6thrust23THRUST_200600_302600_NS10device_ptrIiEESB_iNS9_4plusIvEEiEEDaPvRmT3_T4_T5_mT6_P12ihipStream_tbENKUlT_T0_E_clISt17integral_constantIbLb1EESQ_IbLb0EEEEDaSM_SN_EUlSM_E0_NS1_11comp_targetILNS1_3genE10ELNS1_11target_archE1201ELNS1_3gpuE5ELNS1_3repE0EEENS1_30default_config_static_selectorELNS0_4arch9wavefront6targetE1EEEvT1_.kd
    .uniform_work_group_size: 1
    .uses_dynamic_stack: false
    .vgpr_count:     0
    .vgpr_spill_count: 0
    .wavefront_size: 64
  - .agpr_count:     0
    .args:
      - .offset:         0
        .size:           32
        .value_kind:     by_value
    .group_segment_fixed_size: 0
    .kernarg_segment_align: 8
    .kernarg_segment_size: 32
    .language:       OpenCL C
    .language_version:
      - 2
      - 0
    .max_flat_workgroup_size: 256
    .name:           _ZN7rocprim17ROCPRIM_400000_NS6detail17trampoline_kernelINS0_14default_configENS1_20scan_config_selectorIiEEZZNS1_9scan_implILNS1_25lookback_scan_determinismE0ELb0ELb0ES3_N6thrust23THRUST_200600_302600_NS10device_ptrIiEESB_iNS9_4plusIvEEiEEDaPvRmT3_T4_T5_mT6_P12ihipStream_tbENKUlT_T0_E_clISt17integral_constantIbLb1EESQ_IbLb0EEEEDaSM_SN_EUlSM_E0_NS1_11comp_targetILNS1_3genE10ELNS1_11target_archE1200ELNS1_3gpuE4ELNS1_3repE0EEENS1_30default_config_static_selectorELNS0_4arch9wavefront6targetE1EEEvT1_
    .private_segment_fixed_size: 0
    .sgpr_count:     4
    .sgpr_spill_count: 0
    .symbol:         _ZN7rocprim17ROCPRIM_400000_NS6detail17trampoline_kernelINS0_14default_configENS1_20scan_config_selectorIiEEZZNS1_9scan_implILNS1_25lookback_scan_determinismE0ELb0ELb0ES3_N6thrust23THRUST_200600_302600_NS10device_ptrIiEESB_iNS9_4plusIvEEiEEDaPvRmT3_T4_T5_mT6_P12ihipStream_tbENKUlT_T0_E_clISt17integral_constantIbLb1EESQ_IbLb0EEEEDaSM_SN_EUlSM_E0_NS1_11comp_targetILNS1_3genE10ELNS1_11target_archE1200ELNS1_3gpuE4ELNS1_3repE0EEENS1_30default_config_static_selectorELNS0_4arch9wavefront6targetE1EEEvT1_.kd
    .uniform_work_group_size: 1
    .uses_dynamic_stack: false
    .vgpr_count:     0
    .vgpr_spill_count: 0
    .wavefront_size: 64
  - .agpr_count:     0
    .args:
      - .offset:         0
        .size:           32
        .value_kind:     by_value
    .group_segment_fixed_size: 0
    .kernarg_segment_align: 8
    .kernarg_segment_size: 32
    .language:       OpenCL C
    .language_version:
      - 2
      - 0
    .max_flat_workgroup_size: 256
    .name:           _ZN7rocprim17ROCPRIM_400000_NS6detail17trampoline_kernelINS0_14default_configENS1_20scan_config_selectorIiEEZZNS1_9scan_implILNS1_25lookback_scan_determinismE0ELb0ELb0ES3_N6thrust23THRUST_200600_302600_NS10device_ptrIiEESB_iNS9_4plusIvEEiEEDaPvRmT3_T4_T5_mT6_P12ihipStream_tbENKUlT_T0_E_clISt17integral_constantIbLb1EESQ_IbLb0EEEEDaSM_SN_EUlSM_E0_NS1_11comp_targetILNS1_3genE9ELNS1_11target_archE1100ELNS1_3gpuE3ELNS1_3repE0EEENS1_30default_config_static_selectorELNS0_4arch9wavefront6targetE1EEEvT1_
    .private_segment_fixed_size: 0
    .sgpr_count:     4
    .sgpr_spill_count: 0
    .symbol:         _ZN7rocprim17ROCPRIM_400000_NS6detail17trampoline_kernelINS0_14default_configENS1_20scan_config_selectorIiEEZZNS1_9scan_implILNS1_25lookback_scan_determinismE0ELb0ELb0ES3_N6thrust23THRUST_200600_302600_NS10device_ptrIiEESB_iNS9_4plusIvEEiEEDaPvRmT3_T4_T5_mT6_P12ihipStream_tbENKUlT_T0_E_clISt17integral_constantIbLb1EESQ_IbLb0EEEEDaSM_SN_EUlSM_E0_NS1_11comp_targetILNS1_3genE9ELNS1_11target_archE1100ELNS1_3gpuE3ELNS1_3repE0EEENS1_30default_config_static_selectorELNS0_4arch9wavefront6targetE1EEEvT1_.kd
    .uniform_work_group_size: 1
    .uses_dynamic_stack: false
    .vgpr_count:     0
    .vgpr_spill_count: 0
    .wavefront_size: 64
  - .agpr_count:     0
    .args:
      - .offset:         0
        .size:           32
        .value_kind:     by_value
    .group_segment_fixed_size: 0
    .kernarg_segment_align: 8
    .kernarg_segment_size: 32
    .language:       OpenCL C
    .language_version:
      - 2
      - 0
    .max_flat_workgroup_size: 64
    .name:           _ZN7rocprim17ROCPRIM_400000_NS6detail17trampoline_kernelINS0_14default_configENS1_20scan_config_selectorIiEEZZNS1_9scan_implILNS1_25lookback_scan_determinismE0ELb0ELb0ES3_N6thrust23THRUST_200600_302600_NS10device_ptrIiEESB_iNS9_4plusIvEEiEEDaPvRmT3_T4_T5_mT6_P12ihipStream_tbENKUlT_T0_E_clISt17integral_constantIbLb1EESQ_IbLb0EEEEDaSM_SN_EUlSM_E0_NS1_11comp_targetILNS1_3genE8ELNS1_11target_archE1030ELNS1_3gpuE2ELNS1_3repE0EEENS1_30default_config_static_selectorELNS0_4arch9wavefront6targetE1EEEvT1_
    .private_segment_fixed_size: 0
    .sgpr_count:     4
    .sgpr_spill_count: 0
    .symbol:         _ZN7rocprim17ROCPRIM_400000_NS6detail17trampoline_kernelINS0_14default_configENS1_20scan_config_selectorIiEEZZNS1_9scan_implILNS1_25lookback_scan_determinismE0ELb0ELb0ES3_N6thrust23THRUST_200600_302600_NS10device_ptrIiEESB_iNS9_4plusIvEEiEEDaPvRmT3_T4_T5_mT6_P12ihipStream_tbENKUlT_T0_E_clISt17integral_constantIbLb1EESQ_IbLb0EEEEDaSM_SN_EUlSM_E0_NS1_11comp_targetILNS1_3genE8ELNS1_11target_archE1030ELNS1_3gpuE2ELNS1_3repE0EEENS1_30default_config_static_selectorELNS0_4arch9wavefront6targetE1EEEvT1_.kd
    .uniform_work_group_size: 1
    .uses_dynamic_stack: false
    .vgpr_count:     0
    .vgpr_spill_count: 0
    .wavefront_size: 64
  - .agpr_count:     0
    .args:
      - .offset:         0
        .size:           96
        .value_kind:     by_value
    .group_segment_fixed_size: 0
    .kernarg_segment_align: 8
    .kernarg_segment_size: 96
    .language:       OpenCL C
    .language_version:
      - 2
      - 0
    .max_flat_workgroup_size: 256
    .name:           _ZN7rocprim17ROCPRIM_400000_NS6detail17trampoline_kernelINS0_14default_configENS1_20scan_config_selectorIiEEZZNS1_9scan_implILNS1_25lookback_scan_determinismE0ELb0ELb0ES3_N6thrust23THRUST_200600_302600_NS10device_ptrIiEESB_iNS9_4plusIvEEiEEDaPvRmT3_T4_T5_mT6_P12ihipStream_tbENKUlT_T0_E_clISt17integral_constantIbLb0EESQ_IbLb1EEEEDaSM_SN_EUlSM_E_NS1_11comp_targetILNS1_3genE0ELNS1_11target_archE4294967295ELNS1_3gpuE0ELNS1_3repE0EEENS1_30default_config_static_selectorELNS0_4arch9wavefront6targetE1EEEvT1_
    .private_segment_fixed_size: 0
    .sgpr_count:     4
    .sgpr_spill_count: 0
    .symbol:         _ZN7rocprim17ROCPRIM_400000_NS6detail17trampoline_kernelINS0_14default_configENS1_20scan_config_selectorIiEEZZNS1_9scan_implILNS1_25lookback_scan_determinismE0ELb0ELb0ES3_N6thrust23THRUST_200600_302600_NS10device_ptrIiEESB_iNS9_4plusIvEEiEEDaPvRmT3_T4_T5_mT6_P12ihipStream_tbENKUlT_T0_E_clISt17integral_constantIbLb0EESQ_IbLb1EEEEDaSM_SN_EUlSM_E_NS1_11comp_targetILNS1_3genE0ELNS1_11target_archE4294967295ELNS1_3gpuE0ELNS1_3repE0EEENS1_30default_config_static_selectorELNS0_4arch9wavefront6targetE1EEEvT1_.kd
    .uniform_work_group_size: 1
    .uses_dynamic_stack: false
    .vgpr_count:     0
    .vgpr_spill_count: 0
    .wavefront_size: 64
  - .agpr_count:     0
    .args:
      - .offset:         0
        .size:           96
        .value_kind:     by_value
    .group_segment_fixed_size: 0
    .kernarg_segment_align: 8
    .kernarg_segment_size: 96
    .language:       OpenCL C
    .language_version:
      - 2
      - 0
    .max_flat_workgroup_size: 256
    .name:           _ZN7rocprim17ROCPRIM_400000_NS6detail17trampoline_kernelINS0_14default_configENS1_20scan_config_selectorIiEEZZNS1_9scan_implILNS1_25lookback_scan_determinismE0ELb0ELb0ES3_N6thrust23THRUST_200600_302600_NS10device_ptrIiEESB_iNS9_4plusIvEEiEEDaPvRmT3_T4_T5_mT6_P12ihipStream_tbENKUlT_T0_E_clISt17integral_constantIbLb0EESQ_IbLb1EEEEDaSM_SN_EUlSM_E_NS1_11comp_targetILNS1_3genE5ELNS1_11target_archE942ELNS1_3gpuE9ELNS1_3repE0EEENS1_30default_config_static_selectorELNS0_4arch9wavefront6targetE1EEEvT1_
    .private_segment_fixed_size: 0
    .sgpr_count:     4
    .sgpr_spill_count: 0
    .symbol:         _ZN7rocprim17ROCPRIM_400000_NS6detail17trampoline_kernelINS0_14default_configENS1_20scan_config_selectorIiEEZZNS1_9scan_implILNS1_25lookback_scan_determinismE0ELb0ELb0ES3_N6thrust23THRUST_200600_302600_NS10device_ptrIiEESB_iNS9_4plusIvEEiEEDaPvRmT3_T4_T5_mT6_P12ihipStream_tbENKUlT_T0_E_clISt17integral_constantIbLb0EESQ_IbLb1EEEEDaSM_SN_EUlSM_E_NS1_11comp_targetILNS1_3genE5ELNS1_11target_archE942ELNS1_3gpuE9ELNS1_3repE0EEENS1_30default_config_static_selectorELNS0_4arch9wavefront6targetE1EEEvT1_.kd
    .uniform_work_group_size: 1
    .uses_dynamic_stack: false
    .vgpr_count:     0
    .vgpr_spill_count: 0
    .wavefront_size: 64
  - .agpr_count:     0
    .args:
      - .offset:         0
        .size:           96
        .value_kind:     by_value
    .group_segment_fixed_size: 5120
    .kernarg_segment_align: 8
    .kernarg_segment_size: 96
    .language:       OpenCL C
    .language_version:
      - 2
      - 0
    .max_flat_workgroup_size: 128
    .name:           _ZN7rocprim17ROCPRIM_400000_NS6detail17trampoline_kernelINS0_14default_configENS1_20scan_config_selectorIiEEZZNS1_9scan_implILNS1_25lookback_scan_determinismE0ELb0ELb0ES3_N6thrust23THRUST_200600_302600_NS10device_ptrIiEESB_iNS9_4plusIvEEiEEDaPvRmT3_T4_T5_mT6_P12ihipStream_tbENKUlT_T0_E_clISt17integral_constantIbLb0EESQ_IbLb1EEEEDaSM_SN_EUlSM_E_NS1_11comp_targetILNS1_3genE4ELNS1_11target_archE910ELNS1_3gpuE8ELNS1_3repE0EEENS1_30default_config_static_selectorELNS0_4arch9wavefront6targetE1EEEvT1_
    .private_segment_fixed_size: 0
    .sgpr_count:     40
    .sgpr_spill_count: 0
    .symbol:         _ZN7rocprim17ROCPRIM_400000_NS6detail17trampoline_kernelINS0_14default_configENS1_20scan_config_selectorIiEEZZNS1_9scan_implILNS1_25lookback_scan_determinismE0ELb0ELb0ES3_N6thrust23THRUST_200600_302600_NS10device_ptrIiEESB_iNS9_4plusIvEEiEEDaPvRmT3_T4_T5_mT6_P12ihipStream_tbENKUlT_T0_E_clISt17integral_constantIbLb0EESQ_IbLb1EEEEDaSM_SN_EUlSM_E_NS1_11comp_targetILNS1_3genE4ELNS1_11target_archE910ELNS1_3gpuE8ELNS1_3repE0EEENS1_30default_config_static_selectorELNS0_4arch9wavefront6targetE1EEEvT1_.kd
    .uniform_work_group_size: 1
    .uses_dynamic_stack: false
    .vgpr_count:     40
    .vgpr_spill_count: 0
    .wavefront_size: 64
  - .agpr_count:     0
    .args:
      - .offset:         0
        .size:           96
        .value_kind:     by_value
    .group_segment_fixed_size: 0
    .kernarg_segment_align: 8
    .kernarg_segment_size: 96
    .language:       OpenCL C
    .language_version:
      - 2
      - 0
    .max_flat_workgroup_size: 256
    .name:           _ZN7rocprim17ROCPRIM_400000_NS6detail17trampoline_kernelINS0_14default_configENS1_20scan_config_selectorIiEEZZNS1_9scan_implILNS1_25lookback_scan_determinismE0ELb0ELb0ES3_N6thrust23THRUST_200600_302600_NS10device_ptrIiEESB_iNS9_4plusIvEEiEEDaPvRmT3_T4_T5_mT6_P12ihipStream_tbENKUlT_T0_E_clISt17integral_constantIbLb0EESQ_IbLb1EEEEDaSM_SN_EUlSM_E_NS1_11comp_targetILNS1_3genE3ELNS1_11target_archE908ELNS1_3gpuE7ELNS1_3repE0EEENS1_30default_config_static_selectorELNS0_4arch9wavefront6targetE1EEEvT1_
    .private_segment_fixed_size: 0
    .sgpr_count:     4
    .sgpr_spill_count: 0
    .symbol:         _ZN7rocprim17ROCPRIM_400000_NS6detail17trampoline_kernelINS0_14default_configENS1_20scan_config_selectorIiEEZZNS1_9scan_implILNS1_25lookback_scan_determinismE0ELb0ELb0ES3_N6thrust23THRUST_200600_302600_NS10device_ptrIiEESB_iNS9_4plusIvEEiEEDaPvRmT3_T4_T5_mT6_P12ihipStream_tbENKUlT_T0_E_clISt17integral_constantIbLb0EESQ_IbLb1EEEEDaSM_SN_EUlSM_E_NS1_11comp_targetILNS1_3genE3ELNS1_11target_archE908ELNS1_3gpuE7ELNS1_3repE0EEENS1_30default_config_static_selectorELNS0_4arch9wavefront6targetE1EEEvT1_.kd
    .uniform_work_group_size: 1
    .uses_dynamic_stack: false
    .vgpr_count:     0
    .vgpr_spill_count: 0
    .wavefront_size: 64
  - .agpr_count:     0
    .args:
      - .offset:         0
        .size:           96
        .value_kind:     by_value
    .group_segment_fixed_size: 0
    .kernarg_segment_align: 8
    .kernarg_segment_size: 96
    .language:       OpenCL C
    .language_version:
      - 2
      - 0
    .max_flat_workgroup_size: 256
    .name:           _ZN7rocprim17ROCPRIM_400000_NS6detail17trampoline_kernelINS0_14default_configENS1_20scan_config_selectorIiEEZZNS1_9scan_implILNS1_25lookback_scan_determinismE0ELb0ELb0ES3_N6thrust23THRUST_200600_302600_NS10device_ptrIiEESB_iNS9_4plusIvEEiEEDaPvRmT3_T4_T5_mT6_P12ihipStream_tbENKUlT_T0_E_clISt17integral_constantIbLb0EESQ_IbLb1EEEEDaSM_SN_EUlSM_E_NS1_11comp_targetILNS1_3genE2ELNS1_11target_archE906ELNS1_3gpuE6ELNS1_3repE0EEENS1_30default_config_static_selectorELNS0_4arch9wavefront6targetE1EEEvT1_
    .private_segment_fixed_size: 0
    .sgpr_count:     4
    .sgpr_spill_count: 0
    .symbol:         _ZN7rocprim17ROCPRIM_400000_NS6detail17trampoline_kernelINS0_14default_configENS1_20scan_config_selectorIiEEZZNS1_9scan_implILNS1_25lookback_scan_determinismE0ELb0ELb0ES3_N6thrust23THRUST_200600_302600_NS10device_ptrIiEESB_iNS9_4plusIvEEiEEDaPvRmT3_T4_T5_mT6_P12ihipStream_tbENKUlT_T0_E_clISt17integral_constantIbLb0EESQ_IbLb1EEEEDaSM_SN_EUlSM_E_NS1_11comp_targetILNS1_3genE2ELNS1_11target_archE906ELNS1_3gpuE6ELNS1_3repE0EEENS1_30default_config_static_selectorELNS0_4arch9wavefront6targetE1EEEvT1_.kd
    .uniform_work_group_size: 1
    .uses_dynamic_stack: false
    .vgpr_count:     0
    .vgpr_spill_count: 0
    .wavefront_size: 64
  - .agpr_count:     0
    .args:
      - .offset:         0
        .size:           96
        .value_kind:     by_value
    .group_segment_fixed_size: 0
    .kernarg_segment_align: 8
    .kernarg_segment_size: 96
    .language:       OpenCL C
    .language_version:
      - 2
      - 0
    .max_flat_workgroup_size: 256
    .name:           _ZN7rocprim17ROCPRIM_400000_NS6detail17trampoline_kernelINS0_14default_configENS1_20scan_config_selectorIiEEZZNS1_9scan_implILNS1_25lookback_scan_determinismE0ELb0ELb0ES3_N6thrust23THRUST_200600_302600_NS10device_ptrIiEESB_iNS9_4plusIvEEiEEDaPvRmT3_T4_T5_mT6_P12ihipStream_tbENKUlT_T0_E_clISt17integral_constantIbLb0EESQ_IbLb1EEEEDaSM_SN_EUlSM_E_NS1_11comp_targetILNS1_3genE10ELNS1_11target_archE1201ELNS1_3gpuE5ELNS1_3repE0EEENS1_30default_config_static_selectorELNS0_4arch9wavefront6targetE1EEEvT1_
    .private_segment_fixed_size: 0
    .sgpr_count:     4
    .sgpr_spill_count: 0
    .symbol:         _ZN7rocprim17ROCPRIM_400000_NS6detail17trampoline_kernelINS0_14default_configENS1_20scan_config_selectorIiEEZZNS1_9scan_implILNS1_25lookback_scan_determinismE0ELb0ELb0ES3_N6thrust23THRUST_200600_302600_NS10device_ptrIiEESB_iNS9_4plusIvEEiEEDaPvRmT3_T4_T5_mT6_P12ihipStream_tbENKUlT_T0_E_clISt17integral_constantIbLb0EESQ_IbLb1EEEEDaSM_SN_EUlSM_E_NS1_11comp_targetILNS1_3genE10ELNS1_11target_archE1201ELNS1_3gpuE5ELNS1_3repE0EEENS1_30default_config_static_selectorELNS0_4arch9wavefront6targetE1EEEvT1_.kd
    .uniform_work_group_size: 1
    .uses_dynamic_stack: false
    .vgpr_count:     0
    .vgpr_spill_count: 0
    .wavefront_size: 64
  - .agpr_count:     0
    .args:
      - .offset:         0
        .size:           96
        .value_kind:     by_value
    .group_segment_fixed_size: 0
    .kernarg_segment_align: 8
    .kernarg_segment_size: 96
    .language:       OpenCL C
    .language_version:
      - 2
      - 0
    .max_flat_workgroup_size: 256
    .name:           _ZN7rocprim17ROCPRIM_400000_NS6detail17trampoline_kernelINS0_14default_configENS1_20scan_config_selectorIiEEZZNS1_9scan_implILNS1_25lookback_scan_determinismE0ELb0ELb0ES3_N6thrust23THRUST_200600_302600_NS10device_ptrIiEESB_iNS9_4plusIvEEiEEDaPvRmT3_T4_T5_mT6_P12ihipStream_tbENKUlT_T0_E_clISt17integral_constantIbLb0EESQ_IbLb1EEEEDaSM_SN_EUlSM_E_NS1_11comp_targetILNS1_3genE10ELNS1_11target_archE1200ELNS1_3gpuE4ELNS1_3repE0EEENS1_30default_config_static_selectorELNS0_4arch9wavefront6targetE1EEEvT1_
    .private_segment_fixed_size: 0
    .sgpr_count:     4
    .sgpr_spill_count: 0
    .symbol:         _ZN7rocprim17ROCPRIM_400000_NS6detail17trampoline_kernelINS0_14default_configENS1_20scan_config_selectorIiEEZZNS1_9scan_implILNS1_25lookback_scan_determinismE0ELb0ELb0ES3_N6thrust23THRUST_200600_302600_NS10device_ptrIiEESB_iNS9_4plusIvEEiEEDaPvRmT3_T4_T5_mT6_P12ihipStream_tbENKUlT_T0_E_clISt17integral_constantIbLb0EESQ_IbLb1EEEEDaSM_SN_EUlSM_E_NS1_11comp_targetILNS1_3genE10ELNS1_11target_archE1200ELNS1_3gpuE4ELNS1_3repE0EEENS1_30default_config_static_selectorELNS0_4arch9wavefront6targetE1EEEvT1_.kd
    .uniform_work_group_size: 1
    .uses_dynamic_stack: false
    .vgpr_count:     0
    .vgpr_spill_count: 0
    .wavefront_size: 64
  - .agpr_count:     0
    .args:
      - .offset:         0
        .size:           96
        .value_kind:     by_value
    .group_segment_fixed_size: 0
    .kernarg_segment_align: 8
    .kernarg_segment_size: 96
    .language:       OpenCL C
    .language_version:
      - 2
      - 0
    .max_flat_workgroup_size: 256
    .name:           _ZN7rocprim17ROCPRIM_400000_NS6detail17trampoline_kernelINS0_14default_configENS1_20scan_config_selectorIiEEZZNS1_9scan_implILNS1_25lookback_scan_determinismE0ELb0ELb0ES3_N6thrust23THRUST_200600_302600_NS10device_ptrIiEESB_iNS9_4plusIvEEiEEDaPvRmT3_T4_T5_mT6_P12ihipStream_tbENKUlT_T0_E_clISt17integral_constantIbLb0EESQ_IbLb1EEEEDaSM_SN_EUlSM_E_NS1_11comp_targetILNS1_3genE9ELNS1_11target_archE1100ELNS1_3gpuE3ELNS1_3repE0EEENS1_30default_config_static_selectorELNS0_4arch9wavefront6targetE1EEEvT1_
    .private_segment_fixed_size: 0
    .sgpr_count:     4
    .sgpr_spill_count: 0
    .symbol:         _ZN7rocprim17ROCPRIM_400000_NS6detail17trampoline_kernelINS0_14default_configENS1_20scan_config_selectorIiEEZZNS1_9scan_implILNS1_25lookback_scan_determinismE0ELb0ELb0ES3_N6thrust23THRUST_200600_302600_NS10device_ptrIiEESB_iNS9_4plusIvEEiEEDaPvRmT3_T4_T5_mT6_P12ihipStream_tbENKUlT_T0_E_clISt17integral_constantIbLb0EESQ_IbLb1EEEEDaSM_SN_EUlSM_E_NS1_11comp_targetILNS1_3genE9ELNS1_11target_archE1100ELNS1_3gpuE3ELNS1_3repE0EEENS1_30default_config_static_selectorELNS0_4arch9wavefront6targetE1EEEvT1_.kd
    .uniform_work_group_size: 1
    .uses_dynamic_stack: false
    .vgpr_count:     0
    .vgpr_spill_count: 0
    .wavefront_size: 64
  - .agpr_count:     0
    .args:
      - .offset:         0
        .size:           96
        .value_kind:     by_value
    .group_segment_fixed_size: 0
    .kernarg_segment_align: 8
    .kernarg_segment_size: 96
    .language:       OpenCL C
    .language_version:
      - 2
      - 0
    .max_flat_workgroup_size: 64
    .name:           _ZN7rocprim17ROCPRIM_400000_NS6detail17trampoline_kernelINS0_14default_configENS1_20scan_config_selectorIiEEZZNS1_9scan_implILNS1_25lookback_scan_determinismE0ELb0ELb0ES3_N6thrust23THRUST_200600_302600_NS10device_ptrIiEESB_iNS9_4plusIvEEiEEDaPvRmT3_T4_T5_mT6_P12ihipStream_tbENKUlT_T0_E_clISt17integral_constantIbLb0EESQ_IbLb1EEEEDaSM_SN_EUlSM_E_NS1_11comp_targetILNS1_3genE8ELNS1_11target_archE1030ELNS1_3gpuE2ELNS1_3repE0EEENS1_30default_config_static_selectorELNS0_4arch9wavefront6targetE1EEEvT1_
    .private_segment_fixed_size: 0
    .sgpr_count:     4
    .sgpr_spill_count: 0
    .symbol:         _ZN7rocprim17ROCPRIM_400000_NS6detail17trampoline_kernelINS0_14default_configENS1_20scan_config_selectorIiEEZZNS1_9scan_implILNS1_25lookback_scan_determinismE0ELb0ELb0ES3_N6thrust23THRUST_200600_302600_NS10device_ptrIiEESB_iNS9_4plusIvEEiEEDaPvRmT3_T4_T5_mT6_P12ihipStream_tbENKUlT_T0_E_clISt17integral_constantIbLb0EESQ_IbLb1EEEEDaSM_SN_EUlSM_E_NS1_11comp_targetILNS1_3genE8ELNS1_11target_archE1030ELNS1_3gpuE2ELNS1_3repE0EEENS1_30default_config_static_selectorELNS0_4arch9wavefront6targetE1EEEvT1_.kd
    .uniform_work_group_size: 1
    .uses_dynamic_stack: false
    .vgpr_count:     0
    .vgpr_spill_count: 0
    .wavefront_size: 64
  - .agpr_count:     0
    .args:
      - .offset:         0
        .size:           32
        .value_kind:     by_value
    .group_segment_fixed_size: 0
    .kernarg_segment_align: 8
    .kernarg_segment_size: 32
    .language:       OpenCL C
    .language_version:
      - 2
      - 0
    .max_flat_workgroup_size: 256
    .name:           _ZN7rocprim17ROCPRIM_400000_NS6detail17trampoline_kernelINS0_14default_configENS1_20scan_config_selectorIiEEZZNS1_9scan_implILNS1_25lookback_scan_determinismE0ELb0ELb0ES3_N6thrust23THRUST_200600_302600_NS10device_ptrIiEESB_iNS9_4plusIvEEiEEDaPvRmT3_T4_T5_mT6_P12ihipStream_tbENKUlT_T0_E_clISt17integral_constantIbLb0EESQ_IbLb1EEEEDaSM_SN_EUlSM_E0_NS1_11comp_targetILNS1_3genE0ELNS1_11target_archE4294967295ELNS1_3gpuE0ELNS1_3repE0EEENS1_30default_config_static_selectorELNS0_4arch9wavefront6targetE1EEEvT1_
    .private_segment_fixed_size: 0
    .sgpr_count:     4
    .sgpr_spill_count: 0
    .symbol:         _ZN7rocprim17ROCPRIM_400000_NS6detail17trampoline_kernelINS0_14default_configENS1_20scan_config_selectorIiEEZZNS1_9scan_implILNS1_25lookback_scan_determinismE0ELb0ELb0ES3_N6thrust23THRUST_200600_302600_NS10device_ptrIiEESB_iNS9_4plusIvEEiEEDaPvRmT3_T4_T5_mT6_P12ihipStream_tbENKUlT_T0_E_clISt17integral_constantIbLb0EESQ_IbLb1EEEEDaSM_SN_EUlSM_E0_NS1_11comp_targetILNS1_3genE0ELNS1_11target_archE4294967295ELNS1_3gpuE0ELNS1_3repE0EEENS1_30default_config_static_selectorELNS0_4arch9wavefront6targetE1EEEvT1_.kd
    .uniform_work_group_size: 1
    .uses_dynamic_stack: false
    .vgpr_count:     0
    .vgpr_spill_count: 0
    .wavefront_size: 64
  - .agpr_count:     0
    .args:
      - .offset:         0
        .size:           32
        .value_kind:     by_value
    .group_segment_fixed_size: 0
    .kernarg_segment_align: 8
    .kernarg_segment_size: 32
    .language:       OpenCL C
    .language_version:
      - 2
      - 0
    .max_flat_workgroup_size: 256
    .name:           _ZN7rocprim17ROCPRIM_400000_NS6detail17trampoline_kernelINS0_14default_configENS1_20scan_config_selectorIiEEZZNS1_9scan_implILNS1_25lookback_scan_determinismE0ELb0ELb0ES3_N6thrust23THRUST_200600_302600_NS10device_ptrIiEESB_iNS9_4plusIvEEiEEDaPvRmT3_T4_T5_mT6_P12ihipStream_tbENKUlT_T0_E_clISt17integral_constantIbLb0EESQ_IbLb1EEEEDaSM_SN_EUlSM_E0_NS1_11comp_targetILNS1_3genE5ELNS1_11target_archE942ELNS1_3gpuE9ELNS1_3repE0EEENS1_30default_config_static_selectorELNS0_4arch9wavefront6targetE1EEEvT1_
    .private_segment_fixed_size: 0
    .sgpr_count:     4
    .sgpr_spill_count: 0
    .symbol:         _ZN7rocprim17ROCPRIM_400000_NS6detail17trampoline_kernelINS0_14default_configENS1_20scan_config_selectorIiEEZZNS1_9scan_implILNS1_25lookback_scan_determinismE0ELb0ELb0ES3_N6thrust23THRUST_200600_302600_NS10device_ptrIiEESB_iNS9_4plusIvEEiEEDaPvRmT3_T4_T5_mT6_P12ihipStream_tbENKUlT_T0_E_clISt17integral_constantIbLb0EESQ_IbLb1EEEEDaSM_SN_EUlSM_E0_NS1_11comp_targetILNS1_3genE5ELNS1_11target_archE942ELNS1_3gpuE9ELNS1_3repE0EEENS1_30default_config_static_selectorELNS0_4arch9wavefront6targetE1EEEvT1_.kd
    .uniform_work_group_size: 1
    .uses_dynamic_stack: false
    .vgpr_count:     0
    .vgpr_spill_count: 0
    .wavefront_size: 64
  - .agpr_count:     0
    .args:
      - .offset:         0
        .size:           32
        .value_kind:     by_value
    .group_segment_fixed_size: 5120
    .kernarg_segment_align: 8
    .kernarg_segment_size: 32
    .language:       OpenCL C
    .language_version:
      - 2
      - 0
    .max_flat_workgroup_size: 128
    .name:           _ZN7rocprim17ROCPRIM_400000_NS6detail17trampoline_kernelINS0_14default_configENS1_20scan_config_selectorIiEEZZNS1_9scan_implILNS1_25lookback_scan_determinismE0ELb0ELb0ES3_N6thrust23THRUST_200600_302600_NS10device_ptrIiEESB_iNS9_4plusIvEEiEEDaPvRmT3_T4_T5_mT6_P12ihipStream_tbENKUlT_T0_E_clISt17integral_constantIbLb0EESQ_IbLb1EEEEDaSM_SN_EUlSM_E0_NS1_11comp_targetILNS1_3genE4ELNS1_11target_archE910ELNS1_3gpuE8ELNS1_3repE0EEENS1_30default_config_static_selectorELNS0_4arch9wavefront6targetE1EEEvT1_
    .private_segment_fixed_size: 0
    .sgpr_count:     28
    .sgpr_spill_count: 0
    .symbol:         _ZN7rocprim17ROCPRIM_400000_NS6detail17trampoline_kernelINS0_14default_configENS1_20scan_config_selectorIiEEZZNS1_9scan_implILNS1_25lookback_scan_determinismE0ELb0ELb0ES3_N6thrust23THRUST_200600_302600_NS10device_ptrIiEESB_iNS9_4plusIvEEiEEDaPvRmT3_T4_T5_mT6_P12ihipStream_tbENKUlT_T0_E_clISt17integral_constantIbLb0EESQ_IbLb1EEEEDaSM_SN_EUlSM_E0_NS1_11comp_targetILNS1_3genE4ELNS1_11target_archE910ELNS1_3gpuE8ELNS1_3repE0EEENS1_30default_config_static_selectorELNS0_4arch9wavefront6targetE1EEEvT1_.kd
    .uniform_work_group_size: 1
    .uses_dynamic_stack: false
    .vgpr_count:     27
    .vgpr_spill_count: 0
    .wavefront_size: 64
  - .agpr_count:     0
    .args:
      - .offset:         0
        .size:           32
        .value_kind:     by_value
    .group_segment_fixed_size: 0
    .kernarg_segment_align: 8
    .kernarg_segment_size: 32
    .language:       OpenCL C
    .language_version:
      - 2
      - 0
    .max_flat_workgroup_size: 256
    .name:           _ZN7rocprim17ROCPRIM_400000_NS6detail17trampoline_kernelINS0_14default_configENS1_20scan_config_selectorIiEEZZNS1_9scan_implILNS1_25lookback_scan_determinismE0ELb0ELb0ES3_N6thrust23THRUST_200600_302600_NS10device_ptrIiEESB_iNS9_4plusIvEEiEEDaPvRmT3_T4_T5_mT6_P12ihipStream_tbENKUlT_T0_E_clISt17integral_constantIbLb0EESQ_IbLb1EEEEDaSM_SN_EUlSM_E0_NS1_11comp_targetILNS1_3genE3ELNS1_11target_archE908ELNS1_3gpuE7ELNS1_3repE0EEENS1_30default_config_static_selectorELNS0_4arch9wavefront6targetE1EEEvT1_
    .private_segment_fixed_size: 0
    .sgpr_count:     4
    .sgpr_spill_count: 0
    .symbol:         _ZN7rocprim17ROCPRIM_400000_NS6detail17trampoline_kernelINS0_14default_configENS1_20scan_config_selectorIiEEZZNS1_9scan_implILNS1_25lookback_scan_determinismE0ELb0ELb0ES3_N6thrust23THRUST_200600_302600_NS10device_ptrIiEESB_iNS9_4plusIvEEiEEDaPvRmT3_T4_T5_mT6_P12ihipStream_tbENKUlT_T0_E_clISt17integral_constantIbLb0EESQ_IbLb1EEEEDaSM_SN_EUlSM_E0_NS1_11comp_targetILNS1_3genE3ELNS1_11target_archE908ELNS1_3gpuE7ELNS1_3repE0EEENS1_30default_config_static_selectorELNS0_4arch9wavefront6targetE1EEEvT1_.kd
    .uniform_work_group_size: 1
    .uses_dynamic_stack: false
    .vgpr_count:     0
    .vgpr_spill_count: 0
    .wavefront_size: 64
  - .agpr_count:     0
    .args:
      - .offset:         0
        .size:           32
        .value_kind:     by_value
    .group_segment_fixed_size: 0
    .kernarg_segment_align: 8
    .kernarg_segment_size: 32
    .language:       OpenCL C
    .language_version:
      - 2
      - 0
    .max_flat_workgroup_size: 256
    .name:           _ZN7rocprim17ROCPRIM_400000_NS6detail17trampoline_kernelINS0_14default_configENS1_20scan_config_selectorIiEEZZNS1_9scan_implILNS1_25lookback_scan_determinismE0ELb0ELb0ES3_N6thrust23THRUST_200600_302600_NS10device_ptrIiEESB_iNS9_4plusIvEEiEEDaPvRmT3_T4_T5_mT6_P12ihipStream_tbENKUlT_T0_E_clISt17integral_constantIbLb0EESQ_IbLb1EEEEDaSM_SN_EUlSM_E0_NS1_11comp_targetILNS1_3genE2ELNS1_11target_archE906ELNS1_3gpuE6ELNS1_3repE0EEENS1_30default_config_static_selectorELNS0_4arch9wavefront6targetE1EEEvT1_
    .private_segment_fixed_size: 0
    .sgpr_count:     4
    .sgpr_spill_count: 0
    .symbol:         _ZN7rocprim17ROCPRIM_400000_NS6detail17trampoline_kernelINS0_14default_configENS1_20scan_config_selectorIiEEZZNS1_9scan_implILNS1_25lookback_scan_determinismE0ELb0ELb0ES3_N6thrust23THRUST_200600_302600_NS10device_ptrIiEESB_iNS9_4plusIvEEiEEDaPvRmT3_T4_T5_mT6_P12ihipStream_tbENKUlT_T0_E_clISt17integral_constantIbLb0EESQ_IbLb1EEEEDaSM_SN_EUlSM_E0_NS1_11comp_targetILNS1_3genE2ELNS1_11target_archE906ELNS1_3gpuE6ELNS1_3repE0EEENS1_30default_config_static_selectorELNS0_4arch9wavefront6targetE1EEEvT1_.kd
    .uniform_work_group_size: 1
    .uses_dynamic_stack: false
    .vgpr_count:     0
    .vgpr_spill_count: 0
    .wavefront_size: 64
  - .agpr_count:     0
    .args:
      - .offset:         0
        .size:           32
        .value_kind:     by_value
    .group_segment_fixed_size: 0
    .kernarg_segment_align: 8
    .kernarg_segment_size: 32
    .language:       OpenCL C
    .language_version:
      - 2
      - 0
    .max_flat_workgroup_size: 256
    .name:           _ZN7rocprim17ROCPRIM_400000_NS6detail17trampoline_kernelINS0_14default_configENS1_20scan_config_selectorIiEEZZNS1_9scan_implILNS1_25lookback_scan_determinismE0ELb0ELb0ES3_N6thrust23THRUST_200600_302600_NS10device_ptrIiEESB_iNS9_4plusIvEEiEEDaPvRmT3_T4_T5_mT6_P12ihipStream_tbENKUlT_T0_E_clISt17integral_constantIbLb0EESQ_IbLb1EEEEDaSM_SN_EUlSM_E0_NS1_11comp_targetILNS1_3genE10ELNS1_11target_archE1201ELNS1_3gpuE5ELNS1_3repE0EEENS1_30default_config_static_selectorELNS0_4arch9wavefront6targetE1EEEvT1_
    .private_segment_fixed_size: 0
    .sgpr_count:     4
    .sgpr_spill_count: 0
    .symbol:         _ZN7rocprim17ROCPRIM_400000_NS6detail17trampoline_kernelINS0_14default_configENS1_20scan_config_selectorIiEEZZNS1_9scan_implILNS1_25lookback_scan_determinismE0ELb0ELb0ES3_N6thrust23THRUST_200600_302600_NS10device_ptrIiEESB_iNS9_4plusIvEEiEEDaPvRmT3_T4_T5_mT6_P12ihipStream_tbENKUlT_T0_E_clISt17integral_constantIbLb0EESQ_IbLb1EEEEDaSM_SN_EUlSM_E0_NS1_11comp_targetILNS1_3genE10ELNS1_11target_archE1201ELNS1_3gpuE5ELNS1_3repE0EEENS1_30default_config_static_selectorELNS0_4arch9wavefront6targetE1EEEvT1_.kd
    .uniform_work_group_size: 1
    .uses_dynamic_stack: false
    .vgpr_count:     0
    .vgpr_spill_count: 0
    .wavefront_size: 64
  - .agpr_count:     0
    .args:
      - .offset:         0
        .size:           32
        .value_kind:     by_value
    .group_segment_fixed_size: 0
    .kernarg_segment_align: 8
    .kernarg_segment_size: 32
    .language:       OpenCL C
    .language_version:
      - 2
      - 0
    .max_flat_workgroup_size: 256
    .name:           _ZN7rocprim17ROCPRIM_400000_NS6detail17trampoline_kernelINS0_14default_configENS1_20scan_config_selectorIiEEZZNS1_9scan_implILNS1_25lookback_scan_determinismE0ELb0ELb0ES3_N6thrust23THRUST_200600_302600_NS10device_ptrIiEESB_iNS9_4plusIvEEiEEDaPvRmT3_T4_T5_mT6_P12ihipStream_tbENKUlT_T0_E_clISt17integral_constantIbLb0EESQ_IbLb1EEEEDaSM_SN_EUlSM_E0_NS1_11comp_targetILNS1_3genE10ELNS1_11target_archE1200ELNS1_3gpuE4ELNS1_3repE0EEENS1_30default_config_static_selectorELNS0_4arch9wavefront6targetE1EEEvT1_
    .private_segment_fixed_size: 0
    .sgpr_count:     4
    .sgpr_spill_count: 0
    .symbol:         _ZN7rocprim17ROCPRIM_400000_NS6detail17trampoline_kernelINS0_14default_configENS1_20scan_config_selectorIiEEZZNS1_9scan_implILNS1_25lookback_scan_determinismE0ELb0ELb0ES3_N6thrust23THRUST_200600_302600_NS10device_ptrIiEESB_iNS9_4plusIvEEiEEDaPvRmT3_T4_T5_mT6_P12ihipStream_tbENKUlT_T0_E_clISt17integral_constantIbLb0EESQ_IbLb1EEEEDaSM_SN_EUlSM_E0_NS1_11comp_targetILNS1_3genE10ELNS1_11target_archE1200ELNS1_3gpuE4ELNS1_3repE0EEENS1_30default_config_static_selectorELNS0_4arch9wavefront6targetE1EEEvT1_.kd
    .uniform_work_group_size: 1
    .uses_dynamic_stack: false
    .vgpr_count:     0
    .vgpr_spill_count: 0
    .wavefront_size: 64
  - .agpr_count:     0
    .args:
      - .offset:         0
        .size:           32
        .value_kind:     by_value
    .group_segment_fixed_size: 0
    .kernarg_segment_align: 8
    .kernarg_segment_size: 32
    .language:       OpenCL C
    .language_version:
      - 2
      - 0
    .max_flat_workgroup_size: 256
    .name:           _ZN7rocprim17ROCPRIM_400000_NS6detail17trampoline_kernelINS0_14default_configENS1_20scan_config_selectorIiEEZZNS1_9scan_implILNS1_25lookback_scan_determinismE0ELb0ELb0ES3_N6thrust23THRUST_200600_302600_NS10device_ptrIiEESB_iNS9_4plusIvEEiEEDaPvRmT3_T4_T5_mT6_P12ihipStream_tbENKUlT_T0_E_clISt17integral_constantIbLb0EESQ_IbLb1EEEEDaSM_SN_EUlSM_E0_NS1_11comp_targetILNS1_3genE9ELNS1_11target_archE1100ELNS1_3gpuE3ELNS1_3repE0EEENS1_30default_config_static_selectorELNS0_4arch9wavefront6targetE1EEEvT1_
    .private_segment_fixed_size: 0
    .sgpr_count:     4
    .sgpr_spill_count: 0
    .symbol:         _ZN7rocprim17ROCPRIM_400000_NS6detail17trampoline_kernelINS0_14default_configENS1_20scan_config_selectorIiEEZZNS1_9scan_implILNS1_25lookback_scan_determinismE0ELb0ELb0ES3_N6thrust23THRUST_200600_302600_NS10device_ptrIiEESB_iNS9_4plusIvEEiEEDaPvRmT3_T4_T5_mT6_P12ihipStream_tbENKUlT_T0_E_clISt17integral_constantIbLb0EESQ_IbLb1EEEEDaSM_SN_EUlSM_E0_NS1_11comp_targetILNS1_3genE9ELNS1_11target_archE1100ELNS1_3gpuE3ELNS1_3repE0EEENS1_30default_config_static_selectorELNS0_4arch9wavefront6targetE1EEEvT1_.kd
    .uniform_work_group_size: 1
    .uses_dynamic_stack: false
    .vgpr_count:     0
    .vgpr_spill_count: 0
    .wavefront_size: 64
  - .agpr_count:     0
    .args:
      - .offset:         0
        .size:           32
        .value_kind:     by_value
    .group_segment_fixed_size: 0
    .kernarg_segment_align: 8
    .kernarg_segment_size: 32
    .language:       OpenCL C
    .language_version:
      - 2
      - 0
    .max_flat_workgroup_size: 64
    .name:           _ZN7rocprim17ROCPRIM_400000_NS6detail17trampoline_kernelINS0_14default_configENS1_20scan_config_selectorIiEEZZNS1_9scan_implILNS1_25lookback_scan_determinismE0ELb0ELb0ES3_N6thrust23THRUST_200600_302600_NS10device_ptrIiEESB_iNS9_4plusIvEEiEEDaPvRmT3_T4_T5_mT6_P12ihipStream_tbENKUlT_T0_E_clISt17integral_constantIbLb0EESQ_IbLb1EEEEDaSM_SN_EUlSM_E0_NS1_11comp_targetILNS1_3genE8ELNS1_11target_archE1030ELNS1_3gpuE2ELNS1_3repE0EEENS1_30default_config_static_selectorELNS0_4arch9wavefront6targetE1EEEvT1_
    .private_segment_fixed_size: 0
    .sgpr_count:     4
    .sgpr_spill_count: 0
    .symbol:         _ZN7rocprim17ROCPRIM_400000_NS6detail17trampoline_kernelINS0_14default_configENS1_20scan_config_selectorIiEEZZNS1_9scan_implILNS1_25lookback_scan_determinismE0ELb0ELb0ES3_N6thrust23THRUST_200600_302600_NS10device_ptrIiEESB_iNS9_4plusIvEEiEEDaPvRmT3_T4_T5_mT6_P12ihipStream_tbENKUlT_T0_E_clISt17integral_constantIbLb0EESQ_IbLb1EEEEDaSM_SN_EUlSM_E0_NS1_11comp_targetILNS1_3genE8ELNS1_11target_archE1030ELNS1_3gpuE2ELNS1_3repE0EEENS1_30default_config_static_selectorELNS0_4arch9wavefront6targetE1EEEvT1_.kd
    .uniform_work_group_size: 1
    .uses_dynamic_stack: false
    .vgpr_count:     0
    .vgpr_spill_count: 0
    .wavefront_size: 64
  - .agpr_count:     0
    .args:
      - .offset:         0
        .size:           96
        .value_kind:     by_value
    .group_segment_fixed_size: 0
    .kernarg_segment_align: 8
    .kernarg_segment_size: 96
    .language:       OpenCL C
    .language_version:
      - 2
      - 0
    .max_flat_workgroup_size: 256
    .name:           _ZN7rocprim17ROCPRIM_400000_NS6detail17trampoline_kernelINS0_14default_configENS1_20scan_config_selectorIiEEZZNS1_9scan_implILNS1_25lookback_scan_determinismE0ELb1ELb1ES3_N6thrust23THRUST_200600_302600_NS10device_ptrIiEESB_iNS9_4plusIvEEiEEDaPvRmT3_T4_T5_mT6_P12ihipStream_tbENKUlT_T0_E_clISt17integral_constantIbLb0EESR_EEDaSM_SN_EUlSM_E_NS1_11comp_targetILNS1_3genE0ELNS1_11target_archE4294967295ELNS1_3gpuE0ELNS1_3repE0EEENS1_30default_config_static_selectorELNS0_4arch9wavefront6targetE1EEEvT1_
    .private_segment_fixed_size: 0
    .sgpr_count:     4
    .sgpr_spill_count: 0
    .symbol:         _ZN7rocprim17ROCPRIM_400000_NS6detail17trampoline_kernelINS0_14default_configENS1_20scan_config_selectorIiEEZZNS1_9scan_implILNS1_25lookback_scan_determinismE0ELb1ELb1ES3_N6thrust23THRUST_200600_302600_NS10device_ptrIiEESB_iNS9_4plusIvEEiEEDaPvRmT3_T4_T5_mT6_P12ihipStream_tbENKUlT_T0_E_clISt17integral_constantIbLb0EESR_EEDaSM_SN_EUlSM_E_NS1_11comp_targetILNS1_3genE0ELNS1_11target_archE4294967295ELNS1_3gpuE0ELNS1_3repE0EEENS1_30default_config_static_selectorELNS0_4arch9wavefront6targetE1EEEvT1_.kd
    .uniform_work_group_size: 1
    .uses_dynamic_stack: false
    .vgpr_count:     0
    .vgpr_spill_count: 0
    .wavefront_size: 64
  - .agpr_count:     0
    .args:
      - .offset:         0
        .size:           96
        .value_kind:     by_value
    .group_segment_fixed_size: 0
    .kernarg_segment_align: 8
    .kernarg_segment_size: 96
    .language:       OpenCL C
    .language_version:
      - 2
      - 0
    .max_flat_workgroup_size: 256
    .name:           _ZN7rocprim17ROCPRIM_400000_NS6detail17trampoline_kernelINS0_14default_configENS1_20scan_config_selectorIiEEZZNS1_9scan_implILNS1_25lookback_scan_determinismE0ELb1ELb1ES3_N6thrust23THRUST_200600_302600_NS10device_ptrIiEESB_iNS9_4plusIvEEiEEDaPvRmT3_T4_T5_mT6_P12ihipStream_tbENKUlT_T0_E_clISt17integral_constantIbLb0EESR_EEDaSM_SN_EUlSM_E_NS1_11comp_targetILNS1_3genE5ELNS1_11target_archE942ELNS1_3gpuE9ELNS1_3repE0EEENS1_30default_config_static_selectorELNS0_4arch9wavefront6targetE1EEEvT1_
    .private_segment_fixed_size: 0
    .sgpr_count:     4
    .sgpr_spill_count: 0
    .symbol:         _ZN7rocprim17ROCPRIM_400000_NS6detail17trampoline_kernelINS0_14default_configENS1_20scan_config_selectorIiEEZZNS1_9scan_implILNS1_25lookback_scan_determinismE0ELb1ELb1ES3_N6thrust23THRUST_200600_302600_NS10device_ptrIiEESB_iNS9_4plusIvEEiEEDaPvRmT3_T4_T5_mT6_P12ihipStream_tbENKUlT_T0_E_clISt17integral_constantIbLb0EESR_EEDaSM_SN_EUlSM_E_NS1_11comp_targetILNS1_3genE5ELNS1_11target_archE942ELNS1_3gpuE9ELNS1_3repE0EEENS1_30default_config_static_selectorELNS0_4arch9wavefront6targetE1EEEvT1_.kd
    .uniform_work_group_size: 1
    .uses_dynamic_stack: false
    .vgpr_count:     0
    .vgpr_spill_count: 0
    .wavefront_size: 64
  - .agpr_count:     0
    .args:
      - .offset:         0
        .size:           96
        .value_kind:     by_value
    .group_segment_fixed_size: 5120
    .kernarg_segment_align: 8
    .kernarg_segment_size: 96
    .language:       OpenCL C
    .language_version:
      - 2
      - 0
    .max_flat_workgroup_size: 128
    .name:           _ZN7rocprim17ROCPRIM_400000_NS6detail17trampoline_kernelINS0_14default_configENS1_20scan_config_selectorIiEEZZNS1_9scan_implILNS1_25lookback_scan_determinismE0ELb1ELb1ES3_N6thrust23THRUST_200600_302600_NS10device_ptrIiEESB_iNS9_4plusIvEEiEEDaPvRmT3_T4_T5_mT6_P12ihipStream_tbENKUlT_T0_E_clISt17integral_constantIbLb0EESR_EEDaSM_SN_EUlSM_E_NS1_11comp_targetILNS1_3genE4ELNS1_11target_archE910ELNS1_3gpuE8ELNS1_3repE0EEENS1_30default_config_static_selectorELNS0_4arch9wavefront6targetE1EEEvT1_
    .private_segment_fixed_size: 0
    .sgpr_count:     33
    .sgpr_spill_count: 0
    .symbol:         _ZN7rocprim17ROCPRIM_400000_NS6detail17trampoline_kernelINS0_14default_configENS1_20scan_config_selectorIiEEZZNS1_9scan_implILNS1_25lookback_scan_determinismE0ELb1ELb1ES3_N6thrust23THRUST_200600_302600_NS10device_ptrIiEESB_iNS9_4plusIvEEiEEDaPvRmT3_T4_T5_mT6_P12ihipStream_tbENKUlT_T0_E_clISt17integral_constantIbLb0EESR_EEDaSM_SN_EUlSM_E_NS1_11comp_targetILNS1_3genE4ELNS1_11target_archE910ELNS1_3gpuE8ELNS1_3repE0EEENS1_30default_config_static_selectorELNS0_4arch9wavefront6targetE1EEEvT1_.kd
    .uniform_work_group_size: 1
    .uses_dynamic_stack: false
    .vgpr_count:     41
    .vgpr_spill_count: 0
    .wavefront_size: 64
  - .agpr_count:     0
    .args:
      - .offset:         0
        .size:           96
        .value_kind:     by_value
    .group_segment_fixed_size: 0
    .kernarg_segment_align: 8
    .kernarg_segment_size: 96
    .language:       OpenCL C
    .language_version:
      - 2
      - 0
    .max_flat_workgroup_size: 256
    .name:           _ZN7rocprim17ROCPRIM_400000_NS6detail17trampoline_kernelINS0_14default_configENS1_20scan_config_selectorIiEEZZNS1_9scan_implILNS1_25lookback_scan_determinismE0ELb1ELb1ES3_N6thrust23THRUST_200600_302600_NS10device_ptrIiEESB_iNS9_4plusIvEEiEEDaPvRmT3_T4_T5_mT6_P12ihipStream_tbENKUlT_T0_E_clISt17integral_constantIbLb0EESR_EEDaSM_SN_EUlSM_E_NS1_11comp_targetILNS1_3genE3ELNS1_11target_archE908ELNS1_3gpuE7ELNS1_3repE0EEENS1_30default_config_static_selectorELNS0_4arch9wavefront6targetE1EEEvT1_
    .private_segment_fixed_size: 0
    .sgpr_count:     4
    .sgpr_spill_count: 0
    .symbol:         _ZN7rocprim17ROCPRIM_400000_NS6detail17trampoline_kernelINS0_14default_configENS1_20scan_config_selectorIiEEZZNS1_9scan_implILNS1_25lookback_scan_determinismE0ELb1ELb1ES3_N6thrust23THRUST_200600_302600_NS10device_ptrIiEESB_iNS9_4plusIvEEiEEDaPvRmT3_T4_T5_mT6_P12ihipStream_tbENKUlT_T0_E_clISt17integral_constantIbLb0EESR_EEDaSM_SN_EUlSM_E_NS1_11comp_targetILNS1_3genE3ELNS1_11target_archE908ELNS1_3gpuE7ELNS1_3repE0EEENS1_30default_config_static_selectorELNS0_4arch9wavefront6targetE1EEEvT1_.kd
    .uniform_work_group_size: 1
    .uses_dynamic_stack: false
    .vgpr_count:     0
    .vgpr_spill_count: 0
    .wavefront_size: 64
  - .agpr_count:     0
    .args:
      - .offset:         0
        .size:           96
        .value_kind:     by_value
    .group_segment_fixed_size: 0
    .kernarg_segment_align: 8
    .kernarg_segment_size: 96
    .language:       OpenCL C
    .language_version:
      - 2
      - 0
    .max_flat_workgroup_size: 256
    .name:           _ZN7rocprim17ROCPRIM_400000_NS6detail17trampoline_kernelINS0_14default_configENS1_20scan_config_selectorIiEEZZNS1_9scan_implILNS1_25lookback_scan_determinismE0ELb1ELb1ES3_N6thrust23THRUST_200600_302600_NS10device_ptrIiEESB_iNS9_4plusIvEEiEEDaPvRmT3_T4_T5_mT6_P12ihipStream_tbENKUlT_T0_E_clISt17integral_constantIbLb0EESR_EEDaSM_SN_EUlSM_E_NS1_11comp_targetILNS1_3genE2ELNS1_11target_archE906ELNS1_3gpuE6ELNS1_3repE0EEENS1_30default_config_static_selectorELNS0_4arch9wavefront6targetE1EEEvT1_
    .private_segment_fixed_size: 0
    .sgpr_count:     4
    .sgpr_spill_count: 0
    .symbol:         _ZN7rocprim17ROCPRIM_400000_NS6detail17trampoline_kernelINS0_14default_configENS1_20scan_config_selectorIiEEZZNS1_9scan_implILNS1_25lookback_scan_determinismE0ELb1ELb1ES3_N6thrust23THRUST_200600_302600_NS10device_ptrIiEESB_iNS9_4plusIvEEiEEDaPvRmT3_T4_T5_mT6_P12ihipStream_tbENKUlT_T0_E_clISt17integral_constantIbLb0EESR_EEDaSM_SN_EUlSM_E_NS1_11comp_targetILNS1_3genE2ELNS1_11target_archE906ELNS1_3gpuE6ELNS1_3repE0EEENS1_30default_config_static_selectorELNS0_4arch9wavefront6targetE1EEEvT1_.kd
    .uniform_work_group_size: 1
    .uses_dynamic_stack: false
    .vgpr_count:     0
    .vgpr_spill_count: 0
    .wavefront_size: 64
  - .agpr_count:     0
    .args:
      - .offset:         0
        .size:           96
        .value_kind:     by_value
    .group_segment_fixed_size: 0
    .kernarg_segment_align: 8
    .kernarg_segment_size: 96
    .language:       OpenCL C
    .language_version:
      - 2
      - 0
    .max_flat_workgroup_size: 256
    .name:           _ZN7rocprim17ROCPRIM_400000_NS6detail17trampoline_kernelINS0_14default_configENS1_20scan_config_selectorIiEEZZNS1_9scan_implILNS1_25lookback_scan_determinismE0ELb1ELb1ES3_N6thrust23THRUST_200600_302600_NS10device_ptrIiEESB_iNS9_4plusIvEEiEEDaPvRmT3_T4_T5_mT6_P12ihipStream_tbENKUlT_T0_E_clISt17integral_constantIbLb0EESR_EEDaSM_SN_EUlSM_E_NS1_11comp_targetILNS1_3genE10ELNS1_11target_archE1201ELNS1_3gpuE5ELNS1_3repE0EEENS1_30default_config_static_selectorELNS0_4arch9wavefront6targetE1EEEvT1_
    .private_segment_fixed_size: 0
    .sgpr_count:     4
    .sgpr_spill_count: 0
    .symbol:         _ZN7rocprim17ROCPRIM_400000_NS6detail17trampoline_kernelINS0_14default_configENS1_20scan_config_selectorIiEEZZNS1_9scan_implILNS1_25lookback_scan_determinismE0ELb1ELb1ES3_N6thrust23THRUST_200600_302600_NS10device_ptrIiEESB_iNS9_4plusIvEEiEEDaPvRmT3_T4_T5_mT6_P12ihipStream_tbENKUlT_T0_E_clISt17integral_constantIbLb0EESR_EEDaSM_SN_EUlSM_E_NS1_11comp_targetILNS1_3genE10ELNS1_11target_archE1201ELNS1_3gpuE5ELNS1_3repE0EEENS1_30default_config_static_selectorELNS0_4arch9wavefront6targetE1EEEvT1_.kd
    .uniform_work_group_size: 1
    .uses_dynamic_stack: false
    .vgpr_count:     0
    .vgpr_spill_count: 0
    .wavefront_size: 64
  - .agpr_count:     0
    .args:
      - .offset:         0
        .size:           96
        .value_kind:     by_value
    .group_segment_fixed_size: 0
    .kernarg_segment_align: 8
    .kernarg_segment_size: 96
    .language:       OpenCL C
    .language_version:
      - 2
      - 0
    .max_flat_workgroup_size: 256
    .name:           _ZN7rocprim17ROCPRIM_400000_NS6detail17trampoline_kernelINS0_14default_configENS1_20scan_config_selectorIiEEZZNS1_9scan_implILNS1_25lookback_scan_determinismE0ELb1ELb1ES3_N6thrust23THRUST_200600_302600_NS10device_ptrIiEESB_iNS9_4plusIvEEiEEDaPvRmT3_T4_T5_mT6_P12ihipStream_tbENKUlT_T0_E_clISt17integral_constantIbLb0EESR_EEDaSM_SN_EUlSM_E_NS1_11comp_targetILNS1_3genE10ELNS1_11target_archE1200ELNS1_3gpuE4ELNS1_3repE0EEENS1_30default_config_static_selectorELNS0_4arch9wavefront6targetE1EEEvT1_
    .private_segment_fixed_size: 0
    .sgpr_count:     4
    .sgpr_spill_count: 0
    .symbol:         _ZN7rocprim17ROCPRIM_400000_NS6detail17trampoline_kernelINS0_14default_configENS1_20scan_config_selectorIiEEZZNS1_9scan_implILNS1_25lookback_scan_determinismE0ELb1ELb1ES3_N6thrust23THRUST_200600_302600_NS10device_ptrIiEESB_iNS9_4plusIvEEiEEDaPvRmT3_T4_T5_mT6_P12ihipStream_tbENKUlT_T0_E_clISt17integral_constantIbLb0EESR_EEDaSM_SN_EUlSM_E_NS1_11comp_targetILNS1_3genE10ELNS1_11target_archE1200ELNS1_3gpuE4ELNS1_3repE0EEENS1_30default_config_static_selectorELNS0_4arch9wavefront6targetE1EEEvT1_.kd
    .uniform_work_group_size: 1
    .uses_dynamic_stack: false
    .vgpr_count:     0
    .vgpr_spill_count: 0
    .wavefront_size: 64
  - .agpr_count:     0
    .args:
      - .offset:         0
        .size:           96
        .value_kind:     by_value
    .group_segment_fixed_size: 0
    .kernarg_segment_align: 8
    .kernarg_segment_size: 96
    .language:       OpenCL C
    .language_version:
      - 2
      - 0
    .max_flat_workgroup_size: 256
    .name:           _ZN7rocprim17ROCPRIM_400000_NS6detail17trampoline_kernelINS0_14default_configENS1_20scan_config_selectorIiEEZZNS1_9scan_implILNS1_25lookback_scan_determinismE0ELb1ELb1ES3_N6thrust23THRUST_200600_302600_NS10device_ptrIiEESB_iNS9_4plusIvEEiEEDaPvRmT3_T4_T5_mT6_P12ihipStream_tbENKUlT_T0_E_clISt17integral_constantIbLb0EESR_EEDaSM_SN_EUlSM_E_NS1_11comp_targetILNS1_3genE9ELNS1_11target_archE1100ELNS1_3gpuE3ELNS1_3repE0EEENS1_30default_config_static_selectorELNS0_4arch9wavefront6targetE1EEEvT1_
    .private_segment_fixed_size: 0
    .sgpr_count:     4
    .sgpr_spill_count: 0
    .symbol:         _ZN7rocprim17ROCPRIM_400000_NS6detail17trampoline_kernelINS0_14default_configENS1_20scan_config_selectorIiEEZZNS1_9scan_implILNS1_25lookback_scan_determinismE0ELb1ELb1ES3_N6thrust23THRUST_200600_302600_NS10device_ptrIiEESB_iNS9_4plusIvEEiEEDaPvRmT3_T4_T5_mT6_P12ihipStream_tbENKUlT_T0_E_clISt17integral_constantIbLb0EESR_EEDaSM_SN_EUlSM_E_NS1_11comp_targetILNS1_3genE9ELNS1_11target_archE1100ELNS1_3gpuE3ELNS1_3repE0EEENS1_30default_config_static_selectorELNS0_4arch9wavefront6targetE1EEEvT1_.kd
    .uniform_work_group_size: 1
    .uses_dynamic_stack: false
    .vgpr_count:     0
    .vgpr_spill_count: 0
    .wavefront_size: 64
  - .agpr_count:     0
    .args:
      - .offset:         0
        .size:           96
        .value_kind:     by_value
    .group_segment_fixed_size: 0
    .kernarg_segment_align: 8
    .kernarg_segment_size: 96
    .language:       OpenCL C
    .language_version:
      - 2
      - 0
    .max_flat_workgroup_size: 64
    .name:           _ZN7rocprim17ROCPRIM_400000_NS6detail17trampoline_kernelINS0_14default_configENS1_20scan_config_selectorIiEEZZNS1_9scan_implILNS1_25lookback_scan_determinismE0ELb1ELb1ES3_N6thrust23THRUST_200600_302600_NS10device_ptrIiEESB_iNS9_4plusIvEEiEEDaPvRmT3_T4_T5_mT6_P12ihipStream_tbENKUlT_T0_E_clISt17integral_constantIbLb0EESR_EEDaSM_SN_EUlSM_E_NS1_11comp_targetILNS1_3genE8ELNS1_11target_archE1030ELNS1_3gpuE2ELNS1_3repE0EEENS1_30default_config_static_selectorELNS0_4arch9wavefront6targetE1EEEvT1_
    .private_segment_fixed_size: 0
    .sgpr_count:     4
    .sgpr_spill_count: 0
    .symbol:         _ZN7rocprim17ROCPRIM_400000_NS6detail17trampoline_kernelINS0_14default_configENS1_20scan_config_selectorIiEEZZNS1_9scan_implILNS1_25lookback_scan_determinismE0ELb1ELb1ES3_N6thrust23THRUST_200600_302600_NS10device_ptrIiEESB_iNS9_4plusIvEEiEEDaPvRmT3_T4_T5_mT6_P12ihipStream_tbENKUlT_T0_E_clISt17integral_constantIbLb0EESR_EEDaSM_SN_EUlSM_E_NS1_11comp_targetILNS1_3genE8ELNS1_11target_archE1030ELNS1_3gpuE2ELNS1_3repE0EEENS1_30default_config_static_selectorELNS0_4arch9wavefront6targetE1EEEvT1_.kd
    .uniform_work_group_size: 1
    .uses_dynamic_stack: false
    .vgpr_count:     0
    .vgpr_spill_count: 0
    .wavefront_size: 64
  - .agpr_count:     0
    .args:
      - .offset:         0
        .size:           32
        .value_kind:     by_value
    .group_segment_fixed_size: 0
    .kernarg_segment_align: 8
    .kernarg_segment_size: 32
    .language:       OpenCL C
    .language_version:
      - 2
      - 0
    .max_flat_workgroup_size: 256
    .name:           _ZN7rocprim17ROCPRIM_400000_NS6detail17trampoline_kernelINS0_14default_configENS1_20scan_config_selectorIiEEZZNS1_9scan_implILNS1_25lookback_scan_determinismE0ELb1ELb1ES3_N6thrust23THRUST_200600_302600_NS10device_ptrIiEESB_iNS9_4plusIvEEiEEDaPvRmT3_T4_T5_mT6_P12ihipStream_tbENKUlT_T0_E_clISt17integral_constantIbLb0EESR_EEDaSM_SN_EUlSM_E0_NS1_11comp_targetILNS1_3genE0ELNS1_11target_archE4294967295ELNS1_3gpuE0ELNS1_3repE0EEENS1_30default_config_static_selectorELNS0_4arch9wavefront6targetE1EEEvT1_
    .private_segment_fixed_size: 0
    .sgpr_count:     4
    .sgpr_spill_count: 0
    .symbol:         _ZN7rocprim17ROCPRIM_400000_NS6detail17trampoline_kernelINS0_14default_configENS1_20scan_config_selectorIiEEZZNS1_9scan_implILNS1_25lookback_scan_determinismE0ELb1ELb1ES3_N6thrust23THRUST_200600_302600_NS10device_ptrIiEESB_iNS9_4plusIvEEiEEDaPvRmT3_T4_T5_mT6_P12ihipStream_tbENKUlT_T0_E_clISt17integral_constantIbLb0EESR_EEDaSM_SN_EUlSM_E0_NS1_11comp_targetILNS1_3genE0ELNS1_11target_archE4294967295ELNS1_3gpuE0ELNS1_3repE0EEENS1_30default_config_static_selectorELNS0_4arch9wavefront6targetE1EEEvT1_.kd
    .uniform_work_group_size: 1
    .uses_dynamic_stack: false
    .vgpr_count:     0
    .vgpr_spill_count: 0
    .wavefront_size: 64
  - .agpr_count:     0
    .args:
      - .offset:         0
        .size:           32
        .value_kind:     by_value
    .group_segment_fixed_size: 0
    .kernarg_segment_align: 8
    .kernarg_segment_size: 32
    .language:       OpenCL C
    .language_version:
      - 2
      - 0
    .max_flat_workgroup_size: 256
    .name:           _ZN7rocprim17ROCPRIM_400000_NS6detail17trampoline_kernelINS0_14default_configENS1_20scan_config_selectorIiEEZZNS1_9scan_implILNS1_25lookback_scan_determinismE0ELb1ELb1ES3_N6thrust23THRUST_200600_302600_NS10device_ptrIiEESB_iNS9_4plusIvEEiEEDaPvRmT3_T4_T5_mT6_P12ihipStream_tbENKUlT_T0_E_clISt17integral_constantIbLb0EESR_EEDaSM_SN_EUlSM_E0_NS1_11comp_targetILNS1_3genE5ELNS1_11target_archE942ELNS1_3gpuE9ELNS1_3repE0EEENS1_30default_config_static_selectorELNS0_4arch9wavefront6targetE1EEEvT1_
    .private_segment_fixed_size: 0
    .sgpr_count:     4
    .sgpr_spill_count: 0
    .symbol:         _ZN7rocprim17ROCPRIM_400000_NS6detail17trampoline_kernelINS0_14default_configENS1_20scan_config_selectorIiEEZZNS1_9scan_implILNS1_25lookback_scan_determinismE0ELb1ELb1ES3_N6thrust23THRUST_200600_302600_NS10device_ptrIiEESB_iNS9_4plusIvEEiEEDaPvRmT3_T4_T5_mT6_P12ihipStream_tbENKUlT_T0_E_clISt17integral_constantIbLb0EESR_EEDaSM_SN_EUlSM_E0_NS1_11comp_targetILNS1_3genE5ELNS1_11target_archE942ELNS1_3gpuE9ELNS1_3repE0EEENS1_30default_config_static_selectorELNS0_4arch9wavefront6targetE1EEEvT1_.kd
    .uniform_work_group_size: 1
    .uses_dynamic_stack: false
    .vgpr_count:     0
    .vgpr_spill_count: 0
    .wavefront_size: 64
  - .agpr_count:     0
    .args:
      - .offset:         0
        .size:           32
        .value_kind:     by_value
    .group_segment_fixed_size: 5120
    .kernarg_segment_align: 8
    .kernarg_segment_size: 32
    .language:       OpenCL C
    .language_version:
      - 2
      - 0
    .max_flat_workgroup_size: 128
    .name:           _ZN7rocprim17ROCPRIM_400000_NS6detail17trampoline_kernelINS0_14default_configENS1_20scan_config_selectorIiEEZZNS1_9scan_implILNS1_25lookback_scan_determinismE0ELb1ELb1ES3_N6thrust23THRUST_200600_302600_NS10device_ptrIiEESB_iNS9_4plusIvEEiEEDaPvRmT3_T4_T5_mT6_P12ihipStream_tbENKUlT_T0_E_clISt17integral_constantIbLb0EESR_EEDaSM_SN_EUlSM_E0_NS1_11comp_targetILNS1_3genE4ELNS1_11target_archE910ELNS1_3gpuE8ELNS1_3repE0EEENS1_30default_config_static_selectorELNS0_4arch9wavefront6targetE1EEEvT1_
    .private_segment_fixed_size: 0
    .sgpr_count:     29
    .sgpr_spill_count: 0
    .symbol:         _ZN7rocprim17ROCPRIM_400000_NS6detail17trampoline_kernelINS0_14default_configENS1_20scan_config_selectorIiEEZZNS1_9scan_implILNS1_25lookback_scan_determinismE0ELb1ELb1ES3_N6thrust23THRUST_200600_302600_NS10device_ptrIiEESB_iNS9_4plusIvEEiEEDaPvRmT3_T4_T5_mT6_P12ihipStream_tbENKUlT_T0_E_clISt17integral_constantIbLb0EESR_EEDaSM_SN_EUlSM_E0_NS1_11comp_targetILNS1_3genE4ELNS1_11target_archE910ELNS1_3gpuE8ELNS1_3repE0EEENS1_30default_config_static_selectorELNS0_4arch9wavefront6targetE1EEEvT1_.kd
    .uniform_work_group_size: 1
    .uses_dynamic_stack: false
    .vgpr_count:     18
    .vgpr_spill_count: 0
    .wavefront_size: 64
  - .agpr_count:     0
    .args:
      - .offset:         0
        .size:           32
        .value_kind:     by_value
    .group_segment_fixed_size: 0
    .kernarg_segment_align: 8
    .kernarg_segment_size: 32
    .language:       OpenCL C
    .language_version:
      - 2
      - 0
    .max_flat_workgroup_size: 256
    .name:           _ZN7rocprim17ROCPRIM_400000_NS6detail17trampoline_kernelINS0_14default_configENS1_20scan_config_selectorIiEEZZNS1_9scan_implILNS1_25lookback_scan_determinismE0ELb1ELb1ES3_N6thrust23THRUST_200600_302600_NS10device_ptrIiEESB_iNS9_4plusIvEEiEEDaPvRmT3_T4_T5_mT6_P12ihipStream_tbENKUlT_T0_E_clISt17integral_constantIbLb0EESR_EEDaSM_SN_EUlSM_E0_NS1_11comp_targetILNS1_3genE3ELNS1_11target_archE908ELNS1_3gpuE7ELNS1_3repE0EEENS1_30default_config_static_selectorELNS0_4arch9wavefront6targetE1EEEvT1_
    .private_segment_fixed_size: 0
    .sgpr_count:     4
    .sgpr_spill_count: 0
    .symbol:         _ZN7rocprim17ROCPRIM_400000_NS6detail17trampoline_kernelINS0_14default_configENS1_20scan_config_selectorIiEEZZNS1_9scan_implILNS1_25lookback_scan_determinismE0ELb1ELb1ES3_N6thrust23THRUST_200600_302600_NS10device_ptrIiEESB_iNS9_4plusIvEEiEEDaPvRmT3_T4_T5_mT6_P12ihipStream_tbENKUlT_T0_E_clISt17integral_constantIbLb0EESR_EEDaSM_SN_EUlSM_E0_NS1_11comp_targetILNS1_3genE3ELNS1_11target_archE908ELNS1_3gpuE7ELNS1_3repE0EEENS1_30default_config_static_selectorELNS0_4arch9wavefront6targetE1EEEvT1_.kd
    .uniform_work_group_size: 1
    .uses_dynamic_stack: false
    .vgpr_count:     0
    .vgpr_spill_count: 0
    .wavefront_size: 64
  - .agpr_count:     0
    .args:
      - .offset:         0
        .size:           32
        .value_kind:     by_value
    .group_segment_fixed_size: 0
    .kernarg_segment_align: 8
    .kernarg_segment_size: 32
    .language:       OpenCL C
    .language_version:
      - 2
      - 0
    .max_flat_workgroup_size: 256
    .name:           _ZN7rocprim17ROCPRIM_400000_NS6detail17trampoline_kernelINS0_14default_configENS1_20scan_config_selectorIiEEZZNS1_9scan_implILNS1_25lookback_scan_determinismE0ELb1ELb1ES3_N6thrust23THRUST_200600_302600_NS10device_ptrIiEESB_iNS9_4plusIvEEiEEDaPvRmT3_T4_T5_mT6_P12ihipStream_tbENKUlT_T0_E_clISt17integral_constantIbLb0EESR_EEDaSM_SN_EUlSM_E0_NS1_11comp_targetILNS1_3genE2ELNS1_11target_archE906ELNS1_3gpuE6ELNS1_3repE0EEENS1_30default_config_static_selectorELNS0_4arch9wavefront6targetE1EEEvT1_
    .private_segment_fixed_size: 0
    .sgpr_count:     4
    .sgpr_spill_count: 0
    .symbol:         _ZN7rocprim17ROCPRIM_400000_NS6detail17trampoline_kernelINS0_14default_configENS1_20scan_config_selectorIiEEZZNS1_9scan_implILNS1_25lookback_scan_determinismE0ELb1ELb1ES3_N6thrust23THRUST_200600_302600_NS10device_ptrIiEESB_iNS9_4plusIvEEiEEDaPvRmT3_T4_T5_mT6_P12ihipStream_tbENKUlT_T0_E_clISt17integral_constantIbLb0EESR_EEDaSM_SN_EUlSM_E0_NS1_11comp_targetILNS1_3genE2ELNS1_11target_archE906ELNS1_3gpuE6ELNS1_3repE0EEENS1_30default_config_static_selectorELNS0_4arch9wavefront6targetE1EEEvT1_.kd
    .uniform_work_group_size: 1
    .uses_dynamic_stack: false
    .vgpr_count:     0
    .vgpr_spill_count: 0
    .wavefront_size: 64
  - .agpr_count:     0
    .args:
      - .offset:         0
        .size:           32
        .value_kind:     by_value
    .group_segment_fixed_size: 0
    .kernarg_segment_align: 8
    .kernarg_segment_size: 32
    .language:       OpenCL C
    .language_version:
      - 2
      - 0
    .max_flat_workgroup_size: 256
    .name:           _ZN7rocprim17ROCPRIM_400000_NS6detail17trampoline_kernelINS0_14default_configENS1_20scan_config_selectorIiEEZZNS1_9scan_implILNS1_25lookback_scan_determinismE0ELb1ELb1ES3_N6thrust23THRUST_200600_302600_NS10device_ptrIiEESB_iNS9_4plusIvEEiEEDaPvRmT3_T4_T5_mT6_P12ihipStream_tbENKUlT_T0_E_clISt17integral_constantIbLb0EESR_EEDaSM_SN_EUlSM_E0_NS1_11comp_targetILNS1_3genE10ELNS1_11target_archE1201ELNS1_3gpuE5ELNS1_3repE0EEENS1_30default_config_static_selectorELNS0_4arch9wavefront6targetE1EEEvT1_
    .private_segment_fixed_size: 0
    .sgpr_count:     4
    .sgpr_spill_count: 0
    .symbol:         _ZN7rocprim17ROCPRIM_400000_NS6detail17trampoline_kernelINS0_14default_configENS1_20scan_config_selectorIiEEZZNS1_9scan_implILNS1_25lookback_scan_determinismE0ELb1ELb1ES3_N6thrust23THRUST_200600_302600_NS10device_ptrIiEESB_iNS9_4plusIvEEiEEDaPvRmT3_T4_T5_mT6_P12ihipStream_tbENKUlT_T0_E_clISt17integral_constantIbLb0EESR_EEDaSM_SN_EUlSM_E0_NS1_11comp_targetILNS1_3genE10ELNS1_11target_archE1201ELNS1_3gpuE5ELNS1_3repE0EEENS1_30default_config_static_selectorELNS0_4arch9wavefront6targetE1EEEvT1_.kd
    .uniform_work_group_size: 1
    .uses_dynamic_stack: false
    .vgpr_count:     0
    .vgpr_spill_count: 0
    .wavefront_size: 64
  - .agpr_count:     0
    .args:
      - .offset:         0
        .size:           32
        .value_kind:     by_value
    .group_segment_fixed_size: 0
    .kernarg_segment_align: 8
    .kernarg_segment_size: 32
    .language:       OpenCL C
    .language_version:
      - 2
      - 0
    .max_flat_workgroup_size: 256
    .name:           _ZN7rocprim17ROCPRIM_400000_NS6detail17trampoline_kernelINS0_14default_configENS1_20scan_config_selectorIiEEZZNS1_9scan_implILNS1_25lookback_scan_determinismE0ELb1ELb1ES3_N6thrust23THRUST_200600_302600_NS10device_ptrIiEESB_iNS9_4plusIvEEiEEDaPvRmT3_T4_T5_mT6_P12ihipStream_tbENKUlT_T0_E_clISt17integral_constantIbLb0EESR_EEDaSM_SN_EUlSM_E0_NS1_11comp_targetILNS1_3genE10ELNS1_11target_archE1200ELNS1_3gpuE4ELNS1_3repE0EEENS1_30default_config_static_selectorELNS0_4arch9wavefront6targetE1EEEvT1_
    .private_segment_fixed_size: 0
    .sgpr_count:     4
    .sgpr_spill_count: 0
    .symbol:         _ZN7rocprim17ROCPRIM_400000_NS6detail17trampoline_kernelINS0_14default_configENS1_20scan_config_selectorIiEEZZNS1_9scan_implILNS1_25lookback_scan_determinismE0ELb1ELb1ES3_N6thrust23THRUST_200600_302600_NS10device_ptrIiEESB_iNS9_4plusIvEEiEEDaPvRmT3_T4_T5_mT6_P12ihipStream_tbENKUlT_T0_E_clISt17integral_constantIbLb0EESR_EEDaSM_SN_EUlSM_E0_NS1_11comp_targetILNS1_3genE10ELNS1_11target_archE1200ELNS1_3gpuE4ELNS1_3repE0EEENS1_30default_config_static_selectorELNS0_4arch9wavefront6targetE1EEEvT1_.kd
    .uniform_work_group_size: 1
    .uses_dynamic_stack: false
    .vgpr_count:     0
    .vgpr_spill_count: 0
    .wavefront_size: 64
  - .agpr_count:     0
    .args:
      - .offset:         0
        .size:           32
        .value_kind:     by_value
    .group_segment_fixed_size: 0
    .kernarg_segment_align: 8
    .kernarg_segment_size: 32
    .language:       OpenCL C
    .language_version:
      - 2
      - 0
    .max_flat_workgroup_size: 256
    .name:           _ZN7rocprim17ROCPRIM_400000_NS6detail17trampoline_kernelINS0_14default_configENS1_20scan_config_selectorIiEEZZNS1_9scan_implILNS1_25lookback_scan_determinismE0ELb1ELb1ES3_N6thrust23THRUST_200600_302600_NS10device_ptrIiEESB_iNS9_4plusIvEEiEEDaPvRmT3_T4_T5_mT6_P12ihipStream_tbENKUlT_T0_E_clISt17integral_constantIbLb0EESR_EEDaSM_SN_EUlSM_E0_NS1_11comp_targetILNS1_3genE9ELNS1_11target_archE1100ELNS1_3gpuE3ELNS1_3repE0EEENS1_30default_config_static_selectorELNS0_4arch9wavefront6targetE1EEEvT1_
    .private_segment_fixed_size: 0
    .sgpr_count:     4
    .sgpr_spill_count: 0
    .symbol:         _ZN7rocprim17ROCPRIM_400000_NS6detail17trampoline_kernelINS0_14default_configENS1_20scan_config_selectorIiEEZZNS1_9scan_implILNS1_25lookback_scan_determinismE0ELb1ELb1ES3_N6thrust23THRUST_200600_302600_NS10device_ptrIiEESB_iNS9_4plusIvEEiEEDaPvRmT3_T4_T5_mT6_P12ihipStream_tbENKUlT_T0_E_clISt17integral_constantIbLb0EESR_EEDaSM_SN_EUlSM_E0_NS1_11comp_targetILNS1_3genE9ELNS1_11target_archE1100ELNS1_3gpuE3ELNS1_3repE0EEENS1_30default_config_static_selectorELNS0_4arch9wavefront6targetE1EEEvT1_.kd
    .uniform_work_group_size: 1
    .uses_dynamic_stack: false
    .vgpr_count:     0
    .vgpr_spill_count: 0
    .wavefront_size: 64
  - .agpr_count:     0
    .args:
      - .offset:         0
        .size:           32
        .value_kind:     by_value
    .group_segment_fixed_size: 0
    .kernarg_segment_align: 8
    .kernarg_segment_size: 32
    .language:       OpenCL C
    .language_version:
      - 2
      - 0
    .max_flat_workgroup_size: 64
    .name:           _ZN7rocprim17ROCPRIM_400000_NS6detail17trampoline_kernelINS0_14default_configENS1_20scan_config_selectorIiEEZZNS1_9scan_implILNS1_25lookback_scan_determinismE0ELb1ELb1ES3_N6thrust23THRUST_200600_302600_NS10device_ptrIiEESB_iNS9_4plusIvEEiEEDaPvRmT3_T4_T5_mT6_P12ihipStream_tbENKUlT_T0_E_clISt17integral_constantIbLb0EESR_EEDaSM_SN_EUlSM_E0_NS1_11comp_targetILNS1_3genE8ELNS1_11target_archE1030ELNS1_3gpuE2ELNS1_3repE0EEENS1_30default_config_static_selectorELNS0_4arch9wavefront6targetE1EEEvT1_
    .private_segment_fixed_size: 0
    .sgpr_count:     4
    .sgpr_spill_count: 0
    .symbol:         _ZN7rocprim17ROCPRIM_400000_NS6detail17trampoline_kernelINS0_14default_configENS1_20scan_config_selectorIiEEZZNS1_9scan_implILNS1_25lookback_scan_determinismE0ELb1ELb1ES3_N6thrust23THRUST_200600_302600_NS10device_ptrIiEESB_iNS9_4plusIvEEiEEDaPvRmT3_T4_T5_mT6_P12ihipStream_tbENKUlT_T0_E_clISt17integral_constantIbLb0EESR_EEDaSM_SN_EUlSM_E0_NS1_11comp_targetILNS1_3genE8ELNS1_11target_archE1030ELNS1_3gpuE2ELNS1_3repE0EEENS1_30default_config_static_selectorELNS0_4arch9wavefront6targetE1EEEvT1_.kd
    .uniform_work_group_size: 1
    .uses_dynamic_stack: false
    .vgpr_count:     0
    .vgpr_spill_count: 0
    .wavefront_size: 64
  - .agpr_count:     0
    .args:
      - .offset:         0
        .size:           96
        .value_kind:     by_value
    .group_segment_fixed_size: 0
    .kernarg_segment_align: 8
    .kernarg_segment_size: 96
    .language:       OpenCL C
    .language_version:
      - 2
      - 0
    .max_flat_workgroup_size: 256
    .name:           _ZN7rocprim17ROCPRIM_400000_NS6detail17trampoline_kernelINS0_14default_configENS1_20scan_config_selectorIiEEZZNS1_9scan_implILNS1_25lookback_scan_determinismE0ELb1ELb1ES3_N6thrust23THRUST_200600_302600_NS10device_ptrIiEESB_iNS9_4plusIvEEiEEDaPvRmT3_T4_T5_mT6_P12ihipStream_tbENKUlT_T0_E_clISt17integral_constantIbLb1EESR_EEDaSM_SN_EUlSM_E_NS1_11comp_targetILNS1_3genE0ELNS1_11target_archE4294967295ELNS1_3gpuE0ELNS1_3repE0EEENS1_30default_config_static_selectorELNS0_4arch9wavefront6targetE1EEEvT1_
    .private_segment_fixed_size: 0
    .sgpr_count:     4
    .sgpr_spill_count: 0
    .symbol:         _ZN7rocprim17ROCPRIM_400000_NS6detail17trampoline_kernelINS0_14default_configENS1_20scan_config_selectorIiEEZZNS1_9scan_implILNS1_25lookback_scan_determinismE0ELb1ELb1ES3_N6thrust23THRUST_200600_302600_NS10device_ptrIiEESB_iNS9_4plusIvEEiEEDaPvRmT3_T4_T5_mT6_P12ihipStream_tbENKUlT_T0_E_clISt17integral_constantIbLb1EESR_EEDaSM_SN_EUlSM_E_NS1_11comp_targetILNS1_3genE0ELNS1_11target_archE4294967295ELNS1_3gpuE0ELNS1_3repE0EEENS1_30default_config_static_selectorELNS0_4arch9wavefront6targetE1EEEvT1_.kd
    .uniform_work_group_size: 1
    .uses_dynamic_stack: false
    .vgpr_count:     0
    .vgpr_spill_count: 0
    .wavefront_size: 64
  - .agpr_count:     0
    .args:
      - .offset:         0
        .size:           96
        .value_kind:     by_value
    .group_segment_fixed_size: 0
    .kernarg_segment_align: 8
    .kernarg_segment_size: 96
    .language:       OpenCL C
    .language_version:
      - 2
      - 0
    .max_flat_workgroup_size: 256
    .name:           _ZN7rocprim17ROCPRIM_400000_NS6detail17trampoline_kernelINS0_14default_configENS1_20scan_config_selectorIiEEZZNS1_9scan_implILNS1_25lookback_scan_determinismE0ELb1ELb1ES3_N6thrust23THRUST_200600_302600_NS10device_ptrIiEESB_iNS9_4plusIvEEiEEDaPvRmT3_T4_T5_mT6_P12ihipStream_tbENKUlT_T0_E_clISt17integral_constantIbLb1EESR_EEDaSM_SN_EUlSM_E_NS1_11comp_targetILNS1_3genE5ELNS1_11target_archE942ELNS1_3gpuE9ELNS1_3repE0EEENS1_30default_config_static_selectorELNS0_4arch9wavefront6targetE1EEEvT1_
    .private_segment_fixed_size: 0
    .sgpr_count:     4
    .sgpr_spill_count: 0
    .symbol:         _ZN7rocprim17ROCPRIM_400000_NS6detail17trampoline_kernelINS0_14default_configENS1_20scan_config_selectorIiEEZZNS1_9scan_implILNS1_25lookback_scan_determinismE0ELb1ELb1ES3_N6thrust23THRUST_200600_302600_NS10device_ptrIiEESB_iNS9_4plusIvEEiEEDaPvRmT3_T4_T5_mT6_P12ihipStream_tbENKUlT_T0_E_clISt17integral_constantIbLb1EESR_EEDaSM_SN_EUlSM_E_NS1_11comp_targetILNS1_3genE5ELNS1_11target_archE942ELNS1_3gpuE9ELNS1_3repE0EEENS1_30default_config_static_selectorELNS0_4arch9wavefront6targetE1EEEvT1_.kd
    .uniform_work_group_size: 1
    .uses_dynamic_stack: false
    .vgpr_count:     0
    .vgpr_spill_count: 0
    .wavefront_size: 64
  - .agpr_count:     0
    .args:
      - .offset:         0
        .size:           96
        .value_kind:     by_value
    .group_segment_fixed_size: 5120
    .kernarg_segment_align: 8
    .kernarg_segment_size: 96
    .language:       OpenCL C
    .language_version:
      - 2
      - 0
    .max_flat_workgroup_size: 128
    .name:           _ZN7rocprim17ROCPRIM_400000_NS6detail17trampoline_kernelINS0_14default_configENS1_20scan_config_selectorIiEEZZNS1_9scan_implILNS1_25lookback_scan_determinismE0ELb1ELb1ES3_N6thrust23THRUST_200600_302600_NS10device_ptrIiEESB_iNS9_4plusIvEEiEEDaPvRmT3_T4_T5_mT6_P12ihipStream_tbENKUlT_T0_E_clISt17integral_constantIbLb1EESR_EEDaSM_SN_EUlSM_E_NS1_11comp_targetILNS1_3genE4ELNS1_11target_archE910ELNS1_3gpuE8ELNS1_3repE0EEENS1_30default_config_static_selectorELNS0_4arch9wavefront6targetE1EEEvT1_
    .private_segment_fixed_size: 0
    .sgpr_count:     44
    .sgpr_spill_count: 0
    .symbol:         _ZN7rocprim17ROCPRIM_400000_NS6detail17trampoline_kernelINS0_14default_configENS1_20scan_config_selectorIiEEZZNS1_9scan_implILNS1_25lookback_scan_determinismE0ELb1ELb1ES3_N6thrust23THRUST_200600_302600_NS10device_ptrIiEESB_iNS9_4plusIvEEiEEDaPvRmT3_T4_T5_mT6_P12ihipStream_tbENKUlT_T0_E_clISt17integral_constantIbLb1EESR_EEDaSM_SN_EUlSM_E_NS1_11comp_targetILNS1_3genE4ELNS1_11target_archE910ELNS1_3gpuE8ELNS1_3repE0EEENS1_30default_config_static_selectorELNS0_4arch9wavefront6targetE1EEEvT1_.kd
    .uniform_work_group_size: 1
    .uses_dynamic_stack: false
    .vgpr_count:     41
    .vgpr_spill_count: 0
    .wavefront_size: 64
  - .agpr_count:     0
    .args:
      - .offset:         0
        .size:           96
        .value_kind:     by_value
    .group_segment_fixed_size: 0
    .kernarg_segment_align: 8
    .kernarg_segment_size: 96
    .language:       OpenCL C
    .language_version:
      - 2
      - 0
    .max_flat_workgroup_size: 256
    .name:           _ZN7rocprim17ROCPRIM_400000_NS6detail17trampoline_kernelINS0_14default_configENS1_20scan_config_selectorIiEEZZNS1_9scan_implILNS1_25lookback_scan_determinismE0ELb1ELb1ES3_N6thrust23THRUST_200600_302600_NS10device_ptrIiEESB_iNS9_4plusIvEEiEEDaPvRmT3_T4_T5_mT6_P12ihipStream_tbENKUlT_T0_E_clISt17integral_constantIbLb1EESR_EEDaSM_SN_EUlSM_E_NS1_11comp_targetILNS1_3genE3ELNS1_11target_archE908ELNS1_3gpuE7ELNS1_3repE0EEENS1_30default_config_static_selectorELNS0_4arch9wavefront6targetE1EEEvT1_
    .private_segment_fixed_size: 0
    .sgpr_count:     4
    .sgpr_spill_count: 0
    .symbol:         _ZN7rocprim17ROCPRIM_400000_NS6detail17trampoline_kernelINS0_14default_configENS1_20scan_config_selectorIiEEZZNS1_9scan_implILNS1_25lookback_scan_determinismE0ELb1ELb1ES3_N6thrust23THRUST_200600_302600_NS10device_ptrIiEESB_iNS9_4plusIvEEiEEDaPvRmT3_T4_T5_mT6_P12ihipStream_tbENKUlT_T0_E_clISt17integral_constantIbLb1EESR_EEDaSM_SN_EUlSM_E_NS1_11comp_targetILNS1_3genE3ELNS1_11target_archE908ELNS1_3gpuE7ELNS1_3repE0EEENS1_30default_config_static_selectorELNS0_4arch9wavefront6targetE1EEEvT1_.kd
    .uniform_work_group_size: 1
    .uses_dynamic_stack: false
    .vgpr_count:     0
    .vgpr_spill_count: 0
    .wavefront_size: 64
  - .agpr_count:     0
    .args:
      - .offset:         0
        .size:           96
        .value_kind:     by_value
    .group_segment_fixed_size: 0
    .kernarg_segment_align: 8
    .kernarg_segment_size: 96
    .language:       OpenCL C
    .language_version:
      - 2
      - 0
    .max_flat_workgroup_size: 256
    .name:           _ZN7rocprim17ROCPRIM_400000_NS6detail17trampoline_kernelINS0_14default_configENS1_20scan_config_selectorIiEEZZNS1_9scan_implILNS1_25lookback_scan_determinismE0ELb1ELb1ES3_N6thrust23THRUST_200600_302600_NS10device_ptrIiEESB_iNS9_4plusIvEEiEEDaPvRmT3_T4_T5_mT6_P12ihipStream_tbENKUlT_T0_E_clISt17integral_constantIbLb1EESR_EEDaSM_SN_EUlSM_E_NS1_11comp_targetILNS1_3genE2ELNS1_11target_archE906ELNS1_3gpuE6ELNS1_3repE0EEENS1_30default_config_static_selectorELNS0_4arch9wavefront6targetE1EEEvT1_
    .private_segment_fixed_size: 0
    .sgpr_count:     4
    .sgpr_spill_count: 0
    .symbol:         _ZN7rocprim17ROCPRIM_400000_NS6detail17trampoline_kernelINS0_14default_configENS1_20scan_config_selectorIiEEZZNS1_9scan_implILNS1_25lookback_scan_determinismE0ELb1ELb1ES3_N6thrust23THRUST_200600_302600_NS10device_ptrIiEESB_iNS9_4plusIvEEiEEDaPvRmT3_T4_T5_mT6_P12ihipStream_tbENKUlT_T0_E_clISt17integral_constantIbLb1EESR_EEDaSM_SN_EUlSM_E_NS1_11comp_targetILNS1_3genE2ELNS1_11target_archE906ELNS1_3gpuE6ELNS1_3repE0EEENS1_30default_config_static_selectorELNS0_4arch9wavefront6targetE1EEEvT1_.kd
    .uniform_work_group_size: 1
    .uses_dynamic_stack: false
    .vgpr_count:     0
    .vgpr_spill_count: 0
    .wavefront_size: 64
  - .agpr_count:     0
    .args:
      - .offset:         0
        .size:           96
        .value_kind:     by_value
    .group_segment_fixed_size: 0
    .kernarg_segment_align: 8
    .kernarg_segment_size: 96
    .language:       OpenCL C
    .language_version:
      - 2
      - 0
    .max_flat_workgroup_size: 256
    .name:           _ZN7rocprim17ROCPRIM_400000_NS6detail17trampoline_kernelINS0_14default_configENS1_20scan_config_selectorIiEEZZNS1_9scan_implILNS1_25lookback_scan_determinismE0ELb1ELb1ES3_N6thrust23THRUST_200600_302600_NS10device_ptrIiEESB_iNS9_4plusIvEEiEEDaPvRmT3_T4_T5_mT6_P12ihipStream_tbENKUlT_T0_E_clISt17integral_constantIbLb1EESR_EEDaSM_SN_EUlSM_E_NS1_11comp_targetILNS1_3genE10ELNS1_11target_archE1201ELNS1_3gpuE5ELNS1_3repE0EEENS1_30default_config_static_selectorELNS0_4arch9wavefront6targetE1EEEvT1_
    .private_segment_fixed_size: 0
    .sgpr_count:     4
    .sgpr_spill_count: 0
    .symbol:         _ZN7rocprim17ROCPRIM_400000_NS6detail17trampoline_kernelINS0_14default_configENS1_20scan_config_selectorIiEEZZNS1_9scan_implILNS1_25lookback_scan_determinismE0ELb1ELb1ES3_N6thrust23THRUST_200600_302600_NS10device_ptrIiEESB_iNS9_4plusIvEEiEEDaPvRmT3_T4_T5_mT6_P12ihipStream_tbENKUlT_T0_E_clISt17integral_constantIbLb1EESR_EEDaSM_SN_EUlSM_E_NS1_11comp_targetILNS1_3genE10ELNS1_11target_archE1201ELNS1_3gpuE5ELNS1_3repE0EEENS1_30default_config_static_selectorELNS0_4arch9wavefront6targetE1EEEvT1_.kd
    .uniform_work_group_size: 1
    .uses_dynamic_stack: false
    .vgpr_count:     0
    .vgpr_spill_count: 0
    .wavefront_size: 64
  - .agpr_count:     0
    .args:
      - .offset:         0
        .size:           96
        .value_kind:     by_value
    .group_segment_fixed_size: 0
    .kernarg_segment_align: 8
    .kernarg_segment_size: 96
    .language:       OpenCL C
    .language_version:
      - 2
      - 0
    .max_flat_workgroup_size: 256
    .name:           _ZN7rocprim17ROCPRIM_400000_NS6detail17trampoline_kernelINS0_14default_configENS1_20scan_config_selectorIiEEZZNS1_9scan_implILNS1_25lookback_scan_determinismE0ELb1ELb1ES3_N6thrust23THRUST_200600_302600_NS10device_ptrIiEESB_iNS9_4plusIvEEiEEDaPvRmT3_T4_T5_mT6_P12ihipStream_tbENKUlT_T0_E_clISt17integral_constantIbLb1EESR_EEDaSM_SN_EUlSM_E_NS1_11comp_targetILNS1_3genE10ELNS1_11target_archE1200ELNS1_3gpuE4ELNS1_3repE0EEENS1_30default_config_static_selectorELNS0_4arch9wavefront6targetE1EEEvT1_
    .private_segment_fixed_size: 0
    .sgpr_count:     4
    .sgpr_spill_count: 0
    .symbol:         _ZN7rocprim17ROCPRIM_400000_NS6detail17trampoline_kernelINS0_14default_configENS1_20scan_config_selectorIiEEZZNS1_9scan_implILNS1_25lookback_scan_determinismE0ELb1ELb1ES3_N6thrust23THRUST_200600_302600_NS10device_ptrIiEESB_iNS9_4plusIvEEiEEDaPvRmT3_T4_T5_mT6_P12ihipStream_tbENKUlT_T0_E_clISt17integral_constantIbLb1EESR_EEDaSM_SN_EUlSM_E_NS1_11comp_targetILNS1_3genE10ELNS1_11target_archE1200ELNS1_3gpuE4ELNS1_3repE0EEENS1_30default_config_static_selectorELNS0_4arch9wavefront6targetE1EEEvT1_.kd
    .uniform_work_group_size: 1
    .uses_dynamic_stack: false
    .vgpr_count:     0
    .vgpr_spill_count: 0
    .wavefront_size: 64
  - .agpr_count:     0
    .args:
      - .offset:         0
        .size:           96
        .value_kind:     by_value
    .group_segment_fixed_size: 0
    .kernarg_segment_align: 8
    .kernarg_segment_size: 96
    .language:       OpenCL C
    .language_version:
      - 2
      - 0
    .max_flat_workgroup_size: 256
    .name:           _ZN7rocprim17ROCPRIM_400000_NS6detail17trampoline_kernelINS0_14default_configENS1_20scan_config_selectorIiEEZZNS1_9scan_implILNS1_25lookback_scan_determinismE0ELb1ELb1ES3_N6thrust23THRUST_200600_302600_NS10device_ptrIiEESB_iNS9_4plusIvEEiEEDaPvRmT3_T4_T5_mT6_P12ihipStream_tbENKUlT_T0_E_clISt17integral_constantIbLb1EESR_EEDaSM_SN_EUlSM_E_NS1_11comp_targetILNS1_3genE9ELNS1_11target_archE1100ELNS1_3gpuE3ELNS1_3repE0EEENS1_30default_config_static_selectorELNS0_4arch9wavefront6targetE1EEEvT1_
    .private_segment_fixed_size: 0
    .sgpr_count:     4
    .sgpr_spill_count: 0
    .symbol:         _ZN7rocprim17ROCPRIM_400000_NS6detail17trampoline_kernelINS0_14default_configENS1_20scan_config_selectorIiEEZZNS1_9scan_implILNS1_25lookback_scan_determinismE0ELb1ELb1ES3_N6thrust23THRUST_200600_302600_NS10device_ptrIiEESB_iNS9_4plusIvEEiEEDaPvRmT3_T4_T5_mT6_P12ihipStream_tbENKUlT_T0_E_clISt17integral_constantIbLb1EESR_EEDaSM_SN_EUlSM_E_NS1_11comp_targetILNS1_3genE9ELNS1_11target_archE1100ELNS1_3gpuE3ELNS1_3repE0EEENS1_30default_config_static_selectorELNS0_4arch9wavefront6targetE1EEEvT1_.kd
    .uniform_work_group_size: 1
    .uses_dynamic_stack: false
    .vgpr_count:     0
    .vgpr_spill_count: 0
    .wavefront_size: 64
  - .agpr_count:     0
    .args:
      - .offset:         0
        .size:           96
        .value_kind:     by_value
    .group_segment_fixed_size: 0
    .kernarg_segment_align: 8
    .kernarg_segment_size: 96
    .language:       OpenCL C
    .language_version:
      - 2
      - 0
    .max_flat_workgroup_size: 64
    .name:           _ZN7rocprim17ROCPRIM_400000_NS6detail17trampoline_kernelINS0_14default_configENS1_20scan_config_selectorIiEEZZNS1_9scan_implILNS1_25lookback_scan_determinismE0ELb1ELb1ES3_N6thrust23THRUST_200600_302600_NS10device_ptrIiEESB_iNS9_4plusIvEEiEEDaPvRmT3_T4_T5_mT6_P12ihipStream_tbENKUlT_T0_E_clISt17integral_constantIbLb1EESR_EEDaSM_SN_EUlSM_E_NS1_11comp_targetILNS1_3genE8ELNS1_11target_archE1030ELNS1_3gpuE2ELNS1_3repE0EEENS1_30default_config_static_selectorELNS0_4arch9wavefront6targetE1EEEvT1_
    .private_segment_fixed_size: 0
    .sgpr_count:     4
    .sgpr_spill_count: 0
    .symbol:         _ZN7rocprim17ROCPRIM_400000_NS6detail17trampoline_kernelINS0_14default_configENS1_20scan_config_selectorIiEEZZNS1_9scan_implILNS1_25lookback_scan_determinismE0ELb1ELb1ES3_N6thrust23THRUST_200600_302600_NS10device_ptrIiEESB_iNS9_4plusIvEEiEEDaPvRmT3_T4_T5_mT6_P12ihipStream_tbENKUlT_T0_E_clISt17integral_constantIbLb1EESR_EEDaSM_SN_EUlSM_E_NS1_11comp_targetILNS1_3genE8ELNS1_11target_archE1030ELNS1_3gpuE2ELNS1_3repE0EEENS1_30default_config_static_selectorELNS0_4arch9wavefront6targetE1EEEvT1_.kd
    .uniform_work_group_size: 1
    .uses_dynamic_stack: false
    .vgpr_count:     0
    .vgpr_spill_count: 0
    .wavefront_size: 64
  - .agpr_count:     0
    .args:
      - .offset:         0
        .size:           32
        .value_kind:     by_value
    .group_segment_fixed_size: 0
    .kernarg_segment_align: 8
    .kernarg_segment_size: 32
    .language:       OpenCL C
    .language_version:
      - 2
      - 0
    .max_flat_workgroup_size: 256
    .name:           _ZN7rocprim17ROCPRIM_400000_NS6detail17trampoline_kernelINS0_14default_configENS1_20scan_config_selectorIiEEZZNS1_9scan_implILNS1_25lookback_scan_determinismE0ELb1ELb1ES3_N6thrust23THRUST_200600_302600_NS10device_ptrIiEESB_iNS9_4plusIvEEiEEDaPvRmT3_T4_T5_mT6_P12ihipStream_tbENKUlT_T0_E_clISt17integral_constantIbLb1EESR_EEDaSM_SN_EUlSM_E0_NS1_11comp_targetILNS1_3genE0ELNS1_11target_archE4294967295ELNS1_3gpuE0ELNS1_3repE0EEENS1_30default_config_static_selectorELNS0_4arch9wavefront6targetE1EEEvT1_
    .private_segment_fixed_size: 0
    .sgpr_count:     4
    .sgpr_spill_count: 0
    .symbol:         _ZN7rocprim17ROCPRIM_400000_NS6detail17trampoline_kernelINS0_14default_configENS1_20scan_config_selectorIiEEZZNS1_9scan_implILNS1_25lookback_scan_determinismE0ELb1ELb1ES3_N6thrust23THRUST_200600_302600_NS10device_ptrIiEESB_iNS9_4plusIvEEiEEDaPvRmT3_T4_T5_mT6_P12ihipStream_tbENKUlT_T0_E_clISt17integral_constantIbLb1EESR_EEDaSM_SN_EUlSM_E0_NS1_11comp_targetILNS1_3genE0ELNS1_11target_archE4294967295ELNS1_3gpuE0ELNS1_3repE0EEENS1_30default_config_static_selectorELNS0_4arch9wavefront6targetE1EEEvT1_.kd
    .uniform_work_group_size: 1
    .uses_dynamic_stack: false
    .vgpr_count:     0
    .vgpr_spill_count: 0
    .wavefront_size: 64
  - .agpr_count:     0
    .args:
      - .offset:         0
        .size:           32
        .value_kind:     by_value
    .group_segment_fixed_size: 0
    .kernarg_segment_align: 8
    .kernarg_segment_size: 32
    .language:       OpenCL C
    .language_version:
      - 2
      - 0
    .max_flat_workgroup_size: 256
    .name:           _ZN7rocprim17ROCPRIM_400000_NS6detail17trampoline_kernelINS0_14default_configENS1_20scan_config_selectorIiEEZZNS1_9scan_implILNS1_25lookback_scan_determinismE0ELb1ELb1ES3_N6thrust23THRUST_200600_302600_NS10device_ptrIiEESB_iNS9_4plusIvEEiEEDaPvRmT3_T4_T5_mT6_P12ihipStream_tbENKUlT_T0_E_clISt17integral_constantIbLb1EESR_EEDaSM_SN_EUlSM_E0_NS1_11comp_targetILNS1_3genE5ELNS1_11target_archE942ELNS1_3gpuE9ELNS1_3repE0EEENS1_30default_config_static_selectorELNS0_4arch9wavefront6targetE1EEEvT1_
    .private_segment_fixed_size: 0
    .sgpr_count:     4
    .sgpr_spill_count: 0
    .symbol:         _ZN7rocprim17ROCPRIM_400000_NS6detail17trampoline_kernelINS0_14default_configENS1_20scan_config_selectorIiEEZZNS1_9scan_implILNS1_25lookback_scan_determinismE0ELb1ELb1ES3_N6thrust23THRUST_200600_302600_NS10device_ptrIiEESB_iNS9_4plusIvEEiEEDaPvRmT3_T4_T5_mT6_P12ihipStream_tbENKUlT_T0_E_clISt17integral_constantIbLb1EESR_EEDaSM_SN_EUlSM_E0_NS1_11comp_targetILNS1_3genE5ELNS1_11target_archE942ELNS1_3gpuE9ELNS1_3repE0EEENS1_30default_config_static_selectorELNS0_4arch9wavefront6targetE1EEEvT1_.kd
    .uniform_work_group_size: 1
    .uses_dynamic_stack: false
    .vgpr_count:     0
    .vgpr_spill_count: 0
    .wavefront_size: 64
  - .agpr_count:     0
    .args:
      - .offset:         0
        .size:           32
        .value_kind:     by_value
    .group_segment_fixed_size: 5120
    .kernarg_segment_align: 8
    .kernarg_segment_size: 32
    .language:       OpenCL C
    .language_version:
      - 2
      - 0
    .max_flat_workgroup_size: 128
    .name:           _ZN7rocprim17ROCPRIM_400000_NS6detail17trampoline_kernelINS0_14default_configENS1_20scan_config_selectorIiEEZZNS1_9scan_implILNS1_25lookback_scan_determinismE0ELb1ELb1ES3_N6thrust23THRUST_200600_302600_NS10device_ptrIiEESB_iNS9_4plusIvEEiEEDaPvRmT3_T4_T5_mT6_P12ihipStream_tbENKUlT_T0_E_clISt17integral_constantIbLb1EESR_EEDaSM_SN_EUlSM_E0_NS1_11comp_targetILNS1_3genE4ELNS1_11target_archE910ELNS1_3gpuE8ELNS1_3repE0EEENS1_30default_config_static_selectorELNS0_4arch9wavefront6targetE1EEEvT1_
    .private_segment_fixed_size: 0
    .sgpr_count:     29
    .sgpr_spill_count: 0
    .symbol:         _ZN7rocprim17ROCPRIM_400000_NS6detail17trampoline_kernelINS0_14default_configENS1_20scan_config_selectorIiEEZZNS1_9scan_implILNS1_25lookback_scan_determinismE0ELb1ELb1ES3_N6thrust23THRUST_200600_302600_NS10device_ptrIiEESB_iNS9_4plusIvEEiEEDaPvRmT3_T4_T5_mT6_P12ihipStream_tbENKUlT_T0_E_clISt17integral_constantIbLb1EESR_EEDaSM_SN_EUlSM_E0_NS1_11comp_targetILNS1_3genE4ELNS1_11target_archE910ELNS1_3gpuE8ELNS1_3repE0EEENS1_30default_config_static_selectorELNS0_4arch9wavefront6targetE1EEEvT1_.kd
    .uniform_work_group_size: 1
    .uses_dynamic_stack: false
    .vgpr_count:     18
    .vgpr_spill_count: 0
    .wavefront_size: 64
  - .agpr_count:     0
    .args:
      - .offset:         0
        .size:           32
        .value_kind:     by_value
    .group_segment_fixed_size: 0
    .kernarg_segment_align: 8
    .kernarg_segment_size: 32
    .language:       OpenCL C
    .language_version:
      - 2
      - 0
    .max_flat_workgroup_size: 256
    .name:           _ZN7rocprim17ROCPRIM_400000_NS6detail17trampoline_kernelINS0_14default_configENS1_20scan_config_selectorIiEEZZNS1_9scan_implILNS1_25lookback_scan_determinismE0ELb1ELb1ES3_N6thrust23THRUST_200600_302600_NS10device_ptrIiEESB_iNS9_4plusIvEEiEEDaPvRmT3_T4_T5_mT6_P12ihipStream_tbENKUlT_T0_E_clISt17integral_constantIbLb1EESR_EEDaSM_SN_EUlSM_E0_NS1_11comp_targetILNS1_3genE3ELNS1_11target_archE908ELNS1_3gpuE7ELNS1_3repE0EEENS1_30default_config_static_selectorELNS0_4arch9wavefront6targetE1EEEvT1_
    .private_segment_fixed_size: 0
    .sgpr_count:     4
    .sgpr_spill_count: 0
    .symbol:         _ZN7rocprim17ROCPRIM_400000_NS6detail17trampoline_kernelINS0_14default_configENS1_20scan_config_selectorIiEEZZNS1_9scan_implILNS1_25lookback_scan_determinismE0ELb1ELb1ES3_N6thrust23THRUST_200600_302600_NS10device_ptrIiEESB_iNS9_4plusIvEEiEEDaPvRmT3_T4_T5_mT6_P12ihipStream_tbENKUlT_T0_E_clISt17integral_constantIbLb1EESR_EEDaSM_SN_EUlSM_E0_NS1_11comp_targetILNS1_3genE3ELNS1_11target_archE908ELNS1_3gpuE7ELNS1_3repE0EEENS1_30default_config_static_selectorELNS0_4arch9wavefront6targetE1EEEvT1_.kd
    .uniform_work_group_size: 1
    .uses_dynamic_stack: false
    .vgpr_count:     0
    .vgpr_spill_count: 0
    .wavefront_size: 64
  - .agpr_count:     0
    .args:
      - .offset:         0
        .size:           32
        .value_kind:     by_value
    .group_segment_fixed_size: 0
    .kernarg_segment_align: 8
    .kernarg_segment_size: 32
    .language:       OpenCL C
    .language_version:
      - 2
      - 0
    .max_flat_workgroup_size: 256
    .name:           _ZN7rocprim17ROCPRIM_400000_NS6detail17trampoline_kernelINS0_14default_configENS1_20scan_config_selectorIiEEZZNS1_9scan_implILNS1_25lookback_scan_determinismE0ELb1ELb1ES3_N6thrust23THRUST_200600_302600_NS10device_ptrIiEESB_iNS9_4plusIvEEiEEDaPvRmT3_T4_T5_mT6_P12ihipStream_tbENKUlT_T0_E_clISt17integral_constantIbLb1EESR_EEDaSM_SN_EUlSM_E0_NS1_11comp_targetILNS1_3genE2ELNS1_11target_archE906ELNS1_3gpuE6ELNS1_3repE0EEENS1_30default_config_static_selectorELNS0_4arch9wavefront6targetE1EEEvT1_
    .private_segment_fixed_size: 0
    .sgpr_count:     4
    .sgpr_spill_count: 0
    .symbol:         _ZN7rocprim17ROCPRIM_400000_NS6detail17trampoline_kernelINS0_14default_configENS1_20scan_config_selectorIiEEZZNS1_9scan_implILNS1_25lookback_scan_determinismE0ELb1ELb1ES3_N6thrust23THRUST_200600_302600_NS10device_ptrIiEESB_iNS9_4plusIvEEiEEDaPvRmT3_T4_T5_mT6_P12ihipStream_tbENKUlT_T0_E_clISt17integral_constantIbLb1EESR_EEDaSM_SN_EUlSM_E0_NS1_11comp_targetILNS1_3genE2ELNS1_11target_archE906ELNS1_3gpuE6ELNS1_3repE0EEENS1_30default_config_static_selectorELNS0_4arch9wavefront6targetE1EEEvT1_.kd
    .uniform_work_group_size: 1
    .uses_dynamic_stack: false
    .vgpr_count:     0
    .vgpr_spill_count: 0
    .wavefront_size: 64
  - .agpr_count:     0
    .args:
      - .offset:         0
        .size:           32
        .value_kind:     by_value
    .group_segment_fixed_size: 0
    .kernarg_segment_align: 8
    .kernarg_segment_size: 32
    .language:       OpenCL C
    .language_version:
      - 2
      - 0
    .max_flat_workgroup_size: 256
    .name:           _ZN7rocprim17ROCPRIM_400000_NS6detail17trampoline_kernelINS0_14default_configENS1_20scan_config_selectorIiEEZZNS1_9scan_implILNS1_25lookback_scan_determinismE0ELb1ELb1ES3_N6thrust23THRUST_200600_302600_NS10device_ptrIiEESB_iNS9_4plusIvEEiEEDaPvRmT3_T4_T5_mT6_P12ihipStream_tbENKUlT_T0_E_clISt17integral_constantIbLb1EESR_EEDaSM_SN_EUlSM_E0_NS1_11comp_targetILNS1_3genE10ELNS1_11target_archE1201ELNS1_3gpuE5ELNS1_3repE0EEENS1_30default_config_static_selectorELNS0_4arch9wavefront6targetE1EEEvT1_
    .private_segment_fixed_size: 0
    .sgpr_count:     4
    .sgpr_spill_count: 0
    .symbol:         _ZN7rocprim17ROCPRIM_400000_NS6detail17trampoline_kernelINS0_14default_configENS1_20scan_config_selectorIiEEZZNS1_9scan_implILNS1_25lookback_scan_determinismE0ELb1ELb1ES3_N6thrust23THRUST_200600_302600_NS10device_ptrIiEESB_iNS9_4plusIvEEiEEDaPvRmT3_T4_T5_mT6_P12ihipStream_tbENKUlT_T0_E_clISt17integral_constantIbLb1EESR_EEDaSM_SN_EUlSM_E0_NS1_11comp_targetILNS1_3genE10ELNS1_11target_archE1201ELNS1_3gpuE5ELNS1_3repE0EEENS1_30default_config_static_selectorELNS0_4arch9wavefront6targetE1EEEvT1_.kd
    .uniform_work_group_size: 1
    .uses_dynamic_stack: false
    .vgpr_count:     0
    .vgpr_spill_count: 0
    .wavefront_size: 64
  - .agpr_count:     0
    .args:
      - .offset:         0
        .size:           32
        .value_kind:     by_value
    .group_segment_fixed_size: 0
    .kernarg_segment_align: 8
    .kernarg_segment_size: 32
    .language:       OpenCL C
    .language_version:
      - 2
      - 0
    .max_flat_workgroup_size: 256
    .name:           _ZN7rocprim17ROCPRIM_400000_NS6detail17trampoline_kernelINS0_14default_configENS1_20scan_config_selectorIiEEZZNS1_9scan_implILNS1_25lookback_scan_determinismE0ELb1ELb1ES3_N6thrust23THRUST_200600_302600_NS10device_ptrIiEESB_iNS9_4plusIvEEiEEDaPvRmT3_T4_T5_mT6_P12ihipStream_tbENKUlT_T0_E_clISt17integral_constantIbLb1EESR_EEDaSM_SN_EUlSM_E0_NS1_11comp_targetILNS1_3genE10ELNS1_11target_archE1200ELNS1_3gpuE4ELNS1_3repE0EEENS1_30default_config_static_selectorELNS0_4arch9wavefront6targetE1EEEvT1_
    .private_segment_fixed_size: 0
    .sgpr_count:     4
    .sgpr_spill_count: 0
    .symbol:         _ZN7rocprim17ROCPRIM_400000_NS6detail17trampoline_kernelINS0_14default_configENS1_20scan_config_selectorIiEEZZNS1_9scan_implILNS1_25lookback_scan_determinismE0ELb1ELb1ES3_N6thrust23THRUST_200600_302600_NS10device_ptrIiEESB_iNS9_4plusIvEEiEEDaPvRmT3_T4_T5_mT6_P12ihipStream_tbENKUlT_T0_E_clISt17integral_constantIbLb1EESR_EEDaSM_SN_EUlSM_E0_NS1_11comp_targetILNS1_3genE10ELNS1_11target_archE1200ELNS1_3gpuE4ELNS1_3repE0EEENS1_30default_config_static_selectorELNS0_4arch9wavefront6targetE1EEEvT1_.kd
    .uniform_work_group_size: 1
    .uses_dynamic_stack: false
    .vgpr_count:     0
    .vgpr_spill_count: 0
    .wavefront_size: 64
  - .agpr_count:     0
    .args:
      - .offset:         0
        .size:           32
        .value_kind:     by_value
    .group_segment_fixed_size: 0
    .kernarg_segment_align: 8
    .kernarg_segment_size: 32
    .language:       OpenCL C
    .language_version:
      - 2
      - 0
    .max_flat_workgroup_size: 256
    .name:           _ZN7rocprim17ROCPRIM_400000_NS6detail17trampoline_kernelINS0_14default_configENS1_20scan_config_selectorIiEEZZNS1_9scan_implILNS1_25lookback_scan_determinismE0ELb1ELb1ES3_N6thrust23THRUST_200600_302600_NS10device_ptrIiEESB_iNS9_4plusIvEEiEEDaPvRmT3_T4_T5_mT6_P12ihipStream_tbENKUlT_T0_E_clISt17integral_constantIbLb1EESR_EEDaSM_SN_EUlSM_E0_NS1_11comp_targetILNS1_3genE9ELNS1_11target_archE1100ELNS1_3gpuE3ELNS1_3repE0EEENS1_30default_config_static_selectorELNS0_4arch9wavefront6targetE1EEEvT1_
    .private_segment_fixed_size: 0
    .sgpr_count:     4
    .sgpr_spill_count: 0
    .symbol:         _ZN7rocprim17ROCPRIM_400000_NS6detail17trampoline_kernelINS0_14default_configENS1_20scan_config_selectorIiEEZZNS1_9scan_implILNS1_25lookback_scan_determinismE0ELb1ELb1ES3_N6thrust23THRUST_200600_302600_NS10device_ptrIiEESB_iNS9_4plusIvEEiEEDaPvRmT3_T4_T5_mT6_P12ihipStream_tbENKUlT_T0_E_clISt17integral_constantIbLb1EESR_EEDaSM_SN_EUlSM_E0_NS1_11comp_targetILNS1_3genE9ELNS1_11target_archE1100ELNS1_3gpuE3ELNS1_3repE0EEENS1_30default_config_static_selectorELNS0_4arch9wavefront6targetE1EEEvT1_.kd
    .uniform_work_group_size: 1
    .uses_dynamic_stack: false
    .vgpr_count:     0
    .vgpr_spill_count: 0
    .wavefront_size: 64
  - .agpr_count:     0
    .args:
      - .offset:         0
        .size:           32
        .value_kind:     by_value
    .group_segment_fixed_size: 0
    .kernarg_segment_align: 8
    .kernarg_segment_size: 32
    .language:       OpenCL C
    .language_version:
      - 2
      - 0
    .max_flat_workgroup_size: 64
    .name:           _ZN7rocprim17ROCPRIM_400000_NS6detail17trampoline_kernelINS0_14default_configENS1_20scan_config_selectorIiEEZZNS1_9scan_implILNS1_25lookback_scan_determinismE0ELb1ELb1ES3_N6thrust23THRUST_200600_302600_NS10device_ptrIiEESB_iNS9_4plusIvEEiEEDaPvRmT3_T4_T5_mT6_P12ihipStream_tbENKUlT_T0_E_clISt17integral_constantIbLb1EESR_EEDaSM_SN_EUlSM_E0_NS1_11comp_targetILNS1_3genE8ELNS1_11target_archE1030ELNS1_3gpuE2ELNS1_3repE0EEENS1_30default_config_static_selectorELNS0_4arch9wavefront6targetE1EEEvT1_
    .private_segment_fixed_size: 0
    .sgpr_count:     4
    .sgpr_spill_count: 0
    .symbol:         _ZN7rocprim17ROCPRIM_400000_NS6detail17trampoline_kernelINS0_14default_configENS1_20scan_config_selectorIiEEZZNS1_9scan_implILNS1_25lookback_scan_determinismE0ELb1ELb1ES3_N6thrust23THRUST_200600_302600_NS10device_ptrIiEESB_iNS9_4plusIvEEiEEDaPvRmT3_T4_T5_mT6_P12ihipStream_tbENKUlT_T0_E_clISt17integral_constantIbLb1EESR_EEDaSM_SN_EUlSM_E0_NS1_11comp_targetILNS1_3genE8ELNS1_11target_archE1030ELNS1_3gpuE2ELNS1_3repE0EEENS1_30default_config_static_selectorELNS0_4arch9wavefront6targetE1EEEvT1_.kd
    .uniform_work_group_size: 1
    .uses_dynamic_stack: false
    .vgpr_count:     0
    .vgpr_spill_count: 0
    .wavefront_size: 64
  - .agpr_count:     0
    .args:
      - .offset:         0
        .size:           96
        .value_kind:     by_value
    .group_segment_fixed_size: 0
    .kernarg_segment_align: 8
    .kernarg_segment_size: 96
    .language:       OpenCL C
    .language_version:
      - 2
      - 0
    .max_flat_workgroup_size: 256
    .name:           _ZN7rocprim17ROCPRIM_400000_NS6detail17trampoline_kernelINS0_14default_configENS1_20scan_config_selectorIiEEZZNS1_9scan_implILNS1_25lookback_scan_determinismE0ELb1ELb1ES3_N6thrust23THRUST_200600_302600_NS10device_ptrIiEESB_iNS9_4plusIvEEiEEDaPvRmT3_T4_T5_mT6_P12ihipStream_tbENKUlT_T0_E_clISt17integral_constantIbLb1EESQ_IbLb0EEEEDaSM_SN_EUlSM_E_NS1_11comp_targetILNS1_3genE0ELNS1_11target_archE4294967295ELNS1_3gpuE0ELNS1_3repE0EEENS1_30default_config_static_selectorELNS0_4arch9wavefront6targetE1EEEvT1_
    .private_segment_fixed_size: 0
    .sgpr_count:     4
    .sgpr_spill_count: 0
    .symbol:         _ZN7rocprim17ROCPRIM_400000_NS6detail17trampoline_kernelINS0_14default_configENS1_20scan_config_selectorIiEEZZNS1_9scan_implILNS1_25lookback_scan_determinismE0ELb1ELb1ES3_N6thrust23THRUST_200600_302600_NS10device_ptrIiEESB_iNS9_4plusIvEEiEEDaPvRmT3_T4_T5_mT6_P12ihipStream_tbENKUlT_T0_E_clISt17integral_constantIbLb1EESQ_IbLb0EEEEDaSM_SN_EUlSM_E_NS1_11comp_targetILNS1_3genE0ELNS1_11target_archE4294967295ELNS1_3gpuE0ELNS1_3repE0EEENS1_30default_config_static_selectorELNS0_4arch9wavefront6targetE1EEEvT1_.kd
    .uniform_work_group_size: 1
    .uses_dynamic_stack: false
    .vgpr_count:     0
    .vgpr_spill_count: 0
    .wavefront_size: 64
  - .agpr_count:     0
    .args:
      - .offset:         0
        .size:           96
        .value_kind:     by_value
    .group_segment_fixed_size: 0
    .kernarg_segment_align: 8
    .kernarg_segment_size: 96
    .language:       OpenCL C
    .language_version:
      - 2
      - 0
    .max_flat_workgroup_size: 256
    .name:           _ZN7rocprim17ROCPRIM_400000_NS6detail17trampoline_kernelINS0_14default_configENS1_20scan_config_selectorIiEEZZNS1_9scan_implILNS1_25lookback_scan_determinismE0ELb1ELb1ES3_N6thrust23THRUST_200600_302600_NS10device_ptrIiEESB_iNS9_4plusIvEEiEEDaPvRmT3_T4_T5_mT6_P12ihipStream_tbENKUlT_T0_E_clISt17integral_constantIbLb1EESQ_IbLb0EEEEDaSM_SN_EUlSM_E_NS1_11comp_targetILNS1_3genE5ELNS1_11target_archE942ELNS1_3gpuE9ELNS1_3repE0EEENS1_30default_config_static_selectorELNS0_4arch9wavefront6targetE1EEEvT1_
    .private_segment_fixed_size: 0
    .sgpr_count:     4
    .sgpr_spill_count: 0
    .symbol:         _ZN7rocprim17ROCPRIM_400000_NS6detail17trampoline_kernelINS0_14default_configENS1_20scan_config_selectorIiEEZZNS1_9scan_implILNS1_25lookback_scan_determinismE0ELb1ELb1ES3_N6thrust23THRUST_200600_302600_NS10device_ptrIiEESB_iNS9_4plusIvEEiEEDaPvRmT3_T4_T5_mT6_P12ihipStream_tbENKUlT_T0_E_clISt17integral_constantIbLb1EESQ_IbLb0EEEEDaSM_SN_EUlSM_E_NS1_11comp_targetILNS1_3genE5ELNS1_11target_archE942ELNS1_3gpuE9ELNS1_3repE0EEENS1_30default_config_static_selectorELNS0_4arch9wavefront6targetE1EEEvT1_.kd
    .uniform_work_group_size: 1
    .uses_dynamic_stack: false
    .vgpr_count:     0
    .vgpr_spill_count: 0
    .wavefront_size: 64
  - .agpr_count:     0
    .args:
      - .offset:         0
        .size:           96
        .value_kind:     by_value
    .group_segment_fixed_size: 5120
    .kernarg_segment_align: 8
    .kernarg_segment_size: 96
    .language:       OpenCL C
    .language_version:
      - 2
      - 0
    .max_flat_workgroup_size: 128
    .name:           _ZN7rocprim17ROCPRIM_400000_NS6detail17trampoline_kernelINS0_14default_configENS1_20scan_config_selectorIiEEZZNS1_9scan_implILNS1_25lookback_scan_determinismE0ELb1ELb1ES3_N6thrust23THRUST_200600_302600_NS10device_ptrIiEESB_iNS9_4plusIvEEiEEDaPvRmT3_T4_T5_mT6_P12ihipStream_tbENKUlT_T0_E_clISt17integral_constantIbLb1EESQ_IbLb0EEEEDaSM_SN_EUlSM_E_NS1_11comp_targetILNS1_3genE4ELNS1_11target_archE910ELNS1_3gpuE8ELNS1_3repE0EEENS1_30default_config_static_selectorELNS0_4arch9wavefront6targetE1EEEvT1_
    .private_segment_fixed_size: 0
    .sgpr_count:     36
    .sgpr_spill_count: 0
    .symbol:         _ZN7rocprim17ROCPRIM_400000_NS6detail17trampoline_kernelINS0_14default_configENS1_20scan_config_selectorIiEEZZNS1_9scan_implILNS1_25lookback_scan_determinismE0ELb1ELb1ES3_N6thrust23THRUST_200600_302600_NS10device_ptrIiEESB_iNS9_4plusIvEEiEEDaPvRmT3_T4_T5_mT6_P12ihipStream_tbENKUlT_T0_E_clISt17integral_constantIbLb1EESQ_IbLb0EEEEDaSM_SN_EUlSM_E_NS1_11comp_targetILNS1_3genE4ELNS1_11target_archE910ELNS1_3gpuE8ELNS1_3repE0EEENS1_30default_config_static_selectorELNS0_4arch9wavefront6targetE1EEEvT1_.kd
    .uniform_work_group_size: 1
    .uses_dynamic_stack: false
    .vgpr_count:     41
    .vgpr_spill_count: 0
    .wavefront_size: 64
  - .agpr_count:     0
    .args:
      - .offset:         0
        .size:           96
        .value_kind:     by_value
    .group_segment_fixed_size: 0
    .kernarg_segment_align: 8
    .kernarg_segment_size: 96
    .language:       OpenCL C
    .language_version:
      - 2
      - 0
    .max_flat_workgroup_size: 256
    .name:           _ZN7rocprim17ROCPRIM_400000_NS6detail17trampoline_kernelINS0_14default_configENS1_20scan_config_selectorIiEEZZNS1_9scan_implILNS1_25lookback_scan_determinismE0ELb1ELb1ES3_N6thrust23THRUST_200600_302600_NS10device_ptrIiEESB_iNS9_4plusIvEEiEEDaPvRmT3_T4_T5_mT6_P12ihipStream_tbENKUlT_T0_E_clISt17integral_constantIbLb1EESQ_IbLb0EEEEDaSM_SN_EUlSM_E_NS1_11comp_targetILNS1_3genE3ELNS1_11target_archE908ELNS1_3gpuE7ELNS1_3repE0EEENS1_30default_config_static_selectorELNS0_4arch9wavefront6targetE1EEEvT1_
    .private_segment_fixed_size: 0
    .sgpr_count:     4
    .sgpr_spill_count: 0
    .symbol:         _ZN7rocprim17ROCPRIM_400000_NS6detail17trampoline_kernelINS0_14default_configENS1_20scan_config_selectorIiEEZZNS1_9scan_implILNS1_25lookback_scan_determinismE0ELb1ELb1ES3_N6thrust23THRUST_200600_302600_NS10device_ptrIiEESB_iNS9_4plusIvEEiEEDaPvRmT3_T4_T5_mT6_P12ihipStream_tbENKUlT_T0_E_clISt17integral_constantIbLb1EESQ_IbLb0EEEEDaSM_SN_EUlSM_E_NS1_11comp_targetILNS1_3genE3ELNS1_11target_archE908ELNS1_3gpuE7ELNS1_3repE0EEENS1_30default_config_static_selectorELNS0_4arch9wavefront6targetE1EEEvT1_.kd
    .uniform_work_group_size: 1
    .uses_dynamic_stack: false
    .vgpr_count:     0
    .vgpr_spill_count: 0
    .wavefront_size: 64
  - .agpr_count:     0
    .args:
      - .offset:         0
        .size:           96
        .value_kind:     by_value
    .group_segment_fixed_size: 0
    .kernarg_segment_align: 8
    .kernarg_segment_size: 96
    .language:       OpenCL C
    .language_version:
      - 2
      - 0
    .max_flat_workgroup_size: 256
    .name:           _ZN7rocprim17ROCPRIM_400000_NS6detail17trampoline_kernelINS0_14default_configENS1_20scan_config_selectorIiEEZZNS1_9scan_implILNS1_25lookback_scan_determinismE0ELb1ELb1ES3_N6thrust23THRUST_200600_302600_NS10device_ptrIiEESB_iNS9_4plusIvEEiEEDaPvRmT3_T4_T5_mT6_P12ihipStream_tbENKUlT_T0_E_clISt17integral_constantIbLb1EESQ_IbLb0EEEEDaSM_SN_EUlSM_E_NS1_11comp_targetILNS1_3genE2ELNS1_11target_archE906ELNS1_3gpuE6ELNS1_3repE0EEENS1_30default_config_static_selectorELNS0_4arch9wavefront6targetE1EEEvT1_
    .private_segment_fixed_size: 0
    .sgpr_count:     4
    .sgpr_spill_count: 0
    .symbol:         _ZN7rocprim17ROCPRIM_400000_NS6detail17trampoline_kernelINS0_14default_configENS1_20scan_config_selectorIiEEZZNS1_9scan_implILNS1_25lookback_scan_determinismE0ELb1ELb1ES3_N6thrust23THRUST_200600_302600_NS10device_ptrIiEESB_iNS9_4plusIvEEiEEDaPvRmT3_T4_T5_mT6_P12ihipStream_tbENKUlT_T0_E_clISt17integral_constantIbLb1EESQ_IbLb0EEEEDaSM_SN_EUlSM_E_NS1_11comp_targetILNS1_3genE2ELNS1_11target_archE906ELNS1_3gpuE6ELNS1_3repE0EEENS1_30default_config_static_selectorELNS0_4arch9wavefront6targetE1EEEvT1_.kd
    .uniform_work_group_size: 1
    .uses_dynamic_stack: false
    .vgpr_count:     0
    .vgpr_spill_count: 0
    .wavefront_size: 64
  - .agpr_count:     0
    .args:
      - .offset:         0
        .size:           96
        .value_kind:     by_value
    .group_segment_fixed_size: 0
    .kernarg_segment_align: 8
    .kernarg_segment_size: 96
    .language:       OpenCL C
    .language_version:
      - 2
      - 0
    .max_flat_workgroup_size: 256
    .name:           _ZN7rocprim17ROCPRIM_400000_NS6detail17trampoline_kernelINS0_14default_configENS1_20scan_config_selectorIiEEZZNS1_9scan_implILNS1_25lookback_scan_determinismE0ELb1ELb1ES3_N6thrust23THRUST_200600_302600_NS10device_ptrIiEESB_iNS9_4plusIvEEiEEDaPvRmT3_T4_T5_mT6_P12ihipStream_tbENKUlT_T0_E_clISt17integral_constantIbLb1EESQ_IbLb0EEEEDaSM_SN_EUlSM_E_NS1_11comp_targetILNS1_3genE10ELNS1_11target_archE1201ELNS1_3gpuE5ELNS1_3repE0EEENS1_30default_config_static_selectorELNS0_4arch9wavefront6targetE1EEEvT1_
    .private_segment_fixed_size: 0
    .sgpr_count:     4
    .sgpr_spill_count: 0
    .symbol:         _ZN7rocprim17ROCPRIM_400000_NS6detail17trampoline_kernelINS0_14default_configENS1_20scan_config_selectorIiEEZZNS1_9scan_implILNS1_25lookback_scan_determinismE0ELb1ELb1ES3_N6thrust23THRUST_200600_302600_NS10device_ptrIiEESB_iNS9_4plusIvEEiEEDaPvRmT3_T4_T5_mT6_P12ihipStream_tbENKUlT_T0_E_clISt17integral_constantIbLb1EESQ_IbLb0EEEEDaSM_SN_EUlSM_E_NS1_11comp_targetILNS1_3genE10ELNS1_11target_archE1201ELNS1_3gpuE5ELNS1_3repE0EEENS1_30default_config_static_selectorELNS0_4arch9wavefront6targetE1EEEvT1_.kd
    .uniform_work_group_size: 1
    .uses_dynamic_stack: false
    .vgpr_count:     0
    .vgpr_spill_count: 0
    .wavefront_size: 64
  - .agpr_count:     0
    .args:
      - .offset:         0
        .size:           96
        .value_kind:     by_value
    .group_segment_fixed_size: 0
    .kernarg_segment_align: 8
    .kernarg_segment_size: 96
    .language:       OpenCL C
    .language_version:
      - 2
      - 0
    .max_flat_workgroup_size: 256
    .name:           _ZN7rocprim17ROCPRIM_400000_NS6detail17trampoline_kernelINS0_14default_configENS1_20scan_config_selectorIiEEZZNS1_9scan_implILNS1_25lookback_scan_determinismE0ELb1ELb1ES3_N6thrust23THRUST_200600_302600_NS10device_ptrIiEESB_iNS9_4plusIvEEiEEDaPvRmT3_T4_T5_mT6_P12ihipStream_tbENKUlT_T0_E_clISt17integral_constantIbLb1EESQ_IbLb0EEEEDaSM_SN_EUlSM_E_NS1_11comp_targetILNS1_3genE10ELNS1_11target_archE1200ELNS1_3gpuE4ELNS1_3repE0EEENS1_30default_config_static_selectorELNS0_4arch9wavefront6targetE1EEEvT1_
    .private_segment_fixed_size: 0
    .sgpr_count:     4
    .sgpr_spill_count: 0
    .symbol:         _ZN7rocprim17ROCPRIM_400000_NS6detail17trampoline_kernelINS0_14default_configENS1_20scan_config_selectorIiEEZZNS1_9scan_implILNS1_25lookback_scan_determinismE0ELb1ELb1ES3_N6thrust23THRUST_200600_302600_NS10device_ptrIiEESB_iNS9_4plusIvEEiEEDaPvRmT3_T4_T5_mT6_P12ihipStream_tbENKUlT_T0_E_clISt17integral_constantIbLb1EESQ_IbLb0EEEEDaSM_SN_EUlSM_E_NS1_11comp_targetILNS1_3genE10ELNS1_11target_archE1200ELNS1_3gpuE4ELNS1_3repE0EEENS1_30default_config_static_selectorELNS0_4arch9wavefront6targetE1EEEvT1_.kd
    .uniform_work_group_size: 1
    .uses_dynamic_stack: false
    .vgpr_count:     0
    .vgpr_spill_count: 0
    .wavefront_size: 64
  - .agpr_count:     0
    .args:
      - .offset:         0
        .size:           96
        .value_kind:     by_value
    .group_segment_fixed_size: 0
    .kernarg_segment_align: 8
    .kernarg_segment_size: 96
    .language:       OpenCL C
    .language_version:
      - 2
      - 0
    .max_flat_workgroup_size: 256
    .name:           _ZN7rocprim17ROCPRIM_400000_NS6detail17trampoline_kernelINS0_14default_configENS1_20scan_config_selectorIiEEZZNS1_9scan_implILNS1_25lookback_scan_determinismE0ELb1ELb1ES3_N6thrust23THRUST_200600_302600_NS10device_ptrIiEESB_iNS9_4plusIvEEiEEDaPvRmT3_T4_T5_mT6_P12ihipStream_tbENKUlT_T0_E_clISt17integral_constantIbLb1EESQ_IbLb0EEEEDaSM_SN_EUlSM_E_NS1_11comp_targetILNS1_3genE9ELNS1_11target_archE1100ELNS1_3gpuE3ELNS1_3repE0EEENS1_30default_config_static_selectorELNS0_4arch9wavefront6targetE1EEEvT1_
    .private_segment_fixed_size: 0
    .sgpr_count:     4
    .sgpr_spill_count: 0
    .symbol:         _ZN7rocprim17ROCPRIM_400000_NS6detail17trampoline_kernelINS0_14default_configENS1_20scan_config_selectorIiEEZZNS1_9scan_implILNS1_25lookback_scan_determinismE0ELb1ELb1ES3_N6thrust23THRUST_200600_302600_NS10device_ptrIiEESB_iNS9_4plusIvEEiEEDaPvRmT3_T4_T5_mT6_P12ihipStream_tbENKUlT_T0_E_clISt17integral_constantIbLb1EESQ_IbLb0EEEEDaSM_SN_EUlSM_E_NS1_11comp_targetILNS1_3genE9ELNS1_11target_archE1100ELNS1_3gpuE3ELNS1_3repE0EEENS1_30default_config_static_selectorELNS0_4arch9wavefront6targetE1EEEvT1_.kd
    .uniform_work_group_size: 1
    .uses_dynamic_stack: false
    .vgpr_count:     0
    .vgpr_spill_count: 0
    .wavefront_size: 64
  - .agpr_count:     0
    .args:
      - .offset:         0
        .size:           96
        .value_kind:     by_value
    .group_segment_fixed_size: 0
    .kernarg_segment_align: 8
    .kernarg_segment_size: 96
    .language:       OpenCL C
    .language_version:
      - 2
      - 0
    .max_flat_workgroup_size: 64
    .name:           _ZN7rocprim17ROCPRIM_400000_NS6detail17trampoline_kernelINS0_14default_configENS1_20scan_config_selectorIiEEZZNS1_9scan_implILNS1_25lookback_scan_determinismE0ELb1ELb1ES3_N6thrust23THRUST_200600_302600_NS10device_ptrIiEESB_iNS9_4plusIvEEiEEDaPvRmT3_T4_T5_mT6_P12ihipStream_tbENKUlT_T0_E_clISt17integral_constantIbLb1EESQ_IbLb0EEEEDaSM_SN_EUlSM_E_NS1_11comp_targetILNS1_3genE8ELNS1_11target_archE1030ELNS1_3gpuE2ELNS1_3repE0EEENS1_30default_config_static_selectorELNS0_4arch9wavefront6targetE1EEEvT1_
    .private_segment_fixed_size: 0
    .sgpr_count:     4
    .sgpr_spill_count: 0
    .symbol:         _ZN7rocprim17ROCPRIM_400000_NS6detail17trampoline_kernelINS0_14default_configENS1_20scan_config_selectorIiEEZZNS1_9scan_implILNS1_25lookback_scan_determinismE0ELb1ELb1ES3_N6thrust23THRUST_200600_302600_NS10device_ptrIiEESB_iNS9_4plusIvEEiEEDaPvRmT3_T4_T5_mT6_P12ihipStream_tbENKUlT_T0_E_clISt17integral_constantIbLb1EESQ_IbLb0EEEEDaSM_SN_EUlSM_E_NS1_11comp_targetILNS1_3genE8ELNS1_11target_archE1030ELNS1_3gpuE2ELNS1_3repE0EEENS1_30default_config_static_selectorELNS0_4arch9wavefront6targetE1EEEvT1_.kd
    .uniform_work_group_size: 1
    .uses_dynamic_stack: false
    .vgpr_count:     0
    .vgpr_spill_count: 0
    .wavefront_size: 64
  - .agpr_count:     0
    .args:
      - .offset:         0
        .size:           32
        .value_kind:     by_value
    .group_segment_fixed_size: 0
    .kernarg_segment_align: 8
    .kernarg_segment_size: 32
    .language:       OpenCL C
    .language_version:
      - 2
      - 0
    .max_flat_workgroup_size: 256
    .name:           _ZN7rocprim17ROCPRIM_400000_NS6detail17trampoline_kernelINS0_14default_configENS1_20scan_config_selectorIiEEZZNS1_9scan_implILNS1_25lookback_scan_determinismE0ELb1ELb1ES3_N6thrust23THRUST_200600_302600_NS10device_ptrIiEESB_iNS9_4plusIvEEiEEDaPvRmT3_T4_T5_mT6_P12ihipStream_tbENKUlT_T0_E_clISt17integral_constantIbLb1EESQ_IbLb0EEEEDaSM_SN_EUlSM_E0_NS1_11comp_targetILNS1_3genE0ELNS1_11target_archE4294967295ELNS1_3gpuE0ELNS1_3repE0EEENS1_30default_config_static_selectorELNS0_4arch9wavefront6targetE1EEEvT1_
    .private_segment_fixed_size: 0
    .sgpr_count:     4
    .sgpr_spill_count: 0
    .symbol:         _ZN7rocprim17ROCPRIM_400000_NS6detail17trampoline_kernelINS0_14default_configENS1_20scan_config_selectorIiEEZZNS1_9scan_implILNS1_25lookback_scan_determinismE0ELb1ELb1ES3_N6thrust23THRUST_200600_302600_NS10device_ptrIiEESB_iNS9_4plusIvEEiEEDaPvRmT3_T4_T5_mT6_P12ihipStream_tbENKUlT_T0_E_clISt17integral_constantIbLb1EESQ_IbLb0EEEEDaSM_SN_EUlSM_E0_NS1_11comp_targetILNS1_3genE0ELNS1_11target_archE4294967295ELNS1_3gpuE0ELNS1_3repE0EEENS1_30default_config_static_selectorELNS0_4arch9wavefront6targetE1EEEvT1_.kd
    .uniform_work_group_size: 1
    .uses_dynamic_stack: false
    .vgpr_count:     0
    .vgpr_spill_count: 0
    .wavefront_size: 64
  - .agpr_count:     0
    .args:
      - .offset:         0
        .size:           32
        .value_kind:     by_value
    .group_segment_fixed_size: 0
    .kernarg_segment_align: 8
    .kernarg_segment_size: 32
    .language:       OpenCL C
    .language_version:
      - 2
      - 0
    .max_flat_workgroup_size: 256
    .name:           _ZN7rocprim17ROCPRIM_400000_NS6detail17trampoline_kernelINS0_14default_configENS1_20scan_config_selectorIiEEZZNS1_9scan_implILNS1_25lookback_scan_determinismE0ELb1ELb1ES3_N6thrust23THRUST_200600_302600_NS10device_ptrIiEESB_iNS9_4plusIvEEiEEDaPvRmT3_T4_T5_mT6_P12ihipStream_tbENKUlT_T0_E_clISt17integral_constantIbLb1EESQ_IbLb0EEEEDaSM_SN_EUlSM_E0_NS1_11comp_targetILNS1_3genE5ELNS1_11target_archE942ELNS1_3gpuE9ELNS1_3repE0EEENS1_30default_config_static_selectorELNS0_4arch9wavefront6targetE1EEEvT1_
    .private_segment_fixed_size: 0
    .sgpr_count:     4
    .sgpr_spill_count: 0
    .symbol:         _ZN7rocprim17ROCPRIM_400000_NS6detail17trampoline_kernelINS0_14default_configENS1_20scan_config_selectorIiEEZZNS1_9scan_implILNS1_25lookback_scan_determinismE0ELb1ELb1ES3_N6thrust23THRUST_200600_302600_NS10device_ptrIiEESB_iNS9_4plusIvEEiEEDaPvRmT3_T4_T5_mT6_P12ihipStream_tbENKUlT_T0_E_clISt17integral_constantIbLb1EESQ_IbLb0EEEEDaSM_SN_EUlSM_E0_NS1_11comp_targetILNS1_3genE5ELNS1_11target_archE942ELNS1_3gpuE9ELNS1_3repE0EEENS1_30default_config_static_selectorELNS0_4arch9wavefront6targetE1EEEvT1_.kd
    .uniform_work_group_size: 1
    .uses_dynamic_stack: false
    .vgpr_count:     0
    .vgpr_spill_count: 0
    .wavefront_size: 64
  - .agpr_count:     0
    .args:
      - .offset:         0
        .size:           32
        .value_kind:     by_value
    .group_segment_fixed_size: 5120
    .kernarg_segment_align: 8
    .kernarg_segment_size: 32
    .language:       OpenCL C
    .language_version:
      - 2
      - 0
    .max_flat_workgroup_size: 128
    .name:           _ZN7rocprim17ROCPRIM_400000_NS6detail17trampoline_kernelINS0_14default_configENS1_20scan_config_selectorIiEEZZNS1_9scan_implILNS1_25lookback_scan_determinismE0ELb1ELb1ES3_N6thrust23THRUST_200600_302600_NS10device_ptrIiEESB_iNS9_4plusIvEEiEEDaPvRmT3_T4_T5_mT6_P12ihipStream_tbENKUlT_T0_E_clISt17integral_constantIbLb1EESQ_IbLb0EEEEDaSM_SN_EUlSM_E0_NS1_11comp_targetILNS1_3genE4ELNS1_11target_archE910ELNS1_3gpuE8ELNS1_3repE0EEENS1_30default_config_static_selectorELNS0_4arch9wavefront6targetE1EEEvT1_
    .private_segment_fixed_size: 0
    .sgpr_count:     29
    .sgpr_spill_count: 0
    .symbol:         _ZN7rocprim17ROCPRIM_400000_NS6detail17trampoline_kernelINS0_14default_configENS1_20scan_config_selectorIiEEZZNS1_9scan_implILNS1_25lookback_scan_determinismE0ELb1ELb1ES3_N6thrust23THRUST_200600_302600_NS10device_ptrIiEESB_iNS9_4plusIvEEiEEDaPvRmT3_T4_T5_mT6_P12ihipStream_tbENKUlT_T0_E_clISt17integral_constantIbLb1EESQ_IbLb0EEEEDaSM_SN_EUlSM_E0_NS1_11comp_targetILNS1_3genE4ELNS1_11target_archE910ELNS1_3gpuE8ELNS1_3repE0EEENS1_30default_config_static_selectorELNS0_4arch9wavefront6targetE1EEEvT1_.kd
    .uniform_work_group_size: 1
    .uses_dynamic_stack: false
    .vgpr_count:     18
    .vgpr_spill_count: 0
    .wavefront_size: 64
  - .agpr_count:     0
    .args:
      - .offset:         0
        .size:           32
        .value_kind:     by_value
    .group_segment_fixed_size: 0
    .kernarg_segment_align: 8
    .kernarg_segment_size: 32
    .language:       OpenCL C
    .language_version:
      - 2
      - 0
    .max_flat_workgroup_size: 256
    .name:           _ZN7rocprim17ROCPRIM_400000_NS6detail17trampoline_kernelINS0_14default_configENS1_20scan_config_selectorIiEEZZNS1_9scan_implILNS1_25lookback_scan_determinismE0ELb1ELb1ES3_N6thrust23THRUST_200600_302600_NS10device_ptrIiEESB_iNS9_4plusIvEEiEEDaPvRmT3_T4_T5_mT6_P12ihipStream_tbENKUlT_T0_E_clISt17integral_constantIbLb1EESQ_IbLb0EEEEDaSM_SN_EUlSM_E0_NS1_11comp_targetILNS1_3genE3ELNS1_11target_archE908ELNS1_3gpuE7ELNS1_3repE0EEENS1_30default_config_static_selectorELNS0_4arch9wavefront6targetE1EEEvT1_
    .private_segment_fixed_size: 0
    .sgpr_count:     4
    .sgpr_spill_count: 0
    .symbol:         _ZN7rocprim17ROCPRIM_400000_NS6detail17trampoline_kernelINS0_14default_configENS1_20scan_config_selectorIiEEZZNS1_9scan_implILNS1_25lookback_scan_determinismE0ELb1ELb1ES3_N6thrust23THRUST_200600_302600_NS10device_ptrIiEESB_iNS9_4plusIvEEiEEDaPvRmT3_T4_T5_mT6_P12ihipStream_tbENKUlT_T0_E_clISt17integral_constantIbLb1EESQ_IbLb0EEEEDaSM_SN_EUlSM_E0_NS1_11comp_targetILNS1_3genE3ELNS1_11target_archE908ELNS1_3gpuE7ELNS1_3repE0EEENS1_30default_config_static_selectorELNS0_4arch9wavefront6targetE1EEEvT1_.kd
    .uniform_work_group_size: 1
    .uses_dynamic_stack: false
    .vgpr_count:     0
    .vgpr_spill_count: 0
    .wavefront_size: 64
  - .agpr_count:     0
    .args:
      - .offset:         0
        .size:           32
        .value_kind:     by_value
    .group_segment_fixed_size: 0
    .kernarg_segment_align: 8
    .kernarg_segment_size: 32
    .language:       OpenCL C
    .language_version:
      - 2
      - 0
    .max_flat_workgroup_size: 256
    .name:           _ZN7rocprim17ROCPRIM_400000_NS6detail17trampoline_kernelINS0_14default_configENS1_20scan_config_selectorIiEEZZNS1_9scan_implILNS1_25lookback_scan_determinismE0ELb1ELb1ES3_N6thrust23THRUST_200600_302600_NS10device_ptrIiEESB_iNS9_4plusIvEEiEEDaPvRmT3_T4_T5_mT6_P12ihipStream_tbENKUlT_T0_E_clISt17integral_constantIbLb1EESQ_IbLb0EEEEDaSM_SN_EUlSM_E0_NS1_11comp_targetILNS1_3genE2ELNS1_11target_archE906ELNS1_3gpuE6ELNS1_3repE0EEENS1_30default_config_static_selectorELNS0_4arch9wavefront6targetE1EEEvT1_
    .private_segment_fixed_size: 0
    .sgpr_count:     4
    .sgpr_spill_count: 0
    .symbol:         _ZN7rocprim17ROCPRIM_400000_NS6detail17trampoline_kernelINS0_14default_configENS1_20scan_config_selectorIiEEZZNS1_9scan_implILNS1_25lookback_scan_determinismE0ELb1ELb1ES3_N6thrust23THRUST_200600_302600_NS10device_ptrIiEESB_iNS9_4plusIvEEiEEDaPvRmT3_T4_T5_mT6_P12ihipStream_tbENKUlT_T0_E_clISt17integral_constantIbLb1EESQ_IbLb0EEEEDaSM_SN_EUlSM_E0_NS1_11comp_targetILNS1_3genE2ELNS1_11target_archE906ELNS1_3gpuE6ELNS1_3repE0EEENS1_30default_config_static_selectorELNS0_4arch9wavefront6targetE1EEEvT1_.kd
    .uniform_work_group_size: 1
    .uses_dynamic_stack: false
    .vgpr_count:     0
    .vgpr_spill_count: 0
    .wavefront_size: 64
  - .agpr_count:     0
    .args:
      - .offset:         0
        .size:           32
        .value_kind:     by_value
    .group_segment_fixed_size: 0
    .kernarg_segment_align: 8
    .kernarg_segment_size: 32
    .language:       OpenCL C
    .language_version:
      - 2
      - 0
    .max_flat_workgroup_size: 256
    .name:           _ZN7rocprim17ROCPRIM_400000_NS6detail17trampoline_kernelINS0_14default_configENS1_20scan_config_selectorIiEEZZNS1_9scan_implILNS1_25lookback_scan_determinismE0ELb1ELb1ES3_N6thrust23THRUST_200600_302600_NS10device_ptrIiEESB_iNS9_4plusIvEEiEEDaPvRmT3_T4_T5_mT6_P12ihipStream_tbENKUlT_T0_E_clISt17integral_constantIbLb1EESQ_IbLb0EEEEDaSM_SN_EUlSM_E0_NS1_11comp_targetILNS1_3genE10ELNS1_11target_archE1201ELNS1_3gpuE5ELNS1_3repE0EEENS1_30default_config_static_selectorELNS0_4arch9wavefront6targetE1EEEvT1_
    .private_segment_fixed_size: 0
    .sgpr_count:     4
    .sgpr_spill_count: 0
    .symbol:         _ZN7rocprim17ROCPRIM_400000_NS6detail17trampoline_kernelINS0_14default_configENS1_20scan_config_selectorIiEEZZNS1_9scan_implILNS1_25lookback_scan_determinismE0ELb1ELb1ES3_N6thrust23THRUST_200600_302600_NS10device_ptrIiEESB_iNS9_4plusIvEEiEEDaPvRmT3_T4_T5_mT6_P12ihipStream_tbENKUlT_T0_E_clISt17integral_constantIbLb1EESQ_IbLb0EEEEDaSM_SN_EUlSM_E0_NS1_11comp_targetILNS1_3genE10ELNS1_11target_archE1201ELNS1_3gpuE5ELNS1_3repE0EEENS1_30default_config_static_selectorELNS0_4arch9wavefront6targetE1EEEvT1_.kd
    .uniform_work_group_size: 1
    .uses_dynamic_stack: false
    .vgpr_count:     0
    .vgpr_spill_count: 0
    .wavefront_size: 64
  - .agpr_count:     0
    .args:
      - .offset:         0
        .size:           32
        .value_kind:     by_value
    .group_segment_fixed_size: 0
    .kernarg_segment_align: 8
    .kernarg_segment_size: 32
    .language:       OpenCL C
    .language_version:
      - 2
      - 0
    .max_flat_workgroup_size: 256
    .name:           _ZN7rocprim17ROCPRIM_400000_NS6detail17trampoline_kernelINS0_14default_configENS1_20scan_config_selectorIiEEZZNS1_9scan_implILNS1_25lookback_scan_determinismE0ELb1ELb1ES3_N6thrust23THRUST_200600_302600_NS10device_ptrIiEESB_iNS9_4plusIvEEiEEDaPvRmT3_T4_T5_mT6_P12ihipStream_tbENKUlT_T0_E_clISt17integral_constantIbLb1EESQ_IbLb0EEEEDaSM_SN_EUlSM_E0_NS1_11comp_targetILNS1_3genE10ELNS1_11target_archE1200ELNS1_3gpuE4ELNS1_3repE0EEENS1_30default_config_static_selectorELNS0_4arch9wavefront6targetE1EEEvT1_
    .private_segment_fixed_size: 0
    .sgpr_count:     4
    .sgpr_spill_count: 0
    .symbol:         _ZN7rocprim17ROCPRIM_400000_NS6detail17trampoline_kernelINS0_14default_configENS1_20scan_config_selectorIiEEZZNS1_9scan_implILNS1_25lookback_scan_determinismE0ELb1ELb1ES3_N6thrust23THRUST_200600_302600_NS10device_ptrIiEESB_iNS9_4plusIvEEiEEDaPvRmT3_T4_T5_mT6_P12ihipStream_tbENKUlT_T0_E_clISt17integral_constantIbLb1EESQ_IbLb0EEEEDaSM_SN_EUlSM_E0_NS1_11comp_targetILNS1_3genE10ELNS1_11target_archE1200ELNS1_3gpuE4ELNS1_3repE0EEENS1_30default_config_static_selectorELNS0_4arch9wavefront6targetE1EEEvT1_.kd
    .uniform_work_group_size: 1
    .uses_dynamic_stack: false
    .vgpr_count:     0
    .vgpr_spill_count: 0
    .wavefront_size: 64
  - .agpr_count:     0
    .args:
      - .offset:         0
        .size:           32
        .value_kind:     by_value
    .group_segment_fixed_size: 0
    .kernarg_segment_align: 8
    .kernarg_segment_size: 32
    .language:       OpenCL C
    .language_version:
      - 2
      - 0
    .max_flat_workgroup_size: 256
    .name:           _ZN7rocprim17ROCPRIM_400000_NS6detail17trampoline_kernelINS0_14default_configENS1_20scan_config_selectorIiEEZZNS1_9scan_implILNS1_25lookback_scan_determinismE0ELb1ELb1ES3_N6thrust23THRUST_200600_302600_NS10device_ptrIiEESB_iNS9_4plusIvEEiEEDaPvRmT3_T4_T5_mT6_P12ihipStream_tbENKUlT_T0_E_clISt17integral_constantIbLb1EESQ_IbLb0EEEEDaSM_SN_EUlSM_E0_NS1_11comp_targetILNS1_3genE9ELNS1_11target_archE1100ELNS1_3gpuE3ELNS1_3repE0EEENS1_30default_config_static_selectorELNS0_4arch9wavefront6targetE1EEEvT1_
    .private_segment_fixed_size: 0
    .sgpr_count:     4
    .sgpr_spill_count: 0
    .symbol:         _ZN7rocprim17ROCPRIM_400000_NS6detail17trampoline_kernelINS0_14default_configENS1_20scan_config_selectorIiEEZZNS1_9scan_implILNS1_25lookback_scan_determinismE0ELb1ELb1ES3_N6thrust23THRUST_200600_302600_NS10device_ptrIiEESB_iNS9_4plusIvEEiEEDaPvRmT3_T4_T5_mT6_P12ihipStream_tbENKUlT_T0_E_clISt17integral_constantIbLb1EESQ_IbLb0EEEEDaSM_SN_EUlSM_E0_NS1_11comp_targetILNS1_3genE9ELNS1_11target_archE1100ELNS1_3gpuE3ELNS1_3repE0EEENS1_30default_config_static_selectorELNS0_4arch9wavefront6targetE1EEEvT1_.kd
    .uniform_work_group_size: 1
    .uses_dynamic_stack: false
    .vgpr_count:     0
    .vgpr_spill_count: 0
    .wavefront_size: 64
  - .agpr_count:     0
    .args:
      - .offset:         0
        .size:           32
        .value_kind:     by_value
    .group_segment_fixed_size: 0
    .kernarg_segment_align: 8
    .kernarg_segment_size: 32
    .language:       OpenCL C
    .language_version:
      - 2
      - 0
    .max_flat_workgroup_size: 64
    .name:           _ZN7rocprim17ROCPRIM_400000_NS6detail17trampoline_kernelINS0_14default_configENS1_20scan_config_selectorIiEEZZNS1_9scan_implILNS1_25lookback_scan_determinismE0ELb1ELb1ES3_N6thrust23THRUST_200600_302600_NS10device_ptrIiEESB_iNS9_4plusIvEEiEEDaPvRmT3_T4_T5_mT6_P12ihipStream_tbENKUlT_T0_E_clISt17integral_constantIbLb1EESQ_IbLb0EEEEDaSM_SN_EUlSM_E0_NS1_11comp_targetILNS1_3genE8ELNS1_11target_archE1030ELNS1_3gpuE2ELNS1_3repE0EEENS1_30default_config_static_selectorELNS0_4arch9wavefront6targetE1EEEvT1_
    .private_segment_fixed_size: 0
    .sgpr_count:     4
    .sgpr_spill_count: 0
    .symbol:         _ZN7rocprim17ROCPRIM_400000_NS6detail17trampoline_kernelINS0_14default_configENS1_20scan_config_selectorIiEEZZNS1_9scan_implILNS1_25lookback_scan_determinismE0ELb1ELb1ES3_N6thrust23THRUST_200600_302600_NS10device_ptrIiEESB_iNS9_4plusIvEEiEEDaPvRmT3_T4_T5_mT6_P12ihipStream_tbENKUlT_T0_E_clISt17integral_constantIbLb1EESQ_IbLb0EEEEDaSM_SN_EUlSM_E0_NS1_11comp_targetILNS1_3genE8ELNS1_11target_archE1030ELNS1_3gpuE2ELNS1_3repE0EEENS1_30default_config_static_selectorELNS0_4arch9wavefront6targetE1EEEvT1_.kd
    .uniform_work_group_size: 1
    .uses_dynamic_stack: false
    .vgpr_count:     0
    .vgpr_spill_count: 0
    .wavefront_size: 64
  - .agpr_count:     0
    .args:
      - .offset:         0
        .size:           96
        .value_kind:     by_value
    .group_segment_fixed_size: 0
    .kernarg_segment_align: 8
    .kernarg_segment_size: 96
    .language:       OpenCL C
    .language_version:
      - 2
      - 0
    .max_flat_workgroup_size: 256
    .name:           _ZN7rocprim17ROCPRIM_400000_NS6detail17trampoline_kernelINS0_14default_configENS1_20scan_config_selectorIiEEZZNS1_9scan_implILNS1_25lookback_scan_determinismE0ELb1ELb1ES3_N6thrust23THRUST_200600_302600_NS10device_ptrIiEESB_iNS9_4plusIvEEiEEDaPvRmT3_T4_T5_mT6_P12ihipStream_tbENKUlT_T0_E_clISt17integral_constantIbLb0EESQ_IbLb1EEEEDaSM_SN_EUlSM_E_NS1_11comp_targetILNS1_3genE0ELNS1_11target_archE4294967295ELNS1_3gpuE0ELNS1_3repE0EEENS1_30default_config_static_selectorELNS0_4arch9wavefront6targetE1EEEvT1_
    .private_segment_fixed_size: 0
    .sgpr_count:     4
    .sgpr_spill_count: 0
    .symbol:         _ZN7rocprim17ROCPRIM_400000_NS6detail17trampoline_kernelINS0_14default_configENS1_20scan_config_selectorIiEEZZNS1_9scan_implILNS1_25lookback_scan_determinismE0ELb1ELb1ES3_N6thrust23THRUST_200600_302600_NS10device_ptrIiEESB_iNS9_4plusIvEEiEEDaPvRmT3_T4_T5_mT6_P12ihipStream_tbENKUlT_T0_E_clISt17integral_constantIbLb0EESQ_IbLb1EEEEDaSM_SN_EUlSM_E_NS1_11comp_targetILNS1_3genE0ELNS1_11target_archE4294967295ELNS1_3gpuE0ELNS1_3repE0EEENS1_30default_config_static_selectorELNS0_4arch9wavefront6targetE1EEEvT1_.kd
    .uniform_work_group_size: 1
    .uses_dynamic_stack: false
    .vgpr_count:     0
    .vgpr_spill_count: 0
    .wavefront_size: 64
  - .agpr_count:     0
    .args:
      - .offset:         0
        .size:           96
        .value_kind:     by_value
    .group_segment_fixed_size: 0
    .kernarg_segment_align: 8
    .kernarg_segment_size: 96
    .language:       OpenCL C
    .language_version:
      - 2
      - 0
    .max_flat_workgroup_size: 256
    .name:           _ZN7rocprim17ROCPRIM_400000_NS6detail17trampoline_kernelINS0_14default_configENS1_20scan_config_selectorIiEEZZNS1_9scan_implILNS1_25lookback_scan_determinismE0ELb1ELb1ES3_N6thrust23THRUST_200600_302600_NS10device_ptrIiEESB_iNS9_4plusIvEEiEEDaPvRmT3_T4_T5_mT6_P12ihipStream_tbENKUlT_T0_E_clISt17integral_constantIbLb0EESQ_IbLb1EEEEDaSM_SN_EUlSM_E_NS1_11comp_targetILNS1_3genE5ELNS1_11target_archE942ELNS1_3gpuE9ELNS1_3repE0EEENS1_30default_config_static_selectorELNS0_4arch9wavefront6targetE1EEEvT1_
    .private_segment_fixed_size: 0
    .sgpr_count:     4
    .sgpr_spill_count: 0
    .symbol:         _ZN7rocprim17ROCPRIM_400000_NS6detail17trampoline_kernelINS0_14default_configENS1_20scan_config_selectorIiEEZZNS1_9scan_implILNS1_25lookback_scan_determinismE0ELb1ELb1ES3_N6thrust23THRUST_200600_302600_NS10device_ptrIiEESB_iNS9_4plusIvEEiEEDaPvRmT3_T4_T5_mT6_P12ihipStream_tbENKUlT_T0_E_clISt17integral_constantIbLb0EESQ_IbLb1EEEEDaSM_SN_EUlSM_E_NS1_11comp_targetILNS1_3genE5ELNS1_11target_archE942ELNS1_3gpuE9ELNS1_3repE0EEENS1_30default_config_static_selectorELNS0_4arch9wavefront6targetE1EEEvT1_.kd
    .uniform_work_group_size: 1
    .uses_dynamic_stack: false
    .vgpr_count:     0
    .vgpr_spill_count: 0
    .wavefront_size: 64
  - .agpr_count:     0
    .args:
      - .offset:         0
        .size:           96
        .value_kind:     by_value
    .group_segment_fixed_size: 5120
    .kernarg_segment_align: 8
    .kernarg_segment_size: 96
    .language:       OpenCL C
    .language_version:
      - 2
      - 0
    .max_flat_workgroup_size: 128
    .name:           _ZN7rocprim17ROCPRIM_400000_NS6detail17trampoline_kernelINS0_14default_configENS1_20scan_config_selectorIiEEZZNS1_9scan_implILNS1_25lookback_scan_determinismE0ELb1ELb1ES3_N6thrust23THRUST_200600_302600_NS10device_ptrIiEESB_iNS9_4plusIvEEiEEDaPvRmT3_T4_T5_mT6_P12ihipStream_tbENKUlT_T0_E_clISt17integral_constantIbLb0EESQ_IbLb1EEEEDaSM_SN_EUlSM_E_NS1_11comp_targetILNS1_3genE4ELNS1_11target_archE910ELNS1_3gpuE8ELNS1_3repE0EEENS1_30default_config_static_selectorELNS0_4arch9wavefront6targetE1EEEvT1_
    .private_segment_fixed_size: 0
    .sgpr_count:     44
    .sgpr_spill_count: 0
    .symbol:         _ZN7rocprim17ROCPRIM_400000_NS6detail17trampoline_kernelINS0_14default_configENS1_20scan_config_selectorIiEEZZNS1_9scan_implILNS1_25lookback_scan_determinismE0ELb1ELb1ES3_N6thrust23THRUST_200600_302600_NS10device_ptrIiEESB_iNS9_4plusIvEEiEEDaPvRmT3_T4_T5_mT6_P12ihipStream_tbENKUlT_T0_E_clISt17integral_constantIbLb0EESQ_IbLb1EEEEDaSM_SN_EUlSM_E_NS1_11comp_targetILNS1_3genE4ELNS1_11target_archE910ELNS1_3gpuE8ELNS1_3repE0EEENS1_30default_config_static_selectorELNS0_4arch9wavefront6targetE1EEEvT1_.kd
    .uniform_work_group_size: 1
    .uses_dynamic_stack: false
    .vgpr_count:     41
    .vgpr_spill_count: 0
    .wavefront_size: 64
  - .agpr_count:     0
    .args:
      - .offset:         0
        .size:           96
        .value_kind:     by_value
    .group_segment_fixed_size: 0
    .kernarg_segment_align: 8
    .kernarg_segment_size: 96
    .language:       OpenCL C
    .language_version:
      - 2
      - 0
    .max_flat_workgroup_size: 256
    .name:           _ZN7rocprim17ROCPRIM_400000_NS6detail17trampoline_kernelINS0_14default_configENS1_20scan_config_selectorIiEEZZNS1_9scan_implILNS1_25lookback_scan_determinismE0ELb1ELb1ES3_N6thrust23THRUST_200600_302600_NS10device_ptrIiEESB_iNS9_4plusIvEEiEEDaPvRmT3_T4_T5_mT6_P12ihipStream_tbENKUlT_T0_E_clISt17integral_constantIbLb0EESQ_IbLb1EEEEDaSM_SN_EUlSM_E_NS1_11comp_targetILNS1_3genE3ELNS1_11target_archE908ELNS1_3gpuE7ELNS1_3repE0EEENS1_30default_config_static_selectorELNS0_4arch9wavefront6targetE1EEEvT1_
    .private_segment_fixed_size: 0
    .sgpr_count:     4
    .sgpr_spill_count: 0
    .symbol:         _ZN7rocprim17ROCPRIM_400000_NS6detail17trampoline_kernelINS0_14default_configENS1_20scan_config_selectorIiEEZZNS1_9scan_implILNS1_25lookback_scan_determinismE0ELb1ELb1ES3_N6thrust23THRUST_200600_302600_NS10device_ptrIiEESB_iNS9_4plusIvEEiEEDaPvRmT3_T4_T5_mT6_P12ihipStream_tbENKUlT_T0_E_clISt17integral_constantIbLb0EESQ_IbLb1EEEEDaSM_SN_EUlSM_E_NS1_11comp_targetILNS1_3genE3ELNS1_11target_archE908ELNS1_3gpuE7ELNS1_3repE0EEENS1_30default_config_static_selectorELNS0_4arch9wavefront6targetE1EEEvT1_.kd
    .uniform_work_group_size: 1
    .uses_dynamic_stack: false
    .vgpr_count:     0
    .vgpr_spill_count: 0
    .wavefront_size: 64
  - .agpr_count:     0
    .args:
      - .offset:         0
        .size:           96
        .value_kind:     by_value
    .group_segment_fixed_size: 0
    .kernarg_segment_align: 8
    .kernarg_segment_size: 96
    .language:       OpenCL C
    .language_version:
      - 2
      - 0
    .max_flat_workgroup_size: 256
    .name:           _ZN7rocprim17ROCPRIM_400000_NS6detail17trampoline_kernelINS0_14default_configENS1_20scan_config_selectorIiEEZZNS1_9scan_implILNS1_25lookback_scan_determinismE0ELb1ELb1ES3_N6thrust23THRUST_200600_302600_NS10device_ptrIiEESB_iNS9_4plusIvEEiEEDaPvRmT3_T4_T5_mT6_P12ihipStream_tbENKUlT_T0_E_clISt17integral_constantIbLb0EESQ_IbLb1EEEEDaSM_SN_EUlSM_E_NS1_11comp_targetILNS1_3genE2ELNS1_11target_archE906ELNS1_3gpuE6ELNS1_3repE0EEENS1_30default_config_static_selectorELNS0_4arch9wavefront6targetE1EEEvT1_
    .private_segment_fixed_size: 0
    .sgpr_count:     4
    .sgpr_spill_count: 0
    .symbol:         _ZN7rocprim17ROCPRIM_400000_NS6detail17trampoline_kernelINS0_14default_configENS1_20scan_config_selectorIiEEZZNS1_9scan_implILNS1_25lookback_scan_determinismE0ELb1ELb1ES3_N6thrust23THRUST_200600_302600_NS10device_ptrIiEESB_iNS9_4plusIvEEiEEDaPvRmT3_T4_T5_mT6_P12ihipStream_tbENKUlT_T0_E_clISt17integral_constantIbLb0EESQ_IbLb1EEEEDaSM_SN_EUlSM_E_NS1_11comp_targetILNS1_3genE2ELNS1_11target_archE906ELNS1_3gpuE6ELNS1_3repE0EEENS1_30default_config_static_selectorELNS0_4arch9wavefront6targetE1EEEvT1_.kd
    .uniform_work_group_size: 1
    .uses_dynamic_stack: false
    .vgpr_count:     0
    .vgpr_spill_count: 0
    .wavefront_size: 64
  - .agpr_count:     0
    .args:
      - .offset:         0
        .size:           96
        .value_kind:     by_value
    .group_segment_fixed_size: 0
    .kernarg_segment_align: 8
    .kernarg_segment_size: 96
    .language:       OpenCL C
    .language_version:
      - 2
      - 0
    .max_flat_workgroup_size: 256
    .name:           _ZN7rocprim17ROCPRIM_400000_NS6detail17trampoline_kernelINS0_14default_configENS1_20scan_config_selectorIiEEZZNS1_9scan_implILNS1_25lookback_scan_determinismE0ELb1ELb1ES3_N6thrust23THRUST_200600_302600_NS10device_ptrIiEESB_iNS9_4plusIvEEiEEDaPvRmT3_T4_T5_mT6_P12ihipStream_tbENKUlT_T0_E_clISt17integral_constantIbLb0EESQ_IbLb1EEEEDaSM_SN_EUlSM_E_NS1_11comp_targetILNS1_3genE10ELNS1_11target_archE1201ELNS1_3gpuE5ELNS1_3repE0EEENS1_30default_config_static_selectorELNS0_4arch9wavefront6targetE1EEEvT1_
    .private_segment_fixed_size: 0
    .sgpr_count:     4
    .sgpr_spill_count: 0
    .symbol:         _ZN7rocprim17ROCPRIM_400000_NS6detail17trampoline_kernelINS0_14default_configENS1_20scan_config_selectorIiEEZZNS1_9scan_implILNS1_25lookback_scan_determinismE0ELb1ELb1ES3_N6thrust23THRUST_200600_302600_NS10device_ptrIiEESB_iNS9_4plusIvEEiEEDaPvRmT3_T4_T5_mT6_P12ihipStream_tbENKUlT_T0_E_clISt17integral_constantIbLb0EESQ_IbLb1EEEEDaSM_SN_EUlSM_E_NS1_11comp_targetILNS1_3genE10ELNS1_11target_archE1201ELNS1_3gpuE5ELNS1_3repE0EEENS1_30default_config_static_selectorELNS0_4arch9wavefront6targetE1EEEvT1_.kd
    .uniform_work_group_size: 1
    .uses_dynamic_stack: false
    .vgpr_count:     0
    .vgpr_spill_count: 0
    .wavefront_size: 64
  - .agpr_count:     0
    .args:
      - .offset:         0
        .size:           96
        .value_kind:     by_value
    .group_segment_fixed_size: 0
    .kernarg_segment_align: 8
    .kernarg_segment_size: 96
    .language:       OpenCL C
    .language_version:
      - 2
      - 0
    .max_flat_workgroup_size: 256
    .name:           _ZN7rocprim17ROCPRIM_400000_NS6detail17trampoline_kernelINS0_14default_configENS1_20scan_config_selectorIiEEZZNS1_9scan_implILNS1_25lookback_scan_determinismE0ELb1ELb1ES3_N6thrust23THRUST_200600_302600_NS10device_ptrIiEESB_iNS9_4plusIvEEiEEDaPvRmT3_T4_T5_mT6_P12ihipStream_tbENKUlT_T0_E_clISt17integral_constantIbLb0EESQ_IbLb1EEEEDaSM_SN_EUlSM_E_NS1_11comp_targetILNS1_3genE10ELNS1_11target_archE1200ELNS1_3gpuE4ELNS1_3repE0EEENS1_30default_config_static_selectorELNS0_4arch9wavefront6targetE1EEEvT1_
    .private_segment_fixed_size: 0
    .sgpr_count:     4
    .sgpr_spill_count: 0
    .symbol:         _ZN7rocprim17ROCPRIM_400000_NS6detail17trampoline_kernelINS0_14default_configENS1_20scan_config_selectorIiEEZZNS1_9scan_implILNS1_25lookback_scan_determinismE0ELb1ELb1ES3_N6thrust23THRUST_200600_302600_NS10device_ptrIiEESB_iNS9_4plusIvEEiEEDaPvRmT3_T4_T5_mT6_P12ihipStream_tbENKUlT_T0_E_clISt17integral_constantIbLb0EESQ_IbLb1EEEEDaSM_SN_EUlSM_E_NS1_11comp_targetILNS1_3genE10ELNS1_11target_archE1200ELNS1_3gpuE4ELNS1_3repE0EEENS1_30default_config_static_selectorELNS0_4arch9wavefront6targetE1EEEvT1_.kd
    .uniform_work_group_size: 1
    .uses_dynamic_stack: false
    .vgpr_count:     0
    .vgpr_spill_count: 0
    .wavefront_size: 64
  - .agpr_count:     0
    .args:
      - .offset:         0
        .size:           96
        .value_kind:     by_value
    .group_segment_fixed_size: 0
    .kernarg_segment_align: 8
    .kernarg_segment_size: 96
    .language:       OpenCL C
    .language_version:
      - 2
      - 0
    .max_flat_workgroup_size: 256
    .name:           _ZN7rocprim17ROCPRIM_400000_NS6detail17trampoline_kernelINS0_14default_configENS1_20scan_config_selectorIiEEZZNS1_9scan_implILNS1_25lookback_scan_determinismE0ELb1ELb1ES3_N6thrust23THRUST_200600_302600_NS10device_ptrIiEESB_iNS9_4plusIvEEiEEDaPvRmT3_T4_T5_mT6_P12ihipStream_tbENKUlT_T0_E_clISt17integral_constantIbLb0EESQ_IbLb1EEEEDaSM_SN_EUlSM_E_NS1_11comp_targetILNS1_3genE9ELNS1_11target_archE1100ELNS1_3gpuE3ELNS1_3repE0EEENS1_30default_config_static_selectorELNS0_4arch9wavefront6targetE1EEEvT1_
    .private_segment_fixed_size: 0
    .sgpr_count:     4
    .sgpr_spill_count: 0
    .symbol:         _ZN7rocprim17ROCPRIM_400000_NS6detail17trampoline_kernelINS0_14default_configENS1_20scan_config_selectorIiEEZZNS1_9scan_implILNS1_25lookback_scan_determinismE0ELb1ELb1ES3_N6thrust23THRUST_200600_302600_NS10device_ptrIiEESB_iNS9_4plusIvEEiEEDaPvRmT3_T4_T5_mT6_P12ihipStream_tbENKUlT_T0_E_clISt17integral_constantIbLb0EESQ_IbLb1EEEEDaSM_SN_EUlSM_E_NS1_11comp_targetILNS1_3genE9ELNS1_11target_archE1100ELNS1_3gpuE3ELNS1_3repE0EEENS1_30default_config_static_selectorELNS0_4arch9wavefront6targetE1EEEvT1_.kd
    .uniform_work_group_size: 1
    .uses_dynamic_stack: false
    .vgpr_count:     0
    .vgpr_spill_count: 0
    .wavefront_size: 64
  - .agpr_count:     0
    .args:
      - .offset:         0
        .size:           96
        .value_kind:     by_value
    .group_segment_fixed_size: 0
    .kernarg_segment_align: 8
    .kernarg_segment_size: 96
    .language:       OpenCL C
    .language_version:
      - 2
      - 0
    .max_flat_workgroup_size: 64
    .name:           _ZN7rocprim17ROCPRIM_400000_NS6detail17trampoline_kernelINS0_14default_configENS1_20scan_config_selectorIiEEZZNS1_9scan_implILNS1_25lookback_scan_determinismE0ELb1ELb1ES3_N6thrust23THRUST_200600_302600_NS10device_ptrIiEESB_iNS9_4plusIvEEiEEDaPvRmT3_T4_T5_mT6_P12ihipStream_tbENKUlT_T0_E_clISt17integral_constantIbLb0EESQ_IbLb1EEEEDaSM_SN_EUlSM_E_NS1_11comp_targetILNS1_3genE8ELNS1_11target_archE1030ELNS1_3gpuE2ELNS1_3repE0EEENS1_30default_config_static_selectorELNS0_4arch9wavefront6targetE1EEEvT1_
    .private_segment_fixed_size: 0
    .sgpr_count:     4
    .sgpr_spill_count: 0
    .symbol:         _ZN7rocprim17ROCPRIM_400000_NS6detail17trampoline_kernelINS0_14default_configENS1_20scan_config_selectorIiEEZZNS1_9scan_implILNS1_25lookback_scan_determinismE0ELb1ELb1ES3_N6thrust23THRUST_200600_302600_NS10device_ptrIiEESB_iNS9_4plusIvEEiEEDaPvRmT3_T4_T5_mT6_P12ihipStream_tbENKUlT_T0_E_clISt17integral_constantIbLb0EESQ_IbLb1EEEEDaSM_SN_EUlSM_E_NS1_11comp_targetILNS1_3genE8ELNS1_11target_archE1030ELNS1_3gpuE2ELNS1_3repE0EEENS1_30default_config_static_selectorELNS0_4arch9wavefront6targetE1EEEvT1_.kd
    .uniform_work_group_size: 1
    .uses_dynamic_stack: false
    .vgpr_count:     0
    .vgpr_spill_count: 0
    .wavefront_size: 64
  - .agpr_count:     0
    .args:
      - .offset:         0
        .size:           32
        .value_kind:     by_value
    .group_segment_fixed_size: 0
    .kernarg_segment_align: 8
    .kernarg_segment_size: 32
    .language:       OpenCL C
    .language_version:
      - 2
      - 0
    .max_flat_workgroup_size: 256
    .name:           _ZN7rocprim17ROCPRIM_400000_NS6detail17trampoline_kernelINS0_14default_configENS1_20scan_config_selectorIiEEZZNS1_9scan_implILNS1_25lookback_scan_determinismE0ELb1ELb1ES3_N6thrust23THRUST_200600_302600_NS10device_ptrIiEESB_iNS9_4plusIvEEiEEDaPvRmT3_T4_T5_mT6_P12ihipStream_tbENKUlT_T0_E_clISt17integral_constantIbLb0EESQ_IbLb1EEEEDaSM_SN_EUlSM_E0_NS1_11comp_targetILNS1_3genE0ELNS1_11target_archE4294967295ELNS1_3gpuE0ELNS1_3repE0EEENS1_30default_config_static_selectorELNS0_4arch9wavefront6targetE1EEEvT1_
    .private_segment_fixed_size: 0
    .sgpr_count:     4
    .sgpr_spill_count: 0
    .symbol:         _ZN7rocprim17ROCPRIM_400000_NS6detail17trampoline_kernelINS0_14default_configENS1_20scan_config_selectorIiEEZZNS1_9scan_implILNS1_25lookback_scan_determinismE0ELb1ELb1ES3_N6thrust23THRUST_200600_302600_NS10device_ptrIiEESB_iNS9_4plusIvEEiEEDaPvRmT3_T4_T5_mT6_P12ihipStream_tbENKUlT_T0_E_clISt17integral_constantIbLb0EESQ_IbLb1EEEEDaSM_SN_EUlSM_E0_NS1_11comp_targetILNS1_3genE0ELNS1_11target_archE4294967295ELNS1_3gpuE0ELNS1_3repE0EEENS1_30default_config_static_selectorELNS0_4arch9wavefront6targetE1EEEvT1_.kd
    .uniform_work_group_size: 1
    .uses_dynamic_stack: false
    .vgpr_count:     0
    .vgpr_spill_count: 0
    .wavefront_size: 64
  - .agpr_count:     0
    .args:
      - .offset:         0
        .size:           32
        .value_kind:     by_value
    .group_segment_fixed_size: 0
    .kernarg_segment_align: 8
    .kernarg_segment_size: 32
    .language:       OpenCL C
    .language_version:
      - 2
      - 0
    .max_flat_workgroup_size: 256
    .name:           _ZN7rocprim17ROCPRIM_400000_NS6detail17trampoline_kernelINS0_14default_configENS1_20scan_config_selectorIiEEZZNS1_9scan_implILNS1_25lookback_scan_determinismE0ELb1ELb1ES3_N6thrust23THRUST_200600_302600_NS10device_ptrIiEESB_iNS9_4plusIvEEiEEDaPvRmT3_T4_T5_mT6_P12ihipStream_tbENKUlT_T0_E_clISt17integral_constantIbLb0EESQ_IbLb1EEEEDaSM_SN_EUlSM_E0_NS1_11comp_targetILNS1_3genE5ELNS1_11target_archE942ELNS1_3gpuE9ELNS1_3repE0EEENS1_30default_config_static_selectorELNS0_4arch9wavefront6targetE1EEEvT1_
    .private_segment_fixed_size: 0
    .sgpr_count:     4
    .sgpr_spill_count: 0
    .symbol:         _ZN7rocprim17ROCPRIM_400000_NS6detail17trampoline_kernelINS0_14default_configENS1_20scan_config_selectorIiEEZZNS1_9scan_implILNS1_25lookback_scan_determinismE0ELb1ELb1ES3_N6thrust23THRUST_200600_302600_NS10device_ptrIiEESB_iNS9_4plusIvEEiEEDaPvRmT3_T4_T5_mT6_P12ihipStream_tbENKUlT_T0_E_clISt17integral_constantIbLb0EESQ_IbLb1EEEEDaSM_SN_EUlSM_E0_NS1_11comp_targetILNS1_3genE5ELNS1_11target_archE942ELNS1_3gpuE9ELNS1_3repE0EEENS1_30default_config_static_selectorELNS0_4arch9wavefront6targetE1EEEvT1_.kd
    .uniform_work_group_size: 1
    .uses_dynamic_stack: false
    .vgpr_count:     0
    .vgpr_spill_count: 0
    .wavefront_size: 64
  - .agpr_count:     0
    .args:
      - .offset:         0
        .size:           32
        .value_kind:     by_value
    .group_segment_fixed_size: 5120
    .kernarg_segment_align: 8
    .kernarg_segment_size: 32
    .language:       OpenCL C
    .language_version:
      - 2
      - 0
    .max_flat_workgroup_size: 128
    .name:           _ZN7rocprim17ROCPRIM_400000_NS6detail17trampoline_kernelINS0_14default_configENS1_20scan_config_selectorIiEEZZNS1_9scan_implILNS1_25lookback_scan_determinismE0ELb1ELb1ES3_N6thrust23THRUST_200600_302600_NS10device_ptrIiEESB_iNS9_4plusIvEEiEEDaPvRmT3_T4_T5_mT6_P12ihipStream_tbENKUlT_T0_E_clISt17integral_constantIbLb0EESQ_IbLb1EEEEDaSM_SN_EUlSM_E0_NS1_11comp_targetILNS1_3genE4ELNS1_11target_archE910ELNS1_3gpuE8ELNS1_3repE0EEENS1_30default_config_static_selectorELNS0_4arch9wavefront6targetE1EEEvT1_
    .private_segment_fixed_size: 0
    .sgpr_count:     29
    .sgpr_spill_count: 0
    .symbol:         _ZN7rocprim17ROCPRIM_400000_NS6detail17trampoline_kernelINS0_14default_configENS1_20scan_config_selectorIiEEZZNS1_9scan_implILNS1_25lookback_scan_determinismE0ELb1ELb1ES3_N6thrust23THRUST_200600_302600_NS10device_ptrIiEESB_iNS9_4plusIvEEiEEDaPvRmT3_T4_T5_mT6_P12ihipStream_tbENKUlT_T0_E_clISt17integral_constantIbLb0EESQ_IbLb1EEEEDaSM_SN_EUlSM_E0_NS1_11comp_targetILNS1_3genE4ELNS1_11target_archE910ELNS1_3gpuE8ELNS1_3repE0EEENS1_30default_config_static_selectorELNS0_4arch9wavefront6targetE1EEEvT1_.kd
    .uniform_work_group_size: 1
    .uses_dynamic_stack: false
    .vgpr_count:     18
    .vgpr_spill_count: 0
    .wavefront_size: 64
  - .agpr_count:     0
    .args:
      - .offset:         0
        .size:           32
        .value_kind:     by_value
    .group_segment_fixed_size: 0
    .kernarg_segment_align: 8
    .kernarg_segment_size: 32
    .language:       OpenCL C
    .language_version:
      - 2
      - 0
    .max_flat_workgroup_size: 256
    .name:           _ZN7rocprim17ROCPRIM_400000_NS6detail17trampoline_kernelINS0_14default_configENS1_20scan_config_selectorIiEEZZNS1_9scan_implILNS1_25lookback_scan_determinismE0ELb1ELb1ES3_N6thrust23THRUST_200600_302600_NS10device_ptrIiEESB_iNS9_4plusIvEEiEEDaPvRmT3_T4_T5_mT6_P12ihipStream_tbENKUlT_T0_E_clISt17integral_constantIbLb0EESQ_IbLb1EEEEDaSM_SN_EUlSM_E0_NS1_11comp_targetILNS1_3genE3ELNS1_11target_archE908ELNS1_3gpuE7ELNS1_3repE0EEENS1_30default_config_static_selectorELNS0_4arch9wavefront6targetE1EEEvT1_
    .private_segment_fixed_size: 0
    .sgpr_count:     4
    .sgpr_spill_count: 0
    .symbol:         _ZN7rocprim17ROCPRIM_400000_NS6detail17trampoline_kernelINS0_14default_configENS1_20scan_config_selectorIiEEZZNS1_9scan_implILNS1_25lookback_scan_determinismE0ELb1ELb1ES3_N6thrust23THRUST_200600_302600_NS10device_ptrIiEESB_iNS9_4plusIvEEiEEDaPvRmT3_T4_T5_mT6_P12ihipStream_tbENKUlT_T0_E_clISt17integral_constantIbLb0EESQ_IbLb1EEEEDaSM_SN_EUlSM_E0_NS1_11comp_targetILNS1_3genE3ELNS1_11target_archE908ELNS1_3gpuE7ELNS1_3repE0EEENS1_30default_config_static_selectorELNS0_4arch9wavefront6targetE1EEEvT1_.kd
    .uniform_work_group_size: 1
    .uses_dynamic_stack: false
    .vgpr_count:     0
    .vgpr_spill_count: 0
    .wavefront_size: 64
  - .agpr_count:     0
    .args:
      - .offset:         0
        .size:           32
        .value_kind:     by_value
    .group_segment_fixed_size: 0
    .kernarg_segment_align: 8
    .kernarg_segment_size: 32
    .language:       OpenCL C
    .language_version:
      - 2
      - 0
    .max_flat_workgroup_size: 256
    .name:           _ZN7rocprim17ROCPRIM_400000_NS6detail17trampoline_kernelINS0_14default_configENS1_20scan_config_selectorIiEEZZNS1_9scan_implILNS1_25lookback_scan_determinismE0ELb1ELb1ES3_N6thrust23THRUST_200600_302600_NS10device_ptrIiEESB_iNS9_4plusIvEEiEEDaPvRmT3_T4_T5_mT6_P12ihipStream_tbENKUlT_T0_E_clISt17integral_constantIbLb0EESQ_IbLb1EEEEDaSM_SN_EUlSM_E0_NS1_11comp_targetILNS1_3genE2ELNS1_11target_archE906ELNS1_3gpuE6ELNS1_3repE0EEENS1_30default_config_static_selectorELNS0_4arch9wavefront6targetE1EEEvT1_
    .private_segment_fixed_size: 0
    .sgpr_count:     4
    .sgpr_spill_count: 0
    .symbol:         _ZN7rocprim17ROCPRIM_400000_NS6detail17trampoline_kernelINS0_14default_configENS1_20scan_config_selectorIiEEZZNS1_9scan_implILNS1_25lookback_scan_determinismE0ELb1ELb1ES3_N6thrust23THRUST_200600_302600_NS10device_ptrIiEESB_iNS9_4plusIvEEiEEDaPvRmT3_T4_T5_mT6_P12ihipStream_tbENKUlT_T0_E_clISt17integral_constantIbLb0EESQ_IbLb1EEEEDaSM_SN_EUlSM_E0_NS1_11comp_targetILNS1_3genE2ELNS1_11target_archE906ELNS1_3gpuE6ELNS1_3repE0EEENS1_30default_config_static_selectorELNS0_4arch9wavefront6targetE1EEEvT1_.kd
    .uniform_work_group_size: 1
    .uses_dynamic_stack: false
    .vgpr_count:     0
    .vgpr_spill_count: 0
    .wavefront_size: 64
  - .agpr_count:     0
    .args:
      - .offset:         0
        .size:           32
        .value_kind:     by_value
    .group_segment_fixed_size: 0
    .kernarg_segment_align: 8
    .kernarg_segment_size: 32
    .language:       OpenCL C
    .language_version:
      - 2
      - 0
    .max_flat_workgroup_size: 256
    .name:           _ZN7rocprim17ROCPRIM_400000_NS6detail17trampoline_kernelINS0_14default_configENS1_20scan_config_selectorIiEEZZNS1_9scan_implILNS1_25lookback_scan_determinismE0ELb1ELb1ES3_N6thrust23THRUST_200600_302600_NS10device_ptrIiEESB_iNS9_4plusIvEEiEEDaPvRmT3_T4_T5_mT6_P12ihipStream_tbENKUlT_T0_E_clISt17integral_constantIbLb0EESQ_IbLb1EEEEDaSM_SN_EUlSM_E0_NS1_11comp_targetILNS1_3genE10ELNS1_11target_archE1201ELNS1_3gpuE5ELNS1_3repE0EEENS1_30default_config_static_selectorELNS0_4arch9wavefront6targetE1EEEvT1_
    .private_segment_fixed_size: 0
    .sgpr_count:     4
    .sgpr_spill_count: 0
    .symbol:         _ZN7rocprim17ROCPRIM_400000_NS6detail17trampoline_kernelINS0_14default_configENS1_20scan_config_selectorIiEEZZNS1_9scan_implILNS1_25lookback_scan_determinismE0ELb1ELb1ES3_N6thrust23THRUST_200600_302600_NS10device_ptrIiEESB_iNS9_4plusIvEEiEEDaPvRmT3_T4_T5_mT6_P12ihipStream_tbENKUlT_T0_E_clISt17integral_constantIbLb0EESQ_IbLb1EEEEDaSM_SN_EUlSM_E0_NS1_11comp_targetILNS1_3genE10ELNS1_11target_archE1201ELNS1_3gpuE5ELNS1_3repE0EEENS1_30default_config_static_selectorELNS0_4arch9wavefront6targetE1EEEvT1_.kd
    .uniform_work_group_size: 1
    .uses_dynamic_stack: false
    .vgpr_count:     0
    .vgpr_spill_count: 0
    .wavefront_size: 64
  - .agpr_count:     0
    .args:
      - .offset:         0
        .size:           32
        .value_kind:     by_value
    .group_segment_fixed_size: 0
    .kernarg_segment_align: 8
    .kernarg_segment_size: 32
    .language:       OpenCL C
    .language_version:
      - 2
      - 0
    .max_flat_workgroup_size: 256
    .name:           _ZN7rocprim17ROCPRIM_400000_NS6detail17trampoline_kernelINS0_14default_configENS1_20scan_config_selectorIiEEZZNS1_9scan_implILNS1_25lookback_scan_determinismE0ELb1ELb1ES3_N6thrust23THRUST_200600_302600_NS10device_ptrIiEESB_iNS9_4plusIvEEiEEDaPvRmT3_T4_T5_mT6_P12ihipStream_tbENKUlT_T0_E_clISt17integral_constantIbLb0EESQ_IbLb1EEEEDaSM_SN_EUlSM_E0_NS1_11comp_targetILNS1_3genE10ELNS1_11target_archE1200ELNS1_3gpuE4ELNS1_3repE0EEENS1_30default_config_static_selectorELNS0_4arch9wavefront6targetE1EEEvT1_
    .private_segment_fixed_size: 0
    .sgpr_count:     4
    .sgpr_spill_count: 0
    .symbol:         _ZN7rocprim17ROCPRIM_400000_NS6detail17trampoline_kernelINS0_14default_configENS1_20scan_config_selectorIiEEZZNS1_9scan_implILNS1_25lookback_scan_determinismE0ELb1ELb1ES3_N6thrust23THRUST_200600_302600_NS10device_ptrIiEESB_iNS9_4plusIvEEiEEDaPvRmT3_T4_T5_mT6_P12ihipStream_tbENKUlT_T0_E_clISt17integral_constantIbLb0EESQ_IbLb1EEEEDaSM_SN_EUlSM_E0_NS1_11comp_targetILNS1_3genE10ELNS1_11target_archE1200ELNS1_3gpuE4ELNS1_3repE0EEENS1_30default_config_static_selectorELNS0_4arch9wavefront6targetE1EEEvT1_.kd
    .uniform_work_group_size: 1
    .uses_dynamic_stack: false
    .vgpr_count:     0
    .vgpr_spill_count: 0
    .wavefront_size: 64
  - .agpr_count:     0
    .args:
      - .offset:         0
        .size:           32
        .value_kind:     by_value
    .group_segment_fixed_size: 0
    .kernarg_segment_align: 8
    .kernarg_segment_size: 32
    .language:       OpenCL C
    .language_version:
      - 2
      - 0
    .max_flat_workgroup_size: 256
    .name:           _ZN7rocprim17ROCPRIM_400000_NS6detail17trampoline_kernelINS0_14default_configENS1_20scan_config_selectorIiEEZZNS1_9scan_implILNS1_25lookback_scan_determinismE0ELb1ELb1ES3_N6thrust23THRUST_200600_302600_NS10device_ptrIiEESB_iNS9_4plusIvEEiEEDaPvRmT3_T4_T5_mT6_P12ihipStream_tbENKUlT_T0_E_clISt17integral_constantIbLb0EESQ_IbLb1EEEEDaSM_SN_EUlSM_E0_NS1_11comp_targetILNS1_3genE9ELNS1_11target_archE1100ELNS1_3gpuE3ELNS1_3repE0EEENS1_30default_config_static_selectorELNS0_4arch9wavefront6targetE1EEEvT1_
    .private_segment_fixed_size: 0
    .sgpr_count:     4
    .sgpr_spill_count: 0
    .symbol:         _ZN7rocprim17ROCPRIM_400000_NS6detail17trampoline_kernelINS0_14default_configENS1_20scan_config_selectorIiEEZZNS1_9scan_implILNS1_25lookback_scan_determinismE0ELb1ELb1ES3_N6thrust23THRUST_200600_302600_NS10device_ptrIiEESB_iNS9_4plusIvEEiEEDaPvRmT3_T4_T5_mT6_P12ihipStream_tbENKUlT_T0_E_clISt17integral_constantIbLb0EESQ_IbLb1EEEEDaSM_SN_EUlSM_E0_NS1_11comp_targetILNS1_3genE9ELNS1_11target_archE1100ELNS1_3gpuE3ELNS1_3repE0EEENS1_30default_config_static_selectorELNS0_4arch9wavefront6targetE1EEEvT1_.kd
    .uniform_work_group_size: 1
    .uses_dynamic_stack: false
    .vgpr_count:     0
    .vgpr_spill_count: 0
    .wavefront_size: 64
  - .agpr_count:     0
    .args:
      - .offset:         0
        .size:           32
        .value_kind:     by_value
    .group_segment_fixed_size: 0
    .kernarg_segment_align: 8
    .kernarg_segment_size: 32
    .language:       OpenCL C
    .language_version:
      - 2
      - 0
    .max_flat_workgroup_size: 64
    .name:           _ZN7rocprim17ROCPRIM_400000_NS6detail17trampoline_kernelINS0_14default_configENS1_20scan_config_selectorIiEEZZNS1_9scan_implILNS1_25lookback_scan_determinismE0ELb1ELb1ES3_N6thrust23THRUST_200600_302600_NS10device_ptrIiEESB_iNS9_4plusIvEEiEEDaPvRmT3_T4_T5_mT6_P12ihipStream_tbENKUlT_T0_E_clISt17integral_constantIbLb0EESQ_IbLb1EEEEDaSM_SN_EUlSM_E0_NS1_11comp_targetILNS1_3genE8ELNS1_11target_archE1030ELNS1_3gpuE2ELNS1_3repE0EEENS1_30default_config_static_selectorELNS0_4arch9wavefront6targetE1EEEvT1_
    .private_segment_fixed_size: 0
    .sgpr_count:     4
    .sgpr_spill_count: 0
    .symbol:         _ZN7rocprim17ROCPRIM_400000_NS6detail17trampoline_kernelINS0_14default_configENS1_20scan_config_selectorIiEEZZNS1_9scan_implILNS1_25lookback_scan_determinismE0ELb1ELb1ES3_N6thrust23THRUST_200600_302600_NS10device_ptrIiEESB_iNS9_4plusIvEEiEEDaPvRmT3_T4_T5_mT6_P12ihipStream_tbENKUlT_T0_E_clISt17integral_constantIbLb0EESQ_IbLb1EEEEDaSM_SN_EUlSM_E0_NS1_11comp_targetILNS1_3genE8ELNS1_11target_archE1030ELNS1_3gpuE2ELNS1_3repE0EEENS1_30default_config_static_selectorELNS0_4arch9wavefront6targetE1EEEvT1_.kd
    .uniform_work_group_size: 1
    .uses_dynamic_stack: false
    .vgpr_count:     0
    .vgpr_spill_count: 0
    .wavefront_size: 64
  - .agpr_count:     0
    .args:
      - .offset:         0
        .size:           16
        .value_kind:     by_value
      - .offset:         16
        .size:           8
        .value_kind:     by_value
      - .offset:         24
        .size:           8
        .value_kind:     by_value
    .group_segment_fixed_size: 0
    .kernarg_segment_align: 8
    .kernarg_segment_size: 32
    .language:       OpenCL C
    .language_version:
      - 2
      - 0
    .max_flat_workgroup_size: 256
    .name:           _ZN6thrust23THRUST_200600_302600_NS11hip_rocprim14__parallel_for6kernelILj256ENS1_20__uninitialized_fill7functorINS0_10device_ptrI3IntEES7_EEmLj1EEEvT0_T1_SB_
    .private_segment_fixed_size: 0
    .sgpr_count:     16
    .sgpr_spill_count: 0
    .symbol:         _ZN6thrust23THRUST_200600_302600_NS11hip_rocprim14__parallel_for6kernelILj256ENS1_20__uninitialized_fill7functorINS0_10device_ptrI3IntEES7_EEmLj1EEEvT0_T1_SB_.kd
    .uniform_work_group_size: 1
    .uses_dynamic_stack: false
    .vgpr_count:     4
    .vgpr_spill_count: 0
    .wavefront_size: 64
  - .agpr_count:     0
    .args:
      - .offset:         0
        .size:           16
        .value_kind:     by_value
      - .offset:         16
        .size:           8
        .value_kind:     by_value
      - .offset:         24
        .size:           8
        .value_kind:     by_value
    .group_segment_fixed_size: 0
    .kernarg_segment_align: 8
    .kernarg_segment_size: 32
    .language:       OpenCL C
    .language_version:
      - 2
      - 0
    .max_flat_workgroup_size: 256
    .name:           _ZN6thrust23THRUST_200600_302600_NS11hip_rocprim14__parallel_for6kernelILj256ENS1_10for_each_fINS0_10device_ptrI3IntEENS0_6detail16wrapped_functionINS8_23allocator_traits_detail5gozerEvEEEElLj1EEEvT0_T1_SF_
    .private_segment_fixed_size: 0
    .sgpr_count:     4
    .sgpr_spill_count: 0
    .symbol:         _ZN6thrust23THRUST_200600_302600_NS11hip_rocprim14__parallel_for6kernelILj256ENS1_10for_each_fINS0_10device_ptrI3IntEENS0_6detail16wrapped_functionINS8_23allocator_traits_detail5gozerEvEEEElLj1EEEvT0_T1_SF_.kd
    .uniform_work_group_size: 1
    .uses_dynamic_stack: false
    .vgpr_count:     0
    .vgpr_spill_count: 0
    .wavefront_size: 64
  - .agpr_count:     0
    .args:
      - .address_space:  global
        .offset:         0
        .size:           8
        .value_kind:     global_buffer
      - .offset:         8
        .size:           4
        .value_kind:     by_value
      - .offset:         12
        .size:           1
        .value_kind:     by_value
      - .offset:         16
        .size:           4
        .value_kind:     by_value
      - .address_space:  global
        .offset:         24
        .size:           8
        .value_kind:     global_buffer
      - .offset:         32
        .size:           4
        .value_kind:     hidden_block_count_x
      - .offset:         36
        .size:           4
        .value_kind:     hidden_block_count_y
      - .offset:         40
        .size:           4
        .value_kind:     hidden_block_count_z
      - .offset:         44
        .size:           2
        .value_kind:     hidden_group_size_x
      - .offset:         46
        .size:           2
        .value_kind:     hidden_group_size_y
      - .offset:         48
        .size:           2
        .value_kind:     hidden_group_size_z
      - .offset:         50
        .size:           2
        .value_kind:     hidden_remainder_x
      - .offset:         52
        .size:           2
        .value_kind:     hidden_remainder_y
      - .offset:         54
        .size:           2
        .value_kind:     hidden_remainder_z
      - .offset:         72
        .size:           8
        .value_kind:     hidden_global_offset_x
      - .offset:         80
        .size:           8
        .value_kind:     hidden_global_offset_y
      - .offset:         88
        .size:           8
        .value_kind:     hidden_global_offset_z
      - .offset:         96
        .size:           2
        .value_kind:     hidden_grid_dims
    .group_segment_fixed_size: 0
    .kernarg_segment_align: 8
    .kernarg_segment_size: 288
    .language:       OpenCL C
    .language_version:
      - 2
      - 0
    .max_flat_workgroup_size: 256
    .name:           _ZN7rocprim17ROCPRIM_400000_NS6detail31init_lookback_scan_state_kernelINS1_19lookback_scan_stateI3IntLb0ELb1EEENS1_16block_id_wrapperIjLb0EEEEEvT_jT0_jPNS8_10value_typeE
    .private_segment_fixed_size: 0
    .sgpr_count:     13
    .sgpr_spill_count: 0
    .symbol:         _ZN7rocprim17ROCPRIM_400000_NS6detail31init_lookback_scan_state_kernelINS1_19lookback_scan_stateI3IntLb0ELb1EEENS1_16block_id_wrapperIjLb0EEEEEvT_jT0_jPNS8_10value_typeE.kd
    .uniform_work_group_size: 1
    .uses_dynamic_stack: false
    .vgpr_count:     6
    .vgpr_spill_count: 0
    .wavefront_size: 64
  - .agpr_count:     0
    .args:
      - .offset:         0
        .size:           96
        .value_kind:     by_value
    .group_segment_fixed_size: 0
    .kernarg_segment_align: 8
    .kernarg_segment_size: 96
    .language:       OpenCL C
    .language_version:
      - 2
      - 0
    .max_flat_workgroup_size: 256
    .name:           _ZN7rocprim17ROCPRIM_400000_NS6detail17trampoline_kernelINS0_14default_configENS1_20scan_config_selectorI3IntEEZZNS1_9scan_implILNS1_25lookback_scan_determinismE0ELb0ELb0ES3_N6thrust23THRUST_200600_302600_NS6detail15normal_iteratorINSA_10device_ptrIKS5_EEEENSC_INSD_IS5_EEEES5_NSA_4plusIvEES5_EEDaPvRmT3_T4_T5_mT6_P12ihipStream_tbENKUlT_T0_E_clISt17integral_constantIbLb0EESY_EEDaST_SU_EUlST_E_NS1_11comp_targetILNS1_3genE0ELNS1_11target_archE4294967295ELNS1_3gpuE0ELNS1_3repE0EEENS1_30default_config_static_selectorELNS0_4arch9wavefront6targetE1EEEvT1_
    .private_segment_fixed_size: 0
    .sgpr_count:     4
    .sgpr_spill_count: 0
    .symbol:         _ZN7rocprim17ROCPRIM_400000_NS6detail17trampoline_kernelINS0_14default_configENS1_20scan_config_selectorI3IntEEZZNS1_9scan_implILNS1_25lookback_scan_determinismE0ELb0ELb0ES3_N6thrust23THRUST_200600_302600_NS6detail15normal_iteratorINSA_10device_ptrIKS5_EEEENSC_INSD_IS5_EEEES5_NSA_4plusIvEES5_EEDaPvRmT3_T4_T5_mT6_P12ihipStream_tbENKUlT_T0_E_clISt17integral_constantIbLb0EESY_EEDaST_SU_EUlST_E_NS1_11comp_targetILNS1_3genE0ELNS1_11target_archE4294967295ELNS1_3gpuE0ELNS1_3repE0EEENS1_30default_config_static_selectorELNS0_4arch9wavefront6targetE1EEEvT1_.kd
    .uniform_work_group_size: 1
    .uses_dynamic_stack: false
    .vgpr_count:     0
    .vgpr_spill_count: 0
    .wavefront_size: 64
  - .agpr_count:     0
    .args:
      - .offset:         0
        .size:           96
        .value_kind:     by_value
    .group_segment_fixed_size: 0
    .kernarg_segment_align: 8
    .kernarg_segment_size: 96
    .language:       OpenCL C
    .language_version:
      - 2
      - 0
    .max_flat_workgroup_size: 256
    .name:           _ZN7rocprim17ROCPRIM_400000_NS6detail17trampoline_kernelINS0_14default_configENS1_20scan_config_selectorI3IntEEZZNS1_9scan_implILNS1_25lookback_scan_determinismE0ELb0ELb0ES3_N6thrust23THRUST_200600_302600_NS6detail15normal_iteratorINSA_10device_ptrIKS5_EEEENSC_INSD_IS5_EEEES5_NSA_4plusIvEES5_EEDaPvRmT3_T4_T5_mT6_P12ihipStream_tbENKUlT_T0_E_clISt17integral_constantIbLb0EESY_EEDaST_SU_EUlST_E_NS1_11comp_targetILNS1_3genE5ELNS1_11target_archE942ELNS1_3gpuE9ELNS1_3repE0EEENS1_30default_config_static_selectorELNS0_4arch9wavefront6targetE1EEEvT1_
    .private_segment_fixed_size: 0
    .sgpr_count:     4
    .sgpr_spill_count: 0
    .symbol:         _ZN7rocprim17ROCPRIM_400000_NS6detail17trampoline_kernelINS0_14default_configENS1_20scan_config_selectorI3IntEEZZNS1_9scan_implILNS1_25lookback_scan_determinismE0ELb0ELb0ES3_N6thrust23THRUST_200600_302600_NS6detail15normal_iteratorINSA_10device_ptrIKS5_EEEENSC_INSD_IS5_EEEES5_NSA_4plusIvEES5_EEDaPvRmT3_T4_T5_mT6_P12ihipStream_tbENKUlT_T0_E_clISt17integral_constantIbLb0EESY_EEDaST_SU_EUlST_E_NS1_11comp_targetILNS1_3genE5ELNS1_11target_archE942ELNS1_3gpuE9ELNS1_3repE0EEENS1_30default_config_static_selectorELNS0_4arch9wavefront6targetE1EEEvT1_.kd
    .uniform_work_group_size: 1
    .uses_dynamic_stack: false
    .vgpr_count:     0
    .vgpr_spill_count: 0
    .wavefront_size: 64
  - .agpr_count:     0
    .args:
      - .offset:         0
        .size:           96
        .value_kind:     by_value
    .group_segment_fixed_size: 5120
    .kernarg_segment_align: 8
    .kernarg_segment_size: 96
    .language:       OpenCL C
    .language_version:
      - 2
      - 0
    .max_flat_workgroup_size: 128
    .name:           _ZN7rocprim17ROCPRIM_400000_NS6detail17trampoline_kernelINS0_14default_configENS1_20scan_config_selectorI3IntEEZZNS1_9scan_implILNS1_25lookback_scan_determinismE0ELb0ELb0ES3_N6thrust23THRUST_200600_302600_NS6detail15normal_iteratorINSA_10device_ptrIKS5_EEEENSC_INSD_IS5_EEEES5_NSA_4plusIvEES5_EEDaPvRmT3_T4_T5_mT6_P12ihipStream_tbENKUlT_T0_E_clISt17integral_constantIbLb0EESY_EEDaST_SU_EUlST_E_NS1_11comp_targetILNS1_3genE4ELNS1_11target_archE910ELNS1_3gpuE8ELNS1_3repE0EEENS1_30default_config_static_selectorELNS0_4arch9wavefront6targetE1EEEvT1_
    .private_segment_fixed_size: 0
    .sgpr_count:     32
    .sgpr_spill_count: 0
    .symbol:         _ZN7rocprim17ROCPRIM_400000_NS6detail17trampoline_kernelINS0_14default_configENS1_20scan_config_selectorI3IntEEZZNS1_9scan_implILNS1_25lookback_scan_determinismE0ELb0ELb0ES3_N6thrust23THRUST_200600_302600_NS6detail15normal_iteratorINSA_10device_ptrIKS5_EEEENSC_INSD_IS5_EEEES5_NSA_4plusIvEES5_EEDaPvRmT3_T4_T5_mT6_P12ihipStream_tbENKUlT_T0_E_clISt17integral_constantIbLb0EESY_EEDaST_SU_EUlST_E_NS1_11comp_targetILNS1_3genE4ELNS1_11target_archE910ELNS1_3gpuE8ELNS1_3repE0EEENS1_30default_config_static_selectorELNS0_4arch9wavefront6targetE1EEEvT1_.kd
    .uniform_work_group_size: 1
    .uses_dynamic_stack: false
    .vgpr_count:     40
    .vgpr_spill_count: 0
    .wavefront_size: 64
  - .agpr_count:     0
    .args:
      - .offset:         0
        .size:           96
        .value_kind:     by_value
    .group_segment_fixed_size: 0
    .kernarg_segment_align: 8
    .kernarg_segment_size: 96
    .language:       OpenCL C
    .language_version:
      - 2
      - 0
    .max_flat_workgroup_size: 256
    .name:           _ZN7rocprim17ROCPRIM_400000_NS6detail17trampoline_kernelINS0_14default_configENS1_20scan_config_selectorI3IntEEZZNS1_9scan_implILNS1_25lookback_scan_determinismE0ELb0ELb0ES3_N6thrust23THRUST_200600_302600_NS6detail15normal_iteratorINSA_10device_ptrIKS5_EEEENSC_INSD_IS5_EEEES5_NSA_4plusIvEES5_EEDaPvRmT3_T4_T5_mT6_P12ihipStream_tbENKUlT_T0_E_clISt17integral_constantIbLb0EESY_EEDaST_SU_EUlST_E_NS1_11comp_targetILNS1_3genE3ELNS1_11target_archE908ELNS1_3gpuE7ELNS1_3repE0EEENS1_30default_config_static_selectorELNS0_4arch9wavefront6targetE1EEEvT1_
    .private_segment_fixed_size: 0
    .sgpr_count:     4
    .sgpr_spill_count: 0
    .symbol:         _ZN7rocprim17ROCPRIM_400000_NS6detail17trampoline_kernelINS0_14default_configENS1_20scan_config_selectorI3IntEEZZNS1_9scan_implILNS1_25lookback_scan_determinismE0ELb0ELb0ES3_N6thrust23THRUST_200600_302600_NS6detail15normal_iteratorINSA_10device_ptrIKS5_EEEENSC_INSD_IS5_EEEES5_NSA_4plusIvEES5_EEDaPvRmT3_T4_T5_mT6_P12ihipStream_tbENKUlT_T0_E_clISt17integral_constantIbLb0EESY_EEDaST_SU_EUlST_E_NS1_11comp_targetILNS1_3genE3ELNS1_11target_archE908ELNS1_3gpuE7ELNS1_3repE0EEENS1_30default_config_static_selectorELNS0_4arch9wavefront6targetE1EEEvT1_.kd
    .uniform_work_group_size: 1
    .uses_dynamic_stack: false
    .vgpr_count:     0
    .vgpr_spill_count: 0
    .wavefront_size: 64
  - .agpr_count:     0
    .args:
      - .offset:         0
        .size:           96
        .value_kind:     by_value
    .group_segment_fixed_size: 0
    .kernarg_segment_align: 8
    .kernarg_segment_size: 96
    .language:       OpenCL C
    .language_version:
      - 2
      - 0
    .max_flat_workgroup_size: 256
    .name:           _ZN7rocprim17ROCPRIM_400000_NS6detail17trampoline_kernelINS0_14default_configENS1_20scan_config_selectorI3IntEEZZNS1_9scan_implILNS1_25lookback_scan_determinismE0ELb0ELb0ES3_N6thrust23THRUST_200600_302600_NS6detail15normal_iteratorINSA_10device_ptrIKS5_EEEENSC_INSD_IS5_EEEES5_NSA_4plusIvEES5_EEDaPvRmT3_T4_T5_mT6_P12ihipStream_tbENKUlT_T0_E_clISt17integral_constantIbLb0EESY_EEDaST_SU_EUlST_E_NS1_11comp_targetILNS1_3genE2ELNS1_11target_archE906ELNS1_3gpuE6ELNS1_3repE0EEENS1_30default_config_static_selectorELNS0_4arch9wavefront6targetE1EEEvT1_
    .private_segment_fixed_size: 0
    .sgpr_count:     4
    .sgpr_spill_count: 0
    .symbol:         _ZN7rocprim17ROCPRIM_400000_NS6detail17trampoline_kernelINS0_14default_configENS1_20scan_config_selectorI3IntEEZZNS1_9scan_implILNS1_25lookback_scan_determinismE0ELb0ELb0ES3_N6thrust23THRUST_200600_302600_NS6detail15normal_iteratorINSA_10device_ptrIKS5_EEEENSC_INSD_IS5_EEEES5_NSA_4plusIvEES5_EEDaPvRmT3_T4_T5_mT6_P12ihipStream_tbENKUlT_T0_E_clISt17integral_constantIbLb0EESY_EEDaST_SU_EUlST_E_NS1_11comp_targetILNS1_3genE2ELNS1_11target_archE906ELNS1_3gpuE6ELNS1_3repE0EEENS1_30default_config_static_selectorELNS0_4arch9wavefront6targetE1EEEvT1_.kd
    .uniform_work_group_size: 1
    .uses_dynamic_stack: false
    .vgpr_count:     0
    .vgpr_spill_count: 0
    .wavefront_size: 64
  - .agpr_count:     0
    .args:
      - .offset:         0
        .size:           96
        .value_kind:     by_value
    .group_segment_fixed_size: 0
    .kernarg_segment_align: 8
    .kernarg_segment_size: 96
    .language:       OpenCL C
    .language_version:
      - 2
      - 0
    .max_flat_workgroup_size: 256
    .name:           _ZN7rocprim17ROCPRIM_400000_NS6detail17trampoline_kernelINS0_14default_configENS1_20scan_config_selectorI3IntEEZZNS1_9scan_implILNS1_25lookback_scan_determinismE0ELb0ELb0ES3_N6thrust23THRUST_200600_302600_NS6detail15normal_iteratorINSA_10device_ptrIKS5_EEEENSC_INSD_IS5_EEEES5_NSA_4plusIvEES5_EEDaPvRmT3_T4_T5_mT6_P12ihipStream_tbENKUlT_T0_E_clISt17integral_constantIbLb0EESY_EEDaST_SU_EUlST_E_NS1_11comp_targetILNS1_3genE10ELNS1_11target_archE1201ELNS1_3gpuE5ELNS1_3repE0EEENS1_30default_config_static_selectorELNS0_4arch9wavefront6targetE1EEEvT1_
    .private_segment_fixed_size: 0
    .sgpr_count:     4
    .sgpr_spill_count: 0
    .symbol:         _ZN7rocprim17ROCPRIM_400000_NS6detail17trampoline_kernelINS0_14default_configENS1_20scan_config_selectorI3IntEEZZNS1_9scan_implILNS1_25lookback_scan_determinismE0ELb0ELb0ES3_N6thrust23THRUST_200600_302600_NS6detail15normal_iteratorINSA_10device_ptrIKS5_EEEENSC_INSD_IS5_EEEES5_NSA_4plusIvEES5_EEDaPvRmT3_T4_T5_mT6_P12ihipStream_tbENKUlT_T0_E_clISt17integral_constantIbLb0EESY_EEDaST_SU_EUlST_E_NS1_11comp_targetILNS1_3genE10ELNS1_11target_archE1201ELNS1_3gpuE5ELNS1_3repE0EEENS1_30default_config_static_selectorELNS0_4arch9wavefront6targetE1EEEvT1_.kd
    .uniform_work_group_size: 1
    .uses_dynamic_stack: false
    .vgpr_count:     0
    .vgpr_spill_count: 0
    .wavefront_size: 64
  - .agpr_count:     0
    .args:
      - .offset:         0
        .size:           96
        .value_kind:     by_value
    .group_segment_fixed_size: 0
    .kernarg_segment_align: 8
    .kernarg_segment_size: 96
    .language:       OpenCL C
    .language_version:
      - 2
      - 0
    .max_flat_workgroup_size: 256
    .name:           _ZN7rocprim17ROCPRIM_400000_NS6detail17trampoline_kernelINS0_14default_configENS1_20scan_config_selectorI3IntEEZZNS1_9scan_implILNS1_25lookback_scan_determinismE0ELb0ELb0ES3_N6thrust23THRUST_200600_302600_NS6detail15normal_iteratorINSA_10device_ptrIKS5_EEEENSC_INSD_IS5_EEEES5_NSA_4plusIvEES5_EEDaPvRmT3_T4_T5_mT6_P12ihipStream_tbENKUlT_T0_E_clISt17integral_constantIbLb0EESY_EEDaST_SU_EUlST_E_NS1_11comp_targetILNS1_3genE10ELNS1_11target_archE1200ELNS1_3gpuE4ELNS1_3repE0EEENS1_30default_config_static_selectorELNS0_4arch9wavefront6targetE1EEEvT1_
    .private_segment_fixed_size: 0
    .sgpr_count:     4
    .sgpr_spill_count: 0
    .symbol:         _ZN7rocprim17ROCPRIM_400000_NS6detail17trampoline_kernelINS0_14default_configENS1_20scan_config_selectorI3IntEEZZNS1_9scan_implILNS1_25lookback_scan_determinismE0ELb0ELb0ES3_N6thrust23THRUST_200600_302600_NS6detail15normal_iteratorINSA_10device_ptrIKS5_EEEENSC_INSD_IS5_EEEES5_NSA_4plusIvEES5_EEDaPvRmT3_T4_T5_mT6_P12ihipStream_tbENKUlT_T0_E_clISt17integral_constantIbLb0EESY_EEDaST_SU_EUlST_E_NS1_11comp_targetILNS1_3genE10ELNS1_11target_archE1200ELNS1_3gpuE4ELNS1_3repE0EEENS1_30default_config_static_selectorELNS0_4arch9wavefront6targetE1EEEvT1_.kd
    .uniform_work_group_size: 1
    .uses_dynamic_stack: false
    .vgpr_count:     0
    .vgpr_spill_count: 0
    .wavefront_size: 64
  - .agpr_count:     0
    .args:
      - .offset:         0
        .size:           96
        .value_kind:     by_value
    .group_segment_fixed_size: 0
    .kernarg_segment_align: 8
    .kernarg_segment_size: 96
    .language:       OpenCL C
    .language_version:
      - 2
      - 0
    .max_flat_workgroup_size: 256
    .name:           _ZN7rocprim17ROCPRIM_400000_NS6detail17trampoline_kernelINS0_14default_configENS1_20scan_config_selectorI3IntEEZZNS1_9scan_implILNS1_25lookback_scan_determinismE0ELb0ELb0ES3_N6thrust23THRUST_200600_302600_NS6detail15normal_iteratorINSA_10device_ptrIKS5_EEEENSC_INSD_IS5_EEEES5_NSA_4plusIvEES5_EEDaPvRmT3_T4_T5_mT6_P12ihipStream_tbENKUlT_T0_E_clISt17integral_constantIbLb0EESY_EEDaST_SU_EUlST_E_NS1_11comp_targetILNS1_3genE9ELNS1_11target_archE1100ELNS1_3gpuE3ELNS1_3repE0EEENS1_30default_config_static_selectorELNS0_4arch9wavefront6targetE1EEEvT1_
    .private_segment_fixed_size: 0
    .sgpr_count:     4
    .sgpr_spill_count: 0
    .symbol:         _ZN7rocprim17ROCPRIM_400000_NS6detail17trampoline_kernelINS0_14default_configENS1_20scan_config_selectorI3IntEEZZNS1_9scan_implILNS1_25lookback_scan_determinismE0ELb0ELb0ES3_N6thrust23THRUST_200600_302600_NS6detail15normal_iteratorINSA_10device_ptrIKS5_EEEENSC_INSD_IS5_EEEES5_NSA_4plusIvEES5_EEDaPvRmT3_T4_T5_mT6_P12ihipStream_tbENKUlT_T0_E_clISt17integral_constantIbLb0EESY_EEDaST_SU_EUlST_E_NS1_11comp_targetILNS1_3genE9ELNS1_11target_archE1100ELNS1_3gpuE3ELNS1_3repE0EEENS1_30default_config_static_selectorELNS0_4arch9wavefront6targetE1EEEvT1_.kd
    .uniform_work_group_size: 1
    .uses_dynamic_stack: false
    .vgpr_count:     0
    .vgpr_spill_count: 0
    .wavefront_size: 64
  - .agpr_count:     0
    .args:
      - .offset:         0
        .size:           96
        .value_kind:     by_value
    .group_segment_fixed_size: 0
    .kernarg_segment_align: 8
    .kernarg_segment_size: 96
    .language:       OpenCL C
    .language_version:
      - 2
      - 0
    .max_flat_workgroup_size: 64
    .name:           _ZN7rocprim17ROCPRIM_400000_NS6detail17trampoline_kernelINS0_14default_configENS1_20scan_config_selectorI3IntEEZZNS1_9scan_implILNS1_25lookback_scan_determinismE0ELb0ELb0ES3_N6thrust23THRUST_200600_302600_NS6detail15normal_iteratorINSA_10device_ptrIKS5_EEEENSC_INSD_IS5_EEEES5_NSA_4plusIvEES5_EEDaPvRmT3_T4_T5_mT6_P12ihipStream_tbENKUlT_T0_E_clISt17integral_constantIbLb0EESY_EEDaST_SU_EUlST_E_NS1_11comp_targetILNS1_3genE8ELNS1_11target_archE1030ELNS1_3gpuE2ELNS1_3repE0EEENS1_30default_config_static_selectorELNS0_4arch9wavefront6targetE1EEEvT1_
    .private_segment_fixed_size: 0
    .sgpr_count:     4
    .sgpr_spill_count: 0
    .symbol:         _ZN7rocprim17ROCPRIM_400000_NS6detail17trampoline_kernelINS0_14default_configENS1_20scan_config_selectorI3IntEEZZNS1_9scan_implILNS1_25lookback_scan_determinismE0ELb0ELb0ES3_N6thrust23THRUST_200600_302600_NS6detail15normal_iteratorINSA_10device_ptrIKS5_EEEENSC_INSD_IS5_EEEES5_NSA_4plusIvEES5_EEDaPvRmT3_T4_T5_mT6_P12ihipStream_tbENKUlT_T0_E_clISt17integral_constantIbLb0EESY_EEDaST_SU_EUlST_E_NS1_11comp_targetILNS1_3genE8ELNS1_11target_archE1030ELNS1_3gpuE2ELNS1_3repE0EEENS1_30default_config_static_selectorELNS0_4arch9wavefront6targetE1EEEvT1_.kd
    .uniform_work_group_size: 1
    .uses_dynamic_stack: false
    .vgpr_count:     0
    .vgpr_spill_count: 0
    .wavefront_size: 64
  - .agpr_count:     0
    .args:
      - .offset:         0
        .size:           40
        .value_kind:     by_value
    .group_segment_fixed_size: 0
    .kernarg_segment_align: 8
    .kernarg_segment_size: 40
    .language:       OpenCL C
    .language_version:
      - 2
      - 0
    .max_flat_workgroup_size: 128
    .name:           _ZN7rocprim17ROCPRIM_400000_NS6detail17trampoline_kernelINS0_14default_configENS1_25transform_config_selectorI3IntLb1EEEZNS1_14transform_implILb1ES3_S6_PS5_S8_NS0_8identityIS5_EEEE10hipError_tT2_T3_mT4_P12ihipStream_tbEUlT_E_NS1_11comp_targetILNS1_3genE0ELNS1_11target_archE4294967295ELNS1_3gpuE0ELNS1_3repE0EEENS1_30default_config_static_selectorELNS0_4arch9wavefront6targetE1EEEvT1_
    .private_segment_fixed_size: 0
    .sgpr_count:     4
    .sgpr_spill_count: 0
    .symbol:         _ZN7rocprim17ROCPRIM_400000_NS6detail17trampoline_kernelINS0_14default_configENS1_25transform_config_selectorI3IntLb1EEEZNS1_14transform_implILb1ES3_S6_PS5_S8_NS0_8identityIS5_EEEE10hipError_tT2_T3_mT4_P12ihipStream_tbEUlT_E_NS1_11comp_targetILNS1_3genE0ELNS1_11target_archE4294967295ELNS1_3gpuE0ELNS1_3repE0EEENS1_30default_config_static_selectorELNS0_4arch9wavefront6targetE1EEEvT1_.kd
    .uniform_work_group_size: 1
    .uses_dynamic_stack: false
    .vgpr_count:     0
    .vgpr_spill_count: 0
    .wavefront_size: 64
  - .agpr_count:     0
    .args:
      - .offset:         0
        .size:           40
        .value_kind:     by_value
    .group_segment_fixed_size: 0
    .kernarg_segment_align: 8
    .kernarg_segment_size: 40
    .language:       OpenCL C
    .language_version:
      - 2
      - 0
    .max_flat_workgroup_size: 1024
    .name:           _ZN7rocprim17ROCPRIM_400000_NS6detail17trampoline_kernelINS0_14default_configENS1_25transform_config_selectorI3IntLb1EEEZNS1_14transform_implILb1ES3_S6_PS5_S8_NS0_8identityIS5_EEEE10hipError_tT2_T3_mT4_P12ihipStream_tbEUlT_E_NS1_11comp_targetILNS1_3genE10ELNS1_11target_archE1201ELNS1_3gpuE5ELNS1_3repE0EEENS1_30default_config_static_selectorELNS0_4arch9wavefront6targetE1EEEvT1_
    .private_segment_fixed_size: 0
    .sgpr_count:     4
    .sgpr_spill_count: 0
    .symbol:         _ZN7rocprim17ROCPRIM_400000_NS6detail17trampoline_kernelINS0_14default_configENS1_25transform_config_selectorI3IntLb1EEEZNS1_14transform_implILb1ES3_S6_PS5_S8_NS0_8identityIS5_EEEE10hipError_tT2_T3_mT4_P12ihipStream_tbEUlT_E_NS1_11comp_targetILNS1_3genE10ELNS1_11target_archE1201ELNS1_3gpuE5ELNS1_3repE0EEENS1_30default_config_static_selectorELNS0_4arch9wavefront6targetE1EEEvT1_.kd
    .uniform_work_group_size: 1
    .uses_dynamic_stack: false
    .vgpr_count:     0
    .vgpr_spill_count: 0
    .wavefront_size: 64
  - .agpr_count:     0
    .args:
      - .offset:         0
        .size:           40
        .value_kind:     by_value
    .group_segment_fixed_size: 0
    .kernarg_segment_align: 8
    .kernarg_segment_size: 40
    .language:       OpenCL C
    .language_version:
      - 2
      - 0
    .max_flat_workgroup_size: 256
    .name:           _ZN7rocprim17ROCPRIM_400000_NS6detail17trampoline_kernelINS0_14default_configENS1_25transform_config_selectorI3IntLb1EEEZNS1_14transform_implILb1ES3_S6_PS5_S8_NS0_8identityIS5_EEEE10hipError_tT2_T3_mT4_P12ihipStream_tbEUlT_E_NS1_11comp_targetILNS1_3genE5ELNS1_11target_archE942ELNS1_3gpuE9ELNS1_3repE0EEENS1_30default_config_static_selectorELNS0_4arch9wavefront6targetE1EEEvT1_
    .private_segment_fixed_size: 0
    .sgpr_count:     4
    .sgpr_spill_count: 0
    .symbol:         _ZN7rocprim17ROCPRIM_400000_NS6detail17trampoline_kernelINS0_14default_configENS1_25transform_config_selectorI3IntLb1EEEZNS1_14transform_implILb1ES3_S6_PS5_S8_NS0_8identityIS5_EEEE10hipError_tT2_T3_mT4_P12ihipStream_tbEUlT_E_NS1_11comp_targetILNS1_3genE5ELNS1_11target_archE942ELNS1_3gpuE9ELNS1_3repE0EEENS1_30default_config_static_selectorELNS0_4arch9wavefront6targetE1EEEvT1_.kd
    .uniform_work_group_size: 1
    .uses_dynamic_stack: false
    .vgpr_count:     0
    .vgpr_spill_count: 0
    .wavefront_size: 64
  - .agpr_count:     0
    .args:
      - .offset:         0
        .size:           40
        .value_kind:     by_value
      - .offset:         40
        .size:           4
        .value_kind:     hidden_block_count_x
      - .offset:         44
        .size:           4
        .value_kind:     hidden_block_count_y
      - .offset:         48
        .size:           4
        .value_kind:     hidden_block_count_z
      - .offset:         52
        .size:           2
        .value_kind:     hidden_group_size_x
      - .offset:         54
        .size:           2
        .value_kind:     hidden_group_size_y
      - .offset:         56
        .size:           2
        .value_kind:     hidden_group_size_z
      - .offset:         58
        .size:           2
        .value_kind:     hidden_remainder_x
      - .offset:         60
        .size:           2
        .value_kind:     hidden_remainder_y
      - .offset:         62
        .size:           2
        .value_kind:     hidden_remainder_z
      - .offset:         80
        .size:           8
        .value_kind:     hidden_global_offset_x
      - .offset:         88
        .size:           8
        .value_kind:     hidden_global_offset_y
      - .offset:         96
        .size:           8
        .value_kind:     hidden_global_offset_z
      - .offset:         104
        .size:           2
        .value_kind:     hidden_grid_dims
    .group_segment_fixed_size: 0
    .kernarg_segment_align: 8
    .kernarg_segment_size: 296
    .language:       OpenCL C
    .language_version:
      - 2
      - 0
    .max_flat_workgroup_size: 1024
    .name:           _ZN7rocprim17ROCPRIM_400000_NS6detail17trampoline_kernelINS0_14default_configENS1_25transform_config_selectorI3IntLb1EEEZNS1_14transform_implILb1ES3_S6_PS5_S8_NS0_8identityIS5_EEEE10hipError_tT2_T3_mT4_P12ihipStream_tbEUlT_E_NS1_11comp_targetILNS1_3genE4ELNS1_11target_archE910ELNS1_3gpuE8ELNS1_3repE0EEENS1_30default_config_static_selectorELNS0_4arch9wavefront6targetE1EEEvT1_
    .private_segment_fixed_size: 0
    .sgpr_count:     20
    .sgpr_spill_count: 0
    .symbol:         _ZN7rocprim17ROCPRIM_400000_NS6detail17trampoline_kernelINS0_14default_configENS1_25transform_config_selectorI3IntLb1EEEZNS1_14transform_implILb1ES3_S6_PS5_S8_NS0_8identityIS5_EEEE10hipError_tT2_T3_mT4_P12ihipStream_tbEUlT_E_NS1_11comp_targetILNS1_3genE4ELNS1_11target_archE910ELNS1_3gpuE8ELNS1_3repE0EEENS1_30default_config_static_selectorELNS0_4arch9wavefront6targetE1EEEvT1_.kd
    .uniform_work_group_size: 1
    .uses_dynamic_stack: false
    .vgpr_count:     8
    .vgpr_spill_count: 0
    .wavefront_size: 64
  - .agpr_count:     0
    .args:
      - .offset:         0
        .size:           40
        .value_kind:     by_value
    .group_segment_fixed_size: 0
    .kernarg_segment_align: 8
    .kernarg_segment_size: 40
    .language:       OpenCL C
    .language_version:
      - 2
      - 0
    .max_flat_workgroup_size: 128
    .name:           _ZN7rocprim17ROCPRIM_400000_NS6detail17trampoline_kernelINS0_14default_configENS1_25transform_config_selectorI3IntLb1EEEZNS1_14transform_implILb1ES3_S6_PS5_S8_NS0_8identityIS5_EEEE10hipError_tT2_T3_mT4_P12ihipStream_tbEUlT_E_NS1_11comp_targetILNS1_3genE3ELNS1_11target_archE908ELNS1_3gpuE7ELNS1_3repE0EEENS1_30default_config_static_selectorELNS0_4arch9wavefront6targetE1EEEvT1_
    .private_segment_fixed_size: 0
    .sgpr_count:     4
    .sgpr_spill_count: 0
    .symbol:         _ZN7rocprim17ROCPRIM_400000_NS6detail17trampoline_kernelINS0_14default_configENS1_25transform_config_selectorI3IntLb1EEEZNS1_14transform_implILb1ES3_S6_PS5_S8_NS0_8identityIS5_EEEE10hipError_tT2_T3_mT4_P12ihipStream_tbEUlT_E_NS1_11comp_targetILNS1_3genE3ELNS1_11target_archE908ELNS1_3gpuE7ELNS1_3repE0EEENS1_30default_config_static_selectorELNS0_4arch9wavefront6targetE1EEEvT1_.kd
    .uniform_work_group_size: 1
    .uses_dynamic_stack: false
    .vgpr_count:     0
    .vgpr_spill_count: 0
    .wavefront_size: 64
  - .agpr_count:     0
    .args:
      - .offset:         0
        .size:           40
        .value_kind:     by_value
    .group_segment_fixed_size: 0
    .kernarg_segment_align: 8
    .kernarg_segment_size: 40
    .language:       OpenCL C
    .language_version:
      - 2
      - 0
    .max_flat_workgroup_size: 1024
    .name:           _ZN7rocprim17ROCPRIM_400000_NS6detail17trampoline_kernelINS0_14default_configENS1_25transform_config_selectorI3IntLb1EEEZNS1_14transform_implILb1ES3_S6_PS5_S8_NS0_8identityIS5_EEEE10hipError_tT2_T3_mT4_P12ihipStream_tbEUlT_E_NS1_11comp_targetILNS1_3genE2ELNS1_11target_archE906ELNS1_3gpuE6ELNS1_3repE0EEENS1_30default_config_static_selectorELNS0_4arch9wavefront6targetE1EEEvT1_
    .private_segment_fixed_size: 0
    .sgpr_count:     4
    .sgpr_spill_count: 0
    .symbol:         _ZN7rocprim17ROCPRIM_400000_NS6detail17trampoline_kernelINS0_14default_configENS1_25transform_config_selectorI3IntLb1EEEZNS1_14transform_implILb1ES3_S6_PS5_S8_NS0_8identityIS5_EEEE10hipError_tT2_T3_mT4_P12ihipStream_tbEUlT_E_NS1_11comp_targetILNS1_3genE2ELNS1_11target_archE906ELNS1_3gpuE6ELNS1_3repE0EEENS1_30default_config_static_selectorELNS0_4arch9wavefront6targetE1EEEvT1_.kd
    .uniform_work_group_size: 1
    .uses_dynamic_stack: false
    .vgpr_count:     0
    .vgpr_spill_count: 0
    .wavefront_size: 64
  - .agpr_count:     0
    .args:
      - .offset:         0
        .size:           40
        .value_kind:     by_value
    .group_segment_fixed_size: 0
    .kernarg_segment_align: 8
    .kernarg_segment_size: 40
    .language:       OpenCL C
    .language_version:
      - 2
      - 0
    .max_flat_workgroup_size: 1024
    .name:           _ZN7rocprim17ROCPRIM_400000_NS6detail17trampoline_kernelINS0_14default_configENS1_25transform_config_selectorI3IntLb1EEEZNS1_14transform_implILb1ES3_S6_PS5_S8_NS0_8identityIS5_EEEE10hipError_tT2_T3_mT4_P12ihipStream_tbEUlT_E_NS1_11comp_targetILNS1_3genE9ELNS1_11target_archE1100ELNS1_3gpuE3ELNS1_3repE0EEENS1_30default_config_static_selectorELNS0_4arch9wavefront6targetE1EEEvT1_
    .private_segment_fixed_size: 0
    .sgpr_count:     4
    .sgpr_spill_count: 0
    .symbol:         _ZN7rocprim17ROCPRIM_400000_NS6detail17trampoline_kernelINS0_14default_configENS1_25transform_config_selectorI3IntLb1EEEZNS1_14transform_implILb1ES3_S6_PS5_S8_NS0_8identityIS5_EEEE10hipError_tT2_T3_mT4_P12ihipStream_tbEUlT_E_NS1_11comp_targetILNS1_3genE9ELNS1_11target_archE1100ELNS1_3gpuE3ELNS1_3repE0EEENS1_30default_config_static_selectorELNS0_4arch9wavefront6targetE1EEEvT1_.kd
    .uniform_work_group_size: 1
    .uses_dynamic_stack: false
    .vgpr_count:     0
    .vgpr_spill_count: 0
    .wavefront_size: 64
  - .agpr_count:     0
    .args:
      - .offset:         0
        .size:           40
        .value_kind:     by_value
    .group_segment_fixed_size: 0
    .kernarg_segment_align: 8
    .kernarg_segment_size: 40
    .language:       OpenCL C
    .language_version:
      - 2
      - 0
    .max_flat_workgroup_size: 1024
    .name:           _ZN7rocprim17ROCPRIM_400000_NS6detail17trampoline_kernelINS0_14default_configENS1_25transform_config_selectorI3IntLb1EEEZNS1_14transform_implILb1ES3_S6_PS5_S8_NS0_8identityIS5_EEEE10hipError_tT2_T3_mT4_P12ihipStream_tbEUlT_E_NS1_11comp_targetILNS1_3genE8ELNS1_11target_archE1030ELNS1_3gpuE2ELNS1_3repE0EEENS1_30default_config_static_selectorELNS0_4arch9wavefront6targetE1EEEvT1_
    .private_segment_fixed_size: 0
    .sgpr_count:     4
    .sgpr_spill_count: 0
    .symbol:         _ZN7rocprim17ROCPRIM_400000_NS6detail17trampoline_kernelINS0_14default_configENS1_25transform_config_selectorI3IntLb1EEEZNS1_14transform_implILb1ES3_S6_PS5_S8_NS0_8identityIS5_EEEE10hipError_tT2_T3_mT4_P12ihipStream_tbEUlT_E_NS1_11comp_targetILNS1_3genE8ELNS1_11target_archE1030ELNS1_3gpuE2ELNS1_3repE0EEENS1_30default_config_static_selectorELNS0_4arch9wavefront6targetE1EEEvT1_.kd
    .uniform_work_group_size: 1
    .uses_dynamic_stack: false
    .vgpr_count:     0
    .vgpr_spill_count: 0
    .wavefront_size: 64
  - .agpr_count:     0
    .args:
      - .offset:         0
        .size:           32
        .value_kind:     by_value
    .group_segment_fixed_size: 0
    .kernarg_segment_align: 8
    .kernarg_segment_size: 32
    .language:       OpenCL C
    .language_version:
      - 2
      - 0
    .max_flat_workgroup_size: 256
    .name:           _ZN7rocprim17ROCPRIM_400000_NS6detail17trampoline_kernelINS0_14default_configENS1_20scan_config_selectorI3IntEEZZNS1_9scan_implILNS1_25lookback_scan_determinismE0ELb0ELb0ES3_N6thrust23THRUST_200600_302600_NS6detail15normal_iteratorINSA_10device_ptrIKS5_EEEENSC_INSD_IS5_EEEES5_NSA_4plusIvEES5_EEDaPvRmT3_T4_T5_mT6_P12ihipStream_tbENKUlT_T0_E_clISt17integral_constantIbLb0EESY_EEDaST_SU_EUlST_E0_NS1_11comp_targetILNS1_3genE0ELNS1_11target_archE4294967295ELNS1_3gpuE0ELNS1_3repE0EEENS1_30default_config_static_selectorELNS0_4arch9wavefront6targetE1EEEvT1_
    .private_segment_fixed_size: 0
    .sgpr_count:     4
    .sgpr_spill_count: 0
    .symbol:         _ZN7rocprim17ROCPRIM_400000_NS6detail17trampoline_kernelINS0_14default_configENS1_20scan_config_selectorI3IntEEZZNS1_9scan_implILNS1_25lookback_scan_determinismE0ELb0ELb0ES3_N6thrust23THRUST_200600_302600_NS6detail15normal_iteratorINSA_10device_ptrIKS5_EEEENSC_INSD_IS5_EEEES5_NSA_4plusIvEES5_EEDaPvRmT3_T4_T5_mT6_P12ihipStream_tbENKUlT_T0_E_clISt17integral_constantIbLb0EESY_EEDaST_SU_EUlST_E0_NS1_11comp_targetILNS1_3genE0ELNS1_11target_archE4294967295ELNS1_3gpuE0ELNS1_3repE0EEENS1_30default_config_static_selectorELNS0_4arch9wavefront6targetE1EEEvT1_.kd
    .uniform_work_group_size: 1
    .uses_dynamic_stack: false
    .vgpr_count:     0
    .vgpr_spill_count: 0
    .wavefront_size: 64
  - .agpr_count:     0
    .args:
      - .offset:         0
        .size:           32
        .value_kind:     by_value
    .group_segment_fixed_size: 0
    .kernarg_segment_align: 8
    .kernarg_segment_size: 32
    .language:       OpenCL C
    .language_version:
      - 2
      - 0
    .max_flat_workgroup_size: 256
    .name:           _ZN7rocprim17ROCPRIM_400000_NS6detail17trampoline_kernelINS0_14default_configENS1_20scan_config_selectorI3IntEEZZNS1_9scan_implILNS1_25lookback_scan_determinismE0ELb0ELb0ES3_N6thrust23THRUST_200600_302600_NS6detail15normal_iteratorINSA_10device_ptrIKS5_EEEENSC_INSD_IS5_EEEES5_NSA_4plusIvEES5_EEDaPvRmT3_T4_T5_mT6_P12ihipStream_tbENKUlT_T0_E_clISt17integral_constantIbLb0EESY_EEDaST_SU_EUlST_E0_NS1_11comp_targetILNS1_3genE5ELNS1_11target_archE942ELNS1_3gpuE9ELNS1_3repE0EEENS1_30default_config_static_selectorELNS0_4arch9wavefront6targetE1EEEvT1_
    .private_segment_fixed_size: 0
    .sgpr_count:     4
    .sgpr_spill_count: 0
    .symbol:         _ZN7rocprim17ROCPRIM_400000_NS6detail17trampoline_kernelINS0_14default_configENS1_20scan_config_selectorI3IntEEZZNS1_9scan_implILNS1_25lookback_scan_determinismE0ELb0ELb0ES3_N6thrust23THRUST_200600_302600_NS6detail15normal_iteratorINSA_10device_ptrIKS5_EEEENSC_INSD_IS5_EEEES5_NSA_4plusIvEES5_EEDaPvRmT3_T4_T5_mT6_P12ihipStream_tbENKUlT_T0_E_clISt17integral_constantIbLb0EESY_EEDaST_SU_EUlST_E0_NS1_11comp_targetILNS1_3genE5ELNS1_11target_archE942ELNS1_3gpuE9ELNS1_3repE0EEENS1_30default_config_static_selectorELNS0_4arch9wavefront6targetE1EEEvT1_.kd
    .uniform_work_group_size: 1
    .uses_dynamic_stack: false
    .vgpr_count:     0
    .vgpr_spill_count: 0
    .wavefront_size: 64
  - .agpr_count:     0
    .args:
      - .offset:         0
        .size:           32
        .value_kind:     by_value
    .group_segment_fixed_size: 5120
    .kernarg_segment_align: 8
    .kernarg_segment_size: 32
    .language:       OpenCL C
    .language_version:
      - 2
      - 0
    .max_flat_workgroup_size: 128
    .name:           _ZN7rocprim17ROCPRIM_400000_NS6detail17trampoline_kernelINS0_14default_configENS1_20scan_config_selectorI3IntEEZZNS1_9scan_implILNS1_25lookback_scan_determinismE0ELb0ELb0ES3_N6thrust23THRUST_200600_302600_NS6detail15normal_iteratorINSA_10device_ptrIKS5_EEEENSC_INSD_IS5_EEEES5_NSA_4plusIvEES5_EEDaPvRmT3_T4_T5_mT6_P12ihipStream_tbENKUlT_T0_E_clISt17integral_constantIbLb0EESY_EEDaST_SU_EUlST_E0_NS1_11comp_targetILNS1_3genE4ELNS1_11target_archE910ELNS1_3gpuE8ELNS1_3repE0EEENS1_30default_config_static_selectorELNS0_4arch9wavefront6targetE1EEEvT1_
    .private_segment_fixed_size: 0
    .sgpr_count:     28
    .sgpr_spill_count: 0
    .symbol:         _ZN7rocprim17ROCPRIM_400000_NS6detail17trampoline_kernelINS0_14default_configENS1_20scan_config_selectorI3IntEEZZNS1_9scan_implILNS1_25lookback_scan_determinismE0ELb0ELb0ES3_N6thrust23THRUST_200600_302600_NS6detail15normal_iteratorINSA_10device_ptrIKS5_EEEENSC_INSD_IS5_EEEES5_NSA_4plusIvEES5_EEDaPvRmT3_T4_T5_mT6_P12ihipStream_tbENKUlT_T0_E_clISt17integral_constantIbLb0EESY_EEDaST_SU_EUlST_E0_NS1_11comp_targetILNS1_3genE4ELNS1_11target_archE910ELNS1_3gpuE8ELNS1_3repE0EEENS1_30default_config_static_selectorELNS0_4arch9wavefront6targetE1EEEvT1_.kd
    .uniform_work_group_size: 1
    .uses_dynamic_stack: false
    .vgpr_count:     27
    .vgpr_spill_count: 0
    .wavefront_size: 64
  - .agpr_count:     0
    .args:
      - .offset:         0
        .size:           32
        .value_kind:     by_value
    .group_segment_fixed_size: 0
    .kernarg_segment_align: 8
    .kernarg_segment_size: 32
    .language:       OpenCL C
    .language_version:
      - 2
      - 0
    .max_flat_workgroup_size: 256
    .name:           _ZN7rocprim17ROCPRIM_400000_NS6detail17trampoline_kernelINS0_14default_configENS1_20scan_config_selectorI3IntEEZZNS1_9scan_implILNS1_25lookback_scan_determinismE0ELb0ELb0ES3_N6thrust23THRUST_200600_302600_NS6detail15normal_iteratorINSA_10device_ptrIKS5_EEEENSC_INSD_IS5_EEEES5_NSA_4plusIvEES5_EEDaPvRmT3_T4_T5_mT6_P12ihipStream_tbENKUlT_T0_E_clISt17integral_constantIbLb0EESY_EEDaST_SU_EUlST_E0_NS1_11comp_targetILNS1_3genE3ELNS1_11target_archE908ELNS1_3gpuE7ELNS1_3repE0EEENS1_30default_config_static_selectorELNS0_4arch9wavefront6targetE1EEEvT1_
    .private_segment_fixed_size: 0
    .sgpr_count:     4
    .sgpr_spill_count: 0
    .symbol:         _ZN7rocprim17ROCPRIM_400000_NS6detail17trampoline_kernelINS0_14default_configENS1_20scan_config_selectorI3IntEEZZNS1_9scan_implILNS1_25lookback_scan_determinismE0ELb0ELb0ES3_N6thrust23THRUST_200600_302600_NS6detail15normal_iteratorINSA_10device_ptrIKS5_EEEENSC_INSD_IS5_EEEES5_NSA_4plusIvEES5_EEDaPvRmT3_T4_T5_mT6_P12ihipStream_tbENKUlT_T0_E_clISt17integral_constantIbLb0EESY_EEDaST_SU_EUlST_E0_NS1_11comp_targetILNS1_3genE3ELNS1_11target_archE908ELNS1_3gpuE7ELNS1_3repE0EEENS1_30default_config_static_selectorELNS0_4arch9wavefront6targetE1EEEvT1_.kd
    .uniform_work_group_size: 1
    .uses_dynamic_stack: false
    .vgpr_count:     0
    .vgpr_spill_count: 0
    .wavefront_size: 64
  - .agpr_count:     0
    .args:
      - .offset:         0
        .size:           32
        .value_kind:     by_value
    .group_segment_fixed_size: 0
    .kernarg_segment_align: 8
    .kernarg_segment_size: 32
    .language:       OpenCL C
    .language_version:
      - 2
      - 0
    .max_flat_workgroup_size: 256
    .name:           _ZN7rocprim17ROCPRIM_400000_NS6detail17trampoline_kernelINS0_14default_configENS1_20scan_config_selectorI3IntEEZZNS1_9scan_implILNS1_25lookback_scan_determinismE0ELb0ELb0ES3_N6thrust23THRUST_200600_302600_NS6detail15normal_iteratorINSA_10device_ptrIKS5_EEEENSC_INSD_IS5_EEEES5_NSA_4plusIvEES5_EEDaPvRmT3_T4_T5_mT6_P12ihipStream_tbENKUlT_T0_E_clISt17integral_constantIbLb0EESY_EEDaST_SU_EUlST_E0_NS1_11comp_targetILNS1_3genE2ELNS1_11target_archE906ELNS1_3gpuE6ELNS1_3repE0EEENS1_30default_config_static_selectorELNS0_4arch9wavefront6targetE1EEEvT1_
    .private_segment_fixed_size: 0
    .sgpr_count:     4
    .sgpr_spill_count: 0
    .symbol:         _ZN7rocprim17ROCPRIM_400000_NS6detail17trampoline_kernelINS0_14default_configENS1_20scan_config_selectorI3IntEEZZNS1_9scan_implILNS1_25lookback_scan_determinismE0ELb0ELb0ES3_N6thrust23THRUST_200600_302600_NS6detail15normal_iteratorINSA_10device_ptrIKS5_EEEENSC_INSD_IS5_EEEES5_NSA_4plusIvEES5_EEDaPvRmT3_T4_T5_mT6_P12ihipStream_tbENKUlT_T0_E_clISt17integral_constantIbLb0EESY_EEDaST_SU_EUlST_E0_NS1_11comp_targetILNS1_3genE2ELNS1_11target_archE906ELNS1_3gpuE6ELNS1_3repE0EEENS1_30default_config_static_selectorELNS0_4arch9wavefront6targetE1EEEvT1_.kd
    .uniform_work_group_size: 1
    .uses_dynamic_stack: false
    .vgpr_count:     0
    .vgpr_spill_count: 0
    .wavefront_size: 64
  - .agpr_count:     0
    .args:
      - .offset:         0
        .size:           32
        .value_kind:     by_value
    .group_segment_fixed_size: 0
    .kernarg_segment_align: 8
    .kernarg_segment_size: 32
    .language:       OpenCL C
    .language_version:
      - 2
      - 0
    .max_flat_workgroup_size: 256
    .name:           _ZN7rocprim17ROCPRIM_400000_NS6detail17trampoline_kernelINS0_14default_configENS1_20scan_config_selectorI3IntEEZZNS1_9scan_implILNS1_25lookback_scan_determinismE0ELb0ELb0ES3_N6thrust23THRUST_200600_302600_NS6detail15normal_iteratorINSA_10device_ptrIKS5_EEEENSC_INSD_IS5_EEEES5_NSA_4plusIvEES5_EEDaPvRmT3_T4_T5_mT6_P12ihipStream_tbENKUlT_T0_E_clISt17integral_constantIbLb0EESY_EEDaST_SU_EUlST_E0_NS1_11comp_targetILNS1_3genE10ELNS1_11target_archE1201ELNS1_3gpuE5ELNS1_3repE0EEENS1_30default_config_static_selectorELNS0_4arch9wavefront6targetE1EEEvT1_
    .private_segment_fixed_size: 0
    .sgpr_count:     4
    .sgpr_spill_count: 0
    .symbol:         _ZN7rocprim17ROCPRIM_400000_NS6detail17trampoline_kernelINS0_14default_configENS1_20scan_config_selectorI3IntEEZZNS1_9scan_implILNS1_25lookback_scan_determinismE0ELb0ELb0ES3_N6thrust23THRUST_200600_302600_NS6detail15normal_iteratorINSA_10device_ptrIKS5_EEEENSC_INSD_IS5_EEEES5_NSA_4plusIvEES5_EEDaPvRmT3_T4_T5_mT6_P12ihipStream_tbENKUlT_T0_E_clISt17integral_constantIbLb0EESY_EEDaST_SU_EUlST_E0_NS1_11comp_targetILNS1_3genE10ELNS1_11target_archE1201ELNS1_3gpuE5ELNS1_3repE0EEENS1_30default_config_static_selectorELNS0_4arch9wavefront6targetE1EEEvT1_.kd
    .uniform_work_group_size: 1
    .uses_dynamic_stack: false
    .vgpr_count:     0
    .vgpr_spill_count: 0
    .wavefront_size: 64
  - .agpr_count:     0
    .args:
      - .offset:         0
        .size:           32
        .value_kind:     by_value
    .group_segment_fixed_size: 0
    .kernarg_segment_align: 8
    .kernarg_segment_size: 32
    .language:       OpenCL C
    .language_version:
      - 2
      - 0
    .max_flat_workgroup_size: 256
    .name:           _ZN7rocprim17ROCPRIM_400000_NS6detail17trampoline_kernelINS0_14default_configENS1_20scan_config_selectorI3IntEEZZNS1_9scan_implILNS1_25lookback_scan_determinismE0ELb0ELb0ES3_N6thrust23THRUST_200600_302600_NS6detail15normal_iteratorINSA_10device_ptrIKS5_EEEENSC_INSD_IS5_EEEES5_NSA_4plusIvEES5_EEDaPvRmT3_T4_T5_mT6_P12ihipStream_tbENKUlT_T0_E_clISt17integral_constantIbLb0EESY_EEDaST_SU_EUlST_E0_NS1_11comp_targetILNS1_3genE10ELNS1_11target_archE1200ELNS1_3gpuE4ELNS1_3repE0EEENS1_30default_config_static_selectorELNS0_4arch9wavefront6targetE1EEEvT1_
    .private_segment_fixed_size: 0
    .sgpr_count:     4
    .sgpr_spill_count: 0
    .symbol:         _ZN7rocprim17ROCPRIM_400000_NS6detail17trampoline_kernelINS0_14default_configENS1_20scan_config_selectorI3IntEEZZNS1_9scan_implILNS1_25lookback_scan_determinismE0ELb0ELb0ES3_N6thrust23THRUST_200600_302600_NS6detail15normal_iteratorINSA_10device_ptrIKS5_EEEENSC_INSD_IS5_EEEES5_NSA_4plusIvEES5_EEDaPvRmT3_T4_T5_mT6_P12ihipStream_tbENKUlT_T0_E_clISt17integral_constantIbLb0EESY_EEDaST_SU_EUlST_E0_NS1_11comp_targetILNS1_3genE10ELNS1_11target_archE1200ELNS1_3gpuE4ELNS1_3repE0EEENS1_30default_config_static_selectorELNS0_4arch9wavefront6targetE1EEEvT1_.kd
    .uniform_work_group_size: 1
    .uses_dynamic_stack: false
    .vgpr_count:     0
    .vgpr_spill_count: 0
    .wavefront_size: 64
  - .agpr_count:     0
    .args:
      - .offset:         0
        .size:           32
        .value_kind:     by_value
    .group_segment_fixed_size: 0
    .kernarg_segment_align: 8
    .kernarg_segment_size: 32
    .language:       OpenCL C
    .language_version:
      - 2
      - 0
    .max_flat_workgroup_size: 256
    .name:           _ZN7rocprim17ROCPRIM_400000_NS6detail17trampoline_kernelINS0_14default_configENS1_20scan_config_selectorI3IntEEZZNS1_9scan_implILNS1_25lookback_scan_determinismE0ELb0ELb0ES3_N6thrust23THRUST_200600_302600_NS6detail15normal_iteratorINSA_10device_ptrIKS5_EEEENSC_INSD_IS5_EEEES5_NSA_4plusIvEES5_EEDaPvRmT3_T4_T5_mT6_P12ihipStream_tbENKUlT_T0_E_clISt17integral_constantIbLb0EESY_EEDaST_SU_EUlST_E0_NS1_11comp_targetILNS1_3genE9ELNS1_11target_archE1100ELNS1_3gpuE3ELNS1_3repE0EEENS1_30default_config_static_selectorELNS0_4arch9wavefront6targetE1EEEvT1_
    .private_segment_fixed_size: 0
    .sgpr_count:     4
    .sgpr_spill_count: 0
    .symbol:         _ZN7rocprim17ROCPRIM_400000_NS6detail17trampoline_kernelINS0_14default_configENS1_20scan_config_selectorI3IntEEZZNS1_9scan_implILNS1_25lookback_scan_determinismE0ELb0ELb0ES3_N6thrust23THRUST_200600_302600_NS6detail15normal_iteratorINSA_10device_ptrIKS5_EEEENSC_INSD_IS5_EEEES5_NSA_4plusIvEES5_EEDaPvRmT3_T4_T5_mT6_P12ihipStream_tbENKUlT_T0_E_clISt17integral_constantIbLb0EESY_EEDaST_SU_EUlST_E0_NS1_11comp_targetILNS1_3genE9ELNS1_11target_archE1100ELNS1_3gpuE3ELNS1_3repE0EEENS1_30default_config_static_selectorELNS0_4arch9wavefront6targetE1EEEvT1_.kd
    .uniform_work_group_size: 1
    .uses_dynamic_stack: false
    .vgpr_count:     0
    .vgpr_spill_count: 0
    .wavefront_size: 64
  - .agpr_count:     0
    .args:
      - .offset:         0
        .size:           32
        .value_kind:     by_value
    .group_segment_fixed_size: 0
    .kernarg_segment_align: 8
    .kernarg_segment_size: 32
    .language:       OpenCL C
    .language_version:
      - 2
      - 0
    .max_flat_workgroup_size: 64
    .name:           _ZN7rocprim17ROCPRIM_400000_NS6detail17trampoline_kernelINS0_14default_configENS1_20scan_config_selectorI3IntEEZZNS1_9scan_implILNS1_25lookback_scan_determinismE0ELb0ELb0ES3_N6thrust23THRUST_200600_302600_NS6detail15normal_iteratorINSA_10device_ptrIKS5_EEEENSC_INSD_IS5_EEEES5_NSA_4plusIvEES5_EEDaPvRmT3_T4_T5_mT6_P12ihipStream_tbENKUlT_T0_E_clISt17integral_constantIbLb0EESY_EEDaST_SU_EUlST_E0_NS1_11comp_targetILNS1_3genE8ELNS1_11target_archE1030ELNS1_3gpuE2ELNS1_3repE0EEENS1_30default_config_static_selectorELNS0_4arch9wavefront6targetE1EEEvT1_
    .private_segment_fixed_size: 0
    .sgpr_count:     4
    .sgpr_spill_count: 0
    .symbol:         _ZN7rocprim17ROCPRIM_400000_NS6detail17trampoline_kernelINS0_14default_configENS1_20scan_config_selectorI3IntEEZZNS1_9scan_implILNS1_25lookback_scan_determinismE0ELb0ELb0ES3_N6thrust23THRUST_200600_302600_NS6detail15normal_iteratorINSA_10device_ptrIKS5_EEEENSC_INSD_IS5_EEEES5_NSA_4plusIvEES5_EEDaPvRmT3_T4_T5_mT6_P12ihipStream_tbENKUlT_T0_E_clISt17integral_constantIbLb0EESY_EEDaST_SU_EUlST_E0_NS1_11comp_targetILNS1_3genE8ELNS1_11target_archE1030ELNS1_3gpuE2ELNS1_3repE0EEENS1_30default_config_static_selectorELNS0_4arch9wavefront6targetE1EEEvT1_.kd
    .uniform_work_group_size: 1
    .uses_dynamic_stack: false
    .vgpr_count:     0
    .vgpr_spill_count: 0
    .wavefront_size: 64
  - .agpr_count:     0
    .args:
      - .address_space:  global
        .offset:         0
        .size:           8
        .value_kind:     global_buffer
      - .offset:         8
        .size:           4
        .value_kind:     by_value
      - .address_space:  global
        .offset:         16
        .size:           8
        .value_kind:     global_buffer
      - .offset:         24
        .size:           4
        .value_kind:     by_value
      - .address_space:  global
        .offset:         32
        .size:           8
        .value_kind:     global_buffer
      - .offset:         40
        .size:           4
        .value_kind:     hidden_block_count_x
      - .offset:         44
        .size:           4
        .value_kind:     hidden_block_count_y
      - .offset:         48
        .size:           4
        .value_kind:     hidden_block_count_z
      - .offset:         52
        .size:           2
        .value_kind:     hidden_group_size_x
      - .offset:         54
        .size:           2
        .value_kind:     hidden_group_size_y
      - .offset:         56
        .size:           2
        .value_kind:     hidden_group_size_z
      - .offset:         58
        .size:           2
        .value_kind:     hidden_remainder_x
      - .offset:         60
        .size:           2
        .value_kind:     hidden_remainder_y
      - .offset:         62
        .size:           2
        .value_kind:     hidden_remainder_z
      - .offset:         80
        .size:           8
        .value_kind:     hidden_global_offset_x
      - .offset:         88
        .size:           8
        .value_kind:     hidden_global_offset_y
      - .offset:         96
        .size:           8
        .value_kind:     hidden_global_offset_z
      - .offset:         104
        .size:           2
        .value_kind:     hidden_grid_dims
    .group_segment_fixed_size: 0
    .kernarg_segment_align: 8
    .kernarg_segment_size: 296
    .language:       OpenCL C
    .language_version:
      - 2
      - 0
    .max_flat_workgroup_size: 256
    .name:           _ZN7rocprim17ROCPRIM_400000_NS6detail31init_lookback_scan_state_kernelINS1_19lookback_scan_stateI3IntLb1ELb1EEENS1_16block_id_wrapperIjLb1EEEEEvT_jT0_jPNS8_10value_typeE
    .private_segment_fixed_size: 0
    .sgpr_count:     18
    .sgpr_spill_count: 0
    .symbol:         _ZN7rocprim17ROCPRIM_400000_NS6detail31init_lookback_scan_state_kernelINS1_19lookback_scan_stateI3IntLb1ELb1EEENS1_16block_id_wrapperIjLb1EEEEEvT_jT0_jPNS8_10value_typeE.kd
    .uniform_work_group_size: 1
    .uses_dynamic_stack: false
    .vgpr_count:     6
    .vgpr_spill_count: 0
    .wavefront_size: 64
  - .agpr_count:     0
    .args:
      - .offset:         0
        .size:           96
        .value_kind:     by_value
    .group_segment_fixed_size: 0
    .kernarg_segment_align: 8
    .kernarg_segment_size: 96
    .language:       OpenCL C
    .language_version:
      - 2
      - 0
    .max_flat_workgroup_size: 256
    .name:           _ZN7rocprim17ROCPRIM_400000_NS6detail17trampoline_kernelINS0_14default_configENS1_20scan_config_selectorI3IntEEZZNS1_9scan_implILNS1_25lookback_scan_determinismE0ELb0ELb0ES3_N6thrust23THRUST_200600_302600_NS6detail15normal_iteratorINSA_10device_ptrIKS5_EEEENSC_INSD_IS5_EEEES5_NSA_4plusIvEES5_EEDaPvRmT3_T4_T5_mT6_P12ihipStream_tbENKUlT_T0_E_clISt17integral_constantIbLb1EESY_EEDaST_SU_EUlST_E_NS1_11comp_targetILNS1_3genE0ELNS1_11target_archE4294967295ELNS1_3gpuE0ELNS1_3repE0EEENS1_30default_config_static_selectorELNS0_4arch9wavefront6targetE1EEEvT1_
    .private_segment_fixed_size: 0
    .sgpr_count:     4
    .sgpr_spill_count: 0
    .symbol:         _ZN7rocprim17ROCPRIM_400000_NS6detail17trampoline_kernelINS0_14default_configENS1_20scan_config_selectorI3IntEEZZNS1_9scan_implILNS1_25lookback_scan_determinismE0ELb0ELb0ES3_N6thrust23THRUST_200600_302600_NS6detail15normal_iteratorINSA_10device_ptrIKS5_EEEENSC_INSD_IS5_EEEES5_NSA_4plusIvEES5_EEDaPvRmT3_T4_T5_mT6_P12ihipStream_tbENKUlT_T0_E_clISt17integral_constantIbLb1EESY_EEDaST_SU_EUlST_E_NS1_11comp_targetILNS1_3genE0ELNS1_11target_archE4294967295ELNS1_3gpuE0ELNS1_3repE0EEENS1_30default_config_static_selectorELNS0_4arch9wavefront6targetE1EEEvT1_.kd
    .uniform_work_group_size: 1
    .uses_dynamic_stack: false
    .vgpr_count:     0
    .vgpr_spill_count: 0
    .wavefront_size: 64
  - .agpr_count:     0
    .args:
      - .offset:         0
        .size:           96
        .value_kind:     by_value
    .group_segment_fixed_size: 0
    .kernarg_segment_align: 8
    .kernarg_segment_size: 96
    .language:       OpenCL C
    .language_version:
      - 2
      - 0
    .max_flat_workgroup_size: 256
    .name:           _ZN7rocprim17ROCPRIM_400000_NS6detail17trampoline_kernelINS0_14default_configENS1_20scan_config_selectorI3IntEEZZNS1_9scan_implILNS1_25lookback_scan_determinismE0ELb0ELb0ES3_N6thrust23THRUST_200600_302600_NS6detail15normal_iteratorINSA_10device_ptrIKS5_EEEENSC_INSD_IS5_EEEES5_NSA_4plusIvEES5_EEDaPvRmT3_T4_T5_mT6_P12ihipStream_tbENKUlT_T0_E_clISt17integral_constantIbLb1EESY_EEDaST_SU_EUlST_E_NS1_11comp_targetILNS1_3genE5ELNS1_11target_archE942ELNS1_3gpuE9ELNS1_3repE0EEENS1_30default_config_static_selectorELNS0_4arch9wavefront6targetE1EEEvT1_
    .private_segment_fixed_size: 0
    .sgpr_count:     4
    .sgpr_spill_count: 0
    .symbol:         _ZN7rocprim17ROCPRIM_400000_NS6detail17trampoline_kernelINS0_14default_configENS1_20scan_config_selectorI3IntEEZZNS1_9scan_implILNS1_25lookback_scan_determinismE0ELb0ELb0ES3_N6thrust23THRUST_200600_302600_NS6detail15normal_iteratorINSA_10device_ptrIKS5_EEEENSC_INSD_IS5_EEEES5_NSA_4plusIvEES5_EEDaPvRmT3_T4_T5_mT6_P12ihipStream_tbENKUlT_T0_E_clISt17integral_constantIbLb1EESY_EEDaST_SU_EUlST_E_NS1_11comp_targetILNS1_3genE5ELNS1_11target_archE942ELNS1_3gpuE9ELNS1_3repE0EEENS1_30default_config_static_selectorELNS0_4arch9wavefront6targetE1EEEvT1_.kd
    .uniform_work_group_size: 1
    .uses_dynamic_stack: false
    .vgpr_count:     0
    .vgpr_spill_count: 0
    .wavefront_size: 64
  - .agpr_count:     0
    .args:
      - .offset:         0
        .size:           96
        .value_kind:     by_value
    .group_segment_fixed_size: 5120
    .kernarg_segment_align: 8
    .kernarg_segment_size: 96
    .language:       OpenCL C
    .language_version:
      - 2
      - 0
    .max_flat_workgroup_size: 128
    .name:           _ZN7rocprim17ROCPRIM_400000_NS6detail17trampoline_kernelINS0_14default_configENS1_20scan_config_selectorI3IntEEZZNS1_9scan_implILNS1_25lookback_scan_determinismE0ELb0ELb0ES3_N6thrust23THRUST_200600_302600_NS6detail15normal_iteratorINSA_10device_ptrIKS5_EEEENSC_INSD_IS5_EEEES5_NSA_4plusIvEES5_EEDaPvRmT3_T4_T5_mT6_P12ihipStream_tbENKUlT_T0_E_clISt17integral_constantIbLb1EESY_EEDaST_SU_EUlST_E_NS1_11comp_targetILNS1_3genE4ELNS1_11target_archE910ELNS1_3gpuE8ELNS1_3repE0EEENS1_30default_config_static_selectorELNS0_4arch9wavefront6targetE1EEEvT1_
    .private_segment_fixed_size: 0
    .sgpr_count:     42
    .sgpr_spill_count: 0
    .symbol:         _ZN7rocprim17ROCPRIM_400000_NS6detail17trampoline_kernelINS0_14default_configENS1_20scan_config_selectorI3IntEEZZNS1_9scan_implILNS1_25lookback_scan_determinismE0ELb0ELb0ES3_N6thrust23THRUST_200600_302600_NS6detail15normal_iteratorINSA_10device_ptrIKS5_EEEENSC_INSD_IS5_EEEES5_NSA_4plusIvEES5_EEDaPvRmT3_T4_T5_mT6_P12ihipStream_tbENKUlT_T0_E_clISt17integral_constantIbLb1EESY_EEDaST_SU_EUlST_E_NS1_11comp_targetILNS1_3genE4ELNS1_11target_archE910ELNS1_3gpuE8ELNS1_3repE0EEENS1_30default_config_static_selectorELNS0_4arch9wavefront6targetE1EEEvT1_.kd
    .uniform_work_group_size: 1
    .uses_dynamic_stack: false
    .vgpr_count:     40
    .vgpr_spill_count: 0
    .wavefront_size: 64
  - .agpr_count:     0
    .args:
      - .offset:         0
        .size:           96
        .value_kind:     by_value
    .group_segment_fixed_size: 0
    .kernarg_segment_align: 8
    .kernarg_segment_size: 96
    .language:       OpenCL C
    .language_version:
      - 2
      - 0
    .max_flat_workgroup_size: 256
    .name:           _ZN7rocprim17ROCPRIM_400000_NS6detail17trampoline_kernelINS0_14default_configENS1_20scan_config_selectorI3IntEEZZNS1_9scan_implILNS1_25lookback_scan_determinismE0ELb0ELb0ES3_N6thrust23THRUST_200600_302600_NS6detail15normal_iteratorINSA_10device_ptrIKS5_EEEENSC_INSD_IS5_EEEES5_NSA_4plusIvEES5_EEDaPvRmT3_T4_T5_mT6_P12ihipStream_tbENKUlT_T0_E_clISt17integral_constantIbLb1EESY_EEDaST_SU_EUlST_E_NS1_11comp_targetILNS1_3genE3ELNS1_11target_archE908ELNS1_3gpuE7ELNS1_3repE0EEENS1_30default_config_static_selectorELNS0_4arch9wavefront6targetE1EEEvT1_
    .private_segment_fixed_size: 0
    .sgpr_count:     4
    .sgpr_spill_count: 0
    .symbol:         _ZN7rocprim17ROCPRIM_400000_NS6detail17trampoline_kernelINS0_14default_configENS1_20scan_config_selectorI3IntEEZZNS1_9scan_implILNS1_25lookback_scan_determinismE0ELb0ELb0ES3_N6thrust23THRUST_200600_302600_NS6detail15normal_iteratorINSA_10device_ptrIKS5_EEEENSC_INSD_IS5_EEEES5_NSA_4plusIvEES5_EEDaPvRmT3_T4_T5_mT6_P12ihipStream_tbENKUlT_T0_E_clISt17integral_constantIbLb1EESY_EEDaST_SU_EUlST_E_NS1_11comp_targetILNS1_3genE3ELNS1_11target_archE908ELNS1_3gpuE7ELNS1_3repE0EEENS1_30default_config_static_selectorELNS0_4arch9wavefront6targetE1EEEvT1_.kd
    .uniform_work_group_size: 1
    .uses_dynamic_stack: false
    .vgpr_count:     0
    .vgpr_spill_count: 0
    .wavefront_size: 64
  - .agpr_count:     0
    .args:
      - .offset:         0
        .size:           96
        .value_kind:     by_value
    .group_segment_fixed_size: 0
    .kernarg_segment_align: 8
    .kernarg_segment_size: 96
    .language:       OpenCL C
    .language_version:
      - 2
      - 0
    .max_flat_workgroup_size: 256
    .name:           _ZN7rocprim17ROCPRIM_400000_NS6detail17trampoline_kernelINS0_14default_configENS1_20scan_config_selectorI3IntEEZZNS1_9scan_implILNS1_25lookback_scan_determinismE0ELb0ELb0ES3_N6thrust23THRUST_200600_302600_NS6detail15normal_iteratorINSA_10device_ptrIKS5_EEEENSC_INSD_IS5_EEEES5_NSA_4plusIvEES5_EEDaPvRmT3_T4_T5_mT6_P12ihipStream_tbENKUlT_T0_E_clISt17integral_constantIbLb1EESY_EEDaST_SU_EUlST_E_NS1_11comp_targetILNS1_3genE2ELNS1_11target_archE906ELNS1_3gpuE6ELNS1_3repE0EEENS1_30default_config_static_selectorELNS0_4arch9wavefront6targetE1EEEvT1_
    .private_segment_fixed_size: 0
    .sgpr_count:     4
    .sgpr_spill_count: 0
    .symbol:         _ZN7rocprim17ROCPRIM_400000_NS6detail17trampoline_kernelINS0_14default_configENS1_20scan_config_selectorI3IntEEZZNS1_9scan_implILNS1_25lookback_scan_determinismE0ELb0ELb0ES3_N6thrust23THRUST_200600_302600_NS6detail15normal_iteratorINSA_10device_ptrIKS5_EEEENSC_INSD_IS5_EEEES5_NSA_4plusIvEES5_EEDaPvRmT3_T4_T5_mT6_P12ihipStream_tbENKUlT_T0_E_clISt17integral_constantIbLb1EESY_EEDaST_SU_EUlST_E_NS1_11comp_targetILNS1_3genE2ELNS1_11target_archE906ELNS1_3gpuE6ELNS1_3repE0EEENS1_30default_config_static_selectorELNS0_4arch9wavefront6targetE1EEEvT1_.kd
    .uniform_work_group_size: 1
    .uses_dynamic_stack: false
    .vgpr_count:     0
    .vgpr_spill_count: 0
    .wavefront_size: 64
  - .agpr_count:     0
    .args:
      - .offset:         0
        .size:           96
        .value_kind:     by_value
    .group_segment_fixed_size: 0
    .kernarg_segment_align: 8
    .kernarg_segment_size: 96
    .language:       OpenCL C
    .language_version:
      - 2
      - 0
    .max_flat_workgroup_size: 256
    .name:           _ZN7rocprim17ROCPRIM_400000_NS6detail17trampoline_kernelINS0_14default_configENS1_20scan_config_selectorI3IntEEZZNS1_9scan_implILNS1_25lookback_scan_determinismE0ELb0ELb0ES3_N6thrust23THRUST_200600_302600_NS6detail15normal_iteratorINSA_10device_ptrIKS5_EEEENSC_INSD_IS5_EEEES5_NSA_4plusIvEES5_EEDaPvRmT3_T4_T5_mT6_P12ihipStream_tbENKUlT_T0_E_clISt17integral_constantIbLb1EESY_EEDaST_SU_EUlST_E_NS1_11comp_targetILNS1_3genE10ELNS1_11target_archE1201ELNS1_3gpuE5ELNS1_3repE0EEENS1_30default_config_static_selectorELNS0_4arch9wavefront6targetE1EEEvT1_
    .private_segment_fixed_size: 0
    .sgpr_count:     4
    .sgpr_spill_count: 0
    .symbol:         _ZN7rocprim17ROCPRIM_400000_NS6detail17trampoline_kernelINS0_14default_configENS1_20scan_config_selectorI3IntEEZZNS1_9scan_implILNS1_25lookback_scan_determinismE0ELb0ELb0ES3_N6thrust23THRUST_200600_302600_NS6detail15normal_iteratorINSA_10device_ptrIKS5_EEEENSC_INSD_IS5_EEEES5_NSA_4plusIvEES5_EEDaPvRmT3_T4_T5_mT6_P12ihipStream_tbENKUlT_T0_E_clISt17integral_constantIbLb1EESY_EEDaST_SU_EUlST_E_NS1_11comp_targetILNS1_3genE10ELNS1_11target_archE1201ELNS1_3gpuE5ELNS1_3repE0EEENS1_30default_config_static_selectorELNS0_4arch9wavefront6targetE1EEEvT1_.kd
    .uniform_work_group_size: 1
    .uses_dynamic_stack: false
    .vgpr_count:     0
    .vgpr_spill_count: 0
    .wavefront_size: 64
  - .agpr_count:     0
    .args:
      - .offset:         0
        .size:           96
        .value_kind:     by_value
    .group_segment_fixed_size: 0
    .kernarg_segment_align: 8
    .kernarg_segment_size: 96
    .language:       OpenCL C
    .language_version:
      - 2
      - 0
    .max_flat_workgroup_size: 256
    .name:           _ZN7rocprim17ROCPRIM_400000_NS6detail17trampoline_kernelINS0_14default_configENS1_20scan_config_selectorI3IntEEZZNS1_9scan_implILNS1_25lookback_scan_determinismE0ELb0ELb0ES3_N6thrust23THRUST_200600_302600_NS6detail15normal_iteratorINSA_10device_ptrIKS5_EEEENSC_INSD_IS5_EEEES5_NSA_4plusIvEES5_EEDaPvRmT3_T4_T5_mT6_P12ihipStream_tbENKUlT_T0_E_clISt17integral_constantIbLb1EESY_EEDaST_SU_EUlST_E_NS1_11comp_targetILNS1_3genE10ELNS1_11target_archE1200ELNS1_3gpuE4ELNS1_3repE0EEENS1_30default_config_static_selectorELNS0_4arch9wavefront6targetE1EEEvT1_
    .private_segment_fixed_size: 0
    .sgpr_count:     4
    .sgpr_spill_count: 0
    .symbol:         _ZN7rocprim17ROCPRIM_400000_NS6detail17trampoline_kernelINS0_14default_configENS1_20scan_config_selectorI3IntEEZZNS1_9scan_implILNS1_25lookback_scan_determinismE0ELb0ELb0ES3_N6thrust23THRUST_200600_302600_NS6detail15normal_iteratorINSA_10device_ptrIKS5_EEEENSC_INSD_IS5_EEEES5_NSA_4plusIvEES5_EEDaPvRmT3_T4_T5_mT6_P12ihipStream_tbENKUlT_T0_E_clISt17integral_constantIbLb1EESY_EEDaST_SU_EUlST_E_NS1_11comp_targetILNS1_3genE10ELNS1_11target_archE1200ELNS1_3gpuE4ELNS1_3repE0EEENS1_30default_config_static_selectorELNS0_4arch9wavefront6targetE1EEEvT1_.kd
    .uniform_work_group_size: 1
    .uses_dynamic_stack: false
    .vgpr_count:     0
    .vgpr_spill_count: 0
    .wavefront_size: 64
  - .agpr_count:     0
    .args:
      - .offset:         0
        .size:           96
        .value_kind:     by_value
    .group_segment_fixed_size: 0
    .kernarg_segment_align: 8
    .kernarg_segment_size: 96
    .language:       OpenCL C
    .language_version:
      - 2
      - 0
    .max_flat_workgroup_size: 256
    .name:           _ZN7rocprim17ROCPRIM_400000_NS6detail17trampoline_kernelINS0_14default_configENS1_20scan_config_selectorI3IntEEZZNS1_9scan_implILNS1_25lookback_scan_determinismE0ELb0ELb0ES3_N6thrust23THRUST_200600_302600_NS6detail15normal_iteratorINSA_10device_ptrIKS5_EEEENSC_INSD_IS5_EEEES5_NSA_4plusIvEES5_EEDaPvRmT3_T4_T5_mT6_P12ihipStream_tbENKUlT_T0_E_clISt17integral_constantIbLb1EESY_EEDaST_SU_EUlST_E_NS1_11comp_targetILNS1_3genE9ELNS1_11target_archE1100ELNS1_3gpuE3ELNS1_3repE0EEENS1_30default_config_static_selectorELNS0_4arch9wavefront6targetE1EEEvT1_
    .private_segment_fixed_size: 0
    .sgpr_count:     4
    .sgpr_spill_count: 0
    .symbol:         _ZN7rocprim17ROCPRIM_400000_NS6detail17trampoline_kernelINS0_14default_configENS1_20scan_config_selectorI3IntEEZZNS1_9scan_implILNS1_25lookback_scan_determinismE0ELb0ELb0ES3_N6thrust23THRUST_200600_302600_NS6detail15normal_iteratorINSA_10device_ptrIKS5_EEEENSC_INSD_IS5_EEEES5_NSA_4plusIvEES5_EEDaPvRmT3_T4_T5_mT6_P12ihipStream_tbENKUlT_T0_E_clISt17integral_constantIbLb1EESY_EEDaST_SU_EUlST_E_NS1_11comp_targetILNS1_3genE9ELNS1_11target_archE1100ELNS1_3gpuE3ELNS1_3repE0EEENS1_30default_config_static_selectorELNS0_4arch9wavefront6targetE1EEEvT1_.kd
    .uniform_work_group_size: 1
    .uses_dynamic_stack: false
    .vgpr_count:     0
    .vgpr_spill_count: 0
    .wavefront_size: 64
  - .agpr_count:     0
    .args:
      - .offset:         0
        .size:           96
        .value_kind:     by_value
    .group_segment_fixed_size: 0
    .kernarg_segment_align: 8
    .kernarg_segment_size: 96
    .language:       OpenCL C
    .language_version:
      - 2
      - 0
    .max_flat_workgroup_size: 64
    .name:           _ZN7rocprim17ROCPRIM_400000_NS6detail17trampoline_kernelINS0_14default_configENS1_20scan_config_selectorI3IntEEZZNS1_9scan_implILNS1_25lookback_scan_determinismE0ELb0ELb0ES3_N6thrust23THRUST_200600_302600_NS6detail15normal_iteratorINSA_10device_ptrIKS5_EEEENSC_INSD_IS5_EEEES5_NSA_4plusIvEES5_EEDaPvRmT3_T4_T5_mT6_P12ihipStream_tbENKUlT_T0_E_clISt17integral_constantIbLb1EESY_EEDaST_SU_EUlST_E_NS1_11comp_targetILNS1_3genE8ELNS1_11target_archE1030ELNS1_3gpuE2ELNS1_3repE0EEENS1_30default_config_static_selectorELNS0_4arch9wavefront6targetE1EEEvT1_
    .private_segment_fixed_size: 0
    .sgpr_count:     4
    .sgpr_spill_count: 0
    .symbol:         _ZN7rocprim17ROCPRIM_400000_NS6detail17trampoline_kernelINS0_14default_configENS1_20scan_config_selectorI3IntEEZZNS1_9scan_implILNS1_25lookback_scan_determinismE0ELb0ELb0ES3_N6thrust23THRUST_200600_302600_NS6detail15normal_iteratorINSA_10device_ptrIKS5_EEEENSC_INSD_IS5_EEEES5_NSA_4plusIvEES5_EEDaPvRmT3_T4_T5_mT6_P12ihipStream_tbENKUlT_T0_E_clISt17integral_constantIbLb1EESY_EEDaST_SU_EUlST_E_NS1_11comp_targetILNS1_3genE8ELNS1_11target_archE1030ELNS1_3gpuE2ELNS1_3repE0EEENS1_30default_config_static_selectorELNS0_4arch9wavefront6targetE1EEEvT1_.kd
    .uniform_work_group_size: 1
    .uses_dynamic_stack: false
    .vgpr_count:     0
    .vgpr_spill_count: 0
    .wavefront_size: 64
  - .agpr_count:     0
    .args:
      - .offset:         0
        .size:           32
        .value_kind:     by_value
    .group_segment_fixed_size: 0
    .kernarg_segment_align: 8
    .kernarg_segment_size: 32
    .language:       OpenCL C
    .language_version:
      - 2
      - 0
    .max_flat_workgroup_size: 256
    .name:           _ZN7rocprim17ROCPRIM_400000_NS6detail17trampoline_kernelINS0_14default_configENS1_20scan_config_selectorI3IntEEZZNS1_9scan_implILNS1_25lookback_scan_determinismE0ELb0ELb0ES3_N6thrust23THRUST_200600_302600_NS6detail15normal_iteratorINSA_10device_ptrIKS5_EEEENSC_INSD_IS5_EEEES5_NSA_4plusIvEES5_EEDaPvRmT3_T4_T5_mT6_P12ihipStream_tbENKUlT_T0_E_clISt17integral_constantIbLb1EESY_EEDaST_SU_EUlST_E0_NS1_11comp_targetILNS1_3genE0ELNS1_11target_archE4294967295ELNS1_3gpuE0ELNS1_3repE0EEENS1_30default_config_static_selectorELNS0_4arch9wavefront6targetE1EEEvT1_
    .private_segment_fixed_size: 0
    .sgpr_count:     4
    .sgpr_spill_count: 0
    .symbol:         _ZN7rocprim17ROCPRIM_400000_NS6detail17trampoline_kernelINS0_14default_configENS1_20scan_config_selectorI3IntEEZZNS1_9scan_implILNS1_25lookback_scan_determinismE0ELb0ELb0ES3_N6thrust23THRUST_200600_302600_NS6detail15normal_iteratorINSA_10device_ptrIKS5_EEEENSC_INSD_IS5_EEEES5_NSA_4plusIvEES5_EEDaPvRmT3_T4_T5_mT6_P12ihipStream_tbENKUlT_T0_E_clISt17integral_constantIbLb1EESY_EEDaST_SU_EUlST_E0_NS1_11comp_targetILNS1_3genE0ELNS1_11target_archE4294967295ELNS1_3gpuE0ELNS1_3repE0EEENS1_30default_config_static_selectorELNS0_4arch9wavefront6targetE1EEEvT1_.kd
    .uniform_work_group_size: 1
    .uses_dynamic_stack: false
    .vgpr_count:     0
    .vgpr_spill_count: 0
    .wavefront_size: 64
  - .agpr_count:     0
    .args:
      - .offset:         0
        .size:           32
        .value_kind:     by_value
    .group_segment_fixed_size: 0
    .kernarg_segment_align: 8
    .kernarg_segment_size: 32
    .language:       OpenCL C
    .language_version:
      - 2
      - 0
    .max_flat_workgroup_size: 256
    .name:           _ZN7rocprim17ROCPRIM_400000_NS6detail17trampoline_kernelINS0_14default_configENS1_20scan_config_selectorI3IntEEZZNS1_9scan_implILNS1_25lookback_scan_determinismE0ELb0ELb0ES3_N6thrust23THRUST_200600_302600_NS6detail15normal_iteratorINSA_10device_ptrIKS5_EEEENSC_INSD_IS5_EEEES5_NSA_4plusIvEES5_EEDaPvRmT3_T4_T5_mT6_P12ihipStream_tbENKUlT_T0_E_clISt17integral_constantIbLb1EESY_EEDaST_SU_EUlST_E0_NS1_11comp_targetILNS1_3genE5ELNS1_11target_archE942ELNS1_3gpuE9ELNS1_3repE0EEENS1_30default_config_static_selectorELNS0_4arch9wavefront6targetE1EEEvT1_
    .private_segment_fixed_size: 0
    .sgpr_count:     4
    .sgpr_spill_count: 0
    .symbol:         _ZN7rocprim17ROCPRIM_400000_NS6detail17trampoline_kernelINS0_14default_configENS1_20scan_config_selectorI3IntEEZZNS1_9scan_implILNS1_25lookback_scan_determinismE0ELb0ELb0ES3_N6thrust23THRUST_200600_302600_NS6detail15normal_iteratorINSA_10device_ptrIKS5_EEEENSC_INSD_IS5_EEEES5_NSA_4plusIvEES5_EEDaPvRmT3_T4_T5_mT6_P12ihipStream_tbENKUlT_T0_E_clISt17integral_constantIbLb1EESY_EEDaST_SU_EUlST_E0_NS1_11comp_targetILNS1_3genE5ELNS1_11target_archE942ELNS1_3gpuE9ELNS1_3repE0EEENS1_30default_config_static_selectorELNS0_4arch9wavefront6targetE1EEEvT1_.kd
    .uniform_work_group_size: 1
    .uses_dynamic_stack: false
    .vgpr_count:     0
    .vgpr_spill_count: 0
    .wavefront_size: 64
  - .agpr_count:     0
    .args:
      - .offset:         0
        .size:           32
        .value_kind:     by_value
    .group_segment_fixed_size: 5120
    .kernarg_segment_align: 8
    .kernarg_segment_size: 32
    .language:       OpenCL C
    .language_version:
      - 2
      - 0
    .max_flat_workgroup_size: 128
    .name:           _ZN7rocprim17ROCPRIM_400000_NS6detail17trampoline_kernelINS0_14default_configENS1_20scan_config_selectorI3IntEEZZNS1_9scan_implILNS1_25lookback_scan_determinismE0ELb0ELb0ES3_N6thrust23THRUST_200600_302600_NS6detail15normal_iteratorINSA_10device_ptrIKS5_EEEENSC_INSD_IS5_EEEES5_NSA_4plusIvEES5_EEDaPvRmT3_T4_T5_mT6_P12ihipStream_tbENKUlT_T0_E_clISt17integral_constantIbLb1EESY_EEDaST_SU_EUlST_E0_NS1_11comp_targetILNS1_3genE4ELNS1_11target_archE910ELNS1_3gpuE8ELNS1_3repE0EEENS1_30default_config_static_selectorELNS0_4arch9wavefront6targetE1EEEvT1_
    .private_segment_fixed_size: 0
    .sgpr_count:     28
    .sgpr_spill_count: 0
    .symbol:         _ZN7rocprim17ROCPRIM_400000_NS6detail17trampoline_kernelINS0_14default_configENS1_20scan_config_selectorI3IntEEZZNS1_9scan_implILNS1_25lookback_scan_determinismE0ELb0ELb0ES3_N6thrust23THRUST_200600_302600_NS6detail15normal_iteratorINSA_10device_ptrIKS5_EEEENSC_INSD_IS5_EEEES5_NSA_4plusIvEES5_EEDaPvRmT3_T4_T5_mT6_P12ihipStream_tbENKUlT_T0_E_clISt17integral_constantIbLb1EESY_EEDaST_SU_EUlST_E0_NS1_11comp_targetILNS1_3genE4ELNS1_11target_archE910ELNS1_3gpuE8ELNS1_3repE0EEENS1_30default_config_static_selectorELNS0_4arch9wavefront6targetE1EEEvT1_.kd
    .uniform_work_group_size: 1
    .uses_dynamic_stack: false
    .vgpr_count:     27
    .vgpr_spill_count: 0
    .wavefront_size: 64
  - .agpr_count:     0
    .args:
      - .offset:         0
        .size:           32
        .value_kind:     by_value
    .group_segment_fixed_size: 0
    .kernarg_segment_align: 8
    .kernarg_segment_size: 32
    .language:       OpenCL C
    .language_version:
      - 2
      - 0
    .max_flat_workgroup_size: 256
    .name:           _ZN7rocprim17ROCPRIM_400000_NS6detail17trampoline_kernelINS0_14default_configENS1_20scan_config_selectorI3IntEEZZNS1_9scan_implILNS1_25lookback_scan_determinismE0ELb0ELb0ES3_N6thrust23THRUST_200600_302600_NS6detail15normal_iteratorINSA_10device_ptrIKS5_EEEENSC_INSD_IS5_EEEES5_NSA_4plusIvEES5_EEDaPvRmT3_T4_T5_mT6_P12ihipStream_tbENKUlT_T0_E_clISt17integral_constantIbLb1EESY_EEDaST_SU_EUlST_E0_NS1_11comp_targetILNS1_3genE3ELNS1_11target_archE908ELNS1_3gpuE7ELNS1_3repE0EEENS1_30default_config_static_selectorELNS0_4arch9wavefront6targetE1EEEvT1_
    .private_segment_fixed_size: 0
    .sgpr_count:     4
    .sgpr_spill_count: 0
    .symbol:         _ZN7rocprim17ROCPRIM_400000_NS6detail17trampoline_kernelINS0_14default_configENS1_20scan_config_selectorI3IntEEZZNS1_9scan_implILNS1_25lookback_scan_determinismE0ELb0ELb0ES3_N6thrust23THRUST_200600_302600_NS6detail15normal_iteratorINSA_10device_ptrIKS5_EEEENSC_INSD_IS5_EEEES5_NSA_4plusIvEES5_EEDaPvRmT3_T4_T5_mT6_P12ihipStream_tbENKUlT_T0_E_clISt17integral_constantIbLb1EESY_EEDaST_SU_EUlST_E0_NS1_11comp_targetILNS1_3genE3ELNS1_11target_archE908ELNS1_3gpuE7ELNS1_3repE0EEENS1_30default_config_static_selectorELNS0_4arch9wavefront6targetE1EEEvT1_.kd
    .uniform_work_group_size: 1
    .uses_dynamic_stack: false
    .vgpr_count:     0
    .vgpr_spill_count: 0
    .wavefront_size: 64
  - .agpr_count:     0
    .args:
      - .offset:         0
        .size:           32
        .value_kind:     by_value
    .group_segment_fixed_size: 0
    .kernarg_segment_align: 8
    .kernarg_segment_size: 32
    .language:       OpenCL C
    .language_version:
      - 2
      - 0
    .max_flat_workgroup_size: 256
    .name:           _ZN7rocprim17ROCPRIM_400000_NS6detail17trampoline_kernelINS0_14default_configENS1_20scan_config_selectorI3IntEEZZNS1_9scan_implILNS1_25lookback_scan_determinismE0ELb0ELb0ES3_N6thrust23THRUST_200600_302600_NS6detail15normal_iteratorINSA_10device_ptrIKS5_EEEENSC_INSD_IS5_EEEES5_NSA_4plusIvEES5_EEDaPvRmT3_T4_T5_mT6_P12ihipStream_tbENKUlT_T0_E_clISt17integral_constantIbLb1EESY_EEDaST_SU_EUlST_E0_NS1_11comp_targetILNS1_3genE2ELNS1_11target_archE906ELNS1_3gpuE6ELNS1_3repE0EEENS1_30default_config_static_selectorELNS0_4arch9wavefront6targetE1EEEvT1_
    .private_segment_fixed_size: 0
    .sgpr_count:     4
    .sgpr_spill_count: 0
    .symbol:         _ZN7rocprim17ROCPRIM_400000_NS6detail17trampoline_kernelINS0_14default_configENS1_20scan_config_selectorI3IntEEZZNS1_9scan_implILNS1_25lookback_scan_determinismE0ELb0ELb0ES3_N6thrust23THRUST_200600_302600_NS6detail15normal_iteratorINSA_10device_ptrIKS5_EEEENSC_INSD_IS5_EEEES5_NSA_4plusIvEES5_EEDaPvRmT3_T4_T5_mT6_P12ihipStream_tbENKUlT_T0_E_clISt17integral_constantIbLb1EESY_EEDaST_SU_EUlST_E0_NS1_11comp_targetILNS1_3genE2ELNS1_11target_archE906ELNS1_3gpuE6ELNS1_3repE0EEENS1_30default_config_static_selectorELNS0_4arch9wavefront6targetE1EEEvT1_.kd
    .uniform_work_group_size: 1
    .uses_dynamic_stack: false
    .vgpr_count:     0
    .vgpr_spill_count: 0
    .wavefront_size: 64
  - .agpr_count:     0
    .args:
      - .offset:         0
        .size:           32
        .value_kind:     by_value
    .group_segment_fixed_size: 0
    .kernarg_segment_align: 8
    .kernarg_segment_size: 32
    .language:       OpenCL C
    .language_version:
      - 2
      - 0
    .max_flat_workgroup_size: 256
    .name:           _ZN7rocprim17ROCPRIM_400000_NS6detail17trampoline_kernelINS0_14default_configENS1_20scan_config_selectorI3IntEEZZNS1_9scan_implILNS1_25lookback_scan_determinismE0ELb0ELb0ES3_N6thrust23THRUST_200600_302600_NS6detail15normal_iteratorINSA_10device_ptrIKS5_EEEENSC_INSD_IS5_EEEES5_NSA_4plusIvEES5_EEDaPvRmT3_T4_T5_mT6_P12ihipStream_tbENKUlT_T0_E_clISt17integral_constantIbLb1EESY_EEDaST_SU_EUlST_E0_NS1_11comp_targetILNS1_3genE10ELNS1_11target_archE1201ELNS1_3gpuE5ELNS1_3repE0EEENS1_30default_config_static_selectorELNS0_4arch9wavefront6targetE1EEEvT1_
    .private_segment_fixed_size: 0
    .sgpr_count:     4
    .sgpr_spill_count: 0
    .symbol:         _ZN7rocprim17ROCPRIM_400000_NS6detail17trampoline_kernelINS0_14default_configENS1_20scan_config_selectorI3IntEEZZNS1_9scan_implILNS1_25lookback_scan_determinismE0ELb0ELb0ES3_N6thrust23THRUST_200600_302600_NS6detail15normal_iteratorINSA_10device_ptrIKS5_EEEENSC_INSD_IS5_EEEES5_NSA_4plusIvEES5_EEDaPvRmT3_T4_T5_mT6_P12ihipStream_tbENKUlT_T0_E_clISt17integral_constantIbLb1EESY_EEDaST_SU_EUlST_E0_NS1_11comp_targetILNS1_3genE10ELNS1_11target_archE1201ELNS1_3gpuE5ELNS1_3repE0EEENS1_30default_config_static_selectorELNS0_4arch9wavefront6targetE1EEEvT1_.kd
    .uniform_work_group_size: 1
    .uses_dynamic_stack: false
    .vgpr_count:     0
    .vgpr_spill_count: 0
    .wavefront_size: 64
  - .agpr_count:     0
    .args:
      - .offset:         0
        .size:           32
        .value_kind:     by_value
    .group_segment_fixed_size: 0
    .kernarg_segment_align: 8
    .kernarg_segment_size: 32
    .language:       OpenCL C
    .language_version:
      - 2
      - 0
    .max_flat_workgroup_size: 256
    .name:           _ZN7rocprim17ROCPRIM_400000_NS6detail17trampoline_kernelINS0_14default_configENS1_20scan_config_selectorI3IntEEZZNS1_9scan_implILNS1_25lookback_scan_determinismE0ELb0ELb0ES3_N6thrust23THRUST_200600_302600_NS6detail15normal_iteratorINSA_10device_ptrIKS5_EEEENSC_INSD_IS5_EEEES5_NSA_4plusIvEES5_EEDaPvRmT3_T4_T5_mT6_P12ihipStream_tbENKUlT_T0_E_clISt17integral_constantIbLb1EESY_EEDaST_SU_EUlST_E0_NS1_11comp_targetILNS1_3genE10ELNS1_11target_archE1200ELNS1_3gpuE4ELNS1_3repE0EEENS1_30default_config_static_selectorELNS0_4arch9wavefront6targetE1EEEvT1_
    .private_segment_fixed_size: 0
    .sgpr_count:     4
    .sgpr_spill_count: 0
    .symbol:         _ZN7rocprim17ROCPRIM_400000_NS6detail17trampoline_kernelINS0_14default_configENS1_20scan_config_selectorI3IntEEZZNS1_9scan_implILNS1_25lookback_scan_determinismE0ELb0ELb0ES3_N6thrust23THRUST_200600_302600_NS6detail15normal_iteratorINSA_10device_ptrIKS5_EEEENSC_INSD_IS5_EEEES5_NSA_4plusIvEES5_EEDaPvRmT3_T4_T5_mT6_P12ihipStream_tbENKUlT_T0_E_clISt17integral_constantIbLb1EESY_EEDaST_SU_EUlST_E0_NS1_11comp_targetILNS1_3genE10ELNS1_11target_archE1200ELNS1_3gpuE4ELNS1_3repE0EEENS1_30default_config_static_selectorELNS0_4arch9wavefront6targetE1EEEvT1_.kd
    .uniform_work_group_size: 1
    .uses_dynamic_stack: false
    .vgpr_count:     0
    .vgpr_spill_count: 0
    .wavefront_size: 64
  - .agpr_count:     0
    .args:
      - .offset:         0
        .size:           32
        .value_kind:     by_value
    .group_segment_fixed_size: 0
    .kernarg_segment_align: 8
    .kernarg_segment_size: 32
    .language:       OpenCL C
    .language_version:
      - 2
      - 0
    .max_flat_workgroup_size: 256
    .name:           _ZN7rocprim17ROCPRIM_400000_NS6detail17trampoline_kernelINS0_14default_configENS1_20scan_config_selectorI3IntEEZZNS1_9scan_implILNS1_25lookback_scan_determinismE0ELb0ELb0ES3_N6thrust23THRUST_200600_302600_NS6detail15normal_iteratorINSA_10device_ptrIKS5_EEEENSC_INSD_IS5_EEEES5_NSA_4plusIvEES5_EEDaPvRmT3_T4_T5_mT6_P12ihipStream_tbENKUlT_T0_E_clISt17integral_constantIbLb1EESY_EEDaST_SU_EUlST_E0_NS1_11comp_targetILNS1_3genE9ELNS1_11target_archE1100ELNS1_3gpuE3ELNS1_3repE0EEENS1_30default_config_static_selectorELNS0_4arch9wavefront6targetE1EEEvT1_
    .private_segment_fixed_size: 0
    .sgpr_count:     4
    .sgpr_spill_count: 0
    .symbol:         _ZN7rocprim17ROCPRIM_400000_NS6detail17trampoline_kernelINS0_14default_configENS1_20scan_config_selectorI3IntEEZZNS1_9scan_implILNS1_25lookback_scan_determinismE0ELb0ELb0ES3_N6thrust23THRUST_200600_302600_NS6detail15normal_iteratorINSA_10device_ptrIKS5_EEEENSC_INSD_IS5_EEEES5_NSA_4plusIvEES5_EEDaPvRmT3_T4_T5_mT6_P12ihipStream_tbENKUlT_T0_E_clISt17integral_constantIbLb1EESY_EEDaST_SU_EUlST_E0_NS1_11comp_targetILNS1_3genE9ELNS1_11target_archE1100ELNS1_3gpuE3ELNS1_3repE0EEENS1_30default_config_static_selectorELNS0_4arch9wavefront6targetE1EEEvT1_.kd
    .uniform_work_group_size: 1
    .uses_dynamic_stack: false
    .vgpr_count:     0
    .vgpr_spill_count: 0
    .wavefront_size: 64
  - .agpr_count:     0
    .args:
      - .offset:         0
        .size:           32
        .value_kind:     by_value
    .group_segment_fixed_size: 0
    .kernarg_segment_align: 8
    .kernarg_segment_size: 32
    .language:       OpenCL C
    .language_version:
      - 2
      - 0
    .max_flat_workgroup_size: 64
    .name:           _ZN7rocprim17ROCPRIM_400000_NS6detail17trampoline_kernelINS0_14default_configENS1_20scan_config_selectorI3IntEEZZNS1_9scan_implILNS1_25lookback_scan_determinismE0ELb0ELb0ES3_N6thrust23THRUST_200600_302600_NS6detail15normal_iteratorINSA_10device_ptrIKS5_EEEENSC_INSD_IS5_EEEES5_NSA_4plusIvEES5_EEDaPvRmT3_T4_T5_mT6_P12ihipStream_tbENKUlT_T0_E_clISt17integral_constantIbLb1EESY_EEDaST_SU_EUlST_E0_NS1_11comp_targetILNS1_3genE8ELNS1_11target_archE1030ELNS1_3gpuE2ELNS1_3repE0EEENS1_30default_config_static_selectorELNS0_4arch9wavefront6targetE1EEEvT1_
    .private_segment_fixed_size: 0
    .sgpr_count:     4
    .sgpr_spill_count: 0
    .symbol:         _ZN7rocprim17ROCPRIM_400000_NS6detail17trampoline_kernelINS0_14default_configENS1_20scan_config_selectorI3IntEEZZNS1_9scan_implILNS1_25lookback_scan_determinismE0ELb0ELb0ES3_N6thrust23THRUST_200600_302600_NS6detail15normal_iteratorINSA_10device_ptrIKS5_EEEENSC_INSD_IS5_EEEES5_NSA_4plusIvEES5_EEDaPvRmT3_T4_T5_mT6_P12ihipStream_tbENKUlT_T0_E_clISt17integral_constantIbLb1EESY_EEDaST_SU_EUlST_E0_NS1_11comp_targetILNS1_3genE8ELNS1_11target_archE1030ELNS1_3gpuE2ELNS1_3repE0EEENS1_30default_config_static_selectorELNS0_4arch9wavefront6targetE1EEEvT1_.kd
    .uniform_work_group_size: 1
    .uses_dynamic_stack: false
    .vgpr_count:     0
    .vgpr_spill_count: 0
    .wavefront_size: 64
  - .agpr_count:     0
    .args:
      - .address_space:  global
        .offset:         0
        .size:           8
        .value_kind:     global_buffer
      - .offset:         8
        .size:           4
        .value_kind:     by_value
      - .offset:         12
        .size:           1
        .value_kind:     by_value
      - .offset:         16
        .size:           4
        .value_kind:     by_value
      - .address_space:  global
        .offset:         24
        .size:           8
        .value_kind:     global_buffer
      - .offset:         32
        .size:           4
        .value_kind:     hidden_block_count_x
      - .offset:         36
        .size:           4
        .value_kind:     hidden_block_count_y
      - .offset:         40
        .size:           4
        .value_kind:     hidden_block_count_z
      - .offset:         44
        .size:           2
        .value_kind:     hidden_group_size_x
      - .offset:         46
        .size:           2
        .value_kind:     hidden_group_size_y
      - .offset:         48
        .size:           2
        .value_kind:     hidden_group_size_z
      - .offset:         50
        .size:           2
        .value_kind:     hidden_remainder_x
      - .offset:         52
        .size:           2
        .value_kind:     hidden_remainder_y
      - .offset:         54
        .size:           2
        .value_kind:     hidden_remainder_z
      - .offset:         72
        .size:           8
        .value_kind:     hidden_global_offset_x
      - .offset:         80
        .size:           8
        .value_kind:     hidden_global_offset_y
      - .offset:         88
        .size:           8
        .value_kind:     hidden_global_offset_z
      - .offset:         96
        .size:           2
        .value_kind:     hidden_grid_dims
    .group_segment_fixed_size: 0
    .kernarg_segment_align: 8
    .kernarg_segment_size: 288
    .language:       OpenCL C
    .language_version:
      - 2
      - 0
    .max_flat_workgroup_size: 256
    .name:           _ZN7rocprim17ROCPRIM_400000_NS6detail31init_lookback_scan_state_kernelINS1_19lookback_scan_stateI3IntLb1ELb1EEENS1_16block_id_wrapperIjLb0EEEEEvT_jT0_jPNS8_10value_typeE
    .private_segment_fixed_size: 0
    .sgpr_count:     16
    .sgpr_spill_count: 0
    .symbol:         _ZN7rocprim17ROCPRIM_400000_NS6detail31init_lookback_scan_state_kernelINS1_19lookback_scan_stateI3IntLb1ELb1EEENS1_16block_id_wrapperIjLb0EEEEEvT_jT0_jPNS8_10value_typeE.kd
    .uniform_work_group_size: 1
    .uses_dynamic_stack: false
    .vgpr_count:     6
    .vgpr_spill_count: 0
    .wavefront_size: 64
  - .agpr_count:     0
    .args:
      - .offset:         0
        .size:           96
        .value_kind:     by_value
    .group_segment_fixed_size: 0
    .kernarg_segment_align: 8
    .kernarg_segment_size: 96
    .language:       OpenCL C
    .language_version:
      - 2
      - 0
    .max_flat_workgroup_size: 256
    .name:           _ZN7rocprim17ROCPRIM_400000_NS6detail17trampoline_kernelINS0_14default_configENS1_20scan_config_selectorI3IntEEZZNS1_9scan_implILNS1_25lookback_scan_determinismE0ELb0ELb0ES3_N6thrust23THRUST_200600_302600_NS6detail15normal_iteratorINSA_10device_ptrIKS5_EEEENSC_INSD_IS5_EEEES5_NSA_4plusIvEES5_EEDaPvRmT3_T4_T5_mT6_P12ihipStream_tbENKUlT_T0_E_clISt17integral_constantIbLb1EESX_IbLb0EEEEDaST_SU_EUlST_E_NS1_11comp_targetILNS1_3genE0ELNS1_11target_archE4294967295ELNS1_3gpuE0ELNS1_3repE0EEENS1_30default_config_static_selectorELNS0_4arch9wavefront6targetE1EEEvT1_
    .private_segment_fixed_size: 0
    .sgpr_count:     4
    .sgpr_spill_count: 0
    .symbol:         _ZN7rocprim17ROCPRIM_400000_NS6detail17trampoline_kernelINS0_14default_configENS1_20scan_config_selectorI3IntEEZZNS1_9scan_implILNS1_25lookback_scan_determinismE0ELb0ELb0ES3_N6thrust23THRUST_200600_302600_NS6detail15normal_iteratorINSA_10device_ptrIKS5_EEEENSC_INSD_IS5_EEEES5_NSA_4plusIvEES5_EEDaPvRmT3_T4_T5_mT6_P12ihipStream_tbENKUlT_T0_E_clISt17integral_constantIbLb1EESX_IbLb0EEEEDaST_SU_EUlST_E_NS1_11comp_targetILNS1_3genE0ELNS1_11target_archE4294967295ELNS1_3gpuE0ELNS1_3repE0EEENS1_30default_config_static_selectorELNS0_4arch9wavefront6targetE1EEEvT1_.kd
    .uniform_work_group_size: 1
    .uses_dynamic_stack: false
    .vgpr_count:     0
    .vgpr_spill_count: 0
    .wavefront_size: 64
  - .agpr_count:     0
    .args:
      - .offset:         0
        .size:           96
        .value_kind:     by_value
    .group_segment_fixed_size: 0
    .kernarg_segment_align: 8
    .kernarg_segment_size: 96
    .language:       OpenCL C
    .language_version:
      - 2
      - 0
    .max_flat_workgroup_size: 256
    .name:           _ZN7rocprim17ROCPRIM_400000_NS6detail17trampoline_kernelINS0_14default_configENS1_20scan_config_selectorI3IntEEZZNS1_9scan_implILNS1_25lookback_scan_determinismE0ELb0ELb0ES3_N6thrust23THRUST_200600_302600_NS6detail15normal_iteratorINSA_10device_ptrIKS5_EEEENSC_INSD_IS5_EEEES5_NSA_4plusIvEES5_EEDaPvRmT3_T4_T5_mT6_P12ihipStream_tbENKUlT_T0_E_clISt17integral_constantIbLb1EESX_IbLb0EEEEDaST_SU_EUlST_E_NS1_11comp_targetILNS1_3genE5ELNS1_11target_archE942ELNS1_3gpuE9ELNS1_3repE0EEENS1_30default_config_static_selectorELNS0_4arch9wavefront6targetE1EEEvT1_
    .private_segment_fixed_size: 0
    .sgpr_count:     4
    .sgpr_spill_count: 0
    .symbol:         _ZN7rocprim17ROCPRIM_400000_NS6detail17trampoline_kernelINS0_14default_configENS1_20scan_config_selectorI3IntEEZZNS1_9scan_implILNS1_25lookback_scan_determinismE0ELb0ELb0ES3_N6thrust23THRUST_200600_302600_NS6detail15normal_iteratorINSA_10device_ptrIKS5_EEEENSC_INSD_IS5_EEEES5_NSA_4plusIvEES5_EEDaPvRmT3_T4_T5_mT6_P12ihipStream_tbENKUlT_T0_E_clISt17integral_constantIbLb1EESX_IbLb0EEEEDaST_SU_EUlST_E_NS1_11comp_targetILNS1_3genE5ELNS1_11target_archE942ELNS1_3gpuE9ELNS1_3repE0EEENS1_30default_config_static_selectorELNS0_4arch9wavefront6targetE1EEEvT1_.kd
    .uniform_work_group_size: 1
    .uses_dynamic_stack: false
    .vgpr_count:     0
    .vgpr_spill_count: 0
    .wavefront_size: 64
  - .agpr_count:     0
    .args:
      - .offset:         0
        .size:           96
        .value_kind:     by_value
    .group_segment_fixed_size: 5120
    .kernarg_segment_align: 8
    .kernarg_segment_size: 96
    .language:       OpenCL C
    .language_version:
      - 2
      - 0
    .max_flat_workgroup_size: 128
    .name:           _ZN7rocprim17ROCPRIM_400000_NS6detail17trampoline_kernelINS0_14default_configENS1_20scan_config_selectorI3IntEEZZNS1_9scan_implILNS1_25lookback_scan_determinismE0ELb0ELb0ES3_N6thrust23THRUST_200600_302600_NS6detail15normal_iteratorINSA_10device_ptrIKS5_EEEENSC_INSD_IS5_EEEES5_NSA_4plusIvEES5_EEDaPvRmT3_T4_T5_mT6_P12ihipStream_tbENKUlT_T0_E_clISt17integral_constantIbLb1EESX_IbLb0EEEEDaST_SU_EUlST_E_NS1_11comp_targetILNS1_3genE4ELNS1_11target_archE910ELNS1_3gpuE8ELNS1_3repE0EEENS1_30default_config_static_selectorELNS0_4arch9wavefront6targetE1EEEvT1_
    .private_segment_fixed_size: 0
    .sgpr_count:     32
    .sgpr_spill_count: 0
    .symbol:         _ZN7rocprim17ROCPRIM_400000_NS6detail17trampoline_kernelINS0_14default_configENS1_20scan_config_selectorI3IntEEZZNS1_9scan_implILNS1_25lookback_scan_determinismE0ELb0ELb0ES3_N6thrust23THRUST_200600_302600_NS6detail15normal_iteratorINSA_10device_ptrIKS5_EEEENSC_INSD_IS5_EEEES5_NSA_4plusIvEES5_EEDaPvRmT3_T4_T5_mT6_P12ihipStream_tbENKUlT_T0_E_clISt17integral_constantIbLb1EESX_IbLb0EEEEDaST_SU_EUlST_E_NS1_11comp_targetILNS1_3genE4ELNS1_11target_archE910ELNS1_3gpuE8ELNS1_3repE0EEENS1_30default_config_static_selectorELNS0_4arch9wavefront6targetE1EEEvT1_.kd
    .uniform_work_group_size: 1
    .uses_dynamic_stack: false
    .vgpr_count:     40
    .vgpr_spill_count: 0
    .wavefront_size: 64
  - .agpr_count:     0
    .args:
      - .offset:         0
        .size:           96
        .value_kind:     by_value
    .group_segment_fixed_size: 0
    .kernarg_segment_align: 8
    .kernarg_segment_size: 96
    .language:       OpenCL C
    .language_version:
      - 2
      - 0
    .max_flat_workgroup_size: 256
    .name:           _ZN7rocprim17ROCPRIM_400000_NS6detail17trampoline_kernelINS0_14default_configENS1_20scan_config_selectorI3IntEEZZNS1_9scan_implILNS1_25lookback_scan_determinismE0ELb0ELb0ES3_N6thrust23THRUST_200600_302600_NS6detail15normal_iteratorINSA_10device_ptrIKS5_EEEENSC_INSD_IS5_EEEES5_NSA_4plusIvEES5_EEDaPvRmT3_T4_T5_mT6_P12ihipStream_tbENKUlT_T0_E_clISt17integral_constantIbLb1EESX_IbLb0EEEEDaST_SU_EUlST_E_NS1_11comp_targetILNS1_3genE3ELNS1_11target_archE908ELNS1_3gpuE7ELNS1_3repE0EEENS1_30default_config_static_selectorELNS0_4arch9wavefront6targetE1EEEvT1_
    .private_segment_fixed_size: 0
    .sgpr_count:     4
    .sgpr_spill_count: 0
    .symbol:         _ZN7rocprim17ROCPRIM_400000_NS6detail17trampoline_kernelINS0_14default_configENS1_20scan_config_selectorI3IntEEZZNS1_9scan_implILNS1_25lookback_scan_determinismE0ELb0ELb0ES3_N6thrust23THRUST_200600_302600_NS6detail15normal_iteratorINSA_10device_ptrIKS5_EEEENSC_INSD_IS5_EEEES5_NSA_4plusIvEES5_EEDaPvRmT3_T4_T5_mT6_P12ihipStream_tbENKUlT_T0_E_clISt17integral_constantIbLb1EESX_IbLb0EEEEDaST_SU_EUlST_E_NS1_11comp_targetILNS1_3genE3ELNS1_11target_archE908ELNS1_3gpuE7ELNS1_3repE0EEENS1_30default_config_static_selectorELNS0_4arch9wavefront6targetE1EEEvT1_.kd
    .uniform_work_group_size: 1
    .uses_dynamic_stack: false
    .vgpr_count:     0
    .vgpr_spill_count: 0
    .wavefront_size: 64
  - .agpr_count:     0
    .args:
      - .offset:         0
        .size:           96
        .value_kind:     by_value
    .group_segment_fixed_size: 0
    .kernarg_segment_align: 8
    .kernarg_segment_size: 96
    .language:       OpenCL C
    .language_version:
      - 2
      - 0
    .max_flat_workgroup_size: 256
    .name:           _ZN7rocprim17ROCPRIM_400000_NS6detail17trampoline_kernelINS0_14default_configENS1_20scan_config_selectorI3IntEEZZNS1_9scan_implILNS1_25lookback_scan_determinismE0ELb0ELb0ES3_N6thrust23THRUST_200600_302600_NS6detail15normal_iteratorINSA_10device_ptrIKS5_EEEENSC_INSD_IS5_EEEES5_NSA_4plusIvEES5_EEDaPvRmT3_T4_T5_mT6_P12ihipStream_tbENKUlT_T0_E_clISt17integral_constantIbLb1EESX_IbLb0EEEEDaST_SU_EUlST_E_NS1_11comp_targetILNS1_3genE2ELNS1_11target_archE906ELNS1_3gpuE6ELNS1_3repE0EEENS1_30default_config_static_selectorELNS0_4arch9wavefront6targetE1EEEvT1_
    .private_segment_fixed_size: 0
    .sgpr_count:     4
    .sgpr_spill_count: 0
    .symbol:         _ZN7rocprim17ROCPRIM_400000_NS6detail17trampoline_kernelINS0_14default_configENS1_20scan_config_selectorI3IntEEZZNS1_9scan_implILNS1_25lookback_scan_determinismE0ELb0ELb0ES3_N6thrust23THRUST_200600_302600_NS6detail15normal_iteratorINSA_10device_ptrIKS5_EEEENSC_INSD_IS5_EEEES5_NSA_4plusIvEES5_EEDaPvRmT3_T4_T5_mT6_P12ihipStream_tbENKUlT_T0_E_clISt17integral_constantIbLb1EESX_IbLb0EEEEDaST_SU_EUlST_E_NS1_11comp_targetILNS1_3genE2ELNS1_11target_archE906ELNS1_3gpuE6ELNS1_3repE0EEENS1_30default_config_static_selectorELNS0_4arch9wavefront6targetE1EEEvT1_.kd
    .uniform_work_group_size: 1
    .uses_dynamic_stack: false
    .vgpr_count:     0
    .vgpr_spill_count: 0
    .wavefront_size: 64
  - .agpr_count:     0
    .args:
      - .offset:         0
        .size:           96
        .value_kind:     by_value
    .group_segment_fixed_size: 0
    .kernarg_segment_align: 8
    .kernarg_segment_size: 96
    .language:       OpenCL C
    .language_version:
      - 2
      - 0
    .max_flat_workgroup_size: 256
    .name:           _ZN7rocprim17ROCPRIM_400000_NS6detail17trampoline_kernelINS0_14default_configENS1_20scan_config_selectorI3IntEEZZNS1_9scan_implILNS1_25lookback_scan_determinismE0ELb0ELb0ES3_N6thrust23THRUST_200600_302600_NS6detail15normal_iteratorINSA_10device_ptrIKS5_EEEENSC_INSD_IS5_EEEES5_NSA_4plusIvEES5_EEDaPvRmT3_T4_T5_mT6_P12ihipStream_tbENKUlT_T0_E_clISt17integral_constantIbLb1EESX_IbLb0EEEEDaST_SU_EUlST_E_NS1_11comp_targetILNS1_3genE10ELNS1_11target_archE1201ELNS1_3gpuE5ELNS1_3repE0EEENS1_30default_config_static_selectorELNS0_4arch9wavefront6targetE1EEEvT1_
    .private_segment_fixed_size: 0
    .sgpr_count:     4
    .sgpr_spill_count: 0
    .symbol:         _ZN7rocprim17ROCPRIM_400000_NS6detail17trampoline_kernelINS0_14default_configENS1_20scan_config_selectorI3IntEEZZNS1_9scan_implILNS1_25lookback_scan_determinismE0ELb0ELb0ES3_N6thrust23THRUST_200600_302600_NS6detail15normal_iteratorINSA_10device_ptrIKS5_EEEENSC_INSD_IS5_EEEES5_NSA_4plusIvEES5_EEDaPvRmT3_T4_T5_mT6_P12ihipStream_tbENKUlT_T0_E_clISt17integral_constantIbLb1EESX_IbLb0EEEEDaST_SU_EUlST_E_NS1_11comp_targetILNS1_3genE10ELNS1_11target_archE1201ELNS1_3gpuE5ELNS1_3repE0EEENS1_30default_config_static_selectorELNS0_4arch9wavefront6targetE1EEEvT1_.kd
    .uniform_work_group_size: 1
    .uses_dynamic_stack: false
    .vgpr_count:     0
    .vgpr_spill_count: 0
    .wavefront_size: 64
  - .agpr_count:     0
    .args:
      - .offset:         0
        .size:           96
        .value_kind:     by_value
    .group_segment_fixed_size: 0
    .kernarg_segment_align: 8
    .kernarg_segment_size: 96
    .language:       OpenCL C
    .language_version:
      - 2
      - 0
    .max_flat_workgroup_size: 256
    .name:           _ZN7rocprim17ROCPRIM_400000_NS6detail17trampoline_kernelINS0_14default_configENS1_20scan_config_selectorI3IntEEZZNS1_9scan_implILNS1_25lookback_scan_determinismE0ELb0ELb0ES3_N6thrust23THRUST_200600_302600_NS6detail15normal_iteratorINSA_10device_ptrIKS5_EEEENSC_INSD_IS5_EEEES5_NSA_4plusIvEES5_EEDaPvRmT3_T4_T5_mT6_P12ihipStream_tbENKUlT_T0_E_clISt17integral_constantIbLb1EESX_IbLb0EEEEDaST_SU_EUlST_E_NS1_11comp_targetILNS1_3genE10ELNS1_11target_archE1200ELNS1_3gpuE4ELNS1_3repE0EEENS1_30default_config_static_selectorELNS0_4arch9wavefront6targetE1EEEvT1_
    .private_segment_fixed_size: 0
    .sgpr_count:     4
    .sgpr_spill_count: 0
    .symbol:         _ZN7rocprim17ROCPRIM_400000_NS6detail17trampoline_kernelINS0_14default_configENS1_20scan_config_selectorI3IntEEZZNS1_9scan_implILNS1_25lookback_scan_determinismE0ELb0ELb0ES3_N6thrust23THRUST_200600_302600_NS6detail15normal_iteratorINSA_10device_ptrIKS5_EEEENSC_INSD_IS5_EEEES5_NSA_4plusIvEES5_EEDaPvRmT3_T4_T5_mT6_P12ihipStream_tbENKUlT_T0_E_clISt17integral_constantIbLb1EESX_IbLb0EEEEDaST_SU_EUlST_E_NS1_11comp_targetILNS1_3genE10ELNS1_11target_archE1200ELNS1_3gpuE4ELNS1_3repE0EEENS1_30default_config_static_selectorELNS0_4arch9wavefront6targetE1EEEvT1_.kd
    .uniform_work_group_size: 1
    .uses_dynamic_stack: false
    .vgpr_count:     0
    .vgpr_spill_count: 0
    .wavefront_size: 64
  - .agpr_count:     0
    .args:
      - .offset:         0
        .size:           96
        .value_kind:     by_value
    .group_segment_fixed_size: 0
    .kernarg_segment_align: 8
    .kernarg_segment_size: 96
    .language:       OpenCL C
    .language_version:
      - 2
      - 0
    .max_flat_workgroup_size: 256
    .name:           _ZN7rocprim17ROCPRIM_400000_NS6detail17trampoline_kernelINS0_14default_configENS1_20scan_config_selectorI3IntEEZZNS1_9scan_implILNS1_25lookback_scan_determinismE0ELb0ELb0ES3_N6thrust23THRUST_200600_302600_NS6detail15normal_iteratorINSA_10device_ptrIKS5_EEEENSC_INSD_IS5_EEEES5_NSA_4plusIvEES5_EEDaPvRmT3_T4_T5_mT6_P12ihipStream_tbENKUlT_T0_E_clISt17integral_constantIbLb1EESX_IbLb0EEEEDaST_SU_EUlST_E_NS1_11comp_targetILNS1_3genE9ELNS1_11target_archE1100ELNS1_3gpuE3ELNS1_3repE0EEENS1_30default_config_static_selectorELNS0_4arch9wavefront6targetE1EEEvT1_
    .private_segment_fixed_size: 0
    .sgpr_count:     4
    .sgpr_spill_count: 0
    .symbol:         _ZN7rocprim17ROCPRIM_400000_NS6detail17trampoline_kernelINS0_14default_configENS1_20scan_config_selectorI3IntEEZZNS1_9scan_implILNS1_25lookback_scan_determinismE0ELb0ELb0ES3_N6thrust23THRUST_200600_302600_NS6detail15normal_iteratorINSA_10device_ptrIKS5_EEEENSC_INSD_IS5_EEEES5_NSA_4plusIvEES5_EEDaPvRmT3_T4_T5_mT6_P12ihipStream_tbENKUlT_T0_E_clISt17integral_constantIbLb1EESX_IbLb0EEEEDaST_SU_EUlST_E_NS1_11comp_targetILNS1_3genE9ELNS1_11target_archE1100ELNS1_3gpuE3ELNS1_3repE0EEENS1_30default_config_static_selectorELNS0_4arch9wavefront6targetE1EEEvT1_.kd
    .uniform_work_group_size: 1
    .uses_dynamic_stack: false
    .vgpr_count:     0
    .vgpr_spill_count: 0
    .wavefront_size: 64
  - .agpr_count:     0
    .args:
      - .offset:         0
        .size:           96
        .value_kind:     by_value
    .group_segment_fixed_size: 0
    .kernarg_segment_align: 8
    .kernarg_segment_size: 96
    .language:       OpenCL C
    .language_version:
      - 2
      - 0
    .max_flat_workgroup_size: 64
    .name:           _ZN7rocprim17ROCPRIM_400000_NS6detail17trampoline_kernelINS0_14default_configENS1_20scan_config_selectorI3IntEEZZNS1_9scan_implILNS1_25lookback_scan_determinismE0ELb0ELb0ES3_N6thrust23THRUST_200600_302600_NS6detail15normal_iteratorINSA_10device_ptrIKS5_EEEENSC_INSD_IS5_EEEES5_NSA_4plusIvEES5_EEDaPvRmT3_T4_T5_mT6_P12ihipStream_tbENKUlT_T0_E_clISt17integral_constantIbLb1EESX_IbLb0EEEEDaST_SU_EUlST_E_NS1_11comp_targetILNS1_3genE8ELNS1_11target_archE1030ELNS1_3gpuE2ELNS1_3repE0EEENS1_30default_config_static_selectorELNS0_4arch9wavefront6targetE1EEEvT1_
    .private_segment_fixed_size: 0
    .sgpr_count:     4
    .sgpr_spill_count: 0
    .symbol:         _ZN7rocprim17ROCPRIM_400000_NS6detail17trampoline_kernelINS0_14default_configENS1_20scan_config_selectorI3IntEEZZNS1_9scan_implILNS1_25lookback_scan_determinismE0ELb0ELb0ES3_N6thrust23THRUST_200600_302600_NS6detail15normal_iteratorINSA_10device_ptrIKS5_EEEENSC_INSD_IS5_EEEES5_NSA_4plusIvEES5_EEDaPvRmT3_T4_T5_mT6_P12ihipStream_tbENKUlT_T0_E_clISt17integral_constantIbLb1EESX_IbLb0EEEEDaST_SU_EUlST_E_NS1_11comp_targetILNS1_3genE8ELNS1_11target_archE1030ELNS1_3gpuE2ELNS1_3repE0EEENS1_30default_config_static_selectorELNS0_4arch9wavefront6targetE1EEEvT1_.kd
    .uniform_work_group_size: 1
    .uses_dynamic_stack: false
    .vgpr_count:     0
    .vgpr_spill_count: 0
    .wavefront_size: 64
  - .agpr_count:     0
    .args:
      - .offset:         0
        .size:           32
        .value_kind:     by_value
    .group_segment_fixed_size: 0
    .kernarg_segment_align: 8
    .kernarg_segment_size: 32
    .language:       OpenCL C
    .language_version:
      - 2
      - 0
    .max_flat_workgroup_size: 256
    .name:           _ZN7rocprim17ROCPRIM_400000_NS6detail17trampoline_kernelINS0_14default_configENS1_20scan_config_selectorI3IntEEZZNS1_9scan_implILNS1_25lookback_scan_determinismE0ELb0ELb0ES3_N6thrust23THRUST_200600_302600_NS6detail15normal_iteratorINSA_10device_ptrIKS5_EEEENSC_INSD_IS5_EEEES5_NSA_4plusIvEES5_EEDaPvRmT3_T4_T5_mT6_P12ihipStream_tbENKUlT_T0_E_clISt17integral_constantIbLb1EESX_IbLb0EEEEDaST_SU_EUlST_E0_NS1_11comp_targetILNS1_3genE0ELNS1_11target_archE4294967295ELNS1_3gpuE0ELNS1_3repE0EEENS1_30default_config_static_selectorELNS0_4arch9wavefront6targetE1EEEvT1_
    .private_segment_fixed_size: 0
    .sgpr_count:     4
    .sgpr_spill_count: 0
    .symbol:         _ZN7rocprim17ROCPRIM_400000_NS6detail17trampoline_kernelINS0_14default_configENS1_20scan_config_selectorI3IntEEZZNS1_9scan_implILNS1_25lookback_scan_determinismE0ELb0ELb0ES3_N6thrust23THRUST_200600_302600_NS6detail15normal_iteratorINSA_10device_ptrIKS5_EEEENSC_INSD_IS5_EEEES5_NSA_4plusIvEES5_EEDaPvRmT3_T4_T5_mT6_P12ihipStream_tbENKUlT_T0_E_clISt17integral_constantIbLb1EESX_IbLb0EEEEDaST_SU_EUlST_E0_NS1_11comp_targetILNS1_3genE0ELNS1_11target_archE4294967295ELNS1_3gpuE0ELNS1_3repE0EEENS1_30default_config_static_selectorELNS0_4arch9wavefront6targetE1EEEvT1_.kd
    .uniform_work_group_size: 1
    .uses_dynamic_stack: false
    .vgpr_count:     0
    .vgpr_spill_count: 0
    .wavefront_size: 64
  - .agpr_count:     0
    .args:
      - .offset:         0
        .size:           32
        .value_kind:     by_value
    .group_segment_fixed_size: 0
    .kernarg_segment_align: 8
    .kernarg_segment_size: 32
    .language:       OpenCL C
    .language_version:
      - 2
      - 0
    .max_flat_workgroup_size: 256
    .name:           _ZN7rocprim17ROCPRIM_400000_NS6detail17trampoline_kernelINS0_14default_configENS1_20scan_config_selectorI3IntEEZZNS1_9scan_implILNS1_25lookback_scan_determinismE0ELb0ELb0ES3_N6thrust23THRUST_200600_302600_NS6detail15normal_iteratorINSA_10device_ptrIKS5_EEEENSC_INSD_IS5_EEEES5_NSA_4plusIvEES5_EEDaPvRmT3_T4_T5_mT6_P12ihipStream_tbENKUlT_T0_E_clISt17integral_constantIbLb1EESX_IbLb0EEEEDaST_SU_EUlST_E0_NS1_11comp_targetILNS1_3genE5ELNS1_11target_archE942ELNS1_3gpuE9ELNS1_3repE0EEENS1_30default_config_static_selectorELNS0_4arch9wavefront6targetE1EEEvT1_
    .private_segment_fixed_size: 0
    .sgpr_count:     4
    .sgpr_spill_count: 0
    .symbol:         _ZN7rocprim17ROCPRIM_400000_NS6detail17trampoline_kernelINS0_14default_configENS1_20scan_config_selectorI3IntEEZZNS1_9scan_implILNS1_25lookback_scan_determinismE0ELb0ELb0ES3_N6thrust23THRUST_200600_302600_NS6detail15normal_iteratorINSA_10device_ptrIKS5_EEEENSC_INSD_IS5_EEEES5_NSA_4plusIvEES5_EEDaPvRmT3_T4_T5_mT6_P12ihipStream_tbENKUlT_T0_E_clISt17integral_constantIbLb1EESX_IbLb0EEEEDaST_SU_EUlST_E0_NS1_11comp_targetILNS1_3genE5ELNS1_11target_archE942ELNS1_3gpuE9ELNS1_3repE0EEENS1_30default_config_static_selectorELNS0_4arch9wavefront6targetE1EEEvT1_.kd
    .uniform_work_group_size: 1
    .uses_dynamic_stack: false
    .vgpr_count:     0
    .vgpr_spill_count: 0
    .wavefront_size: 64
  - .agpr_count:     0
    .args:
      - .offset:         0
        .size:           32
        .value_kind:     by_value
    .group_segment_fixed_size: 5120
    .kernarg_segment_align: 8
    .kernarg_segment_size: 32
    .language:       OpenCL C
    .language_version:
      - 2
      - 0
    .max_flat_workgroup_size: 128
    .name:           _ZN7rocprim17ROCPRIM_400000_NS6detail17trampoline_kernelINS0_14default_configENS1_20scan_config_selectorI3IntEEZZNS1_9scan_implILNS1_25lookback_scan_determinismE0ELb0ELb0ES3_N6thrust23THRUST_200600_302600_NS6detail15normal_iteratorINSA_10device_ptrIKS5_EEEENSC_INSD_IS5_EEEES5_NSA_4plusIvEES5_EEDaPvRmT3_T4_T5_mT6_P12ihipStream_tbENKUlT_T0_E_clISt17integral_constantIbLb1EESX_IbLb0EEEEDaST_SU_EUlST_E0_NS1_11comp_targetILNS1_3genE4ELNS1_11target_archE910ELNS1_3gpuE8ELNS1_3repE0EEENS1_30default_config_static_selectorELNS0_4arch9wavefront6targetE1EEEvT1_
    .private_segment_fixed_size: 0
    .sgpr_count:     28
    .sgpr_spill_count: 0
    .symbol:         _ZN7rocprim17ROCPRIM_400000_NS6detail17trampoline_kernelINS0_14default_configENS1_20scan_config_selectorI3IntEEZZNS1_9scan_implILNS1_25lookback_scan_determinismE0ELb0ELb0ES3_N6thrust23THRUST_200600_302600_NS6detail15normal_iteratorINSA_10device_ptrIKS5_EEEENSC_INSD_IS5_EEEES5_NSA_4plusIvEES5_EEDaPvRmT3_T4_T5_mT6_P12ihipStream_tbENKUlT_T0_E_clISt17integral_constantIbLb1EESX_IbLb0EEEEDaST_SU_EUlST_E0_NS1_11comp_targetILNS1_3genE4ELNS1_11target_archE910ELNS1_3gpuE8ELNS1_3repE0EEENS1_30default_config_static_selectorELNS0_4arch9wavefront6targetE1EEEvT1_.kd
    .uniform_work_group_size: 1
    .uses_dynamic_stack: false
    .vgpr_count:     27
    .vgpr_spill_count: 0
    .wavefront_size: 64
  - .agpr_count:     0
    .args:
      - .offset:         0
        .size:           32
        .value_kind:     by_value
    .group_segment_fixed_size: 0
    .kernarg_segment_align: 8
    .kernarg_segment_size: 32
    .language:       OpenCL C
    .language_version:
      - 2
      - 0
    .max_flat_workgroup_size: 256
    .name:           _ZN7rocprim17ROCPRIM_400000_NS6detail17trampoline_kernelINS0_14default_configENS1_20scan_config_selectorI3IntEEZZNS1_9scan_implILNS1_25lookback_scan_determinismE0ELb0ELb0ES3_N6thrust23THRUST_200600_302600_NS6detail15normal_iteratorINSA_10device_ptrIKS5_EEEENSC_INSD_IS5_EEEES5_NSA_4plusIvEES5_EEDaPvRmT3_T4_T5_mT6_P12ihipStream_tbENKUlT_T0_E_clISt17integral_constantIbLb1EESX_IbLb0EEEEDaST_SU_EUlST_E0_NS1_11comp_targetILNS1_3genE3ELNS1_11target_archE908ELNS1_3gpuE7ELNS1_3repE0EEENS1_30default_config_static_selectorELNS0_4arch9wavefront6targetE1EEEvT1_
    .private_segment_fixed_size: 0
    .sgpr_count:     4
    .sgpr_spill_count: 0
    .symbol:         _ZN7rocprim17ROCPRIM_400000_NS6detail17trampoline_kernelINS0_14default_configENS1_20scan_config_selectorI3IntEEZZNS1_9scan_implILNS1_25lookback_scan_determinismE0ELb0ELb0ES3_N6thrust23THRUST_200600_302600_NS6detail15normal_iteratorINSA_10device_ptrIKS5_EEEENSC_INSD_IS5_EEEES5_NSA_4plusIvEES5_EEDaPvRmT3_T4_T5_mT6_P12ihipStream_tbENKUlT_T0_E_clISt17integral_constantIbLb1EESX_IbLb0EEEEDaST_SU_EUlST_E0_NS1_11comp_targetILNS1_3genE3ELNS1_11target_archE908ELNS1_3gpuE7ELNS1_3repE0EEENS1_30default_config_static_selectorELNS0_4arch9wavefront6targetE1EEEvT1_.kd
    .uniform_work_group_size: 1
    .uses_dynamic_stack: false
    .vgpr_count:     0
    .vgpr_spill_count: 0
    .wavefront_size: 64
  - .agpr_count:     0
    .args:
      - .offset:         0
        .size:           32
        .value_kind:     by_value
    .group_segment_fixed_size: 0
    .kernarg_segment_align: 8
    .kernarg_segment_size: 32
    .language:       OpenCL C
    .language_version:
      - 2
      - 0
    .max_flat_workgroup_size: 256
    .name:           _ZN7rocprim17ROCPRIM_400000_NS6detail17trampoline_kernelINS0_14default_configENS1_20scan_config_selectorI3IntEEZZNS1_9scan_implILNS1_25lookback_scan_determinismE0ELb0ELb0ES3_N6thrust23THRUST_200600_302600_NS6detail15normal_iteratorINSA_10device_ptrIKS5_EEEENSC_INSD_IS5_EEEES5_NSA_4plusIvEES5_EEDaPvRmT3_T4_T5_mT6_P12ihipStream_tbENKUlT_T0_E_clISt17integral_constantIbLb1EESX_IbLb0EEEEDaST_SU_EUlST_E0_NS1_11comp_targetILNS1_3genE2ELNS1_11target_archE906ELNS1_3gpuE6ELNS1_3repE0EEENS1_30default_config_static_selectorELNS0_4arch9wavefront6targetE1EEEvT1_
    .private_segment_fixed_size: 0
    .sgpr_count:     4
    .sgpr_spill_count: 0
    .symbol:         _ZN7rocprim17ROCPRIM_400000_NS6detail17trampoline_kernelINS0_14default_configENS1_20scan_config_selectorI3IntEEZZNS1_9scan_implILNS1_25lookback_scan_determinismE0ELb0ELb0ES3_N6thrust23THRUST_200600_302600_NS6detail15normal_iteratorINSA_10device_ptrIKS5_EEEENSC_INSD_IS5_EEEES5_NSA_4plusIvEES5_EEDaPvRmT3_T4_T5_mT6_P12ihipStream_tbENKUlT_T0_E_clISt17integral_constantIbLb1EESX_IbLb0EEEEDaST_SU_EUlST_E0_NS1_11comp_targetILNS1_3genE2ELNS1_11target_archE906ELNS1_3gpuE6ELNS1_3repE0EEENS1_30default_config_static_selectorELNS0_4arch9wavefront6targetE1EEEvT1_.kd
    .uniform_work_group_size: 1
    .uses_dynamic_stack: false
    .vgpr_count:     0
    .vgpr_spill_count: 0
    .wavefront_size: 64
  - .agpr_count:     0
    .args:
      - .offset:         0
        .size:           32
        .value_kind:     by_value
    .group_segment_fixed_size: 0
    .kernarg_segment_align: 8
    .kernarg_segment_size: 32
    .language:       OpenCL C
    .language_version:
      - 2
      - 0
    .max_flat_workgroup_size: 256
    .name:           _ZN7rocprim17ROCPRIM_400000_NS6detail17trampoline_kernelINS0_14default_configENS1_20scan_config_selectorI3IntEEZZNS1_9scan_implILNS1_25lookback_scan_determinismE0ELb0ELb0ES3_N6thrust23THRUST_200600_302600_NS6detail15normal_iteratorINSA_10device_ptrIKS5_EEEENSC_INSD_IS5_EEEES5_NSA_4plusIvEES5_EEDaPvRmT3_T4_T5_mT6_P12ihipStream_tbENKUlT_T0_E_clISt17integral_constantIbLb1EESX_IbLb0EEEEDaST_SU_EUlST_E0_NS1_11comp_targetILNS1_3genE10ELNS1_11target_archE1201ELNS1_3gpuE5ELNS1_3repE0EEENS1_30default_config_static_selectorELNS0_4arch9wavefront6targetE1EEEvT1_
    .private_segment_fixed_size: 0
    .sgpr_count:     4
    .sgpr_spill_count: 0
    .symbol:         _ZN7rocprim17ROCPRIM_400000_NS6detail17trampoline_kernelINS0_14default_configENS1_20scan_config_selectorI3IntEEZZNS1_9scan_implILNS1_25lookback_scan_determinismE0ELb0ELb0ES3_N6thrust23THRUST_200600_302600_NS6detail15normal_iteratorINSA_10device_ptrIKS5_EEEENSC_INSD_IS5_EEEES5_NSA_4plusIvEES5_EEDaPvRmT3_T4_T5_mT6_P12ihipStream_tbENKUlT_T0_E_clISt17integral_constantIbLb1EESX_IbLb0EEEEDaST_SU_EUlST_E0_NS1_11comp_targetILNS1_3genE10ELNS1_11target_archE1201ELNS1_3gpuE5ELNS1_3repE0EEENS1_30default_config_static_selectorELNS0_4arch9wavefront6targetE1EEEvT1_.kd
    .uniform_work_group_size: 1
    .uses_dynamic_stack: false
    .vgpr_count:     0
    .vgpr_spill_count: 0
    .wavefront_size: 64
  - .agpr_count:     0
    .args:
      - .offset:         0
        .size:           32
        .value_kind:     by_value
    .group_segment_fixed_size: 0
    .kernarg_segment_align: 8
    .kernarg_segment_size: 32
    .language:       OpenCL C
    .language_version:
      - 2
      - 0
    .max_flat_workgroup_size: 256
    .name:           _ZN7rocprim17ROCPRIM_400000_NS6detail17trampoline_kernelINS0_14default_configENS1_20scan_config_selectorI3IntEEZZNS1_9scan_implILNS1_25lookback_scan_determinismE0ELb0ELb0ES3_N6thrust23THRUST_200600_302600_NS6detail15normal_iteratorINSA_10device_ptrIKS5_EEEENSC_INSD_IS5_EEEES5_NSA_4plusIvEES5_EEDaPvRmT3_T4_T5_mT6_P12ihipStream_tbENKUlT_T0_E_clISt17integral_constantIbLb1EESX_IbLb0EEEEDaST_SU_EUlST_E0_NS1_11comp_targetILNS1_3genE10ELNS1_11target_archE1200ELNS1_3gpuE4ELNS1_3repE0EEENS1_30default_config_static_selectorELNS0_4arch9wavefront6targetE1EEEvT1_
    .private_segment_fixed_size: 0
    .sgpr_count:     4
    .sgpr_spill_count: 0
    .symbol:         _ZN7rocprim17ROCPRIM_400000_NS6detail17trampoline_kernelINS0_14default_configENS1_20scan_config_selectorI3IntEEZZNS1_9scan_implILNS1_25lookback_scan_determinismE0ELb0ELb0ES3_N6thrust23THRUST_200600_302600_NS6detail15normal_iteratorINSA_10device_ptrIKS5_EEEENSC_INSD_IS5_EEEES5_NSA_4plusIvEES5_EEDaPvRmT3_T4_T5_mT6_P12ihipStream_tbENKUlT_T0_E_clISt17integral_constantIbLb1EESX_IbLb0EEEEDaST_SU_EUlST_E0_NS1_11comp_targetILNS1_3genE10ELNS1_11target_archE1200ELNS1_3gpuE4ELNS1_3repE0EEENS1_30default_config_static_selectorELNS0_4arch9wavefront6targetE1EEEvT1_.kd
    .uniform_work_group_size: 1
    .uses_dynamic_stack: false
    .vgpr_count:     0
    .vgpr_spill_count: 0
    .wavefront_size: 64
  - .agpr_count:     0
    .args:
      - .offset:         0
        .size:           32
        .value_kind:     by_value
    .group_segment_fixed_size: 0
    .kernarg_segment_align: 8
    .kernarg_segment_size: 32
    .language:       OpenCL C
    .language_version:
      - 2
      - 0
    .max_flat_workgroup_size: 256
    .name:           _ZN7rocprim17ROCPRIM_400000_NS6detail17trampoline_kernelINS0_14default_configENS1_20scan_config_selectorI3IntEEZZNS1_9scan_implILNS1_25lookback_scan_determinismE0ELb0ELb0ES3_N6thrust23THRUST_200600_302600_NS6detail15normal_iteratorINSA_10device_ptrIKS5_EEEENSC_INSD_IS5_EEEES5_NSA_4plusIvEES5_EEDaPvRmT3_T4_T5_mT6_P12ihipStream_tbENKUlT_T0_E_clISt17integral_constantIbLb1EESX_IbLb0EEEEDaST_SU_EUlST_E0_NS1_11comp_targetILNS1_3genE9ELNS1_11target_archE1100ELNS1_3gpuE3ELNS1_3repE0EEENS1_30default_config_static_selectorELNS0_4arch9wavefront6targetE1EEEvT1_
    .private_segment_fixed_size: 0
    .sgpr_count:     4
    .sgpr_spill_count: 0
    .symbol:         _ZN7rocprim17ROCPRIM_400000_NS6detail17trampoline_kernelINS0_14default_configENS1_20scan_config_selectorI3IntEEZZNS1_9scan_implILNS1_25lookback_scan_determinismE0ELb0ELb0ES3_N6thrust23THRUST_200600_302600_NS6detail15normal_iteratorINSA_10device_ptrIKS5_EEEENSC_INSD_IS5_EEEES5_NSA_4plusIvEES5_EEDaPvRmT3_T4_T5_mT6_P12ihipStream_tbENKUlT_T0_E_clISt17integral_constantIbLb1EESX_IbLb0EEEEDaST_SU_EUlST_E0_NS1_11comp_targetILNS1_3genE9ELNS1_11target_archE1100ELNS1_3gpuE3ELNS1_3repE0EEENS1_30default_config_static_selectorELNS0_4arch9wavefront6targetE1EEEvT1_.kd
    .uniform_work_group_size: 1
    .uses_dynamic_stack: false
    .vgpr_count:     0
    .vgpr_spill_count: 0
    .wavefront_size: 64
  - .agpr_count:     0
    .args:
      - .offset:         0
        .size:           32
        .value_kind:     by_value
    .group_segment_fixed_size: 0
    .kernarg_segment_align: 8
    .kernarg_segment_size: 32
    .language:       OpenCL C
    .language_version:
      - 2
      - 0
    .max_flat_workgroup_size: 64
    .name:           _ZN7rocprim17ROCPRIM_400000_NS6detail17trampoline_kernelINS0_14default_configENS1_20scan_config_selectorI3IntEEZZNS1_9scan_implILNS1_25lookback_scan_determinismE0ELb0ELb0ES3_N6thrust23THRUST_200600_302600_NS6detail15normal_iteratorINSA_10device_ptrIKS5_EEEENSC_INSD_IS5_EEEES5_NSA_4plusIvEES5_EEDaPvRmT3_T4_T5_mT6_P12ihipStream_tbENKUlT_T0_E_clISt17integral_constantIbLb1EESX_IbLb0EEEEDaST_SU_EUlST_E0_NS1_11comp_targetILNS1_3genE8ELNS1_11target_archE1030ELNS1_3gpuE2ELNS1_3repE0EEENS1_30default_config_static_selectorELNS0_4arch9wavefront6targetE1EEEvT1_
    .private_segment_fixed_size: 0
    .sgpr_count:     4
    .sgpr_spill_count: 0
    .symbol:         _ZN7rocprim17ROCPRIM_400000_NS6detail17trampoline_kernelINS0_14default_configENS1_20scan_config_selectorI3IntEEZZNS1_9scan_implILNS1_25lookback_scan_determinismE0ELb0ELb0ES3_N6thrust23THRUST_200600_302600_NS6detail15normal_iteratorINSA_10device_ptrIKS5_EEEENSC_INSD_IS5_EEEES5_NSA_4plusIvEES5_EEDaPvRmT3_T4_T5_mT6_P12ihipStream_tbENKUlT_T0_E_clISt17integral_constantIbLb1EESX_IbLb0EEEEDaST_SU_EUlST_E0_NS1_11comp_targetILNS1_3genE8ELNS1_11target_archE1030ELNS1_3gpuE2ELNS1_3repE0EEENS1_30default_config_static_selectorELNS0_4arch9wavefront6targetE1EEEvT1_.kd
    .uniform_work_group_size: 1
    .uses_dynamic_stack: false
    .vgpr_count:     0
    .vgpr_spill_count: 0
    .wavefront_size: 64
  - .agpr_count:     0
    .args:
      - .address_space:  global
        .offset:         0
        .size:           8
        .value_kind:     global_buffer
      - .offset:         8
        .size:           4
        .value_kind:     by_value
      - .address_space:  global
        .offset:         16
        .size:           8
        .value_kind:     global_buffer
      - .offset:         24
        .size:           4
        .value_kind:     by_value
      - .address_space:  global
        .offset:         32
        .size:           8
        .value_kind:     global_buffer
      - .offset:         40
        .size:           4
        .value_kind:     hidden_block_count_x
      - .offset:         44
        .size:           4
        .value_kind:     hidden_block_count_y
      - .offset:         48
        .size:           4
        .value_kind:     hidden_block_count_z
      - .offset:         52
        .size:           2
        .value_kind:     hidden_group_size_x
      - .offset:         54
        .size:           2
        .value_kind:     hidden_group_size_y
      - .offset:         56
        .size:           2
        .value_kind:     hidden_group_size_z
      - .offset:         58
        .size:           2
        .value_kind:     hidden_remainder_x
      - .offset:         60
        .size:           2
        .value_kind:     hidden_remainder_y
      - .offset:         62
        .size:           2
        .value_kind:     hidden_remainder_z
      - .offset:         80
        .size:           8
        .value_kind:     hidden_global_offset_x
      - .offset:         88
        .size:           8
        .value_kind:     hidden_global_offset_y
      - .offset:         96
        .size:           8
        .value_kind:     hidden_global_offset_z
      - .offset:         104
        .size:           2
        .value_kind:     hidden_grid_dims
    .group_segment_fixed_size: 0
    .kernarg_segment_align: 8
    .kernarg_segment_size: 296
    .language:       OpenCL C
    .language_version:
      - 2
      - 0
    .max_flat_workgroup_size: 256
    .name:           _ZN7rocprim17ROCPRIM_400000_NS6detail31init_lookback_scan_state_kernelINS1_19lookback_scan_stateI3IntLb0ELb1EEENS1_16block_id_wrapperIjLb1EEEEEvT_jT0_jPNS8_10value_typeE
    .private_segment_fixed_size: 0
    .sgpr_count:     15
    .sgpr_spill_count: 0
    .symbol:         _ZN7rocprim17ROCPRIM_400000_NS6detail31init_lookback_scan_state_kernelINS1_19lookback_scan_stateI3IntLb0ELb1EEENS1_16block_id_wrapperIjLb1EEEEEvT_jT0_jPNS8_10value_typeE.kd
    .uniform_work_group_size: 1
    .uses_dynamic_stack: false
    .vgpr_count:     6
    .vgpr_spill_count: 0
    .wavefront_size: 64
  - .agpr_count:     0
    .args:
      - .offset:         0
        .size:           96
        .value_kind:     by_value
    .group_segment_fixed_size: 0
    .kernarg_segment_align: 8
    .kernarg_segment_size: 96
    .language:       OpenCL C
    .language_version:
      - 2
      - 0
    .max_flat_workgroup_size: 256
    .name:           _ZN7rocprim17ROCPRIM_400000_NS6detail17trampoline_kernelINS0_14default_configENS1_20scan_config_selectorI3IntEEZZNS1_9scan_implILNS1_25lookback_scan_determinismE0ELb0ELb0ES3_N6thrust23THRUST_200600_302600_NS6detail15normal_iteratorINSA_10device_ptrIKS5_EEEENSC_INSD_IS5_EEEES5_NSA_4plusIvEES5_EEDaPvRmT3_T4_T5_mT6_P12ihipStream_tbENKUlT_T0_E_clISt17integral_constantIbLb0EESX_IbLb1EEEEDaST_SU_EUlST_E_NS1_11comp_targetILNS1_3genE0ELNS1_11target_archE4294967295ELNS1_3gpuE0ELNS1_3repE0EEENS1_30default_config_static_selectorELNS0_4arch9wavefront6targetE1EEEvT1_
    .private_segment_fixed_size: 0
    .sgpr_count:     4
    .sgpr_spill_count: 0
    .symbol:         _ZN7rocprim17ROCPRIM_400000_NS6detail17trampoline_kernelINS0_14default_configENS1_20scan_config_selectorI3IntEEZZNS1_9scan_implILNS1_25lookback_scan_determinismE0ELb0ELb0ES3_N6thrust23THRUST_200600_302600_NS6detail15normal_iteratorINSA_10device_ptrIKS5_EEEENSC_INSD_IS5_EEEES5_NSA_4plusIvEES5_EEDaPvRmT3_T4_T5_mT6_P12ihipStream_tbENKUlT_T0_E_clISt17integral_constantIbLb0EESX_IbLb1EEEEDaST_SU_EUlST_E_NS1_11comp_targetILNS1_3genE0ELNS1_11target_archE4294967295ELNS1_3gpuE0ELNS1_3repE0EEENS1_30default_config_static_selectorELNS0_4arch9wavefront6targetE1EEEvT1_.kd
    .uniform_work_group_size: 1
    .uses_dynamic_stack: false
    .vgpr_count:     0
    .vgpr_spill_count: 0
    .wavefront_size: 64
  - .agpr_count:     0
    .args:
      - .offset:         0
        .size:           96
        .value_kind:     by_value
    .group_segment_fixed_size: 0
    .kernarg_segment_align: 8
    .kernarg_segment_size: 96
    .language:       OpenCL C
    .language_version:
      - 2
      - 0
    .max_flat_workgroup_size: 256
    .name:           _ZN7rocprim17ROCPRIM_400000_NS6detail17trampoline_kernelINS0_14default_configENS1_20scan_config_selectorI3IntEEZZNS1_9scan_implILNS1_25lookback_scan_determinismE0ELb0ELb0ES3_N6thrust23THRUST_200600_302600_NS6detail15normal_iteratorINSA_10device_ptrIKS5_EEEENSC_INSD_IS5_EEEES5_NSA_4plusIvEES5_EEDaPvRmT3_T4_T5_mT6_P12ihipStream_tbENKUlT_T0_E_clISt17integral_constantIbLb0EESX_IbLb1EEEEDaST_SU_EUlST_E_NS1_11comp_targetILNS1_3genE5ELNS1_11target_archE942ELNS1_3gpuE9ELNS1_3repE0EEENS1_30default_config_static_selectorELNS0_4arch9wavefront6targetE1EEEvT1_
    .private_segment_fixed_size: 0
    .sgpr_count:     4
    .sgpr_spill_count: 0
    .symbol:         _ZN7rocprim17ROCPRIM_400000_NS6detail17trampoline_kernelINS0_14default_configENS1_20scan_config_selectorI3IntEEZZNS1_9scan_implILNS1_25lookback_scan_determinismE0ELb0ELb0ES3_N6thrust23THRUST_200600_302600_NS6detail15normal_iteratorINSA_10device_ptrIKS5_EEEENSC_INSD_IS5_EEEES5_NSA_4plusIvEES5_EEDaPvRmT3_T4_T5_mT6_P12ihipStream_tbENKUlT_T0_E_clISt17integral_constantIbLb0EESX_IbLb1EEEEDaST_SU_EUlST_E_NS1_11comp_targetILNS1_3genE5ELNS1_11target_archE942ELNS1_3gpuE9ELNS1_3repE0EEENS1_30default_config_static_selectorELNS0_4arch9wavefront6targetE1EEEvT1_.kd
    .uniform_work_group_size: 1
    .uses_dynamic_stack: false
    .vgpr_count:     0
    .vgpr_spill_count: 0
    .wavefront_size: 64
  - .agpr_count:     0
    .args:
      - .offset:         0
        .size:           96
        .value_kind:     by_value
    .group_segment_fixed_size: 5120
    .kernarg_segment_align: 8
    .kernarg_segment_size: 96
    .language:       OpenCL C
    .language_version:
      - 2
      - 0
    .max_flat_workgroup_size: 128
    .name:           _ZN7rocprim17ROCPRIM_400000_NS6detail17trampoline_kernelINS0_14default_configENS1_20scan_config_selectorI3IntEEZZNS1_9scan_implILNS1_25lookback_scan_determinismE0ELb0ELb0ES3_N6thrust23THRUST_200600_302600_NS6detail15normal_iteratorINSA_10device_ptrIKS5_EEEENSC_INSD_IS5_EEEES5_NSA_4plusIvEES5_EEDaPvRmT3_T4_T5_mT6_P12ihipStream_tbENKUlT_T0_E_clISt17integral_constantIbLb0EESX_IbLb1EEEEDaST_SU_EUlST_E_NS1_11comp_targetILNS1_3genE4ELNS1_11target_archE910ELNS1_3gpuE8ELNS1_3repE0EEENS1_30default_config_static_selectorELNS0_4arch9wavefront6targetE1EEEvT1_
    .private_segment_fixed_size: 0
    .sgpr_count:     40
    .sgpr_spill_count: 0
    .symbol:         _ZN7rocprim17ROCPRIM_400000_NS6detail17trampoline_kernelINS0_14default_configENS1_20scan_config_selectorI3IntEEZZNS1_9scan_implILNS1_25lookback_scan_determinismE0ELb0ELb0ES3_N6thrust23THRUST_200600_302600_NS6detail15normal_iteratorINSA_10device_ptrIKS5_EEEENSC_INSD_IS5_EEEES5_NSA_4plusIvEES5_EEDaPvRmT3_T4_T5_mT6_P12ihipStream_tbENKUlT_T0_E_clISt17integral_constantIbLb0EESX_IbLb1EEEEDaST_SU_EUlST_E_NS1_11comp_targetILNS1_3genE4ELNS1_11target_archE910ELNS1_3gpuE8ELNS1_3repE0EEENS1_30default_config_static_selectorELNS0_4arch9wavefront6targetE1EEEvT1_.kd
    .uniform_work_group_size: 1
    .uses_dynamic_stack: false
    .vgpr_count:     40
    .vgpr_spill_count: 0
    .wavefront_size: 64
  - .agpr_count:     0
    .args:
      - .offset:         0
        .size:           96
        .value_kind:     by_value
    .group_segment_fixed_size: 0
    .kernarg_segment_align: 8
    .kernarg_segment_size: 96
    .language:       OpenCL C
    .language_version:
      - 2
      - 0
    .max_flat_workgroup_size: 256
    .name:           _ZN7rocprim17ROCPRIM_400000_NS6detail17trampoline_kernelINS0_14default_configENS1_20scan_config_selectorI3IntEEZZNS1_9scan_implILNS1_25lookback_scan_determinismE0ELb0ELb0ES3_N6thrust23THRUST_200600_302600_NS6detail15normal_iteratorINSA_10device_ptrIKS5_EEEENSC_INSD_IS5_EEEES5_NSA_4plusIvEES5_EEDaPvRmT3_T4_T5_mT6_P12ihipStream_tbENKUlT_T0_E_clISt17integral_constantIbLb0EESX_IbLb1EEEEDaST_SU_EUlST_E_NS1_11comp_targetILNS1_3genE3ELNS1_11target_archE908ELNS1_3gpuE7ELNS1_3repE0EEENS1_30default_config_static_selectorELNS0_4arch9wavefront6targetE1EEEvT1_
    .private_segment_fixed_size: 0
    .sgpr_count:     4
    .sgpr_spill_count: 0
    .symbol:         _ZN7rocprim17ROCPRIM_400000_NS6detail17trampoline_kernelINS0_14default_configENS1_20scan_config_selectorI3IntEEZZNS1_9scan_implILNS1_25lookback_scan_determinismE0ELb0ELb0ES3_N6thrust23THRUST_200600_302600_NS6detail15normal_iteratorINSA_10device_ptrIKS5_EEEENSC_INSD_IS5_EEEES5_NSA_4plusIvEES5_EEDaPvRmT3_T4_T5_mT6_P12ihipStream_tbENKUlT_T0_E_clISt17integral_constantIbLb0EESX_IbLb1EEEEDaST_SU_EUlST_E_NS1_11comp_targetILNS1_3genE3ELNS1_11target_archE908ELNS1_3gpuE7ELNS1_3repE0EEENS1_30default_config_static_selectorELNS0_4arch9wavefront6targetE1EEEvT1_.kd
    .uniform_work_group_size: 1
    .uses_dynamic_stack: false
    .vgpr_count:     0
    .vgpr_spill_count: 0
    .wavefront_size: 64
  - .agpr_count:     0
    .args:
      - .offset:         0
        .size:           96
        .value_kind:     by_value
    .group_segment_fixed_size: 0
    .kernarg_segment_align: 8
    .kernarg_segment_size: 96
    .language:       OpenCL C
    .language_version:
      - 2
      - 0
    .max_flat_workgroup_size: 256
    .name:           _ZN7rocprim17ROCPRIM_400000_NS6detail17trampoline_kernelINS0_14default_configENS1_20scan_config_selectorI3IntEEZZNS1_9scan_implILNS1_25lookback_scan_determinismE0ELb0ELb0ES3_N6thrust23THRUST_200600_302600_NS6detail15normal_iteratorINSA_10device_ptrIKS5_EEEENSC_INSD_IS5_EEEES5_NSA_4plusIvEES5_EEDaPvRmT3_T4_T5_mT6_P12ihipStream_tbENKUlT_T0_E_clISt17integral_constantIbLb0EESX_IbLb1EEEEDaST_SU_EUlST_E_NS1_11comp_targetILNS1_3genE2ELNS1_11target_archE906ELNS1_3gpuE6ELNS1_3repE0EEENS1_30default_config_static_selectorELNS0_4arch9wavefront6targetE1EEEvT1_
    .private_segment_fixed_size: 0
    .sgpr_count:     4
    .sgpr_spill_count: 0
    .symbol:         _ZN7rocprim17ROCPRIM_400000_NS6detail17trampoline_kernelINS0_14default_configENS1_20scan_config_selectorI3IntEEZZNS1_9scan_implILNS1_25lookback_scan_determinismE0ELb0ELb0ES3_N6thrust23THRUST_200600_302600_NS6detail15normal_iteratorINSA_10device_ptrIKS5_EEEENSC_INSD_IS5_EEEES5_NSA_4plusIvEES5_EEDaPvRmT3_T4_T5_mT6_P12ihipStream_tbENKUlT_T0_E_clISt17integral_constantIbLb0EESX_IbLb1EEEEDaST_SU_EUlST_E_NS1_11comp_targetILNS1_3genE2ELNS1_11target_archE906ELNS1_3gpuE6ELNS1_3repE0EEENS1_30default_config_static_selectorELNS0_4arch9wavefront6targetE1EEEvT1_.kd
    .uniform_work_group_size: 1
    .uses_dynamic_stack: false
    .vgpr_count:     0
    .vgpr_spill_count: 0
    .wavefront_size: 64
  - .agpr_count:     0
    .args:
      - .offset:         0
        .size:           96
        .value_kind:     by_value
    .group_segment_fixed_size: 0
    .kernarg_segment_align: 8
    .kernarg_segment_size: 96
    .language:       OpenCL C
    .language_version:
      - 2
      - 0
    .max_flat_workgroup_size: 256
    .name:           _ZN7rocprim17ROCPRIM_400000_NS6detail17trampoline_kernelINS0_14default_configENS1_20scan_config_selectorI3IntEEZZNS1_9scan_implILNS1_25lookback_scan_determinismE0ELb0ELb0ES3_N6thrust23THRUST_200600_302600_NS6detail15normal_iteratorINSA_10device_ptrIKS5_EEEENSC_INSD_IS5_EEEES5_NSA_4plusIvEES5_EEDaPvRmT3_T4_T5_mT6_P12ihipStream_tbENKUlT_T0_E_clISt17integral_constantIbLb0EESX_IbLb1EEEEDaST_SU_EUlST_E_NS1_11comp_targetILNS1_3genE10ELNS1_11target_archE1201ELNS1_3gpuE5ELNS1_3repE0EEENS1_30default_config_static_selectorELNS0_4arch9wavefront6targetE1EEEvT1_
    .private_segment_fixed_size: 0
    .sgpr_count:     4
    .sgpr_spill_count: 0
    .symbol:         _ZN7rocprim17ROCPRIM_400000_NS6detail17trampoline_kernelINS0_14default_configENS1_20scan_config_selectorI3IntEEZZNS1_9scan_implILNS1_25lookback_scan_determinismE0ELb0ELb0ES3_N6thrust23THRUST_200600_302600_NS6detail15normal_iteratorINSA_10device_ptrIKS5_EEEENSC_INSD_IS5_EEEES5_NSA_4plusIvEES5_EEDaPvRmT3_T4_T5_mT6_P12ihipStream_tbENKUlT_T0_E_clISt17integral_constantIbLb0EESX_IbLb1EEEEDaST_SU_EUlST_E_NS1_11comp_targetILNS1_3genE10ELNS1_11target_archE1201ELNS1_3gpuE5ELNS1_3repE0EEENS1_30default_config_static_selectorELNS0_4arch9wavefront6targetE1EEEvT1_.kd
    .uniform_work_group_size: 1
    .uses_dynamic_stack: false
    .vgpr_count:     0
    .vgpr_spill_count: 0
    .wavefront_size: 64
  - .agpr_count:     0
    .args:
      - .offset:         0
        .size:           96
        .value_kind:     by_value
    .group_segment_fixed_size: 0
    .kernarg_segment_align: 8
    .kernarg_segment_size: 96
    .language:       OpenCL C
    .language_version:
      - 2
      - 0
    .max_flat_workgroup_size: 256
    .name:           _ZN7rocprim17ROCPRIM_400000_NS6detail17trampoline_kernelINS0_14default_configENS1_20scan_config_selectorI3IntEEZZNS1_9scan_implILNS1_25lookback_scan_determinismE0ELb0ELb0ES3_N6thrust23THRUST_200600_302600_NS6detail15normal_iteratorINSA_10device_ptrIKS5_EEEENSC_INSD_IS5_EEEES5_NSA_4plusIvEES5_EEDaPvRmT3_T4_T5_mT6_P12ihipStream_tbENKUlT_T0_E_clISt17integral_constantIbLb0EESX_IbLb1EEEEDaST_SU_EUlST_E_NS1_11comp_targetILNS1_3genE10ELNS1_11target_archE1200ELNS1_3gpuE4ELNS1_3repE0EEENS1_30default_config_static_selectorELNS0_4arch9wavefront6targetE1EEEvT1_
    .private_segment_fixed_size: 0
    .sgpr_count:     4
    .sgpr_spill_count: 0
    .symbol:         _ZN7rocprim17ROCPRIM_400000_NS6detail17trampoline_kernelINS0_14default_configENS1_20scan_config_selectorI3IntEEZZNS1_9scan_implILNS1_25lookback_scan_determinismE0ELb0ELb0ES3_N6thrust23THRUST_200600_302600_NS6detail15normal_iteratorINSA_10device_ptrIKS5_EEEENSC_INSD_IS5_EEEES5_NSA_4plusIvEES5_EEDaPvRmT3_T4_T5_mT6_P12ihipStream_tbENKUlT_T0_E_clISt17integral_constantIbLb0EESX_IbLb1EEEEDaST_SU_EUlST_E_NS1_11comp_targetILNS1_3genE10ELNS1_11target_archE1200ELNS1_3gpuE4ELNS1_3repE0EEENS1_30default_config_static_selectorELNS0_4arch9wavefront6targetE1EEEvT1_.kd
    .uniform_work_group_size: 1
    .uses_dynamic_stack: false
    .vgpr_count:     0
    .vgpr_spill_count: 0
    .wavefront_size: 64
  - .agpr_count:     0
    .args:
      - .offset:         0
        .size:           96
        .value_kind:     by_value
    .group_segment_fixed_size: 0
    .kernarg_segment_align: 8
    .kernarg_segment_size: 96
    .language:       OpenCL C
    .language_version:
      - 2
      - 0
    .max_flat_workgroup_size: 256
    .name:           _ZN7rocprim17ROCPRIM_400000_NS6detail17trampoline_kernelINS0_14default_configENS1_20scan_config_selectorI3IntEEZZNS1_9scan_implILNS1_25lookback_scan_determinismE0ELb0ELb0ES3_N6thrust23THRUST_200600_302600_NS6detail15normal_iteratorINSA_10device_ptrIKS5_EEEENSC_INSD_IS5_EEEES5_NSA_4plusIvEES5_EEDaPvRmT3_T4_T5_mT6_P12ihipStream_tbENKUlT_T0_E_clISt17integral_constantIbLb0EESX_IbLb1EEEEDaST_SU_EUlST_E_NS1_11comp_targetILNS1_3genE9ELNS1_11target_archE1100ELNS1_3gpuE3ELNS1_3repE0EEENS1_30default_config_static_selectorELNS0_4arch9wavefront6targetE1EEEvT1_
    .private_segment_fixed_size: 0
    .sgpr_count:     4
    .sgpr_spill_count: 0
    .symbol:         _ZN7rocprim17ROCPRIM_400000_NS6detail17trampoline_kernelINS0_14default_configENS1_20scan_config_selectorI3IntEEZZNS1_9scan_implILNS1_25lookback_scan_determinismE0ELb0ELb0ES3_N6thrust23THRUST_200600_302600_NS6detail15normal_iteratorINSA_10device_ptrIKS5_EEEENSC_INSD_IS5_EEEES5_NSA_4plusIvEES5_EEDaPvRmT3_T4_T5_mT6_P12ihipStream_tbENKUlT_T0_E_clISt17integral_constantIbLb0EESX_IbLb1EEEEDaST_SU_EUlST_E_NS1_11comp_targetILNS1_3genE9ELNS1_11target_archE1100ELNS1_3gpuE3ELNS1_3repE0EEENS1_30default_config_static_selectorELNS0_4arch9wavefront6targetE1EEEvT1_.kd
    .uniform_work_group_size: 1
    .uses_dynamic_stack: false
    .vgpr_count:     0
    .vgpr_spill_count: 0
    .wavefront_size: 64
  - .agpr_count:     0
    .args:
      - .offset:         0
        .size:           96
        .value_kind:     by_value
    .group_segment_fixed_size: 0
    .kernarg_segment_align: 8
    .kernarg_segment_size: 96
    .language:       OpenCL C
    .language_version:
      - 2
      - 0
    .max_flat_workgroup_size: 64
    .name:           _ZN7rocprim17ROCPRIM_400000_NS6detail17trampoline_kernelINS0_14default_configENS1_20scan_config_selectorI3IntEEZZNS1_9scan_implILNS1_25lookback_scan_determinismE0ELb0ELb0ES3_N6thrust23THRUST_200600_302600_NS6detail15normal_iteratorINSA_10device_ptrIKS5_EEEENSC_INSD_IS5_EEEES5_NSA_4plusIvEES5_EEDaPvRmT3_T4_T5_mT6_P12ihipStream_tbENKUlT_T0_E_clISt17integral_constantIbLb0EESX_IbLb1EEEEDaST_SU_EUlST_E_NS1_11comp_targetILNS1_3genE8ELNS1_11target_archE1030ELNS1_3gpuE2ELNS1_3repE0EEENS1_30default_config_static_selectorELNS0_4arch9wavefront6targetE1EEEvT1_
    .private_segment_fixed_size: 0
    .sgpr_count:     4
    .sgpr_spill_count: 0
    .symbol:         _ZN7rocprim17ROCPRIM_400000_NS6detail17trampoline_kernelINS0_14default_configENS1_20scan_config_selectorI3IntEEZZNS1_9scan_implILNS1_25lookback_scan_determinismE0ELb0ELb0ES3_N6thrust23THRUST_200600_302600_NS6detail15normal_iteratorINSA_10device_ptrIKS5_EEEENSC_INSD_IS5_EEEES5_NSA_4plusIvEES5_EEDaPvRmT3_T4_T5_mT6_P12ihipStream_tbENKUlT_T0_E_clISt17integral_constantIbLb0EESX_IbLb1EEEEDaST_SU_EUlST_E_NS1_11comp_targetILNS1_3genE8ELNS1_11target_archE1030ELNS1_3gpuE2ELNS1_3repE0EEENS1_30default_config_static_selectorELNS0_4arch9wavefront6targetE1EEEvT1_.kd
    .uniform_work_group_size: 1
    .uses_dynamic_stack: false
    .vgpr_count:     0
    .vgpr_spill_count: 0
    .wavefront_size: 64
  - .agpr_count:     0
    .args:
      - .offset:         0
        .size:           32
        .value_kind:     by_value
    .group_segment_fixed_size: 0
    .kernarg_segment_align: 8
    .kernarg_segment_size: 32
    .language:       OpenCL C
    .language_version:
      - 2
      - 0
    .max_flat_workgroup_size: 256
    .name:           _ZN7rocprim17ROCPRIM_400000_NS6detail17trampoline_kernelINS0_14default_configENS1_20scan_config_selectorI3IntEEZZNS1_9scan_implILNS1_25lookback_scan_determinismE0ELb0ELb0ES3_N6thrust23THRUST_200600_302600_NS6detail15normal_iteratorINSA_10device_ptrIKS5_EEEENSC_INSD_IS5_EEEES5_NSA_4plusIvEES5_EEDaPvRmT3_T4_T5_mT6_P12ihipStream_tbENKUlT_T0_E_clISt17integral_constantIbLb0EESX_IbLb1EEEEDaST_SU_EUlST_E0_NS1_11comp_targetILNS1_3genE0ELNS1_11target_archE4294967295ELNS1_3gpuE0ELNS1_3repE0EEENS1_30default_config_static_selectorELNS0_4arch9wavefront6targetE1EEEvT1_
    .private_segment_fixed_size: 0
    .sgpr_count:     4
    .sgpr_spill_count: 0
    .symbol:         _ZN7rocprim17ROCPRIM_400000_NS6detail17trampoline_kernelINS0_14default_configENS1_20scan_config_selectorI3IntEEZZNS1_9scan_implILNS1_25lookback_scan_determinismE0ELb0ELb0ES3_N6thrust23THRUST_200600_302600_NS6detail15normal_iteratorINSA_10device_ptrIKS5_EEEENSC_INSD_IS5_EEEES5_NSA_4plusIvEES5_EEDaPvRmT3_T4_T5_mT6_P12ihipStream_tbENKUlT_T0_E_clISt17integral_constantIbLb0EESX_IbLb1EEEEDaST_SU_EUlST_E0_NS1_11comp_targetILNS1_3genE0ELNS1_11target_archE4294967295ELNS1_3gpuE0ELNS1_3repE0EEENS1_30default_config_static_selectorELNS0_4arch9wavefront6targetE1EEEvT1_.kd
    .uniform_work_group_size: 1
    .uses_dynamic_stack: false
    .vgpr_count:     0
    .vgpr_spill_count: 0
    .wavefront_size: 64
  - .agpr_count:     0
    .args:
      - .offset:         0
        .size:           32
        .value_kind:     by_value
    .group_segment_fixed_size: 0
    .kernarg_segment_align: 8
    .kernarg_segment_size: 32
    .language:       OpenCL C
    .language_version:
      - 2
      - 0
    .max_flat_workgroup_size: 256
    .name:           _ZN7rocprim17ROCPRIM_400000_NS6detail17trampoline_kernelINS0_14default_configENS1_20scan_config_selectorI3IntEEZZNS1_9scan_implILNS1_25lookback_scan_determinismE0ELb0ELb0ES3_N6thrust23THRUST_200600_302600_NS6detail15normal_iteratorINSA_10device_ptrIKS5_EEEENSC_INSD_IS5_EEEES5_NSA_4plusIvEES5_EEDaPvRmT3_T4_T5_mT6_P12ihipStream_tbENKUlT_T0_E_clISt17integral_constantIbLb0EESX_IbLb1EEEEDaST_SU_EUlST_E0_NS1_11comp_targetILNS1_3genE5ELNS1_11target_archE942ELNS1_3gpuE9ELNS1_3repE0EEENS1_30default_config_static_selectorELNS0_4arch9wavefront6targetE1EEEvT1_
    .private_segment_fixed_size: 0
    .sgpr_count:     4
    .sgpr_spill_count: 0
    .symbol:         _ZN7rocprim17ROCPRIM_400000_NS6detail17trampoline_kernelINS0_14default_configENS1_20scan_config_selectorI3IntEEZZNS1_9scan_implILNS1_25lookback_scan_determinismE0ELb0ELb0ES3_N6thrust23THRUST_200600_302600_NS6detail15normal_iteratorINSA_10device_ptrIKS5_EEEENSC_INSD_IS5_EEEES5_NSA_4plusIvEES5_EEDaPvRmT3_T4_T5_mT6_P12ihipStream_tbENKUlT_T0_E_clISt17integral_constantIbLb0EESX_IbLb1EEEEDaST_SU_EUlST_E0_NS1_11comp_targetILNS1_3genE5ELNS1_11target_archE942ELNS1_3gpuE9ELNS1_3repE0EEENS1_30default_config_static_selectorELNS0_4arch9wavefront6targetE1EEEvT1_.kd
    .uniform_work_group_size: 1
    .uses_dynamic_stack: false
    .vgpr_count:     0
    .vgpr_spill_count: 0
    .wavefront_size: 64
  - .agpr_count:     0
    .args:
      - .offset:         0
        .size:           32
        .value_kind:     by_value
    .group_segment_fixed_size: 5120
    .kernarg_segment_align: 8
    .kernarg_segment_size: 32
    .language:       OpenCL C
    .language_version:
      - 2
      - 0
    .max_flat_workgroup_size: 128
    .name:           _ZN7rocprim17ROCPRIM_400000_NS6detail17trampoline_kernelINS0_14default_configENS1_20scan_config_selectorI3IntEEZZNS1_9scan_implILNS1_25lookback_scan_determinismE0ELb0ELb0ES3_N6thrust23THRUST_200600_302600_NS6detail15normal_iteratorINSA_10device_ptrIKS5_EEEENSC_INSD_IS5_EEEES5_NSA_4plusIvEES5_EEDaPvRmT3_T4_T5_mT6_P12ihipStream_tbENKUlT_T0_E_clISt17integral_constantIbLb0EESX_IbLb1EEEEDaST_SU_EUlST_E0_NS1_11comp_targetILNS1_3genE4ELNS1_11target_archE910ELNS1_3gpuE8ELNS1_3repE0EEENS1_30default_config_static_selectorELNS0_4arch9wavefront6targetE1EEEvT1_
    .private_segment_fixed_size: 0
    .sgpr_count:     28
    .sgpr_spill_count: 0
    .symbol:         _ZN7rocprim17ROCPRIM_400000_NS6detail17trampoline_kernelINS0_14default_configENS1_20scan_config_selectorI3IntEEZZNS1_9scan_implILNS1_25lookback_scan_determinismE0ELb0ELb0ES3_N6thrust23THRUST_200600_302600_NS6detail15normal_iteratorINSA_10device_ptrIKS5_EEEENSC_INSD_IS5_EEEES5_NSA_4plusIvEES5_EEDaPvRmT3_T4_T5_mT6_P12ihipStream_tbENKUlT_T0_E_clISt17integral_constantIbLb0EESX_IbLb1EEEEDaST_SU_EUlST_E0_NS1_11comp_targetILNS1_3genE4ELNS1_11target_archE910ELNS1_3gpuE8ELNS1_3repE0EEENS1_30default_config_static_selectorELNS0_4arch9wavefront6targetE1EEEvT1_.kd
    .uniform_work_group_size: 1
    .uses_dynamic_stack: false
    .vgpr_count:     27
    .vgpr_spill_count: 0
    .wavefront_size: 64
  - .agpr_count:     0
    .args:
      - .offset:         0
        .size:           32
        .value_kind:     by_value
    .group_segment_fixed_size: 0
    .kernarg_segment_align: 8
    .kernarg_segment_size: 32
    .language:       OpenCL C
    .language_version:
      - 2
      - 0
    .max_flat_workgroup_size: 256
    .name:           _ZN7rocprim17ROCPRIM_400000_NS6detail17trampoline_kernelINS0_14default_configENS1_20scan_config_selectorI3IntEEZZNS1_9scan_implILNS1_25lookback_scan_determinismE0ELb0ELb0ES3_N6thrust23THRUST_200600_302600_NS6detail15normal_iteratorINSA_10device_ptrIKS5_EEEENSC_INSD_IS5_EEEES5_NSA_4plusIvEES5_EEDaPvRmT3_T4_T5_mT6_P12ihipStream_tbENKUlT_T0_E_clISt17integral_constantIbLb0EESX_IbLb1EEEEDaST_SU_EUlST_E0_NS1_11comp_targetILNS1_3genE3ELNS1_11target_archE908ELNS1_3gpuE7ELNS1_3repE0EEENS1_30default_config_static_selectorELNS0_4arch9wavefront6targetE1EEEvT1_
    .private_segment_fixed_size: 0
    .sgpr_count:     4
    .sgpr_spill_count: 0
    .symbol:         _ZN7rocprim17ROCPRIM_400000_NS6detail17trampoline_kernelINS0_14default_configENS1_20scan_config_selectorI3IntEEZZNS1_9scan_implILNS1_25lookback_scan_determinismE0ELb0ELb0ES3_N6thrust23THRUST_200600_302600_NS6detail15normal_iteratorINSA_10device_ptrIKS5_EEEENSC_INSD_IS5_EEEES5_NSA_4plusIvEES5_EEDaPvRmT3_T4_T5_mT6_P12ihipStream_tbENKUlT_T0_E_clISt17integral_constantIbLb0EESX_IbLb1EEEEDaST_SU_EUlST_E0_NS1_11comp_targetILNS1_3genE3ELNS1_11target_archE908ELNS1_3gpuE7ELNS1_3repE0EEENS1_30default_config_static_selectorELNS0_4arch9wavefront6targetE1EEEvT1_.kd
    .uniform_work_group_size: 1
    .uses_dynamic_stack: false
    .vgpr_count:     0
    .vgpr_spill_count: 0
    .wavefront_size: 64
  - .agpr_count:     0
    .args:
      - .offset:         0
        .size:           32
        .value_kind:     by_value
    .group_segment_fixed_size: 0
    .kernarg_segment_align: 8
    .kernarg_segment_size: 32
    .language:       OpenCL C
    .language_version:
      - 2
      - 0
    .max_flat_workgroup_size: 256
    .name:           _ZN7rocprim17ROCPRIM_400000_NS6detail17trampoline_kernelINS0_14default_configENS1_20scan_config_selectorI3IntEEZZNS1_9scan_implILNS1_25lookback_scan_determinismE0ELb0ELb0ES3_N6thrust23THRUST_200600_302600_NS6detail15normal_iteratorINSA_10device_ptrIKS5_EEEENSC_INSD_IS5_EEEES5_NSA_4plusIvEES5_EEDaPvRmT3_T4_T5_mT6_P12ihipStream_tbENKUlT_T0_E_clISt17integral_constantIbLb0EESX_IbLb1EEEEDaST_SU_EUlST_E0_NS1_11comp_targetILNS1_3genE2ELNS1_11target_archE906ELNS1_3gpuE6ELNS1_3repE0EEENS1_30default_config_static_selectorELNS0_4arch9wavefront6targetE1EEEvT1_
    .private_segment_fixed_size: 0
    .sgpr_count:     4
    .sgpr_spill_count: 0
    .symbol:         _ZN7rocprim17ROCPRIM_400000_NS6detail17trampoline_kernelINS0_14default_configENS1_20scan_config_selectorI3IntEEZZNS1_9scan_implILNS1_25lookback_scan_determinismE0ELb0ELb0ES3_N6thrust23THRUST_200600_302600_NS6detail15normal_iteratorINSA_10device_ptrIKS5_EEEENSC_INSD_IS5_EEEES5_NSA_4plusIvEES5_EEDaPvRmT3_T4_T5_mT6_P12ihipStream_tbENKUlT_T0_E_clISt17integral_constantIbLb0EESX_IbLb1EEEEDaST_SU_EUlST_E0_NS1_11comp_targetILNS1_3genE2ELNS1_11target_archE906ELNS1_3gpuE6ELNS1_3repE0EEENS1_30default_config_static_selectorELNS0_4arch9wavefront6targetE1EEEvT1_.kd
    .uniform_work_group_size: 1
    .uses_dynamic_stack: false
    .vgpr_count:     0
    .vgpr_spill_count: 0
    .wavefront_size: 64
  - .agpr_count:     0
    .args:
      - .offset:         0
        .size:           32
        .value_kind:     by_value
    .group_segment_fixed_size: 0
    .kernarg_segment_align: 8
    .kernarg_segment_size: 32
    .language:       OpenCL C
    .language_version:
      - 2
      - 0
    .max_flat_workgroup_size: 256
    .name:           _ZN7rocprim17ROCPRIM_400000_NS6detail17trampoline_kernelINS0_14default_configENS1_20scan_config_selectorI3IntEEZZNS1_9scan_implILNS1_25lookback_scan_determinismE0ELb0ELb0ES3_N6thrust23THRUST_200600_302600_NS6detail15normal_iteratorINSA_10device_ptrIKS5_EEEENSC_INSD_IS5_EEEES5_NSA_4plusIvEES5_EEDaPvRmT3_T4_T5_mT6_P12ihipStream_tbENKUlT_T0_E_clISt17integral_constantIbLb0EESX_IbLb1EEEEDaST_SU_EUlST_E0_NS1_11comp_targetILNS1_3genE10ELNS1_11target_archE1201ELNS1_3gpuE5ELNS1_3repE0EEENS1_30default_config_static_selectorELNS0_4arch9wavefront6targetE1EEEvT1_
    .private_segment_fixed_size: 0
    .sgpr_count:     4
    .sgpr_spill_count: 0
    .symbol:         _ZN7rocprim17ROCPRIM_400000_NS6detail17trampoline_kernelINS0_14default_configENS1_20scan_config_selectorI3IntEEZZNS1_9scan_implILNS1_25lookback_scan_determinismE0ELb0ELb0ES3_N6thrust23THRUST_200600_302600_NS6detail15normal_iteratorINSA_10device_ptrIKS5_EEEENSC_INSD_IS5_EEEES5_NSA_4plusIvEES5_EEDaPvRmT3_T4_T5_mT6_P12ihipStream_tbENKUlT_T0_E_clISt17integral_constantIbLb0EESX_IbLb1EEEEDaST_SU_EUlST_E0_NS1_11comp_targetILNS1_3genE10ELNS1_11target_archE1201ELNS1_3gpuE5ELNS1_3repE0EEENS1_30default_config_static_selectorELNS0_4arch9wavefront6targetE1EEEvT1_.kd
    .uniform_work_group_size: 1
    .uses_dynamic_stack: false
    .vgpr_count:     0
    .vgpr_spill_count: 0
    .wavefront_size: 64
  - .agpr_count:     0
    .args:
      - .offset:         0
        .size:           32
        .value_kind:     by_value
    .group_segment_fixed_size: 0
    .kernarg_segment_align: 8
    .kernarg_segment_size: 32
    .language:       OpenCL C
    .language_version:
      - 2
      - 0
    .max_flat_workgroup_size: 256
    .name:           _ZN7rocprim17ROCPRIM_400000_NS6detail17trampoline_kernelINS0_14default_configENS1_20scan_config_selectorI3IntEEZZNS1_9scan_implILNS1_25lookback_scan_determinismE0ELb0ELb0ES3_N6thrust23THRUST_200600_302600_NS6detail15normal_iteratorINSA_10device_ptrIKS5_EEEENSC_INSD_IS5_EEEES5_NSA_4plusIvEES5_EEDaPvRmT3_T4_T5_mT6_P12ihipStream_tbENKUlT_T0_E_clISt17integral_constantIbLb0EESX_IbLb1EEEEDaST_SU_EUlST_E0_NS1_11comp_targetILNS1_3genE10ELNS1_11target_archE1200ELNS1_3gpuE4ELNS1_3repE0EEENS1_30default_config_static_selectorELNS0_4arch9wavefront6targetE1EEEvT1_
    .private_segment_fixed_size: 0
    .sgpr_count:     4
    .sgpr_spill_count: 0
    .symbol:         _ZN7rocprim17ROCPRIM_400000_NS6detail17trampoline_kernelINS0_14default_configENS1_20scan_config_selectorI3IntEEZZNS1_9scan_implILNS1_25lookback_scan_determinismE0ELb0ELb0ES3_N6thrust23THRUST_200600_302600_NS6detail15normal_iteratorINSA_10device_ptrIKS5_EEEENSC_INSD_IS5_EEEES5_NSA_4plusIvEES5_EEDaPvRmT3_T4_T5_mT6_P12ihipStream_tbENKUlT_T0_E_clISt17integral_constantIbLb0EESX_IbLb1EEEEDaST_SU_EUlST_E0_NS1_11comp_targetILNS1_3genE10ELNS1_11target_archE1200ELNS1_3gpuE4ELNS1_3repE0EEENS1_30default_config_static_selectorELNS0_4arch9wavefront6targetE1EEEvT1_.kd
    .uniform_work_group_size: 1
    .uses_dynamic_stack: false
    .vgpr_count:     0
    .vgpr_spill_count: 0
    .wavefront_size: 64
  - .agpr_count:     0
    .args:
      - .offset:         0
        .size:           32
        .value_kind:     by_value
    .group_segment_fixed_size: 0
    .kernarg_segment_align: 8
    .kernarg_segment_size: 32
    .language:       OpenCL C
    .language_version:
      - 2
      - 0
    .max_flat_workgroup_size: 256
    .name:           _ZN7rocprim17ROCPRIM_400000_NS6detail17trampoline_kernelINS0_14default_configENS1_20scan_config_selectorI3IntEEZZNS1_9scan_implILNS1_25lookback_scan_determinismE0ELb0ELb0ES3_N6thrust23THRUST_200600_302600_NS6detail15normal_iteratorINSA_10device_ptrIKS5_EEEENSC_INSD_IS5_EEEES5_NSA_4plusIvEES5_EEDaPvRmT3_T4_T5_mT6_P12ihipStream_tbENKUlT_T0_E_clISt17integral_constantIbLb0EESX_IbLb1EEEEDaST_SU_EUlST_E0_NS1_11comp_targetILNS1_3genE9ELNS1_11target_archE1100ELNS1_3gpuE3ELNS1_3repE0EEENS1_30default_config_static_selectorELNS0_4arch9wavefront6targetE1EEEvT1_
    .private_segment_fixed_size: 0
    .sgpr_count:     4
    .sgpr_spill_count: 0
    .symbol:         _ZN7rocprim17ROCPRIM_400000_NS6detail17trampoline_kernelINS0_14default_configENS1_20scan_config_selectorI3IntEEZZNS1_9scan_implILNS1_25lookback_scan_determinismE0ELb0ELb0ES3_N6thrust23THRUST_200600_302600_NS6detail15normal_iteratorINSA_10device_ptrIKS5_EEEENSC_INSD_IS5_EEEES5_NSA_4plusIvEES5_EEDaPvRmT3_T4_T5_mT6_P12ihipStream_tbENKUlT_T0_E_clISt17integral_constantIbLb0EESX_IbLb1EEEEDaST_SU_EUlST_E0_NS1_11comp_targetILNS1_3genE9ELNS1_11target_archE1100ELNS1_3gpuE3ELNS1_3repE0EEENS1_30default_config_static_selectorELNS0_4arch9wavefront6targetE1EEEvT1_.kd
    .uniform_work_group_size: 1
    .uses_dynamic_stack: false
    .vgpr_count:     0
    .vgpr_spill_count: 0
    .wavefront_size: 64
  - .agpr_count:     0
    .args:
      - .offset:         0
        .size:           32
        .value_kind:     by_value
    .group_segment_fixed_size: 0
    .kernarg_segment_align: 8
    .kernarg_segment_size: 32
    .language:       OpenCL C
    .language_version:
      - 2
      - 0
    .max_flat_workgroup_size: 64
    .name:           _ZN7rocprim17ROCPRIM_400000_NS6detail17trampoline_kernelINS0_14default_configENS1_20scan_config_selectorI3IntEEZZNS1_9scan_implILNS1_25lookback_scan_determinismE0ELb0ELb0ES3_N6thrust23THRUST_200600_302600_NS6detail15normal_iteratorINSA_10device_ptrIKS5_EEEENSC_INSD_IS5_EEEES5_NSA_4plusIvEES5_EEDaPvRmT3_T4_T5_mT6_P12ihipStream_tbENKUlT_T0_E_clISt17integral_constantIbLb0EESX_IbLb1EEEEDaST_SU_EUlST_E0_NS1_11comp_targetILNS1_3genE8ELNS1_11target_archE1030ELNS1_3gpuE2ELNS1_3repE0EEENS1_30default_config_static_selectorELNS0_4arch9wavefront6targetE1EEEvT1_
    .private_segment_fixed_size: 0
    .sgpr_count:     4
    .sgpr_spill_count: 0
    .symbol:         _ZN7rocprim17ROCPRIM_400000_NS6detail17trampoline_kernelINS0_14default_configENS1_20scan_config_selectorI3IntEEZZNS1_9scan_implILNS1_25lookback_scan_determinismE0ELb0ELb0ES3_N6thrust23THRUST_200600_302600_NS6detail15normal_iteratorINSA_10device_ptrIKS5_EEEENSC_INSD_IS5_EEEES5_NSA_4plusIvEES5_EEDaPvRmT3_T4_T5_mT6_P12ihipStream_tbENKUlT_T0_E_clISt17integral_constantIbLb0EESX_IbLb1EEEEDaST_SU_EUlST_E0_NS1_11comp_targetILNS1_3genE8ELNS1_11target_archE1030ELNS1_3gpuE2ELNS1_3repE0EEENS1_30default_config_static_selectorELNS0_4arch9wavefront6targetE1EEEvT1_.kd
    .uniform_work_group_size: 1
    .uses_dynamic_stack: false
    .vgpr_count:     0
    .vgpr_spill_count: 0
    .wavefront_size: 64
  - .agpr_count:     0
    .args:
      - .offset:         0
        .size:           104
        .value_kind:     by_value
    .group_segment_fixed_size: 0
    .kernarg_segment_align: 8
    .kernarg_segment_size: 104
    .language:       OpenCL C
    .language_version:
      - 2
      - 0
    .max_flat_workgroup_size: 256
    .name:           _ZN7rocprim17ROCPRIM_400000_NS6detail17trampoline_kernelINS0_14default_configENS1_20scan_config_selectorIiEEZZNS1_9scan_implILNS1_25lookback_scan_determinismE0ELb0ELb0ES3_N6thrust23THRUST_200600_302600_NS6detail15normal_iteratorINS9_10device_ptrIiEEEESE_i19const_ref_plus_mod3IiEiEEDaPvRmT3_T4_T5_mT6_P12ihipStream_tbENKUlT_T0_E_clISt17integral_constantIbLb0EESU_EEDaSP_SQ_EUlSP_E_NS1_11comp_targetILNS1_3genE0ELNS1_11target_archE4294967295ELNS1_3gpuE0ELNS1_3repE0EEENS1_30default_config_static_selectorELNS0_4arch9wavefront6targetE1EEEvT1_
    .private_segment_fixed_size: 0
    .sgpr_count:     4
    .sgpr_spill_count: 0
    .symbol:         _ZN7rocprim17ROCPRIM_400000_NS6detail17trampoline_kernelINS0_14default_configENS1_20scan_config_selectorIiEEZZNS1_9scan_implILNS1_25lookback_scan_determinismE0ELb0ELb0ES3_N6thrust23THRUST_200600_302600_NS6detail15normal_iteratorINS9_10device_ptrIiEEEESE_i19const_ref_plus_mod3IiEiEEDaPvRmT3_T4_T5_mT6_P12ihipStream_tbENKUlT_T0_E_clISt17integral_constantIbLb0EESU_EEDaSP_SQ_EUlSP_E_NS1_11comp_targetILNS1_3genE0ELNS1_11target_archE4294967295ELNS1_3gpuE0ELNS1_3repE0EEENS1_30default_config_static_selectorELNS0_4arch9wavefront6targetE1EEEvT1_.kd
    .uniform_work_group_size: 1
    .uses_dynamic_stack: false
    .vgpr_count:     0
    .vgpr_spill_count: 0
    .wavefront_size: 64
  - .agpr_count:     0
    .args:
      - .offset:         0
        .size:           104
        .value_kind:     by_value
    .group_segment_fixed_size: 0
    .kernarg_segment_align: 8
    .kernarg_segment_size: 104
    .language:       OpenCL C
    .language_version:
      - 2
      - 0
    .max_flat_workgroup_size: 256
    .name:           _ZN7rocprim17ROCPRIM_400000_NS6detail17trampoline_kernelINS0_14default_configENS1_20scan_config_selectorIiEEZZNS1_9scan_implILNS1_25lookback_scan_determinismE0ELb0ELb0ES3_N6thrust23THRUST_200600_302600_NS6detail15normal_iteratorINS9_10device_ptrIiEEEESE_i19const_ref_plus_mod3IiEiEEDaPvRmT3_T4_T5_mT6_P12ihipStream_tbENKUlT_T0_E_clISt17integral_constantIbLb0EESU_EEDaSP_SQ_EUlSP_E_NS1_11comp_targetILNS1_3genE5ELNS1_11target_archE942ELNS1_3gpuE9ELNS1_3repE0EEENS1_30default_config_static_selectorELNS0_4arch9wavefront6targetE1EEEvT1_
    .private_segment_fixed_size: 0
    .sgpr_count:     4
    .sgpr_spill_count: 0
    .symbol:         _ZN7rocprim17ROCPRIM_400000_NS6detail17trampoline_kernelINS0_14default_configENS1_20scan_config_selectorIiEEZZNS1_9scan_implILNS1_25lookback_scan_determinismE0ELb0ELb0ES3_N6thrust23THRUST_200600_302600_NS6detail15normal_iteratorINS9_10device_ptrIiEEEESE_i19const_ref_plus_mod3IiEiEEDaPvRmT3_T4_T5_mT6_P12ihipStream_tbENKUlT_T0_E_clISt17integral_constantIbLb0EESU_EEDaSP_SQ_EUlSP_E_NS1_11comp_targetILNS1_3genE5ELNS1_11target_archE942ELNS1_3gpuE9ELNS1_3repE0EEENS1_30default_config_static_selectorELNS0_4arch9wavefront6targetE1EEEvT1_.kd
    .uniform_work_group_size: 1
    .uses_dynamic_stack: false
    .vgpr_count:     0
    .vgpr_spill_count: 0
    .wavefront_size: 64
  - .agpr_count:     0
    .args:
      - .offset:         0
        .size:           104
        .value_kind:     by_value
    .group_segment_fixed_size: 5120
    .kernarg_segment_align: 8
    .kernarg_segment_size: 104
    .language:       OpenCL C
    .language_version:
      - 2
      - 0
    .max_flat_workgroup_size: 128
    .name:           _ZN7rocprim17ROCPRIM_400000_NS6detail17trampoline_kernelINS0_14default_configENS1_20scan_config_selectorIiEEZZNS1_9scan_implILNS1_25lookback_scan_determinismE0ELb0ELb0ES3_N6thrust23THRUST_200600_302600_NS6detail15normal_iteratorINS9_10device_ptrIiEEEESE_i19const_ref_plus_mod3IiEiEEDaPvRmT3_T4_T5_mT6_P12ihipStream_tbENKUlT_T0_E_clISt17integral_constantIbLb0EESU_EEDaSP_SQ_EUlSP_E_NS1_11comp_targetILNS1_3genE4ELNS1_11target_archE910ELNS1_3gpuE8ELNS1_3repE0EEENS1_30default_config_static_selectorELNS0_4arch9wavefront6targetE1EEEvT1_
    .private_segment_fixed_size: 0
    .sgpr_count:     44
    .sgpr_spill_count: 0
    .symbol:         _ZN7rocprim17ROCPRIM_400000_NS6detail17trampoline_kernelINS0_14default_configENS1_20scan_config_selectorIiEEZZNS1_9scan_implILNS1_25lookback_scan_determinismE0ELb0ELb0ES3_N6thrust23THRUST_200600_302600_NS6detail15normal_iteratorINS9_10device_ptrIiEEEESE_i19const_ref_plus_mod3IiEiEEDaPvRmT3_T4_T5_mT6_P12ihipStream_tbENKUlT_T0_E_clISt17integral_constantIbLb0EESU_EEDaSP_SQ_EUlSP_E_NS1_11comp_targetILNS1_3genE4ELNS1_11target_archE910ELNS1_3gpuE8ELNS1_3repE0EEENS1_30default_config_static_selectorELNS0_4arch9wavefront6targetE1EEEvT1_.kd
    .uniform_work_group_size: 1
    .uses_dynamic_stack: false
    .vgpr_count:     42
    .vgpr_spill_count: 0
    .wavefront_size: 64
  - .agpr_count:     0
    .args:
      - .offset:         0
        .size:           104
        .value_kind:     by_value
    .group_segment_fixed_size: 0
    .kernarg_segment_align: 8
    .kernarg_segment_size: 104
    .language:       OpenCL C
    .language_version:
      - 2
      - 0
    .max_flat_workgroup_size: 256
    .name:           _ZN7rocprim17ROCPRIM_400000_NS6detail17trampoline_kernelINS0_14default_configENS1_20scan_config_selectorIiEEZZNS1_9scan_implILNS1_25lookback_scan_determinismE0ELb0ELb0ES3_N6thrust23THRUST_200600_302600_NS6detail15normal_iteratorINS9_10device_ptrIiEEEESE_i19const_ref_plus_mod3IiEiEEDaPvRmT3_T4_T5_mT6_P12ihipStream_tbENKUlT_T0_E_clISt17integral_constantIbLb0EESU_EEDaSP_SQ_EUlSP_E_NS1_11comp_targetILNS1_3genE3ELNS1_11target_archE908ELNS1_3gpuE7ELNS1_3repE0EEENS1_30default_config_static_selectorELNS0_4arch9wavefront6targetE1EEEvT1_
    .private_segment_fixed_size: 0
    .sgpr_count:     4
    .sgpr_spill_count: 0
    .symbol:         _ZN7rocprim17ROCPRIM_400000_NS6detail17trampoline_kernelINS0_14default_configENS1_20scan_config_selectorIiEEZZNS1_9scan_implILNS1_25lookback_scan_determinismE0ELb0ELb0ES3_N6thrust23THRUST_200600_302600_NS6detail15normal_iteratorINS9_10device_ptrIiEEEESE_i19const_ref_plus_mod3IiEiEEDaPvRmT3_T4_T5_mT6_P12ihipStream_tbENKUlT_T0_E_clISt17integral_constantIbLb0EESU_EEDaSP_SQ_EUlSP_E_NS1_11comp_targetILNS1_3genE3ELNS1_11target_archE908ELNS1_3gpuE7ELNS1_3repE0EEENS1_30default_config_static_selectorELNS0_4arch9wavefront6targetE1EEEvT1_.kd
    .uniform_work_group_size: 1
    .uses_dynamic_stack: false
    .vgpr_count:     0
    .vgpr_spill_count: 0
    .wavefront_size: 64
  - .agpr_count:     0
    .args:
      - .offset:         0
        .size:           104
        .value_kind:     by_value
    .group_segment_fixed_size: 0
    .kernarg_segment_align: 8
    .kernarg_segment_size: 104
    .language:       OpenCL C
    .language_version:
      - 2
      - 0
    .max_flat_workgroup_size: 256
    .name:           _ZN7rocprim17ROCPRIM_400000_NS6detail17trampoline_kernelINS0_14default_configENS1_20scan_config_selectorIiEEZZNS1_9scan_implILNS1_25lookback_scan_determinismE0ELb0ELb0ES3_N6thrust23THRUST_200600_302600_NS6detail15normal_iteratorINS9_10device_ptrIiEEEESE_i19const_ref_plus_mod3IiEiEEDaPvRmT3_T4_T5_mT6_P12ihipStream_tbENKUlT_T0_E_clISt17integral_constantIbLb0EESU_EEDaSP_SQ_EUlSP_E_NS1_11comp_targetILNS1_3genE2ELNS1_11target_archE906ELNS1_3gpuE6ELNS1_3repE0EEENS1_30default_config_static_selectorELNS0_4arch9wavefront6targetE1EEEvT1_
    .private_segment_fixed_size: 0
    .sgpr_count:     4
    .sgpr_spill_count: 0
    .symbol:         _ZN7rocprim17ROCPRIM_400000_NS6detail17trampoline_kernelINS0_14default_configENS1_20scan_config_selectorIiEEZZNS1_9scan_implILNS1_25lookback_scan_determinismE0ELb0ELb0ES3_N6thrust23THRUST_200600_302600_NS6detail15normal_iteratorINS9_10device_ptrIiEEEESE_i19const_ref_plus_mod3IiEiEEDaPvRmT3_T4_T5_mT6_P12ihipStream_tbENKUlT_T0_E_clISt17integral_constantIbLb0EESU_EEDaSP_SQ_EUlSP_E_NS1_11comp_targetILNS1_3genE2ELNS1_11target_archE906ELNS1_3gpuE6ELNS1_3repE0EEENS1_30default_config_static_selectorELNS0_4arch9wavefront6targetE1EEEvT1_.kd
    .uniform_work_group_size: 1
    .uses_dynamic_stack: false
    .vgpr_count:     0
    .vgpr_spill_count: 0
    .wavefront_size: 64
  - .agpr_count:     0
    .args:
      - .offset:         0
        .size:           104
        .value_kind:     by_value
    .group_segment_fixed_size: 0
    .kernarg_segment_align: 8
    .kernarg_segment_size: 104
    .language:       OpenCL C
    .language_version:
      - 2
      - 0
    .max_flat_workgroup_size: 256
    .name:           _ZN7rocprim17ROCPRIM_400000_NS6detail17trampoline_kernelINS0_14default_configENS1_20scan_config_selectorIiEEZZNS1_9scan_implILNS1_25lookback_scan_determinismE0ELb0ELb0ES3_N6thrust23THRUST_200600_302600_NS6detail15normal_iteratorINS9_10device_ptrIiEEEESE_i19const_ref_plus_mod3IiEiEEDaPvRmT3_T4_T5_mT6_P12ihipStream_tbENKUlT_T0_E_clISt17integral_constantIbLb0EESU_EEDaSP_SQ_EUlSP_E_NS1_11comp_targetILNS1_3genE10ELNS1_11target_archE1201ELNS1_3gpuE5ELNS1_3repE0EEENS1_30default_config_static_selectorELNS0_4arch9wavefront6targetE1EEEvT1_
    .private_segment_fixed_size: 0
    .sgpr_count:     4
    .sgpr_spill_count: 0
    .symbol:         _ZN7rocprim17ROCPRIM_400000_NS6detail17trampoline_kernelINS0_14default_configENS1_20scan_config_selectorIiEEZZNS1_9scan_implILNS1_25lookback_scan_determinismE0ELb0ELb0ES3_N6thrust23THRUST_200600_302600_NS6detail15normal_iteratorINS9_10device_ptrIiEEEESE_i19const_ref_plus_mod3IiEiEEDaPvRmT3_T4_T5_mT6_P12ihipStream_tbENKUlT_T0_E_clISt17integral_constantIbLb0EESU_EEDaSP_SQ_EUlSP_E_NS1_11comp_targetILNS1_3genE10ELNS1_11target_archE1201ELNS1_3gpuE5ELNS1_3repE0EEENS1_30default_config_static_selectorELNS0_4arch9wavefront6targetE1EEEvT1_.kd
    .uniform_work_group_size: 1
    .uses_dynamic_stack: false
    .vgpr_count:     0
    .vgpr_spill_count: 0
    .wavefront_size: 64
  - .agpr_count:     0
    .args:
      - .offset:         0
        .size:           104
        .value_kind:     by_value
    .group_segment_fixed_size: 0
    .kernarg_segment_align: 8
    .kernarg_segment_size: 104
    .language:       OpenCL C
    .language_version:
      - 2
      - 0
    .max_flat_workgroup_size: 256
    .name:           _ZN7rocprim17ROCPRIM_400000_NS6detail17trampoline_kernelINS0_14default_configENS1_20scan_config_selectorIiEEZZNS1_9scan_implILNS1_25lookback_scan_determinismE0ELb0ELb0ES3_N6thrust23THRUST_200600_302600_NS6detail15normal_iteratorINS9_10device_ptrIiEEEESE_i19const_ref_plus_mod3IiEiEEDaPvRmT3_T4_T5_mT6_P12ihipStream_tbENKUlT_T0_E_clISt17integral_constantIbLb0EESU_EEDaSP_SQ_EUlSP_E_NS1_11comp_targetILNS1_3genE10ELNS1_11target_archE1200ELNS1_3gpuE4ELNS1_3repE0EEENS1_30default_config_static_selectorELNS0_4arch9wavefront6targetE1EEEvT1_
    .private_segment_fixed_size: 0
    .sgpr_count:     4
    .sgpr_spill_count: 0
    .symbol:         _ZN7rocprim17ROCPRIM_400000_NS6detail17trampoline_kernelINS0_14default_configENS1_20scan_config_selectorIiEEZZNS1_9scan_implILNS1_25lookback_scan_determinismE0ELb0ELb0ES3_N6thrust23THRUST_200600_302600_NS6detail15normal_iteratorINS9_10device_ptrIiEEEESE_i19const_ref_plus_mod3IiEiEEDaPvRmT3_T4_T5_mT6_P12ihipStream_tbENKUlT_T0_E_clISt17integral_constantIbLb0EESU_EEDaSP_SQ_EUlSP_E_NS1_11comp_targetILNS1_3genE10ELNS1_11target_archE1200ELNS1_3gpuE4ELNS1_3repE0EEENS1_30default_config_static_selectorELNS0_4arch9wavefront6targetE1EEEvT1_.kd
    .uniform_work_group_size: 1
    .uses_dynamic_stack: false
    .vgpr_count:     0
    .vgpr_spill_count: 0
    .wavefront_size: 64
  - .agpr_count:     0
    .args:
      - .offset:         0
        .size:           104
        .value_kind:     by_value
    .group_segment_fixed_size: 0
    .kernarg_segment_align: 8
    .kernarg_segment_size: 104
    .language:       OpenCL C
    .language_version:
      - 2
      - 0
    .max_flat_workgroup_size: 256
    .name:           _ZN7rocprim17ROCPRIM_400000_NS6detail17trampoline_kernelINS0_14default_configENS1_20scan_config_selectorIiEEZZNS1_9scan_implILNS1_25lookback_scan_determinismE0ELb0ELb0ES3_N6thrust23THRUST_200600_302600_NS6detail15normal_iteratorINS9_10device_ptrIiEEEESE_i19const_ref_plus_mod3IiEiEEDaPvRmT3_T4_T5_mT6_P12ihipStream_tbENKUlT_T0_E_clISt17integral_constantIbLb0EESU_EEDaSP_SQ_EUlSP_E_NS1_11comp_targetILNS1_3genE9ELNS1_11target_archE1100ELNS1_3gpuE3ELNS1_3repE0EEENS1_30default_config_static_selectorELNS0_4arch9wavefront6targetE1EEEvT1_
    .private_segment_fixed_size: 0
    .sgpr_count:     4
    .sgpr_spill_count: 0
    .symbol:         _ZN7rocprim17ROCPRIM_400000_NS6detail17trampoline_kernelINS0_14default_configENS1_20scan_config_selectorIiEEZZNS1_9scan_implILNS1_25lookback_scan_determinismE0ELb0ELb0ES3_N6thrust23THRUST_200600_302600_NS6detail15normal_iteratorINS9_10device_ptrIiEEEESE_i19const_ref_plus_mod3IiEiEEDaPvRmT3_T4_T5_mT6_P12ihipStream_tbENKUlT_T0_E_clISt17integral_constantIbLb0EESU_EEDaSP_SQ_EUlSP_E_NS1_11comp_targetILNS1_3genE9ELNS1_11target_archE1100ELNS1_3gpuE3ELNS1_3repE0EEENS1_30default_config_static_selectorELNS0_4arch9wavefront6targetE1EEEvT1_.kd
    .uniform_work_group_size: 1
    .uses_dynamic_stack: false
    .vgpr_count:     0
    .vgpr_spill_count: 0
    .wavefront_size: 64
  - .agpr_count:     0
    .args:
      - .offset:         0
        .size:           104
        .value_kind:     by_value
    .group_segment_fixed_size: 0
    .kernarg_segment_align: 8
    .kernarg_segment_size: 104
    .language:       OpenCL C
    .language_version:
      - 2
      - 0
    .max_flat_workgroup_size: 64
    .name:           _ZN7rocprim17ROCPRIM_400000_NS6detail17trampoline_kernelINS0_14default_configENS1_20scan_config_selectorIiEEZZNS1_9scan_implILNS1_25lookback_scan_determinismE0ELb0ELb0ES3_N6thrust23THRUST_200600_302600_NS6detail15normal_iteratorINS9_10device_ptrIiEEEESE_i19const_ref_plus_mod3IiEiEEDaPvRmT3_T4_T5_mT6_P12ihipStream_tbENKUlT_T0_E_clISt17integral_constantIbLb0EESU_EEDaSP_SQ_EUlSP_E_NS1_11comp_targetILNS1_3genE8ELNS1_11target_archE1030ELNS1_3gpuE2ELNS1_3repE0EEENS1_30default_config_static_selectorELNS0_4arch9wavefront6targetE1EEEvT1_
    .private_segment_fixed_size: 0
    .sgpr_count:     4
    .sgpr_spill_count: 0
    .symbol:         _ZN7rocprim17ROCPRIM_400000_NS6detail17trampoline_kernelINS0_14default_configENS1_20scan_config_selectorIiEEZZNS1_9scan_implILNS1_25lookback_scan_determinismE0ELb0ELb0ES3_N6thrust23THRUST_200600_302600_NS6detail15normal_iteratorINS9_10device_ptrIiEEEESE_i19const_ref_plus_mod3IiEiEEDaPvRmT3_T4_T5_mT6_P12ihipStream_tbENKUlT_T0_E_clISt17integral_constantIbLb0EESU_EEDaSP_SQ_EUlSP_E_NS1_11comp_targetILNS1_3genE8ELNS1_11target_archE1030ELNS1_3gpuE2ELNS1_3repE0EEENS1_30default_config_static_selectorELNS0_4arch9wavefront6targetE1EEEvT1_.kd
    .uniform_work_group_size: 1
    .uses_dynamic_stack: false
    .vgpr_count:     0
    .vgpr_spill_count: 0
    .wavefront_size: 64
  - .agpr_count:     0
    .args:
      - .offset:         0
        .size:           40
        .value_kind:     by_value
    .group_segment_fixed_size: 0
    .kernarg_segment_align: 8
    .kernarg_segment_size: 40
    .language:       OpenCL C
    .language_version:
      - 2
      - 0
    .max_flat_workgroup_size: 256
    .name:           _ZN7rocprim17ROCPRIM_400000_NS6detail17trampoline_kernelINS0_14default_configENS1_20scan_config_selectorIiEEZZNS1_9scan_implILNS1_25lookback_scan_determinismE0ELb0ELb0ES3_N6thrust23THRUST_200600_302600_NS6detail15normal_iteratorINS9_10device_ptrIiEEEESE_i19const_ref_plus_mod3IiEiEEDaPvRmT3_T4_T5_mT6_P12ihipStream_tbENKUlT_T0_E_clISt17integral_constantIbLb0EESU_EEDaSP_SQ_EUlSP_E0_NS1_11comp_targetILNS1_3genE0ELNS1_11target_archE4294967295ELNS1_3gpuE0ELNS1_3repE0EEENS1_30default_config_static_selectorELNS0_4arch9wavefront6targetE1EEEvT1_
    .private_segment_fixed_size: 0
    .sgpr_count:     4
    .sgpr_spill_count: 0
    .symbol:         _ZN7rocprim17ROCPRIM_400000_NS6detail17trampoline_kernelINS0_14default_configENS1_20scan_config_selectorIiEEZZNS1_9scan_implILNS1_25lookback_scan_determinismE0ELb0ELb0ES3_N6thrust23THRUST_200600_302600_NS6detail15normal_iteratorINS9_10device_ptrIiEEEESE_i19const_ref_plus_mod3IiEiEEDaPvRmT3_T4_T5_mT6_P12ihipStream_tbENKUlT_T0_E_clISt17integral_constantIbLb0EESU_EEDaSP_SQ_EUlSP_E0_NS1_11comp_targetILNS1_3genE0ELNS1_11target_archE4294967295ELNS1_3gpuE0ELNS1_3repE0EEENS1_30default_config_static_selectorELNS0_4arch9wavefront6targetE1EEEvT1_.kd
    .uniform_work_group_size: 1
    .uses_dynamic_stack: false
    .vgpr_count:     0
    .vgpr_spill_count: 0
    .wavefront_size: 64
  - .agpr_count:     0
    .args:
      - .offset:         0
        .size:           40
        .value_kind:     by_value
    .group_segment_fixed_size: 0
    .kernarg_segment_align: 8
    .kernarg_segment_size: 40
    .language:       OpenCL C
    .language_version:
      - 2
      - 0
    .max_flat_workgroup_size: 256
    .name:           _ZN7rocprim17ROCPRIM_400000_NS6detail17trampoline_kernelINS0_14default_configENS1_20scan_config_selectorIiEEZZNS1_9scan_implILNS1_25lookback_scan_determinismE0ELb0ELb0ES3_N6thrust23THRUST_200600_302600_NS6detail15normal_iteratorINS9_10device_ptrIiEEEESE_i19const_ref_plus_mod3IiEiEEDaPvRmT3_T4_T5_mT6_P12ihipStream_tbENKUlT_T0_E_clISt17integral_constantIbLb0EESU_EEDaSP_SQ_EUlSP_E0_NS1_11comp_targetILNS1_3genE5ELNS1_11target_archE942ELNS1_3gpuE9ELNS1_3repE0EEENS1_30default_config_static_selectorELNS0_4arch9wavefront6targetE1EEEvT1_
    .private_segment_fixed_size: 0
    .sgpr_count:     4
    .sgpr_spill_count: 0
    .symbol:         _ZN7rocprim17ROCPRIM_400000_NS6detail17trampoline_kernelINS0_14default_configENS1_20scan_config_selectorIiEEZZNS1_9scan_implILNS1_25lookback_scan_determinismE0ELb0ELb0ES3_N6thrust23THRUST_200600_302600_NS6detail15normal_iteratorINS9_10device_ptrIiEEEESE_i19const_ref_plus_mod3IiEiEEDaPvRmT3_T4_T5_mT6_P12ihipStream_tbENKUlT_T0_E_clISt17integral_constantIbLb0EESU_EEDaSP_SQ_EUlSP_E0_NS1_11comp_targetILNS1_3genE5ELNS1_11target_archE942ELNS1_3gpuE9ELNS1_3repE0EEENS1_30default_config_static_selectorELNS0_4arch9wavefront6targetE1EEEvT1_.kd
    .uniform_work_group_size: 1
    .uses_dynamic_stack: false
    .vgpr_count:     0
    .vgpr_spill_count: 0
    .wavefront_size: 64
  - .agpr_count:     0
    .args:
      - .offset:         0
        .size:           40
        .value_kind:     by_value
    .group_segment_fixed_size: 5120
    .kernarg_segment_align: 8
    .kernarg_segment_size: 40
    .language:       OpenCL C
    .language_version:
      - 2
      - 0
    .max_flat_workgroup_size: 128
    .name:           _ZN7rocprim17ROCPRIM_400000_NS6detail17trampoline_kernelINS0_14default_configENS1_20scan_config_selectorIiEEZZNS1_9scan_implILNS1_25lookback_scan_determinismE0ELb0ELb0ES3_N6thrust23THRUST_200600_302600_NS6detail15normal_iteratorINS9_10device_ptrIiEEEESE_i19const_ref_plus_mod3IiEiEEDaPvRmT3_T4_T5_mT6_P12ihipStream_tbENKUlT_T0_E_clISt17integral_constantIbLb0EESU_EEDaSP_SQ_EUlSP_E0_NS1_11comp_targetILNS1_3genE4ELNS1_11target_archE910ELNS1_3gpuE8ELNS1_3repE0EEENS1_30default_config_static_selectorELNS0_4arch9wavefront6targetE1EEEvT1_
    .private_segment_fixed_size: 0
    .sgpr_count:     32
    .sgpr_spill_count: 0
    .symbol:         _ZN7rocprim17ROCPRIM_400000_NS6detail17trampoline_kernelINS0_14default_configENS1_20scan_config_selectorIiEEZZNS1_9scan_implILNS1_25lookback_scan_determinismE0ELb0ELb0ES3_N6thrust23THRUST_200600_302600_NS6detail15normal_iteratorINS9_10device_ptrIiEEEESE_i19const_ref_plus_mod3IiEiEEDaPvRmT3_T4_T5_mT6_P12ihipStream_tbENKUlT_T0_E_clISt17integral_constantIbLb0EESU_EEDaSP_SQ_EUlSP_E0_NS1_11comp_targetILNS1_3genE4ELNS1_11target_archE910ELNS1_3gpuE8ELNS1_3repE0EEENS1_30default_config_static_selectorELNS0_4arch9wavefront6targetE1EEEvT1_.kd
    .uniform_work_group_size: 1
    .uses_dynamic_stack: false
    .vgpr_count:     22
    .vgpr_spill_count: 0
    .wavefront_size: 64
  - .agpr_count:     0
    .args:
      - .offset:         0
        .size:           40
        .value_kind:     by_value
    .group_segment_fixed_size: 0
    .kernarg_segment_align: 8
    .kernarg_segment_size: 40
    .language:       OpenCL C
    .language_version:
      - 2
      - 0
    .max_flat_workgroup_size: 256
    .name:           _ZN7rocprim17ROCPRIM_400000_NS6detail17trampoline_kernelINS0_14default_configENS1_20scan_config_selectorIiEEZZNS1_9scan_implILNS1_25lookback_scan_determinismE0ELb0ELb0ES3_N6thrust23THRUST_200600_302600_NS6detail15normal_iteratorINS9_10device_ptrIiEEEESE_i19const_ref_plus_mod3IiEiEEDaPvRmT3_T4_T5_mT6_P12ihipStream_tbENKUlT_T0_E_clISt17integral_constantIbLb0EESU_EEDaSP_SQ_EUlSP_E0_NS1_11comp_targetILNS1_3genE3ELNS1_11target_archE908ELNS1_3gpuE7ELNS1_3repE0EEENS1_30default_config_static_selectorELNS0_4arch9wavefront6targetE1EEEvT1_
    .private_segment_fixed_size: 0
    .sgpr_count:     4
    .sgpr_spill_count: 0
    .symbol:         _ZN7rocprim17ROCPRIM_400000_NS6detail17trampoline_kernelINS0_14default_configENS1_20scan_config_selectorIiEEZZNS1_9scan_implILNS1_25lookback_scan_determinismE0ELb0ELb0ES3_N6thrust23THRUST_200600_302600_NS6detail15normal_iteratorINS9_10device_ptrIiEEEESE_i19const_ref_plus_mod3IiEiEEDaPvRmT3_T4_T5_mT6_P12ihipStream_tbENKUlT_T0_E_clISt17integral_constantIbLb0EESU_EEDaSP_SQ_EUlSP_E0_NS1_11comp_targetILNS1_3genE3ELNS1_11target_archE908ELNS1_3gpuE7ELNS1_3repE0EEENS1_30default_config_static_selectorELNS0_4arch9wavefront6targetE1EEEvT1_.kd
    .uniform_work_group_size: 1
    .uses_dynamic_stack: false
    .vgpr_count:     0
    .vgpr_spill_count: 0
    .wavefront_size: 64
  - .agpr_count:     0
    .args:
      - .offset:         0
        .size:           40
        .value_kind:     by_value
    .group_segment_fixed_size: 0
    .kernarg_segment_align: 8
    .kernarg_segment_size: 40
    .language:       OpenCL C
    .language_version:
      - 2
      - 0
    .max_flat_workgroup_size: 256
    .name:           _ZN7rocprim17ROCPRIM_400000_NS6detail17trampoline_kernelINS0_14default_configENS1_20scan_config_selectorIiEEZZNS1_9scan_implILNS1_25lookback_scan_determinismE0ELb0ELb0ES3_N6thrust23THRUST_200600_302600_NS6detail15normal_iteratorINS9_10device_ptrIiEEEESE_i19const_ref_plus_mod3IiEiEEDaPvRmT3_T4_T5_mT6_P12ihipStream_tbENKUlT_T0_E_clISt17integral_constantIbLb0EESU_EEDaSP_SQ_EUlSP_E0_NS1_11comp_targetILNS1_3genE2ELNS1_11target_archE906ELNS1_3gpuE6ELNS1_3repE0EEENS1_30default_config_static_selectorELNS0_4arch9wavefront6targetE1EEEvT1_
    .private_segment_fixed_size: 0
    .sgpr_count:     4
    .sgpr_spill_count: 0
    .symbol:         _ZN7rocprim17ROCPRIM_400000_NS6detail17trampoline_kernelINS0_14default_configENS1_20scan_config_selectorIiEEZZNS1_9scan_implILNS1_25lookback_scan_determinismE0ELb0ELb0ES3_N6thrust23THRUST_200600_302600_NS6detail15normal_iteratorINS9_10device_ptrIiEEEESE_i19const_ref_plus_mod3IiEiEEDaPvRmT3_T4_T5_mT6_P12ihipStream_tbENKUlT_T0_E_clISt17integral_constantIbLb0EESU_EEDaSP_SQ_EUlSP_E0_NS1_11comp_targetILNS1_3genE2ELNS1_11target_archE906ELNS1_3gpuE6ELNS1_3repE0EEENS1_30default_config_static_selectorELNS0_4arch9wavefront6targetE1EEEvT1_.kd
    .uniform_work_group_size: 1
    .uses_dynamic_stack: false
    .vgpr_count:     0
    .vgpr_spill_count: 0
    .wavefront_size: 64
  - .agpr_count:     0
    .args:
      - .offset:         0
        .size:           40
        .value_kind:     by_value
    .group_segment_fixed_size: 0
    .kernarg_segment_align: 8
    .kernarg_segment_size: 40
    .language:       OpenCL C
    .language_version:
      - 2
      - 0
    .max_flat_workgroup_size: 256
    .name:           _ZN7rocprim17ROCPRIM_400000_NS6detail17trampoline_kernelINS0_14default_configENS1_20scan_config_selectorIiEEZZNS1_9scan_implILNS1_25lookback_scan_determinismE0ELb0ELb0ES3_N6thrust23THRUST_200600_302600_NS6detail15normal_iteratorINS9_10device_ptrIiEEEESE_i19const_ref_plus_mod3IiEiEEDaPvRmT3_T4_T5_mT6_P12ihipStream_tbENKUlT_T0_E_clISt17integral_constantIbLb0EESU_EEDaSP_SQ_EUlSP_E0_NS1_11comp_targetILNS1_3genE10ELNS1_11target_archE1201ELNS1_3gpuE5ELNS1_3repE0EEENS1_30default_config_static_selectorELNS0_4arch9wavefront6targetE1EEEvT1_
    .private_segment_fixed_size: 0
    .sgpr_count:     4
    .sgpr_spill_count: 0
    .symbol:         _ZN7rocprim17ROCPRIM_400000_NS6detail17trampoline_kernelINS0_14default_configENS1_20scan_config_selectorIiEEZZNS1_9scan_implILNS1_25lookback_scan_determinismE0ELb0ELb0ES3_N6thrust23THRUST_200600_302600_NS6detail15normal_iteratorINS9_10device_ptrIiEEEESE_i19const_ref_plus_mod3IiEiEEDaPvRmT3_T4_T5_mT6_P12ihipStream_tbENKUlT_T0_E_clISt17integral_constantIbLb0EESU_EEDaSP_SQ_EUlSP_E0_NS1_11comp_targetILNS1_3genE10ELNS1_11target_archE1201ELNS1_3gpuE5ELNS1_3repE0EEENS1_30default_config_static_selectorELNS0_4arch9wavefront6targetE1EEEvT1_.kd
    .uniform_work_group_size: 1
    .uses_dynamic_stack: false
    .vgpr_count:     0
    .vgpr_spill_count: 0
    .wavefront_size: 64
  - .agpr_count:     0
    .args:
      - .offset:         0
        .size:           40
        .value_kind:     by_value
    .group_segment_fixed_size: 0
    .kernarg_segment_align: 8
    .kernarg_segment_size: 40
    .language:       OpenCL C
    .language_version:
      - 2
      - 0
    .max_flat_workgroup_size: 256
    .name:           _ZN7rocprim17ROCPRIM_400000_NS6detail17trampoline_kernelINS0_14default_configENS1_20scan_config_selectorIiEEZZNS1_9scan_implILNS1_25lookback_scan_determinismE0ELb0ELb0ES3_N6thrust23THRUST_200600_302600_NS6detail15normal_iteratorINS9_10device_ptrIiEEEESE_i19const_ref_plus_mod3IiEiEEDaPvRmT3_T4_T5_mT6_P12ihipStream_tbENKUlT_T0_E_clISt17integral_constantIbLb0EESU_EEDaSP_SQ_EUlSP_E0_NS1_11comp_targetILNS1_3genE10ELNS1_11target_archE1200ELNS1_3gpuE4ELNS1_3repE0EEENS1_30default_config_static_selectorELNS0_4arch9wavefront6targetE1EEEvT1_
    .private_segment_fixed_size: 0
    .sgpr_count:     4
    .sgpr_spill_count: 0
    .symbol:         _ZN7rocprim17ROCPRIM_400000_NS6detail17trampoline_kernelINS0_14default_configENS1_20scan_config_selectorIiEEZZNS1_9scan_implILNS1_25lookback_scan_determinismE0ELb0ELb0ES3_N6thrust23THRUST_200600_302600_NS6detail15normal_iteratorINS9_10device_ptrIiEEEESE_i19const_ref_plus_mod3IiEiEEDaPvRmT3_T4_T5_mT6_P12ihipStream_tbENKUlT_T0_E_clISt17integral_constantIbLb0EESU_EEDaSP_SQ_EUlSP_E0_NS1_11comp_targetILNS1_3genE10ELNS1_11target_archE1200ELNS1_3gpuE4ELNS1_3repE0EEENS1_30default_config_static_selectorELNS0_4arch9wavefront6targetE1EEEvT1_.kd
    .uniform_work_group_size: 1
    .uses_dynamic_stack: false
    .vgpr_count:     0
    .vgpr_spill_count: 0
    .wavefront_size: 64
  - .agpr_count:     0
    .args:
      - .offset:         0
        .size:           40
        .value_kind:     by_value
    .group_segment_fixed_size: 0
    .kernarg_segment_align: 8
    .kernarg_segment_size: 40
    .language:       OpenCL C
    .language_version:
      - 2
      - 0
    .max_flat_workgroup_size: 256
    .name:           _ZN7rocprim17ROCPRIM_400000_NS6detail17trampoline_kernelINS0_14default_configENS1_20scan_config_selectorIiEEZZNS1_9scan_implILNS1_25lookback_scan_determinismE0ELb0ELb0ES3_N6thrust23THRUST_200600_302600_NS6detail15normal_iteratorINS9_10device_ptrIiEEEESE_i19const_ref_plus_mod3IiEiEEDaPvRmT3_T4_T5_mT6_P12ihipStream_tbENKUlT_T0_E_clISt17integral_constantIbLb0EESU_EEDaSP_SQ_EUlSP_E0_NS1_11comp_targetILNS1_3genE9ELNS1_11target_archE1100ELNS1_3gpuE3ELNS1_3repE0EEENS1_30default_config_static_selectorELNS0_4arch9wavefront6targetE1EEEvT1_
    .private_segment_fixed_size: 0
    .sgpr_count:     4
    .sgpr_spill_count: 0
    .symbol:         _ZN7rocprim17ROCPRIM_400000_NS6detail17trampoline_kernelINS0_14default_configENS1_20scan_config_selectorIiEEZZNS1_9scan_implILNS1_25lookback_scan_determinismE0ELb0ELb0ES3_N6thrust23THRUST_200600_302600_NS6detail15normal_iteratorINS9_10device_ptrIiEEEESE_i19const_ref_plus_mod3IiEiEEDaPvRmT3_T4_T5_mT6_P12ihipStream_tbENKUlT_T0_E_clISt17integral_constantIbLb0EESU_EEDaSP_SQ_EUlSP_E0_NS1_11comp_targetILNS1_3genE9ELNS1_11target_archE1100ELNS1_3gpuE3ELNS1_3repE0EEENS1_30default_config_static_selectorELNS0_4arch9wavefront6targetE1EEEvT1_.kd
    .uniform_work_group_size: 1
    .uses_dynamic_stack: false
    .vgpr_count:     0
    .vgpr_spill_count: 0
    .wavefront_size: 64
  - .agpr_count:     0
    .args:
      - .offset:         0
        .size:           40
        .value_kind:     by_value
    .group_segment_fixed_size: 0
    .kernarg_segment_align: 8
    .kernarg_segment_size: 40
    .language:       OpenCL C
    .language_version:
      - 2
      - 0
    .max_flat_workgroup_size: 64
    .name:           _ZN7rocprim17ROCPRIM_400000_NS6detail17trampoline_kernelINS0_14default_configENS1_20scan_config_selectorIiEEZZNS1_9scan_implILNS1_25lookback_scan_determinismE0ELb0ELb0ES3_N6thrust23THRUST_200600_302600_NS6detail15normal_iteratorINS9_10device_ptrIiEEEESE_i19const_ref_plus_mod3IiEiEEDaPvRmT3_T4_T5_mT6_P12ihipStream_tbENKUlT_T0_E_clISt17integral_constantIbLb0EESU_EEDaSP_SQ_EUlSP_E0_NS1_11comp_targetILNS1_3genE8ELNS1_11target_archE1030ELNS1_3gpuE2ELNS1_3repE0EEENS1_30default_config_static_selectorELNS0_4arch9wavefront6targetE1EEEvT1_
    .private_segment_fixed_size: 0
    .sgpr_count:     4
    .sgpr_spill_count: 0
    .symbol:         _ZN7rocprim17ROCPRIM_400000_NS6detail17trampoline_kernelINS0_14default_configENS1_20scan_config_selectorIiEEZZNS1_9scan_implILNS1_25lookback_scan_determinismE0ELb0ELb0ES3_N6thrust23THRUST_200600_302600_NS6detail15normal_iteratorINS9_10device_ptrIiEEEESE_i19const_ref_plus_mod3IiEiEEDaPvRmT3_T4_T5_mT6_P12ihipStream_tbENKUlT_T0_E_clISt17integral_constantIbLb0EESU_EEDaSP_SQ_EUlSP_E0_NS1_11comp_targetILNS1_3genE8ELNS1_11target_archE1030ELNS1_3gpuE2ELNS1_3repE0EEENS1_30default_config_static_selectorELNS0_4arch9wavefront6targetE1EEEvT1_.kd
    .uniform_work_group_size: 1
    .uses_dynamic_stack: false
    .vgpr_count:     0
    .vgpr_spill_count: 0
    .wavefront_size: 64
  - .agpr_count:     0
    .args:
      - .offset:         0
        .size:           104
        .value_kind:     by_value
    .group_segment_fixed_size: 0
    .kernarg_segment_align: 8
    .kernarg_segment_size: 104
    .language:       OpenCL C
    .language_version:
      - 2
      - 0
    .max_flat_workgroup_size: 256
    .name:           _ZN7rocprim17ROCPRIM_400000_NS6detail17trampoline_kernelINS0_14default_configENS1_20scan_config_selectorIiEEZZNS1_9scan_implILNS1_25lookback_scan_determinismE0ELb0ELb0ES3_N6thrust23THRUST_200600_302600_NS6detail15normal_iteratorINS9_10device_ptrIiEEEESE_i19const_ref_plus_mod3IiEiEEDaPvRmT3_T4_T5_mT6_P12ihipStream_tbENKUlT_T0_E_clISt17integral_constantIbLb1EESU_EEDaSP_SQ_EUlSP_E_NS1_11comp_targetILNS1_3genE0ELNS1_11target_archE4294967295ELNS1_3gpuE0ELNS1_3repE0EEENS1_30default_config_static_selectorELNS0_4arch9wavefront6targetE1EEEvT1_
    .private_segment_fixed_size: 0
    .sgpr_count:     4
    .sgpr_spill_count: 0
    .symbol:         _ZN7rocprim17ROCPRIM_400000_NS6detail17trampoline_kernelINS0_14default_configENS1_20scan_config_selectorIiEEZZNS1_9scan_implILNS1_25lookback_scan_determinismE0ELb0ELb0ES3_N6thrust23THRUST_200600_302600_NS6detail15normal_iteratorINS9_10device_ptrIiEEEESE_i19const_ref_plus_mod3IiEiEEDaPvRmT3_T4_T5_mT6_P12ihipStream_tbENKUlT_T0_E_clISt17integral_constantIbLb1EESU_EEDaSP_SQ_EUlSP_E_NS1_11comp_targetILNS1_3genE0ELNS1_11target_archE4294967295ELNS1_3gpuE0ELNS1_3repE0EEENS1_30default_config_static_selectorELNS0_4arch9wavefront6targetE1EEEvT1_.kd
    .uniform_work_group_size: 1
    .uses_dynamic_stack: false
    .vgpr_count:     0
    .vgpr_spill_count: 0
    .wavefront_size: 64
  - .agpr_count:     0
    .args:
      - .offset:         0
        .size:           104
        .value_kind:     by_value
    .group_segment_fixed_size: 0
    .kernarg_segment_align: 8
    .kernarg_segment_size: 104
    .language:       OpenCL C
    .language_version:
      - 2
      - 0
    .max_flat_workgroup_size: 256
    .name:           _ZN7rocprim17ROCPRIM_400000_NS6detail17trampoline_kernelINS0_14default_configENS1_20scan_config_selectorIiEEZZNS1_9scan_implILNS1_25lookback_scan_determinismE0ELb0ELb0ES3_N6thrust23THRUST_200600_302600_NS6detail15normal_iteratorINS9_10device_ptrIiEEEESE_i19const_ref_plus_mod3IiEiEEDaPvRmT3_T4_T5_mT6_P12ihipStream_tbENKUlT_T0_E_clISt17integral_constantIbLb1EESU_EEDaSP_SQ_EUlSP_E_NS1_11comp_targetILNS1_3genE5ELNS1_11target_archE942ELNS1_3gpuE9ELNS1_3repE0EEENS1_30default_config_static_selectorELNS0_4arch9wavefront6targetE1EEEvT1_
    .private_segment_fixed_size: 0
    .sgpr_count:     4
    .sgpr_spill_count: 0
    .symbol:         _ZN7rocprim17ROCPRIM_400000_NS6detail17trampoline_kernelINS0_14default_configENS1_20scan_config_selectorIiEEZZNS1_9scan_implILNS1_25lookback_scan_determinismE0ELb0ELb0ES3_N6thrust23THRUST_200600_302600_NS6detail15normal_iteratorINS9_10device_ptrIiEEEESE_i19const_ref_plus_mod3IiEiEEDaPvRmT3_T4_T5_mT6_P12ihipStream_tbENKUlT_T0_E_clISt17integral_constantIbLb1EESU_EEDaSP_SQ_EUlSP_E_NS1_11comp_targetILNS1_3genE5ELNS1_11target_archE942ELNS1_3gpuE9ELNS1_3repE0EEENS1_30default_config_static_selectorELNS0_4arch9wavefront6targetE1EEEvT1_.kd
    .uniform_work_group_size: 1
    .uses_dynamic_stack: false
    .vgpr_count:     0
    .vgpr_spill_count: 0
    .wavefront_size: 64
  - .agpr_count:     0
    .args:
      - .offset:         0
        .size:           104
        .value_kind:     by_value
    .group_segment_fixed_size: 5120
    .kernarg_segment_align: 8
    .kernarg_segment_size: 104
    .language:       OpenCL C
    .language_version:
      - 2
      - 0
    .max_flat_workgroup_size: 128
    .name:           _ZN7rocprim17ROCPRIM_400000_NS6detail17trampoline_kernelINS0_14default_configENS1_20scan_config_selectorIiEEZZNS1_9scan_implILNS1_25lookback_scan_determinismE0ELb0ELb0ES3_N6thrust23THRUST_200600_302600_NS6detail15normal_iteratorINS9_10device_ptrIiEEEESE_i19const_ref_plus_mod3IiEiEEDaPvRmT3_T4_T5_mT6_P12ihipStream_tbENKUlT_T0_E_clISt17integral_constantIbLb1EESU_EEDaSP_SQ_EUlSP_E_NS1_11comp_targetILNS1_3genE4ELNS1_11target_archE910ELNS1_3gpuE8ELNS1_3repE0EEENS1_30default_config_static_selectorELNS0_4arch9wavefront6targetE1EEEvT1_
    .private_segment_fixed_size: 0
    .sgpr_count:     48
    .sgpr_spill_count: 0
    .symbol:         _ZN7rocprim17ROCPRIM_400000_NS6detail17trampoline_kernelINS0_14default_configENS1_20scan_config_selectorIiEEZZNS1_9scan_implILNS1_25lookback_scan_determinismE0ELb0ELb0ES3_N6thrust23THRUST_200600_302600_NS6detail15normal_iteratorINS9_10device_ptrIiEEEESE_i19const_ref_plus_mod3IiEiEEDaPvRmT3_T4_T5_mT6_P12ihipStream_tbENKUlT_T0_E_clISt17integral_constantIbLb1EESU_EEDaSP_SQ_EUlSP_E_NS1_11comp_targetILNS1_3genE4ELNS1_11target_archE910ELNS1_3gpuE8ELNS1_3repE0EEENS1_30default_config_static_selectorELNS0_4arch9wavefront6targetE1EEEvT1_.kd
    .uniform_work_group_size: 1
    .uses_dynamic_stack: false
    .vgpr_count:     42
    .vgpr_spill_count: 0
    .wavefront_size: 64
  - .agpr_count:     0
    .args:
      - .offset:         0
        .size:           104
        .value_kind:     by_value
    .group_segment_fixed_size: 0
    .kernarg_segment_align: 8
    .kernarg_segment_size: 104
    .language:       OpenCL C
    .language_version:
      - 2
      - 0
    .max_flat_workgroup_size: 256
    .name:           _ZN7rocprim17ROCPRIM_400000_NS6detail17trampoline_kernelINS0_14default_configENS1_20scan_config_selectorIiEEZZNS1_9scan_implILNS1_25lookback_scan_determinismE0ELb0ELb0ES3_N6thrust23THRUST_200600_302600_NS6detail15normal_iteratorINS9_10device_ptrIiEEEESE_i19const_ref_plus_mod3IiEiEEDaPvRmT3_T4_T5_mT6_P12ihipStream_tbENKUlT_T0_E_clISt17integral_constantIbLb1EESU_EEDaSP_SQ_EUlSP_E_NS1_11comp_targetILNS1_3genE3ELNS1_11target_archE908ELNS1_3gpuE7ELNS1_3repE0EEENS1_30default_config_static_selectorELNS0_4arch9wavefront6targetE1EEEvT1_
    .private_segment_fixed_size: 0
    .sgpr_count:     4
    .sgpr_spill_count: 0
    .symbol:         _ZN7rocprim17ROCPRIM_400000_NS6detail17trampoline_kernelINS0_14default_configENS1_20scan_config_selectorIiEEZZNS1_9scan_implILNS1_25lookback_scan_determinismE0ELb0ELb0ES3_N6thrust23THRUST_200600_302600_NS6detail15normal_iteratorINS9_10device_ptrIiEEEESE_i19const_ref_plus_mod3IiEiEEDaPvRmT3_T4_T5_mT6_P12ihipStream_tbENKUlT_T0_E_clISt17integral_constantIbLb1EESU_EEDaSP_SQ_EUlSP_E_NS1_11comp_targetILNS1_3genE3ELNS1_11target_archE908ELNS1_3gpuE7ELNS1_3repE0EEENS1_30default_config_static_selectorELNS0_4arch9wavefront6targetE1EEEvT1_.kd
    .uniform_work_group_size: 1
    .uses_dynamic_stack: false
    .vgpr_count:     0
    .vgpr_spill_count: 0
    .wavefront_size: 64
  - .agpr_count:     0
    .args:
      - .offset:         0
        .size:           104
        .value_kind:     by_value
    .group_segment_fixed_size: 0
    .kernarg_segment_align: 8
    .kernarg_segment_size: 104
    .language:       OpenCL C
    .language_version:
      - 2
      - 0
    .max_flat_workgroup_size: 256
    .name:           _ZN7rocprim17ROCPRIM_400000_NS6detail17trampoline_kernelINS0_14default_configENS1_20scan_config_selectorIiEEZZNS1_9scan_implILNS1_25lookback_scan_determinismE0ELb0ELb0ES3_N6thrust23THRUST_200600_302600_NS6detail15normal_iteratorINS9_10device_ptrIiEEEESE_i19const_ref_plus_mod3IiEiEEDaPvRmT3_T4_T5_mT6_P12ihipStream_tbENKUlT_T0_E_clISt17integral_constantIbLb1EESU_EEDaSP_SQ_EUlSP_E_NS1_11comp_targetILNS1_3genE2ELNS1_11target_archE906ELNS1_3gpuE6ELNS1_3repE0EEENS1_30default_config_static_selectorELNS0_4arch9wavefront6targetE1EEEvT1_
    .private_segment_fixed_size: 0
    .sgpr_count:     4
    .sgpr_spill_count: 0
    .symbol:         _ZN7rocprim17ROCPRIM_400000_NS6detail17trampoline_kernelINS0_14default_configENS1_20scan_config_selectorIiEEZZNS1_9scan_implILNS1_25lookback_scan_determinismE0ELb0ELb0ES3_N6thrust23THRUST_200600_302600_NS6detail15normal_iteratorINS9_10device_ptrIiEEEESE_i19const_ref_plus_mod3IiEiEEDaPvRmT3_T4_T5_mT6_P12ihipStream_tbENKUlT_T0_E_clISt17integral_constantIbLb1EESU_EEDaSP_SQ_EUlSP_E_NS1_11comp_targetILNS1_3genE2ELNS1_11target_archE906ELNS1_3gpuE6ELNS1_3repE0EEENS1_30default_config_static_selectorELNS0_4arch9wavefront6targetE1EEEvT1_.kd
    .uniform_work_group_size: 1
    .uses_dynamic_stack: false
    .vgpr_count:     0
    .vgpr_spill_count: 0
    .wavefront_size: 64
  - .agpr_count:     0
    .args:
      - .offset:         0
        .size:           104
        .value_kind:     by_value
    .group_segment_fixed_size: 0
    .kernarg_segment_align: 8
    .kernarg_segment_size: 104
    .language:       OpenCL C
    .language_version:
      - 2
      - 0
    .max_flat_workgroup_size: 256
    .name:           _ZN7rocprim17ROCPRIM_400000_NS6detail17trampoline_kernelINS0_14default_configENS1_20scan_config_selectorIiEEZZNS1_9scan_implILNS1_25lookback_scan_determinismE0ELb0ELb0ES3_N6thrust23THRUST_200600_302600_NS6detail15normal_iteratorINS9_10device_ptrIiEEEESE_i19const_ref_plus_mod3IiEiEEDaPvRmT3_T4_T5_mT6_P12ihipStream_tbENKUlT_T0_E_clISt17integral_constantIbLb1EESU_EEDaSP_SQ_EUlSP_E_NS1_11comp_targetILNS1_3genE10ELNS1_11target_archE1201ELNS1_3gpuE5ELNS1_3repE0EEENS1_30default_config_static_selectorELNS0_4arch9wavefront6targetE1EEEvT1_
    .private_segment_fixed_size: 0
    .sgpr_count:     4
    .sgpr_spill_count: 0
    .symbol:         _ZN7rocprim17ROCPRIM_400000_NS6detail17trampoline_kernelINS0_14default_configENS1_20scan_config_selectorIiEEZZNS1_9scan_implILNS1_25lookback_scan_determinismE0ELb0ELb0ES3_N6thrust23THRUST_200600_302600_NS6detail15normal_iteratorINS9_10device_ptrIiEEEESE_i19const_ref_plus_mod3IiEiEEDaPvRmT3_T4_T5_mT6_P12ihipStream_tbENKUlT_T0_E_clISt17integral_constantIbLb1EESU_EEDaSP_SQ_EUlSP_E_NS1_11comp_targetILNS1_3genE10ELNS1_11target_archE1201ELNS1_3gpuE5ELNS1_3repE0EEENS1_30default_config_static_selectorELNS0_4arch9wavefront6targetE1EEEvT1_.kd
    .uniform_work_group_size: 1
    .uses_dynamic_stack: false
    .vgpr_count:     0
    .vgpr_spill_count: 0
    .wavefront_size: 64
  - .agpr_count:     0
    .args:
      - .offset:         0
        .size:           104
        .value_kind:     by_value
    .group_segment_fixed_size: 0
    .kernarg_segment_align: 8
    .kernarg_segment_size: 104
    .language:       OpenCL C
    .language_version:
      - 2
      - 0
    .max_flat_workgroup_size: 256
    .name:           _ZN7rocprim17ROCPRIM_400000_NS6detail17trampoline_kernelINS0_14default_configENS1_20scan_config_selectorIiEEZZNS1_9scan_implILNS1_25lookback_scan_determinismE0ELb0ELb0ES3_N6thrust23THRUST_200600_302600_NS6detail15normal_iteratorINS9_10device_ptrIiEEEESE_i19const_ref_plus_mod3IiEiEEDaPvRmT3_T4_T5_mT6_P12ihipStream_tbENKUlT_T0_E_clISt17integral_constantIbLb1EESU_EEDaSP_SQ_EUlSP_E_NS1_11comp_targetILNS1_3genE10ELNS1_11target_archE1200ELNS1_3gpuE4ELNS1_3repE0EEENS1_30default_config_static_selectorELNS0_4arch9wavefront6targetE1EEEvT1_
    .private_segment_fixed_size: 0
    .sgpr_count:     4
    .sgpr_spill_count: 0
    .symbol:         _ZN7rocprim17ROCPRIM_400000_NS6detail17trampoline_kernelINS0_14default_configENS1_20scan_config_selectorIiEEZZNS1_9scan_implILNS1_25lookback_scan_determinismE0ELb0ELb0ES3_N6thrust23THRUST_200600_302600_NS6detail15normal_iteratorINS9_10device_ptrIiEEEESE_i19const_ref_plus_mod3IiEiEEDaPvRmT3_T4_T5_mT6_P12ihipStream_tbENKUlT_T0_E_clISt17integral_constantIbLb1EESU_EEDaSP_SQ_EUlSP_E_NS1_11comp_targetILNS1_3genE10ELNS1_11target_archE1200ELNS1_3gpuE4ELNS1_3repE0EEENS1_30default_config_static_selectorELNS0_4arch9wavefront6targetE1EEEvT1_.kd
    .uniform_work_group_size: 1
    .uses_dynamic_stack: false
    .vgpr_count:     0
    .vgpr_spill_count: 0
    .wavefront_size: 64
  - .agpr_count:     0
    .args:
      - .offset:         0
        .size:           104
        .value_kind:     by_value
    .group_segment_fixed_size: 0
    .kernarg_segment_align: 8
    .kernarg_segment_size: 104
    .language:       OpenCL C
    .language_version:
      - 2
      - 0
    .max_flat_workgroup_size: 256
    .name:           _ZN7rocprim17ROCPRIM_400000_NS6detail17trampoline_kernelINS0_14default_configENS1_20scan_config_selectorIiEEZZNS1_9scan_implILNS1_25lookback_scan_determinismE0ELb0ELb0ES3_N6thrust23THRUST_200600_302600_NS6detail15normal_iteratorINS9_10device_ptrIiEEEESE_i19const_ref_plus_mod3IiEiEEDaPvRmT3_T4_T5_mT6_P12ihipStream_tbENKUlT_T0_E_clISt17integral_constantIbLb1EESU_EEDaSP_SQ_EUlSP_E_NS1_11comp_targetILNS1_3genE9ELNS1_11target_archE1100ELNS1_3gpuE3ELNS1_3repE0EEENS1_30default_config_static_selectorELNS0_4arch9wavefront6targetE1EEEvT1_
    .private_segment_fixed_size: 0
    .sgpr_count:     4
    .sgpr_spill_count: 0
    .symbol:         _ZN7rocprim17ROCPRIM_400000_NS6detail17trampoline_kernelINS0_14default_configENS1_20scan_config_selectorIiEEZZNS1_9scan_implILNS1_25lookback_scan_determinismE0ELb0ELb0ES3_N6thrust23THRUST_200600_302600_NS6detail15normal_iteratorINS9_10device_ptrIiEEEESE_i19const_ref_plus_mod3IiEiEEDaPvRmT3_T4_T5_mT6_P12ihipStream_tbENKUlT_T0_E_clISt17integral_constantIbLb1EESU_EEDaSP_SQ_EUlSP_E_NS1_11comp_targetILNS1_3genE9ELNS1_11target_archE1100ELNS1_3gpuE3ELNS1_3repE0EEENS1_30default_config_static_selectorELNS0_4arch9wavefront6targetE1EEEvT1_.kd
    .uniform_work_group_size: 1
    .uses_dynamic_stack: false
    .vgpr_count:     0
    .vgpr_spill_count: 0
    .wavefront_size: 64
  - .agpr_count:     0
    .args:
      - .offset:         0
        .size:           104
        .value_kind:     by_value
    .group_segment_fixed_size: 0
    .kernarg_segment_align: 8
    .kernarg_segment_size: 104
    .language:       OpenCL C
    .language_version:
      - 2
      - 0
    .max_flat_workgroup_size: 64
    .name:           _ZN7rocprim17ROCPRIM_400000_NS6detail17trampoline_kernelINS0_14default_configENS1_20scan_config_selectorIiEEZZNS1_9scan_implILNS1_25lookback_scan_determinismE0ELb0ELb0ES3_N6thrust23THRUST_200600_302600_NS6detail15normal_iteratorINS9_10device_ptrIiEEEESE_i19const_ref_plus_mod3IiEiEEDaPvRmT3_T4_T5_mT6_P12ihipStream_tbENKUlT_T0_E_clISt17integral_constantIbLb1EESU_EEDaSP_SQ_EUlSP_E_NS1_11comp_targetILNS1_3genE8ELNS1_11target_archE1030ELNS1_3gpuE2ELNS1_3repE0EEENS1_30default_config_static_selectorELNS0_4arch9wavefront6targetE1EEEvT1_
    .private_segment_fixed_size: 0
    .sgpr_count:     4
    .sgpr_spill_count: 0
    .symbol:         _ZN7rocprim17ROCPRIM_400000_NS6detail17trampoline_kernelINS0_14default_configENS1_20scan_config_selectorIiEEZZNS1_9scan_implILNS1_25lookback_scan_determinismE0ELb0ELb0ES3_N6thrust23THRUST_200600_302600_NS6detail15normal_iteratorINS9_10device_ptrIiEEEESE_i19const_ref_plus_mod3IiEiEEDaPvRmT3_T4_T5_mT6_P12ihipStream_tbENKUlT_T0_E_clISt17integral_constantIbLb1EESU_EEDaSP_SQ_EUlSP_E_NS1_11comp_targetILNS1_3genE8ELNS1_11target_archE1030ELNS1_3gpuE2ELNS1_3repE0EEENS1_30default_config_static_selectorELNS0_4arch9wavefront6targetE1EEEvT1_.kd
    .uniform_work_group_size: 1
    .uses_dynamic_stack: false
    .vgpr_count:     0
    .vgpr_spill_count: 0
    .wavefront_size: 64
  - .agpr_count:     0
    .args:
      - .offset:         0
        .size:           40
        .value_kind:     by_value
    .group_segment_fixed_size: 0
    .kernarg_segment_align: 8
    .kernarg_segment_size: 40
    .language:       OpenCL C
    .language_version:
      - 2
      - 0
    .max_flat_workgroup_size: 256
    .name:           _ZN7rocprim17ROCPRIM_400000_NS6detail17trampoline_kernelINS0_14default_configENS1_20scan_config_selectorIiEEZZNS1_9scan_implILNS1_25lookback_scan_determinismE0ELb0ELb0ES3_N6thrust23THRUST_200600_302600_NS6detail15normal_iteratorINS9_10device_ptrIiEEEESE_i19const_ref_plus_mod3IiEiEEDaPvRmT3_T4_T5_mT6_P12ihipStream_tbENKUlT_T0_E_clISt17integral_constantIbLb1EESU_EEDaSP_SQ_EUlSP_E0_NS1_11comp_targetILNS1_3genE0ELNS1_11target_archE4294967295ELNS1_3gpuE0ELNS1_3repE0EEENS1_30default_config_static_selectorELNS0_4arch9wavefront6targetE1EEEvT1_
    .private_segment_fixed_size: 0
    .sgpr_count:     4
    .sgpr_spill_count: 0
    .symbol:         _ZN7rocprim17ROCPRIM_400000_NS6detail17trampoline_kernelINS0_14default_configENS1_20scan_config_selectorIiEEZZNS1_9scan_implILNS1_25lookback_scan_determinismE0ELb0ELb0ES3_N6thrust23THRUST_200600_302600_NS6detail15normal_iteratorINS9_10device_ptrIiEEEESE_i19const_ref_plus_mod3IiEiEEDaPvRmT3_T4_T5_mT6_P12ihipStream_tbENKUlT_T0_E_clISt17integral_constantIbLb1EESU_EEDaSP_SQ_EUlSP_E0_NS1_11comp_targetILNS1_3genE0ELNS1_11target_archE4294967295ELNS1_3gpuE0ELNS1_3repE0EEENS1_30default_config_static_selectorELNS0_4arch9wavefront6targetE1EEEvT1_.kd
    .uniform_work_group_size: 1
    .uses_dynamic_stack: false
    .vgpr_count:     0
    .vgpr_spill_count: 0
    .wavefront_size: 64
  - .agpr_count:     0
    .args:
      - .offset:         0
        .size:           40
        .value_kind:     by_value
    .group_segment_fixed_size: 0
    .kernarg_segment_align: 8
    .kernarg_segment_size: 40
    .language:       OpenCL C
    .language_version:
      - 2
      - 0
    .max_flat_workgroup_size: 256
    .name:           _ZN7rocprim17ROCPRIM_400000_NS6detail17trampoline_kernelINS0_14default_configENS1_20scan_config_selectorIiEEZZNS1_9scan_implILNS1_25lookback_scan_determinismE0ELb0ELb0ES3_N6thrust23THRUST_200600_302600_NS6detail15normal_iteratorINS9_10device_ptrIiEEEESE_i19const_ref_plus_mod3IiEiEEDaPvRmT3_T4_T5_mT6_P12ihipStream_tbENKUlT_T0_E_clISt17integral_constantIbLb1EESU_EEDaSP_SQ_EUlSP_E0_NS1_11comp_targetILNS1_3genE5ELNS1_11target_archE942ELNS1_3gpuE9ELNS1_3repE0EEENS1_30default_config_static_selectorELNS0_4arch9wavefront6targetE1EEEvT1_
    .private_segment_fixed_size: 0
    .sgpr_count:     4
    .sgpr_spill_count: 0
    .symbol:         _ZN7rocprim17ROCPRIM_400000_NS6detail17trampoline_kernelINS0_14default_configENS1_20scan_config_selectorIiEEZZNS1_9scan_implILNS1_25lookback_scan_determinismE0ELb0ELb0ES3_N6thrust23THRUST_200600_302600_NS6detail15normal_iteratorINS9_10device_ptrIiEEEESE_i19const_ref_plus_mod3IiEiEEDaPvRmT3_T4_T5_mT6_P12ihipStream_tbENKUlT_T0_E_clISt17integral_constantIbLb1EESU_EEDaSP_SQ_EUlSP_E0_NS1_11comp_targetILNS1_3genE5ELNS1_11target_archE942ELNS1_3gpuE9ELNS1_3repE0EEENS1_30default_config_static_selectorELNS0_4arch9wavefront6targetE1EEEvT1_.kd
    .uniform_work_group_size: 1
    .uses_dynamic_stack: false
    .vgpr_count:     0
    .vgpr_spill_count: 0
    .wavefront_size: 64
  - .agpr_count:     0
    .args:
      - .offset:         0
        .size:           40
        .value_kind:     by_value
    .group_segment_fixed_size: 5120
    .kernarg_segment_align: 8
    .kernarg_segment_size: 40
    .language:       OpenCL C
    .language_version:
      - 2
      - 0
    .max_flat_workgroup_size: 128
    .name:           _ZN7rocprim17ROCPRIM_400000_NS6detail17trampoline_kernelINS0_14default_configENS1_20scan_config_selectorIiEEZZNS1_9scan_implILNS1_25lookback_scan_determinismE0ELb0ELb0ES3_N6thrust23THRUST_200600_302600_NS6detail15normal_iteratorINS9_10device_ptrIiEEEESE_i19const_ref_plus_mod3IiEiEEDaPvRmT3_T4_T5_mT6_P12ihipStream_tbENKUlT_T0_E_clISt17integral_constantIbLb1EESU_EEDaSP_SQ_EUlSP_E0_NS1_11comp_targetILNS1_3genE4ELNS1_11target_archE910ELNS1_3gpuE8ELNS1_3repE0EEENS1_30default_config_static_selectorELNS0_4arch9wavefront6targetE1EEEvT1_
    .private_segment_fixed_size: 0
    .sgpr_count:     32
    .sgpr_spill_count: 0
    .symbol:         _ZN7rocprim17ROCPRIM_400000_NS6detail17trampoline_kernelINS0_14default_configENS1_20scan_config_selectorIiEEZZNS1_9scan_implILNS1_25lookback_scan_determinismE0ELb0ELb0ES3_N6thrust23THRUST_200600_302600_NS6detail15normal_iteratorINS9_10device_ptrIiEEEESE_i19const_ref_plus_mod3IiEiEEDaPvRmT3_T4_T5_mT6_P12ihipStream_tbENKUlT_T0_E_clISt17integral_constantIbLb1EESU_EEDaSP_SQ_EUlSP_E0_NS1_11comp_targetILNS1_3genE4ELNS1_11target_archE910ELNS1_3gpuE8ELNS1_3repE0EEENS1_30default_config_static_selectorELNS0_4arch9wavefront6targetE1EEEvT1_.kd
    .uniform_work_group_size: 1
    .uses_dynamic_stack: false
    .vgpr_count:     22
    .vgpr_spill_count: 0
    .wavefront_size: 64
  - .agpr_count:     0
    .args:
      - .offset:         0
        .size:           40
        .value_kind:     by_value
    .group_segment_fixed_size: 0
    .kernarg_segment_align: 8
    .kernarg_segment_size: 40
    .language:       OpenCL C
    .language_version:
      - 2
      - 0
    .max_flat_workgroup_size: 256
    .name:           _ZN7rocprim17ROCPRIM_400000_NS6detail17trampoline_kernelINS0_14default_configENS1_20scan_config_selectorIiEEZZNS1_9scan_implILNS1_25lookback_scan_determinismE0ELb0ELb0ES3_N6thrust23THRUST_200600_302600_NS6detail15normal_iteratorINS9_10device_ptrIiEEEESE_i19const_ref_plus_mod3IiEiEEDaPvRmT3_T4_T5_mT6_P12ihipStream_tbENKUlT_T0_E_clISt17integral_constantIbLb1EESU_EEDaSP_SQ_EUlSP_E0_NS1_11comp_targetILNS1_3genE3ELNS1_11target_archE908ELNS1_3gpuE7ELNS1_3repE0EEENS1_30default_config_static_selectorELNS0_4arch9wavefront6targetE1EEEvT1_
    .private_segment_fixed_size: 0
    .sgpr_count:     4
    .sgpr_spill_count: 0
    .symbol:         _ZN7rocprim17ROCPRIM_400000_NS6detail17trampoline_kernelINS0_14default_configENS1_20scan_config_selectorIiEEZZNS1_9scan_implILNS1_25lookback_scan_determinismE0ELb0ELb0ES3_N6thrust23THRUST_200600_302600_NS6detail15normal_iteratorINS9_10device_ptrIiEEEESE_i19const_ref_plus_mod3IiEiEEDaPvRmT3_T4_T5_mT6_P12ihipStream_tbENKUlT_T0_E_clISt17integral_constantIbLb1EESU_EEDaSP_SQ_EUlSP_E0_NS1_11comp_targetILNS1_3genE3ELNS1_11target_archE908ELNS1_3gpuE7ELNS1_3repE0EEENS1_30default_config_static_selectorELNS0_4arch9wavefront6targetE1EEEvT1_.kd
    .uniform_work_group_size: 1
    .uses_dynamic_stack: false
    .vgpr_count:     0
    .vgpr_spill_count: 0
    .wavefront_size: 64
  - .agpr_count:     0
    .args:
      - .offset:         0
        .size:           40
        .value_kind:     by_value
    .group_segment_fixed_size: 0
    .kernarg_segment_align: 8
    .kernarg_segment_size: 40
    .language:       OpenCL C
    .language_version:
      - 2
      - 0
    .max_flat_workgroup_size: 256
    .name:           _ZN7rocprim17ROCPRIM_400000_NS6detail17trampoline_kernelINS0_14default_configENS1_20scan_config_selectorIiEEZZNS1_9scan_implILNS1_25lookback_scan_determinismE0ELb0ELb0ES3_N6thrust23THRUST_200600_302600_NS6detail15normal_iteratorINS9_10device_ptrIiEEEESE_i19const_ref_plus_mod3IiEiEEDaPvRmT3_T4_T5_mT6_P12ihipStream_tbENKUlT_T0_E_clISt17integral_constantIbLb1EESU_EEDaSP_SQ_EUlSP_E0_NS1_11comp_targetILNS1_3genE2ELNS1_11target_archE906ELNS1_3gpuE6ELNS1_3repE0EEENS1_30default_config_static_selectorELNS0_4arch9wavefront6targetE1EEEvT1_
    .private_segment_fixed_size: 0
    .sgpr_count:     4
    .sgpr_spill_count: 0
    .symbol:         _ZN7rocprim17ROCPRIM_400000_NS6detail17trampoline_kernelINS0_14default_configENS1_20scan_config_selectorIiEEZZNS1_9scan_implILNS1_25lookback_scan_determinismE0ELb0ELb0ES3_N6thrust23THRUST_200600_302600_NS6detail15normal_iteratorINS9_10device_ptrIiEEEESE_i19const_ref_plus_mod3IiEiEEDaPvRmT3_T4_T5_mT6_P12ihipStream_tbENKUlT_T0_E_clISt17integral_constantIbLb1EESU_EEDaSP_SQ_EUlSP_E0_NS1_11comp_targetILNS1_3genE2ELNS1_11target_archE906ELNS1_3gpuE6ELNS1_3repE0EEENS1_30default_config_static_selectorELNS0_4arch9wavefront6targetE1EEEvT1_.kd
    .uniform_work_group_size: 1
    .uses_dynamic_stack: false
    .vgpr_count:     0
    .vgpr_spill_count: 0
    .wavefront_size: 64
  - .agpr_count:     0
    .args:
      - .offset:         0
        .size:           40
        .value_kind:     by_value
    .group_segment_fixed_size: 0
    .kernarg_segment_align: 8
    .kernarg_segment_size: 40
    .language:       OpenCL C
    .language_version:
      - 2
      - 0
    .max_flat_workgroup_size: 256
    .name:           _ZN7rocprim17ROCPRIM_400000_NS6detail17trampoline_kernelINS0_14default_configENS1_20scan_config_selectorIiEEZZNS1_9scan_implILNS1_25lookback_scan_determinismE0ELb0ELb0ES3_N6thrust23THRUST_200600_302600_NS6detail15normal_iteratorINS9_10device_ptrIiEEEESE_i19const_ref_plus_mod3IiEiEEDaPvRmT3_T4_T5_mT6_P12ihipStream_tbENKUlT_T0_E_clISt17integral_constantIbLb1EESU_EEDaSP_SQ_EUlSP_E0_NS1_11comp_targetILNS1_3genE10ELNS1_11target_archE1201ELNS1_3gpuE5ELNS1_3repE0EEENS1_30default_config_static_selectorELNS0_4arch9wavefront6targetE1EEEvT1_
    .private_segment_fixed_size: 0
    .sgpr_count:     4
    .sgpr_spill_count: 0
    .symbol:         _ZN7rocprim17ROCPRIM_400000_NS6detail17trampoline_kernelINS0_14default_configENS1_20scan_config_selectorIiEEZZNS1_9scan_implILNS1_25lookback_scan_determinismE0ELb0ELb0ES3_N6thrust23THRUST_200600_302600_NS6detail15normal_iteratorINS9_10device_ptrIiEEEESE_i19const_ref_plus_mod3IiEiEEDaPvRmT3_T4_T5_mT6_P12ihipStream_tbENKUlT_T0_E_clISt17integral_constantIbLb1EESU_EEDaSP_SQ_EUlSP_E0_NS1_11comp_targetILNS1_3genE10ELNS1_11target_archE1201ELNS1_3gpuE5ELNS1_3repE0EEENS1_30default_config_static_selectorELNS0_4arch9wavefront6targetE1EEEvT1_.kd
    .uniform_work_group_size: 1
    .uses_dynamic_stack: false
    .vgpr_count:     0
    .vgpr_spill_count: 0
    .wavefront_size: 64
  - .agpr_count:     0
    .args:
      - .offset:         0
        .size:           40
        .value_kind:     by_value
    .group_segment_fixed_size: 0
    .kernarg_segment_align: 8
    .kernarg_segment_size: 40
    .language:       OpenCL C
    .language_version:
      - 2
      - 0
    .max_flat_workgroup_size: 256
    .name:           _ZN7rocprim17ROCPRIM_400000_NS6detail17trampoline_kernelINS0_14default_configENS1_20scan_config_selectorIiEEZZNS1_9scan_implILNS1_25lookback_scan_determinismE0ELb0ELb0ES3_N6thrust23THRUST_200600_302600_NS6detail15normal_iteratorINS9_10device_ptrIiEEEESE_i19const_ref_plus_mod3IiEiEEDaPvRmT3_T4_T5_mT6_P12ihipStream_tbENKUlT_T0_E_clISt17integral_constantIbLb1EESU_EEDaSP_SQ_EUlSP_E0_NS1_11comp_targetILNS1_3genE10ELNS1_11target_archE1200ELNS1_3gpuE4ELNS1_3repE0EEENS1_30default_config_static_selectorELNS0_4arch9wavefront6targetE1EEEvT1_
    .private_segment_fixed_size: 0
    .sgpr_count:     4
    .sgpr_spill_count: 0
    .symbol:         _ZN7rocprim17ROCPRIM_400000_NS6detail17trampoline_kernelINS0_14default_configENS1_20scan_config_selectorIiEEZZNS1_9scan_implILNS1_25lookback_scan_determinismE0ELb0ELb0ES3_N6thrust23THRUST_200600_302600_NS6detail15normal_iteratorINS9_10device_ptrIiEEEESE_i19const_ref_plus_mod3IiEiEEDaPvRmT3_T4_T5_mT6_P12ihipStream_tbENKUlT_T0_E_clISt17integral_constantIbLb1EESU_EEDaSP_SQ_EUlSP_E0_NS1_11comp_targetILNS1_3genE10ELNS1_11target_archE1200ELNS1_3gpuE4ELNS1_3repE0EEENS1_30default_config_static_selectorELNS0_4arch9wavefront6targetE1EEEvT1_.kd
    .uniform_work_group_size: 1
    .uses_dynamic_stack: false
    .vgpr_count:     0
    .vgpr_spill_count: 0
    .wavefront_size: 64
  - .agpr_count:     0
    .args:
      - .offset:         0
        .size:           40
        .value_kind:     by_value
    .group_segment_fixed_size: 0
    .kernarg_segment_align: 8
    .kernarg_segment_size: 40
    .language:       OpenCL C
    .language_version:
      - 2
      - 0
    .max_flat_workgroup_size: 256
    .name:           _ZN7rocprim17ROCPRIM_400000_NS6detail17trampoline_kernelINS0_14default_configENS1_20scan_config_selectorIiEEZZNS1_9scan_implILNS1_25lookback_scan_determinismE0ELb0ELb0ES3_N6thrust23THRUST_200600_302600_NS6detail15normal_iteratorINS9_10device_ptrIiEEEESE_i19const_ref_plus_mod3IiEiEEDaPvRmT3_T4_T5_mT6_P12ihipStream_tbENKUlT_T0_E_clISt17integral_constantIbLb1EESU_EEDaSP_SQ_EUlSP_E0_NS1_11comp_targetILNS1_3genE9ELNS1_11target_archE1100ELNS1_3gpuE3ELNS1_3repE0EEENS1_30default_config_static_selectorELNS0_4arch9wavefront6targetE1EEEvT1_
    .private_segment_fixed_size: 0
    .sgpr_count:     4
    .sgpr_spill_count: 0
    .symbol:         _ZN7rocprim17ROCPRIM_400000_NS6detail17trampoline_kernelINS0_14default_configENS1_20scan_config_selectorIiEEZZNS1_9scan_implILNS1_25lookback_scan_determinismE0ELb0ELb0ES3_N6thrust23THRUST_200600_302600_NS6detail15normal_iteratorINS9_10device_ptrIiEEEESE_i19const_ref_plus_mod3IiEiEEDaPvRmT3_T4_T5_mT6_P12ihipStream_tbENKUlT_T0_E_clISt17integral_constantIbLb1EESU_EEDaSP_SQ_EUlSP_E0_NS1_11comp_targetILNS1_3genE9ELNS1_11target_archE1100ELNS1_3gpuE3ELNS1_3repE0EEENS1_30default_config_static_selectorELNS0_4arch9wavefront6targetE1EEEvT1_.kd
    .uniform_work_group_size: 1
    .uses_dynamic_stack: false
    .vgpr_count:     0
    .vgpr_spill_count: 0
    .wavefront_size: 64
  - .agpr_count:     0
    .args:
      - .offset:         0
        .size:           40
        .value_kind:     by_value
    .group_segment_fixed_size: 0
    .kernarg_segment_align: 8
    .kernarg_segment_size: 40
    .language:       OpenCL C
    .language_version:
      - 2
      - 0
    .max_flat_workgroup_size: 64
    .name:           _ZN7rocprim17ROCPRIM_400000_NS6detail17trampoline_kernelINS0_14default_configENS1_20scan_config_selectorIiEEZZNS1_9scan_implILNS1_25lookback_scan_determinismE0ELb0ELb0ES3_N6thrust23THRUST_200600_302600_NS6detail15normal_iteratorINS9_10device_ptrIiEEEESE_i19const_ref_plus_mod3IiEiEEDaPvRmT3_T4_T5_mT6_P12ihipStream_tbENKUlT_T0_E_clISt17integral_constantIbLb1EESU_EEDaSP_SQ_EUlSP_E0_NS1_11comp_targetILNS1_3genE8ELNS1_11target_archE1030ELNS1_3gpuE2ELNS1_3repE0EEENS1_30default_config_static_selectorELNS0_4arch9wavefront6targetE1EEEvT1_
    .private_segment_fixed_size: 0
    .sgpr_count:     4
    .sgpr_spill_count: 0
    .symbol:         _ZN7rocprim17ROCPRIM_400000_NS6detail17trampoline_kernelINS0_14default_configENS1_20scan_config_selectorIiEEZZNS1_9scan_implILNS1_25lookback_scan_determinismE0ELb0ELb0ES3_N6thrust23THRUST_200600_302600_NS6detail15normal_iteratorINS9_10device_ptrIiEEEESE_i19const_ref_plus_mod3IiEiEEDaPvRmT3_T4_T5_mT6_P12ihipStream_tbENKUlT_T0_E_clISt17integral_constantIbLb1EESU_EEDaSP_SQ_EUlSP_E0_NS1_11comp_targetILNS1_3genE8ELNS1_11target_archE1030ELNS1_3gpuE2ELNS1_3repE0EEENS1_30default_config_static_selectorELNS0_4arch9wavefront6targetE1EEEvT1_.kd
    .uniform_work_group_size: 1
    .uses_dynamic_stack: false
    .vgpr_count:     0
    .vgpr_spill_count: 0
    .wavefront_size: 64
  - .agpr_count:     0
    .args:
      - .offset:         0
        .size:           104
        .value_kind:     by_value
    .group_segment_fixed_size: 0
    .kernarg_segment_align: 8
    .kernarg_segment_size: 104
    .language:       OpenCL C
    .language_version:
      - 2
      - 0
    .max_flat_workgroup_size: 256
    .name:           _ZN7rocprim17ROCPRIM_400000_NS6detail17trampoline_kernelINS0_14default_configENS1_20scan_config_selectorIiEEZZNS1_9scan_implILNS1_25lookback_scan_determinismE0ELb0ELb0ES3_N6thrust23THRUST_200600_302600_NS6detail15normal_iteratorINS9_10device_ptrIiEEEESE_i19const_ref_plus_mod3IiEiEEDaPvRmT3_T4_T5_mT6_P12ihipStream_tbENKUlT_T0_E_clISt17integral_constantIbLb1EEST_IbLb0EEEEDaSP_SQ_EUlSP_E_NS1_11comp_targetILNS1_3genE0ELNS1_11target_archE4294967295ELNS1_3gpuE0ELNS1_3repE0EEENS1_30default_config_static_selectorELNS0_4arch9wavefront6targetE1EEEvT1_
    .private_segment_fixed_size: 0
    .sgpr_count:     4
    .sgpr_spill_count: 0
    .symbol:         _ZN7rocprim17ROCPRIM_400000_NS6detail17trampoline_kernelINS0_14default_configENS1_20scan_config_selectorIiEEZZNS1_9scan_implILNS1_25lookback_scan_determinismE0ELb0ELb0ES3_N6thrust23THRUST_200600_302600_NS6detail15normal_iteratorINS9_10device_ptrIiEEEESE_i19const_ref_plus_mod3IiEiEEDaPvRmT3_T4_T5_mT6_P12ihipStream_tbENKUlT_T0_E_clISt17integral_constantIbLb1EEST_IbLb0EEEEDaSP_SQ_EUlSP_E_NS1_11comp_targetILNS1_3genE0ELNS1_11target_archE4294967295ELNS1_3gpuE0ELNS1_3repE0EEENS1_30default_config_static_selectorELNS0_4arch9wavefront6targetE1EEEvT1_.kd
    .uniform_work_group_size: 1
    .uses_dynamic_stack: false
    .vgpr_count:     0
    .vgpr_spill_count: 0
    .wavefront_size: 64
  - .agpr_count:     0
    .args:
      - .offset:         0
        .size:           104
        .value_kind:     by_value
    .group_segment_fixed_size: 0
    .kernarg_segment_align: 8
    .kernarg_segment_size: 104
    .language:       OpenCL C
    .language_version:
      - 2
      - 0
    .max_flat_workgroup_size: 256
    .name:           _ZN7rocprim17ROCPRIM_400000_NS6detail17trampoline_kernelINS0_14default_configENS1_20scan_config_selectorIiEEZZNS1_9scan_implILNS1_25lookback_scan_determinismE0ELb0ELb0ES3_N6thrust23THRUST_200600_302600_NS6detail15normal_iteratorINS9_10device_ptrIiEEEESE_i19const_ref_plus_mod3IiEiEEDaPvRmT3_T4_T5_mT6_P12ihipStream_tbENKUlT_T0_E_clISt17integral_constantIbLb1EEST_IbLb0EEEEDaSP_SQ_EUlSP_E_NS1_11comp_targetILNS1_3genE5ELNS1_11target_archE942ELNS1_3gpuE9ELNS1_3repE0EEENS1_30default_config_static_selectorELNS0_4arch9wavefront6targetE1EEEvT1_
    .private_segment_fixed_size: 0
    .sgpr_count:     4
    .sgpr_spill_count: 0
    .symbol:         _ZN7rocprim17ROCPRIM_400000_NS6detail17trampoline_kernelINS0_14default_configENS1_20scan_config_selectorIiEEZZNS1_9scan_implILNS1_25lookback_scan_determinismE0ELb0ELb0ES3_N6thrust23THRUST_200600_302600_NS6detail15normal_iteratorINS9_10device_ptrIiEEEESE_i19const_ref_plus_mod3IiEiEEDaPvRmT3_T4_T5_mT6_P12ihipStream_tbENKUlT_T0_E_clISt17integral_constantIbLb1EEST_IbLb0EEEEDaSP_SQ_EUlSP_E_NS1_11comp_targetILNS1_3genE5ELNS1_11target_archE942ELNS1_3gpuE9ELNS1_3repE0EEENS1_30default_config_static_selectorELNS0_4arch9wavefront6targetE1EEEvT1_.kd
    .uniform_work_group_size: 1
    .uses_dynamic_stack: false
    .vgpr_count:     0
    .vgpr_spill_count: 0
    .wavefront_size: 64
  - .agpr_count:     0
    .args:
      - .offset:         0
        .size:           104
        .value_kind:     by_value
    .group_segment_fixed_size: 5120
    .kernarg_segment_align: 8
    .kernarg_segment_size: 104
    .language:       OpenCL C
    .language_version:
      - 2
      - 0
    .max_flat_workgroup_size: 128
    .name:           _ZN7rocprim17ROCPRIM_400000_NS6detail17trampoline_kernelINS0_14default_configENS1_20scan_config_selectorIiEEZZNS1_9scan_implILNS1_25lookback_scan_determinismE0ELb0ELb0ES3_N6thrust23THRUST_200600_302600_NS6detail15normal_iteratorINS9_10device_ptrIiEEEESE_i19const_ref_plus_mod3IiEiEEDaPvRmT3_T4_T5_mT6_P12ihipStream_tbENKUlT_T0_E_clISt17integral_constantIbLb1EEST_IbLb0EEEEDaSP_SQ_EUlSP_E_NS1_11comp_targetILNS1_3genE4ELNS1_11target_archE910ELNS1_3gpuE8ELNS1_3repE0EEENS1_30default_config_static_selectorELNS0_4arch9wavefront6targetE1EEEvT1_
    .private_segment_fixed_size: 0
    .sgpr_count:     44
    .sgpr_spill_count: 0
    .symbol:         _ZN7rocprim17ROCPRIM_400000_NS6detail17trampoline_kernelINS0_14default_configENS1_20scan_config_selectorIiEEZZNS1_9scan_implILNS1_25lookback_scan_determinismE0ELb0ELb0ES3_N6thrust23THRUST_200600_302600_NS6detail15normal_iteratorINS9_10device_ptrIiEEEESE_i19const_ref_plus_mod3IiEiEEDaPvRmT3_T4_T5_mT6_P12ihipStream_tbENKUlT_T0_E_clISt17integral_constantIbLb1EEST_IbLb0EEEEDaSP_SQ_EUlSP_E_NS1_11comp_targetILNS1_3genE4ELNS1_11target_archE910ELNS1_3gpuE8ELNS1_3repE0EEENS1_30default_config_static_selectorELNS0_4arch9wavefront6targetE1EEEvT1_.kd
    .uniform_work_group_size: 1
    .uses_dynamic_stack: false
    .vgpr_count:     42
    .vgpr_spill_count: 0
    .wavefront_size: 64
  - .agpr_count:     0
    .args:
      - .offset:         0
        .size:           104
        .value_kind:     by_value
    .group_segment_fixed_size: 0
    .kernarg_segment_align: 8
    .kernarg_segment_size: 104
    .language:       OpenCL C
    .language_version:
      - 2
      - 0
    .max_flat_workgroup_size: 256
    .name:           _ZN7rocprim17ROCPRIM_400000_NS6detail17trampoline_kernelINS0_14default_configENS1_20scan_config_selectorIiEEZZNS1_9scan_implILNS1_25lookback_scan_determinismE0ELb0ELb0ES3_N6thrust23THRUST_200600_302600_NS6detail15normal_iteratorINS9_10device_ptrIiEEEESE_i19const_ref_plus_mod3IiEiEEDaPvRmT3_T4_T5_mT6_P12ihipStream_tbENKUlT_T0_E_clISt17integral_constantIbLb1EEST_IbLb0EEEEDaSP_SQ_EUlSP_E_NS1_11comp_targetILNS1_3genE3ELNS1_11target_archE908ELNS1_3gpuE7ELNS1_3repE0EEENS1_30default_config_static_selectorELNS0_4arch9wavefront6targetE1EEEvT1_
    .private_segment_fixed_size: 0
    .sgpr_count:     4
    .sgpr_spill_count: 0
    .symbol:         _ZN7rocprim17ROCPRIM_400000_NS6detail17trampoline_kernelINS0_14default_configENS1_20scan_config_selectorIiEEZZNS1_9scan_implILNS1_25lookback_scan_determinismE0ELb0ELb0ES3_N6thrust23THRUST_200600_302600_NS6detail15normal_iteratorINS9_10device_ptrIiEEEESE_i19const_ref_plus_mod3IiEiEEDaPvRmT3_T4_T5_mT6_P12ihipStream_tbENKUlT_T0_E_clISt17integral_constantIbLb1EEST_IbLb0EEEEDaSP_SQ_EUlSP_E_NS1_11comp_targetILNS1_3genE3ELNS1_11target_archE908ELNS1_3gpuE7ELNS1_3repE0EEENS1_30default_config_static_selectorELNS0_4arch9wavefront6targetE1EEEvT1_.kd
    .uniform_work_group_size: 1
    .uses_dynamic_stack: false
    .vgpr_count:     0
    .vgpr_spill_count: 0
    .wavefront_size: 64
  - .agpr_count:     0
    .args:
      - .offset:         0
        .size:           104
        .value_kind:     by_value
    .group_segment_fixed_size: 0
    .kernarg_segment_align: 8
    .kernarg_segment_size: 104
    .language:       OpenCL C
    .language_version:
      - 2
      - 0
    .max_flat_workgroup_size: 256
    .name:           _ZN7rocprim17ROCPRIM_400000_NS6detail17trampoline_kernelINS0_14default_configENS1_20scan_config_selectorIiEEZZNS1_9scan_implILNS1_25lookback_scan_determinismE0ELb0ELb0ES3_N6thrust23THRUST_200600_302600_NS6detail15normal_iteratorINS9_10device_ptrIiEEEESE_i19const_ref_plus_mod3IiEiEEDaPvRmT3_T4_T5_mT6_P12ihipStream_tbENKUlT_T0_E_clISt17integral_constantIbLb1EEST_IbLb0EEEEDaSP_SQ_EUlSP_E_NS1_11comp_targetILNS1_3genE2ELNS1_11target_archE906ELNS1_3gpuE6ELNS1_3repE0EEENS1_30default_config_static_selectorELNS0_4arch9wavefront6targetE1EEEvT1_
    .private_segment_fixed_size: 0
    .sgpr_count:     4
    .sgpr_spill_count: 0
    .symbol:         _ZN7rocprim17ROCPRIM_400000_NS6detail17trampoline_kernelINS0_14default_configENS1_20scan_config_selectorIiEEZZNS1_9scan_implILNS1_25lookback_scan_determinismE0ELb0ELb0ES3_N6thrust23THRUST_200600_302600_NS6detail15normal_iteratorINS9_10device_ptrIiEEEESE_i19const_ref_plus_mod3IiEiEEDaPvRmT3_T4_T5_mT6_P12ihipStream_tbENKUlT_T0_E_clISt17integral_constantIbLb1EEST_IbLb0EEEEDaSP_SQ_EUlSP_E_NS1_11comp_targetILNS1_3genE2ELNS1_11target_archE906ELNS1_3gpuE6ELNS1_3repE0EEENS1_30default_config_static_selectorELNS0_4arch9wavefront6targetE1EEEvT1_.kd
    .uniform_work_group_size: 1
    .uses_dynamic_stack: false
    .vgpr_count:     0
    .vgpr_spill_count: 0
    .wavefront_size: 64
  - .agpr_count:     0
    .args:
      - .offset:         0
        .size:           104
        .value_kind:     by_value
    .group_segment_fixed_size: 0
    .kernarg_segment_align: 8
    .kernarg_segment_size: 104
    .language:       OpenCL C
    .language_version:
      - 2
      - 0
    .max_flat_workgroup_size: 256
    .name:           _ZN7rocprim17ROCPRIM_400000_NS6detail17trampoline_kernelINS0_14default_configENS1_20scan_config_selectorIiEEZZNS1_9scan_implILNS1_25lookback_scan_determinismE0ELb0ELb0ES3_N6thrust23THRUST_200600_302600_NS6detail15normal_iteratorINS9_10device_ptrIiEEEESE_i19const_ref_plus_mod3IiEiEEDaPvRmT3_T4_T5_mT6_P12ihipStream_tbENKUlT_T0_E_clISt17integral_constantIbLb1EEST_IbLb0EEEEDaSP_SQ_EUlSP_E_NS1_11comp_targetILNS1_3genE10ELNS1_11target_archE1201ELNS1_3gpuE5ELNS1_3repE0EEENS1_30default_config_static_selectorELNS0_4arch9wavefront6targetE1EEEvT1_
    .private_segment_fixed_size: 0
    .sgpr_count:     4
    .sgpr_spill_count: 0
    .symbol:         _ZN7rocprim17ROCPRIM_400000_NS6detail17trampoline_kernelINS0_14default_configENS1_20scan_config_selectorIiEEZZNS1_9scan_implILNS1_25lookback_scan_determinismE0ELb0ELb0ES3_N6thrust23THRUST_200600_302600_NS6detail15normal_iteratorINS9_10device_ptrIiEEEESE_i19const_ref_plus_mod3IiEiEEDaPvRmT3_T4_T5_mT6_P12ihipStream_tbENKUlT_T0_E_clISt17integral_constantIbLb1EEST_IbLb0EEEEDaSP_SQ_EUlSP_E_NS1_11comp_targetILNS1_3genE10ELNS1_11target_archE1201ELNS1_3gpuE5ELNS1_3repE0EEENS1_30default_config_static_selectorELNS0_4arch9wavefront6targetE1EEEvT1_.kd
    .uniform_work_group_size: 1
    .uses_dynamic_stack: false
    .vgpr_count:     0
    .vgpr_spill_count: 0
    .wavefront_size: 64
  - .agpr_count:     0
    .args:
      - .offset:         0
        .size:           104
        .value_kind:     by_value
    .group_segment_fixed_size: 0
    .kernarg_segment_align: 8
    .kernarg_segment_size: 104
    .language:       OpenCL C
    .language_version:
      - 2
      - 0
    .max_flat_workgroup_size: 256
    .name:           _ZN7rocprim17ROCPRIM_400000_NS6detail17trampoline_kernelINS0_14default_configENS1_20scan_config_selectorIiEEZZNS1_9scan_implILNS1_25lookback_scan_determinismE0ELb0ELb0ES3_N6thrust23THRUST_200600_302600_NS6detail15normal_iteratorINS9_10device_ptrIiEEEESE_i19const_ref_plus_mod3IiEiEEDaPvRmT3_T4_T5_mT6_P12ihipStream_tbENKUlT_T0_E_clISt17integral_constantIbLb1EEST_IbLb0EEEEDaSP_SQ_EUlSP_E_NS1_11comp_targetILNS1_3genE10ELNS1_11target_archE1200ELNS1_3gpuE4ELNS1_3repE0EEENS1_30default_config_static_selectorELNS0_4arch9wavefront6targetE1EEEvT1_
    .private_segment_fixed_size: 0
    .sgpr_count:     4
    .sgpr_spill_count: 0
    .symbol:         _ZN7rocprim17ROCPRIM_400000_NS6detail17trampoline_kernelINS0_14default_configENS1_20scan_config_selectorIiEEZZNS1_9scan_implILNS1_25lookback_scan_determinismE0ELb0ELb0ES3_N6thrust23THRUST_200600_302600_NS6detail15normal_iteratorINS9_10device_ptrIiEEEESE_i19const_ref_plus_mod3IiEiEEDaPvRmT3_T4_T5_mT6_P12ihipStream_tbENKUlT_T0_E_clISt17integral_constantIbLb1EEST_IbLb0EEEEDaSP_SQ_EUlSP_E_NS1_11comp_targetILNS1_3genE10ELNS1_11target_archE1200ELNS1_3gpuE4ELNS1_3repE0EEENS1_30default_config_static_selectorELNS0_4arch9wavefront6targetE1EEEvT1_.kd
    .uniform_work_group_size: 1
    .uses_dynamic_stack: false
    .vgpr_count:     0
    .vgpr_spill_count: 0
    .wavefront_size: 64
  - .agpr_count:     0
    .args:
      - .offset:         0
        .size:           104
        .value_kind:     by_value
    .group_segment_fixed_size: 0
    .kernarg_segment_align: 8
    .kernarg_segment_size: 104
    .language:       OpenCL C
    .language_version:
      - 2
      - 0
    .max_flat_workgroup_size: 256
    .name:           _ZN7rocprim17ROCPRIM_400000_NS6detail17trampoline_kernelINS0_14default_configENS1_20scan_config_selectorIiEEZZNS1_9scan_implILNS1_25lookback_scan_determinismE0ELb0ELb0ES3_N6thrust23THRUST_200600_302600_NS6detail15normal_iteratorINS9_10device_ptrIiEEEESE_i19const_ref_plus_mod3IiEiEEDaPvRmT3_T4_T5_mT6_P12ihipStream_tbENKUlT_T0_E_clISt17integral_constantIbLb1EEST_IbLb0EEEEDaSP_SQ_EUlSP_E_NS1_11comp_targetILNS1_3genE9ELNS1_11target_archE1100ELNS1_3gpuE3ELNS1_3repE0EEENS1_30default_config_static_selectorELNS0_4arch9wavefront6targetE1EEEvT1_
    .private_segment_fixed_size: 0
    .sgpr_count:     4
    .sgpr_spill_count: 0
    .symbol:         _ZN7rocprim17ROCPRIM_400000_NS6detail17trampoline_kernelINS0_14default_configENS1_20scan_config_selectorIiEEZZNS1_9scan_implILNS1_25lookback_scan_determinismE0ELb0ELb0ES3_N6thrust23THRUST_200600_302600_NS6detail15normal_iteratorINS9_10device_ptrIiEEEESE_i19const_ref_plus_mod3IiEiEEDaPvRmT3_T4_T5_mT6_P12ihipStream_tbENKUlT_T0_E_clISt17integral_constantIbLb1EEST_IbLb0EEEEDaSP_SQ_EUlSP_E_NS1_11comp_targetILNS1_3genE9ELNS1_11target_archE1100ELNS1_3gpuE3ELNS1_3repE0EEENS1_30default_config_static_selectorELNS0_4arch9wavefront6targetE1EEEvT1_.kd
    .uniform_work_group_size: 1
    .uses_dynamic_stack: false
    .vgpr_count:     0
    .vgpr_spill_count: 0
    .wavefront_size: 64
  - .agpr_count:     0
    .args:
      - .offset:         0
        .size:           104
        .value_kind:     by_value
    .group_segment_fixed_size: 0
    .kernarg_segment_align: 8
    .kernarg_segment_size: 104
    .language:       OpenCL C
    .language_version:
      - 2
      - 0
    .max_flat_workgroup_size: 64
    .name:           _ZN7rocprim17ROCPRIM_400000_NS6detail17trampoline_kernelINS0_14default_configENS1_20scan_config_selectorIiEEZZNS1_9scan_implILNS1_25lookback_scan_determinismE0ELb0ELb0ES3_N6thrust23THRUST_200600_302600_NS6detail15normal_iteratorINS9_10device_ptrIiEEEESE_i19const_ref_plus_mod3IiEiEEDaPvRmT3_T4_T5_mT6_P12ihipStream_tbENKUlT_T0_E_clISt17integral_constantIbLb1EEST_IbLb0EEEEDaSP_SQ_EUlSP_E_NS1_11comp_targetILNS1_3genE8ELNS1_11target_archE1030ELNS1_3gpuE2ELNS1_3repE0EEENS1_30default_config_static_selectorELNS0_4arch9wavefront6targetE1EEEvT1_
    .private_segment_fixed_size: 0
    .sgpr_count:     4
    .sgpr_spill_count: 0
    .symbol:         _ZN7rocprim17ROCPRIM_400000_NS6detail17trampoline_kernelINS0_14default_configENS1_20scan_config_selectorIiEEZZNS1_9scan_implILNS1_25lookback_scan_determinismE0ELb0ELb0ES3_N6thrust23THRUST_200600_302600_NS6detail15normal_iteratorINS9_10device_ptrIiEEEESE_i19const_ref_plus_mod3IiEiEEDaPvRmT3_T4_T5_mT6_P12ihipStream_tbENKUlT_T0_E_clISt17integral_constantIbLb1EEST_IbLb0EEEEDaSP_SQ_EUlSP_E_NS1_11comp_targetILNS1_3genE8ELNS1_11target_archE1030ELNS1_3gpuE2ELNS1_3repE0EEENS1_30default_config_static_selectorELNS0_4arch9wavefront6targetE1EEEvT1_.kd
    .uniform_work_group_size: 1
    .uses_dynamic_stack: false
    .vgpr_count:     0
    .vgpr_spill_count: 0
    .wavefront_size: 64
  - .agpr_count:     0
    .args:
      - .offset:         0
        .size:           40
        .value_kind:     by_value
    .group_segment_fixed_size: 0
    .kernarg_segment_align: 8
    .kernarg_segment_size: 40
    .language:       OpenCL C
    .language_version:
      - 2
      - 0
    .max_flat_workgroup_size: 256
    .name:           _ZN7rocprim17ROCPRIM_400000_NS6detail17trampoline_kernelINS0_14default_configENS1_20scan_config_selectorIiEEZZNS1_9scan_implILNS1_25lookback_scan_determinismE0ELb0ELb0ES3_N6thrust23THRUST_200600_302600_NS6detail15normal_iteratorINS9_10device_ptrIiEEEESE_i19const_ref_plus_mod3IiEiEEDaPvRmT3_T4_T5_mT6_P12ihipStream_tbENKUlT_T0_E_clISt17integral_constantIbLb1EEST_IbLb0EEEEDaSP_SQ_EUlSP_E0_NS1_11comp_targetILNS1_3genE0ELNS1_11target_archE4294967295ELNS1_3gpuE0ELNS1_3repE0EEENS1_30default_config_static_selectorELNS0_4arch9wavefront6targetE1EEEvT1_
    .private_segment_fixed_size: 0
    .sgpr_count:     4
    .sgpr_spill_count: 0
    .symbol:         _ZN7rocprim17ROCPRIM_400000_NS6detail17trampoline_kernelINS0_14default_configENS1_20scan_config_selectorIiEEZZNS1_9scan_implILNS1_25lookback_scan_determinismE0ELb0ELb0ES3_N6thrust23THRUST_200600_302600_NS6detail15normal_iteratorINS9_10device_ptrIiEEEESE_i19const_ref_plus_mod3IiEiEEDaPvRmT3_T4_T5_mT6_P12ihipStream_tbENKUlT_T0_E_clISt17integral_constantIbLb1EEST_IbLb0EEEEDaSP_SQ_EUlSP_E0_NS1_11comp_targetILNS1_3genE0ELNS1_11target_archE4294967295ELNS1_3gpuE0ELNS1_3repE0EEENS1_30default_config_static_selectorELNS0_4arch9wavefront6targetE1EEEvT1_.kd
    .uniform_work_group_size: 1
    .uses_dynamic_stack: false
    .vgpr_count:     0
    .vgpr_spill_count: 0
    .wavefront_size: 64
  - .agpr_count:     0
    .args:
      - .offset:         0
        .size:           40
        .value_kind:     by_value
    .group_segment_fixed_size: 0
    .kernarg_segment_align: 8
    .kernarg_segment_size: 40
    .language:       OpenCL C
    .language_version:
      - 2
      - 0
    .max_flat_workgroup_size: 256
    .name:           _ZN7rocprim17ROCPRIM_400000_NS6detail17trampoline_kernelINS0_14default_configENS1_20scan_config_selectorIiEEZZNS1_9scan_implILNS1_25lookback_scan_determinismE0ELb0ELb0ES3_N6thrust23THRUST_200600_302600_NS6detail15normal_iteratorINS9_10device_ptrIiEEEESE_i19const_ref_plus_mod3IiEiEEDaPvRmT3_T4_T5_mT6_P12ihipStream_tbENKUlT_T0_E_clISt17integral_constantIbLb1EEST_IbLb0EEEEDaSP_SQ_EUlSP_E0_NS1_11comp_targetILNS1_3genE5ELNS1_11target_archE942ELNS1_3gpuE9ELNS1_3repE0EEENS1_30default_config_static_selectorELNS0_4arch9wavefront6targetE1EEEvT1_
    .private_segment_fixed_size: 0
    .sgpr_count:     4
    .sgpr_spill_count: 0
    .symbol:         _ZN7rocprim17ROCPRIM_400000_NS6detail17trampoline_kernelINS0_14default_configENS1_20scan_config_selectorIiEEZZNS1_9scan_implILNS1_25lookback_scan_determinismE0ELb0ELb0ES3_N6thrust23THRUST_200600_302600_NS6detail15normal_iteratorINS9_10device_ptrIiEEEESE_i19const_ref_plus_mod3IiEiEEDaPvRmT3_T4_T5_mT6_P12ihipStream_tbENKUlT_T0_E_clISt17integral_constantIbLb1EEST_IbLb0EEEEDaSP_SQ_EUlSP_E0_NS1_11comp_targetILNS1_3genE5ELNS1_11target_archE942ELNS1_3gpuE9ELNS1_3repE0EEENS1_30default_config_static_selectorELNS0_4arch9wavefront6targetE1EEEvT1_.kd
    .uniform_work_group_size: 1
    .uses_dynamic_stack: false
    .vgpr_count:     0
    .vgpr_spill_count: 0
    .wavefront_size: 64
  - .agpr_count:     0
    .args:
      - .offset:         0
        .size:           40
        .value_kind:     by_value
    .group_segment_fixed_size: 5120
    .kernarg_segment_align: 8
    .kernarg_segment_size: 40
    .language:       OpenCL C
    .language_version:
      - 2
      - 0
    .max_flat_workgroup_size: 128
    .name:           _ZN7rocprim17ROCPRIM_400000_NS6detail17trampoline_kernelINS0_14default_configENS1_20scan_config_selectorIiEEZZNS1_9scan_implILNS1_25lookback_scan_determinismE0ELb0ELb0ES3_N6thrust23THRUST_200600_302600_NS6detail15normal_iteratorINS9_10device_ptrIiEEEESE_i19const_ref_plus_mod3IiEiEEDaPvRmT3_T4_T5_mT6_P12ihipStream_tbENKUlT_T0_E_clISt17integral_constantIbLb1EEST_IbLb0EEEEDaSP_SQ_EUlSP_E0_NS1_11comp_targetILNS1_3genE4ELNS1_11target_archE910ELNS1_3gpuE8ELNS1_3repE0EEENS1_30default_config_static_selectorELNS0_4arch9wavefront6targetE1EEEvT1_
    .private_segment_fixed_size: 0
    .sgpr_count:     32
    .sgpr_spill_count: 0
    .symbol:         _ZN7rocprim17ROCPRIM_400000_NS6detail17trampoline_kernelINS0_14default_configENS1_20scan_config_selectorIiEEZZNS1_9scan_implILNS1_25lookback_scan_determinismE0ELb0ELb0ES3_N6thrust23THRUST_200600_302600_NS6detail15normal_iteratorINS9_10device_ptrIiEEEESE_i19const_ref_plus_mod3IiEiEEDaPvRmT3_T4_T5_mT6_P12ihipStream_tbENKUlT_T0_E_clISt17integral_constantIbLb1EEST_IbLb0EEEEDaSP_SQ_EUlSP_E0_NS1_11comp_targetILNS1_3genE4ELNS1_11target_archE910ELNS1_3gpuE8ELNS1_3repE0EEENS1_30default_config_static_selectorELNS0_4arch9wavefront6targetE1EEEvT1_.kd
    .uniform_work_group_size: 1
    .uses_dynamic_stack: false
    .vgpr_count:     22
    .vgpr_spill_count: 0
    .wavefront_size: 64
  - .agpr_count:     0
    .args:
      - .offset:         0
        .size:           40
        .value_kind:     by_value
    .group_segment_fixed_size: 0
    .kernarg_segment_align: 8
    .kernarg_segment_size: 40
    .language:       OpenCL C
    .language_version:
      - 2
      - 0
    .max_flat_workgroup_size: 256
    .name:           _ZN7rocprim17ROCPRIM_400000_NS6detail17trampoline_kernelINS0_14default_configENS1_20scan_config_selectorIiEEZZNS1_9scan_implILNS1_25lookback_scan_determinismE0ELb0ELb0ES3_N6thrust23THRUST_200600_302600_NS6detail15normal_iteratorINS9_10device_ptrIiEEEESE_i19const_ref_plus_mod3IiEiEEDaPvRmT3_T4_T5_mT6_P12ihipStream_tbENKUlT_T0_E_clISt17integral_constantIbLb1EEST_IbLb0EEEEDaSP_SQ_EUlSP_E0_NS1_11comp_targetILNS1_3genE3ELNS1_11target_archE908ELNS1_3gpuE7ELNS1_3repE0EEENS1_30default_config_static_selectorELNS0_4arch9wavefront6targetE1EEEvT1_
    .private_segment_fixed_size: 0
    .sgpr_count:     4
    .sgpr_spill_count: 0
    .symbol:         _ZN7rocprim17ROCPRIM_400000_NS6detail17trampoline_kernelINS0_14default_configENS1_20scan_config_selectorIiEEZZNS1_9scan_implILNS1_25lookback_scan_determinismE0ELb0ELb0ES3_N6thrust23THRUST_200600_302600_NS6detail15normal_iteratorINS9_10device_ptrIiEEEESE_i19const_ref_plus_mod3IiEiEEDaPvRmT3_T4_T5_mT6_P12ihipStream_tbENKUlT_T0_E_clISt17integral_constantIbLb1EEST_IbLb0EEEEDaSP_SQ_EUlSP_E0_NS1_11comp_targetILNS1_3genE3ELNS1_11target_archE908ELNS1_3gpuE7ELNS1_3repE0EEENS1_30default_config_static_selectorELNS0_4arch9wavefront6targetE1EEEvT1_.kd
    .uniform_work_group_size: 1
    .uses_dynamic_stack: false
    .vgpr_count:     0
    .vgpr_spill_count: 0
    .wavefront_size: 64
  - .agpr_count:     0
    .args:
      - .offset:         0
        .size:           40
        .value_kind:     by_value
    .group_segment_fixed_size: 0
    .kernarg_segment_align: 8
    .kernarg_segment_size: 40
    .language:       OpenCL C
    .language_version:
      - 2
      - 0
    .max_flat_workgroup_size: 256
    .name:           _ZN7rocprim17ROCPRIM_400000_NS6detail17trampoline_kernelINS0_14default_configENS1_20scan_config_selectorIiEEZZNS1_9scan_implILNS1_25lookback_scan_determinismE0ELb0ELb0ES3_N6thrust23THRUST_200600_302600_NS6detail15normal_iteratorINS9_10device_ptrIiEEEESE_i19const_ref_plus_mod3IiEiEEDaPvRmT3_T4_T5_mT6_P12ihipStream_tbENKUlT_T0_E_clISt17integral_constantIbLb1EEST_IbLb0EEEEDaSP_SQ_EUlSP_E0_NS1_11comp_targetILNS1_3genE2ELNS1_11target_archE906ELNS1_3gpuE6ELNS1_3repE0EEENS1_30default_config_static_selectorELNS0_4arch9wavefront6targetE1EEEvT1_
    .private_segment_fixed_size: 0
    .sgpr_count:     4
    .sgpr_spill_count: 0
    .symbol:         _ZN7rocprim17ROCPRIM_400000_NS6detail17trampoline_kernelINS0_14default_configENS1_20scan_config_selectorIiEEZZNS1_9scan_implILNS1_25lookback_scan_determinismE0ELb0ELb0ES3_N6thrust23THRUST_200600_302600_NS6detail15normal_iteratorINS9_10device_ptrIiEEEESE_i19const_ref_plus_mod3IiEiEEDaPvRmT3_T4_T5_mT6_P12ihipStream_tbENKUlT_T0_E_clISt17integral_constantIbLb1EEST_IbLb0EEEEDaSP_SQ_EUlSP_E0_NS1_11comp_targetILNS1_3genE2ELNS1_11target_archE906ELNS1_3gpuE6ELNS1_3repE0EEENS1_30default_config_static_selectorELNS0_4arch9wavefront6targetE1EEEvT1_.kd
    .uniform_work_group_size: 1
    .uses_dynamic_stack: false
    .vgpr_count:     0
    .vgpr_spill_count: 0
    .wavefront_size: 64
  - .agpr_count:     0
    .args:
      - .offset:         0
        .size:           40
        .value_kind:     by_value
    .group_segment_fixed_size: 0
    .kernarg_segment_align: 8
    .kernarg_segment_size: 40
    .language:       OpenCL C
    .language_version:
      - 2
      - 0
    .max_flat_workgroup_size: 256
    .name:           _ZN7rocprim17ROCPRIM_400000_NS6detail17trampoline_kernelINS0_14default_configENS1_20scan_config_selectorIiEEZZNS1_9scan_implILNS1_25lookback_scan_determinismE0ELb0ELb0ES3_N6thrust23THRUST_200600_302600_NS6detail15normal_iteratorINS9_10device_ptrIiEEEESE_i19const_ref_plus_mod3IiEiEEDaPvRmT3_T4_T5_mT6_P12ihipStream_tbENKUlT_T0_E_clISt17integral_constantIbLb1EEST_IbLb0EEEEDaSP_SQ_EUlSP_E0_NS1_11comp_targetILNS1_3genE10ELNS1_11target_archE1201ELNS1_3gpuE5ELNS1_3repE0EEENS1_30default_config_static_selectorELNS0_4arch9wavefront6targetE1EEEvT1_
    .private_segment_fixed_size: 0
    .sgpr_count:     4
    .sgpr_spill_count: 0
    .symbol:         _ZN7rocprim17ROCPRIM_400000_NS6detail17trampoline_kernelINS0_14default_configENS1_20scan_config_selectorIiEEZZNS1_9scan_implILNS1_25lookback_scan_determinismE0ELb0ELb0ES3_N6thrust23THRUST_200600_302600_NS6detail15normal_iteratorINS9_10device_ptrIiEEEESE_i19const_ref_plus_mod3IiEiEEDaPvRmT3_T4_T5_mT6_P12ihipStream_tbENKUlT_T0_E_clISt17integral_constantIbLb1EEST_IbLb0EEEEDaSP_SQ_EUlSP_E0_NS1_11comp_targetILNS1_3genE10ELNS1_11target_archE1201ELNS1_3gpuE5ELNS1_3repE0EEENS1_30default_config_static_selectorELNS0_4arch9wavefront6targetE1EEEvT1_.kd
    .uniform_work_group_size: 1
    .uses_dynamic_stack: false
    .vgpr_count:     0
    .vgpr_spill_count: 0
    .wavefront_size: 64
  - .agpr_count:     0
    .args:
      - .offset:         0
        .size:           40
        .value_kind:     by_value
    .group_segment_fixed_size: 0
    .kernarg_segment_align: 8
    .kernarg_segment_size: 40
    .language:       OpenCL C
    .language_version:
      - 2
      - 0
    .max_flat_workgroup_size: 256
    .name:           _ZN7rocprim17ROCPRIM_400000_NS6detail17trampoline_kernelINS0_14default_configENS1_20scan_config_selectorIiEEZZNS1_9scan_implILNS1_25lookback_scan_determinismE0ELb0ELb0ES3_N6thrust23THRUST_200600_302600_NS6detail15normal_iteratorINS9_10device_ptrIiEEEESE_i19const_ref_plus_mod3IiEiEEDaPvRmT3_T4_T5_mT6_P12ihipStream_tbENKUlT_T0_E_clISt17integral_constantIbLb1EEST_IbLb0EEEEDaSP_SQ_EUlSP_E0_NS1_11comp_targetILNS1_3genE10ELNS1_11target_archE1200ELNS1_3gpuE4ELNS1_3repE0EEENS1_30default_config_static_selectorELNS0_4arch9wavefront6targetE1EEEvT1_
    .private_segment_fixed_size: 0
    .sgpr_count:     4
    .sgpr_spill_count: 0
    .symbol:         _ZN7rocprim17ROCPRIM_400000_NS6detail17trampoline_kernelINS0_14default_configENS1_20scan_config_selectorIiEEZZNS1_9scan_implILNS1_25lookback_scan_determinismE0ELb0ELb0ES3_N6thrust23THRUST_200600_302600_NS6detail15normal_iteratorINS9_10device_ptrIiEEEESE_i19const_ref_plus_mod3IiEiEEDaPvRmT3_T4_T5_mT6_P12ihipStream_tbENKUlT_T0_E_clISt17integral_constantIbLb1EEST_IbLb0EEEEDaSP_SQ_EUlSP_E0_NS1_11comp_targetILNS1_3genE10ELNS1_11target_archE1200ELNS1_3gpuE4ELNS1_3repE0EEENS1_30default_config_static_selectorELNS0_4arch9wavefront6targetE1EEEvT1_.kd
    .uniform_work_group_size: 1
    .uses_dynamic_stack: false
    .vgpr_count:     0
    .vgpr_spill_count: 0
    .wavefront_size: 64
  - .agpr_count:     0
    .args:
      - .offset:         0
        .size:           40
        .value_kind:     by_value
    .group_segment_fixed_size: 0
    .kernarg_segment_align: 8
    .kernarg_segment_size: 40
    .language:       OpenCL C
    .language_version:
      - 2
      - 0
    .max_flat_workgroup_size: 256
    .name:           _ZN7rocprim17ROCPRIM_400000_NS6detail17trampoline_kernelINS0_14default_configENS1_20scan_config_selectorIiEEZZNS1_9scan_implILNS1_25lookback_scan_determinismE0ELb0ELb0ES3_N6thrust23THRUST_200600_302600_NS6detail15normal_iteratorINS9_10device_ptrIiEEEESE_i19const_ref_plus_mod3IiEiEEDaPvRmT3_T4_T5_mT6_P12ihipStream_tbENKUlT_T0_E_clISt17integral_constantIbLb1EEST_IbLb0EEEEDaSP_SQ_EUlSP_E0_NS1_11comp_targetILNS1_3genE9ELNS1_11target_archE1100ELNS1_3gpuE3ELNS1_3repE0EEENS1_30default_config_static_selectorELNS0_4arch9wavefront6targetE1EEEvT1_
    .private_segment_fixed_size: 0
    .sgpr_count:     4
    .sgpr_spill_count: 0
    .symbol:         _ZN7rocprim17ROCPRIM_400000_NS6detail17trampoline_kernelINS0_14default_configENS1_20scan_config_selectorIiEEZZNS1_9scan_implILNS1_25lookback_scan_determinismE0ELb0ELb0ES3_N6thrust23THRUST_200600_302600_NS6detail15normal_iteratorINS9_10device_ptrIiEEEESE_i19const_ref_plus_mod3IiEiEEDaPvRmT3_T4_T5_mT6_P12ihipStream_tbENKUlT_T0_E_clISt17integral_constantIbLb1EEST_IbLb0EEEEDaSP_SQ_EUlSP_E0_NS1_11comp_targetILNS1_3genE9ELNS1_11target_archE1100ELNS1_3gpuE3ELNS1_3repE0EEENS1_30default_config_static_selectorELNS0_4arch9wavefront6targetE1EEEvT1_.kd
    .uniform_work_group_size: 1
    .uses_dynamic_stack: false
    .vgpr_count:     0
    .vgpr_spill_count: 0
    .wavefront_size: 64
  - .agpr_count:     0
    .args:
      - .offset:         0
        .size:           40
        .value_kind:     by_value
    .group_segment_fixed_size: 0
    .kernarg_segment_align: 8
    .kernarg_segment_size: 40
    .language:       OpenCL C
    .language_version:
      - 2
      - 0
    .max_flat_workgroup_size: 64
    .name:           _ZN7rocprim17ROCPRIM_400000_NS6detail17trampoline_kernelINS0_14default_configENS1_20scan_config_selectorIiEEZZNS1_9scan_implILNS1_25lookback_scan_determinismE0ELb0ELb0ES3_N6thrust23THRUST_200600_302600_NS6detail15normal_iteratorINS9_10device_ptrIiEEEESE_i19const_ref_plus_mod3IiEiEEDaPvRmT3_T4_T5_mT6_P12ihipStream_tbENKUlT_T0_E_clISt17integral_constantIbLb1EEST_IbLb0EEEEDaSP_SQ_EUlSP_E0_NS1_11comp_targetILNS1_3genE8ELNS1_11target_archE1030ELNS1_3gpuE2ELNS1_3repE0EEENS1_30default_config_static_selectorELNS0_4arch9wavefront6targetE1EEEvT1_
    .private_segment_fixed_size: 0
    .sgpr_count:     4
    .sgpr_spill_count: 0
    .symbol:         _ZN7rocprim17ROCPRIM_400000_NS6detail17trampoline_kernelINS0_14default_configENS1_20scan_config_selectorIiEEZZNS1_9scan_implILNS1_25lookback_scan_determinismE0ELb0ELb0ES3_N6thrust23THRUST_200600_302600_NS6detail15normal_iteratorINS9_10device_ptrIiEEEESE_i19const_ref_plus_mod3IiEiEEDaPvRmT3_T4_T5_mT6_P12ihipStream_tbENKUlT_T0_E_clISt17integral_constantIbLb1EEST_IbLb0EEEEDaSP_SQ_EUlSP_E0_NS1_11comp_targetILNS1_3genE8ELNS1_11target_archE1030ELNS1_3gpuE2ELNS1_3repE0EEENS1_30default_config_static_selectorELNS0_4arch9wavefront6targetE1EEEvT1_.kd
    .uniform_work_group_size: 1
    .uses_dynamic_stack: false
    .vgpr_count:     0
    .vgpr_spill_count: 0
    .wavefront_size: 64
  - .agpr_count:     0
    .args:
      - .offset:         0
        .size:           104
        .value_kind:     by_value
    .group_segment_fixed_size: 0
    .kernarg_segment_align: 8
    .kernarg_segment_size: 104
    .language:       OpenCL C
    .language_version:
      - 2
      - 0
    .max_flat_workgroup_size: 256
    .name:           _ZN7rocprim17ROCPRIM_400000_NS6detail17trampoline_kernelINS0_14default_configENS1_20scan_config_selectorIiEEZZNS1_9scan_implILNS1_25lookback_scan_determinismE0ELb0ELb0ES3_N6thrust23THRUST_200600_302600_NS6detail15normal_iteratorINS9_10device_ptrIiEEEESE_i19const_ref_plus_mod3IiEiEEDaPvRmT3_T4_T5_mT6_P12ihipStream_tbENKUlT_T0_E_clISt17integral_constantIbLb0EEST_IbLb1EEEEDaSP_SQ_EUlSP_E_NS1_11comp_targetILNS1_3genE0ELNS1_11target_archE4294967295ELNS1_3gpuE0ELNS1_3repE0EEENS1_30default_config_static_selectorELNS0_4arch9wavefront6targetE1EEEvT1_
    .private_segment_fixed_size: 0
    .sgpr_count:     4
    .sgpr_spill_count: 0
    .symbol:         _ZN7rocprim17ROCPRIM_400000_NS6detail17trampoline_kernelINS0_14default_configENS1_20scan_config_selectorIiEEZZNS1_9scan_implILNS1_25lookback_scan_determinismE0ELb0ELb0ES3_N6thrust23THRUST_200600_302600_NS6detail15normal_iteratorINS9_10device_ptrIiEEEESE_i19const_ref_plus_mod3IiEiEEDaPvRmT3_T4_T5_mT6_P12ihipStream_tbENKUlT_T0_E_clISt17integral_constantIbLb0EEST_IbLb1EEEEDaSP_SQ_EUlSP_E_NS1_11comp_targetILNS1_3genE0ELNS1_11target_archE4294967295ELNS1_3gpuE0ELNS1_3repE0EEENS1_30default_config_static_selectorELNS0_4arch9wavefront6targetE1EEEvT1_.kd
    .uniform_work_group_size: 1
    .uses_dynamic_stack: false
    .vgpr_count:     0
    .vgpr_spill_count: 0
    .wavefront_size: 64
  - .agpr_count:     0
    .args:
      - .offset:         0
        .size:           104
        .value_kind:     by_value
    .group_segment_fixed_size: 0
    .kernarg_segment_align: 8
    .kernarg_segment_size: 104
    .language:       OpenCL C
    .language_version:
      - 2
      - 0
    .max_flat_workgroup_size: 256
    .name:           _ZN7rocprim17ROCPRIM_400000_NS6detail17trampoline_kernelINS0_14default_configENS1_20scan_config_selectorIiEEZZNS1_9scan_implILNS1_25lookback_scan_determinismE0ELb0ELb0ES3_N6thrust23THRUST_200600_302600_NS6detail15normal_iteratorINS9_10device_ptrIiEEEESE_i19const_ref_plus_mod3IiEiEEDaPvRmT3_T4_T5_mT6_P12ihipStream_tbENKUlT_T0_E_clISt17integral_constantIbLb0EEST_IbLb1EEEEDaSP_SQ_EUlSP_E_NS1_11comp_targetILNS1_3genE5ELNS1_11target_archE942ELNS1_3gpuE9ELNS1_3repE0EEENS1_30default_config_static_selectorELNS0_4arch9wavefront6targetE1EEEvT1_
    .private_segment_fixed_size: 0
    .sgpr_count:     4
    .sgpr_spill_count: 0
    .symbol:         _ZN7rocprim17ROCPRIM_400000_NS6detail17trampoline_kernelINS0_14default_configENS1_20scan_config_selectorIiEEZZNS1_9scan_implILNS1_25lookback_scan_determinismE0ELb0ELb0ES3_N6thrust23THRUST_200600_302600_NS6detail15normal_iteratorINS9_10device_ptrIiEEEESE_i19const_ref_plus_mod3IiEiEEDaPvRmT3_T4_T5_mT6_P12ihipStream_tbENKUlT_T0_E_clISt17integral_constantIbLb0EEST_IbLb1EEEEDaSP_SQ_EUlSP_E_NS1_11comp_targetILNS1_3genE5ELNS1_11target_archE942ELNS1_3gpuE9ELNS1_3repE0EEENS1_30default_config_static_selectorELNS0_4arch9wavefront6targetE1EEEvT1_.kd
    .uniform_work_group_size: 1
    .uses_dynamic_stack: false
    .vgpr_count:     0
    .vgpr_spill_count: 0
    .wavefront_size: 64
  - .agpr_count:     0
    .args:
      - .offset:         0
        .size:           104
        .value_kind:     by_value
    .group_segment_fixed_size: 5120
    .kernarg_segment_align: 8
    .kernarg_segment_size: 104
    .language:       OpenCL C
    .language_version:
      - 2
      - 0
    .max_flat_workgroup_size: 128
    .name:           _ZN7rocprim17ROCPRIM_400000_NS6detail17trampoline_kernelINS0_14default_configENS1_20scan_config_selectorIiEEZZNS1_9scan_implILNS1_25lookback_scan_determinismE0ELb0ELb0ES3_N6thrust23THRUST_200600_302600_NS6detail15normal_iteratorINS9_10device_ptrIiEEEESE_i19const_ref_plus_mod3IiEiEEDaPvRmT3_T4_T5_mT6_P12ihipStream_tbENKUlT_T0_E_clISt17integral_constantIbLb0EEST_IbLb1EEEEDaSP_SQ_EUlSP_E_NS1_11comp_targetILNS1_3genE4ELNS1_11target_archE910ELNS1_3gpuE8ELNS1_3repE0EEENS1_30default_config_static_selectorELNS0_4arch9wavefront6targetE1EEEvT1_
    .private_segment_fixed_size: 0
    .sgpr_count:     48
    .sgpr_spill_count: 0
    .symbol:         _ZN7rocprim17ROCPRIM_400000_NS6detail17trampoline_kernelINS0_14default_configENS1_20scan_config_selectorIiEEZZNS1_9scan_implILNS1_25lookback_scan_determinismE0ELb0ELb0ES3_N6thrust23THRUST_200600_302600_NS6detail15normal_iteratorINS9_10device_ptrIiEEEESE_i19const_ref_plus_mod3IiEiEEDaPvRmT3_T4_T5_mT6_P12ihipStream_tbENKUlT_T0_E_clISt17integral_constantIbLb0EEST_IbLb1EEEEDaSP_SQ_EUlSP_E_NS1_11comp_targetILNS1_3genE4ELNS1_11target_archE910ELNS1_3gpuE8ELNS1_3repE0EEENS1_30default_config_static_selectorELNS0_4arch9wavefront6targetE1EEEvT1_.kd
    .uniform_work_group_size: 1
    .uses_dynamic_stack: false
    .vgpr_count:     42
    .vgpr_spill_count: 0
    .wavefront_size: 64
  - .agpr_count:     0
    .args:
      - .offset:         0
        .size:           104
        .value_kind:     by_value
    .group_segment_fixed_size: 0
    .kernarg_segment_align: 8
    .kernarg_segment_size: 104
    .language:       OpenCL C
    .language_version:
      - 2
      - 0
    .max_flat_workgroup_size: 256
    .name:           _ZN7rocprim17ROCPRIM_400000_NS6detail17trampoline_kernelINS0_14default_configENS1_20scan_config_selectorIiEEZZNS1_9scan_implILNS1_25lookback_scan_determinismE0ELb0ELb0ES3_N6thrust23THRUST_200600_302600_NS6detail15normal_iteratorINS9_10device_ptrIiEEEESE_i19const_ref_plus_mod3IiEiEEDaPvRmT3_T4_T5_mT6_P12ihipStream_tbENKUlT_T0_E_clISt17integral_constantIbLb0EEST_IbLb1EEEEDaSP_SQ_EUlSP_E_NS1_11comp_targetILNS1_3genE3ELNS1_11target_archE908ELNS1_3gpuE7ELNS1_3repE0EEENS1_30default_config_static_selectorELNS0_4arch9wavefront6targetE1EEEvT1_
    .private_segment_fixed_size: 0
    .sgpr_count:     4
    .sgpr_spill_count: 0
    .symbol:         _ZN7rocprim17ROCPRIM_400000_NS6detail17trampoline_kernelINS0_14default_configENS1_20scan_config_selectorIiEEZZNS1_9scan_implILNS1_25lookback_scan_determinismE0ELb0ELb0ES3_N6thrust23THRUST_200600_302600_NS6detail15normal_iteratorINS9_10device_ptrIiEEEESE_i19const_ref_plus_mod3IiEiEEDaPvRmT3_T4_T5_mT6_P12ihipStream_tbENKUlT_T0_E_clISt17integral_constantIbLb0EEST_IbLb1EEEEDaSP_SQ_EUlSP_E_NS1_11comp_targetILNS1_3genE3ELNS1_11target_archE908ELNS1_3gpuE7ELNS1_3repE0EEENS1_30default_config_static_selectorELNS0_4arch9wavefront6targetE1EEEvT1_.kd
    .uniform_work_group_size: 1
    .uses_dynamic_stack: false
    .vgpr_count:     0
    .vgpr_spill_count: 0
    .wavefront_size: 64
  - .agpr_count:     0
    .args:
      - .offset:         0
        .size:           104
        .value_kind:     by_value
    .group_segment_fixed_size: 0
    .kernarg_segment_align: 8
    .kernarg_segment_size: 104
    .language:       OpenCL C
    .language_version:
      - 2
      - 0
    .max_flat_workgroup_size: 256
    .name:           _ZN7rocprim17ROCPRIM_400000_NS6detail17trampoline_kernelINS0_14default_configENS1_20scan_config_selectorIiEEZZNS1_9scan_implILNS1_25lookback_scan_determinismE0ELb0ELb0ES3_N6thrust23THRUST_200600_302600_NS6detail15normal_iteratorINS9_10device_ptrIiEEEESE_i19const_ref_plus_mod3IiEiEEDaPvRmT3_T4_T5_mT6_P12ihipStream_tbENKUlT_T0_E_clISt17integral_constantIbLb0EEST_IbLb1EEEEDaSP_SQ_EUlSP_E_NS1_11comp_targetILNS1_3genE2ELNS1_11target_archE906ELNS1_3gpuE6ELNS1_3repE0EEENS1_30default_config_static_selectorELNS0_4arch9wavefront6targetE1EEEvT1_
    .private_segment_fixed_size: 0
    .sgpr_count:     4
    .sgpr_spill_count: 0
    .symbol:         _ZN7rocprim17ROCPRIM_400000_NS6detail17trampoline_kernelINS0_14default_configENS1_20scan_config_selectorIiEEZZNS1_9scan_implILNS1_25lookback_scan_determinismE0ELb0ELb0ES3_N6thrust23THRUST_200600_302600_NS6detail15normal_iteratorINS9_10device_ptrIiEEEESE_i19const_ref_plus_mod3IiEiEEDaPvRmT3_T4_T5_mT6_P12ihipStream_tbENKUlT_T0_E_clISt17integral_constantIbLb0EEST_IbLb1EEEEDaSP_SQ_EUlSP_E_NS1_11comp_targetILNS1_3genE2ELNS1_11target_archE906ELNS1_3gpuE6ELNS1_3repE0EEENS1_30default_config_static_selectorELNS0_4arch9wavefront6targetE1EEEvT1_.kd
    .uniform_work_group_size: 1
    .uses_dynamic_stack: false
    .vgpr_count:     0
    .vgpr_spill_count: 0
    .wavefront_size: 64
  - .agpr_count:     0
    .args:
      - .offset:         0
        .size:           104
        .value_kind:     by_value
    .group_segment_fixed_size: 0
    .kernarg_segment_align: 8
    .kernarg_segment_size: 104
    .language:       OpenCL C
    .language_version:
      - 2
      - 0
    .max_flat_workgroup_size: 256
    .name:           _ZN7rocprim17ROCPRIM_400000_NS6detail17trampoline_kernelINS0_14default_configENS1_20scan_config_selectorIiEEZZNS1_9scan_implILNS1_25lookback_scan_determinismE0ELb0ELb0ES3_N6thrust23THRUST_200600_302600_NS6detail15normal_iteratorINS9_10device_ptrIiEEEESE_i19const_ref_plus_mod3IiEiEEDaPvRmT3_T4_T5_mT6_P12ihipStream_tbENKUlT_T0_E_clISt17integral_constantIbLb0EEST_IbLb1EEEEDaSP_SQ_EUlSP_E_NS1_11comp_targetILNS1_3genE10ELNS1_11target_archE1201ELNS1_3gpuE5ELNS1_3repE0EEENS1_30default_config_static_selectorELNS0_4arch9wavefront6targetE1EEEvT1_
    .private_segment_fixed_size: 0
    .sgpr_count:     4
    .sgpr_spill_count: 0
    .symbol:         _ZN7rocprim17ROCPRIM_400000_NS6detail17trampoline_kernelINS0_14default_configENS1_20scan_config_selectorIiEEZZNS1_9scan_implILNS1_25lookback_scan_determinismE0ELb0ELb0ES3_N6thrust23THRUST_200600_302600_NS6detail15normal_iteratorINS9_10device_ptrIiEEEESE_i19const_ref_plus_mod3IiEiEEDaPvRmT3_T4_T5_mT6_P12ihipStream_tbENKUlT_T0_E_clISt17integral_constantIbLb0EEST_IbLb1EEEEDaSP_SQ_EUlSP_E_NS1_11comp_targetILNS1_3genE10ELNS1_11target_archE1201ELNS1_3gpuE5ELNS1_3repE0EEENS1_30default_config_static_selectorELNS0_4arch9wavefront6targetE1EEEvT1_.kd
    .uniform_work_group_size: 1
    .uses_dynamic_stack: false
    .vgpr_count:     0
    .vgpr_spill_count: 0
    .wavefront_size: 64
  - .agpr_count:     0
    .args:
      - .offset:         0
        .size:           104
        .value_kind:     by_value
    .group_segment_fixed_size: 0
    .kernarg_segment_align: 8
    .kernarg_segment_size: 104
    .language:       OpenCL C
    .language_version:
      - 2
      - 0
    .max_flat_workgroup_size: 256
    .name:           _ZN7rocprim17ROCPRIM_400000_NS6detail17trampoline_kernelINS0_14default_configENS1_20scan_config_selectorIiEEZZNS1_9scan_implILNS1_25lookback_scan_determinismE0ELb0ELb0ES3_N6thrust23THRUST_200600_302600_NS6detail15normal_iteratorINS9_10device_ptrIiEEEESE_i19const_ref_plus_mod3IiEiEEDaPvRmT3_T4_T5_mT6_P12ihipStream_tbENKUlT_T0_E_clISt17integral_constantIbLb0EEST_IbLb1EEEEDaSP_SQ_EUlSP_E_NS1_11comp_targetILNS1_3genE10ELNS1_11target_archE1200ELNS1_3gpuE4ELNS1_3repE0EEENS1_30default_config_static_selectorELNS0_4arch9wavefront6targetE1EEEvT1_
    .private_segment_fixed_size: 0
    .sgpr_count:     4
    .sgpr_spill_count: 0
    .symbol:         _ZN7rocprim17ROCPRIM_400000_NS6detail17trampoline_kernelINS0_14default_configENS1_20scan_config_selectorIiEEZZNS1_9scan_implILNS1_25lookback_scan_determinismE0ELb0ELb0ES3_N6thrust23THRUST_200600_302600_NS6detail15normal_iteratorINS9_10device_ptrIiEEEESE_i19const_ref_plus_mod3IiEiEEDaPvRmT3_T4_T5_mT6_P12ihipStream_tbENKUlT_T0_E_clISt17integral_constantIbLb0EEST_IbLb1EEEEDaSP_SQ_EUlSP_E_NS1_11comp_targetILNS1_3genE10ELNS1_11target_archE1200ELNS1_3gpuE4ELNS1_3repE0EEENS1_30default_config_static_selectorELNS0_4arch9wavefront6targetE1EEEvT1_.kd
    .uniform_work_group_size: 1
    .uses_dynamic_stack: false
    .vgpr_count:     0
    .vgpr_spill_count: 0
    .wavefront_size: 64
  - .agpr_count:     0
    .args:
      - .offset:         0
        .size:           104
        .value_kind:     by_value
    .group_segment_fixed_size: 0
    .kernarg_segment_align: 8
    .kernarg_segment_size: 104
    .language:       OpenCL C
    .language_version:
      - 2
      - 0
    .max_flat_workgroup_size: 256
    .name:           _ZN7rocprim17ROCPRIM_400000_NS6detail17trampoline_kernelINS0_14default_configENS1_20scan_config_selectorIiEEZZNS1_9scan_implILNS1_25lookback_scan_determinismE0ELb0ELb0ES3_N6thrust23THRUST_200600_302600_NS6detail15normal_iteratorINS9_10device_ptrIiEEEESE_i19const_ref_plus_mod3IiEiEEDaPvRmT3_T4_T5_mT6_P12ihipStream_tbENKUlT_T0_E_clISt17integral_constantIbLb0EEST_IbLb1EEEEDaSP_SQ_EUlSP_E_NS1_11comp_targetILNS1_3genE9ELNS1_11target_archE1100ELNS1_3gpuE3ELNS1_3repE0EEENS1_30default_config_static_selectorELNS0_4arch9wavefront6targetE1EEEvT1_
    .private_segment_fixed_size: 0
    .sgpr_count:     4
    .sgpr_spill_count: 0
    .symbol:         _ZN7rocprim17ROCPRIM_400000_NS6detail17trampoline_kernelINS0_14default_configENS1_20scan_config_selectorIiEEZZNS1_9scan_implILNS1_25lookback_scan_determinismE0ELb0ELb0ES3_N6thrust23THRUST_200600_302600_NS6detail15normal_iteratorINS9_10device_ptrIiEEEESE_i19const_ref_plus_mod3IiEiEEDaPvRmT3_T4_T5_mT6_P12ihipStream_tbENKUlT_T0_E_clISt17integral_constantIbLb0EEST_IbLb1EEEEDaSP_SQ_EUlSP_E_NS1_11comp_targetILNS1_3genE9ELNS1_11target_archE1100ELNS1_3gpuE3ELNS1_3repE0EEENS1_30default_config_static_selectorELNS0_4arch9wavefront6targetE1EEEvT1_.kd
    .uniform_work_group_size: 1
    .uses_dynamic_stack: false
    .vgpr_count:     0
    .vgpr_spill_count: 0
    .wavefront_size: 64
  - .agpr_count:     0
    .args:
      - .offset:         0
        .size:           104
        .value_kind:     by_value
    .group_segment_fixed_size: 0
    .kernarg_segment_align: 8
    .kernarg_segment_size: 104
    .language:       OpenCL C
    .language_version:
      - 2
      - 0
    .max_flat_workgroup_size: 64
    .name:           _ZN7rocprim17ROCPRIM_400000_NS6detail17trampoline_kernelINS0_14default_configENS1_20scan_config_selectorIiEEZZNS1_9scan_implILNS1_25lookback_scan_determinismE0ELb0ELb0ES3_N6thrust23THRUST_200600_302600_NS6detail15normal_iteratorINS9_10device_ptrIiEEEESE_i19const_ref_plus_mod3IiEiEEDaPvRmT3_T4_T5_mT6_P12ihipStream_tbENKUlT_T0_E_clISt17integral_constantIbLb0EEST_IbLb1EEEEDaSP_SQ_EUlSP_E_NS1_11comp_targetILNS1_3genE8ELNS1_11target_archE1030ELNS1_3gpuE2ELNS1_3repE0EEENS1_30default_config_static_selectorELNS0_4arch9wavefront6targetE1EEEvT1_
    .private_segment_fixed_size: 0
    .sgpr_count:     4
    .sgpr_spill_count: 0
    .symbol:         _ZN7rocprim17ROCPRIM_400000_NS6detail17trampoline_kernelINS0_14default_configENS1_20scan_config_selectorIiEEZZNS1_9scan_implILNS1_25lookback_scan_determinismE0ELb0ELb0ES3_N6thrust23THRUST_200600_302600_NS6detail15normal_iteratorINS9_10device_ptrIiEEEESE_i19const_ref_plus_mod3IiEiEEDaPvRmT3_T4_T5_mT6_P12ihipStream_tbENKUlT_T0_E_clISt17integral_constantIbLb0EEST_IbLb1EEEEDaSP_SQ_EUlSP_E_NS1_11comp_targetILNS1_3genE8ELNS1_11target_archE1030ELNS1_3gpuE2ELNS1_3repE0EEENS1_30default_config_static_selectorELNS0_4arch9wavefront6targetE1EEEvT1_.kd
    .uniform_work_group_size: 1
    .uses_dynamic_stack: false
    .vgpr_count:     0
    .vgpr_spill_count: 0
    .wavefront_size: 64
  - .agpr_count:     0
    .args:
      - .offset:         0
        .size:           40
        .value_kind:     by_value
    .group_segment_fixed_size: 0
    .kernarg_segment_align: 8
    .kernarg_segment_size: 40
    .language:       OpenCL C
    .language_version:
      - 2
      - 0
    .max_flat_workgroup_size: 256
    .name:           _ZN7rocprim17ROCPRIM_400000_NS6detail17trampoline_kernelINS0_14default_configENS1_20scan_config_selectorIiEEZZNS1_9scan_implILNS1_25lookback_scan_determinismE0ELb0ELb0ES3_N6thrust23THRUST_200600_302600_NS6detail15normal_iteratorINS9_10device_ptrIiEEEESE_i19const_ref_plus_mod3IiEiEEDaPvRmT3_T4_T5_mT6_P12ihipStream_tbENKUlT_T0_E_clISt17integral_constantIbLb0EEST_IbLb1EEEEDaSP_SQ_EUlSP_E0_NS1_11comp_targetILNS1_3genE0ELNS1_11target_archE4294967295ELNS1_3gpuE0ELNS1_3repE0EEENS1_30default_config_static_selectorELNS0_4arch9wavefront6targetE1EEEvT1_
    .private_segment_fixed_size: 0
    .sgpr_count:     4
    .sgpr_spill_count: 0
    .symbol:         _ZN7rocprim17ROCPRIM_400000_NS6detail17trampoline_kernelINS0_14default_configENS1_20scan_config_selectorIiEEZZNS1_9scan_implILNS1_25lookback_scan_determinismE0ELb0ELb0ES3_N6thrust23THRUST_200600_302600_NS6detail15normal_iteratorINS9_10device_ptrIiEEEESE_i19const_ref_plus_mod3IiEiEEDaPvRmT3_T4_T5_mT6_P12ihipStream_tbENKUlT_T0_E_clISt17integral_constantIbLb0EEST_IbLb1EEEEDaSP_SQ_EUlSP_E0_NS1_11comp_targetILNS1_3genE0ELNS1_11target_archE4294967295ELNS1_3gpuE0ELNS1_3repE0EEENS1_30default_config_static_selectorELNS0_4arch9wavefront6targetE1EEEvT1_.kd
    .uniform_work_group_size: 1
    .uses_dynamic_stack: false
    .vgpr_count:     0
    .vgpr_spill_count: 0
    .wavefront_size: 64
  - .agpr_count:     0
    .args:
      - .offset:         0
        .size:           40
        .value_kind:     by_value
    .group_segment_fixed_size: 0
    .kernarg_segment_align: 8
    .kernarg_segment_size: 40
    .language:       OpenCL C
    .language_version:
      - 2
      - 0
    .max_flat_workgroup_size: 256
    .name:           _ZN7rocprim17ROCPRIM_400000_NS6detail17trampoline_kernelINS0_14default_configENS1_20scan_config_selectorIiEEZZNS1_9scan_implILNS1_25lookback_scan_determinismE0ELb0ELb0ES3_N6thrust23THRUST_200600_302600_NS6detail15normal_iteratorINS9_10device_ptrIiEEEESE_i19const_ref_plus_mod3IiEiEEDaPvRmT3_T4_T5_mT6_P12ihipStream_tbENKUlT_T0_E_clISt17integral_constantIbLb0EEST_IbLb1EEEEDaSP_SQ_EUlSP_E0_NS1_11comp_targetILNS1_3genE5ELNS1_11target_archE942ELNS1_3gpuE9ELNS1_3repE0EEENS1_30default_config_static_selectorELNS0_4arch9wavefront6targetE1EEEvT1_
    .private_segment_fixed_size: 0
    .sgpr_count:     4
    .sgpr_spill_count: 0
    .symbol:         _ZN7rocprim17ROCPRIM_400000_NS6detail17trampoline_kernelINS0_14default_configENS1_20scan_config_selectorIiEEZZNS1_9scan_implILNS1_25lookback_scan_determinismE0ELb0ELb0ES3_N6thrust23THRUST_200600_302600_NS6detail15normal_iteratorINS9_10device_ptrIiEEEESE_i19const_ref_plus_mod3IiEiEEDaPvRmT3_T4_T5_mT6_P12ihipStream_tbENKUlT_T0_E_clISt17integral_constantIbLb0EEST_IbLb1EEEEDaSP_SQ_EUlSP_E0_NS1_11comp_targetILNS1_3genE5ELNS1_11target_archE942ELNS1_3gpuE9ELNS1_3repE0EEENS1_30default_config_static_selectorELNS0_4arch9wavefront6targetE1EEEvT1_.kd
    .uniform_work_group_size: 1
    .uses_dynamic_stack: false
    .vgpr_count:     0
    .vgpr_spill_count: 0
    .wavefront_size: 64
  - .agpr_count:     0
    .args:
      - .offset:         0
        .size:           40
        .value_kind:     by_value
    .group_segment_fixed_size: 5120
    .kernarg_segment_align: 8
    .kernarg_segment_size: 40
    .language:       OpenCL C
    .language_version:
      - 2
      - 0
    .max_flat_workgroup_size: 128
    .name:           _ZN7rocprim17ROCPRIM_400000_NS6detail17trampoline_kernelINS0_14default_configENS1_20scan_config_selectorIiEEZZNS1_9scan_implILNS1_25lookback_scan_determinismE0ELb0ELb0ES3_N6thrust23THRUST_200600_302600_NS6detail15normal_iteratorINS9_10device_ptrIiEEEESE_i19const_ref_plus_mod3IiEiEEDaPvRmT3_T4_T5_mT6_P12ihipStream_tbENKUlT_T0_E_clISt17integral_constantIbLb0EEST_IbLb1EEEEDaSP_SQ_EUlSP_E0_NS1_11comp_targetILNS1_3genE4ELNS1_11target_archE910ELNS1_3gpuE8ELNS1_3repE0EEENS1_30default_config_static_selectorELNS0_4arch9wavefront6targetE1EEEvT1_
    .private_segment_fixed_size: 0
    .sgpr_count:     32
    .sgpr_spill_count: 0
    .symbol:         _ZN7rocprim17ROCPRIM_400000_NS6detail17trampoline_kernelINS0_14default_configENS1_20scan_config_selectorIiEEZZNS1_9scan_implILNS1_25lookback_scan_determinismE0ELb0ELb0ES3_N6thrust23THRUST_200600_302600_NS6detail15normal_iteratorINS9_10device_ptrIiEEEESE_i19const_ref_plus_mod3IiEiEEDaPvRmT3_T4_T5_mT6_P12ihipStream_tbENKUlT_T0_E_clISt17integral_constantIbLb0EEST_IbLb1EEEEDaSP_SQ_EUlSP_E0_NS1_11comp_targetILNS1_3genE4ELNS1_11target_archE910ELNS1_3gpuE8ELNS1_3repE0EEENS1_30default_config_static_selectorELNS0_4arch9wavefront6targetE1EEEvT1_.kd
    .uniform_work_group_size: 1
    .uses_dynamic_stack: false
    .vgpr_count:     22
    .vgpr_spill_count: 0
    .wavefront_size: 64
  - .agpr_count:     0
    .args:
      - .offset:         0
        .size:           40
        .value_kind:     by_value
    .group_segment_fixed_size: 0
    .kernarg_segment_align: 8
    .kernarg_segment_size: 40
    .language:       OpenCL C
    .language_version:
      - 2
      - 0
    .max_flat_workgroup_size: 256
    .name:           _ZN7rocprim17ROCPRIM_400000_NS6detail17trampoline_kernelINS0_14default_configENS1_20scan_config_selectorIiEEZZNS1_9scan_implILNS1_25lookback_scan_determinismE0ELb0ELb0ES3_N6thrust23THRUST_200600_302600_NS6detail15normal_iteratorINS9_10device_ptrIiEEEESE_i19const_ref_plus_mod3IiEiEEDaPvRmT3_T4_T5_mT6_P12ihipStream_tbENKUlT_T0_E_clISt17integral_constantIbLb0EEST_IbLb1EEEEDaSP_SQ_EUlSP_E0_NS1_11comp_targetILNS1_3genE3ELNS1_11target_archE908ELNS1_3gpuE7ELNS1_3repE0EEENS1_30default_config_static_selectorELNS0_4arch9wavefront6targetE1EEEvT1_
    .private_segment_fixed_size: 0
    .sgpr_count:     4
    .sgpr_spill_count: 0
    .symbol:         _ZN7rocprim17ROCPRIM_400000_NS6detail17trampoline_kernelINS0_14default_configENS1_20scan_config_selectorIiEEZZNS1_9scan_implILNS1_25lookback_scan_determinismE0ELb0ELb0ES3_N6thrust23THRUST_200600_302600_NS6detail15normal_iteratorINS9_10device_ptrIiEEEESE_i19const_ref_plus_mod3IiEiEEDaPvRmT3_T4_T5_mT6_P12ihipStream_tbENKUlT_T0_E_clISt17integral_constantIbLb0EEST_IbLb1EEEEDaSP_SQ_EUlSP_E0_NS1_11comp_targetILNS1_3genE3ELNS1_11target_archE908ELNS1_3gpuE7ELNS1_3repE0EEENS1_30default_config_static_selectorELNS0_4arch9wavefront6targetE1EEEvT1_.kd
    .uniform_work_group_size: 1
    .uses_dynamic_stack: false
    .vgpr_count:     0
    .vgpr_spill_count: 0
    .wavefront_size: 64
  - .agpr_count:     0
    .args:
      - .offset:         0
        .size:           40
        .value_kind:     by_value
    .group_segment_fixed_size: 0
    .kernarg_segment_align: 8
    .kernarg_segment_size: 40
    .language:       OpenCL C
    .language_version:
      - 2
      - 0
    .max_flat_workgroup_size: 256
    .name:           _ZN7rocprim17ROCPRIM_400000_NS6detail17trampoline_kernelINS0_14default_configENS1_20scan_config_selectorIiEEZZNS1_9scan_implILNS1_25lookback_scan_determinismE0ELb0ELb0ES3_N6thrust23THRUST_200600_302600_NS6detail15normal_iteratorINS9_10device_ptrIiEEEESE_i19const_ref_plus_mod3IiEiEEDaPvRmT3_T4_T5_mT6_P12ihipStream_tbENKUlT_T0_E_clISt17integral_constantIbLb0EEST_IbLb1EEEEDaSP_SQ_EUlSP_E0_NS1_11comp_targetILNS1_3genE2ELNS1_11target_archE906ELNS1_3gpuE6ELNS1_3repE0EEENS1_30default_config_static_selectorELNS0_4arch9wavefront6targetE1EEEvT1_
    .private_segment_fixed_size: 0
    .sgpr_count:     4
    .sgpr_spill_count: 0
    .symbol:         _ZN7rocprim17ROCPRIM_400000_NS6detail17trampoline_kernelINS0_14default_configENS1_20scan_config_selectorIiEEZZNS1_9scan_implILNS1_25lookback_scan_determinismE0ELb0ELb0ES3_N6thrust23THRUST_200600_302600_NS6detail15normal_iteratorINS9_10device_ptrIiEEEESE_i19const_ref_plus_mod3IiEiEEDaPvRmT3_T4_T5_mT6_P12ihipStream_tbENKUlT_T0_E_clISt17integral_constantIbLb0EEST_IbLb1EEEEDaSP_SQ_EUlSP_E0_NS1_11comp_targetILNS1_3genE2ELNS1_11target_archE906ELNS1_3gpuE6ELNS1_3repE0EEENS1_30default_config_static_selectorELNS0_4arch9wavefront6targetE1EEEvT1_.kd
    .uniform_work_group_size: 1
    .uses_dynamic_stack: false
    .vgpr_count:     0
    .vgpr_spill_count: 0
    .wavefront_size: 64
  - .agpr_count:     0
    .args:
      - .offset:         0
        .size:           40
        .value_kind:     by_value
    .group_segment_fixed_size: 0
    .kernarg_segment_align: 8
    .kernarg_segment_size: 40
    .language:       OpenCL C
    .language_version:
      - 2
      - 0
    .max_flat_workgroup_size: 256
    .name:           _ZN7rocprim17ROCPRIM_400000_NS6detail17trampoline_kernelINS0_14default_configENS1_20scan_config_selectorIiEEZZNS1_9scan_implILNS1_25lookback_scan_determinismE0ELb0ELb0ES3_N6thrust23THRUST_200600_302600_NS6detail15normal_iteratorINS9_10device_ptrIiEEEESE_i19const_ref_plus_mod3IiEiEEDaPvRmT3_T4_T5_mT6_P12ihipStream_tbENKUlT_T0_E_clISt17integral_constantIbLb0EEST_IbLb1EEEEDaSP_SQ_EUlSP_E0_NS1_11comp_targetILNS1_3genE10ELNS1_11target_archE1201ELNS1_3gpuE5ELNS1_3repE0EEENS1_30default_config_static_selectorELNS0_4arch9wavefront6targetE1EEEvT1_
    .private_segment_fixed_size: 0
    .sgpr_count:     4
    .sgpr_spill_count: 0
    .symbol:         _ZN7rocprim17ROCPRIM_400000_NS6detail17trampoline_kernelINS0_14default_configENS1_20scan_config_selectorIiEEZZNS1_9scan_implILNS1_25lookback_scan_determinismE0ELb0ELb0ES3_N6thrust23THRUST_200600_302600_NS6detail15normal_iteratorINS9_10device_ptrIiEEEESE_i19const_ref_plus_mod3IiEiEEDaPvRmT3_T4_T5_mT6_P12ihipStream_tbENKUlT_T0_E_clISt17integral_constantIbLb0EEST_IbLb1EEEEDaSP_SQ_EUlSP_E0_NS1_11comp_targetILNS1_3genE10ELNS1_11target_archE1201ELNS1_3gpuE5ELNS1_3repE0EEENS1_30default_config_static_selectorELNS0_4arch9wavefront6targetE1EEEvT1_.kd
    .uniform_work_group_size: 1
    .uses_dynamic_stack: false
    .vgpr_count:     0
    .vgpr_spill_count: 0
    .wavefront_size: 64
  - .agpr_count:     0
    .args:
      - .offset:         0
        .size:           40
        .value_kind:     by_value
    .group_segment_fixed_size: 0
    .kernarg_segment_align: 8
    .kernarg_segment_size: 40
    .language:       OpenCL C
    .language_version:
      - 2
      - 0
    .max_flat_workgroup_size: 256
    .name:           _ZN7rocprim17ROCPRIM_400000_NS6detail17trampoline_kernelINS0_14default_configENS1_20scan_config_selectorIiEEZZNS1_9scan_implILNS1_25lookback_scan_determinismE0ELb0ELb0ES3_N6thrust23THRUST_200600_302600_NS6detail15normal_iteratorINS9_10device_ptrIiEEEESE_i19const_ref_plus_mod3IiEiEEDaPvRmT3_T4_T5_mT6_P12ihipStream_tbENKUlT_T0_E_clISt17integral_constantIbLb0EEST_IbLb1EEEEDaSP_SQ_EUlSP_E0_NS1_11comp_targetILNS1_3genE10ELNS1_11target_archE1200ELNS1_3gpuE4ELNS1_3repE0EEENS1_30default_config_static_selectorELNS0_4arch9wavefront6targetE1EEEvT1_
    .private_segment_fixed_size: 0
    .sgpr_count:     4
    .sgpr_spill_count: 0
    .symbol:         _ZN7rocprim17ROCPRIM_400000_NS6detail17trampoline_kernelINS0_14default_configENS1_20scan_config_selectorIiEEZZNS1_9scan_implILNS1_25lookback_scan_determinismE0ELb0ELb0ES3_N6thrust23THRUST_200600_302600_NS6detail15normal_iteratorINS9_10device_ptrIiEEEESE_i19const_ref_plus_mod3IiEiEEDaPvRmT3_T4_T5_mT6_P12ihipStream_tbENKUlT_T0_E_clISt17integral_constantIbLb0EEST_IbLb1EEEEDaSP_SQ_EUlSP_E0_NS1_11comp_targetILNS1_3genE10ELNS1_11target_archE1200ELNS1_3gpuE4ELNS1_3repE0EEENS1_30default_config_static_selectorELNS0_4arch9wavefront6targetE1EEEvT1_.kd
    .uniform_work_group_size: 1
    .uses_dynamic_stack: false
    .vgpr_count:     0
    .vgpr_spill_count: 0
    .wavefront_size: 64
  - .agpr_count:     0
    .args:
      - .offset:         0
        .size:           40
        .value_kind:     by_value
    .group_segment_fixed_size: 0
    .kernarg_segment_align: 8
    .kernarg_segment_size: 40
    .language:       OpenCL C
    .language_version:
      - 2
      - 0
    .max_flat_workgroup_size: 256
    .name:           _ZN7rocprim17ROCPRIM_400000_NS6detail17trampoline_kernelINS0_14default_configENS1_20scan_config_selectorIiEEZZNS1_9scan_implILNS1_25lookback_scan_determinismE0ELb0ELb0ES3_N6thrust23THRUST_200600_302600_NS6detail15normal_iteratorINS9_10device_ptrIiEEEESE_i19const_ref_plus_mod3IiEiEEDaPvRmT3_T4_T5_mT6_P12ihipStream_tbENKUlT_T0_E_clISt17integral_constantIbLb0EEST_IbLb1EEEEDaSP_SQ_EUlSP_E0_NS1_11comp_targetILNS1_3genE9ELNS1_11target_archE1100ELNS1_3gpuE3ELNS1_3repE0EEENS1_30default_config_static_selectorELNS0_4arch9wavefront6targetE1EEEvT1_
    .private_segment_fixed_size: 0
    .sgpr_count:     4
    .sgpr_spill_count: 0
    .symbol:         _ZN7rocprim17ROCPRIM_400000_NS6detail17trampoline_kernelINS0_14default_configENS1_20scan_config_selectorIiEEZZNS1_9scan_implILNS1_25lookback_scan_determinismE0ELb0ELb0ES3_N6thrust23THRUST_200600_302600_NS6detail15normal_iteratorINS9_10device_ptrIiEEEESE_i19const_ref_plus_mod3IiEiEEDaPvRmT3_T4_T5_mT6_P12ihipStream_tbENKUlT_T0_E_clISt17integral_constantIbLb0EEST_IbLb1EEEEDaSP_SQ_EUlSP_E0_NS1_11comp_targetILNS1_3genE9ELNS1_11target_archE1100ELNS1_3gpuE3ELNS1_3repE0EEENS1_30default_config_static_selectorELNS0_4arch9wavefront6targetE1EEEvT1_.kd
    .uniform_work_group_size: 1
    .uses_dynamic_stack: false
    .vgpr_count:     0
    .vgpr_spill_count: 0
    .wavefront_size: 64
  - .agpr_count:     0
    .args:
      - .offset:         0
        .size:           40
        .value_kind:     by_value
    .group_segment_fixed_size: 0
    .kernarg_segment_align: 8
    .kernarg_segment_size: 40
    .language:       OpenCL C
    .language_version:
      - 2
      - 0
    .max_flat_workgroup_size: 64
    .name:           _ZN7rocprim17ROCPRIM_400000_NS6detail17trampoline_kernelINS0_14default_configENS1_20scan_config_selectorIiEEZZNS1_9scan_implILNS1_25lookback_scan_determinismE0ELb0ELb0ES3_N6thrust23THRUST_200600_302600_NS6detail15normal_iteratorINS9_10device_ptrIiEEEESE_i19const_ref_plus_mod3IiEiEEDaPvRmT3_T4_T5_mT6_P12ihipStream_tbENKUlT_T0_E_clISt17integral_constantIbLb0EEST_IbLb1EEEEDaSP_SQ_EUlSP_E0_NS1_11comp_targetILNS1_3genE8ELNS1_11target_archE1030ELNS1_3gpuE2ELNS1_3repE0EEENS1_30default_config_static_selectorELNS0_4arch9wavefront6targetE1EEEvT1_
    .private_segment_fixed_size: 0
    .sgpr_count:     4
    .sgpr_spill_count: 0
    .symbol:         _ZN7rocprim17ROCPRIM_400000_NS6detail17trampoline_kernelINS0_14default_configENS1_20scan_config_selectorIiEEZZNS1_9scan_implILNS1_25lookback_scan_determinismE0ELb0ELb0ES3_N6thrust23THRUST_200600_302600_NS6detail15normal_iteratorINS9_10device_ptrIiEEEESE_i19const_ref_plus_mod3IiEiEEDaPvRmT3_T4_T5_mT6_P12ihipStream_tbENKUlT_T0_E_clISt17integral_constantIbLb0EEST_IbLb1EEEEDaSP_SQ_EUlSP_E0_NS1_11comp_targetILNS1_3genE8ELNS1_11target_archE1030ELNS1_3gpuE2ELNS1_3repE0EEENS1_30default_config_static_selectorELNS0_4arch9wavefront6targetE1EEEvT1_.kd
    .uniform_work_group_size: 1
    .uses_dynamic_stack: false
    .vgpr_count:     0
    .vgpr_spill_count: 0
    .wavefront_size: 64
amdhsa.target:   amdgcn-amd-amdhsa--gfx90a
amdhsa.version:
  - 1
  - 2
...

	.end_amdgpu_metadata
